;; amdgpu-corpus repo=vllm-project/vllm kind=compiled arch=gfx1100 opt=O3
	.text
	.amdgcn_target "amdgcn-amd-amdhsa--gfx1100"
	.amdhsa_code_object_version 6
	.p2align	2                               ; -- Begin function __ockl_fprintf_append_string_n
	.type	__ockl_fprintf_append_string_n,@function
__ockl_fprintf_append_string_n:         ; @__ockl_fprintf_append_string_n
; %bb.0:
	s_waitcnt vmcnt(0) expcnt(0) lgkmcnt(0)
	v_dual_mov_b32 v8, v3 :: v_dual_mov_b32 v7, v2
	v_or_b32_e32 v2, 2, v0
	v_cmp_eq_u32_e32 vcc_lo, 0, v6
	v_mbcnt_lo_u32_b32 v33, -1, 0
	s_mov_b32 s11, 0
	s_mov_b32 s0, exec_lo
	v_cndmask_b32_e32 v0, v2, v0, vcc_lo
	v_cmpx_ne_u64_e32 0, v[7:8]
	s_xor_b32 s10, exec_lo, s0
	s_cbranch_execz .LBB0_86
; %bb.1:
	s_load_b64 s[2:3], s[8:9], 0x50
	v_dual_mov_b32 v11, 2 :: v_dual_and_b32 v6, 2, v0
	v_mov_b32_e32 v10, 0
	v_and_b32_e32 v0, -3, v0
	v_mov_b32_e32 v12, 1
	s_mov_b32 s12, 0
	s_branch .LBB0_3
.LBB0_2:                                ;   in Loop: Header=BB0_3 Depth=1
	s_or_b32 exec_lo, exec_lo, s1
	v_sub_co_u32 v4, vcc_lo, v4, v29
	v_sub_co_ci_u32_e32 v5, vcc_lo, v5, v30, vcc_lo
	v_add_co_u32 v7, s0, v7, v29
	s_delay_alu instid0(VALU_DEP_1) | instskip(NEXT) | instid1(VALU_DEP_3)
	v_add_co_ci_u32_e64 v8, s0, v8, v30, s0
	v_cmp_eq_u64_e32 vcc_lo, 0, v[4:5]
	s_or_b32 s12, vcc_lo, s12
	s_delay_alu instid0(SALU_CYCLE_1)
	s_and_not1_b32 exec_lo, exec_lo, s12
	s_cbranch_execz .LBB0_85
.LBB0_3:                                ; =>This Loop Header: Depth=1
                                        ;     Child Loop BB0_6 Depth 2
                                        ;     Child Loop BB0_14 Depth 2
	;; [unrolled: 1-line block ×11, first 2 shown]
	v_cmp_gt_u64_e32 vcc_lo, 56, v[4:5]
	s_mov_b32 s1, exec_lo
                                        ; implicit-def: $vgpr2_vgpr3
                                        ; implicit-def: $sgpr4
	v_dual_cndmask_b32 v30, 0, v5 :: v_dual_cndmask_b32 v29, 56, v4
	v_cmpx_gt_u64_e32 8, v[4:5]
	s_xor_b32 s1, exec_lo, s1
	s_cbranch_execz .LBB0_9
; %bb.4:                                ;   in Loop: Header=BB0_3 Depth=1
	s_waitcnt vmcnt(0)
	v_mov_b32_e32 v2, 0
	v_mov_b32_e32 v3, 0
	s_mov_b64 s[4:5], 0
	s_mov_b32 s6, exec_lo
	v_cmpx_ne_u64_e32 0, v[4:5]
	s_cbranch_execz .LBB0_8
; %bb.5:                                ;   in Loop: Header=BB0_3 Depth=1
	v_lshlrev_b64 v[13:14], 3, v[29:30]
	v_dual_mov_b32 v2, 0 :: v_dual_mov_b32 v15, v8
	v_dual_mov_b32 v3, 0 :: v_dual_mov_b32 v14, v7
	s_mov_b32 s7, 0
	.p2align	6
.LBB0_6:                                ;   Parent Loop BB0_3 Depth=1
                                        ; =>  This Inner Loop Header: Depth=2
	flat_load_u8 v9, v[14:15]
	v_mov_b32_e32 v17, s11
	v_add_co_u32 v14, vcc_lo, v14, 1
	v_add_co_ci_u32_e32 v15, vcc_lo, 0, v15, vcc_lo
	s_waitcnt vmcnt(0) lgkmcnt(0)
	v_and_b32_e32 v16, 0xffff, v9
	s_delay_alu instid0(VALU_DEP_1) | instskip(SKIP_3) | instid1(VALU_DEP_2)
	v_lshlrev_b64 v[16:17], s4, v[16:17]
	s_add_u32 s4, s4, 8
	s_addc_u32 s5, s5, 0
	v_cmp_eq_u32_e64 s0, s4, v13
	v_or_b32_e32 v3, v17, v3
	s_delay_alu instid0(VALU_DEP_3) | instskip(NEXT) | instid1(VALU_DEP_3)
	v_or_b32_e32 v2, v16, v2
	s_or_b32 s7, s0, s7
	s_delay_alu instid0(SALU_CYCLE_1)
	s_and_not1_b32 exec_lo, exec_lo, s7
	s_cbranch_execnz .LBB0_6
; %bb.7:                                ;   in Loop: Header=BB0_3 Depth=1
	s_or_b32 exec_lo, exec_lo, s7
.LBB0_8:                                ;   in Loop: Header=BB0_3 Depth=1
	s_delay_alu instid0(SALU_CYCLE_1)
	s_or_b32 exec_lo, exec_lo, s6
	s_mov_b32 s4, 0
.LBB0_9:                                ;   in Loop: Header=BB0_3 Depth=1
	s_or_saveexec_b32 s0, s1
	v_dual_mov_b32 v9, s4 :: v_dual_mov_b32 v26, v8
	v_mov_b32_e32 v25, v7
	s_xor_b32 exec_lo, exec_lo, s0
	s_cbranch_execz .LBB0_11
; %bb.10:                               ;   in Loop: Header=BB0_3 Depth=1
	s_waitcnt vmcnt(0)
	flat_load_b64 v[2:3], v[7:8]
	v_add_co_u32 v25, vcc_lo, v7, 8
	v_add_co_ci_u32_e32 v26, vcc_lo, 0, v8, vcc_lo
	s_waitcnt vmcnt(0) lgkmcnt(0)
	v_and_b32_e32 v9, 0xff, v3
	v_and_b32_e32 v13, 0xff00, v3
	;; [unrolled: 1-line block ×4, first 2 shown]
	v_or3_b32 v2, v2, 0, 0
	s_delay_alu instid0(VALU_DEP_4) | instskip(SKIP_1) | instid1(VALU_DEP_2)
	v_or_b32_e32 v13, v9, v13
	v_add_nc_u32_e32 v9, -8, v29
	v_or3_b32 v3, v13, v14, v3
.LBB0_11:                               ;   in Loop: Header=BB0_3 Depth=1
	s_or_b32 exec_lo, exec_lo, s0
                                        ; implicit-def: $vgpr13_vgpr14
                                        ; implicit-def: $sgpr1
	s_delay_alu instid0(SALU_CYCLE_1) | instskip(NEXT) | instid1(VALU_DEP_2)
	s_mov_b32 s0, exec_lo
	v_cmpx_gt_u32_e32 8, v9
	s_xor_b32 s6, exec_lo, s0
	s_cbranch_execz .LBB0_17
; %bb.12:                               ;   in Loop: Header=BB0_3 Depth=1
	v_mov_b32_e32 v13, 0
	v_mov_b32_e32 v14, 0
	s_mov_b32 s7, exec_lo
	v_cmpx_ne_u32_e32 0, v9
	s_cbranch_execz .LBB0_16
; %bb.13:                               ;   in Loop: Header=BB0_3 Depth=1
	v_mov_b32_e32 v13, 0
	v_mov_b32_e32 v14, 0
	s_mov_b64 s[0:1], 0
	s_mov_b32 s13, 0
	s_mov_b64 s[4:5], 0
	.p2align	6
.LBB0_14:                               ;   Parent Loop BB0_3 Depth=1
                                        ; =>  This Inner Loop Header: Depth=2
	s_delay_alu instid0(SALU_CYCLE_1)
	v_add_co_u32 v15, vcc_lo, v25, s4
	v_add_co_ci_u32_e32 v16, vcc_lo, s5, v26, vcc_lo
	s_add_u32 s4, s4, 1
	s_addc_u32 s5, s5, 0
	v_cmp_eq_u32_e32 vcc_lo, s4, v9
	flat_load_u8 v15, v[15:16]
	s_waitcnt vmcnt(0) lgkmcnt(0)
	v_dual_mov_b32 v16, s11 :: v_dual_and_b32 v15, 0xffff, v15
	s_delay_alu instid0(VALU_DEP_1) | instskip(SKIP_3) | instid1(VALU_DEP_1)
	v_lshlrev_b64 v[15:16], s0, v[15:16]
	s_add_u32 s0, s0, 8
	s_addc_u32 s1, s1, 0
	s_or_b32 s13, vcc_lo, s13
	v_or_b32_e32 v14, v16, v14
	s_delay_alu instid0(VALU_DEP_2)
	v_or_b32_e32 v13, v15, v13
	s_and_not1_b32 exec_lo, exec_lo, s13
	s_cbranch_execnz .LBB0_14
; %bb.15:                               ;   in Loop: Header=BB0_3 Depth=1
	s_or_b32 exec_lo, exec_lo, s13
.LBB0_16:                               ;   in Loop: Header=BB0_3 Depth=1
	s_delay_alu instid0(SALU_CYCLE_1)
	s_or_b32 exec_lo, exec_lo, s7
	s_mov_b32 s1, 0
                                        ; implicit-def: $vgpr9
.LBB0_17:                               ;   in Loop: Header=BB0_3 Depth=1
	s_or_saveexec_b32 s0, s6
	v_mov_b32_e32 v17, s1
	s_xor_b32 exec_lo, exec_lo, s0
	s_cbranch_execz .LBB0_19
; %bb.18:                               ;   in Loop: Header=BB0_3 Depth=1
	flat_load_b64 v[13:14], v[25:26]
	v_add_co_u32 v25, vcc_lo, v25, 8
	v_add_nc_u32_e32 v17, -8, v9
	v_add_co_ci_u32_e32 v26, vcc_lo, 0, v26, vcc_lo
	s_waitcnt vmcnt(0) lgkmcnt(0)
	v_and_b32_e32 v15, 0xff, v14
	v_and_b32_e32 v16, 0xff00, v14
	;; [unrolled: 1-line block ×4, first 2 shown]
	v_or3_b32 v13, v13, 0, 0
	s_delay_alu instid0(VALU_DEP_4) | instskip(NEXT) | instid1(VALU_DEP_1)
	v_or_b32_e32 v15, v15, v16
	v_or3_b32 v14, v15, v18, v14
.LBB0_19:                               ;   in Loop: Header=BB0_3 Depth=1
	s_or_b32 exec_lo, exec_lo, s0
                                        ; implicit-def: $sgpr1
	s_delay_alu instid0(SALU_CYCLE_1)
	s_mov_b32 s0, exec_lo
	v_cmpx_gt_u32_e32 8, v17
	s_xor_b32 s6, exec_lo, s0
	s_cbranch_execz .LBB0_25
; %bb.20:                               ;   in Loop: Header=BB0_3 Depth=1
	v_mov_b32_e32 v15, 0
	v_mov_b32_e32 v16, 0
	s_mov_b32 s7, exec_lo
	v_cmpx_ne_u32_e32 0, v17
	s_cbranch_execz .LBB0_24
; %bb.21:                               ;   in Loop: Header=BB0_3 Depth=1
	v_mov_b32_e32 v15, 0
	v_mov_b32_e32 v16, 0
	s_mov_b64 s[0:1], 0
	s_mov_b32 s13, 0
	s_mov_b64 s[4:5], 0
	.p2align	6
.LBB0_22:                               ;   Parent Loop BB0_3 Depth=1
                                        ; =>  This Inner Loop Header: Depth=2
	s_delay_alu instid0(SALU_CYCLE_1)
	v_add_co_u32 v18, vcc_lo, v25, s4
	v_add_co_ci_u32_e32 v19, vcc_lo, s5, v26, vcc_lo
	s_add_u32 s4, s4, 1
	s_addc_u32 s5, s5, 0
	v_cmp_eq_u32_e32 vcc_lo, s4, v17
	flat_load_u8 v9, v[18:19]
	s_waitcnt vmcnt(0) lgkmcnt(0)
	v_dual_mov_b32 v19, s11 :: v_dual_and_b32 v18, 0xffff, v9
	s_delay_alu instid0(VALU_DEP_1) | instskip(SKIP_3) | instid1(VALU_DEP_1)
	v_lshlrev_b64 v[18:19], s0, v[18:19]
	s_add_u32 s0, s0, 8
	s_addc_u32 s1, s1, 0
	s_or_b32 s13, vcc_lo, s13
	v_or_b32_e32 v16, v19, v16
	s_delay_alu instid0(VALU_DEP_2)
	v_or_b32_e32 v15, v18, v15
	s_and_not1_b32 exec_lo, exec_lo, s13
	s_cbranch_execnz .LBB0_22
; %bb.23:                               ;   in Loop: Header=BB0_3 Depth=1
	s_or_b32 exec_lo, exec_lo, s13
.LBB0_24:                               ;   in Loop: Header=BB0_3 Depth=1
	s_delay_alu instid0(SALU_CYCLE_1)
	s_or_b32 exec_lo, exec_lo, s7
	s_mov_b32 s1, 0
                                        ; implicit-def: $vgpr17
.LBB0_25:                               ;   in Loop: Header=BB0_3 Depth=1
	s_or_saveexec_b32 s0, s6
	v_mov_b32_e32 v9, s1
	s_xor_b32 exec_lo, exec_lo, s0
	s_cbranch_execz .LBB0_27
; %bb.26:                               ;   in Loop: Header=BB0_3 Depth=1
	flat_load_b64 v[15:16], v[25:26]
	v_add_co_u32 v25, vcc_lo, v25, 8
	v_add_co_ci_u32_e32 v26, vcc_lo, 0, v26, vcc_lo
	s_waitcnt vmcnt(0) lgkmcnt(0)
	v_and_b32_e32 v9, 0xff, v16
	v_and_b32_e32 v18, 0xff00, v16
	;; [unrolled: 1-line block ×4, first 2 shown]
	v_or3_b32 v15, v15, 0, 0
	s_delay_alu instid0(VALU_DEP_4) | instskip(SKIP_1) | instid1(VALU_DEP_2)
	v_or_b32_e32 v18, v9, v18
	v_add_nc_u32_e32 v9, -8, v17
	v_or3_b32 v16, v18, v19, v16
.LBB0_27:                               ;   in Loop: Header=BB0_3 Depth=1
	s_or_b32 exec_lo, exec_lo, s0
                                        ; implicit-def: $vgpr17_vgpr18
                                        ; implicit-def: $sgpr1
	s_delay_alu instid0(SALU_CYCLE_1) | instskip(NEXT) | instid1(VALU_DEP_1)
	s_mov_b32 s0, exec_lo
	v_cmpx_gt_u32_e32 8, v9
	s_xor_b32 s6, exec_lo, s0
	s_cbranch_execz .LBB0_33
; %bb.28:                               ;   in Loop: Header=BB0_3 Depth=1
	v_mov_b32_e32 v17, 0
	v_mov_b32_e32 v18, 0
	s_mov_b32 s7, exec_lo
	v_cmpx_ne_u32_e32 0, v9
	s_cbranch_execz .LBB0_32
; %bb.29:                               ;   in Loop: Header=BB0_3 Depth=1
	v_mov_b32_e32 v17, 0
	v_mov_b32_e32 v18, 0
	s_mov_b64 s[0:1], 0
	s_mov_b32 s13, 0
	s_mov_b64 s[4:5], 0
	.p2align	6
.LBB0_30:                               ;   Parent Loop BB0_3 Depth=1
                                        ; =>  This Inner Loop Header: Depth=2
	s_delay_alu instid0(SALU_CYCLE_1)
	v_add_co_u32 v19, vcc_lo, v25, s4
	v_add_co_ci_u32_e32 v20, vcc_lo, s5, v26, vcc_lo
	s_add_u32 s4, s4, 1
	s_addc_u32 s5, s5, 0
	v_cmp_eq_u32_e32 vcc_lo, s4, v9
	flat_load_u8 v19, v[19:20]
	s_waitcnt vmcnt(0) lgkmcnt(0)
	v_dual_mov_b32 v20, s11 :: v_dual_and_b32 v19, 0xffff, v19
	s_delay_alu instid0(VALU_DEP_1) | instskip(SKIP_3) | instid1(VALU_DEP_1)
	v_lshlrev_b64 v[19:20], s0, v[19:20]
	s_add_u32 s0, s0, 8
	s_addc_u32 s1, s1, 0
	s_or_b32 s13, vcc_lo, s13
	v_or_b32_e32 v18, v20, v18
	s_delay_alu instid0(VALU_DEP_2)
	v_or_b32_e32 v17, v19, v17
	s_and_not1_b32 exec_lo, exec_lo, s13
	s_cbranch_execnz .LBB0_30
; %bb.31:                               ;   in Loop: Header=BB0_3 Depth=1
	s_or_b32 exec_lo, exec_lo, s13
.LBB0_32:                               ;   in Loop: Header=BB0_3 Depth=1
	s_delay_alu instid0(SALU_CYCLE_1)
	s_or_b32 exec_lo, exec_lo, s7
	s_mov_b32 s1, 0
                                        ; implicit-def: $vgpr9
.LBB0_33:                               ;   in Loop: Header=BB0_3 Depth=1
	s_or_saveexec_b32 s0, s6
	v_mov_b32_e32 v21, s1
	s_xor_b32 exec_lo, exec_lo, s0
	s_cbranch_execz .LBB0_35
; %bb.34:                               ;   in Loop: Header=BB0_3 Depth=1
	flat_load_b64 v[17:18], v[25:26]
	v_add_co_u32 v25, vcc_lo, v25, 8
	v_add_nc_u32_e32 v21, -8, v9
	v_add_co_ci_u32_e32 v26, vcc_lo, 0, v26, vcc_lo
	s_waitcnt vmcnt(0) lgkmcnt(0)
	v_and_b32_e32 v19, 0xff, v18
	v_and_b32_e32 v20, 0xff00, v18
	;; [unrolled: 1-line block ×4, first 2 shown]
	v_or3_b32 v17, v17, 0, 0
	s_delay_alu instid0(VALU_DEP_4) | instskip(NEXT) | instid1(VALU_DEP_1)
	v_or_b32_e32 v19, v19, v20
	v_or3_b32 v18, v19, v22, v18
.LBB0_35:                               ;   in Loop: Header=BB0_3 Depth=1
	s_or_b32 exec_lo, exec_lo, s0
                                        ; implicit-def: $sgpr1
	s_delay_alu instid0(SALU_CYCLE_1)
	s_mov_b32 s0, exec_lo
	v_cmpx_gt_u32_e32 8, v21
	s_xor_b32 s6, exec_lo, s0
	s_cbranch_execz .LBB0_41
; %bb.36:                               ;   in Loop: Header=BB0_3 Depth=1
	v_mov_b32_e32 v19, 0
	v_mov_b32_e32 v20, 0
	s_mov_b32 s7, exec_lo
	v_cmpx_ne_u32_e32 0, v21
	s_cbranch_execz .LBB0_40
; %bb.37:                               ;   in Loop: Header=BB0_3 Depth=1
	v_mov_b32_e32 v19, 0
	v_mov_b32_e32 v20, 0
	s_mov_b64 s[0:1], 0
	s_mov_b32 s13, 0
	s_mov_b64 s[4:5], 0
	.p2align	6
.LBB0_38:                               ;   Parent Loop BB0_3 Depth=1
                                        ; =>  This Inner Loop Header: Depth=2
	s_delay_alu instid0(SALU_CYCLE_1)
	v_add_co_u32 v22, vcc_lo, v25, s4
	v_add_co_ci_u32_e32 v23, vcc_lo, s5, v26, vcc_lo
	s_add_u32 s4, s4, 1
	s_addc_u32 s5, s5, 0
	v_cmp_eq_u32_e32 vcc_lo, s4, v21
	flat_load_u8 v9, v[22:23]
	s_waitcnt vmcnt(0) lgkmcnt(0)
	v_dual_mov_b32 v23, s11 :: v_dual_and_b32 v22, 0xffff, v9
	s_delay_alu instid0(VALU_DEP_1) | instskip(SKIP_3) | instid1(VALU_DEP_1)
	v_lshlrev_b64 v[22:23], s0, v[22:23]
	s_add_u32 s0, s0, 8
	s_addc_u32 s1, s1, 0
	s_or_b32 s13, vcc_lo, s13
	v_or_b32_e32 v20, v23, v20
	s_delay_alu instid0(VALU_DEP_2)
	v_or_b32_e32 v19, v22, v19
	s_and_not1_b32 exec_lo, exec_lo, s13
	s_cbranch_execnz .LBB0_38
; %bb.39:                               ;   in Loop: Header=BB0_3 Depth=1
	s_or_b32 exec_lo, exec_lo, s13
.LBB0_40:                               ;   in Loop: Header=BB0_3 Depth=1
	s_delay_alu instid0(SALU_CYCLE_1)
	s_or_b32 exec_lo, exec_lo, s7
	s_mov_b32 s1, 0
                                        ; implicit-def: $vgpr21
.LBB0_41:                               ;   in Loop: Header=BB0_3 Depth=1
	s_or_saveexec_b32 s0, s6
	v_mov_b32_e32 v9, s1
	s_xor_b32 exec_lo, exec_lo, s0
	s_cbranch_execz .LBB0_43
; %bb.42:                               ;   in Loop: Header=BB0_3 Depth=1
	flat_load_b64 v[19:20], v[25:26]
	v_add_co_u32 v25, vcc_lo, v25, 8
	v_add_co_ci_u32_e32 v26, vcc_lo, 0, v26, vcc_lo
	s_waitcnt vmcnt(0) lgkmcnt(0)
	v_and_b32_e32 v9, 0xff, v20
	v_and_b32_e32 v22, 0xff00, v20
	;; [unrolled: 1-line block ×4, first 2 shown]
	v_or3_b32 v19, v19, 0, 0
	s_delay_alu instid0(VALU_DEP_4) | instskip(SKIP_1) | instid1(VALU_DEP_2)
	v_or_b32_e32 v22, v9, v22
	v_add_nc_u32_e32 v9, -8, v21
	v_or3_b32 v20, v22, v23, v20
.LBB0_43:                               ;   in Loop: Header=BB0_3 Depth=1
	s_or_b32 exec_lo, exec_lo, s0
                                        ; implicit-def: $vgpr21_vgpr22
                                        ; implicit-def: $sgpr1
	s_delay_alu instid0(SALU_CYCLE_1) | instskip(NEXT) | instid1(VALU_DEP_1)
	s_mov_b32 s0, exec_lo
	v_cmpx_gt_u32_e32 8, v9
	s_xor_b32 s6, exec_lo, s0
	s_cbranch_execz .LBB0_49
; %bb.44:                               ;   in Loop: Header=BB0_3 Depth=1
	v_mov_b32_e32 v21, 0
	v_mov_b32_e32 v22, 0
	s_mov_b32 s7, exec_lo
	v_cmpx_ne_u32_e32 0, v9
	s_cbranch_execz .LBB0_48
; %bb.45:                               ;   in Loop: Header=BB0_3 Depth=1
	v_mov_b32_e32 v21, 0
	v_mov_b32_e32 v22, 0
	s_mov_b64 s[0:1], 0
	s_mov_b32 s13, 0
	s_mov_b64 s[4:5], 0
	.p2align	6
.LBB0_46:                               ;   Parent Loop BB0_3 Depth=1
                                        ; =>  This Inner Loop Header: Depth=2
	s_delay_alu instid0(SALU_CYCLE_1)
	v_add_co_u32 v23, vcc_lo, v25, s4
	v_add_co_ci_u32_e32 v24, vcc_lo, s5, v26, vcc_lo
	s_add_u32 s4, s4, 1
	s_addc_u32 s5, s5, 0
	v_cmp_eq_u32_e32 vcc_lo, s4, v9
	flat_load_u8 v23, v[23:24]
	s_waitcnt vmcnt(0) lgkmcnt(0)
	v_dual_mov_b32 v24, s11 :: v_dual_and_b32 v23, 0xffff, v23
	s_delay_alu instid0(VALU_DEP_1) | instskip(SKIP_3) | instid1(VALU_DEP_1)
	v_lshlrev_b64 v[23:24], s0, v[23:24]
	s_add_u32 s0, s0, 8
	s_addc_u32 s1, s1, 0
	s_or_b32 s13, vcc_lo, s13
	v_or_b32_e32 v22, v24, v22
	s_delay_alu instid0(VALU_DEP_2)
	v_or_b32_e32 v21, v23, v21
	s_and_not1_b32 exec_lo, exec_lo, s13
	s_cbranch_execnz .LBB0_46
; %bb.47:                               ;   in Loop: Header=BB0_3 Depth=1
	s_or_b32 exec_lo, exec_lo, s13
.LBB0_48:                               ;   in Loop: Header=BB0_3 Depth=1
	s_delay_alu instid0(SALU_CYCLE_1)
	s_or_b32 exec_lo, exec_lo, s7
	s_mov_b32 s1, 0
                                        ; implicit-def: $vgpr9
.LBB0_49:                               ;   in Loop: Header=BB0_3 Depth=1
	s_or_saveexec_b32 s0, s6
	v_mov_b32_e32 v27, s1
	s_xor_b32 exec_lo, exec_lo, s0
	s_cbranch_execz .LBB0_51
; %bb.50:                               ;   in Loop: Header=BB0_3 Depth=1
	flat_load_b64 v[21:22], v[25:26]
	v_add_co_u32 v25, vcc_lo, v25, 8
	v_add_nc_u32_e32 v27, -8, v9
	v_add_co_ci_u32_e32 v26, vcc_lo, 0, v26, vcc_lo
	s_waitcnt vmcnt(0) lgkmcnt(0)
	v_and_b32_e32 v23, 0xff, v22
	v_and_b32_e32 v24, 0xff00, v22
	;; [unrolled: 1-line block ×4, first 2 shown]
	v_or3_b32 v21, v21, 0, 0
	s_delay_alu instid0(VALU_DEP_4) | instskip(NEXT) | instid1(VALU_DEP_1)
	v_or_b32_e32 v23, v23, v24
	v_or3_b32 v22, v23, v28, v22
.LBB0_51:                               ;   in Loop: Header=BB0_3 Depth=1
	s_or_b32 exec_lo, exec_lo, s0
	s_delay_alu instid0(SALU_CYCLE_1)
	s_mov_b32 s0, exec_lo
	v_cmpx_gt_u32_e32 8, v27
	s_xor_b32 s4, exec_lo, s0
	s_cbranch_execz .LBB0_57
; %bb.52:                               ;   in Loop: Header=BB0_3 Depth=1
	v_mov_b32_e32 v23, 0
	v_mov_b32_e32 v24, 0
	s_mov_b32 s5, exec_lo
	v_cmpx_ne_u32_e32 0, v27
	s_cbranch_execz .LBB0_56
; %bb.53:                               ;   in Loop: Header=BB0_3 Depth=1
	v_mov_b32_e32 v23, 0
	v_mov_b32_e32 v24, 0
	s_mov_b64 s[0:1], 0
	s_mov_b32 s6, 0
	.p2align	6
.LBB0_54:                               ;   Parent Loop BB0_3 Depth=1
                                        ; =>  This Inner Loop Header: Depth=2
	flat_load_u8 v9, v[25:26]
	v_dual_mov_b32 v32, s11 :: v_dual_add_nc_u32 v27, -1, v27
	v_add_co_u32 v25, vcc_lo, v25, 1
	v_add_co_ci_u32_e32 v26, vcc_lo, 0, v26, vcc_lo
	s_delay_alu instid0(VALU_DEP_3) | instskip(SKIP_2) | instid1(VALU_DEP_1)
	v_cmp_eq_u32_e32 vcc_lo, 0, v27
	s_waitcnt vmcnt(0) lgkmcnt(0)
	v_and_b32_e32 v31, 0xffff, v9
	v_lshlrev_b64 v[31:32], s0, v[31:32]
	s_add_u32 s0, s0, 8
	s_addc_u32 s1, s1, 0
	s_or_b32 s6, vcc_lo, s6
	s_delay_alu instid0(VALU_DEP_1) | instskip(NEXT) | instid1(VALU_DEP_2)
	v_or_b32_e32 v24, v32, v24
	v_or_b32_e32 v23, v31, v23
	s_and_not1_b32 exec_lo, exec_lo, s6
	s_cbranch_execnz .LBB0_54
; %bb.55:                               ;   in Loop: Header=BB0_3 Depth=1
	s_or_b32 exec_lo, exec_lo, s6
.LBB0_56:                               ;   in Loop: Header=BB0_3 Depth=1
	s_delay_alu instid0(SALU_CYCLE_1)
	s_or_b32 exec_lo, exec_lo, s5
                                        ; implicit-def: $vgpr25_vgpr26
.LBB0_57:                               ;   in Loop: Header=BB0_3 Depth=1
	s_and_not1_saveexec_b32 s0, s4
	s_cbranch_execz .LBB0_59
; %bb.58:                               ;   in Loop: Header=BB0_3 Depth=1
	flat_load_b64 v[23:24], v[25:26]
	s_waitcnt vmcnt(0) lgkmcnt(0)
	v_and_b32_e32 v9, 0xff, v24
	v_and_b32_e32 v25, 0xff00, v24
	;; [unrolled: 1-line block ×4, first 2 shown]
	v_or3_b32 v23, v23, 0, 0
	s_delay_alu instid0(VALU_DEP_4) | instskip(NEXT) | instid1(VALU_DEP_1)
	v_or_b32_e32 v9, v9, v25
	v_or3_b32 v24, v9, v26, v24
.LBB0_59:                               ;   in Loop: Header=BB0_3 Depth=1
	s_or_b32 exec_lo, exec_lo, s0
	v_readfirstlane_b32 s0, v33
	v_mov_b32_e32 v31, 0
	v_mov_b32_e32 v32, 0
	s_delay_alu instid0(VALU_DEP_3) | instskip(NEXT) | instid1(VALU_DEP_1)
	v_cmp_eq_u32_e64 s0, s0, v33
	s_and_saveexec_b32 s1, s0
	s_cbranch_execz .LBB0_65
; %bb.60:                               ;   in Loop: Header=BB0_3 Depth=1
	s_waitcnt lgkmcnt(0)
	global_load_b64 v[27:28], v10, s[2:3] offset:24 glc
	s_waitcnt vmcnt(0)
	buffer_gl1_inv
	buffer_gl0_inv
	s_clause 0x1
	global_load_b64 v[25:26], v10, s[2:3] offset:40
	global_load_b64 v[31:32], v10, s[2:3]
	s_mov_b32 s4, exec_lo
	s_waitcnt vmcnt(1)
	v_and_b32_e32 v9, v26, v28
	v_and_b32_e32 v25, v25, v27
	s_delay_alu instid0(VALU_DEP_2) | instskip(NEXT) | instid1(VALU_DEP_2)
	v_mul_lo_u32 v9, v9, 24
	v_mul_hi_u32 v26, v25, 24
	v_mul_lo_u32 v25, v25, 24
	s_delay_alu instid0(VALU_DEP_2) | instskip(SKIP_1) | instid1(VALU_DEP_2)
	v_add_nc_u32_e32 v9, v26, v9
	s_waitcnt vmcnt(0)
	v_add_co_u32 v25, vcc_lo, v31, v25
	s_delay_alu instid0(VALU_DEP_2)
	v_add_co_ci_u32_e32 v26, vcc_lo, v32, v9, vcc_lo
	global_load_b64 v[25:26], v[25:26], off glc
	s_waitcnt vmcnt(0)
	global_atomic_cmpswap_b64 v[31:32], v10, v[25:28], s[2:3] offset:24 glc
	s_waitcnt vmcnt(0)
	buffer_gl1_inv
	buffer_gl0_inv
	v_cmpx_ne_u64_e64 v[31:32], v[27:28]
	s_cbranch_execz .LBB0_64
; %bb.61:                               ;   in Loop: Header=BB0_3 Depth=1
	s_mov_b32 s5, 0
	.p2align	6
.LBB0_62:                               ;   Parent Loop BB0_3 Depth=1
                                        ; =>  This Inner Loop Header: Depth=2
	s_sleep 1
	s_clause 0x1
	global_load_b64 v[25:26], v10, s[2:3] offset:40
	global_load_b64 v[34:35], v10, s[2:3]
	v_dual_mov_b32 v27, v31 :: v_dual_mov_b32 v28, v32
	s_waitcnt vmcnt(1)
	s_delay_alu instid0(VALU_DEP_1) | instskip(SKIP_1) | instid1(VALU_DEP_1)
	v_and_b32_e32 v9, v25, v27
	s_waitcnt vmcnt(0)
	v_mad_u64_u32 v[31:32], null, v9, 24, v[34:35]
	s_delay_alu instid0(VALU_DEP_1) | instskip(NEXT) | instid1(VALU_DEP_1)
	v_dual_mov_b32 v9, v32 :: v_dual_and_b32 v34, v26, v28
	v_mad_u64_u32 v[25:26], null, v34, 24, v[9:10]
	s_delay_alu instid0(VALU_DEP_1)
	v_mov_b32_e32 v32, v25
	global_load_b64 v[25:26], v[31:32], off glc
	s_waitcnt vmcnt(0)
	global_atomic_cmpswap_b64 v[31:32], v10, v[25:28], s[2:3] offset:24 glc
	s_waitcnt vmcnt(0)
	buffer_gl1_inv
	buffer_gl0_inv
	v_cmp_eq_u64_e32 vcc_lo, v[31:32], v[27:28]
	s_or_b32 s5, vcc_lo, s5
	s_delay_alu instid0(SALU_CYCLE_1)
	s_and_not1_b32 exec_lo, exec_lo, s5
	s_cbranch_execnz .LBB0_62
; %bb.63:                               ;   in Loop: Header=BB0_3 Depth=1
	s_or_b32 exec_lo, exec_lo, s5
.LBB0_64:                               ;   in Loop: Header=BB0_3 Depth=1
	s_delay_alu instid0(SALU_CYCLE_1)
	s_or_b32 exec_lo, exec_lo, s4
.LBB0_65:                               ;   in Loop: Header=BB0_3 Depth=1
	s_delay_alu instid0(SALU_CYCLE_1)
	s_or_b32 exec_lo, exec_lo, s1
	s_waitcnt lgkmcnt(0)
	s_clause 0x1
	global_load_b64 v[34:35], v10, s[2:3] offset:40
	global_load_b128 v[25:28], v10, s[2:3]
	v_readfirstlane_b32 s4, v31
	v_readfirstlane_b32 s5, v32
	s_mov_b32 s1, exec_lo
	s_waitcnt vmcnt(1)
	v_readfirstlane_b32 s6, v34
	v_readfirstlane_b32 s7, v35
	s_delay_alu instid0(VALU_DEP_1) | instskip(NEXT) | instid1(SALU_CYCLE_1)
	s_and_b64 s[6:7], s[4:5], s[6:7]
	s_mul_i32 s13, s7, 24
	s_mul_hi_u32 s14, s6, 24
	s_mul_i32 s15, s6, 24
	s_add_i32 s14, s14, s13
	s_waitcnt vmcnt(0)
	v_add_co_u32 v31, vcc_lo, v25, s15
	v_add_co_ci_u32_e32 v32, vcc_lo, s14, v26, vcc_lo
	s_and_saveexec_b32 s13, s0
	s_cbranch_execz .LBB0_67
; %bb.66:                               ;   in Loop: Header=BB0_3 Depth=1
	v_mov_b32_e32 v9, s1
	global_store_b128 v[31:32], v[9:12], off offset:8
.LBB0_67:                               ;   in Loop: Header=BB0_3 Depth=1
	s_or_b32 exec_lo, exec_lo, s13
	v_cmp_lt_u64_e32 vcc_lo, 56, v[4:5]
	v_or_b32_e32 v9, 0, v1
	v_or_b32_e32 v34, v0, v6
	v_lshl_add_u32 v35, v29, 2, 28
	s_lshl_b64 s[6:7], s[6:7], 12
	s_delay_alu instid0(SALU_CYCLE_1) | instskip(NEXT) | instid1(VALU_DEP_1)
	v_add_co_u32 v27, s1, v27, s6
	v_add_co_ci_u32_e64 v28, s1, s7, v28, s1
	v_dual_cndmask_b32 v1, v9, v1 :: v_dual_cndmask_b32 v0, v34, v0
	v_and_b32_e32 v9, 0x1e0, v35
	v_lshlrev_b32_e32 v34, 6, v33
	v_readfirstlane_b32 s6, v27
	v_readfirstlane_b32 s7, v28
	s_delay_alu instid0(VALU_DEP_4)
	v_and_or_b32 v0, 0xffffff1f, v0, v9
	s_clause 0x3
	global_store_b128 v34, v[0:3], s[6:7]
	global_store_b128 v34, v[13:16], s[6:7] offset:16
	global_store_b128 v34, v[17:20], s[6:7] offset:32
	;; [unrolled: 1-line block ×3, first 2 shown]
	s_and_saveexec_b32 s1, s0
	s_cbranch_execz .LBB0_75
; %bb.68:                               ;   in Loop: Header=BB0_3 Depth=1
	s_clause 0x1
	global_load_b64 v[17:18], v10, s[2:3] offset:32 glc
	global_load_b64 v[0:1], v10, s[2:3] offset:40
	v_dual_mov_b32 v15, s4 :: v_dual_mov_b32 v16, s5
	s_waitcnt vmcnt(0)
	v_readfirstlane_b32 s6, v0
	v_readfirstlane_b32 s7, v1
	s_delay_alu instid0(VALU_DEP_1) | instskip(NEXT) | instid1(SALU_CYCLE_1)
	s_and_b64 s[6:7], s[6:7], s[4:5]
	s_mul_i32 s7, s7, 24
	s_mul_hi_u32 s13, s6, 24
	s_mul_i32 s6, s6, 24
	s_add_i32 s13, s13, s7
	v_add_co_u32 v13, vcc_lo, v25, s6
	v_add_co_ci_u32_e32 v14, vcc_lo, s13, v26, vcc_lo
	s_mov_b32 s6, exec_lo
	global_store_b64 v[13:14], v[17:18], off
	s_waitcnt_vscnt null, 0x0
	global_atomic_cmpswap_b64 v[2:3], v10, v[15:18], s[2:3] offset:32 glc
	s_waitcnt vmcnt(0)
	v_cmpx_ne_u64_e64 v[2:3], v[17:18]
	s_cbranch_execz .LBB0_71
; %bb.69:                               ;   in Loop: Header=BB0_3 Depth=1
	s_mov_b32 s7, 0
.LBB0_70:                               ;   Parent Loop BB0_3 Depth=1
                                        ; =>  This Inner Loop Header: Depth=2
	v_dual_mov_b32 v0, s4 :: v_dual_mov_b32 v1, s5
	s_sleep 1
	global_store_b64 v[13:14], v[2:3], off
	s_waitcnt_vscnt null, 0x0
	global_atomic_cmpswap_b64 v[0:1], v10, v[0:3], s[2:3] offset:32 glc
	s_waitcnt vmcnt(0)
	v_cmp_eq_u64_e32 vcc_lo, v[0:1], v[2:3]
	v_dual_mov_b32 v3, v1 :: v_dual_mov_b32 v2, v0
	s_or_b32 s7, vcc_lo, s7
	s_delay_alu instid0(SALU_CYCLE_1)
	s_and_not1_b32 exec_lo, exec_lo, s7
	s_cbranch_execnz .LBB0_70
.LBB0_71:                               ;   in Loop: Header=BB0_3 Depth=1
	s_or_b32 exec_lo, exec_lo, s6
	global_load_b64 v[0:1], v10, s[2:3] offset:16
	s_mov_b32 s7, exec_lo
	s_mov_b32 s6, exec_lo
	v_mbcnt_lo_u32_b32 v2, s7, 0
	s_delay_alu instid0(VALU_DEP_1)
	v_cmpx_eq_u32_e32 0, v2
	s_cbranch_execz .LBB0_73
; %bb.72:                               ;   in Loop: Header=BB0_3 Depth=1
	s_bcnt1_i32_b32 s7, s7
	s_delay_alu instid0(SALU_CYCLE_1)
	v_mov_b32_e32 v9, s7
	s_waitcnt vmcnt(0)
	global_atomic_add_u64 v[0:1], v[9:10], off offset:8
.LBB0_73:                               ;   in Loop: Header=BB0_3 Depth=1
	s_or_b32 exec_lo, exec_lo, s6
	s_waitcnt vmcnt(0)
	global_load_b64 v[2:3], v[0:1], off offset:16
	s_waitcnt vmcnt(0)
	v_cmp_eq_u64_e32 vcc_lo, 0, v[2:3]
	s_cbranch_vccnz .LBB0_75
; %bb.74:                               ;   in Loop: Header=BB0_3 Depth=1
	global_load_b32 v9, v[0:1], off offset:24
	s_waitcnt vmcnt(0)
	v_and_b32_e32 v0, 0xffffff, v9
	s_waitcnt_vscnt null, 0x0
	global_store_b64 v[2:3], v[9:10], off
	v_readfirstlane_b32 m0, v0
	s_sendmsg sendmsg(MSG_INTERRUPT)
.LBB0_75:                               ;   in Loop: Header=BB0_3 Depth=1
	s_or_b32 exec_lo, exec_lo, s1
	v_add_co_u32 v0, vcc_lo, v27, v34
	v_add_co_ci_u32_e32 v1, vcc_lo, 0, v28, vcc_lo
	s_branch .LBB0_79
	.p2align	6
.LBB0_76:                               ;   in Loop: Header=BB0_79 Depth=2
	s_or_b32 exec_lo, exec_lo, s1
	s_delay_alu instid0(VALU_DEP_1) | instskip(NEXT) | instid1(VALU_DEP_1)
	v_readfirstlane_b32 s1, v2
	s_cmp_eq_u32 s1, 0
	s_cbranch_scc1 .LBB0_78
; %bb.77:                               ;   in Loop: Header=BB0_79 Depth=2
	s_sleep 1
	s_cbranch_execnz .LBB0_79
	s_branch .LBB0_81
	.p2align	6
.LBB0_78:                               ;   in Loop: Header=BB0_3 Depth=1
	s_branch .LBB0_81
.LBB0_79:                               ;   Parent Loop BB0_3 Depth=1
                                        ; =>  This Inner Loop Header: Depth=2
	v_mov_b32_e32 v2, 1
	s_and_saveexec_b32 s1, s0
	s_cbranch_execz .LBB0_76
; %bb.80:                               ;   in Loop: Header=BB0_79 Depth=2
	global_load_b32 v2, v[31:32], off offset:20 glc
	s_waitcnt vmcnt(0)
	buffer_gl1_inv
	buffer_gl0_inv
	v_and_b32_e32 v2, 1, v2
	s_branch .LBB0_76
.LBB0_81:                               ;   in Loop: Header=BB0_3 Depth=1
	global_load_b128 v[0:3], v[0:1], off
	s_and_saveexec_b32 s1, s0
	s_cbranch_execz .LBB0_2
; %bb.82:                               ;   in Loop: Header=BB0_3 Depth=1
	s_clause 0x2
	global_load_b64 v[2:3], v10, s[2:3] offset:40
	global_load_b64 v[17:18], v10, s[2:3] offset:24 glc
	global_load_b64 v[15:16], v10, s[2:3]
	s_waitcnt vmcnt(2)
	v_add_co_u32 v9, vcc_lo, v2, 1
	v_add_co_ci_u32_e32 v19, vcc_lo, 0, v3, vcc_lo
	s_delay_alu instid0(VALU_DEP_2) | instskip(NEXT) | instid1(VALU_DEP_2)
	v_add_co_u32 v13, vcc_lo, v9, s4
	v_add_co_ci_u32_e32 v14, vcc_lo, s5, v19, vcc_lo
	s_delay_alu instid0(VALU_DEP_1) | instskip(SKIP_1) | instid1(VALU_DEP_1)
	v_cmp_eq_u64_e32 vcc_lo, 0, v[13:14]
	v_dual_cndmask_b32 v14, v14, v19 :: v_dual_cndmask_b32 v13, v13, v9
	v_and_b32_e32 v3, v14, v3
	s_delay_alu instid0(VALU_DEP_2) | instskip(NEXT) | instid1(VALU_DEP_2)
	v_and_b32_e32 v2, v13, v2
	v_mul_lo_u32 v3, v3, 24
	s_delay_alu instid0(VALU_DEP_2) | instskip(SKIP_1) | instid1(VALU_DEP_2)
	v_mul_hi_u32 v9, v2, 24
	v_mul_lo_u32 v2, v2, 24
	v_add_nc_u32_e32 v3, v9, v3
	s_waitcnt vmcnt(0)
	s_delay_alu instid0(VALU_DEP_2) | instskip(SKIP_1) | instid1(VALU_DEP_3)
	v_add_co_u32 v2, vcc_lo, v15, v2
	v_mov_b32_e32 v15, v17
	v_add_co_ci_u32_e32 v3, vcc_lo, v16, v3, vcc_lo
	v_mov_b32_e32 v16, v18
	global_store_b64 v[2:3], v[17:18], off
	s_waitcnt_vscnt null, 0x0
	global_atomic_cmpswap_b64 v[15:16], v10, v[13:16], s[2:3] offset:24 glc
	s_waitcnt vmcnt(0)
	v_cmp_ne_u64_e32 vcc_lo, v[15:16], v[17:18]
	s_and_b32 exec_lo, exec_lo, vcc_lo
	s_cbranch_execz .LBB0_2
; %bb.83:                               ;   in Loop: Header=BB0_3 Depth=1
	s_mov_b32 s0, 0
.LBB0_84:                               ;   Parent Loop BB0_3 Depth=1
                                        ; =>  This Inner Loop Header: Depth=2
	s_sleep 1
	global_store_b64 v[2:3], v[15:16], off
	s_waitcnt_vscnt null, 0x0
	global_atomic_cmpswap_b64 v[17:18], v10, v[13:16], s[2:3] offset:24 glc
	s_waitcnt vmcnt(0)
	v_cmp_eq_u64_e32 vcc_lo, v[17:18], v[15:16]
	v_dual_mov_b32 v15, v17 :: v_dual_mov_b32 v16, v18
	s_or_b32 s0, vcc_lo, s0
	s_delay_alu instid0(SALU_CYCLE_1)
	s_and_not1_b32 exec_lo, exec_lo, s0
	s_cbranch_execnz .LBB0_84
	s_branch .LBB0_2
.LBB0_85:
	s_or_b32 exec_lo, exec_lo, s12
                                        ; implicit-def: $vgpr0
                                        ; implicit-def: $vgpr33
                                        ; implicit-def: $vgpr1
.LBB0_86:
	s_and_not1_saveexec_b32 s1, s10
	s_cbranch_execz .LBB0_108
; %bb.87:
	s_load_b64 s[2:3], s[8:9], 0x50
	v_readfirstlane_b32 s0, v33
	v_mov_b32_e32 v8, 0
	v_mov_b32_e32 v9, 0
	s_delay_alu instid0(VALU_DEP_3) | instskip(NEXT) | instid1(VALU_DEP_1)
	v_cmp_eq_u32_e64 s0, s0, v33
	s_and_saveexec_b32 s4, s0
	s_cbranch_execz .LBB0_93
; %bb.88:
	s_waitcnt vmcnt(0)
	v_mov_b32_e32 v2, 0
	s_mov_b32 s5, exec_lo
	s_waitcnt lgkmcnt(0)
	global_load_b64 v[5:6], v2, s[2:3] offset:24 glc
	s_waitcnt vmcnt(0)
	buffer_gl1_inv
	buffer_gl0_inv
	s_clause 0x1
	global_load_b64 v[3:4], v2, s[2:3] offset:40
	global_load_b64 v[7:8], v2, s[2:3]
	s_waitcnt vmcnt(1)
	v_and_b32_e32 v3, v3, v5
	v_and_b32_e32 v4, v4, v6
	s_delay_alu instid0(VALU_DEP_2) | instskip(NEXT) | instid1(VALU_DEP_2)
	v_mul_hi_u32 v9, v3, 24
	v_mul_lo_u32 v4, v4, 24
	v_mul_lo_u32 v3, v3, 24
	s_delay_alu instid0(VALU_DEP_2) | instskip(SKIP_1) | instid1(VALU_DEP_2)
	v_add_nc_u32_e32 v4, v9, v4
	s_waitcnt vmcnt(0)
	v_add_co_u32 v3, vcc_lo, v7, v3
	s_delay_alu instid0(VALU_DEP_2)
	v_add_co_ci_u32_e32 v4, vcc_lo, v8, v4, vcc_lo
	global_load_b64 v[3:4], v[3:4], off glc
	s_waitcnt vmcnt(0)
	global_atomic_cmpswap_b64 v[8:9], v2, v[3:6], s[2:3] offset:24 glc
	s_waitcnt vmcnt(0)
	buffer_gl1_inv
	buffer_gl0_inv
	v_cmpx_ne_u64_e64 v[8:9], v[5:6]
	s_cbranch_execz .LBB0_92
; %bb.89:
	s_mov_b32 s6, 0
	.p2align	6
.LBB0_90:                               ; =>This Inner Loop Header: Depth=1
	s_sleep 1
	s_clause 0x1
	global_load_b64 v[3:4], v2, s[2:3] offset:40
	global_load_b64 v[10:11], v2, s[2:3]
	v_dual_mov_b32 v5, v8 :: v_dual_mov_b32 v6, v9
	s_waitcnt vmcnt(1)
	s_delay_alu instid0(VALU_DEP_1) | instskip(NEXT) | instid1(VALU_DEP_2)
	v_and_b32_e32 v3, v3, v5
	v_and_b32_e32 v4, v4, v6
	s_waitcnt vmcnt(0)
	s_delay_alu instid0(VALU_DEP_2) | instskip(NEXT) | instid1(VALU_DEP_1)
	v_mad_u64_u32 v[7:8], null, v3, 24, v[10:11]
	v_mov_b32_e32 v3, v8
	s_delay_alu instid0(VALU_DEP_1)
	v_mad_u64_u32 v[8:9], null, v4, 24, v[3:4]
	global_load_b64 v[3:4], v[7:8], off glc
	s_waitcnt vmcnt(0)
	global_atomic_cmpswap_b64 v[8:9], v2, v[3:6], s[2:3] offset:24 glc
	s_waitcnt vmcnt(0)
	buffer_gl1_inv
	buffer_gl0_inv
	v_cmp_eq_u64_e32 vcc_lo, v[8:9], v[5:6]
	s_or_b32 s6, vcc_lo, s6
	s_delay_alu instid0(SALU_CYCLE_1)
	s_and_not1_b32 exec_lo, exec_lo, s6
	s_cbranch_execnz .LBB0_90
; %bb.91:
	s_or_b32 exec_lo, exec_lo, s6
.LBB0_92:
	s_delay_alu instid0(SALU_CYCLE_1)
	s_or_b32 exec_lo, exec_lo, s5
.LBB0_93:
	s_delay_alu instid0(SALU_CYCLE_1)
	s_or_b32 exec_lo, exec_lo, s4
	s_waitcnt vmcnt(0)
	v_mov_b32_e32 v2, 0
	v_readfirstlane_b32 s4, v8
	v_readfirstlane_b32 s5, v9
	s_mov_b32 s8, exec_lo
	s_waitcnt lgkmcnt(0)
	s_clause 0x1
	global_load_b64 v[10:11], v2, s[2:3] offset:40
	global_load_b128 v[4:7], v2, s[2:3]
	s_waitcnt vmcnt(1)
	v_readfirstlane_b32 s6, v10
	v_readfirstlane_b32 s7, v11
	s_delay_alu instid0(VALU_DEP_1) | instskip(NEXT) | instid1(SALU_CYCLE_1)
	s_and_b64 s[6:7], s[4:5], s[6:7]
	s_mul_i32 s9, s7, 24
	s_mul_hi_u32 s10, s6, 24
	s_mul_i32 s11, s6, 24
	s_add_i32 s10, s10, s9
	s_waitcnt vmcnt(0)
	v_add_co_u32 v8, vcc_lo, v4, s11
	v_add_co_ci_u32_e32 v9, vcc_lo, s10, v5, vcc_lo
	s_and_saveexec_b32 s9, s0
	s_cbranch_execz .LBB0_95
; %bb.94:
	v_dual_mov_b32 v10, s8 :: v_dual_mov_b32 v11, v2
	v_dual_mov_b32 v12, 2 :: v_dual_mov_b32 v13, 1
	global_store_b128 v[8:9], v[10:13], off offset:8
.LBB0_95:
	s_or_b32 exec_lo, exec_lo, s9
	s_lshl_b64 s[6:7], s[6:7], 12
	s_mov_b32 s8, 0
	v_add_co_u32 v6, vcc_lo, v6, s6
	v_add_co_ci_u32_e32 v7, vcc_lo, s7, v7, vcc_lo
	s_mov_b32 s11, s8
	s_mov_b32 s9, s8
	;; [unrolled: 1-line block ×3, first 2 shown]
	v_and_or_b32 v0, 0xffffff1f, v0, 32
	v_dual_mov_b32 v3, v2 :: v_dual_lshlrev_b32 v14, 6, v33
	v_readfirstlane_b32 s6, v6
	v_readfirstlane_b32 s7, v7
	v_dual_mov_b32 v13, s11 :: v_dual_mov_b32 v12, s10
	v_dual_mov_b32 v11, s9 :: v_dual_mov_b32 v10, s8
	s_clause 0x3
	global_store_b128 v14, v[0:3], s[6:7]
	global_store_b128 v14, v[10:13], s[6:7] offset:16
	global_store_b128 v14, v[10:13], s[6:7] offset:32
	;; [unrolled: 1-line block ×3, first 2 shown]
	s_and_saveexec_b32 s6, s0
	s_cbranch_execz .LBB0_102
; %bb.96:
	v_mov_b32_e32 v6, 0
	s_mov_b32 s7, exec_lo
	s_clause 0x1
	global_load_b64 v[12:13], v6, s[2:3] offset:32 glc
	global_load_b64 v[0:1], v6, s[2:3] offset:40
	v_dual_mov_b32 v11, s5 :: v_dual_mov_b32 v10, s4
	s_waitcnt vmcnt(0)
	v_and_b32_e32 v1, s5, v1
	v_and_b32_e32 v0, s4, v0
	s_delay_alu instid0(VALU_DEP_2) | instskip(NEXT) | instid1(VALU_DEP_2)
	v_mul_lo_u32 v1, v1, 24
	v_mul_hi_u32 v2, v0, 24
	v_mul_lo_u32 v0, v0, 24
	s_delay_alu instid0(VALU_DEP_2) | instskip(NEXT) | instid1(VALU_DEP_2)
	v_add_nc_u32_e32 v1, v2, v1
	v_add_co_u32 v4, vcc_lo, v4, v0
	s_delay_alu instid0(VALU_DEP_2)
	v_add_co_ci_u32_e32 v5, vcc_lo, v5, v1, vcc_lo
	global_store_b64 v[4:5], v[12:13], off
	s_waitcnt_vscnt null, 0x0
	global_atomic_cmpswap_b64 v[2:3], v6, v[10:13], s[2:3] offset:32 glc
	s_waitcnt vmcnt(0)
	v_cmpx_ne_u64_e64 v[2:3], v[12:13]
	s_cbranch_execz .LBB0_98
.LBB0_97:                               ; =>This Inner Loop Header: Depth=1
	v_dual_mov_b32 v0, s4 :: v_dual_mov_b32 v1, s5
	s_sleep 1
	global_store_b64 v[4:5], v[2:3], off
	s_waitcnt_vscnt null, 0x0
	global_atomic_cmpswap_b64 v[0:1], v6, v[0:3], s[2:3] offset:32 glc
	s_waitcnt vmcnt(0)
	v_cmp_eq_u64_e32 vcc_lo, v[0:1], v[2:3]
	v_dual_mov_b32 v3, v1 :: v_dual_mov_b32 v2, v0
	s_or_b32 s8, vcc_lo, s8
	s_delay_alu instid0(SALU_CYCLE_1)
	s_and_not1_b32 exec_lo, exec_lo, s8
	s_cbranch_execnz .LBB0_97
.LBB0_98:
	s_or_b32 exec_lo, exec_lo, s7
	v_mov_b32_e32 v3, 0
	s_mov_b32 s8, exec_lo
	s_mov_b32 s7, exec_lo
	v_mbcnt_lo_u32_b32 v2, s8, 0
	global_load_b64 v[0:1], v3, s[2:3] offset:16
	v_cmpx_eq_u32_e32 0, v2
	s_cbranch_execz .LBB0_100
; %bb.99:
	s_bcnt1_i32_b32 s8, s8
	s_delay_alu instid0(SALU_CYCLE_1)
	v_mov_b32_e32 v2, s8
	s_waitcnt vmcnt(0)
	global_atomic_add_u64 v[0:1], v[2:3], off offset:8
.LBB0_100:
	s_or_b32 exec_lo, exec_lo, s7
	s_waitcnt vmcnt(0)
	global_load_b64 v[2:3], v[0:1], off offset:16
	s_waitcnt vmcnt(0)
	v_cmp_eq_u64_e32 vcc_lo, 0, v[2:3]
	s_cbranch_vccnz .LBB0_102
; %bb.101:
	global_load_b32 v0, v[0:1], off offset:24
	s_waitcnt vmcnt(0)
	v_dual_mov_b32 v1, 0 :: v_dual_and_b32 v4, 0xffffff, v0
	s_waitcnt_vscnt null, 0x0
	global_store_b64 v[2:3], v[0:1], off
	v_readfirstlane_b32 m0, v4
	s_sendmsg sendmsg(MSG_INTERRUPT)
.LBB0_102:
	s_or_b32 exec_lo, exec_lo, s6
	s_branch .LBB0_106
	.p2align	6
.LBB0_103:                              ;   in Loop: Header=BB0_106 Depth=1
	s_or_b32 exec_lo, exec_lo, s6
	s_delay_alu instid0(VALU_DEP_1) | instskip(NEXT) | instid1(VALU_DEP_1)
	v_readfirstlane_b32 s6, v0
	s_cmp_eq_u32 s6, 0
	s_cbranch_scc1 .LBB0_105
; %bb.104:                              ;   in Loop: Header=BB0_106 Depth=1
	s_sleep 1
	s_cbranch_execnz .LBB0_106
	s_branch .LBB0_109
	.p2align	6
.LBB0_105:
	s_branch .LBB0_109
.LBB0_106:                              ; =>This Inner Loop Header: Depth=1
	v_mov_b32_e32 v0, 1
	s_and_saveexec_b32 s6, s0
	s_cbranch_execz .LBB0_103
; %bb.107:                              ;   in Loop: Header=BB0_106 Depth=1
	global_load_b32 v0, v[8:9], off offset:20 glc
	s_waitcnt vmcnt(0)
	buffer_gl1_inv
	buffer_gl0_inv
	v_and_b32_e32 v0, 1, v0
	s_branch .LBB0_103
.LBB0_108:
	s_or_b32 exec_lo, exec_lo, s1
	s_waitcnt vmcnt(0) lgkmcnt(0)
	s_setpc_b64 s[30:31]
.LBB0_109:
	s_and_saveexec_b32 s6, s0
	s_cbranch_execz .LBB0_113
; %bb.110:
	v_mov_b32_e32 v6, 0
	s_clause 0x2
	global_load_b64 v[2:3], v6, s[2:3] offset:40
	global_load_b64 v[7:8], v6, s[2:3] offset:24 glc
	global_load_b64 v[4:5], v6, s[2:3]
	s_waitcnt vmcnt(2)
	v_add_co_u32 v9, vcc_lo, v2, 1
	v_add_co_ci_u32_e32 v10, vcc_lo, 0, v3, vcc_lo
	s_delay_alu instid0(VALU_DEP_2) | instskip(NEXT) | instid1(VALU_DEP_2)
	v_add_co_u32 v0, vcc_lo, v9, s4
	v_add_co_ci_u32_e32 v1, vcc_lo, s5, v10, vcc_lo
	s_delay_alu instid0(VALU_DEP_1) | instskip(SKIP_1) | instid1(VALU_DEP_1)
	v_cmp_eq_u64_e32 vcc_lo, 0, v[0:1]
	v_dual_cndmask_b32 v1, v1, v10 :: v_dual_cndmask_b32 v0, v0, v9
	v_and_b32_e32 v3, v1, v3
	s_delay_alu instid0(VALU_DEP_2) | instskip(NEXT) | instid1(VALU_DEP_2)
	v_and_b32_e32 v2, v0, v2
	v_mul_lo_u32 v3, v3, 24
	s_delay_alu instid0(VALU_DEP_2) | instskip(SKIP_1) | instid1(VALU_DEP_2)
	v_mul_hi_u32 v9, v2, 24
	v_mul_lo_u32 v2, v2, 24
	v_add_nc_u32_e32 v3, v9, v3
	s_waitcnt vmcnt(0)
	s_delay_alu instid0(VALU_DEP_2) | instskip(SKIP_1) | instid1(VALU_DEP_3)
	v_add_co_u32 v4, vcc_lo, v4, v2
	v_mov_b32_e32 v2, v7
	v_add_co_ci_u32_e32 v5, vcc_lo, v5, v3, vcc_lo
	v_mov_b32_e32 v3, v8
	global_store_b64 v[4:5], v[7:8], off
	s_waitcnt_vscnt null, 0x0
	global_atomic_cmpswap_b64 v[2:3], v6, v[0:3], s[2:3] offset:24 glc
	s_waitcnt vmcnt(0)
	v_cmp_ne_u64_e32 vcc_lo, v[2:3], v[7:8]
	s_and_b32 exec_lo, exec_lo, vcc_lo
	s_cbranch_execz .LBB0_113
; %bb.111:
	s_mov_b32 s0, 0
.LBB0_112:                              ; =>This Inner Loop Header: Depth=1
	s_sleep 1
	global_store_b64 v[4:5], v[2:3], off
	s_waitcnt_vscnt null, 0x0
	global_atomic_cmpswap_b64 v[7:8], v6, v[0:3], s[2:3] offset:24 glc
	s_waitcnt vmcnt(0)
	v_cmp_eq_u64_e32 vcc_lo, v[7:8], v[2:3]
	v_dual_mov_b32 v2, v7 :: v_dual_mov_b32 v3, v8
	s_or_b32 s0, vcc_lo, s0
	s_delay_alu instid0(SALU_CYCLE_1)
	s_and_not1_b32 exec_lo, exec_lo, s0
	s_cbranch_execnz .LBB0_112
.LBB0_113:
	s_or_b32 exec_lo, exec_lo, s6
	s_delay_alu instid0(SALU_CYCLE_1)
	s_or_b32 exec_lo, exec_lo, s1
	s_waitcnt lgkmcnt(0)
	s_setpc_b64 s[30:31]
.Lfunc_end0:
	.size	__ockl_fprintf_append_string_n, .Lfunc_end0-__ockl_fprintf_append_string_n
                                        ; -- End function
	.section	.AMDGPU.csdata,"",@progbits
; Function info:
; codeLenInByte = 4740
; NumSgprs: 34
; NumVgprs: 36
; ScratchSize: 0
; MemoryBound: 0
	.text
	.p2align	2                               ; -- Begin function __assert_fail
	.type	__assert_fail,@function
__assert_fail:                          ; @__assert_fail
; %bb.0:
	s_waitcnt vmcnt(0) expcnt(0) lgkmcnt(0)
	s_mov_b32 s20, s33
	s_mov_b32 s33, s32
	s_or_saveexec_b32 s0, -1
	scratch_store_b32 off, v40, s33 offset:48 ; 4-byte Folded Spill
	s_mov_b32 exec_lo, s0
	v_writelane_b32 v40, s30, 0
	s_add_i32 s32, s32, 64
	v_writelane_b32 v40, s31, 1
	s_getpc_b64 s[0:1]
	s_add_u32 s0, s0, __const.__assert_fail.fmt@rel32@lo+4
	s_addc_u32 s1, s1, __const.__assert_fail.fmt@rel32@hi+12
	s_getpc_b64 s[2:3]
	s_add_u32 s2, s2, __const.__assert_fail.fmt@rel32@lo+20
	s_addc_u32 s3, s3, __const.__assert_fail.fmt@rel32@hi+28
	v_mbcnt_lo_u32_b32 v35, -1, 0
	s_clause 0x1
	s_load_b128 s[4:7], s[0:1], 0x0
	s_load_b128 s[12:15], s[2:3], 0x0
	s_load_b64 s[2:3], s[8:9], 0x50
	v_dual_mov_b32 v5, v1 :: v_dual_mov_b32 v4, v0
	v_mov_b32_e32 v14, 0x73256020
	v_readfirstlane_b32 s0, v35
	v_mov_b32_e32 v0, 0
	v_dual_mov_b32 v2, 0 :: v_dual_mov_b32 v3, 0xa2e
	v_mov_b32_e32 v15, 0x61662027
	v_dual_mov_b32 v16, 0x64656c69 :: v_dual_mov_b32 v1, 0
	v_cmp_eq_u32_e64 s0, s0, v35
	s_waitcnt lgkmcnt(0)
	v_dual_mov_b32 v9, s7 :: v_dual_mov_b32 v8, s6
	v_dual_mov_b32 v7, s5 :: v_dual_mov_b32 v6, s4
	;; [unrolled: 1-line block ×4, first 2 shown]
	s_clause 0x4
	scratch_store_b128 off, v[6:9], s33
	scratch_store_b128 off, v[10:13], s33 offset:16
	scratch_store_b8 off, v2, s33 offset:46
	scratch_store_b16 off, v3, s33 offset:44
	scratch_store_b96 off, v[14:16], s33 offset:32
	s_and_saveexec_b32 s1, s0
	s_cbranch_execz .LBB1_6
; %bb.1:
	global_load_b64 v[8:9], v2, s[2:3] offset:24 glc
	s_waitcnt vmcnt(0)
	buffer_gl1_inv
	buffer_gl0_inv
	s_clause 0x1
	global_load_b64 v[0:1], v2, s[2:3] offset:40
	global_load_b64 v[6:7], v2, s[2:3]
	s_mov_b32 s4, exec_lo
	s_waitcnt vmcnt(1)
	v_and_b32_e32 v1, v1, v9
	v_and_b32_e32 v0, v0, v8
	s_delay_alu instid0(VALU_DEP_2) | instskip(NEXT) | instid1(VALU_DEP_2)
	v_mul_lo_u32 v1, v1, 24
	v_mul_hi_u32 v3, v0, 24
	v_mul_lo_u32 v0, v0, 24
	s_delay_alu instid0(VALU_DEP_2) | instskip(SKIP_1) | instid1(VALU_DEP_2)
	v_add_nc_u32_e32 v1, v3, v1
	s_waitcnt vmcnt(0)
	v_add_co_u32 v0, vcc_lo, v6, v0
	s_delay_alu instid0(VALU_DEP_2)
	v_add_co_ci_u32_e32 v1, vcc_lo, v7, v1, vcc_lo
	global_load_b64 v[6:7], v[0:1], off glc
	s_waitcnt vmcnt(0)
	global_atomic_cmpswap_b64 v[0:1], v2, v[6:9], s[2:3] offset:24 glc
	s_waitcnt vmcnt(0)
	buffer_gl1_inv
	buffer_gl0_inv
	v_cmpx_ne_u64_e64 v[0:1], v[8:9]
	s_cbranch_execz .LBB1_5
; %bb.2:
	s_mov_b32 s5, 0
	.p2align	6
.LBB1_3:                                ; =>This Inner Loop Header: Depth=1
	s_sleep 1
	s_clause 0x1
	global_load_b64 v[6:7], v2, s[2:3] offset:40
	global_load_b64 v[10:11], v2, s[2:3]
	v_dual_mov_b32 v9, v1 :: v_dual_mov_b32 v8, v0
	s_waitcnt vmcnt(1)
	s_delay_alu instid0(VALU_DEP_1) | instskip(SKIP_1) | instid1(VALU_DEP_1)
	v_and_b32_e32 v3, v6, v8
	s_waitcnt vmcnt(0)
	v_mad_u64_u32 v[0:1], null, v3, 24, v[10:11]
	v_and_b32_e32 v3, v7, v9
	s_delay_alu instid0(VALU_DEP_1) | instskip(NEXT) | instid1(VALU_DEP_1)
	v_mad_u64_u32 v[6:7], null, v3, 24, v[1:2]
	v_mov_b32_e32 v1, v6
	global_load_b64 v[6:7], v[0:1], off glc
	s_waitcnt vmcnt(0)
	global_atomic_cmpswap_b64 v[0:1], v2, v[6:9], s[2:3] offset:24 glc
	s_waitcnt vmcnt(0)
	buffer_gl1_inv
	buffer_gl0_inv
	v_cmp_eq_u64_e32 vcc_lo, v[0:1], v[8:9]
	s_or_b32 s5, vcc_lo, s5
	s_delay_alu instid0(SALU_CYCLE_1)
	s_and_not1_b32 exec_lo, exec_lo, s5
	s_cbranch_execnz .LBB1_3
; %bb.4:
	s_or_b32 exec_lo, exec_lo, s5
.LBB1_5:
	s_delay_alu instid0(SALU_CYCLE_1)
	s_or_b32 exec_lo, exec_lo, s4
.LBB1_6:
	s_delay_alu instid0(SALU_CYCLE_1)
	s_or_b32 exec_lo, exec_lo, s1
	s_clause 0x1
	global_load_b64 v[10:11], v2, s[2:3] offset:40
	global_load_b128 v[6:9], v2, s[2:3]
	v_readfirstlane_b32 s4, v0
	v_readfirstlane_b32 s5, v1
	s_mov_b32 s1, exec_lo
	s_waitcnt vmcnt(1)
	v_readfirstlane_b32 s6, v10
	v_readfirstlane_b32 s7, v11
	s_delay_alu instid0(VALU_DEP_1) | instskip(NEXT) | instid1(SALU_CYCLE_1)
	s_and_b64 s[6:7], s[4:5], s[6:7]
	s_mul_i32 s10, s7, 24
	s_mul_hi_u32 s11, s6, 24
	s_mul_i32 s12, s6, 24
	s_add_i32 s11, s11, s10
	s_waitcnt vmcnt(0)
	v_add_co_u32 v10, vcc_lo, v6, s12
	v_add_co_ci_u32_e32 v11, vcc_lo, s11, v7, vcc_lo
	s_and_saveexec_b32 s10, s0
	s_cbranch_execz .LBB1_8
; %bb.7:
	v_dual_mov_b32 v0, s1 :: v_dual_mov_b32 v1, 0
	v_dual_mov_b32 v2, 2 :: v_dual_mov_b32 v3, 1
	global_store_b128 v[10:11], v[0:3], off offset:8
.LBB1_8:
	s_or_b32 exec_lo, exec_lo, s10
	s_lshl_b64 s[6:7], s[6:7], 12
	v_dual_mov_b32 v1, 0 :: v_dual_lshlrev_b32 v34, 6, v35
	v_add_co_u32 v8, vcc_lo, v8, s6
	v_add_co_ci_u32_e32 v9, vcc_lo, s7, v9, vcc_lo
	s_mov_b32 s12, 0
	s_delay_alu instid0(VALU_DEP_2)
	v_add_co_u32 v12, vcc_lo, v8, v34
	s_mov_b32 s15, s12
	s_mov_b32 s13, s12
	;; [unrolled: 1-line block ×3, first 2 shown]
	v_dual_mov_b32 v0, 33 :: v_dual_mov_b32 v3, v1
	v_dual_mov_b32 v2, 1 :: v_dual_mov_b32 v17, s15
	v_readfirstlane_b32 s6, v8
	v_readfirstlane_b32 s7, v9
	v_add_co_ci_u32_e32 v13, vcc_lo, 0, v9, vcc_lo
	v_dual_mov_b32 v16, s14 :: v_dual_mov_b32 v15, s13
	v_mov_b32_e32 v14, s12
	s_clause 0x3
	global_store_b128 v34, v[0:3], s[6:7]
	global_store_b128 v34, v[14:17], s[6:7] offset:16
	global_store_b128 v34, v[14:17], s[6:7] offset:32
	;; [unrolled: 1-line block ×3, first 2 shown]
	s_and_saveexec_b32 s1, s0
	s_cbranch_execz .LBB1_16
; %bb.9:
	s_clause 0x1
	global_load_b64 v[16:17], v1, s[2:3] offset:32 glc
	global_load_b64 v[2:3], v1, s[2:3] offset:40
	v_mov_b32_e32 v14, s4
	s_mov_b32 s6, exec_lo
	s_waitcnt vmcnt(0)
	v_dual_mov_b32 v15, s5 :: v_dual_and_b32 v0, s5, v3
	v_and_b32_e32 v2, s4, v2
	s_delay_alu instid0(VALU_DEP_2) | instskip(NEXT) | instid1(VALU_DEP_2)
	v_mul_lo_u32 v0, v0, 24
	v_mul_hi_u32 v3, v2, 24
	v_mul_lo_u32 v2, v2, 24
	s_delay_alu instid0(VALU_DEP_2) | instskip(NEXT) | instid1(VALU_DEP_2)
	v_add_nc_u32_e32 v0, v3, v0
	v_add_co_u32 v2, vcc_lo, v6, v2
	s_delay_alu instid0(VALU_DEP_2)
	v_add_co_ci_u32_e32 v3, vcc_lo, v7, v0, vcc_lo
	global_store_b64 v[2:3], v[16:17], off
	s_waitcnt_vscnt null, 0x0
	global_atomic_cmpswap_b64 v[8:9], v1, v[14:17], s[2:3] offset:32 glc
	s_waitcnt vmcnt(0)
	v_cmpx_ne_u64_e64 v[8:9], v[16:17]
	s_cbranch_execz .LBB1_12
; %bb.10:
	s_mov_b32 s7, 0
.LBB1_11:                               ; =>This Inner Loop Header: Depth=1
	v_dual_mov_b32 v6, s4 :: v_dual_mov_b32 v7, s5
	s_sleep 1
	global_store_b64 v[2:3], v[8:9], off
	s_waitcnt_vscnt null, 0x0
	global_atomic_cmpswap_b64 v[6:7], v1, v[6:9], s[2:3] offset:32 glc
	s_waitcnt vmcnt(0)
	v_cmp_eq_u64_e32 vcc_lo, v[6:7], v[8:9]
	v_dual_mov_b32 v9, v7 :: v_dual_mov_b32 v8, v6
	s_or_b32 s7, vcc_lo, s7
	s_delay_alu instid0(SALU_CYCLE_1)
	s_and_not1_b32 exec_lo, exec_lo, s7
	s_cbranch_execnz .LBB1_11
.LBB1_12:
	s_or_b32 exec_lo, exec_lo, s6
	v_mov_b32_e32 v3, 0
	s_mov_b32 s7, exec_lo
	s_mov_b32 s6, exec_lo
	v_mbcnt_lo_u32_b32 v2, s7, 0
	global_load_b64 v[0:1], v3, s[2:3] offset:16
	v_cmpx_eq_u32_e32 0, v2
	s_cbranch_execz .LBB1_14
; %bb.13:
	s_bcnt1_i32_b32 s7, s7
	s_delay_alu instid0(SALU_CYCLE_1)
	v_mov_b32_e32 v2, s7
	s_waitcnt vmcnt(0)
	global_atomic_add_u64 v[0:1], v[2:3], off offset:8
.LBB1_14:
	s_or_b32 exec_lo, exec_lo, s6
	s_waitcnt vmcnt(0)
	global_load_b64 v[2:3], v[0:1], off offset:16
	s_waitcnt vmcnt(0)
	v_cmp_eq_u64_e32 vcc_lo, 0, v[2:3]
	s_cbranch_vccnz .LBB1_16
; %bb.15:
	global_load_b32 v0, v[0:1], off offset:24
	s_waitcnt vmcnt(0)
	v_dual_mov_b32 v1, 0 :: v_dual_and_b32 v6, 0xffffff, v0
	s_waitcnt_vscnt null, 0x0
	global_store_b64 v[2:3], v[0:1], off
	v_readfirstlane_b32 m0, v6
	s_sendmsg sendmsg(MSG_INTERRUPT)
.LBB1_16:
	s_or_b32 exec_lo, exec_lo, s1
	s_branch .LBB1_20
	.p2align	6
.LBB1_17:                               ;   in Loop: Header=BB1_20 Depth=1
	s_or_b32 exec_lo, exec_lo, s1
	s_delay_alu instid0(VALU_DEP_1) | instskip(NEXT) | instid1(VALU_DEP_1)
	v_readfirstlane_b32 s1, v0
	s_cmp_eq_u32 s1, 0
	s_cbranch_scc1 .LBB1_19
; %bb.18:                               ;   in Loop: Header=BB1_20 Depth=1
	s_sleep 1
	s_cbranch_execnz .LBB1_20
	s_branch .LBB1_22
	.p2align	6
.LBB1_19:
	s_branch .LBB1_22
.LBB1_20:                               ; =>This Inner Loop Header: Depth=1
	v_mov_b32_e32 v0, 1
	s_and_saveexec_b32 s1, s0
	s_cbranch_execz .LBB1_17
; %bb.21:                               ;   in Loop: Header=BB1_20 Depth=1
	global_load_b32 v0, v[10:11], off offset:20 glc
	s_waitcnt vmcnt(0)
	buffer_gl1_inv
	buffer_gl0_inv
	v_and_b32_e32 v0, 1, v0
	s_branch .LBB1_17
.LBB1_22:
	global_load_b64 v[6:7], v[12:13], off
	s_and_saveexec_b32 s1, s0
	s_cbranch_execz .LBB1_26
; %bb.23:
	v_mov_b32_e32 v10, 0
	s_clause 0x2
	global_load_b64 v[2:3], v10, s[2:3] offset:40
	global_load_b64 v[11:12], v10, s[2:3] offset:24 glc
	global_load_b64 v[8:9], v10, s[2:3]
	s_waitcnt vmcnt(2)
	v_add_co_u32 v13, vcc_lo, v2, 1
	v_add_co_ci_u32_e32 v14, vcc_lo, 0, v3, vcc_lo
	s_delay_alu instid0(VALU_DEP_2) | instskip(NEXT) | instid1(VALU_DEP_2)
	v_add_co_u32 v0, vcc_lo, v13, s4
	v_add_co_ci_u32_e32 v1, vcc_lo, s5, v14, vcc_lo
	s_delay_alu instid0(VALU_DEP_1) | instskip(SKIP_1) | instid1(VALU_DEP_1)
	v_cmp_eq_u64_e32 vcc_lo, 0, v[0:1]
	v_dual_cndmask_b32 v1, v1, v14 :: v_dual_cndmask_b32 v0, v0, v13
	v_and_b32_e32 v3, v1, v3
	s_delay_alu instid0(VALU_DEP_2) | instskip(NEXT) | instid1(VALU_DEP_2)
	v_and_b32_e32 v2, v0, v2
	v_mul_lo_u32 v3, v3, 24
	s_delay_alu instid0(VALU_DEP_2) | instskip(SKIP_1) | instid1(VALU_DEP_2)
	v_mul_hi_u32 v13, v2, 24
	v_mul_lo_u32 v2, v2, 24
	v_add_nc_u32_e32 v3, v13, v3
	s_waitcnt vmcnt(0)
	s_delay_alu instid0(VALU_DEP_2) | instskip(SKIP_1) | instid1(VALU_DEP_3)
	v_add_co_u32 v8, vcc_lo, v8, v2
	v_mov_b32_e32 v2, v11
	v_add_co_ci_u32_e32 v9, vcc_lo, v9, v3, vcc_lo
	v_mov_b32_e32 v3, v12
	global_store_b64 v[8:9], v[11:12], off
	s_waitcnt_vscnt null, 0x0
	global_atomic_cmpswap_b64 v[2:3], v10, v[0:3], s[2:3] offset:24 glc
	s_waitcnt vmcnt(0)
	v_cmp_ne_u64_e32 vcc_lo, v[2:3], v[11:12]
	s_and_b32 exec_lo, exec_lo, vcc_lo
	s_cbranch_execz .LBB1_26
; %bb.24:
	s_mov_b32 s0, 0
.LBB1_25:                               ; =>This Inner Loop Header: Depth=1
	s_sleep 1
	global_store_b64 v[8:9], v[2:3], off
	s_waitcnt_vscnt null, 0x0
	global_atomic_cmpswap_b64 v[11:12], v10, v[0:3], s[2:3] offset:24 glc
	s_waitcnt vmcnt(0)
	v_cmp_eq_u64_e32 vcc_lo, v[11:12], v[2:3]
	v_dual_mov_b32 v2, v11 :: v_dual_mov_b32 v3, v12
	s_or_b32 s0, vcc_lo, s0
	s_delay_alu instid0(SALU_CYCLE_1)
	s_and_not1_b32 exec_lo, exec_lo, s0
	s_cbranch_execnz .LBB1_25
.LBB1_26:
	s_or_b32 exec_lo, exec_lo, s1
	v_mov_b32_e32 v1, s33
	s_mov_b32 s0, 0
.LBB1_27:                               ; =>This Inner Loop Header: Depth=1
	scratch_load_u8 v2, v1, off
	v_add_nc_u32_e32 v0, 1, v1
	s_delay_alu instid0(VALU_DEP_1) | instskip(SKIP_3) | instid1(SALU_CYCLE_1)
	v_mov_b32_e32 v1, v0
	s_waitcnt vmcnt(0)
	v_cmp_eq_u16_e32 vcc_lo, 0, v2
	s_or_b32 s0, vcc_lo, s0
	s_and_not1_b32 exec_lo, exec_lo, s0
	s_cbranch_execnz .LBB1_27
; %bb.28:
	s_or_b32 exec_lo, exec_lo, s0
	v_cmp_ne_u32_e64 s0, -1, s33
	s_delay_alu instid0(VALU_DEP_1)
	s_and_b32 vcc_lo, exec_lo, s0
	s_cbranch_vccz .LBB1_113
; %bb.29:
	v_subrev_nc_u32_e32 v28, s33, v0
	v_dual_mov_b32 v9, 0 :: v_dual_and_b32 v36, 2, v6
	v_dual_mov_b32 v1, v7 :: v_dual_and_b32 v0, -3, v6
	s_delay_alu instid0(VALU_DEP_3)
	v_ashrrev_i32_e32 v29, 31, v28
	v_dual_mov_b32 v37, s33 :: v_dual_mov_b32 v10, 2
	v_mov_b32_e32 v11, 1
	s_mov_b32 s11, 0
	s_mov_b32 s10, 0
	s_branch .LBB1_31
.LBB1_30:                               ;   in Loop: Header=BB1_31 Depth=1
	s_or_b32 exec_lo, exec_lo, s1
	v_sub_co_u32 v28, vcc_lo, v28, v30
	v_sub_co_ci_u32_e32 v29, vcc_lo, v29, v31, vcc_lo
	v_add_nc_u32_e32 v37, v37, v30
	s_delay_alu instid0(VALU_DEP_2) | instskip(SKIP_1) | instid1(SALU_CYCLE_1)
	v_cmp_eq_u64_e32 vcc_lo, 0, v[28:29]
	s_or_b32 s10, vcc_lo, s10
	s_and_not1_b32 exec_lo, exec_lo, s10
	s_cbranch_execz .LBB1_114
.LBB1_31:                               ; =>This Loop Header: Depth=1
                                        ;     Child Loop BB1_34 Depth 2
                                        ;     Child Loop BB1_42 Depth 2
	;; [unrolled: 1-line block ×11, first 2 shown]
	v_cmp_gt_u64_e32 vcc_lo, 56, v[28:29]
	s_mov_b32 s4, exec_lo
                                        ; implicit-def: $vgpr2_vgpr3
                                        ; implicit-def: $sgpr1
	v_dual_cndmask_b32 v31, 0, v29 :: v_dual_cndmask_b32 v30, 56, v28
	v_cmpx_gt_u64_e32 8, v[28:29]
	s_xor_b32 s4, exec_lo, s4
	s_cbranch_execz .LBB1_37
; %bb.32:                               ;   in Loop: Header=BB1_31 Depth=1
	s_waitcnt vmcnt(0)
	v_mov_b32_e32 v2, 0
	v_mov_b32_e32 v3, 0
	s_mov_b64 s[0:1], 0
	s_mov_b32 s5, exec_lo
	v_cmpx_ne_u64_e32 0, v[28:29]
	s_cbranch_execz .LBB1_36
; %bb.33:                               ;   in Loop: Header=BB1_31 Depth=1
	v_lshlrev_b64 v[12:13], 3, v[30:31]
	v_mov_b32_e32 v2, 0
	v_dual_mov_b32 v3, 0 :: v_dual_mov_b32 v8, v37
	s_mov_b32 s6, 0
.LBB1_34:                               ;   Parent Loop BB1_31 Depth=1
                                        ; =>  This Inner Loop Header: Depth=2
	scratch_load_u8 v13, v8, off
	v_mov_b32_e32 v14, s11
	v_add_nc_u32_e32 v8, 1, v8
	s_waitcnt vmcnt(0)
	v_and_b32_e32 v13, 0xffff, v13
	s_delay_alu instid0(VALU_DEP_1) | instskip(SKIP_3) | instid1(VALU_DEP_2)
	v_lshlrev_b64 v[13:14], s0, v[13:14]
	s_add_u32 s0, s0, 8
	s_addc_u32 s1, s1, 0
	v_cmp_eq_u32_e32 vcc_lo, s0, v12
	v_or_b32_e32 v3, v14, v3
	s_delay_alu instid0(VALU_DEP_3) | instskip(SKIP_1) | instid1(SALU_CYCLE_1)
	v_or_b32_e32 v2, v13, v2
	s_or_b32 s6, vcc_lo, s6
	s_and_not1_b32 exec_lo, exec_lo, s6
	s_cbranch_execnz .LBB1_34
; %bb.35:                               ;   in Loop: Header=BB1_31 Depth=1
	s_or_b32 exec_lo, exec_lo, s6
.LBB1_36:                               ;   in Loop: Header=BB1_31 Depth=1
	s_delay_alu instid0(SALU_CYCLE_1)
	s_or_b32 exec_lo, exec_lo, s5
	s_mov_b32 s1, 0
.LBB1_37:                               ;   in Loop: Header=BB1_31 Depth=1
	s_or_saveexec_b32 s0, s4
	v_mov_b32_e32 v14, s1
	v_mov_b32_e32 v8, v37
	s_xor_b32 exec_lo, exec_lo, s0
	s_cbranch_execz .LBB1_39
; %bb.38:                               ;   in Loop: Header=BB1_31 Depth=1
	scratch_load_b64 v[2:3], v37, off
	v_add_nc_u32_e32 v14, -8, v30
	s_waitcnt vmcnt(0)
	v_and_b32_e32 v8, 0xff, v3
	v_and_b32_e32 v12, 0xff00, v3
	;; [unrolled: 1-line block ×4, first 2 shown]
	v_or3_b32 v2, v2, 0, 0
	s_delay_alu instid0(VALU_DEP_4) | instskip(NEXT) | instid1(VALU_DEP_1)
	v_or_b32_e32 v8, v8, v12
	v_or3_b32 v3, v8, v13, v3
	v_add_nc_u32_e32 v8, 8, v37
.LBB1_39:                               ;   in Loop: Header=BB1_31 Depth=1
	s_or_b32 exec_lo, exec_lo, s0
                                        ; implicit-def: $vgpr12_vgpr13
                                        ; implicit-def: $sgpr1
	s_delay_alu instid0(SALU_CYCLE_1)
	s_mov_b32 s0, exec_lo
	v_cmpx_gt_u32_e32 8, v14
	s_xor_b32 s4, exec_lo, s0
	s_cbranch_execz .LBB1_45
; %bb.40:                               ;   in Loop: Header=BB1_31 Depth=1
	v_mov_b32_e32 v12, 0
	v_mov_b32_e32 v13, 0
	s_mov_b32 s5, exec_lo
	v_cmpx_ne_u32_e32 0, v14
	s_cbranch_execz .LBB1_44
; %bb.41:                               ;   in Loop: Header=BB1_31 Depth=1
	v_mov_b32_e32 v12, 0
	v_mov_b32_e32 v13, 0
	s_mov_b64 s[0:1], 0
	s_mov_b32 s6, 0
	s_mov_b32 s7, 0
	.p2align	6
.LBB1_42:                               ;   Parent Loop BB1_31 Depth=1
                                        ; =>  This Inner Loop Header: Depth=2
	s_delay_alu instid0(SALU_CYCLE_1) | instskip(SKIP_1) | instid1(SALU_CYCLE_1)
	v_dual_mov_b32 v16, s11 :: v_dual_add_nc_u32 v15, s7, v8
	s_add_i32 s7, s7, 1
	v_cmp_eq_u32_e32 vcc_lo, s7, v14
	scratch_load_u8 v15, v15, off
	s_waitcnt vmcnt(0)
	v_and_b32_e32 v15, 0xffff, v15
	s_delay_alu instid0(VALU_DEP_1) | instskip(SKIP_3) | instid1(VALU_DEP_1)
	v_lshlrev_b64 v[15:16], s0, v[15:16]
	s_add_u32 s0, s0, 8
	s_addc_u32 s1, s1, 0
	s_or_b32 s6, vcc_lo, s6
	v_or_b32_e32 v13, v16, v13
	s_delay_alu instid0(VALU_DEP_2)
	v_or_b32_e32 v12, v15, v12
	s_and_not1_b32 exec_lo, exec_lo, s6
	s_cbranch_execnz .LBB1_42
; %bb.43:                               ;   in Loop: Header=BB1_31 Depth=1
	s_or_b32 exec_lo, exec_lo, s6
.LBB1_44:                               ;   in Loop: Header=BB1_31 Depth=1
	s_delay_alu instid0(SALU_CYCLE_1)
	s_or_b32 exec_lo, exec_lo, s5
	s_mov_b32 s1, 0
                                        ; implicit-def: $vgpr14
.LBB1_45:                               ;   in Loop: Header=BB1_31 Depth=1
	s_or_saveexec_b32 s0, s4
	v_mov_b32_e32 v16, s1
	s_xor_b32 exec_lo, exec_lo, s0
	s_cbranch_execz .LBB1_47
; %bb.46:                               ;   in Loop: Header=BB1_31 Depth=1
	scratch_load_b64 v[12:13], v8, off
	v_add_nc_u32_e32 v8, 8, v8
	s_waitcnt vmcnt(0)
	v_and_b32_e32 v15, 0xff, v13
	v_and_b32_e32 v16, 0xff00, v13
	;; [unrolled: 1-line block ×4, first 2 shown]
	v_or3_b32 v12, v12, 0, 0
	s_delay_alu instid0(VALU_DEP_4) | instskip(SKIP_1) | instid1(VALU_DEP_2)
	v_or_b32_e32 v15, v15, v16
	v_add_nc_u32_e32 v16, -8, v14
	v_or3_b32 v13, v15, v17, v13
.LBB1_47:                               ;   in Loop: Header=BB1_31 Depth=1
	s_or_b32 exec_lo, exec_lo, s0
                                        ; implicit-def: $sgpr1
	s_delay_alu instid0(SALU_CYCLE_1) | instskip(NEXT) | instid1(VALU_DEP_1)
	s_mov_b32 s0, exec_lo
	v_cmpx_gt_u32_e32 8, v16
	s_xor_b32 s4, exec_lo, s0
	s_cbranch_execz .LBB1_53
; %bb.48:                               ;   in Loop: Header=BB1_31 Depth=1
	v_mov_b32_e32 v14, 0
	v_mov_b32_e32 v15, 0
	s_mov_b32 s5, exec_lo
	v_cmpx_ne_u32_e32 0, v16
	s_cbranch_execz .LBB1_52
; %bb.49:                               ;   in Loop: Header=BB1_31 Depth=1
	v_mov_b32_e32 v14, 0
	v_mov_b32_e32 v15, 0
	s_mov_b64 s[0:1], 0
	s_mov_b32 s6, 0
	s_mov_b32 s7, 0
	.p2align	6
.LBB1_50:                               ;   Parent Loop BB1_31 Depth=1
                                        ; =>  This Inner Loop Header: Depth=2
	s_delay_alu instid0(SALU_CYCLE_1) | instskip(SKIP_1) | instid1(SALU_CYCLE_1)
	v_dual_mov_b32 v18, s11 :: v_dual_add_nc_u32 v17, s7, v8
	s_add_i32 s7, s7, 1
	v_cmp_eq_u32_e32 vcc_lo, s7, v16
	scratch_load_u8 v17, v17, off
	s_waitcnt vmcnt(0)
	v_and_b32_e32 v17, 0xffff, v17
	s_delay_alu instid0(VALU_DEP_1) | instskip(SKIP_3) | instid1(VALU_DEP_1)
	v_lshlrev_b64 v[17:18], s0, v[17:18]
	s_add_u32 s0, s0, 8
	s_addc_u32 s1, s1, 0
	s_or_b32 s6, vcc_lo, s6
	v_or_b32_e32 v15, v18, v15
	s_delay_alu instid0(VALU_DEP_2)
	v_or_b32_e32 v14, v17, v14
	s_and_not1_b32 exec_lo, exec_lo, s6
	s_cbranch_execnz .LBB1_50
; %bb.51:                               ;   in Loop: Header=BB1_31 Depth=1
	s_or_b32 exec_lo, exec_lo, s6
.LBB1_52:                               ;   in Loop: Header=BB1_31 Depth=1
	s_delay_alu instid0(SALU_CYCLE_1)
	s_or_b32 exec_lo, exec_lo, s5
	s_mov_b32 s1, 0
                                        ; implicit-def: $vgpr16
.LBB1_53:                               ;   in Loop: Header=BB1_31 Depth=1
	s_or_saveexec_b32 s0, s4
	v_mov_b32_e32 v18, s1
	s_xor_b32 exec_lo, exec_lo, s0
	s_cbranch_execz .LBB1_55
; %bb.54:                               ;   in Loop: Header=BB1_31 Depth=1
	scratch_load_b64 v[14:15], v8, off
	v_add_nc_u32_e32 v8, 8, v8
	s_waitcnt vmcnt(0)
	v_and_b32_e32 v17, 0xff, v15
	v_and_b32_e32 v18, 0xff00, v15
	;; [unrolled: 1-line block ×4, first 2 shown]
	v_or3_b32 v14, v14, 0, 0
	s_delay_alu instid0(VALU_DEP_4) | instskip(SKIP_1) | instid1(VALU_DEP_2)
	v_or_b32_e32 v17, v17, v18
	v_add_nc_u32_e32 v18, -8, v16
	v_or3_b32 v15, v17, v19, v15
.LBB1_55:                               ;   in Loop: Header=BB1_31 Depth=1
	s_or_b32 exec_lo, exec_lo, s0
                                        ; implicit-def: $vgpr16_vgpr17
                                        ; implicit-def: $sgpr1
	s_delay_alu instid0(SALU_CYCLE_1) | instskip(NEXT) | instid1(VALU_DEP_1)
	s_mov_b32 s0, exec_lo
	v_cmpx_gt_u32_e32 8, v18
	s_xor_b32 s4, exec_lo, s0
	s_cbranch_execz .LBB1_61
; %bb.56:                               ;   in Loop: Header=BB1_31 Depth=1
	v_mov_b32_e32 v16, 0
	v_mov_b32_e32 v17, 0
	s_mov_b32 s5, exec_lo
	v_cmpx_ne_u32_e32 0, v18
	s_cbranch_execz .LBB1_60
; %bb.57:                               ;   in Loop: Header=BB1_31 Depth=1
	v_mov_b32_e32 v16, 0
	v_mov_b32_e32 v17, 0
	s_mov_b64 s[0:1], 0
	s_mov_b32 s6, 0
	s_mov_b32 s7, 0
	.p2align	6
.LBB1_58:                               ;   Parent Loop BB1_31 Depth=1
                                        ; =>  This Inner Loop Header: Depth=2
	s_delay_alu instid0(SALU_CYCLE_1) | instskip(SKIP_1) | instid1(SALU_CYCLE_1)
	v_dual_mov_b32 v20, s11 :: v_dual_add_nc_u32 v19, s7, v8
	s_add_i32 s7, s7, 1
	v_cmp_eq_u32_e32 vcc_lo, s7, v18
	scratch_load_u8 v19, v19, off
	s_waitcnt vmcnt(0)
	v_and_b32_e32 v19, 0xffff, v19
	s_delay_alu instid0(VALU_DEP_1) | instskip(SKIP_3) | instid1(VALU_DEP_1)
	v_lshlrev_b64 v[19:20], s0, v[19:20]
	s_add_u32 s0, s0, 8
	s_addc_u32 s1, s1, 0
	s_or_b32 s6, vcc_lo, s6
	v_or_b32_e32 v17, v20, v17
	s_delay_alu instid0(VALU_DEP_2)
	v_or_b32_e32 v16, v19, v16
	s_and_not1_b32 exec_lo, exec_lo, s6
	s_cbranch_execnz .LBB1_58
; %bb.59:                               ;   in Loop: Header=BB1_31 Depth=1
	s_or_b32 exec_lo, exec_lo, s6
.LBB1_60:                               ;   in Loop: Header=BB1_31 Depth=1
	s_delay_alu instid0(SALU_CYCLE_1)
	s_or_b32 exec_lo, exec_lo, s5
	s_mov_b32 s1, 0
                                        ; implicit-def: $vgpr18
.LBB1_61:                               ;   in Loop: Header=BB1_31 Depth=1
	s_or_saveexec_b32 s0, s4
	v_mov_b32_e32 v20, s1
	s_xor_b32 exec_lo, exec_lo, s0
	s_cbranch_execz .LBB1_63
; %bb.62:                               ;   in Loop: Header=BB1_31 Depth=1
	scratch_load_b64 v[16:17], v8, off
	v_add_nc_u32_e32 v8, 8, v8
	s_waitcnt vmcnt(0)
	v_and_b32_e32 v19, 0xff, v17
	v_and_b32_e32 v20, 0xff00, v17
	v_and_b32_e32 v21, 0xff0000, v17
	v_and_b32_e32 v17, 0xff000000, v17
	v_or3_b32 v16, v16, 0, 0
	s_delay_alu instid0(VALU_DEP_4) | instskip(SKIP_1) | instid1(VALU_DEP_2)
	v_or_b32_e32 v19, v19, v20
	v_add_nc_u32_e32 v20, -8, v18
	v_or3_b32 v17, v19, v21, v17
.LBB1_63:                               ;   in Loop: Header=BB1_31 Depth=1
	s_or_b32 exec_lo, exec_lo, s0
                                        ; implicit-def: $sgpr1
	s_delay_alu instid0(SALU_CYCLE_1) | instskip(NEXT) | instid1(VALU_DEP_1)
	s_mov_b32 s0, exec_lo
	v_cmpx_gt_u32_e32 8, v20
	s_xor_b32 s4, exec_lo, s0
	s_cbranch_execz .LBB1_69
; %bb.64:                               ;   in Loop: Header=BB1_31 Depth=1
	v_mov_b32_e32 v18, 0
	v_mov_b32_e32 v19, 0
	s_mov_b32 s5, exec_lo
	v_cmpx_ne_u32_e32 0, v20
	s_cbranch_execz .LBB1_68
; %bb.65:                               ;   in Loop: Header=BB1_31 Depth=1
	v_mov_b32_e32 v18, 0
	v_mov_b32_e32 v19, 0
	s_mov_b64 s[0:1], 0
	s_mov_b32 s6, 0
	s_mov_b32 s7, 0
	.p2align	6
.LBB1_66:                               ;   Parent Loop BB1_31 Depth=1
                                        ; =>  This Inner Loop Header: Depth=2
	s_delay_alu instid0(SALU_CYCLE_1) | instskip(SKIP_1) | instid1(SALU_CYCLE_1)
	v_dual_mov_b32 v22, s11 :: v_dual_add_nc_u32 v21, s7, v8
	s_add_i32 s7, s7, 1
	v_cmp_eq_u32_e32 vcc_lo, s7, v20
	scratch_load_u8 v21, v21, off
	s_waitcnt vmcnt(0)
	v_and_b32_e32 v21, 0xffff, v21
	s_delay_alu instid0(VALU_DEP_1) | instskip(SKIP_3) | instid1(VALU_DEP_1)
	v_lshlrev_b64 v[21:22], s0, v[21:22]
	s_add_u32 s0, s0, 8
	s_addc_u32 s1, s1, 0
	s_or_b32 s6, vcc_lo, s6
	v_or_b32_e32 v19, v22, v19
	s_delay_alu instid0(VALU_DEP_2)
	v_or_b32_e32 v18, v21, v18
	s_and_not1_b32 exec_lo, exec_lo, s6
	s_cbranch_execnz .LBB1_66
; %bb.67:                               ;   in Loop: Header=BB1_31 Depth=1
	s_or_b32 exec_lo, exec_lo, s6
.LBB1_68:                               ;   in Loop: Header=BB1_31 Depth=1
	s_delay_alu instid0(SALU_CYCLE_1)
	s_or_b32 exec_lo, exec_lo, s5
	s_mov_b32 s1, 0
                                        ; implicit-def: $vgpr20
.LBB1_69:                               ;   in Loop: Header=BB1_31 Depth=1
	s_or_saveexec_b32 s0, s4
	v_mov_b32_e32 v22, s1
	s_xor_b32 exec_lo, exec_lo, s0
	s_cbranch_execz .LBB1_71
; %bb.70:                               ;   in Loop: Header=BB1_31 Depth=1
	scratch_load_b64 v[18:19], v8, off
	v_add_nc_u32_e32 v8, 8, v8
	s_waitcnt vmcnt(0)
	v_and_b32_e32 v21, 0xff, v19
	v_and_b32_e32 v22, 0xff00, v19
	v_and_b32_e32 v23, 0xff0000, v19
	v_and_b32_e32 v19, 0xff000000, v19
	v_or3_b32 v18, v18, 0, 0
	s_delay_alu instid0(VALU_DEP_4) | instskip(SKIP_1) | instid1(VALU_DEP_2)
	v_or_b32_e32 v21, v21, v22
	v_add_nc_u32_e32 v22, -8, v20
	v_or3_b32 v19, v21, v23, v19
.LBB1_71:                               ;   in Loop: Header=BB1_31 Depth=1
	s_or_b32 exec_lo, exec_lo, s0
                                        ; implicit-def: $vgpr20_vgpr21
                                        ; implicit-def: $sgpr1
	s_delay_alu instid0(SALU_CYCLE_1) | instskip(NEXT) | instid1(VALU_DEP_1)
	s_mov_b32 s0, exec_lo
	v_cmpx_gt_u32_e32 8, v22
	s_xor_b32 s4, exec_lo, s0
	s_cbranch_execz .LBB1_77
; %bb.72:                               ;   in Loop: Header=BB1_31 Depth=1
	v_mov_b32_e32 v20, 0
	v_mov_b32_e32 v21, 0
	s_mov_b32 s5, exec_lo
	v_cmpx_ne_u32_e32 0, v22
	s_cbranch_execz .LBB1_76
; %bb.73:                               ;   in Loop: Header=BB1_31 Depth=1
	v_mov_b32_e32 v20, 0
	v_mov_b32_e32 v21, 0
	s_mov_b64 s[0:1], 0
	s_mov_b32 s6, 0
	s_mov_b32 s7, 0
	.p2align	6
.LBB1_74:                               ;   Parent Loop BB1_31 Depth=1
                                        ; =>  This Inner Loop Header: Depth=2
	s_delay_alu instid0(SALU_CYCLE_1) | instskip(SKIP_1) | instid1(SALU_CYCLE_1)
	v_dual_mov_b32 v24, s11 :: v_dual_add_nc_u32 v23, s7, v8
	s_add_i32 s7, s7, 1
	v_cmp_eq_u32_e32 vcc_lo, s7, v22
	scratch_load_u8 v23, v23, off
	s_waitcnt vmcnt(0)
	v_and_b32_e32 v23, 0xffff, v23
	s_delay_alu instid0(VALU_DEP_1) | instskip(SKIP_3) | instid1(VALU_DEP_1)
	v_lshlrev_b64 v[23:24], s0, v[23:24]
	s_add_u32 s0, s0, 8
	s_addc_u32 s1, s1, 0
	s_or_b32 s6, vcc_lo, s6
	v_or_b32_e32 v21, v24, v21
	s_delay_alu instid0(VALU_DEP_2)
	v_or_b32_e32 v20, v23, v20
	s_and_not1_b32 exec_lo, exec_lo, s6
	s_cbranch_execnz .LBB1_74
; %bb.75:                               ;   in Loop: Header=BB1_31 Depth=1
	s_or_b32 exec_lo, exec_lo, s6
.LBB1_76:                               ;   in Loop: Header=BB1_31 Depth=1
	s_delay_alu instid0(SALU_CYCLE_1)
	s_or_b32 exec_lo, exec_lo, s5
	s_mov_b32 s1, 0
                                        ; implicit-def: $vgpr22
.LBB1_77:                               ;   in Loop: Header=BB1_31 Depth=1
	s_or_saveexec_b32 s0, s4
	v_mov_b32_e32 v24, s1
	s_xor_b32 exec_lo, exec_lo, s0
	s_cbranch_execz .LBB1_79
; %bb.78:                               ;   in Loop: Header=BB1_31 Depth=1
	scratch_load_b64 v[20:21], v8, off
	v_add_nc_u32_e32 v8, 8, v8
	s_waitcnt vmcnt(0)
	v_and_b32_e32 v23, 0xff, v21
	v_and_b32_e32 v24, 0xff00, v21
	;; [unrolled: 1-line block ×4, first 2 shown]
	v_or3_b32 v20, v20, 0, 0
	s_delay_alu instid0(VALU_DEP_4) | instskip(SKIP_1) | instid1(VALU_DEP_2)
	v_or_b32_e32 v23, v23, v24
	v_add_nc_u32_e32 v24, -8, v22
	v_or3_b32 v21, v23, v25, v21
.LBB1_79:                               ;   in Loop: Header=BB1_31 Depth=1
	s_or_b32 exec_lo, exec_lo, s0
	s_delay_alu instid0(SALU_CYCLE_1) | instskip(NEXT) | instid1(VALU_DEP_1)
	s_mov_b32 s0, exec_lo
	v_cmpx_gt_u32_e32 8, v24
	s_xor_b32 s4, exec_lo, s0
	s_cbranch_execz .LBB1_85
; %bb.80:                               ;   in Loop: Header=BB1_31 Depth=1
	v_mov_b32_e32 v22, 0
	v_mov_b32_e32 v23, 0
	s_mov_b32 s5, exec_lo
	v_cmpx_ne_u32_e32 0, v24
	s_cbranch_execz .LBB1_84
; %bb.81:                               ;   in Loop: Header=BB1_31 Depth=1
	v_mov_b32_e32 v22, 0
	v_mov_b32_e32 v23, 0
	s_mov_b64 s[0:1], 0
	s_mov_b32 s6, 0
	.p2align	6
.LBB1_82:                               ;   Parent Loop BB1_31 Depth=1
                                        ; =>  This Inner Loop Header: Depth=2
	scratch_load_u8 v25, v8, off
	v_mov_b32_e32 v26, s11
	v_add_nc_u32_e32 v24, -1, v24
	v_add_nc_u32_e32 v8, 1, v8
	s_delay_alu instid0(VALU_DEP_2) | instskip(SKIP_2) | instid1(VALU_DEP_1)
	v_cmp_eq_u32_e32 vcc_lo, 0, v24
	s_waitcnt vmcnt(0)
	v_and_b32_e32 v25, 0xffff, v25
	v_lshlrev_b64 v[25:26], s0, v[25:26]
	s_add_u32 s0, s0, 8
	s_addc_u32 s1, s1, 0
	s_or_b32 s6, vcc_lo, s6
	s_delay_alu instid0(VALU_DEP_1) | instskip(NEXT) | instid1(VALU_DEP_2)
	v_or_b32_e32 v23, v26, v23
	v_or_b32_e32 v22, v25, v22
	s_and_not1_b32 exec_lo, exec_lo, s6
	s_cbranch_execnz .LBB1_82
; %bb.83:                               ;   in Loop: Header=BB1_31 Depth=1
	s_or_b32 exec_lo, exec_lo, s6
.LBB1_84:                               ;   in Loop: Header=BB1_31 Depth=1
	s_delay_alu instid0(SALU_CYCLE_1)
	s_or_b32 exec_lo, exec_lo, s5
                                        ; implicit-def: $vgpr8
.LBB1_85:                               ;   in Loop: Header=BB1_31 Depth=1
	s_and_not1_saveexec_b32 s0, s4
	s_cbranch_execz .LBB1_87
; %bb.86:                               ;   in Loop: Header=BB1_31 Depth=1
	scratch_load_b64 v[22:23], v8, off
	s_waitcnt vmcnt(0)
	v_and_b32_e32 v8, 0xff, v23
	v_and_b32_e32 v24, 0xff00, v23
	v_and_b32_e32 v25, 0xff0000, v23
	v_and_b32_e32 v23, 0xff000000, v23
	v_or3_b32 v22, v22, 0, 0
	s_delay_alu instid0(VALU_DEP_4) | instskip(NEXT) | instid1(VALU_DEP_1)
	v_or_b32_e32 v8, v8, v24
	v_or3_b32 v23, v8, v25, v23
.LBB1_87:                               ;   in Loop: Header=BB1_31 Depth=1
	s_or_b32 exec_lo, exec_lo, s0
	v_readfirstlane_b32 s0, v35
	v_mov_b32_e32 v32, 0
	v_mov_b32_e32 v33, 0
	s_delay_alu instid0(VALU_DEP_3) | instskip(NEXT) | instid1(VALU_DEP_1)
	v_cmp_eq_u32_e64 s0, s0, v35
	s_and_saveexec_b32 s1, s0
	s_cbranch_execz .LBB1_93
; %bb.88:                               ;   in Loop: Header=BB1_31 Depth=1
	global_load_b64 v[26:27], v9, s[2:3] offset:24 glc
	s_waitcnt vmcnt(0)
	buffer_gl1_inv
	buffer_gl0_inv
	s_clause 0x1
	global_load_b64 v[24:25], v9, s[2:3] offset:40
	global_load_b64 v[32:33], v9, s[2:3]
	s_mov_b32 s4, exec_lo
	s_waitcnt vmcnt(1)
	v_and_b32_e32 v8, v25, v27
	v_and_b32_e32 v24, v24, v26
	s_delay_alu instid0(VALU_DEP_2) | instskip(NEXT) | instid1(VALU_DEP_2)
	v_mul_lo_u32 v8, v8, 24
	v_mul_hi_u32 v25, v24, 24
	v_mul_lo_u32 v24, v24, 24
	s_delay_alu instid0(VALU_DEP_2) | instskip(SKIP_1) | instid1(VALU_DEP_2)
	v_add_nc_u32_e32 v8, v25, v8
	s_waitcnt vmcnt(0)
	v_add_co_u32 v24, vcc_lo, v32, v24
	s_delay_alu instid0(VALU_DEP_2)
	v_add_co_ci_u32_e32 v25, vcc_lo, v33, v8, vcc_lo
	global_load_b64 v[24:25], v[24:25], off glc
	s_waitcnt vmcnt(0)
	global_atomic_cmpswap_b64 v[32:33], v9, v[24:27], s[2:3] offset:24 glc
	s_waitcnt vmcnt(0)
	buffer_gl1_inv
	buffer_gl0_inv
	v_cmpx_ne_u64_e64 v[32:33], v[26:27]
	s_cbranch_execz .LBB1_92
; %bb.89:                               ;   in Loop: Header=BB1_31 Depth=1
	s_mov_b32 s5, 0
	.p2align	6
.LBB1_90:                               ;   Parent Loop BB1_31 Depth=1
                                        ; =>  This Inner Loop Header: Depth=2
	s_sleep 1
	s_clause 0x1
	global_load_b64 v[24:25], v9, s[2:3] offset:40
	global_load_b64 v[38:39], v9, s[2:3]
	v_dual_mov_b32 v26, v32 :: v_dual_mov_b32 v27, v33
	s_waitcnt vmcnt(1)
	s_delay_alu instid0(VALU_DEP_1) | instskip(SKIP_1) | instid1(VALU_DEP_1)
	v_and_b32_e32 v8, v24, v26
	s_waitcnt vmcnt(0)
	v_mad_u64_u32 v[32:33], null, v8, 24, v[38:39]
	v_and_b32_e32 v38, v25, v27
	s_delay_alu instid0(VALU_DEP_2) | instskip(NEXT) | instid1(VALU_DEP_1)
	v_mov_b32_e32 v8, v33
	v_mad_u64_u32 v[24:25], null, v38, 24, v[8:9]
	s_delay_alu instid0(VALU_DEP_1)
	v_mov_b32_e32 v33, v24
	global_load_b64 v[24:25], v[32:33], off glc
	s_waitcnt vmcnt(0)
	global_atomic_cmpswap_b64 v[32:33], v9, v[24:27], s[2:3] offset:24 glc
	s_waitcnt vmcnt(0)
	buffer_gl1_inv
	buffer_gl0_inv
	v_cmp_eq_u64_e32 vcc_lo, v[32:33], v[26:27]
	s_or_b32 s5, vcc_lo, s5
	s_delay_alu instid0(SALU_CYCLE_1)
	s_and_not1_b32 exec_lo, exec_lo, s5
	s_cbranch_execnz .LBB1_90
; %bb.91:                               ;   in Loop: Header=BB1_31 Depth=1
	s_or_b32 exec_lo, exec_lo, s5
.LBB1_92:                               ;   in Loop: Header=BB1_31 Depth=1
	s_delay_alu instid0(SALU_CYCLE_1)
	s_or_b32 exec_lo, exec_lo, s4
.LBB1_93:                               ;   in Loop: Header=BB1_31 Depth=1
	s_delay_alu instid0(SALU_CYCLE_1)
	s_or_b32 exec_lo, exec_lo, s1
	s_clause 0x1
	global_load_b64 v[38:39], v9, s[2:3] offset:40
	global_load_b128 v[24:27], v9, s[2:3]
	v_readfirstlane_b32 s4, v32
	v_readfirstlane_b32 s5, v33
	s_mov_b32 s1, exec_lo
	s_waitcnt vmcnt(1)
	v_readfirstlane_b32 s6, v38
	v_readfirstlane_b32 s7, v39
	s_delay_alu instid0(VALU_DEP_1) | instskip(NEXT) | instid1(SALU_CYCLE_1)
	s_and_b64 s[6:7], s[4:5], s[6:7]
	s_mul_i32 s12, s7, 24
	s_mul_hi_u32 s13, s6, 24
	s_mul_i32 s14, s6, 24
	s_add_i32 s13, s13, s12
	s_waitcnt vmcnt(0)
	v_add_co_u32 v32, vcc_lo, v24, s14
	v_add_co_ci_u32_e32 v33, vcc_lo, s13, v25, vcc_lo
	s_and_saveexec_b32 s12, s0
	s_cbranch_execz .LBB1_95
; %bb.94:                               ;   in Loop: Header=BB1_31 Depth=1
	v_mov_b32_e32 v8, s1
	global_store_b128 v[32:33], v[8:11], off offset:8
.LBB1_95:                               ;   in Loop: Header=BB1_31 Depth=1
	s_or_b32 exec_lo, exec_lo, s12
	v_cmp_lt_u64_e32 vcc_lo, 56, v[28:29]
	v_or_b32_e32 v8, 0, v1
	v_or_b32_e32 v38, v0, v36
	v_lshl_add_u32 v39, v30, 2, 28
	s_lshl_b64 s[6:7], s[6:7], 12
	s_delay_alu instid0(SALU_CYCLE_1) | instskip(NEXT) | instid1(VALU_DEP_1)
	v_add_co_u32 v26, s1, v26, s6
	v_add_co_ci_u32_e64 v27, s1, s7, v27, s1
	v_dual_cndmask_b32 v1, v8, v1 :: v_dual_cndmask_b32 v0, v38, v0
	v_and_b32_e32 v8, 0x1e0, v39
	s_delay_alu instid0(VALU_DEP_4) | instskip(NEXT) | instid1(VALU_DEP_4)
	v_readfirstlane_b32 s6, v26
	v_readfirstlane_b32 s7, v27
	s_delay_alu instid0(VALU_DEP_3)
	v_and_or_b32 v0, 0xffffff1f, v0, v8
	s_clause 0x3
	global_store_b128 v34, v[0:3], s[6:7]
	global_store_b128 v34, v[12:15], s[6:7] offset:16
	global_store_b128 v34, v[16:19], s[6:7] offset:32
	;; [unrolled: 1-line block ×3, first 2 shown]
	s_and_saveexec_b32 s1, s0
	s_cbranch_execz .LBB1_103
; %bb.96:                               ;   in Loop: Header=BB1_31 Depth=1
	s_clause 0x1
	global_load_b64 v[16:17], v9, s[2:3] offset:32 glc
	global_load_b64 v[0:1], v9, s[2:3] offset:40
	v_dual_mov_b32 v14, s4 :: v_dual_mov_b32 v15, s5
	s_waitcnt vmcnt(0)
	v_readfirstlane_b32 s6, v0
	v_readfirstlane_b32 s7, v1
	s_delay_alu instid0(VALU_DEP_1) | instskip(NEXT) | instid1(SALU_CYCLE_1)
	s_and_b64 s[6:7], s[6:7], s[4:5]
	s_mul_i32 s7, s7, 24
	s_mul_hi_u32 s12, s6, 24
	s_mul_i32 s6, s6, 24
	s_add_i32 s12, s12, s7
	v_add_co_u32 v12, vcc_lo, v24, s6
	v_add_co_ci_u32_e32 v13, vcc_lo, s12, v25, vcc_lo
	s_mov_b32 s6, exec_lo
	global_store_b64 v[12:13], v[16:17], off
	s_waitcnt_vscnt null, 0x0
	global_atomic_cmpswap_b64 v[2:3], v9, v[14:17], s[2:3] offset:32 glc
	s_waitcnt vmcnt(0)
	v_cmpx_ne_u64_e64 v[2:3], v[16:17]
	s_cbranch_execz .LBB1_99
; %bb.97:                               ;   in Loop: Header=BB1_31 Depth=1
	s_mov_b32 s7, 0
.LBB1_98:                               ;   Parent Loop BB1_31 Depth=1
                                        ; =>  This Inner Loop Header: Depth=2
	v_dual_mov_b32 v0, s4 :: v_dual_mov_b32 v1, s5
	s_sleep 1
	global_store_b64 v[12:13], v[2:3], off
	s_waitcnt_vscnt null, 0x0
	global_atomic_cmpswap_b64 v[0:1], v9, v[0:3], s[2:3] offset:32 glc
	s_waitcnt vmcnt(0)
	v_cmp_eq_u64_e32 vcc_lo, v[0:1], v[2:3]
	v_dual_mov_b32 v3, v1 :: v_dual_mov_b32 v2, v0
	s_or_b32 s7, vcc_lo, s7
	s_delay_alu instid0(SALU_CYCLE_1)
	s_and_not1_b32 exec_lo, exec_lo, s7
	s_cbranch_execnz .LBB1_98
.LBB1_99:                               ;   in Loop: Header=BB1_31 Depth=1
	s_or_b32 exec_lo, exec_lo, s6
	global_load_b64 v[0:1], v9, s[2:3] offset:16
	s_mov_b32 s7, exec_lo
	s_mov_b32 s6, exec_lo
	v_mbcnt_lo_u32_b32 v2, s7, 0
	s_delay_alu instid0(VALU_DEP_1)
	v_cmpx_eq_u32_e32 0, v2
	s_cbranch_execz .LBB1_101
; %bb.100:                              ;   in Loop: Header=BB1_31 Depth=1
	s_bcnt1_i32_b32 s7, s7
	s_delay_alu instid0(SALU_CYCLE_1)
	v_mov_b32_e32 v8, s7
	s_waitcnt vmcnt(0)
	global_atomic_add_u64 v[0:1], v[8:9], off offset:8
.LBB1_101:                              ;   in Loop: Header=BB1_31 Depth=1
	s_or_b32 exec_lo, exec_lo, s6
	s_waitcnt vmcnt(0)
	global_load_b64 v[2:3], v[0:1], off offset:16
	s_waitcnt vmcnt(0)
	v_cmp_eq_u64_e32 vcc_lo, 0, v[2:3]
	s_cbranch_vccnz .LBB1_103
; %bb.102:                              ;   in Loop: Header=BB1_31 Depth=1
	global_load_b32 v8, v[0:1], off offset:24
	s_waitcnt vmcnt(0)
	v_and_b32_e32 v0, 0xffffff, v8
	s_waitcnt_vscnt null, 0x0
	global_store_b64 v[2:3], v[8:9], off
	v_readfirstlane_b32 m0, v0
	s_sendmsg sendmsg(MSG_INTERRUPT)
.LBB1_103:                              ;   in Loop: Header=BB1_31 Depth=1
	s_or_b32 exec_lo, exec_lo, s1
	v_add_co_u32 v0, vcc_lo, v26, v34
	v_add_co_ci_u32_e32 v1, vcc_lo, 0, v27, vcc_lo
	s_branch .LBB1_107
	.p2align	6
.LBB1_104:                              ;   in Loop: Header=BB1_107 Depth=2
	s_or_b32 exec_lo, exec_lo, s1
	s_delay_alu instid0(VALU_DEP_1) | instskip(NEXT) | instid1(VALU_DEP_1)
	v_readfirstlane_b32 s1, v2
	s_cmp_eq_u32 s1, 0
	s_cbranch_scc1 .LBB1_106
; %bb.105:                              ;   in Loop: Header=BB1_107 Depth=2
	s_sleep 1
	s_cbranch_execnz .LBB1_107
	s_branch .LBB1_109
	.p2align	6
.LBB1_106:                              ;   in Loop: Header=BB1_31 Depth=1
	s_branch .LBB1_109
.LBB1_107:                              ;   Parent Loop BB1_31 Depth=1
                                        ; =>  This Inner Loop Header: Depth=2
	v_mov_b32_e32 v2, 1
	s_and_saveexec_b32 s1, s0
	s_cbranch_execz .LBB1_104
; %bb.108:                              ;   in Loop: Header=BB1_107 Depth=2
	global_load_b32 v2, v[32:33], off offset:20 glc
	s_waitcnt vmcnt(0)
	buffer_gl1_inv
	buffer_gl0_inv
	v_and_b32_e32 v2, 1, v2
	s_branch .LBB1_104
.LBB1_109:                              ;   in Loop: Header=BB1_31 Depth=1
	global_load_b128 v[0:3], v[0:1], off
	s_and_saveexec_b32 s1, s0
	s_cbranch_execz .LBB1_30
; %bb.110:                              ;   in Loop: Header=BB1_31 Depth=1
	s_clause 0x2
	global_load_b64 v[2:3], v9, s[2:3] offset:40
	global_load_b64 v[16:17], v9, s[2:3] offset:24 glc
	global_load_b64 v[14:15], v9, s[2:3]
	s_waitcnt vmcnt(2)
	v_add_co_u32 v8, vcc_lo, v2, 1
	v_add_co_ci_u32_e32 v18, vcc_lo, 0, v3, vcc_lo
	s_delay_alu instid0(VALU_DEP_2) | instskip(NEXT) | instid1(VALU_DEP_2)
	v_add_co_u32 v12, vcc_lo, v8, s4
	v_add_co_ci_u32_e32 v13, vcc_lo, s5, v18, vcc_lo
	s_delay_alu instid0(VALU_DEP_1) | instskip(SKIP_1) | instid1(VALU_DEP_1)
	v_cmp_eq_u64_e32 vcc_lo, 0, v[12:13]
	v_dual_cndmask_b32 v13, v13, v18 :: v_dual_cndmask_b32 v12, v12, v8
	v_and_b32_e32 v3, v13, v3
	s_delay_alu instid0(VALU_DEP_2) | instskip(NEXT) | instid1(VALU_DEP_1)
	v_and_b32_e32 v2, v12, v2
	v_mul_hi_u32 v8, v2, 24
	v_mul_lo_u32 v2, v2, 24
	s_waitcnt vmcnt(0)
	s_delay_alu instid0(VALU_DEP_1) | instskip(SKIP_2) | instid1(VALU_DEP_1)
	v_add_co_u32 v2, vcc_lo, v14, v2
	v_mov_b32_e32 v14, v16
	v_mul_lo_u32 v3, v3, 24
	v_add_nc_u32_e32 v3, v8, v3
	s_delay_alu instid0(VALU_DEP_1)
	v_add_co_ci_u32_e32 v3, vcc_lo, v15, v3, vcc_lo
	v_mov_b32_e32 v15, v17
	global_store_b64 v[2:3], v[16:17], off
	s_waitcnt_vscnt null, 0x0
	global_atomic_cmpswap_b64 v[14:15], v9, v[12:15], s[2:3] offset:24 glc
	s_waitcnt vmcnt(0)
	v_cmp_ne_u64_e32 vcc_lo, v[14:15], v[16:17]
	s_and_b32 exec_lo, exec_lo, vcc_lo
	s_cbranch_execz .LBB1_30
; %bb.111:                              ;   in Loop: Header=BB1_31 Depth=1
	s_mov_b32 s0, 0
.LBB1_112:                              ;   Parent Loop BB1_31 Depth=1
                                        ; =>  This Inner Loop Header: Depth=2
	s_sleep 1
	global_store_b64 v[2:3], v[14:15], off
	s_waitcnt_vscnt null, 0x0
	global_atomic_cmpswap_b64 v[16:17], v9, v[12:15], s[2:3] offset:24 glc
	s_waitcnt vmcnt(0)
	v_cmp_eq_u64_e32 vcc_lo, v[16:17], v[14:15]
	v_dual_mov_b32 v14, v16 :: v_dual_mov_b32 v15, v17
	s_or_b32 s0, vcc_lo, s0
	s_delay_alu instid0(SALU_CYCLE_1)
	s_and_not1_b32 exec_lo, exec_lo, s0
	s_cbranch_execnz .LBB1_112
	s_branch .LBB1_30
.LBB1_113:
                                        ; implicit-def: $vgpr0_vgpr1
	s_cbranch_execnz .LBB1_115
	s_branch .LBB1_142
.LBB1_114:
	s_or_b32 exec_lo, exec_lo, s10
	s_branch .LBB1_142
.LBB1_115:
	v_readfirstlane_b32 s0, v35
	v_mov_b32_e32 v9, 0
	v_mov_b32_e32 v10, 0
	s_delay_alu instid0(VALU_DEP_3) | instskip(NEXT) | instid1(VALU_DEP_1)
	v_cmp_eq_u32_e64 s0, s0, v35
	s_and_saveexec_b32 s1, s0
	s_cbranch_execz .LBB1_121
; %bb.116:
	s_waitcnt vmcnt(0)
	v_mov_b32_e32 v0, 0
	s_mov_b32 s4, exec_lo
	global_load_b64 v[11:12], v0, s[2:3] offset:24 glc
	s_waitcnt vmcnt(0)
	buffer_gl1_inv
	buffer_gl0_inv
	s_clause 0x1
	global_load_b64 v[1:2], v0, s[2:3] offset:40
	global_load_b64 v[8:9], v0, s[2:3]
	s_waitcnt vmcnt(1)
	v_and_b32_e32 v1, v1, v11
	v_and_b32_e32 v2, v2, v12
	s_delay_alu instid0(VALU_DEP_2) | instskip(NEXT) | instid1(VALU_DEP_2)
	v_mul_hi_u32 v3, v1, 24
	v_mul_lo_u32 v2, v2, 24
	v_mul_lo_u32 v1, v1, 24
	s_delay_alu instid0(VALU_DEP_2) | instskip(SKIP_1) | instid1(VALU_DEP_2)
	v_add_nc_u32_e32 v2, v3, v2
	s_waitcnt vmcnt(0)
	v_add_co_u32 v1, vcc_lo, v8, v1
	s_delay_alu instid0(VALU_DEP_2)
	v_add_co_ci_u32_e32 v2, vcc_lo, v9, v2, vcc_lo
	global_load_b64 v[9:10], v[1:2], off glc
	s_waitcnt vmcnt(0)
	global_atomic_cmpswap_b64 v[9:10], v0, v[9:12], s[2:3] offset:24 glc
	s_waitcnt vmcnt(0)
	buffer_gl1_inv
	buffer_gl0_inv
	v_cmpx_ne_u64_e64 v[9:10], v[11:12]
	s_cbranch_execz .LBB1_120
; %bb.117:
	s_mov_b32 s5, 0
	.p2align	6
.LBB1_118:                              ; =>This Inner Loop Header: Depth=1
	s_sleep 1
	s_clause 0x1
	global_load_b64 v[1:2], v0, s[2:3] offset:40
	global_load_b64 v[13:14], v0, s[2:3]
	v_dual_mov_b32 v12, v10 :: v_dual_mov_b32 v11, v9
	s_waitcnt vmcnt(1)
	s_delay_alu instid0(VALU_DEP_1) | instskip(SKIP_1) | instid1(VALU_DEP_1)
	v_and_b32_e32 v1, v1, v11
	s_waitcnt vmcnt(0)
	v_mad_u64_u32 v[8:9], null, v1, 24, v[13:14]
	s_delay_alu instid0(VALU_DEP_1) | instskip(NEXT) | instid1(VALU_DEP_1)
	v_dual_mov_b32 v1, v9 :: v_dual_and_b32 v10, v2, v12
	v_mad_u64_u32 v[2:3], null, v10, 24, v[1:2]
	s_delay_alu instid0(VALU_DEP_1)
	v_mov_b32_e32 v9, v2
	global_load_b64 v[9:10], v[8:9], off glc
	s_waitcnt vmcnt(0)
	global_atomic_cmpswap_b64 v[9:10], v0, v[9:12], s[2:3] offset:24 glc
	s_waitcnt vmcnt(0)
	buffer_gl1_inv
	buffer_gl0_inv
	v_cmp_eq_u64_e32 vcc_lo, v[9:10], v[11:12]
	s_or_b32 s5, vcc_lo, s5
	s_delay_alu instid0(SALU_CYCLE_1)
	s_and_not1_b32 exec_lo, exec_lo, s5
	s_cbranch_execnz .LBB1_118
; %bb.119:
	s_or_b32 exec_lo, exec_lo, s5
.LBB1_120:
	s_delay_alu instid0(SALU_CYCLE_1)
	s_or_b32 exec_lo, exec_lo, s4
.LBB1_121:
	s_delay_alu instid0(SALU_CYCLE_1)
	s_or_b32 exec_lo, exec_lo, s1
	v_mov_b32_e32 v8, 0
	v_readfirstlane_b32 s4, v9
	v_readfirstlane_b32 s5, v10
	s_mov_b32 s1, exec_lo
	s_clause 0x1
	global_load_b64 v[11:12], v8, s[2:3] offset:40
	global_load_b128 v[0:3], v8, s[2:3]
	s_waitcnt vmcnt(1)
	v_readfirstlane_b32 s6, v11
	v_readfirstlane_b32 s7, v12
	s_delay_alu instid0(VALU_DEP_1) | instskip(NEXT) | instid1(SALU_CYCLE_1)
	s_and_b64 s[6:7], s[4:5], s[6:7]
	s_mul_i32 s10, s7, 24
	s_mul_hi_u32 s11, s6, 24
	s_mul_i32 s12, s6, 24
	s_add_i32 s11, s11, s10
	s_waitcnt vmcnt(0)
	v_add_co_u32 v10, vcc_lo, v0, s12
	v_add_co_ci_u32_e32 v11, vcc_lo, s11, v1, vcc_lo
	s_and_saveexec_b32 s10, s0
	s_cbranch_execz .LBB1_123
; %bb.122:
	v_dual_mov_b32 v12, s1 :: v_dual_mov_b32 v13, v8
	v_dual_mov_b32 v14, 2 :: v_dual_mov_b32 v15, 1
	global_store_b128 v[10:11], v[12:15], off offset:8
.LBB1_123:
	s_or_b32 exec_lo, exec_lo, s10
	s_lshl_b64 s[6:7], s[6:7], 12
	s_mov_b32 s12, 0
	v_add_co_u32 v2, vcc_lo, v2, s6
	v_add_co_ci_u32_e32 v3, vcc_lo, s7, v3, vcc_lo
	s_mov_b32 s15, s12
	s_delay_alu instid0(VALU_DEP_2)
	v_add_co_u32 v12, vcc_lo, v2, v34
	s_mov_b32 s13, s12
	s_mov_b32 s14, s12
	v_and_or_b32 v6, 0xffffff1f, v6, 32
	v_mov_b32_e32 v9, v8
	v_readfirstlane_b32 s6, v2
	v_readfirstlane_b32 s7, v3
	v_dual_mov_b32 v17, s15 :: v_dual_mov_b32 v14, s12
	v_add_co_ci_u32_e32 v13, vcc_lo, 0, v3, vcc_lo
	v_dual_mov_b32 v16, s14 :: v_dual_mov_b32 v15, s13
	s_clause 0x3
	global_store_b128 v34, v[6:9], s[6:7]
	global_store_b128 v34, v[14:17], s[6:7] offset:16
	global_store_b128 v34, v[14:17], s[6:7] offset:32
	;; [unrolled: 1-line block ×3, first 2 shown]
	s_and_saveexec_b32 s1, s0
	s_cbranch_execz .LBB1_131
; %bb.124:
	v_dual_mov_b32 v8, 0 :: v_dual_mov_b32 v15, s5
	v_mov_b32_e32 v14, s4
	s_clause 0x1
	global_load_b64 v[16:17], v8, s[2:3] offset:32 glc
	global_load_b64 v[2:3], v8, s[2:3] offset:40
	s_waitcnt vmcnt(0)
	v_readfirstlane_b32 s6, v2
	v_readfirstlane_b32 s7, v3
	s_delay_alu instid0(VALU_DEP_1) | instskip(NEXT) | instid1(SALU_CYCLE_1)
	s_and_b64 s[6:7], s[6:7], s[4:5]
	s_mul_i32 s7, s7, 24
	s_mul_hi_u32 s10, s6, 24
	s_mul_i32 s6, s6, 24
	s_add_i32 s10, s10, s7
	v_add_co_u32 v6, vcc_lo, v0, s6
	v_add_co_ci_u32_e32 v7, vcc_lo, s10, v1, vcc_lo
	s_mov_b32 s6, exec_lo
	global_store_b64 v[6:7], v[16:17], off
	s_waitcnt_vscnt null, 0x0
	global_atomic_cmpswap_b64 v[2:3], v8, v[14:17], s[2:3] offset:32 glc
	s_waitcnt vmcnt(0)
	v_cmpx_ne_u64_e64 v[2:3], v[16:17]
	s_cbranch_execz .LBB1_127
; %bb.125:
	s_mov_b32 s7, 0
.LBB1_126:                              ; =>This Inner Loop Header: Depth=1
	v_dual_mov_b32 v0, s4 :: v_dual_mov_b32 v1, s5
	s_sleep 1
	global_store_b64 v[6:7], v[2:3], off
	s_waitcnt_vscnt null, 0x0
	global_atomic_cmpswap_b64 v[0:1], v8, v[0:3], s[2:3] offset:32 glc
	s_waitcnt vmcnt(0)
	v_cmp_eq_u64_e32 vcc_lo, v[0:1], v[2:3]
	v_dual_mov_b32 v3, v1 :: v_dual_mov_b32 v2, v0
	s_or_b32 s7, vcc_lo, s7
	s_delay_alu instid0(SALU_CYCLE_1)
	s_and_not1_b32 exec_lo, exec_lo, s7
	s_cbranch_execnz .LBB1_126
.LBB1_127:
	s_or_b32 exec_lo, exec_lo, s6
	v_mov_b32_e32 v3, 0
	s_mov_b32 s7, exec_lo
	s_mov_b32 s6, exec_lo
	v_mbcnt_lo_u32_b32 v2, s7, 0
	global_load_b64 v[0:1], v3, s[2:3] offset:16
	v_cmpx_eq_u32_e32 0, v2
	s_cbranch_execz .LBB1_129
; %bb.128:
	s_bcnt1_i32_b32 s7, s7
	s_delay_alu instid0(SALU_CYCLE_1)
	v_mov_b32_e32 v2, s7
	s_waitcnt vmcnt(0)
	global_atomic_add_u64 v[0:1], v[2:3], off offset:8
.LBB1_129:
	s_or_b32 exec_lo, exec_lo, s6
	s_waitcnt vmcnt(0)
	global_load_b64 v[2:3], v[0:1], off offset:16
	s_waitcnt vmcnt(0)
	v_cmp_eq_u64_e32 vcc_lo, 0, v[2:3]
	s_cbranch_vccnz .LBB1_131
; %bb.130:
	global_load_b32 v0, v[0:1], off offset:24
	s_waitcnt vmcnt(0)
	v_dual_mov_b32 v1, 0 :: v_dual_and_b32 v6, 0xffffff, v0
	s_waitcnt_vscnt null, 0x0
	global_store_b64 v[2:3], v[0:1], off
	v_readfirstlane_b32 m0, v6
	s_sendmsg sendmsg(MSG_INTERRUPT)
.LBB1_131:
	s_or_b32 exec_lo, exec_lo, s1
	s_branch .LBB1_135
	.p2align	6
.LBB1_132:                              ;   in Loop: Header=BB1_135 Depth=1
	s_or_b32 exec_lo, exec_lo, s1
	s_delay_alu instid0(VALU_DEP_1) | instskip(NEXT) | instid1(VALU_DEP_1)
	v_readfirstlane_b32 s1, v0
	s_cmp_eq_u32 s1, 0
	s_cbranch_scc1 .LBB1_134
; %bb.133:                              ;   in Loop: Header=BB1_135 Depth=1
	s_sleep 1
	s_cbranch_execnz .LBB1_135
	s_branch .LBB1_137
	.p2align	6
.LBB1_134:
	s_branch .LBB1_137
.LBB1_135:                              ; =>This Inner Loop Header: Depth=1
	v_mov_b32_e32 v0, 1
	s_and_saveexec_b32 s1, s0
	s_cbranch_execz .LBB1_132
; %bb.136:                              ;   in Loop: Header=BB1_135 Depth=1
	global_load_b32 v0, v[10:11], off offset:20 glc
	s_waitcnt vmcnt(0)
	buffer_gl1_inv
	buffer_gl0_inv
	v_and_b32_e32 v0, 1, v0
	s_branch .LBB1_132
.LBB1_137:
	global_load_b64 v[0:1], v[12:13], off
	s_and_saveexec_b32 s1, s0
	s_cbranch_execz .LBB1_141
; %bb.138:
	v_mov_b32_e32 v10, 0
	s_clause 0x2
	global_load_b64 v[2:3], v10, s[2:3] offset:40
	global_load_b64 v[11:12], v10, s[2:3] offset:24 glc
	global_load_b64 v[8:9], v10, s[2:3]
	s_waitcnt vmcnt(2)
	v_add_co_u32 v13, vcc_lo, v2, 1
	v_add_co_ci_u32_e32 v14, vcc_lo, 0, v3, vcc_lo
	s_delay_alu instid0(VALU_DEP_2) | instskip(NEXT) | instid1(VALU_DEP_2)
	v_add_co_u32 v6, vcc_lo, v13, s4
	v_add_co_ci_u32_e32 v7, vcc_lo, s5, v14, vcc_lo
	s_delay_alu instid0(VALU_DEP_1) | instskip(SKIP_1) | instid1(VALU_DEP_1)
	v_cmp_eq_u64_e32 vcc_lo, 0, v[6:7]
	v_dual_cndmask_b32 v7, v7, v14 :: v_dual_cndmask_b32 v6, v6, v13
	v_and_b32_e32 v3, v7, v3
	s_delay_alu instid0(VALU_DEP_2) | instskip(NEXT) | instid1(VALU_DEP_2)
	v_and_b32_e32 v2, v6, v2
	v_mul_lo_u32 v3, v3, 24
	s_delay_alu instid0(VALU_DEP_2) | instskip(SKIP_1) | instid1(VALU_DEP_2)
	v_mul_hi_u32 v13, v2, 24
	v_mul_lo_u32 v2, v2, 24
	v_add_nc_u32_e32 v3, v13, v3
	s_waitcnt vmcnt(0)
	s_delay_alu instid0(VALU_DEP_2) | instskip(SKIP_1) | instid1(VALU_DEP_3)
	v_add_co_u32 v2, vcc_lo, v8, v2
	v_mov_b32_e32 v8, v11
	v_add_co_ci_u32_e32 v3, vcc_lo, v9, v3, vcc_lo
	v_mov_b32_e32 v9, v12
	global_store_b64 v[2:3], v[11:12], off
	s_waitcnt_vscnt null, 0x0
	global_atomic_cmpswap_b64 v[8:9], v10, v[6:9], s[2:3] offset:24 glc
	s_waitcnt vmcnt(0)
	v_cmp_ne_u64_e32 vcc_lo, v[8:9], v[11:12]
	s_and_b32 exec_lo, exec_lo, vcc_lo
	s_cbranch_execz .LBB1_141
; %bb.139:
	s_mov_b32 s0, 0
.LBB1_140:                              ; =>This Inner Loop Header: Depth=1
	s_sleep 1
	global_store_b64 v[2:3], v[8:9], off
	s_waitcnt_vscnt null, 0x0
	global_atomic_cmpswap_b64 v[11:12], v10, v[6:9], s[2:3] offset:24 glc
	s_waitcnt vmcnt(0)
	v_cmp_eq_u64_e32 vcc_lo, v[11:12], v[8:9]
	v_dual_mov_b32 v8, v11 :: v_dual_mov_b32 v9, v12
	s_or_b32 s0, vcc_lo, s0
	s_delay_alu instid0(SALU_CYCLE_1)
	s_and_not1_b32 exec_lo, exec_lo, s0
	s_cbranch_execnz .LBB1_140
.LBB1_141:
	s_or_b32 exec_lo, exec_lo, s1
.LBB1_142:
	s_getpc_b64 s[4:5]
	s_add_u32 s4, s4, .str.1@rel32@lo+4
	s_addc_u32 s5, s5, .str.1@rel32@hi+12
	s_delay_alu instid0(SALU_CYCLE_1)
	s_cmp_lg_u64 s[4:5], 0
	s_cbranch_scc0 .LBB1_220
; %bb.143:
	s_getpc_b64 s[0:1]
	s_add_u32 s0, s0, .str.1@rel32@lo+79
	s_addc_u32 s1, s1, .str.1@rel32@hi+87
	s_waitcnt vmcnt(0)
	v_dual_mov_b32 v10, 0 :: v_dual_and_b32 v33, 2, v0
	v_dual_mov_b32 v7, v1 :: v_dual_and_b32 v6, -3, v0
	v_dual_mov_b32 v11, 2 :: v_dual_mov_b32 v12, 1
	s_sub_i32 s6, s0, s4
	s_delay_alu instid0(SALU_CYCLE_1)
	s_ashr_i32 s7, s6, 31
	s_branch .LBB1_145
.LBB1_144:                              ;   in Loop: Header=BB1_145 Depth=1
	s_or_b32 exec_lo, exec_lo, s1
	s_sub_u32 s6, s6, s10
	s_subb_u32 s7, s7, s11
	s_add_u32 s4, s4, s10
	s_addc_u32 s5, s5, s11
	s_cmp_lg_u64 s[6:7], 0
	s_cbranch_scc0 .LBB1_221
.LBB1_145:                              ; =>This Loop Header: Depth=1
                                        ;     Child Loop BB1_154 Depth 2
                                        ;     Child Loop BB1_150 Depth 2
                                        ;     Child Loop BB1_162 Depth 2
                                        ;     Child Loop BB1_169 Depth 2
                                        ;     Child Loop BB1_176 Depth 2
                                        ;     Child Loop BB1_183 Depth 2
                                        ;     Child Loop BB1_190 Depth 2
                                        ;     Child Loop BB1_197 Depth 2
                                        ;     Child Loop BB1_205 Depth 2
                                        ;     Child Loop BB1_214 Depth 2
                                        ;     Child Loop BB1_219 Depth 2
	v_cmp_lt_u64_e64 s0, s[6:7], 56
	v_cmp_gt_u64_e64 s1, s[6:7], 7
                                        ; implicit-def: $vgpr15_vgpr16
                                        ; implicit-def: $sgpr16
	s_delay_alu instid0(VALU_DEP_2) | instskip(SKIP_2) | instid1(VALU_DEP_1)
	s_and_b32 s0, s0, exec_lo
	s_cselect_b32 s11, s7, 0
	s_cselect_b32 s10, s6, 56
	s_and_b32 vcc_lo, exec_lo, s1
	s_mov_b32 s0, -1
	s_cbranch_vccz .LBB1_152
; %bb.146:                              ;   in Loop: Header=BB1_145 Depth=1
	s_and_not1_b32 vcc_lo, exec_lo, s0
	s_mov_b64 s[0:1], s[4:5]
	s_cbranch_vccz .LBB1_156
.LBB1_147:                              ;   in Loop: Header=BB1_145 Depth=1
	s_cmp_gt_u32 s16, 7
	s_cbranch_scc1 .LBB1_157
.LBB1_148:                              ;   in Loop: Header=BB1_145 Depth=1
	v_mov_b32_e32 v17, 0
	v_mov_b32_e32 v18, 0
	s_cmp_eq_u32 s16, 0
	s_cbranch_scc1 .LBB1_151
; %bb.149:                              ;   in Loop: Header=BB1_145 Depth=1
	s_mov_b64 s[12:13], 0
	s_mov_b64 s[14:15], 0
.LBB1_150:                              ;   Parent Loop BB1_145 Depth=1
                                        ; =>  This Inner Loop Header: Depth=2
	s_delay_alu instid0(SALU_CYCLE_1)
	s_add_u32 s18, s0, s14
	s_addc_u32 s19, s1, s15
	s_add_u32 s14, s14, 1
	global_load_u8 v2, v10, s[18:19]
	s_addc_u32 s15, s15, 0
	s_waitcnt vmcnt(0)
	v_and_b32_e32 v9, 0xffff, v2
	s_delay_alu instid0(VALU_DEP_1) | instskip(SKIP_3) | instid1(VALU_DEP_1)
	v_lshlrev_b64 v[2:3], s12, v[9:10]
	s_add_u32 s12, s12, 8
	s_addc_u32 s13, s13, 0
	s_cmp_lg_u32 s16, s14
	v_or_b32_e32 v17, v2, v17
	s_delay_alu instid0(VALU_DEP_2)
	v_or_b32_e32 v18, v3, v18
	s_cbranch_scc1 .LBB1_150
.LBB1_151:                              ;   in Loop: Header=BB1_145 Depth=1
	s_mov_b32 s17, 0
	s_cbranch_execz .LBB1_158
	s_branch .LBB1_159
.LBB1_152:                              ;   in Loop: Header=BB1_145 Depth=1
	v_mov_b32_e32 v15, 0
	v_mov_b32_e32 v16, 0
	s_cmp_eq_u64 s[6:7], 0
	s_mov_b64 s[0:1], 0
	s_cbranch_scc1 .LBB1_155
; %bb.153:                              ;   in Loop: Header=BB1_145 Depth=1
	v_mov_b32_e32 v15, 0
	v_mov_b32_e32 v16, 0
	s_lshl_b64 s[12:13], s[10:11], 3
	s_mov_b64 s[14:15], s[4:5]
.LBB1_154:                              ;   Parent Loop BB1_145 Depth=1
                                        ; =>  This Inner Loop Header: Depth=2
	global_load_u8 v2, v10, s[14:15]
	s_waitcnt vmcnt(0)
	v_and_b32_e32 v9, 0xffff, v2
	s_delay_alu instid0(VALU_DEP_1)
	v_lshlrev_b64 v[2:3], s0, v[9:10]
	s_add_u32 s0, s0, 8
	s_addc_u32 s1, s1, 0
	s_add_u32 s14, s14, 1
	s_addc_u32 s15, s15, 0
	s_cmp_lg_u32 s12, s0
	v_or_b32_e32 v15, v2, v15
	v_or_b32_e32 v16, v3, v16
	s_cbranch_scc1 .LBB1_154
.LBB1_155:                              ;   in Loop: Header=BB1_145 Depth=1
	s_mov_b32 s16, 0
	s_mov_b64 s[0:1], s[4:5]
	s_cbranch_execnz .LBB1_147
.LBB1_156:                              ;   in Loop: Header=BB1_145 Depth=1
	global_load_b64 v[15:16], v10, s[4:5]
	s_add_i32 s16, s10, -8
	s_add_u32 s0, s4, 8
	s_addc_u32 s1, s5, 0
	s_cmp_gt_u32 s16, 7
	s_cbranch_scc0 .LBB1_148
.LBB1_157:                              ;   in Loop: Header=BB1_145 Depth=1
                                        ; implicit-def: $vgpr17_vgpr18
                                        ; implicit-def: $sgpr17
.LBB1_158:                              ;   in Loop: Header=BB1_145 Depth=1
	global_load_b64 v[17:18], v10, s[0:1]
	s_add_i32 s17, s16, -8
	s_add_u32 s0, s0, 8
	s_addc_u32 s1, s1, 0
.LBB1_159:                              ;   in Loop: Header=BB1_145 Depth=1
	s_cmp_gt_u32 s17, 7
	s_cbranch_scc1 .LBB1_164
; %bb.160:                              ;   in Loop: Header=BB1_145 Depth=1
	v_mov_b32_e32 v19, 0
	v_mov_b32_e32 v20, 0
	s_cmp_eq_u32 s17, 0
	s_cbranch_scc1 .LBB1_163
; %bb.161:                              ;   in Loop: Header=BB1_145 Depth=1
	s_mov_b64 s[12:13], 0
	s_mov_b64 s[14:15], 0
.LBB1_162:                              ;   Parent Loop BB1_145 Depth=1
                                        ; =>  This Inner Loop Header: Depth=2
	s_delay_alu instid0(SALU_CYCLE_1)
	s_add_u32 s18, s0, s14
	s_addc_u32 s19, s1, s15
	s_add_u32 s14, s14, 1
	global_load_u8 v2, v10, s[18:19]
	s_addc_u32 s15, s15, 0
	s_waitcnt vmcnt(0)
	v_and_b32_e32 v9, 0xffff, v2
	s_delay_alu instid0(VALU_DEP_1) | instskip(SKIP_3) | instid1(VALU_DEP_1)
	v_lshlrev_b64 v[2:3], s12, v[9:10]
	s_add_u32 s12, s12, 8
	s_addc_u32 s13, s13, 0
	s_cmp_lg_u32 s17, s14
	v_or_b32_e32 v19, v2, v19
	s_delay_alu instid0(VALU_DEP_2)
	v_or_b32_e32 v20, v3, v20
	s_cbranch_scc1 .LBB1_162
.LBB1_163:                              ;   in Loop: Header=BB1_145 Depth=1
	s_mov_b32 s16, 0
	s_cbranch_execz .LBB1_165
	s_branch .LBB1_166
.LBB1_164:                              ;   in Loop: Header=BB1_145 Depth=1
                                        ; implicit-def: $sgpr16
.LBB1_165:                              ;   in Loop: Header=BB1_145 Depth=1
	global_load_b64 v[19:20], v10, s[0:1]
	s_add_i32 s16, s17, -8
	s_add_u32 s0, s0, 8
	s_addc_u32 s1, s1, 0
.LBB1_166:                              ;   in Loop: Header=BB1_145 Depth=1
	s_cmp_gt_u32 s16, 7
	s_cbranch_scc1 .LBB1_171
; %bb.167:                              ;   in Loop: Header=BB1_145 Depth=1
	v_mov_b32_e32 v21, 0
	v_mov_b32_e32 v22, 0
	s_cmp_eq_u32 s16, 0
	s_cbranch_scc1 .LBB1_170
; %bb.168:                              ;   in Loop: Header=BB1_145 Depth=1
	s_mov_b64 s[12:13], 0
	s_mov_b64 s[14:15], 0
.LBB1_169:                              ;   Parent Loop BB1_145 Depth=1
                                        ; =>  This Inner Loop Header: Depth=2
	s_delay_alu instid0(SALU_CYCLE_1)
	s_add_u32 s18, s0, s14
	s_addc_u32 s19, s1, s15
	s_add_u32 s14, s14, 1
	global_load_u8 v2, v10, s[18:19]
	s_addc_u32 s15, s15, 0
	s_waitcnt vmcnt(0)
	v_and_b32_e32 v9, 0xffff, v2
	s_delay_alu instid0(VALU_DEP_1) | instskip(SKIP_3) | instid1(VALU_DEP_1)
	v_lshlrev_b64 v[2:3], s12, v[9:10]
	s_add_u32 s12, s12, 8
	s_addc_u32 s13, s13, 0
	s_cmp_lg_u32 s16, s14
	v_or_b32_e32 v21, v2, v21
	s_delay_alu instid0(VALU_DEP_2)
	v_or_b32_e32 v22, v3, v22
	s_cbranch_scc1 .LBB1_169
.LBB1_170:                              ;   in Loop: Header=BB1_145 Depth=1
	s_mov_b32 s17, 0
	s_cbranch_execz .LBB1_172
	s_branch .LBB1_173
.LBB1_171:                              ;   in Loop: Header=BB1_145 Depth=1
                                        ; implicit-def: $vgpr21_vgpr22
                                        ; implicit-def: $sgpr17
.LBB1_172:                              ;   in Loop: Header=BB1_145 Depth=1
	global_load_b64 v[21:22], v10, s[0:1]
	s_add_i32 s17, s16, -8
	s_add_u32 s0, s0, 8
	s_addc_u32 s1, s1, 0
.LBB1_173:                              ;   in Loop: Header=BB1_145 Depth=1
	s_cmp_gt_u32 s17, 7
	s_cbranch_scc1 .LBB1_178
; %bb.174:                              ;   in Loop: Header=BB1_145 Depth=1
	v_mov_b32_e32 v23, 0
	v_mov_b32_e32 v24, 0
	s_cmp_eq_u32 s17, 0
	s_cbranch_scc1 .LBB1_177
; %bb.175:                              ;   in Loop: Header=BB1_145 Depth=1
	s_mov_b64 s[12:13], 0
	s_mov_b64 s[14:15], 0
.LBB1_176:                              ;   Parent Loop BB1_145 Depth=1
                                        ; =>  This Inner Loop Header: Depth=2
	s_delay_alu instid0(SALU_CYCLE_1)
	s_add_u32 s18, s0, s14
	s_addc_u32 s19, s1, s15
	s_add_u32 s14, s14, 1
	global_load_u8 v2, v10, s[18:19]
	s_addc_u32 s15, s15, 0
	s_waitcnt vmcnt(0)
	v_and_b32_e32 v9, 0xffff, v2
	s_delay_alu instid0(VALU_DEP_1) | instskip(SKIP_3) | instid1(VALU_DEP_1)
	v_lshlrev_b64 v[2:3], s12, v[9:10]
	s_add_u32 s12, s12, 8
	s_addc_u32 s13, s13, 0
	s_cmp_lg_u32 s17, s14
	v_or_b32_e32 v23, v2, v23
	s_delay_alu instid0(VALU_DEP_2)
	v_or_b32_e32 v24, v3, v24
	s_cbranch_scc1 .LBB1_176
.LBB1_177:                              ;   in Loop: Header=BB1_145 Depth=1
	s_mov_b32 s16, 0
	s_cbranch_execz .LBB1_179
	s_branch .LBB1_180
.LBB1_178:                              ;   in Loop: Header=BB1_145 Depth=1
                                        ; implicit-def: $sgpr16
.LBB1_179:                              ;   in Loop: Header=BB1_145 Depth=1
	global_load_b64 v[23:24], v10, s[0:1]
	s_add_i32 s16, s17, -8
	s_add_u32 s0, s0, 8
	s_addc_u32 s1, s1, 0
.LBB1_180:                              ;   in Loop: Header=BB1_145 Depth=1
	s_cmp_gt_u32 s16, 7
	s_cbranch_scc1 .LBB1_185
; %bb.181:                              ;   in Loop: Header=BB1_145 Depth=1
	v_mov_b32_e32 v25, 0
	v_mov_b32_e32 v26, 0
	s_cmp_eq_u32 s16, 0
	s_cbranch_scc1 .LBB1_184
; %bb.182:                              ;   in Loop: Header=BB1_145 Depth=1
	s_mov_b64 s[12:13], 0
	s_mov_b64 s[14:15], 0
.LBB1_183:                              ;   Parent Loop BB1_145 Depth=1
                                        ; =>  This Inner Loop Header: Depth=2
	s_delay_alu instid0(SALU_CYCLE_1)
	s_add_u32 s18, s0, s14
	s_addc_u32 s19, s1, s15
	s_add_u32 s14, s14, 1
	global_load_u8 v2, v10, s[18:19]
	s_addc_u32 s15, s15, 0
	s_waitcnt vmcnt(0)
	v_and_b32_e32 v9, 0xffff, v2
	s_delay_alu instid0(VALU_DEP_1) | instskip(SKIP_3) | instid1(VALU_DEP_1)
	v_lshlrev_b64 v[2:3], s12, v[9:10]
	s_add_u32 s12, s12, 8
	s_addc_u32 s13, s13, 0
	s_cmp_lg_u32 s16, s14
	v_or_b32_e32 v25, v2, v25
	s_delay_alu instid0(VALU_DEP_2)
	v_or_b32_e32 v26, v3, v26
	s_cbranch_scc1 .LBB1_183
.LBB1_184:                              ;   in Loop: Header=BB1_145 Depth=1
	s_mov_b32 s17, 0
	s_cbranch_execz .LBB1_186
	s_branch .LBB1_187
.LBB1_185:                              ;   in Loop: Header=BB1_145 Depth=1
                                        ; implicit-def: $vgpr25_vgpr26
                                        ; implicit-def: $sgpr17
.LBB1_186:                              ;   in Loop: Header=BB1_145 Depth=1
	global_load_b64 v[25:26], v10, s[0:1]
	s_add_i32 s17, s16, -8
	s_add_u32 s0, s0, 8
	s_addc_u32 s1, s1, 0
.LBB1_187:                              ;   in Loop: Header=BB1_145 Depth=1
	s_cmp_gt_u32 s17, 7
	s_cbranch_scc1 .LBB1_192
; %bb.188:                              ;   in Loop: Header=BB1_145 Depth=1
	v_mov_b32_e32 v27, 0
	v_mov_b32_e32 v28, 0
	s_cmp_eq_u32 s17, 0
	s_cbranch_scc1 .LBB1_191
; %bb.189:                              ;   in Loop: Header=BB1_145 Depth=1
	s_mov_b64 s[12:13], 0
	s_mov_b64 s[14:15], s[0:1]
.LBB1_190:                              ;   Parent Loop BB1_145 Depth=1
                                        ; =>  This Inner Loop Header: Depth=2
	global_load_u8 v2, v10, s[14:15]
	s_add_i32 s17, s17, -1
	s_waitcnt vmcnt(0)
	v_and_b32_e32 v9, 0xffff, v2
	s_delay_alu instid0(VALU_DEP_1)
	v_lshlrev_b64 v[2:3], s12, v[9:10]
	s_add_u32 s12, s12, 8
	s_addc_u32 s13, s13, 0
	s_add_u32 s14, s14, 1
	s_addc_u32 s15, s15, 0
	s_cmp_lg_u32 s17, 0
	v_or_b32_e32 v27, v2, v27
	v_or_b32_e32 v28, v3, v28
	s_cbranch_scc1 .LBB1_190
.LBB1_191:                              ;   in Loop: Header=BB1_145 Depth=1
	s_cbranch_execz .LBB1_193
	s_branch .LBB1_194
.LBB1_192:                              ;   in Loop: Header=BB1_145 Depth=1
.LBB1_193:                              ;   in Loop: Header=BB1_145 Depth=1
	global_load_b64 v[27:28], v10, s[0:1]
.LBB1_194:                              ;   in Loop: Header=BB1_145 Depth=1
	v_readfirstlane_b32 s0, v35
	v_mov_b32_e32 v2, 0
	v_mov_b32_e32 v3, 0
	s_delay_alu instid0(VALU_DEP_3) | instskip(NEXT) | instid1(VALU_DEP_1)
	v_cmp_eq_u32_e64 s0, s0, v35
	s_and_saveexec_b32 s1, s0
	s_cbranch_execz .LBB1_200
; %bb.195:                              ;   in Loop: Header=BB1_145 Depth=1
	global_load_b64 v[31:32], v10, s[2:3] offset:24 glc
	s_waitcnt vmcnt(0)
	buffer_gl1_inv
	buffer_gl0_inv
	s_clause 0x1
	global_load_b64 v[2:3], v10, s[2:3] offset:40
	global_load_b64 v[8:9], v10, s[2:3]
	s_mov_b32 s12, exec_lo
	s_waitcnt vmcnt(1)
	v_and_b32_e32 v3, v3, v32
	v_and_b32_e32 v2, v2, v31
	s_delay_alu instid0(VALU_DEP_2) | instskip(NEXT) | instid1(VALU_DEP_2)
	v_mul_lo_u32 v3, v3, 24
	v_mul_hi_u32 v13, v2, 24
	v_mul_lo_u32 v2, v2, 24
	s_delay_alu instid0(VALU_DEP_2) | instskip(SKIP_1) | instid1(VALU_DEP_2)
	v_add_nc_u32_e32 v3, v13, v3
	s_waitcnt vmcnt(0)
	v_add_co_u32 v2, vcc_lo, v8, v2
	s_delay_alu instid0(VALU_DEP_2)
	v_add_co_ci_u32_e32 v3, vcc_lo, v9, v3, vcc_lo
	global_load_b64 v[29:30], v[2:3], off glc
	s_waitcnt vmcnt(0)
	global_atomic_cmpswap_b64 v[2:3], v10, v[29:32], s[2:3] offset:24 glc
	s_waitcnt vmcnt(0)
	buffer_gl1_inv
	buffer_gl0_inv
	v_cmpx_ne_u64_e64 v[2:3], v[31:32]
	s_cbranch_execz .LBB1_199
; %bb.196:                              ;   in Loop: Header=BB1_145 Depth=1
	s_mov_b32 s13, 0
	.p2align	6
.LBB1_197:                              ;   Parent Loop BB1_145 Depth=1
                                        ; =>  This Inner Loop Header: Depth=2
	s_sleep 1
	s_clause 0x1
	global_load_b64 v[8:9], v10, s[2:3] offset:40
	global_load_b64 v[13:14], v10, s[2:3]
	v_dual_mov_b32 v32, v3 :: v_dual_mov_b32 v31, v2
	s_waitcnt vmcnt(1)
	s_delay_alu instid0(VALU_DEP_1) | instskip(SKIP_1) | instid1(VALU_DEP_1)
	v_and_b32_e32 v8, v8, v31
	s_waitcnt vmcnt(0)
	v_mad_u64_u32 v[2:3], null, v8, 24, v[13:14]
	v_and_b32_e32 v13, v9, v32
	s_delay_alu instid0(VALU_DEP_1) | instskip(NEXT) | instid1(VALU_DEP_1)
	v_mad_u64_u32 v[8:9], null, v13, 24, v[3:4]
	v_mov_b32_e32 v3, v8
	global_load_b64 v[29:30], v[2:3], off glc
	s_waitcnt vmcnt(0)
	global_atomic_cmpswap_b64 v[2:3], v10, v[29:32], s[2:3] offset:24 glc
	s_waitcnt vmcnt(0)
	buffer_gl1_inv
	buffer_gl0_inv
	v_cmp_eq_u64_e32 vcc_lo, v[2:3], v[31:32]
	s_or_b32 s13, vcc_lo, s13
	s_delay_alu instid0(SALU_CYCLE_1)
	s_and_not1_b32 exec_lo, exec_lo, s13
	s_cbranch_execnz .LBB1_197
; %bb.198:                              ;   in Loop: Header=BB1_145 Depth=1
	s_or_b32 exec_lo, exec_lo, s13
.LBB1_199:                              ;   in Loop: Header=BB1_145 Depth=1
	s_delay_alu instid0(SALU_CYCLE_1)
	s_or_b32 exec_lo, exec_lo, s12
.LBB1_200:                              ;   in Loop: Header=BB1_145 Depth=1
	s_delay_alu instid0(SALU_CYCLE_1)
	s_or_b32 exec_lo, exec_lo, s1
	s_clause 0x1
	global_load_b64 v[8:9], v10, s[2:3] offset:40
	global_load_b128 v[29:32], v10, s[2:3]
	v_readfirstlane_b32 s12, v2
	v_readfirstlane_b32 s13, v3
	s_mov_b32 s1, exec_lo
	s_waitcnt vmcnt(1)
	v_readfirstlane_b32 s14, v8
	v_readfirstlane_b32 s15, v9
	s_delay_alu instid0(VALU_DEP_1) | instskip(NEXT) | instid1(SALU_CYCLE_1)
	s_and_b64 s[14:15], s[12:13], s[14:15]
	s_mul_i32 s16, s15, 24
	s_mul_hi_u32 s17, s14, 24
	s_mul_i32 s18, s14, 24
	s_add_i32 s17, s17, s16
	s_waitcnt vmcnt(0)
	v_add_co_u32 v2, vcc_lo, v29, s18
	v_add_co_ci_u32_e32 v3, vcc_lo, s17, v30, vcc_lo
	s_and_saveexec_b32 s16, s0
	s_cbranch_execz .LBB1_202
; %bb.201:                              ;   in Loop: Header=BB1_145 Depth=1
	v_mov_b32_e32 v9, s1
	global_store_b128 v[2:3], v[9:12], off offset:8
.LBB1_202:                              ;   in Loop: Header=BB1_145 Depth=1
	s_or_b32 exec_lo, exec_lo, s16
	s_lshl_b64 s[14:15], s[14:15], 12
	v_cmp_gt_u64_e64 vcc_lo, s[6:7], 56
	v_or_b32_e32 v9, v6, v33
	v_add_co_u32 v31, s1, v31, s14
	s_delay_alu instid0(VALU_DEP_1)
	v_add_co_ci_u32_e64 v32, s1, s15, v32, s1
	s_lshl_b32 s1, s10, 2
	v_or_b32_e32 v8, 0, v7
	v_cndmask_b32_e32 v6, v9, v6, vcc_lo
	s_add_i32 s1, s1, 28
	v_readfirstlane_b32 s14, v31
	s_and_b32 s1, s1, 0x1e0
	v_cndmask_b32_e32 v14, v8, v7, vcc_lo
	v_readfirstlane_b32 s15, v32
	v_and_or_b32 v13, 0xffffff1f, v6, s1
	s_clause 0x3
	global_store_b128 v34, v[13:16], s[14:15]
	global_store_b128 v34, v[17:20], s[14:15] offset:16
	global_store_b128 v34, v[21:24], s[14:15] offset:32
	;; [unrolled: 1-line block ×3, first 2 shown]
	s_and_saveexec_b32 s1, s0
	s_cbranch_execz .LBB1_210
; %bb.203:                              ;   in Loop: Header=BB1_145 Depth=1
	s_clause 0x1
	global_load_b64 v[17:18], v10, s[2:3] offset:32 glc
	global_load_b64 v[6:7], v10, s[2:3] offset:40
	v_dual_mov_b32 v15, s12 :: v_dual_mov_b32 v16, s13
	s_waitcnt vmcnt(0)
	v_readfirstlane_b32 s14, v6
	v_readfirstlane_b32 s15, v7
	s_delay_alu instid0(VALU_DEP_1) | instskip(NEXT) | instid1(SALU_CYCLE_1)
	s_and_b64 s[14:15], s[14:15], s[12:13]
	s_mul_i32 s15, s15, 24
	s_mul_hi_u32 s16, s14, 24
	s_mul_i32 s14, s14, 24
	s_add_i32 s16, s16, s15
	v_add_co_u32 v13, vcc_lo, v29, s14
	v_add_co_ci_u32_e32 v14, vcc_lo, s16, v30, vcc_lo
	s_mov_b32 s14, exec_lo
	global_store_b64 v[13:14], v[17:18], off
	s_waitcnt_vscnt null, 0x0
	global_atomic_cmpswap_b64 v[8:9], v10, v[15:18], s[2:3] offset:32 glc
	s_waitcnt vmcnt(0)
	v_cmpx_ne_u64_e64 v[8:9], v[17:18]
	s_cbranch_execz .LBB1_206
; %bb.204:                              ;   in Loop: Header=BB1_145 Depth=1
	s_mov_b32 s15, 0
.LBB1_205:                              ;   Parent Loop BB1_145 Depth=1
                                        ; =>  This Inner Loop Header: Depth=2
	v_dual_mov_b32 v6, s12 :: v_dual_mov_b32 v7, s13
	s_sleep 1
	global_store_b64 v[13:14], v[8:9], off
	s_waitcnt_vscnt null, 0x0
	global_atomic_cmpswap_b64 v[6:7], v10, v[6:9], s[2:3] offset:32 glc
	s_waitcnt vmcnt(0)
	v_cmp_eq_u64_e32 vcc_lo, v[6:7], v[8:9]
	v_dual_mov_b32 v9, v7 :: v_dual_mov_b32 v8, v6
	s_or_b32 s15, vcc_lo, s15
	s_delay_alu instid0(SALU_CYCLE_1)
	s_and_not1_b32 exec_lo, exec_lo, s15
	s_cbranch_execnz .LBB1_205
.LBB1_206:                              ;   in Loop: Header=BB1_145 Depth=1
	s_or_b32 exec_lo, exec_lo, s14
	global_load_b64 v[6:7], v10, s[2:3] offset:16
	s_mov_b32 s15, exec_lo
	s_mov_b32 s14, exec_lo
	v_mbcnt_lo_u32_b32 v8, s15, 0
	s_delay_alu instid0(VALU_DEP_1)
	v_cmpx_eq_u32_e32 0, v8
	s_cbranch_execz .LBB1_208
; %bb.207:                              ;   in Loop: Header=BB1_145 Depth=1
	s_bcnt1_i32_b32 s15, s15
	s_delay_alu instid0(SALU_CYCLE_1)
	v_mov_b32_e32 v9, s15
	s_waitcnt vmcnt(0)
	global_atomic_add_u64 v[6:7], v[9:10], off offset:8
.LBB1_208:                              ;   in Loop: Header=BB1_145 Depth=1
	s_or_b32 exec_lo, exec_lo, s14
	s_waitcnt vmcnt(0)
	global_load_b64 v[13:14], v[6:7], off offset:16
	s_waitcnt vmcnt(0)
	v_cmp_eq_u64_e32 vcc_lo, 0, v[13:14]
	s_cbranch_vccnz .LBB1_210
; %bb.209:                              ;   in Loop: Header=BB1_145 Depth=1
	global_load_b32 v9, v[6:7], off offset:24
	s_waitcnt vmcnt(0)
	v_and_b32_e32 v6, 0xffffff, v9
	s_waitcnt_vscnt null, 0x0
	global_store_b64 v[13:14], v[9:10], off
	v_readfirstlane_b32 m0, v6
	s_sendmsg sendmsg(MSG_INTERRUPT)
.LBB1_210:                              ;   in Loop: Header=BB1_145 Depth=1
	s_or_b32 exec_lo, exec_lo, s1
	v_add_co_u32 v6, vcc_lo, v31, v34
	v_add_co_ci_u32_e32 v7, vcc_lo, 0, v32, vcc_lo
	s_branch .LBB1_214
	.p2align	6
.LBB1_211:                              ;   in Loop: Header=BB1_214 Depth=2
	s_or_b32 exec_lo, exec_lo, s1
	s_delay_alu instid0(VALU_DEP_1) | instskip(NEXT) | instid1(VALU_DEP_1)
	v_readfirstlane_b32 s1, v8
	s_cmp_eq_u32 s1, 0
	s_cbranch_scc1 .LBB1_213
; %bb.212:                              ;   in Loop: Header=BB1_214 Depth=2
	s_sleep 1
	s_cbranch_execnz .LBB1_214
	s_branch .LBB1_216
	.p2align	6
.LBB1_213:                              ;   in Loop: Header=BB1_145 Depth=1
	s_branch .LBB1_216
.LBB1_214:                              ;   Parent Loop BB1_145 Depth=1
                                        ; =>  This Inner Loop Header: Depth=2
	v_mov_b32_e32 v8, 1
	s_and_saveexec_b32 s1, s0
	s_cbranch_execz .LBB1_211
; %bb.215:                              ;   in Loop: Header=BB1_214 Depth=2
	global_load_b32 v8, v[2:3], off offset:20 glc
	s_waitcnt vmcnt(0)
	buffer_gl1_inv
	buffer_gl0_inv
	v_and_b32_e32 v8, 1, v8
	s_branch .LBB1_211
.LBB1_216:                              ;   in Loop: Header=BB1_145 Depth=1
	global_load_b128 v[6:9], v[6:7], off
	s_and_saveexec_b32 s1, s0
	s_cbranch_execz .LBB1_144
; %bb.217:                              ;   in Loop: Header=BB1_145 Depth=1
	s_clause 0x2
	global_load_b64 v[2:3], v10, s[2:3] offset:40
	global_load_b64 v[8:9], v10, s[2:3] offset:24 glc
	global_load_b64 v[15:16], v10, s[2:3]
	s_waitcnt vmcnt(2)
	v_add_co_u32 v17, vcc_lo, v2, 1
	v_add_co_ci_u32_e32 v18, vcc_lo, 0, v3, vcc_lo
	s_delay_alu instid0(VALU_DEP_2) | instskip(NEXT) | instid1(VALU_DEP_2)
	v_add_co_u32 v13, vcc_lo, v17, s12
	v_add_co_ci_u32_e32 v14, vcc_lo, s13, v18, vcc_lo
	s_delay_alu instid0(VALU_DEP_1) | instskip(SKIP_1) | instid1(VALU_DEP_1)
	v_cmp_eq_u64_e32 vcc_lo, 0, v[13:14]
	v_dual_cndmask_b32 v14, v14, v18 :: v_dual_cndmask_b32 v13, v13, v17
	v_and_b32_e32 v3, v14, v3
	s_delay_alu instid0(VALU_DEP_2) | instskip(NEXT) | instid1(VALU_DEP_2)
	v_and_b32_e32 v2, v13, v2
	v_mul_lo_u32 v3, v3, 24
	s_delay_alu instid0(VALU_DEP_2) | instskip(SKIP_1) | instid1(VALU_DEP_2)
	v_mul_hi_u32 v17, v2, 24
	v_mul_lo_u32 v2, v2, 24
	v_add_nc_u32_e32 v3, v17, v3
	s_waitcnt vmcnt(0)
	s_delay_alu instid0(VALU_DEP_2) | instskip(SKIP_1) | instid1(VALU_DEP_3)
	v_add_co_u32 v2, vcc_lo, v15, v2
	v_mov_b32_e32 v15, v8
	v_add_co_ci_u32_e32 v3, vcc_lo, v16, v3, vcc_lo
	v_mov_b32_e32 v16, v9
	global_store_b64 v[2:3], v[8:9], off
	s_waitcnt_vscnt null, 0x0
	global_atomic_cmpswap_b64 v[15:16], v10, v[13:16], s[2:3] offset:24 glc
	s_waitcnt vmcnt(0)
	v_cmp_ne_u64_e32 vcc_lo, v[15:16], v[8:9]
	s_and_b32 exec_lo, exec_lo, vcc_lo
	s_cbranch_execz .LBB1_144
; %bb.218:                              ;   in Loop: Header=BB1_145 Depth=1
	s_mov_b32 s0, 0
.LBB1_219:                              ;   Parent Loop BB1_145 Depth=1
                                        ; =>  This Inner Loop Header: Depth=2
	s_sleep 1
	global_store_b64 v[2:3], v[15:16], off
	s_waitcnt_vscnt null, 0x0
	global_atomic_cmpswap_b64 v[8:9], v10, v[13:16], s[2:3] offset:24 glc
	s_waitcnt vmcnt(0)
	v_cmp_eq_u64_e32 vcc_lo, v[8:9], v[15:16]
	v_dual_mov_b32 v16, v9 :: v_dual_mov_b32 v15, v8
	s_or_b32 s0, vcc_lo, s0
	s_delay_alu instid0(SALU_CYCLE_1)
	s_and_not1_b32 exec_lo, exec_lo, s0
	s_cbranch_execnz .LBB1_219
	s_branch .LBB1_144
.LBB1_220:
                                        ; implicit-def: $vgpr6_vgpr7
	s_cbranch_execnz .LBB1_222
	s_branch .LBB1_249
.LBB1_221:
	s_branch .LBB1_249
.LBB1_222:
	v_readfirstlane_b32 s0, v35
	v_mov_b32_e32 v10, 0
	v_mov_b32_e32 v11, 0
	s_delay_alu instid0(VALU_DEP_3) | instskip(NEXT) | instid1(VALU_DEP_1)
	v_cmp_eq_u32_e64 s0, s0, v35
	s_and_saveexec_b32 s1, s0
	s_cbranch_execz .LBB1_228
; %bb.223:
	s_waitcnt vmcnt(0)
	v_mov_b32_e32 v2, 0
	s_mov_b32 s4, exec_lo
	global_load_b64 v[8:9], v2, s[2:3] offset:24 glc
	s_waitcnt vmcnt(0)
	buffer_gl1_inv
	buffer_gl0_inv
	s_clause 0x1
	global_load_b64 v[6:7], v2, s[2:3] offset:40
	global_load_b64 v[10:11], v2, s[2:3]
	s_waitcnt vmcnt(1)
	v_and_b32_e32 v3, v7, v9
	v_and_b32_e32 v6, v6, v8
	s_delay_alu instid0(VALU_DEP_2) | instskip(NEXT) | instid1(VALU_DEP_2)
	v_mul_lo_u32 v3, v3, 24
	v_mul_hi_u32 v7, v6, 24
	v_mul_lo_u32 v6, v6, 24
	s_delay_alu instid0(VALU_DEP_2) | instskip(SKIP_1) | instid1(VALU_DEP_2)
	v_add_nc_u32_e32 v3, v7, v3
	s_waitcnt vmcnt(0)
	v_add_co_u32 v6, vcc_lo, v10, v6
	s_delay_alu instid0(VALU_DEP_2)
	v_add_co_ci_u32_e32 v7, vcc_lo, v11, v3, vcc_lo
	global_load_b64 v[6:7], v[6:7], off glc
	s_waitcnt vmcnt(0)
	global_atomic_cmpswap_b64 v[10:11], v2, v[6:9], s[2:3] offset:24 glc
	s_waitcnt vmcnt(0)
	buffer_gl1_inv
	buffer_gl0_inv
	v_cmpx_ne_u64_e64 v[10:11], v[8:9]
	s_cbranch_execz .LBB1_227
; %bb.224:
	s_mov_b32 s5, 0
	.p2align	6
.LBB1_225:                              ; =>This Inner Loop Header: Depth=1
	s_sleep 1
	s_clause 0x1
	global_load_b64 v[6:7], v2, s[2:3] offset:40
	global_load_b64 v[12:13], v2, s[2:3]
	v_dual_mov_b32 v8, v10 :: v_dual_mov_b32 v9, v11
	s_waitcnt vmcnt(1)
	s_delay_alu instid0(VALU_DEP_1) | instskip(SKIP_1) | instid1(VALU_DEP_1)
	v_and_b32_e32 v3, v6, v8
	s_waitcnt vmcnt(0)
	v_mad_u64_u32 v[10:11], null, v3, 24, v[12:13]
	v_and_b32_e32 v12, v7, v9
	s_delay_alu instid0(VALU_DEP_2) | instskip(NEXT) | instid1(VALU_DEP_1)
	v_mov_b32_e32 v3, v11
	v_mad_u64_u32 v[6:7], null, v12, 24, v[3:4]
	s_delay_alu instid0(VALU_DEP_1)
	v_mov_b32_e32 v11, v6
	global_load_b64 v[6:7], v[10:11], off glc
	s_waitcnt vmcnt(0)
	global_atomic_cmpswap_b64 v[10:11], v2, v[6:9], s[2:3] offset:24 glc
	s_waitcnt vmcnt(0)
	buffer_gl1_inv
	buffer_gl0_inv
	v_cmp_eq_u64_e32 vcc_lo, v[10:11], v[8:9]
	s_or_b32 s5, vcc_lo, s5
	s_delay_alu instid0(SALU_CYCLE_1)
	s_and_not1_b32 exec_lo, exec_lo, s5
	s_cbranch_execnz .LBB1_225
; %bb.226:
	s_or_b32 exec_lo, exec_lo, s5
.LBB1_227:
	s_delay_alu instid0(SALU_CYCLE_1)
	s_or_b32 exec_lo, exec_lo, s4
.LBB1_228:
	s_delay_alu instid0(SALU_CYCLE_1)
	s_or_b32 exec_lo, exec_lo, s1
	s_waitcnt vmcnt(0)
	v_mov_b32_e32 v2, 0
	v_readfirstlane_b32 s4, v10
	v_readfirstlane_b32 s5, v11
	s_mov_b32 s1, exec_lo
	s_clause 0x1
	global_load_b64 v[12:13], v2, s[2:3] offset:40
	global_load_b128 v[6:9], v2, s[2:3]
	s_waitcnt vmcnt(1)
	v_readfirstlane_b32 s6, v12
	v_readfirstlane_b32 s7, v13
	s_delay_alu instid0(VALU_DEP_1) | instskip(NEXT) | instid1(SALU_CYCLE_1)
	s_and_b64 s[6:7], s[4:5], s[6:7]
	s_mul_i32 s10, s7, 24
	s_mul_hi_u32 s11, s6, 24
	s_mul_i32 s12, s6, 24
	s_add_i32 s11, s11, s10
	s_waitcnt vmcnt(0)
	v_add_co_u32 v10, vcc_lo, v6, s12
	v_add_co_ci_u32_e32 v11, vcc_lo, s11, v7, vcc_lo
	s_and_saveexec_b32 s10, s0
	s_cbranch_execz .LBB1_230
; %bb.229:
	v_dual_mov_b32 v12, s1 :: v_dual_mov_b32 v13, v2
	v_dual_mov_b32 v14, 2 :: v_dual_mov_b32 v15, 1
	global_store_b128 v[10:11], v[12:15], off offset:8
.LBB1_230:
	s_or_b32 exec_lo, exec_lo, s10
	s_lshl_b64 s[6:7], s[6:7], 12
	s_mov_b32 s12, 0
	v_add_co_u32 v8, vcc_lo, v8, s6
	v_add_co_ci_u32_e32 v9, vcc_lo, s7, v9, vcc_lo
	s_mov_b32 s13, s12
	s_delay_alu instid0(VALU_DEP_2)
	v_readfirstlane_b32 s6, v8
	v_add_co_u32 v8, vcc_lo, v8, v34
	s_mov_b32 s14, s12
	s_mov_b32 s15, s12
	v_and_or_b32 v0, 0xffffff1f, v0, 32
	v_dual_mov_b32 v3, v2 :: v_dual_mov_b32 v12, s12
	v_readfirstlane_b32 s7, v9
	v_add_co_ci_u32_e32 v9, vcc_lo, 0, v9, vcc_lo
	v_dual_mov_b32 v13, s13 :: v_dual_mov_b32 v14, s14
	v_mov_b32_e32 v15, s15
	s_clause 0x3
	global_store_b128 v34, v[0:3], s[6:7]
	global_store_b128 v34, v[12:15], s[6:7] offset:16
	global_store_b128 v34, v[12:15], s[6:7] offset:32
	;; [unrolled: 1-line block ×3, first 2 shown]
	s_and_saveexec_b32 s1, s0
	s_cbranch_execz .LBB1_238
; %bb.231:
	v_dual_mov_b32 v12, 0 :: v_dual_mov_b32 v13, s4
	v_mov_b32_e32 v14, s5
	s_clause 0x1
	global_load_b64 v[15:16], v12, s[2:3] offset:32 glc
	global_load_b64 v[0:1], v12, s[2:3] offset:40
	s_waitcnt vmcnt(0)
	v_readfirstlane_b32 s6, v0
	v_readfirstlane_b32 s7, v1
	s_delay_alu instid0(VALU_DEP_1) | instskip(NEXT) | instid1(SALU_CYCLE_1)
	s_and_b64 s[6:7], s[6:7], s[4:5]
	s_mul_i32 s7, s7, 24
	s_mul_hi_u32 s10, s6, 24
	s_mul_i32 s6, s6, 24
	s_add_i32 s10, s10, s7
	v_add_co_u32 v6, vcc_lo, v6, s6
	v_add_co_ci_u32_e32 v7, vcc_lo, s10, v7, vcc_lo
	s_mov_b32 s6, exec_lo
	global_store_b64 v[6:7], v[15:16], off
	s_waitcnt_vscnt null, 0x0
	global_atomic_cmpswap_b64 v[2:3], v12, v[13:16], s[2:3] offset:32 glc
	s_waitcnt vmcnt(0)
	v_cmpx_ne_u64_e64 v[2:3], v[15:16]
	s_cbranch_execz .LBB1_234
; %bb.232:
	s_mov_b32 s7, 0
.LBB1_233:                              ; =>This Inner Loop Header: Depth=1
	v_dual_mov_b32 v0, s4 :: v_dual_mov_b32 v1, s5
	s_sleep 1
	global_store_b64 v[6:7], v[2:3], off
	s_waitcnt_vscnt null, 0x0
	global_atomic_cmpswap_b64 v[0:1], v12, v[0:3], s[2:3] offset:32 glc
	s_waitcnt vmcnt(0)
	v_cmp_eq_u64_e32 vcc_lo, v[0:1], v[2:3]
	v_dual_mov_b32 v3, v1 :: v_dual_mov_b32 v2, v0
	s_or_b32 s7, vcc_lo, s7
	s_delay_alu instid0(SALU_CYCLE_1)
	s_and_not1_b32 exec_lo, exec_lo, s7
	s_cbranch_execnz .LBB1_233
.LBB1_234:
	s_or_b32 exec_lo, exec_lo, s6
	v_mov_b32_e32 v3, 0
	s_mov_b32 s7, exec_lo
	s_mov_b32 s6, exec_lo
	v_mbcnt_lo_u32_b32 v2, s7, 0
	global_load_b64 v[0:1], v3, s[2:3] offset:16
	v_cmpx_eq_u32_e32 0, v2
	s_cbranch_execz .LBB1_236
; %bb.235:
	s_bcnt1_i32_b32 s7, s7
	s_delay_alu instid0(SALU_CYCLE_1)
	v_mov_b32_e32 v2, s7
	s_waitcnt vmcnt(0)
	global_atomic_add_u64 v[0:1], v[2:3], off offset:8
.LBB1_236:
	s_or_b32 exec_lo, exec_lo, s6
	s_waitcnt vmcnt(0)
	global_load_b64 v[2:3], v[0:1], off offset:16
	s_waitcnt vmcnt(0)
	v_cmp_eq_u64_e32 vcc_lo, 0, v[2:3]
	s_cbranch_vccnz .LBB1_238
; %bb.237:
	global_load_b32 v0, v[0:1], off offset:24
	s_waitcnt vmcnt(0)
	v_dual_mov_b32 v1, 0 :: v_dual_and_b32 v6, 0xffffff, v0
	s_waitcnt_vscnt null, 0x0
	global_store_b64 v[2:3], v[0:1], off
	v_readfirstlane_b32 m0, v6
	s_sendmsg sendmsg(MSG_INTERRUPT)
.LBB1_238:
	s_or_b32 exec_lo, exec_lo, s1
	s_branch .LBB1_242
	.p2align	6
.LBB1_239:                              ;   in Loop: Header=BB1_242 Depth=1
	s_or_b32 exec_lo, exec_lo, s1
	s_delay_alu instid0(VALU_DEP_1) | instskip(NEXT) | instid1(VALU_DEP_1)
	v_readfirstlane_b32 s1, v0
	s_cmp_eq_u32 s1, 0
	s_cbranch_scc1 .LBB1_241
; %bb.240:                              ;   in Loop: Header=BB1_242 Depth=1
	s_sleep 1
	s_cbranch_execnz .LBB1_242
	s_branch .LBB1_244
	.p2align	6
.LBB1_241:
	s_branch .LBB1_244
.LBB1_242:                              ; =>This Inner Loop Header: Depth=1
	v_mov_b32_e32 v0, 1
	s_and_saveexec_b32 s1, s0
	s_cbranch_execz .LBB1_239
; %bb.243:                              ;   in Loop: Header=BB1_242 Depth=1
	global_load_b32 v0, v[10:11], off offset:20 glc
	s_waitcnt vmcnt(0)
	buffer_gl1_inv
	buffer_gl0_inv
	v_and_b32_e32 v0, 1, v0
	s_branch .LBB1_239
.LBB1_244:
	global_load_b64 v[6:7], v[8:9], off
	s_and_saveexec_b32 s1, s0
	s_cbranch_execz .LBB1_248
; %bb.245:
	v_mov_b32_e32 v10, 0
	s_clause 0x2
	global_load_b64 v[2:3], v10, s[2:3] offset:40
	global_load_b64 v[11:12], v10, s[2:3] offset:24 glc
	global_load_b64 v[8:9], v10, s[2:3]
	s_waitcnt vmcnt(2)
	v_add_co_u32 v13, vcc_lo, v2, 1
	v_add_co_ci_u32_e32 v14, vcc_lo, 0, v3, vcc_lo
	s_delay_alu instid0(VALU_DEP_2) | instskip(NEXT) | instid1(VALU_DEP_2)
	v_add_co_u32 v0, vcc_lo, v13, s4
	v_add_co_ci_u32_e32 v1, vcc_lo, s5, v14, vcc_lo
	s_delay_alu instid0(VALU_DEP_1) | instskip(SKIP_1) | instid1(VALU_DEP_1)
	v_cmp_eq_u64_e32 vcc_lo, 0, v[0:1]
	v_dual_cndmask_b32 v1, v1, v14 :: v_dual_cndmask_b32 v0, v0, v13
	v_and_b32_e32 v3, v1, v3
	s_delay_alu instid0(VALU_DEP_2) | instskip(NEXT) | instid1(VALU_DEP_2)
	v_and_b32_e32 v2, v0, v2
	v_mul_lo_u32 v3, v3, 24
	s_delay_alu instid0(VALU_DEP_2) | instskip(SKIP_1) | instid1(VALU_DEP_2)
	v_mul_hi_u32 v13, v2, 24
	v_mul_lo_u32 v2, v2, 24
	v_add_nc_u32_e32 v3, v13, v3
	s_waitcnt vmcnt(0)
	s_delay_alu instid0(VALU_DEP_2) | instskip(SKIP_1) | instid1(VALU_DEP_3)
	v_add_co_u32 v8, vcc_lo, v8, v2
	v_mov_b32_e32 v2, v11
	v_add_co_ci_u32_e32 v9, vcc_lo, v9, v3, vcc_lo
	v_mov_b32_e32 v3, v12
	global_store_b64 v[8:9], v[11:12], off
	s_waitcnt_vscnt null, 0x0
	global_atomic_cmpswap_b64 v[2:3], v10, v[0:3], s[2:3] offset:24 glc
	s_waitcnt vmcnt(0)
	v_cmp_ne_u64_e32 vcc_lo, v[2:3], v[11:12]
	s_and_b32 exec_lo, exec_lo, vcc_lo
	s_cbranch_execz .LBB1_248
; %bb.246:
	s_mov_b32 s0, 0
.LBB1_247:                              ; =>This Inner Loop Header: Depth=1
	s_sleep 1
	global_store_b64 v[8:9], v[2:3], off
	s_waitcnt_vscnt null, 0x0
	global_atomic_cmpswap_b64 v[11:12], v10, v[0:3], s[2:3] offset:24 glc
	s_waitcnt vmcnt(0)
	v_cmp_eq_u64_e32 vcc_lo, v[11:12], v[2:3]
	v_dual_mov_b32 v2, v11 :: v_dual_mov_b32 v3, v12
	s_or_b32 s0, vcc_lo, s0
	s_delay_alu instid0(SALU_CYCLE_1)
	s_and_not1_b32 exec_lo, exec_lo, s0
	s_cbranch_execnz .LBB1_247
.LBB1_248:
	s_or_b32 exec_lo, exec_lo, s1
.LBB1_249:
	v_readfirstlane_b32 s0, v35
	v_mov_b32_e32 v10, 0
	v_mov_b32_e32 v11, 0
	s_delay_alu instid0(VALU_DEP_3) | instskip(NEXT) | instid1(VALU_DEP_1)
	v_cmp_eq_u32_e64 s0, s0, v35
	s_and_saveexec_b32 s1, s0
	s_cbranch_execz .LBB1_255
; %bb.250:
	s_waitcnt vmcnt(0)
	v_mov_b32_e32 v0, 0
	s_mov_b32 s4, exec_lo
	global_load_b64 v[12:13], v0, s[2:3] offset:24 glc
	s_waitcnt vmcnt(0)
	buffer_gl1_inv
	buffer_gl0_inv
	s_clause 0x1
	global_load_b64 v[1:2], v0, s[2:3] offset:40
	global_load_b64 v[8:9], v0, s[2:3]
	s_waitcnt vmcnt(1)
	v_and_b32_e32 v1, v1, v12
	v_and_b32_e32 v2, v2, v13
	s_delay_alu instid0(VALU_DEP_2) | instskip(NEXT) | instid1(VALU_DEP_2)
	v_mul_hi_u32 v3, v1, 24
	v_mul_lo_u32 v2, v2, 24
	v_mul_lo_u32 v1, v1, 24
	s_delay_alu instid0(VALU_DEP_2) | instskip(SKIP_1) | instid1(VALU_DEP_2)
	v_add_nc_u32_e32 v2, v3, v2
	s_waitcnt vmcnt(0)
	v_add_co_u32 v1, vcc_lo, v8, v1
	s_delay_alu instid0(VALU_DEP_2)
	v_add_co_ci_u32_e32 v2, vcc_lo, v9, v2, vcc_lo
	global_load_b64 v[10:11], v[1:2], off glc
	s_waitcnt vmcnt(0)
	global_atomic_cmpswap_b64 v[10:11], v0, v[10:13], s[2:3] offset:24 glc
	s_waitcnt vmcnt(0)
	buffer_gl1_inv
	buffer_gl0_inv
	v_cmpx_ne_u64_e64 v[10:11], v[12:13]
	s_cbranch_execz .LBB1_254
; %bb.251:
	s_mov_b32 s5, 0
	.p2align	6
.LBB1_252:                              ; =>This Inner Loop Header: Depth=1
	s_sleep 1
	s_clause 0x1
	global_load_b64 v[1:2], v0, s[2:3] offset:40
	global_load_b64 v[8:9], v0, s[2:3]
	v_dual_mov_b32 v13, v11 :: v_dual_mov_b32 v12, v10
	s_waitcnt vmcnt(1)
	s_delay_alu instid0(VALU_DEP_1) | instskip(SKIP_1) | instid1(VALU_DEP_1)
	v_and_b32_e32 v1, v1, v12
	s_waitcnt vmcnt(0)
	v_mad_u64_u32 v[10:11], null, v1, 24, v[8:9]
	s_delay_alu instid0(VALU_DEP_1) | instskip(NEXT) | instid1(VALU_DEP_1)
	v_dual_mov_b32 v1, v11 :: v_dual_and_b32 v8, v2, v13
	v_mad_u64_u32 v[2:3], null, v8, 24, v[1:2]
	s_delay_alu instid0(VALU_DEP_1)
	v_mov_b32_e32 v11, v2
	global_load_b64 v[10:11], v[10:11], off glc
	s_waitcnt vmcnt(0)
	global_atomic_cmpswap_b64 v[10:11], v0, v[10:13], s[2:3] offset:24 glc
	s_waitcnt vmcnt(0)
	buffer_gl1_inv
	buffer_gl0_inv
	v_cmp_eq_u64_e32 vcc_lo, v[10:11], v[12:13]
	s_or_b32 s5, vcc_lo, s5
	s_delay_alu instid0(SALU_CYCLE_1)
	s_and_not1_b32 exec_lo, exec_lo, s5
	s_cbranch_execnz .LBB1_252
; %bb.253:
	s_or_b32 exec_lo, exec_lo, s5
.LBB1_254:
	s_delay_alu instid0(SALU_CYCLE_1)
	s_or_b32 exec_lo, exec_lo, s4
.LBB1_255:
	s_delay_alu instid0(SALU_CYCLE_1)
	s_or_b32 exec_lo, exec_lo, s1
	s_waitcnt vmcnt(0)
	v_mov_b32_e32 v9, 0
	v_readfirstlane_b32 s4, v10
	v_readfirstlane_b32 s5, v11
	s_mov_b32 s1, exec_lo
	s_clause 0x1
	global_load_b64 v[12:13], v9, s[2:3] offset:40
	global_load_b128 v[0:3], v9, s[2:3]
	s_waitcnt vmcnt(1)
	v_readfirstlane_b32 s6, v12
	v_readfirstlane_b32 s7, v13
	s_delay_alu instid0(VALU_DEP_1) | instskip(NEXT) | instid1(SALU_CYCLE_1)
	s_and_b64 s[6:7], s[4:5], s[6:7]
	s_mul_i32 s10, s7, 24
	s_mul_hi_u32 s11, s6, 24
	s_mul_i32 s12, s6, 24
	s_add_i32 s11, s11, s10
	s_waitcnt vmcnt(0)
	v_add_co_u32 v10, vcc_lo, v0, s12
	v_add_co_ci_u32_e32 v11, vcc_lo, s11, v1, vcc_lo
	s_and_saveexec_b32 s10, s0
	s_cbranch_execz .LBB1_257
; %bb.256:
	v_dual_mov_b32 v8, s1 :: v_dual_mov_b32 v15, 1
	v_dual_mov_b32 v14, 2 :: v_dual_mov_b32 v13, v9
	s_delay_alu instid0(VALU_DEP_2)
	v_mov_b32_e32 v12, v8
	global_store_b128 v[10:11], v[12:15], off offset:8
.LBB1_257:
	s_or_b32 exec_lo, exec_lo, s10
	s_lshl_b64 s[6:7], s[6:7], 12
	s_mov_b32 s12, 0
	v_add_co_u32 v2, vcc_lo, v2, s6
	v_add_co_ci_u32_e32 v3, vcc_lo, s7, v3, vcc_lo
	s_mov_b32 s15, s12
	s_delay_alu instid0(VALU_DEP_2)
	v_add_co_u32 v12, vcc_lo, v2, v34
	s_mov_b32 s13, s12
	s_mov_b32 s14, s12
	v_and_or_b32 v6, 0xffffff1f, v6, 32
	v_dual_mov_b32 v8, 0x886 :: v_dual_mov_b32 v17, s15
	v_readfirstlane_b32 s6, v2
	v_readfirstlane_b32 s7, v3
	v_add_co_ci_u32_e32 v13, vcc_lo, 0, v3, vcc_lo
	v_dual_mov_b32 v16, s14 :: v_dual_mov_b32 v15, s13
	v_mov_b32_e32 v14, s12
	s_clause 0x3
	global_store_b128 v34, v[6:9], s[6:7]
	global_store_b128 v34, v[14:17], s[6:7] offset:16
	global_store_b128 v34, v[14:17], s[6:7] offset:32
	;; [unrolled: 1-line block ×3, first 2 shown]
	s_and_saveexec_b32 s1, s0
	s_cbranch_execz .LBB1_265
; %bb.258:
	v_dual_mov_b32 v8, 0 :: v_dual_mov_b32 v15, s5
	v_mov_b32_e32 v14, s4
	s_clause 0x1
	global_load_b64 v[16:17], v8, s[2:3] offset:32 glc
	global_load_b64 v[2:3], v8, s[2:3] offset:40
	s_waitcnt vmcnt(0)
	v_readfirstlane_b32 s6, v2
	v_readfirstlane_b32 s7, v3
	s_delay_alu instid0(VALU_DEP_1) | instskip(NEXT) | instid1(SALU_CYCLE_1)
	s_and_b64 s[6:7], s[6:7], s[4:5]
	s_mul_i32 s7, s7, 24
	s_mul_hi_u32 s10, s6, 24
	s_mul_i32 s6, s6, 24
	s_add_i32 s10, s10, s7
	v_add_co_u32 v6, vcc_lo, v0, s6
	v_add_co_ci_u32_e32 v7, vcc_lo, s10, v1, vcc_lo
	s_mov_b32 s6, exec_lo
	global_store_b64 v[6:7], v[16:17], off
	s_waitcnt_vscnt null, 0x0
	global_atomic_cmpswap_b64 v[2:3], v8, v[14:17], s[2:3] offset:32 glc
	s_waitcnt vmcnt(0)
	v_cmpx_ne_u64_e64 v[2:3], v[16:17]
	s_cbranch_execz .LBB1_261
; %bb.259:
	s_mov_b32 s7, 0
.LBB1_260:                              ; =>This Inner Loop Header: Depth=1
	v_dual_mov_b32 v0, s4 :: v_dual_mov_b32 v1, s5
	s_sleep 1
	global_store_b64 v[6:7], v[2:3], off
	s_waitcnt_vscnt null, 0x0
	global_atomic_cmpswap_b64 v[0:1], v8, v[0:3], s[2:3] offset:32 glc
	s_waitcnt vmcnt(0)
	v_cmp_eq_u64_e32 vcc_lo, v[0:1], v[2:3]
	v_dual_mov_b32 v3, v1 :: v_dual_mov_b32 v2, v0
	s_or_b32 s7, vcc_lo, s7
	s_delay_alu instid0(SALU_CYCLE_1)
	s_and_not1_b32 exec_lo, exec_lo, s7
	s_cbranch_execnz .LBB1_260
.LBB1_261:
	s_or_b32 exec_lo, exec_lo, s6
	v_mov_b32_e32 v3, 0
	s_mov_b32 s7, exec_lo
	s_mov_b32 s6, exec_lo
	v_mbcnt_lo_u32_b32 v2, s7, 0
	global_load_b64 v[0:1], v3, s[2:3] offset:16
	v_cmpx_eq_u32_e32 0, v2
	s_cbranch_execz .LBB1_263
; %bb.262:
	s_bcnt1_i32_b32 s7, s7
	s_delay_alu instid0(SALU_CYCLE_1)
	v_mov_b32_e32 v2, s7
	s_waitcnt vmcnt(0)
	global_atomic_add_u64 v[0:1], v[2:3], off offset:8
.LBB1_263:
	s_or_b32 exec_lo, exec_lo, s6
	s_waitcnt vmcnt(0)
	global_load_b64 v[2:3], v[0:1], off offset:16
	s_waitcnt vmcnt(0)
	v_cmp_eq_u64_e32 vcc_lo, 0, v[2:3]
	s_cbranch_vccnz .LBB1_265
; %bb.264:
	global_load_b32 v0, v[0:1], off offset:24
	s_waitcnt vmcnt(0)
	v_dual_mov_b32 v1, 0 :: v_dual_and_b32 v6, 0xffffff, v0
	s_waitcnt_vscnt null, 0x0
	global_store_b64 v[2:3], v[0:1], off
	v_readfirstlane_b32 m0, v6
	s_sendmsg sendmsg(MSG_INTERRUPT)
.LBB1_265:
	s_or_b32 exec_lo, exec_lo, s1
	s_branch .LBB1_269
	.p2align	6
.LBB1_266:                              ;   in Loop: Header=BB1_269 Depth=1
	s_or_b32 exec_lo, exec_lo, s1
	s_delay_alu instid0(VALU_DEP_1) | instskip(NEXT) | instid1(VALU_DEP_1)
	v_readfirstlane_b32 s1, v0
	s_cmp_eq_u32 s1, 0
	s_cbranch_scc1 .LBB1_268
; %bb.267:                              ;   in Loop: Header=BB1_269 Depth=1
	s_sleep 1
	s_cbranch_execnz .LBB1_269
	s_branch .LBB1_271
	.p2align	6
.LBB1_268:
	s_branch .LBB1_271
.LBB1_269:                              ; =>This Inner Loop Header: Depth=1
	v_mov_b32_e32 v0, 1
	s_and_saveexec_b32 s1, s0
	s_cbranch_execz .LBB1_266
; %bb.270:                              ;   in Loop: Header=BB1_269 Depth=1
	global_load_b32 v0, v[10:11], off offset:20 glc
	s_waitcnt vmcnt(0)
	buffer_gl1_inv
	buffer_gl0_inv
	v_and_b32_e32 v0, 1, v0
	s_branch .LBB1_266
.LBB1_271:
	global_load_b64 v[0:1], v[12:13], off
	s_and_saveexec_b32 s1, s0
	s_cbranch_execz .LBB1_275
; %bb.272:
	v_mov_b32_e32 v10, 0
	s_clause 0x2
	global_load_b64 v[2:3], v10, s[2:3] offset:40
	global_load_b64 v[11:12], v10, s[2:3] offset:24 glc
	global_load_b64 v[8:9], v10, s[2:3]
	s_waitcnt vmcnt(2)
	v_add_co_u32 v13, vcc_lo, v2, 1
	v_add_co_ci_u32_e32 v14, vcc_lo, 0, v3, vcc_lo
	s_delay_alu instid0(VALU_DEP_2) | instskip(NEXT) | instid1(VALU_DEP_2)
	v_add_co_u32 v6, vcc_lo, v13, s4
	v_add_co_ci_u32_e32 v7, vcc_lo, s5, v14, vcc_lo
	s_delay_alu instid0(VALU_DEP_1) | instskip(SKIP_1) | instid1(VALU_DEP_1)
	v_cmp_eq_u64_e32 vcc_lo, 0, v[6:7]
	v_dual_cndmask_b32 v7, v7, v14 :: v_dual_cndmask_b32 v6, v6, v13
	v_and_b32_e32 v3, v7, v3
	s_delay_alu instid0(VALU_DEP_2) | instskip(NEXT) | instid1(VALU_DEP_2)
	v_and_b32_e32 v2, v6, v2
	v_mul_lo_u32 v3, v3, 24
	s_delay_alu instid0(VALU_DEP_2) | instskip(SKIP_1) | instid1(VALU_DEP_2)
	v_mul_hi_u32 v13, v2, 24
	v_mul_lo_u32 v2, v2, 24
	v_add_nc_u32_e32 v3, v13, v3
	s_waitcnt vmcnt(0)
	s_delay_alu instid0(VALU_DEP_2) | instskip(SKIP_1) | instid1(VALU_DEP_3)
	v_add_co_u32 v2, vcc_lo, v8, v2
	v_mov_b32_e32 v8, v11
	v_add_co_ci_u32_e32 v3, vcc_lo, v9, v3, vcc_lo
	v_mov_b32_e32 v9, v12
	global_store_b64 v[2:3], v[11:12], off
	s_waitcnt_vscnt null, 0x0
	global_atomic_cmpswap_b64 v[8:9], v10, v[6:9], s[2:3] offset:24 glc
	s_waitcnt vmcnt(0)
	v_cmp_ne_u64_e32 vcc_lo, v[8:9], v[11:12]
	s_and_b32 exec_lo, exec_lo, vcc_lo
	s_cbranch_execz .LBB1_275
; %bb.273:
	s_mov_b32 s0, 0
.LBB1_274:                              ; =>This Inner Loop Header: Depth=1
	s_sleep 1
	global_store_b64 v[2:3], v[8:9], off
	s_waitcnt_vscnt null, 0x0
	global_atomic_cmpswap_b64 v[11:12], v10, v[6:9], s[2:3] offset:24 glc
	s_waitcnt vmcnt(0)
	v_cmp_eq_u64_e32 vcc_lo, v[11:12], v[8:9]
	v_dual_mov_b32 v8, v11 :: v_dual_mov_b32 v9, v12
	s_or_b32 s0, vcc_lo, s0
	s_delay_alu instid0(SALU_CYCLE_1)
	s_and_not1_b32 exec_lo, exec_lo, s0
	s_cbranch_execnz .LBB1_274
.LBB1_275:
	s_or_b32 exec_lo, exec_lo, s1
	v_dual_mov_b32 v7, v5 :: v_dual_mov_b32 v6, v4
	s_mov_b32 s0, 0
.LBB1_276:                              ; =>This Inner Loop Header: Depth=1
	flat_load_u8 v8, v[6:7]
	v_add_co_u32 v2, vcc_lo, v6, 1
	v_add_co_ci_u32_e32 v3, vcc_lo, 0, v7, vcc_lo
	s_delay_alu instid0(VALU_DEP_1) | instskip(SKIP_3) | instid1(SALU_CYCLE_1)
	v_dual_mov_b32 v7, v3 :: v_dual_mov_b32 v6, v2
	s_waitcnt vmcnt(0) lgkmcnt(0)
	v_cmp_eq_u16_e32 vcc_lo, 0, v8
	s_or_b32 s0, vcc_lo, s0
	s_and_not1_b32 exec_lo, exec_lo, s0
	s_cbranch_execnz .LBB1_276
; %bb.277:
	s_or_b32 exec_lo, exec_lo, s0
	s_delay_alu instid0(SALU_CYCLE_1)
	s_mov_b32 s0, exec_lo
	v_cmpx_ne_u64_e32 0, v[4:5]
	s_xor_b32 s10, exec_lo, s0
	s_cbranch_execz .LBB1_363
; %bb.278:
	v_sub_nc_u32_e32 v26, v2, v4
	v_dual_mov_b32 v7, 0 :: v_dual_and_b32 v32, 2, v0
	v_dual_mov_b32 v9, 1 :: v_dual_and_b32 v0, -3, v0
	v_mov_b32_e32 v8, 2
	s_delay_alu instid0(VALU_DEP_4)
	v_ashrrev_i32_e32 v27, 31, v26
	s_mov_b32 s12, 0
	s_mov_b32 s11, 0
	s_branch .LBB1_280
.LBB1_279:                              ;   in Loop: Header=BB1_280 Depth=1
	s_or_b32 exec_lo, exec_lo, s1
	v_sub_co_u32 v26, vcc_lo, v26, v28
	v_sub_co_ci_u32_e32 v27, vcc_lo, v27, v29, vcc_lo
	v_add_co_u32 v4, s0, v4, v28
	s_delay_alu instid0(VALU_DEP_1) | instskip(NEXT) | instid1(VALU_DEP_3)
	v_add_co_ci_u32_e64 v5, s0, v5, v29, s0
	v_cmp_eq_u64_e32 vcc_lo, 0, v[26:27]
	s_or_b32 s11, vcc_lo, s11
	s_delay_alu instid0(SALU_CYCLE_1)
	s_and_not1_b32 exec_lo, exec_lo, s11
	s_cbranch_execz .LBB1_362
.LBB1_280:                              ; =>This Loop Header: Depth=1
                                        ;     Child Loop BB1_283 Depth 2
                                        ;     Child Loop BB1_291 Depth 2
	;; [unrolled: 1-line block ×11, first 2 shown]
	s_delay_alu instid0(VALU_DEP_1)
	v_cmp_gt_u64_e32 vcc_lo, 56, v[26:27]
	s_mov_b32 s1, exec_lo
                                        ; implicit-def: $vgpr2_vgpr3
                                        ; implicit-def: $sgpr4
	v_dual_cndmask_b32 v29, 0, v27 :: v_dual_cndmask_b32 v28, 56, v26
	v_cmpx_gt_u64_e32 8, v[26:27]
	s_xor_b32 s1, exec_lo, s1
	s_cbranch_execz .LBB1_286
; %bb.281:                              ;   in Loop: Header=BB1_280 Depth=1
	s_waitcnt vmcnt(0)
	v_mov_b32_e32 v2, 0
	v_mov_b32_e32 v3, 0
	s_mov_b64 s[4:5], 0
	s_mov_b32 s6, exec_lo
	v_cmpx_ne_u64_e32 0, v[26:27]
	s_cbranch_execz .LBB1_285
; %bb.282:                              ;   in Loop: Header=BB1_280 Depth=1
	v_lshlrev_b64 v[10:11], 3, v[28:29]
	v_mov_b32_e32 v2, 0
	v_dual_mov_b32 v3, 0 :: v_dual_mov_b32 v12, v5
	v_mov_b32_e32 v11, v4
	s_mov_b32 s7, 0
	.p2align	6
.LBB1_283:                              ;   Parent Loop BB1_280 Depth=1
                                        ; =>  This Inner Loop Header: Depth=2
	flat_load_u8 v6, v[11:12]
	v_mov_b32_e32 v14, s12
	v_add_co_u32 v11, vcc_lo, v11, 1
	v_add_co_ci_u32_e32 v12, vcc_lo, 0, v12, vcc_lo
	s_waitcnt vmcnt(0) lgkmcnt(0)
	v_and_b32_e32 v13, 0xffff, v6
	s_delay_alu instid0(VALU_DEP_1) | instskip(SKIP_3) | instid1(VALU_DEP_2)
	v_lshlrev_b64 v[13:14], s4, v[13:14]
	s_add_u32 s4, s4, 8
	s_addc_u32 s5, s5, 0
	v_cmp_eq_u32_e64 s0, s4, v10
	v_or_b32_e32 v3, v14, v3
	s_delay_alu instid0(VALU_DEP_3) | instskip(NEXT) | instid1(VALU_DEP_3)
	v_or_b32_e32 v2, v13, v2
	s_or_b32 s7, s0, s7
	s_delay_alu instid0(SALU_CYCLE_1)
	s_and_not1_b32 exec_lo, exec_lo, s7
	s_cbranch_execnz .LBB1_283
; %bb.284:                              ;   in Loop: Header=BB1_280 Depth=1
	s_or_b32 exec_lo, exec_lo, s7
.LBB1_285:                              ;   in Loop: Header=BB1_280 Depth=1
	s_delay_alu instid0(SALU_CYCLE_1)
	s_or_b32 exec_lo, exec_lo, s6
	s_mov_b32 s4, 0
.LBB1_286:                              ;   in Loop: Header=BB1_280 Depth=1
	s_or_saveexec_b32 s0, s1
	v_dual_mov_b32 v6, s4 :: v_dual_mov_b32 v23, v5
	v_mov_b32_e32 v22, v4
	s_xor_b32 exec_lo, exec_lo, s0
	s_cbranch_execz .LBB1_288
; %bb.287:                              ;   in Loop: Header=BB1_280 Depth=1
	s_waitcnt vmcnt(0)
	flat_load_b64 v[2:3], v[4:5]
	v_add_co_u32 v22, vcc_lo, v4, 8
	v_add_co_ci_u32_e32 v23, vcc_lo, 0, v5, vcc_lo
	s_waitcnt vmcnt(0) lgkmcnt(0)
	v_and_b32_e32 v6, 0xff, v3
	v_and_b32_e32 v10, 0xff00, v3
	;; [unrolled: 1-line block ×4, first 2 shown]
	v_or3_b32 v2, v2, 0, 0
	s_delay_alu instid0(VALU_DEP_4) | instskip(SKIP_1) | instid1(VALU_DEP_2)
	v_or_b32_e32 v10, v6, v10
	v_add_nc_u32_e32 v6, -8, v28
	v_or3_b32 v3, v10, v11, v3
.LBB1_288:                              ;   in Loop: Header=BB1_280 Depth=1
	s_or_b32 exec_lo, exec_lo, s0
                                        ; implicit-def: $vgpr10_vgpr11
                                        ; implicit-def: $sgpr1
	s_delay_alu instid0(SALU_CYCLE_1) | instskip(NEXT) | instid1(VALU_DEP_2)
	s_mov_b32 s0, exec_lo
	v_cmpx_gt_u32_e32 8, v6
	s_xor_b32 s6, exec_lo, s0
	s_cbranch_execz .LBB1_294
; %bb.289:                              ;   in Loop: Header=BB1_280 Depth=1
	v_mov_b32_e32 v10, 0
	v_mov_b32_e32 v11, 0
	s_mov_b32 s7, exec_lo
	v_cmpx_ne_u32_e32 0, v6
	s_cbranch_execz .LBB1_293
; %bb.290:                              ;   in Loop: Header=BB1_280 Depth=1
	v_mov_b32_e32 v10, 0
	v_mov_b32_e32 v11, 0
	s_mov_b64 s[0:1], 0
	s_mov_b32 s13, 0
	s_mov_b64 s[4:5], 0
	.p2align	6
.LBB1_291:                              ;   Parent Loop BB1_280 Depth=1
                                        ; =>  This Inner Loop Header: Depth=2
	s_delay_alu instid0(SALU_CYCLE_1)
	v_add_co_u32 v12, vcc_lo, v22, s4
	v_add_co_ci_u32_e32 v13, vcc_lo, s5, v23, vcc_lo
	s_add_u32 s4, s4, 1
	s_addc_u32 s5, s5, 0
	v_cmp_eq_u32_e32 vcc_lo, s4, v6
	flat_load_u8 v12, v[12:13]
	s_waitcnt vmcnt(0) lgkmcnt(0)
	v_dual_mov_b32 v13, s12 :: v_dual_and_b32 v12, 0xffff, v12
	s_delay_alu instid0(VALU_DEP_1) | instskip(SKIP_3) | instid1(VALU_DEP_1)
	v_lshlrev_b64 v[12:13], s0, v[12:13]
	s_add_u32 s0, s0, 8
	s_addc_u32 s1, s1, 0
	s_or_b32 s13, vcc_lo, s13
	v_or_b32_e32 v11, v13, v11
	s_delay_alu instid0(VALU_DEP_2)
	v_or_b32_e32 v10, v12, v10
	s_and_not1_b32 exec_lo, exec_lo, s13
	s_cbranch_execnz .LBB1_291
; %bb.292:                              ;   in Loop: Header=BB1_280 Depth=1
	s_or_b32 exec_lo, exec_lo, s13
.LBB1_293:                              ;   in Loop: Header=BB1_280 Depth=1
	s_delay_alu instid0(SALU_CYCLE_1)
	s_or_b32 exec_lo, exec_lo, s7
	s_mov_b32 s1, 0
                                        ; implicit-def: $vgpr6
.LBB1_294:                              ;   in Loop: Header=BB1_280 Depth=1
	s_or_saveexec_b32 s0, s6
	v_mov_b32_e32 v14, s1
	s_xor_b32 exec_lo, exec_lo, s0
	s_cbranch_execz .LBB1_296
; %bb.295:                              ;   in Loop: Header=BB1_280 Depth=1
	flat_load_b64 v[10:11], v[22:23]
	v_add_co_u32 v22, vcc_lo, v22, 8
	v_add_nc_u32_e32 v14, -8, v6
	v_add_co_ci_u32_e32 v23, vcc_lo, 0, v23, vcc_lo
	s_waitcnt vmcnt(0) lgkmcnt(0)
	v_and_b32_e32 v12, 0xff, v11
	v_and_b32_e32 v13, 0xff00, v11
	;; [unrolled: 1-line block ×4, first 2 shown]
	v_or3_b32 v10, v10, 0, 0
	s_delay_alu instid0(VALU_DEP_4) | instskip(NEXT) | instid1(VALU_DEP_1)
	v_or_b32_e32 v12, v12, v13
	v_or3_b32 v11, v12, v15, v11
.LBB1_296:                              ;   in Loop: Header=BB1_280 Depth=1
	s_or_b32 exec_lo, exec_lo, s0
                                        ; implicit-def: $sgpr1
	s_delay_alu instid0(SALU_CYCLE_1)
	s_mov_b32 s0, exec_lo
	v_cmpx_gt_u32_e32 8, v14
	s_xor_b32 s6, exec_lo, s0
	s_cbranch_execz .LBB1_302
; %bb.297:                              ;   in Loop: Header=BB1_280 Depth=1
	v_mov_b32_e32 v12, 0
	v_mov_b32_e32 v13, 0
	s_mov_b32 s7, exec_lo
	v_cmpx_ne_u32_e32 0, v14
	s_cbranch_execz .LBB1_301
; %bb.298:                              ;   in Loop: Header=BB1_280 Depth=1
	v_mov_b32_e32 v12, 0
	v_mov_b32_e32 v13, 0
	s_mov_b64 s[0:1], 0
	s_mov_b32 s13, 0
	s_mov_b64 s[4:5], 0
	.p2align	6
.LBB1_299:                              ;   Parent Loop BB1_280 Depth=1
                                        ; =>  This Inner Loop Header: Depth=2
	s_delay_alu instid0(SALU_CYCLE_1)
	v_add_co_u32 v15, vcc_lo, v22, s4
	v_add_co_ci_u32_e32 v16, vcc_lo, s5, v23, vcc_lo
	s_add_u32 s4, s4, 1
	s_addc_u32 s5, s5, 0
	v_cmp_eq_u32_e32 vcc_lo, s4, v14
	flat_load_u8 v6, v[15:16]
	s_waitcnt vmcnt(0) lgkmcnt(0)
	v_dual_mov_b32 v16, s12 :: v_dual_and_b32 v15, 0xffff, v6
	s_delay_alu instid0(VALU_DEP_1) | instskip(SKIP_3) | instid1(VALU_DEP_1)
	v_lshlrev_b64 v[15:16], s0, v[15:16]
	s_add_u32 s0, s0, 8
	s_addc_u32 s1, s1, 0
	s_or_b32 s13, vcc_lo, s13
	v_or_b32_e32 v13, v16, v13
	s_delay_alu instid0(VALU_DEP_2)
	v_or_b32_e32 v12, v15, v12
	s_and_not1_b32 exec_lo, exec_lo, s13
	s_cbranch_execnz .LBB1_299
; %bb.300:                              ;   in Loop: Header=BB1_280 Depth=1
	s_or_b32 exec_lo, exec_lo, s13
.LBB1_301:                              ;   in Loop: Header=BB1_280 Depth=1
	s_delay_alu instid0(SALU_CYCLE_1)
	s_or_b32 exec_lo, exec_lo, s7
	s_mov_b32 s1, 0
                                        ; implicit-def: $vgpr14
.LBB1_302:                              ;   in Loop: Header=BB1_280 Depth=1
	s_or_saveexec_b32 s0, s6
	v_mov_b32_e32 v6, s1
	s_xor_b32 exec_lo, exec_lo, s0
	s_cbranch_execz .LBB1_304
; %bb.303:                              ;   in Loop: Header=BB1_280 Depth=1
	flat_load_b64 v[12:13], v[22:23]
	v_add_co_u32 v22, vcc_lo, v22, 8
	v_add_co_ci_u32_e32 v23, vcc_lo, 0, v23, vcc_lo
	s_waitcnt vmcnt(0) lgkmcnt(0)
	v_and_b32_e32 v6, 0xff, v13
	v_and_b32_e32 v15, 0xff00, v13
	;; [unrolled: 1-line block ×4, first 2 shown]
	v_or3_b32 v12, v12, 0, 0
	s_delay_alu instid0(VALU_DEP_4) | instskip(SKIP_1) | instid1(VALU_DEP_2)
	v_or_b32_e32 v15, v6, v15
	v_add_nc_u32_e32 v6, -8, v14
	v_or3_b32 v13, v15, v16, v13
.LBB1_304:                              ;   in Loop: Header=BB1_280 Depth=1
	s_or_b32 exec_lo, exec_lo, s0
                                        ; implicit-def: $vgpr14_vgpr15
                                        ; implicit-def: $sgpr1
	s_delay_alu instid0(SALU_CYCLE_1) | instskip(NEXT) | instid1(VALU_DEP_1)
	s_mov_b32 s0, exec_lo
	v_cmpx_gt_u32_e32 8, v6
	s_xor_b32 s6, exec_lo, s0
	s_cbranch_execz .LBB1_310
; %bb.305:                              ;   in Loop: Header=BB1_280 Depth=1
	v_mov_b32_e32 v14, 0
	v_mov_b32_e32 v15, 0
	s_mov_b32 s7, exec_lo
	v_cmpx_ne_u32_e32 0, v6
	s_cbranch_execz .LBB1_309
; %bb.306:                              ;   in Loop: Header=BB1_280 Depth=1
	v_mov_b32_e32 v14, 0
	v_mov_b32_e32 v15, 0
	s_mov_b64 s[0:1], 0
	s_mov_b32 s13, 0
	s_mov_b64 s[4:5], 0
	.p2align	6
.LBB1_307:                              ;   Parent Loop BB1_280 Depth=1
                                        ; =>  This Inner Loop Header: Depth=2
	s_delay_alu instid0(SALU_CYCLE_1)
	v_add_co_u32 v16, vcc_lo, v22, s4
	v_add_co_ci_u32_e32 v17, vcc_lo, s5, v23, vcc_lo
	s_add_u32 s4, s4, 1
	s_addc_u32 s5, s5, 0
	v_cmp_eq_u32_e32 vcc_lo, s4, v6
	flat_load_u8 v16, v[16:17]
	s_waitcnt vmcnt(0) lgkmcnt(0)
	v_dual_mov_b32 v17, s12 :: v_dual_and_b32 v16, 0xffff, v16
	s_delay_alu instid0(VALU_DEP_1) | instskip(SKIP_3) | instid1(VALU_DEP_1)
	v_lshlrev_b64 v[16:17], s0, v[16:17]
	s_add_u32 s0, s0, 8
	s_addc_u32 s1, s1, 0
	s_or_b32 s13, vcc_lo, s13
	v_or_b32_e32 v15, v17, v15
	s_delay_alu instid0(VALU_DEP_2)
	v_or_b32_e32 v14, v16, v14
	s_and_not1_b32 exec_lo, exec_lo, s13
	s_cbranch_execnz .LBB1_307
; %bb.308:                              ;   in Loop: Header=BB1_280 Depth=1
	s_or_b32 exec_lo, exec_lo, s13
.LBB1_309:                              ;   in Loop: Header=BB1_280 Depth=1
	s_delay_alu instid0(SALU_CYCLE_1)
	s_or_b32 exec_lo, exec_lo, s7
	s_mov_b32 s1, 0
                                        ; implicit-def: $vgpr6
.LBB1_310:                              ;   in Loop: Header=BB1_280 Depth=1
	s_or_saveexec_b32 s0, s6
	v_mov_b32_e32 v18, s1
	s_xor_b32 exec_lo, exec_lo, s0
	s_cbranch_execz .LBB1_312
; %bb.311:                              ;   in Loop: Header=BB1_280 Depth=1
	flat_load_b64 v[14:15], v[22:23]
	v_add_co_u32 v22, vcc_lo, v22, 8
	v_add_nc_u32_e32 v18, -8, v6
	v_add_co_ci_u32_e32 v23, vcc_lo, 0, v23, vcc_lo
	s_waitcnt vmcnt(0) lgkmcnt(0)
	v_and_b32_e32 v16, 0xff, v15
	v_and_b32_e32 v17, 0xff00, v15
	;; [unrolled: 1-line block ×4, first 2 shown]
	v_or3_b32 v14, v14, 0, 0
	s_delay_alu instid0(VALU_DEP_4) | instskip(NEXT) | instid1(VALU_DEP_1)
	v_or_b32_e32 v16, v16, v17
	v_or3_b32 v15, v16, v19, v15
.LBB1_312:                              ;   in Loop: Header=BB1_280 Depth=1
	s_or_b32 exec_lo, exec_lo, s0
                                        ; implicit-def: $sgpr1
	s_delay_alu instid0(SALU_CYCLE_1)
	s_mov_b32 s0, exec_lo
	v_cmpx_gt_u32_e32 8, v18
	s_xor_b32 s6, exec_lo, s0
	s_cbranch_execz .LBB1_318
; %bb.313:                              ;   in Loop: Header=BB1_280 Depth=1
	v_mov_b32_e32 v16, 0
	v_mov_b32_e32 v17, 0
	s_mov_b32 s7, exec_lo
	v_cmpx_ne_u32_e32 0, v18
	s_cbranch_execz .LBB1_317
; %bb.314:                              ;   in Loop: Header=BB1_280 Depth=1
	v_mov_b32_e32 v16, 0
	v_mov_b32_e32 v17, 0
	s_mov_b64 s[0:1], 0
	s_mov_b32 s13, 0
	s_mov_b64 s[4:5], 0
	.p2align	6
.LBB1_315:                              ;   Parent Loop BB1_280 Depth=1
                                        ; =>  This Inner Loop Header: Depth=2
	s_delay_alu instid0(SALU_CYCLE_1)
	v_add_co_u32 v19, vcc_lo, v22, s4
	v_add_co_ci_u32_e32 v20, vcc_lo, s5, v23, vcc_lo
	s_add_u32 s4, s4, 1
	s_addc_u32 s5, s5, 0
	v_cmp_eq_u32_e32 vcc_lo, s4, v18
	flat_load_u8 v6, v[19:20]
	s_waitcnt vmcnt(0) lgkmcnt(0)
	v_dual_mov_b32 v20, s12 :: v_dual_and_b32 v19, 0xffff, v6
	s_delay_alu instid0(VALU_DEP_1) | instskip(SKIP_3) | instid1(VALU_DEP_1)
	v_lshlrev_b64 v[19:20], s0, v[19:20]
	s_add_u32 s0, s0, 8
	s_addc_u32 s1, s1, 0
	s_or_b32 s13, vcc_lo, s13
	v_or_b32_e32 v17, v20, v17
	s_delay_alu instid0(VALU_DEP_2)
	v_or_b32_e32 v16, v19, v16
	s_and_not1_b32 exec_lo, exec_lo, s13
	s_cbranch_execnz .LBB1_315
; %bb.316:                              ;   in Loop: Header=BB1_280 Depth=1
	s_or_b32 exec_lo, exec_lo, s13
.LBB1_317:                              ;   in Loop: Header=BB1_280 Depth=1
	s_delay_alu instid0(SALU_CYCLE_1)
	s_or_b32 exec_lo, exec_lo, s7
	s_mov_b32 s1, 0
                                        ; implicit-def: $vgpr18
.LBB1_318:                              ;   in Loop: Header=BB1_280 Depth=1
	s_or_saveexec_b32 s0, s6
	v_mov_b32_e32 v6, s1
	s_xor_b32 exec_lo, exec_lo, s0
	s_cbranch_execz .LBB1_320
; %bb.319:                              ;   in Loop: Header=BB1_280 Depth=1
	flat_load_b64 v[16:17], v[22:23]
	v_add_co_u32 v22, vcc_lo, v22, 8
	v_add_co_ci_u32_e32 v23, vcc_lo, 0, v23, vcc_lo
	s_waitcnt vmcnt(0) lgkmcnt(0)
	v_and_b32_e32 v6, 0xff, v17
	v_and_b32_e32 v19, 0xff00, v17
	v_and_b32_e32 v20, 0xff0000, v17
	v_and_b32_e32 v17, 0xff000000, v17
	v_or3_b32 v16, v16, 0, 0
	s_delay_alu instid0(VALU_DEP_4) | instskip(SKIP_1) | instid1(VALU_DEP_2)
	v_or_b32_e32 v19, v6, v19
	v_add_nc_u32_e32 v6, -8, v18
	v_or3_b32 v17, v19, v20, v17
.LBB1_320:                              ;   in Loop: Header=BB1_280 Depth=1
	s_or_b32 exec_lo, exec_lo, s0
                                        ; implicit-def: $vgpr18_vgpr19
                                        ; implicit-def: $sgpr1
	s_delay_alu instid0(SALU_CYCLE_1) | instskip(NEXT) | instid1(VALU_DEP_1)
	s_mov_b32 s0, exec_lo
	v_cmpx_gt_u32_e32 8, v6
	s_xor_b32 s6, exec_lo, s0
	s_cbranch_execz .LBB1_326
; %bb.321:                              ;   in Loop: Header=BB1_280 Depth=1
	v_mov_b32_e32 v18, 0
	v_mov_b32_e32 v19, 0
	s_mov_b32 s7, exec_lo
	v_cmpx_ne_u32_e32 0, v6
	s_cbranch_execz .LBB1_325
; %bb.322:                              ;   in Loop: Header=BB1_280 Depth=1
	v_mov_b32_e32 v18, 0
	v_mov_b32_e32 v19, 0
	s_mov_b64 s[0:1], 0
	s_mov_b32 s13, 0
	s_mov_b64 s[4:5], 0
	.p2align	6
.LBB1_323:                              ;   Parent Loop BB1_280 Depth=1
                                        ; =>  This Inner Loop Header: Depth=2
	s_delay_alu instid0(SALU_CYCLE_1)
	v_add_co_u32 v20, vcc_lo, v22, s4
	v_add_co_ci_u32_e32 v21, vcc_lo, s5, v23, vcc_lo
	s_add_u32 s4, s4, 1
	s_addc_u32 s5, s5, 0
	v_cmp_eq_u32_e32 vcc_lo, s4, v6
	flat_load_u8 v20, v[20:21]
	s_waitcnt vmcnt(0) lgkmcnt(0)
	v_dual_mov_b32 v21, s12 :: v_dual_and_b32 v20, 0xffff, v20
	s_delay_alu instid0(VALU_DEP_1) | instskip(SKIP_3) | instid1(VALU_DEP_1)
	v_lshlrev_b64 v[20:21], s0, v[20:21]
	s_add_u32 s0, s0, 8
	s_addc_u32 s1, s1, 0
	s_or_b32 s13, vcc_lo, s13
	v_or_b32_e32 v19, v21, v19
	s_delay_alu instid0(VALU_DEP_2)
	v_or_b32_e32 v18, v20, v18
	s_and_not1_b32 exec_lo, exec_lo, s13
	s_cbranch_execnz .LBB1_323
; %bb.324:                              ;   in Loop: Header=BB1_280 Depth=1
	s_or_b32 exec_lo, exec_lo, s13
.LBB1_325:                              ;   in Loop: Header=BB1_280 Depth=1
	s_delay_alu instid0(SALU_CYCLE_1)
	s_or_b32 exec_lo, exec_lo, s7
	s_mov_b32 s1, 0
                                        ; implicit-def: $vgpr6
.LBB1_326:                              ;   in Loop: Header=BB1_280 Depth=1
	s_or_saveexec_b32 s0, s6
	v_mov_b32_e32 v24, s1
	s_xor_b32 exec_lo, exec_lo, s0
	s_cbranch_execz .LBB1_328
; %bb.327:                              ;   in Loop: Header=BB1_280 Depth=1
	flat_load_b64 v[18:19], v[22:23]
	v_add_co_u32 v22, vcc_lo, v22, 8
	v_add_nc_u32_e32 v24, -8, v6
	v_add_co_ci_u32_e32 v23, vcc_lo, 0, v23, vcc_lo
	s_waitcnt vmcnt(0) lgkmcnt(0)
	v_and_b32_e32 v20, 0xff, v19
	v_and_b32_e32 v21, 0xff00, v19
	;; [unrolled: 1-line block ×4, first 2 shown]
	v_or3_b32 v18, v18, 0, 0
	s_delay_alu instid0(VALU_DEP_4) | instskip(NEXT) | instid1(VALU_DEP_1)
	v_or_b32_e32 v20, v20, v21
	v_or3_b32 v19, v20, v25, v19
.LBB1_328:                              ;   in Loop: Header=BB1_280 Depth=1
	s_or_b32 exec_lo, exec_lo, s0
	s_delay_alu instid0(SALU_CYCLE_1)
	s_mov_b32 s0, exec_lo
	v_cmpx_gt_u32_e32 8, v24
	s_xor_b32 s4, exec_lo, s0
	s_cbranch_execz .LBB1_334
; %bb.329:                              ;   in Loop: Header=BB1_280 Depth=1
	v_mov_b32_e32 v20, 0
	v_mov_b32_e32 v21, 0
	s_mov_b32 s5, exec_lo
	v_cmpx_ne_u32_e32 0, v24
	s_cbranch_execz .LBB1_333
; %bb.330:                              ;   in Loop: Header=BB1_280 Depth=1
	v_mov_b32_e32 v20, 0
	v_mov_b32_e32 v21, 0
	s_mov_b64 s[0:1], 0
	s_mov_b32 s6, 0
	.p2align	6
.LBB1_331:                              ;   Parent Loop BB1_280 Depth=1
                                        ; =>  This Inner Loop Header: Depth=2
	flat_load_u8 v6, v[22:23]
	v_dual_mov_b32 v31, s12 :: v_dual_add_nc_u32 v24, -1, v24
	v_add_co_u32 v22, vcc_lo, v22, 1
	v_add_co_ci_u32_e32 v23, vcc_lo, 0, v23, vcc_lo
	s_delay_alu instid0(VALU_DEP_3) | instskip(SKIP_2) | instid1(VALU_DEP_1)
	v_cmp_eq_u32_e32 vcc_lo, 0, v24
	s_waitcnt vmcnt(0) lgkmcnt(0)
	v_and_b32_e32 v30, 0xffff, v6
	v_lshlrev_b64 v[30:31], s0, v[30:31]
	s_add_u32 s0, s0, 8
	s_addc_u32 s1, s1, 0
	s_or_b32 s6, vcc_lo, s6
	s_delay_alu instid0(VALU_DEP_1) | instskip(NEXT) | instid1(VALU_DEP_2)
	v_or_b32_e32 v21, v31, v21
	v_or_b32_e32 v20, v30, v20
	s_and_not1_b32 exec_lo, exec_lo, s6
	s_cbranch_execnz .LBB1_331
; %bb.332:                              ;   in Loop: Header=BB1_280 Depth=1
	s_or_b32 exec_lo, exec_lo, s6
.LBB1_333:                              ;   in Loop: Header=BB1_280 Depth=1
	s_delay_alu instid0(SALU_CYCLE_1)
	s_or_b32 exec_lo, exec_lo, s5
                                        ; implicit-def: $vgpr22_vgpr23
.LBB1_334:                              ;   in Loop: Header=BB1_280 Depth=1
	s_and_not1_saveexec_b32 s0, s4
	s_cbranch_execz .LBB1_336
; %bb.335:                              ;   in Loop: Header=BB1_280 Depth=1
	flat_load_b64 v[20:21], v[22:23]
	s_waitcnt vmcnt(0) lgkmcnt(0)
	v_and_b32_e32 v6, 0xff, v21
	v_and_b32_e32 v22, 0xff00, v21
	;; [unrolled: 1-line block ×4, first 2 shown]
	v_or3_b32 v20, v20, 0, 0
	s_delay_alu instid0(VALU_DEP_4) | instskip(NEXT) | instid1(VALU_DEP_1)
	v_or_b32_e32 v6, v6, v22
	v_or3_b32 v21, v6, v23, v21
.LBB1_336:                              ;   in Loop: Header=BB1_280 Depth=1
	s_or_b32 exec_lo, exec_lo, s0
	v_readfirstlane_b32 s0, v35
	v_mov_b32_e32 v30, 0
	v_mov_b32_e32 v31, 0
	s_delay_alu instid0(VALU_DEP_3) | instskip(NEXT) | instid1(VALU_DEP_1)
	v_cmp_eq_u32_e64 s0, s0, v35
	s_and_saveexec_b32 s1, s0
	s_cbranch_execz .LBB1_342
; %bb.337:                              ;   in Loop: Header=BB1_280 Depth=1
	global_load_b64 v[24:25], v7, s[2:3] offset:24 glc
	s_waitcnt vmcnt(0)
	buffer_gl1_inv
	buffer_gl0_inv
	s_clause 0x1
	global_load_b64 v[22:23], v7, s[2:3] offset:40
	global_load_b64 v[30:31], v7, s[2:3]
	s_mov_b32 s4, exec_lo
	s_waitcnt vmcnt(1)
	v_and_b32_e32 v6, v23, v25
	v_and_b32_e32 v22, v22, v24
	s_delay_alu instid0(VALU_DEP_2) | instskip(NEXT) | instid1(VALU_DEP_2)
	v_mul_lo_u32 v6, v6, 24
	v_mul_hi_u32 v23, v22, 24
	v_mul_lo_u32 v22, v22, 24
	s_delay_alu instid0(VALU_DEP_2) | instskip(SKIP_1) | instid1(VALU_DEP_2)
	v_add_nc_u32_e32 v6, v23, v6
	s_waitcnt vmcnt(0)
	v_add_co_u32 v22, vcc_lo, v30, v22
	s_delay_alu instid0(VALU_DEP_2)
	v_add_co_ci_u32_e32 v23, vcc_lo, v31, v6, vcc_lo
	global_load_b64 v[22:23], v[22:23], off glc
	s_waitcnt vmcnt(0)
	global_atomic_cmpswap_b64 v[30:31], v7, v[22:25], s[2:3] offset:24 glc
	s_waitcnt vmcnt(0)
	buffer_gl1_inv
	buffer_gl0_inv
	v_cmpx_ne_u64_e64 v[30:31], v[24:25]
	s_cbranch_execz .LBB1_341
; %bb.338:                              ;   in Loop: Header=BB1_280 Depth=1
	s_mov_b32 s5, 0
	.p2align	6
.LBB1_339:                              ;   Parent Loop BB1_280 Depth=1
                                        ; =>  This Inner Loop Header: Depth=2
	s_sleep 1
	s_clause 0x1
	global_load_b64 v[22:23], v7, s[2:3] offset:40
	global_load_b64 v[36:37], v7, s[2:3]
	v_dual_mov_b32 v24, v30 :: v_dual_mov_b32 v25, v31
	s_waitcnt vmcnt(1)
	s_delay_alu instid0(VALU_DEP_1) | instskip(NEXT) | instid1(VALU_DEP_2)
	v_and_b32_e32 v6, v22, v24
	v_and_b32_e32 v33, v23, v25
	s_waitcnt vmcnt(0)
	s_delay_alu instid0(VALU_DEP_2) | instskip(NEXT) | instid1(VALU_DEP_1)
	v_mad_u64_u32 v[30:31], null, v6, 24, v[36:37]
	v_mov_b32_e32 v6, v31
	s_delay_alu instid0(VALU_DEP_1) | instskip(NEXT) | instid1(VALU_DEP_1)
	v_mad_u64_u32 v[22:23], null, v33, 24, v[6:7]
	v_mov_b32_e32 v31, v22
	global_load_b64 v[22:23], v[30:31], off glc
	s_waitcnt vmcnt(0)
	global_atomic_cmpswap_b64 v[30:31], v7, v[22:25], s[2:3] offset:24 glc
	s_waitcnt vmcnt(0)
	buffer_gl1_inv
	buffer_gl0_inv
	v_cmp_eq_u64_e32 vcc_lo, v[30:31], v[24:25]
	s_or_b32 s5, vcc_lo, s5
	s_delay_alu instid0(SALU_CYCLE_1)
	s_and_not1_b32 exec_lo, exec_lo, s5
	s_cbranch_execnz .LBB1_339
; %bb.340:                              ;   in Loop: Header=BB1_280 Depth=1
	s_or_b32 exec_lo, exec_lo, s5
.LBB1_341:                              ;   in Loop: Header=BB1_280 Depth=1
	s_delay_alu instid0(SALU_CYCLE_1)
	s_or_b32 exec_lo, exec_lo, s4
.LBB1_342:                              ;   in Loop: Header=BB1_280 Depth=1
	s_delay_alu instid0(SALU_CYCLE_1)
	s_or_b32 exec_lo, exec_lo, s1
	s_clause 0x1
	global_load_b64 v[36:37], v7, s[2:3] offset:40
	global_load_b128 v[22:25], v7, s[2:3]
	v_readfirstlane_b32 s4, v30
	v_readfirstlane_b32 s5, v31
	s_mov_b32 s1, exec_lo
	s_waitcnt vmcnt(1)
	v_readfirstlane_b32 s6, v36
	v_readfirstlane_b32 s7, v37
	s_delay_alu instid0(VALU_DEP_1) | instskip(NEXT) | instid1(SALU_CYCLE_1)
	s_and_b64 s[6:7], s[4:5], s[6:7]
	s_mul_i32 s13, s7, 24
	s_mul_hi_u32 s14, s6, 24
	s_mul_i32 s15, s6, 24
	s_add_i32 s14, s14, s13
	s_waitcnt vmcnt(0)
	v_add_co_u32 v30, vcc_lo, v22, s15
	v_add_co_ci_u32_e32 v31, vcc_lo, s14, v23, vcc_lo
	s_and_saveexec_b32 s13, s0
	s_cbranch_execz .LBB1_344
; %bb.343:                              ;   in Loop: Header=BB1_280 Depth=1
	v_mov_b32_e32 v6, s1
	global_store_b128 v[30:31], v[6:9], off offset:8
.LBB1_344:                              ;   in Loop: Header=BB1_280 Depth=1
	s_or_b32 exec_lo, exec_lo, s13
	v_cmp_lt_u64_e32 vcc_lo, 56, v[26:27]
	v_or_b32_e32 v6, 0, v1
	v_or_b32_e32 v33, v0, v32
	v_lshl_add_u32 v36, v28, 2, 28
	s_lshl_b64 s[6:7], s[6:7], 12
	s_delay_alu instid0(SALU_CYCLE_1) | instskip(NEXT) | instid1(VALU_DEP_1)
	v_add_co_u32 v24, s1, v24, s6
	v_add_co_ci_u32_e64 v25, s1, s7, v25, s1
	v_dual_cndmask_b32 v1, v6, v1 :: v_dual_cndmask_b32 v0, v33, v0
	v_and_b32_e32 v6, 0x1e0, v36
	s_delay_alu instid0(VALU_DEP_4) | instskip(NEXT) | instid1(VALU_DEP_4)
	v_readfirstlane_b32 s6, v24
	v_readfirstlane_b32 s7, v25
	s_delay_alu instid0(VALU_DEP_3)
	v_and_or_b32 v0, 0xffffff1f, v0, v6
	s_clause 0x3
	global_store_b128 v34, v[0:3], s[6:7]
	global_store_b128 v34, v[10:13], s[6:7] offset:16
	global_store_b128 v34, v[14:17], s[6:7] offset:32
	;; [unrolled: 1-line block ×3, first 2 shown]
	s_and_saveexec_b32 s1, s0
	s_cbranch_execz .LBB1_352
; %bb.345:                              ;   in Loop: Header=BB1_280 Depth=1
	s_clause 0x1
	global_load_b64 v[14:15], v7, s[2:3] offset:32 glc
	global_load_b64 v[0:1], v7, s[2:3] offset:40
	v_dual_mov_b32 v12, s4 :: v_dual_mov_b32 v13, s5
	s_waitcnt vmcnt(0)
	v_readfirstlane_b32 s6, v0
	v_readfirstlane_b32 s7, v1
	s_delay_alu instid0(VALU_DEP_1) | instskip(NEXT) | instid1(SALU_CYCLE_1)
	s_and_b64 s[6:7], s[6:7], s[4:5]
	s_mul_i32 s7, s7, 24
	s_mul_hi_u32 s13, s6, 24
	s_mul_i32 s6, s6, 24
	s_add_i32 s13, s13, s7
	v_add_co_u32 v10, vcc_lo, v22, s6
	v_add_co_ci_u32_e32 v11, vcc_lo, s13, v23, vcc_lo
	s_mov_b32 s6, exec_lo
	global_store_b64 v[10:11], v[14:15], off
	s_waitcnt_vscnt null, 0x0
	global_atomic_cmpswap_b64 v[2:3], v7, v[12:15], s[2:3] offset:32 glc
	s_waitcnt vmcnt(0)
	v_cmpx_ne_u64_e64 v[2:3], v[14:15]
	s_cbranch_execz .LBB1_348
; %bb.346:                              ;   in Loop: Header=BB1_280 Depth=1
	s_mov_b32 s7, 0
.LBB1_347:                              ;   Parent Loop BB1_280 Depth=1
                                        ; =>  This Inner Loop Header: Depth=2
	v_dual_mov_b32 v0, s4 :: v_dual_mov_b32 v1, s5
	s_sleep 1
	global_store_b64 v[10:11], v[2:3], off
	s_waitcnt_vscnt null, 0x0
	global_atomic_cmpswap_b64 v[0:1], v7, v[0:3], s[2:3] offset:32 glc
	s_waitcnt vmcnt(0)
	v_cmp_eq_u64_e32 vcc_lo, v[0:1], v[2:3]
	v_dual_mov_b32 v3, v1 :: v_dual_mov_b32 v2, v0
	s_or_b32 s7, vcc_lo, s7
	s_delay_alu instid0(SALU_CYCLE_1)
	s_and_not1_b32 exec_lo, exec_lo, s7
	s_cbranch_execnz .LBB1_347
.LBB1_348:                              ;   in Loop: Header=BB1_280 Depth=1
	s_or_b32 exec_lo, exec_lo, s6
	global_load_b64 v[0:1], v7, s[2:3] offset:16
	s_mov_b32 s7, exec_lo
	s_mov_b32 s6, exec_lo
	v_mbcnt_lo_u32_b32 v2, s7, 0
	s_delay_alu instid0(VALU_DEP_1)
	v_cmpx_eq_u32_e32 0, v2
	s_cbranch_execz .LBB1_350
; %bb.349:                              ;   in Loop: Header=BB1_280 Depth=1
	s_bcnt1_i32_b32 s7, s7
	s_delay_alu instid0(SALU_CYCLE_1)
	v_mov_b32_e32 v6, s7
	s_waitcnt vmcnt(0)
	global_atomic_add_u64 v[0:1], v[6:7], off offset:8
.LBB1_350:                              ;   in Loop: Header=BB1_280 Depth=1
	s_or_b32 exec_lo, exec_lo, s6
	s_waitcnt vmcnt(0)
	global_load_b64 v[2:3], v[0:1], off offset:16
	s_waitcnt vmcnt(0)
	v_cmp_eq_u64_e32 vcc_lo, 0, v[2:3]
	s_cbranch_vccnz .LBB1_352
; %bb.351:                              ;   in Loop: Header=BB1_280 Depth=1
	global_load_b32 v6, v[0:1], off offset:24
	s_waitcnt vmcnt(0)
	v_and_b32_e32 v0, 0xffffff, v6
	s_waitcnt_vscnt null, 0x0
	global_store_b64 v[2:3], v[6:7], off
	v_readfirstlane_b32 m0, v0
	s_sendmsg sendmsg(MSG_INTERRUPT)
.LBB1_352:                              ;   in Loop: Header=BB1_280 Depth=1
	s_or_b32 exec_lo, exec_lo, s1
	v_add_co_u32 v0, vcc_lo, v24, v34
	v_add_co_ci_u32_e32 v1, vcc_lo, 0, v25, vcc_lo
	s_branch .LBB1_356
	.p2align	6
.LBB1_353:                              ;   in Loop: Header=BB1_356 Depth=2
	s_or_b32 exec_lo, exec_lo, s1
	s_delay_alu instid0(VALU_DEP_1) | instskip(NEXT) | instid1(VALU_DEP_1)
	v_readfirstlane_b32 s1, v2
	s_cmp_eq_u32 s1, 0
	s_cbranch_scc1 .LBB1_355
; %bb.354:                              ;   in Loop: Header=BB1_356 Depth=2
	s_sleep 1
	s_cbranch_execnz .LBB1_356
	s_branch .LBB1_358
	.p2align	6
.LBB1_355:                              ;   in Loop: Header=BB1_280 Depth=1
	s_branch .LBB1_358
.LBB1_356:                              ;   Parent Loop BB1_280 Depth=1
                                        ; =>  This Inner Loop Header: Depth=2
	v_mov_b32_e32 v2, 1
	s_and_saveexec_b32 s1, s0
	s_cbranch_execz .LBB1_353
; %bb.357:                              ;   in Loop: Header=BB1_356 Depth=2
	global_load_b32 v2, v[30:31], off offset:20 glc
	s_waitcnt vmcnt(0)
	buffer_gl1_inv
	buffer_gl0_inv
	v_and_b32_e32 v2, 1, v2
	s_branch .LBB1_353
.LBB1_358:                              ;   in Loop: Header=BB1_280 Depth=1
	global_load_b128 v[0:3], v[0:1], off
	s_and_saveexec_b32 s1, s0
	s_cbranch_execz .LBB1_279
; %bb.359:                              ;   in Loop: Header=BB1_280 Depth=1
	s_clause 0x2
	global_load_b64 v[2:3], v7, s[2:3] offset:40
	global_load_b64 v[14:15], v7, s[2:3] offset:24 glc
	global_load_b64 v[12:13], v7, s[2:3]
	s_waitcnt vmcnt(2)
	v_add_co_u32 v6, vcc_lo, v2, 1
	v_add_co_ci_u32_e32 v16, vcc_lo, 0, v3, vcc_lo
	s_delay_alu instid0(VALU_DEP_2) | instskip(NEXT) | instid1(VALU_DEP_2)
	v_add_co_u32 v10, vcc_lo, v6, s4
	v_add_co_ci_u32_e32 v11, vcc_lo, s5, v16, vcc_lo
	s_delay_alu instid0(VALU_DEP_1) | instskip(SKIP_1) | instid1(VALU_DEP_1)
	v_cmp_eq_u64_e32 vcc_lo, 0, v[10:11]
	v_dual_cndmask_b32 v11, v11, v16 :: v_dual_cndmask_b32 v10, v10, v6
	v_and_b32_e32 v3, v11, v3
	s_delay_alu instid0(VALU_DEP_2) | instskip(NEXT) | instid1(VALU_DEP_1)
	v_and_b32_e32 v2, v10, v2
	v_mul_hi_u32 v6, v2, 24
	v_mul_lo_u32 v2, v2, 24
	s_waitcnt vmcnt(0)
	s_delay_alu instid0(VALU_DEP_1) | instskip(SKIP_2) | instid1(VALU_DEP_1)
	v_add_co_u32 v2, vcc_lo, v12, v2
	v_mov_b32_e32 v12, v14
	v_mul_lo_u32 v3, v3, 24
	v_add_nc_u32_e32 v3, v6, v3
	s_delay_alu instid0(VALU_DEP_1)
	v_add_co_ci_u32_e32 v3, vcc_lo, v13, v3, vcc_lo
	v_mov_b32_e32 v13, v15
	global_store_b64 v[2:3], v[14:15], off
	s_waitcnt_vscnt null, 0x0
	global_atomic_cmpswap_b64 v[12:13], v7, v[10:13], s[2:3] offset:24 glc
	s_waitcnt vmcnt(0)
	v_cmp_ne_u64_e32 vcc_lo, v[12:13], v[14:15]
	s_and_b32 exec_lo, exec_lo, vcc_lo
	s_cbranch_execz .LBB1_279
; %bb.360:                              ;   in Loop: Header=BB1_280 Depth=1
	s_mov_b32 s0, 0
.LBB1_361:                              ;   Parent Loop BB1_280 Depth=1
                                        ; =>  This Inner Loop Header: Depth=2
	s_sleep 1
	global_store_b64 v[2:3], v[12:13], off
	s_waitcnt_vscnt null, 0x0
	global_atomic_cmpswap_b64 v[14:15], v7, v[10:13], s[2:3] offset:24 glc
	s_waitcnt vmcnt(0)
	v_cmp_eq_u64_e32 vcc_lo, v[14:15], v[12:13]
	v_dual_mov_b32 v12, v14 :: v_dual_mov_b32 v13, v15
	s_or_b32 s0, vcc_lo, s0
	s_delay_alu instid0(SALU_CYCLE_1)
	s_and_not1_b32 exec_lo, exec_lo, s0
	s_cbranch_execnz .LBB1_361
	s_branch .LBB1_279
.LBB1_362:
	s_or_b32 exec_lo, exec_lo, s11
                                        ; implicit-def: $vgpr34
                                        ; implicit-def: $vgpr35
.LBB1_363:
	s_and_not1_saveexec_b32 s1, s10
	s_cbranch_execz .LBB1_391
; %bb.364:
	v_readfirstlane_b32 s0, v35
	v_mov_b32_e32 v8, 0
	v_mov_b32_e32 v9, 0
	s_delay_alu instid0(VALU_DEP_3) | instskip(NEXT) | instid1(VALU_DEP_1)
	v_cmp_eq_u32_e64 s0, s0, v35
	s_and_saveexec_b32 s4, s0
	s_cbranch_execz .LBB1_370
; %bb.365:
	s_waitcnt vmcnt(0)
	v_mov_b32_e32 v2, 0
	s_mov_b32 s5, exec_lo
	global_load_b64 v[5:6], v2, s[2:3] offset:24 glc
	s_waitcnt vmcnt(0)
	buffer_gl1_inv
	buffer_gl0_inv
	s_clause 0x1
	global_load_b64 v[3:4], v2, s[2:3] offset:40
	global_load_b64 v[7:8], v2, s[2:3]
	s_waitcnt vmcnt(1)
	v_and_b32_e32 v3, v3, v5
	v_and_b32_e32 v4, v4, v6
	s_delay_alu instid0(VALU_DEP_2) | instskip(NEXT) | instid1(VALU_DEP_2)
	v_mul_hi_u32 v9, v3, 24
	v_mul_lo_u32 v4, v4, 24
	v_mul_lo_u32 v3, v3, 24
	s_delay_alu instid0(VALU_DEP_2) | instskip(SKIP_1) | instid1(VALU_DEP_2)
	v_add_nc_u32_e32 v4, v9, v4
	s_waitcnt vmcnt(0)
	v_add_co_u32 v3, vcc_lo, v7, v3
	s_delay_alu instid0(VALU_DEP_2)
	v_add_co_ci_u32_e32 v4, vcc_lo, v8, v4, vcc_lo
	global_load_b64 v[3:4], v[3:4], off glc
	s_waitcnt vmcnt(0)
	global_atomic_cmpswap_b64 v[8:9], v2, v[3:6], s[2:3] offset:24 glc
	s_waitcnt vmcnt(0)
	buffer_gl1_inv
	buffer_gl0_inv
	v_cmpx_ne_u64_e64 v[8:9], v[5:6]
	s_cbranch_execz .LBB1_369
; %bb.366:
	s_mov_b32 s6, 0
	.p2align	6
.LBB1_367:                              ; =>This Inner Loop Header: Depth=1
	s_sleep 1
	s_clause 0x1
	global_load_b64 v[3:4], v2, s[2:3] offset:40
	global_load_b64 v[10:11], v2, s[2:3]
	v_dual_mov_b32 v5, v8 :: v_dual_mov_b32 v6, v9
	s_waitcnt vmcnt(1)
	s_delay_alu instid0(VALU_DEP_1) | instskip(NEXT) | instid1(VALU_DEP_2)
	v_and_b32_e32 v3, v3, v5
	v_and_b32_e32 v4, v4, v6
	s_waitcnt vmcnt(0)
	s_delay_alu instid0(VALU_DEP_2) | instskip(NEXT) | instid1(VALU_DEP_1)
	v_mad_u64_u32 v[7:8], null, v3, 24, v[10:11]
	v_mov_b32_e32 v3, v8
	s_delay_alu instid0(VALU_DEP_1)
	v_mad_u64_u32 v[8:9], null, v4, 24, v[3:4]
	global_load_b64 v[3:4], v[7:8], off glc
	s_waitcnt vmcnt(0)
	global_atomic_cmpswap_b64 v[8:9], v2, v[3:6], s[2:3] offset:24 glc
	s_waitcnt vmcnt(0)
	buffer_gl1_inv
	buffer_gl0_inv
	v_cmp_eq_u64_e32 vcc_lo, v[8:9], v[5:6]
	s_or_b32 s6, vcc_lo, s6
	s_delay_alu instid0(SALU_CYCLE_1)
	s_and_not1_b32 exec_lo, exec_lo, s6
	s_cbranch_execnz .LBB1_367
; %bb.368:
	s_or_b32 exec_lo, exec_lo, s6
.LBB1_369:
	s_delay_alu instid0(SALU_CYCLE_1)
	s_or_b32 exec_lo, exec_lo, s5
.LBB1_370:
	s_delay_alu instid0(SALU_CYCLE_1)
	s_or_b32 exec_lo, exec_lo, s4
	s_waitcnt vmcnt(0)
	v_mov_b32_e32 v2, 0
	v_readfirstlane_b32 s4, v8
	v_readfirstlane_b32 s5, v9
	s_mov_b32 s10, exec_lo
	s_clause 0x1
	global_load_b64 v[10:11], v2, s[2:3] offset:40
	global_load_b128 v[4:7], v2, s[2:3]
	s_waitcnt vmcnt(1)
	v_readfirstlane_b32 s6, v10
	v_readfirstlane_b32 s7, v11
	s_delay_alu instid0(VALU_DEP_1) | instskip(NEXT) | instid1(SALU_CYCLE_1)
	s_and_b64 s[6:7], s[4:5], s[6:7]
	s_mul_i32 s11, s7, 24
	s_mul_hi_u32 s12, s6, 24
	s_mul_i32 s13, s6, 24
	s_add_i32 s12, s12, s11
	s_waitcnt vmcnt(0)
	v_add_co_u32 v8, vcc_lo, v4, s13
	v_add_co_ci_u32_e32 v9, vcc_lo, s12, v5, vcc_lo
	s_and_saveexec_b32 s11, s0
	s_cbranch_execz .LBB1_372
; %bb.371:
	v_dual_mov_b32 v10, s10 :: v_dual_mov_b32 v11, v2
	v_dual_mov_b32 v12, 2 :: v_dual_mov_b32 v13, 1
	global_store_b128 v[8:9], v[10:13], off offset:8
.LBB1_372:
	s_or_b32 exec_lo, exec_lo, s11
	s_lshl_b64 s[6:7], s[6:7], 12
	s_mov_b32 s12, 0
	v_add_co_u32 v6, vcc_lo, v6, s6
	v_add_co_ci_u32_e32 v7, vcc_lo, s7, v7, vcc_lo
	s_mov_b32 s13, s12
	s_delay_alu instid0(VALU_DEP_2)
	v_readfirstlane_b32 s6, v6
	v_add_co_u32 v6, vcc_lo, v6, v34
	s_mov_b32 s14, s12
	s_mov_b32 s15, s12
	v_and_or_b32 v0, 0xffffff1f, v0, 32
	v_dual_mov_b32 v3, v2 :: v_dual_mov_b32 v10, s12
	v_readfirstlane_b32 s7, v7
	v_add_co_ci_u32_e32 v7, vcc_lo, 0, v7, vcc_lo
	v_dual_mov_b32 v11, s13 :: v_dual_mov_b32 v12, s14
	v_mov_b32_e32 v13, s15
	s_clause 0x3
	global_store_b128 v34, v[0:3], s[6:7]
	global_store_b128 v34, v[10:13], s[6:7] offset:16
	global_store_b128 v34, v[10:13], s[6:7] offset:32
	;; [unrolled: 1-line block ×3, first 2 shown]
	s_and_saveexec_b32 s6, s0
	s_cbranch_execz .LBB1_380
; %bb.373:
	v_dual_mov_b32 v10, 0 :: v_dual_mov_b32 v11, s4
	v_mov_b32_e32 v12, s5
	s_clause 0x1
	global_load_b64 v[13:14], v10, s[2:3] offset:32 glc
	global_load_b64 v[0:1], v10, s[2:3] offset:40
	s_waitcnt vmcnt(0)
	v_readfirstlane_b32 s10, v0
	v_readfirstlane_b32 s11, v1
	s_delay_alu instid0(VALU_DEP_1) | instskip(NEXT) | instid1(SALU_CYCLE_1)
	s_and_b64 s[10:11], s[10:11], s[4:5]
	s_mul_i32 s7, s11, 24
	s_mul_hi_u32 s11, s10, 24
	s_mul_i32 s10, s10, 24
	s_add_i32 s11, s11, s7
	v_add_co_u32 v4, vcc_lo, v4, s10
	v_add_co_ci_u32_e32 v5, vcc_lo, s11, v5, vcc_lo
	s_mov_b32 s7, exec_lo
	global_store_b64 v[4:5], v[13:14], off
	s_waitcnt_vscnt null, 0x0
	global_atomic_cmpswap_b64 v[2:3], v10, v[11:14], s[2:3] offset:32 glc
	s_waitcnt vmcnt(0)
	v_cmpx_ne_u64_e64 v[2:3], v[13:14]
	s_cbranch_execz .LBB1_376
; %bb.374:
	s_mov_b32 s10, 0
.LBB1_375:                              ; =>This Inner Loop Header: Depth=1
	v_dual_mov_b32 v0, s4 :: v_dual_mov_b32 v1, s5
	s_sleep 1
	global_store_b64 v[4:5], v[2:3], off
	s_waitcnt_vscnt null, 0x0
	global_atomic_cmpswap_b64 v[0:1], v10, v[0:3], s[2:3] offset:32 glc
	s_waitcnt vmcnt(0)
	v_cmp_eq_u64_e32 vcc_lo, v[0:1], v[2:3]
	v_dual_mov_b32 v3, v1 :: v_dual_mov_b32 v2, v0
	s_or_b32 s10, vcc_lo, s10
	s_delay_alu instid0(SALU_CYCLE_1)
	s_and_not1_b32 exec_lo, exec_lo, s10
	s_cbranch_execnz .LBB1_375
.LBB1_376:
	s_or_b32 exec_lo, exec_lo, s7
	v_mov_b32_e32 v3, 0
	s_mov_b32 s10, exec_lo
	s_mov_b32 s7, exec_lo
	v_mbcnt_lo_u32_b32 v2, s10, 0
	global_load_b64 v[0:1], v3, s[2:3] offset:16
	v_cmpx_eq_u32_e32 0, v2
	s_cbranch_execz .LBB1_378
; %bb.377:
	s_bcnt1_i32_b32 s10, s10
	s_delay_alu instid0(SALU_CYCLE_1)
	v_mov_b32_e32 v2, s10
	s_waitcnt vmcnt(0)
	global_atomic_add_u64 v[0:1], v[2:3], off offset:8
.LBB1_378:
	s_or_b32 exec_lo, exec_lo, s7
	s_waitcnt vmcnt(0)
	global_load_b64 v[2:3], v[0:1], off offset:16
	s_waitcnt vmcnt(0)
	v_cmp_eq_u64_e32 vcc_lo, 0, v[2:3]
	s_cbranch_vccnz .LBB1_380
; %bb.379:
	global_load_b32 v0, v[0:1], off offset:24
	s_waitcnt vmcnt(0)
	v_dual_mov_b32 v1, 0 :: v_dual_and_b32 v4, 0xffffff, v0
	s_waitcnt_vscnt null, 0x0
	global_store_b64 v[2:3], v[0:1], off
	v_readfirstlane_b32 m0, v4
	s_sendmsg sendmsg(MSG_INTERRUPT)
.LBB1_380:
	s_or_b32 exec_lo, exec_lo, s6
	s_branch .LBB1_384
	.p2align	6
.LBB1_381:                              ;   in Loop: Header=BB1_384 Depth=1
	s_or_b32 exec_lo, exec_lo, s6
	s_delay_alu instid0(VALU_DEP_1) | instskip(NEXT) | instid1(VALU_DEP_1)
	v_readfirstlane_b32 s6, v0
	s_cmp_eq_u32 s6, 0
	s_cbranch_scc1 .LBB1_383
; %bb.382:                              ;   in Loop: Header=BB1_384 Depth=1
	s_sleep 1
	s_cbranch_execnz .LBB1_384
	s_branch .LBB1_386
	.p2align	6
.LBB1_383:
	s_branch .LBB1_386
.LBB1_384:                              ; =>This Inner Loop Header: Depth=1
	v_mov_b32_e32 v0, 1
	s_and_saveexec_b32 s6, s0
	s_cbranch_execz .LBB1_381
; %bb.385:                              ;   in Loop: Header=BB1_384 Depth=1
	global_load_b32 v0, v[8:9], off offset:20 glc
	s_waitcnt vmcnt(0)
	buffer_gl1_inv
	buffer_gl0_inv
	v_and_b32_e32 v0, 1, v0
	s_branch .LBB1_381
.LBB1_386:
	global_load_b64 v[0:1], v[6:7], off
	s_and_saveexec_b32 s6, s0
	s_cbranch_execz .LBB1_390
; %bb.387:
	v_mov_b32_e32 v8, 0
	s_clause 0x2
	global_load_b64 v[4:5], v8, s[2:3] offset:40
	global_load_b64 v[9:10], v8, s[2:3] offset:24 glc
	global_load_b64 v[6:7], v8, s[2:3]
	s_waitcnt vmcnt(2)
	v_add_co_u32 v11, vcc_lo, v4, 1
	v_add_co_ci_u32_e32 v12, vcc_lo, 0, v5, vcc_lo
	s_delay_alu instid0(VALU_DEP_2) | instskip(NEXT) | instid1(VALU_DEP_2)
	v_add_co_u32 v2, vcc_lo, v11, s4
	v_add_co_ci_u32_e32 v3, vcc_lo, s5, v12, vcc_lo
	s_delay_alu instid0(VALU_DEP_1) | instskip(SKIP_1) | instid1(VALU_DEP_1)
	v_cmp_eq_u64_e32 vcc_lo, 0, v[2:3]
	v_dual_cndmask_b32 v3, v3, v12 :: v_dual_cndmask_b32 v2, v2, v11
	v_and_b32_e32 v5, v3, v5
	s_delay_alu instid0(VALU_DEP_2) | instskip(NEXT) | instid1(VALU_DEP_2)
	v_and_b32_e32 v4, v2, v4
	v_mul_lo_u32 v5, v5, 24
	s_delay_alu instid0(VALU_DEP_2) | instskip(SKIP_1) | instid1(VALU_DEP_2)
	v_mul_hi_u32 v11, v4, 24
	v_mul_lo_u32 v4, v4, 24
	v_add_nc_u32_e32 v5, v11, v5
	s_waitcnt vmcnt(0)
	s_delay_alu instid0(VALU_DEP_2) | instskip(SKIP_1) | instid1(VALU_DEP_3)
	v_add_co_u32 v6, vcc_lo, v6, v4
	v_mov_b32_e32 v4, v9
	v_add_co_ci_u32_e32 v7, vcc_lo, v7, v5, vcc_lo
	v_mov_b32_e32 v5, v10
	global_store_b64 v[6:7], v[9:10], off
	s_waitcnt_vscnt null, 0x0
	global_atomic_cmpswap_b64 v[4:5], v8, v[2:5], s[2:3] offset:24 glc
	s_waitcnt vmcnt(0)
	v_cmp_ne_u64_e32 vcc_lo, v[4:5], v[9:10]
	s_and_b32 exec_lo, exec_lo, vcc_lo
	s_cbranch_execz .LBB1_390
; %bb.388:
	s_mov_b32 s0, 0
.LBB1_389:                              ; =>This Inner Loop Header: Depth=1
	s_sleep 1
	global_store_b64 v[6:7], v[4:5], off
	s_waitcnt_vscnt null, 0x0
	global_atomic_cmpswap_b64 v[9:10], v8, v[2:5], s[2:3] offset:24 glc
	s_waitcnt vmcnt(0)
	v_cmp_eq_u64_e32 vcc_lo, v[9:10], v[4:5]
	v_dual_mov_b32 v4, v9 :: v_dual_mov_b32 v5, v10
	s_or_b32 s0, vcc_lo, s0
	s_delay_alu instid0(SALU_CYCLE_1)
	s_and_not1_b32 exec_lo, exec_lo, s0
	s_cbranch_execnz .LBB1_389
.LBB1_390:
	s_or_b32 exec_lo, exec_lo, s6
.LBB1_391:
	s_delay_alu instid0(SALU_CYCLE_1)
	s_or_b32 exec_lo, exec_lo, s1
	s_getpc_b64 s[0:1]
	s_add_u32 s0, s0, .str@rel32@lo+4
	s_addc_u32 s1, s1, .str@rel32@hi+12
	s_getpc_b64 s[2:3]
	s_add_u32 s2, s2, .str@rel32@lo+10
	s_addc_u32 s3, s3, .str@rel32@hi+18
	s_sub_i32 s4, s2, s0
	s_getpc_b64 s[2:3]
	s_add_u32 s2, s2, __ockl_fprintf_append_string_n@rel32@lo+4
	s_addc_u32 s3, s3, __ockl_fprintf_append_string_n@rel32@hi+12
	s_ashr_i32 s5, s4, 31
	s_waitcnt vmcnt(0)
	v_dual_mov_b32 v2, s0 :: v_dual_mov_b32 v3, s1
	v_dual_mov_b32 v4, s4 :: v_dual_mov_b32 v5, s5
	v_mov_b32_e32 v6, 1
	s_swappc_b64 s[30:31], s[2:3]
	s_trap 2
	s_sendmsg_rtn_b32 s0, sendmsg(MSG_RTN_GET_DOORBELL)
	s_mov_b32 ttmp2, m0
	s_waitcnt lgkmcnt(0)
	s_and_b32 s0, s0, 0x3ff
	s_delay_alu instid0(SALU_CYCLE_1) | instskip(NEXT) | instid1(SALU_CYCLE_1)
	s_bitset1_b32 s0, 10
	s_mov_b32 m0, s0
	s_sendmsg sendmsg(MSG_INTERRUPT)
	s_mov_b32 m0, ttmp2
.LBB1_392:                              ; =>This Inner Loop Header: Depth=1
	s_sethalt 5
	s_branch .LBB1_392
.Lfunc_end1:
	.size	__assert_fail, .Lfunc_end1-__assert_fail
                                        ; -- End function
	.section	.AMDGPU.csdata,"",@progbits
; Function info:
; codeLenInByte = 16148
; NumSgprs: 36
; NumVgprs: 41
; ScratchSize: 64
; MemoryBound: 0
	.section	.text._Z38paged_attention_ll4mi_QKV_mfma4_kernelIDF16_DF16_LN4vllm18Fp8KVCacheDataTypeE0EhLi16ELi64ELi256ELb1ELi1EEvPKT_PKT0_S7_ifPKiS9_S9_iPKfiiiPfSC_PS2_PT2_iSB_SB_,"axG",@progbits,_Z38paged_attention_ll4mi_QKV_mfma4_kernelIDF16_DF16_LN4vllm18Fp8KVCacheDataTypeE0EhLi16ELi64ELi256ELb1ELi1EEvPKT_PKT0_S7_ifPKiS9_S9_iPKfiiiPfSC_PS2_PT2_iSB_SB_,comdat
	.protected	_Z38paged_attention_ll4mi_QKV_mfma4_kernelIDF16_DF16_LN4vllm18Fp8KVCacheDataTypeE0EhLi16ELi64ELi256ELb1ELi1EEvPKT_PKT0_S7_ifPKiS9_S9_iPKfiiiPfSC_PS2_PT2_iSB_SB_ ; -- Begin function _Z38paged_attention_ll4mi_QKV_mfma4_kernelIDF16_DF16_LN4vllm18Fp8KVCacheDataTypeE0EhLi16ELi64ELi256ELb1ELi1EEvPKT_PKT0_S7_ifPKiS9_S9_iPKfiiiPfSC_PS2_PT2_iSB_SB_
	.globl	_Z38paged_attention_ll4mi_QKV_mfma4_kernelIDF16_DF16_LN4vllm18Fp8KVCacheDataTypeE0EhLi16ELi64ELi256ELb1ELi1EEvPKT_PKT0_S7_ifPKiS9_S9_iPKfiiiPfSC_PS2_PT2_iSB_SB_
	.p2align	8
	.type	_Z38paged_attention_ll4mi_QKV_mfma4_kernelIDF16_DF16_LN4vllm18Fp8KVCacheDataTypeE0EhLi16ELi64ELi256ELb1ELi1EEvPKT_PKT0_S7_ifPKiS9_S9_iPKfiiiPfSC_PS2_PT2_iSB_SB_,@function
_Z38paged_attention_ll4mi_QKV_mfma4_kernelIDF16_DF16_LN4vllm18Fp8KVCacheDataTypeE0EhLi16ELi64ELi256ELb1ELi1EEvPKT_PKT0_S7_ifPKiS9_S9_iPKfiiiPfSC_PS2_PT2_iSB_SB_: ; @_Z38paged_attention_ll4mi_QKV_mfma4_kernelIDF16_DF16_LN4vllm18Fp8KVCacheDataTypeE0EhLi16ELi64ELi256ELb1ELi1EEvPKT_PKT0_S7_ifPKiS9_S9_iPKfiiiPfSC_PS2_PT2_iSB_SB_
; %bb.0:
	s_add_u32 s8, s0, 0x90
	s_addc_u32 s9, s1, 0
	s_getpc_b64 s[0:1]
	s_add_u32 s0, s0, __PRETTY_FUNCTION__._Z38paged_attention_ll4mi_QKV_mfma4_kernelIDF16_DF16_LN4vllm18Fp8KVCacheDataTypeE0EhLi16ELi64ELi256ELb1ELi1EEvPKT_PKT0_S7_ifPKiS9_S9_iPKfiiiPfSC_PS2_PT2_iSB_SB_@rel32@lo+4
	s_addc_u32 s1, s1, __PRETTY_FUNCTION__._Z38paged_attention_ll4mi_QKV_mfma4_kernelIDF16_DF16_LN4vllm18Fp8KVCacheDataTypeE0EhLi16ELi64ELi256ELb1ELi1EEvPKT_PKT0_S7_ifPKiS9_S9_iPKfiiiPfSC_PS2_PT2_iSB_SB_@rel32@hi+12
	s_delay_alu instid0(SALU_CYCLE_1) | instskip(SKIP_4) | instid1(SALU_CYCLE_1)
	v_dual_mov_b32 v0, s0 :: v_dual_mov_b32 v1, s1
	s_mov_b32 s32, 0
	s_getpc_b64 s[2:3]
	s_add_u32 s2, s2, __assert_fail@rel32@lo+4
	s_addc_u32 s3, s3, __assert_fail@rel32@hi+12
	s_swappc_b64 s[30:31], s[2:3]
	.section	.rodata,"a",@progbits
	.p2align	6, 0x0
	.amdhsa_kernel _Z38paged_attention_ll4mi_QKV_mfma4_kernelIDF16_DF16_LN4vllm18Fp8KVCacheDataTypeE0EhLi16ELi64ELi256ELb1ELi1EEvPKT_PKT0_S7_ifPKiS9_S9_iPKfiiiPfSC_PS2_PT2_iSB_SB_
		.amdhsa_group_segment_fixed_size 0
		.amdhsa_private_segment_fixed_size 64
		.amdhsa_kernarg_size 400
		.amdhsa_user_sgpr_count 15
		.amdhsa_user_sgpr_dispatch_ptr 0
		.amdhsa_user_sgpr_queue_ptr 0
		.amdhsa_user_sgpr_kernarg_segment_ptr 1
		.amdhsa_user_sgpr_dispatch_id 0
		.amdhsa_user_sgpr_private_segment_size 0
		.amdhsa_wavefront_size32 1
		.amdhsa_uses_dynamic_stack 0
		.amdhsa_enable_private_segment 1
		.amdhsa_system_sgpr_workgroup_id_x 1
		.amdhsa_system_sgpr_workgroup_id_y 0
		.amdhsa_system_sgpr_workgroup_id_z 0
		.amdhsa_system_sgpr_workgroup_info 0
		.amdhsa_system_vgpr_workitem_id 0
		.amdhsa_next_free_vgpr 41
		.amdhsa_next_free_sgpr 34
		.amdhsa_reserve_vcc 1
		.amdhsa_float_round_mode_32 0
		.amdhsa_float_round_mode_16_64 0
		.amdhsa_float_denorm_mode_32 3
		.amdhsa_float_denorm_mode_16_64 3
		.amdhsa_dx10_clamp 1
		.amdhsa_ieee_mode 1
		.amdhsa_fp16_overflow 0
		.amdhsa_workgroup_processor_mode 1
		.amdhsa_memory_ordered 1
		.amdhsa_forward_progress 0
		.amdhsa_shared_vgpr_count 0
		.amdhsa_exception_fp_ieee_invalid_op 0
		.amdhsa_exception_fp_denorm_src 0
		.amdhsa_exception_fp_ieee_div_zero 0
		.amdhsa_exception_fp_ieee_overflow 0
		.amdhsa_exception_fp_ieee_underflow 0
		.amdhsa_exception_fp_ieee_inexact 0
		.amdhsa_exception_int_div_zero 0
	.end_amdhsa_kernel
	.section	.text._Z38paged_attention_ll4mi_QKV_mfma4_kernelIDF16_DF16_LN4vllm18Fp8KVCacheDataTypeE0EhLi16ELi64ELi256ELb1ELi1EEvPKT_PKT0_S7_ifPKiS9_S9_iPKfiiiPfSC_PS2_PT2_iSB_SB_,"axG",@progbits,_Z38paged_attention_ll4mi_QKV_mfma4_kernelIDF16_DF16_LN4vllm18Fp8KVCacheDataTypeE0EhLi16ELi64ELi256ELb1ELi1EEvPKT_PKT0_S7_ifPKiS9_S9_iPKfiiiPfSC_PS2_PT2_iSB_SB_,comdat
.Lfunc_end2:
	.size	_Z38paged_attention_ll4mi_QKV_mfma4_kernelIDF16_DF16_LN4vllm18Fp8KVCacheDataTypeE0EhLi16ELi64ELi256ELb1ELi1EEvPKT_PKT0_S7_ifPKiS9_S9_iPKfiiiPfSC_PS2_PT2_iSB_SB_, .Lfunc_end2-_Z38paged_attention_ll4mi_QKV_mfma4_kernelIDF16_DF16_LN4vllm18Fp8KVCacheDataTypeE0EhLi16ELi64ELi256ELb1ELi1EEvPKT_PKT0_S7_ifPKiS9_S9_iPKfiiiPfSC_PS2_PT2_iSB_SB_
                                        ; -- End function
	.section	.AMDGPU.csdata,"",@progbits
; Kernel info:
; codeLenInByte = 72
; NumSgprs: 36
; NumVgprs: 41
; ScratchSize: 64
; MemoryBound: 0
; FloatMode: 240
; IeeeMode: 1
; LDSByteSize: 0 bytes/workgroup (compile time only)
; SGPRBlocks: 4
; VGPRBlocks: 5
; NumSGPRsForWavesPerEU: 36
; NumVGPRsForWavesPerEU: 41
; Occupancy: 16
; WaveLimiterHint : 1
; COMPUTE_PGM_RSRC2:SCRATCH_EN: 1
; COMPUTE_PGM_RSRC2:USER_SGPR: 15
; COMPUTE_PGM_RSRC2:TRAP_HANDLER: 0
; COMPUTE_PGM_RSRC2:TGID_X_EN: 1
; COMPUTE_PGM_RSRC2:TGID_Y_EN: 0
; COMPUTE_PGM_RSRC2:TGID_Z_EN: 0
; COMPUTE_PGM_RSRC2:TIDIG_COMP_CNT: 0
	.section	.text._Z38paged_attention_ll4mi_QKV_mfma4_kernelIDF16_DF16_LN4vllm18Fp8KVCacheDataTypeE0EhLi16ELi64ELi256ELb1ELi2EEvPKT_PKT0_S7_ifPKiS9_S9_iPKfiiiPfSC_PS2_PT2_iSB_SB_,"axG",@progbits,_Z38paged_attention_ll4mi_QKV_mfma4_kernelIDF16_DF16_LN4vllm18Fp8KVCacheDataTypeE0EhLi16ELi64ELi256ELb1ELi2EEvPKT_PKT0_S7_ifPKiS9_S9_iPKfiiiPfSC_PS2_PT2_iSB_SB_,comdat
	.protected	_Z38paged_attention_ll4mi_QKV_mfma4_kernelIDF16_DF16_LN4vllm18Fp8KVCacheDataTypeE0EhLi16ELi64ELi256ELb1ELi2EEvPKT_PKT0_S7_ifPKiS9_S9_iPKfiiiPfSC_PS2_PT2_iSB_SB_ ; -- Begin function _Z38paged_attention_ll4mi_QKV_mfma4_kernelIDF16_DF16_LN4vllm18Fp8KVCacheDataTypeE0EhLi16ELi64ELi256ELb1ELi2EEvPKT_PKT0_S7_ifPKiS9_S9_iPKfiiiPfSC_PS2_PT2_iSB_SB_
	.globl	_Z38paged_attention_ll4mi_QKV_mfma4_kernelIDF16_DF16_LN4vllm18Fp8KVCacheDataTypeE0EhLi16ELi64ELi256ELb1ELi2EEvPKT_PKT0_S7_ifPKiS9_S9_iPKfiiiPfSC_PS2_PT2_iSB_SB_
	.p2align	8
	.type	_Z38paged_attention_ll4mi_QKV_mfma4_kernelIDF16_DF16_LN4vllm18Fp8KVCacheDataTypeE0EhLi16ELi64ELi256ELb1ELi2EEvPKT_PKT0_S7_ifPKiS9_S9_iPKfiiiPfSC_PS2_PT2_iSB_SB_,@function
_Z38paged_attention_ll4mi_QKV_mfma4_kernelIDF16_DF16_LN4vllm18Fp8KVCacheDataTypeE0EhLi16ELi64ELi256ELb1ELi2EEvPKT_PKT0_S7_ifPKiS9_S9_iPKfiiiPfSC_PS2_PT2_iSB_SB_: ; @_Z38paged_attention_ll4mi_QKV_mfma4_kernelIDF16_DF16_LN4vllm18Fp8KVCacheDataTypeE0EhLi16ELi64ELi256ELb1ELi2EEvPKT_PKT0_S7_ifPKiS9_S9_iPKfiiiPfSC_PS2_PT2_iSB_SB_
; %bb.0:
	s_add_u32 s8, s0, 0x90
	s_addc_u32 s9, s1, 0
	s_getpc_b64 s[0:1]
	s_add_u32 s0, s0, __PRETTY_FUNCTION__._Z38paged_attention_ll4mi_QKV_mfma4_kernelIDF16_DF16_LN4vllm18Fp8KVCacheDataTypeE0EhLi16ELi64ELi256ELb1ELi2EEvPKT_PKT0_S7_ifPKiS9_S9_iPKfiiiPfSC_PS2_PT2_iSB_SB_@rel32@lo+4
	s_addc_u32 s1, s1, __PRETTY_FUNCTION__._Z38paged_attention_ll4mi_QKV_mfma4_kernelIDF16_DF16_LN4vllm18Fp8KVCacheDataTypeE0EhLi16ELi64ELi256ELb1ELi2EEvPKT_PKT0_S7_ifPKiS9_S9_iPKfiiiPfSC_PS2_PT2_iSB_SB_@rel32@hi+12
	s_delay_alu instid0(SALU_CYCLE_1) | instskip(SKIP_4) | instid1(SALU_CYCLE_1)
	v_dual_mov_b32 v0, s0 :: v_dual_mov_b32 v1, s1
	s_mov_b32 s32, 0
	s_getpc_b64 s[2:3]
	s_add_u32 s2, s2, __assert_fail@rel32@lo+4
	s_addc_u32 s3, s3, __assert_fail@rel32@hi+12
	s_swappc_b64 s[30:31], s[2:3]
	.section	.rodata,"a",@progbits
	.p2align	6, 0x0
	.amdhsa_kernel _Z38paged_attention_ll4mi_QKV_mfma4_kernelIDF16_DF16_LN4vllm18Fp8KVCacheDataTypeE0EhLi16ELi64ELi256ELb1ELi2EEvPKT_PKT0_S7_ifPKiS9_S9_iPKfiiiPfSC_PS2_PT2_iSB_SB_
		.amdhsa_group_segment_fixed_size 0
		.amdhsa_private_segment_fixed_size 64
		.amdhsa_kernarg_size 400
		.amdhsa_user_sgpr_count 15
		.amdhsa_user_sgpr_dispatch_ptr 0
		.amdhsa_user_sgpr_queue_ptr 0
		.amdhsa_user_sgpr_kernarg_segment_ptr 1
		.amdhsa_user_sgpr_dispatch_id 0
		.amdhsa_user_sgpr_private_segment_size 0
		.amdhsa_wavefront_size32 1
		.amdhsa_uses_dynamic_stack 0
		.amdhsa_enable_private_segment 1
		.amdhsa_system_sgpr_workgroup_id_x 1
		.amdhsa_system_sgpr_workgroup_id_y 0
		.amdhsa_system_sgpr_workgroup_id_z 0
		.amdhsa_system_sgpr_workgroup_info 0
		.amdhsa_system_vgpr_workitem_id 0
		.amdhsa_next_free_vgpr 41
		.amdhsa_next_free_sgpr 34
		.amdhsa_reserve_vcc 1
		.amdhsa_float_round_mode_32 0
		.amdhsa_float_round_mode_16_64 0
		.amdhsa_float_denorm_mode_32 3
		.amdhsa_float_denorm_mode_16_64 3
		.amdhsa_dx10_clamp 1
		.amdhsa_ieee_mode 1
		.amdhsa_fp16_overflow 0
		.amdhsa_workgroup_processor_mode 1
		.amdhsa_memory_ordered 1
		.amdhsa_forward_progress 0
		.amdhsa_shared_vgpr_count 0
		.amdhsa_exception_fp_ieee_invalid_op 0
		.amdhsa_exception_fp_denorm_src 0
		.amdhsa_exception_fp_ieee_div_zero 0
		.amdhsa_exception_fp_ieee_overflow 0
		.amdhsa_exception_fp_ieee_underflow 0
		.amdhsa_exception_fp_ieee_inexact 0
		.amdhsa_exception_int_div_zero 0
	.end_amdhsa_kernel
	.section	.text._Z38paged_attention_ll4mi_QKV_mfma4_kernelIDF16_DF16_LN4vllm18Fp8KVCacheDataTypeE0EhLi16ELi64ELi256ELb1ELi2EEvPKT_PKT0_S7_ifPKiS9_S9_iPKfiiiPfSC_PS2_PT2_iSB_SB_,"axG",@progbits,_Z38paged_attention_ll4mi_QKV_mfma4_kernelIDF16_DF16_LN4vllm18Fp8KVCacheDataTypeE0EhLi16ELi64ELi256ELb1ELi2EEvPKT_PKT0_S7_ifPKiS9_S9_iPKfiiiPfSC_PS2_PT2_iSB_SB_,comdat
.Lfunc_end3:
	.size	_Z38paged_attention_ll4mi_QKV_mfma4_kernelIDF16_DF16_LN4vllm18Fp8KVCacheDataTypeE0EhLi16ELi64ELi256ELb1ELi2EEvPKT_PKT0_S7_ifPKiS9_S9_iPKfiiiPfSC_PS2_PT2_iSB_SB_, .Lfunc_end3-_Z38paged_attention_ll4mi_QKV_mfma4_kernelIDF16_DF16_LN4vllm18Fp8KVCacheDataTypeE0EhLi16ELi64ELi256ELb1ELi2EEvPKT_PKT0_S7_ifPKiS9_S9_iPKfiiiPfSC_PS2_PT2_iSB_SB_
                                        ; -- End function
	.section	.AMDGPU.csdata,"",@progbits
; Kernel info:
; codeLenInByte = 72
; NumSgprs: 36
; NumVgprs: 41
; ScratchSize: 64
; MemoryBound: 0
; FloatMode: 240
; IeeeMode: 1
; LDSByteSize: 0 bytes/workgroup (compile time only)
; SGPRBlocks: 4
; VGPRBlocks: 5
; NumSGPRsForWavesPerEU: 36
; NumVGPRsForWavesPerEU: 41
; Occupancy: 16
; WaveLimiterHint : 1
; COMPUTE_PGM_RSRC2:SCRATCH_EN: 1
; COMPUTE_PGM_RSRC2:USER_SGPR: 15
; COMPUTE_PGM_RSRC2:TRAP_HANDLER: 0
; COMPUTE_PGM_RSRC2:TGID_X_EN: 1
; COMPUTE_PGM_RSRC2:TGID_Y_EN: 0
; COMPUTE_PGM_RSRC2:TGID_Z_EN: 0
; COMPUTE_PGM_RSRC2:TIDIG_COMP_CNT: 0
	.section	.text._Z38paged_attention_ll4mi_QKV_mfma4_kernelIDF16_DF16_LN4vllm18Fp8KVCacheDataTypeE0EhLi16ELi64ELi256ELb1ELi3EEvPKT_PKT0_S7_ifPKiS9_S9_iPKfiiiPfSC_PS2_PT2_iSB_SB_,"axG",@progbits,_Z38paged_attention_ll4mi_QKV_mfma4_kernelIDF16_DF16_LN4vllm18Fp8KVCacheDataTypeE0EhLi16ELi64ELi256ELb1ELi3EEvPKT_PKT0_S7_ifPKiS9_S9_iPKfiiiPfSC_PS2_PT2_iSB_SB_,comdat
	.protected	_Z38paged_attention_ll4mi_QKV_mfma4_kernelIDF16_DF16_LN4vllm18Fp8KVCacheDataTypeE0EhLi16ELi64ELi256ELb1ELi3EEvPKT_PKT0_S7_ifPKiS9_S9_iPKfiiiPfSC_PS2_PT2_iSB_SB_ ; -- Begin function _Z38paged_attention_ll4mi_QKV_mfma4_kernelIDF16_DF16_LN4vllm18Fp8KVCacheDataTypeE0EhLi16ELi64ELi256ELb1ELi3EEvPKT_PKT0_S7_ifPKiS9_S9_iPKfiiiPfSC_PS2_PT2_iSB_SB_
	.globl	_Z38paged_attention_ll4mi_QKV_mfma4_kernelIDF16_DF16_LN4vllm18Fp8KVCacheDataTypeE0EhLi16ELi64ELi256ELb1ELi3EEvPKT_PKT0_S7_ifPKiS9_S9_iPKfiiiPfSC_PS2_PT2_iSB_SB_
	.p2align	8
	.type	_Z38paged_attention_ll4mi_QKV_mfma4_kernelIDF16_DF16_LN4vllm18Fp8KVCacheDataTypeE0EhLi16ELi64ELi256ELb1ELi3EEvPKT_PKT0_S7_ifPKiS9_S9_iPKfiiiPfSC_PS2_PT2_iSB_SB_,@function
_Z38paged_attention_ll4mi_QKV_mfma4_kernelIDF16_DF16_LN4vllm18Fp8KVCacheDataTypeE0EhLi16ELi64ELi256ELb1ELi3EEvPKT_PKT0_S7_ifPKiS9_S9_iPKfiiiPfSC_PS2_PT2_iSB_SB_: ; @_Z38paged_attention_ll4mi_QKV_mfma4_kernelIDF16_DF16_LN4vllm18Fp8KVCacheDataTypeE0EhLi16ELi64ELi256ELb1ELi3EEvPKT_PKT0_S7_ifPKiS9_S9_iPKfiiiPfSC_PS2_PT2_iSB_SB_
; %bb.0:
	s_add_u32 s8, s0, 0x90
	s_addc_u32 s9, s1, 0
	s_getpc_b64 s[0:1]
	s_add_u32 s0, s0, __PRETTY_FUNCTION__._Z38paged_attention_ll4mi_QKV_mfma4_kernelIDF16_DF16_LN4vllm18Fp8KVCacheDataTypeE0EhLi16ELi64ELi256ELb1ELi3EEvPKT_PKT0_S7_ifPKiS9_S9_iPKfiiiPfSC_PS2_PT2_iSB_SB_@rel32@lo+4
	s_addc_u32 s1, s1, __PRETTY_FUNCTION__._Z38paged_attention_ll4mi_QKV_mfma4_kernelIDF16_DF16_LN4vllm18Fp8KVCacheDataTypeE0EhLi16ELi64ELi256ELb1ELi3EEvPKT_PKT0_S7_ifPKiS9_S9_iPKfiiiPfSC_PS2_PT2_iSB_SB_@rel32@hi+12
	s_delay_alu instid0(SALU_CYCLE_1) | instskip(SKIP_4) | instid1(SALU_CYCLE_1)
	v_dual_mov_b32 v0, s0 :: v_dual_mov_b32 v1, s1
	s_mov_b32 s32, 0
	s_getpc_b64 s[2:3]
	s_add_u32 s2, s2, __assert_fail@rel32@lo+4
	s_addc_u32 s3, s3, __assert_fail@rel32@hi+12
	s_swappc_b64 s[30:31], s[2:3]
	.section	.rodata,"a",@progbits
	.p2align	6, 0x0
	.amdhsa_kernel _Z38paged_attention_ll4mi_QKV_mfma4_kernelIDF16_DF16_LN4vllm18Fp8KVCacheDataTypeE0EhLi16ELi64ELi256ELb1ELi3EEvPKT_PKT0_S7_ifPKiS9_S9_iPKfiiiPfSC_PS2_PT2_iSB_SB_
		.amdhsa_group_segment_fixed_size 0
		.amdhsa_private_segment_fixed_size 64
		.amdhsa_kernarg_size 400
		.amdhsa_user_sgpr_count 15
		.amdhsa_user_sgpr_dispatch_ptr 0
		.amdhsa_user_sgpr_queue_ptr 0
		.amdhsa_user_sgpr_kernarg_segment_ptr 1
		.amdhsa_user_sgpr_dispatch_id 0
		.amdhsa_user_sgpr_private_segment_size 0
		.amdhsa_wavefront_size32 1
		.amdhsa_uses_dynamic_stack 0
		.amdhsa_enable_private_segment 1
		.amdhsa_system_sgpr_workgroup_id_x 1
		.amdhsa_system_sgpr_workgroup_id_y 0
		.amdhsa_system_sgpr_workgroup_id_z 0
		.amdhsa_system_sgpr_workgroup_info 0
		.amdhsa_system_vgpr_workitem_id 0
		.amdhsa_next_free_vgpr 41
		.amdhsa_next_free_sgpr 34
		.amdhsa_reserve_vcc 1
		.amdhsa_float_round_mode_32 0
		.amdhsa_float_round_mode_16_64 0
		.amdhsa_float_denorm_mode_32 3
		.amdhsa_float_denorm_mode_16_64 3
		.amdhsa_dx10_clamp 1
		.amdhsa_ieee_mode 1
		.amdhsa_fp16_overflow 0
		.amdhsa_workgroup_processor_mode 1
		.amdhsa_memory_ordered 1
		.amdhsa_forward_progress 0
		.amdhsa_shared_vgpr_count 0
		.amdhsa_exception_fp_ieee_invalid_op 0
		.amdhsa_exception_fp_denorm_src 0
		.amdhsa_exception_fp_ieee_div_zero 0
		.amdhsa_exception_fp_ieee_overflow 0
		.amdhsa_exception_fp_ieee_underflow 0
		.amdhsa_exception_fp_ieee_inexact 0
		.amdhsa_exception_int_div_zero 0
	.end_amdhsa_kernel
	.section	.text._Z38paged_attention_ll4mi_QKV_mfma4_kernelIDF16_DF16_LN4vllm18Fp8KVCacheDataTypeE0EhLi16ELi64ELi256ELb1ELi3EEvPKT_PKT0_S7_ifPKiS9_S9_iPKfiiiPfSC_PS2_PT2_iSB_SB_,"axG",@progbits,_Z38paged_attention_ll4mi_QKV_mfma4_kernelIDF16_DF16_LN4vllm18Fp8KVCacheDataTypeE0EhLi16ELi64ELi256ELb1ELi3EEvPKT_PKT0_S7_ifPKiS9_S9_iPKfiiiPfSC_PS2_PT2_iSB_SB_,comdat
.Lfunc_end4:
	.size	_Z38paged_attention_ll4mi_QKV_mfma4_kernelIDF16_DF16_LN4vllm18Fp8KVCacheDataTypeE0EhLi16ELi64ELi256ELb1ELi3EEvPKT_PKT0_S7_ifPKiS9_S9_iPKfiiiPfSC_PS2_PT2_iSB_SB_, .Lfunc_end4-_Z38paged_attention_ll4mi_QKV_mfma4_kernelIDF16_DF16_LN4vllm18Fp8KVCacheDataTypeE0EhLi16ELi64ELi256ELb1ELi3EEvPKT_PKT0_S7_ifPKiS9_S9_iPKfiiiPfSC_PS2_PT2_iSB_SB_
                                        ; -- End function
	.section	.AMDGPU.csdata,"",@progbits
; Kernel info:
; codeLenInByte = 72
; NumSgprs: 36
; NumVgprs: 41
; ScratchSize: 64
; MemoryBound: 0
; FloatMode: 240
; IeeeMode: 1
; LDSByteSize: 0 bytes/workgroup (compile time only)
; SGPRBlocks: 4
; VGPRBlocks: 5
; NumSGPRsForWavesPerEU: 36
; NumVGPRsForWavesPerEU: 41
; Occupancy: 16
; WaveLimiterHint : 1
; COMPUTE_PGM_RSRC2:SCRATCH_EN: 1
; COMPUTE_PGM_RSRC2:USER_SGPR: 15
; COMPUTE_PGM_RSRC2:TRAP_HANDLER: 0
; COMPUTE_PGM_RSRC2:TGID_X_EN: 1
; COMPUTE_PGM_RSRC2:TGID_Y_EN: 0
; COMPUTE_PGM_RSRC2:TGID_Z_EN: 0
; COMPUTE_PGM_RSRC2:TIDIG_COMP_CNT: 0
	.section	.text._Z38paged_attention_ll4mi_QKV_mfma4_kernelIDF16_DF16_LN4vllm18Fp8KVCacheDataTypeE0EhLi16ELi64ELi256ELb1ELi4EEvPKT_PKT0_S7_ifPKiS9_S9_iPKfiiiPfSC_PS2_PT2_iSB_SB_,"axG",@progbits,_Z38paged_attention_ll4mi_QKV_mfma4_kernelIDF16_DF16_LN4vllm18Fp8KVCacheDataTypeE0EhLi16ELi64ELi256ELb1ELi4EEvPKT_PKT0_S7_ifPKiS9_S9_iPKfiiiPfSC_PS2_PT2_iSB_SB_,comdat
	.protected	_Z38paged_attention_ll4mi_QKV_mfma4_kernelIDF16_DF16_LN4vllm18Fp8KVCacheDataTypeE0EhLi16ELi64ELi256ELb1ELi4EEvPKT_PKT0_S7_ifPKiS9_S9_iPKfiiiPfSC_PS2_PT2_iSB_SB_ ; -- Begin function _Z38paged_attention_ll4mi_QKV_mfma4_kernelIDF16_DF16_LN4vllm18Fp8KVCacheDataTypeE0EhLi16ELi64ELi256ELb1ELi4EEvPKT_PKT0_S7_ifPKiS9_S9_iPKfiiiPfSC_PS2_PT2_iSB_SB_
	.globl	_Z38paged_attention_ll4mi_QKV_mfma4_kernelIDF16_DF16_LN4vllm18Fp8KVCacheDataTypeE0EhLi16ELi64ELi256ELb1ELi4EEvPKT_PKT0_S7_ifPKiS9_S9_iPKfiiiPfSC_PS2_PT2_iSB_SB_
	.p2align	8
	.type	_Z38paged_attention_ll4mi_QKV_mfma4_kernelIDF16_DF16_LN4vllm18Fp8KVCacheDataTypeE0EhLi16ELi64ELi256ELb1ELi4EEvPKT_PKT0_S7_ifPKiS9_S9_iPKfiiiPfSC_PS2_PT2_iSB_SB_,@function
_Z38paged_attention_ll4mi_QKV_mfma4_kernelIDF16_DF16_LN4vllm18Fp8KVCacheDataTypeE0EhLi16ELi64ELi256ELb1ELi4EEvPKT_PKT0_S7_ifPKiS9_S9_iPKfiiiPfSC_PS2_PT2_iSB_SB_: ; @_Z38paged_attention_ll4mi_QKV_mfma4_kernelIDF16_DF16_LN4vllm18Fp8KVCacheDataTypeE0EhLi16ELi64ELi256ELb1ELi4EEvPKT_PKT0_S7_ifPKiS9_S9_iPKfiiiPfSC_PS2_PT2_iSB_SB_
; %bb.0:
	s_add_u32 s8, s0, 0x90
	s_addc_u32 s9, s1, 0
	s_getpc_b64 s[0:1]
	s_add_u32 s0, s0, __PRETTY_FUNCTION__._Z38paged_attention_ll4mi_QKV_mfma4_kernelIDF16_DF16_LN4vllm18Fp8KVCacheDataTypeE0EhLi16ELi64ELi256ELb1ELi4EEvPKT_PKT0_S7_ifPKiS9_S9_iPKfiiiPfSC_PS2_PT2_iSB_SB_@rel32@lo+4
	s_addc_u32 s1, s1, __PRETTY_FUNCTION__._Z38paged_attention_ll4mi_QKV_mfma4_kernelIDF16_DF16_LN4vllm18Fp8KVCacheDataTypeE0EhLi16ELi64ELi256ELb1ELi4EEvPKT_PKT0_S7_ifPKiS9_S9_iPKfiiiPfSC_PS2_PT2_iSB_SB_@rel32@hi+12
	s_delay_alu instid0(SALU_CYCLE_1) | instskip(SKIP_4) | instid1(SALU_CYCLE_1)
	v_dual_mov_b32 v0, s0 :: v_dual_mov_b32 v1, s1
	s_mov_b32 s32, 0
	s_getpc_b64 s[2:3]
	s_add_u32 s2, s2, __assert_fail@rel32@lo+4
	s_addc_u32 s3, s3, __assert_fail@rel32@hi+12
	s_swappc_b64 s[30:31], s[2:3]
	.section	.rodata,"a",@progbits
	.p2align	6, 0x0
	.amdhsa_kernel _Z38paged_attention_ll4mi_QKV_mfma4_kernelIDF16_DF16_LN4vllm18Fp8KVCacheDataTypeE0EhLi16ELi64ELi256ELb1ELi4EEvPKT_PKT0_S7_ifPKiS9_S9_iPKfiiiPfSC_PS2_PT2_iSB_SB_
		.amdhsa_group_segment_fixed_size 0
		.amdhsa_private_segment_fixed_size 64
		.amdhsa_kernarg_size 400
		.amdhsa_user_sgpr_count 15
		.amdhsa_user_sgpr_dispatch_ptr 0
		.amdhsa_user_sgpr_queue_ptr 0
		.amdhsa_user_sgpr_kernarg_segment_ptr 1
		.amdhsa_user_sgpr_dispatch_id 0
		.amdhsa_user_sgpr_private_segment_size 0
		.amdhsa_wavefront_size32 1
		.amdhsa_uses_dynamic_stack 0
		.amdhsa_enable_private_segment 1
		.amdhsa_system_sgpr_workgroup_id_x 1
		.amdhsa_system_sgpr_workgroup_id_y 0
		.amdhsa_system_sgpr_workgroup_id_z 0
		.amdhsa_system_sgpr_workgroup_info 0
		.amdhsa_system_vgpr_workitem_id 0
		.amdhsa_next_free_vgpr 41
		.amdhsa_next_free_sgpr 34
		.amdhsa_reserve_vcc 1
		.amdhsa_float_round_mode_32 0
		.amdhsa_float_round_mode_16_64 0
		.amdhsa_float_denorm_mode_32 3
		.amdhsa_float_denorm_mode_16_64 3
		.amdhsa_dx10_clamp 1
		.amdhsa_ieee_mode 1
		.amdhsa_fp16_overflow 0
		.amdhsa_workgroup_processor_mode 1
		.amdhsa_memory_ordered 1
		.amdhsa_forward_progress 0
		.amdhsa_shared_vgpr_count 0
		.amdhsa_exception_fp_ieee_invalid_op 0
		.amdhsa_exception_fp_denorm_src 0
		.amdhsa_exception_fp_ieee_div_zero 0
		.amdhsa_exception_fp_ieee_overflow 0
		.amdhsa_exception_fp_ieee_underflow 0
		.amdhsa_exception_fp_ieee_inexact 0
		.amdhsa_exception_int_div_zero 0
	.end_amdhsa_kernel
	.section	.text._Z38paged_attention_ll4mi_QKV_mfma4_kernelIDF16_DF16_LN4vllm18Fp8KVCacheDataTypeE0EhLi16ELi64ELi256ELb1ELi4EEvPKT_PKT0_S7_ifPKiS9_S9_iPKfiiiPfSC_PS2_PT2_iSB_SB_,"axG",@progbits,_Z38paged_attention_ll4mi_QKV_mfma4_kernelIDF16_DF16_LN4vllm18Fp8KVCacheDataTypeE0EhLi16ELi64ELi256ELb1ELi4EEvPKT_PKT0_S7_ifPKiS9_S9_iPKfiiiPfSC_PS2_PT2_iSB_SB_,comdat
.Lfunc_end5:
	.size	_Z38paged_attention_ll4mi_QKV_mfma4_kernelIDF16_DF16_LN4vllm18Fp8KVCacheDataTypeE0EhLi16ELi64ELi256ELb1ELi4EEvPKT_PKT0_S7_ifPKiS9_S9_iPKfiiiPfSC_PS2_PT2_iSB_SB_, .Lfunc_end5-_Z38paged_attention_ll4mi_QKV_mfma4_kernelIDF16_DF16_LN4vllm18Fp8KVCacheDataTypeE0EhLi16ELi64ELi256ELb1ELi4EEvPKT_PKT0_S7_ifPKiS9_S9_iPKfiiiPfSC_PS2_PT2_iSB_SB_
                                        ; -- End function
	.section	.AMDGPU.csdata,"",@progbits
; Kernel info:
; codeLenInByte = 72
; NumSgprs: 36
; NumVgprs: 41
; ScratchSize: 64
; MemoryBound: 0
; FloatMode: 240
; IeeeMode: 1
; LDSByteSize: 0 bytes/workgroup (compile time only)
; SGPRBlocks: 4
; VGPRBlocks: 5
; NumSGPRsForWavesPerEU: 36
; NumVGPRsForWavesPerEU: 41
; Occupancy: 16
; WaveLimiterHint : 1
; COMPUTE_PGM_RSRC2:SCRATCH_EN: 1
; COMPUTE_PGM_RSRC2:USER_SGPR: 15
; COMPUTE_PGM_RSRC2:TRAP_HANDLER: 0
; COMPUTE_PGM_RSRC2:TGID_X_EN: 1
; COMPUTE_PGM_RSRC2:TGID_Y_EN: 0
; COMPUTE_PGM_RSRC2:TGID_Z_EN: 0
; COMPUTE_PGM_RSRC2:TIDIG_COMP_CNT: 0
	.section	.text._Z39paged_attention_ll4mi_QKV_mfma16_kernelIDF16_DF16_LN4vllm18Fp8KVCacheDataTypeE0EhLi16ELi64ELi256ELb1ELi5EL8MFMAType0EEvPKT_PKT0_S8_ifPKiSA_SA_iPKfiiiPfSD_PS3_PT2_iSC_SC_,"axG",@progbits,_Z39paged_attention_ll4mi_QKV_mfma16_kernelIDF16_DF16_LN4vllm18Fp8KVCacheDataTypeE0EhLi16ELi64ELi256ELb1ELi5EL8MFMAType0EEvPKT_PKT0_S8_ifPKiSA_SA_iPKfiiiPfSD_PS3_PT2_iSC_SC_,comdat
	.protected	_Z39paged_attention_ll4mi_QKV_mfma16_kernelIDF16_DF16_LN4vllm18Fp8KVCacheDataTypeE0EhLi16ELi64ELi256ELb1ELi5EL8MFMAType0EEvPKT_PKT0_S8_ifPKiSA_SA_iPKfiiiPfSD_PS3_PT2_iSC_SC_ ; -- Begin function _Z39paged_attention_ll4mi_QKV_mfma16_kernelIDF16_DF16_LN4vllm18Fp8KVCacheDataTypeE0EhLi16ELi64ELi256ELb1ELi5EL8MFMAType0EEvPKT_PKT0_S8_ifPKiSA_SA_iPKfiiiPfSD_PS3_PT2_iSC_SC_
	.globl	_Z39paged_attention_ll4mi_QKV_mfma16_kernelIDF16_DF16_LN4vllm18Fp8KVCacheDataTypeE0EhLi16ELi64ELi256ELb1ELi5EL8MFMAType0EEvPKT_PKT0_S8_ifPKiSA_SA_iPKfiiiPfSD_PS3_PT2_iSC_SC_
	.p2align	8
	.type	_Z39paged_attention_ll4mi_QKV_mfma16_kernelIDF16_DF16_LN4vllm18Fp8KVCacheDataTypeE0EhLi16ELi64ELi256ELb1ELi5EL8MFMAType0EEvPKT_PKT0_S8_ifPKiSA_SA_iPKfiiiPfSD_PS3_PT2_iSC_SC_,@function
_Z39paged_attention_ll4mi_QKV_mfma16_kernelIDF16_DF16_LN4vllm18Fp8KVCacheDataTypeE0EhLi16ELi64ELi256ELb1ELi5EL8MFMAType0EEvPKT_PKT0_S8_ifPKiSA_SA_iPKfiiiPfSD_PS3_PT2_iSC_SC_: ; @_Z39paged_attention_ll4mi_QKV_mfma16_kernelIDF16_DF16_LN4vllm18Fp8KVCacheDataTypeE0EhLi16ELi64ELi256ELb1ELi5EL8MFMAType0EEvPKT_PKT0_S8_ifPKiSA_SA_iPKfiiiPfSD_PS3_PT2_iSC_SC_
; %bb.0:
	s_load_b64 s[2:3], s[0:1], 0x30
	s_mov_b32 s34, s13
	s_waitcnt lgkmcnt(0)
	s_cmp_lg_u64 s[2:3], 0
	s_cselect_b32 s8, -1, 0
	s_ashr_i32 s35, s13, 31
	s_cmp_eq_u64 s[2:3], 0
	s_cbranch_scc1 .LBB6_3
; %bb.1:
	s_lshl_b64 s[4:5], s[34:35], 2
	s_delay_alu instid0(SALU_CYCLE_1) | instskip(SKIP_4) | instid1(SALU_CYCLE_1)
	s_add_u32 s4, s2, s4
	s_addc_u32 s5, s3, s5
	s_load_b64 s[4:5], s[4:5], 0x0
	s_waitcnt lgkmcnt(0)
	s_sub_i32 s4, s5, s4
	s_cmp_eq_u32 s4, 1
	s_cselect_b32 s4, -1, 0
	s_delay_alu instid0(SALU_CYCLE_1)
	s_and_not1_b32 vcc_lo, exec_lo, s4
	s_cbranch_vccz .LBB6_4
.LBB6_2:
	s_nop 0
	s_sendmsg sendmsg(MSG_DEALLOC_VGPRS)
	s_endpgm
.LBB6_3:
.LBB6_4:
	s_load_b64 s[4:5], s[0:1], 0x28
	s_lshl_b64 s[6:7], s[34:35], 2
	s_waitcnt lgkmcnt(0)
	s_add_u32 s4, s4, s6
	s_addc_u32 s5, s5, s7
	s_lshl_b32 s31, s14, 8
	s_load_b32 s30, s[4:5], 0x0
	s_waitcnt lgkmcnt(0)
	s_cmp_ge_i32 s31, s30
	s_cbranch_scc1 .LBB6_2
; %bb.5:
	s_clause 0x1
	s_load_b128 s[20:23], s[0:1], 0x8
	s_load_b64 s[4:5], s[0:1], 0x20
	s_and_not1_b32 vcc_lo, exec_lo, s8
	s_cbranch_vccnz .LBB6_7
; %bb.6:
	s_add_u32 s2, s2, s6
	s_addc_u32 s3, s3, s7
	s_load_b32 s3, s[2:3], 0x0
	s_branch .LBB6_8
.LBB6_7:
	s_mov_b32 s3, s34
.LBB6_8:
	s_load_b128 s[16:19], s[0:1], 0x48
	v_lshrrev_b32_e32 v149, 5, v0
	v_bfe_u32 v146, v0, 4, 1
	v_and_b32_e32 v148, 15, v0
	v_and_b32_e32 v150, 31, v0
	;; [unrolled: 1-line block ×3, first 2 shown]
	s_mul_i32 s33, s15, 5
	v_lshl_or_b32 v1, v149, 1, v146
	v_lshlrev_b32_e32 v2, 3, v148
	v_cmp_gt_u32_e64 s2, 8, v148
	s_delay_alu instid0(VALU_DEP_3) | instskip(NEXT) | instid1(VALU_DEP_3)
	v_cmp_gt_u32_e32 vcc_lo, 5, v1
	v_lshlrev_b32_e32 v145, 1, v2
	s_delay_alu instid0(VALU_DEP_3) | instskip(NEXT) | instid1(SALU_CYCLE_1)
	s_and_b32 s7, s2, vcc_lo
	s_and_saveexec_b32 s6, s7
	s_cbranch_execz .LBB6_10
; %bb.9:
	s_load_b64 s[8:9], s[0:1], 0x0
	v_add_lshl_u32 v2, v1, s33, 6
	s_waitcnt lgkmcnt(0)
	s_mul_hi_i32 s11, s3, s16
	s_mul_i32 s10, s3, s16
	v_lshlrev_b32_e32 v6, 10, v148
	s_lshl_b64 s[10:11], s[10:11], 1
	v_ashrrev_i32_e32 v3, 31, v2
	v_lshlrev_b32_e32 v1, 6, v1
	v_lshlrev_b32_e32 v7, 10, v147
	v_and_b32_e32 v6, 0x3800, v6
	s_delay_alu instid0(VALU_DEP_4) | instskip(NEXT) | instid1(VALU_DEP_2)
	v_lshlrev_b64 v[2:3], 1, v[2:3]
	v_or3_b32 v1, v6, v7, v1
	s_add_u32 s3, s8, s10
	s_addc_u32 s7, s9, s11
	s_delay_alu instid0(VALU_DEP_2) | instskip(NEXT) | instid1(VALU_DEP_3)
	v_add_co_u32 v2, vcc_lo, s3, v2
	v_add_co_ci_u32_e32 v3, vcc_lo, s7, v3, vcc_lo
	s_delay_alu instid0(VALU_DEP_2) | instskip(NEXT) | instid1(VALU_DEP_2)
	v_add_co_u32 v2, vcc_lo, v2, v145
	v_add_co_ci_u32_e32 v3, vcc_lo, 0, v3, vcc_lo
	global_load_b128 v[2:5], v[2:3], off
	s_waitcnt vmcnt(0)
	ds_store_b128 v1, v[2:5]
.LBB6_10:
	s_or_b32 exec_lo, exec_lo, s6
	v_and_b32_e32 v1, 0xef, v0
	s_waitcnt lgkmcnt(0)
	s_add_i32 s3, s30, 15
	s_clause 0x1
	s_load_b32 s6, s[0:1], 0x38
	s_load_b32 s35, s[0:1], 0x98
	s_ashr_i32 s7, s3, 31
	v_add_nc_u32_e32 v1, s31, v1
	s_lshr_b32 s7, s7, 28
	s_load_b32 s36, s[0:1], 0x1c
	s_add_i32 s3, s3, s7
	s_waitcnt lgkmcnt(0)
	v_ashrrev_i32_e32 v2, 31, v1
	v_or_b32_e32 v3, 16, v1
	s_ashr_i32 s3, s3, 4
	v_cmp_gt_i32_e32 vcc_lo, s30, v1
	s_add_i32 s3, s3, -1
	v_lshrrev_b32_e32 v2, 28, v2
	s_barrier
	buffer_gl0_inv
	v_add_nc_u32_e32 v4, v1, v2
	s_mul_i32 s6, s34, s6
	s_delay_alu instid0(SALU_CYCLE_1) | instskip(NEXT) | instid1(VALU_DEP_1)
	s_ashr_i32 s7, s6, 31
	v_ashrrev_i32_e32 v4, 4, v4
	v_add_nc_u32_e32 v2, v3, v2
	s_lshl_b64 s[6:7], s[6:7], 2
	s_delay_alu instid0(SALU_CYCLE_1) | instskip(NEXT) | instid1(VALU_DEP_2)
	s_add_u32 s16, s4, s6
	v_cndmask_b32_e32 v1, s3, v4, vcc_lo
	s_delay_alu instid0(VALU_DEP_2) | instskip(SKIP_3) | instid1(SALU_CYCLE_1)
	v_ashrrev_i32_e32 v2, 4, v2
	v_cmp_gt_i32_e32 vcc_lo, s30, v3
	s_addc_u32 s37, s5, s7
	s_mul_i32 s4, s15, s18
	s_ashr_i32 s5, s4, 31
	v_cndmask_b32_e32 v3, s3, v2, vcc_lo
	v_ashrrev_i32_e32 v2, 31, v1
	s_lshl_b64 s[12:13], s[4:5], 1
	s_delay_alu instid0(SALU_CYCLE_1) | instskip(NEXT) | instid1(VALU_DEP_2)
	s_add_u32 s26, s20, s12
	v_ashrrev_i32_e32 v4, 31, v3
	s_delay_alu instid0(VALU_DEP_2) | instskip(SKIP_2) | instid1(VALU_DEP_2)
	v_lshlrev_b64 v[1:2], 2, v[1:2]
	s_addc_u32 s27, s21, s13
	s_lshl_b32 s4, s14, 4
	v_lshlrev_b64 v[3:4], 2, v[3:4]
	s_ashr_i32 s5, s4, 31
	s_delay_alu instid0(VALU_DEP_2) | instskip(SKIP_1) | instid1(VALU_DEP_3)
	v_add_co_u32 v1, vcc_lo, s16, v1
	v_add_co_ci_u32_e32 v2, vcc_lo, s37, v2, vcc_lo
	v_add_co_u32 v3, vcc_lo, s16, v3
	s_delay_alu instid0(VALU_DEP_4)
	v_add_co_ci_u32_e32 v4, vcc_lo, s37, v4, vcc_lo
	s_clause 0x1
	global_load_b32 v5, v[1:2], off
	global_load_b32 v6, v[3:4], off
	s_lshl_b64 s[4:5], s[4:5], 2
	v_lshlrev_b32_e32 v3, 4, v0
	s_add_u32 s4, s16, s4
	s_addc_u32 s5, s37, s5
	s_or_b32 s6, s31, 16
	s_delay_alu instid0(SALU_CYCLE_1) | instskip(SKIP_2) | instid1(SALU_CYCLE_1)
	s_ashr_i32 s7, s6, 4
	s_cmp_lt_i32 s6, s30
	s_cselect_b32 s6, s7, s3
	s_ashr_i32 s7, s6, 31
	s_delay_alu instid0(SALU_CYCLE_1) | instskip(NEXT) | instid1(SALU_CYCLE_1)
	s_lshl_b64 s[6:7], s[6:7], 2
	s_add_u32 s6, s16, s6
	s_addc_u32 s7, s37, s7
	s_or_b32 s8, s31, 32
	s_delay_alu instid0(SALU_CYCLE_1) | instskip(SKIP_2) | instid1(SALU_CYCLE_1)
	s_ashr_i32 s9, s8, 4
	s_cmp_lt_i32 s8, s30
	s_cselect_b32 s8, s9, s3
	s_ashr_i32 s9, s8, 31
	s_delay_alu instid0(SALU_CYCLE_1) | instskip(NEXT) | instid1(SALU_CYCLE_1)
	s_lshl_b64 s[8:9], s[8:9], 2
	;; [unrolled: 10-line block ×5, first 2 shown]
	s_add_u32 s24, s16, s18
	s_addc_u32 s25, s37, s19
	s_clause 0x5
	s_load_b32 s38, s[4:5], 0x0
	s_load_b32 s29, s[6:7], 0x0
	s_load_b32 s28, s[8:9], 0x0
	s_load_b32 s19, s[10:11], 0x0
	s_load_b32 s18, s[20:21], 0x0
	s_load_b32 s15, s[24:25], 0x0
	s_waitcnt vmcnt(1)
	v_mad_i64_i32 v[1:2], null, v5, s17, 0
	v_and_b32_e32 v5, 0xf0, v3
	s_waitcnt vmcnt(0)
	v_mad_i64_i32 v[3:4], null, v6, s17, 0
	s_delay_alu instid0(VALU_DEP_2) | instskip(NEXT) | instid1(VALU_DEP_4)
	v_add_co_u32 v7, s4, s26, v5
	v_lshlrev_b64 v[1:2], 1, v[1:2]
	v_add_co_ci_u32_e64 v8, null, s27, 0, s4
	s_delay_alu instid0(VALU_DEP_4) | instskip(SKIP_1) | instid1(VALU_DEP_3)
	v_lshlrev_b64 v[5:6], 1, v[3:4]
	s_or_b32 s4, s31, 0x60
	v_add_co_u32 v3, vcc_lo, v7, v1
	s_delay_alu instid0(VALU_DEP_3) | instskip(NEXT) | instid1(VALU_DEP_3)
	v_add_co_ci_u32_e32 v4, vcc_lo, v8, v2, vcc_lo
	v_add_co_u32 v1, vcc_lo, v7, v5
	s_delay_alu instid0(VALU_DEP_4)
	v_add_co_ci_u32_e32 v2, vcc_lo, v8, v6, vcc_lo
	s_clause 0x9
	global_load_b128 v[9:12], v[3:4], off
	global_load_b128 v[13:16], v[3:4], off offset:256
	global_load_b128 v[129:132], v[1:2], off
	global_load_b128 v[133:136], v[1:2], off offset:256
	global_load_b128 v[41:44], v[3:4], off offset:512
	;; [unrolled: 1-line block ×7, first 2 shown]
	v_mul_lo_u16 v5, v148, 52
	s_clause 0x1
	global_load_b128 v[151:154], v[1:2], off offset:1024
	global_load_b128 v[155:158], v[1:2], off offset:1280
	s_ashr_i32 s5, s4, 4
	s_cmp_lt_i32 s4, s30
	v_lshlrev_b32_e32 v6, 5, v148
	v_lshrrev_b16 v5, 8, v5
	s_cselect_b32 s4, s5, s3
	s_delay_alu instid0(SALU_CYCLE_1) | instskip(NEXT) | instid1(VALU_DEP_2)
	s_ashr_i32 s5, s4, 31
	v_lshl_or_b32 v6, v149, 9, v6
	s_delay_alu instid0(VALU_DEP_2) | instskip(SKIP_1) | instid1(SALU_CYCLE_1)
	v_mul_lo_u16 v5, v5, 5
	s_lshl_b64 s[4:5], s[4:5], 2
	s_add_u32 s20, s16, s4
	s_addc_u32 s21, s37, s5
	s_delay_alu instid0(VALU_DEP_1) | instskip(SKIP_1) | instid1(SALU_CYCLE_1)
	v_sub_nc_u16 v5, v148, v5
	s_or_b32 s4, s31, 0x70
	s_ashr_i32 s5, s4, 4
	s_cmp_lt_i32 s4, s30
	s_delay_alu instid0(VALU_DEP_1) | instskip(SKIP_1) | instid1(SALU_CYCLE_1)
	v_and_b32_e32 v5, 0xff, v5
	s_cselect_b32 s4, s5, s3
	s_ashr_i32 s5, s4, 31
	s_delay_alu instid0(VALU_DEP_1)
	v_lshlrev_b32_e32 v197, 6, v5
	ds_load_b128 v[159:162], v197
	ds_load_b128 v[163:166], v197 offset:1024
	s_clause 0x3
	global_load_b128 v[167:170], v[3:4], off offset:1536
	global_load_b128 v[171:174], v[3:4], off offset:1792
	;; [unrolled: 1-line block ×4, first 2 shown]
	s_lshl_b64 s[6:7], s[4:5], 2
	s_mov_b32 s4, 0
	s_add_u32 s24, s16, s6
	s_addc_u32 s25, s37, s7
	s_or_b32 s5, s31, 0x80
	s_mov_b32 s11, s4
	s_ashr_i32 s6, s5, 4
	s_cmp_lt_i32 s5, s30
	s_mov_b32 s5, s4
	s_cselect_b32 s8, s6, s3
	s_mov_b32 s6, s4
	s_ashr_i32 s9, s8, 31
	s_mov_b32 s7, s4
	s_lshl_b64 s[8:9], s[8:9], 2
	s_clause 0x1
	s_load_b32 s45, s[20:21], 0x0
	s_load_b32 s46, s[24:25], 0x0
	s_add_u32 s26, s16, s8
	s_addc_u32 s27, s37, s9
	s_or_b32 s9, s31, 0x90
	s_mov_b32 s8, s4
	s_ashr_i32 s10, s9, 4
	s_cmp_lt_i32 s9, s30
	s_mov_b32 s9, s4
	s_cselect_b32 s40, s10, s3
	s_mov_b32 s10, s4
	s_ashr_i32 s41, s40, 31
	v_mov_b32_e32 v144, s11
	s_lshl_b64 s[40:41], s[40:41], 2
	v_mov_b32_e32 v143, s10
	s_add_u32 s40, s16, s40
	s_addc_u32 s41, s37, s41
	s_or_b32 s39, s31, 0xa0
	s_load_b32 s41, s[40:41], 0x0
	s_ashr_i32 s42, s39, 4
	s_cmp_lt_i32 s39, s30
	v_mov_b32_e32 v142, s9
	s_cselect_b32 s42, s42, s3
	v_mov_b32_e32 v141, s8
	s_ashr_i32 s43, s42, 31
	v_dual_mov_b32 v140, s7 :: v_dual_mov_b32 v139, s6
	v_dual_mov_b32 v138, s5 :: v_dual_mov_b32 v137, s4
	s_lshl_b64 s[4:5], s[42:43], 2
	s_waitcnt lgkmcnt(0)
	s_mul_hi_i32 s7, s29, s17
	s_add_u32 s42, s16, s4
	s_addc_u32 s43, s37, s5
	s_or_b32 s4, s31, 0xb0
	s_mul_hi_i32 s5, s38, s17
	s_ashr_i32 s6, s4, 4
	s_cmp_lt_i32 s4, s30
	s_mul_i32 s4, s38, s17
	s_cselect_b32 s8, s6, s3
	s_mul_i32 s6, s29, s17
	s_ashr_i32 s9, s8, 31
	s_load_b32 s40, s[42:43], 0x0
	s_lshl_b64 s[8:9], s[8:9], 2
	s_mul_hi_i32 s21, s15, s17
	s_add_u32 s38, s16, s8
	s_addc_u32 s39, s37, s9
	s_or_b32 s8, s31, 0xc0
	s_mul_hi_i32 s9, s28, s17
	s_ashr_i32 s10, s8, 4
	s_cmp_lt_i32 s8, s30
	s_mul_i32 s8, s28, s17
	s_cselect_b32 s28, s10, s3
	s_mul_hi_i32 s11, s19, s17
	s_ashr_i32 s29, s28, 31
	s_mul_i32 s10, s19, s17
	s_lshl_b64 s[28:29], s[28:29], 2
	s_mul_hi_i32 s19, s18, s17
	s_add_u32 s28, s16, s28
	s_addc_u32 s29, s37, s29
	s_or_b32 s44, s31, 0xd0
	s_mul_i32 s18, s18, s17
	s_ashr_i32 s20, s44, 4
	s_cmp_lt_i32 s44, s30
	s_load_b32 s44, s[26:27], 0x0
	s_cselect_b32 s24, s20, s3
	s_mul_i32 s20, s15, s17
	s_ashr_i32 s25, s24, 31
	s_mul_hi_i32 s27, s46, s17
	s_lshl_b64 s[24:25], s[24:25], 2
	s_mul_i32 s26, s46, s17
	s_add_u32 s24, s16, s24
	s_addc_u32 s25, s37, s25
	s_or_b32 s42, s31, 0xe0
	s_clause 0x2
	s_load_b32 s39, s[38:39], 0x0
	s_load_b32 s38, s[28:29], 0x0
	;; [unrolled: 1-line block ×3, first 2 shown]
	s_ashr_i32 s47, s42, 4
	s_cmp_lt_i32 s42, s30
	s_mul_hi_i32 s25, s45, s17
	s_mul_i32 s24, s45, s17
	s_mul_hi_i32 s43, s41, s17
	s_mul_i32 s42, s41, s17
	s_waitcnt lgkmcnt(0)
	s_mul_hi_i32 s41, s40, s17
	s_mul_i32 s40, s40, s17
	s_mul_hi_i32 s29, s44, s17
	s_mul_i32 s28, s44, s17
	s_cselect_b32 s44, s47, s3
	s_delay_alu instid0(SALU_CYCLE_1) | instskip(NEXT) | instid1(SALU_CYCLE_1)
	s_ashr_i32 s45, s44, 31
	s_lshl_b64 s[44:45], s[44:45], 2
	s_delay_alu instid0(SALU_CYCLE_1)
	s_add_u32 s44, s16, s44
	s_addc_u32 s45, s37, s45
	s_or_b32 s46, s31, 0xf0
	s_mul_hi_i32 s51, s15, s17
	s_ashr_i32 s48, s46, 4
	s_cmp_lt_i32 s46, s30
	s_mul_i32 s50, s15, s17
	s_cselect_b32 s48, s48, s3
	s_mul_hi_i32 s47, s39, s17
	s_ashr_i32 s49, s48, 31
	s_mul_i32 s46, s39, s17
	s_lshl_b64 s[48:49], s[48:49], 2
	s_mul_hi_i32 s39, s38, s17
	s_add_u32 s48, s16, s48
	s_addc_u32 s49, s37, s49
	s_add_u32 s3, s22, s12
	s_addc_u32 s15, s23, s13
	v_add_co_u32 v195, s3, s3, v6
	s_delay_alu instid0(VALU_DEP_1) | instskip(SKIP_2) | instid1(VALU_DEP_2)
	v_add_co_ci_u32_e64 v196, null, s15, 0, s3
	s_lshl_b64 s[4:5], s[4:5], 1
	s_lshl_b64 s[6:7], s[6:7], 1
	v_add_co_u32 v1, vcc_lo, v195, s4
	s_delay_alu instid0(VALU_DEP_2)
	v_add_co_ci_u32_e32 v2, vcc_lo, s5, v196, vcc_lo
	v_add_co_u32 v3, vcc_lo, v195, s6
	s_lshl_b64 s[8:9], s[8:9], 1
	v_add_co_ci_u32_e32 v4, vcc_lo, s7, v196, vcc_lo
	v_add_co_u32 v5, vcc_lo, v195, s8
	s_lshl_b64 s[10:11], s[10:11], 1
	;; [unrolled: 3-line block ×10, first 2 shown]
	s_mul_i32 s38, s38, s17
	v_add_co_ci_u32_e32 v184, vcc_lo, s29, v196, vcc_lo
	v_add_co_u32 v185, vcc_lo, v195, s40
	s_lshl_b64 s[38:39], s[38:39], 1
	s_clause 0x1
	s_load_b32 s3, s[44:45], 0x0
	s_load_b32 s15, s[48:49], 0x0
	v_add_co_ci_u32_e32 v186, vcc_lo, s41, v196, vcc_lo
	v_add_co_u32 v191, vcc_lo, v195, s38
	v_add_co_ci_u32_e32 v192, vcc_lo, s39, v196, vcc_lo
	s_clause 0x17
	global_load_b128 v[121:124], v[1:2], off
	global_load_b128 v[125:128], v[1:2], off offset:16
	global_load_b128 v[113:116], v[3:4], off
	global_load_b128 v[117:120], v[3:4], off offset:16
	;; [unrolled: 2-line block ×12, first 2 shown]
	s_lshl_b64 s[42:43], s[50:51], 1
	s_delay_alu instid0(SALU_CYCLE_1)
	v_add_co_u32 v193, vcc_lo, v195, s42
	v_add_co_ci_u32_e32 v194, vcc_lo, s43, v196, vcc_lo
	s_waitcnt lgkmcnt(0)
	s_mul_hi_i32 s5, s3, s17
	s_mul_i32 s4, s3, s17
	s_mul_hi_i32 s7, s15, s17
	s_lshl_b64 s[4:5], s[4:5], 1
	s_mul_i32 s6, s15, s17
	s_waitcnt vmcnt(38)
	v_wmma_f32_16x16x16_f16 v[183:190], v[9:16], v[159:166], v[137:144]
	s_waitcnt vmcnt(36)
	v_wmma_f32_16x16x16_f16 v[137:144], v[129:136], v[159:166], v[137:144]
	s_clause 0x1
	global_load_b128 v[9:12], v[191:192], off
	global_load_b128 v[13:16], v[191:192], off offset:16
	ds_load_b128 v[129:132], v197 offset:2048
	ds_load_b128 v[133:136], v197 offset:3072
	;; [unrolled: 1-line block ×4, first 2 shown]
	v_add_co_u32 v191, vcc_lo, v195, s4
	v_add_co_ci_u32_e32 v192, vcc_lo, s5, v196, vcc_lo
	s_lshl_b64 s[4:5], s[6:7], 1
	s_delay_alu instid0(SALU_CYCLE_1)
	v_add_co_u32 v195, vcc_lo, v195, s4
	v_add_co_ci_u32_e32 v196, vcc_lo, s5, v196, vcc_lo
	s_waitcnt vmcnt(36) lgkmcnt(2)
	v_wmma_f32_16x16x16_f16 v[183:190], v[41:48], v[129:136], v[183:190]
	s_waitcnt vmcnt(34)
	v_wmma_f32_16x16x16_f16 v[137:144], v[33:40], v[129:136], v[137:144]
	s_clause 0x3
	global_load_b128 v[33:36], v[193:194], off
	global_load_b128 v[37:40], v[193:194], off offset:16
	global_load_b128 v[41:44], v[191:192], off
	global_load_b128 v[45:48], v[191:192], off offset:16
	v_and_b32_e32 v129, 0xe0, v0
	v_mbcnt_lo_u32_b32 v191, -1, 0
	s_waitcnt vmcnt(36) lgkmcnt(0)
	v_wmma_f32_16x16x16_f16 v[183:190], v[17:24], v[159:166], v[183:190]
	s_clause 0x1
	global_load_b128 v[17:20], v[195:196], off
	global_load_b128 v[21:24], v[195:196], off offset:16
	s_waitcnt vmcnt(36)
	v_wmma_f32_16x16x16_f16 v[137:144], v[151:158], v[159:166], v[137:144]
	v_add_nc_u32_e32 v192, s31, v129
	ds_load_b128 v[129:132], v197 offset:6144
	ds_load_b128 v[133:136], v197 offset:7168
	v_xor_b32_e32 v151, 16, v191
	s_waitcnt vmcnt(0) lgkmcnt(0)
	s_barrier
	v_or_b32_e32 v152, v192, v146
	buffer_gl0_inv
	v_cmp_gt_i32_e32 vcc_lo, 32, v151
	v_or_b32_e32 v153, 2, v152
	v_or_b32_e32 v154, 4, v152
	v_or_b32_e32 v155, 6, v152
	v_or_b32_e32 v156, 8, v152
	v_or_b32_e32 v157, 10, v152
	v_cmp_gt_i32_e64 s3, s30, v153
	v_cmp_gt_i32_e64 s4, s30, v154
	;; [unrolled: 1-line block ×3, first 2 shown]
	v_or_b32_e32 v158, 12, v152
	v_or_b32_e32 v159, 14, v152
	v_cmp_gt_i32_e64 s6, s30, v156
	v_wmma_f32_16x16x16_f16 v[183:190], v[167:174], v[129:136], v[183:190]
	v_wmma_f32_16x16x16_f16 v[137:144], v[175:182], v[129:136], v[137:144]
	v_cndmask_b32_e32 v151, v191, v151, vcc_lo
	v_cmp_gt_i32_e32 vcc_lo, s30, v152
	v_cmp_gt_i32_e64 s7, s30, v157
	v_dual_mul_f32 v135, s36, v184 :: v_dual_mul_f32 v136, s36, v183
	v_mul_f32_e32 v134, s36, v185
	v_dual_mul_f32 v168, s36, v144 :: v_dual_mul_f32 v133, s36, v186
	s_delay_alu instid0(VALU_DEP_3) | instskip(NEXT) | instid1(VALU_DEP_4)
	v_cndmask_b32_e64 v135, 0xff7fffff, v135, s3
	v_cndmask_b32_e32 v136, 0xff7fffff, v136, vcc_lo
	v_dual_mul_f32 v131, s36, v188 :: v_dual_mul_f32 v174, s36, v138
	v_mul_f32_e32 v132, s36, v187
	v_cndmask_b32_e64 v134, 0xff7fffff, v134, s4
	v_cndmask_b32_e64 v133, 0xff7fffff, v133, s5
	v_max3_f32 v135, v136, 0xff7fffff, v135
	v_or_b32_e32 v160, 16, v152
	v_or_b32_e32 v161, 18, v152
	v_dual_mul_f32 v129, s36, v190 :: v_dual_mul_f32 v172, s36, v140
	v_mul_f32_e32 v130, s36, v189
	v_cndmask_b32_e64 v132, 0xff7fffff, v132, s6
	v_cndmask_b32_e64 v131, 0xff7fffff, v131, s7
	v_max3_f32 v133, v135, v134, v133
	v_cmp_gt_i32_e64 s8, s30, v158
	v_cmp_gt_i32_e64 s9, s30, v159
	v_or_b32_e32 v162, 20, v152
	v_or_b32_e32 v163, 22, v152
	v_mul_f32_e32 v175, s36, v137
	v_cndmask_b32_e64 v130, 0xff7fffff, v130, s8
	v_cndmask_b32_e64 v129, 0xff7fffff, v129, s9
	v_max3_f32 v131, v133, v132, v131
	v_cmp_gt_i32_e64 s10, s30, v160
	v_cmp_gt_i32_e64 s11, s30, v161
	v_or_b32_e32 v164, 24, v152
	v_or_b32_e32 v165, 26, v152
	;; [unrolled: 8-line block ×3, first 2 shown]
	v_dual_mul_f32 v170, s36, v142 :: v_dual_mul_f32 v171, s36, v141
	v_cndmask_b32_e64 v130, 0xff7fffff, v173, s12
	v_cndmask_b32_e64 v131, 0xff7fffff, v172, s13
	v_max3_f32 v129, v129, v132, v133
	v_cmp_gt_i32_e64 s15, s30, v164
	v_cmp_gt_i32_e64 s16, s30, v165
	v_mul_f32_e32 v169, s36, v143
	v_cmp_gt_i32_e64 s17, s30, v166
	v_max3_f32 v129, v129, v130, v131
	v_cndmask_b32_e64 v132, 0xff7fffff, v171, s15
	v_cndmask_b32_e64 v133, 0xff7fffff, v170, s16
	v_cmp_gt_i32_e64 s18, s30, v167
	v_cndmask_b32_e64 v130, 0xff7fffff, v169, s17
	s_delay_alu instid0(VALU_DEP_3) | instskip(NEXT) | instid1(VALU_DEP_3)
	v_max3_f32 v129, v129, v132, v133
	v_cndmask_b32_e64 v131, 0xff7fffff, v168, s18
	v_lshlrev_b32_e32 v132, 2, v151
	s_delay_alu instid0(VALU_DEP_2) | instskip(SKIP_3) | instid1(VALU_DEP_1)
	v_max3_f32 v129, v129, v130, v131
	ds_bpermute_b32 v130, v132, v129
	s_waitcnt lgkmcnt(0)
	v_max_f32_e32 v130, v130, v130
	v_max_f32_e32 v129, v129, v130
	s_delay_alu instid0(VALU_DEP_1)
	v_fma_f32 v134, s36, v186, -v129
	v_fma_f32 v130, s36, v183, -v129
	;; [unrolled: 1-line block ×5, first 2 shown]
	v_mul_f32_e32 v134, 0x3fb8aa3b, v134
	s_delay_alu instid0(VALU_DEP_4) | instskip(SKIP_1) | instid1(VALU_DEP_4)
	v_dual_mul_f32 v130, 0x3fb8aa3b, v130 :: v_dual_mul_f32 v131, 0x3fb8aa3b, v131
	v_fma_f32 v135, s36, v187, -v129
	v_mul_f32_e32 v136, 0x3fb8aa3b, v136
	s_delay_alu instid0(VALU_DEP_4) | instskip(NEXT) | instid1(VALU_DEP_3)
	v_exp_f32_e32 v134, v134
	v_exp_f32_e32 v130, v130
	;; [unrolled: 1-line block ×3, first 2 shown]
	v_mul_f32_e32 v135, 0x3fb8aa3b, v135
	v_exp_f32_e32 v136, v136
	s_delay_alu instid0(VALU_DEP_1) | instskip(SKIP_4) | instid1(TRANS32_DEP_3)
	v_exp_f32_e32 v135, v135
	v_cndmask_b32_e64 v153, 0, v134, s5
	v_fma_f32 v134, s36, v137, -v129
	v_dual_mul_f32 v133, 0x3fb8aa3b, v133 :: v_dual_cndmask_b32 v152, 0, v130
	v_fma_f32 v130, s36, v188, -v129
	v_cndmask_b32_e64 v151, 0, v131, s3
	s_delay_alu instid0(VALU_DEP_4) | instskip(NEXT) | instid1(VALU_DEP_4)
	v_mul_f32_e32 v134, 0x3fb8aa3b, v134
	v_exp_f32_e32 v133, v133
	s_delay_alu instid0(VALU_DEP_3) | instskip(SKIP_3) | instid1(VALU_DEP_4)
	v_dual_add_f32 v131, 0, v152 :: v_dual_mul_f32 v130, 0x3fb8aa3b, v130
	v_cndmask_b32_e64 v156, 0, v136, s8
	v_fma_f32 v136, s36, v140, -v129
	v_cndmask_b32_e64 v155, 0, v135, s6
	v_add_f32_e32 v131, v131, v151
	v_exp_f32_e32 v130, v130
	v_fma_f32 v135, s36, v138, -v129
	v_mul_f32_e32 v136, 0x3fb8aa3b, v136
	s_delay_alu instid0(TRANS32_DEP_2)
	v_cndmask_b32_e64 v154, 0, v133, s4
	v_fma_f32 v133, s36, v190, -v129
	v_exp_f32_e32 v134, v134
	v_cmp_gt_u32_e64 s3, 16, v150
	v_exp_f32_e32 v136, v136
	v_add_f32_e32 v131, v131, v154
	s_delay_alu instid0(TRANS32_DEP_3) | instskip(NEXT) | instid1(VALU_DEP_2)
	v_cndmask_b32_e64 v138, 0, v130, s7
	v_add_f32_e32 v131, v131, v153
	s_delay_alu instid0(VALU_DEP_1) | instskip(NEXT) | instid1(VALU_DEP_1)
	v_dual_mul_f32 v133, 0x3fb8aa3b, v133 :: v_dual_add_f32 v130, v131, v155
	v_exp_f32_e32 v133, v133
	v_fma_f32 v131, s36, v139, -v129
	s_delay_alu instid0(VALU_DEP_2) | instskip(NEXT) | instid1(VALU_DEP_1)
	v_add_f32_e32 v130, v130, v138
	v_add_f32_e32 v130, v130, v156
	s_waitcnt_depctr 0xfff
	v_cndmask_b32_e64 v139, 0, v133, s9
	v_fma_f32 v133, s36, v141, -v129
	v_cndmask_b32_e64 v141, 0, v134, s10
	v_fma_f32 v134, s36, v142, -v129
	v_cndmask_b32_e64 v142, 0, v136, s13
	v_add_f32_e32 v130, v130, v139
	s_delay_alu instid0(VALU_DEP_3) | instskip(NEXT) | instid1(VALU_DEP_2)
	v_dual_mul_f32 v135, 0x3fb8aa3b, v135 :: v_dual_mul_f32 v134, 0x3fb8aa3b, v134
	v_add_f32_e32 v130, v130, v141
	s_delay_alu instid0(VALU_DEP_2) | instskip(NEXT) | instid1(VALU_DEP_2)
	v_exp_f32_e32 v135, v135
	v_exp_f32_e32 v134, v134
	s_waitcnt_depctr 0xfff
	v_cndmask_b32_e64 v140, 0, v135, s11
	v_mul_f32_e32 v131, 0x3fb8aa3b, v131
	v_fma_f32 v135, s36, v143, -v129
	s_delay_alu instid0(VALU_DEP_3) | instskip(NEXT) | instid1(VALU_DEP_3)
	v_add_f32_e32 v130, v130, v140
	v_exp_f32_e32 v131, v131
	s_waitcnt_depctr 0xfff
	v_cndmask_b32_e64 v143, 0, v131, s12
	s_delay_alu instid0(VALU_DEP_1) | instskip(NEXT) | instid1(VALU_DEP_1)
	v_dual_mul_f32 v133, 0x3fb8aa3b, v133 :: v_dual_add_f32 v130, v130, v143
	v_exp_f32_e32 v133, v133
	v_mul_f32_e32 v131, 0x3fb8aa3b, v135
	v_fma_f32 v135, s36, v144, -v129
	v_cndmask_b32_e64 v144, 0, v134, s16
	v_add_f32_e32 v130, v130, v142
	s_delay_alu instid0(VALU_DEP_4) | instskip(SKIP_2) | instid1(VALU_DEP_1)
	v_exp_f32_e32 v131, v131
	s_waitcnt_depctr 0xfff
	v_cndmask_b32_e64 v157, 0, v133, s15
	v_dual_mul_f32 v133, 0x3fb8aa3b, v135 :: v_dual_add_f32 v130, v130, v157
	s_delay_alu instid0(VALU_DEP_1) | instskip(SKIP_1) | instid1(VALU_DEP_2)
	v_exp_f32_e32 v133, v133
	v_cndmask_b32_e64 v159, 0, v131, s17
	v_add_f32_e32 v130, v130, v144
	s_delay_alu instid0(VALU_DEP_1) | instskip(SKIP_2) | instid1(VALU_DEP_1)
	v_add_f32_e32 v130, v130, v159
	s_waitcnt_depctr 0xfff
	v_cndmask_b32_e64 v158, 0, v133, s18
	v_add_f32_e32 v130, v130, v158
	ds_bpermute_b32 v131, v132, v130
	s_and_saveexec_b32 s4, s3
	s_cbranch_execz .LBB6_12
; %bb.11:
	v_mul_u32_u24_e32 v132, 0x44, v149
	s_delay_alu instid0(VALU_DEP_1) | instskip(SKIP_1) | instid1(VALU_DEP_1)
	v_lshl_add_u32 v132, v148, 2, v132
	s_waitcnt lgkmcnt(0)
	v_dual_add_f32 v130, v130, v131 :: v_dual_add_nc_u32 v131, 0x4000, v132
	ds_store_2addr_b32 v131, v129, v130 offset1:136
.LBB6_12:
	s_or_b32 exec_lo, exec_lo, s4
	v_lshlrev_b32_e32 v129, 2, v148
	s_load_b32 s36, s[0:1], 0x94
	s_waitcnt lgkmcnt(0)
	s_barrier
	buffer_gl0_inv
	v_add_nc_u32_e32 v135, 0x4000, v129
	v_cmp_eq_u32_e32 vcc_lo, 1, v149
	v_cmp_eq_u32_e64 s4, 2, v149
	v_cmp_eq_u32_e64 s5, 3, v149
	;; [unrolled: 1-line block ×3, first 2 shown]
	ds_load_2addr_b32 v[129:130], v135 offset1:17
	ds_load_2addr_b32 v[131:132], v135 offset0:34 offset1:51
	ds_load_2addr_b32 v[133:134], v135 offset0:68 offset1:85
	;; [unrolled: 1-line block ×3, first 2 shown]
	v_cmp_eq_u32_e64 s7, 5, v149
	v_cmp_eq_u32_e64 s8, 7, v149
	s_waitcnt lgkmcnt(3)
	v_max3_f32 v136, v129, 0xff7fffff, v130
	s_waitcnt lgkmcnt(2)
	s_delay_alu instid0(VALU_DEP_1) | instskip(SKIP_1) | instid1(VALU_DEP_1)
	v_max3_f32 v136, v136, v131, v132
	s_waitcnt lgkmcnt(1)
	v_max3_f32 v136, v136, v133, v134
	s_waitcnt lgkmcnt(0)
	s_delay_alu instid0(VALU_DEP_1) | instskip(NEXT) | instid1(VALU_DEP_1)
	v_max3_f32 v136, v136, v160, v161
	v_sub_f32_e32 v164, v132, v136
	ds_load_2addr_b32 v[162:163], v135 offset0:136 offset1:153
	v_sub_f32_e32 v129, v129, v136
	v_sub_f32_e32 v137, v130, v136
	;; [unrolled: 1-line block ×3, first 2 shown]
	v_mul_f32_e32 v164, 0x3fb8aa3b, v164
	s_delay_alu instid0(VALU_DEP_4) | instskip(NEXT) | instid1(VALU_DEP_4)
	v_mul_f32_e32 v150, 0x3fb8aa3b, v129
	v_mul_f32_e32 v137, 0x3fb8aa3b, v137
	ds_load_2addr_b32 v[129:130], v135 offset0:170 offset1:187
	v_mul_f32_e32 v167, 0x3fb8aa3b, v133
	v_exp_f32_e32 v164, v164
	v_exp_f32_e32 v150, v150
	;; [unrolled: 1-line block ×3, first 2 shown]
	v_sub_f32_e32 v131, v131, v136
	s_delay_alu instid0(VALU_DEP_1)
	v_mul_f32_e32 v165, 0x3fb8aa3b, v131
	ds_load_2addr_b32 v[131:132], v135 offset0:204 offset1:221
	s_waitcnt lgkmcnt(2)
	v_fma_f32 v137, v150, v162, 0
	v_sub_f32_e32 v162, v134, v136
	v_exp_f32_e32 v165, v165
	ds_load_2addr_b32 v[133:134], v135 offset0:238 offset1:255
	v_sub_f32_e32 v135, v160, v136
	v_dual_fmac_f32 v137, v166, v163 :: v_dual_mul_f32 v160, 0x3fb8aa3b, v162
	v_exp_f32_e32 v162, v167
	s_waitcnt lgkmcnt(0)
	s_delay_alu instid0(VALU_DEP_2)
	v_mul_f32_e32 v135, 0x3fb8aa3b, v135
	s_barrier
	v_exp_f32_e32 v160, v160
	v_fmac_f32_e32 v137, v165, v129
	v_sub_f32_e32 v129, v161, v136
	v_exp_f32_e32 v161, v135
	buffer_gl0_inv
	v_fmac_f32_e32 v137, v164, v130
	v_dual_mul_f32 v129, 0x3fb8aa3b, v129 :: v_dual_cndmask_b32 v130, v150, v166
	s_delay_alu instid0(VALU_DEP_2) | instskip(NEXT) | instid1(VALU_DEP_2)
	v_fmac_f32_e32 v137, v162, v131
	v_exp_f32_e32 v163, v129
	s_delay_alu instid0(VALU_DEP_1) | instskip(NEXT) | instid1(VALU_DEP_1)
	v_fmac_f32_e32 v137, v160, v132
	v_fmac_f32_e32 v137, v161, v133
	v_lshlrev_b32_e32 v133, 6, v148
	s_waitcnt_depctr 0xfff
	v_fmac_f32_e32 v137, v163, v134
	v_lshl_or_b32 v135, v149, 11, v133
	s_delay_alu instid0(VALU_DEP_2) | instskip(NEXT) | instid1(VALU_DEP_1)
	v_add_f32_e32 v134, 0x358637bd, v137
	v_div_scale_f32 v167, null, v134, v134, 1.0
	v_div_scale_f32 v150, vcc_lo, 1.0, v134, 1.0
	s_delay_alu instid0(VALU_DEP_2) | instskip(SKIP_2) | instid1(VALU_DEP_1)
	v_rcp_f32_e32 v168, v167
	s_waitcnt_depctr 0xfff
	v_fma_f32 v129, -v167, v168, 1.0
	v_fmac_f32_e32 v168, v129, v168
	v_cndmask_b32_e64 v129, v130, v165, s4
	v_cmp_eq_u32_e64 s4, 6, v149
	s_delay_alu instid0(VALU_DEP_3) | instskip(NEXT) | instid1(VALU_DEP_3)
	v_mul_f32_e32 v165, v150, v168
	v_cndmask_b32_e64 v130, v129, v164, s5
	v_lshlrev_b32_e32 v129, 2, v146
	s_delay_alu instid0(VALU_DEP_3) | instskip(NEXT) | instid1(VALU_DEP_3)
	v_fma_f32 v131, -v167, v165, v150
	v_cndmask_b32_e64 v162, v130, v162, s6
	s_delay_alu instid0(VALU_DEP_3)
	v_or_b32_e32 v130, 1, v129
	v_or_b32_e32 v132, 2, v129
	v_cmp_eq_u32_e64 s5, 1, v129
	v_fmac_f32_e32 v165, v131, v168
	v_cndmask_b32_e64 v149, v162, v160, s7
	v_or_b32_e32 v131, 3, v129
	v_cmp_eq_u32_e64 s10, 1, v130
	v_cmp_eq_u32_e64 s11, 1, v132
	v_fma_f32 v150, -v167, v165, v150
	v_cndmask_b32_e64 v149, v149, v161, s4
	v_cmp_eq_u32_e64 s12, 1, v131
	v_cmp_eq_u32_e64 s6, 2, v129
	;; [unrolled: 1-line block ×3, first 2 shown]
	v_div_fmas_f32 v150, v150, v168, v165
	v_cndmask_b32_e64 v149, v149, v163, s8
	v_cmp_eq_u32_e64 s16, 2, v132
	v_cmp_eq_u32_e64 s17, 2, v131
	v_cmp_eq_u32_e32 vcc_lo, 3, v129
	v_div_fixup_f32 v150, v150, v134, 1.0
	v_lshl_or_b32 v134, v146, 4, v135
	v_cmp_eq_u32_e64 s15, 3, v130
	v_cmp_eq_u32_e64 s19, 3, v131
	;; [unrolled: 1-line block ×3, first 2 shown]
	v_mul_f32_e32 v149, v149, v150
	v_cmp_eq_u32_e64 s18, 3, v132
	v_cmp_eq_u32_e64 s20, 4, v130
	;; [unrolled: 1-line block ×4, first 2 shown]
	v_fma_mixlo_f16 v160, v149, v152, 0
	v_fma_mixlo_f16 v161, v149, v154, 0
	;; [unrolled: 1-line block ×8, first 2 shown]
	v_fma_mixhi_f16 v160, v149, v151, 0
	v_fma_mixhi_f16 v161, v149, v153, 0
	;; [unrolled: 1-line block ×8, first 2 shown]
	ds_store_b128 v134, v[160:163]
	ds_store_b128 v134, v[154:157] offset:1024
	s_waitcnt lgkmcnt(0)
	s_barrier
	buffer_gl0_inv
	ds_load_b128 v[138:141], v135
	ds_load_b128 v[149:152], v135 offset:16
	ds_load_b128 v[153:156], v135 offset:1024
	;; [unrolled: 1-line block ×3, first 2 shown]
	v_cmp_eq_u32_e64 s21, 5, v130
	v_cmp_eq_u32_e64 s22, 4, v132
	;; [unrolled: 1-line block ×12, first 2 shown]
	s_waitcnt lgkmcnt(3)
	v_lshrrev_b32_e32 v142, 16, v138
	s_waitcnt lgkmcnt(2)
	v_lshrrev_b32_e32 v162, 16, v149
	s_waitcnt lgkmcnt(1)
	v_lshrrev_b32_e32 v166, 16, v153
	s_waitcnt lgkmcnt(0)
	v_lshrrev_b32_e32 v170, 16, v157
	v_lshrrev_b32_e32 v143, 16, v139
	v_cndmask_b32_e64 v174, v138, v142, s5
	v_cndmask_b32_e64 v175, v149, v162, s5
	v_cndmask_b32_e64 v176, v138, v142, s10
	v_cndmask_b32_e64 v177, v149, v162, s10
	v_cndmask_b32_e64 v178, v138, v142, s11
	v_cndmask_b32_e64 v138, v138, v142, s12
	v_cndmask_b32_e64 v142, v149, v162, s12
	v_lshrrev_b32_e32 v163, 16, v150
	v_cndmask_b32_e64 v179, v149, v162, s11
	v_cndmask_b32_e64 v149, v153, v166, s5
	;; [unrolled: 1-line block ×16, first 2 shown]
	v_lshrrev_b32_e32 v167, 16, v154
	v_lshrrev_b32_e32 v171, 16, v158
	v_cndmask_b32_e64 v177, v179, v150, s16
	v_cndmask_b32_e64 v142, v149, v154, s6
	;; [unrolled: 1-line block ×7, first 2 shown]
	v_cndmask_b32_e32 v157, v166, v143, vcc_lo
	v_cndmask_b32_e32 v166, v170, v163, vcc_lo
	v_cndmask_b32_e64 v170, v174, v143, s15
	v_cndmask_b32_e64 v174, v175, v163, s15
	;; [unrolled: 1-line block ×4, first 2 shown]
	v_lshrrev_b32_e32 v144, 16, v140
	v_lshrrev_b32_e32 v164, 16, v151
	v_cndmask_b32_e64 v175, v176, v143, s18
	v_cndmask_b32_e64 v176, v177, v163, s18
	v_cndmask_b32_e32 v142, v142, v167, vcc_lo
	v_cndmask_b32_e32 v143, v149, v171, vcc_lo
	v_cndmask_b32_e64 v149, v150, v167, s15
	v_cndmask_b32_e64 v150, v157, v140, s4
	;; [unrolled: 1-line block ×7, first 2 shown]
	v_lshrrev_b32_e32 v168, 16, v155
	v_cndmask_b32_e64 v170, v175, v140, s22
	v_cndmask_b32_e64 v174, v176, v151, s22
	;; [unrolled: 1-line block ×11, first 2 shown]
	v_lshrrev_b32_e32 v161, 16, v141
	v_lshrrev_b32_e32 v165, 16, v152
	v_cndmask_b32_e64 v163, v170, v144, s24
	v_cndmask_b32_e64 v166, v174, v164, s24
	;; [unrolled: 1-line block ×9, first 2 shown]
	v_lshrrev_b32_e32 v169, 16, v156
	v_cndmask_b32_e64 v140, v140, v168, s7
	v_cndmask_b32_e64 v157, v163, v141, s27
	;; [unrolled: 1-line block ×14, first 2 shown]
	v_perm_b32 v141, v139, v138, 0x5040100
	v_perm_b32 v139, v151, v149, 0x5040100
	v_cndmask_b32_e64 v138, v183, v158, s16
	v_cndmask_b32_e64 v149, v181, v158, s13
	;; [unrolled: 1-line block ×3, first 2 shown]
	v_perm_b32 v140, v152, v150, 0x5040100
	v_cndmask_b32_e64 v150, v162, v167, s18
	v_cndmask_b32_e64 v151, v153, v167, s19
	;; [unrolled: 1-line block ×5, first 2 shown]
	v_lshrrev_b32_e32 v172, 16, v159
	v_cndmask_b32_e64 v150, v150, v155, s22
	v_cndmask_b32_e64 v151, v151, v155, s23
	;; [unrolled: 1-line block ×11, first 2 shown]
	v_lshrrev_b32_e32 v173, 16, v160
	v_cndmask_b32_e64 v142, v142, v160, s8
	v_cndmask_b32_e64 v150, v150, v156, s27
	;; [unrolled: 1-line block ×12, first 2 shown]
	v_perm_b32 v138, v144, v143, 0x5040100
	v_perm_b32 v152, v152, v151, 0x5040100
	;; [unrolled: 1-line block ×5, first 2 shown]
	s_mul_i32 s8, s35, 5
	s_mov_b32 s4, exec_lo
	ds_store_b128 v134, v[138:141]
	ds_store_b128 v134, v[149:152] offset:1024
	v_cmpx_gt_u32_e32 5, v0
	s_cbranch_execz .LBB6_14
; %bb.13:
	s_mul_i32 s5, s8, s34
	s_load_b128 s[16:19], s[0:1], 0x58
	v_add3_u32 v140, s5, s33, v148
	s_delay_alu instid0(VALU_DEP_1) | instskip(NEXT) | instid1(VALU_DEP_1)
	v_mad_u64_u32 v[138:139], null, v140, s36, s[14:15]
	v_ashrrev_i32_e32 v139, 31, v138
	s_delay_alu instid0(VALU_DEP_1) | instskip(SKIP_1) | instid1(VALU_DEP_1)
	v_lshlrev_b64 v[138:139], 2, v[138:139]
	s_waitcnt lgkmcnt(0)
	v_add_co_u32 v140, vcc_lo, s18, v138
	s_delay_alu instid0(VALU_DEP_2)
	v_add_co_ci_u32_e32 v141, vcc_lo, s19, v139, vcc_lo
	v_add_co_u32 v138, vcc_lo, s16, v138
	v_add_co_ci_u32_e32 v139, vcc_lo, s17, v139, vcc_lo
	global_store_b32 v[140:141], v136, off
	global_store_b32 v[138:139], v137, off
.LBB6_14:
	s_or_b32 exec_lo, exec_lo, s4
	s_waitcnt lgkmcnt(0)
	s_waitcnt_vscnt null, 0x0
	s_barrier
	buffer_gl0_inv
	ds_load_b128 v[148:151], v133
	ds_load_b128 v[152:155], v133 offset:16
	ds_load_b128 v[160:163], v133 offset:1040
	;; [unrolled: 1-line block ×5, first 2 shown]
	v_cmp_eq_u32_e32 vcc_lo, 1, v132
	v_mov_b32_e32 v136, 0
	ds_load_b128 v[176:179], v133 offset:3088
	ds_load_b128 v[172:175], v133 offset:3072
	ds_load_b128 v[184:187], v133 offset:4112
	ds_load_b128 v[180:183], v133 offset:4096
	v_cmp_eq_u32_e64 s4, 1, v129
	v_cmp_eq_u32_e64 s5, 1, v131
	v_cmp_eq_u32_e64 s6, 1, v130
	v_mov_b32_e32 v137, v136
	v_mov_b32_e32 v138, v136
	;; [unrolled: 1-line block ×7, first 2 shown]
	v_cmp_eq_u32_e64 s7, 2, v129
	s_waitcnt lgkmcnt(8)
	s_delay_alu instid0(VALU_DEP_2)
	v_wmma_f32_16x16x16_f16 v[136:143], v[121:128], v[148:155], v[136:143]
	ds_load_b128 v[125:128], v133 offset:5136
	ds_load_b128 v[121:124], v133 offset:5120
	s_waitcnt lgkmcnt(8)
	v_wmma_f32_16x16x16_f16 v[136:143], v[113:120], v[156:163], v[136:143]
	ds_load_b128 v[117:120], v133 offset:6160
	ds_load_b128 v[113:116], v133 offset:6144
	s_waitcnt lgkmcnt(8)
	v_wmma_f32_16x16x16_f16 v[136:143], v[105:112], v[164:171], v[136:143]
	ds_load_b128 v[109:112], v133 offset:7184
	ds_load_b128 v[105:108], v133 offset:7168
	s_waitcnt lgkmcnt(8)
	v_wmma_f32_16x16x16_f16 v[136:143], v[97:104], v[172:179], v[136:143]
	ds_load_b128 v[101:104], v133 offset:8208
	ds_load_b128 v[97:100], v133 offset:8192
	s_waitcnt lgkmcnt(8)
	v_wmma_f32_16x16x16_f16 v[136:143], v[89:96], v[180:187], v[136:143]
	ds_load_b128 v[93:96], v133 offset:9232
	ds_load_b128 v[89:92], v133 offset:9216
	s_waitcnt lgkmcnt(8)
	v_wmma_f32_16x16x16_f16 v[136:143], v[81:88], v[121:128], v[136:143]
	ds_load_b128 v[85:88], v133 offset:10256
	ds_load_b128 v[81:84], v133 offset:10240
	s_waitcnt lgkmcnt(8)
	v_wmma_f32_16x16x16_f16 v[136:143], v[73:80], v[113:120], v[136:143]
	ds_load_b128 v[77:80], v133 offset:11280
	ds_load_b128 v[73:76], v133 offset:11264
	s_waitcnt lgkmcnt(8)
	v_wmma_f32_16x16x16_f16 v[136:143], v[65:72], v[105:112], v[136:143]
	ds_load_b128 v[69:72], v133 offset:12304
	ds_load_b128 v[65:68], v133 offset:12288
	s_waitcnt lgkmcnt(8)
	v_wmma_f32_16x16x16_f16 v[136:143], v[57:64], v[97:104], v[136:143]
	ds_load_b128 v[61:64], v133 offset:13328
	ds_load_b128 v[57:60], v133 offset:13312
	s_waitcnt lgkmcnt(8)
	v_wmma_f32_16x16x16_f16 v[136:143], v[49:56], v[89:96], v[136:143]
	ds_load_b128 v[53:56], v133 offset:14352
	ds_load_b128 v[49:52], v133 offset:14336
	s_waitcnt lgkmcnt(8)
	v_wmma_f32_16x16x16_f16 v[136:143], v[25:32], v[81:88], v[136:143]
	ds_load_b128 v[29:32], v133 offset:15376
	ds_load_b128 v[25:28], v133 offset:15360
	s_waitcnt lgkmcnt(0)
	s_barrier
	buffer_gl0_inv
	v_wmma_f32_16x16x16_f16 v[136:143], v[1:8], v[73:80], v[136:143]
	s_delay_alu instid0(VALU_DEP_1) | instskip(NEXT) | instid1(VALU_DEP_1)
	v_wmma_f32_16x16x16_f16 v[136:143], v[9:16], v[65:72], v[136:143]
	v_wmma_f32_16x16x16_f16 v[136:143], v[33:40], v[57:64], v[136:143]
	s_delay_alu instid0(VALU_DEP_1) | instskip(NEXT) | instid1(VALU_DEP_1)
	v_wmma_f32_16x16x16_f16 v[136:143], v[41:48], v[49:56], v[136:143]
	v_wmma_f32_16x16x16_f16 v[136:143], v[17:24], v[25:32], v[136:143]
	s_delay_alu instid0(VALU_DEP_1) | instskip(NEXT) | instid1(VALU_DEP_2)
	v_cvt_f16_f32_e64 v1, v136
	v_cvt_f16_f32_e64 v2, v137
	s_delay_alu instid0(VALU_DEP_3) | instskip(NEXT) | instid1(VALU_DEP_4)
	v_cvt_f16_f32_e64 v3, v138
	v_cvt_f16_f32_e64 v4, v139
	;; [unrolled: 1-line block ×6, first 2 shown]
	v_pack_b32_f16 v1, v1, v2
	v_pack_b32_f16 v2, v3, v4
	;; [unrolled: 1-line block ×3, first 2 shown]
	s_delay_alu instid0(VALU_DEP_4)
	v_pack_b32_f16 v4, v7, v8
	ds_store_b128 v134, v[1:4]
	s_waitcnt lgkmcnt(0)
	s_barrier
	buffer_gl0_inv
	ds_load_b128 v[1:4], v135
	ds_load_b128 v[5:8], v135 offset:16
	s_waitcnt lgkmcnt(1)
	v_lshrrev_b32_e32 v9, 16, v1
	s_waitcnt lgkmcnt(0)
	v_lshrrev_b32_e32 v13, 16, v5
	v_lshrrev_b32_e32 v10, 16, v2
	;; [unrolled: 1-line block ×4, first 2 shown]
	v_cndmask_b32_e64 v17, v1, v9, s4
	v_cndmask_b32_e64 v18, v5, v13, s4
	;; [unrolled: 1-line block ×3, first 2 shown]
	v_cmp_eq_u32_e64 s4, 2, v130
	v_cndmask_b32_e64 v20, v5, v13, s6
	v_cndmask_b32_e32 v21, v1, v9, vcc_lo
	v_cndmask_b32_e32 v22, v5, v13, vcc_lo
	v_cndmask_b32_e64 v1, v1, v9, s5
	v_cndmask_b32_e64 v5, v5, v13, s5
	v_cmp_eq_u32_e32 vcc_lo, 2, v132
	v_cmp_eq_u32_e64 s5, 2, v131
	v_cndmask_b32_e64 v9, v17, v2, s7
	v_cndmask_b32_e64 v13, v18, v6, s7
	;; [unrolled: 1-line block ×4, first 2 shown]
	v_cndmask_b32_e32 v19, v21, v2, vcc_lo
	v_cmp_eq_u32_e64 s4, 3, v132
	v_cndmask_b32_e32 v20, v22, v6, vcc_lo
	v_cndmask_b32_e64 v1, v1, v2, s5
	v_cmp_eq_u32_e32 vcc_lo, 3, v131
	v_cmp_eq_u32_e64 s6, 3, v129
	v_cndmask_b32_e64 v2, v5, v6, s5
	v_cmp_eq_u32_e64 s5, 3, v130
	v_cmp_eq_u32_e64 s7, 4, v129
	v_cndmask_b32_e32 v1, v1, v10, vcc_lo
	v_cndmask_b32_e64 v5, v9, v10, s6
	v_cndmask_b32_e64 v6, v13, v14, s6
	v_cndmask_b32_e64 v9, v17, v10, s5
	v_cmp_eq_u32_e64 s6, 4, v130
	v_cndmask_b32_e64 v13, v18, v14, s5
	v_cndmask_b32_e64 v17, v19, v10, s4
	;; [unrolled: 1-line block ×3, first 2 shown]
	v_cndmask_b32_e32 v2, v2, v14, vcc_lo
	v_cmp_eq_u32_e32 vcc_lo, 4, v132
	v_cmp_eq_u32_e64 s5, 4, v131
	v_lshrrev_b32_e32 v15, 16, v7
	v_cndmask_b32_e64 v5, v5, v3, s7
	v_cndmask_b32_e64 v6, v6, v7, s7
	v_cndmask_b32_e32 v14, v18, v7, vcc_lo
	v_cndmask_b32_e64 v9, v9, v3, s6
	v_cndmask_b32_e64 v10, v13, v7, s6
	v_cndmask_b32_e32 v13, v17, v3, vcc_lo
	v_cmp_eq_u32_e64 s4, 5, v132
	v_cndmask_b32_e64 v1, v1, v3, s5
	v_cmp_eq_u32_e32 vcc_lo, 5, v131
	v_cmp_eq_u32_e64 s6, 5, v129
	v_cndmask_b32_e64 v2, v2, v7, s5
	v_cmp_eq_u32_e64 s5, 5, v130
	v_cmp_eq_u32_e64 s7, 6, v129
	v_lshrrev_b32_e32 v12, 16, v4
	v_cndmask_b32_e64 v3, v5, v11, s6
	v_cndmask_b32_e64 v5, v6, v15, s6
	;; [unrolled: 1-line block ×3, first 2 shown]
	v_cmp_eq_u32_e64 s6, 6, v130
	v_cndmask_b32_e64 v7, v10, v15, s5
	v_cndmask_b32_e64 v9, v13, v11, s4
	;; [unrolled: 1-line block ×3, first 2 shown]
	v_cndmask_b32_e32 v1, v1, v11, vcc_lo
	v_cndmask_b32_e32 v2, v2, v15, vcc_lo
	v_cmp_eq_u32_e32 vcc_lo, 6, v132
	v_cmp_eq_u32_e64 s4, 6, v131
	v_lshrrev_b32_e32 v16, 16, v8
	v_cndmask_b32_e64 v3, v3, v4, s7
	v_cndmask_b32_e64 v5, v5, v8, s7
	v_cndmask_b32_e32 v9, v9, v4, vcc_lo
	v_cndmask_b32_e64 v6, v6, v4, s6
	v_cndmask_b32_e64 v7, v7, v8, s6
	v_cmp_eq_u32_e64 s5, 7, v132
	v_cndmask_b32_e32 v10, v10, v8, vcc_lo
	v_cndmask_b32_e64 v1, v1, v4, s4
	v_cmp_eq_u32_e32 vcc_lo, 7, v131
	v_cndmask_b32_e64 v2, v2, v8, s4
	v_cmp_eq_u32_e64 s4, 7, v129
	v_cmp_eq_u32_e64 s6, 7, v130
	v_cndmask_b32_e32 v1, v1, v12, vcc_lo
	s_delay_alu instid0(VALU_DEP_4) | instskip(NEXT) | instid1(VALU_DEP_4)
	v_cndmask_b32_e32 v2, v2, v16, vcc_lo
	v_cndmask_b32_e64 v8, v3, v12, s4
	s_delay_alu instid0(VALU_DEP_4)
	v_cndmask_b32_e64 v6, v6, v12, s6
	v_cndmask_b32_e64 v3, v9, v12, s5
	;; [unrolled: 1-line block ×5, first 2 shown]
	v_cmp_gt_u32_e32 vcc_lo, 32, v0
	v_perm_b32 v4, v2, v1, 0x5040100
	v_perm_b32 v3, v9, v3, 0x5040100
	;; [unrolled: 1-line block ×4, first 2 shown]
	s_and_b32 s2, vcc_lo, s2
	ds_store_b128 v134, v[1:4]
	s_waitcnt lgkmcnt(0)
	s_barrier
	buffer_gl0_inv
	s_and_saveexec_b32 s4, s2
	s_cbranch_execz .LBB6_2
; %bb.15:
	s_load_b64 s[4:5], s[0:1], 0x68
	v_lshlrev_b32_e32 v0, 10, v0
	v_add_nc_u32_e32 v2, s33, v146
	v_lshlrev_b32_e32 v3, 4, v147
	s_lshl_b32 s0, s36, 6
	s_delay_alu instid0(SALU_CYCLE_1) | instskip(NEXT) | instid1(VALU_DEP_2)
	s_mul_i32 s1, s0, s34
	v_mul_lo_u32 v1, v2, s0
	s_delay_alu instid0(VALU_DEP_2) | instskip(SKIP_2) | instid1(SALU_CYCLE_1)
	v_and_or_b32 v0, 0x3800, v0, v3
	v_add_nc_u32_e32 v2, 2, v2
	s_mul_i32 s6, s1, s8
	s_ashr_i32 s7, s6, 31
	s_delay_alu instid0(VALU_DEP_2)
	v_lshl_or_b32 v7, v146, 6, v0
	s_lshl_b64 s[6:7], s[6:7], 1
	v_mul_lo_u32 v11, v2, s0
	v_ashrrev_i32_e32 v2, 31, v1
	ds_load_b128 v[3:6], v7
	ds_load_b128 v[7:10], v7 offset:128
	s_waitcnt lgkmcnt(0)
	s_add_u32 s1, s4, s6
	s_addc_u32 s2, s5, s7
	s_lshl_b32 s4, s14, 6
	v_ashrrev_i32_e32 v12, 31, v11
	s_ashr_i32 s5, s4, 31
	v_lshlrev_b64 v[13:14], 1, v[1:2]
	s_lshl_b64 s[4:5], s[4:5], 1
	s_delay_alu instid0(SALU_CYCLE_1) | instskip(SKIP_2) | instid1(VALU_DEP_1)
	s_add_u32 s1, s1, s4
	s_addc_u32 s2, s2, s5
	v_add_co_u32 v1, s1, s1, v145
	v_add_co_ci_u32_e64 v2, null, s2, 0, s1
	v_lshlrev_b64 v[11:12], 1, v[11:12]
	s_delay_alu instid0(VALU_DEP_3) | instskip(NEXT) | instid1(VALU_DEP_3)
	v_add_co_u32 v13, vcc_lo, v1, v13
	v_add_co_ci_u32_e32 v14, vcc_lo, v2, v14, vcc_lo
	s_delay_alu instid0(VALU_DEP_3) | instskip(NEXT) | instid1(VALU_DEP_4)
	v_add_co_u32 v11, vcc_lo, v1, v11
	v_add_co_ci_u32_e32 v12, vcc_lo, v2, v12, vcc_lo
	s_clause 0x1
	global_store_b128 v[13:14], v[3:6], off
	global_store_b128 v[11:12], v[7:10], off
	s_and_b32 exec_lo, exec_lo, s3
	s_cbranch_execz .LBB6_2
; %bb.16:
	ds_load_b128 v[3:6], v0 offset:256
	s_add_i32 s1, s33, 4
	s_delay_alu instid0(SALU_CYCLE_1) | instskip(NEXT) | instid1(SALU_CYCLE_1)
	s_mul_i32 s0, s1, s0
	s_ashr_i32 s1, s0, 31
	s_delay_alu instid0(SALU_CYCLE_1) | instskip(NEXT) | instid1(SALU_CYCLE_1)
	s_lshl_b64 s[0:1], s[0:1], 1
	v_add_co_u32 v0, vcc_lo, v1, s0
	v_add_co_ci_u32_e32 v1, vcc_lo, s1, v2, vcc_lo
	s_waitcnt lgkmcnt(0)
	global_store_b128 v[0:1], v[3:6], off
	s_nop 0
	s_sendmsg sendmsg(MSG_DEALLOC_VGPRS)
	s_endpgm
	.section	.rodata,"a",@progbits
	.p2align	6, 0x0
	.amdhsa_kernel _Z39paged_attention_ll4mi_QKV_mfma16_kernelIDF16_DF16_LN4vllm18Fp8KVCacheDataTypeE0EhLi16ELi64ELi256ELb1ELi5EL8MFMAType0EEvPKT_PKT0_S8_ifPKiSA_SA_iPKfiiiPfSD_PS3_PT2_iSC_SC_
		.amdhsa_group_segment_fixed_size 17472
		.amdhsa_private_segment_fixed_size 0
		.amdhsa_kernarg_size 400
		.amdhsa_user_sgpr_count 13
		.amdhsa_user_sgpr_dispatch_ptr 0
		.amdhsa_user_sgpr_queue_ptr 0
		.amdhsa_user_sgpr_kernarg_segment_ptr 1
		.amdhsa_user_sgpr_dispatch_id 0
		.amdhsa_user_sgpr_private_segment_size 0
		.amdhsa_wavefront_size32 1
		.amdhsa_uses_dynamic_stack 0
		.amdhsa_enable_private_segment 0
		.amdhsa_system_sgpr_workgroup_id_x 1
		.amdhsa_system_sgpr_workgroup_id_y 1
		.amdhsa_system_sgpr_workgroup_id_z 1
		.amdhsa_system_sgpr_workgroup_info 0
		.amdhsa_system_vgpr_workitem_id 0
		.amdhsa_next_free_vgpr 198
		.amdhsa_next_free_sgpr 52
		.amdhsa_reserve_vcc 1
		.amdhsa_float_round_mode_32 0
		.amdhsa_float_round_mode_16_64 0
		.amdhsa_float_denorm_mode_32 3
		.amdhsa_float_denorm_mode_16_64 3
		.amdhsa_dx10_clamp 1
		.amdhsa_ieee_mode 1
		.amdhsa_fp16_overflow 0
		.amdhsa_workgroup_processor_mode 1
		.amdhsa_memory_ordered 1
		.amdhsa_forward_progress 0
		.amdhsa_shared_vgpr_count 0
		.amdhsa_exception_fp_ieee_invalid_op 0
		.amdhsa_exception_fp_denorm_src 0
		.amdhsa_exception_fp_ieee_div_zero 0
		.amdhsa_exception_fp_ieee_overflow 0
		.amdhsa_exception_fp_ieee_underflow 0
		.amdhsa_exception_fp_ieee_inexact 0
		.amdhsa_exception_int_div_zero 0
	.end_amdhsa_kernel
	.section	.text._Z39paged_attention_ll4mi_QKV_mfma16_kernelIDF16_DF16_LN4vllm18Fp8KVCacheDataTypeE0EhLi16ELi64ELi256ELb1ELi5EL8MFMAType0EEvPKT_PKT0_S8_ifPKiSA_SA_iPKfiiiPfSD_PS3_PT2_iSC_SC_,"axG",@progbits,_Z39paged_attention_ll4mi_QKV_mfma16_kernelIDF16_DF16_LN4vllm18Fp8KVCacheDataTypeE0EhLi16ELi64ELi256ELb1ELi5EL8MFMAType0EEvPKT_PKT0_S8_ifPKiSA_SA_iPKfiiiPfSD_PS3_PT2_iSC_SC_,comdat
.Lfunc_end6:
	.size	_Z39paged_attention_ll4mi_QKV_mfma16_kernelIDF16_DF16_LN4vllm18Fp8KVCacheDataTypeE0EhLi16ELi64ELi256ELb1ELi5EL8MFMAType0EEvPKT_PKT0_S8_ifPKiSA_SA_iPKfiiiPfSD_PS3_PT2_iSC_SC_, .Lfunc_end6-_Z39paged_attention_ll4mi_QKV_mfma16_kernelIDF16_DF16_LN4vllm18Fp8KVCacheDataTypeE0EhLi16ELi64ELi256ELb1ELi5EL8MFMAType0EEvPKT_PKT0_S8_ifPKiSA_SA_iPKfiiiPfSD_PS3_PT2_iSC_SC_
                                        ; -- End function
	.section	.AMDGPU.csdata,"",@progbits
; Kernel info:
; codeLenInByte = 7832
; NumSgprs: 54
; NumVgprs: 198
; ScratchSize: 0
; MemoryBound: 0
; FloatMode: 240
; IeeeMode: 1
; LDSByteSize: 17472 bytes/workgroup (compile time only)
; SGPRBlocks: 6
; VGPRBlocks: 24
; NumSGPRsForWavesPerEU: 54
; NumVGPRsForWavesPerEU: 198
; Occupancy: 7
; WaveLimiterHint : 1
; COMPUTE_PGM_RSRC2:SCRATCH_EN: 0
; COMPUTE_PGM_RSRC2:USER_SGPR: 13
; COMPUTE_PGM_RSRC2:TRAP_HANDLER: 0
; COMPUTE_PGM_RSRC2:TGID_X_EN: 1
; COMPUTE_PGM_RSRC2:TGID_Y_EN: 1
; COMPUTE_PGM_RSRC2:TGID_Z_EN: 1
; COMPUTE_PGM_RSRC2:TIDIG_COMP_CNT: 0
	.section	.text._Z39paged_attention_ll4mi_QKV_mfma16_kernelIDF16_DF16_LN4vllm18Fp8KVCacheDataTypeE0EhLi16ELi64ELi256ELb1ELi6EL8MFMAType0EEvPKT_PKT0_S8_ifPKiSA_SA_iPKfiiiPfSD_PS3_PT2_iSC_SC_,"axG",@progbits,_Z39paged_attention_ll4mi_QKV_mfma16_kernelIDF16_DF16_LN4vllm18Fp8KVCacheDataTypeE0EhLi16ELi64ELi256ELb1ELi6EL8MFMAType0EEvPKT_PKT0_S8_ifPKiSA_SA_iPKfiiiPfSD_PS3_PT2_iSC_SC_,comdat
	.protected	_Z39paged_attention_ll4mi_QKV_mfma16_kernelIDF16_DF16_LN4vllm18Fp8KVCacheDataTypeE0EhLi16ELi64ELi256ELb1ELi6EL8MFMAType0EEvPKT_PKT0_S8_ifPKiSA_SA_iPKfiiiPfSD_PS3_PT2_iSC_SC_ ; -- Begin function _Z39paged_attention_ll4mi_QKV_mfma16_kernelIDF16_DF16_LN4vllm18Fp8KVCacheDataTypeE0EhLi16ELi64ELi256ELb1ELi6EL8MFMAType0EEvPKT_PKT0_S8_ifPKiSA_SA_iPKfiiiPfSD_PS3_PT2_iSC_SC_
	.globl	_Z39paged_attention_ll4mi_QKV_mfma16_kernelIDF16_DF16_LN4vllm18Fp8KVCacheDataTypeE0EhLi16ELi64ELi256ELb1ELi6EL8MFMAType0EEvPKT_PKT0_S8_ifPKiSA_SA_iPKfiiiPfSD_PS3_PT2_iSC_SC_
	.p2align	8
	.type	_Z39paged_attention_ll4mi_QKV_mfma16_kernelIDF16_DF16_LN4vllm18Fp8KVCacheDataTypeE0EhLi16ELi64ELi256ELb1ELi6EL8MFMAType0EEvPKT_PKT0_S8_ifPKiSA_SA_iPKfiiiPfSD_PS3_PT2_iSC_SC_,@function
_Z39paged_attention_ll4mi_QKV_mfma16_kernelIDF16_DF16_LN4vllm18Fp8KVCacheDataTypeE0EhLi16ELi64ELi256ELb1ELi6EL8MFMAType0EEvPKT_PKT0_S8_ifPKiSA_SA_iPKfiiiPfSD_PS3_PT2_iSC_SC_: ; @_Z39paged_attention_ll4mi_QKV_mfma16_kernelIDF16_DF16_LN4vllm18Fp8KVCacheDataTypeE0EhLi16ELi64ELi256ELb1ELi6EL8MFMAType0EEvPKT_PKT0_S8_ifPKiSA_SA_iPKfiiiPfSD_PS3_PT2_iSC_SC_
; %bb.0:
	s_load_b64 s[2:3], s[0:1], 0x30
	s_mov_b32 s34, s13
	s_waitcnt lgkmcnt(0)
	s_cmp_lg_u64 s[2:3], 0
	s_cselect_b32 s8, -1, 0
	s_ashr_i32 s35, s13, 31
	s_cmp_eq_u64 s[2:3], 0
	s_cbranch_scc1 .LBB7_3
; %bb.1:
	s_lshl_b64 s[4:5], s[34:35], 2
	s_delay_alu instid0(SALU_CYCLE_1) | instskip(SKIP_4) | instid1(SALU_CYCLE_1)
	s_add_u32 s4, s2, s4
	s_addc_u32 s5, s3, s5
	s_load_b64 s[4:5], s[4:5], 0x0
	s_waitcnt lgkmcnt(0)
	s_sub_i32 s4, s5, s4
	s_cmp_eq_u32 s4, 1
	s_cselect_b32 s4, -1, 0
	s_delay_alu instid0(SALU_CYCLE_1)
	s_and_not1_b32 vcc_lo, exec_lo, s4
	s_cbranch_vccz .LBB7_4
.LBB7_2:
	s_endpgm
.LBB7_3:
.LBB7_4:
	s_load_b64 s[4:5], s[0:1], 0x28
	s_lshl_b64 s[6:7], s[34:35], 2
	s_waitcnt lgkmcnt(0)
	s_add_u32 s4, s4, s6
	s_addc_u32 s5, s5, s7
	s_lshl_b32 s35, s14, 8
	s_load_b32 s30, s[4:5], 0x0
	s_waitcnt lgkmcnt(0)
	s_cmp_ge_i32 s35, s30
	s_cbranch_scc1 .LBB7_2
; %bb.5:
	s_clause 0x1
	s_load_b128 s[20:23], s[0:1], 0x8
	s_load_b64 s[4:5], s[0:1], 0x20
	s_and_not1_b32 vcc_lo, exec_lo, s8
	s_cbranch_vccnz .LBB7_7
; %bb.6:
	s_add_u32 s2, s2, s6
	s_addc_u32 s3, s3, s7
	s_load_b32 s3, s[2:3], 0x0
	s_branch .LBB7_8
.LBB7_7:
	s_mov_b32 s3, s34
.LBB7_8:
	s_load_b128 s[16:19], s[0:1], 0x48
	v_and_b32_e32 v148, 15, v0
	v_cmp_gt_u32_e32 vcc_lo, 0x60, v0
	v_lshrrev_b32_e32 v149, 5, v0
	v_and_b32_e32 v150, 31, v0
	v_and_b32_e32 v147, 1, v0
	v_lshlrev_b32_e32 v1, 3, v148
	v_cmp_gt_u32_e64 s2, 8, v148
	v_bfe_u32 v146, v0, 4, 1
	s_mul_i32 s31, s15, 6
	s_delay_alu instid0(VALU_DEP_3) | instskip(NEXT) | instid1(VALU_DEP_3)
	v_lshlrev_b32_e32 v145, 1, v1
	s_and_b32 s7, vcc_lo, s2
	s_delay_alu instid0(SALU_CYCLE_1)
	s_and_saveexec_b32 s6, s7
	s_cbranch_execz .LBB7_10
; %bb.9:
	s_load_b64 s[8:9], s[0:1], 0x0
	v_lshl_or_b32 v5, v149, 1, v146
	s_waitcnt lgkmcnt(0)
	s_mul_hi_i32 s11, s3, s16
	s_mul_i32 s10, s3, s16
	v_lshlrev_b32_e32 v6, 10, v148
	s_lshl_b64 s[10:11], s[10:11], 1
	v_add_lshl_u32 v1, v5, s31, 6
	v_lshlrev_b32_e32 v5, 6, v5
	v_lshlrev_b32_e32 v7, 10, v147
	v_and_b32_e32 v6, 0x3800, v6
	s_delay_alu instid0(VALU_DEP_4) | instskip(NEXT) | instid1(VALU_DEP_2)
	v_ashrrev_i32_e32 v2, 31, v1
	v_or3_b32 v5, v6, v7, v5
	s_delay_alu instid0(VALU_DEP_2) | instskip(SKIP_2) | instid1(VALU_DEP_1)
	v_lshlrev_b64 v[1:2], 1, v[1:2]
	s_add_u32 s3, s8, s10
	s_addc_u32 s7, s9, s11
	v_add_co_u32 v1, vcc_lo, s3, v1
	s_delay_alu instid0(VALU_DEP_2) | instskip(NEXT) | instid1(VALU_DEP_2)
	v_add_co_ci_u32_e32 v2, vcc_lo, s7, v2, vcc_lo
	v_add_co_u32 v1, vcc_lo, v1, v145
	s_delay_alu instid0(VALU_DEP_2)
	v_add_co_ci_u32_e32 v2, vcc_lo, 0, v2, vcc_lo
	global_load_b128 v[1:4], v[1:2], off
	s_waitcnt vmcnt(0)
	ds_store_b128 v5, v[1:4]
.LBB7_10:
	s_or_b32 exec_lo, exec_lo, s6
	v_and_b32_e32 v1, 0xef, v0
	s_waitcnt lgkmcnt(0)
	s_add_i32 s3, s30, 15
	s_clause 0x1
	s_load_b32 s6, s[0:1], 0x38
	s_load_b32 s33, s[0:1], 0x98
	s_ashr_i32 s7, s3, 31
	v_add_nc_u32_e32 v1, s35, v1
	s_lshr_b32 s7, s7, 28
	s_load_b32 s36, s[0:1], 0x1c
	s_add_i32 s3, s3, s7
	s_waitcnt lgkmcnt(0)
	v_ashrrev_i32_e32 v2, 31, v1
	v_or_b32_e32 v3, 16, v1
	s_ashr_i32 s3, s3, 4
	v_cmp_gt_i32_e32 vcc_lo, s30, v1
	s_add_i32 s3, s3, -1
	v_lshrrev_b32_e32 v2, 28, v2
	s_barrier
	buffer_gl0_inv
	v_add_nc_u32_e32 v4, v1, v2
	s_mul_i32 s6, s34, s6
	s_delay_alu instid0(SALU_CYCLE_1) | instskip(NEXT) | instid1(VALU_DEP_1)
	s_ashr_i32 s7, s6, 31
	v_ashrrev_i32_e32 v4, 4, v4
	v_add_nc_u32_e32 v2, v3, v2
	s_lshl_b64 s[6:7], s[6:7], 2
	s_delay_alu instid0(SALU_CYCLE_1) | instskip(NEXT) | instid1(VALU_DEP_2)
	s_add_u32 s16, s4, s6
	v_cndmask_b32_e32 v1, s3, v4, vcc_lo
	s_delay_alu instid0(VALU_DEP_2) | instskip(SKIP_3) | instid1(SALU_CYCLE_1)
	v_ashrrev_i32_e32 v2, 4, v2
	v_cmp_gt_i32_e32 vcc_lo, s30, v3
	s_addc_u32 s37, s5, s7
	s_mul_i32 s4, s15, s18
	s_ashr_i32 s5, s4, 31
	v_cndmask_b32_e32 v3, s3, v2, vcc_lo
	v_ashrrev_i32_e32 v2, 31, v1
	s_lshl_b64 s[12:13], s[4:5], 1
	s_delay_alu instid0(SALU_CYCLE_1) | instskip(NEXT) | instid1(VALU_DEP_2)
	s_add_u32 s26, s20, s12
	v_ashrrev_i32_e32 v4, 31, v3
	s_delay_alu instid0(VALU_DEP_2) | instskip(SKIP_2) | instid1(VALU_DEP_2)
	v_lshlrev_b64 v[1:2], 2, v[1:2]
	s_addc_u32 s27, s21, s13
	s_lshl_b32 s4, s14, 4
	v_lshlrev_b64 v[3:4], 2, v[3:4]
	s_ashr_i32 s5, s4, 31
	s_delay_alu instid0(VALU_DEP_2) | instskip(SKIP_1) | instid1(VALU_DEP_3)
	v_add_co_u32 v1, vcc_lo, s16, v1
	v_add_co_ci_u32_e32 v2, vcc_lo, s37, v2, vcc_lo
	v_add_co_u32 v3, vcc_lo, s16, v3
	s_delay_alu instid0(VALU_DEP_4)
	v_add_co_ci_u32_e32 v4, vcc_lo, s37, v4, vcc_lo
	s_clause 0x1
	global_load_b32 v5, v[1:2], off
	global_load_b32 v6, v[3:4], off
	s_lshl_b64 s[4:5], s[4:5], 2
	v_lshlrev_b32_e32 v3, 4, v0
	s_add_u32 s4, s16, s4
	s_addc_u32 s5, s37, s5
	s_or_b32 s6, s35, 16
	s_delay_alu instid0(SALU_CYCLE_1) | instskip(SKIP_2) | instid1(SALU_CYCLE_1)
	s_ashr_i32 s7, s6, 4
	s_cmp_lt_i32 s6, s30
	s_cselect_b32 s6, s7, s3
	s_ashr_i32 s7, s6, 31
	s_delay_alu instid0(SALU_CYCLE_1) | instskip(NEXT) | instid1(SALU_CYCLE_1)
	s_lshl_b64 s[6:7], s[6:7], 2
	s_add_u32 s6, s16, s6
	s_addc_u32 s7, s37, s7
	s_or_b32 s8, s35, 32
	s_delay_alu instid0(SALU_CYCLE_1) | instskip(SKIP_2) | instid1(SALU_CYCLE_1)
	s_ashr_i32 s9, s8, 4
	s_cmp_lt_i32 s8, s30
	s_cselect_b32 s8, s9, s3
	s_ashr_i32 s9, s8, 31
	s_delay_alu instid0(SALU_CYCLE_1) | instskip(NEXT) | instid1(SALU_CYCLE_1)
	s_lshl_b64 s[8:9], s[8:9], 2
	;; [unrolled: 10-line block ×5, first 2 shown]
	s_add_u32 s24, s16, s18
	s_addc_u32 s25, s37, s19
	s_clause 0x5
	s_load_b32 s38, s[4:5], 0x0
	s_load_b32 s29, s[6:7], 0x0
	s_load_b32 s28, s[8:9], 0x0
	s_load_b32 s19, s[10:11], 0x0
	s_load_b32 s18, s[20:21], 0x0
	s_load_b32 s15, s[24:25], 0x0
	s_waitcnt vmcnt(1)
	v_mad_i64_i32 v[1:2], null, v5, s17, 0
	v_and_b32_e32 v5, 0xf0, v3
	s_waitcnt vmcnt(0)
	v_mad_i64_i32 v[3:4], null, v6, s17, 0
	s_delay_alu instid0(VALU_DEP_2) | instskip(NEXT) | instid1(VALU_DEP_4)
	v_add_co_u32 v7, s4, s26, v5
	v_lshlrev_b64 v[1:2], 1, v[1:2]
	v_add_co_ci_u32_e64 v8, null, s27, 0, s4
	s_delay_alu instid0(VALU_DEP_4) | instskip(SKIP_1) | instid1(VALU_DEP_3)
	v_lshlrev_b64 v[5:6], 1, v[3:4]
	s_or_b32 s4, s35, 0x60
	v_add_co_u32 v3, vcc_lo, v7, v1
	s_delay_alu instid0(VALU_DEP_3) | instskip(NEXT) | instid1(VALU_DEP_3)
	v_add_co_ci_u32_e32 v4, vcc_lo, v8, v2, vcc_lo
	v_add_co_u32 v1, vcc_lo, v7, v5
	s_delay_alu instid0(VALU_DEP_4)
	v_add_co_ci_u32_e32 v2, vcc_lo, v8, v6, vcc_lo
	s_clause 0x9
	global_load_b128 v[9:12], v[3:4], off
	global_load_b128 v[13:16], v[3:4], off offset:256
	global_load_b128 v[129:132], v[1:2], off
	global_load_b128 v[133:136], v[1:2], off offset:256
	global_load_b128 v[41:44], v[3:4], off offset:512
	;; [unrolled: 1-line block ×7, first 2 shown]
	v_mul_lo_u16 v5, v148, 43
	s_clause 0x1
	global_load_b128 v[151:154], v[1:2], off offset:1024
	global_load_b128 v[155:158], v[1:2], off offset:1280
	s_ashr_i32 s5, s4, 4
	s_cmp_lt_i32 s4, s30
	v_lshlrev_b32_e32 v6, 5, v148
	v_lshrrev_b16 v5, 8, v5
	s_cselect_b32 s4, s5, s3
	s_delay_alu instid0(SALU_CYCLE_1) | instskip(NEXT) | instid1(VALU_DEP_2)
	s_ashr_i32 s5, s4, 31
	v_lshl_or_b32 v6, v149, 9, v6
	s_delay_alu instid0(VALU_DEP_2) | instskip(SKIP_1) | instid1(SALU_CYCLE_1)
	v_mul_lo_u16 v5, v5, 6
	s_lshl_b64 s[4:5], s[4:5], 2
	s_add_u32 s20, s16, s4
	s_addc_u32 s21, s37, s5
	s_delay_alu instid0(VALU_DEP_1) | instskip(SKIP_1) | instid1(SALU_CYCLE_1)
	v_sub_nc_u16 v5, v148, v5
	s_or_b32 s4, s35, 0x70
	s_ashr_i32 s5, s4, 4
	s_cmp_lt_i32 s4, s30
	s_delay_alu instid0(VALU_DEP_1) | instskip(SKIP_1) | instid1(SALU_CYCLE_1)
	v_and_b32_e32 v5, 0xff, v5
	s_cselect_b32 s4, s5, s3
	s_ashr_i32 s5, s4, 31
	s_delay_alu instid0(VALU_DEP_1)
	v_lshlrev_b32_e32 v197, 6, v5
	ds_load_b128 v[159:162], v197
	ds_load_b128 v[163:166], v197 offset:1024
	s_clause 0x3
	global_load_b128 v[167:170], v[3:4], off offset:1536
	global_load_b128 v[171:174], v[3:4], off offset:1792
	;; [unrolled: 1-line block ×4, first 2 shown]
	s_lshl_b64 s[6:7], s[4:5], 2
	s_mov_b32 s4, 0
	s_add_u32 s24, s16, s6
	s_addc_u32 s25, s37, s7
	s_or_b32 s5, s35, 0x80
	s_mov_b32 s11, s4
	s_ashr_i32 s6, s5, 4
	s_cmp_lt_i32 s5, s30
	s_mov_b32 s5, s4
	s_cselect_b32 s8, s6, s3
	s_mov_b32 s6, s4
	s_ashr_i32 s9, s8, 31
	s_mov_b32 s7, s4
	s_lshl_b64 s[8:9], s[8:9], 2
	s_clause 0x1
	s_load_b32 s45, s[20:21], 0x0
	s_load_b32 s46, s[24:25], 0x0
	s_add_u32 s26, s16, s8
	s_addc_u32 s27, s37, s9
	s_or_b32 s9, s35, 0x90
	s_mov_b32 s8, s4
	s_ashr_i32 s10, s9, 4
	s_cmp_lt_i32 s9, s30
	s_mov_b32 s9, s4
	s_cselect_b32 s40, s10, s3
	s_mov_b32 s10, s4
	s_ashr_i32 s41, s40, 31
	v_mov_b32_e32 v144, s11
	s_lshl_b64 s[40:41], s[40:41], 2
	v_mov_b32_e32 v143, s10
	s_add_u32 s40, s16, s40
	s_addc_u32 s41, s37, s41
	s_or_b32 s39, s35, 0xa0
	s_load_b32 s41, s[40:41], 0x0
	s_ashr_i32 s42, s39, 4
	s_cmp_lt_i32 s39, s30
	v_mov_b32_e32 v142, s9
	s_cselect_b32 s42, s42, s3
	v_mov_b32_e32 v141, s8
	s_ashr_i32 s43, s42, 31
	v_dual_mov_b32 v140, s7 :: v_dual_mov_b32 v139, s6
	v_dual_mov_b32 v138, s5 :: v_dual_mov_b32 v137, s4
	s_lshl_b64 s[4:5], s[42:43], 2
	s_waitcnt lgkmcnt(0)
	s_mul_hi_i32 s7, s29, s17
	s_add_u32 s42, s16, s4
	s_addc_u32 s43, s37, s5
	s_or_b32 s4, s35, 0xb0
	s_mul_hi_i32 s5, s38, s17
	s_ashr_i32 s6, s4, 4
	s_cmp_lt_i32 s4, s30
	s_mul_i32 s4, s38, s17
	s_cselect_b32 s8, s6, s3
	s_mul_i32 s6, s29, s17
	s_ashr_i32 s9, s8, 31
	s_load_b32 s40, s[42:43], 0x0
	s_lshl_b64 s[8:9], s[8:9], 2
	s_mul_hi_i32 s21, s15, s17
	s_add_u32 s38, s16, s8
	s_addc_u32 s39, s37, s9
	s_or_b32 s8, s35, 0xc0
	s_mul_hi_i32 s9, s28, s17
	s_ashr_i32 s10, s8, 4
	s_cmp_lt_i32 s8, s30
	s_mul_i32 s8, s28, s17
	s_cselect_b32 s28, s10, s3
	s_mul_hi_i32 s11, s19, s17
	s_ashr_i32 s29, s28, 31
	s_mul_i32 s10, s19, s17
	s_lshl_b64 s[28:29], s[28:29], 2
	s_mul_hi_i32 s19, s18, s17
	s_add_u32 s28, s16, s28
	s_addc_u32 s29, s37, s29
	s_or_b32 s44, s35, 0xd0
	s_mul_i32 s18, s18, s17
	s_ashr_i32 s20, s44, 4
	s_cmp_lt_i32 s44, s30
	s_load_b32 s44, s[26:27], 0x0
	s_cselect_b32 s24, s20, s3
	s_mul_i32 s20, s15, s17
	s_ashr_i32 s25, s24, 31
	s_mul_hi_i32 s27, s46, s17
	s_lshl_b64 s[24:25], s[24:25], 2
	s_mul_i32 s26, s46, s17
	s_add_u32 s24, s16, s24
	s_addc_u32 s25, s37, s25
	s_or_b32 s42, s35, 0xe0
	s_clause 0x2
	s_load_b32 s39, s[38:39], 0x0
	s_load_b32 s38, s[28:29], 0x0
	;; [unrolled: 1-line block ×3, first 2 shown]
	s_ashr_i32 s47, s42, 4
	s_cmp_lt_i32 s42, s30
	s_mul_hi_i32 s25, s45, s17
	s_mul_i32 s24, s45, s17
	s_mul_hi_i32 s43, s41, s17
	s_mul_i32 s42, s41, s17
	s_waitcnt lgkmcnt(0)
	s_mul_hi_i32 s41, s40, s17
	s_mul_i32 s40, s40, s17
	s_mul_hi_i32 s29, s44, s17
	s_mul_i32 s28, s44, s17
	s_cselect_b32 s44, s47, s3
	s_delay_alu instid0(SALU_CYCLE_1) | instskip(NEXT) | instid1(SALU_CYCLE_1)
	s_ashr_i32 s45, s44, 31
	s_lshl_b64 s[44:45], s[44:45], 2
	s_delay_alu instid0(SALU_CYCLE_1)
	s_add_u32 s44, s16, s44
	s_addc_u32 s45, s37, s45
	s_or_b32 s46, s35, 0xf0
	s_mul_hi_i32 s51, s15, s17
	s_ashr_i32 s48, s46, 4
	s_cmp_lt_i32 s46, s30
	s_mul_i32 s50, s15, s17
	s_cselect_b32 s48, s48, s3
	s_mul_hi_i32 s47, s39, s17
	s_ashr_i32 s49, s48, 31
	s_mul_i32 s46, s39, s17
	s_lshl_b64 s[48:49], s[48:49], 2
	s_mul_hi_i32 s39, s38, s17
	s_add_u32 s48, s16, s48
	s_addc_u32 s49, s37, s49
	s_add_u32 s3, s22, s12
	s_addc_u32 s15, s23, s13
	v_add_co_u32 v195, s3, s3, v6
	s_delay_alu instid0(VALU_DEP_1) | instskip(SKIP_2) | instid1(VALU_DEP_2)
	v_add_co_ci_u32_e64 v196, null, s15, 0, s3
	s_lshl_b64 s[4:5], s[4:5], 1
	s_lshl_b64 s[6:7], s[6:7], 1
	v_add_co_u32 v1, vcc_lo, v195, s4
	s_delay_alu instid0(VALU_DEP_2)
	v_add_co_ci_u32_e32 v2, vcc_lo, s5, v196, vcc_lo
	v_add_co_u32 v3, vcc_lo, v195, s6
	s_lshl_b64 s[8:9], s[8:9], 1
	v_add_co_ci_u32_e32 v4, vcc_lo, s7, v196, vcc_lo
	v_add_co_u32 v5, vcc_lo, v195, s8
	s_lshl_b64 s[10:11], s[10:11], 1
	;; [unrolled: 3-line block ×10, first 2 shown]
	s_mul_i32 s38, s38, s17
	v_add_co_ci_u32_e32 v184, vcc_lo, s29, v196, vcc_lo
	v_add_co_u32 v185, vcc_lo, v195, s40
	s_lshl_b64 s[38:39], s[38:39], 1
	s_clause 0x1
	s_load_b32 s3, s[44:45], 0x0
	s_load_b32 s15, s[48:49], 0x0
	v_add_co_ci_u32_e32 v186, vcc_lo, s41, v196, vcc_lo
	v_add_co_u32 v191, vcc_lo, v195, s38
	v_add_co_ci_u32_e32 v192, vcc_lo, s39, v196, vcc_lo
	s_clause 0x17
	global_load_b128 v[121:124], v[1:2], off
	global_load_b128 v[125:128], v[1:2], off offset:16
	global_load_b128 v[113:116], v[3:4], off
	global_load_b128 v[117:120], v[3:4], off offset:16
	;; [unrolled: 2-line block ×12, first 2 shown]
	s_lshl_b64 s[42:43], s[50:51], 1
	s_delay_alu instid0(SALU_CYCLE_1)
	v_add_co_u32 v193, vcc_lo, v195, s42
	v_add_co_ci_u32_e32 v194, vcc_lo, s43, v196, vcc_lo
	s_waitcnt lgkmcnt(0)
	s_mul_hi_i32 s5, s3, s17
	s_mul_i32 s4, s3, s17
	s_mul_hi_i32 s7, s15, s17
	s_lshl_b64 s[4:5], s[4:5], 1
	s_mul_i32 s6, s15, s17
	s_waitcnt vmcnt(38)
	v_wmma_f32_16x16x16_f16 v[183:190], v[9:16], v[159:166], v[137:144]
	s_waitcnt vmcnt(36)
	v_wmma_f32_16x16x16_f16 v[137:144], v[129:136], v[159:166], v[137:144]
	s_clause 0x1
	global_load_b128 v[9:12], v[191:192], off
	global_load_b128 v[13:16], v[191:192], off offset:16
	ds_load_b128 v[129:132], v197 offset:2048
	ds_load_b128 v[133:136], v197 offset:3072
	ds_load_b128 v[159:162], v197 offset:4096
	ds_load_b128 v[163:166], v197 offset:5120
	v_add_co_u32 v191, vcc_lo, v195, s4
	v_add_co_ci_u32_e32 v192, vcc_lo, s5, v196, vcc_lo
	s_lshl_b64 s[4:5], s[6:7], 1
	s_delay_alu instid0(SALU_CYCLE_1)
	v_add_co_u32 v195, vcc_lo, v195, s4
	v_add_co_ci_u32_e32 v196, vcc_lo, s5, v196, vcc_lo
	s_waitcnt vmcnt(36) lgkmcnt(2)
	v_wmma_f32_16x16x16_f16 v[183:190], v[41:48], v[129:136], v[183:190]
	s_waitcnt vmcnt(34)
	v_wmma_f32_16x16x16_f16 v[137:144], v[33:40], v[129:136], v[137:144]
	s_clause 0x3
	global_load_b128 v[33:36], v[193:194], off
	global_load_b128 v[37:40], v[193:194], off offset:16
	global_load_b128 v[41:44], v[191:192], off
	global_load_b128 v[45:48], v[191:192], off offset:16
	v_and_b32_e32 v129, 0xe0, v0
	v_mbcnt_lo_u32_b32 v191, -1, 0
	s_waitcnt vmcnt(36) lgkmcnt(0)
	v_wmma_f32_16x16x16_f16 v[183:190], v[17:24], v[159:166], v[183:190]
	s_clause 0x1
	global_load_b128 v[17:20], v[195:196], off
	global_load_b128 v[21:24], v[195:196], off offset:16
	s_waitcnt vmcnt(36)
	v_wmma_f32_16x16x16_f16 v[137:144], v[151:158], v[159:166], v[137:144]
	v_add_nc_u32_e32 v192, s35, v129
	ds_load_b128 v[129:132], v197 offset:6144
	ds_load_b128 v[133:136], v197 offset:7168
	v_xor_b32_e32 v151, 16, v191
	s_waitcnt vmcnt(0) lgkmcnt(0)
	s_barrier
	v_or_b32_e32 v152, v192, v146
	buffer_gl0_inv
	v_cmp_gt_i32_e32 vcc_lo, 32, v151
	v_or_b32_e32 v153, 2, v152
	v_or_b32_e32 v154, 4, v152
	;; [unrolled: 1-line block ×5, first 2 shown]
	v_cmp_gt_i32_e64 s3, s30, v153
	v_cmp_gt_i32_e64 s4, s30, v154
	;; [unrolled: 1-line block ×3, first 2 shown]
	v_or_b32_e32 v158, 12, v152
	v_or_b32_e32 v159, 14, v152
	v_cmp_gt_i32_e64 s6, s30, v156
	v_wmma_f32_16x16x16_f16 v[183:190], v[167:174], v[129:136], v[183:190]
	v_wmma_f32_16x16x16_f16 v[137:144], v[175:182], v[129:136], v[137:144]
	v_cndmask_b32_e32 v151, v191, v151, vcc_lo
	v_cmp_gt_i32_e32 vcc_lo, s30, v152
	v_cmp_gt_i32_e64 s7, s30, v157
	v_dual_mul_f32 v135, s36, v184 :: v_dual_mul_f32 v136, s36, v183
	v_mul_f32_e32 v134, s36, v185
	v_dual_mul_f32 v168, s36, v144 :: v_dual_mul_f32 v133, s36, v186
	s_delay_alu instid0(VALU_DEP_3) | instskip(NEXT) | instid1(VALU_DEP_4)
	v_cndmask_b32_e64 v135, 0xff7fffff, v135, s3
	v_cndmask_b32_e32 v136, 0xff7fffff, v136, vcc_lo
	v_dual_mul_f32 v131, s36, v188 :: v_dual_mul_f32 v174, s36, v138
	v_mul_f32_e32 v132, s36, v187
	v_cndmask_b32_e64 v134, 0xff7fffff, v134, s4
	v_cndmask_b32_e64 v133, 0xff7fffff, v133, s5
	v_max3_f32 v135, v136, 0xff7fffff, v135
	v_or_b32_e32 v160, 16, v152
	v_or_b32_e32 v161, 18, v152
	v_dual_mul_f32 v129, s36, v190 :: v_dual_mul_f32 v172, s36, v140
	v_mul_f32_e32 v130, s36, v189
	v_cndmask_b32_e64 v132, 0xff7fffff, v132, s6
	v_cndmask_b32_e64 v131, 0xff7fffff, v131, s7
	v_max3_f32 v133, v135, v134, v133
	v_cmp_gt_i32_e64 s8, s30, v158
	v_cmp_gt_i32_e64 s9, s30, v159
	v_or_b32_e32 v162, 20, v152
	v_or_b32_e32 v163, 22, v152
	v_mul_f32_e32 v175, s36, v137
	v_cndmask_b32_e64 v130, 0xff7fffff, v130, s8
	v_cndmask_b32_e64 v129, 0xff7fffff, v129, s9
	v_max3_f32 v131, v133, v132, v131
	v_cmp_gt_i32_e64 s10, s30, v160
	v_cmp_gt_i32_e64 s11, s30, v161
	v_or_b32_e32 v164, 24, v152
	v_or_b32_e32 v165, 26, v152
	;; [unrolled: 8-line block ×3, first 2 shown]
	v_dual_mul_f32 v170, s36, v142 :: v_dual_mul_f32 v171, s36, v141
	v_cndmask_b32_e64 v130, 0xff7fffff, v173, s12
	v_cndmask_b32_e64 v131, 0xff7fffff, v172, s13
	v_max3_f32 v129, v129, v132, v133
	v_cmp_gt_i32_e64 s15, s30, v164
	v_cmp_gt_i32_e64 s16, s30, v165
	v_mul_f32_e32 v169, s36, v143
	v_cmp_gt_i32_e64 s17, s30, v166
	v_max3_f32 v129, v129, v130, v131
	v_cndmask_b32_e64 v132, 0xff7fffff, v171, s15
	v_cndmask_b32_e64 v133, 0xff7fffff, v170, s16
	v_cmp_gt_i32_e64 s18, s30, v167
	v_cndmask_b32_e64 v130, 0xff7fffff, v169, s17
	s_delay_alu instid0(VALU_DEP_3) | instskip(NEXT) | instid1(VALU_DEP_3)
	v_max3_f32 v129, v129, v132, v133
	v_cndmask_b32_e64 v131, 0xff7fffff, v168, s18
	v_lshlrev_b32_e32 v132, 2, v151
	s_delay_alu instid0(VALU_DEP_2) | instskip(SKIP_3) | instid1(VALU_DEP_1)
	v_max3_f32 v129, v129, v130, v131
	ds_bpermute_b32 v130, v132, v129
	s_waitcnt lgkmcnt(0)
	v_max_f32_e32 v130, v130, v130
	v_max_f32_e32 v129, v129, v130
	s_delay_alu instid0(VALU_DEP_1)
	v_fma_f32 v134, s36, v186, -v129
	v_fma_f32 v130, s36, v183, -v129
	;; [unrolled: 1-line block ×5, first 2 shown]
	v_mul_f32_e32 v134, 0x3fb8aa3b, v134
	s_delay_alu instid0(VALU_DEP_4) | instskip(SKIP_1) | instid1(VALU_DEP_4)
	v_dual_mul_f32 v130, 0x3fb8aa3b, v130 :: v_dual_mul_f32 v131, 0x3fb8aa3b, v131
	v_fma_f32 v135, s36, v187, -v129
	v_mul_f32_e32 v136, 0x3fb8aa3b, v136
	s_delay_alu instid0(VALU_DEP_4) | instskip(NEXT) | instid1(VALU_DEP_3)
	v_exp_f32_e32 v134, v134
	v_exp_f32_e32 v130, v130
	;; [unrolled: 1-line block ×3, first 2 shown]
	v_mul_f32_e32 v135, 0x3fb8aa3b, v135
	v_exp_f32_e32 v136, v136
	s_delay_alu instid0(VALU_DEP_1) | instskip(SKIP_4) | instid1(TRANS32_DEP_3)
	v_exp_f32_e32 v135, v135
	v_cndmask_b32_e64 v153, 0, v134, s5
	v_fma_f32 v134, s36, v137, -v129
	v_dual_mul_f32 v133, 0x3fb8aa3b, v133 :: v_dual_cndmask_b32 v152, 0, v130
	v_fma_f32 v130, s36, v188, -v129
	v_cndmask_b32_e64 v151, 0, v131, s3
	s_delay_alu instid0(VALU_DEP_4) | instskip(NEXT) | instid1(VALU_DEP_4)
	v_mul_f32_e32 v134, 0x3fb8aa3b, v134
	v_exp_f32_e32 v133, v133
	s_delay_alu instid0(VALU_DEP_3) | instskip(SKIP_3) | instid1(VALU_DEP_4)
	v_dual_add_f32 v131, 0, v152 :: v_dual_mul_f32 v130, 0x3fb8aa3b, v130
	v_cndmask_b32_e64 v156, 0, v136, s8
	v_fma_f32 v136, s36, v140, -v129
	v_cndmask_b32_e64 v155, 0, v135, s6
	v_add_f32_e32 v131, v131, v151
	v_exp_f32_e32 v130, v130
	v_fma_f32 v135, s36, v138, -v129
	v_mul_f32_e32 v136, 0x3fb8aa3b, v136
	s_delay_alu instid0(TRANS32_DEP_2)
	v_cndmask_b32_e64 v154, 0, v133, s4
	v_fma_f32 v133, s36, v190, -v129
	v_exp_f32_e32 v134, v134
	s_mov_b32 s3, exec_lo
	v_exp_f32_e32 v136, v136
	v_add_f32_e32 v131, v131, v154
	s_delay_alu instid0(TRANS32_DEP_3) | instskip(NEXT) | instid1(VALU_DEP_2)
	v_cndmask_b32_e64 v138, 0, v130, s7
	v_add_f32_e32 v131, v131, v153
	s_delay_alu instid0(VALU_DEP_1) | instskip(NEXT) | instid1(VALU_DEP_1)
	v_dual_mul_f32 v133, 0x3fb8aa3b, v133 :: v_dual_add_f32 v130, v131, v155
	v_exp_f32_e32 v133, v133
	v_fma_f32 v131, s36, v139, -v129
	s_delay_alu instid0(VALU_DEP_2) | instskip(NEXT) | instid1(VALU_DEP_1)
	v_add_f32_e32 v130, v130, v138
	v_add_f32_e32 v130, v130, v156
	s_waitcnt_depctr 0xfff
	v_cndmask_b32_e64 v139, 0, v133, s9
	v_fma_f32 v133, s36, v141, -v129
	v_cndmask_b32_e64 v141, 0, v134, s10
	v_fma_f32 v134, s36, v142, -v129
	v_cndmask_b32_e64 v142, 0, v136, s13
	v_add_f32_e32 v130, v130, v139
	s_delay_alu instid0(VALU_DEP_3) | instskip(NEXT) | instid1(VALU_DEP_2)
	v_dual_mul_f32 v135, 0x3fb8aa3b, v135 :: v_dual_mul_f32 v134, 0x3fb8aa3b, v134
	v_add_f32_e32 v130, v130, v141
	s_delay_alu instid0(VALU_DEP_2) | instskip(NEXT) | instid1(VALU_DEP_2)
	v_exp_f32_e32 v135, v135
	v_exp_f32_e32 v134, v134
	s_waitcnt_depctr 0xfff
	v_cndmask_b32_e64 v140, 0, v135, s11
	v_mul_f32_e32 v131, 0x3fb8aa3b, v131
	v_fma_f32 v135, s36, v143, -v129
	s_delay_alu instid0(VALU_DEP_3) | instskip(NEXT) | instid1(VALU_DEP_3)
	v_add_f32_e32 v130, v130, v140
	v_exp_f32_e32 v131, v131
	s_waitcnt_depctr 0xfff
	v_cndmask_b32_e64 v143, 0, v131, s12
	s_delay_alu instid0(VALU_DEP_1) | instskip(NEXT) | instid1(VALU_DEP_1)
	v_dual_mul_f32 v133, 0x3fb8aa3b, v133 :: v_dual_add_f32 v130, v130, v143
	v_exp_f32_e32 v133, v133
	v_mul_f32_e32 v131, 0x3fb8aa3b, v135
	v_fma_f32 v135, s36, v144, -v129
	v_cndmask_b32_e64 v144, 0, v134, s16
	v_add_f32_e32 v130, v130, v142
	s_delay_alu instid0(VALU_DEP_4) | instskip(SKIP_2) | instid1(VALU_DEP_1)
	v_exp_f32_e32 v131, v131
	s_waitcnt_depctr 0xfff
	v_cndmask_b32_e64 v157, 0, v133, s15
	v_dual_mul_f32 v133, 0x3fb8aa3b, v135 :: v_dual_add_f32 v130, v130, v157
	s_delay_alu instid0(VALU_DEP_1) | instskip(SKIP_1) | instid1(VALU_DEP_2)
	v_exp_f32_e32 v133, v133
	v_cndmask_b32_e64 v159, 0, v131, s17
	v_add_f32_e32 v130, v130, v144
	s_delay_alu instid0(VALU_DEP_1) | instskip(SKIP_2) | instid1(VALU_DEP_1)
	v_add_f32_e32 v130, v130, v159
	s_waitcnt_depctr 0xfff
	v_cndmask_b32_e64 v158, 0, v133, s18
	v_add_f32_e32 v130, v130, v158
	ds_bpermute_b32 v131, v132, v130
	v_cmpx_gt_u32_e32 16, v150
	s_cbranch_execz .LBB7_12
; %bb.11:
	v_mul_u32_u24_e32 v132, 0x44, v149
	s_delay_alu instid0(VALU_DEP_1) | instskip(SKIP_1) | instid1(VALU_DEP_1)
	v_lshl_add_u32 v132, v148, 2, v132
	s_waitcnt lgkmcnt(0)
	v_dual_add_f32 v130, v130, v131 :: v_dual_add_nc_u32 v131, 0x4000, v132
	ds_store_2addr_b32 v131, v129, v130 offset1:136
.LBB7_12:
	s_or_b32 exec_lo, exec_lo, s3
	v_lshlrev_b32_e32 v129, 2, v148
	s_load_b32 s35, s[0:1], 0x94
	s_waitcnt lgkmcnt(0)
	s_barrier
	buffer_gl0_inv
	v_add_nc_u32_e32 v135, 0x4000, v129
	v_cmp_eq_u32_e32 vcc_lo, 1, v149
	v_cmp_eq_u32_e64 s3, 2, v149
	v_cmp_eq_u32_e64 s4, 3, v149
	v_cmp_eq_u32_e64 s5, 4, v149
	ds_load_2addr_b32 v[129:130], v135 offset1:17
	ds_load_2addr_b32 v[131:132], v135 offset0:34 offset1:51
	ds_load_2addr_b32 v[133:134], v135 offset0:68 offset1:85
	;; [unrolled: 1-line block ×3, first 2 shown]
	v_cmp_eq_u32_e64 s6, 5, v149
	v_cmp_eq_u32_e64 s7, 7, v149
	s_waitcnt lgkmcnt(3)
	v_max3_f32 v136, v129, 0xff7fffff, v130
	s_waitcnt lgkmcnt(2)
	s_delay_alu instid0(VALU_DEP_1) | instskip(SKIP_1) | instid1(VALU_DEP_1)
	v_max3_f32 v136, v136, v131, v132
	s_waitcnt lgkmcnt(1)
	v_max3_f32 v136, v136, v133, v134
	s_waitcnt lgkmcnt(0)
	s_delay_alu instid0(VALU_DEP_1) | instskip(NEXT) | instid1(VALU_DEP_1)
	v_max3_f32 v136, v136, v160, v161
	v_sub_f32_e32 v164, v132, v136
	ds_load_2addr_b32 v[162:163], v135 offset0:136 offset1:153
	v_sub_f32_e32 v129, v129, v136
	v_sub_f32_e32 v137, v130, v136
	;; [unrolled: 1-line block ×3, first 2 shown]
	v_mul_f32_e32 v164, 0x3fb8aa3b, v164
	s_delay_alu instid0(VALU_DEP_4) | instskip(NEXT) | instid1(VALU_DEP_4)
	v_mul_f32_e32 v150, 0x3fb8aa3b, v129
	v_mul_f32_e32 v137, 0x3fb8aa3b, v137
	ds_load_2addr_b32 v[129:130], v135 offset0:170 offset1:187
	v_mul_f32_e32 v167, 0x3fb8aa3b, v133
	v_exp_f32_e32 v164, v164
	v_exp_f32_e32 v150, v150
	;; [unrolled: 1-line block ×3, first 2 shown]
	v_sub_f32_e32 v131, v131, v136
	s_delay_alu instid0(VALU_DEP_1)
	v_mul_f32_e32 v165, 0x3fb8aa3b, v131
	ds_load_2addr_b32 v[131:132], v135 offset0:204 offset1:221
	s_waitcnt lgkmcnt(2)
	v_fma_f32 v137, v150, v162, 0
	v_sub_f32_e32 v162, v134, v136
	v_exp_f32_e32 v165, v165
	ds_load_2addr_b32 v[133:134], v135 offset0:238 offset1:255
	v_sub_f32_e32 v135, v160, v136
	v_dual_fmac_f32 v137, v166, v163 :: v_dual_mul_f32 v160, 0x3fb8aa3b, v162
	v_exp_f32_e32 v162, v167
	s_waitcnt lgkmcnt(0)
	s_delay_alu instid0(VALU_DEP_2)
	v_mul_f32_e32 v135, 0x3fb8aa3b, v135
	s_barrier
	v_exp_f32_e32 v160, v160
	v_fmac_f32_e32 v137, v165, v129
	v_sub_f32_e32 v129, v161, v136
	v_exp_f32_e32 v161, v135
	buffer_gl0_inv
	v_fmac_f32_e32 v137, v164, v130
	v_dual_mul_f32 v129, 0x3fb8aa3b, v129 :: v_dual_cndmask_b32 v130, v150, v166
	s_delay_alu instid0(VALU_DEP_2) | instskip(NEXT) | instid1(VALU_DEP_2)
	v_fmac_f32_e32 v137, v162, v131
	v_exp_f32_e32 v163, v129
	s_delay_alu instid0(VALU_DEP_1) | instskip(NEXT) | instid1(VALU_DEP_1)
	v_fmac_f32_e32 v137, v160, v132
	v_fmac_f32_e32 v137, v161, v133
	v_lshlrev_b32_e32 v133, 6, v148
	s_waitcnt_depctr 0xfff
	v_fmac_f32_e32 v137, v163, v134
	v_lshl_or_b32 v135, v149, 11, v133
	s_delay_alu instid0(VALU_DEP_2) | instskip(NEXT) | instid1(VALU_DEP_1)
	v_add_f32_e32 v134, 0x358637bd, v137
	v_div_scale_f32 v167, null, v134, v134, 1.0
	v_div_scale_f32 v150, vcc_lo, 1.0, v134, 1.0
	s_delay_alu instid0(VALU_DEP_2) | instskip(SKIP_2) | instid1(VALU_DEP_1)
	v_rcp_f32_e32 v168, v167
	s_waitcnt_depctr 0xfff
	v_fma_f32 v129, -v167, v168, 1.0
	v_fmac_f32_e32 v168, v129, v168
	v_cndmask_b32_e64 v129, v130, v165, s3
	v_cmp_eq_u32_e64 s3, 6, v149
	s_delay_alu instid0(VALU_DEP_3) | instskip(NEXT) | instid1(VALU_DEP_3)
	v_mul_f32_e32 v165, v150, v168
	v_cndmask_b32_e64 v130, v129, v164, s4
	v_lshlrev_b32_e32 v129, 2, v146
	s_delay_alu instid0(VALU_DEP_3) | instskip(NEXT) | instid1(VALU_DEP_3)
	v_fma_f32 v131, -v167, v165, v150
	v_cndmask_b32_e64 v162, v130, v162, s5
	s_delay_alu instid0(VALU_DEP_3)
	v_or_b32_e32 v130, 1, v129
	v_or_b32_e32 v132, 2, v129
	v_cmp_eq_u32_e64 s4, 1, v129
	v_fmac_f32_e32 v165, v131, v168
	v_cndmask_b32_e64 v149, v162, v160, s6
	v_or_b32_e32 v131, 3, v129
	v_cmp_eq_u32_e64 s9, 1, v130
	v_cmp_eq_u32_e64 s10, 1, v132
	v_fma_f32 v150, -v167, v165, v150
	v_cndmask_b32_e64 v149, v149, v161, s3
	v_cmp_eq_u32_e64 s11, 1, v131
	v_cmp_eq_u32_e64 s5, 2, v129
	v_cmp_eq_u32_e64 s12, 2, v130
	v_div_fmas_f32 v150, v150, v168, v165
	v_cndmask_b32_e64 v149, v149, v163, s7
	v_cmp_eq_u32_e64 s15, 2, v132
	v_cmp_eq_u32_e64 s16, 2, v131
	v_cmp_eq_u32_e32 vcc_lo, 3, v129
	v_div_fixup_f32 v150, v150, v134, 1.0
	v_lshl_or_b32 v134, v146, 4, v135
	v_cmp_eq_u32_e64 s13, 3, v130
	v_cmp_eq_u32_e64 s18, 3, v131
	;; [unrolled: 1-line block ×3, first 2 shown]
	v_mul_f32_e32 v149, v149, v150
	v_cmp_eq_u32_e64 s17, 3, v132
	v_cmp_eq_u32_e64 s19, 4, v130
	;; [unrolled: 1-line block ×4, first 2 shown]
	v_fma_mixlo_f16 v160, v149, v152, 0
	v_fma_mixlo_f16 v161, v149, v154, 0
	;; [unrolled: 1-line block ×8, first 2 shown]
	v_fma_mixhi_f16 v160, v149, v151, 0
	v_fma_mixhi_f16 v161, v149, v153, 0
	;; [unrolled: 1-line block ×8, first 2 shown]
	ds_store_b128 v134, v[160:163]
	ds_store_b128 v134, v[154:157] offset:1024
	s_waitcnt lgkmcnt(0)
	s_barrier
	buffer_gl0_inv
	ds_load_b128 v[138:141], v135
	ds_load_b128 v[149:152], v135 offset:16
	ds_load_b128 v[153:156], v135 offset:1024
	;; [unrolled: 1-line block ×3, first 2 shown]
	v_cmp_eq_u32_e64 s20, 5, v130
	v_cmp_eq_u32_e64 s21, 4, v132
	v_cmp_eq_u32_e64 s24, 5, v131
	v_cmp_eq_u32_e64 s7, 6, v129
	v_cmp_eq_u32_e64 s23, 5, v132
	v_cmp_eq_u32_e64 s25, 6, v130
	v_cmp_eq_u32_e64 s27, 6, v131
	v_cmp_eq_u32_e64 s8, 7, v129
	v_cmp_eq_u32_e64 s26, 6, v132
	v_cmp_eq_u32_e64 s29, 7, v131
	v_cmp_eq_u32_e64 s30, 7, v130
	v_cmp_eq_u32_e64 s28, 7, v132
	s_waitcnt lgkmcnt(3)
	v_lshrrev_b32_e32 v142, 16, v138
	s_waitcnt lgkmcnt(2)
	v_lshrrev_b32_e32 v162, 16, v149
	;; [unrolled: 2-line block ×4, first 2 shown]
	v_lshrrev_b32_e32 v143, 16, v139
	v_cndmask_b32_e64 v174, v138, v142, s4
	v_cndmask_b32_e64 v175, v149, v162, s4
	;; [unrolled: 1-line block ×7, first 2 shown]
	v_lshrrev_b32_e32 v163, 16, v150
	v_cndmask_b32_e64 v179, v149, v162, s10
	v_cndmask_b32_e64 v149, v153, v166, s4
	;; [unrolled: 1-line block ×16, first 2 shown]
	v_lshrrev_b32_e32 v167, 16, v154
	v_lshrrev_b32_e32 v171, 16, v158
	v_cndmask_b32_e64 v177, v179, v150, s15
	v_cndmask_b32_e64 v142, v149, v154, s5
	v_cndmask_b32_e64 v149, v162, v158, s5
	v_cndmask_b32_e64 v150, v180, v154, s12
	v_cndmask_b32_e64 v162, v182, v154, s15
	v_cndmask_b32_e64 v153, v153, v154, s16
	v_cndmask_b32_e64 v154, v157, v158, s16
	v_cndmask_b32_e32 v157, v166, v143, vcc_lo
	v_cndmask_b32_e32 v166, v170, v163, vcc_lo
	v_cndmask_b32_e64 v170, v174, v143, s13
	v_cndmask_b32_e64 v174, v175, v163, s13
	;; [unrolled: 1-line block ×4, first 2 shown]
	v_lshrrev_b32_e32 v144, 16, v140
	v_lshrrev_b32_e32 v164, 16, v151
	v_cndmask_b32_e64 v175, v176, v143, s17
	v_cndmask_b32_e64 v176, v177, v163, s17
	v_cndmask_b32_e32 v142, v142, v167, vcc_lo
	v_cndmask_b32_e32 v143, v149, v171, vcc_lo
	v_cndmask_b32_e64 v149, v150, v167, s13
	v_cndmask_b32_e64 v150, v157, v140, s3
	;; [unrolled: 1-line block ×7, first 2 shown]
	v_lshrrev_b32_e32 v168, 16, v155
	v_cndmask_b32_e64 v170, v175, v140, s21
	v_cndmask_b32_e64 v174, v176, v151, s21
	;; [unrolled: 1-line block ×11, first 2 shown]
	v_lshrrev_b32_e32 v161, 16, v141
	v_lshrrev_b32_e32 v165, 16, v152
	v_cndmask_b32_e64 v163, v170, v144, s23
	v_cndmask_b32_e64 v166, v174, v164, s23
	;; [unrolled: 1-line block ×9, first 2 shown]
	v_lshrrev_b32_e32 v169, 16, v156
	v_cndmask_b32_e64 v140, v140, v168, s6
	v_cndmask_b32_e64 v157, v163, v141, s26
	;; [unrolled: 1-line block ×14, first 2 shown]
	v_perm_b32 v141, v139, v138, 0x5040100
	v_perm_b32 v139, v151, v149, 0x5040100
	v_cndmask_b32_e64 v138, v183, v158, s15
	v_cndmask_b32_e64 v149, v181, v158, s12
	;; [unrolled: 1-line block ×3, first 2 shown]
	v_perm_b32 v140, v152, v150, 0x5040100
	v_cndmask_b32_e64 v150, v162, v167, s17
	v_cndmask_b32_e64 v151, v153, v167, s18
	v_cndmask_b32_e64 v152, v154, v171, s18
	v_cndmask_b32_e64 v138, v138, v171, s17
	v_cndmask_b32_e64 v149, v149, v171, s13
	v_lshrrev_b32_e32 v172, 16, v159
	v_cndmask_b32_e64 v150, v150, v155, s21
	v_cndmask_b32_e64 v151, v151, v155, s22
	;; [unrolled: 1-line block ×11, first 2 shown]
	v_lshrrev_b32_e32 v173, 16, v160
	v_cndmask_b32_e64 v142, v142, v160, s7
	v_cndmask_b32_e64 v150, v150, v156, s26
	;; [unrolled: 1-line block ×12, first 2 shown]
	v_perm_b32 v138, v144, v143, 0x5040100
	v_perm_b32 v152, v152, v151, 0x5040100
	;; [unrolled: 1-line block ×5, first 2 shown]
	s_mul_i32 s7, s33, 6
	s_mov_b32 s3, exec_lo
	ds_store_b128 v134, v[138:141]
	ds_store_b128 v134, v[149:152] offset:1024
	v_cmpx_gt_u32_e32 6, v0
	s_cbranch_execz .LBB7_14
; %bb.13:
	s_mul_i32 s4, s7, s34
	s_load_b128 s[8:11], s[0:1], 0x58
	v_add3_u32 v140, s4, s31, v148
	s_delay_alu instid0(VALU_DEP_1) | instskip(NEXT) | instid1(VALU_DEP_1)
	v_mad_u64_u32 v[138:139], null, v140, s35, s[14:15]
	v_ashrrev_i32_e32 v139, 31, v138
	s_delay_alu instid0(VALU_DEP_1) | instskip(SKIP_1) | instid1(VALU_DEP_1)
	v_lshlrev_b64 v[138:139], 2, v[138:139]
	s_waitcnt lgkmcnt(0)
	v_add_co_u32 v140, vcc_lo, s10, v138
	s_delay_alu instid0(VALU_DEP_2)
	v_add_co_ci_u32_e32 v141, vcc_lo, s11, v139, vcc_lo
	v_add_co_u32 v138, vcc_lo, s8, v138
	v_add_co_ci_u32_e32 v139, vcc_lo, s9, v139, vcc_lo
	global_store_b32 v[140:141], v136, off
	global_store_b32 v[138:139], v137, off
.LBB7_14:
	s_or_b32 exec_lo, exec_lo, s3
	s_waitcnt lgkmcnt(0)
	s_waitcnt_vscnt null, 0x0
	s_barrier
	buffer_gl0_inv
	ds_load_b128 v[148:151], v133
	ds_load_b128 v[152:155], v133 offset:16
	ds_load_b128 v[160:163], v133 offset:1040
	;; [unrolled: 1-line block ×5, first 2 shown]
	v_cmp_eq_u32_e32 vcc_lo, 1, v132
	v_mov_b32_e32 v136, 0
	ds_load_b128 v[176:179], v133 offset:3088
	ds_load_b128 v[172:175], v133 offset:3072
	;; [unrolled: 1-line block ×4, first 2 shown]
	v_cmp_eq_u32_e64 s3, 1, v129
	v_cmp_eq_u32_e64 s4, 1, v131
	;; [unrolled: 1-line block ×3, first 2 shown]
	v_mov_b32_e32 v137, v136
	v_mov_b32_e32 v138, v136
	;; [unrolled: 1-line block ×7, first 2 shown]
	v_cmp_eq_u32_e64 s6, 2, v129
	s_waitcnt lgkmcnt(8)
	s_delay_alu instid0(VALU_DEP_2)
	v_wmma_f32_16x16x16_f16 v[136:143], v[121:128], v[148:155], v[136:143]
	ds_load_b128 v[125:128], v133 offset:5136
	ds_load_b128 v[121:124], v133 offset:5120
	s_waitcnt lgkmcnt(8)
	v_wmma_f32_16x16x16_f16 v[136:143], v[113:120], v[156:163], v[136:143]
	ds_load_b128 v[117:120], v133 offset:6160
	ds_load_b128 v[113:116], v133 offset:6144
	s_waitcnt lgkmcnt(8)
	;; [unrolled: 4-line block ×11, first 2 shown]
	s_barrier
	buffer_gl0_inv
	v_wmma_f32_16x16x16_f16 v[136:143], v[1:8], v[73:80], v[136:143]
	s_delay_alu instid0(VALU_DEP_1) | instskip(NEXT) | instid1(VALU_DEP_1)
	v_wmma_f32_16x16x16_f16 v[136:143], v[9:16], v[65:72], v[136:143]
	v_wmma_f32_16x16x16_f16 v[136:143], v[33:40], v[57:64], v[136:143]
	s_delay_alu instid0(VALU_DEP_1) | instskip(NEXT) | instid1(VALU_DEP_1)
	v_wmma_f32_16x16x16_f16 v[136:143], v[41:48], v[49:56], v[136:143]
	v_wmma_f32_16x16x16_f16 v[136:143], v[17:24], v[25:32], v[136:143]
	s_delay_alu instid0(VALU_DEP_1) | instskip(NEXT) | instid1(VALU_DEP_2)
	v_cvt_f16_f32_e64 v1, v136
	v_cvt_f16_f32_e64 v2, v137
	s_delay_alu instid0(VALU_DEP_3) | instskip(NEXT) | instid1(VALU_DEP_4)
	v_cvt_f16_f32_e64 v3, v138
	v_cvt_f16_f32_e64 v4, v139
	;; [unrolled: 1-line block ×6, first 2 shown]
	v_pack_b32_f16 v1, v1, v2
	v_pack_b32_f16 v2, v3, v4
	;; [unrolled: 1-line block ×3, first 2 shown]
	s_delay_alu instid0(VALU_DEP_4)
	v_pack_b32_f16 v4, v7, v8
	ds_store_b128 v134, v[1:4]
	s_waitcnt lgkmcnt(0)
	s_barrier
	buffer_gl0_inv
	ds_load_b128 v[1:4], v135
	ds_load_b128 v[5:8], v135 offset:16
	s_waitcnt lgkmcnt(1)
	v_lshrrev_b32_e32 v9, 16, v1
	s_waitcnt lgkmcnt(0)
	v_lshrrev_b32_e32 v13, 16, v5
	v_lshrrev_b32_e32 v10, 16, v2
	;; [unrolled: 1-line block ×4, first 2 shown]
	v_cndmask_b32_e64 v17, v1, v9, s3
	v_cndmask_b32_e64 v18, v5, v13, s3
	;; [unrolled: 1-line block ×3, first 2 shown]
	v_cmp_eq_u32_e64 s3, 2, v130
	v_cndmask_b32_e64 v20, v5, v13, s5
	v_cndmask_b32_e32 v21, v1, v9, vcc_lo
	v_cndmask_b32_e32 v22, v5, v13, vcc_lo
	v_cndmask_b32_e64 v1, v1, v9, s4
	v_cndmask_b32_e64 v5, v5, v13, s4
	v_cmp_eq_u32_e32 vcc_lo, 2, v132
	v_cmp_eq_u32_e64 s4, 2, v131
	v_cndmask_b32_e64 v9, v17, v2, s6
	v_cndmask_b32_e64 v13, v18, v6, s6
	;; [unrolled: 1-line block ×4, first 2 shown]
	v_cndmask_b32_e32 v19, v21, v2, vcc_lo
	v_cmp_eq_u32_e64 s3, 3, v132
	v_cndmask_b32_e32 v20, v22, v6, vcc_lo
	v_cndmask_b32_e64 v1, v1, v2, s4
	v_cmp_eq_u32_e32 vcc_lo, 3, v131
	v_cmp_eq_u32_e64 s5, 3, v129
	v_cndmask_b32_e64 v2, v5, v6, s4
	v_cmp_eq_u32_e64 s4, 3, v130
	v_cmp_eq_u32_e64 s6, 4, v129
	v_cndmask_b32_e32 v1, v1, v10, vcc_lo
	v_cndmask_b32_e64 v5, v9, v10, s5
	v_cndmask_b32_e64 v6, v13, v14, s5
	;; [unrolled: 1-line block ×3, first 2 shown]
	v_cmp_eq_u32_e64 s5, 4, v130
	v_cndmask_b32_e64 v13, v18, v14, s4
	v_cndmask_b32_e64 v17, v19, v10, s3
	;; [unrolled: 1-line block ×3, first 2 shown]
	v_cndmask_b32_e32 v2, v2, v14, vcc_lo
	v_cmp_eq_u32_e32 vcc_lo, 4, v132
	v_cmp_eq_u32_e64 s4, 4, v131
	v_lshrrev_b32_e32 v15, 16, v7
	v_cndmask_b32_e64 v5, v5, v3, s6
	v_cndmask_b32_e64 v6, v6, v7, s6
	v_cndmask_b32_e32 v14, v18, v7, vcc_lo
	v_cndmask_b32_e64 v9, v9, v3, s5
	v_cndmask_b32_e64 v10, v13, v7, s5
	v_cndmask_b32_e32 v13, v17, v3, vcc_lo
	v_cmp_eq_u32_e64 s3, 5, v132
	v_cndmask_b32_e64 v1, v1, v3, s4
	v_cmp_eq_u32_e32 vcc_lo, 5, v131
	v_cmp_eq_u32_e64 s5, 5, v129
	v_cndmask_b32_e64 v2, v2, v7, s4
	v_cmp_eq_u32_e64 s4, 5, v130
	v_cmp_eq_u32_e64 s6, 6, v129
	v_lshrrev_b32_e32 v12, 16, v4
	v_cndmask_b32_e64 v3, v5, v11, s5
	v_cndmask_b32_e64 v5, v6, v15, s5
	;; [unrolled: 1-line block ×3, first 2 shown]
	v_cmp_eq_u32_e64 s5, 6, v130
	v_cndmask_b32_e64 v7, v10, v15, s4
	v_cndmask_b32_e64 v9, v13, v11, s3
	;; [unrolled: 1-line block ×3, first 2 shown]
	v_cndmask_b32_e32 v1, v1, v11, vcc_lo
	v_cndmask_b32_e32 v2, v2, v15, vcc_lo
	v_cmp_eq_u32_e32 vcc_lo, 6, v132
	v_cmp_eq_u32_e64 s3, 6, v131
	v_lshrrev_b32_e32 v16, 16, v8
	v_cndmask_b32_e64 v3, v3, v4, s6
	v_cndmask_b32_e64 v5, v5, v8, s6
	v_cndmask_b32_e32 v9, v9, v4, vcc_lo
	v_cndmask_b32_e64 v6, v6, v4, s5
	v_cndmask_b32_e64 v7, v7, v8, s5
	v_cmp_eq_u32_e64 s4, 7, v132
	v_cndmask_b32_e32 v10, v10, v8, vcc_lo
	v_cndmask_b32_e64 v1, v1, v4, s3
	v_cmp_eq_u32_e32 vcc_lo, 7, v131
	v_cndmask_b32_e64 v2, v2, v8, s3
	v_cmp_eq_u32_e64 s3, 7, v129
	v_cmp_eq_u32_e64 s5, 7, v130
	v_cndmask_b32_e32 v1, v1, v12, vcc_lo
	s_delay_alu instid0(VALU_DEP_4) | instskip(NEXT) | instid1(VALU_DEP_4)
	v_cndmask_b32_e32 v2, v2, v16, vcc_lo
	v_cndmask_b32_e64 v8, v3, v12, s3
	s_delay_alu instid0(VALU_DEP_4)
	v_cndmask_b32_e64 v6, v6, v12, s5
	v_cndmask_b32_e64 v3, v9, v12, s4
	;; [unrolled: 1-line block ×5, first 2 shown]
	v_cmp_gt_u32_e32 vcc_lo, 32, v0
	v_perm_b32 v4, v2, v1, 0x5040100
	v_perm_b32 v3, v9, v3, 0x5040100
	v_perm_b32 v2, v7, v6, 0x5040100
	v_perm_b32 v1, v5, v8, 0x5040100
	s_and_b32 s2, vcc_lo, s2
	ds_store_b128 v134, v[1:4]
	s_waitcnt lgkmcnt(0)
	s_barrier
	buffer_gl0_inv
	s_and_saveexec_b32 s3, s2
	s_cbranch_execz .LBB7_2
; %bb.15:
	s_load_b64 s[0:1], s[0:1], 0x68
	s_lshl_b32 s4, s35, 6
	v_or_b32_e32 v3, s31, v146
	s_mul_i32 s2, s4, s34
	v_lshlrev_b32_e32 v0, 10, v0
	s_mul_i32 s2, s2, s7
	v_lshlrev_b32_e32 v1, 4, v147
	s_ashr_i32 s3, s2, 31
	v_mul_lo_u32 v12, v3, s4
	s_lshl_b64 s[2:3], s[2:3], 1
	v_lshlrev_b32_e32 v2, 6, v146
	v_and_b32_e32 v0, 0x3800, v0
	s_delay_alu instid0(VALU_DEP_1) | instskip(NEXT) | instid1(VALU_DEP_4)
	v_or3_b32 v8, v0, v1, v2
	v_ashrrev_i32_e32 v13, 31, v12
	ds_load_b128 v[0:3], v8
	ds_load_b128 v[4:7], v8 offset:128
	ds_load_b128 v[8:11], v8 offset:256
	s_waitcnt lgkmcnt(0)
	s_add_u32 s2, s0, s2
	s_addc_u32 s3, s1, s3
	s_lshl_b32 s0, s14, 6
	s_delay_alu instid0(SALU_CYCLE_1) | instskip(NEXT) | instid1(SALU_CYCLE_1)
	s_ashr_i32 s1, s0, 31
	s_lshl_b64 s[0:1], s[0:1], 1
	s_delay_alu instid0(SALU_CYCLE_1)
	s_add_u32 s0, s2, s0
	s_addc_u32 s1, s3, s1
	s_lshl_b32 s2, s35, 7
	v_add_co_u32 v18, s0, s0, v145
	v_add_nc_u32_e32 v14, s2, v12
	v_lshlrev_b64 v[12:13], 1, v[12:13]
	v_add_co_ci_u32_e64 v19, null, s1, 0, s0
	s_delay_alu instid0(VALU_DEP_3) | instskip(SKIP_1) | instid1(VALU_DEP_4)
	v_add_nc_u32_e32 v16, s2, v14
	v_ashrrev_i32_e32 v15, 31, v14
	v_add_co_u32 v12, vcc_lo, v18, v12
	s_delay_alu instid0(VALU_DEP_4) | instskip(NEXT) | instid1(VALU_DEP_4)
	v_add_co_ci_u32_e32 v13, vcc_lo, v19, v13, vcc_lo
	v_ashrrev_i32_e32 v17, 31, v16
	s_delay_alu instid0(VALU_DEP_4) | instskip(NEXT) | instid1(VALU_DEP_2)
	v_lshlrev_b64 v[14:15], 1, v[14:15]
	v_lshlrev_b64 v[16:17], 1, v[16:17]
	s_delay_alu instid0(VALU_DEP_2) | instskip(NEXT) | instid1(VALU_DEP_3)
	v_add_co_u32 v14, vcc_lo, v18, v14
	v_add_co_ci_u32_e32 v15, vcc_lo, v19, v15, vcc_lo
	s_delay_alu instid0(VALU_DEP_3) | instskip(NEXT) | instid1(VALU_DEP_4)
	v_add_co_u32 v16, vcc_lo, v18, v16
	v_add_co_ci_u32_e32 v17, vcc_lo, v19, v17, vcc_lo
	s_clause 0x2
	global_store_b128 v[12:13], v[0:3], off
	global_store_b128 v[14:15], v[4:7], off
	global_store_b128 v[16:17], v[8:11], off
	s_nop 0
	s_sendmsg sendmsg(MSG_DEALLOC_VGPRS)
	s_endpgm
	.section	.rodata,"a",@progbits
	.p2align	6, 0x0
	.amdhsa_kernel _Z39paged_attention_ll4mi_QKV_mfma16_kernelIDF16_DF16_LN4vllm18Fp8KVCacheDataTypeE0EhLi16ELi64ELi256ELb1ELi6EL8MFMAType0EEvPKT_PKT0_S8_ifPKiSA_SA_iPKfiiiPfSD_PS3_PT2_iSC_SC_
		.amdhsa_group_segment_fixed_size 17472
		.amdhsa_private_segment_fixed_size 0
		.amdhsa_kernarg_size 400
		.amdhsa_user_sgpr_count 13
		.amdhsa_user_sgpr_dispatch_ptr 0
		.amdhsa_user_sgpr_queue_ptr 0
		.amdhsa_user_sgpr_kernarg_segment_ptr 1
		.amdhsa_user_sgpr_dispatch_id 0
		.amdhsa_user_sgpr_private_segment_size 0
		.amdhsa_wavefront_size32 1
		.amdhsa_uses_dynamic_stack 0
		.amdhsa_enable_private_segment 0
		.amdhsa_system_sgpr_workgroup_id_x 1
		.amdhsa_system_sgpr_workgroup_id_y 1
		.amdhsa_system_sgpr_workgroup_id_z 1
		.amdhsa_system_sgpr_workgroup_info 0
		.amdhsa_system_vgpr_workitem_id 0
		.amdhsa_next_free_vgpr 198
		.amdhsa_next_free_sgpr 52
		.amdhsa_reserve_vcc 1
		.amdhsa_float_round_mode_32 0
		.amdhsa_float_round_mode_16_64 0
		.amdhsa_float_denorm_mode_32 3
		.amdhsa_float_denorm_mode_16_64 3
		.amdhsa_dx10_clamp 1
		.amdhsa_ieee_mode 1
		.amdhsa_fp16_overflow 0
		.amdhsa_workgroup_processor_mode 1
		.amdhsa_memory_ordered 1
		.amdhsa_forward_progress 0
		.amdhsa_shared_vgpr_count 0
		.amdhsa_exception_fp_ieee_invalid_op 0
		.amdhsa_exception_fp_denorm_src 0
		.amdhsa_exception_fp_ieee_div_zero 0
		.amdhsa_exception_fp_ieee_overflow 0
		.amdhsa_exception_fp_ieee_underflow 0
		.amdhsa_exception_fp_ieee_inexact 0
		.amdhsa_exception_int_div_zero 0
	.end_amdhsa_kernel
	.section	.text._Z39paged_attention_ll4mi_QKV_mfma16_kernelIDF16_DF16_LN4vllm18Fp8KVCacheDataTypeE0EhLi16ELi64ELi256ELb1ELi6EL8MFMAType0EEvPKT_PKT0_S8_ifPKiSA_SA_iPKfiiiPfSD_PS3_PT2_iSC_SC_,"axG",@progbits,_Z39paged_attention_ll4mi_QKV_mfma16_kernelIDF16_DF16_LN4vllm18Fp8KVCacheDataTypeE0EhLi16ELi64ELi256ELb1ELi6EL8MFMAType0EEvPKT_PKT0_S8_ifPKiSA_SA_iPKfiiiPfSD_PS3_PT2_iSC_SC_,comdat
.Lfunc_end7:
	.size	_Z39paged_attention_ll4mi_QKV_mfma16_kernelIDF16_DF16_LN4vllm18Fp8KVCacheDataTypeE0EhLi16ELi64ELi256ELb1ELi6EL8MFMAType0EEvPKT_PKT0_S8_ifPKiSA_SA_iPKfiiiPfSD_PS3_PT2_iSC_SC_, .Lfunc_end7-_Z39paged_attention_ll4mi_QKV_mfma16_kernelIDF16_DF16_LN4vllm18Fp8KVCacheDataTypeE0EhLi16ELi64ELi256ELb1ELi6EL8MFMAType0EEvPKT_PKT0_S8_ifPKiSA_SA_iPKfiiiPfSD_PS3_PT2_iSC_SC_
                                        ; -- End function
	.section	.AMDGPU.csdata,"",@progbits
; Kernel info:
; codeLenInByte = 7812
; NumSgprs: 54
; NumVgprs: 198
; ScratchSize: 0
; MemoryBound: 0
; FloatMode: 240
; IeeeMode: 1
; LDSByteSize: 17472 bytes/workgroup (compile time only)
; SGPRBlocks: 6
; VGPRBlocks: 24
; NumSGPRsForWavesPerEU: 54
; NumVGPRsForWavesPerEU: 198
; Occupancy: 7
; WaveLimiterHint : 1
; COMPUTE_PGM_RSRC2:SCRATCH_EN: 0
; COMPUTE_PGM_RSRC2:USER_SGPR: 13
; COMPUTE_PGM_RSRC2:TRAP_HANDLER: 0
; COMPUTE_PGM_RSRC2:TGID_X_EN: 1
; COMPUTE_PGM_RSRC2:TGID_Y_EN: 1
; COMPUTE_PGM_RSRC2:TGID_Z_EN: 1
; COMPUTE_PGM_RSRC2:TIDIG_COMP_CNT: 0
	.section	.text._Z39paged_attention_ll4mi_QKV_mfma16_kernelIDF16_DF16_LN4vllm18Fp8KVCacheDataTypeE0EhLi16ELi64ELi256ELb1ELi7EL8MFMAType0EEvPKT_PKT0_S8_ifPKiSA_SA_iPKfiiiPfSD_PS3_PT2_iSC_SC_,"axG",@progbits,_Z39paged_attention_ll4mi_QKV_mfma16_kernelIDF16_DF16_LN4vllm18Fp8KVCacheDataTypeE0EhLi16ELi64ELi256ELb1ELi7EL8MFMAType0EEvPKT_PKT0_S8_ifPKiSA_SA_iPKfiiiPfSD_PS3_PT2_iSC_SC_,comdat
	.protected	_Z39paged_attention_ll4mi_QKV_mfma16_kernelIDF16_DF16_LN4vllm18Fp8KVCacheDataTypeE0EhLi16ELi64ELi256ELb1ELi7EL8MFMAType0EEvPKT_PKT0_S8_ifPKiSA_SA_iPKfiiiPfSD_PS3_PT2_iSC_SC_ ; -- Begin function _Z39paged_attention_ll4mi_QKV_mfma16_kernelIDF16_DF16_LN4vllm18Fp8KVCacheDataTypeE0EhLi16ELi64ELi256ELb1ELi7EL8MFMAType0EEvPKT_PKT0_S8_ifPKiSA_SA_iPKfiiiPfSD_PS3_PT2_iSC_SC_
	.globl	_Z39paged_attention_ll4mi_QKV_mfma16_kernelIDF16_DF16_LN4vllm18Fp8KVCacheDataTypeE0EhLi16ELi64ELi256ELb1ELi7EL8MFMAType0EEvPKT_PKT0_S8_ifPKiSA_SA_iPKfiiiPfSD_PS3_PT2_iSC_SC_
	.p2align	8
	.type	_Z39paged_attention_ll4mi_QKV_mfma16_kernelIDF16_DF16_LN4vllm18Fp8KVCacheDataTypeE0EhLi16ELi64ELi256ELb1ELi7EL8MFMAType0EEvPKT_PKT0_S8_ifPKiSA_SA_iPKfiiiPfSD_PS3_PT2_iSC_SC_,@function
_Z39paged_attention_ll4mi_QKV_mfma16_kernelIDF16_DF16_LN4vllm18Fp8KVCacheDataTypeE0EhLi16ELi64ELi256ELb1ELi7EL8MFMAType0EEvPKT_PKT0_S8_ifPKiSA_SA_iPKfiiiPfSD_PS3_PT2_iSC_SC_: ; @_Z39paged_attention_ll4mi_QKV_mfma16_kernelIDF16_DF16_LN4vllm18Fp8KVCacheDataTypeE0EhLi16ELi64ELi256ELb1ELi7EL8MFMAType0EEvPKT_PKT0_S8_ifPKiSA_SA_iPKfiiiPfSD_PS3_PT2_iSC_SC_
; %bb.0:
	s_load_b64 s[2:3], s[0:1], 0x30
	s_mov_b32 s34, s13
	s_waitcnt lgkmcnt(0)
	s_cmp_lg_u64 s[2:3], 0
	s_cselect_b32 s8, -1, 0
	s_ashr_i32 s35, s13, 31
	s_cmp_eq_u64 s[2:3], 0
	s_cbranch_scc1 .LBB8_3
; %bb.1:
	s_lshl_b64 s[4:5], s[34:35], 2
	s_delay_alu instid0(SALU_CYCLE_1) | instskip(SKIP_4) | instid1(SALU_CYCLE_1)
	s_add_u32 s4, s2, s4
	s_addc_u32 s5, s3, s5
	s_load_b64 s[4:5], s[4:5], 0x0
	s_waitcnt lgkmcnt(0)
	s_sub_i32 s4, s5, s4
	s_cmp_eq_u32 s4, 1
	s_cselect_b32 s4, -1, 0
	s_delay_alu instid0(SALU_CYCLE_1)
	s_and_not1_b32 vcc_lo, exec_lo, s4
	s_cbranch_vccz .LBB8_4
.LBB8_2:
	s_nop 0
	s_sendmsg sendmsg(MSG_DEALLOC_VGPRS)
	s_endpgm
.LBB8_3:
.LBB8_4:
	s_load_b64 s[4:5], s[0:1], 0x28
	s_lshl_b64 s[6:7], s[34:35], 2
	s_waitcnt lgkmcnt(0)
	s_add_u32 s4, s4, s6
	s_addc_u32 s5, s5, s7
	s_lshl_b32 s31, s14, 8
	s_load_b32 s30, s[4:5], 0x0
	s_waitcnt lgkmcnt(0)
	s_cmp_ge_i32 s31, s30
	s_cbranch_scc1 .LBB8_2
; %bb.5:
	s_clause 0x1
	s_load_b128 s[20:23], s[0:1], 0x8
	s_load_b64 s[4:5], s[0:1], 0x20
	s_and_not1_b32 vcc_lo, exec_lo, s8
	s_cbranch_vccnz .LBB8_7
; %bb.6:
	s_add_u32 s2, s2, s6
	s_addc_u32 s3, s3, s7
	s_load_b32 s3, s[2:3], 0x0
	s_branch .LBB8_8
.LBB8_7:
	s_mov_b32 s3, s34
.LBB8_8:
	s_load_b128 s[16:19], s[0:1], 0x48
	v_lshrrev_b32_e32 v149, 5, v0
	v_bfe_u32 v146, v0, 4, 1
	v_and_b32_e32 v148, 15, v0
	v_and_b32_e32 v150, 31, v0
	;; [unrolled: 1-line block ×3, first 2 shown]
	s_mul_i32 s33, s15, 7
	v_lshl_or_b32 v1, v149, 1, v146
	v_lshlrev_b32_e32 v2, 3, v148
	v_cmp_gt_u32_e64 s2, 8, v148
	s_delay_alu instid0(VALU_DEP_3) | instskip(NEXT) | instid1(VALU_DEP_3)
	v_cmp_gt_u32_e32 vcc_lo, 7, v1
	v_lshlrev_b32_e32 v145, 1, v2
	s_delay_alu instid0(VALU_DEP_3) | instskip(NEXT) | instid1(SALU_CYCLE_1)
	s_and_b32 s7, s2, vcc_lo
	s_and_saveexec_b32 s6, s7
	s_cbranch_execz .LBB8_10
; %bb.9:
	s_load_b64 s[8:9], s[0:1], 0x0
	v_add_lshl_u32 v2, v1, s33, 6
	s_waitcnt lgkmcnt(0)
	s_mul_hi_i32 s11, s3, s16
	s_mul_i32 s10, s3, s16
	v_lshlrev_b32_e32 v6, 10, v148
	s_lshl_b64 s[10:11], s[10:11], 1
	v_ashrrev_i32_e32 v3, 31, v2
	v_lshlrev_b32_e32 v1, 6, v1
	v_lshlrev_b32_e32 v7, 10, v147
	v_and_b32_e32 v6, 0x3800, v6
	s_delay_alu instid0(VALU_DEP_4) | instskip(NEXT) | instid1(VALU_DEP_2)
	v_lshlrev_b64 v[2:3], 1, v[2:3]
	v_or3_b32 v1, v6, v7, v1
	s_add_u32 s3, s8, s10
	s_addc_u32 s7, s9, s11
	s_delay_alu instid0(VALU_DEP_2) | instskip(NEXT) | instid1(VALU_DEP_3)
	v_add_co_u32 v2, vcc_lo, s3, v2
	v_add_co_ci_u32_e32 v3, vcc_lo, s7, v3, vcc_lo
	s_delay_alu instid0(VALU_DEP_2) | instskip(NEXT) | instid1(VALU_DEP_2)
	v_add_co_u32 v2, vcc_lo, v2, v145
	v_add_co_ci_u32_e32 v3, vcc_lo, 0, v3, vcc_lo
	global_load_b128 v[2:5], v[2:3], off
	s_waitcnt vmcnt(0)
	ds_store_b128 v1, v[2:5]
.LBB8_10:
	s_or_b32 exec_lo, exec_lo, s6
	v_and_b32_e32 v1, 0xef, v0
	s_waitcnt lgkmcnt(0)
	s_add_i32 s3, s30, 15
	s_clause 0x1
	s_load_b32 s6, s[0:1], 0x38
	s_load_b32 s35, s[0:1], 0x98
	s_ashr_i32 s7, s3, 31
	v_add_nc_u32_e32 v1, s31, v1
	s_lshr_b32 s7, s7, 28
	s_load_b32 s36, s[0:1], 0x1c
	s_add_i32 s3, s3, s7
	s_waitcnt lgkmcnt(0)
	v_ashrrev_i32_e32 v2, 31, v1
	v_or_b32_e32 v3, 16, v1
	s_ashr_i32 s3, s3, 4
	v_cmp_gt_i32_e32 vcc_lo, s30, v1
	s_add_i32 s3, s3, -1
	v_lshrrev_b32_e32 v2, 28, v2
	s_barrier
	buffer_gl0_inv
	v_add_nc_u32_e32 v4, v1, v2
	s_mul_i32 s6, s34, s6
	s_delay_alu instid0(SALU_CYCLE_1) | instskip(NEXT) | instid1(VALU_DEP_1)
	s_ashr_i32 s7, s6, 31
	v_ashrrev_i32_e32 v4, 4, v4
	v_add_nc_u32_e32 v2, v3, v2
	s_lshl_b64 s[6:7], s[6:7], 2
	s_delay_alu instid0(SALU_CYCLE_1) | instskip(NEXT) | instid1(VALU_DEP_2)
	s_add_u32 s16, s4, s6
	v_cndmask_b32_e32 v1, s3, v4, vcc_lo
	s_delay_alu instid0(VALU_DEP_2) | instskip(SKIP_3) | instid1(SALU_CYCLE_1)
	v_ashrrev_i32_e32 v2, 4, v2
	v_cmp_gt_i32_e32 vcc_lo, s30, v3
	s_addc_u32 s37, s5, s7
	s_mul_i32 s4, s15, s18
	s_ashr_i32 s5, s4, 31
	v_cndmask_b32_e32 v3, s3, v2, vcc_lo
	v_ashrrev_i32_e32 v2, 31, v1
	s_lshl_b64 s[12:13], s[4:5], 1
	s_delay_alu instid0(SALU_CYCLE_1) | instskip(NEXT) | instid1(VALU_DEP_2)
	s_add_u32 s26, s20, s12
	v_ashrrev_i32_e32 v4, 31, v3
	s_delay_alu instid0(VALU_DEP_2) | instskip(SKIP_2) | instid1(VALU_DEP_2)
	v_lshlrev_b64 v[1:2], 2, v[1:2]
	s_addc_u32 s27, s21, s13
	s_lshl_b32 s4, s14, 4
	v_lshlrev_b64 v[3:4], 2, v[3:4]
	s_ashr_i32 s5, s4, 31
	s_delay_alu instid0(VALU_DEP_2) | instskip(SKIP_1) | instid1(VALU_DEP_3)
	v_add_co_u32 v1, vcc_lo, s16, v1
	v_add_co_ci_u32_e32 v2, vcc_lo, s37, v2, vcc_lo
	v_add_co_u32 v3, vcc_lo, s16, v3
	s_delay_alu instid0(VALU_DEP_4)
	v_add_co_ci_u32_e32 v4, vcc_lo, s37, v4, vcc_lo
	s_clause 0x1
	global_load_b32 v5, v[1:2], off
	global_load_b32 v6, v[3:4], off
	s_lshl_b64 s[4:5], s[4:5], 2
	v_lshlrev_b32_e32 v3, 4, v0
	s_add_u32 s4, s16, s4
	s_addc_u32 s5, s37, s5
	s_or_b32 s6, s31, 16
	s_delay_alu instid0(SALU_CYCLE_1) | instskip(SKIP_2) | instid1(SALU_CYCLE_1)
	s_ashr_i32 s7, s6, 4
	s_cmp_lt_i32 s6, s30
	s_cselect_b32 s6, s7, s3
	s_ashr_i32 s7, s6, 31
	s_delay_alu instid0(SALU_CYCLE_1) | instskip(NEXT) | instid1(SALU_CYCLE_1)
	s_lshl_b64 s[6:7], s[6:7], 2
	s_add_u32 s6, s16, s6
	s_addc_u32 s7, s37, s7
	s_or_b32 s8, s31, 32
	s_delay_alu instid0(SALU_CYCLE_1) | instskip(SKIP_2) | instid1(SALU_CYCLE_1)
	s_ashr_i32 s9, s8, 4
	s_cmp_lt_i32 s8, s30
	s_cselect_b32 s8, s9, s3
	s_ashr_i32 s9, s8, 31
	s_delay_alu instid0(SALU_CYCLE_1) | instskip(NEXT) | instid1(SALU_CYCLE_1)
	s_lshl_b64 s[8:9], s[8:9], 2
	;; [unrolled: 10-line block ×5, first 2 shown]
	s_add_u32 s24, s16, s18
	s_addc_u32 s25, s37, s19
	s_clause 0x5
	s_load_b32 s38, s[4:5], 0x0
	s_load_b32 s29, s[6:7], 0x0
	;; [unrolled: 1-line block ×6, first 2 shown]
	s_waitcnt vmcnt(1)
	v_mad_i64_i32 v[1:2], null, v5, s17, 0
	v_and_b32_e32 v5, 0xf0, v3
	s_waitcnt vmcnt(0)
	v_mad_i64_i32 v[3:4], null, v6, s17, 0
	s_delay_alu instid0(VALU_DEP_2) | instskip(NEXT) | instid1(VALU_DEP_4)
	v_add_co_u32 v7, s4, s26, v5
	v_lshlrev_b64 v[1:2], 1, v[1:2]
	v_add_co_ci_u32_e64 v8, null, s27, 0, s4
	s_delay_alu instid0(VALU_DEP_4) | instskip(SKIP_1) | instid1(VALU_DEP_3)
	v_lshlrev_b64 v[5:6], 1, v[3:4]
	s_or_b32 s4, s31, 0x60
	v_add_co_u32 v3, vcc_lo, v7, v1
	s_delay_alu instid0(VALU_DEP_3) | instskip(NEXT) | instid1(VALU_DEP_3)
	v_add_co_ci_u32_e32 v4, vcc_lo, v8, v2, vcc_lo
	v_add_co_u32 v1, vcc_lo, v7, v5
	s_delay_alu instid0(VALU_DEP_4)
	v_add_co_ci_u32_e32 v2, vcc_lo, v8, v6, vcc_lo
	s_clause 0x9
	global_load_b128 v[9:12], v[3:4], off
	global_load_b128 v[13:16], v[3:4], off offset:256
	global_load_b128 v[129:132], v[1:2], off
	global_load_b128 v[133:136], v[1:2], off offset:256
	global_load_b128 v[41:44], v[3:4], off offset:512
	;; [unrolled: 1-line block ×7, first 2 shown]
	v_mul_lo_u16 v5, v148, 37
	s_clause 0x1
	global_load_b128 v[151:154], v[1:2], off offset:1024
	global_load_b128 v[155:158], v[1:2], off offset:1280
	s_ashr_i32 s5, s4, 4
	s_cmp_lt_i32 s4, s30
	v_lshlrev_b32_e32 v6, 5, v148
	v_lshrrev_b16 v5, 8, v5
	s_cselect_b32 s4, s5, s3
	s_delay_alu instid0(SALU_CYCLE_1) | instskip(NEXT) | instid1(VALU_DEP_2)
	s_ashr_i32 s5, s4, 31
	v_lshl_or_b32 v6, v149, 9, v6
	s_delay_alu instid0(VALU_DEP_2) | instskip(SKIP_1) | instid1(SALU_CYCLE_1)
	v_mul_lo_u16 v5, v5, 7
	s_lshl_b64 s[4:5], s[4:5], 2
	s_add_u32 s20, s16, s4
	s_addc_u32 s21, s37, s5
	s_delay_alu instid0(VALU_DEP_1) | instskip(SKIP_1) | instid1(SALU_CYCLE_1)
	v_sub_nc_u16 v5, v148, v5
	s_or_b32 s4, s31, 0x70
	s_ashr_i32 s5, s4, 4
	s_cmp_lt_i32 s4, s30
	s_delay_alu instid0(VALU_DEP_1) | instskip(SKIP_1) | instid1(SALU_CYCLE_1)
	v_and_b32_e32 v5, 0xff, v5
	s_cselect_b32 s4, s5, s3
	s_ashr_i32 s5, s4, 31
	s_delay_alu instid0(VALU_DEP_1)
	v_lshlrev_b32_e32 v197, 6, v5
	ds_load_b128 v[159:162], v197
	ds_load_b128 v[163:166], v197 offset:1024
	s_clause 0x3
	global_load_b128 v[167:170], v[3:4], off offset:1536
	global_load_b128 v[171:174], v[3:4], off offset:1792
	;; [unrolled: 1-line block ×4, first 2 shown]
	s_lshl_b64 s[6:7], s[4:5], 2
	s_mov_b32 s4, 0
	s_add_u32 s24, s16, s6
	s_addc_u32 s25, s37, s7
	s_or_b32 s5, s31, 0x80
	s_mov_b32 s11, s4
	s_ashr_i32 s6, s5, 4
	s_cmp_lt_i32 s5, s30
	s_mov_b32 s5, s4
	s_cselect_b32 s8, s6, s3
	s_mov_b32 s6, s4
	s_ashr_i32 s9, s8, 31
	s_mov_b32 s7, s4
	s_lshl_b64 s[8:9], s[8:9], 2
	s_clause 0x1
	s_load_b32 s45, s[20:21], 0x0
	s_load_b32 s46, s[24:25], 0x0
	s_add_u32 s26, s16, s8
	s_addc_u32 s27, s37, s9
	s_or_b32 s9, s31, 0x90
	s_mov_b32 s8, s4
	s_ashr_i32 s10, s9, 4
	s_cmp_lt_i32 s9, s30
	s_mov_b32 s9, s4
	s_cselect_b32 s40, s10, s3
	s_mov_b32 s10, s4
	s_ashr_i32 s41, s40, 31
	v_mov_b32_e32 v144, s11
	s_lshl_b64 s[40:41], s[40:41], 2
	v_mov_b32_e32 v143, s10
	s_add_u32 s40, s16, s40
	s_addc_u32 s41, s37, s41
	s_or_b32 s39, s31, 0xa0
	s_load_b32 s41, s[40:41], 0x0
	s_ashr_i32 s42, s39, 4
	s_cmp_lt_i32 s39, s30
	v_mov_b32_e32 v142, s9
	s_cselect_b32 s42, s42, s3
	v_mov_b32_e32 v141, s8
	s_ashr_i32 s43, s42, 31
	v_dual_mov_b32 v140, s7 :: v_dual_mov_b32 v139, s6
	v_dual_mov_b32 v138, s5 :: v_dual_mov_b32 v137, s4
	s_lshl_b64 s[4:5], s[42:43], 2
	s_waitcnt lgkmcnt(0)
	s_mul_hi_i32 s7, s29, s17
	s_add_u32 s42, s16, s4
	s_addc_u32 s43, s37, s5
	s_or_b32 s4, s31, 0xb0
	s_mul_hi_i32 s5, s38, s17
	s_ashr_i32 s6, s4, 4
	s_cmp_lt_i32 s4, s30
	s_mul_i32 s4, s38, s17
	s_cselect_b32 s8, s6, s3
	s_mul_i32 s6, s29, s17
	s_ashr_i32 s9, s8, 31
	s_load_b32 s40, s[42:43], 0x0
	s_lshl_b64 s[8:9], s[8:9], 2
	s_mul_hi_i32 s21, s15, s17
	s_add_u32 s38, s16, s8
	s_addc_u32 s39, s37, s9
	s_or_b32 s8, s31, 0xc0
	s_mul_hi_i32 s9, s28, s17
	s_ashr_i32 s10, s8, 4
	s_cmp_lt_i32 s8, s30
	s_mul_i32 s8, s28, s17
	s_cselect_b32 s28, s10, s3
	s_mul_hi_i32 s11, s19, s17
	s_ashr_i32 s29, s28, 31
	s_mul_i32 s10, s19, s17
	s_lshl_b64 s[28:29], s[28:29], 2
	s_mul_hi_i32 s19, s18, s17
	s_add_u32 s28, s16, s28
	s_addc_u32 s29, s37, s29
	s_or_b32 s44, s31, 0xd0
	s_mul_i32 s18, s18, s17
	s_ashr_i32 s20, s44, 4
	s_cmp_lt_i32 s44, s30
	s_load_b32 s44, s[26:27], 0x0
	s_cselect_b32 s24, s20, s3
	s_mul_i32 s20, s15, s17
	s_ashr_i32 s25, s24, 31
	s_mul_hi_i32 s27, s46, s17
	s_lshl_b64 s[24:25], s[24:25], 2
	s_mul_i32 s26, s46, s17
	s_add_u32 s24, s16, s24
	s_addc_u32 s25, s37, s25
	s_or_b32 s42, s31, 0xe0
	s_clause 0x2
	s_load_b32 s39, s[38:39], 0x0
	s_load_b32 s38, s[28:29], 0x0
	;; [unrolled: 1-line block ×3, first 2 shown]
	s_ashr_i32 s47, s42, 4
	s_cmp_lt_i32 s42, s30
	s_mul_hi_i32 s25, s45, s17
	s_mul_i32 s24, s45, s17
	s_mul_hi_i32 s43, s41, s17
	s_mul_i32 s42, s41, s17
	s_waitcnt lgkmcnt(0)
	s_mul_hi_i32 s41, s40, s17
	s_mul_i32 s40, s40, s17
	s_mul_hi_i32 s29, s44, s17
	s_mul_i32 s28, s44, s17
	s_cselect_b32 s44, s47, s3
	s_delay_alu instid0(SALU_CYCLE_1) | instskip(NEXT) | instid1(SALU_CYCLE_1)
	s_ashr_i32 s45, s44, 31
	s_lshl_b64 s[44:45], s[44:45], 2
	s_delay_alu instid0(SALU_CYCLE_1)
	s_add_u32 s44, s16, s44
	s_addc_u32 s45, s37, s45
	s_or_b32 s46, s31, 0xf0
	s_mul_hi_i32 s51, s15, s17
	s_ashr_i32 s48, s46, 4
	s_cmp_lt_i32 s46, s30
	s_mul_i32 s50, s15, s17
	s_cselect_b32 s48, s48, s3
	s_mul_hi_i32 s47, s39, s17
	s_ashr_i32 s49, s48, 31
	s_mul_i32 s46, s39, s17
	s_lshl_b64 s[48:49], s[48:49], 2
	s_mul_hi_i32 s39, s38, s17
	s_add_u32 s48, s16, s48
	s_addc_u32 s49, s37, s49
	s_add_u32 s3, s22, s12
	s_addc_u32 s15, s23, s13
	v_add_co_u32 v195, s3, s3, v6
	s_delay_alu instid0(VALU_DEP_1) | instskip(SKIP_2) | instid1(VALU_DEP_2)
	v_add_co_ci_u32_e64 v196, null, s15, 0, s3
	s_lshl_b64 s[4:5], s[4:5], 1
	s_lshl_b64 s[6:7], s[6:7], 1
	v_add_co_u32 v1, vcc_lo, v195, s4
	s_delay_alu instid0(VALU_DEP_2)
	v_add_co_ci_u32_e32 v2, vcc_lo, s5, v196, vcc_lo
	v_add_co_u32 v3, vcc_lo, v195, s6
	s_lshl_b64 s[8:9], s[8:9], 1
	v_add_co_ci_u32_e32 v4, vcc_lo, s7, v196, vcc_lo
	v_add_co_u32 v5, vcc_lo, v195, s8
	s_lshl_b64 s[10:11], s[10:11], 1
	;; [unrolled: 3-line block ×10, first 2 shown]
	s_mul_i32 s38, s38, s17
	v_add_co_ci_u32_e32 v184, vcc_lo, s29, v196, vcc_lo
	v_add_co_u32 v185, vcc_lo, v195, s40
	s_lshl_b64 s[38:39], s[38:39], 1
	s_clause 0x1
	s_load_b32 s3, s[44:45], 0x0
	s_load_b32 s15, s[48:49], 0x0
	v_add_co_ci_u32_e32 v186, vcc_lo, s41, v196, vcc_lo
	v_add_co_u32 v191, vcc_lo, v195, s38
	v_add_co_ci_u32_e32 v192, vcc_lo, s39, v196, vcc_lo
	s_clause 0x17
	global_load_b128 v[121:124], v[1:2], off
	global_load_b128 v[125:128], v[1:2], off offset:16
	global_load_b128 v[113:116], v[3:4], off
	global_load_b128 v[117:120], v[3:4], off offset:16
	;; [unrolled: 2-line block ×12, first 2 shown]
	s_lshl_b64 s[42:43], s[50:51], 1
	s_delay_alu instid0(SALU_CYCLE_1)
	v_add_co_u32 v193, vcc_lo, v195, s42
	v_add_co_ci_u32_e32 v194, vcc_lo, s43, v196, vcc_lo
	s_waitcnt lgkmcnt(0)
	s_mul_hi_i32 s5, s3, s17
	s_mul_i32 s4, s3, s17
	s_mul_hi_i32 s7, s15, s17
	s_lshl_b64 s[4:5], s[4:5], 1
	s_mul_i32 s6, s15, s17
	s_waitcnt vmcnt(38)
	v_wmma_f32_16x16x16_f16 v[183:190], v[9:16], v[159:166], v[137:144]
	s_waitcnt vmcnt(36)
	v_wmma_f32_16x16x16_f16 v[137:144], v[129:136], v[159:166], v[137:144]
	s_clause 0x1
	global_load_b128 v[9:12], v[191:192], off
	global_load_b128 v[13:16], v[191:192], off offset:16
	ds_load_b128 v[129:132], v197 offset:2048
	ds_load_b128 v[133:136], v197 offset:3072
	;; [unrolled: 1-line block ×4, first 2 shown]
	v_add_co_u32 v191, vcc_lo, v195, s4
	v_add_co_ci_u32_e32 v192, vcc_lo, s5, v196, vcc_lo
	s_lshl_b64 s[4:5], s[6:7], 1
	s_delay_alu instid0(SALU_CYCLE_1)
	v_add_co_u32 v195, vcc_lo, v195, s4
	v_add_co_ci_u32_e32 v196, vcc_lo, s5, v196, vcc_lo
	s_waitcnt vmcnt(36) lgkmcnt(2)
	v_wmma_f32_16x16x16_f16 v[183:190], v[41:48], v[129:136], v[183:190]
	s_waitcnt vmcnt(34)
	v_wmma_f32_16x16x16_f16 v[137:144], v[33:40], v[129:136], v[137:144]
	s_clause 0x3
	global_load_b128 v[33:36], v[193:194], off
	global_load_b128 v[37:40], v[193:194], off offset:16
	global_load_b128 v[41:44], v[191:192], off
	global_load_b128 v[45:48], v[191:192], off offset:16
	v_and_b32_e32 v129, 0xe0, v0
	v_mbcnt_lo_u32_b32 v191, -1, 0
	s_waitcnt vmcnt(36) lgkmcnt(0)
	v_wmma_f32_16x16x16_f16 v[183:190], v[17:24], v[159:166], v[183:190]
	s_clause 0x1
	global_load_b128 v[17:20], v[195:196], off
	global_load_b128 v[21:24], v[195:196], off offset:16
	s_waitcnt vmcnt(36)
	v_wmma_f32_16x16x16_f16 v[137:144], v[151:158], v[159:166], v[137:144]
	v_add_nc_u32_e32 v192, s31, v129
	ds_load_b128 v[129:132], v197 offset:6144
	ds_load_b128 v[133:136], v197 offset:7168
	v_xor_b32_e32 v151, 16, v191
	s_waitcnt vmcnt(0) lgkmcnt(0)
	s_barrier
	v_or_b32_e32 v152, v192, v146
	buffer_gl0_inv
	v_cmp_gt_i32_e32 vcc_lo, 32, v151
	v_or_b32_e32 v153, 2, v152
	v_or_b32_e32 v154, 4, v152
	;; [unrolled: 1-line block ×5, first 2 shown]
	v_cmp_gt_i32_e64 s3, s30, v153
	v_cmp_gt_i32_e64 s4, s30, v154
	;; [unrolled: 1-line block ×3, first 2 shown]
	v_or_b32_e32 v158, 12, v152
	v_or_b32_e32 v159, 14, v152
	v_cmp_gt_i32_e64 s6, s30, v156
	v_wmma_f32_16x16x16_f16 v[183:190], v[167:174], v[129:136], v[183:190]
	v_wmma_f32_16x16x16_f16 v[137:144], v[175:182], v[129:136], v[137:144]
	v_cndmask_b32_e32 v151, v191, v151, vcc_lo
	v_cmp_gt_i32_e32 vcc_lo, s30, v152
	v_cmp_gt_i32_e64 s7, s30, v157
	v_dual_mul_f32 v135, s36, v184 :: v_dual_mul_f32 v136, s36, v183
	v_mul_f32_e32 v134, s36, v185
	v_dual_mul_f32 v168, s36, v144 :: v_dual_mul_f32 v133, s36, v186
	s_delay_alu instid0(VALU_DEP_3) | instskip(NEXT) | instid1(VALU_DEP_4)
	v_cndmask_b32_e64 v135, 0xff7fffff, v135, s3
	v_cndmask_b32_e32 v136, 0xff7fffff, v136, vcc_lo
	v_dual_mul_f32 v131, s36, v188 :: v_dual_mul_f32 v174, s36, v138
	v_mul_f32_e32 v132, s36, v187
	v_cndmask_b32_e64 v134, 0xff7fffff, v134, s4
	v_cndmask_b32_e64 v133, 0xff7fffff, v133, s5
	v_max3_f32 v135, v136, 0xff7fffff, v135
	v_or_b32_e32 v160, 16, v152
	v_or_b32_e32 v161, 18, v152
	v_dual_mul_f32 v129, s36, v190 :: v_dual_mul_f32 v172, s36, v140
	v_mul_f32_e32 v130, s36, v189
	v_cndmask_b32_e64 v132, 0xff7fffff, v132, s6
	v_cndmask_b32_e64 v131, 0xff7fffff, v131, s7
	v_max3_f32 v133, v135, v134, v133
	v_cmp_gt_i32_e64 s8, s30, v158
	v_cmp_gt_i32_e64 s9, s30, v159
	v_or_b32_e32 v162, 20, v152
	v_or_b32_e32 v163, 22, v152
	v_mul_f32_e32 v175, s36, v137
	v_cndmask_b32_e64 v130, 0xff7fffff, v130, s8
	v_cndmask_b32_e64 v129, 0xff7fffff, v129, s9
	v_max3_f32 v131, v133, v132, v131
	v_cmp_gt_i32_e64 s10, s30, v160
	v_cmp_gt_i32_e64 s11, s30, v161
	v_or_b32_e32 v164, 24, v152
	v_or_b32_e32 v165, 26, v152
	;; [unrolled: 8-line block ×3, first 2 shown]
	v_dual_mul_f32 v170, s36, v142 :: v_dual_mul_f32 v171, s36, v141
	v_cndmask_b32_e64 v130, 0xff7fffff, v173, s12
	v_cndmask_b32_e64 v131, 0xff7fffff, v172, s13
	v_max3_f32 v129, v129, v132, v133
	v_cmp_gt_i32_e64 s15, s30, v164
	v_cmp_gt_i32_e64 s16, s30, v165
	v_mul_f32_e32 v169, s36, v143
	v_cmp_gt_i32_e64 s17, s30, v166
	v_max3_f32 v129, v129, v130, v131
	v_cndmask_b32_e64 v132, 0xff7fffff, v171, s15
	v_cndmask_b32_e64 v133, 0xff7fffff, v170, s16
	v_cmp_gt_i32_e64 s18, s30, v167
	v_cndmask_b32_e64 v130, 0xff7fffff, v169, s17
	s_delay_alu instid0(VALU_DEP_3) | instskip(NEXT) | instid1(VALU_DEP_3)
	v_max3_f32 v129, v129, v132, v133
	v_cndmask_b32_e64 v131, 0xff7fffff, v168, s18
	v_lshlrev_b32_e32 v132, 2, v151
	s_delay_alu instid0(VALU_DEP_2) | instskip(SKIP_3) | instid1(VALU_DEP_1)
	v_max3_f32 v129, v129, v130, v131
	ds_bpermute_b32 v130, v132, v129
	s_waitcnt lgkmcnt(0)
	v_max_f32_e32 v130, v130, v130
	v_max_f32_e32 v129, v129, v130
	s_delay_alu instid0(VALU_DEP_1)
	v_fma_f32 v134, s36, v186, -v129
	v_fma_f32 v130, s36, v183, -v129
	;; [unrolled: 1-line block ×5, first 2 shown]
	v_mul_f32_e32 v134, 0x3fb8aa3b, v134
	s_delay_alu instid0(VALU_DEP_4) | instskip(SKIP_1) | instid1(VALU_DEP_4)
	v_dual_mul_f32 v130, 0x3fb8aa3b, v130 :: v_dual_mul_f32 v131, 0x3fb8aa3b, v131
	v_fma_f32 v135, s36, v187, -v129
	v_mul_f32_e32 v136, 0x3fb8aa3b, v136
	s_delay_alu instid0(VALU_DEP_4) | instskip(NEXT) | instid1(VALU_DEP_3)
	v_exp_f32_e32 v134, v134
	v_exp_f32_e32 v130, v130
	;; [unrolled: 1-line block ×3, first 2 shown]
	v_mul_f32_e32 v135, 0x3fb8aa3b, v135
	v_exp_f32_e32 v136, v136
	s_delay_alu instid0(VALU_DEP_1) | instskip(SKIP_4) | instid1(TRANS32_DEP_3)
	v_exp_f32_e32 v135, v135
	v_cndmask_b32_e64 v153, 0, v134, s5
	v_fma_f32 v134, s36, v137, -v129
	v_dual_mul_f32 v133, 0x3fb8aa3b, v133 :: v_dual_cndmask_b32 v152, 0, v130
	v_fma_f32 v130, s36, v188, -v129
	v_cndmask_b32_e64 v151, 0, v131, s3
	s_delay_alu instid0(VALU_DEP_4) | instskip(NEXT) | instid1(VALU_DEP_4)
	v_mul_f32_e32 v134, 0x3fb8aa3b, v134
	v_exp_f32_e32 v133, v133
	s_delay_alu instid0(VALU_DEP_3) | instskip(SKIP_3) | instid1(VALU_DEP_4)
	v_dual_add_f32 v131, 0, v152 :: v_dual_mul_f32 v130, 0x3fb8aa3b, v130
	v_cndmask_b32_e64 v156, 0, v136, s8
	v_fma_f32 v136, s36, v140, -v129
	v_cndmask_b32_e64 v155, 0, v135, s6
	v_add_f32_e32 v131, v131, v151
	v_exp_f32_e32 v130, v130
	v_fma_f32 v135, s36, v138, -v129
	v_mul_f32_e32 v136, 0x3fb8aa3b, v136
	s_delay_alu instid0(TRANS32_DEP_2)
	v_cndmask_b32_e64 v154, 0, v133, s4
	v_fma_f32 v133, s36, v190, -v129
	v_exp_f32_e32 v134, v134
	v_cmp_gt_u32_e64 s3, 16, v150
	v_exp_f32_e32 v136, v136
	v_add_f32_e32 v131, v131, v154
	s_delay_alu instid0(TRANS32_DEP_3) | instskip(NEXT) | instid1(VALU_DEP_2)
	v_cndmask_b32_e64 v138, 0, v130, s7
	v_add_f32_e32 v131, v131, v153
	s_delay_alu instid0(VALU_DEP_1) | instskip(NEXT) | instid1(VALU_DEP_1)
	v_dual_mul_f32 v133, 0x3fb8aa3b, v133 :: v_dual_add_f32 v130, v131, v155
	v_exp_f32_e32 v133, v133
	v_fma_f32 v131, s36, v139, -v129
	s_delay_alu instid0(VALU_DEP_2) | instskip(NEXT) | instid1(VALU_DEP_1)
	v_add_f32_e32 v130, v130, v138
	v_add_f32_e32 v130, v130, v156
	s_waitcnt_depctr 0xfff
	v_cndmask_b32_e64 v139, 0, v133, s9
	v_fma_f32 v133, s36, v141, -v129
	v_cndmask_b32_e64 v141, 0, v134, s10
	v_fma_f32 v134, s36, v142, -v129
	v_cndmask_b32_e64 v142, 0, v136, s13
	v_add_f32_e32 v130, v130, v139
	s_delay_alu instid0(VALU_DEP_3) | instskip(NEXT) | instid1(VALU_DEP_2)
	v_dual_mul_f32 v135, 0x3fb8aa3b, v135 :: v_dual_mul_f32 v134, 0x3fb8aa3b, v134
	v_add_f32_e32 v130, v130, v141
	s_delay_alu instid0(VALU_DEP_2) | instskip(NEXT) | instid1(VALU_DEP_2)
	v_exp_f32_e32 v135, v135
	v_exp_f32_e32 v134, v134
	s_waitcnt_depctr 0xfff
	v_cndmask_b32_e64 v140, 0, v135, s11
	v_mul_f32_e32 v131, 0x3fb8aa3b, v131
	v_fma_f32 v135, s36, v143, -v129
	s_delay_alu instid0(VALU_DEP_3) | instskip(NEXT) | instid1(VALU_DEP_3)
	v_add_f32_e32 v130, v130, v140
	v_exp_f32_e32 v131, v131
	s_waitcnt_depctr 0xfff
	v_cndmask_b32_e64 v143, 0, v131, s12
	s_delay_alu instid0(VALU_DEP_1) | instskip(NEXT) | instid1(VALU_DEP_1)
	v_dual_mul_f32 v133, 0x3fb8aa3b, v133 :: v_dual_add_f32 v130, v130, v143
	v_exp_f32_e32 v133, v133
	v_mul_f32_e32 v131, 0x3fb8aa3b, v135
	v_fma_f32 v135, s36, v144, -v129
	v_cndmask_b32_e64 v144, 0, v134, s16
	v_add_f32_e32 v130, v130, v142
	s_delay_alu instid0(VALU_DEP_4) | instskip(SKIP_2) | instid1(VALU_DEP_1)
	v_exp_f32_e32 v131, v131
	s_waitcnt_depctr 0xfff
	v_cndmask_b32_e64 v157, 0, v133, s15
	v_dual_mul_f32 v133, 0x3fb8aa3b, v135 :: v_dual_add_f32 v130, v130, v157
	s_delay_alu instid0(VALU_DEP_1) | instskip(SKIP_1) | instid1(VALU_DEP_2)
	v_exp_f32_e32 v133, v133
	v_cndmask_b32_e64 v159, 0, v131, s17
	v_add_f32_e32 v130, v130, v144
	s_delay_alu instid0(VALU_DEP_1) | instskip(SKIP_2) | instid1(VALU_DEP_1)
	v_add_f32_e32 v130, v130, v159
	s_waitcnt_depctr 0xfff
	v_cndmask_b32_e64 v158, 0, v133, s18
	v_add_f32_e32 v130, v130, v158
	ds_bpermute_b32 v131, v132, v130
	s_and_saveexec_b32 s4, s3
	s_cbranch_execz .LBB8_12
; %bb.11:
	v_mul_u32_u24_e32 v132, 0x44, v149
	s_delay_alu instid0(VALU_DEP_1) | instskip(SKIP_1) | instid1(VALU_DEP_1)
	v_lshl_add_u32 v132, v148, 2, v132
	s_waitcnt lgkmcnt(0)
	v_dual_add_f32 v130, v130, v131 :: v_dual_add_nc_u32 v131, 0x4000, v132
	ds_store_2addr_b32 v131, v129, v130 offset1:136
.LBB8_12:
	s_or_b32 exec_lo, exec_lo, s4
	v_lshlrev_b32_e32 v129, 2, v148
	s_load_b32 s36, s[0:1], 0x94
	s_waitcnt lgkmcnt(0)
	s_barrier
	buffer_gl0_inv
	v_add_nc_u32_e32 v135, 0x4000, v129
	v_cmp_eq_u32_e32 vcc_lo, 1, v149
	v_cmp_eq_u32_e64 s4, 2, v149
	v_cmp_eq_u32_e64 s5, 3, v149
	;; [unrolled: 1-line block ×3, first 2 shown]
	ds_load_2addr_b32 v[129:130], v135 offset1:17
	ds_load_2addr_b32 v[131:132], v135 offset0:34 offset1:51
	ds_load_2addr_b32 v[133:134], v135 offset0:68 offset1:85
	;; [unrolled: 1-line block ×3, first 2 shown]
	v_cmp_eq_u32_e64 s7, 5, v149
	v_cmp_eq_u32_e64 s8, 7, v149
	s_waitcnt lgkmcnt(3)
	v_max3_f32 v136, v129, 0xff7fffff, v130
	s_waitcnt lgkmcnt(2)
	s_delay_alu instid0(VALU_DEP_1) | instskip(SKIP_1) | instid1(VALU_DEP_1)
	v_max3_f32 v136, v136, v131, v132
	s_waitcnt lgkmcnt(1)
	v_max3_f32 v136, v136, v133, v134
	s_waitcnt lgkmcnt(0)
	s_delay_alu instid0(VALU_DEP_1) | instskip(NEXT) | instid1(VALU_DEP_1)
	v_max3_f32 v136, v136, v160, v161
	v_sub_f32_e32 v164, v132, v136
	ds_load_2addr_b32 v[162:163], v135 offset0:136 offset1:153
	v_sub_f32_e32 v129, v129, v136
	v_sub_f32_e32 v137, v130, v136
	;; [unrolled: 1-line block ×3, first 2 shown]
	v_mul_f32_e32 v164, 0x3fb8aa3b, v164
	s_delay_alu instid0(VALU_DEP_4) | instskip(NEXT) | instid1(VALU_DEP_4)
	v_mul_f32_e32 v150, 0x3fb8aa3b, v129
	v_mul_f32_e32 v137, 0x3fb8aa3b, v137
	ds_load_2addr_b32 v[129:130], v135 offset0:170 offset1:187
	v_mul_f32_e32 v167, 0x3fb8aa3b, v133
	v_exp_f32_e32 v164, v164
	v_exp_f32_e32 v150, v150
	;; [unrolled: 1-line block ×3, first 2 shown]
	v_sub_f32_e32 v131, v131, v136
	s_delay_alu instid0(VALU_DEP_1)
	v_mul_f32_e32 v165, 0x3fb8aa3b, v131
	ds_load_2addr_b32 v[131:132], v135 offset0:204 offset1:221
	s_waitcnt lgkmcnt(2)
	v_fma_f32 v137, v150, v162, 0
	v_sub_f32_e32 v162, v134, v136
	v_exp_f32_e32 v165, v165
	ds_load_2addr_b32 v[133:134], v135 offset0:238 offset1:255
	v_sub_f32_e32 v135, v160, v136
	v_dual_fmac_f32 v137, v166, v163 :: v_dual_mul_f32 v160, 0x3fb8aa3b, v162
	v_exp_f32_e32 v162, v167
	s_waitcnt lgkmcnt(0)
	s_delay_alu instid0(VALU_DEP_2)
	v_mul_f32_e32 v135, 0x3fb8aa3b, v135
	s_barrier
	v_exp_f32_e32 v160, v160
	v_fmac_f32_e32 v137, v165, v129
	v_sub_f32_e32 v129, v161, v136
	v_exp_f32_e32 v161, v135
	buffer_gl0_inv
	v_fmac_f32_e32 v137, v164, v130
	v_dual_mul_f32 v129, 0x3fb8aa3b, v129 :: v_dual_cndmask_b32 v130, v150, v166
	s_delay_alu instid0(VALU_DEP_2) | instskip(NEXT) | instid1(VALU_DEP_2)
	v_fmac_f32_e32 v137, v162, v131
	v_exp_f32_e32 v163, v129
	s_delay_alu instid0(VALU_DEP_1) | instskip(NEXT) | instid1(VALU_DEP_1)
	v_fmac_f32_e32 v137, v160, v132
	v_fmac_f32_e32 v137, v161, v133
	v_lshlrev_b32_e32 v133, 6, v148
	s_waitcnt_depctr 0xfff
	v_fmac_f32_e32 v137, v163, v134
	v_lshl_or_b32 v135, v149, 11, v133
	s_delay_alu instid0(VALU_DEP_2) | instskip(NEXT) | instid1(VALU_DEP_1)
	v_add_f32_e32 v134, 0x358637bd, v137
	v_div_scale_f32 v167, null, v134, v134, 1.0
	v_div_scale_f32 v150, vcc_lo, 1.0, v134, 1.0
	s_delay_alu instid0(VALU_DEP_2) | instskip(SKIP_2) | instid1(VALU_DEP_1)
	v_rcp_f32_e32 v168, v167
	s_waitcnt_depctr 0xfff
	v_fma_f32 v129, -v167, v168, 1.0
	v_fmac_f32_e32 v168, v129, v168
	v_cndmask_b32_e64 v129, v130, v165, s4
	v_cmp_eq_u32_e64 s4, 6, v149
	s_delay_alu instid0(VALU_DEP_3) | instskip(NEXT) | instid1(VALU_DEP_3)
	v_mul_f32_e32 v165, v150, v168
	v_cndmask_b32_e64 v130, v129, v164, s5
	v_lshlrev_b32_e32 v129, 2, v146
	s_delay_alu instid0(VALU_DEP_3) | instskip(NEXT) | instid1(VALU_DEP_3)
	v_fma_f32 v131, -v167, v165, v150
	v_cndmask_b32_e64 v162, v130, v162, s6
	s_delay_alu instid0(VALU_DEP_3)
	v_or_b32_e32 v130, 1, v129
	v_or_b32_e32 v132, 2, v129
	v_cmp_eq_u32_e64 s5, 1, v129
	v_fmac_f32_e32 v165, v131, v168
	v_cndmask_b32_e64 v149, v162, v160, s7
	v_or_b32_e32 v131, 3, v129
	v_cmp_eq_u32_e64 s10, 1, v130
	v_cmp_eq_u32_e64 s11, 1, v132
	v_fma_f32 v150, -v167, v165, v150
	v_cndmask_b32_e64 v149, v149, v161, s4
	v_cmp_eq_u32_e64 s12, 1, v131
	v_cmp_eq_u32_e64 s6, 2, v129
	v_cmp_eq_u32_e64 s13, 2, v130
	v_div_fmas_f32 v150, v150, v168, v165
	v_cndmask_b32_e64 v149, v149, v163, s8
	v_cmp_eq_u32_e64 s16, 2, v132
	v_cmp_eq_u32_e64 s17, 2, v131
	v_cmp_eq_u32_e32 vcc_lo, 3, v129
	v_div_fixup_f32 v150, v150, v134, 1.0
	v_lshl_or_b32 v134, v146, 4, v135
	v_cmp_eq_u32_e64 s15, 3, v130
	v_cmp_eq_u32_e64 s19, 3, v131
	;; [unrolled: 1-line block ×3, first 2 shown]
	v_mul_f32_e32 v149, v149, v150
	v_cmp_eq_u32_e64 s18, 3, v132
	v_cmp_eq_u32_e64 s20, 4, v130
	;; [unrolled: 1-line block ×4, first 2 shown]
	v_fma_mixlo_f16 v160, v149, v152, 0
	v_fma_mixlo_f16 v161, v149, v154, 0
	;; [unrolled: 1-line block ×8, first 2 shown]
	v_fma_mixhi_f16 v160, v149, v151, 0
	v_fma_mixhi_f16 v161, v149, v153, 0
	;; [unrolled: 1-line block ×8, first 2 shown]
	ds_store_b128 v134, v[160:163]
	ds_store_b128 v134, v[154:157] offset:1024
	s_waitcnt lgkmcnt(0)
	s_barrier
	buffer_gl0_inv
	ds_load_b128 v[138:141], v135
	ds_load_b128 v[149:152], v135 offset:16
	ds_load_b128 v[153:156], v135 offset:1024
	;; [unrolled: 1-line block ×3, first 2 shown]
	v_cmp_eq_u32_e64 s21, 5, v130
	v_cmp_eq_u32_e64 s22, 4, v132
	;; [unrolled: 1-line block ×12, first 2 shown]
	s_waitcnt lgkmcnt(3)
	v_lshrrev_b32_e32 v142, 16, v138
	s_waitcnt lgkmcnt(2)
	v_lshrrev_b32_e32 v162, 16, v149
	;; [unrolled: 2-line block ×4, first 2 shown]
	v_lshrrev_b32_e32 v143, 16, v139
	v_cndmask_b32_e64 v174, v138, v142, s5
	v_cndmask_b32_e64 v175, v149, v162, s5
	;; [unrolled: 1-line block ×7, first 2 shown]
	v_lshrrev_b32_e32 v163, 16, v150
	v_cndmask_b32_e64 v179, v149, v162, s11
	v_cndmask_b32_e64 v149, v153, v166, s5
	;; [unrolled: 1-line block ×16, first 2 shown]
	v_lshrrev_b32_e32 v167, 16, v154
	v_lshrrev_b32_e32 v171, 16, v158
	v_cndmask_b32_e64 v177, v179, v150, s16
	v_cndmask_b32_e64 v142, v149, v154, s6
	;; [unrolled: 1-line block ×7, first 2 shown]
	v_cndmask_b32_e32 v157, v166, v143, vcc_lo
	v_cndmask_b32_e32 v166, v170, v163, vcc_lo
	v_cndmask_b32_e64 v170, v174, v143, s15
	v_cndmask_b32_e64 v174, v175, v163, s15
	;; [unrolled: 1-line block ×4, first 2 shown]
	v_lshrrev_b32_e32 v144, 16, v140
	v_lshrrev_b32_e32 v164, 16, v151
	v_cndmask_b32_e64 v175, v176, v143, s18
	v_cndmask_b32_e64 v176, v177, v163, s18
	v_cndmask_b32_e32 v142, v142, v167, vcc_lo
	v_cndmask_b32_e32 v143, v149, v171, vcc_lo
	v_cndmask_b32_e64 v149, v150, v167, s15
	v_cndmask_b32_e64 v150, v157, v140, s4
	v_cndmask_b32_e64 v157, v166, v151, s4
	v_cndmask_b32_e64 v163, v170, v140, s20
	v_cndmask_b32_e64 v166, v174, v151, s20
	v_cndmask_b32_e64 v138, v138, v140, s23
	v_cndmask_b32_e64 v139, v139, v151, s23
	v_lshrrev_b32_e32 v168, 16, v155
	v_cndmask_b32_e64 v170, v175, v140, s22
	v_cndmask_b32_e64 v174, v176, v151, s22
	v_cndmask_b32_e64 v140, v142, v155, s4
	v_cndmask_b32_e64 v142, v143, v159, s4
	v_cndmask_b32_e64 v143, v149, v155, s20
	v_cndmask_b32_e64 v149, v150, v144, s7
	v_cndmask_b32_e64 v150, v157, v164, s7
	v_cndmask_b32_e64 v151, v163, v144, s21
	v_cndmask_b32_e64 v157, v166, v164, s21
	v_cndmask_b32_e64 v138, v138, v144, s25
	v_cndmask_b32_e64 v139, v139, v164, s25
	v_lshrrev_b32_e32 v161, 16, v141
	v_lshrrev_b32_e32 v165, 16, v152
	v_cndmask_b32_e64 v163, v170, v144, s24
	v_cndmask_b32_e64 v166, v174, v164, s24
	;; [unrolled: 1-line block ×9, first 2 shown]
	v_lshrrev_b32_e32 v169, 16, v156
	v_cndmask_b32_e64 v140, v140, v168, s7
	v_cndmask_b32_e64 v157, v163, v141, s27
	;; [unrolled: 1-line block ×14, first 2 shown]
	v_perm_b32 v141, v139, v138, 0x5040100
	v_perm_b32 v139, v151, v149, 0x5040100
	v_cndmask_b32_e64 v138, v183, v158, s16
	v_cndmask_b32_e64 v149, v181, v158, s13
	;; [unrolled: 1-line block ×3, first 2 shown]
	v_perm_b32 v140, v152, v150, 0x5040100
	v_cndmask_b32_e64 v150, v162, v167, s18
	v_cndmask_b32_e64 v151, v153, v167, s19
	;; [unrolled: 1-line block ×5, first 2 shown]
	v_lshrrev_b32_e32 v172, 16, v159
	v_cndmask_b32_e64 v150, v150, v155, s22
	v_cndmask_b32_e64 v151, v151, v155, s23
	;; [unrolled: 1-line block ×11, first 2 shown]
	v_lshrrev_b32_e32 v173, 16, v160
	v_cndmask_b32_e64 v142, v142, v160, s8
	v_cndmask_b32_e64 v150, v150, v156, s27
	;; [unrolled: 1-line block ×12, first 2 shown]
	v_perm_b32 v138, v144, v143, 0x5040100
	v_perm_b32 v152, v152, v151, 0x5040100
	;; [unrolled: 1-line block ×5, first 2 shown]
	s_mul_i32 s8, s35, 7
	s_mov_b32 s4, exec_lo
	ds_store_b128 v134, v[138:141]
	ds_store_b128 v134, v[149:152] offset:1024
	v_cmpx_gt_u32_e32 7, v0
	s_cbranch_execz .LBB8_14
; %bb.13:
	s_mul_i32 s5, s8, s34
	s_load_b128 s[16:19], s[0:1], 0x58
	v_add3_u32 v140, s5, s33, v148
	s_delay_alu instid0(VALU_DEP_1) | instskip(NEXT) | instid1(VALU_DEP_1)
	v_mad_u64_u32 v[138:139], null, v140, s36, s[14:15]
	v_ashrrev_i32_e32 v139, 31, v138
	s_delay_alu instid0(VALU_DEP_1) | instskip(SKIP_1) | instid1(VALU_DEP_1)
	v_lshlrev_b64 v[138:139], 2, v[138:139]
	s_waitcnt lgkmcnt(0)
	v_add_co_u32 v140, vcc_lo, s18, v138
	s_delay_alu instid0(VALU_DEP_2)
	v_add_co_ci_u32_e32 v141, vcc_lo, s19, v139, vcc_lo
	v_add_co_u32 v138, vcc_lo, s16, v138
	v_add_co_ci_u32_e32 v139, vcc_lo, s17, v139, vcc_lo
	global_store_b32 v[140:141], v136, off
	global_store_b32 v[138:139], v137, off
.LBB8_14:
	s_or_b32 exec_lo, exec_lo, s4
	s_waitcnt lgkmcnt(0)
	s_waitcnt_vscnt null, 0x0
	s_barrier
	buffer_gl0_inv
	ds_load_b128 v[148:151], v133
	ds_load_b128 v[152:155], v133 offset:16
	ds_load_b128 v[160:163], v133 offset:1040
	;; [unrolled: 1-line block ×5, first 2 shown]
	v_cmp_eq_u32_e32 vcc_lo, 1, v132
	v_mov_b32_e32 v136, 0
	ds_load_b128 v[176:179], v133 offset:3088
	ds_load_b128 v[172:175], v133 offset:3072
	;; [unrolled: 1-line block ×4, first 2 shown]
	v_cmp_eq_u32_e64 s4, 1, v129
	v_cmp_eq_u32_e64 s5, 1, v131
	;; [unrolled: 1-line block ×3, first 2 shown]
	v_mov_b32_e32 v137, v136
	v_mov_b32_e32 v138, v136
	;; [unrolled: 1-line block ×7, first 2 shown]
	v_cmp_eq_u32_e64 s7, 2, v129
	s_waitcnt lgkmcnt(8)
	s_delay_alu instid0(VALU_DEP_2)
	v_wmma_f32_16x16x16_f16 v[136:143], v[121:128], v[148:155], v[136:143]
	ds_load_b128 v[125:128], v133 offset:5136
	ds_load_b128 v[121:124], v133 offset:5120
	s_waitcnt lgkmcnt(8)
	v_wmma_f32_16x16x16_f16 v[136:143], v[113:120], v[156:163], v[136:143]
	ds_load_b128 v[117:120], v133 offset:6160
	ds_load_b128 v[113:116], v133 offset:6144
	s_waitcnt lgkmcnt(8)
	v_wmma_f32_16x16x16_f16 v[136:143], v[105:112], v[164:171], v[136:143]
	ds_load_b128 v[109:112], v133 offset:7184
	ds_load_b128 v[105:108], v133 offset:7168
	s_waitcnt lgkmcnt(8)
	v_wmma_f32_16x16x16_f16 v[136:143], v[97:104], v[172:179], v[136:143]
	ds_load_b128 v[101:104], v133 offset:8208
	ds_load_b128 v[97:100], v133 offset:8192
	s_waitcnt lgkmcnt(8)
	v_wmma_f32_16x16x16_f16 v[136:143], v[89:96], v[180:187], v[136:143]
	ds_load_b128 v[93:96], v133 offset:9232
	ds_load_b128 v[89:92], v133 offset:9216
	s_waitcnt lgkmcnt(8)
	v_wmma_f32_16x16x16_f16 v[136:143], v[81:88], v[121:128], v[136:143]
	ds_load_b128 v[85:88], v133 offset:10256
	ds_load_b128 v[81:84], v133 offset:10240
	s_waitcnt lgkmcnt(8)
	v_wmma_f32_16x16x16_f16 v[136:143], v[73:80], v[113:120], v[136:143]
	ds_load_b128 v[77:80], v133 offset:11280
	ds_load_b128 v[73:76], v133 offset:11264
	s_waitcnt lgkmcnt(8)
	v_wmma_f32_16x16x16_f16 v[136:143], v[65:72], v[105:112], v[136:143]
	ds_load_b128 v[69:72], v133 offset:12304
	ds_load_b128 v[65:68], v133 offset:12288
	s_waitcnt lgkmcnt(8)
	v_wmma_f32_16x16x16_f16 v[136:143], v[57:64], v[97:104], v[136:143]
	ds_load_b128 v[61:64], v133 offset:13328
	ds_load_b128 v[57:60], v133 offset:13312
	s_waitcnt lgkmcnt(8)
	v_wmma_f32_16x16x16_f16 v[136:143], v[49:56], v[89:96], v[136:143]
	ds_load_b128 v[53:56], v133 offset:14352
	ds_load_b128 v[49:52], v133 offset:14336
	s_waitcnt lgkmcnt(8)
	v_wmma_f32_16x16x16_f16 v[136:143], v[25:32], v[81:88], v[136:143]
	ds_load_b128 v[29:32], v133 offset:15376
	ds_load_b128 v[25:28], v133 offset:15360
	s_waitcnt lgkmcnt(0)
	s_barrier
	buffer_gl0_inv
	v_wmma_f32_16x16x16_f16 v[136:143], v[1:8], v[73:80], v[136:143]
	s_delay_alu instid0(VALU_DEP_1) | instskip(NEXT) | instid1(VALU_DEP_1)
	v_wmma_f32_16x16x16_f16 v[136:143], v[9:16], v[65:72], v[136:143]
	v_wmma_f32_16x16x16_f16 v[136:143], v[33:40], v[57:64], v[136:143]
	s_delay_alu instid0(VALU_DEP_1) | instskip(NEXT) | instid1(VALU_DEP_1)
	v_wmma_f32_16x16x16_f16 v[136:143], v[41:48], v[49:56], v[136:143]
	v_wmma_f32_16x16x16_f16 v[136:143], v[17:24], v[25:32], v[136:143]
	s_delay_alu instid0(VALU_DEP_1) | instskip(NEXT) | instid1(VALU_DEP_2)
	v_cvt_f16_f32_e64 v1, v136
	v_cvt_f16_f32_e64 v2, v137
	s_delay_alu instid0(VALU_DEP_3) | instskip(NEXT) | instid1(VALU_DEP_4)
	v_cvt_f16_f32_e64 v3, v138
	v_cvt_f16_f32_e64 v4, v139
	;; [unrolled: 1-line block ×6, first 2 shown]
	v_pack_b32_f16 v1, v1, v2
	v_pack_b32_f16 v2, v3, v4
	;; [unrolled: 1-line block ×3, first 2 shown]
	s_delay_alu instid0(VALU_DEP_4)
	v_pack_b32_f16 v4, v7, v8
	ds_store_b128 v134, v[1:4]
	s_waitcnt lgkmcnt(0)
	s_barrier
	buffer_gl0_inv
	ds_load_b128 v[1:4], v135
	ds_load_b128 v[5:8], v135 offset:16
	s_waitcnt lgkmcnt(1)
	v_lshrrev_b32_e32 v9, 16, v1
	s_waitcnt lgkmcnt(0)
	v_lshrrev_b32_e32 v13, 16, v5
	v_lshrrev_b32_e32 v10, 16, v2
	v_lshrrev_b32_e32 v14, 16, v6
	v_lshrrev_b32_e32 v11, 16, v3
	v_cndmask_b32_e64 v17, v1, v9, s4
	v_cndmask_b32_e64 v18, v5, v13, s4
	;; [unrolled: 1-line block ×3, first 2 shown]
	v_cmp_eq_u32_e64 s4, 2, v130
	v_cndmask_b32_e64 v20, v5, v13, s6
	v_cndmask_b32_e32 v21, v1, v9, vcc_lo
	v_cndmask_b32_e32 v22, v5, v13, vcc_lo
	v_cndmask_b32_e64 v1, v1, v9, s5
	v_cndmask_b32_e64 v5, v5, v13, s5
	v_cmp_eq_u32_e32 vcc_lo, 2, v132
	v_cmp_eq_u32_e64 s5, 2, v131
	v_cndmask_b32_e64 v9, v17, v2, s7
	v_cndmask_b32_e64 v13, v18, v6, s7
	;; [unrolled: 1-line block ×4, first 2 shown]
	v_cndmask_b32_e32 v19, v21, v2, vcc_lo
	v_cmp_eq_u32_e64 s4, 3, v132
	v_cndmask_b32_e32 v20, v22, v6, vcc_lo
	v_cndmask_b32_e64 v1, v1, v2, s5
	v_cmp_eq_u32_e32 vcc_lo, 3, v131
	v_cmp_eq_u32_e64 s6, 3, v129
	v_cndmask_b32_e64 v2, v5, v6, s5
	v_cmp_eq_u32_e64 s5, 3, v130
	v_cmp_eq_u32_e64 s7, 4, v129
	v_cndmask_b32_e32 v1, v1, v10, vcc_lo
	v_cndmask_b32_e64 v5, v9, v10, s6
	v_cndmask_b32_e64 v6, v13, v14, s6
	;; [unrolled: 1-line block ×3, first 2 shown]
	v_cmp_eq_u32_e64 s6, 4, v130
	v_cndmask_b32_e64 v13, v18, v14, s5
	v_cndmask_b32_e64 v17, v19, v10, s4
	;; [unrolled: 1-line block ×3, first 2 shown]
	v_cndmask_b32_e32 v2, v2, v14, vcc_lo
	v_cmp_eq_u32_e32 vcc_lo, 4, v132
	v_cmp_eq_u32_e64 s5, 4, v131
	v_lshrrev_b32_e32 v15, 16, v7
	v_cndmask_b32_e64 v5, v5, v3, s7
	v_cndmask_b32_e64 v6, v6, v7, s7
	v_cndmask_b32_e32 v14, v18, v7, vcc_lo
	v_cndmask_b32_e64 v9, v9, v3, s6
	v_cndmask_b32_e64 v10, v13, v7, s6
	v_cndmask_b32_e32 v13, v17, v3, vcc_lo
	v_cmp_eq_u32_e64 s4, 5, v132
	v_cndmask_b32_e64 v1, v1, v3, s5
	v_cmp_eq_u32_e32 vcc_lo, 5, v131
	v_cmp_eq_u32_e64 s6, 5, v129
	v_cndmask_b32_e64 v2, v2, v7, s5
	v_cmp_eq_u32_e64 s5, 5, v130
	v_cmp_eq_u32_e64 s7, 6, v129
	v_lshrrev_b32_e32 v12, 16, v4
	v_cndmask_b32_e64 v3, v5, v11, s6
	v_cndmask_b32_e64 v5, v6, v15, s6
	;; [unrolled: 1-line block ×3, first 2 shown]
	v_cmp_eq_u32_e64 s6, 6, v130
	v_cndmask_b32_e64 v7, v10, v15, s5
	v_cndmask_b32_e64 v9, v13, v11, s4
	;; [unrolled: 1-line block ×3, first 2 shown]
	v_cndmask_b32_e32 v1, v1, v11, vcc_lo
	v_cndmask_b32_e32 v2, v2, v15, vcc_lo
	v_cmp_eq_u32_e32 vcc_lo, 6, v132
	v_cmp_eq_u32_e64 s4, 6, v131
	v_lshrrev_b32_e32 v16, 16, v8
	v_cndmask_b32_e64 v3, v3, v4, s7
	v_cndmask_b32_e64 v5, v5, v8, s7
	v_cndmask_b32_e32 v9, v9, v4, vcc_lo
	v_cndmask_b32_e64 v6, v6, v4, s6
	v_cndmask_b32_e64 v7, v7, v8, s6
	v_cmp_eq_u32_e64 s5, 7, v132
	v_cndmask_b32_e32 v10, v10, v8, vcc_lo
	v_cndmask_b32_e64 v1, v1, v4, s4
	v_cmp_eq_u32_e32 vcc_lo, 7, v131
	v_cndmask_b32_e64 v2, v2, v8, s4
	v_cmp_eq_u32_e64 s4, 7, v129
	v_cmp_eq_u32_e64 s6, 7, v130
	v_cndmask_b32_e32 v1, v1, v12, vcc_lo
	s_delay_alu instid0(VALU_DEP_4) | instskip(NEXT) | instid1(VALU_DEP_4)
	v_cndmask_b32_e32 v2, v2, v16, vcc_lo
	v_cndmask_b32_e64 v8, v3, v12, s4
	s_delay_alu instid0(VALU_DEP_4)
	v_cndmask_b32_e64 v6, v6, v12, s6
	v_cndmask_b32_e64 v3, v9, v12, s5
	;; [unrolled: 1-line block ×5, first 2 shown]
	v_cmp_gt_u32_e32 vcc_lo, 32, v0
	v_perm_b32 v4, v2, v1, 0x5040100
	v_perm_b32 v3, v9, v3, 0x5040100
	;; [unrolled: 1-line block ×4, first 2 shown]
	s_and_b32 s2, vcc_lo, s2
	ds_store_b128 v134, v[1:4]
	s_waitcnt lgkmcnt(0)
	s_barrier
	buffer_gl0_inv
	s_and_saveexec_b32 s4, s2
	s_cbranch_execz .LBB8_2
; %bb.15:
	s_load_b64 s[4:5], s[0:1], 0x68
	v_lshlrev_b32_e32 v0, 10, v0
	v_add_nc_u32_e32 v2, s33, v146
	v_lshlrev_b32_e32 v3, 4, v147
	s_lshl_b32 s0, s36, 6
	s_delay_alu instid0(SALU_CYCLE_1) | instskip(NEXT) | instid1(VALU_DEP_2)
	s_mul_i32 s1, s0, s34
	v_mul_lo_u32 v1, v2, s0
	s_delay_alu instid0(VALU_DEP_2)
	v_and_or_b32 v0, 0x3800, v0, v3
	v_add_nc_u32_e32 v3, 2, v2
	s_mul_i32 s6, s1, s8
	v_add_nc_u32_e32 v4, 4, v2
	s_ashr_i32 s7, s6, 31
	v_lshl_or_b32 v11, v146, 6, v0
	s_lshl_b64 s[6:7], s[6:7], 1
	v_mul_lo_u32 v15, v3, s0
	v_mul_lo_u32 v17, v4, s0
	v_ashrrev_i32_e32 v2, 31, v1
	ds_load_b128 v[3:6], v11
	ds_load_b128 v[7:10], v11 offset:128
	ds_load_b128 v[11:14], v11 offset:256
	s_waitcnt lgkmcnt(0)
	s_add_u32 s1, s4, s6
	s_addc_u32 s2, s5, s7
	s_lshl_b32 s4, s14, 6
	v_ashrrev_i32_e32 v16, 31, v15
	s_ashr_i32 s5, s4, 31
	v_lshlrev_b64 v[19:20], 1, v[1:2]
	s_lshl_b64 s[4:5], s[4:5], 1
	v_ashrrev_i32_e32 v18, 31, v17
	s_add_u32 s1, s1, s4
	s_addc_u32 s2, s2, s5
	v_add_co_u32 v1, s1, s1, v145
	s_delay_alu instid0(VALU_DEP_1) | instskip(SKIP_1) | instid1(VALU_DEP_3)
	v_add_co_ci_u32_e64 v2, null, s2, 0, s1
	v_lshlrev_b64 v[15:16], 1, v[15:16]
	v_add_co_u32 v19, vcc_lo, v1, v19
	v_lshlrev_b64 v[17:18], 1, v[17:18]
	s_delay_alu instid0(VALU_DEP_4) | instskip(NEXT) | instid1(VALU_DEP_4)
	v_add_co_ci_u32_e32 v20, vcc_lo, v2, v20, vcc_lo
	v_add_co_u32 v15, vcc_lo, v1, v15
	v_add_co_ci_u32_e32 v16, vcc_lo, v2, v16, vcc_lo
	s_delay_alu instid0(VALU_DEP_4)
	v_add_co_u32 v17, vcc_lo, v1, v17
	v_add_co_ci_u32_e32 v18, vcc_lo, v2, v18, vcc_lo
	s_clause 0x2
	global_store_b128 v[19:20], v[3:6], off
	global_store_b128 v[15:16], v[7:10], off
	;; [unrolled: 1-line block ×3, first 2 shown]
	s_and_b32 exec_lo, exec_lo, s3
	s_cbranch_execz .LBB8_2
; %bb.16:
	ds_load_b128 v[3:6], v0 offset:384
	s_add_i32 s1, s33, 6
	s_delay_alu instid0(SALU_CYCLE_1) | instskip(NEXT) | instid1(SALU_CYCLE_1)
	s_mul_i32 s0, s1, s0
	s_ashr_i32 s1, s0, 31
	s_delay_alu instid0(SALU_CYCLE_1) | instskip(NEXT) | instid1(SALU_CYCLE_1)
	s_lshl_b64 s[0:1], s[0:1], 1
	v_add_co_u32 v0, vcc_lo, v1, s0
	v_add_co_ci_u32_e32 v1, vcc_lo, s1, v2, vcc_lo
	s_waitcnt lgkmcnt(0)
	global_store_b128 v[0:1], v[3:6], off
	s_nop 0
	s_sendmsg sendmsg(MSG_DEALLOC_VGPRS)
	s_endpgm
	.section	.rodata,"a",@progbits
	.p2align	6, 0x0
	.amdhsa_kernel _Z39paged_attention_ll4mi_QKV_mfma16_kernelIDF16_DF16_LN4vllm18Fp8KVCacheDataTypeE0EhLi16ELi64ELi256ELb1ELi7EL8MFMAType0EEvPKT_PKT0_S8_ifPKiSA_SA_iPKfiiiPfSD_PS3_PT2_iSC_SC_
		.amdhsa_group_segment_fixed_size 17472
		.amdhsa_private_segment_fixed_size 0
		.amdhsa_kernarg_size 400
		.amdhsa_user_sgpr_count 13
		.amdhsa_user_sgpr_dispatch_ptr 0
		.amdhsa_user_sgpr_queue_ptr 0
		.amdhsa_user_sgpr_kernarg_segment_ptr 1
		.amdhsa_user_sgpr_dispatch_id 0
		.amdhsa_user_sgpr_private_segment_size 0
		.amdhsa_wavefront_size32 1
		.amdhsa_uses_dynamic_stack 0
		.amdhsa_enable_private_segment 0
		.amdhsa_system_sgpr_workgroup_id_x 1
		.amdhsa_system_sgpr_workgroup_id_y 1
		.amdhsa_system_sgpr_workgroup_id_z 1
		.amdhsa_system_sgpr_workgroup_info 0
		.amdhsa_system_vgpr_workitem_id 0
		.amdhsa_next_free_vgpr 198
		.amdhsa_next_free_sgpr 52
		.amdhsa_reserve_vcc 1
		.amdhsa_float_round_mode_32 0
		.amdhsa_float_round_mode_16_64 0
		.amdhsa_float_denorm_mode_32 3
		.amdhsa_float_denorm_mode_16_64 3
		.amdhsa_dx10_clamp 1
		.amdhsa_ieee_mode 1
		.amdhsa_fp16_overflow 0
		.amdhsa_workgroup_processor_mode 1
		.amdhsa_memory_ordered 1
		.amdhsa_forward_progress 0
		.amdhsa_shared_vgpr_count 0
		.amdhsa_exception_fp_ieee_invalid_op 0
		.amdhsa_exception_fp_denorm_src 0
		.amdhsa_exception_fp_ieee_div_zero 0
		.amdhsa_exception_fp_ieee_overflow 0
		.amdhsa_exception_fp_ieee_underflow 0
		.amdhsa_exception_fp_ieee_inexact 0
		.amdhsa_exception_int_div_zero 0
	.end_amdhsa_kernel
	.section	.text._Z39paged_attention_ll4mi_QKV_mfma16_kernelIDF16_DF16_LN4vllm18Fp8KVCacheDataTypeE0EhLi16ELi64ELi256ELb1ELi7EL8MFMAType0EEvPKT_PKT0_S8_ifPKiSA_SA_iPKfiiiPfSD_PS3_PT2_iSC_SC_,"axG",@progbits,_Z39paged_attention_ll4mi_QKV_mfma16_kernelIDF16_DF16_LN4vllm18Fp8KVCacheDataTypeE0EhLi16ELi64ELi256ELb1ELi7EL8MFMAType0EEvPKT_PKT0_S8_ifPKiSA_SA_iPKfiiiPfSD_PS3_PT2_iSC_SC_,comdat
.Lfunc_end8:
	.size	_Z39paged_attention_ll4mi_QKV_mfma16_kernelIDF16_DF16_LN4vllm18Fp8KVCacheDataTypeE0EhLi16ELi64ELi256ELb1ELi7EL8MFMAType0EEvPKT_PKT0_S8_ifPKiSA_SA_iPKfiiiPfSD_PS3_PT2_iSC_SC_, .Lfunc_end8-_Z39paged_attention_ll4mi_QKV_mfma16_kernelIDF16_DF16_LN4vllm18Fp8KVCacheDataTypeE0EhLi16ELi64ELi256ELb1ELi7EL8MFMAType0EEvPKT_PKT0_S8_ifPKiSA_SA_iPKfiiiPfSD_PS3_PT2_iSC_SC_
                                        ; -- End function
	.section	.AMDGPU.csdata,"",@progbits
; Kernel info:
; codeLenInByte = 7880
; NumSgprs: 54
; NumVgprs: 198
; ScratchSize: 0
; MemoryBound: 0
; FloatMode: 240
; IeeeMode: 1
; LDSByteSize: 17472 bytes/workgroup (compile time only)
; SGPRBlocks: 6
; VGPRBlocks: 24
; NumSGPRsForWavesPerEU: 54
; NumVGPRsForWavesPerEU: 198
; Occupancy: 7
; WaveLimiterHint : 1
; COMPUTE_PGM_RSRC2:SCRATCH_EN: 0
; COMPUTE_PGM_RSRC2:USER_SGPR: 13
; COMPUTE_PGM_RSRC2:TRAP_HANDLER: 0
; COMPUTE_PGM_RSRC2:TGID_X_EN: 1
; COMPUTE_PGM_RSRC2:TGID_Y_EN: 1
; COMPUTE_PGM_RSRC2:TGID_Z_EN: 1
; COMPUTE_PGM_RSRC2:TIDIG_COMP_CNT: 0
	.section	.text._Z39paged_attention_ll4mi_QKV_mfma16_kernelIDF16_DF16_LN4vllm18Fp8KVCacheDataTypeE0EhLi16ELi64ELi256ELb1ELi8EL8MFMAType0EEvPKT_PKT0_S8_ifPKiSA_SA_iPKfiiiPfSD_PS3_PT2_iSC_SC_,"axG",@progbits,_Z39paged_attention_ll4mi_QKV_mfma16_kernelIDF16_DF16_LN4vllm18Fp8KVCacheDataTypeE0EhLi16ELi64ELi256ELb1ELi8EL8MFMAType0EEvPKT_PKT0_S8_ifPKiSA_SA_iPKfiiiPfSD_PS3_PT2_iSC_SC_,comdat
	.protected	_Z39paged_attention_ll4mi_QKV_mfma16_kernelIDF16_DF16_LN4vllm18Fp8KVCacheDataTypeE0EhLi16ELi64ELi256ELb1ELi8EL8MFMAType0EEvPKT_PKT0_S8_ifPKiSA_SA_iPKfiiiPfSD_PS3_PT2_iSC_SC_ ; -- Begin function _Z39paged_attention_ll4mi_QKV_mfma16_kernelIDF16_DF16_LN4vllm18Fp8KVCacheDataTypeE0EhLi16ELi64ELi256ELb1ELi8EL8MFMAType0EEvPKT_PKT0_S8_ifPKiSA_SA_iPKfiiiPfSD_PS3_PT2_iSC_SC_
	.globl	_Z39paged_attention_ll4mi_QKV_mfma16_kernelIDF16_DF16_LN4vllm18Fp8KVCacheDataTypeE0EhLi16ELi64ELi256ELb1ELi8EL8MFMAType0EEvPKT_PKT0_S8_ifPKiSA_SA_iPKfiiiPfSD_PS3_PT2_iSC_SC_
	.p2align	8
	.type	_Z39paged_attention_ll4mi_QKV_mfma16_kernelIDF16_DF16_LN4vllm18Fp8KVCacheDataTypeE0EhLi16ELi64ELi256ELb1ELi8EL8MFMAType0EEvPKT_PKT0_S8_ifPKiSA_SA_iPKfiiiPfSD_PS3_PT2_iSC_SC_,@function
_Z39paged_attention_ll4mi_QKV_mfma16_kernelIDF16_DF16_LN4vllm18Fp8KVCacheDataTypeE0EhLi16ELi64ELi256ELb1ELi8EL8MFMAType0EEvPKT_PKT0_S8_ifPKiSA_SA_iPKfiiiPfSD_PS3_PT2_iSC_SC_: ; @_Z39paged_attention_ll4mi_QKV_mfma16_kernelIDF16_DF16_LN4vllm18Fp8KVCacheDataTypeE0EhLi16ELi64ELi256ELb1ELi8EL8MFMAType0EEvPKT_PKT0_S8_ifPKiSA_SA_iPKfiiiPfSD_PS3_PT2_iSC_SC_
; %bb.0:
	s_load_b64 s[2:3], s[0:1], 0x30
	s_mov_b32 s34, s13
	s_waitcnt lgkmcnt(0)
	s_cmp_lg_u64 s[2:3], 0
	s_cselect_b32 s6, -1, 0
	s_ashr_i32 s35, s13, 31
	s_cmp_eq_u64 s[2:3], 0
	s_cbranch_scc1 .LBB9_3
; %bb.1:
	s_lshl_b64 s[4:5], s[34:35], 2
	s_delay_alu instid0(SALU_CYCLE_1) | instskip(SKIP_4) | instid1(SALU_CYCLE_1)
	s_add_u32 s4, s2, s4
	s_addc_u32 s5, s3, s5
	s_load_b64 s[4:5], s[4:5], 0x0
	s_waitcnt lgkmcnt(0)
	s_sub_i32 s4, s5, s4
	s_cmp_eq_u32 s4, 1
	s_cselect_b32 s4, -1, 0
	s_delay_alu instid0(SALU_CYCLE_1)
	s_and_not1_b32 vcc_lo, exec_lo, s4
	s_cbranch_vccz .LBB9_4
.LBB9_2:
	s_endpgm
.LBB9_3:
.LBB9_4:
	s_load_b64 s[8:9], s[0:1], 0x28
	s_lshl_b64 s[4:5], s[34:35], 2
	s_waitcnt lgkmcnt(0)
	s_add_u32 s8, s8, s4
	s_addc_u32 s9, s9, s5
	s_lshl_b32 s35, s14, 8
	s_load_b32 s30, s[8:9], 0x0
	s_waitcnt lgkmcnt(0)
	s_cmp_ge_i32 s35, s30
	s_cbranch_scc1 .LBB9_2
; %bb.5:
	s_clause 0x1
	s_load_b128 s[8:11], s[0:1], 0x8
	s_load_b64 s[12:13], s[0:1], 0x20
	s_and_not1_b32 vcc_lo, exec_lo, s6
	s_cbranch_vccnz .LBB9_7
; %bb.6:
	s_add_u32 s2, s2, s4
	s_addc_u32 s3, s3, s5
	s_load_b32 s3, s[2:3], 0x0
	s_branch .LBB9_8
.LBB9_7:
	s_mov_b32 s3, s34
.LBB9_8:
	s_load_b128 s[4:7], s[0:1], 0x48
	v_and_b32_e32 v149, 15, v0
	v_cmp_gt_u32_e32 vcc_lo, 0x80, v0
	v_lshrrev_b32_e32 v148, 5, v0
	v_and_b32_e32 v150, 31, v0
	v_and_b32_e32 v146, 1, v0
	v_lshlrev_b32_e32 v1, 3, v149
	v_cmp_gt_u32_e64 s2, 8, v149
	v_bfe_u32 v147, v0, 4, 1
	s_lshl_b32 s31, s15, 3
	s_delay_alu instid0(VALU_DEP_3) | instskip(NEXT) | instid1(VALU_DEP_3)
	v_lshlrev_b32_e32 v145, 1, v1
	s_and_b32 s16, vcc_lo, s2
	s_waitcnt lgkmcnt(0)
	s_and_saveexec_b32 s7, s16
	s_cbranch_execz .LBB9_10
; %bb.9:
	v_lshl_or_b32 v5, v148, 1, v147
	s_load_b64 s[16:17], s[0:1], 0x0
	s_mul_hi_i32 s19, s3, s4
	s_mul_i32 s18, s3, s4
	v_lshlrev_b32_e32 v6, 10, v149
	v_or_b32_e32 v1, s31, v5
	s_lshl_b64 s[18:19], s[18:19], 1
	v_lshlrev_b32_e32 v5, 6, v5
	v_lshlrev_b32_e32 v7, 10, v146
	v_and_b32_e32 v6, 0x3800, v6
	v_lshlrev_b32_e32 v1, 6, v1
	s_delay_alu instid0(VALU_DEP_2) | instskip(NEXT) | instid1(VALU_DEP_2)
	v_or3_b32 v5, v6, v7, v5
	v_ashrrev_i32_e32 v2, 31, v1
	s_delay_alu instid0(VALU_DEP_1) | instskip(SKIP_3) | instid1(VALU_DEP_1)
	v_lshlrev_b64 v[1:2], 1, v[1:2]
	s_waitcnt lgkmcnt(0)
	s_add_u32 s3, s16, s18
	s_addc_u32 s4, s17, s19
	v_add_co_u32 v1, vcc_lo, s3, v1
	s_delay_alu instid0(VALU_DEP_2) | instskip(NEXT) | instid1(VALU_DEP_2)
	v_add_co_ci_u32_e32 v2, vcc_lo, s4, v2, vcc_lo
	v_add_co_u32 v1, vcc_lo, v1, v145
	s_delay_alu instid0(VALU_DEP_2)
	v_add_co_ci_u32_e32 v2, vcc_lo, 0, v2, vcc_lo
	global_load_b128 v[1:4], v[1:2], off
	s_waitcnt vmcnt(0)
	ds_store_b128 v5, v[1:4]
.LBB9_10:
	s_or_b32 exec_lo, exec_lo, s7
	s_mov_b32 s40, 0
	s_add_i32 s3, s30, 15
	s_mov_b32 s41, s40
	s_mov_b32 s42, s40
	;; [unrolled: 1-line block ×7, first 2 shown]
	s_delay_alu instid0(SALU_CYCLE_1)
	v_dual_mov_b32 v136, s47 :: v_dual_and_b32 v1, 0xef, v0
	v_mov_b32_e32 v134, s45
	s_clause 0x1
	s_load_b32 s4, s[0:1], 0x38
	s_load_b32 s33, s[0:1], 0x98
	v_add_nc_u32_e32 v1, s35, v1
	s_ashr_i32 s7, s3, 31
	s_load_b32 s36, s[0:1], 0x1c
	s_lshr_b32 s7, s7, 28
	s_waitcnt lgkmcnt(0)
	v_ashrrev_i32_e32 v2, 31, v1
	s_add_i32 s3, s3, s7
	v_cmp_gt_i32_e32 vcc_lo, s30, v1
	v_mov_b32_e32 v135, s46
	s_ashr_i32 s3, s3, 4
	v_lshrrev_b32_e32 v3, 28, v2
	v_or_b32_e32 v2, 16, v1
	s_add_i32 s3, s3, -1
	v_mov_b32_e32 v132, s43
	s_barrier
	v_add_nc_u32_e32 v4, v1, v3
	v_add_nc_u32_e32 v3, v2, v3
	buffer_gl0_inv
	s_mul_i32 s16, s34, s4
	s_mul_i32 s6, s15, s6
	v_ashrrev_i32_e32 v4, 4, v4
	v_ashrrev_i32_e32 v3, 4, v3
	s_ashr_i32 s17, s16, 31
	v_mov_b32_e32 v133, s44
	s_lshl_b64 s[16:17], s[16:17], 2
	v_cndmask_b32_e32 v1, s3, v4, vcc_lo
	v_cmp_gt_i32_e32 vcc_lo, s30, v2
	s_add_u32 s4, s12, s16
	s_addc_u32 s37, s13, s17
	s_ashr_i32 s7, s6, 31
	v_ashrrev_i32_e32 v2, 31, v1
	v_cndmask_b32_e32 v3, s3, v3, vcc_lo
	s_lshl_b64 s[6:7], s[6:7], 1
	v_mov_b32_e32 v131, s42
	s_add_u32 s24, s8, s6
	v_lshlrev_b64 v[1:2], 2, v[1:2]
	v_ashrrev_i32_e32 v4, 31, v3
	s_addc_u32 s25, s9, s7
	s_lshl_b32 s8, s14, 4
	v_mov_b32_e32 v129, s40
	s_ashr_i32 s9, s8, 31
	v_lshlrev_b64 v[3:4], 2, v[3:4]
	v_add_co_u32 v1, vcc_lo, s4, v1
	v_add_co_ci_u32_e32 v2, vcc_lo, s37, v2, vcc_lo
	s_lshl_b64 s[8:9], s[8:9], 2
	s_delay_alu instid0(VALU_DEP_3) | instskip(NEXT) | instid1(VALU_DEP_4)
	v_add_co_u32 v3, vcc_lo, s4, v3
	v_add_co_ci_u32_e32 v4, vcc_lo, s37, v4, vcc_lo
	s_clause 0x1
	global_load_b32 v5, v[1:2], off
	global_load_b32 v6, v[3:4], off
	s_add_u32 s8, s4, s8
	s_addc_u32 s9, s37, s9
	s_or_b32 s12, s35, 16
	v_dual_mov_b32 v130, s41 :: v_dual_lshlrev_b32 v3, 4, v0
	s_ashr_i32 s13, s12, 4
	s_cmp_lt_i32 s12, s30
	s_cselect_b32 s12, s13, s3
	s_delay_alu instid0(SALU_CYCLE_1) | instskip(NEXT) | instid1(SALU_CYCLE_1)
	s_ashr_i32 s13, s12, 31
	s_lshl_b64 s[12:13], s[12:13], 2
	s_delay_alu instid0(SALU_CYCLE_1) | instskip(SKIP_2) | instid1(SALU_CYCLE_1)
	s_add_u32 s12, s4, s12
	s_addc_u32 s13, s37, s13
	s_or_b32 s15, s35, 32
	s_ashr_i32 s16, s15, 4
	s_cmp_lt_i32 s15, s30
	s_cselect_b32 s16, s16, s3
	s_delay_alu instid0(SALU_CYCLE_1) | instskip(NEXT) | instid1(SALU_CYCLE_1)
	s_ashr_i32 s17, s16, 31
	s_lshl_b64 s[16:17], s[16:17], 2
	s_delay_alu instid0(SALU_CYCLE_1) | instskip(SKIP_2) | instid1(SALU_CYCLE_1)
	s_add_u32 s16, s4, s16
	s_addc_u32 s17, s37, s17
	s_or_b32 s15, s35, 48
	;; [unrolled: 10-line block ×4, first 2 shown]
	s_ashr_i32 s22, s15, 4
	s_cmp_lt_i32 s15, s30
	s_cselect_b32 s22, s22, s3
	s_delay_alu instid0(SALU_CYCLE_1) | instskip(NEXT) | instid1(SALU_CYCLE_1)
	s_ashr_i32 s23, s22, 31
	s_lshl_b64 s[22:23], s[22:23], 2
	s_delay_alu instid0(SALU_CYCLE_1)
	s_add_u32 s22, s4, s22
	s_addc_u32 s23, s37, s23
	s_clause 0x5
	s_load_b32 s8, s[8:9], 0x0
	s_load_b32 s12, s[12:13], 0x0
	;; [unrolled: 1-line block ×6, first 2 shown]
	s_waitcnt lgkmcnt(0)
	s_mul_hi_i32 s17, s16, s5
	s_mul_i32 s16, s16, s5
	s_waitcnt vmcnt(1)
	v_mad_i64_i32 v[1:2], null, v5, s5, 0
	v_and_b32_e32 v5, 0xf0, v3
	s_waitcnt vmcnt(0)
	v_mad_i64_i32 v[3:4], null, v6, s5, 0
	s_delay_alu instid0(VALU_DEP_2) | instskip(NEXT) | instid1(VALU_DEP_4)
	v_add_co_u32 v5, s9, s24, v5
	v_lshlrev_b64 v[1:2], 1, v[1:2]
	v_add_co_ci_u32_e64 v6, null, s25, 0, s9
	s_delay_alu instid0(VALU_DEP_4) | instskip(SKIP_1) | instid1(VALU_DEP_3)
	v_lshlrev_b64 v[3:4], 1, v[3:4]
	s_or_b32 s9, s35, 0x60
	v_add_co_u32 v1, vcc_lo, v5, v1
	s_delay_alu instid0(VALU_DEP_3) | instskip(NEXT) | instid1(VALU_DEP_3)
	v_add_co_ci_u32_e32 v2, vcc_lo, v6, v2, vcc_lo
	v_add_co_u32 v3, vcc_lo, v5, v3
	s_delay_alu instid0(VALU_DEP_4)
	v_add_co_ci_u32_e32 v4, vcc_lo, v6, v4, vcc_lo
	s_clause 0x9
	global_load_b128 v[9:12], v[1:2], off
	global_load_b128 v[13:16], v[1:2], off offset:256
	global_load_b128 v[137:140], v[3:4], off
	global_load_b128 v[141:144], v[3:4], off offset:256
	global_load_b128 v[41:44], v[1:2], off offset:512
	;; [unrolled: 1-line block ×7, first 2 shown]
	v_and_b32_e32 v5, 7, v0
	s_clause 0x1
	global_load_b128 v[151:154], v[3:4], off offset:1024
	global_load_b128 v[155:158], v[3:4], off offset:1280
	s_ashr_i32 s13, s9, 4
	s_cmp_lt_i32 s9, s30
	v_lshlrev_b32_e32 v6, 5, v149
	v_lshlrev_b32_e32 v197, 6, v5
	ds_load_b128 v[159:162], v197
	ds_load_b128 v[163:166], v197 offset:1024
	s_clause 0x3
	global_load_b128 v[167:170], v[1:2], off offset:1536
	global_load_b128 v[171:174], v[1:2], off offset:1792
	;; [unrolled: 1-line block ×4, first 2 shown]
	s_cselect_b32 s22, s13, s3
	v_lshl_or_b32 v5, v148, 9, v6
	s_ashr_i32 s23, s22, 31
	s_delay_alu instid0(SALU_CYCLE_1) | instskip(NEXT) | instid1(SALU_CYCLE_1)
	s_lshl_b64 s[22:23], s[22:23], 2
	s_add_u32 s22, s4, s22
	s_addc_u32 s23, s37, s23
	s_or_b32 s9, s35, 0x70
	s_load_b32 s46, s[22:23], 0x0
	s_ashr_i32 s13, s9, 4
	s_cmp_lt_i32 s9, s30
	s_cselect_b32 s24, s13, s3
	s_delay_alu instid0(SALU_CYCLE_1) | instskip(NEXT) | instid1(SALU_CYCLE_1)
	s_ashr_i32 s25, s24, 31
	s_lshl_b64 s[24:25], s[24:25], 2
	s_delay_alu instid0(SALU_CYCLE_1)
	s_add_u32 s24, s4, s24
	s_addc_u32 s25, s37, s25
	s_or_b32 s9, s35, 0x80
	s_load_b32 s47, s[24:25], 0x0
	s_ashr_i32 s13, s9, 4
	s_cmp_lt_i32 s9, s30
	s_cselect_b32 s26, s13, s3
	s_delay_alu instid0(SALU_CYCLE_1) | instskip(NEXT) | instid1(SALU_CYCLE_1)
	s_ashr_i32 s27, s26, 31
	s_lshl_b64 s[26:27], s[26:27], 2
	s_delay_alu instid0(SALU_CYCLE_1)
	s_add_u32 s26, s4, s26
	s_addc_u32 s27, s37, s27
	s_or_b32 s9, s35, 0x90
	s_load_b32 s48, s[26:27], 0x0
	s_ashr_i32 s13, s9, 4
	s_cmp_lt_i32 s9, s30
	s_cselect_b32 s28, s13, s3
	s_delay_alu instid0(SALU_CYCLE_1) | instskip(NEXT) | instid1(SALU_CYCLE_1)
	s_ashr_i32 s29, s28, 31
	s_lshl_b64 s[28:29], s[28:29], 2
	s_delay_alu instid0(SALU_CYCLE_1) | instskip(SKIP_2) | instid1(SALU_CYCLE_1)
	s_add_u32 s28, s4, s28
	s_addc_u32 s29, s37, s29
	s_or_b32 s9, s35, 0xa0
	s_ashr_i32 s13, s9, 4
	s_cmp_lt_i32 s9, s30
	s_cselect_b32 s38, s13, s3
	s_delay_alu instid0(SALU_CYCLE_1) | instskip(NEXT) | instid1(SALU_CYCLE_1)
	s_ashr_i32 s39, s38, 31
	s_lshl_b64 s[38:39], s[38:39], 2
	s_delay_alu instid0(SALU_CYCLE_1) | instskip(SKIP_2) | instid1(SALU_CYCLE_1)
	s_add_u32 s38, s4, s38
	s_addc_u32 s39, s37, s39
	s_or_b32 s9, s35, 0xb0
	s_ashr_i32 s13, s9, 4
	s_cmp_lt_i32 s9, s30
	s_mul_hi_i32 s9, s8, s5
	s_cselect_b32 s40, s13, s3
	s_mul_i32 s8, s8, s5
	s_ashr_i32 s41, s40, 31
	s_mul_hi_i32 s13, s12, s5
	s_lshl_b64 s[40:41], s[40:41], 2
	s_mul_i32 s12, s12, s5
	s_add_u32 s42, s4, s40
	s_addc_u32 s43, s37, s41
	s_or_b32 s19, s35, 0xc0
	s_delay_alu instid0(SALU_CYCLE_1)
	s_ashr_i32 s21, s19, 4
	s_cmp_lt_i32 s19, s30
	s_mul_hi_i32 s19, s18, s5
	s_cselect_b32 s40, s21, s3
	s_mul_i32 s18, s18, s5
	s_ashr_i32 s41, s40, 31
	s_mul_hi_i32 s21, s20, s5
	s_lshl_b64 s[40:41], s[40:41], 2
	s_mul_i32 s20, s20, s5
	s_add_u32 s44, s4, s40
	s_addc_u32 s45, s37, s41
	s_load_b32 s41, s[28:29], 0x0
	s_or_b32 s40, s35, 0xd0
	s_mul_hi_i32 s23, s15, s5
	s_ashr_i32 s22, s40, 4
	s_cmp_lt_i32 s40, s30
	s_load_b32 s40, s[38:39], 0x0
	s_cselect_b32 s24, s22, s3
	s_mul_i32 s22, s15, s5
	s_ashr_i32 s25, s24, 31
	s_waitcnt lgkmcnt(0)
	s_mul_hi_i32 s29, s48, s5
	s_lshl_b64 s[24:25], s[24:25], 2
	s_mul_i32 s28, s48, s5
	s_add_u32 s24, s4, s24
	s_addc_u32 s25, s37, s25
	s_or_b32 s49, s35, 0xe0
	s_clause 0x2
	s_load_b32 s39, s[42:43], 0x0
	s_load_b32 s38, s[44:45], 0x0
	;; [unrolled: 1-line block ×3, first 2 shown]
	s_ashr_i32 s50, s49, 4
	s_cmp_lt_i32 s49, s30
	s_mul_hi_i32 s25, s46, s5
	s_cselect_b32 s44, s50, s3
	s_mul_i32 s24, s46, s5
	s_ashr_i32 s45, s44, 31
	s_mul_hi_i32 s27, s47, s5
	s_lshl_b64 s[44:45], s[44:45], 2
	s_mul_i32 s26, s47, s5
	s_add_u32 s44, s4, s44
	s_addc_u32 s45, s37, s45
	s_or_b32 s46, s35, 0xf0
	s_mul_hi_i32 s43, s41, s5
	s_ashr_i32 s48, s46, 4
	s_cmp_lt_i32 s46, s30
	s_mul_i32 s42, s41, s5
	s_cselect_b32 s48, s48, s3
	s_mul_hi_i32 s41, s40, s5
	s_ashr_i32 s49, s48, 31
	s_mul_i32 s40, s40, s5
	s_lshl_b64 s[48:49], s[48:49], 2
	s_waitcnt lgkmcnt(0)
	s_mul_hi_i32 s47, s39, s5
	s_add_u32 s48, s4, s48
	s_addc_u32 s49, s37, s49
	s_add_u32 s3, s10, s6
	s_addc_u32 s4, s11, s7
	v_add_co_u32 v195, s3, s3, v5
	s_delay_alu instid0(VALU_DEP_1) | instskip(SKIP_2) | instid1(VALU_DEP_2)
	v_add_co_ci_u32_e64 v196, null, s4, 0, s3
	s_lshl_b64 s[6:7], s[8:9], 1
	s_lshl_b64 s[8:9], s[12:13], 1
	v_add_co_u32 v1, vcc_lo, v195, s6
	s_delay_alu instid0(VALU_DEP_2)
	v_add_co_ci_u32_e32 v2, vcc_lo, s7, v196, vcc_lo
	v_add_co_u32 v3, vcc_lo, v195, s8
	s_lshl_b64 s[10:11], s[16:17], 1
	v_add_co_ci_u32_e32 v4, vcc_lo, s9, v196, vcc_lo
	v_add_co_u32 v5, vcc_lo, v195, s10
	s_lshl_b64 s[12:13], s[18:19], 1
	;; [unrolled: 3-line block ×9, first 2 shown]
	s_mul_i32 s46, s39, s5
	v_add_co_ci_u32_e32 v54, vcc_lo, s27, v196, vcc_lo
	v_add_co_u32 v183, vcc_lo, v195, s28
	s_lshl_b64 s[40:41], s[46:47], 1
	s_mul_hi_i32 s39, s38, s5
	s_mul_i32 s38, s38, s5
	v_add_co_ci_u32_e32 v184, vcc_lo, s29, v196, vcc_lo
	v_add_co_u32 v185, vcc_lo, v195, s40
	s_lshl_b64 s[38:39], s[38:39], 1
	s_clause 0x1
	s_load_b32 s3, s[44:45], 0x0
	s_load_b32 s4, s[48:49], 0x0
	v_add_co_ci_u32_e32 v186, vcc_lo, s41, v196, vcc_lo
	v_add_co_u32 v191, vcc_lo, v195, s38
	v_add_co_ci_u32_e32 v192, vcc_lo, s39, v196, vcc_lo
	s_clause 0x17
	global_load_b128 v[121:124], v[1:2], off
	global_load_b128 v[125:128], v[1:2], off offset:16
	global_load_b128 v[113:116], v[3:4], off
	global_load_b128 v[117:120], v[3:4], off offset:16
	;; [unrolled: 2-line block ×12, first 2 shown]
	s_mul_hi_i32 s51, s15, s5
	s_mul_i32 s50, s15, s5
	s_delay_alu instid0(SALU_CYCLE_1) | instskip(NEXT) | instid1(SALU_CYCLE_1)
	s_lshl_b64 s[42:43], s[50:51], 1
	v_add_co_u32 v193, vcc_lo, v195, s42
	v_add_co_ci_u32_e32 v194, vcc_lo, s43, v196, vcc_lo
	s_waitcnt lgkmcnt(0)
	s_mul_hi_i32 s7, s3, s5
	s_mul_i32 s6, s3, s5
	s_mul_hi_i32 s9, s4, s5
	s_lshl_b64 s[6:7], s[6:7], 1
	s_mul_i32 s8, s4, s5
	s_delay_alu instid0(SALU_CYCLE_1)
	s_lshl_b64 s[4:5], s[8:9], 1
	s_waitcnt vmcnt(38)
	v_wmma_f32_16x16x16_f16 v[183:190], v[9:16], v[159:166], v[129:136]
	s_waitcnt vmcnt(36)
	v_wmma_f32_16x16x16_f16 v[129:136], v[137:144], v[159:166], v[129:136]
	s_clause 0x1
	global_load_b128 v[9:12], v[191:192], off
	global_load_b128 v[13:16], v[191:192], off offset:16
	ds_load_b128 v[137:140], v197 offset:2048
	ds_load_b128 v[141:144], v197 offset:3072
	;; [unrolled: 1-line block ×4, first 2 shown]
	v_add_co_u32 v191, vcc_lo, v195, s6
	v_add_co_ci_u32_e32 v192, vcc_lo, s7, v196, vcc_lo
	v_add_co_u32 v195, vcc_lo, v195, s4
	v_add_co_ci_u32_e32 v196, vcc_lo, s5, v196, vcc_lo
	s_waitcnt vmcnt(36) lgkmcnt(2)
	v_wmma_f32_16x16x16_f16 v[183:190], v[41:48], v[137:144], v[183:190]
	s_waitcnt vmcnt(34)
	v_wmma_f32_16x16x16_f16 v[129:136], v[33:40], v[137:144], v[129:136]
	s_clause 0x3
	global_load_b128 v[33:36], v[193:194], off
	global_load_b128 v[37:40], v[193:194], off offset:16
	global_load_b128 v[41:44], v[191:192], off
	global_load_b128 v[45:48], v[191:192], off offset:16
	v_and_b32_e32 v137, 0xe0, v0
	v_mbcnt_lo_u32_b32 v191, -1, 0
	s_waitcnt vmcnt(36) lgkmcnt(0)
	v_wmma_f32_16x16x16_f16 v[183:190], v[17:24], v[159:166], v[183:190]
	s_clause 0x1
	global_load_b128 v[17:20], v[195:196], off
	global_load_b128 v[21:24], v[195:196], off offset:16
	s_waitcnt vmcnt(36)
	v_wmma_f32_16x16x16_f16 v[129:136], v[151:158], v[159:166], v[129:136]
	v_add_nc_u32_e32 v192, s35, v137
	ds_load_b128 v[137:140], v197 offset:6144
	ds_load_b128 v[141:144], v197 offset:7168
	v_xor_b32_e32 v151, 16, v191
	s_waitcnt vmcnt(0) lgkmcnt(0)
	s_barrier
	v_or_b32_e32 v152, v192, v147
	buffer_gl0_inv
	v_cmp_gt_i32_e32 vcc_lo, 32, v151
	v_or_b32_e32 v153, 2, v152
	v_or_b32_e32 v154, 4, v152
	;; [unrolled: 1-line block ×5, first 2 shown]
	v_cmp_gt_i32_e64 s3, s30, v153
	v_cmp_gt_i32_e64 s4, s30, v154
	;; [unrolled: 1-line block ×3, first 2 shown]
	v_or_b32_e32 v158, 12, v152
	v_or_b32_e32 v159, 14, v152
	v_cmp_gt_i32_e64 s6, s30, v156
	v_wmma_f32_16x16x16_f16 v[183:190], v[167:174], v[137:144], v[183:190]
	v_wmma_f32_16x16x16_f16 v[129:136], v[175:182], v[137:144], v[129:136]
	v_cndmask_b32_e32 v151, v191, v151, vcc_lo
	v_cmp_gt_i32_e32 vcc_lo, s30, v152
	v_cmp_gt_i32_e64 s7, s30, v157
	v_dual_mul_f32 v143, s36, v184 :: v_dual_mul_f32 v144, s36, v183
	v_dual_mul_f32 v141, s36, v186 :: v_dual_mul_f32 v142, s36, v185
	;; [unrolled: 1-line block ×3, first 2 shown]
	s_delay_alu instid0(VALU_DEP_3) | instskip(NEXT) | instid1(VALU_DEP_4)
	v_cndmask_b32_e32 v144, 0xff7fffff, v144, vcc_lo
	v_cndmask_b32_e64 v143, 0xff7fffff, v143, s3
	v_mul_f32_e32 v140, s36, v187
	v_cndmask_b32_e64 v142, 0xff7fffff, v142, s4
	v_cndmask_b32_e64 v141, 0xff7fffff, v141, s5
	v_or_b32_e32 v160, 16, v152
	v_max3_f32 v143, v144, 0xff7fffff, v143
	v_or_b32_e32 v161, 18, v152
	v_mul_f32_e32 v138, s36, v189
	v_dual_mul_f32 v172, s36, v132 :: v_dual_mul_f32 v137, s36, v190
	v_cndmask_b32_e64 v140, 0xff7fffff, v140, s6
	v_cndmask_b32_e64 v139, 0xff7fffff, v139, s7
	v_max3_f32 v141, v143, v142, v141
	v_cmp_gt_i32_e64 s8, s30, v158
	v_cmp_gt_i32_e64 s9, s30, v159
	v_or_b32_e32 v162, 20, v152
	v_or_b32_e32 v163, 22, v152
	v_mul_f32_e32 v175, s36, v129
	v_cndmask_b32_e64 v138, 0xff7fffff, v138, s8
	v_max3_f32 v139, v141, v140, v139
	v_cmp_gt_i32_e64 s10, s30, v160
	v_cmp_gt_i32_e64 s11, s30, v161
	v_lshlrev_b32_e32 v160, 2, v151
	v_cndmask_b32_e64 v137, 0xff7fffff, v137, s9
	v_or_b32_e32 v164, 24, v152
	v_or_b32_e32 v165, 26, v152
	v_mul_f32_e32 v173, s36, v131
	v_cndmask_b32_e64 v140, 0xff7fffff, v175, s10
	v_cndmask_b32_e64 v141, 0xff7fffff, v174, s11
	v_max3_f32 v137, v139, v138, v137
	v_cmp_gt_i32_e64 s12, s30, v162
	v_cmp_gt_i32_e64 s13, s30, v163
	v_or_b32_e32 v166, 28, v152
	v_or_b32_e32 v167, 30, v152
	v_dual_mul_f32 v170, s36, v134 :: v_dual_mul_f32 v171, s36, v133
	v_cndmask_b32_e64 v138, 0xff7fffff, v173, s12
	v_cndmask_b32_e64 v139, 0xff7fffff, v172, s13
	v_max3_f32 v137, v137, v140, v141
	v_cmp_gt_i32_e64 s15, s30, v164
	v_cmp_gt_i32_e64 s16, s30, v165
	v_dual_mul_f32 v168, s36, v136 :: v_dual_mul_f32 v169, s36, v135
	s_delay_alu instid0(VALU_DEP_4) | instskip(NEXT) | instid1(VALU_DEP_4)
	v_max3_f32 v137, v137, v138, v139
	v_cndmask_b32_e64 v140, 0xff7fffff, v171, s15
	s_delay_alu instid0(VALU_DEP_4) | instskip(SKIP_2) | instid1(VALU_DEP_3)
	v_cndmask_b32_e64 v141, 0xff7fffff, v170, s16
	v_cmp_gt_i32_e64 s17, s30, v166
	v_cmp_gt_i32_e64 s18, s30, v167
	v_max3_f32 v137, v137, v140, v141
	s_delay_alu instid0(VALU_DEP_3) | instskip(NEXT) | instid1(VALU_DEP_3)
	v_cndmask_b32_e64 v138, 0xff7fffff, v169, s17
	v_cndmask_b32_e64 v139, 0xff7fffff, v168, s18
	s_delay_alu instid0(VALU_DEP_1) | instskip(SKIP_3) | instid1(VALU_DEP_1)
	v_max3_f32 v137, v137, v138, v139
	ds_bpermute_b32 v138, v160, v137
	s_waitcnt lgkmcnt(0)
	v_max_f32_e32 v138, v138, v138
	v_max_f32_e32 v137, v137, v138
	s_delay_alu instid0(VALU_DEP_1) | instskip(SKIP_4) | instid1(VALU_DEP_4)
	v_fma_f32 v143, s36, v187, -v137
	v_fma_f32 v130, s36, v130, -v137
	;; [unrolled: 1-line block ×5, first 2 shown]
	v_dual_mul_f32 v143, 0x3fb8aa3b, v143 :: v_dual_mul_f32 v130, 0x3fb8aa3b, v130
	s_delay_alu instid0(VALU_DEP_4) | instskip(SKIP_2) | instid1(VALU_DEP_4)
	v_mul_f32_e32 v140, 0x3fb8aa3b, v140
	v_fma_f32 v152, s36, v189, -v137
	v_fma_f32 v139, s36, v184, -v137
	v_exp_f32_e32 v143, v143
	v_mul_f32_e32 v138, 0x3fb8aa3b, v138
	v_exp_f32_e32 v140, v140
	v_mul_f32_e32 v152, 0x3fb8aa3b, v152
	v_fma_f32 v153, s36, v190, -v137
	v_fma_f32 v144, s36, v188, -v137
	v_exp_f32_e32 v138, v138
	v_fma_f32 v129, s36, v129, -v137
	v_exp_f32_e32 v152, v152
	v_fma_f32 v134, s36, v134, -v137
	v_cndmask_b32_e64 v143, 0, v143, s6
	v_dual_mul_f32 v141, 0x3fb8aa3b, v141 :: v_dual_mul_f32 v144, 0x3fb8aa3b, v144
	v_fma_f32 v132, s36, v132, -v137
	s_delay_alu instid0(VALU_DEP_4) | instskip(NEXT) | instid1(VALU_DEP_3)
	v_dual_mul_f32 v129, 0x3fb8aa3b, v129 :: v_dual_mul_f32 v134, 0x3fb8aa3b, v134
	v_exp_f32_e32 v151, v141
	v_cndmask_b32_e64 v141, 0, v140, s4
	s_delay_alu instid0(VALU_DEP_3)
	v_dual_mul_f32 v132, 0x3fb8aa3b, v132 :: v_dual_mul_f32 v139, 0x3fb8aa3b, v139
	v_exp_f32_e32 v144, v144
	v_exp_f32_e32 v129, v129
	;; [unrolled: 1-line block ×3, first 2 shown]
	v_fma_f32 v131, s36, v131, -v137
	v_exp_f32_e32 v142, v139
	v_exp_f32_e32 v132, v132
	v_cndmask_b32_e64 v140, 0, v151, s5
	v_mul_f32_e32 v151, 0x3fb8aa3b, v153
	v_fma_f32 v133, s36, v133, -v137
	s_delay_alu instid0(VALU_DEP_2) | instskip(SKIP_2) | instid1(TRANS32_DEP_3)
	v_exp_f32_e32 v154, v151
	v_cndmask_b32_e64 v151, 0, v152, s8
	v_cndmask_b32_e32 v139, 0, v138, vcc_lo
	v_cndmask_b32_e64 v138, 0, v142, s3
	s_mov_b32 s3, exec_lo
	s_delay_alu instid0(VALU_DEP_2) | instskip(NEXT) | instid1(VALU_DEP_1)
	v_add_f32_e32 v142, 0, v139
	v_add_f32_e32 v142, v142, v138
	s_delay_alu instid0(VALU_DEP_1) | instskip(NEXT) | instid1(VALU_DEP_1)
	v_add_f32_e32 v142, v142, v141
	v_add_f32_e32 v153, v142, v140
	v_cndmask_b32_e64 v142, 0, v144, s7
	s_delay_alu instid0(VALU_DEP_2) | instskip(SKIP_1) | instid1(VALU_DEP_2)
	v_add_f32_e32 v144, v153, v143
	v_cndmask_b32_e64 v153, 0, v129, s10
	v_add_f32_e32 v152, v144, v142
	v_cndmask_b32_e64 v144, 0, v154, s9
	v_cndmask_b32_e64 v154, 0, v132, s13
	v_fma_f32 v132, s36, v136, -v137
	s_delay_alu instid0(VALU_DEP_4) | instskip(NEXT) | instid1(VALU_DEP_2)
	v_dual_mul_f32 v133, 0x3fb8aa3b, v133 :: v_dual_add_f32 v152, v152, v151
	v_mul_f32_e32 v132, 0x3fb8aa3b, v132
	s_delay_alu instid0(VALU_DEP_2) | instskip(NEXT) | instid1(VALU_DEP_2)
	v_exp_f32_e32 v133, v133
	v_add_f32_e32 v129, v152, v144
	v_cndmask_b32_e64 v152, 0, v130, s11
	v_fma_f32 v130, s36, v135, -v137
	v_mul_f32_e32 v131, 0x3fb8aa3b, v131
	s_delay_alu instid0(VALU_DEP_2) | instskip(NEXT) | instid1(VALU_DEP_2)
	v_dual_add_f32 v129, v129, v153 :: v_dual_mul_f32 v130, 0x3fb8aa3b, v130
	v_exp_f32_e32 v131, v131
	s_delay_alu instid0(TRANS32_DEP_2) | instskip(NEXT) | instid1(VALU_DEP_2)
	v_cndmask_b32_e64 v157, 0, v133, s15
	v_add_f32_e32 v129, v129, v152
	s_delay_alu instid0(VALU_DEP_3) | instskip(SKIP_4) | instid1(VALU_DEP_2)
	v_exp_f32_e32 v130, v130
	s_waitcnt_depctr 0xfff
	v_cndmask_b32_e64 v155, 0, v131, s12
	v_exp_f32_e32 v131, v134
	v_cndmask_b32_e64 v159, 0, v130, s17
	v_add_f32_e32 v129, v129, v155
	s_delay_alu instid0(VALU_DEP_1) | instskip(SKIP_4) | instid1(VALU_DEP_1)
	v_add_f32_e32 v129, v129, v154
	s_waitcnt_depctr 0xfff
	v_cndmask_b32_e64 v156, 0, v131, s16
	v_exp_f32_e32 v131, v132
	v_add_f32_e32 v129, v129, v157
	v_add_f32_e32 v129, v129, v156
	s_waitcnt_depctr 0xfff
	v_cndmask_b32_e64 v158, 0, v131, s18
	v_add_f32_e32 v129, v129, v159
	s_delay_alu instid0(VALU_DEP_1)
	v_add_f32_e32 v129, v129, v158
	ds_bpermute_b32 v130, v160, v129
	v_cmpx_gt_u32_e32 16, v150
	s_cbranch_execz .LBB9_12
; %bb.11:
	v_mul_u32_u24_e32 v131, 0x44, v148
	s_delay_alu instid0(VALU_DEP_1) | instskip(SKIP_1) | instid1(VALU_DEP_1)
	v_lshl_add_u32 v131, v149, 2, v131
	s_waitcnt lgkmcnt(0)
	v_dual_add_f32 v129, v129, v130 :: v_dual_add_nc_u32 v130, 0x4000, v131
	ds_store_2addr_b32 v130, v137, v129 offset1:136
.LBB9_12:
	s_or_b32 exec_lo, exec_lo, s3
	v_lshlrev_b32_e32 v129, 2, v149
	s_load_b32 s35, s[0:1], 0x94
	s_waitcnt lgkmcnt(0)
	s_barrier
	buffer_gl0_inv
	v_add_nc_u32_e32 v135, 0x4000, v129
	v_cmp_eq_u32_e32 vcc_lo, 1, v148
	v_cmp_eq_u32_e64 s3, 2, v148
	v_cmp_eq_u32_e64 s4, 3, v148
	;; [unrolled: 1-line block ×3, first 2 shown]
	ds_load_2addr_b32 v[129:130], v135 offset1:17
	ds_load_2addr_b32 v[131:132], v135 offset0:34 offset1:51
	ds_load_2addr_b32 v[133:134], v135 offset0:68 offset1:85
	;; [unrolled: 1-line block ×4, first 2 shown]
	v_cmp_eq_u32_e64 s6, 5, v148
	v_cmp_eq_u32_e64 s7, 7, v148
	s_waitcnt lgkmcnt(4)
	v_max3_f32 v136, v129, 0xff7fffff, v130
	s_waitcnt lgkmcnt(3)
	s_delay_alu instid0(VALU_DEP_1) | instskip(SKIP_1) | instid1(VALU_DEP_1)
	v_max3_f32 v136, v136, v131, v132
	s_waitcnt lgkmcnt(2)
	v_max3_f32 v136, v136, v133, v134
	s_waitcnt lgkmcnt(1)
	s_delay_alu instid0(VALU_DEP_1) | instskip(NEXT) | instid1(VALU_DEP_1)
	v_max3_f32 v136, v136, v160, v161
	v_sub_f32_e32 v129, v129, v136
	v_sub_f32_e32 v137, v130, v136
	;; [unrolled: 1-line block ×4, first 2 shown]
	s_delay_alu instid0(VALU_DEP_4) | instskip(NEXT) | instid1(VALU_DEP_3)
	v_dual_sub_f32 v133, v133, v136 :: v_dual_mul_f32 v150, 0x3fb8aa3b, v129
	v_dual_mul_f32 v137, 0x3fb8aa3b, v137 :: v_dual_mul_f32 v164, 0x3fb8aa3b, v164
	s_delay_alu instid0(VALU_DEP_2) | instskip(NEXT) | instid1(VALU_DEP_3)
	v_mul_f32_e32 v167, 0x3fb8aa3b, v133
	v_exp_f32_e32 v150, v150
	s_delay_alu instid0(VALU_DEP_2) | instskip(SKIP_2) | instid1(VALU_DEP_1)
	v_exp_f32_e32 v166, v137
	v_mul_f32_e32 v165, 0x3fb8aa3b, v131
	v_exp_f32_e32 v164, v164
	v_exp_f32_e32 v165, v165
	s_waitcnt lgkmcnt(0)
	v_fma_f32 v137, v150, v162, 0
	v_sub_f32_e32 v162, v134, v136
	ds_load_2addr_b32 v[129:130], v135 offset0:170 offset1:187
	ds_load_2addr_b32 v[131:132], v135 offset0:204 offset1:221
	;; [unrolled: 1-line block ×3, first 2 shown]
	v_fmac_f32_e32 v137, v166, v163
	v_dual_sub_f32 v135, v160, v136 :: v_dual_mul_f32 v160, 0x3fb8aa3b, v162
	v_exp_f32_e32 v162, v167
	s_waitcnt lgkmcnt(0)
	s_barrier
	s_delay_alu instid0(VALU_DEP_1)
	v_mul_f32_e32 v135, 0x3fb8aa3b, v135
	v_exp_f32_e32 v160, v160
	buffer_gl0_inv
	v_fmac_f32_e32 v137, v165, v129
	v_sub_f32_e32 v129, v161, v136
	v_exp_f32_e32 v161, v135
	s_delay_alu instid0(VALU_DEP_2) | instskip(NEXT) | instid1(VALU_DEP_2)
	v_fmac_f32_e32 v137, v164, v130
	v_dual_mul_f32 v129, 0x3fb8aa3b, v129 :: v_dual_cndmask_b32 v130, v150, v166
	s_delay_alu instid0(VALU_DEP_2) | instskip(NEXT) | instid1(VALU_DEP_2)
	v_fmac_f32_e32 v137, v162, v131
	v_exp_f32_e32 v163, v129
	s_delay_alu instid0(VALU_DEP_1) | instskip(SKIP_3) | instid1(VALU_DEP_2)
	v_fmac_f32_e32 v137, v160, v132
	s_waitcnt_depctr 0xfff
	v_fmac_f32_e32 v137, v161, v133
	v_lshlrev_b32_e32 v133, 6, v149
	v_fmac_f32_e32 v137, v163, v134
	s_delay_alu instid0(VALU_DEP_2) | instskip(NEXT) | instid1(VALU_DEP_2)
	v_lshl_or_b32 v135, v148, 11, v133
	v_add_f32_e32 v134, 0x358637bd, v137
	s_delay_alu instid0(VALU_DEP_1) | instskip(SKIP_1) | instid1(VALU_DEP_2)
	v_div_scale_f32 v167, null, v134, v134, 1.0
	v_div_scale_f32 v150, vcc_lo, 1.0, v134, 1.0
	v_rcp_f32_e32 v168, v167
	s_waitcnt_depctr 0xfff
	v_fma_f32 v129, -v167, v168, 1.0
	s_delay_alu instid0(VALU_DEP_1) | instskip(SKIP_2) | instid1(VALU_DEP_3)
	v_fmac_f32_e32 v168, v129, v168
	v_cndmask_b32_e64 v129, v130, v165, s3
	v_cmp_eq_u32_e64 s3, 6, v148
	v_mul_f32_e32 v165, v150, v168
	s_delay_alu instid0(VALU_DEP_3) | instskip(SKIP_1) | instid1(VALU_DEP_3)
	v_cndmask_b32_e64 v130, v129, v164, s4
	v_lshlrev_b32_e32 v129, 2, v147
	v_fma_f32 v131, -v167, v165, v150
	s_delay_alu instid0(VALU_DEP_3) | instskip(NEXT) | instid1(VALU_DEP_3)
	v_cndmask_b32_e64 v149, v130, v162, s5
	v_or_b32_e32 v130, 1, v129
	v_or_b32_e32 v132, 2, v129
	v_cmp_eq_u32_e64 s4, 1, v129
	v_fmac_f32_e32 v165, v131, v168
	v_cndmask_b32_e64 v148, v149, v160, s6
	v_or_b32_e32 v131, 3, v129
	v_cmp_eq_u32_e64 s9, 1, v130
	v_cmp_eq_u32_e64 s10, 1, v132
	v_fma_f32 v149, -v167, v165, v150
	v_cndmask_b32_e64 v148, v148, v161, s3
	v_cmp_eq_u32_e64 s11, 1, v131
	v_cmp_eq_u32_e64 s5, 2, v129
	;; [unrolled: 1-line block ×3, first 2 shown]
	v_div_fmas_f32 v149, v149, v168, v165
	v_cndmask_b32_e64 v148, v148, v163, s7
	v_cmp_eq_u32_e64 s15, 2, v132
	v_cmp_eq_u32_e64 s16, 2, v131
	v_cmp_eq_u32_e32 vcc_lo, 3, v129
	v_div_fixup_f32 v149, v149, v134, 1.0
	v_lshl_or_b32 v134, v147, 4, v135
	v_cmp_eq_u32_e64 s13, 3, v130
	v_cmp_eq_u32_e64 s18, 3, v131
	;; [unrolled: 1-line block ×3, first 2 shown]
	v_mul_f32_e32 v164, v148, v149
	v_cmp_eq_u32_e64 s17, 3, v132
	v_cmp_eq_u32_e64 s19, 4, v130
	;; [unrolled: 1-line block ×4, first 2 shown]
	v_fma_mixlo_f16 v148, v164, v139, 0
	v_fma_mixlo_f16 v149, v164, v141, 0
	;; [unrolled: 1-line block ×8, first 2 shown]
	v_fma_mixhi_f16 v148, v164, v138, 0
	v_fma_mixhi_f16 v149, v164, v140, 0
	;; [unrolled: 1-line block ×8, first 2 shown]
	ds_store_b128 v134, v[148:151]
	ds_store_b128 v134, v[160:163] offset:1024
	s_waitcnt lgkmcnt(0)
	s_barrier
	buffer_gl0_inv
	ds_load_b128 v[138:141], v135
	ds_load_b128 v[148:151], v135 offset:16
	ds_load_b128 v[152:155], v135 offset:1024
	;; [unrolled: 1-line block ×3, first 2 shown]
	v_cmp_eq_u32_e64 s20, 5, v130
	v_cmp_eq_u32_e64 s21, 4, v132
	;; [unrolled: 1-line block ×12, first 2 shown]
	s_waitcnt lgkmcnt(3)
	v_lshrrev_b32_e32 v142, 16, v138
	s_waitcnt lgkmcnt(2)
	v_lshrrev_b32_e32 v161, 16, v148
	;; [unrolled: 2-line block ×4, first 2 shown]
	v_lshrrev_b32_e32 v143, 16, v139
	v_cndmask_b32_e64 v173, v138, v142, s4
	v_cndmask_b32_e64 v174, v148, v161, s4
	;; [unrolled: 1-line block ×7, first 2 shown]
	v_lshrrev_b32_e32 v162, 16, v149
	v_cndmask_b32_e64 v178, v148, v161, s10
	v_cndmask_b32_e64 v148, v152, v165, s4
	v_cndmask_b32_e64 v161, v156, v169, s4
	v_cndmask_b32_e64 v179, v152, v165, s9
	v_cndmask_b32_e64 v180, v156, v169, s9
	v_cndmask_b32_e64 v181, v152, v165, s10
	v_cndmask_b32_e64 v182, v156, v169, s10
	v_cndmask_b32_e64 v152, v152, v165, s11
	v_cndmask_b32_e64 v156, v156, v169, s11
	v_cndmask_b32_e64 v165, v173, v139, s5
	v_cndmask_b32_e64 v169, v174, v149, s5
	v_cndmask_b32_e64 v173, v175, v139, s12
	v_cndmask_b32_e64 v174, v176, v149, s12
	v_cndmask_b32_e64 v175, v177, v139, s15
	v_cndmask_b32_e64 v138, v138, v139, s16
	v_cndmask_b32_e64 v139, v142, v149, s16
	v_lshrrev_b32_e32 v166, 16, v153
	v_lshrrev_b32_e32 v170, 16, v157
	v_cndmask_b32_e64 v176, v178, v149, s15
	v_cndmask_b32_e64 v142, v148, v153, s5
	;; [unrolled: 1-line block ×7, first 2 shown]
	v_cndmask_b32_e32 v156, v165, v143, vcc_lo
	v_cndmask_b32_e32 v165, v169, v162, vcc_lo
	v_cndmask_b32_e64 v169, v173, v143, s13
	v_cndmask_b32_e64 v173, v174, v162, s13
	;; [unrolled: 1-line block ×4, first 2 shown]
	v_lshrrev_b32_e32 v144, 16, v140
	v_lshrrev_b32_e32 v163, 16, v150
	v_cndmask_b32_e64 v174, v175, v143, s17
	v_cndmask_b32_e64 v175, v176, v162, s17
	v_cndmask_b32_e32 v142, v142, v166, vcc_lo
	v_cndmask_b32_e32 v143, v148, v170, vcc_lo
	v_cndmask_b32_e64 v148, v149, v166, s13
	v_cndmask_b32_e64 v149, v156, v140, s3
	;; [unrolled: 1-line block ×7, first 2 shown]
	v_lshrrev_b32_e32 v167, 16, v154
	v_cndmask_b32_e64 v169, v174, v140, s21
	v_cndmask_b32_e64 v173, v175, v150, s21
	;; [unrolled: 1-line block ×11, first 2 shown]
	v_lshrrev_b32_e32 v160, 16, v141
	v_lshrrev_b32_e32 v164, 16, v151
	v_cndmask_b32_e64 v162, v169, v144, s23
	v_cndmask_b32_e64 v165, v173, v163, s23
	;; [unrolled: 1-line block ×9, first 2 shown]
	v_lshrrev_b32_e32 v168, 16, v155
	v_cndmask_b32_e64 v140, v140, v167, s6
	v_cndmask_b32_e64 v156, v162, v141, s26
	;; [unrolled: 1-line block ×14, first 2 shown]
	v_perm_b32 v141, v139, v138, 0x5040100
	v_perm_b32 v139, v150, v148, 0x5040100
	v_cndmask_b32_e64 v138, v182, v157, s15
	v_cndmask_b32_e64 v148, v180, v157, s12
	;; [unrolled: 1-line block ×3, first 2 shown]
	v_perm_b32 v140, v151, v149, 0x5040100
	v_cndmask_b32_e64 v149, v161, v166, s17
	v_cndmask_b32_e64 v150, v152, v166, s18
	;; [unrolled: 1-line block ×5, first 2 shown]
	v_lshrrev_b32_e32 v171, 16, v158
	v_cndmask_b32_e64 v149, v149, v154, s21
	v_cndmask_b32_e64 v150, v150, v154, s22
	;; [unrolled: 1-line block ×11, first 2 shown]
	v_lshrrev_b32_e32 v172, 16, v159
	v_cndmask_b32_e64 v142, v142, v159, s7
	v_cndmask_b32_e64 v149, v149, v155, s26
	v_cndmask_b32_e64 v150, v150, v155, s27
	v_cndmask_b32_e64 v151, v151, v159, s27
	v_cndmask_b32_e64 v138, v138, v159, s26
	v_cndmask_b32_e64 v148, v148, v159, s25
	v_cndmask_b32_e64 v149, v149, v168, s28
	v_cndmask_b32_e64 v150, v150, v168, s29
	v_cndmask_b32_e64 v151, v151, v172, s29
	v_cndmask_b32_e64 v152, v138, v172, s28
	v_cndmask_b32_e64 v148, v148, v172, s30
	v_cndmask_b32_e64 v142, v142, v172, s8
	v_perm_b32 v138, v144, v143, 0x5040100
	v_perm_b32 v151, v151, v150, 0x5040100
	;; [unrolled: 1-line block ×5, first 2 shown]
	s_lshl_b32 s7, s33, 3
	s_mov_b32 s3, exec_lo
	ds_store_b128 v134, v[138:141]
	ds_store_b128 v134, v[148:151] offset:1024
	v_cmpx_gt_u32_e32 8, v0
	s_cbranch_execz .LBB9_14
; %bb.13:
	v_or_b32_e32 v138, s31, v0
	s_load_b128 s[8:11], s[0:1], 0x58
	s_delay_alu instid0(VALU_DEP_1) | instskip(NEXT) | instid1(VALU_DEP_1)
	v_mad_u64_u32 v[139:140], null, s7, s34, v[138:139]
	v_mad_u64_u32 v[140:141], null, v139, s35, s[14:15]
	s_delay_alu instid0(VALU_DEP_1) | instskip(NEXT) | instid1(VALU_DEP_1)
	v_ashrrev_i32_e32 v141, 31, v140
	v_lshlrev_b64 v[138:139], 2, v[140:141]
	s_waitcnt lgkmcnt(0)
	s_delay_alu instid0(VALU_DEP_1) | instskip(NEXT) | instid1(VALU_DEP_2)
	v_add_co_u32 v140, vcc_lo, s10, v138
	v_add_co_ci_u32_e32 v141, vcc_lo, s11, v139, vcc_lo
	v_add_co_u32 v138, vcc_lo, s8, v138
	v_add_co_ci_u32_e32 v139, vcc_lo, s9, v139, vcc_lo
	global_store_b32 v[140:141], v136, off
	global_store_b32 v[138:139], v137, off
.LBB9_14:
	s_or_b32 exec_lo, exec_lo, s3
	s_waitcnt lgkmcnt(0)
	s_waitcnt_vscnt null, 0x0
	s_barrier
	buffer_gl0_inv
	ds_load_b128 v[148:151], v133
	ds_load_b128 v[152:155], v133 offset:16
	ds_load_b128 v[160:163], v133 offset:1040
	;; [unrolled: 1-line block ×5, first 2 shown]
	v_cmp_eq_u32_e32 vcc_lo, 1, v132
	v_mov_b32_e32 v136, 0
	ds_load_b128 v[176:179], v133 offset:3088
	ds_load_b128 v[172:175], v133 offset:3072
	;; [unrolled: 1-line block ×4, first 2 shown]
	v_cmp_eq_u32_e64 s3, 1, v129
	v_cmp_eq_u32_e64 s4, 1, v131
	;; [unrolled: 1-line block ×3, first 2 shown]
	v_mov_b32_e32 v137, v136
	v_mov_b32_e32 v138, v136
	;; [unrolled: 1-line block ×7, first 2 shown]
	v_cmp_eq_u32_e64 s6, 2, v129
	s_waitcnt lgkmcnt(8)
	s_delay_alu instid0(VALU_DEP_2)
	v_wmma_f32_16x16x16_f16 v[136:143], v[121:128], v[148:155], v[136:143]
	ds_load_b128 v[125:128], v133 offset:5136
	ds_load_b128 v[121:124], v133 offset:5120
	s_waitcnt lgkmcnt(8)
	v_wmma_f32_16x16x16_f16 v[136:143], v[113:120], v[156:163], v[136:143]
	ds_load_b128 v[117:120], v133 offset:6160
	ds_load_b128 v[113:116], v133 offset:6144
	s_waitcnt lgkmcnt(8)
	v_wmma_f32_16x16x16_f16 v[136:143], v[105:112], v[164:171], v[136:143]
	ds_load_b128 v[109:112], v133 offset:7184
	ds_load_b128 v[105:108], v133 offset:7168
	s_waitcnt lgkmcnt(8)
	v_wmma_f32_16x16x16_f16 v[136:143], v[97:104], v[172:179], v[136:143]
	ds_load_b128 v[101:104], v133 offset:8208
	ds_load_b128 v[97:100], v133 offset:8192
	s_waitcnt lgkmcnt(8)
	v_wmma_f32_16x16x16_f16 v[136:143], v[89:96], v[180:187], v[136:143]
	ds_load_b128 v[93:96], v133 offset:9232
	ds_load_b128 v[89:92], v133 offset:9216
	s_waitcnt lgkmcnt(8)
	v_wmma_f32_16x16x16_f16 v[136:143], v[81:88], v[121:128], v[136:143]
	ds_load_b128 v[85:88], v133 offset:10256
	ds_load_b128 v[81:84], v133 offset:10240
	s_waitcnt lgkmcnt(8)
	v_wmma_f32_16x16x16_f16 v[136:143], v[73:80], v[113:120], v[136:143]
	ds_load_b128 v[77:80], v133 offset:11280
	ds_load_b128 v[73:76], v133 offset:11264
	s_waitcnt lgkmcnt(8)
	v_wmma_f32_16x16x16_f16 v[136:143], v[65:72], v[105:112], v[136:143]
	ds_load_b128 v[69:72], v133 offset:12304
	ds_load_b128 v[65:68], v133 offset:12288
	s_waitcnt lgkmcnt(8)
	v_wmma_f32_16x16x16_f16 v[136:143], v[57:64], v[97:104], v[136:143]
	ds_load_b128 v[61:64], v133 offset:13328
	ds_load_b128 v[57:60], v133 offset:13312
	s_waitcnt lgkmcnt(8)
	v_wmma_f32_16x16x16_f16 v[136:143], v[49:56], v[89:96], v[136:143]
	ds_load_b128 v[53:56], v133 offset:14352
	ds_load_b128 v[49:52], v133 offset:14336
	s_waitcnt lgkmcnt(8)
	v_wmma_f32_16x16x16_f16 v[136:143], v[25:32], v[81:88], v[136:143]
	ds_load_b128 v[29:32], v133 offset:15376
	ds_load_b128 v[25:28], v133 offset:15360
	s_waitcnt lgkmcnt(0)
	s_barrier
	buffer_gl0_inv
	v_wmma_f32_16x16x16_f16 v[136:143], v[1:8], v[73:80], v[136:143]
	s_delay_alu instid0(VALU_DEP_1) | instskip(NEXT) | instid1(VALU_DEP_1)
	v_wmma_f32_16x16x16_f16 v[136:143], v[9:16], v[65:72], v[136:143]
	v_wmma_f32_16x16x16_f16 v[136:143], v[33:40], v[57:64], v[136:143]
	s_delay_alu instid0(VALU_DEP_1) | instskip(NEXT) | instid1(VALU_DEP_1)
	v_wmma_f32_16x16x16_f16 v[136:143], v[41:48], v[49:56], v[136:143]
	v_wmma_f32_16x16x16_f16 v[136:143], v[17:24], v[25:32], v[136:143]
	s_delay_alu instid0(VALU_DEP_1) | instskip(NEXT) | instid1(VALU_DEP_2)
	v_cvt_f16_f32_e64 v1, v136
	v_cvt_f16_f32_e64 v2, v137
	s_delay_alu instid0(VALU_DEP_3) | instskip(NEXT) | instid1(VALU_DEP_4)
	v_cvt_f16_f32_e64 v3, v138
	v_cvt_f16_f32_e64 v4, v139
	;; [unrolled: 1-line block ×6, first 2 shown]
	v_pack_b32_f16 v1, v1, v2
	v_pack_b32_f16 v2, v3, v4
	;; [unrolled: 1-line block ×3, first 2 shown]
	s_delay_alu instid0(VALU_DEP_4)
	v_pack_b32_f16 v4, v7, v8
	ds_store_b128 v134, v[1:4]
	s_waitcnt lgkmcnt(0)
	s_barrier
	buffer_gl0_inv
	ds_load_b128 v[1:4], v135
	ds_load_b128 v[5:8], v135 offset:16
	s_waitcnt lgkmcnt(1)
	v_lshrrev_b32_e32 v9, 16, v1
	s_waitcnt lgkmcnt(0)
	v_lshrrev_b32_e32 v13, 16, v5
	v_lshrrev_b32_e32 v10, 16, v2
	;; [unrolled: 1-line block ×4, first 2 shown]
	v_cndmask_b32_e64 v17, v1, v9, s3
	v_cndmask_b32_e64 v18, v5, v13, s3
	;; [unrolled: 1-line block ×3, first 2 shown]
	v_cmp_eq_u32_e64 s3, 2, v130
	v_cndmask_b32_e64 v20, v5, v13, s5
	v_cndmask_b32_e32 v21, v1, v9, vcc_lo
	v_cndmask_b32_e32 v22, v5, v13, vcc_lo
	v_cndmask_b32_e64 v1, v1, v9, s4
	v_cndmask_b32_e64 v5, v5, v13, s4
	v_cmp_eq_u32_e32 vcc_lo, 2, v132
	v_cmp_eq_u32_e64 s4, 2, v131
	v_cndmask_b32_e64 v9, v17, v2, s6
	v_cndmask_b32_e64 v13, v18, v6, s6
	;; [unrolled: 1-line block ×4, first 2 shown]
	v_cndmask_b32_e32 v19, v21, v2, vcc_lo
	v_cmp_eq_u32_e64 s3, 3, v132
	v_cndmask_b32_e32 v20, v22, v6, vcc_lo
	v_cndmask_b32_e64 v1, v1, v2, s4
	v_cmp_eq_u32_e32 vcc_lo, 3, v131
	v_cmp_eq_u32_e64 s5, 3, v129
	v_cndmask_b32_e64 v2, v5, v6, s4
	v_cmp_eq_u32_e64 s4, 3, v130
	v_cmp_eq_u32_e64 s6, 4, v129
	v_cndmask_b32_e32 v1, v1, v10, vcc_lo
	v_cndmask_b32_e64 v5, v9, v10, s5
	v_cndmask_b32_e64 v6, v13, v14, s5
	;; [unrolled: 1-line block ×3, first 2 shown]
	v_cmp_eq_u32_e64 s5, 4, v130
	v_cndmask_b32_e64 v13, v18, v14, s4
	v_cndmask_b32_e64 v17, v19, v10, s3
	;; [unrolled: 1-line block ×3, first 2 shown]
	v_cndmask_b32_e32 v2, v2, v14, vcc_lo
	v_cmp_eq_u32_e32 vcc_lo, 4, v132
	v_cmp_eq_u32_e64 s4, 4, v131
	v_lshrrev_b32_e32 v15, 16, v7
	v_cndmask_b32_e64 v5, v5, v3, s6
	v_cndmask_b32_e64 v6, v6, v7, s6
	v_cndmask_b32_e32 v14, v18, v7, vcc_lo
	v_cndmask_b32_e64 v9, v9, v3, s5
	v_cndmask_b32_e64 v10, v13, v7, s5
	v_cndmask_b32_e32 v13, v17, v3, vcc_lo
	v_cmp_eq_u32_e64 s3, 5, v132
	v_cndmask_b32_e64 v1, v1, v3, s4
	v_cmp_eq_u32_e32 vcc_lo, 5, v131
	v_cmp_eq_u32_e64 s5, 5, v129
	v_cndmask_b32_e64 v2, v2, v7, s4
	v_cmp_eq_u32_e64 s4, 5, v130
	v_cmp_eq_u32_e64 s6, 6, v129
	v_lshrrev_b32_e32 v12, 16, v4
	v_cndmask_b32_e64 v3, v5, v11, s5
	v_cndmask_b32_e64 v5, v6, v15, s5
	;; [unrolled: 1-line block ×3, first 2 shown]
	v_cmp_eq_u32_e64 s5, 6, v130
	v_cndmask_b32_e64 v7, v10, v15, s4
	v_cndmask_b32_e64 v9, v13, v11, s3
	;; [unrolled: 1-line block ×3, first 2 shown]
	v_cndmask_b32_e32 v1, v1, v11, vcc_lo
	v_cndmask_b32_e32 v2, v2, v15, vcc_lo
	v_cmp_eq_u32_e32 vcc_lo, 6, v132
	v_cmp_eq_u32_e64 s3, 6, v131
	v_lshrrev_b32_e32 v16, 16, v8
	v_cndmask_b32_e64 v3, v3, v4, s6
	v_cndmask_b32_e64 v5, v5, v8, s6
	v_cndmask_b32_e32 v9, v9, v4, vcc_lo
	v_cndmask_b32_e64 v6, v6, v4, s5
	v_cndmask_b32_e64 v7, v7, v8, s5
	v_cmp_eq_u32_e64 s4, 7, v132
	v_cndmask_b32_e32 v10, v10, v8, vcc_lo
	v_cndmask_b32_e64 v1, v1, v4, s3
	v_cmp_eq_u32_e32 vcc_lo, 7, v131
	v_cndmask_b32_e64 v2, v2, v8, s3
	v_cmp_eq_u32_e64 s3, 7, v129
	v_cmp_eq_u32_e64 s5, 7, v130
	v_cndmask_b32_e32 v1, v1, v12, vcc_lo
	s_delay_alu instid0(VALU_DEP_4) | instskip(NEXT) | instid1(VALU_DEP_4)
	v_cndmask_b32_e32 v2, v2, v16, vcc_lo
	v_cndmask_b32_e64 v8, v3, v12, s3
	s_delay_alu instid0(VALU_DEP_4)
	v_cndmask_b32_e64 v6, v6, v12, s5
	v_cndmask_b32_e64 v3, v9, v12, s4
	;; [unrolled: 1-line block ×5, first 2 shown]
	v_cmp_gt_u32_e32 vcc_lo, 32, v0
	v_perm_b32 v4, v2, v1, 0x5040100
	v_perm_b32 v3, v9, v3, 0x5040100
	;; [unrolled: 1-line block ×4, first 2 shown]
	s_and_b32 s2, vcc_lo, s2
	ds_store_b128 v134, v[1:4]
	s_waitcnt lgkmcnt(0)
	s_barrier
	buffer_gl0_inv
	s_and_saveexec_b32 s3, s2
	s_cbranch_execz .LBB9_2
; %bb.15:
	s_load_b64 s[0:1], s[0:1], 0x68
	s_lshl_b32 s4, s35, 6
	v_or_b32_e32 v2, s31, v147
	s_mul_i32 s2, s4, s34
	v_lshlrev_b32_e32 v1, 10, v0
	s_mul_i32 s2, s2, s7
	v_lshlrev_b32_e32 v3, 4, v146
	v_mul_lo_u32 v0, v2, s4
	s_ashr_i32 s3, s2, 31
	v_lshlrev_b32_e32 v4, 6, v147
	v_and_b32_e32 v1, 0x3800, v1
	v_or_b32_e32 v5, 2, v2
	s_lshl_b64 s[2:3], s[2:3], 1
	v_or_b32_e32 v6, 4, v2
	v_or_b32_e32 v7, 6, v2
	v_or3_b32 v12, v1, v3, v4
	v_ashrrev_i32_e32 v1, 31, v0
	v_mul_lo_u32 v2, v5, s4
	v_mul_lo_u32 v16, v6, s4
	;; [unrolled: 1-line block ×3, first 2 shown]
	s_waitcnt lgkmcnt(0)
	s_add_u32 s2, s0, s2
	s_addc_u32 s3, s1, s3
	s_lshl_b32 s0, s14, 6
	v_lshlrev_b64 v[0:1], 1, v[0:1]
	s_ashr_i32 s1, s0, 31
	v_ashrrev_i32_e32 v3, 31, v2
	s_lshl_b64 s[0:1], s[0:1], 1
	v_ashrrev_i32_e32 v17, 31, v16
	s_add_u32 s0, s2, s0
	s_addc_u32 s1, s3, s1
	v_add_co_u32 v24, s0, s0, v145
	s_delay_alu instid0(VALU_DEP_1) | instskip(SKIP_1) | instid1(VALU_DEP_3)
	v_add_co_ci_u32_e64 v25, null, s1, 0, s0
	v_lshlrev_b64 v[22:23], 1, v[2:3]
	v_add_co_u32 v18, vcc_lo, v24, v0
	s_delay_alu instid0(VALU_DEP_3)
	v_add_co_ci_u32_e32 v19, vcc_lo, v25, v1, vcc_lo
	ds_load_b128 v[0:3], v12
	ds_load_b128 v[4:7], v12 offset:128
	ds_load_b128 v[8:11], v12 offset:256
	;; [unrolled: 1-line block ×3, first 2 shown]
	v_ashrrev_i32_e32 v21, 31, v20
	v_lshlrev_b64 v[16:17], 1, v[16:17]
	v_add_co_u32 v22, vcc_lo, v24, v22
	v_add_co_ci_u32_e32 v23, vcc_lo, v25, v23, vcc_lo
	s_delay_alu instid0(VALU_DEP_4) | instskip(NEXT) | instid1(VALU_DEP_4)
	v_lshlrev_b64 v[20:21], 1, v[20:21]
	v_add_co_u32 v16, vcc_lo, v24, v16
	v_add_co_ci_u32_e32 v17, vcc_lo, v25, v17, vcc_lo
	s_delay_alu instid0(VALU_DEP_3) | instskip(NEXT) | instid1(VALU_DEP_4)
	v_add_co_u32 v20, vcc_lo, v24, v20
	v_add_co_ci_u32_e32 v21, vcc_lo, v25, v21, vcc_lo
	s_waitcnt lgkmcnt(3)
	global_store_b128 v[18:19], v[0:3], off
	s_waitcnt lgkmcnt(2)
	global_store_b128 v[22:23], v[4:7], off
	;; [unrolled: 2-line block ×4, first 2 shown]
	s_nop 0
	s_sendmsg sendmsg(MSG_DEALLOC_VGPRS)
	s_endpgm
	.section	.rodata,"a",@progbits
	.p2align	6, 0x0
	.amdhsa_kernel _Z39paged_attention_ll4mi_QKV_mfma16_kernelIDF16_DF16_LN4vllm18Fp8KVCacheDataTypeE0EhLi16ELi64ELi256ELb1ELi8EL8MFMAType0EEvPKT_PKT0_S8_ifPKiSA_SA_iPKfiiiPfSD_PS3_PT2_iSC_SC_
		.amdhsa_group_segment_fixed_size 17472
		.amdhsa_private_segment_fixed_size 0
		.amdhsa_kernarg_size 400
		.amdhsa_user_sgpr_count 13
		.amdhsa_user_sgpr_dispatch_ptr 0
		.amdhsa_user_sgpr_queue_ptr 0
		.amdhsa_user_sgpr_kernarg_segment_ptr 1
		.amdhsa_user_sgpr_dispatch_id 0
		.amdhsa_user_sgpr_private_segment_size 0
		.amdhsa_wavefront_size32 1
		.amdhsa_uses_dynamic_stack 0
		.amdhsa_enable_private_segment 0
		.amdhsa_system_sgpr_workgroup_id_x 1
		.amdhsa_system_sgpr_workgroup_id_y 1
		.amdhsa_system_sgpr_workgroup_id_z 1
		.amdhsa_system_sgpr_workgroup_info 0
		.amdhsa_system_vgpr_workitem_id 0
		.amdhsa_next_free_vgpr 198
		.amdhsa_next_free_sgpr 52
		.amdhsa_reserve_vcc 1
		.amdhsa_float_round_mode_32 0
		.amdhsa_float_round_mode_16_64 0
		.amdhsa_float_denorm_mode_32 3
		.amdhsa_float_denorm_mode_16_64 3
		.amdhsa_dx10_clamp 1
		.amdhsa_ieee_mode 1
		.amdhsa_fp16_overflow 0
		.amdhsa_workgroup_processor_mode 1
		.amdhsa_memory_ordered 1
		.amdhsa_forward_progress 0
		.amdhsa_shared_vgpr_count 0
		.amdhsa_exception_fp_ieee_invalid_op 0
		.amdhsa_exception_fp_denorm_src 0
		.amdhsa_exception_fp_ieee_div_zero 0
		.amdhsa_exception_fp_ieee_overflow 0
		.amdhsa_exception_fp_ieee_underflow 0
		.amdhsa_exception_fp_ieee_inexact 0
		.amdhsa_exception_int_div_zero 0
	.end_amdhsa_kernel
	.section	.text._Z39paged_attention_ll4mi_QKV_mfma16_kernelIDF16_DF16_LN4vllm18Fp8KVCacheDataTypeE0EhLi16ELi64ELi256ELb1ELi8EL8MFMAType0EEvPKT_PKT0_S8_ifPKiSA_SA_iPKfiiiPfSD_PS3_PT2_iSC_SC_,"axG",@progbits,_Z39paged_attention_ll4mi_QKV_mfma16_kernelIDF16_DF16_LN4vllm18Fp8KVCacheDataTypeE0EhLi16ELi64ELi256ELb1ELi8EL8MFMAType0EEvPKT_PKT0_S8_ifPKiSA_SA_iPKfiiiPfSD_PS3_PT2_iSC_SC_,comdat
.Lfunc_end9:
	.size	_Z39paged_attention_ll4mi_QKV_mfma16_kernelIDF16_DF16_LN4vllm18Fp8KVCacheDataTypeE0EhLi16ELi64ELi256ELb1ELi8EL8MFMAType0EEvPKT_PKT0_S8_ifPKiSA_SA_iPKfiiiPfSD_PS3_PT2_iSC_SC_, .Lfunc_end9-_Z39paged_attention_ll4mi_QKV_mfma16_kernelIDF16_DF16_LN4vllm18Fp8KVCacheDataTypeE0EhLi16ELi64ELi256ELb1ELi8EL8MFMAType0EEvPKT_PKT0_S8_ifPKiSA_SA_iPKfiiiPfSD_PS3_PT2_iSC_SC_
                                        ; -- End function
	.section	.AMDGPU.csdata,"",@progbits
; Kernel info:
; codeLenInByte = 7812
; NumSgprs: 54
; NumVgprs: 198
; ScratchSize: 0
; MemoryBound: 0
; FloatMode: 240
; IeeeMode: 1
; LDSByteSize: 17472 bytes/workgroup (compile time only)
; SGPRBlocks: 6
; VGPRBlocks: 24
; NumSGPRsForWavesPerEU: 54
; NumVGPRsForWavesPerEU: 198
; Occupancy: 7
; WaveLimiterHint : 1
; COMPUTE_PGM_RSRC2:SCRATCH_EN: 0
; COMPUTE_PGM_RSRC2:USER_SGPR: 13
; COMPUTE_PGM_RSRC2:TRAP_HANDLER: 0
; COMPUTE_PGM_RSRC2:TGID_X_EN: 1
; COMPUTE_PGM_RSRC2:TGID_Y_EN: 1
; COMPUTE_PGM_RSRC2:TGID_Z_EN: 1
; COMPUTE_PGM_RSRC2:TIDIG_COMP_CNT: 0
	.section	.text._Z39paged_attention_ll4mi_QKV_mfma16_kernelIDF16_DF16_LN4vllm18Fp8KVCacheDataTypeE0EhLi16ELi64ELi256ELb1ELi9EL8MFMAType0EEvPKT_PKT0_S8_ifPKiSA_SA_iPKfiiiPfSD_PS3_PT2_iSC_SC_,"axG",@progbits,_Z39paged_attention_ll4mi_QKV_mfma16_kernelIDF16_DF16_LN4vllm18Fp8KVCacheDataTypeE0EhLi16ELi64ELi256ELb1ELi9EL8MFMAType0EEvPKT_PKT0_S8_ifPKiSA_SA_iPKfiiiPfSD_PS3_PT2_iSC_SC_,comdat
	.protected	_Z39paged_attention_ll4mi_QKV_mfma16_kernelIDF16_DF16_LN4vllm18Fp8KVCacheDataTypeE0EhLi16ELi64ELi256ELb1ELi9EL8MFMAType0EEvPKT_PKT0_S8_ifPKiSA_SA_iPKfiiiPfSD_PS3_PT2_iSC_SC_ ; -- Begin function _Z39paged_attention_ll4mi_QKV_mfma16_kernelIDF16_DF16_LN4vllm18Fp8KVCacheDataTypeE0EhLi16ELi64ELi256ELb1ELi9EL8MFMAType0EEvPKT_PKT0_S8_ifPKiSA_SA_iPKfiiiPfSD_PS3_PT2_iSC_SC_
	.globl	_Z39paged_attention_ll4mi_QKV_mfma16_kernelIDF16_DF16_LN4vllm18Fp8KVCacheDataTypeE0EhLi16ELi64ELi256ELb1ELi9EL8MFMAType0EEvPKT_PKT0_S8_ifPKiSA_SA_iPKfiiiPfSD_PS3_PT2_iSC_SC_
	.p2align	8
	.type	_Z39paged_attention_ll4mi_QKV_mfma16_kernelIDF16_DF16_LN4vllm18Fp8KVCacheDataTypeE0EhLi16ELi64ELi256ELb1ELi9EL8MFMAType0EEvPKT_PKT0_S8_ifPKiSA_SA_iPKfiiiPfSD_PS3_PT2_iSC_SC_,@function
_Z39paged_attention_ll4mi_QKV_mfma16_kernelIDF16_DF16_LN4vllm18Fp8KVCacheDataTypeE0EhLi16ELi64ELi256ELb1ELi9EL8MFMAType0EEvPKT_PKT0_S8_ifPKiSA_SA_iPKfiiiPfSD_PS3_PT2_iSC_SC_: ; @_Z39paged_attention_ll4mi_QKV_mfma16_kernelIDF16_DF16_LN4vllm18Fp8KVCacheDataTypeE0EhLi16ELi64ELi256ELb1ELi9EL8MFMAType0EEvPKT_PKT0_S8_ifPKiSA_SA_iPKfiiiPfSD_PS3_PT2_iSC_SC_
; %bb.0:
	s_load_b64 s[2:3], s[0:1], 0x30
	s_mov_b32 s34, s13
	s_waitcnt lgkmcnt(0)
	s_cmp_lg_u64 s[2:3], 0
	s_cselect_b32 s6, -1, 0
	s_ashr_i32 s35, s13, 31
	s_cmp_eq_u64 s[2:3], 0
	s_cbranch_scc1 .LBB10_3
; %bb.1:
	s_lshl_b64 s[4:5], s[34:35], 2
	s_delay_alu instid0(SALU_CYCLE_1) | instskip(SKIP_4) | instid1(SALU_CYCLE_1)
	s_add_u32 s4, s2, s4
	s_addc_u32 s5, s3, s5
	s_load_b64 s[4:5], s[4:5], 0x0
	s_waitcnt lgkmcnt(0)
	s_sub_i32 s4, s5, s4
	s_cmp_eq_u32 s4, 1
	s_cselect_b32 s4, -1, 0
	s_delay_alu instid0(SALU_CYCLE_1)
	s_and_not1_b32 vcc_lo, exec_lo, s4
	s_cbranch_vccz .LBB10_4
.LBB10_2:
	s_nop 0
	s_sendmsg sendmsg(MSG_DEALLOC_VGPRS)
	s_endpgm
.LBB10_3:
.LBB10_4:
	s_load_b64 s[8:9], s[0:1], 0x28
	s_lshl_b64 s[4:5], s[34:35], 2
	s_waitcnt lgkmcnt(0)
	s_add_u32 s8, s8, s4
	s_addc_u32 s9, s9, s5
	s_lshl_b32 s31, s14, 8
	s_load_b32 s30, s[8:9], 0x0
	s_waitcnt lgkmcnt(0)
	s_cmp_ge_i32 s31, s30
	s_cbranch_scc1 .LBB10_2
; %bb.5:
	s_clause 0x1
	s_load_b128 s[8:11], s[0:1], 0x8
	s_load_b64 s[12:13], s[0:1], 0x20
	s_and_not1_b32 vcc_lo, exec_lo, s6
	s_cbranch_vccnz .LBB10_7
; %bb.6:
	s_add_u32 s2, s2, s4
	s_addc_u32 s3, s3, s5
	s_load_b32 s3, s[2:3], 0x0
	s_branch .LBB10_8
.LBB10_7:
	s_mov_b32 s3, s34
.LBB10_8:
	s_load_b128 s[4:7], s[0:1], 0x48
	v_lshrrev_b32_e32 v149, 5, v0
	v_bfe_u32 v146, v0, 4, 1
	v_and_b32_e32 v148, 15, v0
	v_and_b32_e32 v150, 31, v0
	;; [unrolled: 1-line block ×3, first 2 shown]
	s_mul_i32 s33, s15, 9
	v_lshl_or_b32 v1, v149, 1, v146
	v_lshlrev_b32_e32 v2, 3, v148
	v_cmp_gt_u32_e64 s2, 8, v148
	s_delay_alu instid0(VALU_DEP_3) | instskip(NEXT) | instid1(VALU_DEP_3)
	v_cmp_gt_u32_e32 vcc_lo, 9, v1
	v_lshlrev_b32_e32 v145, 1, v2
	s_delay_alu instid0(VALU_DEP_3)
	s_and_b32 s16, s2, vcc_lo
	s_waitcnt lgkmcnt(0)
	s_and_saveexec_b32 s7, s16
	s_cbranch_execz .LBB10_10
; %bb.9:
	s_load_b64 s[16:17], s[0:1], 0x0
	v_add_lshl_u32 v2, v1, s33, 6
	s_mul_hi_i32 s19, s3, s4
	s_mul_i32 s18, s3, s4
	v_lshlrev_b32_e32 v6, 10, v148
	s_lshl_b64 s[18:19], s[18:19], 1
	v_ashrrev_i32_e32 v3, 31, v2
	v_lshlrev_b32_e32 v1, 6, v1
	v_lshlrev_b32_e32 v7, 10, v147
	v_and_b32_e32 v6, 0x3800, v6
	s_delay_alu instid0(VALU_DEP_4) | instskip(NEXT) | instid1(VALU_DEP_2)
	v_lshlrev_b64 v[2:3], 1, v[2:3]
	v_or3_b32 v1, v6, v7, v1
	s_waitcnt lgkmcnt(0)
	s_add_u32 s3, s16, s18
	s_addc_u32 s4, s17, s19
	s_delay_alu instid0(VALU_DEP_2) | instskip(SKIP_1) | instid1(VALU_DEP_2)
	v_add_co_u32 v2, vcc_lo, s3, v2
	v_add_co_ci_u32_e32 v3, vcc_lo, s4, v3, vcc_lo
	v_add_co_u32 v2, vcc_lo, v2, v145
	s_delay_alu instid0(VALU_DEP_2)
	v_add_co_ci_u32_e32 v3, vcc_lo, 0, v3, vcc_lo
	global_load_b128 v[2:5], v[2:3], off
	s_waitcnt vmcnt(0)
	ds_store_b128 v1, v[2:5]
.LBB10_10:
	s_or_b32 exec_lo, exec_lo, s7
	s_mov_b32 s40, 0
	s_add_i32 s3, s30, 15
	s_mov_b32 s41, s40
	s_mov_b32 s42, s40
	;; [unrolled: 1-line block ×7, first 2 shown]
	s_delay_alu instid0(SALU_CYCLE_1)
	v_dual_mov_b32 v144, s47 :: v_dual_and_b32 v1, 0xef, v0
	v_mov_b32_e32 v142, s45
	s_ashr_i32 s7, s3, 31
	s_clause 0x1
	s_load_b32 s4, s[0:1], 0x38
	s_load_b32 s35, s[0:1], 0x98
	v_add_nc_u32_e32 v1, s31, v1
	s_lshr_b32 s7, s7, 28
	s_load_b32 s36, s[0:1], 0x1c
	s_add_i32 s3, s3, s7
	s_waitcnt lgkmcnt(0)
	v_ashrrev_i32_e32 v2, 31, v1
	v_or_b32_e32 v3, 16, v1
	s_ashr_i32 s3, s3, 4
	v_cmp_gt_i32_e32 vcc_lo, s30, v1
	s_add_i32 s3, s3, -1
	v_lshrrev_b32_e32 v2, 28, v2
	v_mov_b32_e32 v143, s46
	s_barrier
	buffer_gl0_inv
	s_mul_i32 s6, s15, s6
	v_dual_mov_b32 v141, s44 :: v_dual_add_nc_u32 v4, v1, v2
	v_mov_b32_e32 v139, s42
	s_mul_i32 s16, s34, s4
	v_mov_b32_e32 v137, s40
	s_delay_alu instid0(VALU_DEP_3)
	v_ashrrev_i32_e32 v4, 4, v4
	v_add_nc_u32_e32 v2, v3, v2
	s_ashr_i32 s17, s16, 31
	v_mov_b32_e32 v140, s43
	s_lshl_b64 s[16:17], s[16:17], 2
	v_cndmask_b32_e32 v1, s3, v4, vcc_lo
	v_ashrrev_i32_e32 v2, 4, v2
	v_cmp_gt_i32_e32 vcc_lo, s30, v3
	s_add_u32 s4, s12, s16
	s_addc_u32 s37, s13, s17
	s_ashr_i32 s7, s6, 31
	v_mov_b32_e32 v138, s41
	v_cndmask_b32_e32 v3, s3, v2, vcc_lo
	v_ashrrev_i32_e32 v2, 31, v1
	s_lshl_b64 s[6:7], s[6:7], 1
	s_delay_alu instid0(SALU_CYCLE_1) | instskip(NEXT) | instid1(VALU_DEP_2)
	s_add_u32 s24, s8, s6
	v_ashrrev_i32_e32 v4, 31, v3
	s_delay_alu instid0(VALU_DEP_2) | instskip(SKIP_2) | instid1(VALU_DEP_2)
	v_lshlrev_b64 v[1:2], 2, v[1:2]
	s_addc_u32 s25, s9, s7
	s_lshl_b32 s8, s14, 4
	v_lshlrev_b64 v[3:4], 2, v[3:4]
	s_ashr_i32 s9, s8, 31
	s_delay_alu instid0(VALU_DEP_2) | instskip(SKIP_1) | instid1(VALU_DEP_3)
	v_add_co_u32 v1, vcc_lo, s4, v1
	v_add_co_ci_u32_e32 v2, vcc_lo, s37, v2, vcc_lo
	v_add_co_u32 v3, vcc_lo, s4, v3
	s_delay_alu instid0(VALU_DEP_4)
	v_add_co_ci_u32_e32 v4, vcc_lo, s37, v4, vcc_lo
	s_clause 0x1
	global_load_b32 v5, v[1:2], off
	global_load_b32 v6, v[3:4], off
	s_lshl_b64 s[8:9], s[8:9], 2
	v_lshlrev_b32_e32 v3, 4, v0
	s_add_u32 s8, s4, s8
	s_addc_u32 s9, s37, s9
	s_or_b32 s12, s31, 16
	s_delay_alu instid0(SALU_CYCLE_1) | instskip(SKIP_2) | instid1(SALU_CYCLE_1)
	s_ashr_i32 s13, s12, 4
	s_cmp_lt_i32 s12, s30
	s_cselect_b32 s12, s13, s3
	s_ashr_i32 s13, s12, 31
	s_delay_alu instid0(SALU_CYCLE_1) | instskip(NEXT) | instid1(SALU_CYCLE_1)
	s_lshl_b64 s[12:13], s[12:13], 2
	s_add_u32 s12, s4, s12
	s_addc_u32 s13, s37, s13
	s_or_b32 s15, s31, 32
	s_delay_alu instid0(SALU_CYCLE_1) | instskip(SKIP_2) | instid1(SALU_CYCLE_1)
	s_ashr_i32 s16, s15, 4
	s_cmp_lt_i32 s15, s30
	s_cselect_b32 s16, s16, s3
	s_ashr_i32 s17, s16, 31
	s_delay_alu instid0(SALU_CYCLE_1) | instskip(NEXT) | instid1(SALU_CYCLE_1)
	s_lshl_b64 s[16:17], s[16:17], 2
	;; [unrolled: 10-line block ×5, first 2 shown]
	s_add_u32 s22, s4, s22
	s_addc_u32 s23, s37, s23
	s_clause 0x5
	s_load_b32 s8, s[8:9], 0x0
	s_load_b32 s12, s[12:13], 0x0
	;; [unrolled: 1-line block ×6, first 2 shown]
	s_waitcnt lgkmcnt(0)
	s_mul_hi_i32 s17, s16, s5
	s_mul_i32 s16, s16, s5
	s_waitcnt vmcnt(1)
	v_mad_i64_i32 v[1:2], null, v5, s5, 0
	v_and_b32_e32 v5, 0xf0, v3
	s_waitcnt vmcnt(0)
	v_mad_i64_i32 v[3:4], null, v6, s5, 0
	s_delay_alu instid0(VALU_DEP_2) | instskip(NEXT) | instid1(VALU_DEP_4)
	v_add_co_u32 v7, s9, s24, v5
	v_lshlrev_b64 v[1:2], 1, v[1:2]
	v_add_co_ci_u32_e64 v8, null, s25, 0, s9
	s_delay_alu instid0(VALU_DEP_4) | instskip(SKIP_1) | instid1(VALU_DEP_3)
	v_lshlrev_b64 v[5:6], 1, v[3:4]
	s_or_b32 s9, s31, 0x60
	v_add_co_u32 v3, vcc_lo, v7, v1
	s_delay_alu instid0(VALU_DEP_3) | instskip(NEXT) | instid1(VALU_DEP_3)
	v_add_co_ci_u32_e32 v4, vcc_lo, v8, v2, vcc_lo
	v_add_co_u32 v1, vcc_lo, v7, v5
	s_delay_alu instid0(VALU_DEP_4)
	v_add_co_ci_u32_e32 v2, vcc_lo, v8, v6, vcc_lo
	s_clause 0x9
	global_load_b128 v[9:12], v[3:4], off
	global_load_b128 v[13:16], v[3:4], off offset:256
	global_load_b128 v[129:132], v[1:2], off
	global_load_b128 v[133:136], v[1:2], off offset:256
	global_load_b128 v[41:44], v[3:4], off offset:512
	;; [unrolled: 1-line block ×7, first 2 shown]
	v_add_nc_u32_e32 v5, -9, v148
	v_cmp_gt_u32_e32 vcc_lo, 9, v148
	s_clause 0x1
	global_load_b128 v[151:154], v[1:2], off offset:1024
	global_load_b128 v[155:158], v[1:2], off offset:1280
	s_ashr_i32 s13, s9, 4
	s_cmp_lt_i32 s9, s30
	v_lshlrev_b32_e32 v6, 5, v148
	v_cndmask_b32_e32 v5, v5, v148, vcc_lo
	s_cselect_b32 s22, s13, s3
	s_delay_alu instid0(SALU_CYCLE_1) | instskip(NEXT) | instid1(VALU_DEP_2)
	s_ashr_i32 s23, s22, 31
	v_lshl_or_b32 v6, v149, 9, v6
	s_delay_alu instid0(VALU_DEP_2)
	v_lshlrev_b32_e32 v197, 6, v5
	ds_load_b128 v[159:162], v197
	ds_load_b128 v[163:166], v197 offset:1024
	s_clause 0x3
	global_load_b128 v[167:170], v[3:4], off offset:1536
	global_load_b128 v[171:174], v[3:4], off offset:1792
	;; [unrolled: 1-line block ×4, first 2 shown]
	s_lshl_b64 s[22:23], s[22:23], 2
	s_delay_alu instid0(SALU_CYCLE_1)
	s_add_u32 s22, s4, s22
	s_addc_u32 s23, s37, s23
	s_or_b32 s9, s31, 0x70
	s_load_b32 s46, s[22:23], 0x0
	s_ashr_i32 s13, s9, 4
	s_cmp_lt_i32 s9, s30
	s_cselect_b32 s24, s13, s3
	s_delay_alu instid0(SALU_CYCLE_1) | instskip(NEXT) | instid1(SALU_CYCLE_1)
	s_ashr_i32 s25, s24, 31
	s_lshl_b64 s[24:25], s[24:25], 2
	s_delay_alu instid0(SALU_CYCLE_1)
	s_add_u32 s24, s4, s24
	s_addc_u32 s25, s37, s25
	s_or_b32 s9, s31, 0x80
	s_load_b32 s47, s[24:25], 0x0
	s_ashr_i32 s13, s9, 4
	s_cmp_lt_i32 s9, s30
	s_cselect_b32 s26, s13, s3
	s_delay_alu instid0(SALU_CYCLE_1) | instskip(NEXT) | instid1(SALU_CYCLE_1)
	s_ashr_i32 s27, s26, 31
	;; [unrolled: 11-line block ×3, first 2 shown]
	s_lshl_b64 s[28:29], s[28:29], 2
	s_delay_alu instid0(SALU_CYCLE_1) | instskip(SKIP_2) | instid1(SALU_CYCLE_1)
	s_add_u32 s28, s4, s28
	s_addc_u32 s29, s37, s29
	s_or_b32 s9, s31, 0xa0
	s_ashr_i32 s13, s9, 4
	s_cmp_lt_i32 s9, s30
	s_cselect_b32 s38, s13, s3
	s_delay_alu instid0(SALU_CYCLE_1) | instskip(NEXT) | instid1(SALU_CYCLE_1)
	s_ashr_i32 s39, s38, 31
	s_lshl_b64 s[38:39], s[38:39], 2
	s_delay_alu instid0(SALU_CYCLE_1) | instskip(SKIP_2) | instid1(SALU_CYCLE_1)
	s_add_u32 s38, s4, s38
	s_addc_u32 s39, s37, s39
	s_or_b32 s9, s31, 0xb0
	s_ashr_i32 s13, s9, 4
	s_cmp_lt_i32 s9, s30
	s_mul_hi_i32 s9, s8, s5
	s_cselect_b32 s40, s13, s3
	s_mul_i32 s8, s8, s5
	s_ashr_i32 s41, s40, 31
	s_mul_hi_i32 s13, s12, s5
	s_lshl_b64 s[40:41], s[40:41], 2
	s_mul_i32 s12, s12, s5
	s_add_u32 s42, s4, s40
	s_addc_u32 s43, s37, s41
	s_or_b32 s19, s31, 0xc0
	s_delay_alu instid0(SALU_CYCLE_1)
	s_ashr_i32 s21, s19, 4
	s_cmp_lt_i32 s19, s30
	s_mul_hi_i32 s19, s18, s5
	s_cselect_b32 s40, s21, s3
	s_mul_i32 s18, s18, s5
	s_ashr_i32 s41, s40, 31
	s_mul_hi_i32 s21, s20, s5
	s_lshl_b64 s[40:41], s[40:41], 2
	s_mul_i32 s20, s20, s5
	s_add_u32 s44, s4, s40
	s_addc_u32 s45, s37, s41
	s_load_b32 s41, s[28:29], 0x0
	s_or_b32 s40, s31, 0xd0
	s_mul_hi_i32 s23, s15, s5
	s_ashr_i32 s22, s40, 4
	s_cmp_lt_i32 s40, s30
	s_load_b32 s40, s[38:39], 0x0
	s_cselect_b32 s24, s22, s3
	s_mul_i32 s22, s15, s5
	s_ashr_i32 s25, s24, 31
	s_waitcnt lgkmcnt(0)
	s_mul_hi_i32 s29, s48, s5
	s_lshl_b64 s[24:25], s[24:25], 2
	s_mul_i32 s28, s48, s5
	s_add_u32 s24, s4, s24
	s_addc_u32 s25, s37, s25
	s_or_b32 s49, s31, 0xe0
	s_clause 0x2
	s_load_b32 s39, s[42:43], 0x0
	s_load_b32 s38, s[44:45], 0x0
	;; [unrolled: 1-line block ×3, first 2 shown]
	s_ashr_i32 s50, s49, 4
	s_cmp_lt_i32 s49, s30
	s_mul_hi_i32 s25, s46, s5
	s_cselect_b32 s44, s50, s3
	s_mul_i32 s24, s46, s5
	s_ashr_i32 s45, s44, 31
	s_mul_hi_i32 s27, s47, s5
	s_lshl_b64 s[44:45], s[44:45], 2
	s_mul_i32 s26, s47, s5
	s_add_u32 s44, s4, s44
	s_addc_u32 s45, s37, s45
	s_or_b32 s46, s31, 0xf0
	s_mul_hi_i32 s43, s41, s5
	s_ashr_i32 s48, s46, 4
	s_cmp_lt_i32 s46, s30
	s_mul_i32 s42, s41, s5
	s_cselect_b32 s48, s48, s3
	s_mul_hi_i32 s41, s40, s5
	s_ashr_i32 s49, s48, 31
	s_mul_i32 s40, s40, s5
	s_lshl_b64 s[48:49], s[48:49], 2
	s_waitcnt lgkmcnt(0)
	s_mul_hi_i32 s47, s39, s5
	s_add_u32 s48, s4, s48
	s_addc_u32 s49, s37, s49
	s_add_u32 s3, s10, s6
	s_addc_u32 s4, s11, s7
	v_add_co_u32 v195, s3, s3, v6
	s_delay_alu instid0(VALU_DEP_1) | instskip(SKIP_2) | instid1(VALU_DEP_2)
	v_add_co_ci_u32_e64 v196, null, s4, 0, s3
	s_lshl_b64 s[6:7], s[8:9], 1
	s_lshl_b64 s[8:9], s[12:13], 1
	v_add_co_u32 v1, vcc_lo, v195, s6
	s_delay_alu instid0(VALU_DEP_2)
	v_add_co_ci_u32_e32 v2, vcc_lo, s7, v196, vcc_lo
	v_add_co_u32 v3, vcc_lo, v195, s8
	s_lshl_b64 s[10:11], s[16:17], 1
	v_add_co_ci_u32_e32 v4, vcc_lo, s9, v196, vcc_lo
	v_add_co_u32 v5, vcc_lo, v195, s10
	s_lshl_b64 s[12:13], s[18:19], 1
	;; [unrolled: 3-line block ×9, first 2 shown]
	s_mul_i32 s46, s39, s5
	v_add_co_ci_u32_e32 v54, vcc_lo, s27, v196, vcc_lo
	v_add_co_u32 v183, vcc_lo, v195, s28
	s_lshl_b64 s[40:41], s[46:47], 1
	s_mul_hi_i32 s39, s38, s5
	s_mul_i32 s38, s38, s5
	v_add_co_ci_u32_e32 v184, vcc_lo, s29, v196, vcc_lo
	v_add_co_u32 v185, vcc_lo, v195, s40
	s_lshl_b64 s[38:39], s[38:39], 1
	s_clause 0x1
	s_load_b32 s3, s[44:45], 0x0
	s_load_b32 s4, s[48:49], 0x0
	v_add_co_ci_u32_e32 v186, vcc_lo, s41, v196, vcc_lo
	v_add_co_u32 v191, vcc_lo, v195, s38
	v_add_co_ci_u32_e32 v192, vcc_lo, s39, v196, vcc_lo
	s_clause 0x17
	global_load_b128 v[121:124], v[1:2], off
	global_load_b128 v[125:128], v[1:2], off offset:16
	global_load_b128 v[113:116], v[3:4], off
	global_load_b128 v[117:120], v[3:4], off offset:16
	global_load_b128 v[105:108], v[5:6], off
	global_load_b128 v[109:112], v[5:6], off offset:16
	global_load_b128 v[97:100], v[7:8], off
	global_load_b128 v[101:104], v[7:8], off offset:16
	global_load_b128 v[89:92], v[25:26], off
	global_load_b128 v[93:96], v[25:26], off offset:16
	global_load_b128 v[81:84], v[27:28], off
	global_load_b128 v[85:88], v[27:28], off offset:16
	global_load_b128 v[73:76], v[29:30], off
	global_load_b128 v[77:80], v[29:30], off offset:16
	global_load_b128 v[65:68], v[31:32], off
	global_load_b128 v[69:72], v[31:32], off offset:16
	global_load_b128 v[57:60], v[49:50], off
	global_load_b128 v[61:64], v[49:50], off offset:16
	global_load_b128 v[49:52], v[53:54], off
	global_load_b128 v[53:56], v[53:54], off offset:16
	global_load_b128 v[25:28], v[183:184], off
	global_load_b128 v[29:32], v[183:184], off offset:16
	global_load_b128 v[1:4], v[185:186], off
	global_load_b128 v[5:8], v[185:186], off offset:16
	s_mul_hi_i32 s51, s15, s5
	s_mul_i32 s50, s15, s5
	s_delay_alu instid0(SALU_CYCLE_1) | instskip(NEXT) | instid1(SALU_CYCLE_1)
	s_lshl_b64 s[42:43], s[50:51], 1
	v_add_co_u32 v193, vcc_lo, v195, s42
	v_add_co_ci_u32_e32 v194, vcc_lo, s43, v196, vcc_lo
	s_waitcnt lgkmcnt(0)
	s_mul_hi_i32 s7, s3, s5
	s_mul_i32 s6, s3, s5
	s_mul_hi_i32 s9, s4, s5
	s_lshl_b64 s[6:7], s[6:7], 1
	s_mul_i32 s8, s4, s5
	s_delay_alu instid0(SALU_CYCLE_1)
	s_lshl_b64 s[4:5], s[8:9], 1
	s_waitcnt vmcnt(38)
	v_wmma_f32_16x16x16_f16 v[183:190], v[9:16], v[159:166], v[137:144]
	s_waitcnt vmcnt(36)
	v_wmma_f32_16x16x16_f16 v[137:144], v[129:136], v[159:166], v[137:144]
	s_clause 0x1
	global_load_b128 v[9:12], v[191:192], off
	global_load_b128 v[13:16], v[191:192], off offset:16
	ds_load_b128 v[129:132], v197 offset:2048
	ds_load_b128 v[133:136], v197 offset:3072
	;; [unrolled: 1-line block ×4, first 2 shown]
	v_add_co_u32 v191, vcc_lo, v195, s6
	v_add_co_ci_u32_e32 v192, vcc_lo, s7, v196, vcc_lo
	v_add_co_u32 v195, vcc_lo, v195, s4
	v_add_co_ci_u32_e32 v196, vcc_lo, s5, v196, vcc_lo
	s_waitcnt vmcnt(36) lgkmcnt(2)
	v_wmma_f32_16x16x16_f16 v[183:190], v[41:48], v[129:136], v[183:190]
	s_waitcnt vmcnt(34)
	v_wmma_f32_16x16x16_f16 v[137:144], v[33:40], v[129:136], v[137:144]
	s_clause 0x3
	global_load_b128 v[33:36], v[193:194], off
	global_load_b128 v[37:40], v[193:194], off offset:16
	global_load_b128 v[41:44], v[191:192], off
	global_load_b128 v[45:48], v[191:192], off offset:16
	v_and_b32_e32 v129, 0xe0, v0
	v_mbcnt_lo_u32_b32 v191, -1, 0
	s_waitcnt vmcnt(36) lgkmcnt(0)
	v_wmma_f32_16x16x16_f16 v[183:190], v[17:24], v[159:166], v[183:190]
	s_clause 0x1
	global_load_b128 v[17:20], v[195:196], off
	global_load_b128 v[21:24], v[195:196], off offset:16
	s_waitcnt vmcnt(36)
	v_wmma_f32_16x16x16_f16 v[137:144], v[151:158], v[159:166], v[137:144]
	v_add_nc_u32_e32 v192, s31, v129
	ds_load_b128 v[129:132], v197 offset:6144
	ds_load_b128 v[133:136], v197 offset:7168
	v_xor_b32_e32 v151, 16, v191
	s_waitcnt vmcnt(0) lgkmcnt(0)
	s_barrier
	v_or_b32_e32 v152, v192, v146
	buffer_gl0_inv
	v_cmp_gt_i32_e32 vcc_lo, 32, v151
	v_or_b32_e32 v153, 2, v152
	v_or_b32_e32 v154, 4, v152
	;; [unrolled: 1-line block ×5, first 2 shown]
	v_cmp_gt_i32_e64 s3, s30, v153
	v_cmp_gt_i32_e64 s4, s30, v154
	;; [unrolled: 1-line block ×3, first 2 shown]
	v_or_b32_e32 v158, 12, v152
	v_or_b32_e32 v159, 14, v152
	v_cmp_gt_i32_e64 s6, s30, v156
	v_wmma_f32_16x16x16_f16 v[183:190], v[167:174], v[129:136], v[183:190]
	v_wmma_f32_16x16x16_f16 v[137:144], v[175:182], v[129:136], v[137:144]
	v_cndmask_b32_e32 v151, v191, v151, vcc_lo
	v_cmp_gt_i32_e32 vcc_lo, s30, v152
	v_cmp_gt_i32_e64 s7, s30, v157
	v_dual_mul_f32 v135, s36, v184 :: v_dual_mul_f32 v136, s36, v183
	v_dual_mul_f32 v133, s36, v186 :: v_dual_mul_f32 v134, s36, v185
	;; [unrolled: 1-line block ×3, first 2 shown]
	s_delay_alu instid0(VALU_DEP_3) | instskip(NEXT) | instid1(VALU_DEP_4)
	v_cndmask_b32_e32 v136, 0xff7fffff, v136, vcc_lo
	v_cndmask_b32_e64 v135, 0xff7fffff, v135, s3
	v_mul_f32_e32 v132, s36, v187
	v_cndmask_b32_e64 v134, 0xff7fffff, v134, s4
	v_cndmask_b32_e64 v133, 0xff7fffff, v133, s5
	v_or_b32_e32 v160, 16, v152
	v_max3_f32 v135, v136, 0xff7fffff, v135
	v_or_b32_e32 v161, 18, v152
	v_mul_f32_e32 v130, s36, v189
	v_dual_mul_f32 v172, s36, v140 :: v_dual_mul_f32 v129, s36, v190
	v_cndmask_b32_e64 v132, 0xff7fffff, v132, s6
	v_cndmask_b32_e64 v131, 0xff7fffff, v131, s7
	v_max3_f32 v133, v135, v134, v133
	v_cmp_gt_i32_e64 s8, s30, v158
	v_cmp_gt_i32_e64 s9, s30, v159
	v_or_b32_e32 v162, 20, v152
	v_or_b32_e32 v163, 22, v152
	v_mul_f32_e32 v175, s36, v137
	v_cndmask_b32_e64 v130, 0xff7fffff, v130, s8
	v_cndmask_b32_e64 v129, 0xff7fffff, v129, s9
	v_max3_f32 v131, v133, v132, v131
	v_cmp_gt_i32_e64 s10, s30, v160
	v_cmp_gt_i32_e64 s11, s30, v161
	v_or_b32_e32 v164, 24, v152
	v_or_b32_e32 v165, 26, v152
	v_mul_f32_e32 v173, s36, v139
	v_cndmask_b32_e64 v132, 0xff7fffff, v175, s10
	v_cndmask_b32_e64 v133, 0xff7fffff, v174, s11
	v_max3_f32 v129, v131, v130, v129
	v_cmp_gt_i32_e64 s12, s30, v162
	v_cmp_gt_i32_e64 s13, s30, v163
	v_or_b32_e32 v166, 28, v152
	v_or_b32_e32 v167, 30, v152
	v_dual_mul_f32 v170, s36, v142 :: v_dual_mul_f32 v171, s36, v141
	v_cndmask_b32_e64 v130, 0xff7fffff, v173, s12
	v_cndmask_b32_e64 v131, 0xff7fffff, v172, s13
	v_max3_f32 v129, v129, v132, v133
	v_cmp_gt_i32_e64 s15, s30, v164
	v_cmp_gt_i32_e64 s16, s30, v165
	v_dual_mul_f32 v168, s36, v144 :: v_dual_mul_f32 v169, s36, v143
	s_delay_alu instid0(VALU_DEP_4) | instskip(NEXT) | instid1(VALU_DEP_4)
	v_max3_f32 v129, v129, v130, v131
	v_cndmask_b32_e64 v132, 0xff7fffff, v171, s15
	s_delay_alu instid0(VALU_DEP_4) | instskip(SKIP_2) | instid1(VALU_DEP_3)
	v_cndmask_b32_e64 v133, 0xff7fffff, v170, s16
	v_cmp_gt_i32_e64 s17, s30, v166
	v_cmp_gt_i32_e64 s18, s30, v167
	v_max3_f32 v129, v129, v132, v133
	s_delay_alu instid0(VALU_DEP_3) | instskip(NEXT) | instid1(VALU_DEP_3)
	v_cndmask_b32_e64 v130, 0xff7fffff, v169, s17
	v_cndmask_b32_e64 v131, 0xff7fffff, v168, s18
	v_lshlrev_b32_e32 v132, 2, v151
	s_delay_alu instid0(VALU_DEP_2) | instskip(SKIP_3) | instid1(VALU_DEP_1)
	v_max3_f32 v129, v129, v130, v131
	ds_bpermute_b32 v130, v132, v129
	s_waitcnt lgkmcnt(0)
	v_max_f32_e32 v130, v130, v130
	v_max_f32_e32 v129, v129, v130
	s_delay_alu instid0(VALU_DEP_1) | instskip(SKIP_4) | instid1(VALU_DEP_4)
	v_fma_f32 v134, s36, v186, -v129
	v_fma_f32 v135, s36, v187, -v129
	;; [unrolled: 1-line block ×5, first 2 shown]
	v_dual_mul_f32 v134, 0x3fb8aa3b, v134 :: v_dual_mul_f32 v135, 0x3fb8aa3b, v135
	s_delay_alu instid0(VALU_DEP_4) | instskip(SKIP_1) | instid1(VALU_DEP_3)
	v_mul_f32_e32 v130, 0x3fb8aa3b, v130
	v_fma_f32 v136, s36, v189, -v129
	v_exp_f32_e32 v134, v134
	s_delay_alu instid0(VALU_DEP_3) | instskip(NEXT) | instid1(VALU_DEP_2)
	v_exp_f32_e32 v135, v135
	v_exp_f32_e32 v130, v130
	s_delay_alu instid0(VALU_DEP_1) | instskip(NEXT) | instid1(VALU_DEP_1)
	v_mul_f32_e32 v136, 0x3fb8aa3b, v136
	v_exp_f32_e32 v136, v136
	v_cndmask_b32_e64 v153, 0, v134, s5
	v_fma_f32 v134, s36, v137, -v129
	v_mul_f32_e32 v131, 0x3fb8aa3b, v131
	s_delay_alu instid0(TRANS32_DEP_3) | instskip(NEXT) | instid1(TRANS32_DEP_2)
	v_cndmask_b32_e64 v155, 0, v135, s6
	v_dual_mul_f32 v133, 0x3fb8aa3b, v133 :: v_dual_cndmask_b32 v152, 0, v130
	s_delay_alu instid0(VALU_DEP_4) | instskip(NEXT) | instid1(VALU_DEP_4)
	v_mul_f32_e32 v134, 0x3fb8aa3b, v134
	v_exp_f32_e32 v131, v131
	v_fma_f32 v135, s36, v138, -v129
	s_delay_alu instid0(VALU_DEP_3)
	v_exp_f32_e32 v133, v133
	v_fma_f32 v130, s36, v188, -v129
	v_cndmask_b32_e64 v156, 0, v136, s8
	v_fma_f32 v136, s36, v140, -v129
	v_mul_f32_e32 v135, 0x3fb8aa3b, v135
	v_exp_f32_e32 v134, v134
	v_mul_f32_e32 v130, 0x3fb8aa3b, v130
	s_delay_alu instid0(TRANS32_DEP_3) | instskip(SKIP_1) | instid1(TRANS32_DEP_2)
	v_cndmask_b32_e64 v151, 0, v131, s3
	v_add_f32_e32 v131, 0, v152
	v_cndmask_b32_e64 v154, 0, v133, s4
	v_exp_f32_e32 v135, v135
	v_fma_f32 v133, s36, v190, -v129
	v_exp_f32_e32 v130, v130
	v_dual_add_f32 v131, v131, v151 :: v_dual_mul_f32 v136, 0x3fb8aa3b, v136
	v_cmp_gt_u32_e64 s3, 16, v150
	s_delay_alu instid0(VALU_DEP_3) | instskip(NEXT) | instid1(VALU_DEP_3)
	v_mul_f32_e32 v133, 0x3fb8aa3b, v133
	v_add_f32_e32 v131, v131, v154
	s_delay_alu instid0(VALU_DEP_4) | instskip(NEXT) | instid1(TRANS32_DEP_3)
	v_exp_f32_e32 v136, v136
	v_cndmask_b32_e64 v140, 0, v135, s11
	s_delay_alu instid0(VALU_DEP_3) | instskip(NEXT) | instid1(TRANS32_DEP_3)
	v_exp_f32_e32 v133, v133
	v_cndmask_b32_e64 v138, 0, v130, s7
	v_add_f32_e32 v131, v131, v153
	v_fma_f32 v135, s36, v143, -v129
	s_delay_alu instid0(VALU_DEP_2)
	v_add_f32_e32 v130, v131, v155
	v_fma_f32 v131, s36, v139, -v129
	s_waitcnt_depctr 0xfff
	v_cndmask_b32_e64 v139, 0, v133, s9
	v_fma_f32 v133, s36, v141, -v129
	v_add_f32_e32 v130, v130, v138
	v_cndmask_b32_e64 v141, 0, v134, s10
	v_fma_f32 v134, s36, v142, -v129
	v_cndmask_b32_e64 v142, 0, v136, s13
	s_delay_alu instid0(VALU_DEP_4) | instskip(NEXT) | instid1(VALU_DEP_3)
	v_dual_mul_f32 v131, 0x3fb8aa3b, v131 :: v_dual_add_f32 v130, v130, v156
	v_mul_f32_e32 v134, 0x3fb8aa3b, v134
	s_delay_alu instid0(VALU_DEP_2) | instskip(NEXT) | instid1(VALU_DEP_2)
	v_exp_f32_e32 v131, v131
	v_add_f32_e32 v130, v130, v139
	s_delay_alu instid0(VALU_DEP_2) | instskip(NEXT) | instid1(VALU_DEP_1)
	v_exp_f32_e32 v134, v134
	v_add_f32_e32 v130, v130, v141
	s_waitcnt_depctr 0xfff
	v_cndmask_b32_e64 v143, 0, v131, s12
	v_dual_add_f32 v130, v130, v140 :: v_dual_mul_f32 v133, 0x3fb8aa3b, v133
	s_delay_alu instid0(VALU_DEP_1) | instskip(NEXT) | instid1(VALU_DEP_2)
	v_add_f32_e32 v130, v130, v143
	v_exp_f32_e32 v133, v133
	s_delay_alu instid0(VALU_DEP_1)
	v_add_f32_e32 v130, v130, v142
	s_waitcnt_depctr 0xfff
	v_cndmask_b32_e64 v157, 0, v133, s15
	v_mul_f32_e32 v131, 0x3fb8aa3b, v135
	v_fma_f32 v135, s36, v144, -v129
	v_cndmask_b32_e64 v144, 0, v134, s16
	s_delay_alu instid0(VALU_DEP_4) | instskip(NEXT) | instid1(VALU_DEP_4)
	v_add_f32_e32 v130, v130, v157
	v_exp_f32_e32 v131, v131
	s_delay_alu instid0(VALU_DEP_1) | instskip(NEXT) | instid1(VALU_DEP_1)
	v_dual_mul_f32 v133, 0x3fb8aa3b, v135 :: v_dual_add_f32 v130, v130, v144
	v_exp_f32_e32 v133, v133
	s_waitcnt_depctr 0xfff
	v_cndmask_b32_e64 v159, 0, v131, s17
	s_delay_alu instid0(VALU_DEP_1) | instskip(SKIP_1) | instid1(VALU_DEP_1)
	v_add_f32_e32 v130, v130, v159
	v_cndmask_b32_e64 v158, 0, v133, s18
	v_add_f32_e32 v130, v130, v158
	ds_bpermute_b32 v131, v132, v130
	s_and_saveexec_b32 s4, s3
	s_cbranch_execz .LBB10_12
; %bb.11:
	v_mul_u32_u24_e32 v132, 0x44, v149
	s_delay_alu instid0(VALU_DEP_1) | instskip(SKIP_1) | instid1(VALU_DEP_1)
	v_lshl_add_u32 v132, v148, 2, v132
	s_waitcnt lgkmcnt(0)
	v_dual_add_f32 v130, v130, v131 :: v_dual_add_nc_u32 v131, 0x4000, v132
	ds_store_2addr_b32 v131, v129, v130 offset1:136
.LBB10_12:
	s_or_b32 exec_lo, exec_lo, s4
	v_lshlrev_b32_e32 v129, 2, v148
	s_load_b32 s36, s[0:1], 0x94
	s_waitcnt lgkmcnt(0)
	s_barrier
	buffer_gl0_inv
	v_add_nc_u32_e32 v135, 0x4000, v129
	v_cmp_eq_u32_e32 vcc_lo, 1, v149
	v_cmp_eq_u32_e64 s4, 2, v149
	v_cmp_eq_u32_e64 s5, 3, v149
	;; [unrolled: 1-line block ×3, first 2 shown]
	ds_load_2addr_b32 v[129:130], v135 offset1:17
	ds_load_2addr_b32 v[131:132], v135 offset0:34 offset1:51
	ds_load_2addr_b32 v[133:134], v135 offset0:68 offset1:85
	;; [unrolled: 1-line block ×3, first 2 shown]
	v_cmp_eq_u32_e64 s7, 5, v149
	v_cmp_eq_u32_e64 s8, 7, v149
	s_waitcnt lgkmcnt(3)
	v_max3_f32 v136, v129, 0xff7fffff, v130
	s_waitcnt lgkmcnt(2)
	s_delay_alu instid0(VALU_DEP_1) | instskip(SKIP_1) | instid1(VALU_DEP_1)
	v_max3_f32 v136, v136, v131, v132
	s_waitcnt lgkmcnt(1)
	v_max3_f32 v136, v136, v133, v134
	s_waitcnt lgkmcnt(0)
	s_delay_alu instid0(VALU_DEP_1) | instskip(NEXT) | instid1(VALU_DEP_1)
	v_max3_f32 v136, v136, v160, v161
	v_sub_f32_e32 v164, v132, v136
	ds_load_2addr_b32 v[162:163], v135 offset0:136 offset1:153
	v_sub_f32_e32 v129, v129, v136
	v_sub_f32_e32 v137, v130, v136
	;; [unrolled: 1-line block ×3, first 2 shown]
	v_mul_f32_e32 v164, 0x3fb8aa3b, v164
	s_delay_alu instid0(VALU_DEP_4) | instskip(NEXT) | instid1(VALU_DEP_4)
	v_mul_f32_e32 v150, 0x3fb8aa3b, v129
	v_mul_f32_e32 v137, 0x3fb8aa3b, v137
	ds_load_2addr_b32 v[129:130], v135 offset0:170 offset1:187
	v_mul_f32_e32 v167, 0x3fb8aa3b, v133
	v_exp_f32_e32 v164, v164
	v_exp_f32_e32 v150, v150
	;; [unrolled: 1-line block ×3, first 2 shown]
	v_sub_f32_e32 v131, v131, v136
	s_delay_alu instid0(VALU_DEP_1)
	v_mul_f32_e32 v165, 0x3fb8aa3b, v131
	ds_load_2addr_b32 v[131:132], v135 offset0:204 offset1:221
	s_waitcnt lgkmcnt(2)
	v_fma_f32 v137, v150, v162, 0
	v_sub_f32_e32 v162, v134, v136
	v_exp_f32_e32 v165, v165
	ds_load_2addr_b32 v[133:134], v135 offset0:238 offset1:255
	v_sub_f32_e32 v135, v160, v136
	v_dual_fmac_f32 v137, v166, v163 :: v_dual_mul_f32 v160, 0x3fb8aa3b, v162
	v_exp_f32_e32 v162, v167
	s_waitcnt lgkmcnt(0)
	s_delay_alu instid0(VALU_DEP_2)
	v_mul_f32_e32 v135, 0x3fb8aa3b, v135
	s_barrier
	v_exp_f32_e32 v160, v160
	v_fmac_f32_e32 v137, v165, v129
	v_sub_f32_e32 v129, v161, v136
	v_exp_f32_e32 v161, v135
	buffer_gl0_inv
	v_fmac_f32_e32 v137, v164, v130
	v_dual_mul_f32 v129, 0x3fb8aa3b, v129 :: v_dual_cndmask_b32 v130, v150, v166
	s_delay_alu instid0(VALU_DEP_2) | instskip(NEXT) | instid1(VALU_DEP_2)
	v_fmac_f32_e32 v137, v162, v131
	v_exp_f32_e32 v163, v129
	s_delay_alu instid0(VALU_DEP_1) | instskip(NEXT) | instid1(VALU_DEP_1)
	v_fmac_f32_e32 v137, v160, v132
	v_fmac_f32_e32 v137, v161, v133
	v_lshlrev_b32_e32 v133, 6, v148
	s_waitcnt_depctr 0xfff
	v_fmac_f32_e32 v137, v163, v134
	v_lshl_or_b32 v135, v149, 11, v133
	s_delay_alu instid0(VALU_DEP_2) | instskip(NEXT) | instid1(VALU_DEP_1)
	v_add_f32_e32 v134, 0x358637bd, v137
	v_div_scale_f32 v167, null, v134, v134, 1.0
	v_div_scale_f32 v150, vcc_lo, 1.0, v134, 1.0
	s_delay_alu instid0(VALU_DEP_2) | instskip(SKIP_2) | instid1(VALU_DEP_1)
	v_rcp_f32_e32 v168, v167
	s_waitcnt_depctr 0xfff
	v_fma_f32 v129, -v167, v168, 1.0
	v_fmac_f32_e32 v168, v129, v168
	v_cndmask_b32_e64 v129, v130, v165, s4
	v_cmp_eq_u32_e64 s4, 6, v149
	s_delay_alu instid0(VALU_DEP_3) | instskip(NEXT) | instid1(VALU_DEP_3)
	v_mul_f32_e32 v165, v150, v168
	v_cndmask_b32_e64 v130, v129, v164, s5
	v_lshlrev_b32_e32 v129, 2, v146
	s_delay_alu instid0(VALU_DEP_3) | instskip(NEXT) | instid1(VALU_DEP_3)
	v_fma_f32 v131, -v167, v165, v150
	v_cndmask_b32_e64 v162, v130, v162, s6
	s_delay_alu instid0(VALU_DEP_3)
	v_or_b32_e32 v130, 1, v129
	v_or_b32_e32 v132, 2, v129
	v_cmp_eq_u32_e64 s5, 1, v129
	v_fmac_f32_e32 v165, v131, v168
	v_cndmask_b32_e64 v149, v162, v160, s7
	v_or_b32_e32 v131, 3, v129
	v_cmp_eq_u32_e64 s10, 1, v130
	v_cmp_eq_u32_e64 s11, 1, v132
	v_fma_f32 v150, -v167, v165, v150
	v_cndmask_b32_e64 v149, v149, v161, s4
	v_cmp_eq_u32_e64 s12, 1, v131
	v_cmp_eq_u32_e64 s6, 2, v129
	;; [unrolled: 1-line block ×3, first 2 shown]
	v_div_fmas_f32 v150, v150, v168, v165
	v_cndmask_b32_e64 v149, v149, v163, s8
	v_cmp_eq_u32_e64 s16, 2, v132
	v_cmp_eq_u32_e64 s17, 2, v131
	v_cmp_eq_u32_e32 vcc_lo, 3, v129
	v_div_fixup_f32 v150, v150, v134, 1.0
	v_lshl_or_b32 v134, v146, 4, v135
	v_cmp_eq_u32_e64 s15, 3, v130
	v_cmp_eq_u32_e64 s19, 3, v131
	;; [unrolled: 1-line block ×3, first 2 shown]
	v_mul_f32_e32 v149, v149, v150
	v_cmp_eq_u32_e64 s18, 3, v132
	v_cmp_eq_u32_e64 s20, 4, v130
	v_cmp_eq_u32_e64 s23, 4, v131
	v_cmp_eq_u32_e64 s7, 5, v129
	v_fma_mixlo_f16 v160, v149, v152, 0
	v_fma_mixlo_f16 v161, v149, v154, 0
	;; [unrolled: 1-line block ×8, first 2 shown]
	v_fma_mixhi_f16 v160, v149, v151, 0
	v_fma_mixhi_f16 v161, v149, v153, 0
	;; [unrolled: 1-line block ×8, first 2 shown]
	ds_store_b128 v134, v[160:163]
	ds_store_b128 v134, v[154:157] offset:1024
	s_waitcnt lgkmcnt(0)
	s_barrier
	buffer_gl0_inv
	ds_load_b128 v[138:141], v135
	ds_load_b128 v[149:152], v135 offset:16
	ds_load_b128 v[153:156], v135 offset:1024
	;; [unrolled: 1-line block ×3, first 2 shown]
	v_cmp_eq_u32_e64 s21, 5, v130
	v_cmp_eq_u32_e64 s22, 4, v132
	;; [unrolled: 1-line block ×12, first 2 shown]
	s_waitcnt lgkmcnt(3)
	v_lshrrev_b32_e32 v142, 16, v138
	s_waitcnt lgkmcnt(2)
	v_lshrrev_b32_e32 v162, 16, v149
	;; [unrolled: 2-line block ×4, first 2 shown]
	v_lshrrev_b32_e32 v143, 16, v139
	v_cndmask_b32_e64 v174, v138, v142, s5
	v_cndmask_b32_e64 v175, v149, v162, s5
	;; [unrolled: 1-line block ×7, first 2 shown]
	v_lshrrev_b32_e32 v163, 16, v150
	v_cndmask_b32_e64 v179, v149, v162, s11
	v_cndmask_b32_e64 v149, v153, v166, s5
	;; [unrolled: 1-line block ×16, first 2 shown]
	v_lshrrev_b32_e32 v167, 16, v154
	v_lshrrev_b32_e32 v171, 16, v158
	v_cndmask_b32_e64 v177, v179, v150, s16
	v_cndmask_b32_e64 v142, v149, v154, s6
	v_cndmask_b32_e64 v149, v162, v158, s6
	v_cndmask_b32_e64 v150, v180, v154, s13
	v_cndmask_b32_e64 v162, v182, v154, s16
	v_cndmask_b32_e64 v153, v153, v154, s17
	v_cndmask_b32_e64 v154, v157, v158, s17
	v_cndmask_b32_e32 v157, v166, v143, vcc_lo
	v_cndmask_b32_e32 v166, v170, v163, vcc_lo
	v_cndmask_b32_e64 v170, v174, v143, s15
	v_cndmask_b32_e64 v174, v175, v163, s15
	;; [unrolled: 1-line block ×4, first 2 shown]
	v_lshrrev_b32_e32 v144, 16, v140
	v_lshrrev_b32_e32 v164, 16, v151
	v_cndmask_b32_e64 v175, v176, v143, s18
	v_cndmask_b32_e64 v176, v177, v163, s18
	v_cndmask_b32_e32 v142, v142, v167, vcc_lo
	v_cndmask_b32_e32 v143, v149, v171, vcc_lo
	v_cndmask_b32_e64 v149, v150, v167, s15
	v_cndmask_b32_e64 v150, v157, v140, s4
	;; [unrolled: 1-line block ×7, first 2 shown]
	v_lshrrev_b32_e32 v168, 16, v155
	v_cndmask_b32_e64 v170, v175, v140, s22
	v_cndmask_b32_e64 v174, v176, v151, s22
	;; [unrolled: 1-line block ×11, first 2 shown]
	v_lshrrev_b32_e32 v161, 16, v141
	v_lshrrev_b32_e32 v165, 16, v152
	v_cndmask_b32_e64 v163, v170, v144, s24
	v_cndmask_b32_e64 v166, v174, v164, s24
	;; [unrolled: 1-line block ×9, first 2 shown]
	v_lshrrev_b32_e32 v169, 16, v156
	v_cndmask_b32_e64 v140, v140, v168, s7
	v_cndmask_b32_e64 v157, v163, v141, s27
	;; [unrolled: 1-line block ×14, first 2 shown]
	v_perm_b32 v141, v139, v138, 0x5040100
	v_perm_b32 v139, v151, v149, 0x5040100
	v_cndmask_b32_e64 v138, v183, v158, s16
	v_cndmask_b32_e64 v149, v181, v158, s13
	v_cndmask_b32_e64 v157, v140, v169, s9
	v_perm_b32 v140, v152, v150, 0x5040100
	v_cndmask_b32_e64 v150, v162, v167, s18
	v_cndmask_b32_e64 v151, v153, v167, s19
	;; [unrolled: 1-line block ×5, first 2 shown]
	v_lshrrev_b32_e32 v172, 16, v159
	v_cndmask_b32_e64 v150, v150, v155, s22
	v_cndmask_b32_e64 v151, v151, v155, s23
	;; [unrolled: 1-line block ×11, first 2 shown]
	v_lshrrev_b32_e32 v173, 16, v160
	v_cndmask_b32_e64 v142, v142, v160, s8
	v_cndmask_b32_e64 v150, v150, v156, s27
	;; [unrolled: 1-line block ×12, first 2 shown]
	v_perm_b32 v138, v144, v143, 0x5040100
	v_perm_b32 v152, v152, v151, 0x5040100
	;; [unrolled: 1-line block ×5, first 2 shown]
	s_mul_i32 s8, s35, 9
	s_mov_b32 s4, exec_lo
	ds_store_b128 v134, v[138:141]
	ds_store_b128 v134, v[149:152] offset:1024
	v_cmpx_gt_u32_e32 9, v0
	s_cbranch_execz .LBB10_14
; %bb.13:
	s_mul_i32 s5, s8, s34
	s_load_b128 s[16:19], s[0:1], 0x58
	v_add3_u32 v140, s5, s33, v148
	s_delay_alu instid0(VALU_DEP_1) | instskip(NEXT) | instid1(VALU_DEP_1)
	v_mad_u64_u32 v[138:139], null, v140, s36, s[14:15]
	v_ashrrev_i32_e32 v139, 31, v138
	s_delay_alu instid0(VALU_DEP_1) | instskip(SKIP_1) | instid1(VALU_DEP_1)
	v_lshlrev_b64 v[138:139], 2, v[138:139]
	s_waitcnt lgkmcnt(0)
	v_add_co_u32 v140, vcc_lo, s18, v138
	s_delay_alu instid0(VALU_DEP_2)
	v_add_co_ci_u32_e32 v141, vcc_lo, s19, v139, vcc_lo
	v_add_co_u32 v138, vcc_lo, s16, v138
	v_add_co_ci_u32_e32 v139, vcc_lo, s17, v139, vcc_lo
	global_store_b32 v[140:141], v136, off
	global_store_b32 v[138:139], v137, off
.LBB10_14:
	s_or_b32 exec_lo, exec_lo, s4
	s_waitcnt lgkmcnt(0)
	s_waitcnt_vscnt null, 0x0
	s_barrier
	buffer_gl0_inv
	ds_load_b128 v[148:151], v133
	ds_load_b128 v[152:155], v133 offset:16
	ds_load_b128 v[160:163], v133 offset:1040
	;; [unrolled: 1-line block ×5, first 2 shown]
	v_cmp_eq_u32_e32 vcc_lo, 1, v132
	v_mov_b32_e32 v136, 0
	ds_load_b128 v[176:179], v133 offset:3088
	ds_load_b128 v[172:175], v133 offset:3072
	;; [unrolled: 1-line block ×4, first 2 shown]
	v_cmp_eq_u32_e64 s4, 1, v129
	v_cmp_eq_u32_e64 s5, 1, v131
	;; [unrolled: 1-line block ×3, first 2 shown]
	v_mov_b32_e32 v137, v136
	v_mov_b32_e32 v138, v136
	;; [unrolled: 1-line block ×7, first 2 shown]
	v_cmp_eq_u32_e64 s7, 2, v129
	s_waitcnt lgkmcnt(8)
	s_delay_alu instid0(VALU_DEP_2)
	v_wmma_f32_16x16x16_f16 v[136:143], v[121:128], v[148:155], v[136:143]
	ds_load_b128 v[125:128], v133 offset:5136
	ds_load_b128 v[121:124], v133 offset:5120
	s_waitcnt lgkmcnt(8)
	v_wmma_f32_16x16x16_f16 v[136:143], v[113:120], v[156:163], v[136:143]
	ds_load_b128 v[117:120], v133 offset:6160
	ds_load_b128 v[113:116], v133 offset:6144
	s_waitcnt lgkmcnt(8)
	;; [unrolled: 4-line block ×11, first 2 shown]
	s_barrier
	buffer_gl0_inv
	v_wmma_f32_16x16x16_f16 v[136:143], v[1:8], v[73:80], v[136:143]
	s_delay_alu instid0(VALU_DEP_1) | instskip(NEXT) | instid1(VALU_DEP_1)
	v_wmma_f32_16x16x16_f16 v[136:143], v[9:16], v[65:72], v[136:143]
	v_wmma_f32_16x16x16_f16 v[136:143], v[33:40], v[57:64], v[136:143]
	s_delay_alu instid0(VALU_DEP_1) | instskip(NEXT) | instid1(VALU_DEP_1)
	v_wmma_f32_16x16x16_f16 v[136:143], v[41:48], v[49:56], v[136:143]
	v_wmma_f32_16x16x16_f16 v[136:143], v[17:24], v[25:32], v[136:143]
	s_delay_alu instid0(VALU_DEP_1) | instskip(NEXT) | instid1(VALU_DEP_2)
	v_cvt_f16_f32_e64 v1, v136
	v_cvt_f16_f32_e64 v2, v137
	s_delay_alu instid0(VALU_DEP_3) | instskip(NEXT) | instid1(VALU_DEP_4)
	v_cvt_f16_f32_e64 v3, v138
	v_cvt_f16_f32_e64 v4, v139
	v_cvt_f16_f32_e64 v5, v140
	v_cvt_f16_f32_e64 v6, v141
	v_cvt_f16_f32_e64 v7, v142
	v_cvt_f16_f32_e64 v8, v143
	v_pack_b32_f16 v1, v1, v2
	v_pack_b32_f16 v2, v3, v4
	;; [unrolled: 1-line block ×3, first 2 shown]
	s_delay_alu instid0(VALU_DEP_4)
	v_pack_b32_f16 v4, v7, v8
	ds_store_b128 v134, v[1:4]
	s_waitcnt lgkmcnt(0)
	s_barrier
	buffer_gl0_inv
	ds_load_b128 v[1:4], v135
	ds_load_b128 v[5:8], v135 offset:16
	s_waitcnt lgkmcnt(1)
	v_lshrrev_b32_e32 v9, 16, v1
	s_waitcnt lgkmcnt(0)
	v_lshrrev_b32_e32 v13, 16, v5
	v_lshrrev_b32_e32 v10, 16, v2
	;; [unrolled: 1-line block ×4, first 2 shown]
	v_cndmask_b32_e64 v17, v1, v9, s4
	v_cndmask_b32_e64 v18, v5, v13, s4
	;; [unrolled: 1-line block ×3, first 2 shown]
	v_cmp_eq_u32_e64 s4, 2, v130
	v_cndmask_b32_e64 v20, v5, v13, s6
	v_cndmask_b32_e32 v21, v1, v9, vcc_lo
	v_cndmask_b32_e32 v22, v5, v13, vcc_lo
	v_cndmask_b32_e64 v1, v1, v9, s5
	v_cndmask_b32_e64 v5, v5, v13, s5
	v_cmp_eq_u32_e32 vcc_lo, 2, v132
	v_cmp_eq_u32_e64 s5, 2, v131
	v_cndmask_b32_e64 v9, v17, v2, s7
	v_cndmask_b32_e64 v13, v18, v6, s7
	;; [unrolled: 1-line block ×4, first 2 shown]
	v_cndmask_b32_e32 v19, v21, v2, vcc_lo
	v_cmp_eq_u32_e64 s4, 3, v132
	v_cndmask_b32_e32 v20, v22, v6, vcc_lo
	v_cndmask_b32_e64 v1, v1, v2, s5
	v_cmp_eq_u32_e32 vcc_lo, 3, v131
	v_cmp_eq_u32_e64 s6, 3, v129
	v_cndmask_b32_e64 v2, v5, v6, s5
	v_cmp_eq_u32_e64 s5, 3, v130
	v_cmp_eq_u32_e64 s7, 4, v129
	v_cndmask_b32_e32 v1, v1, v10, vcc_lo
	v_cndmask_b32_e64 v5, v9, v10, s6
	v_cndmask_b32_e64 v6, v13, v14, s6
	;; [unrolled: 1-line block ×3, first 2 shown]
	v_cmp_eq_u32_e64 s6, 4, v130
	v_cndmask_b32_e64 v13, v18, v14, s5
	v_cndmask_b32_e64 v17, v19, v10, s4
	;; [unrolled: 1-line block ×3, first 2 shown]
	v_cndmask_b32_e32 v2, v2, v14, vcc_lo
	v_cmp_eq_u32_e32 vcc_lo, 4, v132
	v_cmp_eq_u32_e64 s5, 4, v131
	v_lshrrev_b32_e32 v15, 16, v7
	v_cndmask_b32_e64 v5, v5, v3, s7
	v_cndmask_b32_e64 v6, v6, v7, s7
	v_cndmask_b32_e32 v14, v18, v7, vcc_lo
	v_cndmask_b32_e64 v9, v9, v3, s6
	v_cndmask_b32_e64 v10, v13, v7, s6
	v_cndmask_b32_e32 v13, v17, v3, vcc_lo
	v_cmp_eq_u32_e64 s4, 5, v132
	v_cndmask_b32_e64 v1, v1, v3, s5
	v_cmp_eq_u32_e32 vcc_lo, 5, v131
	v_cmp_eq_u32_e64 s6, 5, v129
	v_cndmask_b32_e64 v2, v2, v7, s5
	v_cmp_eq_u32_e64 s5, 5, v130
	v_cmp_eq_u32_e64 s7, 6, v129
	v_lshrrev_b32_e32 v12, 16, v4
	v_cndmask_b32_e64 v3, v5, v11, s6
	v_cndmask_b32_e64 v5, v6, v15, s6
	;; [unrolled: 1-line block ×3, first 2 shown]
	v_cmp_eq_u32_e64 s6, 6, v130
	v_cndmask_b32_e64 v7, v10, v15, s5
	v_cndmask_b32_e64 v9, v13, v11, s4
	;; [unrolled: 1-line block ×3, first 2 shown]
	v_cndmask_b32_e32 v1, v1, v11, vcc_lo
	v_cndmask_b32_e32 v2, v2, v15, vcc_lo
	v_cmp_eq_u32_e32 vcc_lo, 6, v132
	v_cmp_eq_u32_e64 s4, 6, v131
	v_lshrrev_b32_e32 v16, 16, v8
	v_cndmask_b32_e64 v3, v3, v4, s7
	v_cndmask_b32_e64 v5, v5, v8, s7
	v_cndmask_b32_e32 v9, v9, v4, vcc_lo
	v_cndmask_b32_e64 v6, v6, v4, s6
	v_cndmask_b32_e64 v7, v7, v8, s6
	v_cmp_eq_u32_e64 s5, 7, v132
	v_cndmask_b32_e32 v10, v10, v8, vcc_lo
	v_cndmask_b32_e64 v1, v1, v4, s4
	v_cmp_eq_u32_e32 vcc_lo, 7, v131
	v_cndmask_b32_e64 v2, v2, v8, s4
	v_cmp_eq_u32_e64 s4, 7, v129
	v_cmp_eq_u32_e64 s6, 7, v130
	v_cndmask_b32_e32 v1, v1, v12, vcc_lo
	s_delay_alu instid0(VALU_DEP_4) | instskip(NEXT) | instid1(VALU_DEP_4)
	v_cndmask_b32_e32 v2, v2, v16, vcc_lo
	v_cndmask_b32_e64 v8, v3, v12, s4
	s_delay_alu instid0(VALU_DEP_4)
	v_cndmask_b32_e64 v6, v6, v12, s6
	v_cndmask_b32_e64 v3, v9, v12, s5
	;; [unrolled: 1-line block ×5, first 2 shown]
	v_cmp_gt_u32_e32 vcc_lo, 32, v0
	v_perm_b32 v4, v2, v1, 0x5040100
	v_perm_b32 v3, v9, v3, 0x5040100
	v_perm_b32 v2, v7, v6, 0x5040100
	v_perm_b32 v1, v5, v8, 0x5040100
	s_and_b32 s2, vcc_lo, s2
	ds_store_b128 v134, v[1:4]
	s_waitcnt lgkmcnt(0)
	s_barrier
	buffer_gl0_inv
	s_and_saveexec_b32 s4, s2
	s_cbranch_execz .LBB10_2
; %bb.15:
	s_load_b64 s[4:5], s[0:1], 0x68
	v_lshlrev_b32_e32 v0, 10, v0
	v_lshlrev_b32_e32 v1, 4, v147
	s_lshl_b32 s0, s36, 6
	v_add_nc_u32_e32 v2, s33, v146
	s_mul_i32 s1, s0, s34
	s_delay_alu instid0(SALU_CYCLE_1) | instskip(SKIP_1) | instid1(VALU_DEP_2)
	s_mul_i32 s6, s1, s8
	v_and_or_b32 v0, 0x3800, v0, v1
	v_mul_lo_u32 v1, v2, s0
	s_ashr_i32 s7, s6, 31
	v_add_nc_u32_e32 v3, 2, v2
	s_lshl_b64 s[6:7], s[6:7], 1
	v_add_nc_u32_e32 v4, 4, v2
	v_add_nc_u32_e32 v5, 6, v2
	v_lshl_or_b32 v15, v146, 6, v0
	v_mul_lo_u32 v3, v3, s0
	v_ashrrev_i32_e32 v2, 31, v1
	v_mul_lo_u32 v19, v4, s0
	v_mul_lo_u32 v21, v5, s0
	s_waitcnt lgkmcnt(0)
	s_add_u32 s1, s4, s6
	s_addc_u32 s2, s5, s7
	s_lshl_b32 s4, s14, 6
	v_lshlrev_b64 v[5:6], 1, v[1:2]
	s_ashr_i32 s5, s4, 31
	v_ashrrev_i32_e32 v4, 31, v3
	s_lshl_b64 s[4:5], s[4:5], 1
	v_ashrrev_i32_e32 v20, 31, v19
	s_add_u32 s1, s1, s4
	s_addc_u32 s2, s2, s5
	v_add_co_u32 v1, s1, s1, v145
	s_delay_alu instid0(VALU_DEP_1) | instskip(SKIP_1) | instid1(VALU_DEP_3)
	v_add_co_ci_u32_e64 v2, null, s2, 0, s1
	v_lshlrev_b64 v[25:26], 1, v[3:4]
	v_add_co_u32 v23, vcc_lo, v1, v5
	s_delay_alu instid0(VALU_DEP_3)
	v_add_co_ci_u32_e32 v24, vcc_lo, v2, v6, vcc_lo
	ds_load_b128 v[3:6], v15
	ds_load_b128 v[7:10], v15 offset:128
	ds_load_b128 v[11:14], v15 offset:256
	;; [unrolled: 1-line block ×3, first 2 shown]
	v_ashrrev_i32_e32 v22, 31, v21
	v_lshlrev_b64 v[19:20], 1, v[19:20]
	v_add_co_u32 v25, vcc_lo, v1, v25
	v_add_co_ci_u32_e32 v26, vcc_lo, v2, v26, vcc_lo
	s_delay_alu instid0(VALU_DEP_4) | instskip(NEXT) | instid1(VALU_DEP_4)
	v_lshlrev_b64 v[21:22], 1, v[21:22]
	v_add_co_u32 v19, vcc_lo, v1, v19
	v_add_co_ci_u32_e32 v20, vcc_lo, v2, v20, vcc_lo
	s_delay_alu instid0(VALU_DEP_3) | instskip(NEXT) | instid1(VALU_DEP_4)
	v_add_co_u32 v21, vcc_lo, v1, v21
	v_add_co_ci_u32_e32 v22, vcc_lo, v2, v22, vcc_lo
	s_waitcnt lgkmcnt(3)
	global_store_b128 v[23:24], v[3:6], off
	s_waitcnt lgkmcnt(2)
	global_store_b128 v[25:26], v[7:10], off
	;; [unrolled: 2-line block ×4, first 2 shown]
	s_and_b32 exec_lo, exec_lo, s3
	s_cbranch_execz .LBB10_2
; %bb.16:
	ds_load_b128 v[3:6], v0 offset:512
	s_add_i32 s1, s33, 8
	s_delay_alu instid0(SALU_CYCLE_1) | instskip(NEXT) | instid1(SALU_CYCLE_1)
	s_mul_i32 s0, s1, s0
	s_ashr_i32 s1, s0, 31
	s_delay_alu instid0(SALU_CYCLE_1) | instskip(NEXT) | instid1(SALU_CYCLE_1)
	s_lshl_b64 s[0:1], s[0:1], 1
	v_add_co_u32 v0, vcc_lo, v1, s0
	v_add_co_ci_u32_e32 v1, vcc_lo, s1, v2, vcc_lo
	s_waitcnt lgkmcnt(0)
	global_store_b128 v[0:1], v[3:6], off
	s_nop 0
	s_sendmsg sendmsg(MSG_DEALLOC_VGPRS)
	s_endpgm
	.section	.rodata,"a",@progbits
	.p2align	6, 0x0
	.amdhsa_kernel _Z39paged_attention_ll4mi_QKV_mfma16_kernelIDF16_DF16_LN4vllm18Fp8KVCacheDataTypeE0EhLi16ELi64ELi256ELb1ELi9EL8MFMAType0EEvPKT_PKT0_S8_ifPKiSA_SA_iPKfiiiPfSD_PS3_PT2_iSC_SC_
		.amdhsa_group_segment_fixed_size 17472
		.amdhsa_private_segment_fixed_size 0
		.amdhsa_kernarg_size 400
		.amdhsa_user_sgpr_count 13
		.amdhsa_user_sgpr_dispatch_ptr 0
		.amdhsa_user_sgpr_queue_ptr 0
		.amdhsa_user_sgpr_kernarg_segment_ptr 1
		.amdhsa_user_sgpr_dispatch_id 0
		.amdhsa_user_sgpr_private_segment_size 0
		.amdhsa_wavefront_size32 1
		.amdhsa_uses_dynamic_stack 0
		.amdhsa_enable_private_segment 0
		.amdhsa_system_sgpr_workgroup_id_x 1
		.amdhsa_system_sgpr_workgroup_id_y 1
		.amdhsa_system_sgpr_workgroup_id_z 1
		.amdhsa_system_sgpr_workgroup_info 0
		.amdhsa_system_vgpr_workitem_id 0
		.amdhsa_next_free_vgpr 198
		.amdhsa_next_free_sgpr 52
		.amdhsa_reserve_vcc 1
		.amdhsa_float_round_mode_32 0
		.amdhsa_float_round_mode_16_64 0
		.amdhsa_float_denorm_mode_32 3
		.amdhsa_float_denorm_mode_16_64 3
		.amdhsa_dx10_clamp 1
		.amdhsa_ieee_mode 1
		.amdhsa_fp16_overflow 0
		.amdhsa_workgroup_processor_mode 1
		.amdhsa_memory_ordered 1
		.amdhsa_forward_progress 0
		.amdhsa_shared_vgpr_count 0
		.amdhsa_exception_fp_ieee_invalid_op 0
		.amdhsa_exception_fp_denorm_src 0
		.amdhsa_exception_fp_ieee_div_zero 0
		.amdhsa_exception_fp_ieee_overflow 0
		.amdhsa_exception_fp_ieee_underflow 0
		.amdhsa_exception_fp_ieee_inexact 0
		.amdhsa_exception_int_div_zero 0
	.end_amdhsa_kernel
	.section	.text._Z39paged_attention_ll4mi_QKV_mfma16_kernelIDF16_DF16_LN4vllm18Fp8KVCacheDataTypeE0EhLi16ELi64ELi256ELb1ELi9EL8MFMAType0EEvPKT_PKT0_S8_ifPKiSA_SA_iPKfiiiPfSD_PS3_PT2_iSC_SC_,"axG",@progbits,_Z39paged_attention_ll4mi_QKV_mfma16_kernelIDF16_DF16_LN4vllm18Fp8KVCacheDataTypeE0EhLi16ELi64ELi256ELb1ELi9EL8MFMAType0EEvPKT_PKT0_S8_ifPKiSA_SA_iPKfiiiPfSD_PS3_PT2_iSC_SC_,comdat
.Lfunc_end10:
	.size	_Z39paged_attention_ll4mi_QKV_mfma16_kernelIDF16_DF16_LN4vllm18Fp8KVCacheDataTypeE0EhLi16ELi64ELi256ELb1ELi9EL8MFMAType0EEvPKT_PKT0_S8_ifPKiSA_SA_iPKfiiiPfSD_PS3_PT2_iSC_SC_, .Lfunc_end10-_Z39paged_attention_ll4mi_QKV_mfma16_kernelIDF16_DF16_LN4vllm18Fp8KVCacheDataTypeE0EhLi16ELi64ELi256ELb1ELi9EL8MFMAType0EEvPKT_PKT0_S8_ifPKiSA_SA_iPKfiiiPfSD_PS3_PT2_iSC_SC_
                                        ; -- End function
	.section	.AMDGPU.csdata,"",@progbits
; Kernel info:
; codeLenInByte = 7952
; NumSgprs: 54
; NumVgprs: 198
; ScratchSize: 0
; MemoryBound: 0
; FloatMode: 240
; IeeeMode: 1
; LDSByteSize: 17472 bytes/workgroup (compile time only)
; SGPRBlocks: 6
; VGPRBlocks: 24
; NumSGPRsForWavesPerEU: 54
; NumVGPRsForWavesPerEU: 198
; Occupancy: 7
; WaveLimiterHint : 1
; COMPUTE_PGM_RSRC2:SCRATCH_EN: 0
; COMPUTE_PGM_RSRC2:USER_SGPR: 13
; COMPUTE_PGM_RSRC2:TRAP_HANDLER: 0
; COMPUTE_PGM_RSRC2:TGID_X_EN: 1
; COMPUTE_PGM_RSRC2:TGID_Y_EN: 1
; COMPUTE_PGM_RSRC2:TGID_Z_EN: 1
; COMPUTE_PGM_RSRC2:TIDIG_COMP_CNT: 0
	.section	.text._Z39paged_attention_ll4mi_QKV_mfma16_kernelIDF16_DF16_LN4vllm18Fp8KVCacheDataTypeE0EhLi16ELi64ELi256ELb1ELi10EL8MFMAType0EEvPKT_PKT0_S8_ifPKiSA_SA_iPKfiiiPfSD_PS3_PT2_iSC_SC_,"axG",@progbits,_Z39paged_attention_ll4mi_QKV_mfma16_kernelIDF16_DF16_LN4vllm18Fp8KVCacheDataTypeE0EhLi16ELi64ELi256ELb1ELi10EL8MFMAType0EEvPKT_PKT0_S8_ifPKiSA_SA_iPKfiiiPfSD_PS3_PT2_iSC_SC_,comdat
	.protected	_Z39paged_attention_ll4mi_QKV_mfma16_kernelIDF16_DF16_LN4vllm18Fp8KVCacheDataTypeE0EhLi16ELi64ELi256ELb1ELi10EL8MFMAType0EEvPKT_PKT0_S8_ifPKiSA_SA_iPKfiiiPfSD_PS3_PT2_iSC_SC_ ; -- Begin function _Z39paged_attention_ll4mi_QKV_mfma16_kernelIDF16_DF16_LN4vllm18Fp8KVCacheDataTypeE0EhLi16ELi64ELi256ELb1ELi10EL8MFMAType0EEvPKT_PKT0_S8_ifPKiSA_SA_iPKfiiiPfSD_PS3_PT2_iSC_SC_
	.globl	_Z39paged_attention_ll4mi_QKV_mfma16_kernelIDF16_DF16_LN4vllm18Fp8KVCacheDataTypeE0EhLi16ELi64ELi256ELb1ELi10EL8MFMAType0EEvPKT_PKT0_S8_ifPKiSA_SA_iPKfiiiPfSD_PS3_PT2_iSC_SC_
	.p2align	8
	.type	_Z39paged_attention_ll4mi_QKV_mfma16_kernelIDF16_DF16_LN4vllm18Fp8KVCacheDataTypeE0EhLi16ELi64ELi256ELb1ELi10EL8MFMAType0EEvPKT_PKT0_S8_ifPKiSA_SA_iPKfiiiPfSD_PS3_PT2_iSC_SC_,@function
_Z39paged_attention_ll4mi_QKV_mfma16_kernelIDF16_DF16_LN4vllm18Fp8KVCacheDataTypeE0EhLi16ELi64ELi256ELb1ELi10EL8MFMAType0EEvPKT_PKT0_S8_ifPKiSA_SA_iPKfiiiPfSD_PS3_PT2_iSC_SC_: ; @_Z39paged_attention_ll4mi_QKV_mfma16_kernelIDF16_DF16_LN4vllm18Fp8KVCacheDataTypeE0EhLi16ELi64ELi256ELb1ELi10EL8MFMAType0EEvPKT_PKT0_S8_ifPKiSA_SA_iPKfiiiPfSD_PS3_PT2_iSC_SC_
; %bb.0:
	s_load_b64 s[2:3], s[0:1], 0x30
	s_mov_b32 s34, s13
	s_waitcnt lgkmcnt(0)
	s_cmp_lg_u64 s[2:3], 0
	s_cselect_b32 s6, -1, 0
	s_ashr_i32 s35, s13, 31
	s_cmp_eq_u64 s[2:3], 0
	s_cbranch_scc1 .LBB11_3
; %bb.1:
	s_lshl_b64 s[4:5], s[34:35], 2
	s_delay_alu instid0(SALU_CYCLE_1) | instskip(SKIP_4) | instid1(SALU_CYCLE_1)
	s_add_u32 s4, s2, s4
	s_addc_u32 s5, s3, s5
	s_load_b64 s[4:5], s[4:5], 0x0
	s_waitcnt lgkmcnt(0)
	s_sub_i32 s4, s5, s4
	s_cmp_eq_u32 s4, 1
	s_cselect_b32 s4, -1, 0
	s_delay_alu instid0(SALU_CYCLE_1)
	s_and_not1_b32 vcc_lo, exec_lo, s4
	s_cbranch_vccz .LBB11_4
.LBB11_2:
	s_endpgm
.LBB11_3:
.LBB11_4:
	s_load_b64 s[8:9], s[0:1], 0x28
	s_lshl_b64 s[4:5], s[34:35], 2
	s_waitcnt lgkmcnt(0)
	s_add_u32 s8, s8, s4
	s_addc_u32 s9, s9, s5
	s_lshl_b32 s35, s14, 8
	s_load_b32 s30, s[8:9], 0x0
	s_waitcnt lgkmcnt(0)
	s_cmp_ge_i32 s35, s30
	s_cbranch_scc1 .LBB11_2
; %bb.5:
	s_clause 0x1
	s_load_b128 s[8:11], s[0:1], 0x8
	s_load_b64 s[12:13], s[0:1], 0x20
	s_and_not1_b32 vcc_lo, exec_lo, s6
	s_cbranch_vccnz .LBB11_7
; %bb.6:
	s_add_u32 s2, s2, s4
	s_addc_u32 s3, s3, s5
	s_load_b32 s3, s[2:3], 0x0
	s_branch .LBB11_8
.LBB11_7:
	s_mov_b32 s3, s34
.LBB11_8:
	s_load_b128 s[4:7], s[0:1], 0x48
	v_and_b32_e32 v148, 15, v0
	v_cmp_gt_u32_e32 vcc_lo, 0xa0, v0
	v_lshrrev_b32_e32 v149, 5, v0
	v_and_b32_e32 v150, 31, v0
	v_and_b32_e32 v147, 1, v0
	v_lshlrev_b32_e32 v1, 3, v148
	v_cmp_gt_u32_e64 s2, 8, v148
	v_bfe_u32 v146, v0, 4, 1
	s_mul_i32 s31, s15, 10
	s_delay_alu instid0(VALU_DEP_3) | instskip(NEXT) | instid1(VALU_DEP_3)
	v_lshlrev_b32_e32 v145, 1, v1
	s_and_b32 s16, vcc_lo, s2
	s_waitcnt lgkmcnt(0)
	s_and_saveexec_b32 s7, s16
	s_cbranch_execz .LBB11_10
; %bb.9:
	s_load_b64 s[16:17], s[0:1], 0x0
	v_lshl_or_b32 v5, v149, 1, v146
	s_mul_hi_i32 s19, s3, s4
	s_mul_i32 s18, s3, s4
	v_lshlrev_b32_e32 v6, 10, v148
	s_lshl_b64 s[18:19], s[18:19], 1
	v_add_lshl_u32 v1, v5, s31, 6
	v_lshlrev_b32_e32 v5, 6, v5
	v_lshlrev_b32_e32 v7, 10, v147
	v_and_b32_e32 v6, 0x3800, v6
	s_delay_alu instid0(VALU_DEP_4) | instskip(NEXT) | instid1(VALU_DEP_2)
	v_ashrrev_i32_e32 v2, 31, v1
	v_or3_b32 v5, v6, v7, v5
	s_delay_alu instid0(VALU_DEP_2) | instskip(SKIP_3) | instid1(VALU_DEP_1)
	v_lshlrev_b64 v[1:2], 1, v[1:2]
	s_waitcnt lgkmcnt(0)
	s_add_u32 s3, s16, s18
	s_addc_u32 s4, s17, s19
	v_add_co_u32 v1, vcc_lo, s3, v1
	s_delay_alu instid0(VALU_DEP_2) | instskip(NEXT) | instid1(VALU_DEP_2)
	v_add_co_ci_u32_e32 v2, vcc_lo, s4, v2, vcc_lo
	v_add_co_u32 v1, vcc_lo, v1, v145
	s_delay_alu instid0(VALU_DEP_2)
	v_add_co_ci_u32_e32 v2, vcc_lo, 0, v2, vcc_lo
	global_load_b128 v[1:4], v[1:2], off
	s_waitcnt vmcnt(0)
	ds_store_b128 v5, v[1:4]
.LBB11_10:
	s_or_b32 exec_lo, exec_lo, s7
	s_mov_b32 s40, 0
	s_add_i32 s3, s30, 15
	s_mov_b32 s41, s40
	s_mov_b32 s42, s40
	s_mov_b32 s43, s40
	s_mov_b32 s44, s40
	s_mov_b32 s45, s40
	s_mov_b32 s46, s40
	s_mov_b32 s47, s40
	s_delay_alu instid0(SALU_CYCLE_1)
	v_dual_mov_b32 v144, s47 :: v_dual_and_b32 v1, 0xef, v0
	v_mov_b32_e32 v142, s45
	s_ashr_i32 s7, s3, 31
	s_clause 0x1
	s_load_b32 s4, s[0:1], 0x38
	s_load_b32 s33, s[0:1], 0x98
	v_add_nc_u32_e32 v1, s35, v1
	s_lshr_b32 s7, s7, 28
	s_load_b32 s36, s[0:1], 0x1c
	s_add_i32 s3, s3, s7
	s_waitcnt lgkmcnt(0)
	v_ashrrev_i32_e32 v2, 31, v1
	v_or_b32_e32 v3, 16, v1
	s_ashr_i32 s3, s3, 4
	v_cmp_gt_i32_e32 vcc_lo, s30, v1
	s_add_i32 s3, s3, -1
	v_lshrrev_b32_e32 v2, 28, v2
	v_mov_b32_e32 v143, s46
	s_barrier
	buffer_gl0_inv
	s_mul_i32 s6, s15, s6
	v_dual_mov_b32 v141, s44 :: v_dual_add_nc_u32 v4, v1, v2
	v_mov_b32_e32 v139, s42
	s_mul_i32 s16, s34, s4
	v_mov_b32_e32 v137, s40
	s_delay_alu instid0(VALU_DEP_3)
	v_ashrrev_i32_e32 v4, 4, v4
	v_add_nc_u32_e32 v2, v3, v2
	s_ashr_i32 s17, s16, 31
	v_mov_b32_e32 v140, s43
	s_lshl_b64 s[16:17], s[16:17], 2
	v_cndmask_b32_e32 v1, s3, v4, vcc_lo
	v_ashrrev_i32_e32 v2, 4, v2
	v_cmp_gt_i32_e32 vcc_lo, s30, v3
	s_add_u32 s4, s12, s16
	s_addc_u32 s37, s13, s17
	s_ashr_i32 s7, s6, 31
	v_mov_b32_e32 v138, s41
	v_cndmask_b32_e32 v3, s3, v2, vcc_lo
	v_ashrrev_i32_e32 v2, 31, v1
	s_lshl_b64 s[6:7], s[6:7], 1
	s_delay_alu instid0(SALU_CYCLE_1) | instskip(NEXT) | instid1(VALU_DEP_2)
	s_add_u32 s24, s8, s6
	v_ashrrev_i32_e32 v4, 31, v3
	s_delay_alu instid0(VALU_DEP_2) | instskip(SKIP_2) | instid1(VALU_DEP_2)
	v_lshlrev_b64 v[1:2], 2, v[1:2]
	s_addc_u32 s25, s9, s7
	s_lshl_b32 s8, s14, 4
	v_lshlrev_b64 v[3:4], 2, v[3:4]
	s_ashr_i32 s9, s8, 31
	s_delay_alu instid0(VALU_DEP_2) | instskip(SKIP_1) | instid1(VALU_DEP_3)
	v_add_co_u32 v1, vcc_lo, s4, v1
	v_add_co_ci_u32_e32 v2, vcc_lo, s37, v2, vcc_lo
	v_add_co_u32 v3, vcc_lo, s4, v3
	s_delay_alu instid0(VALU_DEP_4)
	v_add_co_ci_u32_e32 v4, vcc_lo, s37, v4, vcc_lo
	s_clause 0x1
	global_load_b32 v5, v[1:2], off
	global_load_b32 v6, v[3:4], off
	s_lshl_b64 s[8:9], s[8:9], 2
	v_lshlrev_b32_e32 v3, 4, v0
	s_add_u32 s8, s4, s8
	s_addc_u32 s9, s37, s9
	s_or_b32 s12, s35, 16
	s_delay_alu instid0(SALU_CYCLE_1) | instskip(SKIP_2) | instid1(SALU_CYCLE_1)
	s_ashr_i32 s13, s12, 4
	s_cmp_lt_i32 s12, s30
	s_cselect_b32 s12, s13, s3
	s_ashr_i32 s13, s12, 31
	s_delay_alu instid0(SALU_CYCLE_1) | instskip(NEXT) | instid1(SALU_CYCLE_1)
	s_lshl_b64 s[12:13], s[12:13], 2
	s_add_u32 s12, s4, s12
	s_addc_u32 s13, s37, s13
	s_or_b32 s15, s35, 32
	s_delay_alu instid0(SALU_CYCLE_1) | instskip(SKIP_2) | instid1(SALU_CYCLE_1)
	s_ashr_i32 s16, s15, 4
	s_cmp_lt_i32 s15, s30
	s_cselect_b32 s16, s16, s3
	s_ashr_i32 s17, s16, 31
	s_delay_alu instid0(SALU_CYCLE_1) | instskip(NEXT) | instid1(SALU_CYCLE_1)
	s_lshl_b64 s[16:17], s[16:17], 2
	s_add_u32 s16, s4, s16
	s_addc_u32 s17, s37, s17
	s_or_b32 s15, s35, 48
	s_delay_alu instid0(SALU_CYCLE_1) | instskip(SKIP_2) | instid1(SALU_CYCLE_1)
	s_ashr_i32 s18, s15, 4
	s_cmp_lt_i32 s15, s30
	s_cselect_b32 s18, s18, s3
	s_ashr_i32 s19, s18, 31
	s_delay_alu instid0(SALU_CYCLE_1) | instskip(NEXT) | instid1(SALU_CYCLE_1)
	s_lshl_b64 s[18:19], s[18:19], 2
	s_add_u32 s18, s4, s18
	s_addc_u32 s19, s37, s19
	s_or_b32 s15, s35, 64
	s_delay_alu instid0(SALU_CYCLE_1) | instskip(SKIP_2) | instid1(SALU_CYCLE_1)
	s_ashr_i32 s20, s15, 4
	s_cmp_lt_i32 s15, s30
	s_cselect_b32 s20, s20, s3
	s_ashr_i32 s21, s20, 31
	s_delay_alu instid0(SALU_CYCLE_1) | instskip(NEXT) | instid1(SALU_CYCLE_1)
	s_lshl_b64 s[20:21], s[20:21], 2
	s_add_u32 s20, s4, s20
	s_addc_u32 s21, s37, s21
	s_or_b32 s15, s35, 0x50
	s_delay_alu instid0(SALU_CYCLE_1) | instskip(SKIP_2) | instid1(SALU_CYCLE_1)
	s_ashr_i32 s22, s15, 4
	s_cmp_lt_i32 s15, s30
	s_cselect_b32 s22, s22, s3
	s_ashr_i32 s23, s22, 31
	s_delay_alu instid0(SALU_CYCLE_1) | instskip(NEXT) | instid1(SALU_CYCLE_1)
	s_lshl_b64 s[22:23], s[22:23], 2
	s_add_u32 s22, s4, s22
	s_addc_u32 s23, s37, s23
	s_clause 0x5
	s_load_b32 s8, s[8:9], 0x0
	s_load_b32 s12, s[12:13], 0x0
	;; [unrolled: 1-line block ×6, first 2 shown]
	s_waitcnt lgkmcnt(0)
	s_mul_hi_i32 s17, s16, s5
	s_mul_i32 s16, s16, s5
	s_waitcnt vmcnt(1)
	v_mad_i64_i32 v[1:2], null, v5, s5, 0
	v_and_b32_e32 v5, 0xf0, v3
	s_waitcnt vmcnt(0)
	v_mad_i64_i32 v[3:4], null, v6, s5, 0
	s_delay_alu instid0(VALU_DEP_2) | instskip(NEXT) | instid1(VALU_DEP_4)
	v_add_co_u32 v7, s9, s24, v5
	v_lshlrev_b64 v[1:2], 1, v[1:2]
	v_add_co_ci_u32_e64 v8, null, s25, 0, s9
	s_delay_alu instid0(VALU_DEP_4) | instskip(SKIP_1) | instid1(VALU_DEP_3)
	v_lshlrev_b64 v[5:6], 1, v[3:4]
	s_or_b32 s9, s35, 0x60
	v_add_co_u32 v3, vcc_lo, v7, v1
	s_delay_alu instid0(VALU_DEP_3) | instskip(NEXT) | instid1(VALU_DEP_3)
	v_add_co_ci_u32_e32 v4, vcc_lo, v8, v2, vcc_lo
	v_add_co_u32 v1, vcc_lo, v7, v5
	s_delay_alu instid0(VALU_DEP_4)
	v_add_co_ci_u32_e32 v2, vcc_lo, v8, v6, vcc_lo
	s_clause 0x9
	global_load_b128 v[9:12], v[3:4], off
	global_load_b128 v[13:16], v[3:4], off offset:256
	global_load_b128 v[129:132], v[1:2], off
	global_load_b128 v[133:136], v[1:2], off offset:256
	global_load_b128 v[41:44], v[3:4], off offset:512
	;; [unrolled: 1-line block ×7, first 2 shown]
	v_add_nc_u32_e32 v5, -10, v148
	v_cmp_gt_u32_e32 vcc_lo, 10, v148
	s_clause 0x1
	global_load_b128 v[151:154], v[1:2], off offset:1024
	global_load_b128 v[155:158], v[1:2], off offset:1280
	s_ashr_i32 s13, s9, 4
	s_cmp_lt_i32 s9, s30
	v_lshlrev_b32_e32 v6, 5, v148
	v_cndmask_b32_e32 v5, v5, v148, vcc_lo
	s_cselect_b32 s22, s13, s3
	s_delay_alu instid0(SALU_CYCLE_1) | instskip(NEXT) | instid1(VALU_DEP_2)
	s_ashr_i32 s23, s22, 31
	v_lshl_or_b32 v6, v149, 9, v6
	s_delay_alu instid0(VALU_DEP_2)
	v_lshlrev_b32_e32 v197, 6, v5
	ds_load_b128 v[159:162], v197
	ds_load_b128 v[163:166], v197 offset:1024
	s_clause 0x3
	global_load_b128 v[167:170], v[3:4], off offset:1536
	global_load_b128 v[171:174], v[3:4], off offset:1792
	;; [unrolled: 1-line block ×4, first 2 shown]
	s_lshl_b64 s[22:23], s[22:23], 2
	s_delay_alu instid0(SALU_CYCLE_1)
	s_add_u32 s22, s4, s22
	s_addc_u32 s23, s37, s23
	s_or_b32 s9, s35, 0x70
	s_load_b32 s46, s[22:23], 0x0
	s_ashr_i32 s13, s9, 4
	s_cmp_lt_i32 s9, s30
	s_cselect_b32 s24, s13, s3
	s_delay_alu instid0(SALU_CYCLE_1) | instskip(NEXT) | instid1(SALU_CYCLE_1)
	s_ashr_i32 s25, s24, 31
	s_lshl_b64 s[24:25], s[24:25], 2
	s_delay_alu instid0(SALU_CYCLE_1)
	s_add_u32 s24, s4, s24
	s_addc_u32 s25, s37, s25
	s_or_b32 s9, s35, 0x80
	s_load_b32 s47, s[24:25], 0x0
	s_ashr_i32 s13, s9, 4
	s_cmp_lt_i32 s9, s30
	s_cselect_b32 s26, s13, s3
	s_delay_alu instid0(SALU_CYCLE_1) | instskip(NEXT) | instid1(SALU_CYCLE_1)
	s_ashr_i32 s27, s26, 31
	;; [unrolled: 11-line block ×3, first 2 shown]
	s_lshl_b64 s[28:29], s[28:29], 2
	s_delay_alu instid0(SALU_CYCLE_1) | instskip(SKIP_2) | instid1(SALU_CYCLE_1)
	s_add_u32 s28, s4, s28
	s_addc_u32 s29, s37, s29
	s_or_b32 s9, s35, 0xa0
	s_ashr_i32 s13, s9, 4
	s_cmp_lt_i32 s9, s30
	s_cselect_b32 s38, s13, s3
	s_delay_alu instid0(SALU_CYCLE_1) | instskip(NEXT) | instid1(SALU_CYCLE_1)
	s_ashr_i32 s39, s38, 31
	s_lshl_b64 s[38:39], s[38:39], 2
	s_delay_alu instid0(SALU_CYCLE_1) | instskip(SKIP_2) | instid1(SALU_CYCLE_1)
	s_add_u32 s38, s4, s38
	s_addc_u32 s39, s37, s39
	s_or_b32 s9, s35, 0xb0
	s_ashr_i32 s13, s9, 4
	s_cmp_lt_i32 s9, s30
	s_mul_hi_i32 s9, s8, s5
	s_cselect_b32 s40, s13, s3
	s_mul_i32 s8, s8, s5
	s_ashr_i32 s41, s40, 31
	s_mul_hi_i32 s13, s12, s5
	s_lshl_b64 s[40:41], s[40:41], 2
	s_mul_i32 s12, s12, s5
	s_add_u32 s42, s4, s40
	s_addc_u32 s43, s37, s41
	s_or_b32 s19, s35, 0xc0
	s_delay_alu instid0(SALU_CYCLE_1)
	s_ashr_i32 s21, s19, 4
	s_cmp_lt_i32 s19, s30
	s_mul_hi_i32 s19, s18, s5
	s_cselect_b32 s40, s21, s3
	s_mul_i32 s18, s18, s5
	s_ashr_i32 s41, s40, 31
	s_mul_hi_i32 s21, s20, s5
	s_lshl_b64 s[40:41], s[40:41], 2
	s_mul_i32 s20, s20, s5
	s_add_u32 s44, s4, s40
	s_addc_u32 s45, s37, s41
	s_load_b32 s41, s[28:29], 0x0
	s_or_b32 s40, s35, 0xd0
	s_mul_hi_i32 s23, s15, s5
	s_ashr_i32 s22, s40, 4
	s_cmp_lt_i32 s40, s30
	s_load_b32 s40, s[38:39], 0x0
	s_cselect_b32 s24, s22, s3
	s_mul_i32 s22, s15, s5
	s_ashr_i32 s25, s24, 31
	s_waitcnt lgkmcnt(0)
	s_mul_hi_i32 s29, s48, s5
	s_lshl_b64 s[24:25], s[24:25], 2
	s_mul_i32 s28, s48, s5
	s_add_u32 s24, s4, s24
	s_addc_u32 s25, s37, s25
	s_or_b32 s49, s35, 0xe0
	s_clause 0x2
	s_load_b32 s39, s[42:43], 0x0
	s_load_b32 s38, s[44:45], 0x0
	;; [unrolled: 1-line block ×3, first 2 shown]
	s_ashr_i32 s50, s49, 4
	s_cmp_lt_i32 s49, s30
	s_mul_hi_i32 s25, s46, s5
	s_cselect_b32 s44, s50, s3
	s_mul_i32 s24, s46, s5
	s_ashr_i32 s45, s44, 31
	s_mul_hi_i32 s27, s47, s5
	s_lshl_b64 s[44:45], s[44:45], 2
	s_mul_i32 s26, s47, s5
	s_add_u32 s44, s4, s44
	s_addc_u32 s45, s37, s45
	s_or_b32 s46, s35, 0xf0
	s_mul_hi_i32 s43, s41, s5
	s_ashr_i32 s48, s46, 4
	s_cmp_lt_i32 s46, s30
	s_mul_i32 s42, s41, s5
	s_cselect_b32 s48, s48, s3
	s_mul_hi_i32 s41, s40, s5
	s_ashr_i32 s49, s48, 31
	s_mul_i32 s40, s40, s5
	s_lshl_b64 s[48:49], s[48:49], 2
	s_waitcnt lgkmcnt(0)
	s_mul_hi_i32 s47, s39, s5
	s_add_u32 s48, s4, s48
	s_addc_u32 s49, s37, s49
	s_add_u32 s3, s10, s6
	s_addc_u32 s4, s11, s7
	v_add_co_u32 v195, s3, s3, v6
	s_delay_alu instid0(VALU_DEP_1) | instskip(SKIP_2) | instid1(VALU_DEP_2)
	v_add_co_ci_u32_e64 v196, null, s4, 0, s3
	s_lshl_b64 s[6:7], s[8:9], 1
	s_lshl_b64 s[8:9], s[12:13], 1
	v_add_co_u32 v1, vcc_lo, v195, s6
	s_delay_alu instid0(VALU_DEP_2)
	v_add_co_ci_u32_e32 v2, vcc_lo, s7, v196, vcc_lo
	v_add_co_u32 v3, vcc_lo, v195, s8
	s_lshl_b64 s[10:11], s[16:17], 1
	v_add_co_ci_u32_e32 v4, vcc_lo, s9, v196, vcc_lo
	v_add_co_u32 v5, vcc_lo, v195, s10
	s_lshl_b64 s[12:13], s[18:19], 1
	;; [unrolled: 3-line block ×9, first 2 shown]
	s_mul_i32 s46, s39, s5
	v_add_co_ci_u32_e32 v54, vcc_lo, s27, v196, vcc_lo
	v_add_co_u32 v183, vcc_lo, v195, s28
	s_lshl_b64 s[40:41], s[46:47], 1
	s_mul_hi_i32 s39, s38, s5
	s_mul_i32 s38, s38, s5
	v_add_co_ci_u32_e32 v184, vcc_lo, s29, v196, vcc_lo
	v_add_co_u32 v185, vcc_lo, v195, s40
	s_lshl_b64 s[38:39], s[38:39], 1
	s_clause 0x1
	s_load_b32 s3, s[44:45], 0x0
	s_load_b32 s4, s[48:49], 0x0
	v_add_co_ci_u32_e32 v186, vcc_lo, s41, v196, vcc_lo
	v_add_co_u32 v191, vcc_lo, v195, s38
	v_add_co_ci_u32_e32 v192, vcc_lo, s39, v196, vcc_lo
	s_clause 0x17
	global_load_b128 v[121:124], v[1:2], off
	global_load_b128 v[125:128], v[1:2], off offset:16
	global_load_b128 v[113:116], v[3:4], off
	global_load_b128 v[117:120], v[3:4], off offset:16
	;; [unrolled: 2-line block ×12, first 2 shown]
	s_mul_hi_i32 s51, s15, s5
	s_mul_i32 s50, s15, s5
	s_delay_alu instid0(SALU_CYCLE_1) | instskip(NEXT) | instid1(SALU_CYCLE_1)
	s_lshl_b64 s[42:43], s[50:51], 1
	v_add_co_u32 v193, vcc_lo, v195, s42
	v_add_co_ci_u32_e32 v194, vcc_lo, s43, v196, vcc_lo
	s_waitcnt lgkmcnt(0)
	s_mul_hi_i32 s7, s3, s5
	s_mul_i32 s6, s3, s5
	s_mul_hi_i32 s9, s4, s5
	s_lshl_b64 s[6:7], s[6:7], 1
	s_mul_i32 s8, s4, s5
	s_delay_alu instid0(SALU_CYCLE_1)
	s_lshl_b64 s[4:5], s[8:9], 1
	s_waitcnt vmcnt(38)
	v_wmma_f32_16x16x16_f16 v[183:190], v[9:16], v[159:166], v[137:144]
	s_waitcnt vmcnt(36)
	v_wmma_f32_16x16x16_f16 v[137:144], v[129:136], v[159:166], v[137:144]
	s_clause 0x1
	global_load_b128 v[9:12], v[191:192], off
	global_load_b128 v[13:16], v[191:192], off offset:16
	ds_load_b128 v[129:132], v197 offset:2048
	ds_load_b128 v[133:136], v197 offset:3072
	ds_load_b128 v[159:162], v197 offset:4096
	ds_load_b128 v[163:166], v197 offset:5120
	v_add_co_u32 v191, vcc_lo, v195, s6
	v_add_co_ci_u32_e32 v192, vcc_lo, s7, v196, vcc_lo
	v_add_co_u32 v195, vcc_lo, v195, s4
	v_add_co_ci_u32_e32 v196, vcc_lo, s5, v196, vcc_lo
	s_waitcnt vmcnt(36) lgkmcnt(2)
	v_wmma_f32_16x16x16_f16 v[183:190], v[41:48], v[129:136], v[183:190]
	s_waitcnt vmcnt(34)
	v_wmma_f32_16x16x16_f16 v[137:144], v[33:40], v[129:136], v[137:144]
	s_clause 0x3
	global_load_b128 v[33:36], v[193:194], off
	global_load_b128 v[37:40], v[193:194], off offset:16
	global_load_b128 v[41:44], v[191:192], off
	global_load_b128 v[45:48], v[191:192], off offset:16
	v_and_b32_e32 v129, 0xe0, v0
	v_mbcnt_lo_u32_b32 v191, -1, 0
	s_waitcnt vmcnt(36) lgkmcnt(0)
	v_wmma_f32_16x16x16_f16 v[183:190], v[17:24], v[159:166], v[183:190]
	s_clause 0x1
	global_load_b128 v[17:20], v[195:196], off
	global_load_b128 v[21:24], v[195:196], off offset:16
	s_waitcnt vmcnt(36)
	v_wmma_f32_16x16x16_f16 v[137:144], v[151:158], v[159:166], v[137:144]
	v_add_nc_u32_e32 v192, s35, v129
	ds_load_b128 v[129:132], v197 offset:6144
	ds_load_b128 v[133:136], v197 offset:7168
	v_xor_b32_e32 v151, 16, v191
	s_waitcnt vmcnt(0) lgkmcnt(0)
	s_barrier
	v_or_b32_e32 v152, v192, v146
	buffer_gl0_inv
	v_cmp_gt_i32_e32 vcc_lo, 32, v151
	v_or_b32_e32 v153, 2, v152
	v_or_b32_e32 v154, 4, v152
	;; [unrolled: 1-line block ×5, first 2 shown]
	v_cmp_gt_i32_e64 s3, s30, v153
	v_cmp_gt_i32_e64 s4, s30, v154
	v_cmp_gt_i32_e64 s5, s30, v155
	v_or_b32_e32 v158, 12, v152
	v_or_b32_e32 v159, 14, v152
	v_cmp_gt_i32_e64 s6, s30, v156
	v_wmma_f32_16x16x16_f16 v[183:190], v[167:174], v[129:136], v[183:190]
	v_wmma_f32_16x16x16_f16 v[137:144], v[175:182], v[129:136], v[137:144]
	v_cndmask_b32_e32 v151, v191, v151, vcc_lo
	v_cmp_gt_i32_e32 vcc_lo, s30, v152
	v_cmp_gt_i32_e64 s7, s30, v157
	v_dual_mul_f32 v135, s36, v184 :: v_dual_mul_f32 v136, s36, v183
	v_dual_mul_f32 v133, s36, v186 :: v_dual_mul_f32 v134, s36, v185
	;; [unrolled: 1-line block ×3, first 2 shown]
	s_delay_alu instid0(VALU_DEP_3) | instskip(NEXT) | instid1(VALU_DEP_4)
	v_cndmask_b32_e32 v136, 0xff7fffff, v136, vcc_lo
	v_cndmask_b32_e64 v135, 0xff7fffff, v135, s3
	v_mul_f32_e32 v132, s36, v187
	v_cndmask_b32_e64 v134, 0xff7fffff, v134, s4
	v_cndmask_b32_e64 v133, 0xff7fffff, v133, s5
	v_or_b32_e32 v160, 16, v152
	v_max3_f32 v135, v136, 0xff7fffff, v135
	v_or_b32_e32 v161, 18, v152
	v_mul_f32_e32 v130, s36, v189
	v_dual_mul_f32 v172, s36, v140 :: v_dual_mul_f32 v129, s36, v190
	v_cndmask_b32_e64 v132, 0xff7fffff, v132, s6
	v_cndmask_b32_e64 v131, 0xff7fffff, v131, s7
	v_max3_f32 v133, v135, v134, v133
	v_cmp_gt_i32_e64 s8, s30, v158
	v_cmp_gt_i32_e64 s9, s30, v159
	v_or_b32_e32 v162, 20, v152
	v_or_b32_e32 v163, 22, v152
	v_mul_f32_e32 v175, s36, v137
	v_cndmask_b32_e64 v130, 0xff7fffff, v130, s8
	v_cndmask_b32_e64 v129, 0xff7fffff, v129, s9
	v_max3_f32 v131, v133, v132, v131
	v_cmp_gt_i32_e64 s10, s30, v160
	v_cmp_gt_i32_e64 s11, s30, v161
	v_or_b32_e32 v164, 24, v152
	v_or_b32_e32 v165, 26, v152
	v_mul_f32_e32 v173, s36, v139
	v_cndmask_b32_e64 v132, 0xff7fffff, v175, s10
	v_cndmask_b32_e64 v133, 0xff7fffff, v174, s11
	v_max3_f32 v129, v131, v130, v129
	v_cmp_gt_i32_e64 s12, s30, v162
	v_cmp_gt_i32_e64 s13, s30, v163
	v_or_b32_e32 v166, 28, v152
	v_or_b32_e32 v167, 30, v152
	v_dual_mul_f32 v170, s36, v142 :: v_dual_mul_f32 v171, s36, v141
	v_cndmask_b32_e64 v130, 0xff7fffff, v173, s12
	v_cndmask_b32_e64 v131, 0xff7fffff, v172, s13
	v_max3_f32 v129, v129, v132, v133
	v_cmp_gt_i32_e64 s15, s30, v164
	v_cmp_gt_i32_e64 s16, s30, v165
	v_dual_mul_f32 v168, s36, v144 :: v_dual_mul_f32 v169, s36, v143
	s_delay_alu instid0(VALU_DEP_4) | instskip(NEXT) | instid1(VALU_DEP_4)
	v_max3_f32 v129, v129, v130, v131
	v_cndmask_b32_e64 v132, 0xff7fffff, v171, s15
	s_delay_alu instid0(VALU_DEP_4) | instskip(SKIP_2) | instid1(VALU_DEP_3)
	v_cndmask_b32_e64 v133, 0xff7fffff, v170, s16
	v_cmp_gt_i32_e64 s17, s30, v166
	v_cmp_gt_i32_e64 s18, s30, v167
	v_max3_f32 v129, v129, v132, v133
	s_delay_alu instid0(VALU_DEP_3) | instskip(NEXT) | instid1(VALU_DEP_3)
	v_cndmask_b32_e64 v130, 0xff7fffff, v169, s17
	v_cndmask_b32_e64 v131, 0xff7fffff, v168, s18
	v_lshlrev_b32_e32 v132, 2, v151
	s_delay_alu instid0(VALU_DEP_2) | instskip(SKIP_3) | instid1(VALU_DEP_1)
	v_max3_f32 v129, v129, v130, v131
	ds_bpermute_b32 v130, v132, v129
	s_waitcnt lgkmcnt(0)
	v_max_f32_e32 v130, v130, v130
	v_max_f32_e32 v129, v129, v130
	s_delay_alu instid0(VALU_DEP_1) | instskip(SKIP_4) | instid1(VALU_DEP_4)
	v_fma_f32 v134, s36, v186, -v129
	v_fma_f32 v135, s36, v187, -v129
	;; [unrolled: 1-line block ×5, first 2 shown]
	v_dual_mul_f32 v134, 0x3fb8aa3b, v134 :: v_dual_mul_f32 v135, 0x3fb8aa3b, v135
	s_delay_alu instid0(VALU_DEP_4) | instskip(SKIP_1) | instid1(VALU_DEP_3)
	v_mul_f32_e32 v130, 0x3fb8aa3b, v130
	v_fma_f32 v136, s36, v189, -v129
	v_exp_f32_e32 v134, v134
	s_delay_alu instid0(VALU_DEP_3) | instskip(NEXT) | instid1(VALU_DEP_2)
	v_exp_f32_e32 v135, v135
	v_exp_f32_e32 v130, v130
	s_delay_alu instid0(VALU_DEP_1) | instskip(NEXT) | instid1(VALU_DEP_1)
	v_mul_f32_e32 v136, 0x3fb8aa3b, v136
	v_exp_f32_e32 v136, v136
	v_cndmask_b32_e64 v153, 0, v134, s5
	v_fma_f32 v134, s36, v137, -v129
	v_mul_f32_e32 v131, 0x3fb8aa3b, v131
	s_delay_alu instid0(TRANS32_DEP_3) | instskip(NEXT) | instid1(TRANS32_DEP_2)
	v_cndmask_b32_e64 v155, 0, v135, s6
	v_dual_mul_f32 v133, 0x3fb8aa3b, v133 :: v_dual_cndmask_b32 v152, 0, v130
	s_delay_alu instid0(VALU_DEP_4) | instskip(NEXT) | instid1(VALU_DEP_4)
	v_mul_f32_e32 v134, 0x3fb8aa3b, v134
	v_exp_f32_e32 v131, v131
	v_fma_f32 v135, s36, v138, -v129
	s_delay_alu instid0(VALU_DEP_3)
	v_exp_f32_e32 v133, v133
	v_fma_f32 v130, s36, v188, -v129
	v_cndmask_b32_e64 v156, 0, v136, s8
	v_fma_f32 v136, s36, v140, -v129
	v_mul_f32_e32 v135, 0x3fb8aa3b, v135
	v_exp_f32_e32 v134, v134
	v_mul_f32_e32 v130, 0x3fb8aa3b, v130
	s_delay_alu instid0(TRANS32_DEP_3) | instskip(SKIP_1) | instid1(TRANS32_DEP_2)
	v_cndmask_b32_e64 v151, 0, v131, s3
	v_add_f32_e32 v131, 0, v152
	v_cndmask_b32_e64 v154, 0, v133, s4
	v_exp_f32_e32 v135, v135
	v_fma_f32 v133, s36, v190, -v129
	v_exp_f32_e32 v130, v130
	v_dual_add_f32 v131, v131, v151 :: v_dual_mul_f32 v136, 0x3fb8aa3b, v136
	s_mov_b32 s3, exec_lo
	s_delay_alu instid0(VALU_DEP_2) | instskip(NEXT) | instid1(VALU_DEP_2)
	v_mul_f32_e32 v133, 0x3fb8aa3b, v133
	v_add_f32_e32 v131, v131, v154
	s_delay_alu instid0(VALU_DEP_3) | instskip(NEXT) | instid1(TRANS32_DEP_3)
	v_exp_f32_e32 v136, v136
	v_cndmask_b32_e64 v140, 0, v135, s11
	s_delay_alu instid0(VALU_DEP_3) | instskip(NEXT) | instid1(TRANS32_DEP_3)
	v_exp_f32_e32 v133, v133
	v_cndmask_b32_e64 v138, 0, v130, s7
	v_add_f32_e32 v131, v131, v153
	v_fma_f32 v135, s36, v143, -v129
	s_delay_alu instid0(VALU_DEP_2)
	v_add_f32_e32 v130, v131, v155
	v_fma_f32 v131, s36, v139, -v129
	s_waitcnt_depctr 0xfff
	v_cndmask_b32_e64 v139, 0, v133, s9
	v_fma_f32 v133, s36, v141, -v129
	v_add_f32_e32 v130, v130, v138
	v_cndmask_b32_e64 v141, 0, v134, s10
	v_fma_f32 v134, s36, v142, -v129
	v_cndmask_b32_e64 v142, 0, v136, s13
	s_delay_alu instid0(VALU_DEP_4) | instskip(NEXT) | instid1(VALU_DEP_3)
	v_dual_mul_f32 v131, 0x3fb8aa3b, v131 :: v_dual_add_f32 v130, v130, v156
	v_mul_f32_e32 v134, 0x3fb8aa3b, v134
	s_delay_alu instid0(VALU_DEP_2) | instskip(NEXT) | instid1(VALU_DEP_2)
	v_exp_f32_e32 v131, v131
	v_add_f32_e32 v130, v130, v139
	s_delay_alu instid0(VALU_DEP_2) | instskip(NEXT) | instid1(VALU_DEP_1)
	v_exp_f32_e32 v134, v134
	v_add_f32_e32 v130, v130, v141
	s_waitcnt_depctr 0xfff
	v_cndmask_b32_e64 v143, 0, v131, s12
	v_dual_add_f32 v130, v130, v140 :: v_dual_mul_f32 v133, 0x3fb8aa3b, v133
	s_delay_alu instid0(VALU_DEP_1) | instskip(NEXT) | instid1(VALU_DEP_2)
	v_add_f32_e32 v130, v130, v143
	v_exp_f32_e32 v133, v133
	s_delay_alu instid0(VALU_DEP_1)
	v_add_f32_e32 v130, v130, v142
	s_waitcnt_depctr 0xfff
	v_cndmask_b32_e64 v157, 0, v133, s15
	v_mul_f32_e32 v131, 0x3fb8aa3b, v135
	v_fma_f32 v135, s36, v144, -v129
	v_cndmask_b32_e64 v144, 0, v134, s16
	s_delay_alu instid0(VALU_DEP_4) | instskip(NEXT) | instid1(VALU_DEP_4)
	v_add_f32_e32 v130, v130, v157
	v_exp_f32_e32 v131, v131
	s_delay_alu instid0(VALU_DEP_1) | instskip(NEXT) | instid1(VALU_DEP_1)
	v_dual_mul_f32 v133, 0x3fb8aa3b, v135 :: v_dual_add_f32 v130, v130, v144
	v_exp_f32_e32 v133, v133
	s_waitcnt_depctr 0xfff
	v_cndmask_b32_e64 v159, 0, v131, s17
	s_delay_alu instid0(VALU_DEP_1) | instskip(SKIP_1) | instid1(VALU_DEP_1)
	v_add_f32_e32 v130, v130, v159
	v_cndmask_b32_e64 v158, 0, v133, s18
	v_add_f32_e32 v130, v130, v158
	ds_bpermute_b32 v131, v132, v130
	v_cmpx_gt_u32_e32 16, v150
	s_cbranch_execz .LBB11_12
; %bb.11:
	v_mul_u32_u24_e32 v132, 0x44, v149
	s_delay_alu instid0(VALU_DEP_1) | instskip(SKIP_1) | instid1(VALU_DEP_1)
	v_lshl_add_u32 v132, v148, 2, v132
	s_waitcnt lgkmcnt(0)
	v_dual_add_f32 v130, v130, v131 :: v_dual_add_nc_u32 v131, 0x4000, v132
	ds_store_2addr_b32 v131, v129, v130 offset1:136
.LBB11_12:
	s_or_b32 exec_lo, exec_lo, s3
	v_lshlrev_b32_e32 v129, 2, v148
	s_load_b32 s35, s[0:1], 0x94
	s_waitcnt lgkmcnt(0)
	s_barrier
	buffer_gl0_inv
	v_add_nc_u32_e32 v135, 0x4000, v129
	v_cmp_eq_u32_e32 vcc_lo, 1, v149
	v_cmp_eq_u32_e64 s3, 2, v149
	v_cmp_eq_u32_e64 s4, 3, v149
	v_cmp_eq_u32_e64 s5, 4, v149
	ds_load_2addr_b32 v[129:130], v135 offset1:17
	ds_load_2addr_b32 v[131:132], v135 offset0:34 offset1:51
	ds_load_2addr_b32 v[133:134], v135 offset0:68 offset1:85
	;; [unrolled: 1-line block ×3, first 2 shown]
	v_cmp_eq_u32_e64 s6, 5, v149
	v_cmp_eq_u32_e64 s7, 7, v149
	s_waitcnt lgkmcnt(3)
	v_max3_f32 v136, v129, 0xff7fffff, v130
	s_waitcnt lgkmcnt(2)
	s_delay_alu instid0(VALU_DEP_1) | instskip(SKIP_1) | instid1(VALU_DEP_1)
	v_max3_f32 v136, v136, v131, v132
	s_waitcnt lgkmcnt(1)
	v_max3_f32 v136, v136, v133, v134
	s_waitcnt lgkmcnt(0)
	s_delay_alu instid0(VALU_DEP_1) | instskip(NEXT) | instid1(VALU_DEP_1)
	v_max3_f32 v136, v136, v160, v161
	v_sub_f32_e32 v164, v132, v136
	ds_load_2addr_b32 v[162:163], v135 offset0:136 offset1:153
	v_sub_f32_e32 v129, v129, v136
	v_sub_f32_e32 v137, v130, v136
	;; [unrolled: 1-line block ×3, first 2 shown]
	v_mul_f32_e32 v164, 0x3fb8aa3b, v164
	s_delay_alu instid0(VALU_DEP_4) | instskip(NEXT) | instid1(VALU_DEP_4)
	v_mul_f32_e32 v150, 0x3fb8aa3b, v129
	v_mul_f32_e32 v137, 0x3fb8aa3b, v137
	ds_load_2addr_b32 v[129:130], v135 offset0:170 offset1:187
	v_mul_f32_e32 v167, 0x3fb8aa3b, v133
	v_exp_f32_e32 v164, v164
	v_exp_f32_e32 v150, v150
	;; [unrolled: 1-line block ×3, first 2 shown]
	v_sub_f32_e32 v131, v131, v136
	s_delay_alu instid0(VALU_DEP_1)
	v_mul_f32_e32 v165, 0x3fb8aa3b, v131
	ds_load_2addr_b32 v[131:132], v135 offset0:204 offset1:221
	s_waitcnt lgkmcnt(2)
	v_fma_f32 v137, v150, v162, 0
	v_sub_f32_e32 v162, v134, v136
	v_exp_f32_e32 v165, v165
	ds_load_2addr_b32 v[133:134], v135 offset0:238 offset1:255
	v_sub_f32_e32 v135, v160, v136
	v_dual_fmac_f32 v137, v166, v163 :: v_dual_mul_f32 v160, 0x3fb8aa3b, v162
	v_exp_f32_e32 v162, v167
	s_waitcnt lgkmcnt(0)
	s_delay_alu instid0(VALU_DEP_2)
	v_mul_f32_e32 v135, 0x3fb8aa3b, v135
	s_barrier
	v_exp_f32_e32 v160, v160
	v_fmac_f32_e32 v137, v165, v129
	v_sub_f32_e32 v129, v161, v136
	v_exp_f32_e32 v161, v135
	buffer_gl0_inv
	v_fmac_f32_e32 v137, v164, v130
	v_dual_mul_f32 v129, 0x3fb8aa3b, v129 :: v_dual_cndmask_b32 v130, v150, v166
	s_delay_alu instid0(VALU_DEP_2) | instskip(NEXT) | instid1(VALU_DEP_2)
	v_fmac_f32_e32 v137, v162, v131
	v_exp_f32_e32 v163, v129
	s_delay_alu instid0(VALU_DEP_1) | instskip(NEXT) | instid1(VALU_DEP_1)
	v_fmac_f32_e32 v137, v160, v132
	v_fmac_f32_e32 v137, v161, v133
	v_lshlrev_b32_e32 v133, 6, v148
	s_waitcnt_depctr 0xfff
	v_fmac_f32_e32 v137, v163, v134
	v_lshl_or_b32 v135, v149, 11, v133
	s_delay_alu instid0(VALU_DEP_2) | instskip(NEXT) | instid1(VALU_DEP_1)
	v_add_f32_e32 v134, 0x358637bd, v137
	v_div_scale_f32 v167, null, v134, v134, 1.0
	v_div_scale_f32 v150, vcc_lo, 1.0, v134, 1.0
	s_delay_alu instid0(VALU_DEP_2) | instskip(SKIP_2) | instid1(VALU_DEP_1)
	v_rcp_f32_e32 v168, v167
	s_waitcnt_depctr 0xfff
	v_fma_f32 v129, -v167, v168, 1.0
	v_fmac_f32_e32 v168, v129, v168
	v_cndmask_b32_e64 v129, v130, v165, s3
	v_cmp_eq_u32_e64 s3, 6, v149
	s_delay_alu instid0(VALU_DEP_3) | instskip(NEXT) | instid1(VALU_DEP_3)
	v_mul_f32_e32 v165, v150, v168
	v_cndmask_b32_e64 v130, v129, v164, s4
	v_lshlrev_b32_e32 v129, 2, v146
	s_delay_alu instid0(VALU_DEP_3) | instskip(NEXT) | instid1(VALU_DEP_3)
	v_fma_f32 v131, -v167, v165, v150
	v_cndmask_b32_e64 v162, v130, v162, s5
	s_delay_alu instid0(VALU_DEP_3)
	v_or_b32_e32 v130, 1, v129
	v_or_b32_e32 v132, 2, v129
	v_cmp_eq_u32_e64 s4, 1, v129
	v_fmac_f32_e32 v165, v131, v168
	v_cndmask_b32_e64 v149, v162, v160, s6
	v_or_b32_e32 v131, 3, v129
	v_cmp_eq_u32_e64 s9, 1, v130
	v_cmp_eq_u32_e64 s10, 1, v132
	v_fma_f32 v150, -v167, v165, v150
	v_cndmask_b32_e64 v149, v149, v161, s3
	v_cmp_eq_u32_e64 s11, 1, v131
	v_cmp_eq_u32_e64 s5, 2, v129
	v_cmp_eq_u32_e64 s12, 2, v130
	v_div_fmas_f32 v150, v150, v168, v165
	v_cndmask_b32_e64 v149, v149, v163, s7
	v_cmp_eq_u32_e64 s15, 2, v132
	v_cmp_eq_u32_e64 s16, 2, v131
	v_cmp_eq_u32_e32 vcc_lo, 3, v129
	v_div_fixup_f32 v150, v150, v134, 1.0
	v_lshl_or_b32 v134, v146, 4, v135
	v_cmp_eq_u32_e64 s13, 3, v130
	v_cmp_eq_u32_e64 s18, 3, v131
	;; [unrolled: 1-line block ×3, first 2 shown]
	v_mul_f32_e32 v149, v149, v150
	v_cmp_eq_u32_e64 s17, 3, v132
	v_cmp_eq_u32_e64 s19, 4, v130
	;; [unrolled: 1-line block ×4, first 2 shown]
	v_fma_mixlo_f16 v160, v149, v152, 0
	v_fma_mixlo_f16 v161, v149, v154, 0
	;; [unrolled: 1-line block ×8, first 2 shown]
	v_fma_mixhi_f16 v160, v149, v151, 0
	v_fma_mixhi_f16 v161, v149, v153, 0
	v_fma_mixhi_f16 v162, v149, v138, 0
	v_fma_mixhi_f16 v163, v149, v139, 0
	v_fma_mixhi_f16 v154, v149, v140, 0
	v_fma_mixhi_f16 v155, v149, v142, 0
	v_fma_mixhi_f16 v156, v149, v144, 0
	v_fma_mixhi_f16 v157, v149, v158, 0
	ds_store_b128 v134, v[160:163]
	ds_store_b128 v134, v[154:157] offset:1024
	s_waitcnt lgkmcnt(0)
	s_barrier
	buffer_gl0_inv
	ds_load_b128 v[138:141], v135
	ds_load_b128 v[149:152], v135 offset:16
	ds_load_b128 v[153:156], v135 offset:1024
	;; [unrolled: 1-line block ×3, first 2 shown]
	v_cmp_eq_u32_e64 s20, 5, v130
	v_cmp_eq_u32_e64 s21, 4, v132
	v_cmp_eq_u32_e64 s24, 5, v131
	v_cmp_eq_u32_e64 s7, 6, v129
	v_cmp_eq_u32_e64 s23, 5, v132
	v_cmp_eq_u32_e64 s25, 6, v130
	v_cmp_eq_u32_e64 s27, 6, v131
	v_cmp_eq_u32_e64 s8, 7, v129
	v_cmp_eq_u32_e64 s26, 6, v132
	v_cmp_eq_u32_e64 s29, 7, v131
	v_cmp_eq_u32_e64 s30, 7, v130
	v_cmp_eq_u32_e64 s28, 7, v132
	s_waitcnt lgkmcnt(3)
	v_lshrrev_b32_e32 v142, 16, v138
	s_waitcnt lgkmcnt(2)
	v_lshrrev_b32_e32 v162, 16, v149
	;; [unrolled: 2-line block ×4, first 2 shown]
	v_lshrrev_b32_e32 v143, 16, v139
	v_cndmask_b32_e64 v174, v138, v142, s4
	v_cndmask_b32_e64 v175, v149, v162, s4
	;; [unrolled: 1-line block ×7, first 2 shown]
	v_lshrrev_b32_e32 v163, 16, v150
	v_cndmask_b32_e64 v179, v149, v162, s10
	v_cndmask_b32_e64 v149, v153, v166, s4
	;; [unrolled: 1-line block ×16, first 2 shown]
	v_lshrrev_b32_e32 v167, 16, v154
	v_lshrrev_b32_e32 v171, 16, v158
	v_cndmask_b32_e64 v177, v179, v150, s15
	v_cndmask_b32_e64 v142, v149, v154, s5
	;; [unrolled: 1-line block ×7, first 2 shown]
	v_cndmask_b32_e32 v157, v166, v143, vcc_lo
	v_cndmask_b32_e32 v166, v170, v163, vcc_lo
	v_cndmask_b32_e64 v170, v174, v143, s13
	v_cndmask_b32_e64 v174, v175, v163, s13
	;; [unrolled: 1-line block ×4, first 2 shown]
	v_lshrrev_b32_e32 v144, 16, v140
	v_lshrrev_b32_e32 v164, 16, v151
	v_cndmask_b32_e64 v175, v176, v143, s17
	v_cndmask_b32_e64 v176, v177, v163, s17
	v_cndmask_b32_e32 v142, v142, v167, vcc_lo
	v_cndmask_b32_e32 v143, v149, v171, vcc_lo
	v_cndmask_b32_e64 v149, v150, v167, s13
	v_cndmask_b32_e64 v150, v157, v140, s3
	;; [unrolled: 1-line block ×7, first 2 shown]
	v_lshrrev_b32_e32 v168, 16, v155
	v_cndmask_b32_e64 v170, v175, v140, s21
	v_cndmask_b32_e64 v174, v176, v151, s21
	;; [unrolled: 1-line block ×11, first 2 shown]
	v_lshrrev_b32_e32 v161, 16, v141
	v_lshrrev_b32_e32 v165, 16, v152
	v_cndmask_b32_e64 v163, v170, v144, s23
	v_cndmask_b32_e64 v166, v174, v164, s23
	v_cndmask_b32_e64 v143, v143, v168, s20
	v_cndmask_b32_e64 v144, v149, v141, s7
	v_cndmask_b32_e64 v149, v150, v152, s7
	v_cndmask_b32_e64 v150, v151, v141, s25
	v_cndmask_b32_e64 v151, v157, v152, s25
	v_cndmask_b32_e64 v138, v138, v141, s27
	v_cndmask_b32_e64 v139, v139, v152, s27
	v_lshrrev_b32_e32 v169, 16, v156
	v_cndmask_b32_e64 v140, v140, v168, s6
	v_cndmask_b32_e64 v157, v163, v141, s26
	v_cndmask_b32_e64 v163, v166, v152, s26
	v_cndmask_b32_e64 v141, v143, v156, s25
	v_cndmask_b32_e64 v143, v144, v161, s8
	v_cndmask_b32_e64 v144, v149, v165, s8
	v_cndmask_b32_e64 v149, v150, v161, s30
	v_cndmask_b32_e64 v138, v138, v161, s29
	v_cndmask_b32_e64 v139, v139, v165, s29
	v_cndmask_b32_e64 v151, v151, v165, s30
	v_cndmask_b32_e64 v140, v140, v156, s7
	v_cndmask_b32_e64 v150, v157, v161, s28
	v_cndmask_b32_e64 v152, v163, v165, s28
	v_cndmask_b32_e64 v161, v141, v169, s30
	v_perm_b32 v141, v139, v138, 0x5040100
	v_perm_b32 v139, v151, v149, 0x5040100
	v_cndmask_b32_e64 v138, v183, v158, s15
	v_cndmask_b32_e64 v149, v181, v158, s12
	;; [unrolled: 1-line block ×3, first 2 shown]
	v_perm_b32 v140, v152, v150, 0x5040100
	v_cndmask_b32_e64 v150, v162, v167, s17
	v_cndmask_b32_e64 v151, v153, v167, s18
	;; [unrolled: 1-line block ×5, first 2 shown]
	v_lshrrev_b32_e32 v172, 16, v159
	v_cndmask_b32_e64 v150, v150, v155, s21
	v_cndmask_b32_e64 v151, v151, v155, s22
	;; [unrolled: 1-line block ×11, first 2 shown]
	v_lshrrev_b32_e32 v173, 16, v160
	v_cndmask_b32_e64 v142, v142, v160, s7
	v_cndmask_b32_e64 v150, v150, v156, s26
	;; [unrolled: 1-line block ×12, first 2 shown]
	v_perm_b32 v138, v144, v143, 0x5040100
	v_perm_b32 v152, v152, v151, 0x5040100
	;; [unrolled: 1-line block ×5, first 2 shown]
	s_mul_i32 s7, s33, 10
	s_mov_b32 s3, exec_lo
	ds_store_b128 v134, v[138:141]
	ds_store_b128 v134, v[149:152] offset:1024
	v_cmpx_gt_u32_e32 10, v0
	s_cbranch_execz .LBB11_14
; %bb.13:
	s_mul_i32 s4, s7, s34
	s_load_b128 s[8:11], s[0:1], 0x58
	v_add3_u32 v140, s4, s31, v148
	s_delay_alu instid0(VALU_DEP_1) | instskip(NEXT) | instid1(VALU_DEP_1)
	v_mad_u64_u32 v[138:139], null, v140, s35, s[14:15]
	v_ashrrev_i32_e32 v139, 31, v138
	s_delay_alu instid0(VALU_DEP_1) | instskip(SKIP_1) | instid1(VALU_DEP_1)
	v_lshlrev_b64 v[138:139], 2, v[138:139]
	s_waitcnt lgkmcnt(0)
	v_add_co_u32 v140, vcc_lo, s10, v138
	s_delay_alu instid0(VALU_DEP_2)
	v_add_co_ci_u32_e32 v141, vcc_lo, s11, v139, vcc_lo
	v_add_co_u32 v138, vcc_lo, s8, v138
	v_add_co_ci_u32_e32 v139, vcc_lo, s9, v139, vcc_lo
	global_store_b32 v[140:141], v136, off
	global_store_b32 v[138:139], v137, off
.LBB11_14:
	s_or_b32 exec_lo, exec_lo, s3
	s_waitcnt lgkmcnt(0)
	s_waitcnt_vscnt null, 0x0
	s_barrier
	buffer_gl0_inv
	ds_load_b128 v[148:151], v133
	ds_load_b128 v[152:155], v133 offset:16
	ds_load_b128 v[160:163], v133 offset:1040
	;; [unrolled: 1-line block ×5, first 2 shown]
	v_cmp_eq_u32_e32 vcc_lo, 1, v132
	v_mov_b32_e32 v136, 0
	ds_load_b128 v[176:179], v133 offset:3088
	ds_load_b128 v[172:175], v133 offset:3072
	;; [unrolled: 1-line block ×4, first 2 shown]
	v_cmp_eq_u32_e64 s3, 1, v129
	v_cmp_eq_u32_e64 s4, 1, v131
	;; [unrolled: 1-line block ×3, first 2 shown]
	v_mov_b32_e32 v137, v136
	v_mov_b32_e32 v138, v136
	;; [unrolled: 1-line block ×7, first 2 shown]
	v_cmp_eq_u32_e64 s6, 2, v129
	s_waitcnt lgkmcnt(8)
	s_delay_alu instid0(VALU_DEP_2)
	v_wmma_f32_16x16x16_f16 v[136:143], v[121:128], v[148:155], v[136:143]
	ds_load_b128 v[125:128], v133 offset:5136
	ds_load_b128 v[121:124], v133 offset:5120
	s_waitcnt lgkmcnt(8)
	v_wmma_f32_16x16x16_f16 v[136:143], v[113:120], v[156:163], v[136:143]
	ds_load_b128 v[117:120], v133 offset:6160
	ds_load_b128 v[113:116], v133 offset:6144
	s_waitcnt lgkmcnt(8)
	;; [unrolled: 4-line block ×11, first 2 shown]
	s_barrier
	buffer_gl0_inv
	v_wmma_f32_16x16x16_f16 v[136:143], v[1:8], v[73:80], v[136:143]
	s_delay_alu instid0(VALU_DEP_1) | instskip(NEXT) | instid1(VALU_DEP_1)
	v_wmma_f32_16x16x16_f16 v[136:143], v[9:16], v[65:72], v[136:143]
	v_wmma_f32_16x16x16_f16 v[136:143], v[33:40], v[57:64], v[136:143]
	s_delay_alu instid0(VALU_DEP_1) | instskip(NEXT) | instid1(VALU_DEP_1)
	v_wmma_f32_16x16x16_f16 v[136:143], v[41:48], v[49:56], v[136:143]
	v_wmma_f32_16x16x16_f16 v[136:143], v[17:24], v[25:32], v[136:143]
	s_delay_alu instid0(VALU_DEP_1) | instskip(NEXT) | instid1(VALU_DEP_2)
	v_cvt_f16_f32_e64 v1, v136
	v_cvt_f16_f32_e64 v2, v137
	s_delay_alu instid0(VALU_DEP_3) | instskip(NEXT) | instid1(VALU_DEP_4)
	v_cvt_f16_f32_e64 v3, v138
	v_cvt_f16_f32_e64 v4, v139
	;; [unrolled: 1-line block ×6, first 2 shown]
	v_pack_b32_f16 v1, v1, v2
	v_pack_b32_f16 v2, v3, v4
	;; [unrolled: 1-line block ×3, first 2 shown]
	s_delay_alu instid0(VALU_DEP_4)
	v_pack_b32_f16 v4, v7, v8
	ds_store_b128 v134, v[1:4]
	s_waitcnt lgkmcnt(0)
	s_barrier
	buffer_gl0_inv
	ds_load_b128 v[1:4], v135
	ds_load_b128 v[5:8], v135 offset:16
	s_waitcnt lgkmcnt(1)
	v_lshrrev_b32_e32 v9, 16, v1
	s_waitcnt lgkmcnt(0)
	v_lshrrev_b32_e32 v13, 16, v5
	v_lshrrev_b32_e32 v10, 16, v2
	;; [unrolled: 1-line block ×4, first 2 shown]
	v_cndmask_b32_e64 v17, v1, v9, s3
	v_cndmask_b32_e64 v18, v5, v13, s3
	;; [unrolled: 1-line block ×3, first 2 shown]
	v_cmp_eq_u32_e64 s3, 2, v130
	v_cndmask_b32_e64 v20, v5, v13, s5
	v_cndmask_b32_e32 v21, v1, v9, vcc_lo
	v_cndmask_b32_e32 v22, v5, v13, vcc_lo
	v_cndmask_b32_e64 v1, v1, v9, s4
	v_cndmask_b32_e64 v5, v5, v13, s4
	v_cmp_eq_u32_e32 vcc_lo, 2, v132
	v_cmp_eq_u32_e64 s4, 2, v131
	v_cndmask_b32_e64 v9, v17, v2, s6
	v_cndmask_b32_e64 v13, v18, v6, s6
	;; [unrolled: 1-line block ×4, first 2 shown]
	v_cndmask_b32_e32 v19, v21, v2, vcc_lo
	v_cmp_eq_u32_e64 s3, 3, v132
	v_cndmask_b32_e32 v20, v22, v6, vcc_lo
	v_cndmask_b32_e64 v1, v1, v2, s4
	v_cmp_eq_u32_e32 vcc_lo, 3, v131
	v_cmp_eq_u32_e64 s5, 3, v129
	v_cndmask_b32_e64 v2, v5, v6, s4
	v_cmp_eq_u32_e64 s4, 3, v130
	v_cmp_eq_u32_e64 s6, 4, v129
	v_cndmask_b32_e32 v1, v1, v10, vcc_lo
	v_cndmask_b32_e64 v5, v9, v10, s5
	v_cndmask_b32_e64 v6, v13, v14, s5
	;; [unrolled: 1-line block ×3, first 2 shown]
	v_cmp_eq_u32_e64 s5, 4, v130
	v_cndmask_b32_e64 v13, v18, v14, s4
	v_cndmask_b32_e64 v17, v19, v10, s3
	;; [unrolled: 1-line block ×3, first 2 shown]
	v_cndmask_b32_e32 v2, v2, v14, vcc_lo
	v_cmp_eq_u32_e32 vcc_lo, 4, v132
	v_cmp_eq_u32_e64 s4, 4, v131
	v_lshrrev_b32_e32 v15, 16, v7
	v_cndmask_b32_e64 v5, v5, v3, s6
	v_cndmask_b32_e64 v6, v6, v7, s6
	v_cndmask_b32_e32 v14, v18, v7, vcc_lo
	v_cndmask_b32_e64 v9, v9, v3, s5
	v_cndmask_b32_e64 v10, v13, v7, s5
	v_cndmask_b32_e32 v13, v17, v3, vcc_lo
	v_cmp_eq_u32_e64 s3, 5, v132
	v_cndmask_b32_e64 v1, v1, v3, s4
	v_cmp_eq_u32_e32 vcc_lo, 5, v131
	v_cmp_eq_u32_e64 s5, 5, v129
	v_cndmask_b32_e64 v2, v2, v7, s4
	v_cmp_eq_u32_e64 s4, 5, v130
	v_cmp_eq_u32_e64 s6, 6, v129
	v_lshrrev_b32_e32 v12, 16, v4
	v_cndmask_b32_e64 v3, v5, v11, s5
	v_cndmask_b32_e64 v5, v6, v15, s5
	;; [unrolled: 1-line block ×3, first 2 shown]
	v_cmp_eq_u32_e64 s5, 6, v130
	v_cndmask_b32_e64 v7, v10, v15, s4
	v_cndmask_b32_e64 v9, v13, v11, s3
	;; [unrolled: 1-line block ×3, first 2 shown]
	v_cndmask_b32_e32 v1, v1, v11, vcc_lo
	v_cndmask_b32_e32 v2, v2, v15, vcc_lo
	v_cmp_eq_u32_e32 vcc_lo, 6, v132
	v_cmp_eq_u32_e64 s3, 6, v131
	v_lshrrev_b32_e32 v16, 16, v8
	v_cndmask_b32_e64 v3, v3, v4, s6
	v_cndmask_b32_e64 v5, v5, v8, s6
	v_cndmask_b32_e32 v9, v9, v4, vcc_lo
	v_cndmask_b32_e64 v6, v6, v4, s5
	v_cndmask_b32_e64 v7, v7, v8, s5
	v_cmp_eq_u32_e64 s4, 7, v132
	v_cndmask_b32_e32 v10, v10, v8, vcc_lo
	v_cndmask_b32_e64 v1, v1, v4, s3
	v_cmp_eq_u32_e32 vcc_lo, 7, v131
	v_cndmask_b32_e64 v2, v2, v8, s3
	v_cmp_eq_u32_e64 s3, 7, v129
	v_cmp_eq_u32_e64 s5, 7, v130
	v_cndmask_b32_e32 v1, v1, v12, vcc_lo
	s_delay_alu instid0(VALU_DEP_4) | instskip(NEXT) | instid1(VALU_DEP_4)
	v_cndmask_b32_e32 v2, v2, v16, vcc_lo
	v_cndmask_b32_e64 v8, v3, v12, s3
	s_delay_alu instid0(VALU_DEP_4)
	v_cndmask_b32_e64 v6, v6, v12, s5
	v_cndmask_b32_e64 v3, v9, v12, s4
	;; [unrolled: 1-line block ×5, first 2 shown]
	v_cmp_gt_u32_e32 vcc_lo, 32, v0
	v_perm_b32 v4, v2, v1, 0x5040100
	v_perm_b32 v3, v9, v3, 0x5040100
	;; [unrolled: 1-line block ×4, first 2 shown]
	s_and_b32 s2, vcc_lo, s2
	ds_store_b128 v134, v[1:4]
	s_waitcnt lgkmcnt(0)
	s_barrier
	buffer_gl0_inv
	s_and_saveexec_b32 s3, s2
	s_cbranch_execz .LBB11_2
; %bb.15:
	s_load_b64 s[0:1], s[0:1], 0x68
	s_lshl_b32 s4, s35, 6
	v_or_b32_e32 v2, s31, v146
	s_mul_i32 s2, s4, s34
	v_lshlrev_b32_e32 v0, 10, v0
	s_mul_i32 s2, s2, s7
	v_lshlrev_b32_e32 v1, 4, v147
	s_ashr_i32 s3, s2, 31
	v_mul_lo_u32 v20, v2, s4
	s_lshl_b64 s[2:3], s[2:3], 1
	v_lshlrev_b32_e32 v3, 6, v146
	v_and_b32_e32 v0, 0x3800, v0
	s_delay_alu instid0(VALU_DEP_1) | instskip(NEXT) | instid1(VALU_DEP_4)
	v_or3_b32 v16, v0, v1, v3
	v_ashrrev_i32_e32 v21, 31, v20
	ds_load_b128 v[0:3], v16
	ds_load_b128 v[4:7], v16 offset:128
	s_waitcnt lgkmcnt(0)
	s_add_u32 s2, s0, s2
	s_addc_u32 s3, s1, s3
	s_lshl_b32 s0, s14, 6
	ds_load_b128 v[8:11], v16 offset:256
	ds_load_b128 v[12:15], v16 offset:384
	;; [unrolled: 1-line block ×3, first 2 shown]
	s_ashr_i32 s1, s0, 31
	s_delay_alu instid0(SALU_CYCLE_1) | instskip(NEXT) | instid1(SALU_CYCLE_1)
	s_lshl_b64 s[0:1], s[0:1], 1
	s_add_u32 s0, s2, s0
	s_addc_u32 s1, s3, s1
	s_lshl_b32 s2, s35, 7
	v_add_co_u32 v30, s0, s0, v145
	v_add_nc_u32_e32 v22, s2, v20
	v_lshlrev_b64 v[20:21], 1, v[20:21]
	v_add_co_ci_u32_e64 v31, null, s1, 0, s0
	s_delay_alu instid0(VALU_DEP_3) | instskip(SKIP_1) | instid1(VALU_DEP_4)
	v_add_nc_u32_e32 v24, s2, v22
	v_ashrrev_i32_e32 v23, 31, v22
	v_add_co_u32 v20, vcc_lo, v30, v20
	s_delay_alu instid0(VALU_DEP_4) | instskip(NEXT) | instid1(VALU_DEP_4)
	v_add_co_ci_u32_e32 v21, vcc_lo, v31, v21, vcc_lo
	v_add_nc_u32_e32 v26, s2, v24
	v_ashrrev_i32_e32 v25, 31, v24
	v_lshlrev_b64 v[22:23], 1, v[22:23]
	s_delay_alu instid0(VALU_DEP_3) | instskip(SKIP_1) | instid1(VALU_DEP_4)
	v_add_nc_u32_e32 v28, s2, v26
	v_ashrrev_i32_e32 v27, 31, v26
	v_lshlrev_b64 v[24:25], 1, v[24:25]
	s_delay_alu instid0(VALU_DEP_4) | instskip(NEXT) | instid1(VALU_DEP_4)
	v_add_co_u32 v22, vcc_lo, v30, v22
	v_ashrrev_i32_e32 v29, 31, v28
	s_delay_alu instid0(VALU_DEP_4) | instskip(SKIP_2) | instid1(VALU_DEP_4)
	v_lshlrev_b64 v[26:27], 1, v[26:27]
	v_add_co_ci_u32_e32 v23, vcc_lo, v31, v23, vcc_lo
	v_add_co_u32 v24, vcc_lo, v30, v24
	v_lshlrev_b64 v[28:29], 1, v[28:29]
	v_add_co_ci_u32_e32 v25, vcc_lo, v31, v25, vcc_lo
	v_add_co_u32 v26, vcc_lo, v30, v26
	v_add_co_ci_u32_e32 v27, vcc_lo, v31, v27, vcc_lo
	s_delay_alu instid0(VALU_DEP_4)
	v_add_co_u32 v28, vcc_lo, v30, v28
	v_add_co_ci_u32_e32 v29, vcc_lo, v31, v29, vcc_lo
	s_clause 0x1
	global_store_b128 v[20:21], v[0:3], off
	global_store_b128 v[22:23], v[4:7], off
	s_waitcnt lgkmcnt(2)
	global_store_b128 v[24:25], v[8:11], off
	s_waitcnt lgkmcnt(1)
	;; [unrolled: 2-line block ×3, first 2 shown]
	global_store_b128 v[28:29], v[16:19], off
	s_nop 0
	s_sendmsg sendmsg(MSG_DEALLOC_VGPRS)
	s_endpgm
	.section	.rodata,"a",@progbits
	.p2align	6, 0x0
	.amdhsa_kernel _Z39paged_attention_ll4mi_QKV_mfma16_kernelIDF16_DF16_LN4vllm18Fp8KVCacheDataTypeE0EhLi16ELi64ELi256ELb1ELi10EL8MFMAType0EEvPKT_PKT0_S8_ifPKiSA_SA_iPKfiiiPfSD_PS3_PT2_iSC_SC_
		.amdhsa_group_segment_fixed_size 17472
		.amdhsa_private_segment_fixed_size 0
		.amdhsa_kernarg_size 400
		.amdhsa_user_sgpr_count 13
		.amdhsa_user_sgpr_dispatch_ptr 0
		.amdhsa_user_sgpr_queue_ptr 0
		.amdhsa_user_sgpr_kernarg_segment_ptr 1
		.amdhsa_user_sgpr_dispatch_id 0
		.amdhsa_user_sgpr_private_segment_size 0
		.amdhsa_wavefront_size32 1
		.amdhsa_uses_dynamic_stack 0
		.amdhsa_enable_private_segment 0
		.amdhsa_system_sgpr_workgroup_id_x 1
		.amdhsa_system_sgpr_workgroup_id_y 1
		.amdhsa_system_sgpr_workgroup_id_z 1
		.amdhsa_system_sgpr_workgroup_info 0
		.amdhsa_system_vgpr_workitem_id 0
		.amdhsa_next_free_vgpr 198
		.amdhsa_next_free_sgpr 52
		.amdhsa_reserve_vcc 1
		.amdhsa_float_round_mode_32 0
		.amdhsa_float_round_mode_16_64 0
		.amdhsa_float_denorm_mode_32 3
		.amdhsa_float_denorm_mode_16_64 3
		.amdhsa_dx10_clamp 1
		.amdhsa_ieee_mode 1
		.amdhsa_fp16_overflow 0
		.amdhsa_workgroup_processor_mode 1
		.amdhsa_memory_ordered 1
		.amdhsa_forward_progress 0
		.amdhsa_shared_vgpr_count 0
		.amdhsa_exception_fp_ieee_invalid_op 0
		.amdhsa_exception_fp_denorm_src 0
		.amdhsa_exception_fp_ieee_div_zero 0
		.amdhsa_exception_fp_ieee_overflow 0
		.amdhsa_exception_fp_ieee_underflow 0
		.amdhsa_exception_fp_ieee_inexact 0
		.amdhsa_exception_int_div_zero 0
	.end_amdhsa_kernel
	.section	.text._Z39paged_attention_ll4mi_QKV_mfma16_kernelIDF16_DF16_LN4vllm18Fp8KVCacheDataTypeE0EhLi16ELi64ELi256ELb1ELi10EL8MFMAType0EEvPKT_PKT0_S8_ifPKiSA_SA_iPKfiiiPfSD_PS3_PT2_iSC_SC_,"axG",@progbits,_Z39paged_attention_ll4mi_QKV_mfma16_kernelIDF16_DF16_LN4vllm18Fp8KVCacheDataTypeE0EhLi16ELi64ELi256ELb1ELi10EL8MFMAType0EEvPKT_PKT0_S8_ifPKiSA_SA_iPKfiiiPfSD_PS3_PT2_iSC_SC_,comdat
.Lfunc_end11:
	.size	_Z39paged_attention_ll4mi_QKV_mfma16_kernelIDF16_DF16_LN4vllm18Fp8KVCacheDataTypeE0EhLi16ELi64ELi256ELb1ELi10EL8MFMAType0EEvPKT_PKT0_S8_ifPKiSA_SA_iPKfiiiPfSD_PS3_PT2_iSC_SC_, .Lfunc_end11-_Z39paged_attention_ll4mi_QKV_mfma16_kernelIDF16_DF16_LN4vllm18Fp8KVCacheDataTypeE0EhLi16ELi64ELi256ELb1ELi10EL8MFMAType0EEvPKT_PKT0_S8_ifPKiSA_SA_iPKfiiiPfSD_PS3_PT2_iSC_SC_
                                        ; -- End function
	.section	.AMDGPU.csdata,"",@progbits
; Kernel info:
; codeLenInByte = 7916
; NumSgprs: 54
; NumVgprs: 198
; ScratchSize: 0
; MemoryBound: 0
; FloatMode: 240
; IeeeMode: 1
; LDSByteSize: 17472 bytes/workgroup (compile time only)
; SGPRBlocks: 6
; VGPRBlocks: 24
; NumSGPRsForWavesPerEU: 54
; NumVGPRsForWavesPerEU: 198
; Occupancy: 7
; WaveLimiterHint : 1
; COMPUTE_PGM_RSRC2:SCRATCH_EN: 0
; COMPUTE_PGM_RSRC2:USER_SGPR: 13
; COMPUTE_PGM_RSRC2:TRAP_HANDLER: 0
; COMPUTE_PGM_RSRC2:TGID_X_EN: 1
; COMPUTE_PGM_RSRC2:TGID_Y_EN: 1
; COMPUTE_PGM_RSRC2:TGID_Z_EN: 1
; COMPUTE_PGM_RSRC2:TIDIG_COMP_CNT: 0
	.section	.text._Z39paged_attention_ll4mi_QKV_mfma16_kernelIDF16_DF16_LN4vllm18Fp8KVCacheDataTypeE0EhLi16ELi64ELi256ELb1ELi11EL8MFMAType0EEvPKT_PKT0_S8_ifPKiSA_SA_iPKfiiiPfSD_PS3_PT2_iSC_SC_,"axG",@progbits,_Z39paged_attention_ll4mi_QKV_mfma16_kernelIDF16_DF16_LN4vllm18Fp8KVCacheDataTypeE0EhLi16ELi64ELi256ELb1ELi11EL8MFMAType0EEvPKT_PKT0_S8_ifPKiSA_SA_iPKfiiiPfSD_PS3_PT2_iSC_SC_,comdat
	.protected	_Z39paged_attention_ll4mi_QKV_mfma16_kernelIDF16_DF16_LN4vllm18Fp8KVCacheDataTypeE0EhLi16ELi64ELi256ELb1ELi11EL8MFMAType0EEvPKT_PKT0_S8_ifPKiSA_SA_iPKfiiiPfSD_PS3_PT2_iSC_SC_ ; -- Begin function _Z39paged_attention_ll4mi_QKV_mfma16_kernelIDF16_DF16_LN4vllm18Fp8KVCacheDataTypeE0EhLi16ELi64ELi256ELb1ELi11EL8MFMAType0EEvPKT_PKT0_S8_ifPKiSA_SA_iPKfiiiPfSD_PS3_PT2_iSC_SC_
	.globl	_Z39paged_attention_ll4mi_QKV_mfma16_kernelIDF16_DF16_LN4vllm18Fp8KVCacheDataTypeE0EhLi16ELi64ELi256ELb1ELi11EL8MFMAType0EEvPKT_PKT0_S8_ifPKiSA_SA_iPKfiiiPfSD_PS3_PT2_iSC_SC_
	.p2align	8
	.type	_Z39paged_attention_ll4mi_QKV_mfma16_kernelIDF16_DF16_LN4vllm18Fp8KVCacheDataTypeE0EhLi16ELi64ELi256ELb1ELi11EL8MFMAType0EEvPKT_PKT0_S8_ifPKiSA_SA_iPKfiiiPfSD_PS3_PT2_iSC_SC_,@function
_Z39paged_attention_ll4mi_QKV_mfma16_kernelIDF16_DF16_LN4vllm18Fp8KVCacheDataTypeE0EhLi16ELi64ELi256ELb1ELi11EL8MFMAType0EEvPKT_PKT0_S8_ifPKiSA_SA_iPKfiiiPfSD_PS3_PT2_iSC_SC_: ; @_Z39paged_attention_ll4mi_QKV_mfma16_kernelIDF16_DF16_LN4vllm18Fp8KVCacheDataTypeE0EhLi16ELi64ELi256ELb1ELi11EL8MFMAType0EEvPKT_PKT0_S8_ifPKiSA_SA_iPKfiiiPfSD_PS3_PT2_iSC_SC_
; %bb.0:
	s_load_b64 s[2:3], s[0:1], 0x30
	s_mov_b32 s34, s13
	s_waitcnt lgkmcnt(0)
	s_cmp_lg_u64 s[2:3], 0
	s_cselect_b32 s6, -1, 0
	s_ashr_i32 s35, s13, 31
	s_cmp_eq_u64 s[2:3], 0
	s_cbranch_scc1 .LBB12_3
; %bb.1:
	s_lshl_b64 s[4:5], s[34:35], 2
	s_delay_alu instid0(SALU_CYCLE_1) | instskip(SKIP_4) | instid1(SALU_CYCLE_1)
	s_add_u32 s4, s2, s4
	s_addc_u32 s5, s3, s5
	s_load_b64 s[4:5], s[4:5], 0x0
	s_waitcnt lgkmcnt(0)
	s_sub_i32 s4, s5, s4
	s_cmp_eq_u32 s4, 1
	s_cselect_b32 s4, -1, 0
	s_delay_alu instid0(SALU_CYCLE_1)
	s_and_not1_b32 vcc_lo, exec_lo, s4
	s_cbranch_vccz .LBB12_4
.LBB12_2:
	s_nop 0
	s_sendmsg sendmsg(MSG_DEALLOC_VGPRS)
	s_endpgm
.LBB12_3:
.LBB12_4:
	s_load_b64 s[8:9], s[0:1], 0x28
	s_lshl_b64 s[4:5], s[34:35], 2
	s_waitcnt lgkmcnt(0)
	s_add_u32 s8, s8, s4
	s_addc_u32 s9, s9, s5
	s_lshl_b32 s31, s14, 8
	s_load_b32 s30, s[8:9], 0x0
	s_waitcnt lgkmcnt(0)
	s_cmp_ge_i32 s31, s30
	s_cbranch_scc1 .LBB12_2
; %bb.5:
	s_clause 0x1
	s_load_b128 s[8:11], s[0:1], 0x8
	s_load_b64 s[12:13], s[0:1], 0x20
	s_and_not1_b32 vcc_lo, exec_lo, s6
	s_cbranch_vccnz .LBB12_7
; %bb.6:
	s_add_u32 s2, s2, s4
	s_addc_u32 s3, s3, s5
	s_load_b32 s3, s[2:3], 0x0
	s_branch .LBB12_8
.LBB12_7:
	s_mov_b32 s3, s34
.LBB12_8:
	s_load_b128 s[4:7], s[0:1], 0x48
	v_lshrrev_b32_e32 v149, 5, v0
	v_bfe_u32 v146, v0, 4, 1
	v_and_b32_e32 v148, 15, v0
	v_and_b32_e32 v150, 31, v0
	;; [unrolled: 1-line block ×3, first 2 shown]
	s_mul_i32 s33, s15, 11
	v_lshl_or_b32 v1, v149, 1, v146
	v_lshlrev_b32_e32 v2, 3, v148
	v_cmp_gt_u32_e64 s2, 8, v148
	s_delay_alu instid0(VALU_DEP_3) | instskip(NEXT) | instid1(VALU_DEP_3)
	v_cmp_gt_u32_e32 vcc_lo, 11, v1
	v_lshlrev_b32_e32 v145, 1, v2
	s_delay_alu instid0(VALU_DEP_3)
	s_and_b32 s16, s2, vcc_lo
	s_waitcnt lgkmcnt(0)
	s_and_saveexec_b32 s7, s16
	s_cbranch_execz .LBB12_10
; %bb.9:
	s_load_b64 s[16:17], s[0:1], 0x0
	v_add_lshl_u32 v2, v1, s33, 6
	s_mul_hi_i32 s19, s3, s4
	s_mul_i32 s18, s3, s4
	v_lshlrev_b32_e32 v6, 10, v148
	s_lshl_b64 s[18:19], s[18:19], 1
	v_ashrrev_i32_e32 v3, 31, v2
	v_lshlrev_b32_e32 v1, 6, v1
	v_lshlrev_b32_e32 v7, 10, v147
	v_and_b32_e32 v6, 0x3800, v6
	s_delay_alu instid0(VALU_DEP_4) | instskip(NEXT) | instid1(VALU_DEP_2)
	v_lshlrev_b64 v[2:3], 1, v[2:3]
	v_or3_b32 v1, v6, v7, v1
	s_waitcnt lgkmcnt(0)
	s_add_u32 s3, s16, s18
	s_addc_u32 s4, s17, s19
	s_delay_alu instid0(VALU_DEP_2) | instskip(SKIP_1) | instid1(VALU_DEP_2)
	v_add_co_u32 v2, vcc_lo, s3, v2
	v_add_co_ci_u32_e32 v3, vcc_lo, s4, v3, vcc_lo
	v_add_co_u32 v2, vcc_lo, v2, v145
	s_delay_alu instid0(VALU_DEP_2)
	v_add_co_ci_u32_e32 v3, vcc_lo, 0, v3, vcc_lo
	global_load_b128 v[2:5], v[2:3], off
	s_waitcnt vmcnt(0)
	ds_store_b128 v1, v[2:5]
.LBB12_10:
	s_or_b32 exec_lo, exec_lo, s7
	s_mov_b32 s40, 0
	s_add_i32 s3, s30, 15
	s_mov_b32 s41, s40
	s_mov_b32 s42, s40
	;; [unrolled: 1-line block ×7, first 2 shown]
	s_delay_alu instid0(SALU_CYCLE_1)
	v_dual_mov_b32 v144, s47 :: v_dual_and_b32 v1, 0xef, v0
	v_mov_b32_e32 v142, s45
	s_ashr_i32 s7, s3, 31
	s_clause 0x1
	s_load_b32 s4, s[0:1], 0x38
	s_load_b32 s35, s[0:1], 0x98
	v_add_nc_u32_e32 v1, s31, v1
	s_lshr_b32 s7, s7, 28
	s_load_b32 s36, s[0:1], 0x1c
	s_add_i32 s3, s3, s7
	s_waitcnt lgkmcnt(0)
	v_ashrrev_i32_e32 v2, 31, v1
	v_or_b32_e32 v3, 16, v1
	s_ashr_i32 s3, s3, 4
	v_cmp_gt_i32_e32 vcc_lo, s30, v1
	s_add_i32 s3, s3, -1
	v_lshrrev_b32_e32 v2, 28, v2
	v_mov_b32_e32 v143, s46
	s_barrier
	buffer_gl0_inv
	s_mul_i32 s6, s15, s6
	v_dual_mov_b32 v141, s44 :: v_dual_add_nc_u32 v4, v1, v2
	v_mov_b32_e32 v139, s42
	s_mul_i32 s16, s34, s4
	v_mov_b32_e32 v137, s40
	s_delay_alu instid0(VALU_DEP_3)
	v_ashrrev_i32_e32 v4, 4, v4
	v_add_nc_u32_e32 v2, v3, v2
	s_ashr_i32 s17, s16, 31
	v_mov_b32_e32 v140, s43
	s_lshl_b64 s[16:17], s[16:17], 2
	v_cndmask_b32_e32 v1, s3, v4, vcc_lo
	v_ashrrev_i32_e32 v2, 4, v2
	v_cmp_gt_i32_e32 vcc_lo, s30, v3
	s_add_u32 s4, s12, s16
	s_addc_u32 s37, s13, s17
	s_ashr_i32 s7, s6, 31
	v_mov_b32_e32 v138, s41
	v_cndmask_b32_e32 v3, s3, v2, vcc_lo
	v_ashrrev_i32_e32 v2, 31, v1
	s_lshl_b64 s[6:7], s[6:7], 1
	s_delay_alu instid0(SALU_CYCLE_1) | instskip(NEXT) | instid1(VALU_DEP_2)
	s_add_u32 s24, s8, s6
	v_ashrrev_i32_e32 v4, 31, v3
	s_delay_alu instid0(VALU_DEP_2) | instskip(SKIP_2) | instid1(VALU_DEP_2)
	v_lshlrev_b64 v[1:2], 2, v[1:2]
	s_addc_u32 s25, s9, s7
	s_lshl_b32 s8, s14, 4
	v_lshlrev_b64 v[3:4], 2, v[3:4]
	s_ashr_i32 s9, s8, 31
	s_delay_alu instid0(VALU_DEP_2) | instskip(SKIP_1) | instid1(VALU_DEP_3)
	v_add_co_u32 v1, vcc_lo, s4, v1
	v_add_co_ci_u32_e32 v2, vcc_lo, s37, v2, vcc_lo
	v_add_co_u32 v3, vcc_lo, s4, v3
	s_delay_alu instid0(VALU_DEP_4)
	v_add_co_ci_u32_e32 v4, vcc_lo, s37, v4, vcc_lo
	s_clause 0x1
	global_load_b32 v5, v[1:2], off
	global_load_b32 v6, v[3:4], off
	s_lshl_b64 s[8:9], s[8:9], 2
	v_lshlrev_b32_e32 v3, 4, v0
	s_add_u32 s8, s4, s8
	s_addc_u32 s9, s37, s9
	s_or_b32 s12, s31, 16
	s_delay_alu instid0(SALU_CYCLE_1) | instskip(SKIP_2) | instid1(SALU_CYCLE_1)
	s_ashr_i32 s13, s12, 4
	s_cmp_lt_i32 s12, s30
	s_cselect_b32 s12, s13, s3
	s_ashr_i32 s13, s12, 31
	s_delay_alu instid0(SALU_CYCLE_1) | instskip(NEXT) | instid1(SALU_CYCLE_1)
	s_lshl_b64 s[12:13], s[12:13], 2
	s_add_u32 s12, s4, s12
	s_addc_u32 s13, s37, s13
	s_or_b32 s15, s31, 32
	s_delay_alu instid0(SALU_CYCLE_1) | instskip(SKIP_2) | instid1(SALU_CYCLE_1)
	s_ashr_i32 s16, s15, 4
	s_cmp_lt_i32 s15, s30
	s_cselect_b32 s16, s16, s3
	s_ashr_i32 s17, s16, 31
	s_delay_alu instid0(SALU_CYCLE_1) | instskip(NEXT) | instid1(SALU_CYCLE_1)
	s_lshl_b64 s[16:17], s[16:17], 2
	;; [unrolled: 10-line block ×5, first 2 shown]
	s_add_u32 s22, s4, s22
	s_addc_u32 s23, s37, s23
	s_clause 0x5
	s_load_b32 s8, s[8:9], 0x0
	s_load_b32 s12, s[12:13], 0x0
	;; [unrolled: 1-line block ×6, first 2 shown]
	s_waitcnt lgkmcnt(0)
	s_mul_hi_i32 s17, s16, s5
	s_mul_i32 s16, s16, s5
	s_waitcnt vmcnt(1)
	v_mad_i64_i32 v[1:2], null, v5, s5, 0
	v_and_b32_e32 v5, 0xf0, v3
	s_waitcnt vmcnt(0)
	v_mad_i64_i32 v[3:4], null, v6, s5, 0
	s_delay_alu instid0(VALU_DEP_2) | instskip(NEXT) | instid1(VALU_DEP_4)
	v_add_co_u32 v7, s9, s24, v5
	v_lshlrev_b64 v[1:2], 1, v[1:2]
	v_add_co_ci_u32_e64 v8, null, s25, 0, s9
	s_delay_alu instid0(VALU_DEP_4) | instskip(SKIP_1) | instid1(VALU_DEP_3)
	v_lshlrev_b64 v[5:6], 1, v[3:4]
	s_or_b32 s9, s31, 0x60
	v_add_co_u32 v3, vcc_lo, v7, v1
	s_delay_alu instid0(VALU_DEP_3) | instskip(NEXT) | instid1(VALU_DEP_3)
	v_add_co_ci_u32_e32 v4, vcc_lo, v8, v2, vcc_lo
	v_add_co_u32 v1, vcc_lo, v7, v5
	s_delay_alu instid0(VALU_DEP_4)
	v_add_co_ci_u32_e32 v2, vcc_lo, v8, v6, vcc_lo
	s_clause 0x9
	global_load_b128 v[9:12], v[3:4], off
	global_load_b128 v[13:16], v[3:4], off offset:256
	global_load_b128 v[129:132], v[1:2], off
	global_load_b128 v[133:136], v[1:2], off offset:256
	global_load_b128 v[41:44], v[3:4], off offset:512
	;; [unrolled: 1-line block ×7, first 2 shown]
	v_add_nc_u32_e32 v5, -11, v148
	v_cmp_gt_u32_e32 vcc_lo, 11, v148
	s_clause 0x1
	global_load_b128 v[151:154], v[1:2], off offset:1024
	global_load_b128 v[155:158], v[1:2], off offset:1280
	s_ashr_i32 s13, s9, 4
	s_cmp_lt_i32 s9, s30
	v_lshlrev_b32_e32 v6, 5, v148
	v_cndmask_b32_e32 v5, v5, v148, vcc_lo
	s_cselect_b32 s22, s13, s3
	s_delay_alu instid0(SALU_CYCLE_1) | instskip(NEXT) | instid1(VALU_DEP_2)
	s_ashr_i32 s23, s22, 31
	v_lshl_or_b32 v6, v149, 9, v6
	s_delay_alu instid0(VALU_DEP_2)
	v_lshlrev_b32_e32 v197, 6, v5
	ds_load_b128 v[159:162], v197
	ds_load_b128 v[163:166], v197 offset:1024
	s_clause 0x3
	global_load_b128 v[167:170], v[3:4], off offset:1536
	global_load_b128 v[171:174], v[3:4], off offset:1792
	global_load_b128 v[175:178], v[1:2], off offset:1536
	global_load_b128 v[179:182], v[1:2], off offset:1792
	s_lshl_b64 s[22:23], s[22:23], 2
	s_delay_alu instid0(SALU_CYCLE_1)
	s_add_u32 s22, s4, s22
	s_addc_u32 s23, s37, s23
	s_or_b32 s9, s31, 0x70
	s_load_b32 s46, s[22:23], 0x0
	s_ashr_i32 s13, s9, 4
	s_cmp_lt_i32 s9, s30
	s_cselect_b32 s24, s13, s3
	s_delay_alu instid0(SALU_CYCLE_1) | instskip(NEXT) | instid1(SALU_CYCLE_1)
	s_ashr_i32 s25, s24, 31
	s_lshl_b64 s[24:25], s[24:25], 2
	s_delay_alu instid0(SALU_CYCLE_1)
	s_add_u32 s24, s4, s24
	s_addc_u32 s25, s37, s25
	s_or_b32 s9, s31, 0x80
	s_load_b32 s47, s[24:25], 0x0
	s_ashr_i32 s13, s9, 4
	s_cmp_lt_i32 s9, s30
	s_cselect_b32 s26, s13, s3
	s_delay_alu instid0(SALU_CYCLE_1) | instskip(NEXT) | instid1(SALU_CYCLE_1)
	s_ashr_i32 s27, s26, 31
	s_lshl_b64 s[26:27], s[26:27], 2
	s_delay_alu instid0(SALU_CYCLE_1)
	s_add_u32 s26, s4, s26
	s_addc_u32 s27, s37, s27
	s_or_b32 s9, s31, 0x90
	s_load_b32 s48, s[26:27], 0x0
	s_ashr_i32 s13, s9, 4
	s_cmp_lt_i32 s9, s30
	s_cselect_b32 s28, s13, s3
	s_delay_alu instid0(SALU_CYCLE_1) | instskip(NEXT) | instid1(SALU_CYCLE_1)
	s_ashr_i32 s29, s28, 31
	s_lshl_b64 s[28:29], s[28:29], 2
	s_delay_alu instid0(SALU_CYCLE_1) | instskip(SKIP_2) | instid1(SALU_CYCLE_1)
	s_add_u32 s28, s4, s28
	s_addc_u32 s29, s37, s29
	s_or_b32 s9, s31, 0xa0
	s_ashr_i32 s13, s9, 4
	s_cmp_lt_i32 s9, s30
	s_cselect_b32 s38, s13, s3
	s_delay_alu instid0(SALU_CYCLE_1) | instskip(NEXT) | instid1(SALU_CYCLE_1)
	s_ashr_i32 s39, s38, 31
	s_lshl_b64 s[38:39], s[38:39], 2
	s_delay_alu instid0(SALU_CYCLE_1) | instskip(SKIP_2) | instid1(SALU_CYCLE_1)
	s_add_u32 s38, s4, s38
	s_addc_u32 s39, s37, s39
	s_or_b32 s9, s31, 0xb0
	s_ashr_i32 s13, s9, 4
	s_cmp_lt_i32 s9, s30
	s_mul_hi_i32 s9, s8, s5
	s_cselect_b32 s40, s13, s3
	s_mul_i32 s8, s8, s5
	s_ashr_i32 s41, s40, 31
	s_mul_hi_i32 s13, s12, s5
	s_lshl_b64 s[40:41], s[40:41], 2
	s_mul_i32 s12, s12, s5
	s_add_u32 s42, s4, s40
	s_addc_u32 s43, s37, s41
	s_or_b32 s19, s31, 0xc0
	s_delay_alu instid0(SALU_CYCLE_1)
	s_ashr_i32 s21, s19, 4
	s_cmp_lt_i32 s19, s30
	s_mul_hi_i32 s19, s18, s5
	s_cselect_b32 s40, s21, s3
	s_mul_i32 s18, s18, s5
	s_ashr_i32 s41, s40, 31
	s_mul_hi_i32 s21, s20, s5
	s_lshl_b64 s[40:41], s[40:41], 2
	s_mul_i32 s20, s20, s5
	s_add_u32 s44, s4, s40
	s_addc_u32 s45, s37, s41
	s_load_b32 s41, s[28:29], 0x0
	s_or_b32 s40, s31, 0xd0
	s_mul_hi_i32 s23, s15, s5
	s_ashr_i32 s22, s40, 4
	s_cmp_lt_i32 s40, s30
	s_load_b32 s40, s[38:39], 0x0
	s_cselect_b32 s24, s22, s3
	s_mul_i32 s22, s15, s5
	s_ashr_i32 s25, s24, 31
	s_waitcnt lgkmcnt(0)
	s_mul_hi_i32 s29, s48, s5
	s_lshl_b64 s[24:25], s[24:25], 2
	s_mul_i32 s28, s48, s5
	s_add_u32 s24, s4, s24
	s_addc_u32 s25, s37, s25
	s_or_b32 s49, s31, 0xe0
	s_clause 0x2
	s_load_b32 s39, s[42:43], 0x0
	s_load_b32 s38, s[44:45], 0x0
	;; [unrolled: 1-line block ×3, first 2 shown]
	s_ashr_i32 s50, s49, 4
	s_cmp_lt_i32 s49, s30
	s_mul_hi_i32 s25, s46, s5
	s_cselect_b32 s44, s50, s3
	s_mul_i32 s24, s46, s5
	s_ashr_i32 s45, s44, 31
	s_mul_hi_i32 s27, s47, s5
	s_lshl_b64 s[44:45], s[44:45], 2
	s_mul_i32 s26, s47, s5
	s_add_u32 s44, s4, s44
	s_addc_u32 s45, s37, s45
	s_or_b32 s46, s31, 0xf0
	s_mul_hi_i32 s43, s41, s5
	s_ashr_i32 s48, s46, 4
	s_cmp_lt_i32 s46, s30
	s_mul_i32 s42, s41, s5
	s_cselect_b32 s48, s48, s3
	s_mul_hi_i32 s41, s40, s5
	s_ashr_i32 s49, s48, 31
	s_mul_i32 s40, s40, s5
	s_lshl_b64 s[48:49], s[48:49], 2
	s_waitcnt lgkmcnt(0)
	s_mul_hi_i32 s47, s39, s5
	s_add_u32 s48, s4, s48
	s_addc_u32 s49, s37, s49
	s_add_u32 s3, s10, s6
	s_addc_u32 s4, s11, s7
	v_add_co_u32 v195, s3, s3, v6
	s_delay_alu instid0(VALU_DEP_1) | instskip(SKIP_2) | instid1(VALU_DEP_2)
	v_add_co_ci_u32_e64 v196, null, s4, 0, s3
	s_lshl_b64 s[6:7], s[8:9], 1
	s_lshl_b64 s[8:9], s[12:13], 1
	v_add_co_u32 v1, vcc_lo, v195, s6
	s_delay_alu instid0(VALU_DEP_2)
	v_add_co_ci_u32_e32 v2, vcc_lo, s7, v196, vcc_lo
	v_add_co_u32 v3, vcc_lo, v195, s8
	s_lshl_b64 s[10:11], s[16:17], 1
	v_add_co_ci_u32_e32 v4, vcc_lo, s9, v196, vcc_lo
	v_add_co_u32 v5, vcc_lo, v195, s10
	s_lshl_b64 s[12:13], s[18:19], 1
	;; [unrolled: 3-line block ×9, first 2 shown]
	s_mul_i32 s46, s39, s5
	v_add_co_ci_u32_e32 v54, vcc_lo, s27, v196, vcc_lo
	v_add_co_u32 v183, vcc_lo, v195, s28
	s_lshl_b64 s[40:41], s[46:47], 1
	s_mul_hi_i32 s39, s38, s5
	s_mul_i32 s38, s38, s5
	v_add_co_ci_u32_e32 v184, vcc_lo, s29, v196, vcc_lo
	v_add_co_u32 v185, vcc_lo, v195, s40
	s_lshl_b64 s[38:39], s[38:39], 1
	s_clause 0x1
	s_load_b32 s3, s[44:45], 0x0
	s_load_b32 s4, s[48:49], 0x0
	v_add_co_ci_u32_e32 v186, vcc_lo, s41, v196, vcc_lo
	v_add_co_u32 v191, vcc_lo, v195, s38
	v_add_co_ci_u32_e32 v192, vcc_lo, s39, v196, vcc_lo
	s_clause 0x17
	global_load_b128 v[121:124], v[1:2], off
	global_load_b128 v[125:128], v[1:2], off offset:16
	global_load_b128 v[113:116], v[3:4], off
	global_load_b128 v[117:120], v[3:4], off offset:16
	;; [unrolled: 2-line block ×12, first 2 shown]
	s_mul_hi_i32 s51, s15, s5
	s_mul_i32 s50, s15, s5
	s_delay_alu instid0(SALU_CYCLE_1) | instskip(NEXT) | instid1(SALU_CYCLE_1)
	s_lshl_b64 s[42:43], s[50:51], 1
	v_add_co_u32 v193, vcc_lo, v195, s42
	v_add_co_ci_u32_e32 v194, vcc_lo, s43, v196, vcc_lo
	s_waitcnt lgkmcnt(0)
	s_mul_hi_i32 s7, s3, s5
	s_mul_i32 s6, s3, s5
	s_mul_hi_i32 s9, s4, s5
	s_lshl_b64 s[6:7], s[6:7], 1
	s_mul_i32 s8, s4, s5
	s_delay_alu instid0(SALU_CYCLE_1)
	s_lshl_b64 s[4:5], s[8:9], 1
	s_waitcnt vmcnt(38)
	v_wmma_f32_16x16x16_f16 v[183:190], v[9:16], v[159:166], v[137:144]
	s_waitcnt vmcnt(36)
	v_wmma_f32_16x16x16_f16 v[137:144], v[129:136], v[159:166], v[137:144]
	s_clause 0x1
	global_load_b128 v[9:12], v[191:192], off
	global_load_b128 v[13:16], v[191:192], off offset:16
	ds_load_b128 v[129:132], v197 offset:2048
	ds_load_b128 v[133:136], v197 offset:3072
	;; [unrolled: 1-line block ×4, first 2 shown]
	v_add_co_u32 v191, vcc_lo, v195, s6
	v_add_co_ci_u32_e32 v192, vcc_lo, s7, v196, vcc_lo
	v_add_co_u32 v195, vcc_lo, v195, s4
	v_add_co_ci_u32_e32 v196, vcc_lo, s5, v196, vcc_lo
	s_waitcnt vmcnt(36) lgkmcnt(2)
	v_wmma_f32_16x16x16_f16 v[183:190], v[41:48], v[129:136], v[183:190]
	s_waitcnt vmcnt(34)
	v_wmma_f32_16x16x16_f16 v[137:144], v[33:40], v[129:136], v[137:144]
	s_clause 0x3
	global_load_b128 v[33:36], v[193:194], off
	global_load_b128 v[37:40], v[193:194], off offset:16
	global_load_b128 v[41:44], v[191:192], off
	global_load_b128 v[45:48], v[191:192], off offset:16
	v_and_b32_e32 v129, 0xe0, v0
	v_mbcnt_lo_u32_b32 v191, -1, 0
	s_waitcnt vmcnt(36) lgkmcnt(0)
	v_wmma_f32_16x16x16_f16 v[183:190], v[17:24], v[159:166], v[183:190]
	s_clause 0x1
	global_load_b128 v[17:20], v[195:196], off
	global_load_b128 v[21:24], v[195:196], off offset:16
	s_waitcnt vmcnt(36)
	v_wmma_f32_16x16x16_f16 v[137:144], v[151:158], v[159:166], v[137:144]
	v_add_nc_u32_e32 v192, s31, v129
	ds_load_b128 v[129:132], v197 offset:6144
	ds_load_b128 v[133:136], v197 offset:7168
	v_xor_b32_e32 v151, 16, v191
	s_waitcnt vmcnt(0) lgkmcnt(0)
	s_barrier
	v_or_b32_e32 v152, v192, v146
	buffer_gl0_inv
	v_cmp_gt_i32_e32 vcc_lo, 32, v151
	v_or_b32_e32 v153, 2, v152
	v_or_b32_e32 v154, 4, v152
	;; [unrolled: 1-line block ×5, first 2 shown]
	v_cmp_gt_i32_e64 s3, s30, v153
	v_cmp_gt_i32_e64 s4, s30, v154
	;; [unrolled: 1-line block ×3, first 2 shown]
	v_or_b32_e32 v158, 12, v152
	v_or_b32_e32 v159, 14, v152
	v_cmp_gt_i32_e64 s6, s30, v156
	v_wmma_f32_16x16x16_f16 v[183:190], v[167:174], v[129:136], v[183:190]
	v_wmma_f32_16x16x16_f16 v[137:144], v[175:182], v[129:136], v[137:144]
	v_cndmask_b32_e32 v151, v191, v151, vcc_lo
	v_cmp_gt_i32_e32 vcc_lo, s30, v152
	v_cmp_gt_i32_e64 s7, s30, v157
	v_dual_mul_f32 v135, s36, v184 :: v_dual_mul_f32 v136, s36, v183
	v_dual_mul_f32 v133, s36, v186 :: v_dual_mul_f32 v134, s36, v185
	v_dual_mul_f32 v131, s36, v188 :: v_dual_mul_f32 v174, s36, v138
	s_delay_alu instid0(VALU_DEP_3) | instskip(NEXT) | instid1(VALU_DEP_4)
	v_cndmask_b32_e32 v136, 0xff7fffff, v136, vcc_lo
	v_cndmask_b32_e64 v135, 0xff7fffff, v135, s3
	v_mul_f32_e32 v132, s36, v187
	v_cndmask_b32_e64 v134, 0xff7fffff, v134, s4
	v_cndmask_b32_e64 v133, 0xff7fffff, v133, s5
	v_or_b32_e32 v160, 16, v152
	v_max3_f32 v135, v136, 0xff7fffff, v135
	v_or_b32_e32 v161, 18, v152
	v_mul_f32_e32 v130, s36, v189
	v_dual_mul_f32 v172, s36, v140 :: v_dual_mul_f32 v129, s36, v190
	v_cndmask_b32_e64 v132, 0xff7fffff, v132, s6
	v_cndmask_b32_e64 v131, 0xff7fffff, v131, s7
	v_max3_f32 v133, v135, v134, v133
	v_cmp_gt_i32_e64 s8, s30, v158
	v_cmp_gt_i32_e64 s9, s30, v159
	v_or_b32_e32 v162, 20, v152
	v_or_b32_e32 v163, 22, v152
	v_mul_f32_e32 v175, s36, v137
	v_cndmask_b32_e64 v130, 0xff7fffff, v130, s8
	v_cndmask_b32_e64 v129, 0xff7fffff, v129, s9
	v_max3_f32 v131, v133, v132, v131
	v_cmp_gt_i32_e64 s10, s30, v160
	v_cmp_gt_i32_e64 s11, s30, v161
	v_or_b32_e32 v164, 24, v152
	v_or_b32_e32 v165, 26, v152
	v_mul_f32_e32 v173, s36, v139
	v_cndmask_b32_e64 v132, 0xff7fffff, v175, s10
	v_cndmask_b32_e64 v133, 0xff7fffff, v174, s11
	v_max3_f32 v129, v131, v130, v129
	v_cmp_gt_i32_e64 s12, s30, v162
	v_cmp_gt_i32_e64 s13, s30, v163
	v_or_b32_e32 v166, 28, v152
	v_or_b32_e32 v167, 30, v152
	v_dual_mul_f32 v170, s36, v142 :: v_dual_mul_f32 v171, s36, v141
	v_cndmask_b32_e64 v130, 0xff7fffff, v173, s12
	v_cndmask_b32_e64 v131, 0xff7fffff, v172, s13
	v_max3_f32 v129, v129, v132, v133
	v_cmp_gt_i32_e64 s15, s30, v164
	v_cmp_gt_i32_e64 s16, s30, v165
	v_dual_mul_f32 v168, s36, v144 :: v_dual_mul_f32 v169, s36, v143
	s_delay_alu instid0(VALU_DEP_4) | instskip(NEXT) | instid1(VALU_DEP_4)
	v_max3_f32 v129, v129, v130, v131
	v_cndmask_b32_e64 v132, 0xff7fffff, v171, s15
	s_delay_alu instid0(VALU_DEP_4) | instskip(SKIP_2) | instid1(VALU_DEP_3)
	v_cndmask_b32_e64 v133, 0xff7fffff, v170, s16
	v_cmp_gt_i32_e64 s17, s30, v166
	v_cmp_gt_i32_e64 s18, s30, v167
	v_max3_f32 v129, v129, v132, v133
	s_delay_alu instid0(VALU_DEP_3) | instskip(NEXT) | instid1(VALU_DEP_3)
	v_cndmask_b32_e64 v130, 0xff7fffff, v169, s17
	v_cndmask_b32_e64 v131, 0xff7fffff, v168, s18
	v_lshlrev_b32_e32 v132, 2, v151
	s_delay_alu instid0(VALU_DEP_2) | instskip(SKIP_3) | instid1(VALU_DEP_1)
	v_max3_f32 v129, v129, v130, v131
	ds_bpermute_b32 v130, v132, v129
	s_waitcnt lgkmcnt(0)
	v_max_f32_e32 v130, v130, v130
	v_max_f32_e32 v129, v129, v130
	s_delay_alu instid0(VALU_DEP_1) | instskip(SKIP_4) | instid1(VALU_DEP_4)
	v_fma_f32 v134, s36, v186, -v129
	v_fma_f32 v135, s36, v187, -v129
	;; [unrolled: 1-line block ×5, first 2 shown]
	v_dual_mul_f32 v134, 0x3fb8aa3b, v134 :: v_dual_mul_f32 v135, 0x3fb8aa3b, v135
	s_delay_alu instid0(VALU_DEP_4) | instskip(SKIP_1) | instid1(VALU_DEP_3)
	v_mul_f32_e32 v130, 0x3fb8aa3b, v130
	v_fma_f32 v136, s36, v189, -v129
	v_exp_f32_e32 v134, v134
	s_delay_alu instid0(VALU_DEP_3) | instskip(NEXT) | instid1(VALU_DEP_2)
	v_exp_f32_e32 v135, v135
	v_exp_f32_e32 v130, v130
	s_delay_alu instid0(VALU_DEP_1) | instskip(NEXT) | instid1(VALU_DEP_1)
	v_mul_f32_e32 v136, 0x3fb8aa3b, v136
	v_exp_f32_e32 v136, v136
	v_cndmask_b32_e64 v153, 0, v134, s5
	v_fma_f32 v134, s36, v137, -v129
	v_mul_f32_e32 v131, 0x3fb8aa3b, v131
	s_delay_alu instid0(TRANS32_DEP_3) | instskip(NEXT) | instid1(TRANS32_DEP_2)
	v_cndmask_b32_e64 v155, 0, v135, s6
	v_dual_mul_f32 v133, 0x3fb8aa3b, v133 :: v_dual_cndmask_b32 v152, 0, v130
	s_delay_alu instid0(VALU_DEP_4) | instskip(NEXT) | instid1(VALU_DEP_4)
	v_mul_f32_e32 v134, 0x3fb8aa3b, v134
	v_exp_f32_e32 v131, v131
	v_fma_f32 v135, s36, v138, -v129
	s_delay_alu instid0(VALU_DEP_3)
	v_exp_f32_e32 v133, v133
	v_fma_f32 v130, s36, v188, -v129
	v_cndmask_b32_e64 v156, 0, v136, s8
	v_fma_f32 v136, s36, v140, -v129
	v_mul_f32_e32 v135, 0x3fb8aa3b, v135
	v_exp_f32_e32 v134, v134
	v_mul_f32_e32 v130, 0x3fb8aa3b, v130
	s_delay_alu instid0(TRANS32_DEP_3) | instskip(SKIP_1) | instid1(TRANS32_DEP_2)
	v_cndmask_b32_e64 v151, 0, v131, s3
	v_add_f32_e32 v131, 0, v152
	v_cndmask_b32_e64 v154, 0, v133, s4
	v_exp_f32_e32 v135, v135
	v_fma_f32 v133, s36, v190, -v129
	v_exp_f32_e32 v130, v130
	v_dual_add_f32 v131, v131, v151 :: v_dual_mul_f32 v136, 0x3fb8aa3b, v136
	v_cmp_gt_u32_e64 s3, 16, v150
	s_delay_alu instid0(VALU_DEP_3) | instskip(NEXT) | instid1(VALU_DEP_3)
	v_mul_f32_e32 v133, 0x3fb8aa3b, v133
	v_add_f32_e32 v131, v131, v154
	s_delay_alu instid0(VALU_DEP_4) | instskip(NEXT) | instid1(TRANS32_DEP_3)
	v_exp_f32_e32 v136, v136
	v_cndmask_b32_e64 v140, 0, v135, s11
	s_delay_alu instid0(VALU_DEP_3) | instskip(NEXT) | instid1(TRANS32_DEP_3)
	v_exp_f32_e32 v133, v133
	v_cndmask_b32_e64 v138, 0, v130, s7
	v_add_f32_e32 v131, v131, v153
	v_fma_f32 v135, s36, v143, -v129
	s_delay_alu instid0(VALU_DEP_2)
	v_add_f32_e32 v130, v131, v155
	v_fma_f32 v131, s36, v139, -v129
	s_waitcnt_depctr 0xfff
	v_cndmask_b32_e64 v139, 0, v133, s9
	v_fma_f32 v133, s36, v141, -v129
	v_add_f32_e32 v130, v130, v138
	v_cndmask_b32_e64 v141, 0, v134, s10
	v_fma_f32 v134, s36, v142, -v129
	v_cndmask_b32_e64 v142, 0, v136, s13
	s_delay_alu instid0(VALU_DEP_4) | instskip(NEXT) | instid1(VALU_DEP_3)
	v_dual_mul_f32 v131, 0x3fb8aa3b, v131 :: v_dual_add_f32 v130, v130, v156
	v_mul_f32_e32 v134, 0x3fb8aa3b, v134
	s_delay_alu instid0(VALU_DEP_2) | instskip(NEXT) | instid1(VALU_DEP_2)
	v_exp_f32_e32 v131, v131
	v_add_f32_e32 v130, v130, v139
	s_delay_alu instid0(VALU_DEP_2) | instskip(NEXT) | instid1(VALU_DEP_1)
	v_exp_f32_e32 v134, v134
	v_add_f32_e32 v130, v130, v141
	s_waitcnt_depctr 0xfff
	v_cndmask_b32_e64 v143, 0, v131, s12
	v_dual_add_f32 v130, v130, v140 :: v_dual_mul_f32 v133, 0x3fb8aa3b, v133
	s_delay_alu instid0(VALU_DEP_1) | instskip(NEXT) | instid1(VALU_DEP_2)
	v_add_f32_e32 v130, v130, v143
	v_exp_f32_e32 v133, v133
	s_delay_alu instid0(VALU_DEP_1)
	v_add_f32_e32 v130, v130, v142
	s_waitcnt_depctr 0xfff
	v_cndmask_b32_e64 v157, 0, v133, s15
	v_mul_f32_e32 v131, 0x3fb8aa3b, v135
	v_fma_f32 v135, s36, v144, -v129
	v_cndmask_b32_e64 v144, 0, v134, s16
	s_delay_alu instid0(VALU_DEP_4) | instskip(NEXT) | instid1(VALU_DEP_4)
	v_add_f32_e32 v130, v130, v157
	v_exp_f32_e32 v131, v131
	s_delay_alu instid0(VALU_DEP_1) | instskip(NEXT) | instid1(VALU_DEP_1)
	v_dual_mul_f32 v133, 0x3fb8aa3b, v135 :: v_dual_add_f32 v130, v130, v144
	v_exp_f32_e32 v133, v133
	s_waitcnt_depctr 0xfff
	v_cndmask_b32_e64 v159, 0, v131, s17
	s_delay_alu instid0(VALU_DEP_1) | instskip(SKIP_1) | instid1(VALU_DEP_1)
	v_add_f32_e32 v130, v130, v159
	v_cndmask_b32_e64 v158, 0, v133, s18
	v_add_f32_e32 v130, v130, v158
	ds_bpermute_b32 v131, v132, v130
	s_and_saveexec_b32 s4, s3
	s_cbranch_execz .LBB12_12
; %bb.11:
	v_mul_u32_u24_e32 v132, 0x44, v149
	s_delay_alu instid0(VALU_DEP_1) | instskip(SKIP_1) | instid1(VALU_DEP_1)
	v_lshl_add_u32 v132, v148, 2, v132
	s_waitcnt lgkmcnt(0)
	v_dual_add_f32 v130, v130, v131 :: v_dual_add_nc_u32 v131, 0x4000, v132
	ds_store_2addr_b32 v131, v129, v130 offset1:136
.LBB12_12:
	s_or_b32 exec_lo, exec_lo, s4
	v_lshlrev_b32_e32 v129, 2, v148
	s_load_b32 s36, s[0:1], 0x94
	s_waitcnt lgkmcnt(0)
	s_barrier
	buffer_gl0_inv
	v_add_nc_u32_e32 v135, 0x4000, v129
	v_cmp_eq_u32_e32 vcc_lo, 1, v149
	v_cmp_eq_u32_e64 s4, 2, v149
	v_cmp_eq_u32_e64 s5, 3, v149
	;; [unrolled: 1-line block ×3, first 2 shown]
	ds_load_2addr_b32 v[129:130], v135 offset1:17
	ds_load_2addr_b32 v[131:132], v135 offset0:34 offset1:51
	ds_load_2addr_b32 v[133:134], v135 offset0:68 offset1:85
	;; [unrolled: 1-line block ×3, first 2 shown]
	v_cmp_eq_u32_e64 s7, 5, v149
	v_cmp_eq_u32_e64 s8, 7, v149
	s_waitcnt lgkmcnt(3)
	v_max3_f32 v136, v129, 0xff7fffff, v130
	s_waitcnt lgkmcnt(2)
	s_delay_alu instid0(VALU_DEP_1) | instskip(SKIP_1) | instid1(VALU_DEP_1)
	v_max3_f32 v136, v136, v131, v132
	s_waitcnt lgkmcnt(1)
	v_max3_f32 v136, v136, v133, v134
	s_waitcnt lgkmcnt(0)
	s_delay_alu instid0(VALU_DEP_1) | instskip(NEXT) | instid1(VALU_DEP_1)
	v_max3_f32 v136, v136, v160, v161
	v_sub_f32_e32 v164, v132, v136
	ds_load_2addr_b32 v[162:163], v135 offset0:136 offset1:153
	v_sub_f32_e32 v129, v129, v136
	v_sub_f32_e32 v137, v130, v136
	;; [unrolled: 1-line block ×3, first 2 shown]
	v_mul_f32_e32 v164, 0x3fb8aa3b, v164
	s_delay_alu instid0(VALU_DEP_4) | instskip(NEXT) | instid1(VALU_DEP_4)
	v_mul_f32_e32 v150, 0x3fb8aa3b, v129
	v_mul_f32_e32 v137, 0x3fb8aa3b, v137
	ds_load_2addr_b32 v[129:130], v135 offset0:170 offset1:187
	v_mul_f32_e32 v167, 0x3fb8aa3b, v133
	v_exp_f32_e32 v164, v164
	v_exp_f32_e32 v150, v150
	v_exp_f32_e32 v166, v137
	v_sub_f32_e32 v131, v131, v136
	s_delay_alu instid0(VALU_DEP_1)
	v_mul_f32_e32 v165, 0x3fb8aa3b, v131
	ds_load_2addr_b32 v[131:132], v135 offset0:204 offset1:221
	s_waitcnt lgkmcnt(2)
	v_fma_f32 v137, v150, v162, 0
	v_sub_f32_e32 v162, v134, v136
	v_exp_f32_e32 v165, v165
	ds_load_2addr_b32 v[133:134], v135 offset0:238 offset1:255
	v_sub_f32_e32 v135, v160, v136
	v_dual_fmac_f32 v137, v166, v163 :: v_dual_mul_f32 v160, 0x3fb8aa3b, v162
	v_exp_f32_e32 v162, v167
	s_waitcnt lgkmcnt(0)
	s_delay_alu instid0(VALU_DEP_2)
	v_mul_f32_e32 v135, 0x3fb8aa3b, v135
	s_barrier
	v_exp_f32_e32 v160, v160
	v_fmac_f32_e32 v137, v165, v129
	v_sub_f32_e32 v129, v161, v136
	v_exp_f32_e32 v161, v135
	buffer_gl0_inv
	v_fmac_f32_e32 v137, v164, v130
	v_dual_mul_f32 v129, 0x3fb8aa3b, v129 :: v_dual_cndmask_b32 v130, v150, v166
	s_delay_alu instid0(VALU_DEP_2) | instskip(NEXT) | instid1(VALU_DEP_2)
	v_fmac_f32_e32 v137, v162, v131
	v_exp_f32_e32 v163, v129
	s_delay_alu instid0(VALU_DEP_1) | instskip(NEXT) | instid1(VALU_DEP_1)
	v_fmac_f32_e32 v137, v160, v132
	v_fmac_f32_e32 v137, v161, v133
	v_lshlrev_b32_e32 v133, 6, v148
	s_waitcnt_depctr 0xfff
	v_fmac_f32_e32 v137, v163, v134
	v_lshl_or_b32 v135, v149, 11, v133
	s_delay_alu instid0(VALU_DEP_2) | instskip(NEXT) | instid1(VALU_DEP_1)
	v_add_f32_e32 v134, 0x358637bd, v137
	v_div_scale_f32 v167, null, v134, v134, 1.0
	v_div_scale_f32 v150, vcc_lo, 1.0, v134, 1.0
	s_delay_alu instid0(VALU_DEP_2) | instskip(SKIP_2) | instid1(VALU_DEP_1)
	v_rcp_f32_e32 v168, v167
	s_waitcnt_depctr 0xfff
	v_fma_f32 v129, -v167, v168, 1.0
	v_fmac_f32_e32 v168, v129, v168
	v_cndmask_b32_e64 v129, v130, v165, s4
	v_cmp_eq_u32_e64 s4, 6, v149
	s_delay_alu instid0(VALU_DEP_3) | instskip(NEXT) | instid1(VALU_DEP_3)
	v_mul_f32_e32 v165, v150, v168
	v_cndmask_b32_e64 v130, v129, v164, s5
	v_lshlrev_b32_e32 v129, 2, v146
	s_delay_alu instid0(VALU_DEP_3) | instskip(NEXT) | instid1(VALU_DEP_3)
	v_fma_f32 v131, -v167, v165, v150
	v_cndmask_b32_e64 v162, v130, v162, s6
	s_delay_alu instid0(VALU_DEP_3)
	v_or_b32_e32 v130, 1, v129
	v_or_b32_e32 v132, 2, v129
	v_cmp_eq_u32_e64 s5, 1, v129
	v_fmac_f32_e32 v165, v131, v168
	v_cndmask_b32_e64 v149, v162, v160, s7
	v_or_b32_e32 v131, 3, v129
	v_cmp_eq_u32_e64 s10, 1, v130
	v_cmp_eq_u32_e64 s11, 1, v132
	v_fma_f32 v150, -v167, v165, v150
	v_cndmask_b32_e64 v149, v149, v161, s4
	v_cmp_eq_u32_e64 s12, 1, v131
	v_cmp_eq_u32_e64 s6, 2, v129
	;; [unrolled: 1-line block ×3, first 2 shown]
	v_div_fmas_f32 v150, v150, v168, v165
	v_cndmask_b32_e64 v149, v149, v163, s8
	v_cmp_eq_u32_e64 s16, 2, v132
	v_cmp_eq_u32_e64 s17, 2, v131
	v_cmp_eq_u32_e32 vcc_lo, 3, v129
	v_div_fixup_f32 v150, v150, v134, 1.0
	v_lshl_or_b32 v134, v146, 4, v135
	v_cmp_eq_u32_e64 s15, 3, v130
	v_cmp_eq_u32_e64 s19, 3, v131
	;; [unrolled: 1-line block ×3, first 2 shown]
	v_mul_f32_e32 v149, v149, v150
	v_cmp_eq_u32_e64 s18, 3, v132
	v_cmp_eq_u32_e64 s20, 4, v130
	;; [unrolled: 1-line block ×4, first 2 shown]
	v_fma_mixlo_f16 v160, v149, v152, 0
	v_fma_mixlo_f16 v161, v149, v154, 0
	;; [unrolled: 1-line block ×8, first 2 shown]
	v_fma_mixhi_f16 v160, v149, v151, 0
	v_fma_mixhi_f16 v161, v149, v153, 0
	;; [unrolled: 1-line block ×8, first 2 shown]
	ds_store_b128 v134, v[160:163]
	ds_store_b128 v134, v[154:157] offset:1024
	s_waitcnt lgkmcnt(0)
	s_barrier
	buffer_gl0_inv
	ds_load_b128 v[138:141], v135
	ds_load_b128 v[149:152], v135 offset:16
	ds_load_b128 v[153:156], v135 offset:1024
	;; [unrolled: 1-line block ×3, first 2 shown]
	v_cmp_eq_u32_e64 s21, 5, v130
	v_cmp_eq_u32_e64 s22, 4, v132
	;; [unrolled: 1-line block ×12, first 2 shown]
	s_waitcnt lgkmcnt(3)
	v_lshrrev_b32_e32 v142, 16, v138
	s_waitcnt lgkmcnt(2)
	v_lshrrev_b32_e32 v162, 16, v149
	;; [unrolled: 2-line block ×4, first 2 shown]
	v_lshrrev_b32_e32 v143, 16, v139
	v_cndmask_b32_e64 v174, v138, v142, s5
	v_cndmask_b32_e64 v175, v149, v162, s5
	;; [unrolled: 1-line block ×7, first 2 shown]
	v_lshrrev_b32_e32 v163, 16, v150
	v_cndmask_b32_e64 v179, v149, v162, s11
	v_cndmask_b32_e64 v149, v153, v166, s5
	;; [unrolled: 1-line block ×16, first 2 shown]
	v_lshrrev_b32_e32 v167, 16, v154
	v_lshrrev_b32_e32 v171, 16, v158
	v_cndmask_b32_e64 v177, v179, v150, s16
	v_cndmask_b32_e64 v142, v149, v154, s6
	;; [unrolled: 1-line block ×7, first 2 shown]
	v_cndmask_b32_e32 v157, v166, v143, vcc_lo
	v_cndmask_b32_e32 v166, v170, v163, vcc_lo
	v_cndmask_b32_e64 v170, v174, v143, s15
	v_cndmask_b32_e64 v174, v175, v163, s15
	;; [unrolled: 1-line block ×4, first 2 shown]
	v_lshrrev_b32_e32 v144, 16, v140
	v_lshrrev_b32_e32 v164, 16, v151
	v_cndmask_b32_e64 v175, v176, v143, s18
	v_cndmask_b32_e64 v176, v177, v163, s18
	v_cndmask_b32_e32 v142, v142, v167, vcc_lo
	v_cndmask_b32_e32 v143, v149, v171, vcc_lo
	v_cndmask_b32_e64 v149, v150, v167, s15
	v_cndmask_b32_e64 v150, v157, v140, s4
	;; [unrolled: 1-line block ×7, first 2 shown]
	v_lshrrev_b32_e32 v168, 16, v155
	v_cndmask_b32_e64 v170, v175, v140, s22
	v_cndmask_b32_e64 v174, v176, v151, s22
	;; [unrolled: 1-line block ×11, first 2 shown]
	v_lshrrev_b32_e32 v161, 16, v141
	v_lshrrev_b32_e32 v165, 16, v152
	v_cndmask_b32_e64 v163, v170, v144, s24
	v_cndmask_b32_e64 v166, v174, v164, s24
	;; [unrolled: 1-line block ×9, first 2 shown]
	v_lshrrev_b32_e32 v169, 16, v156
	v_cndmask_b32_e64 v140, v140, v168, s7
	v_cndmask_b32_e64 v157, v163, v141, s27
	v_cndmask_b32_e64 v163, v166, v152, s27
	v_cndmask_b32_e64 v141, v143, v156, s26
	v_cndmask_b32_e64 v143, v144, v161, s9
	v_cndmask_b32_e64 v144, v149, v165, s9
	v_cndmask_b32_e64 v149, v150, v161, s31
	v_cndmask_b32_e64 v138, v138, v161, s30
	v_cndmask_b32_e64 v139, v139, v165, s30
	v_cndmask_b32_e64 v151, v151, v165, s31
	v_cndmask_b32_e64 v140, v140, v156, s8
	v_cndmask_b32_e64 v150, v157, v161, s29
	v_cndmask_b32_e64 v152, v163, v165, s29
	v_cndmask_b32_e64 v161, v141, v169, s31
	v_perm_b32 v141, v139, v138, 0x5040100
	v_perm_b32 v139, v151, v149, 0x5040100
	v_cndmask_b32_e64 v138, v183, v158, s16
	v_cndmask_b32_e64 v149, v181, v158, s13
	;; [unrolled: 1-line block ×3, first 2 shown]
	v_perm_b32 v140, v152, v150, 0x5040100
	v_cndmask_b32_e64 v150, v162, v167, s18
	v_cndmask_b32_e64 v151, v153, v167, s19
	;; [unrolled: 1-line block ×5, first 2 shown]
	v_lshrrev_b32_e32 v172, 16, v159
	v_cndmask_b32_e64 v150, v150, v155, s22
	v_cndmask_b32_e64 v151, v151, v155, s23
	;; [unrolled: 1-line block ×11, first 2 shown]
	v_lshrrev_b32_e32 v173, 16, v160
	v_cndmask_b32_e64 v142, v142, v160, s8
	v_cndmask_b32_e64 v150, v150, v156, s27
	;; [unrolled: 1-line block ×12, first 2 shown]
	v_perm_b32 v138, v144, v143, 0x5040100
	v_perm_b32 v152, v152, v151, 0x5040100
	;; [unrolled: 1-line block ×5, first 2 shown]
	s_mul_i32 s8, s35, 11
	s_mov_b32 s4, exec_lo
	ds_store_b128 v134, v[138:141]
	ds_store_b128 v134, v[149:152] offset:1024
	v_cmpx_gt_u32_e32 11, v0
	s_cbranch_execz .LBB12_14
; %bb.13:
	s_mul_i32 s5, s8, s34
	s_load_b128 s[16:19], s[0:1], 0x58
	v_add3_u32 v140, s5, s33, v148
	s_delay_alu instid0(VALU_DEP_1) | instskip(NEXT) | instid1(VALU_DEP_1)
	v_mad_u64_u32 v[138:139], null, v140, s36, s[14:15]
	v_ashrrev_i32_e32 v139, 31, v138
	s_delay_alu instid0(VALU_DEP_1) | instskip(SKIP_1) | instid1(VALU_DEP_1)
	v_lshlrev_b64 v[138:139], 2, v[138:139]
	s_waitcnt lgkmcnt(0)
	v_add_co_u32 v140, vcc_lo, s18, v138
	s_delay_alu instid0(VALU_DEP_2)
	v_add_co_ci_u32_e32 v141, vcc_lo, s19, v139, vcc_lo
	v_add_co_u32 v138, vcc_lo, s16, v138
	v_add_co_ci_u32_e32 v139, vcc_lo, s17, v139, vcc_lo
	global_store_b32 v[140:141], v136, off
	global_store_b32 v[138:139], v137, off
.LBB12_14:
	s_or_b32 exec_lo, exec_lo, s4
	s_waitcnt lgkmcnt(0)
	s_waitcnt_vscnt null, 0x0
	s_barrier
	buffer_gl0_inv
	ds_load_b128 v[148:151], v133
	ds_load_b128 v[152:155], v133 offset:16
	ds_load_b128 v[160:163], v133 offset:1040
	;; [unrolled: 1-line block ×5, first 2 shown]
	v_cmp_eq_u32_e32 vcc_lo, 1, v132
	v_mov_b32_e32 v136, 0
	ds_load_b128 v[176:179], v133 offset:3088
	ds_load_b128 v[172:175], v133 offset:3072
	;; [unrolled: 1-line block ×4, first 2 shown]
	v_cmp_eq_u32_e64 s4, 1, v129
	v_cmp_eq_u32_e64 s5, 1, v131
	;; [unrolled: 1-line block ×3, first 2 shown]
	v_mov_b32_e32 v137, v136
	v_mov_b32_e32 v138, v136
	;; [unrolled: 1-line block ×7, first 2 shown]
	v_cmp_eq_u32_e64 s7, 2, v129
	s_waitcnt lgkmcnt(8)
	s_delay_alu instid0(VALU_DEP_2)
	v_wmma_f32_16x16x16_f16 v[136:143], v[121:128], v[148:155], v[136:143]
	ds_load_b128 v[125:128], v133 offset:5136
	ds_load_b128 v[121:124], v133 offset:5120
	s_waitcnt lgkmcnt(8)
	v_wmma_f32_16x16x16_f16 v[136:143], v[113:120], v[156:163], v[136:143]
	ds_load_b128 v[117:120], v133 offset:6160
	ds_load_b128 v[113:116], v133 offset:6144
	s_waitcnt lgkmcnt(8)
	v_wmma_f32_16x16x16_f16 v[136:143], v[105:112], v[164:171], v[136:143]
	ds_load_b128 v[109:112], v133 offset:7184
	ds_load_b128 v[105:108], v133 offset:7168
	s_waitcnt lgkmcnt(8)
	v_wmma_f32_16x16x16_f16 v[136:143], v[97:104], v[172:179], v[136:143]
	ds_load_b128 v[101:104], v133 offset:8208
	ds_load_b128 v[97:100], v133 offset:8192
	s_waitcnt lgkmcnt(8)
	v_wmma_f32_16x16x16_f16 v[136:143], v[89:96], v[180:187], v[136:143]
	ds_load_b128 v[93:96], v133 offset:9232
	ds_load_b128 v[89:92], v133 offset:9216
	s_waitcnt lgkmcnt(8)
	v_wmma_f32_16x16x16_f16 v[136:143], v[81:88], v[121:128], v[136:143]
	ds_load_b128 v[85:88], v133 offset:10256
	ds_load_b128 v[81:84], v133 offset:10240
	s_waitcnt lgkmcnt(8)
	v_wmma_f32_16x16x16_f16 v[136:143], v[73:80], v[113:120], v[136:143]
	ds_load_b128 v[77:80], v133 offset:11280
	ds_load_b128 v[73:76], v133 offset:11264
	s_waitcnt lgkmcnt(8)
	v_wmma_f32_16x16x16_f16 v[136:143], v[65:72], v[105:112], v[136:143]
	ds_load_b128 v[69:72], v133 offset:12304
	ds_load_b128 v[65:68], v133 offset:12288
	s_waitcnt lgkmcnt(8)
	v_wmma_f32_16x16x16_f16 v[136:143], v[57:64], v[97:104], v[136:143]
	ds_load_b128 v[61:64], v133 offset:13328
	ds_load_b128 v[57:60], v133 offset:13312
	s_waitcnt lgkmcnt(8)
	v_wmma_f32_16x16x16_f16 v[136:143], v[49:56], v[89:96], v[136:143]
	ds_load_b128 v[53:56], v133 offset:14352
	ds_load_b128 v[49:52], v133 offset:14336
	s_waitcnt lgkmcnt(8)
	v_wmma_f32_16x16x16_f16 v[136:143], v[25:32], v[81:88], v[136:143]
	ds_load_b128 v[29:32], v133 offset:15376
	ds_load_b128 v[25:28], v133 offset:15360
	s_waitcnt lgkmcnt(0)
	s_barrier
	buffer_gl0_inv
	v_wmma_f32_16x16x16_f16 v[136:143], v[1:8], v[73:80], v[136:143]
	s_delay_alu instid0(VALU_DEP_1) | instskip(NEXT) | instid1(VALU_DEP_1)
	v_wmma_f32_16x16x16_f16 v[136:143], v[9:16], v[65:72], v[136:143]
	v_wmma_f32_16x16x16_f16 v[136:143], v[33:40], v[57:64], v[136:143]
	s_delay_alu instid0(VALU_DEP_1) | instskip(NEXT) | instid1(VALU_DEP_1)
	v_wmma_f32_16x16x16_f16 v[136:143], v[41:48], v[49:56], v[136:143]
	v_wmma_f32_16x16x16_f16 v[136:143], v[17:24], v[25:32], v[136:143]
	s_delay_alu instid0(VALU_DEP_1) | instskip(NEXT) | instid1(VALU_DEP_2)
	v_cvt_f16_f32_e64 v1, v136
	v_cvt_f16_f32_e64 v2, v137
	s_delay_alu instid0(VALU_DEP_3) | instskip(NEXT) | instid1(VALU_DEP_4)
	v_cvt_f16_f32_e64 v3, v138
	v_cvt_f16_f32_e64 v4, v139
	;; [unrolled: 1-line block ×6, first 2 shown]
	v_pack_b32_f16 v1, v1, v2
	v_pack_b32_f16 v2, v3, v4
	;; [unrolled: 1-line block ×3, first 2 shown]
	s_delay_alu instid0(VALU_DEP_4)
	v_pack_b32_f16 v4, v7, v8
	ds_store_b128 v134, v[1:4]
	s_waitcnt lgkmcnt(0)
	s_barrier
	buffer_gl0_inv
	ds_load_b128 v[1:4], v135
	ds_load_b128 v[5:8], v135 offset:16
	s_waitcnt lgkmcnt(1)
	v_lshrrev_b32_e32 v9, 16, v1
	s_waitcnt lgkmcnt(0)
	v_lshrrev_b32_e32 v13, 16, v5
	v_lshrrev_b32_e32 v10, 16, v2
	;; [unrolled: 1-line block ×4, first 2 shown]
	v_cndmask_b32_e64 v17, v1, v9, s4
	v_cndmask_b32_e64 v18, v5, v13, s4
	v_cndmask_b32_e64 v19, v1, v9, s6
	v_cmp_eq_u32_e64 s4, 2, v130
	v_cndmask_b32_e64 v20, v5, v13, s6
	v_cndmask_b32_e32 v21, v1, v9, vcc_lo
	v_cndmask_b32_e32 v22, v5, v13, vcc_lo
	v_cndmask_b32_e64 v1, v1, v9, s5
	v_cndmask_b32_e64 v5, v5, v13, s5
	v_cmp_eq_u32_e32 vcc_lo, 2, v132
	v_cmp_eq_u32_e64 s5, 2, v131
	v_cndmask_b32_e64 v9, v17, v2, s7
	v_cndmask_b32_e64 v13, v18, v6, s7
	;; [unrolled: 1-line block ×4, first 2 shown]
	v_cndmask_b32_e32 v19, v21, v2, vcc_lo
	v_cmp_eq_u32_e64 s4, 3, v132
	v_cndmask_b32_e32 v20, v22, v6, vcc_lo
	v_cndmask_b32_e64 v1, v1, v2, s5
	v_cmp_eq_u32_e32 vcc_lo, 3, v131
	v_cmp_eq_u32_e64 s6, 3, v129
	v_cndmask_b32_e64 v2, v5, v6, s5
	v_cmp_eq_u32_e64 s5, 3, v130
	v_cmp_eq_u32_e64 s7, 4, v129
	v_cndmask_b32_e32 v1, v1, v10, vcc_lo
	v_cndmask_b32_e64 v5, v9, v10, s6
	v_cndmask_b32_e64 v6, v13, v14, s6
	v_cndmask_b32_e64 v9, v17, v10, s5
	v_cmp_eq_u32_e64 s6, 4, v130
	v_cndmask_b32_e64 v13, v18, v14, s5
	v_cndmask_b32_e64 v17, v19, v10, s4
	;; [unrolled: 1-line block ×3, first 2 shown]
	v_cndmask_b32_e32 v2, v2, v14, vcc_lo
	v_cmp_eq_u32_e32 vcc_lo, 4, v132
	v_cmp_eq_u32_e64 s5, 4, v131
	v_lshrrev_b32_e32 v15, 16, v7
	v_cndmask_b32_e64 v5, v5, v3, s7
	v_cndmask_b32_e64 v6, v6, v7, s7
	v_cndmask_b32_e32 v14, v18, v7, vcc_lo
	v_cndmask_b32_e64 v9, v9, v3, s6
	v_cndmask_b32_e64 v10, v13, v7, s6
	v_cndmask_b32_e32 v13, v17, v3, vcc_lo
	v_cmp_eq_u32_e64 s4, 5, v132
	v_cndmask_b32_e64 v1, v1, v3, s5
	v_cmp_eq_u32_e32 vcc_lo, 5, v131
	v_cmp_eq_u32_e64 s6, 5, v129
	v_cndmask_b32_e64 v2, v2, v7, s5
	v_cmp_eq_u32_e64 s5, 5, v130
	v_cmp_eq_u32_e64 s7, 6, v129
	v_lshrrev_b32_e32 v12, 16, v4
	v_cndmask_b32_e64 v3, v5, v11, s6
	v_cndmask_b32_e64 v5, v6, v15, s6
	;; [unrolled: 1-line block ×3, first 2 shown]
	v_cmp_eq_u32_e64 s6, 6, v130
	v_cndmask_b32_e64 v7, v10, v15, s5
	v_cndmask_b32_e64 v9, v13, v11, s4
	v_cndmask_b32_e64 v10, v14, v15, s4
	v_cndmask_b32_e32 v1, v1, v11, vcc_lo
	v_cndmask_b32_e32 v2, v2, v15, vcc_lo
	v_cmp_eq_u32_e32 vcc_lo, 6, v132
	v_cmp_eq_u32_e64 s4, 6, v131
	v_lshrrev_b32_e32 v16, 16, v8
	v_cndmask_b32_e64 v3, v3, v4, s7
	v_cndmask_b32_e64 v5, v5, v8, s7
	v_cndmask_b32_e32 v9, v9, v4, vcc_lo
	v_cndmask_b32_e64 v6, v6, v4, s6
	v_cndmask_b32_e64 v7, v7, v8, s6
	v_cmp_eq_u32_e64 s5, 7, v132
	v_cndmask_b32_e32 v10, v10, v8, vcc_lo
	v_cndmask_b32_e64 v1, v1, v4, s4
	v_cmp_eq_u32_e32 vcc_lo, 7, v131
	v_cndmask_b32_e64 v2, v2, v8, s4
	v_cmp_eq_u32_e64 s4, 7, v129
	v_cmp_eq_u32_e64 s6, 7, v130
	v_cndmask_b32_e32 v1, v1, v12, vcc_lo
	s_delay_alu instid0(VALU_DEP_4) | instskip(NEXT) | instid1(VALU_DEP_4)
	v_cndmask_b32_e32 v2, v2, v16, vcc_lo
	v_cndmask_b32_e64 v8, v3, v12, s4
	s_delay_alu instid0(VALU_DEP_4)
	v_cndmask_b32_e64 v6, v6, v12, s6
	v_cndmask_b32_e64 v3, v9, v12, s5
	;; [unrolled: 1-line block ×5, first 2 shown]
	v_cmp_gt_u32_e32 vcc_lo, 32, v0
	v_perm_b32 v4, v2, v1, 0x5040100
	v_perm_b32 v3, v9, v3, 0x5040100
	;; [unrolled: 1-line block ×4, first 2 shown]
	s_and_b32 s2, vcc_lo, s2
	ds_store_b128 v134, v[1:4]
	s_waitcnt lgkmcnt(0)
	s_barrier
	buffer_gl0_inv
	s_and_saveexec_b32 s4, s2
	s_cbranch_execz .LBB12_2
; %bb.15:
	s_load_b64 s[4:5], s[0:1], 0x68
	v_lshlrev_b32_e32 v0, 10, v0
	v_lshlrev_b32_e32 v1, 4, v147
	s_lshl_b32 s0, s36, 6
	v_add_nc_u32_e32 v7, s33, v146
	s_mul_i32 s1, s0, s34
	s_delay_alu instid0(SALU_CYCLE_1) | instskip(SKIP_1) | instid1(VALU_DEP_2)
	s_mul_i32 s6, s1, s8
	v_and_or_b32 v0, 0x3800, v0, v1
	v_mul_lo_u32 v1, v7, s0
	v_add_nc_u32_e32 v2, 2, v7
	s_ashr_i32 s7, s6, 31
	v_add_nc_u32_e32 v4, 4, v7
	s_lshl_b64 s[6:7], s[6:7], 1
	v_add_nc_u32_e32 v8, 6, v7
	v_mul_lo_u32 v3, v2, s0
	v_lshl_or_b32 v19, v146, 6, v0
	v_ashrrev_i32_e32 v2, 31, v1
	v_mul_lo_u32 v11, v4, s0
	v_mul_lo_u32 v25, v8, s0
	s_waitcnt lgkmcnt(0)
	s_add_u32 s1, s4, s6
	s_addc_u32 s2, s5, s7
	s_lshl_b32 s4, s14, 6
	v_lshlrev_b64 v[5:6], 1, v[1:2]
	s_ashr_i32 s5, s4, 31
	v_ashrrev_i32_e32 v4, 31, v3
	s_lshl_b64 s[4:5], s[4:5], 1
	v_ashrrev_i32_e32 v12, 31, v11
	s_add_u32 s1, s1, s4
	s_addc_u32 s2, s2, s5
	v_add_co_u32 v1, s1, s1, v145
	s_delay_alu instid0(VALU_DEP_1) | instskip(SKIP_1) | instid1(VALU_DEP_3)
	v_add_co_ci_u32_e64 v2, null, s2, 0, s1
	v_lshlrev_b64 v[3:4], 1, v[3:4]
	v_add_co_u32 v23, vcc_lo, v1, v5
	v_add_nc_u32_e32 v5, 8, v7
	s_delay_alu instid0(VALU_DEP_4) | instskip(NEXT) | instid1(VALU_DEP_4)
	v_add_co_ci_u32_e32 v24, vcc_lo, v2, v6, vcc_lo
	v_add_co_u32 v27, vcc_lo, v1, v3
	s_delay_alu instid0(VALU_DEP_3)
	v_mul_lo_u32 v29, v5, s0
	v_add_co_ci_u32_e32 v28, vcc_lo, v2, v4, vcc_lo
	ds_load_b128 v[3:6], v19
	ds_load_b128 v[7:10], v19 offset:128
	v_lshlrev_b64 v[31:32], 1, v[11:12]
	ds_load_b128 v[11:14], v19 offset:256
	ds_load_b128 v[15:18], v19 offset:384
	;; [unrolled: 1-line block ×3, first 2 shown]
	v_ashrrev_i32_e32 v26, 31, v25
	v_ashrrev_i32_e32 v30, 31, v29
	v_add_co_u32 v31, vcc_lo, v1, v31
	s_delay_alu instid0(VALU_DEP_3) | instskip(NEXT) | instid1(VALU_DEP_3)
	v_lshlrev_b64 v[25:26], 1, v[25:26]
	v_lshlrev_b64 v[29:30], 1, v[29:30]
	v_add_co_ci_u32_e32 v32, vcc_lo, v2, v32, vcc_lo
	s_delay_alu instid0(VALU_DEP_3) | instskip(NEXT) | instid1(VALU_DEP_4)
	v_add_co_u32 v25, vcc_lo, v1, v25
	v_add_co_ci_u32_e32 v26, vcc_lo, v2, v26, vcc_lo
	s_delay_alu instid0(VALU_DEP_4)
	v_add_co_u32 v29, vcc_lo, v1, v29
	v_add_co_ci_u32_e32 v30, vcc_lo, v2, v30, vcc_lo
	s_waitcnt lgkmcnt(4)
	global_store_b128 v[23:24], v[3:6], off
	s_waitcnt lgkmcnt(3)
	global_store_b128 v[27:28], v[7:10], off
	;; [unrolled: 2-line block ×5, first 2 shown]
	s_and_b32 exec_lo, exec_lo, s3
	s_cbranch_execz .LBB12_2
; %bb.16:
	ds_load_b128 v[3:6], v0 offset:640
	s_add_i32 s1, s33, 10
	s_delay_alu instid0(SALU_CYCLE_1) | instskip(NEXT) | instid1(SALU_CYCLE_1)
	s_mul_i32 s0, s1, s0
	s_ashr_i32 s1, s0, 31
	s_delay_alu instid0(SALU_CYCLE_1) | instskip(NEXT) | instid1(SALU_CYCLE_1)
	s_lshl_b64 s[0:1], s[0:1], 1
	v_add_co_u32 v0, vcc_lo, v1, s0
	v_add_co_ci_u32_e32 v1, vcc_lo, s1, v2, vcc_lo
	s_waitcnt lgkmcnt(0)
	global_store_b128 v[0:1], v[3:6], off
	s_nop 0
	s_sendmsg sendmsg(MSG_DEALLOC_VGPRS)
	s_endpgm
	.section	.rodata,"a",@progbits
	.p2align	6, 0x0
	.amdhsa_kernel _Z39paged_attention_ll4mi_QKV_mfma16_kernelIDF16_DF16_LN4vllm18Fp8KVCacheDataTypeE0EhLi16ELi64ELi256ELb1ELi11EL8MFMAType0EEvPKT_PKT0_S8_ifPKiSA_SA_iPKfiiiPfSD_PS3_PT2_iSC_SC_
		.amdhsa_group_segment_fixed_size 17472
		.amdhsa_private_segment_fixed_size 0
		.amdhsa_kernarg_size 400
		.amdhsa_user_sgpr_count 13
		.amdhsa_user_sgpr_dispatch_ptr 0
		.amdhsa_user_sgpr_queue_ptr 0
		.amdhsa_user_sgpr_kernarg_segment_ptr 1
		.amdhsa_user_sgpr_dispatch_id 0
		.amdhsa_user_sgpr_private_segment_size 0
		.amdhsa_wavefront_size32 1
		.amdhsa_uses_dynamic_stack 0
		.amdhsa_enable_private_segment 0
		.amdhsa_system_sgpr_workgroup_id_x 1
		.amdhsa_system_sgpr_workgroup_id_y 1
		.amdhsa_system_sgpr_workgroup_id_z 1
		.amdhsa_system_sgpr_workgroup_info 0
		.amdhsa_system_vgpr_workitem_id 0
		.amdhsa_next_free_vgpr 198
		.amdhsa_next_free_sgpr 52
		.amdhsa_reserve_vcc 1
		.amdhsa_float_round_mode_32 0
		.amdhsa_float_round_mode_16_64 0
		.amdhsa_float_denorm_mode_32 3
		.amdhsa_float_denorm_mode_16_64 3
		.amdhsa_dx10_clamp 1
		.amdhsa_ieee_mode 1
		.amdhsa_fp16_overflow 0
		.amdhsa_workgroup_processor_mode 1
		.amdhsa_memory_ordered 1
		.amdhsa_forward_progress 0
		.amdhsa_shared_vgpr_count 0
		.amdhsa_exception_fp_ieee_invalid_op 0
		.amdhsa_exception_fp_denorm_src 0
		.amdhsa_exception_fp_ieee_div_zero 0
		.amdhsa_exception_fp_ieee_overflow 0
		.amdhsa_exception_fp_ieee_underflow 0
		.amdhsa_exception_fp_ieee_inexact 0
		.amdhsa_exception_int_div_zero 0
	.end_amdhsa_kernel
	.section	.text._Z39paged_attention_ll4mi_QKV_mfma16_kernelIDF16_DF16_LN4vllm18Fp8KVCacheDataTypeE0EhLi16ELi64ELi256ELb1ELi11EL8MFMAType0EEvPKT_PKT0_S8_ifPKiSA_SA_iPKfiiiPfSD_PS3_PT2_iSC_SC_,"axG",@progbits,_Z39paged_attention_ll4mi_QKV_mfma16_kernelIDF16_DF16_LN4vllm18Fp8KVCacheDataTypeE0EhLi16ELi64ELi256ELb1ELi11EL8MFMAType0EEvPKT_PKT0_S8_ifPKiSA_SA_iPKfiiiPfSD_PS3_PT2_iSC_SC_,comdat
.Lfunc_end12:
	.size	_Z39paged_attention_ll4mi_QKV_mfma16_kernelIDF16_DF16_LN4vllm18Fp8KVCacheDataTypeE0EhLi16ELi64ELi256ELb1ELi11EL8MFMAType0EEvPKT_PKT0_S8_ifPKiSA_SA_iPKfiiiPfSD_PS3_PT2_iSC_SC_, .Lfunc_end12-_Z39paged_attention_ll4mi_QKV_mfma16_kernelIDF16_DF16_LN4vllm18Fp8KVCacheDataTypeE0EhLi16ELi64ELi256ELb1ELi11EL8MFMAType0EEvPKT_PKT0_S8_ifPKiSA_SA_iPKfiiiPfSD_PS3_PT2_iSC_SC_
                                        ; -- End function
	.section	.AMDGPU.csdata,"",@progbits
; Kernel info:
; codeLenInByte = 8016
; NumSgprs: 54
; NumVgprs: 198
; ScratchSize: 0
; MemoryBound: 0
; FloatMode: 240
; IeeeMode: 1
; LDSByteSize: 17472 bytes/workgroup (compile time only)
; SGPRBlocks: 6
; VGPRBlocks: 24
; NumSGPRsForWavesPerEU: 54
; NumVGPRsForWavesPerEU: 198
; Occupancy: 7
; WaveLimiterHint : 1
; COMPUTE_PGM_RSRC2:SCRATCH_EN: 0
; COMPUTE_PGM_RSRC2:USER_SGPR: 13
; COMPUTE_PGM_RSRC2:TRAP_HANDLER: 0
; COMPUTE_PGM_RSRC2:TGID_X_EN: 1
; COMPUTE_PGM_RSRC2:TGID_Y_EN: 1
; COMPUTE_PGM_RSRC2:TGID_Z_EN: 1
; COMPUTE_PGM_RSRC2:TIDIG_COMP_CNT: 0
	.section	.text._Z39paged_attention_ll4mi_QKV_mfma16_kernelIDF16_DF16_LN4vllm18Fp8KVCacheDataTypeE0EhLi16ELi64ELi256ELb1ELi12EL8MFMAType0EEvPKT_PKT0_S8_ifPKiSA_SA_iPKfiiiPfSD_PS3_PT2_iSC_SC_,"axG",@progbits,_Z39paged_attention_ll4mi_QKV_mfma16_kernelIDF16_DF16_LN4vllm18Fp8KVCacheDataTypeE0EhLi16ELi64ELi256ELb1ELi12EL8MFMAType0EEvPKT_PKT0_S8_ifPKiSA_SA_iPKfiiiPfSD_PS3_PT2_iSC_SC_,comdat
	.protected	_Z39paged_attention_ll4mi_QKV_mfma16_kernelIDF16_DF16_LN4vllm18Fp8KVCacheDataTypeE0EhLi16ELi64ELi256ELb1ELi12EL8MFMAType0EEvPKT_PKT0_S8_ifPKiSA_SA_iPKfiiiPfSD_PS3_PT2_iSC_SC_ ; -- Begin function _Z39paged_attention_ll4mi_QKV_mfma16_kernelIDF16_DF16_LN4vllm18Fp8KVCacheDataTypeE0EhLi16ELi64ELi256ELb1ELi12EL8MFMAType0EEvPKT_PKT0_S8_ifPKiSA_SA_iPKfiiiPfSD_PS3_PT2_iSC_SC_
	.globl	_Z39paged_attention_ll4mi_QKV_mfma16_kernelIDF16_DF16_LN4vllm18Fp8KVCacheDataTypeE0EhLi16ELi64ELi256ELb1ELi12EL8MFMAType0EEvPKT_PKT0_S8_ifPKiSA_SA_iPKfiiiPfSD_PS3_PT2_iSC_SC_
	.p2align	8
	.type	_Z39paged_attention_ll4mi_QKV_mfma16_kernelIDF16_DF16_LN4vllm18Fp8KVCacheDataTypeE0EhLi16ELi64ELi256ELb1ELi12EL8MFMAType0EEvPKT_PKT0_S8_ifPKiSA_SA_iPKfiiiPfSD_PS3_PT2_iSC_SC_,@function
_Z39paged_attention_ll4mi_QKV_mfma16_kernelIDF16_DF16_LN4vllm18Fp8KVCacheDataTypeE0EhLi16ELi64ELi256ELb1ELi12EL8MFMAType0EEvPKT_PKT0_S8_ifPKiSA_SA_iPKfiiiPfSD_PS3_PT2_iSC_SC_: ; @_Z39paged_attention_ll4mi_QKV_mfma16_kernelIDF16_DF16_LN4vllm18Fp8KVCacheDataTypeE0EhLi16ELi64ELi256ELb1ELi12EL8MFMAType0EEvPKT_PKT0_S8_ifPKiSA_SA_iPKfiiiPfSD_PS3_PT2_iSC_SC_
; %bb.0:
	s_load_b64 s[2:3], s[0:1], 0x30
	s_mov_b32 s34, s13
	s_waitcnt lgkmcnt(0)
	s_cmp_lg_u64 s[2:3], 0
	s_cselect_b32 s6, -1, 0
	s_ashr_i32 s35, s13, 31
	s_cmp_eq_u64 s[2:3], 0
	s_cbranch_scc1 .LBB13_3
; %bb.1:
	s_lshl_b64 s[4:5], s[34:35], 2
	s_delay_alu instid0(SALU_CYCLE_1) | instskip(SKIP_4) | instid1(SALU_CYCLE_1)
	s_add_u32 s4, s2, s4
	s_addc_u32 s5, s3, s5
	s_load_b64 s[4:5], s[4:5], 0x0
	s_waitcnt lgkmcnt(0)
	s_sub_i32 s4, s5, s4
	s_cmp_eq_u32 s4, 1
	s_cselect_b32 s4, -1, 0
	s_delay_alu instid0(SALU_CYCLE_1)
	s_and_not1_b32 vcc_lo, exec_lo, s4
	s_cbranch_vccz .LBB13_4
.LBB13_2:
	s_endpgm
.LBB13_3:
.LBB13_4:
	s_load_b64 s[8:9], s[0:1], 0x28
	s_lshl_b64 s[4:5], s[34:35], 2
	s_waitcnt lgkmcnt(0)
	s_add_u32 s8, s8, s4
	s_addc_u32 s9, s9, s5
	s_lshl_b32 s35, s14, 8
	s_load_b32 s30, s[8:9], 0x0
	s_waitcnt lgkmcnt(0)
	s_cmp_ge_i32 s35, s30
	s_cbranch_scc1 .LBB13_2
; %bb.5:
	s_clause 0x1
	s_load_b128 s[8:11], s[0:1], 0x8
	s_load_b64 s[12:13], s[0:1], 0x20
	s_and_not1_b32 vcc_lo, exec_lo, s6
	s_cbranch_vccnz .LBB13_7
; %bb.6:
	s_add_u32 s2, s2, s4
	s_addc_u32 s3, s3, s5
	s_load_b32 s3, s[2:3], 0x0
	s_branch .LBB13_8
.LBB13_7:
	s_mov_b32 s3, s34
.LBB13_8:
	s_load_b128 s[4:7], s[0:1], 0x48
	v_and_b32_e32 v148, 15, v0
	v_cmp_gt_u32_e32 vcc_lo, 0xc0, v0
	v_lshrrev_b32_e32 v149, 5, v0
	v_and_b32_e32 v150, 31, v0
	v_and_b32_e32 v147, 1, v0
	v_lshlrev_b32_e32 v1, 3, v148
	v_cmp_gt_u32_e64 s2, 8, v148
	v_bfe_u32 v146, v0, 4, 1
	s_mul_i32 s31, s15, 12
	s_delay_alu instid0(VALU_DEP_3) | instskip(NEXT) | instid1(VALU_DEP_3)
	v_lshlrev_b32_e32 v145, 1, v1
	s_and_b32 s16, vcc_lo, s2
	s_waitcnt lgkmcnt(0)
	s_and_saveexec_b32 s7, s16
	s_cbranch_execz .LBB13_10
; %bb.9:
	s_load_b64 s[16:17], s[0:1], 0x0
	v_lshl_or_b32 v5, v149, 1, v146
	s_mul_hi_i32 s19, s3, s4
	s_mul_i32 s18, s3, s4
	v_lshlrev_b32_e32 v6, 10, v148
	s_lshl_b64 s[18:19], s[18:19], 1
	v_add_lshl_u32 v1, v5, s31, 6
	v_lshlrev_b32_e32 v5, 6, v5
	v_lshlrev_b32_e32 v7, 10, v147
	v_and_b32_e32 v6, 0x3800, v6
	s_delay_alu instid0(VALU_DEP_4) | instskip(NEXT) | instid1(VALU_DEP_2)
	v_ashrrev_i32_e32 v2, 31, v1
	v_or3_b32 v5, v6, v7, v5
	s_delay_alu instid0(VALU_DEP_2) | instskip(SKIP_3) | instid1(VALU_DEP_1)
	v_lshlrev_b64 v[1:2], 1, v[1:2]
	s_waitcnt lgkmcnt(0)
	s_add_u32 s3, s16, s18
	s_addc_u32 s4, s17, s19
	v_add_co_u32 v1, vcc_lo, s3, v1
	s_delay_alu instid0(VALU_DEP_2) | instskip(NEXT) | instid1(VALU_DEP_2)
	v_add_co_ci_u32_e32 v2, vcc_lo, s4, v2, vcc_lo
	v_add_co_u32 v1, vcc_lo, v1, v145
	s_delay_alu instid0(VALU_DEP_2)
	v_add_co_ci_u32_e32 v2, vcc_lo, 0, v2, vcc_lo
	global_load_b128 v[1:4], v[1:2], off
	s_waitcnt vmcnt(0)
	ds_store_b128 v5, v[1:4]
.LBB13_10:
	s_or_b32 exec_lo, exec_lo, s7
	s_mov_b32 s40, 0
	s_add_i32 s3, s30, 15
	s_mov_b32 s41, s40
	s_mov_b32 s42, s40
	;; [unrolled: 1-line block ×7, first 2 shown]
	s_delay_alu instid0(SALU_CYCLE_1)
	v_dual_mov_b32 v144, s47 :: v_dual_and_b32 v1, 0xef, v0
	v_mov_b32_e32 v142, s45
	s_ashr_i32 s7, s3, 31
	s_clause 0x1
	s_load_b32 s4, s[0:1], 0x38
	s_load_b32 s33, s[0:1], 0x98
	v_add_nc_u32_e32 v1, s35, v1
	s_lshr_b32 s7, s7, 28
	s_load_b32 s36, s[0:1], 0x1c
	s_add_i32 s3, s3, s7
	s_waitcnt lgkmcnt(0)
	v_ashrrev_i32_e32 v2, 31, v1
	v_or_b32_e32 v3, 16, v1
	s_ashr_i32 s3, s3, 4
	v_cmp_gt_i32_e32 vcc_lo, s30, v1
	s_add_i32 s3, s3, -1
	v_lshrrev_b32_e32 v2, 28, v2
	v_mov_b32_e32 v143, s46
	s_barrier
	buffer_gl0_inv
	s_mul_i32 s6, s15, s6
	v_dual_mov_b32 v141, s44 :: v_dual_add_nc_u32 v4, v1, v2
	v_mov_b32_e32 v139, s42
	s_mul_i32 s16, s34, s4
	v_mov_b32_e32 v137, s40
	s_delay_alu instid0(VALU_DEP_3)
	v_ashrrev_i32_e32 v4, 4, v4
	v_add_nc_u32_e32 v2, v3, v2
	s_ashr_i32 s17, s16, 31
	v_mov_b32_e32 v140, s43
	s_lshl_b64 s[16:17], s[16:17], 2
	v_cndmask_b32_e32 v1, s3, v4, vcc_lo
	v_ashrrev_i32_e32 v2, 4, v2
	v_cmp_gt_i32_e32 vcc_lo, s30, v3
	s_add_u32 s4, s12, s16
	s_addc_u32 s37, s13, s17
	s_ashr_i32 s7, s6, 31
	v_mov_b32_e32 v138, s41
	v_cndmask_b32_e32 v3, s3, v2, vcc_lo
	v_ashrrev_i32_e32 v2, 31, v1
	s_lshl_b64 s[6:7], s[6:7], 1
	s_delay_alu instid0(SALU_CYCLE_1) | instskip(NEXT) | instid1(VALU_DEP_2)
	s_add_u32 s24, s8, s6
	v_ashrrev_i32_e32 v4, 31, v3
	s_delay_alu instid0(VALU_DEP_2) | instskip(SKIP_2) | instid1(VALU_DEP_2)
	v_lshlrev_b64 v[1:2], 2, v[1:2]
	s_addc_u32 s25, s9, s7
	s_lshl_b32 s8, s14, 4
	v_lshlrev_b64 v[3:4], 2, v[3:4]
	s_ashr_i32 s9, s8, 31
	s_delay_alu instid0(VALU_DEP_2) | instskip(SKIP_1) | instid1(VALU_DEP_3)
	v_add_co_u32 v1, vcc_lo, s4, v1
	v_add_co_ci_u32_e32 v2, vcc_lo, s37, v2, vcc_lo
	v_add_co_u32 v3, vcc_lo, s4, v3
	s_delay_alu instid0(VALU_DEP_4)
	v_add_co_ci_u32_e32 v4, vcc_lo, s37, v4, vcc_lo
	s_clause 0x1
	global_load_b32 v5, v[1:2], off
	global_load_b32 v6, v[3:4], off
	s_lshl_b64 s[8:9], s[8:9], 2
	v_lshlrev_b32_e32 v3, 4, v0
	s_add_u32 s8, s4, s8
	s_addc_u32 s9, s37, s9
	s_or_b32 s12, s35, 16
	s_delay_alu instid0(SALU_CYCLE_1) | instskip(SKIP_2) | instid1(SALU_CYCLE_1)
	s_ashr_i32 s13, s12, 4
	s_cmp_lt_i32 s12, s30
	s_cselect_b32 s12, s13, s3
	s_ashr_i32 s13, s12, 31
	s_delay_alu instid0(SALU_CYCLE_1) | instskip(NEXT) | instid1(SALU_CYCLE_1)
	s_lshl_b64 s[12:13], s[12:13], 2
	s_add_u32 s12, s4, s12
	s_addc_u32 s13, s37, s13
	s_or_b32 s15, s35, 32
	s_delay_alu instid0(SALU_CYCLE_1) | instskip(SKIP_2) | instid1(SALU_CYCLE_1)
	s_ashr_i32 s16, s15, 4
	s_cmp_lt_i32 s15, s30
	s_cselect_b32 s16, s16, s3
	s_ashr_i32 s17, s16, 31
	s_delay_alu instid0(SALU_CYCLE_1) | instskip(NEXT) | instid1(SALU_CYCLE_1)
	s_lshl_b64 s[16:17], s[16:17], 2
	;; [unrolled: 10-line block ×5, first 2 shown]
	s_add_u32 s22, s4, s22
	s_addc_u32 s23, s37, s23
	s_clause 0x5
	s_load_b32 s8, s[8:9], 0x0
	s_load_b32 s12, s[12:13], 0x0
	;; [unrolled: 1-line block ×6, first 2 shown]
	s_waitcnt lgkmcnt(0)
	s_mul_hi_i32 s17, s16, s5
	s_mul_i32 s16, s16, s5
	s_waitcnt vmcnt(1)
	v_mad_i64_i32 v[1:2], null, v5, s5, 0
	v_and_b32_e32 v5, 0xf0, v3
	s_waitcnt vmcnt(0)
	v_mad_i64_i32 v[3:4], null, v6, s5, 0
	s_delay_alu instid0(VALU_DEP_2) | instskip(NEXT) | instid1(VALU_DEP_4)
	v_add_co_u32 v7, s9, s24, v5
	v_lshlrev_b64 v[1:2], 1, v[1:2]
	v_add_co_ci_u32_e64 v8, null, s25, 0, s9
	s_delay_alu instid0(VALU_DEP_4) | instskip(SKIP_1) | instid1(VALU_DEP_3)
	v_lshlrev_b64 v[5:6], 1, v[3:4]
	s_or_b32 s9, s35, 0x60
	v_add_co_u32 v3, vcc_lo, v7, v1
	s_delay_alu instid0(VALU_DEP_3) | instskip(NEXT) | instid1(VALU_DEP_3)
	v_add_co_ci_u32_e32 v4, vcc_lo, v8, v2, vcc_lo
	v_add_co_u32 v1, vcc_lo, v7, v5
	s_delay_alu instid0(VALU_DEP_4)
	v_add_co_ci_u32_e32 v2, vcc_lo, v8, v6, vcc_lo
	s_clause 0x9
	global_load_b128 v[9:12], v[3:4], off
	global_load_b128 v[13:16], v[3:4], off offset:256
	global_load_b128 v[129:132], v[1:2], off
	global_load_b128 v[133:136], v[1:2], off offset:256
	global_load_b128 v[41:44], v[3:4], off offset:512
	;; [unrolled: 1-line block ×7, first 2 shown]
	v_add_nc_u32_e32 v5, -12, v148
	v_cmp_gt_u32_e32 vcc_lo, 12, v148
	s_clause 0x1
	global_load_b128 v[151:154], v[1:2], off offset:1024
	global_load_b128 v[155:158], v[1:2], off offset:1280
	s_ashr_i32 s13, s9, 4
	s_cmp_lt_i32 s9, s30
	v_lshlrev_b32_e32 v6, 5, v148
	v_cndmask_b32_e32 v5, v5, v148, vcc_lo
	s_cselect_b32 s22, s13, s3
	s_delay_alu instid0(SALU_CYCLE_1) | instskip(NEXT) | instid1(VALU_DEP_2)
	s_ashr_i32 s23, s22, 31
	v_lshl_or_b32 v6, v149, 9, v6
	s_delay_alu instid0(VALU_DEP_2)
	v_lshlrev_b32_e32 v197, 6, v5
	ds_load_b128 v[159:162], v197
	ds_load_b128 v[163:166], v197 offset:1024
	s_clause 0x3
	global_load_b128 v[167:170], v[3:4], off offset:1536
	global_load_b128 v[171:174], v[3:4], off offset:1792
	;; [unrolled: 1-line block ×4, first 2 shown]
	s_lshl_b64 s[22:23], s[22:23], 2
	s_delay_alu instid0(SALU_CYCLE_1)
	s_add_u32 s22, s4, s22
	s_addc_u32 s23, s37, s23
	s_or_b32 s9, s35, 0x70
	s_load_b32 s46, s[22:23], 0x0
	s_ashr_i32 s13, s9, 4
	s_cmp_lt_i32 s9, s30
	s_cselect_b32 s24, s13, s3
	s_delay_alu instid0(SALU_CYCLE_1) | instskip(NEXT) | instid1(SALU_CYCLE_1)
	s_ashr_i32 s25, s24, 31
	s_lshl_b64 s[24:25], s[24:25], 2
	s_delay_alu instid0(SALU_CYCLE_1)
	s_add_u32 s24, s4, s24
	s_addc_u32 s25, s37, s25
	s_or_b32 s9, s35, 0x80
	s_load_b32 s47, s[24:25], 0x0
	s_ashr_i32 s13, s9, 4
	s_cmp_lt_i32 s9, s30
	s_cselect_b32 s26, s13, s3
	s_delay_alu instid0(SALU_CYCLE_1) | instskip(NEXT) | instid1(SALU_CYCLE_1)
	s_ashr_i32 s27, s26, 31
	;; [unrolled: 11-line block ×3, first 2 shown]
	s_lshl_b64 s[28:29], s[28:29], 2
	s_delay_alu instid0(SALU_CYCLE_1) | instskip(SKIP_2) | instid1(SALU_CYCLE_1)
	s_add_u32 s28, s4, s28
	s_addc_u32 s29, s37, s29
	s_or_b32 s9, s35, 0xa0
	s_ashr_i32 s13, s9, 4
	s_cmp_lt_i32 s9, s30
	s_cselect_b32 s38, s13, s3
	s_delay_alu instid0(SALU_CYCLE_1) | instskip(NEXT) | instid1(SALU_CYCLE_1)
	s_ashr_i32 s39, s38, 31
	s_lshl_b64 s[38:39], s[38:39], 2
	s_delay_alu instid0(SALU_CYCLE_1) | instskip(SKIP_2) | instid1(SALU_CYCLE_1)
	s_add_u32 s38, s4, s38
	s_addc_u32 s39, s37, s39
	s_or_b32 s9, s35, 0xb0
	s_ashr_i32 s13, s9, 4
	s_cmp_lt_i32 s9, s30
	s_mul_hi_i32 s9, s8, s5
	s_cselect_b32 s40, s13, s3
	s_mul_i32 s8, s8, s5
	s_ashr_i32 s41, s40, 31
	s_mul_hi_i32 s13, s12, s5
	s_lshl_b64 s[40:41], s[40:41], 2
	s_mul_i32 s12, s12, s5
	s_add_u32 s42, s4, s40
	s_addc_u32 s43, s37, s41
	s_or_b32 s19, s35, 0xc0
	s_delay_alu instid0(SALU_CYCLE_1)
	s_ashr_i32 s21, s19, 4
	s_cmp_lt_i32 s19, s30
	s_mul_hi_i32 s19, s18, s5
	s_cselect_b32 s40, s21, s3
	s_mul_i32 s18, s18, s5
	s_ashr_i32 s41, s40, 31
	s_mul_hi_i32 s21, s20, s5
	s_lshl_b64 s[40:41], s[40:41], 2
	s_mul_i32 s20, s20, s5
	s_add_u32 s44, s4, s40
	s_addc_u32 s45, s37, s41
	s_load_b32 s41, s[28:29], 0x0
	s_or_b32 s40, s35, 0xd0
	s_mul_hi_i32 s23, s15, s5
	s_ashr_i32 s22, s40, 4
	s_cmp_lt_i32 s40, s30
	s_load_b32 s40, s[38:39], 0x0
	s_cselect_b32 s24, s22, s3
	s_mul_i32 s22, s15, s5
	s_ashr_i32 s25, s24, 31
	s_waitcnt lgkmcnt(0)
	s_mul_hi_i32 s29, s48, s5
	s_lshl_b64 s[24:25], s[24:25], 2
	s_mul_i32 s28, s48, s5
	s_add_u32 s24, s4, s24
	s_addc_u32 s25, s37, s25
	s_or_b32 s49, s35, 0xe0
	s_clause 0x2
	s_load_b32 s39, s[42:43], 0x0
	s_load_b32 s38, s[44:45], 0x0
	;; [unrolled: 1-line block ×3, first 2 shown]
	s_ashr_i32 s50, s49, 4
	s_cmp_lt_i32 s49, s30
	s_mul_hi_i32 s25, s46, s5
	s_cselect_b32 s44, s50, s3
	s_mul_i32 s24, s46, s5
	s_ashr_i32 s45, s44, 31
	s_mul_hi_i32 s27, s47, s5
	s_lshl_b64 s[44:45], s[44:45], 2
	s_mul_i32 s26, s47, s5
	s_add_u32 s44, s4, s44
	s_addc_u32 s45, s37, s45
	s_or_b32 s46, s35, 0xf0
	s_mul_hi_i32 s43, s41, s5
	s_ashr_i32 s48, s46, 4
	s_cmp_lt_i32 s46, s30
	s_mul_i32 s42, s41, s5
	s_cselect_b32 s48, s48, s3
	s_mul_hi_i32 s41, s40, s5
	s_ashr_i32 s49, s48, 31
	s_mul_i32 s40, s40, s5
	s_lshl_b64 s[48:49], s[48:49], 2
	s_waitcnt lgkmcnt(0)
	s_mul_hi_i32 s47, s39, s5
	s_add_u32 s48, s4, s48
	s_addc_u32 s49, s37, s49
	s_add_u32 s3, s10, s6
	s_addc_u32 s4, s11, s7
	v_add_co_u32 v195, s3, s3, v6
	s_delay_alu instid0(VALU_DEP_1) | instskip(SKIP_2) | instid1(VALU_DEP_2)
	v_add_co_ci_u32_e64 v196, null, s4, 0, s3
	s_lshl_b64 s[6:7], s[8:9], 1
	s_lshl_b64 s[8:9], s[12:13], 1
	v_add_co_u32 v1, vcc_lo, v195, s6
	s_delay_alu instid0(VALU_DEP_2)
	v_add_co_ci_u32_e32 v2, vcc_lo, s7, v196, vcc_lo
	v_add_co_u32 v3, vcc_lo, v195, s8
	s_lshl_b64 s[10:11], s[16:17], 1
	v_add_co_ci_u32_e32 v4, vcc_lo, s9, v196, vcc_lo
	v_add_co_u32 v5, vcc_lo, v195, s10
	s_lshl_b64 s[12:13], s[18:19], 1
	v_add_co_ci_u32_e32 v6, vcc_lo, s11, v196, vcc_lo
	v_add_co_u32 v7, vcc_lo, v195, s12
	s_lshl_b64 s[16:17], s[20:21], 1
	v_add_co_ci_u32_e32 v8, vcc_lo, s13, v196, vcc_lo
	v_add_co_u32 v25, vcc_lo, v195, s16
	s_lshl_b64 s[18:19], s[22:23], 1
	v_add_co_ci_u32_e32 v26, vcc_lo, s17, v196, vcc_lo
	v_add_co_u32 v27, vcc_lo, v195, s18
	s_lshl_b64 s[20:21], s[24:25], 1
	v_add_co_ci_u32_e32 v28, vcc_lo, s19, v196, vcc_lo
	v_add_co_u32 v29, vcc_lo, v195, s20
	s_lshl_b64 s[22:23], s[26:27], 1
	v_add_co_ci_u32_e32 v30, vcc_lo, s21, v196, vcc_lo
	v_add_co_u32 v31, vcc_lo, v195, s22
	s_lshl_b64 s[24:25], s[28:29], 1
	v_add_co_ci_u32_e32 v32, vcc_lo, s23, v196, vcc_lo
	v_add_co_u32 v49, vcc_lo, v195, s24
	s_lshl_b64 s[26:27], s[42:43], 1
	v_add_co_ci_u32_e32 v50, vcc_lo, s25, v196, vcc_lo
	v_add_co_u32 v53, vcc_lo, v195, s26
	s_lshl_b64 s[28:29], s[40:41], 1
	s_mul_i32 s46, s39, s5
	v_add_co_ci_u32_e32 v54, vcc_lo, s27, v196, vcc_lo
	v_add_co_u32 v183, vcc_lo, v195, s28
	s_lshl_b64 s[40:41], s[46:47], 1
	s_mul_hi_i32 s39, s38, s5
	s_mul_i32 s38, s38, s5
	v_add_co_ci_u32_e32 v184, vcc_lo, s29, v196, vcc_lo
	v_add_co_u32 v185, vcc_lo, v195, s40
	s_lshl_b64 s[38:39], s[38:39], 1
	s_clause 0x1
	s_load_b32 s3, s[44:45], 0x0
	s_load_b32 s4, s[48:49], 0x0
	v_add_co_ci_u32_e32 v186, vcc_lo, s41, v196, vcc_lo
	v_add_co_u32 v191, vcc_lo, v195, s38
	v_add_co_ci_u32_e32 v192, vcc_lo, s39, v196, vcc_lo
	s_clause 0x17
	global_load_b128 v[121:124], v[1:2], off
	global_load_b128 v[125:128], v[1:2], off offset:16
	global_load_b128 v[113:116], v[3:4], off
	global_load_b128 v[117:120], v[3:4], off offset:16
	;; [unrolled: 2-line block ×12, first 2 shown]
	s_mul_hi_i32 s51, s15, s5
	s_mul_i32 s50, s15, s5
	s_delay_alu instid0(SALU_CYCLE_1) | instskip(NEXT) | instid1(SALU_CYCLE_1)
	s_lshl_b64 s[42:43], s[50:51], 1
	v_add_co_u32 v193, vcc_lo, v195, s42
	v_add_co_ci_u32_e32 v194, vcc_lo, s43, v196, vcc_lo
	s_waitcnt lgkmcnt(0)
	s_mul_hi_i32 s7, s3, s5
	s_mul_i32 s6, s3, s5
	s_mul_hi_i32 s9, s4, s5
	s_lshl_b64 s[6:7], s[6:7], 1
	s_mul_i32 s8, s4, s5
	s_delay_alu instid0(SALU_CYCLE_1)
	s_lshl_b64 s[4:5], s[8:9], 1
	s_waitcnt vmcnt(38)
	v_wmma_f32_16x16x16_f16 v[183:190], v[9:16], v[159:166], v[137:144]
	s_waitcnt vmcnt(36)
	v_wmma_f32_16x16x16_f16 v[137:144], v[129:136], v[159:166], v[137:144]
	s_clause 0x1
	global_load_b128 v[9:12], v[191:192], off
	global_load_b128 v[13:16], v[191:192], off offset:16
	ds_load_b128 v[129:132], v197 offset:2048
	ds_load_b128 v[133:136], v197 offset:3072
	;; [unrolled: 1-line block ×4, first 2 shown]
	v_add_co_u32 v191, vcc_lo, v195, s6
	v_add_co_ci_u32_e32 v192, vcc_lo, s7, v196, vcc_lo
	v_add_co_u32 v195, vcc_lo, v195, s4
	v_add_co_ci_u32_e32 v196, vcc_lo, s5, v196, vcc_lo
	s_waitcnt vmcnt(36) lgkmcnt(2)
	v_wmma_f32_16x16x16_f16 v[183:190], v[41:48], v[129:136], v[183:190]
	s_waitcnt vmcnt(34)
	v_wmma_f32_16x16x16_f16 v[137:144], v[33:40], v[129:136], v[137:144]
	s_clause 0x3
	global_load_b128 v[33:36], v[193:194], off
	global_load_b128 v[37:40], v[193:194], off offset:16
	global_load_b128 v[41:44], v[191:192], off
	global_load_b128 v[45:48], v[191:192], off offset:16
	v_and_b32_e32 v129, 0xe0, v0
	v_mbcnt_lo_u32_b32 v191, -1, 0
	s_waitcnt vmcnt(36) lgkmcnt(0)
	v_wmma_f32_16x16x16_f16 v[183:190], v[17:24], v[159:166], v[183:190]
	s_clause 0x1
	global_load_b128 v[17:20], v[195:196], off
	global_load_b128 v[21:24], v[195:196], off offset:16
	s_waitcnt vmcnt(36)
	v_wmma_f32_16x16x16_f16 v[137:144], v[151:158], v[159:166], v[137:144]
	v_add_nc_u32_e32 v192, s35, v129
	ds_load_b128 v[129:132], v197 offset:6144
	ds_load_b128 v[133:136], v197 offset:7168
	v_xor_b32_e32 v151, 16, v191
	s_waitcnt vmcnt(0) lgkmcnt(0)
	s_barrier
	v_or_b32_e32 v152, v192, v146
	buffer_gl0_inv
	v_cmp_gt_i32_e32 vcc_lo, 32, v151
	v_or_b32_e32 v153, 2, v152
	v_or_b32_e32 v154, 4, v152
	;; [unrolled: 1-line block ×5, first 2 shown]
	v_cmp_gt_i32_e64 s3, s30, v153
	v_cmp_gt_i32_e64 s4, s30, v154
	;; [unrolled: 1-line block ×3, first 2 shown]
	v_or_b32_e32 v158, 12, v152
	v_or_b32_e32 v159, 14, v152
	v_cmp_gt_i32_e64 s6, s30, v156
	v_wmma_f32_16x16x16_f16 v[183:190], v[167:174], v[129:136], v[183:190]
	v_wmma_f32_16x16x16_f16 v[137:144], v[175:182], v[129:136], v[137:144]
	v_cndmask_b32_e32 v151, v191, v151, vcc_lo
	v_cmp_gt_i32_e32 vcc_lo, s30, v152
	v_cmp_gt_i32_e64 s7, s30, v157
	v_dual_mul_f32 v135, s36, v184 :: v_dual_mul_f32 v136, s36, v183
	v_dual_mul_f32 v133, s36, v186 :: v_dual_mul_f32 v134, s36, v185
	;; [unrolled: 1-line block ×3, first 2 shown]
	s_delay_alu instid0(VALU_DEP_3) | instskip(NEXT) | instid1(VALU_DEP_4)
	v_cndmask_b32_e32 v136, 0xff7fffff, v136, vcc_lo
	v_cndmask_b32_e64 v135, 0xff7fffff, v135, s3
	v_mul_f32_e32 v132, s36, v187
	v_cndmask_b32_e64 v134, 0xff7fffff, v134, s4
	v_cndmask_b32_e64 v133, 0xff7fffff, v133, s5
	v_or_b32_e32 v160, 16, v152
	v_max3_f32 v135, v136, 0xff7fffff, v135
	v_or_b32_e32 v161, 18, v152
	v_mul_f32_e32 v130, s36, v189
	v_dual_mul_f32 v172, s36, v140 :: v_dual_mul_f32 v129, s36, v190
	v_cndmask_b32_e64 v132, 0xff7fffff, v132, s6
	v_cndmask_b32_e64 v131, 0xff7fffff, v131, s7
	v_max3_f32 v133, v135, v134, v133
	v_cmp_gt_i32_e64 s8, s30, v158
	v_cmp_gt_i32_e64 s9, s30, v159
	v_or_b32_e32 v162, 20, v152
	v_or_b32_e32 v163, 22, v152
	v_mul_f32_e32 v175, s36, v137
	v_cndmask_b32_e64 v130, 0xff7fffff, v130, s8
	v_cndmask_b32_e64 v129, 0xff7fffff, v129, s9
	v_max3_f32 v131, v133, v132, v131
	v_cmp_gt_i32_e64 s10, s30, v160
	v_cmp_gt_i32_e64 s11, s30, v161
	v_or_b32_e32 v164, 24, v152
	v_or_b32_e32 v165, 26, v152
	v_mul_f32_e32 v173, s36, v139
	v_cndmask_b32_e64 v132, 0xff7fffff, v175, s10
	v_cndmask_b32_e64 v133, 0xff7fffff, v174, s11
	v_max3_f32 v129, v131, v130, v129
	v_cmp_gt_i32_e64 s12, s30, v162
	v_cmp_gt_i32_e64 s13, s30, v163
	v_or_b32_e32 v166, 28, v152
	v_or_b32_e32 v167, 30, v152
	v_dual_mul_f32 v170, s36, v142 :: v_dual_mul_f32 v171, s36, v141
	v_cndmask_b32_e64 v130, 0xff7fffff, v173, s12
	v_cndmask_b32_e64 v131, 0xff7fffff, v172, s13
	v_max3_f32 v129, v129, v132, v133
	v_cmp_gt_i32_e64 s15, s30, v164
	v_cmp_gt_i32_e64 s16, s30, v165
	v_dual_mul_f32 v168, s36, v144 :: v_dual_mul_f32 v169, s36, v143
	s_delay_alu instid0(VALU_DEP_4) | instskip(NEXT) | instid1(VALU_DEP_4)
	v_max3_f32 v129, v129, v130, v131
	v_cndmask_b32_e64 v132, 0xff7fffff, v171, s15
	s_delay_alu instid0(VALU_DEP_4) | instskip(SKIP_2) | instid1(VALU_DEP_3)
	v_cndmask_b32_e64 v133, 0xff7fffff, v170, s16
	v_cmp_gt_i32_e64 s17, s30, v166
	v_cmp_gt_i32_e64 s18, s30, v167
	v_max3_f32 v129, v129, v132, v133
	s_delay_alu instid0(VALU_DEP_3) | instskip(NEXT) | instid1(VALU_DEP_3)
	v_cndmask_b32_e64 v130, 0xff7fffff, v169, s17
	v_cndmask_b32_e64 v131, 0xff7fffff, v168, s18
	v_lshlrev_b32_e32 v132, 2, v151
	s_delay_alu instid0(VALU_DEP_2) | instskip(SKIP_3) | instid1(VALU_DEP_1)
	v_max3_f32 v129, v129, v130, v131
	ds_bpermute_b32 v130, v132, v129
	s_waitcnt lgkmcnt(0)
	v_max_f32_e32 v130, v130, v130
	v_max_f32_e32 v129, v129, v130
	s_delay_alu instid0(VALU_DEP_1) | instskip(SKIP_4) | instid1(VALU_DEP_4)
	v_fma_f32 v134, s36, v186, -v129
	v_fma_f32 v135, s36, v187, -v129
	;; [unrolled: 1-line block ×5, first 2 shown]
	v_dual_mul_f32 v134, 0x3fb8aa3b, v134 :: v_dual_mul_f32 v135, 0x3fb8aa3b, v135
	s_delay_alu instid0(VALU_DEP_4) | instskip(SKIP_1) | instid1(VALU_DEP_3)
	v_mul_f32_e32 v130, 0x3fb8aa3b, v130
	v_fma_f32 v136, s36, v189, -v129
	v_exp_f32_e32 v134, v134
	s_delay_alu instid0(VALU_DEP_3) | instskip(NEXT) | instid1(VALU_DEP_2)
	v_exp_f32_e32 v135, v135
	v_exp_f32_e32 v130, v130
	s_delay_alu instid0(VALU_DEP_1) | instskip(NEXT) | instid1(VALU_DEP_1)
	v_mul_f32_e32 v136, 0x3fb8aa3b, v136
	v_exp_f32_e32 v136, v136
	v_cndmask_b32_e64 v153, 0, v134, s5
	v_fma_f32 v134, s36, v137, -v129
	v_mul_f32_e32 v131, 0x3fb8aa3b, v131
	s_delay_alu instid0(TRANS32_DEP_3) | instskip(NEXT) | instid1(TRANS32_DEP_2)
	v_cndmask_b32_e64 v155, 0, v135, s6
	v_dual_mul_f32 v133, 0x3fb8aa3b, v133 :: v_dual_cndmask_b32 v152, 0, v130
	s_delay_alu instid0(VALU_DEP_4) | instskip(NEXT) | instid1(VALU_DEP_4)
	v_mul_f32_e32 v134, 0x3fb8aa3b, v134
	v_exp_f32_e32 v131, v131
	v_fma_f32 v135, s36, v138, -v129
	s_delay_alu instid0(VALU_DEP_3)
	v_exp_f32_e32 v133, v133
	v_fma_f32 v130, s36, v188, -v129
	v_cndmask_b32_e64 v156, 0, v136, s8
	v_fma_f32 v136, s36, v140, -v129
	v_mul_f32_e32 v135, 0x3fb8aa3b, v135
	v_exp_f32_e32 v134, v134
	v_mul_f32_e32 v130, 0x3fb8aa3b, v130
	s_delay_alu instid0(TRANS32_DEP_3) | instskip(SKIP_1) | instid1(TRANS32_DEP_2)
	v_cndmask_b32_e64 v151, 0, v131, s3
	v_add_f32_e32 v131, 0, v152
	v_cndmask_b32_e64 v154, 0, v133, s4
	v_exp_f32_e32 v135, v135
	v_fma_f32 v133, s36, v190, -v129
	v_exp_f32_e32 v130, v130
	v_dual_add_f32 v131, v131, v151 :: v_dual_mul_f32 v136, 0x3fb8aa3b, v136
	s_mov_b32 s3, exec_lo
	s_delay_alu instid0(VALU_DEP_2) | instskip(NEXT) | instid1(VALU_DEP_2)
	v_mul_f32_e32 v133, 0x3fb8aa3b, v133
	v_add_f32_e32 v131, v131, v154
	s_delay_alu instid0(VALU_DEP_3) | instskip(NEXT) | instid1(TRANS32_DEP_3)
	v_exp_f32_e32 v136, v136
	v_cndmask_b32_e64 v140, 0, v135, s11
	s_delay_alu instid0(VALU_DEP_3) | instskip(NEXT) | instid1(TRANS32_DEP_3)
	v_exp_f32_e32 v133, v133
	v_cndmask_b32_e64 v138, 0, v130, s7
	v_add_f32_e32 v131, v131, v153
	v_fma_f32 v135, s36, v143, -v129
	s_delay_alu instid0(VALU_DEP_2)
	v_add_f32_e32 v130, v131, v155
	v_fma_f32 v131, s36, v139, -v129
	s_waitcnt_depctr 0xfff
	v_cndmask_b32_e64 v139, 0, v133, s9
	v_fma_f32 v133, s36, v141, -v129
	v_add_f32_e32 v130, v130, v138
	v_cndmask_b32_e64 v141, 0, v134, s10
	v_fma_f32 v134, s36, v142, -v129
	v_cndmask_b32_e64 v142, 0, v136, s13
	s_delay_alu instid0(VALU_DEP_4) | instskip(NEXT) | instid1(VALU_DEP_3)
	v_dual_mul_f32 v131, 0x3fb8aa3b, v131 :: v_dual_add_f32 v130, v130, v156
	v_mul_f32_e32 v134, 0x3fb8aa3b, v134
	s_delay_alu instid0(VALU_DEP_2) | instskip(NEXT) | instid1(VALU_DEP_2)
	v_exp_f32_e32 v131, v131
	v_add_f32_e32 v130, v130, v139
	s_delay_alu instid0(VALU_DEP_2) | instskip(NEXT) | instid1(VALU_DEP_1)
	v_exp_f32_e32 v134, v134
	v_add_f32_e32 v130, v130, v141
	s_waitcnt_depctr 0xfff
	v_cndmask_b32_e64 v143, 0, v131, s12
	v_dual_add_f32 v130, v130, v140 :: v_dual_mul_f32 v133, 0x3fb8aa3b, v133
	s_delay_alu instid0(VALU_DEP_1) | instskip(NEXT) | instid1(VALU_DEP_2)
	v_add_f32_e32 v130, v130, v143
	v_exp_f32_e32 v133, v133
	s_delay_alu instid0(VALU_DEP_1)
	v_add_f32_e32 v130, v130, v142
	s_waitcnt_depctr 0xfff
	v_cndmask_b32_e64 v157, 0, v133, s15
	v_mul_f32_e32 v131, 0x3fb8aa3b, v135
	v_fma_f32 v135, s36, v144, -v129
	v_cndmask_b32_e64 v144, 0, v134, s16
	s_delay_alu instid0(VALU_DEP_4) | instskip(NEXT) | instid1(VALU_DEP_4)
	v_add_f32_e32 v130, v130, v157
	v_exp_f32_e32 v131, v131
	s_delay_alu instid0(VALU_DEP_1) | instskip(NEXT) | instid1(VALU_DEP_1)
	v_dual_mul_f32 v133, 0x3fb8aa3b, v135 :: v_dual_add_f32 v130, v130, v144
	v_exp_f32_e32 v133, v133
	s_waitcnt_depctr 0xfff
	v_cndmask_b32_e64 v159, 0, v131, s17
	s_delay_alu instid0(VALU_DEP_1) | instskip(SKIP_1) | instid1(VALU_DEP_1)
	v_add_f32_e32 v130, v130, v159
	v_cndmask_b32_e64 v158, 0, v133, s18
	v_add_f32_e32 v130, v130, v158
	ds_bpermute_b32 v131, v132, v130
	v_cmpx_gt_u32_e32 16, v150
	s_cbranch_execz .LBB13_12
; %bb.11:
	v_mul_u32_u24_e32 v132, 0x44, v149
	s_delay_alu instid0(VALU_DEP_1) | instskip(SKIP_1) | instid1(VALU_DEP_1)
	v_lshl_add_u32 v132, v148, 2, v132
	s_waitcnt lgkmcnt(0)
	v_dual_add_f32 v130, v130, v131 :: v_dual_add_nc_u32 v131, 0x4000, v132
	ds_store_2addr_b32 v131, v129, v130 offset1:136
.LBB13_12:
	s_or_b32 exec_lo, exec_lo, s3
	v_lshlrev_b32_e32 v129, 2, v148
	s_load_b32 s35, s[0:1], 0x94
	s_waitcnt lgkmcnt(0)
	s_barrier
	buffer_gl0_inv
	v_add_nc_u32_e32 v135, 0x4000, v129
	v_cmp_eq_u32_e32 vcc_lo, 1, v149
	v_cmp_eq_u32_e64 s3, 2, v149
	v_cmp_eq_u32_e64 s4, 3, v149
	;; [unrolled: 1-line block ×3, first 2 shown]
	ds_load_2addr_b32 v[129:130], v135 offset1:17
	ds_load_2addr_b32 v[131:132], v135 offset0:34 offset1:51
	ds_load_2addr_b32 v[133:134], v135 offset0:68 offset1:85
	;; [unrolled: 1-line block ×3, first 2 shown]
	v_cmp_eq_u32_e64 s6, 5, v149
	v_cmp_eq_u32_e64 s7, 7, v149
	s_waitcnt lgkmcnt(3)
	v_max3_f32 v136, v129, 0xff7fffff, v130
	s_waitcnt lgkmcnt(2)
	s_delay_alu instid0(VALU_DEP_1) | instskip(SKIP_1) | instid1(VALU_DEP_1)
	v_max3_f32 v136, v136, v131, v132
	s_waitcnt lgkmcnt(1)
	v_max3_f32 v136, v136, v133, v134
	s_waitcnt lgkmcnt(0)
	s_delay_alu instid0(VALU_DEP_1) | instskip(NEXT) | instid1(VALU_DEP_1)
	v_max3_f32 v136, v136, v160, v161
	v_sub_f32_e32 v164, v132, v136
	ds_load_2addr_b32 v[162:163], v135 offset0:136 offset1:153
	v_sub_f32_e32 v129, v129, v136
	v_sub_f32_e32 v137, v130, v136
	;; [unrolled: 1-line block ×3, first 2 shown]
	v_mul_f32_e32 v164, 0x3fb8aa3b, v164
	s_delay_alu instid0(VALU_DEP_4) | instskip(NEXT) | instid1(VALU_DEP_4)
	v_mul_f32_e32 v150, 0x3fb8aa3b, v129
	v_mul_f32_e32 v137, 0x3fb8aa3b, v137
	ds_load_2addr_b32 v[129:130], v135 offset0:170 offset1:187
	v_mul_f32_e32 v167, 0x3fb8aa3b, v133
	v_exp_f32_e32 v164, v164
	v_exp_f32_e32 v150, v150
	;; [unrolled: 1-line block ×3, first 2 shown]
	v_sub_f32_e32 v131, v131, v136
	s_delay_alu instid0(VALU_DEP_1)
	v_mul_f32_e32 v165, 0x3fb8aa3b, v131
	ds_load_2addr_b32 v[131:132], v135 offset0:204 offset1:221
	s_waitcnt lgkmcnt(2)
	v_fma_f32 v137, v150, v162, 0
	v_sub_f32_e32 v162, v134, v136
	v_exp_f32_e32 v165, v165
	ds_load_2addr_b32 v[133:134], v135 offset0:238 offset1:255
	v_sub_f32_e32 v135, v160, v136
	v_dual_fmac_f32 v137, v166, v163 :: v_dual_mul_f32 v160, 0x3fb8aa3b, v162
	v_exp_f32_e32 v162, v167
	s_waitcnt lgkmcnt(0)
	s_delay_alu instid0(VALU_DEP_2)
	v_mul_f32_e32 v135, 0x3fb8aa3b, v135
	s_barrier
	v_exp_f32_e32 v160, v160
	v_fmac_f32_e32 v137, v165, v129
	v_sub_f32_e32 v129, v161, v136
	v_exp_f32_e32 v161, v135
	buffer_gl0_inv
	v_fmac_f32_e32 v137, v164, v130
	v_dual_mul_f32 v129, 0x3fb8aa3b, v129 :: v_dual_cndmask_b32 v130, v150, v166
	s_delay_alu instid0(VALU_DEP_2) | instskip(NEXT) | instid1(VALU_DEP_2)
	v_fmac_f32_e32 v137, v162, v131
	v_exp_f32_e32 v163, v129
	s_delay_alu instid0(VALU_DEP_1) | instskip(NEXT) | instid1(VALU_DEP_1)
	v_fmac_f32_e32 v137, v160, v132
	v_fmac_f32_e32 v137, v161, v133
	v_lshlrev_b32_e32 v133, 6, v148
	s_waitcnt_depctr 0xfff
	v_fmac_f32_e32 v137, v163, v134
	v_lshl_or_b32 v135, v149, 11, v133
	s_delay_alu instid0(VALU_DEP_2) | instskip(NEXT) | instid1(VALU_DEP_1)
	v_add_f32_e32 v134, 0x358637bd, v137
	v_div_scale_f32 v167, null, v134, v134, 1.0
	v_div_scale_f32 v150, vcc_lo, 1.0, v134, 1.0
	s_delay_alu instid0(VALU_DEP_2) | instskip(SKIP_2) | instid1(VALU_DEP_1)
	v_rcp_f32_e32 v168, v167
	s_waitcnt_depctr 0xfff
	v_fma_f32 v129, -v167, v168, 1.0
	v_fmac_f32_e32 v168, v129, v168
	v_cndmask_b32_e64 v129, v130, v165, s3
	v_cmp_eq_u32_e64 s3, 6, v149
	s_delay_alu instid0(VALU_DEP_3) | instskip(NEXT) | instid1(VALU_DEP_3)
	v_mul_f32_e32 v165, v150, v168
	v_cndmask_b32_e64 v130, v129, v164, s4
	v_lshlrev_b32_e32 v129, 2, v146
	s_delay_alu instid0(VALU_DEP_3) | instskip(NEXT) | instid1(VALU_DEP_3)
	v_fma_f32 v131, -v167, v165, v150
	v_cndmask_b32_e64 v162, v130, v162, s5
	s_delay_alu instid0(VALU_DEP_3)
	v_or_b32_e32 v130, 1, v129
	v_or_b32_e32 v132, 2, v129
	v_cmp_eq_u32_e64 s4, 1, v129
	v_fmac_f32_e32 v165, v131, v168
	v_cndmask_b32_e64 v149, v162, v160, s6
	v_or_b32_e32 v131, 3, v129
	v_cmp_eq_u32_e64 s9, 1, v130
	v_cmp_eq_u32_e64 s10, 1, v132
	v_fma_f32 v150, -v167, v165, v150
	v_cndmask_b32_e64 v149, v149, v161, s3
	v_cmp_eq_u32_e64 s11, 1, v131
	v_cmp_eq_u32_e64 s5, 2, v129
	;; [unrolled: 1-line block ×3, first 2 shown]
	v_div_fmas_f32 v150, v150, v168, v165
	v_cndmask_b32_e64 v149, v149, v163, s7
	v_cmp_eq_u32_e64 s15, 2, v132
	v_cmp_eq_u32_e64 s16, 2, v131
	v_cmp_eq_u32_e32 vcc_lo, 3, v129
	v_div_fixup_f32 v150, v150, v134, 1.0
	v_lshl_or_b32 v134, v146, 4, v135
	v_cmp_eq_u32_e64 s13, 3, v130
	v_cmp_eq_u32_e64 s18, 3, v131
	;; [unrolled: 1-line block ×3, first 2 shown]
	v_mul_f32_e32 v149, v149, v150
	v_cmp_eq_u32_e64 s17, 3, v132
	v_cmp_eq_u32_e64 s19, 4, v130
	;; [unrolled: 1-line block ×4, first 2 shown]
	v_fma_mixlo_f16 v160, v149, v152, 0
	v_fma_mixlo_f16 v161, v149, v154, 0
	;; [unrolled: 1-line block ×8, first 2 shown]
	v_fma_mixhi_f16 v160, v149, v151, 0
	v_fma_mixhi_f16 v161, v149, v153, 0
	v_fma_mixhi_f16 v162, v149, v138, 0
	v_fma_mixhi_f16 v163, v149, v139, 0
	v_fma_mixhi_f16 v154, v149, v140, 0
	v_fma_mixhi_f16 v155, v149, v142, 0
	v_fma_mixhi_f16 v156, v149, v144, 0
	v_fma_mixhi_f16 v157, v149, v158, 0
	ds_store_b128 v134, v[160:163]
	ds_store_b128 v134, v[154:157] offset:1024
	s_waitcnt lgkmcnt(0)
	s_barrier
	buffer_gl0_inv
	ds_load_b128 v[138:141], v135
	ds_load_b128 v[149:152], v135 offset:16
	ds_load_b128 v[153:156], v135 offset:1024
	;; [unrolled: 1-line block ×3, first 2 shown]
	v_cmp_eq_u32_e64 s20, 5, v130
	v_cmp_eq_u32_e64 s21, 4, v132
	;; [unrolled: 1-line block ×12, first 2 shown]
	s_waitcnt lgkmcnt(3)
	v_lshrrev_b32_e32 v142, 16, v138
	s_waitcnt lgkmcnt(2)
	v_lshrrev_b32_e32 v162, 16, v149
	;; [unrolled: 2-line block ×4, first 2 shown]
	v_lshrrev_b32_e32 v143, 16, v139
	v_cndmask_b32_e64 v174, v138, v142, s4
	v_cndmask_b32_e64 v175, v149, v162, s4
	;; [unrolled: 1-line block ×7, first 2 shown]
	v_lshrrev_b32_e32 v163, 16, v150
	v_cndmask_b32_e64 v179, v149, v162, s10
	v_cndmask_b32_e64 v149, v153, v166, s4
	;; [unrolled: 1-line block ×16, first 2 shown]
	v_lshrrev_b32_e32 v167, 16, v154
	v_lshrrev_b32_e32 v171, 16, v158
	v_cndmask_b32_e64 v177, v179, v150, s15
	v_cndmask_b32_e64 v142, v149, v154, s5
	v_cndmask_b32_e64 v149, v162, v158, s5
	v_cndmask_b32_e64 v150, v180, v154, s12
	v_cndmask_b32_e64 v162, v182, v154, s15
	v_cndmask_b32_e64 v153, v153, v154, s16
	v_cndmask_b32_e64 v154, v157, v158, s16
	v_cndmask_b32_e32 v157, v166, v143, vcc_lo
	v_cndmask_b32_e32 v166, v170, v163, vcc_lo
	v_cndmask_b32_e64 v170, v174, v143, s13
	v_cndmask_b32_e64 v174, v175, v163, s13
	;; [unrolled: 1-line block ×4, first 2 shown]
	v_lshrrev_b32_e32 v144, 16, v140
	v_lshrrev_b32_e32 v164, 16, v151
	v_cndmask_b32_e64 v175, v176, v143, s17
	v_cndmask_b32_e64 v176, v177, v163, s17
	v_cndmask_b32_e32 v142, v142, v167, vcc_lo
	v_cndmask_b32_e32 v143, v149, v171, vcc_lo
	v_cndmask_b32_e64 v149, v150, v167, s13
	v_cndmask_b32_e64 v150, v157, v140, s3
	;; [unrolled: 1-line block ×7, first 2 shown]
	v_lshrrev_b32_e32 v168, 16, v155
	v_cndmask_b32_e64 v170, v175, v140, s21
	v_cndmask_b32_e64 v174, v176, v151, s21
	;; [unrolled: 1-line block ×11, first 2 shown]
	v_lshrrev_b32_e32 v161, 16, v141
	v_lshrrev_b32_e32 v165, 16, v152
	v_cndmask_b32_e64 v163, v170, v144, s23
	v_cndmask_b32_e64 v166, v174, v164, s23
	;; [unrolled: 1-line block ×9, first 2 shown]
	v_lshrrev_b32_e32 v169, 16, v156
	v_cndmask_b32_e64 v140, v140, v168, s6
	v_cndmask_b32_e64 v157, v163, v141, s26
	;; [unrolled: 1-line block ×14, first 2 shown]
	v_perm_b32 v141, v139, v138, 0x5040100
	v_perm_b32 v139, v151, v149, 0x5040100
	v_cndmask_b32_e64 v138, v183, v158, s15
	v_cndmask_b32_e64 v149, v181, v158, s12
	;; [unrolled: 1-line block ×3, first 2 shown]
	v_perm_b32 v140, v152, v150, 0x5040100
	v_cndmask_b32_e64 v150, v162, v167, s17
	v_cndmask_b32_e64 v151, v153, v167, s18
	;; [unrolled: 1-line block ×5, first 2 shown]
	v_lshrrev_b32_e32 v172, 16, v159
	v_cndmask_b32_e64 v150, v150, v155, s21
	v_cndmask_b32_e64 v151, v151, v155, s22
	;; [unrolled: 1-line block ×11, first 2 shown]
	v_lshrrev_b32_e32 v173, 16, v160
	v_cndmask_b32_e64 v142, v142, v160, s7
	v_cndmask_b32_e64 v150, v150, v156, s26
	;; [unrolled: 1-line block ×12, first 2 shown]
	v_perm_b32 v138, v144, v143, 0x5040100
	v_perm_b32 v152, v152, v151, 0x5040100
	;; [unrolled: 1-line block ×5, first 2 shown]
	s_mul_i32 s7, s33, 12
	s_mov_b32 s3, exec_lo
	ds_store_b128 v134, v[138:141]
	ds_store_b128 v134, v[149:152] offset:1024
	v_cmpx_gt_u32_e32 12, v0
	s_cbranch_execz .LBB13_14
; %bb.13:
	s_mul_i32 s4, s7, s34
	s_load_b128 s[8:11], s[0:1], 0x58
	v_add3_u32 v140, s4, s31, v148
	s_delay_alu instid0(VALU_DEP_1) | instskip(NEXT) | instid1(VALU_DEP_1)
	v_mad_u64_u32 v[138:139], null, v140, s35, s[14:15]
	v_ashrrev_i32_e32 v139, 31, v138
	s_delay_alu instid0(VALU_DEP_1) | instskip(SKIP_1) | instid1(VALU_DEP_1)
	v_lshlrev_b64 v[138:139], 2, v[138:139]
	s_waitcnt lgkmcnt(0)
	v_add_co_u32 v140, vcc_lo, s10, v138
	s_delay_alu instid0(VALU_DEP_2)
	v_add_co_ci_u32_e32 v141, vcc_lo, s11, v139, vcc_lo
	v_add_co_u32 v138, vcc_lo, s8, v138
	v_add_co_ci_u32_e32 v139, vcc_lo, s9, v139, vcc_lo
	global_store_b32 v[140:141], v136, off
	global_store_b32 v[138:139], v137, off
.LBB13_14:
	s_or_b32 exec_lo, exec_lo, s3
	s_waitcnt lgkmcnt(0)
	s_waitcnt_vscnt null, 0x0
	s_barrier
	buffer_gl0_inv
	ds_load_b128 v[148:151], v133
	ds_load_b128 v[152:155], v133 offset:16
	ds_load_b128 v[160:163], v133 offset:1040
	;; [unrolled: 1-line block ×5, first 2 shown]
	v_cmp_eq_u32_e32 vcc_lo, 1, v132
	v_mov_b32_e32 v136, 0
	ds_load_b128 v[176:179], v133 offset:3088
	ds_load_b128 v[172:175], v133 offset:3072
	;; [unrolled: 1-line block ×4, first 2 shown]
	v_cmp_eq_u32_e64 s3, 1, v129
	v_cmp_eq_u32_e64 s4, 1, v131
	;; [unrolled: 1-line block ×3, first 2 shown]
	v_mov_b32_e32 v137, v136
	v_mov_b32_e32 v138, v136
	;; [unrolled: 1-line block ×7, first 2 shown]
	v_cmp_eq_u32_e64 s6, 2, v129
	s_waitcnt lgkmcnt(8)
	s_delay_alu instid0(VALU_DEP_2)
	v_wmma_f32_16x16x16_f16 v[136:143], v[121:128], v[148:155], v[136:143]
	ds_load_b128 v[125:128], v133 offset:5136
	ds_load_b128 v[121:124], v133 offset:5120
	s_waitcnt lgkmcnt(8)
	v_wmma_f32_16x16x16_f16 v[136:143], v[113:120], v[156:163], v[136:143]
	ds_load_b128 v[117:120], v133 offset:6160
	ds_load_b128 v[113:116], v133 offset:6144
	s_waitcnt lgkmcnt(8)
	;; [unrolled: 4-line block ×11, first 2 shown]
	s_barrier
	buffer_gl0_inv
	v_wmma_f32_16x16x16_f16 v[136:143], v[1:8], v[73:80], v[136:143]
	s_delay_alu instid0(VALU_DEP_1) | instskip(NEXT) | instid1(VALU_DEP_1)
	v_wmma_f32_16x16x16_f16 v[136:143], v[9:16], v[65:72], v[136:143]
	v_wmma_f32_16x16x16_f16 v[136:143], v[33:40], v[57:64], v[136:143]
	s_delay_alu instid0(VALU_DEP_1) | instskip(NEXT) | instid1(VALU_DEP_1)
	v_wmma_f32_16x16x16_f16 v[136:143], v[41:48], v[49:56], v[136:143]
	v_wmma_f32_16x16x16_f16 v[136:143], v[17:24], v[25:32], v[136:143]
	s_delay_alu instid0(VALU_DEP_1) | instskip(NEXT) | instid1(VALU_DEP_2)
	v_cvt_f16_f32_e64 v1, v136
	v_cvt_f16_f32_e64 v2, v137
	s_delay_alu instid0(VALU_DEP_3) | instskip(NEXT) | instid1(VALU_DEP_4)
	v_cvt_f16_f32_e64 v3, v138
	v_cvt_f16_f32_e64 v4, v139
	;; [unrolled: 1-line block ×6, first 2 shown]
	v_pack_b32_f16 v1, v1, v2
	v_pack_b32_f16 v2, v3, v4
	v_pack_b32_f16 v3, v5, v6
	s_delay_alu instid0(VALU_DEP_4)
	v_pack_b32_f16 v4, v7, v8
	ds_store_b128 v134, v[1:4]
	s_waitcnt lgkmcnt(0)
	s_barrier
	buffer_gl0_inv
	ds_load_b128 v[1:4], v135
	ds_load_b128 v[5:8], v135 offset:16
	s_waitcnt lgkmcnt(1)
	v_lshrrev_b32_e32 v9, 16, v1
	s_waitcnt lgkmcnt(0)
	v_lshrrev_b32_e32 v13, 16, v5
	v_lshrrev_b32_e32 v10, 16, v2
	;; [unrolled: 1-line block ×4, first 2 shown]
	v_cndmask_b32_e64 v17, v1, v9, s3
	v_cndmask_b32_e64 v18, v5, v13, s3
	;; [unrolled: 1-line block ×3, first 2 shown]
	v_cmp_eq_u32_e64 s3, 2, v130
	v_cndmask_b32_e64 v20, v5, v13, s5
	v_cndmask_b32_e32 v21, v1, v9, vcc_lo
	v_cndmask_b32_e32 v22, v5, v13, vcc_lo
	v_cndmask_b32_e64 v1, v1, v9, s4
	v_cndmask_b32_e64 v5, v5, v13, s4
	v_cmp_eq_u32_e32 vcc_lo, 2, v132
	v_cmp_eq_u32_e64 s4, 2, v131
	v_cndmask_b32_e64 v9, v17, v2, s6
	v_cndmask_b32_e64 v13, v18, v6, s6
	;; [unrolled: 1-line block ×4, first 2 shown]
	v_cndmask_b32_e32 v19, v21, v2, vcc_lo
	v_cmp_eq_u32_e64 s3, 3, v132
	v_cndmask_b32_e32 v20, v22, v6, vcc_lo
	v_cndmask_b32_e64 v1, v1, v2, s4
	v_cmp_eq_u32_e32 vcc_lo, 3, v131
	v_cmp_eq_u32_e64 s5, 3, v129
	v_cndmask_b32_e64 v2, v5, v6, s4
	v_cmp_eq_u32_e64 s4, 3, v130
	v_cmp_eq_u32_e64 s6, 4, v129
	v_cndmask_b32_e32 v1, v1, v10, vcc_lo
	v_cndmask_b32_e64 v5, v9, v10, s5
	v_cndmask_b32_e64 v6, v13, v14, s5
	;; [unrolled: 1-line block ×3, first 2 shown]
	v_cmp_eq_u32_e64 s5, 4, v130
	v_cndmask_b32_e64 v13, v18, v14, s4
	v_cndmask_b32_e64 v17, v19, v10, s3
	;; [unrolled: 1-line block ×3, first 2 shown]
	v_cndmask_b32_e32 v2, v2, v14, vcc_lo
	v_cmp_eq_u32_e32 vcc_lo, 4, v132
	v_cmp_eq_u32_e64 s4, 4, v131
	v_lshrrev_b32_e32 v15, 16, v7
	v_cndmask_b32_e64 v5, v5, v3, s6
	v_cndmask_b32_e64 v6, v6, v7, s6
	v_cndmask_b32_e32 v14, v18, v7, vcc_lo
	v_cndmask_b32_e64 v9, v9, v3, s5
	v_cndmask_b32_e64 v10, v13, v7, s5
	v_cndmask_b32_e32 v13, v17, v3, vcc_lo
	v_cmp_eq_u32_e64 s3, 5, v132
	v_cndmask_b32_e64 v1, v1, v3, s4
	v_cmp_eq_u32_e32 vcc_lo, 5, v131
	v_cmp_eq_u32_e64 s5, 5, v129
	v_cndmask_b32_e64 v2, v2, v7, s4
	v_cmp_eq_u32_e64 s4, 5, v130
	v_cmp_eq_u32_e64 s6, 6, v129
	v_lshrrev_b32_e32 v12, 16, v4
	v_cndmask_b32_e64 v3, v5, v11, s5
	v_cndmask_b32_e64 v5, v6, v15, s5
	v_cndmask_b32_e64 v6, v9, v11, s4
	v_cmp_eq_u32_e64 s5, 6, v130
	v_cndmask_b32_e64 v7, v10, v15, s4
	v_cndmask_b32_e64 v9, v13, v11, s3
	;; [unrolled: 1-line block ×3, first 2 shown]
	v_cndmask_b32_e32 v1, v1, v11, vcc_lo
	v_cndmask_b32_e32 v2, v2, v15, vcc_lo
	v_cmp_eq_u32_e32 vcc_lo, 6, v132
	v_cmp_eq_u32_e64 s3, 6, v131
	v_lshrrev_b32_e32 v16, 16, v8
	v_cndmask_b32_e64 v3, v3, v4, s6
	v_cndmask_b32_e64 v5, v5, v8, s6
	v_cndmask_b32_e32 v9, v9, v4, vcc_lo
	v_cndmask_b32_e64 v6, v6, v4, s5
	v_cndmask_b32_e64 v7, v7, v8, s5
	v_cmp_eq_u32_e64 s4, 7, v132
	v_cndmask_b32_e32 v10, v10, v8, vcc_lo
	v_cndmask_b32_e64 v1, v1, v4, s3
	v_cmp_eq_u32_e32 vcc_lo, 7, v131
	v_cndmask_b32_e64 v2, v2, v8, s3
	v_cmp_eq_u32_e64 s3, 7, v129
	v_cmp_eq_u32_e64 s5, 7, v130
	v_cndmask_b32_e32 v1, v1, v12, vcc_lo
	s_delay_alu instid0(VALU_DEP_4) | instskip(NEXT) | instid1(VALU_DEP_4)
	v_cndmask_b32_e32 v2, v2, v16, vcc_lo
	v_cndmask_b32_e64 v8, v3, v12, s3
	s_delay_alu instid0(VALU_DEP_4)
	v_cndmask_b32_e64 v6, v6, v12, s5
	v_cndmask_b32_e64 v3, v9, v12, s4
	;; [unrolled: 1-line block ×5, first 2 shown]
	v_cmp_gt_u32_e32 vcc_lo, 32, v0
	v_perm_b32 v4, v2, v1, 0x5040100
	v_perm_b32 v3, v9, v3, 0x5040100
	;; [unrolled: 1-line block ×4, first 2 shown]
	s_and_b32 s2, vcc_lo, s2
	ds_store_b128 v134, v[1:4]
	s_waitcnt lgkmcnt(0)
	s_barrier
	buffer_gl0_inv
	s_and_saveexec_b32 s3, s2
	s_cbranch_execz .LBB13_2
; %bb.15:
	s_load_b64 s[0:1], s[0:1], 0x68
	v_lshlrev_b32_e32 v0, 10, v0
	s_lshl_b32 s4, s35, 6
	v_or_b32_e32 v3, s31, v146
	s_mul_i32 s2, s4, s34
	v_lshlrev_b32_e32 v1, 4, v147
	s_mul_i32 s2, s2, s7
	v_lshlrev_b32_e32 v2, 6, v146
	v_and_b32_e32 v0, 0x3800, v0
	s_ashr_i32 s3, s2, 31
	v_mul_lo_u32 v4, v3, s4
	s_lshl_b64 s[2:3], s[2:3], 1
	s_delay_alu instid0(VALU_DEP_2) | instskip(NEXT) | instid1(VALU_DEP_2)
	v_or3_b32 v16, v0, v1, v2
	v_ashrrev_i32_e32 v5, 31, v4
	ds_load_b128 v[0:3], v16
	s_waitcnt lgkmcnt(0)
	s_add_u32 s2, s0, s2
	s_addc_u32 s3, s1, s3
	s_lshl_b32 s0, s14, 6
	v_lshlrev_b64 v[5:6], 1, v[4:5]
	s_ashr_i32 s1, s0, 31
	s_delay_alu instid0(SALU_CYCLE_1) | instskip(NEXT) | instid1(SALU_CYCLE_1)
	s_lshl_b64 s[0:1], s[0:1], 1
	s_add_u32 s0, s2, s0
	s_addc_u32 s1, s3, s1
	s_lshl_b32 s2, s35, 7
	v_add_co_u32 v30, s0, s0, v145
	v_add_nc_u32_e32 v8, s2, v4
	v_add_co_ci_u32_e64 v31, null, s1, 0, s0
	s_delay_alu instid0(VALU_DEP_3) | instskip(NEXT) | instid1(VALU_DEP_3)
	v_add_co_u32 v12, vcc_lo, v30, v5
	v_add_nc_u32_e32 v10, s2, v8
	v_ashrrev_i32_e32 v9, 31, v8
	s_delay_alu instid0(VALU_DEP_4)
	v_add_co_ci_u32_e32 v13, vcc_lo, v31, v6, vcc_lo
	ds_load_b128 v[4:7], v16 offset:128
	v_ashrrev_i32_e32 v11, 31, v10
	v_lshlrev_b64 v[8:9], 1, v[8:9]
	v_add_nc_u32_e32 v14, s2, v10
	global_store_b128 v[12:13], v[0:3], off
	v_lshlrev_b64 v[0:1], 1, v[10:11]
	v_ashrrev_i32_e32 v15, 31, v14
	v_add_co_u32 v22, vcc_lo, v30, v8
	v_add_nc_u32_e32 v20, s2, v14
	v_add_co_ci_u32_e32 v23, vcc_lo, v31, v9, vcc_lo
	v_add_co_u32 v26, vcc_lo, v30, v0
	v_lshlrev_b64 v[24:25], 1, v[14:15]
	v_add_co_ci_u32_e32 v27, vcc_lo, v31, v1, vcc_lo
	ds_load_b128 v[0:3], v16 offset:256
	ds_load_b128 v[8:11], v16 offset:384
	;; [unrolled: 1-line block ×4, first 2 shown]
	v_add_nc_u32_e32 v28, s2, v20
	v_ashrrev_i32_e32 v21, 31, v20
	v_add_co_u32 v24, vcc_lo, v30, v24
	v_add_co_ci_u32_e32 v25, vcc_lo, v31, v25, vcc_lo
	s_delay_alu instid0(VALU_DEP_4) | instskip(NEXT) | instid1(VALU_DEP_4)
	v_ashrrev_i32_e32 v29, 31, v28
	v_lshlrev_b64 v[20:21], 1, v[20:21]
	s_delay_alu instid0(VALU_DEP_2) | instskip(NEXT) | instid1(VALU_DEP_2)
	v_lshlrev_b64 v[28:29], 1, v[28:29]
	v_add_co_u32 v20, vcc_lo, v30, v20
	s_delay_alu instid0(VALU_DEP_3) | instskip(NEXT) | instid1(VALU_DEP_3)
	v_add_co_ci_u32_e32 v21, vcc_lo, v31, v21, vcc_lo
	v_add_co_u32 v28, vcc_lo, v30, v28
	s_delay_alu instid0(VALU_DEP_4)
	v_add_co_ci_u32_e32 v29, vcc_lo, v31, v29, vcc_lo
	s_waitcnt lgkmcnt(4)
	global_store_b128 v[22:23], v[4:7], off
	s_waitcnt lgkmcnt(3)
	global_store_b128 v[26:27], v[0:3], off
	;; [unrolled: 2-line block ×5, first 2 shown]
	s_nop 0
	s_sendmsg sendmsg(MSG_DEALLOC_VGPRS)
	s_endpgm
	.section	.rodata,"a",@progbits
	.p2align	6, 0x0
	.amdhsa_kernel _Z39paged_attention_ll4mi_QKV_mfma16_kernelIDF16_DF16_LN4vllm18Fp8KVCacheDataTypeE0EhLi16ELi64ELi256ELb1ELi12EL8MFMAType0EEvPKT_PKT0_S8_ifPKiSA_SA_iPKfiiiPfSD_PS3_PT2_iSC_SC_
		.amdhsa_group_segment_fixed_size 17472
		.amdhsa_private_segment_fixed_size 0
		.amdhsa_kernarg_size 400
		.amdhsa_user_sgpr_count 13
		.amdhsa_user_sgpr_dispatch_ptr 0
		.amdhsa_user_sgpr_queue_ptr 0
		.amdhsa_user_sgpr_kernarg_segment_ptr 1
		.amdhsa_user_sgpr_dispatch_id 0
		.amdhsa_user_sgpr_private_segment_size 0
		.amdhsa_wavefront_size32 1
		.amdhsa_uses_dynamic_stack 0
		.amdhsa_enable_private_segment 0
		.amdhsa_system_sgpr_workgroup_id_x 1
		.amdhsa_system_sgpr_workgroup_id_y 1
		.amdhsa_system_sgpr_workgroup_id_z 1
		.amdhsa_system_sgpr_workgroup_info 0
		.amdhsa_system_vgpr_workitem_id 0
		.amdhsa_next_free_vgpr 198
		.amdhsa_next_free_sgpr 52
		.amdhsa_reserve_vcc 1
		.amdhsa_float_round_mode_32 0
		.amdhsa_float_round_mode_16_64 0
		.amdhsa_float_denorm_mode_32 3
		.amdhsa_float_denorm_mode_16_64 3
		.amdhsa_dx10_clamp 1
		.amdhsa_ieee_mode 1
		.amdhsa_fp16_overflow 0
		.amdhsa_workgroup_processor_mode 1
		.amdhsa_memory_ordered 1
		.amdhsa_forward_progress 0
		.amdhsa_shared_vgpr_count 0
		.amdhsa_exception_fp_ieee_invalid_op 0
		.amdhsa_exception_fp_denorm_src 0
		.amdhsa_exception_fp_ieee_div_zero 0
		.amdhsa_exception_fp_ieee_overflow 0
		.amdhsa_exception_fp_ieee_underflow 0
		.amdhsa_exception_fp_ieee_inexact 0
		.amdhsa_exception_int_div_zero 0
	.end_amdhsa_kernel
	.section	.text._Z39paged_attention_ll4mi_QKV_mfma16_kernelIDF16_DF16_LN4vllm18Fp8KVCacheDataTypeE0EhLi16ELi64ELi256ELb1ELi12EL8MFMAType0EEvPKT_PKT0_S8_ifPKiSA_SA_iPKfiiiPfSD_PS3_PT2_iSC_SC_,"axG",@progbits,_Z39paged_attention_ll4mi_QKV_mfma16_kernelIDF16_DF16_LN4vllm18Fp8KVCacheDataTypeE0EhLi16ELi64ELi256ELb1ELi12EL8MFMAType0EEvPKT_PKT0_S8_ifPKiSA_SA_iPKfiiiPfSD_PS3_PT2_iSC_SC_,comdat
.Lfunc_end13:
	.size	_Z39paged_attention_ll4mi_QKV_mfma16_kernelIDF16_DF16_LN4vllm18Fp8KVCacheDataTypeE0EhLi16ELi64ELi256ELb1ELi12EL8MFMAType0EEvPKT_PKT0_S8_ifPKiSA_SA_iPKfiiiPfSD_PS3_PT2_iSC_SC_, .Lfunc_end13-_Z39paged_attention_ll4mi_QKV_mfma16_kernelIDF16_DF16_LN4vllm18Fp8KVCacheDataTypeE0EhLi16ELi64ELi256ELb1ELi12EL8MFMAType0EEvPKT_PKT0_S8_ifPKiSA_SA_iPKfiiiPfSD_PS3_PT2_iSC_SC_
                                        ; -- End function
	.section	.AMDGPU.csdata,"",@progbits
; Kernel info:
; codeLenInByte = 7964
; NumSgprs: 54
; NumVgprs: 198
; ScratchSize: 0
; MemoryBound: 0
; FloatMode: 240
; IeeeMode: 1
; LDSByteSize: 17472 bytes/workgroup (compile time only)
; SGPRBlocks: 6
; VGPRBlocks: 24
; NumSGPRsForWavesPerEU: 54
; NumVGPRsForWavesPerEU: 198
; Occupancy: 7
; WaveLimiterHint : 1
; COMPUTE_PGM_RSRC2:SCRATCH_EN: 0
; COMPUTE_PGM_RSRC2:USER_SGPR: 13
; COMPUTE_PGM_RSRC2:TRAP_HANDLER: 0
; COMPUTE_PGM_RSRC2:TGID_X_EN: 1
; COMPUTE_PGM_RSRC2:TGID_Y_EN: 1
; COMPUTE_PGM_RSRC2:TGID_Z_EN: 1
; COMPUTE_PGM_RSRC2:TIDIG_COMP_CNT: 0
	.section	.text._Z39paged_attention_ll4mi_QKV_mfma16_kernelIDF16_DF16_LN4vllm18Fp8KVCacheDataTypeE0EhLi16ELi64ELi256ELb1ELi13EL8MFMAType0EEvPKT_PKT0_S8_ifPKiSA_SA_iPKfiiiPfSD_PS3_PT2_iSC_SC_,"axG",@progbits,_Z39paged_attention_ll4mi_QKV_mfma16_kernelIDF16_DF16_LN4vllm18Fp8KVCacheDataTypeE0EhLi16ELi64ELi256ELb1ELi13EL8MFMAType0EEvPKT_PKT0_S8_ifPKiSA_SA_iPKfiiiPfSD_PS3_PT2_iSC_SC_,comdat
	.protected	_Z39paged_attention_ll4mi_QKV_mfma16_kernelIDF16_DF16_LN4vllm18Fp8KVCacheDataTypeE0EhLi16ELi64ELi256ELb1ELi13EL8MFMAType0EEvPKT_PKT0_S8_ifPKiSA_SA_iPKfiiiPfSD_PS3_PT2_iSC_SC_ ; -- Begin function _Z39paged_attention_ll4mi_QKV_mfma16_kernelIDF16_DF16_LN4vllm18Fp8KVCacheDataTypeE0EhLi16ELi64ELi256ELb1ELi13EL8MFMAType0EEvPKT_PKT0_S8_ifPKiSA_SA_iPKfiiiPfSD_PS3_PT2_iSC_SC_
	.globl	_Z39paged_attention_ll4mi_QKV_mfma16_kernelIDF16_DF16_LN4vllm18Fp8KVCacheDataTypeE0EhLi16ELi64ELi256ELb1ELi13EL8MFMAType0EEvPKT_PKT0_S8_ifPKiSA_SA_iPKfiiiPfSD_PS3_PT2_iSC_SC_
	.p2align	8
	.type	_Z39paged_attention_ll4mi_QKV_mfma16_kernelIDF16_DF16_LN4vllm18Fp8KVCacheDataTypeE0EhLi16ELi64ELi256ELb1ELi13EL8MFMAType0EEvPKT_PKT0_S8_ifPKiSA_SA_iPKfiiiPfSD_PS3_PT2_iSC_SC_,@function
_Z39paged_attention_ll4mi_QKV_mfma16_kernelIDF16_DF16_LN4vllm18Fp8KVCacheDataTypeE0EhLi16ELi64ELi256ELb1ELi13EL8MFMAType0EEvPKT_PKT0_S8_ifPKiSA_SA_iPKfiiiPfSD_PS3_PT2_iSC_SC_: ; @_Z39paged_attention_ll4mi_QKV_mfma16_kernelIDF16_DF16_LN4vllm18Fp8KVCacheDataTypeE0EhLi16ELi64ELi256ELb1ELi13EL8MFMAType0EEvPKT_PKT0_S8_ifPKiSA_SA_iPKfiiiPfSD_PS3_PT2_iSC_SC_
; %bb.0:
	s_load_b64 s[2:3], s[0:1], 0x30
	s_mov_b32 s34, s13
	s_waitcnt lgkmcnt(0)
	s_cmp_lg_u64 s[2:3], 0
	s_cselect_b32 s6, -1, 0
	s_ashr_i32 s35, s13, 31
	s_cmp_eq_u64 s[2:3], 0
	s_cbranch_scc1 .LBB14_3
; %bb.1:
	s_lshl_b64 s[4:5], s[34:35], 2
	s_delay_alu instid0(SALU_CYCLE_1) | instskip(SKIP_4) | instid1(SALU_CYCLE_1)
	s_add_u32 s4, s2, s4
	s_addc_u32 s5, s3, s5
	s_load_b64 s[4:5], s[4:5], 0x0
	s_waitcnt lgkmcnt(0)
	s_sub_i32 s4, s5, s4
	s_cmp_eq_u32 s4, 1
	s_cselect_b32 s4, -1, 0
	s_delay_alu instid0(SALU_CYCLE_1)
	s_and_not1_b32 vcc_lo, exec_lo, s4
	s_cbranch_vccz .LBB14_4
.LBB14_2:
	s_nop 0
	s_sendmsg sendmsg(MSG_DEALLOC_VGPRS)
	s_endpgm
.LBB14_3:
.LBB14_4:
	s_load_b64 s[8:9], s[0:1], 0x28
	s_lshl_b64 s[4:5], s[34:35], 2
	s_waitcnt lgkmcnt(0)
	s_add_u32 s8, s8, s4
	s_addc_u32 s9, s9, s5
	s_lshl_b32 s31, s14, 8
	s_load_b32 s30, s[8:9], 0x0
	s_waitcnt lgkmcnt(0)
	s_cmp_ge_i32 s31, s30
	s_cbranch_scc1 .LBB14_2
; %bb.5:
	s_clause 0x1
	s_load_b128 s[8:11], s[0:1], 0x8
	s_load_b64 s[12:13], s[0:1], 0x20
	s_and_not1_b32 vcc_lo, exec_lo, s6
	s_cbranch_vccnz .LBB14_7
; %bb.6:
	s_add_u32 s2, s2, s4
	s_addc_u32 s3, s3, s5
	s_load_b32 s3, s[2:3], 0x0
	s_branch .LBB14_8
.LBB14_7:
	s_mov_b32 s3, s34
.LBB14_8:
	s_load_b128 s[4:7], s[0:1], 0x48
	v_lshrrev_b32_e32 v149, 5, v0
	v_bfe_u32 v146, v0, 4, 1
	v_and_b32_e32 v148, 15, v0
	v_and_b32_e32 v150, 31, v0
	;; [unrolled: 1-line block ×3, first 2 shown]
	s_mul_i32 s33, s15, 13
	v_lshl_or_b32 v1, v149, 1, v146
	v_lshlrev_b32_e32 v2, 3, v148
	v_cmp_gt_u32_e64 s2, 8, v148
	s_delay_alu instid0(VALU_DEP_3) | instskip(NEXT) | instid1(VALU_DEP_3)
	v_cmp_gt_u32_e32 vcc_lo, 13, v1
	v_lshlrev_b32_e32 v145, 1, v2
	s_delay_alu instid0(VALU_DEP_3)
	s_and_b32 s16, s2, vcc_lo
	s_waitcnt lgkmcnt(0)
	s_and_saveexec_b32 s7, s16
	s_cbranch_execz .LBB14_10
; %bb.9:
	s_load_b64 s[16:17], s[0:1], 0x0
	v_add_lshl_u32 v2, v1, s33, 6
	s_mul_hi_i32 s19, s3, s4
	s_mul_i32 s18, s3, s4
	v_lshlrev_b32_e32 v6, 10, v148
	s_lshl_b64 s[18:19], s[18:19], 1
	v_ashrrev_i32_e32 v3, 31, v2
	v_lshlrev_b32_e32 v1, 6, v1
	v_lshlrev_b32_e32 v7, 10, v147
	v_and_b32_e32 v6, 0x3800, v6
	s_delay_alu instid0(VALU_DEP_4) | instskip(NEXT) | instid1(VALU_DEP_2)
	v_lshlrev_b64 v[2:3], 1, v[2:3]
	v_or3_b32 v1, v6, v7, v1
	s_waitcnt lgkmcnt(0)
	s_add_u32 s3, s16, s18
	s_addc_u32 s4, s17, s19
	s_delay_alu instid0(VALU_DEP_2) | instskip(SKIP_1) | instid1(VALU_DEP_2)
	v_add_co_u32 v2, vcc_lo, s3, v2
	v_add_co_ci_u32_e32 v3, vcc_lo, s4, v3, vcc_lo
	v_add_co_u32 v2, vcc_lo, v2, v145
	s_delay_alu instid0(VALU_DEP_2)
	v_add_co_ci_u32_e32 v3, vcc_lo, 0, v3, vcc_lo
	global_load_b128 v[2:5], v[2:3], off
	s_waitcnt vmcnt(0)
	ds_store_b128 v1, v[2:5]
.LBB14_10:
	s_or_b32 exec_lo, exec_lo, s7
	s_mov_b32 s40, 0
	s_add_i32 s3, s30, 15
	s_mov_b32 s41, s40
	s_mov_b32 s42, s40
	s_mov_b32 s43, s40
	s_mov_b32 s44, s40
	s_mov_b32 s45, s40
	s_mov_b32 s46, s40
	s_mov_b32 s47, s40
	s_delay_alu instid0(SALU_CYCLE_1)
	v_dual_mov_b32 v144, s47 :: v_dual_and_b32 v1, 0xef, v0
	v_mov_b32_e32 v142, s45
	s_ashr_i32 s7, s3, 31
	s_clause 0x1
	s_load_b32 s4, s[0:1], 0x38
	s_load_b32 s35, s[0:1], 0x98
	v_add_nc_u32_e32 v1, s31, v1
	s_lshr_b32 s7, s7, 28
	s_load_b32 s36, s[0:1], 0x1c
	s_add_i32 s3, s3, s7
	s_waitcnt lgkmcnt(0)
	v_ashrrev_i32_e32 v2, 31, v1
	v_or_b32_e32 v3, 16, v1
	s_ashr_i32 s3, s3, 4
	v_cmp_gt_i32_e32 vcc_lo, s30, v1
	s_add_i32 s3, s3, -1
	v_lshrrev_b32_e32 v2, 28, v2
	v_mov_b32_e32 v143, s46
	s_barrier
	buffer_gl0_inv
	s_mul_i32 s6, s15, s6
	v_dual_mov_b32 v141, s44 :: v_dual_add_nc_u32 v4, v1, v2
	v_mov_b32_e32 v139, s42
	s_mul_i32 s16, s34, s4
	v_mov_b32_e32 v137, s40
	s_delay_alu instid0(VALU_DEP_3)
	v_ashrrev_i32_e32 v4, 4, v4
	v_add_nc_u32_e32 v2, v3, v2
	s_ashr_i32 s17, s16, 31
	v_mov_b32_e32 v140, s43
	s_lshl_b64 s[16:17], s[16:17], 2
	v_cndmask_b32_e32 v1, s3, v4, vcc_lo
	v_ashrrev_i32_e32 v2, 4, v2
	v_cmp_gt_i32_e32 vcc_lo, s30, v3
	s_add_u32 s4, s12, s16
	s_addc_u32 s37, s13, s17
	s_ashr_i32 s7, s6, 31
	v_mov_b32_e32 v138, s41
	v_cndmask_b32_e32 v3, s3, v2, vcc_lo
	v_ashrrev_i32_e32 v2, 31, v1
	s_lshl_b64 s[6:7], s[6:7], 1
	s_delay_alu instid0(SALU_CYCLE_1) | instskip(NEXT) | instid1(VALU_DEP_2)
	s_add_u32 s24, s8, s6
	v_ashrrev_i32_e32 v4, 31, v3
	s_delay_alu instid0(VALU_DEP_2) | instskip(SKIP_2) | instid1(VALU_DEP_2)
	v_lshlrev_b64 v[1:2], 2, v[1:2]
	s_addc_u32 s25, s9, s7
	s_lshl_b32 s8, s14, 4
	v_lshlrev_b64 v[3:4], 2, v[3:4]
	s_ashr_i32 s9, s8, 31
	s_delay_alu instid0(VALU_DEP_2) | instskip(SKIP_1) | instid1(VALU_DEP_3)
	v_add_co_u32 v1, vcc_lo, s4, v1
	v_add_co_ci_u32_e32 v2, vcc_lo, s37, v2, vcc_lo
	v_add_co_u32 v3, vcc_lo, s4, v3
	s_delay_alu instid0(VALU_DEP_4)
	v_add_co_ci_u32_e32 v4, vcc_lo, s37, v4, vcc_lo
	s_clause 0x1
	global_load_b32 v5, v[1:2], off
	global_load_b32 v6, v[3:4], off
	s_lshl_b64 s[8:9], s[8:9], 2
	v_lshlrev_b32_e32 v3, 4, v0
	s_add_u32 s8, s4, s8
	s_addc_u32 s9, s37, s9
	s_or_b32 s12, s31, 16
	s_delay_alu instid0(SALU_CYCLE_1) | instskip(SKIP_2) | instid1(SALU_CYCLE_1)
	s_ashr_i32 s13, s12, 4
	s_cmp_lt_i32 s12, s30
	s_cselect_b32 s12, s13, s3
	s_ashr_i32 s13, s12, 31
	s_delay_alu instid0(SALU_CYCLE_1) | instskip(NEXT) | instid1(SALU_CYCLE_1)
	s_lshl_b64 s[12:13], s[12:13], 2
	s_add_u32 s12, s4, s12
	s_addc_u32 s13, s37, s13
	s_or_b32 s15, s31, 32
	s_delay_alu instid0(SALU_CYCLE_1) | instskip(SKIP_2) | instid1(SALU_CYCLE_1)
	s_ashr_i32 s16, s15, 4
	s_cmp_lt_i32 s15, s30
	s_cselect_b32 s16, s16, s3
	s_ashr_i32 s17, s16, 31
	s_delay_alu instid0(SALU_CYCLE_1) | instskip(NEXT) | instid1(SALU_CYCLE_1)
	s_lshl_b64 s[16:17], s[16:17], 2
	;; [unrolled: 10-line block ×5, first 2 shown]
	s_add_u32 s22, s4, s22
	s_addc_u32 s23, s37, s23
	s_clause 0x5
	s_load_b32 s8, s[8:9], 0x0
	s_load_b32 s12, s[12:13], 0x0
	;; [unrolled: 1-line block ×6, first 2 shown]
	s_waitcnt lgkmcnt(0)
	s_mul_hi_i32 s17, s16, s5
	s_mul_i32 s16, s16, s5
	s_waitcnt vmcnt(1)
	v_mad_i64_i32 v[1:2], null, v5, s5, 0
	v_and_b32_e32 v5, 0xf0, v3
	s_waitcnt vmcnt(0)
	v_mad_i64_i32 v[3:4], null, v6, s5, 0
	s_delay_alu instid0(VALU_DEP_2) | instskip(NEXT) | instid1(VALU_DEP_4)
	v_add_co_u32 v7, s9, s24, v5
	v_lshlrev_b64 v[1:2], 1, v[1:2]
	v_add_co_ci_u32_e64 v8, null, s25, 0, s9
	s_delay_alu instid0(VALU_DEP_4) | instskip(SKIP_1) | instid1(VALU_DEP_3)
	v_lshlrev_b64 v[5:6], 1, v[3:4]
	s_or_b32 s9, s31, 0x60
	v_add_co_u32 v3, vcc_lo, v7, v1
	s_delay_alu instid0(VALU_DEP_3) | instskip(NEXT) | instid1(VALU_DEP_3)
	v_add_co_ci_u32_e32 v4, vcc_lo, v8, v2, vcc_lo
	v_add_co_u32 v1, vcc_lo, v7, v5
	s_delay_alu instid0(VALU_DEP_4)
	v_add_co_ci_u32_e32 v2, vcc_lo, v8, v6, vcc_lo
	s_clause 0x9
	global_load_b128 v[9:12], v[3:4], off
	global_load_b128 v[13:16], v[3:4], off offset:256
	global_load_b128 v[129:132], v[1:2], off
	global_load_b128 v[133:136], v[1:2], off offset:256
	global_load_b128 v[41:44], v[3:4], off offset:512
	;; [unrolled: 1-line block ×7, first 2 shown]
	v_add_nc_u32_e32 v5, -13, v148
	v_cmp_gt_u32_e32 vcc_lo, 13, v148
	s_clause 0x1
	global_load_b128 v[151:154], v[1:2], off offset:1024
	global_load_b128 v[155:158], v[1:2], off offset:1280
	s_ashr_i32 s13, s9, 4
	s_cmp_lt_i32 s9, s30
	v_lshlrev_b32_e32 v6, 5, v148
	v_cndmask_b32_e32 v5, v5, v148, vcc_lo
	s_cselect_b32 s22, s13, s3
	s_delay_alu instid0(SALU_CYCLE_1) | instskip(NEXT) | instid1(VALU_DEP_2)
	s_ashr_i32 s23, s22, 31
	v_lshl_or_b32 v6, v149, 9, v6
	s_delay_alu instid0(VALU_DEP_2)
	v_lshlrev_b32_e32 v197, 6, v5
	ds_load_b128 v[159:162], v197
	ds_load_b128 v[163:166], v197 offset:1024
	s_clause 0x3
	global_load_b128 v[167:170], v[3:4], off offset:1536
	global_load_b128 v[171:174], v[3:4], off offset:1792
	global_load_b128 v[175:178], v[1:2], off offset:1536
	global_load_b128 v[179:182], v[1:2], off offset:1792
	s_lshl_b64 s[22:23], s[22:23], 2
	s_delay_alu instid0(SALU_CYCLE_1)
	s_add_u32 s22, s4, s22
	s_addc_u32 s23, s37, s23
	s_or_b32 s9, s31, 0x70
	s_load_b32 s46, s[22:23], 0x0
	s_ashr_i32 s13, s9, 4
	s_cmp_lt_i32 s9, s30
	s_cselect_b32 s24, s13, s3
	s_delay_alu instid0(SALU_CYCLE_1) | instskip(NEXT) | instid1(SALU_CYCLE_1)
	s_ashr_i32 s25, s24, 31
	s_lshl_b64 s[24:25], s[24:25], 2
	s_delay_alu instid0(SALU_CYCLE_1)
	s_add_u32 s24, s4, s24
	s_addc_u32 s25, s37, s25
	s_or_b32 s9, s31, 0x80
	s_load_b32 s47, s[24:25], 0x0
	s_ashr_i32 s13, s9, 4
	s_cmp_lt_i32 s9, s30
	s_cselect_b32 s26, s13, s3
	s_delay_alu instid0(SALU_CYCLE_1) | instskip(NEXT) | instid1(SALU_CYCLE_1)
	s_ashr_i32 s27, s26, 31
	;; [unrolled: 11-line block ×3, first 2 shown]
	s_lshl_b64 s[28:29], s[28:29], 2
	s_delay_alu instid0(SALU_CYCLE_1) | instskip(SKIP_2) | instid1(SALU_CYCLE_1)
	s_add_u32 s28, s4, s28
	s_addc_u32 s29, s37, s29
	s_or_b32 s9, s31, 0xa0
	s_ashr_i32 s13, s9, 4
	s_cmp_lt_i32 s9, s30
	s_cselect_b32 s38, s13, s3
	s_delay_alu instid0(SALU_CYCLE_1) | instskip(NEXT) | instid1(SALU_CYCLE_1)
	s_ashr_i32 s39, s38, 31
	s_lshl_b64 s[38:39], s[38:39], 2
	s_delay_alu instid0(SALU_CYCLE_1) | instskip(SKIP_2) | instid1(SALU_CYCLE_1)
	s_add_u32 s38, s4, s38
	s_addc_u32 s39, s37, s39
	s_or_b32 s9, s31, 0xb0
	s_ashr_i32 s13, s9, 4
	s_cmp_lt_i32 s9, s30
	s_mul_hi_i32 s9, s8, s5
	s_cselect_b32 s40, s13, s3
	s_mul_i32 s8, s8, s5
	s_ashr_i32 s41, s40, 31
	s_mul_hi_i32 s13, s12, s5
	s_lshl_b64 s[40:41], s[40:41], 2
	s_mul_i32 s12, s12, s5
	s_add_u32 s42, s4, s40
	s_addc_u32 s43, s37, s41
	s_or_b32 s19, s31, 0xc0
	s_delay_alu instid0(SALU_CYCLE_1)
	s_ashr_i32 s21, s19, 4
	s_cmp_lt_i32 s19, s30
	s_mul_hi_i32 s19, s18, s5
	s_cselect_b32 s40, s21, s3
	s_mul_i32 s18, s18, s5
	s_ashr_i32 s41, s40, 31
	s_mul_hi_i32 s21, s20, s5
	s_lshl_b64 s[40:41], s[40:41], 2
	s_mul_i32 s20, s20, s5
	s_add_u32 s44, s4, s40
	s_addc_u32 s45, s37, s41
	s_load_b32 s41, s[28:29], 0x0
	s_or_b32 s40, s31, 0xd0
	s_mul_hi_i32 s23, s15, s5
	s_ashr_i32 s22, s40, 4
	s_cmp_lt_i32 s40, s30
	s_load_b32 s40, s[38:39], 0x0
	s_cselect_b32 s24, s22, s3
	s_mul_i32 s22, s15, s5
	s_ashr_i32 s25, s24, 31
	s_waitcnt lgkmcnt(0)
	s_mul_hi_i32 s29, s48, s5
	s_lshl_b64 s[24:25], s[24:25], 2
	s_mul_i32 s28, s48, s5
	s_add_u32 s24, s4, s24
	s_addc_u32 s25, s37, s25
	s_or_b32 s49, s31, 0xe0
	s_clause 0x2
	s_load_b32 s39, s[42:43], 0x0
	s_load_b32 s38, s[44:45], 0x0
	;; [unrolled: 1-line block ×3, first 2 shown]
	s_ashr_i32 s50, s49, 4
	s_cmp_lt_i32 s49, s30
	s_mul_hi_i32 s25, s46, s5
	s_cselect_b32 s44, s50, s3
	s_mul_i32 s24, s46, s5
	s_ashr_i32 s45, s44, 31
	s_mul_hi_i32 s27, s47, s5
	s_lshl_b64 s[44:45], s[44:45], 2
	s_mul_i32 s26, s47, s5
	s_add_u32 s44, s4, s44
	s_addc_u32 s45, s37, s45
	s_or_b32 s46, s31, 0xf0
	s_mul_hi_i32 s43, s41, s5
	s_ashr_i32 s48, s46, 4
	s_cmp_lt_i32 s46, s30
	s_mul_i32 s42, s41, s5
	s_cselect_b32 s48, s48, s3
	s_mul_hi_i32 s41, s40, s5
	s_ashr_i32 s49, s48, 31
	s_mul_i32 s40, s40, s5
	s_lshl_b64 s[48:49], s[48:49], 2
	s_waitcnt lgkmcnt(0)
	s_mul_hi_i32 s47, s39, s5
	s_add_u32 s48, s4, s48
	s_addc_u32 s49, s37, s49
	s_add_u32 s3, s10, s6
	s_addc_u32 s4, s11, s7
	v_add_co_u32 v195, s3, s3, v6
	s_delay_alu instid0(VALU_DEP_1) | instskip(SKIP_2) | instid1(VALU_DEP_2)
	v_add_co_ci_u32_e64 v196, null, s4, 0, s3
	s_lshl_b64 s[6:7], s[8:9], 1
	s_lshl_b64 s[8:9], s[12:13], 1
	v_add_co_u32 v1, vcc_lo, v195, s6
	s_delay_alu instid0(VALU_DEP_2)
	v_add_co_ci_u32_e32 v2, vcc_lo, s7, v196, vcc_lo
	v_add_co_u32 v3, vcc_lo, v195, s8
	s_lshl_b64 s[10:11], s[16:17], 1
	v_add_co_ci_u32_e32 v4, vcc_lo, s9, v196, vcc_lo
	v_add_co_u32 v5, vcc_lo, v195, s10
	s_lshl_b64 s[12:13], s[18:19], 1
	;; [unrolled: 3-line block ×9, first 2 shown]
	s_mul_i32 s46, s39, s5
	v_add_co_ci_u32_e32 v54, vcc_lo, s27, v196, vcc_lo
	v_add_co_u32 v183, vcc_lo, v195, s28
	s_lshl_b64 s[40:41], s[46:47], 1
	s_mul_hi_i32 s39, s38, s5
	s_mul_i32 s38, s38, s5
	v_add_co_ci_u32_e32 v184, vcc_lo, s29, v196, vcc_lo
	v_add_co_u32 v185, vcc_lo, v195, s40
	s_lshl_b64 s[38:39], s[38:39], 1
	s_clause 0x1
	s_load_b32 s3, s[44:45], 0x0
	s_load_b32 s4, s[48:49], 0x0
	v_add_co_ci_u32_e32 v186, vcc_lo, s41, v196, vcc_lo
	v_add_co_u32 v191, vcc_lo, v195, s38
	v_add_co_ci_u32_e32 v192, vcc_lo, s39, v196, vcc_lo
	s_clause 0x17
	global_load_b128 v[121:124], v[1:2], off
	global_load_b128 v[125:128], v[1:2], off offset:16
	global_load_b128 v[113:116], v[3:4], off
	global_load_b128 v[117:120], v[3:4], off offset:16
	;; [unrolled: 2-line block ×12, first 2 shown]
	s_mul_hi_i32 s51, s15, s5
	s_mul_i32 s50, s15, s5
	s_delay_alu instid0(SALU_CYCLE_1) | instskip(NEXT) | instid1(SALU_CYCLE_1)
	s_lshl_b64 s[42:43], s[50:51], 1
	v_add_co_u32 v193, vcc_lo, v195, s42
	v_add_co_ci_u32_e32 v194, vcc_lo, s43, v196, vcc_lo
	s_waitcnt lgkmcnt(0)
	s_mul_hi_i32 s7, s3, s5
	s_mul_i32 s6, s3, s5
	s_mul_hi_i32 s9, s4, s5
	s_lshl_b64 s[6:7], s[6:7], 1
	s_mul_i32 s8, s4, s5
	s_delay_alu instid0(SALU_CYCLE_1)
	s_lshl_b64 s[4:5], s[8:9], 1
	s_waitcnt vmcnt(38)
	v_wmma_f32_16x16x16_f16 v[183:190], v[9:16], v[159:166], v[137:144]
	s_waitcnt vmcnt(36)
	v_wmma_f32_16x16x16_f16 v[137:144], v[129:136], v[159:166], v[137:144]
	s_clause 0x1
	global_load_b128 v[9:12], v[191:192], off
	global_load_b128 v[13:16], v[191:192], off offset:16
	ds_load_b128 v[129:132], v197 offset:2048
	ds_load_b128 v[133:136], v197 offset:3072
	;; [unrolled: 1-line block ×4, first 2 shown]
	v_add_co_u32 v191, vcc_lo, v195, s6
	v_add_co_ci_u32_e32 v192, vcc_lo, s7, v196, vcc_lo
	v_add_co_u32 v195, vcc_lo, v195, s4
	v_add_co_ci_u32_e32 v196, vcc_lo, s5, v196, vcc_lo
	s_waitcnt vmcnt(36) lgkmcnt(2)
	v_wmma_f32_16x16x16_f16 v[183:190], v[41:48], v[129:136], v[183:190]
	s_waitcnt vmcnt(34)
	v_wmma_f32_16x16x16_f16 v[137:144], v[33:40], v[129:136], v[137:144]
	s_clause 0x3
	global_load_b128 v[33:36], v[193:194], off
	global_load_b128 v[37:40], v[193:194], off offset:16
	global_load_b128 v[41:44], v[191:192], off
	global_load_b128 v[45:48], v[191:192], off offset:16
	v_and_b32_e32 v129, 0xe0, v0
	v_mbcnt_lo_u32_b32 v191, -1, 0
	s_waitcnt vmcnt(36) lgkmcnt(0)
	v_wmma_f32_16x16x16_f16 v[183:190], v[17:24], v[159:166], v[183:190]
	s_clause 0x1
	global_load_b128 v[17:20], v[195:196], off
	global_load_b128 v[21:24], v[195:196], off offset:16
	s_waitcnt vmcnt(36)
	v_wmma_f32_16x16x16_f16 v[137:144], v[151:158], v[159:166], v[137:144]
	v_add_nc_u32_e32 v192, s31, v129
	ds_load_b128 v[129:132], v197 offset:6144
	ds_load_b128 v[133:136], v197 offset:7168
	v_xor_b32_e32 v151, 16, v191
	s_waitcnt vmcnt(0) lgkmcnt(0)
	s_barrier
	v_or_b32_e32 v152, v192, v146
	buffer_gl0_inv
	v_cmp_gt_i32_e32 vcc_lo, 32, v151
	v_or_b32_e32 v153, 2, v152
	v_or_b32_e32 v154, 4, v152
	;; [unrolled: 1-line block ×5, first 2 shown]
	v_cmp_gt_i32_e64 s3, s30, v153
	v_cmp_gt_i32_e64 s4, s30, v154
	;; [unrolled: 1-line block ×3, first 2 shown]
	v_or_b32_e32 v158, 12, v152
	v_or_b32_e32 v159, 14, v152
	v_cmp_gt_i32_e64 s6, s30, v156
	v_wmma_f32_16x16x16_f16 v[183:190], v[167:174], v[129:136], v[183:190]
	v_wmma_f32_16x16x16_f16 v[137:144], v[175:182], v[129:136], v[137:144]
	v_cndmask_b32_e32 v151, v191, v151, vcc_lo
	v_cmp_gt_i32_e32 vcc_lo, s30, v152
	v_cmp_gt_i32_e64 s7, s30, v157
	v_dual_mul_f32 v135, s36, v184 :: v_dual_mul_f32 v136, s36, v183
	v_dual_mul_f32 v133, s36, v186 :: v_dual_mul_f32 v134, s36, v185
	;; [unrolled: 1-line block ×3, first 2 shown]
	s_delay_alu instid0(VALU_DEP_3) | instskip(NEXT) | instid1(VALU_DEP_4)
	v_cndmask_b32_e32 v136, 0xff7fffff, v136, vcc_lo
	v_cndmask_b32_e64 v135, 0xff7fffff, v135, s3
	v_mul_f32_e32 v132, s36, v187
	v_cndmask_b32_e64 v134, 0xff7fffff, v134, s4
	v_cndmask_b32_e64 v133, 0xff7fffff, v133, s5
	v_or_b32_e32 v160, 16, v152
	v_max3_f32 v135, v136, 0xff7fffff, v135
	v_or_b32_e32 v161, 18, v152
	v_mul_f32_e32 v130, s36, v189
	v_dual_mul_f32 v172, s36, v140 :: v_dual_mul_f32 v129, s36, v190
	v_cndmask_b32_e64 v132, 0xff7fffff, v132, s6
	v_cndmask_b32_e64 v131, 0xff7fffff, v131, s7
	v_max3_f32 v133, v135, v134, v133
	v_cmp_gt_i32_e64 s8, s30, v158
	v_cmp_gt_i32_e64 s9, s30, v159
	v_or_b32_e32 v162, 20, v152
	v_or_b32_e32 v163, 22, v152
	v_mul_f32_e32 v175, s36, v137
	v_cndmask_b32_e64 v130, 0xff7fffff, v130, s8
	v_cndmask_b32_e64 v129, 0xff7fffff, v129, s9
	v_max3_f32 v131, v133, v132, v131
	v_cmp_gt_i32_e64 s10, s30, v160
	v_cmp_gt_i32_e64 s11, s30, v161
	v_or_b32_e32 v164, 24, v152
	v_or_b32_e32 v165, 26, v152
	v_mul_f32_e32 v173, s36, v139
	v_cndmask_b32_e64 v132, 0xff7fffff, v175, s10
	v_cndmask_b32_e64 v133, 0xff7fffff, v174, s11
	v_max3_f32 v129, v131, v130, v129
	v_cmp_gt_i32_e64 s12, s30, v162
	v_cmp_gt_i32_e64 s13, s30, v163
	v_or_b32_e32 v166, 28, v152
	v_or_b32_e32 v167, 30, v152
	v_dual_mul_f32 v170, s36, v142 :: v_dual_mul_f32 v171, s36, v141
	v_cndmask_b32_e64 v130, 0xff7fffff, v173, s12
	v_cndmask_b32_e64 v131, 0xff7fffff, v172, s13
	v_max3_f32 v129, v129, v132, v133
	v_cmp_gt_i32_e64 s15, s30, v164
	v_cmp_gt_i32_e64 s16, s30, v165
	v_dual_mul_f32 v168, s36, v144 :: v_dual_mul_f32 v169, s36, v143
	s_delay_alu instid0(VALU_DEP_4) | instskip(NEXT) | instid1(VALU_DEP_4)
	v_max3_f32 v129, v129, v130, v131
	v_cndmask_b32_e64 v132, 0xff7fffff, v171, s15
	s_delay_alu instid0(VALU_DEP_4) | instskip(SKIP_2) | instid1(VALU_DEP_3)
	v_cndmask_b32_e64 v133, 0xff7fffff, v170, s16
	v_cmp_gt_i32_e64 s17, s30, v166
	v_cmp_gt_i32_e64 s18, s30, v167
	v_max3_f32 v129, v129, v132, v133
	s_delay_alu instid0(VALU_DEP_3) | instskip(NEXT) | instid1(VALU_DEP_3)
	v_cndmask_b32_e64 v130, 0xff7fffff, v169, s17
	v_cndmask_b32_e64 v131, 0xff7fffff, v168, s18
	v_lshlrev_b32_e32 v132, 2, v151
	s_delay_alu instid0(VALU_DEP_2) | instskip(SKIP_3) | instid1(VALU_DEP_1)
	v_max3_f32 v129, v129, v130, v131
	ds_bpermute_b32 v130, v132, v129
	s_waitcnt lgkmcnt(0)
	v_max_f32_e32 v130, v130, v130
	v_max_f32_e32 v129, v129, v130
	s_delay_alu instid0(VALU_DEP_1) | instskip(SKIP_4) | instid1(VALU_DEP_4)
	v_fma_f32 v134, s36, v186, -v129
	v_fma_f32 v135, s36, v187, -v129
	;; [unrolled: 1-line block ×5, first 2 shown]
	v_dual_mul_f32 v134, 0x3fb8aa3b, v134 :: v_dual_mul_f32 v135, 0x3fb8aa3b, v135
	s_delay_alu instid0(VALU_DEP_4) | instskip(SKIP_1) | instid1(VALU_DEP_3)
	v_mul_f32_e32 v130, 0x3fb8aa3b, v130
	v_fma_f32 v136, s36, v189, -v129
	v_exp_f32_e32 v134, v134
	s_delay_alu instid0(VALU_DEP_3) | instskip(NEXT) | instid1(VALU_DEP_2)
	v_exp_f32_e32 v135, v135
	v_exp_f32_e32 v130, v130
	s_delay_alu instid0(VALU_DEP_1) | instskip(NEXT) | instid1(VALU_DEP_1)
	v_mul_f32_e32 v136, 0x3fb8aa3b, v136
	v_exp_f32_e32 v136, v136
	v_cndmask_b32_e64 v153, 0, v134, s5
	v_fma_f32 v134, s36, v137, -v129
	v_mul_f32_e32 v131, 0x3fb8aa3b, v131
	s_delay_alu instid0(TRANS32_DEP_3) | instskip(NEXT) | instid1(TRANS32_DEP_2)
	v_cndmask_b32_e64 v155, 0, v135, s6
	v_dual_mul_f32 v133, 0x3fb8aa3b, v133 :: v_dual_cndmask_b32 v152, 0, v130
	s_delay_alu instid0(VALU_DEP_4) | instskip(NEXT) | instid1(VALU_DEP_4)
	v_mul_f32_e32 v134, 0x3fb8aa3b, v134
	v_exp_f32_e32 v131, v131
	v_fma_f32 v135, s36, v138, -v129
	s_delay_alu instid0(VALU_DEP_3)
	v_exp_f32_e32 v133, v133
	v_fma_f32 v130, s36, v188, -v129
	v_cndmask_b32_e64 v156, 0, v136, s8
	v_fma_f32 v136, s36, v140, -v129
	v_mul_f32_e32 v135, 0x3fb8aa3b, v135
	v_exp_f32_e32 v134, v134
	v_mul_f32_e32 v130, 0x3fb8aa3b, v130
	s_delay_alu instid0(TRANS32_DEP_3) | instskip(SKIP_1) | instid1(TRANS32_DEP_2)
	v_cndmask_b32_e64 v151, 0, v131, s3
	v_add_f32_e32 v131, 0, v152
	v_cndmask_b32_e64 v154, 0, v133, s4
	v_exp_f32_e32 v135, v135
	v_fma_f32 v133, s36, v190, -v129
	v_exp_f32_e32 v130, v130
	v_dual_add_f32 v131, v131, v151 :: v_dual_mul_f32 v136, 0x3fb8aa3b, v136
	v_cmp_gt_u32_e64 s3, 16, v150
	s_delay_alu instid0(VALU_DEP_3) | instskip(NEXT) | instid1(VALU_DEP_3)
	v_mul_f32_e32 v133, 0x3fb8aa3b, v133
	v_add_f32_e32 v131, v131, v154
	s_delay_alu instid0(VALU_DEP_4) | instskip(NEXT) | instid1(TRANS32_DEP_3)
	v_exp_f32_e32 v136, v136
	v_cndmask_b32_e64 v140, 0, v135, s11
	s_delay_alu instid0(VALU_DEP_3) | instskip(NEXT) | instid1(TRANS32_DEP_3)
	v_exp_f32_e32 v133, v133
	v_cndmask_b32_e64 v138, 0, v130, s7
	v_add_f32_e32 v131, v131, v153
	v_fma_f32 v135, s36, v143, -v129
	s_delay_alu instid0(VALU_DEP_2)
	v_add_f32_e32 v130, v131, v155
	v_fma_f32 v131, s36, v139, -v129
	s_waitcnt_depctr 0xfff
	v_cndmask_b32_e64 v139, 0, v133, s9
	v_fma_f32 v133, s36, v141, -v129
	v_add_f32_e32 v130, v130, v138
	v_cndmask_b32_e64 v141, 0, v134, s10
	v_fma_f32 v134, s36, v142, -v129
	v_cndmask_b32_e64 v142, 0, v136, s13
	s_delay_alu instid0(VALU_DEP_4) | instskip(NEXT) | instid1(VALU_DEP_3)
	v_dual_mul_f32 v131, 0x3fb8aa3b, v131 :: v_dual_add_f32 v130, v130, v156
	v_mul_f32_e32 v134, 0x3fb8aa3b, v134
	s_delay_alu instid0(VALU_DEP_2) | instskip(NEXT) | instid1(VALU_DEP_2)
	v_exp_f32_e32 v131, v131
	v_add_f32_e32 v130, v130, v139
	s_delay_alu instid0(VALU_DEP_2) | instskip(NEXT) | instid1(VALU_DEP_1)
	v_exp_f32_e32 v134, v134
	v_add_f32_e32 v130, v130, v141
	s_waitcnt_depctr 0xfff
	v_cndmask_b32_e64 v143, 0, v131, s12
	v_dual_add_f32 v130, v130, v140 :: v_dual_mul_f32 v133, 0x3fb8aa3b, v133
	s_delay_alu instid0(VALU_DEP_1) | instskip(NEXT) | instid1(VALU_DEP_2)
	v_add_f32_e32 v130, v130, v143
	v_exp_f32_e32 v133, v133
	s_delay_alu instid0(VALU_DEP_1)
	v_add_f32_e32 v130, v130, v142
	s_waitcnt_depctr 0xfff
	v_cndmask_b32_e64 v157, 0, v133, s15
	v_mul_f32_e32 v131, 0x3fb8aa3b, v135
	v_fma_f32 v135, s36, v144, -v129
	v_cndmask_b32_e64 v144, 0, v134, s16
	s_delay_alu instid0(VALU_DEP_4) | instskip(NEXT) | instid1(VALU_DEP_4)
	v_add_f32_e32 v130, v130, v157
	v_exp_f32_e32 v131, v131
	s_delay_alu instid0(VALU_DEP_1) | instskip(NEXT) | instid1(VALU_DEP_1)
	v_dual_mul_f32 v133, 0x3fb8aa3b, v135 :: v_dual_add_f32 v130, v130, v144
	v_exp_f32_e32 v133, v133
	s_waitcnt_depctr 0xfff
	v_cndmask_b32_e64 v159, 0, v131, s17
	s_delay_alu instid0(VALU_DEP_1) | instskip(SKIP_1) | instid1(VALU_DEP_1)
	v_add_f32_e32 v130, v130, v159
	v_cndmask_b32_e64 v158, 0, v133, s18
	v_add_f32_e32 v130, v130, v158
	ds_bpermute_b32 v131, v132, v130
	s_and_saveexec_b32 s4, s3
	s_cbranch_execz .LBB14_12
; %bb.11:
	v_mul_u32_u24_e32 v132, 0x44, v149
	s_delay_alu instid0(VALU_DEP_1) | instskip(SKIP_1) | instid1(VALU_DEP_1)
	v_lshl_add_u32 v132, v148, 2, v132
	s_waitcnt lgkmcnt(0)
	v_dual_add_f32 v130, v130, v131 :: v_dual_add_nc_u32 v131, 0x4000, v132
	ds_store_2addr_b32 v131, v129, v130 offset1:136
.LBB14_12:
	s_or_b32 exec_lo, exec_lo, s4
	v_lshlrev_b32_e32 v129, 2, v148
	s_load_b32 s36, s[0:1], 0x94
	s_waitcnt lgkmcnt(0)
	s_barrier
	buffer_gl0_inv
	v_add_nc_u32_e32 v135, 0x4000, v129
	v_cmp_eq_u32_e32 vcc_lo, 1, v149
	v_cmp_eq_u32_e64 s4, 2, v149
	v_cmp_eq_u32_e64 s5, 3, v149
	;; [unrolled: 1-line block ×3, first 2 shown]
	ds_load_2addr_b32 v[129:130], v135 offset1:17
	ds_load_2addr_b32 v[131:132], v135 offset0:34 offset1:51
	ds_load_2addr_b32 v[133:134], v135 offset0:68 offset1:85
	;; [unrolled: 1-line block ×3, first 2 shown]
	v_cmp_eq_u32_e64 s7, 5, v149
	v_cmp_eq_u32_e64 s8, 7, v149
	s_waitcnt lgkmcnt(3)
	v_max3_f32 v136, v129, 0xff7fffff, v130
	s_waitcnt lgkmcnt(2)
	s_delay_alu instid0(VALU_DEP_1) | instskip(SKIP_1) | instid1(VALU_DEP_1)
	v_max3_f32 v136, v136, v131, v132
	s_waitcnt lgkmcnt(1)
	v_max3_f32 v136, v136, v133, v134
	s_waitcnt lgkmcnt(0)
	s_delay_alu instid0(VALU_DEP_1) | instskip(NEXT) | instid1(VALU_DEP_1)
	v_max3_f32 v136, v136, v160, v161
	v_sub_f32_e32 v164, v132, v136
	ds_load_2addr_b32 v[162:163], v135 offset0:136 offset1:153
	v_sub_f32_e32 v129, v129, v136
	v_sub_f32_e32 v137, v130, v136
	;; [unrolled: 1-line block ×3, first 2 shown]
	v_mul_f32_e32 v164, 0x3fb8aa3b, v164
	s_delay_alu instid0(VALU_DEP_4) | instskip(NEXT) | instid1(VALU_DEP_4)
	v_mul_f32_e32 v150, 0x3fb8aa3b, v129
	v_mul_f32_e32 v137, 0x3fb8aa3b, v137
	ds_load_2addr_b32 v[129:130], v135 offset0:170 offset1:187
	v_mul_f32_e32 v167, 0x3fb8aa3b, v133
	v_exp_f32_e32 v164, v164
	v_exp_f32_e32 v150, v150
	v_exp_f32_e32 v166, v137
	v_sub_f32_e32 v131, v131, v136
	s_delay_alu instid0(VALU_DEP_1)
	v_mul_f32_e32 v165, 0x3fb8aa3b, v131
	ds_load_2addr_b32 v[131:132], v135 offset0:204 offset1:221
	s_waitcnt lgkmcnt(2)
	v_fma_f32 v137, v150, v162, 0
	v_sub_f32_e32 v162, v134, v136
	v_exp_f32_e32 v165, v165
	ds_load_2addr_b32 v[133:134], v135 offset0:238 offset1:255
	v_sub_f32_e32 v135, v160, v136
	v_dual_fmac_f32 v137, v166, v163 :: v_dual_mul_f32 v160, 0x3fb8aa3b, v162
	v_exp_f32_e32 v162, v167
	s_waitcnt lgkmcnt(0)
	s_delay_alu instid0(VALU_DEP_2)
	v_mul_f32_e32 v135, 0x3fb8aa3b, v135
	s_barrier
	v_exp_f32_e32 v160, v160
	v_fmac_f32_e32 v137, v165, v129
	v_sub_f32_e32 v129, v161, v136
	v_exp_f32_e32 v161, v135
	buffer_gl0_inv
	v_fmac_f32_e32 v137, v164, v130
	v_dual_mul_f32 v129, 0x3fb8aa3b, v129 :: v_dual_cndmask_b32 v130, v150, v166
	s_delay_alu instid0(VALU_DEP_2) | instskip(NEXT) | instid1(VALU_DEP_2)
	v_fmac_f32_e32 v137, v162, v131
	v_exp_f32_e32 v163, v129
	s_delay_alu instid0(VALU_DEP_1) | instskip(NEXT) | instid1(VALU_DEP_1)
	v_fmac_f32_e32 v137, v160, v132
	v_fmac_f32_e32 v137, v161, v133
	v_lshlrev_b32_e32 v133, 6, v148
	s_waitcnt_depctr 0xfff
	v_fmac_f32_e32 v137, v163, v134
	v_lshl_or_b32 v135, v149, 11, v133
	s_delay_alu instid0(VALU_DEP_2) | instskip(NEXT) | instid1(VALU_DEP_1)
	v_add_f32_e32 v134, 0x358637bd, v137
	v_div_scale_f32 v167, null, v134, v134, 1.0
	v_div_scale_f32 v150, vcc_lo, 1.0, v134, 1.0
	s_delay_alu instid0(VALU_DEP_2) | instskip(SKIP_2) | instid1(VALU_DEP_1)
	v_rcp_f32_e32 v168, v167
	s_waitcnt_depctr 0xfff
	v_fma_f32 v129, -v167, v168, 1.0
	v_fmac_f32_e32 v168, v129, v168
	v_cndmask_b32_e64 v129, v130, v165, s4
	v_cmp_eq_u32_e64 s4, 6, v149
	s_delay_alu instid0(VALU_DEP_3) | instskip(NEXT) | instid1(VALU_DEP_3)
	v_mul_f32_e32 v165, v150, v168
	v_cndmask_b32_e64 v130, v129, v164, s5
	v_lshlrev_b32_e32 v129, 2, v146
	s_delay_alu instid0(VALU_DEP_3) | instskip(NEXT) | instid1(VALU_DEP_3)
	v_fma_f32 v131, -v167, v165, v150
	v_cndmask_b32_e64 v162, v130, v162, s6
	s_delay_alu instid0(VALU_DEP_3)
	v_or_b32_e32 v130, 1, v129
	v_or_b32_e32 v132, 2, v129
	v_cmp_eq_u32_e64 s5, 1, v129
	v_fmac_f32_e32 v165, v131, v168
	v_cndmask_b32_e64 v149, v162, v160, s7
	v_or_b32_e32 v131, 3, v129
	v_cmp_eq_u32_e64 s10, 1, v130
	v_cmp_eq_u32_e64 s11, 1, v132
	v_fma_f32 v150, -v167, v165, v150
	v_cndmask_b32_e64 v149, v149, v161, s4
	v_cmp_eq_u32_e64 s12, 1, v131
	v_cmp_eq_u32_e64 s6, 2, v129
	;; [unrolled: 1-line block ×3, first 2 shown]
	v_div_fmas_f32 v150, v150, v168, v165
	v_cndmask_b32_e64 v149, v149, v163, s8
	v_cmp_eq_u32_e64 s16, 2, v132
	v_cmp_eq_u32_e64 s17, 2, v131
	v_cmp_eq_u32_e32 vcc_lo, 3, v129
	v_div_fixup_f32 v150, v150, v134, 1.0
	v_lshl_or_b32 v134, v146, 4, v135
	v_cmp_eq_u32_e64 s15, 3, v130
	v_cmp_eq_u32_e64 s19, 3, v131
	;; [unrolled: 1-line block ×3, first 2 shown]
	v_mul_f32_e32 v149, v149, v150
	v_cmp_eq_u32_e64 s18, 3, v132
	v_cmp_eq_u32_e64 s20, 4, v130
	;; [unrolled: 1-line block ×4, first 2 shown]
	v_fma_mixlo_f16 v160, v149, v152, 0
	v_fma_mixlo_f16 v161, v149, v154, 0
	;; [unrolled: 1-line block ×8, first 2 shown]
	v_fma_mixhi_f16 v160, v149, v151, 0
	v_fma_mixhi_f16 v161, v149, v153, 0
	;; [unrolled: 1-line block ×8, first 2 shown]
	ds_store_b128 v134, v[160:163]
	ds_store_b128 v134, v[154:157] offset:1024
	s_waitcnt lgkmcnt(0)
	s_barrier
	buffer_gl0_inv
	ds_load_b128 v[138:141], v135
	ds_load_b128 v[149:152], v135 offset:16
	ds_load_b128 v[153:156], v135 offset:1024
	;; [unrolled: 1-line block ×3, first 2 shown]
	v_cmp_eq_u32_e64 s21, 5, v130
	v_cmp_eq_u32_e64 s22, 4, v132
	;; [unrolled: 1-line block ×12, first 2 shown]
	s_waitcnt lgkmcnt(3)
	v_lshrrev_b32_e32 v142, 16, v138
	s_waitcnt lgkmcnt(2)
	v_lshrrev_b32_e32 v162, 16, v149
	;; [unrolled: 2-line block ×4, first 2 shown]
	v_lshrrev_b32_e32 v143, 16, v139
	v_cndmask_b32_e64 v174, v138, v142, s5
	v_cndmask_b32_e64 v175, v149, v162, s5
	;; [unrolled: 1-line block ×7, first 2 shown]
	v_lshrrev_b32_e32 v163, 16, v150
	v_cndmask_b32_e64 v179, v149, v162, s11
	v_cndmask_b32_e64 v149, v153, v166, s5
	;; [unrolled: 1-line block ×16, first 2 shown]
	v_lshrrev_b32_e32 v167, 16, v154
	v_lshrrev_b32_e32 v171, 16, v158
	v_cndmask_b32_e64 v177, v179, v150, s16
	v_cndmask_b32_e64 v142, v149, v154, s6
	;; [unrolled: 1-line block ×7, first 2 shown]
	v_cndmask_b32_e32 v157, v166, v143, vcc_lo
	v_cndmask_b32_e32 v166, v170, v163, vcc_lo
	v_cndmask_b32_e64 v170, v174, v143, s15
	v_cndmask_b32_e64 v174, v175, v163, s15
	v_cndmask_b32_e64 v138, v138, v143, s19
	v_cndmask_b32_e64 v139, v139, v163, s19
	v_lshrrev_b32_e32 v144, 16, v140
	v_lshrrev_b32_e32 v164, 16, v151
	v_cndmask_b32_e64 v175, v176, v143, s18
	v_cndmask_b32_e64 v176, v177, v163, s18
	v_cndmask_b32_e32 v142, v142, v167, vcc_lo
	v_cndmask_b32_e32 v143, v149, v171, vcc_lo
	v_cndmask_b32_e64 v149, v150, v167, s15
	v_cndmask_b32_e64 v150, v157, v140, s4
	;; [unrolled: 1-line block ×7, first 2 shown]
	v_lshrrev_b32_e32 v168, 16, v155
	v_cndmask_b32_e64 v170, v175, v140, s22
	v_cndmask_b32_e64 v174, v176, v151, s22
	;; [unrolled: 1-line block ×11, first 2 shown]
	v_lshrrev_b32_e32 v161, 16, v141
	v_lshrrev_b32_e32 v165, 16, v152
	v_cndmask_b32_e64 v163, v170, v144, s24
	v_cndmask_b32_e64 v166, v174, v164, s24
	;; [unrolled: 1-line block ×9, first 2 shown]
	v_lshrrev_b32_e32 v169, 16, v156
	v_cndmask_b32_e64 v140, v140, v168, s7
	v_cndmask_b32_e64 v157, v163, v141, s27
	;; [unrolled: 1-line block ×14, first 2 shown]
	v_perm_b32 v141, v139, v138, 0x5040100
	v_perm_b32 v139, v151, v149, 0x5040100
	v_cndmask_b32_e64 v138, v183, v158, s16
	v_cndmask_b32_e64 v149, v181, v158, s13
	;; [unrolled: 1-line block ×3, first 2 shown]
	v_perm_b32 v140, v152, v150, 0x5040100
	v_cndmask_b32_e64 v150, v162, v167, s18
	v_cndmask_b32_e64 v151, v153, v167, s19
	;; [unrolled: 1-line block ×5, first 2 shown]
	v_lshrrev_b32_e32 v172, 16, v159
	v_cndmask_b32_e64 v150, v150, v155, s22
	v_cndmask_b32_e64 v151, v151, v155, s23
	;; [unrolled: 1-line block ×11, first 2 shown]
	v_lshrrev_b32_e32 v173, 16, v160
	v_cndmask_b32_e64 v142, v142, v160, s8
	v_cndmask_b32_e64 v150, v150, v156, s27
	;; [unrolled: 1-line block ×12, first 2 shown]
	v_perm_b32 v138, v144, v143, 0x5040100
	v_perm_b32 v152, v152, v151, 0x5040100
	v_perm_b32 v151, v153, v150, 0x5040100
	v_perm_b32 v150, v149, v161, 0x5040100
	v_perm_b32 v149, v142, v157, 0x5040100
	s_mul_i32 s8, s35, 13
	s_mov_b32 s4, exec_lo
	ds_store_b128 v134, v[138:141]
	ds_store_b128 v134, v[149:152] offset:1024
	v_cmpx_gt_u32_e32 13, v0
	s_cbranch_execz .LBB14_14
; %bb.13:
	s_mul_i32 s5, s8, s34
	s_load_b128 s[16:19], s[0:1], 0x58
	v_add3_u32 v140, s5, s33, v148
	s_delay_alu instid0(VALU_DEP_1) | instskip(NEXT) | instid1(VALU_DEP_1)
	v_mad_u64_u32 v[138:139], null, v140, s36, s[14:15]
	v_ashrrev_i32_e32 v139, 31, v138
	s_delay_alu instid0(VALU_DEP_1) | instskip(SKIP_1) | instid1(VALU_DEP_1)
	v_lshlrev_b64 v[138:139], 2, v[138:139]
	s_waitcnt lgkmcnt(0)
	v_add_co_u32 v140, vcc_lo, s18, v138
	s_delay_alu instid0(VALU_DEP_2)
	v_add_co_ci_u32_e32 v141, vcc_lo, s19, v139, vcc_lo
	v_add_co_u32 v138, vcc_lo, s16, v138
	v_add_co_ci_u32_e32 v139, vcc_lo, s17, v139, vcc_lo
	global_store_b32 v[140:141], v136, off
	global_store_b32 v[138:139], v137, off
.LBB14_14:
	s_or_b32 exec_lo, exec_lo, s4
	s_waitcnt lgkmcnt(0)
	s_waitcnt_vscnt null, 0x0
	s_barrier
	buffer_gl0_inv
	ds_load_b128 v[148:151], v133
	ds_load_b128 v[152:155], v133 offset:16
	ds_load_b128 v[160:163], v133 offset:1040
	;; [unrolled: 1-line block ×5, first 2 shown]
	v_cmp_eq_u32_e32 vcc_lo, 1, v132
	v_mov_b32_e32 v136, 0
	ds_load_b128 v[176:179], v133 offset:3088
	ds_load_b128 v[172:175], v133 offset:3072
	;; [unrolled: 1-line block ×4, first 2 shown]
	v_cmp_eq_u32_e64 s4, 1, v129
	v_cmp_eq_u32_e64 s5, 1, v131
	v_cmp_eq_u32_e64 s6, 1, v130
	v_mov_b32_e32 v137, v136
	v_mov_b32_e32 v138, v136
	;; [unrolled: 1-line block ×7, first 2 shown]
	v_cmp_eq_u32_e64 s7, 2, v129
	s_waitcnt lgkmcnt(8)
	s_delay_alu instid0(VALU_DEP_2)
	v_wmma_f32_16x16x16_f16 v[136:143], v[121:128], v[148:155], v[136:143]
	ds_load_b128 v[125:128], v133 offset:5136
	ds_load_b128 v[121:124], v133 offset:5120
	s_waitcnt lgkmcnt(8)
	v_wmma_f32_16x16x16_f16 v[136:143], v[113:120], v[156:163], v[136:143]
	ds_load_b128 v[117:120], v133 offset:6160
	ds_load_b128 v[113:116], v133 offset:6144
	s_waitcnt lgkmcnt(8)
	;; [unrolled: 4-line block ×11, first 2 shown]
	s_barrier
	buffer_gl0_inv
	v_wmma_f32_16x16x16_f16 v[136:143], v[1:8], v[73:80], v[136:143]
	s_delay_alu instid0(VALU_DEP_1) | instskip(NEXT) | instid1(VALU_DEP_1)
	v_wmma_f32_16x16x16_f16 v[136:143], v[9:16], v[65:72], v[136:143]
	v_wmma_f32_16x16x16_f16 v[136:143], v[33:40], v[57:64], v[136:143]
	s_delay_alu instid0(VALU_DEP_1) | instskip(NEXT) | instid1(VALU_DEP_1)
	v_wmma_f32_16x16x16_f16 v[136:143], v[41:48], v[49:56], v[136:143]
	v_wmma_f32_16x16x16_f16 v[136:143], v[17:24], v[25:32], v[136:143]
	s_delay_alu instid0(VALU_DEP_1) | instskip(NEXT) | instid1(VALU_DEP_2)
	v_cvt_f16_f32_e64 v1, v136
	v_cvt_f16_f32_e64 v2, v137
	s_delay_alu instid0(VALU_DEP_3) | instskip(NEXT) | instid1(VALU_DEP_4)
	v_cvt_f16_f32_e64 v3, v138
	v_cvt_f16_f32_e64 v4, v139
	;; [unrolled: 1-line block ×6, first 2 shown]
	v_pack_b32_f16 v1, v1, v2
	v_pack_b32_f16 v2, v3, v4
	;; [unrolled: 1-line block ×3, first 2 shown]
	s_delay_alu instid0(VALU_DEP_4)
	v_pack_b32_f16 v4, v7, v8
	ds_store_b128 v134, v[1:4]
	s_waitcnt lgkmcnt(0)
	s_barrier
	buffer_gl0_inv
	ds_load_b128 v[1:4], v135
	ds_load_b128 v[5:8], v135 offset:16
	s_waitcnt lgkmcnt(1)
	v_lshrrev_b32_e32 v9, 16, v1
	s_waitcnt lgkmcnt(0)
	v_lshrrev_b32_e32 v13, 16, v5
	v_lshrrev_b32_e32 v10, 16, v2
	;; [unrolled: 1-line block ×4, first 2 shown]
	v_cndmask_b32_e64 v17, v1, v9, s4
	v_cndmask_b32_e64 v18, v5, v13, s4
	;; [unrolled: 1-line block ×3, first 2 shown]
	v_cmp_eq_u32_e64 s4, 2, v130
	v_cndmask_b32_e64 v20, v5, v13, s6
	v_cndmask_b32_e32 v21, v1, v9, vcc_lo
	v_cndmask_b32_e32 v22, v5, v13, vcc_lo
	v_cndmask_b32_e64 v1, v1, v9, s5
	v_cndmask_b32_e64 v5, v5, v13, s5
	v_cmp_eq_u32_e32 vcc_lo, 2, v132
	v_cmp_eq_u32_e64 s5, 2, v131
	v_cndmask_b32_e64 v9, v17, v2, s7
	v_cndmask_b32_e64 v13, v18, v6, s7
	;; [unrolled: 1-line block ×4, first 2 shown]
	v_cndmask_b32_e32 v19, v21, v2, vcc_lo
	v_cmp_eq_u32_e64 s4, 3, v132
	v_cndmask_b32_e32 v20, v22, v6, vcc_lo
	v_cndmask_b32_e64 v1, v1, v2, s5
	v_cmp_eq_u32_e32 vcc_lo, 3, v131
	v_cmp_eq_u32_e64 s6, 3, v129
	v_cndmask_b32_e64 v2, v5, v6, s5
	v_cmp_eq_u32_e64 s5, 3, v130
	v_cmp_eq_u32_e64 s7, 4, v129
	v_cndmask_b32_e32 v1, v1, v10, vcc_lo
	v_cndmask_b32_e64 v5, v9, v10, s6
	v_cndmask_b32_e64 v6, v13, v14, s6
	;; [unrolled: 1-line block ×3, first 2 shown]
	v_cmp_eq_u32_e64 s6, 4, v130
	v_cndmask_b32_e64 v13, v18, v14, s5
	v_cndmask_b32_e64 v17, v19, v10, s4
	;; [unrolled: 1-line block ×3, first 2 shown]
	v_cndmask_b32_e32 v2, v2, v14, vcc_lo
	v_cmp_eq_u32_e32 vcc_lo, 4, v132
	v_cmp_eq_u32_e64 s5, 4, v131
	v_lshrrev_b32_e32 v15, 16, v7
	v_cndmask_b32_e64 v5, v5, v3, s7
	v_cndmask_b32_e64 v6, v6, v7, s7
	v_cndmask_b32_e32 v14, v18, v7, vcc_lo
	v_cndmask_b32_e64 v9, v9, v3, s6
	v_cndmask_b32_e64 v10, v13, v7, s6
	v_cndmask_b32_e32 v13, v17, v3, vcc_lo
	v_cmp_eq_u32_e64 s4, 5, v132
	v_cndmask_b32_e64 v1, v1, v3, s5
	v_cmp_eq_u32_e32 vcc_lo, 5, v131
	v_cmp_eq_u32_e64 s6, 5, v129
	v_cndmask_b32_e64 v2, v2, v7, s5
	v_cmp_eq_u32_e64 s5, 5, v130
	v_cmp_eq_u32_e64 s7, 6, v129
	v_lshrrev_b32_e32 v12, 16, v4
	v_cndmask_b32_e64 v3, v5, v11, s6
	v_cndmask_b32_e64 v5, v6, v15, s6
	;; [unrolled: 1-line block ×3, first 2 shown]
	v_cmp_eq_u32_e64 s6, 6, v130
	v_cndmask_b32_e64 v7, v10, v15, s5
	v_cndmask_b32_e64 v9, v13, v11, s4
	;; [unrolled: 1-line block ×3, first 2 shown]
	v_cndmask_b32_e32 v1, v1, v11, vcc_lo
	v_cndmask_b32_e32 v2, v2, v15, vcc_lo
	v_cmp_eq_u32_e32 vcc_lo, 6, v132
	v_cmp_eq_u32_e64 s4, 6, v131
	v_lshrrev_b32_e32 v16, 16, v8
	v_cndmask_b32_e64 v3, v3, v4, s7
	v_cndmask_b32_e64 v5, v5, v8, s7
	v_cndmask_b32_e32 v9, v9, v4, vcc_lo
	v_cndmask_b32_e64 v6, v6, v4, s6
	v_cndmask_b32_e64 v7, v7, v8, s6
	v_cmp_eq_u32_e64 s5, 7, v132
	v_cndmask_b32_e32 v10, v10, v8, vcc_lo
	v_cndmask_b32_e64 v1, v1, v4, s4
	v_cmp_eq_u32_e32 vcc_lo, 7, v131
	v_cndmask_b32_e64 v2, v2, v8, s4
	v_cmp_eq_u32_e64 s4, 7, v129
	v_cmp_eq_u32_e64 s6, 7, v130
	v_cndmask_b32_e32 v1, v1, v12, vcc_lo
	s_delay_alu instid0(VALU_DEP_4) | instskip(NEXT) | instid1(VALU_DEP_4)
	v_cndmask_b32_e32 v2, v2, v16, vcc_lo
	v_cndmask_b32_e64 v8, v3, v12, s4
	s_delay_alu instid0(VALU_DEP_4)
	v_cndmask_b32_e64 v6, v6, v12, s6
	v_cndmask_b32_e64 v3, v9, v12, s5
	;; [unrolled: 1-line block ×5, first 2 shown]
	v_cmp_gt_u32_e32 vcc_lo, 32, v0
	v_perm_b32 v4, v2, v1, 0x5040100
	v_perm_b32 v3, v9, v3, 0x5040100
	;; [unrolled: 1-line block ×4, first 2 shown]
	s_and_b32 s2, vcc_lo, s2
	ds_store_b128 v134, v[1:4]
	s_waitcnt lgkmcnt(0)
	s_barrier
	buffer_gl0_inv
	s_and_saveexec_b32 s4, s2
	s_cbranch_execz .LBB14_2
; %bb.15:
	s_load_b64 s[4:5], s[0:1], 0x68
	v_lshlrev_b32_e32 v0, 10, v0
	v_lshlrev_b32_e32 v1, 4, v147
	s_lshl_b32 s0, s36, 6
	v_add_nc_u32_e32 v18, s33, v146
	s_mul_i32 s1, s0, s34
	s_delay_alu instid0(VALU_DEP_2) | instskip(SKIP_1) | instid1(VALU_DEP_2)
	v_and_or_b32 v0, 0x3800, v0, v1
	s_mul_i32 s6, s1, s8
	v_mul_lo_u32 v1, v18, s0
	s_ashr_i32 s7, s6, 31
	v_add_nc_u32_e32 v2, 2, v18
	v_lshl_or_b32 v19, v146, 6, v0
	s_lshl_b64 s[6:7], s[6:7], 1
	v_add_nc_u32_e32 v8, 4, v18
	v_add_nc_u32_e32 v15, 6, v18
	v_mul_lo_u32 v7, v2, s0
	ds_load_b128 v[3:6], v19
	v_ashrrev_i32_e32 v2, 31, v1
	v_mul_lo_u32 v11, v8, s0
	s_waitcnt lgkmcnt(0)
	s_add_u32 s1, s4, s6
	s_addc_u32 s2, s5, s7
	s_lshl_b32 s4, s14, 6
	v_lshlrev_b64 v[9:10], 1, v[1:2]
	s_ashr_i32 s5, s4, 31
	v_ashrrev_i32_e32 v8, 31, v7
	s_lshl_b64 s[4:5], s[4:5], 1
	v_ashrrev_i32_e32 v12, 31, v11
	s_add_u32 s1, s1, s4
	s_addc_u32 s2, s2, s5
	v_add_co_u32 v1, s1, s1, v145
	s_delay_alu instid0(VALU_DEP_1) | instskip(SKIP_1) | instid1(VALU_DEP_3)
	v_add_co_ci_u32_e64 v2, null, s2, 0, s1
	v_mul_lo_u32 v15, v15, s0
	v_add_co_u32 v13, vcc_lo, v1, v9
	s_delay_alu instid0(VALU_DEP_3)
	v_add_co_ci_u32_e32 v14, vcc_lo, v2, v10, vcc_lo
	v_lshlrev_b64 v[16:17], 1, v[7:8]
	ds_load_b128 v[7:10], v19 offset:128
	global_store_b128 v[13:14], v[3:6], off
	v_add_nc_u32_e32 v5, 8, v18
	v_lshlrev_b64 v[3:4], 1, v[11:12]
	v_add_co_u32 v23, vcc_lo, v1, v16
	v_ashrrev_i32_e32 v16, 31, v15
	s_delay_alu instid0(VALU_DEP_4) | instskip(SKIP_3) | instid1(VALU_DEP_3)
	v_mul_lo_u32 v25, v5, s0
	v_add_nc_u32_e32 v5, 10, v18
	v_add_co_ci_u32_e32 v24, vcc_lo, v2, v17, vcc_lo
	v_add_co_u32 v27, vcc_lo, v1, v3
	v_mul_lo_u32 v29, v5, s0
	v_add_co_ci_u32_e32 v28, vcc_lo, v2, v4, vcc_lo
	v_lshlrev_b64 v[31:32], 1, v[15:16]
	ds_load_b128 v[3:6], v19 offset:256
	ds_load_b128 v[11:14], v19 offset:384
	;; [unrolled: 1-line block ×4, first 2 shown]
	v_ashrrev_i32_e32 v26, 31, v25
	v_ashrrev_i32_e32 v30, 31, v29
	v_add_co_u32 v31, vcc_lo, v1, v31
	s_delay_alu instid0(VALU_DEP_3) | instskip(SKIP_1) | instid1(VALU_DEP_4)
	v_lshlrev_b64 v[25:26], 1, v[25:26]
	v_add_co_ci_u32_e32 v32, vcc_lo, v2, v32, vcc_lo
	v_lshlrev_b64 v[29:30], 1, v[29:30]
	s_delay_alu instid0(VALU_DEP_3) | instskip(NEXT) | instid1(VALU_DEP_4)
	v_add_co_u32 v25, vcc_lo, v1, v25
	v_add_co_ci_u32_e32 v26, vcc_lo, v2, v26, vcc_lo
	s_delay_alu instid0(VALU_DEP_3) | instskip(NEXT) | instid1(VALU_DEP_4)
	v_add_co_u32 v29, vcc_lo, v1, v29
	v_add_co_ci_u32_e32 v30, vcc_lo, v2, v30, vcc_lo
	s_waitcnt lgkmcnt(4)
	global_store_b128 v[23:24], v[7:10], off
	s_waitcnt lgkmcnt(3)
	global_store_b128 v[27:28], v[3:6], off
	;; [unrolled: 2-line block ×5, first 2 shown]
	s_and_b32 exec_lo, exec_lo, s3
	s_cbranch_execz .LBB14_2
; %bb.16:
	ds_load_b128 v[3:6], v0 offset:768
	s_add_i32 s1, s33, 12
	s_delay_alu instid0(SALU_CYCLE_1) | instskip(NEXT) | instid1(SALU_CYCLE_1)
	s_mul_i32 s0, s1, s0
	s_ashr_i32 s1, s0, 31
	s_delay_alu instid0(SALU_CYCLE_1) | instskip(NEXT) | instid1(SALU_CYCLE_1)
	s_lshl_b64 s[0:1], s[0:1], 1
	v_add_co_u32 v0, vcc_lo, v1, s0
	v_add_co_ci_u32_e32 v1, vcc_lo, s1, v2, vcc_lo
	s_waitcnt lgkmcnt(0)
	global_store_b128 v[0:1], v[3:6], off
	s_nop 0
	s_sendmsg sendmsg(MSG_DEALLOC_VGPRS)
	s_endpgm
	.section	.rodata,"a",@progbits
	.p2align	6, 0x0
	.amdhsa_kernel _Z39paged_attention_ll4mi_QKV_mfma16_kernelIDF16_DF16_LN4vllm18Fp8KVCacheDataTypeE0EhLi16ELi64ELi256ELb1ELi13EL8MFMAType0EEvPKT_PKT0_S8_ifPKiSA_SA_iPKfiiiPfSD_PS3_PT2_iSC_SC_
		.amdhsa_group_segment_fixed_size 17472
		.amdhsa_private_segment_fixed_size 0
		.amdhsa_kernarg_size 400
		.amdhsa_user_sgpr_count 13
		.amdhsa_user_sgpr_dispatch_ptr 0
		.amdhsa_user_sgpr_queue_ptr 0
		.amdhsa_user_sgpr_kernarg_segment_ptr 1
		.amdhsa_user_sgpr_dispatch_id 0
		.amdhsa_user_sgpr_private_segment_size 0
		.amdhsa_wavefront_size32 1
		.amdhsa_uses_dynamic_stack 0
		.amdhsa_enable_private_segment 0
		.amdhsa_system_sgpr_workgroup_id_x 1
		.amdhsa_system_sgpr_workgroup_id_y 1
		.amdhsa_system_sgpr_workgroup_id_z 1
		.amdhsa_system_sgpr_workgroup_info 0
		.amdhsa_system_vgpr_workitem_id 0
		.amdhsa_next_free_vgpr 198
		.amdhsa_next_free_sgpr 52
		.amdhsa_reserve_vcc 1
		.amdhsa_float_round_mode_32 0
		.amdhsa_float_round_mode_16_64 0
		.amdhsa_float_denorm_mode_32 3
		.amdhsa_float_denorm_mode_16_64 3
		.amdhsa_dx10_clamp 1
		.amdhsa_ieee_mode 1
		.amdhsa_fp16_overflow 0
		.amdhsa_workgroup_processor_mode 1
		.amdhsa_memory_ordered 1
		.amdhsa_forward_progress 0
		.amdhsa_shared_vgpr_count 0
		.amdhsa_exception_fp_ieee_invalid_op 0
		.amdhsa_exception_fp_denorm_src 0
		.amdhsa_exception_fp_ieee_div_zero 0
		.amdhsa_exception_fp_ieee_overflow 0
		.amdhsa_exception_fp_ieee_underflow 0
		.amdhsa_exception_fp_ieee_inexact 0
		.amdhsa_exception_int_div_zero 0
	.end_amdhsa_kernel
	.section	.text._Z39paged_attention_ll4mi_QKV_mfma16_kernelIDF16_DF16_LN4vllm18Fp8KVCacheDataTypeE0EhLi16ELi64ELi256ELb1ELi13EL8MFMAType0EEvPKT_PKT0_S8_ifPKiSA_SA_iPKfiiiPfSD_PS3_PT2_iSC_SC_,"axG",@progbits,_Z39paged_attention_ll4mi_QKV_mfma16_kernelIDF16_DF16_LN4vllm18Fp8KVCacheDataTypeE0EhLi16ELi64ELi256ELb1ELi13EL8MFMAType0EEvPKT_PKT0_S8_ifPKiSA_SA_iPKfiiiPfSD_PS3_PT2_iSC_SC_,comdat
.Lfunc_end14:
	.size	_Z39paged_attention_ll4mi_QKV_mfma16_kernelIDF16_DF16_LN4vllm18Fp8KVCacheDataTypeE0EhLi16ELi64ELi256ELb1ELi13EL8MFMAType0EEvPKT_PKT0_S8_ifPKiSA_SA_iPKfiiiPfSD_PS3_PT2_iSC_SC_, .Lfunc_end14-_Z39paged_attention_ll4mi_QKV_mfma16_kernelIDF16_DF16_LN4vllm18Fp8KVCacheDataTypeE0EhLi16ELi64ELi256ELb1ELi13EL8MFMAType0EEvPKT_PKT0_S8_ifPKiSA_SA_iPKfiiiPfSD_PS3_PT2_iSC_SC_
                                        ; -- End function
	.section	.AMDGPU.csdata,"",@progbits
; Kernel info:
; codeLenInByte = 8068
; NumSgprs: 54
; NumVgprs: 198
; ScratchSize: 0
; MemoryBound: 0
; FloatMode: 240
; IeeeMode: 1
; LDSByteSize: 17472 bytes/workgroup (compile time only)
; SGPRBlocks: 6
; VGPRBlocks: 24
; NumSGPRsForWavesPerEU: 54
; NumVGPRsForWavesPerEU: 198
; Occupancy: 7
; WaveLimiterHint : 1
; COMPUTE_PGM_RSRC2:SCRATCH_EN: 0
; COMPUTE_PGM_RSRC2:USER_SGPR: 13
; COMPUTE_PGM_RSRC2:TRAP_HANDLER: 0
; COMPUTE_PGM_RSRC2:TGID_X_EN: 1
; COMPUTE_PGM_RSRC2:TGID_Y_EN: 1
; COMPUTE_PGM_RSRC2:TGID_Z_EN: 1
; COMPUTE_PGM_RSRC2:TIDIG_COMP_CNT: 0
	.section	.text._Z39paged_attention_ll4mi_QKV_mfma16_kernelIDF16_DF16_LN4vllm18Fp8KVCacheDataTypeE0EhLi16ELi64ELi256ELb1ELi14EL8MFMAType0EEvPKT_PKT0_S8_ifPKiSA_SA_iPKfiiiPfSD_PS3_PT2_iSC_SC_,"axG",@progbits,_Z39paged_attention_ll4mi_QKV_mfma16_kernelIDF16_DF16_LN4vllm18Fp8KVCacheDataTypeE0EhLi16ELi64ELi256ELb1ELi14EL8MFMAType0EEvPKT_PKT0_S8_ifPKiSA_SA_iPKfiiiPfSD_PS3_PT2_iSC_SC_,comdat
	.protected	_Z39paged_attention_ll4mi_QKV_mfma16_kernelIDF16_DF16_LN4vllm18Fp8KVCacheDataTypeE0EhLi16ELi64ELi256ELb1ELi14EL8MFMAType0EEvPKT_PKT0_S8_ifPKiSA_SA_iPKfiiiPfSD_PS3_PT2_iSC_SC_ ; -- Begin function _Z39paged_attention_ll4mi_QKV_mfma16_kernelIDF16_DF16_LN4vllm18Fp8KVCacheDataTypeE0EhLi16ELi64ELi256ELb1ELi14EL8MFMAType0EEvPKT_PKT0_S8_ifPKiSA_SA_iPKfiiiPfSD_PS3_PT2_iSC_SC_
	.globl	_Z39paged_attention_ll4mi_QKV_mfma16_kernelIDF16_DF16_LN4vllm18Fp8KVCacheDataTypeE0EhLi16ELi64ELi256ELb1ELi14EL8MFMAType0EEvPKT_PKT0_S8_ifPKiSA_SA_iPKfiiiPfSD_PS3_PT2_iSC_SC_
	.p2align	8
	.type	_Z39paged_attention_ll4mi_QKV_mfma16_kernelIDF16_DF16_LN4vllm18Fp8KVCacheDataTypeE0EhLi16ELi64ELi256ELb1ELi14EL8MFMAType0EEvPKT_PKT0_S8_ifPKiSA_SA_iPKfiiiPfSD_PS3_PT2_iSC_SC_,@function
_Z39paged_attention_ll4mi_QKV_mfma16_kernelIDF16_DF16_LN4vllm18Fp8KVCacheDataTypeE0EhLi16ELi64ELi256ELb1ELi14EL8MFMAType0EEvPKT_PKT0_S8_ifPKiSA_SA_iPKfiiiPfSD_PS3_PT2_iSC_SC_: ; @_Z39paged_attention_ll4mi_QKV_mfma16_kernelIDF16_DF16_LN4vllm18Fp8KVCacheDataTypeE0EhLi16ELi64ELi256ELb1ELi14EL8MFMAType0EEvPKT_PKT0_S8_ifPKiSA_SA_iPKfiiiPfSD_PS3_PT2_iSC_SC_
; %bb.0:
	s_load_b64 s[2:3], s[0:1], 0x30
	s_mov_b32 s34, s13
	s_waitcnt lgkmcnt(0)
	s_cmp_lg_u64 s[2:3], 0
	s_cselect_b32 s6, -1, 0
	s_ashr_i32 s35, s13, 31
	s_cmp_eq_u64 s[2:3], 0
	s_cbranch_scc1 .LBB15_3
; %bb.1:
	s_lshl_b64 s[4:5], s[34:35], 2
	s_delay_alu instid0(SALU_CYCLE_1) | instskip(SKIP_4) | instid1(SALU_CYCLE_1)
	s_add_u32 s4, s2, s4
	s_addc_u32 s5, s3, s5
	s_load_b64 s[4:5], s[4:5], 0x0
	s_waitcnt lgkmcnt(0)
	s_sub_i32 s4, s5, s4
	s_cmp_eq_u32 s4, 1
	s_cselect_b32 s4, -1, 0
	s_delay_alu instid0(SALU_CYCLE_1)
	s_and_not1_b32 vcc_lo, exec_lo, s4
	s_cbranch_vccz .LBB15_4
.LBB15_2:
	s_endpgm
.LBB15_3:
.LBB15_4:
	s_load_b64 s[8:9], s[0:1], 0x28
	s_lshl_b64 s[4:5], s[34:35], 2
	s_waitcnt lgkmcnt(0)
	s_add_u32 s8, s8, s4
	s_addc_u32 s9, s9, s5
	s_lshl_b32 s35, s14, 8
	s_load_b32 s30, s[8:9], 0x0
	s_waitcnt lgkmcnt(0)
	s_cmp_ge_i32 s35, s30
	s_cbranch_scc1 .LBB15_2
; %bb.5:
	s_clause 0x1
	s_load_b128 s[8:11], s[0:1], 0x8
	s_load_b64 s[12:13], s[0:1], 0x20
	s_and_not1_b32 vcc_lo, exec_lo, s6
	s_cbranch_vccnz .LBB15_7
; %bb.6:
	s_add_u32 s2, s2, s4
	s_addc_u32 s3, s3, s5
	s_load_b32 s3, s[2:3], 0x0
	s_branch .LBB15_8
.LBB15_7:
	s_mov_b32 s3, s34
.LBB15_8:
	s_load_b128 s[4:7], s[0:1], 0x48
	v_and_b32_e32 v148, 15, v0
	v_cmp_gt_u32_e32 vcc_lo, 0xe0, v0
	v_lshrrev_b32_e32 v149, 5, v0
	v_and_b32_e32 v150, 31, v0
	v_and_b32_e32 v147, 1, v0
	v_lshlrev_b32_e32 v1, 3, v148
	v_cmp_gt_u32_e64 s2, 8, v148
	v_bfe_u32 v146, v0, 4, 1
	s_mul_i32 s31, s15, 14
	s_delay_alu instid0(VALU_DEP_3) | instskip(NEXT) | instid1(VALU_DEP_3)
	v_lshlrev_b32_e32 v145, 1, v1
	s_and_b32 s16, vcc_lo, s2
	s_waitcnt lgkmcnt(0)
	s_and_saveexec_b32 s7, s16
	s_cbranch_execz .LBB15_10
; %bb.9:
	s_load_b64 s[16:17], s[0:1], 0x0
	v_lshl_or_b32 v5, v149, 1, v146
	s_mul_hi_i32 s19, s3, s4
	s_mul_i32 s18, s3, s4
	v_lshlrev_b32_e32 v6, 10, v148
	s_lshl_b64 s[18:19], s[18:19], 1
	v_add_lshl_u32 v1, v5, s31, 6
	v_lshlrev_b32_e32 v5, 6, v5
	v_lshlrev_b32_e32 v7, 10, v147
	v_and_b32_e32 v6, 0x3800, v6
	s_delay_alu instid0(VALU_DEP_4) | instskip(NEXT) | instid1(VALU_DEP_2)
	v_ashrrev_i32_e32 v2, 31, v1
	v_or3_b32 v5, v6, v7, v5
	s_delay_alu instid0(VALU_DEP_2) | instskip(SKIP_3) | instid1(VALU_DEP_1)
	v_lshlrev_b64 v[1:2], 1, v[1:2]
	s_waitcnt lgkmcnt(0)
	s_add_u32 s3, s16, s18
	s_addc_u32 s4, s17, s19
	v_add_co_u32 v1, vcc_lo, s3, v1
	s_delay_alu instid0(VALU_DEP_2) | instskip(NEXT) | instid1(VALU_DEP_2)
	v_add_co_ci_u32_e32 v2, vcc_lo, s4, v2, vcc_lo
	v_add_co_u32 v1, vcc_lo, v1, v145
	s_delay_alu instid0(VALU_DEP_2)
	v_add_co_ci_u32_e32 v2, vcc_lo, 0, v2, vcc_lo
	global_load_b128 v[1:4], v[1:2], off
	s_waitcnt vmcnt(0)
	ds_store_b128 v5, v[1:4]
.LBB15_10:
	s_or_b32 exec_lo, exec_lo, s7
	s_mov_b32 s40, 0
	s_add_i32 s3, s30, 15
	s_mov_b32 s41, s40
	s_mov_b32 s42, s40
	;; [unrolled: 1-line block ×7, first 2 shown]
	s_delay_alu instid0(SALU_CYCLE_1)
	v_dual_mov_b32 v144, s47 :: v_dual_and_b32 v1, 0xef, v0
	v_mov_b32_e32 v142, s45
	s_ashr_i32 s7, s3, 31
	s_clause 0x1
	s_load_b32 s4, s[0:1], 0x38
	s_load_b32 s33, s[0:1], 0x98
	v_add_nc_u32_e32 v1, s35, v1
	s_lshr_b32 s7, s7, 28
	s_load_b32 s36, s[0:1], 0x1c
	s_add_i32 s3, s3, s7
	s_waitcnt lgkmcnt(0)
	v_ashrrev_i32_e32 v2, 31, v1
	v_or_b32_e32 v3, 16, v1
	s_ashr_i32 s3, s3, 4
	v_cmp_gt_i32_e32 vcc_lo, s30, v1
	s_add_i32 s3, s3, -1
	v_lshrrev_b32_e32 v2, 28, v2
	v_mov_b32_e32 v143, s46
	s_barrier
	buffer_gl0_inv
	s_mul_i32 s6, s15, s6
	v_dual_mov_b32 v141, s44 :: v_dual_add_nc_u32 v4, v1, v2
	v_mov_b32_e32 v139, s42
	s_mul_i32 s16, s34, s4
	v_mov_b32_e32 v137, s40
	s_delay_alu instid0(VALU_DEP_3)
	v_ashrrev_i32_e32 v4, 4, v4
	v_add_nc_u32_e32 v2, v3, v2
	s_ashr_i32 s17, s16, 31
	v_mov_b32_e32 v140, s43
	s_lshl_b64 s[16:17], s[16:17], 2
	v_cndmask_b32_e32 v1, s3, v4, vcc_lo
	v_ashrrev_i32_e32 v2, 4, v2
	v_cmp_gt_i32_e32 vcc_lo, s30, v3
	s_add_u32 s4, s12, s16
	s_addc_u32 s37, s13, s17
	s_ashr_i32 s7, s6, 31
	v_mov_b32_e32 v138, s41
	v_cndmask_b32_e32 v3, s3, v2, vcc_lo
	v_ashrrev_i32_e32 v2, 31, v1
	s_lshl_b64 s[6:7], s[6:7], 1
	s_delay_alu instid0(SALU_CYCLE_1) | instskip(NEXT) | instid1(VALU_DEP_2)
	s_add_u32 s24, s8, s6
	v_ashrrev_i32_e32 v4, 31, v3
	s_delay_alu instid0(VALU_DEP_2) | instskip(SKIP_2) | instid1(VALU_DEP_2)
	v_lshlrev_b64 v[1:2], 2, v[1:2]
	s_addc_u32 s25, s9, s7
	s_lshl_b32 s8, s14, 4
	v_lshlrev_b64 v[3:4], 2, v[3:4]
	s_ashr_i32 s9, s8, 31
	s_delay_alu instid0(VALU_DEP_2) | instskip(SKIP_1) | instid1(VALU_DEP_3)
	v_add_co_u32 v1, vcc_lo, s4, v1
	v_add_co_ci_u32_e32 v2, vcc_lo, s37, v2, vcc_lo
	v_add_co_u32 v3, vcc_lo, s4, v3
	s_delay_alu instid0(VALU_DEP_4)
	v_add_co_ci_u32_e32 v4, vcc_lo, s37, v4, vcc_lo
	s_clause 0x1
	global_load_b32 v5, v[1:2], off
	global_load_b32 v6, v[3:4], off
	s_lshl_b64 s[8:9], s[8:9], 2
	v_lshlrev_b32_e32 v3, 4, v0
	s_add_u32 s8, s4, s8
	s_addc_u32 s9, s37, s9
	s_or_b32 s12, s35, 16
	s_delay_alu instid0(SALU_CYCLE_1) | instskip(SKIP_2) | instid1(SALU_CYCLE_1)
	s_ashr_i32 s13, s12, 4
	s_cmp_lt_i32 s12, s30
	s_cselect_b32 s12, s13, s3
	s_ashr_i32 s13, s12, 31
	s_delay_alu instid0(SALU_CYCLE_1) | instskip(NEXT) | instid1(SALU_CYCLE_1)
	s_lshl_b64 s[12:13], s[12:13], 2
	s_add_u32 s12, s4, s12
	s_addc_u32 s13, s37, s13
	s_or_b32 s15, s35, 32
	s_delay_alu instid0(SALU_CYCLE_1) | instskip(SKIP_2) | instid1(SALU_CYCLE_1)
	s_ashr_i32 s16, s15, 4
	s_cmp_lt_i32 s15, s30
	s_cselect_b32 s16, s16, s3
	s_ashr_i32 s17, s16, 31
	s_delay_alu instid0(SALU_CYCLE_1) | instskip(NEXT) | instid1(SALU_CYCLE_1)
	s_lshl_b64 s[16:17], s[16:17], 2
	;; [unrolled: 10-line block ×5, first 2 shown]
	s_add_u32 s22, s4, s22
	s_addc_u32 s23, s37, s23
	s_clause 0x5
	s_load_b32 s8, s[8:9], 0x0
	s_load_b32 s12, s[12:13], 0x0
	;; [unrolled: 1-line block ×6, first 2 shown]
	s_waitcnt lgkmcnt(0)
	s_mul_hi_i32 s17, s16, s5
	s_mul_i32 s16, s16, s5
	s_waitcnt vmcnt(1)
	v_mad_i64_i32 v[1:2], null, v5, s5, 0
	v_and_b32_e32 v5, 0xf0, v3
	s_waitcnt vmcnt(0)
	v_mad_i64_i32 v[3:4], null, v6, s5, 0
	s_delay_alu instid0(VALU_DEP_2) | instskip(NEXT) | instid1(VALU_DEP_4)
	v_add_co_u32 v7, s9, s24, v5
	v_lshlrev_b64 v[1:2], 1, v[1:2]
	v_add_co_ci_u32_e64 v8, null, s25, 0, s9
	s_delay_alu instid0(VALU_DEP_4) | instskip(SKIP_1) | instid1(VALU_DEP_3)
	v_lshlrev_b64 v[5:6], 1, v[3:4]
	s_or_b32 s9, s35, 0x60
	v_add_co_u32 v3, vcc_lo, v7, v1
	s_delay_alu instid0(VALU_DEP_3) | instskip(NEXT) | instid1(VALU_DEP_3)
	v_add_co_ci_u32_e32 v4, vcc_lo, v8, v2, vcc_lo
	v_add_co_u32 v1, vcc_lo, v7, v5
	s_delay_alu instid0(VALU_DEP_4)
	v_add_co_ci_u32_e32 v2, vcc_lo, v8, v6, vcc_lo
	s_clause 0x9
	global_load_b128 v[9:12], v[3:4], off
	global_load_b128 v[13:16], v[3:4], off offset:256
	global_load_b128 v[129:132], v[1:2], off
	global_load_b128 v[133:136], v[1:2], off offset:256
	global_load_b128 v[41:44], v[3:4], off offset:512
	;; [unrolled: 1-line block ×7, first 2 shown]
	v_add_nc_u32_e32 v5, -14, v148
	v_cmp_gt_u32_e32 vcc_lo, 14, v148
	s_clause 0x1
	global_load_b128 v[151:154], v[1:2], off offset:1024
	global_load_b128 v[155:158], v[1:2], off offset:1280
	s_ashr_i32 s13, s9, 4
	s_cmp_lt_i32 s9, s30
	v_lshlrev_b32_e32 v6, 5, v148
	v_cndmask_b32_e32 v5, v5, v148, vcc_lo
	s_cselect_b32 s22, s13, s3
	s_delay_alu instid0(SALU_CYCLE_1) | instskip(NEXT) | instid1(VALU_DEP_2)
	s_ashr_i32 s23, s22, 31
	v_lshl_or_b32 v6, v149, 9, v6
	s_delay_alu instid0(VALU_DEP_2)
	v_lshlrev_b32_e32 v197, 6, v5
	ds_load_b128 v[159:162], v197
	ds_load_b128 v[163:166], v197 offset:1024
	s_clause 0x3
	global_load_b128 v[167:170], v[3:4], off offset:1536
	global_load_b128 v[171:174], v[3:4], off offset:1792
	;; [unrolled: 1-line block ×4, first 2 shown]
	s_lshl_b64 s[22:23], s[22:23], 2
	s_delay_alu instid0(SALU_CYCLE_1)
	s_add_u32 s22, s4, s22
	s_addc_u32 s23, s37, s23
	s_or_b32 s9, s35, 0x70
	s_load_b32 s46, s[22:23], 0x0
	s_ashr_i32 s13, s9, 4
	s_cmp_lt_i32 s9, s30
	s_cselect_b32 s24, s13, s3
	s_delay_alu instid0(SALU_CYCLE_1) | instskip(NEXT) | instid1(SALU_CYCLE_1)
	s_ashr_i32 s25, s24, 31
	s_lshl_b64 s[24:25], s[24:25], 2
	s_delay_alu instid0(SALU_CYCLE_1)
	s_add_u32 s24, s4, s24
	s_addc_u32 s25, s37, s25
	s_or_b32 s9, s35, 0x80
	s_load_b32 s47, s[24:25], 0x0
	s_ashr_i32 s13, s9, 4
	s_cmp_lt_i32 s9, s30
	s_cselect_b32 s26, s13, s3
	s_delay_alu instid0(SALU_CYCLE_1) | instskip(NEXT) | instid1(SALU_CYCLE_1)
	s_ashr_i32 s27, s26, 31
	s_lshl_b64 s[26:27], s[26:27], 2
	s_delay_alu instid0(SALU_CYCLE_1)
	s_add_u32 s26, s4, s26
	s_addc_u32 s27, s37, s27
	s_or_b32 s9, s35, 0x90
	s_load_b32 s48, s[26:27], 0x0
	s_ashr_i32 s13, s9, 4
	s_cmp_lt_i32 s9, s30
	s_cselect_b32 s28, s13, s3
	s_delay_alu instid0(SALU_CYCLE_1) | instskip(NEXT) | instid1(SALU_CYCLE_1)
	s_ashr_i32 s29, s28, 31
	s_lshl_b64 s[28:29], s[28:29], 2
	s_delay_alu instid0(SALU_CYCLE_1) | instskip(SKIP_2) | instid1(SALU_CYCLE_1)
	s_add_u32 s28, s4, s28
	s_addc_u32 s29, s37, s29
	s_or_b32 s9, s35, 0xa0
	s_ashr_i32 s13, s9, 4
	s_cmp_lt_i32 s9, s30
	s_cselect_b32 s38, s13, s3
	s_delay_alu instid0(SALU_CYCLE_1) | instskip(NEXT) | instid1(SALU_CYCLE_1)
	s_ashr_i32 s39, s38, 31
	s_lshl_b64 s[38:39], s[38:39], 2
	s_delay_alu instid0(SALU_CYCLE_1) | instskip(SKIP_2) | instid1(SALU_CYCLE_1)
	s_add_u32 s38, s4, s38
	s_addc_u32 s39, s37, s39
	s_or_b32 s9, s35, 0xb0
	s_ashr_i32 s13, s9, 4
	s_cmp_lt_i32 s9, s30
	s_mul_hi_i32 s9, s8, s5
	s_cselect_b32 s40, s13, s3
	s_mul_i32 s8, s8, s5
	s_ashr_i32 s41, s40, 31
	s_mul_hi_i32 s13, s12, s5
	s_lshl_b64 s[40:41], s[40:41], 2
	s_mul_i32 s12, s12, s5
	s_add_u32 s42, s4, s40
	s_addc_u32 s43, s37, s41
	s_or_b32 s19, s35, 0xc0
	s_delay_alu instid0(SALU_CYCLE_1)
	s_ashr_i32 s21, s19, 4
	s_cmp_lt_i32 s19, s30
	s_mul_hi_i32 s19, s18, s5
	s_cselect_b32 s40, s21, s3
	s_mul_i32 s18, s18, s5
	s_ashr_i32 s41, s40, 31
	s_mul_hi_i32 s21, s20, s5
	s_lshl_b64 s[40:41], s[40:41], 2
	s_mul_i32 s20, s20, s5
	s_add_u32 s44, s4, s40
	s_addc_u32 s45, s37, s41
	s_load_b32 s41, s[28:29], 0x0
	s_or_b32 s40, s35, 0xd0
	s_mul_hi_i32 s23, s15, s5
	s_ashr_i32 s22, s40, 4
	s_cmp_lt_i32 s40, s30
	s_load_b32 s40, s[38:39], 0x0
	s_cselect_b32 s24, s22, s3
	s_mul_i32 s22, s15, s5
	s_ashr_i32 s25, s24, 31
	s_waitcnt lgkmcnt(0)
	s_mul_hi_i32 s29, s48, s5
	s_lshl_b64 s[24:25], s[24:25], 2
	s_mul_i32 s28, s48, s5
	s_add_u32 s24, s4, s24
	s_addc_u32 s25, s37, s25
	s_or_b32 s49, s35, 0xe0
	s_clause 0x2
	s_load_b32 s39, s[42:43], 0x0
	s_load_b32 s38, s[44:45], 0x0
	;; [unrolled: 1-line block ×3, first 2 shown]
	s_ashr_i32 s50, s49, 4
	s_cmp_lt_i32 s49, s30
	s_mul_hi_i32 s25, s46, s5
	s_cselect_b32 s44, s50, s3
	s_mul_i32 s24, s46, s5
	s_ashr_i32 s45, s44, 31
	s_mul_hi_i32 s27, s47, s5
	s_lshl_b64 s[44:45], s[44:45], 2
	s_mul_i32 s26, s47, s5
	s_add_u32 s44, s4, s44
	s_addc_u32 s45, s37, s45
	s_or_b32 s46, s35, 0xf0
	s_mul_hi_i32 s43, s41, s5
	s_ashr_i32 s48, s46, 4
	s_cmp_lt_i32 s46, s30
	s_mul_i32 s42, s41, s5
	s_cselect_b32 s48, s48, s3
	s_mul_hi_i32 s41, s40, s5
	s_ashr_i32 s49, s48, 31
	s_mul_i32 s40, s40, s5
	s_lshl_b64 s[48:49], s[48:49], 2
	s_waitcnt lgkmcnt(0)
	s_mul_hi_i32 s47, s39, s5
	s_add_u32 s48, s4, s48
	s_addc_u32 s49, s37, s49
	s_add_u32 s3, s10, s6
	s_addc_u32 s4, s11, s7
	v_add_co_u32 v195, s3, s3, v6
	s_delay_alu instid0(VALU_DEP_1) | instskip(SKIP_2) | instid1(VALU_DEP_2)
	v_add_co_ci_u32_e64 v196, null, s4, 0, s3
	s_lshl_b64 s[6:7], s[8:9], 1
	s_lshl_b64 s[8:9], s[12:13], 1
	v_add_co_u32 v1, vcc_lo, v195, s6
	s_delay_alu instid0(VALU_DEP_2)
	v_add_co_ci_u32_e32 v2, vcc_lo, s7, v196, vcc_lo
	v_add_co_u32 v3, vcc_lo, v195, s8
	s_lshl_b64 s[10:11], s[16:17], 1
	v_add_co_ci_u32_e32 v4, vcc_lo, s9, v196, vcc_lo
	v_add_co_u32 v5, vcc_lo, v195, s10
	s_lshl_b64 s[12:13], s[18:19], 1
	;; [unrolled: 3-line block ×9, first 2 shown]
	s_mul_i32 s46, s39, s5
	v_add_co_ci_u32_e32 v54, vcc_lo, s27, v196, vcc_lo
	v_add_co_u32 v183, vcc_lo, v195, s28
	s_lshl_b64 s[40:41], s[46:47], 1
	s_mul_hi_i32 s39, s38, s5
	s_mul_i32 s38, s38, s5
	v_add_co_ci_u32_e32 v184, vcc_lo, s29, v196, vcc_lo
	v_add_co_u32 v185, vcc_lo, v195, s40
	s_lshl_b64 s[38:39], s[38:39], 1
	s_clause 0x1
	s_load_b32 s3, s[44:45], 0x0
	s_load_b32 s4, s[48:49], 0x0
	v_add_co_ci_u32_e32 v186, vcc_lo, s41, v196, vcc_lo
	v_add_co_u32 v191, vcc_lo, v195, s38
	v_add_co_ci_u32_e32 v192, vcc_lo, s39, v196, vcc_lo
	s_clause 0x17
	global_load_b128 v[121:124], v[1:2], off
	global_load_b128 v[125:128], v[1:2], off offset:16
	global_load_b128 v[113:116], v[3:4], off
	global_load_b128 v[117:120], v[3:4], off offset:16
	;; [unrolled: 2-line block ×12, first 2 shown]
	s_mul_hi_i32 s51, s15, s5
	s_mul_i32 s50, s15, s5
	s_delay_alu instid0(SALU_CYCLE_1) | instskip(NEXT) | instid1(SALU_CYCLE_1)
	s_lshl_b64 s[42:43], s[50:51], 1
	v_add_co_u32 v193, vcc_lo, v195, s42
	v_add_co_ci_u32_e32 v194, vcc_lo, s43, v196, vcc_lo
	s_waitcnt lgkmcnt(0)
	s_mul_hi_i32 s7, s3, s5
	s_mul_i32 s6, s3, s5
	s_mul_hi_i32 s9, s4, s5
	s_lshl_b64 s[6:7], s[6:7], 1
	s_mul_i32 s8, s4, s5
	s_delay_alu instid0(SALU_CYCLE_1)
	s_lshl_b64 s[4:5], s[8:9], 1
	s_waitcnt vmcnt(38)
	v_wmma_f32_16x16x16_f16 v[183:190], v[9:16], v[159:166], v[137:144]
	s_waitcnt vmcnt(36)
	v_wmma_f32_16x16x16_f16 v[137:144], v[129:136], v[159:166], v[137:144]
	s_clause 0x1
	global_load_b128 v[9:12], v[191:192], off
	global_load_b128 v[13:16], v[191:192], off offset:16
	ds_load_b128 v[129:132], v197 offset:2048
	ds_load_b128 v[133:136], v197 offset:3072
	;; [unrolled: 1-line block ×4, first 2 shown]
	v_add_co_u32 v191, vcc_lo, v195, s6
	v_add_co_ci_u32_e32 v192, vcc_lo, s7, v196, vcc_lo
	v_add_co_u32 v195, vcc_lo, v195, s4
	v_add_co_ci_u32_e32 v196, vcc_lo, s5, v196, vcc_lo
	s_waitcnt vmcnt(36) lgkmcnt(2)
	v_wmma_f32_16x16x16_f16 v[183:190], v[41:48], v[129:136], v[183:190]
	s_waitcnt vmcnt(34)
	v_wmma_f32_16x16x16_f16 v[137:144], v[33:40], v[129:136], v[137:144]
	s_clause 0x3
	global_load_b128 v[33:36], v[193:194], off
	global_load_b128 v[37:40], v[193:194], off offset:16
	global_load_b128 v[41:44], v[191:192], off
	global_load_b128 v[45:48], v[191:192], off offset:16
	v_and_b32_e32 v129, 0xe0, v0
	v_mbcnt_lo_u32_b32 v191, -1, 0
	s_waitcnt vmcnt(36) lgkmcnt(0)
	v_wmma_f32_16x16x16_f16 v[183:190], v[17:24], v[159:166], v[183:190]
	s_clause 0x1
	global_load_b128 v[17:20], v[195:196], off
	global_load_b128 v[21:24], v[195:196], off offset:16
	s_waitcnt vmcnt(36)
	v_wmma_f32_16x16x16_f16 v[137:144], v[151:158], v[159:166], v[137:144]
	v_add_nc_u32_e32 v192, s35, v129
	ds_load_b128 v[129:132], v197 offset:6144
	ds_load_b128 v[133:136], v197 offset:7168
	v_xor_b32_e32 v151, 16, v191
	s_waitcnt vmcnt(0) lgkmcnt(0)
	s_barrier
	v_or_b32_e32 v152, v192, v146
	buffer_gl0_inv
	v_cmp_gt_i32_e32 vcc_lo, 32, v151
	v_or_b32_e32 v153, 2, v152
	v_or_b32_e32 v154, 4, v152
	;; [unrolled: 1-line block ×5, first 2 shown]
	v_cmp_gt_i32_e64 s3, s30, v153
	v_cmp_gt_i32_e64 s4, s30, v154
	;; [unrolled: 1-line block ×3, first 2 shown]
	v_or_b32_e32 v158, 12, v152
	v_or_b32_e32 v159, 14, v152
	v_cmp_gt_i32_e64 s6, s30, v156
	v_wmma_f32_16x16x16_f16 v[183:190], v[167:174], v[129:136], v[183:190]
	v_wmma_f32_16x16x16_f16 v[137:144], v[175:182], v[129:136], v[137:144]
	v_cndmask_b32_e32 v151, v191, v151, vcc_lo
	v_cmp_gt_i32_e32 vcc_lo, s30, v152
	v_cmp_gt_i32_e64 s7, s30, v157
	v_dual_mul_f32 v135, s36, v184 :: v_dual_mul_f32 v136, s36, v183
	v_dual_mul_f32 v133, s36, v186 :: v_dual_mul_f32 v134, s36, v185
	v_dual_mul_f32 v131, s36, v188 :: v_dual_mul_f32 v174, s36, v138
	s_delay_alu instid0(VALU_DEP_3) | instskip(NEXT) | instid1(VALU_DEP_4)
	v_cndmask_b32_e32 v136, 0xff7fffff, v136, vcc_lo
	v_cndmask_b32_e64 v135, 0xff7fffff, v135, s3
	v_mul_f32_e32 v132, s36, v187
	v_cndmask_b32_e64 v134, 0xff7fffff, v134, s4
	v_cndmask_b32_e64 v133, 0xff7fffff, v133, s5
	v_or_b32_e32 v160, 16, v152
	v_max3_f32 v135, v136, 0xff7fffff, v135
	v_or_b32_e32 v161, 18, v152
	v_mul_f32_e32 v130, s36, v189
	v_dual_mul_f32 v172, s36, v140 :: v_dual_mul_f32 v129, s36, v190
	v_cndmask_b32_e64 v132, 0xff7fffff, v132, s6
	v_cndmask_b32_e64 v131, 0xff7fffff, v131, s7
	v_max3_f32 v133, v135, v134, v133
	v_cmp_gt_i32_e64 s8, s30, v158
	v_cmp_gt_i32_e64 s9, s30, v159
	v_or_b32_e32 v162, 20, v152
	v_or_b32_e32 v163, 22, v152
	v_mul_f32_e32 v175, s36, v137
	v_cndmask_b32_e64 v130, 0xff7fffff, v130, s8
	v_cndmask_b32_e64 v129, 0xff7fffff, v129, s9
	v_max3_f32 v131, v133, v132, v131
	v_cmp_gt_i32_e64 s10, s30, v160
	v_cmp_gt_i32_e64 s11, s30, v161
	v_or_b32_e32 v164, 24, v152
	v_or_b32_e32 v165, 26, v152
	v_mul_f32_e32 v173, s36, v139
	v_cndmask_b32_e64 v132, 0xff7fffff, v175, s10
	v_cndmask_b32_e64 v133, 0xff7fffff, v174, s11
	v_max3_f32 v129, v131, v130, v129
	v_cmp_gt_i32_e64 s12, s30, v162
	v_cmp_gt_i32_e64 s13, s30, v163
	v_or_b32_e32 v166, 28, v152
	v_or_b32_e32 v167, 30, v152
	v_dual_mul_f32 v170, s36, v142 :: v_dual_mul_f32 v171, s36, v141
	v_cndmask_b32_e64 v130, 0xff7fffff, v173, s12
	v_cndmask_b32_e64 v131, 0xff7fffff, v172, s13
	v_max3_f32 v129, v129, v132, v133
	v_cmp_gt_i32_e64 s15, s30, v164
	v_cmp_gt_i32_e64 s16, s30, v165
	v_dual_mul_f32 v168, s36, v144 :: v_dual_mul_f32 v169, s36, v143
	s_delay_alu instid0(VALU_DEP_4) | instskip(NEXT) | instid1(VALU_DEP_4)
	v_max3_f32 v129, v129, v130, v131
	v_cndmask_b32_e64 v132, 0xff7fffff, v171, s15
	s_delay_alu instid0(VALU_DEP_4) | instskip(SKIP_2) | instid1(VALU_DEP_3)
	v_cndmask_b32_e64 v133, 0xff7fffff, v170, s16
	v_cmp_gt_i32_e64 s17, s30, v166
	v_cmp_gt_i32_e64 s18, s30, v167
	v_max3_f32 v129, v129, v132, v133
	s_delay_alu instid0(VALU_DEP_3) | instskip(NEXT) | instid1(VALU_DEP_3)
	v_cndmask_b32_e64 v130, 0xff7fffff, v169, s17
	v_cndmask_b32_e64 v131, 0xff7fffff, v168, s18
	v_lshlrev_b32_e32 v132, 2, v151
	s_delay_alu instid0(VALU_DEP_2) | instskip(SKIP_3) | instid1(VALU_DEP_1)
	v_max3_f32 v129, v129, v130, v131
	ds_bpermute_b32 v130, v132, v129
	s_waitcnt lgkmcnt(0)
	v_max_f32_e32 v130, v130, v130
	v_max_f32_e32 v129, v129, v130
	s_delay_alu instid0(VALU_DEP_1) | instskip(SKIP_4) | instid1(VALU_DEP_4)
	v_fma_f32 v134, s36, v186, -v129
	v_fma_f32 v135, s36, v187, -v129
	;; [unrolled: 1-line block ×5, first 2 shown]
	v_dual_mul_f32 v134, 0x3fb8aa3b, v134 :: v_dual_mul_f32 v135, 0x3fb8aa3b, v135
	s_delay_alu instid0(VALU_DEP_4) | instskip(SKIP_1) | instid1(VALU_DEP_3)
	v_mul_f32_e32 v130, 0x3fb8aa3b, v130
	v_fma_f32 v136, s36, v189, -v129
	v_exp_f32_e32 v134, v134
	s_delay_alu instid0(VALU_DEP_3) | instskip(NEXT) | instid1(VALU_DEP_2)
	v_exp_f32_e32 v135, v135
	v_exp_f32_e32 v130, v130
	s_delay_alu instid0(VALU_DEP_1) | instskip(NEXT) | instid1(VALU_DEP_1)
	v_mul_f32_e32 v136, 0x3fb8aa3b, v136
	v_exp_f32_e32 v136, v136
	v_cndmask_b32_e64 v153, 0, v134, s5
	v_fma_f32 v134, s36, v137, -v129
	v_mul_f32_e32 v131, 0x3fb8aa3b, v131
	s_delay_alu instid0(TRANS32_DEP_3) | instskip(NEXT) | instid1(TRANS32_DEP_2)
	v_cndmask_b32_e64 v155, 0, v135, s6
	v_dual_mul_f32 v133, 0x3fb8aa3b, v133 :: v_dual_cndmask_b32 v152, 0, v130
	s_delay_alu instid0(VALU_DEP_4) | instskip(NEXT) | instid1(VALU_DEP_4)
	v_mul_f32_e32 v134, 0x3fb8aa3b, v134
	v_exp_f32_e32 v131, v131
	v_fma_f32 v135, s36, v138, -v129
	s_delay_alu instid0(VALU_DEP_3)
	v_exp_f32_e32 v133, v133
	v_fma_f32 v130, s36, v188, -v129
	v_cndmask_b32_e64 v156, 0, v136, s8
	v_fma_f32 v136, s36, v140, -v129
	v_mul_f32_e32 v135, 0x3fb8aa3b, v135
	v_exp_f32_e32 v134, v134
	v_mul_f32_e32 v130, 0x3fb8aa3b, v130
	s_delay_alu instid0(TRANS32_DEP_3) | instskip(SKIP_1) | instid1(TRANS32_DEP_2)
	v_cndmask_b32_e64 v151, 0, v131, s3
	v_add_f32_e32 v131, 0, v152
	v_cndmask_b32_e64 v154, 0, v133, s4
	v_exp_f32_e32 v135, v135
	v_fma_f32 v133, s36, v190, -v129
	v_exp_f32_e32 v130, v130
	v_dual_add_f32 v131, v131, v151 :: v_dual_mul_f32 v136, 0x3fb8aa3b, v136
	s_mov_b32 s3, exec_lo
	s_delay_alu instid0(VALU_DEP_2) | instskip(NEXT) | instid1(VALU_DEP_2)
	v_mul_f32_e32 v133, 0x3fb8aa3b, v133
	v_add_f32_e32 v131, v131, v154
	s_delay_alu instid0(VALU_DEP_3) | instskip(NEXT) | instid1(TRANS32_DEP_3)
	v_exp_f32_e32 v136, v136
	v_cndmask_b32_e64 v140, 0, v135, s11
	s_delay_alu instid0(VALU_DEP_3) | instskip(NEXT) | instid1(TRANS32_DEP_3)
	v_exp_f32_e32 v133, v133
	v_cndmask_b32_e64 v138, 0, v130, s7
	v_add_f32_e32 v131, v131, v153
	v_fma_f32 v135, s36, v143, -v129
	s_delay_alu instid0(VALU_DEP_2)
	v_add_f32_e32 v130, v131, v155
	v_fma_f32 v131, s36, v139, -v129
	s_waitcnt_depctr 0xfff
	v_cndmask_b32_e64 v139, 0, v133, s9
	v_fma_f32 v133, s36, v141, -v129
	v_add_f32_e32 v130, v130, v138
	v_cndmask_b32_e64 v141, 0, v134, s10
	v_fma_f32 v134, s36, v142, -v129
	v_cndmask_b32_e64 v142, 0, v136, s13
	s_delay_alu instid0(VALU_DEP_4) | instskip(NEXT) | instid1(VALU_DEP_3)
	v_dual_mul_f32 v131, 0x3fb8aa3b, v131 :: v_dual_add_f32 v130, v130, v156
	v_mul_f32_e32 v134, 0x3fb8aa3b, v134
	s_delay_alu instid0(VALU_DEP_2) | instskip(NEXT) | instid1(VALU_DEP_2)
	v_exp_f32_e32 v131, v131
	v_add_f32_e32 v130, v130, v139
	s_delay_alu instid0(VALU_DEP_2) | instskip(NEXT) | instid1(VALU_DEP_1)
	v_exp_f32_e32 v134, v134
	v_add_f32_e32 v130, v130, v141
	s_waitcnt_depctr 0xfff
	v_cndmask_b32_e64 v143, 0, v131, s12
	v_dual_add_f32 v130, v130, v140 :: v_dual_mul_f32 v133, 0x3fb8aa3b, v133
	s_delay_alu instid0(VALU_DEP_1) | instskip(NEXT) | instid1(VALU_DEP_2)
	v_add_f32_e32 v130, v130, v143
	v_exp_f32_e32 v133, v133
	s_delay_alu instid0(VALU_DEP_1)
	v_add_f32_e32 v130, v130, v142
	s_waitcnt_depctr 0xfff
	v_cndmask_b32_e64 v157, 0, v133, s15
	v_mul_f32_e32 v131, 0x3fb8aa3b, v135
	v_fma_f32 v135, s36, v144, -v129
	v_cndmask_b32_e64 v144, 0, v134, s16
	s_delay_alu instid0(VALU_DEP_4) | instskip(NEXT) | instid1(VALU_DEP_4)
	v_add_f32_e32 v130, v130, v157
	v_exp_f32_e32 v131, v131
	s_delay_alu instid0(VALU_DEP_1) | instskip(NEXT) | instid1(VALU_DEP_1)
	v_dual_mul_f32 v133, 0x3fb8aa3b, v135 :: v_dual_add_f32 v130, v130, v144
	v_exp_f32_e32 v133, v133
	s_waitcnt_depctr 0xfff
	v_cndmask_b32_e64 v159, 0, v131, s17
	s_delay_alu instid0(VALU_DEP_1) | instskip(SKIP_1) | instid1(VALU_DEP_1)
	v_add_f32_e32 v130, v130, v159
	v_cndmask_b32_e64 v158, 0, v133, s18
	v_add_f32_e32 v130, v130, v158
	ds_bpermute_b32 v131, v132, v130
	v_cmpx_gt_u32_e32 16, v150
	s_cbranch_execz .LBB15_12
; %bb.11:
	v_mul_u32_u24_e32 v132, 0x44, v149
	s_delay_alu instid0(VALU_DEP_1) | instskip(SKIP_1) | instid1(VALU_DEP_1)
	v_lshl_add_u32 v132, v148, 2, v132
	s_waitcnt lgkmcnt(0)
	v_dual_add_f32 v130, v130, v131 :: v_dual_add_nc_u32 v131, 0x4000, v132
	ds_store_2addr_b32 v131, v129, v130 offset1:136
.LBB15_12:
	s_or_b32 exec_lo, exec_lo, s3
	v_lshlrev_b32_e32 v129, 2, v148
	s_load_b32 s35, s[0:1], 0x94
	s_waitcnt lgkmcnt(0)
	s_barrier
	buffer_gl0_inv
	v_add_nc_u32_e32 v135, 0x4000, v129
	v_cmp_eq_u32_e32 vcc_lo, 1, v149
	v_cmp_eq_u32_e64 s3, 2, v149
	v_cmp_eq_u32_e64 s4, 3, v149
	;; [unrolled: 1-line block ×3, first 2 shown]
	ds_load_2addr_b32 v[129:130], v135 offset1:17
	ds_load_2addr_b32 v[131:132], v135 offset0:34 offset1:51
	ds_load_2addr_b32 v[133:134], v135 offset0:68 offset1:85
	;; [unrolled: 1-line block ×3, first 2 shown]
	v_cmp_eq_u32_e64 s6, 5, v149
	v_cmp_eq_u32_e64 s7, 7, v149
	s_waitcnt lgkmcnt(3)
	v_max3_f32 v136, v129, 0xff7fffff, v130
	s_waitcnt lgkmcnt(2)
	s_delay_alu instid0(VALU_DEP_1) | instskip(SKIP_1) | instid1(VALU_DEP_1)
	v_max3_f32 v136, v136, v131, v132
	s_waitcnt lgkmcnt(1)
	v_max3_f32 v136, v136, v133, v134
	s_waitcnt lgkmcnt(0)
	s_delay_alu instid0(VALU_DEP_1) | instskip(NEXT) | instid1(VALU_DEP_1)
	v_max3_f32 v136, v136, v160, v161
	v_sub_f32_e32 v164, v132, v136
	ds_load_2addr_b32 v[162:163], v135 offset0:136 offset1:153
	v_sub_f32_e32 v129, v129, v136
	v_sub_f32_e32 v137, v130, v136
	;; [unrolled: 1-line block ×3, first 2 shown]
	v_mul_f32_e32 v164, 0x3fb8aa3b, v164
	s_delay_alu instid0(VALU_DEP_4) | instskip(NEXT) | instid1(VALU_DEP_4)
	v_mul_f32_e32 v150, 0x3fb8aa3b, v129
	v_mul_f32_e32 v137, 0x3fb8aa3b, v137
	ds_load_2addr_b32 v[129:130], v135 offset0:170 offset1:187
	v_mul_f32_e32 v167, 0x3fb8aa3b, v133
	v_exp_f32_e32 v164, v164
	v_exp_f32_e32 v150, v150
	;; [unrolled: 1-line block ×3, first 2 shown]
	v_sub_f32_e32 v131, v131, v136
	s_delay_alu instid0(VALU_DEP_1)
	v_mul_f32_e32 v165, 0x3fb8aa3b, v131
	ds_load_2addr_b32 v[131:132], v135 offset0:204 offset1:221
	s_waitcnt lgkmcnt(2)
	v_fma_f32 v137, v150, v162, 0
	v_sub_f32_e32 v162, v134, v136
	v_exp_f32_e32 v165, v165
	ds_load_2addr_b32 v[133:134], v135 offset0:238 offset1:255
	v_sub_f32_e32 v135, v160, v136
	v_dual_fmac_f32 v137, v166, v163 :: v_dual_mul_f32 v160, 0x3fb8aa3b, v162
	v_exp_f32_e32 v162, v167
	s_waitcnt lgkmcnt(0)
	s_delay_alu instid0(VALU_DEP_2)
	v_mul_f32_e32 v135, 0x3fb8aa3b, v135
	s_barrier
	v_exp_f32_e32 v160, v160
	v_fmac_f32_e32 v137, v165, v129
	v_sub_f32_e32 v129, v161, v136
	v_exp_f32_e32 v161, v135
	buffer_gl0_inv
	v_fmac_f32_e32 v137, v164, v130
	v_dual_mul_f32 v129, 0x3fb8aa3b, v129 :: v_dual_cndmask_b32 v130, v150, v166
	s_delay_alu instid0(VALU_DEP_2) | instskip(NEXT) | instid1(VALU_DEP_2)
	v_fmac_f32_e32 v137, v162, v131
	v_exp_f32_e32 v163, v129
	s_delay_alu instid0(VALU_DEP_1) | instskip(NEXT) | instid1(VALU_DEP_1)
	v_fmac_f32_e32 v137, v160, v132
	v_fmac_f32_e32 v137, v161, v133
	v_lshlrev_b32_e32 v133, 6, v148
	s_waitcnt_depctr 0xfff
	v_fmac_f32_e32 v137, v163, v134
	v_lshl_or_b32 v135, v149, 11, v133
	s_delay_alu instid0(VALU_DEP_2) | instskip(NEXT) | instid1(VALU_DEP_1)
	v_add_f32_e32 v134, 0x358637bd, v137
	v_div_scale_f32 v167, null, v134, v134, 1.0
	v_div_scale_f32 v150, vcc_lo, 1.0, v134, 1.0
	s_delay_alu instid0(VALU_DEP_2) | instskip(SKIP_2) | instid1(VALU_DEP_1)
	v_rcp_f32_e32 v168, v167
	s_waitcnt_depctr 0xfff
	v_fma_f32 v129, -v167, v168, 1.0
	v_fmac_f32_e32 v168, v129, v168
	v_cndmask_b32_e64 v129, v130, v165, s3
	v_cmp_eq_u32_e64 s3, 6, v149
	s_delay_alu instid0(VALU_DEP_3) | instskip(NEXT) | instid1(VALU_DEP_3)
	v_mul_f32_e32 v165, v150, v168
	v_cndmask_b32_e64 v130, v129, v164, s4
	v_lshlrev_b32_e32 v129, 2, v146
	s_delay_alu instid0(VALU_DEP_3) | instskip(NEXT) | instid1(VALU_DEP_3)
	v_fma_f32 v131, -v167, v165, v150
	v_cndmask_b32_e64 v162, v130, v162, s5
	s_delay_alu instid0(VALU_DEP_3)
	v_or_b32_e32 v130, 1, v129
	v_or_b32_e32 v132, 2, v129
	v_cmp_eq_u32_e64 s4, 1, v129
	v_fmac_f32_e32 v165, v131, v168
	v_cndmask_b32_e64 v149, v162, v160, s6
	v_or_b32_e32 v131, 3, v129
	v_cmp_eq_u32_e64 s9, 1, v130
	v_cmp_eq_u32_e64 s10, 1, v132
	v_fma_f32 v150, -v167, v165, v150
	v_cndmask_b32_e64 v149, v149, v161, s3
	v_cmp_eq_u32_e64 s11, 1, v131
	v_cmp_eq_u32_e64 s5, 2, v129
	;; [unrolled: 1-line block ×3, first 2 shown]
	v_div_fmas_f32 v150, v150, v168, v165
	v_cndmask_b32_e64 v149, v149, v163, s7
	v_cmp_eq_u32_e64 s15, 2, v132
	v_cmp_eq_u32_e64 s16, 2, v131
	v_cmp_eq_u32_e32 vcc_lo, 3, v129
	v_div_fixup_f32 v150, v150, v134, 1.0
	v_lshl_or_b32 v134, v146, 4, v135
	v_cmp_eq_u32_e64 s13, 3, v130
	v_cmp_eq_u32_e64 s18, 3, v131
	;; [unrolled: 1-line block ×3, first 2 shown]
	v_mul_f32_e32 v149, v149, v150
	v_cmp_eq_u32_e64 s17, 3, v132
	v_cmp_eq_u32_e64 s19, 4, v130
	;; [unrolled: 1-line block ×4, first 2 shown]
	v_fma_mixlo_f16 v160, v149, v152, 0
	v_fma_mixlo_f16 v161, v149, v154, 0
	;; [unrolled: 1-line block ×8, first 2 shown]
	v_fma_mixhi_f16 v160, v149, v151, 0
	v_fma_mixhi_f16 v161, v149, v153, 0
	v_fma_mixhi_f16 v162, v149, v138, 0
	v_fma_mixhi_f16 v163, v149, v139, 0
	v_fma_mixhi_f16 v154, v149, v140, 0
	v_fma_mixhi_f16 v155, v149, v142, 0
	v_fma_mixhi_f16 v156, v149, v144, 0
	v_fma_mixhi_f16 v157, v149, v158, 0
	ds_store_b128 v134, v[160:163]
	ds_store_b128 v134, v[154:157] offset:1024
	s_waitcnt lgkmcnt(0)
	s_barrier
	buffer_gl0_inv
	ds_load_b128 v[138:141], v135
	ds_load_b128 v[149:152], v135 offset:16
	ds_load_b128 v[153:156], v135 offset:1024
	ds_load_b128 v[157:160], v135 offset:1040
	v_cmp_eq_u32_e64 s20, 5, v130
	v_cmp_eq_u32_e64 s21, 4, v132
	v_cmp_eq_u32_e64 s24, 5, v131
	v_cmp_eq_u32_e64 s7, 6, v129
	v_cmp_eq_u32_e64 s23, 5, v132
	v_cmp_eq_u32_e64 s25, 6, v130
	v_cmp_eq_u32_e64 s27, 6, v131
	v_cmp_eq_u32_e64 s8, 7, v129
	v_cmp_eq_u32_e64 s26, 6, v132
	v_cmp_eq_u32_e64 s29, 7, v131
	v_cmp_eq_u32_e64 s30, 7, v130
	v_cmp_eq_u32_e64 s28, 7, v132
	s_waitcnt lgkmcnt(3)
	v_lshrrev_b32_e32 v142, 16, v138
	s_waitcnt lgkmcnt(2)
	v_lshrrev_b32_e32 v162, 16, v149
	;; [unrolled: 2-line block ×4, first 2 shown]
	v_lshrrev_b32_e32 v143, 16, v139
	v_cndmask_b32_e64 v174, v138, v142, s4
	v_cndmask_b32_e64 v175, v149, v162, s4
	;; [unrolled: 1-line block ×7, first 2 shown]
	v_lshrrev_b32_e32 v163, 16, v150
	v_cndmask_b32_e64 v179, v149, v162, s10
	v_cndmask_b32_e64 v149, v153, v166, s4
	;; [unrolled: 1-line block ×16, first 2 shown]
	v_lshrrev_b32_e32 v167, 16, v154
	v_lshrrev_b32_e32 v171, 16, v158
	v_cndmask_b32_e64 v177, v179, v150, s15
	v_cndmask_b32_e64 v142, v149, v154, s5
	v_cndmask_b32_e64 v149, v162, v158, s5
	v_cndmask_b32_e64 v150, v180, v154, s12
	v_cndmask_b32_e64 v162, v182, v154, s15
	v_cndmask_b32_e64 v153, v153, v154, s16
	v_cndmask_b32_e64 v154, v157, v158, s16
	v_cndmask_b32_e32 v157, v166, v143, vcc_lo
	v_cndmask_b32_e32 v166, v170, v163, vcc_lo
	v_cndmask_b32_e64 v170, v174, v143, s13
	v_cndmask_b32_e64 v174, v175, v163, s13
	;; [unrolled: 1-line block ×4, first 2 shown]
	v_lshrrev_b32_e32 v144, 16, v140
	v_lshrrev_b32_e32 v164, 16, v151
	v_cndmask_b32_e64 v175, v176, v143, s17
	v_cndmask_b32_e64 v176, v177, v163, s17
	v_cndmask_b32_e32 v142, v142, v167, vcc_lo
	v_cndmask_b32_e32 v143, v149, v171, vcc_lo
	v_cndmask_b32_e64 v149, v150, v167, s13
	v_cndmask_b32_e64 v150, v157, v140, s3
	;; [unrolled: 1-line block ×7, first 2 shown]
	v_lshrrev_b32_e32 v168, 16, v155
	v_cndmask_b32_e64 v170, v175, v140, s21
	v_cndmask_b32_e64 v174, v176, v151, s21
	;; [unrolled: 1-line block ×11, first 2 shown]
	v_lshrrev_b32_e32 v161, 16, v141
	v_lshrrev_b32_e32 v165, 16, v152
	v_cndmask_b32_e64 v163, v170, v144, s23
	v_cndmask_b32_e64 v166, v174, v164, s23
	v_cndmask_b32_e64 v143, v143, v168, s20
	v_cndmask_b32_e64 v144, v149, v141, s7
	v_cndmask_b32_e64 v149, v150, v152, s7
	v_cndmask_b32_e64 v150, v151, v141, s25
	v_cndmask_b32_e64 v151, v157, v152, s25
	v_cndmask_b32_e64 v138, v138, v141, s27
	v_cndmask_b32_e64 v139, v139, v152, s27
	v_lshrrev_b32_e32 v169, 16, v156
	v_cndmask_b32_e64 v140, v140, v168, s6
	v_cndmask_b32_e64 v157, v163, v141, s26
	;; [unrolled: 1-line block ×14, first 2 shown]
	v_perm_b32 v141, v139, v138, 0x5040100
	v_perm_b32 v139, v151, v149, 0x5040100
	v_cndmask_b32_e64 v138, v183, v158, s15
	v_cndmask_b32_e64 v149, v181, v158, s12
	;; [unrolled: 1-line block ×3, first 2 shown]
	v_perm_b32 v140, v152, v150, 0x5040100
	v_cndmask_b32_e64 v150, v162, v167, s17
	v_cndmask_b32_e64 v151, v153, v167, s18
	;; [unrolled: 1-line block ×5, first 2 shown]
	v_lshrrev_b32_e32 v172, 16, v159
	v_cndmask_b32_e64 v150, v150, v155, s21
	v_cndmask_b32_e64 v151, v151, v155, s22
	;; [unrolled: 1-line block ×11, first 2 shown]
	v_lshrrev_b32_e32 v173, 16, v160
	v_cndmask_b32_e64 v142, v142, v160, s7
	v_cndmask_b32_e64 v150, v150, v156, s26
	;; [unrolled: 1-line block ×12, first 2 shown]
	v_perm_b32 v138, v144, v143, 0x5040100
	v_perm_b32 v152, v152, v151, 0x5040100
	;; [unrolled: 1-line block ×5, first 2 shown]
	s_mul_i32 s7, s33, 14
	s_mov_b32 s3, exec_lo
	ds_store_b128 v134, v[138:141]
	ds_store_b128 v134, v[149:152] offset:1024
	v_cmpx_gt_u32_e32 14, v0
	s_cbranch_execz .LBB15_14
; %bb.13:
	s_mul_i32 s4, s7, s34
	s_load_b128 s[8:11], s[0:1], 0x58
	v_add3_u32 v140, s4, s31, v148
	s_delay_alu instid0(VALU_DEP_1) | instskip(NEXT) | instid1(VALU_DEP_1)
	v_mad_u64_u32 v[138:139], null, v140, s35, s[14:15]
	v_ashrrev_i32_e32 v139, 31, v138
	s_delay_alu instid0(VALU_DEP_1) | instskip(SKIP_1) | instid1(VALU_DEP_1)
	v_lshlrev_b64 v[138:139], 2, v[138:139]
	s_waitcnt lgkmcnt(0)
	v_add_co_u32 v140, vcc_lo, s10, v138
	s_delay_alu instid0(VALU_DEP_2)
	v_add_co_ci_u32_e32 v141, vcc_lo, s11, v139, vcc_lo
	v_add_co_u32 v138, vcc_lo, s8, v138
	v_add_co_ci_u32_e32 v139, vcc_lo, s9, v139, vcc_lo
	global_store_b32 v[140:141], v136, off
	global_store_b32 v[138:139], v137, off
.LBB15_14:
	s_or_b32 exec_lo, exec_lo, s3
	s_waitcnt lgkmcnt(0)
	s_waitcnt_vscnt null, 0x0
	s_barrier
	buffer_gl0_inv
	ds_load_b128 v[148:151], v133
	ds_load_b128 v[152:155], v133 offset:16
	ds_load_b128 v[160:163], v133 offset:1040
	;; [unrolled: 1-line block ×5, first 2 shown]
	v_cmp_eq_u32_e32 vcc_lo, 1, v132
	v_mov_b32_e32 v136, 0
	ds_load_b128 v[176:179], v133 offset:3088
	ds_load_b128 v[172:175], v133 offset:3072
	;; [unrolled: 1-line block ×4, first 2 shown]
	v_cmp_eq_u32_e64 s3, 1, v129
	v_cmp_eq_u32_e64 s4, 1, v131
	;; [unrolled: 1-line block ×3, first 2 shown]
	v_mov_b32_e32 v137, v136
	v_mov_b32_e32 v138, v136
	;; [unrolled: 1-line block ×7, first 2 shown]
	v_cmp_eq_u32_e64 s6, 2, v129
	s_waitcnt lgkmcnt(8)
	s_delay_alu instid0(VALU_DEP_2)
	v_wmma_f32_16x16x16_f16 v[136:143], v[121:128], v[148:155], v[136:143]
	ds_load_b128 v[125:128], v133 offset:5136
	ds_load_b128 v[121:124], v133 offset:5120
	s_waitcnt lgkmcnt(8)
	v_wmma_f32_16x16x16_f16 v[136:143], v[113:120], v[156:163], v[136:143]
	ds_load_b128 v[117:120], v133 offset:6160
	ds_load_b128 v[113:116], v133 offset:6144
	s_waitcnt lgkmcnt(8)
	;; [unrolled: 4-line block ×11, first 2 shown]
	s_barrier
	buffer_gl0_inv
	v_wmma_f32_16x16x16_f16 v[136:143], v[1:8], v[73:80], v[136:143]
	s_delay_alu instid0(VALU_DEP_1) | instskip(NEXT) | instid1(VALU_DEP_1)
	v_wmma_f32_16x16x16_f16 v[136:143], v[9:16], v[65:72], v[136:143]
	v_wmma_f32_16x16x16_f16 v[136:143], v[33:40], v[57:64], v[136:143]
	s_delay_alu instid0(VALU_DEP_1) | instskip(NEXT) | instid1(VALU_DEP_1)
	v_wmma_f32_16x16x16_f16 v[136:143], v[41:48], v[49:56], v[136:143]
	v_wmma_f32_16x16x16_f16 v[136:143], v[17:24], v[25:32], v[136:143]
	s_delay_alu instid0(VALU_DEP_1) | instskip(NEXT) | instid1(VALU_DEP_2)
	v_cvt_f16_f32_e64 v1, v136
	v_cvt_f16_f32_e64 v2, v137
	s_delay_alu instid0(VALU_DEP_3) | instskip(NEXT) | instid1(VALU_DEP_4)
	v_cvt_f16_f32_e64 v3, v138
	v_cvt_f16_f32_e64 v4, v139
	;; [unrolled: 1-line block ×6, first 2 shown]
	v_pack_b32_f16 v1, v1, v2
	v_pack_b32_f16 v2, v3, v4
	;; [unrolled: 1-line block ×3, first 2 shown]
	s_delay_alu instid0(VALU_DEP_4)
	v_pack_b32_f16 v4, v7, v8
	ds_store_b128 v134, v[1:4]
	s_waitcnt lgkmcnt(0)
	s_barrier
	buffer_gl0_inv
	ds_load_b128 v[1:4], v135
	ds_load_b128 v[5:8], v135 offset:16
	s_waitcnt lgkmcnt(1)
	v_lshrrev_b32_e32 v9, 16, v1
	s_waitcnt lgkmcnt(0)
	v_lshrrev_b32_e32 v13, 16, v5
	v_lshrrev_b32_e32 v10, 16, v2
	;; [unrolled: 1-line block ×4, first 2 shown]
	v_cndmask_b32_e64 v17, v1, v9, s3
	v_cndmask_b32_e64 v18, v5, v13, s3
	;; [unrolled: 1-line block ×3, first 2 shown]
	v_cmp_eq_u32_e64 s3, 2, v130
	v_cndmask_b32_e64 v20, v5, v13, s5
	v_cndmask_b32_e32 v21, v1, v9, vcc_lo
	v_cndmask_b32_e32 v22, v5, v13, vcc_lo
	v_cndmask_b32_e64 v1, v1, v9, s4
	v_cndmask_b32_e64 v5, v5, v13, s4
	v_cmp_eq_u32_e32 vcc_lo, 2, v132
	v_cmp_eq_u32_e64 s4, 2, v131
	v_cndmask_b32_e64 v9, v17, v2, s6
	v_cndmask_b32_e64 v13, v18, v6, s6
	;; [unrolled: 1-line block ×4, first 2 shown]
	v_cndmask_b32_e32 v19, v21, v2, vcc_lo
	v_cmp_eq_u32_e64 s3, 3, v132
	v_cndmask_b32_e32 v20, v22, v6, vcc_lo
	v_cndmask_b32_e64 v1, v1, v2, s4
	v_cmp_eq_u32_e32 vcc_lo, 3, v131
	v_cmp_eq_u32_e64 s5, 3, v129
	v_cndmask_b32_e64 v2, v5, v6, s4
	v_cmp_eq_u32_e64 s4, 3, v130
	v_cmp_eq_u32_e64 s6, 4, v129
	v_cndmask_b32_e32 v1, v1, v10, vcc_lo
	v_cndmask_b32_e64 v5, v9, v10, s5
	v_cndmask_b32_e64 v6, v13, v14, s5
	;; [unrolled: 1-line block ×3, first 2 shown]
	v_cmp_eq_u32_e64 s5, 4, v130
	v_cndmask_b32_e64 v13, v18, v14, s4
	v_cndmask_b32_e64 v17, v19, v10, s3
	;; [unrolled: 1-line block ×3, first 2 shown]
	v_cndmask_b32_e32 v2, v2, v14, vcc_lo
	v_cmp_eq_u32_e32 vcc_lo, 4, v132
	v_cmp_eq_u32_e64 s4, 4, v131
	v_lshrrev_b32_e32 v15, 16, v7
	v_cndmask_b32_e64 v5, v5, v3, s6
	v_cndmask_b32_e64 v6, v6, v7, s6
	v_cndmask_b32_e32 v14, v18, v7, vcc_lo
	v_cndmask_b32_e64 v9, v9, v3, s5
	v_cndmask_b32_e64 v10, v13, v7, s5
	v_cndmask_b32_e32 v13, v17, v3, vcc_lo
	v_cmp_eq_u32_e64 s3, 5, v132
	v_cndmask_b32_e64 v1, v1, v3, s4
	v_cmp_eq_u32_e32 vcc_lo, 5, v131
	v_cmp_eq_u32_e64 s5, 5, v129
	v_cndmask_b32_e64 v2, v2, v7, s4
	v_cmp_eq_u32_e64 s4, 5, v130
	v_cmp_eq_u32_e64 s6, 6, v129
	v_lshrrev_b32_e32 v12, 16, v4
	v_cndmask_b32_e64 v3, v5, v11, s5
	v_cndmask_b32_e64 v5, v6, v15, s5
	v_cndmask_b32_e64 v6, v9, v11, s4
	v_cmp_eq_u32_e64 s5, 6, v130
	v_cndmask_b32_e64 v7, v10, v15, s4
	v_cndmask_b32_e64 v9, v13, v11, s3
	;; [unrolled: 1-line block ×3, first 2 shown]
	v_cndmask_b32_e32 v1, v1, v11, vcc_lo
	v_cndmask_b32_e32 v2, v2, v15, vcc_lo
	v_cmp_eq_u32_e32 vcc_lo, 6, v132
	v_cmp_eq_u32_e64 s3, 6, v131
	v_lshrrev_b32_e32 v16, 16, v8
	v_cndmask_b32_e64 v3, v3, v4, s6
	v_cndmask_b32_e64 v5, v5, v8, s6
	v_cndmask_b32_e32 v9, v9, v4, vcc_lo
	v_cndmask_b32_e64 v6, v6, v4, s5
	v_cndmask_b32_e64 v7, v7, v8, s5
	v_cmp_eq_u32_e64 s4, 7, v132
	v_cndmask_b32_e32 v10, v10, v8, vcc_lo
	v_cndmask_b32_e64 v1, v1, v4, s3
	v_cmp_eq_u32_e32 vcc_lo, 7, v131
	v_cndmask_b32_e64 v2, v2, v8, s3
	v_cmp_eq_u32_e64 s3, 7, v129
	v_cmp_eq_u32_e64 s5, 7, v130
	v_cndmask_b32_e32 v1, v1, v12, vcc_lo
	s_delay_alu instid0(VALU_DEP_4) | instskip(NEXT) | instid1(VALU_DEP_4)
	v_cndmask_b32_e32 v2, v2, v16, vcc_lo
	v_cndmask_b32_e64 v8, v3, v12, s3
	s_delay_alu instid0(VALU_DEP_4)
	v_cndmask_b32_e64 v6, v6, v12, s5
	v_cndmask_b32_e64 v3, v9, v12, s4
	;; [unrolled: 1-line block ×5, first 2 shown]
	v_cmp_gt_u32_e32 vcc_lo, 32, v0
	v_perm_b32 v4, v2, v1, 0x5040100
	v_perm_b32 v3, v9, v3, 0x5040100
	;; [unrolled: 1-line block ×4, first 2 shown]
	s_and_b32 s2, vcc_lo, s2
	ds_store_b128 v134, v[1:4]
	s_waitcnt lgkmcnt(0)
	s_barrier
	buffer_gl0_inv
	s_and_saveexec_b32 s3, s2
	s_cbranch_execz .LBB15_2
; %bb.15:
	s_load_b64 s[0:1], s[0:1], 0x68
	v_lshlrev_b32_e32 v0, 10, v0
	s_lshl_b32 s4, s35, 6
	v_or_b32_e32 v3, s31, v146
	s_mul_i32 s2, s4, s34
	v_lshlrev_b32_e32 v1, 4, v147
	v_lshlrev_b32_e32 v2, 6, v146
	v_and_b32_e32 v0, 0x3800, v0
	s_mul_i32 s2, s2, s7
	v_mul_lo_u32 v8, v3, s4
	s_ashr_i32 s3, s2, 31
	s_delay_alu instid0(SALU_CYCLE_1)
	s_lshl_b64 s[2:3], s[2:3], 1
	v_or3_b32 v16, v0, v1, v2
	ds_load_b128 v[0:3], v16
	ds_load_b128 v[4:7], v16 offset:128
	v_ashrrev_i32_e32 v9, 31, v8
	s_waitcnt lgkmcnt(0)
	s_add_u32 s2, s0, s2
	s_addc_u32 s3, s1, s3
	s_lshl_b32 s0, s14, 6
	s_delay_alu instid0(SALU_CYCLE_1) | instskip(SKIP_2) | instid1(SALU_CYCLE_1)
	s_ashr_i32 s1, s0, 31
	v_lshlrev_b64 v[9:10], 1, v[8:9]
	s_lshl_b64 s[0:1], s[0:1], 1
	s_add_u32 s0, s2, s0
	s_addc_u32 s1, s3, s1
	s_lshl_b32 s2, s35, 7
	v_add_co_u32 v30, s0, s0, v145
	v_add_nc_u32_e32 v11, s2, v8
	v_add_co_ci_u32_e64 v31, null, s1, 0, s0
	s_delay_alu instid0(VALU_DEP_3) | instskip(NEXT) | instid1(VALU_DEP_3)
	v_add_co_u32 v9, vcc_lo, v30, v9
	v_add_nc_u32_e32 v8, s2, v11
	s_delay_alu instid0(VALU_DEP_3) | instskip(SKIP_1) | instid1(VALU_DEP_3)
	v_add_co_ci_u32_e32 v10, vcc_lo, v31, v10, vcc_lo
	v_ashrrev_i32_e32 v12, 31, v11
	v_add_nc_u32_e32 v13, s2, v8
	global_store_b128 v[9:10], v[0:3], off
	v_ashrrev_i32_e32 v9, 31, v8
	v_lshlrev_b64 v[11:12], 1, v[11:12]
	v_ashrrev_i32_e32 v14, 31, v13
	v_add_nc_u32_e32 v10, s2, v13
	s_delay_alu instid0(VALU_DEP_4) | instskip(NEXT) | instid1(VALU_DEP_4)
	v_lshlrev_b64 v[2:3], 1, v[8:9]
	v_add_co_u32 v0, vcc_lo, v30, v11
	s_delay_alu instid0(VALU_DEP_4)
	v_lshlrev_b64 v[8:9], 1, v[13:14]
	v_add_co_ci_u32_e32 v1, vcc_lo, v31, v12, vcc_lo
	v_ashrrev_i32_e32 v11, 31, v10
	v_add_co_u32 v22, vcc_lo, v30, v2
	v_add_nc_u32_e32 v20, s2, v10
	v_add_co_ci_u32_e32 v23, vcc_lo, v31, v3, vcc_lo
	v_add_co_u32 v24, vcc_lo, v30, v8
	global_store_b128 v[0:1], v[4:7], off
	v_add_co_ci_u32_e32 v25, vcc_lo, v31, v9, vcc_lo
	ds_load_b128 v[0:3], v16 offset:256
	ds_load_b128 v[4:7], v16 offset:384
	v_lshlrev_b64 v[26:27], 1, v[10:11]
	ds_load_b128 v[8:11], v16 offset:512
	ds_load_b128 v[12:15], v16 offset:640
	;; [unrolled: 1-line block ×3, first 2 shown]
	v_add_nc_u32_e32 v28, s2, v20
	v_ashrrev_i32_e32 v21, 31, v20
	v_add_co_u32 v26, vcc_lo, v30, v26
	s_delay_alu instid0(VALU_DEP_3) | instskip(NEXT) | instid1(VALU_DEP_3)
	v_ashrrev_i32_e32 v29, 31, v28
	v_lshlrev_b64 v[20:21], 1, v[20:21]
	v_add_co_ci_u32_e32 v27, vcc_lo, v31, v27, vcc_lo
	s_delay_alu instid0(VALU_DEP_3) | instskip(NEXT) | instid1(VALU_DEP_3)
	v_lshlrev_b64 v[28:29], 1, v[28:29]
	v_add_co_u32 v20, vcc_lo, v30, v20
	s_delay_alu instid0(VALU_DEP_4) | instskip(NEXT) | instid1(VALU_DEP_3)
	v_add_co_ci_u32_e32 v21, vcc_lo, v31, v21, vcc_lo
	v_add_co_u32 v28, vcc_lo, v30, v28
	s_delay_alu instid0(VALU_DEP_4)
	v_add_co_ci_u32_e32 v29, vcc_lo, v31, v29, vcc_lo
	s_waitcnt lgkmcnt(4)
	global_store_b128 v[22:23], v[0:3], off
	s_waitcnt lgkmcnt(3)
	global_store_b128 v[24:25], v[4:7], off
	;; [unrolled: 2-line block ×5, first 2 shown]
	s_nop 0
	s_sendmsg sendmsg(MSG_DEALLOC_VGPRS)
	s_endpgm
	.section	.rodata,"a",@progbits
	.p2align	6, 0x0
	.amdhsa_kernel _Z39paged_attention_ll4mi_QKV_mfma16_kernelIDF16_DF16_LN4vllm18Fp8KVCacheDataTypeE0EhLi16ELi64ELi256ELb1ELi14EL8MFMAType0EEvPKT_PKT0_S8_ifPKiSA_SA_iPKfiiiPfSD_PS3_PT2_iSC_SC_
		.amdhsa_group_segment_fixed_size 17472
		.amdhsa_private_segment_fixed_size 0
		.amdhsa_kernarg_size 400
		.amdhsa_user_sgpr_count 13
		.amdhsa_user_sgpr_dispatch_ptr 0
		.amdhsa_user_sgpr_queue_ptr 0
		.amdhsa_user_sgpr_kernarg_segment_ptr 1
		.amdhsa_user_sgpr_dispatch_id 0
		.amdhsa_user_sgpr_private_segment_size 0
		.amdhsa_wavefront_size32 1
		.amdhsa_uses_dynamic_stack 0
		.amdhsa_enable_private_segment 0
		.amdhsa_system_sgpr_workgroup_id_x 1
		.amdhsa_system_sgpr_workgroup_id_y 1
		.amdhsa_system_sgpr_workgroup_id_z 1
		.amdhsa_system_sgpr_workgroup_info 0
		.amdhsa_system_vgpr_workitem_id 0
		.amdhsa_next_free_vgpr 198
		.amdhsa_next_free_sgpr 52
		.amdhsa_reserve_vcc 1
		.amdhsa_float_round_mode_32 0
		.amdhsa_float_round_mode_16_64 0
		.amdhsa_float_denorm_mode_32 3
		.amdhsa_float_denorm_mode_16_64 3
		.amdhsa_dx10_clamp 1
		.amdhsa_ieee_mode 1
		.amdhsa_fp16_overflow 0
		.amdhsa_workgroup_processor_mode 1
		.amdhsa_memory_ordered 1
		.amdhsa_forward_progress 0
		.amdhsa_shared_vgpr_count 0
		.amdhsa_exception_fp_ieee_invalid_op 0
		.amdhsa_exception_fp_denorm_src 0
		.amdhsa_exception_fp_ieee_div_zero 0
		.amdhsa_exception_fp_ieee_overflow 0
		.amdhsa_exception_fp_ieee_underflow 0
		.amdhsa_exception_fp_ieee_inexact 0
		.amdhsa_exception_int_div_zero 0
	.end_amdhsa_kernel
	.section	.text._Z39paged_attention_ll4mi_QKV_mfma16_kernelIDF16_DF16_LN4vllm18Fp8KVCacheDataTypeE0EhLi16ELi64ELi256ELb1ELi14EL8MFMAType0EEvPKT_PKT0_S8_ifPKiSA_SA_iPKfiiiPfSD_PS3_PT2_iSC_SC_,"axG",@progbits,_Z39paged_attention_ll4mi_QKV_mfma16_kernelIDF16_DF16_LN4vllm18Fp8KVCacheDataTypeE0EhLi16ELi64ELi256ELb1ELi14EL8MFMAType0EEvPKT_PKT0_S8_ifPKiSA_SA_iPKfiiiPfSD_PS3_PT2_iSC_SC_,comdat
.Lfunc_end15:
	.size	_Z39paged_attention_ll4mi_QKV_mfma16_kernelIDF16_DF16_LN4vllm18Fp8KVCacheDataTypeE0EhLi16ELi64ELi256ELb1ELi14EL8MFMAType0EEvPKT_PKT0_S8_ifPKiSA_SA_iPKfiiiPfSD_PS3_PT2_iSC_SC_, .Lfunc_end15-_Z39paged_attention_ll4mi_QKV_mfma16_kernelIDF16_DF16_LN4vllm18Fp8KVCacheDataTypeE0EhLi16ELi64ELi256ELb1ELi14EL8MFMAType0EEvPKT_PKT0_S8_ifPKiSA_SA_iPKfiiiPfSD_PS3_PT2_iSC_SC_
                                        ; -- End function
	.section	.AMDGPU.csdata,"",@progbits
; Kernel info:
; codeLenInByte = 8016
; NumSgprs: 54
; NumVgprs: 198
; ScratchSize: 0
; MemoryBound: 0
; FloatMode: 240
; IeeeMode: 1
; LDSByteSize: 17472 bytes/workgroup (compile time only)
; SGPRBlocks: 6
; VGPRBlocks: 24
; NumSGPRsForWavesPerEU: 54
; NumVGPRsForWavesPerEU: 198
; Occupancy: 7
; WaveLimiterHint : 1
; COMPUTE_PGM_RSRC2:SCRATCH_EN: 0
; COMPUTE_PGM_RSRC2:USER_SGPR: 13
; COMPUTE_PGM_RSRC2:TRAP_HANDLER: 0
; COMPUTE_PGM_RSRC2:TGID_X_EN: 1
; COMPUTE_PGM_RSRC2:TGID_Y_EN: 1
; COMPUTE_PGM_RSRC2:TGID_Z_EN: 1
; COMPUTE_PGM_RSRC2:TIDIG_COMP_CNT: 0
	.section	.text._Z39paged_attention_ll4mi_QKV_mfma16_kernelIDF16_DF16_LN4vllm18Fp8KVCacheDataTypeE0EhLi16ELi64ELi256ELb1ELi15EL8MFMAType0EEvPKT_PKT0_S8_ifPKiSA_SA_iPKfiiiPfSD_PS3_PT2_iSC_SC_,"axG",@progbits,_Z39paged_attention_ll4mi_QKV_mfma16_kernelIDF16_DF16_LN4vllm18Fp8KVCacheDataTypeE0EhLi16ELi64ELi256ELb1ELi15EL8MFMAType0EEvPKT_PKT0_S8_ifPKiSA_SA_iPKfiiiPfSD_PS3_PT2_iSC_SC_,comdat
	.protected	_Z39paged_attention_ll4mi_QKV_mfma16_kernelIDF16_DF16_LN4vllm18Fp8KVCacheDataTypeE0EhLi16ELi64ELi256ELb1ELi15EL8MFMAType0EEvPKT_PKT0_S8_ifPKiSA_SA_iPKfiiiPfSD_PS3_PT2_iSC_SC_ ; -- Begin function _Z39paged_attention_ll4mi_QKV_mfma16_kernelIDF16_DF16_LN4vllm18Fp8KVCacheDataTypeE0EhLi16ELi64ELi256ELb1ELi15EL8MFMAType0EEvPKT_PKT0_S8_ifPKiSA_SA_iPKfiiiPfSD_PS3_PT2_iSC_SC_
	.globl	_Z39paged_attention_ll4mi_QKV_mfma16_kernelIDF16_DF16_LN4vllm18Fp8KVCacheDataTypeE0EhLi16ELi64ELi256ELb1ELi15EL8MFMAType0EEvPKT_PKT0_S8_ifPKiSA_SA_iPKfiiiPfSD_PS3_PT2_iSC_SC_
	.p2align	8
	.type	_Z39paged_attention_ll4mi_QKV_mfma16_kernelIDF16_DF16_LN4vllm18Fp8KVCacheDataTypeE0EhLi16ELi64ELi256ELb1ELi15EL8MFMAType0EEvPKT_PKT0_S8_ifPKiSA_SA_iPKfiiiPfSD_PS3_PT2_iSC_SC_,@function
_Z39paged_attention_ll4mi_QKV_mfma16_kernelIDF16_DF16_LN4vllm18Fp8KVCacheDataTypeE0EhLi16ELi64ELi256ELb1ELi15EL8MFMAType0EEvPKT_PKT0_S8_ifPKiSA_SA_iPKfiiiPfSD_PS3_PT2_iSC_SC_: ; @_Z39paged_attention_ll4mi_QKV_mfma16_kernelIDF16_DF16_LN4vllm18Fp8KVCacheDataTypeE0EhLi16ELi64ELi256ELb1ELi15EL8MFMAType0EEvPKT_PKT0_S8_ifPKiSA_SA_iPKfiiiPfSD_PS3_PT2_iSC_SC_
; %bb.0:
	s_load_b64 s[2:3], s[0:1], 0x30
	s_mov_b32 s34, s13
	s_waitcnt lgkmcnt(0)
	s_cmp_lg_u64 s[2:3], 0
	s_cselect_b32 s6, -1, 0
	s_ashr_i32 s35, s13, 31
	s_cmp_eq_u64 s[2:3], 0
	s_cbranch_scc1 .LBB16_3
; %bb.1:
	s_lshl_b64 s[4:5], s[34:35], 2
	s_delay_alu instid0(SALU_CYCLE_1) | instskip(SKIP_4) | instid1(SALU_CYCLE_1)
	s_add_u32 s4, s2, s4
	s_addc_u32 s5, s3, s5
	s_load_b64 s[4:5], s[4:5], 0x0
	s_waitcnt lgkmcnt(0)
	s_sub_i32 s4, s5, s4
	s_cmp_eq_u32 s4, 1
	s_cselect_b32 s4, -1, 0
	s_delay_alu instid0(SALU_CYCLE_1)
	s_and_not1_b32 vcc_lo, exec_lo, s4
	s_cbranch_vccz .LBB16_4
.LBB16_2:
	s_nop 0
	s_sendmsg sendmsg(MSG_DEALLOC_VGPRS)
	s_endpgm
.LBB16_3:
.LBB16_4:
	s_load_b64 s[8:9], s[0:1], 0x28
	s_lshl_b64 s[4:5], s[34:35], 2
	s_waitcnt lgkmcnt(0)
	s_add_u32 s8, s8, s4
	s_addc_u32 s9, s9, s5
	s_lshl_b32 s31, s14, 8
	s_load_b32 s30, s[8:9], 0x0
	s_waitcnt lgkmcnt(0)
	s_cmp_ge_i32 s31, s30
	s_cbranch_scc1 .LBB16_2
; %bb.5:
	s_clause 0x1
	s_load_b128 s[8:11], s[0:1], 0x8
	s_load_b64 s[12:13], s[0:1], 0x20
	s_and_not1_b32 vcc_lo, exec_lo, s6
	s_cbranch_vccnz .LBB16_7
; %bb.6:
	s_add_u32 s2, s2, s4
	s_addc_u32 s3, s3, s5
	s_load_b32 s3, s[2:3], 0x0
	s_branch .LBB16_8
.LBB16_7:
	s_mov_b32 s3, s34
.LBB16_8:
	s_load_b128 s[4:7], s[0:1], 0x48
	v_lshrrev_b32_e32 v149, 5, v0
	v_bfe_u32 v146, v0, 4, 1
	v_and_b32_e32 v148, 15, v0
	v_and_b32_e32 v150, 31, v0
	;; [unrolled: 1-line block ×3, first 2 shown]
	s_mul_i32 s33, s15, 15
	v_lshl_or_b32 v1, v149, 1, v146
	v_lshlrev_b32_e32 v2, 3, v148
	v_cmp_gt_u32_e64 s2, 8, v148
	s_delay_alu instid0(VALU_DEP_3) | instskip(NEXT) | instid1(VALU_DEP_3)
	v_cmp_gt_u32_e32 vcc_lo, 15, v1
	v_lshlrev_b32_e32 v145, 1, v2
	s_delay_alu instid0(VALU_DEP_3)
	s_and_b32 s16, s2, vcc_lo
	s_waitcnt lgkmcnt(0)
	s_and_saveexec_b32 s7, s16
	s_cbranch_execz .LBB16_10
; %bb.9:
	s_load_b64 s[16:17], s[0:1], 0x0
	v_add_lshl_u32 v2, v1, s33, 6
	s_mul_hi_i32 s19, s3, s4
	s_mul_i32 s18, s3, s4
	v_lshlrev_b32_e32 v6, 10, v148
	s_lshl_b64 s[18:19], s[18:19], 1
	v_ashrrev_i32_e32 v3, 31, v2
	v_lshlrev_b32_e32 v1, 6, v1
	v_lshlrev_b32_e32 v7, 10, v147
	v_and_b32_e32 v6, 0x3800, v6
	s_delay_alu instid0(VALU_DEP_4) | instskip(NEXT) | instid1(VALU_DEP_2)
	v_lshlrev_b64 v[2:3], 1, v[2:3]
	v_or3_b32 v1, v6, v7, v1
	s_waitcnt lgkmcnt(0)
	s_add_u32 s3, s16, s18
	s_addc_u32 s4, s17, s19
	s_delay_alu instid0(VALU_DEP_2) | instskip(SKIP_1) | instid1(VALU_DEP_2)
	v_add_co_u32 v2, vcc_lo, s3, v2
	v_add_co_ci_u32_e32 v3, vcc_lo, s4, v3, vcc_lo
	v_add_co_u32 v2, vcc_lo, v2, v145
	s_delay_alu instid0(VALU_DEP_2)
	v_add_co_ci_u32_e32 v3, vcc_lo, 0, v3, vcc_lo
	global_load_b128 v[2:5], v[2:3], off
	s_waitcnt vmcnt(0)
	ds_store_b128 v1, v[2:5]
.LBB16_10:
	s_or_b32 exec_lo, exec_lo, s7
	s_mov_b32 s40, 0
	s_add_i32 s3, s30, 15
	s_mov_b32 s41, s40
	s_mov_b32 s42, s40
	;; [unrolled: 1-line block ×7, first 2 shown]
	s_delay_alu instid0(SALU_CYCLE_1)
	v_dual_mov_b32 v136, s47 :: v_dual_and_b32 v1, 0xef, v0
	v_mov_b32_e32 v134, s45
	s_clause 0x1
	s_load_b32 s4, s[0:1], 0x38
	s_load_b32 s35, s[0:1], 0x98
	v_add_nc_u32_e32 v1, s31, v1
	s_ashr_i32 s7, s3, 31
	s_load_b32 s36, s[0:1], 0x1c
	s_lshr_b32 s7, s7, 28
	s_waitcnt lgkmcnt(0)
	v_ashrrev_i32_e32 v2, 31, v1
	s_add_i32 s3, s3, s7
	v_cmp_gt_i32_e32 vcc_lo, s30, v1
	s_ashr_i32 s3, s3, 4
	v_mov_b32_e32 v132, s43
	v_lshrrev_b32_e32 v3, 28, v2
	v_or_b32_e32 v2, 16, v1
	s_add_i32 s3, s3, -1
	s_barrier
	buffer_gl0_inv
	v_add_nc_u32_e32 v4, v1, v3
	v_add_nc_u32_e32 v3, v2, v3
	s_mul_i32 s6, s15, s6
	s_mul_i32 s16, s34, s4
	v_mov_b32_e32 v135, s46
	v_ashrrev_i32_e32 v4, 4, v4
	v_ashrrev_i32_e32 v3, 4, v3
	s_ashr_i32 s17, s16, 31
	v_mov_b32_e32 v133, s44
	s_lshl_b64 s[16:17], s[16:17], 2
	v_cndmask_b32_e32 v1, s3, v4, vcc_lo
	v_cmp_gt_i32_e32 vcc_lo, s30, v2
	s_add_u32 s4, s12, s16
	s_addc_u32 s37, s13, s17
	s_ashr_i32 s7, s6, 31
	v_ashrrev_i32_e32 v2, 31, v1
	v_cndmask_b32_e32 v3, s3, v3, vcc_lo
	s_lshl_b64 s[6:7], s[6:7], 1
	v_mov_b32_e32 v131, s42
	s_add_u32 s24, s8, s6
	v_lshlrev_b64 v[1:2], 2, v[1:2]
	v_ashrrev_i32_e32 v4, 31, v3
	s_addc_u32 s25, s9, s7
	s_lshl_b32 s8, s14, 4
	v_mov_b32_e32 v129, s40
	s_ashr_i32 s9, s8, 31
	v_lshlrev_b64 v[3:4], 2, v[3:4]
	v_add_co_u32 v1, vcc_lo, s4, v1
	v_add_co_ci_u32_e32 v2, vcc_lo, s37, v2, vcc_lo
	s_lshl_b64 s[8:9], s[8:9], 2
	s_delay_alu instid0(VALU_DEP_3) | instskip(NEXT) | instid1(VALU_DEP_4)
	v_add_co_u32 v3, vcc_lo, s4, v3
	v_add_co_ci_u32_e32 v4, vcc_lo, s37, v4, vcc_lo
	s_clause 0x1
	global_load_b32 v5, v[1:2], off
	global_load_b32 v6, v[3:4], off
	s_add_u32 s8, s4, s8
	s_addc_u32 s9, s37, s9
	s_or_b32 s12, s31, 16
	v_dual_mov_b32 v130, s41 :: v_dual_lshlrev_b32 v3, 4, v0
	s_ashr_i32 s13, s12, 4
	s_cmp_lt_i32 s12, s30
	s_cselect_b32 s12, s13, s3
	s_delay_alu instid0(SALU_CYCLE_1) | instskip(NEXT) | instid1(SALU_CYCLE_1)
	s_ashr_i32 s13, s12, 31
	s_lshl_b64 s[12:13], s[12:13], 2
	s_delay_alu instid0(SALU_CYCLE_1) | instskip(SKIP_2) | instid1(SALU_CYCLE_1)
	s_add_u32 s12, s4, s12
	s_addc_u32 s13, s37, s13
	s_or_b32 s15, s31, 32
	s_ashr_i32 s16, s15, 4
	s_cmp_lt_i32 s15, s30
	s_cselect_b32 s16, s16, s3
	s_delay_alu instid0(SALU_CYCLE_1) | instskip(NEXT) | instid1(SALU_CYCLE_1)
	s_ashr_i32 s17, s16, 31
	s_lshl_b64 s[16:17], s[16:17], 2
	s_delay_alu instid0(SALU_CYCLE_1) | instskip(SKIP_2) | instid1(SALU_CYCLE_1)
	s_add_u32 s16, s4, s16
	s_addc_u32 s17, s37, s17
	s_or_b32 s15, s31, 48
	;; [unrolled: 10-line block ×4, first 2 shown]
	s_ashr_i32 s22, s15, 4
	s_cmp_lt_i32 s15, s30
	s_cselect_b32 s22, s22, s3
	s_delay_alu instid0(SALU_CYCLE_1) | instskip(NEXT) | instid1(SALU_CYCLE_1)
	s_ashr_i32 s23, s22, 31
	s_lshl_b64 s[22:23], s[22:23], 2
	s_delay_alu instid0(SALU_CYCLE_1)
	s_add_u32 s22, s4, s22
	s_addc_u32 s23, s37, s23
	s_clause 0x5
	s_load_b32 s8, s[8:9], 0x0
	s_load_b32 s12, s[12:13], 0x0
	s_load_b32 s16, s[16:17], 0x0
	s_load_b32 s18, s[18:19], 0x0
	s_load_b32 s20, s[20:21], 0x0
	s_load_b32 s15, s[22:23], 0x0
	s_waitcnt lgkmcnt(0)
	s_mul_hi_i32 s17, s16, s5
	s_mul_i32 s16, s16, s5
	s_waitcnt vmcnt(1)
	v_mad_i64_i32 v[1:2], null, v5, s5, 0
	v_and_b32_e32 v5, 0xf0, v3
	s_waitcnt vmcnt(0)
	v_mad_i64_i32 v[3:4], null, v6, s5, 0
	s_delay_alu instid0(VALU_DEP_2) | instskip(NEXT) | instid1(VALU_DEP_4)
	v_add_co_u32 v5, s9, s24, v5
	v_lshlrev_b64 v[1:2], 1, v[1:2]
	v_add_co_ci_u32_e64 v6, null, s25, 0, s9
	s_delay_alu instid0(VALU_DEP_4) | instskip(SKIP_1) | instid1(VALU_DEP_3)
	v_lshlrev_b64 v[3:4], 1, v[3:4]
	s_or_b32 s9, s31, 0x60
	v_add_co_u32 v1, vcc_lo, v5, v1
	s_delay_alu instid0(VALU_DEP_3) | instskip(NEXT) | instid1(VALU_DEP_3)
	v_add_co_ci_u32_e32 v2, vcc_lo, v6, v2, vcc_lo
	v_add_co_u32 v3, vcc_lo, v5, v3
	s_delay_alu instid0(VALU_DEP_4)
	v_add_co_ci_u32_e32 v4, vcc_lo, v6, v4, vcc_lo
	s_clause 0x9
	global_load_b128 v[9:12], v[1:2], off
	global_load_b128 v[13:16], v[1:2], off offset:256
	global_load_b128 v[137:140], v[3:4], off
	global_load_b128 v[141:144], v[3:4], off offset:256
	global_load_b128 v[41:44], v[1:2], off offset:512
	;; [unrolled: 1-line block ×7, first 2 shown]
	v_cmp_ne_u32_e32 vcc_lo, 15, v148
	s_clause 0x1
	global_load_b128 v[151:154], v[3:4], off offset:1024
	global_load_b128 v[155:158], v[3:4], off offset:1280
	s_ashr_i32 s13, s9, 4
	s_cmp_lt_i32 s9, s30
	v_lshlrev_b32_e32 v6, 5, v148
	v_cndmask_b32_e32 v5, 0, v148, vcc_lo
	s_cselect_b32 s22, s13, s3
	s_delay_alu instid0(SALU_CYCLE_1) | instskip(NEXT) | instid1(VALU_DEP_1)
	s_ashr_i32 s23, s22, 31
	v_lshlrev_b32_e32 v197, 6, v5
	ds_load_b128 v[159:162], v197
	ds_load_b128 v[163:166], v197 offset:1024
	s_clause 0x3
	global_load_b128 v[167:170], v[1:2], off offset:1536
	global_load_b128 v[171:174], v[1:2], off offset:1792
	;; [unrolled: 1-line block ×4, first 2 shown]
	s_lshl_b64 s[22:23], s[22:23], 2
	v_lshl_or_b32 v5, v149, 9, v6
	s_add_u32 s22, s4, s22
	s_addc_u32 s23, s37, s23
	s_or_b32 s9, s31, 0x70
	s_load_b32 s46, s[22:23], 0x0
	s_ashr_i32 s13, s9, 4
	s_cmp_lt_i32 s9, s30
	s_cselect_b32 s24, s13, s3
	s_delay_alu instid0(SALU_CYCLE_1) | instskip(NEXT) | instid1(SALU_CYCLE_1)
	s_ashr_i32 s25, s24, 31
	s_lshl_b64 s[24:25], s[24:25], 2
	s_delay_alu instid0(SALU_CYCLE_1)
	s_add_u32 s24, s4, s24
	s_addc_u32 s25, s37, s25
	s_or_b32 s9, s31, 0x80
	s_load_b32 s47, s[24:25], 0x0
	s_ashr_i32 s13, s9, 4
	s_cmp_lt_i32 s9, s30
	s_cselect_b32 s26, s13, s3
	s_delay_alu instid0(SALU_CYCLE_1) | instskip(NEXT) | instid1(SALU_CYCLE_1)
	s_ashr_i32 s27, s26, 31
	s_lshl_b64 s[26:27], s[26:27], 2
	s_delay_alu instid0(SALU_CYCLE_1)
	s_add_u32 s26, s4, s26
	s_addc_u32 s27, s37, s27
	s_or_b32 s9, s31, 0x90
	s_load_b32 s48, s[26:27], 0x0
	s_ashr_i32 s13, s9, 4
	s_cmp_lt_i32 s9, s30
	s_cselect_b32 s28, s13, s3
	s_delay_alu instid0(SALU_CYCLE_1) | instskip(NEXT) | instid1(SALU_CYCLE_1)
	s_ashr_i32 s29, s28, 31
	s_lshl_b64 s[28:29], s[28:29], 2
	s_delay_alu instid0(SALU_CYCLE_1) | instskip(SKIP_2) | instid1(SALU_CYCLE_1)
	s_add_u32 s28, s4, s28
	s_addc_u32 s29, s37, s29
	s_or_b32 s9, s31, 0xa0
	s_ashr_i32 s13, s9, 4
	s_cmp_lt_i32 s9, s30
	s_cselect_b32 s38, s13, s3
	s_delay_alu instid0(SALU_CYCLE_1) | instskip(NEXT) | instid1(SALU_CYCLE_1)
	s_ashr_i32 s39, s38, 31
	s_lshl_b64 s[38:39], s[38:39], 2
	s_delay_alu instid0(SALU_CYCLE_1) | instskip(SKIP_2) | instid1(SALU_CYCLE_1)
	s_add_u32 s38, s4, s38
	s_addc_u32 s39, s37, s39
	s_or_b32 s9, s31, 0xb0
	s_ashr_i32 s13, s9, 4
	s_cmp_lt_i32 s9, s30
	s_mul_hi_i32 s9, s8, s5
	s_cselect_b32 s40, s13, s3
	s_mul_i32 s8, s8, s5
	s_ashr_i32 s41, s40, 31
	s_mul_hi_i32 s13, s12, s5
	s_lshl_b64 s[40:41], s[40:41], 2
	s_mul_i32 s12, s12, s5
	s_add_u32 s42, s4, s40
	s_addc_u32 s43, s37, s41
	s_or_b32 s19, s31, 0xc0
	s_delay_alu instid0(SALU_CYCLE_1)
	s_ashr_i32 s21, s19, 4
	s_cmp_lt_i32 s19, s30
	s_mul_hi_i32 s19, s18, s5
	s_cselect_b32 s40, s21, s3
	s_mul_i32 s18, s18, s5
	s_ashr_i32 s41, s40, 31
	s_mul_hi_i32 s21, s20, s5
	s_lshl_b64 s[40:41], s[40:41], 2
	s_mul_i32 s20, s20, s5
	s_add_u32 s44, s4, s40
	s_addc_u32 s45, s37, s41
	s_load_b32 s41, s[28:29], 0x0
	s_or_b32 s40, s31, 0xd0
	s_mul_hi_i32 s23, s15, s5
	s_ashr_i32 s22, s40, 4
	s_cmp_lt_i32 s40, s30
	s_load_b32 s40, s[38:39], 0x0
	s_cselect_b32 s24, s22, s3
	s_mul_i32 s22, s15, s5
	s_ashr_i32 s25, s24, 31
	s_waitcnt lgkmcnt(0)
	s_mul_hi_i32 s29, s48, s5
	s_lshl_b64 s[24:25], s[24:25], 2
	s_mul_i32 s28, s48, s5
	s_add_u32 s24, s4, s24
	s_addc_u32 s25, s37, s25
	s_or_b32 s49, s31, 0xe0
	s_clause 0x2
	s_load_b32 s39, s[42:43], 0x0
	s_load_b32 s38, s[44:45], 0x0
	;; [unrolled: 1-line block ×3, first 2 shown]
	s_ashr_i32 s50, s49, 4
	s_cmp_lt_i32 s49, s30
	s_mul_hi_i32 s25, s46, s5
	s_cselect_b32 s44, s50, s3
	s_mul_i32 s24, s46, s5
	s_ashr_i32 s45, s44, 31
	s_mul_hi_i32 s27, s47, s5
	s_lshl_b64 s[44:45], s[44:45], 2
	s_mul_i32 s26, s47, s5
	s_add_u32 s44, s4, s44
	s_addc_u32 s45, s37, s45
	s_or_b32 s46, s31, 0xf0
	s_mul_hi_i32 s43, s41, s5
	s_ashr_i32 s48, s46, 4
	s_cmp_lt_i32 s46, s30
	s_mul_i32 s42, s41, s5
	s_cselect_b32 s48, s48, s3
	s_mul_hi_i32 s41, s40, s5
	s_ashr_i32 s49, s48, 31
	s_mul_i32 s40, s40, s5
	s_lshl_b64 s[48:49], s[48:49], 2
	s_waitcnt lgkmcnt(0)
	s_mul_hi_i32 s47, s39, s5
	s_add_u32 s48, s4, s48
	s_addc_u32 s49, s37, s49
	s_add_u32 s3, s10, s6
	s_addc_u32 s4, s11, s7
	v_add_co_u32 v195, s3, s3, v5
	s_delay_alu instid0(VALU_DEP_1) | instskip(SKIP_2) | instid1(VALU_DEP_2)
	v_add_co_ci_u32_e64 v196, null, s4, 0, s3
	s_lshl_b64 s[6:7], s[8:9], 1
	s_lshl_b64 s[8:9], s[12:13], 1
	v_add_co_u32 v1, vcc_lo, v195, s6
	s_delay_alu instid0(VALU_DEP_2)
	v_add_co_ci_u32_e32 v2, vcc_lo, s7, v196, vcc_lo
	v_add_co_u32 v3, vcc_lo, v195, s8
	s_lshl_b64 s[10:11], s[16:17], 1
	v_add_co_ci_u32_e32 v4, vcc_lo, s9, v196, vcc_lo
	v_add_co_u32 v5, vcc_lo, v195, s10
	s_lshl_b64 s[12:13], s[18:19], 1
	;; [unrolled: 3-line block ×9, first 2 shown]
	s_mul_i32 s46, s39, s5
	v_add_co_ci_u32_e32 v54, vcc_lo, s27, v196, vcc_lo
	v_add_co_u32 v183, vcc_lo, v195, s28
	s_lshl_b64 s[40:41], s[46:47], 1
	s_mul_hi_i32 s39, s38, s5
	s_mul_i32 s38, s38, s5
	v_add_co_ci_u32_e32 v184, vcc_lo, s29, v196, vcc_lo
	v_add_co_u32 v185, vcc_lo, v195, s40
	s_lshl_b64 s[38:39], s[38:39], 1
	s_clause 0x1
	s_load_b32 s3, s[44:45], 0x0
	s_load_b32 s4, s[48:49], 0x0
	v_add_co_ci_u32_e32 v186, vcc_lo, s41, v196, vcc_lo
	v_add_co_u32 v191, vcc_lo, v195, s38
	v_add_co_ci_u32_e32 v192, vcc_lo, s39, v196, vcc_lo
	s_clause 0x17
	global_load_b128 v[121:124], v[1:2], off
	global_load_b128 v[125:128], v[1:2], off offset:16
	global_load_b128 v[113:116], v[3:4], off
	global_load_b128 v[117:120], v[3:4], off offset:16
	;; [unrolled: 2-line block ×12, first 2 shown]
	s_mul_hi_i32 s51, s15, s5
	s_mul_i32 s50, s15, s5
	s_delay_alu instid0(SALU_CYCLE_1) | instskip(NEXT) | instid1(SALU_CYCLE_1)
	s_lshl_b64 s[42:43], s[50:51], 1
	v_add_co_u32 v193, vcc_lo, v195, s42
	v_add_co_ci_u32_e32 v194, vcc_lo, s43, v196, vcc_lo
	s_waitcnt lgkmcnt(0)
	s_mul_hi_i32 s7, s3, s5
	s_mul_i32 s6, s3, s5
	s_mul_hi_i32 s9, s4, s5
	s_lshl_b64 s[6:7], s[6:7], 1
	s_mul_i32 s8, s4, s5
	s_delay_alu instid0(SALU_CYCLE_1)
	s_lshl_b64 s[4:5], s[8:9], 1
	s_waitcnt vmcnt(38)
	v_wmma_f32_16x16x16_f16 v[183:190], v[9:16], v[159:166], v[129:136]
	s_waitcnt vmcnt(36)
	v_wmma_f32_16x16x16_f16 v[129:136], v[137:144], v[159:166], v[129:136]
	s_clause 0x1
	global_load_b128 v[9:12], v[191:192], off
	global_load_b128 v[13:16], v[191:192], off offset:16
	ds_load_b128 v[137:140], v197 offset:2048
	ds_load_b128 v[141:144], v197 offset:3072
	;; [unrolled: 1-line block ×4, first 2 shown]
	v_add_co_u32 v191, vcc_lo, v195, s6
	v_add_co_ci_u32_e32 v192, vcc_lo, s7, v196, vcc_lo
	v_add_co_u32 v195, vcc_lo, v195, s4
	v_add_co_ci_u32_e32 v196, vcc_lo, s5, v196, vcc_lo
	s_waitcnt vmcnt(36) lgkmcnt(2)
	v_wmma_f32_16x16x16_f16 v[183:190], v[41:48], v[137:144], v[183:190]
	s_waitcnt vmcnt(34)
	v_wmma_f32_16x16x16_f16 v[129:136], v[33:40], v[137:144], v[129:136]
	s_clause 0x3
	global_load_b128 v[33:36], v[193:194], off
	global_load_b128 v[37:40], v[193:194], off offset:16
	global_load_b128 v[41:44], v[191:192], off
	global_load_b128 v[45:48], v[191:192], off offset:16
	v_and_b32_e32 v137, 0xe0, v0
	v_mbcnt_lo_u32_b32 v191, -1, 0
	s_waitcnt vmcnt(36) lgkmcnt(0)
	v_wmma_f32_16x16x16_f16 v[183:190], v[17:24], v[159:166], v[183:190]
	s_clause 0x1
	global_load_b128 v[17:20], v[195:196], off
	global_load_b128 v[21:24], v[195:196], off offset:16
	s_waitcnt vmcnt(36)
	v_wmma_f32_16x16x16_f16 v[129:136], v[151:158], v[159:166], v[129:136]
	v_add_nc_u32_e32 v192, s31, v137
	ds_load_b128 v[137:140], v197 offset:6144
	ds_load_b128 v[141:144], v197 offset:7168
	v_xor_b32_e32 v151, 16, v191
	s_waitcnt vmcnt(0) lgkmcnt(0)
	s_barrier
	v_or_b32_e32 v152, v192, v146
	buffer_gl0_inv
	v_cmp_gt_i32_e32 vcc_lo, 32, v151
	v_or_b32_e32 v153, 2, v152
	v_or_b32_e32 v154, 4, v152
	;; [unrolled: 1-line block ×5, first 2 shown]
	v_cmp_gt_i32_e64 s3, s30, v153
	v_cmp_gt_i32_e64 s4, s30, v154
	;; [unrolled: 1-line block ×3, first 2 shown]
	v_or_b32_e32 v158, 12, v152
	v_or_b32_e32 v159, 14, v152
	v_cmp_gt_i32_e64 s6, s30, v156
	v_wmma_f32_16x16x16_f16 v[183:190], v[167:174], v[137:144], v[183:190]
	v_wmma_f32_16x16x16_f16 v[129:136], v[175:182], v[137:144], v[129:136]
	v_cndmask_b32_e32 v151, v191, v151, vcc_lo
	v_cmp_gt_i32_e32 vcc_lo, s30, v152
	v_cmp_gt_i32_e64 s7, s30, v157
	v_dual_mul_f32 v143, s36, v184 :: v_dual_mul_f32 v144, s36, v183
	v_dual_mul_f32 v141, s36, v186 :: v_dual_mul_f32 v142, s36, v185
	;; [unrolled: 1-line block ×3, first 2 shown]
	s_delay_alu instid0(VALU_DEP_3) | instskip(NEXT) | instid1(VALU_DEP_4)
	v_cndmask_b32_e32 v144, 0xff7fffff, v144, vcc_lo
	v_cndmask_b32_e64 v143, 0xff7fffff, v143, s3
	v_mul_f32_e32 v140, s36, v187
	v_cndmask_b32_e64 v142, 0xff7fffff, v142, s4
	v_cndmask_b32_e64 v141, 0xff7fffff, v141, s5
	v_or_b32_e32 v160, 16, v152
	v_max3_f32 v143, v144, 0xff7fffff, v143
	v_or_b32_e32 v161, 18, v152
	v_dual_mul_f32 v137, s36, v190 :: v_dual_mul_f32 v138, s36, v189
	v_cndmask_b32_e64 v140, 0xff7fffff, v140, s6
	v_cndmask_b32_e64 v139, 0xff7fffff, v139, s7
	v_max3_f32 v141, v143, v142, v141
	v_cmp_gt_i32_e64 s8, s30, v158
	v_cmp_gt_i32_e64 s9, s30, v159
	v_or_b32_e32 v162, 20, v152
	v_or_b32_e32 v163, 22, v152
	v_mul_f32_e32 v175, s36, v129
	v_cndmask_b32_e64 v138, 0xff7fffff, v138, s8
	v_cndmask_b32_e64 v137, 0xff7fffff, v137, s9
	v_max3_f32 v139, v141, v140, v139
	v_cmp_gt_i32_e64 s10, s30, v160
	v_cmp_gt_i32_e64 s11, s30, v161
	v_or_b32_e32 v164, 24, v152
	v_or_b32_e32 v165, 26, v152
	v_dual_mul_f32 v172, s36, v132 :: v_dual_mul_f32 v173, s36, v131
	v_cndmask_b32_e64 v140, 0xff7fffff, v175, s10
	v_cndmask_b32_e64 v141, 0xff7fffff, v174, s11
	v_max3_f32 v137, v139, v138, v137
	v_cmp_gt_i32_e64 s12, s30, v162
	v_cmp_gt_i32_e64 s13, s30, v163
	v_or_b32_e32 v166, 28, v152
	v_or_b32_e32 v167, 30, v152
	v_dual_mul_f32 v170, s36, v134 :: v_dual_mul_f32 v171, s36, v133
	v_cndmask_b32_e64 v138, 0xff7fffff, v173, s12
	v_cndmask_b32_e64 v139, 0xff7fffff, v172, s13
	v_max3_f32 v137, v137, v140, v141
	v_cmp_gt_i32_e64 s15, s30, v164
	v_cmp_gt_i32_e64 s16, s30, v165
	v_dual_mul_f32 v168, s36, v136 :: v_dual_mul_f32 v169, s36, v135
	s_delay_alu instid0(VALU_DEP_4) | instskip(NEXT) | instid1(VALU_DEP_4)
	v_max3_f32 v137, v137, v138, v139
	v_cndmask_b32_e64 v140, 0xff7fffff, v171, s15
	s_delay_alu instid0(VALU_DEP_4) | instskip(SKIP_3) | instid1(VALU_DEP_4)
	v_cndmask_b32_e64 v141, 0xff7fffff, v170, s16
	v_cmp_gt_i32_e64 s17, s30, v166
	v_cmp_gt_i32_e64 s18, s30, v167
	v_lshlrev_b32_e32 v160, 2, v151
	v_max3_f32 v137, v137, v140, v141
	s_delay_alu instid0(VALU_DEP_4) | instskip(NEXT) | instid1(VALU_DEP_4)
	v_cndmask_b32_e64 v138, 0xff7fffff, v169, s17
	v_cndmask_b32_e64 v139, 0xff7fffff, v168, s18
	s_delay_alu instid0(VALU_DEP_1) | instskip(SKIP_3) | instid1(VALU_DEP_1)
	v_max3_f32 v137, v137, v138, v139
	ds_bpermute_b32 v138, v160, v137
	s_waitcnt lgkmcnt(0)
	v_max_f32_e32 v138, v138, v138
	v_max_f32_e32 v137, v137, v138
	s_delay_alu instid0(VALU_DEP_1) | instskip(SKIP_4) | instid1(VALU_DEP_4)
	v_fma_f32 v143, s36, v187, -v137
	v_fma_f32 v130, s36, v130, -v137
	;; [unrolled: 1-line block ×5, first 2 shown]
	v_dual_mul_f32 v143, 0x3fb8aa3b, v143 :: v_dual_mul_f32 v130, 0x3fb8aa3b, v130
	s_delay_alu instid0(VALU_DEP_4) | instskip(SKIP_2) | instid1(VALU_DEP_4)
	v_mul_f32_e32 v140, 0x3fb8aa3b, v140
	v_fma_f32 v152, s36, v189, -v137
	v_fma_f32 v139, s36, v184, -v137
	v_exp_f32_e32 v143, v143
	v_mul_f32_e32 v138, 0x3fb8aa3b, v138
	v_exp_f32_e32 v140, v140
	v_mul_f32_e32 v152, 0x3fb8aa3b, v152
	v_fma_f32 v153, s36, v190, -v137
	v_fma_f32 v144, s36, v188, -v137
	v_exp_f32_e32 v138, v138
	v_fma_f32 v129, s36, v129, -v137
	v_exp_f32_e32 v152, v152
	v_fma_f32 v134, s36, v134, -v137
	v_cndmask_b32_e64 v143, 0, v143, s6
	v_dual_mul_f32 v141, 0x3fb8aa3b, v141 :: v_dual_mul_f32 v144, 0x3fb8aa3b, v144
	v_fma_f32 v132, s36, v132, -v137
	v_mul_f32_e32 v129, 0x3fb8aa3b, v129
	v_exp_f32_e32 v130, v130
	s_delay_alu instid0(VALU_DEP_3)
	v_exp_f32_e32 v151, v141
	v_cndmask_b32_e64 v141, 0, v140, s4
	v_dual_mul_f32 v132, 0x3fb8aa3b, v132 :: v_dual_mul_f32 v139, 0x3fb8aa3b, v139
	v_exp_f32_e32 v144, v144
	v_mul_f32_e32 v134, 0x3fb8aa3b, v134
	v_exp_f32_e32 v129, v129
	v_fma_f32 v131, s36, v131, -v137
	v_exp_f32_e32 v142, v139
	v_exp_f32_e32 v132, v132
	v_cndmask_b32_e64 v140, 0, v151, s5
	v_mul_f32_e32 v151, 0x3fb8aa3b, v153
	v_fma_f32 v133, s36, v133, -v137
	s_delay_alu instid0(VALU_DEP_2) | instskip(SKIP_2) | instid1(TRANS32_DEP_3)
	v_exp_f32_e32 v154, v151
	v_cndmask_b32_e64 v151, 0, v152, s8
	v_cndmask_b32_e32 v139, 0, v138, vcc_lo
	v_cndmask_b32_e64 v138, 0, v142, s3
	v_cmp_gt_u32_e64 s3, 16, v150
	s_delay_alu instid0(VALU_DEP_3) | instskip(NEXT) | instid1(VALU_DEP_1)
	v_add_f32_e32 v142, 0, v139
	v_add_f32_e32 v142, v142, v138
	s_delay_alu instid0(VALU_DEP_1) | instskip(NEXT) | instid1(VALU_DEP_1)
	v_add_f32_e32 v142, v142, v141
	v_add_f32_e32 v153, v142, v140
	v_cndmask_b32_e64 v142, 0, v144, s7
	s_delay_alu instid0(VALU_DEP_2) | instskip(SKIP_1) | instid1(VALU_DEP_2)
	v_add_f32_e32 v144, v153, v143
	v_cndmask_b32_e64 v153, 0, v129, s10
	v_add_f32_e32 v152, v144, v142
	v_cndmask_b32_e64 v144, 0, v154, s9
	v_cndmask_b32_e64 v154, 0, v132, s13
	v_fma_f32 v132, s36, v136, -v137
	s_delay_alu instid0(VALU_DEP_4) | instskip(NEXT) | instid1(VALU_DEP_2)
	v_dual_mul_f32 v133, 0x3fb8aa3b, v133 :: v_dual_add_f32 v152, v152, v151
	v_mul_f32_e32 v132, 0x3fb8aa3b, v132
	s_delay_alu instid0(VALU_DEP_2) | instskip(NEXT) | instid1(VALU_DEP_2)
	v_exp_f32_e32 v133, v133
	v_add_f32_e32 v129, v152, v144
	v_cndmask_b32_e64 v152, 0, v130, s11
	v_fma_f32 v130, s36, v135, -v137
	v_mul_f32_e32 v131, 0x3fb8aa3b, v131
	s_delay_alu instid0(VALU_DEP_2) | instskip(NEXT) | instid1(VALU_DEP_2)
	v_dual_add_f32 v129, v129, v153 :: v_dual_mul_f32 v130, 0x3fb8aa3b, v130
	v_exp_f32_e32 v131, v131
	s_delay_alu instid0(TRANS32_DEP_2) | instskip(NEXT) | instid1(VALU_DEP_2)
	v_cndmask_b32_e64 v157, 0, v133, s15
	v_add_f32_e32 v129, v129, v152
	s_delay_alu instid0(VALU_DEP_3) | instskip(SKIP_4) | instid1(VALU_DEP_2)
	v_exp_f32_e32 v130, v130
	s_waitcnt_depctr 0xfff
	v_cndmask_b32_e64 v155, 0, v131, s12
	v_exp_f32_e32 v131, v134
	v_cndmask_b32_e64 v159, 0, v130, s17
	v_add_f32_e32 v129, v129, v155
	s_delay_alu instid0(VALU_DEP_1) | instskip(SKIP_4) | instid1(VALU_DEP_1)
	v_add_f32_e32 v129, v129, v154
	s_waitcnt_depctr 0xfff
	v_cndmask_b32_e64 v156, 0, v131, s16
	v_exp_f32_e32 v131, v132
	v_add_f32_e32 v129, v129, v157
	v_add_f32_e32 v129, v129, v156
	s_waitcnt_depctr 0xfff
	v_cndmask_b32_e64 v158, 0, v131, s18
	v_add_f32_e32 v129, v129, v159
	s_delay_alu instid0(VALU_DEP_1)
	v_add_f32_e32 v129, v129, v158
	ds_bpermute_b32 v130, v160, v129
	s_and_saveexec_b32 s4, s3
	s_cbranch_execz .LBB16_12
; %bb.11:
	v_mul_u32_u24_e32 v131, 0x44, v149
	s_delay_alu instid0(VALU_DEP_1) | instskip(SKIP_1) | instid1(VALU_DEP_1)
	v_lshl_add_u32 v131, v148, 2, v131
	s_waitcnt lgkmcnt(0)
	v_dual_add_f32 v129, v129, v130 :: v_dual_add_nc_u32 v130, 0x4000, v131
	ds_store_2addr_b32 v130, v137, v129 offset1:136
.LBB16_12:
	s_or_b32 exec_lo, exec_lo, s4
	v_lshlrev_b32_e32 v129, 2, v148
	s_load_b32 s36, s[0:1], 0x94
	s_waitcnt lgkmcnt(0)
	s_barrier
	buffer_gl0_inv
	v_add_nc_u32_e32 v135, 0x4000, v129
	v_cmp_eq_u32_e32 vcc_lo, 1, v149
	v_cmp_eq_u32_e64 s4, 2, v149
	v_cmp_eq_u32_e64 s5, 3, v149
	;; [unrolled: 1-line block ×3, first 2 shown]
	ds_load_2addr_b32 v[129:130], v135 offset1:17
	ds_load_2addr_b32 v[131:132], v135 offset0:34 offset1:51
	ds_load_2addr_b32 v[133:134], v135 offset0:68 offset1:85
	;; [unrolled: 1-line block ×3, first 2 shown]
	v_cmp_eq_u32_e64 s7, 5, v149
	v_cmp_eq_u32_e64 s8, 7, v149
	s_waitcnt lgkmcnt(3)
	v_max3_f32 v136, v129, 0xff7fffff, v130
	s_waitcnt lgkmcnt(2)
	s_delay_alu instid0(VALU_DEP_1) | instskip(SKIP_1) | instid1(VALU_DEP_1)
	v_max3_f32 v136, v136, v131, v132
	s_waitcnt lgkmcnt(1)
	v_max3_f32 v136, v136, v133, v134
	s_waitcnt lgkmcnt(0)
	s_delay_alu instid0(VALU_DEP_1) | instskip(NEXT) | instid1(VALU_DEP_1)
	v_max3_f32 v136, v136, v160, v161
	v_sub_f32_e32 v164, v132, v136
	ds_load_2addr_b32 v[162:163], v135 offset0:136 offset1:153
	v_sub_f32_e32 v129, v129, v136
	v_sub_f32_e32 v137, v130, v136
	;; [unrolled: 1-line block ×3, first 2 shown]
	v_mul_f32_e32 v164, 0x3fb8aa3b, v164
	s_delay_alu instid0(VALU_DEP_4) | instskip(NEXT) | instid1(VALU_DEP_4)
	v_mul_f32_e32 v150, 0x3fb8aa3b, v129
	v_mul_f32_e32 v137, 0x3fb8aa3b, v137
	ds_load_2addr_b32 v[129:130], v135 offset0:170 offset1:187
	v_mul_f32_e32 v167, 0x3fb8aa3b, v133
	v_exp_f32_e32 v164, v164
	v_exp_f32_e32 v150, v150
	;; [unrolled: 1-line block ×3, first 2 shown]
	v_sub_f32_e32 v131, v131, v136
	s_delay_alu instid0(VALU_DEP_1)
	v_mul_f32_e32 v165, 0x3fb8aa3b, v131
	ds_load_2addr_b32 v[131:132], v135 offset0:204 offset1:221
	s_waitcnt lgkmcnt(2)
	v_fma_f32 v137, v150, v162, 0
	v_sub_f32_e32 v162, v134, v136
	v_exp_f32_e32 v165, v165
	ds_load_2addr_b32 v[133:134], v135 offset0:238 offset1:255
	v_sub_f32_e32 v135, v160, v136
	v_dual_fmac_f32 v137, v166, v163 :: v_dual_mul_f32 v160, 0x3fb8aa3b, v162
	v_exp_f32_e32 v162, v167
	s_waitcnt lgkmcnt(0)
	s_delay_alu instid0(VALU_DEP_2)
	v_mul_f32_e32 v135, 0x3fb8aa3b, v135
	s_barrier
	v_exp_f32_e32 v160, v160
	v_fmac_f32_e32 v137, v165, v129
	v_sub_f32_e32 v129, v161, v136
	v_exp_f32_e32 v161, v135
	buffer_gl0_inv
	v_fmac_f32_e32 v137, v164, v130
	v_dual_mul_f32 v129, 0x3fb8aa3b, v129 :: v_dual_cndmask_b32 v130, v150, v166
	s_delay_alu instid0(VALU_DEP_2) | instskip(NEXT) | instid1(VALU_DEP_2)
	v_fmac_f32_e32 v137, v162, v131
	v_exp_f32_e32 v163, v129
	s_delay_alu instid0(VALU_DEP_1) | instskip(NEXT) | instid1(VALU_DEP_1)
	v_fmac_f32_e32 v137, v160, v132
	v_fmac_f32_e32 v137, v161, v133
	v_lshlrev_b32_e32 v133, 6, v148
	s_waitcnt_depctr 0xfff
	v_fmac_f32_e32 v137, v163, v134
	v_lshl_or_b32 v135, v149, 11, v133
	s_delay_alu instid0(VALU_DEP_2) | instskip(NEXT) | instid1(VALU_DEP_1)
	v_add_f32_e32 v134, 0x358637bd, v137
	v_div_scale_f32 v167, null, v134, v134, 1.0
	v_div_scale_f32 v150, vcc_lo, 1.0, v134, 1.0
	s_delay_alu instid0(VALU_DEP_2) | instskip(SKIP_2) | instid1(VALU_DEP_1)
	v_rcp_f32_e32 v168, v167
	s_waitcnt_depctr 0xfff
	v_fma_f32 v129, -v167, v168, 1.0
	v_fmac_f32_e32 v168, v129, v168
	v_cndmask_b32_e64 v129, v130, v165, s4
	v_cmp_eq_u32_e64 s4, 6, v149
	s_delay_alu instid0(VALU_DEP_3) | instskip(NEXT) | instid1(VALU_DEP_3)
	v_mul_f32_e32 v165, v150, v168
	v_cndmask_b32_e64 v130, v129, v164, s5
	v_lshlrev_b32_e32 v129, 2, v146
	s_delay_alu instid0(VALU_DEP_3) | instskip(NEXT) | instid1(VALU_DEP_3)
	v_fma_f32 v131, -v167, v165, v150
	v_cndmask_b32_e64 v162, v130, v162, s6
	s_delay_alu instid0(VALU_DEP_3)
	v_or_b32_e32 v130, 1, v129
	v_or_b32_e32 v132, 2, v129
	v_cmp_eq_u32_e64 s5, 1, v129
	v_fmac_f32_e32 v165, v131, v168
	v_cndmask_b32_e64 v149, v162, v160, s7
	v_or_b32_e32 v131, 3, v129
	v_cmp_eq_u32_e64 s10, 1, v130
	v_cmp_eq_u32_e64 s11, 1, v132
	v_fma_f32 v150, -v167, v165, v150
	v_cndmask_b32_e64 v149, v149, v161, s4
	v_cmp_eq_u32_e64 s12, 1, v131
	v_cmp_eq_u32_e64 s6, 2, v129
	;; [unrolled: 1-line block ×3, first 2 shown]
	v_div_fmas_f32 v150, v150, v168, v165
	v_cndmask_b32_e64 v149, v149, v163, s8
	v_cmp_eq_u32_e64 s16, 2, v132
	v_cmp_eq_u32_e64 s17, 2, v131
	v_cmp_eq_u32_e32 vcc_lo, 3, v129
	v_div_fixup_f32 v150, v150, v134, 1.0
	v_lshl_or_b32 v134, v146, 4, v135
	v_cmp_eq_u32_e64 s15, 3, v130
	v_cmp_eq_u32_e64 s19, 3, v131
	;; [unrolled: 1-line block ×3, first 2 shown]
	v_mul_f32_e32 v149, v149, v150
	v_cmp_eq_u32_e64 s18, 3, v132
	v_cmp_eq_u32_e64 s20, 4, v130
	;; [unrolled: 1-line block ×4, first 2 shown]
	v_fma_mixlo_f16 v160, v149, v139, 0
	v_fma_mixlo_f16 v161, v149, v141, 0
	;; [unrolled: 1-line block ×8, first 2 shown]
	v_fma_mixhi_f16 v160, v149, v138, 0
	v_fma_mixhi_f16 v161, v149, v140, 0
	;; [unrolled: 1-line block ×8, first 2 shown]
	ds_store_b128 v134, v[160:163]
	ds_store_b128 v134, v[164:167] offset:1024
	s_waitcnt lgkmcnt(0)
	s_barrier
	buffer_gl0_inv
	ds_load_b128 v[138:141], v135
	ds_load_b128 v[149:152], v135 offset:16
	ds_load_b128 v[153:156], v135 offset:1024
	;; [unrolled: 1-line block ×3, first 2 shown]
	v_cmp_eq_u32_e64 s21, 5, v130
	v_cmp_eq_u32_e64 s22, 4, v132
	;; [unrolled: 1-line block ×12, first 2 shown]
	s_waitcnt lgkmcnt(3)
	v_lshrrev_b32_e32 v142, 16, v138
	s_waitcnt lgkmcnt(2)
	v_lshrrev_b32_e32 v162, 16, v149
	;; [unrolled: 2-line block ×4, first 2 shown]
	v_lshrrev_b32_e32 v143, 16, v139
	v_cndmask_b32_e64 v174, v138, v142, s5
	v_cndmask_b32_e64 v175, v149, v162, s5
	;; [unrolled: 1-line block ×7, first 2 shown]
	v_lshrrev_b32_e32 v163, 16, v150
	v_cndmask_b32_e64 v179, v149, v162, s11
	v_cndmask_b32_e64 v149, v153, v166, s5
	;; [unrolled: 1-line block ×16, first 2 shown]
	v_lshrrev_b32_e32 v167, 16, v154
	v_lshrrev_b32_e32 v171, 16, v158
	v_cndmask_b32_e64 v177, v179, v150, s16
	v_cndmask_b32_e64 v142, v149, v154, s6
	;; [unrolled: 1-line block ×7, first 2 shown]
	v_cndmask_b32_e32 v157, v166, v143, vcc_lo
	v_cndmask_b32_e32 v166, v170, v163, vcc_lo
	v_cndmask_b32_e64 v170, v174, v143, s15
	v_cndmask_b32_e64 v174, v175, v163, s15
	;; [unrolled: 1-line block ×4, first 2 shown]
	v_lshrrev_b32_e32 v144, 16, v140
	v_lshrrev_b32_e32 v164, 16, v151
	v_cndmask_b32_e64 v175, v176, v143, s18
	v_cndmask_b32_e64 v176, v177, v163, s18
	v_cndmask_b32_e32 v142, v142, v167, vcc_lo
	v_cndmask_b32_e32 v143, v149, v171, vcc_lo
	v_cndmask_b32_e64 v149, v150, v167, s15
	v_cndmask_b32_e64 v150, v157, v140, s4
	;; [unrolled: 1-line block ×7, first 2 shown]
	v_lshrrev_b32_e32 v168, 16, v155
	v_cndmask_b32_e64 v170, v175, v140, s22
	v_cndmask_b32_e64 v174, v176, v151, s22
	;; [unrolled: 1-line block ×11, first 2 shown]
	v_lshrrev_b32_e32 v161, 16, v141
	v_lshrrev_b32_e32 v165, 16, v152
	v_cndmask_b32_e64 v163, v170, v144, s24
	v_cndmask_b32_e64 v166, v174, v164, s24
	;; [unrolled: 1-line block ×9, first 2 shown]
	v_lshrrev_b32_e32 v169, 16, v156
	v_cndmask_b32_e64 v140, v140, v168, s7
	v_cndmask_b32_e64 v157, v163, v141, s27
	;; [unrolled: 1-line block ×14, first 2 shown]
	v_perm_b32 v141, v139, v138, 0x5040100
	v_perm_b32 v139, v151, v149, 0x5040100
	v_cndmask_b32_e64 v138, v183, v158, s16
	v_cndmask_b32_e64 v149, v181, v158, s13
	;; [unrolled: 1-line block ×3, first 2 shown]
	v_perm_b32 v140, v152, v150, 0x5040100
	v_cndmask_b32_e64 v150, v162, v167, s18
	v_cndmask_b32_e64 v151, v153, v167, s19
	;; [unrolled: 1-line block ×5, first 2 shown]
	v_lshrrev_b32_e32 v172, 16, v159
	v_cndmask_b32_e64 v150, v150, v155, s22
	v_cndmask_b32_e64 v151, v151, v155, s23
	;; [unrolled: 1-line block ×11, first 2 shown]
	v_lshrrev_b32_e32 v173, 16, v160
	v_cndmask_b32_e64 v142, v142, v160, s8
	v_cndmask_b32_e64 v150, v150, v156, s27
	;; [unrolled: 1-line block ×12, first 2 shown]
	v_perm_b32 v138, v144, v143, 0x5040100
	v_perm_b32 v152, v152, v151, 0x5040100
	;; [unrolled: 1-line block ×5, first 2 shown]
	s_mul_i32 s8, s35, 15
	s_mov_b32 s4, exec_lo
	ds_store_b128 v134, v[138:141]
	ds_store_b128 v134, v[149:152] offset:1024
	v_cmpx_gt_u32_e32 15, v0
	s_cbranch_execz .LBB16_14
; %bb.13:
	s_mul_i32 s5, s8, s34
	s_load_b128 s[16:19], s[0:1], 0x58
	v_add3_u32 v140, s5, s33, v148
	s_delay_alu instid0(VALU_DEP_1) | instskip(NEXT) | instid1(VALU_DEP_1)
	v_mad_u64_u32 v[138:139], null, v140, s36, s[14:15]
	v_ashrrev_i32_e32 v139, 31, v138
	s_delay_alu instid0(VALU_DEP_1) | instskip(SKIP_1) | instid1(VALU_DEP_1)
	v_lshlrev_b64 v[138:139], 2, v[138:139]
	s_waitcnt lgkmcnt(0)
	v_add_co_u32 v140, vcc_lo, s18, v138
	s_delay_alu instid0(VALU_DEP_2)
	v_add_co_ci_u32_e32 v141, vcc_lo, s19, v139, vcc_lo
	v_add_co_u32 v138, vcc_lo, s16, v138
	v_add_co_ci_u32_e32 v139, vcc_lo, s17, v139, vcc_lo
	global_store_b32 v[140:141], v136, off
	global_store_b32 v[138:139], v137, off
.LBB16_14:
	s_or_b32 exec_lo, exec_lo, s4
	s_waitcnt lgkmcnt(0)
	s_waitcnt_vscnt null, 0x0
	s_barrier
	buffer_gl0_inv
	ds_load_b128 v[148:151], v133
	ds_load_b128 v[152:155], v133 offset:16
	ds_load_b128 v[160:163], v133 offset:1040
	;; [unrolled: 1-line block ×5, first 2 shown]
	v_cmp_eq_u32_e32 vcc_lo, 1, v132
	v_mov_b32_e32 v136, 0
	ds_load_b128 v[176:179], v133 offset:3088
	ds_load_b128 v[172:175], v133 offset:3072
	;; [unrolled: 1-line block ×4, first 2 shown]
	v_cmp_eq_u32_e64 s4, 1, v129
	v_cmp_eq_u32_e64 s5, 1, v131
	;; [unrolled: 1-line block ×3, first 2 shown]
	v_mov_b32_e32 v137, v136
	v_mov_b32_e32 v138, v136
	;; [unrolled: 1-line block ×7, first 2 shown]
	v_cmp_eq_u32_e64 s7, 2, v129
	s_waitcnt lgkmcnt(8)
	s_delay_alu instid0(VALU_DEP_2)
	v_wmma_f32_16x16x16_f16 v[136:143], v[121:128], v[148:155], v[136:143]
	ds_load_b128 v[125:128], v133 offset:5136
	ds_load_b128 v[121:124], v133 offset:5120
	s_waitcnt lgkmcnt(8)
	v_wmma_f32_16x16x16_f16 v[136:143], v[113:120], v[156:163], v[136:143]
	ds_load_b128 v[117:120], v133 offset:6160
	ds_load_b128 v[113:116], v133 offset:6144
	s_waitcnt lgkmcnt(8)
	;; [unrolled: 4-line block ×11, first 2 shown]
	s_barrier
	buffer_gl0_inv
	v_wmma_f32_16x16x16_f16 v[136:143], v[1:8], v[73:80], v[136:143]
	s_delay_alu instid0(VALU_DEP_1) | instskip(NEXT) | instid1(VALU_DEP_1)
	v_wmma_f32_16x16x16_f16 v[136:143], v[9:16], v[65:72], v[136:143]
	v_wmma_f32_16x16x16_f16 v[136:143], v[33:40], v[57:64], v[136:143]
	s_delay_alu instid0(VALU_DEP_1) | instskip(NEXT) | instid1(VALU_DEP_1)
	v_wmma_f32_16x16x16_f16 v[136:143], v[41:48], v[49:56], v[136:143]
	v_wmma_f32_16x16x16_f16 v[136:143], v[17:24], v[25:32], v[136:143]
	s_delay_alu instid0(VALU_DEP_1) | instskip(NEXT) | instid1(VALU_DEP_2)
	v_cvt_f16_f32_e64 v1, v136
	v_cvt_f16_f32_e64 v2, v137
	s_delay_alu instid0(VALU_DEP_3) | instskip(NEXT) | instid1(VALU_DEP_4)
	v_cvt_f16_f32_e64 v3, v138
	v_cvt_f16_f32_e64 v4, v139
	;; [unrolled: 1-line block ×6, first 2 shown]
	v_pack_b32_f16 v1, v1, v2
	v_pack_b32_f16 v2, v3, v4
	;; [unrolled: 1-line block ×3, first 2 shown]
	s_delay_alu instid0(VALU_DEP_4)
	v_pack_b32_f16 v4, v7, v8
	ds_store_b128 v134, v[1:4]
	s_waitcnt lgkmcnt(0)
	s_barrier
	buffer_gl0_inv
	ds_load_b128 v[1:4], v135
	ds_load_b128 v[5:8], v135 offset:16
	s_waitcnt lgkmcnt(1)
	v_lshrrev_b32_e32 v9, 16, v1
	s_waitcnt lgkmcnt(0)
	v_lshrrev_b32_e32 v13, 16, v5
	v_lshrrev_b32_e32 v10, 16, v2
	;; [unrolled: 1-line block ×4, first 2 shown]
	v_cndmask_b32_e64 v17, v1, v9, s4
	v_cndmask_b32_e64 v18, v5, v13, s4
	;; [unrolled: 1-line block ×3, first 2 shown]
	v_cmp_eq_u32_e64 s4, 2, v130
	v_cndmask_b32_e64 v20, v5, v13, s6
	v_cndmask_b32_e32 v21, v1, v9, vcc_lo
	v_cndmask_b32_e32 v22, v5, v13, vcc_lo
	v_cndmask_b32_e64 v1, v1, v9, s5
	v_cndmask_b32_e64 v5, v5, v13, s5
	v_cmp_eq_u32_e32 vcc_lo, 2, v132
	v_cmp_eq_u32_e64 s5, 2, v131
	v_cndmask_b32_e64 v9, v17, v2, s7
	v_cndmask_b32_e64 v13, v18, v6, s7
	;; [unrolled: 1-line block ×4, first 2 shown]
	v_cndmask_b32_e32 v19, v21, v2, vcc_lo
	v_cmp_eq_u32_e64 s4, 3, v132
	v_cndmask_b32_e32 v20, v22, v6, vcc_lo
	v_cndmask_b32_e64 v1, v1, v2, s5
	v_cmp_eq_u32_e32 vcc_lo, 3, v131
	v_cmp_eq_u32_e64 s6, 3, v129
	v_cndmask_b32_e64 v2, v5, v6, s5
	v_cmp_eq_u32_e64 s5, 3, v130
	v_cmp_eq_u32_e64 s7, 4, v129
	v_cndmask_b32_e32 v1, v1, v10, vcc_lo
	v_cndmask_b32_e64 v5, v9, v10, s6
	v_cndmask_b32_e64 v6, v13, v14, s6
	v_cndmask_b32_e64 v9, v17, v10, s5
	v_cmp_eq_u32_e64 s6, 4, v130
	v_cndmask_b32_e64 v13, v18, v14, s5
	v_cndmask_b32_e64 v17, v19, v10, s4
	;; [unrolled: 1-line block ×3, first 2 shown]
	v_cndmask_b32_e32 v2, v2, v14, vcc_lo
	v_cmp_eq_u32_e32 vcc_lo, 4, v132
	v_cmp_eq_u32_e64 s5, 4, v131
	v_lshrrev_b32_e32 v15, 16, v7
	v_cndmask_b32_e64 v5, v5, v3, s7
	v_cndmask_b32_e64 v6, v6, v7, s7
	v_cndmask_b32_e32 v14, v18, v7, vcc_lo
	v_cndmask_b32_e64 v9, v9, v3, s6
	v_cndmask_b32_e64 v10, v13, v7, s6
	v_cndmask_b32_e32 v13, v17, v3, vcc_lo
	v_cmp_eq_u32_e64 s4, 5, v132
	v_cndmask_b32_e64 v1, v1, v3, s5
	v_cmp_eq_u32_e32 vcc_lo, 5, v131
	v_cmp_eq_u32_e64 s6, 5, v129
	v_cndmask_b32_e64 v2, v2, v7, s5
	v_cmp_eq_u32_e64 s5, 5, v130
	v_cmp_eq_u32_e64 s7, 6, v129
	v_lshrrev_b32_e32 v12, 16, v4
	v_cndmask_b32_e64 v3, v5, v11, s6
	v_cndmask_b32_e64 v5, v6, v15, s6
	;; [unrolled: 1-line block ×3, first 2 shown]
	v_cmp_eq_u32_e64 s6, 6, v130
	v_cndmask_b32_e64 v7, v10, v15, s5
	v_cndmask_b32_e64 v9, v13, v11, s4
	;; [unrolled: 1-line block ×3, first 2 shown]
	v_cndmask_b32_e32 v1, v1, v11, vcc_lo
	v_cndmask_b32_e32 v2, v2, v15, vcc_lo
	v_cmp_eq_u32_e32 vcc_lo, 6, v132
	v_cmp_eq_u32_e64 s4, 6, v131
	v_lshrrev_b32_e32 v16, 16, v8
	v_cndmask_b32_e64 v3, v3, v4, s7
	v_cndmask_b32_e64 v5, v5, v8, s7
	v_cndmask_b32_e32 v9, v9, v4, vcc_lo
	v_cndmask_b32_e64 v6, v6, v4, s6
	v_cndmask_b32_e64 v7, v7, v8, s6
	v_cmp_eq_u32_e64 s5, 7, v132
	v_cndmask_b32_e32 v10, v10, v8, vcc_lo
	v_cndmask_b32_e64 v1, v1, v4, s4
	v_cmp_eq_u32_e32 vcc_lo, 7, v131
	v_cndmask_b32_e64 v2, v2, v8, s4
	v_cmp_eq_u32_e64 s4, 7, v129
	v_cmp_eq_u32_e64 s6, 7, v130
	v_cndmask_b32_e32 v1, v1, v12, vcc_lo
	s_delay_alu instid0(VALU_DEP_4) | instskip(NEXT) | instid1(VALU_DEP_4)
	v_cndmask_b32_e32 v2, v2, v16, vcc_lo
	v_cndmask_b32_e64 v8, v3, v12, s4
	s_delay_alu instid0(VALU_DEP_4)
	v_cndmask_b32_e64 v6, v6, v12, s6
	v_cndmask_b32_e64 v3, v9, v12, s5
	;; [unrolled: 1-line block ×5, first 2 shown]
	v_cmp_gt_u32_e32 vcc_lo, 32, v0
	v_perm_b32 v4, v2, v1, 0x5040100
	v_perm_b32 v3, v9, v3, 0x5040100
	;; [unrolled: 1-line block ×4, first 2 shown]
	s_and_b32 s2, vcc_lo, s2
	ds_store_b128 v134, v[1:4]
	s_waitcnt lgkmcnt(0)
	s_barrier
	buffer_gl0_inv
	s_and_saveexec_b32 s4, s2
	s_cbranch_execz .LBB16_2
; %bb.15:
	s_load_b64 s[4:5], s[0:1], 0x68
	v_add_nc_u32_e32 v20, s33, v146
	v_lshlrev_b32_e32 v0, 10, v0
	v_lshlrev_b32_e32 v1, 4, v147
	s_lshl_b32 s0, s36, 6
	s_delay_alu instid0(SALU_CYCLE_1)
	s_mul_i32 s1, s0, s34
	v_add_nc_u32_e32 v2, 2, v20
	s_mul_i32 s6, s1, s8
	v_and_or_b32 v0, 0x3800, v0, v1
	v_mul_lo_u32 v1, v20, s0
	s_ashr_i32 s7, s6, 31
	v_mul_lo_u32 v11, v2, s0
	s_lshl_b64 s[6:7], s[6:7], 1
	v_add_nc_u32_e32 v3, 4, v20
	v_lshl_or_b32 v21, v146, 6, v0
	v_add_nc_u32_e32 v16, 6, v20
	v_ashrrev_i32_e32 v2, 31, v1
	s_delay_alu instid0(VALU_DEP_4)
	v_mul_lo_u32 v13, v3, s0
	s_waitcnt lgkmcnt(0)
	s_add_u32 s1, s4, s6
	s_addc_u32 s2, s5, s7
	s_lshl_b32 s4, s14, 6
	ds_load_b128 v[3:6], v21
	ds_load_b128 v[7:10], v21 offset:128
	s_ashr_i32 s5, s4, 31
	v_ashrrev_i32_e32 v12, 31, v11
	s_lshl_b64 s[4:5], s[4:5], 1
	v_lshlrev_b64 v[14:15], 1, v[1:2]
	s_add_u32 s1, s1, s4
	s_addc_u32 s2, s2, s5
	v_add_co_u32 v1, s1, s1, v145
	s_delay_alu instid0(VALU_DEP_1) | instskip(SKIP_1) | instid1(VALU_DEP_3)
	v_add_co_ci_u32_e64 v2, null, s2, 0, s1
	v_lshlrev_b64 v[11:12], 1, v[11:12]
	v_add_co_u32 v18, vcc_lo, v1, v14
	v_mul_lo_u32 v16, v16, s0
	s_delay_alu instid0(VALU_DEP_4) | instskip(NEXT) | instid1(VALU_DEP_4)
	v_add_co_ci_u32_e32 v19, vcc_lo, v2, v15, vcc_lo
	v_add_co_u32 v11, vcc_lo, v1, v11
	v_ashrrev_i32_e32 v14, 31, v13
	v_add_co_ci_u32_e32 v12, vcc_lo, v2, v12, vcc_lo
	v_add_nc_u32_e32 v15, 8, v20
	v_ashrrev_i32_e32 v17, 31, v16
	s_waitcnt lgkmcnt(1)
	global_store_b128 v[18:19], v[3:6], off
	v_lshlrev_b64 v[3:4], 1, v[13:14]
	s_waitcnt lgkmcnt(0)
	global_store_b128 v[11:12], v[7:10], off
	v_mul_lo_u32 v11, v15, s0
	v_add_nc_u32_e32 v7, 10, v20
	v_lshlrev_b64 v[5:6], 1, v[16:17]
	v_add_co_u32 v23, vcc_lo, v1, v3
	v_add_nc_u32_e32 v3, 12, v20
	s_delay_alu instid0(VALU_DEP_4)
	v_mul_lo_u32 v25, v7, s0
	v_ashrrev_i32_e32 v12, 31, v11
	v_add_co_ci_u32_e32 v24, vcc_lo, v2, v4, vcc_lo
	v_add_co_u32 v27, vcc_lo, v1, v5
	v_mul_lo_u32 v29, v3, s0
	v_add_co_ci_u32_e32 v28, vcc_lo, v2, v6, vcc_lo
	ds_load_b128 v[3:6], v21 offset:256
	ds_load_b128 v[7:10], v21 offset:384
	v_lshlrev_b64 v[31:32], 1, v[11:12]
	ds_load_b128 v[11:14], v21 offset:512
	ds_load_b128 v[15:18], v21 offset:640
	;; [unrolled: 1-line block ×3, first 2 shown]
	v_ashrrev_i32_e32 v26, 31, v25
	v_ashrrev_i32_e32 v30, 31, v29
	v_add_co_u32 v31, vcc_lo, v1, v31
	s_delay_alu instid0(VALU_DEP_3) | instskip(NEXT) | instid1(VALU_DEP_3)
	v_lshlrev_b64 v[25:26], 1, v[25:26]
	v_lshlrev_b64 v[29:30], 1, v[29:30]
	v_add_co_ci_u32_e32 v32, vcc_lo, v2, v32, vcc_lo
	s_delay_alu instid0(VALU_DEP_3) | instskip(NEXT) | instid1(VALU_DEP_4)
	v_add_co_u32 v25, vcc_lo, v1, v25
	v_add_co_ci_u32_e32 v26, vcc_lo, v2, v26, vcc_lo
	s_delay_alu instid0(VALU_DEP_4)
	v_add_co_u32 v29, vcc_lo, v1, v29
	v_add_co_ci_u32_e32 v30, vcc_lo, v2, v30, vcc_lo
	s_waitcnt lgkmcnt(4)
	global_store_b128 v[23:24], v[3:6], off
	s_waitcnt lgkmcnt(3)
	global_store_b128 v[27:28], v[7:10], off
	;; [unrolled: 2-line block ×5, first 2 shown]
	s_and_b32 exec_lo, exec_lo, s3
	s_cbranch_execz .LBB16_2
; %bb.16:
	ds_load_b128 v[3:6], v0 offset:896
	s_add_i32 s1, s33, 14
	s_delay_alu instid0(SALU_CYCLE_1) | instskip(NEXT) | instid1(SALU_CYCLE_1)
	s_mul_i32 s0, s1, s0
	s_ashr_i32 s1, s0, 31
	s_delay_alu instid0(SALU_CYCLE_1) | instskip(NEXT) | instid1(SALU_CYCLE_1)
	s_lshl_b64 s[0:1], s[0:1], 1
	v_add_co_u32 v0, vcc_lo, v1, s0
	v_add_co_ci_u32_e32 v1, vcc_lo, s1, v2, vcc_lo
	s_waitcnt lgkmcnt(0)
	global_store_b128 v[0:1], v[3:6], off
	s_nop 0
	s_sendmsg sendmsg(MSG_DEALLOC_VGPRS)
	s_endpgm
	.section	.rodata,"a",@progbits
	.p2align	6, 0x0
	.amdhsa_kernel _Z39paged_attention_ll4mi_QKV_mfma16_kernelIDF16_DF16_LN4vllm18Fp8KVCacheDataTypeE0EhLi16ELi64ELi256ELb1ELi15EL8MFMAType0EEvPKT_PKT0_S8_ifPKiSA_SA_iPKfiiiPfSD_PS3_PT2_iSC_SC_
		.amdhsa_group_segment_fixed_size 17472
		.amdhsa_private_segment_fixed_size 0
		.amdhsa_kernarg_size 400
		.amdhsa_user_sgpr_count 13
		.amdhsa_user_sgpr_dispatch_ptr 0
		.amdhsa_user_sgpr_queue_ptr 0
		.amdhsa_user_sgpr_kernarg_segment_ptr 1
		.amdhsa_user_sgpr_dispatch_id 0
		.amdhsa_user_sgpr_private_segment_size 0
		.amdhsa_wavefront_size32 1
		.amdhsa_uses_dynamic_stack 0
		.amdhsa_enable_private_segment 0
		.amdhsa_system_sgpr_workgroup_id_x 1
		.amdhsa_system_sgpr_workgroup_id_y 1
		.amdhsa_system_sgpr_workgroup_id_z 1
		.amdhsa_system_sgpr_workgroup_info 0
		.amdhsa_system_vgpr_workitem_id 0
		.amdhsa_next_free_vgpr 198
		.amdhsa_next_free_sgpr 52
		.amdhsa_reserve_vcc 1
		.amdhsa_float_round_mode_32 0
		.amdhsa_float_round_mode_16_64 0
		.amdhsa_float_denorm_mode_32 3
		.amdhsa_float_denorm_mode_16_64 3
		.amdhsa_dx10_clamp 1
		.amdhsa_ieee_mode 1
		.amdhsa_fp16_overflow 0
		.amdhsa_workgroup_processor_mode 1
		.amdhsa_memory_ordered 1
		.amdhsa_forward_progress 0
		.amdhsa_shared_vgpr_count 0
		.amdhsa_exception_fp_ieee_invalid_op 0
		.amdhsa_exception_fp_denorm_src 0
		.amdhsa_exception_fp_ieee_div_zero 0
		.amdhsa_exception_fp_ieee_overflow 0
		.amdhsa_exception_fp_ieee_underflow 0
		.amdhsa_exception_fp_ieee_inexact 0
		.amdhsa_exception_int_div_zero 0
	.end_amdhsa_kernel
	.section	.text._Z39paged_attention_ll4mi_QKV_mfma16_kernelIDF16_DF16_LN4vllm18Fp8KVCacheDataTypeE0EhLi16ELi64ELi256ELb1ELi15EL8MFMAType0EEvPKT_PKT0_S8_ifPKiSA_SA_iPKfiiiPfSD_PS3_PT2_iSC_SC_,"axG",@progbits,_Z39paged_attention_ll4mi_QKV_mfma16_kernelIDF16_DF16_LN4vllm18Fp8KVCacheDataTypeE0EhLi16ELi64ELi256ELb1ELi15EL8MFMAType0EEvPKT_PKT0_S8_ifPKiSA_SA_iPKfiiiPfSD_PS3_PT2_iSC_SC_,comdat
.Lfunc_end16:
	.size	_Z39paged_attention_ll4mi_QKV_mfma16_kernelIDF16_DF16_LN4vllm18Fp8KVCacheDataTypeE0EhLi16ELi64ELi256ELb1ELi15EL8MFMAType0EEvPKT_PKT0_S8_ifPKiSA_SA_iPKfiiiPfSD_PS3_PT2_iSC_SC_, .Lfunc_end16-_Z39paged_attention_ll4mi_QKV_mfma16_kernelIDF16_DF16_LN4vllm18Fp8KVCacheDataTypeE0EhLi16ELi64ELi256ELb1ELi15EL8MFMAType0EEvPKT_PKT0_S8_ifPKiSA_SA_iPKfiiiPfSD_PS3_PT2_iSC_SC_
                                        ; -- End function
	.section	.AMDGPU.csdata,"",@progbits
; Kernel info:
; codeLenInByte = 8068
; NumSgprs: 54
; NumVgprs: 198
; ScratchSize: 0
; MemoryBound: 0
; FloatMode: 240
; IeeeMode: 1
; LDSByteSize: 17472 bytes/workgroup (compile time only)
; SGPRBlocks: 6
; VGPRBlocks: 24
; NumSGPRsForWavesPerEU: 54
; NumVGPRsForWavesPerEU: 198
; Occupancy: 7
; WaveLimiterHint : 1
; COMPUTE_PGM_RSRC2:SCRATCH_EN: 0
; COMPUTE_PGM_RSRC2:USER_SGPR: 13
; COMPUTE_PGM_RSRC2:TRAP_HANDLER: 0
; COMPUTE_PGM_RSRC2:TGID_X_EN: 1
; COMPUTE_PGM_RSRC2:TGID_Y_EN: 1
; COMPUTE_PGM_RSRC2:TGID_Z_EN: 1
; COMPUTE_PGM_RSRC2:TIDIG_COMP_CNT: 0
	.section	.text._Z39paged_attention_ll4mi_QKV_mfma16_kernelIDF16_DF16_LN4vllm18Fp8KVCacheDataTypeE0EhLi16ELi64ELi256ELb1ELi16EL8MFMAType0EEvPKT_PKT0_S8_ifPKiSA_SA_iPKfiiiPfSD_PS3_PT2_iSC_SC_,"axG",@progbits,_Z39paged_attention_ll4mi_QKV_mfma16_kernelIDF16_DF16_LN4vllm18Fp8KVCacheDataTypeE0EhLi16ELi64ELi256ELb1ELi16EL8MFMAType0EEvPKT_PKT0_S8_ifPKiSA_SA_iPKfiiiPfSD_PS3_PT2_iSC_SC_,comdat
	.protected	_Z39paged_attention_ll4mi_QKV_mfma16_kernelIDF16_DF16_LN4vllm18Fp8KVCacheDataTypeE0EhLi16ELi64ELi256ELb1ELi16EL8MFMAType0EEvPKT_PKT0_S8_ifPKiSA_SA_iPKfiiiPfSD_PS3_PT2_iSC_SC_ ; -- Begin function _Z39paged_attention_ll4mi_QKV_mfma16_kernelIDF16_DF16_LN4vllm18Fp8KVCacheDataTypeE0EhLi16ELi64ELi256ELb1ELi16EL8MFMAType0EEvPKT_PKT0_S8_ifPKiSA_SA_iPKfiiiPfSD_PS3_PT2_iSC_SC_
	.globl	_Z39paged_attention_ll4mi_QKV_mfma16_kernelIDF16_DF16_LN4vllm18Fp8KVCacheDataTypeE0EhLi16ELi64ELi256ELb1ELi16EL8MFMAType0EEvPKT_PKT0_S8_ifPKiSA_SA_iPKfiiiPfSD_PS3_PT2_iSC_SC_
	.p2align	8
	.type	_Z39paged_attention_ll4mi_QKV_mfma16_kernelIDF16_DF16_LN4vllm18Fp8KVCacheDataTypeE0EhLi16ELi64ELi256ELb1ELi16EL8MFMAType0EEvPKT_PKT0_S8_ifPKiSA_SA_iPKfiiiPfSD_PS3_PT2_iSC_SC_,@function
_Z39paged_attention_ll4mi_QKV_mfma16_kernelIDF16_DF16_LN4vllm18Fp8KVCacheDataTypeE0EhLi16ELi64ELi256ELb1ELi16EL8MFMAType0EEvPKT_PKT0_S8_ifPKiSA_SA_iPKfiiiPfSD_PS3_PT2_iSC_SC_: ; @_Z39paged_attention_ll4mi_QKV_mfma16_kernelIDF16_DF16_LN4vllm18Fp8KVCacheDataTypeE0EhLi16ELi64ELi256ELb1ELi16EL8MFMAType0EEvPKT_PKT0_S8_ifPKiSA_SA_iPKfiiiPfSD_PS3_PT2_iSC_SC_
; %bb.0:
	s_load_b64 s[2:3], s[0:1], 0x30
	s_mov_b32 s34, s13
	s_waitcnt lgkmcnt(0)
	s_cmp_lg_u64 s[2:3], 0
	s_cselect_b32 s6, -1, 0
	s_ashr_i32 s35, s13, 31
	s_cmp_eq_u64 s[2:3], 0
	s_cbranch_scc1 .LBB17_3
; %bb.1:
	s_lshl_b64 s[4:5], s[34:35], 2
	s_delay_alu instid0(SALU_CYCLE_1) | instskip(SKIP_4) | instid1(SALU_CYCLE_1)
	s_add_u32 s4, s2, s4
	s_addc_u32 s5, s3, s5
	s_load_b64 s[4:5], s[4:5], 0x0
	s_waitcnt lgkmcnt(0)
	s_sub_i32 s4, s5, s4
	s_cmp_eq_u32 s4, 1
	s_cselect_b32 s4, -1, 0
	s_delay_alu instid0(SALU_CYCLE_1)
	s_and_not1_b32 vcc_lo, exec_lo, s4
	s_cbranch_vccz .LBB17_4
.LBB17_2:
	s_endpgm
.LBB17_3:
.LBB17_4:
	s_load_b64 s[8:9], s[0:1], 0x28
	s_lshl_b64 s[4:5], s[34:35], 2
	s_waitcnt lgkmcnt(0)
	s_add_u32 s8, s8, s4
	s_addc_u32 s9, s9, s5
	s_lshl_b32 s35, s14, 8
	s_load_b32 s30, s[8:9], 0x0
	s_waitcnt lgkmcnt(0)
	s_cmp_ge_i32 s35, s30
	s_cbranch_scc1 .LBB17_2
; %bb.5:
	s_clause 0x1
	s_load_b128 s[8:11], s[0:1], 0x8
	s_load_b64 s[12:13], s[0:1], 0x20
	s_and_not1_b32 vcc_lo, exec_lo, s6
	s_cbranch_vccnz .LBB17_7
; %bb.6:
	s_add_u32 s2, s2, s4
	s_addc_u32 s3, s3, s5
	s_load_b32 s3, s[2:3], 0x0
	s_branch .LBB17_8
.LBB17_7:
	s_mov_b32 s3, s34
.LBB17_8:
	s_load_b128 s[4:7], s[0:1], 0x48
	v_and_b32_e32 v150, 15, v0
	v_cmp_gt_u32_e32 vcc_lo, 0x100, v0
	v_lshrrev_b32_e32 v148, 5, v0
	v_and_b32_e32 v151, 31, v0
	v_and_b32_e32 v147, 1, v0
	v_lshlrev_b32_e32 v1, 3, v150
	v_cmp_gt_u32_e64 s2, 8, v150
	v_bfe_u32 v146, v0, 4, 1
	s_lshl_b32 s31, s15, 4
	s_delay_alu instid0(VALU_DEP_3) | instskip(NEXT) | instid1(VALU_DEP_3)
	v_lshlrev_b32_e32 v145, 1, v1
	s_and_b32 s16, vcc_lo, s2
	s_waitcnt lgkmcnt(0)
	s_and_saveexec_b32 s7, s16
	s_cbranch_execz .LBB17_10
; %bb.9:
	v_lshl_or_b32 v5, v148, 1, v146
	s_load_b64 s[16:17], s[0:1], 0x0
	s_mul_hi_i32 s19, s3, s4
	s_mul_i32 s18, s3, s4
	v_lshlrev_b32_e32 v6, 10, v150
	v_or_b32_e32 v1, s31, v5
	s_lshl_b64 s[18:19], s[18:19], 1
	v_lshlrev_b32_e32 v5, 6, v5
	v_lshlrev_b32_e32 v7, 10, v147
	v_and_b32_e32 v6, 0x3800, v6
	v_lshlrev_b32_e32 v1, 6, v1
	s_delay_alu instid0(VALU_DEP_2) | instskip(NEXT) | instid1(VALU_DEP_2)
	v_or3_b32 v5, v6, v7, v5
	v_ashrrev_i32_e32 v2, 31, v1
	s_delay_alu instid0(VALU_DEP_1) | instskip(SKIP_3) | instid1(VALU_DEP_1)
	v_lshlrev_b64 v[1:2], 1, v[1:2]
	s_waitcnt lgkmcnt(0)
	s_add_u32 s3, s16, s18
	s_addc_u32 s4, s17, s19
	v_add_co_u32 v1, vcc_lo, s3, v1
	s_delay_alu instid0(VALU_DEP_2) | instskip(NEXT) | instid1(VALU_DEP_2)
	v_add_co_ci_u32_e32 v2, vcc_lo, s4, v2, vcc_lo
	v_add_co_u32 v1, vcc_lo, v1, v145
	s_delay_alu instid0(VALU_DEP_2)
	v_add_co_ci_u32_e32 v2, vcc_lo, 0, v2, vcc_lo
	global_load_b128 v[1:4], v[1:2], off
	s_waitcnt vmcnt(0)
	ds_store_b128 v5, v[1:4]
.LBB17_10:
	s_or_b32 exec_lo, exec_lo, s7
	s_mov_b32 s40, 0
	s_add_i32 s3, s30, 15
	s_mov_b32 s41, s40
	s_mov_b32 s42, s40
	;; [unrolled: 1-line block ×7, first 2 shown]
	s_delay_alu instid0(SALU_CYCLE_1)
	v_dual_mov_b32 v136, s47 :: v_dual_and_b32 v1, 0xef, v0
	v_mov_b32_e32 v134, s45
	s_clause 0x1
	s_load_b32 s4, s[0:1], 0x38
	s_load_b32 s33, s[0:1], 0x98
	v_add_nc_u32_e32 v1, s35, v1
	s_ashr_i32 s7, s3, 31
	s_load_b32 s36, s[0:1], 0x1c
	s_lshr_b32 s7, s7, 28
	s_waitcnt lgkmcnt(0)
	v_ashrrev_i32_e32 v2, 31, v1
	s_add_i32 s3, s3, s7
	v_cmp_gt_i32_e32 vcc_lo, s30, v1
	v_mov_b32_e32 v135, s46
	s_ashr_i32 s3, s3, 4
	v_lshrrev_b32_e32 v3, 28, v2
	v_or_b32_e32 v2, 16, v1
	s_add_i32 s3, s3, -1
	v_mov_b32_e32 v132, s43
	s_barrier
	v_add_nc_u32_e32 v4, v1, v3
	v_add_nc_u32_e32 v3, v2, v3
	buffer_gl0_inv
	s_mul_i32 s16, s34, s4
	s_mul_i32 s6, s15, s6
	v_ashrrev_i32_e32 v4, 4, v4
	v_ashrrev_i32_e32 v3, 4, v3
	s_ashr_i32 s17, s16, 31
	v_lshlrev_b32_e32 v149, 6, v150
	s_lshl_b64 s[16:17], s[16:17], 2
	v_cndmask_b32_e32 v1, s3, v4, vcc_lo
	v_cmp_gt_i32_e32 vcc_lo, s30, v2
	s_add_u32 s4, s12, s16
	s_addc_u32 s37, s13, s17
	s_ashr_i32 s7, s6, 31
	v_ashrrev_i32_e32 v2, 31, v1
	v_cndmask_b32_e32 v3, s3, v3, vcc_lo
	s_lshl_b64 s[6:7], s[6:7], 1
	v_mov_b32_e32 v133, s44
	s_add_u32 s24, s8, s6
	v_lshlrev_b64 v[1:2], 2, v[1:2]
	v_ashrrev_i32_e32 v4, 31, v3
	s_addc_u32 s25, s9, s7
	s_lshl_b32 s8, s14, 4
	v_mov_b32_e32 v131, s42
	s_ashr_i32 s9, s8, 31
	v_lshlrev_b64 v[3:4], 2, v[3:4]
	v_add_co_u32 v1, vcc_lo, s4, v1
	v_add_co_ci_u32_e32 v2, vcc_lo, s37, v2, vcc_lo
	s_lshl_b64 s[8:9], s[8:9], 2
	s_delay_alu instid0(VALU_DEP_3) | instskip(NEXT) | instid1(VALU_DEP_4)
	v_add_co_u32 v3, vcc_lo, s4, v3
	v_add_co_ci_u32_e32 v4, vcc_lo, s37, v4, vcc_lo
	s_clause 0x1
	global_load_b32 v5, v[1:2], off
	global_load_b32 v6, v[3:4], off
	s_add_u32 s8, s4, s8
	s_addc_u32 s9, s37, s9
	s_or_b32 s12, s35, 16
	v_dual_mov_b32 v130, s41 :: v_dual_lshlrev_b32 v3, 4, v0
	s_ashr_i32 s13, s12, 4
	s_cmp_lt_i32 s12, s30
	v_mov_b32_e32 v129, s40
	s_cselect_b32 s12, s13, s3
	s_delay_alu instid0(SALU_CYCLE_1) | instskip(NEXT) | instid1(SALU_CYCLE_1)
	s_ashr_i32 s13, s12, 31
	s_lshl_b64 s[12:13], s[12:13], 2
	s_delay_alu instid0(SALU_CYCLE_1) | instskip(SKIP_2) | instid1(SALU_CYCLE_1)
	s_add_u32 s12, s4, s12
	s_addc_u32 s13, s37, s13
	s_or_b32 s15, s35, 32
	s_ashr_i32 s16, s15, 4
	s_cmp_lt_i32 s15, s30
	s_cselect_b32 s16, s16, s3
	s_delay_alu instid0(SALU_CYCLE_1) | instskip(NEXT) | instid1(SALU_CYCLE_1)
	s_ashr_i32 s17, s16, 31
	s_lshl_b64 s[16:17], s[16:17], 2
	s_delay_alu instid0(SALU_CYCLE_1) | instskip(SKIP_2) | instid1(SALU_CYCLE_1)
	s_add_u32 s16, s4, s16
	s_addc_u32 s17, s37, s17
	s_or_b32 s15, s35, 48
	s_ashr_i32 s18, s15, 4
	s_cmp_lt_i32 s15, s30
	;; [unrolled: 10-line block ×4, first 2 shown]
	s_cselect_b32 s22, s22, s3
	s_delay_alu instid0(SALU_CYCLE_1) | instskip(NEXT) | instid1(SALU_CYCLE_1)
	s_ashr_i32 s23, s22, 31
	s_lshl_b64 s[22:23], s[22:23], 2
	s_delay_alu instid0(SALU_CYCLE_1)
	s_add_u32 s22, s4, s22
	s_addc_u32 s23, s37, s23
	s_clause 0x5
	s_load_b32 s48, s[8:9], 0x0
	s_load_b32 s12, s[12:13], 0x0
	;; [unrolled: 1-line block ×6, first 2 shown]
	s_waitcnt lgkmcnt(0)
	s_mul_hi_i32 s17, s16, s5
	s_mul_i32 s16, s16, s5
	s_waitcnt vmcnt(1)
	v_mad_i64_i32 v[1:2], null, v5, s5, 0
	v_and_b32_e32 v5, 0xf0, v3
	s_waitcnt vmcnt(0)
	v_mad_i64_i32 v[3:4], null, v6, s5, 0
	s_delay_alu instid0(VALU_DEP_2) | instskip(NEXT) | instid1(VALU_DEP_4)
	v_add_co_u32 v5, s8, s24, v5
	v_lshlrev_b64 v[1:2], 1, v[1:2]
	v_add_co_ci_u32_e64 v6, null, s25, 0, s8
	s_delay_alu instid0(VALU_DEP_4) | instskip(SKIP_1) | instid1(VALU_DEP_3)
	v_lshlrev_b64 v[3:4], 1, v[3:4]
	s_or_b32 s8, s35, 0x60
	v_add_co_u32 v1, vcc_lo, v5, v1
	s_delay_alu instid0(VALU_DEP_3) | instskip(NEXT) | instid1(VALU_DEP_3)
	v_add_co_ci_u32_e32 v2, vcc_lo, v6, v2, vcc_lo
	v_add_co_u32 v3, vcc_lo, v5, v3
	s_delay_alu instid0(VALU_DEP_4)
	v_add_co_ci_u32_e32 v4, vcc_lo, v6, v4, vcc_lo
	s_clause 0x9
	global_load_b128 v[9:12], v[1:2], off
	global_load_b128 v[13:16], v[1:2], off offset:256
	global_load_b128 v[137:140], v[3:4], off
	global_load_b128 v[141:144], v[3:4], off offset:256
	global_load_b128 v[41:44], v[1:2], off offset:512
	;; [unrolled: 1-line block ×7, first 2 shown]
	ds_load_b128 v[152:155], v149
	ds_load_b128 v[156:159], v149 offset:1024
	s_clause 0x5
	global_load_b128 v[160:163], v[3:4], off offset:1024
	global_load_b128 v[164:167], v[3:4], off offset:1280
	;; [unrolled: 1-line block ×6, first 2 shown]
	s_ashr_i32 s9, s8, 4
	s_cmp_lt_i32 s8, s30
	v_lshlrev_b32_e32 v5, 5, v150
	s_cselect_b32 s8, s9, s3
	s_delay_alu instid0(SALU_CYCLE_1) | instskip(NEXT) | instid1(SALU_CYCLE_1)
	s_ashr_i32 s9, s8, 31
	s_lshl_b64 s[8:9], s[8:9], 2
	s_delay_alu instid0(VALU_DEP_1)
	v_lshl_or_b32 v5, v148, 9, v5
	s_add_u32 s22, s4, s8
	s_addc_u32 s23, s37, s9
	s_or_b32 s8, s35, 0x70
	s_load_b32 s46, s[22:23], 0x0
	s_ashr_i32 s9, s8, 4
	s_cmp_lt_i32 s8, s30
	s_cselect_b32 s8, s9, s3
	s_delay_alu instid0(SALU_CYCLE_1) | instskip(NEXT) | instid1(SALU_CYCLE_1)
	s_ashr_i32 s9, s8, 31
	s_lshl_b64 s[8:9], s[8:9], 2
	s_delay_alu instid0(SALU_CYCLE_1)
	s_add_u32 s24, s4, s8
	s_addc_u32 s25, s37, s9
	s_or_b32 s8, s35, 0x80
	s_load_b32 s47, s[24:25], 0x0
	s_ashr_i32 s9, s8, 4
	s_cmp_lt_i32 s8, s30
	s_cselect_b32 s8, s9, s3
	s_delay_alu instid0(SALU_CYCLE_1) | instskip(NEXT) | instid1(SALU_CYCLE_1)
	s_ashr_i32 s9, s8, 31
	s_lshl_b64 s[8:9], s[8:9], 2
	s_delay_alu instid0(SALU_CYCLE_1) | instskip(SKIP_2) | instid1(SALU_CYCLE_1)
	s_add_u32 s26, s4, s8
	s_addc_u32 s27, s37, s9
	s_or_b32 s8, s35, 0x90
	s_ashr_i32 s9, s8, 4
	s_cmp_lt_i32 s8, s30
	s_cselect_b32 s8, s9, s3
	s_delay_alu instid0(SALU_CYCLE_1) | instskip(NEXT) | instid1(SALU_CYCLE_1)
	s_ashr_i32 s9, s8, 31
	s_lshl_b64 s[8:9], s[8:9], 2
	s_delay_alu instid0(SALU_CYCLE_1) | instskip(SKIP_2) | instid1(SALU_CYCLE_1)
	s_add_u32 s28, s4, s8
	s_addc_u32 s29, s37, s9
	s_or_b32 s8, s35, 0xa0
	s_ashr_i32 s9, s8, 4
	s_cmp_lt_i32 s8, s30
	s_cselect_b32 s8, s9, s3
	s_delay_alu instid0(SALU_CYCLE_1) | instskip(NEXT) | instid1(SALU_CYCLE_1)
	s_ashr_i32 s9, s8, 31
	s_lshl_b64 s[8:9], s[8:9], 2
	s_delay_alu instid0(SALU_CYCLE_1)
	s_add_u32 s38, s4, s8
	s_addc_u32 s39, s37, s9
	s_or_b32 s8, s35, 0xb0
	s_mul_hi_i32 s9, s48, s5
	s_ashr_i32 s13, s8, 4
	s_cmp_lt_i32 s8, s30
	s_mul_i32 s8, s48, s5
	s_load_b32 s48, s[26:27], 0x0
	s_cselect_b32 s40, s13, s3
	s_mul_hi_i32 s13, s12, s5
	s_ashr_i32 s41, s40, 31
	s_mul_i32 s12, s12, s5
	s_lshl_b64 s[40:41], s[40:41], 2
	s_delay_alu instid0(SALU_CYCLE_1) | instskip(SKIP_2) | instid1(SALU_CYCLE_1)
	s_add_u32 s42, s4, s40
	s_addc_u32 s43, s37, s41
	s_or_b32 s19, s35, 0xc0
	s_ashr_i32 s21, s19, 4
	s_cmp_lt_i32 s19, s30
	s_mul_hi_i32 s19, s18, s5
	s_cselect_b32 s40, s21, s3
	s_mul_i32 s18, s18, s5
	s_ashr_i32 s41, s40, 31
	s_mul_hi_i32 s21, s20, s5
	s_lshl_b64 s[40:41], s[40:41], 2
	s_mul_i32 s20, s20, s5
	s_add_u32 s44, s4, s40
	s_addc_u32 s45, s37, s41
	s_load_b32 s41, s[28:29], 0x0
	s_or_b32 s40, s35, 0xd0
	s_mul_hi_i32 s23, s15, s5
	s_ashr_i32 s22, s40, 4
	s_cmp_lt_i32 s40, s30
	s_load_b32 s40, s[38:39], 0x0
	s_cselect_b32 s24, s22, s3
	s_mul_i32 s22, s15, s5
	s_ashr_i32 s25, s24, 31
	s_waitcnt lgkmcnt(0)
	s_mul_hi_i32 s29, s48, s5
	s_lshl_b64 s[24:25], s[24:25], 2
	s_mul_i32 s28, s48, s5
	s_add_u32 s24, s4, s24
	s_addc_u32 s25, s37, s25
	s_or_b32 s49, s35, 0xe0
	s_clause 0x2
	s_load_b32 s39, s[42:43], 0x0
	s_load_b32 s38, s[44:45], 0x0
	;; [unrolled: 1-line block ×3, first 2 shown]
	s_ashr_i32 s50, s49, 4
	s_cmp_lt_i32 s49, s30
	s_mul_hi_i32 s25, s46, s5
	s_cselect_b32 s44, s50, s3
	s_mul_i32 s24, s46, s5
	s_ashr_i32 s45, s44, 31
	s_mul_hi_i32 s27, s47, s5
	s_lshl_b64 s[44:45], s[44:45], 2
	s_mul_i32 s26, s47, s5
	s_add_u32 s44, s4, s44
	s_addc_u32 s45, s37, s45
	s_or_b32 s46, s35, 0xf0
	s_mul_hi_i32 s43, s41, s5
	s_ashr_i32 s48, s46, 4
	s_cmp_lt_i32 s46, s30
	s_mul_i32 s42, s41, s5
	s_cselect_b32 s48, s48, s3
	s_mul_hi_i32 s41, s40, s5
	s_ashr_i32 s49, s48, 31
	s_mul_i32 s40, s40, s5
	s_lshl_b64 s[48:49], s[48:49], 2
	s_waitcnt lgkmcnt(0)
	s_mul_hi_i32 s47, s39, s5
	s_add_u32 s48, s4, s48
	s_addc_u32 s49, s37, s49
	s_add_u32 s3, s10, s6
	s_addc_u32 s4, s11, s7
	v_add_co_u32 v196, s3, s3, v5
	s_delay_alu instid0(VALU_DEP_1) | instskip(SKIP_2) | instid1(VALU_DEP_2)
	v_add_co_ci_u32_e64 v197, null, s4, 0, s3
	s_lshl_b64 s[6:7], s[8:9], 1
	s_lshl_b64 s[8:9], s[12:13], 1
	v_add_co_u32 v1, vcc_lo, v196, s6
	s_delay_alu instid0(VALU_DEP_2)
	v_add_co_ci_u32_e32 v2, vcc_lo, s7, v197, vcc_lo
	v_add_co_u32 v3, vcc_lo, v196, s8
	s_lshl_b64 s[10:11], s[16:17], 1
	v_add_co_ci_u32_e32 v4, vcc_lo, s9, v197, vcc_lo
	v_add_co_u32 v5, vcc_lo, v196, s10
	s_lshl_b64 s[12:13], s[18:19], 1
	;; [unrolled: 3-line block ×9, first 2 shown]
	s_mul_i32 s46, s39, s5
	v_add_co_ci_u32_e32 v54, vcc_lo, s27, v197, vcc_lo
	v_add_co_u32 v184, vcc_lo, v196, s28
	s_lshl_b64 s[40:41], s[46:47], 1
	s_mul_hi_i32 s39, s38, s5
	s_mul_i32 s38, s38, s5
	v_add_co_ci_u32_e32 v185, vcc_lo, s29, v197, vcc_lo
	v_add_co_u32 v186, vcc_lo, v196, s40
	s_lshl_b64 s[38:39], s[38:39], 1
	s_clause 0x1
	s_load_b32 s3, s[44:45], 0x0
	s_load_b32 s4, s[48:49], 0x0
	v_add_co_ci_u32_e32 v187, vcc_lo, s41, v197, vcc_lo
	v_add_co_u32 v192, vcc_lo, v196, s38
	v_add_co_ci_u32_e32 v193, vcc_lo, s39, v197, vcc_lo
	s_clause 0x17
	global_load_b128 v[121:124], v[1:2], off
	global_load_b128 v[125:128], v[1:2], off offset:16
	global_load_b128 v[113:116], v[3:4], off
	global_load_b128 v[117:120], v[3:4], off offset:16
	;; [unrolled: 2-line block ×12, first 2 shown]
	s_mul_hi_i32 s51, s15, s5
	s_mul_i32 s50, s15, s5
	s_delay_alu instid0(SALU_CYCLE_1) | instskip(NEXT) | instid1(SALU_CYCLE_1)
	s_lshl_b64 s[42:43], s[50:51], 1
	v_add_co_u32 v194, vcc_lo, v196, s42
	v_add_co_ci_u32_e32 v195, vcc_lo, s43, v197, vcc_lo
	s_waitcnt lgkmcnt(0)
	s_mul_hi_i32 s7, s3, s5
	s_mul_i32 s6, s3, s5
	s_mul_hi_i32 s9, s4, s5
	s_lshl_b64 s[6:7], s[6:7], 1
	s_mul_i32 s8, s4, s5
	s_delay_alu instid0(SALU_CYCLE_1)
	s_lshl_b64 s[4:5], s[8:9], 1
	s_waitcnt vmcnt(38)
	v_wmma_f32_16x16x16_f16 v[184:191], v[9:16], v[152:159], v[129:136]
	s_waitcnt vmcnt(36)
	v_wmma_f32_16x16x16_f16 v[129:136], v[137:144], v[152:159], v[129:136]
	s_clause 0x1
	global_load_b128 v[9:12], v[192:193], off
	global_load_b128 v[13:16], v[192:193], off offset:16
	ds_load_b128 v[137:140], v149 offset:2048
	ds_load_b128 v[141:144], v149 offset:3072
	;; [unrolled: 1-line block ×4, first 2 shown]
	v_add_co_u32 v192, vcc_lo, v196, s6
	v_add_co_ci_u32_e32 v193, vcc_lo, s7, v197, vcc_lo
	v_add_co_u32 v196, vcc_lo, v196, s4
	v_add_co_ci_u32_e32 v197, vcc_lo, s5, v197, vcc_lo
	s_waitcnt vmcnt(36) lgkmcnt(2)
	v_wmma_f32_16x16x16_f16 v[184:191], v[41:48], v[137:144], v[184:191]
	s_waitcnt vmcnt(34)
	v_wmma_f32_16x16x16_f16 v[129:136], v[33:40], v[137:144], v[129:136]
	s_clause 0x3
	global_load_b128 v[33:36], v[194:195], off
	global_load_b128 v[37:40], v[194:195], off offset:16
	global_load_b128 v[41:44], v[192:193], off
	global_load_b128 v[45:48], v[192:193], off offset:16
	v_and_b32_e32 v137, 0xe0, v0
	v_mbcnt_lo_u32_b32 v192, -1, 0
	s_waitcnt vmcnt(36) lgkmcnt(0)
	v_wmma_f32_16x16x16_f16 v[184:191], v[17:24], v[152:159], v[184:191]
	s_clause 0x1
	global_load_b128 v[17:20], v[196:197], off
	global_load_b128 v[21:24], v[196:197], off offset:16
	s_waitcnt vmcnt(36)
	v_wmma_f32_16x16x16_f16 v[129:136], v[160:167], v[152:159], v[129:136]
	v_add_nc_u32_e32 v193, s35, v137
	ds_load_b128 v[137:140], v149 offset:6144
	ds_load_b128 v[141:144], v149 offset:7168
	v_xor_b32_e32 v152, 16, v192
	s_waitcnt vmcnt(0) lgkmcnt(0)
	s_barrier
	buffer_gl0_inv
	v_cmp_gt_i32_e32 vcc_lo, 32, v152
	v_cndmask_b32_e32 v152, v192, v152, vcc_lo
	v_wmma_f32_16x16x16_f16 v[129:136], v[176:183], v[137:144], v[129:136]
	v_wmma_f32_16x16x16_f16 v[184:191], v[168:175], v[137:144], v[184:191]
	s_delay_alu instid0(VALU_DEP_2) | instskip(SKIP_1) | instid1(VALU_DEP_3)
	v_mul_f32_e32 v174, s36, v131
	v_or_b32_e32 v153, v193, v146
	v_dual_mul_f32 v143, s36, v185 :: v_dual_mul_f32 v144, s36, v184
	s_delay_alu instid0(VALU_DEP_4) | instskip(NEXT) | instid1(VALU_DEP_3)
	v_dual_mul_f32 v141, s36, v187 :: v_dual_mul_f32 v142, s36, v186
	v_or_b32_e32 v154, 2, v153
	v_or_b32_e32 v155, 4, v153
	;; [unrolled: 1-line block ×3, first 2 shown]
	v_cmp_gt_i32_e32 vcc_lo, s30, v153
	v_or_b32_e32 v157, 8, v153
	v_cmp_gt_i32_e64 s3, s30, v154
	v_or_b32_e32 v158, 10, v153
	v_cmp_gt_i32_e64 s4, s30, v155
	v_cndmask_b32_e32 v144, 0xff7fffff, v144, vcc_lo
	v_cmp_gt_i32_e64 s5, s30, v156
	v_cndmask_b32_e64 v143, 0xff7fffff, v143, s3
	v_or_b32_e32 v159, 12, v153
	v_or_b32_e32 v160, 14, v153
	v_dual_mul_f32 v139, s36, v189 :: v_dual_mul_f32 v140, s36, v188
	v_cndmask_b32_e64 v142, 0xff7fffff, v142, s4
	v_cndmask_b32_e64 v141, 0xff7fffff, v141, s5
	v_max3_f32 v143, v144, 0xff7fffff, v143
	v_cmp_gt_i32_e64 s6, s30, v157
	v_cmp_gt_i32_e64 s7, s30, v158
	v_or_b32_e32 v161, 16, v153
	v_or_b32_e32 v162, 18, v153
	v_dual_mul_f32 v137, s36, v191 :: v_dual_mul_f32 v176, s36, v129
	v_mul_f32_e32 v138, s36, v190
	v_cndmask_b32_e64 v140, 0xff7fffff, v140, s6
	v_cndmask_b32_e64 v139, 0xff7fffff, v139, s7
	v_max3_f32 v141, v143, v142, v141
	v_cmp_gt_i32_e64 s8, s30, v159
	v_cmp_gt_i32_e64 s9, s30, v160
	v_or_b32_e32 v163, 20, v153
	v_or_b32_e32 v164, 22, v153
	v_mul_f32_e32 v175, s36, v130
	v_cndmask_b32_e64 v138, 0xff7fffff, v138, s8
	v_cndmask_b32_e64 v137, 0xff7fffff, v137, s9
	v_max3_f32 v139, v141, v140, v139
	v_cmp_gt_i32_e64 s10, s30, v161
	v_cmp_gt_i32_e64 s11, s30, v162
	v_or_b32_e32 v165, 24, v153
	v_or_b32_e32 v166, 26, v153
	;; [unrolled: 8-line block ×3, first 2 shown]
	v_dual_mul_f32 v171, s36, v134 :: v_dual_mul_f32 v172, s36, v133
	v_cndmask_b32_e64 v138, 0xff7fffff, v174, s12
	v_cndmask_b32_e64 v139, 0xff7fffff, v173, s13
	v_max3_f32 v137, v137, v140, v141
	v_cmp_gt_i32_e64 s15, s30, v165
	v_cmp_gt_i32_e64 s16, s30, v166
	v_dual_mul_f32 v169, s36, v136 :: v_dual_mul_f32 v170, s36, v135
	s_delay_alu instid0(VALU_DEP_4) | instskip(NEXT) | instid1(VALU_DEP_4)
	v_max3_f32 v137, v137, v138, v139
	v_cndmask_b32_e64 v140, 0xff7fffff, v172, s15
	s_delay_alu instid0(VALU_DEP_4) | instskip(SKIP_3) | instid1(VALU_DEP_4)
	v_cndmask_b32_e64 v141, 0xff7fffff, v171, s16
	v_cmp_gt_i32_e64 s17, s30, v167
	v_cmp_gt_i32_e64 s18, s30, v168
	v_lshlrev_b32_e32 v161, 2, v152
	v_max3_f32 v137, v137, v140, v141
	s_delay_alu instid0(VALU_DEP_4) | instskip(NEXT) | instid1(VALU_DEP_4)
	v_cndmask_b32_e64 v138, 0xff7fffff, v170, s17
	v_cndmask_b32_e64 v139, 0xff7fffff, v169, s18
	s_delay_alu instid0(VALU_DEP_1) | instskip(SKIP_3) | instid1(VALU_DEP_1)
	v_max3_f32 v137, v137, v138, v139
	ds_bpermute_b32 v138, v161, v137
	s_waitcnt lgkmcnt(0)
	v_max_f32_e32 v138, v138, v138
	v_max_f32_e32 v160, v137, v138
	s_delay_alu instid0(VALU_DEP_1) | instskip(SKIP_4) | instid1(VALU_DEP_4)
	v_fma_f32 v139, s36, v186, -v160
	v_fma_f32 v140, s36, v187, -v160
	;; [unrolled: 1-line block ×5, first 2 shown]
	v_dual_mul_f32 v139, 0x3fb8aa3b, v139 :: v_dual_mul_f32 v140, 0x3fb8aa3b, v140
	s_delay_alu instid0(VALU_DEP_4) | instskip(NEXT) | instid1(VALU_DEP_4)
	v_mul_f32_e32 v152, 0x3fb8aa3b, v152
	v_mul_f32_e32 v132, 0x3fb8aa3b, v132
	v_fma_f32 v137, s36, v184, -v160
	s_delay_alu instid0(VALU_DEP_4)
	v_exp_f32_e32 v139, v139
	v_exp_f32_e32 v144, v140
	;; [unrolled: 1-line block ×3, first 2 shown]
	v_fma_f32 v138, s36, v185, -v160
	v_fma_f32 v142, s36, v188, -v160
	;; [unrolled: 1-line block ×5, first 2 shown]
	v_mul_f32_e32 v138, 0x3fb8aa3b, v138
	v_mul_f32_e32 v142, 0x3fb8aa3b, v142
	v_cndmask_b32_e64 v140, 0, v139, s4
	v_cndmask_b32_e64 v139, 0, v144, s5
	v_mul_f32_e32 v144, 0x3fb8aa3b, v153
	v_exp_f32_e32 v141, v138
	v_dual_mul_f32 v143, 0x3fb8aa3b, v143 :: v_dual_mul_f32 v134, 0x3fb8aa3b, v134
	v_exp_f32_e32 v142, v142
	s_delay_alu instid0(VALU_DEP_2)
	v_exp_f32_e32 v154, v144
	v_cndmask_b32_e64 v144, 0, v152, s8
	v_mul_f32_e32 v137, 0x3fb8aa3b, v137
	v_exp_f32_e32 v143, v143
	v_fma_f32 v130, s36, v130, -v160
	v_mul_f32_e32 v129, 0x3fb8aa3b, v129
	v_fma_f32 v131, s36, v131, -v160
	v_exp_f32_e32 v137, v137
	v_fma_f32 v133, s36, v133, -v160
	v_cndmask_b32_e64 v142, 0, v142, s6
	v_mul_f32_e32 v130, 0x3fb8aa3b, v130
	v_exp_f32_e32 v129, v129
	v_mul_f32_e32 v131, 0x3fb8aa3b, v131
	v_mul_f32_e32 v133, 0x3fb8aa3b, v133
	v_exp_f32_e32 v132, v132
	v_exp_f32_e32 v130, v130
	v_cndmask_b32_e32 v138, 0, v137, vcc_lo
	v_cndmask_b32_e64 v137, 0, v141, s3
	v_exp_f32_e32 v131, v131
	v_exp_f32_e32 v133, v133
	s_mov_b32 s3, exec_lo
	v_add_f32_e32 v141, 0, v138
	s_delay_alu instid0(VALU_DEP_1)
	v_add_f32_e32 v141, v141, v137
	s_waitcnt_depctr 0xfff
	v_cndmask_b32_e64 v155, 0, v131, s12
	v_exp_f32_e32 v131, v134
	v_cndmask_b32_e64 v157, 0, v133, s15
	v_add_f32_e32 v141, v141, v140
	s_delay_alu instid0(VALU_DEP_1)
	v_add_f32_e32 v153, v141, v139
	v_cndmask_b32_e64 v141, 0, v143, s7
	s_waitcnt_depctr 0xfff
	v_cndmask_b32_e64 v156, 0, v131, s16
	v_add_f32_e32 v143, v153, v142
	v_cndmask_b32_e64 v153, 0, v129, s10
	s_delay_alu instid0(VALU_DEP_2) | instskip(SKIP_3) | instid1(VALU_DEP_4)
	v_add_f32_e32 v152, v143, v141
	v_cndmask_b32_e64 v143, 0, v154, s9
	v_cndmask_b32_e64 v154, 0, v132, s13
	v_fma_f32 v132, s36, v136, -v160
	v_add_f32_e32 v152, v152, v144
	s_delay_alu instid0(VALU_DEP_1) | instskip(SKIP_2) | instid1(VALU_DEP_3)
	v_dual_mul_f32 v132, 0x3fb8aa3b, v132 :: v_dual_add_f32 v129, v152, v143
	v_cndmask_b32_e64 v152, 0, v130, s11
	v_fma_f32 v130, s36, v135, -v160
	v_exp_f32_e32 v131, v132
	s_delay_alu instid0(VALU_DEP_1) | instskip(NEXT) | instid1(VALU_DEP_1)
	v_dual_add_f32 v129, v129, v153 :: v_dual_mul_f32 v130, 0x3fb8aa3b, v130
	v_add_f32_e32 v129, v129, v152
	s_delay_alu instid0(VALU_DEP_2) | instskip(SKIP_3) | instid1(VALU_DEP_1)
	v_exp_f32_e32 v130, v130
	s_waitcnt_depctr 0xfff
	v_cndmask_b32_e64 v158, 0, v131, s18
	v_add_f32_e32 v129, v129, v155
	v_add_f32_e32 v129, v129, v154
	v_cndmask_b32_e64 v159, 0, v130, s17
	s_delay_alu instid0(VALU_DEP_2) | instskip(NEXT) | instid1(VALU_DEP_1)
	v_add_f32_e32 v129, v129, v157
	v_add_f32_e32 v129, v129, v156
	s_delay_alu instid0(VALU_DEP_1) | instskip(NEXT) | instid1(VALU_DEP_1)
	v_add_f32_e32 v129, v129, v159
	v_add_f32_e32 v129, v129, v158
	ds_bpermute_b32 v130, v161, v129
	v_cmpx_gt_u32_e32 16, v151
	s_cbranch_execz .LBB17_12
; %bb.11:
	v_mul_u32_u24_e32 v131, 0x44, v148
	s_delay_alu instid0(VALU_DEP_1) | instskip(SKIP_1) | instid1(VALU_DEP_1)
	v_lshl_add_u32 v131, v150, 2, v131
	s_waitcnt lgkmcnt(0)
	v_dual_add_f32 v129, v129, v130 :: v_dual_add_nc_u32 v130, 0x4000, v131
	ds_store_2addr_b32 v130, v160, v129 offset1:136
.LBB17_12:
	s_or_b32 exec_lo, exec_lo, s3
	v_lshlrev_b32_e32 v129, 2, v150
	s_load_b32 s35, s[0:1], 0x94
	s_waitcnt lgkmcnt(0)
	s_barrier
	buffer_gl0_inv
	v_add_nc_u32_e32 v162, 0x4000, v129
	v_cmp_eq_u32_e32 vcc_lo, 1, v148
	v_cmp_eq_u32_e64 s3, 2, v148
	v_cmp_eq_u32_e64 s4, 3, v148
	;; [unrolled: 1-line block ×3, first 2 shown]
	ds_load_2addr_b32 v[129:130], v162 offset1:17
	ds_load_2addr_b32 v[131:132], v162 offset0:34 offset1:51
	ds_load_2addr_b32 v[133:134], v162 offset0:68 offset1:85
	;; [unrolled: 1-line block ×3, first 2 shown]
	v_cmp_eq_u32_e64 s6, 7, v148
	s_waitcnt lgkmcnt(3)
	v_max3_f32 v135, v129, 0xff7fffff, v130
	s_waitcnt lgkmcnt(2)
	s_delay_alu instid0(VALU_DEP_1) | instskip(SKIP_1) | instid1(VALU_DEP_1)
	v_max3_f32 v135, v135, v131, v132
	s_waitcnt lgkmcnt(1)
	v_max3_f32 v135, v135, v133, v134
	s_waitcnt lgkmcnt(0)
	s_delay_alu instid0(VALU_DEP_1) | instskip(NEXT) | instid1(VALU_DEP_1)
	v_max3_f32 v135, v135, v150, v151
	v_sub_f32_e32 v129, v129, v135
	ds_load_2addr_b32 v[160:161], v162 offset0:136 offset1:153
	v_sub_f32_e32 v136, v130, v135
	v_dual_sub_f32 v150, v150, v135 :: v_dual_mul_f32 v163, 0x3fb8aa3b, v129
	ds_load_2addr_b32 v[129:130], v162 offset0:170 offset1:187
	v_mul_f32_e32 v136, 0x3fb8aa3b, v136
	v_mul_f32_e32 v150, 0x3fb8aa3b, v150
	v_exp_f32_e32 v163, v163
	s_delay_alu instid0(VALU_DEP_2) | instskip(NEXT) | instid1(VALU_DEP_1)
	v_exp_f32_e32 v166, v136
	v_exp_f32_e32 v150, v150
	s_waitcnt lgkmcnt(1)
	s_delay_alu instid0(TRANS32_DEP_3) | instskip(SKIP_4) | instid1(VALU_DEP_2)
	v_fma_f32 v136, v163, v160, 0
	v_sub_f32_e32 v160, v134, v135
	s_waitcnt_depctr 0xfff
	v_dual_sub_f32 v133, v133, v135 :: v_dual_fmac_f32 v136, v166, v161
	v_mul_f32_e32 v160, 0x3fb8aa3b, v160
	v_dual_sub_f32 v164, v132, v135 :: v_dual_mul_f32 v167, 0x3fb8aa3b, v133
	v_sub_f32_e32 v131, v131, v135
	ds_load_2addr_b32 v[133:134], v162 offset0:238 offset1:255
	v_mul_f32_e32 v164, 0x3fb8aa3b, v164
	v_exp_f32_e32 v161, v167
	v_mul_f32_e32 v165, 0x3fb8aa3b, v131
	ds_load_2addr_b32 v[131:132], v162 offset0:204 offset1:221
	s_waitcnt lgkmcnt(0)
	v_exp_f32_e32 v164, v164
	s_barrier
	v_exp_f32_e32 v165, v165
	buffer_gl0_inv
	v_dual_fmac_f32 v136, v165, v129 :: v_dual_sub_f32 v129, v151, v135
	v_exp_f32_e32 v151, v160
	s_delay_alu instid0(VALU_DEP_1) | instskip(SKIP_1) | instid1(VALU_DEP_2)
	v_dual_fmac_f32 v136, v164, v130 :: v_dual_mul_f32 v129, 0x3fb8aa3b, v129
	v_cndmask_b32_e32 v130, v163, v166, vcc_lo
	v_fmac_f32_e32 v136, v161, v131
	s_delay_alu instid0(VALU_DEP_3) | instskip(SKIP_3) | instid1(VALU_DEP_1)
	v_exp_f32_e32 v160, v129
	v_lshl_or_b32 v131, v148, 11, v149
	s_waitcnt_depctr 0xfff
	v_fmac_f32_e32 v136, v151, v132
	v_fmac_f32_e32 v136, v150, v133
	s_delay_alu instid0(VALU_DEP_1) | instskip(NEXT) | instid1(VALU_DEP_1)
	v_fmac_f32_e32 v136, v160, v134
	v_add_f32_e32 v162, 0x358637bd, v136
	s_delay_alu instid0(VALU_DEP_1) | instskip(SKIP_1) | instid1(VALU_DEP_2)
	v_div_scale_f32 v167, null, v162, v162, 1.0
	v_div_scale_f32 v163, vcc_lo, 1.0, v162, 1.0
	v_rcp_f32_e32 v168, v167
	s_waitcnt_depctr 0xfff
	v_fma_f32 v129, -v167, v168, 1.0
	s_delay_alu instid0(VALU_DEP_1) | instskip(SKIP_2) | instid1(VALU_DEP_3)
	v_fmac_f32_e32 v168, v129, v168
	v_cndmask_b32_e64 v129, v130, v165, s3
	v_cmp_eq_u32_e64 s3, 4, v148
	v_dual_mul_f32 v165, v163, v168 :: v_dual_lshlrev_b32 v130, 2, v146
	s_delay_alu instid0(VALU_DEP_3) | instskip(SKIP_1) | instid1(VALU_DEP_3)
	v_cndmask_b32_e64 v129, v129, v164, s4
	v_cmp_eq_u32_e64 s4, 6, v148
	v_or_b32_e32 v134, 2, v130
	v_cmp_eq_u32_e64 s7, 6, v130
	v_fma_f32 v132, -v167, v165, v163
	v_cndmask_b32_e64 v133, v129, v161, s3
	v_lshl_or_b32 v129, v146, 4, v131
	v_cmp_eq_u32_e64 s3, 1, v130
	v_cmp_eq_u32_e64 s10, 1, v134
	v_fmac_f32_e32 v165, v132, v168
	v_cndmask_b32_e64 v148, v133, v151, s5
	v_or_b32_e32 v132, 1, v130
	v_or_b32_e32 v133, 3, v130
	v_cmp_eq_u32_e64 s15, 2, v134
	v_fma_f32 v151, -v167, v165, v163
	v_cndmask_b32_e64 v148, v148, v150, s4
	v_cmp_eq_u32_e64 s9, 1, v132
	v_cmp_eq_u32_e64 s11, 1, v133
	;; [unrolled: 1-line block ×3, first 2 shown]
	v_div_fmas_f32 v150, v151, v168, v165
	v_cndmask_b32_e64 v148, v148, v160, s6
	v_cmp_eq_u32_e32 vcc_lo, 2, v130
	v_cmp_eq_u32_e64 s16, 2, v133
	v_cmp_eq_u32_e64 s18, 3, v133
	v_div_fixup_f32 v150, v150, v162, 1.0
	v_cmp_eq_u32_e64 s4, 3, v130
	v_cmp_eq_u32_e64 s13, 3, v132
	;; [unrolled: 1-line block ×4, first 2 shown]
	v_mul_f32_e32 v148, v148, v150
	v_cmp_eq_u32_e64 s5, 4, v130
	v_cmp_eq_u32_e64 s19, 4, v132
	v_cmp_eq_u32_e64 s21, 4, v134
	v_cmp_eq_u32_e64 s24, 5, v133
	v_fma_mixlo_f16 v160, v148, v138, 0
	v_fma_mixlo_f16 v161, v148, v140, 0
	;; [unrolled: 1-line block ×8, first 2 shown]
	v_fma_mixhi_f16 v160, v148, v137, 0
	v_fma_mixhi_f16 v161, v148, v139, 0
	;; [unrolled: 1-line block ×8, first 2 shown]
	ds_store_b128 v129, v[160:163]
	ds_store_b128 v129, v[164:167] offset:1024
	s_waitcnt lgkmcnt(0)
	s_barrier
	buffer_gl0_inv
	ds_load_b128 v[137:140], v131
	ds_load_b128 v[141:144], v131 offset:16
	ds_load_b128 v[150:153], v131 offset:1024
	;; [unrolled: 1-line block ×3, first 2 shown]
	v_cmp_eq_u32_e64 s6, 5, v130
	v_cmp_eq_u32_e64 s20, 5, v132
	;; [unrolled: 1-line block ×10, first 2 shown]
	s_waitcnt lgkmcnt(3)
	v_lshrrev_b32_e32 v148, 16, v137
	s_waitcnt lgkmcnt(2)
	v_lshrrev_b32_e32 v161, 16, v141
	;; [unrolled: 2-line block ×4, first 2 shown]
	v_lshrrev_b32_e32 v158, 16, v138
	v_cndmask_b32_e64 v173, v137, v148, s3
	v_cndmask_b32_e64 v174, v141, v161, s3
	;; [unrolled: 1-line block ×8, first 2 shown]
	v_lshrrev_b32_e32 v162, 16, v142
	v_cndmask_b32_e64 v148, v150, v165, s3
	v_cndmask_b32_e64 v161, v154, v169, s3
	;; [unrolled: 1-line block ×5, first 2 shown]
	v_cndmask_b32_e32 v165, v173, v138, vcc_lo
	v_cndmask_b32_e64 v173, v175, v138, s12
	v_cndmask_b32_e64 v175, v177, v138, s15
	;; [unrolled: 1-line block ×4, first 2 shown]
	v_lshrrev_b32_e32 v166, 16, v151
	v_lshrrev_b32_e32 v170, 16, v155
	v_cndmask_b32_e64 v180, v154, v169, s9
	v_cndmask_b32_e64 v182, v154, v169, s10
	;; [unrolled: 1-line block ×3, first 2 shown]
	v_cndmask_b32_e32 v169, v174, v142, vcc_lo
	v_cndmask_b32_e64 v174, v176, v142, s12
	v_cndmask_b32_e64 v176, v178, v142, s15
	v_cndmask_b32_e32 v141, v148, v151, vcc_lo
	v_cndmask_b32_e32 v142, v161, v155, vcc_lo
	v_cndmask_b32_e64 v148, v179, v151, s12
	v_cndmask_b32_e64 v137, v137, v158, s18
	;; [unrolled: 1-line block ×3, first 2 shown]
	v_lshrrev_b32_e32 v159, 16, v139
	v_lshrrev_b32_e32 v163, 16, v143
	v_cndmask_b32_e64 v161, v181, v151, s15
	v_cndmask_b32_e64 v150, v150, v151, s16
	;; [unrolled: 1-line block ×14, first 2 shown]
	v_lshrrev_b32_e32 v167, 16, v152
	v_cndmask_b32_e64 v154, v154, v139, s5
	v_cndmask_b32_e64 v158, v165, v143, s5
	;; [unrolled: 1-line block ×11, first 2 shown]
	v_lshrrev_b32_e32 v160, 16, v140
	v_lshrrev_b32_e32 v164, 16, v144
	v_cndmask_b32_e64 v143, v154, v159, s6
	v_cndmask_b32_e64 v148, v158, v163, s6
	;; [unrolled: 1-line block ×9, first 2 shown]
	v_lshrrev_b32_e32 v168, 16, v153
	v_cndmask_b32_e64 v139, v139, v167, s6
	v_cndmask_b32_e64 v143, v143, v140, s7
	v_cndmask_b32_e64 v148, v148, v144, s7
	v_cndmask_b32_e64 v154, v154, v140, s25
	v_cndmask_b32_e64 v158, v158, v144, s25
	v_cndmask_b32_e64 v159, v162, v140, s26
	v_cndmask_b32_e64 v162, v165, v144, s26
	v_cndmask_b32_e64 v140, v142, v153, s25
	v_cndmask_b32_e64 v137, v137, v160, s29
	v_cndmask_b32_e64 v138, v138, v164, s29
	v_cndmask_b32_e64 v177, v182, v155, s15
	v_cndmask_b32_e64 v139, v139, v153, s7
	v_cndmask_b32_e64 v142, v143, v160, s8
	v_cndmask_b32_e64 v143, v148, v164, s8
	v_cndmask_b32_e64 v144, v154, v160, s30
	v_cndmask_b32_e64 v148, v159, v160, s28
	v_cndmask_b32_e64 v154, v162, v164, s28
	v_cndmask_b32_e64 v158, v158, v164, s30
	v_cndmask_b32_e64 v160, v140, v168, s30
	v_perm_b32 v140, v138, v137, 0x5040100
	v_cndmask_b32_e64 v137, v180, v155, s12
	v_cndmask_b32_e64 v159, v139, v168, s8
	v_perm_b32 v139, v154, v148, 0x5040100
	v_perm_b32 v138, v158, v144, 0x5040100
	v_cndmask_b32_e64 v144, v161, v166, s17
	v_cndmask_b32_e64 v148, v150, v166, s18
	;; [unrolled: 1-line block ×5, first 2 shown]
	v_lshrrev_b32_e32 v171, 16, v156
	v_cndmask_b32_e64 v144, v144, v152, s21
	v_cndmask_b32_e64 v148, v148, v152, s22
	;; [unrolled: 1-line block ×11, first 2 shown]
	v_lshrrev_b32_e32 v172, 16, v157
	v_cndmask_b32_e64 v141, v141, v157, s7
	v_cndmask_b32_e64 v144, v144, v153, s26
	;; [unrolled: 1-line block ×12, first 2 shown]
	v_perm_b32 v137, v143, v142, 0x5040100
	v_perm_b32 v144, v148, v144, 0x5040100
	;; [unrolled: 1-line block ×5, first 2 shown]
	s_lshl_b32 s7, s33, 4
	s_mov_b32 s3, exec_lo
	ds_store_b128 v129, v[137:140]
	ds_store_b128 v129, v[141:144] offset:1024
	v_cmpx_gt_u32_e32 16, v0
	s_cbranch_execz .LBB17_14
; %bb.13:
	v_or_b32_e32 v137, s31, v0
	s_load_b128 s[8:11], s[0:1], 0x58
	s_delay_alu instid0(VALU_DEP_1) | instskip(NEXT) | instid1(VALU_DEP_1)
	v_mad_u64_u32 v[138:139], null, s7, s34, v[137:138]
	v_mad_u64_u32 v[139:140], null, v138, s35, s[14:15]
	s_delay_alu instid0(VALU_DEP_1) | instskip(NEXT) | instid1(VALU_DEP_1)
	v_ashrrev_i32_e32 v140, 31, v139
	v_lshlrev_b64 v[137:138], 2, v[139:140]
	s_waitcnt lgkmcnt(0)
	s_delay_alu instid0(VALU_DEP_1) | instskip(NEXT) | instid1(VALU_DEP_2)
	v_add_co_u32 v139, vcc_lo, s10, v137
	v_add_co_ci_u32_e32 v140, vcc_lo, s11, v138, vcc_lo
	v_add_co_u32 v137, vcc_lo, s8, v137
	v_add_co_ci_u32_e32 v138, vcc_lo, s9, v138, vcc_lo
	global_store_b32 v[139:140], v135, off
	global_store_b32 v[137:138], v136, off
.LBB17_14:
	s_or_b32 exec_lo, exec_lo, s3
	s_waitcnt lgkmcnt(0)
	s_waitcnt_vscnt null, 0x0
	s_barrier
	buffer_gl0_inv
	ds_load_b128 v[150:153], v149
	ds_load_b128 v[154:157], v149 offset:16
	ds_load_b128 v[162:165], v149 offset:1040
	;; [unrolled: 1-line block ×5, first 2 shown]
	v_cmp_eq_u32_e32 vcc_lo, 1, v134
	v_mov_b32_e32 v135, 0
	ds_load_b128 v[178:181], v149 offset:3088
	ds_load_b128 v[174:177], v149 offset:3072
	;; [unrolled: 1-line block ×4, first 2 shown]
	v_cmp_eq_u32_e64 s3, 1, v130
	v_cmp_eq_u32_e64 s4, 1, v133
	v_cmp_eq_u32_e64 s5, 1, v132
	v_mov_b32_e32 v136, v135
	v_mov_b32_e32 v137, v135
	;; [unrolled: 1-line block ×7, first 2 shown]
	v_cmp_eq_u32_e64 s6, 2, v130
	s_waitcnt lgkmcnt(8)
	s_delay_alu instid0(VALU_DEP_2)
	v_wmma_f32_16x16x16_f16 v[135:142], v[121:128], v[150:157], v[135:142]
	ds_load_b128 v[125:128], v149 offset:5136
	ds_load_b128 v[121:124], v149 offset:5120
	s_waitcnt lgkmcnt(8)
	v_wmma_f32_16x16x16_f16 v[135:142], v[113:120], v[158:165], v[135:142]
	ds_load_b128 v[117:120], v149 offset:6160
	ds_load_b128 v[113:116], v149 offset:6144
	s_waitcnt lgkmcnt(8)
	;; [unrolled: 4-line block ×11, first 2 shown]
	s_barrier
	buffer_gl0_inv
	v_wmma_f32_16x16x16_f16 v[135:142], v[1:8], v[73:80], v[135:142]
	s_delay_alu instid0(VALU_DEP_1) | instskip(NEXT) | instid1(VALU_DEP_1)
	v_wmma_f32_16x16x16_f16 v[135:142], v[9:16], v[65:72], v[135:142]
	v_wmma_f32_16x16x16_f16 v[135:142], v[33:40], v[57:64], v[135:142]
	s_delay_alu instid0(VALU_DEP_1) | instskip(NEXT) | instid1(VALU_DEP_1)
	v_wmma_f32_16x16x16_f16 v[135:142], v[41:48], v[49:56], v[135:142]
	v_wmma_f32_16x16x16_f16 v[135:142], v[17:24], v[25:32], v[135:142]
	s_delay_alu instid0(VALU_DEP_1) | instskip(NEXT) | instid1(VALU_DEP_2)
	v_cvt_f16_f32_e64 v1, v135
	v_cvt_f16_f32_e64 v2, v136
	s_delay_alu instid0(VALU_DEP_3) | instskip(NEXT) | instid1(VALU_DEP_4)
	v_cvt_f16_f32_e64 v3, v137
	v_cvt_f16_f32_e64 v4, v138
	;; [unrolled: 1-line block ×6, first 2 shown]
	v_pack_b32_f16 v1, v1, v2
	v_pack_b32_f16 v2, v3, v4
	;; [unrolled: 1-line block ×3, first 2 shown]
	s_delay_alu instid0(VALU_DEP_4)
	v_pack_b32_f16 v4, v7, v8
	ds_store_b128 v129, v[1:4]
	s_waitcnt lgkmcnt(0)
	s_barrier
	buffer_gl0_inv
	ds_load_b128 v[1:4], v131
	ds_load_b128 v[5:8], v131 offset:16
	s_waitcnt lgkmcnt(1)
	v_lshrrev_b32_e32 v9, 16, v1
	s_waitcnt lgkmcnt(0)
	v_lshrrev_b32_e32 v13, 16, v5
	v_lshrrev_b32_e32 v10, 16, v2
	;; [unrolled: 1-line block ×4, first 2 shown]
	v_cndmask_b32_e64 v17, v1, v9, s3
	v_cndmask_b32_e64 v18, v5, v13, s3
	;; [unrolled: 1-line block ×3, first 2 shown]
	v_cmp_eq_u32_e64 s3, 2, v132
	v_cndmask_b32_e64 v20, v5, v13, s5
	v_cndmask_b32_e32 v21, v1, v9, vcc_lo
	v_cndmask_b32_e32 v22, v5, v13, vcc_lo
	v_cndmask_b32_e64 v1, v1, v9, s4
	v_cndmask_b32_e64 v5, v5, v13, s4
	v_cmp_eq_u32_e32 vcc_lo, 2, v134
	v_cmp_eq_u32_e64 s4, 2, v133
	v_cndmask_b32_e64 v9, v17, v2, s6
	v_cndmask_b32_e64 v13, v18, v6, s6
	;; [unrolled: 1-line block ×4, first 2 shown]
	v_cndmask_b32_e32 v19, v21, v2, vcc_lo
	v_cmp_eq_u32_e64 s3, 3, v134
	v_cndmask_b32_e32 v20, v22, v6, vcc_lo
	v_cndmask_b32_e64 v1, v1, v2, s4
	v_cmp_eq_u32_e32 vcc_lo, 3, v133
	v_cmp_eq_u32_e64 s5, 3, v130
	v_cndmask_b32_e64 v2, v5, v6, s4
	v_cmp_eq_u32_e64 s4, 3, v132
	v_cmp_eq_u32_e64 s6, 4, v130
	v_cndmask_b32_e32 v1, v1, v10, vcc_lo
	v_cndmask_b32_e64 v5, v9, v10, s5
	v_cndmask_b32_e64 v6, v13, v14, s5
	;; [unrolled: 1-line block ×3, first 2 shown]
	v_cmp_eq_u32_e64 s5, 4, v132
	v_cndmask_b32_e64 v13, v18, v14, s4
	v_cndmask_b32_e64 v17, v19, v10, s3
	v_cndmask_b32_e64 v18, v20, v14, s3
	v_cndmask_b32_e32 v2, v2, v14, vcc_lo
	v_cmp_eq_u32_e32 vcc_lo, 4, v134
	v_cmp_eq_u32_e64 s4, 4, v133
	v_lshrrev_b32_e32 v15, 16, v7
	v_cndmask_b32_e64 v5, v5, v3, s6
	v_cndmask_b32_e64 v6, v6, v7, s6
	;; [unrolled: 1-line block ×4, first 2 shown]
	v_cndmask_b32_e32 v13, v17, v3, vcc_lo
	v_cmp_eq_u32_e64 s3, 5, v134
	v_cndmask_b32_e32 v14, v18, v7, vcc_lo
	v_cndmask_b32_e64 v1, v1, v3, s4
	v_cmp_eq_u32_e32 vcc_lo, 5, v133
	v_cmp_eq_u32_e64 s5, 5, v130
	v_cndmask_b32_e64 v2, v2, v7, s4
	v_cmp_eq_u32_e64 s4, 5, v132
	v_cmp_eq_u32_e64 s6, 6, v130
	v_lshrrev_b32_e32 v12, 16, v4
	v_cndmask_b32_e64 v3, v5, v11, s5
	v_cndmask_b32_e64 v5, v6, v15, s5
	;; [unrolled: 1-line block ×3, first 2 shown]
	v_cmp_eq_u32_e64 s5, 6, v132
	v_cndmask_b32_e64 v7, v10, v15, s4
	v_cndmask_b32_e64 v9, v13, v11, s3
	;; [unrolled: 1-line block ×3, first 2 shown]
	v_cndmask_b32_e32 v1, v1, v11, vcc_lo
	v_cndmask_b32_e32 v2, v2, v15, vcc_lo
	v_cmp_eq_u32_e32 vcc_lo, 6, v134
	v_cmp_eq_u32_e64 s3, 6, v133
	v_lshrrev_b32_e32 v16, 16, v8
	v_cndmask_b32_e64 v3, v3, v4, s6
	v_cndmask_b32_e64 v5, v5, v8, s6
	v_cndmask_b32_e32 v9, v9, v4, vcc_lo
	v_cndmask_b32_e64 v6, v6, v4, s5
	v_cndmask_b32_e64 v7, v7, v8, s5
	v_cmp_eq_u32_e64 s4, 7, v134
	v_cndmask_b32_e32 v10, v10, v8, vcc_lo
	v_cndmask_b32_e64 v1, v1, v4, s3
	v_cmp_eq_u32_e32 vcc_lo, 7, v133
	v_cndmask_b32_e64 v2, v2, v8, s3
	v_cmp_eq_u32_e64 s3, 7, v130
	v_cmp_eq_u32_e64 s5, 7, v132
	v_cndmask_b32_e32 v1, v1, v12, vcc_lo
	s_delay_alu instid0(VALU_DEP_4) | instskip(NEXT) | instid1(VALU_DEP_4)
	v_cndmask_b32_e32 v2, v2, v16, vcc_lo
	v_cndmask_b32_e64 v8, v3, v12, s3
	s_delay_alu instid0(VALU_DEP_4)
	v_cndmask_b32_e64 v6, v6, v12, s5
	v_cndmask_b32_e64 v3, v9, v12, s4
	;; [unrolled: 1-line block ×5, first 2 shown]
	v_cmp_gt_u32_e32 vcc_lo, 32, v0
	v_perm_b32 v4, v2, v1, 0x5040100
	v_perm_b32 v3, v9, v3, 0x5040100
	;; [unrolled: 1-line block ×4, first 2 shown]
	s_and_b32 s2, vcc_lo, s2
	ds_store_b128 v129, v[1:4]
	s_waitcnt lgkmcnt(0)
	s_barrier
	buffer_gl0_inv
	s_and_saveexec_b32 s3, s2
	s_cbranch_execz .LBB17_2
; %bb.15:
	s_load_b64 s[0:1], s[0:1], 0x68
	v_lshlrev_b32_e32 v0, 10, v0
	s_lshl_b32 s4, s35, 6
	v_or_b32_e32 v23, s31, v146
	s_mul_i32 s2, s4, s34
	v_lshlrev_b32_e32 v1, 4, v147
	v_lshlrev_b32_e32 v2, 6, v146
	s_mul_i32 s2, s2, s7
	v_and_b32_e32 v0, 0x3800, v0
	v_mul_lo_u32 v8, v23, s4
	s_ashr_i32 s3, s2, 31
	v_or_b32_e32 v3, 2, v23
	s_lshl_b64 s[2:3], s[2:3], 1
	v_or3_b32 v27, v0, v1, v2
	v_or_b32_e32 v11, 4, v23
	v_or_b32_e32 v18, 6, v23
	v_mul_lo_u32 v10, v3, s4
	v_ashrrev_i32_e32 v9, 31, v8
	ds_load_b128 v[0:3], v27
	ds_load_b128 v[4:7], v27 offset:128
	v_mul_lo_u32 v12, v11, s4
	s_waitcnt lgkmcnt(0)
	s_add_u32 s2, s0, s2
	s_addc_u32 s3, s1, s3
	s_lshl_b32 s0, s14, 6
	v_lshlrev_b64 v[8:9], 1, v[8:9]
	s_ashr_i32 s1, s0, 31
	v_ashrrev_i32_e32 v11, 31, v10
	s_lshl_b64 s[0:1], s[0:1], 1
	v_ashrrev_i32_e32 v13, 31, v12
	s_add_u32 s0, s2, s0
	s_addc_u32 s1, s3, s1
	v_add_co_u32 v30, s0, s0, v145
	s_delay_alu instid0(VALU_DEP_1) | instskip(SKIP_1) | instid1(VALU_DEP_3)
	v_add_co_ci_u32_e64 v31, null, s1, 0, s0
	v_lshlrev_b64 v[16:17], 1, v[10:11]
	v_add_co_u32 v14, vcc_lo, v30, v8
	s_delay_alu instid0(VALU_DEP_3)
	v_add_co_ci_u32_e32 v15, vcc_lo, v31, v9, vcc_lo
	ds_load_b128 v[8:11], v27 offset:256
	v_mul_lo_u32 v18, v18, s4
	v_or_b32_e32 v19, 8, v23
	v_add_co_u32 v16, vcc_lo, v30, v16
	global_store_b128 v[14:15], v[0:3], off
	v_lshlrev_b64 v[0:1], 1, v[12:13]
	v_add_co_ci_u32_e32 v17, vcc_lo, v31, v17, vcc_lo
	v_mul_lo_u32 v12, v19, s4
	v_ashrrev_i32_e32 v19, 31, v18
	v_or_b32_e32 v14, 10, v23
	global_store_b128 v[16:17], v[4:7], off
	v_add_co_u32 v4, vcc_lo, v30, v0
	v_add_co_ci_u32_e32 v5, vcc_lo, v31, v1, vcc_lo
	ds_load_b128 v[0:3], v27 offset:384
	v_ashrrev_i32_e32 v13, 31, v12
	v_lshlrev_b64 v[6:7], 1, v[18:19]
	v_mul_lo_u32 v14, v14, s4
	s_waitcnt lgkmcnt(1)
	global_store_b128 v[4:5], v[8:11], off
	v_or_b32_e32 v8, 12, v23
	v_lshlrev_b64 v[4:5], 1, v[12:13]
	v_add_co_u32 v20, vcc_lo, v30, v6
	v_or_b32_e32 v6, 14, v23
	v_ashrrev_i32_e32 v15, 31, v14
	v_mul_lo_u32 v22, v8, s4
	v_add_co_ci_u32_e32 v21, vcc_lo, v31, v7, vcc_lo
	v_add_co_u32 v24, vcc_lo, v30, v4
	v_mul_lo_u32 v26, v6, s4
	v_add_co_ci_u32_e32 v25, vcc_lo, v31, v5, vcc_lo
	v_lshlrev_b64 v[28:29], 1, v[14:15]
	ds_load_b128 v[4:7], v27 offset:512
	ds_load_b128 v[8:11], v27 offset:640
	;; [unrolled: 1-line block ×4, first 2 shown]
	v_ashrrev_i32_e32 v23, 31, v22
	v_ashrrev_i32_e32 v27, 31, v26
	v_add_co_u32 v28, vcc_lo, v30, v28
	s_delay_alu instid0(VALU_DEP_3) | instskip(SKIP_1) | instid1(VALU_DEP_4)
	v_lshlrev_b64 v[22:23], 1, v[22:23]
	v_add_co_ci_u32_e32 v29, vcc_lo, v31, v29, vcc_lo
	v_lshlrev_b64 v[26:27], 1, v[26:27]
	s_delay_alu instid0(VALU_DEP_3) | instskip(NEXT) | instid1(VALU_DEP_4)
	v_add_co_u32 v22, vcc_lo, v30, v22
	v_add_co_ci_u32_e32 v23, vcc_lo, v31, v23, vcc_lo
	s_delay_alu instid0(VALU_DEP_3) | instskip(NEXT) | instid1(VALU_DEP_4)
	v_add_co_u32 v26, vcc_lo, v30, v26
	v_add_co_ci_u32_e32 v27, vcc_lo, v31, v27, vcc_lo
	s_waitcnt lgkmcnt(4)
	global_store_b128 v[20:21], v[0:3], off
	s_waitcnt lgkmcnt(3)
	global_store_b128 v[24:25], v[4:7], off
	;; [unrolled: 2-line block ×5, first 2 shown]
	s_nop 0
	s_sendmsg sendmsg(MSG_DEALLOC_VGPRS)
	s_endpgm
	.section	.rodata,"a",@progbits
	.p2align	6, 0x0
	.amdhsa_kernel _Z39paged_attention_ll4mi_QKV_mfma16_kernelIDF16_DF16_LN4vllm18Fp8KVCacheDataTypeE0EhLi16ELi64ELi256ELb1ELi16EL8MFMAType0EEvPKT_PKT0_S8_ifPKiSA_SA_iPKfiiiPfSD_PS3_PT2_iSC_SC_
		.amdhsa_group_segment_fixed_size 17472
		.amdhsa_private_segment_fixed_size 0
		.amdhsa_kernarg_size 400
		.amdhsa_user_sgpr_count 13
		.amdhsa_user_sgpr_dispatch_ptr 0
		.amdhsa_user_sgpr_queue_ptr 0
		.amdhsa_user_sgpr_kernarg_segment_ptr 1
		.amdhsa_user_sgpr_dispatch_id 0
		.amdhsa_user_sgpr_private_segment_size 0
		.amdhsa_wavefront_size32 1
		.amdhsa_uses_dynamic_stack 0
		.amdhsa_enable_private_segment 0
		.amdhsa_system_sgpr_workgroup_id_x 1
		.amdhsa_system_sgpr_workgroup_id_y 1
		.amdhsa_system_sgpr_workgroup_id_z 1
		.amdhsa_system_sgpr_workgroup_info 0
		.amdhsa_system_vgpr_workitem_id 0
		.amdhsa_next_free_vgpr 198
		.amdhsa_next_free_sgpr 52
		.amdhsa_reserve_vcc 1
		.amdhsa_float_round_mode_32 0
		.amdhsa_float_round_mode_16_64 0
		.amdhsa_float_denorm_mode_32 3
		.amdhsa_float_denorm_mode_16_64 3
		.amdhsa_dx10_clamp 1
		.amdhsa_ieee_mode 1
		.amdhsa_fp16_overflow 0
		.amdhsa_workgroup_processor_mode 1
		.amdhsa_memory_ordered 1
		.amdhsa_forward_progress 0
		.amdhsa_shared_vgpr_count 0
		.amdhsa_exception_fp_ieee_invalid_op 0
		.amdhsa_exception_fp_denorm_src 0
		.amdhsa_exception_fp_ieee_div_zero 0
		.amdhsa_exception_fp_ieee_overflow 0
		.amdhsa_exception_fp_ieee_underflow 0
		.amdhsa_exception_fp_ieee_inexact 0
		.amdhsa_exception_int_div_zero 0
	.end_amdhsa_kernel
	.section	.text._Z39paged_attention_ll4mi_QKV_mfma16_kernelIDF16_DF16_LN4vllm18Fp8KVCacheDataTypeE0EhLi16ELi64ELi256ELb1ELi16EL8MFMAType0EEvPKT_PKT0_S8_ifPKiSA_SA_iPKfiiiPfSD_PS3_PT2_iSC_SC_,"axG",@progbits,_Z39paged_attention_ll4mi_QKV_mfma16_kernelIDF16_DF16_LN4vllm18Fp8KVCacheDataTypeE0EhLi16ELi64ELi256ELb1ELi16EL8MFMAType0EEvPKT_PKT0_S8_ifPKiSA_SA_iPKfiiiPfSD_PS3_PT2_iSC_SC_,comdat
.Lfunc_end17:
	.size	_Z39paged_attention_ll4mi_QKV_mfma16_kernelIDF16_DF16_LN4vllm18Fp8KVCacheDataTypeE0EhLi16ELi64ELi256ELb1ELi16EL8MFMAType0EEvPKT_PKT0_S8_ifPKiSA_SA_iPKfiiiPfSD_PS3_PT2_iSC_SC_, .Lfunc_end17-_Z39paged_attention_ll4mi_QKV_mfma16_kernelIDF16_DF16_LN4vllm18Fp8KVCacheDataTypeE0EhLi16ELi64ELi256ELb1ELi16EL8MFMAType0EEvPKT_PKT0_S8_ifPKiSA_SA_iPKfiiiPfSD_PS3_PT2_iSC_SC_
                                        ; -- End function
	.section	.AMDGPU.csdata,"",@progbits
; Kernel info:
; codeLenInByte = 8016
; NumSgprs: 54
; NumVgprs: 198
; ScratchSize: 0
; MemoryBound: 0
; FloatMode: 240
; IeeeMode: 1
; LDSByteSize: 17472 bytes/workgroup (compile time only)
; SGPRBlocks: 6
; VGPRBlocks: 24
; NumSGPRsForWavesPerEU: 54
; NumVGPRsForWavesPerEU: 198
; Occupancy: 7
; WaveLimiterHint : 1
; COMPUTE_PGM_RSRC2:SCRATCH_EN: 0
; COMPUTE_PGM_RSRC2:USER_SGPR: 13
; COMPUTE_PGM_RSRC2:TRAP_HANDLER: 0
; COMPUTE_PGM_RSRC2:TGID_X_EN: 1
; COMPUTE_PGM_RSRC2:TGID_Y_EN: 1
; COMPUTE_PGM_RSRC2:TGID_Z_EN: 1
; COMPUTE_PGM_RSRC2:TIDIG_COMP_CNT: 0
	.section	.text._Z35paged_attention_ll4mi_reduce_kernelIDF16_hLi64ELi64ELi256ELi1EEvPT0_PKfS3_PKT_PKiS8_iS3_,"axG",@progbits,_Z35paged_attention_ll4mi_reduce_kernelIDF16_hLi64ELi64ELi256ELi1EEvPT0_PKfS3_PKT_PKiS8_iS3_,comdat
	.protected	_Z35paged_attention_ll4mi_reduce_kernelIDF16_hLi64ELi64ELi256ELi1EEvPT0_PKfS3_PKT_PKiS8_iS3_ ; -- Begin function _Z35paged_attention_ll4mi_reduce_kernelIDF16_hLi64ELi64ELi256ELi1EEvPT0_PKfS3_PKT_PKiS8_iS3_
	.globl	_Z35paged_attention_ll4mi_reduce_kernelIDF16_hLi64ELi64ELi256ELi1EEvPT0_PKfS3_PKT_PKiS8_iS3_
	.p2align	8
	.type	_Z35paged_attention_ll4mi_reduce_kernelIDF16_hLi64ELi64ELi256ELi1EEvPT0_PKfS3_PKT_PKiS8_iS3_,@function
_Z35paged_attention_ll4mi_reduce_kernelIDF16_hLi64ELi64ELi256ELi1EEvPT0_PKfS3_PKT_PKiS8_iS3_: ; @_Z35paged_attention_ll4mi_reduce_kernelIDF16_hLi64ELi64ELi256ELi1EEvPT0_PKfS3_PKT_PKiS8_iS3_
; %bb.0:
	s_load_b64 s[16:17], s[0:1], 0x28
	s_mov_b32 s12, s15
	s_waitcnt lgkmcnt(0)
	s_cmp_lg_u64 s[16:17], 0
	s_cselect_b32 s15, -1, 0
	s_delay_alu instid0(SALU_CYCLE_1)
	s_and_b32 vcc_lo, exec_lo, s15
	s_cbranch_vccz .LBB18_16
; %bb.1:
	s_add_i32 s2, s12, 1
	s_mov_b32 s3, 0
	s_delay_alu instid0(SALU_CYCLE_1) | instskip(SKIP_4) | instid1(SALU_CYCLE_1)
	s_lshl_b64 s[4:5], s[2:3], 2
	s_mov_b32 s13, s3
	s_add_u32 s4, s16, s4
	s_addc_u32 s5, s17, s5
	s_lshl_b64 s[6:7], s[12:13], 2
	s_add_u32 s6, s16, s6
	s_addc_u32 s7, s17, s7
	s_clause 0x1
	s_load_b32 s2, s[4:5], 0x0
	s_load_b32 s4, s[6:7], 0x0
	s_waitcnt lgkmcnt(0)
	s_sub_i32 s2, s2, s4
	s_delay_alu instid0(SALU_CYCLE_1)
	s_cmp_eq_u32 s2, 1
	s_cselect_b32 s2, -1, 0
	s_cbranch_execnz .LBB18_3
.LBB18_2:
	s_mov_b32 s13, 0
	s_mov_b32 s2, -1
.LBB18_3:
	s_delay_alu instid0(SALU_CYCLE_1)
	s_and_not1_b32 vcc_lo, exec_lo, s2
	s_cbranch_vccz .LBB18_5
; %bb.4:
	s_endpgm
.LBB18_5:
	s_clause 0x1
	s_load_b128 s[4:7], s[0:1], 0x18
	s_load_b32 s8, s[0:1], 0x30
	s_lshl_b64 s[18:19], s[12:13], 2
	s_waitcnt lgkmcnt(0)
	s_add_u32 s2, s6, s18
	s_addc_u32 s3, s7, s19
	s_mov_b32 s7, exec_lo
	s_load_b32 s23, s[2:3], 0x0
	s_load_b32 s22, s[0:1], 0x40
	s_waitcnt lgkmcnt(0)
	s_add_i32 s3, s23, 0xff
	s_delay_alu instid0(SALU_CYCLE_1) | instskip(NEXT) | instid1(SALU_CYCLE_1)
	s_ashr_i32 s2, s3, 31
	s_lshr_b32 s6, s2, 24
	s_mul_i32 s2, s12, s8
	s_add_i32 s3, s3, s6
	s_mul_i32 s6, s14, s8
	v_cmpx_lt_u32_e32 31, v0
	s_xor_b32 s7, exec_lo, s7
	s_delay_alu instid0(SALU_CYCLE_1)
	s_or_saveexec_b32 s24, s7
	v_mov_b32_e32 v1, s6
	s_ashr_i32 s3, s3, 8
	s_mul_i32 s20, s2, s22
	s_xor_b32 exec_lo, exec_lo, s24
	s_cbranch_execz .LBB18_9
; %bb.6:
	s_load_b128 s[8:11], s[0:1], 0x8
	s_mov_b32 s21, 0
	v_cmp_gt_i32_e32 vcc_lo, s3, v0
	s_lshl_b64 s[26:27], s[20:21], 2
	s_mov_b32 s7, s21
	s_waitcnt lgkmcnt(0)
	s_add_u32 s2, s10, s26
	s_addc_u32 s21, s11, s27
	s_lshl_b64 s[10:11], s[6:7], 2
	s_delay_alu instid0(SALU_CYCLE_1) | instskip(SKIP_2) | instid1(SALU_CYCLE_1)
	s_add_u32 s2, s2, s10
	s_addc_u32 s7, s21, s11
	s_add_i32 s21, s3, -1
	v_cndmask_b32_e32 v1, s21, v0, vcc_lo
	s_delay_alu instid0(VALU_DEP_1) | instskip(NEXT) | instid1(VALU_DEP_1)
	v_ashrrev_i32_e32 v2, 31, v1
	v_lshlrev_b64 v[1:2], 2, v[1:2]
	s_delay_alu instid0(VALU_DEP_1) | instskip(NEXT) | instid1(VALU_DEP_1)
	v_add_co_u32 v3, s2, s2, v1
	v_add_co_ci_u32_e64 v4, s2, s7, v2, s2
	s_add_u32 s2, s8, s26
	s_addc_u32 s7, s9, s27
	s_add_u32 s2, s2, s10
	global_load_b32 v3, v[3:4], off
	s_addc_u32 s7, s7, s11
	v_add_co_u32 v1, s2, s2, v1
	s_delay_alu instid0(VALU_DEP_1) | instskip(SKIP_2) | instid1(VALU_DEP_1)
	v_add_co_ci_u32_e64 v2, s2, s7, v2, s2
	global_load_b32 v1, v[1:2], off
	v_mbcnt_lo_u32_b32 v2, -1, 0
	v_xor_b32_e32 v4, 16, v2
	v_xor_b32_e32 v6, 8, v2
	;; [unrolled: 1-line block ×5, first 2 shown]
	v_cmp_gt_i32_e64 s2, 32, v4
	s_delay_alu instid0(VALU_DEP_1) | instskip(SKIP_1) | instid1(VALU_DEP_2)
	v_cndmask_b32_e64 v4, v2, v4, s2
	v_cmp_gt_i32_e64 s2, 32, v6
	v_lshlrev_b32_e32 v4, 2, v4
	s_delay_alu instid0(VALU_DEP_2) | instskip(SKIP_1) | instid1(VALU_DEP_2)
	v_cndmask_b32_e64 v6, v2, v6, s2
	v_cmp_gt_i32_e64 s2, 32, v8
	v_lshlrev_b32_e32 v6, 2, v6
	s_delay_alu instid0(VALU_DEP_2) | instskip(SKIP_1) | instid1(VALU_DEP_2)
	;; [unrolled: 4-line block ×3, first 2 shown]
	v_cndmask_b32_e64 v9, v2, v9, s2
	v_cmp_gt_i32_e64 s2, 32, v10
	v_lshlrev_b32_e32 v9, 2, v9
	s_delay_alu instid0(VALU_DEP_2) | instskip(SKIP_1) | instid1(VALU_DEP_1)
	v_cndmask_b32_e64 v2, v2, v10, s2
	s_waitcnt vmcnt(1)
	v_dual_max_f32 v7, v3, v3 :: v_dual_lshlrev_b32 v2, 2, v2
	ds_bpermute_b32 v5, v4, v3
	s_waitcnt lgkmcnt(0)
	v_max_f32_e32 v5, v5, v5
	s_delay_alu instid0(VALU_DEP_1) | instskip(SKIP_3) | instid1(VALU_DEP_1)
	v_max_f32_e32 v5, v7, v5
	ds_bpermute_b32 v7, v6, v5
	s_waitcnt lgkmcnt(0)
	v_max_f32_e32 v7, v7, v7
	v_max_f32_e32 v5, v5, v7
	ds_bpermute_b32 v7, v8, v5
	s_waitcnt lgkmcnt(0)
	v_max_f32_e32 v7, v7, v7
	s_delay_alu instid0(VALU_DEP_1) | instskip(SKIP_3) | instid1(VALU_DEP_1)
	v_max_f32_e32 v5, v5, v7
	ds_bpermute_b32 v7, v9, v5
	s_waitcnt lgkmcnt(0)
	v_max_f32_e32 v7, v7, v7
	v_max_f32_e32 v5, v5, v7
	ds_bpermute_b32 v7, v2, v5
	s_waitcnt lgkmcnt(0)
	v_max_f32_e32 v7, v7, v7
	s_delay_alu instid0(VALU_DEP_1) | instskip(NEXT) | instid1(VALU_DEP_1)
	v_max_f32_e32 v5, v5, v7
	v_sub_f32_e32 v3, v3, v5
	s_delay_alu instid0(VALU_DEP_1) | instskip(SKIP_1) | instid1(VALU_DEP_2)
	v_mul_f32_e32 v5, 0x3fb8aa3b, v3
	v_cmp_ngt_f32_e64 s2, 0xc2ce8ed0, v3
	v_fma_f32 v7, 0x3fb8aa3b, v3, -v5
	v_rndne_f32_e32 v10, v5
	s_delay_alu instid0(VALU_DEP_2) | instskip(NEXT) | instid1(VALU_DEP_2)
	v_fmamk_f32 v7, v3, 0x32a5705f, v7
	v_sub_f32_e32 v5, v5, v10
	s_delay_alu instid0(VALU_DEP_1) | instskip(SKIP_1) | instid1(VALU_DEP_2)
	v_add_f32_e32 v5, v5, v7
	v_cvt_i32_f32_e32 v7, v10
	v_exp_f32_e32 v5, v5
	s_waitcnt_depctr 0xfff
	v_ldexp_f32 v5, v5, v7
	s_delay_alu instid0(VALU_DEP_1) | instskip(SKIP_1) | instid1(VALU_DEP_1)
	v_cndmask_b32_e64 v5, 0, v5, s2
	v_cmp_nlt_f32_e64 s2, 0x42b17218, v3
	v_cndmask_b32_e64 v3, 0x7f800000, v5, s2
	s_mov_b32 s2, exec_lo
	s_delay_alu instid0(VALU_DEP_1) | instskip(SKIP_1) | instid1(VALU_DEP_1)
	v_cndmask_b32_e32 v3, 0, v3, vcc_lo
	s_waitcnt vmcnt(0)
	v_mul_f32_e32 v3, v3, v1
	ds_bpermute_b32 v1, v4, v3
	s_waitcnt lgkmcnt(0)
	v_add_f32_e32 v1, v3, v1
	ds_bpermute_b32 v4, v6, v1
	s_waitcnt lgkmcnt(0)
	v_add_f32_e32 v1, v1, v4
	;; [unrolled: 3-line block ×4, first 2 shown]
	v_lshlrev_b32_e32 v4, 2, v0
	ds_bpermute_b32 v2, v2, v1
	ds_store_b32 v4, v3
	v_cmpx_eq_u32_e32 0, v0
	s_cbranch_execz .LBB18_8
; %bb.7:
	s_waitcnt lgkmcnt(1)
	v_dual_add_f32 v1, v1, v2 :: v_dual_mov_b32 v2, 0
	ds_store_b32 v2, v1 offset:128
.LBB18_8:
	s_or_b32 exec_lo, exec_lo, s2
	v_mov_b32_e32 v1, s6
.LBB18_9:
	s_or_b32 exec_lo, exec_lo, s24
	s_lshl_b32 s6, s20, 6
	s_mov_b32 s7, 0
	s_waitcnt lgkmcnt(1)
	v_dual_mov_b32 v2, 0 :: v_dual_lshlrev_b32 v1, 6, v1
	s_lshl_b64 s[6:7], s[6:7], 1
	v_dual_mov_b32 v31, 0 :: v_dual_mov_b32 v32, 0
	s_add_u32 s9, s4, s6
	s_addc_u32 s33, s5, s7
	s_lshl_b32 s2, s3, 6
	v_lshlrev_b64 v[3:4], 1, v[1:2]
	s_sub_i32 s8, s2, 64
	s_cmp_lt_i32 s23, 1
	v_lshlrev_b32_e32 v1, 1, v0
	s_cselect_b32 s2, s8, 0
	v_dual_mov_b32 v33, 0 :: v_dual_mov_b32 v34, 0
	s_ashr_i32 s3, s2, 31
	v_add_co_u32 v3, vcc_lo, s9, v3
	s_lshl_b64 s[2:3], s[2:3], 1
	s_cmpk_lt_i32 s23, 0x101
	v_add_co_ci_u32_e32 v4, vcc_lo, s33, v4, vcc_lo
	s_cselect_b32 s4, s8, 64
	v_add_co_u32 v3, vcc_lo, v3, v1
	s_ashr_i32 s5, s4, 31
	s_delay_alu instid0(VALU_DEP_2)
	v_add_co_ci_u32_e32 v4, vcc_lo, 0, v4, vcc_lo
	s_lshl_b64 s[4:5], s[4:5], 1
	s_cmpk_lt_i32 s23, 0x201
	v_add_co_u32 v5, vcc_lo, v3, s2
	s_cselect_b32 s6, s8, 0x80
	v_add_co_ci_u32_e32 v6, vcc_lo, s3, v4, vcc_lo
	s_ashr_i32 s7, s6, 31
	v_add_co_u32 v8, vcc_lo, v3, s4
	s_lshl_b64 s[6:7], s[6:7], 1
	s_cmpk_lt_i32 s23, 0x301
	v_add_co_ci_u32_e32 v9, vcc_lo, s5, v4, vcc_lo
	s_cselect_b32 s10, s8, 0xc0
	v_add_co_u32 v10, vcc_lo, v3, s6
	s_ashr_i32 s11, s10, 31
	v_add_co_ci_u32_e32 v11, vcc_lo, s7, v4, vcc_lo
	s_lshl_b64 s[10:11], s[10:11], 1
	s_cmpk_lt_i32 s23, 0x401
	v_add_co_u32 v12, vcc_lo, v3, s10
	s_cselect_b32 s20, s8, 0x100
	v_add_co_ci_u32_e32 v13, vcc_lo, s11, v4, vcc_lo
	s_ashr_i32 s21, s20, 31
	v_mov_b32_e32 v35, 0
	s_lshl_b64 s[20:21], s[20:21], 1
	s_cmpk_lt_i32 s23, 0x501
	v_add_co_u32 v14, vcc_lo, v3, s20
	s_cselect_b32 s24, s8, 0x140
	v_add_co_ci_u32_e32 v15, vcc_lo, s21, v4, vcc_lo
	s_ashr_i32 s25, s24, 31
	v_mov_b32_e32 v30, 0
	s_lshl_b64 s[24:25], s[24:25], 1
	s_cmpk_lt_i32 s23, 0x601
	v_add_co_u32 v16, vcc_lo, v3, s24
	s_cselect_b32 s26, s8, 0x180
	v_add_co_ci_u32_e32 v17, vcc_lo, s25, v4, vcc_lo
	s_ashr_i32 s27, s26, 31
	s_delay_alu instid0(SALU_CYCLE_1)
	s_lshl_b64 s[26:27], s[26:27], 1
	s_cmpk_lt_i32 s23, 0x701
	v_add_co_u32 v18, vcc_lo, v3, s26
	s_cselect_b32 s28, s8, 0x1c0
	v_add_co_ci_u32_e32 v19, vcc_lo, s27, v4, vcc_lo
	s_ashr_i32 s29, s28, 31
	s_delay_alu instid0(SALU_CYCLE_1)
	s_lshl_b64 s[28:29], s[28:29], 1
	s_cmpk_lt_i32 s23, 0x801
	v_add_co_u32 v20, vcc_lo, v3, s28
	s_cselect_b32 s30, s8, 0x200
	v_add_co_ci_u32_e32 v21, vcc_lo, s29, v4, vcc_lo
	s_ashr_i32 s31, s30, 31
	s_clause 0x7
	global_load_u16 v7, v[5:6], off
	global_load_u16 v8, v[8:9], off
	;; [unrolled: 1-line block ×8, first 2 shown]
	s_lshl_b64 s[30:31], s[30:31], 1
	s_cmpk_lt_i32 s23, 0x901
	v_add_co_u32 v12, vcc_lo, v3, s30
	s_cselect_b32 s34, s8, 0x240
	v_add_co_ci_u32_e32 v13, vcc_lo, s31, v4, vcc_lo
	s_ashr_i32 s35, s34, 31
	s_delay_alu instid0(SALU_CYCLE_1)
	s_lshl_b64 s[34:35], s[34:35], 1
	s_cmpk_lt_i32 s23, 0xa01
	v_add_co_u32 v14, vcc_lo, v3, s34
	s_cselect_b32 s36, s8, 0x280
	v_add_co_ci_u32_e32 v15, vcc_lo, s35, v4, vcc_lo
	s_ashr_i32 s37, s36, 31
	s_delay_alu instid0(SALU_CYCLE_1)
	;; [unrolled: 7-line block ×7, first 2 shown]
	s_lshl_b64 s[2:3], s[4:5], 1
	s_cmpk_gt_i32 s23, 0x1000
	v_add_co_u32 v28, vcc_lo, v3, s2
	v_add_co_ci_u32_e32 v29, vcc_lo, s3, v4, vcc_lo
	s_clause 0x7
	global_load_u16 v16, v[12:13], off
	global_load_u16 v17, v[14:15], off
	global_load_u16 v18, v[18:19], off
	global_load_u16 v19, v[20:21], off
	global_load_u16 v14, v[22:23], off
	global_load_u16 v15, v[24:25], off
	global_load_u16 v12, v[26:27], off
	global_load_u16 v13, v[28:29], off
	v_dual_mov_b32 v20, 0 :: v_dual_mov_b32 v21, 0
	v_dual_mov_b32 v22, 0 :: v_dual_mov_b32 v23, 0
	;; [unrolled: 1-line block ×5, first 2 shown]
	s_cselect_b32 s4, -1, 0
	s_cmpk_lt_i32 s23, 0x1001
	s_waitcnt vmcnt(0) lgkmcnt(0)
	s_barrier
	buffer_gl0_inv
	s_cbranch_scc1 .LBB18_11
; %bb.10:
	s_cmpk_lt_u32 s23, 0x1101
	s_cselect_b32 s2, s8, 0x440
	s_delay_alu instid0(SALU_CYCLE_1) | instskip(NEXT) | instid1(SALU_CYCLE_1)
	s_ashr_i32 s3, s2, 31
	s_lshl_b64 s[2:3], s[2:3], 1
	s_cmpk_lt_u32 s23, 0x1201
	v_add_co_u32 v20, vcc_lo, v3, s2
	s_cselect_b32 s6, s8, 0x480
	v_add_co_ci_u32_e32 v21, vcc_lo, s3, v4, vcc_lo
	s_ashr_i32 s7, s6, 31
	s_delay_alu instid0(SALU_CYCLE_1)
	s_lshl_b64 s[6:7], s[6:7], 1
	s_cmpk_lt_u32 s23, 0x1301
	v_add_co_u32 v22, vcc_lo, v3, s6
	s_cselect_b32 s10, s8, 0x4c0
	v_add_co_ci_u32_e32 v23, vcc_lo, s7, v4, vcc_lo
	s_ashr_i32 s11, s10, 31
	s_delay_alu instid0(SALU_CYCLE_1)
	;; [unrolled: 7-line block ×6, first 2 shown]
	s_lshl_b64 s[28:29], s[28:29], 1
	s_cmpk_lt_u32 s23, 0x1801
	v_add_co_u32 v32, vcc_lo, v3, s28
	s_cselect_b32 s30, s8, 0x600
	v_add_co_ci_u32_e32 v33, vcc_lo, s29, v4, vcc_lo
	s_ashr_i32 s31, s30, 31
	s_clause 0x7
	global_load_u16 v34, v[3:4], off offset:2048
	global_load_u16 v36, v[20:21], off
	global_load_u16 v37, v[22:23], off
	;; [unrolled: 1-line block ×7, first 2 shown]
	s_lshl_b64 s[30:31], s[30:31], 1
	s_cmpk_lt_u32 s23, 0x1901
	v_add_co_u32 v20, vcc_lo, v3, s30
	s_cselect_b32 s34, s8, 0x640
	v_add_co_ci_u32_e32 v21, vcc_lo, s31, v4, vcc_lo
	s_ashr_i32 s35, s34, 31
	s_delay_alu instid0(SALU_CYCLE_1)
	s_lshl_b64 s[34:35], s[34:35], 1
	s_cmpk_lt_u32 s23, 0x1a01
	v_add_co_u32 v22, vcc_lo, v3, s34
	s_cselect_b32 s36, s8, 0x680
	v_add_co_ci_u32_e32 v23, vcc_lo, s35, v4, vcc_lo
	s_ashr_i32 s37, s36, 31
	s_delay_alu instid0(SALU_CYCLE_1)
	s_lshl_b64 s[36:37], s[36:37], 1
	s_cmpk_lt_u32 s23, 0x1b01
	v_add_co_u32 v24, vcc_lo, v3, s36
	s_cselect_b32 s2, s8, 0x6c0
	v_add_co_ci_u32_e32 v25, vcc_lo, s37, v4, vcc_lo
	s_ashr_i32 s3, s2, 31
	s_delay_alu instid0(SALU_CYCLE_1)
	s_lshl_b64 s[2:3], s[2:3], 1
	s_cmpk_lt_u32 s23, 0x1c01
	v_add_co_u32 v26, vcc_lo, v3, s2
	s_cselect_b32 s6, s8, 0x700
	v_add_co_ci_u32_e32 v27, vcc_lo, s3, v4, vcc_lo
	s_ashr_i32 s7, s6, 31
	s_delay_alu instid0(SALU_CYCLE_1)
	s_lshl_b64 s[6:7], s[6:7], 1
	s_cmpk_lt_u32 s23, 0x1d01
	v_add_co_u32 v28, vcc_lo, v3, s6
	s_cselect_b32 s10, s8, 0x740
	v_add_co_ci_u32_e32 v29, vcc_lo, s7, v4, vcc_lo
	s_ashr_i32 s11, s10, 31
	s_delay_alu instid0(SALU_CYCLE_1)
	s_lshl_b64 s[10:11], s[10:11], 1
	s_cmpk_lt_u32 s23, 0x1e01
	v_add_co_u32 v30, vcc_lo, v3, s10
	s_cselect_b32 s20, s8, 0x780
	v_add_co_ci_u32_e32 v31, vcc_lo, s11, v4, vcc_lo
	s_ashr_i32 s21, s20, 31
	s_delay_alu instid0(SALU_CYCLE_1)
	s_lshl_b64 s[2:3], s[20:21], 1
	s_cmpk_lt_u32 s23, 0x1f01
	v_add_co_u32 v32, vcc_lo, v3, s2
	s_cselect_b32 s6, s8, 0x7c0
	v_add_co_ci_u32_e32 v33, vcc_lo, s3, v4, vcc_lo
	s_ashr_i32 s7, s6, 31
	s_delay_alu instid0(SALU_CYCLE_1) | instskip(NEXT) | instid1(SALU_CYCLE_1)
	s_lshl_b64 s[2:3], s[6:7], 1
	v_add_co_u32 v3, vcc_lo, v3, s2
	v_add_co_ci_u32_e32 v4, vcc_lo, s3, v4, vcc_lo
	s_clause 0x7
	global_load_u16 v20, v[20:21], off
	global_load_u16 v21, v[22:23], off
	;; [unrolled: 1-line block ×8, first 2 shown]
	s_waitcnt vmcnt(15)
	v_cvt_f32_f16_e32 v35, v34
	s_waitcnt vmcnt(14)
	v_cvt_f32_f16_e32 v34, v36
	;; [unrolled: 2-line block ×16, first 2 shown]
.LBB18_11:
	ds_load_b128 v[36:39], v2
	ds_load_b128 v[40:43], v2 offset:16
	s_load_b64 s[0:1], s[0:1], 0x0
	s_and_not1_b32 vcc_lo, exec_lo, s4
	s_waitcnt lgkmcnt(0)
	v_fma_mix_f32 v3, v36, v7, 0 op_sel_hi:[0,1,0]
	s_delay_alu instid0(VALU_DEP_1) | instskip(NEXT) | instid1(VALU_DEP_1)
	v_fma_mix_f32 v3, v37, v8, v3 op_sel_hi:[0,1,0]
	v_fma_mix_f32 v3, v38, v9, v3 op_sel_hi:[0,1,0]
	s_delay_alu instid0(VALU_DEP_1) | instskip(SKIP_2) | instid1(VALU_DEP_1)
	v_fma_mix_f32 v3, v39, v10, v3 op_sel_hi:[0,1,0]
	ds_load_b128 v[7:10], v2 offset:32
	v_fma_mix_f32 v3, v40, v11, v3 op_sel_hi:[0,1,0]
	v_fma_mix_f32 v1, v41, v1, v3 op_sel_hi:[0,1,0]
	s_delay_alu instid0(VALU_DEP_1) | instskip(NEXT) | instid1(VALU_DEP_1)
	v_fma_mix_f32 v1, v42, v5, v1 op_sel_hi:[0,1,0]
	v_fma_mix_f32 v1, v43, v6, v1 op_sel_hi:[0,1,0]
	ds_load_b128 v[3:6], v2 offset:48
	s_waitcnt lgkmcnt(1)
	v_fma_mix_f32 v1, v7, v16, v1 op_sel_hi:[0,1,0]
	s_delay_alu instid0(VALU_DEP_1) | instskip(NEXT) | instid1(VALU_DEP_1)
	v_fma_mix_f32 v1, v8, v17, v1 op_sel_hi:[0,1,0]
	v_fma_mix_f32 v1, v9, v18, v1 op_sel_hi:[0,1,0]
	s_delay_alu instid0(VALU_DEP_1) | instskip(SKIP_1) | instid1(VALU_DEP_1)
	v_fma_mix_f32 v1, v10, v19, v1 op_sel_hi:[0,1,0]
	s_waitcnt lgkmcnt(0)
	v_fma_mix_f32 v1, v3, v14, v1 op_sel_hi:[0,1,0]
	s_delay_alu instid0(VALU_DEP_1) | instskip(NEXT) | instid1(VALU_DEP_1)
	v_fma_mix_f32 v1, v4, v15, v1 op_sel_hi:[0,1,0]
	v_fma_mix_f32 v1, v5, v12, v1 op_sel_hi:[0,1,0]
	s_delay_alu instid0(VALU_DEP_1)
	v_fma_mix_f32 v1, v6, v13, v1 op_sel_hi:[0,1,0]
	s_cbranch_vccnz .LBB18_13
; %bb.12:
	ds_load_b128 v[3:6], v2 offset:64
	ds_load_b128 v[7:10], v2 offset:80
	s_waitcnt lgkmcnt(1)
	v_fmac_f32_e32 v1, v3, v35
	s_delay_alu instid0(VALU_DEP_1) | instskip(NEXT) | instid1(VALU_DEP_1)
	v_fmac_f32_e32 v1, v4, v34
	v_fmac_f32_e32 v1, v5, v33
	s_delay_alu instid0(VALU_DEP_1) | instskip(SKIP_3) | instid1(VALU_DEP_1)
	v_fmac_f32_e32 v1, v6, v32
	ds_load_b128 v[3:6], v2 offset:96
	s_waitcnt lgkmcnt(1)
	v_fmac_f32_e32 v1, v7, v31
	v_fmac_f32_e32 v1, v8, v30
	s_delay_alu instid0(VALU_DEP_1) | instskip(NEXT) | instid1(VALU_DEP_1)
	v_fmac_f32_e32 v1, v9, v29
	v_fmac_f32_e32 v1, v10, v28
	ds_load_b128 v[7:10], v2 offset:112
	s_waitcnt lgkmcnt(1)
	v_fmac_f32_e32 v1, v3, v27
	s_delay_alu instid0(VALU_DEP_1) | instskip(NEXT) | instid1(VALU_DEP_1)
	v_fmac_f32_e32 v1, v4, v26
	v_fmac_f32_e32 v1, v5, v25
	s_delay_alu instid0(VALU_DEP_1) | instskip(SKIP_1) | instid1(VALU_DEP_1)
	v_fmac_f32_e32 v1, v6, v24
	s_waitcnt lgkmcnt(0)
	v_fmac_f32_e32 v1, v7, v23
	s_delay_alu instid0(VALU_DEP_1) | instskip(NEXT) | instid1(VALU_DEP_1)
	v_fmac_f32_e32 v1, v8, v22
	v_fmac_f32_e32 v1, v9, v21
	s_delay_alu instid0(VALU_DEP_1)
	v_fmac_f32_e32 v1, v10, v20
.LBB18_13:
	ds_load_b32 v2, v2 offset:128
	s_and_not1_b32 vcc_lo, exec_lo, s15
	s_cbranch_vccnz .LBB18_15
; %bb.14:
	s_add_u32 s2, s16, s18
	s_addc_u32 s3, s17, s19
	s_mov_b32 s13, 0
	s_load_b32 s12, s[2:3], 0x0
.LBB18_15:
	s_waitcnt lgkmcnt(0)
	v_add_f32_e32 v2, 0x358637bd, v2
	s_mul_i32 s3, s22, s13
	s_mul_hi_u32 s4, s22, s12
	s_mul_i32 s2, s22, s12
	s_add_i32 s3, s4, s3
	v_div_scale_f32 v3, null, v2, v2, 1.0
	v_div_scale_f32 v6, vcc_lo, 1.0, v2, 1.0
	s_lshl_b64 s[2:3], s[2:3], 6
	s_delay_alu instid0(VALU_DEP_2) | instskip(SKIP_4) | instid1(SALU_CYCLE_1)
	v_rcp_f32_e32 v4, v3
	s_mov_b32 s15, 0
	s_add_u32 s2, s0, s2
	s_addc_u32 s3, s1, s3
	s_lshl_b64 s[0:1], s[14:15], 6
	s_add_u32 s0, s2, s0
	s_addc_u32 s1, s3, s1
	v_add_co_u32 v0, s0, s0, v0
	s_waitcnt_depctr 0xfff
	v_fma_f32 v5, -v3, v4, 1.0
	s_delay_alu instid0(VALU_DEP_1) | instskip(NEXT) | instid1(VALU_DEP_1)
	v_fmac_f32_e32 v4, v5, v4
	v_mul_f32_e32 v5, v6, v4
	s_delay_alu instid0(VALU_DEP_1) | instskip(NEXT) | instid1(VALU_DEP_1)
	v_fma_f32 v7, -v3, v5, v6
	v_fmac_f32_e32 v5, v7, v4
	s_delay_alu instid0(VALU_DEP_1) | instskip(NEXT) | instid1(VALU_DEP_1)
	v_fma_f32 v3, -v3, v5, v6
	v_div_fmas_f32 v3, v3, v4, v5
	s_delay_alu instid0(VALU_DEP_1) | instskip(NEXT) | instid1(VALU_DEP_1)
	v_div_fixup_f32 v2, v3, v2, 1.0
	v_fma_mixlo_f16 v1, v1, v2, 0
	s_delay_alu instid0(VALU_DEP_1)
	v_cvt_i16_f16_e32 v2, v1
	v_add_co_ci_u32_e64 v1, null, s1, 0, s0
	global_store_b8 v[0:1], v2, off
	s_nop 0
	s_sendmsg sendmsg(MSG_DEALLOC_VGPRS)
	s_endpgm
.LBB18_16:
	s_mov_b32 s2, 0
	s_branch .LBB18_2
	.section	.rodata,"a",@progbits
	.p2align	6, 0x0
	.amdhsa_kernel _Z35paged_attention_ll4mi_reduce_kernelIDF16_hLi64ELi64ELi256ELi1EEvPT0_PKfS3_PKT_PKiS8_iS3_
		.amdhsa_group_segment_fixed_size 132
		.amdhsa_private_segment_fixed_size 0
		.amdhsa_kernarg_size 320
		.amdhsa_user_sgpr_count 14
		.amdhsa_user_sgpr_dispatch_ptr 0
		.amdhsa_user_sgpr_queue_ptr 0
		.amdhsa_user_sgpr_kernarg_segment_ptr 1
		.amdhsa_user_sgpr_dispatch_id 0
		.amdhsa_user_sgpr_private_segment_size 0
		.amdhsa_wavefront_size32 1
		.amdhsa_uses_dynamic_stack 0
		.amdhsa_enable_private_segment 0
		.amdhsa_system_sgpr_workgroup_id_x 1
		.amdhsa_system_sgpr_workgroup_id_y 1
		.amdhsa_system_sgpr_workgroup_id_z 0
		.amdhsa_system_sgpr_workgroup_info 0
		.amdhsa_system_vgpr_workitem_id 0
		.amdhsa_next_free_vgpr 46
		.amdhsa_next_free_sgpr 38
		.amdhsa_reserve_vcc 1
		.amdhsa_float_round_mode_32 0
		.amdhsa_float_round_mode_16_64 0
		.amdhsa_float_denorm_mode_32 3
		.amdhsa_float_denorm_mode_16_64 3
		.amdhsa_dx10_clamp 1
		.amdhsa_ieee_mode 1
		.amdhsa_fp16_overflow 0
		.amdhsa_workgroup_processor_mode 1
		.amdhsa_memory_ordered 1
		.amdhsa_forward_progress 0
		.amdhsa_shared_vgpr_count 0
		.amdhsa_exception_fp_ieee_invalid_op 0
		.amdhsa_exception_fp_denorm_src 0
		.amdhsa_exception_fp_ieee_div_zero 0
		.amdhsa_exception_fp_ieee_overflow 0
		.amdhsa_exception_fp_ieee_underflow 0
		.amdhsa_exception_fp_ieee_inexact 0
		.amdhsa_exception_int_div_zero 0
	.end_amdhsa_kernel
	.section	.text._Z35paged_attention_ll4mi_reduce_kernelIDF16_hLi64ELi64ELi256ELi1EEvPT0_PKfS3_PKT_PKiS8_iS3_,"axG",@progbits,_Z35paged_attention_ll4mi_reduce_kernelIDF16_hLi64ELi64ELi256ELi1EEvPT0_PKfS3_PKT_PKiS8_iS3_,comdat
.Lfunc_end18:
	.size	_Z35paged_attention_ll4mi_reduce_kernelIDF16_hLi64ELi64ELi256ELi1EEvPT0_PKfS3_PKT_PKiS8_iS3_, .Lfunc_end18-_Z35paged_attention_ll4mi_reduce_kernelIDF16_hLi64ELi64ELi256ELi1EEvPT0_PKfS3_PKT_PKiS8_iS3_
                                        ; -- End function
	.section	.AMDGPU.csdata,"",@progbits
; Kernel info:
; codeLenInByte = 3212
; NumSgprs: 40
; NumVgprs: 46
; ScratchSize: 0
; MemoryBound: 0
; FloatMode: 240
; IeeeMode: 1
; LDSByteSize: 132 bytes/workgroup (compile time only)
; SGPRBlocks: 4
; VGPRBlocks: 5
; NumSGPRsForWavesPerEU: 40
; NumVGPRsForWavesPerEU: 46
; Occupancy: 16
; WaveLimiterHint : 1
; COMPUTE_PGM_RSRC2:SCRATCH_EN: 0
; COMPUTE_PGM_RSRC2:USER_SGPR: 14
; COMPUTE_PGM_RSRC2:TRAP_HANDLER: 0
; COMPUTE_PGM_RSRC2:TGID_X_EN: 1
; COMPUTE_PGM_RSRC2:TGID_Y_EN: 1
; COMPUTE_PGM_RSRC2:TGID_Z_EN: 0
; COMPUTE_PGM_RSRC2:TIDIG_COMP_CNT: 0
	.section	.text._Z35paged_attention_ll4mi_reduce_kernelIDF16_hLi64ELi64ELi256ELi2EEvPT0_PKfS3_PKT_PKiS8_iS3_,"axG",@progbits,_Z35paged_attention_ll4mi_reduce_kernelIDF16_hLi64ELi64ELi256ELi2EEvPT0_PKfS3_PKT_PKiS8_iS3_,comdat
	.protected	_Z35paged_attention_ll4mi_reduce_kernelIDF16_hLi64ELi64ELi256ELi2EEvPT0_PKfS3_PKT_PKiS8_iS3_ ; -- Begin function _Z35paged_attention_ll4mi_reduce_kernelIDF16_hLi64ELi64ELi256ELi2EEvPT0_PKfS3_PKT_PKiS8_iS3_
	.globl	_Z35paged_attention_ll4mi_reduce_kernelIDF16_hLi64ELi64ELi256ELi2EEvPT0_PKfS3_PKT_PKiS8_iS3_
	.p2align	8
	.type	_Z35paged_attention_ll4mi_reduce_kernelIDF16_hLi64ELi64ELi256ELi2EEvPT0_PKfS3_PKT_PKiS8_iS3_,@function
_Z35paged_attention_ll4mi_reduce_kernelIDF16_hLi64ELi64ELi256ELi2EEvPT0_PKfS3_PKT_PKiS8_iS3_: ; @_Z35paged_attention_ll4mi_reduce_kernelIDF16_hLi64ELi64ELi256ELi2EEvPT0_PKfS3_PKT_PKiS8_iS3_
; %bb.0:
	s_load_b64 s[12:13], s[0:1], 0x28
	s_mov_b32 s2, s15
	s_waitcnt lgkmcnt(0)
	s_cmp_lg_u64 s[12:13], 0
	s_cselect_b32 s15, -1, 0
	s_delay_alu instid0(SALU_CYCLE_1)
	s_and_b32 vcc_lo, exec_lo, s15
	s_cbranch_vccz .LBB19_16
; %bb.1:
	s_add_i32 s4, s2, 1
	s_mov_b32 s5, 0
	s_delay_alu instid0(SALU_CYCLE_1) | instskip(SKIP_4) | instid1(SALU_CYCLE_1)
	s_lshl_b64 s[6:7], s[4:5], 2
	s_mov_b32 s3, s5
	s_add_u32 s6, s12, s6
	s_addc_u32 s7, s13, s7
	s_lshl_b64 s[8:9], s[2:3], 2
	s_add_u32 s8, s12, s8
	s_addc_u32 s9, s13, s9
	s_clause 0x1
	s_load_b32 s4, s[6:7], 0x0
	s_load_b32 s6, s[8:9], 0x0
	s_waitcnt lgkmcnt(0)
	s_sub_i32 s4, s4, s6
	s_delay_alu instid0(SALU_CYCLE_1)
	s_cmp_eq_u32 s4, 1
	s_cselect_b32 s4, -1, 0
	s_cbranch_execnz .LBB19_3
.LBB19_2:
	s_mov_b32 s3, 0
	s_mov_b32 s4, -1
.LBB19_3:
	s_delay_alu instid0(SALU_CYCLE_1)
	s_and_not1_b32 vcc_lo, exec_lo, s4
	s_cbranch_vccz .LBB19_5
; %bb.4:
	s_endpgm
.LBB19_5:
	s_clause 0x1
	s_load_b128 s[4:7], s[0:1], 0x18
	s_load_b32 s9, s[0:1], 0x30
	s_lshl_b64 s[16:17], s[2:3], 2
	s_waitcnt lgkmcnt(0)
	s_add_u32 s6, s6, s16
	s_addc_u32 s7, s7, s17
	s_load_b32 s20, s[6:7], 0x0
	s_load_b32 s33, s[0:1], 0x40
	s_mul_i32 s7, s2, s9
	s_waitcnt lgkmcnt(0)
	s_add_i32 s50, s20, 0xff
	s_delay_alu instid0(SALU_CYCLE_1) | instskip(NEXT) | instid1(SALU_CYCLE_1)
	s_ashr_i32 s6, s50, 31
	s_lshr_b32 s6, s6, 24
	s_delay_alu instid0(SALU_CYCLE_1) | instskip(SKIP_4) | instid1(SALU_CYCLE_1)
	s_add_i32 s8, s50, s6
	s_mul_i32 s6, s14, s9
	s_mov_b32 s9, exec_lo
	v_cmpx_lt_u32_e32 31, v0
	s_xor_b32 s9, exec_lo, s9
	s_or_saveexec_b32 s22, s9
	v_mov_b32_e32 v1, s6
	s_ashr_i32 s21, s8, 8
	s_mul_i32 s18, s7, s33
	s_xor_b32 exec_lo, exec_lo, s22
	s_cbranch_execz .LBB19_9
; %bb.6:
	v_or_b32_e32 v1, 32, v0
	s_load_b128 s[8:11], s[0:1], 0x8
	s_add_i32 s7, s21, -1
	s_mov_b32 s19, 0
	s_delay_alu instid0(SALU_CYCLE_1) | instskip(SKIP_3) | instid1(VALU_DEP_2)
	s_lshl_b64 s[24:25], s[18:19], 2
	v_cmp_gt_i32_e32 vcc_lo, s21, v1
	v_cndmask_b32_e32 v1, s7, v1, vcc_lo
	v_cmp_gt_i32_e32 vcc_lo, s21, v0
	v_ashrrev_i32_e32 v2, 31, v1
	v_cndmask_b32_e32 v3, s7, v0, vcc_lo
	s_mov_b32 s7, s19
	s_delay_alu instid0(VALU_DEP_2) | instskip(NEXT) | instid1(VALU_DEP_2)
	v_lshlrev_b64 v[1:2], 2, v[1:2]
	v_ashrrev_i32_e32 v4, 31, v3
	s_waitcnt lgkmcnt(0)
	s_add_u32 s19, s10, s24
	s_addc_u32 s23, s11, s25
	s_lshl_b64 s[10:11], s[6:7], 2
	v_lshlrev_b64 v[3:4], 2, v[3:4]
	s_add_u32 s7, s19, s10
	s_addc_u32 s19, s23, s11
	v_add_co_u32 v5, vcc_lo, s7, v1
	v_add_co_ci_u32_e32 v6, vcc_lo, s19, v2, vcc_lo
	s_delay_alu instid0(VALU_DEP_3)
	v_add_co_u32 v7, vcc_lo, s7, v3
	v_add_co_ci_u32_e32 v8, vcc_lo, s19, v4, vcc_lo
	s_clause 0x1
	global_load_b32 v5, v[5:6], off
	global_load_b32 v6, v[7:8], off
	s_add_u32 s7, s8, s24
	s_addc_u32 s8, s9, s25
	s_add_u32 s7, s7, s10
	s_addc_u32 s8, s8, s11
	v_add_co_u32 v3, vcc_lo, s7, v3
	v_add_co_ci_u32_e32 v4, vcc_lo, s8, v4, vcc_lo
	v_add_co_u32 v1, vcc_lo, s7, v1
	v_add_co_ci_u32_e32 v2, vcc_lo, s8, v2, vcc_lo
	s_clause 0x1
	global_load_b32 v3, v[3:4], off
	global_load_b32 v1, v[1:2], off
	v_mbcnt_lo_u32_b32 v2, -1, 0
	s_mov_b32 s7, exec_lo
	s_delay_alu instid0(VALU_DEP_1)
	v_xor_b32_e32 v4, 16, v2
	v_xor_b32_e32 v9, 8, v2
	;; [unrolled: 1-line block ×5, first 2 shown]
	v_cmp_gt_i32_e32 vcc_lo, 32, v4
	v_cndmask_b32_e32 v4, v2, v4, vcc_lo
	v_cmp_gt_i32_e32 vcc_lo, 32, v9
	s_waitcnt vmcnt(2)
	v_dual_max_f32 v7, v5, v5 :: v_dual_max_f32 v8, v6, v6
	s_delay_alu instid0(VALU_DEP_1)
	v_dual_max_f32 v7, v8, v7 :: v_dual_lshlrev_b32 v4, 2, v4
	ds_bpermute_b32 v8, v4, v7
	v_cndmask_b32_e32 v9, v2, v9, vcc_lo
	v_cmp_gt_i32_e32 vcc_lo, 32, v10
	v_cndmask_b32_e32 v10, v2, v10, vcc_lo
	v_cmp_gt_i32_e32 vcc_lo, 32, v11
	s_delay_alu instid0(VALU_DEP_2) | instskip(SKIP_1) | instid1(VALU_DEP_2)
	v_dual_cndmask_b32 v11, v2, v11 :: v_dual_lshlrev_b32 v10, 2, v10
	v_cmp_gt_i32_e32 vcc_lo, 32, v12
	v_dual_cndmask_b32 v2, v2, v12 :: v_dual_lshlrev_b32 v11, 2, v11
	s_waitcnt lgkmcnt(0)
	v_dual_max_f32 v8, v8, v8 :: v_dual_lshlrev_b32 v9, 2, v9
	s_delay_alu instid0(VALU_DEP_1) | instskip(SKIP_3) | instid1(VALU_DEP_1)
	v_dual_max_f32 v7, v7, v8 :: v_dual_lshlrev_b32 v2, 2, v2
	ds_bpermute_b32 v8, v9, v7
	s_waitcnt lgkmcnt(0)
	v_max_f32_e32 v8, v8, v8
	v_max_f32_e32 v7, v7, v8
	ds_bpermute_b32 v8, v10, v7
	s_waitcnt lgkmcnt(0)
	v_max_f32_e32 v8, v8, v8
	s_delay_alu instid0(VALU_DEP_1) | instskip(SKIP_3) | instid1(VALU_DEP_1)
	v_max_f32_e32 v7, v7, v8
	ds_bpermute_b32 v8, v11, v7
	s_waitcnt lgkmcnt(0)
	v_max_f32_e32 v8, v8, v8
	v_max_f32_e32 v7, v7, v8
	ds_bpermute_b32 v8, v2, v7
	s_waitcnt lgkmcnt(0)
	v_max_f32_e32 v8, v8, v8
	s_delay_alu instid0(VALU_DEP_1) | instskip(NEXT) | instid1(VALU_DEP_1)
	v_max_f32_e32 v7, v7, v8
	v_sub_f32_e32 v5, v5, v7
	s_delay_alu instid0(VALU_DEP_1) | instskip(NEXT) | instid1(VALU_DEP_1)
	v_mul_f32_e32 v8, 0x3fb8aa3b, v5
	v_rndne_f32_e32 v15, v8
	v_fma_f32 v14, 0x3fb8aa3b, v5, -v8
	s_delay_alu instid0(VALU_DEP_2) | instskip(SKIP_1) | instid1(VALU_DEP_3)
	v_sub_f32_e32 v8, v8, v15
	v_sub_f32_e32 v6, v6, v7
	v_fmac_f32_e32 v14, 0x32a5705f, v5
	s_delay_alu instid0(VALU_DEP_2) | instskip(NEXT) | instid1(VALU_DEP_1)
	v_mul_f32_e32 v7, 0x3fb8aa3b, v6
	v_fma_f32 v12, 0x3fb8aa3b, v6, -v7
	v_rndne_f32_e32 v13, v7
	s_delay_alu instid0(VALU_DEP_1) | instskip(NEXT) | instid1(VALU_DEP_1)
	v_dual_fmac_f32 v12, 0x32a5705f, v6 :: v_dual_sub_f32 v7, v7, v13
	v_add_f32_e32 v7, v7, v12
	v_cvt_i32_f32_e32 v12, v13
	v_cmp_ngt_f32_e32 vcc_lo, 0xc2ce8ed0, v6
	v_cvt_i32_f32_e32 v13, v15
	s_delay_alu instid0(VALU_DEP_4) | instskip(SKIP_4) | instid1(VALU_DEP_3)
	v_exp_f32_e32 v7, v7
	s_waitcnt_depctr 0xfff
	v_ldexp_f32 v7, v7, v12
	v_add_f32_e32 v8, v8, v14
	v_sub_nc_u32_e32 v12, s21, v0
	v_cndmask_b32_e32 v7, 0, v7, vcc_lo
	s_delay_alu instid0(VALU_DEP_3) | instskip(SKIP_3) | instid1(VALU_DEP_1)
	v_exp_f32_e32 v8, v8
	v_cmp_ngt_f32_e32 vcc_lo, 0xc2ce8ed0, v5
	s_waitcnt_depctr 0xfff
	v_ldexp_f32 v8, v8, v13
	v_cndmask_b32_e32 v8, 0, v8, vcc_lo
	v_cmp_nlt_f32_e32 vcc_lo, 0x42b17218, v6
	v_dual_cndmask_b32 v6, 0x7f800000, v7 :: v_dual_lshlrev_b32 v7, 2, v0
	v_cmp_nlt_f32_e32 vcc_lo, 0x42b17218, v5
	s_delay_alu instid0(VALU_DEP_4) | instskip(SKIP_1) | instid1(VALU_DEP_4)
	v_cndmask_b32_e32 v5, 0x7f800000, v8, vcc_lo
	v_cmp_lt_i32_e32 vcc_lo, 0, v12
	v_cndmask_b32_e32 v6, 0, v6, vcc_lo
	v_cmp_lt_i32_e32 vcc_lo, 32, v12
	s_delay_alu instid0(VALU_DEP_4) | instskip(SKIP_1) | instid1(VALU_DEP_1)
	v_cndmask_b32_e32 v5, 0, v5, vcc_lo
	s_waitcnt vmcnt(0)
	v_dual_mul_f32 v3, v3, v6 :: v_dual_mul_f32 v6, v1, v5
	ds_store_2addr_b32 v7, v3, v6 offset1:32
	v_fmac_f32_e32 v3, v1, v5
	ds_bpermute_b32 v1, v4, v3
	s_waitcnt lgkmcnt(0)
	v_add_f32_e32 v1, v3, v1
	ds_bpermute_b32 v3, v9, v1
	s_waitcnt lgkmcnt(0)
	v_add_f32_e32 v1, v1, v3
	;; [unrolled: 3-line block ×4, first 2 shown]
	ds_bpermute_b32 v2, v2, v1
	v_cmpx_eq_u32_e32 0, v0
	s_cbranch_execz .LBB19_8
; %bb.7:
	s_waitcnt lgkmcnt(0)
	v_dual_add_f32 v1, v1, v2 :: v_dual_mov_b32 v2, 0
	ds_store_b32 v2, v1 offset:256
.LBB19_8:
	s_or_b32 exec_lo, exec_lo, s7
	v_mov_b32_e32 v1, s6
.LBB19_9:
	s_or_b32 exec_lo, exec_lo, s22
	s_lshl_b32 s6, s18, 6
	s_mov_b32 s7, 0
	s_waitcnt lgkmcnt(0)
	v_dual_mov_b32 v2, 0 :: v_dual_lshlrev_b32 v1, 6, v1
	s_lshl_b64 s[6:7], s[6:7], 1
	v_dual_mov_b32 v29, 0 :: v_dual_mov_b32 v30, 0
	s_add_u32 s34, s4, s6
	s_addc_u32 s35, s5, s7
	s_lshl_b32 s4, s21, 6
	v_lshlrev_b64 v[3:4], 1, v[1:2]
	s_sub_i32 s51, s4, 64
	s_cmpk_lt_i32 s50, 0x100
	v_lshlrev_b32_e32 v1, 1, v0
	s_cselect_b32 s4, s51, 0
	v_dual_mov_b32 v31, 0 :: v_dual_mov_b32 v32, 0
	s_ashr_i32 s5, s4, 31
	v_add_co_u32 v3, vcc_lo, s34, v3
	s_lshl_b64 s[4:5], s[4:5], 1
	s_cmpk_lt_i32 s50, 0x200
	v_add_co_ci_u32_e32 v4, vcc_lo, s35, v4, vcc_lo
	s_cselect_b32 s6, s51, 64
	v_add_co_u32 v1, vcc_lo, v3, v1
	s_ashr_i32 s7, s6, 31
	s_delay_alu instid0(VALU_DEP_2)
	v_add_co_ci_u32_e32 v3, vcc_lo, 0, v4, vcc_lo
	s_lshl_b64 s[6:7], s[6:7], 1
	s_cmpk_lt_i32 s50, 0x300
	v_add_co_u32 v4, vcc_lo, v1, s4
	s_cselect_b32 s8, s51, 0x80
	v_add_co_ci_u32_e32 v5, vcc_lo, s5, v3, vcc_lo
	s_ashr_i32 s9, s8, 31
	v_add_co_u32 v8, vcc_lo, v1, s6
	s_lshl_b64 s[8:9], s[8:9], 1
	s_cmpk_lt_i32 s50, 0x400
	v_add_co_ci_u32_e32 v9, vcc_lo, s7, v3, vcc_lo
	s_cselect_b32 s10, s51, 0xc0
	v_add_co_u32 v10, vcc_lo, v1, s8
	s_ashr_i32 s11, s10, 31
	v_add_co_ci_u32_e32 v11, vcc_lo, s9, v3, vcc_lo
	s_lshl_b64 s[10:11], s[10:11], 1
	s_cmpk_lt_i32 s50, 0x500
	v_add_co_u32 v12, vcc_lo, v1, s10
	s_cselect_b32 s18, s51, 0x100
	v_add_co_ci_u32_e32 v13, vcc_lo, s11, v3, vcc_lo
	s_ashr_i32 s19, s18, 31
	v_dual_mov_b32 v33, 0 :: v_dual_mov_b32 v34, 0
	s_lshl_b64 s[18:19], s[18:19], 1
	s_cmpk_lt_i32 s50, 0x600
	v_add_co_u32 v14, vcc_lo, v1, s18
	s_cselect_b32 s22, s51, 0x140
	v_add_co_ci_u32_e32 v15, vcc_lo, s19, v3, vcc_lo
	s_ashr_i32 s23, s22, 31
	v_mov_b32_e32 v35, 0
	s_lshl_b64 s[22:23], s[22:23], 1
	s_cmpk_lt_i32 s50, 0x700
	v_add_co_u32 v16, vcc_lo, v1, s22
	s_cselect_b32 s24, s51, 0x180
	v_add_co_ci_u32_e32 v17, vcc_lo, s23, v3, vcc_lo
	s_ashr_i32 s25, s24, 31
	s_delay_alu instid0(SALU_CYCLE_1)
	s_lshl_b64 s[24:25], s[24:25], 1
	s_cmpk_lt_i32 s50, 0x800
	v_add_co_u32 v18, vcc_lo, v1, s24
	s_cselect_b32 s26, s51, 0x1c0
	v_add_co_ci_u32_e32 v19, vcc_lo, s25, v3, vcc_lo
	s_ashr_i32 s27, s26, 31
	s_delay_alu instid0(SALU_CYCLE_1)
	s_lshl_b64 s[26:27], s[26:27], 1
	s_cmpk_lt_i32 s50, 0x900
	v_add_co_u32 v20, vcc_lo, v1, s26
	s_cselect_b32 s28, s51, 0x200
	v_add_co_ci_u32_e32 v21, vcc_lo, s27, v3, vcc_lo
	s_ashr_i32 s29, s28, 31
	s_clause 0x7
	global_load_u16 v7, v[4:5], off
	global_load_u16 v8, v[8:9], off
	;; [unrolled: 1-line block ×8, first 2 shown]
	s_lshl_b64 s[28:29], s[28:29], 1
	s_cmpk_lt_i32 s50, 0xa00
	v_add_co_u32 v12, vcc_lo, v1, s28
	s_cselect_b32 s30, s51, 0x240
	v_add_co_ci_u32_e32 v13, vcc_lo, s29, v3, vcc_lo
	s_ashr_i32 s31, s30, 31
	s_delay_alu instid0(SALU_CYCLE_1)
	s_lshl_b64 s[30:31], s[30:31], 1
	s_cmpk_lt_i32 s50, 0xb00
	v_add_co_u32 v15, vcc_lo, v1, s30
	s_cselect_b32 s34, s51, 0x280
	v_add_co_ci_u32_e32 v16, vcc_lo, s31, v3, vcc_lo
	s_ashr_i32 s35, s34, 31
	s_delay_alu instid0(SALU_CYCLE_1)
	;; [unrolled: 7-line block ×7, first 2 shown]
	s_lshl_b64 s[4:5], s[6:7], 1
	s_cmpk_gt_i32 s20, 0x1000
	v_add_co_u32 v27, vcc_lo, v1, s4
	v_add_co_ci_u32_e32 v28, vcc_lo, s5, v3, vcc_lo
	s_clause 0x7
	global_load_u16 v14, v[12:13], off
	global_load_u16 v15, v[15:16], off
	;; [unrolled: 1-line block ×8, first 2 shown]
	v_dual_mov_b32 v20, 0 :: v_dual_mov_b32 v21, 0
	v_dual_mov_b32 v22, 0 :: v_dual_mov_b32 v23, 0
	;; [unrolled: 1-line block ×4, first 2 shown]
	v_mov_b32_e32 v28, 0
	s_cselect_b32 s8, -1, 0
	s_cmpk_lt_i32 s20, 0x1001
	s_waitcnt vmcnt(0)
	s_barrier
	buffer_gl0_inv
	s_cbranch_scc1 .LBB19_11
; %bb.10:
	s_cmpk_lt_i32 s50, 0x1100
	s_cselect_b32 s4, s51, 0x400
	s_delay_alu instid0(SALU_CYCLE_1) | instskip(NEXT) | instid1(SALU_CYCLE_1)
	s_ashr_i32 s5, s4, 31
	s_lshl_b64 s[4:5], s[4:5], 1
	s_cmpk_lt_i32 s50, 0x1200
	v_add_co_u32 v20, vcc_lo, v1, s4
	s_cselect_b32 s6, s51, 0x440
	v_add_co_ci_u32_e32 v21, vcc_lo, s5, v3, vcc_lo
	s_ashr_i32 s7, s6, 31
	s_delay_alu instid0(SALU_CYCLE_1)
	s_lshl_b64 s[6:7], s[6:7], 1
	s_cmpk_lt_i32 s50, 0x1300
	v_add_co_u32 v22, vcc_lo, v1, s6
	s_cselect_b32 s10, s51, 0x480
	v_add_co_ci_u32_e32 v23, vcc_lo, s7, v3, vcc_lo
	s_ashr_i32 s11, s10, 31
	s_delay_alu instid0(SALU_CYCLE_1)
	;; [unrolled: 7-line block ×7, first 2 shown]
	s_lshl_b64 s[28:29], s[28:29], 1
	s_cmpk_lt_i32 s50, 0x1900
	v_add_co_u32 v34, vcc_lo, v1, s28
	s_cselect_b32 s30, s51, 0x600
	v_add_co_ci_u32_e32 v35, vcc_lo, s29, v3, vcc_lo
	s_ashr_i32 s31, s30, 31
	s_clause 0x7
	global_load_u16 v36, v[20:21], off
	global_load_u16 v37, v[22:23], off
	;; [unrolled: 1-line block ×8, first 2 shown]
	s_lshl_b64 s[30:31], s[30:31], 1
	s_cmpk_lt_i32 s50, 0x1a00
	v_add_co_u32 v20, vcc_lo, v1, s30
	s_cselect_b32 s34, s51, 0x640
	v_add_co_ci_u32_e32 v21, vcc_lo, s31, v3, vcc_lo
	s_ashr_i32 s35, s34, 31
	s_delay_alu instid0(SALU_CYCLE_1)
	s_lshl_b64 s[34:35], s[34:35], 1
	s_cmpk_lt_i32 s50, 0x1b00
	v_add_co_u32 v22, vcc_lo, v1, s34
	s_cselect_b32 s36, s51, 0x680
	v_add_co_ci_u32_e32 v23, vcc_lo, s35, v3, vcc_lo
	s_ashr_i32 s37, s36, 31
	s_delay_alu instid0(SALU_CYCLE_1)
	;; [unrolled: 7-line block ×6, first 2 shown]
	s_lshl_b64 s[4:5], s[22:23], 1
	s_cmpk_lt_i32 s50, 0x2000
	v_add_co_u32 v32, vcc_lo, v1, s4
	s_cselect_b32 s6, s51, 0x7c0
	v_add_co_ci_u32_e32 v33, vcc_lo, s5, v3, vcc_lo
	s_ashr_i32 s7, s6, 31
	s_delay_alu instid0(SALU_CYCLE_1) | instskip(NEXT) | instid1(SALU_CYCLE_1)
	s_lshl_b64 s[4:5], s[6:7], 1
	v_add_co_u32 v34, vcc_lo, v1, s4
	v_add_co_ci_u32_e32 v35, vcc_lo, s5, v3, vcc_lo
	s_clause 0x7
	global_load_u16 v20, v[20:21], off
	global_load_u16 v21, v[22:23], off
	;; [unrolled: 1-line block ×8, first 2 shown]
	s_waitcnt vmcnt(15)
	v_cvt_f32_f16_e32 v35, v36
	s_waitcnt vmcnt(14)
	v_cvt_f32_f16_e32 v34, v37
	;; [unrolled: 2-line block ×16, first 2 shown]
.LBB19_11:
	ds_load_b128 v[36:39], v2
	ds_load_b128 v[40:43], v2 offset:16
	s_and_not1_b32 vcc_lo, exec_lo, s8
	s_waitcnt lgkmcnt(1)
	v_fma_mix_f32 v7, v36, v7, 0 op_sel_hi:[0,1,0]
	s_delay_alu instid0(VALU_DEP_1) | instskip(NEXT) | instid1(VALU_DEP_1)
	v_fma_mix_f32 v7, v37, v8, v7 op_sel_hi:[0,1,0]
	v_fma_mix_f32 v7, v38, v9, v7 op_sel_hi:[0,1,0]
	s_delay_alu instid0(VALU_DEP_1)
	v_fma_mix_f32 v7, v39, v10, v7 op_sel_hi:[0,1,0]
	ds_load_b128 v[36:39], v2 offset:48
	s_waitcnt lgkmcnt(1)
	v_fma_mix_f32 v11, v40, v11, v7 op_sel_hi:[0,1,0]
	ds_load_b128 v[7:10], v2 offset:32
	v_fma_mix_f32 v4, v41, v4, v11 op_sel_hi:[0,1,0]
	s_delay_alu instid0(VALU_DEP_1) | instskip(NEXT) | instid1(VALU_DEP_1)
	v_fma_mix_f32 v4, v42, v5, v4 op_sel_hi:[0,1,0]
	v_fma_mix_f32 v4, v43, v6, v4 op_sel_hi:[0,1,0]
	s_waitcnt lgkmcnt(0)
	s_delay_alu instid0(VALU_DEP_1) | instskip(NEXT) | instid1(VALU_DEP_1)
	v_fma_mix_f32 v4, v7, v14, v4 op_sel_hi:[0,1,0]
	v_fma_mix_f32 v4, v8, v15, v4 op_sel_hi:[0,1,0]
	s_delay_alu instid0(VALU_DEP_1) | instskip(NEXT) | instid1(VALU_DEP_1)
	v_fma_mix_f32 v4, v9, v16, v4 op_sel_hi:[0,1,0]
	v_fma_mix_f32 v4, v10, v17, v4 op_sel_hi:[0,1,0]
	;; [unrolled: 3-line block ×4, first 2 shown]
	s_cbranch_vccz .LBB19_17
; %bb.12:
	s_load_b64 s[0:1], s[0:1], 0x0
	s_cmpk_lt_i32 s20, 0x2001
	s_cbranch_scc0 .LBB19_18
.LBB19_13:
	v_mov_b32_e32 v1, 0
	s_and_not1_b32 vcc_lo, exec_lo, s15
	ds_load_b32 v1, v1 offset:256
	s_cbranch_vccnz .LBB19_15
.LBB19_14:
	s_add_u32 s2, s12, s16
	s_addc_u32 s3, s13, s17
	s_load_b32 s2, s[2:3], 0x0
	s_mov_b32 s3, 0
.LBB19_15:
	s_waitcnt lgkmcnt(0)
	v_add_f32_e32 v1, 0x358637bd, v1
	s_mul_i32 s3, s33, s3
	s_mul_hi_u32 s4, s33, s2
	s_mul_i32 s2, s33, s2
	s_add_i32 s3, s4, s3
	v_div_scale_f32 v2, null, v1, v1, 1.0
	v_div_scale_f32 v6, vcc_lo, 1.0, v1, 1.0
	s_lshl_b64 s[2:3], s[2:3], 6
	s_delay_alu instid0(VALU_DEP_2) | instskip(SKIP_4) | instid1(SALU_CYCLE_1)
	v_rcp_f32_e32 v3, v2
	s_mov_b32 s15, 0
	s_add_u32 s2, s0, s2
	s_addc_u32 s3, s1, s3
	s_lshl_b64 s[0:1], s[14:15], 6
	s_add_u32 s0, s2, s0
	s_addc_u32 s1, s3, s1
	v_add_co_u32 v0, s0, s0, v0
	s_waitcnt_depctr 0xfff
	v_fma_f32 v5, -v2, v3, 1.0
	s_delay_alu instid0(VALU_DEP_1) | instskip(NEXT) | instid1(VALU_DEP_1)
	v_fmac_f32_e32 v3, v5, v3
	v_mul_f32_e32 v5, v6, v3
	s_delay_alu instid0(VALU_DEP_1) | instskip(NEXT) | instid1(VALU_DEP_1)
	v_fma_f32 v7, -v2, v5, v6
	v_fmac_f32_e32 v5, v7, v3
	s_delay_alu instid0(VALU_DEP_1) | instskip(NEXT) | instid1(VALU_DEP_1)
	v_fma_f32 v2, -v2, v5, v6
	v_div_fmas_f32 v2, v2, v3, v5
	s_delay_alu instid0(VALU_DEP_1) | instskip(NEXT) | instid1(VALU_DEP_1)
	v_div_fixup_f32 v1, v2, v1, 1.0
	v_fma_mixlo_f16 v1, v4, v1, 0
	s_delay_alu instid0(VALU_DEP_1)
	v_cvt_i16_f16_e32 v2, v1
	v_add_co_ci_u32_e64 v1, null, s1, 0, s0
	global_store_b8 v[0:1], v2, off
	s_nop 0
	s_sendmsg sendmsg(MSG_DEALLOC_VGPRS)
	s_endpgm
.LBB19_16:
	s_mov_b32 s4, 0
	s_branch .LBB19_2
.LBB19_17:
	ds_load_b128 v[5:8], v2 offset:64
	ds_load_b128 v[9:12], v2 offset:80
	s_waitcnt lgkmcnt(1)
	v_fmac_f32_e32 v4, v5, v35
	s_delay_alu instid0(VALU_DEP_1) | instskip(NEXT) | instid1(VALU_DEP_1)
	v_fmac_f32_e32 v4, v6, v34
	v_fmac_f32_e32 v4, v7, v33
	s_delay_alu instid0(VALU_DEP_1) | instskip(SKIP_3) | instid1(VALU_DEP_1)
	v_fmac_f32_e32 v4, v8, v32
	ds_load_b128 v[5:8], v2 offset:96
	s_waitcnt lgkmcnt(1)
	v_fmac_f32_e32 v4, v9, v31
	v_fmac_f32_e32 v4, v10, v30
	s_delay_alu instid0(VALU_DEP_1) | instskip(NEXT) | instid1(VALU_DEP_1)
	v_fmac_f32_e32 v4, v11, v29
	v_fmac_f32_e32 v4, v12, v28
	ds_load_b128 v[9:12], v2 offset:112
	s_waitcnt lgkmcnt(1)
	v_fmac_f32_e32 v4, v5, v27
	s_delay_alu instid0(VALU_DEP_1) | instskip(NEXT) | instid1(VALU_DEP_1)
	v_fmac_f32_e32 v4, v6, v26
	v_fmac_f32_e32 v4, v7, v25
	s_delay_alu instid0(VALU_DEP_1) | instskip(SKIP_1) | instid1(VALU_DEP_1)
	v_fmac_f32_e32 v4, v8, v24
	s_waitcnt lgkmcnt(0)
	v_fmac_f32_e32 v4, v9, v23
	s_delay_alu instid0(VALU_DEP_1) | instskip(NEXT) | instid1(VALU_DEP_1)
	v_fmac_f32_e32 v4, v10, v22
	v_fmac_f32_e32 v4, v11, v21
	s_delay_alu instid0(VALU_DEP_1)
	v_fmac_f32_e32 v4, v12, v20
	s_load_b64 s[0:1], s[0:1], 0x0
	s_cmpk_lt_i32 s20, 0x2001
	s_cbranch_scc1 .LBB19_13
.LBB19_18:
	s_cmpk_lt_i32 s50, 0x2100
	v_mov_b32_e32 v45, 0
	s_cselect_b32 s4, s51, 0x800
	s_delay_alu instid0(SALU_CYCLE_1) | instskip(NEXT) | instid1(SALU_CYCLE_1)
	s_ashr_i32 s5, s4, 31
	s_lshl_b64 s[4:5], s[4:5], 1
	s_cmpk_lt_i32 s50, 0x2200
	v_add_co_u32 v5, vcc_lo, v1, s4
	s_cselect_b32 s6, s51, 0x840
	v_add_co_ci_u32_e32 v6, vcc_lo, s5, v3, vcc_lo
	s_ashr_i32 s7, s6, 31
	s_delay_alu instid0(SALU_CYCLE_1)
	s_lshl_b64 s[6:7], s[6:7], 1
	s_cmpk_lt_i32 s50, 0x2300
	v_add_co_u32 v7, vcc_lo, v1, s6
	s_cselect_b32 s8, s51, 0x880
	v_add_co_ci_u32_e32 v8, vcc_lo, s7, v3, vcc_lo
	s_ashr_i32 s9, s8, 31
	s_delay_alu instid0(SALU_CYCLE_1)
	;; [unrolled: 7-line block ×7, first 2 shown]
	s_lshl_b64 s[28:29], s[20:21], 1
	s_cmpk_lt_i32 s50, 0x2900
	v_add_co_u32 v19, vcc_lo, v1, s28
	s_cselect_b32 s20, s51, 0xa00
	v_add_co_ci_u32_e32 v20, vcc_lo, s29, v3, vcc_lo
	s_ashr_i32 s21, s20, 31
	s_clause 0x7
	global_load_u16 v21, v[5:6], off
	global_load_u16 v22, v[7:8], off
	global_load_u16 v23, v[9:10], off
	global_load_u16 v24, v[11:12], off
	global_load_u16 v25, v[13:14], off
	global_load_u16 v26, v[15:16], off
	global_load_u16 v27, v[17:18], off
	global_load_u16 v28, v[19:20], off
	s_lshl_b64 s[20:21], s[20:21], 1
	s_cmpk_lt_i32 s50, 0x2a00
	v_add_co_u32 v5, vcc_lo, v1, s20
	s_cselect_b32 s26, s51, 0xa40
	v_add_co_ci_u32_e32 v6, vcc_lo, s21, v3, vcc_lo
	s_ashr_i32 s27, s26, 31
	s_delay_alu instid0(SALU_CYCLE_1)
	s_lshl_b64 s[26:27], s[26:27], 1
	s_cmpk_lt_i32 s50, 0x2b00
	v_add_co_u32 v7, vcc_lo, v1, s26
	s_cselect_b32 s30, s51, 0xa80
	v_add_co_ci_u32_e32 v8, vcc_lo, s27, v3, vcc_lo
	s_ashr_i32 s31, s30, 31
	s_delay_alu instid0(SALU_CYCLE_1)
	;; [unrolled: 7-line block ×7, first 2 shown]
	s_lshl_b64 s[46:47], s[38:39], 1
	s_cmpk_lt_i32 s50, 0x3100
	v_add_co_u32 v19, vcc_lo, v1, s46
	s_cselect_b32 s38, s51, 0xc00
	v_add_co_ci_u32_e32 v20, vcc_lo, s47, v3, vcc_lo
	s_ashr_i32 s39, s38, 31
	s_clause 0x7
	global_load_u16 v29, v[5:6], off
	global_load_u16 v30, v[7:8], off
	;; [unrolled: 1-line block ×8, first 2 shown]
	s_lshl_b64 s[38:39], s[38:39], 1
	s_cmpk_lt_i32 s50, 0x3200
	v_add_co_u32 v5, vcc_lo, v1, s38
	s_cselect_b32 s44, s51, 0xc40
	v_add_co_ci_u32_e32 v6, vcc_lo, s39, v3, vcc_lo
	s_ashr_i32 s45, s44, 31
	s_delay_alu instid0(SALU_CYCLE_1)
	s_lshl_b64 s[44:45], s[44:45], 1
	s_cmpk_lt_i32 s50, 0x3300
	v_add_co_u32 v7, vcc_lo, v1, s44
	s_cselect_b32 s48, s51, 0xc80
	v_add_co_ci_u32_e32 v8, vcc_lo, s45, v3, vcc_lo
	s_ashr_i32 s49, s48, 31
	s_delay_alu instid0(SALU_CYCLE_1)
	;; [unrolled: 7-line block ×5, first 2 shown]
	s_lshl_b64 s[8:9], s[8:9], 1
	s_cmpk_lt_i32 s50, 0x3700
	v_add_co_u32 v15, vcc_lo, v1, s8
	s_cselect_b32 s10, s51, 0xd80
	v_add_co_ci_u32_e32 v16, vcc_lo, s9, v3, vcc_lo
	s_ashr_i32 s11, s10, 31
	s_clause 0x5
	global_load_u16 v19, v[5:6], off
	global_load_u16 v20, v[7:8], off
	;; [unrolled: 1-line block ×6, first 2 shown]
	s_lshl_b64 s[10:11], s[10:11], 1
	s_cmpk_lt_i32 s50, 0x3800
	v_add_co_u32 v5, vcc_lo, v1, s10
	s_cselect_b32 s18, s51, 0xdc0
	v_add_co_ci_u32_e32 v6, vcc_lo, s11, v3, vcc_lo
	s_ashr_i32 s19, s18, 31
	s_delay_alu instid0(SALU_CYCLE_1)
	s_lshl_b64 s[18:19], s[18:19], 1
	s_cmpk_lt_i32 s50, 0x3900
	v_add_co_u32 v7, vcc_lo, v1, s18
	s_cselect_b32 s20, s51, 0xe00
	v_add_co_ci_u32_e32 v8, vcc_lo, s19, v3, vcc_lo
	s_ashr_i32 s21, s20, 31
	global_load_u16 v16, v[5:6], off
	s_lshl_b64 s[20:21], s[20:21], 1
	global_load_u16 v38, v[7:8], off
	s_cmpk_lt_i32 s50, 0x3a00
	v_add_co_u32 v9, vcc_lo, v1, s20
	s_cselect_b32 s22, s51, 0xe40
	v_add_co_ci_u32_e32 v10, vcc_lo, s21, v3, vcc_lo
	s_ashr_i32 s23, s22, 31
	s_delay_alu instid0(SALU_CYCLE_1)
	s_lshl_b64 s[22:23], s[22:23], 1
	s_cmpk_lt_i32 s50, 0x3b00
	v_add_co_u32 v11, vcc_lo, v1, s22
	s_cselect_b32 s4, s51, 0xe80
	v_add_co_ci_u32_e32 v12, vcc_lo, s23, v3, vcc_lo
	s_ashr_i32 s5, s4, 31
	s_delay_alu instid0(SALU_CYCLE_1)
	s_lshl_b64 s[4:5], s[4:5], 1
	s_cmpk_lt_i32 s50, 0x3c00
	v_add_co_u32 v13, vcc_lo, v1, s4
	s_cselect_b32 s6, s51, 0xec0
	v_add_co_ci_u32_e32 v14, vcc_lo, s5, v3, vcc_lo
	s_ashr_i32 s7, s6, 31
	s_clause 0x2
	global_load_u16 v39, v[9:10], off
	global_load_u16 v40, v[11:12], off
	;; [unrolled: 1-line block ×3, first 2 shown]
	s_lshl_b64 s[6:7], s[6:7], 1
	s_cmpk_lt_i32 s50, 0x3d00
	v_add_co_u32 v5, vcc_lo, v1, s6
	s_cselect_b32 s8, s51, 0xf00
	v_add_co_ci_u32_e32 v6, vcc_lo, s7, v3, vcc_lo
	s_ashr_i32 s9, s8, 31
	s_delay_alu instid0(SALU_CYCLE_1)
	s_lshl_b64 s[4:5], s[8:9], 1
	s_cmpk_lt_i32 s50, 0x3e00
	v_add_co_u32 v7, vcc_lo, v1, s4
	s_cselect_b32 s8, s51, 0xf40
	v_add_co_ci_u32_e32 v8, vcc_lo, s5, v3, vcc_lo
	s_ashr_i32 s9, s8, 31
	global_load_u16 v14, v[5:6], off
	s_lshl_b64 s[8:9], s[8:9], 1
	s_cmpk_lt_i32 s50, 0x3f00
	v_add_co_u32 v9, vcc_lo, v1, s8
	s_cselect_b32 s6, s51, 0xf80
	v_add_co_ci_u32_e32 v10, vcc_lo, s9, v3, vcc_lo
	s_ashr_i32 s7, s6, 31
	s_clause 0x1
	global_load_u16 v41, v[7:8], off
	global_load_u16 v42, v[9:10], off
	s_lshl_b64 s[4:5], s[6:7], 1
	s_cmpk_lt_i32 s50, 0x4000
	v_add_co_u32 v5, vcc_lo, v1, s4
	s_cselect_b32 s6, s51, 0xfc0
	v_add_co_ci_u32_e32 v6, vcc_lo, s5, v3, vcc_lo
	s_ashr_i32 s7, s6, 31
	s_delay_alu instid0(SALU_CYCLE_1) | instskip(NEXT) | instid1(SALU_CYCLE_1)
	s_lshl_b64 s[4:5], s[6:7], 1
	v_add_co_u32 v1, vcc_lo, v1, s4
	v_add_co_ci_u32_e32 v2, vcc_lo, s5, v3, vcc_lo
	s_clause 0x1
	global_load_u16 v43, v[5:6], off
	global_load_u16 v44, v[1:2], off
	ds_load_b128 v[5:8], v45 offset:128
	ds_load_b128 v[9:12], v45 offset:144
	s_waitcnt vmcnt(31) lgkmcnt(0)
	v_fma_mix_f32 v1, v5, v21, v4 op_sel_hi:[0,1,0]
	s_waitcnt vmcnt(30)
	s_delay_alu instid0(VALU_DEP_1) | instskip(SKIP_1) | instid1(VALU_DEP_1)
	v_fma_mix_f32 v1, v6, v22, v1 op_sel_hi:[0,1,0]
	s_waitcnt vmcnt(29)
	v_fma_mix_f32 v1, v7, v23, v1 op_sel_hi:[0,1,0]
	s_waitcnt vmcnt(28)
	s_delay_alu instid0(VALU_DEP_1) | instskip(SKIP_1) | instid1(VALU_DEP_1)
	v_fma_mix_f32 v1, v8, v24, v1 op_sel_hi:[0,1,0]
	s_waitcnt vmcnt(27)
	v_fma_mix_f32 v5, v9, v25, v1 op_sel_hi:[0,1,0]
	ds_load_b128 v[1:4], v45 offset:160
	s_waitcnt vmcnt(26)
	v_fma_mix_f32 v5, v10, v26, v5 op_sel_hi:[0,1,0]
	s_waitcnt vmcnt(25)
	s_delay_alu instid0(VALU_DEP_1) | instskip(SKIP_1) | instid1(VALU_DEP_1)
	v_fma_mix_f32 v5, v11, v27, v5 op_sel_hi:[0,1,0]
	s_waitcnt vmcnt(24)
	v_fma_mix_f32 v9, v12, v28, v5 op_sel_hi:[0,1,0]
	ds_load_b128 v[5:8], v45 offset:176
	s_waitcnt vmcnt(23) lgkmcnt(1)
	v_fma_mix_f32 v1, v1, v29, v9 op_sel_hi:[0,1,0]
	s_waitcnt vmcnt(22)
	s_delay_alu instid0(VALU_DEP_1) | instskip(SKIP_1) | instid1(VALU_DEP_1)
	v_fma_mix_f32 v1, v2, v30, v1 op_sel_hi:[0,1,0]
	s_waitcnt vmcnt(21)
	v_fma_mix_f32 v1, v3, v31, v1 op_sel_hi:[0,1,0]
	s_waitcnt vmcnt(20)
	s_delay_alu instid0(VALU_DEP_1) | instskip(SKIP_1) | instid1(VALU_DEP_1)
	v_fma_mix_f32 v1, v4, v32, v1 op_sel_hi:[0,1,0]
	s_waitcnt vmcnt(19) lgkmcnt(0)
	v_fma_mix_f32 v5, v5, v33, v1 op_sel_hi:[0,1,0]
	ds_load_b128 v[1:4], v45 offset:192
	s_waitcnt vmcnt(18)
	v_fma_mix_f32 v5, v6, v34, v5 op_sel_hi:[0,1,0]
	s_waitcnt vmcnt(17)
	s_delay_alu instid0(VALU_DEP_1) | instskip(SKIP_1) | instid1(VALU_DEP_1)
	v_fma_mix_f32 v5, v7, v17, v5 op_sel_hi:[0,1,0]
	s_waitcnt vmcnt(16)
	v_fma_mix_f32 v9, v8, v18, v5 op_sel_hi:[0,1,0]
	ds_load_b128 v[5:8], v45 offset:208
	s_waitcnt vmcnt(15) lgkmcnt(1)
	v_fma_mix_f32 v1, v1, v19, v9 op_sel_hi:[0,1,0]
	s_waitcnt vmcnt(14)
	s_delay_alu instid0(VALU_DEP_1) | instskip(SKIP_1) | instid1(VALU_DEP_1)
	v_fma_mix_f32 v1, v2, v20, v1 op_sel_hi:[0,1,0]
	s_waitcnt vmcnt(13)
	v_fma_mix_f32 v1, v3, v35, v1 op_sel_hi:[0,1,0]
	s_waitcnt vmcnt(12)
	s_delay_alu instid0(VALU_DEP_1) | instskip(SKIP_1) | instid1(VALU_DEP_1)
	v_fma_mix_f32 v1, v4, v36, v1 op_sel_hi:[0,1,0]
	s_waitcnt vmcnt(11) lgkmcnt(0)
	;; [unrolled: 21-line block ×3, first 2 shown]
	v_fma_mix_f32 v1, v5, v41, v1 op_sel_hi:[0,1,0]
	s_waitcnt vmcnt(2)
	s_delay_alu instid0(VALU_DEP_1) | instskip(SKIP_1) | instid1(VALU_DEP_1)
	v_fma_mix_f32 v1, v6, v42, v1 op_sel_hi:[0,1,0]
	s_waitcnt vmcnt(1)
	v_fma_mix_f32 v1, v7, v43, v1 op_sel_hi:[0,1,0]
	s_waitcnt vmcnt(0)
	s_delay_alu instid0(VALU_DEP_1)
	v_fma_mix_f32 v4, v8, v44, v1 op_sel_hi:[0,1,0]
	v_mov_b32_e32 v1, 0
	s_and_not1_b32 vcc_lo, exec_lo, s15
	ds_load_b32 v1, v1 offset:256
	s_cbranch_vccz .LBB19_14
	s_branch .LBB19_15
	.section	.rodata,"a",@progbits
	.p2align	6, 0x0
	.amdhsa_kernel _Z35paged_attention_ll4mi_reduce_kernelIDF16_hLi64ELi64ELi256ELi2EEvPT0_PKfS3_PKT_PKiS8_iS3_
		.amdhsa_group_segment_fixed_size 260
		.amdhsa_private_segment_fixed_size 0
		.amdhsa_kernarg_size 320
		.amdhsa_user_sgpr_count 14
		.amdhsa_user_sgpr_dispatch_ptr 0
		.amdhsa_user_sgpr_queue_ptr 0
		.amdhsa_user_sgpr_kernarg_segment_ptr 1
		.amdhsa_user_sgpr_dispatch_id 0
		.amdhsa_user_sgpr_private_segment_size 0
		.amdhsa_wavefront_size32 1
		.amdhsa_uses_dynamic_stack 0
		.amdhsa_enable_private_segment 0
		.amdhsa_system_sgpr_workgroup_id_x 1
		.amdhsa_system_sgpr_workgroup_id_y 1
		.amdhsa_system_sgpr_workgroup_id_z 0
		.amdhsa_system_sgpr_workgroup_info 0
		.amdhsa_system_vgpr_workitem_id 0
		.amdhsa_next_free_vgpr 48
		.amdhsa_next_free_sgpr 52
		.amdhsa_reserve_vcc 1
		.amdhsa_float_round_mode_32 0
		.amdhsa_float_round_mode_16_64 0
		.amdhsa_float_denorm_mode_32 3
		.amdhsa_float_denorm_mode_16_64 3
		.amdhsa_dx10_clamp 1
		.amdhsa_ieee_mode 1
		.amdhsa_fp16_overflow 0
		.amdhsa_workgroup_processor_mode 1
		.amdhsa_memory_ordered 1
		.amdhsa_forward_progress 0
		.amdhsa_shared_vgpr_count 0
		.amdhsa_exception_fp_ieee_invalid_op 0
		.amdhsa_exception_fp_denorm_src 0
		.amdhsa_exception_fp_ieee_div_zero 0
		.amdhsa_exception_fp_ieee_overflow 0
		.amdhsa_exception_fp_ieee_underflow 0
		.amdhsa_exception_fp_ieee_inexact 0
		.amdhsa_exception_int_div_zero 0
	.end_amdhsa_kernel
	.section	.text._Z35paged_attention_ll4mi_reduce_kernelIDF16_hLi64ELi64ELi256ELi2EEvPT0_PKfS3_PKT_PKiS8_iS3_,"axG",@progbits,_Z35paged_attention_ll4mi_reduce_kernelIDF16_hLi64ELi64ELi256ELi2EEvPT0_PKfS3_PKT_PKiS8_iS3_,comdat
.Lfunc_end19:
	.size	_Z35paged_attention_ll4mi_reduce_kernelIDF16_hLi64ELi64ELi256ELi2EEvPT0_PKfS3_PKT_PKiS8_iS3_, .Lfunc_end19-_Z35paged_attention_ll4mi_reduce_kernelIDF16_hLi64ELi64ELi256ELi2EEvPT0_PKfS3_PKT_PKiS8_iS3_
                                        ; -- End function
	.section	.AMDGPU.csdata,"",@progbits
; Kernel info:
; codeLenInByte = 5340
; NumSgprs: 54
; NumVgprs: 48
; ScratchSize: 0
; MemoryBound: 0
; FloatMode: 240
; IeeeMode: 1
; LDSByteSize: 260 bytes/workgroup (compile time only)
; SGPRBlocks: 6
; VGPRBlocks: 5
; NumSGPRsForWavesPerEU: 54
; NumVGPRsForWavesPerEU: 48
; Occupancy: 16
; WaveLimiterHint : 0
; COMPUTE_PGM_RSRC2:SCRATCH_EN: 0
; COMPUTE_PGM_RSRC2:USER_SGPR: 14
; COMPUTE_PGM_RSRC2:TRAP_HANDLER: 0
; COMPUTE_PGM_RSRC2:TGID_X_EN: 1
; COMPUTE_PGM_RSRC2:TGID_Y_EN: 1
; COMPUTE_PGM_RSRC2:TGID_Z_EN: 0
; COMPUTE_PGM_RSRC2:TIDIG_COMP_CNT: 0
	.section	.text._Z35paged_attention_ll4mi_reduce_kernelIDF16_hLi64ELi64ELi256ELi3EEvPT0_PKfS3_PKT_PKiS8_iS3_,"axG",@progbits,_Z35paged_attention_ll4mi_reduce_kernelIDF16_hLi64ELi64ELi256ELi3EEvPT0_PKfS3_PKT_PKiS8_iS3_,comdat
	.protected	_Z35paged_attention_ll4mi_reduce_kernelIDF16_hLi64ELi64ELi256ELi3EEvPT0_PKfS3_PKT_PKiS8_iS3_ ; -- Begin function _Z35paged_attention_ll4mi_reduce_kernelIDF16_hLi64ELi64ELi256ELi3EEvPT0_PKfS3_PKT_PKiS8_iS3_
	.globl	_Z35paged_attention_ll4mi_reduce_kernelIDF16_hLi64ELi64ELi256ELi3EEvPT0_PKfS3_PKT_PKiS8_iS3_
	.p2align	8
	.type	_Z35paged_attention_ll4mi_reduce_kernelIDF16_hLi64ELi64ELi256ELi3EEvPT0_PKfS3_PKT_PKiS8_iS3_,@function
_Z35paged_attention_ll4mi_reduce_kernelIDF16_hLi64ELi64ELi256ELi3EEvPT0_PKfS3_PKT_PKiS8_iS3_: ; @_Z35paged_attention_ll4mi_reduce_kernelIDF16_hLi64ELi64ELi256ELi3EEvPT0_PKfS3_PKT_PKiS8_iS3_
; %bb.0:
	s_load_b64 s[12:13], s[0:1], 0x28
	s_mov_b32 s2, s15
	s_waitcnt lgkmcnt(0)
	s_cmp_lg_u64 s[12:13], 0
	s_cselect_b32 s15, -1, 0
	s_delay_alu instid0(SALU_CYCLE_1)
	s_and_b32 vcc_lo, exec_lo, s15
	s_cbranch_vccz .LBB20_17
; %bb.1:
	s_add_i32 s4, s2, 1
	s_mov_b32 s5, 0
	s_delay_alu instid0(SALU_CYCLE_1) | instskip(SKIP_4) | instid1(SALU_CYCLE_1)
	s_lshl_b64 s[6:7], s[4:5], 2
	s_mov_b32 s3, s5
	s_add_u32 s6, s12, s6
	s_addc_u32 s7, s13, s7
	s_lshl_b64 s[8:9], s[2:3], 2
	s_add_u32 s8, s12, s8
	s_addc_u32 s9, s13, s9
	s_clause 0x1
	s_load_b32 s4, s[6:7], 0x0
	s_load_b32 s6, s[8:9], 0x0
	s_waitcnt lgkmcnt(0)
	s_sub_i32 s4, s4, s6
	s_delay_alu instid0(SALU_CYCLE_1)
	s_cmp_eq_u32 s4, 1
	s_cselect_b32 s4, -1, 0
	s_cbranch_execnz .LBB20_3
.LBB20_2:
	s_mov_b32 s3, 0
	s_mov_b32 s4, -1
.LBB20_3:
	s_delay_alu instid0(SALU_CYCLE_1)
	s_and_not1_b32 vcc_lo, exec_lo, s4
	s_cbranch_vccz .LBB20_5
; %bb.4:
	s_endpgm
.LBB20_5:
	s_clause 0x1
	s_load_b128 s[4:7], s[0:1], 0x18
	s_load_b32 s9, s[0:1], 0x30
	s_lshl_b64 s[16:17], s[2:3], 2
	s_waitcnt lgkmcnt(0)
	s_add_u32 s6, s6, s16
	s_addc_u32 s7, s7, s17
	s_load_b32 s20, s[6:7], 0x0
	s_load_b32 s33, s[0:1], 0x40
	s_mul_i32 s7, s2, s9
	s_waitcnt lgkmcnt(0)
	s_add_i32 s48, s20, 0xff
	s_delay_alu instid0(SALU_CYCLE_1) | instskip(NEXT) | instid1(SALU_CYCLE_1)
	s_ashr_i32 s6, s48, 31
	s_lshr_b32 s6, s6, 24
	s_delay_alu instid0(SALU_CYCLE_1) | instskip(SKIP_4) | instid1(SALU_CYCLE_1)
	s_add_i32 s8, s48, s6
	s_mul_i32 s6, s14, s9
	s_mov_b32 s9, exec_lo
	v_cmpx_lt_u32_e32 31, v0
	s_xor_b32 s9, exec_lo, s9
	s_or_saveexec_b32 s22, s9
	v_mov_b32_e32 v1, s6
	s_ashr_i32 s21, s8, 8
	s_mul_i32 s18, s7, s33
	s_xor_b32 exec_lo, exec_lo, s22
	s_cbranch_execz .LBB20_9
; %bb.6:
	s_load_b128 s[8:11], s[0:1], 0x8
	v_or_b32_e32 v2, 32, v0
	v_cmp_gt_i32_e32 vcc_lo, s21, v0
	s_add_i32 s7, s21, -1
	v_or_b32_e32 v4, 64, v0
	s_mov_b32 s19, 0
	v_cndmask_b32_e32 v1, s7, v0, vcc_lo
	v_cmp_gt_i32_e32 vcc_lo, s21, v2
	s_lshl_b64 s[24:25], s[18:19], 2
	v_cndmask_b32_e32 v3, s7, v2, vcc_lo
	v_cmp_gt_i32_e32 vcc_lo, s21, v4
	v_ashrrev_i32_e32 v2, 31, v1
	v_cndmask_b32_e32 v5, s7, v4, vcc_lo
	s_delay_alu instid0(VALU_DEP_4) | instskip(SKIP_1) | instid1(VALU_DEP_3)
	v_ashrrev_i32_e32 v4, 31, v3
	s_mov_b32 s7, s19
	v_lshlrev_b64 v[1:2], 2, v[1:2]
	s_waitcnt lgkmcnt(0)
	s_add_u32 s19, s10, s24
	v_ashrrev_i32_e32 v6, 31, v5
	s_addc_u32 s23, s11, s25
	s_lshl_b64 s[10:11], s[6:7], 2
	v_lshlrev_b64 v[3:4], 2, v[3:4]
	s_add_u32 s7, s19, s10
	s_addc_u32 s19, s23, s11
	v_add_co_u32 v7, vcc_lo, s7, v1
	v_lshlrev_b64 v[5:6], 2, v[5:6]
	v_add_co_ci_u32_e32 v8, vcc_lo, s19, v2, vcc_lo
	v_add_co_u32 v9, vcc_lo, s7, v3
	v_add_co_ci_u32_e32 v10, vcc_lo, s19, v4, vcc_lo
	s_delay_alu instid0(VALU_DEP_4)
	v_add_co_u32 v11, vcc_lo, s7, v5
	v_add_co_ci_u32_e32 v12, vcc_lo, s19, v6, vcc_lo
	s_clause 0x2
	global_load_b32 v7, v[7:8], off
	global_load_b32 v8, v[9:10], off
	;; [unrolled: 1-line block ×3, first 2 shown]
	s_add_u32 s7, s8, s24
	s_addc_u32 s8, s9, s25
	s_add_u32 s7, s7, s10
	s_addc_u32 s8, s8, s11
	v_add_co_u32 v1, vcc_lo, s7, v1
	v_add_co_ci_u32_e32 v2, vcc_lo, s8, v2, vcc_lo
	v_add_co_u32 v3, vcc_lo, s7, v3
	v_add_co_ci_u32_e32 v4, vcc_lo, s8, v4, vcc_lo
	;; [unrolled: 2-line block ×3, first 2 shown]
	s_clause 0x2
	global_load_b32 v1, v[1:2], off
	global_load_b32 v2, v[3:4], off
	;; [unrolled: 1-line block ×3, first 2 shown]
	v_mbcnt_lo_u32_b32 v4, -1, 0
	s_mov_b32 s7, exec_lo
	s_delay_alu instid0(VALU_DEP_1)
	v_xor_b32_e32 v5, 16, v4
	v_xor_b32_e32 v11, 8, v4
	;; [unrolled: 1-line block ×5, first 2 shown]
	v_cmp_gt_i32_e32 vcc_lo, 32, v5
	v_cndmask_b32_e32 v5, v4, v5, vcc_lo
	v_cmp_gt_i32_e32 vcc_lo, 32, v11
	v_cndmask_b32_e32 v11, v4, v11, vcc_lo
	v_cmp_gt_i32_e32 vcc_lo, 32, v12
	s_delay_alu instid0(VALU_DEP_4) | instskip(NEXT) | instid1(VALU_DEP_3)
	v_lshlrev_b32_e32 v5, 2, v5
	v_dual_cndmask_b32 v12, v4, v12 :: v_dual_lshlrev_b32 v11, 2, v11
	v_cmp_gt_i32_e32 vcc_lo, 32, v13
	s_delay_alu instid0(VALU_DEP_2)
	v_lshlrev_b32_e32 v12, 2, v12
	s_waitcnt vmcnt(3)
	v_max3_f32 v6, v7, v8, v9
	ds_bpermute_b32 v10, v5, v6
	s_waitcnt lgkmcnt(0)
	v_max_f32_e32 v10, v10, v10
	s_delay_alu instid0(VALU_DEP_1) | instskip(SKIP_3) | instid1(VALU_DEP_1)
	v_max_f32_e32 v6, v6, v10
	ds_bpermute_b32 v10, v11, v6
	s_waitcnt lgkmcnt(0)
	v_max_f32_e32 v10, v10, v10
	v_max_f32_e32 v6, v6, v10
	ds_bpermute_b32 v10, v12, v6
	s_waitcnt lgkmcnt(0)
	v_dual_max_f32 v10, v10, v10 :: v_dual_cndmask_b32 v13, v4, v13
	v_cmp_gt_i32_e32 vcc_lo, 32, v14
	s_delay_alu instid0(VALU_DEP_2)
	v_dual_max_f32 v6, v6, v10 :: v_dual_lshlrev_b32 v13, 2, v13
	v_cndmask_b32_e32 v4, v4, v14, vcc_lo
	ds_bpermute_b32 v10, v13, v6
	v_lshlrev_b32_e32 v4, 2, v4
	s_waitcnt lgkmcnt(0)
	v_max_f32_e32 v10, v10, v10
	s_delay_alu instid0(VALU_DEP_1) | instskip(SKIP_3) | instid1(VALU_DEP_1)
	v_max_f32_e32 v6, v6, v10
	ds_bpermute_b32 v10, v4, v6
	s_waitcnt lgkmcnt(0)
	v_max_f32_e32 v10, v10, v10
	v_max_f32_e32 v6, v6, v10
	s_delay_alu instid0(VALU_DEP_1) | instskip(NEXT) | instid1(VALU_DEP_1)
	v_sub_f32_e32 v8, v8, v6
	v_mul_f32_e32 v10, 0x3fb8aa3b, v8
	s_delay_alu instid0(VALU_DEP_1) | instskip(SKIP_1) | instid1(VALU_DEP_2)
	v_fma_f32 v17, 0x3fb8aa3b, v8, -v10
	v_rndne_f32_e32 v18, v10
	v_fmac_f32_e32 v17, 0x32a5705f, v8
	v_sub_f32_e32 v7, v7, v6
	s_delay_alu instid0(VALU_DEP_1) | instskip(SKIP_1) | instid1(VALU_DEP_1)
	v_cmp_ngt_f32_e32 vcc_lo, 0xc2ce8ed0, v7
	v_dual_sub_f32 v6, v9, v6 :: v_dual_mul_f32 v9, 0x3fb8aa3b, v7
	v_fma_f32 v15, 0x3fb8aa3b, v7, -v9
	v_rndne_f32_e32 v16, v9
	s_delay_alu instid0(VALU_DEP_2) | instskip(NEXT) | instid1(VALU_DEP_2)
	v_fmac_f32_e32 v15, 0x32a5705f, v7
	v_sub_f32_e32 v9, v9, v16
	s_delay_alu instid0(VALU_DEP_1) | instskip(SKIP_2) | instid1(VALU_DEP_3)
	v_add_f32_e32 v9, v9, v15
	v_cvt_i32_f32_e32 v15, v16
	v_cvt_i32_f32_e32 v16, v18
	v_exp_f32_e32 v9, v9
	s_waitcnt_depctr 0xfff
	v_ldexp_f32 v9, v9, v15
	v_sub_nc_u32_e32 v15, s21, v0
	s_delay_alu instid0(VALU_DEP_2) | instskip(SKIP_2) | instid1(VALU_DEP_3)
	v_dual_cndmask_b32 v9, 0, v9 :: v_dual_mul_f32 v14, 0x3fb8aa3b, v6
	v_sub_f32_e32 v10, v10, v18
	v_cmp_ngt_f32_e32 vcc_lo, 0xc2ce8ed0, v8
	v_fma_f32 v19, 0x3fb8aa3b, v6, -v14
	v_rndne_f32_e32 v20, v14
	s_delay_alu instid0(VALU_DEP_2) | instskip(NEXT) | instid1(VALU_DEP_2)
	v_dual_add_f32 v10, v10, v17 :: v_dual_fmac_f32 v19, 0x32a5705f, v6
	v_sub_f32_e32 v14, v14, v20
	s_delay_alu instid0(VALU_DEP_2) | instskip(SKIP_1) | instid1(VALU_DEP_2)
	v_exp_f32_e32 v10, v10
	v_cvt_i32_f32_e32 v17, v20
	v_add_f32_e32 v14, v14, v19
	s_delay_alu instid0(VALU_DEP_1) | instskip(SKIP_2) | instid1(VALU_DEP_1)
	v_exp_f32_e32 v14, v14
	s_waitcnt_depctr 0xfff
	v_ldexp_f32 v10, v10, v16
	v_cndmask_b32_e32 v10, 0, v10, vcc_lo
	v_cmp_ngt_f32_e32 vcc_lo, 0xc2ce8ed0, v6
	v_ldexp_f32 v14, v14, v17
	s_delay_alu instid0(VALU_DEP_1)
	v_cndmask_b32_e32 v14, 0, v14, vcc_lo
	v_cmp_nlt_f32_e32 vcc_lo, 0x42b17218, v7
	v_cndmask_b32_e32 v7, 0x7f800000, v9, vcc_lo
	v_cmp_nlt_f32_e32 vcc_lo, 0x42b17218, v8
	;; [unrolled: 2-line block ×3, first 2 shown]
	v_cndmask_b32_e32 v6, 0x7f800000, v14, vcc_lo
	v_cmp_lt_i32_e32 vcc_lo, 0, v15
	v_cndmask_b32_e32 v7, 0, v7, vcc_lo
	v_cmp_lt_i32_e32 vcc_lo, 32, v15
	s_waitcnt vmcnt(2)
	s_delay_alu instid0(VALU_DEP_2) | instskip(SKIP_2) | instid1(VALU_DEP_2)
	v_dual_mul_f32 v7, v1, v7 :: v_dual_cndmask_b32 v8, 0, v8
	v_cmp_lt_i32_e32 vcc_lo, 64, v15
	s_waitcnt vmcnt(1)
	v_mul_f32_e32 v8, v2, v8
	s_delay_alu instid0(VALU_DEP_1) | instskip(SKIP_1) | instid1(VALU_DEP_1)
	v_dual_cndmask_b32 v6, 0, v6 :: v_dual_add_f32 v1, v7, v8
	s_waitcnt vmcnt(0)
	v_mul_f32_e32 v3, v3, v6
	s_delay_alu instid0(VALU_DEP_1)
	v_add_f32_e32 v1, v1, v3
	ds_bpermute_b32 v2, v5, v1
	s_waitcnt lgkmcnt(0)
	v_add_f32_e32 v1, v1, v2
	ds_bpermute_b32 v2, v11, v1
	s_waitcnt lgkmcnt(0)
	;; [unrolled: 3-line block ×4, first 2 shown]
	v_add_f32_e32 v1, v1, v2
	ds_bpermute_b32 v2, v4, v1
	v_lshlrev_b32_e32 v4, 2, v0
	ds_store_2addr_b32 v4, v7, v8 offset1:32
	ds_store_b32 v4, v3 offset:256
	v_cmpx_eq_u32_e32 0, v0
	s_cbranch_execz .LBB20_8
; %bb.7:
	s_waitcnt lgkmcnt(2)
	v_dual_add_f32 v1, v1, v2 :: v_dual_mov_b32 v2, 0
	ds_store_b32 v2, v1 offset:384
.LBB20_8:
	s_or_b32 exec_lo, exec_lo, s7
	v_mov_b32_e32 v1, s6
.LBB20_9:
	s_or_b32 exec_lo, exec_lo, s22
	s_lshl_b32 s6, s18, 6
	s_mov_b32 s7, 0
	s_waitcnt lgkmcnt(2)
	v_dual_mov_b32 v2, 0 :: v_dual_lshlrev_b32 v1, 6, v1
	s_lshl_b64 s[6:7], s[6:7], 1
	v_dual_mov_b32 v29, 0 :: v_dual_mov_b32 v30, 0
	s_add_u32 s34, s4, s6
	s_addc_u32 s35, s5, s7
	s_lshl_b32 s4, s21, 6
	v_lshlrev_b64 v[3:4], 1, v[1:2]
	s_sub_i32 s49, s4, 64
	s_cmpk_lt_i32 s48, 0x100
	v_lshlrev_b32_e32 v1, 1, v0
	s_cselect_b32 s4, s49, 0
	v_dual_mov_b32 v31, 0 :: v_dual_mov_b32 v32, 0
	s_ashr_i32 s5, s4, 31
	v_add_co_u32 v3, vcc_lo, s34, v3
	s_lshl_b64 s[4:5], s[4:5], 1
	s_cmpk_lt_i32 s48, 0x200
	v_add_co_ci_u32_e32 v4, vcc_lo, s35, v4, vcc_lo
	s_cselect_b32 s6, s49, 64
	v_add_co_u32 v1, vcc_lo, v3, v1
	s_ashr_i32 s7, s6, 31
	s_delay_alu instid0(VALU_DEP_2)
	v_add_co_ci_u32_e32 v3, vcc_lo, 0, v4, vcc_lo
	s_lshl_b64 s[6:7], s[6:7], 1
	s_cmpk_lt_i32 s48, 0x300
	v_add_co_u32 v4, vcc_lo, v1, s4
	s_cselect_b32 s8, s49, 0x80
	v_add_co_ci_u32_e32 v5, vcc_lo, s5, v3, vcc_lo
	s_ashr_i32 s9, s8, 31
	v_add_co_u32 v8, vcc_lo, v1, s6
	s_lshl_b64 s[8:9], s[8:9], 1
	s_cmpk_lt_i32 s48, 0x400
	v_add_co_ci_u32_e32 v9, vcc_lo, s7, v3, vcc_lo
	s_cselect_b32 s10, s49, 0xc0
	v_add_co_u32 v10, vcc_lo, v1, s8
	s_ashr_i32 s11, s10, 31
	v_add_co_ci_u32_e32 v11, vcc_lo, s9, v3, vcc_lo
	s_lshl_b64 s[10:11], s[10:11], 1
	s_cmpk_lt_i32 s48, 0x500
	v_add_co_u32 v12, vcc_lo, v1, s10
	s_cselect_b32 s18, s49, 0x100
	v_add_co_ci_u32_e32 v13, vcc_lo, s11, v3, vcc_lo
	s_ashr_i32 s19, s18, 31
	v_dual_mov_b32 v33, 0 :: v_dual_mov_b32 v34, 0
	s_lshl_b64 s[18:19], s[18:19], 1
	s_cmpk_lt_i32 s48, 0x600
	v_add_co_u32 v14, vcc_lo, v1, s18
	s_cselect_b32 s22, s49, 0x140
	v_add_co_ci_u32_e32 v15, vcc_lo, s19, v3, vcc_lo
	s_ashr_i32 s23, s22, 31
	v_mov_b32_e32 v35, 0
	s_lshl_b64 s[22:23], s[22:23], 1
	s_cmpk_lt_i32 s48, 0x700
	v_add_co_u32 v16, vcc_lo, v1, s22
	s_cselect_b32 s24, s49, 0x180
	v_add_co_ci_u32_e32 v17, vcc_lo, s23, v3, vcc_lo
	s_ashr_i32 s25, s24, 31
	s_delay_alu instid0(SALU_CYCLE_1)
	s_lshl_b64 s[24:25], s[24:25], 1
	s_cmpk_lt_i32 s48, 0x800
	v_add_co_u32 v18, vcc_lo, v1, s24
	s_cselect_b32 s26, s49, 0x1c0
	v_add_co_ci_u32_e32 v19, vcc_lo, s25, v3, vcc_lo
	s_ashr_i32 s27, s26, 31
	s_delay_alu instid0(SALU_CYCLE_1)
	s_lshl_b64 s[26:27], s[26:27], 1
	s_cmpk_lt_i32 s48, 0x900
	v_add_co_u32 v20, vcc_lo, v1, s26
	s_cselect_b32 s28, s49, 0x200
	v_add_co_ci_u32_e32 v21, vcc_lo, s27, v3, vcc_lo
	s_ashr_i32 s29, s28, 31
	s_clause 0x7
	global_load_u16 v7, v[4:5], off
	global_load_u16 v8, v[8:9], off
	;; [unrolled: 1-line block ×8, first 2 shown]
	s_lshl_b64 s[28:29], s[28:29], 1
	s_cmpk_lt_i32 s48, 0xa00
	v_add_co_u32 v12, vcc_lo, v1, s28
	s_cselect_b32 s30, s49, 0x240
	v_add_co_ci_u32_e32 v13, vcc_lo, s29, v3, vcc_lo
	s_ashr_i32 s31, s30, 31
	s_delay_alu instid0(SALU_CYCLE_1)
	s_lshl_b64 s[30:31], s[30:31], 1
	s_cmpk_lt_i32 s48, 0xb00
	v_add_co_u32 v15, vcc_lo, v1, s30
	s_cselect_b32 s34, s49, 0x280
	v_add_co_ci_u32_e32 v16, vcc_lo, s31, v3, vcc_lo
	s_ashr_i32 s35, s34, 31
	s_delay_alu instid0(SALU_CYCLE_1)
	s_lshl_b64 s[4:5], s[34:35], 1
	s_cmpk_lt_i32 s48, 0xc00
	v_add_co_u32 v17, vcc_lo, v1, s4
	s_cselect_b32 s6, s49, 0x2c0
	v_add_co_ci_u32_e32 v18, vcc_lo, s5, v3, vcc_lo
	s_ashr_i32 s7, s6, 31
	s_delay_alu instid0(SALU_CYCLE_1)
	s_lshl_b64 s[6:7], s[6:7], 1
	s_cmpk_lt_i32 s48, 0xd00
	v_add_co_u32 v19, vcc_lo, v1, s6
	s_cselect_b32 s8, s49, 0x300
	v_add_co_ci_u32_e32 v20, vcc_lo, s7, v3, vcc_lo
	s_ashr_i32 s9, s8, 31
	s_delay_alu instid0(SALU_CYCLE_1)
	s_lshl_b64 s[8:9], s[8:9], 1
	s_cmpk_lt_i32 s48, 0xe00
	v_add_co_u32 v21, vcc_lo, v1, s8
	s_cselect_b32 s10, s49, 0x340
	v_add_co_ci_u32_e32 v22, vcc_lo, s9, v3, vcc_lo
	s_ashr_i32 s11, s10, 31
	s_delay_alu instid0(SALU_CYCLE_1)
	s_lshl_b64 s[10:11], s[10:11], 1
	s_cmpk_lt_i32 s48, 0xf00
	v_add_co_u32 v23, vcc_lo, v1, s10
	s_cselect_b32 s18, s49, 0x380
	v_add_co_ci_u32_e32 v24, vcc_lo, s11, v3, vcc_lo
	s_ashr_i32 s19, s18, 31
	s_delay_alu instid0(SALU_CYCLE_1)
	s_lshl_b64 s[4:5], s[18:19], 1
	s_cmpk_lt_i32 s48, 0x1000
	v_add_co_u32 v25, vcc_lo, v1, s4
	s_cselect_b32 s6, s49, 0x3c0
	v_add_co_ci_u32_e32 v26, vcc_lo, s5, v3, vcc_lo
	s_ashr_i32 s7, s6, 31
	s_delay_alu instid0(SALU_CYCLE_1)
	s_lshl_b64 s[4:5], s[6:7], 1
	s_cmpk_gt_i32 s20, 0x1000
	v_add_co_u32 v27, vcc_lo, v1, s4
	v_add_co_ci_u32_e32 v28, vcc_lo, s5, v3, vcc_lo
	s_clause 0x7
	global_load_u16 v14, v[12:13], off
	global_load_u16 v15, v[15:16], off
	;; [unrolled: 1-line block ×8, first 2 shown]
	v_dual_mov_b32 v20, 0 :: v_dual_mov_b32 v21, 0
	v_dual_mov_b32 v22, 0 :: v_dual_mov_b32 v23, 0
	;; [unrolled: 1-line block ×4, first 2 shown]
	v_mov_b32_e32 v28, 0
	s_cselect_b32 s8, -1, 0
	s_cmpk_lt_i32 s20, 0x1001
	s_waitcnt vmcnt(0) lgkmcnt(0)
	s_barrier
	buffer_gl0_inv
	s_cbranch_scc1 .LBB20_11
; %bb.10:
	s_cmpk_lt_i32 s48, 0x1100
	s_cselect_b32 s4, s49, 0x400
	s_delay_alu instid0(SALU_CYCLE_1) | instskip(NEXT) | instid1(SALU_CYCLE_1)
	s_ashr_i32 s5, s4, 31
	s_lshl_b64 s[4:5], s[4:5], 1
	s_cmpk_lt_i32 s48, 0x1200
	v_add_co_u32 v20, vcc_lo, v1, s4
	s_cselect_b32 s6, s49, 0x440
	v_add_co_ci_u32_e32 v21, vcc_lo, s5, v3, vcc_lo
	s_ashr_i32 s7, s6, 31
	s_delay_alu instid0(SALU_CYCLE_1)
	s_lshl_b64 s[6:7], s[6:7], 1
	s_cmpk_lt_i32 s48, 0x1300
	v_add_co_u32 v22, vcc_lo, v1, s6
	s_cselect_b32 s10, s49, 0x480
	v_add_co_ci_u32_e32 v23, vcc_lo, s7, v3, vcc_lo
	s_ashr_i32 s11, s10, 31
	s_delay_alu instid0(SALU_CYCLE_1)
	;; [unrolled: 7-line block ×7, first 2 shown]
	s_lshl_b64 s[26:27], s[26:27], 1
	s_cmpk_lt_i32 s48, 0x1900
	v_add_co_u32 v34, vcc_lo, v1, s26
	s_cselect_b32 s28, s49, 0x600
	v_add_co_ci_u32_e32 v35, vcc_lo, s27, v3, vcc_lo
	s_ashr_i32 s29, s28, 31
	s_clause 0x7
	global_load_u16 v36, v[20:21], off
	global_load_u16 v37, v[22:23], off
	;; [unrolled: 1-line block ×8, first 2 shown]
	s_lshl_b64 s[28:29], s[28:29], 1
	s_cmpk_lt_i32 s48, 0x1a00
	v_add_co_u32 v20, vcc_lo, v1, s28
	s_cselect_b32 s30, s49, 0x640
	v_add_co_ci_u32_e32 v21, vcc_lo, s29, v3, vcc_lo
	s_ashr_i32 s31, s30, 31
	s_delay_alu instid0(SALU_CYCLE_1)
	s_lshl_b64 s[30:31], s[30:31], 1
	s_cmpk_lt_i32 s48, 0x1b00
	v_add_co_u32 v22, vcc_lo, v1, s30
	s_cselect_b32 s34, s49, 0x680
	v_add_co_ci_u32_e32 v23, vcc_lo, s31, v3, vcc_lo
	s_ashr_i32 s35, s34, 31
	s_delay_alu instid0(SALU_CYCLE_1)
	;; [unrolled: 7-line block ×6, first 2 shown]
	s_lshl_b64 s[4:5], s[20:21], 1
	s_cmpk_lt_i32 s48, 0x2000
	v_add_co_u32 v32, vcc_lo, v1, s4
	s_cselect_b32 s6, s49, 0x7c0
	v_add_co_ci_u32_e32 v33, vcc_lo, s5, v3, vcc_lo
	s_ashr_i32 s7, s6, 31
	s_delay_alu instid0(SALU_CYCLE_1) | instskip(NEXT) | instid1(SALU_CYCLE_1)
	s_lshl_b64 s[4:5], s[6:7], 1
	v_add_co_u32 v34, vcc_lo, v1, s4
	v_add_co_ci_u32_e32 v35, vcc_lo, s5, v3, vcc_lo
	s_clause 0x7
	global_load_u16 v20, v[20:21], off
	global_load_u16 v21, v[22:23], off
	;; [unrolled: 1-line block ×8, first 2 shown]
	s_waitcnt vmcnt(15)
	v_cvt_f32_f16_e32 v35, v36
	s_waitcnt vmcnt(14)
	v_cvt_f32_f16_e32 v34, v37
	;; [unrolled: 2-line block ×16, first 2 shown]
.LBB20_11:
	ds_load_b128 v[36:39], v2
	ds_load_b128 v[40:43], v2 offset:16
	s_and_not1_b32 vcc_lo, exec_lo, s8
	s_waitcnt lgkmcnt(1)
	v_fma_mix_f32 v7, v36, v7, 0 op_sel_hi:[0,1,0]
	s_delay_alu instid0(VALU_DEP_1) | instskip(NEXT) | instid1(VALU_DEP_1)
	v_fma_mix_f32 v7, v37, v8, v7 op_sel_hi:[0,1,0]
	v_fma_mix_f32 v7, v38, v9, v7 op_sel_hi:[0,1,0]
	s_delay_alu instid0(VALU_DEP_1)
	v_fma_mix_f32 v7, v39, v10, v7 op_sel_hi:[0,1,0]
	ds_load_b128 v[36:39], v2 offset:48
	s_waitcnt lgkmcnt(1)
	v_fma_mix_f32 v11, v40, v11, v7 op_sel_hi:[0,1,0]
	ds_load_b128 v[7:10], v2 offset:32
	v_fma_mix_f32 v4, v41, v4, v11 op_sel_hi:[0,1,0]
	s_delay_alu instid0(VALU_DEP_1) | instskip(NEXT) | instid1(VALU_DEP_1)
	v_fma_mix_f32 v4, v42, v5, v4 op_sel_hi:[0,1,0]
	v_fma_mix_f32 v4, v43, v6, v4 op_sel_hi:[0,1,0]
	s_waitcnt lgkmcnt(0)
	s_delay_alu instid0(VALU_DEP_1) | instskip(NEXT) | instid1(VALU_DEP_1)
	v_fma_mix_f32 v4, v7, v14, v4 op_sel_hi:[0,1,0]
	v_fma_mix_f32 v4, v8, v15, v4 op_sel_hi:[0,1,0]
	s_delay_alu instid0(VALU_DEP_1) | instskip(NEXT) | instid1(VALU_DEP_1)
	v_fma_mix_f32 v4, v9, v16, v4 op_sel_hi:[0,1,0]
	v_fma_mix_f32 v4, v10, v17, v4 op_sel_hi:[0,1,0]
	s_delay_alu instid0(VALU_DEP_1) | instskip(NEXT) | instid1(VALU_DEP_1)
	v_fma_mix_f32 v4, v36, v18, v4 op_sel_hi:[0,1,0]
	v_fma_mix_f32 v4, v37, v19, v4 op_sel_hi:[0,1,0]
	s_delay_alu instid0(VALU_DEP_1) | instskip(NEXT) | instid1(VALU_DEP_1)
	v_fma_mix_f32 v4, v38, v12, v4 op_sel_hi:[0,1,0]
	v_fma_mix_f32 v4, v39, v13, v4 op_sel_hi:[0,1,0]
	s_cbranch_vccz .LBB20_18
; %bb.12:
	s_cmpk_lt_i32 s48, 0x2100
	s_cbranch_scc0 .LBB20_19
.LBB20_13:
	s_load_b64 s[0:1], s[0:1], 0x0
	s_cmpk_lt_i32 s48, 0x4100
	s_cbranch_scc0 .LBB20_20
.LBB20_14:
	v_mov_b32_e32 v1, 0
	s_and_not1_b32 vcc_lo, exec_lo, s15
	ds_load_b32 v1, v1 offset:384
	s_cbranch_vccnz .LBB20_16
.LBB20_15:
	s_add_u32 s2, s12, s16
	s_addc_u32 s3, s13, s17
	s_load_b32 s2, s[2:3], 0x0
	s_mov_b32 s3, 0
.LBB20_16:
	s_waitcnt lgkmcnt(0)
	v_add_f32_e32 v1, 0x358637bd, v1
	s_mul_i32 s3, s33, s3
	s_mul_hi_u32 s4, s33, s2
	s_mul_i32 s2, s33, s2
	s_add_i32 s3, s4, s3
	v_div_scale_f32 v2, null, v1, v1, 1.0
	v_div_scale_f32 v6, vcc_lo, 1.0, v1, 1.0
	s_lshl_b64 s[2:3], s[2:3], 6
	s_delay_alu instid0(VALU_DEP_2) | instskip(SKIP_4) | instid1(SALU_CYCLE_1)
	v_rcp_f32_e32 v3, v2
	s_mov_b32 s15, 0
	s_add_u32 s2, s0, s2
	s_addc_u32 s3, s1, s3
	s_lshl_b64 s[0:1], s[14:15], 6
	s_add_u32 s0, s2, s0
	s_addc_u32 s1, s3, s1
	v_add_co_u32 v0, s0, s0, v0
	s_waitcnt_depctr 0xfff
	v_fma_f32 v5, -v2, v3, 1.0
	s_delay_alu instid0(VALU_DEP_1) | instskip(NEXT) | instid1(VALU_DEP_1)
	v_fmac_f32_e32 v3, v5, v3
	v_mul_f32_e32 v5, v6, v3
	s_delay_alu instid0(VALU_DEP_1) | instskip(NEXT) | instid1(VALU_DEP_1)
	v_fma_f32 v7, -v2, v5, v6
	v_fmac_f32_e32 v5, v7, v3
	s_delay_alu instid0(VALU_DEP_1) | instskip(NEXT) | instid1(VALU_DEP_1)
	v_fma_f32 v2, -v2, v5, v6
	v_div_fmas_f32 v2, v2, v3, v5
	s_delay_alu instid0(VALU_DEP_1) | instskip(NEXT) | instid1(VALU_DEP_1)
	v_div_fixup_f32 v1, v2, v1, 1.0
	v_fma_mixlo_f16 v1, v4, v1, 0
	s_delay_alu instid0(VALU_DEP_1)
	v_cvt_i16_f16_e32 v2, v1
	v_add_co_ci_u32_e64 v1, null, s1, 0, s0
	global_store_b8 v[0:1], v2, off
	s_nop 0
	s_sendmsg sendmsg(MSG_DEALLOC_VGPRS)
	s_endpgm
.LBB20_17:
	s_mov_b32 s4, 0
	s_branch .LBB20_2
.LBB20_18:
	ds_load_b128 v[5:8], v2 offset:64
	ds_load_b128 v[9:12], v2 offset:80
	s_waitcnt lgkmcnt(1)
	v_fmac_f32_e32 v4, v5, v35
	s_delay_alu instid0(VALU_DEP_1) | instskip(NEXT) | instid1(VALU_DEP_1)
	v_fmac_f32_e32 v4, v6, v34
	v_fmac_f32_e32 v4, v7, v33
	s_delay_alu instid0(VALU_DEP_1) | instskip(SKIP_3) | instid1(VALU_DEP_1)
	v_fmac_f32_e32 v4, v8, v32
	ds_load_b128 v[5:8], v2 offset:96
	s_waitcnt lgkmcnt(1)
	v_fmac_f32_e32 v4, v9, v31
	v_fmac_f32_e32 v4, v10, v30
	s_delay_alu instid0(VALU_DEP_1) | instskip(NEXT) | instid1(VALU_DEP_1)
	v_fmac_f32_e32 v4, v11, v29
	v_fmac_f32_e32 v4, v12, v28
	ds_load_b128 v[9:12], v2 offset:112
	s_waitcnt lgkmcnt(1)
	v_fmac_f32_e32 v4, v5, v27
	s_delay_alu instid0(VALU_DEP_1) | instskip(NEXT) | instid1(VALU_DEP_1)
	v_fmac_f32_e32 v4, v6, v26
	v_fmac_f32_e32 v4, v7, v25
	s_delay_alu instid0(VALU_DEP_1) | instskip(SKIP_1) | instid1(VALU_DEP_1)
	v_fmac_f32_e32 v4, v8, v24
	s_waitcnt lgkmcnt(0)
	v_fmac_f32_e32 v4, v9, v23
	s_delay_alu instid0(VALU_DEP_1) | instskip(NEXT) | instid1(VALU_DEP_1)
	v_fmac_f32_e32 v4, v10, v22
	v_fmac_f32_e32 v4, v11, v21
	s_delay_alu instid0(VALU_DEP_1)
	v_fmac_f32_e32 v4, v12, v20
	s_cmpk_lt_i32 s48, 0x2100
	s_cbranch_scc1 .LBB20_13
.LBB20_19:
	s_cmpk_lt_u32 s48, 0x2200
	v_add_co_u32 v5, vcc_lo, 0x1000, v1
	s_cselect_b32 s4, s49, 0x840
	v_add_co_ci_u32_e32 v6, vcc_lo, 0, v3, vcc_lo
	s_ashr_i32 s5, s4, 31
	v_mov_b32_e32 v44, 0
	s_lshl_b64 s[4:5], s[4:5], 1
	s_cmpk_lt_u32 s48, 0x2300
	v_add_co_u32 v7, vcc_lo, v1, s4
	s_cselect_b32 s6, s49, 0x880
	v_add_co_ci_u32_e32 v8, vcc_lo, s5, v3, vcc_lo
	s_ashr_i32 s7, s6, 31
	s_delay_alu instid0(SALU_CYCLE_1)
	s_lshl_b64 s[6:7], s[6:7], 1
	s_cmpk_lt_u32 s48, 0x2400
	v_add_co_u32 v9, vcc_lo, v1, s6
	s_cselect_b32 s8, s49, 0x8c0
	v_add_co_ci_u32_e32 v10, vcc_lo, s7, v3, vcc_lo
	s_ashr_i32 s9, s8, 31
	s_delay_alu instid0(SALU_CYCLE_1)
	;; [unrolled: 7-line block ×6, first 2 shown]
	s_lshl_b64 s[26:27], s[18:19], 1
	s_cmpk_lt_u32 s48, 0x2900
	v_add_co_u32 v19, vcc_lo, v1, s26
	s_cselect_b32 s18, s49, 0xa00
	v_add_co_ci_u32_e32 v20, vcc_lo, s27, v3, vcc_lo
	s_ashr_i32 s19, s18, 31
	s_clause 0x7
	global_load_u16 v2, v[5:6], off
	global_load_u16 v21, v[7:8], off
	;; [unrolled: 1-line block ×8, first 2 shown]
	s_lshl_b64 s[18:19], s[18:19], 1
	s_cmpk_lt_u32 s48, 0x2a00
	v_add_co_u32 v5, vcc_lo, v1, s18
	s_cselect_b32 s24, s49, 0xa40
	v_add_co_ci_u32_e32 v6, vcc_lo, s19, v3, vcc_lo
	s_ashr_i32 s25, s24, 31
	s_delay_alu instid0(SALU_CYCLE_1)
	s_lshl_b64 s[24:25], s[24:25], 1
	s_cmpk_lt_u32 s48, 0x2b00
	v_add_co_u32 v7, vcc_lo, v1, s24
	s_cselect_b32 s28, s49, 0xa80
	v_add_co_ci_u32_e32 v8, vcc_lo, s25, v3, vcc_lo
	s_ashr_i32 s29, s28, 31
	s_delay_alu instid0(SALU_CYCLE_1)
	;; [unrolled: 7-line block ×7, first 2 shown]
	s_lshl_b64 s[44:45], s[36:37], 1
	s_cmpk_lt_u32 s48, 0x3100
	v_add_co_u32 v19, vcc_lo, v1, s44
	s_cselect_b32 s36, s49, 0xc00
	v_add_co_ci_u32_e32 v20, vcc_lo, s45, v3, vcc_lo
	s_ashr_i32 s37, s36, 31
	s_clause 0x7
	global_load_u16 v28, v[5:6], off
	global_load_u16 v29, v[7:8], off
	;; [unrolled: 1-line block ×8, first 2 shown]
	s_lshl_b64 s[36:37], s[36:37], 1
	s_cmpk_lt_u32 s48, 0x3200
	v_add_co_u32 v5, vcc_lo, v1, s36
	s_cselect_b32 s42, s49, 0xc40
	v_add_co_ci_u32_e32 v6, vcc_lo, s37, v3, vcc_lo
	s_ashr_i32 s43, s42, 31
	s_delay_alu instid0(SALU_CYCLE_1)
	s_lshl_b64 s[42:43], s[42:43], 1
	s_cmpk_lt_u32 s48, 0x3300
	v_add_co_u32 v7, vcc_lo, v1, s42
	s_cselect_b32 s46, s49, 0xc80
	v_add_co_ci_u32_e32 v8, vcc_lo, s43, v3, vcc_lo
	s_ashr_i32 s47, s46, 31
	s_delay_alu instid0(SALU_CYCLE_1)
	;; [unrolled: 7-line block ×5, first 2 shown]
	s_lshl_b64 s[8:9], s[8:9], 1
	s_cmpk_lt_u32 s48, 0x3700
	v_add_co_u32 v15, vcc_lo, v1, s8
	s_cselect_b32 s10, s49, 0xd80
	v_add_co_ci_u32_e32 v16, vcc_lo, s9, v3, vcc_lo
	s_ashr_i32 s11, s10, 31
	s_clause 0x5
	global_load_u16 v19, v[5:6], off
	global_load_u16 v20, v[7:8], off
	;; [unrolled: 1-line block ×6, first 2 shown]
	s_lshl_b64 s[10:11], s[10:11], 1
	s_cmpk_lt_u32 s48, 0x3800
	v_add_co_u32 v5, vcc_lo, v1, s10
	s_cselect_b32 s18, s49, 0xdc0
	v_add_co_ci_u32_e32 v6, vcc_lo, s11, v3, vcc_lo
	s_ashr_i32 s19, s18, 31
	s_delay_alu instid0(SALU_CYCLE_1)
	s_lshl_b64 s[18:19], s[18:19], 1
	s_cmpk_lt_u32 s48, 0x3900
	v_add_co_u32 v7, vcc_lo, v1, s18
	s_cselect_b32 s20, s49, 0xe00
	v_add_co_ci_u32_e32 v8, vcc_lo, s19, v3, vcc_lo
	s_ashr_i32 s21, s20, 31
	global_load_u16 v16, v[5:6], off
	s_lshl_b64 s[20:21], s[20:21], 1
	global_load_u16 v37, v[7:8], off
	s_cmpk_lt_u32 s48, 0x3a00
	v_add_co_u32 v9, vcc_lo, v1, s20
	s_cselect_b32 s22, s49, 0xe40
	v_add_co_ci_u32_e32 v10, vcc_lo, s21, v3, vcc_lo
	s_ashr_i32 s23, s22, 31
	s_delay_alu instid0(SALU_CYCLE_1)
	s_lshl_b64 s[22:23], s[22:23], 1
	s_cmpk_lt_u32 s48, 0x3b00
	v_add_co_u32 v11, vcc_lo, v1, s22
	s_cselect_b32 s4, s49, 0xe80
	v_add_co_ci_u32_e32 v12, vcc_lo, s23, v3, vcc_lo
	s_ashr_i32 s5, s4, 31
	s_delay_alu instid0(SALU_CYCLE_1)
	s_lshl_b64 s[4:5], s[4:5], 1
	s_cmpk_lt_u32 s48, 0x3c00
	v_add_co_u32 v13, vcc_lo, v1, s4
	s_cselect_b32 s6, s49, 0xec0
	v_add_co_ci_u32_e32 v14, vcc_lo, s5, v3, vcc_lo
	s_ashr_i32 s7, s6, 31
	s_clause 0x2
	global_load_u16 v38, v[9:10], off
	global_load_u16 v39, v[11:12], off
	;; [unrolled: 1-line block ×3, first 2 shown]
	s_lshl_b64 s[6:7], s[6:7], 1
	s_cmpk_lt_u32 s48, 0x3d00
	v_add_co_u32 v5, vcc_lo, v1, s6
	s_cselect_b32 s8, s49, 0xf00
	v_add_co_ci_u32_e32 v6, vcc_lo, s7, v3, vcc_lo
	s_ashr_i32 s9, s8, 31
	s_delay_alu instid0(SALU_CYCLE_1)
	s_lshl_b64 s[4:5], s[8:9], 1
	s_cmpk_lt_u32 s48, 0x3e00
	v_add_co_u32 v7, vcc_lo, v1, s4
	s_cselect_b32 s8, s49, 0xf40
	v_add_co_ci_u32_e32 v8, vcc_lo, s5, v3, vcc_lo
	s_ashr_i32 s9, s8, 31
	global_load_u16 v14, v[5:6], off
	s_lshl_b64 s[8:9], s[8:9], 1
	s_cmpk_lt_u32 s48, 0x3f00
	v_add_co_u32 v9, vcc_lo, v1, s8
	s_cselect_b32 s6, s49, 0xf80
	v_add_co_ci_u32_e32 v10, vcc_lo, s9, v3, vcc_lo
	s_ashr_i32 s7, s6, 31
	s_clause 0x1
	global_load_u16 v40, v[7:8], off
	global_load_u16 v41, v[9:10], off
	s_lshl_b64 s[4:5], s[6:7], 1
	s_cmpk_lt_u32 s48, 0x4000
	v_add_co_u32 v5, vcc_lo, v1, s4
	s_cselect_b32 s6, s49, 0xfc0
	v_add_co_ci_u32_e32 v6, vcc_lo, s5, v3, vcc_lo
	s_ashr_i32 s7, s6, 31
	s_delay_alu instid0(SALU_CYCLE_1) | instskip(NEXT) | instid1(SALU_CYCLE_1)
	s_lshl_b64 s[4:5], s[6:7], 1
	v_add_co_u32 v7, vcc_lo, v1, s4
	v_add_co_ci_u32_e32 v8, vcc_lo, s5, v3, vcc_lo
	s_clause 0x1
	global_load_u16 v42, v[5:6], off
	global_load_u16 v43, v[7:8], off
	ds_load_b128 v[5:8], v44 offset:128
	ds_load_b128 v[9:12], v44 offset:144
	s_waitcnt vmcnt(31) lgkmcnt(1)
	v_fma_mix_f32 v2, v5, v2, v4 op_sel_hi:[0,1,0]
	s_waitcnt vmcnt(30)
	s_delay_alu instid0(VALU_DEP_1) | instskip(SKIP_1) | instid1(VALU_DEP_1)
	v_fma_mix_f32 v2, v6, v21, v2 op_sel_hi:[0,1,0]
	s_waitcnt vmcnt(29)
	v_fma_mix_f32 v2, v7, v22, v2 op_sel_hi:[0,1,0]
	ds_load_b128 v[4:7], v44 offset:160
	s_waitcnt vmcnt(28)
	v_fma_mix_f32 v2, v8, v23, v2 op_sel_hi:[0,1,0]
	s_waitcnt vmcnt(27) lgkmcnt(1)
	s_delay_alu instid0(VALU_DEP_1) | instskip(SKIP_1) | instid1(VALU_DEP_1)
	v_fma_mix_f32 v2, v9, v24, v2 op_sel_hi:[0,1,0]
	s_waitcnt vmcnt(26)
	v_fma_mix_f32 v2, v10, v25, v2 op_sel_hi:[0,1,0]
	s_waitcnt vmcnt(25)
	s_delay_alu instid0(VALU_DEP_1) | instskip(SKIP_4) | instid1(VALU_DEP_1)
	v_fma_mix_f32 v2, v11, v26, v2 op_sel_hi:[0,1,0]
	ds_load_b128 v[8:11], v44 offset:176
	s_waitcnt vmcnt(24)
	v_fma_mix_f32 v2, v12, v27, v2 op_sel_hi:[0,1,0]
	s_waitcnt vmcnt(23) lgkmcnt(1)
	v_fma_mix_f32 v2, v4, v28, v2 op_sel_hi:[0,1,0]
	s_waitcnt vmcnt(22)
	s_delay_alu instid0(VALU_DEP_1) | instskip(SKIP_1) | instid1(VALU_DEP_1)
	v_fma_mix_f32 v2, v5, v29, v2 op_sel_hi:[0,1,0]
	s_waitcnt vmcnt(21)
	v_fma_mix_f32 v2, v6, v30, v2 op_sel_hi:[0,1,0]
	s_waitcnt vmcnt(20)
	s_delay_alu instid0(VALU_DEP_1) | instskip(SKIP_4) | instid1(VALU_DEP_1)
	v_fma_mix_f32 v2, v7, v31, v2 op_sel_hi:[0,1,0]
	ds_load_b128 v[4:7], v44 offset:192
	s_waitcnt vmcnt(19) lgkmcnt(1)
	v_fma_mix_f32 v2, v8, v32, v2 op_sel_hi:[0,1,0]
	s_waitcnt vmcnt(18)
	v_fma_mix_f32 v2, v9, v33, v2 op_sel_hi:[0,1,0]
	s_waitcnt vmcnt(17)
	s_delay_alu instid0(VALU_DEP_1) | instskip(SKIP_1) | instid1(VALU_DEP_1)
	v_fma_mix_f32 v2, v10, v17, v2 op_sel_hi:[0,1,0]
	s_waitcnt vmcnt(16)
	v_fma_mix_f32 v2, v11, v18, v2 op_sel_hi:[0,1,0]
	ds_load_b128 v[8:11], v44 offset:208
	s_waitcnt vmcnt(15) lgkmcnt(1)
	v_fma_mix_f32 v2, v4, v19, v2 op_sel_hi:[0,1,0]
	s_waitcnt vmcnt(14)
	s_delay_alu instid0(VALU_DEP_1) | instskip(SKIP_1) | instid1(VALU_DEP_1)
	v_fma_mix_f32 v2, v5, v20, v2 op_sel_hi:[0,1,0]
	s_waitcnt vmcnt(13)
	v_fma_mix_f32 v2, v6, v34, v2 op_sel_hi:[0,1,0]
	s_waitcnt vmcnt(12)
	s_delay_alu instid0(VALU_DEP_1) | instskip(SKIP_4) | instid1(VALU_DEP_1)
	v_fma_mix_f32 v2, v7, v35, v2 op_sel_hi:[0,1,0]
	ds_load_b128 v[4:7], v44 offset:224
	s_waitcnt vmcnt(11) lgkmcnt(1)
	v_fma_mix_f32 v2, v8, v36, v2 op_sel_hi:[0,1,0]
	s_waitcnt vmcnt(10)
	v_fma_mix_f32 v2, v9, v15, v2 op_sel_hi:[0,1,0]
	s_waitcnt vmcnt(9)
	s_delay_alu instid0(VALU_DEP_1) | instskip(SKIP_1) | instid1(VALU_DEP_1)
	v_fma_mix_f32 v2, v10, v16, v2 op_sel_hi:[0,1,0]
	s_waitcnt vmcnt(8)
	v_fma_mix_f32 v2, v11, v37, v2 op_sel_hi:[0,1,0]
	ds_load_b128 v[8:11], v44 offset:240
	s_waitcnt vmcnt(7) lgkmcnt(1)
	v_fma_mix_f32 v2, v4, v38, v2 op_sel_hi:[0,1,0]
	s_waitcnt vmcnt(6)
	s_delay_alu instid0(VALU_DEP_1) | instskip(SKIP_1) | instid1(VALU_DEP_1)
	v_fma_mix_f32 v2, v5, v39, v2 op_sel_hi:[0,1,0]
	s_waitcnt vmcnt(5)
	v_fma_mix_f32 v2, v6, v13, v2 op_sel_hi:[0,1,0]
	s_waitcnt vmcnt(4)
	s_delay_alu instid0(VALU_DEP_1) | instskip(SKIP_1) | instid1(VALU_DEP_1)
	v_fma_mix_f32 v2, v7, v14, v2 op_sel_hi:[0,1,0]
	s_waitcnt vmcnt(3) lgkmcnt(0)
	v_fma_mix_f32 v2, v8, v40, v2 op_sel_hi:[0,1,0]
	s_waitcnt vmcnt(2)
	s_delay_alu instid0(VALU_DEP_1) | instskip(SKIP_1) | instid1(VALU_DEP_1)
	v_fma_mix_f32 v2, v9, v41, v2 op_sel_hi:[0,1,0]
	s_waitcnt vmcnt(1)
	v_fma_mix_f32 v2, v10, v42, v2 op_sel_hi:[0,1,0]
	s_waitcnt vmcnt(0)
	s_delay_alu instid0(VALU_DEP_1)
	v_fma_mix_f32 v4, v11, v43, v2 op_sel_hi:[0,1,0]
	s_load_b64 s[0:1], s[0:1], 0x0
	s_cmpk_lt_i32 s48, 0x4100
	s_cbranch_scc1 .LBB20_14
.LBB20_20:
	s_cmpk_lt_u32 s48, 0x4200
	v_add_co_u32 v5, vcc_lo, 0x2000, v1
	s_cselect_b32 s4, s49, 0x1040
	v_add_co_ci_u32_e32 v6, vcc_lo, 0, v3, vcc_lo
	s_ashr_i32 s5, s4, 31
	v_mov_b32_e32 v45, 0
	s_lshl_b64 s[4:5], s[4:5], 1
	s_cmpk_lt_u32 s48, 0x4300
	v_add_co_u32 v7, vcc_lo, v1, s4
	s_cselect_b32 s6, s49, 0x1080
	v_add_co_ci_u32_e32 v8, vcc_lo, s5, v3, vcc_lo
	s_ashr_i32 s7, s6, 31
	s_delay_alu instid0(SALU_CYCLE_1)
	s_lshl_b64 s[6:7], s[6:7], 1
	s_cmpk_lt_u32 s48, 0x4400
	v_add_co_u32 v9, vcc_lo, v1, s6
	s_cselect_b32 s8, s49, 0x10c0
	v_add_co_ci_u32_e32 v10, vcc_lo, s7, v3, vcc_lo
	s_ashr_i32 s9, s8, 31
	s_delay_alu instid0(SALU_CYCLE_1)
	;; [unrolled: 7-line block ×6, first 2 shown]
	s_lshl_b64 s[26:27], s[18:19], 1
	s_cmpk_lt_u32 s48, 0x4900
	v_add_co_u32 v19, vcc_lo, v1, s26
	s_cselect_b32 s18, s49, 0x1200
	v_add_co_ci_u32_e32 v20, vcc_lo, s27, v3, vcc_lo
	s_ashr_i32 s19, s18, 31
	s_clause 0x7
	global_load_u16 v21, v[5:6], off
	global_load_u16 v22, v[7:8], off
	;; [unrolled: 1-line block ×8, first 2 shown]
	s_lshl_b64 s[18:19], s[18:19], 1
	s_cmpk_lt_u32 s48, 0x4a00
	v_add_co_u32 v5, vcc_lo, v1, s18
	s_cselect_b32 s24, s49, 0x1240
	v_add_co_ci_u32_e32 v6, vcc_lo, s19, v3, vcc_lo
	s_ashr_i32 s25, s24, 31
	s_delay_alu instid0(SALU_CYCLE_1)
	s_lshl_b64 s[24:25], s[24:25], 1
	s_cmpk_lt_u32 s48, 0x4b00
	v_add_co_u32 v7, vcc_lo, v1, s24
	s_cselect_b32 s28, s49, 0x1280
	v_add_co_ci_u32_e32 v8, vcc_lo, s25, v3, vcc_lo
	s_ashr_i32 s29, s28, 31
	s_delay_alu instid0(SALU_CYCLE_1)
	;; [unrolled: 7-line block ×7, first 2 shown]
	s_lshl_b64 s[44:45], s[36:37], 1
	s_cmpk_lt_u32 s48, 0x5100
	v_add_co_u32 v19, vcc_lo, v1, s44
	s_cselect_b32 s36, s49, 0x1400
	v_add_co_ci_u32_e32 v20, vcc_lo, s45, v3, vcc_lo
	s_ashr_i32 s37, s36, 31
	s_clause 0x7
	global_load_u16 v29, v[5:6], off
	global_load_u16 v30, v[7:8], off
	;; [unrolled: 1-line block ×8, first 2 shown]
	s_lshl_b64 s[36:37], s[36:37], 1
	s_cmpk_lt_u32 s48, 0x5200
	v_add_co_u32 v5, vcc_lo, v1, s36
	s_cselect_b32 s42, s49, 0x1440
	v_add_co_ci_u32_e32 v6, vcc_lo, s37, v3, vcc_lo
	s_ashr_i32 s43, s42, 31
	s_delay_alu instid0(SALU_CYCLE_1)
	s_lshl_b64 s[42:43], s[42:43], 1
	s_cmpk_lt_u32 s48, 0x5300
	v_add_co_u32 v7, vcc_lo, v1, s42
	s_cselect_b32 s46, s49, 0x1480
	v_add_co_ci_u32_e32 v8, vcc_lo, s43, v3, vcc_lo
	s_ashr_i32 s47, s46, 31
	s_delay_alu instid0(SALU_CYCLE_1)
	;; [unrolled: 7-line block ×5, first 2 shown]
	s_lshl_b64 s[8:9], s[8:9], 1
	s_cmpk_lt_u32 s48, 0x5700
	v_add_co_u32 v15, vcc_lo, v1, s8
	s_cselect_b32 s10, s49, 0x1580
	v_add_co_ci_u32_e32 v16, vcc_lo, s9, v3, vcc_lo
	s_ashr_i32 s11, s10, 31
	s_clause 0x5
	global_load_u16 v19, v[5:6], off
	global_load_u16 v20, v[7:8], off
	;; [unrolled: 1-line block ×6, first 2 shown]
	s_lshl_b64 s[10:11], s[10:11], 1
	s_cmpk_lt_u32 s48, 0x5800
	v_add_co_u32 v5, vcc_lo, v1, s10
	s_cselect_b32 s18, s49, 0x15c0
	v_add_co_ci_u32_e32 v6, vcc_lo, s11, v3, vcc_lo
	s_ashr_i32 s19, s18, 31
	s_delay_alu instid0(SALU_CYCLE_1)
	s_lshl_b64 s[18:19], s[18:19], 1
	s_cmpk_lt_u32 s48, 0x5900
	v_add_co_u32 v7, vcc_lo, v1, s18
	s_cselect_b32 s20, s49, 0x1600
	v_add_co_ci_u32_e32 v8, vcc_lo, s19, v3, vcc_lo
	s_ashr_i32 s21, s20, 31
	global_load_u16 v16, v[5:6], off
	s_lshl_b64 s[20:21], s[20:21], 1
	global_load_u16 v38, v[7:8], off
	s_cmpk_lt_u32 s48, 0x5a00
	v_add_co_u32 v9, vcc_lo, v1, s20
	s_cselect_b32 s22, s49, 0x1640
	v_add_co_ci_u32_e32 v10, vcc_lo, s21, v3, vcc_lo
	s_ashr_i32 s23, s22, 31
	s_delay_alu instid0(SALU_CYCLE_1)
	s_lshl_b64 s[22:23], s[22:23], 1
	s_cmpk_lt_u32 s48, 0x5b00
	v_add_co_u32 v11, vcc_lo, v1, s22
	s_cselect_b32 s4, s49, 0x1680
	v_add_co_ci_u32_e32 v12, vcc_lo, s23, v3, vcc_lo
	s_ashr_i32 s5, s4, 31
	s_delay_alu instid0(SALU_CYCLE_1)
	s_lshl_b64 s[4:5], s[4:5], 1
	s_cmpk_lt_u32 s48, 0x5c00
	v_add_co_u32 v13, vcc_lo, v1, s4
	s_cselect_b32 s6, s49, 0x16c0
	v_add_co_ci_u32_e32 v14, vcc_lo, s5, v3, vcc_lo
	s_ashr_i32 s7, s6, 31
	s_clause 0x2
	global_load_u16 v39, v[9:10], off
	global_load_u16 v40, v[11:12], off
	;; [unrolled: 1-line block ×3, first 2 shown]
	s_lshl_b64 s[6:7], s[6:7], 1
	s_cmpk_lt_u32 s48, 0x5d00
	v_add_co_u32 v5, vcc_lo, v1, s6
	s_cselect_b32 s8, s49, 0x1700
	v_add_co_ci_u32_e32 v6, vcc_lo, s7, v3, vcc_lo
	s_ashr_i32 s9, s8, 31
	s_delay_alu instid0(SALU_CYCLE_1)
	s_lshl_b64 s[4:5], s[8:9], 1
	s_cmpk_lt_u32 s48, 0x5e00
	v_add_co_u32 v7, vcc_lo, v1, s4
	s_cselect_b32 s8, s49, 0x1740
	v_add_co_ci_u32_e32 v8, vcc_lo, s5, v3, vcc_lo
	s_ashr_i32 s9, s8, 31
	global_load_u16 v14, v[5:6], off
	s_lshl_b64 s[8:9], s[8:9], 1
	s_cmpk_lt_u32 s48, 0x5f00
	v_add_co_u32 v9, vcc_lo, v1, s8
	s_cselect_b32 s6, s49, 0x1780
	v_add_co_ci_u32_e32 v10, vcc_lo, s9, v3, vcc_lo
	s_ashr_i32 s7, s6, 31
	s_clause 0x1
	global_load_u16 v41, v[7:8], off
	global_load_u16 v42, v[9:10], off
	s_lshl_b64 s[4:5], s[6:7], 1
	s_cmpk_lt_u32 s48, 0x6000
	v_add_co_u32 v5, vcc_lo, v1, s4
	s_cselect_b32 s6, s49, 0x17c0
	v_add_co_ci_u32_e32 v6, vcc_lo, s5, v3, vcc_lo
	s_ashr_i32 s7, s6, 31
	s_delay_alu instid0(SALU_CYCLE_1) | instskip(NEXT) | instid1(SALU_CYCLE_1)
	s_lshl_b64 s[4:5], s[6:7], 1
	v_add_co_u32 v1, vcc_lo, v1, s4
	v_add_co_ci_u32_e32 v2, vcc_lo, s5, v3, vcc_lo
	s_clause 0x1
	global_load_u16 v43, v[5:6], off
	global_load_u16 v44, v[1:2], off
	ds_load_b128 v[5:8], v45 offset:256
	ds_load_b128 v[9:12], v45 offset:272
	s_waitcnt vmcnt(31) lgkmcnt(0)
	v_fma_mix_f32 v1, v5, v21, v4 op_sel_hi:[0,1,0]
	s_waitcnt vmcnt(30)
	s_delay_alu instid0(VALU_DEP_1) | instskip(SKIP_1) | instid1(VALU_DEP_1)
	v_fma_mix_f32 v1, v6, v22, v1 op_sel_hi:[0,1,0]
	s_waitcnt vmcnt(29)
	v_fma_mix_f32 v1, v7, v23, v1 op_sel_hi:[0,1,0]
	s_waitcnt vmcnt(28)
	s_delay_alu instid0(VALU_DEP_1) | instskip(SKIP_1) | instid1(VALU_DEP_1)
	v_fma_mix_f32 v1, v8, v24, v1 op_sel_hi:[0,1,0]
	s_waitcnt vmcnt(27)
	v_fma_mix_f32 v5, v9, v25, v1 op_sel_hi:[0,1,0]
	ds_load_b128 v[1:4], v45 offset:288
	s_waitcnt vmcnt(26)
	v_fma_mix_f32 v5, v10, v26, v5 op_sel_hi:[0,1,0]
	s_waitcnt vmcnt(25)
	s_delay_alu instid0(VALU_DEP_1) | instskip(SKIP_1) | instid1(VALU_DEP_1)
	v_fma_mix_f32 v5, v11, v27, v5 op_sel_hi:[0,1,0]
	s_waitcnt vmcnt(24)
	v_fma_mix_f32 v9, v12, v28, v5 op_sel_hi:[0,1,0]
	ds_load_b128 v[5:8], v45 offset:304
	s_waitcnt vmcnt(23) lgkmcnt(1)
	v_fma_mix_f32 v1, v1, v29, v9 op_sel_hi:[0,1,0]
	s_waitcnt vmcnt(22)
	s_delay_alu instid0(VALU_DEP_1) | instskip(SKIP_1) | instid1(VALU_DEP_1)
	v_fma_mix_f32 v1, v2, v30, v1 op_sel_hi:[0,1,0]
	s_waitcnt vmcnt(21)
	v_fma_mix_f32 v1, v3, v31, v1 op_sel_hi:[0,1,0]
	s_waitcnt vmcnt(20)
	s_delay_alu instid0(VALU_DEP_1) | instskip(SKIP_1) | instid1(VALU_DEP_1)
	v_fma_mix_f32 v1, v4, v32, v1 op_sel_hi:[0,1,0]
	s_waitcnt vmcnt(19) lgkmcnt(0)
	v_fma_mix_f32 v5, v5, v33, v1 op_sel_hi:[0,1,0]
	ds_load_b128 v[1:4], v45 offset:320
	s_waitcnt vmcnt(18)
	v_fma_mix_f32 v5, v6, v34, v5 op_sel_hi:[0,1,0]
	s_waitcnt vmcnt(17)
	s_delay_alu instid0(VALU_DEP_1) | instskip(SKIP_1) | instid1(VALU_DEP_1)
	v_fma_mix_f32 v5, v7, v17, v5 op_sel_hi:[0,1,0]
	s_waitcnt vmcnt(16)
	v_fma_mix_f32 v9, v8, v18, v5 op_sel_hi:[0,1,0]
	ds_load_b128 v[5:8], v45 offset:336
	s_waitcnt vmcnt(15) lgkmcnt(1)
	v_fma_mix_f32 v1, v1, v19, v9 op_sel_hi:[0,1,0]
	s_waitcnt vmcnt(14)
	s_delay_alu instid0(VALU_DEP_1) | instskip(SKIP_1) | instid1(VALU_DEP_1)
	v_fma_mix_f32 v1, v2, v20, v1 op_sel_hi:[0,1,0]
	s_waitcnt vmcnt(13)
	v_fma_mix_f32 v1, v3, v35, v1 op_sel_hi:[0,1,0]
	s_waitcnt vmcnt(12)
	s_delay_alu instid0(VALU_DEP_1) | instskip(SKIP_1) | instid1(VALU_DEP_1)
	v_fma_mix_f32 v1, v4, v36, v1 op_sel_hi:[0,1,0]
	s_waitcnt vmcnt(11) lgkmcnt(0)
	;; [unrolled: 21-line block ×3, first 2 shown]
	v_fma_mix_f32 v1, v5, v41, v1 op_sel_hi:[0,1,0]
	s_waitcnt vmcnt(2)
	s_delay_alu instid0(VALU_DEP_1) | instskip(SKIP_1) | instid1(VALU_DEP_1)
	v_fma_mix_f32 v1, v6, v42, v1 op_sel_hi:[0,1,0]
	s_waitcnt vmcnt(1)
	v_fma_mix_f32 v1, v7, v43, v1 op_sel_hi:[0,1,0]
	s_waitcnt vmcnt(0)
	s_delay_alu instid0(VALU_DEP_1)
	v_fma_mix_f32 v4, v8, v44, v1 op_sel_hi:[0,1,0]
	v_mov_b32_e32 v1, 0
	s_and_not1_b32 vcc_lo, exec_lo, s15
	ds_load_b32 v1, v1 offset:384
	s_cbranch_vccz .LBB20_15
	s_branch .LBB20_16
	.section	.rodata,"a",@progbits
	.p2align	6, 0x0
	.amdhsa_kernel _Z35paged_attention_ll4mi_reduce_kernelIDF16_hLi64ELi64ELi256ELi3EEvPT0_PKfS3_PKT_PKiS8_iS3_
		.amdhsa_group_segment_fixed_size 388
		.amdhsa_private_segment_fixed_size 0
		.amdhsa_kernarg_size 320
		.amdhsa_user_sgpr_count 14
		.amdhsa_user_sgpr_dispatch_ptr 0
		.amdhsa_user_sgpr_queue_ptr 0
		.amdhsa_user_sgpr_kernarg_segment_ptr 1
		.amdhsa_user_sgpr_dispatch_id 0
		.amdhsa_user_sgpr_private_segment_size 0
		.amdhsa_wavefront_size32 1
		.amdhsa_uses_dynamic_stack 0
		.amdhsa_enable_private_segment 0
		.amdhsa_system_sgpr_workgroup_id_x 1
		.amdhsa_system_sgpr_workgroup_id_y 1
		.amdhsa_system_sgpr_workgroup_id_z 0
		.amdhsa_system_sgpr_workgroup_info 0
		.amdhsa_system_vgpr_workitem_id 0
		.amdhsa_next_free_vgpr 48
		.amdhsa_next_free_sgpr 52
		.amdhsa_reserve_vcc 1
		.amdhsa_float_round_mode_32 0
		.amdhsa_float_round_mode_16_64 0
		.amdhsa_float_denorm_mode_32 3
		.amdhsa_float_denorm_mode_16_64 3
		.amdhsa_dx10_clamp 1
		.amdhsa_ieee_mode 1
		.amdhsa_fp16_overflow 0
		.amdhsa_workgroup_processor_mode 1
		.amdhsa_memory_ordered 1
		.amdhsa_forward_progress 0
		.amdhsa_shared_vgpr_count 0
		.amdhsa_exception_fp_ieee_invalid_op 0
		.amdhsa_exception_fp_denorm_src 0
		.amdhsa_exception_fp_ieee_div_zero 0
		.amdhsa_exception_fp_ieee_overflow 0
		.amdhsa_exception_fp_ieee_underflow 0
		.amdhsa_exception_fp_ieee_inexact 0
		.amdhsa_exception_int_div_zero 0
	.end_amdhsa_kernel
	.section	.text._Z35paged_attention_ll4mi_reduce_kernelIDF16_hLi64ELi64ELi256ELi3EEvPT0_PKfS3_PKT_PKiS8_iS3_,"axG",@progbits,_Z35paged_attention_ll4mi_reduce_kernelIDF16_hLi64ELi64ELi256ELi3EEvPT0_PKfS3_PKT_PKiS8_iS3_,comdat
.Lfunc_end20:
	.size	_Z35paged_attention_ll4mi_reduce_kernelIDF16_hLi64ELi64ELi256ELi3EEvPT0_PKfS3_PKT_PKiS8_iS3_, .Lfunc_end20-_Z35paged_attention_ll4mi_reduce_kernelIDF16_hLi64ELi64ELi256ELi3EEvPT0_PKfS3_PKT_PKiS8_iS3_
                                        ; -- End function
	.section	.AMDGPU.csdata,"",@progbits
; Kernel info:
; codeLenInByte = 7412
; NumSgprs: 54
; NumVgprs: 48
; ScratchSize: 0
; MemoryBound: 0
; FloatMode: 240
; IeeeMode: 1
; LDSByteSize: 388 bytes/workgroup (compile time only)
; SGPRBlocks: 6
; VGPRBlocks: 5
; NumSGPRsForWavesPerEU: 54
; NumVGPRsForWavesPerEU: 48
; Occupancy: 16
; WaveLimiterHint : 0
; COMPUTE_PGM_RSRC2:SCRATCH_EN: 0
; COMPUTE_PGM_RSRC2:USER_SGPR: 14
; COMPUTE_PGM_RSRC2:TRAP_HANDLER: 0
; COMPUTE_PGM_RSRC2:TGID_X_EN: 1
; COMPUTE_PGM_RSRC2:TGID_Y_EN: 1
; COMPUTE_PGM_RSRC2:TGID_Z_EN: 0
; COMPUTE_PGM_RSRC2:TIDIG_COMP_CNT: 0
	.section	.text._Z35paged_attention_ll4mi_reduce_kernelIDF16_hLi64ELi64ELi256ELi4EEvPT0_PKfS3_PKT_PKiS8_iS3_,"axG",@progbits,_Z35paged_attention_ll4mi_reduce_kernelIDF16_hLi64ELi64ELi256ELi4EEvPT0_PKfS3_PKT_PKiS8_iS3_,comdat
	.protected	_Z35paged_attention_ll4mi_reduce_kernelIDF16_hLi64ELi64ELi256ELi4EEvPT0_PKfS3_PKT_PKiS8_iS3_ ; -- Begin function _Z35paged_attention_ll4mi_reduce_kernelIDF16_hLi64ELi64ELi256ELi4EEvPT0_PKfS3_PKT_PKiS8_iS3_
	.globl	_Z35paged_attention_ll4mi_reduce_kernelIDF16_hLi64ELi64ELi256ELi4EEvPT0_PKfS3_PKT_PKiS8_iS3_
	.p2align	8
	.type	_Z35paged_attention_ll4mi_reduce_kernelIDF16_hLi64ELi64ELi256ELi4EEvPT0_PKfS3_PKT_PKiS8_iS3_,@function
_Z35paged_attention_ll4mi_reduce_kernelIDF16_hLi64ELi64ELi256ELi4EEvPT0_PKfS3_PKT_PKiS8_iS3_: ; @_Z35paged_attention_ll4mi_reduce_kernelIDF16_hLi64ELi64ELi256ELi4EEvPT0_PKfS3_PKT_PKiS8_iS3_
; %bb.0:
	s_load_b64 s[12:13], s[0:1], 0x28
	s_mov_b32 s2, s15
	s_waitcnt lgkmcnt(0)
	s_cmp_lg_u64 s[12:13], 0
	s_cselect_b32 s15, -1, 0
	s_delay_alu instid0(SALU_CYCLE_1)
	s_and_b32 vcc_lo, exec_lo, s15
	s_cbranch_vccz .LBB21_18
; %bb.1:
	s_add_i32 s4, s2, 1
	s_mov_b32 s5, 0
	s_delay_alu instid0(SALU_CYCLE_1) | instskip(SKIP_4) | instid1(SALU_CYCLE_1)
	s_lshl_b64 s[6:7], s[4:5], 2
	s_mov_b32 s3, s5
	s_add_u32 s6, s12, s6
	s_addc_u32 s7, s13, s7
	s_lshl_b64 s[8:9], s[2:3], 2
	s_add_u32 s8, s12, s8
	s_addc_u32 s9, s13, s9
	s_clause 0x1
	s_load_b32 s4, s[6:7], 0x0
	s_load_b32 s6, s[8:9], 0x0
	s_waitcnt lgkmcnt(0)
	s_sub_i32 s4, s4, s6
	s_delay_alu instid0(SALU_CYCLE_1)
	s_cmp_eq_u32 s4, 1
	s_cselect_b32 s4, -1, 0
	s_cbranch_execnz .LBB21_3
.LBB21_2:
	s_mov_b32 s3, 0
	s_mov_b32 s4, -1
.LBB21_3:
	s_delay_alu instid0(SALU_CYCLE_1)
	s_and_not1_b32 vcc_lo, exec_lo, s4
	s_cbranch_vccz .LBB21_5
; %bb.4:
	s_endpgm
.LBB21_5:
	s_clause 0x1
	s_load_b128 s[4:7], s[0:1], 0x18
	s_load_b32 s9, s[0:1], 0x30
	s_lshl_b64 s[16:17], s[2:3], 2
	s_waitcnt lgkmcnt(0)
	s_add_u32 s6, s6, s16
	s_addc_u32 s7, s7, s17
	s_load_b32 s20, s[6:7], 0x0
	s_load_b32 s33, s[0:1], 0x40
	s_mul_i32 s7, s2, s9
	s_waitcnt lgkmcnt(0)
	s_add_i32 s48, s20, 0xff
	s_delay_alu instid0(SALU_CYCLE_1) | instskip(NEXT) | instid1(SALU_CYCLE_1)
	s_ashr_i32 s6, s48, 31
	s_lshr_b32 s6, s6, 24
	s_delay_alu instid0(SALU_CYCLE_1) | instskip(SKIP_4) | instid1(SALU_CYCLE_1)
	s_add_i32 s8, s48, s6
	s_mul_i32 s6, s14, s9
	s_mov_b32 s9, exec_lo
	v_cmpx_lt_u32_e32 31, v0
	s_xor_b32 s9, exec_lo, s9
	s_or_saveexec_b32 s22, s9
	v_mov_b32_e32 v1, s6
	s_ashr_i32 s21, s8, 8
	s_mul_i32 s18, s7, s33
	s_xor_b32 exec_lo, exec_lo, s22
	s_cbranch_execz .LBB21_9
; %bb.6:
	s_load_b128 s[8:11], s[0:1], 0x8
	v_or_b32_e32 v2, 32, v0
	v_cmp_gt_i32_e32 vcc_lo, s21, v0
	s_add_i32 s23, s21, -1
	v_or_b32_e32 v4, 64, v0
	v_or_b32_e32 v6, 0x60, v0
	s_mov_b32 s19, 0
	v_cndmask_b32_e32 v1, s23, v0, vcc_lo
	v_cmp_gt_i32_e32 vcc_lo, s21, v2
	s_lshl_b64 s[24:25], s[18:19], 2
	s_mov_b32 s7, s19
	v_cndmask_b32_e32 v3, s23, v2, vcc_lo
	v_cmp_gt_i32_e32 vcc_lo, s21, v4
	v_ashrrev_i32_e32 v2, 31, v1
	v_cndmask_b32_e32 v5, s23, v4, vcc_lo
	v_cmp_gt_i32_e32 vcc_lo, s21, v6
	v_ashrrev_i32_e32 v4, 31, v3
	s_delay_alu instid0(VALU_DEP_4)
	v_lshlrev_b64 v[1:2], 2, v[1:2]
	s_waitcnt lgkmcnt(0)
	s_add_u32 s19, s10, s24
	v_cndmask_b32_e32 v7, s23, v6, vcc_lo
	s_addc_u32 s23, s11, s25
	s_lshl_b64 s[10:11], s[6:7], 2
	v_lshlrev_b64 v[3:4], 2, v[3:4]
	s_add_u32 s7, s19, s10
	v_ashrrev_i32_e32 v6, 31, v5
	s_addc_u32 s19, s23, s11
	v_add_co_u32 v9, vcc_lo, s7, v1
	v_add_co_ci_u32_e32 v10, vcc_lo, s19, v2, vcc_lo
	v_ashrrev_i32_e32 v8, 31, v7
	v_add_co_u32 v11, vcc_lo, s7, v3
	v_lshlrev_b64 v[5:6], 2, v[5:6]
	v_add_co_ci_u32_e32 v12, vcc_lo, s19, v4, vcc_lo
	s_delay_alu instid0(VALU_DEP_4)
	v_lshlrev_b64 v[7:8], 2, v[7:8]
	s_clause 0x1
	global_load_b32 v13, v[9:10], off
	global_load_b32 v14, v[11:12], off
	v_add_co_u32 v9, vcc_lo, s7, v5
	v_add_co_ci_u32_e32 v10, vcc_lo, s19, v6, vcc_lo
	v_add_co_u32 v11, vcc_lo, s7, v7
	v_add_co_ci_u32_e32 v12, vcc_lo, s19, v8, vcc_lo
	s_clause 0x1
	global_load_b32 v9, v[9:10], off
	global_load_b32 v10, v[11:12], off
	s_add_u32 s7, s8, s24
	s_addc_u32 s8, s9, s25
	s_add_u32 s7, s7, s10
	s_addc_u32 s8, s8, s11
	v_add_co_u32 v1, vcc_lo, s7, v1
	v_add_co_ci_u32_e32 v2, vcc_lo, s8, v2, vcc_lo
	v_add_co_u32 v3, vcc_lo, s7, v3
	v_add_co_ci_u32_e32 v4, vcc_lo, s8, v4, vcc_lo
	;; [unrolled: 2-line block ×3, first 2 shown]
	s_clause 0x2
	global_load_b32 v11, v[1:2], off
	global_load_b32 v3, v[3:4], off
	;; [unrolled: 1-line block ×3, first 2 shown]
	v_add_co_u32 v1, vcc_lo, s7, v7
	v_add_co_ci_u32_e32 v2, vcc_lo, s8, v8, vcc_lo
	s_mov_b32 s7, exec_lo
	global_load_b32 v5, v[1:2], off
	v_mbcnt_lo_u32_b32 v1, -1, 0
	s_delay_alu instid0(VALU_DEP_1)
	v_xor_b32_e32 v2, 16, v1
	v_xor_b32_e32 v8, 8, v1
	;; [unrolled: 1-line block ×5, first 2 shown]
	v_cmp_gt_i32_e32 vcc_lo, 32, v2
	v_cndmask_b32_e32 v2, v1, v2, vcc_lo
	v_cmp_gt_i32_e32 vcc_lo, 32, v8
	s_delay_alu instid0(VALU_DEP_2) | instskip(SKIP_2) | instid1(VALU_DEP_2)
	v_lshlrev_b32_e32 v2, 2, v2
	v_cndmask_b32_e32 v8, v1, v8, vcc_lo
	v_cmp_gt_i32_e32 vcc_lo, 32, v12
	v_lshlrev_b32_e32 v8, 2, v8
	v_cndmask_b32_e32 v12, v1, v12, vcc_lo
	v_cmp_gt_i32_e32 vcc_lo, 32, v15
	s_delay_alu instid0(VALU_DEP_2) | instskip(SKIP_2) | instid1(VALU_DEP_1)
	v_dual_cndmask_b32 v15, v1, v15 :: v_dual_lshlrev_b32 v12, 2, v12
	v_cmp_gt_i32_e32 vcc_lo, 32, v16
	v_cndmask_b32_e32 v1, v1, v16, vcc_lo
	v_lshlrev_b32_e32 v16, 2, v1
	s_delay_alu instid0(VALU_DEP_4) | instskip(SKIP_2) | instid1(VALU_DEP_1)
	v_lshlrev_b32_e32 v15, 2, v15
	s_waitcnt vmcnt(6)
	v_dual_max_f32 v7, v13, v13 :: v_dual_max_f32 v6, v14, v14
	v_max_f32_e32 v6, v7, v6
	s_waitcnt vmcnt(4)
	s_delay_alu instid0(VALU_DEP_1) | instskip(SKIP_3) | instid1(VALU_DEP_1)
	v_max3_f32 v6, v6, v9, v10
	ds_bpermute_b32 v7, v2, v6
	s_waitcnt lgkmcnt(0)
	v_max_f32_e32 v7, v7, v7
	v_max_f32_e32 v6, v6, v7
	ds_bpermute_b32 v7, v8, v6
	s_waitcnt lgkmcnt(0)
	v_max_f32_e32 v7, v7, v7
	s_delay_alu instid0(VALU_DEP_1) | instskip(SKIP_3) | instid1(VALU_DEP_1)
	v_max_f32_e32 v6, v6, v7
	ds_bpermute_b32 v7, v12, v6
	s_waitcnt lgkmcnt(0)
	v_max_f32_e32 v7, v7, v7
	v_max_f32_e32 v6, v6, v7
	ds_bpermute_b32 v7, v15, v6
	s_waitcnt lgkmcnt(0)
	v_max_f32_e32 v7, v7, v7
	s_delay_alu instid0(VALU_DEP_1) | instskip(SKIP_3) | instid1(VALU_DEP_1)
	v_max_f32_e32 v1, v6, v7
	ds_bpermute_b32 v6, v16, v1
	s_waitcnt lgkmcnt(0)
	v_max_f32_e32 v6, v6, v6
	v_max_f32_e32 v1, v1, v6
	s_delay_alu instid0(VALU_DEP_1) | instskip(SKIP_1) | instid1(VALU_DEP_2)
	v_sub_f32_e32 v9, v9, v1
	v_sub_f32_e32 v7, v14, v1
	v_mul_f32_e32 v14, 0x3fb8aa3b, v9
	v_sub_f32_e32 v6, v13, v1
	v_sub_f32_e32 v1, v10, v1
	s_delay_alu instid0(VALU_DEP_3) | instskip(NEXT) | instid1(VALU_DEP_3)
	v_fma_f32 v22, 0x3fb8aa3b, v9, -v14
	v_mul_f32_e32 v10, 0x3fb8aa3b, v6
	v_rndne_f32_e32 v23, v14
	v_cmp_ngt_f32_e32 vcc_lo, 0xc2ce8ed0, v6
	s_delay_alu instid0(VALU_DEP_3) | instskip(SKIP_1) | instid1(VALU_DEP_2)
	v_fma_f32 v18, 0x3fb8aa3b, v6, -v10
	v_rndne_f32_e32 v19, v10
	v_fmac_f32_e32 v18, 0x32a5705f, v6
	s_delay_alu instid0(VALU_DEP_2) | instskip(NEXT) | instid1(VALU_DEP_1)
	v_sub_f32_e32 v10, v10, v19
	v_dual_mul_f32 v13, 0x3fb8aa3b, v7 :: v_dual_add_f32 v10, v10, v18
	s_delay_alu instid0(VALU_DEP_1) | instskip(SKIP_2) | instid1(VALU_DEP_4)
	v_fma_f32 v20, 0x3fb8aa3b, v7, -v13
	v_rndne_f32_e32 v21, v13
	v_cvt_i32_f32_e32 v18, v19
	v_exp_f32_e32 v10, v10
	s_delay_alu instid0(VALU_DEP_3) | instskip(SKIP_4) | instid1(VALU_DEP_4)
	v_fmac_f32_e32 v20, 0x32a5705f, v7
	v_mul_f32_e32 v17, 0x3fb8aa3b, v1
	v_sub_f32_e32 v13, v13, v21
	v_fmac_f32_e32 v22, 0x32a5705f, v9
	v_cvt_i32_f32_e32 v19, v21
	v_rndne_f32_e32 v25, v17
	s_delay_alu instid0(VALU_DEP_4) | instskip(SKIP_1) | instid1(TRANS32_DEP_1)
	v_dual_add_f32 v13, v13, v20 :: v_dual_sub_f32 v14, v14, v23
	v_fma_f32 v24, 0x3fb8aa3b, v1, -v17
	v_ldexp_f32 v10, v10, v18
	s_delay_alu instid0(VALU_DEP_4) | instskip(NEXT) | instid1(VALU_DEP_4)
	v_sub_f32_e32 v17, v17, v25
	v_exp_f32_e32 v13, v13
	v_add_f32_e32 v14, v14, v22
	v_cvt_i32_f32_e32 v20, v23
	v_sub_nc_u32_e32 v22, s21, v0
	v_cvt_i32_f32_e32 v21, v25
	s_delay_alu instid0(VALU_DEP_4)
	v_exp_f32_e32 v14, v14
	s_waitcnt_depctr 0xfff
	v_ldexp_f32 v13, v13, v19
	v_cndmask_b32_e32 v10, 0, v10, vcc_lo
	v_cmp_ngt_f32_e32 vcc_lo, 0xc2ce8ed0, v7
	v_ldexp_f32 v14, v14, v20
	s_delay_alu instid0(VALU_DEP_4) | instskip(SKIP_1) | instid1(VALU_DEP_3)
	v_cndmask_b32_e32 v13, 0, v13, vcc_lo
	v_cmp_ngt_f32_e32 vcc_lo, 0xc2ce8ed0, v9
	v_cndmask_b32_e32 v14, 0, v14, vcc_lo
	v_cmp_nlt_f32_e32 vcc_lo, 0x42b17218, v6
	v_cndmask_b32_e32 v6, 0x7f800000, v10, vcc_lo
	v_cmp_nlt_f32_e32 vcc_lo, 0x42b17218, v7
	;; [unrolled: 2-line block ×3, first 2 shown]
	v_cndmask_b32_e32 v9, 0x7f800000, v14, vcc_lo
	v_cmp_lt_i32_e32 vcc_lo, 0, v22
	v_cndmask_b32_e32 v6, 0, v6, vcc_lo
	v_cmp_lt_i32_e32 vcc_lo, 32, v22
	s_waitcnt vmcnt(3)
	s_delay_alu instid0(VALU_DEP_2) | instskip(SKIP_2) | instid1(VALU_DEP_2)
	v_mul_f32_e32 v6, v11, v6
	v_dual_fmac_f32 v24, 0x32a5705f, v1 :: v_dual_cndmask_b32 v7, 0, v7
	v_cmp_lt_i32_e32 vcc_lo, 64, v22
	v_add_f32_e32 v17, v17, v24
	s_waitcnt vmcnt(2)
	s_delay_alu instid0(VALU_DEP_3) | instskip(SKIP_3) | instid1(VALU_DEP_3)
	v_mul_f32_e32 v3, v3, v7
	v_cndmask_b32_e32 v9, 0, v9, vcc_lo
	v_cmp_ngt_f32_e32 vcc_lo, 0xc2ce8ed0, v1
	v_exp_f32_e32 v17, v17
	v_add_f32_e32 v7, v6, v3
	s_waitcnt_depctr 0xfff
	v_ldexp_f32 v17, v17, v21
	s_delay_alu instid0(VALU_DEP_1) | instskip(SKIP_2) | instid1(VALU_DEP_2)
	v_cndmask_b32_e32 v10, 0, v17, vcc_lo
	v_cmp_nlt_f32_e32 vcc_lo, 0x42b17218, v1
	s_waitcnt vmcnt(1)
	v_dual_mul_f32 v4, v4, v9 :: v_dual_cndmask_b32 v1, 0x7f800000, v10
	v_cmp_lt_i32_e32 vcc_lo, 0x60, v22
	s_delay_alu instid0(VALU_DEP_2) | instskip(NEXT) | instid1(VALU_DEP_3)
	v_cndmask_b32_e32 v9, 0, v1, vcc_lo
	v_add_f32_e32 v1, v7, v4
	v_lshlrev_b32_e32 v7, 2, v0
	s_waitcnt vmcnt(0)
	s_delay_alu instid0(VALU_DEP_2)
	v_fmac_f32_e32 v1, v5, v9
	v_mul_f32_e32 v5, v5, v9
	ds_store_2addr_b32 v7, v6, v3 offset1:32
	ds_store_2addr_b32 v7, v4, v5 offset0:64 offset1:96
	ds_bpermute_b32 v2, v2, v1
	s_waitcnt lgkmcnt(0)
	v_add_f32_e32 v1, v1, v2
	ds_bpermute_b32 v2, v8, v1
	s_waitcnt lgkmcnt(0)
	v_add_f32_e32 v1, v1, v2
	;; [unrolled: 3-line block ×4, first 2 shown]
	ds_bpermute_b32 v2, v16, v1
	v_cmpx_eq_u32_e32 0, v0
	s_cbranch_execz .LBB21_8
; %bb.7:
	s_waitcnt lgkmcnt(0)
	v_dual_add_f32 v1, v1, v2 :: v_dual_mov_b32 v2, 0
	ds_store_b32 v2, v1 offset:512
.LBB21_8:
	s_or_b32 exec_lo, exec_lo, s7
	v_mov_b32_e32 v1, s6
.LBB21_9:
	s_or_b32 exec_lo, exec_lo, s22
	s_lshl_b32 s6, s18, 6
	s_mov_b32 s7, 0
	s_waitcnt lgkmcnt(0)
	v_dual_mov_b32 v2, 0 :: v_dual_lshlrev_b32 v1, 6, v1
	s_lshl_b64 s[6:7], s[6:7], 1
	v_dual_mov_b32 v29, 0 :: v_dual_mov_b32 v30, 0
	s_add_u32 s34, s4, s6
	s_addc_u32 s35, s5, s7
	s_lshl_b32 s4, s21, 6
	v_lshlrev_b64 v[3:4], 1, v[1:2]
	s_sub_i32 s49, s4, 64
	s_cmpk_lt_i32 s48, 0x100
	v_lshlrev_b32_e32 v1, 1, v0
	s_cselect_b32 s4, s49, 0
	v_dual_mov_b32 v31, 0 :: v_dual_mov_b32 v32, 0
	s_ashr_i32 s5, s4, 31
	v_add_co_u32 v3, vcc_lo, s34, v3
	s_lshl_b64 s[4:5], s[4:5], 1
	s_cmpk_lt_i32 s48, 0x200
	v_add_co_ci_u32_e32 v4, vcc_lo, s35, v4, vcc_lo
	s_cselect_b32 s6, s49, 64
	v_add_co_u32 v1, vcc_lo, v3, v1
	s_ashr_i32 s7, s6, 31
	s_delay_alu instid0(VALU_DEP_2)
	v_add_co_ci_u32_e32 v3, vcc_lo, 0, v4, vcc_lo
	s_lshl_b64 s[6:7], s[6:7], 1
	s_cmpk_lt_i32 s48, 0x300
	v_add_co_u32 v4, vcc_lo, v1, s4
	s_cselect_b32 s8, s49, 0x80
	v_add_co_ci_u32_e32 v5, vcc_lo, s5, v3, vcc_lo
	s_ashr_i32 s9, s8, 31
	v_add_co_u32 v8, vcc_lo, v1, s6
	s_lshl_b64 s[8:9], s[8:9], 1
	s_cmpk_lt_i32 s48, 0x400
	v_add_co_ci_u32_e32 v9, vcc_lo, s7, v3, vcc_lo
	s_cselect_b32 s10, s49, 0xc0
	v_add_co_u32 v10, vcc_lo, v1, s8
	s_ashr_i32 s11, s10, 31
	v_add_co_ci_u32_e32 v11, vcc_lo, s9, v3, vcc_lo
	s_lshl_b64 s[10:11], s[10:11], 1
	s_cmpk_lt_i32 s48, 0x500
	v_add_co_u32 v12, vcc_lo, v1, s10
	s_cselect_b32 s18, s49, 0x100
	v_add_co_ci_u32_e32 v13, vcc_lo, s11, v3, vcc_lo
	s_ashr_i32 s19, s18, 31
	v_dual_mov_b32 v33, 0 :: v_dual_mov_b32 v34, 0
	s_lshl_b64 s[18:19], s[18:19], 1
	s_cmpk_lt_i32 s48, 0x600
	v_add_co_u32 v14, vcc_lo, v1, s18
	s_cselect_b32 s22, s49, 0x140
	v_add_co_ci_u32_e32 v15, vcc_lo, s19, v3, vcc_lo
	s_ashr_i32 s23, s22, 31
	v_mov_b32_e32 v35, 0
	s_lshl_b64 s[22:23], s[22:23], 1
	s_cmpk_lt_i32 s48, 0x700
	v_add_co_u32 v16, vcc_lo, v1, s22
	s_cselect_b32 s24, s49, 0x180
	v_add_co_ci_u32_e32 v17, vcc_lo, s23, v3, vcc_lo
	s_ashr_i32 s25, s24, 31
	s_delay_alu instid0(SALU_CYCLE_1)
	s_lshl_b64 s[24:25], s[24:25], 1
	s_cmpk_lt_i32 s48, 0x800
	v_add_co_u32 v18, vcc_lo, v1, s24
	s_cselect_b32 s26, s49, 0x1c0
	v_add_co_ci_u32_e32 v19, vcc_lo, s25, v3, vcc_lo
	s_ashr_i32 s27, s26, 31
	s_delay_alu instid0(SALU_CYCLE_1)
	s_lshl_b64 s[26:27], s[26:27], 1
	s_cmpk_lt_i32 s48, 0x900
	v_add_co_u32 v20, vcc_lo, v1, s26
	s_cselect_b32 s28, s49, 0x200
	v_add_co_ci_u32_e32 v21, vcc_lo, s27, v3, vcc_lo
	s_ashr_i32 s29, s28, 31
	s_clause 0x7
	global_load_u16 v7, v[4:5], off
	global_load_u16 v8, v[8:9], off
	global_load_u16 v9, v[10:11], off
	global_load_u16 v10, v[12:13], off
	global_load_u16 v11, v[14:15], off
	global_load_u16 v4, v[16:17], off
	global_load_u16 v5, v[18:19], off
	global_load_u16 v6, v[20:21], off
	s_lshl_b64 s[28:29], s[28:29], 1
	s_cmpk_lt_i32 s48, 0xa00
	v_add_co_u32 v12, vcc_lo, v1, s28
	s_cselect_b32 s30, s49, 0x240
	v_add_co_ci_u32_e32 v13, vcc_lo, s29, v3, vcc_lo
	s_ashr_i32 s31, s30, 31
	s_delay_alu instid0(SALU_CYCLE_1)
	s_lshl_b64 s[30:31], s[30:31], 1
	s_cmpk_lt_i32 s48, 0xb00
	v_add_co_u32 v15, vcc_lo, v1, s30
	s_cselect_b32 s34, s49, 0x280
	v_add_co_ci_u32_e32 v16, vcc_lo, s31, v3, vcc_lo
	s_ashr_i32 s35, s34, 31
	s_delay_alu instid0(SALU_CYCLE_1)
	;; [unrolled: 7-line block ×7, first 2 shown]
	s_lshl_b64 s[4:5], s[6:7], 1
	s_cmpk_gt_i32 s20, 0x1000
	v_add_co_u32 v27, vcc_lo, v1, s4
	v_add_co_ci_u32_e32 v28, vcc_lo, s5, v3, vcc_lo
	s_clause 0x7
	global_load_u16 v14, v[12:13], off
	global_load_u16 v15, v[15:16], off
	;; [unrolled: 1-line block ×8, first 2 shown]
	v_dual_mov_b32 v20, 0 :: v_dual_mov_b32 v21, 0
	v_dual_mov_b32 v22, 0 :: v_dual_mov_b32 v23, 0
	;; [unrolled: 1-line block ×4, first 2 shown]
	v_mov_b32_e32 v28, 0
	s_cselect_b32 s8, -1, 0
	s_cmpk_lt_i32 s20, 0x1001
	s_waitcnt vmcnt(0)
	s_barrier
	buffer_gl0_inv
	s_cbranch_scc1 .LBB21_11
; %bb.10:
	s_cmpk_lt_i32 s48, 0x1100
	s_cselect_b32 s4, s49, 0x400
	s_delay_alu instid0(SALU_CYCLE_1) | instskip(NEXT) | instid1(SALU_CYCLE_1)
	s_ashr_i32 s5, s4, 31
	s_lshl_b64 s[4:5], s[4:5], 1
	s_cmpk_lt_i32 s48, 0x1200
	v_add_co_u32 v20, vcc_lo, v1, s4
	s_cselect_b32 s6, s49, 0x440
	v_add_co_ci_u32_e32 v21, vcc_lo, s5, v3, vcc_lo
	s_ashr_i32 s7, s6, 31
	s_delay_alu instid0(SALU_CYCLE_1)
	s_lshl_b64 s[6:7], s[6:7], 1
	s_cmpk_lt_i32 s48, 0x1300
	v_add_co_u32 v22, vcc_lo, v1, s6
	s_cselect_b32 s10, s49, 0x480
	v_add_co_ci_u32_e32 v23, vcc_lo, s7, v3, vcc_lo
	s_ashr_i32 s11, s10, 31
	s_delay_alu instid0(SALU_CYCLE_1)
	;; [unrolled: 7-line block ×7, first 2 shown]
	s_lshl_b64 s[26:27], s[26:27], 1
	s_cmpk_lt_i32 s48, 0x1900
	v_add_co_u32 v34, vcc_lo, v1, s26
	s_cselect_b32 s28, s49, 0x600
	v_add_co_ci_u32_e32 v35, vcc_lo, s27, v3, vcc_lo
	s_ashr_i32 s29, s28, 31
	s_clause 0x7
	global_load_u16 v36, v[20:21], off
	global_load_u16 v37, v[22:23], off
	;; [unrolled: 1-line block ×8, first 2 shown]
	s_lshl_b64 s[28:29], s[28:29], 1
	s_cmpk_lt_i32 s48, 0x1a00
	v_add_co_u32 v20, vcc_lo, v1, s28
	s_cselect_b32 s30, s49, 0x640
	v_add_co_ci_u32_e32 v21, vcc_lo, s29, v3, vcc_lo
	s_ashr_i32 s31, s30, 31
	s_delay_alu instid0(SALU_CYCLE_1)
	s_lshl_b64 s[30:31], s[30:31], 1
	s_cmpk_lt_i32 s48, 0x1b00
	v_add_co_u32 v22, vcc_lo, v1, s30
	s_cselect_b32 s34, s49, 0x680
	v_add_co_ci_u32_e32 v23, vcc_lo, s31, v3, vcc_lo
	s_ashr_i32 s35, s34, 31
	s_delay_alu instid0(SALU_CYCLE_1)
	;; [unrolled: 7-line block ×6, first 2 shown]
	s_lshl_b64 s[4:5], s[20:21], 1
	s_cmpk_lt_i32 s48, 0x2000
	v_add_co_u32 v32, vcc_lo, v1, s4
	s_cselect_b32 s6, s49, 0x7c0
	v_add_co_ci_u32_e32 v33, vcc_lo, s5, v3, vcc_lo
	s_ashr_i32 s7, s6, 31
	s_delay_alu instid0(SALU_CYCLE_1) | instskip(NEXT) | instid1(SALU_CYCLE_1)
	s_lshl_b64 s[4:5], s[6:7], 1
	v_add_co_u32 v34, vcc_lo, v1, s4
	v_add_co_ci_u32_e32 v35, vcc_lo, s5, v3, vcc_lo
	s_clause 0x7
	global_load_u16 v20, v[20:21], off
	global_load_u16 v21, v[22:23], off
	global_load_u16 v22, v[24:25], off
	global_load_u16 v23, v[26:27], off
	global_load_u16 v44, v[28:29], off
	global_load_u16 v45, v[30:31], off
	global_load_u16 v46, v[32:33], off
	global_load_u16 v47, v[34:35], off
	s_waitcnt vmcnt(15)
	v_cvt_f32_f16_e32 v35, v36
	s_waitcnt vmcnt(14)
	v_cvt_f32_f16_e32 v34, v37
	;; [unrolled: 2-line block ×16, first 2 shown]
.LBB21_11:
	ds_load_b128 v[36:39], v2
	ds_load_b128 v[40:43], v2 offset:16
	s_and_not1_b32 vcc_lo, exec_lo, s8
	s_waitcnt lgkmcnt(1)
	v_fma_mix_f32 v7, v36, v7, 0 op_sel_hi:[0,1,0]
	s_delay_alu instid0(VALU_DEP_1) | instskip(NEXT) | instid1(VALU_DEP_1)
	v_fma_mix_f32 v7, v37, v8, v7 op_sel_hi:[0,1,0]
	v_fma_mix_f32 v7, v38, v9, v7 op_sel_hi:[0,1,0]
	s_delay_alu instid0(VALU_DEP_1)
	v_fma_mix_f32 v7, v39, v10, v7 op_sel_hi:[0,1,0]
	ds_load_b128 v[36:39], v2 offset:48
	s_waitcnt lgkmcnt(1)
	v_fma_mix_f32 v11, v40, v11, v7 op_sel_hi:[0,1,0]
	ds_load_b128 v[7:10], v2 offset:32
	v_fma_mix_f32 v4, v41, v4, v11 op_sel_hi:[0,1,0]
	s_delay_alu instid0(VALU_DEP_1) | instskip(NEXT) | instid1(VALU_DEP_1)
	v_fma_mix_f32 v4, v42, v5, v4 op_sel_hi:[0,1,0]
	v_fma_mix_f32 v4, v43, v6, v4 op_sel_hi:[0,1,0]
	s_waitcnt lgkmcnt(0)
	s_delay_alu instid0(VALU_DEP_1) | instskip(NEXT) | instid1(VALU_DEP_1)
	v_fma_mix_f32 v4, v7, v14, v4 op_sel_hi:[0,1,0]
	v_fma_mix_f32 v4, v8, v15, v4 op_sel_hi:[0,1,0]
	s_delay_alu instid0(VALU_DEP_1) | instskip(NEXT) | instid1(VALU_DEP_1)
	v_fma_mix_f32 v4, v9, v16, v4 op_sel_hi:[0,1,0]
	v_fma_mix_f32 v4, v10, v17, v4 op_sel_hi:[0,1,0]
	;; [unrolled: 3-line block ×4, first 2 shown]
	s_cbranch_vccz .LBB21_19
; %bb.12:
	s_cmpk_lt_i32 s48, 0x2100
	s_cbranch_scc0 .LBB21_20
.LBB21_13:
	s_cmpk_lt_i32 s48, 0x4100
	s_cbranch_scc0 .LBB21_21
.LBB21_14:
	s_load_b64 s[0:1], s[0:1], 0x0
	s_cmpk_lt_i32 s48, 0x6100
	s_cbranch_scc0 .LBB21_22
.LBB21_15:
	v_mov_b32_e32 v1, 0
	s_and_not1_b32 vcc_lo, exec_lo, s15
	ds_load_b32 v1, v1 offset:512
	s_cbranch_vccnz .LBB21_17
.LBB21_16:
	s_add_u32 s2, s12, s16
	s_addc_u32 s3, s13, s17
	s_load_b32 s2, s[2:3], 0x0
	s_mov_b32 s3, 0
.LBB21_17:
	s_waitcnt lgkmcnt(0)
	v_add_f32_e32 v1, 0x358637bd, v1
	s_mul_i32 s3, s33, s3
	s_mul_hi_u32 s4, s33, s2
	s_mul_i32 s2, s33, s2
	s_add_i32 s3, s4, s3
	v_div_scale_f32 v2, null, v1, v1, 1.0
	v_div_scale_f32 v6, vcc_lo, 1.0, v1, 1.0
	s_lshl_b64 s[2:3], s[2:3], 6
	s_delay_alu instid0(VALU_DEP_2) | instskip(SKIP_4) | instid1(SALU_CYCLE_1)
	v_rcp_f32_e32 v3, v2
	s_mov_b32 s15, 0
	s_add_u32 s2, s0, s2
	s_addc_u32 s3, s1, s3
	s_lshl_b64 s[0:1], s[14:15], 6
	s_add_u32 s0, s2, s0
	s_addc_u32 s1, s3, s1
	v_add_co_u32 v0, s0, s0, v0
	s_waitcnt_depctr 0xfff
	v_fma_f32 v5, -v2, v3, 1.0
	s_delay_alu instid0(VALU_DEP_1) | instskip(NEXT) | instid1(VALU_DEP_1)
	v_fmac_f32_e32 v3, v5, v3
	v_mul_f32_e32 v5, v6, v3
	s_delay_alu instid0(VALU_DEP_1) | instskip(NEXT) | instid1(VALU_DEP_1)
	v_fma_f32 v7, -v2, v5, v6
	v_fmac_f32_e32 v5, v7, v3
	s_delay_alu instid0(VALU_DEP_1) | instskip(NEXT) | instid1(VALU_DEP_1)
	v_fma_f32 v2, -v2, v5, v6
	v_div_fmas_f32 v2, v2, v3, v5
	s_delay_alu instid0(VALU_DEP_1) | instskip(NEXT) | instid1(VALU_DEP_1)
	v_div_fixup_f32 v1, v2, v1, 1.0
	v_fma_mixlo_f16 v1, v4, v1, 0
	s_delay_alu instid0(VALU_DEP_1)
	v_cvt_i16_f16_e32 v2, v1
	v_add_co_ci_u32_e64 v1, null, s1, 0, s0
	global_store_b8 v[0:1], v2, off
	s_nop 0
	s_sendmsg sendmsg(MSG_DEALLOC_VGPRS)
	s_endpgm
.LBB21_18:
	s_mov_b32 s4, 0
	s_branch .LBB21_2
.LBB21_19:
	ds_load_b128 v[5:8], v2 offset:64
	ds_load_b128 v[9:12], v2 offset:80
	s_waitcnt lgkmcnt(1)
	v_fmac_f32_e32 v4, v5, v35
	s_delay_alu instid0(VALU_DEP_1) | instskip(NEXT) | instid1(VALU_DEP_1)
	v_fmac_f32_e32 v4, v6, v34
	v_fmac_f32_e32 v4, v7, v33
	s_delay_alu instid0(VALU_DEP_1) | instskip(SKIP_3) | instid1(VALU_DEP_1)
	v_fmac_f32_e32 v4, v8, v32
	ds_load_b128 v[5:8], v2 offset:96
	s_waitcnt lgkmcnt(1)
	v_fmac_f32_e32 v4, v9, v31
	v_fmac_f32_e32 v4, v10, v30
	s_delay_alu instid0(VALU_DEP_1) | instskip(NEXT) | instid1(VALU_DEP_1)
	v_fmac_f32_e32 v4, v11, v29
	v_fmac_f32_e32 v4, v12, v28
	ds_load_b128 v[9:12], v2 offset:112
	s_waitcnt lgkmcnt(1)
	v_fmac_f32_e32 v4, v5, v27
	s_delay_alu instid0(VALU_DEP_1) | instskip(NEXT) | instid1(VALU_DEP_1)
	v_fmac_f32_e32 v4, v6, v26
	v_fmac_f32_e32 v4, v7, v25
	s_delay_alu instid0(VALU_DEP_1) | instskip(SKIP_1) | instid1(VALU_DEP_1)
	v_fmac_f32_e32 v4, v8, v24
	s_waitcnt lgkmcnt(0)
	v_fmac_f32_e32 v4, v9, v23
	s_delay_alu instid0(VALU_DEP_1) | instskip(NEXT) | instid1(VALU_DEP_1)
	v_fmac_f32_e32 v4, v10, v22
	v_fmac_f32_e32 v4, v11, v21
	s_delay_alu instid0(VALU_DEP_1)
	v_fmac_f32_e32 v4, v12, v20
	s_cmpk_lt_i32 s48, 0x2100
	s_cbranch_scc1 .LBB21_13
.LBB21_20:
	s_cmpk_lt_u32 s48, 0x2200
	v_add_co_u32 v5, vcc_lo, 0x1000, v1
	s_cselect_b32 s4, s49, 0x840
	v_add_co_ci_u32_e32 v6, vcc_lo, 0, v3, vcc_lo
	s_ashr_i32 s5, s4, 31
	v_mov_b32_e32 v44, 0
	s_lshl_b64 s[4:5], s[4:5], 1
	s_cmpk_lt_u32 s48, 0x2300
	v_add_co_u32 v7, vcc_lo, v1, s4
	s_cselect_b32 s6, s49, 0x880
	v_add_co_ci_u32_e32 v8, vcc_lo, s5, v3, vcc_lo
	s_ashr_i32 s7, s6, 31
	s_delay_alu instid0(SALU_CYCLE_1)
	s_lshl_b64 s[6:7], s[6:7], 1
	s_cmpk_lt_u32 s48, 0x2400
	v_add_co_u32 v9, vcc_lo, v1, s6
	s_cselect_b32 s8, s49, 0x8c0
	v_add_co_ci_u32_e32 v10, vcc_lo, s7, v3, vcc_lo
	s_ashr_i32 s9, s8, 31
	s_delay_alu instid0(SALU_CYCLE_1)
	;; [unrolled: 7-line block ×6, first 2 shown]
	s_lshl_b64 s[26:27], s[18:19], 1
	s_cmpk_lt_u32 s48, 0x2900
	v_add_co_u32 v19, vcc_lo, v1, s26
	s_cselect_b32 s18, s49, 0xa00
	v_add_co_ci_u32_e32 v20, vcc_lo, s27, v3, vcc_lo
	s_ashr_i32 s19, s18, 31
	s_clause 0x7
	global_load_u16 v2, v[5:6], off
	global_load_u16 v21, v[7:8], off
	;; [unrolled: 1-line block ×8, first 2 shown]
	s_lshl_b64 s[18:19], s[18:19], 1
	s_cmpk_lt_u32 s48, 0x2a00
	v_add_co_u32 v5, vcc_lo, v1, s18
	s_cselect_b32 s24, s49, 0xa40
	v_add_co_ci_u32_e32 v6, vcc_lo, s19, v3, vcc_lo
	s_ashr_i32 s25, s24, 31
	s_delay_alu instid0(SALU_CYCLE_1)
	s_lshl_b64 s[24:25], s[24:25], 1
	s_cmpk_lt_u32 s48, 0x2b00
	v_add_co_u32 v7, vcc_lo, v1, s24
	s_cselect_b32 s28, s49, 0xa80
	v_add_co_ci_u32_e32 v8, vcc_lo, s25, v3, vcc_lo
	s_ashr_i32 s29, s28, 31
	s_delay_alu instid0(SALU_CYCLE_1)
	;; [unrolled: 7-line block ×7, first 2 shown]
	s_lshl_b64 s[44:45], s[36:37], 1
	s_cmpk_lt_u32 s48, 0x3100
	v_add_co_u32 v19, vcc_lo, v1, s44
	s_cselect_b32 s36, s49, 0xc00
	v_add_co_ci_u32_e32 v20, vcc_lo, s45, v3, vcc_lo
	s_ashr_i32 s37, s36, 31
	s_clause 0x7
	global_load_u16 v28, v[5:6], off
	global_load_u16 v29, v[7:8], off
	;; [unrolled: 1-line block ×8, first 2 shown]
	s_lshl_b64 s[36:37], s[36:37], 1
	s_cmpk_lt_u32 s48, 0x3200
	v_add_co_u32 v5, vcc_lo, v1, s36
	s_cselect_b32 s42, s49, 0xc40
	v_add_co_ci_u32_e32 v6, vcc_lo, s37, v3, vcc_lo
	s_ashr_i32 s43, s42, 31
	s_delay_alu instid0(SALU_CYCLE_1)
	s_lshl_b64 s[42:43], s[42:43], 1
	s_cmpk_lt_u32 s48, 0x3300
	v_add_co_u32 v7, vcc_lo, v1, s42
	s_cselect_b32 s46, s49, 0xc80
	v_add_co_ci_u32_e32 v8, vcc_lo, s43, v3, vcc_lo
	s_ashr_i32 s47, s46, 31
	s_delay_alu instid0(SALU_CYCLE_1)
	;; [unrolled: 7-line block ×5, first 2 shown]
	s_lshl_b64 s[8:9], s[8:9], 1
	s_cmpk_lt_u32 s48, 0x3700
	v_add_co_u32 v15, vcc_lo, v1, s8
	s_cselect_b32 s10, s49, 0xd80
	v_add_co_ci_u32_e32 v16, vcc_lo, s9, v3, vcc_lo
	s_ashr_i32 s11, s10, 31
	s_clause 0x5
	global_load_u16 v19, v[5:6], off
	global_load_u16 v20, v[7:8], off
	;; [unrolled: 1-line block ×6, first 2 shown]
	s_lshl_b64 s[10:11], s[10:11], 1
	s_cmpk_lt_u32 s48, 0x3800
	v_add_co_u32 v5, vcc_lo, v1, s10
	s_cselect_b32 s18, s49, 0xdc0
	v_add_co_ci_u32_e32 v6, vcc_lo, s11, v3, vcc_lo
	s_ashr_i32 s19, s18, 31
	s_delay_alu instid0(SALU_CYCLE_1)
	s_lshl_b64 s[18:19], s[18:19], 1
	s_cmpk_lt_u32 s48, 0x3900
	v_add_co_u32 v7, vcc_lo, v1, s18
	s_cselect_b32 s20, s49, 0xe00
	v_add_co_ci_u32_e32 v8, vcc_lo, s19, v3, vcc_lo
	s_ashr_i32 s21, s20, 31
	global_load_u16 v16, v[5:6], off
	s_lshl_b64 s[20:21], s[20:21], 1
	global_load_u16 v37, v[7:8], off
	s_cmpk_lt_u32 s48, 0x3a00
	v_add_co_u32 v9, vcc_lo, v1, s20
	s_cselect_b32 s22, s49, 0xe40
	v_add_co_ci_u32_e32 v10, vcc_lo, s21, v3, vcc_lo
	s_ashr_i32 s23, s22, 31
	s_delay_alu instid0(SALU_CYCLE_1)
	s_lshl_b64 s[22:23], s[22:23], 1
	s_cmpk_lt_u32 s48, 0x3b00
	v_add_co_u32 v11, vcc_lo, v1, s22
	s_cselect_b32 s4, s49, 0xe80
	v_add_co_ci_u32_e32 v12, vcc_lo, s23, v3, vcc_lo
	s_ashr_i32 s5, s4, 31
	s_delay_alu instid0(SALU_CYCLE_1)
	s_lshl_b64 s[4:5], s[4:5], 1
	s_cmpk_lt_u32 s48, 0x3c00
	v_add_co_u32 v13, vcc_lo, v1, s4
	s_cselect_b32 s6, s49, 0xec0
	v_add_co_ci_u32_e32 v14, vcc_lo, s5, v3, vcc_lo
	s_ashr_i32 s7, s6, 31
	s_clause 0x2
	global_load_u16 v38, v[9:10], off
	global_load_u16 v39, v[11:12], off
	;; [unrolled: 1-line block ×3, first 2 shown]
	s_lshl_b64 s[6:7], s[6:7], 1
	s_cmpk_lt_u32 s48, 0x3d00
	v_add_co_u32 v5, vcc_lo, v1, s6
	s_cselect_b32 s8, s49, 0xf00
	v_add_co_ci_u32_e32 v6, vcc_lo, s7, v3, vcc_lo
	s_ashr_i32 s9, s8, 31
	s_delay_alu instid0(SALU_CYCLE_1)
	s_lshl_b64 s[4:5], s[8:9], 1
	s_cmpk_lt_u32 s48, 0x3e00
	v_add_co_u32 v7, vcc_lo, v1, s4
	s_cselect_b32 s8, s49, 0xf40
	v_add_co_ci_u32_e32 v8, vcc_lo, s5, v3, vcc_lo
	s_ashr_i32 s9, s8, 31
	global_load_u16 v14, v[5:6], off
	s_lshl_b64 s[8:9], s[8:9], 1
	s_cmpk_lt_u32 s48, 0x3f00
	v_add_co_u32 v9, vcc_lo, v1, s8
	s_cselect_b32 s6, s49, 0xf80
	v_add_co_ci_u32_e32 v10, vcc_lo, s9, v3, vcc_lo
	s_ashr_i32 s7, s6, 31
	s_clause 0x1
	global_load_u16 v40, v[7:8], off
	global_load_u16 v41, v[9:10], off
	s_lshl_b64 s[4:5], s[6:7], 1
	s_cmpk_lt_u32 s48, 0x4000
	v_add_co_u32 v5, vcc_lo, v1, s4
	s_cselect_b32 s6, s49, 0xfc0
	v_add_co_ci_u32_e32 v6, vcc_lo, s5, v3, vcc_lo
	s_ashr_i32 s7, s6, 31
	s_delay_alu instid0(SALU_CYCLE_1) | instskip(NEXT) | instid1(SALU_CYCLE_1)
	s_lshl_b64 s[4:5], s[6:7], 1
	v_add_co_u32 v7, vcc_lo, v1, s4
	v_add_co_ci_u32_e32 v8, vcc_lo, s5, v3, vcc_lo
	s_clause 0x1
	global_load_u16 v42, v[5:6], off
	global_load_u16 v43, v[7:8], off
	ds_load_b128 v[5:8], v44 offset:128
	ds_load_b128 v[9:12], v44 offset:144
	s_waitcnt vmcnt(31) lgkmcnt(1)
	v_fma_mix_f32 v2, v5, v2, v4 op_sel_hi:[0,1,0]
	s_waitcnt vmcnt(30)
	s_delay_alu instid0(VALU_DEP_1) | instskip(SKIP_1) | instid1(VALU_DEP_1)
	v_fma_mix_f32 v2, v6, v21, v2 op_sel_hi:[0,1,0]
	s_waitcnt vmcnt(29)
	v_fma_mix_f32 v2, v7, v22, v2 op_sel_hi:[0,1,0]
	ds_load_b128 v[4:7], v44 offset:160
	s_waitcnt vmcnt(28)
	v_fma_mix_f32 v2, v8, v23, v2 op_sel_hi:[0,1,0]
	s_waitcnt vmcnt(27) lgkmcnt(1)
	s_delay_alu instid0(VALU_DEP_1) | instskip(SKIP_1) | instid1(VALU_DEP_1)
	v_fma_mix_f32 v2, v9, v24, v2 op_sel_hi:[0,1,0]
	s_waitcnt vmcnt(26)
	v_fma_mix_f32 v2, v10, v25, v2 op_sel_hi:[0,1,0]
	s_waitcnt vmcnt(25)
	s_delay_alu instid0(VALU_DEP_1) | instskip(SKIP_4) | instid1(VALU_DEP_1)
	v_fma_mix_f32 v2, v11, v26, v2 op_sel_hi:[0,1,0]
	ds_load_b128 v[8:11], v44 offset:176
	s_waitcnt vmcnt(24)
	v_fma_mix_f32 v2, v12, v27, v2 op_sel_hi:[0,1,0]
	s_waitcnt vmcnt(23) lgkmcnt(1)
	v_fma_mix_f32 v2, v4, v28, v2 op_sel_hi:[0,1,0]
	s_waitcnt vmcnt(22)
	s_delay_alu instid0(VALU_DEP_1) | instskip(SKIP_1) | instid1(VALU_DEP_1)
	v_fma_mix_f32 v2, v5, v29, v2 op_sel_hi:[0,1,0]
	s_waitcnt vmcnt(21)
	v_fma_mix_f32 v2, v6, v30, v2 op_sel_hi:[0,1,0]
	s_waitcnt vmcnt(20)
	s_delay_alu instid0(VALU_DEP_1) | instskip(SKIP_4) | instid1(VALU_DEP_1)
	v_fma_mix_f32 v2, v7, v31, v2 op_sel_hi:[0,1,0]
	ds_load_b128 v[4:7], v44 offset:192
	s_waitcnt vmcnt(19) lgkmcnt(1)
	v_fma_mix_f32 v2, v8, v32, v2 op_sel_hi:[0,1,0]
	s_waitcnt vmcnt(18)
	v_fma_mix_f32 v2, v9, v33, v2 op_sel_hi:[0,1,0]
	s_waitcnt vmcnt(17)
	s_delay_alu instid0(VALU_DEP_1) | instskip(SKIP_1) | instid1(VALU_DEP_1)
	v_fma_mix_f32 v2, v10, v17, v2 op_sel_hi:[0,1,0]
	s_waitcnt vmcnt(16)
	v_fma_mix_f32 v2, v11, v18, v2 op_sel_hi:[0,1,0]
	ds_load_b128 v[8:11], v44 offset:208
	s_waitcnt vmcnt(15) lgkmcnt(1)
	v_fma_mix_f32 v2, v4, v19, v2 op_sel_hi:[0,1,0]
	s_waitcnt vmcnt(14)
	s_delay_alu instid0(VALU_DEP_1) | instskip(SKIP_1) | instid1(VALU_DEP_1)
	v_fma_mix_f32 v2, v5, v20, v2 op_sel_hi:[0,1,0]
	s_waitcnt vmcnt(13)
	v_fma_mix_f32 v2, v6, v34, v2 op_sel_hi:[0,1,0]
	s_waitcnt vmcnt(12)
	s_delay_alu instid0(VALU_DEP_1) | instskip(SKIP_4) | instid1(VALU_DEP_1)
	v_fma_mix_f32 v2, v7, v35, v2 op_sel_hi:[0,1,0]
	ds_load_b128 v[4:7], v44 offset:224
	s_waitcnt vmcnt(11) lgkmcnt(1)
	v_fma_mix_f32 v2, v8, v36, v2 op_sel_hi:[0,1,0]
	s_waitcnt vmcnt(10)
	v_fma_mix_f32 v2, v9, v15, v2 op_sel_hi:[0,1,0]
	s_waitcnt vmcnt(9)
	s_delay_alu instid0(VALU_DEP_1) | instskip(SKIP_1) | instid1(VALU_DEP_1)
	v_fma_mix_f32 v2, v10, v16, v2 op_sel_hi:[0,1,0]
	s_waitcnt vmcnt(8)
	v_fma_mix_f32 v2, v11, v37, v2 op_sel_hi:[0,1,0]
	ds_load_b128 v[8:11], v44 offset:240
	s_waitcnt vmcnt(7) lgkmcnt(1)
	v_fma_mix_f32 v2, v4, v38, v2 op_sel_hi:[0,1,0]
	s_waitcnt vmcnt(6)
	s_delay_alu instid0(VALU_DEP_1) | instskip(SKIP_1) | instid1(VALU_DEP_1)
	v_fma_mix_f32 v2, v5, v39, v2 op_sel_hi:[0,1,0]
	s_waitcnt vmcnt(5)
	v_fma_mix_f32 v2, v6, v13, v2 op_sel_hi:[0,1,0]
	s_waitcnt vmcnt(4)
	s_delay_alu instid0(VALU_DEP_1) | instskip(SKIP_1) | instid1(VALU_DEP_1)
	v_fma_mix_f32 v2, v7, v14, v2 op_sel_hi:[0,1,0]
	s_waitcnt vmcnt(3) lgkmcnt(0)
	v_fma_mix_f32 v2, v8, v40, v2 op_sel_hi:[0,1,0]
	s_waitcnt vmcnt(2)
	s_delay_alu instid0(VALU_DEP_1) | instskip(SKIP_1) | instid1(VALU_DEP_1)
	v_fma_mix_f32 v2, v9, v41, v2 op_sel_hi:[0,1,0]
	s_waitcnt vmcnt(1)
	v_fma_mix_f32 v2, v10, v42, v2 op_sel_hi:[0,1,0]
	s_waitcnt vmcnt(0)
	s_delay_alu instid0(VALU_DEP_1)
	v_fma_mix_f32 v4, v11, v43, v2 op_sel_hi:[0,1,0]
	s_cmpk_lt_i32 s48, 0x4100
	s_cbranch_scc1 .LBB21_14
.LBB21_21:
	s_cmpk_lt_u32 s48, 0x4200
	v_add_co_u32 v5, vcc_lo, 0x2000, v1
	s_cselect_b32 s4, s49, 0x1040
	v_add_co_ci_u32_e32 v6, vcc_lo, 0, v3, vcc_lo
	s_ashr_i32 s5, s4, 31
	v_mov_b32_e32 v44, 0
	s_lshl_b64 s[4:5], s[4:5], 1
	s_cmpk_lt_u32 s48, 0x4300
	v_add_co_u32 v7, vcc_lo, v1, s4
	s_cselect_b32 s6, s49, 0x1080
	v_add_co_ci_u32_e32 v8, vcc_lo, s5, v3, vcc_lo
	s_ashr_i32 s7, s6, 31
	s_delay_alu instid0(SALU_CYCLE_1)
	s_lshl_b64 s[6:7], s[6:7], 1
	s_cmpk_lt_u32 s48, 0x4400
	v_add_co_u32 v9, vcc_lo, v1, s6
	s_cselect_b32 s8, s49, 0x10c0
	v_add_co_ci_u32_e32 v10, vcc_lo, s7, v3, vcc_lo
	s_ashr_i32 s9, s8, 31
	s_delay_alu instid0(SALU_CYCLE_1)
	;; [unrolled: 7-line block ×6, first 2 shown]
	s_lshl_b64 s[26:27], s[18:19], 1
	s_cmpk_lt_u32 s48, 0x4900
	v_add_co_u32 v19, vcc_lo, v1, s26
	s_cselect_b32 s18, s49, 0x1200
	v_add_co_ci_u32_e32 v20, vcc_lo, s27, v3, vcc_lo
	s_ashr_i32 s19, s18, 31
	s_clause 0x7
	global_load_u16 v2, v[5:6], off
	global_load_u16 v21, v[7:8], off
	;; [unrolled: 1-line block ×8, first 2 shown]
	s_lshl_b64 s[18:19], s[18:19], 1
	s_cmpk_lt_u32 s48, 0x4a00
	v_add_co_u32 v5, vcc_lo, v1, s18
	s_cselect_b32 s24, s49, 0x1240
	v_add_co_ci_u32_e32 v6, vcc_lo, s19, v3, vcc_lo
	s_ashr_i32 s25, s24, 31
	s_delay_alu instid0(SALU_CYCLE_1)
	s_lshl_b64 s[24:25], s[24:25], 1
	s_cmpk_lt_u32 s48, 0x4b00
	v_add_co_u32 v7, vcc_lo, v1, s24
	s_cselect_b32 s28, s49, 0x1280
	v_add_co_ci_u32_e32 v8, vcc_lo, s25, v3, vcc_lo
	s_ashr_i32 s29, s28, 31
	s_delay_alu instid0(SALU_CYCLE_1)
	s_lshl_b64 s[28:29], s[28:29], 1
	s_cmpk_lt_u32 s48, 0x4c00
	v_add_co_u32 v9, vcc_lo, v1, s28
	s_cselect_b32 s30, s49, 0x12c0
	v_add_co_ci_u32_e32 v10, vcc_lo, s29, v3, vcc_lo
	s_ashr_i32 s31, s30, 31
	s_delay_alu instid0(SALU_CYCLE_1)
	s_lshl_b64 s[30:31], s[30:31], 1
	s_cmpk_lt_u32 s48, 0x4d00
	v_add_co_u32 v11, vcc_lo, v1, s30
	s_cselect_b32 s34, s49, 0x1300
	v_add_co_ci_u32_e32 v12, vcc_lo, s31, v3, vcc_lo
	s_ashr_i32 s35, s34, 31
	s_delay_alu instid0(SALU_CYCLE_1)
	s_lshl_b64 s[34:35], s[34:35], 1
	s_cmpk_lt_u32 s48, 0x4e00
	v_add_co_u32 v13, vcc_lo, v1, s34
	s_cselect_b32 s36, s49, 0x1340
	v_add_co_ci_u32_e32 v14, vcc_lo, s35, v3, vcc_lo
	s_ashr_i32 s37, s36, 31
	s_delay_alu instid0(SALU_CYCLE_1)
	s_lshl_b64 s[38:39], s[36:37], 1
	s_cmpk_lt_u32 s48, 0x4f00
	v_add_co_u32 v15, vcc_lo, v1, s38
	s_cselect_b32 s36, s49, 0x1380
	v_add_co_ci_u32_e32 v16, vcc_lo, s39, v3, vcc_lo
	s_ashr_i32 s37, s36, 31
	s_delay_alu instid0(SALU_CYCLE_1)
	s_lshl_b64 s[40:41], s[36:37], 1
	s_cmpk_lt_u32 s48, 0x5000
	v_add_co_u32 v17, vcc_lo, v1, s40
	s_cselect_b32 s36, s49, 0x13c0
	v_add_co_ci_u32_e32 v18, vcc_lo, s41, v3, vcc_lo
	s_ashr_i32 s37, s36, 31
	s_delay_alu instid0(SALU_CYCLE_1)
	s_lshl_b64 s[44:45], s[36:37], 1
	s_cmpk_lt_u32 s48, 0x5100
	v_add_co_u32 v19, vcc_lo, v1, s44
	s_cselect_b32 s36, s49, 0x1400
	v_add_co_ci_u32_e32 v20, vcc_lo, s45, v3, vcc_lo
	s_ashr_i32 s37, s36, 31
	s_clause 0x7
	global_load_u16 v28, v[5:6], off
	global_load_u16 v29, v[7:8], off
	;; [unrolled: 1-line block ×8, first 2 shown]
	s_lshl_b64 s[36:37], s[36:37], 1
	s_cmpk_lt_u32 s48, 0x5200
	v_add_co_u32 v5, vcc_lo, v1, s36
	s_cselect_b32 s42, s49, 0x1440
	v_add_co_ci_u32_e32 v6, vcc_lo, s37, v3, vcc_lo
	s_ashr_i32 s43, s42, 31
	s_delay_alu instid0(SALU_CYCLE_1)
	s_lshl_b64 s[42:43], s[42:43], 1
	s_cmpk_lt_u32 s48, 0x5300
	v_add_co_u32 v7, vcc_lo, v1, s42
	s_cselect_b32 s46, s49, 0x1480
	v_add_co_ci_u32_e32 v8, vcc_lo, s43, v3, vcc_lo
	s_ashr_i32 s47, s46, 31
	s_delay_alu instid0(SALU_CYCLE_1)
	;; [unrolled: 7-line block ×5, first 2 shown]
	s_lshl_b64 s[8:9], s[8:9], 1
	s_cmpk_lt_u32 s48, 0x5700
	v_add_co_u32 v15, vcc_lo, v1, s8
	s_cselect_b32 s10, s49, 0x1580
	v_add_co_ci_u32_e32 v16, vcc_lo, s9, v3, vcc_lo
	s_ashr_i32 s11, s10, 31
	s_clause 0x5
	global_load_u16 v19, v[5:6], off
	global_load_u16 v20, v[7:8], off
	;; [unrolled: 1-line block ×6, first 2 shown]
	s_lshl_b64 s[10:11], s[10:11], 1
	s_cmpk_lt_u32 s48, 0x5800
	v_add_co_u32 v5, vcc_lo, v1, s10
	s_cselect_b32 s18, s49, 0x15c0
	v_add_co_ci_u32_e32 v6, vcc_lo, s11, v3, vcc_lo
	s_ashr_i32 s19, s18, 31
	s_delay_alu instid0(SALU_CYCLE_1)
	s_lshl_b64 s[18:19], s[18:19], 1
	s_cmpk_lt_u32 s48, 0x5900
	v_add_co_u32 v7, vcc_lo, v1, s18
	s_cselect_b32 s20, s49, 0x1600
	v_add_co_ci_u32_e32 v8, vcc_lo, s19, v3, vcc_lo
	s_ashr_i32 s21, s20, 31
	global_load_u16 v16, v[5:6], off
	s_lshl_b64 s[20:21], s[20:21], 1
	global_load_u16 v37, v[7:8], off
	s_cmpk_lt_u32 s48, 0x5a00
	v_add_co_u32 v9, vcc_lo, v1, s20
	s_cselect_b32 s22, s49, 0x1640
	v_add_co_ci_u32_e32 v10, vcc_lo, s21, v3, vcc_lo
	s_ashr_i32 s23, s22, 31
	s_delay_alu instid0(SALU_CYCLE_1)
	s_lshl_b64 s[22:23], s[22:23], 1
	s_cmpk_lt_u32 s48, 0x5b00
	v_add_co_u32 v11, vcc_lo, v1, s22
	s_cselect_b32 s4, s49, 0x1680
	v_add_co_ci_u32_e32 v12, vcc_lo, s23, v3, vcc_lo
	s_ashr_i32 s5, s4, 31
	s_delay_alu instid0(SALU_CYCLE_1)
	s_lshl_b64 s[4:5], s[4:5], 1
	s_cmpk_lt_u32 s48, 0x5c00
	v_add_co_u32 v13, vcc_lo, v1, s4
	s_cselect_b32 s6, s49, 0x16c0
	v_add_co_ci_u32_e32 v14, vcc_lo, s5, v3, vcc_lo
	s_ashr_i32 s7, s6, 31
	s_clause 0x2
	global_load_u16 v38, v[9:10], off
	global_load_u16 v39, v[11:12], off
	;; [unrolled: 1-line block ×3, first 2 shown]
	s_lshl_b64 s[6:7], s[6:7], 1
	s_cmpk_lt_u32 s48, 0x5d00
	v_add_co_u32 v5, vcc_lo, v1, s6
	s_cselect_b32 s8, s49, 0x1700
	v_add_co_ci_u32_e32 v6, vcc_lo, s7, v3, vcc_lo
	s_ashr_i32 s9, s8, 31
	s_delay_alu instid0(SALU_CYCLE_1)
	s_lshl_b64 s[4:5], s[8:9], 1
	s_cmpk_lt_u32 s48, 0x5e00
	v_add_co_u32 v7, vcc_lo, v1, s4
	s_cselect_b32 s8, s49, 0x1740
	v_add_co_ci_u32_e32 v8, vcc_lo, s5, v3, vcc_lo
	s_ashr_i32 s9, s8, 31
	global_load_u16 v14, v[5:6], off
	s_lshl_b64 s[8:9], s[8:9], 1
	s_cmpk_lt_u32 s48, 0x5f00
	v_add_co_u32 v9, vcc_lo, v1, s8
	s_cselect_b32 s6, s49, 0x1780
	v_add_co_ci_u32_e32 v10, vcc_lo, s9, v3, vcc_lo
	s_ashr_i32 s7, s6, 31
	s_clause 0x1
	global_load_u16 v40, v[7:8], off
	global_load_u16 v41, v[9:10], off
	s_lshl_b64 s[4:5], s[6:7], 1
	s_cmpk_lt_u32 s48, 0x6000
	v_add_co_u32 v5, vcc_lo, v1, s4
	s_cselect_b32 s6, s49, 0x17c0
	v_add_co_ci_u32_e32 v6, vcc_lo, s5, v3, vcc_lo
	s_ashr_i32 s7, s6, 31
	s_delay_alu instid0(SALU_CYCLE_1) | instskip(NEXT) | instid1(SALU_CYCLE_1)
	s_lshl_b64 s[4:5], s[6:7], 1
	v_add_co_u32 v7, vcc_lo, v1, s4
	v_add_co_ci_u32_e32 v8, vcc_lo, s5, v3, vcc_lo
	s_clause 0x1
	global_load_u16 v42, v[5:6], off
	global_load_u16 v43, v[7:8], off
	ds_load_b128 v[5:8], v44 offset:256
	ds_load_b128 v[9:12], v44 offset:272
	s_waitcnt vmcnt(31) lgkmcnt(1)
	v_fma_mix_f32 v2, v5, v2, v4 op_sel_hi:[0,1,0]
	s_waitcnt vmcnt(30)
	s_delay_alu instid0(VALU_DEP_1) | instskip(SKIP_1) | instid1(VALU_DEP_1)
	v_fma_mix_f32 v2, v6, v21, v2 op_sel_hi:[0,1,0]
	s_waitcnt vmcnt(29)
	v_fma_mix_f32 v2, v7, v22, v2 op_sel_hi:[0,1,0]
	ds_load_b128 v[4:7], v44 offset:288
	s_waitcnt vmcnt(28)
	v_fma_mix_f32 v2, v8, v23, v2 op_sel_hi:[0,1,0]
	s_waitcnt vmcnt(27) lgkmcnt(1)
	s_delay_alu instid0(VALU_DEP_1) | instskip(SKIP_1) | instid1(VALU_DEP_1)
	v_fma_mix_f32 v2, v9, v24, v2 op_sel_hi:[0,1,0]
	s_waitcnt vmcnt(26)
	v_fma_mix_f32 v2, v10, v25, v2 op_sel_hi:[0,1,0]
	s_waitcnt vmcnt(25)
	s_delay_alu instid0(VALU_DEP_1) | instskip(SKIP_4) | instid1(VALU_DEP_1)
	v_fma_mix_f32 v2, v11, v26, v2 op_sel_hi:[0,1,0]
	ds_load_b128 v[8:11], v44 offset:304
	s_waitcnt vmcnt(24)
	v_fma_mix_f32 v2, v12, v27, v2 op_sel_hi:[0,1,0]
	s_waitcnt vmcnt(23) lgkmcnt(1)
	v_fma_mix_f32 v2, v4, v28, v2 op_sel_hi:[0,1,0]
	s_waitcnt vmcnt(22)
	s_delay_alu instid0(VALU_DEP_1) | instskip(SKIP_1) | instid1(VALU_DEP_1)
	v_fma_mix_f32 v2, v5, v29, v2 op_sel_hi:[0,1,0]
	s_waitcnt vmcnt(21)
	v_fma_mix_f32 v2, v6, v30, v2 op_sel_hi:[0,1,0]
	s_waitcnt vmcnt(20)
	s_delay_alu instid0(VALU_DEP_1) | instskip(SKIP_4) | instid1(VALU_DEP_1)
	v_fma_mix_f32 v2, v7, v31, v2 op_sel_hi:[0,1,0]
	ds_load_b128 v[4:7], v44 offset:320
	s_waitcnt vmcnt(19) lgkmcnt(1)
	v_fma_mix_f32 v2, v8, v32, v2 op_sel_hi:[0,1,0]
	s_waitcnt vmcnt(18)
	v_fma_mix_f32 v2, v9, v33, v2 op_sel_hi:[0,1,0]
	s_waitcnt vmcnt(17)
	s_delay_alu instid0(VALU_DEP_1) | instskip(SKIP_1) | instid1(VALU_DEP_1)
	v_fma_mix_f32 v2, v10, v17, v2 op_sel_hi:[0,1,0]
	s_waitcnt vmcnt(16)
	v_fma_mix_f32 v2, v11, v18, v2 op_sel_hi:[0,1,0]
	ds_load_b128 v[8:11], v44 offset:336
	s_waitcnt vmcnt(15) lgkmcnt(1)
	v_fma_mix_f32 v2, v4, v19, v2 op_sel_hi:[0,1,0]
	s_waitcnt vmcnt(14)
	s_delay_alu instid0(VALU_DEP_1) | instskip(SKIP_1) | instid1(VALU_DEP_1)
	v_fma_mix_f32 v2, v5, v20, v2 op_sel_hi:[0,1,0]
	s_waitcnt vmcnt(13)
	v_fma_mix_f32 v2, v6, v34, v2 op_sel_hi:[0,1,0]
	s_waitcnt vmcnt(12)
	s_delay_alu instid0(VALU_DEP_1) | instskip(SKIP_4) | instid1(VALU_DEP_1)
	v_fma_mix_f32 v2, v7, v35, v2 op_sel_hi:[0,1,0]
	ds_load_b128 v[4:7], v44 offset:352
	s_waitcnt vmcnt(11) lgkmcnt(1)
	v_fma_mix_f32 v2, v8, v36, v2 op_sel_hi:[0,1,0]
	s_waitcnt vmcnt(10)
	v_fma_mix_f32 v2, v9, v15, v2 op_sel_hi:[0,1,0]
	s_waitcnt vmcnt(9)
	s_delay_alu instid0(VALU_DEP_1) | instskip(SKIP_1) | instid1(VALU_DEP_1)
	v_fma_mix_f32 v2, v10, v16, v2 op_sel_hi:[0,1,0]
	s_waitcnt vmcnt(8)
	v_fma_mix_f32 v2, v11, v37, v2 op_sel_hi:[0,1,0]
	ds_load_b128 v[8:11], v44 offset:368
	s_waitcnt vmcnt(7) lgkmcnt(1)
	v_fma_mix_f32 v2, v4, v38, v2 op_sel_hi:[0,1,0]
	s_waitcnt vmcnt(6)
	s_delay_alu instid0(VALU_DEP_1) | instskip(SKIP_1) | instid1(VALU_DEP_1)
	v_fma_mix_f32 v2, v5, v39, v2 op_sel_hi:[0,1,0]
	s_waitcnt vmcnt(5)
	v_fma_mix_f32 v2, v6, v13, v2 op_sel_hi:[0,1,0]
	s_waitcnt vmcnt(4)
	s_delay_alu instid0(VALU_DEP_1) | instskip(SKIP_1) | instid1(VALU_DEP_1)
	v_fma_mix_f32 v2, v7, v14, v2 op_sel_hi:[0,1,0]
	s_waitcnt vmcnt(3) lgkmcnt(0)
	v_fma_mix_f32 v2, v8, v40, v2 op_sel_hi:[0,1,0]
	s_waitcnt vmcnt(2)
	s_delay_alu instid0(VALU_DEP_1) | instskip(SKIP_1) | instid1(VALU_DEP_1)
	v_fma_mix_f32 v2, v9, v41, v2 op_sel_hi:[0,1,0]
	s_waitcnt vmcnt(1)
	v_fma_mix_f32 v2, v10, v42, v2 op_sel_hi:[0,1,0]
	s_waitcnt vmcnt(0)
	s_delay_alu instid0(VALU_DEP_1)
	v_fma_mix_f32 v4, v11, v43, v2 op_sel_hi:[0,1,0]
	s_load_b64 s[0:1], s[0:1], 0x0
	s_cmpk_lt_i32 s48, 0x6100
	s_cbranch_scc1 .LBB21_15
.LBB21_22:
	s_cmpk_lt_u32 s48, 0x6200
	v_add_co_u32 v5, vcc_lo, 0x3000, v1
	s_cselect_b32 s4, s49, 0x1840
	v_add_co_ci_u32_e32 v6, vcc_lo, 0, v3, vcc_lo
	s_ashr_i32 s5, s4, 31
	v_mov_b32_e32 v45, 0
	s_lshl_b64 s[4:5], s[4:5], 1
	s_cmpk_lt_u32 s48, 0x6300
	v_add_co_u32 v7, vcc_lo, v1, s4
	s_cselect_b32 s6, s49, 0x1880
	v_add_co_ci_u32_e32 v8, vcc_lo, s5, v3, vcc_lo
	s_ashr_i32 s7, s6, 31
	s_delay_alu instid0(SALU_CYCLE_1)
	s_lshl_b64 s[6:7], s[6:7], 1
	s_cmpk_lt_u32 s48, 0x6400
	v_add_co_u32 v9, vcc_lo, v1, s6
	s_cselect_b32 s8, s49, 0x18c0
	v_add_co_ci_u32_e32 v10, vcc_lo, s7, v3, vcc_lo
	s_ashr_i32 s9, s8, 31
	s_delay_alu instid0(SALU_CYCLE_1)
	;; [unrolled: 7-line block ×6, first 2 shown]
	s_lshl_b64 s[26:27], s[18:19], 1
	s_cmpk_lt_u32 s48, 0x6900
	v_add_co_u32 v19, vcc_lo, v1, s26
	s_cselect_b32 s18, s49, 0x1a00
	v_add_co_ci_u32_e32 v20, vcc_lo, s27, v3, vcc_lo
	s_ashr_i32 s19, s18, 31
	s_clause 0x7
	global_load_u16 v21, v[5:6], off
	global_load_u16 v22, v[7:8], off
	;; [unrolled: 1-line block ×8, first 2 shown]
	s_lshl_b64 s[18:19], s[18:19], 1
	s_cmpk_lt_u32 s48, 0x6a00
	v_add_co_u32 v5, vcc_lo, v1, s18
	s_cselect_b32 s24, s49, 0x1a40
	v_add_co_ci_u32_e32 v6, vcc_lo, s19, v3, vcc_lo
	s_ashr_i32 s25, s24, 31
	s_delay_alu instid0(SALU_CYCLE_1)
	s_lshl_b64 s[24:25], s[24:25], 1
	s_cmpk_lt_u32 s48, 0x6b00
	v_add_co_u32 v7, vcc_lo, v1, s24
	s_cselect_b32 s28, s49, 0x1a80
	v_add_co_ci_u32_e32 v8, vcc_lo, s25, v3, vcc_lo
	s_ashr_i32 s29, s28, 31
	s_delay_alu instid0(SALU_CYCLE_1)
	;; [unrolled: 7-line block ×7, first 2 shown]
	s_lshl_b64 s[44:45], s[36:37], 1
	s_cmpk_lt_u32 s48, 0x7100
	v_add_co_u32 v19, vcc_lo, v1, s44
	s_cselect_b32 s36, s49, 0x1c00
	v_add_co_ci_u32_e32 v20, vcc_lo, s45, v3, vcc_lo
	s_ashr_i32 s37, s36, 31
	s_clause 0x7
	global_load_u16 v29, v[5:6], off
	global_load_u16 v30, v[7:8], off
	;; [unrolled: 1-line block ×8, first 2 shown]
	s_lshl_b64 s[36:37], s[36:37], 1
	s_cmpk_lt_u32 s48, 0x7200
	v_add_co_u32 v5, vcc_lo, v1, s36
	s_cselect_b32 s42, s49, 0x1c40
	v_add_co_ci_u32_e32 v6, vcc_lo, s37, v3, vcc_lo
	s_ashr_i32 s43, s42, 31
	s_delay_alu instid0(SALU_CYCLE_1)
	s_lshl_b64 s[42:43], s[42:43], 1
	s_cmpk_lt_u32 s48, 0x7300
	v_add_co_u32 v7, vcc_lo, v1, s42
	s_cselect_b32 s46, s49, 0x1c80
	v_add_co_ci_u32_e32 v8, vcc_lo, s43, v3, vcc_lo
	s_ashr_i32 s47, s46, 31
	s_delay_alu instid0(SALU_CYCLE_1)
	s_lshl_b64 s[46:47], s[46:47], 1
	s_cmpk_lt_u32 s48, 0x7400
	v_add_co_u32 v9, vcc_lo, v1, s46
	s_cselect_b32 s50, s49, 0x1cc0
	v_add_co_ci_u32_e32 v10, vcc_lo, s47, v3, vcc_lo
	s_ashr_i32 s51, s50, 31
	s_delay_alu instid0(SALU_CYCLE_1)
	s_lshl_b64 s[4:5], s[50:51], 1
	s_cmpk_lt_u32 s48, 0x7500
	v_add_co_u32 v11, vcc_lo, v1, s4
	s_cselect_b32 s6, s49, 0x1d00
	v_add_co_ci_u32_e32 v12, vcc_lo, s5, v3, vcc_lo
	s_ashr_i32 s7, s6, 31
	s_delay_alu instid0(SALU_CYCLE_1)
	s_lshl_b64 s[6:7], s[6:7], 1
	s_cmpk_lt_u32 s48, 0x7600
	v_add_co_u32 v13, vcc_lo, v1, s6
	s_cselect_b32 s8, s49, 0x1d40
	v_add_co_ci_u32_e32 v14, vcc_lo, s7, v3, vcc_lo
	s_ashr_i32 s9, s8, 31
	s_delay_alu instid0(SALU_CYCLE_1)
	s_lshl_b64 s[8:9], s[8:9], 1
	s_cmpk_lt_u32 s48, 0x7700
	v_add_co_u32 v15, vcc_lo, v1, s8
	s_cselect_b32 s10, s49, 0x1d80
	v_add_co_ci_u32_e32 v16, vcc_lo, s9, v3, vcc_lo
	s_ashr_i32 s11, s10, 31
	s_clause 0x5
	global_load_u16 v19, v[5:6], off
	global_load_u16 v20, v[7:8], off
	;; [unrolled: 1-line block ×6, first 2 shown]
	s_lshl_b64 s[10:11], s[10:11], 1
	s_cmpk_lt_u32 s48, 0x7800
	v_add_co_u32 v5, vcc_lo, v1, s10
	s_cselect_b32 s18, s49, 0x1dc0
	v_add_co_ci_u32_e32 v6, vcc_lo, s11, v3, vcc_lo
	s_ashr_i32 s19, s18, 31
	s_delay_alu instid0(SALU_CYCLE_1)
	s_lshl_b64 s[18:19], s[18:19], 1
	s_cmpk_lt_u32 s48, 0x7900
	v_add_co_u32 v7, vcc_lo, v1, s18
	s_cselect_b32 s20, s49, 0x1e00
	v_add_co_ci_u32_e32 v8, vcc_lo, s19, v3, vcc_lo
	s_ashr_i32 s21, s20, 31
	global_load_u16 v16, v[5:6], off
	s_lshl_b64 s[20:21], s[20:21], 1
	global_load_u16 v38, v[7:8], off
	s_cmpk_lt_u32 s48, 0x7a00
	v_add_co_u32 v9, vcc_lo, v1, s20
	s_cselect_b32 s22, s49, 0x1e40
	v_add_co_ci_u32_e32 v10, vcc_lo, s21, v3, vcc_lo
	s_ashr_i32 s23, s22, 31
	s_delay_alu instid0(SALU_CYCLE_1)
	s_lshl_b64 s[22:23], s[22:23], 1
	s_cmpk_lt_u32 s48, 0x7b00
	v_add_co_u32 v11, vcc_lo, v1, s22
	s_cselect_b32 s4, s49, 0x1e80
	v_add_co_ci_u32_e32 v12, vcc_lo, s23, v3, vcc_lo
	s_ashr_i32 s5, s4, 31
	s_delay_alu instid0(SALU_CYCLE_1)
	s_lshl_b64 s[4:5], s[4:5], 1
	s_cmpk_lt_u32 s48, 0x7c00
	v_add_co_u32 v13, vcc_lo, v1, s4
	s_cselect_b32 s6, s49, 0x1ec0
	v_add_co_ci_u32_e32 v14, vcc_lo, s5, v3, vcc_lo
	s_ashr_i32 s7, s6, 31
	s_clause 0x2
	global_load_u16 v39, v[9:10], off
	global_load_u16 v40, v[11:12], off
	;; [unrolled: 1-line block ×3, first 2 shown]
	s_lshl_b64 s[6:7], s[6:7], 1
	s_cmpk_lt_u32 s48, 0x7d00
	v_add_co_u32 v5, vcc_lo, v1, s6
	s_cselect_b32 s8, s49, 0x1f00
	v_add_co_ci_u32_e32 v6, vcc_lo, s7, v3, vcc_lo
	s_ashr_i32 s9, s8, 31
	s_delay_alu instid0(SALU_CYCLE_1)
	s_lshl_b64 s[4:5], s[8:9], 1
	s_cmpk_lt_u32 s48, 0x7e00
	v_add_co_u32 v7, vcc_lo, v1, s4
	s_cselect_b32 s8, s49, 0x1f40
	v_add_co_ci_u32_e32 v8, vcc_lo, s5, v3, vcc_lo
	s_ashr_i32 s9, s8, 31
	global_load_u16 v14, v[5:6], off
	s_lshl_b64 s[8:9], s[8:9], 1
	s_cmpk_lt_u32 s48, 0x7f00
	v_add_co_u32 v9, vcc_lo, v1, s8
	s_cselect_b32 s6, s49, 0x1f80
	v_add_co_ci_u32_e32 v10, vcc_lo, s9, v3, vcc_lo
	s_ashr_i32 s7, s6, 31
	s_clause 0x1
	global_load_u16 v41, v[7:8], off
	global_load_u16 v42, v[9:10], off
	s_lshl_b64 s[4:5], s[6:7], 1
	s_cmpk_lt_u32 s48, 0x8000
	v_add_co_u32 v5, vcc_lo, v1, s4
	s_cselect_b32 s6, s49, 0x1fc0
	v_add_co_ci_u32_e32 v6, vcc_lo, s5, v3, vcc_lo
	s_ashr_i32 s7, s6, 31
	s_delay_alu instid0(SALU_CYCLE_1) | instskip(NEXT) | instid1(SALU_CYCLE_1)
	s_lshl_b64 s[4:5], s[6:7], 1
	v_add_co_u32 v1, vcc_lo, v1, s4
	v_add_co_ci_u32_e32 v2, vcc_lo, s5, v3, vcc_lo
	s_clause 0x1
	global_load_u16 v43, v[5:6], off
	global_load_u16 v44, v[1:2], off
	ds_load_b128 v[5:8], v45 offset:384
	ds_load_b128 v[9:12], v45 offset:400
	s_waitcnt vmcnt(31) lgkmcnt(0)
	v_fma_mix_f32 v1, v5, v21, v4 op_sel_hi:[0,1,0]
	s_waitcnt vmcnt(30)
	s_delay_alu instid0(VALU_DEP_1) | instskip(SKIP_1) | instid1(VALU_DEP_1)
	v_fma_mix_f32 v1, v6, v22, v1 op_sel_hi:[0,1,0]
	s_waitcnt vmcnt(29)
	v_fma_mix_f32 v1, v7, v23, v1 op_sel_hi:[0,1,0]
	s_waitcnt vmcnt(28)
	s_delay_alu instid0(VALU_DEP_1) | instskip(SKIP_1) | instid1(VALU_DEP_1)
	v_fma_mix_f32 v1, v8, v24, v1 op_sel_hi:[0,1,0]
	s_waitcnt vmcnt(27)
	v_fma_mix_f32 v5, v9, v25, v1 op_sel_hi:[0,1,0]
	ds_load_b128 v[1:4], v45 offset:416
	s_waitcnt vmcnt(26)
	v_fma_mix_f32 v5, v10, v26, v5 op_sel_hi:[0,1,0]
	s_waitcnt vmcnt(25)
	s_delay_alu instid0(VALU_DEP_1) | instskip(SKIP_1) | instid1(VALU_DEP_1)
	v_fma_mix_f32 v5, v11, v27, v5 op_sel_hi:[0,1,0]
	s_waitcnt vmcnt(24)
	v_fma_mix_f32 v9, v12, v28, v5 op_sel_hi:[0,1,0]
	ds_load_b128 v[5:8], v45 offset:432
	s_waitcnt vmcnt(23) lgkmcnt(1)
	v_fma_mix_f32 v1, v1, v29, v9 op_sel_hi:[0,1,0]
	s_waitcnt vmcnt(22)
	s_delay_alu instid0(VALU_DEP_1) | instskip(SKIP_1) | instid1(VALU_DEP_1)
	v_fma_mix_f32 v1, v2, v30, v1 op_sel_hi:[0,1,0]
	s_waitcnt vmcnt(21)
	v_fma_mix_f32 v1, v3, v31, v1 op_sel_hi:[0,1,0]
	s_waitcnt vmcnt(20)
	s_delay_alu instid0(VALU_DEP_1) | instskip(SKIP_1) | instid1(VALU_DEP_1)
	v_fma_mix_f32 v1, v4, v32, v1 op_sel_hi:[0,1,0]
	s_waitcnt vmcnt(19) lgkmcnt(0)
	v_fma_mix_f32 v5, v5, v33, v1 op_sel_hi:[0,1,0]
	ds_load_b128 v[1:4], v45 offset:448
	s_waitcnt vmcnt(18)
	v_fma_mix_f32 v5, v6, v34, v5 op_sel_hi:[0,1,0]
	s_waitcnt vmcnt(17)
	s_delay_alu instid0(VALU_DEP_1) | instskip(SKIP_1) | instid1(VALU_DEP_1)
	v_fma_mix_f32 v5, v7, v17, v5 op_sel_hi:[0,1,0]
	s_waitcnt vmcnt(16)
	v_fma_mix_f32 v9, v8, v18, v5 op_sel_hi:[0,1,0]
	ds_load_b128 v[5:8], v45 offset:464
	s_waitcnt vmcnt(15) lgkmcnt(1)
	v_fma_mix_f32 v1, v1, v19, v9 op_sel_hi:[0,1,0]
	s_waitcnt vmcnt(14)
	s_delay_alu instid0(VALU_DEP_1) | instskip(SKIP_1) | instid1(VALU_DEP_1)
	v_fma_mix_f32 v1, v2, v20, v1 op_sel_hi:[0,1,0]
	s_waitcnt vmcnt(13)
	v_fma_mix_f32 v1, v3, v35, v1 op_sel_hi:[0,1,0]
	s_waitcnt vmcnt(12)
	s_delay_alu instid0(VALU_DEP_1) | instskip(SKIP_1) | instid1(VALU_DEP_1)
	v_fma_mix_f32 v1, v4, v36, v1 op_sel_hi:[0,1,0]
	s_waitcnt vmcnt(11) lgkmcnt(0)
	;; [unrolled: 21-line block ×3, first 2 shown]
	v_fma_mix_f32 v1, v5, v41, v1 op_sel_hi:[0,1,0]
	s_waitcnt vmcnt(2)
	s_delay_alu instid0(VALU_DEP_1) | instskip(SKIP_1) | instid1(VALU_DEP_1)
	v_fma_mix_f32 v1, v6, v42, v1 op_sel_hi:[0,1,0]
	s_waitcnt vmcnt(1)
	v_fma_mix_f32 v1, v7, v43, v1 op_sel_hi:[0,1,0]
	s_waitcnt vmcnt(0)
	s_delay_alu instid0(VALU_DEP_1)
	v_fma_mix_f32 v4, v8, v44, v1 op_sel_hi:[0,1,0]
	v_mov_b32_e32 v1, 0
	s_and_not1_b32 vcc_lo, exec_lo, s15
	ds_load_b32 v1, v1 offset:512
	s_cbranch_vccz .LBB21_16
	s_branch .LBB21_17
	.section	.rodata,"a",@progbits
	.p2align	6, 0x0
	.amdhsa_kernel _Z35paged_attention_ll4mi_reduce_kernelIDF16_hLi64ELi64ELi256ELi4EEvPT0_PKfS3_PKT_PKiS8_iS3_
		.amdhsa_group_segment_fixed_size 516
		.amdhsa_private_segment_fixed_size 0
		.amdhsa_kernarg_size 320
		.amdhsa_user_sgpr_count 14
		.amdhsa_user_sgpr_dispatch_ptr 0
		.amdhsa_user_sgpr_queue_ptr 0
		.amdhsa_user_sgpr_kernarg_segment_ptr 1
		.amdhsa_user_sgpr_dispatch_id 0
		.amdhsa_user_sgpr_private_segment_size 0
		.amdhsa_wavefront_size32 1
		.amdhsa_uses_dynamic_stack 0
		.amdhsa_enable_private_segment 0
		.amdhsa_system_sgpr_workgroup_id_x 1
		.amdhsa_system_sgpr_workgroup_id_y 1
		.amdhsa_system_sgpr_workgroup_id_z 0
		.amdhsa_system_sgpr_workgroup_info 0
		.amdhsa_system_vgpr_workitem_id 0
		.amdhsa_next_free_vgpr 48
		.amdhsa_next_free_sgpr 52
		.amdhsa_reserve_vcc 1
		.amdhsa_float_round_mode_32 0
		.amdhsa_float_round_mode_16_64 0
		.amdhsa_float_denorm_mode_32 3
		.amdhsa_float_denorm_mode_16_64 3
		.amdhsa_dx10_clamp 1
		.amdhsa_ieee_mode 1
		.amdhsa_fp16_overflow 0
		.amdhsa_workgroup_processor_mode 1
		.amdhsa_memory_ordered 1
		.amdhsa_forward_progress 0
		.amdhsa_shared_vgpr_count 0
		.amdhsa_exception_fp_ieee_invalid_op 0
		.amdhsa_exception_fp_denorm_src 0
		.amdhsa_exception_fp_ieee_div_zero 0
		.amdhsa_exception_fp_ieee_overflow 0
		.amdhsa_exception_fp_ieee_underflow 0
		.amdhsa_exception_fp_ieee_inexact 0
		.amdhsa_exception_int_div_zero 0
	.end_amdhsa_kernel
	.section	.text._Z35paged_attention_ll4mi_reduce_kernelIDF16_hLi64ELi64ELi256ELi4EEvPT0_PKfS3_PKT_PKiS8_iS3_,"axG",@progbits,_Z35paged_attention_ll4mi_reduce_kernelIDF16_hLi64ELi64ELi256ELi4EEvPT0_PKfS3_PKT_PKiS8_iS3_,comdat
.Lfunc_end21:
	.size	_Z35paged_attention_ll4mi_reduce_kernelIDF16_hLi64ELi64ELi256ELi4EEvPT0_PKfS3_PKT_PKiS8_iS3_, .Lfunc_end21-_Z35paged_attention_ll4mi_reduce_kernelIDF16_hLi64ELi64ELi256ELi4EEvPT0_PKfS3_PKT_PKiS8_iS3_
                                        ; -- End function
	.section	.AMDGPU.csdata,"",@progbits
; Kernel info:
; codeLenInByte = 9524
; NumSgprs: 54
; NumVgprs: 48
; ScratchSize: 0
; MemoryBound: 0
; FloatMode: 240
; IeeeMode: 1
; LDSByteSize: 516 bytes/workgroup (compile time only)
; SGPRBlocks: 6
; VGPRBlocks: 5
; NumSGPRsForWavesPerEU: 54
; NumVGPRsForWavesPerEU: 48
; Occupancy: 16
; WaveLimiterHint : 0
; COMPUTE_PGM_RSRC2:SCRATCH_EN: 0
; COMPUTE_PGM_RSRC2:USER_SGPR: 14
; COMPUTE_PGM_RSRC2:TRAP_HANDLER: 0
; COMPUTE_PGM_RSRC2:TGID_X_EN: 1
; COMPUTE_PGM_RSRC2:TGID_Y_EN: 1
; COMPUTE_PGM_RSRC2:TGID_Z_EN: 0
; COMPUTE_PGM_RSRC2:TIDIG_COMP_CNT: 0
	.section	.text._Z35paged_attention_ll4mi_reduce_kernelIDF16_hLi64ELi64ELi256ELi5EEvPT0_PKfS3_PKT_PKiS8_iS3_,"axG",@progbits,_Z35paged_attention_ll4mi_reduce_kernelIDF16_hLi64ELi64ELi256ELi5EEvPT0_PKfS3_PKT_PKiS8_iS3_,comdat
	.protected	_Z35paged_attention_ll4mi_reduce_kernelIDF16_hLi64ELi64ELi256ELi5EEvPT0_PKfS3_PKT_PKiS8_iS3_ ; -- Begin function _Z35paged_attention_ll4mi_reduce_kernelIDF16_hLi64ELi64ELi256ELi5EEvPT0_PKfS3_PKT_PKiS8_iS3_
	.globl	_Z35paged_attention_ll4mi_reduce_kernelIDF16_hLi64ELi64ELi256ELi5EEvPT0_PKfS3_PKT_PKiS8_iS3_
	.p2align	8
	.type	_Z35paged_attention_ll4mi_reduce_kernelIDF16_hLi64ELi64ELi256ELi5EEvPT0_PKfS3_PKT_PKiS8_iS3_,@function
_Z35paged_attention_ll4mi_reduce_kernelIDF16_hLi64ELi64ELi256ELi5EEvPT0_PKfS3_PKT_PKiS8_iS3_: ; @_Z35paged_attention_ll4mi_reduce_kernelIDF16_hLi64ELi64ELi256ELi5EEvPT0_PKfS3_PKT_PKiS8_iS3_
; %bb.0:
	s_load_b64 s[12:13], s[0:1], 0x28
	s_mov_b32 s2, s15
	s_waitcnt lgkmcnt(0)
	s_cmp_lg_u64 s[12:13], 0
	s_cselect_b32 s15, -1, 0
	s_delay_alu instid0(SALU_CYCLE_1)
	s_and_b32 vcc_lo, exec_lo, s15
	s_cbranch_vccz .LBB22_19
; %bb.1:
	s_add_i32 s4, s2, 1
	s_mov_b32 s5, 0
	s_delay_alu instid0(SALU_CYCLE_1) | instskip(SKIP_4) | instid1(SALU_CYCLE_1)
	s_lshl_b64 s[6:7], s[4:5], 2
	s_mov_b32 s3, s5
	s_add_u32 s6, s12, s6
	s_addc_u32 s7, s13, s7
	s_lshl_b64 s[8:9], s[2:3], 2
	s_add_u32 s8, s12, s8
	s_addc_u32 s9, s13, s9
	s_clause 0x1
	s_load_b32 s4, s[6:7], 0x0
	s_load_b32 s6, s[8:9], 0x0
	s_waitcnt lgkmcnt(0)
	s_sub_i32 s4, s4, s6
	s_delay_alu instid0(SALU_CYCLE_1)
	s_cmp_eq_u32 s4, 1
	s_cselect_b32 s4, -1, 0
	s_cbranch_execnz .LBB22_3
.LBB22_2:
	s_mov_b32 s3, 0
	s_mov_b32 s4, -1
.LBB22_3:
	s_delay_alu instid0(SALU_CYCLE_1)
	s_and_not1_b32 vcc_lo, exec_lo, s4
	s_cbranch_vccz .LBB22_5
; %bb.4:
	s_endpgm
.LBB22_5:
	s_clause 0x1
	s_load_b128 s[4:7], s[0:1], 0x18
	s_load_b32 s9, s[0:1], 0x30
	s_lshl_b64 s[16:17], s[2:3], 2
	s_waitcnt lgkmcnt(0)
	s_add_u32 s6, s6, s16
	s_addc_u32 s7, s7, s17
	s_load_b32 s22, s[6:7], 0x0
	s_load_b32 s33, s[0:1], 0x40
	s_mul_i32 s7, s2, s9
	s_waitcnt lgkmcnt(0)
	s_add_i32 s48, s22, 0xff
	s_delay_alu instid0(SALU_CYCLE_1) | instskip(NEXT) | instid1(SALU_CYCLE_1)
	s_ashr_i32 s6, s48, 31
	s_lshr_b32 s6, s6, 24
	s_delay_alu instid0(SALU_CYCLE_1) | instskip(SKIP_4) | instid1(SALU_CYCLE_1)
	s_add_i32 s8, s48, s6
	s_mul_i32 s6, s14, s9
	s_mov_b32 s9, exec_lo
	v_cmpx_lt_u32_e32 31, v0
	s_xor_b32 s9, exec_lo, s9
	s_or_saveexec_b32 s24, s9
	v_mov_b32_e32 v1, s6
	s_ashr_i32 s23, s8, 8
	s_mul_i32 s18, s7, s33
	s_xor_b32 exec_lo, exec_lo, s24
	s_cbranch_execz .LBB22_9
; %bb.6:
	v_or_b32_e32 v2, 32, v0
	v_cmp_gt_i32_e32 vcc_lo, s23, v0
	s_add_i32 s25, s23, -1
	s_load_b128 s[8:11], s[0:1], 0x8
	v_or_b32_e32 v4, 64, v0
	v_or_b32_e32 v6, 0x60, v0
	v_cndmask_b32_e32 v1, s25, v0, vcc_lo
	v_cmp_gt_i32_e32 vcc_lo, s23, v2
	v_or_b32_e32 v8, 0x80, v0
	s_mov_b32 s19, 0
	s_delay_alu instid0(SALU_CYCLE_1)
	s_lshl_b64 s[20:21], s[18:19], 2
	v_cndmask_b32_e32 v3, s25, v2, vcc_lo
	v_cmp_gt_i32_e32 vcc_lo, s23, v4
	v_ashrrev_i32_e32 v2, 31, v1
	s_mov_b32 s7, s19
	v_cndmask_b32_e32 v5, s25, v4, vcc_lo
	v_cmp_gt_i32_e32 vcc_lo, s23, v6
	v_ashrrev_i32_e32 v4, 31, v3
	v_lshlrev_b64 v[1:2], 2, v[1:2]
	s_waitcnt lgkmcnt(0)
	s_add_u32 s19, s10, s20
	v_cndmask_b32_e32 v7, s25, v6, vcc_lo
	v_cmp_gt_i32_e32 vcc_lo, s23, v8
	v_ashrrev_i32_e32 v6, 31, v5
	v_lshlrev_b64 v[3:4], 2, v[3:4]
	v_cndmask_b32_e32 v9, s25, v8, vcc_lo
	s_addc_u32 s25, s11, s21
	s_lshl_b64 s[10:11], s[6:7], 2
	v_ashrrev_i32_e32 v8, 31, v7
	s_add_u32 s7, s19, s10
	s_addc_u32 s19, s25, s11
	v_add_co_u32 v11, vcc_lo, s7, v1
	v_lshlrev_b64 v[5:6], 2, v[5:6]
	v_ashrrev_i32_e32 v10, 31, v9
	v_add_co_ci_u32_e32 v12, vcc_lo, s19, v2, vcc_lo
	v_add_co_u32 v13, vcc_lo, s7, v3
	v_lshlrev_b64 v[7:8], 2, v[7:8]
	v_add_co_ci_u32_e32 v14, vcc_lo, s19, v4, vcc_lo
	v_add_co_u32 v15, vcc_lo, s7, v5
	v_lshlrev_b64 v[9:10], 2, v[9:10]
	v_add_co_ci_u32_e32 v16, vcc_lo, s19, v6, vcc_lo
	v_add_co_u32 v17, vcc_lo, s7, v7
	v_add_co_ci_u32_e32 v18, vcc_lo, s19, v8, vcc_lo
	s_delay_alu instid0(VALU_DEP_4)
	v_add_co_u32 v19, vcc_lo, s7, v9
	v_add_co_ci_u32_e32 v20, vcc_lo, s19, v10, vcc_lo
	s_clause 0x4
	global_load_b32 v11, v[11:12], off
	global_load_b32 v12, v[13:14], off
	;; [unrolled: 1-line block ×5, first 2 shown]
	s_add_u32 s7, s8, s20
	s_addc_u32 s8, s9, s21
	s_add_u32 s7, s7, s10
	s_addc_u32 s8, s8, s11
	v_add_co_u32 v1, vcc_lo, s7, v1
	v_add_co_ci_u32_e32 v2, vcc_lo, s8, v2, vcc_lo
	v_add_co_u32 v3, vcc_lo, s7, v3
	v_add_co_ci_u32_e32 v4, vcc_lo, s8, v4, vcc_lo
	v_add_co_u32 v5, vcc_lo, s7, v5
	v_add_co_ci_u32_e32 v6, vcc_lo, s8, v6, vcc_lo
	v_add_co_u32 v7, vcc_lo, s7, v7
	v_add_co_ci_u32_e32 v8, vcc_lo, s8, v8, vcc_lo
	s_clause 0x3
	global_load_b32 v16, v[1:2], off
	global_load_b32 v3, v[3:4], off
	;; [unrolled: 1-line block ×4, first 2 shown]
	v_add_co_u32 v1, vcc_lo, s7, v9
	v_add_co_ci_u32_e32 v2, vcc_lo, s8, v10, vcc_lo
	s_mov_b32 s7, exec_lo
	global_load_b32 v1, v[1:2], off
	v_mbcnt_lo_u32_b32 v2, -1, 0
	s_delay_alu instid0(VALU_DEP_1)
	v_xor_b32_e32 v6, 16, v2
	v_xor_b32_e32 v9, 8, v2
	;; [unrolled: 1-line block ×5, first 2 shown]
	v_cmp_gt_i32_e32 vcc_lo, 32, v6
	v_cndmask_b32_e32 v6, v2, v6, vcc_lo
	v_cmp_gt_i32_e32 vcc_lo, 32, v9
	v_cndmask_b32_e32 v9, v2, v9, vcc_lo
	v_cmp_gt_i32_e32 vcc_lo, 32, v10
	s_delay_alu instid0(VALU_DEP_2) | instskip(SKIP_3) | instid1(VALU_DEP_2)
	v_lshlrev_b32_e32 v9, 2, v9
	v_lshlrev_b32_e32 v6, 2, v6
	v_cndmask_b32_e32 v10, v2, v10, vcc_lo
	v_cmp_gt_i32_e32 vcc_lo, 32, v17
	v_dual_cndmask_b32 v17, v2, v17 :: v_dual_lshlrev_b32 v10, 2, v10
	v_cmp_gt_i32_e32 vcc_lo, 32, v18
	s_delay_alu instid0(VALU_DEP_2) | instskip(NEXT) | instid1(VALU_DEP_1)
	v_dual_cndmask_b32 v2, v2, v18 :: v_dual_lshlrev_b32 v17, 2, v17
	v_lshlrev_b32_e32 v2, 2, v2
	s_waitcnt vmcnt(7)
	v_max3_f32 v7, v11, v12, v13
	s_waitcnt vmcnt(5)
	s_delay_alu instid0(VALU_DEP_1) | instskip(SKIP_3) | instid1(VALU_DEP_1)
	v_max3_f32 v7, v7, v14, v15
	ds_bpermute_b32 v8, v6, v7
	s_waitcnt lgkmcnt(0)
	v_max_f32_e32 v8, v8, v8
	v_max_f32_e32 v7, v7, v8
	ds_bpermute_b32 v8, v9, v7
	s_waitcnt lgkmcnt(0)
	v_max_f32_e32 v8, v8, v8
	s_delay_alu instid0(VALU_DEP_1) | instskip(SKIP_3) | instid1(VALU_DEP_1)
	v_max_f32_e32 v7, v7, v8
	ds_bpermute_b32 v8, v10, v7
	s_waitcnt lgkmcnt(0)
	v_max_f32_e32 v8, v8, v8
	v_max_f32_e32 v7, v7, v8
	ds_bpermute_b32 v8, v17, v7
	s_waitcnt lgkmcnt(0)
	v_max_f32_e32 v8, v8, v8
	s_delay_alu instid0(VALU_DEP_1) | instskip(SKIP_3) | instid1(VALU_DEP_1)
	v_max_f32_e32 v7, v7, v8
	ds_bpermute_b32 v8, v2, v7
	s_waitcnt lgkmcnt(0)
	v_max_f32_e32 v8, v8, v8
	v_max_f32_e32 v7, v7, v8
	v_sub_nc_u32_e32 v8, s23, v0
	s_delay_alu instid0(VALU_DEP_2) | instskip(NEXT) | instid1(VALU_DEP_1)
	v_sub_f32_e32 v12, v12, v7
	v_mul_f32_e32 v18, 0x3fb8aa3b, v12
	s_delay_alu instid0(VALU_DEP_1) | instskip(SKIP_1) | instid1(VALU_DEP_2)
	v_rndne_f32_e32 v25, v18
	v_fma_f32 v24, 0x3fb8aa3b, v12, -v18
	v_sub_f32_e32 v18, v18, v25
	v_sub_f32_e32 v14, v14, v7
	s_delay_alu instid0(VALU_DEP_1) | instskip(NEXT) | instid1(VALU_DEP_1)
	v_mul_f32_e32 v20, 0x3fb8aa3b, v14
	v_fma_f32 v28, 0x3fb8aa3b, v14, -v20
	v_sub_f32_e32 v13, v13, v7
	v_rndne_f32_e32 v29, v20
	s_delay_alu instid0(VALU_DEP_3) | instskip(NEXT) | instid1(VALU_DEP_3)
	v_fmac_f32_e32 v28, 0x32a5705f, v14
	v_mul_f32_e32 v19, 0x3fb8aa3b, v13
	v_dual_sub_f32 v11, v11, v7 :: v_dual_fmac_f32 v24, 0x32a5705f, v12
	s_delay_alu instid0(VALU_DEP_4) | instskip(NEXT) | instid1(VALU_DEP_3)
	v_sub_f32_e32 v20, v20, v29
	v_fma_f32 v26, 0x3fb8aa3b, v13, -v19
	v_sub_f32_e32 v7, v15, v7
	s_delay_alu instid0(VALU_DEP_4)
	v_mul_f32_e32 v15, 0x3fb8aa3b, v11
	v_rndne_f32_e32 v27, v19
	v_add_f32_e32 v18, v18, v24
	v_fmac_f32_e32 v26, 0x32a5705f, v13
	v_mul_f32_e32 v21, 0x3fb8aa3b, v7
	v_fma_f32 v22, 0x3fb8aa3b, v11, -v15
	v_rndne_f32_e32 v23, v15
	v_dual_sub_f32 v19, v19, v27 :: v_dual_add_f32 v20, v20, v28
	s_delay_alu instid0(VALU_DEP_4) | instskip(NEXT) | instid1(VALU_DEP_4)
	v_fma_f32 v30, 0x3fb8aa3b, v7, -v21
	v_fmac_f32_e32 v22, 0x32a5705f, v11
	s_delay_alu instid0(VALU_DEP_4) | instskip(NEXT) | instid1(VALU_DEP_4)
	v_sub_f32_e32 v15, v15, v23
	v_add_f32_e32 v19, v19, v26
	v_exp_f32_e32 v18, v18
	v_fmac_f32_e32 v30, 0x32a5705f, v7
	v_cmp_ngt_f32_e32 vcc_lo, 0xc2ce8ed0, v11
	v_add_f32_e32 v15, v15, v22
	v_cvt_i32_f32_e32 v22, v23
	v_exp_f32_e32 v19, v19
	v_cvt_i32_f32_e32 v23, v25
	v_rndne_f32_e32 v31, v21
	v_exp_f32_e32 v15, v15
	v_exp_f32_e32 v20, v20
	v_cvt_i32_f32_e32 v24, v27
	v_ldexp_f32 v18, v18, v23
	v_cvt_i32_f32_e32 v25, v29
	v_cvt_i32_f32_e32 v26, v31
	s_delay_alu instid0(TRANS32_DEP_3) | instid1(VALU_DEP_4)
	v_ldexp_f32 v19, v19, v24
	s_delay_alu instid0(TRANS32_DEP_2)
	v_ldexp_f32 v15, v15, v22
	s_delay_alu instid0(TRANS32_DEP_1) | instid1(VALU_DEP_4)
	v_ldexp_f32 v20, v20, v25
	s_delay_alu instid0(VALU_DEP_2)
	v_cndmask_b32_e32 v15, 0, v15, vcc_lo
	v_cmp_ngt_f32_e32 vcc_lo, 0xc2ce8ed0, v12
	v_dual_sub_f32 v21, v21, v31 :: v_dual_cndmask_b32 v18, 0, v18
	v_cmp_ngt_f32_e32 vcc_lo, 0xc2ce8ed0, v13
	v_cndmask_b32_e32 v19, 0, v19, vcc_lo
	v_cmp_ngt_f32_e32 vcc_lo, 0xc2ce8ed0, v14
	s_delay_alu instid0(VALU_DEP_4) | instskip(NEXT) | instid1(VALU_DEP_1)
	v_dual_add_f32 v21, v21, v30 :: v_dual_cndmask_b32 v20, 0, v20
	v_exp_f32_e32 v21, v21
	v_cmp_ngt_f32_e32 vcc_lo, 0xc2ce8ed0, v7
	s_waitcnt_depctr 0xfff
	v_ldexp_f32 v21, v21, v26
	s_delay_alu instid0(VALU_DEP_1)
	v_cndmask_b32_e32 v21, 0, v21, vcc_lo
	v_cmp_nlt_f32_e32 vcc_lo, 0x42b17218, v11
	v_cndmask_b32_e32 v11, 0x7f800000, v15, vcc_lo
	v_cmp_nlt_f32_e32 vcc_lo, 0x42b17218, v12
	;; [unrolled: 2-line block ×3, first 2 shown]
	v_cndmask_b32_e32 v13, 0x7f800000, v19, vcc_lo
	v_cmp_lt_i32_e32 vcc_lo, 0, v8
	v_cndmask_b32_e32 v11, 0, v11, vcc_lo
	v_cmp_lt_i32_e32 vcc_lo, 32, v8
	s_waitcnt vmcnt(4)
	s_delay_alu instid0(VALU_DEP_2) | instskip(SKIP_2) | instid1(VALU_DEP_2)
	v_dual_mul_f32 v11, v16, v11 :: v_dual_cndmask_b32 v12, 0, v12
	v_cmp_lt_i32_e32 vcc_lo, 64, v8
	s_waitcnt vmcnt(3)
	v_mul_f32_e32 v3, v3, v12
	v_cndmask_b32_e32 v13, 0, v13, vcc_lo
	v_cmp_nlt_f32_e32 vcc_lo, 0x42b17218, v14
	s_waitcnt vmcnt(2)
	s_delay_alu instid0(VALU_DEP_2) | instskip(SKIP_2) | instid1(VALU_DEP_2)
	v_mul_f32_e32 v4, v4, v13
	v_dual_cndmask_b32 v14, 0x7f800000, v20 :: v_dual_add_f32 v13, v11, v3
	v_cmp_lt_i32_e32 vcc_lo, 0x60, v8
	v_cndmask_b32_e32 v12, 0, v14, vcc_lo
	v_cmp_nlt_f32_e32 vcc_lo, 0x42b17218, v7
	s_waitcnt vmcnt(1)
	s_delay_alu instid0(VALU_DEP_2) | instskip(SKIP_2) | instid1(VALU_DEP_2)
	v_mul_f32_e32 v5, v5, v12
	v_cndmask_b32_e32 v7, 0x7f800000, v21, vcc_lo
	v_cmp_lt_i32_e32 vcc_lo, 0x80, v8
	v_dual_add_f32 v8, v13, v4 :: v_dual_cndmask_b32 v7, 0, v7
	s_waitcnt vmcnt(0)
	s_delay_alu instid0(VALU_DEP_1) | instskip(NEXT) | instid1(VALU_DEP_2)
	v_mul_f32_e32 v7, v1, v7
	v_add_f32_e32 v1, v8, v5
	s_delay_alu instid0(VALU_DEP_1)
	v_add_f32_e32 v1, v1, v7
	ds_bpermute_b32 v6, v6, v1
	s_waitcnt lgkmcnt(0)
	v_add_f32_e32 v1, v1, v6
	ds_bpermute_b32 v6, v9, v1
	s_waitcnt lgkmcnt(0)
	;; [unrolled: 3-line block ×4, first 2 shown]
	v_dual_add_f32 v1, v1, v6 :: v_dual_lshlrev_b32 v6, 2, v0
	ds_store_2addr_b32 v6, v11, v3 offset1:32
	ds_store_2addr_b32 v6, v4, v5 offset0:64 offset1:96
	ds_store_b32 v6, v7 offset:512
	ds_bpermute_b32 v2, v2, v1
	v_cmpx_eq_u32_e32 0, v0
	s_cbranch_execz .LBB22_8
; %bb.7:
	s_waitcnt lgkmcnt(0)
	v_dual_add_f32 v1, v1, v2 :: v_dual_mov_b32 v2, 0
	ds_store_b32 v2, v1 offset:640
.LBB22_8:
	s_or_b32 exec_lo, exec_lo, s7
	v_mov_b32_e32 v1, s6
.LBB22_9:
	s_or_b32 exec_lo, exec_lo, s24
	s_lshl_b32 s6, s18, 6
	s_mov_b32 s7, 0
	s_waitcnt lgkmcnt(0)
	v_dual_mov_b32 v2, 0 :: v_dual_lshlrev_b32 v1, 6, v1
	s_lshl_b64 s[6:7], s[6:7], 1
	v_dual_mov_b32 v29, 0 :: v_dual_mov_b32 v30, 0
	s_add_u32 s34, s4, s6
	s_addc_u32 s35, s5, s7
	s_lshl_b32 s4, s23, 6
	v_lshlrev_b64 v[3:4], 1, v[1:2]
	s_sub_i32 s49, s4, 64
	s_cmpk_lt_i32 s48, 0x100
	v_lshlrev_b32_e32 v1, 1, v0
	s_cselect_b32 s4, s49, 0
	v_dual_mov_b32 v31, 0 :: v_dual_mov_b32 v32, 0
	s_ashr_i32 s5, s4, 31
	v_add_co_u32 v3, vcc_lo, s34, v3
	s_lshl_b64 s[4:5], s[4:5], 1
	s_cmpk_lt_i32 s48, 0x200
	v_add_co_ci_u32_e32 v4, vcc_lo, s35, v4, vcc_lo
	s_cselect_b32 s6, s49, 64
	v_add_co_u32 v1, vcc_lo, v3, v1
	s_ashr_i32 s7, s6, 31
	s_delay_alu instid0(VALU_DEP_2)
	v_add_co_ci_u32_e32 v3, vcc_lo, 0, v4, vcc_lo
	s_lshl_b64 s[6:7], s[6:7], 1
	s_cmpk_lt_i32 s48, 0x300
	v_add_co_u32 v4, vcc_lo, v1, s4
	s_cselect_b32 s8, s49, 0x80
	v_add_co_ci_u32_e32 v5, vcc_lo, s5, v3, vcc_lo
	s_ashr_i32 s9, s8, 31
	v_add_co_u32 v8, vcc_lo, v1, s6
	s_lshl_b64 s[8:9], s[8:9], 1
	s_cmpk_lt_i32 s48, 0x400
	v_add_co_ci_u32_e32 v9, vcc_lo, s7, v3, vcc_lo
	s_cselect_b32 s10, s49, 0xc0
	v_add_co_u32 v10, vcc_lo, v1, s8
	s_ashr_i32 s11, s10, 31
	v_add_co_ci_u32_e32 v11, vcc_lo, s9, v3, vcc_lo
	s_lshl_b64 s[10:11], s[10:11], 1
	s_cmpk_lt_i32 s48, 0x500
	v_add_co_u32 v12, vcc_lo, v1, s10
	s_cselect_b32 s18, s49, 0x100
	v_add_co_ci_u32_e32 v13, vcc_lo, s11, v3, vcc_lo
	s_ashr_i32 s19, s18, 31
	v_dual_mov_b32 v33, 0 :: v_dual_mov_b32 v34, 0
	s_lshl_b64 s[18:19], s[18:19], 1
	s_cmpk_lt_i32 s48, 0x600
	v_add_co_u32 v14, vcc_lo, v1, s18
	s_cselect_b32 s20, s49, 0x140
	v_add_co_ci_u32_e32 v15, vcc_lo, s19, v3, vcc_lo
	s_ashr_i32 s21, s20, 31
	v_mov_b32_e32 v35, 0
	s_lshl_b64 s[20:21], s[20:21], 1
	s_cmpk_lt_i32 s48, 0x700
	v_add_co_u32 v16, vcc_lo, v1, s20
	s_cselect_b32 s24, s49, 0x180
	v_add_co_ci_u32_e32 v17, vcc_lo, s21, v3, vcc_lo
	s_ashr_i32 s25, s24, 31
	s_delay_alu instid0(SALU_CYCLE_1)
	s_lshl_b64 s[24:25], s[24:25], 1
	s_cmpk_lt_i32 s48, 0x800
	v_add_co_u32 v18, vcc_lo, v1, s24
	s_cselect_b32 s26, s49, 0x1c0
	v_add_co_ci_u32_e32 v19, vcc_lo, s25, v3, vcc_lo
	s_ashr_i32 s27, s26, 31
	s_delay_alu instid0(SALU_CYCLE_1)
	s_lshl_b64 s[26:27], s[26:27], 1
	s_cmpk_lt_i32 s48, 0x900
	v_add_co_u32 v20, vcc_lo, v1, s26
	s_cselect_b32 s28, s49, 0x200
	v_add_co_ci_u32_e32 v21, vcc_lo, s27, v3, vcc_lo
	s_ashr_i32 s29, s28, 31
	s_clause 0x7
	global_load_u16 v7, v[4:5], off
	global_load_u16 v8, v[8:9], off
	;; [unrolled: 1-line block ×8, first 2 shown]
	s_lshl_b64 s[28:29], s[28:29], 1
	s_cmpk_lt_i32 s48, 0xa00
	v_add_co_u32 v12, vcc_lo, v1, s28
	s_cselect_b32 s30, s49, 0x240
	v_add_co_ci_u32_e32 v13, vcc_lo, s29, v3, vcc_lo
	s_ashr_i32 s31, s30, 31
	s_delay_alu instid0(SALU_CYCLE_1)
	s_lshl_b64 s[30:31], s[30:31], 1
	s_cmpk_lt_i32 s48, 0xb00
	v_add_co_u32 v15, vcc_lo, v1, s30
	s_cselect_b32 s34, s49, 0x280
	v_add_co_ci_u32_e32 v16, vcc_lo, s31, v3, vcc_lo
	s_ashr_i32 s35, s34, 31
	s_delay_alu instid0(SALU_CYCLE_1)
	;; [unrolled: 7-line block ×7, first 2 shown]
	s_lshl_b64 s[4:5], s[6:7], 1
	s_cmpk_gt_i32 s22, 0x1000
	v_add_co_u32 v27, vcc_lo, v1, s4
	v_add_co_ci_u32_e32 v28, vcc_lo, s5, v3, vcc_lo
	s_clause 0x7
	global_load_u16 v14, v[12:13], off
	global_load_u16 v15, v[15:16], off
	;; [unrolled: 1-line block ×8, first 2 shown]
	v_dual_mov_b32 v20, 0 :: v_dual_mov_b32 v21, 0
	v_dual_mov_b32 v22, 0 :: v_dual_mov_b32 v23, 0
	;; [unrolled: 1-line block ×4, first 2 shown]
	v_mov_b32_e32 v28, 0
	s_cselect_b32 s8, -1, 0
	s_cmpk_lt_i32 s22, 0x1001
	s_waitcnt vmcnt(0)
	s_barrier
	buffer_gl0_inv
	s_cbranch_scc1 .LBB22_11
; %bb.10:
	s_cmpk_lt_i32 s48, 0x1100
	s_cselect_b32 s4, s49, 0x400
	s_delay_alu instid0(SALU_CYCLE_1) | instskip(NEXT) | instid1(SALU_CYCLE_1)
	s_ashr_i32 s5, s4, 31
	s_lshl_b64 s[4:5], s[4:5], 1
	s_cmpk_lt_i32 s48, 0x1200
	v_add_co_u32 v20, vcc_lo, v1, s4
	s_cselect_b32 s6, s49, 0x440
	v_add_co_ci_u32_e32 v21, vcc_lo, s5, v3, vcc_lo
	s_ashr_i32 s7, s6, 31
	s_delay_alu instid0(SALU_CYCLE_1)
	s_lshl_b64 s[6:7], s[6:7], 1
	s_cmpk_lt_i32 s48, 0x1300
	v_add_co_u32 v22, vcc_lo, v1, s6
	s_cselect_b32 s10, s49, 0x480
	v_add_co_ci_u32_e32 v23, vcc_lo, s7, v3, vcc_lo
	s_ashr_i32 s11, s10, 31
	s_delay_alu instid0(SALU_CYCLE_1)
	;; [unrolled: 7-line block ×7, first 2 shown]
	s_lshl_b64 s[26:27], s[26:27], 1
	s_cmpk_lt_i32 s48, 0x1900
	v_add_co_u32 v34, vcc_lo, v1, s26
	s_cselect_b32 s28, s49, 0x600
	v_add_co_ci_u32_e32 v35, vcc_lo, s27, v3, vcc_lo
	s_ashr_i32 s29, s28, 31
	s_clause 0x7
	global_load_u16 v36, v[20:21], off
	global_load_u16 v37, v[22:23], off
	;; [unrolled: 1-line block ×8, first 2 shown]
	s_lshl_b64 s[28:29], s[28:29], 1
	s_cmpk_lt_i32 s48, 0x1a00
	v_add_co_u32 v20, vcc_lo, v1, s28
	s_cselect_b32 s30, s49, 0x640
	v_add_co_ci_u32_e32 v21, vcc_lo, s29, v3, vcc_lo
	s_ashr_i32 s31, s30, 31
	s_delay_alu instid0(SALU_CYCLE_1)
	s_lshl_b64 s[30:31], s[30:31], 1
	s_cmpk_lt_i32 s48, 0x1b00
	v_add_co_u32 v22, vcc_lo, v1, s30
	s_cselect_b32 s34, s49, 0x680
	v_add_co_ci_u32_e32 v23, vcc_lo, s31, v3, vcc_lo
	s_ashr_i32 s35, s34, 31
	s_delay_alu instid0(SALU_CYCLE_1)
	;; [unrolled: 7-line block ×6, first 2 shown]
	s_lshl_b64 s[4:5], s[20:21], 1
	s_cmpk_lt_i32 s48, 0x2000
	v_add_co_u32 v32, vcc_lo, v1, s4
	s_cselect_b32 s6, s49, 0x7c0
	v_add_co_ci_u32_e32 v33, vcc_lo, s5, v3, vcc_lo
	s_ashr_i32 s7, s6, 31
	s_delay_alu instid0(SALU_CYCLE_1) | instskip(NEXT) | instid1(SALU_CYCLE_1)
	s_lshl_b64 s[4:5], s[6:7], 1
	v_add_co_u32 v34, vcc_lo, v1, s4
	v_add_co_ci_u32_e32 v35, vcc_lo, s5, v3, vcc_lo
	s_clause 0x7
	global_load_u16 v20, v[20:21], off
	global_load_u16 v21, v[22:23], off
	;; [unrolled: 1-line block ×8, first 2 shown]
	s_waitcnt vmcnt(15)
	v_cvt_f32_f16_e32 v35, v36
	s_waitcnt vmcnt(14)
	v_cvt_f32_f16_e32 v34, v37
	;; [unrolled: 2-line block ×16, first 2 shown]
.LBB22_11:
	ds_load_b128 v[36:39], v2
	ds_load_b128 v[40:43], v2 offset:16
	s_and_not1_b32 vcc_lo, exec_lo, s8
	s_waitcnt lgkmcnt(1)
	v_fma_mix_f32 v7, v36, v7, 0 op_sel_hi:[0,1,0]
	s_delay_alu instid0(VALU_DEP_1) | instskip(NEXT) | instid1(VALU_DEP_1)
	v_fma_mix_f32 v7, v37, v8, v7 op_sel_hi:[0,1,0]
	v_fma_mix_f32 v7, v38, v9, v7 op_sel_hi:[0,1,0]
	s_delay_alu instid0(VALU_DEP_1)
	v_fma_mix_f32 v7, v39, v10, v7 op_sel_hi:[0,1,0]
	ds_load_b128 v[36:39], v2 offset:48
	s_waitcnt lgkmcnt(1)
	v_fma_mix_f32 v11, v40, v11, v7 op_sel_hi:[0,1,0]
	ds_load_b128 v[7:10], v2 offset:32
	v_fma_mix_f32 v4, v41, v4, v11 op_sel_hi:[0,1,0]
	s_delay_alu instid0(VALU_DEP_1) | instskip(NEXT) | instid1(VALU_DEP_1)
	v_fma_mix_f32 v4, v42, v5, v4 op_sel_hi:[0,1,0]
	v_fma_mix_f32 v4, v43, v6, v4 op_sel_hi:[0,1,0]
	s_waitcnt lgkmcnt(0)
	s_delay_alu instid0(VALU_DEP_1) | instskip(NEXT) | instid1(VALU_DEP_1)
	v_fma_mix_f32 v4, v7, v14, v4 op_sel_hi:[0,1,0]
	v_fma_mix_f32 v4, v8, v15, v4 op_sel_hi:[0,1,0]
	s_delay_alu instid0(VALU_DEP_1) | instskip(NEXT) | instid1(VALU_DEP_1)
	v_fma_mix_f32 v4, v9, v16, v4 op_sel_hi:[0,1,0]
	v_fma_mix_f32 v4, v10, v17, v4 op_sel_hi:[0,1,0]
	;; [unrolled: 3-line block ×4, first 2 shown]
	s_cbranch_vccz .LBB22_20
; %bb.12:
	s_cmpk_lt_i32 s48, 0x2100
	s_cbranch_scc0 .LBB22_21
.LBB22_13:
	s_cmpk_lt_i32 s48, 0x4100
	s_cbranch_scc0 .LBB22_22
.LBB22_14:
	s_cmpk_lt_i32 s48, 0x6100
	s_cbranch_scc0 .LBB22_23
.LBB22_15:
	s_load_b64 s[0:1], s[0:1], 0x0
	s_cmp_lt_i32 s48, 0x8100
	s_cbranch_scc0 .LBB22_24
.LBB22_16:
	v_mov_b32_e32 v1, 0
	s_and_not1_b32 vcc_lo, exec_lo, s15
	ds_load_b32 v1, v1 offset:640
	s_cbranch_vccnz .LBB22_18
.LBB22_17:
	s_add_u32 s2, s12, s16
	s_addc_u32 s3, s13, s17
	s_load_b32 s2, s[2:3], 0x0
	s_mov_b32 s3, 0
.LBB22_18:
	s_waitcnt lgkmcnt(0)
	v_add_f32_e32 v1, 0x358637bd, v1
	s_mul_i32 s3, s33, s3
	s_mul_hi_u32 s4, s33, s2
	s_mul_i32 s2, s33, s2
	s_add_i32 s3, s4, s3
	v_div_scale_f32 v2, null, v1, v1, 1.0
	v_div_scale_f32 v6, vcc_lo, 1.0, v1, 1.0
	s_lshl_b64 s[2:3], s[2:3], 6
	s_delay_alu instid0(VALU_DEP_2) | instskip(SKIP_4) | instid1(SALU_CYCLE_1)
	v_rcp_f32_e32 v3, v2
	s_mov_b32 s15, 0
	s_add_u32 s2, s0, s2
	s_addc_u32 s3, s1, s3
	s_lshl_b64 s[0:1], s[14:15], 6
	s_add_u32 s0, s2, s0
	s_addc_u32 s1, s3, s1
	v_add_co_u32 v0, s0, s0, v0
	s_waitcnt_depctr 0xfff
	v_fma_f32 v5, -v2, v3, 1.0
	s_delay_alu instid0(VALU_DEP_1) | instskip(NEXT) | instid1(VALU_DEP_1)
	v_fmac_f32_e32 v3, v5, v3
	v_mul_f32_e32 v5, v6, v3
	s_delay_alu instid0(VALU_DEP_1) | instskip(NEXT) | instid1(VALU_DEP_1)
	v_fma_f32 v7, -v2, v5, v6
	v_fmac_f32_e32 v5, v7, v3
	s_delay_alu instid0(VALU_DEP_1) | instskip(NEXT) | instid1(VALU_DEP_1)
	v_fma_f32 v2, -v2, v5, v6
	v_div_fmas_f32 v2, v2, v3, v5
	s_delay_alu instid0(VALU_DEP_1) | instskip(NEXT) | instid1(VALU_DEP_1)
	v_div_fixup_f32 v1, v2, v1, 1.0
	v_fma_mixlo_f16 v1, v4, v1, 0
	s_delay_alu instid0(VALU_DEP_1)
	v_cvt_i16_f16_e32 v2, v1
	v_add_co_ci_u32_e64 v1, null, s1, 0, s0
	global_store_b8 v[0:1], v2, off
	s_nop 0
	s_sendmsg sendmsg(MSG_DEALLOC_VGPRS)
	s_endpgm
.LBB22_19:
	s_mov_b32 s4, 0
	s_branch .LBB22_2
.LBB22_20:
	ds_load_b128 v[5:8], v2 offset:64
	ds_load_b128 v[9:12], v2 offset:80
	s_waitcnt lgkmcnt(1)
	v_fmac_f32_e32 v4, v5, v35
	s_delay_alu instid0(VALU_DEP_1) | instskip(NEXT) | instid1(VALU_DEP_1)
	v_fmac_f32_e32 v4, v6, v34
	v_fmac_f32_e32 v4, v7, v33
	s_delay_alu instid0(VALU_DEP_1) | instskip(SKIP_3) | instid1(VALU_DEP_1)
	v_fmac_f32_e32 v4, v8, v32
	ds_load_b128 v[5:8], v2 offset:96
	s_waitcnt lgkmcnt(1)
	v_fmac_f32_e32 v4, v9, v31
	v_fmac_f32_e32 v4, v10, v30
	s_delay_alu instid0(VALU_DEP_1) | instskip(NEXT) | instid1(VALU_DEP_1)
	v_fmac_f32_e32 v4, v11, v29
	v_fmac_f32_e32 v4, v12, v28
	ds_load_b128 v[9:12], v2 offset:112
	s_waitcnt lgkmcnt(1)
	v_fmac_f32_e32 v4, v5, v27
	s_delay_alu instid0(VALU_DEP_1) | instskip(NEXT) | instid1(VALU_DEP_1)
	v_fmac_f32_e32 v4, v6, v26
	v_fmac_f32_e32 v4, v7, v25
	s_delay_alu instid0(VALU_DEP_1) | instskip(SKIP_1) | instid1(VALU_DEP_1)
	v_fmac_f32_e32 v4, v8, v24
	s_waitcnt lgkmcnt(0)
	v_fmac_f32_e32 v4, v9, v23
	s_delay_alu instid0(VALU_DEP_1) | instskip(NEXT) | instid1(VALU_DEP_1)
	v_fmac_f32_e32 v4, v10, v22
	v_fmac_f32_e32 v4, v11, v21
	s_delay_alu instid0(VALU_DEP_1)
	v_fmac_f32_e32 v4, v12, v20
	s_cmpk_lt_i32 s48, 0x2100
	s_cbranch_scc1 .LBB22_13
.LBB22_21:
	s_cmpk_lt_i32 s48, 0x2200
	v_add_co_u32 v5, vcc_lo, 0x1000, v1
	s_cselect_b32 s4, s49, 0x840
	v_add_co_ci_u32_e32 v6, vcc_lo, 0, v3, vcc_lo
	s_ashr_i32 s5, s4, 31
	v_mov_b32_e32 v44, 0
	s_lshl_b64 s[4:5], s[4:5], 1
	s_cmpk_lt_i32 s48, 0x2300
	v_add_co_u32 v7, vcc_lo, v1, s4
	s_cselect_b32 s6, s49, 0x880
	v_add_co_ci_u32_e32 v8, vcc_lo, s5, v3, vcc_lo
	s_ashr_i32 s7, s6, 31
	s_delay_alu instid0(SALU_CYCLE_1)
	s_lshl_b64 s[6:7], s[6:7], 1
	s_cmpk_lt_i32 s48, 0x2400
	v_add_co_u32 v9, vcc_lo, v1, s6
	s_cselect_b32 s8, s49, 0x8c0
	v_add_co_ci_u32_e32 v10, vcc_lo, s7, v3, vcc_lo
	s_ashr_i32 s9, s8, 31
	s_delay_alu instid0(SALU_CYCLE_1)
	;; [unrolled: 7-line block ×6, first 2 shown]
	s_lshl_b64 s[26:27], s[18:19], 1
	s_cmpk_lt_i32 s48, 0x2900
	v_add_co_u32 v19, vcc_lo, v1, s26
	s_cselect_b32 s18, s49, 0xa00
	v_add_co_ci_u32_e32 v20, vcc_lo, s27, v3, vcc_lo
	s_ashr_i32 s19, s18, 31
	s_clause 0x7
	global_load_u16 v2, v[5:6], off
	global_load_u16 v21, v[7:8], off
	;; [unrolled: 1-line block ×8, first 2 shown]
	s_lshl_b64 s[18:19], s[18:19], 1
	s_cmpk_lt_i32 s48, 0x2a00
	v_add_co_u32 v5, vcc_lo, v1, s18
	s_cselect_b32 s24, s49, 0xa40
	v_add_co_ci_u32_e32 v6, vcc_lo, s19, v3, vcc_lo
	s_ashr_i32 s25, s24, 31
	s_delay_alu instid0(SALU_CYCLE_1)
	s_lshl_b64 s[24:25], s[24:25], 1
	s_cmpk_lt_i32 s48, 0x2b00
	v_add_co_u32 v7, vcc_lo, v1, s24
	s_cselect_b32 s28, s49, 0xa80
	v_add_co_ci_u32_e32 v8, vcc_lo, s25, v3, vcc_lo
	s_ashr_i32 s29, s28, 31
	s_delay_alu instid0(SALU_CYCLE_1)
	;; [unrolled: 7-line block ×7, first 2 shown]
	s_lshl_b64 s[44:45], s[36:37], 1
	s_cmpk_lt_i32 s48, 0x3100
	v_add_co_u32 v19, vcc_lo, v1, s44
	s_cselect_b32 s36, s49, 0xc00
	v_add_co_ci_u32_e32 v20, vcc_lo, s45, v3, vcc_lo
	s_ashr_i32 s37, s36, 31
	s_clause 0x7
	global_load_u16 v28, v[5:6], off
	global_load_u16 v29, v[7:8], off
	;; [unrolled: 1-line block ×8, first 2 shown]
	s_lshl_b64 s[36:37], s[36:37], 1
	s_cmpk_lt_i32 s48, 0x3200
	v_add_co_u32 v5, vcc_lo, v1, s36
	s_cselect_b32 s42, s49, 0xc40
	v_add_co_ci_u32_e32 v6, vcc_lo, s37, v3, vcc_lo
	s_ashr_i32 s43, s42, 31
	s_delay_alu instid0(SALU_CYCLE_1)
	s_lshl_b64 s[42:43], s[42:43], 1
	s_cmpk_lt_i32 s48, 0x3300
	v_add_co_u32 v7, vcc_lo, v1, s42
	s_cselect_b32 s46, s49, 0xc80
	v_add_co_ci_u32_e32 v8, vcc_lo, s43, v3, vcc_lo
	s_ashr_i32 s47, s46, 31
	s_delay_alu instid0(SALU_CYCLE_1)
	;; [unrolled: 7-line block ×5, first 2 shown]
	s_lshl_b64 s[8:9], s[8:9], 1
	s_cmpk_lt_i32 s48, 0x3700
	v_add_co_u32 v15, vcc_lo, v1, s8
	s_cselect_b32 s10, s49, 0xd80
	v_add_co_ci_u32_e32 v16, vcc_lo, s9, v3, vcc_lo
	s_ashr_i32 s11, s10, 31
	s_clause 0x5
	global_load_u16 v19, v[5:6], off
	global_load_u16 v20, v[7:8], off
	global_load_u16 v34, v[9:10], off
	global_load_u16 v35, v[11:12], off
	global_load_u16 v36, v[13:14], off
	global_load_u16 v15, v[15:16], off
	s_lshl_b64 s[10:11], s[10:11], 1
	s_cmpk_lt_i32 s48, 0x3800
	v_add_co_u32 v5, vcc_lo, v1, s10
	s_cselect_b32 s18, s49, 0xdc0
	v_add_co_ci_u32_e32 v6, vcc_lo, s11, v3, vcc_lo
	s_ashr_i32 s19, s18, 31
	s_delay_alu instid0(SALU_CYCLE_1)
	s_lshl_b64 s[18:19], s[18:19], 1
	s_cmpk_lt_i32 s48, 0x3900
	v_add_co_u32 v7, vcc_lo, v1, s18
	s_cselect_b32 s20, s49, 0xe00
	v_add_co_ci_u32_e32 v8, vcc_lo, s19, v3, vcc_lo
	s_ashr_i32 s21, s20, 31
	global_load_u16 v16, v[5:6], off
	s_lshl_b64 s[20:21], s[20:21], 1
	global_load_u16 v37, v[7:8], off
	s_cmpk_lt_i32 s48, 0x3a00
	v_add_co_u32 v9, vcc_lo, v1, s20
	s_cselect_b32 s22, s49, 0xe40
	v_add_co_ci_u32_e32 v10, vcc_lo, s21, v3, vcc_lo
	s_ashr_i32 s23, s22, 31
	s_delay_alu instid0(SALU_CYCLE_1)
	s_lshl_b64 s[22:23], s[22:23], 1
	s_cmpk_lt_i32 s48, 0x3b00
	v_add_co_u32 v11, vcc_lo, v1, s22
	s_cselect_b32 s4, s49, 0xe80
	v_add_co_ci_u32_e32 v12, vcc_lo, s23, v3, vcc_lo
	s_ashr_i32 s5, s4, 31
	s_delay_alu instid0(SALU_CYCLE_1)
	s_lshl_b64 s[4:5], s[4:5], 1
	s_cmpk_lt_i32 s48, 0x3c00
	v_add_co_u32 v13, vcc_lo, v1, s4
	s_cselect_b32 s6, s49, 0xec0
	v_add_co_ci_u32_e32 v14, vcc_lo, s5, v3, vcc_lo
	s_ashr_i32 s7, s6, 31
	s_clause 0x2
	global_load_u16 v38, v[9:10], off
	global_load_u16 v39, v[11:12], off
	;; [unrolled: 1-line block ×3, first 2 shown]
	s_lshl_b64 s[6:7], s[6:7], 1
	s_cmpk_lt_i32 s48, 0x3d00
	v_add_co_u32 v5, vcc_lo, v1, s6
	s_cselect_b32 s8, s49, 0xf00
	v_add_co_ci_u32_e32 v6, vcc_lo, s7, v3, vcc_lo
	s_ashr_i32 s9, s8, 31
	s_delay_alu instid0(SALU_CYCLE_1)
	s_lshl_b64 s[4:5], s[8:9], 1
	s_cmpk_lt_i32 s48, 0x3e00
	v_add_co_u32 v7, vcc_lo, v1, s4
	s_cselect_b32 s8, s49, 0xf40
	v_add_co_ci_u32_e32 v8, vcc_lo, s5, v3, vcc_lo
	s_ashr_i32 s9, s8, 31
	global_load_u16 v14, v[5:6], off
	s_lshl_b64 s[8:9], s[8:9], 1
	s_cmpk_lt_i32 s48, 0x3f00
	v_add_co_u32 v9, vcc_lo, v1, s8
	s_cselect_b32 s6, s49, 0xf80
	v_add_co_ci_u32_e32 v10, vcc_lo, s9, v3, vcc_lo
	s_ashr_i32 s7, s6, 31
	s_clause 0x1
	global_load_u16 v40, v[7:8], off
	global_load_u16 v41, v[9:10], off
	s_lshl_b64 s[4:5], s[6:7], 1
	s_cmpk_lt_i32 s48, 0x4000
	v_add_co_u32 v5, vcc_lo, v1, s4
	s_cselect_b32 s6, s49, 0xfc0
	v_add_co_ci_u32_e32 v6, vcc_lo, s5, v3, vcc_lo
	s_ashr_i32 s7, s6, 31
	s_delay_alu instid0(SALU_CYCLE_1) | instskip(NEXT) | instid1(SALU_CYCLE_1)
	s_lshl_b64 s[4:5], s[6:7], 1
	v_add_co_u32 v7, vcc_lo, v1, s4
	v_add_co_ci_u32_e32 v8, vcc_lo, s5, v3, vcc_lo
	s_clause 0x1
	global_load_u16 v42, v[5:6], off
	global_load_u16 v43, v[7:8], off
	ds_load_b128 v[5:8], v44 offset:128
	ds_load_b128 v[9:12], v44 offset:144
	s_waitcnt vmcnt(31) lgkmcnt(1)
	v_fma_mix_f32 v2, v5, v2, v4 op_sel_hi:[0,1,0]
	s_waitcnt vmcnt(30)
	s_delay_alu instid0(VALU_DEP_1) | instskip(SKIP_1) | instid1(VALU_DEP_1)
	v_fma_mix_f32 v2, v6, v21, v2 op_sel_hi:[0,1,0]
	s_waitcnt vmcnt(29)
	v_fma_mix_f32 v2, v7, v22, v2 op_sel_hi:[0,1,0]
	ds_load_b128 v[4:7], v44 offset:160
	s_waitcnt vmcnt(28)
	v_fma_mix_f32 v2, v8, v23, v2 op_sel_hi:[0,1,0]
	s_waitcnt vmcnt(27) lgkmcnt(1)
	s_delay_alu instid0(VALU_DEP_1) | instskip(SKIP_1) | instid1(VALU_DEP_1)
	v_fma_mix_f32 v2, v9, v24, v2 op_sel_hi:[0,1,0]
	s_waitcnt vmcnt(26)
	v_fma_mix_f32 v2, v10, v25, v2 op_sel_hi:[0,1,0]
	s_waitcnt vmcnt(25)
	s_delay_alu instid0(VALU_DEP_1) | instskip(SKIP_4) | instid1(VALU_DEP_1)
	v_fma_mix_f32 v2, v11, v26, v2 op_sel_hi:[0,1,0]
	ds_load_b128 v[8:11], v44 offset:176
	s_waitcnt vmcnt(24)
	v_fma_mix_f32 v2, v12, v27, v2 op_sel_hi:[0,1,0]
	s_waitcnt vmcnt(23) lgkmcnt(1)
	v_fma_mix_f32 v2, v4, v28, v2 op_sel_hi:[0,1,0]
	s_waitcnt vmcnt(22)
	s_delay_alu instid0(VALU_DEP_1) | instskip(SKIP_1) | instid1(VALU_DEP_1)
	v_fma_mix_f32 v2, v5, v29, v2 op_sel_hi:[0,1,0]
	s_waitcnt vmcnt(21)
	v_fma_mix_f32 v2, v6, v30, v2 op_sel_hi:[0,1,0]
	s_waitcnt vmcnt(20)
	s_delay_alu instid0(VALU_DEP_1) | instskip(SKIP_4) | instid1(VALU_DEP_1)
	v_fma_mix_f32 v2, v7, v31, v2 op_sel_hi:[0,1,0]
	ds_load_b128 v[4:7], v44 offset:192
	s_waitcnt vmcnt(19) lgkmcnt(1)
	v_fma_mix_f32 v2, v8, v32, v2 op_sel_hi:[0,1,0]
	s_waitcnt vmcnt(18)
	v_fma_mix_f32 v2, v9, v33, v2 op_sel_hi:[0,1,0]
	s_waitcnt vmcnt(17)
	s_delay_alu instid0(VALU_DEP_1) | instskip(SKIP_1) | instid1(VALU_DEP_1)
	v_fma_mix_f32 v2, v10, v17, v2 op_sel_hi:[0,1,0]
	s_waitcnt vmcnt(16)
	v_fma_mix_f32 v2, v11, v18, v2 op_sel_hi:[0,1,0]
	ds_load_b128 v[8:11], v44 offset:208
	s_waitcnt vmcnt(15) lgkmcnt(1)
	v_fma_mix_f32 v2, v4, v19, v2 op_sel_hi:[0,1,0]
	s_waitcnt vmcnt(14)
	s_delay_alu instid0(VALU_DEP_1) | instskip(SKIP_1) | instid1(VALU_DEP_1)
	v_fma_mix_f32 v2, v5, v20, v2 op_sel_hi:[0,1,0]
	s_waitcnt vmcnt(13)
	v_fma_mix_f32 v2, v6, v34, v2 op_sel_hi:[0,1,0]
	s_waitcnt vmcnt(12)
	s_delay_alu instid0(VALU_DEP_1) | instskip(SKIP_4) | instid1(VALU_DEP_1)
	v_fma_mix_f32 v2, v7, v35, v2 op_sel_hi:[0,1,0]
	ds_load_b128 v[4:7], v44 offset:224
	s_waitcnt vmcnt(11) lgkmcnt(1)
	v_fma_mix_f32 v2, v8, v36, v2 op_sel_hi:[0,1,0]
	s_waitcnt vmcnt(10)
	v_fma_mix_f32 v2, v9, v15, v2 op_sel_hi:[0,1,0]
	s_waitcnt vmcnt(9)
	s_delay_alu instid0(VALU_DEP_1) | instskip(SKIP_1) | instid1(VALU_DEP_1)
	v_fma_mix_f32 v2, v10, v16, v2 op_sel_hi:[0,1,0]
	s_waitcnt vmcnt(8)
	v_fma_mix_f32 v2, v11, v37, v2 op_sel_hi:[0,1,0]
	ds_load_b128 v[8:11], v44 offset:240
	s_waitcnt vmcnt(7) lgkmcnt(1)
	v_fma_mix_f32 v2, v4, v38, v2 op_sel_hi:[0,1,0]
	s_waitcnt vmcnt(6)
	s_delay_alu instid0(VALU_DEP_1) | instskip(SKIP_1) | instid1(VALU_DEP_1)
	v_fma_mix_f32 v2, v5, v39, v2 op_sel_hi:[0,1,0]
	s_waitcnt vmcnt(5)
	v_fma_mix_f32 v2, v6, v13, v2 op_sel_hi:[0,1,0]
	s_waitcnt vmcnt(4)
	s_delay_alu instid0(VALU_DEP_1) | instskip(SKIP_1) | instid1(VALU_DEP_1)
	v_fma_mix_f32 v2, v7, v14, v2 op_sel_hi:[0,1,0]
	s_waitcnt vmcnt(3) lgkmcnt(0)
	v_fma_mix_f32 v2, v8, v40, v2 op_sel_hi:[0,1,0]
	s_waitcnt vmcnt(2)
	s_delay_alu instid0(VALU_DEP_1) | instskip(SKIP_1) | instid1(VALU_DEP_1)
	v_fma_mix_f32 v2, v9, v41, v2 op_sel_hi:[0,1,0]
	s_waitcnt vmcnt(1)
	v_fma_mix_f32 v2, v10, v42, v2 op_sel_hi:[0,1,0]
	s_waitcnt vmcnt(0)
	s_delay_alu instid0(VALU_DEP_1)
	v_fma_mix_f32 v4, v11, v43, v2 op_sel_hi:[0,1,0]
	s_cmpk_lt_i32 s48, 0x4100
	s_cbranch_scc1 .LBB22_14
.LBB22_22:
	s_cmpk_lt_i32 s48, 0x4200
	v_add_co_u32 v5, vcc_lo, 0x2000, v1
	s_cselect_b32 s4, s49, 0x1040
	v_add_co_ci_u32_e32 v6, vcc_lo, 0, v3, vcc_lo
	s_ashr_i32 s5, s4, 31
	v_mov_b32_e32 v44, 0
	s_lshl_b64 s[4:5], s[4:5], 1
	s_cmpk_lt_i32 s48, 0x4300
	v_add_co_u32 v7, vcc_lo, v1, s4
	s_cselect_b32 s6, s49, 0x1080
	v_add_co_ci_u32_e32 v8, vcc_lo, s5, v3, vcc_lo
	s_ashr_i32 s7, s6, 31
	s_delay_alu instid0(SALU_CYCLE_1)
	s_lshl_b64 s[6:7], s[6:7], 1
	s_cmpk_lt_i32 s48, 0x4400
	v_add_co_u32 v9, vcc_lo, v1, s6
	s_cselect_b32 s8, s49, 0x10c0
	v_add_co_ci_u32_e32 v10, vcc_lo, s7, v3, vcc_lo
	s_ashr_i32 s9, s8, 31
	s_delay_alu instid0(SALU_CYCLE_1)
	;; [unrolled: 7-line block ×6, first 2 shown]
	s_lshl_b64 s[26:27], s[18:19], 1
	s_cmpk_lt_i32 s48, 0x4900
	v_add_co_u32 v19, vcc_lo, v1, s26
	s_cselect_b32 s18, s49, 0x1200
	v_add_co_ci_u32_e32 v20, vcc_lo, s27, v3, vcc_lo
	s_ashr_i32 s19, s18, 31
	s_clause 0x7
	global_load_u16 v2, v[5:6], off
	global_load_u16 v21, v[7:8], off
	;; [unrolled: 1-line block ×8, first 2 shown]
	s_lshl_b64 s[18:19], s[18:19], 1
	s_cmpk_lt_i32 s48, 0x4a00
	v_add_co_u32 v5, vcc_lo, v1, s18
	s_cselect_b32 s24, s49, 0x1240
	v_add_co_ci_u32_e32 v6, vcc_lo, s19, v3, vcc_lo
	s_ashr_i32 s25, s24, 31
	s_delay_alu instid0(SALU_CYCLE_1)
	s_lshl_b64 s[24:25], s[24:25], 1
	s_cmpk_lt_i32 s48, 0x4b00
	v_add_co_u32 v7, vcc_lo, v1, s24
	s_cselect_b32 s28, s49, 0x1280
	v_add_co_ci_u32_e32 v8, vcc_lo, s25, v3, vcc_lo
	s_ashr_i32 s29, s28, 31
	s_delay_alu instid0(SALU_CYCLE_1)
	;; [unrolled: 7-line block ×7, first 2 shown]
	s_lshl_b64 s[44:45], s[36:37], 1
	s_cmpk_lt_i32 s48, 0x5100
	v_add_co_u32 v19, vcc_lo, v1, s44
	s_cselect_b32 s36, s49, 0x1400
	v_add_co_ci_u32_e32 v20, vcc_lo, s45, v3, vcc_lo
	s_ashr_i32 s37, s36, 31
	s_clause 0x7
	global_load_u16 v28, v[5:6], off
	global_load_u16 v29, v[7:8], off
	global_load_u16 v30, v[9:10], off
	global_load_u16 v31, v[11:12], off
	global_load_u16 v32, v[13:14], off
	global_load_u16 v33, v[15:16], off
	global_load_u16 v17, v[17:18], off
	global_load_u16 v18, v[19:20], off
	s_lshl_b64 s[36:37], s[36:37], 1
	s_cmpk_lt_i32 s48, 0x5200
	v_add_co_u32 v5, vcc_lo, v1, s36
	s_cselect_b32 s42, s49, 0x1440
	v_add_co_ci_u32_e32 v6, vcc_lo, s37, v3, vcc_lo
	s_ashr_i32 s43, s42, 31
	s_delay_alu instid0(SALU_CYCLE_1)
	s_lshl_b64 s[42:43], s[42:43], 1
	s_cmpk_lt_i32 s48, 0x5300
	v_add_co_u32 v7, vcc_lo, v1, s42
	s_cselect_b32 s46, s49, 0x1480
	v_add_co_ci_u32_e32 v8, vcc_lo, s43, v3, vcc_lo
	s_ashr_i32 s47, s46, 31
	s_delay_alu instid0(SALU_CYCLE_1)
	;; [unrolled: 7-line block ×5, first 2 shown]
	s_lshl_b64 s[8:9], s[8:9], 1
	s_cmpk_lt_i32 s48, 0x5700
	v_add_co_u32 v15, vcc_lo, v1, s8
	s_cselect_b32 s10, s49, 0x1580
	v_add_co_ci_u32_e32 v16, vcc_lo, s9, v3, vcc_lo
	s_ashr_i32 s11, s10, 31
	s_clause 0x5
	global_load_u16 v19, v[5:6], off
	global_load_u16 v20, v[7:8], off
	;; [unrolled: 1-line block ×6, first 2 shown]
	s_lshl_b64 s[10:11], s[10:11], 1
	s_cmpk_lt_i32 s48, 0x5800
	v_add_co_u32 v5, vcc_lo, v1, s10
	s_cselect_b32 s18, s49, 0x15c0
	v_add_co_ci_u32_e32 v6, vcc_lo, s11, v3, vcc_lo
	s_ashr_i32 s19, s18, 31
	s_delay_alu instid0(SALU_CYCLE_1)
	s_lshl_b64 s[18:19], s[18:19], 1
	s_cmpk_lt_i32 s48, 0x5900
	v_add_co_u32 v7, vcc_lo, v1, s18
	s_cselect_b32 s20, s49, 0x1600
	v_add_co_ci_u32_e32 v8, vcc_lo, s19, v3, vcc_lo
	s_ashr_i32 s21, s20, 31
	global_load_u16 v16, v[5:6], off
	s_lshl_b64 s[20:21], s[20:21], 1
	global_load_u16 v37, v[7:8], off
	s_cmpk_lt_i32 s48, 0x5a00
	v_add_co_u32 v9, vcc_lo, v1, s20
	s_cselect_b32 s22, s49, 0x1640
	v_add_co_ci_u32_e32 v10, vcc_lo, s21, v3, vcc_lo
	s_ashr_i32 s23, s22, 31
	s_delay_alu instid0(SALU_CYCLE_1)
	s_lshl_b64 s[22:23], s[22:23], 1
	s_cmpk_lt_i32 s48, 0x5b00
	v_add_co_u32 v11, vcc_lo, v1, s22
	s_cselect_b32 s4, s49, 0x1680
	v_add_co_ci_u32_e32 v12, vcc_lo, s23, v3, vcc_lo
	s_ashr_i32 s5, s4, 31
	s_delay_alu instid0(SALU_CYCLE_1)
	s_lshl_b64 s[4:5], s[4:5], 1
	s_cmpk_lt_i32 s48, 0x5c00
	v_add_co_u32 v13, vcc_lo, v1, s4
	s_cselect_b32 s6, s49, 0x16c0
	v_add_co_ci_u32_e32 v14, vcc_lo, s5, v3, vcc_lo
	s_ashr_i32 s7, s6, 31
	s_clause 0x2
	global_load_u16 v38, v[9:10], off
	global_load_u16 v39, v[11:12], off
	;; [unrolled: 1-line block ×3, first 2 shown]
	s_lshl_b64 s[6:7], s[6:7], 1
	s_cmpk_lt_i32 s48, 0x5d00
	v_add_co_u32 v5, vcc_lo, v1, s6
	s_cselect_b32 s8, s49, 0x1700
	v_add_co_ci_u32_e32 v6, vcc_lo, s7, v3, vcc_lo
	s_ashr_i32 s9, s8, 31
	s_delay_alu instid0(SALU_CYCLE_1)
	s_lshl_b64 s[4:5], s[8:9], 1
	s_cmpk_lt_i32 s48, 0x5e00
	v_add_co_u32 v7, vcc_lo, v1, s4
	s_cselect_b32 s8, s49, 0x1740
	v_add_co_ci_u32_e32 v8, vcc_lo, s5, v3, vcc_lo
	s_ashr_i32 s9, s8, 31
	global_load_u16 v14, v[5:6], off
	s_lshl_b64 s[8:9], s[8:9], 1
	s_cmpk_lt_i32 s48, 0x5f00
	v_add_co_u32 v9, vcc_lo, v1, s8
	s_cselect_b32 s6, s49, 0x1780
	v_add_co_ci_u32_e32 v10, vcc_lo, s9, v3, vcc_lo
	s_ashr_i32 s7, s6, 31
	s_clause 0x1
	global_load_u16 v40, v[7:8], off
	global_load_u16 v41, v[9:10], off
	s_lshl_b64 s[4:5], s[6:7], 1
	s_cmpk_lt_i32 s48, 0x6000
	v_add_co_u32 v5, vcc_lo, v1, s4
	s_cselect_b32 s6, s49, 0x17c0
	v_add_co_ci_u32_e32 v6, vcc_lo, s5, v3, vcc_lo
	s_ashr_i32 s7, s6, 31
	s_delay_alu instid0(SALU_CYCLE_1) | instskip(NEXT) | instid1(SALU_CYCLE_1)
	s_lshl_b64 s[4:5], s[6:7], 1
	v_add_co_u32 v7, vcc_lo, v1, s4
	v_add_co_ci_u32_e32 v8, vcc_lo, s5, v3, vcc_lo
	s_clause 0x1
	global_load_u16 v42, v[5:6], off
	global_load_u16 v43, v[7:8], off
	ds_load_b128 v[5:8], v44 offset:256
	ds_load_b128 v[9:12], v44 offset:272
	s_waitcnt vmcnt(31) lgkmcnt(1)
	v_fma_mix_f32 v2, v5, v2, v4 op_sel_hi:[0,1,0]
	s_waitcnt vmcnt(30)
	s_delay_alu instid0(VALU_DEP_1) | instskip(SKIP_1) | instid1(VALU_DEP_1)
	v_fma_mix_f32 v2, v6, v21, v2 op_sel_hi:[0,1,0]
	s_waitcnt vmcnt(29)
	v_fma_mix_f32 v2, v7, v22, v2 op_sel_hi:[0,1,0]
	ds_load_b128 v[4:7], v44 offset:288
	s_waitcnt vmcnt(28)
	v_fma_mix_f32 v2, v8, v23, v2 op_sel_hi:[0,1,0]
	s_waitcnt vmcnt(27) lgkmcnt(1)
	s_delay_alu instid0(VALU_DEP_1) | instskip(SKIP_1) | instid1(VALU_DEP_1)
	v_fma_mix_f32 v2, v9, v24, v2 op_sel_hi:[0,1,0]
	s_waitcnt vmcnt(26)
	v_fma_mix_f32 v2, v10, v25, v2 op_sel_hi:[0,1,0]
	s_waitcnt vmcnt(25)
	s_delay_alu instid0(VALU_DEP_1) | instskip(SKIP_4) | instid1(VALU_DEP_1)
	v_fma_mix_f32 v2, v11, v26, v2 op_sel_hi:[0,1,0]
	ds_load_b128 v[8:11], v44 offset:304
	s_waitcnt vmcnt(24)
	v_fma_mix_f32 v2, v12, v27, v2 op_sel_hi:[0,1,0]
	s_waitcnt vmcnt(23) lgkmcnt(1)
	v_fma_mix_f32 v2, v4, v28, v2 op_sel_hi:[0,1,0]
	s_waitcnt vmcnt(22)
	s_delay_alu instid0(VALU_DEP_1) | instskip(SKIP_1) | instid1(VALU_DEP_1)
	v_fma_mix_f32 v2, v5, v29, v2 op_sel_hi:[0,1,0]
	s_waitcnt vmcnt(21)
	v_fma_mix_f32 v2, v6, v30, v2 op_sel_hi:[0,1,0]
	s_waitcnt vmcnt(20)
	s_delay_alu instid0(VALU_DEP_1) | instskip(SKIP_4) | instid1(VALU_DEP_1)
	v_fma_mix_f32 v2, v7, v31, v2 op_sel_hi:[0,1,0]
	ds_load_b128 v[4:7], v44 offset:320
	s_waitcnt vmcnt(19) lgkmcnt(1)
	v_fma_mix_f32 v2, v8, v32, v2 op_sel_hi:[0,1,0]
	s_waitcnt vmcnt(18)
	v_fma_mix_f32 v2, v9, v33, v2 op_sel_hi:[0,1,0]
	s_waitcnt vmcnt(17)
	s_delay_alu instid0(VALU_DEP_1) | instskip(SKIP_1) | instid1(VALU_DEP_1)
	v_fma_mix_f32 v2, v10, v17, v2 op_sel_hi:[0,1,0]
	s_waitcnt vmcnt(16)
	v_fma_mix_f32 v2, v11, v18, v2 op_sel_hi:[0,1,0]
	ds_load_b128 v[8:11], v44 offset:336
	s_waitcnt vmcnt(15) lgkmcnt(1)
	v_fma_mix_f32 v2, v4, v19, v2 op_sel_hi:[0,1,0]
	s_waitcnt vmcnt(14)
	s_delay_alu instid0(VALU_DEP_1) | instskip(SKIP_1) | instid1(VALU_DEP_1)
	v_fma_mix_f32 v2, v5, v20, v2 op_sel_hi:[0,1,0]
	s_waitcnt vmcnt(13)
	v_fma_mix_f32 v2, v6, v34, v2 op_sel_hi:[0,1,0]
	s_waitcnt vmcnt(12)
	s_delay_alu instid0(VALU_DEP_1) | instskip(SKIP_4) | instid1(VALU_DEP_1)
	v_fma_mix_f32 v2, v7, v35, v2 op_sel_hi:[0,1,0]
	ds_load_b128 v[4:7], v44 offset:352
	s_waitcnt vmcnt(11) lgkmcnt(1)
	v_fma_mix_f32 v2, v8, v36, v2 op_sel_hi:[0,1,0]
	s_waitcnt vmcnt(10)
	v_fma_mix_f32 v2, v9, v15, v2 op_sel_hi:[0,1,0]
	s_waitcnt vmcnt(9)
	s_delay_alu instid0(VALU_DEP_1) | instskip(SKIP_1) | instid1(VALU_DEP_1)
	v_fma_mix_f32 v2, v10, v16, v2 op_sel_hi:[0,1,0]
	s_waitcnt vmcnt(8)
	v_fma_mix_f32 v2, v11, v37, v2 op_sel_hi:[0,1,0]
	ds_load_b128 v[8:11], v44 offset:368
	s_waitcnt vmcnt(7) lgkmcnt(1)
	v_fma_mix_f32 v2, v4, v38, v2 op_sel_hi:[0,1,0]
	s_waitcnt vmcnt(6)
	s_delay_alu instid0(VALU_DEP_1) | instskip(SKIP_1) | instid1(VALU_DEP_1)
	v_fma_mix_f32 v2, v5, v39, v2 op_sel_hi:[0,1,0]
	s_waitcnt vmcnt(5)
	v_fma_mix_f32 v2, v6, v13, v2 op_sel_hi:[0,1,0]
	s_waitcnt vmcnt(4)
	s_delay_alu instid0(VALU_DEP_1) | instskip(SKIP_1) | instid1(VALU_DEP_1)
	v_fma_mix_f32 v2, v7, v14, v2 op_sel_hi:[0,1,0]
	s_waitcnt vmcnt(3) lgkmcnt(0)
	v_fma_mix_f32 v2, v8, v40, v2 op_sel_hi:[0,1,0]
	s_waitcnt vmcnt(2)
	s_delay_alu instid0(VALU_DEP_1) | instskip(SKIP_1) | instid1(VALU_DEP_1)
	v_fma_mix_f32 v2, v9, v41, v2 op_sel_hi:[0,1,0]
	s_waitcnt vmcnt(1)
	v_fma_mix_f32 v2, v10, v42, v2 op_sel_hi:[0,1,0]
	s_waitcnt vmcnt(0)
	s_delay_alu instid0(VALU_DEP_1)
	v_fma_mix_f32 v4, v11, v43, v2 op_sel_hi:[0,1,0]
	s_cmpk_lt_i32 s48, 0x6100
	s_cbranch_scc1 .LBB22_15
.LBB22_23:
	s_cmpk_lt_i32 s48, 0x6200
	v_add_co_u32 v5, vcc_lo, 0x3000, v1
	s_cselect_b32 s4, s49, 0x1840
	v_add_co_ci_u32_e32 v6, vcc_lo, 0, v3, vcc_lo
	s_ashr_i32 s5, s4, 31
	v_mov_b32_e32 v44, 0
	s_lshl_b64 s[4:5], s[4:5], 1
	s_cmpk_lt_i32 s48, 0x6300
	v_add_co_u32 v7, vcc_lo, v1, s4
	s_cselect_b32 s6, s49, 0x1880
	v_add_co_ci_u32_e32 v8, vcc_lo, s5, v3, vcc_lo
	s_ashr_i32 s7, s6, 31
	s_delay_alu instid0(SALU_CYCLE_1)
	s_lshl_b64 s[6:7], s[6:7], 1
	s_cmpk_lt_i32 s48, 0x6400
	v_add_co_u32 v9, vcc_lo, v1, s6
	s_cselect_b32 s8, s49, 0x18c0
	v_add_co_ci_u32_e32 v10, vcc_lo, s7, v3, vcc_lo
	s_ashr_i32 s9, s8, 31
	s_delay_alu instid0(SALU_CYCLE_1)
	;; [unrolled: 7-line block ×6, first 2 shown]
	s_lshl_b64 s[26:27], s[18:19], 1
	s_cmpk_lt_i32 s48, 0x6900
	v_add_co_u32 v19, vcc_lo, v1, s26
	s_cselect_b32 s18, s49, 0x1a00
	v_add_co_ci_u32_e32 v20, vcc_lo, s27, v3, vcc_lo
	s_ashr_i32 s19, s18, 31
	s_clause 0x7
	global_load_u16 v2, v[5:6], off
	global_load_u16 v21, v[7:8], off
	;; [unrolled: 1-line block ×8, first 2 shown]
	s_lshl_b64 s[18:19], s[18:19], 1
	s_cmpk_lt_i32 s48, 0x6a00
	v_add_co_u32 v5, vcc_lo, v1, s18
	s_cselect_b32 s24, s49, 0x1a40
	v_add_co_ci_u32_e32 v6, vcc_lo, s19, v3, vcc_lo
	s_ashr_i32 s25, s24, 31
	s_delay_alu instid0(SALU_CYCLE_1)
	s_lshl_b64 s[24:25], s[24:25], 1
	s_cmpk_lt_i32 s48, 0x6b00
	v_add_co_u32 v7, vcc_lo, v1, s24
	s_cselect_b32 s28, s49, 0x1a80
	v_add_co_ci_u32_e32 v8, vcc_lo, s25, v3, vcc_lo
	s_ashr_i32 s29, s28, 31
	s_delay_alu instid0(SALU_CYCLE_1)
	;; [unrolled: 7-line block ×7, first 2 shown]
	s_lshl_b64 s[44:45], s[36:37], 1
	s_cmpk_lt_i32 s48, 0x7100
	v_add_co_u32 v19, vcc_lo, v1, s44
	s_cselect_b32 s36, s49, 0x1c00
	v_add_co_ci_u32_e32 v20, vcc_lo, s45, v3, vcc_lo
	s_ashr_i32 s37, s36, 31
	s_clause 0x7
	global_load_u16 v28, v[5:6], off
	global_load_u16 v29, v[7:8], off
	;; [unrolled: 1-line block ×8, first 2 shown]
	s_lshl_b64 s[36:37], s[36:37], 1
	s_cmpk_lt_i32 s48, 0x7200
	v_add_co_u32 v5, vcc_lo, v1, s36
	s_cselect_b32 s42, s49, 0x1c40
	v_add_co_ci_u32_e32 v6, vcc_lo, s37, v3, vcc_lo
	s_ashr_i32 s43, s42, 31
	s_delay_alu instid0(SALU_CYCLE_1)
	s_lshl_b64 s[42:43], s[42:43], 1
	s_cmpk_lt_i32 s48, 0x7300
	v_add_co_u32 v7, vcc_lo, v1, s42
	s_cselect_b32 s46, s49, 0x1c80
	v_add_co_ci_u32_e32 v8, vcc_lo, s43, v3, vcc_lo
	s_ashr_i32 s47, s46, 31
	s_delay_alu instid0(SALU_CYCLE_1)
	;; [unrolled: 7-line block ×5, first 2 shown]
	s_lshl_b64 s[8:9], s[8:9], 1
	s_cmpk_lt_i32 s48, 0x7700
	v_add_co_u32 v15, vcc_lo, v1, s8
	s_cselect_b32 s10, s49, 0x1d80
	v_add_co_ci_u32_e32 v16, vcc_lo, s9, v3, vcc_lo
	s_ashr_i32 s11, s10, 31
	s_clause 0x5
	global_load_u16 v19, v[5:6], off
	global_load_u16 v20, v[7:8], off
	;; [unrolled: 1-line block ×6, first 2 shown]
	s_lshl_b64 s[10:11], s[10:11], 1
	s_cmpk_lt_i32 s48, 0x7800
	v_add_co_u32 v5, vcc_lo, v1, s10
	s_cselect_b32 s18, s49, 0x1dc0
	v_add_co_ci_u32_e32 v6, vcc_lo, s11, v3, vcc_lo
	s_ashr_i32 s19, s18, 31
	s_delay_alu instid0(SALU_CYCLE_1)
	s_lshl_b64 s[18:19], s[18:19], 1
	s_cmpk_lt_i32 s48, 0x7900
	v_add_co_u32 v7, vcc_lo, v1, s18
	s_cselect_b32 s20, s49, 0x1e00
	v_add_co_ci_u32_e32 v8, vcc_lo, s19, v3, vcc_lo
	s_ashr_i32 s21, s20, 31
	global_load_u16 v16, v[5:6], off
	s_lshl_b64 s[20:21], s[20:21], 1
	global_load_u16 v37, v[7:8], off
	s_cmpk_lt_i32 s48, 0x7a00
	v_add_co_u32 v9, vcc_lo, v1, s20
	s_cselect_b32 s22, s49, 0x1e40
	v_add_co_ci_u32_e32 v10, vcc_lo, s21, v3, vcc_lo
	s_ashr_i32 s23, s22, 31
	s_delay_alu instid0(SALU_CYCLE_1)
	s_lshl_b64 s[22:23], s[22:23], 1
	s_cmpk_lt_i32 s48, 0x7b00
	v_add_co_u32 v11, vcc_lo, v1, s22
	s_cselect_b32 s4, s49, 0x1e80
	v_add_co_ci_u32_e32 v12, vcc_lo, s23, v3, vcc_lo
	s_ashr_i32 s5, s4, 31
	s_delay_alu instid0(SALU_CYCLE_1)
	s_lshl_b64 s[4:5], s[4:5], 1
	s_cmpk_lt_i32 s48, 0x7c00
	v_add_co_u32 v13, vcc_lo, v1, s4
	s_cselect_b32 s6, s49, 0x1ec0
	v_add_co_ci_u32_e32 v14, vcc_lo, s5, v3, vcc_lo
	s_ashr_i32 s7, s6, 31
	s_clause 0x2
	global_load_u16 v38, v[9:10], off
	global_load_u16 v39, v[11:12], off
	;; [unrolled: 1-line block ×3, first 2 shown]
	s_lshl_b64 s[6:7], s[6:7], 1
	s_cmpk_lt_i32 s48, 0x7d00
	v_add_co_u32 v5, vcc_lo, v1, s6
	s_cselect_b32 s8, s49, 0x1f00
	v_add_co_ci_u32_e32 v6, vcc_lo, s7, v3, vcc_lo
	s_ashr_i32 s9, s8, 31
	s_delay_alu instid0(SALU_CYCLE_1)
	s_lshl_b64 s[4:5], s[8:9], 1
	s_cmpk_lt_i32 s48, 0x7e00
	v_add_co_u32 v7, vcc_lo, v1, s4
	s_cselect_b32 s8, s49, 0x1f40
	v_add_co_ci_u32_e32 v8, vcc_lo, s5, v3, vcc_lo
	s_ashr_i32 s9, s8, 31
	global_load_u16 v14, v[5:6], off
	s_lshl_b64 s[8:9], s[8:9], 1
	s_cmpk_lt_i32 s48, 0x7f00
	v_add_co_u32 v9, vcc_lo, v1, s8
	s_cselect_b32 s6, s49, 0x1f80
	v_add_co_ci_u32_e32 v10, vcc_lo, s9, v3, vcc_lo
	s_ashr_i32 s7, s6, 31
	s_clause 0x1
	global_load_u16 v40, v[7:8], off
	global_load_u16 v41, v[9:10], off
	s_lshl_b64 s[4:5], s[6:7], 1
	s_cmp_lt_i32 s48, 0x8000
	v_add_co_u32 v5, vcc_lo, v1, s4
	s_cselect_b32 s6, s49, 0x1fc0
	v_add_co_ci_u32_e32 v6, vcc_lo, s5, v3, vcc_lo
	s_ashr_i32 s7, s6, 31
	s_delay_alu instid0(SALU_CYCLE_1) | instskip(NEXT) | instid1(SALU_CYCLE_1)
	s_lshl_b64 s[4:5], s[6:7], 1
	v_add_co_u32 v7, vcc_lo, v1, s4
	v_add_co_ci_u32_e32 v8, vcc_lo, s5, v3, vcc_lo
	s_clause 0x1
	global_load_u16 v42, v[5:6], off
	global_load_u16 v43, v[7:8], off
	ds_load_b128 v[5:8], v44 offset:384
	ds_load_b128 v[9:12], v44 offset:400
	s_waitcnt vmcnt(31) lgkmcnt(1)
	v_fma_mix_f32 v2, v5, v2, v4 op_sel_hi:[0,1,0]
	s_waitcnt vmcnt(30)
	s_delay_alu instid0(VALU_DEP_1) | instskip(SKIP_1) | instid1(VALU_DEP_1)
	v_fma_mix_f32 v2, v6, v21, v2 op_sel_hi:[0,1,0]
	s_waitcnt vmcnt(29)
	v_fma_mix_f32 v2, v7, v22, v2 op_sel_hi:[0,1,0]
	ds_load_b128 v[4:7], v44 offset:416
	s_waitcnt vmcnt(28)
	v_fma_mix_f32 v2, v8, v23, v2 op_sel_hi:[0,1,0]
	s_waitcnt vmcnt(27) lgkmcnt(1)
	s_delay_alu instid0(VALU_DEP_1) | instskip(SKIP_1) | instid1(VALU_DEP_1)
	v_fma_mix_f32 v2, v9, v24, v2 op_sel_hi:[0,1,0]
	s_waitcnt vmcnt(26)
	v_fma_mix_f32 v2, v10, v25, v2 op_sel_hi:[0,1,0]
	s_waitcnt vmcnt(25)
	s_delay_alu instid0(VALU_DEP_1) | instskip(SKIP_4) | instid1(VALU_DEP_1)
	v_fma_mix_f32 v2, v11, v26, v2 op_sel_hi:[0,1,0]
	ds_load_b128 v[8:11], v44 offset:432
	s_waitcnt vmcnt(24)
	v_fma_mix_f32 v2, v12, v27, v2 op_sel_hi:[0,1,0]
	s_waitcnt vmcnt(23) lgkmcnt(1)
	v_fma_mix_f32 v2, v4, v28, v2 op_sel_hi:[0,1,0]
	s_waitcnt vmcnt(22)
	s_delay_alu instid0(VALU_DEP_1) | instskip(SKIP_1) | instid1(VALU_DEP_1)
	v_fma_mix_f32 v2, v5, v29, v2 op_sel_hi:[0,1,0]
	s_waitcnt vmcnt(21)
	v_fma_mix_f32 v2, v6, v30, v2 op_sel_hi:[0,1,0]
	s_waitcnt vmcnt(20)
	s_delay_alu instid0(VALU_DEP_1) | instskip(SKIP_4) | instid1(VALU_DEP_1)
	v_fma_mix_f32 v2, v7, v31, v2 op_sel_hi:[0,1,0]
	ds_load_b128 v[4:7], v44 offset:448
	s_waitcnt vmcnt(19) lgkmcnt(1)
	v_fma_mix_f32 v2, v8, v32, v2 op_sel_hi:[0,1,0]
	s_waitcnt vmcnt(18)
	v_fma_mix_f32 v2, v9, v33, v2 op_sel_hi:[0,1,0]
	s_waitcnt vmcnt(17)
	s_delay_alu instid0(VALU_DEP_1) | instskip(SKIP_1) | instid1(VALU_DEP_1)
	v_fma_mix_f32 v2, v10, v17, v2 op_sel_hi:[0,1,0]
	s_waitcnt vmcnt(16)
	v_fma_mix_f32 v2, v11, v18, v2 op_sel_hi:[0,1,0]
	ds_load_b128 v[8:11], v44 offset:464
	s_waitcnt vmcnt(15) lgkmcnt(1)
	v_fma_mix_f32 v2, v4, v19, v2 op_sel_hi:[0,1,0]
	s_waitcnt vmcnt(14)
	s_delay_alu instid0(VALU_DEP_1) | instskip(SKIP_1) | instid1(VALU_DEP_1)
	v_fma_mix_f32 v2, v5, v20, v2 op_sel_hi:[0,1,0]
	s_waitcnt vmcnt(13)
	v_fma_mix_f32 v2, v6, v34, v2 op_sel_hi:[0,1,0]
	s_waitcnt vmcnt(12)
	s_delay_alu instid0(VALU_DEP_1) | instskip(SKIP_4) | instid1(VALU_DEP_1)
	v_fma_mix_f32 v2, v7, v35, v2 op_sel_hi:[0,1,0]
	ds_load_b128 v[4:7], v44 offset:480
	s_waitcnt vmcnt(11) lgkmcnt(1)
	v_fma_mix_f32 v2, v8, v36, v2 op_sel_hi:[0,1,0]
	s_waitcnt vmcnt(10)
	v_fma_mix_f32 v2, v9, v15, v2 op_sel_hi:[0,1,0]
	s_waitcnt vmcnt(9)
	s_delay_alu instid0(VALU_DEP_1) | instskip(SKIP_1) | instid1(VALU_DEP_1)
	v_fma_mix_f32 v2, v10, v16, v2 op_sel_hi:[0,1,0]
	s_waitcnt vmcnt(8)
	v_fma_mix_f32 v2, v11, v37, v2 op_sel_hi:[0,1,0]
	ds_load_b128 v[8:11], v44 offset:496
	s_waitcnt vmcnt(7) lgkmcnt(1)
	v_fma_mix_f32 v2, v4, v38, v2 op_sel_hi:[0,1,0]
	s_waitcnt vmcnt(6)
	s_delay_alu instid0(VALU_DEP_1) | instskip(SKIP_1) | instid1(VALU_DEP_1)
	v_fma_mix_f32 v2, v5, v39, v2 op_sel_hi:[0,1,0]
	s_waitcnt vmcnt(5)
	v_fma_mix_f32 v2, v6, v13, v2 op_sel_hi:[0,1,0]
	s_waitcnt vmcnt(4)
	s_delay_alu instid0(VALU_DEP_1) | instskip(SKIP_1) | instid1(VALU_DEP_1)
	v_fma_mix_f32 v2, v7, v14, v2 op_sel_hi:[0,1,0]
	s_waitcnt vmcnt(3) lgkmcnt(0)
	v_fma_mix_f32 v2, v8, v40, v2 op_sel_hi:[0,1,0]
	s_waitcnt vmcnt(2)
	s_delay_alu instid0(VALU_DEP_1) | instskip(SKIP_1) | instid1(VALU_DEP_1)
	v_fma_mix_f32 v2, v9, v41, v2 op_sel_hi:[0,1,0]
	s_waitcnt vmcnt(1)
	v_fma_mix_f32 v2, v10, v42, v2 op_sel_hi:[0,1,0]
	s_waitcnt vmcnt(0)
	s_delay_alu instid0(VALU_DEP_1)
	v_fma_mix_f32 v4, v11, v43, v2 op_sel_hi:[0,1,0]
	s_load_b64 s[0:1], s[0:1], 0x0
	s_cmp_lt_i32 s48, 0x8100
	s_cbranch_scc1 .LBB22_16
.LBB22_24:
	s_cmp_lt_i32 s48, 0x8200
	v_add_co_u32 v5, vcc_lo, 0x4000, v1
	s_cselect_b32 s4, s49, 0x2040
	v_add_co_ci_u32_e32 v6, vcc_lo, 0, v3, vcc_lo
	s_ashr_i32 s5, s4, 31
	v_mov_b32_e32 v45, 0
	s_lshl_b64 s[4:5], s[4:5], 1
	s_cmp_lt_i32 s48, 0x8300
	v_add_co_u32 v7, vcc_lo, v1, s4
	s_cselect_b32 s6, s49, 0x2080
	v_add_co_ci_u32_e32 v8, vcc_lo, s5, v3, vcc_lo
	s_ashr_i32 s7, s6, 31
	s_delay_alu instid0(SALU_CYCLE_1)
	s_lshl_b64 s[6:7], s[6:7], 1
	s_cmp_lt_i32 s48, 0x8400
	v_add_co_u32 v9, vcc_lo, v1, s6
	s_cselect_b32 s8, s49, 0x20c0
	v_add_co_ci_u32_e32 v10, vcc_lo, s7, v3, vcc_lo
	s_ashr_i32 s9, s8, 31
	s_delay_alu instid0(SALU_CYCLE_1)
	;; [unrolled: 7-line block ×6, first 2 shown]
	s_lshl_b64 s[26:27], s[18:19], 1
	s_cmp_lt_i32 s48, 0x8900
	v_add_co_u32 v19, vcc_lo, v1, s26
	s_cselect_b32 s18, s49, 0x2200
	v_add_co_ci_u32_e32 v20, vcc_lo, s27, v3, vcc_lo
	s_ashr_i32 s19, s18, 31
	s_clause 0x7
	global_load_u16 v21, v[5:6], off
	global_load_u16 v22, v[7:8], off
	;; [unrolled: 1-line block ×8, first 2 shown]
	s_lshl_b64 s[18:19], s[18:19], 1
	s_cmp_lt_i32 s48, 0x8a00
	v_add_co_u32 v5, vcc_lo, v1, s18
	s_cselect_b32 s24, s49, 0x2240
	v_add_co_ci_u32_e32 v6, vcc_lo, s19, v3, vcc_lo
	s_ashr_i32 s25, s24, 31
	s_delay_alu instid0(SALU_CYCLE_1)
	s_lshl_b64 s[24:25], s[24:25], 1
	s_cmp_lt_i32 s48, 0x8b00
	v_add_co_u32 v7, vcc_lo, v1, s24
	s_cselect_b32 s28, s49, 0x2280
	v_add_co_ci_u32_e32 v8, vcc_lo, s25, v3, vcc_lo
	s_ashr_i32 s29, s28, 31
	s_delay_alu instid0(SALU_CYCLE_1)
	;; [unrolled: 7-line block ×7, first 2 shown]
	s_lshl_b64 s[44:45], s[36:37], 1
	s_cmp_lt_i32 s48, 0x9100
	v_add_co_u32 v19, vcc_lo, v1, s44
	s_cselect_b32 s36, s49, 0x2400
	v_add_co_ci_u32_e32 v20, vcc_lo, s45, v3, vcc_lo
	s_ashr_i32 s37, s36, 31
	s_clause 0x7
	global_load_u16 v29, v[5:6], off
	global_load_u16 v30, v[7:8], off
	;; [unrolled: 1-line block ×8, first 2 shown]
	s_lshl_b64 s[36:37], s[36:37], 1
	s_cmp_lt_i32 s48, 0x9200
	v_add_co_u32 v5, vcc_lo, v1, s36
	s_cselect_b32 s42, s49, 0x2440
	v_add_co_ci_u32_e32 v6, vcc_lo, s37, v3, vcc_lo
	s_ashr_i32 s43, s42, 31
	s_delay_alu instid0(SALU_CYCLE_1)
	s_lshl_b64 s[42:43], s[42:43], 1
	s_cmp_lt_i32 s48, 0x9300
	v_add_co_u32 v7, vcc_lo, v1, s42
	s_cselect_b32 s46, s49, 0x2480
	v_add_co_ci_u32_e32 v8, vcc_lo, s43, v3, vcc_lo
	s_ashr_i32 s47, s46, 31
	s_delay_alu instid0(SALU_CYCLE_1)
	;; [unrolled: 7-line block ×5, first 2 shown]
	s_lshl_b64 s[8:9], s[8:9], 1
	s_cmp_lt_i32 s48, 0x9700
	v_add_co_u32 v15, vcc_lo, v1, s8
	s_cselect_b32 s10, s49, 0x2580
	v_add_co_ci_u32_e32 v16, vcc_lo, s9, v3, vcc_lo
	s_ashr_i32 s11, s10, 31
	s_clause 0x5
	global_load_u16 v19, v[5:6], off
	global_load_u16 v20, v[7:8], off
	;; [unrolled: 1-line block ×6, first 2 shown]
	s_lshl_b64 s[10:11], s[10:11], 1
	s_cmp_lt_i32 s48, 0x9800
	v_add_co_u32 v5, vcc_lo, v1, s10
	s_cselect_b32 s18, s49, 0x25c0
	v_add_co_ci_u32_e32 v6, vcc_lo, s11, v3, vcc_lo
	s_ashr_i32 s19, s18, 31
	s_delay_alu instid0(SALU_CYCLE_1)
	s_lshl_b64 s[18:19], s[18:19], 1
	s_cmp_lt_i32 s48, 0x9900
	v_add_co_u32 v7, vcc_lo, v1, s18
	s_cselect_b32 s20, s49, 0x2600
	v_add_co_ci_u32_e32 v8, vcc_lo, s19, v3, vcc_lo
	s_ashr_i32 s21, s20, 31
	global_load_u16 v16, v[5:6], off
	s_lshl_b64 s[20:21], s[20:21], 1
	global_load_u16 v38, v[7:8], off
	s_cmp_lt_i32 s48, 0x9a00
	v_add_co_u32 v9, vcc_lo, v1, s20
	s_cselect_b32 s22, s49, 0x2640
	v_add_co_ci_u32_e32 v10, vcc_lo, s21, v3, vcc_lo
	s_ashr_i32 s23, s22, 31
	s_delay_alu instid0(SALU_CYCLE_1)
	s_lshl_b64 s[22:23], s[22:23], 1
	s_cmp_lt_i32 s48, 0x9b00
	v_add_co_u32 v11, vcc_lo, v1, s22
	s_cselect_b32 s4, s49, 0x2680
	v_add_co_ci_u32_e32 v12, vcc_lo, s23, v3, vcc_lo
	s_ashr_i32 s5, s4, 31
	s_delay_alu instid0(SALU_CYCLE_1)
	s_lshl_b64 s[4:5], s[4:5], 1
	s_cmp_lt_i32 s48, 0x9c00
	v_add_co_u32 v13, vcc_lo, v1, s4
	s_cselect_b32 s6, s49, 0x26c0
	v_add_co_ci_u32_e32 v14, vcc_lo, s5, v3, vcc_lo
	s_ashr_i32 s7, s6, 31
	s_clause 0x2
	global_load_u16 v39, v[9:10], off
	global_load_u16 v40, v[11:12], off
	global_load_u16 v13, v[13:14], off
	s_lshl_b64 s[6:7], s[6:7], 1
	s_cmp_lt_i32 s48, 0x9d00
	v_add_co_u32 v5, vcc_lo, v1, s6
	s_cselect_b32 s8, s49, 0x2700
	v_add_co_ci_u32_e32 v6, vcc_lo, s7, v3, vcc_lo
	s_ashr_i32 s9, s8, 31
	s_delay_alu instid0(SALU_CYCLE_1)
	s_lshl_b64 s[4:5], s[8:9], 1
	s_cmp_lt_i32 s48, 0x9e00
	v_add_co_u32 v7, vcc_lo, v1, s4
	s_cselect_b32 s8, s49, 0x2740
	v_add_co_ci_u32_e32 v8, vcc_lo, s5, v3, vcc_lo
	s_ashr_i32 s9, s8, 31
	global_load_u16 v14, v[5:6], off
	s_lshl_b64 s[8:9], s[8:9], 1
	s_cmp_lt_i32 s48, 0x9f00
	v_add_co_u32 v9, vcc_lo, v1, s8
	s_cselect_b32 s6, s49, 0x2780
	v_add_co_ci_u32_e32 v10, vcc_lo, s9, v3, vcc_lo
	s_ashr_i32 s7, s6, 31
	s_clause 0x1
	global_load_u16 v41, v[7:8], off
	global_load_u16 v42, v[9:10], off
	s_lshl_b64 s[4:5], s[6:7], 1
	s_cmp_lt_i32 s48, 0xa000
	v_add_co_u32 v5, vcc_lo, v1, s4
	s_cselect_b32 s6, s49, 0x27c0
	v_add_co_ci_u32_e32 v6, vcc_lo, s5, v3, vcc_lo
	s_ashr_i32 s7, s6, 31
	s_delay_alu instid0(SALU_CYCLE_1) | instskip(NEXT) | instid1(SALU_CYCLE_1)
	s_lshl_b64 s[4:5], s[6:7], 1
	v_add_co_u32 v1, vcc_lo, v1, s4
	v_add_co_ci_u32_e32 v2, vcc_lo, s5, v3, vcc_lo
	s_clause 0x1
	global_load_u16 v43, v[5:6], off
	global_load_u16 v44, v[1:2], off
	ds_load_b128 v[5:8], v45 offset:512
	ds_load_b128 v[9:12], v45 offset:528
	s_waitcnt vmcnt(31) lgkmcnt(0)
	v_fma_mix_f32 v1, v5, v21, v4 op_sel_hi:[0,1,0]
	s_waitcnt vmcnt(30)
	s_delay_alu instid0(VALU_DEP_1) | instskip(SKIP_1) | instid1(VALU_DEP_1)
	v_fma_mix_f32 v1, v6, v22, v1 op_sel_hi:[0,1,0]
	s_waitcnt vmcnt(29)
	v_fma_mix_f32 v1, v7, v23, v1 op_sel_hi:[0,1,0]
	s_waitcnt vmcnt(28)
	s_delay_alu instid0(VALU_DEP_1) | instskip(SKIP_1) | instid1(VALU_DEP_1)
	v_fma_mix_f32 v1, v8, v24, v1 op_sel_hi:[0,1,0]
	s_waitcnt vmcnt(27)
	v_fma_mix_f32 v5, v9, v25, v1 op_sel_hi:[0,1,0]
	ds_load_b128 v[1:4], v45 offset:544
	s_waitcnt vmcnt(26)
	v_fma_mix_f32 v5, v10, v26, v5 op_sel_hi:[0,1,0]
	s_waitcnt vmcnt(25)
	s_delay_alu instid0(VALU_DEP_1) | instskip(SKIP_1) | instid1(VALU_DEP_1)
	v_fma_mix_f32 v5, v11, v27, v5 op_sel_hi:[0,1,0]
	s_waitcnt vmcnt(24)
	v_fma_mix_f32 v9, v12, v28, v5 op_sel_hi:[0,1,0]
	ds_load_b128 v[5:8], v45 offset:560
	s_waitcnt vmcnt(23) lgkmcnt(1)
	v_fma_mix_f32 v1, v1, v29, v9 op_sel_hi:[0,1,0]
	s_waitcnt vmcnt(22)
	s_delay_alu instid0(VALU_DEP_1) | instskip(SKIP_1) | instid1(VALU_DEP_1)
	v_fma_mix_f32 v1, v2, v30, v1 op_sel_hi:[0,1,0]
	s_waitcnt vmcnt(21)
	v_fma_mix_f32 v1, v3, v31, v1 op_sel_hi:[0,1,0]
	s_waitcnt vmcnt(20)
	s_delay_alu instid0(VALU_DEP_1) | instskip(SKIP_1) | instid1(VALU_DEP_1)
	v_fma_mix_f32 v1, v4, v32, v1 op_sel_hi:[0,1,0]
	s_waitcnt vmcnt(19) lgkmcnt(0)
	v_fma_mix_f32 v5, v5, v33, v1 op_sel_hi:[0,1,0]
	ds_load_b128 v[1:4], v45 offset:576
	s_waitcnt vmcnt(18)
	v_fma_mix_f32 v5, v6, v34, v5 op_sel_hi:[0,1,0]
	s_waitcnt vmcnt(17)
	s_delay_alu instid0(VALU_DEP_1) | instskip(SKIP_1) | instid1(VALU_DEP_1)
	v_fma_mix_f32 v5, v7, v17, v5 op_sel_hi:[0,1,0]
	s_waitcnt vmcnt(16)
	v_fma_mix_f32 v9, v8, v18, v5 op_sel_hi:[0,1,0]
	ds_load_b128 v[5:8], v45 offset:592
	s_waitcnt vmcnt(15) lgkmcnt(1)
	v_fma_mix_f32 v1, v1, v19, v9 op_sel_hi:[0,1,0]
	s_waitcnt vmcnt(14)
	s_delay_alu instid0(VALU_DEP_1) | instskip(SKIP_1) | instid1(VALU_DEP_1)
	v_fma_mix_f32 v1, v2, v20, v1 op_sel_hi:[0,1,0]
	s_waitcnt vmcnt(13)
	v_fma_mix_f32 v1, v3, v35, v1 op_sel_hi:[0,1,0]
	s_waitcnt vmcnt(12)
	s_delay_alu instid0(VALU_DEP_1) | instskip(SKIP_1) | instid1(VALU_DEP_1)
	v_fma_mix_f32 v1, v4, v36, v1 op_sel_hi:[0,1,0]
	s_waitcnt vmcnt(11) lgkmcnt(0)
	;; [unrolled: 21-line block ×3, first 2 shown]
	v_fma_mix_f32 v1, v5, v41, v1 op_sel_hi:[0,1,0]
	s_waitcnt vmcnt(2)
	s_delay_alu instid0(VALU_DEP_1) | instskip(SKIP_1) | instid1(VALU_DEP_1)
	v_fma_mix_f32 v1, v6, v42, v1 op_sel_hi:[0,1,0]
	s_waitcnt vmcnt(1)
	v_fma_mix_f32 v1, v7, v43, v1 op_sel_hi:[0,1,0]
	s_waitcnt vmcnt(0)
	s_delay_alu instid0(VALU_DEP_1)
	v_fma_mix_f32 v4, v8, v44, v1 op_sel_hi:[0,1,0]
	v_mov_b32_e32 v1, 0
	s_and_not1_b32 vcc_lo, exec_lo, s15
	ds_load_b32 v1, v1 offset:640
	s_cbranch_vccz .LBB22_17
	s_branch .LBB22_18
	.section	.rodata,"a",@progbits
	.p2align	6, 0x0
	.amdhsa_kernel _Z35paged_attention_ll4mi_reduce_kernelIDF16_hLi64ELi64ELi256ELi5EEvPT0_PKfS3_PKT_PKiS8_iS3_
		.amdhsa_group_segment_fixed_size 644
		.amdhsa_private_segment_fixed_size 0
		.amdhsa_kernarg_size 320
		.amdhsa_user_sgpr_count 14
		.amdhsa_user_sgpr_dispatch_ptr 0
		.amdhsa_user_sgpr_queue_ptr 0
		.amdhsa_user_sgpr_kernarg_segment_ptr 1
		.amdhsa_user_sgpr_dispatch_id 0
		.amdhsa_user_sgpr_private_segment_size 0
		.amdhsa_wavefront_size32 1
		.amdhsa_uses_dynamic_stack 0
		.amdhsa_enable_private_segment 0
		.amdhsa_system_sgpr_workgroup_id_x 1
		.amdhsa_system_sgpr_workgroup_id_y 1
		.amdhsa_system_sgpr_workgroup_id_z 0
		.amdhsa_system_sgpr_workgroup_info 0
		.amdhsa_system_vgpr_workitem_id 0
		.amdhsa_next_free_vgpr 48
		.amdhsa_next_free_sgpr 52
		.amdhsa_reserve_vcc 1
		.amdhsa_float_round_mode_32 0
		.amdhsa_float_round_mode_16_64 0
		.amdhsa_float_denorm_mode_32 3
		.amdhsa_float_denorm_mode_16_64 3
		.amdhsa_dx10_clamp 1
		.amdhsa_ieee_mode 1
		.amdhsa_fp16_overflow 0
		.amdhsa_workgroup_processor_mode 1
		.amdhsa_memory_ordered 1
		.amdhsa_forward_progress 0
		.amdhsa_shared_vgpr_count 0
		.amdhsa_exception_fp_ieee_invalid_op 0
		.amdhsa_exception_fp_denorm_src 0
		.amdhsa_exception_fp_ieee_div_zero 0
		.amdhsa_exception_fp_ieee_overflow 0
		.amdhsa_exception_fp_ieee_underflow 0
		.amdhsa_exception_fp_ieee_inexact 0
		.amdhsa_exception_int_div_zero 0
	.end_amdhsa_kernel
	.section	.text._Z35paged_attention_ll4mi_reduce_kernelIDF16_hLi64ELi64ELi256ELi5EEvPT0_PKfS3_PKT_PKiS8_iS3_,"axG",@progbits,_Z35paged_attention_ll4mi_reduce_kernelIDF16_hLi64ELi64ELi256ELi5EEvPT0_PKfS3_PKT_PKiS8_iS3_,comdat
.Lfunc_end22:
	.size	_Z35paged_attention_ll4mi_reduce_kernelIDF16_hLi64ELi64ELi256ELi5EEvPT0_PKfS3_PKT_PKiS8_iS3_, .Lfunc_end22-_Z35paged_attention_ll4mi_reduce_kernelIDF16_hLi64ELi64ELi256ELi5EEvPT0_PKfS3_PKT_PKiS8_iS3_
                                        ; -- End function
	.section	.AMDGPU.csdata,"",@progbits
; Kernel info:
; codeLenInByte = 11748
; NumSgprs: 54
; NumVgprs: 48
; ScratchSize: 0
; MemoryBound: 0
; FloatMode: 240
; IeeeMode: 1
; LDSByteSize: 644 bytes/workgroup (compile time only)
; SGPRBlocks: 6
; VGPRBlocks: 5
; NumSGPRsForWavesPerEU: 54
; NumVGPRsForWavesPerEU: 48
; Occupancy: 16
; WaveLimiterHint : 0
; COMPUTE_PGM_RSRC2:SCRATCH_EN: 0
; COMPUTE_PGM_RSRC2:USER_SGPR: 14
; COMPUTE_PGM_RSRC2:TRAP_HANDLER: 0
; COMPUTE_PGM_RSRC2:TGID_X_EN: 1
; COMPUTE_PGM_RSRC2:TGID_Y_EN: 1
; COMPUTE_PGM_RSRC2:TGID_Z_EN: 0
; COMPUTE_PGM_RSRC2:TIDIG_COMP_CNT: 0
	.section	.text._Z35paged_attention_ll4mi_reduce_kernelIDF16_hLi64ELi64ELi256ELi6EEvPT0_PKfS3_PKT_PKiS8_iS3_,"axG",@progbits,_Z35paged_attention_ll4mi_reduce_kernelIDF16_hLi64ELi64ELi256ELi6EEvPT0_PKfS3_PKT_PKiS8_iS3_,comdat
	.protected	_Z35paged_attention_ll4mi_reduce_kernelIDF16_hLi64ELi64ELi256ELi6EEvPT0_PKfS3_PKT_PKiS8_iS3_ ; -- Begin function _Z35paged_attention_ll4mi_reduce_kernelIDF16_hLi64ELi64ELi256ELi6EEvPT0_PKfS3_PKT_PKiS8_iS3_
	.globl	_Z35paged_attention_ll4mi_reduce_kernelIDF16_hLi64ELi64ELi256ELi6EEvPT0_PKfS3_PKT_PKiS8_iS3_
	.p2align	8
	.type	_Z35paged_attention_ll4mi_reduce_kernelIDF16_hLi64ELi64ELi256ELi6EEvPT0_PKfS3_PKT_PKiS8_iS3_,@function
_Z35paged_attention_ll4mi_reduce_kernelIDF16_hLi64ELi64ELi256ELi6EEvPT0_PKfS3_PKT_PKiS8_iS3_: ; @_Z35paged_attention_ll4mi_reduce_kernelIDF16_hLi64ELi64ELi256ELi6EEvPT0_PKfS3_PKT_PKiS8_iS3_
; %bb.0:
	s_load_b64 s[12:13], s[0:1], 0x28
	s_mov_b32 s2, s15
	s_waitcnt lgkmcnt(0)
	s_cmp_lg_u64 s[12:13], 0
	s_cselect_b32 s15, -1, 0
	s_delay_alu instid0(SALU_CYCLE_1)
	s_and_b32 vcc_lo, exec_lo, s15
	s_cbranch_vccz .LBB23_20
; %bb.1:
	s_add_i32 s4, s2, 1
	s_mov_b32 s5, 0
	s_delay_alu instid0(SALU_CYCLE_1) | instskip(SKIP_4) | instid1(SALU_CYCLE_1)
	s_lshl_b64 s[6:7], s[4:5], 2
	s_mov_b32 s3, s5
	s_add_u32 s6, s12, s6
	s_addc_u32 s7, s13, s7
	s_lshl_b64 s[8:9], s[2:3], 2
	s_add_u32 s8, s12, s8
	s_addc_u32 s9, s13, s9
	s_clause 0x1
	s_load_b32 s4, s[6:7], 0x0
	s_load_b32 s6, s[8:9], 0x0
	s_waitcnt lgkmcnt(0)
	s_sub_i32 s4, s4, s6
	s_delay_alu instid0(SALU_CYCLE_1)
	s_cmp_eq_u32 s4, 1
	s_cselect_b32 s4, -1, 0
	s_cbranch_execnz .LBB23_3
.LBB23_2:
	s_mov_b32 s3, 0
	s_mov_b32 s4, -1
.LBB23_3:
	s_delay_alu instid0(SALU_CYCLE_1)
	s_and_not1_b32 vcc_lo, exec_lo, s4
	s_cbranch_vccz .LBB23_5
; %bb.4:
	s_endpgm
.LBB23_5:
	s_clause 0x1
	s_load_b128 s[4:7], s[0:1], 0x18
	s_load_b32 s9, s[0:1], 0x30
	s_lshl_b64 s[16:17], s[2:3], 2
	s_waitcnt lgkmcnt(0)
	s_add_u32 s6, s6, s16
	s_addc_u32 s7, s7, s17
	s_load_b32 s22, s[6:7], 0x0
	s_load_b32 s33, s[0:1], 0x40
	s_mul_i32 s7, s2, s9
	s_waitcnt lgkmcnt(0)
	s_add_i32 s48, s22, 0xff
	s_delay_alu instid0(SALU_CYCLE_1) | instskip(NEXT) | instid1(SALU_CYCLE_1)
	s_ashr_i32 s6, s48, 31
	s_lshr_b32 s6, s6, 24
	s_delay_alu instid0(SALU_CYCLE_1) | instskip(SKIP_4) | instid1(SALU_CYCLE_1)
	s_add_i32 s8, s48, s6
	s_mul_i32 s6, s14, s9
	s_mov_b32 s9, exec_lo
	v_cmpx_lt_u32_e32 31, v0
	s_xor_b32 s9, exec_lo, s9
	s_or_saveexec_b32 s24, s9
	v_mov_b32_e32 v1, s6
	s_ashr_i32 s23, s8, 8
	s_mul_i32 s18, s7, s33
	s_xor_b32 exec_lo, exec_lo, s24
	s_cbranch_execz .LBB23_9
; %bb.6:
	s_load_b128 s[8:11], s[0:1], 0x8
	v_or_b32_e32 v2, 32, v0
	v_cmp_gt_i32_e32 vcc_lo, s23, v0
	s_add_i32 s25, s23, -1
	v_or_b32_e32 v4, 64, v0
	v_or_b32_e32 v6, 0x60, v0
	;; [unrolled: 1-line block ×3, first 2 shown]
	v_cndmask_b32_e32 v1, s25, v0, vcc_lo
	v_cmp_gt_i32_e32 vcc_lo, s23, v2
	s_mov_b32 s19, 0
	v_or_b32_e32 v14, 0xa0, v0
	s_lshl_b64 s[20:21], s[18:19], 2
	s_mov_b32 s7, s19
	v_cndmask_b32_e32 v3, s25, v2, vcc_lo
	v_cmp_gt_i32_e32 vcc_lo, s23, v4
	v_ashrrev_i32_e32 v2, 31, v1
	v_cndmask_b32_e32 v5, s25, v4, vcc_lo
	v_cmp_gt_i32_e32 vcc_lo, s23, v6
	v_ashrrev_i32_e32 v4, 31, v3
	s_delay_alu instid0(VALU_DEP_4)
	v_lshlrev_b64 v[1:2], 2, v[1:2]
	s_waitcnt lgkmcnt(0)
	s_add_u32 s19, s10, s20
	s_addc_u32 s26, s11, s21
	v_cndmask_b32_e32 v7, s25, v6, vcc_lo
	v_cmp_gt_i32_e32 vcc_lo, s23, v8
	s_lshl_b64 s[10:11], s[6:7], 2
	v_lshlrev_b64 v[3:4], 2, v[3:4]
	s_add_u32 s7, s19, s10
	s_addc_u32 s19, s26, s11
	v_cndmask_b32_e32 v9, s25, v8, vcc_lo
	v_add_co_u32 v10, vcc_lo, s7, v1
	v_add_co_ci_u32_e32 v11, vcc_lo, s19, v2, vcc_lo
	v_add_co_u32 v12, vcc_lo, s7, v3
	v_add_co_ci_u32_e32 v13, vcc_lo, s19, v4, vcc_lo
	v_cmp_gt_i32_e32 vcc_lo, s23, v14
	v_ashrrev_i32_e32 v6, 31, v5
	v_ashrrev_i32_e32 v8, 31, v7
	s_clause 0x1
	global_load_b32 v22, v[10:11], off
	global_load_b32 v23, v[12:13], off
	v_ashrrev_i32_e32 v10, 31, v9
	v_cndmask_b32_e32 v14, s25, v14, vcc_lo
	v_lshlrev_b64 v[5:6], 2, v[5:6]
	v_lshlrev_b64 v[7:8], 2, v[7:8]
	s_delay_alu instid0(VALU_DEP_4) | instskip(NEXT) | instid1(VALU_DEP_4)
	v_lshlrev_b64 v[9:10], 2, v[9:10]
	v_ashrrev_i32_e32 v15, 31, v14
	s_delay_alu instid0(VALU_DEP_4) | instskip(SKIP_2) | instid1(VALU_DEP_4)
	v_add_co_u32 v11, vcc_lo, s7, v5
	v_add_co_ci_u32_e32 v12, vcc_lo, s19, v6, vcc_lo
	v_add_co_u32 v16, vcc_lo, s7, v7
	v_lshlrev_b64 v[13:14], 2, v[14:15]
	v_add_co_ci_u32_e32 v17, vcc_lo, s19, v8, vcc_lo
	v_add_co_u32 v18, vcc_lo, s7, v9
	v_add_co_ci_u32_e32 v19, vcc_lo, s19, v10, vcc_lo
	s_delay_alu instid0(VALU_DEP_4)
	v_add_co_u32 v20, vcc_lo, s7, v13
	v_add_co_ci_u32_e32 v21, vcc_lo, s19, v14, vcc_lo
	s_clause 0x3
	global_load_b32 v11, v[11:12], off
	global_load_b32 v12, v[16:17], off
	;; [unrolled: 1-line block ×4, first 2 shown]
	s_add_u32 s7, s8, s20
	s_addc_u32 s8, s9, s21
	s_add_u32 s7, s7, s10
	s_addc_u32 s8, s8, s11
	v_add_co_u32 v1, vcc_lo, s7, v1
	v_add_co_ci_u32_e32 v2, vcc_lo, s8, v2, vcc_lo
	v_add_co_u32 v3, vcc_lo, s7, v3
	v_add_co_ci_u32_e32 v4, vcc_lo, s8, v4, vcc_lo
	;; [unrolled: 2-line block ×4, first 2 shown]
	s_clause 0x3
	global_load_b32 v17, v[1:2], off
	global_load_b32 v3, v[3:4], off
	;; [unrolled: 1-line block ×4, first 2 shown]
	v_add_co_u32 v1, vcc_lo, s7, v9
	v_add_co_ci_u32_e32 v2, vcc_lo, s8, v10, vcc_lo
	global_load_b32 v6, v[1:2], off
	v_add_co_u32 v1, vcc_lo, s7, v13
	v_add_co_ci_u32_e32 v2, vcc_lo, s8, v14, vcc_lo
	s_mov_b32 s7, exec_lo
	global_load_b32 v7, v[1:2], off
	v_mbcnt_lo_u32_b32 v1, -1, 0
	s_delay_alu instid0(VALU_DEP_1)
	v_xor_b32_e32 v9, 16, v1
	v_xor_b32_e32 v10, 8, v1
	;; [unrolled: 1-line block ×5, first 2 shown]
	v_cmp_gt_i32_e32 vcc_lo, 32, v9
	s_waitcnt vmcnt(11)
	v_max_f32_e32 v8, v22, v22
	s_waitcnt vmcnt(10)
	v_max_f32_e32 v2, v23, v23
	s_delay_alu instid0(VALU_DEP_1) | instskip(SKIP_2) | instid1(VALU_DEP_2)
	v_max_f32_e32 v2, v8, v2
	v_cndmask_b32_e32 v8, v1, v9, vcc_lo
	v_cmp_gt_i32_e32 vcc_lo, 32, v10
	v_lshlrev_b32_e32 v8, 2, v8
	v_cndmask_b32_e32 v10, v1, v10, vcc_lo
	v_cmp_gt_i32_e32 vcc_lo, 32, v13
	v_cndmask_b32_e32 v13, v1, v13, vcc_lo
	v_cmp_gt_i32_e32 vcc_lo, 32, v14
	s_waitcnt vmcnt(8)
	v_max3_f32 v2, v2, v11, v12
	v_cndmask_b32_e32 v14, v1, v14, vcc_lo
	v_cmp_gt_i32_e32 vcc_lo, 32, v18
	s_waitcnt vmcnt(6)
	s_delay_alu instid0(VALU_DEP_3) | instskip(NEXT) | instid1(VALU_DEP_3)
	v_max3_f32 v2, v2, v15, v16
	v_lshlrev_b32_e32 v14, 2, v14
	v_lshlrev_b32_e32 v13, 2, v13
	;; [unrolled: 1-line block ×3, first 2 shown]
	v_cndmask_b32_e32 v1, v1, v18, vcc_lo
	ds_bpermute_b32 v9, v8, v2
	v_lshlrev_b32_e32 v18, 2, v1
	s_waitcnt lgkmcnt(0)
	v_max_f32_e32 v9, v9, v9
	s_delay_alu instid0(VALU_DEP_1) | instskip(SKIP_3) | instid1(VALU_DEP_1)
	v_max_f32_e32 v2, v2, v9
	ds_bpermute_b32 v9, v10, v2
	s_waitcnt lgkmcnt(0)
	v_max_f32_e32 v9, v9, v9
	v_max_f32_e32 v2, v2, v9
	ds_bpermute_b32 v9, v13, v2
	s_waitcnt lgkmcnt(0)
	v_max_f32_e32 v9, v9, v9
	s_delay_alu instid0(VALU_DEP_1) | instskip(SKIP_3) | instid1(VALU_DEP_1)
	v_max_f32_e32 v2, v2, v9
	ds_bpermute_b32 v9, v14, v2
	s_waitcnt lgkmcnt(0)
	v_max_f32_e32 v9, v9, v9
	v_max_f32_e32 v1, v2, v9
	ds_bpermute_b32 v2, v18, v1
	s_waitcnt lgkmcnt(0)
	v_max_f32_e32 v2, v2, v2
	s_delay_alu instid0(VALU_DEP_1) | instskip(SKIP_1) | instid1(VALU_DEP_2)
	v_max_f32_e32 v1, v1, v2
	v_sub_nc_u32_e32 v2, s23, v0
	v_sub_f32_e32 v19, v23, v1
	v_sub_f32_e32 v12, v12, v1
	;; [unrolled: 1-line block ×3, first 2 shown]
	s_delay_alu instid0(VALU_DEP_2) | instskip(NEXT) | instid1(VALU_DEP_2)
	v_dual_sub_f32 v11, v11, v1 :: v_dual_mul_f32 v22, 0x3fb8aa3b, v12
	v_cmp_ngt_f32_e32 vcc_lo, 0xc2ce8ed0, v9
	s_delay_alu instid0(VALU_DEP_2) | instskip(SKIP_3) | instid1(VALU_DEP_1)
	v_rndne_f32_e32 v32, v22
	v_sub_f32_e32 v15, v15, v1
	v_sub_f32_e32 v1, v16, v1
	v_mul_f32_e32 v16, 0x3fb8aa3b, v9
	v_rndne_f32_e32 v26, v16
	v_fma_f32 v25, 0x3fb8aa3b, v9, -v16
	s_delay_alu instid0(VALU_DEP_2) | instskip(SKIP_2) | instid1(VALU_DEP_2)
	v_sub_f32_e32 v16, v16, v26
	v_mul_f32_e32 v20, 0x3fb8aa3b, v19
	v_cvt_i32_f32_e32 v26, v26
	v_fma_f32 v27, 0x3fb8aa3b, v19, -v20
	v_rndne_f32_e32 v28, v20
	s_delay_alu instid0(VALU_DEP_2) | instskip(SKIP_1) | instid1(VALU_DEP_3)
	v_fmac_f32_e32 v27, 0x32a5705f, v19
	v_fma_f32 v31, 0x3fb8aa3b, v12, -v22
	v_sub_f32_e32 v20, v20, v28
	v_dual_sub_f32 v22, v22, v32 :: v_dual_mul_f32 v23, 0x3fb8aa3b, v15
	v_mul_f32_e32 v21, 0x3fb8aa3b, v11
	s_delay_alu instid0(VALU_DEP_3) | instskip(SKIP_1) | instid1(VALU_DEP_4)
	v_dual_fmac_f32 v31, 0x32a5705f, v12 :: v_dual_add_f32 v20, v20, v27
	v_cvt_i32_f32_e32 v28, v28
	v_rndne_f32_e32 v34, v23
	s_delay_alu instid0(VALU_DEP_4) | instskip(NEXT) | instid1(VALU_DEP_4)
	v_fma_f32 v29, 0x3fb8aa3b, v11, -v21
	v_add_f32_e32 v22, v22, v31
	v_mul_f32_e32 v24, 0x3fb8aa3b, v1
	v_fma_f32 v33, 0x3fb8aa3b, v15, -v23
	v_sub_f32_e32 v23, v23, v34
	v_exp_f32_e32 v20, v20
	v_rndne_f32_e32 v30, v21
	v_rndne_f32_e32 v36, v24
	v_fmac_f32_e32 v25, 0x32a5705f, v9
	v_fma_f32 v35, 0x3fb8aa3b, v1, -v24
	v_exp_f32_e32 v22, v22
	s_delay_alu instid0(VALU_DEP_3) | instskip(NEXT) | instid1(VALU_DEP_3)
	v_dual_sub_f32 v21, v21, v30 :: v_dual_sub_f32 v24, v24, v36
	v_dual_fmac_f32 v29, 0x32a5705f, v11 :: v_dual_add_f32 v16, v16, v25
	s_delay_alu instid0(TRANS32_DEP_2)
	v_ldexp_f32 v20, v20, v28
	v_cvt_i32_f32_e32 v25, v30
	v_cvt_i32_f32_e32 v27, v32
	;; [unrolled: 1-line block ×3, first 2 shown]
	v_exp_f32_e32 v16, v16
	s_delay_alu instid0(TRANS32_DEP_2) | instid1(VALU_DEP_2)
	v_ldexp_f32 v22, v22, v27
	s_waitcnt_depctr 0xfff
	v_ldexp_f32 v16, v16, v26
	s_delay_alu instid0(VALU_DEP_1) | instskip(SKIP_2) | instid1(VALU_DEP_1)
	v_dual_fmac_f32 v33, 0x32a5705f, v15 :: v_dual_cndmask_b32 v16, 0, v16
	v_cmp_ngt_f32_e32 vcc_lo, 0xc2ce8ed0, v19
	v_dual_fmac_f32 v35, 0x32a5705f, v1 :: v_dual_cndmask_b32 v20, 0, v20
	v_dual_add_f32 v21, v21, v29 :: v_dual_add_f32 v24, v24, v35
	v_cmp_ngt_f32_e32 vcc_lo, 0xc2ce8ed0, v11
	v_cvt_i32_f32_e32 v29, v34
	s_delay_alu instid0(VALU_DEP_3) | instskip(NEXT) | instid1(VALU_DEP_3)
	v_exp_f32_e32 v21, v21
	v_exp_f32_e32 v24, v24
	s_waitcnt_depctr 0xfff
	v_ldexp_f32 v21, v21, v25
	s_delay_alu instid0(VALU_DEP_1) | instskip(SKIP_2) | instid1(VALU_DEP_1)
	v_cndmask_b32_e32 v21, 0, v21, vcc_lo
	v_cmp_ngt_f32_e32 vcc_lo, 0xc2ce8ed0, v12
	v_dual_add_f32 v23, v23, v33 :: v_dual_cndmask_b32 v22, 0, v22
	v_exp_f32_e32 v23, v23
	v_cmp_ngt_f32_e32 vcc_lo, 0xc2ce8ed0, v15
	s_waitcnt_depctr 0xfff
	v_ldexp_f32 v23, v23, v29
	s_delay_alu instid0(VALU_DEP_1)
	v_cndmask_b32_e32 v23, 0, v23, vcc_lo
	v_cmp_nlt_f32_e32 vcc_lo, 0x42b17218, v9
	v_cndmask_b32_e32 v9, 0x7f800000, v16, vcc_lo
	v_cmp_nlt_f32_e32 vcc_lo, 0x42b17218, v19
	;; [unrolled: 2-line block ×4, first 2 shown]
	v_cndmask_b32_e32 v12, 0x7f800000, v22, vcc_lo
	v_cmp_lt_i32_e32 vcc_lo, 0, v2
	v_cndmask_b32_e32 v9, 0, v9, vcc_lo
	v_cmp_lt_i32_e32 vcc_lo, 32, v2
	s_waitcnt vmcnt(5)
	s_delay_alu instid0(VALU_DEP_2) | instskip(SKIP_2) | instid1(VALU_DEP_2)
	v_dual_mul_f32 v9, v17, v9 :: v_dual_cndmask_b32 v16, 0, v16
	v_cmp_lt_i32_e32 vcc_lo, 64, v2
	s_waitcnt vmcnt(4)
	v_mul_f32_e32 v3, v3, v16
	v_cndmask_b32_e32 v11, 0, v11, vcc_lo
	v_cmp_lt_i32_e32 vcc_lo, 0x60, v2
	s_waitcnt vmcnt(3)
	s_delay_alu instid0(VALU_DEP_2)
	v_mul_f32_e32 v4, v4, v11
	v_cndmask_b32_e32 v12, 0, v12, vcc_lo
	v_cmp_nlt_f32_e32 vcc_lo, 0x42b17218, v15
	v_add_f32_e32 v15, v9, v3
	v_cndmask_b32_e32 v11, 0x7f800000, v23, vcc_lo
	v_cmp_lt_i32_e32 vcc_lo, 0x80, v2
	s_delay_alu instid0(VALU_DEP_3) | instskip(NEXT) | instid1(VALU_DEP_3)
	v_add_f32_e32 v15, v15, v4
	v_cndmask_b32_e32 v11, 0, v11, vcc_lo
	s_waitcnt vmcnt(2)
	v_mul_f32_e32 v5, v5, v12
	v_ldexp_f32 v12, v24, v30
	v_cmp_ngt_f32_e32 vcc_lo, 0xc2ce8ed0, v1
	s_waitcnt vmcnt(1)
	s_delay_alu instid0(VALU_DEP_3) | instskip(NEXT) | instid1(VALU_DEP_3)
	v_dual_mul_f32 v6, v6, v11 :: v_dual_add_f32 v11, v15, v5
	v_cndmask_b32_e32 v12, 0, v12, vcc_lo
	v_cmp_nlt_f32_e32 vcc_lo, 0x42b17218, v1
	s_delay_alu instid0(VALU_DEP_2) | instskip(SKIP_1) | instid1(VALU_DEP_2)
	v_cndmask_b32_e32 v1, 0x7f800000, v12, vcc_lo
	v_cmp_lt_i32_e32 vcc_lo, 0xa0, v2
	v_dual_cndmask_b32 v12, 0, v1 :: v_dual_add_f32 v1, v11, v6
	s_waitcnt vmcnt(0)
	s_delay_alu instid0(VALU_DEP_1)
	v_fmac_f32_e32 v1, v7, v12
	v_mul_f32_e32 v7, v7, v12
	ds_bpermute_b32 v2, v8, v1
	v_lshlrev_b32_e32 v8, 2, v0
	ds_store_2addr_b32 v8, v9, v3 offset1:32
	ds_store_2addr_b32 v8, v4, v5 offset0:64 offset1:96
	ds_store_2addr_b32 v8, v6, v7 offset0:128 offset1:160
	s_waitcnt lgkmcnt(3)
	v_add_f32_e32 v1, v1, v2
	ds_bpermute_b32 v2, v10, v1
	s_waitcnt lgkmcnt(0)
	v_add_f32_e32 v1, v1, v2
	ds_bpermute_b32 v2, v13, v1
	;; [unrolled: 3-line block ×4, first 2 shown]
	v_cmpx_eq_u32_e32 0, v0
	s_cbranch_execz .LBB23_8
; %bb.7:
	s_waitcnt lgkmcnt(0)
	v_dual_add_f32 v1, v1, v2 :: v_dual_mov_b32 v2, 0
	ds_store_b32 v2, v1 offset:768
.LBB23_8:
	s_or_b32 exec_lo, exec_lo, s7
	v_mov_b32_e32 v1, s6
.LBB23_9:
	s_or_b32 exec_lo, exec_lo, s24
	s_lshl_b32 s6, s18, 6
	s_mov_b32 s7, 0
	s_waitcnt lgkmcnt(0)
	v_dual_mov_b32 v2, 0 :: v_dual_lshlrev_b32 v1, 6, v1
	s_lshl_b64 s[6:7], s[6:7], 1
	v_dual_mov_b32 v29, 0 :: v_dual_mov_b32 v30, 0
	s_add_u32 s34, s4, s6
	s_addc_u32 s35, s5, s7
	s_lshl_b32 s4, s23, 6
	v_lshlrev_b64 v[3:4], 1, v[1:2]
	s_sub_i32 s49, s4, 64
	s_cmpk_lt_i32 s48, 0x100
	v_lshlrev_b32_e32 v1, 1, v0
	s_cselect_b32 s4, s49, 0
	v_dual_mov_b32 v31, 0 :: v_dual_mov_b32 v32, 0
	s_ashr_i32 s5, s4, 31
	v_add_co_u32 v3, vcc_lo, s34, v3
	s_lshl_b64 s[4:5], s[4:5], 1
	s_cmpk_lt_i32 s48, 0x200
	v_add_co_ci_u32_e32 v4, vcc_lo, s35, v4, vcc_lo
	s_cselect_b32 s6, s49, 64
	v_add_co_u32 v1, vcc_lo, v3, v1
	s_ashr_i32 s7, s6, 31
	s_delay_alu instid0(VALU_DEP_2)
	v_add_co_ci_u32_e32 v3, vcc_lo, 0, v4, vcc_lo
	s_lshl_b64 s[6:7], s[6:7], 1
	s_cmpk_lt_i32 s48, 0x300
	v_add_co_u32 v4, vcc_lo, v1, s4
	s_cselect_b32 s8, s49, 0x80
	v_add_co_ci_u32_e32 v5, vcc_lo, s5, v3, vcc_lo
	s_ashr_i32 s9, s8, 31
	v_add_co_u32 v8, vcc_lo, v1, s6
	s_lshl_b64 s[8:9], s[8:9], 1
	s_cmpk_lt_i32 s48, 0x400
	v_add_co_ci_u32_e32 v9, vcc_lo, s7, v3, vcc_lo
	s_cselect_b32 s10, s49, 0xc0
	v_add_co_u32 v10, vcc_lo, v1, s8
	s_ashr_i32 s11, s10, 31
	v_add_co_ci_u32_e32 v11, vcc_lo, s9, v3, vcc_lo
	s_lshl_b64 s[10:11], s[10:11], 1
	s_cmpk_lt_i32 s48, 0x500
	v_add_co_u32 v12, vcc_lo, v1, s10
	s_cselect_b32 s18, s49, 0x100
	v_add_co_ci_u32_e32 v13, vcc_lo, s11, v3, vcc_lo
	s_ashr_i32 s19, s18, 31
	v_dual_mov_b32 v33, 0 :: v_dual_mov_b32 v34, 0
	s_lshl_b64 s[18:19], s[18:19], 1
	s_cmpk_lt_i32 s48, 0x600
	v_add_co_u32 v14, vcc_lo, v1, s18
	s_cselect_b32 s20, s49, 0x140
	v_add_co_ci_u32_e32 v15, vcc_lo, s19, v3, vcc_lo
	s_ashr_i32 s21, s20, 31
	v_mov_b32_e32 v35, 0
	s_lshl_b64 s[20:21], s[20:21], 1
	s_cmpk_lt_i32 s48, 0x700
	v_add_co_u32 v16, vcc_lo, v1, s20
	s_cselect_b32 s24, s49, 0x180
	v_add_co_ci_u32_e32 v17, vcc_lo, s21, v3, vcc_lo
	s_ashr_i32 s25, s24, 31
	s_delay_alu instid0(SALU_CYCLE_1)
	s_lshl_b64 s[24:25], s[24:25], 1
	s_cmpk_lt_i32 s48, 0x800
	v_add_co_u32 v18, vcc_lo, v1, s24
	s_cselect_b32 s26, s49, 0x1c0
	v_add_co_ci_u32_e32 v19, vcc_lo, s25, v3, vcc_lo
	s_ashr_i32 s27, s26, 31
	s_delay_alu instid0(SALU_CYCLE_1)
	s_lshl_b64 s[26:27], s[26:27], 1
	s_cmpk_lt_i32 s48, 0x900
	v_add_co_u32 v20, vcc_lo, v1, s26
	s_cselect_b32 s28, s49, 0x200
	v_add_co_ci_u32_e32 v21, vcc_lo, s27, v3, vcc_lo
	s_ashr_i32 s29, s28, 31
	s_clause 0x7
	global_load_u16 v7, v[4:5], off
	global_load_u16 v8, v[8:9], off
	;; [unrolled: 1-line block ×8, first 2 shown]
	s_lshl_b64 s[28:29], s[28:29], 1
	s_cmpk_lt_i32 s48, 0xa00
	v_add_co_u32 v12, vcc_lo, v1, s28
	s_cselect_b32 s30, s49, 0x240
	v_add_co_ci_u32_e32 v13, vcc_lo, s29, v3, vcc_lo
	s_ashr_i32 s31, s30, 31
	s_delay_alu instid0(SALU_CYCLE_1)
	s_lshl_b64 s[30:31], s[30:31], 1
	s_cmpk_lt_i32 s48, 0xb00
	v_add_co_u32 v15, vcc_lo, v1, s30
	s_cselect_b32 s34, s49, 0x280
	v_add_co_ci_u32_e32 v16, vcc_lo, s31, v3, vcc_lo
	s_ashr_i32 s35, s34, 31
	s_delay_alu instid0(SALU_CYCLE_1)
	;; [unrolled: 7-line block ×7, first 2 shown]
	s_lshl_b64 s[4:5], s[6:7], 1
	s_cmpk_gt_i32 s22, 0x1000
	v_add_co_u32 v27, vcc_lo, v1, s4
	v_add_co_ci_u32_e32 v28, vcc_lo, s5, v3, vcc_lo
	s_clause 0x7
	global_load_u16 v14, v[12:13], off
	global_load_u16 v15, v[15:16], off
	;; [unrolled: 1-line block ×8, first 2 shown]
	v_dual_mov_b32 v20, 0 :: v_dual_mov_b32 v21, 0
	v_dual_mov_b32 v22, 0 :: v_dual_mov_b32 v23, 0
	;; [unrolled: 1-line block ×4, first 2 shown]
	v_mov_b32_e32 v28, 0
	s_cselect_b32 s8, -1, 0
	s_cmpk_lt_i32 s22, 0x1001
	s_waitcnt vmcnt(0)
	s_barrier
	buffer_gl0_inv
	s_cbranch_scc1 .LBB23_11
; %bb.10:
	s_cmpk_lt_i32 s48, 0x1100
	s_cselect_b32 s4, s49, 0x400
	s_delay_alu instid0(SALU_CYCLE_1) | instskip(NEXT) | instid1(SALU_CYCLE_1)
	s_ashr_i32 s5, s4, 31
	s_lshl_b64 s[4:5], s[4:5], 1
	s_cmpk_lt_i32 s48, 0x1200
	v_add_co_u32 v20, vcc_lo, v1, s4
	s_cselect_b32 s6, s49, 0x440
	v_add_co_ci_u32_e32 v21, vcc_lo, s5, v3, vcc_lo
	s_ashr_i32 s7, s6, 31
	s_delay_alu instid0(SALU_CYCLE_1)
	s_lshl_b64 s[6:7], s[6:7], 1
	s_cmpk_lt_i32 s48, 0x1300
	v_add_co_u32 v22, vcc_lo, v1, s6
	s_cselect_b32 s10, s49, 0x480
	v_add_co_ci_u32_e32 v23, vcc_lo, s7, v3, vcc_lo
	s_ashr_i32 s11, s10, 31
	s_delay_alu instid0(SALU_CYCLE_1)
	;; [unrolled: 7-line block ×7, first 2 shown]
	s_lshl_b64 s[26:27], s[26:27], 1
	s_cmpk_lt_i32 s48, 0x1900
	v_add_co_u32 v34, vcc_lo, v1, s26
	s_cselect_b32 s28, s49, 0x600
	v_add_co_ci_u32_e32 v35, vcc_lo, s27, v3, vcc_lo
	s_ashr_i32 s29, s28, 31
	s_clause 0x7
	global_load_u16 v36, v[20:21], off
	global_load_u16 v37, v[22:23], off
	;; [unrolled: 1-line block ×8, first 2 shown]
	s_lshl_b64 s[28:29], s[28:29], 1
	s_cmpk_lt_i32 s48, 0x1a00
	v_add_co_u32 v20, vcc_lo, v1, s28
	s_cselect_b32 s30, s49, 0x640
	v_add_co_ci_u32_e32 v21, vcc_lo, s29, v3, vcc_lo
	s_ashr_i32 s31, s30, 31
	s_delay_alu instid0(SALU_CYCLE_1)
	s_lshl_b64 s[30:31], s[30:31], 1
	s_cmpk_lt_i32 s48, 0x1b00
	v_add_co_u32 v22, vcc_lo, v1, s30
	s_cselect_b32 s34, s49, 0x680
	v_add_co_ci_u32_e32 v23, vcc_lo, s31, v3, vcc_lo
	s_ashr_i32 s35, s34, 31
	s_delay_alu instid0(SALU_CYCLE_1)
	s_lshl_b64 s[4:5], s[34:35], 1
	s_cmpk_lt_i32 s48, 0x1c00
	v_add_co_u32 v24, vcc_lo, v1, s4
	s_cselect_b32 s6, s49, 0x6c0
	v_add_co_ci_u32_e32 v25, vcc_lo, s5, v3, vcc_lo
	s_ashr_i32 s7, s6, 31
	s_delay_alu instid0(SALU_CYCLE_1)
	s_lshl_b64 s[6:7], s[6:7], 1
	s_cmpk_lt_i32 s48, 0x1d00
	v_add_co_u32 v26, vcc_lo, v1, s6
	s_cselect_b32 s10, s49, 0x700
	v_add_co_ci_u32_e32 v27, vcc_lo, s7, v3, vcc_lo
	s_ashr_i32 s11, s10, 31
	s_delay_alu instid0(SALU_CYCLE_1)
	s_lshl_b64 s[10:11], s[10:11], 1
	s_cmpk_lt_i32 s48, 0x1e00
	v_add_co_u32 v28, vcc_lo, v1, s10
	s_cselect_b32 s18, s49, 0x740
	v_add_co_ci_u32_e32 v29, vcc_lo, s11, v3, vcc_lo
	s_ashr_i32 s19, s18, 31
	s_delay_alu instid0(SALU_CYCLE_1)
	s_lshl_b64 s[18:19], s[18:19], 1
	s_cmpk_lt_i32 s48, 0x1f00
	v_add_co_u32 v30, vcc_lo, v1, s18
	s_cselect_b32 s20, s49, 0x780
	v_add_co_ci_u32_e32 v31, vcc_lo, s19, v3, vcc_lo
	s_ashr_i32 s21, s20, 31
	s_delay_alu instid0(SALU_CYCLE_1)
	s_lshl_b64 s[4:5], s[20:21], 1
	s_cmpk_lt_i32 s48, 0x2000
	v_add_co_u32 v32, vcc_lo, v1, s4
	s_cselect_b32 s6, s49, 0x7c0
	v_add_co_ci_u32_e32 v33, vcc_lo, s5, v3, vcc_lo
	s_ashr_i32 s7, s6, 31
	s_delay_alu instid0(SALU_CYCLE_1) | instskip(NEXT) | instid1(SALU_CYCLE_1)
	s_lshl_b64 s[4:5], s[6:7], 1
	v_add_co_u32 v34, vcc_lo, v1, s4
	v_add_co_ci_u32_e32 v35, vcc_lo, s5, v3, vcc_lo
	s_clause 0x7
	global_load_u16 v20, v[20:21], off
	global_load_u16 v21, v[22:23], off
	;; [unrolled: 1-line block ×8, first 2 shown]
	s_waitcnt vmcnt(15)
	v_cvt_f32_f16_e32 v35, v36
	s_waitcnt vmcnt(14)
	v_cvt_f32_f16_e32 v34, v37
	;; [unrolled: 2-line block ×16, first 2 shown]
.LBB23_11:
	ds_load_b128 v[36:39], v2
	ds_load_b128 v[40:43], v2 offset:16
	s_and_not1_b32 vcc_lo, exec_lo, s8
	s_waitcnt lgkmcnt(1)
	v_fma_mix_f32 v7, v36, v7, 0 op_sel_hi:[0,1,0]
	s_delay_alu instid0(VALU_DEP_1) | instskip(NEXT) | instid1(VALU_DEP_1)
	v_fma_mix_f32 v7, v37, v8, v7 op_sel_hi:[0,1,0]
	v_fma_mix_f32 v7, v38, v9, v7 op_sel_hi:[0,1,0]
	s_delay_alu instid0(VALU_DEP_1)
	v_fma_mix_f32 v7, v39, v10, v7 op_sel_hi:[0,1,0]
	ds_load_b128 v[36:39], v2 offset:48
	s_waitcnt lgkmcnt(1)
	v_fma_mix_f32 v11, v40, v11, v7 op_sel_hi:[0,1,0]
	ds_load_b128 v[7:10], v2 offset:32
	v_fma_mix_f32 v4, v41, v4, v11 op_sel_hi:[0,1,0]
	s_delay_alu instid0(VALU_DEP_1) | instskip(NEXT) | instid1(VALU_DEP_1)
	v_fma_mix_f32 v4, v42, v5, v4 op_sel_hi:[0,1,0]
	v_fma_mix_f32 v4, v43, v6, v4 op_sel_hi:[0,1,0]
	s_waitcnt lgkmcnt(0)
	s_delay_alu instid0(VALU_DEP_1) | instskip(NEXT) | instid1(VALU_DEP_1)
	v_fma_mix_f32 v4, v7, v14, v4 op_sel_hi:[0,1,0]
	v_fma_mix_f32 v4, v8, v15, v4 op_sel_hi:[0,1,0]
	s_delay_alu instid0(VALU_DEP_1) | instskip(NEXT) | instid1(VALU_DEP_1)
	v_fma_mix_f32 v4, v9, v16, v4 op_sel_hi:[0,1,0]
	v_fma_mix_f32 v4, v10, v17, v4 op_sel_hi:[0,1,0]
	;; [unrolled: 3-line block ×4, first 2 shown]
	s_cbranch_vccz .LBB23_21
; %bb.12:
	s_cmpk_lt_i32 s48, 0x2100
	s_cbranch_scc0 .LBB23_22
.LBB23_13:
	s_cmpk_lt_i32 s48, 0x4100
	s_cbranch_scc0 .LBB23_23
.LBB23_14:
	s_cmpk_lt_i32 s48, 0x6100
	s_cbranch_scc0 .LBB23_24
.LBB23_15:
	s_cmp_lt_i32 s48, 0x8100
	s_cbranch_scc0 .LBB23_25
.LBB23_16:
	s_load_b64 s[0:1], s[0:1], 0x0
	s_cmp_lt_i32 s48, 0xa100
	s_cbranch_scc0 .LBB23_26
.LBB23_17:
	v_mov_b32_e32 v1, 0
	s_and_not1_b32 vcc_lo, exec_lo, s15
	ds_load_b32 v1, v1 offset:768
	s_cbranch_vccnz .LBB23_19
.LBB23_18:
	s_add_u32 s2, s12, s16
	s_addc_u32 s3, s13, s17
	s_load_b32 s2, s[2:3], 0x0
	s_mov_b32 s3, 0
.LBB23_19:
	s_waitcnt lgkmcnt(0)
	v_add_f32_e32 v1, 0x358637bd, v1
	s_mul_i32 s3, s33, s3
	s_mul_hi_u32 s4, s33, s2
	s_mul_i32 s2, s33, s2
	s_add_i32 s3, s4, s3
	v_div_scale_f32 v2, null, v1, v1, 1.0
	v_div_scale_f32 v6, vcc_lo, 1.0, v1, 1.0
	s_lshl_b64 s[2:3], s[2:3], 6
	s_delay_alu instid0(VALU_DEP_2) | instskip(SKIP_4) | instid1(SALU_CYCLE_1)
	v_rcp_f32_e32 v3, v2
	s_mov_b32 s15, 0
	s_add_u32 s2, s0, s2
	s_addc_u32 s3, s1, s3
	s_lshl_b64 s[0:1], s[14:15], 6
	s_add_u32 s0, s2, s0
	s_addc_u32 s1, s3, s1
	v_add_co_u32 v0, s0, s0, v0
	s_waitcnt_depctr 0xfff
	v_fma_f32 v5, -v2, v3, 1.0
	s_delay_alu instid0(VALU_DEP_1) | instskip(NEXT) | instid1(VALU_DEP_1)
	v_fmac_f32_e32 v3, v5, v3
	v_mul_f32_e32 v5, v6, v3
	s_delay_alu instid0(VALU_DEP_1) | instskip(NEXT) | instid1(VALU_DEP_1)
	v_fma_f32 v7, -v2, v5, v6
	v_fmac_f32_e32 v5, v7, v3
	s_delay_alu instid0(VALU_DEP_1) | instskip(NEXT) | instid1(VALU_DEP_1)
	v_fma_f32 v2, -v2, v5, v6
	v_div_fmas_f32 v2, v2, v3, v5
	s_delay_alu instid0(VALU_DEP_1) | instskip(NEXT) | instid1(VALU_DEP_1)
	v_div_fixup_f32 v1, v2, v1, 1.0
	v_fma_mixlo_f16 v1, v4, v1, 0
	s_delay_alu instid0(VALU_DEP_1)
	v_cvt_i16_f16_e32 v2, v1
	v_add_co_ci_u32_e64 v1, null, s1, 0, s0
	global_store_b8 v[0:1], v2, off
	s_nop 0
	s_sendmsg sendmsg(MSG_DEALLOC_VGPRS)
	s_endpgm
.LBB23_20:
	s_mov_b32 s4, 0
	s_branch .LBB23_2
.LBB23_21:
	ds_load_b128 v[5:8], v2 offset:64
	ds_load_b128 v[9:12], v2 offset:80
	s_waitcnt lgkmcnt(1)
	v_fmac_f32_e32 v4, v5, v35
	s_delay_alu instid0(VALU_DEP_1) | instskip(NEXT) | instid1(VALU_DEP_1)
	v_fmac_f32_e32 v4, v6, v34
	v_fmac_f32_e32 v4, v7, v33
	s_delay_alu instid0(VALU_DEP_1) | instskip(SKIP_3) | instid1(VALU_DEP_1)
	v_fmac_f32_e32 v4, v8, v32
	ds_load_b128 v[5:8], v2 offset:96
	s_waitcnt lgkmcnt(1)
	v_fmac_f32_e32 v4, v9, v31
	v_fmac_f32_e32 v4, v10, v30
	s_delay_alu instid0(VALU_DEP_1) | instskip(NEXT) | instid1(VALU_DEP_1)
	v_fmac_f32_e32 v4, v11, v29
	v_fmac_f32_e32 v4, v12, v28
	ds_load_b128 v[9:12], v2 offset:112
	s_waitcnt lgkmcnt(1)
	v_fmac_f32_e32 v4, v5, v27
	s_delay_alu instid0(VALU_DEP_1) | instskip(NEXT) | instid1(VALU_DEP_1)
	v_fmac_f32_e32 v4, v6, v26
	v_fmac_f32_e32 v4, v7, v25
	s_delay_alu instid0(VALU_DEP_1) | instskip(SKIP_1) | instid1(VALU_DEP_1)
	v_fmac_f32_e32 v4, v8, v24
	s_waitcnt lgkmcnt(0)
	v_fmac_f32_e32 v4, v9, v23
	s_delay_alu instid0(VALU_DEP_1) | instskip(NEXT) | instid1(VALU_DEP_1)
	v_fmac_f32_e32 v4, v10, v22
	v_fmac_f32_e32 v4, v11, v21
	s_delay_alu instid0(VALU_DEP_1)
	v_fmac_f32_e32 v4, v12, v20
	s_cmpk_lt_i32 s48, 0x2100
	s_cbranch_scc1 .LBB23_13
.LBB23_22:
	s_cmpk_lt_i32 s48, 0x2200
	v_add_co_u32 v5, vcc_lo, 0x1000, v1
	s_cselect_b32 s4, s49, 0x840
	v_add_co_ci_u32_e32 v6, vcc_lo, 0, v3, vcc_lo
	s_ashr_i32 s5, s4, 31
	v_mov_b32_e32 v44, 0
	s_lshl_b64 s[4:5], s[4:5], 1
	s_cmpk_lt_i32 s48, 0x2300
	v_add_co_u32 v7, vcc_lo, v1, s4
	s_cselect_b32 s6, s49, 0x880
	v_add_co_ci_u32_e32 v8, vcc_lo, s5, v3, vcc_lo
	s_ashr_i32 s7, s6, 31
	s_delay_alu instid0(SALU_CYCLE_1)
	s_lshl_b64 s[6:7], s[6:7], 1
	s_cmpk_lt_i32 s48, 0x2400
	v_add_co_u32 v9, vcc_lo, v1, s6
	s_cselect_b32 s8, s49, 0x8c0
	v_add_co_ci_u32_e32 v10, vcc_lo, s7, v3, vcc_lo
	s_ashr_i32 s9, s8, 31
	s_delay_alu instid0(SALU_CYCLE_1)
	;; [unrolled: 7-line block ×6, first 2 shown]
	s_lshl_b64 s[26:27], s[18:19], 1
	s_cmpk_lt_i32 s48, 0x2900
	v_add_co_u32 v19, vcc_lo, v1, s26
	s_cselect_b32 s18, s49, 0xa00
	v_add_co_ci_u32_e32 v20, vcc_lo, s27, v3, vcc_lo
	s_ashr_i32 s19, s18, 31
	s_clause 0x7
	global_load_u16 v2, v[5:6], off
	global_load_u16 v21, v[7:8], off
	;; [unrolled: 1-line block ×8, first 2 shown]
	s_lshl_b64 s[18:19], s[18:19], 1
	s_cmpk_lt_i32 s48, 0x2a00
	v_add_co_u32 v5, vcc_lo, v1, s18
	s_cselect_b32 s24, s49, 0xa40
	v_add_co_ci_u32_e32 v6, vcc_lo, s19, v3, vcc_lo
	s_ashr_i32 s25, s24, 31
	s_delay_alu instid0(SALU_CYCLE_1)
	s_lshl_b64 s[24:25], s[24:25], 1
	s_cmpk_lt_i32 s48, 0x2b00
	v_add_co_u32 v7, vcc_lo, v1, s24
	s_cselect_b32 s28, s49, 0xa80
	v_add_co_ci_u32_e32 v8, vcc_lo, s25, v3, vcc_lo
	s_ashr_i32 s29, s28, 31
	s_delay_alu instid0(SALU_CYCLE_1)
	;; [unrolled: 7-line block ×7, first 2 shown]
	s_lshl_b64 s[44:45], s[36:37], 1
	s_cmpk_lt_i32 s48, 0x3100
	v_add_co_u32 v19, vcc_lo, v1, s44
	s_cselect_b32 s36, s49, 0xc00
	v_add_co_ci_u32_e32 v20, vcc_lo, s45, v3, vcc_lo
	s_ashr_i32 s37, s36, 31
	s_clause 0x7
	global_load_u16 v28, v[5:6], off
	global_load_u16 v29, v[7:8], off
	;; [unrolled: 1-line block ×8, first 2 shown]
	s_lshl_b64 s[36:37], s[36:37], 1
	s_cmpk_lt_i32 s48, 0x3200
	v_add_co_u32 v5, vcc_lo, v1, s36
	s_cselect_b32 s42, s49, 0xc40
	v_add_co_ci_u32_e32 v6, vcc_lo, s37, v3, vcc_lo
	s_ashr_i32 s43, s42, 31
	s_delay_alu instid0(SALU_CYCLE_1)
	s_lshl_b64 s[42:43], s[42:43], 1
	s_cmpk_lt_i32 s48, 0x3300
	v_add_co_u32 v7, vcc_lo, v1, s42
	s_cselect_b32 s46, s49, 0xc80
	v_add_co_ci_u32_e32 v8, vcc_lo, s43, v3, vcc_lo
	s_ashr_i32 s47, s46, 31
	s_delay_alu instid0(SALU_CYCLE_1)
	;; [unrolled: 7-line block ×5, first 2 shown]
	s_lshl_b64 s[8:9], s[8:9], 1
	s_cmpk_lt_i32 s48, 0x3700
	v_add_co_u32 v15, vcc_lo, v1, s8
	s_cselect_b32 s10, s49, 0xd80
	v_add_co_ci_u32_e32 v16, vcc_lo, s9, v3, vcc_lo
	s_ashr_i32 s11, s10, 31
	s_clause 0x5
	global_load_u16 v19, v[5:6], off
	global_load_u16 v20, v[7:8], off
	;; [unrolled: 1-line block ×6, first 2 shown]
	s_lshl_b64 s[10:11], s[10:11], 1
	s_cmpk_lt_i32 s48, 0x3800
	v_add_co_u32 v5, vcc_lo, v1, s10
	s_cselect_b32 s18, s49, 0xdc0
	v_add_co_ci_u32_e32 v6, vcc_lo, s11, v3, vcc_lo
	s_ashr_i32 s19, s18, 31
	s_delay_alu instid0(SALU_CYCLE_1)
	s_lshl_b64 s[18:19], s[18:19], 1
	s_cmpk_lt_i32 s48, 0x3900
	v_add_co_u32 v7, vcc_lo, v1, s18
	s_cselect_b32 s20, s49, 0xe00
	v_add_co_ci_u32_e32 v8, vcc_lo, s19, v3, vcc_lo
	s_ashr_i32 s21, s20, 31
	global_load_u16 v16, v[5:6], off
	s_lshl_b64 s[20:21], s[20:21], 1
	global_load_u16 v37, v[7:8], off
	s_cmpk_lt_i32 s48, 0x3a00
	v_add_co_u32 v9, vcc_lo, v1, s20
	s_cselect_b32 s22, s49, 0xe40
	v_add_co_ci_u32_e32 v10, vcc_lo, s21, v3, vcc_lo
	s_ashr_i32 s23, s22, 31
	s_delay_alu instid0(SALU_CYCLE_1)
	s_lshl_b64 s[22:23], s[22:23], 1
	s_cmpk_lt_i32 s48, 0x3b00
	v_add_co_u32 v11, vcc_lo, v1, s22
	s_cselect_b32 s4, s49, 0xe80
	v_add_co_ci_u32_e32 v12, vcc_lo, s23, v3, vcc_lo
	s_ashr_i32 s5, s4, 31
	s_delay_alu instid0(SALU_CYCLE_1)
	s_lshl_b64 s[4:5], s[4:5], 1
	s_cmpk_lt_i32 s48, 0x3c00
	v_add_co_u32 v13, vcc_lo, v1, s4
	s_cselect_b32 s6, s49, 0xec0
	v_add_co_ci_u32_e32 v14, vcc_lo, s5, v3, vcc_lo
	s_ashr_i32 s7, s6, 31
	s_clause 0x2
	global_load_u16 v38, v[9:10], off
	global_load_u16 v39, v[11:12], off
	global_load_u16 v13, v[13:14], off
	s_lshl_b64 s[6:7], s[6:7], 1
	s_cmpk_lt_i32 s48, 0x3d00
	v_add_co_u32 v5, vcc_lo, v1, s6
	s_cselect_b32 s8, s49, 0xf00
	v_add_co_ci_u32_e32 v6, vcc_lo, s7, v3, vcc_lo
	s_ashr_i32 s9, s8, 31
	s_delay_alu instid0(SALU_CYCLE_1)
	s_lshl_b64 s[4:5], s[8:9], 1
	s_cmpk_lt_i32 s48, 0x3e00
	v_add_co_u32 v7, vcc_lo, v1, s4
	s_cselect_b32 s8, s49, 0xf40
	v_add_co_ci_u32_e32 v8, vcc_lo, s5, v3, vcc_lo
	s_ashr_i32 s9, s8, 31
	global_load_u16 v14, v[5:6], off
	s_lshl_b64 s[8:9], s[8:9], 1
	s_cmpk_lt_i32 s48, 0x3f00
	v_add_co_u32 v9, vcc_lo, v1, s8
	s_cselect_b32 s6, s49, 0xf80
	v_add_co_ci_u32_e32 v10, vcc_lo, s9, v3, vcc_lo
	s_ashr_i32 s7, s6, 31
	s_clause 0x1
	global_load_u16 v40, v[7:8], off
	global_load_u16 v41, v[9:10], off
	s_lshl_b64 s[4:5], s[6:7], 1
	s_cmpk_lt_i32 s48, 0x4000
	v_add_co_u32 v5, vcc_lo, v1, s4
	s_cselect_b32 s6, s49, 0xfc0
	v_add_co_ci_u32_e32 v6, vcc_lo, s5, v3, vcc_lo
	s_ashr_i32 s7, s6, 31
	s_delay_alu instid0(SALU_CYCLE_1) | instskip(NEXT) | instid1(SALU_CYCLE_1)
	s_lshl_b64 s[4:5], s[6:7], 1
	v_add_co_u32 v7, vcc_lo, v1, s4
	v_add_co_ci_u32_e32 v8, vcc_lo, s5, v3, vcc_lo
	s_clause 0x1
	global_load_u16 v42, v[5:6], off
	global_load_u16 v43, v[7:8], off
	ds_load_b128 v[5:8], v44 offset:128
	ds_load_b128 v[9:12], v44 offset:144
	s_waitcnt vmcnt(31) lgkmcnt(1)
	v_fma_mix_f32 v2, v5, v2, v4 op_sel_hi:[0,1,0]
	s_waitcnt vmcnt(30)
	s_delay_alu instid0(VALU_DEP_1) | instskip(SKIP_1) | instid1(VALU_DEP_1)
	v_fma_mix_f32 v2, v6, v21, v2 op_sel_hi:[0,1,0]
	s_waitcnt vmcnt(29)
	v_fma_mix_f32 v2, v7, v22, v2 op_sel_hi:[0,1,0]
	ds_load_b128 v[4:7], v44 offset:160
	s_waitcnt vmcnt(28)
	v_fma_mix_f32 v2, v8, v23, v2 op_sel_hi:[0,1,0]
	s_waitcnt vmcnt(27) lgkmcnt(1)
	s_delay_alu instid0(VALU_DEP_1) | instskip(SKIP_1) | instid1(VALU_DEP_1)
	v_fma_mix_f32 v2, v9, v24, v2 op_sel_hi:[0,1,0]
	s_waitcnt vmcnt(26)
	v_fma_mix_f32 v2, v10, v25, v2 op_sel_hi:[0,1,0]
	s_waitcnt vmcnt(25)
	s_delay_alu instid0(VALU_DEP_1) | instskip(SKIP_4) | instid1(VALU_DEP_1)
	v_fma_mix_f32 v2, v11, v26, v2 op_sel_hi:[0,1,0]
	ds_load_b128 v[8:11], v44 offset:176
	s_waitcnt vmcnt(24)
	v_fma_mix_f32 v2, v12, v27, v2 op_sel_hi:[0,1,0]
	s_waitcnt vmcnt(23) lgkmcnt(1)
	v_fma_mix_f32 v2, v4, v28, v2 op_sel_hi:[0,1,0]
	s_waitcnt vmcnt(22)
	s_delay_alu instid0(VALU_DEP_1) | instskip(SKIP_1) | instid1(VALU_DEP_1)
	v_fma_mix_f32 v2, v5, v29, v2 op_sel_hi:[0,1,0]
	s_waitcnt vmcnt(21)
	v_fma_mix_f32 v2, v6, v30, v2 op_sel_hi:[0,1,0]
	s_waitcnt vmcnt(20)
	s_delay_alu instid0(VALU_DEP_1) | instskip(SKIP_4) | instid1(VALU_DEP_1)
	v_fma_mix_f32 v2, v7, v31, v2 op_sel_hi:[0,1,0]
	ds_load_b128 v[4:7], v44 offset:192
	s_waitcnt vmcnt(19) lgkmcnt(1)
	v_fma_mix_f32 v2, v8, v32, v2 op_sel_hi:[0,1,0]
	s_waitcnt vmcnt(18)
	v_fma_mix_f32 v2, v9, v33, v2 op_sel_hi:[0,1,0]
	s_waitcnt vmcnt(17)
	s_delay_alu instid0(VALU_DEP_1) | instskip(SKIP_1) | instid1(VALU_DEP_1)
	v_fma_mix_f32 v2, v10, v17, v2 op_sel_hi:[0,1,0]
	s_waitcnt vmcnt(16)
	v_fma_mix_f32 v2, v11, v18, v2 op_sel_hi:[0,1,0]
	ds_load_b128 v[8:11], v44 offset:208
	s_waitcnt vmcnt(15) lgkmcnt(1)
	v_fma_mix_f32 v2, v4, v19, v2 op_sel_hi:[0,1,0]
	s_waitcnt vmcnt(14)
	s_delay_alu instid0(VALU_DEP_1) | instskip(SKIP_1) | instid1(VALU_DEP_1)
	v_fma_mix_f32 v2, v5, v20, v2 op_sel_hi:[0,1,0]
	s_waitcnt vmcnt(13)
	v_fma_mix_f32 v2, v6, v34, v2 op_sel_hi:[0,1,0]
	s_waitcnt vmcnt(12)
	s_delay_alu instid0(VALU_DEP_1) | instskip(SKIP_4) | instid1(VALU_DEP_1)
	v_fma_mix_f32 v2, v7, v35, v2 op_sel_hi:[0,1,0]
	ds_load_b128 v[4:7], v44 offset:224
	s_waitcnt vmcnt(11) lgkmcnt(1)
	v_fma_mix_f32 v2, v8, v36, v2 op_sel_hi:[0,1,0]
	s_waitcnt vmcnt(10)
	v_fma_mix_f32 v2, v9, v15, v2 op_sel_hi:[0,1,0]
	s_waitcnt vmcnt(9)
	s_delay_alu instid0(VALU_DEP_1) | instskip(SKIP_1) | instid1(VALU_DEP_1)
	v_fma_mix_f32 v2, v10, v16, v2 op_sel_hi:[0,1,0]
	s_waitcnt vmcnt(8)
	v_fma_mix_f32 v2, v11, v37, v2 op_sel_hi:[0,1,0]
	ds_load_b128 v[8:11], v44 offset:240
	s_waitcnt vmcnt(7) lgkmcnt(1)
	v_fma_mix_f32 v2, v4, v38, v2 op_sel_hi:[0,1,0]
	s_waitcnt vmcnt(6)
	s_delay_alu instid0(VALU_DEP_1) | instskip(SKIP_1) | instid1(VALU_DEP_1)
	v_fma_mix_f32 v2, v5, v39, v2 op_sel_hi:[0,1,0]
	s_waitcnt vmcnt(5)
	v_fma_mix_f32 v2, v6, v13, v2 op_sel_hi:[0,1,0]
	s_waitcnt vmcnt(4)
	s_delay_alu instid0(VALU_DEP_1) | instskip(SKIP_1) | instid1(VALU_DEP_1)
	v_fma_mix_f32 v2, v7, v14, v2 op_sel_hi:[0,1,0]
	s_waitcnt vmcnt(3) lgkmcnt(0)
	v_fma_mix_f32 v2, v8, v40, v2 op_sel_hi:[0,1,0]
	s_waitcnt vmcnt(2)
	s_delay_alu instid0(VALU_DEP_1) | instskip(SKIP_1) | instid1(VALU_DEP_1)
	v_fma_mix_f32 v2, v9, v41, v2 op_sel_hi:[0,1,0]
	s_waitcnt vmcnt(1)
	v_fma_mix_f32 v2, v10, v42, v2 op_sel_hi:[0,1,0]
	s_waitcnt vmcnt(0)
	s_delay_alu instid0(VALU_DEP_1)
	v_fma_mix_f32 v4, v11, v43, v2 op_sel_hi:[0,1,0]
	s_cmpk_lt_i32 s48, 0x4100
	s_cbranch_scc1 .LBB23_14
.LBB23_23:
	s_cmpk_lt_i32 s48, 0x4200
	v_add_co_u32 v5, vcc_lo, 0x2000, v1
	s_cselect_b32 s4, s49, 0x1040
	v_add_co_ci_u32_e32 v6, vcc_lo, 0, v3, vcc_lo
	s_ashr_i32 s5, s4, 31
	v_mov_b32_e32 v44, 0
	s_lshl_b64 s[4:5], s[4:5], 1
	s_cmpk_lt_i32 s48, 0x4300
	v_add_co_u32 v7, vcc_lo, v1, s4
	s_cselect_b32 s6, s49, 0x1080
	v_add_co_ci_u32_e32 v8, vcc_lo, s5, v3, vcc_lo
	s_ashr_i32 s7, s6, 31
	s_delay_alu instid0(SALU_CYCLE_1)
	s_lshl_b64 s[6:7], s[6:7], 1
	s_cmpk_lt_i32 s48, 0x4400
	v_add_co_u32 v9, vcc_lo, v1, s6
	s_cselect_b32 s8, s49, 0x10c0
	v_add_co_ci_u32_e32 v10, vcc_lo, s7, v3, vcc_lo
	s_ashr_i32 s9, s8, 31
	s_delay_alu instid0(SALU_CYCLE_1)
	;; [unrolled: 7-line block ×6, first 2 shown]
	s_lshl_b64 s[26:27], s[18:19], 1
	s_cmpk_lt_i32 s48, 0x4900
	v_add_co_u32 v19, vcc_lo, v1, s26
	s_cselect_b32 s18, s49, 0x1200
	v_add_co_ci_u32_e32 v20, vcc_lo, s27, v3, vcc_lo
	s_ashr_i32 s19, s18, 31
	s_clause 0x7
	global_load_u16 v2, v[5:6], off
	global_load_u16 v21, v[7:8], off
	;; [unrolled: 1-line block ×8, first 2 shown]
	s_lshl_b64 s[18:19], s[18:19], 1
	s_cmpk_lt_i32 s48, 0x4a00
	v_add_co_u32 v5, vcc_lo, v1, s18
	s_cselect_b32 s24, s49, 0x1240
	v_add_co_ci_u32_e32 v6, vcc_lo, s19, v3, vcc_lo
	s_ashr_i32 s25, s24, 31
	s_delay_alu instid0(SALU_CYCLE_1)
	s_lshl_b64 s[24:25], s[24:25], 1
	s_cmpk_lt_i32 s48, 0x4b00
	v_add_co_u32 v7, vcc_lo, v1, s24
	s_cselect_b32 s28, s49, 0x1280
	v_add_co_ci_u32_e32 v8, vcc_lo, s25, v3, vcc_lo
	s_ashr_i32 s29, s28, 31
	s_delay_alu instid0(SALU_CYCLE_1)
	;; [unrolled: 7-line block ×7, first 2 shown]
	s_lshl_b64 s[44:45], s[36:37], 1
	s_cmpk_lt_i32 s48, 0x5100
	v_add_co_u32 v19, vcc_lo, v1, s44
	s_cselect_b32 s36, s49, 0x1400
	v_add_co_ci_u32_e32 v20, vcc_lo, s45, v3, vcc_lo
	s_ashr_i32 s37, s36, 31
	s_clause 0x7
	global_load_u16 v28, v[5:6], off
	global_load_u16 v29, v[7:8], off
	;; [unrolled: 1-line block ×8, first 2 shown]
	s_lshl_b64 s[36:37], s[36:37], 1
	s_cmpk_lt_i32 s48, 0x5200
	v_add_co_u32 v5, vcc_lo, v1, s36
	s_cselect_b32 s42, s49, 0x1440
	v_add_co_ci_u32_e32 v6, vcc_lo, s37, v3, vcc_lo
	s_ashr_i32 s43, s42, 31
	s_delay_alu instid0(SALU_CYCLE_1)
	s_lshl_b64 s[42:43], s[42:43], 1
	s_cmpk_lt_i32 s48, 0x5300
	v_add_co_u32 v7, vcc_lo, v1, s42
	s_cselect_b32 s46, s49, 0x1480
	v_add_co_ci_u32_e32 v8, vcc_lo, s43, v3, vcc_lo
	s_ashr_i32 s47, s46, 31
	s_delay_alu instid0(SALU_CYCLE_1)
	;; [unrolled: 7-line block ×5, first 2 shown]
	s_lshl_b64 s[8:9], s[8:9], 1
	s_cmpk_lt_i32 s48, 0x5700
	v_add_co_u32 v15, vcc_lo, v1, s8
	s_cselect_b32 s10, s49, 0x1580
	v_add_co_ci_u32_e32 v16, vcc_lo, s9, v3, vcc_lo
	s_ashr_i32 s11, s10, 31
	s_clause 0x5
	global_load_u16 v19, v[5:6], off
	global_load_u16 v20, v[7:8], off
	;; [unrolled: 1-line block ×6, first 2 shown]
	s_lshl_b64 s[10:11], s[10:11], 1
	s_cmpk_lt_i32 s48, 0x5800
	v_add_co_u32 v5, vcc_lo, v1, s10
	s_cselect_b32 s18, s49, 0x15c0
	v_add_co_ci_u32_e32 v6, vcc_lo, s11, v3, vcc_lo
	s_ashr_i32 s19, s18, 31
	s_delay_alu instid0(SALU_CYCLE_1)
	s_lshl_b64 s[18:19], s[18:19], 1
	s_cmpk_lt_i32 s48, 0x5900
	v_add_co_u32 v7, vcc_lo, v1, s18
	s_cselect_b32 s20, s49, 0x1600
	v_add_co_ci_u32_e32 v8, vcc_lo, s19, v3, vcc_lo
	s_ashr_i32 s21, s20, 31
	global_load_u16 v16, v[5:6], off
	s_lshl_b64 s[20:21], s[20:21], 1
	global_load_u16 v37, v[7:8], off
	s_cmpk_lt_i32 s48, 0x5a00
	v_add_co_u32 v9, vcc_lo, v1, s20
	s_cselect_b32 s22, s49, 0x1640
	v_add_co_ci_u32_e32 v10, vcc_lo, s21, v3, vcc_lo
	s_ashr_i32 s23, s22, 31
	s_delay_alu instid0(SALU_CYCLE_1)
	s_lshl_b64 s[22:23], s[22:23], 1
	s_cmpk_lt_i32 s48, 0x5b00
	v_add_co_u32 v11, vcc_lo, v1, s22
	s_cselect_b32 s4, s49, 0x1680
	v_add_co_ci_u32_e32 v12, vcc_lo, s23, v3, vcc_lo
	s_ashr_i32 s5, s4, 31
	s_delay_alu instid0(SALU_CYCLE_1)
	s_lshl_b64 s[4:5], s[4:5], 1
	s_cmpk_lt_i32 s48, 0x5c00
	v_add_co_u32 v13, vcc_lo, v1, s4
	s_cselect_b32 s6, s49, 0x16c0
	v_add_co_ci_u32_e32 v14, vcc_lo, s5, v3, vcc_lo
	s_ashr_i32 s7, s6, 31
	s_clause 0x2
	global_load_u16 v38, v[9:10], off
	global_load_u16 v39, v[11:12], off
	;; [unrolled: 1-line block ×3, first 2 shown]
	s_lshl_b64 s[6:7], s[6:7], 1
	s_cmpk_lt_i32 s48, 0x5d00
	v_add_co_u32 v5, vcc_lo, v1, s6
	s_cselect_b32 s8, s49, 0x1700
	v_add_co_ci_u32_e32 v6, vcc_lo, s7, v3, vcc_lo
	s_ashr_i32 s9, s8, 31
	s_delay_alu instid0(SALU_CYCLE_1)
	s_lshl_b64 s[4:5], s[8:9], 1
	s_cmpk_lt_i32 s48, 0x5e00
	v_add_co_u32 v7, vcc_lo, v1, s4
	s_cselect_b32 s8, s49, 0x1740
	v_add_co_ci_u32_e32 v8, vcc_lo, s5, v3, vcc_lo
	s_ashr_i32 s9, s8, 31
	global_load_u16 v14, v[5:6], off
	s_lshl_b64 s[8:9], s[8:9], 1
	s_cmpk_lt_i32 s48, 0x5f00
	v_add_co_u32 v9, vcc_lo, v1, s8
	s_cselect_b32 s6, s49, 0x1780
	v_add_co_ci_u32_e32 v10, vcc_lo, s9, v3, vcc_lo
	s_ashr_i32 s7, s6, 31
	s_clause 0x1
	global_load_u16 v40, v[7:8], off
	global_load_u16 v41, v[9:10], off
	s_lshl_b64 s[4:5], s[6:7], 1
	s_cmpk_lt_i32 s48, 0x6000
	v_add_co_u32 v5, vcc_lo, v1, s4
	s_cselect_b32 s6, s49, 0x17c0
	v_add_co_ci_u32_e32 v6, vcc_lo, s5, v3, vcc_lo
	s_ashr_i32 s7, s6, 31
	s_delay_alu instid0(SALU_CYCLE_1) | instskip(NEXT) | instid1(SALU_CYCLE_1)
	s_lshl_b64 s[4:5], s[6:7], 1
	v_add_co_u32 v7, vcc_lo, v1, s4
	v_add_co_ci_u32_e32 v8, vcc_lo, s5, v3, vcc_lo
	s_clause 0x1
	global_load_u16 v42, v[5:6], off
	global_load_u16 v43, v[7:8], off
	ds_load_b128 v[5:8], v44 offset:256
	ds_load_b128 v[9:12], v44 offset:272
	s_waitcnt vmcnt(31) lgkmcnt(1)
	v_fma_mix_f32 v2, v5, v2, v4 op_sel_hi:[0,1,0]
	s_waitcnt vmcnt(30)
	s_delay_alu instid0(VALU_DEP_1) | instskip(SKIP_1) | instid1(VALU_DEP_1)
	v_fma_mix_f32 v2, v6, v21, v2 op_sel_hi:[0,1,0]
	s_waitcnt vmcnt(29)
	v_fma_mix_f32 v2, v7, v22, v2 op_sel_hi:[0,1,0]
	ds_load_b128 v[4:7], v44 offset:288
	s_waitcnt vmcnt(28)
	v_fma_mix_f32 v2, v8, v23, v2 op_sel_hi:[0,1,0]
	s_waitcnt vmcnt(27) lgkmcnt(1)
	s_delay_alu instid0(VALU_DEP_1) | instskip(SKIP_1) | instid1(VALU_DEP_1)
	v_fma_mix_f32 v2, v9, v24, v2 op_sel_hi:[0,1,0]
	s_waitcnt vmcnt(26)
	v_fma_mix_f32 v2, v10, v25, v2 op_sel_hi:[0,1,0]
	s_waitcnt vmcnt(25)
	s_delay_alu instid0(VALU_DEP_1) | instskip(SKIP_4) | instid1(VALU_DEP_1)
	v_fma_mix_f32 v2, v11, v26, v2 op_sel_hi:[0,1,0]
	ds_load_b128 v[8:11], v44 offset:304
	s_waitcnt vmcnt(24)
	v_fma_mix_f32 v2, v12, v27, v2 op_sel_hi:[0,1,0]
	s_waitcnt vmcnt(23) lgkmcnt(1)
	v_fma_mix_f32 v2, v4, v28, v2 op_sel_hi:[0,1,0]
	s_waitcnt vmcnt(22)
	s_delay_alu instid0(VALU_DEP_1) | instskip(SKIP_1) | instid1(VALU_DEP_1)
	v_fma_mix_f32 v2, v5, v29, v2 op_sel_hi:[0,1,0]
	s_waitcnt vmcnt(21)
	v_fma_mix_f32 v2, v6, v30, v2 op_sel_hi:[0,1,0]
	s_waitcnt vmcnt(20)
	s_delay_alu instid0(VALU_DEP_1) | instskip(SKIP_4) | instid1(VALU_DEP_1)
	v_fma_mix_f32 v2, v7, v31, v2 op_sel_hi:[0,1,0]
	ds_load_b128 v[4:7], v44 offset:320
	s_waitcnt vmcnt(19) lgkmcnt(1)
	v_fma_mix_f32 v2, v8, v32, v2 op_sel_hi:[0,1,0]
	s_waitcnt vmcnt(18)
	v_fma_mix_f32 v2, v9, v33, v2 op_sel_hi:[0,1,0]
	s_waitcnt vmcnt(17)
	s_delay_alu instid0(VALU_DEP_1) | instskip(SKIP_1) | instid1(VALU_DEP_1)
	v_fma_mix_f32 v2, v10, v17, v2 op_sel_hi:[0,1,0]
	s_waitcnt vmcnt(16)
	v_fma_mix_f32 v2, v11, v18, v2 op_sel_hi:[0,1,0]
	ds_load_b128 v[8:11], v44 offset:336
	s_waitcnt vmcnt(15) lgkmcnt(1)
	v_fma_mix_f32 v2, v4, v19, v2 op_sel_hi:[0,1,0]
	s_waitcnt vmcnt(14)
	s_delay_alu instid0(VALU_DEP_1) | instskip(SKIP_1) | instid1(VALU_DEP_1)
	v_fma_mix_f32 v2, v5, v20, v2 op_sel_hi:[0,1,0]
	s_waitcnt vmcnt(13)
	v_fma_mix_f32 v2, v6, v34, v2 op_sel_hi:[0,1,0]
	s_waitcnt vmcnt(12)
	s_delay_alu instid0(VALU_DEP_1) | instskip(SKIP_4) | instid1(VALU_DEP_1)
	v_fma_mix_f32 v2, v7, v35, v2 op_sel_hi:[0,1,0]
	ds_load_b128 v[4:7], v44 offset:352
	s_waitcnt vmcnt(11) lgkmcnt(1)
	v_fma_mix_f32 v2, v8, v36, v2 op_sel_hi:[0,1,0]
	s_waitcnt vmcnt(10)
	v_fma_mix_f32 v2, v9, v15, v2 op_sel_hi:[0,1,0]
	s_waitcnt vmcnt(9)
	s_delay_alu instid0(VALU_DEP_1) | instskip(SKIP_1) | instid1(VALU_DEP_1)
	v_fma_mix_f32 v2, v10, v16, v2 op_sel_hi:[0,1,0]
	s_waitcnt vmcnt(8)
	v_fma_mix_f32 v2, v11, v37, v2 op_sel_hi:[0,1,0]
	ds_load_b128 v[8:11], v44 offset:368
	s_waitcnt vmcnt(7) lgkmcnt(1)
	v_fma_mix_f32 v2, v4, v38, v2 op_sel_hi:[0,1,0]
	s_waitcnt vmcnt(6)
	s_delay_alu instid0(VALU_DEP_1) | instskip(SKIP_1) | instid1(VALU_DEP_1)
	v_fma_mix_f32 v2, v5, v39, v2 op_sel_hi:[0,1,0]
	s_waitcnt vmcnt(5)
	v_fma_mix_f32 v2, v6, v13, v2 op_sel_hi:[0,1,0]
	s_waitcnt vmcnt(4)
	s_delay_alu instid0(VALU_DEP_1) | instskip(SKIP_1) | instid1(VALU_DEP_1)
	v_fma_mix_f32 v2, v7, v14, v2 op_sel_hi:[0,1,0]
	s_waitcnt vmcnt(3) lgkmcnt(0)
	v_fma_mix_f32 v2, v8, v40, v2 op_sel_hi:[0,1,0]
	s_waitcnt vmcnt(2)
	s_delay_alu instid0(VALU_DEP_1) | instskip(SKIP_1) | instid1(VALU_DEP_1)
	v_fma_mix_f32 v2, v9, v41, v2 op_sel_hi:[0,1,0]
	s_waitcnt vmcnt(1)
	v_fma_mix_f32 v2, v10, v42, v2 op_sel_hi:[0,1,0]
	s_waitcnt vmcnt(0)
	s_delay_alu instid0(VALU_DEP_1)
	v_fma_mix_f32 v4, v11, v43, v2 op_sel_hi:[0,1,0]
	s_cmpk_lt_i32 s48, 0x6100
	s_cbranch_scc1 .LBB23_15
.LBB23_24:
	s_cmpk_lt_i32 s48, 0x6200
	v_add_co_u32 v5, vcc_lo, 0x3000, v1
	s_cselect_b32 s4, s49, 0x1840
	v_add_co_ci_u32_e32 v6, vcc_lo, 0, v3, vcc_lo
	s_ashr_i32 s5, s4, 31
	v_mov_b32_e32 v44, 0
	s_lshl_b64 s[4:5], s[4:5], 1
	s_cmpk_lt_i32 s48, 0x6300
	v_add_co_u32 v7, vcc_lo, v1, s4
	s_cselect_b32 s6, s49, 0x1880
	v_add_co_ci_u32_e32 v8, vcc_lo, s5, v3, vcc_lo
	s_ashr_i32 s7, s6, 31
	s_delay_alu instid0(SALU_CYCLE_1)
	s_lshl_b64 s[6:7], s[6:7], 1
	s_cmpk_lt_i32 s48, 0x6400
	v_add_co_u32 v9, vcc_lo, v1, s6
	s_cselect_b32 s8, s49, 0x18c0
	v_add_co_ci_u32_e32 v10, vcc_lo, s7, v3, vcc_lo
	s_ashr_i32 s9, s8, 31
	s_delay_alu instid0(SALU_CYCLE_1)
	;; [unrolled: 7-line block ×6, first 2 shown]
	s_lshl_b64 s[26:27], s[18:19], 1
	s_cmpk_lt_i32 s48, 0x6900
	v_add_co_u32 v19, vcc_lo, v1, s26
	s_cselect_b32 s18, s49, 0x1a00
	v_add_co_ci_u32_e32 v20, vcc_lo, s27, v3, vcc_lo
	s_ashr_i32 s19, s18, 31
	s_clause 0x7
	global_load_u16 v2, v[5:6], off
	global_load_u16 v21, v[7:8], off
	;; [unrolled: 1-line block ×8, first 2 shown]
	s_lshl_b64 s[18:19], s[18:19], 1
	s_cmpk_lt_i32 s48, 0x6a00
	v_add_co_u32 v5, vcc_lo, v1, s18
	s_cselect_b32 s24, s49, 0x1a40
	v_add_co_ci_u32_e32 v6, vcc_lo, s19, v3, vcc_lo
	s_ashr_i32 s25, s24, 31
	s_delay_alu instid0(SALU_CYCLE_1)
	s_lshl_b64 s[24:25], s[24:25], 1
	s_cmpk_lt_i32 s48, 0x6b00
	v_add_co_u32 v7, vcc_lo, v1, s24
	s_cselect_b32 s28, s49, 0x1a80
	v_add_co_ci_u32_e32 v8, vcc_lo, s25, v3, vcc_lo
	s_ashr_i32 s29, s28, 31
	s_delay_alu instid0(SALU_CYCLE_1)
	;; [unrolled: 7-line block ×7, first 2 shown]
	s_lshl_b64 s[44:45], s[36:37], 1
	s_cmpk_lt_i32 s48, 0x7100
	v_add_co_u32 v19, vcc_lo, v1, s44
	s_cselect_b32 s36, s49, 0x1c00
	v_add_co_ci_u32_e32 v20, vcc_lo, s45, v3, vcc_lo
	s_ashr_i32 s37, s36, 31
	s_clause 0x7
	global_load_u16 v28, v[5:6], off
	global_load_u16 v29, v[7:8], off
	;; [unrolled: 1-line block ×8, first 2 shown]
	s_lshl_b64 s[36:37], s[36:37], 1
	s_cmpk_lt_i32 s48, 0x7200
	v_add_co_u32 v5, vcc_lo, v1, s36
	s_cselect_b32 s42, s49, 0x1c40
	v_add_co_ci_u32_e32 v6, vcc_lo, s37, v3, vcc_lo
	s_ashr_i32 s43, s42, 31
	s_delay_alu instid0(SALU_CYCLE_1)
	s_lshl_b64 s[42:43], s[42:43], 1
	s_cmpk_lt_i32 s48, 0x7300
	v_add_co_u32 v7, vcc_lo, v1, s42
	s_cselect_b32 s46, s49, 0x1c80
	v_add_co_ci_u32_e32 v8, vcc_lo, s43, v3, vcc_lo
	s_ashr_i32 s47, s46, 31
	s_delay_alu instid0(SALU_CYCLE_1)
	;; [unrolled: 7-line block ×5, first 2 shown]
	s_lshl_b64 s[8:9], s[8:9], 1
	s_cmpk_lt_i32 s48, 0x7700
	v_add_co_u32 v15, vcc_lo, v1, s8
	s_cselect_b32 s10, s49, 0x1d80
	v_add_co_ci_u32_e32 v16, vcc_lo, s9, v3, vcc_lo
	s_ashr_i32 s11, s10, 31
	s_clause 0x5
	global_load_u16 v19, v[5:6], off
	global_load_u16 v20, v[7:8], off
	;; [unrolled: 1-line block ×6, first 2 shown]
	s_lshl_b64 s[10:11], s[10:11], 1
	s_cmpk_lt_i32 s48, 0x7800
	v_add_co_u32 v5, vcc_lo, v1, s10
	s_cselect_b32 s18, s49, 0x1dc0
	v_add_co_ci_u32_e32 v6, vcc_lo, s11, v3, vcc_lo
	s_ashr_i32 s19, s18, 31
	s_delay_alu instid0(SALU_CYCLE_1)
	s_lshl_b64 s[18:19], s[18:19], 1
	s_cmpk_lt_i32 s48, 0x7900
	v_add_co_u32 v7, vcc_lo, v1, s18
	s_cselect_b32 s20, s49, 0x1e00
	v_add_co_ci_u32_e32 v8, vcc_lo, s19, v3, vcc_lo
	s_ashr_i32 s21, s20, 31
	global_load_u16 v16, v[5:6], off
	s_lshl_b64 s[20:21], s[20:21], 1
	global_load_u16 v37, v[7:8], off
	s_cmpk_lt_i32 s48, 0x7a00
	v_add_co_u32 v9, vcc_lo, v1, s20
	s_cselect_b32 s22, s49, 0x1e40
	v_add_co_ci_u32_e32 v10, vcc_lo, s21, v3, vcc_lo
	s_ashr_i32 s23, s22, 31
	s_delay_alu instid0(SALU_CYCLE_1)
	s_lshl_b64 s[22:23], s[22:23], 1
	s_cmpk_lt_i32 s48, 0x7b00
	v_add_co_u32 v11, vcc_lo, v1, s22
	s_cselect_b32 s4, s49, 0x1e80
	v_add_co_ci_u32_e32 v12, vcc_lo, s23, v3, vcc_lo
	s_ashr_i32 s5, s4, 31
	s_delay_alu instid0(SALU_CYCLE_1)
	s_lshl_b64 s[4:5], s[4:5], 1
	s_cmpk_lt_i32 s48, 0x7c00
	v_add_co_u32 v13, vcc_lo, v1, s4
	s_cselect_b32 s6, s49, 0x1ec0
	v_add_co_ci_u32_e32 v14, vcc_lo, s5, v3, vcc_lo
	s_ashr_i32 s7, s6, 31
	s_clause 0x2
	global_load_u16 v38, v[9:10], off
	global_load_u16 v39, v[11:12], off
	;; [unrolled: 1-line block ×3, first 2 shown]
	s_lshl_b64 s[6:7], s[6:7], 1
	s_cmpk_lt_i32 s48, 0x7d00
	v_add_co_u32 v5, vcc_lo, v1, s6
	s_cselect_b32 s8, s49, 0x1f00
	v_add_co_ci_u32_e32 v6, vcc_lo, s7, v3, vcc_lo
	s_ashr_i32 s9, s8, 31
	s_delay_alu instid0(SALU_CYCLE_1)
	s_lshl_b64 s[4:5], s[8:9], 1
	s_cmpk_lt_i32 s48, 0x7e00
	v_add_co_u32 v7, vcc_lo, v1, s4
	s_cselect_b32 s8, s49, 0x1f40
	v_add_co_ci_u32_e32 v8, vcc_lo, s5, v3, vcc_lo
	s_ashr_i32 s9, s8, 31
	global_load_u16 v14, v[5:6], off
	s_lshl_b64 s[8:9], s[8:9], 1
	s_cmpk_lt_i32 s48, 0x7f00
	v_add_co_u32 v9, vcc_lo, v1, s8
	s_cselect_b32 s6, s49, 0x1f80
	v_add_co_ci_u32_e32 v10, vcc_lo, s9, v3, vcc_lo
	s_ashr_i32 s7, s6, 31
	s_clause 0x1
	global_load_u16 v40, v[7:8], off
	global_load_u16 v41, v[9:10], off
	s_lshl_b64 s[4:5], s[6:7], 1
	s_cmp_lt_i32 s48, 0x8000
	v_add_co_u32 v5, vcc_lo, v1, s4
	s_cselect_b32 s6, s49, 0x1fc0
	v_add_co_ci_u32_e32 v6, vcc_lo, s5, v3, vcc_lo
	s_ashr_i32 s7, s6, 31
	s_delay_alu instid0(SALU_CYCLE_1) | instskip(NEXT) | instid1(SALU_CYCLE_1)
	s_lshl_b64 s[4:5], s[6:7], 1
	v_add_co_u32 v7, vcc_lo, v1, s4
	v_add_co_ci_u32_e32 v8, vcc_lo, s5, v3, vcc_lo
	s_clause 0x1
	global_load_u16 v42, v[5:6], off
	global_load_u16 v43, v[7:8], off
	ds_load_b128 v[5:8], v44 offset:384
	ds_load_b128 v[9:12], v44 offset:400
	s_waitcnt vmcnt(31) lgkmcnt(1)
	v_fma_mix_f32 v2, v5, v2, v4 op_sel_hi:[0,1,0]
	s_waitcnt vmcnt(30)
	s_delay_alu instid0(VALU_DEP_1) | instskip(SKIP_1) | instid1(VALU_DEP_1)
	v_fma_mix_f32 v2, v6, v21, v2 op_sel_hi:[0,1,0]
	s_waitcnt vmcnt(29)
	v_fma_mix_f32 v2, v7, v22, v2 op_sel_hi:[0,1,0]
	ds_load_b128 v[4:7], v44 offset:416
	s_waitcnt vmcnt(28)
	v_fma_mix_f32 v2, v8, v23, v2 op_sel_hi:[0,1,0]
	s_waitcnt vmcnt(27) lgkmcnt(1)
	s_delay_alu instid0(VALU_DEP_1) | instskip(SKIP_1) | instid1(VALU_DEP_1)
	v_fma_mix_f32 v2, v9, v24, v2 op_sel_hi:[0,1,0]
	s_waitcnt vmcnt(26)
	v_fma_mix_f32 v2, v10, v25, v2 op_sel_hi:[0,1,0]
	s_waitcnt vmcnt(25)
	s_delay_alu instid0(VALU_DEP_1) | instskip(SKIP_4) | instid1(VALU_DEP_1)
	v_fma_mix_f32 v2, v11, v26, v2 op_sel_hi:[0,1,0]
	ds_load_b128 v[8:11], v44 offset:432
	s_waitcnt vmcnt(24)
	v_fma_mix_f32 v2, v12, v27, v2 op_sel_hi:[0,1,0]
	s_waitcnt vmcnt(23) lgkmcnt(1)
	v_fma_mix_f32 v2, v4, v28, v2 op_sel_hi:[0,1,0]
	s_waitcnt vmcnt(22)
	s_delay_alu instid0(VALU_DEP_1) | instskip(SKIP_1) | instid1(VALU_DEP_1)
	v_fma_mix_f32 v2, v5, v29, v2 op_sel_hi:[0,1,0]
	s_waitcnt vmcnt(21)
	v_fma_mix_f32 v2, v6, v30, v2 op_sel_hi:[0,1,0]
	s_waitcnt vmcnt(20)
	s_delay_alu instid0(VALU_DEP_1) | instskip(SKIP_4) | instid1(VALU_DEP_1)
	v_fma_mix_f32 v2, v7, v31, v2 op_sel_hi:[0,1,0]
	ds_load_b128 v[4:7], v44 offset:448
	s_waitcnt vmcnt(19) lgkmcnt(1)
	v_fma_mix_f32 v2, v8, v32, v2 op_sel_hi:[0,1,0]
	s_waitcnt vmcnt(18)
	v_fma_mix_f32 v2, v9, v33, v2 op_sel_hi:[0,1,0]
	s_waitcnt vmcnt(17)
	s_delay_alu instid0(VALU_DEP_1) | instskip(SKIP_1) | instid1(VALU_DEP_1)
	v_fma_mix_f32 v2, v10, v17, v2 op_sel_hi:[0,1,0]
	s_waitcnt vmcnt(16)
	v_fma_mix_f32 v2, v11, v18, v2 op_sel_hi:[0,1,0]
	ds_load_b128 v[8:11], v44 offset:464
	s_waitcnt vmcnt(15) lgkmcnt(1)
	v_fma_mix_f32 v2, v4, v19, v2 op_sel_hi:[0,1,0]
	s_waitcnt vmcnt(14)
	s_delay_alu instid0(VALU_DEP_1) | instskip(SKIP_1) | instid1(VALU_DEP_1)
	v_fma_mix_f32 v2, v5, v20, v2 op_sel_hi:[0,1,0]
	s_waitcnt vmcnt(13)
	v_fma_mix_f32 v2, v6, v34, v2 op_sel_hi:[0,1,0]
	s_waitcnt vmcnt(12)
	s_delay_alu instid0(VALU_DEP_1) | instskip(SKIP_4) | instid1(VALU_DEP_1)
	v_fma_mix_f32 v2, v7, v35, v2 op_sel_hi:[0,1,0]
	ds_load_b128 v[4:7], v44 offset:480
	s_waitcnt vmcnt(11) lgkmcnt(1)
	v_fma_mix_f32 v2, v8, v36, v2 op_sel_hi:[0,1,0]
	s_waitcnt vmcnt(10)
	v_fma_mix_f32 v2, v9, v15, v2 op_sel_hi:[0,1,0]
	s_waitcnt vmcnt(9)
	s_delay_alu instid0(VALU_DEP_1) | instskip(SKIP_1) | instid1(VALU_DEP_1)
	v_fma_mix_f32 v2, v10, v16, v2 op_sel_hi:[0,1,0]
	s_waitcnt vmcnt(8)
	v_fma_mix_f32 v2, v11, v37, v2 op_sel_hi:[0,1,0]
	ds_load_b128 v[8:11], v44 offset:496
	s_waitcnt vmcnt(7) lgkmcnt(1)
	v_fma_mix_f32 v2, v4, v38, v2 op_sel_hi:[0,1,0]
	s_waitcnt vmcnt(6)
	s_delay_alu instid0(VALU_DEP_1) | instskip(SKIP_1) | instid1(VALU_DEP_1)
	v_fma_mix_f32 v2, v5, v39, v2 op_sel_hi:[0,1,0]
	s_waitcnt vmcnt(5)
	v_fma_mix_f32 v2, v6, v13, v2 op_sel_hi:[0,1,0]
	s_waitcnt vmcnt(4)
	s_delay_alu instid0(VALU_DEP_1) | instskip(SKIP_1) | instid1(VALU_DEP_1)
	v_fma_mix_f32 v2, v7, v14, v2 op_sel_hi:[0,1,0]
	s_waitcnt vmcnt(3) lgkmcnt(0)
	v_fma_mix_f32 v2, v8, v40, v2 op_sel_hi:[0,1,0]
	s_waitcnt vmcnt(2)
	s_delay_alu instid0(VALU_DEP_1) | instskip(SKIP_1) | instid1(VALU_DEP_1)
	v_fma_mix_f32 v2, v9, v41, v2 op_sel_hi:[0,1,0]
	s_waitcnt vmcnt(1)
	v_fma_mix_f32 v2, v10, v42, v2 op_sel_hi:[0,1,0]
	s_waitcnt vmcnt(0)
	s_delay_alu instid0(VALU_DEP_1)
	v_fma_mix_f32 v4, v11, v43, v2 op_sel_hi:[0,1,0]
	s_cmp_lt_i32 s48, 0x8100
	s_cbranch_scc1 .LBB23_16
.LBB23_25:
	s_cmp_lt_i32 s48, 0x8200
	v_add_co_u32 v5, vcc_lo, 0x4000, v1
	s_cselect_b32 s4, s49, 0x2040
	v_add_co_ci_u32_e32 v6, vcc_lo, 0, v3, vcc_lo
	s_ashr_i32 s5, s4, 31
	v_mov_b32_e32 v44, 0
	s_lshl_b64 s[4:5], s[4:5], 1
	s_cmp_lt_i32 s48, 0x8300
	v_add_co_u32 v7, vcc_lo, v1, s4
	s_cselect_b32 s6, s49, 0x2080
	v_add_co_ci_u32_e32 v8, vcc_lo, s5, v3, vcc_lo
	s_ashr_i32 s7, s6, 31
	s_delay_alu instid0(SALU_CYCLE_1)
	s_lshl_b64 s[6:7], s[6:7], 1
	s_cmp_lt_i32 s48, 0x8400
	v_add_co_u32 v9, vcc_lo, v1, s6
	s_cselect_b32 s8, s49, 0x20c0
	v_add_co_ci_u32_e32 v10, vcc_lo, s7, v3, vcc_lo
	s_ashr_i32 s9, s8, 31
	s_delay_alu instid0(SALU_CYCLE_1)
	;; [unrolled: 7-line block ×6, first 2 shown]
	s_lshl_b64 s[26:27], s[18:19], 1
	s_cmp_lt_i32 s48, 0x8900
	v_add_co_u32 v19, vcc_lo, v1, s26
	s_cselect_b32 s18, s49, 0x2200
	v_add_co_ci_u32_e32 v20, vcc_lo, s27, v3, vcc_lo
	s_ashr_i32 s19, s18, 31
	s_clause 0x7
	global_load_u16 v2, v[5:6], off
	global_load_u16 v21, v[7:8], off
	global_load_u16 v22, v[9:10], off
	global_load_u16 v23, v[11:12], off
	global_load_u16 v24, v[13:14], off
	global_load_u16 v25, v[15:16], off
	global_load_u16 v26, v[17:18], off
	global_load_u16 v27, v[19:20], off
	s_lshl_b64 s[18:19], s[18:19], 1
	s_cmp_lt_i32 s48, 0x8a00
	v_add_co_u32 v5, vcc_lo, v1, s18
	s_cselect_b32 s24, s49, 0x2240
	v_add_co_ci_u32_e32 v6, vcc_lo, s19, v3, vcc_lo
	s_ashr_i32 s25, s24, 31
	s_delay_alu instid0(SALU_CYCLE_1)
	s_lshl_b64 s[24:25], s[24:25], 1
	s_cmp_lt_i32 s48, 0x8b00
	v_add_co_u32 v7, vcc_lo, v1, s24
	s_cselect_b32 s28, s49, 0x2280
	v_add_co_ci_u32_e32 v8, vcc_lo, s25, v3, vcc_lo
	s_ashr_i32 s29, s28, 31
	s_delay_alu instid0(SALU_CYCLE_1)
	;; [unrolled: 7-line block ×7, first 2 shown]
	s_lshl_b64 s[44:45], s[36:37], 1
	s_cmp_lt_i32 s48, 0x9100
	v_add_co_u32 v19, vcc_lo, v1, s44
	s_cselect_b32 s36, s49, 0x2400
	v_add_co_ci_u32_e32 v20, vcc_lo, s45, v3, vcc_lo
	s_ashr_i32 s37, s36, 31
	s_clause 0x7
	global_load_u16 v28, v[5:6], off
	global_load_u16 v29, v[7:8], off
	;; [unrolled: 1-line block ×8, first 2 shown]
	s_lshl_b64 s[36:37], s[36:37], 1
	s_cmp_lt_i32 s48, 0x9200
	v_add_co_u32 v5, vcc_lo, v1, s36
	s_cselect_b32 s42, s49, 0x2440
	v_add_co_ci_u32_e32 v6, vcc_lo, s37, v3, vcc_lo
	s_ashr_i32 s43, s42, 31
	s_delay_alu instid0(SALU_CYCLE_1)
	s_lshl_b64 s[42:43], s[42:43], 1
	s_cmp_lt_i32 s48, 0x9300
	v_add_co_u32 v7, vcc_lo, v1, s42
	s_cselect_b32 s46, s49, 0x2480
	v_add_co_ci_u32_e32 v8, vcc_lo, s43, v3, vcc_lo
	s_ashr_i32 s47, s46, 31
	s_delay_alu instid0(SALU_CYCLE_1)
	;; [unrolled: 7-line block ×5, first 2 shown]
	s_lshl_b64 s[8:9], s[8:9], 1
	s_cmp_lt_i32 s48, 0x9700
	v_add_co_u32 v15, vcc_lo, v1, s8
	s_cselect_b32 s10, s49, 0x2580
	v_add_co_ci_u32_e32 v16, vcc_lo, s9, v3, vcc_lo
	s_ashr_i32 s11, s10, 31
	s_clause 0x5
	global_load_u16 v19, v[5:6], off
	global_load_u16 v20, v[7:8], off
	;; [unrolled: 1-line block ×6, first 2 shown]
	s_lshl_b64 s[10:11], s[10:11], 1
	s_cmp_lt_i32 s48, 0x9800
	v_add_co_u32 v5, vcc_lo, v1, s10
	s_cselect_b32 s18, s49, 0x25c0
	v_add_co_ci_u32_e32 v6, vcc_lo, s11, v3, vcc_lo
	s_ashr_i32 s19, s18, 31
	s_delay_alu instid0(SALU_CYCLE_1)
	s_lshl_b64 s[18:19], s[18:19], 1
	s_cmp_lt_i32 s48, 0x9900
	v_add_co_u32 v7, vcc_lo, v1, s18
	s_cselect_b32 s20, s49, 0x2600
	v_add_co_ci_u32_e32 v8, vcc_lo, s19, v3, vcc_lo
	s_ashr_i32 s21, s20, 31
	global_load_u16 v16, v[5:6], off
	s_lshl_b64 s[20:21], s[20:21], 1
	global_load_u16 v37, v[7:8], off
	s_cmp_lt_i32 s48, 0x9a00
	v_add_co_u32 v9, vcc_lo, v1, s20
	s_cselect_b32 s22, s49, 0x2640
	v_add_co_ci_u32_e32 v10, vcc_lo, s21, v3, vcc_lo
	s_ashr_i32 s23, s22, 31
	s_delay_alu instid0(SALU_CYCLE_1)
	s_lshl_b64 s[22:23], s[22:23], 1
	s_cmp_lt_i32 s48, 0x9b00
	v_add_co_u32 v11, vcc_lo, v1, s22
	s_cselect_b32 s4, s49, 0x2680
	v_add_co_ci_u32_e32 v12, vcc_lo, s23, v3, vcc_lo
	s_ashr_i32 s5, s4, 31
	s_delay_alu instid0(SALU_CYCLE_1)
	s_lshl_b64 s[4:5], s[4:5], 1
	s_cmp_lt_i32 s48, 0x9c00
	v_add_co_u32 v13, vcc_lo, v1, s4
	s_cselect_b32 s6, s49, 0x26c0
	v_add_co_ci_u32_e32 v14, vcc_lo, s5, v3, vcc_lo
	s_ashr_i32 s7, s6, 31
	s_clause 0x2
	global_load_u16 v38, v[9:10], off
	global_load_u16 v39, v[11:12], off
	;; [unrolled: 1-line block ×3, first 2 shown]
	s_lshl_b64 s[6:7], s[6:7], 1
	s_cmp_lt_i32 s48, 0x9d00
	v_add_co_u32 v5, vcc_lo, v1, s6
	s_cselect_b32 s8, s49, 0x2700
	v_add_co_ci_u32_e32 v6, vcc_lo, s7, v3, vcc_lo
	s_ashr_i32 s9, s8, 31
	s_delay_alu instid0(SALU_CYCLE_1)
	s_lshl_b64 s[4:5], s[8:9], 1
	s_cmp_lt_i32 s48, 0x9e00
	v_add_co_u32 v7, vcc_lo, v1, s4
	s_cselect_b32 s8, s49, 0x2740
	v_add_co_ci_u32_e32 v8, vcc_lo, s5, v3, vcc_lo
	s_ashr_i32 s9, s8, 31
	global_load_u16 v14, v[5:6], off
	s_lshl_b64 s[8:9], s[8:9], 1
	s_cmp_lt_i32 s48, 0x9f00
	v_add_co_u32 v9, vcc_lo, v1, s8
	s_cselect_b32 s6, s49, 0x2780
	v_add_co_ci_u32_e32 v10, vcc_lo, s9, v3, vcc_lo
	s_ashr_i32 s7, s6, 31
	s_clause 0x1
	global_load_u16 v40, v[7:8], off
	global_load_u16 v41, v[9:10], off
	s_lshl_b64 s[4:5], s[6:7], 1
	s_cmp_lt_i32 s48, 0xa000
	v_add_co_u32 v5, vcc_lo, v1, s4
	s_cselect_b32 s6, s49, 0x27c0
	v_add_co_ci_u32_e32 v6, vcc_lo, s5, v3, vcc_lo
	s_ashr_i32 s7, s6, 31
	s_delay_alu instid0(SALU_CYCLE_1) | instskip(NEXT) | instid1(SALU_CYCLE_1)
	s_lshl_b64 s[4:5], s[6:7], 1
	v_add_co_u32 v7, vcc_lo, v1, s4
	v_add_co_ci_u32_e32 v8, vcc_lo, s5, v3, vcc_lo
	s_clause 0x1
	global_load_u16 v42, v[5:6], off
	global_load_u16 v43, v[7:8], off
	ds_load_b128 v[5:8], v44 offset:512
	ds_load_b128 v[9:12], v44 offset:528
	s_waitcnt vmcnt(31) lgkmcnt(1)
	v_fma_mix_f32 v2, v5, v2, v4 op_sel_hi:[0,1,0]
	s_waitcnt vmcnt(30)
	s_delay_alu instid0(VALU_DEP_1) | instskip(SKIP_1) | instid1(VALU_DEP_1)
	v_fma_mix_f32 v2, v6, v21, v2 op_sel_hi:[0,1,0]
	s_waitcnt vmcnt(29)
	v_fma_mix_f32 v2, v7, v22, v2 op_sel_hi:[0,1,0]
	ds_load_b128 v[4:7], v44 offset:544
	s_waitcnt vmcnt(28)
	v_fma_mix_f32 v2, v8, v23, v2 op_sel_hi:[0,1,0]
	s_waitcnt vmcnt(27) lgkmcnt(1)
	s_delay_alu instid0(VALU_DEP_1) | instskip(SKIP_1) | instid1(VALU_DEP_1)
	v_fma_mix_f32 v2, v9, v24, v2 op_sel_hi:[0,1,0]
	s_waitcnt vmcnt(26)
	v_fma_mix_f32 v2, v10, v25, v2 op_sel_hi:[0,1,0]
	s_waitcnt vmcnt(25)
	s_delay_alu instid0(VALU_DEP_1) | instskip(SKIP_4) | instid1(VALU_DEP_1)
	v_fma_mix_f32 v2, v11, v26, v2 op_sel_hi:[0,1,0]
	ds_load_b128 v[8:11], v44 offset:560
	s_waitcnt vmcnt(24)
	v_fma_mix_f32 v2, v12, v27, v2 op_sel_hi:[0,1,0]
	s_waitcnt vmcnt(23) lgkmcnt(1)
	v_fma_mix_f32 v2, v4, v28, v2 op_sel_hi:[0,1,0]
	s_waitcnt vmcnt(22)
	s_delay_alu instid0(VALU_DEP_1) | instskip(SKIP_1) | instid1(VALU_DEP_1)
	v_fma_mix_f32 v2, v5, v29, v2 op_sel_hi:[0,1,0]
	s_waitcnt vmcnt(21)
	v_fma_mix_f32 v2, v6, v30, v2 op_sel_hi:[0,1,0]
	s_waitcnt vmcnt(20)
	s_delay_alu instid0(VALU_DEP_1) | instskip(SKIP_4) | instid1(VALU_DEP_1)
	v_fma_mix_f32 v2, v7, v31, v2 op_sel_hi:[0,1,0]
	ds_load_b128 v[4:7], v44 offset:576
	s_waitcnt vmcnt(19) lgkmcnt(1)
	v_fma_mix_f32 v2, v8, v32, v2 op_sel_hi:[0,1,0]
	s_waitcnt vmcnt(18)
	v_fma_mix_f32 v2, v9, v33, v2 op_sel_hi:[0,1,0]
	s_waitcnt vmcnt(17)
	s_delay_alu instid0(VALU_DEP_1) | instskip(SKIP_1) | instid1(VALU_DEP_1)
	v_fma_mix_f32 v2, v10, v17, v2 op_sel_hi:[0,1,0]
	s_waitcnt vmcnt(16)
	v_fma_mix_f32 v2, v11, v18, v2 op_sel_hi:[0,1,0]
	ds_load_b128 v[8:11], v44 offset:592
	s_waitcnt vmcnt(15) lgkmcnt(1)
	v_fma_mix_f32 v2, v4, v19, v2 op_sel_hi:[0,1,0]
	s_waitcnt vmcnt(14)
	s_delay_alu instid0(VALU_DEP_1) | instskip(SKIP_1) | instid1(VALU_DEP_1)
	v_fma_mix_f32 v2, v5, v20, v2 op_sel_hi:[0,1,0]
	s_waitcnt vmcnt(13)
	v_fma_mix_f32 v2, v6, v34, v2 op_sel_hi:[0,1,0]
	s_waitcnt vmcnt(12)
	s_delay_alu instid0(VALU_DEP_1) | instskip(SKIP_4) | instid1(VALU_DEP_1)
	v_fma_mix_f32 v2, v7, v35, v2 op_sel_hi:[0,1,0]
	ds_load_b128 v[4:7], v44 offset:608
	s_waitcnt vmcnt(11) lgkmcnt(1)
	v_fma_mix_f32 v2, v8, v36, v2 op_sel_hi:[0,1,0]
	s_waitcnt vmcnt(10)
	v_fma_mix_f32 v2, v9, v15, v2 op_sel_hi:[0,1,0]
	s_waitcnt vmcnt(9)
	s_delay_alu instid0(VALU_DEP_1) | instskip(SKIP_1) | instid1(VALU_DEP_1)
	v_fma_mix_f32 v2, v10, v16, v2 op_sel_hi:[0,1,0]
	s_waitcnt vmcnt(8)
	v_fma_mix_f32 v2, v11, v37, v2 op_sel_hi:[0,1,0]
	ds_load_b128 v[8:11], v44 offset:624
	s_waitcnt vmcnt(7) lgkmcnt(1)
	v_fma_mix_f32 v2, v4, v38, v2 op_sel_hi:[0,1,0]
	s_waitcnt vmcnt(6)
	s_delay_alu instid0(VALU_DEP_1) | instskip(SKIP_1) | instid1(VALU_DEP_1)
	v_fma_mix_f32 v2, v5, v39, v2 op_sel_hi:[0,1,0]
	s_waitcnt vmcnt(5)
	v_fma_mix_f32 v2, v6, v13, v2 op_sel_hi:[0,1,0]
	s_waitcnt vmcnt(4)
	s_delay_alu instid0(VALU_DEP_1) | instskip(SKIP_1) | instid1(VALU_DEP_1)
	v_fma_mix_f32 v2, v7, v14, v2 op_sel_hi:[0,1,0]
	s_waitcnt vmcnt(3) lgkmcnt(0)
	v_fma_mix_f32 v2, v8, v40, v2 op_sel_hi:[0,1,0]
	s_waitcnt vmcnt(2)
	s_delay_alu instid0(VALU_DEP_1) | instskip(SKIP_1) | instid1(VALU_DEP_1)
	v_fma_mix_f32 v2, v9, v41, v2 op_sel_hi:[0,1,0]
	s_waitcnt vmcnt(1)
	v_fma_mix_f32 v2, v10, v42, v2 op_sel_hi:[0,1,0]
	s_waitcnt vmcnt(0)
	s_delay_alu instid0(VALU_DEP_1)
	v_fma_mix_f32 v4, v11, v43, v2 op_sel_hi:[0,1,0]
	s_load_b64 s[0:1], s[0:1], 0x0
	s_cmp_lt_i32 s48, 0xa100
	s_cbranch_scc1 .LBB23_17
.LBB23_26:
	s_cmp_lt_i32 s48, 0xa200
	v_add_co_u32 v5, vcc_lo, 0x5000, v1
	s_cselect_b32 s4, s49, 0x2840
	v_add_co_ci_u32_e32 v6, vcc_lo, 0, v3, vcc_lo
	s_ashr_i32 s5, s4, 31
	v_mov_b32_e32 v45, 0
	s_lshl_b64 s[4:5], s[4:5], 1
	s_cmp_lt_i32 s48, 0xa300
	v_add_co_u32 v7, vcc_lo, v1, s4
	s_cselect_b32 s6, s49, 0x2880
	v_add_co_ci_u32_e32 v8, vcc_lo, s5, v3, vcc_lo
	s_ashr_i32 s7, s6, 31
	s_delay_alu instid0(SALU_CYCLE_1)
	s_lshl_b64 s[6:7], s[6:7], 1
	s_cmp_lt_i32 s48, 0xa400
	v_add_co_u32 v9, vcc_lo, v1, s6
	s_cselect_b32 s8, s49, 0x28c0
	v_add_co_ci_u32_e32 v10, vcc_lo, s7, v3, vcc_lo
	s_ashr_i32 s9, s8, 31
	s_delay_alu instid0(SALU_CYCLE_1)
	;; [unrolled: 7-line block ×6, first 2 shown]
	s_lshl_b64 s[26:27], s[18:19], 1
	s_cmp_lt_i32 s48, 0xa900
	v_add_co_u32 v19, vcc_lo, v1, s26
	s_cselect_b32 s18, s49, 0x2a00
	v_add_co_ci_u32_e32 v20, vcc_lo, s27, v3, vcc_lo
	s_ashr_i32 s19, s18, 31
	s_clause 0x7
	global_load_u16 v21, v[5:6], off
	global_load_u16 v22, v[7:8], off
	;; [unrolled: 1-line block ×8, first 2 shown]
	s_lshl_b64 s[18:19], s[18:19], 1
	s_cmp_lt_i32 s48, 0xaa00
	v_add_co_u32 v5, vcc_lo, v1, s18
	s_cselect_b32 s24, s49, 0x2a40
	v_add_co_ci_u32_e32 v6, vcc_lo, s19, v3, vcc_lo
	s_ashr_i32 s25, s24, 31
	s_delay_alu instid0(SALU_CYCLE_1)
	s_lshl_b64 s[24:25], s[24:25], 1
	s_cmp_lt_i32 s48, 0xab00
	v_add_co_u32 v7, vcc_lo, v1, s24
	s_cselect_b32 s28, s49, 0x2a80
	v_add_co_ci_u32_e32 v8, vcc_lo, s25, v3, vcc_lo
	s_ashr_i32 s29, s28, 31
	s_delay_alu instid0(SALU_CYCLE_1)
	;; [unrolled: 7-line block ×7, first 2 shown]
	s_lshl_b64 s[44:45], s[36:37], 1
	s_cmp_lt_i32 s48, 0xb100
	v_add_co_u32 v19, vcc_lo, v1, s44
	s_cselect_b32 s36, s49, 0x2c00
	v_add_co_ci_u32_e32 v20, vcc_lo, s45, v3, vcc_lo
	s_ashr_i32 s37, s36, 31
	s_clause 0x7
	global_load_u16 v29, v[5:6], off
	global_load_u16 v30, v[7:8], off
	;; [unrolled: 1-line block ×8, first 2 shown]
	s_lshl_b64 s[36:37], s[36:37], 1
	s_cmp_lt_i32 s48, 0xb200
	v_add_co_u32 v5, vcc_lo, v1, s36
	s_cselect_b32 s42, s49, 0x2c40
	v_add_co_ci_u32_e32 v6, vcc_lo, s37, v3, vcc_lo
	s_ashr_i32 s43, s42, 31
	s_delay_alu instid0(SALU_CYCLE_1)
	s_lshl_b64 s[42:43], s[42:43], 1
	s_cmp_lt_i32 s48, 0xb300
	v_add_co_u32 v7, vcc_lo, v1, s42
	s_cselect_b32 s46, s49, 0x2c80
	v_add_co_ci_u32_e32 v8, vcc_lo, s43, v3, vcc_lo
	s_ashr_i32 s47, s46, 31
	s_delay_alu instid0(SALU_CYCLE_1)
	;; [unrolled: 7-line block ×5, first 2 shown]
	s_lshl_b64 s[8:9], s[8:9], 1
	s_cmp_lt_i32 s48, 0xb700
	v_add_co_u32 v15, vcc_lo, v1, s8
	s_cselect_b32 s10, s49, 0x2d80
	v_add_co_ci_u32_e32 v16, vcc_lo, s9, v3, vcc_lo
	s_ashr_i32 s11, s10, 31
	s_clause 0x5
	global_load_u16 v19, v[5:6], off
	global_load_u16 v20, v[7:8], off
	;; [unrolled: 1-line block ×6, first 2 shown]
	s_lshl_b64 s[10:11], s[10:11], 1
	s_cmp_lt_i32 s48, 0xb800
	v_add_co_u32 v5, vcc_lo, v1, s10
	s_cselect_b32 s18, s49, 0x2dc0
	v_add_co_ci_u32_e32 v6, vcc_lo, s11, v3, vcc_lo
	s_ashr_i32 s19, s18, 31
	s_delay_alu instid0(SALU_CYCLE_1)
	s_lshl_b64 s[18:19], s[18:19], 1
	s_cmp_lt_i32 s48, 0xb900
	v_add_co_u32 v7, vcc_lo, v1, s18
	s_cselect_b32 s20, s49, 0x2e00
	v_add_co_ci_u32_e32 v8, vcc_lo, s19, v3, vcc_lo
	s_ashr_i32 s21, s20, 31
	global_load_u16 v16, v[5:6], off
	s_lshl_b64 s[20:21], s[20:21], 1
	global_load_u16 v38, v[7:8], off
	s_cmp_lt_i32 s48, 0xba00
	v_add_co_u32 v9, vcc_lo, v1, s20
	s_cselect_b32 s22, s49, 0x2e40
	v_add_co_ci_u32_e32 v10, vcc_lo, s21, v3, vcc_lo
	s_ashr_i32 s23, s22, 31
	s_delay_alu instid0(SALU_CYCLE_1)
	s_lshl_b64 s[22:23], s[22:23], 1
	s_cmp_lt_i32 s48, 0xbb00
	v_add_co_u32 v11, vcc_lo, v1, s22
	s_cselect_b32 s4, s49, 0x2e80
	v_add_co_ci_u32_e32 v12, vcc_lo, s23, v3, vcc_lo
	s_ashr_i32 s5, s4, 31
	s_delay_alu instid0(SALU_CYCLE_1)
	s_lshl_b64 s[4:5], s[4:5], 1
	s_cmp_lt_i32 s48, 0xbc00
	v_add_co_u32 v13, vcc_lo, v1, s4
	s_cselect_b32 s6, s49, 0x2ec0
	v_add_co_ci_u32_e32 v14, vcc_lo, s5, v3, vcc_lo
	s_ashr_i32 s7, s6, 31
	s_clause 0x2
	global_load_u16 v39, v[9:10], off
	global_load_u16 v40, v[11:12], off
	;; [unrolled: 1-line block ×3, first 2 shown]
	s_lshl_b64 s[6:7], s[6:7], 1
	s_cmp_lt_i32 s48, 0xbd00
	v_add_co_u32 v5, vcc_lo, v1, s6
	s_cselect_b32 s8, s49, 0x2f00
	v_add_co_ci_u32_e32 v6, vcc_lo, s7, v3, vcc_lo
	s_ashr_i32 s9, s8, 31
	s_delay_alu instid0(SALU_CYCLE_1)
	s_lshl_b64 s[4:5], s[8:9], 1
	s_cmp_lt_i32 s48, 0xbe00
	v_add_co_u32 v7, vcc_lo, v1, s4
	s_cselect_b32 s8, s49, 0x2f40
	v_add_co_ci_u32_e32 v8, vcc_lo, s5, v3, vcc_lo
	s_ashr_i32 s9, s8, 31
	global_load_u16 v14, v[5:6], off
	s_lshl_b64 s[8:9], s[8:9], 1
	s_cmp_lt_i32 s48, 0xbf00
	v_add_co_u32 v9, vcc_lo, v1, s8
	s_cselect_b32 s6, s49, 0x2f80
	v_add_co_ci_u32_e32 v10, vcc_lo, s9, v3, vcc_lo
	s_ashr_i32 s7, s6, 31
	s_clause 0x1
	global_load_u16 v41, v[7:8], off
	global_load_u16 v42, v[9:10], off
	s_lshl_b64 s[4:5], s[6:7], 1
	s_cmp_lt_i32 s48, 0xc000
	v_add_co_u32 v5, vcc_lo, v1, s4
	s_cselect_b32 s6, s49, 0x2fc0
	v_add_co_ci_u32_e32 v6, vcc_lo, s5, v3, vcc_lo
	s_ashr_i32 s7, s6, 31
	s_delay_alu instid0(SALU_CYCLE_1) | instskip(NEXT) | instid1(SALU_CYCLE_1)
	s_lshl_b64 s[4:5], s[6:7], 1
	v_add_co_u32 v1, vcc_lo, v1, s4
	v_add_co_ci_u32_e32 v2, vcc_lo, s5, v3, vcc_lo
	s_clause 0x1
	global_load_u16 v43, v[5:6], off
	global_load_u16 v44, v[1:2], off
	ds_load_b128 v[5:8], v45 offset:640
	ds_load_b128 v[9:12], v45 offset:656
	s_waitcnt vmcnt(31) lgkmcnt(0)
	v_fma_mix_f32 v1, v5, v21, v4 op_sel_hi:[0,1,0]
	s_waitcnt vmcnt(30)
	s_delay_alu instid0(VALU_DEP_1) | instskip(SKIP_1) | instid1(VALU_DEP_1)
	v_fma_mix_f32 v1, v6, v22, v1 op_sel_hi:[0,1,0]
	s_waitcnt vmcnt(29)
	v_fma_mix_f32 v1, v7, v23, v1 op_sel_hi:[0,1,0]
	s_waitcnt vmcnt(28)
	s_delay_alu instid0(VALU_DEP_1) | instskip(SKIP_1) | instid1(VALU_DEP_1)
	v_fma_mix_f32 v1, v8, v24, v1 op_sel_hi:[0,1,0]
	s_waitcnt vmcnt(27)
	v_fma_mix_f32 v5, v9, v25, v1 op_sel_hi:[0,1,0]
	ds_load_b128 v[1:4], v45 offset:672
	s_waitcnt vmcnt(26)
	v_fma_mix_f32 v5, v10, v26, v5 op_sel_hi:[0,1,0]
	s_waitcnt vmcnt(25)
	s_delay_alu instid0(VALU_DEP_1) | instskip(SKIP_1) | instid1(VALU_DEP_1)
	v_fma_mix_f32 v5, v11, v27, v5 op_sel_hi:[0,1,0]
	s_waitcnt vmcnt(24)
	v_fma_mix_f32 v9, v12, v28, v5 op_sel_hi:[0,1,0]
	ds_load_b128 v[5:8], v45 offset:688
	s_waitcnt vmcnt(23) lgkmcnt(1)
	v_fma_mix_f32 v1, v1, v29, v9 op_sel_hi:[0,1,0]
	s_waitcnt vmcnt(22)
	s_delay_alu instid0(VALU_DEP_1) | instskip(SKIP_1) | instid1(VALU_DEP_1)
	v_fma_mix_f32 v1, v2, v30, v1 op_sel_hi:[0,1,0]
	s_waitcnt vmcnt(21)
	v_fma_mix_f32 v1, v3, v31, v1 op_sel_hi:[0,1,0]
	s_waitcnt vmcnt(20)
	s_delay_alu instid0(VALU_DEP_1) | instskip(SKIP_1) | instid1(VALU_DEP_1)
	v_fma_mix_f32 v1, v4, v32, v1 op_sel_hi:[0,1,0]
	s_waitcnt vmcnt(19) lgkmcnt(0)
	v_fma_mix_f32 v5, v5, v33, v1 op_sel_hi:[0,1,0]
	ds_load_b128 v[1:4], v45 offset:704
	s_waitcnt vmcnt(18)
	v_fma_mix_f32 v5, v6, v34, v5 op_sel_hi:[0,1,0]
	s_waitcnt vmcnt(17)
	s_delay_alu instid0(VALU_DEP_1) | instskip(SKIP_1) | instid1(VALU_DEP_1)
	v_fma_mix_f32 v5, v7, v17, v5 op_sel_hi:[0,1,0]
	s_waitcnt vmcnt(16)
	v_fma_mix_f32 v9, v8, v18, v5 op_sel_hi:[0,1,0]
	ds_load_b128 v[5:8], v45 offset:720
	s_waitcnt vmcnt(15) lgkmcnt(1)
	v_fma_mix_f32 v1, v1, v19, v9 op_sel_hi:[0,1,0]
	s_waitcnt vmcnt(14)
	s_delay_alu instid0(VALU_DEP_1) | instskip(SKIP_1) | instid1(VALU_DEP_1)
	v_fma_mix_f32 v1, v2, v20, v1 op_sel_hi:[0,1,0]
	s_waitcnt vmcnt(13)
	v_fma_mix_f32 v1, v3, v35, v1 op_sel_hi:[0,1,0]
	s_waitcnt vmcnt(12)
	s_delay_alu instid0(VALU_DEP_1) | instskip(SKIP_1) | instid1(VALU_DEP_1)
	v_fma_mix_f32 v1, v4, v36, v1 op_sel_hi:[0,1,0]
	s_waitcnt vmcnt(11) lgkmcnt(0)
	v_fma_mix_f32 v5, v5, v37, v1 op_sel_hi:[0,1,0]
	ds_load_b128 v[1:4], v45 offset:736
	s_waitcnt vmcnt(10)
	v_fma_mix_f32 v5, v6, v15, v5 op_sel_hi:[0,1,0]
	s_waitcnt vmcnt(9)
	s_delay_alu instid0(VALU_DEP_1) | instskip(SKIP_1) | instid1(VALU_DEP_1)
	v_fma_mix_f32 v5, v7, v16, v5 op_sel_hi:[0,1,0]
	s_waitcnt vmcnt(8)
	v_fma_mix_f32 v9, v8, v38, v5 op_sel_hi:[0,1,0]
	ds_load_b128 v[5:8], v45 offset:752
	s_waitcnt vmcnt(7) lgkmcnt(1)
	v_fma_mix_f32 v1, v1, v39, v9 op_sel_hi:[0,1,0]
	s_waitcnt vmcnt(6)
	s_delay_alu instid0(VALU_DEP_1) | instskip(SKIP_1) | instid1(VALU_DEP_1)
	v_fma_mix_f32 v1, v2, v40, v1 op_sel_hi:[0,1,0]
	s_waitcnt vmcnt(5)
	v_fma_mix_f32 v1, v3, v13, v1 op_sel_hi:[0,1,0]
	s_waitcnt vmcnt(4)
	s_delay_alu instid0(VALU_DEP_1) | instskip(SKIP_1) | instid1(VALU_DEP_1)
	v_fma_mix_f32 v1, v4, v14, v1 op_sel_hi:[0,1,0]
	s_waitcnt vmcnt(3) lgkmcnt(0)
	v_fma_mix_f32 v1, v5, v41, v1 op_sel_hi:[0,1,0]
	s_waitcnt vmcnt(2)
	s_delay_alu instid0(VALU_DEP_1) | instskip(SKIP_1) | instid1(VALU_DEP_1)
	v_fma_mix_f32 v1, v6, v42, v1 op_sel_hi:[0,1,0]
	s_waitcnt vmcnt(1)
	v_fma_mix_f32 v1, v7, v43, v1 op_sel_hi:[0,1,0]
	s_waitcnt vmcnt(0)
	s_delay_alu instid0(VALU_DEP_1)
	v_fma_mix_f32 v4, v8, v44, v1 op_sel_hi:[0,1,0]
	v_mov_b32_e32 v1, 0
	s_and_not1_b32 vcc_lo, exec_lo, s15
	ds_load_b32 v1, v1 offset:768
	s_cbranch_vccz .LBB23_18
	s_branch .LBB23_19
	.section	.rodata,"a",@progbits
	.p2align	6, 0x0
	.amdhsa_kernel _Z35paged_attention_ll4mi_reduce_kernelIDF16_hLi64ELi64ELi256ELi6EEvPT0_PKfS3_PKT_PKiS8_iS3_
		.amdhsa_group_segment_fixed_size 772
		.amdhsa_private_segment_fixed_size 0
		.amdhsa_kernarg_size 320
		.amdhsa_user_sgpr_count 14
		.amdhsa_user_sgpr_dispatch_ptr 0
		.amdhsa_user_sgpr_queue_ptr 0
		.amdhsa_user_sgpr_kernarg_segment_ptr 1
		.amdhsa_user_sgpr_dispatch_id 0
		.amdhsa_user_sgpr_private_segment_size 0
		.amdhsa_wavefront_size32 1
		.amdhsa_uses_dynamic_stack 0
		.amdhsa_enable_private_segment 0
		.amdhsa_system_sgpr_workgroup_id_x 1
		.amdhsa_system_sgpr_workgroup_id_y 1
		.amdhsa_system_sgpr_workgroup_id_z 0
		.amdhsa_system_sgpr_workgroup_info 0
		.amdhsa_system_vgpr_workitem_id 0
		.amdhsa_next_free_vgpr 48
		.amdhsa_next_free_sgpr 52
		.amdhsa_reserve_vcc 1
		.amdhsa_float_round_mode_32 0
		.amdhsa_float_round_mode_16_64 0
		.amdhsa_float_denorm_mode_32 3
		.amdhsa_float_denorm_mode_16_64 3
		.amdhsa_dx10_clamp 1
		.amdhsa_ieee_mode 1
		.amdhsa_fp16_overflow 0
		.amdhsa_workgroup_processor_mode 1
		.amdhsa_memory_ordered 1
		.amdhsa_forward_progress 0
		.amdhsa_shared_vgpr_count 0
		.amdhsa_exception_fp_ieee_invalid_op 0
		.amdhsa_exception_fp_denorm_src 0
		.amdhsa_exception_fp_ieee_div_zero 0
		.amdhsa_exception_fp_ieee_overflow 0
		.amdhsa_exception_fp_ieee_underflow 0
		.amdhsa_exception_fp_ieee_inexact 0
		.amdhsa_exception_int_div_zero 0
	.end_amdhsa_kernel
	.section	.text._Z35paged_attention_ll4mi_reduce_kernelIDF16_hLi64ELi64ELi256ELi6EEvPT0_PKfS3_PKT_PKiS8_iS3_,"axG",@progbits,_Z35paged_attention_ll4mi_reduce_kernelIDF16_hLi64ELi64ELi256ELi6EEvPT0_PKfS3_PKT_PKiS8_iS3_,comdat
.Lfunc_end23:
	.size	_Z35paged_attention_ll4mi_reduce_kernelIDF16_hLi64ELi64ELi256ELi6EEvPT0_PKfS3_PKT_PKiS8_iS3_, .Lfunc_end23-_Z35paged_attention_ll4mi_reduce_kernelIDF16_hLi64ELi64ELi256ELi6EEvPT0_PKfS3_PKT_PKiS8_iS3_
                                        ; -- End function
	.section	.AMDGPU.csdata,"",@progbits
; Kernel info:
; codeLenInByte = 14000
; NumSgprs: 54
; NumVgprs: 48
; ScratchSize: 0
; MemoryBound: 0
; FloatMode: 240
; IeeeMode: 1
; LDSByteSize: 772 bytes/workgroup (compile time only)
; SGPRBlocks: 6
; VGPRBlocks: 5
; NumSGPRsForWavesPerEU: 54
; NumVGPRsForWavesPerEU: 48
; Occupancy: 16
; WaveLimiterHint : 0
; COMPUTE_PGM_RSRC2:SCRATCH_EN: 0
; COMPUTE_PGM_RSRC2:USER_SGPR: 14
; COMPUTE_PGM_RSRC2:TRAP_HANDLER: 0
; COMPUTE_PGM_RSRC2:TGID_X_EN: 1
; COMPUTE_PGM_RSRC2:TGID_Y_EN: 1
; COMPUTE_PGM_RSRC2:TGID_Z_EN: 0
; COMPUTE_PGM_RSRC2:TIDIG_COMP_CNT: 0
	.section	.text._Z35paged_attention_ll4mi_reduce_kernelIDF16_hLi64ELi64ELi256ELi7EEvPT0_PKfS3_PKT_PKiS8_iS3_,"axG",@progbits,_Z35paged_attention_ll4mi_reduce_kernelIDF16_hLi64ELi64ELi256ELi7EEvPT0_PKfS3_PKT_PKiS8_iS3_,comdat
	.protected	_Z35paged_attention_ll4mi_reduce_kernelIDF16_hLi64ELi64ELi256ELi7EEvPT0_PKfS3_PKT_PKiS8_iS3_ ; -- Begin function _Z35paged_attention_ll4mi_reduce_kernelIDF16_hLi64ELi64ELi256ELi7EEvPT0_PKfS3_PKT_PKiS8_iS3_
	.globl	_Z35paged_attention_ll4mi_reduce_kernelIDF16_hLi64ELi64ELi256ELi7EEvPT0_PKfS3_PKT_PKiS8_iS3_
	.p2align	8
	.type	_Z35paged_attention_ll4mi_reduce_kernelIDF16_hLi64ELi64ELi256ELi7EEvPT0_PKfS3_PKT_PKiS8_iS3_,@function
_Z35paged_attention_ll4mi_reduce_kernelIDF16_hLi64ELi64ELi256ELi7EEvPT0_PKfS3_PKT_PKiS8_iS3_: ; @_Z35paged_attention_ll4mi_reduce_kernelIDF16_hLi64ELi64ELi256ELi7EEvPT0_PKfS3_PKT_PKiS8_iS3_
; %bb.0:
	s_load_b64 s[12:13], s[0:1], 0x28
	s_mov_b32 s2, s15
	s_waitcnt lgkmcnt(0)
	s_cmp_lg_u64 s[12:13], 0
	s_cselect_b32 s15, -1, 0
	s_delay_alu instid0(SALU_CYCLE_1)
	s_and_b32 vcc_lo, exec_lo, s15
	s_cbranch_vccz .LBB24_20
; %bb.1:
	s_add_i32 s4, s2, 1
	s_mov_b32 s5, 0
	s_delay_alu instid0(SALU_CYCLE_1) | instskip(SKIP_4) | instid1(SALU_CYCLE_1)
	s_lshl_b64 s[6:7], s[4:5], 2
	s_mov_b32 s3, s5
	s_add_u32 s6, s12, s6
	s_addc_u32 s7, s13, s7
	s_lshl_b64 s[8:9], s[2:3], 2
	s_add_u32 s8, s12, s8
	s_addc_u32 s9, s13, s9
	s_clause 0x1
	s_load_b32 s4, s[6:7], 0x0
	s_load_b32 s6, s[8:9], 0x0
	s_waitcnt lgkmcnt(0)
	s_sub_i32 s4, s4, s6
	s_delay_alu instid0(SALU_CYCLE_1)
	s_cmp_eq_u32 s4, 1
	s_cselect_b32 s4, -1, 0
	s_cbranch_execnz .LBB24_3
.LBB24_2:
	s_mov_b32 s3, 0
	s_mov_b32 s4, -1
.LBB24_3:
	s_delay_alu instid0(SALU_CYCLE_1)
	s_and_not1_b32 vcc_lo, exec_lo, s4
	s_cbranch_vccz .LBB24_5
; %bb.4:
	s_endpgm
.LBB24_5:
	s_clause 0x1
	s_load_b128 s[4:7], s[0:1], 0x18
	s_load_b32 s9, s[0:1], 0x30
	s_lshl_b64 s[16:17], s[2:3], 2
	s_waitcnt lgkmcnt(0)
	s_add_u32 s6, s6, s16
	s_addc_u32 s7, s7, s17
	s_load_b32 s23, s[6:7], 0x0
	s_load_b32 s33, s[0:1], 0x40
	s_mul_i32 s7, s2, s9
	s_waitcnt lgkmcnt(0)
	s_add_i32 s22, s23, 0xff
	s_delay_alu instid0(SALU_CYCLE_1) | instskip(NEXT) | instid1(SALU_CYCLE_1)
	s_ashr_i32 s6, s22, 31
	s_lshr_b32 s6, s6, 24
	s_delay_alu instid0(SALU_CYCLE_1) | instskip(SKIP_4) | instid1(SALU_CYCLE_1)
	s_add_i32 s8, s22, s6
	s_mul_i32 s6, s14, s9
	s_mov_b32 s9, exec_lo
	v_cmpx_lt_u32_e32 31, v0
	s_xor_b32 s9, exec_lo, s9
	s_or_saveexec_b32 s24, s9
	v_mov_b32_e32 v1, s6
	s_ashr_i32 s40, s8, 8
	s_mul_i32 s18, s7, s33
	s_xor_b32 exec_lo, exec_lo, s24
	s_cbranch_execz .LBB24_9
; %bb.6:
	v_or_b32_e32 v2, 32, v0
	v_cmp_gt_i32_e32 vcc_lo, s40, v0
	s_add_i32 s20, s40, -1
	v_or_b32_e32 v4, 64, v0
	v_or_b32_e32 v6, 0xa0, v0
	s_load_b128 s[8:11], s[0:1], 0x8
	v_cndmask_b32_e32 v1, s20, v0, vcc_lo
	v_cmp_gt_i32_e32 vcc_lo, s40, v2
	s_mov_b32 s19, 0
	s_delay_alu instid0(SALU_CYCLE_1)
	s_mov_b32 s7, s19
	v_cndmask_b32_e32 v3, s20, v2, vcc_lo
	v_or_b32_e32 v2, 0x60, v0
	v_cmp_gt_i32_e32 vcc_lo, s40, v4
	v_cndmask_b32_e32 v5, s20, v4, vcc_lo
	v_or_b32_e32 v4, 0x80, v0
	s_delay_alu instid0(VALU_DEP_4) | instskip(SKIP_1) | instid1(VALU_DEP_3)
	v_cmp_gt_i32_e32 vcc_lo, s40, v2
	v_cndmask_b32_e32 v7, s20, v2, vcc_lo
	v_cmp_gt_i32_e32 vcc_lo, s40, v4
	v_or_b32_e32 v2, 0xc0, v0
	s_delay_alu instid0(VALU_DEP_3) | instskip(SKIP_3) | instid1(VALU_DEP_4)
	v_ashrrev_i32_e32 v8, 31, v7
	v_cndmask_b32_e32 v9, s20, v4, vcc_lo
	v_cmp_gt_i32_e32 vcc_lo, s40, v6
	v_ashrrev_i32_e32 v4, 31, v3
	v_lshlrev_b64 v[7:8], 2, v[7:8]
	s_delay_alu instid0(VALU_DEP_4)
	v_ashrrev_i32_e32 v10, 31, v9
	v_cndmask_b32_e32 v11, s20, v6, vcc_lo
	v_cmp_gt_i32_e32 vcc_lo, s40, v2
	v_ashrrev_i32_e32 v6, 31, v5
	v_lshlrev_b64 v[3:4], 2, v[3:4]
	v_lshlrev_b64 v[9:10], 2, v[9:10]
	v_ashrrev_i32_e32 v12, 31, v11
	v_cndmask_b32_e32 v13, s20, v2, vcc_lo
	v_ashrrev_i32_e32 v2, 31, v1
	s_lshl_b64 s[20:21], s[18:19], 2
	v_lshlrev_b64 v[5:6], 2, v[5:6]
	s_waitcnt lgkmcnt(0)
	s_add_u32 s19, s10, s20
	s_addc_u32 s25, s11, s21
	v_lshlrev_b64 v[1:2], 2, v[1:2]
	s_lshl_b64 s[10:11], s[6:7], 2
	v_lshlrev_b64 v[11:12], 2, v[11:12]
	s_add_u32 s7, s19, s10
	s_addc_u32 s19, s25, s11
	s_delay_alu instid0(VALU_DEP_2)
	v_add_co_u32 v14, vcc_lo, s7, v1
	v_add_co_ci_u32_e32 v15, vcc_lo, s19, v2, vcc_lo
	v_add_co_u32 v16, vcc_lo, s7, v3
	v_add_co_ci_u32_e32 v17, vcc_lo, s19, v4, vcc_lo
	;; [unrolled: 2-line block ×3, first 2 shown]
	s_clause 0x2
	global_load_b32 v23, v[14:15], off
	global_load_b32 v24, v[16:17], off
	;; [unrolled: 1-line block ×3, first 2 shown]
	v_ashrrev_i32_e32 v14, 31, v13
	v_add_co_u32 v15, vcc_lo, s7, v7
	v_add_co_ci_u32_e32 v16, vcc_lo, s19, v8, vcc_lo
	v_add_co_u32 v17, vcc_lo, s7, v9
	s_delay_alu instid0(VALU_DEP_4) | instskip(SKIP_3) | instid1(VALU_DEP_4)
	v_lshlrev_b64 v[13:14], 2, v[13:14]
	v_add_co_ci_u32_e32 v18, vcc_lo, s19, v10, vcc_lo
	v_add_co_u32 v19, vcc_lo, s7, v11
	v_add_co_ci_u32_e32 v20, vcc_lo, s19, v12, vcc_lo
	v_add_co_u32 v21, vcc_lo, s7, v13
	v_add_co_ci_u32_e32 v22, vcc_lo, s19, v14, vcc_lo
	s_clause 0x3
	global_load_b32 v15, v[15:16], off
	global_load_b32 v16, v[17:18], off
	;; [unrolled: 1-line block ×4, first 2 shown]
	s_add_u32 s7, s8, s20
	s_addc_u32 s8, s9, s21
	s_add_u32 s7, s7, s10
	s_addc_u32 s8, s8, s11
	v_add_co_u32 v1, vcc_lo, s7, v1
	v_add_co_ci_u32_e32 v2, vcc_lo, s8, v2, vcc_lo
	v_add_co_u32 v3, vcc_lo, s7, v3
	v_add_co_ci_u32_e32 v4, vcc_lo, s8, v4, vcc_lo
	;; [unrolled: 2-line block ×5, first 2 shown]
	s_clause 0x4
	global_load_b32 v19, v[1:2], off
	global_load_b32 v3, v[3:4], off
	;; [unrolled: 1-line block ×5, first 2 shown]
	v_add_co_u32 v1, vcc_lo, s7, v11
	v_add_co_ci_u32_e32 v2, vcc_lo, s8, v12, vcc_lo
	global_load_b32 v7, v[1:2], off
	v_add_co_u32 v1, vcc_lo, s7, v13
	v_add_co_ci_u32_e32 v2, vcc_lo, s8, v14, vcc_lo
	s_mov_b32 s7, exec_lo
	global_load_b32 v1, v[1:2], off
	v_mbcnt_lo_u32_b32 v2, -1, 0
	s_delay_alu instid0(VALU_DEP_1)
	v_xor_b32_e32 v8, 16, v2
	v_xor_b32_e32 v11, 8, v2
	;; [unrolled: 1-line block ×5, first 2 shown]
	v_cmp_gt_i32_e32 vcc_lo, 32, v8
	v_cndmask_b32_e32 v8, v2, v8, vcc_lo
	v_cmp_gt_i32_e32 vcc_lo, 32, v11
	v_cndmask_b32_e32 v11, v2, v11, vcc_lo
	;; [unrolled: 2-line block ×4, first 2 shown]
	v_cmp_gt_i32_e32 vcc_lo, 32, v14
	s_delay_alu instid0(VALU_DEP_2) | instskip(NEXT) | instid1(VALU_DEP_1)
	v_dual_cndmask_b32 v2, v2, v14 :: v_dual_lshlrev_b32 v13, 2, v13
	v_lshlrev_b32_e32 v2, 2, v2
	v_lshlrev_b32_e32 v11, 2, v11
	;; [unrolled: 1-line block ×3, first 2 shown]
	s_waitcnt vmcnt(11)
	v_max3_f32 v9, v23, v24, v25
	s_waitcnt vmcnt(9)
	s_delay_alu instid0(VALU_DEP_1) | instskip(SKIP_1) | instid1(VALU_DEP_1)
	v_max3_f32 v9, v9, v15, v16
	s_waitcnt vmcnt(7)
	v_max3_f32 v9, v9, v17, v18
	ds_bpermute_b32 v10, v8, v9
	s_waitcnt lgkmcnt(0)
	v_max_f32_e32 v10, v10, v10
	s_delay_alu instid0(VALU_DEP_1) | instskip(SKIP_3) | instid1(VALU_DEP_1)
	v_max_f32_e32 v9, v9, v10
	ds_bpermute_b32 v10, v11, v9
	s_waitcnt lgkmcnt(0)
	v_max_f32_e32 v10, v10, v10
	v_dual_max_f32 v9, v9, v10 :: v_dual_lshlrev_b32 v12, 2, v12
	ds_bpermute_b32 v10, v12, v9
	s_waitcnt lgkmcnt(0)
	v_max_f32_e32 v10, v10, v10
	s_delay_alu instid0(VALU_DEP_1) | instskip(SKIP_3) | instid1(VALU_DEP_1)
	v_max_f32_e32 v9, v9, v10
	ds_bpermute_b32 v10, v13, v9
	s_waitcnt lgkmcnt(0)
	v_max_f32_e32 v10, v10, v10
	v_max_f32_e32 v9, v9, v10
	ds_bpermute_b32 v10, v2, v9
	s_waitcnt lgkmcnt(0)
	v_max_f32_e32 v10, v10, v10
	s_delay_alu instid0(VALU_DEP_1) | instskip(SKIP_1) | instid1(VALU_DEP_2)
	v_max_f32_e32 v9, v9, v10
	v_sub_nc_u32_e32 v10, s40, v0
	v_sub_f32_e32 v20, v24, v9
	v_sub_f32_e32 v21, v25, v9
	;; [unrolled: 1-line block ×4, first 2 shown]
	s_delay_alu instid0(VALU_DEP_4) | instskip(NEXT) | instid1(VALU_DEP_3)
	v_dual_sub_f32 v17, v17, v9 :: v_dual_mul_f32 v22, 0x3fb8aa3b, v20
	v_mul_f32_e32 v24, 0x3fb8aa3b, v15
	s_delay_alu instid0(VALU_DEP_3) | instskip(NEXT) | instid1(VALU_DEP_3)
	v_cmp_ngt_f32_e32 vcc_lo, 0xc2ce8ed0, v14
	v_rndne_f32_e32 v31, v22
	v_mul_f32_e32 v23, 0x3fb8aa3b, v21
	v_fma_f32 v30, 0x3fb8aa3b, v20, -v22
	v_fma_f32 v34, 0x3fb8aa3b, v15, -v24
	v_rndne_f32_e32 v35, v24
	v_sub_f32_e32 v22, v22, v31
	v_fma_f32 v32, 0x3fb8aa3b, v21, -v23
	v_rndne_f32_e32 v33, v23
	v_fmac_f32_e32 v34, 0x32a5705f, v15
	v_sub_f32_e32 v24, v24, v35
	v_fmac_f32_e32 v30, 0x32a5705f, v20
	v_fmac_f32_e32 v32, 0x32a5705f, v21
	v_sub_f32_e32 v23, v23, v33
	v_sub_f32_e32 v16, v16, v9
	v_dual_sub_f32 v9, v18, v9 :: v_dual_mul_f32 v18, 0x3fb8aa3b, v14
	v_cvt_i32_f32_e32 v31, v31
	s_delay_alu instid0(VALU_DEP_4) | instskip(NEXT) | instid1(VALU_DEP_4)
	v_add_f32_e32 v23, v23, v32
	v_dual_mul_f32 v25, 0x3fb8aa3b, v16 :: v_dual_add_f32 v24, v24, v34
	s_delay_alu instid0(VALU_DEP_4) | instskip(SKIP_1) | instid1(VALU_DEP_4)
	v_fma_f32 v28, 0x3fb8aa3b, v14, -v18
	v_rndne_f32_e32 v29, v18
	v_exp_f32_e32 v23, v23
	s_delay_alu instid0(VALU_DEP_3) | instskip(SKIP_4) | instid1(VALU_DEP_4)
	v_fma_f32 v36, 0x3fb8aa3b, v16, -v25
	v_rndne_f32_e32 v37, v25
	v_fmac_f32_e32 v28, 0x32a5705f, v14
	v_mul_f32_e32 v26, 0x3fb8aa3b, v17
	v_sub_f32_e32 v18, v18, v29
	v_dual_fmac_f32 v36, 0x32a5705f, v16 :: v_dual_sub_f32 v25, v25, v37
	v_cvt_i32_f32_e32 v29, v29
	s_delay_alu instid0(VALU_DEP_4)
	v_rndne_f32_e32 v39, v26
	v_mul_f32_e32 v27, 0x3fb8aa3b, v9
	v_fma_f32 v38, 0x3fb8aa3b, v17, -v26
	v_add_f32_e32 v25, v25, v36
	v_add_f32_e32 v18, v18, v28
	v_sub_f32_e32 v26, v26, v39
	v_rndne_f32_e32 v41, v27
	v_fma_f32 v40, 0x3fb8aa3b, v9, -v27
	v_exp_f32_e32 v25, v25
	v_cvt_i32_f32_e32 v28, v37
	v_exp_f32_e32 v18, v18
	v_sub_f32_e32 v27, v27, v41
	v_cvt_i32_f32_e32 v33, v33
	v_exp_f32_e32 v24, v24
	v_cvt_i32_f32_e32 v35, v35
	v_cvt_i32_f32_e32 v32, v41
	s_delay_alu instid0(VALU_DEP_3) | instskip(NEXT) | instid1(TRANS32_DEP_3)
	v_ldexp_f32 v23, v23, v33
	v_ldexp_f32 v25, v25, v28
	v_add_f32_e32 v22, v22, v30
	s_delay_alu instid0(TRANS32_DEP_2) | instskip(SKIP_1) | instid1(TRANS32_DEP_1)
	v_ldexp_f32 v18, v18, v29
	v_cvt_i32_f32_e32 v30, v39
	v_ldexp_f32 v24, v24, v35
	s_delay_alu instid0(VALU_DEP_4) | instskip(NEXT) | instid1(VALU_DEP_3)
	v_exp_f32_e32 v22, v22
	v_cndmask_b32_e32 v18, 0, v18, vcc_lo
	v_cmp_ngt_f32_e32 vcc_lo, 0xc2ce8ed0, v20
	s_waitcnt_depctr 0xfff
	v_ldexp_f32 v22, v22, v31
	s_delay_alu instid0(VALU_DEP_1) | instskip(SKIP_3) | instid1(VALU_DEP_2)
	v_cndmask_b32_e32 v22, 0, v22, vcc_lo
	v_cmp_ngt_f32_e32 vcc_lo, 0xc2ce8ed0, v21
	v_dual_fmac_f32 v40, 0x32a5705f, v9 :: v_dual_cndmask_b32 v23, 0, v23
	v_cmp_ngt_f32_e32 vcc_lo, 0xc2ce8ed0, v15
	v_dual_fmac_f32 v38, 0x32a5705f, v17 :: v_dual_add_f32 v27, v27, v40
	v_cndmask_b32_e32 v24, 0, v24, vcc_lo
	v_cmp_ngt_f32_e32 vcc_lo, 0xc2ce8ed0, v16
	s_delay_alu instid0(VALU_DEP_3)
	v_exp_f32_e32 v27, v27
	v_cndmask_b32_e32 v25, 0, v25, vcc_lo
	v_cmp_nlt_f32_e32 vcc_lo, 0x42b17218, v14
	v_cndmask_b32_e32 v14, 0x7f800000, v18, vcc_lo
	v_cmp_nlt_f32_e32 vcc_lo, 0x42b17218, v20
	;; [unrolled: 2-line block ×4, first 2 shown]
	v_dual_add_f32 v26, v26, v38 :: v_dual_cndmask_b32 v15, 0x7f800000, v24
	v_cmp_nlt_f32_e32 vcc_lo, 0x42b17218, v16
	s_delay_alu instid0(VALU_DEP_2)
	v_exp_f32_e32 v26, v26
	v_cndmask_b32_e32 v16, 0x7f800000, v25, vcc_lo
	v_cmp_lt_i32_e32 vcc_lo, 0, v10
	v_cndmask_b32_e32 v14, 0, v14, vcc_lo
	v_cmp_lt_i32_e32 vcc_lo, 32, v10
	s_waitcnt_depctr 0xfff
	v_ldexp_f32 v26, v26, v30
	v_cndmask_b32_e32 v18, 0, v18, vcc_lo
	v_cmp_lt_i32_e32 vcc_lo, 64, v10
	v_cndmask_b32_e32 v20, 0, v20, vcc_lo
	v_cmp_lt_i32_e32 vcc_lo, 0x60, v10
	;; [unrolled: 2-line block ×3, first 2 shown]
	s_waitcnt vmcnt(3)
	s_delay_alu instid0(VALU_DEP_2) | instskip(SKIP_2) | instid1(VALU_DEP_2)
	v_dual_mul_f32 v5, v5, v15 :: v_dual_cndmask_b32 v16, 0, v16
	v_cmp_ngt_f32_e32 vcc_lo, 0xc2ce8ed0, v17
	s_waitcnt vmcnt(2)
	v_dual_mul_f32 v6, v6, v16 :: v_dual_cndmask_b32 v15, 0, v26
	v_cmp_nlt_f32_e32 vcc_lo, 0x42b17218, v17
	v_mul_f32_e32 v4, v4, v20
	v_ldexp_f32 v16, v27, v32
	s_delay_alu instid0(VALU_DEP_4) | instskip(SKIP_1) | instid1(VALU_DEP_3)
	v_cndmask_b32_e32 v15, 0x7f800000, v15, vcc_lo
	v_cmp_ngt_f32_e32 vcc_lo, 0xc2ce8ed0, v9
	v_cndmask_b32_e32 v16, 0, v16, vcc_lo
	v_cmp_lt_i32_e32 vcc_lo, 0xa0, v10
	s_delay_alu instid0(VALU_DEP_4) | instskip(SKIP_3) | instid1(VALU_DEP_3)
	v_cndmask_b32_e32 v15, 0, v15, vcc_lo
	v_cmp_nlt_f32_e32 vcc_lo, 0x42b17218, v9
	v_mul_f32_e32 v14, v19, v14
	s_waitcnt vmcnt(1)
	v_mul_f32_e32 v7, v7, v15
	v_cndmask_b32_e32 v9, 0x7f800000, v16, vcc_lo
	v_cmp_lt_i32_e32 vcc_lo, 0xc0, v10
	s_delay_alu instid0(VALU_DEP_2) | instskip(SKIP_2) | instid1(VALU_DEP_1)
	v_cndmask_b32_e32 v9, 0, v9, vcc_lo
	v_mul_f32_e32 v3, v3, v18
	s_waitcnt vmcnt(0)
	v_dual_mul_f32 v9, v1, v9 :: v_dual_add_f32 v18, v14, v3
	s_delay_alu instid0(VALU_DEP_1) | instskip(NEXT) | instid1(VALU_DEP_1)
	v_add_f32_e32 v17, v18, v4
	v_add_f32_e32 v16, v17, v5
	s_delay_alu instid0(VALU_DEP_1) | instskip(NEXT) | instid1(VALU_DEP_1)
	v_add_f32_e32 v10, v16, v6
	v_add_f32_e32 v1, v10, v7
	s_delay_alu instid0(VALU_DEP_1)
	v_add_f32_e32 v1, v1, v9
	ds_bpermute_b32 v8, v8, v1
	s_waitcnt lgkmcnt(0)
	v_add_f32_e32 v1, v1, v8
	ds_bpermute_b32 v8, v11, v1
	s_waitcnt lgkmcnt(0)
	;; [unrolled: 3-line block ×4, first 2 shown]
	v_add_f32_e32 v1, v1, v8
	v_lshlrev_b32_e32 v8, 2, v0
	ds_store_2addr_b32 v8, v14, v3 offset1:32
	ds_store_2addr_b32 v8, v4, v5 offset0:64 offset1:96
	ds_store_2addr_b32 v8, v6, v7 offset0:128 offset1:160
	ds_store_b32 v8, v9 offset:768
	ds_bpermute_b32 v2, v2, v1
	v_cmpx_eq_u32_e32 0, v0
	s_cbranch_execz .LBB24_8
; %bb.7:
	s_waitcnt lgkmcnt(0)
	v_dual_add_f32 v1, v1, v2 :: v_dual_mov_b32 v2, 0
	ds_store_b32 v2, v1 offset:896
.LBB24_8:
	s_or_b32 exec_lo, exec_lo, s7
	v_mov_b32_e32 v1, s6
.LBB24_9:
	s_or_b32 exec_lo, exec_lo, s24
	s_lshl_b32 s6, s18, 6
	s_mov_b32 s7, 0
	s_waitcnt lgkmcnt(0)
	v_dual_mov_b32 v2, 0 :: v_dual_lshlrev_b32 v1, 6, v1
	s_lshl_b64 s[6:7], s[6:7], 1
	v_dual_mov_b32 v29, 0 :: v_dual_mov_b32 v30, 0
	s_add_u32 s34, s4, s6
	s_addc_u32 s35, s5, s7
	s_lshl_b32 s41, s40, 6
	v_lshlrev_b64 v[3:4], 1, v[1:2]
	s_sub_i32 s42, s41, 64
	s_cmpk_lt_i32 s22, 0x100
	v_lshlrev_b32_e32 v1, 1, v0
	s_cselect_b32 s4, s42, 0
	v_dual_mov_b32 v31, 0 :: v_dual_mov_b32 v32, 0
	s_ashr_i32 s5, s4, 31
	v_add_co_u32 v3, vcc_lo, s34, v3
	s_lshl_b64 s[4:5], s[4:5], 1
	s_cmpk_lt_i32 s22, 0x200
	v_add_co_ci_u32_e32 v4, vcc_lo, s35, v4, vcc_lo
	s_cselect_b32 s6, s42, 64
	v_add_co_u32 v1, vcc_lo, v3, v1
	s_ashr_i32 s7, s6, 31
	s_delay_alu instid0(VALU_DEP_2)
	v_add_co_ci_u32_e32 v3, vcc_lo, 0, v4, vcc_lo
	s_lshl_b64 s[6:7], s[6:7], 1
	s_cmpk_lt_i32 s22, 0x300
	v_add_co_u32 v4, vcc_lo, v1, s4
	s_cselect_b32 s8, s42, 0x80
	v_add_co_ci_u32_e32 v5, vcc_lo, s5, v3, vcc_lo
	s_ashr_i32 s9, s8, 31
	v_add_co_u32 v8, vcc_lo, v1, s6
	s_lshl_b64 s[8:9], s[8:9], 1
	s_cmpk_lt_i32 s22, 0x400
	v_add_co_ci_u32_e32 v9, vcc_lo, s7, v3, vcc_lo
	s_cselect_b32 s10, s42, 0xc0
	v_add_co_u32 v10, vcc_lo, v1, s8
	s_ashr_i32 s11, s10, 31
	v_add_co_ci_u32_e32 v11, vcc_lo, s9, v3, vcc_lo
	s_lshl_b64 s[10:11], s[10:11], 1
	s_cmpk_lt_i32 s22, 0x500
	v_add_co_u32 v12, vcc_lo, v1, s10
	s_cselect_b32 s18, s42, 0x100
	v_add_co_ci_u32_e32 v13, vcc_lo, s11, v3, vcc_lo
	s_ashr_i32 s19, s18, 31
	v_dual_mov_b32 v33, 0 :: v_dual_mov_b32 v34, 0
	s_lshl_b64 s[18:19], s[18:19], 1
	s_cmpk_lt_i32 s22, 0x600
	v_add_co_u32 v14, vcc_lo, v1, s18
	s_cselect_b32 s20, s42, 0x140
	v_add_co_ci_u32_e32 v15, vcc_lo, s19, v3, vcc_lo
	s_ashr_i32 s21, s20, 31
	v_mov_b32_e32 v35, 0
	s_lshl_b64 s[20:21], s[20:21], 1
	s_cmpk_lt_i32 s22, 0x700
	v_add_co_u32 v16, vcc_lo, v1, s20
	s_cselect_b32 s24, s42, 0x180
	v_add_co_ci_u32_e32 v17, vcc_lo, s21, v3, vcc_lo
	s_ashr_i32 s25, s24, 31
	s_delay_alu instid0(SALU_CYCLE_1)
	s_lshl_b64 s[24:25], s[24:25], 1
	s_cmpk_lt_i32 s22, 0x800
	v_add_co_u32 v18, vcc_lo, v1, s24
	s_cselect_b32 s26, s42, 0x1c0
	v_add_co_ci_u32_e32 v19, vcc_lo, s25, v3, vcc_lo
	s_ashr_i32 s27, s26, 31
	s_delay_alu instid0(SALU_CYCLE_1)
	s_lshl_b64 s[26:27], s[26:27], 1
	s_cmpk_lt_i32 s22, 0x900
	v_add_co_u32 v20, vcc_lo, v1, s26
	s_cselect_b32 s28, s42, 0x200
	v_add_co_ci_u32_e32 v21, vcc_lo, s27, v3, vcc_lo
	s_ashr_i32 s29, s28, 31
	s_clause 0x7
	global_load_u16 v7, v[4:5], off
	global_load_u16 v8, v[8:9], off
	;; [unrolled: 1-line block ×8, first 2 shown]
	s_lshl_b64 s[28:29], s[28:29], 1
	s_cmpk_lt_i32 s22, 0xa00
	v_add_co_u32 v12, vcc_lo, v1, s28
	s_cselect_b32 s30, s42, 0x240
	v_add_co_ci_u32_e32 v13, vcc_lo, s29, v3, vcc_lo
	s_ashr_i32 s31, s30, 31
	s_delay_alu instid0(SALU_CYCLE_1)
	s_lshl_b64 s[30:31], s[30:31], 1
	s_cmpk_lt_i32 s22, 0xb00
	v_add_co_u32 v15, vcc_lo, v1, s30
	s_cselect_b32 s34, s42, 0x280
	v_add_co_ci_u32_e32 v16, vcc_lo, s31, v3, vcc_lo
	s_ashr_i32 s35, s34, 31
	s_delay_alu instid0(SALU_CYCLE_1)
	;; [unrolled: 7-line block ×7, first 2 shown]
	s_lshl_b64 s[4:5], s[6:7], 1
	s_cmpk_gt_i32 s23, 0x1000
	v_add_co_u32 v27, vcc_lo, v1, s4
	v_add_co_ci_u32_e32 v28, vcc_lo, s5, v3, vcc_lo
	s_clause 0x7
	global_load_u16 v14, v[12:13], off
	global_load_u16 v15, v[15:16], off
	;; [unrolled: 1-line block ×8, first 2 shown]
	v_dual_mov_b32 v20, 0 :: v_dual_mov_b32 v21, 0
	v_dual_mov_b32 v22, 0 :: v_dual_mov_b32 v23, 0
	;; [unrolled: 1-line block ×4, first 2 shown]
	v_mov_b32_e32 v28, 0
	s_cselect_b32 s8, -1, 0
	s_cmpk_lt_i32 s23, 0x1001
	s_waitcnt vmcnt(0)
	s_barrier
	buffer_gl0_inv
	s_cbranch_scc1 .LBB24_11
; %bb.10:
	s_cmpk_lt_i32 s22, 0x1100
	s_cselect_b32 s4, s42, 0x400
	s_delay_alu instid0(SALU_CYCLE_1) | instskip(NEXT) | instid1(SALU_CYCLE_1)
	s_ashr_i32 s5, s4, 31
	s_lshl_b64 s[4:5], s[4:5], 1
	s_cmpk_lt_i32 s22, 0x1200
	v_add_co_u32 v20, vcc_lo, v1, s4
	s_cselect_b32 s6, s42, 0x440
	v_add_co_ci_u32_e32 v21, vcc_lo, s5, v3, vcc_lo
	s_ashr_i32 s7, s6, 31
	s_delay_alu instid0(SALU_CYCLE_1)
	s_lshl_b64 s[6:7], s[6:7], 1
	s_cmpk_lt_i32 s22, 0x1300
	v_add_co_u32 v22, vcc_lo, v1, s6
	s_cselect_b32 s10, s42, 0x480
	v_add_co_ci_u32_e32 v23, vcc_lo, s7, v3, vcc_lo
	s_ashr_i32 s11, s10, 31
	s_delay_alu instid0(SALU_CYCLE_1)
	;; [unrolled: 7-line block ×7, first 2 shown]
	s_lshl_b64 s[28:29], s[28:29], 1
	s_cmpk_lt_i32 s22, 0x1900
	v_add_co_u32 v34, vcc_lo, v1, s28
	s_cselect_b32 s30, s42, 0x600
	v_add_co_ci_u32_e32 v35, vcc_lo, s29, v3, vcc_lo
	s_ashr_i32 s31, s30, 31
	s_clause 0x7
	global_load_u16 v36, v[20:21], off
	global_load_u16 v37, v[22:23], off
	;; [unrolled: 1-line block ×8, first 2 shown]
	s_lshl_b64 s[30:31], s[30:31], 1
	s_cmpk_lt_i32 s22, 0x1a00
	v_add_co_u32 v20, vcc_lo, v1, s30
	s_cselect_b32 s34, s42, 0x640
	v_add_co_ci_u32_e32 v21, vcc_lo, s31, v3, vcc_lo
	s_ashr_i32 s35, s34, 31
	s_delay_alu instid0(SALU_CYCLE_1)
	s_lshl_b64 s[34:35], s[34:35], 1
	s_cmpk_lt_i32 s22, 0x1b00
	v_add_co_u32 v22, vcc_lo, v1, s34
	s_cselect_b32 s36, s42, 0x680
	v_add_co_ci_u32_e32 v23, vcc_lo, s35, v3, vcc_lo
	s_ashr_i32 s37, s36, 31
	s_delay_alu instid0(SALU_CYCLE_1)
	;; [unrolled: 7-line block ×6, first 2 shown]
	s_lshl_b64 s[4:5], s[20:21], 1
	s_cmpk_lt_i32 s22, 0x2000
	v_add_co_u32 v32, vcc_lo, v1, s4
	s_cselect_b32 s6, s42, 0x7c0
	v_add_co_ci_u32_e32 v33, vcc_lo, s5, v3, vcc_lo
	s_ashr_i32 s7, s6, 31
	s_delay_alu instid0(SALU_CYCLE_1) | instskip(NEXT) | instid1(SALU_CYCLE_1)
	s_lshl_b64 s[4:5], s[6:7], 1
	v_add_co_u32 v34, vcc_lo, v1, s4
	v_add_co_ci_u32_e32 v35, vcc_lo, s5, v3, vcc_lo
	s_clause 0x7
	global_load_u16 v20, v[20:21], off
	global_load_u16 v21, v[22:23], off
	;; [unrolled: 1-line block ×8, first 2 shown]
	s_waitcnt vmcnt(15)
	v_cvt_f32_f16_e32 v35, v36
	s_waitcnt vmcnt(14)
	v_cvt_f32_f16_e32 v34, v37
	;; [unrolled: 2-line block ×16, first 2 shown]
.LBB24_11:
	ds_load_b128 v[36:39], v2
	ds_load_b128 v[40:43], v2 offset:16
	s_load_b64 s[0:1], s[0:1], 0x0
	s_and_b32 vcc_lo, exec_lo, s8
	s_waitcnt lgkmcnt(0)
	v_fma_mix_f32 v7, v36, v7, 0 op_sel_hi:[0,1,0]
	s_delay_alu instid0(VALU_DEP_1) | instskip(NEXT) | instid1(VALU_DEP_1)
	v_fma_mix_f32 v7, v37, v8, v7 op_sel_hi:[0,1,0]
	v_fma_mix_f32 v7, v38, v9, v7 op_sel_hi:[0,1,0]
	s_delay_alu instid0(VALU_DEP_1) | instskip(SKIP_4) | instid1(VALU_DEP_1)
	v_fma_mix_f32 v7, v39, v10, v7 op_sel_hi:[0,1,0]
	ds_load_b128 v[36:39], v2 offset:48
	v_fma_mix_f32 v11, v40, v11, v7 op_sel_hi:[0,1,0]
	ds_load_b128 v[7:10], v2 offset:32
	v_fma_mix_f32 v4, v41, v4, v11 op_sel_hi:[0,1,0]
	v_fma_mix_f32 v4, v42, v5, v4 op_sel_hi:[0,1,0]
	s_delay_alu instid0(VALU_DEP_1) | instskip(SKIP_1) | instid1(VALU_DEP_1)
	v_fma_mix_f32 v4, v43, v6, v4 op_sel_hi:[0,1,0]
	s_waitcnt lgkmcnt(0)
	v_fma_mix_f32 v4, v7, v14, v4 op_sel_hi:[0,1,0]
	s_delay_alu instid0(VALU_DEP_1) | instskip(NEXT) | instid1(VALU_DEP_1)
	v_fma_mix_f32 v4, v8, v15, v4 op_sel_hi:[0,1,0]
	v_fma_mix_f32 v4, v9, v16, v4 op_sel_hi:[0,1,0]
	s_delay_alu instid0(VALU_DEP_1) | instskip(NEXT) | instid1(VALU_DEP_1)
	v_fma_mix_f32 v4, v10, v17, v4 op_sel_hi:[0,1,0]
	;; [unrolled: 3-line block ×3, first 2 shown]
	v_fma_mix_f32 v4, v38, v13, v4 op_sel_hi:[0,1,0]
	s_delay_alu instid0(VALU_DEP_1)
	v_fma_mix_f32 v4, v39, v19, v4 op_sel_hi:[0,1,0]
	s_cbranch_vccz .LBB24_13
; %bb.12:
	ds_load_b128 v[5:8], v2 offset:64
	ds_load_b128 v[9:12], v2 offset:80
	s_waitcnt lgkmcnt(1)
	v_fmac_f32_e32 v4, v5, v35
	s_delay_alu instid0(VALU_DEP_1) | instskip(NEXT) | instid1(VALU_DEP_1)
	v_fmac_f32_e32 v4, v6, v34
	v_fmac_f32_e32 v4, v7, v33
	s_delay_alu instid0(VALU_DEP_1) | instskip(SKIP_3) | instid1(VALU_DEP_1)
	v_fmac_f32_e32 v4, v8, v32
	ds_load_b128 v[5:8], v2 offset:96
	s_waitcnt lgkmcnt(1)
	v_fmac_f32_e32 v4, v9, v31
	v_fmac_f32_e32 v4, v10, v30
	s_delay_alu instid0(VALU_DEP_1) | instskip(NEXT) | instid1(VALU_DEP_1)
	v_fmac_f32_e32 v4, v11, v29
	v_fmac_f32_e32 v4, v12, v28
	ds_load_b128 v[9:12], v2 offset:112
	s_waitcnt lgkmcnt(1)
	v_fmac_f32_e32 v4, v5, v27
	s_delay_alu instid0(VALU_DEP_1) | instskip(NEXT) | instid1(VALU_DEP_1)
	v_fmac_f32_e32 v4, v6, v26
	v_fmac_f32_e32 v4, v7, v25
	s_delay_alu instid0(VALU_DEP_1) | instskip(SKIP_1) | instid1(VALU_DEP_1)
	v_fmac_f32_e32 v4, v8, v24
	s_waitcnt lgkmcnt(0)
	v_fmac_f32_e32 v4, v9, v23
	s_delay_alu instid0(VALU_DEP_1) | instskip(NEXT) | instid1(VALU_DEP_1)
	v_fmac_f32_e32 v4, v10, v22
	v_fmac_f32_e32 v4, v11, v21
	s_delay_alu instid0(VALU_DEP_1)
	v_fmac_f32_e32 v4, v12, v20
.LBB24_13:
	s_movk_i32 s43, 0xfc0
	s_movk_i32 s44, 0x80
	s_mov_b32 s45, 32
	s_branch .LBB24_15
.LBB24_14:                              ;   in Loop: Header=BB24_15 Depth=1
	s_addk_i32 s43, 0x800
	s_addk_i32 s44, 0x80
	s_add_i32 s45, s45, 32
	s_cmpk_eq_i32 s43, 0x3fc0
	s_cbranch_scc1 .LBB24_17
.LBB24_15:                              ; =>This Inner Loop Header: Depth=1
	s_cmp_le_i32 s40, s45
	s_cbranch_scc1 .LBB24_14
; %bb.16:                               ;   in Loop: Header=BB24_15 Depth=1
	s_add_i32 s4, s43, 0xfffff840
	v_mov_b32_e32 v44, s44
	s_cmp_lt_i32 s4, s41
	s_cselect_b32 s4, s4, s42
	s_add_i32 s6, s43, 0xfffff880
	s_ashr_i32 s5, s4, 31
	s_delay_alu instid0(SALU_CYCLE_1)
	s_lshl_b64 s[4:5], s[4:5], 1
	s_cmp_lt_i32 s6, s41
	v_add_co_u32 v5, vcc_lo, v1, s4
	s_cselect_b32 s6, s6, s42
	s_add_i32 s10, s43, 0xfffff8c0
	s_ashr_i32 s7, s6, 31
	v_add_co_ci_u32_e32 v6, vcc_lo, s5, v3, vcc_lo
	s_lshl_b64 s[8:9], s[6:7], 1
	s_cmp_lt_i32 s10, s41
	v_add_co_u32 v7, vcc_lo, v1, s8
	s_cselect_b32 s6, s10, s42
	s_add_i32 s10, s43, 0xfffff900
	s_ashr_i32 s7, s6, 31
	v_add_co_ci_u32_e32 v8, vcc_lo, s9, v3, vcc_lo
	;; [unrolled: 7-line block ×8, first 2 shown]
	s_lshl_b64 s[24:25], s[20:21], 1
	s_cmp_lt_i32 s28, s41
	s_clause 0x7
	global_load_u16 v2, v[5:6], off
	global_load_u16 v21, v[7:8], off
	;; [unrolled: 1-line block ×8, first 2 shown]
	s_cselect_b32 s20, s28, s42
	s_add_i32 s28, s43, 0xfffffac0
	s_ashr_i32 s21, s20, 31
	v_add_co_u32 v5, vcc_lo, v1, s24
	s_lshl_b64 s[20:21], s[20:21], 1
	s_cmp_lt_i32 s28, s41
	v_add_co_ci_u32_e32 v6, vcc_lo, s25, v3, vcc_lo
	s_cselect_b32 s28, s28, s42
	s_add_i32 s36, s43, 0xfffffb00
	s_ashr_i32 s29, s28, 31
	v_add_co_u32 v7, vcc_lo, v1, s20
	s_lshl_b64 s[30:31], s[28:29], 1
	s_cmp_lt_i32 s36, s41
	v_add_co_ci_u32_e32 v8, vcc_lo, s21, v3, vcc_lo
	;; [unrolled: 7-line block ×8, first 2 shown]
	s_cselect_b32 s10, s10, s42
	s_add_i32 s18, s43, 0xfffffcc0
	s_ashr_i32 s11, s10, 31
	s_clause 0x7
	global_load_u16 v28, v[5:6], off
	global_load_u16 v29, v[7:8], off
	;; [unrolled: 1-line block ×8, first 2 shown]
	s_lshl_b64 s[10:11], s[10:11], 1
	s_cmp_lt_i32 s18, s41
	v_add_co_u32 v5, vcc_lo, v1, s4
	s_cselect_b32 s18, s18, s42
	s_add_i32 s22, s43, 0xfffffd00
	s_ashr_i32 s19, s18, 31
	v_add_co_ci_u32_e32 v6, vcc_lo, s5, v3, vcc_lo
	s_lshl_b64 s[18:19], s[18:19], 1
	s_cmp_lt_i32 s22, s41
	v_add_co_u32 v7, vcc_lo, v1, s10
	s_cselect_b32 s20, s22, s42
	s_add_i32 s22, s43, 0xfffffd40
	s_ashr_i32 s21, s20, 31
	v_add_co_ci_u32_e32 v8, vcc_lo, s11, v3, vcc_lo
	s_lshl_b64 s[20:21], s[20:21], 1
	s_cmp_lt_i32 s22, s41
	v_add_co_u32 v9, vcc_lo, v1, s18
	s_cselect_b32 s22, s22, s42
	s_add_i32 s24, s43, 0xfffffd80
	s_ashr_i32 s23, s22, 31
	v_add_co_ci_u32_e32 v10, vcc_lo, s19, v3, vcc_lo
	s_lshl_b64 s[22:23], s[22:23], 1
	s_cmp_lt_i32 s24, s41
	v_add_co_u32 v11, vcc_lo, v1, s20
	s_cselect_b32 s24, s24, s42
	s_add_i32 s26, s43, 0xfffffdc0
	s_ashr_i32 s25, s24, 31
	v_add_co_ci_u32_e32 v12, vcc_lo, s21, v3, vcc_lo
	s_lshl_b64 s[8:9], s[24:25], 1
	s_cmp_lt_i32 s26, s41
	v_add_co_u32 v13, vcc_lo, v1, s22
	s_cselect_b32 s6, s26, s42
	s_add_i32 s24, s43, 0xfffffe00
	s_ashr_i32 s7, s6, 31
	v_add_co_ci_u32_e32 v14, vcc_lo, s23, v3, vcc_lo
	s_lshl_b64 s[6:7], s[6:7], 1
	s_cmp_lt_i32 s24, s41
	s_clause 0x4
	global_load_u16 v19, v[5:6], off
	global_load_u16 v20, v[7:8], off
	;; [unrolled: 1-line block ×5, first 2 shown]
	s_cselect_b32 s4, s24, s42
	s_add_i32 s10, s43, 0xfffffe40
	s_ashr_i32 s5, s4, 31
	v_add_co_u32 v5, vcc_lo, v1, s8
	s_lshl_b64 s[4:5], s[4:5], 1
	s_cmp_lt_i32 s10, s41
	v_add_co_ci_u32_e32 v6, vcc_lo, s9, v3, vcc_lo
	s_cselect_b32 s10, s10, s42
	s_add_i32 s18, s43, 0xfffffe80
	s_ashr_i32 s11, s10, 31
	v_add_co_u32 v7, vcc_lo, v1, s6
	s_lshl_b64 s[10:11], s[10:11], 1
	s_cmp_lt_i32 s18, s41
	v_add_co_ci_u32_e32 v8, vcc_lo, s7, v3, vcc_lo
	s_cselect_b32 s18, s18, s42
	s_add_i32 s20, s43, 0xfffffec0
	s_ashr_i32 s19, s18, 31
	v_add_co_u32 v9, vcc_lo, v1, s4
	s_lshl_b64 s[18:19], s[18:19], 1
	s_cmp_lt_i32 s20, s41
	global_load_u16 v37, v[5:6], off
	s_cselect_b32 s8, s20, s42
	s_add_i32 s20, s43, 0xffffff00
	s_ashr_i32 s9, s8, 31
	v_add_co_ci_u32_e32 v10, vcc_lo, s5, v3, vcc_lo
	s_lshl_b64 s[6:7], s[8:9], 1
	s_cmp_lt_i32 s20, s41
	v_add_co_u32 v11, vcc_lo, v1, s10
	s_cselect_b32 s4, s20, s42
	s_clause 0x1
	global_load_u16 v38, v[7:8], off
	global_load_u16 v39, v[9:10], off
	v_add_co_ci_u32_e32 v12, vcc_lo, s11, v3, vcc_lo
	s_ashr_i32 s5, s4, 31
	s_add_i32 s8, s43, 0xffffff40
	v_add_co_u32 v13, vcc_lo, v1, s18
	s_lshl_b64 s[4:5], s[4:5], 1
	s_cmp_lt_i32 s8, s41
	v_add_co_ci_u32_e32 v14, vcc_lo, s19, v3, vcc_lo
	v_add_co_u32 v15, vcc_lo, v1, s6
	s_cselect_b32 s8, s8, s42
	v_add_co_ci_u32_e32 v16, vcc_lo, s7, v3, vcc_lo
	s_ashr_i32 s9, s8, 31
	s_add_i32 s10, s43, 0xffffff80
	s_lshl_b64 s[6:7], s[8:9], 1
	s_clause 0x2
	global_load_u16 v40, v[11:12], off
	global_load_u16 v13, v[13:14], off
	global_load_u16 v14, v[15:16], off
	s_cmp_lt_i32 s10, s41
	v_add_co_u32 v5, vcc_lo, v1, s4
	s_cselect_b32 s8, s10, s42
	s_sub_i32 s10, s43, 64
	s_ashr_i32 s9, s8, 31
	v_add_co_ci_u32_e32 v6, vcc_lo, s5, v3, vcc_lo
	s_lshl_b64 s[8:9], s[8:9], 1
	s_cmp_lt_i32 s10, s41
	v_add_co_u32 v7, vcc_lo, v1, s6
	s_cselect_b32 s4, s10, s42
	v_add_co_ci_u32_e32 v8, vcc_lo, s7, v3, vcc_lo
	s_ashr_i32 s5, s4, 31
	v_add_co_u32 v9, vcc_lo, v1, s8
	global_load_u16 v15, v[5:6], off
	s_lshl_b64 s[4:5], s[4:5], 1
	v_add_co_ci_u32_e32 v10, vcc_lo, s9, v3, vcc_lo
	s_cmp_lt_i32 s43, s41
	s_clause 0x1
	global_load_u16 v16, v[7:8], off
	global_load_u16 v41, v[9:10], off
	s_cselect_b32 s6, s43, s42
	v_add_co_u32 v5, vcc_lo, v1, s4
	s_ashr_i32 s7, s6, 31
	v_add_co_ci_u32_e32 v6, vcc_lo, s5, v3, vcc_lo
	s_lshl_b64 s[4:5], s[6:7], 1
	s_delay_alu instid0(SALU_CYCLE_1)
	v_add_co_u32 v7, vcc_lo, v1, s4
	v_add_co_ci_u32_e32 v8, vcc_lo, s5, v3, vcc_lo
	s_clause 0x1
	global_load_u16 v42, v[5:6], off
	global_load_u16 v43, v[7:8], off
	ds_load_b128 v[5:8], v44
	ds_load_b128 v[9:12], v44 offset:16
	s_waitcnt vmcnt(31) lgkmcnt(1)
	v_fma_mix_f32 v2, v5, v2, v4 op_sel_hi:[0,1,0]
	s_waitcnt vmcnt(30)
	s_delay_alu instid0(VALU_DEP_1) | instskip(SKIP_1) | instid1(VALU_DEP_1)
	v_fma_mix_f32 v2, v6, v21, v2 op_sel_hi:[0,1,0]
	s_waitcnt vmcnt(29)
	v_fma_mix_f32 v2, v7, v22, v2 op_sel_hi:[0,1,0]
	ds_load_b128 v[4:7], v44 offset:32
	s_waitcnt vmcnt(28)
	v_fma_mix_f32 v2, v8, v23, v2 op_sel_hi:[0,1,0]
	s_waitcnt vmcnt(27) lgkmcnt(1)
	s_delay_alu instid0(VALU_DEP_1) | instskip(SKIP_1) | instid1(VALU_DEP_1)
	v_fma_mix_f32 v2, v9, v24, v2 op_sel_hi:[0,1,0]
	s_waitcnt vmcnt(26)
	v_fma_mix_f32 v2, v10, v25, v2 op_sel_hi:[0,1,0]
	s_waitcnt vmcnt(25)
	s_delay_alu instid0(VALU_DEP_1) | instskip(SKIP_4) | instid1(VALU_DEP_1)
	v_fma_mix_f32 v2, v11, v26, v2 op_sel_hi:[0,1,0]
	ds_load_b128 v[8:11], v44 offset:48
	s_waitcnt vmcnt(24)
	v_fma_mix_f32 v2, v12, v27, v2 op_sel_hi:[0,1,0]
	s_waitcnt vmcnt(23) lgkmcnt(1)
	v_fma_mix_f32 v2, v4, v28, v2 op_sel_hi:[0,1,0]
	s_waitcnt vmcnt(22)
	s_delay_alu instid0(VALU_DEP_1) | instskip(SKIP_1) | instid1(VALU_DEP_1)
	v_fma_mix_f32 v2, v5, v29, v2 op_sel_hi:[0,1,0]
	s_waitcnt vmcnt(21)
	v_fma_mix_f32 v2, v6, v30, v2 op_sel_hi:[0,1,0]
	s_waitcnt vmcnt(20)
	s_delay_alu instid0(VALU_DEP_1) | instskip(SKIP_4) | instid1(VALU_DEP_1)
	v_fma_mix_f32 v2, v7, v31, v2 op_sel_hi:[0,1,0]
	ds_load_b128 v[4:7], v44 offset:64
	s_waitcnt vmcnt(19) lgkmcnt(1)
	v_fma_mix_f32 v2, v8, v32, v2 op_sel_hi:[0,1,0]
	s_waitcnt vmcnt(18)
	v_fma_mix_f32 v2, v9, v33, v2 op_sel_hi:[0,1,0]
	s_waitcnt vmcnt(17)
	s_delay_alu instid0(VALU_DEP_1) | instskip(SKIP_1) | instid1(VALU_DEP_1)
	v_fma_mix_f32 v2, v10, v17, v2 op_sel_hi:[0,1,0]
	s_waitcnt vmcnt(16)
	v_fma_mix_f32 v2, v11, v18, v2 op_sel_hi:[0,1,0]
	ds_load_b128 v[8:11], v44 offset:80
	s_waitcnt vmcnt(15) lgkmcnt(1)
	v_fma_mix_f32 v2, v4, v19, v2 op_sel_hi:[0,1,0]
	s_waitcnt vmcnt(14)
	s_delay_alu instid0(VALU_DEP_1) | instskip(SKIP_1) | instid1(VALU_DEP_1)
	v_fma_mix_f32 v2, v5, v20, v2 op_sel_hi:[0,1,0]
	s_waitcnt vmcnt(13)
	v_fma_mix_f32 v2, v6, v34, v2 op_sel_hi:[0,1,0]
	s_waitcnt vmcnt(12)
	s_delay_alu instid0(VALU_DEP_1) | instskip(SKIP_4) | instid1(VALU_DEP_1)
	v_fma_mix_f32 v2, v7, v35, v2 op_sel_hi:[0,1,0]
	ds_load_b128 v[4:7], v44 offset:96
	s_waitcnt vmcnt(11) lgkmcnt(1)
	v_fma_mix_f32 v2, v8, v36, v2 op_sel_hi:[0,1,0]
	s_waitcnt vmcnt(10)
	v_fma_mix_f32 v2, v9, v37, v2 op_sel_hi:[0,1,0]
	s_waitcnt vmcnt(9)
	s_delay_alu instid0(VALU_DEP_1) | instskip(SKIP_1) | instid1(VALU_DEP_1)
	v_fma_mix_f32 v2, v10, v38, v2 op_sel_hi:[0,1,0]
	s_waitcnt vmcnt(8)
	v_fma_mix_f32 v2, v11, v39, v2 op_sel_hi:[0,1,0]
	ds_load_b128 v[8:11], v44 offset:112
	s_waitcnt vmcnt(7) lgkmcnt(1)
	v_fma_mix_f32 v2, v4, v40, v2 op_sel_hi:[0,1,0]
	s_waitcnt vmcnt(6)
	s_delay_alu instid0(VALU_DEP_1) | instskip(SKIP_1) | instid1(VALU_DEP_1)
	v_fma_mix_f32 v2, v5, v13, v2 op_sel_hi:[0,1,0]
	s_waitcnt vmcnt(5)
	v_fma_mix_f32 v2, v6, v14, v2 op_sel_hi:[0,1,0]
	s_waitcnt vmcnt(4)
	s_delay_alu instid0(VALU_DEP_1) | instskip(SKIP_1) | instid1(VALU_DEP_1)
	v_fma_mix_f32 v2, v7, v15, v2 op_sel_hi:[0,1,0]
	s_waitcnt vmcnt(3) lgkmcnt(0)
	v_fma_mix_f32 v2, v8, v16, v2 op_sel_hi:[0,1,0]
	s_waitcnt vmcnt(2)
	s_delay_alu instid0(VALU_DEP_1) | instskip(SKIP_1) | instid1(VALU_DEP_1)
	v_fma_mix_f32 v2, v9, v41, v2 op_sel_hi:[0,1,0]
	s_waitcnt vmcnt(1)
	v_fma_mix_f32 v2, v10, v42, v2 op_sel_hi:[0,1,0]
	s_waitcnt vmcnt(0)
	s_delay_alu instid0(VALU_DEP_1)
	v_fma_mix_f32 v4, v11, v43, v2 op_sel_hi:[0,1,0]
	s_branch .LBB24_14
.LBB24_17:
	v_mov_b32_e32 v1, 0
	s_and_b32 vcc_lo, exec_lo, s15
	ds_load_b32 v1, v1 offset:896
	s_cbranch_vccz .LBB24_19
; %bb.18:
	s_add_u32 s2, s12, s16
	s_addc_u32 s3, s13, s17
	s_load_b32 s2, s[2:3], 0x0
	s_mov_b32 s3, 0
.LBB24_19:
	s_waitcnt lgkmcnt(0)
	v_add_f32_e32 v1, 0x358637bd, v1
	s_mul_i32 s3, s33, s3
	s_mul_hi_u32 s4, s33, s2
	s_mul_i32 s2, s33, s2
	s_add_i32 s3, s4, s3
	v_div_scale_f32 v2, null, v1, v1, 1.0
	v_div_scale_f32 v6, vcc_lo, 1.0, v1, 1.0
	s_lshl_b64 s[2:3], s[2:3], 6
	s_delay_alu instid0(VALU_DEP_2) | instskip(SKIP_4) | instid1(SALU_CYCLE_1)
	v_rcp_f32_e32 v3, v2
	s_mov_b32 s15, 0
	s_add_u32 s2, s0, s2
	s_addc_u32 s3, s1, s3
	s_lshl_b64 s[0:1], s[14:15], 6
	s_add_u32 s0, s2, s0
	s_addc_u32 s1, s3, s1
	v_add_co_u32 v0, s0, s0, v0
	s_waitcnt_depctr 0xfff
	v_fma_f32 v5, -v2, v3, 1.0
	s_delay_alu instid0(VALU_DEP_1) | instskip(NEXT) | instid1(VALU_DEP_1)
	v_fmac_f32_e32 v3, v5, v3
	v_mul_f32_e32 v5, v6, v3
	s_delay_alu instid0(VALU_DEP_1) | instskip(NEXT) | instid1(VALU_DEP_1)
	v_fma_f32 v7, -v2, v5, v6
	v_fmac_f32_e32 v5, v7, v3
	s_delay_alu instid0(VALU_DEP_1) | instskip(NEXT) | instid1(VALU_DEP_1)
	v_fma_f32 v2, -v2, v5, v6
	v_div_fmas_f32 v2, v2, v3, v5
	s_delay_alu instid0(VALU_DEP_1) | instskip(NEXT) | instid1(VALU_DEP_1)
	v_div_fixup_f32 v1, v2, v1, 1.0
	v_fma_mixlo_f16 v1, v4, v1, 0
	s_delay_alu instid0(VALU_DEP_1)
	v_cvt_i16_f16_e32 v2, v1
	v_add_co_ci_u32_e64 v1, null, s1, 0, s0
	global_store_b8 v[0:1], v2, off
	s_nop 0
	s_sendmsg sendmsg(MSG_DEALLOC_VGPRS)
	s_endpgm
.LBB24_20:
	s_mov_b32 s4, 0
	s_branch .LBB24_2
	.section	.rodata,"a",@progbits
	.p2align	6, 0x0
	.amdhsa_kernel _Z35paged_attention_ll4mi_reduce_kernelIDF16_hLi64ELi64ELi256ELi7EEvPT0_PKfS3_PKT_PKiS8_iS3_
		.amdhsa_group_segment_fixed_size 900
		.amdhsa_private_segment_fixed_size 0
		.amdhsa_kernarg_size 320
		.amdhsa_user_sgpr_count 14
		.amdhsa_user_sgpr_dispatch_ptr 0
		.amdhsa_user_sgpr_queue_ptr 0
		.amdhsa_user_sgpr_kernarg_segment_ptr 1
		.amdhsa_user_sgpr_dispatch_id 0
		.amdhsa_user_sgpr_private_segment_size 0
		.amdhsa_wavefront_size32 1
		.amdhsa_uses_dynamic_stack 0
		.amdhsa_enable_private_segment 0
		.amdhsa_system_sgpr_workgroup_id_x 1
		.amdhsa_system_sgpr_workgroup_id_y 1
		.amdhsa_system_sgpr_workgroup_id_z 0
		.amdhsa_system_sgpr_workgroup_info 0
		.amdhsa_system_vgpr_workitem_id 0
		.amdhsa_next_free_vgpr 48
		.amdhsa_next_free_sgpr 47
		.amdhsa_reserve_vcc 1
		.amdhsa_float_round_mode_32 0
		.amdhsa_float_round_mode_16_64 0
		.amdhsa_float_denorm_mode_32 3
		.amdhsa_float_denorm_mode_16_64 3
		.amdhsa_dx10_clamp 1
		.amdhsa_ieee_mode 1
		.amdhsa_fp16_overflow 0
		.amdhsa_workgroup_processor_mode 1
		.amdhsa_memory_ordered 1
		.amdhsa_forward_progress 0
		.amdhsa_shared_vgpr_count 0
		.amdhsa_exception_fp_ieee_invalid_op 0
		.amdhsa_exception_fp_denorm_src 0
		.amdhsa_exception_fp_ieee_div_zero 0
		.amdhsa_exception_fp_ieee_overflow 0
		.amdhsa_exception_fp_ieee_underflow 0
		.amdhsa_exception_fp_ieee_inexact 0
		.amdhsa_exception_int_div_zero 0
	.end_amdhsa_kernel
	.section	.text._Z35paged_attention_ll4mi_reduce_kernelIDF16_hLi64ELi64ELi256ELi7EEvPT0_PKfS3_PKT_PKiS8_iS3_,"axG",@progbits,_Z35paged_attention_ll4mi_reduce_kernelIDF16_hLi64ELi64ELi256ELi7EEvPT0_PKfS3_PKT_PKiS8_iS3_,comdat
.Lfunc_end24:
	.size	_Z35paged_attention_ll4mi_reduce_kernelIDF16_hLi64ELi64ELi256ELi7EEvPT0_PKfS3_PKT_PKiS8_iS3_, .Lfunc_end24-_Z35paged_attention_ll4mi_reduce_kernelIDF16_hLi64ELi64ELi256ELi7EEvPT0_PKfS3_PKT_PKiS8_iS3_
                                        ; -- End function
	.section	.AMDGPU.csdata,"",@progbits
; Kernel info:
; codeLenInByte = 6352
; NumSgprs: 49
; NumVgprs: 48
; ScratchSize: 0
; MemoryBound: 0
; FloatMode: 240
; IeeeMode: 1
; LDSByteSize: 900 bytes/workgroup (compile time only)
; SGPRBlocks: 6
; VGPRBlocks: 5
; NumSGPRsForWavesPerEU: 49
; NumVGPRsForWavesPerEU: 48
; Occupancy: 16
; WaveLimiterHint : 0
; COMPUTE_PGM_RSRC2:SCRATCH_EN: 0
; COMPUTE_PGM_RSRC2:USER_SGPR: 14
; COMPUTE_PGM_RSRC2:TRAP_HANDLER: 0
; COMPUTE_PGM_RSRC2:TGID_X_EN: 1
; COMPUTE_PGM_RSRC2:TGID_Y_EN: 1
; COMPUTE_PGM_RSRC2:TGID_Z_EN: 0
; COMPUTE_PGM_RSRC2:TIDIG_COMP_CNT: 0
	.section	.text._Z35paged_attention_ll4mi_reduce_kernelIDF16_hLi64ELi64ELi256ELi8EEvPT0_PKfS3_PKT_PKiS8_iS3_,"axG",@progbits,_Z35paged_attention_ll4mi_reduce_kernelIDF16_hLi64ELi64ELi256ELi8EEvPT0_PKfS3_PKT_PKiS8_iS3_,comdat
	.protected	_Z35paged_attention_ll4mi_reduce_kernelIDF16_hLi64ELi64ELi256ELi8EEvPT0_PKfS3_PKT_PKiS8_iS3_ ; -- Begin function _Z35paged_attention_ll4mi_reduce_kernelIDF16_hLi64ELi64ELi256ELi8EEvPT0_PKfS3_PKT_PKiS8_iS3_
	.globl	_Z35paged_attention_ll4mi_reduce_kernelIDF16_hLi64ELi64ELi256ELi8EEvPT0_PKfS3_PKT_PKiS8_iS3_
	.p2align	8
	.type	_Z35paged_attention_ll4mi_reduce_kernelIDF16_hLi64ELi64ELi256ELi8EEvPT0_PKfS3_PKT_PKiS8_iS3_,@function
_Z35paged_attention_ll4mi_reduce_kernelIDF16_hLi64ELi64ELi256ELi8EEvPT0_PKfS3_PKT_PKiS8_iS3_: ; @_Z35paged_attention_ll4mi_reduce_kernelIDF16_hLi64ELi64ELi256ELi8EEvPT0_PKfS3_PKT_PKiS8_iS3_
; %bb.0:
	s_load_b64 s[12:13], s[0:1], 0x28
	s_mov_b32 s2, s15
	s_waitcnt lgkmcnt(0)
	s_cmp_lg_u64 s[12:13], 0
	s_cselect_b32 s15, -1, 0
	s_delay_alu instid0(SALU_CYCLE_1)
	s_and_b32 vcc_lo, exec_lo, s15
	s_cbranch_vccz .LBB25_20
; %bb.1:
	s_add_i32 s4, s2, 1
	s_mov_b32 s5, 0
	s_delay_alu instid0(SALU_CYCLE_1) | instskip(SKIP_4) | instid1(SALU_CYCLE_1)
	s_lshl_b64 s[6:7], s[4:5], 2
	s_mov_b32 s3, s5
	s_add_u32 s6, s12, s6
	s_addc_u32 s7, s13, s7
	s_lshl_b64 s[8:9], s[2:3], 2
	s_add_u32 s8, s12, s8
	s_addc_u32 s9, s13, s9
	s_clause 0x1
	s_load_b32 s4, s[6:7], 0x0
	s_load_b32 s6, s[8:9], 0x0
	s_waitcnt lgkmcnt(0)
	s_sub_i32 s4, s4, s6
	s_delay_alu instid0(SALU_CYCLE_1)
	s_cmp_eq_u32 s4, 1
	s_cselect_b32 s4, -1, 0
	s_cbranch_execnz .LBB25_3
.LBB25_2:
	s_mov_b32 s3, 0
	s_mov_b32 s4, -1
.LBB25_3:
	s_delay_alu instid0(SALU_CYCLE_1)
	s_and_not1_b32 vcc_lo, exec_lo, s4
	s_cbranch_vccz .LBB25_5
; %bb.4:
	s_endpgm
.LBB25_5:
	s_clause 0x1
	s_load_b128 s[4:7], s[0:1], 0x18
	s_load_b32 s9, s[0:1], 0x30
	s_lshl_b64 s[16:17], s[2:3], 2
	s_waitcnt lgkmcnt(0)
	s_add_u32 s6, s6, s16
	s_addc_u32 s7, s7, s17
	s_load_b32 s23, s[6:7], 0x0
	s_load_b32 s33, s[0:1], 0x40
	s_mul_i32 s7, s2, s9
	s_waitcnt lgkmcnt(0)
	s_add_i32 s22, s23, 0xff
	s_delay_alu instid0(SALU_CYCLE_1) | instskip(NEXT) | instid1(SALU_CYCLE_1)
	s_ashr_i32 s6, s22, 31
	s_lshr_b32 s6, s6, 24
	s_delay_alu instid0(SALU_CYCLE_1) | instskip(SKIP_4) | instid1(SALU_CYCLE_1)
	s_add_i32 s8, s22, s6
	s_mul_i32 s6, s14, s9
	s_mov_b32 s9, exec_lo
	v_cmpx_lt_u32_e32 31, v0
	s_xor_b32 s9, exec_lo, s9
	s_or_saveexec_b32 s24, s9
	v_mov_b32_e32 v1, s6
	s_ashr_i32 s40, s8, 8
	s_mul_i32 s18, s7, s33
	s_xor_b32 exec_lo, exec_lo, s24
	s_cbranch_execz .LBB25_9
; %bb.6:
	v_or_b32_e32 v2, 32, v0
	v_cmp_gt_i32_e32 vcc_lo, s40, v0
	s_add_i32 s20, s40, -1
	v_or_b32_e32 v4, 64, v0
	v_or_b32_e32 v6, 0x60, v0
	s_load_b128 s[8:11], s[0:1], 0x8
	v_cndmask_b32_e32 v1, s20, v0, vcc_lo
	v_cmp_gt_i32_e32 vcc_lo, s40, v2
	s_mov_b32 s19, 0
	s_delay_alu instid0(SALU_CYCLE_1)
	s_mov_b32 s7, s19
	v_cndmask_b32_e32 v3, s20, v2, vcc_lo
	v_cmp_gt_i32_e32 vcc_lo, s40, v4
	v_or_b32_e32 v2, 0x80, v0
	v_cndmask_b32_e32 v5, s20, v4, vcc_lo
	v_cmp_gt_i32_e32 vcc_lo, s40, v6
	v_or_b32_e32 v4, 0xa0, v0
	;; [unrolled: 3-line block ×3, first 2 shown]
	s_delay_alu instid0(VALU_DEP_3) | instskip(SKIP_3) | instid1(VALU_DEP_4)
	v_ashrrev_i32_e32 v8, 31, v7
	v_cndmask_b32_e32 v9, s20, v2, vcc_lo
	v_cmp_gt_i32_e32 vcc_lo, s40, v4
	v_or_b32_e32 v2, 0xe0, v0
	v_lshlrev_b64 v[7:8], 2, v[7:8]
	s_delay_alu instid0(VALU_DEP_4) | instskip(SKIP_3) | instid1(VALU_DEP_4)
	v_ashrrev_i32_e32 v10, 31, v9
	v_cndmask_b32_e32 v11, s20, v4, vcc_lo
	v_cmp_gt_i32_e32 vcc_lo, s40, v6
	v_ashrrev_i32_e32 v4, 31, v3
	v_lshlrev_b64 v[9:10], 2, v[9:10]
	s_delay_alu instid0(VALU_DEP_4)
	v_ashrrev_i32_e32 v12, 31, v11
	v_cndmask_b32_e32 v13, s20, v6, vcc_lo
	v_cmp_gt_i32_e32 vcc_lo, s40, v2
	v_ashrrev_i32_e32 v6, 31, v5
	v_lshlrev_b64 v[3:4], 2, v[3:4]
	v_lshlrev_b64 v[11:12], 2, v[11:12]
	v_ashrrev_i32_e32 v14, 31, v13
	v_cndmask_b32_e32 v15, s20, v2, vcc_lo
	v_ashrrev_i32_e32 v2, 31, v1
	s_lshl_b64 s[20:21], s[18:19], 2
	v_lshlrev_b64 v[5:6], 2, v[5:6]
	s_waitcnt lgkmcnt(0)
	s_add_u32 s19, s10, s20
	s_addc_u32 s25, s11, s21
	v_lshlrev_b64 v[1:2], 2, v[1:2]
	s_lshl_b64 s[10:11], s[6:7], 2
	v_lshlrev_b64 v[13:14], 2, v[13:14]
	s_add_u32 s7, s19, s10
	s_addc_u32 s19, s25, s11
	s_delay_alu instid0(VALU_DEP_2)
	v_add_co_u32 v16, vcc_lo, s7, v1
	v_add_co_ci_u32_e32 v17, vcc_lo, s19, v2, vcc_lo
	v_add_co_u32 v18, vcc_lo, s7, v3
	v_add_co_ci_u32_e32 v19, vcc_lo, s19, v4, vcc_lo
	;; [unrolled: 2-line block ×4, first 2 shown]
	s_clause 0x3
	global_load_b32 v25, v[16:17], off
	global_load_b32 v26, v[18:19], off
	;; [unrolled: 1-line block ×4, first 2 shown]
	v_ashrrev_i32_e32 v16, 31, v15
	v_add_co_u32 v17, vcc_lo, s7, v9
	v_add_co_ci_u32_e32 v18, vcc_lo, s19, v10, vcc_lo
	v_add_co_u32 v19, vcc_lo, s7, v11
	s_delay_alu instid0(VALU_DEP_4) | instskip(SKIP_3) | instid1(VALU_DEP_4)
	v_lshlrev_b64 v[15:16], 2, v[15:16]
	v_add_co_ci_u32_e32 v20, vcc_lo, s19, v12, vcc_lo
	v_add_co_u32 v21, vcc_lo, s7, v13
	v_add_co_ci_u32_e32 v22, vcc_lo, s19, v14, vcc_lo
	v_add_co_u32 v23, vcc_lo, s7, v15
	v_add_co_ci_u32_e32 v24, vcc_lo, s19, v16, vcc_lo
	s_clause 0x3
	global_load_b32 v17, v[17:18], off
	global_load_b32 v18, v[19:20], off
	;; [unrolled: 1-line block ×4, first 2 shown]
	s_add_u32 s7, s8, s20
	s_addc_u32 s8, s9, s21
	s_add_u32 s7, s7, s10
	s_addc_u32 s8, s8, s11
	v_add_co_u32 v1, vcc_lo, s7, v1
	v_add_co_ci_u32_e32 v2, vcc_lo, s8, v2, vcc_lo
	v_add_co_u32 v3, vcc_lo, s7, v3
	v_add_co_ci_u32_e32 v4, vcc_lo, s8, v4, vcc_lo
	v_add_co_u32 v5, vcc_lo, s7, v5
	v_add_co_ci_u32_e32 v6, vcc_lo, s8, v6, vcc_lo
	v_add_co_u32 v7, vcc_lo, s7, v7
	v_add_co_ci_u32_e32 v8, vcc_lo, s8, v8, vcc_lo
	v_add_co_u32 v9, vcc_lo, s7, v9
	v_add_co_ci_u32_e32 v10, vcc_lo, s8, v10, vcc_lo
	s_clause 0x4
	global_load_b32 v21, v[1:2], off
	global_load_b32 v3, v[3:4], off
	;; [unrolled: 1-line block ×5, first 2 shown]
	v_add_co_u32 v1, vcc_lo, s7, v11
	v_add_co_ci_u32_e32 v2, vcc_lo, s8, v12, vcc_lo
	global_load_b32 v7, v[1:2], off
	v_add_co_u32 v1, vcc_lo, s7, v13
	v_add_co_ci_u32_e32 v2, vcc_lo, s8, v14, vcc_lo
	global_load_b32 v8, v[1:2], off
	v_add_co_u32 v1, vcc_lo, s7, v15
	v_add_co_ci_u32_e32 v2, vcc_lo, s8, v16, vcc_lo
	s_mov_b32 s7, exec_lo
	global_load_b32 v11, v[1:2], off
	v_mbcnt_lo_u32_b32 v1, -1, 0
	s_delay_alu instid0(VALU_DEP_1)
	v_xor_b32_e32 v12, 8, v1
	v_xor_b32_e32 v13, 4, v1
	;; [unrolled: 1-line block ×4, first 2 shown]
	s_waitcnt vmcnt(14)
	v_dual_max_f32 v10, v25, v25 :: v_dual_max_f32 v9, v26, v26
	s_delay_alu instid0(VALU_DEP_1) | instskip(SKIP_2) | instid1(VALU_DEP_2)
	v_max_f32_e32 v2, v10, v9
	v_xor_b32_e32 v9, 16, v1
	s_waitcnt vmcnt(12)
	v_max3_f32 v2, v2, v27, v28
	s_delay_alu instid0(VALU_DEP_2) | instskip(SKIP_4) | instid1(VALU_DEP_3)
	v_cmp_gt_i32_e32 vcc_lo, 32, v9
	v_cndmask_b32_e32 v9, v1, v9, vcc_lo
	v_cmp_gt_i32_e32 vcc_lo, 32, v12
	s_waitcnt vmcnt(10)
	v_max3_f32 v2, v2, v17, v18
	v_dual_cndmask_b32 v12, v1, v12 :: v_dual_lshlrev_b32 v9, 2, v9
	v_cmp_gt_i32_e32 vcc_lo, 32, v13
	s_waitcnt vmcnt(8)
	s_delay_alu instid0(VALU_DEP_3) | instskip(NEXT) | instid1(VALU_DEP_3)
	v_max3_f32 v2, v2, v19, v20
	v_dual_cndmask_b32 v13, v1, v13 :: v_dual_lshlrev_b32 v12, 2, v12
	ds_bpermute_b32 v10, v9, v2
	v_cmp_gt_i32_e32 vcc_lo, 32, v14
	v_dual_cndmask_b32 v14, v1, v14 :: v_dual_lshlrev_b32 v13, 2, v13
	v_cmp_gt_i32_e32 vcc_lo, 32, v15
	s_delay_alu instid0(VALU_DEP_2) | instskip(SKIP_1) | instid1(VALU_DEP_1)
	v_dual_cndmask_b32 v1, v1, v15 :: v_dual_lshlrev_b32 v14, 2, v14
	s_waitcnt lgkmcnt(0)
	v_dual_max_f32 v10, v10, v10 :: v_dual_lshlrev_b32 v15, 2, v1
	s_delay_alu instid0(VALU_DEP_1) | instskip(SKIP_3) | instid1(VALU_DEP_1)
	v_max_f32_e32 v2, v2, v10
	ds_bpermute_b32 v10, v12, v2
	s_waitcnt lgkmcnt(0)
	v_max_f32_e32 v10, v10, v10
	v_max_f32_e32 v2, v2, v10
	ds_bpermute_b32 v10, v13, v2
	s_waitcnt lgkmcnt(0)
	v_max_f32_e32 v10, v10, v10
	s_delay_alu instid0(VALU_DEP_1) | instskip(SKIP_3) | instid1(VALU_DEP_1)
	v_max_f32_e32 v2, v2, v10
	ds_bpermute_b32 v10, v14, v2
	s_waitcnt lgkmcnt(0)
	v_max_f32_e32 v10, v10, v10
	v_max_f32_e32 v1, v2, v10
	ds_bpermute_b32 v2, v15, v1
	s_waitcnt lgkmcnt(0)
	v_max_f32_e32 v2, v2, v2
	s_delay_alu instid0(VALU_DEP_1) | instskip(SKIP_1) | instid1(VALU_DEP_2)
	v_max_f32_e32 v1, v1, v2
	v_sub_nc_u32_e32 v2, s40, v0
	v_sub_f32_e32 v23, v28, v1
	v_sub_f32_e32 v16, v26, v1
	s_delay_alu instid0(VALU_DEP_2)
	v_mul_f32_e32 v26, 0x3fb8aa3b, v23
	v_sub_f32_e32 v10, v25, v1
	v_sub_f32_e32 v22, v27, v1
	;; [unrolled: 1-line block ×4, first 2 shown]
	v_dual_sub_f32 v19, v19, v1 :: v_dual_mul_f32 v24, 0x3fb8aa3b, v16
	s_delay_alu instid0(VALU_DEP_4) | instskip(NEXT) | instid1(VALU_DEP_3)
	v_mul_f32_e32 v25, 0x3fb8aa3b, v22
	v_dual_sub_f32 v1, v20, v1 :: v_dual_mul_f32 v28, 0x3fb8aa3b, v18
	v_mul_f32_e32 v20, 0x3fb8aa3b, v10
	s_delay_alu instid0(VALU_DEP_4)
	v_fma_f32 v33, 0x3fb8aa3b, v16, -v24
	v_rndne_f32_e32 v34, v24
	v_fma_f32 v35, 0x3fb8aa3b, v22, -v25
	v_dual_mul_f32 v29, 0x3fb8aa3b, v19 :: v_dual_mul_f32 v30, 0x3fb8aa3b, v1
	v_fma_f32 v31, 0x3fb8aa3b, v10, -v20
	v_rndne_f32_e32 v32, v20
	v_mul_f32_e32 v27, 0x3fb8aa3b, v17
	v_dual_fmac_f32 v33, 0x32a5705f, v16 :: v_dual_sub_f32 v24, v24, v34
	s_delay_alu instid0(VALU_DEP_3) | instskip(SKIP_2) | instid1(VALU_DEP_4)
	v_dual_fmac_f32 v31, 0x32a5705f, v10 :: v_dual_sub_f32 v20, v20, v32
	v_cvt_i32_f32_e32 v32, v32
	v_fma_f32 v37, 0x3fb8aa3b, v23, -v26
	v_dual_add_f32 v24, v24, v33 :: v_dual_fmac_f32 v35, 0x32a5705f, v22
	s_delay_alu instid0(VALU_DEP_4)
	v_add_f32_e32 v20, v20, v31
	v_fma_f32 v39, 0x3fb8aa3b, v17, -v27
	v_fma_f32 v41, 0x3fb8aa3b, v18, -v28
	v_rndne_f32_e32 v42, v28
	v_fma_f32 v45, 0x3fb8aa3b, v1, -v30
	v_exp_f32_e32 v20, v20
	v_rndne_f32_e32 v46, v30
	v_cmp_ngt_f32_e32 vcc_lo, 0xc2ce8ed0, v10
	v_rndne_f32_e32 v36, v25
	v_fma_f32 v43, 0x3fb8aa3b, v19, -v29
	v_dual_fmac_f32 v37, 0x32a5705f, v23 :: v_dual_sub_f32 v28, v28, v42
	v_dual_fmac_f32 v39, 0x32a5705f, v17 :: v_dual_sub_f32 v30, v30, v46
	v_exp_f32_e32 v24, v24
	s_delay_alu instid0(TRANS32_DEP_2)
	v_ldexp_f32 v20, v20, v32
	v_fmac_f32_e32 v45, 0x32a5705f, v1
	v_rndne_f32_e32 v38, v26
	v_cvt_i32_f32_e32 v34, v34
	v_sub_f32_e32 v25, v25, v36
	v_dual_cndmask_b32 v20, 0, v20 :: v_dual_fmac_f32 v41, 0x32a5705f, v18
	v_dual_add_f32 v30, v30, v45 :: v_dual_fmac_f32 v43, 0x32a5705f, v19
	v_rndne_f32_e32 v40, v27
	v_sub_f32_e32 v26, v26, v38
	s_delay_alu instid0(VALU_DEP_4)
	v_add_f32_e32 v28, v28, v41
	v_ldexp_f32 v24, v24, v34
	v_cmp_ngt_f32_e32 vcc_lo, 0xc2ce8ed0, v16
	v_add_f32_e32 v25, v25, v35
	v_dual_sub_f32 v27, v27, v40 :: v_dual_add_f32 v26, v26, v37
	v_exp_f32_e32 v28, v28
	v_cvt_i32_f32_e32 v31, v42
	v_cndmask_b32_e32 v24, 0, v24, vcc_lo
	v_exp_f32_e32 v25, v25
	v_cvt_i32_f32_e32 v36, v36
	v_exp_f32_e32 v26, v26
	v_cvt_i32_f32_e32 v38, v38
	v_cmp_ngt_f32_e32 vcc_lo, 0xc2ce8ed0, v22
	v_rndne_f32_e32 v44, v29
	v_cvt_i32_f32_e32 v40, v40
	v_ldexp_f32 v28, v28, v31
	v_add_f32_e32 v27, v27, v39
	v_exp_f32_e32 v30, v30
	v_ldexp_f32 v25, v25, v36
	v_cvt_i32_f32_e32 v33, v44
	v_ldexp_f32 v26, v26, v38
	v_exp_f32_e32 v27, v27
	s_delay_alu instid0(VALU_DEP_3) | instskip(SKIP_1) | instid1(VALU_DEP_3)
	v_cndmask_b32_e32 v25, 0, v25, vcc_lo
	v_cmp_ngt_f32_e32 vcc_lo, 0xc2ce8ed0, v23
	v_dual_sub_f32 v29, v29, v44 :: v_dual_cndmask_b32 v26, 0, v26
	v_cmp_ngt_f32_e32 vcc_lo, 0xc2ce8ed0, v17
	s_waitcnt_depctr 0xfff
	v_ldexp_f32 v27, v27, v40
	s_delay_alu instid0(VALU_DEP_1)
	v_cndmask_b32_e32 v27, 0, v27, vcc_lo
	v_cmp_ngt_f32_e32 vcc_lo, 0xc2ce8ed0, v18
	v_cndmask_b32_e32 v28, 0, v28, vcc_lo
	v_cmp_nlt_f32_e32 vcc_lo, 0x42b17218, v10
	v_dual_add_f32 v29, v29, v43 :: v_dual_cndmask_b32 v10, 0x7f800000, v20
	v_cmp_nlt_f32_e32 vcc_lo, 0x42b17218, v16
	s_delay_alu instid0(VALU_DEP_2)
	v_exp_f32_e32 v29, v29
	v_cndmask_b32_e32 v16, 0x7f800000, v24, vcc_lo
	v_cmp_nlt_f32_e32 vcc_lo, 0x42b17218, v22
	v_cndmask_b32_e32 v20, 0x7f800000, v25, vcc_lo
	v_cmp_nlt_f32_e32 vcc_lo, 0x42b17218, v23
	s_waitcnt_depctr 0xfff
	v_ldexp_f32 v29, v29, v33
	v_cndmask_b32_e32 v22, 0x7f800000, v26, vcc_lo
	v_cmp_nlt_f32_e32 vcc_lo, 0x42b17218, v17
	v_cndmask_b32_e32 v17, 0x7f800000, v27, vcc_lo
	v_cmp_lt_i32_e32 vcc_lo, 0, v2
	v_cndmask_b32_e32 v10, 0, v10, vcc_lo
	v_cmp_lt_i32_e32 vcc_lo, 32, v2
	s_waitcnt vmcnt(7)
	s_delay_alu instid0(VALU_DEP_2) | instskip(SKIP_3) | instid1(VALU_DEP_2)
	v_mul_f32_e32 v10, v21, v10
	v_cndmask_b32_e32 v16, 0, v16, vcc_lo
	v_cmp_lt_i32_e32 vcc_lo, 64, v2
	s_waitcnt vmcnt(6)
	v_mul_f32_e32 v3, v3, v16
	v_cndmask_b32_e32 v20, 0, v20, vcc_lo
	v_cmp_lt_i32_e32 vcc_lo, 0x60, v2
	v_cndmask_b32_e32 v22, 0, v22, vcc_lo
	v_cmp_lt_i32_e32 vcc_lo, 0x80, v2
	v_cndmask_b32_e32 v17, 0, v17, vcc_lo
	v_cmp_nlt_f32_e32 vcc_lo, 0x42b17218, v18
	s_waitcnt vmcnt(3)
	s_delay_alu instid0(VALU_DEP_2) | instskip(SKIP_2) | instid1(VALU_DEP_2)
	v_mul_f32_e32 v6, v6, v17
	v_dual_mul_f32 v4, v4, v20 :: v_dual_add_f32 v17, v10, v3
	v_cvt_i32_f32_e32 v20, v46
	v_add_f32_e32 v17, v17, v4
	v_dual_mul_f32 v5, v5, v22 :: v_dual_cndmask_b32 v16, 0x7f800000, v28
	v_cmp_ngt_f32_e32 vcc_lo, 0xc2ce8ed0, v19
	s_delay_alu instid0(VALU_DEP_2)
	v_add_f32_e32 v17, v17, v5
	v_cndmask_b32_e32 v18, 0, v29, vcc_lo
	v_cmp_lt_i32_e32 vcc_lo, 0xa0, v2
	v_cndmask_b32_e32 v16, 0, v16, vcc_lo
	v_cmp_nlt_f32_e32 vcc_lo, 0x42b17218, v19
	s_waitcnt vmcnt(2)
	s_delay_alu instid0(VALU_DEP_2) | instskip(SKIP_3) | instid1(VALU_DEP_4)
	v_dual_mul_f32 v7, v7, v16 :: v_dual_cndmask_b32 v18, 0x7f800000, v18
	v_cmp_lt_i32_e32 vcc_lo, 0xc0, v2
	v_ldexp_f32 v16, v30, v20
	v_add_f32_e32 v17, v17, v6
	v_cndmask_b32_e32 v18, 0, v18, vcc_lo
	v_cmp_ngt_f32_e32 vcc_lo, 0xc2ce8ed0, v1
	s_delay_alu instid0(VALU_DEP_4) | instskip(SKIP_2) | instid1(VALU_DEP_2)
	v_cndmask_b32_e32 v16, 0, v16, vcc_lo
	v_cmp_nlt_f32_e32 vcc_lo, 0x42b17218, v1
	s_waitcnt vmcnt(1)
	v_dual_mul_f32 v8, v8, v18 :: v_dual_cndmask_b32 v1, 0x7f800000, v16
	v_add_f32_e32 v16, v17, v7
	v_cmp_lt_i32_e32 vcc_lo, 0xe0, v2
	s_delay_alu instid0(VALU_DEP_3) | instskip(NEXT) | instid1(VALU_DEP_3)
	v_cndmask_b32_e32 v17, 0, v1, vcc_lo
	v_add_f32_e32 v1, v16, v8
	s_waitcnt vmcnt(0)
	s_delay_alu instid0(VALU_DEP_1)
	v_fmac_f32_e32 v1, v11, v17
	v_mul_f32_e32 v11, v11, v17
	ds_bpermute_b32 v2, v9, v1
	v_lshlrev_b32_e32 v9, 2, v0
	ds_store_2addr_b32 v9, v10, v3 offset1:32
	ds_store_2addr_b32 v9, v4, v5 offset0:64 offset1:96
	ds_store_2addr_b32 v9, v6, v7 offset0:128 offset1:160
	;; [unrolled: 1-line block ×3, first 2 shown]
	s_waitcnt lgkmcnt(4)
	v_add_f32_e32 v1, v1, v2
	ds_bpermute_b32 v2, v12, v1
	s_waitcnt lgkmcnt(0)
	v_add_f32_e32 v1, v1, v2
	ds_bpermute_b32 v2, v13, v1
	;; [unrolled: 3-line block ×4, first 2 shown]
	v_cmpx_eq_u32_e32 0, v0
	s_cbranch_execz .LBB25_8
; %bb.7:
	s_waitcnt lgkmcnt(0)
	v_dual_add_f32 v1, v1, v2 :: v_dual_mov_b32 v2, 0
	ds_store_b32 v2, v1 offset:1024
.LBB25_8:
	s_or_b32 exec_lo, exec_lo, s7
	v_mov_b32_e32 v1, s6
.LBB25_9:
	s_or_b32 exec_lo, exec_lo, s24
	s_lshl_b32 s6, s18, 6
	s_mov_b32 s7, 0
	s_waitcnt lgkmcnt(0)
	v_dual_mov_b32 v2, 0 :: v_dual_lshlrev_b32 v1, 6, v1
	s_lshl_b64 s[6:7], s[6:7], 1
	v_dual_mov_b32 v29, 0 :: v_dual_mov_b32 v30, 0
	s_add_u32 s34, s4, s6
	s_addc_u32 s35, s5, s7
	s_lshl_b32 s41, s40, 6
	v_lshlrev_b64 v[3:4], 1, v[1:2]
	s_sub_i32 s42, s41, 64
	s_cmpk_lt_i32 s22, 0x100
	v_lshlrev_b32_e32 v1, 1, v0
	s_cselect_b32 s4, s42, 0
	v_dual_mov_b32 v31, 0 :: v_dual_mov_b32 v32, 0
	s_ashr_i32 s5, s4, 31
	v_add_co_u32 v3, vcc_lo, s34, v3
	s_lshl_b64 s[4:5], s[4:5], 1
	s_cmpk_lt_i32 s22, 0x200
	v_add_co_ci_u32_e32 v4, vcc_lo, s35, v4, vcc_lo
	s_cselect_b32 s6, s42, 64
	v_add_co_u32 v1, vcc_lo, v3, v1
	s_ashr_i32 s7, s6, 31
	s_delay_alu instid0(VALU_DEP_2)
	v_add_co_ci_u32_e32 v3, vcc_lo, 0, v4, vcc_lo
	s_lshl_b64 s[6:7], s[6:7], 1
	s_cmpk_lt_i32 s22, 0x300
	v_add_co_u32 v4, vcc_lo, v1, s4
	s_cselect_b32 s8, s42, 0x80
	v_add_co_ci_u32_e32 v5, vcc_lo, s5, v3, vcc_lo
	s_ashr_i32 s9, s8, 31
	v_add_co_u32 v8, vcc_lo, v1, s6
	s_lshl_b64 s[8:9], s[8:9], 1
	s_cmpk_lt_i32 s22, 0x400
	v_add_co_ci_u32_e32 v9, vcc_lo, s7, v3, vcc_lo
	s_cselect_b32 s10, s42, 0xc0
	v_add_co_u32 v10, vcc_lo, v1, s8
	s_ashr_i32 s11, s10, 31
	v_add_co_ci_u32_e32 v11, vcc_lo, s9, v3, vcc_lo
	s_lshl_b64 s[10:11], s[10:11], 1
	s_cmpk_lt_i32 s22, 0x500
	v_add_co_u32 v12, vcc_lo, v1, s10
	s_cselect_b32 s18, s42, 0x100
	v_add_co_ci_u32_e32 v13, vcc_lo, s11, v3, vcc_lo
	s_ashr_i32 s19, s18, 31
	v_dual_mov_b32 v33, 0 :: v_dual_mov_b32 v34, 0
	s_lshl_b64 s[18:19], s[18:19], 1
	s_cmpk_lt_i32 s22, 0x600
	v_add_co_u32 v14, vcc_lo, v1, s18
	s_cselect_b32 s20, s42, 0x140
	v_add_co_ci_u32_e32 v15, vcc_lo, s19, v3, vcc_lo
	s_ashr_i32 s21, s20, 31
	v_mov_b32_e32 v35, 0
	s_lshl_b64 s[20:21], s[20:21], 1
	s_cmpk_lt_i32 s22, 0x700
	v_add_co_u32 v16, vcc_lo, v1, s20
	s_cselect_b32 s24, s42, 0x180
	v_add_co_ci_u32_e32 v17, vcc_lo, s21, v3, vcc_lo
	s_ashr_i32 s25, s24, 31
	s_delay_alu instid0(SALU_CYCLE_1)
	s_lshl_b64 s[24:25], s[24:25], 1
	s_cmpk_lt_i32 s22, 0x800
	v_add_co_u32 v18, vcc_lo, v1, s24
	s_cselect_b32 s26, s42, 0x1c0
	v_add_co_ci_u32_e32 v19, vcc_lo, s25, v3, vcc_lo
	s_ashr_i32 s27, s26, 31
	s_delay_alu instid0(SALU_CYCLE_1)
	s_lshl_b64 s[26:27], s[26:27], 1
	s_cmpk_lt_i32 s22, 0x900
	v_add_co_u32 v20, vcc_lo, v1, s26
	s_cselect_b32 s28, s42, 0x200
	v_add_co_ci_u32_e32 v21, vcc_lo, s27, v3, vcc_lo
	s_ashr_i32 s29, s28, 31
	s_clause 0x7
	global_load_u16 v7, v[4:5], off
	global_load_u16 v8, v[8:9], off
	;; [unrolled: 1-line block ×8, first 2 shown]
	s_lshl_b64 s[28:29], s[28:29], 1
	s_cmpk_lt_i32 s22, 0xa00
	v_add_co_u32 v12, vcc_lo, v1, s28
	s_cselect_b32 s30, s42, 0x240
	v_add_co_ci_u32_e32 v13, vcc_lo, s29, v3, vcc_lo
	s_ashr_i32 s31, s30, 31
	s_delay_alu instid0(SALU_CYCLE_1)
	s_lshl_b64 s[30:31], s[30:31], 1
	s_cmpk_lt_i32 s22, 0xb00
	v_add_co_u32 v15, vcc_lo, v1, s30
	s_cselect_b32 s34, s42, 0x280
	v_add_co_ci_u32_e32 v16, vcc_lo, s31, v3, vcc_lo
	s_ashr_i32 s35, s34, 31
	s_delay_alu instid0(SALU_CYCLE_1)
	;; [unrolled: 7-line block ×7, first 2 shown]
	s_lshl_b64 s[4:5], s[6:7], 1
	s_cmpk_gt_i32 s23, 0x1000
	v_add_co_u32 v27, vcc_lo, v1, s4
	v_add_co_ci_u32_e32 v28, vcc_lo, s5, v3, vcc_lo
	s_clause 0x7
	global_load_u16 v14, v[12:13], off
	global_load_u16 v15, v[15:16], off
	global_load_u16 v16, v[17:18], off
	global_load_u16 v17, v[19:20], off
	global_load_u16 v18, v[21:22], off
	global_load_u16 v12, v[23:24], off
	global_load_u16 v13, v[25:26], off
	global_load_u16 v19, v[27:28], off
	v_dual_mov_b32 v20, 0 :: v_dual_mov_b32 v21, 0
	v_dual_mov_b32 v22, 0 :: v_dual_mov_b32 v23, 0
	;; [unrolled: 1-line block ×4, first 2 shown]
	v_mov_b32_e32 v28, 0
	s_cselect_b32 s8, -1, 0
	s_cmpk_lt_i32 s23, 0x1001
	s_waitcnt vmcnt(0)
	s_barrier
	buffer_gl0_inv
	s_cbranch_scc1 .LBB25_11
; %bb.10:
	s_cmpk_lt_i32 s22, 0x1100
	s_cselect_b32 s4, s42, 0x400
	s_delay_alu instid0(SALU_CYCLE_1) | instskip(NEXT) | instid1(SALU_CYCLE_1)
	s_ashr_i32 s5, s4, 31
	s_lshl_b64 s[4:5], s[4:5], 1
	s_cmpk_lt_i32 s22, 0x1200
	v_add_co_u32 v20, vcc_lo, v1, s4
	s_cselect_b32 s6, s42, 0x440
	v_add_co_ci_u32_e32 v21, vcc_lo, s5, v3, vcc_lo
	s_ashr_i32 s7, s6, 31
	s_delay_alu instid0(SALU_CYCLE_1)
	s_lshl_b64 s[6:7], s[6:7], 1
	s_cmpk_lt_i32 s22, 0x1300
	v_add_co_u32 v22, vcc_lo, v1, s6
	s_cselect_b32 s10, s42, 0x480
	v_add_co_ci_u32_e32 v23, vcc_lo, s7, v3, vcc_lo
	s_ashr_i32 s11, s10, 31
	s_delay_alu instid0(SALU_CYCLE_1)
	;; [unrolled: 7-line block ×7, first 2 shown]
	s_lshl_b64 s[28:29], s[28:29], 1
	s_cmpk_lt_i32 s22, 0x1900
	v_add_co_u32 v34, vcc_lo, v1, s28
	s_cselect_b32 s30, s42, 0x600
	v_add_co_ci_u32_e32 v35, vcc_lo, s29, v3, vcc_lo
	s_ashr_i32 s31, s30, 31
	s_clause 0x7
	global_load_u16 v36, v[20:21], off
	global_load_u16 v37, v[22:23], off
	;; [unrolled: 1-line block ×8, first 2 shown]
	s_lshl_b64 s[30:31], s[30:31], 1
	s_cmpk_lt_i32 s22, 0x1a00
	v_add_co_u32 v20, vcc_lo, v1, s30
	s_cselect_b32 s34, s42, 0x640
	v_add_co_ci_u32_e32 v21, vcc_lo, s31, v3, vcc_lo
	s_ashr_i32 s35, s34, 31
	s_delay_alu instid0(SALU_CYCLE_1)
	s_lshl_b64 s[34:35], s[34:35], 1
	s_cmpk_lt_i32 s22, 0x1b00
	v_add_co_u32 v22, vcc_lo, v1, s34
	s_cselect_b32 s36, s42, 0x680
	v_add_co_ci_u32_e32 v23, vcc_lo, s35, v3, vcc_lo
	s_ashr_i32 s37, s36, 31
	s_delay_alu instid0(SALU_CYCLE_1)
	;; [unrolled: 7-line block ×6, first 2 shown]
	s_lshl_b64 s[4:5], s[20:21], 1
	s_cmpk_lt_i32 s22, 0x2000
	v_add_co_u32 v32, vcc_lo, v1, s4
	s_cselect_b32 s6, s42, 0x7c0
	v_add_co_ci_u32_e32 v33, vcc_lo, s5, v3, vcc_lo
	s_ashr_i32 s7, s6, 31
	s_delay_alu instid0(SALU_CYCLE_1) | instskip(NEXT) | instid1(SALU_CYCLE_1)
	s_lshl_b64 s[4:5], s[6:7], 1
	v_add_co_u32 v34, vcc_lo, v1, s4
	v_add_co_ci_u32_e32 v35, vcc_lo, s5, v3, vcc_lo
	s_clause 0x7
	global_load_u16 v20, v[20:21], off
	global_load_u16 v21, v[22:23], off
	;; [unrolled: 1-line block ×8, first 2 shown]
	s_waitcnt vmcnt(15)
	v_cvt_f32_f16_e32 v35, v36
	s_waitcnt vmcnt(14)
	v_cvt_f32_f16_e32 v34, v37
	;; [unrolled: 2-line block ×16, first 2 shown]
.LBB25_11:
	ds_load_b128 v[36:39], v2
	ds_load_b128 v[40:43], v2 offset:16
	s_load_b64 s[0:1], s[0:1], 0x0
	s_and_b32 vcc_lo, exec_lo, s8
	s_waitcnt lgkmcnt(0)
	v_fma_mix_f32 v7, v36, v7, 0 op_sel_hi:[0,1,0]
	s_delay_alu instid0(VALU_DEP_1) | instskip(NEXT) | instid1(VALU_DEP_1)
	v_fma_mix_f32 v7, v37, v8, v7 op_sel_hi:[0,1,0]
	v_fma_mix_f32 v7, v38, v9, v7 op_sel_hi:[0,1,0]
	s_delay_alu instid0(VALU_DEP_1) | instskip(SKIP_4) | instid1(VALU_DEP_1)
	v_fma_mix_f32 v7, v39, v10, v7 op_sel_hi:[0,1,0]
	ds_load_b128 v[36:39], v2 offset:48
	v_fma_mix_f32 v11, v40, v11, v7 op_sel_hi:[0,1,0]
	ds_load_b128 v[7:10], v2 offset:32
	v_fma_mix_f32 v4, v41, v4, v11 op_sel_hi:[0,1,0]
	v_fma_mix_f32 v4, v42, v5, v4 op_sel_hi:[0,1,0]
	s_delay_alu instid0(VALU_DEP_1) | instskip(SKIP_1) | instid1(VALU_DEP_1)
	v_fma_mix_f32 v4, v43, v6, v4 op_sel_hi:[0,1,0]
	s_waitcnt lgkmcnt(0)
	v_fma_mix_f32 v4, v7, v14, v4 op_sel_hi:[0,1,0]
	s_delay_alu instid0(VALU_DEP_1) | instskip(NEXT) | instid1(VALU_DEP_1)
	v_fma_mix_f32 v4, v8, v15, v4 op_sel_hi:[0,1,0]
	v_fma_mix_f32 v4, v9, v16, v4 op_sel_hi:[0,1,0]
	s_delay_alu instid0(VALU_DEP_1) | instskip(NEXT) | instid1(VALU_DEP_1)
	v_fma_mix_f32 v4, v10, v17, v4 op_sel_hi:[0,1,0]
	;; [unrolled: 3-line block ×3, first 2 shown]
	v_fma_mix_f32 v4, v38, v13, v4 op_sel_hi:[0,1,0]
	s_delay_alu instid0(VALU_DEP_1)
	v_fma_mix_f32 v4, v39, v19, v4 op_sel_hi:[0,1,0]
	s_cbranch_vccz .LBB25_13
; %bb.12:
	ds_load_b128 v[5:8], v2 offset:64
	ds_load_b128 v[9:12], v2 offset:80
	s_waitcnt lgkmcnt(1)
	v_fmac_f32_e32 v4, v5, v35
	s_delay_alu instid0(VALU_DEP_1) | instskip(NEXT) | instid1(VALU_DEP_1)
	v_fmac_f32_e32 v4, v6, v34
	v_fmac_f32_e32 v4, v7, v33
	s_delay_alu instid0(VALU_DEP_1) | instskip(SKIP_3) | instid1(VALU_DEP_1)
	v_fmac_f32_e32 v4, v8, v32
	ds_load_b128 v[5:8], v2 offset:96
	s_waitcnt lgkmcnt(1)
	v_fmac_f32_e32 v4, v9, v31
	v_fmac_f32_e32 v4, v10, v30
	s_delay_alu instid0(VALU_DEP_1) | instskip(NEXT) | instid1(VALU_DEP_1)
	v_fmac_f32_e32 v4, v11, v29
	v_fmac_f32_e32 v4, v12, v28
	ds_load_b128 v[9:12], v2 offset:112
	s_waitcnt lgkmcnt(1)
	v_fmac_f32_e32 v4, v5, v27
	s_delay_alu instid0(VALU_DEP_1) | instskip(NEXT) | instid1(VALU_DEP_1)
	v_fmac_f32_e32 v4, v6, v26
	v_fmac_f32_e32 v4, v7, v25
	s_delay_alu instid0(VALU_DEP_1) | instskip(SKIP_1) | instid1(VALU_DEP_1)
	v_fmac_f32_e32 v4, v8, v24
	s_waitcnt lgkmcnt(0)
	v_fmac_f32_e32 v4, v9, v23
	s_delay_alu instid0(VALU_DEP_1) | instskip(NEXT) | instid1(VALU_DEP_1)
	v_fmac_f32_e32 v4, v10, v22
	v_fmac_f32_e32 v4, v11, v21
	s_delay_alu instid0(VALU_DEP_1)
	v_fmac_f32_e32 v4, v12, v20
.LBB25_13:
	s_movk_i32 s43, 0xfc0
	s_movk_i32 s44, 0x80
	s_mov_b32 s45, 32
	s_branch .LBB25_15
.LBB25_14:                              ;   in Loop: Header=BB25_15 Depth=1
	s_addk_i32 s43, 0x800
	s_addk_i32 s44, 0x80
	s_add_i32 s45, s45, 32
	s_cmpk_eq_i32 s43, 0x47c0
	s_cbranch_scc1 .LBB25_17
.LBB25_15:                              ; =>This Inner Loop Header: Depth=1
	s_cmp_le_i32 s40, s45
	s_cbranch_scc1 .LBB25_14
; %bb.16:                               ;   in Loop: Header=BB25_15 Depth=1
	s_add_i32 s4, s43, 0xfffff840
	v_mov_b32_e32 v44, s44
	s_cmp_lt_i32 s4, s41
	s_cselect_b32 s4, s4, s42
	s_add_i32 s6, s43, 0xfffff880
	s_ashr_i32 s5, s4, 31
	s_delay_alu instid0(SALU_CYCLE_1)
	s_lshl_b64 s[4:5], s[4:5], 1
	s_cmp_lt_i32 s6, s41
	v_add_co_u32 v5, vcc_lo, v1, s4
	s_cselect_b32 s6, s6, s42
	s_add_i32 s10, s43, 0xfffff8c0
	s_ashr_i32 s7, s6, 31
	v_add_co_ci_u32_e32 v6, vcc_lo, s5, v3, vcc_lo
	s_lshl_b64 s[8:9], s[6:7], 1
	s_cmp_lt_i32 s10, s41
	v_add_co_u32 v7, vcc_lo, v1, s8
	s_cselect_b32 s6, s10, s42
	s_add_i32 s10, s43, 0xfffff900
	s_ashr_i32 s7, s6, 31
	v_add_co_ci_u32_e32 v8, vcc_lo, s9, v3, vcc_lo
	;; [unrolled: 7-line block ×8, first 2 shown]
	s_lshl_b64 s[24:25], s[20:21], 1
	s_cmp_lt_i32 s28, s41
	s_clause 0x7
	global_load_u16 v2, v[5:6], off
	global_load_u16 v21, v[7:8], off
	;; [unrolled: 1-line block ×8, first 2 shown]
	s_cselect_b32 s20, s28, s42
	s_add_i32 s28, s43, 0xfffffac0
	s_ashr_i32 s21, s20, 31
	v_add_co_u32 v5, vcc_lo, v1, s24
	s_lshl_b64 s[20:21], s[20:21], 1
	s_cmp_lt_i32 s28, s41
	v_add_co_ci_u32_e32 v6, vcc_lo, s25, v3, vcc_lo
	s_cselect_b32 s28, s28, s42
	s_add_i32 s36, s43, 0xfffffb00
	s_ashr_i32 s29, s28, 31
	v_add_co_u32 v7, vcc_lo, v1, s20
	s_lshl_b64 s[30:31], s[28:29], 1
	s_cmp_lt_i32 s36, s41
	v_add_co_ci_u32_e32 v8, vcc_lo, s21, v3, vcc_lo
	s_cselect_b32 s28, s36, s42
	s_add_i32 s36, s43, 0xfffffb40
	s_ashr_i32 s29, s28, 31
	v_add_co_u32 v9, vcc_lo, v1, s30
	s_lshl_b64 s[28:29], s[28:29], 1
	s_cmp_lt_i32 s36, s41
	v_add_co_ci_u32_e32 v10, vcc_lo, s31, v3, vcc_lo
	s_cselect_b32 s36, s36, s42
	s_add_i32 s46, s43, 0xfffffb80
	s_ashr_i32 s37, s36, 31
	v_add_co_u32 v11, vcc_lo, v1, s28
	s_lshl_b64 s[38:39], s[36:37], 1
	s_cmp_lt_i32 s46, s41
	v_add_co_ci_u32_e32 v12, vcc_lo, s29, v3, vcc_lo
	s_cselect_b32 s36, s46, s42
	s_add_i32 s46, s43, 0xfffffbc0
	s_ashr_i32 s37, s36, 31
	v_add_co_u32 v13, vcc_lo, v1, s38
	s_lshl_b64 s[36:37], s[36:37], 1
	s_cmp_lt_i32 s46, s41
	v_add_co_ci_u32_e32 v14, vcc_lo, s39, v3, vcc_lo
	s_cselect_b32 s4, s46, s42
	s_add_i32 s46, s43, 0xfffffc00
	s_ashr_i32 s5, s4, 31
	v_add_co_u32 v15, vcc_lo, v1, s36
	s_lshl_b64 s[8:9], s[4:5], 1
	s_cmp_lt_i32 s46, s41
	v_add_co_ci_u32_e32 v16, vcc_lo, s37, v3, vcc_lo
	s_cselect_b32 s4, s46, s42
	s_add_i32 s18, s43, 0xfffffc40
	s_ashr_i32 s5, s4, 31
	v_add_co_u32 v17, vcc_lo, v1, s8
	s_lshl_b64 s[6:7], s[4:5], 1
	s_cmp_lt_i32 s18, s41
	v_add_co_ci_u32_e32 v18, vcc_lo, s9, v3, vcc_lo
	s_cselect_b32 s4, s18, s42
	s_add_i32 s10, s43, 0xfffffc80
	s_ashr_i32 s5, s4, 31
	v_add_co_u32 v19, vcc_lo, v1, s6
	s_lshl_b64 s[4:5], s[4:5], 1
	s_cmp_lt_i32 s10, s41
	v_add_co_ci_u32_e32 v20, vcc_lo, s7, v3, vcc_lo
	s_cselect_b32 s10, s10, s42
	s_add_i32 s18, s43, 0xfffffcc0
	s_ashr_i32 s11, s10, 31
	s_clause 0x7
	global_load_u16 v28, v[5:6], off
	global_load_u16 v29, v[7:8], off
	;; [unrolled: 1-line block ×8, first 2 shown]
	s_lshl_b64 s[10:11], s[10:11], 1
	s_cmp_lt_i32 s18, s41
	v_add_co_u32 v5, vcc_lo, v1, s4
	s_cselect_b32 s18, s18, s42
	s_add_i32 s22, s43, 0xfffffd00
	s_ashr_i32 s19, s18, 31
	v_add_co_ci_u32_e32 v6, vcc_lo, s5, v3, vcc_lo
	s_lshl_b64 s[18:19], s[18:19], 1
	s_cmp_lt_i32 s22, s41
	v_add_co_u32 v7, vcc_lo, v1, s10
	s_cselect_b32 s20, s22, s42
	s_add_i32 s22, s43, 0xfffffd40
	s_ashr_i32 s21, s20, 31
	v_add_co_ci_u32_e32 v8, vcc_lo, s11, v3, vcc_lo
	;; [unrolled: 7-line block ×5, first 2 shown]
	s_lshl_b64 s[6:7], s[6:7], 1
	s_cmp_lt_i32 s24, s41
	s_clause 0x4
	global_load_u16 v19, v[5:6], off
	global_load_u16 v20, v[7:8], off
	;; [unrolled: 1-line block ×5, first 2 shown]
	s_cselect_b32 s4, s24, s42
	s_add_i32 s10, s43, 0xfffffe40
	s_ashr_i32 s5, s4, 31
	v_add_co_u32 v5, vcc_lo, v1, s8
	s_lshl_b64 s[4:5], s[4:5], 1
	s_cmp_lt_i32 s10, s41
	v_add_co_ci_u32_e32 v6, vcc_lo, s9, v3, vcc_lo
	s_cselect_b32 s10, s10, s42
	s_add_i32 s18, s43, 0xfffffe80
	s_ashr_i32 s11, s10, 31
	v_add_co_u32 v7, vcc_lo, v1, s6
	s_lshl_b64 s[10:11], s[10:11], 1
	s_cmp_lt_i32 s18, s41
	v_add_co_ci_u32_e32 v8, vcc_lo, s7, v3, vcc_lo
	s_cselect_b32 s18, s18, s42
	s_add_i32 s20, s43, 0xfffffec0
	s_ashr_i32 s19, s18, 31
	v_add_co_u32 v9, vcc_lo, v1, s4
	s_lshl_b64 s[18:19], s[18:19], 1
	s_cmp_lt_i32 s20, s41
	global_load_u16 v37, v[5:6], off
	s_cselect_b32 s8, s20, s42
	s_add_i32 s20, s43, 0xffffff00
	s_ashr_i32 s9, s8, 31
	v_add_co_ci_u32_e32 v10, vcc_lo, s5, v3, vcc_lo
	s_lshl_b64 s[6:7], s[8:9], 1
	s_cmp_lt_i32 s20, s41
	v_add_co_u32 v11, vcc_lo, v1, s10
	s_cselect_b32 s4, s20, s42
	s_clause 0x1
	global_load_u16 v38, v[7:8], off
	global_load_u16 v39, v[9:10], off
	v_add_co_ci_u32_e32 v12, vcc_lo, s11, v3, vcc_lo
	s_ashr_i32 s5, s4, 31
	s_add_i32 s8, s43, 0xffffff40
	v_add_co_u32 v13, vcc_lo, v1, s18
	s_lshl_b64 s[4:5], s[4:5], 1
	s_cmp_lt_i32 s8, s41
	v_add_co_ci_u32_e32 v14, vcc_lo, s19, v3, vcc_lo
	v_add_co_u32 v15, vcc_lo, v1, s6
	s_cselect_b32 s8, s8, s42
	v_add_co_ci_u32_e32 v16, vcc_lo, s7, v3, vcc_lo
	s_ashr_i32 s9, s8, 31
	s_add_i32 s10, s43, 0xffffff80
	s_lshl_b64 s[6:7], s[8:9], 1
	s_clause 0x2
	global_load_u16 v40, v[11:12], off
	global_load_u16 v13, v[13:14], off
	global_load_u16 v14, v[15:16], off
	s_cmp_lt_i32 s10, s41
	v_add_co_u32 v5, vcc_lo, v1, s4
	s_cselect_b32 s8, s10, s42
	s_sub_i32 s10, s43, 64
	s_ashr_i32 s9, s8, 31
	v_add_co_ci_u32_e32 v6, vcc_lo, s5, v3, vcc_lo
	s_lshl_b64 s[8:9], s[8:9], 1
	s_cmp_lt_i32 s10, s41
	v_add_co_u32 v7, vcc_lo, v1, s6
	s_cselect_b32 s4, s10, s42
	v_add_co_ci_u32_e32 v8, vcc_lo, s7, v3, vcc_lo
	s_ashr_i32 s5, s4, 31
	v_add_co_u32 v9, vcc_lo, v1, s8
	global_load_u16 v15, v[5:6], off
	s_lshl_b64 s[4:5], s[4:5], 1
	v_add_co_ci_u32_e32 v10, vcc_lo, s9, v3, vcc_lo
	s_cmp_lt_i32 s43, s41
	s_clause 0x1
	global_load_u16 v16, v[7:8], off
	global_load_u16 v41, v[9:10], off
	s_cselect_b32 s6, s43, s42
	v_add_co_u32 v5, vcc_lo, v1, s4
	s_ashr_i32 s7, s6, 31
	v_add_co_ci_u32_e32 v6, vcc_lo, s5, v3, vcc_lo
	s_lshl_b64 s[4:5], s[6:7], 1
	s_delay_alu instid0(SALU_CYCLE_1)
	v_add_co_u32 v7, vcc_lo, v1, s4
	v_add_co_ci_u32_e32 v8, vcc_lo, s5, v3, vcc_lo
	s_clause 0x1
	global_load_u16 v42, v[5:6], off
	global_load_u16 v43, v[7:8], off
	ds_load_b128 v[5:8], v44
	ds_load_b128 v[9:12], v44 offset:16
	s_waitcnt vmcnt(31) lgkmcnt(1)
	v_fma_mix_f32 v2, v5, v2, v4 op_sel_hi:[0,1,0]
	s_waitcnt vmcnt(30)
	s_delay_alu instid0(VALU_DEP_1) | instskip(SKIP_1) | instid1(VALU_DEP_1)
	v_fma_mix_f32 v2, v6, v21, v2 op_sel_hi:[0,1,0]
	s_waitcnt vmcnt(29)
	v_fma_mix_f32 v2, v7, v22, v2 op_sel_hi:[0,1,0]
	ds_load_b128 v[4:7], v44 offset:32
	s_waitcnt vmcnt(28)
	v_fma_mix_f32 v2, v8, v23, v2 op_sel_hi:[0,1,0]
	s_waitcnt vmcnt(27) lgkmcnt(1)
	s_delay_alu instid0(VALU_DEP_1) | instskip(SKIP_1) | instid1(VALU_DEP_1)
	v_fma_mix_f32 v2, v9, v24, v2 op_sel_hi:[0,1,0]
	s_waitcnt vmcnt(26)
	v_fma_mix_f32 v2, v10, v25, v2 op_sel_hi:[0,1,0]
	s_waitcnt vmcnt(25)
	s_delay_alu instid0(VALU_DEP_1) | instskip(SKIP_4) | instid1(VALU_DEP_1)
	v_fma_mix_f32 v2, v11, v26, v2 op_sel_hi:[0,1,0]
	ds_load_b128 v[8:11], v44 offset:48
	s_waitcnt vmcnt(24)
	v_fma_mix_f32 v2, v12, v27, v2 op_sel_hi:[0,1,0]
	s_waitcnt vmcnt(23) lgkmcnt(1)
	v_fma_mix_f32 v2, v4, v28, v2 op_sel_hi:[0,1,0]
	s_waitcnt vmcnt(22)
	s_delay_alu instid0(VALU_DEP_1) | instskip(SKIP_1) | instid1(VALU_DEP_1)
	v_fma_mix_f32 v2, v5, v29, v2 op_sel_hi:[0,1,0]
	s_waitcnt vmcnt(21)
	v_fma_mix_f32 v2, v6, v30, v2 op_sel_hi:[0,1,0]
	s_waitcnt vmcnt(20)
	s_delay_alu instid0(VALU_DEP_1) | instskip(SKIP_4) | instid1(VALU_DEP_1)
	v_fma_mix_f32 v2, v7, v31, v2 op_sel_hi:[0,1,0]
	ds_load_b128 v[4:7], v44 offset:64
	s_waitcnt vmcnt(19) lgkmcnt(1)
	v_fma_mix_f32 v2, v8, v32, v2 op_sel_hi:[0,1,0]
	s_waitcnt vmcnt(18)
	v_fma_mix_f32 v2, v9, v33, v2 op_sel_hi:[0,1,0]
	s_waitcnt vmcnt(17)
	s_delay_alu instid0(VALU_DEP_1) | instskip(SKIP_1) | instid1(VALU_DEP_1)
	v_fma_mix_f32 v2, v10, v17, v2 op_sel_hi:[0,1,0]
	s_waitcnt vmcnt(16)
	v_fma_mix_f32 v2, v11, v18, v2 op_sel_hi:[0,1,0]
	ds_load_b128 v[8:11], v44 offset:80
	s_waitcnt vmcnt(15) lgkmcnt(1)
	v_fma_mix_f32 v2, v4, v19, v2 op_sel_hi:[0,1,0]
	s_waitcnt vmcnt(14)
	s_delay_alu instid0(VALU_DEP_1) | instskip(SKIP_1) | instid1(VALU_DEP_1)
	v_fma_mix_f32 v2, v5, v20, v2 op_sel_hi:[0,1,0]
	s_waitcnt vmcnt(13)
	v_fma_mix_f32 v2, v6, v34, v2 op_sel_hi:[0,1,0]
	s_waitcnt vmcnt(12)
	s_delay_alu instid0(VALU_DEP_1) | instskip(SKIP_4) | instid1(VALU_DEP_1)
	v_fma_mix_f32 v2, v7, v35, v2 op_sel_hi:[0,1,0]
	ds_load_b128 v[4:7], v44 offset:96
	s_waitcnt vmcnt(11) lgkmcnt(1)
	v_fma_mix_f32 v2, v8, v36, v2 op_sel_hi:[0,1,0]
	s_waitcnt vmcnt(10)
	v_fma_mix_f32 v2, v9, v37, v2 op_sel_hi:[0,1,0]
	s_waitcnt vmcnt(9)
	s_delay_alu instid0(VALU_DEP_1) | instskip(SKIP_1) | instid1(VALU_DEP_1)
	v_fma_mix_f32 v2, v10, v38, v2 op_sel_hi:[0,1,0]
	s_waitcnt vmcnt(8)
	v_fma_mix_f32 v2, v11, v39, v2 op_sel_hi:[0,1,0]
	ds_load_b128 v[8:11], v44 offset:112
	s_waitcnt vmcnt(7) lgkmcnt(1)
	v_fma_mix_f32 v2, v4, v40, v2 op_sel_hi:[0,1,0]
	s_waitcnt vmcnt(6)
	s_delay_alu instid0(VALU_DEP_1) | instskip(SKIP_1) | instid1(VALU_DEP_1)
	v_fma_mix_f32 v2, v5, v13, v2 op_sel_hi:[0,1,0]
	s_waitcnt vmcnt(5)
	v_fma_mix_f32 v2, v6, v14, v2 op_sel_hi:[0,1,0]
	s_waitcnt vmcnt(4)
	s_delay_alu instid0(VALU_DEP_1) | instskip(SKIP_1) | instid1(VALU_DEP_1)
	v_fma_mix_f32 v2, v7, v15, v2 op_sel_hi:[0,1,0]
	s_waitcnt vmcnt(3) lgkmcnt(0)
	v_fma_mix_f32 v2, v8, v16, v2 op_sel_hi:[0,1,0]
	s_waitcnt vmcnt(2)
	s_delay_alu instid0(VALU_DEP_1) | instskip(SKIP_1) | instid1(VALU_DEP_1)
	v_fma_mix_f32 v2, v9, v41, v2 op_sel_hi:[0,1,0]
	s_waitcnt vmcnt(1)
	v_fma_mix_f32 v2, v10, v42, v2 op_sel_hi:[0,1,0]
	s_waitcnt vmcnt(0)
	s_delay_alu instid0(VALU_DEP_1)
	v_fma_mix_f32 v4, v11, v43, v2 op_sel_hi:[0,1,0]
	s_branch .LBB25_14
.LBB25_17:
	v_mov_b32_e32 v1, 0
	s_and_b32 vcc_lo, exec_lo, s15
	ds_load_b32 v1, v1 offset:1024
	s_cbranch_vccz .LBB25_19
; %bb.18:
	s_add_u32 s2, s12, s16
	s_addc_u32 s3, s13, s17
	s_load_b32 s2, s[2:3], 0x0
	s_mov_b32 s3, 0
.LBB25_19:
	s_waitcnt lgkmcnt(0)
	v_add_f32_e32 v1, 0x358637bd, v1
	s_mul_i32 s3, s33, s3
	s_mul_hi_u32 s4, s33, s2
	s_mul_i32 s2, s33, s2
	s_add_i32 s3, s4, s3
	v_div_scale_f32 v2, null, v1, v1, 1.0
	v_div_scale_f32 v6, vcc_lo, 1.0, v1, 1.0
	s_lshl_b64 s[2:3], s[2:3], 6
	s_delay_alu instid0(VALU_DEP_2) | instskip(SKIP_4) | instid1(SALU_CYCLE_1)
	v_rcp_f32_e32 v3, v2
	s_mov_b32 s15, 0
	s_add_u32 s2, s0, s2
	s_addc_u32 s3, s1, s3
	s_lshl_b64 s[0:1], s[14:15], 6
	s_add_u32 s0, s2, s0
	s_addc_u32 s1, s3, s1
	v_add_co_u32 v0, s0, s0, v0
	s_waitcnt_depctr 0xfff
	v_fma_f32 v5, -v2, v3, 1.0
	s_delay_alu instid0(VALU_DEP_1) | instskip(NEXT) | instid1(VALU_DEP_1)
	v_fmac_f32_e32 v3, v5, v3
	v_mul_f32_e32 v5, v6, v3
	s_delay_alu instid0(VALU_DEP_1) | instskip(NEXT) | instid1(VALU_DEP_1)
	v_fma_f32 v7, -v2, v5, v6
	v_fmac_f32_e32 v5, v7, v3
	s_delay_alu instid0(VALU_DEP_1) | instskip(NEXT) | instid1(VALU_DEP_1)
	v_fma_f32 v2, -v2, v5, v6
	v_div_fmas_f32 v2, v2, v3, v5
	s_delay_alu instid0(VALU_DEP_1) | instskip(NEXT) | instid1(VALU_DEP_1)
	v_div_fixup_f32 v1, v2, v1, 1.0
	v_fma_mixlo_f16 v1, v4, v1, 0
	s_delay_alu instid0(VALU_DEP_1)
	v_cvt_i16_f16_e32 v2, v1
	v_add_co_ci_u32_e64 v1, null, s1, 0, s0
	global_store_b8 v[0:1], v2, off
	s_nop 0
	s_sendmsg sendmsg(MSG_DEALLOC_VGPRS)
	s_endpgm
.LBB25_20:
	s_mov_b32 s4, 0
	s_branch .LBB25_2
	.section	.rodata,"a",@progbits
	.p2align	6, 0x0
	.amdhsa_kernel _Z35paged_attention_ll4mi_reduce_kernelIDF16_hLi64ELi64ELi256ELi8EEvPT0_PKfS3_PKT_PKiS8_iS3_
		.amdhsa_group_segment_fixed_size 1028
		.amdhsa_private_segment_fixed_size 0
		.amdhsa_kernarg_size 320
		.amdhsa_user_sgpr_count 14
		.amdhsa_user_sgpr_dispatch_ptr 0
		.amdhsa_user_sgpr_queue_ptr 0
		.amdhsa_user_sgpr_kernarg_segment_ptr 1
		.amdhsa_user_sgpr_dispatch_id 0
		.amdhsa_user_sgpr_private_segment_size 0
		.amdhsa_wavefront_size32 1
		.amdhsa_uses_dynamic_stack 0
		.amdhsa_enable_private_segment 0
		.amdhsa_system_sgpr_workgroup_id_x 1
		.amdhsa_system_sgpr_workgroup_id_y 1
		.amdhsa_system_sgpr_workgroup_id_z 0
		.amdhsa_system_sgpr_workgroup_info 0
		.amdhsa_system_vgpr_workitem_id 0
		.amdhsa_next_free_vgpr 48
		.amdhsa_next_free_sgpr 47
		.amdhsa_reserve_vcc 1
		.amdhsa_float_round_mode_32 0
		.amdhsa_float_round_mode_16_64 0
		.amdhsa_float_denorm_mode_32 3
		.amdhsa_float_denorm_mode_16_64 3
		.amdhsa_dx10_clamp 1
		.amdhsa_ieee_mode 1
		.amdhsa_fp16_overflow 0
		.amdhsa_workgroup_processor_mode 1
		.amdhsa_memory_ordered 1
		.amdhsa_forward_progress 0
		.amdhsa_shared_vgpr_count 0
		.amdhsa_exception_fp_ieee_invalid_op 0
		.amdhsa_exception_fp_denorm_src 0
		.amdhsa_exception_fp_ieee_div_zero 0
		.amdhsa_exception_fp_ieee_overflow 0
		.amdhsa_exception_fp_ieee_underflow 0
		.amdhsa_exception_fp_ieee_inexact 0
		.amdhsa_exception_int_div_zero 0
	.end_amdhsa_kernel
	.section	.text._Z35paged_attention_ll4mi_reduce_kernelIDF16_hLi64ELi64ELi256ELi8EEvPT0_PKfS3_PKT_PKiS8_iS3_,"axG",@progbits,_Z35paged_attention_ll4mi_reduce_kernelIDF16_hLi64ELi64ELi256ELi8EEvPT0_PKfS3_PKT_PKiS8_iS3_,comdat
.Lfunc_end25:
	.size	_Z35paged_attention_ll4mi_reduce_kernelIDF16_hLi64ELi64ELi256ELi8EEvPT0_PKfS3_PKT_PKiS8_iS3_, .Lfunc_end25-_Z35paged_attention_ll4mi_reduce_kernelIDF16_hLi64ELi64ELi256ELi8EEvPT0_PKfS3_PKT_PKiS8_iS3_
                                        ; -- End function
	.section	.AMDGPU.csdata,"",@progbits
; Kernel info:
; codeLenInByte = 6548
; NumSgprs: 49
; NumVgprs: 48
; ScratchSize: 0
; MemoryBound: 0
; FloatMode: 240
; IeeeMode: 1
; LDSByteSize: 1028 bytes/workgroup (compile time only)
; SGPRBlocks: 6
; VGPRBlocks: 5
; NumSGPRsForWavesPerEU: 49
; NumVGPRsForWavesPerEU: 48
; Occupancy: 16
; WaveLimiterHint : 0
; COMPUTE_PGM_RSRC2:SCRATCH_EN: 0
; COMPUTE_PGM_RSRC2:USER_SGPR: 14
; COMPUTE_PGM_RSRC2:TRAP_HANDLER: 0
; COMPUTE_PGM_RSRC2:TGID_X_EN: 1
; COMPUTE_PGM_RSRC2:TGID_Y_EN: 1
; COMPUTE_PGM_RSRC2:TGID_Z_EN: 0
; COMPUTE_PGM_RSRC2:TIDIG_COMP_CNT: 0
	.section	.text._Z39paged_attention_ll4mi_QKV_mfma16_kernelIDF16_DF16_LN4vllm18Fp8KVCacheDataTypeE0EhLi16ELi64ELi256ELb1ELi1EL8MFMAType0EEvPKT_PKT0_S8_ifPKiSA_SA_iPKfiiiPfSD_PS3_PT2_iSC_SC_,"axG",@progbits,_Z39paged_attention_ll4mi_QKV_mfma16_kernelIDF16_DF16_LN4vllm18Fp8KVCacheDataTypeE0EhLi16ELi64ELi256ELb1ELi1EL8MFMAType0EEvPKT_PKT0_S8_ifPKiSA_SA_iPKfiiiPfSD_PS3_PT2_iSC_SC_,comdat
	.protected	_Z39paged_attention_ll4mi_QKV_mfma16_kernelIDF16_DF16_LN4vllm18Fp8KVCacheDataTypeE0EhLi16ELi64ELi256ELb1ELi1EL8MFMAType0EEvPKT_PKT0_S8_ifPKiSA_SA_iPKfiiiPfSD_PS3_PT2_iSC_SC_ ; -- Begin function _Z39paged_attention_ll4mi_QKV_mfma16_kernelIDF16_DF16_LN4vllm18Fp8KVCacheDataTypeE0EhLi16ELi64ELi256ELb1ELi1EL8MFMAType0EEvPKT_PKT0_S8_ifPKiSA_SA_iPKfiiiPfSD_PS3_PT2_iSC_SC_
	.globl	_Z39paged_attention_ll4mi_QKV_mfma16_kernelIDF16_DF16_LN4vllm18Fp8KVCacheDataTypeE0EhLi16ELi64ELi256ELb1ELi1EL8MFMAType0EEvPKT_PKT0_S8_ifPKiSA_SA_iPKfiiiPfSD_PS3_PT2_iSC_SC_
	.p2align	8
	.type	_Z39paged_attention_ll4mi_QKV_mfma16_kernelIDF16_DF16_LN4vllm18Fp8KVCacheDataTypeE0EhLi16ELi64ELi256ELb1ELi1EL8MFMAType0EEvPKT_PKT0_S8_ifPKiSA_SA_iPKfiiiPfSD_PS3_PT2_iSC_SC_,@function
_Z39paged_attention_ll4mi_QKV_mfma16_kernelIDF16_DF16_LN4vllm18Fp8KVCacheDataTypeE0EhLi16ELi64ELi256ELb1ELi1EL8MFMAType0EEvPKT_PKT0_S8_ifPKiSA_SA_iPKfiiiPfSD_PS3_PT2_iSC_SC_: ; @_Z39paged_attention_ll4mi_QKV_mfma16_kernelIDF16_DF16_LN4vllm18Fp8KVCacheDataTypeE0EhLi16ELi64ELi256ELb1ELi1EL8MFMAType0EEvPKT_PKT0_S8_ifPKiSA_SA_iPKfiiiPfSD_PS3_PT2_iSC_SC_
; %bb.0:
	s_load_b64 s[4:5], s[0:1], 0x30
	s_mov_b32 s34, s13
	s_waitcnt lgkmcnt(0)
	s_cmp_lg_u64 s[4:5], 0
	s_cselect_b32 s6, -1, 0
	s_ashr_i32 s35, s13, 31
	s_cmp_eq_u64 s[4:5], 0
	s_cbranch_scc1 .LBB26_3
; %bb.1:
	s_lshl_b64 s[2:3], s[34:35], 2
	s_delay_alu instid0(SALU_CYCLE_1) | instskip(SKIP_4) | instid1(SALU_CYCLE_1)
	s_add_u32 s2, s4, s2
	s_addc_u32 s3, s5, s3
	s_load_b64 s[2:3], s[2:3], 0x0
	s_waitcnt lgkmcnt(0)
	s_sub_i32 s2, s3, s2
	s_cmp_eq_u32 s2, 1
	s_cselect_b32 s2, -1, 0
	s_delay_alu instid0(SALU_CYCLE_1)
	s_and_not1_b32 vcc_lo, exec_lo, s2
	s_cbranch_vccz .LBB26_4
.LBB26_2:
	s_endpgm
.LBB26_3:
.LBB26_4:
	s_load_b64 s[2:3], s[0:1], 0x28
	s_lshl_b64 s[8:9], s[34:35], 2
	s_waitcnt lgkmcnt(0)
	s_add_u32 s2, s2, s8
	s_addc_u32 s3, s3, s9
	s_lshl_b32 s62, s14, 8
	s_load_b32 s33, s[2:3], 0x0
	s_waitcnt lgkmcnt(0)
	s_cmp_ge_i32 s62, s33
	s_cbranch_scc1 .LBB26_2
; %bb.5:
	s_clause 0x1
	s_load_b128 s[56:59], s[0:1], 0x8
	s_load_b64 s[2:3], s[0:1], 0x20
	s_and_not1_b32 vcc_lo, exec_lo, s6
	s_mov_b64 s[6:7], s[34:35]
	s_cbranch_vccnz .LBB26_7
; %bb.6:
	s_add_u32 s4, s4, s8
	s_addc_u32 s5, s5, s9
	s_load_b32 s6, s[4:5], 0x0
.LBB26_7:
	s_load_b128 s[52:55], s[0:1], 0x48
	v_and_b32_e32 v145, 15, v0
	s_mov_b32 s12, exec_lo
                                        ; implicit-def: $sgpr24
                                        ; implicit-def: $sgpr36
                                        ; implicit-def: $sgpr16
                                        ; implicit-def: $sgpr4
	s_delay_alu instid0(VALU_DEP_1)
	v_cmpx_eq_u32_e32 0, v145
	s_cbranch_execz .LBB26_9
; %bb.8:
	s_load_b64 s[4:5], s[0:1], 0x0
	s_waitcnt lgkmcnt(0)
	s_mul_hi_i32 s7, s6, s52
	s_mul_i32 s6, s6, s52
	s_delay_alu instid0(SALU_CYCLE_1) | instskip(NEXT) | instid1(SALU_CYCLE_1)
	s_lshl_b64 s[6:7], s[6:7], 1
	s_add_u32 s6, s4, s6
	s_addc_u32 s7, s5, s7
	s_lshl_b32 s4, s15, 6
	s_delay_alu instid0(SALU_CYCLE_1) | instskip(NEXT) | instid1(SALU_CYCLE_1)
	s_ashr_i32 s5, s4, 31
	s_lshl_b64 s[4:5], s[4:5], 1
	s_delay_alu instid0(SALU_CYCLE_1)
	s_add_u32 s4, s6, s4
	s_addc_u32 s5, s7, s5
	s_clause 0x3
	s_load_b256 s[24:31], s[4:5], 0x0
	s_load_b256 s[36:43], s[4:5], 0x20
	;; [unrolled: 1-line block ×4, first 2 shown]
.LBB26_9:
	s_or_b32 exec_lo, exec_lo, s12
	s_waitcnt lgkmcnt(0)
	v_dual_mov_b32 v48, s31 :: v_dual_and_b32 v1, 0xef, v0
	s_add_i32 s13, s33, 15
	s_clause 0x1
	s_load_b32 s12, s[0:1], 0x38
	s_load_b32 s52, s[0:1], 0x1c
	v_dual_mov_b32 v46, s29 :: v_dual_add_nc_u32 v1, s62, v1
	s_ashr_i32 s35, s13, 31
	v_mov_b32_e32 v45, s28
	s_lshr_b32 s35, s35, 28
	s_delay_alu instid0(VALU_DEP_2)
	v_ashrrev_i32_e32 v2, 31, v1
	v_or_b32_e32 v3, 16, v1
	s_add_i32 s13, s13, s35
	v_cmp_gt_i32_e32 vcc_lo, s33, v1
	s_ashr_i32 s35, s13, 4
	v_lshrrev_b32_e32 v2, 28, v2
	s_add_i32 s35, s35, -1
	v_mov_b32_e32 v43, s26
	v_mov_b32_e32 v41, s24
	v_dual_mov_b32 v162, s43 :: v_dual_lshlrev_b32 v37, 5, v145
	v_dual_mov_b32 v47, s30 :: v_dual_add_nc_u32 v4, v1, v2
	s_waitcnt lgkmcnt(0)
	s_mul_i32 s12, s34, s12
	v_mov_b32_e32 v160, s41
	s_ashr_i32 s13, s12, 31
	v_ashrrev_i32_e32 v4, 4, v4
	v_add_nc_u32_e32 v2, v3, v2
	s_lshl_b64 s[12:13], s[12:13], 2
	v_mov_b32_e32 v158, s39
	s_add_u32 s63, s2, s12
	v_cndmask_b32_e32 v1, s35, v4, vcc_lo
	v_ashrrev_i32_e32 v2, 4, v2
	v_cmp_gt_i32_e32 vcc_lo, s33, v3
	s_addc_u32 s64, s3, s13
	s_mul_i32 s2, s15, s54
	v_mov_b32_e32 v156, s37
	s_ashr_i32 s3, s2, 31
	v_cndmask_b32_e32 v3, s35, v2, vcc_lo
	v_ashrrev_i32_e32 v2, 31, v1
	s_lshl_b64 s[2:3], s[2:3], 1
	v_lshrrev_b32_e32 v146, 5, v0
	s_add_u32 s56, s56, s2
	v_ashrrev_i32_e32 v4, 31, v3
	v_lshlrev_b64 v[1:2], 2, v[1:2]
	s_addc_u32 s57, s57, s3
	s_lshl_b32 s12, s14, 4
	v_mov_b32_e32 v44, s27
	v_lshlrev_b64 v[3:4], 2, v[3:4]
	s_ashr_i32 s13, s12, 31
	v_add_co_u32 v1, vcc_lo, s63, v1
	v_add_co_ci_u32_e32 v2, vcc_lo, s64, v2, vcc_lo
	s_delay_alu instid0(VALU_DEP_3) | instskip(NEXT) | instid1(VALU_DEP_4)
	v_add_co_u32 v3, vcc_lo, s63, v3
	v_add_co_ci_u32_e32 v4, vcc_lo, s64, v4, vcc_lo
	s_clause 0x1
	global_load_b32 v5, v[1:2], off
	global_load_b32 v6, v[3:4], off
	s_lshl_b64 s[12:13], s[12:13], 2
	v_lshlrev_b32_e32 v3, 4, v0
	s_add_u32 s12, s63, s12
	s_addc_u32 s13, s64, s13
	s_or_b32 s44, s62, 16
	v_mov_b32_e32 v42, s25
	s_ashr_i32 s45, s44, 4
	s_cmp_lt_i32 s44, s33
	s_cselect_b32 s44, s45, s35
	s_delay_alu instid0(SALU_CYCLE_1) | instskip(NEXT) | instid1(SALU_CYCLE_1)
	s_ashr_i32 s45, s44, 31
	s_lshl_b64 s[44:45], s[44:45], 2
	s_delay_alu instid0(SALU_CYCLE_1) | instskip(SKIP_2) | instid1(SALU_CYCLE_1)
	s_add_u32 s44, s63, s44
	s_addc_u32 s45, s64, s45
	s_or_b32 s46, s62, 32
	s_ashr_i32 s47, s46, 4
	s_cmp_lt_i32 s46, s33
	s_cselect_b32 s46, s47, s35
	s_delay_alu instid0(SALU_CYCLE_1) | instskip(NEXT) | instid1(SALU_CYCLE_1)
	s_ashr_i32 s47, s46, 31
	s_lshl_b64 s[46:47], s[46:47], 2
	s_delay_alu instid0(SALU_CYCLE_1) | instskip(SKIP_2) | instid1(SALU_CYCLE_1)
	s_add_u32 s46, s63, s46
	s_addc_u32 s47, s64, s47
	s_or_b32 s48, s62, 48
	;; [unrolled: 10-line block ×4, first 2 shown]
	s_ashr_i32 s55, s54, 4
	s_cmp_lt_i32 s54, s33
	s_cselect_b32 s54, s55, s35
	s_delay_alu instid0(SALU_CYCLE_1) | instskip(NEXT) | instid1(SALU_CYCLE_1)
	s_ashr_i32 s55, s54, 31
	s_lshl_b64 s[54:55], s[54:55], 2
	s_delay_alu instid0(SALU_CYCLE_1)
	s_add_u32 s54, s63, s54
	s_addc_u32 s55, s64, s55
	s_clause 0x5
	s_load_b32 s12, s[12:13], 0x0
	s_load_b32 s69, s[44:45], 0x0
	;; [unrolled: 1-line block ×6, first 2 shown]
	s_waitcnt lgkmcnt(0)
	s_mul_hi_i32 s29, s67, s53
	s_waitcnt vmcnt(1)
	v_mad_i64_i32 v[1:2], null, v5, s53, 0
	v_and_b32_e32 v5, 0xf0, v3
	s_waitcnt vmcnt(0)
	v_mad_i64_i32 v[3:4], null, v6, s53, 0
	s_delay_alu instid0(VALU_DEP_2) | instskip(NEXT) | instid1(VALU_DEP_4)
	v_add_co_u32 v5, s13, s56, v5
	v_lshlrev_b64 v[1:2], 1, v[1:2]
	v_add_co_ci_u32_e64 v6, null, s57, 0, s13
	s_delay_alu instid0(VALU_DEP_4) | instskip(SKIP_1) | instid1(VALU_DEP_3)
	v_lshlrev_b64 v[3:4], 1, v[3:4]
	s_or_b32 s13, s62, 0x60
	v_add_co_u32 v33, vcc_lo, v5, v1
	s_delay_alu instid0(VALU_DEP_3) | instskip(NEXT) | instid1(VALU_DEP_3)
	v_add_co_ci_u32_e32 v34, vcc_lo, v6, v2, vcc_lo
	v_add_co_u32 v35, vcc_lo, v5, v3
	s_delay_alu instid0(VALU_DEP_4)
	v_add_co_ci_u32_e32 v36, vcc_lo, v6, v4, vcc_lo
	s_clause 0xf
	global_load_b128 v[1:4], v[33:34], off
	global_load_b128 v[5:8], v[33:34], off offset:256
	global_load_b128 v[9:12], v[35:36], off
	global_load_b128 v[13:16], v[35:36], off offset:256
	global_load_b128 v[25:28], v[33:34], off offset:512
	;; [unrolled: 1-line block ×13, first 2 shown]
	s_ashr_i32 s44, s13, 4
	s_cmp_lt_i32 s13, s33
	v_lshl_or_b32 v33, v146, 9, v37
	s_cselect_b32 s44, s44, s35
	s_delay_alu instid0(SALU_CYCLE_1) | instskip(NEXT) | instid1(SALU_CYCLE_1)
	s_ashr_i32 s45, s44, 31
	s_lshl_b64 s[44:45], s[44:45], 2
	s_delay_alu instid0(SALU_CYCLE_1) | instskip(SKIP_2) | instid1(SALU_CYCLE_1)
	s_add_u32 s54, s63, s44
	s_addc_u32 s55, s64, s45
	s_or_b32 s13, s62, 0x70
	s_ashr_i32 s44, s13, 4
	s_cmp_lt_i32 s13, s33
	s_cselect_b32 s44, s44, s35
	s_delay_alu instid0(SALU_CYCLE_1) | instskip(NEXT) | instid1(SALU_CYCLE_1)
	s_ashr_i32 s45, s44, 31
	s_lshl_b64 s[44:45], s[44:45], 2
	s_delay_alu instid0(SALU_CYCLE_1)
	s_add_u32 s56, s63, s44
	s_addc_u32 s57, s64, s45
	s_or_b32 s13, s62, 0x80
	s_mov_b32 s44, 0
	s_ashr_i32 s45, s13, 4
	s_cmp_lt_i32 s13, s33
	s_mov_b32 s48, s44
	s_cselect_b32 s46, s45, s35
	s_mov_b32 s45, s44
	s_ashr_i32 s47, s46, 31
	s_mov_b32 s49, s44
	s_lshl_b64 s[46:47], s[46:47], 2
	s_mov_b32 s50, s44
	s_add_u32 s60, s63, s46
	s_addc_u32 s61, s64, s47
	s_or_b32 s13, s62, 0x90
	s_mov_b32 s46, s44
	s_ashr_i32 s24, s13, 4
	s_cmp_lt_i32 s13, s33
	s_mov_b32 s47, s44
	s_cselect_b32 s24, s24, s35
	s_mov_b32 s51, s44
	s_ashr_i32 s25, s24, 31
	v_dual_mov_b32 v161, s42 :: v_dual_mov_b32 v136, s51
	s_lshl_b64 s[24:25], s[24:25], 2
	v_dual_mov_b32 v159, s40 :: v_dual_mov_b32 v134, s49
	v_dual_mov_b32 v157, s38 :: v_dual_mov_b32 v132, s47
	;; [unrolled: 1-line block ×3, first 2 shown]
	s_add_u32 s36, s63, s24
	s_addc_u32 s37, s64, s25
	s_or_b32 s13, s62, 0xa0
	v_mov_b32_e32 v135, s50
	s_ashr_i32 s24, s13, 4
	s_cmp_lt_i32 s13, s33
	v_mov_b32_e32 v133, s48
	s_cselect_b32 s24, s24, s35
	v_mov_b32_e32 v131, s46
	s_ashr_i32 s25, s24, 31
	v_mov_b32_e32 v129, s44
	s_lshl_b64 s[24:25], s[24:25], 2
	s_clause 0x2
	s_load_b32 s49, s[54:55], 0x0
	s_load_b32 s50, s[56:57], 0x0
	;; [unrolled: 1-line block ×3, first 2 shown]
	s_add_u32 s38, s63, s24
	s_addc_u32 s39, s64, s25
	s_or_b32 s13, s62, 0xb0
	s_clause 0x1
	s_load_b32 s48, s[36:37], 0x0
	s_load_b32 s47, s[38:39], 0x0
	s_ashr_i32 s24, s13, 4
	s_cmp_lt_i32 s13, s33
	s_mul_hi_i32 s13, s12, s53
	s_cselect_b32 s26, s24, s35
	s_mul_i32 s12, s12, s53
	s_ashr_i32 s27, s26, 31
	s_mul_hi_i32 s25, s69, s53
	s_lshl_b64 s[26:27], s[26:27], 2
	s_mul_i32 s24, s69, s53
	s_add_u32 s40, s63, s26
	s_addc_u32 s41, s64, s27
	s_or_b32 s26, s62, 0xc0
	s_mul_hi_i32 s27, s68, s53
	s_ashr_i32 s28, s26, 4
	s_cmp_lt_i32 s26, s33
	s_mul_i32 s26, s68, s53
	s_cselect_b32 s30, s28, s35
	s_mul_i32 s28, s67, s53
	s_ashr_i32 s31, s30, 31
	s_mul_hi_i32 s37, s65, s53
	s_lshl_b64 s[42:43], s[30:31], 2
	s_mul_hi_i32 s31, s66, s53
	s_add_u32 s42, s63, s42
	s_addc_u32 s43, s64, s43
	s_or_b32 s30, s62, 0xd0
	s_mul_i32 s36, s65, s53
	s_ashr_i32 s44, s30, 4
	s_cmp_lt_i32 s30, s33
	s_mul_i32 s30, s66, s53
	s_cselect_b32 s44, s44, s35
	s_delay_alu instid0(SALU_CYCLE_1) | instskip(NEXT) | instid1(SALU_CYCLE_1)
	s_ashr_i32 s45, s44, 31
	s_lshl_b64 s[44:45], s[44:45], 2
	s_delay_alu instid0(SALU_CYCLE_1)
	s_add_u32 s38, s63, s44
	s_addc_u32 s39, s64, s45
	s_or_b32 s54, s62, 0xe0
	s_clause 0x2
	s_load_b32 s46, s[40:41], 0x0
	s_load_b32 s45, s[42:43], 0x0
	s_load_b32 s44, s[38:39], 0x0
	s_ashr_i32 s55, s54, 4
	s_cmp_lt_i32 s54, s33
	s_waitcnt lgkmcnt(0)
	s_mul_hi_i32 s41, s50, s53
	s_mul_i32 s40, s50, s53
	s_cselect_b32 s50, s55, s35
	s_mul_hi_i32 s43, s51, s53
	s_mul_i32 s42, s51, s53
	s_ashr_i32 s51, s50, 31
	s_mul_hi_i32 s39, s49, s53
	s_lshl_b64 s[50:51], s[50:51], 2
	s_mul_i32 s38, s49, s53
	s_add_u32 s50, s63, s50
	s_addc_u32 s51, s64, s51
	s_or_b32 s56, s62, 0xf0
	s_mul_hi_i32 s49, s48, s53
	s_ashr_i32 s57, s56, 4
	s_cmp_lt_i32 s56, s33
	s_mul_i32 s48, s48, s53
	s_cselect_b32 s56, s57, s35
	s_mul_hi_i32 s55, s47, s53
	s_ashr_i32 s57, s56, 31
	s_mul_i32 s54, s47, s53
	s_lshl_b64 s[56:57], s[56:57], 2
	s_mul_hi_i32 s47, s46, s53
	s_add_u32 s56, s63, s56
	s_addc_u32 s57, s64, s57
	s_add_u32 s35, s58, s2
	s_addc_u32 s58, s59, s3
	v_add_co_u32 v193, s35, s35, v33
	s_delay_alu instid0(VALU_DEP_1) | instskip(SKIP_2) | instid1(VALU_DEP_2)
	v_add_co_ci_u32_e64 v194, null, s58, 0, s35
	s_lshl_b64 s[2:3], s[12:13], 1
	s_lshl_b64 s[12:13], s[24:25], 1
	v_add_co_u32 v33, vcc_lo, v193, s2
	s_delay_alu instid0(VALU_DEP_2)
	v_add_co_ci_u32_e32 v34, vcc_lo, s3, v194, vcc_lo
	v_add_co_u32 v35, vcc_lo, v193, s12
	s_lshl_b64 s[24:25], s[26:27], 1
	v_add_co_ci_u32_e32 v36, vcc_lo, s13, v194, vcc_lo
	v_add_co_u32 v37, vcc_lo, v193, s24
	s_lshl_b64 s[26:27], s[28:29], 1
	;; [unrolled: 3-line block ×6, first 2 shown]
	s_clause 0x1
	s_load_b32 s35, s[50:51], 0x0
	s_load_b32 s50, s[56:57], 0x0
	v_add_co_ci_u32_e32 v54, vcc_lo, s37, v194, vcc_lo
	v_add_co_u32 v55, vcc_lo, v193, s38
	s_lshl_b64 s[40:41], s[42:43], 1
	v_add_co_ci_u32_e32 v56, vcc_lo, s39, v194, vcc_lo
	v_add_co_u32 v61, vcc_lo, v193, s40
	s_lshl_b64 s[42:43], s[48:49], 1
	v_add_co_ci_u32_e32 v62, vcc_lo, s41, v194, vcc_lo
	v_add_co_u32 v179, vcc_lo, v193, s42
	s_lshl_b64 s[48:49], s[54:55], 1
	s_mul_i32 s46, s46, s53
	v_add_co_ci_u32_e32 v180, vcc_lo, s43, v194, vcc_lo
	v_add_co_u32 v181, vcc_lo, v193, s48
	s_lshl_b64 s[46:47], s[46:47], 1
	s_mul_hi_i32 s61, s45, s53
	s_mul_i32 s60, s45, s53
	v_add_co_ci_u32_e32 v182, vcc_lo, s49, v194, vcc_lo
	v_add_co_u32 v187, vcc_lo, v193, s46
	s_clause 0x15
	global_load_b128 v[121:124], v[33:34], off
	global_load_b128 v[125:128], v[33:34], off offset:16
	global_load_b128 v[113:116], v[35:36], off
	global_load_b128 v[117:120], v[35:36], off offset:16
	;; [unrolled: 2-line block ×11, first 2 shown]
	s_lshl_b64 s[54:55], s[60:61], 1
	s_mul_hi_i32 s45, s44, s53
	s_mul_i32 s44, s44, s53
	v_add_co_ci_u32_e32 v188, vcc_lo, s47, v194, vcc_lo
	v_add_co_u32 v189, vcc_lo, v193, s54
	s_lshl_b64 s[44:45], s[44:45], 1
	v_add_co_ci_u32_e32 v190, vcc_lo, s55, v194, vcc_lo
	s_waitcnt lgkmcnt(0)
	s_mul_hi_i32 s3, s35, s53
	s_mul_i32 s2, s35, s53
	v_add_co_u32 v191, vcc_lo, v193, s44
	s_lshl_b64 s[2:3], s[2:3], 1
	v_add_co_ci_u32_e32 v192, vcc_lo, s45, v194, vcc_lo
	s_mul_hi_i32 s13, s50, s53
	s_mul_i32 s12, s50, s53
	s_waitcnt vmcnt(36)
	v_wmma_f32_16x16x16_f16 v[179:186], v[1:8], v[41:48], v[129:136]
	s_waitcnt vmcnt(34)
	v_wmma_f32_16x16x16_f16 v[129:136], v[9:16], v[41:48], v[129:136]
	v_add_co_u32 v45, vcc_lo, v193, s2
	v_add_co_ci_u32_e32 v46, vcc_lo, s3, v194, vcc_lo
	s_lshl_b64 s[2:3], s[12:13], 1
	s_clause 0x3
	global_load_b128 v[1:4], v[187:188], off
	global_load_b128 v[5:8], v[187:188], off offset:16
	global_load_b128 v[9:12], v[189:190], off
	global_load_b128 v[13:16], v[189:190], off offset:16
	v_add_co_u32 v187, vcc_lo, v193, s2
	v_add_co_ci_u32_e32 v188, vcc_lo, s3, v194, vcc_lo
	s_waitcnt vmcnt(36)
	v_wmma_f32_16x16x16_f16 v[179:186], v[25:32], v[155:162], v[179:186]
	s_clause 0x1
	global_load_b128 v[25:28], v[191:192], off
	global_load_b128 v[29:32], v[191:192], off offset:16
	s_waitcnt vmcnt(36)
	v_wmma_f32_16x16x16_f16 v[129:136], v[17:24], v[155:162], v[129:136]
	s_clause 0x3
	global_load_b128 v[41:44], v[45:46], off
	global_load_b128 v[45:48], v[45:46], off offset:16
	global_load_b128 v[17:20], v[187:188], off
	global_load_b128 v[21:24], v[187:188], off offset:16
	v_dual_mov_b32 v162, s23 :: v_dual_mov_b32 v161, s22
	v_dual_mov_b32 v160, s21 :: v_dual_mov_b32 v159, s20
	;; [unrolled: 1-line block ×4, first 2 shown]
	s_waitcnt vmcnt(0)
	s_barrier
	buffer_gl0_inv
	v_wmma_f32_16x16x16_f16 v[129:136], v[147:154], v[155:162], v[129:136]
	v_mov_b32_e32 v154, s11
	v_dual_mov_b32 v148, s5 :: v_dual_mov_b32 v153, s10
	v_dual_mov_b32 v152, s9 :: v_dual_mov_b32 v151, s8
	v_mov_b32_e32 v150, s7
	v_wmma_f32_16x16x16_f16 v[179:186], v[137:144], v[155:162], v[179:186]
	v_mbcnt_lo_u32_b32 v138, -1, 0
	v_mov_b32_e32 v149, s6
	v_mov_b32_e32 v147, s4
	v_bfe_u32 v137, v0, 4, 1
	s_delay_alu instid0(VALU_DEP_4) | instskip(NEXT) | instid1(VALU_DEP_3)
	v_xor_b32_e32 v140, 16, v138
	v_wmma_f32_16x16x16_f16 v[179:186], v[163:170], v[147:154], v[179:186]
	v_and_b32_e32 v187, 0xe0, v0
	v_wmma_f32_16x16x16_f16 v[129:136], v[171:178], v[147:154], v[129:136]
	s_delay_alu instid0(VALU_DEP_4) | instskip(NEXT) | instid1(VALU_DEP_3)
	v_cmp_gt_i32_e32 vcc_lo, 32, v140
	v_dual_mul_f32 v148, s52, v185 :: v_dual_add_nc_u32 v139, s62, v187
	v_mul_f32_e32 v154, s52, v179
	v_cndmask_b32_e32 v138, v138, v140, vcc_lo
	v_mul_f32_e32 v153, s52, v180
	v_dual_mul_f32 v151, s52, v182 :: v_dual_mul_f32 v172, s52, v129
	v_or_b32_e32 v139, v139, v137
	v_dual_mul_f32 v152, s52, v181 :: v_dual_mul_f32 v149, s52, v184
	v_mul_f32_e32 v170, s52, v131
	v_mul_f32_e32 v150, s52, v183
	s_delay_alu instid0(VALU_DEP_4)
	v_or_b32_e32 v140, 2, v139
	v_or_b32_e32 v141, 4, v139
	;; [unrolled: 1-line block ×3, first 2 shown]
	v_cmp_gt_i32_e32 vcc_lo, s33, v139
	v_or_b32_e32 v143, 8, v139
	v_cmp_gt_i32_e64 s2, s33, v140
	v_or_b32_e32 v144, 10, v139
	v_or_b32_e32 v155, 12, v139
	;; [unrolled: 1-line block ×11, first 2 shown]
	v_cndmask_b32_e32 v139, 0xff7fffff, v154, vcc_lo
	v_cndmask_b32_e64 v140, 0xff7fffff, v153, s2
	v_cmp_gt_i32_e64 s3, s33, v141
	v_cmp_gt_i32_e64 s4, s33, v142
	;; [unrolled: 1-line block ×4, first 2 shown]
	v_max3_f32 v139, v139, 0xff7fffff, v140
	v_cndmask_b32_e64 v141, 0xff7fffff, v152, s3
	v_cndmask_b32_e64 v142, 0xff7fffff, v151, s4
	v_dual_mul_f32 v147, s52, v186 :: v_dual_mul_f32 v168, s52, v133
	v_cndmask_b32_e64 v140, 0xff7fffff, v150, s5
	v_cndmask_b32_e64 v143, 0xff7fffff, v149, s6
	s_delay_alu instid0(VALU_DEP_4)
	v_max3_f32 v139, v139, v141, v142
	v_cmp_gt_i32_e64 s7, s33, v155
	v_cmp_gt_i32_e64 s8, s33, v156
	v_mul_f32_e32 v171, s52, v130
	v_cmp_gt_i32_e64 s9, s33, v157
	v_max3_f32 v139, v139, v140, v143
	v_cndmask_b32_e64 v141, 0xff7fffff, v148, s7
	v_cndmask_b32_e64 v142, 0xff7fffff, v147, s8
	v_cmp_gt_i32_e64 s10, s33, v158
	v_mul_f32_e32 v169, s52, v132
	v_cndmask_b32_e64 v140, 0xff7fffff, v172, s9
	v_cmp_gt_i32_e64 s11, s33, v159
	v_max3_f32 v139, v139, v141, v142
	v_cndmask_b32_e64 v143, 0xff7fffff, v171, s10
	v_cmp_gt_i32_e64 s12, s33, v160
	v_mul_f32_e32 v167, s52, v134
	v_cndmask_b32_e64 v141, 0xff7fffff, v170, s11
	v_cmp_gt_i32_e64 s13, s33, v161
	v_max3_f32 v139, v139, v140, v143
	v_cndmask_b32_e64 v142, 0xff7fffff, v169, s12
	v_cmp_gt_i32_e64 s16, s33, v162
	v_dual_mul_f32 v165, s52, v136 :: v_dual_mul_f32 v166, s52, v135
	v_cndmask_b32_e64 v140, 0xff7fffff, v168, s13
	s_delay_alu instid0(VALU_DEP_4) | instskip(NEXT) | instid1(VALU_DEP_4)
	v_max3_f32 v139, v139, v141, v142
	v_cndmask_b32_e64 v143, 0xff7fffff, v167, s16
	v_cmp_gt_i32_e64 s17, s33, v163
	v_cmp_gt_i32_e64 s18, s33, v164
	s_delay_alu instid0(VALU_DEP_3) | instskip(NEXT) | instid1(VALU_DEP_3)
	v_max3_f32 v139, v139, v140, v143
	v_cndmask_b32_e64 v141, 0xff7fffff, v166, s17
	s_delay_alu instid0(VALU_DEP_3) | instskip(SKIP_1) | instid1(VALU_DEP_2)
	v_cndmask_b32_e64 v142, 0xff7fffff, v165, s18
	v_lshlrev_b32_e32 v140, 2, v138
	v_max3_f32 v138, v139, v141, v142
	ds_bpermute_b32 v139, v140, v138
	s_waitcnt lgkmcnt(0)
	v_max_f32_e32 v139, v139, v139
	s_delay_alu instid0(VALU_DEP_1) | instskip(NEXT) | instid1(VALU_DEP_1)
	v_max_f32_e32 v138, v138, v139
	v_fma_f32 v139, s52, v179, -v138
	v_fma_f32 v141, s52, v180, -v138
	;; [unrolled: 1-line block ×5, first 2 shown]
	v_mul_f32_e32 v139, 0x3fb8aa3b, v139
	s_delay_alu instid0(VALU_DEP_4) | instskip(NEXT) | instid1(VALU_DEP_4)
	v_dual_mul_f32 v141, 0x3fb8aa3b, v141 :: v_dual_mul_f32 v134, 0x3fb8aa3b, v134
	v_mul_f32_e32 v142, 0x3fb8aa3b, v142
	v_fma_f32 v144, s52, v183, -v138
	s_delay_alu instid0(VALU_DEP_4) | instskip(NEXT) | instid1(VALU_DEP_3)
	v_exp_f32_e32 v139, v139
	v_exp_f32_e32 v141, v141
	v_mul_f32_e32 v143, 0x3fb8aa3b, v143
	v_exp_f32_e32 v142, v142
	v_mul_f32_e32 v144, 0x3fb8aa3b, v144
	v_fma_f32 v149, s52, v185, -v138
	v_fma_f32 v129, s52, v129, -v138
	v_exp_f32_e32 v143, v143
	v_fma_f32 v130, s52, v130, -v138
	v_exp_f32_e32 v144, v144
	v_cndmask_b32_e32 v148, 0, v139, vcc_lo
	v_fma_f32 v139, s52, v184, -v138
	v_cndmask_b32_e64 v147, 0, v141, s2
	v_cndmask_b32_e64 v150, 0, v142, s3
	v_fma_f32 v142, s52, v186, -v138
	v_add_f32_e32 v141, 0, v148
	v_mul_f32_e32 v139, 0x3fb8aa3b, v139
	v_mul_f32_e32 v151, 0x3fb8aa3b, v149
	v_cndmask_b32_e64 v149, 0, v143, s4
	s_delay_alu instid0(VALU_DEP_4) | instskip(NEXT) | instid1(VALU_DEP_4)
	v_dual_mul_f32 v142, 0x3fb8aa3b, v142 :: v_dual_add_f32 v141, v141, v147
	v_exp_f32_e32 v139, v139
	s_delay_alu instid0(VALU_DEP_3)
	v_exp_f32_e32 v143, v151
	v_cndmask_b32_e64 v152, 0, v144, s5
	v_mul_f32_e32 v129, 0x3fb8aa3b, v129
	v_add_f32_e32 v141, v141, v150
	v_exp_f32_e32 v142, v142
	v_fma_f32 v131, s52, v131, -v138
	v_mul_f32_e32 v130, 0x3fb8aa3b, v130
	v_exp_f32_e32 v129, v129
	v_add_f32_e32 v141, v141, v149
	v_cndmask_b32_e64 v151, 0, v139, s6
	v_cndmask_b32_e64 v153, 0, v143, s7
	v_mul_f32_e32 v131, 0x3fb8aa3b, v131
	v_exp_f32_e32 v130, v130
	v_add_f32_e32 v139, v141, v152
	v_fma_f32 v141, s52, v132, -v138
	v_cndmask_b32_e64 v132, 0, v142, s8
	v_fma_f32 v133, s52, v133, -v138
	v_exp_f32_e32 v131, v131
	v_add_f32_e32 v139, v139, v151
	v_mul_f32_e32 v141, 0x3fb8aa3b, v141
	v_cndmask_b32_e64 v154, 0, v129, s9
	v_fma_f32 v136, s52, v136, -v138
	s_mov_b32 s3, exec_lo
	v_add_f32_e32 v139, v139, v153
	v_exp_f32_e32 v141, v141
	s_delay_alu instid0(VALU_DEP_1)
	v_add_f32_e32 v129, v139, v132
	v_mul_f32_e32 v139, 0x3fb8aa3b, v133
	v_cndmask_b32_e64 v133, 0, v130, s10
	v_fma_f32 v130, s52, v135, -v138
	v_cndmask_b32_e64 v135, 0, v131, s11
	v_add_f32_e32 v129, v129, v154
	v_exp_f32_e32 v139, v139
	v_exp_f32_e32 v131, v134
	v_mul_f32_e32 v130, 0x3fb8aa3b, v130
	v_cndmask_b32_e64 v134, 0, v141, s12
	v_add_f32_e32 v129, v129, v133
	s_delay_alu instid0(VALU_DEP_3) | instskip(NEXT) | instid1(VALU_DEP_1)
	v_exp_f32_e32 v130, v130
	v_add_f32_e32 v129, v129, v135
	s_delay_alu instid0(TRANS32_DEP_3) | instskip(SKIP_1) | instid1(TRANS32_DEP_2)
	v_cndmask_b32_e64 v155, 0, v139, s13
	v_mul_f32_e32 v139, 0x3fb8aa3b, v136
	v_cndmask_b32_e64 v136, 0, v131, s16
	s_delay_alu instid0(VALU_DEP_4) | instskip(NEXT) | instid1(VALU_DEP_3)
	v_add_f32_e32 v129, v129, v134
	v_exp_f32_e32 v131, v139
	s_delay_alu instid0(TRANS32_DEP_2) | instskip(NEXT) | instid1(VALU_DEP_2)
	v_cndmask_b32_e64 v157, 0, v130, s17
	v_add_f32_e32 v129, v129, v155
	s_delay_alu instid0(VALU_DEP_1) | instskip(SKIP_4) | instid1(VALU_DEP_2)
	v_add_f32_e32 v129, v129, v136
	s_waitcnt_depctr 0xfff
	v_cndmask_b32_e64 v156, 0, v131, s18
	v_and_b32_e32 v131, 31, v0
	v_add_f32_e32 v129, v129, v157
	v_cmp_lt_u32_e64 s2, 15, v131
	s_delay_alu instid0(VALU_DEP_2)
	v_add_f32_e32 v129, v129, v156
	ds_bpermute_b32 v130, v140, v129
	v_cmpx_gt_u32_e32 16, v131
	s_cbranch_execz .LBB26_11
; %bb.10:
	v_mul_u32_u24_e32 v131, 0x44, v146
	s_delay_alu instid0(VALU_DEP_1) | instskip(SKIP_1) | instid1(VALU_DEP_1)
	v_lshl_add_u32 v131, v145, 2, v131
	s_waitcnt lgkmcnt(0)
	v_dual_add_f32 v129, v129, v130 :: v_dual_add_nc_u32 v130, 0x4000, v131
	ds_store_2addr_b32 v130, v138, v129 offset1:136
.LBB26_11:
	s_or_b32 exec_lo, exec_lo, s3
	v_lshlrev_b32_e32 v129, 2, v145
	s_load_b64 s[36:37], s[0:1], 0x94
	s_waitcnt lgkmcnt(0)
	s_barrier
	buffer_gl0_inv
	v_add_nc_u32_e32 v129, 0x4000, v129
	v_cmp_eq_u32_e32 vcc_lo, 1, v146
	v_cmp_eq_u32_e64 s3, 2, v146
	v_cmp_eq_u32_e64 s5, 3, v146
	;; [unrolled: 1-line block ×3, first 2 shown]
	ds_load_2addr_b32 v[138:139], v129 offset1:17
	ds_load_2addr_b32 v[140:141], v129 offset0:34 offset1:51
	ds_load_2addr_b32 v[142:143], v129 offset0:68 offset1:85
	;; [unrolled: 1-line block ×3, first 2 shown]
	v_cmp_eq_u32_e64 s7, 5, v146
	v_cmp_eq_u32_e64 s4, 6, v146
	s_waitcnt lgkmcnt(3)
	v_max3_f32 v130, v138, 0xff7fffff, v139
	s_waitcnt lgkmcnt(2)
	s_delay_alu instid0(VALU_DEP_1) | instskip(SKIP_1) | instid1(VALU_DEP_1)
	v_max3_f32 v130, v130, v140, v141
	s_waitcnt lgkmcnt(1)
	v_max3_f32 v130, v130, v142, v143
	s_waitcnt lgkmcnt(0)
	s_delay_alu instid0(VALU_DEP_1) | instskip(NEXT) | instid1(VALU_DEP_1)
	v_max3_f32 v130, v130, v158, v159
	v_sub_f32_e32 v140, v140, v130
	ds_load_2addr_b32 v[160:161], v129 offset0:136 offset1:153
	v_sub_f32_e32 v144, v139, v130
	v_sub_f32_e32 v131, v138, v130
	ds_load_2addr_b32 v[138:139], v129 offset0:170 offset1:187
	v_sub_f32_e32 v142, v142, v130
	v_dual_mul_f32 v144, 0x3fb8aa3b, v144 :: v_dual_mul_f32 v131, 0x3fb8aa3b, v131
	s_delay_alu instid0(VALU_DEP_1) | instskip(NEXT) | instid1(VALU_DEP_1)
	v_exp_f32_e32 v144, v144
	v_exp_f32_e32 v162, v131
	v_sub_f32_e32 v131, v141, v130
	v_mul_f32_e32 v163, 0x3fb8aa3b, v140
	ds_load_2addr_b32 v[140:141], v129 offset0:204 offset1:221
	v_dual_mul_f32 v165, 0x3fb8aa3b, v142 :: v_dual_mul_f32 v164, 0x3fb8aa3b, v131
	v_exp_f32_e32 v163, v163
	s_waitcnt lgkmcnt(2)
	v_fma_f32 v131, v162, v160, 0
	v_sub_f32_e32 v160, v143, v130
	v_exp_f32_e32 v164, v164
	ds_load_2addr_b32 v[142:143], v129 offset0:238 offset1:255
	v_sub_f32_e32 v129, v158, v130
	v_dual_fmac_f32 v131, v144, v161 :: v_dual_mul_f32 v158, 0x3fb8aa3b, v160
	s_waitcnt lgkmcnt(0)
	s_barrier
	s_delay_alu instid0(VALU_DEP_2) | instskip(NEXT) | instid1(VALU_DEP_2)
	v_mul_f32_e32 v129, 0x3fb8aa3b, v129
	v_fmac_f32_e32 v131, v163, v138
	v_sub_f32_e32 v138, v159, v130
	v_exp_f32_e32 v158, v158
	buffer_gl0_inv
	v_exp_f32_e32 v159, v129
	v_dual_fmac_f32 v131, v164, v139 :: v_dual_mul_f32 v138, 0x3fb8aa3b, v138
	s_delay_alu instid0(VALU_DEP_1) | instskip(SKIP_4) | instid1(VALU_DEP_1)
	v_exp_f32_e32 v161, v138
	v_cndmask_b32_e32 v138, v162, v144, vcc_lo
	v_exp_f32_e32 v160, v165
	s_waitcnt_depctr 0xfff
	v_fmac_f32_e32 v131, v160, v140
	v_fmac_f32_e32 v131, v158, v141
	s_delay_alu instid0(VALU_DEP_1) | instskip(NEXT) | instid1(VALU_DEP_1)
	v_dual_fmac_f32 v131, v159, v142 :: v_dual_lshlrev_b32 v142, 6, v145
	v_fmac_f32_e32 v131, v161, v143
	s_delay_alu instid0(VALU_DEP_2) | instskip(NEXT) | instid1(VALU_DEP_2)
	v_lshl_or_b32 v144, v146, 11, v142
	v_add_f32_e32 v143, 0x358637bd, v131
	s_delay_alu instid0(VALU_DEP_1) | instskip(SKIP_1) | instid1(VALU_DEP_2)
	v_div_scale_f32 v165, null, v143, v143, 1.0
	v_div_scale_f32 v162, vcc_lo, 1.0, v143, 1.0
	v_rcp_f32_e32 v166, v165
	s_waitcnt_depctr 0xfff
	v_fma_f32 v129, -v165, v166, 1.0
	s_delay_alu instid0(VALU_DEP_1) | instskip(SKIP_2) | instid1(VALU_DEP_3)
	v_fmac_f32_e32 v166, v129, v166
	v_cndmask_b32_e64 v129, v138, v163, s3
	v_cmp_eq_u32_e64 s3, 7, v146
	v_dual_mul_f32 v163, v162, v166 :: v_dual_lshlrev_b32 v138, 2, v137
	s_delay_alu instid0(VALU_DEP_3) | instskip(SKIP_1) | instid1(VALU_DEP_3)
	v_cndmask_b32_e64 v139, v129, v164, s5
	v_mov_b32_e32 v129, 0
	v_or_b32_e32 v141, 2, v138
	v_cmp_eq_u32_e64 s5, 1, v138
	v_fma_f32 v140, -v165, v163, v162
	v_cndmask_b32_e64 v160, v139, v160, s6
	v_or_b32_e32 v139, 1, v138
	v_cmp_eq_u32_e64 s10, 1, v141
	v_cmp_eq_u32_e64 s6, 2, v138
	v_fmac_f32_e32 v163, v140, v166
	v_cndmask_b32_e64 v146, v160, v158, s7
	v_or_b32_e32 v140, 3, v138
	v_cmp_eq_u32_e64 s9, 1, v139
	v_cmp_eq_u32_e64 s12, 2, v139
	v_fma_f32 v158, -v165, v163, v162
	v_cndmask_b32_e64 v146, v146, v159, s4
	v_cmp_eq_u32_e64 s11, 1, v140
	v_cmp_eq_u32_e64 s16, 2, v141
	v_cmp_eq_u32_e64 s17, 2, v140
	v_div_fmas_f32 v158, v158, v166, v163
	v_cndmask_b32_e64 v146, v146, v161, s3
	v_cmp_eq_u32_e32 vcc_lo, 3, v138
	v_cmp_eq_u32_e64 s13, 3, v139
	v_cmp_eq_u32_e64 s18, 3, v141
	v_div_fixup_f32 v158, v158, v143, 1.0
	v_lshl_or_b32 v143, v137, 4, v144
	v_cmp_eq_u32_e64 s19, 3, v140
	v_cmp_eq_u32_e64 s4, 4, v138
	;; [unrolled: 1-line block ×3, first 2 shown]
	v_mul_f32_e32 v146, v146, v158
	v_cmp_eq_u32_e64 s22, 4, v141
	v_cmp_eq_u32_e64 s23, 4, v140
	;; [unrolled: 1-line block ×4, first 2 shown]
	v_fma_mixlo_f16 v158, v146, v148, 0
	v_fma_mixlo_f16 v159, v146, v150, 0
	;; [unrolled: 1-line block ×8, first 2 shown]
	v_fma_mixhi_f16 v158, v146, v147, 0
	v_fma_mixhi_f16 v159, v146, v149, 0
	;; [unrolled: 1-line block ×8, first 2 shown]
	ds_store_b128 v143, v[158:161]
	ds_store_b128 v143, v[152:155] offset:1024
	s_waitcnt lgkmcnt(0)
	s_barrier
	buffer_gl0_inv
	ds_load_b128 v[132:135], v144
	ds_load_b128 v[146:149], v144 offset:16
	ds_load_b128 v[150:153], v144 offset:1024
	;; [unrolled: 1-line block ×3, first 2 shown]
	v_cmp_eq_u32_e64 s24, 5, v141
	v_cmp_eq_u32_e64 s25, 5, v140
	;; [unrolled: 1-line block ×10, first 2 shown]
	s_waitcnt lgkmcnt(3)
	v_lshrrev_b32_e32 v136, 16, v132
	s_waitcnt lgkmcnt(2)
	v_lshrrev_b32_e32 v161, 16, v146
	;; [unrolled: 2-line block ×4, first 2 shown]
	v_lshrrev_b32_e32 v158, 16, v133
	v_cndmask_b32_e64 v173, v132, v136, s5
	v_cndmask_b32_e64 v174, v146, v161, s5
	;; [unrolled: 1-line block ×8, first 2 shown]
	v_lshrrev_b32_e32 v162, 16, v147
	v_cndmask_b32_e64 v146, v150, v165, s5
	v_cndmask_b32_e64 v161, v154, v169, s5
	;; [unrolled: 1-line block ×16, first 2 shown]
	v_lshrrev_b32_e32 v166, 16, v151
	v_lshrrev_b32_e32 v170, 16, v155
	v_cndmask_b32_e64 v136, v146, v151, s6
	v_cndmask_b32_e64 v146, v161, v155, s6
	;; [unrolled: 1-line block ×5, first 2 shown]
	v_cndmask_b32_e32 v151, v165, v158, vcc_lo
	v_cndmask_b32_e32 v165, v169, v162, vcc_lo
	v_cndmask_b32_e64 v169, v173, v158, s13
	v_cndmask_b32_e64 v173, v174, v162, s13
	;; [unrolled: 1-line block ×6, first 2 shown]
	v_lshrrev_b32_e32 v159, 16, v134
	v_lshrrev_b32_e32 v163, 16, v148
	v_cndmask_b32_e32 v136, v136, v166, vcc_lo
	v_cndmask_b32_e32 v146, v146, v170, vcc_lo
	v_cndmask_b32_e64 v147, v147, v166, s13
	v_cndmask_b32_e64 v151, v151, v134, s4
	v_cndmask_b32_e64 v158, v165, v148, s4
	v_cndmask_b32_e64 v162, v169, v134, s20
	v_cndmask_b32_e64 v165, v173, v148, s20
	v_cndmask_b32_e64 v169, v174, v134, s22
	v_cndmask_b32_e64 v173, v175, v148, s22
	v_cndmask_b32_e64 v132, v132, v134, s23
	v_cndmask_b32_e64 v133, v133, v148, s23
	v_lshrrev_b32_e32 v167, 16, v152
	v_cndmask_b32_e64 v134, v136, v152, s4
	v_cndmask_b32_e64 v136, v146, v156, s4
	;; [unrolled: 1-line block ×11, first 2 shown]
	v_lshrrev_b32_e32 v160, 16, v135
	v_lshrrev_b32_e32 v164, 16, v149
	v_cndmask_b32_e64 v134, v134, v167, s7
	v_cndmask_b32_e64 v146, v146, v167, s21
	;; [unrolled: 1-line block ×10, first 2 shown]
	v_lshrrev_b32_e32 v168, 16, v153
	v_cndmask_b32_e64 v134, v134, v153, s3
	v_cndmask_b32_e64 v135, v146, v153, s26
	;; [unrolled: 1-line block ×12, first 2 shown]
	v_perm_b32 v135, v133, v132, 0x5040100
	v_perm_b32 v134, v151, v149, 0x5040100
	;; [unrolled: 1-line block ×3, first 2 shown]
	v_cndmask_b32_e64 v132, v154, v155, s17
	v_cndmask_b32_e64 v148, v182, v155, s16
	;; [unrolled: 1-line block ×8, first 2 shown]
	v_lshrrev_b32_e32 v171, 16, v156
	v_cndmask_b32_e64 v151, v151, v152, s22
	v_cndmask_b32_e64 v150, v150, v152, s23
	;; [unrolled: 1-line block ×11, first 2 shown]
	v_lshrrev_b32_e32 v172, 16, v157
	v_cndmask_b32_e64 v136, v136, v157, s3
	v_cndmask_b32_e64 v151, v151, v153, s27
	;; [unrolled: 1-line block ×12, first 2 shown]
	v_perm_b32 v132, v147, v146, 0x5040100
	v_perm_b32 v149, v152, v150, 0x5040100
	;; [unrolled: 1-line block ×5, first 2 shown]
	s_mov_b32 s3, exec_lo
	ds_store_b128 v143, v[132:135]
	ds_store_b128 v143, v[146:149] offset:1024
	v_cmpx_eq_u32_e32 0, v0
	s_cbranch_execz .LBB26_13
; %bb.12:
	s_load_b128 s[4:7], s[0:1], 0x58
	s_mul_i32 s8, s37, s34
	s_delay_alu instid0(SALU_CYCLE_1) | instskip(NEXT) | instid1(SALU_CYCLE_1)
	s_add_i32 s8, s8, s15
	s_mul_i32 s8, s8, s36
	s_delay_alu instid0(SALU_CYCLE_1) | instskip(NEXT) | instid1(SALU_CYCLE_1)
	s_add_i32 s8, s8, s14
	s_ashr_i32 s9, s8, 31
	s_delay_alu instid0(SALU_CYCLE_1)
	s_lshl_b64 s[8:9], s[8:9], 2
	s_waitcnt lgkmcnt(0)
	s_add_u32 s6, s6, s8
	s_addc_u32 s7, s7, s9
	s_add_u32 s4, s4, s8
	s_addc_u32 s5, s5, s9
	s_clause 0x1
	global_store_b32 v129, v130, s[6:7]
	global_store_b32 v129, v131, s[4:5]
.LBB26_13:
	s_or_b32 exec_lo, exec_lo, s3
	s_waitcnt lgkmcnt(0)
	s_waitcnt_vscnt null, 0x0
	s_barrier
	buffer_gl0_inv
	ds_load_b128 v[146:149], v142
	ds_load_b128 v[150:153], v142 offset:16
	ds_load_b128 v[158:161], v142 offset:1040
	;; [unrolled: 1-line block ×5, first 2 shown]
	v_mov_b32_e32 v130, v129
	v_mov_b32_e32 v131, v129
	;; [unrolled: 1-line block ×7, first 2 shown]
	ds_load_b128 v[174:177], v142 offset:3088
	ds_load_b128 v[170:173], v142 offset:3072
	;; [unrolled: 1-line block ×4, first 2 shown]
	v_cmp_eq_u32_e32 vcc_lo, 1, v141
	v_cmp_eq_u32_e64 s3, 1, v138
	v_cmp_eq_u32_e64 s4, 1, v140
	;; [unrolled: 1-line block ×4, first 2 shown]
	s_waitcnt lgkmcnt(8)
	v_wmma_f32_16x16x16_f16 v[129:136], v[121:128], v[146:153], v[129:136]
	ds_load_b128 v[125:128], v142 offset:5136
	ds_load_b128 v[121:124], v142 offset:5120
	s_waitcnt lgkmcnt(8)
	v_wmma_f32_16x16x16_f16 v[129:136], v[113:120], v[154:161], v[129:136]
	ds_load_b128 v[117:120], v142 offset:6160
	ds_load_b128 v[113:116], v142 offset:6144
	;; [unrolled: 4-line block ×11, first 2 shown]
	s_waitcnt lgkmcnt(0)
	s_barrier
	buffer_gl0_inv
	v_wmma_f32_16x16x16_f16 v[129:136], v[1:8], v[73:80], v[129:136]
	s_delay_alu instid0(VALU_DEP_1) | instskip(NEXT) | instid1(VALU_DEP_1)
	v_wmma_f32_16x16x16_f16 v[129:136], v[9:16], v[65:72], v[129:136]
	v_wmma_f32_16x16x16_f16 v[129:136], v[25:32], v[57:64], v[129:136]
	s_delay_alu instid0(VALU_DEP_1) | instskip(NEXT) | instid1(VALU_DEP_1)
	v_wmma_f32_16x16x16_f16 v[129:136], v[41:48], v[49:56], v[129:136]
	v_wmma_f32_16x16x16_f16 v[129:136], v[17:24], v[33:40], v[129:136]
	s_delay_alu instid0(VALU_DEP_1) | instskip(NEXT) | instid1(VALU_DEP_2)
	v_cvt_f16_f32_e64 v1, v129
	v_cvt_f16_f32_e64 v2, v130
	s_delay_alu instid0(VALU_DEP_3) | instskip(NEXT) | instid1(VALU_DEP_4)
	v_cvt_f16_f32_e64 v3, v131
	v_cvt_f16_f32_e64 v4, v132
	;; [unrolled: 1-line block ×6, first 2 shown]
	v_pack_b32_f16 v1, v1, v2
	v_pack_b32_f16 v2, v3, v4
	;; [unrolled: 1-line block ×3, first 2 shown]
	s_delay_alu instid0(VALU_DEP_4)
	v_pack_b32_f16 v4, v7, v8
	ds_store_b128 v143, v[1:4]
	s_waitcnt lgkmcnt(0)
	s_barrier
	buffer_gl0_inv
	ds_load_b128 v[1:4], v144
	ds_load_b128 v[5:8], v144 offset:16
	s_waitcnt lgkmcnt(1)
	v_lshrrev_b32_e32 v9, 16, v1
	s_waitcnt lgkmcnt(0)
	v_lshrrev_b32_e32 v13, 16, v5
	v_lshrrev_b32_e32 v15, 16, v7
	;; [unrolled: 1-line block ×4, first 2 shown]
	v_cndmask_b32_e64 v17, v1, v9, s3
	v_cndmask_b32_e64 v18, v5, v13, s3
	;; [unrolled: 1-line block ×3, first 2 shown]
	v_cmp_eq_u32_e64 s3, 2, v139
	v_cndmask_b32_e64 v20, v5, v13, s5
	v_cndmask_b32_e32 v21, v1, v9, vcc_lo
	v_cndmask_b32_e32 v22, v5, v13, vcc_lo
	v_cndmask_b32_e64 v1, v1, v9, s4
	v_cndmask_b32_e64 v5, v5, v13, s4
	v_cmp_eq_u32_e32 vcc_lo, 2, v141
	v_cmp_eq_u32_e64 s4, 2, v140
	v_cndmask_b32_e64 v9, v17, v2, s6
	v_cndmask_b32_e64 v13, v18, v6, s6
	;; [unrolled: 1-line block ×4, first 2 shown]
	v_cndmask_b32_e32 v19, v21, v2, vcc_lo
	v_cmp_eq_u32_e64 s3, 3, v141
	v_cndmask_b32_e32 v20, v22, v6, vcc_lo
	v_cndmask_b32_e64 v1, v1, v2, s4
	v_cmp_eq_u32_e32 vcc_lo, 3, v140
	v_cmp_eq_u32_e64 s5, 3, v138
	v_cndmask_b32_e64 v2, v5, v6, s4
	v_cmp_eq_u32_e64 s4, 3, v139
	v_lshrrev_b32_e32 v16, 16, v8
	v_cmp_eq_u32_e64 s6, 4, v138
	v_cndmask_b32_e64 v5, v9, v10, s5
	v_cndmask_b32_e64 v6, v13, v14, s5
	;; [unrolled: 1-line block ×3, first 2 shown]
	v_cmp_eq_u32_e64 s5, 4, v139
	v_cndmask_b32_e64 v13, v18, v14, s4
	v_cndmask_b32_e64 v17, v19, v10, s3
	;; [unrolled: 1-line block ×3, first 2 shown]
	v_cndmask_b32_e32 v1, v1, v10, vcc_lo
	v_cndmask_b32_e32 v2, v2, v14, vcc_lo
	v_cmp_eq_u32_e32 vcc_lo, 4, v141
	v_cmp_eq_u32_e64 s4, 4, v140
	v_lshrrev_b32_e32 v11, 16, v3
	v_cndmask_b32_e64 v5, v5, v3, s6
	v_cndmask_b32_e64 v6, v6, v7, s6
	;; [unrolled: 1-line block ×4, first 2 shown]
	v_cndmask_b32_e32 v13, v17, v3, vcc_lo
	v_cmp_eq_u32_e64 s3, 5, v141
	v_cndmask_b32_e32 v14, v18, v7, vcc_lo
	v_cndmask_b32_e64 v1, v1, v3, s4
	v_cmp_eq_u32_e32 vcc_lo, 5, v140
	v_cmp_eq_u32_e64 s5, 5, v138
	v_cndmask_b32_e64 v2, v2, v7, s4
	v_cmp_eq_u32_e64 s4, 5, v139
	v_cmp_eq_u32_e64 s6, 6, v138
	v_cndmask_b32_e32 v1, v1, v11, vcc_lo
	v_cndmask_b32_e64 v3, v5, v11, s5
	v_cndmask_b32_e64 v5, v6, v15, s5
	;; [unrolled: 1-line block ×6, first 2 shown]
	v_cndmask_b32_e32 v2, v2, v15, vcc_lo
	v_cmp_eq_u32_e32 vcc_lo, 6, v141
	v_cmp_eq_u32_e64 s3, 6, v140
	v_cmp_eq_u32_e64 s5, 6, v139
	v_lshrrev_b32_e32 v12, 16, v4
	v_cndmask_b32_e64 v3, v3, v4, s6
	v_cndmask_b32_e64 v5, v5, v8, s6
	v_cndmask_b32_e32 v9, v9, v4, vcc_lo
	v_cndmask_b32_e32 v10, v10, v8, vcc_lo
	v_cndmask_b32_e64 v1, v1, v4, s3
	v_cmp_eq_u32_e32 vcc_lo, 7, v140
	v_cndmask_b32_e64 v2, v2, v8, s3
	v_cmp_eq_u32_e64 s3, 7, v138
	v_cndmask_b32_e64 v6, v6, v4, s5
	v_cndmask_b32_e64 v7, v7, v8, s5
	v_cmp_eq_u32_e64 s4, 7, v141
	v_cndmask_b32_e32 v2, v2, v16, vcc_lo
	v_cmp_eq_u32_e64 s5, 7, v139
	v_cndmask_b32_e64 v8, v3, v12, s3
	v_cndmask_b32_e32 v1, v1, v12, vcc_lo
	v_cndmask_b32_e64 v5, v5, v16, s3
	v_cmp_lt_u32_e32 vcc_lo, 31, v0
	v_cmp_lt_u32_e64 s3, 7, v145
	v_cndmask_b32_e64 v6, v6, v12, s5
	v_cndmask_b32_e64 v3, v9, v12, s4
	v_cndmask_b32_e64 v9, v10, v16, s4
	v_cndmask_b32_e64 v7, v7, v16, s5
	s_or_b32 s3, vcc_lo, s3
	v_perm_b32 v4, v2, v1, 0x5040100
	v_perm_b32 v1, v5, v8, 0x5040100
	;; [unrolled: 1-line block ×4, first 2 shown]
	s_or_b32 s2, s2, s3
	s_delay_alu instid0(SALU_CYCLE_1)
	s_xor_b32 s2, s2, -1
	ds_store_b128 v143, v[1:4]
	s_waitcnt lgkmcnt(0)
	s_barrier
	buffer_gl0_inv
	s_and_saveexec_b32 s3, s2
	s_cbranch_execz .LBB26_2
; %bb.14:
	s_load_b64 s[0:1], s[0:1], 0x68
	v_lshlrev_b32_e32 v1, 10, v0
	v_and_b32_e32 v0, 1, v0
	v_lshlrev_b32_e32 v2, 6, v137
	s_lshl_b32 s4, s36, 6
	v_lshlrev_b32_e32 v4, 4, v145
	v_and_b32_e32 v1, 0x3800, v1
	v_lshlrev_b32_e32 v0, 4, v0
	s_mul_i32 s2, s4, s34
	s_delay_alu instid0(SALU_CYCLE_1) | instskip(NEXT) | instid1(VALU_DEP_1)
	s_mul_i32 s2, s2, s37
	v_or3_b32 v0, v1, v2, v0
	s_ashr_i32 s3, s2, 31
	s_delay_alu instid0(SALU_CYCLE_1)
	s_lshl_b64 s[2:3], s[2:3], 1
	ds_load_b128 v[0:3], v0
	s_waitcnt lgkmcnt(0)
	s_add_u32 s5, s0, s2
	s_addc_u32 s3, s1, s3
	s_lshl_b32 s0, s14, 6
	s_mul_i32 s2, s4, s15
	s_ashr_i32 s1, s0, 31
	s_delay_alu instid0(SALU_CYCLE_1) | instskip(NEXT) | instid1(SALU_CYCLE_1)
	s_lshl_b64 s[0:1], s[0:1], 1
	s_add_u32 s4, s5, s0
	s_addc_u32 s5, s3, s1
	s_ashr_i32 s3, s2, 31
	s_delay_alu instid0(SALU_CYCLE_1) | instskip(NEXT) | instid1(SALU_CYCLE_1)
	s_lshl_b64 s[0:1], s[2:3], 1
	s_add_u32 s0, s4, s0
	s_addc_u32 s1, s5, s1
	global_store_b128 v4, v[0:3], s[0:1]
	s_nop 0
	s_sendmsg sendmsg(MSG_DEALLOC_VGPRS)
	s_endpgm
	.section	.rodata,"a",@progbits
	.p2align	6, 0x0
	.amdhsa_kernel _Z39paged_attention_ll4mi_QKV_mfma16_kernelIDF16_DF16_LN4vllm18Fp8KVCacheDataTypeE0EhLi16ELi64ELi256ELb1ELi1EL8MFMAType0EEvPKT_PKT0_S8_ifPKiSA_SA_iPKfiiiPfSD_PS3_PT2_iSC_SC_
		.amdhsa_group_segment_fixed_size 17472
		.amdhsa_private_segment_fixed_size 0
		.amdhsa_kernarg_size 400
		.amdhsa_user_sgpr_count 13
		.amdhsa_user_sgpr_dispatch_ptr 0
		.amdhsa_user_sgpr_queue_ptr 0
		.amdhsa_user_sgpr_kernarg_segment_ptr 1
		.amdhsa_user_sgpr_dispatch_id 0
		.amdhsa_user_sgpr_private_segment_size 0
		.amdhsa_wavefront_size32 1
		.amdhsa_uses_dynamic_stack 0
		.amdhsa_enable_private_segment 0
		.amdhsa_system_sgpr_workgroup_id_x 1
		.amdhsa_system_sgpr_workgroup_id_y 1
		.amdhsa_system_sgpr_workgroup_id_z 1
		.amdhsa_system_sgpr_workgroup_info 0
		.amdhsa_system_vgpr_workitem_id 0
		.amdhsa_next_free_vgpr 195
		.amdhsa_next_free_sgpr 70
		.amdhsa_reserve_vcc 1
		.amdhsa_float_round_mode_32 0
		.amdhsa_float_round_mode_16_64 0
		.amdhsa_float_denorm_mode_32 3
		.amdhsa_float_denorm_mode_16_64 3
		.amdhsa_dx10_clamp 1
		.amdhsa_ieee_mode 1
		.amdhsa_fp16_overflow 0
		.amdhsa_workgroup_processor_mode 1
		.amdhsa_memory_ordered 1
		.amdhsa_forward_progress 0
		.amdhsa_shared_vgpr_count 0
		.amdhsa_exception_fp_ieee_invalid_op 0
		.amdhsa_exception_fp_denorm_src 0
		.amdhsa_exception_fp_ieee_div_zero 0
		.amdhsa_exception_fp_ieee_overflow 0
		.amdhsa_exception_fp_ieee_underflow 0
		.amdhsa_exception_fp_ieee_inexact 0
		.amdhsa_exception_int_div_zero 0
	.end_amdhsa_kernel
	.section	.text._Z39paged_attention_ll4mi_QKV_mfma16_kernelIDF16_DF16_LN4vllm18Fp8KVCacheDataTypeE0EhLi16ELi64ELi256ELb1ELi1EL8MFMAType0EEvPKT_PKT0_S8_ifPKiSA_SA_iPKfiiiPfSD_PS3_PT2_iSC_SC_,"axG",@progbits,_Z39paged_attention_ll4mi_QKV_mfma16_kernelIDF16_DF16_LN4vllm18Fp8KVCacheDataTypeE0EhLi16ELi64ELi256ELb1ELi1EL8MFMAType0EEvPKT_PKT0_S8_ifPKiSA_SA_iPKfiiiPfSD_PS3_PT2_iSC_SC_,comdat
.Lfunc_end26:
	.size	_Z39paged_attention_ll4mi_QKV_mfma16_kernelIDF16_DF16_LN4vllm18Fp8KVCacheDataTypeE0EhLi16ELi64ELi256ELb1ELi1EL8MFMAType0EEvPKT_PKT0_S8_ifPKiSA_SA_iPKfiiiPfSD_PS3_PT2_iSC_SC_, .Lfunc_end26-_Z39paged_attention_ll4mi_QKV_mfma16_kernelIDF16_DF16_LN4vllm18Fp8KVCacheDataTypeE0EhLi16ELi64ELi256ELb1ELi1EL8MFMAType0EEvPKT_PKT0_S8_ifPKiSA_SA_iPKfiiiPfSD_PS3_PT2_iSC_SC_
                                        ; -- End function
	.section	.AMDGPU.csdata,"",@progbits
; Kernel info:
; codeLenInByte = 7512
; NumSgprs: 72
; NumVgprs: 195
; ScratchSize: 0
; MemoryBound: 1
; FloatMode: 240
; IeeeMode: 1
; LDSByteSize: 17472 bytes/workgroup (compile time only)
; SGPRBlocks: 8
; VGPRBlocks: 24
; NumSGPRsForWavesPerEU: 72
; NumVGPRsForWavesPerEU: 195
; Occupancy: 7
; WaveLimiterHint : 1
; COMPUTE_PGM_RSRC2:SCRATCH_EN: 0
; COMPUTE_PGM_RSRC2:USER_SGPR: 13
; COMPUTE_PGM_RSRC2:TRAP_HANDLER: 0
; COMPUTE_PGM_RSRC2:TGID_X_EN: 1
; COMPUTE_PGM_RSRC2:TGID_Y_EN: 1
; COMPUTE_PGM_RSRC2:TGID_Z_EN: 1
; COMPUTE_PGM_RSRC2:TIDIG_COMP_CNT: 0
	.section	.text._Z39paged_attention_ll4mi_QKV_mfma16_kernelIDF16_DF16_LN4vllm18Fp8KVCacheDataTypeE0EhLi16ELi64ELi256ELb1ELi2EL8MFMAType0EEvPKT_PKT0_S8_ifPKiSA_SA_iPKfiiiPfSD_PS3_PT2_iSC_SC_,"axG",@progbits,_Z39paged_attention_ll4mi_QKV_mfma16_kernelIDF16_DF16_LN4vllm18Fp8KVCacheDataTypeE0EhLi16ELi64ELi256ELb1ELi2EL8MFMAType0EEvPKT_PKT0_S8_ifPKiSA_SA_iPKfiiiPfSD_PS3_PT2_iSC_SC_,comdat
	.protected	_Z39paged_attention_ll4mi_QKV_mfma16_kernelIDF16_DF16_LN4vllm18Fp8KVCacheDataTypeE0EhLi16ELi64ELi256ELb1ELi2EL8MFMAType0EEvPKT_PKT0_S8_ifPKiSA_SA_iPKfiiiPfSD_PS3_PT2_iSC_SC_ ; -- Begin function _Z39paged_attention_ll4mi_QKV_mfma16_kernelIDF16_DF16_LN4vllm18Fp8KVCacheDataTypeE0EhLi16ELi64ELi256ELb1ELi2EL8MFMAType0EEvPKT_PKT0_S8_ifPKiSA_SA_iPKfiiiPfSD_PS3_PT2_iSC_SC_
	.globl	_Z39paged_attention_ll4mi_QKV_mfma16_kernelIDF16_DF16_LN4vllm18Fp8KVCacheDataTypeE0EhLi16ELi64ELi256ELb1ELi2EL8MFMAType0EEvPKT_PKT0_S8_ifPKiSA_SA_iPKfiiiPfSD_PS3_PT2_iSC_SC_
	.p2align	8
	.type	_Z39paged_attention_ll4mi_QKV_mfma16_kernelIDF16_DF16_LN4vllm18Fp8KVCacheDataTypeE0EhLi16ELi64ELi256ELb1ELi2EL8MFMAType0EEvPKT_PKT0_S8_ifPKiSA_SA_iPKfiiiPfSD_PS3_PT2_iSC_SC_,@function
_Z39paged_attention_ll4mi_QKV_mfma16_kernelIDF16_DF16_LN4vllm18Fp8KVCacheDataTypeE0EhLi16ELi64ELi256ELb1ELi2EL8MFMAType0EEvPKT_PKT0_S8_ifPKiSA_SA_iPKfiiiPfSD_PS3_PT2_iSC_SC_: ; @_Z39paged_attention_ll4mi_QKV_mfma16_kernelIDF16_DF16_LN4vllm18Fp8KVCacheDataTypeE0EhLi16ELi64ELi256ELb1ELi2EL8MFMAType0EEvPKT_PKT0_S8_ifPKiSA_SA_iPKfiiiPfSD_PS3_PT2_iSC_SC_
; %bb.0:
	s_load_b64 s[2:3], s[0:1], 0x30
	s_mov_b32 s30, s13
	s_waitcnt lgkmcnt(0)
	s_cmp_lg_u64 s[2:3], 0
	s_cselect_b32 s8, -1, 0
	s_ashr_i32 s31, s13, 31
	s_cmp_eq_u64 s[2:3], 0
	s_cbranch_scc1 .LBB27_3
; %bb.1:
	s_lshl_b64 s[4:5], s[30:31], 2
	s_delay_alu instid0(SALU_CYCLE_1) | instskip(SKIP_4) | instid1(SALU_CYCLE_1)
	s_add_u32 s4, s2, s4
	s_addc_u32 s5, s3, s5
	s_load_b64 s[4:5], s[4:5], 0x0
	s_waitcnt lgkmcnt(0)
	s_sub_i32 s4, s5, s4
	s_cmp_eq_u32 s4, 1
	s_cselect_b32 s4, -1, 0
	s_delay_alu instid0(SALU_CYCLE_1)
	s_and_not1_b32 vcc_lo, exec_lo, s4
	s_cbranch_vccz .LBB27_4
.LBB27_2:
	s_endpgm
.LBB27_3:
.LBB27_4:
	s_load_b64 s[4:5], s[0:1], 0x28
	s_lshl_b64 s[6:7], s[30:31], 2
	s_waitcnt lgkmcnt(0)
	s_add_u32 s4, s4, s6
	s_addc_u32 s5, s5, s7
	s_lshl_b32 s29, s14, 8
	s_load_b32 s28, s[4:5], 0x0
	s_waitcnt lgkmcnt(0)
	s_cmp_ge_i32 s29, s28
	s_cbranch_scc1 .LBB27_2
; %bb.5:
	s_clause 0x1
	s_load_b128 s[20:23], s[0:1], 0x8
	s_load_b64 s[4:5], s[0:1], 0x20
	s_and_not1_b32 vcc_lo, exec_lo, s8
	s_cbranch_vccnz .LBB27_7
; %bb.6:
	s_add_u32 s2, s2, s6
	s_addc_u32 s3, s3, s7
	s_load_b32 s3, s[2:3], 0x0
	s_branch .LBB27_8
.LBB27_7:
	s_mov_b32 s3, s30
.LBB27_8:
	s_load_b128 s[16:19], s[0:1], 0x48
	v_and_b32_e32 v142, 15, v0
	v_bfe_u32 v141, v0, 4, 1
	s_lshl_b32 s33, s15, 1
	v_cmp_gt_u32_e32 vcc_lo, 32, v0
	v_and_b32_e32 v143, 31, v0
	v_lshlrev_b32_e32 v1, 3, v142
	v_cmp_gt_u32_e64 s2, 8, v142
	v_and_b32_e32 v140, 1, v0
	v_or_b32_e32 v139, s33, v141
	v_lshlrev_b32_e32 v138, 6, v141
	v_lshlrev_b32_e32 v137, 1, v1
	s_and_b32 s31, vcc_lo, s2
	s_delay_alu instid0(SALU_CYCLE_1)
	s_and_saveexec_b32 s2, s31
	s_cbranch_execz .LBB27_10
; %bb.9:
	s_load_b64 s[6:7], s[0:1], 0x0
	v_lshlrev_b32_e32 v1, 6, v139
	s_waitcnt lgkmcnt(0)
	s_mul_hi_i32 s9, s3, s16
	s_mul_i32 s8, s3, s16
	v_lshlrev_b32_e32 v5, 10, v142
	s_lshl_b64 s[8:9], s[8:9], 1
	v_ashrrev_i32_e32 v2, 31, v1
	v_lshlrev_b32_e32 v6, 10, v140
	s_delay_alu instid0(VALU_DEP_3) | instskip(NEXT) | instid1(VALU_DEP_3)
	v_and_b32_e32 v5, 0x3800, v5
	v_lshlrev_b64 v[1:2], 1, v[1:2]
	s_delay_alu instid0(VALU_DEP_2) | instskip(SKIP_2) | instid1(VALU_DEP_2)
	v_or3_b32 v5, v5, v6, v138
	s_add_u32 s3, s6, s8
	s_addc_u32 s6, s7, s9
	v_add_co_u32 v1, vcc_lo, s3, v1
	s_delay_alu instid0(VALU_DEP_3) | instskip(NEXT) | instid1(VALU_DEP_2)
	v_add_co_ci_u32_e32 v2, vcc_lo, s6, v2, vcc_lo
	v_add_co_u32 v1, vcc_lo, v1, v137
	s_delay_alu instid0(VALU_DEP_2)
	v_add_co_ci_u32_e32 v2, vcc_lo, 0, v2, vcc_lo
	global_load_b128 v[1:4], v[1:2], off
	s_waitcnt vmcnt(0)
	ds_store_b128 v5, v[1:4]
.LBB27_10:
	s_or_b32 exec_lo, exec_lo, s2
	v_and_b32_e32 v1, 0xef, v0
	s_waitcnt lgkmcnt(0)
	s_add_i32 s3, s28, 15
	s_clause 0x1
	s_load_b32 s2, s[0:1], 0x38
	s_load_b32 s34, s[0:1], 0x98
	s_ashr_i32 s6, s3, 31
	v_add_nc_u32_e32 v1, s29, v1
	s_lshr_b32 s6, s6, 28
	s_load_b32 s35, s[0:1], 0x1c
	s_add_i32 s3, s3, s6
	s_waitcnt lgkmcnt(0)
	v_ashrrev_i32_e32 v2, 31, v1
	v_cmp_gt_i32_e32 vcc_lo, s28, v1
	s_ashr_i32 s16, s3, 4
	s_barrier
	s_add_i32 s16, s16, -1
	v_lshrrev_b32_e32 v3, 28, v2
	v_or_b32_e32 v2, 16, v1
	buffer_gl0_inv
	v_lshlrev_b32_e32 v145, 6, v140
	v_lshrrev_b32_e32 v144, 5, v0
	v_add_nc_u32_e32 v4, v1, v3
	v_add_nc_u32_e32 v3, v2, v3
	s_mul_i32 s2, s30, s2
	v_lshlrev_b32_e32 v49, 5, v142
	s_ashr_i32 s3, s2, 31
	v_ashrrev_i32_e32 v4, 4, v4
	v_ashrrev_i32_e32 v3, 4, v3
	s_lshl_b64 s[2:3], s[2:3], 2
	v_lshl_or_b32 v49, v144, 9, v49
	s_add_u32 s36, s4, s2
	v_cndmask_b32_e32 v1, s16, v4, vcc_lo
	v_cmp_gt_i32_e32 vcc_lo, s28, v2
	s_addc_u32 s37, s5, s3
	s_mul_i32 s2, s15, s18
	s_delay_alu instid0(SALU_CYCLE_1) | instskip(SKIP_3) | instid1(SALU_CYCLE_1)
	s_ashr_i32 s3, s2, 31
	v_cndmask_b32_e32 v3, s16, v3, vcc_lo
	v_ashrrev_i32_e32 v2, 31, v1
	s_lshl_b64 s[2:3], s[2:3], 1
	s_add_u32 s24, s20, s2
	s_delay_alu instid0(VALU_DEP_2) | instskip(NEXT) | instid1(VALU_DEP_2)
	v_ashrrev_i32_e32 v4, 31, v3
	v_lshlrev_b64 v[1:2], 2, v[1:2]
	s_addc_u32 s25, s21, s3
	s_lshl_b32 s4, s14, 4
	s_delay_alu instid0(VALU_DEP_2) | instskip(SKIP_1) | instid1(VALU_DEP_2)
	v_lshlrev_b64 v[3:4], 2, v[3:4]
	s_ashr_i32 s5, s4, 31
	v_add_co_u32 v1, vcc_lo, s36, v1
	v_add_co_ci_u32_e32 v2, vcc_lo, s37, v2, vcc_lo
	s_delay_alu instid0(VALU_DEP_3) | instskip(NEXT) | instid1(VALU_DEP_4)
	v_add_co_u32 v3, vcc_lo, s36, v3
	v_add_co_ci_u32_e32 v4, vcc_lo, s37, v4, vcc_lo
	s_lshl_b64 s[4:5], s[4:5], 2
	s_clause 0x1
	global_load_b32 v5, v[1:2], off
	global_load_b32 v6, v[3:4], off
	s_add_u32 s4, s36, s4
	s_addc_u32 s5, s37, s5
	s_or_b32 s6, s29, 16
	v_lshlrev_b32_e32 v3, 4, v0
	s_ashr_i32 s7, s6, 4
	s_cmp_lt_i32 s6, s28
	s_cselect_b32 s6, s7, s16
	s_delay_alu instid0(SALU_CYCLE_1) | instskip(NEXT) | instid1(SALU_CYCLE_1)
	s_ashr_i32 s7, s6, 31
	s_lshl_b64 s[6:7], s[6:7], 2
	s_delay_alu instid0(SALU_CYCLE_1) | instskip(SKIP_2) | instid1(SALU_CYCLE_1)
	s_add_u32 s6, s36, s6
	s_addc_u32 s7, s37, s7
	s_or_b32 s8, s29, 32
	s_ashr_i32 s9, s8, 4
	s_cmp_lt_i32 s8, s28
	s_cselect_b32 s8, s9, s16
	s_delay_alu instid0(SALU_CYCLE_1) | instskip(NEXT) | instid1(SALU_CYCLE_1)
	s_ashr_i32 s9, s8, 31
	s_lshl_b64 s[8:9], s[8:9], 2
	s_delay_alu instid0(SALU_CYCLE_1) | instskip(SKIP_2) | instid1(SALU_CYCLE_1)
	s_add_u32 s8, s36, s8
	s_addc_u32 s9, s37, s9
	s_or_b32 s10, s29, 48
	;; [unrolled: 10-line block ×4, first 2 shown]
	s_ashr_i32 s13, s12, 4
	s_cmp_lt_i32 s12, s28
	s_cselect_b32 s12, s13, s16
	s_delay_alu instid0(SALU_CYCLE_1) | instskip(NEXT) | instid1(SALU_CYCLE_1)
	s_ashr_i32 s13, s12, 31
	s_lshl_b64 s[12:13], s[12:13], 2
	s_delay_alu instid0(SALU_CYCLE_1)
	s_add_u32 s20, s36, s12
	s_addc_u32 s21, s37, s13
	s_clause 0x5
	s_load_b32 s40, s[4:5], 0x0
	s_load_b32 s27, s[6:7], 0x0
	;; [unrolled: 1-line block ×6, first 2 shown]
	s_waitcnt vmcnt(1)
	v_mad_i64_i32 v[1:2], null, v5, s17, 0
	v_and_b32_e32 v5, 0xf0, v3
	s_waitcnt vmcnt(0)
	v_mad_i64_i32 v[3:4], null, v6, s17, 0
	s_delay_alu instid0(VALU_DEP_2) | instskip(NEXT) | instid1(VALU_DEP_4)
	v_add_co_u32 v5, s4, s24, v5
	v_lshlrev_b64 v[1:2], 1, v[1:2]
	v_add_co_ci_u32_e64 v6, null, s25, 0, s4
	s_delay_alu instid0(VALU_DEP_4) | instskip(SKIP_1) | instid1(VALU_DEP_3)
	v_lshlrev_b64 v[3:4], 1, v[3:4]
	s_or_b32 s4, s29, 0x60
	v_add_co_u32 v41, vcc_lo, v5, v1
	s_delay_alu instid0(VALU_DEP_3) | instskip(NEXT) | instid1(VALU_DEP_3)
	v_add_co_ci_u32_e32 v42, vcc_lo, v6, v2, vcc_lo
	v_add_co_u32 v43, vcc_lo, v5, v3
	s_delay_alu instid0(VALU_DEP_4)
	v_add_co_ci_u32_e32 v44, vcc_lo, v6, v4, vcc_lo
	s_clause 0xf
	global_load_b128 v[1:4], v[41:42], off
	global_load_b128 v[5:8], v[41:42], off offset:256
	global_load_b128 v[25:28], v[43:44], off
	global_load_b128 v[29:32], v[43:44], off offset:256
	global_load_b128 v[9:12], v[41:42], off offset:512
	;; [unrolled: 1-line block ×13, first 2 shown]
	s_ashr_i32 s5, s4, 4
	s_cmp_lt_i32 s4, s28
	ds_load_b128 v[41:44], v145
	ds_load_b128 v[45:48], v145 offset:1024
	s_cselect_b32 s4, s5, s16
	ds_load_b128 v[170:173], v145 offset:2048
	ds_load_b128 v[174:177], v145 offset:3072
	s_ashr_i32 s5, s4, 31
	ds_load_b128 v[178:181], v145 offset:4096
	ds_load_b128 v[182:185], v145 offset:5120
	s_lshl_b64 s[4:5], s[4:5], 2
	s_delay_alu instid0(SALU_CYCLE_1)
	s_add_u32 s18, s36, s4
	s_addc_u32 s19, s37, s5
	s_or_b32 s4, s29, 0x70
	s_load_b32 s46, s[18:19], 0x0
	s_ashr_i32 s5, s4, 4
	s_cmp_lt_i32 s4, s28
	s_cselect_b32 s4, s5, s16
	s_delay_alu instid0(SALU_CYCLE_1) | instskip(NEXT) | instid1(SALU_CYCLE_1)
	s_ashr_i32 s5, s4, 31
	s_lshl_b64 s[6:7], s[4:5], 2
	s_mov_b32 s4, 0
	s_add_u32 s20, s36, s6
	s_addc_u32 s21, s37, s7
	s_or_b32 s5, s29, 0x80
	s_load_b32 s47, s[20:21], 0x0
	s_ashr_i32 s6, s5, 4
	s_cmp_lt_i32 s5, s28
	s_mov_b32 s11, s4
	s_cselect_b32 s6, s6, s16
	s_mov_b32 s5, s4
	s_ashr_i32 s7, s6, 31
	s_mov_b32 s10, s4
	s_lshl_b64 s[8:9], s[6:7], 2
	s_mov_b32 s6, s4
	s_add_u32 s24, s36, s8
	s_addc_u32 s25, s37, s9
	s_or_b32 s8, s29, 0x90
	s_load_b32 s48, s[24:25], 0x0
	s_ashr_i32 s9, s8, 4
	s_cmp_lt_i32 s8, s28
	s_mov_b32 s7, s4
	s_cselect_b32 s38, s9, s16
	s_mov_b32 s8, s4
	s_ashr_i32 s39, s38, 31
	s_mov_b32 s9, s4
	s_lshl_b64 s[38:39], s[38:39], 2
	v_mov_b32_e32 v136, s11
	s_add_u32 s38, s36, s38
	s_addc_u32 s39, s37, s39
	s_or_b32 s41, s29, 0xa0
	v_mov_b32_e32 v135, s10
	s_ashr_i32 s42, s41, 4
	s_cmp_lt_i32 s41, s28
	s_load_b32 s41, s[38:39], 0x0
	v_dual_mov_b32 v134, s9 :: v_dual_mov_b32 v133, s8
	v_dual_mov_b32 v132, s7 :: v_dual_mov_b32 v131, s6
	;; [unrolled: 1-line block ×3, first 2 shown]
	s_cselect_b32 s4, s42, s16
	s_waitcnt lgkmcnt(0)
	s_mul_hi_i32 s7, s27, s17
	s_ashr_i32 s5, s4, 31
	s_mul_hi_i32 s19, s15, s17
	s_lshl_b64 s[4:5], s[4:5], 2
	s_mul_hi_i32 s11, s13, s17
	s_add_u32 s42, s36, s4
	s_addc_u32 s43, s37, s5
	s_or_b32 s4, s29, 0xb0
	s_mul_hi_i32 s5, s40, s17
	s_ashr_i32 s6, s4, 4
	s_cmp_lt_i32 s4, s28
	s_mul_i32 s4, s40, s17
	s_cselect_b32 s8, s6, s16
	s_mul_i32 s6, s27, s17
	s_ashr_i32 s9, s8, 31
	s_mul_hi_i32 s25, s47, s17
	s_lshl_b64 s[8:9], s[8:9], 2
	s_mul_i32 s24, s47, s17
	s_add_u32 s44, s36, s8
	s_addc_u32 s45, s37, s9
	s_or_b32 s8, s29, 0xc0
	s_mul_hi_i32 s9, s26, s17
	s_ashr_i32 s10, s8, 4
	s_cmp_lt_i32 s8, s28
	s_mul_i32 s8, s26, s17
	s_cselect_b32 s26, s10, s16
	s_mul_i32 s10, s13, s17
	s_ashr_i32 s27, s26, 31
	s_mul_hi_i32 s13, s12, s17
	s_lshl_b64 s[26:27], s[26:27], 2
	s_mul_i32 s12, s12, s17
	s_add_u32 s26, s36, s26
	s_addc_u32 s27, s37, s27
	s_or_b32 s40, s29, 0xd0
	s_delay_alu instid0(SALU_CYCLE_1)
	s_ashr_i32 s18, s40, 4
	s_cmp_lt_i32 s40, s28
	s_load_b32 s40, s[42:43], 0x0
	s_cselect_b32 s20, s18, s16
	s_mul_i32 s18, s15, s17
	s_ashr_i32 s21, s20, 31
	s_mul_hi_i32 s43, s41, s17
	s_lshl_b64 s[20:21], s[20:21], 2
	s_delay_alu instid0(SALU_CYCLE_1)
	s_add_u32 s20, s36, s20
	s_addc_u32 s21, s37, s21
	s_or_b32 s42, s29, 0xe0
	s_clause 0x2
	s_load_b32 s39, s[44:45], 0x0
	s_load_b32 s38, s[26:27], 0x0
	;; [unrolled: 1-line block ×3, first 2 shown]
	s_ashr_i32 s49, s42, 4
	s_cmp_lt_i32 s42, s28
	s_mul_hi_i32 s21, s46, s17
	s_cselect_b32 s44, s49, s16
	s_mul_i32 s20, s46, s17
	s_ashr_i32 s45, s44, 31
	s_mul_hi_i32 s27, s48, s17
	s_lshl_b64 s[44:45], s[44:45], 2
	s_mul_i32 s26, s48, s17
	s_add_u32 s44, s36, s44
	s_addc_u32 s45, s37, s45
	s_or_b32 s46, s29, 0xf0
	s_mul_i32 s42, s41, s17
	s_ashr_i32 s48, s46, 4
	s_cmp_lt_i32 s46, s28
	s_waitcnt lgkmcnt(0)
	s_mul_hi_i32 s41, s40, s17
	s_cselect_b32 s48, s48, s16
	s_mul_i32 s40, s40, s17
	s_ashr_i32 s49, s48, 31
	s_mul_hi_i32 s51, s15, s17
	s_lshl_b64 s[48:49], s[48:49], 2
	s_mul_i32 s50, s15, s17
	s_add_u32 s36, s36, s48
	s_addc_u32 s37, s37, s49
	s_add_u32 s15, s22, s2
	s_addc_u32 s16, s23, s3
	v_add_co_u32 v200, s15, s15, v49
	s_delay_alu instid0(VALU_DEP_1) | instskip(SKIP_2) | instid1(VALU_DEP_2)
	v_add_co_ci_u32_e64 v201, null, s16, 0, s15
	s_lshl_b64 s[2:3], s[4:5], 1
	s_lshl_b64 s[4:5], s[6:7], 1
	v_add_co_u32 v49, vcc_lo, v200, s2
	s_delay_alu instid0(VALU_DEP_2)
	v_add_co_ci_u32_e32 v50, vcc_lo, s3, v201, vcc_lo
	v_add_co_u32 v51, vcc_lo, v200, s4
	s_lshl_b64 s[6:7], s[8:9], 1
	v_add_co_ci_u32_e32 v52, vcc_lo, s5, v201, vcc_lo
	v_add_co_u32 v53, vcc_lo, v200, s6
	s_lshl_b64 s[8:9], s[10:11], 1
	v_add_co_ci_u32_e32 v54, vcc_lo, s7, v201, vcc_lo
	v_add_co_u32 v55, vcc_lo, v200, s8
	s_lshl_b64 s[10:11], s[12:13], 1
	v_add_co_ci_u32_e32 v56, vcc_lo, s9, v201, vcc_lo
	v_add_co_u32 v57, vcc_lo, v200, s10
	s_lshl_b64 s[12:13], s[18:19], 1
	v_add_co_ci_u32_e32 v58, vcc_lo, s11, v201, vcc_lo
	v_add_co_u32 v59, vcc_lo, v200, s12
	s_lshl_b64 s[18:19], s[20:21], 1
	v_add_co_ci_u32_e32 v60, vcc_lo, s13, v201, vcc_lo
	v_add_co_u32 v61, vcc_lo, v200, s18
	s_lshl_b64 s[20:21], s[24:25], 1
	v_add_co_ci_u32_e32 v62, vcc_lo, s19, v201, vcc_lo
	v_add_co_u32 v63, vcc_lo, v200, s20
	s_lshl_b64 s[22:23], s[26:27], 1
	v_add_co_ci_u32_e32 v64, vcc_lo, s21, v201, vcc_lo
	s_clause 0x1
	s_load_b32 s15, s[44:45], 0x0
	s_load_b32 s16, s[36:37], 0x0
	v_add_co_u32 v186, vcc_lo, v200, s22
	s_lshl_b64 s[24:25], s[42:43], 1
	v_add_co_ci_u32_e32 v187, vcc_lo, s23, v201, vcc_lo
	v_add_co_u32 v194, vcc_lo, v200, s24
	s_lshl_b64 s[26:27], s[40:41], 1
	s_mul_hi_i32 s47, s39, s17
	s_mul_i32 s46, s39, s17
	v_add_co_ci_u32_e32 v195, vcc_lo, s25, v201, vcc_lo
	v_add_co_u32 v196, vcc_lo, v200, s26
	s_lshl_b64 s[40:41], s[46:47], 1
	s_mul_hi_i32 s39, s38, s17
	s_mul_i32 s38, s38, s17
	v_add_co_ci_u32_e32 v197, vcc_lo, s27, v201, vcc_lo
	v_add_co_u32 v198, vcc_lo, v200, s40
	s_lshl_b64 s[38:39], s[38:39], 1
	v_add_co_ci_u32_e32 v199, vcc_lo, s41, v201, vcc_lo
	s_clause 0x11
	global_load_b128 v[121:124], v[49:50], off
	global_load_b128 v[125:128], v[49:50], off offset:16
	global_load_b128 v[113:116], v[51:52], off
	global_load_b128 v[117:120], v[51:52], off offset:16
	;; [unrolled: 2-line block ×9, first 2 shown]
	s_lshl_b64 s[2:3], s[50:51], 1
	s_waitcnt lgkmcnt(0)
	s_mul_hi_i32 s5, s15, s17
	s_mul_i32 s4, s15, s17
	s_waitcnt vmcnt(32)
	v_wmma_f32_16x16x16_f16 v[186:193], v[1:8], v[41:48], v[129:136]
	s_waitcnt vmcnt(30)
	v_wmma_f32_16x16x16_f16 v[129:136], v[25:32], v[41:48], v[129:136]
	v_add_co_u32 v41, vcc_lo, v200, s38
	v_add_co_ci_u32_e32 v42, vcc_lo, s39, v201, vcc_lo
	s_clause 0x5
	global_load_b128 v[49:52], v[194:195], off
	global_load_b128 v[53:56], v[194:195], off offset:16
	global_load_b128 v[25:28], v[196:197], off
	global_load_b128 v[29:32], v[196:197], off offset:16
	;; [unrolled: 2-line block ×3, first 2 shown]
	s_waitcnt vmcnt(34)
	v_wmma_f32_16x16x16_f16 v[186:193], v[9:16], v[170:177], v[186:193]
	s_clause 0x1
	global_load_b128 v[9:12], v[41:42], off
	global_load_b128 v[13:16], v[41:42], off offset:16
	v_add_co_u32 v41, vcc_lo, v200, s2
	v_add_co_ci_u32_e32 v42, vcc_lo, s3, v201, vcc_lo
	s_lshl_b64 s[2:3], s[4:5], 1
	s_mul_hi_i32 s5, s16, s17
	s_mul_i32 s4, s16, s17
	v_add_co_u32 v45, vcc_lo, v200, s2
	v_add_co_ci_u32_e32 v46, vcc_lo, s3, v201, vcc_lo
	s_lshl_b64 s[2:3], s[4:5], 1
	s_waitcnt vmcnt(34)
	v_wmma_f32_16x16x16_f16 v[129:136], v[33:40], v[170:177], v[129:136]
	v_add_co_u32 v170, vcc_lo, v200, s2
	v_add_co_ci_u32_e32 v171, vcc_lo, s3, v201, vcc_lo
	s_clause 0x3
	global_load_b128 v[33:36], v[41:42], off
	global_load_b128 v[37:40], v[41:42], off offset:16
	global_load_b128 v[41:44], v[45:46], off
	global_load_b128 v[45:48], v[45:46], off offset:16
	s_waitcnt vmcnt(36)
	v_wmma_f32_16x16x16_f16 v[186:193], v[17:24], v[178:185], v[186:193]
	s_clause 0x1
	global_load_b128 v[17:20], v[170:171], off
	global_load_b128 v[21:24], v[170:171], off offset:16
	s_waitcnt vmcnt(36)
	v_wmma_f32_16x16x16_f16 v[129:136], v[146:153], v[178:185], v[129:136]
	ds_load_b128 v[146:149], v145 offset:6144
	ds_load_b128 v[150:153], v145 offset:7168
	v_and_b32_e32 v170, 0xe0, v0
	v_mbcnt_lo_u32_b32 v171, -1, 0
	s_waitcnt vmcnt(0) lgkmcnt(0)
	s_barrier
	buffer_gl0_inv
	v_add_nc_u32_e32 v170, s29, v170
	v_xor_b32_e32 v145, 16, v171
	s_delay_alu instid0(VALU_DEP_2) | instskip(NEXT) | instid1(VALU_DEP_2)
	v_or_b32_e32 v170, v170, v141
	v_cmp_gt_i32_e32 vcc_lo, 32, v145
	s_delay_alu instid0(VALU_DEP_2)
	v_or_b32_e32 v172, 4, v170
	v_or_b32_e32 v173, 6, v170
	;; [unrolled: 1-line block ×4, first 2 shown]
	v_wmma_f32_16x16x16_f16 v[186:193], v[154:161], v[146:153], v[186:193]
	v_wmma_f32_16x16x16_f16 v[129:136], v[162:169], v[146:153], v[129:136]
	v_cndmask_b32_e32 v145, v171, v145, vcc_lo
	v_or_b32_e32 v171, 2, v170
	v_cmp_gt_i32_e32 vcc_lo, s28, v170
	v_mul_f32_e32 v152, s35, v187
	v_dual_mul_f32 v158, s35, v135 :: v_dual_mul_f32 v153, s35, v186
	s_delay_alu instid0(VALU_DEP_4) | instskip(SKIP_2) | instid1(VALU_DEP_4)
	v_cmp_gt_i32_e64 s2, s28, v171
	v_dual_mul_f32 v150, s35, v189 :: v_dual_mul_f32 v151, s35, v188
	v_mul_f32_e32 v164, s35, v129
	v_cndmask_b32_e32 v153, 0xff7fffff, v153, vcc_lo
	s_delay_alu instid0(VALU_DEP_4)
	v_cndmask_b32_e64 v152, 0xff7fffff, v152, s2
	v_cmp_gt_i32_e64 s3, s28, v172
	v_cmp_gt_i32_e64 s4, s28, v173
	v_or_b32_e32 v176, 12, v170
	v_or_b32_e32 v177, 14, v170
	v_dual_mul_f32 v148, s35, v191 :: v_dual_mul_f32 v149, s35, v190
	v_mul_f32_e32 v162, s35, v131
	v_cndmask_b32_e64 v151, 0xff7fffff, v151, s3
	v_cndmask_b32_e64 v150, 0xff7fffff, v150, s4
	v_max3_f32 v152, v153, 0xff7fffff, v152
	v_cmp_gt_i32_e64 s5, s28, v174
	v_cmp_gt_i32_e64 s6, s28, v175
	v_or_b32_e32 v178, 16, v170
	v_or_b32_e32 v179, 18, v170
	v_dual_mul_f32 v146, s35, v193 :: v_dual_mul_f32 v147, s35, v192
	v_mul_f32_e32 v160, s35, v133
	v_cndmask_b32_e64 v149, 0xff7fffff, v149, s5
	v_cndmask_b32_e64 v148, 0xff7fffff, v148, s6
	v_max3_f32 v150, v152, v151, v150
	v_cmp_gt_i32_e64 s7, s28, v176
	v_cmp_gt_i32_e64 s8, s28, v177
	v_or_b32_e32 v180, 20, v170
	v_or_b32_e32 v181, 22, v170
	v_mul_f32_e32 v163, s35, v130
	v_cndmask_b32_e64 v147, 0xff7fffff, v147, s7
	v_cndmask_b32_e64 v146, 0xff7fffff, v146, s8
	v_max3_f32 v148, v150, v149, v148
	v_cmp_gt_i32_e64 s9, s28, v178
	v_cmp_gt_i32_e64 s10, s28, v179
	v_or_b32_e32 v182, 24, v170
	v_or_b32_e32 v154, 26, v170
	;; [unrolled: 8-line block ×3, first 2 shown]
	v_mul_f32_e32 v159, s35, v134
	v_cndmask_b32_e64 v147, 0xff7fffff, v162, s11
	v_cndmask_b32_e64 v148, 0xff7fffff, v161, s12
	v_max3_f32 v146, v146, v149, v150
	v_cmp_gt_i32_e64 s13, s28, v182
	v_cmp_gt_i32_e64 s15, s28, v154
	v_mul_f32_e32 v157, s35, v136
	v_cmp_gt_i32_e64 s16, s28, v155
	v_max3_f32 v146, v146, v147, v148
	v_cndmask_b32_e64 v149, 0xff7fffff, v160, s13
	v_cndmask_b32_e64 v150, 0xff7fffff, v159, s15
	v_cmp_gt_i32_e64 s17, s28, v156
	v_cndmask_b32_e64 v147, 0xff7fffff, v158, s16
	v_lshlrev_b32_e32 v162, 2, v145
	s_delay_alu instid0(VALU_DEP_4) | instskip(NEXT) | instid1(VALU_DEP_4)
	v_max3_f32 v146, v146, v149, v150
	v_cndmask_b32_e64 v148, 0xff7fffff, v157, s17
	s_delay_alu instid0(VALU_DEP_1) | instskip(SKIP_3) | instid1(VALU_DEP_1)
	v_max3_f32 v145, v146, v147, v148
	ds_bpermute_b32 v146, v162, v145
	s_waitcnt lgkmcnt(0)
	v_max_f32_e32 v146, v146, v146
	v_max_f32_e32 v161, v145, v146
	s_delay_alu instid0(VALU_DEP_1) | instskip(NEXT) | instid1(VALU_DEP_1)
	v_fma_f32 v132, s35, v132, -v161
	v_mul_f32_e32 v132, 0x3fb8aa3b, v132
	v_fma_f32 v147, s35, v188, -v161
	v_fma_f32 v148, s35, v189, -v161
	;; [unrolled: 1-line block ×5, first 2 shown]
	s_delay_alu instid0(VALU_DEP_4) | instskip(NEXT) | instid1(VALU_DEP_4)
	v_dual_mul_f32 v147, 0x3fb8aa3b, v147 :: v_dual_mul_f32 v148, 0x3fb8aa3b, v148
	v_mul_f32_e32 v130, 0x3fb8aa3b, v130
	v_fma_f32 v154, s35, v193, -v161
	v_mul_f32_e32 v145, 0x3fb8aa3b, v145
	s_delay_alu instid0(VALU_DEP_4)
	v_exp_f32_e32 v147, v147
	v_exp_f32_e32 v152, v148
	v_mul_f32_e32 v146, 0x3fb8aa3b, v146
	v_fma_f32 v150, s35, v190, -v161
	v_fma_f32 v151, s35, v191, -v161
	;; [unrolled: 1-line block ×4, first 2 shown]
	v_exp_f32_e32 v149, v146
	s_delay_alu instid0(VALU_DEP_3) | instskip(NEXT) | instid1(TRANS32_DEP_3)
	v_dual_mul_f32 v150, 0x3fb8aa3b, v150 :: v_dual_mul_f32 v151, 0x3fb8aa3b, v151
	v_cndmask_b32_e64 v148, 0, v147, s3
	s_delay_alu instid0(VALU_DEP_3)
	v_mul_f32_e32 v134, 0x3fb8aa3b, v134
	v_cndmask_b32_e64 v147, 0, v152, s4
	v_mul_f32_e32 v152, 0x3fb8aa3b, v154
	v_exp_f32_e32 v145, v145
	v_exp_f32_e32 v150, v150
	v_mul_f32_e32 v153, 0x3fb8aa3b, v153
	v_exp_f32_e32 v151, v151
	v_fma_f32 v129, s35, v129, -v161
	v_exp_f32_e32 v155, v152
	v_fma_f32 v131, s35, v131, -v161
	v_exp_f32_e32 v153, v153
	v_exp_f32_e32 v130, v130
	v_mul_f32_e32 v129, 0x3fb8aa3b, v129
	v_cndmask_b32_e32 v146, 0, v145, vcc_lo
	v_cndmask_b32_e64 v145, 0, v149, s2
	v_cndmask_b32_e64 v150, 0, v150, s5
	v_mul_f32_e32 v131, 0x3fb8aa3b, v131
	v_exp_f32_e32 v129, v129
	v_add_f32_e32 v149, 0, v146
	v_fma_f32 v133, s35, v133, -v161
	v_cndmask_b32_e64 v152, 0, v153, s7
	v_exp_f32_e32 v131, v131
	v_exp_f32_e32 v132, v132
	v_add_f32_e32 v149, v149, v145
	v_mul_f32_e32 v133, 0x3fb8aa3b, v133
	s_mov_b32 s2, exec_lo
	s_delay_alu instid0(VALU_DEP_2) | instskip(NEXT) | instid1(VALU_DEP_2)
	v_add_f32_e32 v149, v149, v148
	v_exp_f32_e32 v133, v133
	s_delay_alu instid0(TRANS32_DEP_3) | instskip(SKIP_1) | instid1(VALU_DEP_2)
	v_cndmask_b32_e64 v156, 0, v131, s11
	v_exp_f32_e32 v131, v134
	v_add_f32_e32 v154, v149, v147
	v_cndmask_b32_e64 v149, 0, v151, s6
	s_delay_alu instid0(VALU_DEP_2) | instskip(SKIP_1) | instid1(TRANS32_DEP_2)
	v_add_f32_e32 v151, v154, v150
	v_cndmask_b32_e64 v154, 0, v129, s9
	v_cndmask_b32_e64 v158, 0, v133, s13
	s_waitcnt_depctr 0xfff
	v_cndmask_b32_e64 v157, 0, v131, s15
	v_add_f32_e32 v153, v151, v149
	v_cndmask_b32_e64 v151, 0, v155, s8
	v_cndmask_b32_e64 v155, 0, v132, s12
	v_fma_f32 v132, s35, v136, -v161
	s_delay_alu instid0(VALU_DEP_4) | instskip(NEXT) | instid1(VALU_DEP_1)
	v_add_f32_e32 v153, v153, v152
	v_dual_mul_f32 v132, 0x3fb8aa3b, v132 :: v_dual_add_f32 v129, v153, v151
	v_cndmask_b32_e64 v153, 0, v130, s10
	v_fma_f32 v130, s35, v135, -v161
	s_delay_alu instid0(VALU_DEP_3) | instskip(NEXT) | instid1(VALU_DEP_3)
	v_exp_f32_e32 v131, v132
	v_add_f32_e32 v129, v129, v154
	s_delay_alu instid0(VALU_DEP_1) | instskip(NEXT) | instid1(VALU_DEP_1)
	v_dual_mul_f32 v130, 0x3fb8aa3b, v130 :: v_dual_add_f32 v129, v129, v153
	v_exp_f32_e32 v130, v130
	s_waitcnt_depctr 0xfff
	v_cndmask_b32_e64 v159, 0, v131, s17
	v_add_f32_e32 v129, v129, v156
	s_delay_alu instid0(VALU_DEP_1) | instskip(SKIP_1) | instid1(VALU_DEP_2)
	v_add_f32_e32 v129, v129, v155
	v_cndmask_b32_e64 v160, 0, v130, s16
	v_add_f32_e32 v129, v129, v158
	s_delay_alu instid0(VALU_DEP_1) | instskip(NEXT) | instid1(VALU_DEP_1)
	v_add_f32_e32 v129, v129, v157
	v_add_f32_e32 v129, v129, v160
	s_delay_alu instid0(VALU_DEP_1)
	v_add_f32_e32 v129, v129, v159
	ds_bpermute_b32 v130, v162, v129
	v_cmpx_gt_u32_e32 16, v143
	s_cbranch_execz .LBB27_12
; %bb.11:
	v_mul_u32_u24_e32 v131, 0x44, v144
	s_delay_alu instid0(VALU_DEP_1) | instskip(SKIP_1) | instid1(VALU_DEP_1)
	v_lshl_add_u32 v131, v142, 2, v131
	s_waitcnt lgkmcnt(0)
	v_dual_add_f32 v129, v129, v130 :: v_dual_add_nc_u32 v130, 0x4000, v131
	ds_store_2addr_b32 v130, v161, v129 offset1:136
.LBB27_12:
	s_or_b32 exec_lo, exec_lo, s2
	v_lshlrev_b32_e32 v129, 2, v142
	v_cmp_eq_u32_e32 vcc_lo, 1, v144
	s_load_b32 s35, s[0:1], 0x94
	s_waitcnt lgkmcnt(0)
	s_barrier
	v_add_nc_u32_e32 v135, 0x4000, v129
	buffer_gl0_inv
	v_cmp_eq_u32_e64 s2, 2, v144
	v_cmp_eq_u32_e64 s3, 3, v144
	;; [unrolled: 1-line block ×3, first 2 shown]
	ds_load_2addr_b32 v[129:130], v135 offset1:17
	ds_load_2addr_b32 v[131:132], v135 offset0:34 offset1:51
	ds_load_2addr_b32 v[133:134], v135 offset0:68 offset1:85
	;; [unrolled: 1-line block ×4, first 2 shown]
	v_cmp_eq_u32_e64 s5, 5, v144
	v_cmp_eq_u32_e64 s6, 7, v144
	s_waitcnt lgkmcnt(4)
	v_max3_f32 v136, v129, 0xff7fffff, v130
	s_waitcnt lgkmcnt(3)
	s_delay_alu instid0(VALU_DEP_1) | instskip(SKIP_1) | instid1(VALU_DEP_1)
	v_max3_f32 v136, v136, v131, v132
	s_waitcnt lgkmcnt(2)
	v_max3_f32 v136, v136, v133, v134
	s_waitcnt lgkmcnt(1)
	s_delay_alu instid0(VALU_DEP_1) | instskip(NEXT) | instid1(VALU_DEP_1)
	v_max3_f32 v136, v136, v161, v162
	v_sub_f32_e32 v166, v132, v136
	v_sub_f32_e32 v129, v129, v136
	v_sub_f32_e32 v143, v130, v136
	v_sub_f32_e32 v131, v131, v136
	s_delay_alu instid0(VALU_DEP_4) | instskip(NEXT) | instid1(VALU_DEP_4)
	v_dual_sub_f32 v133, v133, v136 :: v_dual_mul_f32 v166, 0x3fb8aa3b, v166
	v_mul_f32_e32 v165, 0x3fb8aa3b, v129
	ds_load_2addr_b32 v[129:130], v135 offset0:170 offset1:187
	v_mul_f32_e32 v143, 0x3fb8aa3b, v143
	v_mul_f32_e32 v167, 0x3fb8aa3b, v131
	v_exp_f32_e32 v166, v166
	v_exp_f32_e32 v165, v165
	v_mul_f32_e32 v169, 0x3fb8aa3b, v133
	v_exp_f32_e32 v168, v143
	v_exp_f32_e32 v167, v167
	s_waitcnt lgkmcnt(1)
	s_delay_alu instid0(TRANS32_DEP_3) | instskip(SKIP_4) | instid1(VALU_DEP_1)
	v_fma_f32 v143, v165, v163, 0
	v_sub_f32_e32 v163, v134, v136
	s_waitcnt_depctr 0xfff
	v_fmac_f32_e32 v143, v168, v164
	s_waitcnt lgkmcnt(0)
	v_fmac_f32_e32 v143, v167, v129
	v_sub_f32_e32 v129, v162, v136
	s_delay_alu instid0(VALU_DEP_2)
	v_dual_fmac_f32 v143, v166, v130 :: v_dual_cndmask_b32 v130, v165, v168
	ds_load_2addr_b32 v[131:132], v135 offset0:204 offset1:221
	ds_load_2addr_b32 v[133:134], v135 offset0:238 offset1:255
	v_sub_f32_e32 v135, v161, v136
	v_mul_f32_e32 v161, 0x3fb8aa3b, v163
	v_exp_f32_e32 v163, v169
	v_mul_f32_e32 v129, 0x3fb8aa3b, v129
	s_waitcnt lgkmcnt(0)
	v_mul_f32_e32 v135, 0x3fb8aa3b, v135
	v_exp_f32_e32 v161, v161
	s_barrier
	v_exp_f32_e32 v162, v129
	buffer_gl0_inv
	v_exp_f32_e32 v135, v135
	v_fmac_f32_e32 v143, v163, v131
	s_delay_alu instid0(VALU_DEP_1) | instskip(SKIP_3) | instid1(VALU_DEP_2)
	v_fmac_f32_e32 v143, v161, v132
	s_waitcnt_depctr 0xfff
	v_fmac_f32_e32 v143, v135, v133
	v_lshlrev_b32_e32 v133, 6, v142
	v_fmac_f32_e32 v143, v162, v134
	s_delay_alu instid0(VALU_DEP_2) | instskip(NEXT) | instid1(VALU_DEP_2)
	v_lshl_or_b32 v134, v144, 11, v133
	v_add_f32_e32 v164, 0x358637bd, v143
	s_delay_alu instid0(VALU_DEP_1) | instskip(SKIP_1) | instid1(VALU_DEP_2)
	v_div_scale_f32 v169, null, v164, v164, 1.0
	v_div_scale_f32 v165, vcc_lo, 1.0, v164, 1.0
	v_rcp_f32_e32 v170, v169
	s_waitcnt_depctr 0xfff
	v_fma_f32 v129, -v169, v170, 1.0
	s_delay_alu instid0(VALU_DEP_1) | instskip(SKIP_2) | instid1(VALU_DEP_3)
	v_fmac_f32_e32 v170, v129, v170
	v_cndmask_b32_e64 v129, v130, v167, s2
	v_cmp_eq_u32_e64 s2, 6, v144
	v_mul_f32_e32 v167, v165, v170
	s_delay_alu instid0(VALU_DEP_3) | instskip(SKIP_1) | instid1(VALU_DEP_3)
	v_cndmask_b32_e64 v130, v129, v166, s3
	v_lshlrev_b32_e32 v129, 2, v141
	v_fma_f32 v131, -v169, v167, v165
	s_delay_alu instid0(VALU_DEP_3) | instskip(NEXT) | instid1(VALU_DEP_3)
	v_cndmask_b32_e64 v142, v130, v163, s4
	v_or_b32_e32 v130, 1, v129
	v_or_b32_e32 v132, 2, v129
	v_cmp_eq_u32_e64 s3, 1, v129
	v_fmac_f32_e32 v167, v131, v170
	v_cndmask_b32_e64 v142, v142, v161, s5
	v_or_b32_e32 v131, 3, v129
	v_cmp_eq_u32_e64 s8, 1, v130
	v_cmp_eq_u32_e64 s9, 1, v132
	v_fma_f32 v144, -v169, v167, v165
	v_cndmask_b32_e64 v135, v142, v135, s2
	v_cmp_eq_u32_e64 s10, 1, v131
	v_cmp_eq_u32_e64 s4, 2, v129
	;; [unrolled: 1-line block ×3, first 2 shown]
	v_div_fmas_f32 v142, v144, v170, v167
	v_cndmask_b32_e64 v144, v135, v162, s6
	v_lshl_or_b32 v135, v141, 4, v134
	v_cmp_eq_u32_e64 s13, 2, v132
	v_cmp_eq_u32_e64 s15, 2, v131
	v_div_fixup_f32 v142, v142, v164, 1.0
	v_cmp_eq_u32_e32 vcc_lo, 3, v129
	v_cmp_eq_u32_e64 s12, 3, v130
	v_cmp_eq_u32_e64 s16, 3, v132
	;; [unrolled: 1-line block ×3, first 2 shown]
	v_mul_f32_e32 v141, v144, v142
	v_cmp_eq_u32_e64 s21, 4, v131
	v_cmp_eq_u32_e64 s2, 4, v129
	v_cmp_eq_u32_e64 s18, 4, v130
	v_cmp_eq_u32_e64 s23, 5, v131
	v_fma_mixlo_f16 v161, v141, v146, 0
	v_fma_mixlo_f16 v162, v141, v148, 0
	;; [unrolled: 1-line block ×8, first 2 shown]
	v_fma_mixhi_f16 v161, v141, v145, 0
	v_fma_mixhi_f16 v162, v141, v147, 0
	;; [unrolled: 1-line block ×8, first 2 shown]
	ds_store_b128 v135, v[161:164]
	ds_store_b128 v135, v[165:168] offset:1024
	s_waitcnt lgkmcnt(0)
	s_barrier
	buffer_gl0_inv
	ds_load_b128 v[144:147], v134
	ds_load_b128 v[148:151], v134 offset:16
	ds_load_b128 v[152:155], v134 offset:1024
	;; [unrolled: 1-line block ×3, first 2 shown]
	v_cmp_eq_u32_e64 s5, 5, v129
	v_cmp_eq_u32_e64 s19, 5, v130
	;; [unrolled: 1-line block ×12, first 2 shown]
	s_waitcnt lgkmcnt(3)
	v_lshrrev_b32_e32 v141, 16, v144
	s_waitcnt lgkmcnt(2)
	v_lshrrev_b32_e32 v162, 16, v148
	;; [unrolled: 2-line block ×4, first 2 shown]
	v_lshrrev_b32_e32 v142, 16, v145
	v_cndmask_b32_e64 v174, v144, v141, s3
	v_cndmask_b32_e64 v175, v148, v162, s3
	;; [unrolled: 1-line block ×7, first 2 shown]
	v_lshrrev_b32_e32 v163, 16, v149
	v_cndmask_b32_e64 v179, v148, v162, s9
	v_cndmask_b32_e64 v148, v152, v166, s3
	;; [unrolled: 1-line block ×16, first 2 shown]
	v_lshrrev_b32_e32 v167, 16, v153
	v_cndmask_b32_e64 v177, v179, v149, s13
	v_cndmask_b32_e64 v145, v148, v153, s4
	;; [unrolled: 1-line block ×7, first 2 shown]
	v_cndmask_b32_e32 v156, v166, v142, vcc_lo
	v_cndmask_b32_e32 v166, v170, v163, vcc_lo
	v_cndmask_b32_e64 v170, v174, v142, s12
	v_cndmask_b32_e64 v174, v175, v163, s12
	;; [unrolled: 1-line block ×5, first 2 shown]
	v_lshrrev_b32_e32 v160, 16, v146
	v_lshrrev_b32_e32 v164, 16, v150
	;; [unrolled: 1-line block ×3, first 2 shown]
	v_cndmask_b32_e64 v141, v141, v146, s21
	v_cndmask_b32_e64 v142, v142, v150, s21
	v_cndmask_b32_e64 v176, v177, v163, s16
	v_cndmask_b32_e32 v144, v145, v167, vcc_lo
	v_cndmask_b32_e32 v145, v148, v171, vcc_lo
	v_cndmask_b32_e64 v148, v149, v167, s12
	v_cndmask_b32_e64 v149, v156, v146, s2
	v_cndmask_b32_e64 v156, v166, v150, s2
	v_cndmask_b32_e64 v163, v170, v146, s18
	v_cndmask_b32_e64 v166, v174, v150, s18
	v_cndmask_b32_e64 v141, v141, v160, s23
	v_cndmask_b32_e64 v142, v142, v164, s23
	v_lshrrev_b32_e32 v161, 16, v147
	v_lshrrev_b32_e32 v165, 16, v151
	;; [unrolled: 1-line block ×4, first 2 shown]
	v_cndmask_b32_e64 v170, v175, v146, s20
	v_cndmask_b32_e64 v174, v176, v150, s20
	;; [unrolled: 1-line block ×20, first 2 shown]
	v_lshrrev_b32_e32 v169, 16, v155
	v_cndmask_b32_e64 v148, v148, v147, s6
	v_cndmask_b32_e64 v149, v149, v151, s6
	;; [unrolled: 1-line block ×9, first 2 shown]
	v_perm_b32 v147, v142, v141, 0x5040100
	v_cndmask_b32_e64 v141, v183, v157, s13
	v_cndmask_b32_e64 v142, v181, v157, s11
	v_cndmask_b32_e64 v148, v148, v161, s7
	v_cndmask_b32_e64 v146, v160, v161, s27
	v_cndmask_b32_e64 v160, v163, v165, s27
	v_cndmask_b32_e64 v161, v144, v169, s7
	v_cndmask_b32_e64 v163, v145, v169, s29
	v_perm_b32 v145, v156, v150, 0x5040100
	v_cndmask_b32_e64 v144, v162, v167, s16
	v_cndmask_b32_e64 v150, v152, v167, s17
	;; [unrolled: 1-line block ×15, first 2 shown]
	v_lshrrev_b32_e32 v173, 16, v159
	v_cndmask_b32_e64 v144, v144, v155, s25
	v_cndmask_b32_e64 v150, v150, v155, s26
	;; [unrolled: 1-line block ×12, first 2 shown]
	v_perm_b32 v146, v160, v146, 0x5040100
	v_perm_b32 v144, v149, v148, 0x5040100
	;; [unrolled: 1-line block ×6, first 2 shown]
	s_lshl_b32 s6, s34, 1
	s_mov_b32 s2, exec_lo
	ds_store_b128 v135, v[144:147]
	ds_store_b128 v135, v[148:151] offset:1024
	v_cmpx_gt_u32_e32 2, v0
	s_cbranch_execz .LBB27_14
; %bb.13:
	v_or_b32_e32 v141, s33, v0
	s_load_b128 s[8:11], s[0:1], 0x58
	s_delay_alu instid0(VALU_DEP_1) | instskip(NEXT) | instid1(VALU_DEP_1)
	v_mad_u64_u32 v[144:145], null, s6, s30, v[141:142]
	v_mad_u64_u32 v[141:142], null, v144, s35, s[14:15]
	s_delay_alu instid0(VALU_DEP_1) | instskip(NEXT) | instid1(VALU_DEP_1)
	v_ashrrev_i32_e32 v142, 31, v141
	v_lshlrev_b64 v[141:142], 2, v[141:142]
	s_waitcnt lgkmcnt(0)
	s_delay_alu instid0(VALU_DEP_1) | instskip(NEXT) | instid1(VALU_DEP_2)
	v_add_co_u32 v144, vcc_lo, s10, v141
	v_add_co_ci_u32_e32 v145, vcc_lo, s11, v142, vcc_lo
	v_add_co_u32 v141, vcc_lo, s8, v141
	v_add_co_ci_u32_e32 v142, vcc_lo, s9, v142, vcc_lo
	global_store_b32 v[144:145], v136, off
	global_store_b32 v[141:142], v143, off
.LBB27_14:
	s_or_b32 exec_lo, exec_lo, s2
	s_waitcnt lgkmcnt(0)
	s_waitcnt_vscnt null, 0x0
	s_barrier
	buffer_gl0_inv
	ds_load_b128 v[149:152], v133
	ds_load_b128 v[153:156], v133 offset:16
	ds_load_b128 v[161:164], v133 offset:1040
	;; [unrolled: 1-line block ×5, first 2 shown]
	v_cmp_eq_u32_e32 vcc_lo, 1, v132
	v_mov_b32_e32 v141, 0
	ds_load_b128 v[177:180], v133 offset:3088
	ds_load_b128 v[173:176], v133 offset:3072
	;; [unrolled: 1-line block ×4, first 2 shown]
	v_cmp_eq_u32_e64 s2, 1, v129
	v_cmp_eq_u32_e64 s3, 1, v131
	;; [unrolled: 1-line block ×3, first 2 shown]
	v_mov_b32_e32 v142, v141
	v_mov_b32_e32 v143, v141
	;; [unrolled: 1-line block ×7, first 2 shown]
	v_cmp_eq_u32_e64 s5, 2, v129
	s_waitcnt lgkmcnt(8)
	s_delay_alu instid0(VALU_DEP_2)
	v_wmma_f32_16x16x16_f16 v[141:148], v[121:128], v[149:156], v[141:148]
	ds_load_b128 v[125:128], v133 offset:5136
	ds_load_b128 v[121:124], v133 offset:5120
	s_waitcnt lgkmcnt(8)
	v_wmma_f32_16x16x16_f16 v[141:148], v[113:120], v[157:164], v[141:148]
	ds_load_b128 v[117:120], v133 offset:6160
	ds_load_b128 v[113:116], v133 offset:6144
	s_waitcnt lgkmcnt(8)
	;; [unrolled: 4-line block ×11, first 2 shown]
	s_barrier
	buffer_gl0_inv
	v_wmma_f32_16x16x16_f16 v[141:148], v[1:8], v[73:80], v[141:148]
	s_delay_alu instid0(VALU_DEP_1) | instskip(NEXT) | instid1(VALU_DEP_1)
	v_wmma_f32_16x16x16_f16 v[141:148], v[9:16], v[65:72], v[141:148]
	v_wmma_f32_16x16x16_f16 v[141:148], v[33:40], v[57:64], v[141:148]
	s_delay_alu instid0(VALU_DEP_1) | instskip(NEXT) | instid1(VALU_DEP_1)
	v_wmma_f32_16x16x16_f16 v[141:148], v[41:48], v[49:56], v[141:148]
	v_wmma_f32_16x16x16_f16 v[141:148], v[17:24], v[25:32], v[141:148]
	s_delay_alu instid0(VALU_DEP_1) | instskip(NEXT) | instid1(VALU_DEP_2)
	v_cvt_f16_f32_e64 v1, v141
	v_cvt_f16_f32_e64 v2, v142
	s_delay_alu instid0(VALU_DEP_3) | instskip(NEXT) | instid1(VALU_DEP_4)
	v_cvt_f16_f32_e64 v3, v143
	v_cvt_f16_f32_e64 v4, v144
	v_cvt_f16_f32_e64 v5, v145
	v_cvt_f16_f32_e64 v6, v146
	v_cvt_f16_f32_e64 v7, v147
	v_cvt_f16_f32_e64 v8, v148
	v_pack_b32_f16 v1, v1, v2
	v_pack_b32_f16 v2, v3, v4
	;; [unrolled: 1-line block ×3, first 2 shown]
	s_delay_alu instid0(VALU_DEP_4)
	v_pack_b32_f16 v4, v7, v8
	ds_store_b128 v135, v[1:4]
	s_waitcnt lgkmcnt(0)
	s_barrier
	buffer_gl0_inv
	ds_load_b128 v[1:4], v134
	ds_load_b128 v[5:8], v134 offset:16
	s_waitcnt lgkmcnt(1)
	v_lshrrev_b32_e32 v9, 16, v1
	s_waitcnt lgkmcnt(0)
	v_lshrrev_b32_e32 v13, 16, v5
	v_lshrrev_b32_e32 v15, 16, v7
	;; [unrolled: 1-line block ×4, first 2 shown]
	v_cndmask_b32_e64 v17, v1, v9, s2
	v_cndmask_b32_e64 v18, v5, v13, s2
	;; [unrolled: 1-line block ×3, first 2 shown]
	v_cmp_eq_u32_e64 s2, 2, v130
	v_cndmask_b32_e64 v20, v5, v13, s4
	v_cndmask_b32_e32 v21, v1, v9, vcc_lo
	v_cndmask_b32_e32 v22, v5, v13, vcc_lo
	v_cndmask_b32_e64 v1, v1, v9, s3
	v_cndmask_b32_e64 v5, v5, v13, s3
	v_cmp_eq_u32_e32 vcc_lo, 2, v132
	v_cmp_eq_u32_e64 s3, 2, v131
	v_cndmask_b32_e64 v9, v17, v2, s5
	v_cndmask_b32_e64 v13, v18, v6, s5
	v_cndmask_b32_e64 v17, v19, v2, s2
	v_cndmask_b32_e64 v18, v20, v6, s2
	v_cndmask_b32_e32 v19, v21, v2, vcc_lo
	v_cmp_eq_u32_e64 s2, 3, v132
	v_cndmask_b32_e32 v20, v22, v6, vcc_lo
	v_cndmask_b32_e64 v1, v1, v2, s3
	v_cmp_eq_u32_e32 vcc_lo, 3, v131
	v_cmp_eq_u32_e64 s4, 3, v129
	v_cndmask_b32_e64 v2, v5, v6, s3
	v_cmp_eq_u32_e64 s3, 3, v130
	v_lshrrev_b32_e32 v16, 16, v8
	v_cmp_eq_u32_e64 s5, 4, v129
	v_cndmask_b32_e64 v5, v9, v10, s4
	v_cndmask_b32_e64 v6, v13, v14, s4
	;; [unrolled: 1-line block ×3, first 2 shown]
	v_cmp_eq_u32_e64 s4, 4, v130
	v_cndmask_b32_e64 v13, v18, v14, s3
	v_cndmask_b32_e64 v17, v19, v10, s2
	;; [unrolled: 1-line block ×3, first 2 shown]
	v_cndmask_b32_e32 v1, v1, v10, vcc_lo
	v_cndmask_b32_e32 v2, v2, v14, vcc_lo
	v_cmp_eq_u32_e32 vcc_lo, 4, v132
	v_cmp_eq_u32_e64 s3, 4, v131
	v_lshrrev_b32_e32 v11, 16, v3
	v_cndmask_b32_e64 v5, v5, v3, s5
	v_cndmask_b32_e64 v6, v6, v7, s5
	v_cndmask_b32_e64 v9, v9, v3, s4
	v_cndmask_b32_e64 v10, v13, v7, s4
	v_cndmask_b32_e32 v13, v17, v3, vcc_lo
	v_cmp_eq_u32_e64 s2, 5, v132
	v_cndmask_b32_e32 v14, v18, v7, vcc_lo
	v_cndmask_b32_e64 v1, v1, v3, s3
	v_cmp_eq_u32_e32 vcc_lo, 5, v131
	v_cmp_eq_u32_e64 s4, 5, v129
	v_cndmask_b32_e64 v2, v2, v7, s3
	v_cmp_eq_u32_e64 s3, 5, v130
	v_cmp_eq_u32_e64 s5, 6, v129
	v_cndmask_b32_e32 v1, v1, v11, vcc_lo
	v_cndmask_b32_e64 v3, v5, v11, s4
	v_cndmask_b32_e64 v5, v6, v15, s4
	;; [unrolled: 1-line block ×3, first 2 shown]
	v_cmp_eq_u32_e64 s4, 6, v130
	v_cndmask_b32_e64 v7, v10, v15, s3
	v_cndmask_b32_e64 v9, v13, v11, s2
	;; [unrolled: 1-line block ×3, first 2 shown]
	v_cndmask_b32_e32 v2, v2, v15, vcc_lo
	v_cmp_eq_u32_e32 vcc_lo, 6, v132
	v_cmp_eq_u32_e64 s2, 6, v131
	v_lshrrev_b32_e32 v12, 16, v4
	v_cndmask_b32_e64 v3, v3, v4, s5
	v_cndmask_b32_e64 v5, v5, v8, s5
	;; [unrolled: 1-line block ×4, first 2 shown]
	v_cndmask_b32_e32 v9, v9, v4, vcc_lo
	v_cmp_eq_u32_e64 s3, 7, v132
	v_cndmask_b32_e32 v10, v10, v8, vcc_lo
	v_cndmask_b32_e64 v1, v1, v4, s2
	v_cmp_eq_u32_e32 vcc_lo, 7, v131
	v_cndmask_b32_e64 v2, v2, v8, s2
	v_cmp_eq_u32_e64 s2, 7, v129
	v_cmp_eq_u32_e64 s4, 7, v130
	v_cndmask_b32_e32 v1, v1, v12, vcc_lo
	s_delay_alu instid0(VALU_DEP_4) | instskip(NEXT) | instid1(VALU_DEP_4)
	v_cndmask_b32_e32 v2, v2, v16, vcc_lo
	v_cndmask_b32_e64 v8, v3, v12, s2
	s_delay_alu instid0(VALU_DEP_4)
	v_cndmask_b32_e64 v6, v6, v12, s4
	v_cndmask_b32_e64 v3, v9, v12, s3
	;; [unrolled: 1-line block ×5, first 2 shown]
	v_perm_b32 v4, v2, v1, 0x5040100
	s_delay_alu instid0(VALU_DEP_4) | instskip(NEXT) | instid1(VALU_DEP_4)
	v_perm_b32 v3, v9, v3, 0x5040100
	v_perm_b32 v2, v7, v6, 0x5040100
	s_delay_alu instid0(VALU_DEP_4)
	v_perm_b32 v1, v5, v8, 0x5040100
	ds_store_b128 v135, v[1:4]
	s_waitcnt lgkmcnt(0)
	s_barrier
	buffer_gl0_inv
	s_and_saveexec_b32 s2, s31
	s_cbranch_execz .LBB27_2
; %bb.15:
	s_load_b64 s[0:1], s[0:1], 0x68
	v_lshlrev_b32_e32 v0, 10, v0
	s_lshl_b32 s2, s35, 6
	v_lshlrev_b32_e32 v1, 4, v140
	v_mul_lo_u32 v4, s2, v139
	s_mul_i32 s3, s2, s30
	v_and_b32_e32 v0, 0x3800, v0
	s_mul_i32 s2, s3, s6
	s_delay_alu instid0(SALU_CYCLE_1) | instskip(NEXT) | instid1(VALU_DEP_1)
	s_ashr_i32 s3, s2, 31
	v_or3_b32 v0, v0, v138, v1
	s_lshl_b64 s[2:3], s[2:3], 1
	s_delay_alu instid0(VALU_DEP_3)
	v_ashrrev_i32_e32 v5, 31, v4
	ds_load_b128 v[0:3], v0
	v_lshlrev_b64 v[4:5], 1, v[4:5]
	s_waitcnt lgkmcnt(0)
	s_add_u32 s2, s0, s2
	s_addc_u32 s3, s1, s3
	s_lshl_b32 s0, s14, 6
	s_delay_alu instid0(SALU_CYCLE_1) | instskip(NEXT) | instid1(SALU_CYCLE_1)
	s_ashr_i32 s1, s0, 31
	s_lshl_b64 s[0:1], s[0:1], 1
	s_delay_alu instid0(SALU_CYCLE_1) | instskip(SKIP_3) | instid1(VALU_DEP_2)
	s_add_u32 s0, s2, s0
	s_addc_u32 s1, s3, s1
	v_add_co_u32 v4, vcc_lo, s0, v4
	v_add_co_ci_u32_e32 v5, vcc_lo, s1, v5, vcc_lo
	v_add_co_u32 v4, vcc_lo, v4, v137
	s_delay_alu instid0(VALU_DEP_2)
	v_add_co_ci_u32_e32 v5, vcc_lo, 0, v5, vcc_lo
	global_store_b128 v[4:5], v[0:3], off
	s_nop 0
	s_sendmsg sendmsg(MSG_DEALLOC_VGPRS)
	s_endpgm
	.section	.rodata,"a",@progbits
	.p2align	6, 0x0
	.amdhsa_kernel _Z39paged_attention_ll4mi_QKV_mfma16_kernelIDF16_DF16_LN4vllm18Fp8KVCacheDataTypeE0EhLi16ELi64ELi256ELb1ELi2EL8MFMAType0EEvPKT_PKT0_S8_ifPKiSA_SA_iPKfiiiPfSD_PS3_PT2_iSC_SC_
		.amdhsa_group_segment_fixed_size 17472
		.amdhsa_private_segment_fixed_size 0
		.amdhsa_kernarg_size 400
		.amdhsa_user_sgpr_count 13
		.amdhsa_user_sgpr_dispatch_ptr 0
		.amdhsa_user_sgpr_queue_ptr 0
		.amdhsa_user_sgpr_kernarg_segment_ptr 1
		.amdhsa_user_sgpr_dispatch_id 0
		.amdhsa_user_sgpr_private_segment_size 0
		.amdhsa_wavefront_size32 1
		.amdhsa_uses_dynamic_stack 0
		.amdhsa_enable_private_segment 0
		.amdhsa_system_sgpr_workgroup_id_x 1
		.amdhsa_system_sgpr_workgroup_id_y 1
		.amdhsa_system_sgpr_workgroup_id_z 1
		.amdhsa_system_sgpr_workgroup_info 0
		.amdhsa_system_vgpr_workitem_id 0
		.amdhsa_next_free_vgpr 202
		.amdhsa_next_free_sgpr 52
		.amdhsa_reserve_vcc 1
		.amdhsa_float_round_mode_32 0
		.amdhsa_float_round_mode_16_64 0
		.amdhsa_float_denorm_mode_32 3
		.amdhsa_float_denorm_mode_16_64 3
		.amdhsa_dx10_clamp 1
		.amdhsa_ieee_mode 1
		.amdhsa_fp16_overflow 0
		.amdhsa_workgroup_processor_mode 1
		.amdhsa_memory_ordered 1
		.amdhsa_forward_progress 0
		.amdhsa_shared_vgpr_count 0
		.amdhsa_exception_fp_ieee_invalid_op 0
		.amdhsa_exception_fp_denorm_src 0
		.amdhsa_exception_fp_ieee_div_zero 0
		.amdhsa_exception_fp_ieee_overflow 0
		.amdhsa_exception_fp_ieee_underflow 0
		.amdhsa_exception_fp_ieee_inexact 0
		.amdhsa_exception_int_div_zero 0
	.end_amdhsa_kernel
	.section	.text._Z39paged_attention_ll4mi_QKV_mfma16_kernelIDF16_DF16_LN4vllm18Fp8KVCacheDataTypeE0EhLi16ELi64ELi256ELb1ELi2EL8MFMAType0EEvPKT_PKT0_S8_ifPKiSA_SA_iPKfiiiPfSD_PS3_PT2_iSC_SC_,"axG",@progbits,_Z39paged_attention_ll4mi_QKV_mfma16_kernelIDF16_DF16_LN4vllm18Fp8KVCacheDataTypeE0EhLi16ELi64ELi256ELb1ELi2EL8MFMAType0EEvPKT_PKT0_S8_ifPKiSA_SA_iPKfiiiPfSD_PS3_PT2_iSC_SC_,comdat
.Lfunc_end27:
	.size	_Z39paged_attention_ll4mi_QKV_mfma16_kernelIDF16_DF16_LN4vllm18Fp8KVCacheDataTypeE0EhLi16ELi64ELi256ELb1ELi2EL8MFMAType0EEvPKT_PKT0_S8_ifPKiSA_SA_iPKfiiiPfSD_PS3_PT2_iSC_SC_, .Lfunc_end27-_Z39paged_attention_ll4mi_QKV_mfma16_kernelIDF16_DF16_LN4vllm18Fp8KVCacheDataTypeE0EhLi16ELi64ELi256ELb1ELi2EL8MFMAType0EEvPKT_PKT0_S8_ifPKiSA_SA_iPKfiiiPfSD_PS3_PT2_iSC_SC_
                                        ; -- End function
	.section	.AMDGPU.csdata,"",@progbits
; Kernel info:
; codeLenInByte = 7588
; NumSgprs: 54
; NumVgprs: 202
; ScratchSize: 0
; MemoryBound: 0
; FloatMode: 240
; IeeeMode: 1
; LDSByteSize: 17472 bytes/workgroup (compile time only)
; SGPRBlocks: 6
; VGPRBlocks: 25
; NumSGPRsForWavesPerEU: 54
; NumVGPRsForWavesPerEU: 202
; Occupancy: 7
; WaveLimiterHint : 1
; COMPUTE_PGM_RSRC2:SCRATCH_EN: 0
; COMPUTE_PGM_RSRC2:USER_SGPR: 13
; COMPUTE_PGM_RSRC2:TRAP_HANDLER: 0
; COMPUTE_PGM_RSRC2:TGID_X_EN: 1
; COMPUTE_PGM_RSRC2:TGID_Y_EN: 1
; COMPUTE_PGM_RSRC2:TGID_Z_EN: 1
; COMPUTE_PGM_RSRC2:TIDIG_COMP_CNT: 0
	.section	.text._Z39paged_attention_ll4mi_QKV_mfma16_kernelIDF16_DF16_LN4vllm18Fp8KVCacheDataTypeE0EhLi16ELi64ELi256ELb1ELi3EL8MFMAType0EEvPKT_PKT0_S8_ifPKiSA_SA_iPKfiiiPfSD_PS3_PT2_iSC_SC_,"axG",@progbits,_Z39paged_attention_ll4mi_QKV_mfma16_kernelIDF16_DF16_LN4vllm18Fp8KVCacheDataTypeE0EhLi16ELi64ELi256ELb1ELi3EL8MFMAType0EEvPKT_PKT0_S8_ifPKiSA_SA_iPKfiiiPfSD_PS3_PT2_iSC_SC_,comdat
	.protected	_Z39paged_attention_ll4mi_QKV_mfma16_kernelIDF16_DF16_LN4vllm18Fp8KVCacheDataTypeE0EhLi16ELi64ELi256ELb1ELi3EL8MFMAType0EEvPKT_PKT0_S8_ifPKiSA_SA_iPKfiiiPfSD_PS3_PT2_iSC_SC_ ; -- Begin function _Z39paged_attention_ll4mi_QKV_mfma16_kernelIDF16_DF16_LN4vllm18Fp8KVCacheDataTypeE0EhLi16ELi64ELi256ELb1ELi3EL8MFMAType0EEvPKT_PKT0_S8_ifPKiSA_SA_iPKfiiiPfSD_PS3_PT2_iSC_SC_
	.globl	_Z39paged_attention_ll4mi_QKV_mfma16_kernelIDF16_DF16_LN4vllm18Fp8KVCacheDataTypeE0EhLi16ELi64ELi256ELb1ELi3EL8MFMAType0EEvPKT_PKT0_S8_ifPKiSA_SA_iPKfiiiPfSD_PS3_PT2_iSC_SC_
	.p2align	8
	.type	_Z39paged_attention_ll4mi_QKV_mfma16_kernelIDF16_DF16_LN4vllm18Fp8KVCacheDataTypeE0EhLi16ELi64ELi256ELb1ELi3EL8MFMAType0EEvPKT_PKT0_S8_ifPKiSA_SA_iPKfiiiPfSD_PS3_PT2_iSC_SC_,@function
_Z39paged_attention_ll4mi_QKV_mfma16_kernelIDF16_DF16_LN4vllm18Fp8KVCacheDataTypeE0EhLi16ELi64ELi256ELb1ELi3EL8MFMAType0EEvPKT_PKT0_S8_ifPKiSA_SA_iPKfiiiPfSD_PS3_PT2_iSC_SC_: ; @_Z39paged_attention_ll4mi_QKV_mfma16_kernelIDF16_DF16_LN4vllm18Fp8KVCacheDataTypeE0EhLi16ELi64ELi256ELb1ELi3EL8MFMAType0EEvPKT_PKT0_S8_ifPKiSA_SA_iPKfiiiPfSD_PS3_PT2_iSC_SC_
; %bb.0:
	s_load_b64 s[2:3], s[0:1], 0x30
	s_mov_b32 s34, s13
	s_waitcnt lgkmcnt(0)
	s_cmp_lg_u64 s[2:3], 0
	s_cselect_b32 s8, -1, 0
	s_ashr_i32 s35, s13, 31
	s_cmp_eq_u64 s[2:3], 0
	s_cbranch_scc1 .LBB28_3
; %bb.1:
	s_lshl_b64 s[4:5], s[34:35], 2
	s_delay_alu instid0(SALU_CYCLE_1) | instskip(SKIP_4) | instid1(SALU_CYCLE_1)
	s_add_u32 s4, s2, s4
	s_addc_u32 s5, s3, s5
	s_load_b64 s[4:5], s[4:5], 0x0
	s_waitcnt lgkmcnt(0)
	s_sub_i32 s4, s5, s4
	s_cmp_eq_u32 s4, 1
	s_cselect_b32 s4, -1, 0
	s_delay_alu instid0(SALU_CYCLE_1)
	s_and_not1_b32 vcc_lo, exec_lo, s4
	s_cbranch_vccz .LBB28_4
.LBB28_2:
	s_nop 0
	s_sendmsg sendmsg(MSG_DEALLOC_VGPRS)
	s_endpgm
.LBB28_3:
.LBB28_4:
	s_load_b64 s[4:5], s[0:1], 0x28
	s_lshl_b64 s[6:7], s[34:35], 2
	s_waitcnt lgkmcnt(0)
	s_add_u32 s4, s4, s6
	s_addc_u32 s5, s5, s7
	s_lshl_b32 s31, s14, 8
	s_load_b32 s30, s[4:5], 0x0
	s_waitcnt lgkmcnt(0)
	s_cmp_ge_i32 s31, s30
	s_cbranch_scc1 .LBB28_2
; %bb.5:
	s_clause 0x1
	s_load_b128 s[20:23], s[0:1], 0x8
	s_load_b64 s[4:5], s[0:1], 0x20
	s_and_not1_b32 vcc_lo, exec_lo, s8
	s_cbranch_vccnz .LBB28_7
; %bb.6:
	s_add_u32 s2, s2, s6
	s_addc_u32 s3, s3, s7
	s_load_b32 s3, s[2:3], 0x0
	s_branch .LBB28_8
.LBB28_7:
	s_mov_b32 s3, s34
.LBB28_8:
	s_load_b128 s[16:19], s[0:1], 0x48
	v_lshrrev_b32_e32 v149, 5, v0
	v_bfe_u32 v146, v0, 4, 1
	v_and_b32_e32 v148, 15, v0
	v_and_b32_e32 v150, 31, v0
	;; [unrolled: 1-line block ×3, first 2 shown]
	s_mul_i32 s33, s15, 3
	v_lshl_or_b32 v1, v149, 1, v146
	v_lshlrev_b32_e32 v2, 3, v148
	v_cmp_gt_u32_e64 s2, 8, v148
	s_delay_alu instid0(VALU_DEP_3) | instskip(NEXT) | instid1(VALU_DEP_3)
	v_cmp_gt_u32_e32 vcc_lo, 3, v1
	v_lshlrev_b32_e32 v145, 1, v2
	s_delay_alu instid0(VALU_DEP_3) | instskip(NEXT) | instid1(SALU_CYCLE_1)
	s_and_b32 s7, s2, vcc_lo
	s_and_saveexec_b32 s6, s7
	s_cbranch_execz .LBB28_10
; %bb.9:
	s_load_b64 s[8:9], s[0:1], 0x0
	v_add_lshl_u32 v2, v1, s33, 6
	s_waitcnt lgkmcnt(0)
	s_mul_hi_i32 s11, s3, s16
	s_mul_i32 s10, s3, s16
	v_lshlrev_b32_e32 v6, 10, v148
	s_lshl_b64 s[10:11], s[10:11], 1
	v_ashrrev_i32_e32 v3, 31, v2
	v_lshlrev_b32_e32 v1, 6, v1
	v_lshlrev_b32_e32 v7, 10, v147
	v_and_b32_e32 v6, 0x3800, v6
	s_delay_alu instid0(VALU_DEP_4) | instskip(NEXT) | instid1(VALU_DEP_2)
	v_lshlrev_b64 v[2:3], 1, v[2:3]
	v_or3_b32 v1, v6, v7, v1
	s_add_u32 s3, s8, s10
	s_addc_u32 s7, s9, s11
	s_delay_alu instid0(VALU_DEP_2) | instskip(NEXT) | instid1(VALU_DEP_3)
	v_add_co_u32 v2, vcc_lo, s3, v2
	v_add_co_ci_u32_e32 v3, vcc_lo, s7, v3, vcc_lo
	s_delay_alu instid0(VALU_DEP_2) | instskip(NEXT) | instid1(VALU_DEP_2)
	v_add_co_u32 v2, vcc_lo, v2, v145
	v_add_co_ci_u32_e32 v3, vcc_lo, 0, v3, vcc_lo
	global_load_b128 v[2:5], v[2:3], off
	s_waitcnt vmcnt(0)
	ds_store_b128 v1, v[2:5]
.LBB28_10:
	s_or_b32 exec_lo, exec_lo, s6
	v_and_b32_e32 v1, 0xef, v0
	s_waitcnt lgkmcnt(0)
	s_add_i32 s3, s30, 15
	s_clause 0x1
	s_load_b32 s6, s[0:1], 0x38
	s_load_b32 s35, s[0:1], 0x98
	s_ashr_i32 s7, s3, 31
	v_add_nc_u32_e32 v1, s31, v1
	s_lshr_b32 s7, s7, 28
	s_load_b32 s36, s[0:1], 0x1c
	s_add_i32 s3, s3, s7
	s_waitcnt lgkmcnt(0)
	v_ashrrev_i32_e32 v2, 31, v1
	v_or_b32_e32 v3, 16, v1
	s_ashr_i32 s3, s3, 4
	v_cmp_gt_i32_e32 vcc_lo, s30, v1
	s_add_i32 s3, s3, -1
	v_lshrrev_b32_e32 v2, 28, v2
	s_barrier
	buffer_gl0_inv
	v_add_nc_u32_e32 v4, v1, v2
	s_mul_i32 s6, s34, s6
	s_delay_alu instid0(SALU_CYCLE_1) | instskip(NEXT) | instid1(VALU_DEP_1)
	s_ashr_i32 s7, s6, 31
	v_ashrrev_i32_e32 v4, 4, v4
	v_add_nc_u32_e32 v2, v3, v2
	s_lshl_b64 s[6:7], s[6:7], 2
	s_delay_alu instid0(SALU_CYCLE_1) | instskip(NEXT) | instid1(VALU_DEP_2)
	s_add_u32 s16, s4, s6
	v_cndmask_b32_e32 v1, s3, v4, vcc_lo
	s_delay_alu instid0(VALU_DEP_2) | instskip(SKIP_3) | instid1(SALU_CYCLE_1)
	v_ashrrev_i32_e32 v2, 4, v2
	v_cmp_gt_i32_e32 vcc_lo, s30, v3
	s_addc_u32 s37, s5, s7
	s_mul_i32 s4, s15, s18
	s_ashr_i32 s5, s4, 31
	v_cndmask_b32_e32 v3, s3, v2, vcc_lo
	v_ashrrev_i32_e32 v2, 31, v1
	s_lshl_b64 s[12:13], s[4:5], 1
	s_delay_alu instid0(SALU_CYCLE_1) | instskip(NEXT) | instid1(VALU_DEP_2)
	s_add_u32 s26, s20, s12
	v_ashrrev_i32_e32 v4, 31, v3
	s_delay_alu instid0(VALU_DEP_2) | instskip(SKIP_2) | instid1(VALU_DEP_2)
	v_lshlrev_b64 v[1:2], 2, v[1:2]
	s_addc_u32 s27, s21, s13
	s_lshl_b32 s4, s14, 4
	v_lshlrev_b64 v[3:4], 2, v[3:4]
	s_ashr_i32 s5, s4, 31
	s_delay_alu instid0(VALU_DEP_2) | instskip(SKIP_1) | instid1(VALU_DEP_3)
	v_add_co_u32 v1, vcc_lo, s16, v1
	v_add_co_ci_u32_e32 v2, vcc_lo, s37, v2, vcc_lo
	v_add_co_u32 v3, vcc_lo, s16, v3
	s_delay_alu instid0(VALU_DEP_4)
	v_add_co_ci_u32_e32 v4, vcc_lo, s37, v4, vcc_lo
	s_clause 0x1
	global_load_b32 v5, v[1:2], off
	global_load_b32 v6, v[3:4], off
	s_lshl_b64 s[4:5], s[4:5], 2
	v_lshlrev_b32_e32 v3, 4, v0
	s_add_u32 s4, s16, s4
	s_addc_u32 s5, s37, s5
	s_or_b32 s6, s31, 16
	s_delay_alu instid0(SALU_CYCLE_1) | instskip(SKIP_2) | instid1(SALU_CYCLE_1)
	s_ashr_i32 s7, s6, 4
	s_cmp_lt_i32 s6, s30
	s_cselect_b32 s6, s7, s3
	s_ashr_i32 s7, s6, 31
	s_delay_alu instid0(SALU_CYCLE_1) | instskip(NEXT) | instid1(SALU_CYCLE_1)
	s_lshl_b64 s[6:7], s[6:7], 2
	s_add_u32 s6, s16, s6
	s_addc_u32 s7, s37, s7
	s_or_b32 s8, s31, 32
	s_delay_alu instid0(SALU_CYCLE_1) | instskip(SKIP_2) | instid1(SALU_CYCLE_1)
	s_ashr_i32 s9, s8, 4
	s_cmp_lt_i32 s8, s30
	s_cselect_b32 s8, s9, s3
	s_ashr_i32 s9, s8, 31
	s_delay_alu instid0(SALU_CYCLE_1) | instskip(NEXT) | instid1(SALU_CYCLE_1)
	s_lshl_b64 s[8:9], s[8:9], 2
	;; [unrolled: 10-line block ×5, first 2 shown]
	s_add_u32 s24, s16, s18
	s_addc_u32 s25, s37, s19
	s_clause 0x5
	s_load_b32 s38, s[4:5], 0x0
	s_load_b32 s29, s[6:7], 0x0
	;; [unrolled: 1-line block ×6, first 2 shown]
	s_waitcnt vmcnt(1)
	v_mad_i64_i32 v[1:2], null, v5, s17, 0
	v_and_b32_e32 v5, 0xf0, v3
	s_waitcnt vmcnt(0)
	v_mad_i64_i32 v[3:4], null, v6, s17, 0
	s_delay_alu instid0(VALU_DEP_2) | instskip(NEXT) | instid1(VALU_DEP_4)
	v_add_co_u32 v7, s4, s26, v5
	v_lshlrev_b64 v[1:2], 1, v[1:2]
	v_add_co_ci_u32_e64 v8, null, s27, 0, s4
	s_delay_alu instid0(VALU_DEP_4) | instskip(SKIP_1) | instid1(VALU_DEP_3)
	v_lshlrev_b64 v[5:6], 1, v[3:4]
	s_or_b32 s4, s31, 0x60
	v_add_co_u32 v3, vcc_lo, v7, v1
	s_delay_alu instid0(VALU_DEP_3) | instskip(NEXT) | instid1(VALU_DEP_3)
	v_add_co_ci_u32_e32 v4, vcc_lo, v8, v2, vcc_lo
	v_add_co_u32 v1, vcc_lo, v7, v5
	s_delay_alu instid0(VALU_DEP_4)
	v_add_co_ci_u32_e32 v2, vcc_lo, v8, v6, vcc_lo
	s_clause 0x9
	global_load_b128 v[9:12], v[3:4], off
	global_load_b128 v[13:16], v[3:4], off offset:256
	global_load_b128 v[129:132], v[1:2], off
	global_load_b128 v[133:136], v[1:2], off offset:256
	global_load_b128 v[41:44], v[3:4], off offset:512
	;; [unrolled: 1-line block ×7, first 2 shown]
	v_mul_lo_u16 v5, 0x56, v148
	s_clause 0x1
	global_load_b128 v[151:154], v[1:2], off offset:1024
	global_load_b128 v[155:158], v[1:2], off offset:1280
	s_ashr_i32 s5, s4, 4
	s_cmp_lt_i32 s4, s30
	v_lshlrev_b32_e32 v6, 5, v148
	v_lshrrev_b16 v5, 8, v5
	s_cselect_b32 s4, s5, s3
	s_delay_alu instid0(SALU_CYCLE_1) | instskip(NEXT) | instid1(VALU_DEP_2)
	s_ashr_i32 s5, s4, 31
	v_lshl_or_b32 v6, v149, 9, v6
	s_delay_alu instid0(VALU_DEP_2) | instskip(SKIP_1) | instid1(SALU_CYCLE_1)
	v_mul_lo_u16 v5, v5, 3
	s_lshl_b64 s[4:5], s[4:5], 2
	s_add_u32 s20, s16, s4
	s_addc_u32 s21, s37, s5
	s_delay_alu instid0(VALU_DEP_1) | instskip(SKIP_1) | instid1(SALU_CYCLE_1)
	v_sub_nc_u16 v5, v148, v5
	s_or_b32 s4, s31, 0x70
	s_ashr_i32 s5, s4, 4
	s_cmp_lt_i32 s4, s30
	s_delay_alu instid0(VALU_DEP_1) | instskip(SKIP_1) | instid1(SALU_CYCLE_1)
	v_and_b32_e32 v5, 0xff, v5
	s_cselect_b32 s4, s5, s3
	s_ashr_i32 s5, s4, 31
	s_delay_alu instid0(VALU_DEP_1)
	v_lshlrev_b32_e32 v197, 6, v5
	ds_load_b128 v[159:162], v197
	ds_load_b128 v[163:166], v197 offset:1024
	s_clause 0x3
	global_load_b128 v[167:170], v[3:4], off offset:1536
	global_load_b128 v[171:174], v[3:4], off offset:1792
	;; [unrolled: 1-line block ×4, first 2 shown]
	s_lshl_b64 s[6:7], s[4:5], 2
	s_mov_b32 s4, 0
	s_add_u32 s24, s16, s6
	s_addc_u32 s25, s37, s7
	s_or_b32 s5, s31, 0x80
	s_mov_b32 s11, s4
	s_ashr_i32 s6, s5, 4
	s_cmp_lt_i32 s5, s30
	s_mov_b32 s5, s4
	s_cselect_b32 s8, s6, s3
	s_mov_b32 s6, s4
	s_ashr_i32 s9, s8, 31
	s_mov_b32 s7, s4
	s_lshl_b64 s[8:9], s[8:9], 2
	s_clause 0x1
	s_load_b32 s45, s[20:21], 0x0
	s_load_b32 s46, s[24:25], 0x0
	s_add_u32 s26, s16, s8
	s_addc_u32 s27, s37, s9
	s_or_b32 s9, s31, 0x90
	s_mov_b32 s8, s4
	s_ashr_i32 s10, s9, 4
	s_cmp_lt_i32 s9, s30
	s_mov_b32 s9, s4
	s_cselect_b32 s40, s10, s3
	s_mov_b32 s10, s4
	s_ashr_i32 s41, s40, 31
	v_mov_b32_e32 v144, s11
	s_lshl_b64 s[40:41], s[40:41], 2
	v_mov_b32_e32 v143, s10
	s_add_u32 s40, s16, s40
	s_addc_u32 s41, s37, s41
	s_or_b32 s39, s31, 0xa0
	s_load_b32 s41, s[40:41], 0x0
	s_ashr_i32 s42, s39, 4
	s_cmp_lt_i32 s39, s30
	v_mov_b32_e32 v142, s9
	s_cselect_b32 s42, s42, s3
	v_mov_b32_e32 v141, s8
	s_ashr_i32 s43, s42, 31
	v_dual_mov_b32 v140, s7 :: v_dual_mov_b32 v139, s6
	v_dual_mov_b32 v138, s5 :: v_dual_mov_b32 v137, s4
	s_lshl_b64 s[4:5], s[42:43], 2
	s_waitcnt lgkmcnt(0)
	s_mul_hi_i32 s7, s29, s17
	s_add_u32 s42, s16, s4
	s_addc_u32 s43, s37, s5
	s_or_b32 s4, s31, 0xb0
	s_mul_hi_i32 s5, s38, s17
	s_ashr_i32 s6, s4, 4
	s_cmp_lt_i32 s4, s30
	s_mul_i32 s4, s38, s17
	s_cselect_b32 s8, s6, s3
	s_mul_i32 s6, s29, s17
	s_ashr_i32 s9, s8, 31
	s_load_b32 s40, s[42:43], 0x0
	s_lshl_b64 s[8:9], s[8:9], 2
	s_mul_hi_i32 s21, s15, s17
	s_add_u32 s38, s16, s8
	s_addc_u32 s39, s37, s9
	s_or_b32 s8, s31, 0xc0
	s_mul_hi_i32 s9, s28, s17
	s_ashr_i32 s10, s8, 4
	s_cmp_lt_i32 s8, s30
	s_mul_i32 s8, s28, s17
	s_cselect_b32 s28, s10, s3
	s_mul_hi_i32 s11, s19, s17
	s_ashr_i32 s29, s28, 31
	s_mul_i32 s10, s19, s17
	s_lshl_b64 s[28:29], s[28:29], 2
	s_mul_hi_i32 s19, s18, s17
	s_add_u32 s28, s16, s28
	s_addc_u32 s29, s37, s29
	s_or_b32 s44, s31, 0xd0
	s_mul_i32 s18, s18, s17
	s_ashr_i32 s20, s44, 4
	s_cmp_lt_i32 s44, s30
	s_load_b32 s44, s[26:27], 0x0
	s_cselect_b32 s24, s20, s3
	s_mul_i32 s20, s15, s17
	s_ashr_i32 s25, s24, 31
	s_mul_hi_i32 s27, s46, s17
	s_lshl_b64 s[24:25], s[24:25], 2
	s_mul_i32 s26, s46, s17
	s_add_u32 s24, s16, s24
	s_addc_u32 s25, s37, s25
	s_or_b32 s42, s31, 0xe0
	s_clause 0x2
	s_load_b32 s39, s[38:39], 0x0
	s_load_b32 s38, s[28:29], 0x0
	;; [unrolled: 1-line block ×3, first 2 shown]
	s_ashr_i32 s47, s42, 4
	s_cmp_lt_i32 s42, s30
	s_mul_hi_i32 s25, s45, s17
	s_mul_i32 s24, s45, s17
	s_mul_hi_i32 s43, s41, s17
	s_mul_i32 s42, s41, s17
	s_waitcnt lgkmcnt(0)
	s_mul_hi_i32 s41, s40, s17
	s_mul_i32 s40, s40, s17
	s_mul_hi_i32 s29, s44, s17
	s_mul_i32 s28, s44, s17
	s_cselect_b32 s44, s47, s3
	s_delay_alu instid0(SALU_CYCLE_1) | instskip(NEXT) | instid1(SALU_CYCLE_1)
	s_ashr_i32 s45, s44, 31
	s_lshl_b64 s[44:45], s[44:45], 2
	s_delay_alu instid0(SALU_CYCLE_1)
	s_add_u32 s44, s16, s44
	s_addc_u32 s45, s37, s45
	s_or_b32 s46, s31, 0xf0
	s_mul_hi_i32 s51, s15, s17
	s_ashr_i32 s48, s46, 4
	s_cmp_lt_i32 s46, s30
	s_mul_i32 s50, s15, s17
	s_cselect_b32 s48, s48, s3
	s_mul_hi_i32 s47, s39, s17
	s_ashr_i32 s49, s48, 31
	s_mul_i32 s46, s39, s17
	s_lshl_b64 s[48:49], s[48:49], 2
	s_mul_hi_i32 s39, s38, s17
	s_add_u32 s48, s16, s48
	s_addc_u32 s49, s37, s49
	s_add_u32 s3, s22, s12
	s_addc_u32 s15, s23, s13
	v_add_co_u32 v195, s3, s3, v6
	s_delay_alu instid0(VALU_DEP_1) | instskip(SKIP_2) | instid1(VALU_DEP_2)
	v_add_co_ci_u32_e64 v196, null, s15, 0, s3
	s_lshl_b64 s[4:5], s[4:5], 1
	s_lshl_b64 s[6:7], s[6:7], 1
	v_add_co_u32 v1, vcc_lo, v195, s4
	s_delay_alu instid0(VALU_DEP_2)
	v_add_co_ci_u32_e32 v2, vcc_lo, s5, v196, vcc_lo
	v_add_co_u32 v3, vcc_lo, v195, s6
	s_lshl_b64 s[8:9], s[8:9], 1
	v_add_co_ci_u32_e32 v4, vcc_lo, s7, v196, vcc_lo
	v_add_co_u32 v5, vcc_lo, v195, s8
	s_lshl_b64 s[10:11], s[10:11], 1
	;; [unrolled: 3-line block ×10, first 2 shown]
	s_mul_i32 s38, s38, s17
	v_add_co_ci_u32_e32 v184, vcc_lo, s29, v196, vcc_lo
	v_add_co_u32 v185, vcc_lo, v195, s40
	s_lshl_b64 s[38:39], s[38:39], 1
	s_clause 0x1
	s_load_b32 s3, s[44:45], 0x0
	s_load_b32 s15, s[48:49], 0x0
	v_add_co_ci_u32_e32 v186, vcc_lo, s41, v196, vcc_lo
	v_add_co_u32 v191, vcc_lo, v195, s38
	v_add_co_ci_u32_e32 v192, vcc_lo, s39, v196, vcc_lo
	s_clause 0x17
	global_load_b128 v[121:124], v[1:2], off
	global_load_b128 v[125:128], v[1:2], off offset:16
	global_load_b128 v[113:116], v[3:4], off
	global_load_b128 v[117:120], v[3:4], off offset:16
	;; [unrolled: 2-line block ×12, first 2 shown]
	s_lshl_b64 s[42:43], s[50:51], 1
	s_delay_alu instid0(SALU_CYCLE_1)
	v_add_co_u32 v193, vcc_lo, v195, s42
	v_add_co_ci_u32_e32 v194, vcc_lo, s43, v196, vcc_lo
	s_waitcnt lgkmcnt(0)
	s_mul_hi_i32 s5, s3, s17
	s_mul_i32 s4, s3, s17
	s_mul_hi_i32 s7, s15, s17
	s_lshl_b64 s[4:5], s[4:5], 1
	s_mul_i32 s6, s15, s17
	s_waitcnt vmcnt(38)
	v_wmma_f32_16x16x16_f16 v[183:190], v[9:16], v[159:166], v[137:144]
	s_waitcnt vmcnt(36)
	v_wmma_f32_16x16x16_f16 v[137:144], v[129:136], v[159:166], v[137:144]
	s_clause 0x1
	global_load_b128 v[9:12], v[191:192], off
	global_load_b128 v[13:16], v[191:192], off offset:16
	ds_load_b128 v[129:132], v197 offset:2048
	ds_load_b128 v[133:136], v197 offset:3072
	;; [unrolled: 1-line block ×4, first 2 shown]
	v_add_co_u32 v191, vcc_lo, v195, s4
	v_add_co_ci_u32_e32 v192, vcc_lo, s5, v196, vcc_lo
	s_lshl_b64 s[4:5], s[6:7], 1
	s_delay_alu instid0(SALU_CYCLE_1)
	v_add_co_u32 v195, vcc_lo, v195, s4
	v_add_co_ci_u32_e32 v196, vcc_lo, s5, v196, vcc_lo
	s_waitcnt vmcnt(36) lgkmcnt(2)
	v_wmma_f32_16x16x16_f16 v[183:190], v[41:48], v[129:136], v[183:190]
	s_waitcnt vmcnt(34)
	v_wmma_f32_16x16x16_f16 v[137:144], v[33:40], v[129:136], v[137:144]
	s_clause 0x3
	global_load_b128 v[33:36], v[193:194], off
	global_load_b128 v[37:40], v[193:194], off offset:16
	global_load_b128 v[41:44], v[191:192], off
	global_load_b128 v[45:48], v[191:192], off offset:16
	v_and_b32_e32 v129, 0xe0, v0
	v_mbcnt_lo_u32_b32 v191, -1, 0
	s_waitcnt vmcnt(36) lgkmcnt(0)
	v_wmma_f32_16x16x16_f16 v[183:190], v[17:24], v[159:166], v[183:190]
	s_clause 0x1
	global_load_b128 v[17:20], v[195:196], off
	global_load_b128 v[21:24], v[195:196], off offset:16
	s_waitcnt vmcnt(36)
	v_wmma_f32_16x16x16_f16 v[137:144], v[151:158], v[159:166], v[137:144]
	v_add_nc_u32_e32 v192, s31, v129
	ds_load_b128 v[129:132], v197 offset:6144
	ds_load_b128 v[133:136], v197 offset:7168
	v_xor_b32_e32 v151, 16, v191
	s_waitcnt vmcnt(0) lgkmcnt(0)
	s_barrier
	v_or_b32_e32 v152, v192, v146
	buffer_gl0_inv
	v_cmp_gt_i32_e32 vcc_lo, 32, v151
	v_or_b32_e32 v153, 2, v152
	v_or_b32_e32 v154, 4, v152
	;; [unrolled: 1-line block ×5, first 2 shown]
	v_cmp_gt_i32_e64 s3, s30, v153
	v_cmp_gt_i32_e64 s4, s30, v154
	;; [unrolled: 1-line block ×3, first 2 shown]
	v_or_b32_e32 v158, 12, v152
	v_or_b32_e32 v159, 14, v152
	v_cmp_gt_i32_e64 s6, s30, v156
	v_wmma_f32_16x16x16_f16 v[183:190], v[167:174], v[129:136], v[183:190]
	v_wmma_f32_16x16x16_f16 v[137:144], v[175:182], v[129:136], v[137:144]
	v_cndmask_b32_e32 v151, v191, v151, vcc_lo
	v_cmp_gt_i32_e32 vcc_lo, s30, v152
	v_cmp_gt_i32_e64 s7, s30, v157
	v_dual_mul_f32 v135, s36, v184 :: v_dual_mul_f32 v136, s36, v183
	v_mul_f32_e32 v134, s36, v185
	v_dual_mul_f32 v168, s36, v144 :: v_dual_mul_f32 v133, s36, v186
	s_delay_alu instid0(VALU_DEP_3) | instskip(NEXT) | instid1(VALU_DEP_4)
	v_cndmask_b32_e64 v135, 0xff7fffff, v135, s3
	v_cndmask_b32_e32 v136, 0xff7fffff, v136, vcc_lo
	v_dual_mul_f32 v131, s36, v188 :: v_dual_mul_f32 v174, s36, v138
	v_mul_f32_e32 v132, s36, v187
	v_cndmask_b32_e64 v134, 0xff7fffff, v134, s4
	v_cndmask_b32_e64 v133, 0xff7fffff, v133, s5
	v_max3_f32 v135, v136, 0xff7fffff, v135
	v_or_b32_e32 v160, 16, v152
	v_or_b32_e32 v161, 18, v152
	v_dual_mul_f32 v129, s36, v190 :: v_dual_mul_f32 v172, s36, v140
	v_mul_f32_e32 v130, s36, v189
	v_cndmask_b32_e64 v132, 0xff7fffff, v132, s6
	v_cndmask_b32_e64 v131, 0xff7fffff, v131, s7
	v_max3_f32 v133, v135, v134, v133
	v_cmp_gt_i32_e64 s8, s30, v158
	v_cmp_gt_i32_e64 s9, s30, v159
	v_or_b32_e32 v162, 20, v152
	v_or_b32_e32 v163, 22, v152
	v_mul_f32_e32 v175, s36, v137
	v_cndmask_b32_e64 v130, 0xff7fffff, v130, s8
	v_cndmask_b32_e64 v129, 0xff7fffff, v129, s9
	v_max3_f32 v131, v133, v132, v131
	v_cmp_gt_i32_e64 s10, s30, v160
	v_cmp_gt_i32_e64 s11, s30, v161
	v_or_b32_e32 v164, 24, v152
	v_or_b32_e32 v165, 26, v152
	;; [unrolled: 8-line block ×3, first 2 shown]
	v_dual_mul_f32 v170, s36, v142 :: v_dual_mul_f32 v171, s36, v141
	v_cndmask_b32_e64 v130, 0xff7fffff, v173, s12
	v_cndmask_b32_e64 v131, 0xff7fffff, v172, s13
	v_max3_f32 v129, v129, v132, v133
	v_cmp_gt_i32_e64 s15, s30, v164
	v_cmp_gt_i32_e64 s16, s30, v165
	v_mul_f32_e32 v169, s36, v143
	v_cmp_gt_i32_e64 s17, s30, v166
	v_max3_f32 v129, v129, v130, v131
	v_cndmask_b32_e64 v132, 0xff7fffff, v171, s15
	v_cndmask_b32_e64 v133, 0xff7fffff, v170, s16
	v_cmp_gt_i32_e64 s18, s30, v167
	v_cndmask_b32_e64 v130, 0xff7fffff, v169, s17
	s_delay_alu instid0(VALU_DEP_3) | instskip(NEXT) | instid1(VALU_DEP_3)
	v_max3_f32 v129, v129, v132, v133
	v_cndmask_b32_e64 v131, 0xff7fffff, v168, s18
	v_lshlrev_b32_e32 v132, 2, v151
	s_delay_alu instid0(VALU_DEP_2) | instskip(SKIP_3) | instid1(VALU_DEP_1)
	v_max3_f32 v129, v129, v130, v131
	ds_bpermute_b32 v130, v132, v129
	s_waitcnt lgkmcnt(0)
	v_max_f32_e32 v130, v130, v130
	v_max_f32_e32 v129, v129, v130
	s_delay_alu instid0(VALU_DEP_1)
	v_fma_f32 v134, s36, v186, -v129
	v_fma_f32 v130, s36, v183, -v129
	;; [unrolled: 1-line block ×5, first 2 shown]
	v_mul_f32_e32 v134, 0x3fb8aa3b, v134
	s_delay_alu instid0(VALU_DEP_4) | instskip(SKIP_1) | instid1(VALU_DEP_4)
	v_dual_mul_f32 v130, 0x3fb8aa3b, v130 :: v_dual_mul_f32 v131, 0x3fb8aa3b, v131
	v_fma_f32 v135, s36, v187, -v129
	v_mul_f32_e32 v136, 0x3fb8aa3b, v136
	s_delay_alu instid0(VALU_DEP_4) | instskip(NEXT) | instid1(VALU_DEP_3)
	v_exp_f32_e32 v134, v134
	v_exp_f32_e32 v130, v130
	;; [unrolled: 1-line block ×3, first 2 shown]
	v_mul_f32_e32 v135, 0x3fb8aa3b, v135
	v_exp_f32_e32 v136, v136
	s_delay_alu instid0(VALU_DEP_1) | instskip(SKIP_4) | instid1(TRANS32_DEP_3)
	v_exp_f32_e32 v135, v135
	v_cndmask_b32_e64 v153, 0, v134, s5
	v_fma_f32 v134, s36, v137, -v129
	v_dual_mul_f32 v133, 0x3fb8aa3b, v133 :: v_dual_cndmask_b32 v152, 0, v130
	v_fma_f32 v130, s36, v188, -v129
	v_cndmask_b32_e64 v151, 0, v131, s3
	s_delay_alu instid0(VALU_DEP_4) | instskip(NEXT) | instid1(VALU_DEP_4)
	v_mul_f32_e32 v134, 0x3fb8aa3b, v134
	v_exp_f32_e32 v133, v133
	s_delay_alu instid0(VALU_DEP_3) | instskip(SKIP_3) | instid1(VALU_DEP_4)
	v_dual_add_f32 v131, 0, v152 :: v_dual_mul_f32 v130, 0x3fb8aa3b, v130
	v_cndmask_b32_e64 v156, 0, v136, s8
	v_fma_f32 v136, s36, v140, -v129
	v_cndmask_b32_e64 v155, 0, v135, s6
	v_add_f32_e32 v131, v131, v151
	v_exp_f32_e32 v130, v130
	v_fma_f32 v135, s36, v138, -v129
	v_mul_f32_e32 v136, 0x3fb8aa3b, v136
	s_delay_alu instid0(TRANS32_DEP_2)
	v_cndmask_b32_e64 v154, 0, v133, s4
	v_fma_f32 v133, s36, v190, -v129
	v_exp_f32_e32 v134, v134
	v_cmp_gt_u32_e64 s3, 16, v150
	v_exp_f32_e32 v136, v136
	v_add_f32_e32 v131, v131, v154
	s_delay_alu instid0(TRANS32_DEP_3) | instskip(NEXT) | instid1(VALU_DEP_2)
	v_cndmask_b32_e64 v138, 0, v130, s7
	v_add_f32_e32 v131, v131, v153
	s_delay_alu instid0(VALU_DEP_1) | instskip(NEXT) | instid1(VALU_DEP_1)
	v_dual_mul_f32 v133, 0x3fb8aa3b, v133 :: v_dual_add_f32 v130, v131, v155
	v_exp_f32_e32 v133, v133
	v_fma_f32 v131, s36, v139, -v129
	s_delay_alu instid0(VALU_DEP_2) | instskip(NEXT) | instid1(VALU_DEP_1)
	v_add_f32_e32 v130, v130, v138
	v_add_f32_e32 v130, v130, v156
	s_waitcnt_depctr 0xfff
	v_cndmask_b32_e64 v139, 0, v133, s9
	v_fma_f32 v133, s36, v141, -v129
	v_cndmask_b32_e64 v141, 0, v134, s10
	v_fma_f32 v134, s36, v142, -v129
	v_cndmask_b32_e64 v142, 0, v136, s13
	v_add_f32_e32 v130, v130, v139
	s_delay_alu instid0(VALU_DEP_3) | instskip(NEXT) | instid1(VALU_DEP_2)
	v_dual_mul_f32 v135, 0x3fb8aa3b, v135 :: v_dual_mul_f32 v134, 0x3fb8aa3b, v134
	v_add_f32_e32 v130, v130, v141
	s_delay_alu instid0(VALU_DEP_2) | instskip(NEXT) | instid1(VALU_DEP_2)
	v_exp_f32_e32 v135, v135
	v_exp_f32_e32 v134, v134
	s_waitcnt_depctr 0xfff
	v_cndmask_b32_e64 v140, 0, v135, s11
	v_mul_f32_e32 v131, 0x3fb8aa3b, v131
	v_fma_f32 v135, s36, v143, -v129
	s_delay_alu instid0(VALU_DEP_3) | instskip(NEXT) | instid1(VALU_DEP_3)
	v_add_f32_e32 v130, v130, v140
	v_exp_f32_e32 v131, v131
	s_waitcnt_depctr 0xfff
	v_cndmask_b32_e64 v143, 0, v131, s12
	s_delay_alu instid0(VALU_DEP_1) | instskip(NEXT) | instid1(VALU_DEP_1)
	v_dual_mul_f32 v133, 0x3fb8aa3b, v133 :: v_dual_add_f32 v130, v130, v143
	v_exp_f32_e32 v133, v133
	v_mul_f32_e32 v131, 0x3fb8aa3b, v135
	v_fma_f32 v135, s36, v144, -v129
	v_cndmask_b32_e64 v144, 0, v134, s16
	v_add_f32_e32 v130, v130, v142
	s_delay_alu instid0(VALU_DEP_4) | instskip(SKIP_2) | instid1(VALU_DEP_1)
	v_exp_f32_e32 v131, v131
	s_waitcnt_depctr 0xfff
	v_cndmask_b32_e64 v157, 0, v133, s15
	v_dual_mul_f32 v133, 0x3fb8aa3b, v135 :: v_dual_add_f32 v130, v130, v157
	s_delay_alu instid0(VALU_DEP_1) | instskip(SKIP_1) | instid1(VALU_DEP_2)
	v_exp_f32_e32 v133, v133
	v_cndmask_b32_e64 v159, 0, v131, s17
	v_add_f32_e32 v130, v130, v144
	s_delay_alu instid0(VALU_DEP_1) | instskip(SKIP_2) | instid1(VALU_DEP_1)
	v_add_f32_e32 v130, v130, v159
	s_waitcnt_depctr 0xfff
	v_cndmask_b32_e64 v158, 0, v133, s18
	v_add_f32_e32 v130, v130, v158
	ds_bpermute_b32 v131, v132, v130
	s_and_saveexec_b32 s4, s3
	s_cbranch_execz .LBB28_12
; %bb.11:
	v_mul_u32_u24_e32 v132, 0x44, v149
	s_delay_alu instid0(VALU_DEP_1) | instskip(SKIP_1) | instid1(VALU_DEP_1)
	v_lshl_add_u32 v132, v148, 2, v132
	s_waitcnt lgkmcnt(0)
	v_dual_add_f32 v130, v130, v131 :: v_dual_add_nc_u32 v131, 0x4000, v132
	ds_store_2addr_b32 v131, v129, v130 offset1:136
.LBB28_12:
	s_or_b32 exec_lo, exec_lo, s4
	v_lshlrev_b32_e32 v129, 2, v148
	s_load_b32 s36, s[0:1], 0x94
	s_waitcnt lgkmcnt(0)
	s_barrier
	buffer_gl0_inv
	v_add_nc_u32_e32 v135, 0x4000, v129
	v_cmp_eq_u32_e32 vcc_lo, 1, v149
	v_cmp_eq_u32_e64 s4, 2, v149
	v_cmp_eq_u32_e64 s5, 3, v149
	;; [unrolled: 1-line block ×3, first 2 shown]
	ds_load_2addr_b32 v[129:130], v135 offset1:17
	ds_load_2addr_b32 v[131:132], v135 offset0:34 offset1:51
	ds_load_2addr_b32 v[133:134], v135 offset0:68 offset1:85
	;; [unrolled: 1-line block ×3, first 2 shown]
	v_cmp_eq_u32_e64 s7, 5, v149
	v_cmp_eq_u32_e64 s8, 7, v149
	s_waitcnt lgkmcnt(3)
	v_max3_f32 v136, v129, 0xff7fffff, v130
	s_waitcnt lgkmcnt(2)
	s_delay_alu instid0(VALU_DEP_1) | instskip(SKIP_1) | instid1(VALU_DEP_1)
	v_max3_f32 v136, v136, v131, v132
	s_waitcnt lgkmcnt(1)
	v_max3_f32 v136, v136, v133, v134
	s_waitcnt lgkmcnt(0)
	s_delay_alu instid0(VALU_DEP_1) | instskip(NEXT) | instid1(VALU_DEP_1)
	v_max3_f32 v136, v136, v160, v161
	v_sub_f32_e32 v164, v132, v136
	ds_load_2addr_b32 v[162:163], v135 offset0:136 offset1:153
	v_sub_f32_e32 v129, v129, v136
	v_sub_f32_e32 v137, v130, v136
	;; [unrolled: 1-line block ×3, first 2 shown]
	v_mul_f32_e32 v164, 0x3fb8aa3b, v164
	s_delay_alu instid0(VALU_DEP_4) | instskip(NEXT) | instid1(VALU_DEP_4)
	v_mul_f32_e32 v150, 0x3fb8aa3b, v129
	v_mul_f32_e32 v137, 0x3fb8aa3b, v137
	ds_load_2addr_b32 v[129:130], v135 offset0:170 offset1:187
	v_mul_f32_e32 v167, 0x3fb8aa3b, v133
	v_exp_f32_e32 v164, v164
	v_exp_f32_e32 v150, v150
	;; [unrolled: 1-line block ×3, first 2 shown]
	v_sub_f32_e32 v131, v131, v136
	s_delay_alu instid0(VALU_DEP_1)
	v_mul_f32_e32 v165, 0x3fb8aa3b, v131
	ds_load_2addr_b32 v[131:132], v135 offset0:204 offset1:221
	s_waitcnt lgkmcnt(2)
	v_fma_f32 v137, v150, v162, 0
	v_sub_f32_e32 v162, v134, v136
	v_exp_f32_e32 v165, v165
	ds_load_2addr_b32 v[133:134], v135 offset0:238 offset1:255
	v_sub_f32_e32 v135, v160, v136
	v_dual_fmac_f32 v137, v166, v163 :: v_dual_mul_f32 v160, 0x3fb8aa3b, v162
	v_exp_f32_e32 v162, v167
	s_waitcnt lgkmcnt(0)
	s_delay_alu instid0(VALU_DEP_2)
	v_mul_f32_e32 v135, 0x3fb8aa3b, v135
	s_barrier
	v_exp_f32_e32 v160, v160
	v_fmac_f32_e32 v137, v165, v129
	v_sub_f32_e32 v129, v161, v136
	v_exp_f32_e32 v161, v135
	buffer_gl0_inv
	v_fmac_f32_e32 v137, v164, v130
	v_dual_mul_f32 v129, 0x3fb8aa3b, v129 :: v_dual_cndmask_b32 v130, v150, v166
	s_delay_alu instid0(VALU_DEP_2) | instskip(NEXT) | instid1(VALU_DEP_2)
	v_fmac_f32_e32 v137, v162, v131
	v_exp_f32_e32 v163, v129
	s_delay_alu instid0(VALU_DEP_1) | instskip(NEXT) | instid1(VALU_DEP_1)
	v_fmac_f32_e32 v137, v160, v132
	v_fmac_f32_e32 v137, v161, v133
	v_lshlrev_b32_e32 v133, 6, v148
	s_waitcnt_depctr 0xfff
	v_fmac_f32_e32 v137, v163, v134
	v_lshl_or_b32 v135, v149, 11, v133
	s_delay_alu instid0(VALU_DEP_2) | instskip(NEXT) | instid1(VALU_DEP_1)
	v_add_f32_e32 v134, 0x358637bd, v137
	v_div_scale_f32 v167, null, v134, v134, 1.0
	v_div_scale_f32 v150, vcc_lo, 1.0, v134, 1.0
	s_delay_alu instid0(VALU_DEP_2) | instskip(SKIP_2) | instid1(VALU_DEP_1)
	v_rcp_f32_e32 v168, v167
	s_waitcnt_depctr 0xfff
	v_fma_f32 v129, -v167, v168, 1.0
	v_fmac_f32_e32 v168, v129, v168
	v_cndmask_b32_e64 v129, v130, v165, s4
	v_cmp_eq_u32_e64 s4, 6, v149
	s_delay_alu instid0(VALU_DEP_3) | instskip(NEXT) | instid1(VALU_DEP_3)
	v_mul_f32_e32 v165, v150, v168
	v_cndmask_b32_e64 v130, v129, v164, s5
	v_lshlrev_b32_e32 v129, 2, v146
	s_delay_alu instid0(VALU_DEP_3) | instskip(NEXT) | instid1(VALU_DEP_3)
	v_fma_f32 v131, -v167, v165, v150
	v_cndmask_b32_e64 v162, v130, v162, s6
	s_delay_alu instid0(VALU_DEP_3)
	v_or_b32_e32 v130, 1, v129
	v_or_b32_e32 v132, 2, v129
	v_cmp_eq_u32_e64 s5, 1, v129
	v_fmac_f32_e32 v165, v131, v168
	v_cndmask_b32_e64 v149, v162, v160, s7
	v_or_b32_e32 v131, 3, v129
	v_cmp_eq_u32_e64 s10, 1, v130
	v_cmp_eq_u32_e64 s11, 1, v132
	v_fma_f32 v150, -v167, v165, v150
	v_cndmask_b32_e64 v149, v149, v161, s4
	v_cmp_eq_u32_e64 s12, 1, v131
	v_cmp_eq_u32_e64 s6, 2, v129
	;; [unrolled: 1-line block ×3, first 2 shown]
	v_div_fmas_f32 v150, v150, v168, v165
	v_cndmask_b32_e64 v149, v149, v163, s8
	v_cmp_eq_u32_e64 s16, 2, v132
	v_cmp_eq_u32_e64 s17, 2, v131
	v_cmp_eq_u32_e32 vcc_lo, 3, v129
	v_div_fixup_f32 v150, v150, v134, 1.0
	v_lshl_or_b32 v134, v146, 4, v135
	v_cmp_eq_u32_e64 s15, 3, v130
	v_cmp_eq_u32_e64 s19, 3, v131
	;; [unrolled: 1-line block ×3, first 2 shown]
	v_mul_f32_e32 v149, v149, v150
	v_cmp_eq_u32_e64 s18, 3, v132
	v_cmp_eq_u32_e64 s20, 4, v130
	;; [unrolled: 1-line block ×4, first 2 shown]
	v_fma_mixlo_f16 v160, v149, v152, 0
	v_fma_mixlo_f16 v161, v149, v154, 0
	;; [unrolled: 1-line block ×8, first 2 shown]
	v_fma_mixhi_f16 v160, v149, v151, 0
	v_fma_mixhi_f16 v161, v149, v153, 0
	;; [unrolled: 1-line block ×8, first 2 shown]
	ds_store_b128 v134, v[160:163]
	ds_store_b128 v134, v[154:157] offset:1024
	s_waitcnt lgkmcnt(0)
	s_barrier
	buffer_gl0_inv
	ds_load_b128 v[138:141], v135
	ds_load_b128 v[149:152], v135 offset:16
	ds_load_b128 v[153:156], v135 offset:1024
	;; [unrolled: 1-line block ×3, first 2 shown]
	v_cmp_eq_u32_e64 s21, 5, v130
	v_cmp_eq_u32_e64 s22, 4, v132
	v_cmp_eq_u32_e64 s25, 5, v131
	v_cmp_eq_u32_e64 s8, 6, v129
	v_cmp_eq_u32_e64 s24, 5, v132
	v_cmp_eq_u32_e64 s26, 6, v130
	v_cmp_eq_u32_e64 s28, 6, v131
	v_cmp_eq_u32_e64 s9, 7, v129
	v_cmp_eq_u32_e64 s27, 6, v132
	v_cmp_eq_u32_e64 s30, 7, v131
	v_cmp_eq_u32_e64 s31, 7, v130
	v_cmp_eq_u32_e64 s29, 7, v132
	s_waitcnt lgkmcnt(3)
	v_lshrrev_b32_e32 v142, 16, v138
	s_waitcnt lgkmcnt(2)
	v_lshrrev_b32_e32 v162, 16, v149
	;; [unrolled: 2-line block ×4, first 2 shown]
	v_lshrrev_b32_e32 v143, 16, v139
	v_cndmask_b32_e64 v174, v138, v142, s5
	v_cndmask_b32_e64 v175, v149, v162, s5
	;; [unrolled: 1-line block ×7, first 2 shown]
	v_lshrrev_b32_e32 v163, 16, v150
	v_cndmask_b32_e64 v179, v149, v162, s11
	v_cndmask_b32_e64 v149, v153, v166, s5
	;; [unrolled: 1-line block ×16, first 2 shown]
	v_lshrrev_b32_e32 v167, 16, v154
	v_lshrrev_b32_e32 v171, 16, v158
	v_cndmask_b32_e64 v177, v179, v150, s16
	v_cndmask_b32_e64 v142, v149, v154, s6
	;; [unrolled: 1-line block ×7, first 2 shown]
	v_cndmask_b32_e32 v157, v166, v143, vcc_lo
	v_cndmask_b32_e32 v166, v170, v163, vcc_lo
	v_cndmask_b32_e64 v170, v174, v143, s15
	v_cndmask_b32_e64 v174, v175, v163, s15
	;; [unrolled: 1-line block ×4, first 2 shown]
	v_lshrrev_b32_e32 v144, 16, v140
	v_lshrrev_b32_e32 v164, 16, v151
	v_cndmask_b32_e64 v175, v176, v143, s18
	v_cndmask_b32_e64 v176, v177, v163, s18
	v_cndmask_b32_e32 v142, v142, v167, vcc_lo
	v_cndmask_b32_e32 v143, v149, v171, vcc_lo
	v_cndmask_b32_e64 v149, v150, v167, s15
	v_cndmask_b32_e64 v150, v157, v140, s4
	;; [unrolled: 1-line block ×7, first 2 shown]
	v_lshrrev_b32_e32 v168, 16, v155
	v_cndmask_b32_e64 v170, v175, v140, s22
	v_cndmask_b32_e64 v174, v176, v151, s22
	;; [unrolled: 1-line block ×11, first 2 shown]
	v_lshrrev_b32_e32 v161, 16, v141
	v_lshrrev_b32_e32 v165, 16, v152
	v_cndmask_b32_e64 v163, v170, v144, s24
	v_cndmask_b32_e64 v166, v174, v164, s24
	;; [unrolled: 1-line block ×9, first 2 shown]
	v_lshrrev_b32_e32 v169, 16, v156
	v_cndmask_b32_e64 v140, v140, v168, s7
	v_cndmask_b32_e64 v157, v163, v141, s27
	;; [unrolled: 1-line block ×14, first 2 shown]
	v_perm_b32 v141, v139, v138, 0x5040100
	v_perm_b32 v139, v151, v149, 0x5040100
	v_cndmask_b32_e64 v138, v183, v158, s16
	v_cndmask_b32_e64 v149, v181, v158, s13
	;; [unrolled: 1-line block ×3, first 2 shown]
	v_perm_b32 v140, v152, v150, 0x5040100
	v_cndmask_b32_e64 v150, v162, v167, s18
	v_cndmask_b32_e64 v151, v153, v167, s19
	;; [unrolled: 1-line block ×5, first 2 shown]
	v_lshrrev_b32_e32 v172, 16, v159
	v_cndmask_b32_e64 v150, v150, v155, s22
	v_cndmask_b32_e64 v151, v151, v155, s23
	;; [unrolled: 1-line block ×11, first 2 shown]
	v_lshrrev_b32_e32 v173, 16, v160
	v_cndmask_b32_e64 v142, v142, v160, s8
	v_cndmask_b32_e64 v150, v150, v156, s27
	;; [unrolled: 1-line block ×12, first 2 shown]
	v_perm_b32 v138, v144, v143, 0x5040100
	v_perm_b32 v152, v152, v151, 0x5040100
	;; [unrolled: 1-line block ×5, first 2 shown]
	s_mul_i32 s8, s35, 3
	s_mov_b32 s4, exec_lo
	ds_store_b128 v134, v[138:141]
	ds_store_b128 v134, v[149:152] offset:1024
	v_cmpx_gt_u32_e32 3, v0
	s_cbranch_execz .LBB28_14
; %bb.13:
	s_mul_i32 s5, s8, s34
	s_load_b128 s[16:19], s[0:1], 0x58
	v_add3_u32 v140, s5, s33, v148
	s_delay_alu instid0(VALU_DEP_1) | instskip(NEXT) | instid1(VALU_DEP_1)
	v_mad_u64_u32 v[138:139], null, v140, s36, s[14:15]
	v_ashrrev_i32_e32 v139, 31, v138
	s_delay_alu instid0(VALU_DEP_1) | instskip(SKIP_1) | instid1(VALU_DEP_1)
	v_lshlrev_b64 v[138:139], 2, v[138:139]
	s_waitcnt lgkmcnt(0)
	v_add_co_u32 v140, vcc_lo, s18, v138
	s_delay_alu instid0(VALU_DEP_2)
	v_add_co_ci_u32_e32 v141, vcc_lo, s19, v139, vcc_lo
	v_add_co_u32 v138, vcc_lo, s16, v138
	v_add_co_ci_u32_e32 v139, vcc_lo, s17, v139, vcc_lo
	global_store_b32 v[140:141], v136, off
	global_store_b32 v[138:139], v137, off
.LBB28_14:
	s_or_b32 exec_lo, exec_lo, s4
	s_waitcnt lgkmcnt(0)
	s_waitcnt_vscnt null, 0x0
	s_barrier
	buffer_gl0_inv
	ds_load_b128 v[148:151], v133
	ds_load_b128 v[152:155], v133 offset:16
	ds_load_b128 v[160:163], v133 offset:1040
	;; [unrolled: 1-line block ×5, first 2 shown]
	v_cmp_eq_u32_e32 vcc_lo, 1, v132
	v_mov_b32_e32 v136, 0
	ds_load_b128 v[176:179], v133 offset:3088
	ds_load_b128 v[172:175], v133 offset:3072
	;; [unrolled: 1-line block ×4, first 2 shown]
	v_cmp_eq_u32_e64 s4, 1, v129
	v_cmp_eq_u32_e64 s5, 1, v131
	;; [unrolled: 1-line block ×3, first 2 shown]
	v_mov_b32_e32 v137, v136
	v_mov_b32_e32 v138, v136
	;; [unrolled: 1-line block ×7, first 2 shown]
	v_cmp_eq_u32_e64 s7, 2, v129
	s_waitcnt lgkmcnt(8)
	s_delay_alu instid0(VALU_DEP_2)
	v_wmma_f32_16x16x16_f16 v[136:143], v[121:128], v[148:155], v[136:143]
	ds_load_b128 v[125:128], v133 offset:5136
	ds_load_b128 v[121:124], v133 offset:5120
	s_waitcnt lgkmcnt(8)
	v_wmma_f32_16x16x16_f16 v[136:143], v[113:120], v[156:163], v[136:143]
	ds_load_b128 v[117:120], v133 offset:6160
	ds_load_b128 v[113:116], v133 offset:6144
	s_waitcnt lgkmcnt(8)
	;; [unrolled: 4-line block ×11, first 2 shown]
	s_barrier
	buffer_gl0_inv
	v_wmma_f32_16x16x16_f16 v[136:143], v[1:8], v[73:80], v[136:143]
	s_delay_alu instid0(VALU_DEP_1) | instskip(NEXT) | instid1(VALU_DEP_1)
	v_wmma_f32_16x16x16_f16 v[136:143], v[9:16], v[65:72], v[136:143]
	v_wmma_f32_16x16x16_f16 v[136:143], v[33:40], v[57:64], v[136:143]
	s_delay_alu instid0(VALU_DEP_1) | instskip(NEXT) | instid1(VALU_DEP_1)
	v_wmma_f32_16x16x16_f16 v[136:143], v[41:48], v[49:56], v[136:143]
	v_wmma_f32_16x16x16_f16 v[136:143], v[17:24], v[25:32], v[136:143]
	s_delay_alu instid0(VALU_DEP_1) | instskip(NEXT) | instid1(VALU_DEP_2)
	v_cvt_f16_f32_e64 v1, v136
	v_cvt_f16_f32_e64 v2, v137
	s_delay_alu instid0(VALU_DEP_3) | instskip(NEXT) | instid1(VALU_DEP_4)
	v_cvt_f16_f32_e64 v3, v138
	v_cvt_f16_f32_e64 v4, v139
	;; [unrolled: 1-line block ×6, first 2 shown]
	v_pack_b32_f16 v1, v1, v2
	v_pack_b32_f16 v2, v3, v4
	;; [unrolled: 1-line block ×3, first 2 shown]
	s_delay_alu instid0(VALU_DEP_4)
	v_pack_b32_f16 v4, v7, v8
	ds_store_b128 v134, v[1:4]
	s_waitcnt lgkmcnt(0)
	s_barrier
	buffer_gl0_inv
	ds_load_b128 v[1:4], v135
	ds_load_b128 v[5:8], v135 offset:16
	s_waitcnt lgkmcnt(1)
	v_lshrrev_b32_e32 v9, 16, v1
	s_waitcnt lgkmcnt(0)
	v_lshrrev_b32_e32 v13, 16, v5
	v_lshrrev_b32_e32 v10, 16, v2
	;; [unrolled: 1-line block ×4, first 2 shown]
	v_cndmask_b32_e64 v17, v1, v9, s4
	v_cndmask_b32_e64 v18, v5, v13, s4
	;; [unrolled: 1-line block ×3, first 2 shown]
	v_cmp_eq_u32_e64 s4, 2, v130
	v_cndmask_b32_e64 v20, v5, v13, s6
	v_cndmask_b32_e32 v21, v1, v9, vcc_lo
	v_cndmask_b32_e32 v22, v5, v13, vcc_lo
	v_cndmask_b32_e64 v1, v1, v9, s5
	v_cndmask_b32_e64 v5, v5, v13, s5
	v_cmp_eq_u32_e32 vcc_lo, 2, v132
	v_cmp_eq_u32_e64 s5, 2, v131
	v_cndmask_b32_e64 v9, v17, v2, s7
	v_cndmask_b32_e64 v13, v18, v6, s7
	v_cndmask_b32_e64 v17, v19, v2, s4
	v_cndmask_b32_e64 v18, v20, v6, s4
	v_cndmask_b32_e32 v19, v21, v2, vcc_lo
	v_cmp_eq_u32_e64 s4, 3, v132
	v_cndmask_b32_e32 v20, v22, v6, vcc_lo
	v_cndmask_b32_e64 v1, v1, v2, s5
	v_cmp_eq_u32_e32 vcc_lo, 3, v131
	v_cmp_eq_u32_e64 s6, 3, v129
	v_cndmask_b32_e64 v2, v5, v6, s5
	v_cmp_eq_u32_e64 s5, 3, v130
	v_cmp_eq_u32_e64 s7, 4, v129
	v_cndmask_b32_e32 v1, v1, v10, vcc_lo
	v_cndmask_b32_e64 v5, v9, v10, s6
	v_cndmask_b32_e64 v6, v13, v14, s6
	;; [unrolled: 1-line block ×3, first 2 shown]
	v_cmp_eq_u32_e64 s6, 4, v130
	v_cndmask_b32_e64 v13, v18, v14, s5
	v_cndmask_b32_e64 v17, v19, v10, s4
	v_cndmask_b32_e64 v18, v20, v14, s4
	v_cndmask_b32_e32 v2, v2, v14, vcc_lo
	v_cmp_eq_u32_e32 vcc_lo, 4, v132
	v_cmp_eq_u32_e64 s5, 4, v131
	v_lshrrev_b32_e32 v15, 16, v7
	v_cndmask_b32_e64 v5, v5, v3, s7
	v_cndmask_b32_e64 v6, v6, v7, s7
	v_cndmask_b32_e32 v14, v18, v7, vcc_lo
	v_cndmask_b32_e64 v9, v9, v3, s6
	v_cndmask_b32_e64 v10, v13, v7, s6
	v_cndmask_b32_e32 v13, v17, v3, vcc_lo
	v_cmp_eq_u32_e64 s4, 5, v132
	v_cndmask_b32_e64 v1, v1, v3, s5
	v_cmp_eq_u32_e32 vcc_lo, 5, v131
	v_cmp_eq_u32_e64 s6, 5, v129
	v_cndmask_b32_e64 v2, v2, v7, s5
	v_cmp_eq_u32_e64 s5, 5, v130
	v_cmp_eq_u32_e64 s7, 6, v129
	v_lshrrev_b32_e32 v12, 16, v4
	v_cndmask_b32_e64 v3, v5, v11, s6
	v_cndmask_b32_e64 v5, v6, v15, s6
	;; [unrolled: 1-line block ×3, first 2 shown]
	v_cmp_eq_u32_e64 s6, 6, v130
	v_cndmask_b32_e64 v7, v10, v15, s5
	v_cndmask_b32_e64 v9, v13, v11, s4
	;; [unrolled: 1-line block ×3, first 2 shown]
	v_cndmask_b32_e32 v1, v1, v11, vcc_lo
	v_cndmask_b32_e32 v2, v2, v15, vcc_lo
	v_cmp_eq_u32_e32 vcc_lo, 6, v132
	v_cmp_eq_u32_e64 s4, 6, v131
	v_lshrrev_b32_e32 v16, 16, v8
	v_cndmask_b32_e64 v3, v3, v4, s7
	v_cndmask_b32_e64 v5, v5, v8, s7
	v_cndmask_b32_e32 v9, v9, v4, vcc_lo
	v_cndmask_b32_e64 v6, v6, v4, s6
	v_cndmask_b32_e64 v7, v7, v8, s6
	v_cmp_eq_u32_e64 s5, 7, v132
	v_cndmask_b32_e32 v10, v10, v8, vcc_lo
	v_cndmask_b32_e64 v1, v1, v4, s4
	v_cmp_eq_u32_e32 vcc_lo, 7, v131
	v_cndmask_b32_e64 v2, v2, v8, s4
	v_cmp_eq_u32_e64 s4, 7, v129
	v_cmp_eq_u32_e64 s6, 7, v130
	v_cndmask_b32_e32 v1, v1, v12, vcc_lo
	s_delay_alu instid0(VALU_DEP_4) | instskip(NEXT) | instid1(VALU_DEP_4)
	v_cndmask_b32_e32 v2, v2, v16, vcc_lo
	v_cndmask_b32_e64 v8, v3, v12, s4
	s_delay_alu instid0(VALU_DEP_4)
	v_cndmask_b32_e64 v6, v6, v12, s6
	v_cndmask_b32_e64 v3, v9, v12, s5
	v_cndmask_b32_e64 v9, v10, v16, s5
	v_cndmask_b32_e64 v7, v7, v16, s6
	v_cndmask_b32_e64 v5, v5, v16, s4
	v_cmp_gt_u32_e32 vcc_lo, 32, v0
	v_perm_b32 v4, v2, v1, 0x5040100
	v_perm_b32 v3, v9, v3, 0x5040100
	;; [unrolled: 1-line block ×4, first 2 shown]
	s_and_b32 s2, vcc_lo, s2
	ds_store_b128 v134, v[1:4]
	s_waitcnt lgkmcnt(0)
	s_barrier
	buffer_gl0_inv
	s_and_saveexec_b32 s4, s2
	s_cbranch_execz .LBB28_2
; %bb.15:
	s_load_b64 s[4:5], s[0:1], 0x68
	v_lshlrev_b32_e32 v0, 10, v0
	v_lshlrev_b32_e32 v2, 4, v147
	v_add_nc_u32_e32 v1, s33, v146
	s_lshl_b32 s0, s36, 6
	s_delay_alu instid0(SALU_CYCLE_1) | instskip(NEXT) | instid1(VALU_DEP_2)
	s_mul_i32 s1, s0, s34
	v_and_or_b32 v0, 0x3800, v0, v2
	s_mul_i32 s6, s1, s8
	v_mul_lo_u32 v1, v1, s0
	s_ashr_i32 s7, s6, 31
	s_delay_alu instid0(VALU_DEP_2) | instskip(SKIP_1) | instid1(VALU_DEP_2)
	v_lshl_or_b32 v3, v146, 6, v0
	s_lshl_b64 s[6:7], s[6:7], 1
	v_ashrrev_i32_e32 v2, 31, v1
	ds_load_b128 v[3:6], v3
	s_waitcnt lgkmcnt(0)
	s_add_u32 s1, s4, s6
	s_addc_u32 s2, s5, s7
	s_lshl_b32 s4, s14, 6
	v_lshlrev_b64 v[7:8], 1, v[1:2]
	s_ashr_i32 s5, s4, 31
	s_delay_alu instid0(SALU_CYCLE_1) | instskip(NEXT) | instid1(SALU_CYCLE_1)
	s_lshl_b64 s[4:5], s[4:5], 1
	s_add_u32 s1, s1, s4
	s_addc_u32 s2, s2, s5
	v_add_co_u32 v1, s1, s1, v145
	s_delay_alu instid0(VALU_DEP_1) | instskip(NEXT) | instid1(VALU_DEP_2)
	v_add_co_ci_u32_e64 v2, null, s2, 0, s1
	v_add_co_u32 v7, vcc_lo, v1, v7
	s_delay_alu instid0(VALU_DEP_2)
	v_add_co_ci_u32_e32 v8, vcc_lo, v2, v8, vcc_lo
	global_store_b128 v[7:8], v[3:6], off
	s_and_b32 exec_lo, exec_lo, s3
	s_cbranch_execz .LBB28_2
; %bb.16:
	ds_load_b128 v[3:6], v0 offset:128
	s_add_i32 s1, s33, 2
	s_delay_alu instid0(SALU_CYCLE_1) | instskip(NEXT) | instid1(SALU_CYCLE_1)
	s_mul_i32 s0, s1, s0
	s_ashr_i32 s1, s0, 31
	s_delay_alu instid0(SALU_CYCLE_1) | instskip(NEXT) | instid1(SALU_CYCLE_1)
	s_lshl_b64 s[0:1], s[0:1], 1
	v_add_co_u32 v0, vcc_lo, v1, s0
	v_add_co_ci_u32_e32 v1, vcc_lo, s1, v2, vcc_lo
	s_waitcnt lgkmcnt(0)
	global_store_b128 v[0:1], v[3:6], off
	s_nop 0
	s_sendmsg sendmsg(MSG_DEALLOC_VGPRS)
	s_endpgm
	.section	.rodata,"a",@progbits
	.p2align	6, 0x0
	.amdhsa_kernel _Z39paged_attention_ll4mi_QKV_mfma16_kernelIDF16_DF16_LN4vllm18Fp8KVCacheDataTypeE0EhLi16ELi64ELi256ELb1ELi3EL8MFMAType0EEvPKT_PKT0_S8_ifPKiSA_SA_iPKfiiiPfSD_PS3_PT2_iSC_SC_
		.amdhsa_group_segment_fixed_size 17472
		.amdhsa_private_segment_fixed_size 0
		.amdhsa_kernarg_size 400
		.amdhsa_user_sgpr_count 13
		.amdhsa_user_sgpr_dispatch_ptr 0
		.amdhsa_user_sgpr_queue_ptr 0
		.amdhsa_user_sgpr_kernarg_segment_ptr 1
		.amdhsa_user_sgpr_dispatch_id 0
		.amdhsa_user_sgpr_private_segment_size 0
		.amdhsa_wavefront_size32 1
		.amdhsa_uses_dynamic_stack 0
		.amdhsa_enable_private_segment 0
		.amdhsa_system_sgpr_workgroup_id_x 1
		.amdhsa_system_sgpr_workgroup_id_y 1
		.amdhsa_system_sgpr_workgroup_id_z 1
		.amdhsa_system_sgpr_workgroup_info 0
		.amdhsa_system_vgpr_workitem_id 0
		.amdhsa_next_free_vgpr 198
		.amdhsa_next_free_sgpr 52
		.amdhsa_reserve_vcc 1
		.amdhsa_float_round_mode_32 0
		.amdhsa_float_round_mode_16_64 0
		.amdhsa_float_denorm_mode_32 3
		.amdhsa_float_denorm_mode_16_64 3
		.amdhsa_dx10_clamp 1
		.amdhsa_ieee_mode 1
		.amdhsa_fp16_overflow 0
		.amdhsa_workgroup_processor_mode 1
		.amdhsa_memory_ordered 1
		.amdhsa_forward_progress 0
		.amdhsa_shared_vgpr_count 0
		.amdhsa_exception_fp_ieee_invalid_op 0
		.amdhsa_exception_fp_denorm_src 0
		.amdhsa_exception_fp_ieee_div_zero 0
		.amdhsa_exception_fp_ieee_overflow 0
		.amdhsa_exception_fp_ieee_underflow 0
		.amdhsa_exception_fp_ieee_inexact 0
		.amdhsa_exception_int_div_zero 0
	.end_amdhsa_kernel
	.section	.text._Z39paged_attention_ll4mi_QKV_mfma16_kernelIDF16_DF16_LN4vllm18Fp8KVCacheDataTypeE0EhLi16ELi64ELi256ELb1ELi3EL8MFMAType0EEvPKT_PKT0_S8_ifPKiSA_SA_iPKfiiiPfSD_PS3_PT2_iSC_SC_,"axG",@progbits,_Z39paged_attention_ll4mi_QKV_mfma16_kernelIDF16_DF16_LN4vllm18Fp8KVCacheDataTypeE0EhLi16ELi64ELi256ELb1ELi3EL8MFMAType0EEvPKT_PKT0_S8_ifPKiSA_SA_iPKfiiiPfSD_PS3_PT2_iSC_SC_,comdat
.Lfunc_end28:
	.size	_Z39paged_attention_ll4mi_QKV_mfma16_kernelIDF16_DF16_LN4vllm18Fp8KVCacheDataTypeE0EhLi16ELi64ELi256ELb1ELi3EL8MFMAType0EEvPKT_PKT0_S8_ifPKiSA_SA_iPKfiiiPfSD_PS3_PT2_iSC_SC_, .Lfunc_end28-_Z39paged_attention_ll4mi_QKV_mfma16_kernelIDF16_DF16_LN4vllm18Fp8KVCacheDataTypeE0EhLi16ELi64ELi256ELb1ELi3EL8MFMAType0EEvPKT_PKT0_S8_ifPKiSA_SA_iPKfiiiPfSD_PS3_PT2_iSC_SC_
                                        ; -- End function
	.section	.AMDGPU.csdata,"",@progbits
; Kernel info:
; codeLenInByte = 7776
; NumSgprs: 54
; NumVgprs: 198
; ScratchSize: 0
; MemoryBound: 0
; FloatMode: 240
; IeeeMode: 1
; LDSByteSize: 17472 bytes/workgroup (compile time only)
; SGPRBlocks: 6
; VGPRBlocks: 24
; NumSGPRsForWavesPerEU: 54
; NumVGPRsForWavesPerEU: 198
; Occupancy: 7
; WaveLimiterHint : 1
; COMPUTE_PGM_RSRC2:SCRATCH_EN: 0
; COMPUTE_PGM_RSRC2:USER_SGPR: 13
; COMPUTE_PGM_RSRC2:TRAP_HANDLER: 0
; COMPUTE_PGM_RSRC2:TGID_X_EN: 1
; COMPUTE_PGM_RSRC2:TGID_Y_EN: 1
; COMPUTE_PGM_RSRC2:TGID_Z_EN: 1
; COMPUTE_PGM_RSRC2:TIDIG_COMP_CNT: 0
	.section	.text._Z39paged_attention_ll4mi_QKV_mfma16_kernelIDF16_DF16_LN4vllm18Fp8KVCacheDataTypeE0EhLi16ELi64ELi256ELb1ELi4EL8MFMAType0EEvPKT_PKT0_S8_ifPKiSA_SA_iPKfiiiPfSD_PS3_PT2_iSC_SC_,"axG",@progbits,_Z39paged_attention_ll4mi_QKV_mfma16_kernelIDF16_DF16_LN4vllm18Fp8KVCacheDataTypeE0EhLi16ELi64ELi256ELb1ELi4EL8MFMAType0EEvPKT_PKT0_S8_ifPKiSA_SA_iPKfiiiPfSD_PS3_PT2_iSC_SC_,comdat
	.protected	_Z39paged_attention_ll4mi_QKV_mfma16_kernelIDF16_DF16_LN4vllm18Fp8KVCacheDataTypeE0EhLi16ELi64ELi256ELb1ELi4EL8MFMAType0EEvPKT_PKT0_S8_ifPKiSA_SA_iPKfiiiPfSD_PS3_PT2_iSC_SC_ ; -- Begin function _Z39paged_attention_ll4mi_QKV_mfma16_kernelIDF16_DF16_LN4vllm18Fp8KVCacheDataTypeE0EhLi16ELi64ELi256ELb1ELi4EL8MFMAType0EEvPKT_PKT0_S8_ifPKiSA_SA_iPKfiiiPfSD_PS3_PT2_iSC_SC_
	.globl	_Z39paged_attention_ll4mi_QKV_mfma16_kernelIDF16_DF16_LN4vllm18Fp8KVCacheDataTypeE0EhLi16ELi64ELi256ELb1ELi4EL8MFMAType0EEvPKT_PKT0_S8_ifPKiSA_SA_iPKfiiiPfSD_PS3_PT2_iSC_SC_
	.p2align	8
	.type	_Z39paged_attention_ll4mi_QKV_mfma16_kernelIDF16_DF16_LN4vllm18Fp8KVCacheDataTypeE0EhLi16ELi64ELi256ELb1ELi4EL8MFMAType0EEvPKT_PKT0_S8_ifPKiSA_SA_iPKfiiiPfSD_PS3_PT2_iSC_SC_,@function
_Z39paged_attention_ll4mi_QKV_mfma16_kernelIDF16_DF16_LN4vllm18Fp8KVCacheDataTypeE0EhLi16ELi64ELi256ELb1ELi4EL8MFMAType0EEvPKT_PKT0_S8_ifPKiSA_SA_iPKfiiiPfSD_PS3_PT2_iSC_SC_: ; @_Z39paged_attention_ll4mi_QKV_mfma16_kernelIDF16_DF16_LN4vllm18Fp8KVCacheDataTypeE0EhLi16ELi64ELi256ELb1ELi4EL8MFMAType0EEvPKT_PKT0_S8_ifPKiSA_SA_iPKfiiiPfSD_PS3_PT2_iSC_SC_
; %bb.0:
	s_load_b64 s[2:3], s[0:1], 0x30
	s_mov_b32 s34, s13
	s_waitcnt lgkmcnt(0)
	s_cmp_lg_u64 s[2:3], 0
	s_cselect_b32 s6, -1, 0
	s_ashr_i32 s35, s13, 31
	s_cmp_eq_u64 s[2:3], 0
	s_cbranch_scc1 .LBB29_3
; %bb.1:
	s_lshl_b64 s[4:5], s[34:35], 2
	s_delay_alu instid0(SALU_CYCLE_1) | instskip(SKIP_4) | instid1(SALU_CYCLE_1)
	s_add_u32 s4, s2, s4
	s_addc_u32 s5, s3, s5
	s_load_b64 s[4:5], s[4:5], 0x0
	s_waitcnt lgkmcnt(0)
	s_sub_i32 s4, s5, s4
	s_cmp_eq_u32 s4, 1
	s_cselect_b32 s4, -1, 0
	s_delay_alu instid0(SALU_CYCLE_1)
	s_and_not1_b32 vcc_lo, exec_lo, s4
	s_cbranch_vccz .LBB29_4
.LBB29_2:
	s_endpgm
.LBB29_3:
.LBB29_4:
	s_load_b64 s[8:9], s[0:1], 0x28
	s_lshl_b64 s[4:5], s[34:35], 2
	s_waitcnt lgkmcnt(0)
	s_add_u32 s8, s8, s4
	s_addc_u32 s9, s9, s5
	s_lshl_b32 s35, s14, 8
	s_load_b32 s30, s[8:9], 0x0
	s_waitcnt lgkmcnt(0)
	s_cmp_ge_i32 s35, s30
	s_cbranch_scc1 .LBB29_2
; %bb.5:
	s_clause 0x1
	s_load_b128 s[8:11], s[0:1], 0x8
	s_load_b64 s[12:13], s[0:1], 0x20
	s_and_not1_b32 vcc_lo, exec_lo, s6
	s_cbranch_vccnz .LBB29_7
; %bb.6:
	s_add_u32 s2, s2, s4
	s_addc_u32 s3, s3, s5
	s_load_b32 s3, s[2:3], 0x0
	s_branch .LBB29_8
.LBB29_7:
	s_mov_b32 s3, s34
.LBB29_8:
	s_load_b128 s[4:7], s[0:1], 0x48
	v_and_b32_e32 v149, 15, v0
	v_cmp_gt_u32_e32 vcc_lo, 64, v0
	v_lshrrev_b32_e32 v148, 5, v0
	v_and_b32_e32 v150, 31, v0
	v_and_b32_e32 v146, 1, v0
	v_lshlrev_b32_e32 v1, 3, v149
	v_cmp_gt_u32_e64 s2, 8, v149
	v_bfe_u32 v147, v0, 4, 1
	s_lshl_b32 s31, s15, 2
	s_delay_alu instid0(VALU_DEP_3) | instskip(NEXT) | instid1(VALU_DEP_3)
	v_lshlrev_b32_e32 v145, 1, v1
	s_and_b32 s16, vcc_lo, s2
	s_waitcnt lgkmcnt(0)
	s_and_saveexec_b32 s7, s16
	s_cbranch_execz .LBB29_10
; %bb.9:
	v_lshl_or_b32 v5, v148, 1, v147
	s_load_b64 s[16:17], s[0:1], 0x0
	s_mul_hi_i32 s19, s3, s4
	s_mul_i32 s18, s3, s4
	v_lshlrev_b32_e32 v6, 10, v149
	v_or_b32_e32 v1, s31, v5
	s_lshl_b64 s[18:19], s[18:19], 1
	v_lshlrev_b32_e32 v5, 6, v5
	v_lshlrev_b32_e32 v7, 10, v146
	v_and_b32_e32 v6, 0x3800, v6
	v_lshlrev_b32_e32 v1, 6, v1
	s_delay_alu instid0(VALU_DEP_2) | instskip(NEXT) | instid1(VALU_DEP_2)
	v_or3_b32 v5, v6, v7, v5
	v_ashrrev_i32_e32 v2, 31, v1
	s_delay_alu instid0(VALU_DEP_1) | instskip(SKIP_3) | instid1(VALU_DEP_1)
	v_lshlrev_b64 v[1:2], 1, v[1:2]
	s_waitcnt lgkmcnt(0)
	s_add_u32 s3, s16, s18
	s_addc_u32 s4, s17, s19
	v_add_co_u32 v1, vcc_lo, s3, v1
	s_delay_alu instid0(VALU_DEP_2) | instskip(NEXT) | instid1(VALU_DEP_2)
	v_add_co_ci_u32_e32 v2, vcc_lo, s4, v2, vcc_lo
	v_add_co_u32 v1, vcc_lo, v1, v145
	s_delay_alu instid0(VALU_DEP_2)
	v_add_co_ci_u32_e32 v2, vcc_lo, 0, v2, vcc_lo
	global_load_b128 v[1:4], v[1:2], off
	s_waitcnt vmcnt(0)
	ds_store_b128 v5, v[1:4]
.LBB29_10:
	s_or_b32 exec_lo, exec_lo, s7
	s_mov_b32 s40, 0
	s_add_i32 s3, s30, 15
	s_mov_b32 s41, s40
	s_mov_b32 s42, s40
	;; [unrolled: 1-line block ×7, first 2 shown]
	s_delay_alu instid0(SALU_CYCLE_1)
	v_dual_mov_b32 v136, s47 :: v_dual_and_b32 v1, 0xef, v0
	v_mov_b32_e32 v134, s45
	s_clause 0x1
	s_load_b32 s4, s[0:1], 0x38
	s_load_b32 s33, s[0:1], 0x98
	v_add_nc_u32_e32 v1, s35, v1
	s_ashr_i32 s7, s3, 31
	s_load_b32 s36, s[0:1], 0x1c
	s_lshr_b32 s7, s7, 28
	s_waitcnt lgkmcnt(0)
	v_ashrrev_i32_e32 v2, 31, v1
	s_add_i32 s3, s3, s7
	v_cmp_gt_i32_e32 vcc_lo, s30, v1
	v_mov_b32_e32 v135, s46
	s_ashr_i32 s3, s3, 4
	v_lshrrev_b32_e32 v3, 28, v2
	v_or_b32_e32 v2, 16, v1
	s_add_i32 s3, s3, -1
	v_mov_b32_e32 v132, s43
	s_barrier
	v_add_nc_u32_e32 v4, v1, v3
	v_add_nc_u32_e32 v3, v2, v3
	buffer_gl0_inv
	s_mul_i32 s16, s34, s4
	s_mul_i32 s6, s15, s6
	v_ashrrev_i32_e32 v4, 4, v4
	v_ashrrev_i32_e32 v3, 4, v3
	s_ashr_i32 s17, s16, 31
	v_mov_b32_e32 v133, s44
	s_lshl_b64 s[16:17], s[16:17], 2
	v_cndmask_b32_e32 v1, s3, v4, vcc_lo
	v_cmp_gt_i32_e32 vcc_lo, s30, v2
	s_add_u32 s4, s12, s16
	s_addc_u32 s37, s13, s17
	s_ashr_i32 s7, s6, 31
	v_ashrrev_i32_e32 v2, 31, v1
	v_cndmask_b32_e32 v3, s3, v3, vcc_lo
	s_lshl_b64 s[6:7], s[6:7], 1
	v_mov_b32_e32 v131, s42
	s_add_u32 s24, s8, s6
	v_lshlrev_b64 v[1:2], 2, v[1:2]
	v_ashrrev_i32_e32 v4, 31, v3
	s_addc_u32 s25, s9, s7
	s_lshl_b32 s8, s14, 4
	v_mov_b32_e32 v129, s40
	s_ashr_i32 s9, s8, 31
	v_lshlrev_b64 v[3:4], 2, v[3:4]
	v_add_co_u32 v1, vcc_lo, s4, v1
	v_add_co_ci_u32_e32 v2, vcc_lo, s37, v2, vcc_lo
	s_lshl_b64 s[8:9], s[8:9], 2
	s_delay_alu instid0(VALU_DEP_3) | instskip(NEXT) | instid1(VALU_DEP_4)
	v_add_co_u32 v3, vcc_lo, s4, v3
	v_add_co_ci_u32_e32 v4, vcc_lo, s37, v4, vcc_lo
	s_clause 0x1
	global_load_b32 v5, v[1:2], off
	global_load_b32 v6, v[3:4], off
	s_add_u32 s8, s4, s8
	s_addc_u32 s9, s37, s9
	s_or_b32 s12, s35, 16
	v_dual_mov_b32 v130, s41 :: v_dual_lshlrev_b32 v3, 4, v0
	s_ashr_i32 s13, s12, 4
	s_cmp_lt_i32 s12, s30
	s_cselect_b32 s12, s13, s3
	s_delay_alu instid0(SALU_CYCLE_1) | instskip(NEXT) | instid1(SALU_CYCLE_1)
	s_ashr_i32 s13, s12, 31
	s_lshl_b64 s[12:13], s[12:13], 2
	s_delay_alu instid0(SALU_CYCLE_1) | instskip(SKIP_2) | instid1(SALU_CYCLE_1)
	s_add_u32 s12, s4, s12
	s_addc_u32 s13, s37, s13
	s_or_b32 s15, s35, 32
	s_ashr_i32 s16, s15, 4
	s_cmp_lt_i32 s15, s30
	s_cselect_b32 s16, s16, s3
	s_delay_alu instid0(SALU_CYCLE_1) | instskip(NEXT) | instid1(SALU_CYCLE_1)
	s_ashr_i32 s17, s16, 31
	s_lshl_b64 s[16:17], s[16:17], 2
	s_delay_alu instid0(SALU_CYCLE_1) | instskip(SKIP_2) | instid1(SALU_CYCLE_1)
	s_add_u32 s16, s4, s16
	s_addc_u32 s17, s37, s17
	s_or_b32 s15, s35, 48
	;; [unrolled: 10-line block ×4, first 2 shown]
	s_ashr_i32 s22, s15, 4
	s_cmp_lt_i32 s15, s30
	s_cselect_b32 s22, s22, s3
	s_delay_alu instid0(SALU_CYCLE_1) | instskip(NEXT) | instid1(SALU_CYCLE_1)
	s_ashr_i32 s23, s22, 31
	s_lshl_b64 s[22:23], s[22:23], 2
	s_delay_alu instid0(SALU_CYCLE_1)
	s_add_u32 s22, s4, s22
	s_addc_u32 s23, s37, s23
	s_clause 0x5
	s_load_b32 s8, s[8:9], 0x0
	s_load_b32 s12, s[12:13], 0x0
	;; [unrolled: 1-line block ×6, first 2 shown]
	s_waitcnt lgkmcnt(0)
	s_mul_hi_i32 s17, s16, s5
	s_mul_i32 s16, s16, s5
	s_waitcnt vmcnt(1)
	v_mad_i64_i32 v[1:2], null, v5, s5, 0
	v_and_b32_e32 v5, 0xf0, v3
	s_waitcnt vmcnt(0)
	v_mad_i64_i32 v[3:4], null, v6, s5, 0
	s_delay_alu instid0(VALU_DEP_2) | instskip(NEXT) | instid1(VALU_DEP_4)
	v_add_co_u32 v5, s9, s24, v5
	v_lshlrev_b64 v[1:2], 1, v[1:2]
	v_add_co_ci_u32_e64 v6, null, s25, 0, s9
	s_delay_alu instid0(VALU_DEP_4) | instskip(SKIP_1) | instid1(VALU_DEP_3)
	v_lshlrev_b64 v[3:4], 1, v[3:4]
	s_or_b32 s9, s35, 0x60
	v_add_co_u32 v1, vcc_lo, v5, v1
	s_delay_alu instid0(VALU_DEP_3) | instskip(NEXT) | instid1(VALU_DEP_3)
	v_add_co_ci_u32_e32 v2, vcc_lo, v6, v2, vcc_lo
	v_add_co_u32 v3, vcc_lo, v5, v3
	s_delay_alu instid0(VALU_DEP_4)
	v_add_co_ci_u32_e32 v4, vcc_lo, v6, v4, vcc_lo
	s_clause 0x9
	global_load_b128 v[9:12], v[1:2], off
	global_load_b128 v[13:16], v[1:2], off offset:256
	global_load_b128 v[137:140], v[3:4], off
	global_load_b128 v[141:144], v[3:4], off offset:256
	global_load_b128 v[41:44], v[1:2], off offset:512
	;; [unrolled: 1-line block ×7, first 2 shown]
	v_and_b32_e32 v5, 3, v0
	s_clause 0x1
	global_load_b128 v[151:154], v[3:4], off offset:1024
	global_load_b128 v[155:158], v[3:4], off offset:1280
	s_ashr_i32 s13, s9, 4
	s_cmp_lt_i32 s9, s30
	v_lshlrev_b32_e32 v6, 5, v149
	v_lshlrev_b32_e32 v197, 6, v5
	ds_load_b128 v[159:162], v197
	ds_load_b128 v[163:166], v197 offset:1024
	s_clause 0x3
	global_load_b128 v[167:170], v[1:2], off offset:1536
	global_load_b128 v[171:174], v[1:2], off offset:1792
	;; [unrolled: 1-line block ×4, first 2 shown]
	s_cselect_b32 s22, s13, s3
	v_lshl_or_b32 v5, v148, 9, v6
	s_ashr_i32 s23, s22, 31
	s_delay_alu instid0(SALU_CYCLE_1) | instskip(NEXT) | instid1(SALU_CYCLE_1)
	s_lshl_b64 s[22:23], s[22:23], 2
	s_add_u32 s22, s4, s22
	s_addc_u32 s23, s37, s23
	s_or_b32 s9, s35, 0x70
	s_load_b32 s46, s[22:23], 0x0
	s_ashr_i32 s13, s9, 4
	s_cmp_lt_i32 s9, s30
	s_cselect_b32 s24, s13, s3
	s_delay_alu instid0(SALU_CYCLE_1) | instskip(NEXT) | instid1(SALU_CYCLE_1)
	s_ashr_i32 s25, s24, 31
	s_lshl_b64 s[24:25], s[24:25], 2
	s_delay_alu instid0(SALU_CYCLE_1)
	s_add_u32 s24, s4, s24
	s_addc_u32 s25, s37, s25
	s_or_b32 s9, s35, 0x80
	s_load_b32 s47, s[24:25], 0x0
	s_ashr_i32 s13, s9, 4
	s_cmp_lt_i32 s9, s30
	s_cselect_b32 s26, s13, s3
	s_delay_alu instid0(SALU_CYCLE_1) | instskip(NEXT) | instid1(SALU_CYCLE_1)
	s_ashr_i32 s27, s26, 31
	s_lshl_b64 s[26:27], s[26:27], 2
	s_delay_alu instid0(SALU_CYCLE_1)
	s_add_u32 s26, s4, s26
	s_addc_u32 s27, s37, s27
	s_or_b32 s9, s35, 0x90
	s_load_b32 s48, s[26:27], 0x0
	s_ashr_i32 s13, s9, 4
	s_cmp_lt_i32 s9, s30
	s_cselect_b32 s28, s13, s3
	s_delay_alu instid0(SALU_CYCLE_1) | instskip(NEXT) | instid1(SALU_CYCLE_1)
	s_ashr_i32 s29, s28, 31
	s_lshl_b64 s[28:29], s[28:29], 2
	s_delay_alu instid0(SALU_CYCLE_1) | instskip(SKIP_2) | instid1(SALU_CYCLE_1)
	s_add_u32 s28, s4, s28
	s_addc_u32 s29, s37, s29
	s_or_b32 s9, s35, 0xa0
	s_ashr_i32 s13, s9, 4
	s_cmp_lt_i32 s9, s30
	s_cselect_b32 s38, s13, s3
	s_delay_alu instid0(SALU_CYCLE_1) | instskip(NEXT) | instid1(SALU_CYCLE_1)
	s_ashr_i32 s39, s38, 31
	s_lshl_b64 s[38:39], s[38:39], 2
	s_delay_alu instid0(SALU_CYCLE_1) | instskip(SKIP_2) | instid1(SALU_CYCLE_1)
	s_add_u32 s38, s4, s38
	s_addc_u32 s39, s37, s39
	s_or_b32 s9, s35, 0xb0
	s_ashr_i32 s13, s9, 4
	s_cmp_lt_i32 s9, s30
	s_mul_hi_i32 s9, s8, s5
	s_cselect_b32 s40, s13, s3
	s_mul_i32 s8, s8, s5
	s_ashr_i32 s41, s40, 31
	s_mul_hi_i32 s13, s12, s5
	s_lshl_b64 s[40:41], s[40:41], 2
	s_mul_i32 s12, s12, s5
	s_add_u32 s42, s4, s40
	s_addc_u32 s43, s37, s41
	s_or_b32 s19, s35, 0xc0
	s_delay_alu instid0(SALU_CYCLE_1)
	s_ashr_i32 s21, s19, 4
	s_cmp_lt_i32 s19, s30
	s_mul_hi_i32 s19, s18, s5
	s_cselect_b32 s40, s21, s3
	s_mul_i32 s18, s18, s5
	s_ashr_i32 s41, s40, 31
	s_mul_hi_i32 s21, s20, s5
	s_lshl_b64 s[40:41], s[40:41], 2
	s_mul_i32 s20, s20, s5
	s_add_u32 s44, s4, s40
	s_addc_u32 s45, s37, s41
	s_load_b32 s41, s[28:29], 0x0
	s_or_b32 s40, s35, 0xd0
	s_mul_hi_i32 s23, s15, s5
	s_ashr_i32 s22, s40, 4
	s_cmp_lt_i32 s40, s30
	s_load_b32 s40, s[38:39], 0x0
	s_cselect_b32 s24, s22, s3
	s_mul_i32 s22, s15, s5
	s_ashr_i32 s25, s24, 31
	s_waitcnt lgkmcnt(0)
	s_mul_hi_i32 s29, s48, s5
	s_lshl_b64 s[24:25], s[24:25], 2
	s_mul_i32 s28, s48, s5
	s_add_u32 s24, s4, s24
	s_addc_u32 s25, s37, s25
	s_or_b32 s49, s35, 0xe0
	s_clause 0x2
	s_load_b32 s39, s[42:43], 0x0
	s_load_b32 s38, s[44:45], 0x0
	;; [unrolled: 1-line block ×3, first 2 shown]
	s_ashr_i32 s50, s49, 4
	s_cmp_lt_i32 s49, s30
	s_mul_hi_i32 s25, s46, s5
	s_cselect_b32 s44, s50, s3
	s_mul_i32 s24, s46, s5
	s_ashr_i32 s45, s44, 31
	s_mul_hi_i32 s27, s47, s5
	s_lshl_b64 s[44:45], s[44:45], 2
	s_mul_i32 s26, s47, s5
	s_add_u32 s44, s4, s44
	s_addc_u32 s45, s37, s45
	s_or_b32 s46, s35, 0xf0
	s_mul_hi_i32 s43, s41, s5
	s_ashr_i32 s48, s46, 4
	s_cmp_lt_i32 s46, s30
	s_mul_i32 s42, s41, s5
	s_cselect_b32 s48, s48, s3
	s_mul_hi_i32 s41, s40, s5
	s_ashr_i32 s49, s48, 31
	s_mul_i32 s40, s40, s5
	s_lshl_b64 s[48:49], s[48:49], 2
	s_waitcnt lgkmcnt(0)
	s_mul_hi_i32 s47, s39, s5
	s_add_u32 s48, s4, s48
	s_addc_u32 s49, s37, s49
	s_add_u32 s3, s10, s6
	s_addc_u32 s4, s11, s7
	v_add_co_u32 v195, s3, s3, v5
	s_delay_alu instid0(VALU_DEP_1) | instskip(SKIP_2) | instid1(VALU_DEP_2)
	v_add_co_ci_u32_e64 v196, null, s4, 0, s3
	s_lshl_b64 s[6:7], s[8:9], 1
	s_lshl_b64 s[8:9], s[12:13], 1
	v_add_co_u32 v1, vcc_lo, v195, s6
	s_delay_alu instid0(VALU_DEP_2)
	v_add_co_ci_u32_e32 v2, vcc_lo, s7, v196, vcc_lo
	v_add_co_u32 v3, vcc_lo, v195, s8
	s_lshl_b64 s[10:11], s[16:17], 1
	v_add_co_ci_u32_e32 v4, vcc_lo, s9, v196, vcc_lo
	v_add_co_u32 v5, vcc_lo, v195, s10
	s_lshl_b64 s[12:13], s[18:19], 1
	;; [unrolled: 3-line block ×9, first 2 shown]
	s_mul_i32 s46, s39, s5
	v_add_co_ci_u32_e32 v54, vcc_lo, s27, v196, vcc_lo
	v_add_co_u32 v183, vcc_lo, v195, s28
	s_lshl_b64 s[40:41], s[46:47], 1
	s_mul_hi_i32 s39, s38, s5
	s_mul_i32 s38, s38, s5
	v_add_co_ci_u32_e32 v184, vcc_lo, s29, v196, vcc_lo
	v_add_co_u32 v185, vcc_lo, v195, s40
	s_lshl_b64 s[38:39], s[38:39], 1
	s_clause 0x1
	s_load_b32 s3, s[44:45], 0x0
	s_load_b32 s4, s[48:49], 0x0
	v_add_co_ci_u32_e32 v186, vcc_lo, s41, v196, vcc_lo
	v_add_co_u32 v191, vcc_lo, v195, s38
	v_add_co_ci_u32_e32 v192, vcc_lo, s39, v196, vcc_lo
	s_clause 0x17
	global_load_b128 v[121:124], v[1:2], off
	global_load_b128 v[125:128], v[1:2], off offset:16
	global_load_b128 v[113:116], v[3:4], off
	global_load_b128 v[117:120], v[3:4], off offset:16
	;; [unrolled: 2-line block ×12, first 2 shown]
	s_mul_hi_i32 s51, s15, s5
	s_mul_i32 s50, s15, s5
	s_delay_alu instid0(SALU_CYCLE_1) | instskip(NEXT) | instid1(SALU_CYCLE_1)
	s_lshl_b64 s[42:43], s[50:51], 1
	v_add_co_u32 v193, vcc_lo, v195, s42
	v_add_co_ci_u32_e32 v194, vcc_lo, s43, v196, vcc_lo
	s_waitcnt lgkmcnt(0)
	s_mul_hi_i32 s7, s3, s5
	s_mul_i32 s6, s3, s5
	s_mul_hi_i32 s9, s4, s5
	s_lshl_b64 s[6:7], s[6:7], 1
	s_mul_i32 s8, s4, s5
	s_delay_alu instid0(SALU_CYCLE_1)
	s_lshl_b64 s[4:5], s[8:9], 1
	s_waitcnt vmcnt(38)
	v_wmma_f32_16x16x16_f16 v[183:190], v[9:16], v[159:166], v[129:136]
	s_waitcnt vmcnt(36)
	v_wmma_f32_16x16x16_f16 v[129:136], v[137:144], v[159:166], v[129:136]
	s_clause 0x1
	global_load_b128 v[9:12], v[191:192], off
	global_load_b128 v[13:16], v[191:192], off offset:16
	ds_load_b128 v[137:140], v197 offset:2048
	ds_load_b128 v[141:144], v197 offset:3072
	ds_load_b128 v[159:162], v197 offset:4096
	ds_load_b128 v[163:166], v197 offset:5120
	v_add_co_u32 v191, vcc_lo, v195, s6
	v_add_co_ci_u32_e32 v192, vcc_lo, s7, v196, vcc_lo
	v_add_co_u32 v195, vcc_lo, v195, s4
	v_add_co_ci_u32_e32 v196, vcc_lo, s5, v196, vcc_lo
	s_waitcnt vmcnt(36) lgkmcnt(2)
	v_wmma_f32_16x16x16_f16 v[183:190], v[41:48], v[137:144], v[183:190]
	s_waitcnt vmcnt(34)
	v_wmma_f32_16x16x16_f16 v[129:136], v[33:40], v[137:144], v[129:136]
	s_clause 0x3
	global_load_b128 v[33:36], v[193:194], off
	global_load_b128 v[37:40], v[193:194], off offset:16
	global_load_b128 v[41:44], v[191:192], off
	global_load_b128 v[45:48], v[191:192], off offset:16
	v_and_b32_e32 v137, 0xe0, v0
	v_mbcnt_lo_u32_b32 v191, -1, 0
	s_waitcnt vmcnt(36) lgkmcnt(0)
	v_wmma_f32_16x16x16_f16 v[183:190], v[17:24], v[159:166], v[183:190]
	s_clause 0x1
	global_load_b128 v[17:20], v[195:196], off
	global_load_b128 v[21:24], v[195:196], off offset:16
	s_waitcnt vmcnt(36)
	v_wmma_f32_16x16x16_f16 v[129:136], v[151:158], v[159:166], v[129:136]
	v_add_nc_u32_e32 v192, s35, v137
	ds_load_b128 v[137:140], v197 offset:6144
	ds_load_b128 v[141:144], v197 offset:7168
	v_xor_b32_e32 v151, 16, v191
	s_waitcnt vmcnt(0) lgkmcnt(0)
	s_barrier
	v_or_b32_e32 v152, v192, v147
	buffer_gl0_inv
	v_cmp_gt_i32_e32 vcc_lo, 32, v151
	v_or_b32_e32 v153, 2, v152
	v_or_b32_e32 v154, 4, v152
	;; [unrolled: 1-line block ×5, first 2 shown]
	v_cmp_gt_i32_e64 s3, s30, v153
	v_cmp_gt_i32_e64 s4, s30, v154
	;; [unrolled: 1-line block ×3, first 2 shown]
	v_or_b32_e32 v158, 12, v152
	v_or_b32_e32 v159, 14, v152
	v_cmp_gt_i32_e64 s6, s30, v156
	v_wmma_f32_16x16x16_f16 v[183:190], v[167:174], v[137:144], v[183:190]
	v_wmma_f32_16x16x16_f16 v[129:136], v[175:182], v[137:144], v[129:136]
	v_cndmask_b32_e32 v151, v191, v151, vcc_lo
	v_cmp_gt_i32_e32 vcc_lo, s30, v152
	v_cmp_gt_i32_e64 s7, s30, v157
	v_dual_mul_f32 v143, s36, v184 :: v_dual_mul_f32 v144, s36, v183
	v_dual_mul_f32 v141, s36, v186 :: v_dual_mul_f32 v142, s36, v185
	;; [unrolled: 1-line block ×3, first 2 shown]
	s_delay_alu instid0(VALU_DEP_3) | instskip(NEXT) | instid1(VALU_DEP_4)
	v_cndmask_b32_e32 v144, 0xff7fffff, v144, vcc_lo
	v_cndmask_b32_e64 v143, 0xff7fffff, v143, s3
	v_mul_f32_e32 v140, s36, v187
	v_cndmask_b32_e64 v142, 0xff7fffff, v142, s4
	v_cndmask_b32_e64 v141, 0xff7fffff, v141, s5
	v_or_b32_e32 v160, 16, v152
	v_max3_f32 v143, v144, 0xff7fffff, v143
	v_or_b32_e32 v161, 18, v152
	v_mul_f32_e32 v138, s36, v189
	v_dual_mul_f32 v172, s36, v132 :: v_dual_mul_f32 v137, s36, v190
	v_cndmask_b32_e64 v140, 0xff7fffff, v140, s6
	v_cndmask_b32_e64 v139, 0xff7fffff, v139, s7
	v_max3_f32 v141, v143, v142, v141
	v_cmp_gt_i32_e64 s8, s30, v158
	v_cmp_gt_i32_e64 s9, s30, v159
	v_or_b32_e32 v162, 20, v152
	v_or_b32_e32 v163, 22, v152
	v_mul_f32_e32 v175, s36, v129
	v_cndmask_b32_e64 v138, 0xff7fffff, v138, s8
	v_max3_f32 v139, v141, v140, v139
	v_cmp_gt_i32_e64 s10, s30, v160
	v_cmp_gt_i32_e64 s11, s30, v161
	v_lshlrev_b32_e32 v160, 2, v151
	v_cndmask_b32_e64 v137, 0xff7fffff, v137, s9
	v_or_b32_e32 v164, 24, v152
	v_or_b32_e32 v165, 26, v152
	v_mul_f32_e32 v173, s36, v131
	v_cndmask_b32_e64 v140, 0xff7fffff, v175, s10
	v_cndmask_b32_e64 v141, 0xff7fffff, v174, s11
	v_max3_f32 v137, v139, v138, v137
	v_cmp_gt_i32_e64 s12, s30, v162
	v_cmp_gt_i32_e64 s13, s30, v163
	v_or_b32_e32 v166, 28, v152
	v_or_b32_e32 v167, 30, v152
	v_dual_mul_f32 v170, s36, v134 :: v_dual_mul_f32 v171, s36, v133
	v_cndmask_b32_e64 v138, 0xff7fffff, v173, s12
	v_cndmask_b32_e64 v139, 0xff7fffff, v172, s13
	v_max3_f32 v137, v137, v140, v141
	v_cmp_gt_i32_e64 s15, s30, v164
	v_cmp_gt_i32_e64 s16, s30, v165
	v_dual_mul_f32 v168, s36, v136 :: v_dual_mul_f32 v169, s36, v135
	s_delay_alu instid0(VALU_DEP_4) | instskip(NEXT) | instid1(VALU_DEP_4)
	v_max3_f32 v137, v137, v138, v139
	v_cndmask_b32_e64 v140, 0xff7fffff, v171, s15
	s_delay_alu instid0(VALU_DEP_4) | instskip(SKIP_2) | instid1(VALU_DEP_3)
	v_cndmask_b32_e64 v141, 0xff7fffff, v170, s16
	v_cmp_gt_i32_e64 s17, s30, v166
	v_cmp_gt_i32_e64 s18, s30, v167
	v_max3_f32 v137, v137, v140, v141
	s_delay_alu instid0(VALU_DEP_3) | instskip(NEXT) | instid1(VALU_DEP_3)
	v_cndmask_b32_e64 v138, 0xff7fffff, v169, s17
	v_cndmask_b32_e64 v139, 0xff7fffff, v168, s18
	s_delay_alu instid0(VALU_DEP_1) | instskip(SKIP_3) | instid1(VALU_DEP_1)
	v_max3_f32 v137, v137, v138, v139
	ds_bpermute_b32 v138, v160, v137
	s_waitcnt lgkmcnt(0)
	v_max_f32_e32 v138, v138, v138
	v_max_f32_e32 v137, v137, v138
	s_delay_alu instid0(VALU_DEP_1) | instskip(SKIP_4) | instid1(VALU_DEP_4)
	v_fma_f32 v143, s36, v187, -v137
	v_fma_f32 v130, s36, v130, -v137
	;; [unrolled: 1-line block ×5, first 2 shown]
	v_dual_mul_f32 v143, 0x3fb8aa3b, v143 :: v_dual_mul_f32 v130, 0x3fb8aa3b, v130
	s_delay_alu instid0(VALU_DEP_4) | instskip(SKIP_2) | instid1(VALU_DEP_4)
	v_mul_f32_e32 v140, 0x3fb8aa3b, v140
	v_fma_f32 v152, s36, v189, -v137
	v_fma_f32 v139, s36, v184, -v137
	v_exp_f32_e32 v143, v143
	v_mul_f32_e32 v138, 0x3fb8aa3b, v138
	v_exp_f32_e32 v140, v140
	v_mul_f32_e32 v152, 0x3fb8aa3b, v152
	v_fma_f32 v153, s36, v190, -v137
	v_fma_f32 v144, s36, v188, -v137
	v_exp_f32_e32 v138, v138
	v_fma_f32 v129, s36, v129, -v137
	v_exp_f32_e32 v152, v152
	v_fma_f32 v134, s36, v134, -v137
	v_cndmask_b32_e64 v143, 0, v143, s6
	v_dual_mul_f32 v141, 0x3fb8aa3b, v141 :: v_dual_mul_f32 v144, 0x3fb8aa3b, v144
	v_fma_f32 v132, s36, v132, -v137
	s_delay_alu instid0(VALU_DEP_4) | instskip(NEXT) | instid1(VALU_DEP_3)
	v_dual_mul_f32 v129, 0x3fb8aa3b, v129 :: v_dual_mul_f32 v134, 0x3fb8aa3b, v134
	v_exp_f32_e32 v151, v141
	v_cndmask_b32_e64 v141, 0, v140, s4
	s_delay_alu instid0(VALU_DEP_3)
	v_dual_mul_f32 v132, 0x3fb8aa3b, v132 :: v_dual_mul_f32 v139, 0x3fb8aa3b, v139
	v_exp_f32_e32 v144, v144
	v_exp_f32_e32 v129, v129
	;; [unrolled: 1-line block ×3, first 2 shown]
	v_fma_f32 v131, s36, v131, -v137
	v_exp_f32_e32 v142, v139
	v_exp_f32_e32 v132, v132
	v_cndmask_b32_e64 v140, 0, v151, s5
	v_mul_f32_e32 v151, 0x3fb8aa3b, v153
	v_fma_f32 v133, s36, v133, -v137
	s_delay_alu instid0(VALU_DEP_2) | instskip(SKIP_2) | instid1(TRANS32_DEP_3)
	v_exp_f32_e32 v154, v151
	v_cndmask_b32_e64 v151, 0, v152, s8
	v_cndmask_b32_e32 v139, 0, v138, vcc_lo
	v_cndmask_b32_e64 v138, 0, v142, s3
	s_mov_b32 s3, exec_lo
	s_delay_alu instid0(VALU_DEP_2) | instskip(NEXT) | instid1(VALU_DEP_1)
	v_add_f32_e32 v142, 0, v139
	v_add_f32_e32 v142, v142, v138
	s_delay_alu instid0(VALU_DEP_1) | instskip(NEXT) | instid1(VALU_DEP_1)
	v_add_f32_e32 v142, v142, v141
	v_add_f32_e32 v153, v142, v140
	v_cndmask_b32_e64 v142, 0, v144, s7
	s_delay_alu instid0(VALU_DEP_2) | instskip(SKIP_1) | instid1(VALU_DEP_2)
	v_add_f32_e32 v144, v153, v143
	v_cndmask_b32_e64 v153, 0, v129, s10
	v_add_f32_e32 v152, v144, v142
	v_cndmask_b32_e64 v144, 0, v154, s9
	v_cndmask_b32_e64 v154, 0, v132, s13
	v_fma_f32 v132, s36, v136, -v137
	s_delay_alu instid0(VALU_DEP_4) | instskip(NEXT) | instid1(VALU_DEP_2)
	v_dual_mul_f32 v133, 0x3fb8aa3b, v133 :: v_dual_add_f32 v152, v152, v151
	v_mul_f32_e32 v132, 0x3fb8aa3b, v132
	s_delay_alu instid0(VALU_DEP_2) | instskip(NEXT) | instid1(VALU_DEP_2)
	v_exp_f32_e32 v133, v133
	v_add_f32_e32 v129, v152, v144
	v_cndmask_b32_e64 v152, 0, v130, s11
	v_fma_f32 v130, s36, v135, -v137
	v_mul_f32_e32 v131, 0x3fb8aa3b, v131
	s_delay_alu instid0(VALU_DEP_2) | instskip(NEXT) | instid1(VALU_DEP_2)
	v_dual_add_f32 v129, v129, v153 :: v_dual_mul_f32 v130, 0x3fb8aa3b, v130
	v_exp_f32_e32 v131, v131
	s_delay_alu instid0(TRANS32_DEP_2) | instskip(NEXT) | instid1(VALU_DEP_2)
	v_cndmask_b32_e64 v157, 0, v133, s15
	v_add_f32_e32 v129, v129, v152
	s_delay_alu instid0(VALU_DEP_3) | instskip(SKIP_4) | instid1(VALU_DEP_2)
	v_exp_f32_e32 v130, v130
	s_waitcnt_depctr 0xfff
	v_cndmask_b32_e64 v155, 0, v131, s12
	v_exp_f32_e32 v131, v134
	v_cndmask_b32_e64 v159, 0, v130, s17
	v_add_f32_e32 v129, v129, v155
	s_delay_alu instid0(VALU_DEP_1) | instskip(SKIP_4) | instid1(VALU_DEP_1)
	v_add_f32_e32 v129, v129, v154
	s_waitcnt_depctr 0xfff
	v_cndmask_b32_e64 v156, 0, v131, s16
	v_exp_f32_e32 v131, v132
	v_add_f32_e32 v129, v129, v157
	v_add_f32_e32 v129, v129, v156
	s_waitcnt_depctr 0xfff
	v_cndmask_b32_e64 v158, 0, v131, s18
	v_add_f32_e32 v129, v129, v159
	s_delay_alu instid0(VALU_DEP_1)
	v_add_f32_e32 v129, v129, v158
	ds_bpermute_b32 v130, v160, v129
	v_cmpx_gt_u32_e32 16, v150
	s_cbranch_execz .LBB29_12
; %bb.11:
	v_mul_u32_u24_e32 v131, 0x44, v148
	s_delay_alu instid0(VALU_DEP_1) | instskip(SKIP_1) | instid1(VALU_DEP_1)
	v_lshl_add_u32 v131, v149, 2, v131
	s_waitcnt lgkmcnt(0)
	v_dual_add_f32 v129, v129, v130 :: v_dual_add_nc_u32 v130, 0x4000, v131
	ds_store_2addr_b32 v130, v137, v129 offset1:136
.LBB29_12:
	s_or_b32 exec_lo, exec_lo, s3
	v_lshlrev_b32_e32 v129, 2, v149
	s_load_b32 s35, s[0:1], 0x94
	s_waitcnt lgkmcnt(0)
	s_barrier
	buffer_gl0_inv
	v_add_nc_u32_e32 v135, 0x4000, v129
	v_cmp_eq_u32_e32 vcc_lo, 1, v148
	v_cmp_eq_u32_e64 s3, 2, v148
	v_cmp_eq_u32_e64 s4, 3, v148
	v_cmp_eq_u32_e64 s5, 4, v148
	ds_load_2addr_b32 v[129:130], v135 offset1:17
	ds_load_2addr_b32 v[131:132], v135 offset0:34 offset1:51
	ds_load_2addr_b32 v[133:134], v135 offset0:68 offset1:85
	;; [unrolled: 1-line block ×4, first 2 shown]
	v_cmp_eq_u32_e64 s6, 5, v148
	v_cmp_eq_u32_e64 s7, 7, v148
	s_waitcnt lgkmcnt(4)
	v_max3_f32 v136, v129, 0xff7fffff, v130
	s_waitcnt lgkmcnt(3)
	s_delay_alu instid0(VALU_DEP_1) | instskip(SKIP_1) | instid1(VALU_DEP_1)
	v_max3_f32 v136, v136, v131, v132
	s_waitcnt lgkmcnt(2)
	v_max3_f32 v136, v136, v133, v134
	s_waitcnt lgkmcnt(1)
	s_delay_alu instid0(VALU_DEP_1) | instskip(NEXT) | instid1(VALU_DEP_1)
	v_max3_f32 v136, v136, v160, v161
	v_sub_f32_e32 v129, v129, v136
	v_sub_f32_e32 v137, v130, v136
	;; [unrolled: 1-line block ×4, first 2 shown]
	s_delay_alu instid0(VALU_DEP_4) | instskip(NEXT) | instid1(VALU_DEP_3)
	v_dual_sub_f32 v133, v133, v136 :: v_dual_mul_f32 v150, 0x3fb8aa3b, v129
	v_dual_mul_f32 v137, 0x3fb8aa3b, v137 :: v_dual_mul_f32 v164, 0x3fb8aa3b, v164
	s_delay_alu instid0(VALU_DEP_2) | instskip(NEXT) | instid1(VALU_DEP_3)
	v_mul_f32_e32 v167, 0x3fb8aa3b, v133
	v_exp_f32_e32 v150, v150
	s_delay_alu instid0(VALU_DEP_2) | instskip(SKIP_2) | instid1(VALU_DEP_1)
	v_exp_f32_e32 v166, v137
	v_mul_f32_e32 v165, 0x3fb8aa3b, v131
	v_exp_f32_e32 v164, v164
	v_exp_f32_e32 v165, v165
	s_waitcnt lgkmcnt(0)
	v_fma_f32 v137, v150, v162, 0
	v_sub_f32_e32 v162, v134, v136
	ds_load_2addr_b32 v[129:130], v135 offset0:170 offset1:187
	ds_load_2addr_b32 v[131:132], v135 offset0:204 offset1:221
	;; [unrolled: 1-line block ×3, first 2 shown]
	v_fmac_f32_e32 v137, v166, v163
	v_dual_sub_f32 v135, v160, v136 :: v_dual_mul_f32 v160, 0x3fb8aa3b, v162
	v_exp_f32_e32 v162, v167
	s_waitcnt lgkmcnt(0)
	s_barrier
	s_delay_alu instid0(VALU_DEP_1)
	v_mul_f32_e32 v135, 0x3fb8aa3b, v135
	v_exp_f32_e32 v160, v160
	buffer_gl0_inv
	v_fmac_f32_e32 v137, v165, v129
	v_sub_f32_e32 v129, v161, v136
	v_exp_f32_e32 v161, v135
	s_delay_alu instid0(VALU_DEP_2) | instskip(NEXT) | instid1(VALU_DEP_2)
	v_fmac_f32_e32 v137, v164, v130
	v_dual_mul_f32 v129, 0x3fb8aa3b, v129 :: v_dual_cndmask_b32 v130, v150, v166
	s_delay_alu instid0(VALU_DEP_2) | instskip(NEXT) | instid1(VALU_DEP_2)
	v_fmac_f32_e32 v137, v162, v131
	v_exp_f32_e32 v163, v129
	s_delay_alu instid0(VALU_DEP_1) | instskip(SKIP_3) | instid1(VALU_DEP_2)
	v_fmac_f32_e32 v137, v160, v132
	s_waitcnt_depctr 0xfff
	v_fmac_f32_e32 v137, v161, v133
	v_lshlrev_b32_e32 v133, 6, v149
	v_fmac_f32_e32 v137, v163, v134
	s_delay_alu instid0(VALU_DEP_2) | instskip(NEXT) | instid1(VALU_DEP_2)
	v_lshl_or_b32 v135, v148, 11, v133
	v_add_f32_e32 v134, 0x358637bd, v137
	s_delay_alu instid0(VALU_DEP_1) | instskip(SKIP_1) | instid1(VALU_DEP_2)
	v_div_scale_f32 v167, null, v134, v134, 1.0
	v_div_scale_f32 v150, vcc_lo, 1.0, v134, 1.0
	v_rcp_f32_e32 v168, v167
	s_waitcnt_depctr 0xfff
	v_fma_f32 v129, -v167, v168, 1.0
	s_delay_alu instid0(VALU_DEP_1) | instskip(SKIP_2) | instid1(VALU_DEP_3)
	v_fmac_f32_e32 v168, v129, v168
	v_cndmask_b32_e64 v129, v130, v165, s3
	v_cmp_eq_u32_e64 s3, 6, v148
	v_mul_f32_e32 v165, v150, v168
	s_delay_alu instid0(VALU_DEP_3) | instskip(SKIP_1) | instid1(VALU_DEP_3)
	v_cndmask_b32_e64 v130, v129, v164, s4
	v_lshlrev_b32_e32 v129, 2, v147
	v_fma_f32 v131, -v167, v165, v150
	s_delay_alu instid0(VALU_DEP_3) | instskip(NEXT) | instid1(VALU_DEP_3)
	v_cndmask_b32_e64 v149, v130, v162, s5
	v_or_b32_e32 v130, 1, v129
	v_or_b32_e32 v132, 2, v129
	v_cmp_eq_u32_e64 s4, 1, v129
	v_fmac_f32_e32 v165, v131, v168
	v_cndmask_b32_e64 v148, v149, v160, s6
	v_or_b32_e32 v131, 3, v129
	v_cmp_eq_u32_e64 s9, 1, v130
	v_cmp_eq_u32_e64 s10, 1, v132
	v_fma_f32 v149, -v167, v165, v150
	v_cndmask_b32_e64 v148, v148, v161, s3
	v_cmp_eq_u32_e64 s11, 1, v131
	v_cmp_eq_u32_e64 s5, 2, v129
	;; [unrolled: 1-line block ×3, first 2 shown]
	v_div_fmas_f32 v149, v149, v168, v165
	v_cndmask_b32_e64 v148, v148, v163, s7
	v_cmp_eq_u32_e64 s15, 2, v132
	v_cmp_eq_u32_e64 s16, 2, v131
	v_cmp_eq_u32_e32 vcc_lo, 3, v129
	v_div_fixup_f32 v149, v149, v134, 1.0
	v_lshl_or_b32 v134, v147, 4, v135
	v_cmp_eq_u32_e64 s13, 3, v130
	v_cmp_eq_u32_e64 s18, 3, v131
	;; [unrolled: 1-line block ×3, first 2 shown]
	v_mul_f32_e32 v164, v148, v149
	v_cmp_eq_u32_e64 s17, 3, v132
	v_cmp_eq_u32_e64 s19, 4, v130
	;; [unrolled: 1-line block ×4, first 2 shown]
	v_fma_mixlo_f16 v148, v164, v139, 0
	v_fma_mixlo_f16 v149, v164, v141, 0
	;; [unrolled: 1-line block ×8, first 2 shown]
	v_fma_mixhi_f16 v148, v164, v138, 0
	v_fma_mixhi_f16 v149, v164, v140, 0
	;; [unrolled: 1-line block ×8, first 2 shown]
	ds_store_b128 v134, v[148:151]
	ds_store_b128 v134, v[160:163] offset:1024
	s_waitcnt lgkmcnt(0)
	s_barrier
	buffer_gl0_inv
	ds_load_b128 v[138:141], v135
	ds_load_b128 v[148:151], v135 offset:16
	ds_load_b128 v[152:155], v135 offset:1024
	ds_load_b128 v[156:159], v135 offset:1040
	v_cmp_eq_u32_e64 s20, 5, v130
	v_cmp_eq_u32_e64 s21, 4, v132
	;; [unrolled: 1-line block ×12, first 2 shown]
	s_waitcnt lgkmcnt(3)
	v_lshrrev_b32_e32 v142, 16, v138
	s_waitcnt lgkmcnt(2)
	v_lshrrev_b32_e32 v161, 16, v148
	;; [unrolled: 2-line block ×4, first 2 shown]
	v_lshrrev_b32_e32 v143, 16, v139
	v_cndmask_b32_e64 v173, v138, v142, s4
	v_cndmask_b32_e64 v174, v148, v161, s4
	;; [unrolled: 1-line block ×7, first 2 shown]
	v_lshrrev_b32_e32 v162, 16, v149
	v_cndmask_b32_e64 v178, v148, v161, s10
	v_cndmask_b32_e64 v148, v152, v165, s4
	;; [unrolled: 1-line block ×16, first 2 shown]
	v_lshrrev_b32_e32 v166, 16, v153
	v_lshrrev_b32_e32 v170, 16, v157
	v_cndmask_b32_e64 v176, v178, v149, s15
	v_cndmask_b32_e64 v142, v148, v153, s5
	;; [unrolled: 1-line block ×7, first 2 shown]
	v_cndmask_b32_e32 v156, v165, v143, vcc_lo
	v_cndmask_b32_e32 v165, v169, v162, vcc_lo
	v_cndmask_b32_e64 v169, v173, v143, s13
	v_cndmask_b32_e64 v173, v174, v162, s13
	;; [unrolled: 1-line block ×4, first 2 shown]
	v_lshrrev_b32_e32 v144, 16, v140
	v_lshrrev_b32_e32 v163, 16, v150
	v_cndmask_b32_e64 v174, v175, v143, s17
	v_cndmask_b32_e64 v175, v176, v162, s17
	v_cndmask_b32_e32 v142, v142, v166, vcc_lo
	v_cndmask_b32_e32 v143, v148, v170, vcc_lo
	v_cndmask_b32_e64 v148, v149, v166, s13
	v_cndmask_b32_e64 v149, v156, v140, s3
	;; [unrolled: 1-line block ×7, first 2 shown]
	v_lshrrev_b32_e32 v167, 16, v154
	v_cndmask_b32_e64 v169, v174, v140, s21
	v_cndmask_b32_e64 v173, v175, v150, s21
	;; [unrolled: 1-line block ×11, first 2 shown]
	v_lshrrev_b32_e32 v160, 16, v141
	v_lshrrev_b32_e32 v164, 16, v151
	v_cndmask_b32_e64 v162, v169, v144, s23
	v_cndmask_b32_e64 v165, v173, v163, s23
	;; [unrolled: 1-line block ×9, first 2 shown]
	v_lshrrev_b32_e32 v168, 16, v155
	v_cndmask_b32_e64 v140, v140, v167, s6
	v_cndmask_b32_e64 v156, v162, v141, s26
	;; [unrolled: 1-line block ×14, first 2 shown]
	v_perm_b32 v141, v139, v138, 0x5040100
	v_perm_b32 v139, v150, v148, 0x5040100
	v_cndmask_b32_e64 v138, v182, v157, s15
	v_cndmask_b32_e64 v148, v180, v157, s12
	;; [unrolled: 1-line block ×3, first 2 shown]
	v_perm_b32 v140, v151, v149, 0x5040100
	v_cndmask_b32_e64 v149, v161, v166, s17
	v_cndmask_b32_e64 v150, v152, v166, s18
	v_cndmask_b32_e64 v151, v153, v170, s18
	v_cndmask_b32_e64 v138, v138, v170, s17
	v_cndmask_b32_e64 v148, v148, v170, s13
	v_lshrrev_b32_e32 v171, 16, v158
	v_cndmask_b32_e64 v149, v149, v154, s21
	v_cndmask_b32_e64 v150, v150, v154, s22
	;; [unrolled: 1-line block ×11, first 2 shown]
	v_lshrrev_b32_e32 v172, 16, v159
	v_cndmask_b32_e64 v142, v142, v159, s7
	v_cndmask_b32_e64 v149, v149, v155, s26
	;; [unrolled: 1-line block ×12, first 2 shown]
	v_perm_b32 v138, v144, v143, 0x5040100
	v_perm_b32 v151, v151, v150, 0x5040100
	;; [unrolled: 1-line block ×5, first 2 shown]
	s_lshl_b32 s7, s33, 2
	s_mov_b32 s3, exec_lo
	ds_store_b128 v134, v[138:141]
	ds_store_b128 v134, v[148:151] offset:1024
	v_cmpx_gt_u32_e32 4, v0
	s_cbranch_execz .LBB29_14
; %bb.13:
	v_or_b32_e32 v138, s31, v0
	s_load_b128 s[8:11], s[0:1], 0x58
	s_delay_alu instid0(VALU_DEP_1) | instskip(NEXT) | instid1(VALU_DEP_1)
	v_mad_u64_u32 v[139:140], null, s7, s34, v[138:139]
	v_mad_u64_u32 v[140:141], null, v139, s35, s[14:15]
	s_delay_alu instid0(VALU_DEP_1) | instskip(NEXT) | instid1(VALU_DEP_1)
	v_ashrrev_i32_e32 v141, 31, v140
	v_lshlrev_b64 v[138:139], 2, v[140:141]
	s_waitcnt lgkmcnt(0)
	s_delay_alu instid0(VALU_DEP_1) | instskip(NEXT) | instid1(VALU_DEP_2)
	v_add_co_u32 v140, vcc_lo, s10, v138
	v_add_co_ci_u32_e32 v141, vcc_lo, s11, v139, vcc_lo
	v_add_co_u32 v138, vcc_lo, s8, v138
	v_add_co_ci_u32_e32 v139, vcc_lo, s9, v139, vcc_lo
	global_store_b32 v[140:141], v136, off
	global_store_b32 v[138:139], v137, off
.LBB29_14:
	s_or_b32 exec_lo, exec_lo, s3
	s_waitcnt lgkmcnt(0)
	s_waitcnt_vscnt null, 0x0
	s_barrier
	buffer_gl0_inv
	ds_load_b128 v[148:151], v133
	ds_load_b128 v[152:155], v133 offset:16
	ds_load_b128 v[160:163], v133 offset:1040
	;; [unrolled: 1-line block ×5, first 2 shown]
	v_cmp_eq_u32_e32 vcc_lo, 1, v132
	v_mov_b32_e32 v136, 0
	ds_load_b128 v[176:179], v133 offset:3088
	ds_load_b128 v[172:175], v133 offset:3072
	;; [unrolled: 1-line block ×4, first 2 shown]
	v_cmp_eq_u32_e64 s3, 1, v129
	v_cmp_eq_u32_e64 s4, 1, v131
	v_cmp_eq_u32_e64 s5, 1, v130
	v_mov_b32_e32 v137, v136
	v_mov_b32_e32 v138, v136
	;; [unrolled: 1-line block ×7, first 2 shown]
	v_cmp_eq_u32_e64 s6, 2, v129
	s_waitcnt lgkmcnt(8)
	s_delay_alu instid0(VALU_DEP_2)
	v_wmma_f32_16x16x16_f16 v[136:143], v[121:128], v[148:155], v[136:143]
	ds_load_b128 v[125:128], v133 offset:5136
	ds_load_b128 v[121:124], v133 offset:5120
	s_waitcnt lgkmcnt(8)
	v_wmma_f32_16x16x16_f16 v[136:143], v[113:120], v[156:163], v[136:143]
	ds_load_b128 v[117:120], v133 offset:6160
	ds_load_b128 v[113:116], v133 offset:6144
	s_waitcnt lgkmcnt(8)
	;; [unrolled: 4-line block ×11, first 2 shown]
	s_barrier
	buffer_gl0_inv
	v_wmma_f32_16x16x16_f16 v[136:143], v[1:8], v[73:80], v[136:143]
	s_delay_alu instid0(VALU_DEP_1) | instskip(NEXT) | instid1(VALU_DEP_1)
	v_wmma_f32_16x16x16_f16 v[136:143], v[9:16], v[65:72], v[136:143]
	v_wmma_f32_16x16x16_f16 v[136:143], v[33:40], v[57:64], v[136:143]
	s_delay_alu instid0(VALU_DEP_1) | instskip(NEXT) | instid1(VALU_DEP_1)
	v_wmma_f32_16x16x16_f16 v[136:143], v[41:48], v[49:56], v[136:143]
	v_wmma_f32_16x16x16_f16 v[136:143], v[17:24], v[25:32], v[136:143]
	s_delay_alu instid0(VALU_DEP_1) | instskip(NEXT) | instid1(VALU_DEP_2)
	v_cvt_f16_f32_e64 v1, v136
	v_cvt_f16_f32_e64 v2, v137
	s_delay_alu instid0(VALU_DEP_3) | instskip(NEXT) | instid1(VALU_DEP_4)
	v_cvt_f16_f32_e64 v3, v138
	v_cvt_f16_f32_e64 v4, v139
	;; [unrolled: 1-line block ×6, first 2 shown]
	v_pack_b32_f16 v1, v1, v2
	v_pack_b32_f16 v2, v3, v4
	;; [unrolled: 1-line block ×3, first 2 shown]
	s_delay_alu instid0(VALU_DEP_4)
	v_pack_b32_f16 v4, v7, v8
	ds_store_b128 v134, v[1:4]
	s_waitcnt lgkmcnt(0)
	s_barrier
	buffer_gl0_inv
	ds_load_b128 v[1:4], v135
	ds_load_b128 v[5:8], v135 offset:16
	s_waitcnt lgkmcnt(1)
	v_lshrrev_b32_e32 v9, 16, v1
	s_waitcnt lgkmcnt(0)
	v_lshrrev_b32_e32 v13, 16, v5
	v_lshrrev_b32_e32 v10, 16, v2
	;; [unrolled: 1-line block ×4, first 2 shown]
	v_cndmask_b32_e64 v17, v1, v9, s3
	v_cndmask_b32_e64 v18, v5, v13, s3
	;; [unrolled: 1-line block ×3, first 2 shown]
	v_cmp_eq_u32_e64 s3, 2, v130
	v_cndmask_b32_e64 v20, v5, v13, s5
	v_cndmask_b32_e32 v21, v1, v9, vcc_lo
	v_cndmask_b32_e32 v22, v5, v13, vcc_lo
	v_cndmask_b32_e64 v1, v1, v9, s4
	v_cndmask_b32_e64 v5, v5, v13, s4
	v_cmp_eq_u32_e32 vcc_lo, 2, v132
	v_cmp_eq_u32_e64 s4, 2, v131
	v_cndmask_b32_e64 v9, v17, v2, s6
	v_cndmask_b32_e64 v13, v18, v6, s6
	v_cndmask_b32_e64 v17, v19, v2, s3
	v_cndmask_b32_e64 v18, v20, v6, s3
	v_cndmask_b32_e32 v19, v21, v2, vcc_lo
	v_cmp_eq_u32_e64 s3, 3, v132
	v_cndmask_b32_e32 v20, v22, v6, vcc_lo
	v_cndmask_b32_e64 v1, v1, v2, s4
	v_cmp_eq_u32_e32 vcc_lo, 3, v131
	v_cmp_eq_u32_e64 s5, 3, v129
	v_cndmask_b32_e64 v2, v5, v6, s4
	v_cmp_eq_u32_e64 s4, 3, v130
	v_cmp_eq_u32_e64 s6, 4, v129
	v_cndmask_b32_e32 v1, v1, v10, vcc_lo
	v_cndmask_b32_e64 v5, v9, v10, s5
	v_cndmask_b32_e64 v6, v13, v14, s5
	;; [unrolled: 1-line block ×3, first 2 shown]
	v_cmp_eq_u32_e64 s5, 4, v130
	v_cndmask_b32_e64 v13, v18, v14, s4
	v_cndmask_b32_e64 v17, v19, v10, s3
	;; [unrolled: 1-line block ×3, first 2 shown]
	v_cndmask_b32_e32 v2, v2, v14, vcc_lo
	v_cmp_eq_u32_e32 vcc_lo, 4, v132
	v_cmp_eq_u32_e64 s4, 4, v131
	v_lshrrev_b32_e32 v15, 16, v7
	v_cndmask_b32_e64 v5, v5, v3, s6
	v_cndmask_b32_e64 v6, v6, v7, s6
	v_cndmask_b32_e32 v14, v18, v7, vcc_lo
	v_cndmask_b32_e64 v9, v9, v3, s5
	v_cndmask_b32_e64 v10, v13, v7, s5
	v_cndmask_b32_e32 v13, v17, v3, vcc_lo
	v_cmp_eq_u32_e64 s3, 5, v132
	v_cndmask_b32_e64 v1, v1, v3, s4
	v_cmp_eq_u32_e32 vcc_lo, 5, v131
	v_cmp_eq_u32_e64 s5, 5, v129
	v_cndmask_b32_e64 v2, v2, v7, s4
	v_cmp_eq_u32_e64 s4, 5, v130
	v_cmp_eq_u32_e64 s6, 6, v129
	v_lshrrev_b32_e32 v12, 16, v4
	v_cndmask_b32_e64 v3, v5, v11, s5
	v_cndmask_b32_e64 v5, v6, v15, s5
	;; [unrolled: 1-line block ×3, first 2 shown]
	v_cmp_eq_u32_e64 s5, 6, v130
	v_cndmask_b32_e64 v7, v10, v15, s4
	v_cndmask_b32_e64 v9, v13, v11, s3
	;; [unrolled: 1-line block ×3, first 2 shown]
	v_cndmask_b32_e32 v1, v1, v11, vcc_lo
	v_cndmask_b32_e32 v2, v2, v15, vcc_lo
	v_cmp_eq_u32_e32 vcc_lo, 6, v132
	v_cmp_eq_u32_e64 s3, 6, v131
	v_lshrrev_b32_e32 v16, 16, v8
	v_cndmask_b32_e64 v3, v3, v4, s6
	v_cndmask_b32_e64 v5, v5, v8, s6
	v_cndmask_b32_e32 v9, v9, v4, vcc_lo
	v_cndmask_b32_e64 v6, v6, v4, s5
	v_cndmask_b32_e64 v7, v7, v8, s5
	v_cmp_eq_u32_e64 s4, 7, v132
	v_cndmask_b32_e32 v10, v10, v8, vcc_lo
	v_cndmask_b32_e64 v1, v1, v4, s3
	v_cmp_eq_u32_e32 vcc_lo, 7, v131
	v_cndmask_b32_e64 v2, v2, v8, s3
	v_cmp_eq_u32_e64 s3, 7, v129
	v_cmp_eq_u32_e64 s5, 7, v130
	v_cndmask_b32_e32 v1, v1, v12, vcc_lo
	s_delay_alu instid0(VALU_DEP_4) | instskip(NEXT) | instid1(VALU_DEP_4)
	v_cndmask_b32_e32 v2, v2, v16, vcc_lo
	v_cndmask_b32_e64 v8, v3, v12, s3
	s_delay_alu instid0(VALU_DEP_4)
	v_cndmask_b32_e64 v6, v6, v12, s5
	v_cndmask_b32_e64 v3, v9, v12, s4
	v_cndmask_b32_e64 v9, v10, v16, s4
	v_cndmask_b32_e64 v7, v7, v16, s5
	v_cndmask_b32_e64 v5, v5, v16, s3
	v_cmp_gt_u32_e32 vcc_lo, 32, v0
	v_perm_b32 v4, v2, v1, 0x5040100
	v_perm_b32 v3, v9, v3, 0x5040100
	;; [unrolled: 1-line block ×4, first 2 shown]
	s_and_b32 s2, vcc_lo, s2
	ds_store_b128 v134, v[1:4]
	s_waitcnt lgkmcnt(0)
	s_barrier
	buffer_gl0_inv
	s_and_saveexec_b32 s3, s2
	s_cbranch_execz .LBB29_2
; %bb.15:
	s_load_b64 s[0:1], s[0:1], 0x68
	v_lshlrev_b32_e32 v0, 10, v0
	v_or_b32_e32 v1, s31, v147
	s_lshl_b32 s4, s35, 6
	v_lshlrev_b32_e32 v2, 4, v146
	s_mul_i32 s2, s4, s34
	v_lshlrev_b32_e32 v3, 6, v147
	v_mul_lo_u32 v8, v1, s4
	v_and_b32_e32 v0, 0x3800, v0
	v_or_b32_e32 v1, 2, v1
	s_mul_i32 s2, s2, s7
	s_delay_alu instid0(SALU_CYCLE_1) | instskip(NEXT) | instid1(VALU_DEP_2)
	s_ashr_i32 s3, s2, 31
	v_or3_b32 v4, v0, v2, v3
	s_lshl_b64 s[2:3], s[2:3], 1
	v_mul_lo_u32 v10, v1, s4
	v_ashrrev_i32_e32 v9, 31, v8
	ds_load_b128 v[0:3], v4
	ds_load_b128 v[4:7], v4 offset:128
	s_waitcnt lgkmcnt(0)
	s_add_u32 s2, s0, s2
	s_addc_u32 s3, s1, s3
	s_lshl_b32 s0, s14, 6
	v_ashrrev_i32_e32 v11, 31, v10
	s_ashr_i32 s1, s0, 31
	v_lshlrev_b64 v[8:9], 1, v[8:9]
	s_lshl_b64 s[0:1], s[0:1], 1
	s_delay_alu instid0(SALU_CYCLE_1) | instskip(SKIP_2) | instid1(VALU_DEP_1)
	s_add_u32 s0, s2, s0
	s_addc_u32 s1, s3, s1
	v_add_co_u32 v12, s0, s0, v145
	v_add_co_ci_u32_e64 v13, null, s1, 0, s0
	v_lshlrev_b64 v[10:11], 1, v[10:11]
	s_delay_alu instid0(VALU_DEP_3) | instskip(NEXT) | instid1(VALU_DEP_3)
	v_add_co_u32 v8, vcc_lo, v12, v8
	v_add_co_ci_u32_e32 v9, vcc_lo, v13, v9, vcc_lo
	s_delay_alu instid0(VALU_DEP_3) | instskip(NEXT) | instid1(VALU_DEP_4)
	v_add_co_u32 v10, vcc_lo, v12, v10
	v_add_co_ci_u32_e32 v11, vcc_lo, v13, v11, vcc_lo
	s_clause 0x1
	global_store_b128 v[8:9], v[0:3], off
	global_store_b128 v[10:11], v[4:7], off
	s_nop 0
	s_sendmsg sendmsg(MSG_DEALLOC_VGPRS)
	s_endpgm
	.section	.rodata,"a",@progbits
	.p2align	6, 0x0
	.amdhsa_kernel _Z39paged_attention_ll4mi_QKV_mfma16_kernelIDF16_DF16_LN4vllm18Fp8KVCacheDataTypeE0EhLi16ELi64ELi256ELb1ELi4EL8MFMAType0EEvPKT_PKT0_S8_ifPKiSA_SA_iPKfiiiPfSD_PS3_PT2_iSC_SC_
		.amdhsa_group_segment_fixed_size 17472
		.amdhsa_private_segment_fixed_size 0
		.amdhsa_kernarg_size 400
		.amdhsa_user_sgpr_count 13
		.amdhsa_user_sgpr_dispatch_ptr 0
		.amdhsa_user_sgpr_queue_ptr 0
		.amdhsa_user_sgpr_kernarg_segment_ptr 1
		.amdhsa_user_sgpr_dispatch_id 0
		.amdhsa_user_sgpr_private_segment_size 0
		.amdhsa_wavefront_size32 1
		.amdhsa_uses_dynamic_stack 0
		.amdhsa_enable_private_segment 0
		.amdhsa_system_sgpr_workgroup_id_x 1
		.amdhsa_system_sgpr_workgroup_id_y 1
		.amdhsa_system_sgpr_workgroup_id_z 1
		.amdhsa_system_sgpr_workgroup_info 0
		.amdhsa_system_vgpr_workitem_id 0
		.amdhsa_next_free_vgpr 198
		.amdhsa_next_free_sgpr 52
		.amdhsa_reserve_vcc 1
		.amdhsa_float_round_mode_32 0
		.amdhsa_float_round_mode_16_64 0
		.amdhsa_float_denorm_mode_32 3
		.amdhsa_float_denorm_mode_16_64 3
		.amdhsa_dx10_clamp 1
		.amdhsa_ieee_mode 1
		.amdhsa_fp16_overflow 0
		.amdhsa_workgroup_processor_mode 1
		.amdhsa_memory_ordered 1
		.amdhsa_forward_progress 0
		.amdhsa_shared_vgpr_count 0
		.amdhsa_exception_fp_ieee_invalid_op 0
		.amdhsa_exception_fp_denorm_src 0
		.amdhsa_exception_fp_ieee_div_zero 0
		.amdhsa_exception_fp_ieee_overflow 0
		.amdhsa_exception_fp_ieee_underflow 0
		.amdhsa_exception_fp_ieee_inexact 0
		.amdhsa_exception_int_div_zero 0
	.end_amdhsa_kernel
	.section	.text._Z39paged_attention_ll4mi_QKV_mfma16_kernelIDF16_DF16_LN4vllm18Fp8KVCacheDataTypeE0EhLi16ELi64ELi256ELb1ELi4EL8MFMAType0EEvPKT_PKT0_S8_ifPKiSA_SA_iPKfiiiPfSD_PS3_PT2_iSC_SC_,"axG",@progbits,_Z39paged_attention_ll4mi_QKV_mfma16_kernelIDF16_DF16_LN4vllm18Fp8KVCacheDataTypeE0EhLi16ELi64ELi256ELb1ELi4EL8MFMAType0EEvPKT_PKT0_S8_ifPKiSA_SA_iPKfiiiPfSD_PS3_PT2_iSC_SC_,comdat
.Lfunc_end29:
	.size	_Z39paged_attention_ll4mi_QKV_mfma16_kernelIDF16_DF16_LN4vllm18Fp8KVCacheDataTypeE0EhLi16ELi64ELi256ELb1ELi4EL8MFMAType0EEvPKT_PKT0_S8_ifPKiSA_SA_iPKfiiiPfSD_PS3_PT2_iSC_SC_, .Lfunc_end29-_Z39paged_attention_ll4mi_QKV_mfma16_kernelIDF16_DF16_LN4vllm18Fp8KVCacheDataTypeE0EhLi16ELi64ELi256ELb1ELi4EL8MFMAType0EEvPKT_PKT0_S8_ifPKiSA_SA_iPKfiiiPfSD_PS3_PT2_iSC_SC_
                                        ; -- End function
	.section	.AMDGPU.csdata,"",@progbits
; Kernel info:
; codeLenInByte = 7692
; NumSgprs: 54
; NumVgprs: 198
; ScratchSize: 0
; MemoryBound: 0
; FloatMode: 240
; IeeeMode: 1
; LDSByteSize: 17472 bytes/workgroup (compile time only)
; SGPRBlocks: 6
; VGPRBlocks: 24
; NumSGPRsForWavesPerEU: 54
; NumVGPRsForWavesPerEU: 198
; Occupancy: 7
; WaveLimiterHint : 1
; COMPUTE_PGM_RSRC2:SCRATCH_EN: 0
; COMPUTE_PGM_RSRC2:USER_SGPR: 13
; COMPUTE_PGM_RSRC2:TRAP_HANDLER: 0
; COMPUTE_PGM_RSRC2:TGID_X_EN: 1
; COMPUTE_PGM_RSRC2:TGID_Y_EN: 1
; COMPUTE_PGM_RSRC2:TGID_Z_EN: 1
; COMPUTE_PGM_RSRC2:TIDIG_COMP_CNT: 0
	.section	.text._Z35paged_attention_ll4mi_reduce_kernelIDF16_hLi64ELi64ELi256ELi9EEvPT0_PKfS3_PKT_PKiS8_iS3_,"axG",@progbits,_Z35paged_attention_ll4mi_reduce_kernelIDF16_hLi64ELi64ELi256ELi9EEvPT0_PKfS3_PKT_PKiS8_iS3_,comdat
	.protected	_Z35paged_attention_ll4mi_reduce_kernelIDF16_hLi64ELi64ELi256ELi9EEvPT0_PKfS3_PKT_PKiS8_iS3_ ; -- Begin function _Z35paged_attention_ll4mi_reduce_kernelIDF16_hLi64ELi64ELi256ELi9EEvPT0_PKfS3_PKT_PKiS8_iS3_
	.globl	_Z35paged_attention_ll4mi_reduce_kernelIDF16_hLi64ELi64ELi256ELi9EEvPT0_PKfS3_PKT_PKiS8_iS3_
	.p2align	8
	.type	_Z35paged_attention_ll4mi_reduce_kernelIDF16_hLi64ELi64ELi256ELi9EEvPT0_PKfS3_PKT_PKiS8_iS3_,@function
_Z35paged_attention_ll4mi_reduce_kernelIDF16_hLi64ELi64ELi256ELi9EEvPT0_PKfS3_PKT_PKiS8_iS3_: ; @_Z35paged_attention_ll4mi_reduce_kernelIDF16_hLi64ELi64ELi256ELi9EEvPT0_PKfS3_PKT_PKiS8_iS3_
; %bb.0:
	s_load_b64 s[12:13], s[0:1], 0x28
	s_mov_b32 s2, s15
	s_waitcnt lgkmcnt(0)
	s_cmp_lg_u64 s[12:13], 0
	s_cselect_b32 s15, -1, 0
	s_delay_alu instid0(SALU_CYCLE_1)
	s_and_b32 vcc_lo, exec_lo, s15
	s_cbranch_vccz .LBB30_20
; %bb.1:
	s_add_i32 s4, s2, 1
	s_mov_b32 s5, 0
	s_delay_alu instid0(SALU_CYCLE_1) | instskip(SKIP_4) | instid1(SALU_CYCLE_1)
	s_lshl_b64 s[6:7], s[4:5], 2
	s_mov_b32 s3, s5
	s_add_u32 s6, s12, s6
	s_addc_u32 s7, s13, s7
	s_lshl_b64 s[8:9], s[2:3], 2
	s_add_u32 s8, s12, s8
	s_addc_u32 s9, s13, s9
	s_clause 0x1
	s_load_b32 s4, s[6:7], 0x0
	s_load_b32 s6, s[8:9], 0x0
	s_waitcnt lgkmcnt(0)
	s_sub_i32 s4, s4, s6
	s_delay_alu instid0(SALU_CYCLE_1)
	s_cmp_eq_u32 s4, 1
	s_cselect_b32 s4, -1, 0
	s_cbranch_execnz .LBB30_3
.LBB30_2:
	s_mov_b32 s3, 0
	s_mov_b32 s4, -1
.LBB30_3:
	s_delay_alu instid0(SALU_CYCLE_1)
	s_and_not1_b32 vcc_lo, exec_lo, s4
	s_cbranch_vccz .LBB30_5
; %bb.4:
	s_endpgm
.LBB30_5:
	s_clause 0x1
	s_load_b128 s[4:7], s[0:1], 0x18
	s_load_b32 s9, s[0:1], 0x30
	s_lshl_b64 s[16:17], s[2:3], 2
	s_waitcnt lgkmcnt(0)
	s_add_u32 s6, s6, s16
	s_addc_u32 s7, s7, s17
	s_load_b32 s23, s[6:7], 0x0
	s_load_b32 s33, s[0:1], 0x40
	s_mul_i32 s7, s2, s9
	s_waitcnt lgkmcnt(0)
	s_add_i32 s22, s23, 0xff
	s_delay_alu instid0(SALU_CYCLE_1) | instskip(NEXT) | instid1(SALU_CYCLE_1)
	s_ashr_i32 s6, s22, 31
	s_lshr_b32 s6, s6, 24
	s_delay_alu instid0(SALU_CYCLE_1) | instskip(SKIP_4) | instid1(SALU_CYCLE_1)
	s_add_i32 s8, s22, s6
	s_mul_i32 s6, s14, s9
	s_mov_b32 s9, exec_lo
	v_cmpx_lt_u32_e32 31, v0
	s_xor_b32 s9, exec_lo, s9
	s_or_saveexec_b32 s24, s9
	v_mov_b32_e32 v1, s6
	s_ashr_i32 s40, s8, 8
	s_mul_i32 s18, s7, s33
	s_xor_b32 exec_lo, exec_lo, s24
	s_cbranch_execz .LBB30_9
; %bb.6:
	v_or_b32_e32 v2, 32, v0
	v_cmp_gt_i32_e32 vcc_lo, s40, v0
	s_add_i32 s20, s40, -1
	v_or_b32_e32 v4, 64, v0
	v_or_b32_e32 v6, 0x60, v0
	s_load_b128 s[8:11], s[0:1], 0x8
	v_cndmask_b32_e32 v1, s20, v0, vcc_lo
	v_cmp_gt_i32_e32 vcc_lo, s40, v2
	s_mov_b32 s19, 0
	s_delay_alu instid0(SALU_CYCLE_1)
	s_mov_b32 s7, s19
	v_cndmask_b32_e32 v3, s20, v2, vcc_lo
	v_cmp_gt_i32_e32 vcc_lo, s40, v4
	v_or_b32_e32 v2, 0x80, v0
	v_cndmask_b32_e32 v5, s20, v4, vcc_lo
	v_cmp_gt_i32_e32 vcc_lo, s40, v6
	v_or_b32_e32 v4, 0xa0, v0
	;; [unrolled: 3-line block ×3, first 2 shown]
	s_delay_alu instid0(VALU_DEP_3) | instskip(SKIP_3) | instid1(VALU_DEP_4)
	v_ashrrev_i32_e32 v8, 31, v7
	v_cndmask_b32_e32 v9, s20, v2, vcc_lo
	v_or_b32_e32 v2, 0xc0, v0
	v_cmp_gt_i32_e32 vcc_lo, s40, v4
	v_lshlrev_b64 v[7:8], 2, v[7:8]
	s_delay_alu instid0(VALU_DEP_4) | instskip(SKIP_3) | instid1(VALU_DEP_4)
	v_ashrrev_i32_e32 v10, 31, v9
	v_cndmask_b32_e32 v11, s20, v4, vcc_lo
	v_cmp_gt_i32_e32 vcc_lo, s40, v2
	v_or_b32_e32 v4, 0x100, v0
	v_lshlrev_b64 v[9:10], 2, v[9:10]
	s_delay_alu instid0(VALU_DEP_4) | instskip(SKIP_3) | instid1(VALU_DEP_4)
	v_ashrrev_i32_e32 v12, 31, v11
	v_cndmask_b32_e32 v13, s20, v2, vcc_lo
	v_cmp_gt_i32_e32 vcc_lo, s40, v6
	v_ashrrev_i32_e32 v2, 31, v1
	v_lshlrev_b64 v[11:12], 2, v[11:12]
	s_delay_alu instid0(VALU_DEP_4)
	v_ashrrev_i32_e32 v14, 31, v13
	v_cndmask_b32_e32 v15, s20, v6, vcc_lo
	v_cmp_gt_i32_e32 vcc_lo, s40, v4
	v_lshlrev_b64 v[1:2], 2, v[1:2]
	v_ashrrev_i32_e32 v6, 31, v5
	v_lshlrev_b64 v[13:14], 2, v[13:14]
	v_ashrrev_i32_e32 v16, 31, v15
	v_cndmask_b32_e32 v17, s20, v4, vcc_lo
	v_ashrrev_i32_e32 v4, 31, v3
	s_lshl_b64 s[20:21], s[18:19], 2
	v_lshlrev_b64 v[5:6], 2, v[5:6]
	s_waitcnt lgkmcnt(0)
	s_add_u32 s19, s10, s20
	s_addc_u32 s25, s11, s21
	s_lshl_b64 s[10:11], s[6:7], 2
	v_lshlrev_b64 v[3:4], 2, v[3:4]
	s_add_u32 s7, s19, s10
	s_addc_u32 s19, s25, s11
	v_add_co_u32 v18, vcc_lo, s7, v1
	v_add_co_ci_u32_e32 v19, vcc_lo, s19, v2, vcc_lo
	s_delay_alu instid0(VALU_DEP_3)
	v_add_co_u32 v20, vcc_lo, s7, v3
	v_add_co_ci_u32_e32 v21, vcc_lo, s19, v4, vcc_lo
	v_add_co_u32 v22, vcc_lo, s7, v5
	v_add_co_ci_u32_e32 v23, vcc_lo, s19, v6, vcc_lo
	;; [unrolled: 2-line block ×4, first 2 shown]
	s_clause 0x4
	global_load_b32 v28, v[18:19], off
	global_load_b32 v29, v[20:21], off
	;; [unrolled: 1-line block ×5, first 2 shown]
	v_ashrrev_i32_e32 v18, 31, v17
	v_add_co_u32 v19, vcc_lo, s7, v11
	v_lshlrev_b64 v[15:16], 2, v[15:16]
	v_add_co_ci_u32_e32 v20, vcc_lo, s19, v12, vcc_lo
	v_add_co_u32 v21, vcc_lo, s7, v13
	v_lshlrev_b64 v[17:18], 2, v[17:18]
	v_add_co_ci_u32_e32 v22, vcc_lo, s19, v14, vcc_lo
	v_add_co_u32 v23, vcc_lo, s7, v15
	v_add_co_ci_u32_e32 v24, vcc_lo, s19, v16, vcc_lo
	s_delay_alu instid0(VALU_DEP_4)
	v_add_co_u32 v25, vcc_lo, s7, v17
	v_add_co_ci_u32_e32 v26, vcc_lo, s19, v18, vcc_lo
	s_clause 0x3
	global_load_b32 v19, v[19:20], off
	global_load_b32 v20, v[21:22], off
	;; [unrolled: 1-line block ×4, first 2 shown]
	s_add_u32 s7, s8, s20
	s_addc_u32 s8, s9, s21
	s_add_u32 s7, s7, s10
	s_addc_u32 s8, s8, s11
	v_add_co_u32 v1, vcc_lo, s7, v1
	v_add_co_ci_u32_e32 v2, vcc_lo, s8, v2, vcc_lo
	v_add_co_u32 v3, vcc_lo, s7, v3
	v_add_co_ci_u32_e32 v4, vcc_lo, s8, v4, vcc_lo
	;; [unrolled: 2-line block ×6, first 2 shown]
	s_clause 0x5
	global_load_b32 v23, v[1:2], off
	global_load_b32 v3, v[3:4], off
	;; [unrolled: 1-line block ×6, first 2 shown]
	v_add_co_u32 v1, vcc_lo, s7, v13
	v_add_co_ci_u32_e32 v2, vcc_lo, s8, v14, vcc_lo
	v_mbcnt_lo_u32_b32 v9, -1, 0
	global_load_b32 v8, v[1:2], off
	v_add_co_u32 v1, vcc_lo, s7, v15
	v_add_co_ci_u32_e32 v2, vcc_lo, s8, v16, vcc_lo
	v_xor_b32_e32 v11, 16, v9
	v_xor_b32_e32 v13, 8, v9
	;; [unrolled: 1-line block ×3, first 2 shown]
	global_load_b32 v12, v[1:2], off
	v_add_co_u32 v1, vcc_lo, s7, v17
	v_add_co_ci_u32_e32 v2, vcc_lo, s8, v18, vcc_lo
	v_cmp_gt_i32_e32 vcc_lo, 32, v11
	v_xor_b32_e32 v15, 2, v9
	v_xor_b32_e32 v16, 1, v9
	global_load_b32 v1, v[1:2], off
	s_mov_b32 s7, exec_lo
	v_cndmask_b32_e32 v11, v9, v11, vcc_lo
	v_cmp_gt_i32_e32 vcc_lo, 32, v13
	s_delay_alu instid0(VALU_DEP_2) | instskip(SKIP_1) | instid1(VALU_DEP_2)
	v_dual_cndmask_b32 v13, v9, v13 :: v_dual_lshlrev_b32 v2, 2, v11
	v_cmp_gt_i32_e32 vcc_lo, 32, v14
	v_dual_cndmask_b32 v14, v9, v14 :: v_dual_lshlrev_b32 v13, 2, v13
	v_cmp_gt_i32_e32 vcc_lo, 32, v15
	s_delay_alu instid0(VALU_DEP_2) | instskip(SKIP_1) | instid1(VALU_DEP_2)
	v_dual_cndmask_b32 v15, v9, v15 :: v_dual_lshlrev_b32 v14, 2, v14
	v_cmp_gt_i32_e32 vcc_lo, 32, v16
	v_lshlrev_b32_e32 v15, 2, v15
	v_cndmask_b32_e32 v9, v9, v16, vcc_lo
	s_delay_alu instid0(VALU_DEP_1) | instskip(SKIP_3) | instid1(VALU_DEP_1)
	v_lshlrev_b32_e32 v9, 2, v9
	s_waitcnt vmcnt(15)
	v_max3_f32 v10, v28, v29, v30
	s_waitcnt vmcnt(13)
	v_max3_f32 v10, v10, v31, v27
	s_waitcnt vmcnt(11)
	s_delay_alu instid0(VALU_DEP_1) | instskip(SKIP_1) | instid1(VALU_DEP_1)
	v_max3_f32 v10, v10, v19, v20
	s_waitcnt vmcnt(9)
	v_max3_f32 v10, v10, v21, v22
	ds_bpermute_b32 v11, v2, v10
	s_waitcnt lgkmcnt(0)
	v_max_f32_e32 v11, v11, v11
	s_delay_alu instid0(VALU_DEP_1) | instskip(SKIP_3) | instid1(VALU_DEP_1)
	v_max_f32_e32 v10, v10, v11
	ds_bpermute_b32 v11, v13, v10
	s_waitcnt lgkmcnt(0)
	v_max_f32_e32 v11, v11, v11
	v_max_f32_e32 v10, v10, v11
	ds_bpermute_b32 v11, v14, v10
	s_waitcnt lgkmcnt(0)
	v_max_f32_e32 v11, v11, v11
	s_delay_alu instid0(VALU_DEP_1) | instskip(SKIP_3) | instid1(VALU_DEP_1)
	v_max_f32_e32 v10, v10, v11
	ds_bpermute_b32 v11, v15, v10
	s_waitcnt lgkmcnt(0)
	v_max_f32_e32 v11, v11, v11
	v_max_f32_e32 v10, v10, v11
	ds_bpermute_b32 v11, v9, v10
	s_waitcnt lgkmcnt(0)
	v_max_f32_e32 v11, v11, v11
	s_delay_alu instid0(VALU_DEP_1) | instskip(SKIP_1) | instid1(VALU_DEP_2)
	v_max_f32_e32 v10, v10, v11
	v_sub_nc_u32_e32 v11, s40, v0
	v_sub_f32_e32 v24, v31, v10
	v_sub_f32_e32 v16, v28, v10
	;; [unrolled: 1-line block ×5, first 2 shown]
	v_mul_f32_e32 v28, 0x3fb8aa3b, v24
	v_cmp_ngt_f32_e32 vcc_lo, 0xc2ce8ed0, v16
	v_mul_f32_e32 v26, 0x3fb8aa3b, v17
	s_delay_alu instid0(VALU_DEP_3)
	v_fma_f32 v40, 0x3fb8aa3b, v24, -v28
	v_sub_f32_e32 v25, v27, v10
	v_rndne_f32_e32 v41, v28
	v_sub_f32_e32 v19, v19, v10
	v_fma_f32 v36, 0x3fb8aa3b, v17, -v26
	v_fmac_f32_e32 v40, 0x32a5705f, v24
	v_mul_f32_e32 v29, 0x3fb8aa3b, v25
	v_sub_f32_e32 v28, v28, v41
	v_mul_f32_e32 v30, 0x3fb8aa3b, v19
	v_rndne_f32_e32 v37, v26
	v_cvt_i32_f32_e32 v41, v41
	v_fma_f32 v42, 0x3fb8aa3b, v25, -v29
	v_sub_f32_e32 v21, v21, v10
	v_sub_f32_e32 v10, v22, v10
	v_mul_f32_e32 v22, 0x3fb8aa3b, v16
	v_rndne_f32_e32 v45, v30
	v_fmac_f32_e32 v42, 0x32a5705f, v25
	v_dual_mul_f32 v27, 0x3fb8aa3b, v18 :: v_dual_mul_f32 v32, 0x3fb8aa3b, v21
	s_delay_alu instid0(VALU_DEP_4)
	v_fma_f32 v34, 0x3fb8aa3b, v16, -v22
	v_rndne_f32_e32 v35, v22
	v_fma_f32 v44, 0x3fb8aa3b, v19, -v30
	v_sub_f32_e32 v30, v30, v45
	v_fma_f32 v38, 0x3fb8aa3b, v18, -v27
	v_rndne_f32_e32 v39, v27
	v_fmac_f32_e32 v34, 0x32a5705f, v16
	v_sub_f32_e32 v22, v22, v35
	v_rndne_f32_e32 v49, v32
	v_dual_mul_f32 v31, 0x3fb8aa3b, v20 :: v_dual_sub_f32 v26, v26, v37
	v_fmac_f32_e32 v36, 0x32a5705f, v17
	v_dual_fmac_f32 v38, 0x32a5705f, v18 :: v_dual_sub_f32 v27, v27, v39
	v_add_f32_e32 v22, v22, v34
	v_rndne_f32_e32 v43, v29
	s_delay_alu instid0(VALU_DEP_4)
	v_dual_mul_f32 v33, 0x3fb8aa3b, v10 :: v_dual_add_f32 v26, v26, v36
	v_fma_f32 v48, 0x3fb8aa3b, v21, -v32
	v_dual_fmac_f32 v44, 0x32a5705f, v19 :: v_dual_add_f32 v27, v27, v38
	v_sub_f32_e32 v32, v32, v49
	v_fma_f32 v46, 0x3fb8aa3b, v20, -v31
	v_sub_f32_e32 v29, v29, v43
	v_exp_f32_e32 v22, v22
	v_rndne_f32_e32 v47, v31
	v_cvt_i32_f32_e32 v35, v35
	v_fmac_f32_e32 v46, 0x32a5705f, v20
	v_dual_add_f32 v28, v28, v40 :: v_dual_add_f32 v29, v29, v42
	v_exp_f32_e32 v26, v26
	v_exp_f32_e32 v27, v27
	v_cvt_i32_f32_e32 v37, v37
	v_cvt_i32_f32_e32 v39, v39
	v_dual_sub_f32 v31, v31, v47 :: v_dual_fmac_f32 v48, 0x32a5705f, v21
	v_exp_f32_e32 v29, v29
	v_ldexp_f32 v22, v22, v35
	v_cvt_i32_f32_e32 v43, v43
	s_delay_alu instid0(VALU_DEP_3)
	v_dual_add_f32 v30, v30, v44 :: v_dual_add_f32 v31, v31, v46
	v_exp_f32_e32 v28, v28
	v_ldexp_f32 v26, v26, v37
	v_ldexp_f32 v27, v27, v39
	v_cndmask_b32_e32 v22, 0, v22, vcc_lo
	v_cmp_ngt_f32_e32 vcc_lo, 0xc2ce8ed0, v17
	v_exp_f32_e32 v31, v31
	v_ldexp_f32 v29, v29, v43
	v_exp_f32_e32 v30, v30
	v_cvt_i32_f32_e32 v34, v47
	v_cndmask_b32_e32 v26, 0, v26, vcc_lo
	v_cmp_ngt_f32_e32 vcc_lo, 0xc2ce8ed0, v18
	v_ldexp_f32 v28, v28, v41
	v_cvt_i32_f32_e32 v45, v45
	v_fma_f32 v50, 0x3fb8aa3b, v10, -v33
	v_rndne_f32_e32 v51, v33
	v_cndmask_b32_e32 v27, 0, v27, vcc_lo
	v_cmp_ngt_f32_e32 vcc_lo, 0xc2ce8ed0, v24
	v_ldexp_f32 v31, v31, v34
	v_ldexp_f32 v30, v30, v45
	v_dual_fmac_f32 v50, 0x32a5705f, v10 :: v_dual_sub_f32 v33, v33, v51
	v_cndmask_b32_e32 v28, 0, v28, vcc_lo
	v_cmp_ngt_f32_e32 vcc_lo, 0xc2ce8ed0, v25
	s_delay_alu instid0(VALU_DEP_3) | instskip(SKIP_2) | instid1(VALU_DEP_3)
	v_dual_add_f32 v32, v32, v48 :: v_dual_add_f32 v33, v33, v50
	v_cndmask_b32_e32 v29, 0, v29, vcc_lo
	v_cmp_ngt_f32_e32 vcc_lo, 0xc2ce8ed0, v19
	v_exp_f32_e32 v32, v32
	v_cndmask_b32_e32 v30, 0, v30, vcc_lo
	v_cmp_ngt_f32_e32 vcc_lo, 0xc2ce8ed0, v20
	v_cndmask_b32_e32 v31, 0, v31, vcc_lo
	v_cmp_nlt_f32_e32 vcc_lo, 0x42b17218, v16
	v_cndmask_b32_e32 v16, 0x7f800000, v22, vcc_lo
	v_cmp_nlt_f32_e32 vcc_lo, 0x42b17218, v17
	;; [unrolled: 2-line block ×6, first 2 shown]
	v_cndmask_b32_e32 v19, 0x7f800000, v30, vcc_lo
	v_cmp_lt_i32_e32 vcc_lo, 0, v11
	v_cndmask_b32_e32 v16, 0, v16, vcc_lo
	v_cmp_lt_i32_e32 vcc_lo, 32, v11
	s_waitcnt vmcnt(8)
	s_delay_alu instid0(VALU_DEP_2) | instskip(SKIP_2) | instid1(VALU_DEP_2)
	v_dual_mul_f32 v16, v23, v16 :: v_dual_cndmask_b32 v17, 0, v17
	v_cmp_lt_i32_e32 vcc_lo, 64, v11
	s_waitcnt vmcnt(7)
	v_mul_f32_e32 v3, v3, v17
	v_cvt_i32_f32_e32 v17, v49
	s_delay_alu instid0(VALU_DEP_1) | instskip(SKIP_3) | instid1(VALU_DEP_2)
	v_ldexp_f32 v17, v32, v17
	v_cndmask_b32_e32 v18, 0, v18, vcc_lo
	v_cmp_lt_i32_e32 vcc_lo, 0x60, v11
	s_waitcnt vmcnt(6)
	v_mul_f32_e32 v4, v4, v18
	v_cndmask_b32_e32 v22, 0, v22, vcc_lo
	v_cmp_lt_i32_e32 vcc_lo, 0x80, v11
	s_waitcnt vmcnt(5)
	s_delay_alu instid0(VALU_DEP_2) | instskip(SKIP_3) | instid1(VALU_DEP_3)
	v_dual_mul_f32 v5, v5, v22 :: v_dual_cndmask_b32 v24, 0, v24
	v_cmp_lt_i32_e32 vcc_lo, 0xa0, v11
	v_cvt_i32_f32_e32 v22, v51
	s_waitcnt vmcnt(4)
	v_dual_mul_f32 v6, v6, v24 :: v_dual_cndmask_b32 v19, 0, v19
	v_cmp_nlt_f32_e32 vcc_lo, 0x42b17218, v20
	s_waitcnt vmcnt(3)
	s_delay_alu instid0(VALU_DEP_2) | instskip(SKIP_3) | instid1(VALU_DEP_2)
	v_mul_f32_e32 v7, v7, v19
	v_cndmask_b32_e32 v18, 0x7f800000, v31, vcc_lo
	v_cmp_lt_i32_e32 vcc_lo, 0xc0, v11
	v_exp_f32_e32 v19, v33
	v_cndmask_b32_e32 v18, 0, v18, vcc_lo
	v_cmp_ngt_f32_e32 vcc_lo, 0xc2ce8ed0, v21
	s_waitcnt vmcnt(2)
	s_delay_alu instid0(VALU_DEP_2)
	v_dual_mul_f32 v8, v8, v18 :: v_dual_cndmask_b32 v17, 0, v17
	v_cmp_nlt_f32_e32 vcc_lo, 0x42b17218, v21
	s_waitcnt_depctr 0xfff
	v_ldexp_f32 v18, v19, v22
	v_dual_add_f32 v20, v16, v3 :: v_dual_cndmask_b32 v17, 0x7f800000, v17
	v_cmp_ngt_f32_e32 vcc_lo, 0xc2ce8ed0, v10
	s_delay_alu instid0(VALU_DEP_3) | instskip(SKIP_1) | instid1(VALU_DEP_4)
	v_cndmask_b32_e32 v18, 0, v18, vcc_lo
	v_cmp_lt_i32_e32 vcc_lo, 0xe0, v11
	v_cndmask_b32_e32 v17, 0, v17, vcc_lo
	v_cmp_nlt_f32_e32 vcc_lo, 0x42b17218, v10
	s_waitcnt vmcnt(1)
	s_delay_alu instid0(VALU_DEP_2) | instskip(SKIP_2) | instid1(VALU_DEP_2)
	v_mul_f32_e32 v12, v12, v17
	v_cndmask_b32_e32 v10, 0x7f800000, v18, vcc_lo
	v_cmp_lt_i32_e32 vcc_lo, 0x100, v11
	v_cndmask_b32_e32 v10, 0, v10, vcc_lo
	s_waitcnt vmcnt(0)
	s_delay_alu instid0(VALU_DEP_1) | instskip(SKIP_1) | instid1(VALU_DEP_1)
	v_mul_f32_e32 v10, v1, v10
	v_add_f32_e32 v20, v20, v4
	v_add_f32_e32 v19, v20, v5
	s_delay_alu instid0(VALU_DEP_1) | instskip(NEXT) | instid1(VALU_DEP_1)
	v_add_f32_e32 v19, v19, v6
	v_add_f32_e32 v18, v19, v7
	s_delay_alu instid0(VALU_DEP_1) | instskip(NEXT) | instid1(VALU_DEP_1)
	v_add_f32_e32 v11, v18, v8
	v_add_f32_e32 v1, v11, v12
	s_delay_alu instid0(VALU_DEP_1)
	v_add_f32_e32 v1, v1, v10
	ds_bpermute_b32 v2, v2, v1
	s_waitcnt lgkmcnt(0)
	v_add_f32_e32 v1, v1, v2
	ds_bpermute_b32 v2, v13, v1
	s_waitcnt lgkmcnt(0)
	;; [unrolled: 3-line block ×4, first 2 shown]
	v_add_f32_e32 v1, v1, v2
	ds_bpermute_b32 v2, v9, v1
	v_lshlrev_b32_e32 v9, 2, v0
	ds_store_2addr_b32 v9, v16, v3 offset1:32
	ds_store_2addr_b32 v9, v4, v5 offset0:64 offset1:96
	ds_store_2addr_b32 v9, v6, v7 offset0:128 offset1:160
	ds_store_2addr_b32 v9, v8, v12 offset0:192 offset1:224
	ds_store_b32 v9, v10 offset:1024
	v_cmpx_eq_u32_e32 0, v0
	s_cbranch_execz .LBB30_8
; %bb.7:
	s_waitcnt lgkmcnt(5)
	v_dual_add_f32 v1, v1, v2 :: v_dual_mov_b32 v2, 0
	ds_store_b32 v2, v1 offset:1152
.LBB30_8:
	s_or_b32 exec_lo, exec_lo, s7
	v_mov_b32_e32 v1, s6
.LBB30_9:
	s_or_b32 exec_lo, exec_lo, s24
	s_lshl_b32 s6, s18, 6
	s_mov_b32 s7, 0
	s_waitcnt lgkmcnt(5)
	v_dual_mov_b32 v2, 0 :: v_dual_lshlrev_b32 v1, 6, v1
	s_lshl_b64 s[6:7], s[6:7], 1
	v_dual_mov_b32 v29, 0 :: v_dual_mov_b32 v30, 0
	s_add_u32 s34, s4, s6
	s_addc_u32 s35, s5, s7
	s_lshl_b32 s41, s40, 6
	v_lshlrev_b64 v[3:4], 1, v[1:2]
	s_sub_i32 s42, s41, 64
	s_cmpk_lt_i32 s22, 0x100
	v_lshlrev_b32_e32 v1, 1, v0
	s_cselect_b32 s4, s42, 0
	v_dual_mov_b32 v31, 0 :: v_dual_mov_b32 v32, 0
	s_ashr_i32 s5, s4, 31
	v_add_co_u32 v3, vcc_lo, s34, v3
	s_lshl_b64 s[4:5], s[4:5], 1
	s_cmpk_lt_i32 s22, 0x200
	v_add_co_ci_u32_e32 v4, vcc_lo, s35, v4, vcc_lo
	s_cselect_b32 s6, s42, 64
	v_add_co_u32 v1, vcc_lo, v3, v1
	s_ashr_i32 s7, s6, 31
	s_delay_alu instid0(VALU_DEP_2)
	v_add_co_ci_u32_e32 v3, vcc_lo, 0, v4, vcc_lo
	s_lshl_b64 s[6:7], s[6:7], 1
	s_cmpk_lt_i32 s22, 0x300
	v_add_co_u32 v4, vcc_lo, v1, s4
	s_cselect_b32 s8, s42, 0x80
	v_add_co_ci_u32_e32 v5, vcc_lo, s5, v3, vcc_lo
	s_ashr_i32 s9, s8, 31
	v_add_co_u32 v8, vcc_lo, v1, s6
	s_lshl_b64 s[8:9], s[8:9], 1
	s_cmpk_lt_i32 s22, 0x400
	v_add_co_ci_u32_e32 v9, vcc_lo, s7, v3, vcc_lo
	s_cselect_b32 s10, s42, 0xc0
	v_add_co_u32 v10, vcc_lo, v1, s8
	s_ashr_i32 s11, s10, 31
	v_add_co_ci_u32_e32 v11, vcc_lo, s9, v3, vcc_lo
	s_lshl_b64 s[10:11], s[10:11], 1
	s_cmpk_lt_i32 s22, 0x500
	v_add_co_u32 v12, vcc_lo, v1, s10
	s_cselect_b32 s18, s42, 0x100
	v_add_co_ci_u32_e32 v13, vcc_lo, s11, v3, vcc_lo
	s_ashr_i32 s19, s18, 31
	v_dual_mov_b32 v33, 0 :: v_dual_mov_b32 v34, 0
	s_lshl_b64 s[18:19], s[18:19], 1
	s_cmpk_lt_i32 s22, 0x600
	v_add_co_u32 v14, vcc_lo, v1, s18
	s_cselect_b32 s20, s42, 0x140
	v_add_co_ci_u32_e32 v15, vcc_lo, s19, v3, vcc_lo
	s_ashr_i32 s21, s20, 31
	v_mov_b32_e32 v35, 0
	s_lshl_b64 s[20:21], s[20:21], 1
	s_cmpk_lt_i32 s22, 0x700
	v_add_co_u32 v16, vcc_lo, v1, s20
	s_cselect_b32 s24, s42, 0x180
	v_add_co_ci_u32_e32 v17, vcc_lo, s21, v3, vcc_lo
	s_ashr_i32 s25, s24, 31
	s_delay_alu instid0(SALU_CYCLE_1)
	s_lshl_b64 s[24:25], s[24:25], 1
	s_cmpk_lt_i32 s22, 0x800
	v_add_co_u32 v18, vcc_lo, v1, s24
	s_cselect_b32 s26, s42, 0x1c0
	v_add_co_ci_u32_e32 v19, vcc_lo, s25, v3, vcc_lo
	s_ashr_i32 s27, s26, 31
	s_delay_alu instid0(SALU_CYCLE_1)
	s_lshl_b64 s[26:27], s[26:27], 1
	s_cmpk_lt_i32 s22, 0x900
	v_add_co_u32 v20, vcc_lo, v1, s26
	s_cselect_b32 s28, s42, 0x200
	v_add_co_ci_u32_e32 v21, vcc_lo, s27, v3, vcc_lo
	s_ashr_i32 s29, s28, 31
	s_clause 0x7
	global_load_u16 v7, v[4:5], off
	global_load_u16 v8, v[8:9], off
	;; [unrolled: 1-line block ×8, first 2 shown]
	s_lshl_b64 s[28:29], s[28:29], 1
	s_cmpk_lt_i32 s22, 0xa00
	v_add_co_u32 v12, vcc_lo, v1, s28
	s_cselect_b32 s30, s42, 0x240
	v_add_co_ci_u32_e32 v13, vcc_lo, s29, v3, vcc_lo
	s_ashr_i32 s31, s30, 31
	s_delay_alu instid0(SALU_CYCLE_1)
	s_lshl_b64 s[30:31], s[30:31], 1
	s_cmpk_lt_i32 s22, 0xb00
	v_add_co_u32 v15, vcc_lo, v1, s30
	s_cselect_b32 s34, s42, 0x280
	v_add_co_ci_u32_e32 v16, vcc_lo, s31, v3, vcc_lo
	s_ashr_i32 s35, s34, 31
	s_delay_alu instid0(SALU_CYCLE_1)
	;; [unrolled: 7-line block ×7, first 2 shown]
	s_lshl_b64 s[4:5], s[6:7], 1
	s_cmpk_gt_i32 s23, 0x1000
	v_add_co_u32 v27, vcc_lo, v1, s4
	v_add_co_ci_u32_e32 v28, vcc_lo, s5, v3, vcc_lo
	s_clause 0x7
	global_load_u16 v14, v[12:13], off
	global_load_u16 v15, v[15:16], off
	;; [unrolled: 1-line block ×8, first 2 shown]
	v_dual_mov_b32 v20, 0 :: v_dual_mov_b32 v21, 0
	v_dual_mov_b32 v22, 0 :: v_dual_mov_b32 v23, 0
	;; [unrolled: 1-line block ×4, first 2 shown]
	v_mov_b32_e32 v28, 0
	s_cselect_b32 s8, -1, 0
	s_cmpk_lt_i32 s23, 0x1001
	s_waitcnt vmcnt(0) lgkmcnt(0)
	s_barrier
	buffer_gl0_inv
	s_cbranch_scc1 .LBB30_11
; %bb.10:
	s_cmpk_lt_i32 s22, 0x1100
	s_cselect_b32 s4, s42, 0x400
	s_delay_alu instid0(SALU_CYCLE_1) | instskip(NEXT) | instid1(SALU_CYCLE_1)
	s_ashr_i32 s5, s4, 31
	s_lshl_b64 s[4:5], s[4:5], 1
	s_cmpk_lt_i32 s22, 0x1200
	v_add_co_u32 v20, vcc_lo, v1, s4
	s_cselect_b32 s6, s42, 0x440
	v_add_co_ci_u32_e32 v21, vcc_lo, s5, v3, vcc_lo
	s_ashr_i32 s7, s6, 31
	s_delay_alu instid0(SALU_CYCLE_1)
	s_lshl_b64 s[6:7], s[6:7], 1
	s_cmpk_lt_i32 s22, 0x1300
	v_add_co_u32 v22, vcc_lo, v1, s6
	s_cselect_b32 s10, s42, 0x480
	v_add_co_ci_u32_e32 v23, vcc_lo, s7, v3, vcc_lo
	s_ashr_i32 s11, s10, 31
	s_delay_alu instid0(SALU_CYCLE_1)
	;; [unrolled: 7-line block ×7, first 2 shown]
	s_lshl_b64 s[28:29], s[28:29], 1
	s_cmpk_lt_i32 s22, 0x1900
	v_add_co_u32 v34, vcc_lo, v1, s28
	s_cselect_b32 s30, s42, 0x600
	v_add_co_ci_u32_e32 v35, vcc_lo, s29, v3, vcc_lo
	s_ashr_i32 s31, s30, 31
	s_clause 0x7
	global_load_u16 v36, v[20:21], off
	global_load_u16 v37, v[22:23], off
	;; [unrolled: 1-line block ×8, first 2 shown]
	s_lshl_b64 s[30:31], s[30:31], 1
	s_cmpk_lt_i32 s22, 0x1a00
	v_add_co_u32 v20, vcc_lo, v1, s30
	s_cselect_b32 s34, s42, 0x640
	v_add_co_ci_u32_e32 v21, vcc_lo, s31, v3, vcc_lo
	s_ashr_i32 s35, s34, 31
	s_delay_alu instid0(SALU_CYCLE_1)
	s_lshl_b64 s[34:35], s[34:35], 1
	s_cmpk_lt_i32 s22, 0x1b00
	v_add_co_u32 v22, vcc_lo, v1, s34
	s_cselect_b32 s36, s42, 0x680
	v_add_co_ci_u32_e32 v23, vcc_lo, s35, v3, vcc_lo
	s_ashr_i32 s37, s36, 31
	s_delay_alu instid0(SALU_CYCLE_1)
	;; [unrolled: 7-line block ×6, first 2 shown]
	s_lshl_b64 s[4:5], s[20:21], 1
	s_cmpk_lt_i32 s22, 0x2000
	v_add_co_u32 v32, vcc_lo, v1, s4
	s_cselect_b32 s6, s42, 0x7c0
	v_add_co_ci_u32_e32 v33, vcc_lo, s5, v3, vcc_lo
	s_ashr_i32 s7, s6, 31
	s_delay_alu instid0(SALU_CYCLE_1) | instskip(NEXT) | instid1(SALU_CYCLE_1)
	s_lshl_b64 s[4:5], s[6:7], 1
	v_add_co_u32 v34, vcc_lo, v1, s4
	v_add_co_ci_u32_e32 v35, vcc_lo, s5, v3, vcc_lo
	s_clause 0x7
	global_load_u16 v20, v[20:21], off
	global_load_u16 v21, v[22:23], off
	;; [unrolled: 1-line block ×8, first 2 shown]
	s_waitcnt vmcnt(15)
	v_cvt_f32_f16_e32 v35, v36
	s_waitcnt vmcnt(14)
	v_cvt_f32_f16_e32 v34, v37
	;; [unrolled: 2-line block ×16, first 2 shown]
.LBB30_11:
	ds_load_b128 v[36:39], v2
	ds_load_b128 v[40:43], v2 offset:16
	s_load_b64 s[0:1], s[0:1], 0x0
	s_and_b32 vcc_lo, exec_lo, s8
	s_waitcnt lgkmcnt(0)
	v_fma_mix_f32 v7, v36, v7, 0 op_sel_hi:[0,1,0]
	s_delay_alu instid0(VALU_DEP_1) | instskip(NEXT) | instid1(VALU_DEP_1)
	v_fma_mix_f32 v7, v37, v8, v7 op_sel_hi:[0,1,0]
	v_fma_mix_f32 v7, v38, v9, v7 op_sel_hi:[0,1,0]
	s_delay_alu instid0(VALU_DEP_1) | instskip(SKIP_4) | instid1(VALU_DEP_1)
	v_fma_mix_f32 v7, v39, v10, v7 op_sel_hi:[0,1,0]
	ds_load_b128 v[36:39], v2 offset:48
	v_fma_mix_f32 v11, v40, v11, v7 op_sel_hi:[0,1,0]
	ds_load_b128 v[7:10], v2 offset:32
	v_fma_mix_f32 v4, v41, v4, v11 op_sel_hi:[0,1,0]
	v_fma_mix_f32 v4, v42, v5, v4 op_sel_hi:[0,1,0]
	s_delay_alu instid0(VALU_DEP_1) | instskip(SKIP_1) | instid1(VALU_DEP_1)
	v_fma_mix_f32 v4, v43, v6, v4 op_sel_hi:[0,1,0]
	s_waitcnt lgkmcnt(0)
	v_fma_mix_f32 v4, v7, v14, v4 op_sel_hi:[0,1,0]
	s_delay_alu instid0(VALU_DEP_1) | instskip(NEXT) | instid1(VALU_DEP_1)
	v_fma_mix_f32 v4, v8, v15, v4 op_sel_hi:[0,1,0]
	v_fma_mix_f32 v4, v9, v16, v4 op_sel_hi:[0,1,0]
	s_delay_alu instid0(VALU_DEP_1) | instskip(NEXT) | instid1(VALU_DEP_1)
	v_fma_mix_f32 v4, v10, v17, v4 op_sel_hi:[0,1,0]
	v_fma_mix_f32 v4, v36, v18, v4 op_sel_hi:[0,1,0]
	s_delay_alu instid0(VALU_DEP_1) | instskip(NEXT) | instid1(VALU_DEP_1)
	v_fma_mix_f32 v4, v37, v12, v4 op_sel_hi:[0,1,0]
	v_fma_mix_f32 v4, v38, v13, v4 op_sel_hi:[0,1,0]
	s_delay_alu instid0(VALU_DEP_1)
	v_fma_mix_f32 v4, v39, v19, v4 op_sel_hi:[0,1,0]
	s_cbranch_vccz .LBB30_13
; %bb.12:
	ds_load_b128 v[5:8], v2 offset:64
	ds_load_b128 v[9:12], v2 offset:80
	s_waitcnt lgkmcnt(1)
	v_fmac_f32_e32 v4, v5, v35
	s_delay_alu instid0(VALU_DEP_1) | instskip(NEXT) | instid1(VALU_DEP_1)
	v_fmac_f32_e32 v4, v6, v34
	v_fmac_f32_e32 v4, v7, v33
	s_delay_alu instid0(VALU_DEP_1) | instskip(SKIP_3) | instid1(VALU_DEP_1)
	v_fmac_f32_e32 v4, v8, v32
	ds_load_b128 v[5:8], v2 offset:96
	s_waitcnt lgkmcnt(1)
	v_fmac_f32_e32 v4, v9, v31
	v_fmac_f32_e32 v4, v10, v30
	s_delay_alu instid0(VALU_DEP_1) | instskip(NEXT) | instid1(VALU_DEP_1)
	v_fmac_f32_e32 v4, v11, v29
	v_fmac_f32_e32 v4, v12, v28
	ds_load_b128 v[9:12], v2 offset:112
	s_waitcnt lgkmcnt(1)
	v_fmac_f32_e32 v4, v5, v27
	s_delay_alu instid0(VALU_DEP_1) | instskip(NEXT) | instid1(VALU_DEP_1)
	v_fmac_f32_e32 v4, v6, v26
	v_fmac_f32_e32 v4, v7, v25
	s_delay_alu instid0(VALU_DEP_1) | instskip(SKIP_1) | instid1(VALU_DEP_1)
	v_fmac_f32_e32 v4, v8, v24
	s_waitcnt lgkmcnt(0)
	v_fmac_f32_e32 v4, v9, v23
	s_delay_alu instid0(VALU_DEP_1) | instskip(NEXT) | instid1(VALU_DEP_1)
	v_fmac_f32_e32 v4, v10, v22
	v_fmac_f32_e32 v4, v11, v21
	s_delay_alu instid0(VALU_DEP_1)
	v_fmac_f32_e32 v4, v12, v20
.LBB30_13:
	s_movk_i32 s43, 0xfc0
	s_movk_i32 s44, 0x80
	s_mov_b32 s45, 32
	s_branch .LBB30_15
.LBB30_14:                              ;   in Loop: Header=BB30_15 Depth=1
	s_addk_i32 s43, 0x800
	s_addk_i32 s44, 0x80
	s_add_i32 s45, s45, 32
	s_cmpk_eq_i32 s43, 0x4fc0
	s_cbranch_scc1 .LBB30_17
.LBB30_15:                              ; =>This Inner Loop Header: Depth=1
	s_cmp_le_i32 s40, s45
	s_cbranch_scc1 .LBB30_14
; %bb.16:                               ;   in Loop: Header=BB30_15 Depth=1
	s_add_i32 s4, s43, 0xfffff840
	v_mov_b32_e32 v44, s44
	s_cmp_lt_i32 s4, s41
	s_cselect_b32 s4, s4, s42
	s_add_i32 s6, s43, 0xfffff880
	s_ashr_i32 s5, s4, 31
	s_delay_alu instid0(SALU_CYCLE_1)
	s_lshl_b64 s[4:5], s[4:5], 1
	s_cmp_lt_i32 s6, s41
	v_add_co_u32 v5, vcc_lo, v1, s4
	s_cselect_b32 s6, s6, s42
	s_add_i32 s10, s43, 0xfffff8c0
	s_ashr_i32 s7, s6, 31
	v_add_co_ci_u32_e32 v6, vcc_lo, s5, v3, vcc_lo
	s_lshl_b64 s[8:9], s[6:7], 1
	s_cmp_lt_i32 s10, s41
	v_add_co_u32 v7, vcc_lo, v1, s8
	s_cselect_b32 s6, s10, s42
	s_add_i32 s10, s43, 0xfffff900
	s_ashr_i32 s7, s6, 31
	v_add_co_ci_u32_e32 v8, vcc_lo, s9, v3, vcc_lo
	;; [unrolled: 7-line block ×8, first 2 shown]
	s_lshl_b64 s[24:25], s[20:21], 1
	s_cmp_lt_i32 s28, s41
	s_clause 0x7
	global_load_u16 v2, v[5:6], off
	global_load_u16 v21, v[7:8], off
	global_load_u16 v22, v[9:10], off
	global_load_u16 v23, v[11:12], off
	global_load_u16 v24, v[13:14], off
	global_load_u16 v25, v[15:16], off
	global_load_u16 v26, v[17:18], off
	global_load_u16 v27, v[19:20], off
	s_cselect_b32 s20, s28, s42
	s_add_i32 s28, s43, 0xfffffac0
	s_ashr_i32 s21, s20, 31
	v_add_co_u32 v5, vcc_lo, v1, s24
	s_lshl_b64 s[20:21], s[20:21], 1
	s_cmp_lt_i32 s28, s41
	v_add_co_ci_u32_e32 v6, vcc_lo, s25, v3, vcc_lo
	s_cselect_b32 s28, s28, s42
	s_add_i32 s36, s43, 0xfffffb00
	s_ashr_i32 s29, s28, 31
	v_add_co_u32 v7, vcc_lo, v1, s20
	s_lshl_b64 s[30:31], s[28:29], 1
	s_cmp_lt_i32 s36, s41
	v_add_co_ci_u32_e32 v8, vcc_lo, s21, v3, vcc_lo
	;; [unrolled: 7-line block ×8, first 2 shown]
	s_cselect_b32 s10, s10, s42
	s_add_i32 s18, s43, 0xfffffcc0
	s_ashr_i32 s11, s10, 31
	s_clause 0x7
	global_load_u16 v28, v[5:6], off
	global_load_u16 v29, v[7:8], off
	;; [unrolled: 1-line block ×8, first 2 shown]
	s_lshl_b64 s[10:11], s[10:11], 1
	s_cmp_lt_i32 s18, s41
	v_add_co_u32 v5, vcc_lo, v1, s4
	s_cselect_b32 s18, s18, s42
	s_add_i32 s22, s43, 0xfffffd00
	s_ashr_i32 s19, s18, 31
	v_add_co_ci_u32_e32 v6, vcc_lo, s5, v3, vcc_lo
	s_lshl_b64 s[18:19], s[18:19], 1
	s_cmp_lt_i32 s22, s41
	v_add_co_u32 v7, vcc_lo, v1, s10
	s_cselect_b32 s20, s22, s42
	s_add_i32 s22, s43, 0xfffffd40
	s_ashr_i32 s21, s20, 31
	v_add_co_ci_u32_e32 v8, vcc_lo, s11, v3, vcc_lo
	;; [unrolled: 7-line block ×5, first 2 shown]
	s_lshl_b64 s[6:7], s[6:7], 1
	s_cmp_lt_i32 s24, s41
	s_clause 0x4
	global_load_u16 v19, v[5:6], off
	global_load_u16 v20, v[7:8], off
	;; [unrolled: 1-line block ×5, first 2 shown]
	s_cselect_b32 s4, s24, s42
	s_add_i32 s10, s43, 0xfffffe40
	s_ashr_i32 s5, s4, 31
	v_add_co_u32 v5, vcc_lo, v1, s8
	s_lshl_b64 s[4:5], s[4:5], 1
	s_cmp_lt_i32 s10, s41
	v_add_co_ci_u32_e32 v6, vcc_lo, s9, v3, vcc_lo
	s_cselect_b32 s10, s10, s42
	s_add_i32 s18, s43, 0xfffffe80
	s_ashr_i32 s11, s10, 31
	v_add_co_u32 v7, vcc_lo, v1, s6
	s_lshl_b64 s[10:11], s[10:11], 1
	s_cmp_lt_i32 s18, s41
	v_add_co_ci_u32_e32 v8, vcc_lo, s7, v3, vcc_lo
	s_cselect_b32 s18, s18, s42
	s_add_i32 s20, s43, 0xfffffec0
	s_ashr_i32 s19, s18, 31
	v_add_co_u32 v9, vcc_lo, v1, s4
	s_lshl_b64 s[18:19], s[18:19], 1
	s_cmp_lt_i32 s20, s41
	global_load_u16 v37, v[5:6], off
	s_cselect_b32 s8, s20, s42
	s_add_i32 s20, s43, 0xffffff00
	s_ashr_i32 s9, s8, 31
	v_add_co_ci_u32_e32 v10, vcc_lo, s5, v3, vcc_lo
	s_lshl_b64 s[6:7], s[8:9], 1
	s_cmp_lt_i32 s20, s41
	v_add_co_u32 v11, vcc_lo, v1, s10
	s_cselect_b32 s4, s20, s42
	s_clause 0x1
	global_load_u16 v38, v[7:8], off
	global_load_u16 v39, v[9:10], off
	v_add_co_ci_u32_e32 v12, vcc_lo, s11, v3, vcc_lo
	s_ashr_i32 s5, s4, 31
	s_add_i32 s8, s43, 0xffffff40
	v_add_co_u32 v13, vcc_lo, v1, s18
	s_lshl_b64 s[4:5], s[4:5], 1
	s_cmp_lt_i32 s8, s41
	v_add_co_ci_u32_e32 v14, vcc_lo, s19, v3, vcc_lo
	v_add_co_u32 v15, vcc_lo, v1, s6
	s_cselect_b32 s8, s8, s42
	v_add_co_ci_u32_e32 v16, vcc_lo, s7, v3, vcc_lo
	s_ashr_i32 s9, s8, 31
	s_add_i32 s10, s43, 0xffffff80
	s_lshl_b64 s[6:7], s[8:9], 1
	s_clause 0x2
	global_load_u16 v40, v[11:12], off
	global_load_u16 v13, v[13:14], off
	;; [unrolled: 1-line block ×3, first 2 shown]
	s_cmp_lt_i32 s10, s41
	v_add_co_u32 v5, vcc_lo, v1, s4
	s_cselect_b32 s8, s10, s42
	s_sub_i32 s10, s43, 64
	s_ashr_i32 s9, s8, 31
	v_add_co_ci_u32_e32 v6, vcc_lo, s5, v3, vcc_lo
	s_lshl_b64 s[8:9], s[8:9], 1
	s_cmp_lt_i32 s10, s41
	v_add_co_u32 v7, vcc_lo, v1, s6
	s_cselect_b32 s4, s10, s42
	v_add_co_ci_u32_e32 v8, vcc_lo, s7, v3, vcc_lo
	s_ashr_i32 s5, s4, 31
	v_add_co_u32 v9, vcc_lo, v1, s8
	global_load_u16 v15, v[5:6], off
	s_lshl_b64 s[4:5], s[4:5], 1
	v_add_co_ci_u32_e32 v10, vcc_lo, s9, v3, vcc_lo
	s_cmp_lt_i32 s43, s41
	s_clause 0x1
	global_load_u16 v16, v[7:8], off
	global_load_u16 v41, v[9:10], off
	s_cselect_b32 s6, s43, s42
	v_add_co_u32 v5, vcc_lo, v1, s4
	s_ashr_i32 s7, s6, 31
	v_add_co_ci_u32_e32 v6, vcc_lo, s5, v3, vcc_lo
	s_lshl_b64 s[4:5], s[6:7], 1
	s_delay_alu instid0(SALU_CYCLE_1)
	v_add_co_u32 v7, vcc_lo, v1, s4
	v_add_co_ci_u32_e32 v8, vcc_lo, s5, v3, vcc_lo
	s_clause 0x1
	global_load_u16 v42, v[5:6], off
	global_load_u16 v43, v[7:8], off
	ds_load_b128 v[5:8], v44
	ds_load_b128 v[9:12], v44 offset:16
	s_waitcnt vmcnt(31) lgkmcnt(1)
	v_fma_mix_f32 v2, v5, v2, v4 op_sel_hi:[0,1,0]
	s_waitcnt vmcnt(30)
	s_delay_alu instid0(VALU_DEP_1) | instskip(SKIP_1) | instid1(VALU_DEP_1)
	v_fma_mix_f32 v2, v6, v21, v2 op_sel_hi:[0,1,0]
	s_waitcnt vmcnt(29)
	v_fma_mix_f32 v2, v7, v22, v2 op_sel_hi:[0,1,0]
	ds_load_b128 v[4:7], v44 offset:32
	s_waitcnt vmcnt(28)
	v_fma_mix_f32 v2, v8, v23, v2 op_sel_hi:[0,1,0]
	s_waitcnt vmcnt(27) lgkmcnt(1)
	s_delay_alu instid0(VALU_DEP_1) | instskip(SKIP_1) | instid1(VALU_DEP_1)
	v_fma_mix_f32 v2, v9, v24, v2 op_sel_hi:[0,1,0]
	s_waitcnt vmcnt(26)
	v_fma_mix_f32 v2, v10, v25, v2 op_sel_hi:[0,1,0]
	s_waitcnt vmcnt(25)
	s_delay_alu instid0(VALU_DEP_1) | instskip(SKIP_4) | instid1(VALU_DEP_1)
	v_fma_mix_f32 v2, v11, v26, v2 op_sel_hi:[0,1,0]
	ds_load_b128 v[8:11], v44 offset:48
	s_waitcnt vmcnt(24)
	v_fma_mix_f32 v2, v12, v27, v2 op_sel_hi:[0,1,0]
	s_waitcnt vmcnt(23) lgkmcnt(1)
	v_fma_mix_f32 v2, v4, v28, v2 op_sel_hi:[0,1,0]
	s_waitcnt vmcnt(22)
	s_delay_alu instid0(VALU_DEP_1) | instskip(SKIP_1) | instid1(VALU_DEP_1)
	v_fma_mix_f32 v2, v5, v29, v2 op_sel_hi:[0,1,0]
	s_waitcnt vmcnt(21)
	v_fma_mix_f32 v2, v6, v30, v2 op_sel_hi:[0,1,0]
	s_waitcnt vmcnt(20)
	s_delay_alu instid0(VALU_DEP_1) | instskip(SKIP_4) | instid1(VALU_DEP_1)
	v_fma_mix_f32 v2, v7, v31, v2 op_sel_hi:[0,1,0]
	ds_load_b128 v[4:7], v44 offset:64
	s_waitcnt vmcnt(19) lgkmcnt(1)
	v_fma_mix_f32 v2, v8, v32, v2 op_sel_hi:[0,1,0]
	s_waitcnt vmcnt(18)
	v_fma_mix_f32 v2, v9, v33, v2 op_sel_hi:[0,1,0]
	s_waitcnt vmcnt(17)
	s_delay_alu instid0(VALU_DEP_1) | instskip(SKIP_1) | instid1(VALU_DEP_1)
	v_fma_mix_f32 v2, v10, v17, v2 op_sel_hi:[0,1,0]
	s_waitcnt vmcnt(16)
	v_fma_mix_f32 v2, v11, v18, v2 op_sel_hi:[0,1,0]
	ds_load_b128 v[8:11], v44 offset:80
	s_waitcnt vmcnt(15) lgkmcnt(1)
	v_fma_mix_f32 v2, v4, v19, v2 op_sel_hi:[0,1,0]
	s_waitcnt vmcnt(14)
	s_delay_alu instid0(VALU_DEP_1) | instskip(SKIP_1) | instid1(VALU_DEP_1)
	v_fma_mix_f32 v2, v5, v20, v2 op_sel_hi:[0,1,0]
	s_waitcnt vmcnt(13)
	v_fma_mix_f32 v2, v6, v34, v2 op_sel_hi:[0,1,0]
	s_waitcnt vmcnt(12)
	s_delay_alu instid0(VALU_DEP_1) | instskip(SKIP_4) | instid1(VALU_DEP_1)
	v_fma_mix_f32 v2, v7, v35, v2 op_sel_hi:[0,1,0]
	ds_load_b128 v[4:7], v44 offset:96
	s_waitcnt vmcnt(11) lgkmcnt(1)
	v_fma_mix_f32 v2, v8, v36, v2 op_sel_hi:[0,1,0]
	s_waitcnt vmcnt(10)
	v_fma_mix_f32 v2, v9, v37, v2 op_sel_hi:[0,1,0]
	s_waitcnt vmcnt(9)
	s_delay_alu instid0(VALU_DEP_1) | instskip(SKIP_1) | instid1(VALU_DEP_1)
	v_fma_mix_f32 v2, v10, v38, v2 op_sel_hi:[0,1,0]
	s_waitcnt vmcnt(8)
	v_fma_mix_f32 v2, v11, v39, v2 op_sel_hi:[0,1,0]
	ds_load_b128 v[8:11], v44 offset:112
	s_waitcnt vmcnt(7) lgkmcnt(1)
	v_fma_mix_f32 v2, v4, v40, v2 op_sel_hi:[0,1,0]
	s_waitcnt vmcnt(6)
	s_delay_alu instid0(VALU_DEP_1) | instskip(SKIP_1) | instid1(VALU_DEP_1)
	v_fma_mix_f32 v2, v5, v13, v2 op_sel_hi:[0,1,0]
	s_waitcnt vmcnt(5)
	v_fma_mix_f32 v2, v6, v14, v2 op_sel_hi:[0,1,0]
	s_waitcnt vmcnt(4)
	s_delay_alu instid0(VALU_DEP_1) | instskip(SKIP_1) | instid1(VALU_DEP_1)
	v_fma_mix_f32 v2, v7, v15, v2 op_sel_hi:[0,1,0]
	s_waitcnt vmcnt(3) lgkmcnt(0)
	v_fma_mix_f32 v2, v8, v16, v2 op_sel_hi:[0,1,0]
	s_waitcnt vmcnt(2)
	s_delay_alu instid0(VALU_DEP_1) | instskip(SKIP_1) | instid1(VALU_DEP_1)
	v_fma_mix_f32 v2, v9, v41, v2 op_sel_hi:[0,1,0]
	s_waitcnt vmcnt(1)
	v_fma_mix_f32 v2, v10, v42, v2 op_sel_hi:[0,1,0]
	s_waitcnt vmcnt(0)
	s_delay_alu instid0(VALU_DEP_1)
	v_fma_mix_f32 v4, v11, v43, v2 op_sel_hi:[0,1,0]
	s_branch .LBB30_14
.LBB30_17:
	v_mov_b32_e32 v1, 0
	s_and_b32 vcc_lo, exec_lo, s15
	ds_load_b32 v1, v1 offset:1152
	s_cbranch_vccz .LBB30_19
; %bb.18:
	s_add_u32 s2, s12, s16
	s_addc_u32 s3, s13, s17
	s_load_b32 s2, s[2:3], 0x0
	s_mov_b32 s3, 0
.LBB30_19:
	s_waitcnt lgkmcnt(0)
	v_add_f32_e32 v1, 0x358637bd, v1
	s_mul_i32 s3, s33, s3
	s_mul_hi_u32 s4, s33, s2
	s_mul_i32 s2, s33, s2
	s_add_i32 s3, s4, s3
	v_div_scale_f32 v2, null, v1, v1, 1.0
	v_div_scale_f32 v6, vcc_lo, 1.0, v1, 1.0
	s_lshl_b64 s[2:3], s[2:3], 6
	s_delay_alu instid0(VALU_DEP_2) | instskip(SKIP_4) | instid1(SALU_CYCLE_1)
	v_rcp_f32_e32 v3, v2
	s_mov_b32 s15, 0
	s_add_u32 s2, s0, s2
	s_addc_u32 s3, s1, s3
	s_lshl_b64 s[0:1], s[14:15], 6
	s_add_u32 s0, s2, s0
	s_addc_u32 s1, s3, s1
	v_add_co_u32 v0, s0, s0, v0
	s_waitcnt_depctr 0xfff
	v_fma_f32 v5, -v2, v3, 1.0
	s_delay_alu instid0(VALU_DEP_1) | instskip(NEXT) | instid1(VALU_DEP_1)
	v_fmac_f32_e32 v3, v5, v3
	v_mul_f32_e32 v5, v6, v3
	s_delay_alu instid0(VALU_DEP_1) | instskip(NEXT) | instid1(VALU_DEP_1)
	v_fma_f32 v7, -v2, v5, v6
	v_fmac_f32_e32 v5, v7, v3
	s_delay_alu instid0(VALU_DEP_1) | instskip(NEXT) | instid1(VALU_DEP_1)
	v_fma_f32 v2, -v2, v5, v6
	v_div_fmas_f32 v2, v2, v3, v5
	s_delay_alu instid0(VALU_DEP_1) | instskip(NEXT) | instid1(VALU_DEP_1)
	v_div_fixup_f32 v1, v2, v1, 1.0
	v_fma_mixlo_f16 v1, v4, v1, 0
	s_delay_alu instid0(VALU_DEP_1)
	v_cvt_i16_f16_e32 v2, v1
	v_add_co_ci_u32_e64 v1, null, s1, 0, s0
	global_store_b8 v[0:1], v2, off
	s_nop 0
	s_sendmsg sendmsg(MSG_DEALLOC_VGPRS)
	s_endpgm
.LBB30_20:
	s_mov_b32 s4, 0
	s_branch .LBB30_2
	.section	.rodata,"a",@progbits
	.p2align	6, 0x0
	.amdhsa_kernel _Z35paged_attention_ll4mi_reduce_kernelIDF16_hLi64ELi64ELi256ELi9EEvPT0_PKfS3_PKT_PKiS8_iS3_
		.amdhsa_group_segment_fixed_size 1156
		.amdhsa_private_segment_fixed_size 0
		.amdhsa_kernarg_size 320
		.amdhsa_user_sgpr_count 14
		.amdhsa_user_sgpr_dispatch_ptr 0
		.amdhsa_user_sgpr_queue_ptr 0
		.amdhsa_user_sgpr_kernarg_segment_ptr 1
		.amdhsa_user_sgpr_dispatch_id 0
		.amdhsa_user_sgpr_private_segment_size 0
		.amdhsa_wavefront_size32 1
		.amdhsa_uses_dynamic_stack 0
		.amdhsa_enable_private_segment 0
		.amdhsa_system_sgpr_workgroup_id_x 1
		.amdhsa_system_sgpr_workgroup_id_y 1
		.amdhsa_system_sgpr_workgroup_id_z 0
		.amdhsa_system_sgpr_workgroup_info 0
		.amdhsa_system_vgpr_workitem_id 0
		.amdhsa_next_free_vgpr 52
		.amdhsa_next_free_sgpr 47
		.amdhsa_reserve_vcc 1
		.amdhsa_float_round_mode_32 0
		.amdhsa_float_round_mode_16_64 0
		.amdhsa_float_denorm_mode_32 3
		.amdhsa_float_denorm_mode_16_64 3
		.amdhsa_dx10_clamp 1
		.amdhsa_ieee_mode 1
		.amdhsa_fp16_overflow 0
		.amdhsa_workgroup_processor_mode 1
		.amdhsa_memory_ordered 1
		.amdhsa_forward_progress 0
		.amdhsa_shared_vgpr_count 0
		.amdhsa_exception_fp_ieee_invalid_op 0
		.amdhsa_exception_fp_denorm_src 0
		.amdhsa_exception_fp_ieee_div_zero 0
		.amdhsa_exception_fp_ieee_overflow 0
		.amdhsa_exception_fp_ieee_underflow 0
		.amdhsa_exception_fp_ieee_inexact 0
		.amdhsa_exception_int_div_zero 0
	.end_amdhsa_kernel
	.section	.text._Z35paged_attention_ll4mi_reduce_kernelIDF16_hLi64ELi64ELi256ELi9EEvPT0_PKfS3_PKT_PKiS8_iS3_,"axG",@progbits,_Z35paged_attention_ll4mi_reduce_kernelIDF16_hLi64ELi64ELi256ELi9EEvPT0_PKfS3_PKT_PKiS8_iS3_,comdat
.Lfunc_end30:
	.size	_Z35paged_attention_ll4mi_reduce_kernelIDF16_hLi64ELi64ELi256ELi9EEvPT0_PKfS3_PKT_PKiS8_iS3_, .Lfunc_end30-_Z35paged_attention_ll4mi_reduce_kernelIDF16_hLi64ELi64ELi256ELi9EEvPT0_PKfS3_PKT_PKiS8_iS3_
                                        ; -- End function
	.section	.AMDGPU.csdata,"",@progbits
; Kernel info:
; codeLenInByte = 6732
; NumSgprs: 49
; NumVgprs: 52
; ScratchSize: 0
; MemoryBound: 0
; FloatMode: 240
; IeeeMode: 1
; LDSByteSize: 1156 bytes/workgroup (compile time only)
; SGPRBlocks: 6
; VGPRBlocks: 6
; NumSGPRsForWavesPerEU: 49
; NumVGPRsForWavesPerEU: 52
; Occupancy: 16
; WaveLimiterHint : 0
; COMPUTE_PGM_RSRC2:SCRATCH_EN: 0
; COMPUTE_PGM_RSRC2:USER_SGPR: 14
; COMPUTE_PGM_RSRC2:TRAP_HANDLER: 0
; COMPUTE_PGM_RSRC2:TGID_X_EN: 1
; COMPUTE_PGM_RSRC2:TGID_Y_EN: 1
; COMPUTE_PGM_RSRC2:TGID_Z_EN: 0
; COMPUTE_PGM_RSRC2:TIDIG_COMP_CNT: 0
	.section	.text._Z35paged_attention_ll4mi_reduce_kernelIDF16_hLi64ELi64ELi256ELi10EEvPT0_PKfS3_PKT_PKiS8_iS3_,"axG",@progbits,_Z35paged_attention_ll4mi_reduce_kernelIDF16_hLi64ELi64ELi256ELi10EEvPT0_PKfS3_PKT_PKiS8_iS3_,comdat
	.protected	_Z35paged_attention_ll4mi_reduce_kernelIDF16_hLi64ELi64ELi256ELi10EEvPT0_PKfS3_PKT_PKiS8_iS3_ ; -- Begin function _Z35paged_attention_ll4mi_reduce_kernelIDF16_hLi64ELi64ELi256ELi10EEvPT0_PKfS3_PKT_PKiS8_iS3_
	.globl	_Z35paged_attention_ll4mi_reduce_kernelIDF16_hLi64ELi64ELi256ELi10EEvPT0_PKfS3_PKT_PKiS8_iS3_
	.p2align	8
	.type	_Z35paged_attention_ll4mi_reduce_kernelIDF16_hLi64ELi64ELi256ELi10EEvPT0_PKfS3_PKT_PKiS8_iS3_,@function
_Z35paged_attention_ll4mi_reduce_kernelIDF16_hLi64ELi64ELi256ELi10EEvPT0_PKfS3_PKT_PKiS8_iS3_: ; @_Z35paged_attention_ll4mi_reduce_kernelIDF16_hLi64ELi64ELi256ELi10EEvPT0_PKfS3_PKT_PKiS8_iS3_
; %bb.0:
	s_load_b64 s[12:13], s[0:1], 0x28
	s_mov_b32 s2, s15
	s_waitcnt lgkmcnt(0)
	s_cmp_lg_u64 s[12:13], 0
	s_cselect_b32 s15, -1, 0
	s_delay_alu instid0(SALU_CYCLE_1)
	s_and_b32 vcc_lo, exec_lo, s15
	s_cbranch_vccz .LBB31_20
; %bb.1:
	s_add_i32 s4, s2, 1
	s_mov_b32 s5, 0
	s_delay_alu instid0(SALU_CYCLE_1) | instskip(SKIP_4) | instid1(SALU_CYCLE_1)
	s_lshl_b64 s[6:7], s[4:5], 2
	s_mov_b32 s3, s5
	s_add_u32 s6, s12, s6
	s_addc_u32 s7, s13, s7
	s_lshl_b64 s[8:9], s[2:3], 2
	s_add_u32 s8, s12, s8
	s_addc_u32 s9, s13, s9
	s_clause 0x1
	s_load_b32 s4, s[6:7], 0x0
	s_load_b32 s6, s[8:9], 0x0
	s_waitcnt lgkmcnt(0)
	s_sub_i32 s4, s4, s6
	s_delay_alu instid0(SALU_CYCLE_1)
	s_cmp_eq_u32 s4, 1
	s_cselect_b32 s4, -1, 0
	s_cbranch_execnz .LBB31_3
.LBB31_2:
	s_mov_b32 s3, 0
	s_mov_b32 s4, -1
.LBB31_3:
	s_delay_alu instid0(SALU_CYCLE_1)
	s_and_not1_b32 vcc_lo, exec_lo, s4
	s_cbranch_vccz .LBB31_5
; %bb.4:
	s_endpgm
.LBB31_5:
	s_clause 0x1
	s_load_b128 s[4:7], s[0:1], 0x18
	s_load_b32 s9, s[0:1], 0x30
	s_lshl_b64 s[16:17], s[2:3], 2
	s_waitcnt lgkmcnt(0)
	s_add_u32 s6, s6, s16
	s_addc_u32 s7, s7, s17
	s_load_b32 s23, s[6:7], 0x0
	s_load_b32 s33, s[0:1], 0x40
	s_mul_i32 s7, s2, s9
	s_waitcnt lgkmcnt(0)
	s_add_i32 s22, s23, 0xff
	s_delay_alu instid0(SALU_CYCLE_1) | instskip(NEXT) | instid1(SALU_CYCLE_1)
	s_ashr_i32 s6, s22, 31
	s_lshr_b32 s6, s6, 24
	s_delay_alu instid0(SALU_CYCLE_1) | instskip(SKIP_4) | instid1(SALU_CYCLE_1)
	s_add_i32 s8, s22, s6
	s_mul_i32 s6, s14, s9
	s_mov_b32 s9, exec_lo
	v_cmpx_lt_u32_e32 31, v0
	s_xor_b32 s9, exec_lo, s9
	s_or_saveexec_b32 s24, s9
	v_mov_b32_e32 v1, s6
	s_ashr_i32 s40, s8, 8
	s_mul_i32 s18, s7, s33
	s_xor_b32 exec_lo, exec_lo, s24
	s_cbranch_execz .LBB31_9
; %bb.6:
	v_or_b32_e32 v2, 32, v0
	v_cmp_gt_i32_e32 vcc_lo, s40, v0
	s_add_i32 s25, s40, -1
	v_or_b32_e32 v4, 64, v0
	v_or_b32_e32 v6, 0x60, v0
	s_load_b128 s[8:11], s[0:1], 0x8
	v_cndmask_b32_e32 v1, s25, v0, vcc_lo
	v_cmp_gt_i32_e32 vcc_lo, s40, v2
	s_mov_b32 s19, 0
	v_or_b32_e32 v10, 0x120, v0
	s_lshl_b64 s[20:21], s[18:19], 2
	s_mov_b32 s7, s19
	v_cndmask_b32_e32 v3, s25, v2, vcc_lo
	v_cmp_gt_i32_e32 vcc_lo, s40, v4
	v_or_b32_e32 v2, 0x80, v0
	v_cndmask_b32_e32 v5, s25, v4, vcc_lo
	v_cmp_gt_i32_e32 vcc_lo, s40, v6
	v_or_b32_e32 v4, 0xa0, v0
	;; [unrolled: 3-line block ×3, first 2 shown]
	s_waitcnt lgkmcnt(0)
	s_add_u32 s19, s10, s20
	s_addc_u32 s26, s11, s21
	s_lshl_b64 s[10:11], s[6:7], 2
	v_cndmask_b32_e32 v9, s25, v2, vcc_lo
	v_or_b32_e32 v2, 0xc0, v0
	v_cmp_gt_i32_e32 vcc_lo, s40, v4
	s_add_u32 s7, s19, s10
	s_addc_u32 s19, s26, s11
	v_ashrrev_i32_e32 v8, 31, v7
	v_cndmask_b32_e32 v11, s25, v4, vcc_lo
	v_cmp_gt_i32_e32 vcc_lo, s40, v2
	v_or_b32_e32 v4, 0x100, v0
	s_delay_alu instid0(VALU_DEP_4) | instskip(NEXT) | instid1(VALU_DEP_4)
	v_lshlrev_b64 v[7:8], 2, v[7:8]
	v_ashrrev_i32_e32 v12, 31, v11
	v_cndmask_b32_e32 v13, s25, v2, vcc_lo
	v_cmp_gt_i32_e32 vcc_lo, s40, v6
	v_ashrrev_i32_e32 v2, 31, v1
	s_delay_alu instid0(VALU_DEP_4) | instskip(NEXT) | instid1(VALU_DEP_4)
	v_lshlrev_b64 v[11:12], 2, v[11:12]
	v_ashrrev_i32_e32 v14, 31, v13
	v_cndmask_b32_e32 v15, s25, v6, vcc_lo
	v_cmp_gt_i32_e32 vcc_lo, s40, v4
	v_lshlrev_b64 v[1:2], 2, v[1:2]
	v_ashrrev_i32_e32 v6, 31, v5
	v_lshlrev_b64 v[13:14], 2, v[13:14]
	v_ashrrev_i32_e32 v16, 31, v15
	v_cndmask_b32_e32 v17, s25, v4, vcc_lo
	v_ashrrev_i32_e32 v4, 31, v3
	v_add_co_u32 v18, vcc_lo, s7, v1
	v_add_co_ci_u32_e32 v19, vcc_lo, s19, v2, vcc_lo
	s_delay_alu instid0(VALU_DEP_3) | instskip(SKIP_2) | instid1(VALU_DEP_3)
	v_lshlrev_b64 v[3:4], 2, v[3:4]
	v_lshlrev_b64 v[5:6], 2, v[5:6]
	;; [unrolled: 1-line block ×3, first 2 shown]
	v_add_co_u32 v20, vcc_lo, s7, v3
	s_delay_alu instid0(VALU_DEP_4)
	v_add_co_ci_u32_e32 v21, vcc_lo, s19, v4, vcc_lo
	v_cmp_gt_i32_e32 vcc_lo, s40, v10
	s_clause 0x1
	global_load_b32 v34, v[18:19], off
	global_load_b32 v35, v[20:21], off
	v_ashrrev_i32_e32 v18, 31, v17
	v_cndmask_b32_e32 v22, s25, v10, vcc_lo
	v_ashrrev_i32_e32 v10, 31, v9
	v_add_co_u32 v19, vcc_lo, s7, v5
	v_add_co_ci_u32_e32 v20, vcc_lo, s19, v6, vcc_lo
	s_delay_alu instid0(VALU_DEP_3) | instskip(SKIP_3) | instid1(VALU_DEP_4)
	v_lshlrev_b64 v[9:10], 2, v[9:10]
	v_add_co_u32 v24, vcc_lo, s7, v7
	v_add_co_ci_u32_e32 v25, vcc_lo, s19, v8, vcc_lo
	v_ashrrev_i32_e32 v23, 31, v22
	v_add_co_u32 v26, vcc_lo, s7, v9
	v_add_co_ci_u32_e32 v27, vcc_lo, s19, v10, vcc_lo
	v_add_co_u32 v28, vcc_lo, s7, v11
	v_add_co_ci_u32_e32 v29, vcc_lo, s19, v12, vcc_lo
	;; [unrolled: 2-line block ×3, first 2 shown]
	v_lshlrev_b64 v[17:18], 2, v[17:18]
	v_add_co_u32 v32, vcc_lo, s7, v15
	v_add_co_ci_u32_e32 v33, vcc_lo, s19, v16, vcc_lo
	s_clause 0x5
	global_load_b32 v36, v[19:20], off
	global_load_b32 v25, v[24:25], off
	;; [unrolled: 1-line block ×6, first 2 shown]
	v_lshlrev_b64 v[19:20], 2, v[22:23]
	v_add_co_u32 v21, vcc_lo, s7, v17
	v_add_co_ci_u32_e32 v22, vcc_lo, s19, v18, vcc_lo
	s_delay_alu instid0(VALU_DEP_3) | instskip(NEXT) | instid1(VALU_DEP_4)
	v_add_co_u32 v23, vcc_lo, s7, v19
	v_add_co_ci_u32_e32 v24, vcc_lo, s19, v20, vcc_lo
	s_clause 0x1
	global_load_b32 v21, v[21:22], off
	global_load_b32 v22, v[23:24], off
	s_add_u32 s7, s8, s20
	s_addc_u32 s8, s9, s21
	s_add_u32 s7, s7, s10
	s_addc_u32 s8, s8, s11
	v_add_co_u32 v1, vcc_lo, s7, v1
	v_add_co_ci_u32_e32 v2, vcc_lo, s8, v2, vcc_lo
	v_add_co_u32 v3, vcc_lo, s7, v3
	v_add_co_ci_u32_e32 v4, vcc_lo, s8, v4, vcc_lo
	;; [unrolled: 2-line block ×4, first 2 shown]
	s_clause 0x1
	global_load_b32 v30, v[1:2], off
	global_load_b32 v31, v[3:4], off
	v_add_co_u32 v9, vcc_lo, s7, v9
	v_mbcnt_lo_u32_b32 v23, -1, 0
	s_clause 0x1
	global_load_b32 v5, v[5:6], off
	global_load_b32 v7, v[7:8], off
	v_add_co_ci_u32_e32 v10, vcc_lo, s8, v10, vcc_lo
	v_add_co_u32 v1, vcc_lo, s7, v11
	v_add_co_ci_u32_e32 v2, vcc_lo, s8, v12, vcc_lo
	v_xor_b32_e32 v24, 16, v23
	s_waitcnt vmcnt(12)
	v_dual_max_f32 v4, v34, v34 :: v_dual_max_f32 v3, v35, v35
	s_delay_alu instid0(VALU_DEP_1)
	v_max_f32_e32 v6, v4, v3
	v_add_co_u32 v3, vcc_lo, s7, v13
	v_add_co_ci_u32_e32 v4, vcc_lo, s8, v14, vcc_lo
	v_cmp_gt_i32_e32 vcc_lo, 32, v24
	s_clause 0x2
	global_load_b32 v9, v[9:10], off
	global_load_b32 v10, v[1:2], off
	;; [unrolled: 1-line block ×3, first 2 shown]
	v_xor_b32_e32 v13, 8, v23
	v_cndmask_b32_e32 v8, v23, v24, vcc_lo
	v_add_co_u32 v1, vcc_lo, s7, v15
	v_add_co_ci_u32_e32 v2, vcc_lo, s8, v16, vcc_lo
	v_xor_b32_e32 v15, 1, v23
	s_waitcnt vmcnt(13)
	v_max3_f32 v6, v6, v36, v25
	s_waitcnt vmcnt(11)
	s_delay_alu instid0(VALU_DEP_1)
	v_max3_f32 v4, v6, v26, v27
	v_lshlrev_b32_e32 v6, 2, v8
	global_load_b32 v8, v[1:2], off
	v_add_co_u32 v1, vcc_lo, s7, v17
	s_waitcnt vmcnt(10)
	v_max3_f32 v4, v4, v28, v29
	v_add_co_ci_u32_e32 v2, vcc_lo, s8, v18, vcc_lo
	global_load_b32 v12, v[1:2], off
	s_waitcnt vmcnt(9)
	v_max3_f32 v4, v4, v21, v22
	v_add_co_u32 v1, vcc_lo, s7, v19
	v_add_co_ci_u32_e32 v2, vcc_lo, s8, v20, vcc_lo
	ds_bpermute_b32 v11, v6, v4
	v_cmp_gt_i32_e32 vcc_lo, 32, v13
	s_mov_b32 s7, exec_lo
	global_load_b32 v14, v[1:2], off
	v_cndmask_b32_e32 v1, v23, v13, vcc_lo
	v_xor_b32_e32 v13, 2, v23
	s_waitcnt lgkmcnt(0)
	s_delay_alu instid0(VALU_DEP_2) | instskip(SKIP_1) | instid1(VALU_DEP_2)
	v_dual_max_f32 v2, v11, v11 :: v_dual_lshlrev_b32 v1, 2, v1
	v_xor_b32_e32 v11, 4, v23
	v_max_f32_e32 v2, v4, v2
	s_delay_alu instid0(VALU_DEP_2) | instskip(SKIP_3) | instid1(VALU_DEP_2)
	v_cmp_gt_i32_e32 vcc_lo, 32, v11
	ds_bpermute_b32 v4, v1, v2
	v_cndmask_b32_e32 v11, v23, v11, vcc_lo
	v_cmp_gt_i32_e32 vcc_lo, 32, v13
	v_lshlrev_b32_e32 v11, 2, v11
	v_cndmask_b32_e32 v13, v23, v13, vcc_lo
	v_cmp_gt_i32_e32 vcc_lo, 32, v15
	s_delay_alu instid0(VALU_DEP_2) | instskip(SKIP_2) | instid1(VALU_DEP_1)
	v_lshlrev_b32_e32 v13, 2, v13
	v_cndmask_b32_e32 v15, v23, v15, vcc_lo
	s_waitcnt lgkmcnt(0)
	v_dual_max_f32 v4, v4, v4 :: v_dual_lshlrev_b32 v15, 2, v15
	s_delay_alu instid0(VALU_DEP_1) | instskip(SKIP_3) | instid1(VALU_DEP_1)
	v_max_f32_e32 v2, v2, v4
	ds_bpermute_b32 v4, v11, v2
	s_waitcnt lgkmcnt(0)
	v_max_f32_e32 v4, v4, v4
	v_max_f32_e32 v2, v2, v4
	ds_bpermute_b32 v4, v13, v2
	s_waitcnt lgkmcnt(0)
	v_max_f32_e32 v4, v4, v4
	s_delay_alu instid0(VALU_DEP_1) | instskip(SKIP_3) | instid1(VALU_DEP_1)
	v_max_f32_e32 v2, v2, v4
	ds_bpermute_b32 v4, v15, v2
	s_waitcnt lgkmcnt(0)
	v_max_f32_e32 v4, v4, v4
	v_max_f32_e32 v2, v2, v4
	v_sub_nc_u32_e32 v4, s40, v0
	s_delay_alu instid0(VALU_DEP_2)
	v_sub_f32_e32 v20, v26, v2
	v_sub_f32_e32 v16, v34, v2
	;; [unrolled: 1-line block ×9, first 2 shown]
	v_dual_mul_f32 v29, 0x3fb8aa3b, v20 :: v_dual_sub_f32 v2, v22, v2
	s_delay_alu instid0(VALU_DEP_4)
	v_mul_f32_e32 v33, 0x3fb8aa3b, v24
	v_mul_f32_e32 v22, 0x3fb8aa3b, v16
	;; [unrolled: 1-line block ×4, first 2 shown]
	v_fma_f32 v45, 0x3fb8aa3b, v20, -v29
	v_rndne_f32_e32 v46, v29
	v_fma_f32 v37, 0x3fb8aa3b, v16, -v22
	v_rndne_f32_e32 v38, v22
	;; [unrolled: 2-line block ×3, first 2 shown]
	v_mul_f32_e32 v27, 0x3fb8aa3b, v18
	s_delay_alu instid0(VALU_DEP_4) | instskip(SKIP_1) | instid1(VALU_DEP_4)
	v_dual_fmac_f32 v37, 0x32a5705f, v16 :: v_dual_sub_f32 v22, v22, v38
	v_rndne_f32_e32 v44, v28
	v_dual_fmac_f32 v39, 0x32a5705f, v17 :: v_dual_sub_f32 v26, v26, v40
	s_delay_alu instid0(VALU_DEP_3) | instskip(SKIP_1) | instid1(VALU_DEP_4)
	v_dual_fmac_f32 v45, 0x32a5705f, v20 :: v_dual_add_f32 v22, v22, v37
	v_fma_f32 v43, 0x3fb8aa3b, v19, -v28
	v_dual_sub_f32 v28, v28, v44 :: v_dual_sub_f32 v29, v29, v46
	s_delay_alu instid0(VALU_DEP_4) | instskip(NEXT) | instid1(VALU_DEP_4)
	v_add_f32_e32 v26, v26, v39
	v_exp_f32_e32 v22, v22
	v_mul_f32_e32 v32, 0x3fb8aa3b, v23
	v_mul_f32_e32 v34, 0x3fb8aa3b, v25
	v_fma_f32 v41, 0x3fb8aa3b, v18, -v27
	v_rndne_f32_e32 v42, v27
	v_cvt_i32_f32_e32 v38, v38
	v_exp_f32_e32 v26, v26
	v_dual_mul_f32 v35, 0x3fb8aa3b, v21 :: v_dual_mul_f32 v36, 0x3fb8aa3b, v2
	v_fma_f32 v47, 0x3fb8aa3b, v23, -v32
	v_rndne_f32_e32 v48, v32
	v_rndne_f32_e32 v52, v34
	v_cvt_i32_f32_e32 v40, v40
	v_fmac_f32_e32 v41, 0x32a5705f, v18
	v_sub_f32_e32 v27, v27, v42
	v_ldexp_f32 v22, v22, v38
	v_cmp_ngt_f32_e32 vcc_lo, 0xc2ce8ed0, v16
	v_fma_f32 v49, 0x3fb8aa3b, v24, -v33
	v_fma_f32 v51, 0x3fb8aa3b, v25, -v34
	v_sub_f32_e32 v34, v34, v52
	v_rndne_f32_e32 v56, v36
	v_fmac_f32_e32 v43, 0x32a5705f, v19
	v_dual_fmac_f32 v47, 0x32a5705f, v23 :: v_dual_cndmask_b32 v22, 0, v22
	v_sub_f32_e32 v32, v32, v48
	v_ldexp_f32 v26, v26, v40
	v_cmp_ngt_f32_e32 vcc_lo, 0xc2ce8ed0, v17
	v_add_f32_e32 v27, v27, v41
	v_fma_f32 v55, 0x3fb8aa3b, v2, -v36
	v_sub_f32_e32 v36, v36, v56
	v_dual_fmac_f32 v49, 0x32a5705f, v24 :: v_dual_add_f32 v28, v28, v43
	v_cndmask_b32_e32 v26, 0, v26, vcc_lo
	v_exp_f32_e32 v27, v27
	v_rndne_f32_e32 v50, v33
	v_cvt_i32_f32_e32 v42, v42
	v_add_f32_e32 v29, v29, v45
	v_exp_f32_e32 v28, v28
	v_cvt_i32_f32_e32 v44, v44
	v_dual_sub_f32 v33, v33, v50 :: v_dual_add_f32 v32, v32, v47
	s_delay_alu instid0(VALU_DEP_3) | instskip(SKIP_1) | instid1(TRANS32_DEP_3)
	v_exp_f32_e32 v29, v29
	v_cmp_ngt_f32_e32 vcc_lo, 0xc2ce8ed0, v18
	v_ldexp_f32 v27, v27, v42
	v_rndne_f32_e32 v54, v35
	v_cvt_i32_f32_e32 v46, v46
	v_exp_f32_e32 v32, v32
	s_delay_alu instid0(TRANS32_DEP_3)
	v_ldexp_f32 v28, v28, v44
	v_cndmask_b32_e32 v27, 0, v27, vcc_lo
	v_cmp_ngt_f32_e32 vcc_lo, 0xc2ce8ed0, v19
	v_fma_f32 v53, 0x3fb8aa3b, v21, -v35
	v_cvt_i32_f32_e32 v48, v48
	v_sub_f32_e32 v35, v35, v54
	v_ldexp_f32 v29, v29, v46
	v_cndmask_b32_e32 v28, 0, v28, vcc_lo
	v_cmp_ngt_f32_e32 vcc_lo, 0xc2ce8ed0, v20
	v_ldexp_f32 v32, v32, v48
	v_add_f32_e32 v33, v33, v49
	v_cvt_i32_f32_e32 v50, v50
	v_cvt_i32_f32_e32 v52, v52
	v_cndmask_b32_e32 v29, 0, v29, vcc_lo
	v_cmp_ngt_f32_e32 vcc_lo, 0xc2ce8ed0, v23
	v_fmac_f32_e32 v55, 0x32a5705f, v2
	v_exp_f32_e32 v33, v33
	v_cvt_i32_f32_e32 v54, v54
	v_dual_cndmask_b32 v32, 0, v32 :: v_dual_fmac_f32 v51, 0x32a5705f, v25
	s_delay_alu instid0(VALU_DEP_3) | instskip(SKIP_1) | instid1(VALU_DEP_3)
	v_dual_add_f32 v36, v36, v55 :: v_dual_fmac_f32 v53, 0x32a5705f, v21
	v_cmp_ngt_f32_e32 vcc_lo, 0xc2ce8ed0, v24
	v_add_f32_e32 v34, v34, v51
	s_waitcnt_depctr 0xfff
	v_ldexp_f32 v33, v33, v50
	v_exp_f32_e32 v36, v36
	v_exp_f32_e32 v34, v34
	s_delay_alu instid0(VALU_DEP_1) | instskip(SKIP_3) | instid1(VALU_DEP_1)
	v_cndmask_b32_e32 v33, 0, v33, vcc_lo
	v_cmp_ngt_f32_e32 vcc_lo, 0xc2ce8ed0, v25
	s_waitcnt_depctr 0xfff
	v_ldexp_f32 v34, v34, v52
	v_cndmask_b32_e32 v34, 0, v34, vcc_lo
	v_cmp_nlt_f32_e32 vcc_lo, 0x42b17218, v16
	v_cndmask_b32_e32 v16, 0x7f800000, v22, vcc_lo
	v_cmp_nlt_f32_e32 vcc_lo, 0x42b17218, v17
	;; [unrolled: 2-line block ×3, first 2 shown]
	v_dual_add_f32 v35, v35, v53 :: v_dual_cndmask_b32 v18, 0x7f800000, v27
	v_cmp_nlt_f32_e32 vcc_lo, 0x42b17218, v19
	s_delay_alu instid0(VALU_DEP_2)
	v_exp_f32_e32 v35, v35
	v_cndmask_b32_e32 v19, 0x7f800000, v28, vcc_lo
	v_cmp_nlt_f32_e32 vcc_lo, 0x42b17218, v20
	v_cndmask_b32_e32 v20, 0x7f800000, v29, vcc_lo
	v_cmp_nlt_f32_e32 vcc_lo, 0x42b17218, v23
	s_waitcnt_depctr 0xfff
	v_ldexp_f32 v35, v35, v54
	v_cndmask_b32_e32 v22, 0x7f800000, v32, vcc_lo
	v_cmp_lt_i32_e32 vcc_lo, 0, v4
	v_cndmask_b32_e32 v16, 0, v16, vcc_lo
	v_cmp_lt_i32_e32 vcc_lo, 32, v4
	s_waitcnt vmcnt(9)
	s_delay_alu instid0(VALU_DEP_2) | instskip(SKIP_2) | instid1(VALU_DEP_2)
	v_dual_mul_f32 v16, v30, v16 :: v_dual_cndmask_b32 v17, 0, v17
	v_cmp_nlt_f32_e32 vcc_lo, 0x42b17218, v24
	s_waitcnt vmcnt(8)
	v_mul_f32_e32 v17, v31, v17
	v_cndmask_b32_e32 v23, 0x7f800000, v33, vcc_lo
	v_cmp_lt_i32_e32 vcc_lo, 64, v4
	v_cndmask_b32_e32 v18, 0, v18, vcc_lo
	v_cmp_lt_i32_e32 vcc_lo, 0x60, v4
	s_waitcnt vmcnt(7)
	s_delay_alu instid0(VALU_DEP_2) | instskip(SKIP_2) | instid1(VALU_DEP_3)
	v_dual_mul_f32 v5, v5, v18 :: v_dual_add_f32 v18, v16, v17
	v_cndmask_b32_e32 v19, 0, v19, vcc_lo
	v_cmp_lt_i32_e32 vcc_lo, 0x80, v4
	v_add_f32_e32 v18, v18, v5
	v_cndmask_b32_e32 v20, 0, v20, vcc_lo
	v_cmp_lt_i32_e32 vcc_lo, 0xa0, v4
	s_waitcnt vmcnt(6)
	v_dual_cndmask_b32 v22, 0, v22 :: v_dual_mul_f32 v7, v7, v19
	v_cmp_lt_i32_e32 vcc_lo, 0xc0, v4
	s_waitcnt vmcnt(4)
	s_delay_alu instid0(VALU_DEP_2) | instskip(NEXT) | instid1(VALU_DEP_3)
	v_dual_mul_f32 v9, v9, v20 :: v_dual_mul_f32 v10, v10, v22
	v_add_f32_e32 v18, v18, v7
	v_cndmask_b32_e32 v23, 0, v23, vcc_lo
	v_cmp_nlt_f32_e32 vcc_lo, 0x42b17218, v25
	v_cvt_i32_f32_e32 v22, v56
	s_waitcnt vmcnt(3)
	s_delay_alu instid0(VALU_DEP_3) | instskip(NEXT) | instid1(VALU_DEP_1)
	v_dual_add_f32 v18, v18, v9 :: v_dual_mul_f32 v3, v3, v23
	v_add_f32_e32 v18, v18, v10
	v_cndmask_b32_e32 v19, 0x7f800000, v34, vcc_lo
	v_cmp_ngt_f32_e32 vcc_lo, 0xc2ce8ed0, v21
	s_delay_alu instid0(VALU_DEP_3) | instskip(SKIP_4) | instid1(VALU_DEP_4)
	v_add_f32_e32 v18, v18, v3
	v_cndmask_b32_e32 v20, 0, v35, vcc_lo
	v_cmp_lt_i32_e32 vcc_lo, 0xe0, v4
	v_cndmask_b32_e32 v19, 0, v19, vcc_lo
	v_cmp_nlt_f32_e32 vcc_lo, 0x42b17218, v21
	v_cndmask_b32_e32 v20, 0x7f800000, v20, vcc_lo
	v_cmp_lt_i32_e32 vcc_lo, 0x100, v4
	s_delay_alu instid0(VALU_DEP_2)
	v_cndmask_b32_e32 v20, 0, v20, vcc_lo
	s_waitcnt vmcnt(2)
	v_mul_f32_e32 v8, v8, v19
	v_ldexp_f32 v19, v36, v22
	v_cmp_ngt_f32_e32 vcc_lo, 0xc2ce8ed0, v2
	s_waitcnt vmcnt(1)
	v_mul_f32_e32 v12, v12, v20
	s_delay_alu instid0(VALU_DEP_3) | instskip(SKIP_1) | instid1(VALU_DEP_2)
	v_dual_add_f32 v18, v18, v8 :: v_dual_cndmask_b32 v19, 0, v19
	v_cmp_nlt_f32_e32 vcc_lo, 0x42b17218, v2
	v_cndmask_b32_e32 v2, 0x7f800000, v19, vcc_lo
	v_cmp_lt_i32_e32 vcc_lo, 0x120, v4
	s_delay_alu instid0(VALU_DEP_2) | instskip(SKIP_2) | instid1(VALU_DEP_1)
	v_cndmask_b32_e32 v4, 0, v2, vcc_lo
	v_add_f32_e32 v2, v18, v12
	s_waitcnt vmcnt(0)
	v_fmac_f32_e32 v2, v14, v4
	v_mul_f32_e32 v4, v14, v4
	ds_bpermute_b32 v6, v6, v2
	s_waitcnt lgkmcnt(0)
	v_add_f32_e32 v2, v2, v6
	v_lshlrev_b32_e32 v6, 2, v0
	ds_bpermute_b32 v1, v1, v2
	ds_store_2addr_b32 v6, v16, v17 offset1:32
	s_waitcnt lgkmcnt(1)
	v_add_f32_e32 v1, v2, v1
	ds_bpermute_b32 v2, v11, v1
	v_add_nc_u32_e32 v11, 0x400, v6
	s_waitcnt lgkmcnt(0)
	v_add_f32_e32 v1, v1, v2
	ds_store_2addr_b32 v6, v5, v7 offset0:64 offset1:96
	ds_store_2addr_b32 v6, v9, v10 offset0:128 offset1:160
	;; [unrolled: 1-line block ×3, first 2 shown]
	ds_store_2addr_b32 v11, v12, v4 offset1:32
	ds_bpermute_b32 v2, v13, v1
	s_waitcnt lgkmcnt(0)
	v_add_f32_e32 v1, v1, v2
	ds_bpermute_b32 v2, v15, v1
	v_cmpx_eq_u32_e32 0, v0
	s_cbranch_execz .LBB31_8
; %bb.7:
	s_waitcnt lgkmcnt(0)
	v_dual_add_f32 v1, v1, v2 :: v_dual_mov_b32 v2, 0
	ds_store_b32 v2, v1 offset:1280
.LBB31_8:
	s_or_b32 exec_lo, exec_lo, s7
	v_mov_b32_e32 v1, s6
.LBB31_9:
	s_or_b32 exec_lo, exec_lo, s24
	s_lshl_b32 s6, s18, 6
	s_mov_b32 s7, 0
	s_waitcnt lgkmcnt(0)
	v_dual_mov_b32 v2, 0 :: v_dual_lshlrev_b32 v1, 6, v1
	s_lshl_b64 s[6:7], s[6:7], 1
	v_dual_mov_b32 v29, 0 :: v_dual_mov_b32 v30, 0
	s_add_u32 s34, s4, s6
	s_addc_u32 s35, s5, s7
	s_lshl_b32 s41, s40, 6
	v_lshlrev_b64 v[3:4], 1, v[1:2]
	s_sub_i32 s42, s41, 64
	s_cmpk_lt_i32 s22, 0x100
	v_lshlrev_b32_e32 v1, 1, v0
	s_cselect_b32 s4, s42, 0
	v_dual_mov_b32 v31, 0 :: v_dual_mov_b32 v32, 0
	s_ashr_i32 s5, s4, 31
	v_add_co_u32 v3, vcc_lo, s34, v3
	s_lshl_b64 s[4:5], s[4:5], 1
	s_cmpk_lt_i32 s22, 0x200
	v_add_co_ci_u32_e32 v4, vcc_lo, s35, v4, vcc_lo
	s_cselect_b32 s6, s42, 64
	v_add_co_u32 v1, vcc_lo, v3, v1
	s_ashr_i32 s7, s6, 31
	s_delay_alu instid0(VALU_DEP_2)
	v_add_co_ci_u32_e32 v3, vcc_lo, 0, v4, vcc_lo
	s_lshl_b64 s[6:7], s[6:7], 1
	s_cmpk_lt_i32 s22, 0x300
	v_add_co_u32 v4, vcc_lo, v1, s4
	s_cselect_b32 s8, s42, 0x80
	v_add_co_ci_u32_e32 v5, vcc_lo, s5, v3, vcc_lo
	s_ashr_i32 s9, s8, 31
	v_add_co_u32 v8, vcc_lo, v1, s6
	s_lshl_b64 s[8:9], s[8:9], 1
	s_cmpk_lt_i32 s22, 0x400
	v_add_co_ci_u32_e32 v9, vcc_lo, s7, v3, vcc_lo
	s_cselect_b32 s10, s42, 0xc0
	v_add_co_u32 v10, vcc_lo, v1, s8
	s_ashr_i32 s11, s10, 31
	v_add_co_ci_u32_e32 v11, vcc_lo, s9, v3, vcc_lo
	s_lshl_b64 s[10:11], s[10:11], 1
	s_cmpk_lt_i32 s22, 0x500
	v_add_co_u32 v12, vcc_lo, v1, s10
	s_cselect_b32 s18, s42, 0x100
	v_add_co_ci_u32_e32 v13, vcc_lo, s11, v3, vcc_lo
	s_ashr_i32 s19, s18, 31
	v_dual_mov_b32 v33, 0 :: v_dual_mov_b32 v34, 0
	s_lshl_b64 s[18:19], s[18:19], 1
	s_cmpk_lt_i32 s22, 0x600
	v_add_co_u32 v14, vcc_lo, v1, s18
	s_cselect_b32 s20, s42, 0x140
	v_add_co_ci_u32_e32 v15, vcc_lo, s19, v3, vcc_lo
	s_ashr_i32 s21, s20, 31
	v_mov_b32_e32 v35, 0
	s_lshl_b64 s[20:21], s[20:21], 1
	s_cmpk_lt_i32 s22, 0x700
	v_add_co_u32 v16, vcc_lo, v1, s20
	s_cselect_b32 s24, s42, 0x180
	v_add_co_ci_u32_e32 v17, vcc_lo, s21, v3, vcc_lo
	s_ashr_i32 s25, s24, 31
	s_delay_alu instid0(SALU_CYCLE_1)
	s_lshl_b64 s[24:25], s[24:25], 1
	s_cmpk_lt_i32 s22, 0x800
	v_add_co_u32 v18, vcc_lo, v1, s24
	s_cselect_b32 s26, s42, 0x1c0
	v_add_co_ci_u32_e32 v19, vcc_lo, s25, v3, vcc_lo
	s_ashr_i32 s27, s26, 31
	s_delay_alu instid0(SALU_CYCLE_1)
	s_lshl_b64 s[26:27], s[26:27], 1
	s_cmpk_lt_i32 s22, 0x900
	v_add_co_u32 v20, vcc_lo, v1, s26
	s_cselect_b32 s28, s42, 0x200
	v_add_co_ci_u32_e32 v21, vcc_lo, s27, v3, vcc_lo
	s_ashr_i32 s29, s28, 31
	s_clause 0x7
	global_load_u16 v7, v[4:5], off
	global_load_u16 v8, v[8:9], off
	;; [unrolled: 1-line block ×8, first 2 shown]
	s_lshl_b64 s[28:29], s[28:29], 1
	s_cmpk_lt_i32 s22, 0xa00
	v_add_co_u32 v12, vcc_lo, v1, s28
	s_cselect_b32 s30, s42, 0x240
	v_add_co_ci_u32_e32 v13, vcc_lo, s29, v3, vcc_lo
	s_ashr_i32 s31, s30, 31
	s_delay_alu instid0(SALU_CYCLE_1)
	s_lshl_b64 s[30:31], s[30:31], 1
	s_cmpk_lt_i32 s22, 0xb00
	v_add_co_u32 v15, vcc_lo, v1, s30
	s_cselect_b32 s34, s42, 0x280
	v_add_co_ci_u32_e32 v16, vcc_lo, s31, v3, vcc_lo
	s_ashr_i32 s35, s34, 31
	s_delay_alu instid0(SALU_CYCLE_1)
	;; [unrolled: 7-line block ×7, first 2 shown]
	s_lshl_b64 s[4:5], s[6:7], 1
	s_cmpk_gt_i32 s23, 0x1000
	v_add_co_u32 v27, vcc_lo, v1, s4
	v_add_co_ci_u32_e32 v28, vcc_lo, s5, v3, vcc_lo
	s_clause 0x7
	global_load_u16 v14, v[12:13], off
	global_load_u16 v15, v[15:16], off
	;; [unrolled: 1-line block ×8, first 2 shown]
	v_dual_mov_b32 v20, 0 :: v_dual_mov_b32 v21, 0
	v_dual_mov_b32 v22, 0 :: v_dual_mov_b32 v23, 0
	;; [unrolled: 1-line block ×4, first 2 shown]
	v_mov_b32_e32 v28, 0
	s_cselect_b32 s8, -1, 0
	s_cmpk_lt_i32 s23, 0x1001
	s_waitcnt vmcnt(0)
	s_barrier
	buffer_gl0_inv
	s_cbranch_scc1 .LBB31_11
; %bb.10:
	s_cmpk_lt_i32 s22, 0x1100
	s_cselect_b32 s4, s42, 0x400
	s_delay_alu instid0(SALU_CYCLE_1) | instskip(NEXT) | instid1(SALU_CYCLE_1)
	s_ashr_i32 s5, s4, 31
	s_lshl_b64 s[4:5], s[4:5], 1
	s_cmpk_lt_i32 s22, 0x1200
	v_add_co_u32 v20, vcc_lo, v1, s4
	s_cselect_b32 s6, s42, 0x440
	v_add_co_ci_u32_e32 v21, vcc_lo, s5, v3, vcc_lo
	s_ashr_i32 s7, s6, 31
	s_delay_alu instid0(SALU_CYCLE_1)
	s_lshl_b64 s[6:7], s[6:7], 1
	s_cmpk_lt_i32 s22, 0x1300
	v_add_co_u32 v22, vcc_lo, v1, s6
	s_cselect_b32 s10, s42, 0x480
	v_add_co_ci_u32_e32 v23, vcc_lo, s7, v3, vcc_lo
	s_ashr_i32 s11, s10, 31
	s_delay_alu instid0(SALU_CYCLE_1)
	s_lshl_b64 s[10:11], s[10:11], 1
	s_cmpk_lt_i32 s22, 0x1400
	v_add_co_u32 v24, vcc_lo, v1, s10
	s_cselect_b32 s18, s42, 0x4c0
	v_add_co_ci_u32_e32 v25, vcc_lo, s11, v3, vcc_lo
	s_ashr_i32 s19, s18, 31
	s_delay_alu instid0(SALU_CYCLE_1)
	s_lshl_b64 s[18:19], s[18:19], 1
	s_cmpk_lt_i32 s22, 0x1500
	v_add_co_u32 v26, vcc_lo, v1, s18
	s_cselect_b32 s20, s42, 0x500
	v_add_co_ci_u32_e32 v27, vcc_lo, s19, v3, vcc_lo
	s_ashr_i32 s21, s20, 31
	s_delay_alu instid0(SALU_CYCLE_1)
	s_lshl_b64 s[20:21], s[20:21], 1
	s_cmpk_lt_i32 s22, 0x1600
	v_add_co_u32 v28, vcc_lo, v1, s20
	s_cselect_b32 s24, s42, 0x540
	v_add_co_ci_u32_e32 v29, vcc_lo, s21, v3, vcc_lo
	s_ashr_i32 s25, s24, 31
	s_delay_alu instid0(SALU_CYCLE_1)
	s_lshl_b64 s[24:25], s[24:25], 1
	s_cmpk_lt_i32 s22, 0x1700
	v_add_co_u32 v30, vcc_lo, v1, s24
	s_cselect_b32 s26, s42, 0x580
	v_add_co_ci_u32_e32 v31, vcc_lo, s25, v3, vcc_lo
	s_ashr_i32 s27, s26, 31
	s_delay_alu instid0(SALU_CYCLE_1)
	s_lshl_b64 s[26:27], s[26:27], 1
	s_cmpk_lt_i32 s22, 0x1800
	v_add_co_u32 v32, vcc_lo, v1, s26
	s_cselect_b32 s28, s42, 0x5c0
	v_add_co_ci_u32_e32 v33, vcc_lo, s27, v3, vcc_lo
	s_ashr_i32 s29, s28, 31
	s_delay_alu instid0(SALU_CYCLE_1)
	s_lshl_b64 s[28:29], s[28:29], 1
	s_cmpk_lt_i32 s22, 0x1900
	v_add_co_u32 v34, vcc_lo, v1, s28
	s_cselect_b32 s30, s42, 0x600
	v_add_co_ci_u32_e32 v35, vcc_lo, s29, v3, vcc_lo
	s_ashr_i32 s31, s30, 31
	s_clause 0x7
	global_load_u16 v36, v[20:21], off
	global_load_u16 v37, v[22:23], off
	;; [unrolled: 1-line block ×8, first 2 shown]
	s_lshl_b64 s[30:31], s[30:31], 1
	s_cmpk_lt_i32 s22, 0x1a00
	v_add_co_u32 v20, vcc_lo, v1, s30
	s_cselect_b32 s34, s42, 0x640
	v_add_co_ci_u32_e32 v21, vcc_lo, s31, v3, vcc_lo
	s_ashr_i32 s35, s34, 31
	s_delay_alu instid0(SALU_CYCLE_1)
	s_lshl_b64 s[34:35], s[34:35], 1
	s_cmpk_lt_i32 s22, 0x1b00
	v_add_co_u32 v22, vcc_lo, v1, s34
	s_cselect_b32 s36, s42, 0x680
	v_add_co_ci_u32_e32 v23, vcc_lo, s35, v3, vcc_lo
	s_ashr_i32 s37, s36, 31
	s_delay_alu instid0(SALU_CYCLE_1)
	s_lshl_b64 s[4:5], s[36:37], 1
	s_cmpk_lt_i32 s22, 0x1c00
	v_add_co_u32 v24, vcc_lo, v1, s4
	s_cselect_b32 s6, s42, 0x6c0
	v_add_co_ci_u32_e32 v25, vcc_lo, s5, v3, vcc_lo
	s_ashr_i32 s7, s6, 31
	s_delay_alu instid0(SALU_CYCLE_1)
	s_lshl_b64 s[6:7], s[6:7], 1
	s_cmpk_lt_i32 s22, 0x1d00
	v_add_co_u32 v26, vcc_lo, v1, s6
	s_cselect_b32 s10, s42, 0x700
	v_add_co_ci_u32_e32 v27, vcc_lo, s7, v3, vcc_lo
	s_ashr_i32 s11, s10, 31
	s_delay_alu instid0(SALU_CYCLE_1)
	s_lshl_b64 s[10:11], s[10:11], 1
	s_cmpk_lt_i32 s22, 0x1e00
	v_add_co_u32 v28, vcc_lo, v1, s10
	s_cselect_b32 s18, s42, 0x740
	v_add_co_ci_u32_e32 v29, vcc_lo, s11, v3, vcc_lo
	s_ashr_i32 s19, s18, 31
	s_delay_alu instid0(SALU_CYCLE_1)
	s_lshl_b64 s[18:19], s[18:19], 1
	s_cmpk_lt_i32 s22, 0x1f00
	v_add_co_u32 v30, vcc_lo, v1, s18
	s_cselect_b32 s20, s42, 0x780
	v_add_co_ci_u32_e32 v31, vcc_lo, s19, v3, vcc_lo
	s_ashr_i32 s21, s20, 31
	s_delay_alu instid0(SALU_CYCLE_1)
	s_lshl_b64 s[4:5], s[20:21], 1
	s_cmpk_lt_i32 s22, 0x2000
	v_add_co_u32 v32, vcc_lo, v1, s4
	s_cselect_b32 s6, s42, 0x7c0
	v_add_co_ci_u32_e32 v33, vcc_lo, s5, v3, vcc_lo
	s_ashr_i32 s7, s6, 31
	s_delay_alu instid0(SALU_CYCLE_1) | instskip(NEXT) | instid1(SALU_CYCLE_1)
	s_lshl_b64 s[4:5], s[6:7], 1
	v_add_co_u32 v34, vcc_lo, v1, s4
	v_add_co_ci_u32_e32 v35, vcc_lo, s5, v3, vcc_lo
	s_clause 0x7
	global_load_u16 v20, v[20:21], off
	global_load_u16 v21, v[22:23], off
	;; [unrolled: 1-line block ×8, first 2 shown]
	s_waitcnt vmcnt(15)
	v_cvt_f32_f16_e32 v35, v36
	s_waitcnt vmcnt(14)
	v_cvt_f32_f16_e32 v34, v37
	;; [unrolled: 2-line block ×16, first 2 shown]
.LBB31_11:
	ds_load_b128 v[36:39], v2
	ds_load_b128 v[40:43], v2 offset:16
	s_load_b64 s[0:1], s[0:1], 0x0
	s_and_b32 vcc_lo, exec_lo, s8
	s_waitcnt lgkmcnt(0)
	v_fma_mix_f32 v7, v36, v7, 0 op_sel_hi:[0,1,0]
	s_delay_alu instid0(VALU_DEP_1) | instskip(NEXT) | instid1(VALU_DEP_1)
	v_fma_mix_f32 v7, v37, v8, v7 op_sel_hi:[0,1,0]
	v_fma_mix_f32 v7, v38, v9, v7 op_sel_hi:[0,1,0]
	s_delay_alu instid0(VALU_DEP_1) | instskip(SKIP_4) | instid1(VALU_DEP_1)
	v_fma_mix_f32 v7, v39, v10, v7 op_sel_hi:[0,1,0]
	ds_load_b128 v[36:39], v2 offset:48
	v_fma_mix_f32 v11, v40, v11, v7 op_sel_hi:[0,1,0]
	ds_load_b128 v[7:10], v2 offset:32
	v_fma_mix_f32 v4, v41, v4, v11 op_sel_hi:[0,1,0]
	v_fma_mix_f32 v4, v42, v5, v4 op_sel_hi:[0,1,0]
	s_delay_alu instid0(VALU_DEP_1) | instskip(SKIP_1) | instid1(VALU_DEP_1)
	v_fma_mix_f32 v4, v43, v6, v4 op_sel_hi:[0,1,0]
	s_waitcnt lgkmcnt(0)
	v_fma_mix_f32 v4, v7, v14, v4 op_sel_hi:[0,1,0]
	s_delay_alu instid0(VALU_DEP_1) | instskip(NEXT) | instid1(VALU_DEP_1)
	v_fma_mix_f32 v4, v8, v15, v4 op_sel_hi:[0,1,0]
	v_fma_mix_f32 v4, v9, v16, v4 op_sel_hi:[0,1,0]
	s_delay_alu instid0(VALU_DEP_1) | instskip(NEXT) | instid1(VALU_DEP_1)
	v_fma_mix_f32 v4, v10, v17, v4 op_sel_hi:[0,1,0]
	;; [unrolled: 3-line block ×3, first 2 shown]
	v_fma_mix_f32 v4, v38, v13, v4 op_sel_hi:[0,1,0]
	s_delay_alu instid0(VALU_DEP_1)
	v_fma_mix_f32 v4, v39, v19, v4 op_sel_hi:[0,1,0]
	s_cbranch_vccz .LBB31_13
; %bb.12:
	ds_load_b128 v[5:8], v2 offset:64
	ds_load_b128 v[9:12], v2 offset:80
	s_waitcnt lgkmcnt(1)
	v_fmac_f32_e32 v4, v5, v35
	s_delay_alu instid0(VALU_DEP_1) | instskip(NEXT) | instid1(VALU_DEP_1)
	v_fmac_f32_e32 v4, v6, v34
	v_fmac_f32_e32 v4, v7, v33
	s_delay_alu instid0(VALU_DEP_1) | instskip(SKIP_3) | instid1(VALU_DEP_1)
	v_fmac_f32_e32 v4, v8, v32
	ds_load_b128 v[5:8], v2 offset:96
	s_waitcnt lgkmcnt(1)
	v_fmac_f32_e32 v4, v9, v31
	v_fmac_f32_e32 v4, v10, v30
	s_delay_alu instid0(VALU_DEP_1) | instskip(NEXT) | instid1(VALU_DEP_1)
	v_fmac_f32_e32 v4, v11, v29
	v_fmac_f32_e32 v4, v12, v28
	ds_load_b128 v[9:12], v2 offset:112
	s_waitcnt lgkmcnt(1)
	v_fmac_f32_e32 v4, v5, v27
	s_delay_alu instid0(VALU_DEP_1) | instskip(NEXT) | instid1(VALU_DEP_1)
	v_fmac_f32_e32 v4, v6, v26
	v_fmac_f32_e32 v4, v7, v25
	s_delay_alu instid0(VALU_DEP_1) | instskip(SKIP_1) | instid1(VALU_DEP_1)
	v_fmac_f32_e32 v4, v8, v24
	s_waitcnt lgkmcnt(0)
	v_fmac_f32_e32 v4, v9, v23
	s_delay_alu instid0(VALU_DEP_1) | instskip(NEXT) | instid1(VALU_DEP_1)
	v_fmac_f32_e32 v4, v10, v22
	v_fmac_f32_e32 v4, v11, v21
	s_delay_alu instid0(VALU_DEP_1)
	v_fmac_f32_e32 v4, v12, v20
.LBB31_13:
	s_movk_i32 s43, 0xfc0
	s_movk_i32 s44, 0x80
	s_mov_b32 s45, 32
	s_branch .LBB31_15
.LBB31_14:                              ;   in Loop: Header=BB31_15 Depth=1
	s_addk_i32 s43, 0x800
	s_addk_i32 s44, 0x80
	s_add_i32 s45, s45, 32
	s_cmpk_eq_i32 s43, 0x57c0
	s_cbranch_scc1 .LBB31_17
.LBB31_15:                              ; =>This Inner Loop Header: Depth=1
	s_cmp_le_i32 s40, s45
	s_cbranch_scc1 .LBB31_14
; %bb.16:                               ;   in Loop: Header=BB31_15 Depth=1
	s_add_i32 s4, s43, 0xfffff840
	v_mov_b32_e32 v44, s44
	s_cmp_lt_i32 s4, s41
	s_cselect_b32 s4, s4, s42
	s_add_i32 s6, s43, 0xfffff880
	s_ashr_i32 s5, s4, 31
	s_delay_alu instid0(SALU_CYCLE_1)
	s_lshl_b64 s[4:5], s[4:5], 1
	s_cmp_lt_i32 s6, s41
	v_add_co_u32 v5, vcc_lo, v1, s4
	s_cselect_b32 s6, s6, s42
	s_add_i32 s10, s43, 0xfffff8c0
	s_ashr_i32 s7, s6, 31
	v_add_co_ci_u32_e32 v6, vcc_lo, s5, v3, vcc_lo
	s_lshl_b64 s[8:9], s[6:7], 1
	s_cmp_lt_i32 s10, s41
	v_add_co_u32 v7, vcc_lo, v1, s8
	s_cselect_b32 s6, s10, s42
	s_add_i32 s10, s43, 0xfffff900
	s_ashr_i32 s7, s6, 31
	v_add_co_ci_u32_e32 v8, vcc_lo, s9, v3, vcc_lo
	;; [unrolled: 7-line block ×8, first 2 shown]
	s_lshl_b64 s[24:25], s[20:21], 1
	s_cmp_lt_i32 s28, s41
	s_clause 0x7
	global_load_u16 v2, v[5:6], off
	global_load_u16 v21, v[7:8], off
	;; [unrolled: 1-line block ×8, first 2 shown]
	s_cselect_b32 s20, s28, s42
	s_add_i32 s28, s43, 0xfffffac0
	s_ashr_i32 s21, s20, 31
	v_add_co_u32 v5, vcc_lo, v1, s24
	s_lshl_b64 s[20:21], s[20:21], 1
	s_cmp_lt_i32 s28, s41
	v_add_co_ci_u32_e32 v6, vcc_lo, s25, v3, vcc_lo
	s_cselect_b32 s28, s28, s42
	s_add_i32 s36, s43, 0xfffffb00
	s_ashr_i32 s29, s28, 31
	v_add_co_u32 v7, vcc_lo, v1, s20
	s_lshl_b64 s[30:31], s[28:29], 1
	s_cmp_lt_i32 s36, s41
	v_add_co_ci_u32_e32 v8, vcc_lo, s21, v3, vcc_lo
	;; [unrolled: 7-line block ×8, first 2 shown]
	s_cselect_b32 s10, s10, s42
	s_add_i32 s18, s43, 0xfffffcc0
	s_ashr_i32 s11, s10, 31
	s_clause 0x7
	global_load_u16 v28, v[5:6], off
	global_load_u16 v29, v[7:8], off
	global_load_u16 v30, v[9:10], off
	global_load_u16 v31, v[11:12], off
	global_load_u16 v32, v[13:14], off
	global_load_u16 v33, v[15:16], off
	global_load_u16 v17, v[17:18], off
	global_load_u16 v18, v[19:20], off
	s_lshl_b64 s[10:11], s[10:11], 1
	s_cmp_lt_i32 s18, s41
	v_add_co_u32 v5, vcc_lo, v1, s4
	s_cselect_b32 s18, s18, s42
	s_add_i32 s22, s43, 0xfffffd00
	s_ashr_i32 s19, s18, 31
	v_add_co_ci_u32_e32 v6, vcc_lo, s5, v3, vcc_lo
	s_lshl_b64 s[18:19], s[18:19], 1
	s_cmp_lt_i32 s22, s41
	v_add_co_u32 v7, vcc_lo, v1, s10
	s_cselect_b32 s20, s22, s42
	s_add_i32 s22, s43, 0xfffffd40
	s_ashr_i32 s21, s20, 31
	v_add_co_ci_u32_e32 v8, vcc_lo, s11, v3, vcc_lo
	;; [unrolled: 7-line block ×5, first 2 shown]
	s_lshl_b64 s[6:7], s[6:7], 1
	s_cmp_lt_i32 s24, s41
	s_clause 0x4
	global_load_u16 v19, v[5:6], off
	global_load_u16 v20, v[7:8], off
	;; [unrolled: 1-line block ×5, first 2 shown]
	s_cselect_b32 s4, s24, s42
	s_add_i32 s10, s43, 0xfffffe40
	s_ashr_i32 s5, s4, 31
	v_add_co_u32 v5, vcc_lo, v1, s8
	s_lshl_b64 s[4:5], s[4:5], 1
	s_cmp_lt_i32 s10, s41
	v_add_co_ci_u32_e32 v6, vcc_lo, s9, v3, vcc_lo
	s_cselect_b32 s10, s10, s42
	s_add_i32 s18, s43, 0xfffffe80
	s_ashr_i32 s11, s10, 31
	v_add_co_u32 v7, vcc_lo, v1, s6
	s_lshl_b64 s[10:11], s[10:11], 1
	s_cmp_lt_i32 s18, s41
	v_add_co_ci_u32_e32 v8, vcc_lo, s7, v3, vcc_lo
	s_cselect_b32 s18, s18, s42
	s_add_i32 s20, s43, 0xfffffec0
	s_ashr_i32 s19, s18, 31
	v_add_co_u32 v9, vcc_lo, v1, s4
	s_lshl_b64 s[18:19], s[18:19], 1
	s_cmp_lt_i32 s20, s41
	global_load_u16 v37, v[5:6], off
	s_cselect_b32 s8, s20, s42
	s_add_i32 s20, s43, 0xffffff00
	s_ashr_i32 s9, s8, 31
	v_add_co_ci_u32_e32 v10, vcc_lo, s5, v3, vcc_lo
	s_lshl_b64 s[6:7], s[8:9], 1
	s_cmp_lt_i32 s20, s41
	v_add_co_u32 v11, vcc_lo, v1, s10
	s_cselect_b32 s4, s20, s42
	s_clause 0x1
	global_load_u16 v38, v[7:8], off
	global_load_u16 v39, v[9:10], off
	v_add_co_ci_u32_e32 v12, vcc_lo, s11, v3, vcc_lo
	s_ashr_i32 s5, s4, 31
	s_add_i32 s8, s43, 0xffffff40
	v_add_co_u32 v13, vcc_lo, v1, s18
	s_lshl_b64 s[4:5], s[4:5], 1
	s_cmp_lt_i32 s8, s41
	v_add_co_ci_u32_e32 v14, vcc_lo, s19, v3, vcc_lo
	v_add_co_u32 v15, vcc_lo, v1, s6
	s_cselect_b32 s8, s8, s42
	v_add_co_ci_u32_e32 v16, vcc_lo, s7, v3, vcc_lo
	s_ashr_i32 s9, s8, 31
	s_add_i32 s10, s43, 0xffffff80
	s_lshl_b64 s[6:7], s[8:9], 1
	s_clause 0x2
	global_load_u16 v40, v[11:12], off
	global_load_u16 v13, v[13:14], off
	;; [unrolled: 1-line block ×3, first 2 shown]
	s_cmp_lt_i32 s10, s41
	v_add_co_u32 v5, vcc_lo, v1, s4
	s_cselect_b32 s8, s10, s42
	s_sub_i32 s10, s43, 64
	s_ashr_i32 s9, s8, 31
	v_add_co_ci_u32_e32 v6, vcc_lo, s5, v3, vcc_lo
	s_lshl_b64 s[8:9], s[8:9], 1
	s_cmp_lt_i32 s10, s41
	v_add_co_u32 v7, vcc_lo, v1, s6
	s_cselect_b32 s4, s10, s42
	v_add_co_ci_u32_e32 v8, vcc_lo, s7, v3, vcc_lo
	s_ashr_i32 s5, s4, 31
	v_add_co_u32 v9, vcc_lo, v1, s8
	global_load_u16 v15, v[5:6], off
	s_lshl_b64 s[4:5], s[4:5], 1
	v_add_co_ci_u32_e32 v10, vcc_lo, s9, v3, vcc_lo
	s_cmp_lt_i32 s43, s41
	s_clause 0x1
	global_load_u16 v16, v[7:8], off
	global_load_u16 v41, v[9:10], off
	s_cselect_b32 s6, s43, s42
	v_add_co_u32 v5, vcc_lo, v1, s4
	s_ashr_i32 s7, s6, 31
	v_add_co_ci_u32_e32 v6, vcc_lo, s5, v3, vcc_lo
	s_lshl_b64 s[4:5], s[6:7], 1
	s_delay_alu instid0(SALU_CYCLE_1)
	v_add_co_u32 v7, vcc_lo, v1, s4
	v_add_co_ci_u32_e32 v8, vcc_lo, s5, v3, vcc_lo
	s_clause 0x1
	global_load_u16 v42, v[5:6], off
	global_load_u16 v43, v[7:8], off
	ds_load_b128 v[5:8], v44
	ds_load_b128 v[9:12], v44 offset:16
	s_waitcnt vmcnt(31) lgkmcnt(1)
	v_fma_mix_f32 v2, v5, v2, v4 op_sel_hi:[0,1,0]
	s_waitcnt vmcnt(30)
	s_delay_alu instid0(VALU_DEP_1) | instskip(SKIP_1) | instid1(VALU_DEP_1)
	v_fma_mix_f32 v2, v6, v21, v2 op_sel_hi:[0,1,0]
	s_waitcnt vmcnt(29)
	v_fma_mix_f32 v2, v7, v22, v2 op_sel_hi:[0,1,0]
	ds_load_b128 v[4:7], v44 offset:32
	s_waitcnt vmcnt(28)
	v_fma_mix_f32 v2, v8, v23, v2 op_sel_hi:[0,1,0]
	s_waitcnt vmcnt(27) lgkmcnt(1)
	s_delay_alu instid0(VALU_DEP_1) | instskip(SKIP_1) | instid1(VALU_DEP_1)
	v_fma_mix_f32 v2, v9, v24, v2 op_sel_hi:[0,1,0]
	s_waitcnt vmcnt(26)
	v_fma_mix_f32 v2, v10, v25, v2 op_sel_hi:[0,1,0]
	s_waitcnt vmcnt(25)
	s_delay_alu instid0(VALU_DEP_1) | instskip(SKIP_4) | instid1(VALU_DEP_1)
	v_fma_mix_f32 v2, v11, v26, v2 op_sel_hi:[0,1,0]
	ds_load_b128 v[8:11], v44 offset:48
	s_waitcnt vmcnt(24)
	v_fma_mix_f32 v2, v12, v27, v2 op_sel_hi:[0,1,0]
	s_waitcnt vmcnt(23) lgkmcnt(1)
	v_fma_mix_f32 v2, v4, v28, v2 op_sel_hi:[0,1,0]
	s_waitcnt vmcnt(22)
	s_delay_alu instid0(VALU_DEP_1) | instskip(SKIP_1) | instid1(VALU_DEP_1)
	v_fma_mix_f32 v2, v5, v29, v2 op_sel_hi:[0,1,0]
	s_waitcnt vmcnt(21)
	v_fma_mix_f32 v2, v6, v30, v2 op_sel_hi:[0,1,0]
	s_waitcnt vmcnt(20)
	s_delay_alu instid0(VALU_DEP_1) | instskip(SKIP_4) | instid1(VALU_DEP_1)
	v_fma_mix_f32 v2, v7, v31, v2 op_sel_hi:[0,1,0]
	ds_load_b128 v[4:7], v44 offset:64
	s_waitcnt vmcnt(19) lgkmcnt(1)
	v_fma_mix_f32 v2, v8, v32, v2 op_sel_hi:[0,1,0]
	s_waitcnt vmcnt(18)
	v_fma_mix_f32 v2, v9, v33, v2 op_sel_hi:[0,1,0]
	s_waitcnt vmcnt(17)
	s_delay_alu instid0(VALU_DEP_1) | instskip(SKIP_1) | instid1(VALU_DEP_1)
	v_fma_mix_f32 v2, v10, v17, v2 op_sel_hi:[0,1,0]
	s_waitcnt vmcnt(16)
	v_fma_mix_f32 v2, v11, v18, v2 op_sel_hi:[0,1,0]
	ds_load_b128 v[8:11], v44 offset:80
	s_waitcnt vmcnt(15) lgkmcnt(1)
	v_fma_mix_f32 v2, v4, v19, v2 op_sel_hi:[0,1,0]
	s_waitcnt vmcnt(14)
	s_delay_alu instid0(VALU_DEP_1) | instskip(SKIP_1) | instid1(VALU_DEP_1)
	v_fma_mix_f32 v2, v5, v20, v2 op_sel_hi:[0,1,0]
	s_waitcnt vmcnt(13)
	v_fma_mix_f32 v2, v6, v34, v2 op_sel_hi:[0,1,0]
	s_waitcnt vmcnt(12)
	s_delay_alu instid0(VALU_DEP_1) | instskip(SKIP_4) | instid1(VALU_DEP_1)
	v_fma_mix_f32 v2, v7, v35, v2 op_sel_hi:[0,1,0]
	ds_load_b128 v[4:7], v44 offset:96
	s_waitcnt vmcnt(11) lgkmcnt(1)
	v_fma_mix_f32 v2, v8, v36, v2 op_sel_hi:[0,1,0]
	s_waitcnt vmcnt(10)
	v_fma_mix_f32 v2, v9, v37, v2 op_sel_hi:[0,1,0]
	s_waitcnt vmcnt(9)
	s_delay_alu instid0(VALU_DEP_1) | instskip(SKIP_1) | instid1(VALU_DEP_1)
	v_fma_mix_f32 v2, v10, v38, v2 op_sel_hi:[0,1,0]
	s_waitcnt vmcnt(8)
	v_fma_mix_f32 v2, v11, v39, v2 op_sel_hi:[0,1,0]
	ds_load_b128 v[8:11], v44 offset:112
	s_waitcnt vmcnt(7) lgkmcnt(1)
	v_fma_mix_f32 v2, v4, v40, v2 op_sel_hi:[0,1,0]
	s_waitcnt vmcnt(6)
	s_delay_alu instid0(VALU_DEP_1) | instskip(SKIP_1) | instid1(VALU_DEP_1)
	v_fma_mix_f32 v2, v5, v13, v2 op_sel_hi:[0,1,0]
	s_waitcnt vmcnt(5)
	v_fma_mix_f32 v2, v6, v14, v2 op_sel_hi:[0,1,0]
	s_waitcnt vmcnt(4)
	s_delay_alu instid0(VALU_DEP_1) | instskip(SKIP_1) | instid1(VALU_DEP_1)
	v_fma_mix_f32 v2, v7, v15, v2 op_sel_hi:[0,1,0]
	s_waitcnt vmcnt(3) lgkmcnt(0)
	v_fma_mix_f32 v2, v8, v16, v2 op_sel_hi:[0,1,0]
	s_waitcnt vmcnt(2)
	s_delay_alu instid0(VALU_DEP_1) | instskip(SKIP_1) | instid1(VALU_DEP_1)
	v_fma_mix_f32 v2, v9, v41, v2 op_sel_hi:[0,1,0]
	s_waitcnt vmcnt(1)
	v_fma_mix_f32 v2, v10, v42, v2 op_sel_hi:[0,1,0]
	s_waitcnt vmcnt(0)
	s_delay_alu instid0(VALU_DEP_1)
	v_fma_mix_f32 v4, v11, v43, v2 op_sel_hi:[0,1,0]
	s_branch .LBB31_14
.LBB31_17:
	v_mov_b32_e32 v1, 0
	s_and_b32 vcc_lo, exec_lo, s15
	ds_load_b32 v1, v1 offset:1280
	s_cbranch_vccz .LBB31_19
; %bb.18:
	s_add_u32 s2, s12, s16
	s_addc_u32 s3, s13, s17
	s_load_b32 s2, s[2:3], 0x0
	s_mov_b32 s3, 0
.LBB31_19:
	s_waitcnt lgkmcnt(0)
	v_add_f32_e32 v1, 0x358637bd, v1
	s_mul_i32 s3, s33, s3
	s_mul_hi_u32 s4, s33, s2
	s_mul_i32 s2, s33, s2
	s_add_i32 s3, s4, s3
	v_div_scale_f32 v2, null, v1, v1, 1.0
	v_div_scale_f32 v6, vcc_lo, 1.0, v1, 1.0
	s_lshl_b64 s[2:3], s[2:3], 6
	s_delay_alu instid0(VALU_DEP_2) | instskip(SKIP_4) | instid1(SALU_CYCLE_1)
	v_rcp_f32_e32 v3, v2
	s_mov_b32 s15, 0
	s_add_u32 s2, s0, s2
	s_addc_u32 s3, s1, s3
	s_lshl_b64 s[0:1], s[14:15], 6
	s_add_u32 s0, s2, s0
	s_addc_u32 s1, s3, s1
	v_add_co_u32 v0, s0, s0, v0
	s_waitcnt_depctr 0xfff
	v_fma_f32 v5, -v2, v3, 1.0
	s_delay_alu instid0(VALU_DEP_1) | instskip(NEXT) | instid1(VALU_DEP_1)
	v_fmac_f32_e32 v3, v5, v3
	v_mul_f32_e32 v5, v6, v3
	s_delay_alu instid0(VALU_DEP_1) | instskip(NEXT) | instid1(VALU_DEP_1)
	v_fma_f32 v7, -v2, v5, v6
	v_fmac_f32_e32 v5, v7, v3
	s_delay_alu instid0(VALU_DEP_1) | instskip(NEXT) | instid1(VALU_DEP_1)
	v_fma_f32 v2, -v2, v5, v6
	v_div_fmas_f32 v2, v2, v3, v5
	s_delay_alu instid0(VALU_DEP_1) | instskip(NEXT) | instid1(VALU_DEP_1)
	v_div_fixup_f32 v1, v2, v1, 1.0
	v_fma_mixlo_f16 v1, v4, v1, 0
	s_delay_alu instid0(VALU_DEP_1)
	v_cvt_i16_f16_e32 v2, v1
	v_add_co_ci_u32_e64 v1, null, s1, 0, s0
	global_store_b8 v[0:1], v2, off
	s_nop 0
	s_sendmsg sendmsg(MSG_DEALLOC_VGPRS)
	s_endpgm
.LBB31_20:
	s_mov_b32 s4, 0
	s_branch .LBB31_2
	.section	.rodata,"a",@progbits
	.p2align	6, 0x0
	.amdhsa_kernel _Z35paged_attention_ll4mi_reduce_kernelIDF16_hLi64ELi64ELi256ELi10EEvPT0_PKfS3_PKT_PKiS8_iS3_
		.amdhsa_group_segment_fixed_size 1284
		.amdhsa_private_segment_fixed_size 0
		.amdhsa_kernarg_size 320
		.amdhsa_user_sgpr_count 14
		.amdhsa_user_sgpr_dispatch_ptr 0
		.amdhsa_user_sgpr_queue_ptr 0
		.amdhsa_user_sgpr_kernarg_segment_ptr 1
		.amdhsa_user_sgpr_dispatch_id 0
		.amdhsa_user_sgpr_private_segment_size 0
		.amdhsa_wavefront_size32 1
		.amdhsa_uses_dynamic_stack 0
		.amdhsa_enable_private_segment 0
		.amdhsa_system_sgpr_workgroup_id_x 1
		.amdhsa_system_sgpr_workgroup_id_y 1
		.amdhsa_system_sgpr_workgroup_id_z 0
		.amdhsa_system_sgpr_workgroup_info 0
		.amdhsa_system_vgpr_workitem_id 0
		.amdhsa_next_free_vgpr 57
		.amdhsa_next_free_sgpr 47
		.amdhsa_reserve_vcc 1
		.amdhsa_float_round_mode_32 0
		.amdhsa_float_round_mode_16_64 0
		.amdhsa_float_denorm_mode_32 3
		.amdhsa_float_denorm_mode_16_64 3
		.amdhsa_dx10_clamp 1
		.amdhsa_ieee_mode 1
		.amdhsa_fp16_overflow 0
		.amdhsa_workgroup_processor_mode 1
		.amdhsa_memory_ordered 1
		.amdhsa_forward_progress 0
		.amdhsa_shared_vgpr_count 0
		.amdhsa_exception_fp_ieee_invalid_op 0
		.amdhsa_exception_fp_denorm_src 0
		.amdhsa_exception_fp_ieee_div_zero 0
		.amdhsa_exception_fp_ieee_overflow 0
		.amdhsa_exception_fp_ieee_underflow 0
		.amdhsa_exception_fp_ieee_inexact 0
		.amdhsa_exception_int_div_zero 0
	.end_amdhsa_kernel
	.section	.text._Z35paged_attention_ll4mi_reduce_kernelIDF16_hLi64ELi64ELi256ELi10EEvPT0_PKfS3_PKT_PKiS8_iS3_,"axG",@progbits,_Z35paged_attention_ll4mi_reduce_kernelIDF16_hLi64ELi64ELi256ELi10EEvPT0_PKfS3_PKT_PKiS8_iS3_,comdat
.Lfunc_end31:
	.size	_Z35paged_attention_ll4mi_reduce_kernelIDF16_hLi64ELi64ELi256ELi10EEvPT0_PKfS3_PKT_PKiS8_iS3_, .Lfunc_end31-_Z35paged_attention_ll4mi_reduce_kernelIDF16_hLi64ELi64ELi256ELi10EEvPT0_PKfS3_PKT_PKiS8_iS3_
                                        ; -- End function
	.section	.AMDGPU.csdata,"",@progbits
; Kernel info:
; codeLenInByte = 6956
; NumSgprs: 49
; NumVgprs: 57
; ScratchSize: 0
; MemoryBound: 0
; FloatMode: 240
; IeeeMode: 1
; LDSByteSize: 1284 bytes/workgroup (compile time only)
; SGPRBlocks: 6
; VGPRBlocks: 7
; NumSGPRsForWavesPerEU: 49
; NumVGPRsForWavesPerEU: 57
; Occupancy: 16
; WaveLimiterHint : 0
; COMPUTE_PGM_RSRC2:SCRATCH_EN: 0
; COMPUTE_PGM_RSRC2:USER_SGPR: 14
; COMPUTE_PGM_RSRC2:TRAP_HANDLER: 0
; COMPUTE_PGM_RSRC2:TGID_X_EN: 1
; COMPUTE_PGM_RSRC2:TGID_Y_EN: 1
; COMPUTE_PGM_RSRC2:TGID_Z_EN: 0
; COMPUTE_PGM_RSRC2:TIDIG_COMP_CNT: 0
	.section	.text._Z35paged_attention_ll4mi_reduce_kernelIDF16_hLi64ELi64ELi256ELi11EEvPT0_PKfS3_PKT_PKiS8_iS3_,"axG",@progbits,_Z35paged_attention_ll4mi_reduce_kernelIDF16_hLi64ELi64ELi256ELi11EEvPT0_PKfS3_PKT_PKiS8_iS3_,comdat
	.protected	_Z35paged_attention_ll4mi_reduce_kernelIDF16_hLi64ELi64ELi256ELi11EEvPT0_PKfS3_PKT_PKiS8_iS3_ ; -- Begin function _Z35paged_attention_ll4mi_reduce_kernelIDF16_hLi64ELi64ELi256ELi11EEvPT0_PKfS3_PKT_PKiS8_iS3_
	.globl	_Z35paged_attention_ll4mi_reduce_kernelIDF16_hLi64ELi64ELi256ELi11EEvPT0_PKfS3_PKT_PKiS8_iS3_
	.p2align	8
	.type	_Z35paged_attention_ll4mi_reduce_kernelIDF16_hLi64ELi64ELi256ELi11EEvPT0_PKfS3_PKT_PKiS8_iS3_,@function
_Z35paged_attention_ll4mi_reduce_kernelIDF16_hLi64ELi64ELi256ELi11EEvPT0_PKfS3_PKT_PKiS8_iS3_: ; @_Z35paged_attention_ll4mi_reduce_kernelIDF16_hLi64ELi64ELi256ELi11EEvPT0_PKfS3_PKT_PKiS8_iS3_
; %bb.0:
	s_load_b64 s[12:13], s[0:1], 0x28
	s_mov_b32 s2, s15
	s_waitcnt lgkmcnt(0)
	s_cmp_lg_u64 s[12:13], 0
	s_cselect_b32 s15, -1, 0
	s_delay_alu instid0(SALU_CYCLE_1)
	s_and_b32 vcc_lo, exec_lo, s15
	s_cbranch_vccz .LBB32_20
; %bb.1:
	s_add_i32 s4, s2, 1
	s_mov_b32 s5, 0
	s_delay_alu instid0(SALU_CYCLE_1) | instskip(SKIP_4) | instid1(SALU_CYCLE_1)
	s_lshl_b64 s[6:7], s[4:5], 2
	s_mov_b32 s3, s5
	s_add_u32 s6, s12, s6
	s_addc_u32 s7, s13, s7
	s_lshl_b64 s[8:9], s[2:3], 2
	s_add_u32 s8, s12, s8
	s_addc_u32 s9, s13, s9
	s_clause 0x1
	s_load_b32 s4, s[6:7], 0x0
	s_load_b32 s6, s[8:9], 0x0
	s_waitcnt lgkmcnt(0)
	s_sub_i32 s4, s4, s6
	s_delay_alu instid0(SALU_CYCLE_1)
	s_cmp_eq_u32 s4, 1
	s_cselect_b32 s4, -1, 0
	s_cbranch_execnz .LBB32_3
.LBB32_2:
	s_mov_b32 s3, 0
	s_mov_b32 s4, -1
.LBB32_3:
	s_delay_alu instid0(SALU_CYCLE_1)
	s_and_not1_b32 vcc_lo, exec_lo, s4
	s_cbranch_vccz .LBB32_5
; %bb.4:
	s_endpgm
.LBB32_5:
	s_clause 0x1
	s_load_b128 s[4:7], s[0:1], 0x18
	s_load_b32 s9, s[0:1], 0x30
	s_lshl_b64 s[16:17], s[2:3], 2
	s_waitcnt lgkmcnt(0)
	s_add_u32 s6, s6, s16
	s_addc_u32 s7, s7, s17
	s_load_b32 s23, s[6:7], 0x0
	s_load_b32 s33, s[0:1], 0x40
	s_mul_i32 s7, s2, s9
	s_waitcnt lgkmcnt(0)
	s_add_i32 s22, s23, 0xff
	s_delay_alu instid0(SALU_CYCLE_1) | instskip(NEXT) | instid1(SALU_CYCLE_1)
	s_ashr_i32 s6, s22, 31
	s_lshr_b32 s6, s6, 24
	s_delay_alu instid0(SALU_CYCLE_1) | instskip(SKIP_4) | instid1(SALU_CYCLE_1)
	s_add_i32 s8, s22, s6
	s_mul_i32 s6, s14, s9
	s_mov_b32 s9, exec_lo
	v_cmpx_lt_u32_e32 31, v0
	s_xor_b32 s9, exec_lo, s9
	s_or_saveexec_b32 s24, s9
	v_mov_b32_e32 v1, s6
	s_ashr_i32 s40, s8, 8
	s_mul_i32 s18, s7, s33
	s_xor_b32 exec_lo, exec_lo, s24
	s_cbranch_execz .LBB32_9
; %bb.6:
	v_or_b32_e32 v2, 32, v0
	v_cmp_gt_i32_e32 vcc_lo, s40, v0
	s_add_i32 s20, s40, -1
	v_or_b32_e32 v4, 64, v0
	v_or_b32_e32 v6, 0xa0, v0
	s_load_b128 s[8:11], s[0:1], 0x8
	v_cndmask_b32_e32 v1, s20, v0, vcc_lo
	v_cmp_gt_i32_e32 vcc_lo, s40, v2
	s_mov_b32 s19, 0
	s_delay_alu instid0(SALU_CYCLE_1)
	s_mov_b32 s7, s19
	v_cndmask_b32_e32 v3, s20, v2, vcc_lo
	v_or_b32_e32 v2, 0x60, v0
	v_cmp_gt_i32_e32 vcc_lo, s40, v4
	v_cndmask_b32_e32 v5, s20, v4, vcc_lo
	v_or_b32_e32 v4, 0x80, v0
	s_delay_alu instid0(VALU_DEP_4) | instskip(SKIP_1) | instid1(VALU_DEP_3)
	v_cmp_gt_i32_e32 vcc_lo, s40, v2
	v_cndmask_b32_e32 v7, s20, v2, vcc_lo
	v_cmp_gt_i32_e32 vcc_lo, s40, v4
	v_or_b32_e32 v2, 0xc0, v0
	s_delay_alu instid0(VALU_DEP_3) | instskip(SKIP_3) | instid1(VALU_DEP_4)
	v_ashrrev_i32_e32 v8, 31, v7
	v_cndmask_b32_e32 v9, s20, v4, vcc_lo
	v_cmp_gt_i32_e32 vcc_lo, s40, v6
	v_or_b32_e32 v4, 0xe0, v0
	v_lshlrev_b64 v[7:8], 2, v[7:8]
	s_delay_alu instid0(VALU_DEP_4) | instskip(SKIP_3) | instid1(VALU_DEP_4)
	v_ashrrev_i32_e32 v10, 31, v9
	v_cndmask_b32_e32 v11, s20, v6, vcc_lo
	v_cmp_gt_i32_e32 vcc_lo, s40, v2
	v_or_b32_e32 v6, 0x120, v0
	v_lshlrev_b64 v[9:10], 2, v[9:10]
	s_delay_alu instid0(VALU_DEP_4) | instskip(SKIP_3) | instid1(VALU_DEP_4)
	v_ashrrev_i32_e32 v12, 31, v11
	v_cndmask_b32_e32 v13, s20, v2, vcc_lo
	v_or_b32_e32 v2, 0x100, v0
	v_cmp_gt_i32_e32 vcc_lo, s40, v4
	v_lshlrev_b64 v[11:12], 2, v[11:12]
	s_delay_alu instid0(VALU_DEP_4) | instskip(SKIP_3) | instid1(VALU_DEP_4)
	v_ashrrev_i32_e32 v14, 31, v13
	v_cndmask_b32_e32 v15, s20, v4, vcc_lo
	v_cmp_gt_i32_e32 vcc_lo, s40, v2
	v_or_b32_e32 v4, 0x140, v0
	v_lshlrev_b64 v[13:14], 2, v[13:14]
	s_delay_alu instid0(VALU_DEP_4) | instskip(SKIP_3) | instid1(VALU_DEP_4)
	v_ashrrev_i32_e32 v16, 31, v15
	v_cndmask_b32_e32 v17, s20, v2, vcc_lo
	v_cmp_gt_i32_e32 vcc_lo, s40, v6
	v_ashrrev_i32_e32 v2, 31, v1
	v_lshlrev_b64 v[15:16], 2, v[15:16]
	s_delay_alu instid0(VALU_DEP_4)
	v_ashrrev_i32_e32 v18, 31, v17
	v_cndmask_b32_e32 v19, s20, v6, vcc_lo
	v_cmp_gt_i32_e32 vcc_lo, s40, v4
	v_lshlrev_b64 v[1:2], 2, v[1:2]
	v_ashrrev_i32_e32 v6, 31, v5
	v_lshlrev_b64 v[17:18], 2, v[17:18]
	v_ashrrev_i32_e32 v20, 31, v19
	v_cndmask_b32_e32 v21, s20, v4, vcc_lo
	v_ashrrev_i32_e32 v4, 31, v3
	s_lshl_b64 s[20:21], s[18:19], 2
	v_lshlrev_b64 v[5:6], 2, v[5:6]
	s_waitcnt lgkmcnt(0)
	s_add_u32 s19, s10, s20
	s_addc_u32 s25, s11, s21
	s_lshl_b64 s[10:11], s[6:7], 2
	v_lshlrev_b64 v[3:4], 2, v[3:4]
	s_add_u32 s7, s19, s10
	s_addc_u32 s19, s25, s11
	v_add_co_u32 v22, vcc_lo, s7, v1
	v_add_co_ci_u32_e32 v23, vcc_lo, s19, v2, vcc_lo
	s_delay_alu instid0(VALU_DEP_3)
	v_add_co_u32 v24, vcc_lo, s7, v3
	v_add_co_ci_u32_e32 v25, vcc_lo, s19, v4, vcc_lo
	v_add_co_u32 v26, vcc_lo, s7, v5
	v_add_co_ci_u32_e32 v27, vcc_lo, s19, v6, vcc_lo
	;; [unrolled: 2-line block ×5, first 2 shown]
	v_add_co_u32 v34, vcc_lo, s7, v13
	s_clause 0x2
	global_load_b32 v38, v[22:23], off
	global_load_b32 v39, v[24:25], off
	;; [unrolled: 1-line block ×3, first 2 shown]
	v_ashrrev_i32_e32 v22, 31, v21
	v_add_co_ci_u32_e32 v35, vcc_lo, s19, v14, vcc_lo
	v_add_co_u32 v36, vcc_lo, s7, v15
	v_lshlrev_b64 v[19:20], 2, v[19:20]
	v_add_co_ci_u32_e32 v37, vcc_lo, s19, v16, vcc_lo
	v_add_co_u32 v23, vcc_lo, s7, v17
	v_lshlrev_b64 v[21:22], 2, v[21:22]
	s_clause 0x4
	global_load_b32 v29, v[28:29], off
	global_load_b32 v30, v[30:31], off
	global_load_b32 v31, v[32:33], off
	global_load_b32 v32, v[34:35], off
	global_load_b32 v33, v[36:37], off
	v_add_co_ci_u32_e32 v24, vcc_lo, s19, v18, vcc_lo
	v_add_co_u32 v25, vcc_lo, s7, v19
	v_add_co_ci_u32_e32 v26, vcc_lo, s19, v20, vcc_lo
	v_add_co_u32 v27, vcc_lo, s7, v21
	v_add_co_ci_u32_e32 v28, vcc_lo, s19, v22, vcc_lo
	s_clause 0x2
	global_load_b32 v23, v[23:24], off
	global_load_b32 v24, v[25:26], off
	;; [unrolled: 1-line block ×3, first 2 shown]
	s_add_u32 s7, s8, s20
	s_addc_u32 s8, s9, s21
	s_add_u32 s7, s7, s10
	s_addc_u32 s8, s8, s11
	v_add_co_u32 v1, vcc_lo, s7, v1
	v_add_co_ci_u32_e32 v2, vcc_lo, s8, v2, vcc_lo
	v_add_co_u32 v3, vcc_lo, s7, v3
	v_add_co_ci_u32_e32 v4, vcc_lo, s8, v4, vcc_lo
	;; [unrolled: 2-line block ×8, first 2 shown]
	s_clause 0x7
	global_load_b32 v34, v[1:2], off
	global_load_b32 v3, v[3:4], off
	;; [unrolled: 1-line block ×8, first 2 shown]
	v_mbcnt_lo_u32_b32 v26, -1, 0
	s_delay_alu instid0(VALU_DEP_1) | instskip(SKIP_2) | instid1(VALU_DEP_3)
	v_xor_b32_e32 v27, 16, v26
	v_xor_b32_e32 v14, 8, v26
	;; [unrolled: 1-line block ×3, first 2 shown]
	v_cmp_gt_i32_e32 vcc_lo, 32, v27
	v_cndmask_b32_e32 v1, v26, v27, vcc_lo
	s_delay_alu instid0(VALU_DEP_1)
	v_lshlrev_b32_e32 v10, 2, v1
	v_add_co_u32 v1, vcc_lo, s7, v17
	v_xor_b32_e32 v17, 1, v26
	s_waitcnt vmcnt(16)
	v_max3_f32 v28, v38, v39, v40
	s_waitcnt vmcnt(14)
	s_delay_alu instid0(VALU_DEP_1) | instskip(SKIP_1) | instid1(VALU_DEP_1)
	v_max3_f32 v28, v28, v29, v30
	s_waitcnt vmcnt(12)
	v_max3_f32 v28, v28, v31, v32
	s_waitcnt vmcnt(10)
	s_delay_alu instid0(VALU_DEP_1) | instskip(SKIP_1) | instid1(VALU_DEP_1)
	v_max3_f32 v2, v28, v33, v23
	s_waitcnt vmcnt(8)
	v_max3_f32 v11, v2, v24, v25
	v_add_co_ci_u32_e32 v2, vcc_lo, s8, v18, vcc_lo
	ds_bpermute_b32 v12, v10, v11
	global_load_b32 v13, v[1:2], off
	v_add_co_u32 v1, vcc_lo, s7, v19
	v_add_co_ci_u32_e32 v2, vcc_lo, s8, v20, vcc_lo
	v_cmp_gt_i32_e32 vcc_lo, 32, v14
	global_load_b32 v15, v[1:2], off
	s_waitcnt lgkmcnt(0)
	v_max_f32_e32 v12, v12, v12
	v_cndmask_b32_e32 v14, v26, v14, vcc_lo
	v_add_co_u32 v1, vcc_lo, s7, v21
	v_add_co_ci_u32_e32 v2, vcc_lo, s8, v22, vcc_lo
	s_delay_alu instid0(VALU_DEP_3)
	v_dual_max_f32 v11, v11, v12 :: v_dual_lshlrev_b32 v14, 2, v14
	v_xor_b32_e32 v12, 4, v26
	global_load_b32 v1, v[1:2], off
	s_mov_b32 s7, exec_lo
	ds_bpermute_b32 v2, v14, v11
	v_cmp_gt_i32_e32 vcc_lo, 32, v12
	v_cndmask_b32_e32 v12, v26, v12, vcc_lo
	v_cmp_gt_i32_e32 vcc_lo, 32, v16
	s_delay_alu instid0(VALU_DEP_2) | instskip(SKIP_2) | instid1(VALU_DEP_2)
	v_lshlrev_b32_e32 v12, 2, v12
	v_cndmask_b32_e32 v16, v26, v16, vcc_lo
	v_cmp_gt_i32_e32 vcc_lo, 32, v17
	v_dual_cndmask_b32 v17, v26, v17 :: v_dual_lshlrev_b32 v16, 2, v16
	s_waitcnt lgkmcnt(0)
	s_delay_alu instid0(VALU_DEP_1) | instskip(NEXT) | instid1(VALU_DEP_1)
	v_dual_max_f32 v2, v2, v2 :: v_dual_lshlrev_b32 v17, 2, v17
	v_max_f32_e32 v2, v11, v2
	ds_bpermute_b32 v11, v12, v2
	s_waitcnt lgkmcnt(0)
	v_max_f32_e32 v11, v11, v11
	s_delay_alu instid0(VALU_DEP_1) | instskip(SKIP_3) | instid1(VALU_DEP_1)
	v_max_f32_e32 v2, v2, v11
	ds_bpermute_b32 v11, v16, v2
	s_waitcnt lgkmcnt(0)
	v_max_f32_e32 v11, v11, v11
	v_max_f32_e32 v2, v2, v11
	ds_bpermute_b32 v11, v17, v2
	s_waitcnt lgkmcnt(0)
	v_max_f32_e32 v11, v11, v11
	s_delay_alu instid0(VALU_DEP_1) | instskip(SKIP_1) | instid1(VALU_DEP_2)
	v_max_f32_e32 v2, v2, v11
	v_sub_nc_u32_e32 v11, s40, v0
	v_sub_f32_e32 v28, v33, v2
	v_sub_f32_e32 v20, v40, v2
	;; [unrolled: 1-line block ×4, first 2 shown]
	s_delay_alu instid0(VALU_DEP_4)
	v_dual_sub_f32 v21, v29, v2 :: v_dual_mul_f32 v36, 0x3fb8aa3b, v28
	v_sub_f32_e32 v22, v30, v2
	v_mul_f32_e32 v30, 0x3fb8aa3b, v20
	v_dual_sub_f32 v24, v24, v2 :: v_dual_mul_f32 v29, 0x3fb8aa3b, v19
	v_sub_f32_e32 v26, v31, v2
	v_sub_f32_e32 v27, v32, v2
	s_delay_alu instid0(VALU_DEP_4) | instskip(NEXT) | instid1(VALU_DEP_4)
	v_fma_f32 v44, 0x3fb8aa3b, v20, -v30
	v_mul_f32_e32 v38, 0x3fb8aa3b, v24
	v_fma_f32 v42, 0x3fb8aa3b, v19, -v29
	v_sub_f32_e32 v23, v23, v2
	v_dual_sub_f32 v2, v25, v2 :: v_dual_mul_f32 v31, 0x3fb8aa3b, v21
	v_rndne_f32_e32 v43, v29
	v_rndne_f32_e32 v45, v30
	v_mul_f32_e32 v25, 0x3fb8aa3b, v18
	v_fmac_f32_e32 v42, 0x32a5705f, v19
	s_delay_alu instid0(VALU_DEP_4) | instskip(NEXT) | instid1(VALU_DEP_4)
	v_dual_fmac_f32 v44, 0x32a5705f, v20 :: v_dual_sub_f32 v29, v29, v43
	v_dual_sub_f32 v30, v30, v45 :: v_dual_mul_f32 v37, 0x3fb8aa3b, v23
	s_delay_alu instid0(VALU_DEP_4) | instskip(SKIP_2) | instid1(VALU_DEP_4)
	v_fma_f32 v40, 0x3fb8aa3b, v18, -v25
	v_rndne_f32_e32 v41, v25
	v_dual_mul_f32 v32, 0x3fb8aa3b, v22 :: v_dual_mul_f32 v35, 0x3fb8aa3b, v27
	v_add_f32_e32 v30, v30, v44
	v_fma_f32 v56, 0x3fb8aa3b, v23, -v37
	s_delay_alu instid0(VALU_DEP_4) | instskip(NEXT) | instid1(VALU_DEP_4)
	v_dual_fmac_f32 v40, 0x32a5705f, v18 :: v_dual_sub_f32 v25, v25, v41
	v_fma_f32 v48, 0x3fb8aa3b, v22, -v32
	v_rndne_f32_e32 v49, v32
	v_mul_f32_e32 v33, 0x3fb8aa3b, v26
	v_fma_f32 v54, 0x3fb8aa3b, v28, -v36
	v_dual_fmac_f32 v56, 0x32a5705f, v23 :: v_dual_add_f32 v25, v25, v40
	v_fma_f32 v46, 0x3fb8aa3b, v21, -v31
	v_rndne_f32_e32 v47, v31
	v_rndne_f32_e32 v53, v35
	v_sub_f32_e32 v32, v32, v49
	v_fma_f32 v50, 0x3fb8aa3b, v26, -v33
	v_rndne_f32_e32 v51, v33
	v_fmac_f32_e32 v48, 0x32a5705f, v22
	v_dual_fmac_f32 v54, 0x32a5705f, v28 :: v_dual_add_f32 v29, v29, v42
	v_exp_f32_e32 v25, v25
	v_fma_f32 v52, 0x3fb8aa3b, v27, -v35
	v_rndne_f32_e32 v55, v36
	v_fma_f32 v58, 0x3fb8aa3b, v24, -v38
	v_cvt_i32_f32_e32 v41, v41
	v_dual_fmac_f32 v46, 0x32a5705f, v21 :: v_dual_sub_f32 v31, v31, v47
	v_dual_fmac_f32 v50, 0x32a5705f, v26 :: v_dual_sub_f32 v35, v35, v53
	v_dual_sub_f32 v33, v33, v51 :: v_dual_add_f32 v32, v32, v48
	v_exp_f32_e32 v29, v29
	v_exp_f32_e32 v30, v30
	v_dual_mul_f32 v39, 0x3fb8aa3b, v2 :: v_dual_sub_f32 v36, v36, v55
	v_rndne_f32_e32 v57, v37
	v_cvt_i32_f32_e32 v43, v43
	v_cvt_i32_f32_e32 v45, v45
	v_fmac_f32_e32 v52, 0x32a5705f, v27
	v_dual_fmac_f32 v58, 0x32a5705f, v24 :: v_dual_add_f32 v31, v31, v46
	v_add_f32_e32 v33, v33, v50
	v_exp_f32_e32 v32, v32
	v_ldexp_f32 v25, v25, v41
	v_cmp_ngt_f32_e32 vcc_lo, 0xc2ce8ed0, v18
	v_cvt_i32_f32_e32 v49, v49
	v_sub_f32_e32 v37, v37, v57
	v_dual_add_f32 v35, v35, v52 :: v_dual_add_f32 v36, v36, v54
	v_exp_f32_e32 v31, v31
	v_ldexp_f32 v29, v29, v43
	v_ldexp_f32 v30, v30, v45
	v_cndmask_b32_e32 v25, 0, v25, vcc_lo
	v_cmp_ngt_f32_e32 vcc_lo, 0xc2ce8ed0, v19
	v_cvt_i32_f32_e32 v47, v47
	v_exp_f32_e32 v36, v36
	v_ldexp_f32 v32, v32, v49
	v_cvt_i32_f32_e32 v55, v55
	v_cndmask_b32_e32 v29, 0, v29, vcc_lo
	v_cmp_ngt_f32_e32 vcc_lo, 0xc2ce8ed0, v20
	v_exp_f32_e32 v33, v33
	v_ldexp_f32 v31, v31, v47
	v_cvt_i32_f32_e32 v51, v51
	v_exp_f32_e32 v35, v35
	v_cndmask_b32_e32 v30, 0, v30, vcc_lo
	v_cmp_ngt_f32_e32 vcc_lo, 0xc2ce8ed0, v21
	v_ldexp_f32 v36, v36, v55
	v_cvt_i32_f32_e32 v53, v53
	v_rndne_f32_e32 v59, v38
	v_add_f32_e32 v37, v37, v56
	v_cndmask_b32_e32 v31, 0, v31, vcc_lo
	v_cmp_ngt_f32_e32 vcc_lo, 0xc2ce8ed0, v22
	v_ldexp_f32 v33, v33, v51
	v_ldexp_f32 v35, v35, v53
	v_sub_f32_e32 v38, v38, v59
	v_fma_f32 v60, 0x3fb8aa3b, v2, -v39
	v_cndmask_b32_e32 v32, 0, v32, vcc_lo
	v_cmp_ngt_f32_e32 vcc_lo, 0xc2ce8ed0, v26
	v_exp_f32_e32 v37, v37
	v_rndne_f32_e32 v61, v39
	v_cvt_i32_f32_e32 v57, v57
	v_dual_fmac_f32 v60, 0x32a5705f, v2 :: v_dual_cndmask_b32 v33, 0, v33
	v_cmp_ngt_f32_e32 vcc_lo, 0xc2ce8ed0, v27
	v_cndmask_b32_e32 v35, 0, v35, vcc_lo
	v_cmp_ngt_f32_e32 vcc_lo, 0xc2ce8ed0, v28
	v_cndmask_b32_e32 v36, 0, v36, vcc_lo
	v_cmp_nlt_f32_e32 vcc_lo, 0x42b17218, v18
	v_cndmask_b32_e32 v18, 0x7f800000, v25, vcc_lo
	v_cmp_nlt_f32_e32 vcc_lo, 0x42b17218, v19
	;; [unrolled: 2-line block ×8, first 2 shown]
	v_cndmask_b32_e32 v27, 0x7f800000, v36, vcc_lo
	v_cmp_lt_i32_e32 vcc_lo, 0, v11
	v_cndmask_b32_e32 v18, 0, v18, vcc_lo
	v_cmp_lt_i32_e32 vcc_lo, 32, v11
	s_waitcnt vmcnt(10)
	s_delay_alu instid0(VALU_DEP_2) | instskip(SKIP_4) | instid1(VALU_DEP_2)
	v_dual_mul_f32 v18, v34, v18 :: v_dual_cndmask_b32 v19, 0, v19
	v_cmp_lt_i32_e32 vcc_lo, 64, v11
	v_cndmask_b32_e32 v20, 0, v20, vcc_lo
	v_cmp_lt_i32_e32 vcc_lo, 0x60, v11
	s_waitcnt vmcnt(8)
	v_dual_mul_f32 v4, v4, v20 :: v_dual_cndmask_b32 v21, 0, v21
	v_cmp_lt_i32_e32 vcc_lo, 0x80, v11
	v_ldexp_f32 v20, v37, v57
	v_cndmask_b32_e32 v22, 0, v22, vcc_lo
	v_cmp_lt_i32_e32 vcc_lo, 0xa0, v11
	v_mul_f32_e32 v3, v3, v19
	v_add_f32_e32 v19, v38, v58
	s_waitcnt vmcnt(6)
	v_dual_mul_f32 v6, v6, v22 :: v_dual_cndmask_b32 v25, 0, v25
	v_cmp_lt_i32_e32 vcc_lo, 0xc0, v11
	v_add_f32_e32 v22, v18, v3
	v_exp_f32_e32 v19, v19
	s_waitcnt vmcnt(5)
	v_dual_mul_f32 v7, v7, v25 :: v_dual_cndmask_b32 v26, 0, v26
	v_cmp_lt_i32_e32 vcc_lo, 0xe0, v11
	v_mul_f32_e32 v5, v5, v21
	v_dual_sub_f32 v21, v39, v61 :: v_dual_add_f32 v22, v22, v4
	s_waitcnt vmcnt(4)
	v_dual_mul_f32 v8, v8, v26 :: v_dual_cndmask_b32 v27, 0, v27
	v_cmp_ngt_f32_e32 vcc_lo, 0xc2ce8ed0, v23
	s_delay_alu instid0(VALU_DEP_3)
	v_dual_add_f32 v21, v21, v60 :: v_dual_add_f32 v22, v22, v5
	v_cvt_i32_f32_e32 v25, v59
	s_waitcnt vmcnt(3)
	v_dual_cndmask_b32 v20, 0, v20 :: v_dual_mul_f32 v9, v9, v27
	v_cmp_nlt_f32_e32 vcc_lo, 0x42b17218, v23
	v_exp_f32_e32 v21, v21
	v_add_f32_e32 v22, v22, v6
	v_ldexp_f32 v19, v19, v25
	v_cvt_i32_f32_e32 v23, v61
	v_cndmask_b32_e32 v20, 0x7f800000, v20, vcc_lo
	v_cmp_lt_i32_e32 vcc_lo, 0x100, v11
	s_delay_alu instid0(VALU_DEP_2) | instskip(SKIP_3) | instid1(VALU_DEP_3)
	v_cndmask_b32_e32 v20, 0, v20, vcc_lo
	v_cmp_ngt_f32_e32 vcc_lo, 0xc2ce8ed0, v24
	v_cndmask_b32_e32 v19, 0, v19, vcc_lo
	s_waitcnt vmcnt(2)
	v_mul_f32_e32 v13, v13, v20
	v_ldexp_f32 v20, v21, v23
	v_add_f32_e32 v21, v22, v7
	v_cmp_nlt_f32_e32 vcc_lo, 0x42b17218, v24
	s_delay_alu instid0(VALU_DEP_2) | instskip(SKIP_4) | instid1(VALU_DEP_4)
	v_add_f32_e32 v21, v21, v8
	v_cndmask_b32_e32 v19, 0x7f800000, v19, vcc_lo
	v_cmp_ngt_f32_e32 vcc_lo, 0xc2ce8ed0, v2
	v_cndmask_b32_e32 v20, 0, v20, vcc_lo
	v_cmp_lt_i32_e32 vcc_lo, 0x120, v11
	v_cndmask_b32_e32 v19, 0, v19, vcc_lo
	v_cmp_nlt_f32_e32 vcc_lo, 0x42b17218, v2
	s_waitcnt vmcnt(1)
	s_delay_alu instid0(VALU_DEP_2) | instskip(SKIP_1) | instid1(VALU_DEP_2)
	v_dual_mul_f32 v15, v15, v19 :: v_dual_cndmask_b32 v2, 0x7f800000, v20
	v_cmp_lt_i32_e32 vcc_lo, 0x140, v11
	v_cndmask_b32_e32 v2, 0, v2, vcc_lo
	v_add_f32_e32 v20, v21, v9
	s_waitcnt vmcnt(0)
	s_delay_alu instid0(VALU_DEP_2) | instskip(NEXT) | instid1(VALU_DEP_2)
	v_mul_f32_e32 v19, v1, v2
	v_add_f32_e32 v11, v20, v13
	s_delay_alu instid0(VALU_DEP_1) | instskip(NEXT) | instid1(VALU_DEP_1)
	v_add_f32_e32 v1, v11, v15
	v_add_f32_e32 v1, v1, v19
	ds_bpermute_b32 v2, v10, v1
	v_lshlrev_b32_e32 v10, 2, v0
	ds_store_2addr_b32 v10, v18, v3 offset1:32
	v_add_nc_u32_e32 v3, 0x400, v10
	ds_store_2addr_b32 v10, v4, v5 offset0:64 offset1:96
	ds_store_2addr_b32 v10, v6, v7 offset0:128 offset1:160
	;; [unrolled: 1-line block ×3, first 2 shown]
	ds_store_2addr_b32 v3, v13, v15 offset1:32
	ds_store_b32 v10, v19 offset:1280
	s_waitcnt lgkmcnt(6)
	v_add_f32_e32 v1, v1, v2
	ds_bpermute_b32 v2, v14, v1
	s_waitcnt lgkmcnt(0)
	v_add_f32_e32 v1, v1, v2
	ds_bpermute_b32 v2, v12, v1
	;; [unrolled: 3-line block ×4, first 2 shown]
	v_cmpx_eq_u32_e32 0, v0
	s_cbranch_execz .LBB32_8
; %bb.7:
	s_waitcnt lgkmcnt(0)
	v_dual_add_f32 v1, v1, v2 :: v_dual_mov_b32 v2, 0
	ds_store_b32 v2, v1 offset:1408
.LBB32_8:
	s_or_b32 exec_lo, exec_lo, s7
	v_mov_b32_e32 v1, s6
.LBB32_9:
	s_or_b32 exec_lo, exec_lo, s24
	s_lshl_b32 s6, s18, 6
	s_mov_b32 s7, 0
	s_waitcnt lgkmcnt(0)
	v_dual_mov_b32 v2, 0 :: v_dual_lshlrev_b32 v1, 6, v1
	s_lshl_b64 s[6:7], s[6:7], 1
	v_dual_mov_b32 v29, 0 :: v_dual_mov_b32 v30, 0
	s_add_u32 s34, s4, s6
	s_addc_u32 s35, s5, s7
	s_lshl_b32 s41, s40, 6
	v_lshlrev_b64 v[3:4], 1, v[1:2]
	s_sub_i32 s42, s41, 64
	s_cmpk_lt_i32 s22, 0x100
	v_lshlrev_b32_e32 v1, 1, v0
	s_cselect_b32 s4, s42, 0
	v_dual_mov_b32 v31, 0 :: v_dual_mov_b32 v32, 0
	s_ashr_i32 s5, s4, 31
	v_add_co_u32 v3, vcc_lo, s34, v3
	s_lshl_b64 s[4:5], s[4:5], 1
	s_cmpk_lt_i32 s22, 0x200
	v_add_co_ci_u32_e32 v4, vcc_lo, s35, v4, vcc_lo
	s_cselect_b32 s6, s42, 64
	v_add_co_u32 v1, vcc_lo, v3, v1
	s_ashr_i32 s7, s6, 31
	s_delay_alu instid0(VALU_DEP_2)
	v_add_co_ci_u32_e32 v3, vcc_lo, 0, v4, vcc_lo
	s_lshl_b64 s[6:7], s[6:7], 1
	s_cmpk_lt_i32 s22, 0x300
	v_add_co_u32 v4, vcc_lo, v1, s4
	s_cselect_b32 s8, s42, 0x80
	v_add_co_ci_u32_e32 v5, vcc_lo, s5, v3, vcc_lo
	s_ashr_i32 s9, s8, 31
	v_add_co_u32 v8, vcc_lo, v1, s6
	s_lshl_b64 s[8:9], s[8:9], 1
	s_cmpk_lt_i32 s22, 0x400
	v_add_co_ci_u32_e32 v9, vcc_lo, s7, v3, vcc_lo
	s_cselect_b32 s10, s42, 0xc0
	v_add_co_u32 v10, vcc_lo, v1, s8
	s_ashr_i32 s11, s10, 31
	v_add_co_ci_u32_e32 v11, vcc_lo, s9, v3, vcc_lo
	s_lshl_b64 s[10:11], s[10:11], 1
	s_cmpk_lt_i32 s22, 0x500
	v_add_co_u32 v12, vcc_lo, v1, s10
	s_cselect_b32 s18, s42, 0x100
	v_add_co_ci_u32_e32 v13, vcc_lo, s11, v3, vcc_lo
	s_ashr_i32 s19, s18, 31
	v_dual_mov_b32 v33, 0 :: v_dual_mov_b32 v34, 0
	s_lshl_b64 s[18:19], s[18:19], 1
	s_cmpk_lt_i32 s22, 0x600
	v_add_co_u32 v14, vcc_lo, v1, s18
	s_cselect_b32 s20, s42, 0x140
	v_add_co_ci_u32_e32 v15, vcc_lo, s19, v3, vcc_lo
	s_ashr_i32 s21, s20, 31
	v_mov_b32_e32 v35, 0
	s_lshl_b64 s[20:21], s[20:21], 1
	s_cmpk_lt_i32 s22, 0x700
	v_add_co_u32 v16, vcc_lo, v1, s20
	s_cselect_b32 s24, s42, 0x180
	v_add_co_ci_u32_e32 v17, vcc_lo, s21, v3, vcc_lo
	s_ashr_i32 s25, s24, 31
	s_delay_alu instid0(SALU_CYCLE_1)
	s_lshl_b64 s[24:25], s[24:25], 1
	s_cmpk_lt_i32 s22, 0x800
	v_add_co_u32 v18, vcc_lo, v1, s24
	s_cselect_b32 s26, s42, 0x1c0
	v_add_co_ci_u32_e32 v19, vcc_lo, s25, v3, vcc_lo
	s_ashr_i32 s27, s26, 31
	s_delay_alu instid0(SALU_CYCLE_1)
	s_lshl_b64 s[26:27], s[26:27], 1
	s_cmpk_lt_i32 s22, 0x900
	v_add_co_u32 v20, vcc_lo, v1, s26
	s_cselect_b32 s28, s42, 0x200
	v_add_co_ci_u32_e32 v21, vcc_lo, s27, v3, vcc_lo
	s_ashr_i32 s29, s28, 31
	s_clause 0x7
	global_load_u16 v7, v[4:5], off
	global_load_u16 v8, v[8:9], off
	;; [unrolled: 1-line block ×8, first 2 shown]
	s_lshl_b64 s[28:29], s[28:29], 1
	s_cmpk_lt_i32 s22, 0xa00
	v_add_co_u32 v12, vcc_lo, v1, s28
	s_cselect_b32 s30, s42, 0x240
	v_add_co_ci_u32_e32 v13, vcc_lo, s29, v3, vcc_lo
	s_ashr_i32 s31, s30, 31
	s_delay_alu instid0(SALU_CYCLE_1)
	s_lshl_b64 s[30:31], s[30:31], 1
	s_cmpk_lt_i32 s22, 0xb00
	v_add_co_u32 v15, vcc_lo, v1, s30
	s_cselect_b32 s34, s42, 0x280
	v_add_co_ci_u32_e32 v16, vcc_lo, s31, v3, vcc_lo
	s_ashr_i32 s35, s34, 31
	s_delay_alu instid0(SALU_CYCLE_1)
	;; [unrolled: 7-line block ×7, first 2 shown]
	s_lshl_b64 s[4:5], s[6:7], 1
	s_cmpk_gt_i32 s23, 0x1000
	v_add_co_u32 v27, vcc_lo, v1, s4
	v_add_co_ci_u32_e32 v28, vcc_lo, s5, v3, vcc_lo
	s_clause 0x7
	global_load_u16 v14, v[12:13], off
	global_load_u16 v15, v[15:16], off
	;; [unrolled: 1-line block ×8, first 2 shown]
	v_dual_mov_b32 v20, 0 :: v_dual_mov_b32 v21, 0
	v_dual_mov_b32 v22, 0 :: v_dual_mov_b32 v23, 0
	;; [unrolled: 1-line block ×4, first 2 shown]
	v_mov_b32_e32 v28, 0
	s_cselect_b32 s8, -1, 0
	s_cmpk_lt_i32 s23, 0x1001
	s_waitcnt vmcnt(0)
	s_barrier
	buffer_gl0_inv
	s_cbranch_scc1 .LBB32_11
; %bb.10:
	s_cmpk_lt_i32 s22, 0x1100
	s_cselect_b32 s4, s42, 0x400
	s_delay_alu instid0(SALU_CYCLE_1) | instskip(NEXT) | instid1(SALU_CYCLE_1)
	s_ashr_i32 s5, s4, 31
	s_lshl_b64 s[4:5], s[4:5], 1
	s_cmpk_lt_i32 s22, 0x1200
	v_add_co_u32 v20, vcc_lo, v1, s4
	s_cselect_b32 s6, s42, 0x440
	v_add_co_ci_u32_e32 v21, vcc_lo, s5, v3, vcc_lo
	s_ashr_i32 s7, s6, 31
	s_delay_alu instid0(SALU_CYCLE_1)
	s_lshl_b64 s[6:7], s[6:7], 1
	s_cmpk_lt_i32 s22, 0x1300
	v_add_co_u32 v22, vcc_lo, v1, s6
	s_cselect_b32 s10, s42, 0x480
	v_add_co_ci_u32_e32 v23, vcc_lo, s7, v3, vcc_lo
	s_ashr_i32 s11, s10, 31
	s_delay_alu instid0(SALU_CYCLE_1)
	;; [unrolled: 7-line block ×7, first 2 shown]
	s_lshl_b64 s[28:29], s[28:29], 1
	s_cmpk_lt_i32 s22, 0x1900
	v_add_co_u32 v34, vcc_lo, v1, s28
	s_cselect_b32 s30, s42, 0x600
	v_add_co_ci_u32_e32 v35, vcc_lo, s29, v3, vcc_lo
	s_ashr_i32 s31, s30, 31
	s_clause 0x7
	global_load_u16 v36, v[20:21], off
	global_load_u16 v37, v[22:23], off
	;; [unrolled: 1-line block ×8, first 2 shown]
	s_lshl_b64 s[30:31], s[30:31], 1
	s_cmpk_lt_i32 s22, 0x1a00
	v_add_co_u32 v20, vcc_lo, v1, s30
	s_cselect_b32 s34, s42, 0x640
	v_add_co_ci_u32_e32 v21, vcc_lo, s31, v3, vcc_lo
	s_ashr_i32 s35, s34, 31
	s_delay_alu instid0(SALU_CYCLE_1)
	s_lshl_b64 s[34:35], s[34:35], 1
	s_cmpk_lt_i32 s22, 0x1b00
	v_add_co_u32 v22, vcc_lo, v1, s34
	s_cselect_b32 s36, s42, 0x680
	v_add_co_ci_u32_e32 v23, vcc_lo, s35, v3, vcc_lo
	s_ashr_i32 s37, s36, 31
	s_delay_alu instid0(SALU_CYCLE_1)
	;; [unrolled: 7-line block ×6, first 2 shown]
	s_lshl_b64 s[4:5], s[20:21], 1
	s_cmpk_lt_i32 s22, 0x2000
	v_add_co_u32 v32, vcc_lo, v1, s4
	s_cselect_b32 s6, s42, 0x7c0
	v_add_co_ci_u32_e32 v33, vcc_lo, s5, v3, vcc_lo
	s_ashr_i32 s7, s6, 31
	s_delay_alu instid0(SALU_CYCLE_1) | instskip(NEXT) | instid1(SALU_CYCLE_1)
	s_lshl_b64 s[4:5], s[6:7], 1
	v_add_co_u32 v34, vcc_lo, v1, s4
	v_add_co_ci_u32_e32 v35, vcc_lo, s5, v3, vcc_lo
	s_clause 0x7
	global_load_u16 v20, v[20:21], off
	global_load_u16 v21, v[22:23], off
	;; [unrolled: 1-line block ×8, first 2 shown]
	s_waitcnt vmcnt(15)
	v_cvt_f32_f16_e32 v35, v36
	s_waitcnt vmcnt(14)
	v_cvt_f32_f16_e32 v34, v37
	;; [unrolled: 2-line block ×16, first 2 shown]
.LBB32_11:
	ds_load_b128 v[36:39], v2
	ds_load_b128 v[40:43], v2 offset:16
	s_load_b64 s[0:1], s[0:1], 0x0
	s_and_b32 vcc_lo, exec_lo, s8
	s_waitcnt lgkmcnt(0)
	v_fma_mix_f32 v7, v36, v7, 0 op_sel_hi:[0,1,0]
	s_delay_alu instid0(VALU_DEP_1) | instskip(NEXT) | instid1(VALU_DEP_1)
	v_fma_mix_f32 v7, v37, v8, v7 op_sel_hi:[0,1,0]
	v_fma_mix_f32 v7, v38, v9, v7 op_sel_hi:[0,1,0]
	s_delay_alu instid0(VALU_DEP_1) | instskip(SKIP_4) | instid1(VALU_DEP_1)
	v_fma_mix_f32 v7, v39, v10, v7 op_sel_hi:[0,1,0]
	ds_load_b128 v[36:39], v2 offset:48
	v_fma_mix_f32 v11, v40, v11, v7 op_sel_hi:[0,1,0]
	ds_load_b128 v[7:10], v2 offset:32
	v_fma_mix_f32 v4, v41, v4, v11 op_sel_hi:[0,1,0]
	v_fma_mix_f32 v4, v42, v5, v4 op_sel_hi:[0,1,0]
	s_delay_alu instid0(VALU_DEP_1) | instskip(SKIP_1) | instid1(VALU_DEP_1)
	v_fma_mix_f32 v4, v43, v6, v4 op_sel_hi:[0,1,0]
	s_waitcnt lgkmcnt(0)
	v_fma_mix_f32 v4, v7, v14, v4 op_sel_hi:[0,1,0]
	s_delay_alu instid0(VALU_DEP_1) | instskip(NEXT) | instid1(VALU_DEP_1)
	v_fma_mix_f32 v4, v8, v15, v4 op_sel_hi:[0,1,0]
	v_fma_mix_f32 v4, v9, v16, v4 op_sel_hi:[0,1,0]
	s_delay_alu instid0(VALU_DEP_1) | instskip(NEXT) | instid1(VALU_DEP_1)
	v_fma_mix_f32 v4, v10, v17, v4 op_sel_hi:[0,1,0]
	;; [unrolled: 3-line block ×3, first 2 shown]
	v_fma_mix_f32 v4, v38, v13, v4 op_sel_hi:[0,1,0]
	s_delay_alu instid0(VALU_DEP_1)
	v_fma_mix_f32 v4, v39, v19, v4 op_sel_hi:[0,1,0]
	s_cbranch_vccz .LBB32_13
; %bb.12:
	ds_load_b128 v[5:8], v2 offset:64
	ds_load_b128 v[9:12], v2 offset:80
	s_waitcnt lgkmcnt(1)
	v_fmac_f32_e32 v4, v5, v35
	s_delay_alu instid0(VALU_DEP_1) | instskip(NEXT) | instid1(VALU_DEP_1)
	v_fmac_f32_e32 v4, v6, v34
	v_fmac_f32_e32 v4, v7, v33
	s_delay_alu instid0(VALU_DEP_1) | instskip(SKIP_3) | instid1(VALU_DEP_1)
	v_fmac_f32_e32 v4, v8, v32
	ds_load_b128 v[5:8], v2 offset:96
	s_waitcnt lgkmcnt(1)
	v_fmac_f32_e32 v4, v9, v31
	v_fmac_f32_e32 v4, v10, v30
	s_delay_alu instid0(VALU_DEP_1) | instskip(NEXT) | instid1(VALU_DEP_1)
	v_fmac_f32_e32 v4, v11, v29
	v_fmac_f32_e32 v4, v12, v28
	ds_load_b128 v[9:12], v2 offset:112
	s_waitcnt lgkmcnt(1)
	v_fmac_f32_e32 v4, v5, v27
	s_delay_alu instid0(VALU_DEP_1) | instskip(NEXT) | instid1(VALU_DEP_1)
	v_fmac_f32_e32 v4, v6, v26
	v_fmac_f32_e32 v4, v7, v25
	s_delay_alu instid0(VALU_DEP_1) | instskip(SKIP_1) | instid1(VALU_DEP_1)
	v_fmac_f32_e32 v4, v8, v24
	s_waitcnt lgkmcnt(0)
	v_fmac_f32_e32 v4, v9, v23
	s_delay_alu instid0(VALU_DEP_1) | instskip(NEXT) | instid1(VALU_DEP_1)
	v_fmac_f32_e32 v4, v10, v22
	v_fmac_f32_e32 v4, v11, v21
	s_delay_alu instid0(VALU_DEP_1)
	v_fmac_f32_e32 v4, v12, v20
.LBB32_13:
	s_movk_i32 s43, 0xfc0
	s_movk_i32 s44, 0x80
	s_mov_b32 s45, 32
	s_branch .LBB32_15
.LBB32_14:                              ;   in Loop: Header=BB32_15 Depth=1
	s_addk_i32 s43, 0x800
	s_addk_i32 s44, 0x80
	s_add_i32 s45, s45, 32
	s_cmpk_eq_i32 s43, 0x5fc0
	s_cbranch_scc1 .LBB32_17
.LBB32_15:                              ; =>This Inner Loop Header: Depth=1
	s_cmp_le_i32 s40, s45
	s_cbranch_scc1 .LBB32_14
; %bb.16:                               ;   in Loop: Header=BB32_15 Depth=1
	s_add_i32 s4, s43, 0xfffff840
	v_mov_b32_e32 v44, s44
	s_cmp_lt_i32 s4, s41
	s_cselect_b32 s4, s4, s42
	s_add_i32 s6, s43, 0xfffff880
	s_ashr_i32 s5, s4, 31
	s_delay_alu instid0(SALU_CYCLE_1)
	s_lshl_b64 s[4:5], s[4:5], 1
	s_cmp_lt_i32 s6, s41
	v_add_co_u32 v5, vcc_lo, v1, s4
	s_cselect_b32 s6, s6, s42
	s_add_i32 s10, s43, 0xfffff8c0
	s_ashr_i32 s7, s6, 31
	v_add_co_ci_u32_e32 v6, vcc_lo, s5, v3, vcc_lo
	s_lshl_b64 s[8:9], s[6:7], 1
	s_cmp_lt_i32 s10, s41
	v_add_co_u32 v7, vcc_lo, v1, s8
	s_cselect_b32 s6, s10, s42
	s_add_i32 s10, s43, 0xfffff900
	s_ashr_i32 s7, s6, 31
	v_add_co_ci_u32_e32 v8, vcc_lo, s9, v3, vcc_lo
	;; [unrolled: 7-line block ×8, first 2 shown]
	s_lshl_b64 s[24:25], s[20:21], 1
	s_cmp_lt_i32 s28, s41
	s_clause 0x7
	global_load_u16 v2, v[5:6], off
	global_load_u16 v21, v[7:8], off
	global_load_u16 v22, v[9:10], off
	global_load_u16 v23, v[11:12], off
	global_load_u16 v24, v[13:14], off
	global_load_u16 v25, v[15:16], off
	global_load_u16 v26, v[17:18], off
	global_load_u16 v27, v[19:20], off
	s_cselect_b32 s20, s28, s42
	s_add_i32 s28, s43, 0xfffffac0
	s_ashr_i32 s21, s20, 31
	v_add_co_u32 v5, vcc_lo, v1, s24
	s_lshl_b64 s[20:21], s[20:21], 1
	s_cmp_lt_i32 s28, s41
	v_add_co_ci_u32_e32 v6, vcc_lo, s25, v3, vcc_lo
	s_cselect_b32 s28, s28, s42
	s_add_i32 s36, s43, 0xfffffb00
	s_ashr_i32 s29, s28, 31
	v_add_co_u32 v7, vcc_lo, v1, s20
	s_lshl_b64 s[30:31], s[28:29], 1
	s_cmp_lt_i32 s36, s41
	v_add_co_ci_u32_e32 v8, vcc_lo, s21, v3, vcc_lo
	;; [unrolled: 7-line block ×8, first 2 shown]
	s_cselect_b32 s10, s10, s42
	s_add_i32 s18, s43, 0xfffffcc0
	s_ashr_i32 s11, s10, 31
	s_clause 0x7
	global_load_u16 v28, v[5:6], off
	global_load_u16 v29, v[7:8], off
	;; [unrolled: 1-line block ×8, first 2 shown]
	s_lshl_b64 s[10:11], s[10:11], 1
	s_cmp_lt_i32 s18, s41
	v_add_co_u32 v5, vcc_lo, v1, s4
	s_cselect_b32 s18, s18, s42
	s_add_i32 s22, s43, 0xfffffd00
	s_ashr_i32 s19, s18, 31
	v_add_co_ci_u32_e32 v6, vcc_lo, s5, v3, vcc_lo
	s_lshl_b64 s[18:19], s[18:19], 1
	s_cmp_lt_i32 s22, s41
	v_add_co_u32 v7, vcc_lo, v1, s10
	s_cselect_b32 s20, s22, s42
	s_add_i32 s22, s43, 0xfffffd40
	s_ashr_i32 s21, s20, 31
	v_add_co_ci_u32_e32 v8, vcc_lo, s11, v3, vcc_lo
	s_lshl_b64 s[20:21], s[20:21], 1
	s_cmp_lt_i32 s22, s41
	v_add_co_u32 v9, vcc_lo, v1, s18
	s_cselect_b32 s22, s22, s42
	s_add_i32 s24, s43, 0xfffffd80
	s_ashr_i32 s23, s22, 31
	v_add_co_ci_u32_e32 v10, vcc_lo, s19, v3, vcc_lo
	s_lshl_b64 s[22:23], s[22:23], 1
	s_cmp_lt_i32 s24, s41
	v_add_co_u32 v11, vcc_lo, v1, s20
	s_cselect_b32 s24, s24, s42
	s_add_i32 s26, s43, 0xfffffdc0
	s_ashr_i32 s25, s24, 31
	v_add_co_ci_u32_e32 v12, vcc_lo, s21, v3, vcc_lo
	s_lshl_b64 s[8:9], s[24:25], 1
	s_cmp_lt_i32 s26, s41
	v_add_co_u32 v13, vcc_lo, v1, s22
	s_cselect_b32 s6, s26, s42
	s_add_i32 s24, s43, 0xfffffe00
	s_ashr_i32 s7, s6, 31
	v_add_co_ci_u32_e32 v14, vcc_lo, s23, v3, vcc_lo
	s_lshl_b64 s[6:7], s[6:7], 1
	s_cmp_lt_i32 s24, s41
	s_clause 0x4
	global_load_u16 v19, v[5:6], off
	global_load_u16 v20, v[7:8], off
	;; [unrolled: 1-line block ×5, first 2 shown]
	s_cselect_b32 s4, s24, s42
	s_add_i32 s10, s43, 0xfffffe40
	s_ashr_i32 s5, s4, 31
	v_add_co_u32 v5, vcc_lo, v1, s8
	s_lshl_b64 s[4:5], s[4:5], 1
	s_cmp_lt_i32 s10, s41
	v_add_co_ci_u32_e32 v6, vcc_lo, s9, v3, vcc_lo
	s_cselect_b32 s10, s10, s42
	s_add_i32 s18, s43, 0xfffffe80
	s_ashr_i32 s11, s10, 31
	v_add_co_u32 v7, vcc_lo, v1, s6
	s_lshl_b64 s[10:11], s[10:11], 1
	s_cmp_lt_i32 s18, s41
	v_add_co_ci_u32_e32 v8, vcc_lo, s7, v3, vcc_lo
	s_cselect_b32 s18, s18, s42
	s_add_i32 s20, s43, 0xfffffec0
	s_ashr_i32 s19, s18, 31
	v_add_co_u32 v9, vcc_lo, v1, s4
	s_lshl_b64 s[18:19], s[18:19], 1
	s_cmp_lt_i32 s20, s41
	global_load_u16 v37, v[5:6], off
	s_cselect_b32 s8, s20, s42
	s_add_i32 s20, s43, 0xffffff00
	s_ashr_i32 s9, s8, 31
	v_add_co_ci_u32_e32 v10, vcc_lo, s5, v3, vcc_lo
	s_lshl_b64 s[6:7], s[8:9], 1
	s_cmp_lt_i32 s20, s41
	v_add_co_u32 v11, vcc_lo, v1, s10
	s_cselect_b32 s4, s20, s42
	s_clause 0x1
	global_load_u16 v38, v[7:8], off
	global_load_u16 v39, v[9:10], off
	v_add_co_ci_u32_e32 v12, vcc_lo, s11, v3, vcc_lo
	s_ashr_i32 s5, s4, 31
	s_add_i32 s8, s43, 0xffffff40
	v_add_co_u32 v13, vcc_lo, v1, s18
	s_lshl_b64 s[4:5], s[4:5], 1
	s_cmp_lt_i32 s8, s41
	v_add_co_ci_u32_e32 v14, vcc_lo, s19, v3, vcc_lo
	v_add_co_u32 v15, vcc_lo, v1, s6
	s_cselect_b32 s8, s8, s42
	v_add_co_ci_u32_e32 v16, vcc_lo, s7, v3, vcc_lo
	s_ashr_i32 s9, s8, 31
	s_add_i32 s10, s43, 0xffffff80
	s_lshl_b64 s[6:7], s[8:9], 1
	s_clause 0x2
	global_load_u16 v40, v[11:12], off
	global_load_u16 v13, v[13:14], off
	;; [unrolled: 1-line block ×3, first 2 shown]
	s_cmp_lt_i32 s10, s41
	v_add_co_u32 v5, vcc_lo, v1, s4
	s_cselect_b32 s8, s10, s42
	s_sub_i32 s10, s43, 64
	s_ashr_i32 s9, s8, 31
	v_add_co_ci_u32_e32 v6, vcc_lo, s5, v3, vcc_lo
	s_lshl_b64 s[8:9], s[8:9], 1
	s_cmp_lt_i32 s10, s41
	v_add_co_u32 v7, vcc_lo, v1, s6
	s_cselect_b32 s4, s10, s42
	v_add_co_ci_u32_e32 v8, vcc_lo, s7, v3, vcc_lo
	s_ashr_i32 s5, s4, 31
	v_add_co_u32 v9, vcc_lo, v1, s8
	global_load_u16 v15, v[5:6], off
	s_lshl_b64 s[4:5], s[4:5], 1
	v_add_co_ci_u32_e32 v10, vcc_lo, s9, v3, vcc_lo
	s_cmp_lt_i32 s43, s41
	s_clause 0x1
	global_load_u16 v16, v[7:8], off
	global_load_u16 v41, v[9:10], off
	s_cselect_b32 s6, s43, s42
	v_add_co_u32 v5, vcc_lo, v1, s4
	s_ashr_i32 s7, s6, 31
	v_add_co_ci_u32_e32 v6, vcc_lo, s5, v3, vcc_lo
	s_lshl_b64 s[4:5], s[6:7], 1
	s_delay_alu instid0(SALU_CYCLE_1)
	v_add_co_u32 v7, vcc_lo, v1, s4
	v_add_co_ci_u32_e32 v8, vcc_lo, s5, v3, vcc_lo
	s_clause 0x1
	global_load_u16 v42, v[5:6], off
	global_load_u16 v43, v[7:8], off
	ds_load_b128 v[5:8], v44
	ds_load_b128 v[9:12], v44 offset:16
	s_waitcnt vmcnt(31) lgkmcnt(1)
	v_fma_mix_f32 v2, v5, v2, v4 op_sel_hi:[0,1,0]
	s_waitcnt vmcnt(30)
	s_delay_alu instid0(VALU_DEP_1) | instskip(SKIP_1) | instid1(VALU_DEP_1)
	v_fma_mix_f32 v2, v6, v21, v2 op_sel_hi:[0,1,0]
	s_waitcnt vmcnt(29)
	v_fma_mix_f32 v2, v7, v22, v2 op_sel_hi:[0,1,0]
	ds_load_b128 v[4:7], v44 offset:32
	s_waitcnt vmcnt(28)
	v_fma_mix_f32 v2, v8, v23, v2 op_sel_hi:[0,1,0]
	s_waitcnt vmcnt(27) lgkmcnt(1)
	s_delay_alu instid0(VALU_DEP_1) | instskip(SKIP_1) | instid1(VALU_DEP_1)
	v_fma_mix_f32 v2, v9, v24, v2 op_sel_hi:[0,1,0]
	s_waitcnt vmcnt(26)
	v_fma_mix_f32 v2, v10, v25, v2 op_sel_hi:[0,1,0]
	s_waitcnt vmcnt(25)
	s_delay_alu instid0(VALU_DEP_1) | instskip(SKIP_4) | instid1(VALU_DEP_1)
	v_fma_mix_f32 v2, v11, v26, v2 op_sel_hi:[0,1,0]
	ds_load_b128 v[8:11], v44 offset:48
	s_waitcnt vmcnt(24)
	v_fma_mix_f32 v2, v12, v27, v2 op_sel_hi:[0,1,0]
	s_waitcnt vmcnt(23) lgkmcnt(1)
	v_fma_mix_f32 v2, v4, v28, v2 op_sel_hi:[0,1,0]
	s_waitcnt vmcnt(22)
	s_delay_alu instid0(VALU_DEP_1) | instskip(SKIP_1) | instid1(VALU_DEP_1)
	v_fma_mix_f32 v2, v5, v29, v2 op_sel_hi:[0,1,0]
	s_waitcnt vmcnt(21)
	v_fma_mix_f32 v2, v6, v30, v2 op_sel_hi:[0,1,0]
	s_waitcnt vmcnt(20)
	s_delay_alu instid0(VALU_DEP_1) | instskip(SKIP_4) | instid1(VALU_DEP_1)
	v_fma_mix_f32 v2, v7, v31, v2 op_sel_hi:[0,1,0]
	ds_load_b128 v[4:7], v44 offset:64
	s_waitcnt vmcnt(19) lgkmcnt(1)
	v_fma_mix_f32 v2, v8, v32, v2 op_sel_hi:[0,1,0]
	s_waitcnt vmcnt(18)
	v_fma_mix_f32 v2, v9, v33, v2 op_sel_hi:[0,1,0]
	s_waitcnt vmcnt(17)
	s_delay_alu instid0(VALU_DEP_1) | instskip(SKIP_1) | instid1(VALU_DEP_1)
	v_fma_mix_f32 v2, v10, v17, v2 op_sel_hi:[0,1,0]
	s_waitcnt vmcnt(16)
	v_fma_mix_f32 v2, v11, v18, v2 op_sel_hi:[0,1,0]
	ds_load_b128 v[8:11], v44 offset:80
	s_waitcnt vmcnt(15) lgkmcnt(1)
	v_fma_mix_f32 v2, v4, v19, v2 op_sel_hi:[0,1,0]
	s_waitcnt vmcnt(14)
	s_delay_alu instid0(VALU_DEP_1) | instskip(SKIP_1) | instid1(VALU_DEP_1)
	v_fma_mix_f32 v2, v5, v20, v2 op_sel_hi:[0,1,0]
	s_waitcnt vmcnt(13)
	v_fma_mix_f32 v2, v6, v34, v2 op_sel_hi:[0,1,0]
	s_waitcnt vmcnt(12)
	s_delay_alu instid0(VALU_DEP_1) | instskip(SKIP_4) | instid1(VALU_DEP_1)
	v_fma_mix_f32 v2, v7, v35, v2 op_sel_hi:[0,1,0]
	ds_load_b128 v[4:7], v44 offset:96
	s_waitcnt vmcnt(11) lgkmcnt(1)
	v_fma_mix_f32 v2, v8, v36, v2 op_sel_hi:[0,1,0]
	s_waitcnt vmcnt(10)
	v_fma_mix_f32 v2, v9, v37, v2 op_sel_hi:[0,1,0]
	s_waitcnt vmcnt(9)
	s_delay_alu instid0(VALU_DEP_1) | instskip(SKIP_1) | instid1(VALU_DEP_1)
	v_fma_mix_f32 v2, v10, v38, v2 op_sel_hi:[0,1,0]
	s_waitcnt vmcnt(8)
	v_fma_mix_f32 v2, v11, v39, v2 op_sel_hi:[0,1,0]
	ds_load_b128 v[8:11], v44 offset:112
	s_waitcnt vmcnt(7) lgkmcnt(1)
	v_fma_mix_f32 v2, v4, v40, v2 op_sel_hi:[0,1,0]
	s_waitcnt vmcnt(6)
	s_delay_alu instid0(VALU_DEP_1) | instskip(SKIP_1) | instid1(VALU_DEP_1)
	v_fma_mix_f32 v2, v5, v13, v2 op_sel_hi:[0,1,0]
	s_waitcnt vmcnt(5)
	v_fma_mix_f32 v2, v6, v14, v2 op_sel_hi:[0,1,0]
	s_waitcnt vmcnt(4)
	s_delay_alu instid0(VALU_DEP_1) | instskip(SKIP_1) | instid1(VALU_DEP_1)
	v_fma_mix_f32 v2, v7, v15, v2 op_sel_hi:[0,1,0]
	s_waitcnt vmcnt(3) lgkmcnt(0)
	v_fma_mix_f32 v2, v8, v16, v2 op_sel_hi:[0,1,0]
	s_waitcnt vmcnt(2)
	s_delay_alu instid0(VALU_DEP_1) | instskip(SKIP_1) | instid1(VALU_DEP_1)
	v_fma_mix_f32 v2, v9, v41, v2 op_sel_hi:[0,1,0]
	s_waitcnt vmcnt(1)
	v_fma_mix_f32 v2, v10, v42, v2 op_sel_hi:[0,1,0]
	s_waitcnt vmcnt(0)
	s_delay_alu instid0(VALU_DEP_1)
	v_fma_mix_f32 v4, v11, v43, v2 op_sel_hi:[0,1,0]
	s_branch .LBB32_14
.LBB32_17:
	v_mov_b32_e32 v1, 0
	s_and_b32 vcc_lo, exec_lo, s15
	ds_load_b32 v1, v1 offset:1408
	s_cbranch_vccz .LBB32_19
; %bb.18:
	s_add_u32 s2, s12, s16
	s_addc_u32 s3, s13, s17
	s_load_b32 s2, s[2:3], 0x0
	s_mov_b32 s3, 0
.LBB32_19:
	s_waitcnt lgkmcnt(0)
	v_add_f32_e32 v1, 0x358637bd, v1
	s_mul_i32 s3, s33, s3
	s_mul_hi_u32 s4, s33, s2
	s_mul_i32 s2, s33, s2
	s_add_i32 s3, s4, s3
	v_div_scale_f32 v2, null, v1, v1, 1.0
	v_div_scale_f32 v6, vcc_lo, 1.0, v1, 1.0
	s_lshl_b64 s[2:3], s[2:3], 6
	s_delay_alu instid0(VALU_DEP_2) | instskip(SKIP_4) | instid1(SALU_CYCLE_1)
	v_rcp_f32_e32 v3, v2
	s_mov_b32 s15, 0
	s_add_u32 s2, s0, s2
	s_addc_u32 s3, s1, s3
	s_lshl_b64 s[0:1], s[14:15], 6
	s_add_u32 s0, s2, s0
	s_addc_u32 s1, s3, s1
	v_add_co_u32 v0, s0, s0, v0
	s_waitcnt_depctr 0xfff
	v_fma_f32 v5, -v2, v3, 1.0
	s_delay_alu instid0(VALU_DEP_1) | instskip(NEXT) | instid1(VALU_DEP_1)
	v_fmac_f32_e32 v3, v5, v3
	v_mul_f32_e32 v5, v6, v3
	s_delay_alu instid0(VALU_DEP_1) | instskip(NEXT) | instid1(VALU_DEP_1)
	v_fma_f32 v7, -v2, v5, v6
	v_fmac_f32_e32 v5, v7, v3
	s_delay_alu instid0(VALU_DEP_1) | instskip(NEXT) | instid1(VALU_DEP_1)
	v_fma_f32 v2, -v2, v5, v6
	v_div_fmas_f32 v2, v2, v3, v5
	s_delay_alu instid0(VALU_DEP_1) | instskip(NEXT) | instid1(VALU_DEP_1)
	v_div_fixup_f32 v1, v2, v1, 1.0
	v_fma_mixlo_f16 v1, v4, v1, 0
	s_delay_alu instid0(VALU_DEP_1)
	v_cvt_i16_f16_e32 v2, v1
	v_add_co_ci_u32_e64 v1, null, s1, 0, s0
	global_store_b8 v[0:1], v2, off
	s_nop 0
	s_sendmsg sendmsg(MSG_DEALLOC_VGPRS)
	s_endpgm
.LBB32_20:
	s_mov_b32 s4, 0
	s_branch .LBB32_2
	.section	.rodata,"a",@progbits
	.p2align	6, 0x0
	.amdhsa_kernel _Z35paged_attention_ll4mi_reduce_kernelIDF16_hLi64ELi64ELi256ELi11EEvPT0_PKfS3_PKT_PKiS8_iS3_
		.amdhsa_group_segment_fixed_size 1412
		.amdhsa_private_segment_fixed_size 0
		.amdhsa_kernarg_size 320
		.amdhsa_user_sgpr_count 14
		.amdhsa_user_sgpr_dispatch_ptr 0
		.amdhsa_user_sgpr_queue_ptr 0
		.amdhsa_user_sgpr_kernarg_segment_ptr 1
		.amdhsa_user_sgpr_dispatch_id 0
		.amdhsa_user_sgpr_private_segment_size 0
		.amdhsa_wavefront_size32 1
		.amdhsa_uses_dynamic_stack 0
		.amdhsa_enable_private_segment 0
		.amdhsa_system_sgpr_workgroup_id_x 1
		.amdhsa_system_sgpr_workgroup_id_y 1
		.amdhsa_system_sgpr_workgroup_id_z 0
		.amdhsa_system_sgpr_workgroup_info 0
		.amdhsa_system_vgpr_workitem_id 0
		.amdhsa_next_free_vgpr 62
		.amdhsa_next_free_sgpr 47
		.amdhsa_reserve_vcc 1
		.amdhsa_float_round_mode_32 0
		.amdhsa_float_round_mode_16_64 0
		.amdhsa_float_denorm_mode_32 3
		.amdhsa_float_denorm_mode_16_64 3
		.amdhsa_dx10_clamp 1
		.amdhsa_ieee_mode 1
		.amdhsa_fp16_overflow 0
		.amdhsa_workgroup_processor_mode 1
		.amdhsa_memory_ordered 1
		.amdhsa_forward_progress 0
		.amdhsa_shared_vgpr_count 0
		.amdhsa_exception_fp_ieee_invalid_op 0
		.amdhsa_exception_fp_denorm_src 0
		.amdhsa_exception_fp_ieee_div_zero 0
		.amdhsa_exception_fp_ieee_overflow 0
		.amdhsa_exception_fp_ieee_underflow 0
		.amdhsa_exception_fp_ieee_inexact 0
		.amdhsa_exception_int_div_zero 0
	.end_amdhsa_kernel
	.section	.text._Z35paged_attention_ll4mi_reduce_kernelIDF16_hLi64ELi64ELi256ELi11EEvPT0_PKfS3_PKT_PKiS8_iS3_,"axG",@progbits,_Z35paged_attention_ll4mi_reduce_kernelIDF16_hLi64ELi64ELi256ELi11EEvPT0_PKfS3_PKT_PKiS8_iS3_,comdat
.Lfunc_end32:
	.size	_Z35paged_attention_ll4mi_reduce_kernelIDF16_hLi64ELi64ELi256ELi11EEvPT0_PKfS3_PKT_PKiS8_iS3_, .Lfunc_end32-_Z35paged_attention_ll4mi_reduce_kernelIDF16_hLi64ELi64ELi256ELi11EEvPT0_PKfS3_PKT_PKiS8_iS3_
                                        ; -- End function
	.section	.AMDGPU.csdata,"",@progbits
; Kernel info:
; codeLenInByte = 7112
; NumSgprs: 49
; NumVgprs: 62
; ScratchSize: 0
; MemoryBound: 0
; FloatMode: 240
; IeeeMode: 1
; LDSByteSize: 1412 bytes/workgroup (compile time only)
; SGPRBlocks: 6
; VGPRBlocks: 7
; NumSGPRsForWavesPerEU: 49
; NumVGPRsForWavesPerEU: 62
; Occupancy: 16
; WaveLimiterHint : 0
; COMPUTE_PGM_RSRC2:SCRATCH_EN: 0
; COMPUTE_PGM_RSRC2:USER_SGPR: 14
; COMPUTE_PGM_RSRC2:TRAP_HANDLER: 0
; COMPUTE_PGM_RSRC2:TGID_X_EN: 1
; COMPUTE_PGM_RSRC2:TGID_Y_EN: 1
; COMPUTE_PGM_RSRC2:TGID_Z_EN: 0
; COMPUTE_PGM_RSRC2:TIDIG_COMP_CNT: 0
	.section	.text._Z35paged_attention_ll4mi_reduce_kernelIDF16_hLi64ELi64ELi256ELi12EEvPT0_PKfS3_PKT_PKiS8_iS3_,"axG",@progbits,_Z35paged_attention_ll4mi_reduce_kernelIDF16_hLi64ELi64ELi256ELi12EEvPT0_PKfS3_PKT_PKiS8_iS3_,comdat
	.protected	_Z35paged_attention_ll4mi_reduce_kernelIDF16_hLi64ELi64ELi256ELi12EEvPT0_PKfS3_PKT_PKiS8_iS3_ ; -- Begin function _Z35paged_attention_ll4mi_reduce_kernelIDF16_hLi64ELi64ELi256ELi12EEvPT0_PKfS3_PKT_PKiS8_iS3_
	.globl	_Z35paged_attention_ll4mi_reduce_kernelIDF16_hLi64ELi64ELi256ELi12EEvPT0_PKfS3_PKT_PKiS8_iS3_
	.p2align	8
	.type	_Z35paged_attention_ll4mi_reduce_kernelIDF16_hLi64ELi64ELi256ELi12EEvPT0_PKfS3_PKT_PKiS8_iS3_,@function
_Z35paged_attention_ll4mi_reduce_kernelIDF16_hLi64ELi64ELi256ELi12EEvPT0_PKfS3_PKT_PKiS8_iS3_: ; @_Z35paged_attention_ll4mi_reduce_kernelIDF16_hLi64ELi64ELi256ELi12EEvPT0_PKfS3_PKT_PKiS8_iS3_
; %bb.0:
	s_load_b64 s[12:13], s[0:1], 0x28
	s_mov_b32 s2, s15
	s_waitcnt lgkmcnt(0)
	s_cmp_lg_u64 s[12:13], 0
	s_cselect_b32 s15, -1, 0
	s_delay_alu instid0(SALU_CYCLE_1)
	s_and_b32 vcc_lo, exec_lo, s15
	s_cbranch_vccz .LBB33_20
; %bb.1:
	s_add_i32 s4, s2, 1
	s_mov_b32 s5, 0
	s_delay_alu instid0(SALU_CYCLE_1) | instskip(SKIP_4) | instid1(SALU_CYCLE_1)
	s_lshl_b64 s[6:7], s[4:5], 2
	s_mov_b32 s3, s5
	s_add_u32 s6, s12, s6
	s_addc_u32 s7, s13, s7
	s_lshl_b64 s[8:9], s[2:3], 2
	s_add_u32 s8, s12, s8
	s_addc_u32 s9, s13, s9
	s_clause 0x1
	s_load_b32 s4, s[6:7], 0x0
	s_load_b32 s6, s[8:9], 0x0
	s_waitcnt lgkmcnt(0)
	s_sub_i32 s4, s4, s6
	s_delay_alu instid0(SALU_CYCLE_1)
	s_cmp_eq_u32 s4, 1
	s_cselect_b32 s4, -1, 0
	s_cbranch_execnz .LBB33_3
.LBB33_2:
	s_mov_b32 s3, 0
	s_mov_b32 s4, -1
.LBB33_3:
	s_delay_alu instid0(SALU_CYCLE_1)
	s_and_not1_b32 vcc_lo, exec_lo, s4
	s_cbranch_vccz .LBB33_5
; %bb.4:
	s_endpgm
.LBB33_5:
	s_clause 0x1
	s_load_b128 s[4:7], s[0:1], 0x18
	s_load_b32 s9, s[0:1], 0x30
	s_lshl_b64 s[16:17], s[2:3], 2
	s_waitcnt lgkmcnt(0)
	s_add_u32 s6, s6, s16
	s_addc_u32 s7, s7, s17
	s_load_b32 s23, s[6:7], 0x0
	s_load_b32 s33, s[0:1], 0x40
	s_mul_i32 s7, s2, s9
	s_waitcnt lgkmcnt(0)
	s_add_i32 s22, s23, 0xff
	s_delay_alu instid0(SALU_CYCLE_1) | instskip(NEXT) | instid1(SALU_CYCLE_1)
	s_ashr_i32 s6, s22, 31
	s_lshr_b32 s6, s6, 24
	s_delay_alu instid0(SALU_CYCLE_1) | instskip(SKIP_4) | instid1(SALU_CYCLE_1)
	s_add_i32 s8, s22, s6
	s_mul_i32 s6, s14, s9
	s_mov_b32 s9, exec_lo
	v_cmpx_lt_u32_e32 31, v0
	s_xor_b32 s9, exec_lo, s9
	s_or_saveexec_b32 s24, s9
	v_mov_b32_e32 v1, s6
	s_ashr_i32 s40, s8, 8
	s_mul_i32 s18, s7, s33
	s_xor_b32 exec_lo, exec_lo, s24
	s_cbranch_execz .LBB33_9
; %bb.6:
	v_or_b32_e32 v2, 32, v0
	v_cmp_gt_i32_e32 vcc_lo, s40, v0
	s_add_i32 s20, s40, -1
	v_or_b32_e32 v4, 64, v0
	v_or_b32_e32 v6, 0x60, v0
	s_load_b128 s[8:11], s[0:1], 0x8
	v_cndmask_b32_e32 v1, s20, v0, vcc_lo
	v_cmp_gt_i32_e32 vcc_lo, s40, v2
	s_mov_b32 s19, 0
	s_delay_alu instid0(SALU_CYCLE_1)
	s_mov_b32 s7, s19
	v_cndmask_b32_e32 v3, s20, v2, vcc_lo
	v_cmp_gt_i32_e32 vcc_lo, s40, v4
	v_or_b32_e32 v2, 0x80, v0
	v_cndmask_b32_e32 v5, s20, v4, vcc_lo
	v_cmp_gt_i32_e32 vcc_lo, s40, v6
	v_or_b32_e32 v4, 0xa0, v0
	v_cndmask_b32_e32 v7, s20, v6, vcc_lo
	v_cmp_gt_i32_e32 vcc_lo, s40, v2
	v_or_b32_e32 v6, 0xc0, v0
	s_delay_alu instid0(VALU_DEP_3) | instskip(SKIP_3) | instid1(VALU_DEP_3)
	v_ashrrev_i32_e32 v8, 31, v7
	v_cndmask_b32_e32 v9, s20, v2, vcc_lo
	v_cmp_gt_i32_e32 vcc_lo, s40, v4
	v_or_b32_e32 v2, 0xe0, v0
	v_ashrrev_i32_e32 v10, 31, v9
	v_cndmask_b32_e32 v11, s20, v4, vcc_lo
	v_cmp_gt_i32_e32 vcc_lo, s40, v6
	v_or_b32_e32 v4, 0x100, v0
	s_delay_alu instid0(VALU_DEP_3) | instskip(SKIP_3) | instid1(VALU_DEP_3)
	v_ashrrev_i32_e32 v12, 31, v11
	v_cndmask_b32_e32 v13, s20, v6, vcc_lo
	v_cmp_gt_i32_e32 vcc_lo, s40, v2
	v_or_b32_e32 v6, 0x140, v0
	v_ashrrev_i32_e32 v14, 31, v13
	v_cndmask_b32_e32 v15, s20, v2, vcc_lo
	v_or_b32_e32 v2, 0x120, v0
	v_cmp_gt_i32_e32 vcc_lo, s40, v4
	s_delay_alu instid0(VALU_DEP_3) | instskip(SKIP_1) | instid1(VALU_DEP_4)
	v_ashrrev_i32_e32 v16, 31, v15
	v_cndmask_b32_e32 v17, s20, v4, vcc_lo
	v_cmp_gt_i32_e32 vcc_lo, s40, v2
	v_or_b32_e32 v4, 0x160, v0
	s_delay_alu instid0(VALU_DEP_3) | instskip(SKIP_3) | instid1(VALU_DEP_3)
	v_ashrrev_i32_e32 v18, 31, v17
	v_cndmask_b32_e32 v19, s20, v2, vcc_lo
	v_cmp_gt_i32_e32 vcc_lo, s40, v6
	v_ashrrev_i32_e32 v2, 31, v1
	v_ashrrev_i32_e32 v20, 31, v19
	v_cndmask_b32_e32 v21, s20, v6, vcc_lo
	v_cmp_gt_i32_e32 vcc_lo, s40, v4
	s_delay_alu instid0(VALU_DEP_4) | instskip(SKIP_1) | instid1(VALU_DEP_4)
	v_lshlrev_b64 v[25:26], 2, v[1:2]
	v_ashrrev_i32_e32 v6, 31, v5
	v_ashrrev_i32_e32 v22, 31, v21
	v_cndmask_b32_e32 v23, s20, v4, vcc_lo
	v_ashrrev_i32_e32 v4, 31, v3
	s_lshl_b64 s[20:21], s[18:19], 2
	s_waitcnt lgkmcnt(0)
	s_add_u32 s19, s10, s20
	s_addc_u32 s25, s11, s21
	s_lshl_b64 s[10:11], s[6:7], 2
	v_lshlrev_b64 v[2:3], 2, v[3:4]
	s_add_u32 s7, s19, s10
	s_addc_u32 s19, s25, s11
	v_add_co_u32 v27, vcc_lo, s7, v25
	v_lshlrev_b64 v[4:5], 2, v[5:6]
	v_add_co_ci_u32_e32 v28, vcc_lo, s19, v26, vcc_lo
	v_add_co_u32 v29, vcc_lo, s7, v2
	v_lshlrev_b64 v[6:7], 2, v[7:8]
	v_add_co_ci_u32_e32 v30, vcc_lo, s19, v3, vcc_lo
	;; [unrolled: 3-line block ×4, first 2 shown]
	s_clause 0x3
	global_load_b32 v39, v[27:28], off
	global_load_b32 v40, v[29:30], off
	;; [unrolled: 1-line block ×4, first 2 shown]
	v_add_co_u32 v27, vcc_lo, s7, v8
	v_lshlrev_b64 v[12:13], 2, v[13:14]
	v_add_co_ci_u32_e32 v28, vcc_lo, s19, v9, vcc_lo
	v_add_co_u32 v29, vcc_lo, s7, v10
	v_lshlrev_b64 v[14:15], 2, v[15:16]
	v_add_co_ci_u32_e32 v30, vcc_lo, s19, v11, vcc_lo
	;; [unrolled: 3-line block ×4, first 2 shown]
	v_ashrrev_i32_e32 v24, 31, v23
	v_add_co_u32 v35, vcc_lo, s7, v16
	v_lshlrev_b64 v[20:21], 2, v[21:22]
	v_add_co_ci_u32_e32 v36, vcc_lo, s19, v17, vcc_lo
	v_add_co_u32 v37, vcc_lo, s7, v18
	v_lshlrev_b64 v[22:23], 2, v[23:24]
	v_add_co_ci_u32_e32 v38, vcc_lo, s19, v19, vcc_lo
	s_clause 0x5
	global_load_b32 v43, v[27:28], off
	global_load_b32 v44, v[29:30], off
	;; [unrolled: 1-line block ×6, first 2 shown]
	v_add_co_u32 v27, vcc_lo, s7, v20
	v_add_co_ci_u32_e32 v28, vcc_lo, s19, v21, vcc_lo
	v_add_co_u32 v29, vcc_lo, s7, v22
	v_add_co_ci_u32_e32 v30, vcc_lo, s19, v23, vcc_lo
	s_clause 0x1
	global_load_b32 v27, v[27:28], off
	global_load_b32 v28, v[29:30], off
	v_mbcnt_lo_u32_b32 v29, -1, 0
	s_add_u32 s7, s8, s20
	s_addc_u32 s8, s9, s21
	s_add_u32 s7, s7, s10
	s_addc_u32 s8, s8, s11
	v_xor_b32_e32 v1, 16, v29
	v_xor_b32_e32 v24, 8, v29
	s_delay_alu instid0(VALU_DEP_2) | instskip(SKIP_1) | instid1(VALU_DEP_3)
	v_cmp_gt_i32_e32 vcc_lo, 32, v1
	v_cndmask_b32_e32 v1, v29, v1, vcc_lo
	v_cmp_gt_i32_e32 vcc_lo, 32, v24
	s_delay_alu instid0(VALU_DEP_2) | instskip(SKIP_2) | instid1(VALU_DEP_1)
	v_dual_cndmask_b32 v30, v29, v24 :: v_dual_lshlrev_b32 v1, 2, v1
	s_waitcnt vmcnt(10)
	v_dual_max_f32 v35, v39, v39 :: v_dual_max_f32 v24, v40, v40
	v_max_f32_e32 v35, v35, v24
	v_add_co_u32 v24, vcc_lo, s7, v25
	v_add_co_ci_u32_e32 v25, vcc_lo, s8, v26, vcc_lo
	s_waitcnt vmcnt(8)
	s_delay_alu instid0(VALU_DEP_3)
	v_max3_f32 v26, v35, v41, v42
	v_add_co_u32 v2, vcc_lo, s7, v2
	v_add_co_ci_u32_e32 v3, vcc_lo, s8, v3, vcc_lo
	v_add_co_u32 v4, vcc_lo, s7, v4
	v_add_co_ci_u32_e32 v5, vcc_lo, s8, v5, vcc_lo
	;; [unrolled: 2-line block ×3, first 2 shown]
	s_clause 0x1
	global_load_b32 v24, v[24:25], off
	global_load_b32 v25, v[2:3], off
	v_add_co_u32 v2, vcc_lo, s7, v8
	v_add_co_ci_u32_e32 v3, vcc_lo, s8, v9, vcc_lo
	global_load_b32 v35, v[4:5], off
	v_add_co_u32 v4, vcc_lo, s7, v10
	s_waitcnt vmcnt(9)
	v_max3_f32 v26, v26, v43, v44
	v_add_co_ci_u32_e32 v5, vcc_lo, s8, v11, vcc_lo
	global_load_b32 v10, v[6:7], off
	v_add_co_u32 v6, vcc_lo, s7, v12
	s_waitcnt vmcnt(8)
	v_max3_f32 v26, v26, v31, v32
	v_add_co_ci_u32_e32 v7, vcc_lo, s8, v13, vcc_lo
	s_clause 0x1
	global_load_b32 v12, v[2:3], off
	global_load_b32 v4, v[4:5], off
	s_waitcnt vmcnt(8)
	v_max3_f32 v26, v26, v33, v34
	v_add_co_u32 v2, vcc_lo, s7, v14
	v_add_co_ci_u32_e32 v3, vcc_lo, s8, v15, vcc_lo
	s_waitcnt vmcnt(6)
	s_delay_alu instid0(VALU_DEP_3)
	v_max3_f32 v26, v26, v27, v28
	v_add_co_u32 v8, vcc_lo, s7, v16
	v_add_co_ci_u32_e32 v9, vcc_lo, s8, v17, vcc_lo
	ds_bpermute_b32 v11, v1, v26
	s_clause 0x2
	global_load_b32 v6, v[6:7], off
	global_load_b32 v7, v[2:3], off
	;; [unrolled: 1-line block ×3, first 2 shown]
	v_lshlrev_b32_e32 v5, 2, v30
	v_add_co_u32 v2, vcc_lo, s7, v18
	v_add_co_ci_u32_e32 v3, vcc_lo, s8, v19, vcc_lo
	v_xor_b32_e32 v15, 4, v29
	v_xor_b32_e32 v16, 1, v29
	s_waitcnt lgkmcnt(0)
	v_max_f32_e32 v9, v11, v11
	global_load_b32 v11, v[2:3], off
	v_add_co_u32 v2, vcc_lo, s7, v20
	v_add_co_ci_u32_e32 v3, vcc_lo, s8, v21, vcc_lo
	v_max_f32_e32 v9, v26, v9
	global_load_b32 v14, v[2:3], off
	v_add_co_u32 v2, vcc_lo, s7, v22
	ds_bpermute_b32 v13, v5, v9
	v_add_co_ci_u32_e32 v3, vcc_lo, s8, v23, vcc_lo
	v_cmp_gt_i32_e32 vcc_lo, 32, v15
	s_mov_b32 s7, exec_lo
	global_load_b32 v3, v[2:3], off
	v_cndmask_b32_e32 v15, v29, v15, vcc_lo
	s_waitcnt lgkmcnt(0)
	s_delay_alu instid0(VALU_DEP_1) | instskip(SKIP_1) | instid1(VALU_DEP_2)
	v_dual_max_f32 v2, v13, v13 :: v_dual_lshlrev_b32 v13, 2, v15
	v_xor_b32_e32 v15, 2, v29
	v_max_f32_e32 v2, v9, v2
	s_delay_alu instid0(VALU_DEP_2) | instskip(SKIP_3) | instid1(VALU_DEP_2)
	v_cmp_gt_i32_e32 vcc_lo, 32, v15
	ds_bpermute_b32 v9, v13, v2
	v_cndmask_b32_e32 v15, v29, v15, vcc_lo
	v_cmp_gt_i32_e32 vcc_lo, 32, v16
	v_dual_cndmask_b32 v16, v29, v16 :: v_dual_lshlrev_b32 v15, 2, v15
	s_waitcnt lgkmcnt(0)
	s_delay_alu instid0(VALU_DEP_1) | instskip(NEXT) | instid1(VALU_DEP_1)
	v_dual_max_f32 v9, v9, v9 :: v_dual_lshlrev_b32 v16, 2, v16
	v_max_f32_e32 v2, v2, v9
	ds_bpermute_b32 v9, v15, v2
	s_waitcnt lgkmcnt(0)
	v_max_f32_e32 v9, v9, v9
	s_delay_alu instid0(VALU_DEP_1) | instskip(SKIP_3) | instid1(VALU_DEP_1)
	v_max_f32_e32 v2, v2, v9
	ds_bpermute_b32 v9, v16, v2
	s_waitcnt lgkmcnt(0)
	v_max_f32_e32 v9, v9, v9
	v_max_f32_e32 v2, v2, v9
	v_sub_nc_u32_e32 v9, s40, v0
	s_delay_alu instid0(VALU_DEP_2)
	v_sub_f32_e32 v21, v43, v2
	v_sub_f32_e32 v30, v34, v2
	;; [unrolled: 1-line block ×5, first 2 shown]
	v_mul_f32_e32 v34, 0x3fb8aa3b, v21
	v_sub_f32_e32 v18, v40, v2
	v_mul_f32_e32 v36, 0x3fb8aa3b, v22
	v_mul_f32_e32 v32, 0x3fb8aa3b, v19
	;; [unrolled: 1-line block ×3, first 2 shown]
	v_fma_f32 v51, 0x3fb8aa3b, v21, -v34
	v_rndne_f32_e32 v52, v34
	v_mul_f32_e32 v40, 0x3fb8aa3b, v30
	v_fma_f32 v53, 0x3fb8aa3b, v22, -v36
	v_rndne_f32_e32 v54, v36
	s_delay_alu instid0(VALU_DEP_4)
	v_dual_fmac_f32 v51, 0x32a5705f, v21 :: v_dual_sub_f32 v34, v34, v52
	v_sub_f32_e32 v20, v42, v2
	v_fma_f32 v47, 0x3fb8aa3b, v19, -v32
	v_rndne_f32_e32 v48, v32
	v_fma_f32 v57, 0x3fb8aa3b, v26, -v38
	v_add_f32_e32 v34, v34, v51
	v_rndne_f32_e32 v58, v38
	v_fma_f32 v61, 0x3fb8aa3b, v30, -v40
	v_rndne_f32_e32 v62, v40
	v_cvt_i32_f32_e32 v52, v52
	v_exp_f32_e32 v34, v34
	v_fmac_f32_e32 v53, 0x32a5705f, v22
	v_sub_f32_e32 v36, v36, v54
	v_sub_f32_e32 v23, v31, v2
	v_dual_sub_f32 v17, v39, v2 :: v_dual_sub_f32 v32, v32, v48
	v_fmac_f32_e32 v57, 0x32a5705f, v26
	v_sub_f32_e32 v38, v38, v58
	v_sub_f32_e32 v29, v33, v2
	v_dual_mul_f32 v33, 0x3fb8aa3b, v20 :: v_dual_sub_f32 v40, v40, v62
	v_fmac_f32_e32 v61, 0x32a5705f, v30
	v_sub_f32_e32 v27, v27, v2
	v_sub_f32_e32 v2, v28, v2
	v_dual_add_f32 v36, v36, v53 :: v_dual_mul_f32 v37, 0x3fb8aa3b, v23
	v_ldexp_f32 v34, v34, v52
	v_fmac_f32_e32 v47, 0x32a5705f, v19
	s_delay_alu instid0(VALU_DEP_4)
	v_mul_f32_e32 v42, 0x3fb8aa3b, v2
	v_mul_f32_e32 v28, 0x3fb8aa3b, v17
	v_add_f32_e32 v40, v40, v61
	v_cvt_i32_f32_e32 v48, v48
	v_add_f32_e32 v32, v32, v47
	v_fma_f32 v65, 0x3fb8aa3b, v2, -v42
	v_rndne_f32_e32 v66, v42
	v_fma_f32 v43, 0x3fb8aa3b, v17, -v28
	v_rndne_f32_e32 v44, v28
	v_exp_f32_e32 v32, v32
	v_fmac_f32_e32 v65, 0x32a5705f, v2
	v_sub_f32_e32 v42, v42, v66
	v_dual_mul_f32 v31, 0x3fb8aa3b, v18 :: v_dual_add_f32 v38, v38, v57
	v_mul_f32_e32 v39, 0x3fb8aa3b, v29
	v_exp_f32_e32 v36, v36
	v_exp_f32_e32 v40, v40
	v_sub_f32_e32 v28, v28, v44
	v_cvt_i32_f32_e32 v54, v54
	v_cvt_i32_f32_e32 v62, v62
	v_add_f32_e32 v42, v42, v65
	v_fma_f32 v45, 0x3fb8aa3b, v18, -v31
	v_rndne_f32_e32 v46, v31
	v_ldexp_f32 v32, v32, v48
	v_fmac_f32_e32 v43, 0x32a5705f, v17
	v_ldexp_f32 v36, v36, v54
	v_fmac_f32_e32 v45, 0x32a5705f, v18
	v_ldexp_f32 v40, v40, v62
	s_delay_alu instid0(VALU_DEP_4) | instskip(SKIP_3) | instid1(VALU_DEP_3)
	v_dual_sub_f32 v31, v31, v46 :: v_dual_add_f32 v28, v28, v43
	v_cvt_i32_f32_e32 v44, v44
	v_cvt_i32_f32_e32 v46, v46
	v_exp_f32_e32 v38, v38
	v_add_f32_e32 v31, v31, v45
	v_exp_f32_e32 v28, v28
	v_cmp_ngt_f32_e32 vcc_lo, 0xc2ce8ed0, v17
	v_fma_f32 v49, 0x3fb8aa3b, v20, -v33
	v_rndne_f32_e32 v50, v33
	v_exp_f32_e32 v31, v31
	v_cvt_i32_f32_e32 v58, v58
	v_fma_f32 v55, 0x3fb8aa3b, v23, -v37
	v_rndne_f32_e32 v56, v37
	v_fma_f32 v59, 0x3fb8aa3b, v29, -v39
	v_rndne_f32_e32 v60, v39
	v_ldexp_f32 v28, v28, v44
	v_mul_f32_e32 v41, 0x3fb8aa3b, v27
	v_ldexp_f32 v38, v38, v58
	v_fmac_f32_e32 v49, 0x32a5705f, v20
	v_ldexp_f32 v31, v31, v46
	v_cndmask_b32_e32 v28, 0, v28, vcc_lo
	v_cmp_ngt_f32_e32 vcc_lo, 0xc2ce8ed0, v18
	v_fmac_f32_e32 v55, 0x32a5705f, v23
	v_fmac_f32_e32 v59, 0x32a5705f, v29
	v_rndne_f32_e32 v64, v41
	v_fma_f32 v63, 0x3fb8aa3b, v27, -v41
	v_cndmask_b32_e32 v31, 0, v31, vcc_lo
	v_sub_f32_e32 v33, v33, v50
	v_cvt_i32_f32_e32 v50, v50
	v_cmp_ngt_f32_e32 vcc_lo, 0xc2ce8ed0, v19
	v_exp_f32_e32 v42, v42
	s_delay_alu instid0(VALU_DEP_3) | instskip(SKIP_1) | instid1(VALU_DEP_2)
	v_dual_add_f32 v33, v33, v49 :: v_dual_cndmask_b32 v32, 0, v32
	v_cmp_ngt_f32_e32 vcc_lo, 0xc2ce8ed0, v20
	v_exp_f32_e32 v33, v33
	s_waitcnt_depctr 0xfff
	v_ldexp_f32 v33, v33, v50
	s_delay_alu instid0(VALU_DEP_1) | instskip(SKIP_3) | instid1(VALU_DEP_3)
	v_cndmask_b32_e32 v33, 0, v33, vcc_lo
	v_sub_f32_e32 v37, v37, v56
	v_cmp_ngt_f32_e32 vcc_lo, 0xc2ce8ed0, v21
	v_cvt_i32_f32_e32 v56, v56
	v_dual_add_f32 v37, v37, v55 :: v_dual_cndmask_b32 v34, 0, v34
	v_cmp_ngt_f32_e32 vcc_lo, 0xc2ce8ed0, v22
	s_delay_alu instid0(VALU_DEP_2) | instskip(SKIP_4) | instid1(VALU_DEP_1)
	v_exp_f32_e32 v37, v37
	v_cndmask_b32_e32 v36, 0, v36, vcc_lo
	v_cmp_ngt_f32_e32 vcc_lo, 0xc2ce8ed0, v23
	s_waitcnt_depctr 0xfff
	v_ldexp_f32 v37, v37, v56
	v_cndmask_b32_e32 v37, 0, v37, vcc_lo
	v_cmp_ngt_f32_e32 vcc_lo, 0xc2ce8ed0, v26
	v_dual_cndmask_b32 v38, 0, v38 :: v_dual_sub_f32 v39, v39, v60
	v_cvt_i32_f32_e32 v60, v60
	v_cmp_ngt_f32_e32 vcc_lo, 0xc2ce8ed0, v29
	s_delay_alu instid0(VALU_DEP_3) | instskip(NEXT) | instid1(VALU_DEP_1)
	v_add_f32_e32 v39, v39, v59
	v_exp_f32_e32 v39, v39
	s_waitcnt_depctr 0xfff
	v_ldexp_f32 v39, v39, v60
	s_delay_alu instid0(VALU_DEP_1)
	v_cndmask_b32_e32 v39, 0, v39, vcc_lo
	v_cmp_ngt_f32_e32 vcc_lo, 0xc2ce8ed0, v30
	v_cndmask_b32_e32 v40, 0, v40, vcc_lo
	v_cmp_nlt_f32_e32 vcc_lo, 0x42b17218, v17
	v_cndmask_b32_e32 v17, 0x7f800000, v28, vcc_lo
	v_cmp_nlt_f32_e32 vcc_lo, 0x42b17218, v18
	;; [unrolled: 2-line block ×6, first 2 shown]
	v_cndmask_b32_e32 v22, 0x7f800000, v36, vcc_lo
	v_cmp_lt_i32_e32 vcc_lo, 0, v9
	v_cndmask_b32_e32 v17, 0, v17, vcc_lo
	v_cmp_lt_i32_e32 vcc_lo, 32, v9
	s_waitcnt vmcnt(11)
	s_delay_alu instid0(VALU_DEP_2) | instskip(SKIP_2) | instid1(VALU_DEP_2)
	v_dual_mul_f32 v17, v24, v17 :: v_dual_cndmask_b32 v18, 0, v18
	v_cmp_nlt_f32_e32 vcc_lo, 0x42b17218, v23
	s_waitcnt vmcnt(10)
	v_dual_mul_f32 v18, v25, v18 :: v_dual_cndmask_b32 v23, 0x7f800000, v37
	v_cmp_lt_i32_e32 vcc_lo, 64, v9
	v_cndmask_b32_e32 v19, 0, v19, vcc_lo
	v_cmp_nlt_f32_e32 vcc_lo, 0x42b17218, v26
	v_cndmask_b32_e32 v24, 0x7f800000, v38, vcc_lo
	v_cmp_lt_i32_e32 vcc_lo, 0x60, v9
	v_cndmask_b32_e32 v20, 0, v20, vcc_lo
	v_cmp_nlt_f32_e32 vcc_lo, 0x42b17218, v29
	v_sub_f32_e32 v41, v41, v64
	v_cvt_i32_f32_e32 v64, v64
	s_waitcnt vmcnt(8)
	v_mul_f32_e32 v10, v10, v20
	v_cndmask_b32_e32 v26, 0x7f800000, v39, vcc_lo
	v_cmp_lt_i32_e32 vcc_lo, 0x80, v9
	v_cndmask_b32_e32 v21, 0, v21, vcc_lo
	v_cmp_lt_i32_e32 vcc_lo, 0xa0, v9
	s_waitcnt vmcnt(7)
	s_delay_alu instid0(VALU_DEP_2) | instskip(SKIP_3) | instid1(VALU_DEP_2)
	v_dual_fmac_f32 v63, 0x32a5705f, v27 :: v_dual_mul_f32 v12, v12, v21
	v_cndmask_b32_e32 v22, 0, v22, vcc_lo
	v_cmp_lt_i32_e32 vcc_lo, 0xc0, v9
	s_waitcnt vmcnt(6)
	v_dual_mul_f32 v4, v4, v22 :: v_dual_cndmask_b32 v23, 0, v23
	v_cmp_lt_i32_e32 vcc_lo, 0xe0, v9
	s_waitcnt vmcnt(5)
	s_delay_alu instid0(VALU_DEP_2) | instskip(SKIP_3) | instid1(VALU_DEP_3)
	v_dual_mul_f32 v6, v6, v23 :: v_dual_cndmask_b32 v21, 0, v24
	v_cmp_lt_i32_e32 vcc_lo, 0x100, v9
	v_cvt_i32_f32_e32 v23, v66
	s_waitcnt vmcnt(4)
	v_dual_mul_f32 v7, v7, v21 :: v_dual_cndmask_b32 v24, 0, v26
	v_cmp_nlt_f32_e32 vcc_lo, 0x42b17218, v30
	s_waitcnt vmcnt(3)
	s_delay_alu instid0(VALU_DEP_2) | instskip(SKIP_1) | instid1(VALU_DEP_2)
	v_dual_add_f32 v41, v41, v63 :: v_dual_mul_f32 v8, v8, v24
	v_cndmask_b32_e32 v22, 0x7f800000, v40, vcc_lo
	v_exp_f32_e32 v41, v41
	v_cmp_ngt_f32_e32 vcc_lo, 0xc2ce8ed0, v27
	s_waitcnt_depctr 0xfff
	v_ldexp_f32 v41, v41, v64
	s_delay_alu instid0(VALU_DEP_1) | instskip(SKIP_4) | instid1(VALU_DEP_2)
	v_cndmask_b32_e32 v21, 0, v41, vcc_lo
	v_cmp_lt_i32_e32 vcc_lo, 0x120, v9
	v_cndmask_b32_e32 v22, 0, v22, vcc_lo
	v_cmp_nlt_f32_e32 vcc_lo, 0x42b17218, v27
	s_waitcnt vmcnt(2)
	v_mul_f32_e32 v11, v11, v22
	v_cndmask_b32_e32 v21, 0x7f800000, v21, vcc_lo
	v_cmp_lt_i32_e32 vcc_lo, 0x140, v9
	v_ldexp_f32 v22, v42, v23
	s_delay_alu instid0(VALU_DEP_3) | instskip(SKIP_2) | instid1(VALU_DEP_2)
	v_cndmask_b32_e32 v21, 0, v21, vcc_lo
	v_cmp_ngt_f32_e32 vcc_lo, 0xc2ce8ed0, v2
	s_waitcnt vmcnt(1)
	v_mul_f32_e32 v14, v14, v21
	v_cndmask_b32_e32 v22, 0, v22, vcc_lo
	v_cmp_nlt_f32_e32 vcc_lo, 0x42b17218, v2
	s_delay_alu instid0(VALU_DEP_2) | instskip(SKIP_1) | instid1(VALU_DEP_2)
	v_dual_mul_f32 v19, v35, v19 :: v_dual_cndmask_b32 v2, 0x7f800000, v22
	v_cmp_lt_i32_e32 vcc_lo, 0x160, v9
	v_cndmask_b32_e32 v9, 0, v2, vcc_lo
	v_add_f32_e32 v25, v17, v18
	s_delay_alu instid0(VALU_DEP_1) | instskip(NEXT) | instid1(VALU_DEP_1)
	v_add_f32_e32 v20, v25, v19
	v_add_f32_e32 v20, v20, v10
	s_delay_alu instid0(VALU_DEP_1) | instskip(NEXT) | instid1(VALU_DEP_1)
	v_add_f32_e32 v20, v20, v12
	;; [unrolled: 3-line block ×4, first 2 shown]
	v_add_f32_e32 v20, v20, v11
	s_delay_alu instid0(VALU_DEP_1) | instskip(SKIP_1) | instid1(VALU_DEP_1)
	v_add_f32_e32 v2, v20, v14
	s_waitcnt vmcnt(0)
	v_fmac_f32_e32 v2, v3, v9
	v_mul_f32_e32 v3, v3, v9
	ds_bpermute_b32 v1, v1, v2
	s_waitcnt lgkmcnt(0)
	v_add_f32_e32 v1, v2, v1
	ds_bpermute_b32 v2, v5, v1
	v_lshlrev_b32_e32 v5, 2, v0
	s_delay_alu instid0(VALU_DEP_1)
	v_add_nc_u32_e32 v9, 0x400, v5
	ds_store_2addr_b32 v5, v17, v18 offset1:32
	ds_store_2addr_b32 v5, v19, v10 offset0:64 offset1:96
	ds_store_2addr_b32 v5, v12, v4 offset0:128 offset1:160
	;; [unrolled: 1-line block ×3, first 2 shown]
	ds_store_2addr_b32 v9, v8, v11 offset1:32
	ds_store_2addr_b32 v9, v14, v3 offset0:64 offset1:96
	s_waitcnt lgkmcnt(6)
	v_add_f32_e32 v1, v1, v2
	ds_bpermute_b32 v2, v13, v1
	s_waitcnt lgkmcnt(0)
	v_add_f32_e32 v1, v1, v2
	ds_bpermute_b32 v2, v15, v1
	;; [unrolled: 3-line block ×3, first 2 shown]
	v_cmpx_eq_u32_e32 0, v0
	s_cbranch_execz .LBB33_8
; %bb.7:
	s_waitcnt lgkmcnt(0)
	v_dual_add_f32 v1, v1, v2 :: v_dual_mov_b32 v2, 0
	ds_store_b32 v2, v1 offset:1536
.LBB33_8:
	s_or_b32 exec_lo, exec_lo, s7
	v_mov_b32_e32 v1, s6
.LBB33_9:
	s_or_b32 exec_lo, exec_lo, s24
	s_lshl_b32 s6, s18, 6
	s_mov_b32 s7, 0
	s_waitcnt lgkmcnt(0)
	v_dual_mov_b32 v2, 0 :: v_dual_lshlrev_b32 v1, 6, v1
	s_lshl_b64 s[6:7], s[6:7], 1
	v_dual_mov_b32 v29, 0 :: v_dual_mov_b32 v30, 0
	s_add_u32 s34, s4, s6
	s_addc_u32 s35, s5, s7
	s_lshl_b32 s41, s40, 6
	v_lshlrev_b64 v[3:4], 1, v[1:2]
	s_sub_i32 s42, s41, 64
	s_cmpk_lt_i32 s22, 0x100
	v_lshlrev_b32_e32 v1, 1, v0
	s_cselect_b32 s4, s42, 0
	v_dual_mov_b32 v31, 0 :: v_dual_mov_b32 v32, 0
	s_ashr_i32 s5, s4, 31
	v_add_co_u32 v3, vcc_lo, s34, v3
	s_lshl_b64 s[4:5], s[4:5], 1
	s_cmpk_lt_i32 s22, 0x200
	v_add_co_ci_u32_e32 v4, vcc_lo, s35, v4, vcc_lo
	s_cselect_b32 s6, s42, 64
	v_add_co_u32 v1, vcc_lo, v3, v1
	s_ashr_i32 s7, s6, 31
	s_delay_alu instid0(VALU_DEP_2)
	v_add_co_ci_u32_e32 v3, vcc_lo, 0, v4, vcc_lo
	s_lshl_b64 s[6:7], s[6:7], 1
	s_cmpk_lt_i32 s22, 0x300
	v_add_co_u32 v4, vcc_lo, v1, s4
	s_cselect_b32 s8, s42, 0x80
	v_add_co_ci_u32_e32 v5, vcc_lo, s5, v3, vcc_lo
	s_ashr_i32 s9, s8, 31
	v_add_co_u32 v8, vcc_lo, v1, s6
	s_lshl_b64 s[8:9], s[8:9], 1
	s_cmpk_lt_i32 s22, 0x400
	v_add_co_ci_u32_e32 v9, vcc_lo, s7, v3, vcc_lo
	s_cselect_b32 s10, s42, 0xc0
	v_add_co_u32 v10, vcc_lo, v1, s8
	s_ashr_i32 s11, s10, 31
	v_add_co_ci_u32_e32 v11, vcc_lo, s9, v3, vcc_lo
	s_lshl_b64 s[10:11], s[10:11], 1
	s_cmpk_lt_i32 s22, 0x500
	v_add_co_u32 v12, vcc_lo, v1, s10
	s_cselect_b32 s18, s42, 0x100
	v_add_co_ci_u32_e32 v13, vcc_lo, s11, v3, vcc_lo
	s_ashr_i32 s19, s18, 31
	v_dual_mov_b32 v33, 0 :: v_dual_mov_b32 v34, 0
	s_lshl_b64 s[18:19], s[18:19], 1
	s_cmpk_lt_i32 s22, 0x600
	v_add_co_u32 v14, vcc_lo, v1, s18
	s_cselect_b32 s20, s42, 0x140
	v_add_co_ci_u32_e32 v15, vcc_lo, s19, v3, vcc_lo
	s_ashr_i32 s21, s20, 31
	v_mov_b32_e32 v35, 0
	s_lshl_b64 s[20:21], s[20:21], 1
	s_cmpk_lt_i32 s22, 0x700
	v_add_co_u32 v16, vcc_lo, v1, s20
	s_cselect_b32 s24, s42, 0x180
	v_add_co_ci_u32_e32 v17, vcc_lo, s21, v3, vcc_lo
	s_ashr_i32 s25, s24, 31
	s_delay_alu instid0(SALU_CYCLE_1)
	s_lshl_b64 s[24:25], s[24:25], 1
	s_cmpk_lt_i32 s22, 0x800
	v_add_co_u32 v18, vcc_lo, v1, s24
	s_cselect_b32 s26, s42, 0x1c0
	v_add_co_ci_u32_e32 v19, vcc_lo, s25, v3, vcc_lo
	s_ashr_i32 s27, s26, 31
	s_delay_alu instid0(SALU_CYCLE_1)
	s_lshl_b64 s[26:27], s[26:27], 1
	s_cmpk_lt_i32 s22, 0x900
	v_add_co_u32 v20, vcc_lo, v1, s26
	s_cselect_b32 s28, s42, 0x200
	v_add_co_ci_u32_e32 v21, vcc_lo, s27, v3, vcc_lo
	s_ashr_i32 s29, s28, 31
	s_clause 0x7
	global_load_u16 v7, v[4:5], off
	global_load_u16 v8, v[8:9], off
	global_load_u16 v9, v[10:11], off
	global_load_u16 v10, v[12:13], off
	global_load_u16 v11, v[14:15], off
	global_load_u16 v4, v[16:17], off
	global_load_u16 v5, v[18:19], off
	global_load_u16 v6, v[20:21], off
	s_lshl_b64 s[28:29], s[28:29], 1
	s_cmpk_lt_i32 s22, 0xa00
	v_add_co_u32 v12, vcc_lo, v1, s28
	s_cselect_b32 s30, s42, 0x240
	v_add_co_ci_u32_e32 v13, vcc_lo, s29, v3, vcc_lo
	s_ashr_i32 s31, s30, 31
	s_delay_alu instid0(SALU_CYCLE_1)
	s_lshl_b64 s[30:31], s[30:31], 1
	s_cmpk_lt_i32 s22, 0xb00
	v_add_co_u32 v15, vcc_lo, v1, s30
	s_cselect_b32 s34, s42, 0x280
	v_add_co_ci_u32_e32 v16, vcc_lo, s31, v3, vcc_lo
	s_ashr_i32 s35, s34, 31
	s_delay_alu instid0(SALU_CYCLE_1)
	;; [unrolled: 7-line block ×7, first 2 shown]
	s_lshl_b64 s[4:5], s[6:7], 1
	s_cmpk_gt_i32 s23, 0x1000
	v_add_co_u32 v27, vcc_lo, v1, s4
	v_add_co_ci_u32_e32 v28, vcc_lo, s5, v3, vcc_lo
	s_clause 0x7
	global_load_u16 v14, v[12:13], off
	global_load_u16 v15, v[15:16], off
	;; [unrolled: 1-line block ×8, first 2 shown]
	v_dual_mov_b32 v20, 0 :: v_dual_mov_b32 v21, 0
	v_dual_mov_b32 v22, 0 :: v_dual_mov_b32 v23, 0
	;; [unrolled: 1-line block ×4, first 2 shown]
	v_mov_b32_e32 v28, 0
	s_cselect_b32 s8, -1, 0
	s_cmpk_lt_i32 s23, 0x1001
	s_waitcnt vmcnt(0)
	s_barrier
	buffer_gl0_inv
	s_cbranch_scc1 .LBB33_11
; %bb.10:
	s_cmpk_lt_i32 s22, 0x1100
	s_cselect_b32 s4, s42, 0x400
	s_delay_alu instid0(SALU_CYCLE_1) | instskip(NEXT) | instid1(SALU_CYCLE_1)
	s_ashr_i32 s5, s4, 31
	s_lshl_b64 s[4:5], s[4:5], 1
	s_cmpk_lt_i32 s22, 0x1200
	v_add_co_u32 v20, vcc_lo, v1, s4
	s_cselect_b32 s6, s42, 0x440
	v_add_co_ci_u32_e32 v21, vcc_lo, s5, v3, vcc_lo
	s_ashr_i32 s7, s6, 31
	s_delay_alu instid0(SALU_CYCLE_1)
	s_lshl_b64 s[6:7], s[6:7], 1
	s_cmpk_lt_i32 s22, 0x1300
	v_add_co_u32 v22, vcc_lo, v1, s6
	s_cselect_b32 s10, s42, 0x480
	v_add_co_ci_u32_e32 v23, vcc_lo, s7, v3, vcc_lo
	s_ashr_i32 s11, s10, 31
	s_delay_alu instid0(SALU_CYCLE_1)
	;; [unrolled: 7-line block ×7, first 2 shown]
	s_lshl_b64 s[28:29], s[28:29], 1
	s_cmpk_lt_i32 s22, 0x1900
	v_add_co_u32 v34, vcc_lo, v1, s28
	s_cselect_b32 s30, s42, 0x600
	v_add_co_ci_u32_e32 v35, vcc_lo, s29, v3, vcc_lo
	s_ashr_i32 s31, s30, 31
	s_clause 0x7
	global_load_u16 v36, v[20:21], off
	global_load_u16 v37, v[22:23], off
	;; [unrolled: 1-line block ×8, first 2 shown]
	s_lshl_b64 s[30:31], s[30:31], 1
	s_cmpk_lt_i32 s22, 0x1a00
	v_add_co_u32 v20, vcc_lo, v1, s30
	s_cselect_b32 s34, s42, 0x640
	v_add_co_ci_u32_e32 v21, vcc_lo, s31, v3, vcc_lo
	s_ashr_i32 s35, s34, 31
	s_delay_alu instid0(SALU_CYCLE_1)
	s_lshl_b64 s[34:35], s[34:35], 1
	s_cmpk_lt_i32 s22, 0x1b00
	v_add_co_u32 v22, vcc_lo, v1, s34
	s_cselect_b32 s36, s42, 0x680
	v_add_co_ci_u32_e32 v23, vcc_lo, s35, v3, vcc_lo
	s_ashr_i32 s37, s36, 31
	s_delay_alu instid0(SALU_CYCLE_1)
	;; [unrolled: 7-line block ×6, first 2 shown]
	s_lshl_b64 s[4:5], s[20:21], 1
	s_cmpk_lt_i32 s22, 0x2000
	v_add_co_u32 v32, vcc_lo, v1, s4
	s_cselect_b32 s6, s42, 0x7c0
	v_add_co_ci_u32_e32 v33, vcc_lo, s5, v3, vcc_lo
	s_ashr_i32 s7, s6, 31
	s_delay_alu instid0(SALU_CYCLE_1) | instskip(NEXT) | instid1(SALU_CYCLE_1)
	s_lshl_b64 s[4:5], s[6:7], 1
	v_add_co_u32 v34, vcc_lo, v1, s4
	v_add_co_ci_u32_e32 v35, vcc_lo, s5, v3, vcc_lo
	s_clause 0x7
	global_load_u16 v20, v[20:21], off
	global_load_u16 v21, v[22:23], off
	;; [unrolled: 1-line block ×8, first 2 shown]
	s_waitcnt vmcnt(15)
	v_cvt_f32_f16_e32 v35, v36
	s_waitcnt vmcnt(14)
	v_cvt_f32_f16_e32 v34, v37
	;; [unrolled: 2-line block ×16, first 2 shown]
.LBB33_11:
	ds_load_b128 v[36:39], v2
	ds_load_b128 v[40:43], v2 offset:16
	s_load_b64 s[0:1], s[0:1], 0x0
	s_and_b32 vcc_lo, exec_lo, s8
	s_waitcnt lgkmcnt(0)
	v_fma_mix_f32 v7, v36, v7, 0 op_sel_hi:[0,1,0]
	s_delay_alu instid0(VALU_DEP_1) | instskip(NEXT) | instid1(VALU_DEP_1)
	v_fma_mix_f32 v7, v37, v8, v7 op_sel_hi:[0,1,0]
	v_fma_mix_f32 v7, v38, v9, v7 op_sel_hi:[0,1,0]
	s_delay_alu instid0(VALU_DEP_1) | instskip(SKIP_4) | instid1(VALU_DEP_1)
	v_fma_mix_f32 v7, v39, v10, v7 op_sel_hi:[0,1,0]
	ds_load_b128 v[36:39], v2 offset:48
	v_fma_mix_f32 v11, v40, v11, v7 op_sel_hi:[0,1,0]
	ds_load_b128 v[7:10], v2 offset:32
	v_fma_mix_f32 v4, v41, v4, v11 op_sel_hi:[0,1,0]
	v_fma_mix_f32 v4, v42, v5, v4 op_sel_hi:[0,1,0]
	s_delay_alu instid0(VALU_DEP_1) | instskip(SKIP_1) | instid1(VALU_DEP_1)
	v_fma_mix_f32 v4, v43, v6, v4 op_sel_hi:[0,1,0]
	s_waitcnt lgkmcnt(0)
	v_fma_mix_f32 v4, v7, v14, v4 op_sel_hi:[0,1,0]
	s_delay_alu instid0(VALU_DEP_1) | instskip(NEXT) | instid1(VALU_DEP_1)
	v_fma_mix_f32 v4, v8, v15, v4 op_sel_hi:[0,1,0]
	v_fma_mix_f32 v4, v9, v16, v4 op_sel_hi:[0,1,0]
	s_delay_alu instid0(VALU_DEP_1) | instskip(NEXT) | instid1(VALU_DEP_1)
	v_fma_mix_f32 v4, v10, v17, v4 op_sel_hi:[0,1,0]
	;; [unrolled: 3-line block ×3, first 2 shown]
	v_fma_mix_f32 v4, v38, v13, v4 op_sel_hi:[0,1,0]
	s_delay_alu instid0(VALU_DEP_1)
	v_fma_mix_f32 v4, v39, v19, v4 op_sel_hi:[0,1,0]
	s_cbranch_vccz .LBB33_13
; %bb.12:
	ds_load_b128 v[5:8], v2 offset:64
	ds_load_b128 v[9:12], v2 offset:80
	s_waitcnt lgkmcnt(1)
	v_fmac_f32_e32 v4, v5, v35
	s_delay_alu instid0(VALU_DEP_1) | instskip(NEXT) | instid1(VALU_DEP_1)
	v_fmac_f32_e32 v4, v6, v34
	v_fmac_f32_e32 v4, v7, v33
	s_delay_alu instid0(VALU_DEP_1) | instskip(SKIP_3) | instid1(VALU_DEP_1)
	v_fmac_f32_e32 v4, v8, v32
	ds_load_b128 v[5:8], v2 offset:96
	s_waitcnt lgkmcnt(1)
	v_fmac_f32_e32 v4, v9, v31
	v_fmac_f32_e32 v4, v10, v30
	s_delay_alu instid0(VALU_DEP_1) | instskip(NEXT) | instid1(VALU_DEP_1)
	v_fmac_f32_e32 v4, v11, v29
	v_fmac_f32_e32 v4, v12, v28
	ds_load_b128 v[9:12], v2 offset:112
	s_waitcnt lgkmcnt(1)
	v_fmac_f32_e32 v4, v5, v27
	s_delay_alu instid0(VALU_DEP_1) | instskip(NEXT) | instid1(VALU_DEP_1)
	v_fmac_f32_e32 v4, v6, v26
	v_fmac_f32_e32 v4, v7, v25
	s_delay_alu instid0(VALU_DEP_1) | instskip(SKIP_1) | instid1(VALU_DEP_1)
	v_fmac_f32_e32 v4, v8, v24
	s_waitcnt lgkmcnt(0)
	v_fmac_f32_e32 v4, v9, v23
	s_delay_alu instid0(VALU_DEP_1) | instskip(NEXT) | instid1(VALU_DEP_1)
	v_fmac_f32_e32 v4, v10, v22
	v_fmac_f32_e32 v4, v11, v21
	s_delay_alu instid0(VALU_DEP_1)
	v_fmac_f32_e32 v4, v12, v20
.LBB33_13:
	s_movk_i32 s43, 0xfc0
	s_movk_i32 s44, 0x80
	s_mov_b32 s45, 32
	s_branch .LBB33_15
.LBB33_14:                              ;   in Loop: Header=BB33_15 Depth=1
	s_addk_i32 s43, 0x800
	s_addk_i32 s44, 0x80
	s_add_i32 s45, s45, 32
	s_cmpk_eq_i32 s43, 0x67c0
	s_cbranch_scc1 .LBB33_17
.LBB33_15:                              ; =>This Inner Loop Header: Depth=1
	s_cmp_le_i32 s40, s45
	s_cbranch_scc1 .LBB33_14
; %bb.16:                               ;   in Loop: Header=BB33_15 Depth=1
	s_add_i32 s4, s43, 0xfffff840
	v_mov_b32_e32 v44, s44
	s_cmp_lt_i32 s4, s41
	s_cselect_b32 s4, s4, s42
	s_add_i32 s6, s43, 0xfffff880
	s_ashr_i32 s5, s4, 31
	s_delay_alu instid0(SALU_CYCLE_1)
	s_lshl_b64 s[4:5], s[4:5], 1
	s_cmp_lt_i32 s6, s41
	v_add_co_u32 v5, vcc_lo, v1, s4
	s_cselect_b32 s6, s6, s42
	s_add_i32 s10, s43, 0xfffff8c0
	s_ashr_i32 s7, s6, 31
	v_add_co_ci_u32_e32 v6, vcc_lo, s5, v3, vcc_lo
	s_lshl_b64 s[8:9], s[6:7], 1
	s_cmp_lt_i32 s10, s41
	v_add_co_u32 v7, vcc_lo, v1, s8
	s_cselect_b32 s6, s10, s42
	s_add_i32 s10, s43, 0xfffff900
	s_ashr_i32 s7, s6, 31
	v_add_co_ci_u32_e32 v8, vcc_lo, s9, v3, vcc_lo
	;; [unrolled: 7-line block ×8, first 2 shown]
	s_lshl_b64 s[24:25], s[20:21], 1
	s_cmp_lt_i32 s28, s41
	s_clause 0x7
	global_load_u16 v2, v[5:6], off
	global_load_u16 v21, v[7:8], off
	;; [unrolled: 1-line block ×8, first 2 shown]
	s_cselect_b32 s20, s28, s42
	s_add_i32 s28, s43, 0xfffffac0
	s_ashr_i32 s21, s20, 31
	v_add_co_u32 v5, vcc_lo, v1, s24
	s_lshl_b64 s[20:21], s[20:21], 1
	s_cmp_lt_i32 s28, s41
	v_add_co_ci_u32_e32 v6, vcc_lo, s25, v3, vcc_lo
	s_cselect_b32 s28, s28, s42
	s_add_i32 s36, s43, 0xfffffb00
	s_ashr_i32 s29, s28, 31
	v_add_co_u32 v7, vcc_lo, v1, s20
	s_lshl_b64 s[30:31], s[28:29], 1
	s_cmp_lt_i32 s36, s41
	v_add_co_ci_u32_e32 v8, vcc_lo, s21, v3, vcc_lo
	;; [unrolled: 7-line block ×8, first 2 shown]
	s_cselect_b32 s10, s10, s42
	s_add_i32 s18, s43, 0xfffffcc0
	s_ashr_i32 s11, s10, 31
	s_clause 0x7
	global_load_u16 v28, v[5:6], off
	global_load_u16 v29, v[7:8], off
	;; [unrolled: 1-line block ×8, first 2 shown]
	s_lshl_b64 s[10:11], s[10:11], 1
	s_cmp_lt_i32 s18, s41
	v_add_co_u32 v5, vcc_lo, v1, s4
	s_cselect_b32 s18, s18, s42
	s_add_i32 s22, s43, 0xfffffd00
	s_ashr_i32 s19, s18, 31
	v_add_co_ci_u32_e32 v6, vcc_lo, s5, v3, vcc_lo
	s_lshl_b64 s[18:19], s[18:19], 1
	s_cmp_lt_i32 s22, s41
	v_add_co_u32 v7, vcc_lo, v1, s10
	s_cselect_b32 s20, s22, s42
	s_add_i32 s22, s43, 0xfffffd40
	s_ashr_i32 s21, s20, 31
	v_add_co_ci_u32_e32 v8, vcc_lo, s11, v3, vcc_lo
	;; [unrolled: 7-line block ×5, first 2 shown]
	s_lshl_b64 s[6:7], s[6:7], 1
	s_cmp_lt_i32 s24, s41
	s_clause 0x4
	global_load_u16 v19, v[5:6], off
	global_load_u16 v20, v[7:8], off
	;; [unrolled: 1-line block ×5, first 2 shown]
	s_cselect_b32 s4, s24, s42
	s_add_i32 s10, s43, 0xfffffe40
	s_ashr_i32 s5, s4, 31
	v_add_co_u32 v5, vcc_lo, v1, s8
	s_lshl_b64 s[4:5], s[4:5], 1
	s_cmp_lt_i32 s10, s41
	v_add_co_ci_u32_e32 v6, vcc_lo, s9, v3, vcc_lo
	s_cselect_b32 s10, s10, s42
	s_add_i32 s18, s43, 0xfffffe80
	s_ashr_i32 s11, s10, 31
	v_add_co_u32 v7, vcc_lo, v1, s6
	s_lshl_b64 s[10:11], s[10:11], 1
	s_cmp_lt_i32 s18, s41
	v_add_co_ci_u32_e32 v8, vcc_lo, s7, v3, vcc_lo
	s_cselect_b32 s18, s18, s42
	s_add_i32 s20, s43, 0xfffffec0
	s_ashr_i32 s19, s18, 31
	v_add_co_u32 v9, vcc_lo, v1, s4
	s_lshl_b64 s[18:19], s[18:19], 1
	s_cmp_lt_i32 s20, s41
	global_load_u16 v37, v[5:6], off
	s_cselect_b32 s8, s20, s42
	s_add_i32 s20, s43, 0xffffff00
	s_ashr_i32 s9, s8, 31
	v_add_co_ci_u32_e32 v10, vcc_lo, s5, v3, vcc_lo
	s_lshl_b64 s[6:7], s[8:9], 1
	s_cmp_lt_i32 s20, s41
	v_add_co_u32 v11, vcc_lo, v1, s10
	s_cselect_b32 s4, s20, s42
	s_clause 0x1
	global_load_u16 v38, v[7:8], off
	global_load_u16 v39, v[9:10], off
	v_add_co_ci_u32_e32 v12, vcc_lo, s11, v3, vcc_lo
	s_ashr_i32 s5, s4, 31
	s_add_i32 s8, s43, 0xffffff40
	v_add_co_u32 v13, vcc_lo, v1, s18
	s_lshl_b64 s[4:5], s[4:5], 1
	s_cmp_lt_i32 s8, s41
	v_add_co_ci_u32_e32 v14, vcc_lo, s19, v3, vcc_lo
	v_add_co_u32 v15, vcc_lo, v1, s6
	s_cselect_b32 s8, s8, s42
	v_add_co_ci_u32_e32 v16, vcc_lo, s7, v3, vcc_lo
	s_ashr_i32 s9, s8, 31
	s_add_i32 s10, s43, 0xffffff80
	s_lshl_b64 s[6:7], s[8:9], 1
	s_clause 0x2
	global_load_u16 v40, v[11:12], off
	global_load_u16 v13, v[13:14], off
	;; [unrolled: 1-line block ×3, first 2 shown]
	s_cmp_lt_i32 s10, s41
	v_add_co_u32 v5, vcc_lo, v1, s4
	s_cselect_b32 s8, s10, s42
	s_sub_i32 s10, s43, 64
	s_ashr_i32 s9, s8, 31
	v_add_co_ci_u32_e32 v6, vcc_lo, s5, v3, vcc_lo
	s_lshl_b64 s[8:9], s[8:9], 1
	s_cmp_lt_i32 s10, s41
	v_add_co_u32 v7, vcc_lo, v1, s6
	s_cselect_b32 s4, s10, s42
	v_add_co_ci_u32_e32 v8, vcc_lo, s7, v3, vcc_lo
	s_ashr_i32 s5, s4, 31
	v_add_co_u32 v9, vcc_lo, v1, s8
	global_load_u16 v15, v[5:6], off
	s_lshl_b64 s[4:5], s[4:5], 1
	v_add_co_ci_u32_e32 v10, vcc_lo, s9, v3, vcc_lo
	s_cmp_lt_i32 s43, s41
	s_clause 0x1
	global_load_u16 v16, v[7:8], off
	global_load_u16 v41, v[9:10], off
	s_cselect_b32 s6, s43, s42
	v_add_co_u32 v5, vcc_lo, v1, s4
	s_ashr_i32 s7, s6, 31
	v_add_co_ci_u32_e32 v6, vcc_lo, s5, v3, vcc_lo
	s_lshl_b64 s[4:5], s[6:7], 1
	s_delay_alu instid0(SALU_CYCLE_1)
	v_add_co_u32 v7, vcc_lo, v1, s4
	v_add_co_ci_u32_e32 v8, vcc_lo, s5, v3, vcc_lo
	s_clause 0x1
	global_load_u16 v42, v[5:6], off
	global_load_u16 v43, v[7:8], off
	ds_load_b128 v[5:8], v44
	ds_load_b128 v[9:12], v44 offset:16
	s_waitcnt vmcnt(31) lgkmcnt(1)
	v_fma_mix_f32 v2, v5, v2, v4 op_sel_hi:[0,1,0]
	s_waitcnt vmcnt(30)
	s_delay_alu instid0(VALU_DEP_1) | instskip(SKIP_1) | instid1(VALU_DEP_1)
	v_fma_mix_f32 v2, v6, v21, v2 op_sel_hi:[0,1,0]
	s_waitcnt vmcnt(29)
	v_fma_mix_f32 v2, v7, v22, v2 op_sel_hi:[0,1,0]
	ds_load_b128 v[4:7], v44 offset:32
	s_waitcnt vmcnt(28)
	v_fma_mix_f32 v2, v8, v23, v2 op_sel_hi:[0,1,0]
	s_waitcnt vmcnt(27) lgkmcnt(1)
	s_delay_alu instid0(VALU_DEP_1) | instskip(SKIP_1) | instid1(VALU_DEP_1)
	v_fma_mix_f32 v2, v9, v24, v2 op_sel_hi:[0,1,0]
	s_waitcnt vmcnt(26)
	v_fma_mix_f32 v2, v10, v25, v2 op_sel_hi:[0,1,0]
	s_waitcnt vmcnt(25)
	s_delay_alu instid0(VALU_DEP_1) | instskip(SKIP_4) | instid1(VALU_DEP_1)
	v_fma_mix_f32 v2, v11, v26, v2 op_sel_hi:[0,1,0]
	ds_load_b128 v[8:11], v44 offset:48
	s_waitcnt vmcnt(24)
	v_fma_mix_f32 v2, v12, v27, v2 op_sel_hi:[0,1,0]
	s_waitcnt vmcnt(23) lgkmcnt(1)
	v_fma_mix_f32 v2, v4, v28, v2 op_sel_hi:[0,1,0]
	s_waitcnt vmcnt(22)
	s_delay_alu instid0(VALU_DEP_1) | instskip(SKIP_1) | instid1(VALU_DEP_1)
	v_fma_mix_f32 v2, v5, v29, v2 op_sel_hi:[0,1,0]
	s_waitcnt vmcnt(21)
	v_fma_mix_f32 v2, v6, v30, v2 op_sel_hi:[0,1,0]
	s_waitcnt vmcnt(20)
	s_delay_alu instid0(VALU_DEP_1) | instskip(SKIP_4) | instid1(VALU_DEP_1)
	v_fma_mix_f32 v2, v7, v31, v2 op_sel_hi:[0,1,0]
	ds_load_b128 v[4:7], v44 offset:64
	s_waitcnt vmcnt(19) lgkmcnt(1)
	v_fma_mix_f32 v2, v8, v32, v2 op_sel_hi:[0,1,0]
	s_waitcnt vmcnt(18)
	v_fma_mix_f32 v2, v9, v33, v2 op_sel_hi:[0,1,0]
	s_waitcnt vmcnt(17)
	s_delay_alu instid0(VALU_DEP_1) | instskip(SKIP_1) | instid1(VALU_DEP_1)
	v_fma_mix_f32 v2, v10, v17, v2 op_sel_hi:[0,1,0]
	s_waitcnt vmcnt(16)
	v_fma_mix_f32 v2, v11, v18, v2 op_sel_hi:[0,1,0]
	ds_load_b128 v[8:11], v44 offset:80
	s_waitcnt vmcnt(15) lgkmcnt(1)
	v_fma_mix_f32 v2, v4, v19, v2 op_sel_hi:[0,1,0]
	s_waitcnt vmcnt(14)
	s_delay_alu instid0(VALU_DEP_1) | instskip(SKIP_1) | instid1(VALU_DEP_1)
	v_fma_mix_f32 v2, v5, v20, v2 op_sel_hi:[0,1,0]
	s_waitcnt vmcnt(13)
	v_fma_mix_f32 v2, v6, v34, v2 op_sel_hi:[0,1,0]
	s_waitcnt vmcnt(12)
	s_delay_alu instid0(VALU_DEP_1) | instskip(SKIP_4) | instid1(VALU_DEP_1)
	v_fma_mix_f32 v2, v7, v35, v2 op_sel_hi:[0,1,0]
	ds_load_b128 v[4:7], v44 offset:96
	s_waitcnt vmcnt(11) lgkmcnt(1)
	v_fma_mix_f32 v2, v8, v36, v2 op_sel_hi:[0,1,0]
	s_waitcnt vmcnt(10)
	v_fma_mix_f32 v2, v9, v37, v2 op_sel_hi:[0,1,0]
	s_waitcnt vmcnt(9)
	s_delay_alu instid0(VALU_DEP_1) | instskip(SKIP_1) | instid1(VALU_DEP_1)
	v_fma_mix_f32 v2, v10, v38, v2 op_sel_hi:[0,1,0]
	s_waitcnt vmcnt(8)
	v_fma_mix_f32 v2, v11, v39, v2 op_sel_hi:[0,1,0]
	ds_load_b128 v[8:11], v44 offset:112
	s_waitcnt vmcnt(7) lgkmcnt(1)
	v_fma_mix_f32 v2, v4, v40, v2 op_sel_hi:[0,1,0]
	s_waitcnt vmcnt(6)
	s_delay_alu instid0(VALU_DEP_1) | instskip(SKIP_1) | instid1(VALU_DEP_1)
	v_fma_mix_f32 v2, v5, v13, v2 op_sel_hi:[0,1,0]
	s_waitcnt vmcnt(5)
	v_fma_mix_f32 v2, v6, v14, v2 op_sel_hi:[0,1,0]
	s_waitcnt vmcnt(4)
	s_delay_alu instid0(VALU_DEP_1) | instskip(SKIP_1) | instid1(VALU_DEP_1)
	v_fma_mix_f32 v2, v7, v15, v2 op_sel_hi:[0,1,0]
	s_waitcnt vmcnt(3) lgkmcnt(0)
	v_fma_mix_f32 v2, v8, v16, v2 op_sel_hi:[0,1,0]
	s_waitcnt vmcnt(2)
	s_delay_alu instid0(VALU_DEP_1) | instskip(SKIP_1) | instid1(VALU_DEP_1)
	v_fma_mix_f32 v2, v9, v41, v2 op_sel_hi:[0,1,0]
	s_waitcnt vmcnt(1)
	v_fma_mix_f32 v2, v10, v42, v2 op_sel_hi:[0,1,0]
	s_waitcnt vmcnt(0)
	s_delay_alu instid0(VALU_DEP_1)
	v_fma_mix_f32 v4, v11, v43, v2 op_sel_hi:[0,1,0]
	s_branch .LBB33_14
.LBB33_17:
	v_mov_b32_e32 v1, 0
	s_and_b32 vcc_lo, exec_lo, s15
	ds_load_b32 v1, v1 offset:1536
	s_cbranch_vccz .LBB33_19
; %bb.18:
	s_add_u32 s2, s12, s16
	s_addc_u32 s3, s13, s17
	s_load_b32 s2, s[2:3], 0x0
	s_mov_b32 s3, 0
.LBB33_19:
	s_waitcnt lgkmcnt(0)
	v_add_f32_e32 v1, 0x358637bd, v1
	s_mul_i32 s3, s33, s3
	s_mul_hi_u32 s4, s33, s2
	s_mul_i32 s2, s33, s2
	s_add_i32 s3, s4, s3
	v_div_scale_f32 v2, null, v1, v1, 1.0
	v_div_scale_f32 v6, vcc_lo, 1.0, v1, 1.0
	s_lshl_b64 s[2:3], s[2:3], 6
	s_delay_alu instid0(VALU_DEP_2) | instskip(SKIP_4) | instid1(SALU_CYCLE_1)
	v_rcp_f32_e32 v3, v2
	s_mov_b32 s15, 0
	s_add_u32 s2, s0, s2
	s_addc_u32 s3, s1, s3
	s_lshl_b64 s[0:1], s[14:15], 6
	s_add_u32 s0, s2, s0
	s_addc_u32 s1, s3, s1
	v_add_co_u32 v0, s0, s0, v0
	s_waitcnt_depctr 0xfff
	v_fma_f32 v5, -v2, v3, 1.0
	s_delay_alu instid0(VALU_DEP_1) | instskip(NEXT) | instid1(VALU_DEP_1)
	v_fmac_f32_e32 v3, v5, v3
	v_mul_f32_e32 v5, v6, v3
	s_delay_alu instid0(VALU_DEP_1) | instskip(NEXT) | instid1(VALU_DEP_1)
	v_fma_f32 v7, -v2, v5, v6
	v_fmac_f32_e32 v5, v7, v3
	s_delay_alu instid0(VALU_DEP_1) | instskip(NEXT) | instid1(VALU_DEP_1)
	v_fma_f32 v2, -v2, v5, v6
	v_div_fmas_f32 v2, v2, v3, v5
	s_delay_alu instid0(VALU_DEP_1) | instskip(NEXT) | instid1(VALU_DEP_1)
	v_div_fixup_f32 v1, v2, v1, 1.0
	v_fma_mixlo_f16 v1, v4, v1, 0
	s_delay_alu instid0(VALU_DEP_1)
	v_cvt_i16_f16_e32 v2, v1
	v_add_co_ci_u32_e64 v1, null, s1, 0, s0
	global_store_b8 v[0:1], v2, off
	s_nop 0
	s_sendmsg sendmsg(MSG_DEALLOC_VGPRS)
	s_endpgm
.LBB33_20:
	s_mov_b32 s4, 0
	s_branch .LBB33_2
	.section	.rodata,"a",@progbits
	.p2align	6, 0x0
	.amdhsa_kernel _Z35paged_attention_ll4mi_reduce_kernelIDF16_hLi64ELi64ELi256ELi12EEvPT0_PKfS3_PKT_PKiS8_iS3_
		.amdhsa_group_segment_fixed_size 1540
		.amdhsa_private_segment_fixed_size 0
		.amdhsa_kernarg_size 320
		.amdhsa_user_sgpr_count 14
		.amdhsa_user_sgpr_dispatch_ptr 0
		.amdhsa_user_sgpr_queue_ptr 0
		.amdhsa_user_sgpr_kernarg_segment_ptr 1
		.amdhsa_user_sgpr_dispatch_id 0
		.amdhsa_user_sgpr_private_segment_size 0
		.amdhsa_wavefront_size32 1
		.amdhsa_uses_dynamic_stack 0
		.amdhsa_enable_private_segment 0
		.amdhsa_system_sgpr_workgroup_id_x 1
		.amdhsa_system_sgpr_workgroup_id_y 1
		.amdhsa_system_sgpr_workgroup_id_z 0
		.amdhsa_system_sgpr_workgroup_info 0
		.amdhsa_system_vgpr_workitem_id 0
		.amdhsa_next_free_vgpr 67
		.amdhsa_next_free_sgpr 47
		.amdhsa_reserve_vcc 1
		.amdhsa_float_round_mode_32 0
		.amdhsa_float_round_mode_16_64 0
		.amdhsa_float_denorm_mode_32 3
		.amdhsa_float_denorm_mode_16_64 3
		.amdhsa_dx10_clamp 1
		.amdhsa_ieee_mode 1
		.amdhsa_fp16_overflow 0
		.amdhsa_workgroup_processor_mode 1
		.amdhsa_memory_ordered 1
		.amdhsa_forward_progress 0
		.amdhsa_shared_vgpr_count 0
		.amdhsa_exception_fp_ieee_invalid_op 0
		.amdhsa_exception_fp_denorm_src 0
		.amdhsa_exception_fp_ieee_div_zero 0
		.amdhsa_exception_fp_ieee_overflow 0
		.amdhsa_exception_fp_ieee_underflow 0
		.amdhsa_exception_fp_ieee_inexact 0
		.amdhsa_exception_int_div_zero 0
	.end_amdhsa_kernel
	.section	.text._Z35paged_attention_ll4mi_reduce_kernelIDF16_hLi64ELi64ELi256ELi12EEvPT0_PKfS3_PKT_PKiS8_iS3_,"axG",@progbits,_Z35paged_attention_ll4mi_reduce_kernelIDF16_hLi64ELi64ELi256ELi12EEvPT0_PKfS3_PKT_PKiS8_iS3_,comdat
.Lfunc_end33:
	.size	_Z35paged_attention_ll4mi_reduce_kernelIDF16_hLi64ELi64ELi256ELi12EEvPT0_PKfS3_PKT_PKiS8_iS3_, .Lfunc_end33-_Z35paged_attention_ll4mi_reduce_kernelIDF16_hLi64ELi64ELi256ELi12EEvPT0_PKfS3_PKT_PKiS8_iS3_
                                        ; -- End function
	.section	.AMDGPU.csdata,"",@progbits
; Kernel info:
; codeLenInByte = 7364
; NumSgprs: 49
; NumVgprs: 67
; ScratchSize: 0
; MemoryBound: 0
; FloatMode: 240
; IeeeMode: 1
; LDSByteSize: 1540 bytes/workgroup (compile time only)
; SGPRBlocks: 6
; VGPRBlocks: 8
; NumSGPRsForWavesPerEU: 49
; NumVGPRsForWavesPerEU: 67
; Occupancy: 16
; WaveLimiterHint : 0
; COMPUTE_PGM_RSRC2:SCRATCH_EN: 0
; COMPUTE_PGM_RSRC2:USER_SGPR: 14
; COMPUTE_PGM_RSRC2:TRAP_HANDLER: 0
; COMPUTE_PGM_RSRC2:TGID_X_EN: 1
; COMPUTE_PGM_RSRC2:TGID_Y_EN: 1
; COMPUTE_PGM_RSRC2:TGID_Z_EN: 0
; COMPUTE_PGM_RSRC2:TIDIG_COMP_CNT: 0
	.section	.text._Z35paged_attention_ll4mi_reduce_kernelIDF16_hLi64ELi64ELi256ELi13EEvPT0_PKfS3_PKT_PKiS8_iS3_,"axG",@progbits,_Z35paged_attention_ll4mi_reduce_kernelIDF16_hLi64ELi64ELi256ELi13EEvPT0_PKfS3_PKT_PKiS8_iS3_,comdat
	.protected	_Z35paged_attention_ll4mi_reduce_kernelIDF16_hLi64ELi64ELi256ELi13EEvPT0_PKfS3_PKT_PKiS8_iS3_ ; -- Begin function _Z35paged_attention_ll4mi_reduce_kernelIDF16_hLi64ELi64ELi256ELi13EEvPT0_PKfS3_PKT_PKiS8_iS3_
	.globl	_Z35paged_attention_ll4mi_reduce_kernelIDF16_hLi64ELi64ELi256ELi13EEvPT0_PKfS3_PKT_PKiS8_iS3_
	.p2align	8
	.type	_Z35paged_attention_ll4mi_reduce_kernelIDF16_hLi64ELi64ELi256ELi13EEvPT0_PKfS3_PKT_PKiS8_iS3_,@function
_Z35paged_attention_ll4mi_reduce_kernelIDF16_hLi64ELi64ELi256ELi13EEvPT0_PKfS3_PKT_PKiS8_iS3_: ; @_Z35paged_attention_ll4mi_reduce_kernelIDF16_hLi64ELi64ELi256ELi13EEvPT0_PKfS3_PKT_PKiS8_iS3_
; %bb.0:
	s_load_b64 s[12:13], s[0:1], 0x28
	s_mov_b32 s2, s15
	s_waitcnt lgkmcnt(0)
	s_cmp_lg_u64 s[12:13], 0
	s_cselect_b32 s15, -1, 0
	s_delay_alu instid0(SALU_CYCLE_1)
	s_and_b32 vcc_lo, exec_lo, s15
	s_cbranch_vccz .LBB34_20
; %bb.1:
	s_add_i32 s4, s2, 1
	s_mov_b32 s5, 0
	s_delay_alu instid0(SALU_CYCLE_1) | instskip(SKIP_4) | instid1(SALU_CYCLE_1)
	s_lshl_b64 s[6:7], s[4:5], 2
	s_mov_b32 s3, s5
	s_add_u32 s6, s12, s6
	s_addc_u32 s7, s13, s7
	s_lshl_b64 s[8:9], s[2:3], 2
	s_add_u32 s8, s12, s8
	s_addc_u32 s9, s13, s9
	s_clause 0x1
	s_load_b32 s4, s[6:7], 0x0
	s_load_b32 s6, s[8:9], 0x0
	s_waitcnt lgkmcnt(0)
	s_sub_i32 s4, s4, s6
	s_delay_alu instid0(SALU_CYCLE_1)
	s_cmp_eq_u32 s4, 1
	s_cselect_b32 s4, -1, 0
	s_cbranch_execnz .LBB34_3
.LBB34_2:
	s_mov_b32 s3, 0
	s_mov_b32 s4, -1
.LBB34_3:
	s_delay_alu instid0(SALU_CYCLE_1)
	s_and_not1_b32 vcc_lo, exec_lo, s4
	s_cbranch_vccz .LBB34_5
; %bb.4:
	s_endpgm
.LBB34_5:
	s_clause 0x1
	s_load_b128 s[4:7], s[0:1], 0x18
	s_load_b32 s9, s[0:1], 0x30
	s_lshl_b64 s[16:17], s[2:3], 2
	s_waitcnt lgkmcnt(0)
	s_add_u32 s6, s6, s16
	s_addc_u32 s7, s7, s17
	s_load_b32 s23, s[6:7], 0x0
	s_load_b32 s33, s[0:1], 0x40
	s_mul_i32 s7, s2, s9
	s_waitcnt lgkmcnt(0)
	s_add_i32 s22, s23, 0xff
	s_delay_alu instid0(SALU_CYCLE_1) | instskip(NEXT) | instid1(SALU_CYCLE_1)
	s_ashr_i32 s6, s22, 31
	s_lshr_b32 s6, s6, 24
	s_delay_alu instid0(SALU_CYCLE_1) | instskip(SKIP_4) | instid1(SALU_CYCLE_1)
	s_add_i32 s8, s22, s6
	s_mul_i32 s6, s14, s9
	s_mov_b32 s9, exec_lo
	v_cmpx_lt_u32_e32 31, v0
	s_xor_b32 s9, exec_lo, s9
	s_or_saveexec_b32 s24, s9
	v_mov_b32_e32 v1, s6
	s_ashr_i32 s40, s8, 8
	s_mul_i32 s18, s7, s33
	s_xor_b32 exec_lo, exec_lo, s24
	s_cbranch_execz .LBB34_9
; %bb.6:
	v_or_b32_e32 v2, 32, v0
	v_cmp_gt_i32_e32 vcc_lo, s40, v0
	s_add_i32 s20, s40, -1
	v_or_b32_e32 v4, 64, v0
	v_or_b32_e32 v6, 0x60, v0
	s_load_b128 s[8:11], s[0:1], 0x8
	v_cndmask_b32_e32 v1, s20, v0, vcc_lo
	v_cmp_gt_i32_e32 vcc_lo, s40, v2
	s_mov_b32 s19, 0
	s_delay_alu instid0(SALU_CYCLE_1)
	s_mov_b32 s7, s19
	v_cndmask_b32_e32 v3, s20, v2, vcc_lo
	v_cmp_gt_i32_e32 vcc_lo, s40, v4
	v_or_b32_e32 v2, 0x80, v0
	v_cndmask_b32_e32 v5, s20, v4, vcc_lo
	v_cmp_gt_i32_e32 vcc_lo, s40, v6
	v_or_b32_e32 v4, 0xa0, v0
	;; [unrolled: 3-line block ×3, first 2 shown]
	s_delay_alu instid0(VALU_DEP_3) | instskip(SKIP_3) | instid1(VALU_DEP_3)
	v_ashrrev_i32_e32 v8, 31, v7
	v_cndmask_b32_e32 v9, s20, v2, vcc_lo
	v_or_b32_e32 v2, 0xc0, v0
	v_cmp_gt_i32_e32 vcc_lo, s40, v4
	v_ashrrev_i32_e32 v10, 31, v9
	v_cndmask_b32_e32 v11, s20, v4, vcc_lo
	s_delay_alu instid0(VALU_DEP_4) | instskip(SKIP_1) | instid1(VALU_DEP_3)
	v_cmp_gt_i32_e32 vcc_lo, s40, v2
	v_or_b32_e32 v4, 0x100, v0
	v_ashrrev_i32_e32 v12, 31, v11
	v_cndmask_b32_e32 v13, s20, v2, vcc_lo
	v_cmp_gt_i32_e32 vcc_lo, s40, v6
	v_or_b32_e32 v2, 0x120, v0
	s_delay_alu instid0(VALU_DEP_3) | instskip(SKIP_3) | instid1(VALU_DEP_3)
	v_ashrrev_i32_e32 v14, 31, v13
	v_cndmask_b32_e32 v15, s20, v6, vcc_lo
	v_cmp_gt_i32_e32 vcc_lo, s40, v4
	v_or_b32_e32 v6, 0x160, v0
	v_ashrrev_i32_e32 v16, 31, v15
	v_cndmask_b32_e32 v17, s20, v4, vcc_lo
	v_or_b32_e32 v4, 0x140, v0
	v_cmp_gt_i32_e32 vcc_lo, s40, v2
	s_delay_alu instid0(VALU_DEP_3) | instskip(SKIP_1) | instid1(VALU_DEP_4)
	v_ashrrev_i32_e32 v18, 31, v17
	v_cndmask_b32_e32 v19, s20, v2, vcc_lo
	v_cmp_gt_i32_e32 vcc_lo, s40, v4
	v_or_b32_e32 v2, 0x180, v0
	s_delay_alu instid0(VALU_DEP_3) | instskip(SKIP_3) | instid1(VALU_DEP_3)
	v_ashrrev_i32_e32 v20, 31, v19
	v_cndmask_b32_e32 v21, s20, v4, vcc_lo
	v_cmp_gt_i32_e32 vcc_lo, s40, v6
	v_ashrrev_i32_e32 v4, 31, v3
	v_ashrrev_i32_e32 v22, 31, v21
	v_cndmask_b32_e32 v23, s20, v6, vcc_lo
	v_cmp_gt_i32_e32 vcc_lo, s40, v2
	v_ashrrev_i32_e32 v6, 31, v5
	s_delay_alu instid0(VALU_DEP_3)
	v_ashrrev_i32_e32 v24, 31, v23
	v_cndmask_b32_e32 v25, s20, v2, vcc_lo
	v_ashrrev_i32_e32 v2, 31, v1
	s_lshl_b64 s[20:21], s[18:19], 2
	s_waitcnt lgkmcnt(0)
	s_add_u32 s19, s10, s20
	s_addc_u32 s25, s11, s21
	v_lshlrev_b64 v[27:28], 2, v[1:2]
	s_lshl_b64 s[10:11], s[6:7], 2
	v_lshlrev_b64 v[2:3], 2, v[3:4]
	s_add_u32 s7, s19, s10
	s_addc_u32 s19, s25, s11
	v_lshlrev_b64 v[4:5], 2, v[5:6]
	v_add_co_u32 v29, vcc_lo, s7, v27
	v_add_co_ci_u32_e32 v30, vcc_lo, s19, v28, vcc_lo
	v_add_co_u32 v31, vcc_lo, s7, v2
	v_lshlrev_b64 v[6:7], 2, v[7:8]
	v_add_co_ci_u32_e32 v32, vcc_lo, s19, v3, vcc_lo
	v_add_co_u32 v33, vcc_lo, s7, v4
	v_lshlrev_b64 v[8:9], 2, v[9:10]
	;; [unrolled: 3-line block ×6, first 2 shown]
	v_add_co_ci_u32_e32 v42, vcc_lo, s19, v13, vcc_lo
	v_add_co_u32 v43, vcc_lo, s7, v14
	v_add_co_ci_u32_e32 v44, vcc_lo, s19, v15, vcc_lo
	v_lshlrev_b64 v[18:19], 2, v[19:20]
	v_add_co_u32 v45, vcc_lo, s7, v16
	v_add_co_ci_u32_e32 v46, vcc_lo, s19, v17, vcc_lo
	s_clause 0x8
	global_load_b32 v47, v[29:30], off
	global_load_b32 v48, v[31:32], off
	;; [unrolled: 1-line block ×9, first 2 shown]
	v_lshlrev_b64 v[20:21], 2, v[21:22]
	v_ashrrev_i32_e32 v26, 31, v25
	v_add_co_u32 v29, vcc_lo, s7, v18
	v_lshlrev_b64 v[22:23], 2, v[23:24]
	v_add_co_ci_u32_e32 v30, vcc_lo, s19, v19, vcc_lo
	v_add_co_u32 v31, vcc_lo, s7, v20
	v_lshlrev_b64 v[24:25], 2, v[25:26]
	v_add_co_ci_u32_e32 v32, vcc_lo, s19, v21, vcc_lo
	v_add_co_u32 v33, vcc_lo, s7, v22
	v_add_co_ci_u32_e32 v34, vcc_lo, s19, v23, vcc_lo
	s_delay_alu instid0(VALU_DEP_4)
	v_add_co_u32 v35, vcc_lo, s7, v24
	v_add_co_ci_u32_e32 v36, vcc_lo, s19, v25, vcc_lo
	s_clause 0x3
	global_load_b32 v29, v[29:30], off
	global_load_b32 v30, v[31:32], off
	global_load_b32 v31, v[33:34], off
	global_load_b32 v32, v[35:36], off
	v_mbcnt_lo_u32_b32 v33, -1, 0
	s_add_u32 s7, s8, s20
	s_addc_u32 s8, s9, s21
	s_add_u32 s7, s7, s10
	s_addc_u32 s8, s8, s11
	v_xor_b32_e32 v1, 16, v33
	s_delay_alu instid0(VALU_DEP_1)
	v_cmp_gt_i32_e32 vcc_lo, 32, v1
	v_cndmask_b32_e32 v1, v33, v1, vcc_lo
	v_add_co_u32 v26, vcc_lo, s7, v27
	v_add_co_ci_u32_e32 v27, vcc_lo, s8, v28, vcc_lo
	v_add_co_u32 v2, vcc_lo, s7, v2
	v_add_co_ci_u32_e32 v3, vcc_lo, s8, v3, vcc_lo
	;; [unrolled: 2-line block ×10, first 2 shown]
	s_clause 0x9
	global_load_b32 v26, v[26:27], off
	global_load_b32 v27, v[2:3], off
	global_load_b32 v35, v[4:5], off
	global_load_b32 v36, v[6:7], off
	global_load_b32 v9, v[8:9], off
	global_load_b32 v10, v[10:11], off
	global_load_b32 v11, v[12:13], off
	global_load_b32 v2, v[14:15], off
	global_load_b32 v3, v[16:17], off
	global_load_b32 v4, v[18:19], off
	v_xor_b32_e32 v14, 4, v33
	v_lshlrev_b32_e32 v1, 2, v1
	v_xor_b32_e32 v5, 8, v33
	v_xor_b32_e32 v16, 1, v33
	s_delay_alu instid0(VALU_DEP_2) | instskip(SKIP_1) | instid1(VALU_DEP_1)
	v_cmp_gt_i32_e32 vcc_lo, 32, v5
	v_cndmask_b32_e32 v5, v33, v5, vcc_lo
	v_lshlrev_b32_e32 v6, 2, v5
	s_waitcnt vmcnt(20)
	v_max3_f32 v28, v47, v48, v49
	s_waitcnt vmcnt(18)
	s_delay_alu instid0(VALU_DEP_1) | instskip(SKIP_1) | instid1(VALU_DEP_1)
	v_max3_f32 v28, v28, v50, v37
	s_waitcnt vmcnt(16)
	v_max3_f32 v28, v28, v38, v39
	s_waitcnt vmcnt(14)
	s_delay_alu instid0(VALU_DEP_1) | instskip(SKIP_1) | instid1(VALU_DEP_1)
	v_max3_f32 v28, v28, v40, v41
	s_waitcnt vmcnt(12)
	v_max3_f32 v28, v28, v29, v30
	s_waitcnt vmcnt(10)
	s_delay_alu instid0(VALU_DEP_1) | instskip(SKIP_3) | instid1(VALU_DEP_1)
	v_max3_f32 v28, v28, v31, v32
	ds_bpermute_b32 v34, v1, v28
	s_waitcnt lgkmcnt(0)
	v_max_f32_e32 v7, v34, v34
	v_max_f32_e32 v12, v28, v7
	v_add_co_u32 v7, vcc_lo, s7, v20
	v_add_co_ci_u32_e32 v8, vcc_lo, s8, v21, vcc_lo
	ds_bpermute_b32 v13, v6, v12
	v_cmp_gt_i32_e32 vcc_lo, 32, v14
	global_load_b32 v5, v[7:8], off
	v_cndmask_b32_e32 v14, v33, v14, vcc_lo
	v_add_co_u32 v7, vcc_lo, s7, v22
	v_add_co_ci_u32_e32 v8, vcc_lo, s8, v23, vcc_lo
	s_delay_alu instid0(VALU_DEP_3)
	v_lshlrev_b32_e32 v14, 2, v14
	global_load_b32 v15, v[7:8], off
	v_add_co_u32 v7, vcc_lo, s7, v24
	v_add_co_ci_u32_e32 v8, vcc_lo, s8, v25, vcc_lo
	s_mov_b32 s7, exec_lo
	s_waitcnt lgkmcnt(0)
	v_max_f32_e32 v13, v13, v13
	global_load_b32 v7, v[7:8], off
	v_xor_b32_e32 v8, 2, v33
	v_max_f32_e32 v12, v12, v13
	s_delay_alu instid0(VALU_DEP_2) | instskip(SKIP_3) | instid1(VALU_DEP_2)
	v_cmp_gt_i32_e32 vcc_lo, 32, v8
	ds_bpermute_b32 v13, v14, v12
	v_cndmask_b32_e32 v8, v33, v8, vcc_lo
	v_cmp_gt_i32_e32 vcc_lo, 32, v16
	v_lshlrev_b32_e32 v8, 2, v8
	v_cndmask_b32_e32 v16, v33, v16, vcc_lo
	s_waitcnt lgkmcnt(0)
	s_delay_alu instid0(VALU_DEP_1) | instskip(NEXT) | instid1(VALU_DEP_1)
	v_dual_max_f32 v13, v13, v13 :: v_dual_lshlrev_b32 v16, 2, v16
	v_max_f32_e32 v12, v12, v13
	ds_bpermute_b32 v13, v8, v12
	s_waitcnt lgkmcnt(0)
	v_max_f32_e32 v13, v13, v13
	s_delay_alu instid0(VALU_DEP_1) | instskip(SKIP_3) | instid1(VALU_DEP_1)
	v_max_f32_e32 v12, v12, v13
	ds_bpermute_b32 v13, v16, v12
	s_waitcnt lgkmcnt(0)
	v_max_f32_e32 v13, v13, v13
	v_max_f32_e32 v12, v12, v13
	v_sub_nc_u32_e32 v13, s40, v0
	s_delay_alu instid0(VALU_DEP_2) | instskip(SKIP_3) | instid1(VALU_DEP_4)
	v_sub_f32_e32 v20, v50, v12
	v_sub_f32_e32 v22, v38, v12
	;; [unrolled: 1-line block ×4, first 2 shown]
	v_mul_f32_e32 v34, 0x3fb8aa3b, v20
	s_delay_alu instid0(VALU_DEP_4) | instskip(NEXT) | instid1(VALU_DEP_4)
	v_mul_f32_e32 v38, 0x3fb8aa3b, v22
	v_mul_f32_e32 v40, 0x3fb8aa3b, v24
	s_delay_alu instid0(VALU_DEP_3) | instskip(SKIP_1) | instid1(VALU_DEP_4)
	v_fma_f32 v51, 0x3fb8aa3b, v20, -v34
	v_rndne_f32_e32 v52, v34
	v_fma_f32 v55, 0x3fb8aa3b, v22, -v38
	v_rndne_f32_e32 v56, v38
	v_fma_f32 v59, 0x3fb8aa3b, v24, -v40
	v_fmac_f32_e32 v51, 0x32a5705f, v20
	v_sub_f32_e32 v34, v34, v52
	v_sub_f32_e32 v19, v49, v12
	v_cvt_i32_f32_e32 v52, v52
	v_dual_fmac_f32 v55, 0x32a5705f, v22 :: v_dual_sub_f32 v38, v38, v56
	s_delay_alu instid0(VALU_DEP_4) | instskip(NEXT) | instid1(VALU_DEP_4)
	v_add_f32_e32 v34, v34, v51
	v_dual_sub_f32 v28, v29, v12 :: v_dual_mul_f32 v33, 0x3fb8aa3b, v19
	s_delay_alu instid0(VALU_DEP_3) | instskip(NEXT) | instid1(VALU_DEP_3)
	v_dual_sub_f32 v21, v37, v12 :: v_dual_add_f32 v38, v38, v55
	v_exp_f32_e32 v34, v34
	v_rndne_f32_e32 v60, v40
	v_fmac_f32_e32 v59, 0x32a5705f, v24
	s_delay_alu instid0(VALU_DEP_3)
	v_mul_f32_e32 v37, 0x3fb8aa3b, v21
	v_fma_f32 v49, 0x3fb8aa3b, v19, -v33
	v_rndne_f32_e32 v50, v33
	v_sub_f32_e32 v40, v40, v60
	v_sub_f32_e32 v23, v39, v12
	v_mul_f32_e32 v42, 0x3fb8aa3b, v28
	v_cvt_i32_f32_e32 v60, v60
	v_ldexp_f32 v34, v34, v52
	v_dual_add_f32 v40, v40, v59 :: v_dual_sub_f32 v29, v30, v12
	v_sub_f32_e32 v30, v31, v12
	v_sub_f32_e32 v17, v47, v12
	v_mul_f32_e32 v39, 0x3fb8aa3b, v23
	v_fma_f32 v63, 0x3fb8aa3b, v28, -v42
	v_rndne_f32_e32 v64, v42
	s_delay_alu instid0(VALU_DEP_4) | instskip(SKIP_1) | instid1(VALU_DEP_4)
	v_dual_mul_f32 v44, 0x3fb8aa3b, v30 :: v_dual_mul_f32 v31, 0x3fb8aa3b, v17
	v_fmac_f32_e32 v49, 0x32a5705f, v19
	v_fmac_f32_e32 v63, 0x32a5705f, v28
	s_delay_alu instid0(VALU_DEP_4)
	v_sub_f32_e32 v42, v42, v64
	v_sub_f32_e32 v25, v41, v12
	v_fma_f32 v45, 0x3fb8aa3b, v17, -v31
	v_rndne_f32_e32 v46, v31
	v_sub_f32_e32 v12, v32, v12
	v_add_f32_e32 v42, v42, v63
	v_mul_f32_e32 v32, 0x3fb8aa3b, v18
	v_fmac_f32_e32 v45, 0x32a5705f, v17
	v_sub_f32_e32 v31, v31, v46
	v_cvt_i32_f32_e32 v46, v46
	v_cmp_ngt_f32_e32 vcc_lo, 0xc2ce8ed0, v17
	v_fma_f32 v47, 0x3fb8aa3b, v18, -v32
	v_rndne_f32_e32 v48, v32
	v_add_f32_e32 v31, v31, v45
	v_mul_f32_e32 v41, 0x3fb8aa3b, v25
	v_exp_f32_e32 v40, v40
	v_fma_f32 v53, 0x3fb8aa3b, v21, -v37
	v_sub_f32_e32 v32, v32, v48
	v_exp_f32_e32 v31, v31
	v_cvt_i32_f32_e32 v48, v48
	v_rndne_f32_e32 v54, v37
	v_fmac_f32_e32 v53, 0x32a5705f, v21
	v_fma_f32 v57, 0x3fb8aa3b, v23, -v39
	v_rndne_f32_e32 v58, v39
	v_fma_f32 v61, 0x3fb8aa3b, v25, -v41
	v_ldexp_f32 v40, v40, v60
	v_sub_f32_e32 v33, v33, v50
	v_cvt_i32_f32_e32 v50, v50
	v_ldexp_f32 v31, v31, v46
	v_fmac_f32_e32 v57, 0x32a5705f, v23
	v_sub_f32_e32 v39, v39, v58
	v_add_f32_e32 v33, v33, v49
	v_rndne_f32_e32 v62, v41
	v_cndmask_b32_e32 v31, 0, v31, vcc_lo
	v_cmp_ngt_f32_e32 vcc_lo, 0xc2ce8ed0, v18
	v_fmac_f32_e32 v47, 0x32a5705f, v18
	v_exp_f32_e32 v33, v33
	v_add_f32_e32 v39, v39, v57
	v_exp_f32_e32 v38, v38
	v_cvt_i32_f32_e32 v56, v56
	v_dual_add_f32 v32, v32, v47 :: v_dual_fmac_f32 v61, 0x32a5705f, v25
	v_sub_f32_e32 v41, v41, v62
	v_exp_f32_e32 v39, v39
	v_cvt_i32_f32_e32 v58, v58
	s_delay_alu instid0(VALU_DEP_3) | instskip(SKIP_2) | instid1(TRANS32_DEP_3)
	v_exp_f32_e32 v32, v32
	v_ldexp_f32 v33, v33, v50
	v_add_f32_e32 v41, v41, v61
	v_ldexp_f32 v38, v38, v56
	v_cvt_i32_f32_e32 v62, v62
	v_exp_f32_e32 v42, v42
	v_cvt_i32_f32_e32 v64, v64
	v_exp_f32_e32 v41, v41
	v_ldexp_f32 v39, v39, v58
	v_fma_f32 v67, 0x3fb8aa3b, v30, -v44
	v_ldexp_f32 v32, v32, v48
	s_delay_alu instid0(VALU_DEP_1) | instskip(SKIP_3) | instid1(TRANS32_DEP_1)
	v_dual_fmac_f32 v67, 0x32a5705f, v30 :: v_dual_cndmask_b32 v32, 0, v32
	v_sub_f32_e32 v37, v37, v54
	v_cmp_ngt_f32_e32 vcc_lo, 0xc2ce8ed0, v19
	v_cvt_i32_f32_e32 v54, v54
	v_ldexp_f32 v41, v41, v62
	v_ldexp_f32 v42, v42, v64
	v_add_f32_e32 v37, v37, v53
	v_cndmask_b32_e32 v33, 0, v33, vcc_lo
	v_cmp_ngt_f32_e32 vcc_lo, 0xc2ce8ed0, v20
	s_delay_alu instid0(VALU_DEP_3) | instskip(SKIP_4) | instid1(VALU_DEP_1)
	v_exp_f32_e32 v37, v37
	v_cndmask_b32_e32 v34, 0, v34, vcc_lo
	v_cmp_ngt_f32_e32 vcc_lo, 0xc2ce8ed0, v21
	s_waitcnt_depctr 0xfff
	v_ldexp_f32 v37, v37, v54
	v_cndmask_b32_e32 v37, 0, v37, vcc_lo
	v_cmp_ngt_f32_e32 vcc_lo, 0xc2ce8ed0, v22
	v_dual_mul_f32 v43, 0x3fb8aa3b, v29 :: v_dual_cndmask_b32 v38, 0, v38
	v_cmp_ngt_f32_e32 vcc_lo, 0xc2ce8ed0, v23
	s_delay_alu instid0(VALU_DEP_2)
	v_fma_f32 v65, 0x3fb8aa3b, v29, -v43
	v_rndne_f32_e32 v66, v43
	v_cndmask_b32_e32 v39, 0, v39, vcc_lo
	v_cmp_ngt_f32_e32 vcc_lo, 0xc2ce8ed0, v24
	v_cndmask_b32_e32 v40, 0, v40, vcc_lo
	v_cmp_ngt_f32_e32 vcc_lo, 0xc2ce8ed0, v25
	;; [unrolled: 2-line block ×3, first 2 shown]
	v_cndmask_b32_e32 v42, 0, v42, vcc_lo
	v_cmp_nlt_f32_e32 vcc_lo, 0x42b17218, v17
	v_cndmask_b32_e32 v17, 0x7f800000, v31, vcc_lo
	v_cmp_nlt_f32_e32 vcc_lo, 0x42b17218, v18
	v_cndmask_b32_e32 v18, 0x7f800000, v32, vcc_lo
	v_cmp_nlt_f32_e32 vcc_lo, 0x42b17218, v19
	v_cndmask_b32_e32 v19, 0x7f800000, v33, vcc_lo
	v_cmp_nlt_f32_e32 vcc_lo, 0x42b17218, v20
	v_cndmask_b32_e32 v20, 0x7f800000, v34, vcc_lo
	v_cmp_nlt_f32_e32 vcc_lo, 0x42b17218, v21
	v_cndmask_b32_e32 v21, 0x7f800000, v37, vcc_lo
	v_cmp_nlt_f32_e32 vcc_lo, 0x42b17218, v22
	v_cndmask_b32_e32 v22, 0x7f800000, v38, vcc_lo
	v_cmp_nlt_f32_e32 vcc_lo, 0x42b17218, v23
	v_cndmask_b32_e32 v23, 0x7f800000, v39, vcc_lo
	v_cmp_nlt_f32_e32 vcc_lo, 0x42b17218, v24
	v_cndmask_b32_e32 v24, 0x7f800000, v40, vcc_lo
	v_cmp_nlt_f32_e32 vcc_lo, 0x42b17218, v25
	v_cndmask_b32_e32 v25, 0x7f800000, v41, vcc_lo
	v_cmp_nlt_f32_e32 vcc_lo, 0x42b17218, v28
	v_cndmask_b32_e32 v28, 0x7f800000, v42, vcc_lo
	v_cmp_lt_i32_e32 vcc_lo, 0, v13
	v_cndmask_b32_e32 v17, 0, v17, vcc_lo
	v_cmp_lt_i32_e32 vcc_lo, 32, v13
	s_waitcnt vmcnt(12)
	s_delay_alu instid0(VALU_DEP_2) | instskip(SKIP_3) | instid1(VALU_DEP_3)
	v_dual_mul_f32 v17, v26, v17 :: v_dual_cndmask_b32 v18, 0, v18
	v_cmp_lt_i32_e32 vcc_lo, 64, v13
	v_cvt_i32_f32_e32 v26, v66
	s_waitcnt vmcnt(11)
	v_dual_mul_f32 v18, v27, v18 :: v_dual_cndmask_b32 v19, 0, v19
	v_cmp_lt_i32_e32 vcc_lo, 0x60, v13
	v_cndmask_b32_e32 v20, 0, v20, vcc_lo
	v_cmp_lt_i32_e32 vcc_lo, 0x80, v13
	s_waitcnt vmcnt(9)
	s_delay_alu instid0(VALU_DEP_2) | instskip(SKIP_3) | instid1(VALU_DEP_2)
	v_dual_fmac_f32 v65, 0x32a5705f, v29 :: v_dual_mul_f32 v20, v36, v20
	v_cndmask_b32_e32 v21, 0, v21, vcc_lo
	v_cmp_lt_i32_e32 vcc_lo, 0xa0, v13
	s_waitcnt vmcnt(8)
	v_dual_mul_f32 v9, v9, v21 :: v_dual_cndmask_b32 v22, 0, v22
	v_cmp_lt_i32_e32 vcc_lo, 0xc0, v13
	v_rndne_f32_e32 v21, v44
	s_waitcnt vmcnt(7)
	s_delay_alu instid0(VALU_DEP_3) | instskip(SKIP_2) | instid1(VALU_DEP_2)
	v_dual_mul_f32 v10, v10, v22 :: v_dual_cndmask_b32 v23, 0, v23
	v_cmp_lt_i32_e32 vcc_lo, 0xe0, v13
	s_waitcnt vmcnt(6)
	v_dual_mul_f32 v11, v11, v23 :: v_dual_cndmask_b32 v24, 0, v24
	v_sub_f32_e32 v43, v43, v66
	v_cmp_lt_i32_e32 vcc_lo, 0x100, v13
	v_mul_f32_e32 v23, 0x3fb8aa3b, v12
	s_waitcnt vmcnt(5)
	s_delay_alu instid0(VALU_DEP_3) | instskip(SKIP_3) | instid1(VALU_DEP_4)
	v_dual_mul_f32 v2, v2, v24 :: v_dual_add_f32 v43, v43, v65
	v_dual_add_f32 v24, v17, v18 :: v_dual_cndmask_b32 v25, 0, v25
	v_cmp_lt_i32_e32 vcc_lo, 0x120, v13
	v_fma_f32 v27, 0x3fb8aa3b, v12, -v23
	v_exp_f32_e32 v22, v43
	s_waitcnt vmcnt(4)
	v_dual_mul_f32 v3, v3, v25 :: v_dual_cndmask_b32 v28, 0, v28
	v_sub_f32_e32 v25, v44, v21
	v_cmp_ngt_f32_e32 vcc_lo, 0xc2ce8ed0, v29
	v_fmac_f32_e32 v27, 0x32a5705f, v12
	v_cvt_i32_f32_e32 v21, v21
	s_waitcnt vmcnt(3)
	v_mul_f32_e32 v4, v4, v28
	v_rndne_f32_e32 v28, v23
	v_add_f32_e32 v25, v25, v67
	v_ldexp_f32 v22, v22, v26
	s_delay_alu instid0(VALU_DEP_3) | instskip(NEXT) | instid1(VALU_DEP_3)
	v_sub_f32_e32 v23, v23, v28
	v_exp_f32_e32 v25, v25
	s_delay_alu instid0(VALU_DEP_2) | instskip(SKIP_1) | instid1(VALU_DEP_2)
	v_cndmask_b32_e32 v22, 0, v22, vcc_lo
	v_cmp_nlt_f32_e32 vcc_lo, 0x42b17218, v29
	v_dual_add_f32 v23, v23, v27 :: v_dual_cndmask_b32 v22, 0x7f800000, v22
	v_cmp_lt_i32_e32 vcc_lo, 0x140, v13
	s_delay_alu instid0(VALU_DEP_2)
	v_exp_f32_e32 v23, v23
	s_waitcnt_depctr 0xfff
	v_ldexp_f32 v21, v25, v21
	v_cvt_i32_f32_e32 v25, v28
	v_cndmask_b32_e32 v22, 0, v22, vcc_lo
	v_cmp_ngt_f32_e32 vcc_lo, 0xc2ce8ed0, v30
	s_waitcnt vmcnt(2)
	s_delay_alu instid0(VALU_DEP_2) | instskip(SKIP_3) | instid1(VALU_DEP_3)
	v_mul_f32_e32 v5, v5, v22
	v_cndmask_b32_e32 v21, 0, v21, vcc_lo
	v_cmp_nlt_f32_e32 vcc_lo, 0x42b17218, v30
	v_ldexp_f32 v22, v23, v25
	v_cndmask_b32_e32 v21, 0x7f800000, v21, vcc_lo
	v_cmp_ngt_f32_e32 vcc_lo, 0xc2ce8ed0, v12
	s_delay_alu instid0(VALU_DEP_3) | instskip(SKIP_1) | instid1(VALU_DEP_4)
	v_cndmask_b32_e32 v22, 0, v22, vcc_lo
	v_cmp_lt_i32_e32 vcc_lo, 0x160, v13
	v_cndmask_b32_e32 v21, 0, v21, vcc_lo
	v_cmp_nlt_f32_e32 vcc_lo, 0x42b17218, v12
	v_mul_f32_e32 v19, v35, v19
	s_waitcnt vmcnt(1)
	s_delay_alu instid0(VALU_DEP_3) | instskip(NEXT) | instid1(VALU_DEP_2)
	v_dual_mul_f32 v15, v15, v21 :: v_dual_cndmask_b32 v12, 0x7f800000, v22
	v_add_f32_e32 v24, v24, v19
	v_cmp_lt_i32_e32 vcc_lo, 0x180, v13
	s_delay_alu instid0(VALU_DEP_2) | instskip(NEXT) | instid1(VALU_DEP_4)
	v_add_f32_e32 v24, v24, v20
	v_cndmask_b32_e32 v12, 0, v12, vcc_lo
	s_waitcnt vmcnt(0)
	s_delay_alu instid0(VALU_DEP_1) | instskip(NEXT) | instid1(VALU_DEP_1)
	v_dual_add_f32 v24, v24, v9 :: v_dual_mul_f32 v7, v7, v12
	v_add_f32_e32 v24, v24, v10
	s_delay_alu instid0(VALU_DEP_1) | instskip(NEXT) | instid1(VALU_DEP_1)
	v_add_f32_e32 v24, v24, v11
	v_add_f32_e32 v23, v24, v2
	s_delay_alu instid0(VALU_DEP_1) | instskip(NEXT) | instid1(VALU_DEP_1)
	v_add_f32_e32 v23, v23, v3
	;; [unrolled: 3-line block ×3, first 2 shown]
	v_add_f32_e32 v12, v13, v15
	s_delay_alu instid0(VALU_DEP_1)
	v_add_f32_e32 v12, v12, v7
	ds_bpermute_b32 v1, v1, v12
	s_waitcnt lgkmcnt(0)
	v_add_f32_e32 v1, v12, v1
	ds_bpermute_b32 v6, v6, v1
	s_waitcnt lgkmcnt(0)
	;; [unrolled: 3-line block ×3, first 2 shown]
	v_add_f32_e32 v1, v1, v6
	ds_bpermute_b32 v6, v8, v1
	v_lshlrev_b32_e32 v8, 2, v0
	s_delay_alu instid0(VALU_DEP_1)
	v_add_nc_u32_e32 v12, 0x400, v8
	ds_store_2addr_b32 v8, v17, v18 offset1:32
	ds_store_2addr_b32 v8, v19, v20 offset0:64 offset1:96
	ds_store_2addr_b32 v8, v9, v10 offset0:128 offset1:160
	;; [unrolled: 1-line block ×3, first 2 shown]
	ds_store_2addr_b32 v12, v3, v4 offset1:32
	ds_store_2addr_b32 v12, v5, v15 offset0:64 offset1:96
	ds_store_b32 v8, v7 offset:1536
	s_waitcnt lgkmcnt(7)
	v_add_f32_e32 v1, v1, v6
	ds_bpermute_b32 v6, v16, v1
	v_cmpx_eq_u32_e32 0, v0
	s_cbranch_execz .LBB34_8
; %bb.7:
	s_waitcnt lgkmcnt(0)
	v_dual_add_f32 v1, v1, v6 :: v_dual_mov_b32 v2, 0
	ds_store_b32 v2, v1 offset:1664
.LBB34_8:
	s_or_b32 exec_lo, exec_lo, s7
	v_mov_b32_e32 v1, s6
.LBB34_9:
	s_or_b32 exec_lo, exec_lo, s24
	s_lshl_b32 s6, s18, 6
	s_mov_b32 s7, 0
	s_delay_alu instid0(VALU_DEP_1)
	v_dual_mov_b32 v2, 0 :: v_dual_lshlrev_b32 v1, 6, v1
	s_lshl_b64 s[6:7], s[6:7], 1
	v_dual_mov_b32 v29, 0 :: v_dual_mov_b32 v30, 0
	s_add_u32 s34, s4, s6
	s_addc_u32 s35, s5, s7
	s_lshl_b32 s41, s40, 6
	v_lshlrev_b64 v[3:4], 1, v[1:2]
	s_sub_i32 s42, s41, 64
	s_cmpk_lt_i32 s22, 0x100
	v_lshlrev_b32_e32 v1, 1, v0
	s_cselect_b32 s4, s42, 0
	v_dual_mov_b32 v31, 0 :: v_dual_mov_b32 v32, 0
	s_ashr_i32 s5, s4, 31
	v_add_co_u32 v3, vcc_lo, s34, v3
	s_lshl_b64 s[4:5], s[4:5], 1
	s_cmpk_lt_i32 s22, 0x200
	v_add_co_ci_u32_e32 v4, vcc_lo, s35, v4, vcc_lo
	s_cselect_b32 s6, s42, 64
	v_add_co_u32 v1, vcc_lo, v3, v1
	s_ashr_i32 s7, s6, 31
	s_delay_alu instid0(VALU_DEP_2)
	v_add_co_ci_u32_e32 v3, vcc_lo, 0, v4, vcc_lo
	s_lshl_b64 s[6:7], s[6:7], 1
	s_cmpk_lt_i32 s22, 0x300
	v_add_co_u32 v4, vcc_lo, v1, s4
	s_cselect_b32 s8, s42, 0x80
	v_add_co_ci_u32_e32 v5, vcc_lo, s5, v3, vcc_lo
	s_ashr_i32 s9, s8, 31
	v_add_co_u32 v8, vcc_lo, v1, s6
	s_lshl_b64 s[8:9], s[8:9], 1
	s_cmpk_lt_i32 s22, 0x400
	v_add_co_ci_u32_e32 v9, vcc_lo, s7, v3, vcc_lo
	s_cselect_b32 s10, s42, 0xc0
	v_add_co_u32 v10, vcc_lo, v1, s8
	s_ashr_i32 s11, s10, 31
	v_add_co_ci_u32_e32 v11, vcc_lo, s9, v3, vcc_lo
	s_lshl_b64 s[10:11], s[10:11], 1
	s_cmpk_lt_i32 s22, 0x500
	v_add_co_u32 v12, vcc_lo, v1, s10
	s_cselect_b32 s18, s42, 0x100
	v_add_co_ci_u32_e32 v13, vcc_lo, s11, v3, vcc_lo
	s_ashr_i32 s19, s18, 31
	v_dual_mov_b32 v33, 0 :: v_dual_mov_b32 v34, 0
	s_lshl_b64 s[18:19], s[18:19], 1
	s_cmpk_lt_i32 s22, 0x600
	v_add_co_u32 v14, vcc_lo, v1, s18
	s_cselect_b32 s20, s42, 0x140
	v_add_co_ci_u32_e32 v15, vcc_lo, s19, v3, vcc_lo
	s_ashr_i32 s21, s20, 31
	v_mov_b32_e32 v35, 0
	s_lshl_b64 s[20:21], s[20:21], 1
	s_cmpk_lt_i32 s22, 0x700
	v_add_co_u32 v16, vcc_lo, v1, s20
	s_cselect_b32 s24, s42, 0x180
	v_add_co_ci_u32_e32 v17, vcc_lo, s21, v3, vcc_lo
	s_ashr_i32 s25, s24, 31
	s_delay_alu instid0(SALU_CYCLE_1)
	s_lshl_b64 s[24:25], s[24:25], 1
	s_cmpk_lt_i32 s22, 0x800
	v_add_co_u32 v18, vcc_lo, v1, s24
	s_cselect_b32 s26, s42, 0x1c0
	v_add_co_ci_u32_e32 v19, vcc_lo, s25, v3, vcc_lo
	s_ashr_i32 s27, s26, 31
	s_delay_alu instid0(SALU_CYCLE_1)
	s_lshl_b64 s[26:27], s[26:27], 1
	s_cmpk_lt_i32 s22, 0x900
	v_add_co_u32 v20, vcc_lo, v1, s26
	s_cselect_b32 s28, s42, 0x200
	v_add_co_ci_u32_e32 v21, vcc_lo, s27, v3, vcc_lo
	s_ashr_i32 s29, s28, 31
	s_clause 0x6
	global_load_u16 v7, v[4:5], off
	global_load_u16 v8, v[8:9], off
	;; [unrolled: 1-line block ×7, first 2 shown]
	s_waitcnt lgkmcnt(0)
	global_load_u16 v6, v[20:21], off
	s_lshl_b64 s[28:29], s[28:29], 1
	s_cmpk_lt_i32 s22, 0xa00
	v_add_co_u32 v12, vcc_lo, v1, s28
	s_cselect_b32 s30, s42, 0x240
	v_add_co_ci_u32_e32 v13, vcc_lo, s29, v3, vcc_lo
	s_ashr_i32 s31, s30, 31
	s_delay_alu instid0(SALU_CYCLE_1)
	s_lshl_b64 s[30:31], s[30:31], 1
	s_cmpk_lt_i32 s22, 0xb00
	v_add_co_u32 v15, vcc_lo, v1, s30
	s_cselect_b32 s34, s42, 0x280
	v_add_co_ci_u32_e32 v16, vcc_lo, s31, v3, vcc_lo
	s_ashr_i32 s35, s34, 31
	s_delay_alu instid0(SALU_CYCLE_1)
	;; [unrolled: 7-line block ×7, first 2 shown]
	s_lshl_b64 s[4:5], s[6:7], 1
	s_cmpk_gt_i32 s23, 0x1000
	v_add_co_u32 v27, vcc_lo, v1, s4
	v_add_co_ci_u32_e32 v28, vcc_lo, s5, v3, vcc_lo
	s_clause 0x7
	global_load_u16 v14, v[12:13], off
	global_load_u16 v15, v[15:16], off
	;; [unrolled: 1-line block ×8, first 2 shown]
	v_dual_mov_b32 v20, 0 :: v_dual_mov_b32 v21, 0
	v_dual_mov_b32 v22, 0 :: v_dual_mov_b32 v23, 0
	;; [unrolled: 1-line block ×4, first 2 shown]
	v_mov_b32_e32 v28, 0
	s_cselect_b32 s8, -1, 0
	s_cmpk_lt_i32 s23, 0x1001
	s_waitcnt vmcnt(0)
	s_barrier
	buffer_gl0_inv
	s_cbranch_scc1 .LBB34_11
; %bb.10:
	s_cmpk_lt_i32 s22, 0x1100
	s_cselect_b32 s4, s42, 0x400
	s_delay_alu instid0(SALU_CYCLE_1) | instskip(NEXT) | instid1(SALU_CYCLE_1)
	s_ashr_i32 s5, s4, 31
	s_lshl_b64 s[4:5], s[4:5], 1
	s_cmpk_lt_i32 s22, 0x1200
	v_add_co_u32 v20, vcc_lo, v1, s4
	s_cselect_b32 s6, s42, 0x440
	v_add_co_ci_u32_e32 v21, vcc_lo, s5, v3, vcc_lo
	s_ashr_i32 s7, s6, 31
	s_delay_alu instid0(SALU_CYCLE_1)
	s_lshl_b64 s[6:7], s[6:7], 1
	s_cmpk_lt_i32 s22, 0x1300
	v_add_co_u32 v22, vcc_lo, v1, s6
	s_cselect_b32 s10, s42, 0x480
	v_add_co_ci_u32_e32 v23, vcc_lo, s7, v3, vcc_lo
	s_ashr_i32 s11, s10, 31
	s_delay_alu instid0(SALU_CYCLE_1)
	;; [unrolled: 7-line block ×7, first 2 shown]
	s_lshl_b64 s[28:29], s[28:29], 1
	s_cmpk_lt_i32 s22, 0x1900
	v_add_co_u32 v34, vcc_lo, v1, s28
	s_cselect_b32 s30, s42, 0x600
	v_add_co_ci_u32_e32 v35, vcc_lo, s29, v3, vcc_lo
	s_ashr_i32 s31, s30, 31
	s_clause 0x7
	global_load_u16 v36, v[20:21], off
	global_load_u16 v37, v[22:23], off
	;; [unrolled: 1-line block ×8, first 2 shown]
	s_lshl_b64 s[30:31], s[30:31], 1
	s_cmpk_lt_i32 s22, 0x1a00
	v_add_co_u32 v20, vcc_lo, v1, s30
	s_cselect_b32 s34, s42, 0x640
	v_add_co_ci_u32_e32 v21, vcc_lo, s31, v3, vcc_lo
	s_ashr_i32 s35, s34, 31
	s_delay_alu instid0(SALU_CYCLE_1)
	s_lshl_b64 s[34:35], s[34:35], 1
	s_cmpk_lt_i32 s22, 0x1b00
	v_add_co_u32 v22, vcc_lo, v1, s34
	s_cselect_b32 s36, s42, 0x680
	v_add_co_ci_u32_e32 v23, vcc_lo, s35, v3, vcc_lo
	s_ashr_i32 s37, s36, 31
	s_delay_alu instid0(SALU_CYCLE_1)
	s_lshl_b64 s[4:5], s[36:37], 1
	s_cmpk_lt_i32 s22, 0x1c00
	v_add_co_u32 v24, vcc_lo, v1, s4
	s_cselect_b32 s6, s42, 0x6c0
	v_add_co_ci_u32_e32 v25, vcc_lo, s5, v3, vcc_lo
	s_ashr_i32 s7, s6, 31
	s_delay_alu instid0(SALU_CYCLE_1)
	s_lshl_b64 s[6:7], s[6:7], 1
	s_cmpk_lt_i32 s22, 0x1d00
	v_add_co_u32 v26, vcc_lo, v1, s6
	s_cselect_b32 s10, s42, 0x700
	v_add_co_ci_u32_e32 v27, vcc_lo, s7, v3, vcc_lo
	s_ashr_i32 s11, s10, 31
	s_delay_alu instid0(SALU_CYCLE_1)
	s_lshl_b64 s[10:11], s[10:11], 1
	s_cmpk_lt_i32 s22, 0x1e00
	v_add_co_u32 v28, vcc_lo, v1, s10
	s_cselect_b32 s18, s42, 0x740
	v_add_co_ci_u32_e32 v29, vcc_lo, s11, v3, vcc_lo
	s_ashr_i32 s19, s18, 31
	s_delay_alu instid0(SALU_CYCLE_1)
	s_lshl_b64 s[18:19], s[18:19], 1
	s_cmpk_lt_i32 s22, 0x1f00
	v_add_co_u32 v30, vcc_lo, v1, s18
	s_cselect_b32 s20, s42, 0x780
	v_add_co_ci_u32_e32 v31, vcc_lo, s19, v3, vcc_lo
	s_ashr_i32 s21, s20, 31
	s_delay_alu instid0(SALU_CYCLE_1)
	s_lshl_b64 s[4:5], s[20:21], 1
	s_cmpk_lt_i32 s22, 0x2000
	v_add_co_u32 v32, vcc_lo, v1, s4
	s_cselect_b32 s6, s42, 0x7c0
	v_add_co_ci_u32_e32 v33, vcc_lo, s5, v3, vcc_lo
	s_ashr_i32 s7, s6, 31
	s_delay_alu instid0(SALU_CYCLE_1) | instskip(NEXT) | instid1(SALU_CYCLE_1)
	s_lshl_b64 s[4:5], s[6:7], 1
	v_add_co_u32 v34, vcc_lo, v1, s4
	v_add_co_ci_u32_e32 v35, vcc_lo, s5, v3, vcc_lo
	s_clause 0x7
	global_load_u16 v20, v[20:21], off
	global_load_u16 v21, v[22:23], off
	;; [unrolled: 1-line block ×8, first 2 shown]
	s_waitcnt vmcnt(15)
	v_cvt_f32_f16_e32 v35, v36
	s_waitcnt vmcnt(14)
	v_cvt_f32_f16_e32 v34, v37
	;; [unrolled: 2-line block ×16, first 2 shown]
.LBB34_11:
	ds_load_b128 v[36:39], v2
	ds_load_b128 v[40:43], v2 offset:16
	s_load_b64 s[0:1], s[0:1], 0x0
	s_and_b32 vcc_lo, exec_lo, s8
	s_waitcnt lgkmcnt(0)
	v_fma_mix_f32 v7, v36, v7, 0 op_sel_hi:[0,1,0]
	s_delay_alu instid0(VALU_DEP_1) | instskip(NEXT) | instid1(VALU_DEP_1)
	v_fma_mix_f32 v7, v37, v8, v7 op_sel_hi:[0,1,0]
	v_fma_mix_f32 v7, v38, v9, v7 op_sel_hi:[0,1,0]
	s_delay_alu instid0(VALU_DEP_1) | instskip(SKIP_4) | instid1(VALU_DEP_1)
	v_fma_mix_f32 v7, v39, v10, v7 op_sel_hi:[0,1,0]
	ds_load_b128 v[36:39], v2 offset:48
	v_fma_mix_f32 v11, v40, v11, v7 op_sel_hi:[0,1,0]
	ds_load_b128 v[7:10], v2 offset:32
	v_fma_mix_f32 v4, v41, v4, v11 op_sel_hi:[0,1,0]
	v_fma_mix_f32 v4, v42, v5, v4 op_sel_hi:[0,1,0]
	s_delay_alu instid0(VALU_DEP_1) | instskip(SKIP_1) | instid1(VALU_DEP_1)
	v_fma_mix_f32 v4, v43, v6, v4 op_sel_hi:[0,1,0]
	s_waitcnt lgkmcnt(0)
	v_fma_mix_f32 v4, v7, v14, v4 op_sel_hi:[0,1,0]
	s_delay_alu instid0(VALU_DEP_1) | instskip(NEXT) | instid1(VALU_DEP_1)
	v_fma_mix_f32 v4, v8, v15, v4 op_sel_hi:[0,1,0]
	v_fma_mix_f32 v4, v9, v16, v4 op_sel_hi:[0,1,0]
	s_delay_alu instid0(VALU_DEP_1) | instskip(NEXT) | instid1(VALU_DEP_1)
	v_fma_mix_f32 v4, v10, v17, v4 op_sel_hi:[0,1,0]
	;; [unrolled: 3-line block ×3, first 2 shown]
	v_fma_mix_f32 v4, v38, v13, v4 op_sel_hi:[0,1,0]
	s_delay_alu instid0(VALU_DEP_1)
	v_fma_mix_f32 v4, v39, v19, v4 op_sel_hi:[0,1,0]
	s_cbranch_vccz .LBB34_13
; %bb.12:
	ds_load_b128 v[5:8], v2 offset:64
	ds_load_b128 v[9:12], v2 offset:80
	s_waitcnt lgkmcnt(1)
	v_fmac_f32_e32 v4, v5, v35
	s_delay_alu instid0(VALU_DEP_1) | instskip(NEXT) | instid1(VALU_DEP_1)
	v_fmac_f32_e32 v4, v6, v34
	v_fmac_f32_e32 v4, v7, v33
	s_delay_alu instid0(VALU_DEP_1) | instskip(SKIP_3) | instid1(VALU_DEP_1)
	v_fmac_f32_e32 v4, v8, v32
	ds_load_b128 v[5:8], v2 offset:96
	s_waitcnt lgkmcnt(1)
	v_fmac_f32_e32 v4, v9, v31
	v_fmac_f32_e32 v4, v10, v30
	s_delay_alu instid0(VALU_DEP_1) | instskip(NEXT) | instid1(VALU_DEP_1)
	v_fmac_f32_e32 v4, v11, v29
	v_fmac_f32_e32 v4, v12, v28
	ds_load_b128 v[9:12], v2 offset:112
	s_waitcnt lgkmcnt(1)
	v_fmac_f32_e32 v4, v5, v27
	s_delay_alu instid0(VALU_DEP_1) | instskip(NEXT) | instid1(VALU_DEP_1)
	v_fmac_f32_e32 v4, v6, v26
	v_fmac_f32_e32 v4, v7, v25
	s_delay_alu instid0(VALU_DEP_1) | instskip(SKIP_1) | instid1(VALU_DEP_1)
	v_fmac_f32_e32 v4, v8, v24
	s_waitcnt lgkmcnt(0)
	v_fmac_f32_e32 v4, v9, v23
	s_delay_alu instid0(VALU_DEP_1) | instskip(NEXT) | instid1(VALU_DEP_1)
	v_fmac_f32_e32 v4, v10, v22
	v_fmac_f32_e32 v4, v11, v21
	s_delay_alu instid0(VALU_DEP_1)
	v_fmac_f32_e32 v4, v12, v20
.LBB34_13:
	s_movk_i32 s43, 0xfc0
	s_movk_i32 s44, 0x80
	s_mov_b32 s45, 32
	s_branch .LBB34_15
.LBB34_14:                              ;   in Loop: Header=BB34_15 Depth=1
	s_addk_i32 s43, 0x800
	s_addk_i32 s44, 0x80
	s_add_i32 s45, s45, 32
	s_cmpk_eq_i32 s43, 0x6fc0
	s_cbranch_scc1 .LBB34_17
.LBB34_15:                              ; =>This Inner Loop Header: Depth=1
	s_cmp_le_i32 s40, s45
	s_cbranch_scc1 .LBB34_14
; %bb.16:                               ;   in Loop: Header=BB34_15 Depth=1
	s_add_i32 s4, s43, 0xfffff840
	v_mov_b32_e32 v44, s44
	s_cmp_lt_i32 s4, s41
	s_cselect_b32 s4, s4, s42
	s_add_i32 s6, s43, 0xfffff880
	s_ashr_i32 s5, s4, 31
	s_delay_alu instid0(SALU_CYCLE_1)
	s_lshl_b64 s[4:5], s[4:5], 1
	s_cmp_lt_i32 s6, s41
	v_add_co_u32 v5, vcc_lo, v1, s4
	s_cselect_b32 s6, s6, s42
	s_add_i32 s10, s43, 0xfffff8c0
	s_ashr_i32 s7, s6, 31
	v_add_co_ci_u32_e32 v6, vcc_lo, s5, v3, vcc_lo
	s_lshl_b64 s[8:9], s[6:7], 1
	s_cmp_lt_i32 s10, s41
	v_add_co_u32 v7, vcc_lo, v1, s8
	s_cselect_b32 s6, s10, s42
	s_add_i32 s10, s43, 0xfffff900
	s_ashr_i32 s7, s6, 31
	v_add_co_ci_u32_e32 v8, vcc_lo, s9, v3, vcc_lo
	;; [unrolled: 7-line block ×8, first 2 shown]
	s_lshl_b64 s[24:25], s[20:21], 1
	s_cmp_lt_i32 s28, s41
	s_clause 0x7
	global_load_u16 v2, v[5:6], off
	global_load_u16 v21, v[7:8], off
	global_load_u16 v22, v[9:10], off
	global_load_u16 v23, v[11:12], off
	global_load_u16 v24, v[13:14], off
	global_load_u16 v25, v[15:16], off
	global_load_u16 v26, v[17:18], off
	global_load_u16 v27, v[19:20], off
	s_cselect_b32 s20, s28, s42
	s_add_i32 s28, s43, 0xfffffac0
	s_ashr_i32 s21, s20, 31
	v_add_co_u32 v5, vcc_lo, v1, s24
	s_lshl_b64 s[20:21], s[20:21], 1
	s_cmp_lt_i32 s28, s41
	v_add_co_ci_u32_e32 v6, vcc_lo, s25, v3, vcc_lo
	s_cselect_b32 s28, s28, s42
	s_add_i32 s36, s43, 0xfffffb00
	s_ashr_i32 s29, s28, 31
	v_add_co_u32 v7, vcc_lo, v1, s20
	s_lshl_b64 s[30:31], s[28:29], 1
	s_cmp_lt_i32 s36, s41
	v_add_co_ci_u32_e32 v8, vcc_lo, s21, v3, vcc_lo
	s_cselect_b32 s28, s36, s42
	s_add_i32 s36, s43, 0xfffffb40
	s_ashr_i32 s29, s28, 31
	v_add_co_u32 v9, vcc_lo, v1, s30
	s_lshl_b64 s[28:29], s[28:29], 1
	s_cmp_lt_i32 s36, s41
	v_add_co_ci_u32_e32 v10, vcc_lo, s31, v3, vcc_lo
	s_cselect_b32 s36, s36, s42
	s_add_i32 s46, s43, 0xfffffb80
	s_ashr_i32 s37, s36, 31
	v_add_co_u32 v11, vcc_lo, v1, s28
	s_lshl_b64 s[38:39], s[36:37], 1
	s_cmp_lt_i32 s46, s41
	v_add_co_ci_u32_e32 v12, vcc_lo, s29, v3, vcc_lo
	s_cselect_b32 s36, s46, s42
	s_add_i32 s46, s43, 0xfffffbc0
	s_ashr_i32 s37, s36, 31
	v_add_co_u32 v13, vcc_lo, v1, s38
	s_lshl_b64 s[36:37], s[36:37], 1
	s_cmp_lt_i32 s46, s41
	v_add_co_ci_u32_e32 v14, vcc_lo, s39, v3, vcc_lo
	s_cselect_b32 s4, s46, s42
	s_add_i32 s46, s43, 0xfffffc00
	s_ashr_i32 s5, s4, 31
	v_add_co_u32 v15, vcc_lo, v1, s36
	s_lshl_b64 s[8:9], s[4:5], 1
	s_cmp_lt_i32 s46, s41
	v_add_co_ci_u32_e32 v16, vcc_lo, s37, v3, vcc_lo
	s_cselect_b32 s4, s46, s42
	s_add_i32 s18, s43, 0xfffffc40
	s_ashr_i32 s5, s4, 31
	v_add_co_u32 v17, vcc_lo, v1, s8
	s_lshl_b64 s[6:7], s[4:5], 1
	s_cmp_lt_i32 s18, s41
	v_add_co_ci_u32_e32 v18, vcc_lo, s9, v3, vcc_lo
	s_cselect_b32 s4, s18, s42
	s_add_i32 s10, s43, 0xfffffc80
	s_ashr_i32 s5, s4, 31
	v_add_co_u32 v19, vcc_lo, v1, s6
	s_lshl_b64 s[4:5], s[4:5], 1
	s_cmp_lt_i32 s10, s41
	v_add_co_ci_u32_e32 v20, vcc_lo, s7, v3, vcc_lo
	s_cselect_b32 s10, s10, s42
	s_add_i32 s18, s43, 0xfffffcc0
	s_ashr_i32 s11, s10, 31
	s_clause 0x7
	global_load_u16 v28, v[5:6], off
	global_load_u16 v29, v[7:8], off
	;; [unrolled: 1-line block ×8, first 2 shown]
	s_lshl_b64 s[10:11], s[10:11], 1
	s_cmp_lt_i32 s18, s41
	v_add_co_u32 v5, vcc_lo, v1, s4
	s_cselect_b32 s18, s18, s42
	s_add_i32 s22, s43, 0xfffffd00
	s_ashr_i32 s19, s18, 31
	v_add_co_ci_u32_e32 v6, vcc_lo, s5, v3, vcc_lo
	s_lshl_b64 s[18:19], s[18:19], 1
	s_cmp_lt_i32 s22, s41
	v_add_co_u32 v7, vcc_lo, v1, s10
	s_cselect_b32 s20, s22, s42
	s_add_i32 s22, s43, 0xfffffd40
	s_ashr_i32 s21, s20, 31
	v_add_co_ci_u32_e32 v8, vcc_lo, s11, v3, vcc_lo
	;; [unrolled: 7-line block ×5, first 2 shown]
	s_lshl_b64 s[6:7], s[6:7], 1
	s_cmp_lt_i32 s24, s41
	s_clause 0x4
	global_load_u16 v19, v[5:6], off
	global_load_u16 v20, v[7:8], off
	;; [unrolled: 1-line block ×5, first 2 shown]
	s_cselect_b32 s4, s24, s42
	s_add_i32 s10, s43, 0xfffffe40
	s_ashr_i32 s5, s4, 31
	v_add_co_u32 v5, vcc_lo, v1, s8
	s_lshl_b64 s[4:5], s[4:5], 1
	s_cmp_lt_i32 s10, s41
	v_add_co_ci_u32_e32 v6, vcc_lo, s9, v3, vcc_lo
	s_cselect_b32 s10, s10, s42
	s_add_i32 s18, s43, 0xfffffe80
	s_ashr_i32 s11, s10, 31
	v_add_co_u32 v7, vcc_lo, v1, s6
	s_lshl_b64 s[10:11], s[10:11], 1
	s_cmp_lt_i32 s18, s41
	v_add_co_ci_u32_e32 v8, vcc_lo, s7, v3, vcc_lo
	s_cselect_b32 s18, s18, s42
	s_add_i32 s20, s43, 0xfffffec0
	s_ashr_i32 s19, s18, 31
	v_add_co_u32 v9, vcc_lo, v1, s4
	s_lshl_b64 s[18:19], s[18:19], 1
	s_cmp_lt_i32 s20, s41
	global_load_u16 v37, v[5:6], off
	s_cselect_b32 s8, s20, s42
	s_add_i32 s20, s43, 0xffffff00
	s_ashr_i32 s9, s8, 31
	v_add_co_ci_u32_e32 v10, vcc_lo, s5, v3, vcc_lo
	s_lshl_b64 s[6:7], s[8:9], 1
	s_cmp_lt_i32 s20, s41
	v_add_co_u32 v11, vcc_lo, v1, s10
	s_cselect_b32 s4, s20, s42
	s_clause 0x1
	global_load_u16 v38, v[7:8], off
	global_load_u16 v39, v[9:10], off
	v_add_co_ci_u32_e32 v12, vcc_lo, s11, v3, vcc_lo
	s_ashr_i32 s5, s4, 31
	s_add_i32 s8, s43, 0xffffff40
	v_add_co_u32 v13, vcc_lo, v1, s18
	s_lshl_b64 s[4:5], s[4:5], 1
	s_cmp_lt_i32 s8, s41
	v_add_co_ci_u32_e32 v14, vcc_lo, s19, v3, vcc_lo
	v_add_co_u32 v15, vcc_lo, v1, s6
	s_cselect_b32 s8, s8, s42
	v_add_co_ci_u32_e32 v16, vcc_lo, s7, v3, vcc_lo
	s_ashr_i32 s9, s8, 31
	s_add_i32 s10, s43, 0xffffff80
	s_lshl_b64 s[6:7], s[8:9], 1
	s_clause 0x2
	global_load_u16 v40, v[11:12], off
	global_load_u16 v13, v[13:14], off
	;; [unrolled: 1-line block ×3, first 2 shown]
	s_cmp_lt_i32 s10, s41
	v_add_co_u32 v5, vcc_lo, v1, s4
	s_cselect_b32 s8, s10, s42
	s_sub_i32 s10, s43, 64
	s_ashr_i32 s9, s8, 31
	v_add_co_ci_u32_e32 v6, vcc_lo, s5, v3, vcc_lo
	s_lshl_b64 s[8:9], s[8:9], 1
	s_cmp_lt_i32 s10, s41
	v_add_co_u32 v7, vcc_lo, v1, s6
	s_cselect_b32 s4, s10, s42
	v_add_co_ci_u32_e32 v8, vcc_lo, s7, v3, vcc_lo
	s_ashr_i32 s5, s4, 31
	v_add_co_u32 v9, vcc_lo, v1, s8
	global_load_u16 v15, v[5:6], off
	s_lshl_b64 s[4:5], s[4:5], 1
	v_add_co_ci_u32_e32 v10, vcc_lo, s9, v3, vcc_lo
	s_cmp_lt_i32 s43, s41
	s_clause 0x1
	global_load_u16 v16, v[7:8], off
	global_load_u16 v41, v[9:10], off
	s_cselect_b32 s6, s43, s42
	v_add_co_u32 v5, vcc_lo, v1, s4
	s_ashr_i32 s7, s6, 31
	v_add_co_ci_u32_e32 v6, vcc_lo, s5, v3, vcc_lo
	s_lshl_b64 s[4:5], s[6:7], 1
	s_delay_alu instid0(SALU_CYCLE_1)
	v_add_co_u32 v7, vcc_lo, v1, s4
	v_add_co_ci_u32_e32 v8, vcc_lo, s5, v3, vcc_lo
	s_clause 0x1
	global_load_u16 v42, v[5:6], off
	global_load_u16 v43, v[7:8], off
	ds_load_b128 v[5:8], v44
	ds_load_b128 v[9:12], v44 offset:16
	s_waitcnt vmcnt(31) lgkmcnt(1)
	v_fma_mix_f32 v2, v5, v2, v4 op_sel_hi:[0,1,0]
	s_waitcnt vmcnt(30)
	s_delay_alu instid0(VALU_DEP_1) | instskip(SKIP_1) | instid1(VALU_DEP_1)
	v_fma_mix_f32 v2, v6, v21, v2 op_sel_hi:[0,1,0]
	s_waitcnt vmcnt(29)
	v_fma_mix_f32 v2, v7, v22, v2 op_sel_hi:[0,1,0]
	ds_load_b128 v[4:7], v44 offset:32
	s_waitcnt vmcnt(28)
	v_fma_mix_f32 v2, v8, v23, v2 op_sel_hi:[0,1,0]
	s_waitcnt vmcnt(27) lgkmcnt(1)
	s_delay_alu instid0(VALU_DEP_1) | instskip(SKIP_1) | instid1(VALU_DEP_1)
	v_fma_mix_f32 v2, v9, v24, v2 op_sel_hi:[0,1,0]
	s_waitcnt vmcnt(26)
	v_fma_mix_f32 v2, v10, v25, v2 op_sel_hi:[0,1,0]
	s_waitcnt vmcnt(25)
	s_delay_alu instid0(VALU_DEP_1) | instskip(SKIP_4) | instid1(VALU_DEP_1)
	v_fma_mix_f32 v2, v11, v26, v2 op_sel_hi:[0,1,0]
	ds_load_b128 v[8:11], v44 offset:48
	s_waitcnt vmcnt(24)
	v_fma_mix_f32 v2, v12, v27, v2 op_sel_hi:[0,1,0]
	s_waitcnt vmcnt(23) lgkmcnt(1)
	v_fma_mix_f32 v2, v4, v28, v2 op_sel_hi:[0,1,0]
	s_waitcnt vmcnt(22)
	s_delay_alu instid0(VALU_DEP_1) | instskip(SKIP_1) | instid1(VALU_DEP_1)
	v_fma_mix_f32 v2, v5, v29, v2 op_sel_hi:[0,1,0]
	s_waitcnt vmcnt(21)
	v_fma_mix_f32 v2, v6, v30, v2 op_sel_hi:[0,1,0]
	s_waitcnt vmcnt(20)
	s_delay_alu instid0(VALU_DEP_1) | instskip(SKIP_4) | instid1(VALU_DEP_1)
	v_fma_mix_f32 v2, v7, v31, v2 op_sel_hi:[0,1,0]
	ds_load_b128 v[4:7], v44 offset:64
	s_waitcnt vmcnt(19) lgkmcnt(1)
	v_fma_mix_f32 v2, v8, v32, v2 op_sel_hi:[0,1,0]
	s_waitcnt vmcnt(18)
	v_fma_mix_f32 v2, v9, v33, v2 op_sel_hi:[0,1,0]
	s_waitcnt vmcnt(17)
	s_delay_alu instid0(VALU_DEP_1) | instskip(SKIP_1) | instid1(VALU_DEP_1)
	v_fma_mix_f32 v2, v10, v17, v2 op_sel_hi:[0,1,0]
	s_waitcnt vmcnt(16)
	v_fma_mix_f32 v2, v11, v18, v2 op_sel_hi:[0,1,0]
	ds_load_b128 v[8:11], v44 offset:80
	s_waitcnt vmcnt(15) lgkmcnt(1)
	v_fma_mix_f32 v2, v4, v19, v2 op_sel_hi:[0,1,0]
	s_waitcnt vmcnt(14)
	s_delay_alu instid0(VALU_DEP_1) | instskip(SKIP_1) | instid1(VALU_DEP_1)
	v_fma_mix_f32 v2, v5, v20, v2 op_sel_hi:[0,1,0]
	s_waitcnt vmcnt(13)
	v_fma_mix_f32 v2, v6, v34, v2 op_sel_hi:[0,1,0]
	s_waitcnt vmcnt(12)
	s_delay_alu instid0(VALU_DEP_1) | instskip(SKIP_4) | instid1(VALU_DEP_1)
	v_fma_mix_f32 v2, v7, v35, v2 op_sel_hi:[0,1,0]
	ds_load_b128 v[4:7], v44 offset:96
	s_waitcnt vmcnt(11) lgkmcnt(1)
	v_fma_mix_f32 v2, v8, v36, v2 op_sel_hi:[0,1,0]
	s_waitcnt vmcnt(10)
	v_fma_mix_f32 v2, v9, v37, v2 op_sel_hi:[0,1,0]
	s_waitcnt vmcnt(9)
	s_delay_alu instid0(VALU_DEP_1) | instskip(SKIP_1) | instid1(VALU_DEP_1)
	v_fma_mix_f32 v2, v10, v38, v2 op_sel_hi:[0,1,0]
	s_waitcnt vmcnt(8)
	v_fma_mix_f32 v2, v11, v39, v2 op_sel_hi:[0,1,0]
	ds_load_b128 v[8:11], v44 offset:112
	s_waitcnt vmcnt(7) lgkmcnt(1)
	v_fma_mix_f32 v2, v4, v40, v2 op_sel_hi:[0,1,0]
	s_waitcnt vmcnt(6)
	s_delay_alu instid0(VALU_DEP_1) | instskip(SKIP_1) | instid1(VALU_DEP_1)
	v_fma_mix_f32 v2, v5, v13, v2 op_sel_hi:[0,1,0]
	s_waitcnt vmcnt(5)
	v_fma_mix_f32 v2, v6, v14, v2 op_sel_hi:[0,1,0]
	s_waitcnt vmcnt(4)
	s_delay_alu instid0(VALU_DEP_1) | instskip(SKIP_1) | instid1(VALU_DEP_1)
	v_fma_mix_f32 v2, v7, v15, v2 op_sel_hi:[0,1,0]
	s_waitcnt vmcnt(3) lgkmcnt(0)
	v_fma_mix_f32 v2, v8, v16, v2 op_sel_hi:[0,1,0]
	s_waitcnt vmcnt(2)
	s_delay_alu instid0(VALU_DEP_1) | instskip(SKIP_1) | instid1(VALU_DEP_1)
	v_fma_mix_f32 v2, v9, v41, v2 op_sel_hi:[0,1,0]
	s_waitcnt vmcnt(1)
	v_fma_mix_f32 v2, v10, v42, v2 op_sel_hi:[0,1,0]
	s_waitcnt vmcnt(0)
	s_delay_alu instid0(VALU_DEP_1)
	v_fma_mix_f32 v4, v11, v43, v2 op_sel_hi:[0,1,0]
	s_branch .LBB34_14
.LBB34_17:
	v_mov_b32_e32 v1, 0
	s_and_b32 vcc_lo, exec_lo, s15
	ds_load_b32 v1, v1 offset:1664
	s_cbranch_vccz .LBB34_19
; %bb.18:
	s_add_u32 s2, s12, s16
	s_addc_u32 s3, s13, s17
	s_load_b32 s2, s[2:3], 0x0
	s_mov_b32 s3, 0
.LBB34_19:
	s_waitcnt lgkmcnt(0)
	v_add_f32_e32 v1, 0x358637bd, v1
	s_mul_i32 s3, s33, s3
	s_mul_hi_u32 s4, s33, s2
	s_mul_i32 s2, s33, s2
	s_add_i32 s3, s4, s3
	v_div_scale_f32 v2, null, v1, v1, 1.0
	v_div_scale_f32 v6, vcc_lo, 1.0, v1, 1.0
	s_lshl_b64 s[2:3], s[2:3], 6
	s_delay_alu instid0(VALU_DEP_2) | instskip(SKIP_4) | instid1(SALU_CYCLE_1)
	v_rcp_f32_e32 v3, v2
	s_mov_b32 s15, 0
	s_add_u32 s2, s0, s2
	s_addc_u32 s3, s1, s3
	s_lshl_b64 s[0:1], s[14:15], 6
	s_add_u32 s0, s2, s0
	s_addc_u32 s1, s3, s1
	v_add_co_u32 v0, s0, s0, v0
	s_waitcnt_depctr 0xfff
	v_fma_f32 v5, -v2, v3, 1.0
	s_delay_alu instid0(VALU_DEP_1) | instskip(NEXT) | instid1(VALU_DEP_1)
	v_fmac_f32_e32 v3, v5, v3
	v_mul_f32_e32 v5, v6, v3
	s_delay_alu instid0(VALU_DEP_1) | instskip(NEXT) | instid1(VALU_DEP_1)
	v_fma_f32 v7, -v2, v5, v6
	v_fmac_f32_e32 v5, v7, v3
	s_delay_alu instid0(VALU_DEP_1) | instskip(NEXT) | instid1(VALU_DEP_1)
	v_fma_f32 v2, -v2, v5, v6
	v_div_fmas_f32 v2, v2, v3, v5
	s_delay_alu instid0(VALU_DEP_1) | instskip(NEXT) | instid1(VALU_DEP_1)
	v_div_fixup_f32 v1, v2, v1, 1.0
	v_fma_mixlo_f16 v1, v4, v1, 0
	s_delay_alu instid0(VALU_DEP_1)
	v_cvt_i16_f16_e32 v2, v1
	v_add_co_ci_u32_e64 v1, null, s1, 0, s0
	global_store_b8 v[0:1], v2, off
	s_nop 0
	s_sendmsg sendmsg(MSG_DEALLOC_VGPRS)
	s_endpgm
.LBB34_20:
	s_mov_b32 s4, 0
	s_branch .LBB34_2
	.section	.rodata,"a",@progbits
	.p2align	6, 0x0
	.amdhsa_kernel _Z35paged_attention_ll4mi_reduce_kernelIDF16_hLi64ELi64ELi256ELi13EEvPT0_PKfS3_PKT_PKiS8_iS3_
		.amdhsa_group_segment_fixed_size 1668
		.amdhsa_private_segment_fixed_size 0
		.amdhsa_kernarg_size 320
		.amdhsa_user_sgpr_count 14
		.amdhsa_user_sgpr_dispatch_ptr 0
		.amdhsa_user_sgpr_queue_ptr 0
		.amdhsa_user_sgpr_kernarg_segment_ptr 1
		.amdhsa_user_sgpr_dispatch_id 0
		.amdhsa_user_sgpr_private_segment_size 0
		.amdhsa_wavefront_size32 1
		.amdhsa_uses_dynamic_stack 0
		.amdhsa_enable_private_segment 0
		.amdhsa_system_sgpr_workgroup_id_x 1
		.amdhsa_system_sgpr_workgroup_id_y 1
		.amdhsa_system_sgpr_workgroup_id_z 0
		.amdhsa_system_sgpr_workgroup_info 0
		.amdhsa_system_vgpr_workitem_id 0
		.amdhsa_next_free_vgpr 68
		.amdhsa_next_free_sgpr 47
		.amdhsa_reserve_vcc 1
		.amdhsa_float_round_mode_32 0
		.amdhsa_float_round_mode_16_64 0
		.amdhsa_float_denorm_mode_32 3
		.amdhsa_float_denorm_mode_16_64 3
		.amdhsa_dx10_clamp 1
		.amdhsa_ieee_mode 1
		.amdhsa_fp16_overflow 0
		.amdhsa_workgroup_processor_mode 1
		.amdhsa_memory_ordered 1
		.amdhsa_forward_progress 0
		.amdhsa_shared_vgpr_count 0
		.amdhsa_exception_fp_ieee_invalid_op 0
		.amdhsa_exception_fp_denorm_src 0
		.amdhsa_exception_fp_ieee_div_zero 0
		.amdhsa_exception_fp_ieee_overflow 0
		.amdhsa_exception_fp_ieee_underflow 0
		.amdhsa_exception_fp_ieee_inexact 0
		.amdhsa_exception_int_div_zero 0
	.end_amdhsa_kernel
	.section	.text._Z35paged_attention_ll4mi_reduce_kernelIDF16_hLi64ELi64ELi256ELi13EEvPT0_PKfS3_PKT_PKiS8_iS3_,"axG",@progbits,_Z35paged_attention_ll4mi_reduce_kernelIDF16_hLi64ELi64ELi256ELi13EEvPT0_PKfS3_PKT_PKiS8_iS3_,comdat
.Lfunc_end34:
	.size	_Z35paged_attention_ll4mi_reduce_kernelIDF16_hLi64ELi64ELi256ELi13EEvPT0_PKfS3_PKT_PKiS8_iS3_, .Lfunc_end34-_Z35paged_attention_ll4mi_reduce_kernelIDF16_hLi64ELi64ELi256ELi13EEvPT0_PKfS3_PKT_PKiS8_iS3_
                                        ; -- End function
	.section	.AMDGPU.csdata,"",@progbits
; Kernel info:
; codeLenInByte = 7568
; NumSgprs: 49
; NumVgprs: 68
; ScratchSize: 0
; MemoryBound: 0
; FloatMode: 240
; IeeeMode: 1
; LDSByteSize: 1668 bytes/workgroup (compile time only)
; SGPRBlocks: 6
; VGPRBlocks: 8
; NumSGPRsForWavesPerEU: 49
; NumVGPRsForWavesPerEU: 68
; Occupancy: 16
; WaveLimiterHint : 0
; COMPUTE_PGM_RSRC2:SCRATCH_EN: 0
; COMPUTE_PGM_RSRC2:USER_SGPR: 14
; COMPUTE_PGM_RSRC2:TRAP_HANDLER: 0
; COMPUTE_PGM_RSRC2:TGID_X_EN: 1
; COMPUTE_PGM_RSRC2:TGID_Y_EN: 1
; COMPUTE_PGM_RSRC2:TGID_Z_EN: 0
; COMPUTE_PGM_RSRC2:TIDIG_COMP_CNT: 0
	.section	.text._Z35paged_attention_ll4mi_reduce_kernelIDF16_hLi64ELi64ELi256ELi14EEvPT0_PKfS3_PKT_PKiS8_iS3_,"axG",@progbits,_Z35paged_attention_ll4mi_reduce_kernelIDF16_hLi64ELi64ELi256ELi14EEvPT0_PKfS3_PKT_PKiS8_iS3_,comdat
	.protected	_Z35paged_attention_ll4mi_reduce_kernelIDF16_hLi64ELi64ELi256ELi14EEvPT0_PKfS3_PKT_PKiS8_iS3_ ; -- Begin function _Z35paged_attention_ll4mi_reduce_kernelIDF16_hLi64ELi64ELi256ELi14EEvPT0_PKfS3_PKT_PKiS8_iS3_
	.globl	_Z35paged_attention_ll4mi_reduce_kernelIDF16_hLi64ELi64ELi256ELi14EEvPT0_PKfS3_PKT_PKiS8_iS3_
	.p2align	8
	.type	_Z35paged_attention_ll4mi_reduce_kernelIDF16_hLi64ELi64ELi256ELi14EEvPT0_PKfS3_PKT_PKiS8_iS3_,@function
_Z35paged_attention_ll4mi_reduce_kernelIDF16_hLi64ELi64ELi256ELi14EEvPT0_PKfS3_PKT_PKiS8_iS3_: ; @_Z35paged_attention_ll4mi_reduce_kernelIDF16_hLi64ELi64ELi256ELi14EEvPT0_PKfS3_PKT_PKiS8_iS3_
; %bb.0:
	s_load_b64 s[12:13], s[0:1], 0x28
	s_mov_b32 s2, s15
	s_waitcnt lgkmcnt(0)
	s_cmp_lg_u64 s[12:13], 0
	s_cselect_b32 s15, -1, 0
	s_delay_alu instid0(SALU_CYCLE_1)
	s_and_b32 vcc_lo, exec_lo, s15
	s_cbranch_vccz .LBB35_20
; %bb.1:
	s_add_i32 s4, s2, 1
	s_mov_b32 s5, 0
	s_delay_alu instid0(SALU_CYCLE_1) | instskip(SKIP_4) | instid1(SALU_CYCLE_1)
	s_lshl_b64 s[6:7], s[4:5], 2
	s_mov_b32 s3, s5
	s_add_u32 s6, s12, s6
	s_addc_u32 s7, s13, s7
	s_lshl_b64 s[8:9], s[2:3], 2
	s_add_u32 s8, s12, s8
	s_addc_u32 s9, s13, s9
	s_clause 0x1
	s_load_b32 s4, s[6:7], 0x0
	s_load_b32 s6, s[8:9], 0x0
	s_waitcnt lgkmcnt(0)
	s_sub_i32 s4, s4, s6
	s_delay_alu instid0(SALU_CYCLE_1)
	s_cmp_eq_u32 s4, 1
	s_cselect_b32 s4, -1, 0
	s_cbranch_execnz .LBB35_3
.LBB35_2:
	s_mov_b32 s3, 0
	s_mov_b32 s4, -1
.LBB35_3:
	s_delay_alu instid0(SALU_CYCLE_1)
	s_and_not1_b32 vcc_lo, exec_lo, s4
	s_cbranch_vccz .LBB35_5
; %bb.4:
	s_endpgm
.LBB35_5:
	s_clause 0x1
	s_load_b128 s[4:7], s[0:1], 0x18
	s_load_b32 s9, s[0:1], 0x30
	s_lshl_b64 s[16:17], s[2:3], 2
	s_waitcnt lgkmcnt(0)
	s_add_u32 s6, s6, s16
	s_addc_u32 s7, s7, s17
	s_load_b32 s23, s[6:7], 0x0
	s_load_b32 s33, s[0:1], 0x40
	s_mul_i32 s7, s2, s9
	s_waitcnt lgkmcnt(0)
	s_add_i32 s22, s23, 0xff
	s_delay_alu instid0(SALU_CYCLE_1) | instskip(NEXT) | instid1(SALU_CYCLE_1)
	s_ashr_i32 s6, s22, 31
	s_lshr_b32 s6, s6, 24
	s_delay_alu instid0(SALU_CYCLE_1) | instskip(SKIP_4) | instid1(SALU_CYCLE_1)
	s_add_i32 s8, s22, s6
	s_mul_i32 s6, s14, s9
	s_mov_b32 s9, exec_lo
	v_cmpx_lt_u32_e32 31, v0
	s_xor_b32 s9, exec_lo, s9
	s_or_saveexec_b32 s24, s9
	v_mov_b32_e32 v1, s6
	s_ashr_i32 s40, s8, 8
	s_mul_i32 s18, s7, s33
	s_xor_b32 exec_lo, exec_lo, s24
	s_cbranch_execz .LBB35_9
; %bb.6:
	v_or_b32_e32 v2, 32, v0
	v_cmp_gt_i32_e32 vcc_lo, s40, v0
	s_add_i32 s20, s40, -1
	v_or_b32_e32 v4, 64, v0
	v_or_b32_e32 v6, 0x80, v0
	s_load_b128 s[8:11], s[0:1], 0x8
	v_cndmask_b32_e32 v1, s20, v0, vcc_lo
	v_cmp_gt_i32_e32 vcc_lo, s40, v2
	s_mov_b32 s19, 0
	s_delay_alu instid0(SALU_CYCLE_1) | instskip(SKIP_4) | instid1(VALU_DEP_3)
	s_mov_b32 s7, s19
	v_cndmask_b32_e32 v3, s20, v2, vcc_lo
	v_or_b32_e32 v2, 0x60, v0
	v_cmp_gt_i32_e32 vcc_lo, s40, v4
	v_cndmask_b32_e32 v5, s20, v4, vcc_lo
	v_cmp_gt_i32_e32 vcc_lo, s40, v2
	v_or_b32_e32 v4, 0xa0, v0
	v_cndmask_b32_e32 v7, s20, v2, vcc_lo
	v_cmp_gt_i32_e32 vcc_lo, s40, v6
	v_or_b32_e32 v2, 0xc0, v0
	s_delay_alu instid0(VALU_DEP_3) | instskip(SKIP_3) | instid1(VALU_DEP_3)
	v_ashrrev_i32_e32 v8, 31, v7
	v_cndmask_b32_e32 v9, s20, v6, vcc_lo
	v_cmp_gt_i32_e32 vcc_lo, s40, v4
	v_or_b32_e32 v6, 0x100, v0
	v_ashrrev_i32_e32 v10, 31, v9
	v_cndmask_b32_e32 v11, s20, v4, vcc_lo
	v_or_b32_e32 v4, 0xe0, v0
	v_cmp_gt_i32_e32 vcc_lo, s40, v2
	s_delay_alu instid0(VALU_DEP_3) | instskip(SKIP_1) | instid1(VALU_DEP_4)
	v_ashrrev_i32_e32 v12, 31, v11
	v_cndmask_b32_e32 v13, s20, v2, vcc_lo
	v_cmp_gt_i32_e32 vcc_lo, s40, v4
	v_or_b32_e32 v2, 0x120, v0
	s_delay_alu instid0(VALU_DEP_3) | instskip(SKIP_3) | instid1(VALU_DEP_3)
	v_ashrrev_i32_e32 v14, 31, v13
	v_cndmask_b32_e32 v15, s20, v4, vcc_lo
	v_cmp_gt_i32_e32 vcc_lo, s40, v6
	v_or_b32_e32 v4, 0x140, v0
	v_ashrrev_i32_e32 v16, 31, v15
	v_cndmask_b32_e32 v17, s20, v6, vcc_lo
	v_cmp_gt_i32_e32 vcc_lo, s40, v2
	v_or_b32_e32 v6, 0x180, v0
	s_delay_alu instid0(VALU_DEP_3) | instskip(SKIP_3) | instid1(VALU_DEP_3)
	v_ashrrev_i32_e32 v18, 31, v17
	v_cndmask_b32_e32 v19, s20, v2, vcc_lo
	v_or_b32_e32 v2, 0x160, v0
	v_cmp_gt_i32_e32 vcc_lo, s40, v4
	v_ashrrev_i32_e32 v20, 31, v19
	v_cndmask_b32_e32 v21, s20, v4, vcc_lo
	s_delay_alu instid0(VALU_DEP_4) | instskip(SKIP_1) | instid1(VALU_DEP_3)
	v_cmp_gt_i32_e32 vcc_lo, s40, v2
	v_or_b32_e32 v4, 0x1a0, v0
	v_ashrrev_i32_e32 v22, 31, v21
	v_cndmask_b32_e32 v23, s20, v2, vcc_lo
	v_cmp_gt_i32_e32 vcc_lo, s40, v6
	v_ashrrev_i32_e32 v2, 31, v1
	s_delay_alu instid0(VALU_DEP_3) | instskip(SKIP_2) | instid1(VALU_DEP_4)
	v_ashrrev_i32_e32 v24, 31, v23
	v_cndmask_b32_e32 v25, s20, v6, vcc_lo
	v_cmp_gt_i32_e32 vcc_lo, s40, v4
	v_lshlrev_b64 v[29:30], 2, v[1:2]
	v_ashrrev_i32_e32 v6, 31, v5
	s_delay_alu instid0(VALU_DEP_4)
	v_ashrrev_i32_e32 v26, 31, v25
	v_cndmask_b32_e32 v27, s20, v4, vcc_lo
	v_ashrrev_i32_e32 v4, 31, v3
	s_lshl_b64 s[20:21], s[18:19], 2
	s_waitcnt lgkmcnt(0)
	s_add_u32 s19, s10, s20
	s_addc_u32 s25, s11, s21
	s_lshl_b64 s[10:11], s[6:7], 2
	v_lshlrev_b64 v[31:32], 2, v[3:4]
	s_add_u32 s7, s19, s10
	s_addc_u32 s19, s25, s11
	v_add_co_u32 v1, vcc_lo, s7, v29
	v_lshlrev_b64 v[4:5], 2, v[5:6]
	v_add_co_ci_u32_e32 v2, vcc_lo, s19, v30, vcc_lo
	v_add_co_u32 v33, vcc_lo, s7, v31
	v_lshlrev_b64 v[6:7], 2, v[7:8]
	v_add_co_ci_u32_e32 v34, vcc_lo, s19, v32, vcc_lo
	;; [unrolled: 3-line block ×6, first 2 shown]
	v_add_co_u32 v43, vcc_lo, s7, v12
	v_add_co_ci_u32_e32 v44, vcc_lo, s19, v13, vcc_lo
	s_delay_alu instid0(VALU_DEP_4)
	v_add_co_u32 v45, vcc_lo, s7, v14
	v_add_co_ci_u32_e32 v46, vcc_lo, s19, v15, vcc_lo
	s_clause 0x7
	global_load_b32 v47, v[1:2], off
	global_load_b32 v48, v[33:34], off
	;; [unrolled: 1-line block ×8, first 2 shown]
	v_lshlrev_b64 v[16:17], 2, v[17:18]
	v_lshlrev_b64 v[18:19], 2, v[19:20]
	;; [unrolled: 1-line block ×4, first 2 shown]
	v_ashrrev_i32_e32 v28, 31, v27
	v_lshlrev_b64 v[24:25], 2, v[25:26]
	v_add_co_u32 v1, vcc_lo, s7, v16
	v_add_co_ci_u32_e32 v2, vcc_lo, s19, v17, vcc_lo
	v_add_co_u32 v33, vcc_lo, s7, v18
	v_add_co_ci_u32_e32 v34, vcc_lo, s19, v19, vcc_lo
	;; [unrolled: 2-line block ×3, first 2 shown]
	v_add_co_u32 v37, vcc_lo, s7, v22
	v_lshlrev_b64 v[26:27], 2, v[27:28]
	v_add_co_ci_u32_e32 v38, vcc_lo, s19, v23, vcc_lo
	s_clause 0x3
	global_load_b32 v43, v[1:2], off
	global_load_b32 v44, v[33:34], off
	;; [unrolled: 1-line block ×4, first 2 shown]
	v_add_co_u32 v1, vcc_lo, s7, v24
	v_add_co_ci_u32_e32 v2, vcc_lo, s19, v25, vcc_lo
	v_add_co_u32 v33, vcc_lo, s7, v26
	v_add_co_ci_u32_e32 v34, vcc_lo, s19, v27, vcc_lo
	s_clause 0x1
	global_load_b32 v37, v[1:2], off
	global_load_b32 v33, v[33:34], off
	v_mbcnt_lo_u32_b32 v34, -1, 0
	s_add_u32 s7, s8, s20
	s_addc_u32 s8, s9, s21
	s_add_u32 s7, s7, s10
	s_addc_u32 s8, s8, s11
	v_xor_b32_e32 v3, 8, v34
	v_xor_b32_e32 v28, 4, v34
	s_waitcnt vmcnt(12)
	v_dual_max_f32 v2, v47, v47 :: v_dual_max_f32 v1, v48, v48
	s_delay_alu instid0(VALU_DEP_1) | instskip(SKIP_2) | instid1(VALU_DEP_2)
	v_max_f32_e32 v1, v2, v1
	v_xor_b32_e32 v2, 16, v34
	s_waitcnt vmcnt(10)
	v_max3_f32 v1, v1, v49, v50
	s_delay_alu instid0(VALU_DEP_2) | instskip(SKIP_1) | instid1(VALU_DEP_2)
	v_cmp_gt_i32_e32 vcc_lo, 32, v2
	s_waitcnt vmcnt(8)
	v_max3_f32 v1, v1, v39, v40
	v_cndmask_b32_e32 v2, v34, v2, vcc_lo
	v_cmp_gt_i32_e32 vcc_lo, 32, v3
	s_waitcnt vmcnt(6)
	s_delay_alu instid0(VALU_DEP_3) | instskip(NEXT) | instid1(VALU_DEP_3)
	v_max3_f32 v1, v1, v41, v42
	v_dual_cndmask_b32 v38, v34, v3 :: v_dual_lshlrev_b32 v3, 2, v2
	v_cmp_gt_i32_e32 vcc_lo, 32, v28
	s_waitcnt vmcnt(4)
	s_delay_alu instid0(VALU_DEP_3) | instskip(SKIP_2) | instid1(VALU_DEP_2)
	v_max3_f32 v1, v1, v43, v44
	v_cndmask_b32_e32 v28, v34, v28, vcc_lo
	s_waitcnt vmcnt(2)
	v_max3_f32 v45, v1, v35, v36
	v_lshlrev_b32_e32 v1, 2, v38
	s_delay_alu instid0(VALU_DEP_3)
	v_lshlrev_b32_e32 v2, 2, v28
	v_add_co_u32 v28, vcc_lo, s7, v29
	v_add_co_ci_u32_e32 v29, vcc_lo, s8, v30, vcc_lo
	v_add_co_u32 v30, vcc_lo, s7, v31
	s_waitcnt vmcnt(0)
	v_max3_f32 v38, v45, v37, v33
	v_add_co_ci_u32_e32 v31, vcc_lo, s8, v32, vcc_lo
	s_clause 0x1
	global_load_b32 v28, v[28:29], off
	global_load_b32 v29, v[30:31], off
	ds_bpermute_b32 v45, v3, v38
	v_add_co_u32 v4, vcc_lo, s7, v4
	v_add_co_ci_u32_e32 v5, vcc_lo, s8, v5, vcc_lo
	v_add_co_u32 v6, vcc_lo, s7, v6
	v_add_co_ci_u32_e32 v7, vcc_lo, s8, v7, vcc_lo
	;; [unrolled: 2-line block ×3, first 2 shown]
	global_load_b32 v31, v[4:5], off
	v_add_co_u32 v4, vcc_lo, s7, v10
	v_add_co_ci_u32_e32 v5, vcc_lo, s8, v11, vcc_lo
	global_load_b32 v11, v[6:7], off
	v_add_co_u32 v6, vcc_lo, s7, v12
	s_waitcnt lgkmcnt(0)
	v_max_f32_e32 v30, v45, v45
	v_add_co_ci_u32_e32 v7, vcc_lo, s8, v13, vcc_lo
	global_load_b32 v12, v[8:9], off
	v_add_co_u32 v8, vcc_lo, s7, v14
	v_max_f32_e32 v30, v38, v30
	s_clause 0x1
	global_load_b32 v13, v[4:5], off
	global_load_b32 v14, v[6:7], off
	v_add_co_ci_u32_e32 v9, vcc_lo, s8, v15, vcc_lo
	ds_bpermute_b32 v10, v1, v30
	v_add_co_u32 v15, vcc_lo, s7, v16
	v_add_co_ci_u32_e32 v16, vcc_lo, s8, v17, vcc_lo
	v_add_co_u32 v6, vcc_lo, s7, v18
	v_add_co_ci_u32_e32 v7, vcc_lo, s8, v19, vcc_lo
	global_load_b32 v4, v[8:9], off
	v_add_co_u32 v8, vcc_lo, s7, v20
	v_add_co_ci_u32_e32 v9, vcc_lo, s8, v21, vcc_lo
	v_xor_b32_e32 v18, 2, v34
	s_waitcnt lgkmcnt(0)
	v_max_f32_e32 v5, v10, v10
	s_delay_alu instid0(VALU_DEP_1)
	v_max_f32_e32 v17, v30, v5
	s_clause 0x2
	global_load_b32 v5, v[15:16], off
	global_load_b32 v6, v[6:7], off
	;; [unrolled: 1-line block ×3, first 2 shown]
	v_add_co_u32 v8, vcc_lo, s7, v22
	v_add_co_ci_u32_e32 v9, vcc_lo, s8, v23, vcc_lo
	ds_bpermute_b32 v10, v2, v17
	global_load_b32 v16, v[8:9], off
	v_add_co_u32 v8, vcc_lo, s7, v24
	v_add_co_ci_u32_e32 v9, vcc_lo, s8, v25, vcc_lo
	v_cmp_gt_i32_e32 vcc_lo, 32, v18
	global_load_b32 v15, v[8:9], off
	v_cndmask_b32_e32 v8, v34, v18, vcc_lo
	v_add_co_u32 v9, vcc_lo, s7, v26
	s_mov_b32 s7, exec_lo
	s_delay_alu instid0(VALU_DEP_2) | instskip(SKIP_3) | instid1(VALU_DEP_2)
	v_lshlrev_b32_e32 v8, 2, v8
	s_waitcnt lgkmcnt(0)
	v_max_f32_e32 v18, v10, v10
	v_add_co_ci_u32_e32 v10, vcc_lo, s8, v27, vcc_lo
	v_max_f32_e32 v17, v17, v18
	global_load_b32 v9, v[9:10], off
	v_xor_b32_e32 v18, 1, v34
	ds_bpermute_b32 v10, v8, v17
	v_cmp_gt_i32_e32 vcc_lo, 32, v18
	v_cndmask_b32_e32 v18, v34, v18, vcc_lo
	s_waitcnt lgkmcnt(0)
	v_max_f32_e32 v19, v10, v10
	s_delay_alu instid0(VALU_DEP_1) | instskip(SKIP_3) | instid1(VALU_DEP_1)
	v_dual_max_f32 v17, v17, v19 :: v_dual_lshlrev_b32 v10, 2, v18
	ds_bpermute_b32 v18, v10, v17
	s_waitcnt lgkmcnt(0)
	v_max_f32_e32 v18, v18, v18
	v_max_f32_e32 v17, v17, v18
	v_sub_nc_u32_e32 v18, s40, v0
	s_delay_alu instid0(VALU_DEP_2) | instskip(NEXT) | instid1(VALU_DEP_1)
	v_sub_f32_e32 v22, v50, v17
	v_mul_f32_e32 v38, 0x3fb8aa3b, v22
	s_delay_alu instid0(VALU_DEP_1) | instskip(SKIP_1) | instid1(VALU_DEP_2)
	v_rndne_f32_e32 v56, v38
	v_fma_f32 v55, 0x3fb8aa3b, v22, -v38
	v_sub_f32_e32 v38, v38, v56
	v_sub_f32_e32 v26, v42, v17
	;; [unrolled: 1-line block ×6, first 2 shown]
	v_mul_f32_e32 v42, 0x3fb8aa3b, v26
	v_mul_f32_e32 v46, 0x3fb8aa3b, v34
	v_sub_f32_e32 v30, v44, v17
	v_sub_f32_e32 v23, v39, v17
	;; [unrolled: 1-line block ×3, first 2 shown]
	v_rndne_f32_e32 v64, v42
	v_sub_f32_e32 v35, v37, v17
	v_fma_f32 v71, 0x3fb8aa3b, v34, -v46
	v_rndne_f32_e32 v72, v46
	v_dual_mul_f32 v37, 0x3fb8aa3b, v21 :: v_dual_mul_f32 v44, 0x3fb8aa3b, v30
	v_sub_f32_e32 v19, v47, v17
	s_delay_alu instid0(VALU_DEP_3) | instskip(NEXT) | instid1(VALU_DEP_3)
	v_dual_fmac_f32 v71, 0x32a5705f, v34 :: v_dual_sub_f32 v46, v46, v72
	v_rndne_f32_e32 v54, v37
	v_fma_f32 v53, 0x3fb8aa3b, v21, -v37
	v_mul_f32_e32 v40, 0x3fb8aa3b, v24
	v_rndne_f32_e32 v68, v44
	s_delay_alu instid0(VALU_DEP_4) | instskip(SKIP_1) | instid1(VALU_DEP_4)
	v_dual_add_f32 v46, v46, v71 :: v_dual_sub_f32 v37, v37, v54
	v_sub_f32_e32 v20, v48, v17
	v_fma_f32 v59, 0x3fb8aa3b, v24, -v40
	v_rndne_f32_e32 v60, v40
	s_delay_alu instid0(VALU_DEP_4)
	v_exp_f32_e32 v46, v46
	v_sub_f32_e32 v27, v43, v17
	v_sub_f32_e32 v17, v33, v17
	v_fma_f32 v67, 0x3fb8aa3b, v30, -v44
	v_dual_sub_f32 v44, v44, v68 :: v_dual_mul_f32 v33, 0x3fb8aa3b, v19
	v_cvt_i32_f32_e32 v72, v72
	s_delay_alu instid0(VALU_DEP_4)
	v_mul_f32_e32 v48, 0x3fb8aa3b, v17
	v_sub_f32_e32 v40, v40, v60
	v_mul_f32_e32 v36, 0x3fb8aa3b, v20
	v_rndne_f32_e32 v50, v33
	v_ldexp_f32 v46, v46, v72
	v_fmac_f32_e32 v59, 0x32a5705f, v24
	v_fma_f32 v49, 0x3fb8aa3b, v19, -v33
	v_fma_f32 v63, 0x3fb8aa3b, v26, -v42
	v_sub_f32_e32 v33, v33, v50
	v_cvt_i32_f32_e32 v60, v60
	v_add_f32_e32 v40, v40, v59
	v_fma_f32 v51, 0x3fb8aa3b, v20, -v36
	v_rndne_f32_e32 v52, v36
	v_dual_fmac_f32 v63, 0x32a5705f, v26 :: v_dual_sub_f32 v42, v42, v64
	s_delay_alu instid0(VALU_DEP_4) | instskip(SKIP_4) | instid1(VALU_DEP_4)
	v_exp_f32_e32 v40, v40
	v_fmac_f32_e32 v67, 0x32a5705f, v30
	v_fmac_f32_e32 v51, 0x32a5705f, v20
	v_sub_f32_e32 v36, v36, v52
	v_dual_add_f32 v42, v42, v63 :: v_dual_fmac_f32 v53, 0x32a5705f, v21
	v_dual_add_f32 v44, v44, v67 :: v_dual_mul_f32 v41, 0x3fb8aa3b, v25
	s_delay_alu instid0(VALU_DEP_3) | instskip(SKIP_1) | instid1(TRANS32_DEP_1)
	v_add_f32_e32 v36, v36, v51
	v_fma_f32 v75, 0x3fb8aa3b, v17, -v48
	v_ldexp_f32 v40, v40, v60
	v_fmac_f32_e32 v49, 0x32a5705f, v19
	v_rndne_f32_e32 v76, v48
	v_mul_f32_e32 v39, 0x3fb8aa3b, v23
	v_exp_f32_e32 v42, v42
	v_exp_f32_e32 v44, v44
	v_add_f32_e32 v33, v33, v49
	v_cvt_i32_f32_e32 v50, v50
	v_cvt_i32_f32_e32 v64, v64
	;; [unrolled: 1-line block ×3, first 2 shown]
	v_fmac_f32_e32 v75, 0x32a5705f, v17
	v_exp_f32_e32 v33, v33
	v_sub_f32_e32 v48, v48, v76
	v_fma_f32 v57, 0x3fb8aa3b, v23, -v39
	v_rndne_f32_e32 v58, v39
	v_fmac_f32_e32 v55, 0x32a5705f, v22
	v_add_f32_e32 v37, v37, v53
	v_exp_f32_e32 v36, v36
	v_cvt_i32_f32_e32 v52, v52
	v_dual_add_f32 v48, v48, v75 :: v_dual_mul_f32 v45, 0x3fb8aa3b, v32
	v_add_f32_e32 v38, v38, v55
	v_exp_f32_e32 v37, v37
	v_ldexp_f32 v33, v33, v50
	v_ldexp_f32 v42, v42, v64
	v_fmac_f32_e32 v57, 0x32a5705f, v23
	v_ldexp_f32 v44, v44, v68
	v_sub_f32_e32 v39, v39, v58
	v_cmp_ngt_f32_e32 vcc_lo, 0xc2ce8ed0, v19
	v_cvt_i32_f32_e32 v54, v54
	v_exp_f32_e32 v38, v38
	v_ldexp_f32 v36, v36, v52
	v_add_f32_e32 v39, v39, v57
	v_cndmask_b32_e32 v33, 0, v33, vcc_lo
	v_cmp_ngt_f32_e32 vcc_lo, 0xc2ce8ed0, v20
	v_mul_f32_e32 v43, 0x3fb8aa3b, v27
	v_cvt_i32_f32_e32 v56, v56
	v_exp_f32_e32 v39, v39
	v_ldexp_f32 v37, v37, v54
	v_cndmask_b32_e32 v36, 0, v36, vcc_lo
	v_cmp_ngt_f32_e32 vcc_lo, 0xc2ce8ed0, v21
	v_fma_f32 v61, 0x3fb8aa3b, v25, -v41
	v_rndne_f32_e32 v62, v41
	v_cvt_i32_f32_e32 v58, v58
	v_ldexp_f32 v38, v38, v56
	v_cndmask_b32_e32 v37, 0, v37, vcc_lo
	v_cmp_ngt_f32_e32 vcc_lo, 0xc2ce8ed0, v22
	v_mul_f32_e32 v47, 0x3fb8aa3b, v35
	v_fmac_f32_e32 v61, 0x32a5705f, v25
	v_sub_f32_e32 v41, v41, v62
	v_ldexp_f32 v39, v39, v58
	v_cndmask_b32_e32 v38, 0, v38, vcc_lo
	v_cmp_ngt_f32_e32 vcc_lo, 0xc2ce8ed0, v23
	v_fma_f32 v65, 0x3fb8aa3b, v27, -v43
	v_rndne_f32_e32 v66, v43
	v_add_f32_e32 v41, v41, v61
	v_cvt_i32_f32_e32 v62, v62
	v_cndmask_b32_e32 v39, 0, v39, vcc_lo
	v_cmp_ngt_f32_e32 vcc_lo, 0xc2ce8ed0, v24
	v_fmac_f32_e32 v65, 0x32a5705f, v27
	v_exp_f32_e32 v41, v41
	v_fma_f32 v69, 0x3fb8aa3b, v32, -v45
	v_rndne_f32_e32 v70, v45
	v_dual_cndmask_b32 v40, 0, v40 :: v_dual_sub_f32 v43, v43, v66
	v_cmp_ngt_f32_e32 vcc_lo, 0xc2ce8ed0, v25
	v_cvt_i32_f32_e32 v66, v66
	v_fmac_f32_e32 v69, 0x32a5705f, v32
	v_rndne_f32_e32 v74, v47
	v_add_f32_e32 v43, v43, v65
	s_delay_alu instid0(TRANS32_DEP_1) | instskip(SKIP_2) | instid1(VALU_DEP_3)
	v_ldexp_f32 v41, v41, v62
	v_fma_f32 v73, 0x3fb8aa3b, v35, -v47
	v_exp_f32_e32 v48, v48
	v_exp_f32_e32 v43, v43
	s_delay_alu instid0(VALU_DEP_2)
	v_cndmask_b32_e32 v41, 0, v41, vcc_lo
	v_cmp_ngt_f32_e32 vcc_lo, 0xc2ce8ed0, v26
	v_cndmask_b32_e32 v42, 0, v42, vcc_lo
	v_cmp_ngt_f32_e32 vcc_lo, 0xc2ce8ed0, v27
	s_waitcnt_depctr 0xfff
	v_ldexp_f32 v43, v43, v66
	s_delay_alu instid0(VALU_DEP_1) | instskip(SKIP_4) | instid1(VALU_DEP_3)
	v_cndmask_b32_e32 v43, 0, v43, vcc_lo
	v_cmp_ngt_f32_e32 vcc_lo, 0xc2ce8ed0, v30
	v_dual_cndmask_b32 v44, 0, v44 :: v_dual_sub_f32 v45, v45, v70
	v_cvt_i32_f32_e32 v70, v70
	v_cmp_ngt_f32_e32 vcc_lo, 0xc2ce8ed0, v32
	v_add_f32_e32 v45, v45, v69
	s_delay_alu instid0(VALU_DEP_1) | instskip(SKIP_2) | instid1(VALU_DEP_1)
	v_exp_f32_e32 v45, v45
	s_waitcnt_depctr 0xfff
	v_ldexp_f32 v45, v45, v70
	v_cndmask_b32_e32 v45, 0, v45, vcc_lo
	v_cmp_ngt_f32_e32 vcc_lo, 0xc2ce8ed0, v34
	v_cndmask_b32_e32 v46, 0, v46, vcc_lo
	v_cmp_nlt_f32_e32 vcc_lo, 0x42b17218, v19
	v_cndmask_b32_e32 v19, 0x7f800000, v33, vcc_lo
	v_cmp_nlt_f32_e32 vcc_lo, 0x42b17218, v20
	;; [unrolled: 2-line block ×6, first 2 shown]
	v_cndmask_b32_e32 v24, 0x7f800000, v40, vcc_lo
	v_cmp_lt_i32_e32 vcc_lo, 0, v18
	v_cndmask_b32_e32 v19, 0, v19, vcc_lo
	v_cmp_lt_i32_e32 vcc_lo, 32, v18
	s_waitcnt vmcnt(13)
	s_delay_alu instid0(VALU_DEP_2) | instskip(SKIP_2) | instid1(VALU_DEP_2)
	v_dual_mul_f32 v19, v28, v19 :: v_dual_cndmask_b32 v20, 0, v20
	v_cmp_nlt_f32_e32 vcc_lo, 0x42b17218, v25
	s_waitcnt vmcnt(12)
	v_dual_mul_f32 v20, v29, v20 :: v_dual_cndmask_b32 v25, 0x7f800000, v41
	v_cmp_lt_i32_e32 vcc_lo, 64, v18
	s_delay_alu instid0(VALU_DEP_2) | instskip(SKIP_2) | instid1(VALU_DEP_2)
	v_dual_add_f32 v28, v19, v20 :: v_dual_cndmask_b32 v21, 0, v21
	v_cmp_nlt_f32_e32 vcc_lo, 0x42b17218, v26
	s_waitcnt vmcnt(11)
	v_dual_mul_f32 v21, v31, v21 :: v_dual_cndmask_b32 v26, 0x7f800000, v42
	v_cmp_lt_i32_e32 vcc_lo, 0x60, v18
	v_cndmask_b32_e32 v22, 0, v22, vcc_lo
	v_cmp_nlt_f32_e32 vcc_lo, 0x42b17218, v27
	s_waitcnt vmcnt(10)
	s_delay_alu instid0(VALU_DEP_2) | instskip(SKIP_4) | instid1(VALU_DEP_2)
	v_mul_f32_e32 v11, v11, v22
	v_cndmask_b32_e32 v27, 0x7f800000, v43, vcc_lo
	v_cmp_lt_i32_e32 vcc_lo, 0x80, v18
	v_dual_add_f32 v22, v28, v21 :: v_dual_cndmask_b32 v23, 0, v23
	v_cmp_nlt_f32_e32 vcc_lo, 0x42b17218, v30
	v_dual_sub_f32 v47, v47, v74 :: v_dual_add_f32 v22, v22, v11
	v_cvt_i32_f32_e32 v74, v74
	s_waitcnt vmcnt(9)
	v_mul_f32_e32 v12, v12, v23
	v_cndmask_b32_e32 v28, 0x7f800000, v44, vcc_lo
	v_cmp_lt_i32_e32 vcc_lo, 0xa0, v18
	s_delay_alu instid0(VALU_DEP_3) | instskip(SKIP_3) | instid1(VALU_DEP_2)
	v_dual_fmac_f32 v73, 0x32a5705f, v35 :: v_dual_add_f32 v22, v22, v12
	v_cndmask_b32_e32 v24, 0, v24, vcc_lo
	v_cmp_nlt_f32_e32 vcc_lo, 0x42b17218, v32
	s_waitcnt vmcnt(8)
	v_mul_f32_e32 v13, v13, v24
	v_cndmask_b32_e32 v23, 0x7f800000, v45, vcc_lo
	v_cmp_lt_i32_e32 vcc_lo, 0xc0, v18
	s_delay_alu instid0(VALU_DEP_3) | instskip(SKIP_3) | instid1(VALU_DEP_2)
	v_add_f32_e32 v22, v22, v13
	v_cndmask_b32_e32 v25, 0, v25, vcc_lo
	v_cmp_lt_i32_e32 vcc_lo, 0xe0, v18
	s_waitcnt vmcnt(7)
	v_mul_f32_e32 v14, v14, v25
	v_cndmask_b32_e32 v24, 0, v26, vcc_lo
	v_cmp_lt_i32_e32 vcc_lo, 0x100, v18
	s_delay_alu instid0(VALU_DEP_3) | instskip(SKIP_1) | instid1(VALU_DEP_3)
	v_add_f32_e32 v22, v22, v14
	s_waitcnt vmcnt(6)
	v_mul_f32_e32 v4, v4, v24
	v_cndmask_b32_e32 v26, 0, v27, vcc_lo
	v_cmp_lt_i32_e32 vcc_lo, 0x120, v18
	s_waitcnt vmcnt(5)
	s_delay_alu instid0(VALU_DEP_2) | instskip(SKIP_2) | instid1(VALU_DEP_3)
	v_dual_add_f32 v22, v22, v4 :: v_dual_mul_f32 v5, v5, v26
	v_cndmask_b32_e32 v25, 0, v28, vcc_lo
	v_cmp_lt_i32_e32 vcc_lo, 0x140, v18
	v_add_f32_e32 v22, v22, v5
	s_waitcnt vmcnt(4)
	s_delay_alu instid0(VALU_DEP_3)
	v_dual_mul_f32 v6, v6, v25 :: v_dual_cndmask_b32 v23, 0, v23
	v_cmp_nlt_f32_e32 vcc_lo, 0x42b17218, v34
	v_add_f32_e32 v47, v47, v73
	v_cvt_i32_f32_e32 v25, v76
	s_waitcnt vmcnt(3)
	v_dual_add_f32 v22, v22, v6 :: v_dual_mul_f32 v7, v7, v23
	v_cndmask_b32_e32 v24, 0x7f800000, v46, vcc_lo
	v_exp_f32_e32 v47, v47
	v_cmp_ngt_f32_e32 vcc_lo, 0xc2ce8ed0, v35
	s_delay_alu instid0(VALU_DEP_3) | instskip(SKIP_2) | instid1(VALU_DEP_1)
	v_add_f32_e32 v22, v22, v7
	s_waitcnt_depctr 0xfff
	v_ldexp_f32 v47, v47, v74
	v_cndmask_b32_e32 v23, 0, v47, vcc_lo
	v_cmp_lt_i32_e32 vcc_lo, 0x160, v18
	v_cndmask_b32_e32 v24, 0, v24, vcc_lo
	v_cmp_nlt_f32_e32 vcc_lo, 0x42b17218, v35
	s_waitcnt vmcnt(2)
	s_delay_alu instid0(VALU_DEP_2) | instskip(SKIP_2) | instid1(VALU_DEP_3)
	v_dual_mul_f32 v16, v16, v24 :: v_dual_cndmask_b32 v23, 0x7f800000, v23
	v_cmp_lt_i32_e32 vcc_lo, 0x180, v18
	v_ldexp_f32 v24, v48, v25
	v_dual_add_f32 v22, v22, v16 :: v_dual_cndmask_b32 v23, 0, v23
	v_cmp_ngt_f32_e32 vcc_lo, 0xc2ce8ed0, v17
	s_waitcnt vmcnt(1)
	s_delay_alu instid0(VALU_DEP_2) | instskip(SKIP_1) | instid1(VALU_DEP_2)
	v_dual_mul_f32 v15, v15, v23 :: v_dual_cndmask_b32 v24, 0, v24
	v_cmp_nlt_f32_e32 vcc_lo, 0x42b17218, v17
	v_cndmask_b32_e32 v17, 0x7f800000, v24, vcc_lo
	v_cmp_lt_i32_e32 vcc_lo, 0x1a0, v18
	s_delay_alu instid0(VALU_DEP_2) | instskip(SKIP_1) | instid1(VALU_DEP_1)
	v_dual_add_f32 v18, v22, v15 :: v_dual_cndmask_b32 v17, 0, v17
	s_waitcnt vmcnt(0)
	v_fmac_f32_e32 v18, v9, v17
	ds_bpermute_b32 v3, v3, v18
	s_waitcnt lgkmcnt(0)
	v_add_f32_e32 v3, v18, v3
	ds_bpermute_b32 v1, v1, v3
	s_waitcnt lgkmcnt(0)
	v_add_f32_e32 v1, v3, v1
	v_lshlrev_b32_e32 v3, 2, v0
	ds_bpermute_b32 v2, v2, v1
	ds_store_2addr_b32 v3, v19, v20 offset1:32
	s_waitcnt lgkmcnt(1)
	v_add_f32_e32 v1, v1, v2
	ds_bpermute_b32 v2, v8, v1
	v_dual_mul_f32 v8, v9, v17 :: v_dual_add_nc_u32 v9, 0x400, v3
	ds_store_2addr_b32 v3, v21, v11 offset0:64 offset1:96
	ds_store_2addr_b32 v3, v12, v13 offset0:128 offset1:160
	;; [unrolled: 1-line block ×3, first 2 shown]
	ds_store_2addr_b32 v9, v5, v6 offset1:32
	ds_store_2addr_b32 v9, v7, v16 offset0:64 offset1:96
	ds_store_2addr_b32 v9, v15, v8 offset0:128 offset1:160
	s_waitcnt lgkmcnt(6)
	v_add_f32_e32 v1, v1, v2
	ds_bpermute_b32 v2, v10, v1
	v_cmpx_eq_u32_e32 0, v0
	s_cbranch_execz .LBB35_8
; %bb.7:
	s_waitcnt lgkmcnt(0)
	v_dual_add_f32 v1, v1, v2 :: v_dual_mov_b32 v2, 0
	ds_store_b32 v2, v1 offset:1792
.LBB35_8:
	s_or_b32 exec_lo, exec_lo, s7
	v_mov_b32_e32 v1, s6
.LBB35_9:
	s_or_b32 exec_lo, exec_lo, s24
	s_lshl_b32 s6, s18, 6
	s_mov_b32 s7, 0
	s_waitcnt lgkmcnt(0)
	v_dual_mov_b32 v2, 0 :: v_dual_lshlrev_b32 v1, 6, v1
	s_lshl_b64 s[6:7], s[6:7], 1
	v_dual_mov_b32 v29, 0 :: v_dual_mov_b32 v30, 0
	s_add_u32 s34, s4, s6
	s_addc_u32 s35, s5, s7
	s_lshl_b32 s41, s40, 6
	v_lshlrev_b64 v[3:4], 1, v[1:2]
	s_sub_i32 s42, s41, 64
	s_cmpk_lt_i32 s22, 0x100
	v_lshlrev_b32_e32 v1, 1, v0
	s_cselect_b32 s4, s42, 0
	v_dual_mov_b32 v31, 0 :: v_dual_mov_b32 v32, 0
	s_ashr_i32 s5, s4, 31
	v_add_co_u32 v3, vcc_lo, s34, v3
	s_lshl_b64 s[4:5], s[4:5], 1
	s_cmpk_lt_i32 s22, 0x200
	v_add_co_ci_u32_e32 v4, vcc_lo, s35, v4, vcc_lo
	s_cselect_b32 s6, s42, 64
	v_add_co_u32 v1, vcc_lo, v3, v1
	s_ashr_i32 s7, s6, 31
	s_delay_alu instid0(VALU_DEP_2)
	v_add_co_ci_u32_e32 v3, vcc_lo, 0, v4, vcc_lo
	s_lshl_b64 s[6:7], s[6:7], 1
	s_cmpk_lt_i32 s22, 0x300
	v_add_co_u32 v4, vcc_lo, v1, s4
	s_cselect_b32 s8, s42, 0x80
	v_add_co_ci_u32_e32 v5, vcc_lo, s5, v3, vcc_lo
	s_ashr_i32 s9, s8, 31
	v_add_co_u32 v8, vcc_lo, v1, s6
	s_lshl_b64 s[8:9], s[8:9], 1
	s_cmpk_lt_i32 s22, 0x400
	v_add_co_ci_u32_e32 v9, vcc_lo, s7, v3, vcc_lo
	s_cselect_b32 s10, s42, 0xc0
	v_add_co_u32 v10, vcc_lo, v1, s8
	s_ashr_i32 s11, s10, 31
	v_add_co_ci_u32_e32 v11, vcc_lo, s9, v3, vcc_lo
	s_lshl_b64 s[10:11], s[10:11], 1
	s_cmpk_lt_i32 s22, 0x500
	v_add_co_u32 v12, vcc_lo, v1, s10
	s_cselect_b32 s18, s42, 0x100
	v_add_co_ci_u32_e32 v13, vcc_lo, s11, v3, vcc_lo
	s_ashr_i32 s19, s18, 31
	v_dual_mov_b32 v33, 0 :: v_dual_mov_b32 v34, 0
	s_lshl_b64 s[18:19], s[18:19], 1
	s_cmpk_lt_i32 s22, 0x600
	v_add_co_u32 v14, vcc_lo, v1, s18
	s_cselect_b32 s20, s42, 0x140
	v_add_co_ci_u32_e32 v15, vcc_lo, s19, v3, vcc_lo
	s_ashr_i32 s21, s20, 31
	v_mov_b32_e32 v35, 0
	s_lshl_b64 s[20:21], s[20:21], 1
	s_cmpk_lt_i32 s22, 0x700
	v_add_co_u32 v16, vcc_lo, v1, s20
	s_cselect_b32 s24, s42, 0x180
	v_add_co_ci_u32_e32 v17, vcc_lo, s21, v3, vcc_lo
	s_ashr_i32 s25, s24, 31
	s_delay_alu instid0(SALU_CYCLE_1)
	s_lshl_b64 s[24:25], s[24:25], 1
	s_cmpk_lt_i32 s22, 0x800
	v_add_co_u32 v18, vcc_lo, v1, s24
	s_cselect_b32 s26, s42, 0x1c0
	v_add_co_ci_u32_e32 v19, vcc_lo, s25, v3, vcc_lo
	s_ashr_i32 s27, s26, 31
	s_delay_alu instid0(SALU_CYCLE_1)
	s_lshl_b64 s[26:27], s[26:27], 1
	s_cmpk_lt_i32 s22, 0x900
	v_add_co_u32 v20, vcc_lo, v1, s26
	s_cselect_b32 s28, s42, 0x200
	v_add_co_ci_u32_e32 v21, vcc_lo, s27, v3, vcc_lo
	s_ashr_i32 s29, s28, 31
	s_clause 0x7
	global_load_u16 v7, v[4:5], off
	global_load_u16 v8, v[8:9], off
	;; [unrolled: 1-line block ×8, first 2 shown]
	s_lshl_b64 s[28:29], s[28:29], 1
	s_cmpk_lt_i32 s22, 0xa00
	v_add_co_u32 v12, vcc_lo, v1, s28
	s_cselect_b32 s30, s42, 0x240
	v_add_co_ci_u32_e32 v13, vcc_lo, s29, v3, vcc_lo
	s_ashr_i32 s31, s30, 31
	s_delay_alu instid0(SALU_CYCLE_1)
	s_lshl_b64 s[30:31], s[30:31], 1
	s_cmpk_lt_i32 s22, 0xb00
	v_add_co_u32 v15, vcc_lo, v1, s30
	s_cselect_b32 s34, s42, 0x280
	v_add_co_ci_u32_e32 v16, vcc_lo, s31, v3, vcc_lo
	s_ashr_i32 s35, s34, 31
	s_delay_alu instid0(SALU_CYCLE_1)
	;; [unrolled: 7-line block ×7, first 2 shown]
	s_lshl_b64 s[4:5], s[6:7], 1
	s_cmpk_gt_i32 s23, 0x1000
	v_add_co_u32 v27, vcc_lo, v1, s4
	v_add_co_ci_u32_e32 v28, vcc_lo, s5, v3, vcc_lo
	s_clause 0x7
	global_load_u16 v14, v[12:13], off
	global_load_u16 v15, v[15:16], off
	;; [unrolled: 1-line block ×8, first 2 shown]
	v_dual_mov_b32 v20, 0 :: v_dual_mov_b32 v21, 0
	v_dual_mov_b32 v22, 0 :: v_dual_mov_b32 v23, 0
	;; [unrolled: 1-line block ×4, first 2 shown]
	v_mov_b32_e32 v28, 0
	s_cselect_b32 s8, -1, 0
	s_cmpk_lt_i32 s23, 0x1001
	s_waitcnt vmcnt(0)
	s_barrier
	buffer_gl0_inv
	s_cbranch_scc1 .LBB35_11
; %bb.10:
	s_cmpk_lt_i32 s22, 0x1100
	s_cselect_b32 s4, s42, 0x400
	s_delay_alu instid0(SALU_CYCLE_1) | instskip(NEXT) | instid1(SALU_CYCLE_1)
	s_ashr_i32 s5, s4, 31
	s_lshl_b64 s[4:5], s[4:5], 1
	s_cmpk_lt_i32 s22, 0x1200
	v_add_co_u32 v20, vcc_lo, v1, s4
	s_cselect_b32 s6, s42, 0x440
	v_add_co_ci_u32_e32 v21, vcc_lo, s5, v3, vcc_lo
	s_ashr_i32 s7, s6, 31
	s_delay_alu instid0(SALU_CYCLE_1)
	s_lshl_b64 s[6:7], s[6:7], 1
	s_cmpk_lt_i32 s22, 0x1300
	v_add_co_u32 v22, vcc_lo, v1, s6
	s_cselect_b32 s10, s42, 0x480
	v_add_co_ci_u32_e32 v23, vcc_lo, s7, v3, vcc_lo
	s_ashr_i32 s11, s10, 31
	s_delay_alu instid0(SALU_CYCLE_1)
	s_lshl_b64 s[10:11], s[10:11], 1
	s_cmpk_lt_i32 s22, 0x1400
	v_add_co_u32 v24, vcc_lo, v1, s10
	s_cselect_b32 s18, s42, 0x4c0
	v_add_co_ci_u32_e32 v25, vcc_lo, s11, v3, vcc_lo
	s_ashr_i32 s19, s18, 31
	s_delay_alu instid0(SALU_CYCLE_1)
	s_lshl_b64 s[18:19], s[18:19], 1
	s_cmpk_lt_i32 s22, 0x1500
	v_add_co_u32 v26, vcc_lo, v1, s18
	s_cselect_b32 s20, s42, 0x500
	v_add_co_ci_u32_e32 v27, vcc_lo, s19, v3, vcc_lo
	s_ashr_i32 s21, s20, 31
	s_delay_alu instid0(SALU_CYCLE_1)
	s_lshl_b64 s[20:21], s[20:21], 1
	s_cmpk_lt_i32 s22, 0x1600
	v_add_co_u32 v28, vcc_lo, v1, s20
	s_cselect_b32 s24, s42, 0x540
	v_add_co_ci_u32_e32 v29, vcc_lo, s21, v3, vcc_lo
	s_ashr_i32 s25, s24, 31
	s_delay_alu instid0(SALU_CYCLE_1)
	s_lshl_b64 s[24:25], s[24:25], 1
	s_cmpk_lt_i32 s22, 0x1700
	v_add_co_u32 v30, vcc_lo, v1, s24
	s_cselect_b32 s26, s42, 0x580
	v_add_co_ci_u32_e32 v31, vcc_lo, s25, v3, vcc_lo
	s_ashr_i32 s27, s26, 31
	s_delay_alu instid0(SALU_CYCLE_1)
	s_lshl_b64 s[26:27], s[26:27], 1
	s_cmpk_lt_i32 s22, 0x1800
	v_add_co_u32 v32, vcc_lo, v1, s26
	s_cselect_b32 s28, s42, 0x5c0
	v_add_co_ci_u32_e32 v33, vcc_lo, s27, v3, vcc_lo
	s_ashr_i32 s29, s28, 31
	s_delay_alu instid0(SALU_CYCLE_1)
	s_lshl_b64 s[28:29], s[28:29], 1
	s_cmpk_lt_i32 s22, 0x1900
	v_add_co_u32 v34, vcc_lo, v1, s28
	s_cselect_b32 s30, s42, 0x600
	v_add_co_ci_u32_e32 v35, vcc_lo, s29, v3, vcc_lo
	s_ashr_i32 s31, s30, 31
	s_clause 0x7
	global_load_u16 v36, v[20:21], off
	global_load_u16 v37, v[22:23], off
	;; [unrolled: 1-line block ×8, first 2 shown]
	s_lshl_b64 s[30:31], s[30:31], 1
	s_cmpk_lt_i32 s22, 0x1a00
	v_add_co_u32 v20, vcc_lo, v1, s30
	s_cselect_b32 s34, s42, 0x640
	v_add_co_ci_u32_e32 v21, vcc_lo, s31, v3, vcc_lo
	s_ashr_i32 s35, s34, 31
	s_delay_alu instid0(SALU_CYCLE_1)
	s_lshl_b64 s[34:35], s[34:35], 1
	s_cmpk_lt_i32 s22, 0x1b00
	v_add_co_u32 v22, vcc_lo, v1, s34
	s_cselect_b32 s36, s42, 0x680
	v_add_co_ci_u32_e32 v23, vcc_lo, s35, v3, vcc_lo
	s_ashr_i32 s37, s36, 31
	s_delay_alu instid0(SALU_CYCLE_1)
	;; [unrolled: 7-line block ×6, first 2 shown]
	s_lshl_b64 s[4:5], s[20:21], 1
	s_cmpk_lt_i32 s22, 0x2000
	v_add_co_u32 v32, vcc_lo, v1, s4
	s_cselect_b32 s6, s42, 0x7c0
	v_add_co_ci_u32_e32 v33, vcc_lo, s5, v3, vcc_lo
	s_ashr_i32 s7, s6, 31
	s_delay_alu instid0(SALU_CYCLE_1) | instskip(NEXT) | instid1(SALU_CYCLE_1)
	s_lshl_b64 s[4:5], s[6:7], 1
	v_add_co_u32 v34, vcc_lo, v1, s4
	v_add_co_ci_u32_e32 v35, vcc_lo, s5, v3, vcc_lo
	s_clause 0x7
	global_load_u16 v20, v[20:21], off
	global_load_u16 v21, v[22:23], off
	;; [unrolled: 1-line block ×8, first 2 shown]
	s_waitcnt vmcnt(15)
	v_cvt_f32_f16_e32 v35, v36
	s_waitcnt vmcnt(14)
	v_cvt_f32_f16_e32 v34, v37
	;; [unrolled: 2-line block ×16, first 2 shown]
.LBB35_11:
	ds_load_b128 v[36:39], v2
	ds_load_b128 v[40:43], v2 offset:16
	s_load_b64 s[0:1], s[0:1], 0x0
	s_and_b32 vcc_lo, exec_lo, s8
	s_waitcnt lgkmcnt(0)
	v_fma_mix_f32 v7, v36, v7, 0 op_sel_hi:[0,1,0]
	s_delay_alu instid0(VALU_DEP_1) | instskip(NEXT) | instid1(VALU_DEP_1)
	v_fma_mix_f32 v7, v37, v8, v7 op_sel_hi:[0,1,0]
	v_fma_mix_f32 v7, v38, v9, v7 op_sel_hi:[0,1,0]
	s_delay_alu instid0(VALU_DEP_1) | instskip(SKIP_4) | instid1(VALU_DEP_1)
	v_fma_mix_f32 v7, v39, v10, v7 op_sel_hi:[0,1,0]
	ds_load_b128 v[36:39], v2 offset:48
	v_fma_mix_f32 v11, v40, v11, v7 op_sel_hi:[0,1,0]
	ds_load_b128 v[7:10], v2 offset:32
	v_fma_mix_f32 v4, v41, v4, v11 op_sel_hi:[0,1,0]
	v_fma_mix_f32 v4, v42, v5, v4 op_sel_hi:[0,1,0]
	s_delay_alu instid0(VALU_DEP_1) | instskip(SKIP_1) | instid1(VALU_DEP_1)
	v_fma_mix_f32 v4, v43, v6, v4 op_sel_hi:[0,1,0]
	s_waitcnt lgkmcnt(0)
	v_fma_mix_f32 v4, v7, v14, v4 op_sel_hi:[0,1,0]
	s_delay_alu instid0(VALU_DEP_1) | instskip(NEXT) | instid1(VALU_DEP_1)
	v_fma_mix_f32 v4, v8, v15, v4 op_sel_hi:[0,1,0]
	v_fma_mix_f32 v4, v9, v16, v4 op_sel_hi:[0,1,0]
	s_delay_alu instid0(VALU_DEP_1) | instskip(NEXT) | instid1(VALU_DEP_1)
	v_fma_mix_f32 v4, v10, v17, v4 op_sel_hi:[0,1,0]
	;; [unrolled: 3-line block ×3, first 2 shown]
	v_fma_mix_f32 v4, v38, v13, v4 op_sel_hi:[0,1,0]
	s_delay_alu instid0(VALU_DEP_1)
	v_fma_mix_f32 v4, v39, v19, v4 op_sel_hi:[0,1,0]
	s_cbranch_vccz .LBB35_13
; %bb.12:
	ds_load_b128 v[5:8], v2 offset:64
	ds_load_b128 v[9:12], v2 offset:80
	s_waitcnt lgkmcnt(1)
	v_fmac_f32_e32 v4, v5, v35
	s_delay_alu instid0(VALU_DEP_1) | instskip(NEXT) | instid1(VALU_DEP_1)
	v_fmac_f32_e32 v4, v6, v34
	v_fmac_f32_e32 v4, v7, v33
	s_delay_alu instid0(VALU_DEP_1) | instskip(SKIP_3) | instid1(VALU_DEP_1)
	v_fmac_f32_e32 v4, v8, v32
	ds_load_b128 v[5:8], v2 offset:96
	s_waitcnt lgkmcnt(1)
	v_fmac_f32_e32 v4, v9, v31
	v_fmac_f32_e32 v4, v10, v30
	s_delay_alu instid0(VALU_DEP_1) | instskip(NEXT) | instid1(VALU_DEP_1)
	v_fmac_f32_e32 v4, v11, v29
	v_fmac_f32_e32 v4, v12, v28
	ds_load_b128 v[9:12], v2 offset:112
	s_waitcnt lgkmcnt(1)
	v_fmac_f32_e32 v4, v5, v27
	s_delay_alu instid0(VALU_DEP_1) | instskip(NEXT) | instid1(VALU_DEP_1)
	v_fmac_f32_e32 v4, v6, v26
	v_fmac_f32_e32 v4, v7, v25
	s_delay_alu instid0(VALU_DEP_1) | instskip(SKIP_1) | instid1(VALU_DEP_1)
	v_fmac_f32_e32 v4, v8, v24
	s_waitcnt lgkmcnt(0)
	v_fmac_f32_e32 v4, v9, v23
	s_delay_alu instid0(VALU_DEP_1) | instskip(NEXT) | instid1(VALU_DEP_1)
	v_fmac_f32_e32 v4, v10, v22
	v_fmac_f32_e32 v4, v11, v21
	s_delay_alu instid0(VALU_DEP_1)
	v_fmac_f32_e32 v4, v12, v20
.LBB35_13:
	s_movk_i32 s43, 0xfc0
	s_movk_i32 s44, 0x80
	s_mov_b32 s45, 32
	s_branch .LBB35_15
.LBB35_14:                              ;   in Loop: Header=BB35_15 Depth=1
	s_addk_i32 s43, 0x800
	s_addk_i32 s44, 0x80
	s_add_i32 s45, s45, 32
	s_cmpk_eq_i32 s43, 0x77c0
	s_cbranch_scc1 .LBB35_17
.LBB35_15:                              ; =>This Inner Loop Header: Depth=1
	s_cmp_le_i32 s40, s45
	s_cbranch_scc1 .LBB35_14
; %bb.16:                               ;   in Loop: Header=BB35_15 Depth=1
	s_add_i32 s4, s43, 0xfffff840
	v_mov_b32_e32 v44, s44
	s_cmp_lt_i32 s4, s41
	s_cselect_b32 s4, s4, s42
	s_add_i32 s6, s43, 0xfffff880
	s_ashr_i32 s5, s4, 31
	s_delay_alu instid0(SALU_CYCLE_1)
	s_lshl_b64 s[4:5], s[4:5], 1
	s_cmp_lt_i32 s6, s41
	v_add_co_u32 v5, vcc_lo, v1, s4
	s_cselect_b32 s6, s6, s42
	s_add_i32 s10, s43, 0xfffff8c0
	s_ashr_i32 s7, s6, 31
	v_add_co_ci_u32_e32 v6, vcc_lo, s5, v3, vcc_lo
	s_lshl_b64 s[8:9], s[6:7], 1
	s_cmp_lt_i32 s10, s41
	v_add_co_u32 v7, vcc_lo, v1, s8
	s_cselect_b32 s6, s10, s42
	s_add_i32 s10, s43, 0xfffff900
	s_ashr_i32 s7, s6, 31
	v_add_co_ci_u32_e32 v8, vcc_lo, s9, v3, vcc_lo
	;; [unrolled: 7-line block ×8, first 2 shown]
	s_lshl_b64 s[24:25], s[20:21], 1
	s_cmp_lt_i32 s28, s41
	s_clause 0x7
	global_load_u16 v2, v[5:6], off
	global_load_u16 v21, v[7:8], off
	;; [unrolled: 1-line block ×8, first 2 shown]
	s_cselect_b32 s20, s28, s42
	s_add_i32 s28, s43, 0xfffffac0
	s_ashr_i32 s21, s20, 31
	v_add_co_u32 v5, vcc_lo, v1, s24
	s_lshl_b64 s[20:21], s[20:21], 1
	s_cmp_lt_i32 s28, s41
	v_add_co_ci_u32_e32 v6, vcc_lo, s25, v3, vcc_lo
	s_cselect_b32 s28, s28, s42
	s_add_i32 s36, s43, 0xfffffb00
	s_ashr_i32 s29, s28, 31
	v_add_co_u32 v7, vcc_lo, v1, s20
	s_lshl_b64 s[30:31], s[28:29], 1
	s_cmp_lt_i32 s36, s41
	v_add_co_ci_u32_e32 v8, vcc_lo, s21, v3, vcc_lo
	;; [unrolled: 7-line block ×8, first 2 shown]
	s_cselect_b32 s10, s10, s42
	s_add_i32 s18, s43, 0xfffffcc0
	s_ashr_i32 s11, s10, 31
	s_clause 0x7
	global_load_u16 v28, v[5:6], off
	global_load_u16 v29, v[7:8], off
	;; [unrolled: 1-line block ×8, first 2 shown]
	s_lshl_b64 s[10:11], s[10:11], 1
	s_cmp_lt_i32 s18, s41
	v_add_co_u32 v5, vcc_lo, v1, s4
	s_cselect_b32 s18, s18, s42
	s_add_i32 s22, s43, 0xfffffd00
	s_ashr_i32 s19, s18, 31
	v_add_co_ci_u32_e32 v6, vcc_lo, s5, v3, vcc_lo
	s_lshl_b64 s[18:19], s[18:19], 1
	s_cmp_lt_i32 s22, s41
	v_add_co_u32 v7, vcc_lo, v1, s10
	s_cselect_b32 s20, s22, s42
	s_add_i32 s22, s43, 0xfffffd40
	s_ashr_i32 s21, s20, 31
	v_add_co_ci_u32_e32 v8, vcc_lo, s11, v3, vcc_lo
	;; [unrolled: 7-line block ×5, first 2 shown]
	s_lshl_b64 s[6:7], s[6:7], 1
	s_cmp_lt_i32 s24, s41
	s_clause 0x4
	global_load_u16 v19, v[5:6], off
	global_load_u16 v20, v[7:8], off
	;; [unrolled: 1-line block ×5, first 2 shown]
	s_cselect_b32 s4, s24, s42
	s_add_i32 s10, s43, 0xfffffe40
	s_ashr_i32 s5, s4, 31
	v_add_co_u32 v5, vcc_lo, v1, s8
	s_lshl_b64 s[4:5], s[4:5], 1
	s_cmp_lt_i32 s10, s41
	v_add_co_ci_u32_e32 v6, vcc_lo, s9, v3, vcc_lo
	s_cselect_b32 s10, s10, s42
	s_add_i32 s18, s43, 0xfffffe80
	s_ashr_i32 s11, s10, 31
	v_add_co_u32 v7, vcc_lo, v1, s6
	s_lshl_b64 s[10:11], s[10:11], 1
	s_cmp_lt_i32 s18, s41
	v_add_co_ci_u32_e32 v8, vcc_lo, s7, v3, vcc_lo
	s_cselect_b32 s18, s18, s42
	s_add_i32 s20, s43, 0xfffffec0
	s_ashr_i32 s19, s18, 31
	v_add_co_u32 v9, vcc_lo, v1, s4
	s_lshl_b64 s[18:19], s[18:19], 1
	s_cmp_lt_i32 s20, s41
	global_load_u16 v37, v[5:6], off
	s_cselect_b32 s8, s20, s42
	s_add_i32 s20, s43, 0xffffff00
	s_ashr_i32 s9, s8, 31
	v_add_co_ci_u32_e32 v10, vcc_lo, s5, v3, vcc_lo
	s_lshl_b64 s[6:7], s[8:9], 1
	s_cmp_lt_i32 s20, s41
	v_add_co_u32 v11, vcc_lo, v1, s10
	s_cselect_b32 s4, s20, s42
	s_clause 0x1
	global_load_u16 v38, v[7:8], off
	global_load_u16 v39, v[9:10], off
	v_add_co_ci_u32_e32 v12, vcc_lo, s11, v3, vcc_lo
	s_ashr_i32 s5, s4, 31
	s_add_i32 s8, s43, 0xffffff40
	v_add_co_u32 v13, vcc_lo, v1, s18
	s_lshl_b64 s[4:5], s[4:5], 1
	s_cmp_lt_i32 s8, s41
	v_add_co_ci_u32_e32 v14, vcc_lo, s19, v3, vcc_lo
	v_add_co_u32 v15, vcc_lo, v1, s6
	s_cselect_b32 s8, s8, s42
	v_add_co_ci_u32_e32 v16, vcc_lo, s7, v3, vcc_lo
	s_ashr_i32 s9, s8, 31
	s_add_i32 s10, s43, 0xffffff80
	s_lshl_b64 s[6:7], s[8:9], 1
	s_clause 0x2
	global_load_u16 v40, v[11:12], off
	global_load_u16 v13, v[13:14], off
	;; [unrolled: 1-line block ×3, first 2 shown]
	s_cmp_lt_i32 s10, s41
	v_add_co_u32 v5, vcc_lo, v1, s4
	s_cselect_b32 s8, s10, s42
	s_sub_i32 s10, s43, 64
	s_ashr_i32 s9, s8, 31
	v_add_co_ci_u32_e32 v6, vcc_lo, s5, v3, vcc_lo
	s_lshl_b64 s[8:9], s[8:9], 1
	s_cmp_lt_i32 s10, s41
	v_add_co_u32 v7, vcc_lo, v1, s6
	s_cselect_b32 s4, s10, s42
	v_add_co_ci_u32_e32 v8, vcc_lo, s7, v3, vcc_lo
	s_ashr_i32 s5, s4, 31
	v_add_co_u32 v9, vcc_lo, v1, s8
	global_load_u16 v15, v[5:6], off
	s_lshl_b64 s[4:5], s[4:5], 1
	v_add_co_ci_u32_e32 v10, vcc_lo, s9, v3, vcc_lo
	s_cmp_lt_i32 s43, s41
	s_clause 0x1
	global_load_u16 v16, v[7:8], off
	global_load_u16 v41, v[9:10], off
	s_cselect_b32 s6, s43, s42
	v_add_co_u32 v5, vcc_lo, v1, s4
	s_ashr_i32 s7, s6, 31
	v_add_co_ci_u32_e32 v6, vcc_lo, s5, v3, vcc_lo
	s_lshl_b64 s[4:5], s[6:7], 1
	s_delay_alu instid0(SALU_CYCLE_1)
	v_add_co_u32 v7, vcc_lo, v1, s4
	v_add_co_ci_u32_e32 v8, vcc_lo, s5, v3, vcc_lo
	s_clause 0x1
	global_load_u16 v42, v[5:6], off
	global_load_u16 v43, v[7:8], off
	ds_load_b128 v[5:8], v44
	ds_load_b128 v[9:12], v44 offset:16
	s_waitcnt vmcnt(31) lgkmcnt(1)
	v_fma_mix_f32 v2, v5, v2, v4 op_sel_hi:[0,1,0]
	s_waitcnt vmcnt(30)
	s_delay_alu instid0(VALU_DEP_1) | instskip(SKIP_1) | instid1(VALU_DEP_1)
	v_fma_mix_f32 v2, v6, v21, v2 op_sel_hi:[0,1,0]
	s_waitcnt vmcnt(29)
	v_fma_mix_f32 v2, v7, v22, v2 op_sel_hi:[0,1,0]
	ds_load_b128 v[4:7], v44 offset:32
	s_waitcnt vmcnt(28)
	v_fma_mix_f32 v2, v8, v23, v2 op_sel_hi:[0,1,0]
	s_waitcnt vmcnt(27) lgkmcnt(1)
	s_delay_alu instid0(VALU_DEP_1) | instskip(SKIP_1) | instid1(VALU_DEP_1)
	v_fma_mix_f32 v2, v9, v24, v2 op_sel_hi:[0,1,0]
	s_waitcnt vmcnt(26)
	v_fma_mix_f32 v2, v10, v25, v2 op_sel_hi:[0,1,0]
	s_waitcnt vmcnt(25)
	s_delay_alu instid0(VALU_DEP_1) | instskip(SKIP_4) | instid1(VALU_DEP_1)
	v_fma_mix_f32 v2, v11, v26, v2 op_sel_hi:[0,1,0]
	ds_load_b128 v[8:11], v44 offset:48
	s_waitcnt vmcnt(24)
	v_fma_mix_f32 v2, v12, v27, v2 op_sel_hi:[0,1,0]
	s_waitcnt vmcnt(23) lgkmcnt(1)
	v_fma_mix_f32 v2, v4, v28, v2 op_sel_hi:[0,1,0]
	s_waitcnt vmcnt(22)
	s_delay_alu instid0(VALU_DEP_1) | instskip(SKIP_1) | instid1(VALU_DEP_1)
	v_fma_mix_f32 v2, v5, v29, v2 op_sel_hi:[0,1,0]
	s_waitcnt vmcnt(21)
	v_fma_mix_f32 v2, v6, v30, v2 op_sel_hi:[0,1,0]
	s_waitcnt vmcnt(20)
	s_delay_alu instid0(VALU_DEP_1) | instskip(SKIP_4) | instid1(VALU_DEP_1)
	v_fma_mix_f32 v2, v7, v31, v2 op_sel_hi:[0,1,0]
	ds_load_b128 v[4:7], v44 offset:64
	s_waitcnt vmcnt(19) lgkmcnt(1)
	v_fma_mix_f32 v2, v8, v32, v2 op_sel_hi:[0,1,0]
	s_waitcnt vmcnt(18)
	v_fma_mix_f32 v2, v9, v33, v2 op_sel_hi:[0,1,0]
	s_waitcnt vmcnt(17)
	s_delay_alu instid0(VALU_DEP_1) | instskip(SKIP_1) | instid1(VALU_DEP_1)
	v_fma_mix_f32 v2, v10, v17, v2 op_sel_hi:[0,1,0]
	s_waitcnt vmcnt(16)
	v_fma_mix_f32 v2, v11, v18, v2 op_sel_hi:[0,1,0]
	ds_load_b128 v[8:11], v44 offset:80
	s_waitcnt vmcnt(15) lgkmcnt(1)
	v_fma_mix_f32 v2, v4, v19, v2 op_sel_hi:[0,1,0]
	s_waitcnt vmcnt(14)
	s_delay_alu instid0(VALU_DEP_1) | instskip(SKIP_1) | instid1(VALU_DEP_1)
	v_fma_mix_f32 v2, v5, v20, v2 op_sel_hi:[0,1,0]
	s_waitcnt vmcnt(13)
	v_fma_mix_f32 v2, v6, v34, v2 op_sel_hi:[0,1,0]
	s_waitcnt vmcnt(12)
	s_delay_alu instid0(VALU_DEP_1) | instskip(SKIP_4) | instid1(VALU_DEP_1)
	v_fma_mix_f32 v2, v7, v35, v2 op_sel_hi:[0,1,0]
	ds_load_b128 v[4:7], v44 offset:96
	s_waitcnt vmcnt(11) lgkmcnt(1)
	v_fma_mix_f32 v2, v8, v36, v2 op_sel_hi:[0,1,0]
	s_waitcnt vmcnt(10)
	v_fma_mix_f32 v2, v9, v37, v2 op_sel_hi:[0,1,0]
	s_waitcnt vmcnt(9)
	s_delay_alu instid0(VALU_DEP_1) | instskip(SKIP_1) | instid1(VALU_DEP_1)
	v_fma_mix_f32 v2, v10, v38, v2 op_sel_hi:[0,1,0]
	s_waitcnt vmcnt(8)
	v_fma_mix_f32 v2, v11, v39, v2 op_sel_hi:[0,1,0]
	ds_load_b128 v[8:11], v44 offset:112
	s_waitcnt vmcnt(7) lgkmcnt(1)
	v_fma_mix_f32 v2, v4, v40, v2 op_sel_hi:[0,1,0]
	s_waitcnt vmcnt(6)
	s_delay_alu instid0(VALU_DEP_1) | instskip(SKIP_1) | instid1(VALU_DEP_1)
	v_fma_mix_f32 v2, v5, v13, v2 op_sel_hi:[0,1,0]
	s_waitcnt vmcnt(5)
	v_fma_mix_f32 v2, v6, v14, v2 op_sel_hi:[0,1,0]
	s_waitcnt vmcnt(4)
	s_delay_alu instid0(VALU_DEP_1) | instskip(SKIP_1) | instid1(VALU_DEP_1)
	v_fma_mix_f32 v2, v7, v15, v2 op_sel_hi:[0,1,0]
	s_waitcnt vmcnt(3) lgkmcnt(0)
	v_fma_mix_f32 v2, v8, v16, v2 op_sel_hi:[0,1,0]
	s_waitcnt vmcnt(2)
	s_delay_alu instid0(VALU_DEP_1) | instskip(SKIP_1) | instid1(VALU_DEP_1)
	v_fma_mix_f32 v2, v9, v41, v2 op_sel_hi:[0,1,0]
	s_waitcnt vmcnt(1)
	v_fma_mix_f32 v2, v10, v42, v2 op_sel_hi:[0,1,0]
	s_waitcnt vmcnt(0)
	s_delay_alu instid0(VALU_DEP_1)
	v_fma_mix_f32 v4, v11, v43, v2 op_sel_hi:[0,1,0]
	s_branch .LBB35_14
.LBB35_17:
	v_mov_b32_e32 v1, 0
	s_and_b32 vcc_lo, exec_lo, s15
	ds_load_b32 v1, v1 offset:1792
	s_cbranch_vccz .LBB35_19
; %bb.18:
	s_add_u32 s2, s12, s16
	s_addc_u32 s3, s13, s17
	s_load_b32 s2, s[2:3], 0x0
	s_mov_b32 s3, 0
.LBB35_19:
	s_waitcnt lgkmcnt(0)
	v_add_f32_e32 v1, 0x358637bd, v1
	s_mul_i32 s3, s33, s3
	s_mul_hi_u32 s4, s33, s2
	s_mul_i32 s2, s33, s2
	s_add_i32 s3, s4, s3
	v_div_scale_f32 v2, null, v1, v1, 1.0
	v_div_scale_f32 v6, vcc_lo, 1.0, v1, 1.0
	s_lshl_b64 s[2:3], s[2:3], 6
	s_delay_alu instid0(VALU_DEP_2) | instskip(SKIP_4) | instid1(SALU_CYCLE_1)
	v_rcp_f32_e32 v3, v2
	s_mov_b32 s15, 0
	s_add_u32 s2, s0, s2
	s_addc_u32 s3, s1, s3
	s_lshl_b64 s[0:1], s[14:15], 6
	s_add_u32 s0, s2, s0
	s_addc_u32 s1, s3, s1
	v_add_co_u32 v0, s0, s0, v0
	s_waitcnt_depctr 0xfff
	v_fma_f32 v5, -v2, v3, 1.0
	s_delay_alu instid0(VALU_DEP_1) | instskip(NEXT) | instid1(VALU_DEP_1)
	v_fmac_f32_e32 v3, v5, v3
	v_mul_f32_e32 v5, v6, v3
	s_delay_alu instid0(VALU_DEP_1) | instskip(NEXT) | instid1(VALU_DEP_1)
	v_fma_f32 v7, -v2, v5, v6
	v_fmac_f32_e32 v5, v7, v3
	s_delay_alu instid0(VALU_DEP_1) | instskip(NEXT) | instid1(VALU_DEP_1)
	v_fma_f32 v2, -v2, v5, v6
	v_div_fmas_f32 v2, v2, v3, v5
	s_delay_alu instid0(VALU_DEP_1) | instskip(NEXT) | instid1(VALU_DEP_1)
	v_div_fixup_f32 v1, v2, v1, 1.0
	v_fma_mixlo_f16 v1, v4, v1, 0
	s_delay_alu instid0(VALU_DEP_1)
	v_cvt_i16_f16_e32 v2, v1
	v_add_co_ci_u32_e64 v1, null, s1, 0, s0
	global_store_b8 v[0:1], v2, off
	s_nop 0
	s_sendmsg sendmsg(MSG_DEALLOC_VGPRS)
	s_endpgm
.LBB35_20:
	s_mov_b32 s4, 0
	s_branch .LBB35_2
	.section	.rodata,"a",@progbits
	.p2align	6, 0x0
	.amdhsa_kernel _Z35paged_attention_ll4mi_reduce_kernelIDF16_hLi64ELi64ELi256ELi14EEvPT0_PKfS3_PKT_PKiS8_iS3_
		.amdhsa_group_segment_fixed_size 1796
		.amdhsa_private_segment_fixed_size 0
		.amdhsa_kernarg_size 320
		.amdhsa_user_sgpr_count 14
		.amdhsa_user_sgpr_dispatch_ptr 0
		.amdhsa_user_sgpr_queue_ptr 0
		.amdhsa_user_sgpr_kernarg_segment_ptr 1
		.amdhsa_user_sgpr_dispatch_id 0
		.amdhsa_user_sgpr_private_segment_size 0
		.amdhsa_wavefront_size32 1
		.amdhsa_uses_dynamic_stack 0
		.amdhsa_enable_private_segment 0
		.amdhsa_system_sgpr_workgroup_id_x 1
		.amdhsa_system_sgpr_workgroup_id_y 1
		.amdhsa_system_sgpr_workgroup_id_z 0
		.amdhsa_system_sgpr_workgroup_info 0
		.amdhsa_system_vgpr_workitem_id 0
		.amdhsa_next_free_vgpr 77
		.amdhsa_next_free_sgpr 47
		.amdhsa_reserve_vcc 1
		.amdhsa_float_round_mode_32 0
		.amdhsa_float_round_mode_16_64 0
		.amdhsa_float_denorm_mode_32 3
		.amdhsa_float_denorm_mode_16_64 3
		.amdhsa_dx10_clamp 1
		.amdhsa_ieee_mode 1
		.amdhsa_fp16_overflow 0
		.amdhsa_workgroup_processor_mode 1
		.amdhsa_memory_ordered 1
		.amdhsa_forward_progress 0
		.amdhsa_shared_vgpr_count 0
		.amdhsa_exception_fp_ieee_invalid_op 0
		.amdhsa_exception_fp_denorm_src 0
		.amdhsa_exception_fp_ieee_div_zero 0
		.amdhsa_exception_fp_ieee_overflow 0
		.amdhsa_exception_fp_ieee_underflow 0
		.amdhsa_exception_fp_ieee_inexact 0
		.amdhsa_exception_int_div_zero 0
	.end_amdhsa_kernel
	.section	.text._Z35paged_attention_ll4mi_reduce_kernelIDF16_hLi64ELi64ELi256ELi14EEvPT0_PKfS3_PKT_PKiS8_iS3_,"axG",@progbits,_Z35paged_attention_ll4mi_reduce_kernelIDF16_hLi64ELi64ELi256ELi14EEvPT0_PKfS3_PKT_PKiS8_iS3_,comdat
.Lfunc_end35:
	.size	_Z35paged_attention_ll4mi_reduce_kernelIDF16_hLi64ELi64ELi256ELi14EEvPT0_PKfS3_PKT_PKiS8_iS3_, .Lfunc_end35-_Z35paged_attention_ll4mi_reduce_kernelIDF16_hLi64ELi64ELi256ELi14EEvPT0_PKfS3_PKT_PKiS8_iS3_
                                        ; -- End function
	.section	.AMDGPU.csdata,"",@progbits
; Kernel info:
; codeLenInByte = 7760
; NumSgprs: 49
; NumVgprs: 77
; ScratchSize: 0
; MemoryBound: 0
; FloatMode: 240
; IeeeMode: 1
; LDSByteSize: 1796 bytes/workgroup (compile time only)
; SGPRBlocks: 6
; VGPRBlocks: 9
; NumSGPRsForWavesPerEU: 49
; NumVGPRsForWavesPerEU: 77
; Occupancy: 16
; WaveLimiterHint : 0
; COMPUTE_PGM_RSRC2:SCRATCH_EN: 0
; COMPUTE_PGM_RSRC2:USER_SGPR: 14
; COMPUTE_PGM_RSRC2:TRAP_HANDLER: 0
; COMPUTE_PGM_RSRC2:TGID_X_EN: 1
; COMPUTE_PGM_RSRC2:TGID_Y_EN: 1
; COMPUTE_PGM_RSRC2:TGID_Z_EN: 0
; COMPUTE_PGM_RSRC2:TIDIG_COMP_CNT: 0
	.section	.text._Z35paged_attention_ll4mi_reduce_kernelIDF16_hLi64ELi64ELi256ELi15EEvPT0_PKfS3_PKT_PKiS8_iS3_,"axG",@progbits,_Z35paged_attention_ll4mi_reduce_kernelIDF16_hLi64ELi64ELi256ELi15EEvPT0_PKfS3_PKT_PKiS8_iS3_,comdat
	.protected	_Z35paged_attention_ll4mi_reduce_kernelIDF16_hLi64ELi64ELi256ELi15EEvPT0_PKfS3_PKT_PKiS8_iS3_ ; -- Begin function _Z35paged_attention_ll4mi_reduce_kernelIDF16_hLi64ELi64ELi256ELi15EEvPT0_PKfS3_PKT_PKiS8_iS3_
	.globl	_Z35paged_attention_ll4mi_reduce_kernelIDF16_hLi64ELi64ELi256ELi15EEvPT0_PKfS3_PKT_PKiS8_iS3_
	.p2align	8
	.type	_Z35paged_attention_ll4mi_reduce_kernelIDF16_hLi64ELi64ELi256ELi15EEvPT0_PKfS3_PKT_PKiS8_iS3_,@function
_Z35paged_attention_ll4mi_reduce_kernelIDF16_hLi64ELi64ELi256ELi15EEvPT0_PKfS3_PKT_PKiS8_iS3_: ; @_Z35paged_attention_ll4mi_reduce_kernelIDF16_hLi64ELi64ELi256ELi15EEvPT0_PKfS3_PKT_PKiS8_iS3_
; %bb.0:
	s_load_b64 s[12:13], s[0:1], 0x28
	s_mov_b32 s2, s15
	s_waitcnt lgkmcnt(0)
	s_cmp_lg_u64 s[12:13], 0
	s_cselect_b32 s15, -1, 0
	s_delay_alu instid0(SALU_CYCLE_1)
	s_and_b32 vcc_lo, exec_lo, s15
	s_cbranch_vccz .LBB36_20
; %bb.1:
	s_add_i32 s4, s2, 1
	s_mov_b32 s5, 0
	s_delay_alu instid0(SALU_CYCLE_1) | instskip(SKIP_4) | instid1(SALU_CYCLE_1)
	s_lshl_b64 s[6:7], s[4:5], 2
	s_mov_b32 s3, s5
	s_add_u32 s6, s12, s6
	s_addc_u32 s7, s13, s7
	s_lshl_b64 s[8:9], s[2:3], 2
	s_add_u32 s8, s12, s8
	s_addc_u32 s9, s13, s9
	s_clause 0x1
	s_load_b32 s4, s[6:7], 0x0
	s_load_b32 s6, s[8:9], 0x0
	s_waitcnt lgkmcnt(0)
	s_sub_i32 s4, s4, s6
	s_delay_alu instid0(SALU_CYCLE_1)
	s_cmp_eq_u32 s4, 1
	s_cselect_b32 s4, -1, 0
	s_cbranch_execnz .LBB36_3
.LBB36_2:
	s_mov_b32 s3, 0
	s_mov_b32 s4, -1
.LBB36_3:
	s_delay_alu instid0(SALU_CYCLE_1)
	s_and_not1_b32 vcc_lo, exec_lo, s4
	s_cbranch_vccz .LBB36_5
; %bb.4:
	s_endpgm
.LBB36_5:
	s_clause 0x1
	s_load_b128 s[4:7], s[0:1], 0x18
	s_load_b32 s9, s[0:1], 0x30
	s_lshl_b64 s[16:17], s[2:3], 2
	s_waitcnt lgkmcnt(0)
	s_add_u32 s6, s6, s16
	s_addc_u32 s7, s7, s17
	s_load_b32 s23, s[6:7], 0x0
	s_load_b32 s33, s[0:1], 0x40
	s_mul_i32 s7, s2, s9
	s_waitcnt lgkmcnt(0)
	s_add_i32 s22, s23, 0xff
	s_delay_alu instid0(SALU_CYCLE_1) | instskip(NEXT) | instid1(SALU_CYCLE_1)
	s_ashr_i32 s6, s22, 31
	s_lshr_b32 s6, s6, 24
	s_delay_alu instid0(SALU_CYCLE_1) | instskip(SKIP_4) | instid1(SALU_CYCLE_1)
	s_add_i32 s8, s22, s6
	s_mul_i32 s6, s14, s9
	s_mov_b32 s9, exec_lo
	v_cmpx_lt_u32_e32 31, v0
	s_xor_b32 s9, exec_lo, s9
	s_or_saveexec_b32 s24, s9
	v_mov_b32_e32 v1, s6
	s_ashr_i32 s40, s8, 8
	s_mul_i32 s18, s7, s33
	s_xor_b32 exec_lo, exec_lo, s24
	s_cbranch_execz .LBB36_9
; %bb.6:
	v_or_b32_e32 v2, 32, v0
	v_cmp_gt_i32_e32 vcc_lo, s40, v0
	s_add_i32 s20, s40, -1
	v_or_b32_e32 v4, 64, v0
	v_or_b32_e32 v6, 0xa0, v0
	s_load_b128 s[8:11], s[0:1], 0x8
	v_cndmask_b32_e32 v1, s20, v0, vcc_lo
	v_cmp_gt_i32_e32 vcc_lo, s40, v2
	s_mov_b32 s19, 0
	s_delay_alu instid0(SALU_CYCLE_1)
	s_mov_b32 s7, s19
	v_cndmask_b32_e32 v3, s20, v2, vcc_lo
	v_or_b32_e32 v2, 0x60, v0
	v_cmp_gt_i32_e32 vcc_lo, s40, v4
	v_cndmask_b32_e32 v5, s20, v4, vcc_lo
	v_or_b32_e32 v4, 0x80, v0
	s_delay_alu instid0(VALU_DEP_4) | instskip(SKIP_1) | instid1(VALU_DEP_3)
	v_cmp_gt_i32_e32 vcc_lo, s40, v2
	v_cndmask_b32_e32 v7, s20, v2, vcc_lo
	v_cmp_gt_i32_e32 vcc_lo, s40, v4
	v_or_b32_e32 v2, 0xc0, v0
	s_delay_alu instid0(VALU_DEP_3) | instskip(SKIP_3) | instid1(VALU_DEP_3)
	v_ashrrev_i32_e32 v8, 31, v7
	v_cndmask_b32_e32 v9, s20, v4, vcc_lo
	v_cmp_gt_i32_e32 vcc_lo, s40, v6
	v_or_b32_e32 v4, 0xe0, v0
	v_ashrrev_i32_e32 v10, 31, v9
	v_cndmask_b32_e32 v11, s20, v6, vcc_lo
	v_cmp_gt_i32_e32 vcc_lo, s40, v2
	v_or_b32_e32 v6, 0x120, v0
	s_delay_alu instid0(VALU_DEP_3) | instskip(SKIP_3) | instid1(VALU_DEP_3)
	v_ashrrev_i32_e32 v12, 31, v11
	v_cndmask_b32_e32 v13, s20, v2, vcc_lo
	v_or_b32_e32 v2, 0x100, v0
	v_cmp_gt_i32_e32 vcc_lo, s40, v4
	v_ashrrev_i32_e32 v14, 31, v13
	v_cndmask_b32_e32 v15, s20, v4, vcc_lo
	s_delay_alu instid0(VALU_DEP_4) | instskip(SKIP_1) | instid1(VALU_DEP_3)
	v_cmp_gt_i32_e32 vcc_lo, s40, v2
	v_or_b32_e32 v4, 0x140, v0
	v_ashrrev_i32_e32 v16, 31, v15
	v_cndmask_b32_e32 v17, s20, v2, vcc_lo
	v_cmp_gt_i32_e32 vcc_lo, s40, v6
	v_or_b32_e32 v2, 0x160, v0
	s_delay_alu instid0(VALU_DEP_3) | instskip(SKIP_3) | instid1(VALU_DEP_3)
	v_ashrrev_i32_e32 v18, 31, v17
	v_cndmask_b32_e32 v19, s20, v6, vcc_lo
	v_cmp_gt_i32_e32 vcc_lo, s40, v4
	v_or_b32_e32 v6, 0x1a0, v0
	v_ashrrev_i32_e32 v20, 31, v19
	v_cndmask_b32_e32 v21, s20, v4, vcc_lo
	v_or_b32_e32 v4, 0x180, v0
	v_cmp_gt_i32_e32 vcc_lo, s40, v2
	s_delay_alu instid0(VALU_DEP_3) | instskip(SKIP_1) | instid1(VALU_DEP_4)
	v_ashrrev_i32_e32 v22, 31, v21
	v_cndmask_b32_e32 v23, s20, v2, vcc_lo
	v_cmp_gt_i32_e32 vcc_lo, s40, v4
	v_or_b32_e32 v2, 0x1c0, v0
	s_delay_alu instid0(VALU_DEP_3) | instskip(SKIP_3) | instid1(VALU_DEP_3)
	v_ashrrev_i32_e32 v24, 31, v23
	v_cndmask_b32_e32 v25, s20, v4, vcc_lo
	v_cmp_gt_i32_e32 vcc_lo, s40, v6
	v_ashrrev_i32_e32 v4, 31, v3
	v_ashrrev_i32_e32 v26, 31, v25
	v_cndmask_b32_e32 v27, s20, v6, vcc_lo
	v_cmp_gt_i32_e32 vcc_lo, s40, v2
	v_ashrrev_i32_e32 v6, 31, v5
	v_lshlrev_b64 v[33:34], 2, v[3:4]
	s_delay_alu instid0(VALU_DEP_4)
	v_ashrrev_i32_e32 v28, 31, v27
	v_cndmask_b32_e32 v29, s20, v2, vcc_lo
	v_ashrrev_i32_e32 v2, 31, v1
	s_lshl_b64 s[20:21], s[18:19], 2
	v_lshlrev_b64 v[4:5], 2, v[5:6]
	s_waitcnt lgkmcnt(0)
	s_add_u32 s19, s10, s20
	s_addc_u32 s25, s11, s21
	v_lshlrev_b64 v[31:32], 2, v[1:2]
	s_lshl_b64 s[10:11], s[6:7], 2
	v_lshlrev_b64 v[6:7], 2, v[7:8]
	s_add_u32 s7, s19, s10
	s_addc_u32 s19, s25, s11
	v_lshlrev_b64 v[8:9], 2, v[9:10]
	v_add_co_u32 v1, vcc_lo, s7, v31
	v_add_co_ci_u32_e32 v2, vcc_lo, s19, v32, vcc_lo
	v_add_co_u32 v35, vcc_lo, s7, v33
	v_add_co_ci_u32_e32 v36, vcc_lo, s19, v34, vcc_lo
	;; [unrolled: 2-line block ×3, first 2 shown]
	v_add_co_u32 v39, vcc_lo, s7, v6
	v_lshlrev_b64 v[10:11], 2, v[11:12]
	v_add_co_ci_u32_e32 v40, vcc_lo, s19, v7, vcc_lo
	v_add_co_u32 v41, vcc_lo, s7, v8
	v_lshlrev_b64 v[12:13], 2, v[13:14]
	v_add_co_ci_u32_e32 v42, vcc_lo, s19, v9, vcc_lo
	;; [unrolled: 3-line block ×5, first 2 shown]
	s_clause 0x7
	global_load_b32 v49, v[1:2], off
	global_load_b32 v50, v[35:36], off
	;; [unrolled: 1-line block ×8, first 2 shown]
	v_add_co_u32 v1, vcc_lo, s7, v16
	v_lshlrev_b64 v[20:21], 2, v[21:22]
	v_add_co_ci_u32_e32 v2, vcc_lo, s19, v17, vcc_lo
	v_add_co_u32 v35, vcc_lo, s7, v18
	v_add_co_ci_u32_e32 v36, vcc_lo, s19, v19, vcc_lo
	v_lshlrev_b64 v[22:23], 2, v[23:24]
	v_add_co_u32 v37, vcc_lo, s7, v20
	v_add_co_ci_u32_e32 v38, vcc_lo, s19, v21, vcc_lo
	v_lshlrev_b64 v[24:25], 2, v[25:26]
	v_ashrrev_i32_e32 v30, 31, v29
	s_clause 0x2
	global_load_b32 v45, v[1:2], off
	global_load_b32 v46, v[35:36], off
	global_load_b32 v47, v[37:38], off
	v_add_co_u32 v1, vcc_lo, s7, v22
	v_lshlrev_b64 v[26:27], 2, v[27:28]
	v_add_co_ci_u32_e32 v2, vcc_lo, s19, v23, vcc_lo
	v_add_co_u32 v35, vcc_lo, s7, v24
	v_lshlrev_b64 v[28:29], 2, v[29:30]
	v_add_co_ci_u32_e32 v36, vcc_lo, s19, v25, vcc_lo
	v_add_co_u32 v37, vcc_lo, s7, v26
	v_add_co_ci_u32_e32 v38, vcc_lo, s19, v27, vcc_lo
	s_delay_alu instid0(VALU_DEP_4)
	v_add_co_u32 v39, vcc_lo, s7, v28
	v_add_co_ci_u32_e32 v40, vcc_lo, s19, v29, vcc_lo
	s_clause 0x3
	global_load_b32 v48, v[1:2], off
	global_load_b32 v35, v[35:36], off
	global_load_b32 v36, v[37:38], off
	global_load_b32 v3, v[39:40], off
	v_mbcnt_lo_u32_b32 v37, -1, 0
	s_add_u32 s7, s8, s20
	s_addc_u32 s8, s9, s21
	s_add_u32 s7, s7, s10
	s_addc_u32 s8, s8, s11
	v_xor_b32_e32 v1, 16, v37
	v_xor_b32_e32 v2, 8, v37
	s_delay_alu instid0(VALU_DEP_2) | instskip(SKIP_1) | instid1(VALU_DEP_3)
	v_cmp_gt_i32_e32 vcc_lo, 32, v1
	v_cndmask_b32_e32 v1, v37, v1, vcc_lo
	v_cmp_gt_i32_e32 vcc_lo, 32, v2
	v_cndmask_b32_e32 v38, v37, v2, vcc_lo
	s_delay_alu instid0(VALU_DEP_3) | instskip(NEXT) | instid1(VALU_DEP_2)
	v_lshlrev_b32_e32 v2, 2, v1
	v_lshlrev_b32_e32 v1, 2, v38
	s_waitcnt vmcnt(12)
	v_max3_f32 v30, v49, v50, v51
	s_waitcnt vmcnt(10)
	s_delay_alu instid0(VALU_DEP_1) | instskip(SKIP_1) | instid1(VALU_DEP_1)
	v_max3_f32 v30, v30, v52, v41
	s_waitcnt vmcnt(8)
	v_max3_f32 v30, v30, v42, v43
	s_waitcnt vmcnt(6)
	s_delay_alu instid0(VALU_DEP_1) | instskip(SKIP_3) | instid1(VALU_DEP_3)
	v_max3_f32 v38, v30, v44, v45
	v_add_co_u32 v30, vcc_lo, s7, v31
	v_add_co_ci_u32_e32 v31, vcc_lo, s8, v32, vcc_lo
	s_waitcnt vmcnt(4)
	v_max3_f32 v38, v38, v46, v47
	v_add_co_u32 v32, vcc_lo, s7, v33
	v_add_co_ci_u32_e32 v33, vcc_lo, s8, v34, vcc_lo
	v_add_co_u32 v4, vcc_lo, s7, v4
	v_add_co_ci_u32_e32 v5, vcc_lo, s8, v5, vcc_lo
	;; [unrolled: 2-line block ×3, first 2 shown]
	v_add_co_u32 v8, vcc_lo, s7, v8
	s_waitcnt vmcnt(2)
	v_max3_f32 v34, v38, v48, v35
	v_add_co_ci_u32_e32 v9, vcc_lo, s8, v9, vcc_lo
	v_add_co_u32 v10, vcc_lo, s7, v10
	s_waitcnt vmcnt(0)
	s_delay_alu instid0(VALU_DEP_3)
	v_max3_f32 v34, v34, v36, v3
	v_add_co_ci_u32_e32 v11, vcc_lo, s8, v11, vcc_lo
	v_add_co_u32 v12, vcc_lo, s7, v12
	ds_bpermute_b32 v38, v2, v34
	v_add_co_ci_u32_e32 v13, vcc_lo, s8, v13, vcc_lo
	v_add_co_u32 v14, vcc_lo, s7, v14
	v_add_co_ci_u32_e32 v15, vcc_lo, s8, v15, vcc_lo
	v_add_co_u32 v16, vcc_lo, s7, v16
	;; [unrolled: 2-line block ×4, first 2 shown]
	s_clause 0x9
	global_load_b32 v30, v[30:31], off
	global_load_b32 v31, v[32:33], off
	;; [unrolled: 1-line block ×10, first 2 shown]
	v_xor_b32_e32 v10, 4, v37
	v_add_co_ci_u32_e32 v21, vcc_lo, s8, v21, vcc_lo
	s_waitcnt lgkmcnt(0)
	v_max_f32_e32 v38, v38, v38
	v_add_co_u32 v8, vcc_lo, s7, v22
	v_add_co_ci_u32_e32 v9, vcc_lo, s8, v23, vcc_lo
	s_delay_alu instid0(VALU_DEP_3)
	v_max_f32_e32 v34, v34, v38
	v_cmp_gt_i32_e32 vcc_lo, 32, v10
	s_clause 0x1
	global_load_b32 v7, v[20:21], off
	global_load_b32 v8, v[8:9], off
	v_xor_b32_e32 v14, 2, v37
	ds_bpermute_b32 v38, v1, v34
	v_cndmask_b32_e32 v9, v37, v10, vcc_lo
	s_waitcnt lgkmcnt(0)
	s_delay_alu instid0(VALU_DEP_1) | instskip(NEXT) | instid1(VALU_DEP_1)
	v_dual_max_f32 v11, v38, v38 :: v_dual_lshlrev_b32 v10, 2, v9
	v_max_f32_e32 v13, v34, v11
	v_add_co_u32 v11, vcc_lo, s7, v24
	v_add_co_ci_u32_e32 v12, vcc_lo, s8, v25, vcc_lo
	ds_bpermute_b32 v9, v10, v13
	v_cmp_gt_i32_e32 vcc_lo, 32, v14
	s_waitcnt lgkmcnt(0)
	v_max_f32_e32 v15, v9, v9
	global_load_b32 v9, v[11:12], off
	v_max_f32_e32 v16, v13, v15
	v_cndmask_b32_e32 v14, v37, v14, vcc_lo
	v_add_co_u32 v12, vcc_lo, s7, v26
	v_add_co_ci_u32_e32 v13, vcc_lo, s8, v27, vcc_lo
	s_delay_alu instid0(VALU_DEP_3)
	v_lshlrev_b32_e32 v11, 2, v14
	v_add_co_u32 v14, vcc_lo, s7, v28
	v_add_co_ci_u32_e32 v15, vcc_lo, s8, v29, vcc_lo
	ds_bpermute_b32 v17, v11, v16
	global_load_b32 v13, v[12:13], off
	s_mov_b32 s7, exec_lo
	global_load_b32 v14, v[14:15], off
	v_xor_b32_e32 v12, 1, v37
	s_delay_alu instid0(VALU_DEP_1) | instskip(SKIP_2) | instid1(VALU_DEP_1)
	v_cmp_gt_i32_e32 vcc_lo, 32, v12
	v_cndmask_b32_e32 v12, v37, v12, vcc_lo
	s_waitcnt lgkmcnt(0)
	v_dual_max_f32 v15, v17, v17 :: v_dual_lshlrev_b32 v12, 2, v12
	s_delay_alu instid0(VALU_DEP_1) | instskip(SKIP_3) | instid1(VALU_DEP_1)
	v_max_f32_e32 v15, v16, v15
	ds_bpermute_b32 v16, v12, v15
	s_waitcnt lgkmcnt(0)
	v_max_f32_e32 v16, v16, v16
	v_max_f32_e32 v16, v15, v16
	v_sub_nc_u32_e32 v15, s40, v0
	s_delay_alu instid0(VALU_DEP_2)
	v_sub_f32_e32 v20, v52, v16
	v_sub_f32_e32 v26, v46, v16
	;; [unrolled: 1-line block ×5, first 2 shown]
	v_mul_f32_e32 v38, 0x3fb8aa3b, v20
	v_mul_f32_e32 v46, 0x3fb8aa3b, v26
	v_sub_f32_e32 v28, v48, v16
	v_mul_f32_e32 v44, 0x3fb8aa3b, v24
	v_sub_f32_e32 v22, v42, v16
	v_fma_f32 v57, 0x3fb8aa3b, v20, -v38
	v_rndne_f32_e32 v58, v38
	v_mul_f32_e32 v48, 0x3fb8aa3b, v28
	v_rndne_f32_e32 v66, v44
	v_mul_f32_e32 v42, 0x3fb8aa3b, v22
	s_delay_alu instid0(VALU_DEP_4)
	v_dual_fmac_f32 v57, 0x32a5705f, v20 :: v_dual_sub_f32 v38, v38, v58
	v_sub_f32_e32 v29, v35, v16
	v_mul_f32_e32 v35, 0x3fb8aa3b, v17
	v_fma_f32 v73, 0x3fb8aa3b, v28, -v48
	v_rndne_f32_e32 v74, v48
	v_sub_f32_e32 v27, v47, v16
	v_fma_f32 v61, 0x3fb8aa3b, v22, -v42
	v_fma_f32 v50, 0x3fb8aa3b, v17, -v35
	v_sub_f32_e32 v19, v51, v16
	v_dual_fmac_f32 v73, 0x32a5705f, v28 :: v_dual_sub_f32 v48, v48, v74
	v_rndne_f32_e32 v62, v42
	s_delay_alu instid0(VALU_DEP_4) | instskip(NEXT) | instid1(VALU_DEP_4)
	v_fmac_f32_e32 v50, 0x32a5705f, v17
	v_mul_f32_e32 v37, 0x3fb8aa3b, v19
	v_cvt_i32_f32_e32 v74, v74
	v_dual_add_f32 v48, v48, v73 :: v_dual_sub_f32 v23, v43, v16
	v_sub_f32_e32 v42, v42, v62
	s_delay_alu instid0(VALU_DEP_4) | instskip(SKIP_1) | instid1(VALU_DEP_4)
	v_fma_f32 v55, 0x3fb8aa3b, v19, -v37
	v_sub_f32_e32 v34, v36, v16
	v_exp_f32_e32 v48, v48
	v_mul_f32_e32 v36, 0x3fb8aa3b, v18
	v_rndne_f32_e32 v51, v35
	v_fmac_f32_e32 v55, 0x32a5705f, v19
	v_fma_f32 v65, 0x3fb8aa3b, v24, -v44
	v_fma_f32 v69, 0x3fb8aa3b, v26, -v46
	v_rndne_f32_e32 v70, v46
	v_dual_sub_f32 v44, v44, v66 :: v_dual_sub_f32 v25, v45, v16
	v_fma_f32 v52, 0x3fb8aa3b, v18, -v36
	s_delay_alu instid0(TRANS32_DEP_1) | instskip(NEXT) | instid1(VALU_DEP_4)
	v_ldexp_f32 v48, v48, v74
	v_sub_f32_e32 v46, v46, v70
	v_fmac_f32_e32 v61, 0x32a5705f, v22
	v_mul_f32_e32 v43, 0x3fb8aa3b, v23
	v_rndne_f32_e32 v54, v36
	v_fmac_f32_e32 v69, 0x32a5705f, v26
	s_delay_alu instid0(VALU_DEP_4) | instskip(SKIP_3) | instid1(VALU_DEP_4)
	v_dual_sub_f32 v35, v35, v51 :: v_dual_add_f32 v42, v42, v61
	v_dual_sub_f32 v21, v41, v16 :: v_dual_fmac_f32 v52, 0x32a5705f, v18
	v_rndne_f32_e32 v56, v37
	v_sub_f32_e32 v36, v36, v54
	v_exp_f32_e32 v42, v42
	v_cvt_i32_f32_e32 v62, v62
	v_dual_add_f32 v46, v46, v69 :: v_dual_add_f32 v35, v35, v50
	s_delay_alu instid0(VALU_DEP_3) | instskip(SKIP_2) | instid1(VALU_DEP_4)
	v_dual_mul_f32 v41, 0x3fb8aa3b, v21 :: v_dual_add_f32 v36, v36, v52
	v_cvt_i32_f32_e32 v51, v51
	v_cvt_i32_f32_e32 v54, v54
	v_exp_f32_e32 v35, v35
	v_fmac_f32_e32 v65, 0x32a5705f, v24
	s_delay_alu instid0(TRANS32_DEP_2)
	v_ldexp_f32 v42, v42, v62
	v_sub_f32_e32 v37, v37, v56
	v_exp_f32_e32 v36, v36
	v_add_f32_e32 v38, v38, v57
	v_cmp_ngt_f32_e32 vcc_lo, 0xc2ce8ed0, v17
	v_dual_mul_f32 v47, 0x3fb8aa3b, v27 :: v_dual_add_f32 v44, v44, v65
	v_add_f32_e32 v37, v37, v55
	s_delay_alu instid0(TRANS32_DEP_2)
	v_ldexp_f32 v35, v35, v51
	v_cvt_i32_f32_e32 v56, v56
	v_exp_f32_e32 v38, v38
	v_cvt_i32_f32_e32 v58, v58
	v_exp_f32_e32 v37, v37
	v_ldexp_f32 v36, v36, v54
	v_cndmask_b32_e32 v35, 0, v35, vcc_lo
	v_cmp_ngt_f32_e32 vcc_lo, 0xc2ce8ed0, v18
	v_mul_f32_e32 v45, 0x3fb8aa3b, v25
	v_exp_f32_e32 v44, v44
	v_fma_f32 v59, 0x3fb8aa3b, v21, -v41
	v_rndne_f32_e32 v60, v41
	v_cndmask_b32_e32 v36, 0, v36, vcc_lo
	v_cmp_ngt_f32_e32 vcc_lo, 0xc2ce8ed0, v19
	v_ldexp_f32 v37, v37, v56
	v_cvt_i32_f32_e32 v66, v66
	v_ldexp_f32 v38, v38, v58
	v_fma_f32 v63, 0x3fb8aa3b, v23, -v43
	v_rndne_f32_e32 v64, v43
	v_cndmask_b32_e32 v37, 0, v37, vcc_lo
	v_cmp_ngt_f32_e32 vcc_lo, 0xc2ce8ed0, v20
	v_mul_f32_e32 v49, 0x3fb8aa3b, v29
	v_ldexp_f32 v44, v44, v66
	v_fmac_f32_e32 v59, 0x32a5705f, v21
	v_dual_fmac_f32 v63, 0x32a5705f, v23 :: v_dual_cndmask_b32 v38, 0, v38
	v_sub_f32_e32 v41, v41, v60
	v_cvt_i32_f32_e32 v60, v60
	v_cmp_ngt_f32_e32 vcc_lo, 0xc2ce8ed0, v21
	v_fma_f32 v67, 0x3fb8aa3b, v25, -v45
	v_rndne_f32_e32 v68, v45
	v_add_f32_e32 v41, v41, v59
	v_fma_f32 v71, 0x3fb8aa3b, v27, -v47
	v_rndne_f32_e32 v72, v47
	v_fmac_f32_e32 v67, 0x32a5705f, v25
	v_sub_f32_e32 v45, v45, v68
	v_exp_f32_e32 v41, v41
	v_fmac_f32_e32 v71, 0x32a5705f, v27
	v_sub_f32_e32 v47, v47, v72
	v_cvt_i32_f32_e32 v68, v68
	v_add_f32_e32 v45, v45, v67
	v_exp_f32_e32 v46, v46
	v_fma_f32 v75, 0x3fb8aa3b, v29, -v49
	v_add_f32_e32 v47, v47, v71
	v_cvt_i32_f32_e32 v70, v70
	v_exp_f32_e32 v45, v45
	v_ldexp_f32 v41, v41, v60
	v_cvt_i32_f32_e32 v72, v72
	v_exp_f32_e32 v47, v47
	v_fmac_f32_e32 v75, 0x32a5705f, v29
	v_sub_f32_e32 v3, v3, v16
	v_cndmask_b32_e32 v41, 0, v41, vcc_lo
	v_cmp_ngt_f32_e32 vcc_lo, 0xc2ce8ed0, v22
	v_ldexp_f32 v46, v46, v70
	v_rndne_f32_e32 v76, v49
	v_ldexp_f32 v45, v45, v68
	v_dual_cndmask_b32 v42, 0, v42 :: v_dual_sub_f32 v43, v43, v64
	v_cvt_i32_f32_e32 v64, v64
	v_cmp_ngt_f32_e32 vcc_lo, 0xc2ce8ed0, v23
	v_ldexp_f32 v47, v47, v72
	s_delay_alu instid0(VALU_DEP_4) | instskip(NEXT) | instid1(VALU_DEP_1)
	v_add_f32_e32 v43, v43, v63
	v_exp_f32_e32 v43, v43
	s_waitcnt_depctr 0xfff
	v_ldexp_f32 v43, v43, v64
	s_delay_alu instid0(VALU_DEP_1)
	v_cndmask_b32_e32 v43, 0, v43, vcc_lo
	v_cmp_ngt_f32_e32 vcc_lo, 0xc2ce8ed0, v24
	v_cndmask_b32_e32 v44, 0, v44, vcc_lo
	v_cmp_ngt_f32_e32 vcc_lo, 0xc2ce8ed0, v25
	;; [unrolled: 2-line block ×5, first 2 shown]
	v_cndmask_b32_e32 v48, 0, v48, vcc_lo
	v_cmp_nlt_f32_e32 vcc_lo, 0x42b17218, v17
	v_cndmask_b32_e32 v17, 0x7f800000, v35, vcc_lo
	v_cmp_nlt_f32_e32 vcc_lo, 0x42b17218, v18
	;; [unrolled: 2-line block ×12, first 2 shown]
	v_cndmask_b32_e32 v28, 0x7f800000, v48, vcc_lo
	v_cmp_lt_i32_e32 vcc_lo, 0, v15
	v_cndmask_b32_e32 v17, 0, v17, vcc_lo
	v_cmp_lt_i32_e32 vcc_lo, 32, v15
	;; [unrolled: 2-line block ×3, first 2 shown]
	s_waitcnt vmcnt(13)
	s_delay_alu instid0(VALU_DEP_2) | instskip(SKIP_4) | instid1(VALU_DEP_2)
	v_dual_mul_f32 v18, v31, v18 :: v_dual_cndmask_b32 v19, 0, v19
	v_cmp_lt_i32_e32 vcc_lo, 0x60, v15
	v_cndmask_b32_e32 v20, 0, v20, vcc_lo
	v_cmp_lt_i32_e32 vcc_lo, 0x80, v15
	s_waitcnt vmcnt(11)
	v_dual_mul_f32 v20, v33, v20 :: v_dual_cndmask_b32 v21, 0, v21
	v_cmp_lt_i32_e32 vcc_lo, 0xa0, v15
	v_cndmask_b32_e32 v22, 0, v22, vcc_lo
	v_cmp_lt_i32_e32 vcc_lo, 0xc0, v15
	s_waitcnt vmcnt(9)
	s_delay_alu instid0(VALU_DEP_2) | instskip(SKIP_4) | instid1(VALU_DEP_2)
	v_dual_mul_f32 v22, v40, v22 :: v_dual_cndmask_b32 v23, 0, v23
	v_cmp_lt_i32_e32 vcc_lo, 0xe0, v15
	v_cndmask_b32_e32 v24, 0, v24, vcc_lo
	v_cmp_lt_i32_e32 vcc_lo, 0x100, v15
	s_waitcnt vmcnt(7)
	v_mul_f32_e32 v5, v5, v24
	v_cndmask_b32_e32 v25, 0, v25, vcc_lo
	v_cmp_lt_i32_e32 vcc_lo, 0x120, v15
	s_waitcnt vmcnt(6)
	s_delay_alu instid0(VALU_DEP_2) | instskip(SKIP_3) | instid1(VALU_DEP_2)
	v_mul_f32_e32 v4, v4, v25
	v_cndmask_b32_e32 v26, 0, v26, vcc_lo
	v_cmp_lt_i32_e32 vcc_lo, 0x140, v15
	s_waitcnt vmcnt(5)
	v_dual_sub_f32 v25, v49, v76 :: v_dual_mul_f32 v6, v6, v26
	v_cndmask_b32_e32 v27, 0, v27, vcc_lo
	v_cmp_lt_i32_e32 vcc_lo, 0x160, v15
	s_waitcnt vmcnt(4)
	s_delay_alu instid0(VALU_DEP_2)
	v_dual_mul_f32 v26, 0x3fb8aa3b, v34 :: v_dual_mul_f32 v7, v7, v27
	v_cndmask_b32_e32 v24, 0, v28, vcc_lo
	v_dual_mul_f32 v28, 0x3fb8aa3b, v3 :: v_dual_mul_f32 v17, v30, v17
	v_cvt_i32_f32_e32 v30, v76
	v_cmp_ngt_f32_e32 vcc_lo, 0xc2ce8ed0, v29
	s_waitcnt vmcnt(3)
	v_mul_f32_e32 v8, v8, v24
	v_add_f32_e32 v24, v25, v75
	v_fma_f32 v16, 0x3fb8aa3b, v34, -v26
	v_fma_f32 v31, 0x3fb8aa3b, v3, -v28
	s_delay_alu instid0(VALU_DEP_3) | instskip(NEXT) | instid1(VALU_DEP_1)
	v_exp_f32_e32 v24, v24
	v_dual_fmac_f32 v16, 0x32a5705f, v34 :: v_dual_fmac_f32 v31, 0x32a5705f, v3
	s_waitcnt_depctr 0xfff
	v_ldexp_f32 v24, v24, v30
	s_delay_alu instid0(VALU_DEP_1) | instskip(SKIP_3) | instid1(VALU_DEP_4)
	v_cndmask_b32_e32 v24, 0, v24, vcc_lo
	v_cmp_nlt_f32_e32 vcc_lo, 0x42b17218, v29
	v_mul_f32_e32 v19, v32, v19
	v_rndne_f32_e32 v32, v28
	v_dual_cndmask_b32 v24, 0x7f800000, v24 :: v_dual_add_f32 v27, v17, v18
	v_cmp_lt_i32_e32 vcc_lo, 0x180, v15
	s_delay_alu instid0(VALU_DEP_2) | instskip(SKIP_1) | instid1(VALU_DEP_4)
	v_add_f32_e32 v25, v27, v19
	v_rndne_f32_e32 v27, v26
	v_dual_cndmask_b32 v24, 0, v24 :: v_dual_mul_f32 v21, v39, v21
	v_cmp_ngt_f32_e32 vcc_lo, 0xc2ce8ed0, v34
	s_delay_alu instid0(VALU_DEP_3) | instskip(SKIP_3) | instid1(VALU_DEP_3)
	v_dual_add_f32 v25, v25, v20 :: v_dual_sub_f32 v26, v26, v27
	v_cvt_i32_f32_e32 v27, v27
	s_waitcnt vmcnt(2)
	v_mul_f32_e32 v9, v9, v24
	v_dual_add_f32 v25, v25, v21 :: v_dual_add_f32 v16, v26, v16
	s_delay_alu instid0(VALU_DEP_1) | instskip(NEXT) | instid1(VALU_DEP_2)
	v_dual_sub_f32 v26, v28, v32 :: v_dual_add_f32 v25, v25, v22
	v_exp_f32_e32 v16, v16
	s_delay_alu instid0(VALU_DEP_1) | instskip(NEXT) | instid1(VALU_DEP_1)
	v_add_f32_e32 v26, v26, v31
	v_exp_f32_e32 v26, v26
	s_waitcnt_depctr 0xfff
	v_ldexp_f32 v16, v16, v27
	v_cvt_i32_f32_e32 v27, v32
	s_delay_alu instid0(VALU_DEP_2) | instskip(SKIP_1) | instid1(VALU_DEP_3)
	v_dual_cndmask_b32 v16, 0, v16 :: v_dual_mul_f32 v23, v53, v23
	v_cmp_nlt_f32_e32 vcc_lo, 0x42b17218, v34
	v_ldexp_f32 v24, v26, v27
	s_delay_alu instid0(VALU_DEP_3) | instskip(SKIP_1) | instid1(VALU_DEP_2)
	v_dual_add_f32 v25, v25, v23 :: v_dual_cndmask_b32 v16, 0x7f800000, v16
	v_cmp_ngt_f32_e32 vcc_lo, 0xc2ce8ed0, v3
	v_dual_add_f32 v25, v25, v5 :: v_dual_cndmask_b32 v24, 0, v24
	v_cmp_lt_i32_e32 vcc_lo, 0x1a0, v15
	s_delay_alu instid0(VALU_DEP_2) | instskip(SKIP_2) | instid1(VALU_DEP_3)
	v_add_f32_e32 v25, v25, v4
	v_cndmask_b32_e32 v16, 0, v16, vcc_lo
	v_cmp_nlt_f32_e32 vcc_lo, 0x42b17218, v3
	v_add_f32_e32 v25, v25, v6
	s_waitcnt vmcnt(1)
	s_delay_alu instid0(VALU_DEP_3) | instskip(SKIP_1) | instid1(VALU_DEP_3)
	v_mul_f32_e32 v13, v13, v16
	v_cndmask_b32_e32 v3, 0x7f800000, v24, vcc_lo
	v_add_f32_e32 v25, v25, v7
	v_cmp_lt_i32_e32 vcc_lo, 0x1c0, v15
	s_delay_alu instid0(VALU_DEP_2) | instskip(NEXT) | instid1(VALU_DEP_1)
	v_dual_add_f32 v24, v25, v8 :: v_dual_cndmask_b32 v3, 0, v3
	v_add_f32_e32 v15, v24, v9
	s_waitcnt vmcnt(0)
	s_delay_alu instid0(VALU_DEP_1) | instskip(NEXT) | instid1(VALU_DEP_1)
	v_dual_mul_f32 v3, v14, v3 :: v_dual_add_f32 v14, v15, v13
	v_add_f32_e32 v14, v14, v3
	ds_bpermute_b32 v2, v2, v14
	s_waitcnt lgkmcnt(0)
	v_add_f32_e32 v2, v14, v2
	ds_bpermute_b32 v1, v1, v2
	s_waitcnt lgkmcnt(0)
	v_add_f32_e32 v1, v2, v1
	ds_bpermute_b32 v2, v10, v1
	v_lshlrev_b32_e32 v10, 2, v0
	ds_store_2addr_b32 v10, v17, v18 offset1:32
	s_waitcnt lgkmcnt(1)
	v_add_f32_e32 v1, v1, v2
	ds_bpermute_b32 v2, v11, v1
	v_add_nc_u32_e32 v11, 0x400, v10
	ds_store_2addr_b32 v10, v19, v20 offset0:64 offset1:96
	ds_store_2addr_b32 v10, v21, v22 offset0:128 offset1:160
	;; [unrolled: 1-line block ×3, first 2 shown]
	ds_store_2addr_b32 v11, v4, v6 offset1:32
	ds_store_2addr_b32 v11, v7, v8 offset0:64 offset1:96
	ds_store_2addr_b32 v11, v9, v13 offset0:128 offset1:160
	ds_store_b32 v10, v3 offset:1792
	s_waitcnt lgkmcnt(7)
	v_add_f32_e32 v1, v1, v2
	ds_bpermute_b32 v2, v12, v1
	v_cmpx_eq_u32_e32 0, v0
	s_cbranch_execz .LBB36_8
; %bb.7:
	s_waitcnt lgkmcnt(0)
	v_dual_add_f32 v1, v1, v2 :: v_dual_mov_b32 v2, 0
	ds_store_b32 v2, v1 offset:1920
.LBB36_8:
	s_or_b32 exec_lo, exec_lo, s7
	v_mov_b32_e32 v1, s6
.LBB36_9:
	s_or_b32 exec_lo, exec_lo, s24
	s_lshl_b32 s6, s18, 6
	s_mov_b32 s7, 0
	s_waitcnt lgkmcnt(0)
	v_dual_mov_b32 v2, 0 :: v_dual_lshlrev_b32 v1, 6, v1
	s_lshl_b64 s[6:7], s[6:7], 1
	v_dual_mov_b32 v29, 0 :: v_dual_mov_b32 v30, 0
	s_add_u32 s34, s4, s6
	s_addc_u32 s35, s5, s7
	s_lshl_b32 s41, s40, 6
	v_lshlrev_b64 v[3:4], 1, v[1:2]
	s_sub_i32 s42, s41, 64
	s_cmpk_lt_i32 s22, 0x100
	v_lshlrev_b32_e32 v1, 1, v0
	s_cselect_b32 s4, s42, 0
	v_dual_mov_b32 v31, 0 :: v_dual_mov_b32 v32, 0
	s_ashr_i32 s5, s4, 31
	v_add_co_u32 v3, vcc_lo, s34, v3
	s_lshl_b64 s[4:5], s[4:5], 1
	s_cmpk_lt_i32 s22, 0x200
	v_add_co_ci_u32_e32 v4, vcc_lo, s35, v4, vcc_lo
	s_cselect_b32 s6, s42, 64
	v_add_co_u32 v1, vcc_lo, v3, v1
	s_ashr_i32 s7, s6, 31
	s_delay_alu instid0(VALU_DEP_2)
	v_add_co_ci_u32_e32 v3, vcc_lo, 0, v4, vcc_lo
	s_lshl_b64 s[6:7], s[6:7], 1
	s_cmpk_lt_i32 s22, 0x300
	v_add_co_u32 v4, vcc_lo, v1, s4
	s_cselect_b32 s8, s42, 0x80
	v_add_co_ci_u32_e32 v5, vcc_lo, s5, v3, vcc_lo
	s_ashr_i32 s9, s8, 31
	v_add_co_u32 v8, vcc_lo, v1, s6
	s_lshl_b64 s[8:9], s[8:9], 1
	s_cmpk_lt_i32 s22, 0x400
	v_add_co_ci_u32_e32 v9, vcc_lo, s7, v3, vcc_lo
	s_cselect_b32 s10, s42, 0xc0
	v_add_co_u32 v10, vcc_lo, v1, s8
	s_ashr_i32 s11, s10, 31
	v_add_co_ci_u32_e32 v11, vcc_lo, s9, v3, vcc_lo
	s_lshl_b64 s[10:11], s[10:11], 1
	s_cmpk_lt_i32 s22, 0x500
	v_add_co_u32 v12, vcc_lo, v1, s10
	s_cselect_b32 s18, s42, 0x100
	v_add_co_ci_u32_e32 v13, vcc_lo, s11, v3, vcc_lo
	s_ashr_i32 s19, s18, 31
	v_dual_mov_b32 v33, 0 :: v_dual_mov_b32 v34, 0
	s_lshl_b64 s[18:19], s[18:19], 1
	s_cmpk_lt_i32 s22, 0x600
	v_add_co_u32 v14, vcc_lo, v1, s18
	s_cselect_b32 s20, s42, 0x140
	v_add_co_ci_u32_e32 v15, vcc_lo, s19, v3, vcc_lo
	s_ashr_i32 s21, s20, 31
	v_mov_b32_e32 v35, 0
	s_lshl_b64 s[20:21], s[20:21], 1
	s_cmpk_lt_i32 s22, 0x700
	v_add_co_u32 v16, vcc_lo, v1, s20
	s_cselect_b32 s24, s42, 0x180
	v_add_co_ci_u32_e32 v17, vcc_lo, s21, v3, vcc_lo
	s_ashr_i32 s25, s24, 31
	s_delay_alu instid0(SALU_CYCLE_1)
	s_lshl_b64 s[24:25], s[24:25], 1
	s_cmpk_lt_i32 s22, 0x800
	v_add_co_u32 v18, vcc_lo, v1, s24
	s_cselect_b32 s26, s42, 0x1c0
	v_add_co_ci_u32_e32 v19, vcc_lo, s25, v3, vcc_lo
	s_ashr_i32 s27, s26, 31
	s_delay_alu instid0(SALU_CYCLE_1)
	s_lshl_b64 s[26:27], s[26:27], 1
	s_cmpk_lt_i32 s22, 0x900
	v_add_co_u32 v20, vcc_lo, v1, s26
	s_cselect_b32 s28, s42, 0x200
	v_add_co_ci_u32_e32 v21, vcc_lo, s27, v3, vcc_lo
	s_ashr_i32 s29, s28, 31
	s_clause 0x7
	global_load_u16 v7, v[4:5], off
	global_load_u16 v8, v[8:9], off
	;; [unrolled: 1-line block ×8, first 2 shown]
	s_lshl_b64 s[28:29], s[28:29], 1
	s_cmpk_lt_i32 s22, 0xa00
	v_add_co_u32 v12, vcc_lo, v1, s28
	s_cselect_b32 s30, s42, 0x240
	v_add_co_ci_u32_e32 v13, vcc_lo, s29, v3, vcc_lo
	s_ashr_i32 s31, s30, 31
	s_delay_alu instid0(SALU_CYCLE_1)
	s_lshl_b64 s[30:31], s[30:31], 1
	s_cmpk_lt_i32 s22, 0xb00
	v_add_co_u32 v15, vcc_lo, v1, s30
	s_cselect_b32 s34, s42, 0x280
	v_add_co_ci_u32_e32 v16, vcc_lo, s31, v3, vcc_lo
	s_ashr_i32 s35, s34, 31
	s_delay_alu instid0(SALU_CYCLE_1)
	;; [unrolled: 7-line block ×7, first 2 shown]
	s_lshl_b64 s[4:5], s[6:7], 1
	s_cmpk_gt_i32 s23, 0x1000
	v_add_co_u32 v27, vcc_lo, v1, s4
	v_add_co_ci_u32_e32 v28, vcc_lo, s5, v3, vcc_lo
	s_clause 0x7
	global_load_u16 v14, v[12:13], off
	global_load_u16 v15, v[15:16], off
	;; [unrolled: 1-line block ×8, first 2 shown]
	v_dual_mov_b32 v20, 0 :: v_dual_mov_b32 v21, 0
	v_dual_mov_b32 v22, 0 :: v_dual_mov_b32 v23, 0
	v_dual_mov_b32 v24, 0 :: v_dual_mov_b32 v25, 0
	v_dual_mov_b32 v26, 0 :: v_dual_mov_b32 v27, 0
	v_mov_b32_e32 v28, 0
	s_cselect_b32 s8, -1, 0
	s_cmpk_lt_i32 s23, 0x1001
	s_waitcnt vmcnt(0)
	s_barrier
	buffer_gl0_inv
	s_cbranch_scc1 .LBB36_11
; %bb.10:
	s_cmpk_lt_i32 s22, 0x1100
	s_cselect_b32 s4, s42, 0x400
	s_delay_alu instid0(SALU_CYCLE_1) | instskip(NEXT) | instid1(SALU_CYCLE_1)
	s_ashr_i32 s5, s4, 31
	s_lshl_b64 s[4:5], s[4:5], 1
	s_cmpk_lt_i32 s22, 0x1200
	v_add_co_u32 v20, vcc_lo, v1, s4
	s_cselect_b32 s6, s42, 0x440
	v_add_co_ci_u32_e32 v21, vcc_lo, s5, v3, vcc_lo
	s_ashr_i32 s7, s6, 31
	s_delay_alu instid0(SALU_CYCLE_1)
	s_lshl_b64 s[6:7], s[6:7], 1
	s_cmpk_lt_i32 s22, 0x1300
	v_add_co_u32 v22, vcc_lo, v1, s6
	s_cselect_b32 s10, s42, 0x480
	v_add_co_ci_u32_e32 v23, vcc_lo, s7, v3, vcc_lo
	s_ashr_i32 s11, s10, 31
	s_delay_alu instid0(SALU_CYCLE_1)
	;; [unrolled: 7-line block ×7, first 2 shown]
	s_lshl_b64 s[28:29], s[28:29], 1
	s_cmpk_lt_i32 s22, 0x1900
	v_add_co_u32 v34, vcc_lo, v1, s28
	s_cselect_b32 s30, s42, 0x600
	v_add_co_ci_u32_e32 v35, vcc_lo, s29, v3, vcc_lo
	s_ashr_i32 s31, s30, 31
	s_clause 0x7
	global_load_u16 v36, v[20:21], off
	global_load_u16 v37, v[22:23], off
	;; [unrolled: 1-line block ×8, first 2 shown]
	s_lshl_b64 s[30:31], s[30:31], 1
	s_cmpk_lt_i32 s22, 0x1a00
	v_add_co_u32 v20, vcc_lo, v1, s30
	s_cselect_b32 s34, s42, 0x640
	v_add_co_ci_u32_e32 v21, vcc_lo, s31, v3, vcc_lo
	s_ashr_i32 s35, s34, 31
	s_delay_alu instid0(SALU_CYCLE_1)
	s_lshl_b64 s[34:35], s[34:35], 1
	s_cmpk_lt_i32 s22, 0x1b00
	v_add_co_u32 v22, vcc_lo, v1, s34
	s_cselect_b32 s36, s42, 0x680
	v_add_co_ci_u32_e32 v23, vcc_lo, s35, v3, vcc_lo
	s_ashr_i32 s37, s36, 31
	s_delay_alu instid0(SALU_CYCLE_1)
	;; [unrolled: 7-line block ×6, first 2 shown]
	s_lshl_b64 s[4:5], s[20:21], 1
	s_cmpk_lt_i32 s22, 0x2000
	v_add_co_u32 v32, vcc_lo, v1, s4
	s_cselect_b32 s6, s42, 0x7c0
	v_add_co_ci_u32_e32 v33, vcc_lo, s5, v3, vcc_lo
	s_ashr_i32 s7, s6, 31
	s_delay_alu instid0(SALU_CYCLE_1) | instskip(NEXT) | instid1(SALU_CYCLE_1)
	s_lshl_b64 s[4:5], s[6:7], 1
	v_add_co_u32 v34, vcc_lo, v1, s4
	v_add_co_ci_u32_e32 v35, vcc_lo, s5, v3, vcc_lo
	s_clause 0x7
	global_load_u16 v20, v[20:21], off
	global_load_u16 v21, v[22:23], off
	;; [unrolled: 1-line block ×8, first 2 shown]
	s_waitcnt vmcnt(15)
	v_cvt_f32_f16_e32 v35, v36
	s_waitcnt vmcnt(14)
	v_cvt_f32_f16_e32 v34, v37
	;; [unrolled: 2-line block ×16, first 2 shown]
.LBB36_11:
	ds_load_b128 v[36:39], v2
	ds_load_b128 v[40:43], v2 offset:16
	s_load_b64 s[0:1], s[0:1], 0x0
	s_and_b32 vcc_lo, exec_lo, s8
	s_waitcnt lgkmcnt(0)
	v_fma_mix_f32 v7, v36, v7, 0 op_sel_hi:[0,1,0]
	s_delay_alu instid0(VALU_DEP_1) | instskip(NEXT) | instid1(VALU_DEP_1)
	v_fma_mix_f32 v7, v37, v8, v7 op_sel_hi:[0,1,0]
	v_fma_mix_f32 v7, v38, v9, v7 op_sel_hi:[0,1,0]
	s_delay_alu instid0(VALU_DEP_1) | instskip(SKIP_4) | instid1(VALU_DEP_1)
	v_fma_mix_f32 v7, v39, v10, v7 op_sel_hi:[0,1,0]
	ds_load_b128 v[36:39], v2 offset:48
	v_fma_mix_f32 v11, v40, v11, v7 op_sel_hi:[0,1,0]
	ds_load_b128 v[7:10], v2 offset:32
	v_fma_mix_f32 v4, v41, v4, v11 op_sel_hi:[0,1,0]
	v_fma_mix_f32 v4, v42, v5, v4 op_sel_hi:[0,1,0]
	s_delay_alu instid0(VALU_DEP_1) | instskip(SKIP_1) | instid1(VALU_DEP_1)
	v_fma_mix_f32 v4, v43, v6, v4 op_sel_hi:[0,1,0]
	s_waitcnt lgkmcnt(0)
	v_fma_mix_f32 v4, v7, v14, v4 op_sel_hi:[0,1,0]
	s_delay_alu instid0(VALU_DEP_1) | instskip(NEXT) | instid1(VALU_DEP_1)
	v_fma_mix_f32 v4, v8, v15, v4 op_sel_hi:[0,1,0]
	v_fma_mix_f32 v4, v9, v16, v4 op_sel_hi:[0,1,0]
	s_delay_alu instid0(VALU_DEP_1) | instskip(NEXT) | instid1(VALU_DEP_1)
	v_fma_mix_f32 v4, v10, v17, v4 op_sel_hi:[0,1,0]
	;; [unrolled: 3-line block ×3, first 2 shown]
	v_fma_mix_f32 v4, v38, v13, v4 op_sel_hi:[0,1,0]
	s_delay_alu instid0(VALU_DEP_1)
	v_fma_mix_f32 v4, v39, v19, v4 op_sel_hi:[0,1,0]
	s_cbranch_vccz .LBB36_13
; %bb.12:
	ds_load_b128 v[5:8], v2 offset:64
	ds_load_b128 v[9:12], v2 offset:80
	s_waitcnt lgkmcnt(1)
	v_fmac_f32_e32 v4, v5, v35
	s_delay_alu instid0(VALU_DEP_1) | instskip(NEXT) | instid1(VALU_DEP_1)
	v_fmac_f32_e32 v4, v6, v34
	v_fmac_f32_e32 v4, v7, v33
	s_delay_alu instid0(VALU_DEP_1) | instskip(SKIP_3) | instid1(VALU_DEP_1)
	v_fmac_f32_e32 v4, v8, v32
	ds_load_b128 v[5:8], v2 offset:96
	s_waitcnt lgkmcnt(1)
	v_fmac_f32_e32 v4, v9, v31
	v_fmac_f32_e32 v4, v10, v30
	s_delay_alu instid0(VALU_DEP_1) | instskip(NEXT) | instid1(VALU_DEP_1)
	v_fmac_f32_e32 v4, v11, v29
	v_fmac_f32_e32 v4, v12, v28
	ds_load_b128 v[9:12], v2 offset:112
	s_waitcnt lgkmcnt(1)
	v_fmac_f32_e32 v4, v5, v27
	s_delay_alu instid0(VALU_DEP_1) | instskip(NEXT) | instid1(VALU_DEP_1)
	v_fmac_f32_e32 v4, v6, v26
	v_fmac_f32_e32 v4, v7, v25
	s_delay_alu instid0(VALU_DEP_1) | instskip(SKIP_1) | instid1(VALU_DEP_1)
	v_fmac_f32_e32 v4, v8, v24
	s_waitcnt lgkmcnt(0)
	v_fmac_f32_e32 v4, v9, v23
	s_delay_alu instid0(VALU_DEP_1) | instskip(NEXT) | instid1(VALU_DEP_1)
	v_fmac_f32_e32 v4, v10, v22
	v_fmac_f32_e32 v4, v11, v21
	s_delay_alu instid0(VALU_DEP_1)
	v_fmac_f32_e32 v4, v12, v20
.LBB36_13:
	s_movk_i32 s43, 0xfc0
	s_movk_i32 s44, 0x80
	s_mov_b32 s45, 32
	s_branch .LBB36_15
.LBB36_14:                              ;   in Loop: Header=BB36_15 Depth=1
	s_addk_i32 s43, 0x800
	s_addk_i32 s44, 0x80
	s_add_i32 s45, s45, 32
	s_cmpk_eq_i32 s43, 0x7fc0
	s_cbranch_scc1 .LBB36_17
.LBB36_15:                              ; =>This Inner Loop Header: Depth=1
	s_cmp_le_i32 s40, s45
	s_cbranch_scc1 .LBB36_14
; %bb.16:                               ;   in Loop: Header=BB36_15 Depth=1
	s_add_i32 s4, s43, 0xfffff840
	v_mov_b32_e32 v44, s44
	s_cmp_lt_i32 s4, s41
	s_cselect_b32 s4, s4, s42
	s_add_i32 s6, s43, 0xfffff880
	s_ashr_i32 s5, s4, 31
	s_delay_alu instid0(SALU_CYCLE_1)
	s_lshl_b64 s[4:5], s[4:5], 1
	s_cmp_lt_i32 s6, s41
	v_add_co_u32 v5, vcc_lo, v1, s4
	s_cselect_b32 s6, s6, s42
	s_add_i32 s10, s43, 0xfffff8c0
	s_ashr_i32 s7, s6, 31
	v_add_co_ci_u32_e32 v6, vcc_lo, s5, v3, vcc_lo
	s_lshl_b64 s[8:9], s[6:7], 1
	s_cmp_lt_i32 s10, s41
	v_add_co_u32 v7, vcc_lo, v1, s8
	s_cselect_b32 s6, s10, s42
	s_add_i32 s10, s43, 0xfffff900
	s_ashr_i32 s7, s6, 31
	v_add_co_ci_u32_e32 v8, vcc_lo, s9, v3, vcc_lo
	;; [unrolled: 7-line block ×8, first 2 shown]
	s_lshl_b64 s[24:25], s[20:21], 1
	s_cmp_lt_i32 s28, s41
	s_clause 0x7
	global_load_u16 v2, v[5:6], off
	global_load_u16 v21, v[7:8], off
	;; [unrolled: 1-line block ×8, first 2 shown]
	s_cselect_b32 s20, s28, s42
	s_add_i32 s28, s43, 0xfffffac0
	s_ashr_i32 s21, s20, 31
	v_add_co_u32 v5, vcc_lo, v1, s24
	s_lshl_b64 s[20:21], s[20:21], 1
	s_cmp_lt_i32 s28, s41
	v_add_co_ci_u32_e32 v6, vcc_lo, s25, v3, vcc_lo
	s_cselect_b32 s28, s28, s42
	s_add_i32 s36, s43, 0xfffffb00
	s_ashr_i32 s29, s28, 31
	v_add_co_u32 v7, vcc_lo, v1, s20
	s_lshl_b64 s[30:31], s[28:29], 1
	s_cmp_lt_i32 s36, s41
	v_add_co_ci_u32_e32 v8, vcc_lo, s21, v3, vcc_lo
	;; [unrolled: 7-line block ×8, first 2 shown]
	s_cselect_b32 s10, s10, s42
	s_add_i32 s18, s43, 0xfffffcc0
	s_ashr_i32 s11, s10, 31
	s_clause 0x7
	global_load_u16 v28, v[5:6], off
	global_load_u16 v29, v[7:8], off
	;; [unrolled: 1-line block ×8, first 2 shown]
	s_lshl_b64 s[10:11], s[10:11], 1
	s_cmp_lt_i32 s18, s41
	v_add_co_u32 v5, vcc_lo, v1, s4
	s_cselect_b32 s18, s18, s42
	s_add_i32 s22, s43, 0xfffffd00
	s_ashr_i32 s19, s18, 31
	v_add_co_ci_u32_e32 v6, vcc_lo, s5, v3, vcc_lo
	s_lshl_b64 s[18:19], s[18:19], 1
	s_cmp_lt_i32 s22, s41
	v_add_co_u32 v7, vcc_lo, v1, s10
	s_cselect_b32 s20, s22, s42
	s_add_i32 s22, s43, 0xfffffd40
	s_ashr_i32 s21, s20, 31
	v_add_co_ci_u32_e32 v8, vcc_lo, s11, v3, vcc_lo
	;; [unrolled: 7-line block ×5, first 2 shown]
	s_lshl_b64 s[6:7], s[6:7], 1
	s_cmp_lt_i32 s24, s41
	s_clause 0x4
	global_load_u16 v19, v[5:6], off
	global_load_u16 v20, v[7:8], off
	;; [unrolled: 1-line block ×5, first 2 shown]
	s_cselect_b32 s4, s24, s42
	s_add_i32 s10, s43, 0xfffffe40
	s_ashr_i32 s5, s4, 31
	v_add_co_u32 v5, vcc_lo, v1, s8
	s_lshl_b64 s[4:5], s[4:5], 1
	s_cmp_lt_i32 s10, s41
	v_add_co_ci_u32_e32 v6, vcc_lo, s9, v3, vcc_lo
	s_cselect_b32 s10, s10, s42
	s_add_i32 s18, s43, 0xfffffe80
	s_ashr_i32 s11, s10, 31
	v_add_co_u32 v7, vcc_lo, v1, s6
	s_lshl_b64 s[10:11], s[10:11], 1
	s_cmp_lt_i32 s18, s41
	v_add_co_ci_u32_e32 v8, vcc_lo, s7, v3, vcc_lo
	s_cselect_b32 s18, s18, s42
	s_add_i32 s20, s43, 0xfffffec0
	s_ashr_i32 s19, s18, 31
	v_add_co_u32 v9, vcc_lo, v1, s4
	s_lshl_b64 s[18:19], s[18:19], 1
	s_cmp_lt_i32 s20, s41
	global_load_u16 v37, v[5:6], off
	s_cselect_b32 s8, s20, s42
	s_add_i32 s20, s43, 0xffffff00
	s_ashr_i32 s9, s8, 31
	v_add_co_ci_u32_e32 v10, vcc_lo, s5, v3, vcc_lo
	s_lshl_b64 s[6:7], s[8:9], 1
	s_cmp_lt_i32 s20, s41
	v_add_co_u32 v11, vcc_lo, v1, s10
	s_cselect_b32 s4, s20, s42
	s_clause 0x1
	global_load_u16 v38, v[7:8], off
	global_load_u16 v39, v[9:10], off
	v_add_co_ci_u32_e32 v12, vcc_lo, s11, v3, vcc_lo
	s_ashr_i32 s5, s4, 31
	s_add_i32 s8, s43, 0xffffff40
	v_add_co_u32 v13, vcc_lo, v1, s18
	s_lshl_b64 s[4:5], s[4:5], 1
	s_cmp_lt_i32 s8, s41
	v_add_co_ci_u32_e32 v14, vcc_lo, s19, v3, vcc_lo
	v_add_co_u32 v15, vcc_lo, v1, s6
	s_cselect_b32 s8, s8, s42
	v_add_co_ci_u32_e32 v16, vcc_lo, s7, v3, vcc_lo
	s_ashr_i32 s9, s8, 31
	s_add_i32 s10, s43, 0xffffff80
	s_lshl_b64 s[6:7], s[8:9], 1
	s_clause 0x2
	global_load_u16 v40, v[11:12], off
	global_load_u16 v13, v[13:14], off
	;; [unrolled: 1-line block ×3, first 2 shown]
	s_cmp_lt_i32 s10, s41
	v_add_co_u32 v5, vcc_lo, v1, s4
	s_cselect_b32 s8, s10, s42
	s_sub_i32 s10, s43, 64
	s_ashr_i32 s9, s8, 31
	v_add_co_ci_u32_e32 v6, vcc_lo, s5, v3, vcc_lo
	s_lshl_b64 s[8:9], s[8:9], 1
	s_cmp_lt_i32 s10, s41
	v_add_co_u32 v7, vcc_lo, v1, s6
	s_cselect_b32 s4, s10, s42
	v_add_co_ci_u32_e32 v8, vcc_lo, s7, v3, vcc_lo
	s_ashr_i32 s5, s4, 31
	v_add_co_u32 v9, vcc_lo, v1, s8
	global_load_u16 v15, v[5:6], off
	s_lshl_b64 s[4:5], s[4:5], 1
	v_add_co_ci_u32_e32 v10, vcc_lo, s9, v3, vcc_lo
	s_cmp_lt_i32 s43, s41
	s_clause 0x1
	global_load_u16 v16, v[7:8], off
	global_load_u16 v41, v[9:10], off
	s_cselect_b32 s6, s43, s42
	v_add_co_u32 v5, vcc_lo, v1, s4
	s_ashr_i32 s7, s6, 31
	v_add_co_ci_u32_e32 v6, vcc_lo, s5, v3, vcc_lo
	s_lshl_b64 s[4:5], s[6:7], 1
	s_delay_alu instid0(SALU_CYCLE_1)
	v_add_co_u32 v7, vcc_lo, v1, s4
	v_add_co_ci_u32_e32 v8, vcc_lo, s5, v3, vcc_lo
	s_clause 0x1
	global_load_u16 v42, v[5:6], off
	global_load_u16 v43, v[7:8], off
	ds_load_b128 v[5:8], v44
	ds_load_b128 v[9:12], v44 offset:16
	s_waitcnt vmcnt(31) lgkmcnt(1)
	v_fma_mix_f32 v2, v5, v2, v4 op_sel_hi:[0,1,0]
	s_waitcnt vmcnt(30)
	s_delay_alu instid0(VALU_DEP_1) | instskip(SKIP_1) | instid1(VALU_DEP_1)
	v_fma_mix_f32 v2, v6, v21, v2 op_sel_hi:[0,1,0]
	s_waitcnt vmcnt(29)
	v_fma_mix_f32 v2, v7, v22, v2 op_sel_hi:[0,1,0]
	ds_load_b128 v[4:7], v44 offset:32
	s_waitcnt vmcnt(28)
	v_fma_mix_f32 v2, v8, v23, v2 op_sel_hi:[0,1,0]
	s_waitcnt vmcnt(27) lgkmcnt(1)
	s_delay_alu instid0(VALU_DEP_1) | instskip(SKIP_1) | instid1(VALU_DEP_1)
	v_fma_mix_f32 v2, v9, v24, v2 op_sel_hi:[0,1,0]
	s_waitcnt vmcnt(26)
	v_fma_mix_f32 v2, v10, v25, v2 op_sel_hi:[0,1,0]
	s_waitcnt vmcnt(25)
	s_delay_alu instid0(VALU_DEP_1) | instskip(SKIP_4) | instid1(VALU_DEP_1)
	v_fma_mix_f32 v2, v11, v26, v2 op_sel_hi:[0,1,0]
	ds_load_b128 v[8:11], v44 offset:48
	s_waitcnt vmcnt(24)
	v_fma_mix_f32 v2, v12, v27, v2 op_sel_hi:[0,1,0]
	s_waitcnt vmcnt(23) lgkmcnt(1)
	v_fma_mix_f32 v2, v4, v28, v2 op_sel_hi:[0,1,0]
	s_waitcnt vmcnt(22)
	s_delay_alu instid0(VALU_DEP_1) | instskip(SKIP_1) | instid1(VALU_DEP_1)
	v_fma_mix_f32 v2, v5, v29, v2 op_sel_hi:[0,1,0]
	s_waitcnt vmcnt(21)
	v_fma_mix_f32 v2, v6, v30, v2 op_sel_hi:[0,1,0]
	s_waitcnt vmcnt(20)
	s_delay_alu instid0(VALU_DEP_1) | instskip(SKIP_4) | instid1(VALU_DEP_1)
	v_fma_mix_f32 v2, v7, v31, v2 op_sel_hi:[0,1,0]
	ds_load_b128 v[4:7], v44 offset:64
	s_waitcnt vmcnt(19) lgkmcnt(1)
	v_fma_mix_f32 v2, v8, v32, v2 op_sel_hi:[0,1,0]
	s_waitcnt vmcnt(18)
	v_fma_mix_f32 v2, v9, v33, v2 op_sel_hi:[0,1,0]
	s_waitcnt vmcnt(17)
	s_delay_alu instid0(VALU_DEP_1) | instskip(SKIP_1) | instid1(VALU_DEP_1)
	v_fma_mix_f32 v2, v10, v17, v2 op_sel_hi:[0,1,0]
	s_waitcnt vmcnt(16)
	v_fma_mix_f32 v2, v11, v18, v2 op_sel_hi:[0,1,0]
	ds_load_b128 v[8:11], v44 offset:80
	s_waitcnt vmcnt(15) lgkmcnt(1)
	v_fma_mix_f32 v2, v4, v19, v2 op_sel_hi:[0,1,0]
	s_waitcnt vmcnt(14)
	s_delay_alu instid0(VALU_DEP_1) | instskip(SKIP_1) | instid1(VALU_DEP_1)
	v_fma_mix_f32 v2, v5, v20, v2 op_sel_hi:[0,1,0]
	s_waitcnt vmcnt(13)
	v_fma_mix_f32 v2, v6, v34, v2 op_sel_hi:[0,1,0]
	s_waitcnt vmcnt(12)
	s_delay_alu instid0(VALU_DEP_1) | instskip(SKIP_4) | instid1(VALU_DEP_1)
	v_fma_mix_f32 v2, v7, v35, v2 op_sel_hi:[0,1,0]
	ds_load_b128 v[4:7], v44 offset:96
	s_waitcnt vmcnt(11) lgkmcnt(1)
	v_fma_mix_f32 v2, v8, v36, v2 op_sel_hi:[0,1,0]
	s_waitcnt vmcnt(10)
	v_fma_mix_f32 v2, v9, v37, v2 op_sel_hi:[0,1,0]
	s_waitcnt vmcnt(9)
	s_delay_alu instid0(VALU_DEP_1) | instskip(SKIP_1) | instid1(VALU_DEP_1)
	v_fma_mix_f32 v2, v10, v38, v2 op_sel_hi:[0,1,0]
	s_waitcnt vmcnt(8)
	v_fma_mix_f32 v2, v11, v39, v2 op_sel_hi:[0,1,0]
	ds_load_b128 v[8:11], v44 offset:112
	s_waitcnt vmcnt(7) lgkmcnt(1)
	v_fma_mix_f32 v2, v4, v40, v2 op_sel_hi:[0,1,0]
	s_waitcnt vmcnt(6)
	s_delay_alu instid0(VALU_DEP_1) | instskip(SKIP_1) | instid1(VALU_DEP_1)
	v_fma_mix_f32 v2, v5, v13, v2 op_sel_hi:[0,1,0]
	s_waitcnt vmcnt(5)
	v_fma_mix_f32 v2, v6, v14, v2 op_sel_hi:[0,1,0]
	s_waitcnt vmcnt(4)
	s_delay_alu instid0(VALU_DEP_1) | instskip(SKIP_1) | instid1(VALU_DEP_1)
	v_fma_mix_f32 v2, v7, v15, v2 op_sel_hi:[0,1,0]
	s_waitcnt vmcnt(3) lgkmcnt(0)
	v_fma_mix_f32 v2, v8, v16, v2 op_sel_hi:[0,1,0]
	s_waitcnt vmcnt(2)
	s_delay_alu instid0(VALU_DEP_1) | instskip(SKIP_1) | instid1(VALU_DEP_1)
	v_fma_mix_f32 v2, v9, v41, v2 op_sel_hi:[0,1,0]
	s_waitcnt vmcnt(1)
	v_fma_mix_f32 v2, v10, v42, v2 op_sel_hi:[0,1,0]
	s_waitcnt vmcnt(0)
	s_delay_alu instid0(VALU_DEP_1)
	v_fma_mix_f32 v4, v11, v43, v2 op_sel_hi:[0,1,0]
	s_branch .LBB36_14
.LBB36_17:
	v_mov_b32_e32 v1, 0
	s_and_b32 vcc_lo, exec_lo, s15
	ds_load_b32 v1, v1 offset:1920
	s_cbranch_vccz .LBB36_19
; %bb.18:
	s_add_u32 s2, s12, s16
	s_addc_u32 s3, s13, s17
	s_load_b32 s2, s[2:3], 0x0
	s_mov_b32 s3, 0
.LBB36_19:
	s_waitcnt lgkmcnt(0)
	v_add_f32_e32 v1, 0x358637bd, v1
	s_mul_i32 s3, s33, s3
	s_mul_hi_u32 s4, s33, s2
	s_mul_i32 s2, s33, s2
	s_add_i32 s3, s4, s3
	v_div_scale_f32 v2, null, v1, v1, 1.0
	v_div_scale_f32 v6, vcc_lo, 1.0, v1, 1.0
	s_lshl_b64 s[2:3], s[2:3], 6
	s_delay_alu instid0(VALU_DEP_2) | instskip(SKIP_4) | instid1(SALU_CYCLE_1)
	v_rcp_f32_e32 v3, v2
	s_mov_b32 s15, 0
	s_add_u32 s2, s0, s2
	s_addc_u32 s3, s1, s3
	s_lshl_b64 s[0:1], s[14:15], 6
	s_add_u32 s0, s2, s0
	s_addc_u32 s1, s3, s1
	v_add_co_u32 v0, s0, s0, v0
	s_waitcnt_depctr 0xfff
	v_fma_f32 v5, -v2, v3, 1.0
	s_delay_alu instid0(VALU_DEP_1) | instskip(NEXT) | instid1(VALU_DEP_1)
	v_fmac_f32_e32 v3, v5, v3
	v_mul_f32_e32 v5, v6, v3
	s_delay_alu instid0(VALU_DEP_1) | instskip(NEXT) | instid1(VALU_DEP_1)
	v_fma_f32 v7, -v2, v5, v6
	v_fmac_f32_e32 v5, v7, v3
	s_delay_alu instid0(VALU_DEP_1) | instskip(NEXT) | instid1(VALU_DEP_1)
	v_fma_f32 v2, -v2, v5, v6
	v_div_fmas_f32 v2, v2, v3, v5
	s_delay_alu instid0(VALU_DEP_1) | instskip(NEXT) | instid1(VALU_DEP_1)
	v_div_fixup_f32 v1, v2, v1, 1.0
	v_fma_mixlo_f16 v1, v4, v1, 0
	s_delay_alu instid0(VALU_DEP_1)
	v_cvt_i16_f16_e32 v2, v1
	v_add_co_ci_u32_e64 v1, null, s1, 0, s0
	global_store_b8 v[0:1], v2, off
	s_nop 0
	s_sendmsg sendmsg(MSG_DEALLOC_VGPRS)
	s_endpgm
.LBB36_20:
	s_mov_b32 s4, 0
	s_branch .LBB36_2
	.section	.rodata,"a",@progbits
	.p2align	6, 0x0
	.amdhsa_kernel _Z35paged_attention_ll4mi_reduce_kernelIDF16_hLi64ELi64ELi256ELi15EEvPT0_PKfS3_PKT_PKiS8_iS3_
		.amdhsa_group_segment_fixed_size 1924
		.amdhsa_private_segment_fixed_size 0
		.amdhsa_kernarg_size 320
		.amdhsa_user_sgpr_count 14
		.amdhsa_user_sgpr_dispatch_ptr 0
		.amdhsa_user_sgpr_queue_ptr 0
		.amdhsa_user_sgpr_kernarg_segment_ptr 1
		.amdhsa_user_sgpr_dispatch_id 0
		.amdhsa_user_sgpr_private_segment_size 0
		.amdhsa_wavefront_size32 1
		.amdhsa_uses_dynamic_stack 0
		.amdhsa_enable_private_segment 0
		.amdhsa_system_sgpr_workgroup_id_x 1
		.amdhsa_system_sgpr_workgroup_id_y 1
		.amdhsa_system_sgpr_workgroup_id_z 0
		.amdhsa_system_sgpr_workgroup_info 0
		.amdhsa_system_vgpr_workitem_id 0
		.amdhsa_next_free_vgpr 77
		.amdhsa_next_free_sgpr 47
		.amdhsa_reserve_vcc 1
		.amdhsa_float_round_mode_32 0
		.amdhsa_float_round_mode_16_64 0
		.amdhsa_float_denorm_mode_32 3
		.amdhsa_float_denorm_mode_16_64 3
		.amdhsa_dx10_clamp 1
		.amdhsa_ieee_mode 1
		.amdhsa_fp16_overflow 0
		.amdhsa_workgroup_processor_mode 1
		.amdhsa_memory_ordered 1
		.amdhsa_forward_progress 0
		.amdhsa_shared_vgpr_count 0
		.amdhsa_exception_fp_ieee_invalid_op 0
		.amdhsa_exception_fp_denorm_src 0
		.amdhsa_exception_fp_ieee_div_zero 0
		.amdhsa_exception_fp_ieee_overflow 0
		.amdhsa_exception_fp_ieee_underflow 0
		.amdhsa_exception_fp_ieee_inexact 0
		.amdhsa_exception_int_div_zero 0
	.end_amdhsa_kernel
	.section	.text._Z35paged_attention_ll4mi_reduce_kernelIDF16_hLi64ELi64ELi256ELi15EEvPT0_PKfS3_PKT_PKiS8_iS3_,"axG",@progbits,_Z35paged_attention_ll4mi_reduce_kernelIDF16_hLi64ELi64ELi256ELi15EEvPT0_PKfS3_PKT_PKiS8_iS3_,comdat
.Lfunc_end36:
	.size	_Z35paged_attention_ll4mi_reduce_kernelIDF16_hLi64ELi64ELi256ELi15EEvPT0_PKfS3_PKT_PKiS8_iS3_, .Lfunc_end36-_Z35paged_attention_ll4mi_reduce_kernelIDF16_hLi64ELi64ELi256ELi15EEvPT0_PKfS3_PKT_PKiS8_iS3_
                                        ; -- End function
	.section	.AMDGPU.csdata,"",@progbits
; Kernel info:
; codeLenInByte = 7948
; NumSgprs: 49
; NumVgprs: 77
; ScratchSize: 0
; MemoryBound: 0
; FloatMode: 240
; IeeeMode: 1
; LDSByteSize: 1924 bytes/workgroup (compile time only)
; SGPRBlocks: 6
; VGPRBlocks: 9
; NumSGPRsForWavesPerEU: 49
; NumVGPRsForWavesPerEU: 77
; Occupancy: 16
; WaveLimiterHint : 0
; COMPUTE_PGM_RSRC2:SCRATCH_EN: 0
; COMPUTE_PGM_RSRC2:USER_SGPR: 14
; COMPUTE_PGM_RSRC2:TRAP_HANDLER: 0
; COMPUTE_PGM_RSRC2:TGID_X_EN: 1
; COMPUTE_PGM_RSRC2:TGID_Y_EN: 1
; COMPUTE_PGM_RSRC2:TGID_Z_EN: 0
; COMPUTE_PGM_RSRC2:TIDIG_COMP_CNT: 0
	.section	.text._Z35paged_attention_ll4mi_reduce_kernelIDF16_hLi64ELi64ELi256ELi16EEvPT0_PKfS3_PKT_PKiS8_iS3_,"axG",@progbits,_Z35paged_attention_ll4mi_reduce_kernelIDF16_hLi64ELi64ELi256ELi16EEvPT0_PKfS3_PKT_PKiS8_iS3_,comdat
	.protected	_Z35paged_attention_ll4mi_reduce_kernelIDF16_hLi64ELi64ELi256ELi16EEvPT0_PKfS3_PKT_PKiS8_iS3_ ; -- Begin function _Z35paged_attention_ll4mi_reduce_kernelIDF16_hLi64ELi64ELi256ELi16EEvPT0_PKfS3_PKT_PKiS8_iS3_
	.globl	_Z35paged_attention_ll4mi_reduce_kernelIDF16_hLi64ELi64ELi256ELi16EEvPT0_PKfS3_PKT_PKiS8_iS3_
	.p2align	8
	.type	_Z35paged_attention_ll4mi_reduce_kernelIDF16_hLi64ELi64ELi256ELi16EEvPT0_PKfS3_PKT_PKiS8_iS3_,@function
_Z35paged_attention_ll4mi_reduce_kernelIDF16_hLi64ELi64ELi256ELi16EEvPT0_PKfS3_PKT_PKiS8_iS3_: ; @_Z35paged_attention_ll4mi_reduce_kernelIDF16_hLi64ELi64ELi256ELi16EEvPT0_PKfS3_PKT_PKiS8_iS3_
; %bb.0:
	s_load_b64 s[12:13], s[0:1], 0x28
	s_mov_b32 s2, s15
	s_waitcnt lgkmcnt(0)
	s_cmp_lg_u64 s[12:13], 0
	s_cselect_b32 s15, -1, 0
	s_delay_alu instid0(SALU_CYCLE_1)
	s_and_b32 vcc_lo, exec_lo, s15
	s_cbranch_vccz .LBB37_20
; %bb.1:
	s_add_i32 s4, s2, 1
	s_mov_b32 s5, 0
	s_delay_alu instid0(SALU_CYCLE_1) | instskip(SKIP_4) | instid1(SALU_CYCLE_1)
	s_lshl_b64 s[6:7], s[4:5], 2
	s_mov_b32 s3, s5
	s_add_u32 s6, s12, s6
	s_addc_u32 s7, s13, s7
	s_lshl_b64 s[8:9], s[2:3], 2
	s_add_u32 s8, s12, s8
	s_addc_u32 s9, s13, s9
	s_clause 0x1
	s_load_b32 s4, s[6:7], 0x0
	s_load_b32 s6, s[8:9], 0x0
	s_waitcnt lgkmcnt(0)
	s_sub_i32 s4, s4, s6
	s_delay_alu instid0(SALU_CYCLE_1)
	s_cmp_eq_u32 s4, 1
	s_cselect_b32 s4, -1, 0
	s_cbranch_execnz .LBB37_3
.LBB37_2:
	s_mov_b32 s3, 0
	s_mov_b32 s4, -1
.LBB37_3:
	s_delay_alu instid0(SALU_CYCLE_1)
	s_and_not1_b32 vcc_lo, exec_lo, s4
	s_cbranch_vccz .LBB37_5
; %bb.4:
	s_endpgm
.LBB37_5:
	s_clause 0x1
	s_load_b128 s[4:7], s[0:1], 0x18
	s_load_b32 s9, s[0:1], 0x30
	s_lshl_b64 s[16:17], s[2:3], 2
	s_waitcnt lgkmcnt(0)
	s_add_u32 s6, s6, s16
	s_addc_u32 s7, s7, s17
	s_load_b32 s23, s[6:7], 0x0
	s_load_b32 s33, s[0:1], 0x40
	s_mul_i32 s7, s2, s9
	s_waitcnt lgkmcnt(0)
	s_add_i32 s22, s23, 0xff
	s_delay_alu instid0(SALU_CYCLE_1) | instskip(NEXT) | instid1(SALU_CYCLE_1)
	s_ashr_i32 s6, s22, 31
	s_lshr_b32 s6, s6, 24
	s_delay_alu instid0(SALU_CYCLE_1) | instskip(SKIP_4) | instid1(SALU_CYCLE_1)
	s_add_i32 s8, s22, s6
	s_mul_i32 s6, s14, s9
	s_mov_b32 s9, exec_lo
	v_cmpx_lt_u32_e32 31, v0
	s_xor_b32 s9, exec_lo, s9
	s_or_saveexec_b32 s24, s9
	v_mov_b32_e32 v1, s6
	s_ashr_i32 s40, s8, 8
	s_mul_i32 s18, s7, s33
	s_xor_b32 exec_lo, exec_lo, s24
	s_cbranch_execz .LBB37_9
; %bb.6:
	v_or_b32_e32 v2, 32, v0
	v_cmp_gt_i32_e32 vcc_lo, s40, v0
	s_add_i32 s20, s40, -1
	v_or_b32_e32 v4, 64, v0
	v_or_b32_e32 v6, 0x60, v0
	s_load_b128 s[8:11], s[0:1], 0x8
	v_cndmask_b32_e32 v1, s20, v0, vcc_lo
	v_cmp_gt_i32_e32 vcc_lo, s40, v2
	s_mov_b32 s19, 0
	s_delay_alu instid0(SALU_CYCLE_1)
	s_mov_b32 s7, s19
	v_cndmask_b32_e32 v3, s20, v2, vcc_lo
	v_cmp_gt_i32_e32 vcc_lo, s40, v4
	v_or_b32_e32 v2, 0x80, v0
	v_cndmask_b32_e32 v5, s20, v4, vcc_lo
	v_cmp_gt_i32_e32 vcc_lo, s40, v6
	v_or_b32_e32 v4, 0xa0, v0
	;; [unrolled: 3-line block ×3, first 2 shown]
	s_delay_alu instid0(VALU_DEP_3) | instskip(SKIP_3) | instid1(VALU_DEP_4)
	v_ashrrev_i32_e32 v8, 31, v7
	v_cndmask_b32_e32 v9, s20, v2, vcc_lo
	v_cmp_gt_i32_e32 vcc_lo, s40, v4
	v_or_b32_e32 v2, 0xe0, v0
	v_lshlrev_b64 v[7:8], 2, v[7:8]
	s_delay_alu instid0(VALU_DEP_4) | instskip(SKIP_3) | instid1(VALU_DEP_4)
	v_ashrrev_i32_e32 v10, 31, v9
	v_cndmask_b32_e32 v11, s20, v4, vcc_lo
	v_cmp_gt_i32_e32 vcc_lo, s40, v6
	v_or_b32_e32 v4, 0x100, v0
	v_lshlrev_b64 v[9:10], 2, v[9:10]
	s_delay_alu instid0(VALU_DEP_4) | instskip(SKIP_3) | instid1(VALU_DEP_4)
	;; [unrolled: 6-line block ×3, first 2 shown]
	v_ashrrev_i32_e32 v14, 31, v13
	v_cndmask_b32_e32 v15, s20, v2, vcc_lo
	v_or_b32_e32 v2, 0x120, v0
	v_cmp_gt_i32_e32 vcc_lo, s40, v4
	v_lshlrev_b64 v[13:14], 2, v[13:14]
	s_delay_alu instid0(VALU_DEP_4) | instskip(SKIP_3) | instid1(VALU_DEP_4)
	v_ashrrev_i32_e32 v16, 31, v15
	v_cndmask_b32_e32 v17, s20, v4, vcc_lo
	v_cmp_gt_i32_e32 vcc_lo, s40, v2
	v_or_b32_e32 v4, 0x160, v0
	v_lshlrev_b64 v[45:46], 2, v[15:16]
	s_delay_alu instid0(VALU_DEP_4) | instskip(SKIP_3) | instid1(VALU_DEP_4)
	v_ashrrev_i32_e32 v18, 31, v17
	v_cndmask_b32_e32 v19, s20, v2, vcc_lo
	v_cmp_gt_i32_e32 vcc_lo, s40, v6
	v_or_b32_e32 v2, 0x180, v0
	v_lshlrev_b64 v[17:18], 2, v[17:18]
	s_delay_alu instid0(VALU_DEP_4) | instskip(SKIP_3) | instid1(VALU_DEP_3)
	v_ashrrev_i32_e32 v20, 31, v19
	v_cndmask_b32_e32 v21, s20, v6, vcc_lo
	v_cmp_gt_i32_e32 vcc_lo, s40, v4
	v_or_b32_e32 v6, 0x1c0, v0
	v_ashrrev_i32_e32 v22, 31, v21
	v_cndmask_b32_e32 v23, s20, v4, vcc_lo
	v_or_b32_e32 v4, 0x1a0, v0
	v_cmp_gt_i32_e32 vcc_lo, s40, v2
	s_delay_alu instid0(VALU_DEP_3) | instskip(SKIP_1) | instid1(VALU_DEP_4)
	v_ashrrev_i32_e32 v24, 31, v23
	v_cndmask_b32_e32 v25, s20, v2, vcc_lo
	v_cmp_gt_i32_e32 vcc_lo, s40, v4
	v_or_b32_e32 v2, 0x1e0, v0
	s_delay_alu instid0(VALU_DEP_4) | instskip(NEXT) | instid1(VALU_DEP_4)
	v_lshlrev_b64 v[23:24], 2, v[23:24]
	v_ashrrev_i32_e32 v26, 31, v25
	v_cndmask_b32_e32 v27, s20, v4, vcc_lo
	v_cmp_gt_i32_e32 vcc_lo, s40, v6
	v_ashrrev_i32_e32 v4, 31, v3
	s_delay_alu instid0(VALU_DEP_4) | instskip(NEXT) | instid1(VALU_DEP_4)
	v_lshlrev_b64 v[25:26], 2, v[25:26]
	v_ashrrev_i32_e32 v28, 31, v27
	v_cndmask_b32_e32 v29, s20, v6, vcc_lo
	v_cmp_gt_i32_e32 vcc_lo, s40, v2
	v_ashrrev_i32_e32 v6, 31, v5
	v_lshlrev_b64 v[35:36], 2, v[3:4]
	v_lshlrev_b64 v[27:28], 2, v[27:28]
	v_ashrrev_i32_e32 v30, 31, v29
	v_cndmask_b32_e32 v31, s20, v2, vcc_lo
	v_ashrrev_i32_e32 v2, 31, v1
	s_lshl_b64 s[20:21], s[18:19], 2
	v_lshlrev_b64 v[5:6], 2, v[5:6]
	s_waitcnt lgkmcnt(0)
	s_add_u32 s19, s10, s20
	s_addc_u32 s25, s11, s21
	v_lshlrev_b64 v[33:34], 2, v[1:2]
	s_lshl_b64 s[10:11], s[6:7], 2
	v_ashrrev_i32_e32 v32, 31, v31
	s_add_u32 s7, s19, s10
	s_addc_u32 s19, s25, s11
	v_lshlrev_b64 v[29:30], 2, v[29:30]
	v_add_co_u32 v1, vcc_lo, s7, v33
	v_add_co_ci_u32_e32 v2, vcc_lo, s19, v34, vcc_lo
	v_add_co_u32 v3, vcc_lo, s7, v35
	v_add_co_ci_u32_e32 v4, vcc_lo, s19, v36, vcc_lo
	;; [unrolled: 2-line block ×8, first 2 shown]
	s_clause 0x7
	global_load_b32 v49, v[1:2], off
	global_load_b32 v50, v[3:4], off
	;; [unrolled: 1-line block ×8, first 2 shown]
	v_lshlrev_b64 v[37:38], 2, v[19:20]
	v_add_co_u32 v1, vcc_lo, s7, v17
	v_lshlrev_b64 v[39:40], 2, v[21:22]
	v_add_co_ci_u32_e32 v2, vcc_lo, s19, v18, vcc_lo
	s_delay_alu instid0(VALU_DEP_4) | instskip(SKIP_1) | instid1(VALU_DEP_4)
	v_add_co_u32 v3, vcc_lo, s7, v37
	v_add_co_ci_u32_e32 v4, vcc_lo, s19, v38, vcc_lo
	v_add_co_u32 v15, vcc_lo, s7, v39
	v_add_co_ci_u32_e32 v16, vcc_lo, s19, v40, vcc_lo
	;; [unrolled: 2-line block ×3, first 2 shown]
	s_clause 0x3
	global_load_b32 v47, v[1:2], off
	global_load_b32 v48, v[3:4], off
	;; [unrolled: 1-line block ×4, first 2 shown]
	v_add_co_u32 v1, vcc_lo, s7, v25
	v_add_co_ci_u32_e32 v2, vcc_lo, s19, v26, vcc_lo
	v_add_co_u32 v3, vcc_lo, s7, v27
	v_lshlrev_b64 v[31:32], 2, v[31:32]
	v_add_co_ci_u32_e32 v4, vcc_lo, s19, v28, vcc_lo
	v_add_co_u32 v15, vcc_lo, s7, v29
	v_add_co_ci_u32_e32 v16, vcc_lo, s19, v30, vcc_lo
	s_delay_alu instid0(VALU_DEP_4)
	v_add_co_u32 v19, vcc_lo, s7, v31
	v_add_co_ci_u32_e32 v20, vcc_lo, s19, v32, vcc_lo
	s_clause 0x3
	global_load_b32 v55, v[1:2], off
	global_load_b32 v56, v[3:4], off
	;; [unrolled: 1-line block ×4, first 2 shown]
	v_mbcnt_lo_u32_b32 v19, -1, 0
	s_add_u32 s7, s8, s20
	s_addc_u32 s8, s9, s21
	s_add_u32 s7, s7, s10
	s_addc_u32 s8, s8, s11
	v_xor_b32_e32 v4, 2, v19
	s_waitcnt vmcnt(14)
	v_dual_max_f32 v2, v49, v49 :: v_dual_max_f32 v1, v50, v50
	s_delay_alu instid0(VALU_DEP_1) | instskip(SKIP_1) | instid1(VALU_DEP_1)
	v_max_f32_e32 v1, v2, v1
	v_xor_b32_e32 v2, 16, v19
	v_cmp_gt_i32_e32 vcc_lo, 32, v2
	v_cndmask_b32_e32 v2, v19, v2, vcc_lo
	s_waitcnt vmcnt(12)
	v_max3_f32 v1, v1, v51, v52
	s_waitcnt vmcnt(10)
	s_delay_alu instid0(VALU_DEP_1) | instskip(SKIP_1) | instid1(VALU_DEP_1)
	v_max3_f32 v1, v1, v41, v42
	s_waitcnt vmcnt(8)
	v_max3_f32 v1, v1, v43, v44
	s_waitcnt vmcnt(6)
	s_delay_alu instid0(VALU_DEP_1) | instskip(SKIP_1) | instid1(VALU_DEP_1)
	v_max3_f32 v1, v1, v47, v48
	s_waitcnt vmcnt(4)
	v_max3_f32 v1, v1, v53, v54
	s_waitcnt vmcnt(2)
	s_delay_alu instid0(VALU_DEP_1) | instskip(SKIP_3) | instid1(VALU_DEP_3)
	v_max3_f32 v3, v1, v55, v56
	v_lshlrev_b32_e32 v1, 2, v2
	v_xor_b32_e32 v2, 8, v19
	s_waitcnt vmcnt(0)
	v_max3_f32 v15, v3, v57, v58
	v_xor_b32_e32 v3, 4, v19
	s_delay_alu instid0(VALU_DEP_3)
	v_cmp_gt_i32_e32 vcc_lo, 32, v2
	ds_bpermute_b32 v16, v1, v15
	v_cndmask_b32_e32 v2, v19, v2, vcc_lo
	v_cmp_gt_i32_e32 vcc_lo, 32, v3
	v_cndmask_b32_e32 v3, v19, v3, vcc_lo
	v_cmp_gt_i32_e32 vcc_lo, 32, v4
	s_delay_alu instid0(VALU_DEP_2) | instskip(SKIP_1) | instid1(VALU_DEP_2)
	v_dual_cndmask_b32 v20, v19, v4 :: v_dual_lshlrev_b32 v3, 2, v3
	v_lshlrev_b32_e32 v4, 2, v2
	v_lshlrev_b32_e32 v2, 2, v20
	s_waitcnt lgkmcnt(0)
	v_max_f32_e32 v16, v16, v16
	s_delay_alu instid0(VALU_DEP_1)
	v_max_f32_e32 v59, v15, v16
	v_add_co_u32 v15, vcc_lo, s7, v33
	v_add_co_ci_u32_e32 v16, vcc_lo, s8, v34, vcc_lo
	ds_bpermute_b32 v33, v4, v59
	v_add_co_u32 v21, vcc_lo, s7, v35
	v_add_co_ci_u32_e32 v22, vcc_lo, s8, v36, vcc_lo
	s_clause 0x1
	global_load_b32 v20, v[15:16], off
	global_load_b32 v21, v[21:22], off
	v_add_co_u32 v5, vcc_lo, s7, v5
	v_add_co_ci_u32_e32 v6, vcc_lo, s8, v6, vcc_lo
	v_add_co_u32 v7, vcc_lo, s7, v7
	v_add_co_ci_u32_e32 v8, vcc_lo, s8, v8, vcc_lo
	;; [unrolled: 2-line block ×3, first 2 shown]
	s_waitcnt lgkmcnt(0)
	v_max_f32_e32 v16, v33, v33
	s_clause 0x1
	global_load_b32 v22, v[5:6], off
	global_load_b32 v15, v[7:8], off
	v_add_co_u32 v5, vcc_lo, s7, v11
	v_max_f32_e32 v33, v59, v16
	v_add_co_ci_u32_e32 v6, vcc_lo, s8, v12, vcc_lo
	v_add_co_u32 v7, vcc_lo, s7, v13
	ds_bpermute_b32 v34, v3, v33
	v_add_co_ci_u32_e32 v8, vcc_lo, s8, v14, vcc_lo
	s_clause 0x1
	global_load_b32 v16, v[9:10], off
	global_load_b32 v5, v[5:6], off
	v_add_co_u32 v9, vcc_lo, s7, v45
	v_add_co_ci_u32_e32 v10, vcc_lo, s8, v46, vcc_lo
	v_add_co_u32 v11, vcc_lo, s7, v17
	v_add_co_ci_u32_e32 v12, vcc_lo, s8, v18, vcc_lo
	v_add_co_u32 v13, vcc_lo, s7, v37
	s_clause 0x2
	global_load_b32 v6, v[7:8], off
	global_load_b32 v7, v[9:10], off
	;; [unrolled: 1-line block ×3, first 2 shown]
	v_add_co_ci_u32_e32 v14, vcc_lo, s8, v38, vcc_lo
	s_waitcnt lgkmcnt(0)
	v_max_f32_e32 v10, v34, v34
	v_add_co_u32 v17, vcc_lo, s7, v39
	v_add_co_ci_u32_e32 v18, vcc_lo, s8, v40, vcc_lo
	v_add_co_u32 v11, vcc_lo, s7, v23
	s_delay_alu instid0(VALU_DEP_4)
	v_max_f32_e32 v23, v33, v10
	v_add_co_ci_u32_e32 v12, vcc_lo, s8, v24, vcc_lo
	global_load_b32 v9, v[13:14], off
	v_add_co_u32 v13, vcc_lo, s7, v25
	ds_bpermute_b32 v24, v2, v23
	v_add_co_ci_u32_e32 v14, vcc_lo, s8, v26, vcc_lo
	s_clause 0x2
	global_load_b32 v10, v[17:18], off
	global_load_b32 v11, v[11:12], off
	global_load_b32 v12, v[13:14], off
	v_add_co_u32 v13, vcc_lo, s7, v27
	v_add_co_ci_u32_e32 v14, vcc_lo, s8, v28, vcc_lo
	v_xor_b32_e32 v18, 1, v19
	global_load_b32 v17, v[13:14], off
	v_add_co_u32 v13, vcc_lo, s7, v29
	v_add_co_ci_u32_e32 v14, vcc_lo, s8, v30, vcc_lo
	v_cmp_gt_i32_e32 vcc_lo, 32, v18
	s_waitcnt lgkmcnt(0)
	v_dual_max_f32 v24, v24, v24 :: v_dual_cndmask_b32 v19, v19, v18
	global_load_b32 v18, v[13:14], off
	v_lshlrev_b32_e32 v13, 2, v19
	v_max_f32_e32 v19, v23, v24
	v_add_co_u32 v23, vcc_lo, s7, v31
	v_add_co_ci_u32_e32 v24, vcc_lo, s8, v32, vcc_lo
	ds_bpermute_b32 v25, v13, v19
	s_mov_b32 s7, exec_lo
	global_load_b32 v14, v[23:24], off
	s_waitcnt lgkmcnt(0)
	v_max_f32_e32 v23, v25, v25
	s_delay_alu instid0(VALU_DEP_1) | instskip(SKIP_1) | instid1(VALU_DEP_2)
	v_max_f32_e32 v23, v19, v23
	v_sub_nc_u32_e32 v19, s40, v0
	v_sub_f32_e32 v29, v42, v23
	s_delay_alu instid0(VALU_DEP_1) | instskip(NEXT) | instid1(VALU_DEP_1)
	v_dual_sub_f32 v31, v44, v23 :: v_dual_mul_f32 v44, 0x3fb8aa3b, v29
	v_rndne_f32_e32 v66, v44
	v_fma_f32 v65, 0x3fb8aa3b, v29, -v44
	s_delay_alu instid0(VALU_DEP_2)
	v_sub_f32_e32 v44, v44, v66
	v_sub_f32_e32 v33, v48, v23
	;; [unrolled: 1-line block ×6, first 2 shown]
	v_mul_f32_e32 v48, 0x3fb8aa3b, v33
	v_sub_f32_e32 v30, v43, v23
	v_sub_f32_e32 v32, v47, v23
	;; [unrolled: 1-line block ×4, first 2 shown]
	v_rndne_f32_e32 v74, v48
	v_sub_f32_e32 v25, v50, v23
	v_mul_f32_e32 v50, 0x3fb8aa3b, v35
	v_sub_f32_e32 v38, v57, v23
	v_cmp_ngt_f32_e32 vcc_lo, 0xc2ce8ed0, v24
	v_cvt_i32_f32_e32 v66, v66
	s_delay_alu instid0(VALU_DEP_4) | instskip(SKIP_1) | instid1(VALU_DEP_2)
	v_rndne_f32_e32 v78, v50
	v_fma_f32 v77, 0x3fb8aa3b, v35, -v50
	v_sub_f32_e32 v50, v50, v78
	v_mul_f32_e32 v46, 0x3fb8aa3b, v31
	v_cvt_i32_f32_e32 v78, v78
	s_delay_alu instid0(VALU_DEP_2) | instskip(SKIP_2) | instid1(VALU_DEP_3)
	v_rndne_f32_e32 v70, v46
	v_sub_f32_e32 v27, v52, v23
	v_fma_f32 v69, 0x3fb8aa3b, v31, -v46
	v_sub_f32_e32 v46, v46, v70
	s_delay_alu instid0(VALU_DEP_3) | instskip(NEXT) | instid1(VALU_DEP_3)
	v_mul_f32_e32 v42, 0x3fb8aa3b, v27
	v_fmac_f32_e32 v69, 0x32a5705f, v31
	v_mul_f32_e32 v39, 0x3fb8aa3b, v24
	v_cvt_i32_f32_e32 v70, v70
	s_delay_alu instid0(VALU_DEP_4) | instskip(NEXT) | instid1(VALU_DEP_4)
	v_fma_f32 v61, 0x3fb8aa3b, v27, -v42
	v_add_f32_e32 v46, v46, v69
	v_rndne_f32_e32 v62, v42
	v_fma_f32 v55, 0x3fb8aa3b, v24, -v39
	s_delay_alu instid0(VALU_DEP_4) | instskip(NEXT) | instid1(VALU_DEP_4)
	v_fmac_f32_e32 v61, 0x32a5705f, v27
	v_exp_f32_e32 v46, v46
	s_delay_alu instid0(VALU_DEP_3) | instskip(SKIP_2) | instid1(VALU_DEP_3)
	v_dual_sub_f32 v42, v42, v62 :: v_dual_sub_f32 v37, v56, v23
	v_rndne_f32_e32 v56, v39
	v_cvt_i32_f32_e32 v62, v62
	v_add_f32_e32 v42, v42, v61
	s_delay_alu instid0(VALU_DEP_4)
	v_mul_f32_e32 v52, 0x3fb8aa3b, v37
	s_waitcnt_depctr 0xfff
	v_ldexp_f32 v46, v46, v70
	v_fmac_f32_e32 v55, 0x32a5705f, v24
	v_rndne_f32_e32 v82, v52
	v_fma_f32 v81, 0x3fb8aa3b, v37, -v52
	v_exp_f32_e32 v42, v42
	s_delay_alu instid0(VALU_DEP_2) | instskip(SKIP_1) | instid1(VALU_DEP_3)
	v_dual_sub_f32 v52, v52, v82 :: v_dual_fmac_f32 v65, 0x32a5705f, v29
	v_sub_f32_e32 v23, v58, v23
	v_fmac_f32_e32 v81, 0x32a5705f, v37
	v_mul_f32_e32 v45, 0x3fb8aa3b, v30
	v_cvt_i32_f32_e32 v82, v82
	v_add_f32_e32 v44, v44, v65
	v_mul_f32_e32 v54, 0x3fb8aa3b, v23
	v_add_f32_e32 v52, v52, v81
	s_delay_alu instid0(TRANS32_DEP_1)
	v_ldexp_f32 v42, v42, v62
	v_fma_f32 v67, 0x3fb8aa3b, v30, -v45
	v_rndne_f32_e32 v68, v45
	v_rndne_f32_e32 v86, v54
	v_fma_f32 v85, 0x3fb8aa3b, v23, -v54
	v_exp_f32_e32 v52, v52
	v_fmac_f32_e32 v67, 0x32a5705f, v30
	v_exp_f32_e32 v44, v44
	v_sub_f32_e32 v54, v54, v86
	v_fma_f32 v73, 0x3fb8aa3b, v33, -v48
	v_sub_f32_e32 v48, v48, v74
	v_mul_f32_e32 v40, 0x3fb8aa3b, v25
	v_cvt_i32_f32_e32 v74, v74
	v_fmac_f32_e32 v85, 0x32a5705f, v23
	v_fmac_f32_e32 v73, 0x32a5705f, v33
	v_mul_f32_e32 v41, 0x3fb8aa3b, v26
	v_fma_f32 v57, 0x3fb8aa3b, v25, -v40
	v_rndne_f32_e32 v58, v40
	v_ldexp_f32 v52, v52, v82
	v_add_f32_e32 v48, v48, v73
	v_fma_f32 v59, 0x3fb8aa3b, v26, -v41
	v_rndne_f32_e32 v60, v41
	v_sub_f32_e32 v40, v40, v58
	v_cvt_i32_f32_e32 v58, v58
	v_exp_f32_e32 v48, v48
	v_fmac_f32_e32 v59, 0x32a5705f, v26
	v_dual_mul_f32 v47, 0x3fb8aa3b, v32 :: v_dual_add_f32 v54, v54, v85
	v_ldexp_f32 v44, v44, v66
	s_delay_alu instid0(VALU_DEP_2) | instskip(SKIP_1) | instid1(VALU_DEP_4)
	v_fma_f32 v71, 0x3fb8aa3b, v32, -v47
	v_rndne_f32_e32 v72, v47
	v_exp_f32_e32 v54, v54
	s_delay_alu instid0(TRANS32_DEP_2) | instskip(SKIP_1) | instid1(VALU_DEP_1)
	v_ldexp_f32 v48, v48, v74
	v_fmac_f32_e32 v57, 0x32a5705f, v25
	v_dual_fmac_f32 v71, 0x32a5705f, v32 :: v_dual_add_f32 v40, v40, v57
	v_fmac_f32_e32 v77, 0x32a5705f, v35
	v_mul_f32_e32 v43, 0x3fb8aa3b, v28
	s_delay_alu instid0(VALU_DEP_3) | instskip(NEXT) | instid1(VALU_DEP_2)
	v_exp_f32_e32 v40, v40
	v_add_f32_e32 v50, v50, v77
	s_delay_alu instid0(VALU_DEP_2) | instskip(SKIP_1) | instid1(VALU_DEP_3)
	v_fma_f32 v63, 0x3fb8aa3b, v28, -v43
	v_rndne_f32_e32 v64, v43
	v_exp_f32_e32 v50, v50
	s_delay_alu instid0(VALU_DEP_2)
	v_fmac_f32_e32 v63, 0x32a5705f, v28
	s_waitcnt_depctr 0xfff
	v_ldexp_f32 v40, v40, v58
	v_ldexp_f32 v50, v50, v78
	v_sub_f32_e32 v39, v39, v56
	v_cvt_i32_f32_e32 v56, v56
	s_delay_alu instid0(VALU_DEP_2) | instskip(NEXT) | instid1(VALU_DEP_1)
	v_add_f32_e32 v39, v39, v55
	v_exp_f32_e32 v39, v39
	s_waitcnt_depctr 0xfff
	v_ldexp_f32 v39, v39, v56
	s_delay_alu instid0(VALU_DEP_1) | instskip(SKIP_4) | instid1(VALU_DEP_4)
	v_cndmask_b32_e32 v39, 0, v39, vcc_lo
	v_sub_f32_e32 v41, v41, v60
	v_cvt_i32_f32_e32 v60, v60
	v_cmp_ngt_f32_e32 vcc_lo, 0xc2ce8ed0, v25
	v_mul_f32_e32 v49, 0x3fb8aa3b, v34
	v_dual_add_f32 v41, v41, v59 :: v_dual_cndmask_b32 v40, 0, v40
	v_cmp_ngt_f32_e32 vcc_lo, 0xc2ce8ed0, v26
	s_delay_alu instid0(VALU_DEP_3) | instskip(NEXT) | instid1(VALU_DEP_3)
	v_fma_f32 v75, 0x3fb8aa3b, v34, -v49
	v_exp_f32_e32 v41, v41
	v_rndne_f32_e32 v76, v49
	s_delay_alu instid0(VALU_DEP_2) | instskip(SKIP_2) | instid1(VALU_DEP_1)
	v_fmac_f32_e32 v75, 0x32a5705f, v34
	s_waitcnt_depctr 0xfff
	v_ldexp_f32 v41, v41, v60
	v_cndmask_b32_e32 v41, 0, v41, vcc_lo
	v_sub_f32_e32 v43, v43, v64
	v_cvt_i32_f32_e32 v64, v64
	v_cmp_ngt_f32_e32 vcc_lo, 0xc2ce8ed0, v27
	v_mul_f32_e32 v51, 0x3fb8aa3b, v36
	s_delay_alu instid0(VALU_DEP_4) | instskip(SKIP_1) | instid1(VALU_DEP_3)
	v_dual_add_f32 v43, v43, v63 :: v_dual_cndmask_b32 v42, 0, v42
	v_cmp_ngt_f32_e32 vcc_lo, 0xc2ce8ed0, v28
	v_fma_f32 v79, 0x3fb8aa3b, v36, -v51
	s_delay_alu instid0(VALU_DEP_3) | instskip(SKIP_1) | instid1(VALU_DEP_2)
	v_exp_f32_e32 v43, v43
	v_rndne_f32_e32 v80, v51
	v_fmac_f32_e32 v79, 0x32a5705f, v36
	s_waitcnt_depctr 0xfff
	v_ldexp_f32 v43, v43, v64
	s_delay_alu instid0(VALU_DEP_1) | instskip(SKIP_4) | instid1(VALU_DEP_4)
	v_cndmask_b32_e32 v43, 0, v43, vcc_lo
	v_sub_f32_e32 v45, v45, v68
	v_cvt_i32_f32_e32 v68, v68
	v_cmp_ngt_f32_e32 vcc_lo, 0xc2ce8ed0, v29
	v_mul_f32_e32 v53, 0x3fb8aa3b, v38
	v_dual_add_f32 v45, v45, v67 :: v_dual_cndmask_b32 v44, 0, v44
	v_cmp_ngt_f32_e32 vcc_lo, 0xc2ce8ed0, v30
	s_delay_alu instid0(VALU_DEP_3) | instskip(NEXT) | instid1(VALU_DEP_3)
	v_rndne_f32_e32 v84, v53
	v_exp_f32_e32 v45, v45
	v_fma_f32 v83, 0x3fb8aa3b, v38, -v53
	s_waitcnt_depctr 0xfff
	v_ldexp_f32 v45, v45, v68
	s_delay_alu instid0(VALU_DEP_1) | instskip(SKIP_3) | instid1(VALU_DEP_3)
	v_cndmask_b32_e32 v45, 0, v45, vcc_lo
	v_sub_f32_e32 v47, v47, v72
	v_cmp_ngt_f32_e32 vcc_lo, 0xc2ce8ed0, v31
	v_cvt_i32_f32_e32 v72, v72
	v_dual_add_f32 v47, v47, v71 :: v_dual_cndmask_b32 v46, 0, v46
	v_sub_f32_e32 v49, v49, v76
	v_cmp_ngt_f32_e32 vcc_lo, 0xc2ce8ed0, v32
	v_cvt_i32_f32_e32 v76, v76
	s_delay_alu instid0(VALU_DEP_4) | instskip(NEXT) | instid1(VALU_DEP_3)
	v_exp_f32_e32 v47, v47
	v_add_f32_e32 v49, v49, v75
	s_delay_alu instid0(VALU_DEP_1) | instskip(SKIP_2) | instid1(VALU_DEP_1)
	v_exp_f32_e32 v49, v49
	s_waitcnt_depctr 0xfff
	v_ldexp_f32 v47, v47, v72
	v_cndmask_b32_e32 v47, 0, v47, vcc_lo
	v_cmp_ngt_f32_e32 vcc_lo, 0xc2ce8ed0, v33
	v_ldexp_f32 v49, v49, v76
	v_cndmask_b32_e32 v48, 0, v48, vcc_lo
	v_cmp_ngt_f32_e32 vcc_lo, 0xc2ce8ed0, v34
	s_delay_alu instid0(VALU_DEP_3) | instskip(SKIP_3) | instid1(VALU_DEP_3)
	v_cndmask_b32_e32 v49, 0, v49, vcc_lo
	v_sub_f32_e32 v51, v51, v80
	v_cvt_i32_f32_e32 v80, v80
	v_cmp_ngt_f32_e32 vcc_lo, 0xc2ce8ed0, v35
	v_dual_add_f32 v51, v51, v79 :: v_dual_cndmask_b32 v50, 0, v50
	v_cmp_ngt_f32_e32 vcc_lo, 0xc2ce8ed0, v36
	s_delay_alu instid0(VALU_DEP_2) | instskip(SKIP_2) | instid1(VALU_DEP_1)
	v_exp_f32_e32 v51, v51
	s_waitcnt_depctr 0xfff
	v_ldexp_f32 v51, v51, v80
	v_cndmask_b32_e32 v51, 0, v51, vcc_lo
	v_cmp_ngt_f32_e32 vcc_lo, 0xc2ce8ed0, v37
	v_cndmask_b32_e32 v52, 0, v52, vcc_lo
	v_cmp_nlt_f32_e32 vcc_lo, 0x42b17218, v24
	v_cndmask_b32_e32 v24, 0x7f800000, v39, vcc_lo
	v_cmp_nlt_f32_e32 vcc_lo, 0x42b17218, v25
	;; [unrolled: 2-line block ×6, first 2 shown]
	v_cndmask_b32_e32 v29, 0x7f800000, v44, vcc_lo
	v_cmp_lt_i32_e32 vcc_lo, 0, v19
	v_cndmask_b32_e32 v24, 0, v24, vcc_lo
	v_cmp_lt_i32_e32 vcc_lo, 32, v19
	s_waitcnt vmcnt(15)
	s_delay_alu instid0(VALU_DEP_2) | instskip(SKIP_2) | instid1(VALU_DEP_2)
	v_dual_mul_f32 v20, v20, v24 :: v_dual_cndmask_b32 v25, 0, v25
	v_cmp_nlt_f32_e32 vcc_lo, 0x42b17218, v30
	s_waitcnt vmcnt(14)
	v_mul_f32_e32 v21, v21, v25
	v_cndmask_b32_e32 v30, 0x7f800000, v45, vcc_lo
	v_cmp_lt_i32_e32 vcc_lo, 64, v19
	v_cndmask_b32_e32 v26, 0, v26, vcc_lo
	v_cmp_nlt_f32_e32 vcc_lo, 0x42b17218, v31
	s_waitcnt vmcnt(13)
	s_delay_alu instid0(VALU_DEP_2)
	v_mul_f32_e32 v22, v22, v26
	v_cndmask_b32_e32 v24, 0x7f800000, v46, vcc_lo
	v_cmp_lt_i32_e32 vcc_lo, 0x60, v19
	v_dual_add_f32 v26, v20, v21 :: v_dual_cndmask_b32 v25, 0, v27
	v_cmp_nlt_f32_e32 vcc_lo, 0x42b17218, v32
	s_waitcnt vmcnt(12)
	s_delay_alu instid0(VALU_DEP_2)
	v_mul_f32_e32 v15, v15, v25
	v_cndmask_b32_e32 v27, 0x7f800000, v47, vcc_lo
	v_cmp_lt_i32_e32 vcc_lo, 0x80, v19
	v_dual_add_f32 v25, v26, v22 :: v_dual_cndmask_b32 v28, 0, v28
	v_cmp_nlt_f32_e32 vcc_lo, 0x42b17218, v33
	s_waitcnt vmcnt(11)
	s_delay_alu instid0(VALU_DEP_2) | instskip(SKIP_2) | instid1(VALU_DEP_3)
	v_dual_add_f32 v25, v25, v15 :: v_dual_mul_f32 v16, v16, v28
	v_cndmask_b32_e32 v26, 0x7f800000, v48, vcc_lo
	v_cmp_lt_i32_e32 vcc_lo, 0xa0, v19
	v_add_f32_e32 v25, v25, v16
	v_cndmask_b32_e32 v29, 0, v29, vcc_lo
	v_cmp_nlt_f32_e32 vcc_lo, 0x42b17218, v34
	s_waitcnt vmcnt(10)
	s_delay_alu instid0(VALU_DEP_2) | instskip(SKIP_2) | instid1(VALU_DEP_3)
	v_mul_f32_e32 v5, v5, v29
	v_cndmask_b32_e32 v28, 0x7f800000, v49, vcc_lo
	v_cmp_lt_i32_e32 vcc_lo, 0xc0, v19
	v_dual_add_f32 v25, v25, v5 :: v_dual_cndmask_b32 v30, 0, v30
	v_cmp_nlt_f32_e32 vcc_lo, 0x42b17218, v35
	s_waitcnt vmcnt(9)
	s_delay_alu instid0(VALU_DEP_2)
	v_mul_f32_e32 v6, v6, v30
	v_cndmask_b32_e32 v29, 0x7f800000, v50, vcc_lo
	v_cmp_lt_i32_e32 vcc_lo, 0xe0, v19
	v_cndmask_b32_e32 v24, 0, v24, vcc_lo
	v_cmp_nlt_f32_e32 vcc_lo, 0x42b17218, v36
	v_sub_f32_e32 v53, v53, v84
	v_cvt_i32_f32_e32 v84, v84
	s_waitcnt vmcnt(8)
	v_dual_mul_f32 v7, v7, v24 :: v_dual_cndmask_b32 v30, 0x7f800000, v51
	v_cmp_lt_i32_e32 vcc_lo, 0x100, v19
	v_dual_add_f32 v24, v25, v6 :: v_dual_cndmask_b32 v27, 0, v27
	v_cmp_lt_i32_e32 vcc_lo, 0x120, v19
	s_delay_alu instid0(VALU_DEP_2) | instskip(SKIP_1) | instid1(VALU_DEP_3)
	v_add_f32_e32 v24, v24, v7
	s_waitcnt vmcnt(7)
	v_dual_mul_f32 v8, v8, v27 :: v_dual_cndmask_b32 v25, 0, v26
	v_cmp_lt_i32_e32 vcc_lo, 0x140, v19
	s_delay_alu instid0(VALU_DEP_2) | instskip(SKIP_1) | instid1(VALU_DEP_3)
	v_dual_fmac_f32 v83, 0x32a5705f, v38 :: v_dual_add_f32 v24, v24, v8
	s_waitcnt vmcnt(6)
	v_dual_mul_f32 v9, v9, v25 :: v_dual_cndmask_b32 v26, 0, v28
	s_delay_alu instid0(VALU_DEP_2) | instskip(SKIP_1) | instid1(VALU_DEP_3)
	v_add_f32_e32 v53, v53, v83
	v_cmp_lt_i32_e32 vcc_lo, 0x160, v19
	v_add_f32_e32 v24, v24, v9
	s_waitcnt vmcnt(5)
	v_mul_f32_e32 v10, v10, v26
	v_exp_f32_e32 v53, v53
	v_cndmask_b32_e32 v27, 0, v29, vcc_lo
	v_cmp_lt_i32_e32 vcc_lo, 0x180, v19
	s_waitcnt vmcnt(4)
	s_delay_alu instid0(VALU_DEP_2) | instskip(SKIP_3) | instid1(TRANS32_DEP_1)
	v_dual_add_f32 v24, v24, v10 :: v_dual_mul_f32 v11, v11, v27
	v_cndmask_b32_e32 v28, 0, v30, vcc_lo
	v_cmp_nlt_f32_e32 vcc_lo, 0x42b17218, v37
	v_cvt_i32_f32_e32 v27, v86
	v_ldexp_f32 v53, v53, v84
	v_add_f32_e32 v24, v24, v11
	s_waitcnt vmcnt(3)
	v_mul_f32_e32 v12, v12, v28
	v_cndmask_b32_e32 v25, 0x7f800000, v52, vcc_lo
	v_cmp_ngt_f32_e32 vcc_lo, 0xc2ce8ed0, v38
	s_delay_alu instid0(VALU_DEP_3)
	v_add_f32_e32 v24, v24, v12
	v_cndmask_b32_e32 v26, 0, v53, vcc_lo
	v_cmp_lt_i32_e32 vcc_lo, 0x1a0, v19
	v_cndmask_b32_e32 v25, 0, v25, vcc_lo
	v_cmp_nlt_f32_e32 vcc_lo, 0x42b17218, v38
	s_waitcnt vmcnt(2)
	s_delay_alu instid0(VALU_DEP_2) | instskip(SKIP_2) | instid1(VALU_DEP_3)
	v_dual_mul_f32 v17, v17, v25 :: v_dual_cndmask_b32 v26, 0x7f800000, v26
	v_cmp_lt_i32_e32 vcc_lo, 0x1c0, v19
	v_ldexp_f32 v25, v54, v27
	v_add_f32_e32 v24, v24, v17
	s_delay_alu instid0(VALU_DEP_4) | instskip(SKIP_2) | instid1(VALU_DEP_2)
	v_cndmask_b32_e32 v26, 0, v26, vcc_lo
	v_cmp_ngt_f32_e32 vcc_lo, 0xc2ce8ed0, v23
	s_waitcnt vmcnt(1)
	v_dual_mul_f32 v18, v18, v26 :: v_dual_cndmask_b32 v25, 0, v25
	v_cmp_nlt_f32_e32 vcc_lo, 0x42b17218, v23
	s_delay_alu instid0(VALU_DEP_2) | instskip(SKIP_1) | instid1(VALU_DEP_2)
	v_cndmask_b32_e32 v23, 0x7f800000, v25, vcc_lo
	v_cmp_lt_i32_e32 vcc_lo, 0x1e0, v19
	v_cndmask_b32_e32 v19, 0, v23, vcc_lo
	v_add_f32_e32 v23, v24, v18
	s_waitcnt vmcnt(0)
	s_delay_alu instid0(VALU_DEP_1)
	v_fmac_f32_e32 v23, v14, v19
	ds_bpermute_b32 v1, v1, v23
	s_waitcnt lgkmcnt(0)
	v_add_f32_e32 v1, v23, v1
	ds_bpermute_b32 v4, v4, v1
	s_waitcnt lgkmcnt(0)
	v_dual_add_f32 v1, v1, v4 :: v_dual_mul_f32 v4, v14, v19
	ds_bpermute_b32 v3, v3, v1
	s_waitcnt lgkmcnt(0)
	v_add_f32_e32 v1, v1, v3
	v_lshlrev_b32_e32 v3, 2, v0
	ds_bpermute_b32 v2, v2, v1
	ds_store_2addr_b32 v3, v20, v21 offset1:32
	s_waitcnt lgkmcnt(1)
	v_add_f32_e32 v1, v1, v2
	ds_bpermute_b32 v2, v13, v1
	v_add_nc_u32_e32 v13, 0x400, v3
	ds_store_2addr_b32 v3, v22, v15 offset0:64 offset1:96
	ds_store_2addr_b32 v3, v16, v5 offset0:128 offset1:160
	;; [unrolled: 1-line block ×3, first 2 shown]
	ds_store_2addr_b32 v13, v8, v9 offset1:32
	ds_store_2addr_b32 v13, v10, v11 offset0:64 offset1:96
	ds_store_2addr_b32 v13, v12, v17 offset0:128 offset1:160
	;; [unrolled: 1-line block ×3, first 2 shown]
	v_cmpx_eq_u32_e32 0, v0
	s_cbranch_execz .LBB37_8
; %bb.7:
	s_waitcnt lgkmcnt(7)
	v_dual_add_f32 v1, v1, v2 :: v_dual_mov_b32 v2, 0
	ds_store_b32 v2, v1 offset:2048
.LBB37_8:
	s_or_b32 exec_lo, exec_lo, s7
	v_mov_b32_e32 v1, s6
.LBB37_9:
	s_or_b32 exec_lo, exec_lo, s24
	s_lshl_b32 s6, s18, 6
	s_mov_b32 s7, 0
	s_waitcnt lgkmcnt(7)
	v_dual_mov_b32 v2, 0 :: v_dual_lshlrev_b32 v1, 6, v1
	s_lshl_b64 s[6:7], s[6:7], 1
	v_dual_mov_b32 v29, 0 :: v_dual_mov_b32 v30, 0
	s_add_u32 s34, s4, s6
	s_addc_u32 s35, s5, s7
	s_lshl_b32 s41, s40, 6
	v_lshlrev_b64 v[3:4], 1, v[1:2]
	s_sub_i32 s42, s41, 64
	s_cmpk_lt_i32 s22, 0x100
	v_lshlrev_b32_e32 v1, 1, v0
	s_cselect_b32 s4, s42, 0
	v_dual_mov_b32 v31, 0 :: v_dual_mov_b32 v32, 0
	s_ashr_i32 s5, s4, 31
	v_add_co_u32 v3, vcc_lo, s34, v3
	s_lshl_b64 s[4:5], s[4:5], 1
	s_cmpk_lt_i32 s22, 0x200
	v_add_co_ci_u32_e32 v4, vcc_lo, s35, v4, vcc_lo
	s_cselect_b32 s6, s42, 64
	v_add_co_u32 v1, vcc_lo, v3, v1
	s_ashr_i32 s7, s6, 31
	s_delay_alu instid0(VALU_DEP_2)
	v_add_co_ci_u32_e32 v3, vcc_lo, 0, v4, vcc_lo
	s_lshl_b64 s[6:7], s[6:7], 1
	s_cmpk_lt_i32 s22, 0x300
	v_add_co_u32 v4, vcc_lo, v1, s4
	s_cselect_b32 s8, s42, 0x80
	v_add_co_ci_u32_e32 v5, vcc_lo, s5, v3, vcc_lo
	s_ashr_i32 s9, s8, 31
	v_add_co_u32 v8, vcc_lo, v1, s6
	s_lshl_b64 s[8:9], s[8:9], 1
	s_cmpk_lt_i32 s22, 0x400
	v_add_co_ci_u32_e32 v9, vcc_lo, s7, v3, vcc_lo
	s_cselect_b32 s10, s42, 0xc0
	v_add_co_u32 v10, vcc_lo, v1, s8
	s_ashr_i32 s11, s10, 31
	v_add_co_ci_u32_e32 v11, vcc_lo, s9, v3, vcc_lo
	s_lshl_b64 s[10:11], s[10:11], 1
	s_cmpk_lt_i32 s22, 0x500
	v_add_co_u32 v12, vcc_lo, v1, s10
	s_cselect_b32 s18, s42, 0x100
	v_add_co_ci_u32_e32 v13, vcc_lo, s11, v3, vcc_lo
	s_ashr_i32 s19, s18, 31
	v_dual_mov_b32 v33, 0 :: v_dual_mov_b32 v34, 0
	s_lshl_b64 s[18:19], s[18:19], 1
	s_cmpk_lt_i32 s22, 0x600
	v_add_co_u32 v14, vcc_lo, v1, s18
	s_cselect_b32 s20, s42, 0x140
	v_add_co_ci_u32_e32 v15, vcc_lo, s19, v3, vcc_lo
	s_ashr_i32 s21, s20, 31
	v_mov_b32_e32 v35, 0
	s_lshl_b64 s[20:21], s[20:21], 1
	s_cmpk_lt_i32 s22, 0x700
	v_add_co_u32 v16, vcc_lo, v1, s20
	s_cselect_b32 s24, s42, 0x180
	v_add_co_ci_u32_e32 v17, vcc_lo, s21, v3, vcc_lo
	s_ashr_i32 s25, s24, 31
	s_delay_alu instid0(SALU_CYCLE_1)
	s_lshl_b64 s[24:25], s[24:25], 1
	s_cmpk_lt_i32 s22, 0x800
	v_add_co_u32 v18, vcc_lo, v1, s24
	s_cselect_b32 s26, s42, 0x1c0
	v_add_co_ci_u32_e32 v19, vcc_lo, s25, v3, vcc_lo
	s_ashr_i32 s27, s26, 31
	s_delay_alu instid0(SALU_CYCLE_1)
	s_lshl_b64 s[26:27], s[26:27], 1
	s_cmpk_lt_i32 s22, 0x900
	v_add_co_u32 v20, vcc_lo, v1, s26
	s_cselect_b32 s28, s42, 0x200
	v_add_co_ci_u32_e32 v21, vcc_lo, s27, v3, vcc_lo
	s_ashr_i32 s29, s28, 31
	s_clause 0x7
	global_load_u16 v7, v[4:5], off
	global_load_u16 v8, v[8:9], off
	;; [unrolled: 1-line block ×8, first 2 shown]
	s_lshl_b64 s[28:29], s[28:29], 1
	s_cmpk_lt_i32 s22, 0xa00
	v_add_co_u32 v12, vcc_lo, v1, s28
	s_cselect_b32 s30, s42, 0x240
	v_add_co_ci_u32_e32 v13, vcc_lo, s29, v3, vcc_lo
	s_ashr_i32 s31, s30, 31
	s_delay_alu instid0(SALU_CYCLE_1)
	s_lshl_b64 s[30:31], s[30:31], 1
	s_cmpk_lt_i32 s22, 0xb00
	v_add_co_u32 v15, vcc_lo, v1, s30
	s_cselect_b32 s34, s42, 0x280
	v_add_co_ci_u32_e32 v16, vcc_lo, s31, v3, vcc_lo
	s_ashr_i32 s35, s34, 31
	s_delay_alu instid0(SALU_CYCLE_1)
	;; [unrolled: 7-line block ×7, first 2 shown]
	s_lshl_b64 s[4:5], s[6:7], 1
	s_cmpk_gt_i32 s23, 0x1000
	v_add_co_u32 v27, vcc_lo, v1, s4
	v_add_co_ci_u32_e32 v28, vcc_lo, s5, v3, vcc_lo
	s_clause 0x7
	global_load_u16 v14, v[12:13], off
	global_load_u16 v15, v[15:16], off
	;; [unrolled: 1-line block ×8, first 2 shown]
	v_dual_mov_b32 v20, 0 :: v_dual_mov_b32 v21, 0
	v_dual_mov_b32 v22, 0 :: v_dual_mov_b32 v23, 0
	;; [unrolled: 1-line block ×4, first 2 shown]
	v_mov_b32_e32 v28, 0
	s_cselect_b32 s8, -1, 0
	s_cmpk_lt_i32 s23, 0x1001
	s_waitcnt vmcnt(0) lgkmcnt(0)
	s_barrier
	buffer_gl0_inv
	s_cbranch_scc1 .LBB37_11
; %bb.10:
	s_cmpk_lt_i32 s22, 0x1100
	s_cselect_b32 s4, s42, 0x400
	s_delay_alu instid0(SALU_CYCLE_1) | instskip(NEXT) | instid1(SALU_CYCLE_1)
	s_ashr_i32 s5, s4, 31
	s_lshl_b64 s[4:5], s[4:5], 1
	s_cmpk_lt_i32 s22, 0x1200
	v_add_co_u32 v20, vcc_lo, v1, s4
	s_cselect_b32 s6, s42, 0x440
	v_add_co_ci_u32_e32 v21, vcc_lo, s5, v3, vcc_lo
	s_ashr_i32 s7, s6, 31
	s_delay_alu instid0(SALU_CYCLE_1)
	s_lshl_b64 s[6:7], s[6:7], 1
	s_cmpk_lt_i32 s22, 0x1300
	v_add_co_u32 v22, vcc_lo, v1, s6
	s_cselect_b32 s10, s42, 0x480
	v_add_co_ci_u32_e32 v23, vcc_lo, s7, v3, vcc_lo
	s_ashr_i32 s11, s10, 31
	s_delay_alu instid0(SALU_CYCLE_1)
	;; [unrolled: 7-line block ×7, first 2 shown]
	s_lshl_b64 s[28:29], s[28:29], 1
	s_cmpk_lt_i32 s22, 0x1900
	v_add_co_u32 v34, vcc_lo, v1, s28
	s_cselect_b32 s30, s42, 0x600
	v_add_co_ci_u32_e32 v35, vcc_lo, s29, v3, vcc_lo
	s_ashr_i32 s31, s30, 31
	s_clause 0x7
	global_load_u16 v36, v[20:21], off
	global_load_u16 v37, v[22:23], off
	;; [unrolled: 1-line block ×8, first 2 shown]
	s_lshl_b64 s[30:31], s[30:31], 1
	s_cmpk_lt_i32 s22, 0x1a00
	v_add_co_u32 v20, vcc_lo, v1, s30
	s_cselect_b32 s34, s42, 0x640
	v_add_co_ci_u32_e32 v21, vcc_lo, s31, v3, vcc_lo
	s_ashr_i32 s35, s34, 31
	s_delay_alu instid0(SALU_CYCLE_1)
	s_lshl_b64 s[34:35], s[34:35], 1
	s_cmpk_lt_i32 s22, 0x1b00
	v_add_co_u32 v22, vcc_lo, v1, s34
	s_cselect_b32 s36, s42, 0x680
	v_add_co_ci_u32_e32 v23, vcc_lo, s35, v3, vcc_lo
	s_ashr_i32 s37, s36, 31
	s_delay_alu instid0(SALU_CYCLE_1)
	;; [unrolled: 7-line block ×6, first 2 shown]
	s_lshl_b64 s[4:5], s[20:21], 1
	s_cmpk_lt_i32 s22, 0x2000
	v_add_co_u32 v32, vcc_lo, v1, s4
	s_cselect_b32 s6, s42, 0x7c0
	v_add_co_ci_u32_e32 v33, vcc_lo, s5, v3, vcc_lo
	s_ashr_i32 s7, s6, 31
	s_delay_alu instid0(SALU_CYCLE_1) | instskip(NEXT) | instid1(SALU_CYCLE_1)
	s_lshl_b64 s[4:5], s[6:7], 1
	v_add_co_u32 v34, vcc_lo, v1, s4
	v_add_co_ci_u32_e32 v35, vcc_lo, s5, v3, vcc_lo
	s_clause 0x7
	global_load_u16 v20, v[20:21], off
	global_load_u16 v21, v[22:23], off
	;; [unrolled: 1-line block ×8, first 2 shown]
	s_waitcnt vmcnt(15)
	v_cvt_f32_f16_e32 v35, v36
	s_waitcnt vmcnt(14)
	v_cvt_f32_f16_e32 v34, v37
	;; [unrolled: 2-line block ×16, first 2 shown]
.LBB37_11:
	ds_load_b128 v[36:39], v2
	ds_load_b128 v[40:43], v2 offset:16
	s_load_b64 s[0:1], s[0:1], 0x0
	s_and_b32 vcc_lo, exec_lo, s8
	s_waitcnt lgkmcnt(0)
	v_fma_mix_f32 v7, v36, v7, 0 op_sel_hi:[0,1,0]
	s_delay_alu instid0(VALU_DEP_1) | instskip(NEXT) | instid1(VALU_DEP_1)
	v_fma_mix_f32 v7, v37, v8, v7 op_sel_hi:[0,1,0]
	v_fma_mix_f32 v7, v38, v9, v7 op_sel_hi:[0,1,0]
	s_delay_alu instid0(VALU_DEP_1) | instskip(SKIP_4) | instid1(VALU_DEP_1)
	v_fma_mix_f32 v7, v39, v10, v7 op_sel_hi:[0,1,0]
	ds_load_b128 v[36:39], v2 offset:48
	v_fma_mix_f32 v11, v40, v11, v7 op_sel_hi:[0,1,0]
	ds_load_b128 v[7:10], v2 offset:32
	v_fma_mix_f32 v4, v41, v4, v11 op_sel_hi:[0,1,0]
	v_fma_mix_f32 v4, v42, v5, v4 op_sel_hi:[0,1,0]
	s_delay_alu instid0(VALU_DEP_1) | instskip(SKIP_1) | instid1(VALU_DEP_1)
	v_fma_mix_f32 v4, v43, v6, v4 op_sel_hi:[0,1,0]
	s_waitcnt lgkmcnt(0)
	v_fma_mix_f32 v4, v7, v14, v4 op_sel_hi:[0,1,0]
	s_delay_alu instid0(VALU_DEP_1) | instskip(NEXT) | instid1(VALU_DEP_1)
	v_fma_mix_f32 v4, v8, v15, v4 op_sel_hi:[0,1,0]
	v_fma_mix_f32 v4, v9, v16, v4 op_sel_hi:[0,1,0]
	s_delay_alu instid0(VALU_DEP_1) | instskip(NEXT) | instid1(VALU_DEP_1)
	v_fma_mix_f32 v4, v10, v17, v4 op_sel_hi:[0,1,0]
	;; [unrolled: 3-line block ×3, first 2 shown]
	v_fma_mix_f32 v4, v38, v13, v4 op_sel_hi:[0,1,0]
	s_delay_alu instid0(VALU_DEP_1)
	v_fma_mix_f32 v4, v39, v19, v4 op_sel_hi:[0,1,0]
	s_cbranch_vccz .LBB37_13
; %bb.12:
	ds_load_b128 v[5:8], v2 offset:64
	ds_load_b128 v[9:12], v2 offset:80
	s_waitcnt lgkmcnt(1)
	v_fmac_f32_e32 v4, v5, v35
	s_delay_alu instid0(VALU_DEP_1) | instskip(NEXT) | instid1(VALU_DEP_1)
	v_fmac_f32_e32 v4, v6, v34
	v_fmac_f32_e32 v4, v7, v33
	s_delay_alu instid0(VALU_DEP_1) | instskip(SKIP_3) | instid1(VALU_DEP_1)
	v_fmac_f32_e32 v4, v8, v32
	ds_load_b128 v[5:8], v2 offset:96
	s_waitcnt lgkmcnt(1)
	v_fmac_f32_e32 v4, v9, v31
	v_fmac_f32_e32 v4, v10, v30
	s_delay_alu instid0(VALU_DEP_1) | instskip(NEXT) | instid1(VALU_DEP_1)
	v_fmac_f32_e32 v4, v11, v29
	v_fmac_f32_e32 v4, v12, v28
	ds_load_b128 v[9:12], v2 offset:112
	s_waitcnt lgkmcnt(1)
	v_fmac_f32_e32 v4, v5, v27
	s_delay_alu instid0(VALU_DEP_1) | instskip(NEXT) | instid1(VALU_DEP_1)
	v_fmac_f32_e32 v4, v6, v26
	v_fmac_f32_e32 v4, v7, v25
	s_delay_alu instid0(VALU_DEP_1) | instskip(SKIP_1) | instid1(VALU_DEP_1)
	v_fmac_f32_e32 v4, v8, v24
	s_waitcnt lgkmcnt(0)
	v_fmac_f32_e32 v4, v9, v23
	s_delay_alu instid0(VALU_DEP_1) | instskip(NEXT) | instid1(VALU_DEP_1)
	v_fmac_f32_e32 v4, v10, v22
	v_fmac_f32_e32 v4, v11, v21
	s_delay_alu instid0(VALU_DEP_1)
	v_fmac_f32_e32 v4, v12, v20
.LBB37_13:
	s_movk_i32 s43, 0xfc0
	s_movk_i32 s44, 0x80
	s_mov_b32 s45, 32
	s_branch .LBB37_15
.LBB37_14:                              ;   in Loop: Header=BB37_15 Depth=1
	s_addk_i32 s43, 0x800
	s_addk_i32 s44, 0x80
	s_add_i32 s45, s45, 32
	s_cmpk_eq_u32 s43, 0x87c0
	s_cbranch_scc1 .LBB37_17
.LBB37_15:                              ; =>This Inner Loop Header: Depth=1
	s_cmp_le_i32 s40, s45
	s_cbranch_scc1 .LBB37_14
; %bb.16:                               ;   in Loop: Header=BB37_15 Depth=1
	s_add_i32 s4, s43, 0xfffff840
	v_mov_b32_e32 v44, s44
	s_cmp_lt_i32 s4, s41
	s_cselect_b32 s4, s4, s42
	s_add_i32 s6, s43, 0xfffff880
	s_ashr_i32 s5, s4, 31
	s_delay_alu instid0(SALU_CYCLE_1)
	s_lshl_b64 s[4:5], s[4:5], 1
	s_cmp_lt_i32 s6, s41
	v_add_co_u32 v5, vcc_lo, v1, s4
	s_cselect_b32 s6, s6, s42
	s_add_i32 s10, s43, 0xfffff8c0
	s_ashr_i32 s7, s6, 31
	v_add_co_ci_u32_e32 v6, vcc_lo, s5, v3, vcc_lo
	s_lshl_b64 s[8:9], s[6:7], 1
	s_cmp_lt_i32 s10, s41
	v_add_co_u32 v7, vcc_lo, v1, s8
	s_cselect_b32 s6, s10, s42
	s_add_i32 s10, s43, 0xfffff900
	s_ashr_i32 s7, s6, 31
	v_add_co_ci_u32_e32 v8, vcc_lo, s9, v3, vcc_lo
	;; [unrolled: 7-line block ×8, first 2 shown]
	s_lshl_b64 s[24:25], s[20:21], 1
	s_cmp_lt_i32 s28, s41
	s_clause 0x7
	global_load_u16 v2, v[5:6], off
	global_load_u16 v21, v[7:8], off
	;; [unrolled: 1-line block ×8, first 2 shown]
	s_cselect_b32 s20, s28, s42
	s_add_i32 s28, s43, 0xfffffac0
	s_ashr_i32 s21, s20, 31
	v_add_co_u32 v5, vcc_lo, v1, s24
	s_lshl_b64 s[20:21], s[20:21], 1
	s_cmp_lt_i32 s28, s41
	v_add_co_ci_u32_e32 v6, vcc_lo, s25, v3, vcc_lo
	s_cselect_b32 s28, s28, s42
	s_add_i32 s36, s43, 0xfffffb00
	s_ashr_i32 s29, s28, 31
	v_add_co_u32 v7, vcc_lo, v1, s20
	s_lshl_b64 s[30:31], s[28:29], 1
	s_cmp_lt_i32 s36, s41
	v_add_co_ci_u32_e32 v8, vcc_lo, s21, v3, vcc_lo
	;; [unrolled: 7-line block ×8, first 2 shown]
	s_cselect_b32 s10, s10, s42
	s_add_i32 s18, s43, 0xfffffcc0
	s_ashr_i32 s11, s10, 31
	s_clause 0x7
	global_load_u16 v28, v[5:6], off
	global_load_u16 v29, v[7:8], off
	;; [unrolled: 1-line block ×8, first 2 shown]
	s_lshl_b64 s[10:11], s[10:11], 1
	s_cmp_lt_i32 s18, s41
	v_add_co_u32 v5, vcc_lo, v1, s4
	s_cselect_b32 s18, s18, s42
	s_add_i32 s22, s43, 0xfffffd00
	s_ashr_i32 s19, s18, 31
	v_add_co_ci_u32_e32 v6, vcc_lo, s5, v3, vcc_lo
	s_lshl_b64 s[18:19], s[18:19], 1
	s_cmp_lt_i32 s22, s41
	v_add_co_u32 v7, vcc_lo, v1, s10
	s_cselect_b32 s20, s22, s42
	s_add_i32 s22, s43, 0xfffffd40
	s_ashr_i32 s21, s20, 31
	v_add_co_ci_u32_e32 v8, vcc_lo, s11, v3, vcc_lo
	;; [unrolled: 7-line block ×5, first 2 shown]
	s_lshl_b64 s[6:7], s[6:7], 1
	s_cmp_lt_i32 s24, s41
	s_clause 0x4
	global_load_u16 v19, v[5:6], off
	global_load_u16 v20, v[7:8], off
	;; [unrolled: 1-line block ×5, first 2 shown]
	s_cselect_b32 s4, s24, s42
	s_add_i32 s10, s43, 0xfffffe40
	s_ashr_i32 s5, s4, 31
	v_add_co_u32 v5, vcc_lo, v1, s8
	s_lshl_b64 s[4:5], s[4:5], 1
	s_cmp_lt_i32 s10, s41
	v_add_co_ci_u32_e32 v6, vcc_lo, s9, v3, vcc_lo
	s_cselect_b32 s10, s10, s42
	s_add_i32 s18, s43, 0xfffffe80
	s_ashr_i32 s11, s10, 31
	v_add_co_u32 v7, vcc_lo, v1, s6
	s_lshl_b64 s[10:11], s[10:11], 1
	s_cmp_lt_i32 s18, s41
	v_add_co_ci_u32_e32 v8, vcc_lo, s7, v3, vcc_lo
	s_cselect_b32 s18, s18, s42
	s_add_i32 s20, s43, 0xfffffec0
	s_ashr_i32 s19, s18, 31
	v_add_co_u32 v9, vcc_lo, v1, s4
	s_lshl_b64 s[18:19], s[18:19], 1
	s_cmp_lt_i32 s20, s41
	global_load_u16 v37, v[5:6], off
	s_cselect_b32 s8, s20, s42
	s_add_i32 s20, s43, 0xffffff00
	s_ashr_i32 s9, s8, 31
	v_add_co_ci_u32_e32 v10, vcc_lo, s5, v3, vcc_lo
	s_lshl_b64 s[6:7], s[8:9], 1
	s_cmp_lt_i32 s20, s41
	v_add_co_u32 v11, vcc_lo, v1, s10
	s_cselect_b32 s4, s20, s42
	s_clause 0x1
	global_load_u16 v38, v[7:8], off
	global_load_u16 v39, v[9:10], off
	v_add_co_ci_u32_e32 v12, vcc_lo, s11, v3, vcc_lo
	s_ashr_i32 s5, s4, 31
	s_add_i32 s8, s43, 0xffffff40
	v_add_co_u32 v13, vcc_lo, v1, s18
	s_lshl_b64 s[4:5], s[4:5], 1
	s_cmp_lt_i32 s8, s41
	v_add_co_ci_u32_e32 v14, vcc_lo, s19, v3, vcc_lo
	v_add_co_u32 v15, vcc_lo, v1, s6
	s_cselect_b32 s8, s8, s42
	v_add_co_ci_u32_e32 v16, vcc_lo, s7, v3, vcc_lo
	s_ashr_i32 s9, s8, 31
	s_add_i32 s10, s43, 0xffffff80
	s_lshl_b64 s[6:7], s[8:9], 1
	s_clause 0x2
	global_load_u16 v40, v[11:12], off
	global_load_u16 v13, v[13:14], off
	;; [unrolled: 1-line block ×3, first 2 shown]
	s_cmp_lt_i32 s10, s41
	v_add_co_u32 v5, vcc_lo, v1, s4
	s_cselect_b32 s8, s10, s42
	s_sub_i32 s10, s43, 64
	s_ashr_i32 s9, s8, 31
	v_add_co_ci_u32_e32 v6, vcc_lo, s5, v3, vcc_lo
	s_lshl_b64 s[8:9], s[8:9], 1
	s_cmp_lt_i32 s10, s41
	v_add_co_u32 v7, vcc_lo, v1, s6
	s_cselect_b32 s4, s10, s42
	v_add_co_ci_u32_e32 v8, vcc_lo, s7, v3, vcc_lo
	s_ashr_i32 s5, s4, 31
	v_add_co_u32 v9, vcc_lo, v1, s8
	global_load_u16 v15, v[5:6], off
	s_lshl_b64 s[4:5], s[4:5], 1
	v_add_co_ci_u32_e32 v10, vcc_lo, s9, v3, vcc_lo
	s_cmp_lt_i32 s43, s41
	s_clause 0x1
	global_load_u16 v16, v[7:8], off
	global_load_u16 v41, v[9:10], off
	s_cselect_b32 s6, s43, s42
	v_add_co_u32 v5, vcc_lo, v1, s4
	s_ashr_i32 s7, s6, 31
	v_add_co_ci_u32_e32 v6, vcc_lo, s5, v3, vcc_lo
	s_lshl_b64 s[4:5], s[6:7], 1
	s_delay_alu instid0(SALU_CYCLE_1)
	v_add_co_u32 v7, vcc_lo, v1, s4
	v_add_co_ci_u32_e32 v8, vcc_lo, s5, v3, vcc_lo
	s_clause 0x1
	global_load_u16 v42, v[5:6], off
	global_load_u16 v43, v[7:8], off
	ds_load_b128 v[5:8], v44
	ds_load_b128 v[9:12], v44 offset:16
	s_waitcnt vmcnt(31) lgkmcnt(1)
	v_fma_mix_f32 v2, v5, v2, v4 op_sel_hi:[0,1,0]
	s_waitcnt vmcnt(30)
	s_delay_alu instid0(VALU_DEP_1) | instskip(SKIP_1) | instid1(VALU_DEP_1)
	v_fma_mix_f32 v2, v6, v21, v2 op_sel_hi:[0,1,0]
	s_waitcnt vmcnt(29)
	v_fma_mix_f32 v2, v7, v22, v2 op_sel_hi:[0,1,0]
	ds_load_b128 v[4:7], v44 offset:32
	s_waitcnt vmcnt(28)
	v_fma_mix_f32 v2, v8, v23, v2 op_sel_hi:[0,1,0]
	s_waitcnt vmcnt(27) lgkmcnt(1)
	s_delay_alu instid0(VALU_DEP_1) | instskip(SKIP_1) | instid1(VALU_DEP_1)
	v_fma_mix_f32 v2, v9, v24, v2 op_sel_hi:[0,1,0]
	s_waitcnt vmcnt(26)
	v_fma_mix_f32 v2, v10, v25, v2 op_sel_hi:[0,1,0]
	s_waitcnt vmcnt(25)
	s_delay_alu instid0(VALU_DEP_1) | instskip(SKIP_4) | instid1(VALU_DEP_1)
	v_fma_mix_f32 v2, v11, v26, v2 op_sel_hi:[0,1,0]
	ds_load_b128 v[8:11], v44 offset:48
	s_waitcnt vmcnt(24)
	v_fma_mix_f32 v2, v12, v27, v2 op_sel_hi:[0,1,0]
	s_waitcnt vmcnt(23) lgkmcnt(1)
	v_fma_mix_f32 v2, v4, v28, v2 op_sel_hi:[0,1,0]
	s_waitcnt vmcnt(22)
	s_delay_alu instid0(VALU_DEP_1) | instskip(SKIP_1) | instid1(VALU_DEP_1)
	v_fma_mix_f32 v2, v5, v29, v2 op_sel_hi:[0,1,0]
	s_waitcnt vmcnt(21)
	v_fma_mix_f32 v2, v6, v30, v2 op_sel_hi:[0,1,0]
	s_waitcnt vmcnt(20)
	s_delay_alu instid0(VALU_DEP_1) | instskip(SKIP_4) | instid1(VALU_DEP_1)
	v_fma_mix_f32 v2, v7, v31, v2 op_sel_hi:[0,1,0]
	ds_load_b128 v[4:7], v44 offset:64
	s_waitcnt vmcnt(19) lgkmcnt(1)
	v_fma_mix_f32 v2, v8, v32, v2 op_sel_hi:[0,1,0]
	s_waitcnt vmcnt(18)
	v_fma_mix_f32 v2, v9, v33, v2 op_sel_hi:[0,1,0]
	s_waitcnt vmcnt(17)
	s_delay_alu instid0(VALU_DEP_1) | instskip(SKIP_1) | instid1(VALU_DEP_1)
	v_fma_mix_f32 v2, v10, v17, v2 op_sel_hi:[0,1,0]
	s_waitcnt vmcnt(16)
	v_fma_mix_f32 v2, v11, v18, v2 op_sel_hi:[0,1,0]
	ds_load_b128 v[8:11], v44 offset:80
	s_waitcnt vmcnt(15) lgkmcnt(1)
	v_fma_mix_f32 v2, v4, v19, v2 op_sel_hi:[0,1,0]
	s_waitcnt vmcnt(14)
	s_delay_alu instid0(VALU_DEP_1) | instskip(SKIP_1) | instid1(VALU_DEP_1)
	v_fma_mix_f32 v2, v5, v20, v2 op_sel_hi:[0,1,0]
	s_waitcnt vmcnt(13)
	v_fma_mix_f32 v2, v6, v34, v2 op_sel_hi:[0,1,0]
	s_waitcnt vmcnt(12)
	s_delay_alu instid0(VALU_DEP_1) | instskip(SKIP_4) | instid1(VALU_DEP_1)
	v_fma_mix_f32 v2, v7, v35, v2 op_sel_hi:[0,1,0]
	ds_load_b128 v[4:7], v44 offset:96
	s_waitcnt vmcnt(11) lgkmcnt(1)
	v_fma_mix_f32 v2, v8, v36, v2 op_sel_hi:[0,1,0]
	s_waitcnt vmcnt(10)
	v_fma_mix_f32 v2, v9, v37, v2 op_sel_hi:[0,1,0]
	s_waitcnt vmcnt(9)
	s_delay_alu instid0(VALU_DEP_1) | instskip(SKIP_1) | instid1(VALU_DEP_1)
	v_fma_mix_f32 v2, v10, v38, v2 op_sel_hi:[0,1,0]
	s_waitcnt vmcnt(8)
	v_fma_mix_f32 v2, v11, v39, v2 op_sel_hi:[0,1,0]
	ds_load_b128 v[8:11], v44 offset:112
	s_waitcnt vmcnt(7) lgkmcnt(1)
	v_fma_mix_f32 v2, v4, v40, v2 op_sel_hi:[0,1,0]
	s_waitcnt vmcnt(6)
	s_delay_alu instid0(VALU_DEP_1) | instskip(SKIP_1) | instid1(VALU_DEP_1)
	v_fma_mix_f32 v2, v5, v13, v2 op_sel_hi:[0,1,0]
	s_waitcnt vmcnt(5)
	v_fma_mix_f32 v2, v6, v14, v2 op_sel_hi:[0,1,0]
	s_waitcnt vmcnt(4)
	s_delay_alu instid0(VALU_DEP_1) | instskip(SKIP_1) | instid1(VALU_DEP_1)
	v_fma_mix_f32 v2, v7, v15, v2 op_sel_hi:[0,1,0]
	s_waitcnt vmcnt(3) lgkmcnt(0)
	v_fma_mix_f32 v2, v8, v16, v2 op_sel_hi:[0,1,0]
	s_waitcnt vmcnt(2)
	s_delay_alu instid0(VALU_DEP_1) | instskip(SKIP_1) | instid1(VALU_DEP_1)
	v_fma_mix_f32 v2, v9, v41, v2 op_sel_hi:[0,1,0]
	s_waitcnt vmcnt(1)
	v_fma_mix_f32 v2, v10, v42, v2 op_sel_hi:[0,1,0]
	s_waitcnt vmcnt(0)
	s_delay_alu instid0(VALU_DEP_1)
	v_fma_mix_f32 v4, v11, v43, v2 op_sel_hi:[0,1,0]
	s_branch .LBB37_14
.LBB37_17:
	v_mov_b32_e32 v1, 0
	s_and_b32 vcc_lo, exec_lo, s15
	ds_load_b32 v1, v1 offset:2048
	s_cbranch_vccz .LBB37_19
; %bb.18:
	s_add_u32 s2, s12, s16
	s_addc_u32 s3, s13, s17
	s_load_b32 s2, s[2:3], 0x0
	s_mov_b32 s3, 0
.LBB37_19:
	s_waitcnt lgkmcnt(0)
	v_add_f32_e32 v1, 0x358637bd, v1
	s_mul_i32 s3, s33, s3
	s_mul_hi_u32 s4, s33, s2
	s_mul_i32 s2, s33, s2
	s_add_i32 s3, s4, s3
	v_div_scale_f32 v2, null, v1, v1, 1.0
	v_div_scale_f32 v6, vcc_lo, 1.0, v1, 1.0
	s_lshl_b64 s[2:3], s[2:3], 6
	s_delay_alu instid0(VALU_DEP_2) | instskip(SKIP_4) | instid1(SALU_CYCLE_1)
	v_rcp_f32_e32 v3, v2
	s_mov_b32 s15, 0
	s_add_u32 s2, s0, s2
	s_addc_u32 s3, s1, s3
	s_lshl_b64 s[0:1], s[14:15], 6
	s_add_u32 s0, s2, s0
	s_addc_u32 s1, s3, s1
	v_add_co_u32 v0, s0, s0, v0
	s_waitcnt_depctr 0xfff
	v_fma_f32 v5, -v2, v3, 1.0
	s_delay_alu instid0(VALU_DEP_1) | instskip(NEXT) | instid1(VALU_DEP_1)
	v_fmac_f32_e32 v3, v5, v3
	v_mul_f32_e32 v5, v6, v3
	s_delay_alu instid0(VALU_DEP_1) | instskip(NEXT) | instid1(VALU_DEP_1)
	v_fma_f32 v7, -v2, v5, v6
	v_fmac_f32_e32 v5, v7, v3
	s_delay_alu instid0(VALU_DEP_1) | instskip(NEXT) | instid1(VALU_DEP_1)
	v_fma_f32 v2, -v2, v5, v6
	v_div_fmas_f32 v2, v2, v3, v5
	s_delay_alu instid0(VALU_DEP_1) | instskip(NEXT) | instid1(VALU_DEP_1)
	v_div_fixup_f32 v1, v2, v1, 1.0
	v_fma_mixlo_f16 v1, v4, v1, 0
	s_delay_alu instid0(VALU_DEP_1)
	v_cvt_i16_f16_e32 v2, v1
	v_add_co_ci_u32_e64 v1, null, s1, 0, s0
	global_store_b8 v[0:1], v2, off
	s_nop 0
	s_sendmsg sendmsg(MSG_DEALLOC_VGPRS)
	s_endpgm
.LBB37_20:
	s_mov_b32 s4, 0
	s_branch .LBB37_2
	.section	.rodata,"a",@progbits
	.p2align	6, 0x0
	.amdhsa_kernel _Z35paged_attention_ll4mi_reduce_kernelIDF16_hLi64ELi64ELi256ELi16EEvPT0_PKfS3_PKT_PKiS8_iS3_
		.amdhsa_group_segment_fixed_size 2052
		.amdhsa_private_segment_fixed_size 0
		.amdhsa_kernarg_size 320
		.amdhsa_user_sgpr_count 14
		.amdhsa_user_sgpr_dispatch_ptr 0
		.amdhsa_user_sgpr_queue_ptr 0
		.amdhsa_user_sgpr_kernarg_segment_ptr 1
		.amdhsa_user_sgpr_dispatch_id 0
		.amdhsa_user_sgpr_private_segment_size 0
		.amdhsa_wavefront_size32 1
		.amdhsa_uses_dynamic_stack 0
		.amdhsa_enable_private_segment 0
		.amdhsa_system_sgpr_workgroup_id_x 1
		.amdhsa_system_sgpr_workgroup_id_y 1
		.amdhsa_system_sgpr_workgroup_id_z 0
		.amdhsa_system_sgpr_workgroup_info 0
		.amdhsa_system_vgpr_workitem_id 0
		.amdhsa_next_free_vgpr 87
		.amdhsa_next_free_sgpr 47
		.amdhsa_reserve_vcc 1
		.amdhsa_float_round_mode_32 0
		.amdhsa_float_round_mode_16_64 0
		.amdhsa_float_denorm_mode_32 3
		.amdhsa_float_denorm_mode_16_64 3
		.amdhsa_dx10_clamp 1
		.amdhsa_ieee_mode 1
		.amdhsa_fp16_overflow 0
		.amdhsa_workgroup_processor_mode 1
		.amdhsa_memory_ordered 1
		.amdhsa_forward_progress 0
		.amdhsa_shared_vgpr_count 0
		.amdhsa_exception_fp_ieee_invalid_op 0
		.amdhsa_exception_fp_denorm_src 0
		.amdhsa_exception_fp_ieee_div_zero 0
		.amdhsa_exception_fp_ieee_overflow 0
		.amdhsa_exception_fp_ieee_underflow 0
		.amdhsa_exception_fp_ieee_inexact 0
		.amdhsa_exception_int_div_zero 0
	.end_amdhsa_kernel
	.section	.text._Z35paged_attention_ll4mi_reduce_kernelIDF16_hLi64ELi64ELi256ELi16EEvPT0_PKfS3_PKT_PKiS8_iS3_,"axG",@progbits,_Z35paged_attention_ll4mi_reduce_kernelIDF16_hLi64ELi64ELi256ELi16EEvPT0_PKfS3_PKT_PKiS8_iS3_,comdat
.Lfunc_end37:
	.size	_Z35paged_attention_ll4mi_reduce_kernelIDF16_hLi64ELi64ELi256ELi16EEvPT0_PKfS3_PKT_PKiS8_iS3_, .Lfunc_end37-_Z35paged_attention_ll4mi_reduce_kernelIDF16_hLi64ELi64ELi256ELi16EEvPT0_PKfS3_PKT_PKiS8_iS3_
                                        ; -- End function
	.section	.AMDGPU.csdata,"",@progbits
; Kernel info:
; codeLenInByte = 8272
; NumSgprs: 49
; NumVgprs: 87
; ScratchSize: 0
; MemoryBound: 0
; FloatMode: 240
; IeeeMode: 1
; LDSByteSize: 2052 bytes/workgroup (compile time only)
; SGPRBlocks: 6
; VGPRBlocks: 10
; NumSGPRsForWavesPerEU: 49
; NumVGPRsForWavesPerEU: 87
; Occupancy: 16
; WaveLimiterHint : 0
; COMPUTE_PGM_RSRC2:SCRATCH_EN: 0
; COMPUTE_PGM_RSRC2:USER_SGPR: 14
; COMPUTE_PGM_RSRC2:TRAP_HANDLER: 0
; COMPUTE_PGM_RSRC2:TGID_X_EN: 1
; COMPUTE_PGM_RSRC2:TGID_Y_EN: 1
; COMPUTE_PGM_RSRC2:TGID_Z_EN: 0
; COMPUTE_PGM_RSRC2:TIDIG_COMP_CNT: 0
	.section	.text._Z38paged_attention_ll4mi_QKV_mfma4_kernelIDF16_DF16_LN4vllm18Fp8KVCacheDataTypeE0EhLi16ELi64ELi256ELb0ELi1EEvPKT_PKT0_S7_ifPKiS9_S9_iPKfiiiPfSC_PS2_PT2_iSB_SB_,"axG",@progbits,_Z38paged_attention_ll4mi_QKV_mfma4_kernelIDF16_DF16_LN4vllm18Fp8KVCacheDataTypeE0EhLi16ELi64ELi256ELb0ELi1EEvPKT_PKT0_S7_ifPKiS9_S9_iPKfiiiPfSC_PS2_PT2_iSB_SB_,comdat
	.protected	_Z38paged_attention_ll4mi_QKV_mfma4_kernelIDF16_DF16_LN4vllm18Fp8KVCacheDataTypeE0EhLi16ELi64ELi256ELb0ELi1EEvPKT_PKT0_S7_ifPKiS9_S9_iPKfiiiPfSC_PS2_PT2_iSB_SB_ ; -- Begin function _Z38paged_attention_ll4mi_QKV_mfma4_kernelIDF16_DF16_LN4vllm18Fp8KVCacheDataTypeE0EhLi16ELi64ELi256ELb0ELi1EEvPKT_PKT0_S7_ifPKiS9_S9_iPKfiiiPfSC_PS2_PT2_iSB_SB_
	.globl	_Z38paged_attention_ll4mi_QKV_mfma4_kernelIDF16_DF16_LN4vllm18Fp8KVCacheDataTypeE0EhLi16ELi64ELi256ELb0ELi1EEvPKT_PKT0_S7_ifPKiS9_S9_iPKfiiiPfSC_PS2_PT2_iSB_SB_
	.p2align	8
	.type	_Z38paged_attention_ll4mi_QKV_mfma4_kernelIDF16_DF16_LN4vllm18Fp8KVCacheDataTypeE0EhLi16ELi64ELi256ELb0ELi1EEvPKT_PKT0_S7_ifPKiS9_S9_iPKfiiiPfSC_PS2_PT2_iSB_SB_,@function
_Z38paged_attention_ll4mi_QKV_mfma4_kernelIDF16_DF16_LN4vllm18Fp8KVCacheDataTypeE0EhLi16ELi64ELi256ELb0ELi1EEvPKT_PKT0_S7_ifPKiS9_S9_iPKfiiiPfSC_PS2_PT2_iSB_SB_: ; @_Z38paged_attention_ll4mi_QKV_mfma4_kernelIDF16_DF16_LN4vllm18Fp8KVCacheDataTypeE0EhLi16ELi64ELi256ELb0ELi1EEvPKT_PKT0_S7_ifPKiS9_S9_iPKfiiiPfSC_PS2_PT2_iSB_SB_
; %bb.0:
	s_add_u32 s8, s0, 0x90
	s_addc_u32 s9, s1, 0
	s_getpc_b64 s[0:1]
	s_add_u32 s0, s0, __PRETTY_FUNCTION__._Z38paged_attention_ll4mi_QKV_mfma4_kernelIDF16_DF16_LN4vllm18Fp8KVCacheDataTypeE0EhLi16ELi64ELi256ELb0ELi1EEvPKT_PKT0_S7_ifPKiS9_S9_iPKfiiiPfSC_PS2_PT2_iSB_SB_@rel32@lo+4
	s_addc_u32 s1, s1, __PRETTY_FUNCTION__._Z38paged_attention_ll4mi_QKV_mfma4_kernelIDF16_DF16_LN4vllm18Fp8KVCacheDataTypeE0EhLi16ELi64ELi256ELb0ELi1EEvPKT_PKT0_S7_ifPKiS9_S9_iPKfiiiPfSC_PS2_PT2_iSB_SB_@rel32@hi+12
	s_delay_alu instid0(SALU_CYCLE_1) | instskip(SKIP_4) | instid1(SALU_CYCLE_1)
	v_dual_mov_b32 v0, s0 :: v_dual_mov_b32 v1, s1
	s_mov_b32 s32, 0
	s_getpc_b64 s[2:3]
	s_add_u32 s2, s2, __assert_fail@rel32@lo+4
	s_addc_u32 s3, s3, __assert_fail@rel32@hi+12
	s_swappc_b64 s[30:31], s[2:3]
	.section	.rodata,"a",@progbits
	.p2align	6, 0x0
	.amdhsa_kernel _Z38paged_attention_ll4mi_QKV_mfma4_kernelIDF16_DF16_LN4vllm18Fp8KVCacheDataTypeE0EhLi16ELi64ELi256ELb0ELi1EEvPKT_PKT0_S7_ifPKiS9_S9_iPKfiiiPfSC_PS2_PT2_iSB_SB_
		.amdhsa_group_segment_fixed_size 0
		.amdhsa_private_segment_fixed_size 64
		.amdhsa_kernarg_size 400
		.amdhsa_user_sgpr_count 15
		.amdhsa_user_sgpr_dispatch_ptr 0
		.amdhsa_user_sgpr_queue_ptr 0
		.amdhsa_user_sgpr_kernarg_segment_ptr 1
		.amdhsa_user_sgpr_dispatch_id 0
		.amdhsa_user_sgpr_private_segment_size 0
		.amdhsa_wavefront_size32 1
		.amdhsa_uses_dynamic_stack 0
		.amdhsa_enable_private_segment 1
		.amdhsa_system_sgpr_workgroup_id_x 1
		.amdhsa_system_sgpr_workgroup_id_y 0
		.amdhsa_system_sgpr_workgroup_id_z 0
		.amdhsa_system_sgpr_workgroup_info 0
		.amdhsa_system_vgpr_workitem_id 0
		.amdhsa_next_free_vgpr 41
		.amdhsa_next_free_sgpr 34
		.amdhsa_reserve_vcc 1
		.amdhsa_float_round_mode_32 0
		.amdhsa_float_round_mode_16_64 0
		.amdhsa_float_denorm_mode_32 3
		.amdhsa_float_denorm_mode_16_64 3
		.amdhsa_dx10_clamp 1
		.amdhsa_ieee_mode 1
		.amdhsa_fp16_overflow 0
		.amdhsa_workgroup_processor_mode 1
		.amdhsa_memory_ordered 1
		.amdhsa_forward_progress 0
		.amdhsa_shared_vgpr_count 0
		.amdhsa_exception_fp_ieee_invalid_op 0
		.amdhsa_exception_fp_denorm_src 0
		.amdhsa_exception_fp_ieee_div_zero 0
		.amdhsa_exception_fp_ieee_overflow 0
		.amdhsa_exception_fp_ieee_underflow 0
		.amdhsa_exception_fp_ieee_inexact 0
		.amdhsa_exception_int_div_zero 0
	.end_amdhsa_kernel
	.section	.text._Z38paged_attention_ll4mi_QKV_mfma4_kernelIDF16_DF16_LN4vllm18Fp8KVCacheDataTypeE0EhLi16ELi64ELi256ELb0ELi1EEvPKT_PKT0_S7_ifPKiS9_S9_iPKfiiiPfSC_PS2_PT2_iSB_SB_,"axG",@progbits,_Z38paged_attention_ll4mi_QKV_mfma4_kernelIDF16_DF16_LN4vllm18Fp8KVCacheDataTypeE0EhLi16ELi64ELi256ELb0ELi1EEvPKT_PKT0_S7_ifPKiS9_S9_iPKfiiiPfSC_PS2_PT2_iSB_SB_,comdat
.Lfunc_end38:
	.size	_Z38paged_attention_ll4mi_QKV_mfma4_kernelIDF16_DF16_LN4vllm18Fp8KVCacheDataTypeE0EhLi16ELi64ELi256ELb0ELi1EEvPKT_PKT0_S7_ifPKiS9_S9_iPKfiiiPfSC_PS2_PT2_iSB_SB_, .Lfunc_end38-_Z38paged_attention_ll4mi_QKV_mfma4_kernelIDF16_DF16_LN4vllm18Fp8KVCacheDataTypeE0EhLi16ELi64ELi256ELb0ELi1EEvPKT_PKT0_S7_ifPKiS9_S9_iPKfiiiPfSC_PS2_PT2_iSB_SB_
                                        ; -- End function
	.section	.AMDGPU.csdata,"",@progbits
; Kernel info:
; codeLenInByte = 72
; NumSgprs: 36
; NumVgprs: 41
; ScratchSize: 64
; MemoryBound: 0
; FloatMode: 240
; IeeeMode: 1
; LDSByteSize: 0 bytes/workgroup (compile time only)
; SGPRBlocks: 4
; VGPRBlocks: 5
; NumSGPRsForWavesPerEU: 36
; NumVGPRsForWavesPerEU: 41
; Occupancy: 16
; WaveLimiterHint : 1
; COMPUTE_PGM_RSRC2:SCRATCH_EN: 1
; COMPUTE_PGM_RSRC2:USER_SGPR: 15
; COMPUTE_PGM_RSRC2:TRAP_HANDLER: 0
; COMPUTE_PGM_RSRC2:TGID_X_EN: 1
; COMPUTE_PGM_RSRC2:TGID_Y_EN: 0
; COMPUTE_PGM_RSRC2:TGID_Z_EN: 0
; COMPUTE_PGM_RSRC2:TIDIG_COMP_CNT: 0
	.section	.text._Z38paged_attention_ll4mi_QKV_mfma4_kernelIDF16_DF16_LN4vllm18Fp8KVCacheDataTypeE0EhLi16ELi64ELi256ELb0ELi2EEvPKT_PKT0_S7_ifPKiS9_S9_iPKfiiiPfSC_PS2_PT2_iSB_SB_,"axG",@progbits,_Z38paged_attention_ll4mi_QKV_mfma4_kernelIDF16_DF16_LN4vllm18Fp8KVCacheDataTypeE0EhLi16ELi64ELi256ELb0ELi2EEvPKT_PKT0_S7_ifPKiS9_S9_iPKfiiiPfSC_PS2_PT2_iSB_SB_,comdat
	.protected	_Z38paged_attention_ll4mi_QKV_mfma4_kernelIDF16_DF16_LN4vllm18Fp8KVCacheDataTypeE0EhLi16ELi64ELi256ELb0ELi2EEvPKT_PKT0_S7_ifPKiS9_S9_iPKfiiiPfSC_PS2_PT2_iSB_SB_ ; -- Begin function _Z38paged_attention_ll4mi_QKV_mfma4_kernelIDF16_DF16_LN4vllm18Fp8KVCacheDataTypeE0EhLi16ELi64ELi256ELb0ELi2EEvPKT_PKT0_S7_ifPKiS9_S9_iPKfiiiPfSC_PS2_PT2_iSB_SB_
	.globl	_Z38paged_attention_ll4mi_QKV_mfma4_kernelIDF16_DF16_LN4vllm18Fp8KVCacheDataTypeE0EhLi16ELi64ELi256ELb0ELi2EEvPKT_PKT0_S7_ifPKiS9_S9_iPKfiiiPfSC_PS2_PT2_iSB_SB_
	.p2align	8
	.type	_Z38paged_attention_ll4mi_QKV_mfma4_kernelIDF16_DF16_LN4vllm18Fp8KVCacheDataTypeE0EhLi16ELi64ELi256ELb0ELi2EEvPKT_PKT0_S7_ifPKiS9_S9_iPKfiiiPfSC_PS2_PT2_iSB_SB_,@function
_Z38paged_attention_ll4mi_QKV_mfma4_kernelIDF16_DF16_LN4vllm18Fp8KVCacheDataTypeE0EhLi16ELi64ELi256ELb0ELi2EEvPKT_PKT0_S7_ifPKiS9_S9_iPKfiiiPfSC_PS2_PT2_iSB_SB_: ; @_Z38paged_attention_ll4mi_QKV_mfma4_kernelIDF16_DF16_LN4vllm18Fp8KVCacheDataTypeE0EhLi16ELi64ELi256ELb0ELi2EEvPKT_PKT0_S7_ifPKiS9_S9_iPKfiiiPfSC_PS2_PT2_iSB_SB_
; %bb.0:
	s_add_u32 s8, s0, 0x90
	s_addc_u32 s9, s1, 0
	s_getpc_b64 s[0:1]
	s_add_u32 s0, s0, __PRETTY_FUNCTION__._Z38paged_attention_ll4mi_QKV_mfma4_kernelIDF16_DF16_LN4vllm18Fp8KVCacheDataTypeE0EhLi16ELi64ELi256ELb0ELi2EEvPKT_PKT0_S7_ifPKiS9_S9_iPKfiiiPfSC_PS2_PT2_iSB_SB_@rel32@lo+4
	s_addc_u32 s1, s1, __PRETTY_FUNCTION__._Z38paged_attention_ll4mi_QKV_mfma4_kernelIDF16_DF16_LN4vllm18Fp8KVCacheDataTypeE0EhLi16ELi64ELi256ELb0ELi2EEvPKT_PKT0_S7_ifPKiS9_S9_iPKfiiiPfSC_PS2_PT2_iSB_SB_@rel32@hi+12
	s_delay_alu instid0(SALU_CYCLE_1) | instskip(SKIP_4) | instid1(SALU_CYCLE_1)
	v_dual_mov_b32 v0, s0 :: v_dual_mov_b32 v1, s1
	s_mov_b32 s32, 0
	s_getpc_b64 s[2:3]
	s_add_u32 s2, s2, __assert_fail@rel32@lo+4
	s_addc_u32 s3, s3, __assert_fail@rel32@hi+12
	s_swappc_b64 s[30:31], s[2:3]
	.section	.rodata,"a",@progbits
	.p2align	6, 0x0
	.amdhsa_kernel _Z38paged_attention_ll4mi_QKV_mfma4_kernelIDF16_DF16_LN4vllm18Fp8KVCacheDataTypeE0EhLi16ELi64ELi256ELb0ELi2EEvPKT_PKT0_S7_ifPKiS9_S9_iPKfiiiPfSC_PS2_PT2_iSB_SB_
		.amdhsa_group_segment_fixed_size 0
		.amdhsa_private_segment_fixed_size 64
		.amdhsa_kernarg_size 400
		.amdhsa_user_sgpr_count 15
		.amdhsa_user_sgpr_dispatch_ptr 0
		.amdhsa_user_sgpr_queue_ptr 0
		.amdhsa_user_sgpr_kernarg_segment_ptr 1
		.amdhsa_user_sgpr_dispatch_id 0
		.amdhsa_user_sgpr_private_segment_size 0
		.amdhsa_wavefront_size32 1
		.amdhsa_uses_dynamic_stack 0
		.amdhsa_enable_private_segment 1
		.amdhsa_system_sgpr_workgroup_id_x 1
		.amdhsa_system_sgpr_workgroup_id_y 0
		.amdhsa_system_sgpr_workgroup_id_z 0
		.amdhsa_system_sgpr_workgroup_info 0
		.amdhsa_system_vgpr_workitem_id 0
		.amdhsa_next_free_vgpr 41
		.amdhsa_next_free_sgpr 34
		.amdhsa_reserve_vcc 1
		.amdhsa_float_round_mode_32 0
		.amdhsa_float_round_mode_16_64 0
		.amdhsa_float_denorm_mode_32 3
		.amdhsa_float_denorm_mode_16_64 3
		.amdhsa_dx10_clamp 1
		.amdhsa_ieee_mode 1
		.amdhsa_fp16_overflow 0
		.amdhsa_workgroup_processor_mode 1
		.amdhsa_memory_ordered 1
		.amdhsa_forward_progress 0
		.amdhsa_shared_vgpr_count 0
		.amdhsa_exception_fp_ieee_invalid_op 0
		.amdhsa_exception_fp_denorm_src 0
		.amdhsa_exception_fp_ieee_div_zero 0
		.amdhsa_exception_fp_ieee_overflow 0
		.amdhsa_exception_fp_ieee_underflow 0
		.amdhsa_exception_fp_ieee_inexact 0
		.amdhsa_exception_int_div_zero 0
	.end_amdhsa_kernel
	.section	.text._Z38paged_attention_ll4mi_QKV_mfma4_kernelIDF16_DF16_LN4vllm18Fp8KVCacheDataTypeE0EhLi16ELi64ELi256ELb0ELi2EEvPKT_PKT0_S7_ifPKiS9_S9_iPKfiiiPfSC_PS2_PT2_iSB_SB_,"axG",@progbits,_Z38paged_attention_ll4mi_QKV_mfma4_kernelIDF16_DF16_LN4vllm18Fp8KVCacheDataTypeE0EhLi16ELi64ELi256ELb0ELi2EEvPKT_PKT0_S7_ifPKiS9_S9_iPKfiiiPfSC_PS2_PT2_iSB_SB_,comdat
.Lfunc_end39:
	.size	_Z38paged_attention_ll4mi_QKV_mfma4_kernelIDF16_DF16_LN4vllm18Fp8KVCacheDataTypeE0EhLi16ELi64ELi256ELb0ELi2EEvPKT_PKT0_S7_ifPKiS9_S9_iPKfiiiPfSC_PS2_PT2_iSB_SB_, .Lfunc_end39-_Z38paged_attention_ll4mi_QKV_mfma4_kernelIDF16_DF16_LN4vllm18Fp8KVCacheDataTypeE0EhLi16ELi64ELi256ELb0ELi2EEvPKT_PKT0_S7_ifPKiS9_S9_iPKfiiiPfSC_PS2_PT2_iSB_SB_
                                        ; -- End function
	.section	.AMDGPU.csdata,"",@progbits
; Kernel info:
; codeLenInByte = 72
; NumSgprs: 36
; NumVgprs: 41
; ScratchSize: 64
; MemoryBound: 0
; FloatMode: 240
; IeeeMode: 1
; LDSByteSize: 0 bytes/workgroup (compile time only)
; SGPRBlocks: 4
; VGPRBlocks: 5
; NumSGPRsForWavesPerEU: 36
; NumVGPRsForWavesPerEU: 41
; Occupancy: 16
; WaveLimiterHint : 1
; COMPUTE_PGM_RSRC2:SCRATCH_EN: 1
; COMPUTE_PGM_RSRC2:USER_SGPR: 15
; COMPUTE_PGM_RSRC2:TRAP_HANDLER: 0
; COMPUTE_PGM_RSRC2:TGID_X_EN: 1
; COMPUTE_PGM_RSRC2:TGID_Y_EN: 0
; COMPUTE_PGM_RSRC2:TGID_Z_EN: 0
; COMPUTE_PGM_RSRC2:TIDIG_COMP_CNT: 0
	.section	.text._Z38paged_attention_ll4mi_QKV_mfma4_kernelIDF16_DF16_LN4vllm18Fp8KVCacheDataTypeE0EhLi16ELi64ELi256ELb0ELi3EEvPKT_PKT0_S7_ifPKiS9_S9_iPKfiiiPfSC_PS2_PT2_iSB_SB_,"axG",@progbits,_Z38paged_attention_ll4mi_QKV_mfma4_kernelIDF16_DF16_LN4vllm18Fp8KVCacheDataTypeE0EhLi16ELi64ELi256ELb0ELi3EEvPKT_PKT0_S7_ifPKiS9_S9_iPKfiiiPfSC_PS2_PT2_iSB_SB_,comdat
	.protected	_Z38paged_attention_ll4mi_QKV_mfma4_kernelIDF16_DF16_LN4vllm18Fp8KVCacheDataTypeE0EhLi16ELi64ELi256ELb0ELi3EEvPKT_PKT0_S7_ifPKiS9_S9_iPKfiiiPfSC_PS2_PT2_iSB_SB_ ; -- Begin function _Z38paged_attention_ll4mi_QKV_mfma4_kernelIDF16_DF16_LN4vllm18Fp8KVCacheDataTypeE0EhLi16ELi64ELi256ELb0ELi3EEvPKT_PKT0_S7_ifPKiS9_S9_iPKfiiiPfSC_PS2_PT2_iSB_SB_
	.globl	_Z38paged_attention_ll4mi_QKV_mfma4_kernelIDF16_DF16_LN4vllm18Fp8KVCacheDataTypeE0EhLi16ELi64ELi256ELb0ELi3EEvPKT_PKT0_S7_ifPKiS9_S9_iPKfiiiPfSC_PS2_PT2_iSB_SB_
	.p2align	8
	.type	_Z38paged_attention_ll4mi_QKV_mfma4_kernelIDF16_DF16_LN4vllm18Fp8KVCacheDataTypeE0EhLi16ELi64ELi256ELb0ELi3EEvPKT_PKT0_S7_ifPKiS9_S9_iPKfiiiPfSC_PS2_PT2_iSB_SB_,@function
_Z38paged_attention_ll4mi_QKV_mfma4_kernelIDF16_DF16_LN4vllm18Fp8KVCacheDataTypeE0EhLi16ELi64ELi256ELb0ELi3EEvPKT_PKT0_S7_ifPKiS9_S9_iPKfiiiPfSC_PS2_PT2_iSB_SB_: ; @_Z38paged_attention_ll4mi_QKV_mfma4_kernelIDF16_DF16_LN4vllm18Fp8KVCacheDataTypeE0EhLi16ELi64ELi256ELb0ELi3EEvPKT_PKT0_S7_ifPKiS9_S9_iPKfiiiPfSC_PS2_PT2_iSB_SB_
; %bb.0:
	s_add_u32 s8, s0, 0x90
	s_addc_u32 s9, s1, 0
	s_getpc_b64 s[0:1]
	s_add_u32 s0, s0, __PRETTY_FUNCTION__._Z38paged_attention_ll4mi_QKV_mfma4_kernelIDF16_DF16_LN4vllm18Fp8KVCacheDataTypeE0EhLi16ELi64ELi256ELb0ELi3EEvPKT_PKT0_S7_ifPKiS9_S9_iPKfiiiPfSC_PS2_PT2_iSB_SB_@rel32@lo+4
	s_addc_u32 s1, s1, __PRETTY_FUNCTION__._Z38paged_attention_ll4mi_QKV_mfma4_kernelIDF16_DF16_LN4vllm18Fp8KVCacheDataTypeE0EhLi16ELi64ELi256ELb0ELi3EEvPKT_PKT0_S7_ifPKiS9_S9_iPKfiiiPfSC_PS2_PT2_iSB_SB_@rel32@hi+12
	s_delay_alu instid0(SALU_CYCLE_1) | instskip(SKIP_4) | instid1(SALU_CYCLE_1)
	v_dual_mov_b32 v0, s0 :: v_dual_mov_b32 v1, s1
	s_mov_b32 s32, 0
	s_getpc_b64 s[2:3]
	s_add_u32 s2, s2, __assert_fail@rel32@lo+4
	s_addc_u32 s3, s3, __assert_fail@rel32@hi+12
	s_swappc_b64 s[30:31], s[2:3]
	.section	.rodata,"a",@progbits
	.p2align	6, 0x0
	.amdhsa_kernel _Z38paged_attention_ll4mi_QKV_mfma4_kernelIDF16_DF16_LN4vllm18Fp8KVCacheDataTypeE0EhLi16ELi64ELi256ELb0ELi3EEvPKT_PKT0_S7_ifPKiS9_S9_iPKfiiiPfSC_PS2_PT2_iSB_SB_
		.amdhsa_group_segment_fixed_size 0
		.amdhsa_private_segment_fixed_size 64
		.amdhsa_kernarg_size 400
		.amdhsa_user_sgpr_count 15
		.amdhsa_user_sgpr_dispatch_ptr 0
		.amdhsa_user_sgpr_queue_ptr 0
		.amdhsa_user_sgpr_kernarg_segment_ptr 1
		.amdhsa_user_sgpr_dispatch_id 0
		.amdhsa_user_sgpr_private_segment_size 0
		.amdhsa_wavefront_size32 1
		.amdhsa_uses_dynamic_stack 0
		.amdhsa_enable_private_segment 1
		.amdhsa_system_sgpr_workgroup_id_x 1
		.amdhsa_system_sgpr_workgroup_id_y 0
		.amdhsa_system_sgpr_workgroup_id_z 0
		.amdhsa_system_sgpr_workgroup_info 0
		.amdhsa_system_vgpr_workitem_id 0
		.amdhsa_next_free_vgpr 41
		.amdhsa_next_free_sgpr 34
		.amdhsa_reserve_vcc 1
		.amdhsa_float_round_mode_32 0
		.amdhsa_float_round_mode_16_64 0
		.amdhsa_float_denorm_mode_32 3
		.amdhsa_float_denorm_mode_16_64 3
		.amdhsa_dx10_clamp 1
		.amdhsa_ieee_mode 1
		.amdhsa_fp16_overflow 0
		.amdhsa_workgroup_processor_mode 1
		.amdhsa_memory_ordered 1
		.amdhsa_forward_progress 0
		.amdhsa_shared_vgpr_count 0
		.amdhsa_exception_fp_ieee_invalid_op 0
		.amdhsa_exception_fp_denorm_src 0
		.amdhsa_exception_fp_ieee_div_zero 0
		.amdhsa_exception_fp_ieee_overflow 0
		.amdhsa_exception_fp_ieee_underflow 0
		.amdhsa_exception_fp_ieee_inexact 0
		.amdhsa_exception_int_div_zero 0
	.end_amdhsa_kernel
	.section	.text._Z38paged_attention_ll4mi_QKV_mfma4_kernelIDF16_DF16_LN4vllm18Fp8KVCacheDataTypeE0EhLi16ELi64ELi256ELb0ELi3EEvPKT_PKT0_S7_ifPKiS9_S9_iPKfiiiPfSC_PS2_PT2_iSB_SB_,"axG",@progbits,_Z38paged_attention_ll4mi_QKV_mfma4_kernelIDF16_DF16_LN4vllm18Fp8KVCacheDataTypeE0EhLi16ELi64ELi256ELb0ELi3EEvPKT_PKT0_S7_ifPKiS9_S9_iPKfiiiPfSC_PS2_PT2_iSB_SB_,comdat
.Lfunc_end40:
	.size	_Z38paged_attention_ll4mi_QKV_mfma4_kernelIDF16_DF16_LN4vllm18Fp8KVCacheDataTypeE0EhLi16ELi64ELi256ELb0ELi3EEvPKT_PKT0_S7_ifPKiS9_S9_iPKfiiiPfSC_PS2_PT2_iSB_SB_, .Lfunc_end40-_Z38paged_attention_ll4mi_QKV_mfma4_kernelIDF16_DF16_LN4vllm18Fp8KVCacheDataTypeE0EhLi16ELi64ELi256ELb0ELi3EEvPKT_PKT0_S7_ifPKiS9_S9_iPKfiiiPfSC_PS2_PT2_iSB_SB_
                                        ; -- End function
	.section	.AMDGPU.csdata,"",@progbits
; Kernel info:
; codeLenInByte = 72
; NumSgprs: 36
; NumVgprs: 41
; ScratchSize: 64
; MemoryBound: 0
; FloatMode: 240
; IeeeMode: 1
; LDSByteSize: 0 bytes/workgroup (compile time only)
; SGPRBlocks: 4
; VGPRBlocks: 5
; NumSGPRsForWavesPerEU: 36
; NumVGPRsForWavesPerEU: 41
; Occupancy: 16
; WaveLimiterHint : 1
; COMPUTE_PGM_RSRC2:SCRATCH_EN: 1
; COMPUTE_PGM_RSRC2:USER_SGPR: 15
; COMPUTE_PGM_RSRC2:TRAP_HANDLER: 0
; COMPUTE_PGM_RSRC2:TGID_X_EN: 1
; COMPUTE_PGM_RSRC2:TGID_Y_EN: 0
; COMPUTE_PGM_RSRC2:TGID_Z_EN: 0
; COMPUTE_PGM_RSRC2:TIDIG_COMP_CNT: 0
	.section	.text._Z38paged_attention_ll4mi_QKV_mfma4_kernelIDF16_DF16_LN4vllm18Fp8KVCacheDataTypeE0EhLi16ELi64ELi256ELb0ELi4EEvPKT_PKT0_S7_ifPKiS9_S9_iPKfiiiPfSC_PS2_PT2_iSB_SB_,"axG",@progbits,_Z38paged_attention_ll4mi_QKV_mfma4_kernelIDF16_DF16_LN4vllm18Fp8KVCacheDataTypeE0EhLi16ELi64ELi256ELb0ELi4EEvPKT_PKT0_S7_ifPKiS9_S9_iPKfiiiPfSC_PS2_PT2_iSB_SB_,comdat
	.protected	_Z38paged_attention_ll4mi_QKV_mfma4_kernelIDF16_DF16_LN4vllm18Fp8KVCacheDataTypeE0EhLi16ELi64ELi256ELb0ELi4EEvPKT_PKT0_S7_ifPKiS9_S9_iPKfiiiPfSC_PS2_PT2_iSB_SB_ ; -- Begin function _Z38paged_attention_ll4mi_QKV_mfma4_kernelIDF16_DF16_LN4vllm18Fp8KVCacheDataTypeE0EhLi16ELi64ELi256ELb0ELi4EEvPKT_PKT0_S7_ifPKiS9_S9_iPKfiiiPfSC_PS2_PT2_iSB_SB_
	.globl	_Z38paged_attention_ll4mi_QKV_mfma4_kernelIDF16_DF16_LN4vllm18Fp8KVCacheDataTypeE0EhLi16ELi64ELi256ELb0ELi4EEvPKT_PKT0_S7_ifPKiS9_S9_iPKfiiiPfSC_PS2_PT2_iSB_SB_
	.p2align	8
	.type	_Z38paged_attention_ll4mi_QKV_mfma4_kernelIDF16_DF16_LN4vllm18Fp8KVCacheDataTypeE0EhLi16ELi64ELi256ELb0ELi4EEvPKT_PKT0_S7_ifPKiS9_S9_iPKfiiiPfSC_PS2_PT2_iSB_SB_,@function
_Z38paged_attention_ll4mi_QKV_mfma4_kernelIDF16_DF16_LN4vllm18Fp8KVCacheDataTypeE0EhLi16ELi64ELi256ELb0ELi4EEvPKT_PKT0_S7_ifPKiS9_S9_iPKfiiiPfSC_PS2_PT2_iSB_SB_: ; @_Z38paged_attention_ll4mi_QKV_mfma4_kernelIDF16_DF16_LN4vllm18Fp8KVCacheDataTypeE0EhLi16ELi64ELi256ELb0ELi4EEvPKT_PKT0_S7_ifPKiS9_S9_iPKfiiiPfSC_PS2_PT2_iSB_SB_
; %bb.0:
	s_add_u32 s8, s0, 0x90
	s_addc_u32 s9, s1, 0
	s_getpc_b64 s[0:1]
	s_add_u32 s0, s0, __PRETTY_FUNCTION__._Z38paged_attention_ll4mi_QKV_mfma4_kernelIDF16_DF16_LN4vllm18Fp8KVCacheDataTypeE0EhLi16ELi64ELi256ELb0ELi4EEvPKT_PKT0_S7_ifPKiS9_S9_iPKfiiiPfSC_PS2_PT2_iSB_SB_@rel32@lo+4
	s_addc_u32 s1, s1, __PRETTY_FUNCTION__._Z38paged_attention_ll4mi_QKV_mfma4_kernelIDF16_DF16_LN4vllm18Fp8KVCacheDataTypeE0EhLi16ELi64ELi256ELb0ELi4EEvPKT_PKT0_S7_ifPKiS9_S9_iPKfiiiPfSC_PS2_PT2_iSB_SB_@rel32@hi+12
	s_delay_alu instid0(SALU_CYCLE_1) | instskip(SKIP_4) | instid1(SALU_CYCLE_1)
	v_dual_mov_b32 v0, s0 :: v_dual_mov_b32 v1, s1
	s_mov_b32 s32, 0
	s_getpc_b64 s[2:3]
	s_add_u32 s2, s2, __assert_fail@rel32@lo+4
	s_addc_u32 s3, s3, __assert_fail@rel32@hi+12
	s_swappc_b64 s[30:31], s[2:3]
	.section	.rodata,"a",@progbits
	.p2align	6, 0x0
	.amdhsa_kernel _Z38paged_attention_ll4mi_QKV_mfma4_kernelIDF16_DF16_LN4vllm18Fp8KVCacheDataTypeE0EhLi16ELi64ELi256ELb0ELi4EEvPKT_PKT0_S7_ifPKiS9_S9_iPKfiiiPfSC_PS2_PT2_iSB_SB_
		.amdhsa_group_segment_fixed_size 0
		.amdhsa_private_segment_fixed_size 64
		.amdhsa_kernarg_size 400
		.amdhsa_user_sgpr_count 15
		.amdhsa_user_sgpr_dispatch_ptr 0
		.amdhsa_user_sgpr_queue_ptr 0
		.amdhsa_user_sgpr_kernarg_segment_ptr 1
		.amdhsa_user_sgpr_dispatch_id 0
		.amdhsa_user_sgpr_private_segment_size 0
		.amdhsa_wavefront_size32 1
		.amdhsa_uses_dynamic_stack 0
		.amdhsa_enable_private_segment 1
		.amdhsa_system_sgpr_workgroup_id_x 1
		.amdhsa_system_sgpr_workgroup_id_y 0
		.amdhsa_system_sgpr_workgroup_id_z 0
		.amdhsa_system_sgpr_workgroup_info 0
		.amdhsa_system_vgpr_workitem_id 0
		.amdhsa_next_free_vgpr 41
		.amdhsa_next_free_sgpr 34
		.amdhsa_reserve_vcc 1
		.amdhsa_float_round_mode_32 0
		.amdhsa_float_round_mode_16_64 0
		.amdhsa_float_denorm_mode_32 3
		.amdhsa_float_denorm_mode_16_64 3
		.amdhsa_dx10_clamp 1
		.amdhsa_ieee_mode 1
		.amdhsa_fp16_overflow 0
		.amdhsa_workgroup_processor_mode 1
		.amdhsa_memory_ordered 1
		.amdhsa_forward_progress 0
		.amdhsa_shared_vgpr_count 0
		.amdhsa_exception_fp_ieee_invalid_op 0
		.amdhsa_exception_fp_denorm_src 0
		.amdhsa_exception_fp_ieee_div_zero 0
		.amdhsa_exception_fp_ieee_overflow 0
		.amdhsa_exception_fp_ieee_underflow 0
		.amdhsa_exception_fp_ieee_inexact 0
		.amdhsa_exception_int_div_zero 0
	.end_amdhsa_kernel
	.section	.text._Z38paged_attention_ll4mi_QKV_mfma4_kernelIDF16_DF16_LN4vllm18Fp8KVCacheDataTypeE0EhLi16ELi64ELi256ELb0ELi4EEvPKT_PKT0_S7_ifPKiS9_S9_iPKfiiiPfSC_PS2_PT2_iSB_SB_,"axG",@progbits,_Z38paged_attention_ll4mi_QKV_mfma4_kernelIDF16_DF16_LN4vllm18Fp8KVCacheDataTypeE0EhLi16ELi64ELi256ELb0ELi4EEvPKT_PKT0_S7_ifPKiS9_S9_iPKfiiiPfSC_PS2_PT2_iSB_SB_,comdat
.Lfunc_end41:
	.size	_Z38paged_attention_ll4mi_QKV_mfma4_kernelIDF16_DF16_LN4vllm18Fp8KVCacheDataTypeE0EhLi16ELi64ELi256ELb0ELi4EEvPKT_PKT0_S7_ifPKiS9_S9_iPKfiiiPfSC_PS2_PT2_iSB_SB_, .Lfunc_end41-_Z38paged_attention_ll4mi_QKV_mfma4_kernelIDF16_DF16_LN4vllm18Fp8KVCacheDataTypeE0EhLi16ELi64ELi256ELb0ELi4EEvPKT_PKT0_S7_ifPKiS9_S9_iPKfiiiPfSC_PS2_PT2_iSB_SB_
                                        ; -- End function
	.section	.AMDGPU.csdata,"",@progbits
; Kernel info:
; codeLenInByte = 72
; NumSgprs: 36
; NumVgprs: 41
; ScratchSize: 64
; MemoryBound: 0
; FloatMode: 240
; IeeeMode: 1
; LDSByteSize: 0 bytes/workgroup (compile time only)
; SGPRBlocks: 4
; VGPRBlocks: 5
; NumSGPRsForWavesPerEU: 36
; NumVGPRsForWavesPerEU: 41
; Occupancy: 16
; WaveLimiterHint : 1
; COMPUTE_PGM_RSRC2:SCRATCH_EN: 1
; COMPUTE_PGM_RSRC2:USER_SGPR: 15
; COMPUTE_PGM_RSRC2:TRAP_HANDLER: 0
; COMPUTE_PGM_RSRC2:TGID_X_EN: 1
; COMPUTE_PGM_RSRC2:TGID_Y_EN: 0
; COMPUTE_PGM_RSRC2:TGID_Z_EN: 0
; COMPUTE_PGM_RSRC2:TIDIG_COMP_CNT: 0
	.section	.text._Z39paged_attention_ll4mi_QKV_mfma16_kernelIDF16_DF16_LN4vllm18Fp8KVCacheDataTypeE0EhLi16ELi64ELi256ELb0ELi5EL8MFMAType0EEvPKT_PKT0_S8_ifPKiSA_SA_iPKfiiiPfSD_PS3_PT2_iSC_SC_,"axG",@progbits,_Z39paged_attention_ll4mi_QKV_mfma16_kernelIDF16_DF16_LN4vllm18Fp8KVCacheDataTypeE0EhLi16ELi64ELi256ELb0ELi5EL8MFMAType0EEvPKT_PKT0_S8_ifPKiSA_SA_iPKfiiiPfSD_PS3_PT2_iSC_SC_,comdat
	.protected	_Z39paged_attention_ll4mi_QKV_mfma16_kernelIDF16_DF16_LN4vllm18Fp8KVCacheDataTypeE0EhLi16ELi64ELi256ELb0ELi5EL8MFMAType0EEvPKT_PKT0_S8_ifPKiSA_SA_iPKfiiiPfSD_PS3_PT2_iSC_SC_ ; -- Begin function _Z39paged_attention_ll4mi_QKV_mfma16_kernelIDF16_DF16_LN4vllm18Fp8KVCacheDataTypeE0EhLi16ELi64ELi256ELb0ELi5EL8MFMAType0EEvPKT_PKT0_S8_ifPKiSA_SA_iPKfiiiPfSD_PS3_PT2_iSC_SC_
	.globl	_Z39paged_attention_ll4mi_QKV_mfma16_kernelIDF16_DF16_LN4vllm18Fp8KVCacheDataTypeE0EhLi16ELi64ELi256ELb0ELi5EL8MFMAType0EEvPKT_PKT0_S8_ifPKiSA_SA_iPKfiiiPfSD_PS3_PT2_iSC_SC_
	.p2align	8
	.type	_Z39paged_attention_ll4mi_QKV_mfma16_kernelIDF16_DF16_LN4vllm18Fp8KVCacheDataTypeE0EhLi16ELi64ELi256ELb0ELi5EL8MFMAType0EEvPKT_PKT0_S8_ifPKiSA_SA_iPKfiiiPfSD_PS3_PT2_iSC_SC_,@function
_Z39paged_attention_ll4mi_QKV_mfma16_kernelIDF16_DF16_LN4vllm18Fp8KVCacheDataTypeE0EhLi16ELi64ELi256ELb0ELi5EL8MFMAType0EEvPKT_PKT0_S8_ifPKiSA_SA_iPKfiiiPfSD_PS3_PT2_iSC_SC_: ; @_Z39paged_attention_ll4mi_QKV_mfma16_kernelIDF16_DF16_LN4vllm18Fp8KVCacheDataTypeE0EhLi16ELi64ELi256ELb0ELi5EL8MFMAType0EEvPKT_PKT0_S8_ifPKiSA_SA_iPKfiiiPfSD_PS3_PT2_iSC_SC_
; %bb.0:
	s_load_b64 s[2:3], s[0:1], 0x30
	s_mov_b32 s34, s13
	s_waitcnt lgkmcnt(0)
	s_cmp_lg_u64 s[2:3], 0
	s_cselect_b32 s8, -1, 0
	s_ashr_i32 s35, s13, 31
	s_cmp_eq_u64 s[2:3], 0
	s_cbranch_scc1 .LBB42_3
; %bb.1:
	s_lshl_b64 s[4:5], s[34:35], 2
	s_delay_alu instid0(SALU_CYCLE_1) | instskip(SKIP_4) | instid1(SALU_CYCLE_1)
	s_add_u32 s4, s2, s4
	s_addc_u32 s5, s3, s5
	s_load_b64 s[4:5], s[4:5], 0x0
	s_waitcnt lgkmcnt(0)
	s_sub_i32 s4, s5, s4
	s_cmp_eq_u32 s4, 1
	s_cselect_b32 s4, -1, 0
	s_delay_alu instid0(SALU_CYCLE_1)
	s_and_not1_b32 vcc_lo, exec_lo, s4
	s_cbranch_vccz .LBB42_4
.LBB42_2:
	s_nop 0
	s_sendmsg sendmsg(MSG_DEALLOC_VGPRS)
	s_endpgm
.LBB42_3:
.LBB42_4:
	s_load_b64 s[4:5], s[0:1], 0x28
	s_lshl_b64 s[6:7], s[34:35], 2
	s_waitcnt lgkmcnt(0)
	s_add_u32 s4, s4, s6
	s_addc_u32 s5, s5, s7
	s_lshl_b32 s31, s14, 8
	s_load_b32 s30, s[4:5], 0x0
	s_waitcnt lgkmcnt(0)
	s_cmp_ge_i32 s31, s30
	s_cbranch_scc1 .LBB42_2
; %bb.5:
	s_clause 0x1
	s_load_b128 s[20:23], s[0:1], 0x8
	s_load_b64 s[4:5], s[0:1], 0x20
	s_and_not1_b32 vcc_lo, exec_lo, s8
	s_cbranch_vccnz .LBB42_7
; %bb.6:
	s_add_u32 s2, s2, s6
	s_addc_u32 s3, s3, s7
	s_load_b32 s3, s[2:3], 0x0
	s_branch .LBB42_8
.LBB42_7:
	s_mov_b32 s3, s34
.LBB42_8:
	s_load_b128 s[16:19], s[0:1], 0x48
	v_lshrrev_b32_e32 v149, 5, v0
	v_bfe_u32 v146, v0, 4, 1
	v_and_b32_e32 v148, 15, v0
	v_and_b32_e32 v150, 31, v0
	;; [unrolled: 1-line block ×3, first 2 shown]
	s_mul_i32 s33, s15, 5
	v_lshl_or_b32 v1, v149, 1, v146
	v_lshlrev_b32_e32 v2, 3, v148
	v_cmp_gt_u32_e64 s2, 8, v148
	s_delay_alu instid0(VALU_DEP_3) | instskip(NEXT) | instid1(VALU_DEP_3)
	v_cmp_gt_u32_e32 vcc_lo, 5, v1
	v_lshlrev_b32_e32 v145, 1, v2
	s_delay_alu instid0(VALU_DEP_3) | instskip(NEXT) | instid1(SALU_CYCLE_1)
	s_and_b32 s7, s2, vcc_lo
	s_and_saveexec_b32 s6, s7
	s_cbranch_execz .LBB42_10
; %bb.9:
	s_load_b64 s[8:9], s[0:1], 0x0
	v_add_lshl_u32 v2, v1, s33, 6
	s_waitcnt lgkmcnt(0)
	s_mul_hi_i32 s11, s3, s16
	s_mul_i32 s10, s3, s16
	v_lshlrev_b32_e32 v6, 10, v148
	s_lshl_b64 s[10:11], s[10:11], 1
	v_ashrrev_i32_e32 v3, 31, v2
	v_lshlrev_b32_e32 v1, 6, v1
	v_lshlrev_b32_e32 v7, 10, v147
	v_and_b32_e32 v6, 0x3800, v6
	s_delay_alu instid0(VALU_DEP_4) | instskip(NEXT) | instid1(VALU_DEP_2)
	v_lshlrev_b64 v[2:3], 1, v[2:3]
	v_or3_b32 v1, v6, v7, v1
	s_add_u32 s3, s8, s10
	s_addc_u32 s7, s9, s11
	s_delay_alu instid0(VALU_DEP_2) | instskip(NEXT) | instid1(VALU_DEP_3)
	v_add_co_u32 v2, vcc_lo, s3, v2
	v_add_co_ci_u32_e32 v3, vcc_lo, s7, v3, vcc_lo
	s_delay_alu instid0(VALU_DEP_2) | instskip(NEXT) | instid1(VALU_DEP_2)
	v_add_co_u32 v2, vcc_lo, v2, v145
	v_add_co_ci_u32_e32 v3, vcc_lo, 0, v3, vcc_lo
	global_load_b128 v[2:5], v[2:3], off
	s_waitcnt vmcnt(0)
	ds_store_b128 v1, v[2:5]
.LBB42_10:
	s_or_b32 exec_lo, exec_lo, s6
	v_and_b32_e32 v1, 0xef, v0
	s_waitcnt lgkmcnt(0)
	s_add_i32 s3, s30, 15
	s_clause 0x1
	s_load_b32 s6, s[0:1], 0x38
	s_load_b32 s35, s[0:1], 0x98
	s_ashr_i32 s7, s3, 31
	v_add_nc_u32_e32 v1, s31, v1
	s_lshr_b32 s7, s7, 28
	s_load_b32 s36, s[0:1], 0x1c
	s_add_i32 s3, s3, s7
	s_waitcnt lgkmcnt(0)
	v_ashrrev_i32_e32 v2, 31, v1
	v_or_b32_e32 v3, 16, v1
	s_ashr_i32 s3, s3, 4
	v_cmp_gt_i32_e32 vcc_lo, s30, v1
	s_add_i32 s3, s3, -1
	v_lshrrev_b32_e32 v2, 28, v2
	s_barrier
	buffer_gl0_inv
	v_add_nc_u32_e32 v4, v1, v2
	s_mul_i32 s6, s34, s6
	s_delay_alu instid0(SALU_CYCLE_1) | instskip(NEXT) | instid1(VALU_DEP_1)
	s_ashr_i32 s7, s6, 31
	v_ashrrev_i32_e32 v4, 4, v4
	v_add_nc_u32_e32 v2, v3, v2
	s_lshl_b64 s[6:7], s[6:7], 2
	s_delay_alu instid0(SALU_CYCLE_1) | instskip(NEXT) | instid1(VALU_DEP_2)
	s_add_u32 s16, s4, s6
	v_cndmask_b32_e32 v1, s3, v4, vcc_lo
	s_delay_alu instid0(VALU_DEP_2) | instskip(SKIP_3) | instid1(SALU_CYCLE_1)
	v_ashrrev_i32_e32 v2, 4, v2
	v_cmp_gt_i32_e32 vcc_lo, s30, v3
	s_addc_u32 s37, s5, s7
	s_mul_i32 s4, s15, s18
	s_ashr_i32 s5, s4, 31
	v_cndmask_b32_e32 v3, s3, v2, vcc_lo
	v_ashrrev_i32_e32 v2, 31, v1
	s_lshl_b64 s[12:13], s[4:5], 1
	s_delay_alu instid0(SALU_CYCLE_1) | instskip(NEXT) | instid1(VALU_DEP_2)
	s_add_u32 s26, s20, s12
	v_ashrrev_i32_e32 v4, 31, v3
	s_delay_alu instid0(VALU_DEP_2) | instskip(SKIP_2) | instid1(VALU_DEP_2)
	v_lshlrev_b64 v[1:2], 2, v[1:2]
	s_addc_u32 s27, s21, s13
	s_lshl_b32 s4, s14, 4
	v_lshlrev_b64 v[3:4], 2, v[3:4]
	s_ashr_i32 s5, s4, 31
	s_delay_alu instid0(VALU_DEP_2) | instskip(SKIP_1) | instid1(VALU_DEP_3)
	v_add_co_u32 v1, vcc_lo, s16, v1
	v_add_co_ci_u32_e32 v2, vcc_lo, s37, v2, vcc_lo
	v_add_co_u32 v3, vcc_lo, s16, v3
	s_delay_alu instid0(VALU_DEP_4)
	v_add_co_ci_u32_e32 v4, vcc_lo, s37, v4, vcc_lo
	s_clause 0x1
	global_load_b32 v5, v[1:2], off
	global_load_b32 v6, v[3:4], off
	s_lshl_b64 s[4:5], s[4:5], 2
	v_lshlrev_b32_e32 v3, 4, v0
	s_add_u32 s4, s16, s4
	s_addc_u32 s5, s37, s5
	s_or_b32 s6, s31, 16
	s_delay_alu instid0(SALU_CYCLE_1) | instskip(SKIP_2) | instid1(SALU_CYCLE_1)
	s_ashr_i32 s7, s6, 4
	s_cmp_lt_i32 s6, s30
	s_cselect_b32 s6, s7, s3
	s_ashr_i32 s7, s6, 31
	s_delay_alu instid0(SALU_CYCLE_1) | instskip(NEXT) | instid1(SALU_CYCLE_1)
	s_lshl_b64 s[6:7], s[6:7], 2
	s_add_u32 s6, s16, s6
	s_addc_u32 s7, s37, s7
	s_or_b32 s8, s31, 32
	s_delay_alu instid0(SALU_CYCLE_1) | instskip(SKIP_2) | instid1(SALU_CYCLE_1)
	s_ashr_i32 s9, s8, 4
	s_cmp_lt_i32 s8, s30
	s_cselect_b32 s8, s9, s3
	s_ashr_i32 s9, s8, 31
	s_delay_alu instid0(SALU_CYCLE_1) | instskip(NEXT) | instid1(SALU_CYCLE_1)
	s_lshl_b64 s[8:9], s[8:9], 2
	;; [unrolled: 10-line block ×5, first 2 shown]
	s_add_u32 s24, s16, s18
	s_addc_u32 s25, s37, s19
	s_clause 0x5
	s_load_b32 s38, s[4:5], 0x0
	s_load_b32 s29, s[6:7], 0x0
	;; [unrolled: 1-line block ×6, first 2 shown]
	s_waitcnt vmcnt(1)
	v_mad_i64_i32 v[1:2], null, v5, s17, 0
	v_and_b32_e32 v5, 0xf0, v3
	s_waitcnt vmcnt(0)
	v_mad_i64_i32 v[3:4], null, v6, s17, 0
	s_delay_alu instid0(VALU_DEP_2) | instskip(NEXT) | instid1(VALU_DEP_4)
	v_add_co_u32 v7, s4, s26, v5
	v_lshlrev_b64 v[1:2], 1, v[1:2]
	v_add_co_ci_u32_e64 v8, null, s27, 0, s4
	s_delay_alu instid0(VALU_DEP_4) | instskip(SKIP_1) | instid1(VALU_DEP_3)
	v_lshlrev_b64 v[5:6], 1, v[3:4]
	s_or_b32 s4, s31, 0x60
	v_add_co_u32 v3, vcc_lo, v7, v1
	s_delay_alu instid0(VALU_DEP_3) | instskip(NEXT) | instid1(VALU_DEP_3)
	v_add_co_ci_u32_e32 v4, vcc_lo, v8, v2, vcc_lo
	v_add_co_u32 v1, vcc_lo, v7, v5
	s_delay_alu instid0(VALU_DEP_4)
	v_add_co_ci_u32_e32 v2, vcc_lo, v8, v6, vcc_lo
	s_clause 0x9
	global_load_b128 v[9:12], v[3:4], off
	global_load_b128 v[13:16], v[3:4], off offset:256
	global_load_b128 v[129:132], v[1:2], off
	global_load_b128 v[133:136], v[1:2], off offset:256
	global_load_b128 v[41:44], v[3:4], off offset:512
	;; [unrolled: 1-line block ×7, first 2 shown]
	v_mul_lo_u16 v5, v148, 52
	s_clause 0x1
	global_load_b128 v[151:154], v[1:2], off offset:1024
	global_load_b128 v[155:158], v[1:2], off offset:1280
	s_ashr_i32 s5, s4, 4
	s_cmp_lt_i32 s4, s30
	v_lshlrev_b32_e32 v6, 5, v148
	v_lshrrev_b16 v5, 8, v5
	s_cselect_b32 s4, s5, s3
	s_delay_alu instid0(SALU_CYCLE_1) | instskip(NEXT) | instid1(VALU_DEP_2)
	s_ashr_i32 s5, s4, 31
	v_lshl_or_b32 v6, v149, 9, v6
	s_delay_alu instid0(VALU_DEP_2) | instskip(SKIP_1) | instid1(SALU_CYCLE_1)
	v_mul_lo_u16 v5, v5, 5
	s_lshl_b64 s[4:5], s[4:5], 2
	s_add_u32 s20, s16, s4
	s_addc_u32 s21, s37, s5
	s_delay_alu instid0(VALU_DEP_1) | instskip(SKIP_1) | instid1(SALU_CYCLE_1)
	v_sub_nc_u16 v5, v148, v5
	s_or_b32 s4, s31, 0x70
	s_ashr_i32 s5, s4, 4
	s_cmp_lt_i32 s4, s30
	s_delay_alu instid0(VALU_DEP_1) | instskip(SKIP_1) | instid1(SALU_CYCLE_1)
	v_and_b32_e32 v5, 0xff, v5
	s_cselect_b32 s4, s5, s3
	s_ashr_i32 s5, s4, 31
	s_delay_alu instid0(VALU_DEP_1)
	v_lshlrev_b32_e32 v197, 6, v5
	ds_load_b128 v[159:162], v197
	ds_load_b128 v[163:166], v197 offset:1024
	s_clause 0x3
	global_load_b128 v[167:170], v[3:4], off offset:1536
	global_load_b128 v[171:174], v[3:4], off offset:1792
	;; [unrolled: 1-line block ×4, first 2 shown]
	s_lshl_b64 s[6:7], s[4:5], 2
	s_mov_b32 s4, 0
	s_add_u32 s24, s16, s6
	s_addc_u32 s25, s37, s7
	s_or_b32 s5, s31, 0x80
	s_mov_b32 s11, s4
	s_ashr_i32 s6, s5, 4
	s_cmp_lt_i32 s5, s30
	s_mov_b32 s5, s4
	s_cselect_b32 s8, s6, s3
	s_mov_b32 s6, s4
	s_ashr_i32 s9, s8, 31
	s_mov_b32 s7, s4
	s_lshl_b64 s[8:9], s[8:9], 2
	s_clause 0x1
	s_load_b32 s45, s[20:21], 0x0
	s_load_b32 s46, s[24:25], 0x0
	s_add_u32 s26, s16, s8
	s_addc_u32 s27, s37, s9
	s_or_b32 s9, s31, 0x90
	s_mov_b32 s8, s4
	s_ashr_i32 s10, s9, 4
	s_cmp_lt_i32 s9, s30
	s_mov_b32 s9, s4
	s_cselect_b32 s40, s10, s3
	s_mov_b32 s10, s4
	s_ashr_i32 s41, s40, 31
	v_mov_b32_e32 v144, s11
	s_lshl_b64 s[40:41], s[40:41], 2
	v_mov_b32_e32 v143, s10
	s_add_u32 s40, s16, s40
	s_addc_u32 s41, s37, s41
	s_or_b32 s39, s31, 0xa0
	s_load_b32 s41, s[40:41], 0x0
	s_ashr_i32 s42, s39, 4
	s_cmp_lt_i32 s39, s30
	v_mov_b32_e32 v142, s9
	s_cselect_b32 s42, s42, s3
	v_mov_b32_e32 v141, s8
	s_ashr_i32 s43, s42, 31
	v_dual_mov_b32 v140, s7 :: v_dual_mov_b32 v139, s6
	v_dual_mov_b32 v138, s5 :: v_dual_mov_b32 v137, s4
	s_lshl_b64 s[4:5], s[42:43], 2
	s_waitcnt lgkmcnt(0)
	s_mul_hi_i32 s7, s29, s17
	s_add_u32 s42, s16, s4
	s_addc_u32 s43, s37, s5
	s_or_b32 s4, s31, 0xb0
	s_mul_hi_i32 s5, s38, s17
	s_ashr_i32 s6, s4, 4
	s_cmp_lt_i32 s4, s30
	s_mul_i32 s4, s38, s17
	s_cselect_b32 s8, s6, s3
	s_mul_i32 s6, s29, s17
	s_ashr_i32 s9, s8, 31
	s_load_b32 s40, s[42:43], 0x0
	s_lshl_b64 s[8:9], s[8:9], 2
	s_mul_hi_i32 s21, s15, s17
	s_add_u32 s38, s16, s8
	s_addc_u32 s39, s37, s9
	s_or_b32 s8, s31, 0xc0
	s_mul_hi_i32 s9, s28, s17
	s_ashr_i32 s10, s8, 4
	s_cmp_lt_i32 s8, s30
	s_mul_i32 s8, s28, s17
	s_cselect_b32 s28, s10, s3
	s_mul_hi_i32 s11, s19, s17
	s_ashr_i32 s29, s28, 31
	s_mul_i32 s10, s19, s17
	s_lshl_b64 s[28:29], s[28:29], 2
	s_mul_hi_i32 s19, s18, s17
	s_add_u32 s28, s16, s28
	s_addc_u32 s29, s37, s29
	s_or_b32 s44, s31, 0xd0
	s_mul_i32 s18, s18, s17
	s_ashr_i32 s20, s44, 4
	s_cmp_lt_i32 s44, s30
	s_load_b32 s44, s[26:27], 0x0
	s_cselect_b32 s24, s20, s3
	s_mul_i32 s20, s15, s17
	s_ashr_i32 s25, s24, 31
	s_mul_hi_i32 s27, s46, s17
	s_lshl_b64 s[24:25], s[24:25], 2
	s_mul_i32 s26, s46, s17
	s_add_u32 s24, s16, s24
	s_addc_u32 s25, s37, s25
	s_or_b32 s42, s31, 0xe0
	s_clause 0x2
	s_load_b32 s39, s[38:39], 0x0
	s_load_b32 s38, s[28:29], 0x0
	;; [unrolled: 1-line block ×3, first 2 shown]
	s_ashr_i32 s47, s42, 4
	s_cmp_lt_i32 s42, s30
	s_mul_hi_i32 s25, s45, s17
	s_mul_i32 s24, s45, s17
	s_mul_hi_i32 s43, s41, s17
	s_mul_i32 s42, s41, s17
	s_waitcnt lgkmcnt(0)
	s_mul_hi_i32 s41, s40, s17
	s_mul_i32 s40, s40, s17
	s_mul_hi_i32 s29, s44, s17
	s_mul_i32 s28, s44, s17
	s_cselect_b32 s44, s47, s3
	s_delay_alu instid0(SALU_CYCLE_1) | instskip(NEXT) | instid1(SALU_CYCLE_1)
	s_ashr_i32 s45, s44, 31
	s_lshl_b64 s[44:45], s[44:45], 2
	s_delay_alu instid0(SALU_CYCLE_1)
	s_add_u32 s44, s16, s44
	s_addc_u32 s45, s37, s45
	s_or_b32 s46, s31, 0xf0
	s_mul_hi_i32 s51, s15, s17
	s_ashr_i32 s48, s46, 4
	s_cmp_lt_i32 s46, s30
	s_mul_i32 s50, s15, s17
	s_cselect_b32 s48, s48, s3
	s_mul_hi_i32 s47, s39, s17
	s_ashr_i32 s49, s48, 31
	s_mul_i32 s46, s39, s17
	s_lshl_b64 s[48:49], s[48:49], 2
	s_mul_hi_i32 s39, s38, s17
	s_add_u32 s48, s16, s48
	s_addc_u32 s49, s37, s49
	s_add_u32 s3, s22, s12
	s_addc_u32 s15, s23, s13
	v_add_co_u32 v195, s3, s3, v6
	s_delay_alu instid0(VALU_DEP_1) | instskip(SKIP_2) | instid1(VALU_DEP_2)
	v_add_co_ci_u32_e64 v196, null, s15, 0, s3
	s_lshl_b64 s[4:5], s[4:5], 1
	s_lshl_b64 s[6:7], s[6:7], 1
	v_add_co_u32 v1, vcc_lo, v195, s4
	s_delay_alu instid0(VALU_DEP_2)
	v_add_co_ci_u32_e32 v2, vcc_lo, s5, v196, vcc_lo
	v_add_co_u32 v3, vcc_lo, v195, s6
	s_lshl_b64 s[8:9], s[8:9], 1
	v_add_co_ci_u32_e32 v4, vcc_lo, s7, v196, vcc_lo
	v_add_co_u32 v5, vcc_lo, v195, s8
	s_lshl_b64 s[10:11], s[10:11], 1
	v_add_co_ci_u32_e32 v6, vcc_lo, s9, v196, vcc_lo
	v_add_co_u32 v7, vcc_lo, v195, s10
	s_lshl_b64 s[12:13], s[18:19], 1
	v_add_co_ci_u32_e32 v8, vcc_lo, s11, v196, vcc_lo
	v_add_co_u32 v25, vcc_lo, v195, s12
	s_lshl_b64 s[18:19], s[20:21], 1
	v_add_co_ci_u32_e32 v26, vcc_lo, s13, v196, vcc_lo
	v_add_co_u32 v27, vcc_lo, v195, s18
	s_lshl_b64 s[20:21], s[24:25], 1
	v_add_co_ci_u32_e32 v28, vcc_lo, s19, v196, vcc_lo
	v_add_co_u32 v29, vcc_lo, v195, s20
	s_lshl_b64 s[22:23], s[26:27], 1
	v_add_co_ci_u32_e32 v30, vcc_lo, s21, v196, vcc_lo
	v_add_co_u32 v31, vcc_lo, v195, s22
	s_lshl_b64 s[24:25], s[28:29], 1
	v_add_co_ci_u32_e32 v32, vcc_lo, s23, v196, vcc_lo
	v_add_co_u32 v49, vcc_lo, v195, s24
	s_lshl_b64 s[26:27], s[42:43], 1
	v_add_co_ci_u32_e32 v50, vcc_lo, s25, v196, vcc_lo
	v_add_co_u32 v53, vcc_lo, v195, s26
	s_lshl_b64 s[28:29], s[40:41], 1
	v_add_co_ci_u32_e32 v54, vcc_lo, s27, v196, vcc_lo
	v_add_co_u32 v183, vcc_lo, v195, s28
	s_lshl_b64 s[40:41], s[46:47], 1
	s_mul_i32 s38, s38, s17
	v_add_co_ci_u32_e32 v184, vcc_lo, s29, v196, vcc_lo
	v_add_co_u32 v185, vcc_lo, v195, s40
	s_lshl_b64 s[38:39], s[38:39], 1
	s_clause 0x1
	s_load_b32 s3, s[44:45], 0x0
	s_load_b32 s15, s[48:49], 0x0
	v_add_co_ci_u32_e32 v186, vcc_lo, s41, v196, vcc_lo
	v_add_co_u32 v191, vcc_lo, v195, s38
	v_add_co_ci_u32_e32 v192, vcc_lo, s39, v196, vcc_lo
	s_clause 0x17
	global_load_b128 v[121:124], v[1:2], off
	global_load_b128 v[125:128], v[1:2], off offset:16
	global_load_b128 v[113:116], v[3:4], off
	global_load_b128 v[117:120], v[3:4], off offset:16
	;; [unrolled: 2-line block ×12, first 2 shown]
	s_lshl_b64 s[42:43], s[50:51], 1
	s_delay_alu instid0(SALU_CYCLE_1)
	v_add_co_u32 v193, vcc_lo, v195, s42
	v_add_co_ci_u32_e32 v194, vcc_lo, s43, v196, vcc_lo
	s_waitcnt lgkmcnt(0)
	s_mul_hi_i32 s5, s3, s17
	s_mul_i32 s4, s3, s17
	s_mul_hi_i32 s7, s15, s17
	s_lshl_b64 s[4:5], s[4:5], 1
	s_mul_i32 s6, s15, s17
	s_waitcnt vmcnt(38)
	v_wmma_f32_16x16x16_f16 v[183:190], v[9:16], v[159:166], v[137:144]
	s_waitcnt vmcnt(36)
	v_wmma_f32_16x16x16_f16 v[137:144], v[129:136], v[159:166], v[137:144]
	s_clause 0x1
	global_load_b128 v[9:12], v[191:192], off
	global_load_b128 v[13:16], v[191:192], off offset:16
	ds_load_b128 v[129:132], v197 offset:2048
	ds_load_b128 v[133:136], v197 offset:3072
	;; [unrolled: 1-line block ×4, first 2 shown]
	v_add_co_u32 v191, vcc_lo, v195, s4
	v_add_co_ci_u32_e32 v192, vcc_lo, s5, v196, vcc_lo
	s_lshl_b64 s[4:5], s[6:7], 1
	s_delay_alu instid0(SALU_CYCLE_1)
	v_add_co_u32 v195, vcc_lo, v195, s4
	v_add_co_ci_u32_e32 v196, vcc_lo, s5, v196, vcc_lo
	s_waitcnt vmcnt(36) lgkmcnt(2)
	v_wmma_f32_16x16x16_f16 v[183:190], v[41:48], v[129:136], v[183:190]
	s_waitcnt vmcnt(34)
	v_wmma_f32_16x16x16_f16 v[137:144], v[33:40], v[129:136], v[137:144]
	s_clause 0x3
	global_load_b128 v[33:36], v[193:194], off
	global_load_b128 v[37:40], v[193:194], off offset:16
	global_load_b128 v[41:44], v[191:192], off
	global_load_b128 v[45:48], v[191:192], off offset:16
	v_and_b32_e32 v129, 0xe0, v0
	v_mbcnt_lo_u32_b32 v191, -1, 0
	s_waitcnt vmcnt(36) lgkmcnt(0)
	v_wmma_f32_16x16x16_f16 v[183:190], v[17:24], v[159:166], v[183:190]
	s_clause 0x1
	global_load_b128 v[17:20], v[195:196], off
	global_load_b128 v[21:24], v[195:196], off offset:16
	s_waitcnt vmcnt(36)
	v_wmma_f32_16x16x16_f16 v[137:144], v[151:158], v[159:166], v[137:144]
	v_add_nc_u32_e32 v192, s31, v129
	ds_load_b128 v[129:132], v197 offset:6144
	ds_load_b128 v[133:136], v197 offset:7168
	v_xor_b32_e32 v151, 16, v191
	s_waitcnt vmcnt(0) lgkmcnt(0)
	s_barrier
	v_or_b32_e32 v152, v192, v146
	buffer_gl0_inv
	v_cmp_gt_i32_e32 vcc_lo, 32, v151
	v_or_b32_e32 v153, 2, v152
	v_or_b32_e32 v154, 4, v152
	;; [unrolled: 1-line block ×5, first 2 shown]
	v_cmp_gt_i32_e64 s3, s30, v153
	v_cmp_gt_i32_e64 s4, s30, v154
	;; [unrolled: 1-line block ×3, first 2 shown]
	v_or_b32_e32 v158, 12, v152
	v_or_b32_e32 v159, 14, v152
	v_cmp_gt_i32_e64 s6, s30, v156
	v_wmma_f32_16x16x16_f16 v[183:190], v[167:174], v[129:136], v[183:190]
	v_wmma_f32_16x16x16_f16 v[137:144], v[175:182], v[129:136], v[137:144]
	v_cndmask_b32_e32 v151, v191, v151, vcc_lo
	v_cmp_gt_i32_e32 vcc_lo, s30, v152
	v_cmp_gt_i32_e64 s7, s30, v157
	v_dual_mul_f32 v135, s36, v184 :: v_dual_mul_f32 v136, s36, v183
	v_mul_f32_e32 v134, s36, v185
	v_dual_mul_f32 v168, s36, v144 :: v_dual_mul_f32 v133, s36, v186
	s_delay_alu instid0(VALU_DEP_3) | instskip(NEXT) | instid1(VALU_DEP_4)
	v_cndmask_b32_e64 v135, 0xff7fffff, v135, s3
	v_cndmask_b32_e32 v136, 0xff7fffff, v136, vcc_lo
	v_dual_mul_f32 v131, s36, v188 :: v_dual_mul_f32 v174, s36, v138
	v_mul_f32_e32 v132, s36, v187
	v_cndmask_b32_e64 v134, 0xff7fffff, v134, s4
	v_cndmask_b32_e64 v133, 0xff7fffff, v133, s5
	v_max3_f32 v135, v136, 0xff7fffff, v135
	v_or_b32_e32 v160, 16, v152
	v_or_b32_e32 v161, 18, v152
	v_dual_mul_f32 v129, s36, v190 :: v_dual_mul_f32 v172, s36, v140
	v_mul_f32_e32 v130, s36, v189
	v_cndmask_b32_e64 v132, 0xff7fffff, v132, s6
	v_cndmask_b32_e64 v131, 0xff7fffff, v131, s7
	v_max3_f32 v133, v135, v134, v133
	v_cmp_gt_i32_e64 s8, s30, v158
	v_cmp_gt_i32_e64 s9, s30, v159
	v_or_b32_e32 v162, 20, v152
	v_or_b32_e32 v163, 22, v152
	v_mul_f32_e32 v175, s36, v137
	v_cndmask_b32_e64 v130, 0xff7fffff, v130, s8
	v_cndmask_b32_e64 v129, 0xff7fffff, v129, s9
	v_max3_f32 v131, v133, v132, v131
	v_cmp_gt_i32_e64 s10, s30, v160
	v_cmp_gt_i32_e64 s11, s30, v161
	v_or_b32_e32 v164, 24, v152
	v_or_b32_e32 v165, 26, v152
	;; [unrolled: 8-line block ×3, first 2 shown]
	v_dual_mul_f32 v170, s36, v142 :: v_dual_mul_f32 v171, s36, v141
	v_cndmask_b32_e64 v130, 0xff7fffff, v173, s12
	v_cndmask_b32_e64 v131, 0xff7fffff, v172, s13
	v_max3_f32 v129, v129, v132, v133
	v_cmp_gt_i32_e64 s15, s30, v164
	v_cmp_gt_i32_e64 s16, s30, v165
	v_mul_f32_e32 v169, s36, v143
	v_cmp_gt_i32_e64 s17, s30, v166
	v_max3_f32 v129, v129, v130, v131
	v_cndmask_b32_e64 v132, 0xff7fffff, v171, s15
	v_cndmask_b32_e64 v133, 0xff7fffff, v170, s16
	v_cmp_gt_i32_e64 s18, s30, v167
	v_cndmask_b32_e64 v130, 0xff7fffff, v169, s17
	s_delay_alu instid0(VALU_DEP_3) | instskip(NEXT) | instid1(VALU_DEP_3)
	v_max3_f32 v129, v129, v132, v133
	v_cndmask_b32_e64 v131, 0xff7fffff, v168, s18
	v_lshlrev_b32_e32 v132, 2, v151
	s_delay_alu instid0(VALU_DEP_2) | instskip(SKIP_3) | instid1(VALU_DEP_1)
	v_max3_f32 v129, v129, v130, v131
	ds_bpermute_b32 v130, v132, v129
	s_waitcnt lgkmcnt(0)
	v_max_f32_e32 v130, v130, v130
	v_max_f32_e32 v129, v129, v130
	s_delay_alu instid0(VALU_DEP_1)
	v_fma_f32 v134, s36, v186, -v129
	v_fma_f32 v130, s36, v183, -v129
	;; [unrolled: 1-line block ×5, first 2 shown]
	v_mul_f32_e32 v134, 0x3fb8aa3b, v134
	s_delay_alu instid0(VALU_DEP_4) | instskip(SKIP_1) | instid1(VALU_DEP_4)
	v_dual_mul_f32 v130, 0x3fb8aa3b, v130 :: v_dual_mul_f32 v131, 0x3fb8aa3b, v131
	v_fma_f32 v135, s36, v187, -v129
	v_mul_f32_e32 v136, 0x3fb8aa3b, v136
	s_delay_alu instid0(VALU_DEP_4) | instskip(NEXT) | instid1(VALU_DEP_3)
	v_exp_f32_e32 v134, v134
	v_exp_f32_e32 v130, v130
	;; [unrolled: 1-line block ×3, first 2 shown]
	v_mul_f32_e32 v135, 0x3fb8aa3b, v135
	v_exp_f32_e32 v136, v136
	s_delay_alu instid0(VALU_DEP_1) | instskip(SKIP_4) | instid1(TRANS32_DEP_3)
	v_exp_f32_e32 v135, v135
	v_cndmask_b32_e64 v153, 0, v134, s5
	v_fma_f32 v134, s36, v137, -v129
	v_dual_mul_f32 v133, 0x3fb8aa3b, v133 :: v_dual_cndmask_b32 v152, 0, v130
	v_fma_f32 v130, s36, v188, -v129
	v_cndmask_b32_e64 v151, 0, v131, s3
	s_delay_alu instid0(VALU_DEP_4) | instskip(NEXT) | instid1(VALU_DEP_4)
	v_mul_f32_e32 v134, 0x3fb8aa3b, v134
	v_exp_f32_e32 v133, v133
	s_delay_alu instid0(VALU_DEP_3) | instskip(SKIP_3) | instid1(VALU_DEP_4)
	v_dual_add_f32 v131, 0, v152 :: v_dual_mul_f32 v130, 0x3fb8aa3b, v130
	v_cndmask_b32_e64 v156, 0, v136, s8
	v_fma_f32 v136, s36, v140, -v129
	v_cndmask_b32_e64 v155, 0, v135, s6
	v_add_f32_e32 v131, v131, v151
	v_exp_f32_e32 v130, v130
	v_fma_f32 v135, s36, v138, -v129
	v_mul_f32_e32 v136, 0x3fb8aa3b, v136
	s_delay_alu instid0(TRANS32_DEP_2)
	v_cndmask_b32_e64 v154, 0, v133, s4
	v_fma_f32 v133, s36, v190, -v129
	v_exp_f32_e32 v134, v134
	v_cmp_gt_u32_e64 s3, 16, v150
	v_exp_f32_e32 v136, v136
	v_add_f32_e32 v131, v131, v154
	s_delay_alu instid0(TRANS32_DEP_3) | instskip(NEXT) | instid1(VALU_DEP_2)
	v_cndmask_b32_e64 v138, 0, v130, s7
	v_add_f32_e32 v131, v131, v153
	s_delay_alu instid0(VALU_DEP_1) | instskip(NEXT) | instid1(VALU_DEP_1)
	v_dual_mul_f32 v133, 0x3fb8aa3b, v133 :: v_dual_add_f32 v130, v131, v155
	v_exp_f32_e32 v133, v133
	v_fma_f32 v131, s36, v139, -v129
	s_delay_alu instid0(VALU_DEP_2) | instskip(NEXT) | instid1(VALU_DEP_1)
	v_add_f32_e32 v130, v130, v138
	v_add_f32_e32 v130, v130, v156
	s_waitcnt_depctr 0xfff
	v_cndmask_b32_e64 v139, 0, v133, s9
	v_fma_f32 v133, s36, v141, -v129
	v_cndmask_b32_e64 v141, 0, v134, s10
	v_fma_f32 v134, s36, v142, -v129
	v_cndmask_b32_e64 v142, 0, v136, s13
	v_add_f32_e32 v130, v130, v139
	s_delay_alu instid0(VALU_DEP_3) | instskip(NEXT) | instid1(VALU_DEP_2)
	v_dual_mul_f32 v135, 0x3fb8aa3b, v135 :: v_dual_mul_f32 v134, 0x3fb8aa3b, v134
	v_add_f32_e32 v130, v130, v141
	s_delay_alu instid0(VALU_DEP_2) | instskip(NEXT) | instid1(VALU_DEP_2)
	v_exp_f32_e32 v135, v135
	v_exp_f32_e32 v134, v134
	s_waitcnt_depctr 0xfff
	v_cndmask_b32_e64 v140, 0, v135, s11
	v_mul_f32_e32 v131, 0x3fb8aa3b, v131
	v_fma_f32 v135, s36, v143, -v129
	s_delay_alu instid0(VALU_DEP_3) | instskip(NEXT) | instid1(VALU_DEP_3)
	v_add_f32_e32 v130, v130, v140
	v_exp_f32_e32 v131, v131
	s_waitcnt_depctr 0xfff
	v_cndmask_b32_e64 v143, 0, v131, s12
	s_delay_alu instid0(VALU_DEP_1) | instskip(NEXT) | instid1(VALU_DEP_1)
	v_dual_mul_f32 v133, 0x3fb8aa3b, v133 :: v_dual_add_f32 v130, v130, v143
	v_exp_f32_e32 v133, v133
	v_mul_f32_e32 v131, 0x3fb8aa3b, v135
	v_fma_f32 v135, s36, v144, -v129
	v_cndmask_b32_e64 v144, 0, v134, s16
	v_add_f32_e32 v130, v130, v142
	s_delay_alu instid0(VALU_DEP_4) | instskip(SKIP_2) | instid1(VALU_DEP_1)
	v_exp_f32_e32 v131, v131
	s_waitcnt_depctr 0xfff
	v_cndmask_b32_e64 v157, 0, v133, s15
	v_dual_mul_f32 v133, 0x3fb8aa3b, v135 :: v_dual_add_f32 v130, v130, v157
	s_delay_alu instid0(VALU_DEP_1) | instskip(SKIP_1) | instid1(VALU_DEP_2)
	v_exp_f32_e32 v133, v133
	v_cndmask_b32_e64 v159, 0, v131, s17
	v_add_f32_e32 v130, v130, v144
	s_delay_alu instid0(VALU_DEP_1) | instskip(SKIP_2) | instid1(VALU_DEP_1)
	v_add_f32_e32 v130, v130, v159
	s_waitcnt_depctr 0xfff
	v_cndmask_b32_e64 v158, 0, v133, s18
	v_add_f32_e32 v130, v130, v158
	ds_bpermute_b32 v131, v132, v130
	s_and_saveexec_b32 s4, s3
	s_cbranch_execz .LBB42_12
; %bb.11:
	v_mul_u32_u24_e32 v132, 0x44, v149
	s_delay_alu instid0(VALU_DEP_1) | instskip(SKIP_1) | instid1(VALU_DEP_1)
	v_lshl_add_u32 v132, v148, 2, v132
	s_waitcnt lgkmcnt(0)
	v_dual_add_f32 v130, v130, v131 :: v_dual_add_nc_u32 v131, 0x4000, v132
	ds_store_2addr_b32 v131, v129, v130 offset1:136
.LBB42_12:
	s_or_b32 exec_lo, exec_lo, s4
	v_lshlrev_b32_e32 v129, 2, v148
	s_load_b32 s36, s[0:1], 0x94
	s_waitcnt lgkmcnt(0)
	s_barrier
	buffer_gl0_inv
	v_add_nc_u32_e32 v135, 0x4000, v129
	v_cmp_eq_u32_e32 vcc_lo, 1, v149
	v_cmp_eq_u32_e64 s4, 2, v149
	v_cmp_eq_u32_e64 s5, 3, v149
	;; [unrolled: 1-line block ×3, first 2 shown]
	ds_load_2addr_b32 v[129:130], v135 offset1:17
	ds_load_2addr_b32 v[131:132], v135 offset0:34 offset1:51
	ds_load_2addr_b32 v[133:134], v135 offset0:68 offset1:85
	;; [unrolled: 1-line block ×3, first 2 shown]
	v_cmp_eq_u32_e64 s7, 5, v149
	v_cmp_eq_u32_e64 s8, 7, v149
	s_waitcnt lgkmcnt(3)
	v_max3_f32 v136, v129, 0xff7fffff, v130
	s_waitcnt lgkmcnt(2)
	s_delay_alu instid0(VALU_DEP_1) | instskip(SKIP_1) | instid1(VALU_DEP_1)
	v_max3_f32 v136, v136, v131, v132
	s_waitcnt lgkmcnt(1)
	v_max3_f32 v136, v136, v133, v134
	s_waitcnt lgkmcnt(0)
	s_delay_alu instid0(VALU_DEP_1) | instskip(NEXT) | instid1(VALU_DEP_1)
	v_max3_f32 v136, v136, v160, v161
	v_sub_f32_e32 v164, v132, v136
	ds_load_2addr_b32 v[162:163], v135 offset0:136 offset1:153
	v_sub_f32_e32 v129, v129, v136
	v_sub_f32_e32 v137, v130, v136
	;; [unrolled: 1-line block ×3, first 2 shown]
	v_mul_f32_e32 v164, 0x3fb8aa3b, v164
	s_delay_alu instid0(VALU_DEP_4) | instskip(NEXT) | instid1(VALU_DEP_4)
	v_mul_f32_e32 v150, 0x3fb8aa3b, v129
	v_mul_f32_e32 v137, 0x3fb8aa3b, v137
	ds_load_2addr_b32 v[129:130], v135 offset0:170 offset1:187
	v_mul_f32_e32 v167, 0x3fb8aa3b, v133
	v_exp_f32_e32 v164, v164
	v_exp_f32_e32 v150, v150
	;; [unrolled: 1-line block ×3, first 2 shown]
	v_sub_f32_e32 v131, v131, v136
	s_delay_alu instid0(VALU_DEP_1)
	v_mul_f32_e32 v165, 0x3fb8aa3b, v131
	ds_load_2addr_b32 v[131:132], v135 offset0:204 offset1:221
	s_waitcnt lgkmcnt(2)
	v_fma_f32 v137, v150, v162, 0
	v_sub_f32_e32 v162, v134, v136
	v_exp_f32_e32 v165, v165
	ds_load_2addr_b32 v[133:134], v135 offset0:238 offset1:255
	v_sub_f32_e32 v135, v160, v136
	v_dual_fmac_f32 v137, v166, v163 :: v_dual_mul_f32 v160, 0x3fb8aa3b, v162
	v_exp_f32_e32 v162, v167
	s_waitcnt lgkmcnt(0)
	s_delay_alu instid0(VALU_DEP_2)
	v_mul_f32_e32 v135, 0x3fb8aa3b, v135
	s_barrier
	v_exp_f32_e32 v160, v160
	v_fmac_f32_e32 v137, v165, v129
	v_sub_f32_e32 v129, v161, v136
	v_exp_f32_e32 v161, v135
	buffer_gl0_inv
	v_fmac_f32_e32 v137, v164, v130
	v_dual_mul_f32 v129, 0x3fb8aa3b, v129 :: v_dual_cndmask_b32 v130, v150, v166
	s_delay_alu instid0(VALU_DEP_2) | instskip(NEXT) | instid1(VALU_DEP_2)
	v_fmac_f32_e32 v137, v162, v131
	v_exp_f32_e32 v163, v129
	s_delay_alu instid0(VALU_DEP_1) | instskip(NEXT) | instid1(VALU_DEP_1)
	v_fmac_f32_e32 v137, v160, v132
	v_fmac_f32_e32 v137, v161, v133
	v_lshlrev_b32_e32 v133, 6, v148
	s_waitcnt_depctr 0xfff
	v_fmac_f32_e32 v137, v163, v134
	v_lshl_or_b32 v135, v149, 11, v133
	s_delay_alu instid0(VALU_DEP_2) | instskip(NEXT) | instid1(VALU_DEP_1)
	v_add_f32_e32 v134, 0x358637bd, v137
	v_div_scale_f32 v167, null, v134, v134, 1.0
	v_div_scale_f32 v150, vcc_lo, 1.0, v134, 1.0
	s_delay_alu instid0(VALU_DEP_2) | instskip(SKIP_2) | instid1(VALU_DEP_1)
	v_rcp_f32_e32 v168, v167
	s_waitcnt_depctr 0xfff
	v_fma_f32 v129, -v167, v168, 1.0
	v_fmac_f32_e32 v168, v129, v168
	v_cndmask_b32_e64 v129, v130, v165, s4
	v_cmp_eq_u32_e64 s4, 6, v149
	s_delay_alu instid0(VALU_DEP_3) | instskip(NEXT) | instid1(VALU_DEP_3)
	v_mul_f32_e32 v165, v150, v168
	v_cndmask_b32_e64 v130, v129, v164, s5
	v_lshlrev_b32_e32 v129, 2, v146
	s_delay_alu instid0(VALU_DEP_3) | instskip(NEXT) | instid1(VALU_DEP_3)
	v_fma_f32 v131, -v167, v165, v150
	v_cndmask_b32_e64 v162, v130, v162, s6
	s_delay_alu instid0(VALU_DEP_3)
	v_or_b32_e32 v130, 1, v129
	v_or_b32_e32 v132, 2, v129
	v_cmp_eq_u32_e64 s5, 1, v129
	v_fmac_f32_e32 v165, v131, v168
	v_cndmask_b32_e64 v149, v162, v160, s7
	v_or_b32_e32 v131, 3, v129
	v_cmp_eq_u32_e64 s10, 1, v130
	v_cmp_eq_u32_e64 s11, 1, v132
	v_fma_f32 v150, -v167, v165, v150
	v_cndmask_b32_e64 v149, v149, v161, s4
	v_cmp_eq_u32_e64 s12, 1, v131
	v_cmp_eq_u32_e64 s6, 2, v129
	;; [unrolled: 1-line block ×3, first 2 shown]
	v_div_fmas_f32 v150, v150, v168, v165
	v_cndmask_b32_e64 v149, v149, v163, s8
	v_cmp_eq_u32_e64 s16, 2, v132
	v_cmp_eq_u32_e64 s17, 2, v131
	v_cmp_eq_u32_e32 vcc_lo, 3, v129
	v_div_fixup_f32 v150, v150, v134, 1.0
	v_lshl_or_b32 v134, v146, 4, v135
	v_cmp_eq_u32_e64 s15, 3, v130
	v_cmp_eq_u32_e64 s19, 3, v131
	;; [unrolled: 1-line block ×3, first 2 shown]
	v_mul_f32_e32 v149, v149, v150
	v_cmp_eq_u32_e64 s18, 3, v132
	v_cmp_eq_u32_e64 s20, 4, v130
	;; [unrolled: 1-line block ×4, first 2 shown]
	v_fma_mixlo_f16 v160, v149, v152, 0
	v_fma_mixlo_f16 v161, v149, v154, 0
	;; [unrolled: 1-line block ×8, first 2 shown]
	v_fma_mixhi_f16 v160, v149, v151, 0
	v_fma_mixhi_f16 v161, v149, v153, 0
	;; [unrolled: 1-line block ×8, first 2 shown]
	ds_store_b128 v134, v[160:163]
	ds_store_b128 v134, v[154:157] offset:1024
	s_waitcnt lgkmcnt(0)
	s_barrier
	buffer_gl0_inv
	ds_load_b128 v[138:141], v135
	ds_load_b128 v[149:152], v135 offset:16
	ds_load_b128 v[153:156], v135 offset:1024
	;; [unrolled: 1-line block ×3, first 2 shown]
	v_cmp_eq_u32_e64 s21, 5, v130
	v_cmp_eq_u32_e64 s22, 4, v132
	;; [unrolled: 1-line block ×12, first 2 shown]
	s_waitcnt lgkmcnt(3)
	v_lshrrev_b32_e32 v142, 16, v138
	s_waitcnt lgkmcnt(2)
	v_lshrrev_b32_e32 v162, 16, v149
	;; [unrolled: 2-line block ×4, first 2 shown]
	v_lshrrev_b32_e32 v143, 16, v139
	v_cndmask_b32_e64 v174, v138, v142, s5
	v_cndmask_b32_e64 v175, v149, v162, s5
	v_cndmask_b32_e64 v176, v138, v142, s10
	v_cndmask_b32_e64 v177, v149, v162, s10
	v_cndmask_b32_e64 v178, v138, v142, s11
	v_cndmask_b32_e64 v138, v138, v142, s12
	v_cndmask_b32_e64 v142, v149, v162, s12
	v_lshrrev_b32_e32 v163, 16, v150
	v_cndmask_b32_e64 v179, v149, v162, s11
	v_cndmask_b32_e64 v149, v153, v166, s5
	;; [unrolled: 1-line block ×16, first 2 shown]
	v_lshrrev_b32_e32 v167, 16, v154
	v_lshrrev_b32_e32 v171, 16, v158
	v_cndmask_b32_e64 v177, v179, v150, s16
	v_cndmask_b32_e64 v142, v149, v154, s6
	;; [unrolled: 1-line block ×7, first 2 shown]
	v_cndmask_b32_e32 v157, v166, v143, vcc_lo
	v_cndmask_b32_e32 v166, v170, v163, vcc_lo
	v_cndmask_b32_e64 v170, v174, v143, s15
	v_cndmask_b32_e64 v174, v175, v163, s15
	;; [unrolled: 1-line block ×4, first 2 shown]
	v_lshrrev_b32_e32 v144, 16, v140
	v_lshrrev_b32_e32 v164, 16, v151
	v_cndmask_b32_e64 v175, v176, v143, s18
	v_cndmask_b32_e64 v176, v177, v163, s18
	v_cndmask_b32_e32 v142, v142, v167, vcc_lo
	v_cndmask_b32_e32 v143, v149, v171, vcc_lo
	v_cndmask_b32_e64 v149, v150, v167, s15
	v_cndmask_b32_e64 v150, v157, v140, s4
	v_cndmask_b32_e64 v157, v166, v151, s4
	v_cndmask_b32_e64 v163, v170, v140, s20
	v_cndmask_b32_e64 v166, v174, v151, s20
	v_cndmask_b32_e64 v138, v138, v140, s23
	v_cndmask_b32_e64 v139, v139, v151, s23
	v_lshrrev_b32_e32 v168, 16, v155
	v_cndmask_b32_e64 v170, v175, v140, s22
	v_cndmask_b32_e64 v174, v176, v151, s22
	;; [unrolled: 1-line block ×11, first 2 shown]
	v_lshrrev_b32_e32 v161, 16, v141
	v_lshrrev_b32_e32 v165, 16, v152
	v_cndmask_b32_e64 v163, v170, v144, s24
	v_cndmask_b32_e64 v166, v174, v164, s24
	;; [unrolled: 1-line block ×9, first 2 shown]
	v_lshrrev_b32_e32 v169, 16, v156
	v_cndmask_b32_e64 v140, v140, v168, s7
	v_cndmask_b32_e64 v157, v163, v141, s27
	;; [unrolled: 1-line block ×14, first 2 shown]
	v_perm_b32 v141, v139, v138, 0x5040100
	v_perm_b32 v139, v151, v149, 0x5040100
	v_cndmask_b32_e64 v138, v183, v158, s16
	v_cndmask_b32_e64 v149, v181, v158, s13
	;; [unrolled: 1-line block ×3, first 2 shown]
	v_perm_b32 v140, v152, v150, 0x5040100
	v_cndmask_b32_e64 v150, v162, v167, s18
	v_cndmask_b32_e64 v151, v153, v167, s19
	v_cndmask_b32_e64 v152, v154, v171, s19
	v_cndmask_b32_e64 v138, v138, v171, s18
	v_cndmask_b32_e64 v149, v149, v171, s15
	v_lshrrev_b32_e32 v172, 16, v159
	v_cndmask_b32_e64 v150, v150, v155, s22
	v_cndmask_b32_e64 v151, v151, v155, s23
	;; [unrolled: 1-line block ×11, first 2 shown]
	v_lshrrev_b32_e32 v173, 16, v160
	v_cndmask_b32_e64 v142, v142, v160, s8
	v_cndmask_b32_e64 v150, v150, v156, s27
	;; [unrolled: 1-line block ×12, first 2 shown]
	v_perm_b32 v138, v144, v143, 0x5040100
	v_perm_b32 v152, v152, v151, 0x5040100
	;; [unrolled: 1-line block ×5, first 2 shown]
	s_mul_i32 s8, s35, 5
	s_mov_b32 s4, exec_lo
	ds_store_b128 v134, v[138:141]
	ds_store_b128 v134, v[149:152] offset:1024
	v_cmpx_gt_u32_e32 5, v0
	s_cbranch_execz .LBB42_14
; %bb.13:
	s_mul_i32 s5, s8, s34
	s_load_b128 s[16:19], s[0:1], 0x58
	v_add3_u32 v140, s5, s33, v148
	s_delay_alu instid0(VALU_DEP_1) | instskip(NEXT) | instid1(VALU_DEP_1)
	v_mad_u64_u32 v[138:139], null, v140, s36, s[14:15]
	v_ashrrev_i32_e32 v139, 31, v138
	s_delay_alu instid0(VALU_DEP_1) | instskip(SKIP_1) | instid1(VALU_DEP_1)
	v_lshlrev_b64 v[138:139], 2, v[138:139]
	s_waitcnt lgkmcnt(0)
	v_add_co_u32 v140, vcc_lo, s18, v138
	s_delay_alu instid0(VALU_DEP_2)
	v_add_co_ci_u32_e32 v141, vcc_lo, s19, v139, vcc_lo
	v_add_co_u32 v138, vcc_lo, s16, v138
	v_add_co_ci_u32_e32 v139, vcc_lo, s17, v139, vcc_lo
	global_store_b32 v[140:141], v136, off
	global_store_b32 v[138:139], v137, off
.LBB42_14:
	s_or_b32 exec_lo, exec_lo, s4
	s_waitcnt lgkmcnt(0)
	s_waitcnt_vscnt null, 0x0
	s_barrier
	buffer_gl0_inv
	ds_load_b128 v[148:151], v133
	ds_load_b128 v[152:155], v133 offset:16
	ds_load_b128 v[160:163], v133 offset:1040
	;; [unrolled: 1-line block ×5, first 2 shown]
	v_cmp_eq_u32_e32 vcc_lo, 1, v132
	v_mov_b32_e32 v136, 0
	ds_load_b128 v[176:179], v133 offset:3088
	ds_load_b128 v[172:175], v133 offset:3072
	;; [unrolled: 1-line block ×4, first 2 shown]
	v_cmp_eq_u32_e64 s4, 1, v129
	v_cmp_eq_u32_e64 s5, 1, v131
	;; [unrolled: 1-line block ×3, first 2 shown]
	v_mov_b32_e32 v137, v136
	v_mov_b32_e32 v138, v136
	;; [unrolled: 1-line block ×7, first 2 shown]
	v_cmp_eq_u32_e64 s7, 2, v129
	s_waitcnt lgkmcnt(8)
	s_delay_alu instid0(VALU_DEP_2)
	v_wmma_f32_16x16x16_f16 v[136:143], v[121:128], v[148:155], v[136:143]
	ds_load_b128 v[125:128], v133 offset:5136
	ds_load_b128 v[121:124], v133 offset:5120
	s_waitcnt lgkmcnt(8)
	v_wmma_f32_16x16x16_f16 v[136:143], v[113:120], v[156:163], v[136:143]
	ds_load_b128 v[117:120], v133 offset:6160
	ds_load_b128 v[113:116], v133 offset:6144
	s_waitcnt lgkmcnt(8)
	;; [unrolled: 4-line block ×11, first 2 shown]
	s_barrier
	buffer_gl0_inv
	v_wmma_f32_16x16x16_f16 v[136:143], v[1:8], v[73:80], v[136:143]
	s_delay_alu instid0(VALU_DEP_1) | instskip(NEXT) | instid1(VALU_DEP_1)
	v_wmma_f32_16x16x16_f16 v[136:143], v[9:16], v[65:72], v[136:143]
	v_wmma_f32_16x16x16_f16 v[136:143], v[33:40], v[57:64], v[136:143]
	s_delay_alu instid0(VALU_DEP_1) | instskip(NEXT) | instid1(VALU_DEP_1)
	v_wmma_f32_16x16x16_f16 v[136:143], v[41:48], v[49:56], v[136:143]
	v_wmma_f32_16x16x16_f16 v[136:143], v[17:24], v[25:32], v[136:143]
	s_delay_alu instid0(VALU_DEP_1) | instskip(NEXT) | instid1(VALU_DEP_2)
	v_cvt_f16_f32_e64 v1, v136
	v_cvt_f16_f32_e64 v2, v137
	s_delay_alu instid0(VALU_DEP_3) | instskip(NEXT) | instid1(VALU_DEP_4)
	v_cvt_f16_f32_e64 v3, v138
	v_cvt_f16_f32_e64 v4, v139
	;; [unrolled: 1-line block ×6, first 2 shown]
	v_pack_b32_f16 v1, v1, v2
	v_pack_b32_f16 v2, v3, v4
	;; [unrolled: 1-line block ×3, first 2 shown]
	s_delay_alu instid0(VALU_DEP_4)
	v_pack_b32_f16 v4, v7, v8
	ds_store_b128 v134, v[1:4]
	s_waitcnt lgkmcnt(0)
	s_barrier
	buffer_gl0_inv
	ds_load_b128 v[1:4], v135
	ds_load_b128 v[5:8], v135 offset:16
	s_waitcnt lgkmcnt(1)
	v_lshrrev_b32_e32 v9, 16, v1
	s_waitcnt lgkmcnt(0)
	v_lshrrev_b32_e32 v13, 16, v5
	v_lshrrev_b32_e32 v10, 16, v2
	;; [unrolled: 1-line block ×4, first 2 shown]
	v_cndmask_b32_e64 v17, v1, v9, s4
	v_cndmask_b32_e64 v18, v5, v13, s4
	;; [unrolled: 1-line block ×3, first 2 shown]
	v_cmp_eq_u32_e64 s4, 2, v130
	v_cndmask_b32_e64 v20, v5, v13, s6
	v_cndmask_b32_e32 v21, v1, v9, vcc_lo
	v_cndmask_b32_e32 v22, v5, v13, vcc_lo
	v_cndmask_b32_e64 v1, v1, v9, s5
	v_cndmask_b32_e64 v5, v5, v13, s5
	v_cmp_eq_u32_e32 vcc_lo, 2, v132
	v_cmp_eq_u32_e64 s5, 2, v131
	v_cndmask_b32_e64 v9, v17, v2, s7
	v_cndmask_b32_e64 v13, v18, v6, s7
	;; [unrolled: 1-line block ×4, first 2 shown]
	v_cndmask_b32_e32 v19, v21, v2, vcc_lo
	v_cmp_eq_u32_e64 s4, 3, v132
	v_cndmask_b32_e32 v20, v22, v6, vcc_lo
	v_cndmask_b32_e64 v1, v1, v2, s5
	v_cmp_eq_u32_e32 vcc_lo, 3, v131
	v_cmp_eq_u32_e64 s6, 3, v129
	v_cndmask_b32_e64 v2, v5, v6, s5
	v_cmp_eq_u32_e64 s5, 3, v130
	v_cmp_eq_u32_e64 s7, 4, v129
	v_cndmask_b32_e32 v1, v1, v10, vcc_lo
	v_cndmask_b32_e64 v5, v9, v10, s6
	v_cndmask_b32_e64 v6, v13, v14, s6
	;; [unrolled: 1-line block ×3, first 2 shown]
	v_cmp_eq_u32_e64 s6, 4, v130
	v_cndmask_b32_e64 v13, v18, v14, s5
	v_cndmask_b32_e64 v17, v19, v10, s4
	;; [unrolled: 1-line block ×3, first 2 shown]
	v_cndmask_b32_e32 v2, v2, v14, vcc_lo
	v_cmp_eq_u32_e32 vcc_lo, 4, v132
	v_cmp_eq_u32_e64 s5, 4, v131
	v_lshrrev_b32_e32 v15, 16, v7
	v_cndmask_b32_e64 v5, v5, v3, s7
	v_cndmask_b32_e64 v6, v6, v7, s7
	v_cndmask_b32_e32 v14, v18, v7, vcc_lo
	v_cndmask_b32_e64 v9, v9, v3, s6
	v_cndmask_b32_e64 v10, v13, v7, s6
	v_cndmask_b32_e32 v13, v17, v3, vcc_lo
	v_cmp_eq_u32_e64 s4, 5, v132
	v_cndmask_b32_e64 v1, v1, v3, s5
	v_cmp_eq_u32_e32 vcc_lo, 5, v131
	v_cmp_eq_u32_e64 s6, 5, v129
	v_cndmask_b32_e64 v2, v2, v7, s5
	v_cmp_eq_u32_e64 s5, 5, v130
	v_cmp_eq_u32_e64 s7, 6, v129
	v_lshrrev_b32_e32 v12, 16, v4
	v_cndmask_b32_e64 v3, v5, v11, s6
	v_cndmask_b32_e64 v5, v6, v15, s6
	;; [unrolled: 1-line block ×3, first 2 shown]
	v_cmp_eq_u32_e64 s6, 6, v130
	v_cndmask_b32_e64 v7, v10, v15, s5
	v_cndmask_b32_e64 v9, v13, v11, s4
	;; [unrolled: 1-line block ×3, first 2 shown]
	v_cndmask_b32_e32 v1, v1, v11, vcc_lo
	v_cndmask_b32_e32 v2, v2, v15, vcc_lo
	v_cmp_eq_u32_e32 vcc_lo, 6, v132
	v_cmp_eq_u32_e64 s4, 6, v131
	v_lshrrev_b32_e32 v16, 16, v8
	v_cndmask_b32_e64 v3, v3, v4, s7
	v_cndmask_b32_e64 v5, v5, v8, s7
	v_cndmask_b32_e32 v9, v9, v4, vcc_lo
	v_cndmask_b32_e64 v6, v6, v4, s6
	v_cndmask_b32_e64 v7, v7, v8, s6
	v_cmp_eq_u32_e64 s5, 7, v132
	v_cndmask_b32_e32 v10, v10, v8, vcc_lo
	v_cndmask_b32_e64 v1, v1, v4, s4
	v_cmp_eq_u32_e32 vcc_lo, 7, v131
	v_cndmask_b32_e64 v2, v2, v8, s4
	v_cmp_eq_u32_e64 s4, 7, v129
	v_cmp_eq_u32_e64 s6, 7, v130
	v_cndmask_b32_e32 v1, v1, v12, vcc_lo
	s_delay_alu instid0(VALU_DEP_4) | instskip(NEXT) | instid1(VALU_DEP_4)
	v_cndmask_b32_e32 v2, v2, v16, vcc_lo
	v_cndmask_b32_e64 v8, v3, v12, s4
	s_delay_alu instid0(VALU_DEP_4)
	v_cndmask_b32_e64 v6, v6, v12, s6
	v_cndmask_b32_e64 v3, v9, v12, s5
	;; [unrolled: 1-line block ×5, first 2 shown]
	v_cmp_gt_u32_e32 vcc_lo, 32, v0
	v_perm_b32 v4, v2, v1, 0x5040100
	v_perm_b32 v3, v9, v3, 0x5040100
	;; [unrolled: 1-line block ×4, first 2 shown]
	s_and_b32 s2, vcc_lo, s2
	ds_store_b128 v134, v[1:4]
	s_waitcnt lgkmcnt(0)
	s_barrier
	buffer_gl0_inv
	s_and_saveexec_b32 s4, s2
	s_cbranch_execz .LBB42_2
; %bb.15:
	s_load_b64 s[4:5], s[0:1], 0x68
	v_lshlrev_b32_e32 v0, 10, v0
	v_add_nc_u32_e32 v2, s33, v146
	v_lshlrev_b32_e32 v3, 4, v147
	s_lshl_b32 s0, s36, 6
	s_delay_alu instid0(SALU_CYCLE_1) | instskip(NEXT) | instid1(VALU_DEP_2)
	s_mul_i32 s1, s0, s34
	v_mul_lo_u32 v1, v2, s0
	s_delay_alu instid0(VALU_DEP_2) | instskip(SKIP_2) | instid1(SALU_CYCLE_1)
	v_and_or_b32 v0, 0x3800, v0, v3
	v_add_nc_u32_e32 v2, 2, v2
	s_mul_i32 s6, s1, s8
	s_ashr_i32 s7, s6, 31
	s_delay_alu instid0(VALU_DEP_2)
	v_lshl_or_b32 v7, v146, 6, v0
	s_lshl_b64 s[6:7], s[6:7], 1
	v_mul_lo_u32 v11, v2, s0
	v_ashrrev_i32_e32 v2, 31, v1
	ds_load_b128 v[3:6], v7
	ds_load_b128 v[7:10], v7 offset:128
	s_waitcnt lgkmcnt(0)
	s_add_u32 s1, s4, s6
	s_addc_u32 s2, s5, s7
	s_lshl_b32 s4, s14, 6
	v_ashrrev_i32_e32 v12, 31, v11
	s_ashr_i32 s5, s4, 31
	v_lshlrev_b64 v[13:14], 1, v[1:2]
	s_lshl_b64 s[4:5], s[4:5], 1
	s_delay_alu instid0(SALU_CYCLE_1) | instskip(SKIP_2) | instid1(VALU_DEP_1)
	s_add_u32 s1, s1, s4
	s_addc_u32 s2, s2, s5
	v_add_co_u32 v1, s1, s1, v145
	v_add_co_ci_u32_e64 v2, null, s2, 0, s1
	v_lshlrev_b64 v[11:12], 1, v[11:12]
	s_delay_alu instid0(VALU_DEP_3) | instskip(NEXT) | instid1(VALU_DEP_3)
	v_add_co_u32 v13, vcc_lo, v1, v13
	v_add_co_ci_u32_e32 v14, vcc_lo, v2, v14, vcc_lo
	s_delay_alu instid0(VALU_DEP_3) | instskip(NEXT) | instid1(VALU_DEP_4)
	v_add_co_u32 v11, vcc_lo, v1, v11
	v_add_co_ci_u32_e32 v12, vcc_lo, v2, v12, vcc_lo
	s_clause 0x1
	global_store_b128 v[13:14], v[3:6], off
	global_store_b128 v[11:12], v[7:10], off
	s_and_b32 exec_lo, exec_lo, s3
	s_cbranch_execz .LBB42_2
; %bb.16:
	ds_load_b128 v[3:6], v0 offset:256
	s_add_i32 s1, s33, 4
	s_delay_alu instid0(SALU_CYCLE_1) | instskip(NEXT) | instid1(SALU_CYCLE_1)
	s_mul_i32 s0, s1, s0
	s_ashr_i32 s1, s0, 31
	s_delay_alu instid0(SALU_CYCLE_1) | instskip(NEXT) | instid1(SALU_CYCLE_1)
	s_lshl_b64 s[0:1], s[0:1], 1
	v_add_co_u32 v0, vcc_lo, v1, s0
	v_add_co_ci_u32_e32 v1, vcc_lo, s1, v2, vcc_lo
	s_waitcnt lgkmcnt(0)
	global_store_b128 v[0:1], v[3:6], off
	s_nop 0
	s_sendmsg sendmsg(MSG_DEALLOC_VGPRS)
	s_endpgm
	.section	.rodata,"a",@progbits
	.p2align	6, 0x0
	.amdhsa_kernel _Z39paged_attention_ll4mi_QKV_mfma16_kernelIDF16_DF16_LN4vllm18Fp8KVCacheDataTypeE0EhLi16ELi64ELi256ELb0ELi5EL8MFMAType0EEvPKT_PKT0_S8_ifPKiSA_SA_iPKfiiiPfSD_PS3_PT2_iSC_SC_
		.amdhsa_group_segment_fixed_size 17472
		.amdhsa_private_segment_fixed_size 0
		.amdhsa_kernarg_size 400
		.amdhsa_user_sgpr_count 13
		.amdhsa_user_sgpr_dispatch_ptr 0
		.amdhsa_user_sgpr_queue_ptr 0
		.amdhsa_user_sgpr_kernarg_segment_ptr 1
		.amdhsa_user_sgpr_dispatch_id 0
		.amdhsa_user_sgpr_private_segment_size 0
		.amdhsa_wavefront_size32 1
		.amdhsa_uses_dynamic_stack 0
		.amdhsa_enable_private_segment 0
		.amdhsa_system_sgpr_workgroup_id_x 1
		.amdhsa_system_sgpr_workgroup_id_y 1
		.amdhsa_system_sgpr_workgroup_id_z 1
		.amdhsa_system_sgpr_workgroup_info 0
		.amdhsa_system_vgpr_workitem_id 0
		.amdhsa_next_free_vgpr 198
		.amdhsa_next_free_sgpr 52
		.amdhsa_reserve_vcc 1
		.amdhsa_float_round_mode_32 0
		.amdhsa_float_round_mode_16_64 0
		.amdhsa_float_denorm_mode_32 3
		.amdhsa_float_denorm_mode_16_64 3
		.amdhsa_dx10_clamp 1
		.amdhsa_ieee_mode 1
		.amdhsa_fp16_overflow 0
		.amdhsa_workgroup_processor_mode 1
		.amdhsa_memory_ordered 1
		.amdhsa_forward_progress 0
		.amdhsa_shared_vgpr_count 0
		.amdhsa_exception_fp_ieee_invalid_op 0
		.amdhsa_exception_fp_denorm_src 0
		.amdhsa_exception_fp_ieee_div_zero 0
		.amdhsa_exception_fp_ieee_overflow 0
		.amdhsa_exception_fp_ieee_underflow 0
		.amdhsa_exception_fp_ieee_inexact 0
		.amdhsa_exception_int_div_zero 0
	.end_amdhsa_kernel
	.section	.text._Z39paged_attention_ll4mi_QKV_mfma16_kernelIDF16_DF16_LN4vllm18Fp8KVCacheDataTypeE0EhLi16ELi64ELi256ELb0ELi5EL8MFMAType0EEvPKT_PKT0_S8_ifPKiSA_SA_iPKfiiiPfSD_PS3_PT2_iSC_SC_,"axG",@progbits,_Z39paged_attention_ll4mi_QKV_mfma16_kernelIDF16_DF16_LN4vllm18Fp8KVCacheDataTypeE0EhLi16ELi64ELi256ELb0ELi5EL8MFMAType0EEvPKT_PKT0_S8_ifPKiSA_SA_iPKfiiiPfSD_PS3_PT2_iSC_SC_,comdat
.Lfunc_end42:
	.size	_Z39paged_attention_ll4mi_QKV_mfma16_kernelIDF16_DF16_LN4vllm18Fp8KVCacheDataTypeE0EhLi16ELi64ELi256ELb0ELi5EL8MFMAType0EEvPKT_PKT0_S8_ifPKiSA_SA_iPKfiiiPfSD_PS3_PT2_iSC_SC_, .Lfunc_end42-_Z39paged_attention_ll4mi_QKV_mfma16_kernelIDF16_DF16_LN4vllm18Fp8KVCacheDataTypeE0EhLi16ELi64ELi256ELb0ELi5EL8MFMAType0EEvPKT_PKT0_S8_ifPKiSA_SA_iPKfiiiPfSD_PS3_PT2_iSC_SC_
                                        ; -- End function
	.section	.AMDGPU.csdata,"",@progbits
; Kernel info:
; codeLenInByte = 7832
; NumSgprs: 54
; NumVgprs: 198
; ScratchSize: 0
; MemoryBound: 0
; FloatMode: 240
; IeeeMode: 1
; LDSByteSize: 17472 bytes/workgroup (compile time only)
; SGPRBlocks: 6
; VGPRBlocks: 24
; NumSGPRsForWavesPerEU: 54
; NumVGPRsForWavesPerEU: 198
; Occupancy: 7
; WaveLimiterHint : 1
; COMPUTE_PGM_RSRC2:SCRATCH_EN: 0
; COMPUTE_PGM_RSRC2:USER_SGPR: 13
; COMPUTE_PGM_RSRC2:TRAP_HANDLER: 0
; COMPUTE_PGM_RSRC2:TGID_X_EN: 1
; COMPUTE_PGM_RSRC2:TGID_Y_EN: 1
; COMPUTE_PGM_RSRC2:TGID_Z_EN: 1
; COMPUTE_PGM_RSRC2:TIDIG_COMP_CNT: 0
	.section	.text._Z39paged_attention_ll4mi_QKV_mfma16_kernelIDF16_DF16_LN4vllm18Fp8KVCacheDataTypeE0EhLi16ELi64ELi256ELb0ELi6EL8MFMAType0EEvPKT_PKT0_S8_ifPKiSA_SA_iPKfiiiPfSD_PS3_PT2_iSC_SC_,"axG",@progbits,_Z39paged_attention_ll4mi_QKV_mfma16_kernelIDF16_DF16_LN4vllm18Fp8KVCacheDataTypeE0EhLi16ELi64ELi256ELb0ELi6EL8MFMAType0EEvPKT_PKT0_S8_ifPKiSA_SA_iPKfiiiPfSD_PS3_PT2_iSC_SC_,comdat
	.protected	_Z39paged_attention_ll4mi_QKV_mfma16_kernelIDF16_DF16_LN4vllm18Fp8KVCacheDataTypeE0EhLi16ELi64ELi256ELb0ELi6EL8MFMAType0EEvPKT_PKT0_S8_ifPKiSA_SA_iPKfiiiPfSD_PS3_PT2_iSC_SC_ ; -- Begin function _Z39paged_attention_ll4mi_QKV_mfma16_kernelIDF16_DF16_LN4vllm18Fp8KVCacheDataTypeE0EhLi16ELi64ELi256ELb0ELi6EL8MFMAType0EEvPKT_PKT0_S8_ifPKiSA_SA_iPKfiiiPfSD_PS3_PT2_iSC_SC_
	.globl	_Z39paged_attention_ll4mi_QKV_mfma16_kernelIDF16_DF16_LN4vllm18Fp8KVCacheDataTypeE0EhLi16ELi64ELi256ELb0ELi6EL8MFMAType0EEvPKT_PKT0_S8_ifPKiSA_SA_iPKfiiiPfSD_PS3_PT2_iSC_SC_
	.p2align	8
	.type	_Z39paged_attention_ll4mi_QKV_mfma16_kernelIDF16_DF16_LN4vllm18Fp8KVCacheDataTypeE0EhLi16ELi64ELi256ELb0ELi6EL8MFMAType0EEvPKT_PKT0_S8_ifPKiSA_SA_iPKfiiiPfSD_PS3_PT2_iSC_SC_,@function
_Z39paged_attention_ll4mi_QKV_mfma16_kernelIDF16_DF16_LN4vllm18Fp8KVCacheDataTypeE0EhLi16ELi64ELi256ELb0ELi6EL8MFMAType0EEvPKT_PKT0_S8_ifPKiSA_SA_iPKfiiiPfSD_PS3_PT2_iSC_SC_: ; @_Z39paged_attention_ll4mi_QKV_mfma16_kernelIDF16_DF16_LN4vllm18Fp8KVCacheDataTypeE0EhLi16ELi64ELi256ELb0ELi6EL8MFMAType0EEvPKT_PKT0_S8_ifPKiSA_SA_iPKfiiiPfSD_PS3_PT2_iSC_SC_
; %bb.0:
	s_load_b64 s[2:3], s[0:1], 0x30
	s_mov_b32 s34, s13
	s_waitcnt lgkmcnt(0)
	s_cmp_lg_u64 s[2:3], 0
	s_cselect_b32 s8, -1, 0
	s_ashr_i32 s35, s13, 31
	s_cmp_eq_u64 s[2:3], 0
	s_cbranch_scc1 .LBB43_3
; %bb.1:
	s_lshl_b64 s[4:5], s[34:35], 2
	s_delay_alu instid0(SALU_CYCLE_1) | instskip(SKIP_4) | instid1(SALU_CYCLE_1)
	s_add_u32 s4, s2, s4
	s_addc_u32 s5, s3, s5
	s_load_b64 s[4:5], s[4:5], 0x0
	s_waitcnt lgkmcnt(0)
	s_sub_i32 s4, s5, s4
	s_cmp_eq_u32 s4, 1
	s_cselect_b32 s4, -1, 0
	s_delay_alu instid0(SALU_CYCLE_1)
	s_and_not1_b32 vcc_lo, exec_lo, s4
	s_cbranch_vccz .LBB43_4
.LBB43_2:
	s_endpgm
.LBB43_3:
.LBB43_4:
	s_load_b64 s[4:5], s[0:1], 0x28
	s_lshl_b64 s[6:7], s[34:35], 2
	s_waitcnt lgkmcnt(0)
	s_add_u32 s4, s4, s6
	s_addc_u32 s5, s5, s7
	s_lshl_b32 s35, s14, 8
	s_load_b32 s30, s[4:5], 0x0
	s_waitcnt lgkmcnt(0)
	s_cmp_ge_i32 s35, s30
	s_cbranch_scc1 .LBB43_2
; %bb.5:
	s_clause 0x1
	s_load_b128 s[20:23], s[0:1], 0x8
	s_load_b64 s[4:5], s[0:1], 0x20
	s_and_not1_b32 vcc_lo, exec_lo, s8
	s_cbranch_vccnz .LBB43_7
; %bb.6:
	s_add_u32 s2, s2, s6
	s_addc_u32 s3, s3, s7
	s_load_b32 s3, s[2:3], 0x0
	s_branch .LBB43_8
.LBB43_7:
	s_mov_b32 s3, s34
.LBB43_8:
	s_load_b128 s[16:19], s[0:1], 0x48
	v_and_b32_e32 v148, 15, v0
	v_cmp_gt_u32_e32 vcc_lo, 0x60, v0
	v_lshrrev_b32_e32 v149, 5, v0
	v_and_b32_e32 v150, 31, v0
	v_and_b32_e32 v147, 1, v0
	v_lshlrev_b32_e32 v1, 3, v148
	v_cmp_gt_u32_e64 s2, 8, v148
	v_bfe_u32 v146, v0, 4, 1
	s_mul_i32 s31, s15, 6
	s_delay_alu instid0(VALU_DEP_3) | instskip(NEXT) | instid1(VALU_DEP_3)
	v_lshlrev_b32_e32 v145, 1, v1
	s_and_b32 s7, vcc_lo, s2
	s_delay_alu instid0(SALU_CYCLE_1)
	s_and_saveexec_b32 s6, s7
	s_cbranch_execz .LBB43_10
; %bb.9:
	s_load_b64 s[8:9], s[0:1], 0x0
	v_lshl_or_b32 v5, v149, 1, v146
	s_waitcnt lgkmcnt(0)
	s_mul_hi_i32 s11, s3, s16
	s_mul_i32 s10, s3, s16
	v_lshlrev_b32_e32 v6, 10, v148
	s_lshl_b64 s[10:11], s[10:11], 1
	v_add_lshl_u32 v1, v5, s31, 6
	v_lshlrev_b32_e32 v5, 6, v5
	v_lshlrev_b32_e32 v7, 10, v147
	v_and_b32_e32 v6, 0x3800, v6
	s_delay_alu instid0(VALU_DEP_4) | instskip(NEXT) | instid1(VALU_DEP_2)
	v_ashrrev_i32_e32 v2, 31, v1
	v_or3_b32 v5, v6, v7, v5
	s_delay_alu instid0(VALU_DEP_2) | instskip(SKIP_2) | instid1(VALU_DEP_1)
	v_lshlrev_b64 v[1:2], 1, v[1:2]
	s_add_u32 s3, s8, s10
	s_addc_u32 s7, s9, s11
	v_add_co_u32 v1, vcc_lo, s3, v1
	s_delay_alu instid0(VALU_DEP_2) | instskip(NEXT) | instid1(VALU_DEP_2)
	v_add_co_ci_u32_e32 v2, vcc_lo, s7, v2, vcc_lo
	v_add_co_u32 v1, vcc_lo, v1, v145
	s_delay_alu instid0(VALU_DEP_2)
	v_add_co_ci_u32_e32 v2, vcc_lo, 0, v2, vcc_lo
	global_load_b128 v[1:4], v[1:2], off
	s_waitcnt vmcnt(0)
	ds_store_b128 v5, v[1:4]
.LBB43_10:
	s_or_b32 exec_lo, exec_lo, s6
	v_and_b32_e32 v1, 0xef, v0
	s_waitcnt lgkmcnt(0)
	s_add_i32 s3, s30, 15
	s_clause 0x1
	s_load_b32 s6, s[0:1], 0x38
	s_load_b32 s33, s[0:1], 0x98
	s_ashr_i32 s7, s3, 31
	v_add_nc_u32_e32 v1, s35, v1
	s_lshr_b32 s7, s7, 28
	s_load_b32 s36, s[0:1], 0x1c
	s_add_i32 s3, s3, s7
	s_waitcnt lgkmcnt(0)
	v_ashrrev_i32_e32 v2, 31, v1
	v_or_b32_e32 v3, 16, v1
	s_ashr_i32 s3, s3, 4
	v_cmp_gt_i32_e32 vcc_lo, s30, v1
	s_add_i32 s3, s3, -1
	v_lshrrev_b32_e32 v2, 28, v2
	s_barrier
	buffer_gl0_inv
	v_add_nc_u32_e32 v4, v1, v2
	s_mul_i32 s6, s34, s6
	s_delay_alu instid0(SALU_CYCLE_1) | instskip(NEXT) | instid1(VALU_DEP_1)
	s_ashr_i32 s7, s6, 31
	v_ashrrev_i32_e32 v4, 4, v4
	v_add_nc_u32_e32 v2, v3, v2
	s_lshl_b64 s[6:7], s[6:7], 2
	s_delay_alu instid0(SALU_CYCLE_1) | instskip(NEXT) | instid1(VALU_DEP_2)
	s_add_u32 s16, s4, s6
	v_cndmask_b32_e32 v1, s3, v4, vcc_lo
	s_delay_alu instid0(VALU_DEP_2) | instskip(SKIP_3) | instid1(SALU_CYCLE_1)
	v_ashrrev_i32_e32 v2, 4, v2
	v_cmp_gt_i32_e32 vcc_lo, s30, v3
	s_addc_u32 s37, s5, s7
	s_mul_i32 s4, s15, s18
	s_ashr_i32 s5, s4, 31
	v_cndmask_b32_e32 v3, s3, v2, vcc_lo
	v_ashrrev_i32_e32 v2, 31, v1
	s_lshl_b64 s[12:13], s[4:5], 1
	s_delay_alu instid0(SALU_CYCLE_1) | instskip(NEXT) | instid1(VALU_DEP_2)
	s_add_u32 s26, s20, s12
	v_ashrrev_i32_e32 v4, 31, v3
	s_delay_alu instid0(VALU_DEP_2) | instskip(SKIP_2) | instid1(VALU_DEP_2)
	v_lshlrev_b64 v[1:2], 2, v[1:2]
	s_addc_u32 s27, s21, s13
	s_lshl_b32 s4, s14, 4
	v_lshlrev_b64 v[3:4], 2, v[3:4]
	s_ashr_i32 s5, s4, 31
	s_delay_alu instid0(VALU_DEP_2) | instskip(SKIP_1) | instid1(VALU_DEP_3)
	v_add_co_u32 v1, vcc_lo, s16, v1
	v_add_co_ci_u32_e32 v2, vcc_lo, s37, v2, vcc_lo
	v_add_co_u32 v3, vcc_lo, s16, v3
	s_delay_alu instid0(VALU_DEP_4)
	v_add_co_ci_u32_e32 v4, vcc_lo, s37, v4, vcc_lo
	s_clause 0x1
	global_load_b32 v5, v[1:2], off
	global_load_b32 v6, v[3:4], off
	s_lshl_b64 s[4:5], s[4:5], 2
	v_lshlrev_b32_e32 v3, 4, v0
	s_add_u32 s4, s16, s4
	s_addc_u32 s5, s37, s5
	s_or_b32 s6, s35, 16
	s_delay_alu instid0(SALU_CYCLE_1) | instskip(SKIP_2) | instid1(SALU_CYCLE_1)
	s_ashr_i32 s7, s6, 4
	s_cmp_lt_i32 s6, s30
	s_cselect_b32 s6, s7, s3
	s_ashr_i32 s7, s6, 31
	s_delay_alu instid0(SALU_CYCLE_1) | instskip(NEXT) | instid1(SALU_CYCLE_1)
	s_lshl_b64 s[6:7], s[6:7], 2
	s_add_u32 s6, s16, s6
	s_addc_u32 s7, s37, s7
	s_or_b32 s8, s35, 32
	s_delay_alu instid0(SALU_CYCLE_1) | instskip(SKIP_2) | instid1(SALU_CYCLE_1)
	s_ashr_i32 s9, s8, 4
	s_cmp_lt_i32 s8, s30
	s_cselect_b32 s8, s9, s3
	s_ashr_i32 s9, s8, 31
	s_delay_alu instid0(SALU_CYCLE_1) | instskip(NEXT) | instid1(SALU_CYCLE_1)
	s_lshl_b64 s[8:9], s[8:9], 2
	;; [unrolled: 10-line block ×5, first 2 shown]
	s_add_u32 s24, s16, s18
	s_addc_u32 s25, s37, s19
	s_clause 0x5
	s_load_b32 s38, s[4:5], 0x0
	s_load_b32 s29, s[6:7], 0x0
	;; [unrolled: 1-line block ×6, first 2 shown]
	s_waitcnt vmcnt(1)
	v_mad_i64_i32 v[1:2], null, v5, s17, 0
	v_and_b32_e32 v5, 0xf0, v3
	s_waitcnt vmcnt(0)
	v_mad_i64_i32 v[3:4], null, v6, s17, 0
	s_delay_alu instid0(VALU_DEP_2) | instskip(NEXT) | instid1(VALU_DEP_4)
	v_add_co_u32 v7, s4, s26, v5
	v_lshlrev_b64 v[1:2], 1, v[1:2]
	v_add_co_ci_u32_e64 v8, null, s27, 0, s4
	s_delay_alu instid0(VALU_DEP_4) | instskip(SKIP_1) | instid1(VALU_DEP_3)
	v_lshlrev_b64 v[5:6], 1, v[3:4]
	s_or_b32 s4, s35, 0x60
	v_add_co_u32 v3, vcc_lo, v7, v1
	s_delay_alu instid0(VALU_DEP_3) | instskip(NEXT) | instid1(VALU_DEP_3)
	v_add_co_ci_u32_e32 v4, vcc_lo, v8, v2, vcc_lo
	v_add_co_u32 v1, vcc_lo, v7, v5
	s_delay_alu instid0(VALU_DEP_4)
	v_add_co_ci_u32_e32 v2, vcc_lo, v8, v6, vcc_lo
	s_clause 0x9
	global_load_b128 v[9:12], v[3:4], off
	global_load_b128 v[13:16], v[3:4], off offset:256
	global_load_b128 v[129:132], v[1:2], off
	global_load_b128 v[133:136], v[1:2], off offset:256
	global_load_b128 v[41:44], v[3:4], off offset:512
	;; [unrolled: 1-line block ×7, first 2 shown]
	v_mul_lo_u16 v5, v148, 43
	s_clause 0x1
	global_load_b128 v[151:154], v[1:2], off offset:1024
	global_load_b128 v[155:158], v[1:2], off offset:1280
	s_ashr_i32 s5, s4, 4
	s_cmp_lt_i32 s4, s30
	v_lshlrev_b32_e32 v6, 5, v148
	v_lshrrev_b16 v5, 8, v5
	s_cselect_b32 s4, s5, s3
	s_delay_alu instid0(SALU_CYCLE_1) | instskip(NEXT) | instid1(VALU_DEP_2)
	s_ashr_i32 s5, s4, 31
	v_lshl_or_b32 v6, v149, 9, v6
	s_delay_alu instid0(VALU_DEP_2) | instskip(SKIP_1) | instid1(SALU_CYCLE_1)
	v_mul_lo_u16 v5, v5, 6
	s_lshl_b64 s[4:5], s[4:5], 2
	s_add_u32 s20, s16, s4
	s_addc_u32 s21, s37, s5
	s_delay_alu instid0(VALU_DEP_1) | instskip(SKIP_1) | instid1(SALU_CYCLE_1)
	v_sub_nc_u16 v5, v148, v5
	s_or_b32 s4, s35, 0x70
	s_ashr_i32 s5, s4, 4
	s_cmp_lt_i32 s4, s30
	s_delay_alu instid0(VALU_DEP_1) | instskip(SKIP_1) | instid1(SALU_CYCLE_1)
	v_and_b32_e32 v5, 0xff, v5
	s_cselect_b32 s4, s5, s3
	s_ashr_i32 s5, s4, 31
	s_delay_alu instid0(VALU_DEP_1)
	v_lshlrev_b32_e32 v197, 6, v5
	ds_load_b128 v[159:162], v197
	ds_load_b128 v[163:166], v197 offset:1024
	s_clause 0x3
	global_load_b128 v[167:170], v[3:4], off offset:1536
	global_load_b128 v[171:174], v[3:4], off offset:1792
	;; [unrolled: 1-line block ×4, first 2 shown]
	s_lshl_b64 s[6:7], s[4:5], 2
	s_mov_b32 s4, 0
	s_add_u32 s24, s16, s6
	s_addc_u32 s25, s37, s7
	s_or_b32 s5, s35, 0x80
	s_mov_b32 s11, s4
	s_ashr_i32 s6, s5, 4
	s_cmp_lt_i32 s5, s30
	s_mov_b32 s5, s4
	s_cselect_b32 s8, s6, s3
	s_mov_b32 s6, s4
	s_ashr_i32 s9, s8, 31
	s_mov_b32 s7, s4
	s_lshl_b64 s[8:9], s[8:9], 2
	s_clause 0x1
	s_load_b32 s45, s[20:21], 0x0
	s_load_b32 s46, s[24:25], 0x0
	s_add_u32 s26, s16, s8
	s_addc_u32 s27, s37, s9
	s_or_b32 s9, s35, 0x90
	s_mov_b32 s8, s4
	s_ashr_i32 s10, s9, 4
	s_cmp_lt_i32 s9, s30
	s_mov_b32 s9, s4
	s_cselect_b32 s40, s10, s3
	s_mov_b32 s10, s4
	s_ashr_i32 s41, s40, 31
	v_mov_b32_e32 v144, s11
	s_lshl_b64 s[40:41], s[40:41], 2
	v_mov_b32_e32 v143, s10
	s_add_u32 s40, s16, s40
	s_addc_u32 s41, s37, s41
	s_or_b32 s39, s35, 0xa0
	s_load_b32 s41, s[40:41], 0x0
	s_ashr_i32 s42, s39, 4
	s_cmp_lt_i32 s39, s30
	v_mov_b32_e32 v142, s9
	s_cselect_b32 s42, s42, s3
	v_mov_b32_e32 v141, s8
	s_ashr_i32 s43, s42, 31
	v_dual_mov_b32 v140, s7 :: v_dual_mov_b32 v139, s6
	v_dual_mov_b32 v138, s5 :: v_dual_mov_b32 v137, s4
	s_lshl_b64 s[4:5], s[42:43], 2
	s_waitcnt lgkmcnt(0)
	s_mul_hi_i32 s7, s29, s17
	s_add_u32 s42, s16, s4
	s_addc_u32 s43, s37, s5
	s_or_b32 s4, s35, 0xb0
	s_mul_hi_i32 s5, s38, s17
	s_ashr_i32 s6, s4, 4
	s_cmp_lt_i32 s4, s30
	s_mul_i32 s4, s38, s17
	s_cselect_b32 s8, s6, s3
	s_mul_i32 s6, s29, s17
	s_ashr_i32 s9, s8, 31
	s_load_b32 s40, s[42:43], 0x0
	s_lshl_b64 s[8:9], s[8:9], 2
	s_mul_hi_i32 s21, s15, s17
	s_add_u32 s38, s16, s8
	s_addc_u32 s39, s37, s9
	s_or_b32 s8, s35, 0xc0
	s_mul_hi_i32 s9, s28, s17
	s_ashr_i32 s10, s8, 4
	s_cmp_lt_i32 s8, s30
	s_mul_i32 s8, s28, s17
	s_cselect_b32 s28, s10, s3
	s_mul_hi_i32 s11, s19, s17
	s_ashr_i32 s29, s28, 31
	s_mul_i32 s10, s19, s17
	s_lshl_b64 s[28:29], s[28:29], 2
	s_mul_hi_i32 s19, s18, s17
	s_add_u32 s28, s16, s28
	s_addc_u32 s29, s37, s29
	s_or_b32 s44, s35, 0xd0
	s_mul_i32 s18, s18, s17
	s_ashr_i32 s20, s44, 4
	s_cmp_lt_i32 s44, s30
	s_load_b32 s44, s[26:27], 0x0
	s_cselect_b32 s24, s20, s3
	s_mul_i32 s20, s15, s17
	s_ashr_i32 s25, s24, 31
	s_mul_hi_i32 s27, s46, s17
	s_lshl_b64 s[24:25], s[24:25], 2
	s_mul_i32 s26, s46, s17
	s_add_u32 s24, s16, s24
	s_addc_u32 s25, s37, s25
	s_or_b32 s42, s35, 0xe0
	s_clause 0x2
	s_load_b32 s39, s[38:39], 0x0
	s_load_b32 s38, s[28:29], 0x0
	;; [unrolled: 1-line block ×3, first 2 shown]
	s_ashr_i32 s47, s42, 4
	s_cmp_lt_i32 s42, s30
	s_mul_hi_i32 s25, s45, s17
	s_mul_i32 s24, s45, s17
	s_mul_hi_i32 s43, s41, s17
	s_mul_i32 s42, s41, s17
	s_waitcnt lgkmcnt(0)
	s_mul_hi_i32 s41, s40, s17
	s_mul_i32 s40, s40, s17
	s_mul_hi_i32 s29, s44, s17
	s_mul_i32 s28, s44, s17
	s_cselect_b32 s44, s47, s3
	s_delay_alu instid0(SALU_CYCLE_1) | instskip(NEXT) | instid1(SALU_CYCLE_1)
	s_ashr_i32 s45, s44, 31
	s_lshl_b64 s[44:45], s[44:45], 2
	s_delay_alu instid0(SALU_CYCLE_1)
	s_add_u32 s44, s16, s44
	s_addc_u32 s45, s37, s45
	s_or_b32 s46, s35, 0xf0
	s_mul_hi_i32 s51, s15, s17
	s_ashr_i32 s48, s46, 4
	s_cmp_lt_i32 s46, s30
	s_mul_i32 s50, s15, s17
	s_cselect_b32 s48, s48, s3
	s_mul_hi_i32 s47, s39, s17
	s_ashr_i32 s49, s48, 31
	s_mul_i32 s46, s39, s17
	s_lshl_b64 s[48:49], s[48:49], 2
	s_mul_hi_i32 s39, s38, s17
	s_add_u32 s48, s16, s48
	s_addc_u32 s49, s37, s49
	s_add_u32 s3, s22, s12
	s_addc_u32 s15, s23, s13
	v_add_co_u32 v195, s3, s3, v6
	s_delay_alu instid0(VALU_DEP_1) | instskip(SKIP_2) | instid1(VALU_DEP_2)
	v_add_co_ci_u32_e64 v196, null, s15, 0, s3
	s_lshl_b64 s[4:5], s[4:5], 1
	s_lshl_b64 s[6:7], s[6:7], 1
	v_add_co_u32 v1, vcc_lo, v195, s4
	s_delay_alu instid0(VALU_DEP_2)
	v_add_co_ci_u32_e32 v2, vcc_lo, s5, v196, vcc_lo
	v_add_co_u32 v3, vcc_lo, v195, s6
	s_lshl_b64 s[8:9], s[8:9], 1
	v_add_co_ci_u32_e32 v4, vcc_lo, s7, v196, vcc_lo
	v_add_co_u32 v5, vcc_lo, v195, s8
	s_lshl_b64 s[10:11], s[10:11], 1
	;; [unrolled: 3-line block ×10, first 2 shown]
	s_mul_i32 s38, s38, s17
	v_add_co_ci_u32_e32 v184, vcc_lo, s29, v196, vcc_lo
	v_add_co_u32 v185, vcc_lo, v195, s40
	s_lshl_b64 s[38:39], s[38:39], 1
	s_clause 0x1
	s_load_b32 s3, s[44:45], 0x0
	s_load_b32 s15, s[48:49], 0x0
	v_add_co_ci_u32_e32 v186, vcc_lo, s41, v196, vcc_lo
	v_add_co_u32 v191, vcc_lo, v195, s38
	v_add_co_ci_u32_e32 v192, vcc_lo, s39, v196, vcc_lo
	s_clause 0x17
	global_load_b128 v[121:124], v[1:2], off
	global_load_b128 v[125:128], v[1:2], off offset:16
	global_load_b128 v[113:116], v[3:4], off
	global_load_b128 v[117:120], v[3:4], off offset:16
	;; [unrolled: 2-line block ×12, first 2 shown]
	s_lshl_b64 s[42:43], s[50:51], 1
	s_delay_alu instid0(SALU_CYCLE_1)
	v_add_co_u32 v193, vcc_lo, v195, s42
	v_add_co_ci_u32_e32 v194, vcc_lo, s43, v196, vcc_lo
	s_waitcnt lgkmcnt(0)
	s_mul_hi_i32 s5, s3, s17
	s_mul_i32 s4, s3, s17
	s_mul_hi_i32 s7, s15, s17
	s_lshl_b64 s[4:5], s[4:5], 1
	s_mul_i32 s6, s15, s17
	s_waitcnt vmcnt(38)
	v_wmma_f32_16x16x16_f16 v[183:190], v[9:16], v[159:166], v[137:144]
	s_waitcnt vmcnt(36)
	v_wmma_f32_16x16x16_f16 v[137:144], v[129:136], v[159:166], v[137:144]
	s_clause 0x1
	global_load_b128 v[9:12], v[191:192], off
	global_load_b128 v[13:16], v[191:192], off offset:16
	ds_load_b128 v[129:132], v197 offset:2048
	ds_load_b128 v[133:136], v197 offset:3072
	;; [unrolled: 1-line block ×4, first 2 shown]
	v_add_co_u32 v191, vcc_lo, v195, s4
	v_add_co_ci_u32_e32 v192, vcc_lo, s5, v196, vcc_lo
	s_lshl_b64 s[4:5], s[6:7], 1
	s_delay_alu instid0(SALU_CYCLE_1)
	v_add_co_u32 v195, vcc_lo, v195, s4
	v_add_co_ci_u32_e32 v196, vcc_lo, s5, v196, vcc_lo
	s_waitcnt vmcnt(36) lgkmcnt(2)
	v_wmma_f32_16x16x16_f16 v[183:190], v[41:48], v[129:136], v[183:190]
	s_waitcnt vmcnt(34)
	v_wmma_f32_16x16x16_f16 v[137:144], v[33:40], v[129:136], v[137:144]
	s_clause 0x3
	global_load_b128 v[33:36], v[193:194], off
	global_load_b128 v[37:40], v[193:194], off offset:16
	global_load_b128 v[41:44], v[191:192], off
	global_load_b128 v[45:48], v[191:192], off offset:16
	v_and_b32_e32 v129, 0xe0, v0
	v_mbcnt_lo_u32_b32 v191, -1, 0
	s_waitcnt vmcnt(36) lgkmcnt(0)
	v_wmma_f32_16x16x16_f16 v[183:190], v[17:24], v[159:166], v[183:190]
	s_clause 0x1
	global_load_b128 v[17:20], v[195:196], off
	global_load_b128 v[21:24], v[195:196], off offset:16
	s_waitcnt vmcnt(36)
	v_wmma_f32_16x16x16_f16 v[137:144], v[151:158], v[159:166], v[137:144]
	v_add_nc_u32_e32 v192, s35, v129
	ds_load_b128 v[129:132], v197 offset:6144
	ds_load_b128 v[133:136], v197 offset:7168
	v_xor_b32_e32 v151, 16, v191
	s_waitcnt vmcnt(0) lgkmcnt(0)
	s_barrier
	v_or_b32_e32 v152, v192, v146
	buffer_gl0_inv
	v_cmp_gt_i32_e32 vcc_lo, 32, v151
	v_or_b32_e32 v153, 2, v152
	v_or_b32_e32 v154, 4, v152
	v_or_b32_e32 v155, 6, v152
	v_or_b32_e32 v156, 8, v152
	v_or_b32_e32 v157, 10, v152
	v_cmp_gt_i32_e64 s3, s30, v153
	v_cmp_gt_i32_e64 s4, s30, v154
	;; [unrolled: 1-line block ×3, first 2 shown]
	v_or_b32_e32 v158, 12, v152
	v_or_b32_e32 v159, 14, v152
	v_cmp_gt_i32_e64 s6, s30, v156
	v_wmma_f32_16x16x16_f16 v[183:190], v[167:174], v[129:136], v[183:190]
	v_wmma_f32_16x16x16_f16 v[137:144], v[175:182], v[129:136], v[137:144]
	v_cndmask_b32_e32 v151, v191, v151, vcc_lo
	v_cmp_gt_i32_e32 vcc_lo, s30, v152
	v_cmp_gt_i32_e64 s7, s30, v157
	v_dual_mul_f32 v135, s36, v184 :: v_dual_mul_f32 v136, s36, v183
	v_mul_f32_e32 v134, s36, v185
	v_dual_mul_f32 v168, s36, v144 :: v_dual_mul_f32 v133, s36, v186
	s_delay_alu instid0(VALU_DEP_3) | instskip(NEXT) | instid1(VALU_DEP_4)
	v_cndmask_b32_e64 v135, 0xff7fffff, v135, s3
	v_cndmask_b32_e32 v136, 0xff7fffff, v136, vcc_lo
	v_dual_mul_f32 v131, s36, v188 :: v_dual_mul_f32 v174, s36, v138
	v_mul_f32_e32 v132, s36, v187
	v_cndmask_b32_e64 v134, 0xff7fffff, v134, s4
	v_cndmask_b32_e64 v133, 0xff7fffff, v133, s5
	v_max3_f32 v135, v136, 0xff7fffff, v135
	v_or_b32_e32 v160, 16, v152
	v_or_b32_e32 v161, 18, v152
	v_dual_mul_f32 v129, s36, v190 :: v_dual_mul_f32 v172, s36, v140
	v_mul_f32_e32 v130, s36, v189
	v_cndmask_b32_e64 v132, 0xff7fffff, v132, s6
	v_cndmask_b32_e64 v131, 0xff7fffff, v131, s7
	v_max3_f32 v133, v135, v134, v133
	v_cmp_gt_i32_e64 s8, s30, v158
	v_cmp_gt_i32_e64 s9, s30, v159
	v_or_b32_e32 v162, 20, v152
	v_or_b32_e32 v163, 22, v152
	v_mul_f32_e32 v175, s36, v137
	v_cndmask_b32_e64 v130, 0xff7fffff, v130, s8
	v_cndmask_b32_e64 v129, 0xff7fffff, v129, s9
	v_max3_f32 v131, v133, v132, v131
	v_cmp_gt_i32_e64 s10, s30, v160
	v_cmp_gt_i32_e64 s11, s30, v161
	v_or_b32_e32 v164, 24, v152
	v_or_b32_e32 v165, 26, v152
	;; [unrolled: 8-line block ×3, first 2 shown]
	v_dual_mul_f32 v170, s36, v142 :: v_dual_mul_f32 v171, s36, v141
	v_cndmask_b32_e64 v130, 0xff7fffff, v173, s12
	v_cndmask_b32_e64 v131, 0xff7fffff, v172, s13
	v_max3_f32 v129, v129, v132, v133
	v_cmp_gt_i32_e64 s15, s30, v164
	v_cmp_gt_i32_e64 s16, s30, v165
	v_mul_f32_e32 v169, s36, v143
	v_cmp_gt_i32_e64 s17, s30, v166
	v_max3_f32 v129, v129, v130, v131
	v_cndmask_b32_e64 v132, 0xff7fffff, v171, s15
	v_cndmask_b32_e64 v133, 0xff7fffff, v170, s16
	v_cmp_gt_i32_e64 s18, s30, v167
	v_cndmask_b32_e64 v130, 0xff7fffff, v169, s17
	s_delay_alu instid0(VALU_DEP_3) | instskip(NEXT) | instid1(VALU_DEP_3)
	v_max3_f32 v129, v129, v132, v133
	v_cndmask_b32_e64 v131, 0xff7fffff, v168, s18
	v_lshlrev_b32_e32 v132, 2, v151
	s_delay_alu instid0(VALU_DEP_2) | instskip(SKIP_3) | instid1(VALU_DEP_1)
	v_max3_f32 v129, v129, v130, v131
	ds_bpermute_b32 v130, v132, v129
	s_waitcnt lgkmcnt(0)
	v_max_f32_e32 v130, v130, v130
	v_max_f32_e32 v129, v129, v130
	s_delay_alu instid0(VALU_DEP_1)
	v_fma_f32 v134, s36, v186, -v129
	v_fma_f32 v130, s36, v183, -v129
	;; [unrolled: 1-line block ×5, first 2 shown]
	v_mul_f32_e32 v134, 0x3fb8aa3b, v134
	s_delay_alu instid0(VALU_DEP_4) | instskip(SKIP_1) | instid1(VALU_DEP_4)
	v_dual_mul_f32 v130, 0x3fb8aa3b, v130 :: v_dual_mul_f32 v131, 0x3fb8aa3b, v131
	v_fma_f32 v135, s36, v187, -v129
	v_mul_f32_e32 v136, 0x3fb8aa3b, v136
	s_delay_alu instid0(VALU_DEP_4) | instskip(NEXT) | instid1(VALU_DEP_3)
	v_exp_f32_e32 v134, v134
	v_exp_f32_e32 v130, v130
	;; [unrolled: 1-line block ×3, first 2 shown]
	v_mul_f32_e32 v135, 0x3fb8aa3b, v135
	v_exp_f32_e32 v136, v136
	s_delay_alu instid0(VALU_DEP_1) | instskip(SKIP_4) | instid1(TRANS32_DEP_3)
	v_exp_f32_e32 v135, v135
	v_cndmask_b32_e64 v153, 0, v134, s5
	v_fma_f32 v134, s36, v137, -v129
	v_dual_mul_f32 v133, 0x3fb8aa3b, v133 :: v_dual_cndmask_b32 v152, 0, v130
	v_fma_f32 v130, s36, v188, -v129
	v_cndmask_b32_e64 v151, 0, v131, s3
	s_delay_alu instid0(VALU_DEP_4) | instskip(NEXT) | instid1(VALU_DEP_4)
	v_mul_f32_e32 v134, 0x3fb8aa3b, v134
	v_exp_f32_e32 v133, v133
	s_delay_alu instid0(VALU_DEP_3) | instskip(SKIP_3) | instid1(VALU_DEP_4)
	v_dual_add_f32 v131, 0, v152 :: v_dual_mul_f32 v130, 0x3fb8aa3b, v130
	v_cndmask_b32_e64 v156, 0, v136, s8
	v_fma_f32 v136, s36, v140, -v129
	v_cndmask_b32_e64 v155, 0, v135, s6
	v_add_f32_e32 v131, v131, v151
	v_exp_f32_e32 v130, v130
	v_fma_f32 v135, s36, v138, -v129
	v_mul_f32_e32 v136, 0x3fb8aa3b, v136
	s_delay_alu instid0(TRANS32_DEP_2)
	v_cndmask_b32_e64 v154, 0, v133, s4
	v_fma_f32 v133, s36, v190, -v129
	v_exp_f32_e32 v134, v134
	s_mov_b32 s3, exec_lo
	v_exp_f32_e32 v136, v136
	v_add_f32_e32 v131, v131, v154
	s_delay_alu instid0(TRANS32_DEP_3) | instskip(NEXT) | instid1(VALU_DEP_2)
	v_cndmask_b32_e64 v138, 0, v130, s7
	v_add_f32_e32 v131, v131, v153
	s_delay_alu instid0(VALU_DEP_1) | instskip(NEXT) | instid1(VALU_DEP_1)
	v_dual_mul_f32 v133, 0x3fb8aa3b, v133 :: v_dual_add_f32 v130, v131, v155
	v_exp_f32_e32 v133, v133
	v_fma_f32 v131, s36, v139, -v129
	s_delay_alu instid0(VALU_DEP_2) | instskip(NEXT) | instid1(VALU_DEP_1)
	v_add_f32_e32 v130, v130, v138
	v_add_f32_e32 v130, v130, v156
	s_waitcnt_depctr 0xfff
	v_cndmask_b32_e64 v139, 0, v133, s9
	v_fma_f32 v133, s36, v141, -v129
	v_cndmask_b32_e64 v141, 0, v134, s10
	v_fma_f32 v134, s36, v142, -v129
	v_cndmask_b32_e64 v142, 0, v136, s13
	v_add_f32_e32 v130, v130, v139
	s_delay_alu instid0(VALU_DEP_3) | instskip(NEXT) | instid1(VALU_DEP_2)
	v_dual_mul_f32 v135, 0x3fb8aa3b, v135 :: v_dual_mul_f32 v134, 0x3fb8aa3b, v134
	v_add_f32_e32 v130, v130, v141
	s_delay_alu instid0(VALU_DEP_2) | instskip(NEXT) | instid1(VALU_DEP_2)
	v_exp_f32_e32 v135, v135
	v_exp_f32_e32 v134, v134
	s_waitcnt_depctr 0xfff
	v_cndmask_b32_e64 v140, 0, v135, s11
	v_mul_f32_e32 v131, 0x3fb8aa3b, v131
	v_fma_f32 v135, s36, v143, -v129
	s_delay_alu instid0(VALU_DEP_3) | instskip(NEXT) | instid1(VALU_DEP_3)
	v_add_f32_e32 v130, v130, v140
	v_exp_f32_e32 v131, v131
	s_waitcnt_depctr 0xfff
	v_cndmask_b32_e64 v143, 0, v131, s12
	s_delay_alu instid0(VALU_DEP_1) | instskip(NEXT) | instid1(VALU_DEP_1)
	v_dual_mul_f32 v133, 0x3fb8aa3b, v133 :: v_dual_add_f32 v130, v130, v143
	v_exp_f32_e32 v133, v133
	v_mul_f32_e32 v131, 0x3fb8aa3b, v135
	v_fma_f32 v135, s36, v144, -v129
	v_cndmask_b32_e64 v144, 0, v134, s16
	v_add_f32_e32 v130, v130, v142
	s_delay_alu instid0(VALU_DEP_4) | instskip(SKIP_2) | instid1(VALU_DEP_1)
	v_exp_f32_e32 v131, v131
	s_waitcnt_depctr 0xfff
	v_cndmask_b32_e64 v157, 0, v133, s15
	v_dual_mul_f32 v133, 0x3fb8aa3b, v135 :: v_dual_add_f32 v130, v130, v157
	s_delay_alu instid0(VALU_DEP_1) | instskip(SKIP_1) | instid1(VALU_DEP_2)
	v_exp_f32_e32 v133, v133
	v_cndmask_b32_e64 v159, 0, v131, s17
	v_add_f32_e32 v130, v130, v144
	s_delay_alu instid0(VALU_DEP_1) | instskip(SKIP_2) | instid1(VALU_DEP_1)
	v_add_f32_e32 v130, v130, v159
	s_waitcnt_depctr 0xfff
	v_cndmask_b32_e64 v158, 0, v133, s18
	v_add_f32_e32 v130, v130, v158
	ds_bpermute_b32 v131, v132, v130
	v_cmpx_gt_u32_e32 16, v150
	s_cbranch_execz .LBB43_12
; %bb.11:
	v_mul_u32_u24_e32 v132, 0x44, v149
	s_delay_alu instid0(VALU_DEP_1) | instskip(SKIP_1) | instid1(VALU_DEP_1)
	v_lshl_add_u32 v132, v148, 2, v132
	s_waitcnt lgkmcnt(0)
	v_dual_add_f32 v130, v130, v131 :: v_dual_add_nc_u32 v131, 0x4000, v132
	ds_store_2addr_b32 v131, v129, v130 offset1:136
.LBB43_12:
	s_or_b32 exec_lo, exec_lo, s3
	v_lshlrev_b32_e32 v129, 2, v148
	s_load_b32 s35, s[0:1], 0x94
	s_waitcnt lgkmcnt(0)
	s_barrier
	buffer_gl0_inv
	v_add_nc_u32_e32 v135, 0x4000, v129
	v_cmp_eq_u32_e32 vcc_lo, 1, v149
	v_cmp_eq_u32_e64 s3, 2, v149
	v_cmp_eq_u32_e64 s4, 3, v149
	;; [unrolled: 1-line block ×3, first 2 shown]
	ds_load_2addr_b32 v[129:130], v135 offset1:17
	ds_load_2addr_b32 v[131:132], v135 offset0:34 offset1:51
	ds_load_2addr_b32 v[133:134], v135 offset0:68 offset1:85
	;; [unrolled: 1-line block ×3, first 2 shown]
	v_cmp_eq_u32_e64 s6, 5, v149
	v_cmp_eq_u32_e64 s7, 7, v149
	s_waitcnt lgkmcnt(3)
	v_max3_f32 v136, v129, 0xff7fffff, v130
	s_waitcnt lgkmcnt(2)
	s_delay_alu instid0(VALU_DEP_1) | instskip(SKIP_1) | instid1(VALU_DEP_1)
	v_max3_f32 v136, v136, v131, v132
	s_waitcnt lgkmcnt(1)
	v_max3_f32 v136, v136, v133, v134
	s_waitcnt lgkmcnt(0)
	s_delay_alu instid0(VALU_DEP_1) | instskip(NEXT) | instid1(VALU_DEP_1)
	v_max3_f32 v136, v136, v160, v161
	v_sub_f32_e32 v164, v132, v136
	ds_load_2addr_b32 v[162:163], v135 offset0:136 offset1:153
	v_sub_f32_e32 v129, v129, v136
	v_sub_f32_e32 v137, v130, v136
	;; [unrolled: 1-line block ×3, first 2 shown]
	v_mul_f32_e32 v164, 0x3fb8aa3b, v164
	s_delay_alu instid0(VALU_DEP_4) | instskip(NEXT) | instid1(VALU_DEP_4)
	v_mul_f32_e32 v150, 0x3fb8aa3b, v129
	v_mul_f32_e32 v137, 0x3fb8aa3b, v137
	ds_load_2addr_b32 v[129:130], v135 offset0:170 offset1:187
	v_mul_f32_e32 v167, 0x3fb8aa3b, v133
	v_exp_f32_e32 v164, v164
	v_exp_f32_e32 v150, v150
	;; [unrolled: 1-line block ×3, first 2 shown]
	v_sub_f32_e32 v131, v131, v136
	s_delay_alu instid0(VALU_DEP_1)
	v_mul_f32_e32 v165, 0x3fb8aa3b, v131
	ds_load_2addr_b32 v[131:132], v135 offset0:204 offset1:221
	s_waitcnt lgkmcnt(2)
	v_fma_f32 v137, v150, v162, 0
	v_sub_f32_e32 v162, v134, v136
	v_exp_f32_e32 v165, v165
	ds_load_2addr_b32 v[133:134], v135 offset0:238 offset1:255
	v_sub_f32_e32 v135, v160, v136
	v_dual_fmac_f32 v137, v166, v163 :: v_dual_mul_f32 v160, 0x3fb8aa3b, v162
	v_exp_f32_e32 v162, v167
	s_waitcnt lgkmcnt(0)
	s_delay_alu instid0(VALU_DEP_2)
	v_mul_f32_e32 v135, 0x3fb8aa3b, v135
	s_barrier
	v_exp_f32_e32 v160, v160
	v_fmac_f32_e32 v137, v165, v129
	v_sub_f32_e32 v129, v161, v136
	v_exp_f32_e32 v161, v135
	buffer_gl0_inv
	v_fmac_f32_e32 v137, v164, v130
	v_dual_mul_f32 v129, 0x3fb8aa3b, v129 :: v_dual_cndmask_b32 v130, v150, v166
	s_delay_alu instid0(VALU_DEP_2) | instskip(NEXT) | instid1(VALU_DEP_2)
	v_fmac_f32_e32 v137, v162, v131
	v_exp_f32_e32 v163, v129
	s_delay_alu instid0(VALU_DEP_1) | instskip(NEXT) | instid1(VALU_DEP_1)
	v_fmac_f32_e32 v137, v160, v132
	v_fmac_f32_e32 v137, v161, v133
	v_lshlrev_b32_e32 v133, 6, v148
	s_waitcnt_depctr 0xfff
	v_fmac_f32_e32 v137, v163, v134
	v_lshl_or_b32 v135, v149, 11, v133
	s_delay_alu instid0(VALU_DEP_2) | instskip(NEXT) | instid1(VALU_DEP_1)
	v_add_f32_e32 v134, 0x358637bd, v137
	v_div_scale_f32 v167, null, v134, v134, 1.0
	v_div_scale_f32 v150, vcc_lo, 1.0, v134, 1.0
	s_delay_alu instid0(VALU_DEP_2) | instskip(SKIP_2) | instid1(VALU_DEP_1)
	v_rcp_f32_e32 v168, v167
	s_waitcnt_depctr 0xfff
	v_fma_f32 v129, -v167, v168, 1.0
	v_fmac_f32_e32 v168, v129, v168
	v_cndmask_b32_e64 v129, v130, v165, s3
	v_cmp_eq_u32_e64 s3, 6, v149
	s_delay_alu instid0(VALU_DEP_3) | instskip(NEXT) | instid1(VALU_DEP_3)
	v_mul_f32_e32 v165, v150, v168
	v_cndmask_b32_e64 v130, v129, v164, s4
	v_lshlrev_b32_e32 v129, 2, v146
	s_delay_alu instid0(VALU_DEP_3) | instskip(NEXT) | instid1(VALU_DEP_3)
	v_fma_f32 v131, -v167, v165, v150
	v_cndmask_b32_e64 v162, v130, v162, s5
	s_delay_alu instid0(VALU_DEP_3)
	v_or_b32_e32 v130, 1, v129
	v_or_b32_e32 v132, 2, v129
	v_cmp_eq_u32_e64 s4, 1, v129
	v_fmac_f32_e32 v165, v131, v168
	v_cndmask_b32_e64 v149, v162, v160, s6
	v_or_b32_e32 v131, 3, v129
	v_cmp_eq_u32_e64 s9, 1, v130
	v_cmp_eq_u32_e64 s10, 1, v132
	v_fma_f32 v150, -v167, v165, v150
	v_cndmask_b32_e64 v149, v149, v161, s3
	v_cmp_eq_u32_e64 s11, 1, v131
	v_cmp_eq_u32_e64 s5, 2, v129
	;; [unrolled: 1-line block ×3, first 2 shown]
	v_div_fmas_f32 v150, v150, v168, v165
	v_cndmask_b32_e64 v149, v149, v163, s7
	v_cmp_eq_u32_e64 s15, 2, v132
	v_cmp_eq_u32_e64 s16, 2, v131
	v_cmp_eq_u32_e32 vcc_lo, 3, v129
	v_div_fixup_f32 v150, v150, v134, 1.0
	v_lshl_or_b32 v134, v146, 4, v135
	v_cmp_eq_u32_e64 s13, 3, v130
	v_cmp_eq_u32_e64 s18, 3, v131
	;; [unrolled: 1-line block ×3, first 2 shown]
	v_mul_f32_e32 v149, v149, v150
	v_cmp_eq_u32_e64 s17, 3, v132
	v_cmp_eq_u32_e64 s19, 4, v130
	;; [unrolled: 1-line block ×4, first 2 shown]
	v_fma_mixlo_f16 v160, v149, v152, 0
	v_fma_mixlo_f16 v161, v149, v154, 0
	;; [unrolled: 1-line block ×8, first 2 shown]
	v_fma_mixhi_f16 v160, v149, v151, 0
	v_fma_mixhi_f16 v161, v149, v153, 0
	;; [unrolled: 1-line block ×8, first 2 shown]
	ds_store_b128 v134, v[160:163]
	ds_store_b128 v134, v[154:157] offset:1024
	s_waitcnt lgkmcnt(0)
	s_barrier
	buffer_gl0_inv
	ds_load_b128 v[138:141], v135
	ds_load_b128 v[149:152], v135 offset:16
	ds_load_b128 v[153:156], v135 offset:1024
	;; [unrolled: 1-line block ×3, first 2 shown]
	v_cmp_eq_u32_e64 s20, 5, v130
	v_cmp_eq_u32_e64 s21, 4, v132
	;; [unrolled: 1-line block ×12, first 2 shown]
	s_waitcnt lgkmcnt(3)
	v_lshrrev_b32_e32 v142, 16, v138
	s_waitcnt lgkmcnt(2)
	v_lshrrev_b32_e32 v162, 16, v149
	;; [unrolled: 2-line block ×4, first 2 shown]
	v_lshrrev_b32_e32 v143, 16, v139
	v_cndmask_b32_e64 v174, v138, v142, s4
	v_cndmask_b32_e64 v175, v149, v162, s4
	;; [unrolled: 1-line block ×7, first 2 shown]
	v_lshrrev_b32_e32 v163, 16, v150
	v_cndmask_b32_e64 v179, v149, v162, s10
	v_cndmask_b32_e64 v149, v153, v166, s4
	;; [unrolled: 1-line block ×16, first 2 shown]
	v_lshrrev_b32_e32 v167, 16, v154
	v_lshrrev_b32_e32 v171, 16, v158
	v_cndmask_b32_e64 v177, v179, v150, s15
	v_cndmask_b32_e64 v142, v149, v154, s5
	;; [unrolled: 1-line block ×7, first 2 shown]
	v_cndmask_b32_e32 v157, v166, v143, vcc_lo
	v_cndmask_b32_e32 v166, v170, v163, vcc_lo
	v_cndmask_b32_e64 v170, v174, v143, s13
	v_cndmask_b32_e64 v174, v175, v163, s13
	;; [unrolled: 1-line block ×4, first 2 shown]
	v_lshrrev_b32_e32 v144, 16, v140
	v_lshrrev_b32_e32 v164, 16, v151
	v_cndmask_b32_e64 v175, v176, v143, s17
	v_cndmask_b32_e64 v176, v177, v163, s17
	v_cndmask_b32_e32 v142, v142, v167, vcc_lo
	v_cndmask_b32_e32 v143, v149, v171, vcc_lo
	v_cndmask_b32_e64 v149, v150, v167, s13
	v_cndmask_b32_e64 v150, v157, v140, s3
	;; [unrolled: 1-line block ×7, first 2 shown]
	v_lshrrev_b32_e32 v168, 16, v155
	v_cndmask_b32_e64 v170, v175, v140, s21
	v_cndmask_b32_e64 v174, v176, v151, s21
	;; [unrolled: 1-line block ×11, first 2 shown]
	v_lshrrev_b32_e32 v161, 16, v141
	v_lshrrev_b32_e32 v165, 16, v152
	v_cndmask_b32_e64 v163, v170, v144, s23
	v_cndmask_b32_e64 v166, v174, v164, s23
	;; [unrolled: 1-line block ×9, first 2 shown]
	v_lshrrev_b32_e32 v169, 16, v156
	v_cndmask_b32_e64 v140, v140, v168, s6
	v_cndmask_b32_e64 v157, v163, v141, s26
	;; [unrolled: 1-line block ×14, first 2 shown]
	v_perm_b32 v141, v139, v138, 0x5040100
	v_perm_b32 v139, v151, v149, 0x5040100
	v_cndmask_b32_e64 v138, v183, v158, s15
	v_cndmask_b32_e64 v149, v181, v158, s12
	;; [unrolled: 1-line block ×3, first 2 shown]
	v_perm_b32 v140, v152, v150, 0x5040100
	v_cndmask_b32_e64 v150, v162, v167, s17
	v_cndmask_b32_e64 v151, v153, v167, s18
	;; [unrolled: 1-line block ×5, first 2 shown]
	v_lshrrev_b32_e32 v172, 16, v159
	v_cndmask_b32_e64 v150, v150, v155, s21
	v_cndmask_b32_e64 v151, v151, v155, s22
	;; [unrolled: 1-line block ×11, first 2 shown]
	v_lshrrev_b32_e32 v173, 16, v160
	v_cndmask_b32_e64 v142, v142, v160, s7
	v_cndmask_b32_e64 v150, v150, v156, s26
	;; [unrolled: 1-line block ×12, first 2 shown]
	v_perm_b32 v138, v144, v143, 0x5040100
	v_perm_b32 v152, v152, v151, 0x5040100
	;; [unrolled: 1-line block ×5, first 2 shown]
	s_mul_i32 s7, s33, 6
	s_mov_b32 s3, exec_lo
	ds_store_b128 v134, v[138:141]
	ds_store_b128 v134, v[149:152] offset:1024
	v_cmpx_gt_u32_e32 6, v0
	s_cbranch_execz .LBB43_14
; %bb.13:
	s_mul_i32 s4, s7, s34
	s_load_b128 s[8:11], s[0:1], 0x58
	v_add3_u32 v140, s4, s31, v148
	s_delay_alu instid0(VALU_DEP_1) | instskip(NEXT) | instid1(VALU_DEP_1)
	v_mad_u64_u32 v[138:139], null, v140, s35, s[14:15]
	v_ashrrev_i32_e32 v139, 31, v138
	s_delay_alu instid0(VALU_DEP_1) | instskip(SKIP_1) | instid1(VALU_DEP_1)
	v_lshlrev_b64 v[138:139], 2, v[138:139]
	s_waitcnt lgkmcnt(0)
	v_add_co_u32 v140, vcc_lo, s10, v138
	s_delay_alu instid0(VALU_DEP_2)
	v_add_co_ci_u32_e32 v141, vcc_lo, s11, v139, vcc_lo
	v_add_co_u32 v138, vcc_lo, s8, v138
	v_add_co_ci_u32_e32 v139, vcc_lo, s9, v139, vcc_lo
	global_store_b32 v[140:141], v136, off
	global_store_b32 v[138:139], v137, off
.LBB43_14:
	s_or_b32 exec_lo, exec_lo, s3
	s_waitcnt lgkmcnt(0)
	s_waitcnt_vscnt null, 0x0
	s_barrier
	buffer_gl0_inv
	ds_load_b128 v[148:151], v133
	ds_load_b128 v[152:155], v133 offset:16
	ds_load_b128 v[160:163], v133 offset:1040
	;; [unrolled: 1-line block ×5, first 2 shown]
	v_cmp_eq_u32_e32 vcc_lo, 1, v132
	v_mov_b32_e32 v136, 0
	ds_load_b128 v[176:179], v133 offset:3088
	ds_load_b128 v[172:175], v133 offset:3072
	;; [unrolled: 1-line block ×4, first 2 shown]
	v_cmp_eq_u32_e64 s3, 1, v129
	v_cmp_eq_u32_e64 s4, 1, v131
	;; [unrolled: 1-line block ×3, first 2 shown]
	v_mov_b32_e32 v137, v136
	v_mov_b32_e32 v138, v136
	;; [unrolled: 1-line block ×7, first 2 shown]
	v_cmp_eq_u32_e64 s6, 2, v129
	s_waitcnt lgkmcnt(8)
	s_delay_alu instid0(VALU_DEP_2)
	v_wmma_f32_16x16x16_f16 v[136:143], v[121:128], v[148:155], v[136:143]
	ds_load_b128 v[125:128], v133 offset:5136
	ds_load_b128 v[121:124], v133 offset:5120
	s_waitcnt lgkmcnt(8)
	v_wmma_f32_16x16x16_f16 v[136:143], v[113:120], v[156:163], v[136:143]
	ds_load_b128 v[117:120], v133 offset:6160
	ds_load_b128 v[113:116], v133 offset:6144
	s_waitcnt lgkmcnt(8)
	;; [unrolled: 4-line block ×11, first 2 shown]
	s_barrier
	buffer_gl0_inv
	v_wmma_f32_16x16x16_f16 v[136:143], v[1:8], v[73:80], v[136:143]
	s_delay_alu instid0(VALU_DEP_1) | instskip(NEXT) | instid1(VALU_DEP_1)
	v_wmma_f32_16x16x16_f16 v[136:143], v[9:16], v[65:72], v[136:143]
	v_wmma_f32_16x16x16_f16 v[136:143], v[33:40], v[57:64], v[136:143]
	s_delay_alu instid0(VALU_DEP_1) | instskip(NEXT) | instid1(VALU_DEP_1)
	v_wmma_f32_16x16x16_f16 v[136:143], v[41:48], v[49:56], v[136:143]
	v_wmma_f32_16x16x16_f16 v[136:143], v[17:24], v[25:32], v[136:143]
	s_delay_alu instid0(VALU_DEP_1) | instskip(NEXT) | instid1(VALU_DEP_2)
	v_cvt_f16_f32_e64 v1, v136
	v_cvt_f16_f32_e64 v2, v137
	s_delay_alu instid0(VALU_DEP_3) | instskip(NEXT) | instid1(VALU_DEP_4)
	v_cvt_f16_f32_e64 v3, v138
	v_cvt_f16_f32_e64 v4, v139
	;; [unrolled: 1-line block ×6, first 2 shown]
	v_pack_b32_f16 v1, v1, v2
	v_pack_b32_f16 v2, v3, v4
	;; [unrolled: 1-line block ×3, first 2 shown]
	s_delay_alu instid0(VALU_DEP_4)
	v_pack_b32_f16 v4, v7, v8
	ds_store_b128 v134, v[1:4]
	s_waitcnt lgkmcnt(0)
	s_barrier
	buffer_gl0_inv
	ds_load_b128 v[1:4], v135
	ds_load_b128 v[5:8], v135 offset:16
	s_waitcnt lgkmcnt(1)
	v_lshrrev_b32_e32 v9, 16, v1
	s_waitcnt lgkmcnt(0)
	v_lshrrev_b32_e32 v13, 16, v5
	v_lshrrev_b32_e32 v10, 16, v2
	v_lshrrev_b32_e32 v14, 16, v6
	v_lshrrev_b32_e32 v11, 16, v3
	v_cndmask_b32_e64 v17, v1, v9, s3
	v_cndmask_b32_e64 v18, v5, v13, s3
	;; [unrolled: 1-line block ×3, first 2 shown]
	v_cmp_eq_u32_e64 s3, 2, v130
	v_cndmask_b32_e64 v20, v5, v13, s5
	v_cndmask_b32_e32 v21, v1, v9, vcc_lo
	v_cndmask_b32_e32 v22, v5, v13, vcc_lo
	v_cndmask_b32_e64 v1, v1, v9, s4
	v_cndmask_b32_e64 v5, v5, v13, s4
	v_cmp_eq_u32_e32 vcc_lo, 2, v132
	v_cmp_eq_u32_e64 s4, 2, v131
	v_cndmask_b32_e64 v9, v17, v2, s6
	v_cndmask_b32_e64 v13, v18, v6, s6
	;; [unrolled: 1-line block ×4, first 2 shown]
	v_cndmask_b32_e32 v19, v21, v2, vcc_lo
	v_cmp_eq_u32_e64 s3, 3, v132
	v_cndmask_b32_e32 v20, v22, v6, vcc_lo
	v_cndmask_b32_e64 v1, v1, v2, s4
	v_cmp_eq_u32_e32 vcc_lo, 3, v131
	v_cmp_eq_u32_e64 s5, 3, v129
	v_cndmask_b32_e64 v2, v5, v6, s4
	v_cmp_eq_u32_e64 s4, 3, v130
	v_cmp_eq_u32_e64 s6, 4, v129
	v_cndmask_b32_e32 v1, v1, v10, vcc_lo
	v_cndmask_b32_e64 v5, v9, v10, s5
	v_cndmask_b32_e64 v6, v13, v14, s5
	;; [unrolled: 1-line block ×3, first 2 shown]
	v_cmp_eq_u32_e64 s5, 4, v130
	v_cndmask_b32_e64 v13, v18, v14, s4
	v_cndmask_b32_e64 v17, v19, v10, s3
	;; [unrolled: 1-line block ×3, first 2 shown]
	v_cndmask_b32_e32 v2, v2, v14, vcc_lo
	v_cmp_eq_u32_e32 vcc_lo, 4, v132
	v_cmp_eq_u32_e64 s4, 4, v131
	v_lshrrev_b32_e32 v15, 16, v7
	v_cndmask_b32_e64 v5, v5, v3, s6
	v_cndmask_b32_e64 v6, v6, v7, s6
	v_cndmask_b32_e32 v14, v18, v7, vcc_lo
	v_cndmask_b32_e64 v9, v9, v3, s5
	v_cndmask_b32_e64 v10, v13, v7, s5
	v_cndmask_b32_e32 v13, v17, v3, vcc_lo
	v_cmp_eq_u32_e64 s3, 5, v132
	v_cndmask_b32_e64 v1, v1, v3, s4
	v_cmp_eq_u32_e32 vcc_lo, 5, v131
	v_cmp_eq_u32_e64 s5, 5, v129
	v_cndmask_b32_e64 v2, v2, v7, s4
	v_cmp_eq_u32_e64 s4, 5, v130
	v_cmp_eq_u32_e64 s6, 6, v129
	v_lshrrev_b32_e32 v12, 16, v4
	v_cndmask_b32_e64 v3, v5, v11, s5
	v_cndmask_b32_e64 v5, v6, v15, s5
	v_cndmask_b32_e64 v6, v9, v11, s4
	v_cmp_eq_u32_e64 s5, 6, v130
	v_cndmask_b32_e64 v7, v10, v15, s4
	v_cndmask_b32_e64 v9, v13, v11, s3
	;; [unrolled: 1-line block ×3, first 2 shown]
	v_cndmask_b32_e32 v1, v1, v11, vcc_lo
	v_cndmask_b32_e32 v2, v2, v15, vcc_lo
	v_cmp_eq_u32_e32 vcc_lo, 6, v132
	v_cmp_eq_u32_e64 s3, 6, v131
	v_lshrrev_b32_e32 v16, 16, v8
	v_cndmask_b32_e64 v3, v3, v4, s6
	v_cndmask_b32_e64 v5, v5, v8, s6
	v_cndmask_b32_e32 v9, v9, v4, vcc_lo
	v_cndmask_b32_e64 v6, v6, v4, s5
	v_cndmask_b32_e64 v7, v7, v8, s5
	v_cmp_eq_u32_e64 s4, 7, v132
	v_cndmask_b32_e32 v10, v10, v8, vcc_lo
	v_cndmask_b32_e64 v1, v1, v4, s3
	v_cmp_eq_u32_e32 vcc_lo, 7, v131
	v_cndmask_b32_e64 v2, v2, v8, s3
	v_cmp_eq_u32_e64 s3, 7, v129
	v_cmp_eq_u32_e64 s5, 7, v130
	v_cndmask_b32_e32 v1, v1, v12, vcc_lo
	s_delay_alu instid0(VALU_DEP_4) | instskip(NEXT) | instid1(VALU_DEP_4)
	v_cndmask_b32_e32 v2, v2, v16, vcc_lo
	v_cndmask_b32_e64 v8, v3, v12, s3
	s_delay_alu instid0(VALU_DEP_4)
	v_cndmask_b32_e64 v6, v6, v12, s5
	v_cndmask_b32_e64 v3, v9, v12, s4
	;; [unrolled: 1-line block ×5, first 2 shown]
	v_cmp_gt_u32_e32 vcc_lo, 32, v0
	v_perm_b32 v4, v2, v1, 0x5040100
	v_perm_b32 v3, v9, v3, 0x5040100
	;; [unrolled: 1-line block ×4, first 2 shown]
	s_and_b32 s2, vcc_lo, s2
	ds_store_b128 v134, v[1:4]
	s_waitcnt lgkmcnt(0)
	s_barrier
	buffer_gl0_inv
	s_and_saveexec_b32 s3, s2
	s_cbranch_execz .LBB43_2
; %bb.15:
	s_load_b64 s[0:1], s[0:1], 0x68
	s_lshl_b32 s4, s35, 6
	v_or_b32_e32 v3, s31, v146
	s_mul_i32 s2, s4, s34
	v_lshlrev_b32_e32 v0, 10, v0
	s_mul_i32 s2, s2, s7
	v_lshlrev_b32_e32 v1, 4, v147
	s_ashr_i32 s3, s2, 31
	v_mul_lo_u32 v12, v3, s4
	s_lshl_b64 s[2:3], s[2:3], 1
	v_lshlrev_b32_e32 v2, 6, v146
	v_and_b32_e32 v0, 0x3800, v0
	s_delay_alu instid0(VALU_DEP_1) | instskip(NEXT) | instid1(VALU_DEP_4)
	v_or3_b32 v8, v0, v1, v2
	v_ashrrev_i32_e32 v13, 31, v12
	ds_load_b128 v[0:3], v8
	ds_load_b128 v[4:7], v8 offset:128
	ds_load_b128 v[8:11], v8 offset:256
	s_waitcnt lgkmcnt(0)
	s_add_u32 s2, s0, s2
	s_addc_u32 s3, s1, s3
	s_lshl_b32 s0, s14, 6
	s_delay_alu instid0(SALU_CYCLE_1) | instskip(NEXT) | instid1(SALU_CYCLE_1)
	s_ashr_i32 s1, s0, 31
	s_lshl_b64 s[0:1], s[0:1], 1
	s_delay_alu instid0(SALU_CYCLE_1)
	s_add_u32 s0, s2, s0
	s_addc_u32 s1, s3, s1
	s_lshl_b32 s2, s35, 7
	v_add_co_u32 v18, s0, s0, v145
	v_add_nc_u32_e32 v14, s2, v12
	v_lshlrev_b64 v[12:13], 1, v[12:13]
	v_add_co_ci_u32_e64 v19, null, s1, 0, s0
	s_delay_alu instid0(VALU_DEP_3) | instskip(SKIP_1) | instid1(VALU_DEP_4)
	v_add_nc_u32_e32 v16, s2, v14
	v_ashrrev_i32_e32 v15, 31, v14
	v_add_co_u32 v12, vcc_lo, v18, v12
	s_delay_alu instid0(VALU_DEP_4) | instskip(NEXT) | instid1(VALU_DEP_4)
	v_add_co_ci_u32_e32 v13, vcc_lo, v19, v13, vcc_lo
	v_ashrrev_i32_e32 v17, 31, v16
	s_delay_alu instid0(VALU_DEP_4) | instskip(NEXT) | instid1(VALU_DEP_2)
	v_lshlrev_b64 v[14:15], 1, v[14:15]
	v_lshlrev_b64 v[16:17], 1, v[16:17]
	s_delay_alu instid0(VALU_DEP_2) | instskip(NEXT) | instid1(VALU_DEP_3)
	v_add_co_u32 v14, vcc_lo, v18, v14
	v_add_co_ci_u32_e32 v15, vcc_lo, v19, v15, vcc_lo
	s_delay_alu instid0(VALU_DEP_3) | instskip(NEXT) | instid1(VALU_DEP_4)
	v_add_co_u32 v16, vcc_lo, v18, v16
	v_add_co_ci_u32_e32 v17, vcc_lo, v19, v17, vcc_lo
	s_clause 0x2
	global_store_b128 v[12:13], v[0:3], off
	global_store_b128 v[14:15], v[4:7], off
	global_store_b128 v[16:17], v[8:11], off
	s_nop 0
	s_sendmsg sendmsg(MSG_DEALLOC_VGPRS)
	s_endpgm
	.section	.rodata,"a",@progbits
	.p2align	6, 0x0
	.amdhsa_kernel _Z39paged_attention_ll4mi_QKV_mfma16_kernelIDF16_DF16_LN4vllm18Fp8KVCacheDataTypeE0EhLi16ELi64ELi256ELb0ELi6EL8MFMAType0EEvPKT_PKT0_S8_ifPKiSA_SA_iPKfiiiPfSD_PS3_PT2_iSC_SC_
		.amdhsa_group_segment_fixed_size 17472
		.amdhsa_private_segment_fixed_size 0
		.amdhsa_kernarg_size 400
		.amdhsa_user_sgpr_count 13
		.amdhsa_user_sgpr_dispatch_ptr 0
		.amdhsa_user_sgpr_queue_ptr 0
		.amdhsa_user_sgpr_kernarg_segment_ptr 1
		.amdhsa_user_sgpr_dispatch_id 0
		.amdhsa_user_sgpr_private_segment_size 0
		.amdhsa_wavefront_size32 1
		.amdhsa_uses_dynamic_stack 0
		.amdhsa_enable_private_segment 0
		.amdhsa_system_sgpr_workgroup_id_x 1
		.amdhsa_system_sgpr_workgroup_id_y 1
		.amdhsa_system_sgpr_workgroup_id_z 1
		.amdhsa_system_sgpr_workgroup_info 0
		.amdhsa_system_vgpr_workitem_id 0
		.amdhsa_next_free_vgpr 198
		.amdhsa_next_free_sgpr 52
		.amdhsa_reserve_vcc 1
		.amdhsa_float_round_mode_32 0
		.amdhsa_float_round_mode_16_64 0
		.amdhsa_float_denorm_mode_32 3
		.amdhsa_float_denorm_mode_16_64 3
		.amdhsa_dx10_clamp 1
		.amdhsa_ieee_mode 1
		.amdhsa_fp16_overflow 0
		.amdhsa_workgroup_processor_mode 1
		.amdhsa_memory_ordered 1
		.amdhsa_forward_progress 0
		.amdhsa_shared_vgpr_count 0
		.amdhsa_exception_fp_ieee_invalid_op 0
		.amdhsa_exception_fp_denorm_src 0
		.amdhsa_exception_fp_ieee_div_zero 0
		.amdhsa_exception_fp_ieee_overflow 0
		.amdhsa_exception_fp_ieee_underflow 0
		.amdhsa_exception_fp_ieee_inexact 0
		.amdhsa_exception_int_div_zero 0
	.end_amdhsa_kernel
	.section	.text._Z39paged_attention_ll4mi_QKV_mfma16_kernelIDF16_DF16_LN4vllm18Fp8KVCacheDataTypeE0EhLi16ELi64ELi256ELb0ELi6EL8MFMAType0EEvPKT_PKT0_S8_ifPKiSA_SA_iPKfiiiPfSD_PS3_PT2_iSC_SC_,"axG",@progbits,_Z39paged_attention_ll4mi_QKV_mfma16_kernelIDF16_DF16_LN4vllm18Fp8KVCacheDataTypeE0EhLi16ELi64ELi256ELb0ELi6EL8MFMAType0EEvPKT_PKT0_S8_ifPKiSA_SA_iPKfiiiPfSD_PS3_PT2_iSC_SC_,comdat
.Lfunc_end43:
	.size	_Z39paged_attention_ll4mi_QKV_mfma16_kernelIDF16_DF16_LN4vllm18Fp8KVCacheDataTypeE0EhLi16ELi64ELi256ELb0ELi6EL8MFMAType0EEvPKT_PKT0_S8_ifPKiSA_SA_iPKfiiiPfSD_PS3_PT2_iSC_SC_, .Lfunc_end43-_Z39paged_attention_ll4mi_QKV_mfma16_kernelIDF16_DF16_LN4vllm18Fp8KVCacheDataTypeE0EhLi16ELi64ELi256ELb0ELi6EL8MFMAType0EEvPKT_PKT0_S8_ifPKiSA_SA_iPKfiiiPfSD_PS3_PT2_iSC_SC_
                                        ; -- End function
	.section	.AMDGPU.csdata,"",@progbits
; Kernel info:
; codeLenInByte = 7812
; NumSgprs: 54
; NumVgprs: 198
; ScratchSize: 0
; MemoryBound: 0
; FloatMode: 240
; IeeeMode: 1
; LDSByteSize: 17472 bytes/workgroup (compile time only)
; SGPRBlocks: 6
; VGPRBlocks: 24
; NumSGPRsForWavesPerEU: 54
; NumVGPRsForWavesPerEU: 198
; Occupancy: 7
; WaveLimiterHint : 1
; COMPUTE_PGM_RSRC2:SCRATCH_EN: 0
; COMPUTE_PGM_RSRC2:USER_SGPR: 13
; COMPUTE_PGM_RSRC2:TRAP_HANDLER: 0
; COMPUTE_PGM_RSRC2:TGID_X_EN: 1
; COMPUTE_PGM_RSRC2:TGID_Y_EN: 1
; COMPUTE_PGM_RSRC2:TGID_Z_EN: 1
; COMPUTE_PGM_RSRC2:TIDIG_COMP_CNT: 0
	.section	.text._Z39paged_attention_ll4mi_QKV_mfma16_kernelIDF16_DF16_LN4vllm18Fp8KVCacheDataTypeE0EhLi16ELi64ELi256ELb0ELi7EL8MFMAType0EEvPKT_PKT0_S8_ifPKiSA_SA_iPKfiiiPfSD_PS3_PT2_iSC_SC_,"axG",@progbits,_Z39paged_attention_ll4mi_QKV_mfma16_kernelIDF16_DF16_LN4vllm18Fp8KVCacheDataTypeE0EhLi16ELi64ELi256ELb0ELi7EL8MFMAType0EEvPKT_PKT0_S8_ifPKiSA_SA_iPKfiiiPfSD_PS3_PT2_iSC_SC_,comdat
	.protected	_Z39paged_attention_ll4mi_QKV_mfma16_kernelIDF16_DF16_LN4vllm18Fp8KVCacheDataTypeE0EhLi16ELi64ELi256ELb0ELi7EL8MFMAType0EEvPKT_PKT0_S8_ifPKiSA_SA_iPKfiiiPfSD_PS3_PT2_iSC_SC_ ; -- Begin function _Z39paged_attention_ll4mi_QKV_mfma16_kernelIDF16_DF16_LN4vllm18Fp8KVCacheDataTypeE0EhLi16ELi64ELi256ELb0ELi7EL8MFMAType0EEvPKT_PKT0_S8_ifPKiSA_SA_iPKfiiiPfSD_PS3_PT2_iSC_SC_
	.globl	_Z39paged_attention_ll4mi_QKV_mfma16_kernelIDF16_DF16_LN4vllm18Fp8KVCacheDataTypeE0EhLi16ELi64ELi256ELb0ELi7EL8MFMAType0EEvPKT_PKT0_S8_ifPKiSA_SA_iPKfiiiPfSD_PS3_PT2_iSC_SC_
	.p2align	8
	.type	_Z39paged_attention_ll4mi_QKV_mfma16_kernelIDF16_DF16_LN4vllm18Fp8KVCacheDataTypeE0EhLi16ELi64ELi256ELb0ELi7EL8MFMAType0EEvPKT_PKT0_S8_ifPKiSA_SA_iPKfiiiPfSD_PS3_PT2_iSC_SC_,@function
_Z39paged_attention_ll4mi_QKV_mfma16_kernelIDF16_DF16_LN4vllm18Fp8KVCacheDataTypeE0EhLi16ELi64ELi256ELb0ELi7EL8MFMAType0EEvPKT_PKT0_S8_ifPKiSA_SA_iPKfiiiPfSD_PS3_PT2_iSC_SC_: ; @_Z39paged_attention_ll4mi_QKV_mfma16_kernelIDF16_DF16_LN4vllm18Fp8KVCacheDataTypeE0EhLi16ELi64ELi256ELb0ELi7EL8MFMAType0EEvPKT_PKT0_S8_ifPKiSA_SA_iPKfiiiPfSD_PS3_PT2_iSC_SC_
; %bb.0:
	s_load_b64 s[2:3], s[0:1], 0x30
	s_mov_b32 s34, s13
	s_waitcnt lgkmcnt(0)
	s_cmp_lg_u64 s[2:3], 0
	s_cselect_b32 s8, -1, 0
	s_ashr_i32 s35, s13, 31
	s_cmp_eq_u64 s[2:3], 0
	s_cbranch_scc1 .LBB44_3
; %bb.1:
	s_lshl_b64 s[4:5], s[34:35], 2
	s_delay_alu instid0(SALU_CYCLE_1) | instskip(SKIP_4) | instid1(SALU_CYCLE_1)
	s_add_u32 s4, s2, s4
	s_addc_u32 s5, s3, s5
	s_load_b64 s[4:5], s[4:5], 0x0
	s_waitcnt lgkmcnt(0)
	s_sub_i32 s4, s5, s4
	s_cmp_eq_u32 s4, 1
	s_cselect_b32 s4, -1, 0
	s_delay_alu instid0(SALU_CYCLE_1)
	s_and_not1_b32 vcc_lo, exec_lo, s4
	s_cbranch_vccz .LBB44_4
.LBB44_2:
	s_nop 0
	s_sendmsg sendmsg(MSG_DEALLOC_VGPRS)
	s_endpgm
.LBB44_3:
.LBB44_4:
	s_load_b64 s[4:5], s[0:1], 0x28
	s_lshl_b64 s[6:7], s[34:35], 2
	s_waitcnt lgkmcnt(0)
	s_add_u32 s4, s4, s6
	s_addc_u32 s5, s5, s7
	s_lshl_b32 s31, s14, 8
	s_load_b32 s30, s[4:5], 0x0
	s_waitcnt lgkmcnt(0)
	s_cmp_ge_i32 s31, s30
	s_cbranch_scc1 .LBB44_2
; %bb.5:
	s_clause 0x1
	s_load_b128 s[20:23], s[0:1], 0x8
	s_load_b64 s[4:5], s[0:1], 0x20
	s_and_not1_b32 vcc_lo, exec_lo, s8
	s_cbranch_vccnz .LBB44_7
; %bb.6:
	s_add_u32 s2, s2, s6
	s_addc_u32 s3, s3, s7
	s_load_b32 s3, s[2:3], 0x0
	s_branch .LBB44_8
.LBB44_7:
	s_mov_b32 s3, s34
.LBB44_8:
	s_load_b128 s[16:19], s[0:1], 0x48
	v_lshrrev_b32_e32 v149, 5, v0
	v_bfe_u32 v146, v0, 4, 1
	v_and_b32_e32 v148, 15, v0
	v_and_b32_e32 v150, 31, v0
	;; [unrolled: 1-line block ×3, first 2 shown]
	s_mul_i32 s33, s15, 7
	v_lshl_or_b32 v1, v149, 1, v146
	v_lshlrev_b32_e32 v2, 3, v148
	v_cmp_gt_u32_e64 s2, 8, v148
	s_delay_alu instid0(VALU_DEP_3) | instskip(NEXT) | instid1(VALU_DEP_3)
	v_cmp_gt_u32_e32 vcc_lo, 7, v1
	v_lshlrev_b32_e32 v145, 1, v2
	s_delay_alu instid0(VALU_DEP_3) | instskip(NEXT) | instid1(SALU_CYCLE_1)
	s_and_b32 s7, s2, vcc_lo
	s_and_saveexec_b32 s6, s7
	s_cbranch_execz .LBB44_10
; %bb.9:
	s_load_b64 s[8:9], s[0:1], 0x0
	v_add_lshl_u32 v2, v1, s33, 6
	s_waitcnt lgkmcnt(0)
	s_mul_hi_i32 s11, s3, s16
	s_mul_i32 s10, s3, s16
	v_lshlrev_b32_e32 v6, 10, v148
	s_lshl_b64 s[10:11], s[10:11], 1
	v_ashrrev_i32_e32 v3, 31, v2
	v_lshlrev_b32_e32 v1, 6, v1
	v_lshlrev_b32_e32 v7, 10, v147
	v_and_b32_e32 v6, 0x3800, v6
	s_delay_alu instid0(VALU_DEP_4) | instskip(NEXT) | instid1(VALU_DEP_2)
	v_lshlrev_b64 v[2:3], 1, v[2:3]
	v_or3_b32 v1, v6, v7, v1
	s_add_u32 s3, s8, s10
	s_addc_u32 s7, s9, s11
	s_delay_alu instid0(VALU_DEP_2) | instskip(NEXT) | instid1(VALU_DEP_3)
	v_add_co_u32 v2, vcc_lo, s3, v2
	v_add_co_ci_u32_e32 v3, vcc_lo, s7, v3, vcc_lo
	s_delay_alu instid0(VALU_DEP_2) | instskip(NEXT) | instid1(VALU_DEP_2)
	v_add_co_u32 v2, vcc_lo, v2, v145
	v_add_co_ci_u32_e32 v3, vcc_lo, 0, v3, vcc_lo
	global_load_b128 v[2:5], v[2:3], off
	s_waitcnt vmcnt(0)
	ds_store_b128 v1, v[2:5]
.LBB44_10:
	s_or_b32 exec_lo, exec_lo, s6
	v_and_b32_e32 v1, 0xef, v0
	s_waitcnt lgkmcnt(0)
	s_add_i32 s3, s30, 15
	s_clause 0x1
	s_load_b32 s6, s[0:1], 0x38
	s_load_b32 s35, s[0:1], 0x98
	s_ashr_i32 s7, s3, 31
	v_add_nc_u32_e32 v1, s31, v1
	s_lshr_b32 s7, s7, 28
	s_load_b32 s36, s[0:1], 0x1c
	s_add_i32 s3, s3, s7
	s_waitcnt lgkmcnt(0)
	v_ashrrev_i32_e32 v2, 31, v1
	v_or_b32_e32 v3, 16, v1
	s_ashr_i32 s3, s3, 4
	v_cmp_gt_i32_e32 vcc_lo, s30, v1
	s_add_i32 s3, s3, -1
	v_lshrrev_b32_e32 v2, 28, v2
	s_barrier
	buffer_gl0_inv
	v_add_nc_u32_e32 v4, v1, v2
	s_mul_i32 s6, s34, s6
	s_delay_alu instid0(SALU_CYCLE_1) | instskip(NEXT) | instid1(VALU_DEP_1)
	s_ashr_i32 s7, s6, 31
	v_ashrrev_i32_e32 v4, 4, v4
	v_add_nc_u32_e32 v2, v3, v2
	s_lshl_b64 s[6:7], s[6:7], 2
	s_delay_alu instid0(SALU_CYCLE_1) | instskip(NEXT) | instid1(VALU_DEP_2)
	s_add_u32 s16, s4, s6
	v_cndmask_b32_e32 v1, s3, v4, vcc_lo
	s_delay_alu instid0(VALU_DEP_2) | instskip(SKIP_3) | instid1(SALU_CYCLE_1)
	v_ashrrev_i32_e32 v2, 4, v2
	v_cmp_gt_i32_e32 vcc_lo, s30, v3
	s_addc_u32 s37, s5, s7
	s_mul_i32 s4, s15, s18
	s_ashr_i32 s5, s4, 31
	v_cndmask_b32_e32 v3, s3, v2, vcc_lo
	v_ashrrev_i32_e32 v2, 31, v1
	s_lshl_b64 s[12:13], s[4:5], 1
	s_delay_alu instid0(SALU_CYCLE_1) | instskip(NEXT) | instid1(VALU_DEP_2)
	s_add_u32 s26, s20, s12
	v_ashrrev_i32_e32 v4, 31, v3
	s_delay_alu instid0(VALU_DEP_2) | instskip(SKIP_2) | instid1(VALU_DEP_2)
	v_lshlrev_b64 v[1:2], 2, v[1:2]
	s_addc_u32 s27, s21, s13
	s_lshl_b32 s4, s14, 4
	v_lshlrev_b64 v[3:4], 2, v[3:4]
	s_ashr_i32 s5, s4, 31
	s_delay_alu instid0(VALU_DEP_2) | instskip(SKIP_1) | instid1(VALU_DEP_3)
	v_add_co_u32 v1, vcc_lo, s16, v1
	v_add_co_ci_u32_e32 v2, vcc_lo, s37, v2, vcc_lo
	v_add_co_u32 v3, vcc_lo, s16, v3
	s_delay_alu instid0(VALU_DEP_4)
	v_add_co_ci_u32_e32 v4, vcc_lo, s37, v4, vcc_lo
	s_clause 0x1
	global_load_b32 v5, v[1:2], off
	global_load_b32 v6, v[3:4], off
	s_lshl_b64 s[4:5], s[4:5], 2
	v_lshlrev_b32_e32 v3, 4, v0
	s_add_u32 s4, s16, s4
	s_addc_u32 s5, s37, s5
	s_or_b32 s6, s31, 16
	s_delay_alu instid0(SALU_CYCLE_1) | instskip(SKIP_2) | instid1(SALU_CYCLE_1)
	s_ashr_i32 s7, s6, 4
	s_cmp_lt_i32 s6, s30
	s_cselect_b32 s6, s7, s3
	s_ashr_i32 s7, s6, 31
	s_delay_alu instid0(SALU_CYCLE_1) | instskip(NEXT) | instid1(SALU_CYCLE_1)
	s_lshl_b64 s[6:7], s[6:7], 2
	s_add_u32 s6, s16, s6
	s_addc_u32 s7, s37, s7
	s_or_b32 s8, s31, 32
	s_delay_alu instid0(SALU_CYCLE_1) | instskip(SKIP_2) | instid1(SALU_CYCLE_1)
	s_ashr_i32 s9, s8, 4
	s_cmp_lt_i32 s8, s30
	s_cselect_b32 s8, s9, s3
	s_ashr_i32 s9, s8, 31
	s_delay_alu instid0(SALU_CYCLE_1) | instskip(NEXT) | instid1(SALU_CYCLE_1)
	s_lshl_b64 s[8:9], s[8:9], 2
	;; [unrolled: 10-line block ×5, first 2 shown]
	s_add_u32 s24, s16, s18
	s_addc_u32 s25, s37, s19
	s_clause 0x5
	s_load_b32 s38, s[4:5], 0x0
	s_load_b32 s29, s[6:7], 0x0
	;; [unrolled: 1-line block ×6, first 2 shown]
	s_waitcnt vmcnt(1)
	v_mad_i64_i32 v[1:2], null, v5, s17, 0
	v_and_b32_e32 v5, 0xf0, v3
	s_waitcnt vmcnt(0)
	v_mad_i64_i32 v[3:4], null, v6, s17, 0
	s_delay_alu instid0(VALU_DEP_2) | instskip(NEXT) | instid1(VALU_DEP_4)
	v_add_co_u32 v7, s4, s26, v5
	v_lshlrev_b64 v[1:2], 1, v[1:2]
	v_add_co_ci_u32_e64 v8, null, s27, 0, s4
	s_delay_alu instid0(VALU_DEP_4) | instskip(SKIP_1) | instid1(VALU_DEP_3)
	v_lshlrev_b64 v[5:6], 1, v[3:4]
	s_or_b32 s4, s31, 0x60
	v_add_co_u32 v3, vcc_lo, v7, v1
	s_delay_alu instid0(VALU_DEP_3) | instskip(NEXT) | instid1(VALU_DEP_3)
	v_add_co_ci_u32_e32 v4, vcc_lo, v8, v2, vcc_lo
	v_add_co_u32 v1, vcc_lo, v7, v5
	s_delay_alu instid0(VALU_DEP_4)
	v_add_co_ci_u32_e32 v2, vcc_lo, v8, v6, vcc_lo
	s_clause 0x9
	global_load_b128 v[9:12], v[3:4], off
	global_load_b128 v[13:16], v[3:4], off offset:256
	global_load_b128 v[129:132], v[1:2], off
	global_load_b128 v[133:136], v[1:2], off offset:256
	global_load_b128 v[41:44], v[3:4], off offset:512
	;; [unrolled: 1-line block ×7, first 2 shown]
	v_mul_lo_u16 v5, v148, 37
	s_clause 0x1
	global_load_b128 v[151:154], v[1:2], off offset:1024
	global_load_b128 v[155:158], v[1:2], off offset:1280
	s_ashr_i32 s5, s4, 4
	s_cmp_lt_i32 s4, s30
	v_lshlrev_b32_e32 v6, 5, v148
	v_lshrrev_b16 v5, 8, v5
	s_cselect_b32 s4, s5, s3
	s_delay_alu instid0(SALU_CYCLE_1) | instskip(NEXT) | instid1(VALU_DEP_2)
	s_ashr_i32 s5, s4, 31
	v_lshl_or_b32 v6, v149, 9, v6
	s_delay_alu instid0(VALU_DEP_2) | instskip(SKIP_1) | instid1(SALU_CYCLE_1)
	v_mul_lo_u16 v5, v5, 7
	s_lshl_b64 s[4:5], s[4:5], 2
	s_add_u32 s20, s16, s4
	s_addc_u32 s21, s37, s5
	s_delay_alu instid0(VALU_DEP_1) | instskip(SKIP_1) | instid1(SALU_CYCLE_1)
	v_sub_nc_u16 v5, v148, v5
	s_or_b32 s4, s31, 0x70
	s_ashr_i32 s5, s4, 4
	s_cmp_lt_i32 s4, s30
	s_delay_alu instid0(VALU_DEP_1) | instskip(SKIP_1) | instid1(SALU_CYCLE_1)
	v_and_b32_e32 v5, 0xff, v5
	s_cselect_b32 s4, s5, s3
	s_ashr_i32 s5, s4, 31
	s_delay_alu instid0(VALU_DEP_1)
	v_lshlrev_b32_e32 v197, 6, v5
	ds_load_b128 v[159:162], v197
	ds_load_b128 v[163:166], v197 offset:1024
	s_clause 0x3
	global_load_b128 v[167:170], v[3:4], off offset:1536
	global_load_b128 v[171:174], v[3:4], off offset:1792
	;; [unrolled: 1-line block ×4, first 2 shown]
	s_lshl_b64 s[6:7], s[4:5], 2
	s_mov_b32 s4, 0
	s_add_u32 s24, s16, s6
	s_addc_u32 s25, s37, s7
	s_or_b32 s5, s31, 0x80
	s_mov_b32 s11, s4
	s_ashr_i32 s6, s5, 4
	s_cmp_lt_i32 s5, s30
	s_mov_b32 s5, s4
	s_cselect_b32 s8, s6, s3
	s_mov_b32 s6, s4
	s_ashr_i32 s9, s8, 31
	s_mov_b32 s7, s4
	s_lshl_b64 s[8:9], s[8:9], 2
	s_clause 0x1
	s_load_b32 s45, s[20:21], 0x0
	s_load_b32 s46, s[24:25], 0x0
	s_add_u32 s26, s16, s8
	s_addc_u32 s27, s37, s9
	s_or_b32 s9, s31, 0x90
	s_mov_b32 s8, s4
	s_ashr_i32 s10, s9, 4
	s_cmp_lt_i32 s9, s30
	s_mov_b32 s9, s4
	s_cselect_b32 s40, s10, s3
	s_mov_b32 s10, s4
	s_ashr_i32 s41, s40, 31
	v_mov_b32_e32 v144, s11
	s_lshl_b64 s[40:41], s[40:41], 2
	v_mov_b32_e32 v143, s10
	s_add_u32 s40, s16, s40
	s_addc_u32 s41, s37, s41
	s_or_b32 s39, s31, 0xa0
	s_load_b32 s41, s[40:41], 0x0
	s_ashr_i32 s42, s39, 4
	s_cmp_lt_i32 s39, s30
	v_mov_b32_e32 v142, s9
	s_cselect_b32 s42, s42, s3
	v_mov_b32_e32 v141, s8
	s_ashr_i32 s43, s42, 31
	v_dual_mov_b32 v140, s7 :: v_dual_mov_b32 v139, s6
	v_dual_mov_b32 v138, s5 :: v_dual_mov_b32 v137, s4
	s_lshl_b64 s[4:5], s[42:43], 2
	s_waitcnt lgkmcnt(0)
	s_mul_hi_i32 s7, s29, s17
	s_add_u32 s42, s16, s4
	s_addc_u32 s43, s37, s5
	s_or_b32 s4, s31, 0xb0
	s_mul_hi_i32 s5, s38, s17
	s_ashr_i32 s6, s4, 4
	s_cmp_lt_i32 s4, s30
	s_mul_i32 s4, s38, s17
	s_cselect_b32 s8, s6, s3
	s_mul_i32 s6, s29, s17
	s_ashr_i32 s9, s8, 31
	s_load_b32 s40, s[42:43], 0x0
	s_lshl_b64 s[8:9], s[8:9], 2
	s_mul_hi_i32 s21, s15, s17
	s_add_u32 s38, s16, s8
	s_addc_u32 s39, s37, s9
	s_or_b32 s8, s31, 0xc0
	s_mul_hi_i32 s9, s28, s17
	s_ashr_i32 s10, s8, 4
	s_cmp_lt_i32 s8, s30
	s_mul_i32 s8, s28, s17
	s_cselect_b32 s28, s10, s3
	s_mul_hi_i32 s11, s19, s17
	s_ashr_i32 s29, s28, 31
	s_mul_i32 s10, s19, s17
	s_lshl_b64 s[28:29], s[28:29], 2
	s_mul_hi_i32 s19, s18, s17
	s_add_u32 s28, s16, s28
	s_addc_u32 s29, s37, s29
	s_or_b32 s44, s31, 0xd0
	s_mul_i32 s18, s18, s17
	s_ashr_i32 s20, s44, 4
	s_cmp_lt_i32 s44, s30
	s_load_b32 s44, s[26:27], 0x0
	s_cselect_b32 s24, s20, s3
	s_mul_i32 s20, s15, s17
	s_ashr_i32 s25, s24, 31
	s_mul_hi_i32 s27, s46, s17
	s_lshl_b64 s[24:25], s[24:25], 2
	s_mul_i32 s26, s46, s17
	s_add_u32 s24, s16, s24
	s_addc_u32 s25, s37, s25
	s_or_b32 s42, s31, 0xe0
	s_clause 0x2
	s_load_b32 s39, s[38:39], 0x0
	s_load_b32 s38, s[28:29], 0x0
	;; [unrolled: 1-line block ×3, first 2 shown]
	s_ashr_i32 s47, s42, 4
	s_cmp_lt_i32 s42, s30
	s_mul_hi_i32 s25, s45, s17
	s_mul_i32 s24, s45, s17
	s_mul_hi_i32 s43, s41, s17
	s_mul_i32 s42, s41, s17
	s_waitcnt lgkmcnt(0)
	s_mul_hi_i32 s41, s40, s17
	s_mul_i32 s40, s40, s17
	s_mul_hi_i32 s29, s44, s17
	s_mul_i32 s28, s44, s17
	s_cselect_b32 s44, s47, s3
	s_delay_alu instid0(SALU_CYCLE_1) | instskip(NEXT) | instid1(SALU_CYCLE_1)
	s_ashr_i32 s45, s44, 31
	s_lshl_b64 s[44:45], s[44:45], 2
	s_delay_alu instid0(SALU_CYCLE_1)
	s_add_u32 s44, s16, s44
	s_addc_u32 s45, s37, s45
	s_or_b32 s46, s31, 0xf0
	s_mul_hi_i32 s51, s15, s17
	s_ashr_i32 s48, s46, 4
	s_cmp_lt_i32 s46, s30
	s_mul_i32 s50, s15, s17
	s_cselect_b32 s48, s48, s3
	s_mul_hi_i32 s47, s39, s17
	s_ashr_i32 s49, s48, 31
	s_mul_i32 s46, s39, s17
	s_lshl_b64 s[48:49], s[48:49], 2
	s_mul_hi_i32 s39, s38, s17
	s_add_u32 s48, s16, s48
	s_addc_u32 s49, s37, s49
	s_add_u32 s3, s22, s12
	s_addc_u32 s15, s23, s13
	v_add_co_u32 v195, s3, s3, v6
	s_delay_alu instid0(VALU_DEP_1) | instskip(SKIP_2) | instid1(VALU_DEP_2)
	v_add_co_ci_u32_e64 v196, null, s15, 0, s3
	s_lshl_b64 s[4:5], s[4:5], 1
	s_lshl_b64 s[6:7], s[6:7], 1
	v_add_co_u32 v1, vcc_lo, v195, s4
	s_delay_alu instid0(VALU_DEP_2)
	v_add_co_ci_u32_e32 v2, vcc_lo, s5, v196, vcc_lo
	v_add_co_u32 v3, vcc_lo, v195, s6
	s_lshl_b64 s[8:9], s[8:9], 1
	v_add_co_ci_u32_e32 v4, vcc_lo, s7, v196, vcc_lo
	v_add_co_u32 v5, vcc_lo, v195, s8
	s_lshl_b64 s[10:11], s[10:11], 1
	;; [unrolled: 3-line block ×10, first 2 shown]
	s_mul_i32 s38, s38, s17
	v_add_co_ci_u32_e32 v184, vcc_lo, s29, v196, vcc_lo
	v_add_co_u32 v185, vcc_lo, v195, s40
	s_lshl_b64 s[38:39], s[38:39], 1
	s_clause 0x1
	s_load_b32 s3, s[44:45], 0x0
	s_load_b32 s15, s[48:49], 0x0
	v_add_co_ci_u32_e32 v186, vcc_lo, s41, v196, vcc_lo
	v_add_co_u32 v191, vcc_lo, v195, s38
	v_add_co_ci_u32_e32 v192, vcc_lo, s39, v196, vcc_lo
	s_clause 0x17
	global_load_b128 v[121:124], v[1:2], off
	global_load_b128 v[125:128], v[1:2], off offset:16
	global_load_b128 v[113:116], v[3:4], off
	global_load_b128 v[117:120], v[3:4], off offset:16
	;; [unrolled: 2-line block ×12, first 2 shown]
	s_lshl_b64 s[42:43], s[50:51], 1
	s_delay_alu instid0(SALU_CYCLE_1)
	v_add_co_u32 v193, vcc_lo, v195, s42
	v_add_co_ci_u32_e32 v194, vcc_lo, s43, v196, vcc_lo
	s_waitcnt lgkmcnt(0)
	s_mul_hi_i32 s5, s3, s17
	s_mul_i32 s4, s3, s17
	s_mul_hi_i32 s7, s15, s17
	s_lshl_b64 s[4:5], s[4:5], 1
	s_mul_i32 s6, s15, s17
	s_waitcnt vmcnt(38)
	v_wmma_f32_16x16x16_f16 v[183:190], v[9:16], v[159:166], v[137:144]
	s_waitcnt vmcnt(36)
	v_wmma_f32_16x16x16_f16 v[137:144], v[129:136], v[159:166], v[137:144]
	s_clause 0x1
	global_load_b128 v[9:12], v[191:192], off
	global_load_b128 v[13:16], v[191:192], off offset:16
	ds_load_b128 v[129:132], v197 offset:2048
	ds_load_b128 v[133:136], v197 offset:3072
	;; [unrolled: 1-line block ×4, first 2 shown]
	v_add_co_u32 v191, vcc_lo, v195, s4
	v_add_co_ci_u32_e32 v192, vcc_lo, s5, v196, vcc_lo
	s_lshl_b64 s[4:5], s[6:7], 1
	s_delay_alu instid0(SALU_CYCLE_1)
	v_add_co_u32 v195, vcc_lo, v195, s4
	v_add_co_ci_u32_e32 v196, vcc_lo, s5, v196, vcc_lo
	s_waitcnt vmcnt(36) lgkmcnt(2)
	v_wmma_f32_16x16x16_f16 v[183:190], v[41:48], v[129:136], v[183:190]
	s_waitcnt vmcnt(34)
	v_wmma_f32_16x16x16_f16 v[137:144], v[33:40], v[129:136], v[137:144]
	s_clause 0x3
	global_load_b128 v[33:36], v[193:194], off
	global_load_b128 v[37:40], v[193:194], off offset:16
	global_load_b128 v[41:44], v[191:192], off
	global_load_b128 v[45:48], v[191:192], off offset:16
	v_and_b32_e32 v129, 0xe0, v0
	v_mbcnt_lo_u32_b32 v191, -1, 0
	s_waitcnt vmcnt(36) lgkmcnt(0)
	v_wmma_f32_16x16x16_f16 v[183:190], v[17:24], v[159:166], v[183:190]
	s_clause 0x1
	global_load_b128 v[17:20], v[195:196], off
	global_load_b128 v[21:24], v[195:196], off offset:16
	s_waitcnt vmcnt(36)
	v_wmma_f32_16x16x16_f16 v[137:144], v[151:158], v[159:166], v[137:144]
	v_add_nc_u32_e32 v192, s31, v129
	ds_load_b128 v[129:132], v197 offset:6144
	ds_load_b128 v[133:136], v197 offset:7168
	v_xor_b32_e32 v151, 16, v191
	s_waitcnt vmcnt(0) lgkmcnt(0)
	s_barrier
	v_or_b32_e32 v152, v192, v146
	buffer_gl0_inv
	v_cmp_gt_i32_e32 vcc_lo, 32, v151
	v_or_b32_e32 v153, 2, v152
	v_or_b32_e32 v154, 4, v152
	;; [unrolled: 1-line block ×5, first 2 shown]
	v_cmp_gt_i32_e64 s3, s30, v153
	v_cmp_gt_i32_e64 s4, s30, v154
	;; [unrolled: 1-line block ×3, first 2 shown]
	v_or_b32_e32 v158, 12, v152
	v_or_b32_e32 v159, 14, v152
	v_cmp_gt_i32_e64 s6, s30, v156
	v_wmma_f32_16x16x16_f16 v[183:190], v[167:174], v[129:136], v[183:190]
	v_wmma_f32_16x16x16_f16 v[137:144], v[175:182], v[129:136], v[137:144]
	v_cndmask_b32_e32 v151, v191, v151, vcc_lo
	v_cmp_gt_i32_e32 vcc_lo, s30, v152
	v_cmp_gt_i32_e64 s7, s30, v157
	v_dual_mul_f32 v135, s36, v184 :: v_dual_mul_f32 v136, s36, v183
	v_mul_f32_e32 v134, s36, v185
	v_dual_mul_f32 v168, s36, v144 :: v_dual_mul_f32 v133, s36, v186
	s_delay_alu instid0(VALU_DEP_3) | instskip(NEXT) | instid1(VALU_DEP_4)
	v_cndmask_b32_e64 v135, 0xff7fffff, v135, s3
	v_cndmask_b32_e32 v136, 0xff7fffff, v136, vcc_lo
	v_dual_mul_f32 v131, s36, v188 :: v_dual_mul_f32 v174, s36, v138
	v_mul_f32_e32 v132, s36, v187
	v_cndmask_b32_e64 v134, 0xff7fffff, v134, s4
	v_cndmask_b32_e64 v133, 0xff7fffff, v133, s5
	v_max3_f32 v135, v136, 0xff7fffff, v135
	v_or_b32_e32 v160, 16, v152
	v_or_b32_e32 v161, 18, v152
	v_dual_mul_f32 v129, s36, v190 :: v_dual_mul_f32 v172, s36, v140
	v_mul_f32_e32 v130, s36, v189
	v_cndmask_b32_e64 v132, 0xff7fffff, v132, s6
	v_cndmask_b32_e64 v131, 0xff7fffff, v131, s7
	v_max3_f32 v133, v135, v134, v133
	v_cmp_gt_i32_e64 s8, s30, v158
	v_cmp_gt_i32_e64 s9, s30, v159
	v_or_b32_e32 v162, 20, v152
	v_or_b32_e32 v163, 22, v152
	v_mul_f32_e32 v175, s36, v137
	v_cndmask_b32_e64 v130, 0xff7fffff, v130, s8
	v_cndmask_b32_e64 v129, 0xff7fffff, v129, s9
	v_max3_f32 v131, v133, v132, v131
	v_cmp_gt_i32_e64 s10, s30, v160
	v_cmp_gt_i32_e64 s11, s30, v161
	v_or_b32_e32 v164, 24, v152
	v_or_b32_e32 v165, 26, v152
	;; [unrolled: 8-line block ×3, first 2 shown]
	v_dual_mul_f32 v170, s36, v142 :: v_dual_mul_f32 v171, s36, v141
	v_cndmask_b32_e64 v130, 0xff7fffff, v173, s12
	v_cndmask_b32_e64 v131, 0xff7fffff, v172, s13
	v_max3_f32 v129, v129, v132, v133
	v_cmp_gt_i32_e64 s15, s30, v164
	v_cmp_gt_i32_e64 s16, s30, v165
	v_mul_f32_e32 v169, s36, v143
	v_cmp_gt_i32_e64 s17, s30, v166
	v_max3_f32 v129, v129, v130, v131
	v_cndmask_b32_e64 v132, 0xff7fffff, v171, s15
	v_cndmask_b32_e64 v133, 0xff7fffff, v170, s16
	v_cmp_gt_i32_e64 s18, s30, v167
	v_cndmask_b32_e64 v130, 0xff7fffff, v169, s17
	s_delay_alu instid0(VALU_DEP_3) | instskip(NEXT) | instid1(VALU_DEP_3)
	v_max3_f32 v129, v129, v132, v133
	v_cndmask_b32_e64 v131, 0xff7fffff, v168, s18
	v_lshlrev_b32_e32 v132, 2, v151
	s_delay_alu instid0(VALU_DEP_2) | instskip(SKIP_3) | instid1(VALU_DEP_1)
	v_max3_f32 v129, v129, v130, v131
	ds_bpermute_b32 v130, v132, v129
	s_waitcnt lgkmcnt(0)
	v_max_f32_e32 v130, v130, v130
	v_max_f32_e32 v129, v129, v130
	s_delay_alu instid0(VALU_DEP_1)
	v_fma_f32 v134, s36, v186, -v129
	v_fma_f32 v130, s36, v183, -v129
	;; [unrolled: 1-line block ×5, first 2 shown]
	v_mul_f32_e32 v134, 0x3fb8aa3b, v134
	s_delay_alu instid0(VALU_DEP_4) | instskip(SKIP_1) | instid1(VALU_DEP_4)
	v_dual_mul_f32 v130, 0x3fb8aa3b, v130 :: v_dual_mul_f32 v131, 0x3fb8aa3b, v131
	v_fma_f32 v135, s36, v187, -v129
	v_mul_f32_e32 v136, 0x3fb8aa3b, v136
	s_delay_alu instid0(VALU_DEP_4) | instskip(NEXT) | instid1(VALU_DEP_3)
	v_exp_f32_e32 v134, v134
	v_exp_f32_e32 v130, v130
	;; [unrolled: 1-line block ×3, first 2 shown]
	v_mul_f32_e32 v135, 0x3fb8aa3b, v135
	v_exp_f32_e32 v136, v136
	s_delay_alu instid0(VALU_DEP_1) | instskip(SKIP_4) | instid1(TRANS32_DEP_3)
	v_exp_f32_e32 v135, v135
	v_cndmask_b32_e64 v153, 0, v134, s5
	v_fma_f32 v134, s36, v137, -v129
	v_dual_mul_f32 v133, 0x3fb8aa3b, v133 :: v_dual_cndmask_b32 v152, 0, v130
	v_fma_f32 v130, s36, v188, -v129
	v_cndmask_b32_e64 v151, 0, v131, s3
	s_delay_alu instid0(VALU_DEP_4) | instskip(NEXT) | instid1(VALU_DEP_4)
	v_mul_f32_e32 v134, 0x3fb8aa3b, v134
	v_exp_f32_e32 v133, v133
	s_delay_alu instid0(VALU_DEP_3) | instskip(SKIP_3) | instid1(VALU_DEP_4)
	v_dual_add_f32 v131, 0, v152 :: v_dual_mul_f32 v130, 0x3fb8aa3b, v130
	v_cndmask_b32_e64 v156, 0, v136, s8
	v_fma_f32 v136, s36, v140, -v129
	v_cndmask_b32_e64 v155, 0, v135, s6
	v_add_f32_e32 v131, v131, v151
	v_exp_f32_e32 v130, v130
	v_fma_f32 v135, s36, v138, -v129
	v_mul_f32_e32 v136, 0x3fb8aa3b, v136
	s_delay_alu instid0(TRANS32_DEP_2)
	v_cndmask_b32_e64 v154, 0, v133, s4
	v_fma_f32 v133, s36, v190, -v129
	v_exp_f32_e32 v134, v134
	v_cmp_gt_u32_e64 s3, 16, v150
	v_exp_f32_e32 v136, v136
	v_add_f32_e32 v131, v131, v154
	s_delay_alu instid0(TRANS32_DEP_3) | instskip(NEXT) | instid1(VALU_DEP_2)
	v_cndmask_b32_e64 v138, 0, v130, s7
	v_add_f32_e32 v131, v131, v153
	s_delay_alu instid0(VALU_DEP_1) | instskip(NEXT) | instid1(VALU_DEP_1)
	v_dual_mul_f32 v133, 0x3fb8aa3b, v133 :: v_dual_add_f32 v130, v131, v155
	v_exp_f32_e32 v133, v133
	v_fma_f32 v131, s36, v139, -v129
	s_delay_alu instid0(VALU_DEP_2) | instskip(NEXT) | instid1(VALU_DEP_1)
	v_add_f32_e32 v130, v130, v138
	v_add_f32_e32 v130, v130, v156
	s_waitcnt_depctr 0xfff
	v_cndmask_b32_e64 v139, 0, v133, s9
	v_fma_f32 v133, s36, v141, -v129
	v_cndmask_b32_e64 v141, 0, v134, s10
	v_fma_f32 v134, s36, v142, -v129
	v_cndmask_b32_e64 v142, 0, v136, s13
	v_add_f32_e32 v130, v130, v139
	s_delay_alu instid0(VALU_DEP_3) | instskip(NEXT) | instid1(VALU_DEP_2)
	v_dual_mul_f32 v135, 0x3fb8aa3b, v135 :: v_dual_mul_f32 v134, 0x3fb8aa3b, v134
	v_add_f32_e32 v130, v130, v141
	s_delay_alu instid0(VALU_DEP_2) | instskip(NEXT) | instid1(VALU_DEP_2)
	v_exp_f32_e32 v135, v135
	v_exp_f32_e32 v134, v134
	s_waitcnt_depctr 0xfff
	v_cndmask_b32_e64 v140, 0, v135, s11
	v_mul_f32_e32 v131, 0x3fb8aa3b, v131
	v_fma_f32 v135, s36, v143, -v129
	s_delay_alu instid0(VALU_DEP_3) | instskip(NEXT) | instid1(VALU_DEP_3)
	v_add_f32_e32 v130, v130, v140
	v_exp_f32_e32 v131, v131
	s_waitcnt_depctr 0xfff
	v_cndmask_b32_e64 v143, 0, v131, s12
	s_delay_alu instid0(VALU_DEP_1) | instskip(NEXT) | instid1(VALU_DEP_1)
	v_dual_mul_f32 v133, 0x3fb8aa3b, v133 :: v_dual_add_f32 v130, v130, v143
	v_exp_f32_e32 v133, v133
	v_mul_f32_e32 v131, 0x3fb8aa3b, v135
	v_fma_f32 v135, s36, v144, -v129
	v_cndmask_b32_e64 v144, 0, v134, s16
	v_add_f32_e32 v130, v130, v142
	s_delay_alu instid0(VALU_DEP_4) | instskip(SKIP_2) | instid1(VALU_DEP_1)
	v_exp_f32_e32 v131, v131
	s_waitcnt_depctr 0xfff
	v_cndmask_b32_e64 v157, 0, v133, s15
	v_dual_mul_f32 v133, 0x3fb8aa3b, v135 :: v_dual_add_f32 v130, v130, v157
	s_delay_alu instid0(VALU_DEP_1) | instskip(SKIP_1) | instid1(VALU_DEP_2)
	v_exp_f32_e32 v133, v133
	v_cndmask_b32_e64 v159, 0, v131, s17
	v_add_f32_e32 v130, v130, v144
	s_delay_alu instid0(VALU_DEP_1) | instskip(SKIP_2) | instid1(VALU_DEP_1)
	v_add_f32_e32 v130, v130, v159
	s_waitcnt_depctr 0xfff
	v_cndmask_b32_e64 v158, 0, v133, s18
	v_add_f32_e32 v130, v130, v158
	ds_bpermute_b32 v131, v132, v130
	s_and_saveexec_b32 s4, s3
	s_cbranch_execz .LBB44_12
; %bb.11:
	v_mul_u32_u24_e32 v132, 0x44, v149
	s_delay_alu instid0(VALU_DEP_1) | instskip(SKIP_1) | instid1(VALU_DEP_1)
	v_lshl_add_u32 v132, v148, 2, v132
	s_waitcnt lgkmcnt(0)
	v_dual_add_f32 v130, v130, v131 :: v_dual_add_nc_u32 v131, 0x4000, v132
	ds_store_2addr_b32 v131, v129, v130 offset1:136
.LBB44_12:
	s_or_b32 exec_lo, exec_lo, s4
	v_lshlrev_b32_e32 v129, 2, v148
	s_load_b32 s36, s[0:1], 0x94
	s_waitcnt lgkmcnt(0)
	s_barrier
	buffer_gl0_inv
	v_add_nc_u32_e32 v135, 0x4000, v129
	v_cmp_eq_u32_e32 vcc_lo, 1, v149
	v_cmp_eq_u32_e64 s4, 2, v149
	v_cmp_eq_u32_e64 s5, 3, v149
	;; [unrolled: 1-line block ×3, first 2 shown]
	ds_load_2addr_b32 v[129:130], v135 offset1:17
	ds_load_2addr_b32 v[131:132], v135 offset0:34 offset1:51
	ds_load_2addr_b32 v[133:134], v135 offset0:68 offset1:85
	ds_load_2addr_b32 v[160:161], v135 offset0:102 offset1:119
	v_cmp_eq_u32_e64 s7, 5, v149
	v_cmp_eq_u32_e64 s8, 7, v149
	s_waitcnt lgkmcnt(3)
	v_max3_f32 v136, v129, 0xff7fffff, v130
	s_waitcnt lgkmcnt(2)
	s_delay_alu instid0(VALU_DEP_1) | instskip(SKIP_1) | instid1(VALU_DEP_1)
	v_max3_f32 v136, v136, v131, v132
	s_waitcnt lgkmcnt(1)
	v_max3_f32 v136, v136, v133, v134
	s_waitcnt lgkmcnt(0)
	s_delay_alu instid0(VALU_DEP_1) | instskip(NEXT) | instid1(VALU_DEP_1)
	v_max3_f32 v136, v136, v160, v161
	v_sub_f32_e32 v164, v132, v136
	ds_load_2addr_b32 v[162:163], v135 offset0:136 offset1:153
	v_sub_f32_e32 v129, v129, v136
	v_sub_f32_e32 v137, v130, v136
	;; [unrolled: 1-line block ×3, first 2 shown]
	v_mul_f32_e32 v164, 0x3fb8aa3b, v164
	s_delay_alu instid0(VALU_DEP_4) | instskip(NEXT) | instid1(VALU_DEP_4)
	v_mul_f32_e32 v150, 0x3fb8aa3b, v129
	v_mul_f32_e32 v137, 0x3fb8aa3b, v137
	ds_load_2addr_b32 v[129:130], v135 offset0:170 offset1:187
	v_mul_f32_e32 v167, 0x3fb8aa3b, v133
	v_exp_f32_e32 v164, v164
	v_exp_f32_e32 v150, v150
	;; [unrolled: 1-line block ×3, first 2 shown]
	v_sub_f32_e32 v131, v131, v136
	s_delay_alu instid0(VALU_DEP_1)
	v_mul_f32_e32 v165, 0x3fb8aa3b, v131
	ds_load_2addr_b32 v[131:132], v135 offset0:204 offset1:221
	s_waitcnt lgkmcnt(2)
	v_fma_f32 v137, v150, v162, 0
	v_sub_f32_e32 v162, v134, v136
	v_exp_f32_e32 v165, v165
	ds_load_2addr_b32 v[133:134], v135 offset0:238 offset1:255
	v_sub_f32_e32 v135, v160, v136
	v_dual_fmac_f32 v137, v166, v163 :: v_dual_mul_f32 v160, 0x3fb8aa3b, v162
	v_exp_f32_e32 v162, v167
	s_waitcnt lgkmcnt(0)
	s_delay_alu instid0(VALU_DEP_2)
	v_mul_f32_e32 v135, 0x3fb8aa3b, v135
	s_barrier
	v_exp_f32_e32 v160, v160
	v_fmac_f32_e32 v137, v165, v129
	v_sub_f32_e32 v129, v161, v136
	v_exp_f32_e32 v161, v135
	buffer_gl0_inv
	v_fmac_f32_e32 v137, v164, v130
	v_dual_mul_f32 v129, 0x3fb8aa3b, v129 :: v_dual_cndmask_b32 v130, v150, v166
	s_delay_alu instid0(VALU_DEP_2) | instskip(NEXT) | instid1(VALU_DEP_2)
	v_fmac_f32_e32 v137, v162, v131
	v_exp_f32_e32 v163, v129
	s_delay_alu instid0(VALU_DEP_1) | instskip(NEXT) | instid1(VALU_DEP_1)
	v_fmac_f32_e32 v137, v160, v132
	v_fmac_f32_e32 v137, v161, v133
	v_lshlrev_b32_e32 v133, 6, v148
	s_waitcnt_depctr 0xfff
	v_fmac_f32_e32 v137, v163, v134
	v_lshl_or_b32 v135, v149, 11, v133
	s_delay_alu instid0(VALU_DEP_2) | instskip(NEXT) | instid1(VALU_DEP_1)
	v_add_f32_e32 v134, 0x358637bd, v137
	v_div_scale_f32 v167, null, v134, v134, 1.0
	v_div_scale_f32 v150, vcc_lo, 1.0, v134, 1.0
	s_delay_alu instid0(VALU_DEP_2) | instskip(SKIP_2) | instid1(VALU_DEP_1)
	v_rcp_f32_e32 v168, v167
	s_waitcnt_depctr 0xfff
	v_fma_f32 v129, -v167, v168, 1.0
	v_fmac_f32_e32 v168, v129, v168
	v_cndmask_b32_e64 v129, v130, v165, s4
	v_cmp_eq_u32_e64 s4, 6, v149
	s_delay_alu instid0(VALU_DEP_3) | instskip(NEXT) | instid1(VALU_DEP_3)
	v_mul_f32_e32 v165, v150, v168
	v_cndmask_b32_e64 v130, v129, v164, s5
	v_lshlrev_b32_e32 v129, 2, v146
	s_delay_alu instid0(VALU_DEP_3) | instskip(NEXT) | instid1(VALU_DEP_3)
	v_fma_f32 v131, -v167, v165, v150
	v_cndmask_b32_e64 v162, v130, v162, s6
	s_delay_alu instid0(VALU_DEP_3)
	v_or_b32_e32 v130, 1, v129
	v_or_b32_e32 v132, 2, v129
	v_cmp_eq_u32_e64 s5, 1, v129
	v_fmac_f32_e32 v165, v131, v168
	v_cndmask_b32_e64 v149, v162, v160, s7
	v_or_b32_e32 v131, 3, v129
	v_cmp_eq_u32_e64 s10, 1, v130
	v_cmp_eq_u32_e64 s11, 1, v132
	v_fma_f32 v150, -v167, v165, v150
	v_cndmask_b32_e64 v149, v149, v161, s4
	v_cmp_eq_u32_e64 s12, 1, v131
	v_cmp_eq_u32_e64 s6, 2, v129
	;; [unrolled: 1-line block ×3, first 2 shown]
	v_div_fmas_f32 v150, v150, v168, v165
	v_cndmask_b32_e64 v149, v149, v163, s8
	v_cmp_eq_u32_e64 s16, 2, v132
	v_cmp_eq_u32_e64 s17, 2, v131
	v_cmp_eq_u32_e32 vcc_lo, 3, v129
	v_div_fixup_f32 v150, v150, v134, 1.0
	v_lshl_or_b32 v134, v146, 4, v135
	v_cmp_eq_u32_e64 s15, 3, v130
	v_cmp_eq_u32_e64 s19, 3, v131
	;; [unrolled: 1-line block ×3, first 2 shown]
	v_mul_f32_e32 v149, v149, v150
	v_cmp_eq_u32_e64 s18, 3, v132
	v_cmp_eq_u32_e64 s20, 4, v130
	;; [unrolled: 1-line block ×4, first 2 shown]
	v_fma_mixlo_f16 v160, v149, v152, 0
	v_fma_mixlo_f16 v161, v149, v154, 0
	;; [unrolled: 1-line block ×8, first 2 shown]
	v_fma_mixhi_f16 v160, v149, v151, 0
	v_fma_mixhi_f16 v161, v149, v153, 0
	;; [unrolled: 1-line block ×8, first 2 shown]
	ds_store_b128 v134, v[160:163]
	ds_store_b128 v134, v[154:157] offset:1024
	s_waitcnt lgkmcnt(0)
	s_barrier
	buffer_gl0_inv
	ds_load_b128 v[138:141], v135
	ds_load_b128 v[149:152], v135 offset:16
	ds_load_b128 v[153:156], v135 offset:1024
	;; [unrolled: 1-line block ×3, first 2 shown]
	v_cmp_eq_u32_e64 s21, 5, v130
	v_cmp_eq_u32_e64 s22, 4, v132
	;; [unrolled: 1-line block ×12, first 2 shown]
	s_waitcnt lgkmcnt(3)
	v_lshrrev_b32_e32 v142, 16, v138
	s_waitcnt lgkmcnt(2)
	v_lshrrev_b32_e32 v162, 16, v149
	;; [unrolled: 2-line block ×4, first 2 shown]
	v_lshrrev_b32_e32 v143, 16, v139
	v_cndmask_b32_e64 v174, v138, v142, s5
	v_cndmask_b32_e64 v175, v149, v162, s5
	;; [unrolled: 1-line block ×7, first 2 shown]
	v_lshrrev_b32_e32 v163, 16, v150
	v_cndmask_b32_e64 v179, v149, v162, s11
	v_cndmask_b32_e64 v149, v153, v166, s5
	;; [unrolled: 1-line block ×16, first 2 shown]
	v_lshrrev_b32_e32 v167, 16, v154
	v_lshrrev_b32_e32 v171, 16, v158
	v_cndmask_b32_e64 v177, v179, v150, s16
	v_cndmask_b32_e64 v142, v149, v154, s6
	v_cndmask_b32_e64 v149, v162, v158, s6
	v_cndmask_b32_e64 v150, v180, v154, s13
	v_cndmask_b32_e64 v162, v182, v154, s16
	v_cndmask_b32_e64 v153, v153, v154, s17
	v_cndmask_b32_e64 v154, v157, v158, s17
	v_cndmask_b32_e32 v157, v166, v143, vcc_lo
	v_cndmask_b32_e32 v166, v170, v163, vcc_lo
	v_cndmask_b32_e64 v170, v174, v143, s15
	v_cndmask_b32_e64 v174, v175, v163, s15
	;; [unrolled: 1-line block ×4, first 2 shown]
	v_lshrrev_b32_e32 v144, 16, v140
	v_lshrrev_b32_e32 v164, 16, v151
	v_cndmask_b32_e64 v175, v176, v143, s18
	v_cndmask_b32_e64 v176, v177, v163, s18
	v_cndmask_b32_e32 v142, v142, v167, vcc_lo
	v_cndmask_b32_e32 v143, v149, v171, vcc_lo
	v_cndmask_b32_e64 v149, v150, v167, s15
	v_cndmask_b32_e64 v150, v157, v140, s4
	;; [unrolled: 1-line block ×7, first 2 shown]
	v_lshrrev_b32_e32 v168, 16, v155
	v_cndmask_b32_e64 v170, v175, v140, s22
	v_cndmask_b32_e64 v174, v176, v151, s22
	;; [unrolled: 1-line block ×11, first 2 shown]
	v_lshrrev_b32_e32 v161, 16, v141
	v_lshrrev_b32_e32 v165, 16, v152
	v_cndmask_b32_e64 v163, v170, v144, s24
	v_cndmask_b32_e64 v166, v174, v164, s24
	;; [unrolled: 1-line block ×9, first 2 shown]
	v_lshrrev_b32_e32 v169, 16, v156
	v_cndmask_b32_e64 v140, v140, v168, s7
	v_cndmask_b32_e64 v157, v163, v141, s27
	;; [unrolled: 1-line block ×14, first 2 shown]
	v_perm_b32 v141, v139, v138, 0x5040100
	v_perm_b32 v139, v151, v149, 0x5040100
	v_cndmask_b32_e64 v138, v183, v158, s16
	v_cndmask_b32_e64 v149, v181, v158, s13
	;; [unrolled: 1-line block ×3, first 2 shown]
	v_perm_b32 v140, v152, v150, 0x5040100
	v_cndmask_b32_e64 v150, v162, v167, s18
	v_cndmask_b32_e64 v151, v153, v167, s19
	;; [unrolled: 1-line block ×5, first 2 shown]
	v_lshrrev_b32_e32 v172, 16, v159
	v_cndmask_b32_e64 v150, v150, v155, s22
	v_cndmask_b32_e64 v151, v151, v155, s23
	;; [unrolled: 1-line block ×11, first 2 shown]
	v_lshrrev_b32_e32 v173, 16, v160
	v_cndmask_b32_e64 v142, v142, v160, s8
	v_cndmask_b32_e64 v150, v150, v156, s27
	;; [unrolled: 1-line block ×12, first 2 shown]
	v_perm_b32 v138, v144, v143, 0x5040100
	v_perm_b32 v152, v152, v151, 0x5040100
	;; [unrolled: 1-line block ×5, first 2 shown]
	s_mul_i32 s8, s35, 7
	s_mov_b32 s4, exec_lo
	ds_store_b128 v134, v[138:141]
	ds_store_b128 v134, v[149:152] offset:1024
	v_cmpx_gt_u32_e32 7, v0
	s_cbranch_execz .LBB44_14
; %bb.13:
	s_mul_i32 s5, s8, s34
	s_load_b128 s[16:19], s[0:1], 0x58
	v_add3_u32 v140, s5, s33, v148
	s_delay_alu instid0(VALU_DEP_1) | instskip(NEXT) | instid1(VALU_DEP_1)
	v_mad_u64_u32 v[138:139], null, v140, s36, s[14:15]
	v_ashrrev_i32_e32 v139, 31, v138
	s_delay_alu instid0(VALU_DEP_1) | instskip(SKIP_1) | instid1(VALU_DEP_1)
	v_lshlrev_b64 v[138:139], 2, v[138:139]
	s_waitcnt lgkmcnt(0)
	v_add_co_u32 v140, vcc_lo, s18, v138
	s_delay_alu instid0(VALU_DEP_2)
	v_add_co_ci_u32_e32 v141, vcc_lo, s19, v139, vcc_lo
	v_add_co_u32 v138, vcc_lo, s16, v138
	v_add_co_ci_u32_e32 v139, vcc_lo, s17, v139, vcc_lo
	global_store_b32 v[140:141], v136, off
	global_store_b32 v[138:139], v137, off
.LBB44_14:
	s_or_b32 exec_lo, exec_lo, s4
	s_waitcnt lgkmcnt(0)
	s_waitcnt_vscnt null, 0x0
	s_barrier
	buffer_gl0_inv
	ds_load_b128 v[148:151], v133
	ds_load_b128 v[152:155], v133 offset:16
	ds_load_b128 v[160:163], v133 offset:1040
	;; [unrolled: 1-line block ×5, first 2 shown]
	v_cmp_eq_u32_e32 vcc_lo, 1, v132
	v_mov_b32_e32 v136, 0
	ds_load_b128 v[176:179], v133 offset:3088
	ds_load_b128 v[172:175], v133 offset:3072
	;; [unrolled: 1-line block ×4, first 2 shown]
	v_cmp_eq_u32_e64 s4, 1, v129
	v_cmp_eq_u32_e64 s5, 1, v131
	;; [unrolled: 1-line block ×3, first 2 shown]
	v_mov_b32_e32 v137, v136
	v_mov_b32_e32 v138, v136
	;; [unrolled: 1-line block ×7, first 2 shown]
	v_cmp_eq_u32_e64 s7, 2, v129
	s_waitcnt lgkmcnt(8)
	s_delay_alu instid0(VALU_DEP_2)
	v_wmma_f32_16x16x16_f16 v[136:143], v[121:128], v[148:155], v[136:143]
	ds_load_b128 v[125:128], v133 offset:5136
	ds_load_b128 v[121:124], v133 offset:5120
	s_waitcnt lgkmcnt(8)
	v_wmma_f32_16x16x16_f16 v[136:143], v[113:120], v[156:163], v[136:143]
	ds_load_b128 v[117:120], v133 offset:6160
	ds_load_b128 v[113:116], v133 offset:6144
	s_waitcnt lgkmcnt(8)
	v_wmma_f32_16x16x16_f16 v[136:143], v[105:112], v[164:171], v[136:143]
	ds_load_b128 v[109:112], v133 offset:7184
	ds_load_b128 v[105:108], v133 offset:7168
	s_waitcnt lgkmcnt(8)
	v_wmma_f32_16x16x16_f16 v[136:143], v[97:104], v[172:179], v[136:143]
	ds_load_b128 v[101:104], v133 offset:8208
	ds_load_b128 v[97:100], v133 offset:8192
	s_waitcnt lgkmcnt(8)
	v_wmma_f32_16x16x16_f16 v[136:143], v[89:96], v[180:187], v[136:143]
	ds_load_b128 v[93:96], v133 offset:9232
	ds_load_b128 v[89:92], v133 offset:9216
	s_waitcnt lgkmcnt(8)
	v_wmma_f32_16x16x16_f16 v[136:143], v[81:88], v[121:128], v[136:143]
	ds_load_b128 v[85:88], v133 offset:10256
	ds_load_b128 v[81:84], v133 offset:10240
	s_waitcnt lgkmcnt(8)
	v_wmma_f32_16x16x16_f16 v[136:143], v[73:80], v[113:120], v[136:143]
	ds_load_b128 v[77:80], v133 offset:11280
	ds_load_b128 v[73:76], v133 offset:11264
	s_waitcnt lgkmcnt(8)
	v_wmma_f32_16x16x16_f16 v[136:143], v[65:72], v[105:112], v[136:143]
	ds_load_b128 v[69:72], v133 offset:12304
	ds_load_b128 v[65:68], v133 offset:12288
	s_waitcnt lgkmcnt(8)
	v_wmma_f32_16x16x16_f16 v[136:143], v[57:64], v[97:104], v[136:143]
	ds_load_b128 v[61:64], v133 offset:13328
	ds_load_b128 v[57:60], v133 offset:13312
	s_waitcnt lgkmcnt(8)
	v_wmma_f32_16x16x16_f16 v[136:143], v[49:56], v[89:96], v[136:143]
	ds_load_b128 v[53:56], v133 offset:14352
	ds_load_b128 v[49:52], v133 offset:14336
	s_waitcnt lgkmcnt(8)
	v_wmma_f32_16x16x16_f16 v[136:143], v[25:32], v[81:88], v[136:143]
	ds_load_b128 v[29:32], v133 offset:15376
	ds_load_b128 v[25:28], v133 offset:15360
	s_waitcnt lgkmcnt(0)
	s_barrier
	buffer_gl0_inv
	v_wmma_f32_16x16x16_f16 v[136:143], v[1:8], v[73:80], v[136:143]
	s_delay_alu instid0(VALU_DEP_1) | instskip(NEXT) | instid1(VALU_DEP_1)
	v_wmma_f32_16x16x16_f16 v[136:143], v[9:16], v[65:72], v[136:143]
	v_wmma_f32_16x16x16_f16 v[136:143], v[33:40], v[57:64], v[136:143]
	s_delay_alu instid0(VALU_DEP_1) | instskip(NEXT) | instid1(VALU_DEP_1)
	v_wmma_f32_16x16x16_f16 v[136:143], v[41:48], v[49:56], v[136:143]
	v_wmma_f32_16x16x16_f16 v[136:143], v[17:24], v[25:32], v[136:143]
	s_delay_alu instid0(VALU_DEP_1) | instskip(NEXT) | instid1(VALU_DEP_2)
	v_cvt_f16_f32_e64 v1, v136
	v_cvt_f16_f32_e64 v2, v137
	s_delay_alu instid0(VALU_DEP_3) | instskip(NEXT) | instid1(VALU_DEP_4)
	v_cvt_f16_f32_e64 v3, v138
	v_cvt_f16_f32_e64 v4, v139
	v_cvt_f16_f32_e64 v5, v140
	v_cvt_f16_f32_e64 v6, v141
	v_cvt_f16_f32_e64 v7, v142
	v_cvt_f16_f32_e64 v8, v143
	v_pack_b32_f16 v1, v1, v2
	v_pack_b32_f16 v2, v3, v4
	;; [unrolled: 1-line block ×3, first 2 shown]
	s_delay_alu instid0(VALU_DEP_4)
	v_pack_b32_f16 v4, v7, v8
	ds_store_b128 v134, v[1:4]
	s_waitcnt lgkmcnt(0)
	s_barrier
	buffer_gl0_inv
	ds_load_b128 v[1:4], v135
	ds_load_b128 v[5:8], v135 offset:16
	s_waitcnt lgkmcnt(1)
	v_lshrrev_b32_e32 v9, 16, v1
	s_waitcnt lgkmcnt(0)
	v_lshrrev_b32_e32 v13, 16, v5
	v_lshrrev_b32_e32 v10, 16, v2
	;; [unrolled: 1-line block ×4, first 2 shown]
	v_cndmask_b32_e64 v17, v1, v9, s4
	v_cndmask_b32_e64 v18, v5, v13, s4
	;; [unrolled: 1-line block ×3, first 2 shown]
	v_cmp_eq_u32_e64 s4, 2, v130
	v_cndmask_b32_e64 v20, v5, v13, s6
	v_cndmask_b32_e32 v21, v1, v9, vcc_lo
	v_cndmask_b32_e32 v22, v5, v13, vcc_lo
	v_cndmask_b32_e64 v1, v1, v9, s5
	v_cndmask_b32_e64 v5, v5, v13, s5
	v_cmp_eq_u32_e32 vcc_lo, 2, v132
	v_cmp_eq_u32_e64 s5, 2, v131
	v_cndmask_b32_e64 v9, v17, v2, s7
	v_cndmask_b32_e64 v13, v18, v6, s7
	;; [unrolled: 1-line block ×4, first 2 shown]
	v_cndmask_b32_e32 v19, v21, v2, vcc_lo
	v_cmp_eq_u32_e64 s4, 3, v132
	v_cndmask_b32_e32 v20, v22, v6, vcc_lo
	v_cndmask_b32_e64 v1, v1, v2, s5
	v_cmp_eq_u32_e32 vcc_lo, 3, v131
	v_cmp_eq_u32_e64 s6, 3, v129
	v_cndmask_b32_e64 v2, v5, v6, s5
	v_cmp_eq_u32_e64 s5, 3, v130
	v_cmp_eq_u32_e64 s7, 4, v129
	v_cndmask_b32_e32 v1, v1, v10, vcc_lo
	v_cndmask_b32_e64 v5, v9, v10, s6
	v_cndmask_b32_e64 v6, v13, v14, s6
	;; [unrolled: 1-line block ×3, first 2 shown]
	v_cmp_eq_u32_e64 s6, 4, v130
	v_cndmask_b32_e64 v13, v18, v14, s5
	v_cndmask_b32_e64 v17, v19, v10, s4
	;; [unrolled: 1-line block ×3, first 2 shown]
	v_cndmask_b32_e32 v2, v2, v14, vcc_lo
	v_cmp_eq_u32_e32 vcc_lo, 4, v132
	v_cmp_eq_u32_e64 s5, 4, v131
	v_lshrrev_b32_e32 v15, 16, v7
	v_cndmask_b32_e64 v5, v5, v3, s7
	v_cndmask_b32_e64 v6, v6, v7, s7
	v_cndmask_b32_e32 v14, v18, v7, vcc_lo
	v_cndmask_b32_e64 v9, v9, v3, s6
	v_cndmask_b32_e64 v10, v13, v7, s6
	v_cndmask_b32_e32 v13, v17, v3, vcc_lo
	v_cmp_eq_u32_e64 s4, 5, v132
	v_cndmask_b32_e64 v1, v1, v3, s5
	v_cmp_eq_u32_e32 vcc_lo, 5, v131
	v_cmp_eq_u32_e64 s6, 5, v129
	v_cndmask_b32_e64 v2, v2, v7, s5
	v_cmp_eq_u32_e64 s5, 5, v130
	v_cmp_eq_u32_e64 s7, 6, v129
	v_lshrrev_b32_e32 v12, 16, v4
	v_cndmask_b32_e64 v3, v5, v11, s6
	v_cndmask_b32_e64 v5, v6, v15, s6
	;; [unrolled: 1-line block ×3, first 2 shown]
	v_cmp_eq_u32_e64 s6, 6, v130
	v_cndmask_b32_e64 v7, v10, v15, s5
	v_cndmask_b32_e64 v9, v13, v11, s4
	;; [unrolled: 1-line block ×3, first 2 shown]
	v_cndmask_b32_e32 v1, v1, v11, vcc_lo
	v_cndmask_b32_e32 v2, v2, v15, vcc_lo
	v_cmp_eq_u32_e32 vcc_lo, 6, v132
	v_cmp_eq_u32_e64 s4, 6, v131
	v_lshrrev_b32_e32 v16, 16, v8
	v_cndmask_b32_e64 v3, v3, v4, s7
	v_cndmask_b32_e64 v5, v5, v8, s7
	v_cndmask_b32_e32 v9, v9, v4, vcc_lo
	v_cndmask_b32_e64 v6, v6, v4, s6
	v_cndmask_b32_e64 v7, v7, v8, s6
	v_cmp_eq_u32_e64 s5, 7, v132
	v_cndmask_b32_e32 v10, v10, v8, vcc_lo
	v_cndmask_b32_e64 v1, v1, v4, s4
	v_cmp_eq_u32_e32 vcc_lo, 7, v131
	v_cndmask_b32_e64 v2, v2, v8, s4
	v_cmp_eq_u32_e64 s4, 7, v129
	v_cmp_eq_u32_e64 s6, 7, v130
	v_cndmask_b32_e32 v1, v1, v12, vcc_lo
	s_delay_alu instid0(VALU_DEP_4) | instskip(NEXT) | instid1(VALU_DEP_4)
	v_cndmask_b32_e32 v2, v2, v16, vcc_lo
	v_cndmask_b32_e64 v8, v3, v12, s4
	s_delay_alu instid0(VALU_DEP_4)
	v_cndmask_b32_e64 v6, v6, v12, s6
	v_cndmask_b32_e64 v3, v9, v12, s5
	;; [unrolled: 1-line block ×5, first 2 shown]
	v_cmp_gt_u32_e32 vcc_lo, 32, v0
	v_perm_b32 v4, v2, v1, 0x5040100
	v_perm_b32 v3, v9, v3, 0x5040100
	;; [unrolled: 1-line block ×4, first 2 shown]
	s_and_b32 s2, vcc_lo, s2
	ds_store_b128 v134, v[1:4]
	s_waitcnt lgkmcnt(0)
	s_barrier
	buffer_gl0_inv
	s_and_saveexec_b32 s4, s2
	s_cbranch_execz .LBB44_2
; %bb.15:
	s_load_b64 s[4:5], s[0:1], 0x68
	v_lshlrev_b32_e32 v0, 10, v0
	v_add_nc_u32_e32 v2, s33, v146
	v_lshlrev_b32_e32 v3, 4, v147
	s_lshl_b32 s0, s36, 6
	s_delay_alu instid0(SALU_CYCLE_1) | instskip(NEXT) | instid1(VALU_DEP_2)
	s_mul_i32 s1, s0, s34
	v_mul_lo_u32 v1, v2, s0
	s_delay_alu instid0(VALU_DEP_2)
	v_and_or_b32 v0, 0x3800, v0, v3
	v_add_nc_u32_e32 v3, 2, v2
	s_mul_i32 s6, s1, s8
	v_add_nc_u32_e32 v4, 4, v2
	s_ashr_i32 s7, s6, 31
	v_lshl_or_b32 v11, v146, 6, v0
	s_lshl_b64 s[6:7], s[6:7], 1
	v_mul_lo_u32 v15, v3, s0
	v_mul_lo_u32 v17, v4, s0
	v_ashrrev_i32_e32 v2, 31, v1
	ds_load_b128 v[3:6], v11
	ds_load_b128 v[7:10], v11 offset:128
	ds_load_b128 v[11:14], v11 offset:256
	s_waitcnt lgkmcnt(0)
	s_add_u32 s1, s4, s6
	s_addc_u32 s2, s5, s7
	s_lshl_b32 s4, s14, 6
	v_ashrrev_i32_e32 v16, 31, v15
	s_ashr_i32 s5, s4, 31
	v_lshlrev_b64 v[19:20], 1, v[1:2]
	s_lshl_b64 s[4:5], s[4:5], 1
	v_ashrrev_i32_e32 v18, 31, v17
	s_add_u32 s1, s1, s4
	s_addc_u32 s2, s2, s5
	v_add_co_u32 v1, s1, s1, v145
	s_delay_alu instid0(VALU_DEP_1) | instskip(SKIP_1) | instid1(VALU_DEP_3)
	v_add_co_ci_u32_e64 v2, null, s2, 0, s1
	v_lshlrev_b64 v[15:16], 1, v[15:16]
	v_add_co_u32 v19, vcc_lo, v1, v19
	v_lshlrev_b64 v[17:18], 1, v[17:18]
	s_delay_alu instid0(VALU_DEP_4) | instskip(NEXT) | instid1(VALU_DEP_4)
	v_add_co_ci_u32_e32 v20, vcc_lo, v2, v20, vcc_lo
	v_add_co_u32 v15, vcc_lo, v1, v15
	v_add_co_ci_u32_e32 v16, vcc_lo, v2, v16, vcc_lo
	s_delay_alu instid0(VALU_DEP_4)
	v_add_co_u32 v17, vcc_lo, v1, v17
	v_add_co_ci_u32_e32 v18, vcc_lo, v2, v18, vcc_lo
	s_clause 0x2
	global_store_b128 v[19:20], v[3:6], off
	global_store_b128 v[15:16], v[7:10], off
	;; [unrolled: 1-line block ×3, first 2 shown]
	s_and_b32 exec_lo, exec_lo, s3
	s_cbranch_execz .LBB44_2
; %bb.16:
	ds_load_b128 v[3:6], v0 offset:384
	s_add_i32 s1, s33, 6
	s_delay_alu instid0(SALU_CYCLE_1) | instskip(NEXT) | instid1(SALU_CYCLE_1)
	s_mul_i32 s0, s1, s0
	s_ashr_i32 s1, s0, 31
	s_delay_alu instid0(SALU_CYCLE_1) | instskip(NEXT) | instid1(SALU_CYCLE_1)
	s_lshl_b64 s[0:1], s[0:1], 1
	v_add_co_u32 v0, vcc_lo, v1, s0
	v_add_co_ci_u32_e32 v1, vcc_lo, s1, v2, vcc_lo
	s_waitcnt lgkmcnt(0)
	global_store_b128 v[0:1], v[3:6], off
	s_nop 0
	s_sendmsg sendmsg(MSG_DEALLOC_VGPRS)
	s_endpgm
	.section	.rodata,"a",@progbits
	.p2align	6, 0x0
	.amdhsa_kernel _Z39paged_attention_ll4mi_QKV_mfma16_kernelIDF16_DF16_LN4vllm18Fp8KVCacheDataTypeE0EhLi16ELi64ELi256ELb0ELi7EL8MFMAType0EEvPKT_PKT0_S8_ifPKiSA_SA_iPKfiiiPfSD_PS3_PT2_iSC_SC_
		.amdhsa_group_segment_fixed_size 17472
		.amdhsa_private_segment_fixed_size 0
		.amdhsa_kernarg_size 400
		.amdhsa_user_sgpr_count 13
		.amdhsa_user_sgpr_dispatch_ptr 0
		.amdhsa_user_sgpr_queue_ptr 0
		.amdhsa_user_sgpr_kernarg_segment_ptr 1
		.amdhsa_user_sgpr_dispatch_id 0
		.amdhsa_user_sgpr_private_segment_size 0
		.amdhsa_wavefront_size32 1
		.amdhsa_uses_dynamic_stack 0
		.amdhsa_enable_private_segment 0
		.amdhsa_system_sgpr_workgroup_id_x 1
		.amdhsa_system_sgpr_workgroup_id_y 1
		.amdhsa_system_sgpr_workgroup_id_z 1
		.amdhsa_system_sgpr_workgroup_info 0
		.amdhsa_system_vgpr_workitem_id 0
		.amdhsa_next_free_vgpr 198
		.amdhsa_next_free_sgpr 52
		.amdhsa_reserve_vcc 1
		.amdhsa_float_round_mode_32 0
		.amdhsa_float_round_mode_16_64 0
		.amdhsa_float_denorm_mode_32 3
		.amdhsa_float_denorm_mode_16_64 3
		.amdhsa_dx10_clamp 1
		.amdhsa_ieee_mode 1
		.amdhsa_fp16_overflow 0
		.amdhsa_workgroup_processor_mode 1
		.amdhsa_memory_ordered 1
		.amdhsa_forward_progress 0
		.amdhsa_shared_vgpr_count 0
		.amdhsa_exception_fp_ieee_invalid_op 0
		.amdhsa_exception_fp_denorm_src 0
		.amdhsa_exception_fp_ieee_div_zero 0
		.amdhsa_exception_fp_ieee_overflow 0
		.amdhsa_exception_fp_ieee_underflow 0
		.amdhsa_exception_fp_ieee_inexact 0
		.amdhsa_exception_int_div_zero 0
	.end_amdhsa_kernel
	.section	.text._Z39paged_attention_ll4mi_QKV_mfma16_kernelIDF16_DF16_LN4vllm18Fp8KVCacheDataTypeE0EhLi16ELi64ELi256ELb0ELi7EL8MFMAType0EEvPKT_PKT0_S8_ifPKiSA_SA_iPKfiiiPfSD_PS3_PT2_iSC_SC_,"axG",@progbits,_Z39paged_attention_ll4mi_QKV_mfma16_kernelIDF16_DF16_LN4vllm18Fp8KVCacheDataTypeE0EhLi16ELi64ELi256ELb0ELi7EL8MFMAType0EEvPKT_PKT0_S8_ifPKiSA_SA_iPKfiiiPfSD_PS3_PT2_iSC_SC_,comdat
.Lfunc_end44:
	.size	_Z39paged_attention_ll4mi_QKV_mfma16_kernelIDF16_DF16_LN4vllm18Fp8KVCacheDataTypeE0EhLi16ELi64ELi256ELb0ELi7EL8MFMAType0EEvPKT_PKT0_S8_ifPKiSA_SA_iPKfiiiPfSD_PS3_PT2_iSC_SC_, .Lfunc_end44-_Z39paged_attention_ll4mi_QKV_mfma16_kernelIDF16_DF16_LN4vllm18Fp8KVCacheDataTypeE0EhLi16ELi64ELi256ELb0ELi7EL8MFMAType0EEvPKT_PKT0_S8_ifPKiSA_SA_iPKfiiiPfSD_PS3_PT2_iSC_SC_
                                        ; -- End function
	.section	.AMDGPU.csdata,"",@progbits
; Kernel info:
; codeLenInByte = 7880
; NumSgprs: 54
; NumVgprs: 198
; ScratchSize: 0
; MemoryBound: 0
; FloatMode: 240
; IeeeMode: 1
; LDSByteSize: 17472 bytes/workgroup (compile time only)
; SGPRBlocks: 6
; VGPRBlocks: 24
; NumSGPRsForWavesPerEU: 54
; NumVGPRsForWavesPerEU: 198
; Occupancy: 7
; WaveLimiterHint : 1
; COMPUTE_PGM_RSRC2:SCRATCH_EN: 0
; COMPUTE_PGM_RSRC2:USER_SGPR: 13
; COMPUTE_PGM_RSRC2:TRAP_HANDLER: 0
; COMPUTE_PGM_RSRC2:TGID_X_EN: 1
; COMPUTE_PGM_RSRC2:TGID_Y_EN: 1
; COMPUTE_PGM_RSRC2:TGID_Z_EN: 1
; COMPUTE_PGM_RSRC2:TIDIG_COMP_CNT: 0
	.section	.text._Z39paged_attention_ll4mi_QKV_mfma16_kernelIDF16_DF16_LN4vllm18Fp8KVCacheDataTypeE0EhLi16ELi64ELi256ELb0ELi8EL8MFMAType0EEvPKT_PKT0_S8_ifPKiSA_SA_iPKfiiiPfSD_PS3_PT2_iSC_SC_,"axG",@progbits,_Z39paged_attention_ll4mi_QKV_mfma16_kernelIDF16_DF16_LN4vllm18Fp8KVCacheDataTypeE0EhLi16ELi64ELi256ELb0ELi8EL8MFMAType0EEvPKT_PKT0_S8_ifPKiSA_SA_iPKfiiiPfSD_PS3_PT2_iSC_SC_,comdat
	.protected	_Z39paged_attention_ll4mi_QKV_mfma16_kernelIDF16_DF16_LN4vllm18Fp8KVCacheDataTypeE0EhLi16ELi64ELi256ELb0ELi8EL8MFMAType0EEvPKT_PKT0_S8_ifPKiSA_SA_iPKfiiiPfSD_PS3_PT2_iSC_SC_ ; -- Begin function _Z39paged_attention_ll4mi_QKV_mfma16_kernelIDF16_DF16_LN4vllm18Fp8KVCacheDataTypeE0EhLi16ELi64ELi256ELb0ELi8EL8MFMAType0EEvPKT_PKT0_S8_ifPKiSA_SA_iPKfiiiPfSD_PS3_PT2_iSC_SC_
	.globl	_Z39paged_attention_ll4mi_QKV_mfma16_kernelIDF16_DF16_LN4vllm18Fp8KVCacheDataTypeE0EhLi16ELi64ELi256ELb0ELi8EL8MFMAType0EEvPKT_PKT0_S8_ifPKiSA_SA_iPKfiiiPfSD_PS3_PT2_iSC_SC_
	.p2align	8
	.type	_Z39paged_attention_ll4mi_QKV_mfma16_kernelIDF16_DF16_LN4vllm18Fp8KVCacheDataTypeE0EhLi16ELi64ELi256ELb0ELi8EL8MFMAType0EEvPKT_PKT0_S8_ifPKiSA_SA_iPKfiiiPfSD_PS3_PT2_iSC_SC_,@function
_Z39paged_attention_ll4mi_QKV_mfma16_kernelIDF16_DF16_LN4vllm18Fp8KVCacheDataTypeE0EhLi16ELi64ELi256ELb0ELi8EL8MFMAType0EEvPKT_PKT0_S8_ifPKiSA_SA_iPKfiiiPfSD_PS3_PT2_iSC_SC_: ; @_Z39paged_attention_ll4mi_QKV_mfma16_kernelIDF16_DF16_LN4vllm18Fp8KVCacheDataTypeE0EhLi16ELi64ELi256ELb0ELi8EL8MFMAType0EEvPKT_PKT0_S8_ifPKiSA_SA_iPKfiiiPfSD_PS3_PT2_iSC_SC_
; %bb.0:
	s_load_b64 s[2:3], s[0:1], 0x30
	s_mov_b32 s34, s13
	s_waitcnt lgkmcnt(0)
	s_cmp_lg_u64 s[2:3], 0
	s_cselect_b32 s6, -1, 0
	s_ashr_i32 s35, s13, 31
	s_cmp_eq_u64 s[2:3], 0
	s_cbranch_scc1 .LBB45_3
; %bb.1:
	s_lshl_b64 s[4:5], s[34:35], 2
	s_delay_alu instid0(SALU_CYCLE_1) | instskip(SKIP_4) | instid1(SALU_CYCLE_1)
	s_add_u32 s4, s2, s4
	s_addc_u32 s5, s3, s5
	s_load_b64 s[4:5], s[4:5], 0x0
	s_waitcnt lgkmcnt(0)
	s_sub_i32 s4, s5, s4
	s_cmp_eq_u32 s4, 1
	s_cselect_b32 s4, -1, 0
	s_delay_alu instid0(SALU_CYCLE_1)
	s_and_not1_b32 vcc_lo, exec_lo, s4
	s_cbranch_vccz .LBB45_4
.LBB45_2:
	s_endpgm
.LBB45_3:
.LBB45_4:
	s_load_b64 s[8:9], s[0:1], 0x28
	s_lshl_b64 s[4:5], s[34:35], 2
	s_waitcnt lgkmcnt(0)
	s_add_u32 s8, s8, s4
	s_addc_u32 s9, s9, s5
	s_lshl_b32 s35, s14, 8
	s_load_b32 s30, s[8:9], 0x0
	s_waitcnt lgkmcnt(0)
	s_cmp_ge_i32 s35, s30
	s_cbranch_scc1 .LBB45_2
; %bb.5:
	s_clause 0x1
	s_load_b128 s[8:11], s[0:1], 0x8
	s_load_b64 s[12:13], s[0:1], 0x20
	s_and_not1_b32 vcc_lo, exec_lo, s6
	s_cbranch_vccnz .LBB45_7
; %bb.6:
	s_add_u32 s2, s2, s4
	s_addc_u32 s3, s3, s5
	s_load_b32 s3, s[2:3], 0x0
	s_branch .LBB45_8
.LBB45_7:
	s_mov_b32 s3, s34
.LBB45_8:
	s_load_b128 s[4:7], s[0:1], 0x48
	v_and_b32_e32 v149, 15, v0
	v_cmp_gt_u32_e32 vcc_lo, 0x80, v0
	v_lshrrev_b32_e32 v148, 5, v0
	v_and_b32_e32 v150, 31, v0
	v_and_b32_e32 v146, 1, v0
	v_lshlrev_b32_e32 v1, 3, v149
	v_cmp_gt_u32_e64 s2, 8, v149
	v_bfe_u32 v147, v0, 4, 1
	s_lshl_b32 s31, s15, 3
	s_delay_alu instid0(VALU_DEP_3) | instskip(NEXT) | instid1(VALU_DEP_3)
	v_lshlrev_b32_e32 v145, 1, v1
	s_and_b32 s16, vcc_lo, s2
	s_waitcnt lgkmcnt(0)
	s_and_saveexec_b32 s7, s16
	s_cbranch_execz .LBB45_10
; %bb.9:
	v_lshl_or_b32 v5, v148, 1, v147
	s_load_b64 s[16:17], s[0:1], 0x0
	s_mul_hi_i32 s19, s3, s4
	s_mul_i32 s18, s3, s4
	v_lshlrev_b32_e32 v6, 10, v149
	v_or_b32_e32 v1, s31, v5
	s_lshl_b64 s[18:19], s[18:19], 1
	v_lshlrev_b32_e32 v5, 6, v5
	v_lshlrev_b32_e32 v7, 10, v146
	v_and_b32_e32 v6, 0x3800, v6
	v_lshlrev_b32_e32 v1, 6, v1
	s_delay_alu instid0(VALU_DEP_2) | instskip(NEXT) | instid1(VALU_DEP_2)
	v_or3_b32 v5, v6, v7, v5
	v_ashrrev_i32_e32 v2, 31, v1
	s_delay_alu instid0(VALU_DEP_1) | instskip(SKIP_3) | instid1(VALU_DEP_1)
	v_lshlrev_b64 v[1:2], 1, v[1:2]
	s_waitcnt lgkmcnt(0)
	s_add_u32 s3, s16, s18
	s_addc_u32 s4, s17, s19
	v_add_co_u32 v1, vcc_lo, s3, v1
	s_delay_alu instid0(VALU_DEP_2) | instskip(NEXT) | instid1(VALU_DEP_2)
	v_add_co_ci_u32_e32 v2, vcc_lo, s4, v2, vcc_lo
	v_add_co_u32 v1, vcc_lo, v1, v145
	s_delay_alu instid0(VALU_DEP_2)
	v_add_co_ci_u32_e32 v2, vcc_lo, 0, v2, vcc_lo
	global_load_b128 v[1:4], v[1:2], off
	s_waitcnt vmcnt(0)
	ds_store_b128 v5, v[1:4]
.LBB45_10:
	s_or_b32 exec_lo, exec_lo, s7
	s_mov_b32 s40, 0
	s_add_i32 s3, s30, 15
	s_mov_b32 s41, s40
	s_mov_b32 s42, s40
	;; [unrolled: 1-line block ×7, first 2 shown]
	s_delay_alu instid0(SALU_CYCLE_1)
	v_dual_mov_b32 v136, s47 :: v_dual_and_b32 v1, 0xef, v0
	v_mov_b32_e32 v134, s45
	s_clause 0x1
	s_load_b32 s4, s[0:1], 0x38
	s_load_b32 s33, s[0:1], 0x98
	v_add_nc_u32_e32 v1, s35, v1
	s_ashr_i32 s7, s3, 31
	s_load_b32 s36, s[0:1], 0x1c
	s_lshr_b32 s7, s7, 28
	s_waitcnt lgkmcnt(0)
	v_ashrrev_i32_e32 v2, 31, v1
	s_add_i32 s3, s3, s7
	v_cmp_gt_i32_e32 vcc_lo, s30, v1
	v_mov_b32_e32 v135, s46
	s_ashr_i32 s3, s3, 4
	v_lshrrev_b32_e32 v3, 28, v2
	v_or_b32_e32 v2, 16, v1
	s_add_i32 s3, s3, -1
	v_mov_b32_e32 v132, s43
	s_barrier
	v_add_nc_u32_e32 v4, v1, v3
	v_add_nc_u32_e32 v3, v2, v3
	buffer_gl0_inv
	s_mul_i32 s16, s34, s4
	s_mul_i32 s6, s15, s6
	v_ashrrev_i32_e32 v4, 4, v4
	v_ashrrev_i32_e32 v3, 4, v3
	s_ashr_i32 s17, s16, 31
	v_mov_b32_e32 v133, s44
	s_lshl_b64 s[16:17], s[16:17], 2
	v_cndmask_b32_e32 v1, s3, v4, vcc_lo
	v_cmp_gt_i32_e32 vcc_lo, s30, v2
	s_add_u32 s4, s12, s16
	s_addc_u32 s37, s13, s17
	s_ashr_i32 s7, s6, 31
	v_ashrrev_i32_e32 v2, 31, v1
	v_cndmask_b32_e32 v3, s3, v3, vcc_lo
	s_lshl_b64 s[6:7], s[6:7], 1
	v_mov_b32_e32 v131, s42
	s_add_u32 s24, s8, s6
	v_lshlrev_b64 v[1:2], 2, v[1:2]
	v_ashrrev_i32_e32 v4, 31, v3
	s_addc_u32 s25, s9, s7
	s_lshl_b32 s8, s14, 4
	v_mov_b32_e32 v129, s40
	s_ashr_i32 s9, s8, 31
	v_lshlrev_b64 v[3:4], 2, v[3:4]
	v_add_co_u32 v1, vcc_lo, s4, v1
	v_add_co_ci_u32_e32 v2, vcc_lo, s37, v2, vcc_lo
	s_lshl_b64 s[8:9], s[8:9], 2
	s_delay_alu instid0(VALU_DEP_3) | instskip(NEXT) | instid1(VALU_DEP_4)
	v_add_co_u32 v3, vcc_lo, s4, v3
	v_add_co_ci_u32_e32 v4, vcc_lo, s37, v4, vcc_lo
	s_clause 0x1
	global_load_b32 v5, v[1:2], off
	global_load_b32 v6, v[3:4], off
	s_add_u32 s8, s4, s8
	s_addc_u32 s9, s37, s9
	s_or_b32 s12, s35, 16
	v_dual_mov_b32 v130, s41 :: v_dual_lshlrev_b32 v3, 4, v0
	s_ashr_i32 s13, s12, 4
	s_cmp_lt_i32 s12, s30
	s_cselect_b32 s12, s13, s3
	s_delay_alu instid0(SALU_CYCLE_1) | instskip(NEXT) | instid1(SALU_CYCLE_1)
	s_ashr_i32 s13, s12, 31
	s_lshl_b64 s[12:13], s[12:13], 2
	s_delay_alu instid0(SALU_CYCLE_1) | instskip(SKIP_2) | instid1(SALU_CYCLE_1)
	s_add_u32 s12, s4, s12
	s_addc_u32 s13, s37, s13
	s_or_b32 s15, s35, 32
	s_ashr_i32 s16, s15, 4
	s_cmp_lt_i32 s15, s30
	s_cselect_b32 s16, s16, s3
	s_delay_alu instid0(SALU_CYCLE_1) | instskip(NEXT) | instid1(SALU_CYCLE_1)
	s_ashr_i32 s17, s16, 31
	s_lshl_b64 s[16:17], s[16:17], 2
	s_delay_alu instid0(SALU_CYCLE_1) | instskip(SKIP_2) | instid1(SALU_CYCLE_1)
	s_add_u32 s16, s4, s16
	s_addc_u32 s17, s37, s17
	s_or_b32 s15, s35, 48
	;; [unrolled: 10-line block ×4, first 2 shown]
	s_ashr_i32 s22, s15, 4
	s_cmp_lt_i32 s15, s30
	s_cselect_b32 s22, s22, s3
	s_delay_alu instid0(SALU_CYCLE_1) | instskip(NEXT) | instid1(SALU_CYCLE_1)
	s_ashr_i32 s23, s22, 31
	s_lshl_b64 s[22:23], s[22:23], 2
	s_delay_alu instid0(SALU_CYCLE_1)
	s_add_u32 s22, s4, s22
	s_addc_u32 s23, s37, s23
	s_clause 0x5
	s_load_b32 s8, s[8:9], 0x0
	s_load_b32 s12, s[12:13], 0x0
	;; [unrolled: 1-line block ×6, first 2 shown]
	s_waitcnt lgkmcnt(0)
	s_mul_hi_i32 s17, s16, s5
	s_mul_i32 s16, s16, s5
	s_waitcnt vmcnt(1)
	v_mad_i64_i32 v[1:2], null, v5, s5, 0
	v_and_b32_e32 v5, 0xf0, v3
	s_waitcnt vmcnt(0)
	v_mad_i64_i32 v[3:4], null, v6, s5, 0
	s_delay_alu instid0(VALU_DEP_2) | instskip(NEXT) | instid1(VALU_DEP_4)
	v_add_co_u32 v5, s9, s24, v5
	v_lshlrev_b64 v[1:2], 1, v[1:2]
	v_add_co_ci_u32_e64 v6, null, s25, 0, s9
	s_delay_alu instid0(VALU_DEP_4) | instskip(SKIP_1) | instid1(VALU_DEP_3)
	v_lshlrev_b64 v[3:4], 1, v[3:4]
	s_or_b32 s9, s35, 0x60
	v_add_co_u32 v1, vcc_lo, v5, v1
	s_delay_alu instid0(VALU_DEP_3) | instskip(NEXT) | instid1(VALU_DEP_3)
	v_add_co_ci_u32_e32 v2, vcc_lo, v6, v2, vcc_lo
	v_add_co_u32 v3, vcc_lo, v5, v3
	s_delay_alu instid0(VALU_DEP_4)
	v_add_co_ci_u32_e32 v4, vcc_lo, v6, v4, vcc_lo
	s_clause 0x9
	global_load_b128 v[9:12], v[1:2], off
	global_load_b128 v[13:16], v[1:2], off offset:256
	global_load_b128 v[137:140], v[3:4], off
	global_load_b128 v[141:144], v[3:4], off offset:256
	global_load_b128 v[41:44], v[1:2], off offset:512
	;; [unrolled: 1-line block ×7, first 2 shown]
	v_and_b32_e32 v5, 7, v0
	s_clause 0x1
	global_load_b128 v[151:154], v[3:4], off offset:1024
	global_load_b128 v[155:158], v[3:4], off offset:1280
	s_ashr_i32 s13, s9, 4
	s_cmp_lt_i32 s9, s30
	v_lshlrev_b32_e32 v6, 5, v149
	v_lshlrev_b32_e32 v197, 6, v5
	ds_load_b128 v[159:162], v197
	ds_load_b128 v[163:166], v197 offset:1024
	s_clause 0x3
	global_load_b128 v[167:170], v[1:2], off offset:1536
	global_load_b128 v[171:174], v[1:2], off offset:1792
	;; [unrolled: 1-line block ×4, first 2 shown]
	s_cselect_b32 s22, s13, s3
	v_lshl_or_b32 v5, v148, 9, v6
	s_ashr_i32 s23, s22, 31
	s_delay_alu instid0(SALU_CYCLE_1) | instskip(NEXT) | instid1(SALU_CYCLE_1)
	s_lshl_b64 s[22:23], s[22:23], 2
	s_add_u32 s22, s4, s22
	s_addc_u32 s23, s37, s23
	s_or_b32 s9, s35, 0x70
	s_load_b32 s46, s[22:23], 0x0
	s_ashr_i32 s13, s9, 4
	s_cmp_lt_i32 s9, s30
	s_cselect_b32 s24, s13, s3
	s_delay_alu instid0(SALU_CYCLE_1) | instskip(NEXT) | instid1(SALU_CYCLE_1)
	s_ashr_i32 s25, s24, 31
	s_lshl_b64 s[24:25], s[24:25], 2
	s_delay_alu instid0(SALU_CYCLE_1)
	s_add_u32 s24, s4, s24
	s_addc_u32 s25, s37, s25
	s_or_b32 s9, s35, 0x80
	s_load_b32 s47, s[24:25], 0x0
	s_ashr_i32 s13, s9, 4
	s_cmp_lt_i32 s9, s30
	s_cselect_b32 s26, s13, s3
	s_delay_alu instid0(SALU_CYCLE_1) | instskip(NEXT) | instid1(SALU_CYCLE_1)
	s_ashr_i32 s27, s26, 31
	s_lshl_b64 s[26:27], s[26:27], 2
	s_delay_alu instid0(SALU_CYCLE_1)
	s_add_u32 s26, s4, s26
	s_addc_u32 s27, s37, s27
	s_or_b32 s9, s35, 0x90
	s_load_b32 s48, s[26:27], 0x0
	s_ashr_i32 s13, s9, 4
	s_cmp_lt_i32 s9, s30
	s_cselect_b32 s28, s13, s3
	s_delay_alu instid0(SALU_CYCLE_1) | instskip(NEXT) | instid1(SALU_CYCLE_1)
	s_ashr_i32 s29, s28, 31
	s_lshl_b64 s[28:29], s[28:29], 2
	s_delay_alu instid0(SALU_CYCLE_1) | instskip(SKIP_2) | instid1(SALU_CYCLE_1)
	s_add_u32 s28, s4, s28
	s_addc_u32 s29, s37, s29
	s_or_b32 s9, s35, 0xa0
	s_ashr_i32 s13, s9, 4
	s_cmp_lt_i32 s9, s30
	s_cselect_b32 s38, s13, s3
	s_delay_alu instid0(SALU_CYCLE_1) | instskip(NEXT) | instid1(SALU_CYCLE_1)
	s_ashr_i32 s39, s38, 31
	s_lshl_b64 s[38:39], s[38:39], 2
	s_delay_alu instid0(SALU_CYCLE_1) | instskip(SKIP_2) | instid1(SALU_CYCLE_1)
	s_add_u32 s38, s4, s38
	s_addc_u32 s39, s37, s39
	s_or_b32 s9, s35, 0xb0
	s_ashr_i32 s13, s9, 4
	s_cmp_lt_i32 s9, s30
	s_mul_hi_i32 s9, s8, s5
	s_cselect_b32 s40, s13, s3
	s_mul_i32 s8, s8, s5
	s_ashr_i32 s41, s40, 31
	s_mul_hi_i32 s13, s12, s5
	s_lshl_b64 s[40:41], s[40:41], 2
	s_mul_i32 s12, s12, s5
	s_add_u32 s42, s4, s40
	s_addc_u32 s43, s37, s41
	s_or_b32 s19, s35, 0xc0
	s_delay_alu instid0(SALU_CYCLE_1)
	s_ashr_i32 s21, s19, 4
	s_cmp_lt_i32 s19, s30
	s_mul_hi_i32 s19, s18, s5
	s_cselect_b32 s40, s21, s3
	s_mul_i32 s18, s18, s5
	s_ashr_i32 s41, s40, 31
	s_mul_hi_i32 s21, s20, s5
	s_lshl_b64 s[40:41], s[40:41], 2
	s_mul_i32 s20, s20, s5
	s_add_u32 s44, s4, s40
	s_addc_u32 s45, s37, s41
	s_load_b32 s41, s[28:29], 0x0
	s_or_b32 s40, s35, 0xd0
	s_mul_hi_i32 s23, s15, s5
	s_ashr_i32 s22, s40, 4
	s_cmp_lt_i32 s40, s30
	s_load_b32 s40, s[38:39], 0x0
	s_cselect_b32 s24, s22, s3
	s_mul_i32 s22, s15, s5
	s_ashr_i32 s25, s24, 31
	s_waitcnt lgkmcnt(0)
	s_mul_hi_i32 s29, s48, s5
	s_lshl_b64 s[24:25], s[24:25], 2
	s_mul_i32 s28, s48, s5
	s_add_u32 s24, s4, s24
	s_addc_u32 s25, s37, s25
	s_or_b32 s49, s35, 0xe0
	s_clause 0x2
	s_load_b32 s39, s[42:43], 0x0
	s_load_b32 s38, s[44:45], 0x0
	;; [unrolled: 1-line block ×3, first 2 shown]
	s_ashr_i32 s50, s49, 4
	s_cmp_lt_i32 s49, s30
	s_mul_hi_i32 s25, s46, s5
	s_cselect_b32 s44, s50, s3
	s_mul_i32 s24, s46, s5
	s_ashr_i32 s45, s44, 31
	s_mul_hi_i32 s27, s47, s5
	s_lshl_b64 s[44:45], s[44:45], 2
	s_mul_i32 s26, s47, s5
	s_add_u32 s44, s4, s44
	s_addc_u32 s45, s37, s45
	s_or_b32 s46, s35, 0xf0
	s_mul_hi_i32 s43, s41, s5
	s_ashr_i32 s48, s46, 4
	s_cmp_lt_i32 s46, s30
	s_mul_i32 s42, s41, s5
	s_cselect_b32 s48, s48, s3
	s_mul_hi_i32 s41, s40, s5
	s_ashr_i32 s49, s48, 31
	s_mul_i32 s40, s40, s5
	s_lshl_b64 s[48:49], s[48:49], 2
	s_waitcnt lgkmcnt(0)
	s_mul_hi_i32 s47, s39, s5
	s_add_u32 s48, s4, s48
	s_addc_u32 s49, s37, s49
	s_add_u32 s3, s10, s6
	s_addc_u32 s4, s11, s7
	v_add_co_u32 v195, s3, s3, v5
	s_delay_alu instid0(VALU_DEP_1) | instskip(SKIP_2) | instid1(VALU_DEP_2)
	v_add_co_ci_u32_e64 v196, null, s4, 0, s3
	s_lshl_b64 s[6:7], s[8:9], 1
	s_lshl_b64 s[8:9], s[12:13], 1
	v_add_co_u32 v1, vcc_lo, v195, s6
	s_delay_alu instid0(VALU_DEP_2)
	v_add_co_ci_u32_e32 v2, vcc_lo, s7, v196, vcc_lo
	v_add_co_u32 v3, vcc_lo, v195, s8
	s_lshl_b64 s[10:11], s[16:17], 1
	v_add_co_ci_u32_e32 v4, vcc_lo, s9, v196, vcc_lo
	v_add_co_u32 v5, vcc_lo, v195, s10
	s_lshl_b64 s[12:13], s[18:19], 1
	;; [unrolled: 3-line block ×9, first 2 shown]
	s_mul_i32 s46, s39, s5
	v_add_co_ci_u32_e32 v54, vcc_lo, s27, v196, vcc_lo
	v_add_co_u32 v183, vcc_lo, v195, s28
	s_lshl_b64 s[40:41], s[46:47], 1
	s_mul_hi_i32 s39, s38, s5
	s_mul_i32 s38, s38, s5
	v_add_co_ci_u32_e32 v184, vcc_lo, s29, v196, vcc_lo
	v_add_co_u32 v185, vcc_lo, v195, s40
	s_lshl_b64 s[38:39], s[38:39], 1
	s_clause 0x1
	s_load_b32 s3, s[44:45], 0x0
	s_load_b32 s4, s[48:49], 0x0
	v_add_co_ci_u32_e32 v186, vcc_lo, s41, v196, vcc_lo
	v_add_co_u32 v191, vcc_lo, v195, s38
	v_add_co_ci_u32_e32 v192, vcc_lo, s39, v196, vcc_lo
	s_clause 0x17
	global_load_b128 v[121:124], v[1:2], off
	global_load_b128 v[125:128], v[1:2], off offset:16
	global_load_b128 v[113:116], v[3:4], off
	global_load_b128 v[117:120], v[3:4], off offset:16
	;; [unrolled: 2-line block ×12, first 2 shown]
	s_mul_hi_i32 s51, s15, s5
	s_mul_i32 s50, s15, s5
	s_delay_alu instid0(SALU_CYCLE_1) | instskip(NEXT) | instid1(SALU_CYCLE_1)
	s_lshl_b64 s[42:43], s[50:51], 1
	v_add_co_u32 v193, vcc_lo, v195, s42
	v_add_co_ci_u32_e32 v194, vcc_lo, s43, v196, vcc_lo
	s_waitcnt lgkmcnt(0)
	s_mul_hi_i32 s7, s3, s5
	s_mul_i32 s6, s3, s5
	s_mul_hi_i32 s9, s4, s5
	s_lshl_b64 s[6:7], s[6:7], 1
	s_mul_i32 s8, s4, s5
	s_delay_alu instid0(SALU_CYCLE_1)
	s_lshl_b64 s[4:5], s[8:9], 1
	s_waitcnt vmcnt(38)
	v_wmma_f32_16x16x16_f16 v[183:190], v[9:16], v[159:166], v[129:136]
	s_waitcnt vmcnt(36)
	v_wmma_f32_16x16x16_f16 v[129:136], v[137:144], v[159:166], v[129:136]
	s_clause 0x1
	global_load_b128 v[9:12], v[191:192], off
	global_load_b128 v[13:16], v[191:192], off offset:16
	ds_load_b128 v[137:140], v197 offset:2048
	ds_load_b128 v[141:144], v197 offset:3072
	;; [unrolled: 1-line block ×4, first 2 shown]
	v_add_co_u32 v191, vcc_lo, v195, s6
	v_add_co_ci_u32_e32 v192, vcc_lo, s7, v196, vcc_lo
	v_add_co_u32 v195, vcc_lo, v195, s4
	v_add_co_ci_u32_e32 v196, vcc_lo, s5, v196, vcc_lo
	s_waitcnt vmcnt(36) lgkmcnt(2)
	v_wmma_f32_16x16x16_f16 v[183:190], v[41:48], v[137:144], v[183:190]
	s_waitcnt vmcnt(34)
	v_wmma_f32_16x16x16_f16 v[129:136], v[33:40], v[137:144], v[129:136]
	s_clause 0x3
	global_load_b128 v[33:36], v[193:194], off
	global_load_b128 v[37:40], v[193:194], off offset:16
	global_load_b128 v[41:44], v[191:192], off
	global_load_b128 v[45:48], v[191:192], off offset:16
	v_and_b32_e32 v137, 0xe0, v0
	v_mbcnt_lo_u32_b32 v191, -1, 0
	s_waitcnt vmcnt(36) lgkmcnt(0)
	v_wmma_f32_16x16x16_f16 v[183:190], v[17:24], v[159:166], v[183:190]
	s_clause 0x1
	global_load_b128 v[17:20], v[195:196], off
	global_load_b128 v[21:24], v[195:196], off offset:16
	s_waitcnt vmcnt(36)
	v_wmma_f32_16x16x16_f16 v[129:136], v[151:158], v[159:166], v[129:136]
	v_add_nc_u32_e32 v192, s35, v137
	ds_load_b128 v[137:140], v197 offset:6144
	ds_load_b128 v[141:144], v197 offset:7168
	v_xor_b32_e32 v151, 16, v191
	s_waitcnt vmcnt(0) lgkmcnt(0)
	s_barrier
	v_or_b32_e32 v152, v192, v147
	buffer_gl0_inv
	v_cmp_gt_i32_e32 vcc_lo, 32, v151
	v_or_b32_e32 v153, 2, v152
	v_or_b32_e32 v154, 4, v152
	;; [unrolled: 1-line block ×5, first 2 shown]
	v_cmp_gt_i32_e64 s3, s30, v153
	v_cmp_gt_i32_e64 s4, s30, v154
	;; [unrolled: 1-line block ×3, first 2 shown]
	v_or_b32_e32 v158, 12, v152
	v_or_b32_e32 v159, 14, v152
	v_cmp_gt_i32_e64 s6, s30, v156
	v_wmma_f32_16x16x16_f16 v[183:190], v[167:174], v[137:144], v[183:190]
	v_wmma_f32_16x16x16_f16 v[129:136], v[175:182], v[137:144], v[129:136]
	v_cndmask_b32_e32 v151, v191, v151, vcc_lo
	v_cmp_gt_i32_e32 vcc_lo, s30, v152
	v_cmp_gt_i32_e64 s7, s30, v157
	v_dual_mul_f32 v143, s36, v184 :: v_dual_mul_f32 v144, s36, v183
	v_dual_mul_f32 v141, s36, v186 :: v_dual_mul_f32 v142, s36, v185
	;; [unrolled: 1-line block ×3, first 2 shown]
	s_delay_alu instid0(VALU_DEP_3) | instskip(NEXT) | instid1(VALU_DEP_4)
	v_cndmask_b32_e32 v144, 0xff7fffff, v144, vcc_lo
	v_cndmask_b32_e64 v143, 0xff7fffff, v143, s3
	v_mul_f32_e32 v140, s36, v187
	v_cndmask_b32_e64 v142, 0xff7fffff, v142, s4
	v_cndmask_b32_e64 v141, 0xff7fffff, v141, s5
	v_or_b32_e32 v160, 16, v152
	v_max3_f32 v143, v144, 0xff7fffff, v143
	v_or_b32_e32 v161, 18, v152
	v_mul_f32_e32 v138, s36, v189
	v_dual_mul_f32 v172, s36, v132 :: v_dual_mul_f32 v137, s36, v190
	v_cndmask_b32_e64 v140, 0xff7fffff, v140, s6
	v_cndmask_b32_e64 v139, 0xff7fffff, v139, s7
	v_max3_f32 v141, v143, v142, v141
	v_cmp_gt_i32_e64 s8, s30, v158
	v_cmp_gt_i32_e64 s9, s30, v159
	v_or_b32_e32 v162, 20, v152
	v_or_b32_e32 v163, 22, v152
	v_mul_f32_e32 v175, s36, v129
	v_cndmask_b32_e64 v138, 0xff7fffff, v138, s8
	v_max3_f32 v139, v141, v140, v139
	v_cmp_gt_i32_e64 s10, s30, v160
	v_cmp_gt_i32_e64 s11, s30, v161
	v_lshlrev_b32_e32 v160, 2, v151
	v_cndmask_b32_e64 v137, 0xff7fffff, v137, s9
	v_or_b32_e32 v164, 24, v152
	v_or_b32_e32 v165, 26, v152
	v_mul_f32_e32 v173, s36, v131
	v_cndmask_b32_e64 v140, 0xff7fffff, v175, s10
	v_cndmask_b32_e64 v141, 0xff7fffff, v174, s11
	v_max3_f32 v137, v139, v138, v137
	v_cmp_gt_i32_e64 s12, s30, v162
	v_cmp_gt_i32_e64 s13, s30, v163
	v_or_b32_e32 v166, 28, v152
	v_or_b32_e32 v167, 30, v152
	v_dual_mul_f32 v170, s36, v134 :: v_dual_mul_f32 v171, s36, v133
	v_cndmask_b32_e64 v138, 0xff7fffff, v173, s12
	v_cndmask_b32_e64 v139, 0xff7fffff, v172, s13
	v_max3_f32 v137, v137, v140, v141
	v_cmp_gt_i32_e64 s15, s30, v164
	v_cmp_gt_i32_e64 s16, s30, v165
	v_dual_mul_f32 v168, s36, v136 :: v_dual_mul_f32 v169, s36, v135
	s_delay_alu instid0(VALU_DEP_4) | instskip(NEXT) | instid1(VALU_DEP_4)
	v_max3_f32 v137, v137, v138, v139
	v_cndmask_b32_e64 v140, 0xff7fffff, v171, s15
	s_delay_alu instid0(VALU_DEP_4) | instskip(SKIP_2) | instid1(VALU_DEP_3)
	v_cndmask_b32_e64 v141, 0xff7fffff, v170, s16
	v_cmp_gt_i32_e64 s17, s30, v166
	v_cmp_gt_i32_e64 s18, s30, v167
	v_max3_f32 v137, v137, v140, v141
	s_delay_alu instid0(VALU_DEP_3) | instskip(NEXT) | instid1(VALU_DEP_3)
	v_cndmask_b32_e64 v138, 0xff7fffff, v169, s17
	v_cndmask_b32_e64 v139, 0xff7fffff, v168, s18
	s_delay_alu instid0(VALU_DEP_1) | instskip(SKIP_3) | instid1(VALU_DEP_1)
	v_max3_f32 v137, v137, v138, v139
	ds_bpermute_b32 v138, v160, v137
	s_waitcnt lgkmcnt(0)
	v_max_f32_e32 v138, v138, v138
	v_max_f32_e32 v137, v137, v138
	s_delay_alu instid0(VALU_DEP_1) | instskip(SKIP_4) | instid1(VALU_DEP_4)
	v_fma_f32 v143, s36, v187, -v137
	v_fma_f32 v130, s36, v130, -v137
	;; [unrolled: 1-line block ×5, first 2 shown]
	v_dual_mul_f32 v143, 0x3fb8aa3b, v143 :: v_dual_mul_f32 v130, 0x3fb8aa3b, v130
	s_delay_alu instid0(VALU_DEP_4) | instskip(SKIP_2) | instid1(VALU_DEP_4)
	v_mul_f32_e32 v140, 0x3fb8aa3b, v140
	v_fma_f32 v152, s36, v189, -v137
	v_fma_f32 v139, s36, v184, -v137
	v_exp_f32_e32 v143, v143
	v_mul_f32_e32 v138, 0x3fb8aa3b, v138
	v_exp_f32_e32 v140, v140
	v_mul_f32_e32 v152, 0x3fb8aa3b, v152
	v_fma_f32 v153, s36, v190, -v137
	v_fma_f32 v144, s36, v188, -v137
	v_exp_f32_e32 v138, v138
	v_fma_f32 v129, s36, v129, -v137
	v_exp_f32_e32 v152, v152
	v_fma_f32 v134, s36, v134, -v137
	v_cndmask_b32_e64 v143, 0, v143, s6
	v_dual_mul_f32 v141, 0x3fb8aa3b, v141 :: v_dual_mul_f32 v144, 0x3fb8aa3b, v144
	v_fma_f32 v132, s36, v132, -v137
	s_delay_alu instid0(VALU_DEP_4) | instskip(NEXT) | instid1(VALU_DEP_3)
	v_dual_mul_f32 v129, 0x3fb8aa3b, v129 :: v_dual_mul_f32 v134, 0x3fb8aa3b, v134
	v_exp_f32_e32 v151, v141
	v_cndmask_b32_e64 v141, 0, v140, s4
	s_delay_alu instid0(VALU_DEP_3)
	v_dual_mul_f32 v132, 0x3fb8aa3b, v132 :: v_dual_mul_f32 v139, 0x3fb8aa3b, v139
	v_exp_f32_e32 v144, v144
	v_exp_f32_e32 v129, v129
	;; [unrolled: 1-line block ×3, first 2 shown]
	v_fma_f32 v131, s36, v131, -v137
	v_exp_f32_e32 v142, v139
	v_exp_f32_e32 v132, v132
	v_cndmask_b32_e64 v140, 0, v151, s5
	v_mul_f32_e32 v151, 0x3fb8aa3b, v153
	v_fma_f32 v133, s36, v133, -v137
	s_delay_alu instid0(VALU_DEP_2) | instskip(SKIP_2) | instid1(TRANS32_DEP_3)
	v_exp_f32_e32 v154, v151
	v_cndmask_b32_e64 v151, 0, v152, s8
	v_cndmask_b32_e32 v139, 0, v138, vcc_lo
	v_cndmask_b32_e64 v138, 0, v142, s3
	s_mov_b32 s3, exec_lo
	s_delay_alu instid0(VALU_DEP_2) | instskip(NEXT) | instid1(VALU_DEP_1)
	v_add_f32_e32 v142, 0, v139
	v_add_f32_e32 v142, v142, v138
	s_delay_alu instid0(VALU_DEP_1) | instskip(NEXT) | instid1(VALU_DEP_1)
	v_add_f32_e32 v142, v142, v141
	v_add_f32_e32 v153, v142, v140
	v_cndmask_b32_e64 v142, 0, v144, s7
	s_delay_alu instid0(VALU_DEP_2) | instskip(SKIP_1) | instid1(VALU_DEP_2)
	v_add_f32_e32 v144, v153, v143
	v_cndmask_b32_e64 v153, 0, v129, s10
	v_add_f32_e32 v152, v144, v142
	v_cndmask_b32_e64 v144, 0, v154, s9
	v_cndmask_b32_e64 v154, 0, v132, s13
	v_fma_f32 v132, s36, v136, -v137
	s_delay_alu instid0(VALU_DEP_4) | instskip(NEXT) | instid1(VALU_DEP_2)
	v_dual_mul_f32 v133, 0x3fb8aa3b, v133 :: v_dual_add_f32 v152, v152, v151
	v_mul_f32_e32 v132, 0x3fb8aa3b, v132
	s_delay_alu instid0(VALU_DEP_2) | instskip(NEXT) | instid1(VALU_DEP_2)
	v_exp_f32_e32 v133, v133
	v_add_f32_e32 v129, v152, v144
	v_cndmask_b32_e64 v152, 0, v130, s11
	v_fma_f32 v130, s36, v135, -v137
	v_mul_f32_e32 v131, 0x3fb8aa3b, v131
	s_delay_alu instid0(VALU_DEP_2) | instskip(NEXT) | instid1(VALU_DEP_2)
	v_dual_add_f32 v129, v129, v153 :: v_dual_mul_f32 v130, 0x3fb8aa3b, v130
	v_exp_f32_e32 v131, v131
	s_delay_alu instid0(TRANS32_DEP_2) | instskip(NEXT) | instid1(VALU_DEP_2)
	v_cndmask_b32_e64 v157, 0, v133, s15
	v_add_f32_e32 v129, v129, v152
	s_delay_alu instid0(VALU_DEP_3) | instskip(SKIP_4) | instid1(VALU_DEP_2)
	v_exp_f32_e32 v130, v130
	s_waitcnt_depctr 0xfff
	v_cndmask_b32_e64 v155, 0, v131, s12
	v_exp_f32_e32 v131, v134
	v_cndmask_b32_e64 v159, 0, v130, s17
	v_add_f32_e32 v129, v129, v155
	s_delay_alu instid0(VALU_DEP_1) | instskip(SKIP_4) | instid1(VALU_DEP_1)
	v_add_f32_e32 v129, v129, v154
	s_waitcnt_depctr 0xfff
	v_cndmask_b32_e64 v156, 0, v131, s16
	v_exp_f32_e32 v131, v132
	v_add_f32_e32 v129, v129, v157
	v_add_f32_e32 v129, v129, v156
	s_waitcnt_depctr 0xfff
	v_cndmask_b32_e64 v158, 0, v131, s18
	v_add_f32_e32 v129, v129, v159
	s_delay_alu instid0(VALU_DEP_1)
	v_add_f32_e32 v129, v129, v158
	ds_bpermute_b32 v130, v160, v129
	v_cmpx_gt_u32_e32 16, v150
	s_cbranch_execz .LBB45_12
; %bb.11:
	v_mul_u32_u24_e32 v131, 0x44, v148
	s_delay_alu instid0(VALU_DEP_1) | instskip(SKIP_1) | instid1(VALU_DEP_1)
	v_lshl_add_u32 v131, v149, 2, v131
	s_waitcnt lgkmcnt(0)
	v_dual_add_f32 v129, v129, v130 :: v_dual_add_nc_u32 v130, 0x4000, v131
	ds_store_2addr_b32 v130, v137, v129 offset1:136
.LBB45_12:
	s_or_b32 exec_lo, exec_lo, s3
	v_lshlrev_b32_e32 v129, 2, v149
	s_load_b32 s35, s[0:1], 0x94
	s_waitcnt lgkmcnt(0)
	s_barrier
	buffer_gl0_inv
	v_add_nc_u32_e32 v135, 0x4000, v129
	v_cmp_eq_u32_e32 vcc_lo, 1, v148
	v_cmp_eq_u32_e64 s3, 2, v148
	v_cmp_eq_u32_e64 s4, 3, v148
	;; [unrolled: 1-line block ×3, first 2 shown]
	ds_load_2addr_b32 v[129:130], v135 offset1:17
	ds_load_2addr_b32 v[131:132], v135 offset0:34 offset1:51
	ds_load_2addr_b32 v[133:134], v135 offset0:68 offset1:85
	ds_load_2addr_b32 v[160:161], v135 offset0:102 offset1:119
	ds_load_2addr_b32 v[162:163], v135 offset0:136 offset1:153
	v_cmp_eq_u32_e64 s6, 5, v148
	v_cmp_eq_u32_e64 s7, 7, v148
	s_waitcnt lgkmcnt(4)
	v_max3_f32 v136, v129, 0xff7fffff, v130
	s_waitcnt lgkmcnt(3)
	s_delay_alu instid0(VALU_DEP_1) | instskip(SKIP_1) | instid1(VALU_DEP_1)
	v_max3_f32 v136, v136, v131, v132
	s_waitcnt lgkmcnt(2)
	v_max3_f32 v136, v136, v133, v134
	s_waitcnt lgkmcnt(1)
	s_delay_alu instid0(VALU_DEP_1) | instskip(NEXT) | instid1(VALU_DEP_1)
	v_max3_f32 v136, v136, v160, v161
	v_sub_f32_e32 v129, v129, v136
	v_sub_f32_e32 v137, v130, v136
	;; [unrolled: 1-line block ×4, first 2 shown]
	s_delay_alu instid0(VALU_DEP_4) | instskip(NEXT) | instid1(VALU_DEP_3)
	v_dual_sub_f32 v133, v133, v136 :: v_dual_mul_f32 v150, 0x3fb8aa3b, v129
	v_dual_mul_f32 v137, 0x3fb8aa3b, v137 :: v_dual_mul_f32 v164, 0x3fb8aa3b, v164
	s_delay_alu instid0(VALU_DEP_2) | instskip(NEXT) | instid1(VALU_DEP_3)
	v_mul_f32_e32 v167, 0x3fb8aa3b, v133
	v_exp_f32_e32 v150, v150
	s_delay_alu instid0(VALU_DEP_2) | instskip(SKIP_2) | instid1(VALU_DEP_1)
	v_exp_f32_e32 v166, v137
	v_mul_f32_e32 v165, 0x3fb8aa3b, v131
	v_exp_f32_e32 v164, v164
	v_exp_f32_e32 v165, v165
	s_waitcnt lgkmcnt(0)
	v_fma_f32 v137, v150, v162, 0
	v_sub_f32_e32 v162, v134, v136
	ds_load_2addr_b32 v[129:130], v135 offset0:170 offset1:187
	ds_load_2addr_b32 v[131:132], v135 offset0:204 offset1:221
	ds_load_2addr_b32 v[133:134], v135 offset0:238 offset1:255
	v_fmac_f32_e32 v137, v166, v163
	v_dual_sub_f32 v135, v160, v136 :: v_dual_mul_f32 v160, 0x3fb8aa3b, v162
	v_exp_f32_e32 v162, v167
	s_waitcnt lgkmcnt(0)
	s_barrier
	s_delay_alu instid0(VALU_DEP_1)
	v_mul_f32_e32 v135, 0x3fb8aa3b, v135
	v_exp_f32_e32 v160, v160
	buffer_gl0_inv
	v_fmac_f32_e32 v137, v165, v129
	v_sub_f32_e32 v129, v161, v136
	v_exp_f32_e32 v161, v135
	s_delay_alu instid0(VALU_DEP_2) | instskip(NEXT) | instid1(VALU_DEP_2)
	v_fmac_f32_e32 v137, v164, v130
	v_dual_mul_f32 v129, 0x3fb8aa3b, v129 :: v_dual_cndmask_b32 v130, v150, v166
	s_delay_alu instid0(VALU_DEP_2) | instskip(NEXT) | instid1(VALU_DEP_2)
	v_fmac_f32_e32 v137, v162, v131
	v_exp_f32_e32 v163, v129
	s_delay_alu instid0(VALU_DEP_1) | instskip(SKIP_3) | instid1(VALU_DEP_2)
	v_fmac_f32_e32 v137, v160, v132
	s_waitcnt_depctr 0xfff
	v_fmac_f32_e32 v137, v161, v133
	v_lshlrev_b32_e32 v133, 6, v149
	v_fmac_f32_e32 v137, v163, v134
	s_delay_alu instid0(VALU_DEP_2) | instskip(NEXT) | instid1(VALU_DEP_2)
	v_lshl_or_b32 v135, v148, 11, v133
	v_add_f32_e32 v134, 0x358637bd, v137
	s_delay_alu instid0(VALU_DEP_1) | instskip(SKIP_1) | instid1(VALU_DEP_2)
	v_div_scale_f32 v167, null, v134, v134, 1.0
	v_div_scale_f32 v150, vcc_lo, 1.0, v134, 1.0
	v_rcp_f32_e32 v168, v167
	s_waitcnt_depctr 0xfff
	v_fma_f32 v129, -v167, v168, 1.0
	s_delay_alu instid0(VALU_DEP_1) | instskip(SKIP_2) | instid1(VALU_DEP_3)
	v_fmac_f32_e32 v168, v129, v168
	v_cndmask_b32_e64 v129, v130, v165, s3
	v_cmp_eq_u32_e64 s3, 6, v148
	v_mul_f32_e32 v165, v150, v168
	s_delay_alu instid0(VALU_DEP_3) | instskip(SKIP_1) | instid1(VALU_DEP_3)
	v_cndmask_b32_e64 v130, v129, v164, s4
	v_lshlrev_b32_e32 v129, 2, v147
	v_fma_f32 v131, -v167, v165, v150
	s_delay_alu instid0(VALU_DEP_3) | instskip(NEXT) | instid1(VALU_DEP_3)
	v_cndmask_b32_e64 v149, v130, v162, s5
	v_or_b32_e32 v130, 1, v129
	v_or_b32_e32 v132, 2, v129
	v_cmp_eq_u32_e64 s4, 1, v129
	v_fmac_f32_e32 v165, v131, v168
	v_cndmask_b32_e64 v148, v149, v160, s6
	v_or_b32_e32 v131, 3, v129
	v_cmp_eq_u32_e64 s9, 1, v130
	v_cmp_eq_u32_e64 s10, 1, v132
	v_fma_f32 v149, -v167, v165, v150
	v_cndmask_b32_e64 v148, v148, v161, s3
	v_cmp_eq_u32_e64 s11, 1, v131
	v_cmp_eq_u32_e64 s5, 2, v129
	v_cmp_eq_u32_e64 s12, 2, v130
	v_div_fmas_f32 v149, v149, v168, v165
	v_cndmask_b32_e64 v148, v148, v163, s7
	v_cmp_eq_u32_e64 s15, 2, v132
	v_cmp_eq_u32_e64 s16, 2, v131
	v_cmp_eq_u32_e32 vcc_lo, 3, v129
	v_div_fixup_f32 v149, v149, v134, 1.0
	v_lshl_or_b32 v134, v147, 4, v135
	v_cmp_eq_u32_e64 s13, 3, v130
	v_cmp_eq_u32_e64 s18, 3, v131
	;; [unrolled: 1-line block ×3, first 2 shown]
	v_mul_f32_e32 v164, v148, v149
	v_cmp_eq_u32_e64 s17, 3, v132
	v_cmp_eq_u32_e64 s19, 4, v130
	;; [unrolled: 1-line block ×4, first 2 shown]
	v_fma_mixlo_f16 v148, v164, v139, 0
	v_fma_mixlo_f16 v149, v164, v141, 0
	;; [unrolled: 1-line block ×8, first 2 shown]
	v_fma_mixhi_f16 v148, v164, v138, 0
	v_fma_mixhi_f16 v149, v164, v140, 0
	;; [unrolled: 1-line block ×8, first 2 shown]
	ds_store_b128 v134, v[148:151]
	ds_store_b128 v134, v[160:163] offset:1024
	s_waitcnt lgkmcnt(0)
	s_barrier
	buffer_gl0_inv
	ds_load_b128 v[138:141], v135
	ds_load_b128 v[148:151], v135 offset:16
	ds_load_b128 v[152:155], v135 offset:1024
	;; [unrolled: 1-line block ×3, first 2 shown]
	v_cmp_eq_u32_e64 s20, 5, v130
	v_cmp_eq_u32_e64 s21, 4, v132
	;; [unrolled: 1-line block ×12, first 2 shown]
	s_waitcnt lgkmcnt(3)
	v_lshrrev_b32_e32 v142, 16, v138
	s_waitcnt lgkmcnt(2)
	v_lshrrev_b32_e32 v161, 16, v148
	;; [unrolled: 2-line block ×4, first 2 shown]
	v_lshrrev_b32_e32 v143, 16, v139
	v_cndmask_b32_e64 v173, v138, v142, s4
	v_cndmask_b32_e64 v174, v148, v161, s4
	;; [unrolled: 1-line block ×7, first 2 shown]
	v_lshrrev_b32_e32 v162, 16, v149
	v_cndmask_b32_e64 v178, v148, v161, s10
	v_cndmask_b32_e64 v148, v152, v165, s4
	;; [unrolled: 1-line block ×16, first 2 shown]
	v_lshrrev_b32_e32 v166, 16, v153
	v_lshrrev_b32_e32 v170, 16, v157
	v_cndmask_b32_e64 v176, v178, v149, s15
	v_cndmask_b32_e64 v142, v148, v153, s5
	;; [unrolled: 1-line block ×7, first 2 shown]
	v_cndmask_b32_e32 v156, v165, v143, vcc_lo
	v_cndmask_b32_e32 v165, v169, v162, vcc_lo
	v_cndmask_b32_e64 v169, v173, v143, s13
	v_cndmask_b32_e64 v173, v174, v162, s13
	;; [unrolled: 1-line block ×4, first 2 shown]
	v_lshrrev_b32_e32 v144, 16, v140
	v_lshrrev_b32_e32 v163, 16, v150
	v_cndmask_b32_e64 v174, v175, v143, s17
	v_cndmask_b32_e64 v175, v176, v162, s17
	v_cndmask_b32_e32 v142, v142, v166, vcc_lo
	v_cndmask_b32_e32 v143, v148, v170, vcc_lo
	v_cndmask_b32_e64 v148, v149, v166, s13
	v_cndmask_b32_e64 v149, v156, v140, s3
	v_cndmask_b32_e64 v156, v165, v150, s3
	v_cndmask_b32_e64 v162, v169, v140, s19
	v_cndmask_b32_e64 v165, v173, v150, s19
	v_cndmask_b32_e64 v138, v138, v140, s22
	v_cndmask_b32_e64 v139, v139, v150, s22
	v_lshrrev_b32_e32 v167, 16, v154
	v_cndmask_b32_e64 v169, v174, v140, s21
	v_cndmask_b32_e64 v173, v175, v150, s21
	;; [unrolled: 1-line block ×11, first 2 shown]
	v_lshrrev_b32_e32 v160, 16, v141
	v_lshrrev_b32_e32 v164, 16, v151
	v_cndmask_b32_e64 v162, v169, v144, s23
	v_cndmask_b32_e64 v165, v173, v163, s23
	;; [unrolled: 1-line block ×9, first 2 shown]
	v_lshrrev_b32_e32 v168, 16, v155
	v_cndmask_b32_e64 v140, v140, v167, s6
	v_cndmask_b32_e64 v156, v162, v141, s26
	;; [unrolled: 1-line block ×14, first 2 shown]
	v_perm_b32 v141, v139, v138, 0x5040100
	v_perm_b32 v139, v150, v148, 0x5040100
	v_cndmask_b32_e64 v138, v182, v157, s15
	v_cndmask_b32_e64 v148, v180, v157, s12
	;; [unrolled: 1-line block ×3, first 2 shown]
	v_perm_b32 v140, v151, v149, 0x5040100
	v_cndmask_b32_e64 v149, v161, v166, s17
	v_cndmask_b32_e64 v150, v152, v166, s18
	;; [unrolled: 1-line block ×5, first 2 shown]
	v_lshrrev_b32_e32 v171, 16, v158
	v_cndmask_b32_e64 v149, v149, v154, s21
	v_cndmask_b32_e64 v150, v150, v154, s22
	;; [unrolled: 1-line block ×11, first 2 shown]
	v_lshrrev_b32_e32 v172, 16, v159
	v_cndmask_b32_e64 v142, v142, v159, s7
	v_cndmask_b32_e64 v149, v149, v155, s26
	;; [unrolled: 1-line block ×12, first 2 shown]
	v_perm_b32 v138, v144, v143, 0x5040100
	v_perm_b32 v151, v151, v150, 0x5040100
	;; [unrolled: 1-line block ×5, first 2 shown]
	s_lshl_b32 s7, s33, 3
	s_mov_b32 s3, exec_lo
	ds_store_b128 v134, v[138:141]
	ds_store_b128 v134, v[148:151] offset:1024
	v_cmpx_gt_u32_e32 8, v0
	s_cbranch_execz .LBB45_14
; %bb.13:
	v_or_b32_e32 v138, s31, v0
	s_load_b128 s[8:11], s[0:1], 0x58
	s_delay_alu instid0(VALU_DEP_1) | instskip(NEXT) | instid1(VALU_DEP_1)
	v_mad_u64_u32 v[139:140], null, s7, s34, v[138:139]
	v_mad_u64_u32 v[140:141], null, v139, s35, s[14:15]
	s_delay_alu instid0(VALU_DEP_1) | instskip(NEXT) | instid1(VALU_DEP_1)
	v_ashrrev_i32_e32 v141, 31, v140
	v_lshlrev_b64 v[138:139], 2, v[140:141]
	s_waitcnt lgkmcnt(0)
	s_delay_alu instid0(VALU_DEP_1) | instskip(NEXT) | instid1(VALU_DEP_2)
	v_add_co_u32 v140, vcc_lo, s10, v138
	v_add_co_ci_u32_e32 v141, vcc_lo, s11, v139, vcc_lo
	v_add_co_u32 v138, vcc_lo, s8, v138
	v_add_co_ci_u32_e32 v139, vcc_lo, s9, v139, vcc_lo
	global_store_b32 v[140:141], v136, off
	global_store_b32 v[138:139], v137, off
.LBB45_14:
	s_or_b32 exec_lo, exec_lo, s3
	s_waitcnt lgkmcnt(0)
	s_waitcnt_vscnt null, 0x0
	s_barrier
	buffer_gl0_inv
	ds_load_b128 v[148:151], v133
	ds_load_b128 v[152:155], v133 offset:16
	ds_load_b128 v[160:163], v133 offset:1040
	;; [unrolled: 1-line block ×5, first 2 shown]
	v_cmp_eq_u32_e32 vcc_lo, 1, v132
	v_mov_b32_e32 v136, 0
	ds_load_b128 v[176:179], v133 offset:3088
	ds_load_b128 v[172:175], v133 offset:3072
	;; [unrolled: 1-line block ×4, first 2 shown]
	v_cmp_eq_u32_e64 s3, 1, v129
	v_cmp_eq_u32_e64 s4, 1, v131
	;; [unrolled: 1-line block ×3, first 2 shown]
	v_mov_b32_e32 v137, v136
	v_mov_b32_e32 v138, v136
	;; [unrolled: 1-line block ×7, first 2 shown]
	v_cmp_eq_u32_e64 s6, 2, v129
	s_waitcnt lgkmcnt(8)
	s_delay_alu instid0(VALU_DEP_2)
	v_wmma_f32_16x16x16_f16 v[136:143], v[121:128], v[148:155], v[136:143]
	ds_load_b128 v[125:128], v133 offset:5136
	ds_load_b128 v[121:124], v133 offset:5120
	s_waitcnt lgkmcnt(8)
	v_wmma_f32_16x16x16_f16 v[136:143], v[113:120], v[156:163], v[136:143]
	ds_load_b128 v[117:120], v133 offset:6160
	ds_load_b128 v[113:116], v133 offset:6144
	s_waitcnt lgkmcnt(8)
	;; [unrolled: 4-line block ×11, first 2 shown]
	s_barrier
	buffer_gl0_inv
	v_wmma_f32_16x16x16_f16 v[136:143], v[1:8], v[73:80], v[136:143]
	s_delay_alu instid0(VALU_DEP_1) | instskip(NEXT) | instid1(VALU_DEP_1)
	v_wmma_f32_16x16x16_f16 v[136:143], v[9:16], v[65:72], v[136:143]
	v_wmma_f32_16x16x16_f16 v[136:143], v[33:40], v[57:64], v[136:143]
	s_delay_alu instid0(VALU_DEP_1) | instskip(NEXT) | instid1(VALU_DEP_1)
	v_wmma_f32_16x16x16_f16 v[136:143], v[41:48], v[49:56], v[136:143]
	v_wmma_f32_16x16x16_f16 v[136:143], v[17:24], v[25:32], v[136:143]
	s_delay_alu instid0(VALU_DEP_1) | instskip(NEXT) | instid1(VALU_DEP_2)
	v_cvt_f16_f32_e64 v1, v136
	v_cvt_f16_f32_e64 v2, v137
	s_delay_alu instid0(VALU_DEP_3) | instskip(NEXT) | instid1(VALU_DEP_4)
	v_cvt_f16_f32_e64 v3, v138
	v_cvt_f16_f32_e64 v4, v139
	;; [unrolled: 1-line block ×6, first 2 shown]
	v_pack_b32_f16 v1, v1, v2
	v_pack_b32_f16 v2, v3, v4
	;; [unrolled: 1-line block ×3, first 2 shown]
	s_delay_alu instid0(VALU_DEP_4)
	v_pack_b32_f16 v4, v7, v8
	ds_store_b128 v134, v[1:4]
	s_waitcnt lgkmcnt(0)
	s_barrier
	buffer_gl0_inv
	ds_load_b128 v[1:4], v135
	ds_load_b128 v[5:8], v135 offset:16
	s_waitcnt lgkmcnt(1)
	v_lshrrev_b32_e32 v9, 16, v1
	s_waitcnt lgkmcnt(0)
	v_lshrrev_b32_e32 v13, 16, v5
	v_lshrrev_b32_e32 v10, 16, v2
	;; [unrolled: 1-line block ×4, first 2 shown]
	v_cndmask_b32_e64 v17, v1, v9, s3
	v_cndmask_b32_e64 v18, v5, v13, s3
	;; [unrolled: 1-line block ×3, first 2 shown]
	v_cmp_eq_u32_e64 s3, 2, v130
	v_cndmask_b32_e64 v20, v5, v13, s5
	v_cndmask_b32_e32 v21, v1, v9, vcc_lo
	v_cndmask_b32_e32 v22, v5, v13, vcc_lo
	v_cndmask_b32_e64 v1, v1, v9, s4
	v_cndmask_b32_e64 v5, v5, v13, s4
	v_cmp_eq_u32_e32 vcc_lo, 2, v132
	v_cmp_eq_u32_e64 s4, 2, v131
	v_cndmask_b32_e64 v9, v17, v2, s6
	v_cndmask_b32_e64 v13, v18, v6, s6
	;; [unrolled: 1-line block ×4, first 2 shown]
	v_cndmask_b32_e32 v19, v21, v2, vcc_lo
	v_cmp_eq_u32_e64 s3, 3, v132
	v_cndmask_b32_e32 v20, v22, v6, vcc_lo
	v_cndmask_b32_e64 v1, v1, v2, s4
	v_cmp_eq_u32_e32 vcc_lo, 3, v131
	v_cmp_eq_u32_e64 s5, 3, v129
	v_cndmask_b32_e64 v2, v5, v6, s4
	v_cmp_eq_u32_e64 s4, 3, v130
	v_cmp_eq_u32_e64 s6, 4, v129
	v_cndmask_b32_e32 v1, v1, v10, vcc_lo
	v_cndmask_b32_e64 v5, v9, v10, s5
	v_cndmask_b32_e64 v6, v13, v14, s5
	;; [unrolled: 1-line block ×3, first 2 shown]
	v_cmp_eq_u32_e64 s5, 4, v130
	v_cndmask_b32_e64 v13, v18, v14, s4
	v_cndmask_b32_e64 v17, v19, v10, s3
	v_cndmask_b32_e64 v18, v20, v14, s3
	v_cndmask_b32_e32 v2, v2, v14, vcc_lo
	v_cmp_eq_u32_e32 vcc_lo, 4, v132
	v_cmp_eq_u32_e64 s4, 4, v131
	v_lshrrev_b32_e32 v15, 16, v7
	v_cndmask_b32_e64 v5, v5, v3, s6
	v_cndmask_b32_e64 v6, v6, v7, s6
	v_cndmask_b32_e32 v14, v18, v7, vcc_lo
	v_cndmask_b32_e64 v9, v9, v3, s5
	v_cndmask_b32_e64 v10, v13, v7, s5
	v_cndmask_b32_e32 v13, v17, v3, vcc_lo
	v_cmp_eq_u32_e64 s3, 5, v132
	v_cndmask_b32_e64 v1, v1, v3, s4
	v_cmp_eq_u32_e32 vcc_lo, 5, v131
	v_cmp_eq_u32_e64 s5, 5, v129
	v_cndmask_b32_e64 v2, v2, v7, s4
	v_cmp_eq_u32_e64 s4, 5, v130
	v_cmp_eq_u32_e64 s6, 6, v129
	v_lshrrev_b32_e32 v12, 16, v4
	v_cndmask_b32_e64 v3, v5, v11, s5
	v_cndmask_b32_e64 v5, v6, v15, s5
	;; [unrolled: 1-line block ×3, first 2 shown]
	v_cmp_eq_u32_e64 s5, 6, v130
	v_cndmask_b32_e64 v7, v10, v15, s4
	v_cndmask_b32_e64 v9, v13, v11, s3
	;; [unrolled: 1-line block ×3, first 2 shown]
	v_cndmask_b32_e32 v1, v1, v11, vcc_lo
	v_cndmask_b32_e32 v2, v2, v15, vcc_lo
	v_cmp_eq_u32_e32 vcc_lo, 6, v132
	v_cmp_eq_u32_e64 s3, 6, v131
	v_lshrrev_b32_e32 v16, 16, v8
	v_cndmask_b32_e64 v3, v3, v4, s6
	v_cndmask_b32_e64 v5, v5, v8, s6
	v_cndmask_b32_e32 v9, v9, v4, vcc_lo
	v_cndmask_b32_e64 v6, v6, v4, s5
	v_cndmask_b32_e64 v7, v7, v8, s5
	v_cmp_eq_u32_e64 s4, 7, v132
	v_cndmask_b32_e32 v10, v10, v8, vcc_lo
	v_cndmask_b32_e64 v1, v1, v4, s3
	v_cmp_eq_u32_e32 vcc_lo, 7, v131
	v_cndmask_b32_e64 v2, v2, v8, s3
	v_cmp_eq_u32_e64 s3, 7, v129
	v_cmp_eq_u32_e64 s5, 7, v130
	v_cndmask_b32_e32 v1, v1, v12, vcc_lo
	s_delay_alu instid0(VALU_DEP_4) | instskip(NEXT) | instid1(VALU_DEP_4)
	v_cndmask_b32_e32 v2, v2, v16, vcc_lo
	v_cndmask_b32_e64 v8, v3, v12, s3
	s_delay_alu instid0(VALU_DEP_4)
	v_cndmask_b32_e64 v6, v6, v12, s5
	v_cndmask_b32_e64 v3, v9, v12, s4
	;; [unrolled: 1-line block ×5, first 2 shown]
	v_cmp_gt_u32_e32 vcc_lo, 32, v0
	v_perm_b32 v4, v2, v1, 0x5040100
	v_perm_b32 v3, v9, v3, 0x5040100
	;; [unrolled: 1-line block ×4, first 2 shown]
	s_and_b32 s2, vcc_lo, s2
	ds_store_b128 v134, v[1:4]
	s_waitcnt lgkmcnt(0)
	s_barrier
	buffer_gl0_inv
	s_and_saveexec_b32 s3, s2
	s_cbranch_execz .LBB45_2
; %bb.15:
	s_load_b64 s[0:1], s[0:1], 0x68
	s_lshl_b32 s4, s35, 6
	v_or_b32_e32 v2, s31, v147
	s_mul_i32 s2, s4, s34
	v_lshlrev_b32_e32 v1, 10, v0
	s_mul_i32 s2, s2, s7
	v_lshlrev_b32_e32 v3, 4, v146
	v_mul_lo_u32 v0, v2, s4
	s_ashr_i32 s3, s2, 31
	v_lshlrev_b32_e32 v4, 6, v147
	v_and_b32_e32 v1, 0x3800, v1
	v_or_b32_e32 v5, 2, v2
	s_lshl_b64 s[2:3], s[2:3], 1
	v_or_b32_e32 v6, 4, v2
	v_or_b32_e32 v7, 6, v2
	v_or3_b32 v12, v1, v3, v4
	v_ashrrev_i32_e32 v1, 31, v0
	v_mul_lo_u32 v2, v5, s4
	v_mul_lo_u32 v16, v6, s4
	;; [unrolled: 1-line block ×3, first 2 shown]
	s_waitcnt lgkmcnt(0)
	s_add_u32 s2, s0, s2
	s_addc_u32 s3, s1, s3
	s_lshl_b32 s0, s14, 6
	v_lshlrev_b64 v[0:1], 1, v[0:1]
	s_ashr_i32 s1, s0, 31
	v_ashrrev_i32_e32 v3, 31, v2
	s_lshl_b64 s[0:1], s[0:1], 1
	v_ashrrev_i32_e32 v17, 31, v16
	s_add_u32 s0, s2, s0
	s_addc_u32 s1, s3, s1
	v_add_co_u32 v24, s0, s0, v145
	s_delay_alu instid0(VALU_DEP_1) | instskip(SKIP_1) | instid1(VALU_DEP_3)
	v_add_co_ci_u32_e64 v25, null, s1, 0, s0
	v_lshlrev_b64 v[22:23], 1, v[2:3]
	v_add_co_u32 v18, vcc_lo, v24, v0
	s_delay_alu instid0(VALU_DEP_3)
	v_add_co_ci_u32_e32 v19, vcc_lo, v25, v1, vcc_lo
	ds_load_b128 v[0:3], v12
	ds_load_b128 v[4:7], v12 offset:128
	ds_load_b128 v[8:11], v12 offset:256
	;; [unrolled: 1-line block ×3, first 2 shown]
	v_ashrrev_i32_e32 v21, 31, v20
	v_lshlrev_b64 v[16:17], 1, v[16:17]
	v_add_co_u32 v22, vcc_lo, v24, v22
	v_add_co_ci_u32_e32 v23, vcc_lo, v25, v23, vcc_lo
	s_delay_alu instid0(VALU_DEP_4) | instskip(NEXT) | instid1(VALU_DEP_4)
	v_lshlrev_b64 v[20:21], 1, v[20:21]
	v_add_co_u32 v16, vcc_lo, v24, v16
	v_add_co_ci_u32_e32 v17, vcc_lo, v25, v17, vcc_lo
	s_delay_alu instid0(VALU_DEP_3) | instskip(NEXT) | instid1(VALU_DEP_4)
	v_add_co_u32 v20, vcc_lo, v24, v20
	v_add_co_ci_u32_e32 v21, vcc_lo, v25, v21, vcc_lo
	s_waitcnt lgkmcnt(3)
	global_store_b128 v[18:19], v[0:3], off
	s_waitcnt lgkmcnt(2)
	global_store_b128 v[22:23], v[4:7], off
	;; [unrolled: 2-line block ×4, first 2 shown]
	s_nop 0
	s_sendmsg sendmsg(MSG_DEALLOC_VGPRS)
	s_endpgm
	.section	.rodata,"a",@progbits
	.p2align	6, 0x0
	.amdhsa_kernel _Z39paged_attention_ll4mi_QKV_mfma16_kernelIDF16_DF16_LN4vllm18Fp8KVCacheDataTypeE0EhLi16ELi64ELi256ELb0ELi8EL8MFMAType0EEvPKT_PKT0_S8_ifPKiSA_SA_iPKfiiiPfSD_PS3_PT2_iSC_SC_
		.amdhsa_group_segment_fixed_size 17472
		.amdhsa_private_segment_fixed_size 0
		.amdhsa_kernarg_size 400
		.amdhsa_user_sgpr_count 13
		.amdhsa_user_sgpr_dispatch_ptr 0
		.amdhsa_user_sgpr_queue_ptr 0
		.amdhsa_user_sgpr_kernarg_segment_ptr 1
		.amdhsa_user_sgpr_dispatch_id 0
		.amdhsa_user_sgpr_private_segment_size 0
		.amdhsa_wavefront_size32 1
		.amdhsa_uses_dynamic_stack 0
		.amdhsa_enable_private_segment 0
		.amdhsa_system_sgpr_workgroup_id_x 1
		.amdhsa_system_sgpr_workgroup_id_y 1
		.amdhsa_system_sgpr_workgroup_id_z 1
		.amdhsa_system_sgpr_workgroup_info 0
		.amdhsa_system_vgpr_workitem_id 0
		.amdhsa_next_free_vgpr 198
		.amdhsa_next_free_sgpr 52
		.amdhsa_reserve_vcc 1
		.amdhsa_float_round_mode_32 0
		.amdhsa_float_round_mode_16_64 0
		.amdhsa_float_denorm_mode_32 3
		.amdhsa_float_denorm_mode_16_64 3
		.amdhsa_dx10_clamp 1
		.amdhsa_ieee_mode 1
		.amdhsa_fp16_overflow 0
		.amdhsa_workgroup_processor_mode 1
		.amdhsa_memory_ordered 1
		.amdhsa_forward_progress 0
		.amdhsa_shared_vgpr_count 0
		.amdhsa_exception_fp_ieee_invalid_op 0
		.amdhsa_exception_fp_denorm_src 0
		.amdhsa_exception_fp_ieee_div_zero 0
		.amdhsa_exception_fp_ieee_overflow 0
		.amdhsa_exception_fp_ieee_underflow 0
		.amdhsa_exception_fp_ieee_inexact 0
		.amdhsa_exception_int_div_zero 0
	.end_amdhsa_kernel
	.section	.text._Z39paged_attention_ll4mi_QKV_mfma16_kernelIDF16_DF16_LN4vllm18Fp8KVCacheDataTypeE0EhLi16ELi64ELi256ELb0ELi8EL8MFMAType0EEvPKT_PKT0_S8_ifPKiSA_SA_iPKfiiiPfSD_PS3_PT2_iSC_SC_,"axG",@progbits,_Z39paged_attention_ll4mi_QKV_mfma16_kernelIDF16_DF16_LN4vllm18Fp8KVCacheDataTypeE0EhLi16ELi64ELi256ELb0ELi8EL8MFMAType0EEvPKT_PKT0_S8_ifPKiSA_SA_iPKfiiiPfSD_PS3_PT2_iSC_SC_,comdat
.Lfunc_end45:
	.size	_Z39paged_attention_ll4mi_QKV_mfma16_kernelIDF16_DF16_LN4vllm18Fp8KVCacheDataTypeE0EhLi16ELi64ELi256ELb0ELi8EL8MFMAType0EEvPKT_PKT0_S8_ifPKiSA_SA_iPKfiiiPfSD_PS3_PT2_iSC_SC_, .Lfunc_end45-_Z39paged_attention_ll4mi_QKV_mfma16_kernelIDF16_DF16_LN4vllm18Fp8KVCacheDataTypeE0EhLi16ELi64ELi256ELb0ELi8EL8MFMAType0EEvPKT_PKT0_S8_ifPKiSA_SA_iPKfiiiPfSD_PS3_PT2_iSC_SC_
                                        ; -- End function
	.section	.AMDGPU.csdata,"",@progbits
; Kernel info:
; codeLenInByte = 7812
; NumSgprs: 54
; NumVgprs: 198
; ScratchSize: 0
; MemoryBound: 0
; FloatMode: 240
; IeeeMode: 1
; LDSByteSize: 17472 bytes/workgroup (compile time only)
; SGPRBlocks: 6
; VGPRBlocks: 24
; NumSGPRsForWavesPerEU: 54
; NumVGPRsForWavesPerEU: 198
; Occupancy: 7
; WaveLimiterHint : 1
; COMPUTE_PGM_RSRC2:SCRATCH_EN: 0
; COMPUTE_PGM_RSRC2:USER_SGPR: 13
; COMPUTE_PGM_RSRC2:TRAP_HANDLER: 0
; COMPUTE_PGM_RSRC2:TGID_X_EN: 1
; COMPUTE_PGM_RSRC2:TGID_Y_EN: 1
; COMPUTE_PGM_RSRC2:TGID_Z_EN: 1
; COMPUTE_PGM_RSRC2:TIDIG_COMP_CNT: 0
	.section	.text._Z39paged_attention_ll4mi_QKV_mfma16_kernelIDF16_DF16_LN4vllm18Fp8KVCacheDataTypeE0EhLi16ELi64ELi256ELb0ELi9EL8MFMAType0EEvPKT_PKT0_S8_ifPKiSA_SA_iPKfiiiPfSD_PS3_PT2_iSC_SC_,"axG",@progbits,_Z39paged_attention_ll4mi_QKV_mfma16_kernelIDF16_DF16_LN4vllm18Fp8KVCacheDataTypeE0EhLi16ELi64ELi256ELb0ELi9EL8MFMAType0EEvPKT_PKT0_S8_ifPKiSA_SA_iPKfiiiPfSD_PS3_PT2_iSC_SC_,comdat
	.protected	_Z39paged_attention_ll4mi_QKV_mfma16_kernelIDF16_DF16_LN4vllm18Fp8KVCacheDataTypeE0EhLi16ELi64ELi256ELb0ELi9EL8MFMAType0EEvPKT_PKT0_S8_ifPKiSA_SA_iPKfiiiPfSD_PS3_PT2_iSC_SC_ ; -- Begin function _Z39paged_attention_ll4mi_QKV_mfma16_kernelIDF16_DF16_LN4vllm18Fp8KVCacheDataTypeE0EhLi16ELi64ELi256ELb0ELi9EL8MFMAType0EEvPKT_PKT0_S8_ifPKiSA_SA_iPKfiiiPfSD_PS3_PT2_iSC_SC_
	.globl	_Z39paged_attention_ll4mi_QKV_mfma16_kernelIDF16_DF16_LN4vllm18Fp8KVCacheDataTypeE0EhLi16ELi64ELi256ELb0ELi9EL8MFMAType0EEvPKT_PKT0_S8_ifPKiSA_SA_iPKfiiiPfSD_PS3_PT2_iSC_SC_
	.p2align	8
	.type	_Z39paged_attention_ll4mi_QKV_mfma16_kernelIDF16_DF16_LN4vllm18Fp8KVCacheDataTypeE0EhLi16ELi64ELi256ELb0ELi9EL8MFMAType0EEvPKT_PKT0_S8_ifPKiSA_SA_iPKfiiiPfSD_PS3_PT2_iSC_SC_,@function
_Z39paged_attention_ll4mi_QKV_mfma16_kernelIDF16_DF16_LN4vllm18Fp8KVCacheDataTypeE0EhLi16ELi64ELi256ELb0ELi9EL8MFMAType0EEvPKT_PKT0_S8_ifPKiSA_SA_iPKfiiiPfSD_PS3_PT2_iSC_SC_: ; @_Z39paged_attention_ll4mi_QKV_mfma16_kernelIDF16_DF16_LN4vllm18Fp8KVCacheDataTypeE0EhLi16ELi64ELi256ELb0ELi9EL8MFMAType0EEvPKT_PKT0_S8_ifPKiSA_SA_iPKfiiiPfSD_PS3_PT2_iSC_SC_
; %bb.0:
	s_load_b64 s[2:3], s[0:1], 0x30
	s_mov_b32 s34, s13
	s_waitcnt lgkmcnt(0)
	s_cmp_lg_u64 s[2:3], 0
	s_cselect_b32 s6, -1, 0
	s_ashr_i32 s35, s13, 31
	s_cmp_eq_u64 s[2:3], 0
	s_cbranch_scc1 .LBB46_3
; %bb.1:
	s_lshl_b64 s[4:5], s[34:35], 2
	s_delay_alu instid0(SALU_CYCLE_1) | instskip(SKIP_4) | instid1(SALU_CYCLE_1)
	s_add_u32 s4, s2, s4
	s_addc_u32 s5, s3, s5
	s_load_b64 s[4:5], s[4:5], 0x0
	s_waitcnt lgkmcnt(0)
	s_sub_i32 s4, s5, s4
	s_cmp_eq_u32 s4, 1
	s_cselect_b32 s4, -1, 0
	s_delay_alu instid0(SALU_CYCLE_1)
	s_and_not1_b32 vcc_lo, exec_lo, s4
	s_cbranch_vccz .LBB46_4
.LBB46_2:
	s_nop 0
	s_sendmsg sendmsg(MSG_DEALLOC_VGPRS)
	s_endpgm
.LBB46_3:
.LBB46_4:
	s_load_b64 s[8:9], s[0:1], 0x28
	s_lshl_b64 s[4:5], s[34:35], 2
	s_waitcnt lgkmcnt(0)
	s_add_u32 s8, s8, s4
	s_addc_u32 s9, s9, s5
	s_lshl_b32 s31, s14, 8
	s_load_b32 s30, s[8:9], 0x0
	s_waitcnt lgkmcnt(0)
	s_cmp_ge_i32 s31, s30
	s_cbranch_scc1 .LBB46_2
; %bb.5:
	s_clause 0x1
	s_load_b128 s[8:11], s[0:1], 0x8
	s_load_b64 s[12:13], s[0:1], 0x20
	s_and_not1_b32 vcc_lo, exec_lo, s6
	s_cbranch_vccnz .LBB46_7
; %bb.6:
	s_add_u32 s2, s2, s4
	s_addc_u32 s3, s3, s5
	s_load_b32 s3, s[2:3], 0x0
	s_branch .LBB46_8
.LBB46_7:
	s_mov_b32 s3, s34
.LBB46_8:
	s_load_b128 s[4:7], s[0:1], 0x48
	v_lshrrev_b32_e32 v149, 5, v0
	v_bfe_u32 v146, v0, 4, 1
	v_and_b32_e32 v148, 15, v0
	v_and_b32_e32 v150, 31, v0
	;; [unrolled: 1-line block ×3, first 2 shown]
	s_mul_i32 s33, s15, 9
	v_lshl_or_b32 v1, v149, 1, v146
	v_lshlrev_b32_e32 v2, 3, v148
	v_cmp_gt_u32_e64 s2, 8, v148
	s_delay_alu instid0(VALU_DEP_3) | instskip(NEXT) | instid1(VALU_DEP_3)
	v_cmp_gt_u32_e32 vcc_lo, 9, v1
	v_lshlrev_b32_e32 v145, 1, v2
	s_delay_alu instid0(VALU_DEP_3)
	s_and_b32 s16, s2, vcc_lo
	s_waitcnt lgkmcnt(0)
	s_and_saveexec_b32 s7, s16
	s_cbranch_execz .LBB46_10
; %bb.9:
	s_load_b64 s[16:17], s[0:1], 0x0
	v_add_lshl_u32 v2, v1, s33, 6
	s_mul_hi_i32 s19, s3, s4
	s_mul_i32 s18, s3, s4
	v_lshlrev_b32_e32 v6, 10, v148
	s_lshl_b64 s[18:19], s[18:19], 1
	v_ashrrev_i32_e32 v3, 31, v2
	v_lshlrev_b32_e32 v1, 6, v1
	v_lshlrev_b32_e32 v7, 10, v147
	v_and_b32_e32 v6, 0x3800, v6
	s_delay_alu instid0(VALU_DEP_4) | instskip(NEXT) | instid1(VALU_DEP_2)
	v_lshlrev_b64 v[2:3], 1, v[2:3]
	v_or3_b32 v1, v6, v7, v1
	s_waitcnt lgkmcnt(0)
	s_add_u32 s3, s16, s18
	s_addc_u32 s4, s17, s19
	s_delay_alu instid0(VALU_DEP_2) | instskip(SKIP_1) | instid1(VALU_DEP_2)
	v_add_co_u32 v2, vcc_lo, s3, v2
	v_add_co_ci_u32_e32 v3, vcc_lo, s4, v3, vcc_lo
	v_add_co_u32 v2, vcc_lo, v2, v145
	s_delay_alu instid0(VALU_DEP_2)
	v_add_co_ci_u32_e32 v3, vcc_lo, 0, v3, vcc_lo
	global_load_b128 v[2:5], v[2:3], off
	s_waitcnt vmcnt(0)
	ds_store_b128 v1, v[2:5]
.LBB46_10:
	s_or_b32 exec_lo, exec_lo, s7
	s_mov_b32 s40, 0
	s_add_i32 s3, s30, 15
	s_mov_b32 s41, s40
	s_mov_b32 s42, s40
	;; [unrolled: 1-line block ×7, first 2 shown]
	s_delay_alu instid0(SALU_CYCLE_1)
	v_dual_mov_b32 v144, s47 :: v_dual_and_b32 v1, 0xef, v0
	v_mov_b32_e32 v142, s45
	s_ashr_i32 s7, s3, 31
	s_clause 0x1
	s_load_b32 s4, s[0:1], 0x38
	s_load_b32 s35, s[0:1], 0x98
	v_add_nc_u32_e32 v1, s31, v1
	s_lshr_b32 s7, s7, 28
	s_load_b32 s36, s[0:1], 0x1c
	s_add_i32 s3, s3, s7
	s_waitcnt lgkmcnt(0)
	v_ashrrev_i32_e32 v2, 31, v1
	v_or_b32_e32 v3, 16, v1
	s_ashr_i32 s3, s3, 4
	v_cmp_gt_i32_e32 vcc_lo, s30, v1
	s_add_i32 s3, s3, -1
	v_lshrrev_b32_e32 v2, 28, v2
	v_mov_b32_e32 v143, s46
	s_barrier
	buffer_gl0_inv
	s_mul_i32 s6, s15, s6
	v_dual_mov_b32 v141, s44 :: v_dual_add_nc_u32 v4, v1, v2
	v_mov_b32_e32 v139, s42
	s_mul_i32 s16, s34, s4
	v_mov_b32_e32 v137, s40
	s_delay_alu instid0(VALU_DEP_3)
	v_ashrrev_i32_e32 v4, 4, v4
	v_add_nc_u32_e32 v2, v3, v2
	s_ashr_i32 s17, s16, 31
	v_mov_b32_e32 v140, s43
	s_lshl_b64 s[16:17], s[16:17], 2
	v_cndmask_b32_e32 v1, s3, v4, vcc_lo
	v_ashrrev_i32_e32 v2, 4, v2
	v_cmp_gt_i32_e32 vcc_lo, s30, v3
	s_add_u32 s4, s12, s16
	s_addc_u32 s37, s13, s17
	s_ashr_i32 s7, s6, 31
	v_mov_b32_e32 v138, s41
	v_cndmask_b32_e32 v3, s3, v2, vcc_lo
	v_ashrrev_i32_e32 v2, 31, v1
	s_lshl_b64 s[6:7], s[6:7], 1
	s_delay_alu instid0(SALU_CYCLE_1) | instskip(NEXT) | instid1(VALU_DEP_2)
	s_add_u32 s24, s8, s6
	v_ashrrev_i32_e32 v4, 31, v3
	s_delay_alu instid0(VALU_DEP_2) | instskip(SKIP_2) | instid1(VALU_DEP_2)
	v_lshlrev_b64 v[1:2], 2, v[1:2]
	s_addc_u32 s25, s9, s7
	s_lshl_b32 s8, s14, 4
	v_lshlrev_b64 v[3:4], 2, v[3:4]
	s_ashr_i32 s9, s8, 31
	s_delay_alu instid0(VALU_DEP_2) | instskip(SKIP_1) | instid1(VALU_DEP_3)
	v_add_co_u32 v1, vcc_lo, s4, v1
	v_add_co_ci_u32_e32 v2, vcc_lo, s37, v2, vcc_lo
	v_add_co_u32 v3, vcc_lo, s4, v3
	s_delay_alu instid0(VALU_DEP_4)
	v_add_co_ci_u32_e32 v4, vcc_lo, s37, v4, vcc_lo
	s_clause 0x1
	global_load_b32 v5, v[1:2], off
	global_load_b32 v6, v[3:4], off
	s_lshl_b64 s[8:9], s[8:9], 2
	v_lshlrev_b32_e32 v3, 4, v0
	s_add_u32 s8, s4, s8
	s_addc_u32 s9, s37, s9
	s_or_b32 s12, s31, 16
	s_delay_alu instid0(SALU_CYCLE_1) | instskip(SKIP_2) | instid1(SALU_CYCLE_1)
	s_ashr_i32 s13, s12, 4
	s_cmp_lt_i32 s12, s30
	s_cselect_b32 s12, s13, s3
	s_ashr_i32 s13, s12, 31
	s_delay_alu instid0(SALU_CYCLE_1) | instskip(NEXT) | instid1(SALU_CYCLE_1)
	s_lshl_b64 s[12:13], s[12:13], 2
	s_add_u32 s12, s4, s12
	s_addc_u32 s13, s37, s13
	s_or_b32 s15, s31, 32
	s_delay_alu instid0(SALU_CYCLE_1) | instskip(SKIP_2) | instid1(SALU_CYCLE_1)
	s_ashr_i32 s16, s15, 4
	s_cmp_lt_i32 s15, s30
	s_cselect_b32 s16, s16, s3
	s_ashr_i32 s17, s16, 31
	s_delay_alu instid0(SALU_CYCLE_1) | instskip(NEXT) | instid1(SALU_CYCLE_1)
	s_lshl_b64 s[16:17], s[16:17], 2
	;; [unrolled: 10-line block ×5, first 2 shown]
	s_add_u32 s22, s4, s22
	s_addc_u32 s23, s37, s23
	s_clause 0x5
	s_load_b32 s8, s[8:9], 0x0
	s_load_b32 s12, s[12:13], 0x0
	;; [unrolled: 1-line block ×6, first 2 shown]
	s_waitcnt lgkmcnt(0)
	s_mul_hi_i32 s17, s16, s5
	s_mul_i32 s16, s16, s5
	s_waitcnt vmcnt(1)
	v_mad_i64_i32 v[1:2], null, v5, s5, 0
	v_and_b32_e32 v5, 0xf0, v3
	s_waitcnt vmcnt(0)
	v_mad_i64_i32 v[3:4], null, v6, s5, 0
	s_delay_alu instid0(VALU_DEP_2) | instskip(NEXT) | instid1(VALU_DEP_4)
	v_add_co_u32 v7, s9, s24, v5
	v_lshlrev_b64 v[1:2], 1, v[1:2]
	v_add_co_ci_u32_e64 v8, null, s25, 0, s9
	s_delay_alu instid0(VALU_DEP_4) | instskip(SKIP_1) | instid1(VALU_DEP_3)
	v_lshlrev_b64 v[5:6], 1, v[3:4]
	s_or_b32 s9, s31, 0x60
	v_add_co_u32 v3, vcc_lo, v7, v1
	s_delay_alu instid0(VALU_DEP_3) | instskip(NEXT) | instid1(VALU_DEP_3)
	v_add_co_ci_u32_e32 v4, vcc_lo, v8, v2, vcc_lo
	v_add_co_u32 v1, vcc_lo, v7, v5
	s_delay_alu instid0(VALU_DEP_4)
	v_add_co_ci_u32_e32 v2, vcc_lo, v8, v6, vcc_lo
	s_clause 0x9
	global_load_b128 v[9:12], v[3:4], off
	global_load_b128 v[13:16], v[3:4], off offset:256
	global_load_b128 v[129:132], v[1:2], off
	global_load_b128 v[133:136], v[1:2], off offset:256
	global_load_b128 v[41:44], v[3:4], off offset:512
	global_load_b128 v[45:48], v[3:4], off offset:768
	global_load_b128 v[33:36], v[1:2], off offset:512
	global_load_b128 v[37:40], v[1:2], off offset:768
	global_load_b128 v[17:20], v[3:4], off offset:1024
	global_load_b128 v[21:24], v[3:4], off offset:1280
	v_add_nc_u32_e32 v5, -9, v148
	v_cmp_gt_u32_e32 vcc_lo, 9, v148
	s_clause 0x1
	global_load_b128 v[151:154], v[1:2], off offset:1024
	global_load_b128 v[155:158], v[1:2], off offset:1280
	s_ashr_i32 s13, s9, 4
	s_cmp_lt_i32 s9, s30
	v_lshlrev_b32_e32 v6, 5, v148
	v_cndmask_b32_e32 v5, v5, v148, vcc_lo
	s_cselect_b32 s22, s13, s3
	s_delay_alu instid0(SALU_CYCLE_1) | instskip(NEXT) | instid1(VALU_DEP_2)
	s_ashr_i32 s23, s22, 31
	v_lshl_or_b32 v6, v149, 9, v6
	s_delay_alu instid0(VALU_DEP_2)
	v_lshlrev_b32_e32 v197, 6, v5
	ds_load_b128 v[159:162], v197
	ds_load_b128 v[163:166], v197 offset:1024
	s_clause 0x3
	global_load_b128 v[167:170], v[3:4], off offset:1536
	global_load_b128 v[171:174], v[3:4], off offset:1792
	;; [unrolled: 1-line block ×4, first 2 shown]
	s_lshl_b64 s[22:23], s[22:23], 2
	s_delay_alu instid0(SALU_CYCLE_1)
	s_add_u32 s22, s4, s22
	s_addc_u32 s23, s37, s23
	s_or_b32 s9, s31, 0x70
	s_load_b32 s46, s[22:23], 0x0
	s_ashr_i32 s13, s9, 4
	s_cmp_lt_i32 s9, s30
	s_cselect_b32 s24, s13, s3
	s_delay_alu instid0(SALU_CYCLE_1) | instskip(NEXT) | instid1(SALU_CYCLE_1)
	s_ashr_i32 s25, s24, 31
	s_lshl_b64 s[24:25], s[24:25], 2
	s_delay_alu instid0(SALU_CYCLE_1)
	s_add_u32 s24, s4, s24
	s_addc_u32 s25, s37, s25
	s_or_b32 s9, s31, 0x80
	s_load_b32 s47, s[24:25], 0x0
	s_ashr_i32 s13, s9, 4
	s_cmp_lt_i32 s9, s30
	s_cselect_b32 s26, s13, s3
	s_delay_alu instid0(SALU_CYCLE_1) | instskip(NEXT) | instid1(SALU_CYCLE_1)
	s_ashr_i32 s27, s26, 31
	s_lshl_b64 s[26:27], s[26:27], 2
	s_delay_alu instid0(SALU_CYCLE_1)
	s_add_u32 s26, s4, s26
	s_addc_u32 s27, s37, s27
	s_or_b32 s9, s31, 0x90
	s_load_b32 s48, s[26:27], 0x0
	s_ashr_i32 s13, s9, 4
	s_cmp_lt_i32 s9, s30
	s_cselect_b32 s28, s13, s3
	s_delay_alu instid0(SALU_CYCLE_1) | instskip(NEXT) | instid1(SALU_CYCLE_1)
	s_ashr_i32 s29, s28, 31
	s_lshl_b64 s[28:29], s[28:29], 2
	s_delay_alu instid0(SALU_CYCLE_1) | instskip(SKIP_2) | instid1(SALU_CYCLE_1)
	s_add_u32 s28, s4, s28
	s_addc_u32 s29, s37, s29
	s_or_b32 s9, s31, 0xa0
	s_ashr_i32 s13, s9, 4
	s_cmp_lt_i32 s9, s30
	s_cselect_b32 s38, s13, s3
	s_delay_alu instid0(SALU_CYCLE_1) | instskip(NEXT) | instid1(SALU_CYCLE_1)
	s_ashr_i32 s39, s38, 31
	s_lshl_b64 s[38:39], s[38:39], 2
	s_delay_alu instid0(SALU_CYCLE_1) | instskip(SKIP_2) | instid1(SALU_CYCLE_1)
	s_add_u32 s38, s4, s38
	s_addc_u32 s39, s37, s39
	s_or_b32 s9, s31, 0xb0
	s_ashr_i32 s13, s9, 4
	s_cmp_lt_i32 s9, s30
	s_mul_hi_i32 s9, s8, s5
	s_cselect_b32 s40, s13, s3
	s_mul_i32 s8, s8, s5
	s_ashr_i32 s41, s40, 31
	s_mul_hi_i32 s13, s12, s5
	s_lshl_b64 s[40:41], s[40:41], 2
	s_mul_i32 s12, s12, s5
	s_add_u32 s42, s4, s40
	s_addc_u32 s43, s37, s41
	s_or_b32 s19, s31, 0xc0
	s_delay_alu instid0(SALU_CYCLE_1)
	s_ashr_i32 s21, s19, 4
	s_cmp_lt_i32 s19, s30
	s_mul_hi_i32 s19, s18, s5
	s_cselect_b32 s40, s21, s3
	s_mul_i32 s18, s18, s5
	s_ashr_i32 s41, s40, 31
	s_mul_hi_i32 s21, s20, s5
	s_lshl_b64 s[40:41], s[40:41], 2
	s_mul_i32 s20, s20, s5
	s_add_u32 s44, s4, s40
	s_addc_u32 s45, s37, s41
	s_load_b32 s41, s[28:29], 0x0
	s_or_b32 s40, s31, 0xd0
	s_mul_hi_i32 s23, s15, s5
	s_ashr_i32 s22, s40, 4
	s_cmp_lt_i32 s40, s30
	s_load_b32 s40, s[38:39], 0x0
	s_cselect_b32 s24, s22, s3
	s_mul_i32 s22, s15, s5
	s_ashr_i32 s25, s24, 31
	s_waitcnt lgkmcnt(0)
	s_mul_hi_i32 s29, s48, s5
	s_lshl_b64 s[24:25], s[24:25], 2
	s_mul_i32 s28, s48, s5
	s_add_u32 s24, s4, s24
	s_addc_u32 s25, s37, s25
	s_or_b32 s49, s31, 0xe0
	s_clause 0x2
	s_load_b32 s39, s[42:43], 0x0
	s_load_b32 s38, s[44:45], 0x0
	;; [unrolled: 1-line block ×3, first 2 shown]
	s_ashr_i32 s50, s49, 4
	s_cmp_lt_i32 s49, s30
	s_mul_hi_i32 s25, s46, s5
	s_cselect_b32 s44, s50, s3
	s_mul_i32 s24, s46, s5
	s_ashr_i32 s45, s44, 31
	s_mul_hi_i32 s27, s47, s5
	s_lshl_b64 s[44:45], s[44:45], 2
	s_mul_i32 s26, s47, s5
	s_add_u32 s44, s4, s44
	s_addc_u32 s45, s37, s45
	s_or_b32 s46, s31, 0xf0
	s_mul_hi_i32 s43, s41, s5
	s_ashr_i32 s48, s46, 4
	s_cmp_lt_i32 s46, s30
	s_mul_i32 s42, s41, s5
	s_cselect_b32 s48, s48, s3
	s_mul_hi_i32 s41, s40, s5
	s_ashr_i32 s49, s48, 31
	s_mul_i32 s40, s40, s5
	s_lshl_b64 s[48:49], s[48:49], 2
	s_waitcnt lgkmcnt(0)
	s_mul_hi_i32 s47, s39, s5
	s_add_u32 s48, s4, s48
	s_addc_u32 s49, s37, s49
	s_add_u32 s3, s10, s6
	s_addc_u32 s4, s11, s7
	v_add_co_u32 v195, s3, s3, v6
	s_delay_alu instid0(VALU_DEP_1) | instskip(SKIP_2) | instid1(VALU_DEP_2)
	v_add_co_ci_u32_e64 v196, null, s4, 0, s3
	s_lshl_b64 s[6:7], s[8:9], 1
	s_lshl_b64 s[8:9], s[12:13], 1
	v_add_co_u32 v1, vcc_lo, v195, s6
	s_delay_alu instid0(VALU_DEP_2)
	v_add_co_ci_u32_e32 v2, vcc_lo, s7, v196, vcc_lo
	v_add_co_u32 v3, vcc_lo, v195, s8
	s_lshl_b64 s[10:11], s[16:17], 1
	v_add_co_ci_u32_e32 v4, vcc_lo, s9, v196, vcc_lo
	v_add_co_u32 v5, vcc_lo, v195, s10
	s_lshl_b64 s[12:13], s[18:19], 1
	;; [unrolled: 3-line block ×9, first 2 shown]
	s_mul_i32 s46, s39, s5
	v_add_co_ci_u32_e32 v54, vcc_lo, s27, v196, vcc_lo
	v_add_co_u32 v183, vcc_lo, v195, s28
	s_lshl_b64 s[40:41], s[46:47], 1
	s_mul_hi_i32 s39, s38, s5
	s_mul_i32 s38, s38, s5
	v_add_co_ci_u32_e32 v184, vcc_lo, s29, v196, vcc_lo
	v_add_co_u32 v185, vcc_lo, v195, s40
	s_lshl_b64 s[38:39], s[38:39], 1
	s_clause 0x1
	s_load_b32 s3, s[44:45], 0x0
	s_load_b32 s4, s[48:49], 0x0
	v_add_co_ci_u32_e32 v186, vcc_lo, s41, v196, vcc_lo
	v_add_co_u32 v191, vcc_lo, v195, s38
	v_add_co_ci_u32_e32 v192, vcc_lo, s39, v196, vcc_lo
	s_clause 0x17
	global_load_b128 v[121:124], v[1:2], off
	global_load_b128 v[125:128], v[1:2], off offset:16
	global_load_b128 v[113:116], v[3:4], off
	global_load_b128 v[117:120], v[3:4], off offset:16
	;; [unrolled: 2-line block ×12, first 2 shown]
	s_mul_hi_i32 s51, s15, s5
	s_mul_i32 s50, s15, s5
	s_delay_alu instid0(SALU_CYCLE_1) | instskip(NEXT) | instid1(SALU_CYCLE_1)
	s_lshl_b64 s[42:43], s[50:51], 1
	v_add_co_u32 v193, vcc_lo, v195, s42
	v_add_co_ci_u32_e32 v194, vcc_lo, s43, v196, vcc_lo
	s_waitcnt lgkmcnt(0)
	s_mul_hi_i32 s7, s3, s5
	s_mul_i32 s6, s3, s5
	s_mul_hi_i32 s9, s4, s5
	s_lshl_b64 s[6:7], s[6:7], 1
	s_mul_i32 s8, s4, s5
	s_delay_alu instid0(SALU_CYCLE_1)
	s_lshl_b64 s[4:5], s[8:9], 1
	s_waitcnt vmcnt(38)
	v_wmma_f32_16x16x16_f16 v[183:190], v[9:16], v[159:166], v[137:144]
	s_waitcnt vmcnt(36)
	v_wmma_f32_16x16x16_f16 v[137:144], v[129:136], v[159:166], v[137:144]
	s_clause 0x1
	global_load_b128 v[9:12], v[191:192], off
	global_load_b128 v[13:16], v[191:192], off offset:16
	ds_load_b128 v[129:132], v197 offset:2048
	ds_load_b128 v[133:136], v197 offset:3072
	;; [unrolled: 1-line block ×4, first 2 shown]
	v_add_co_u32 v191, vcc_lo, v195, s6
	v_add_co_ci_u32_e32 v192, vcc_lo, s7, v196, vcc_lo
	v_add_co_u32 v195, vcc_lo, v195, s4
	v_add_co_ci_u32_e32 v196, vcc_lo, s5, v196, vcc_lo
	s_waitcnt vmcnt(36) lgkmcnt(2)
	v_wmma_f32_16x16x16_f16 v[183:190], v[41:48], v[129:136], v[183:190]
	s_waitcnt vmcnt(34)
	v_wmma_f32_16x16x16_f16 v[137:144], v[33:40], v[129:136], v[137:144]
	s_clause 0x3
	global_load_b128 v[33:36], v[193:194], off
	global_load_b128 v[37:40], v[193:194], off offset:16
	global_load_b128 v[41:44], v[191:192], off
	global_load_b128 v[45:48], v[191:192], off offset:16
	v_and_b32_e32 v129, 0xe0, v0
	v_mbcnt_lo_u32_b32 v191, -1, 0
	s_waitcnt vmcnt(36) lgkmcnt(0)
	v_wmma_f32_16x16x16_f16 v[183:190], v[17:24], v[159:166], v[183:190]
	s_clause 0x1
	global_load_b128 v[17:20], v[195:196], off
	global_load_b128 v[21:24], v[195:196], off offset:16
	s_waitcnt vmcnt(36)
	v_wmma_f32_16x16x16_f16 v[137:144], v[151:158], v[159:166], v[137:144]
	v_add_nc_u32_e32 v192, s31, v129
	ds_load_b128 v[129:132], v197 offset:6144
	ds_load_b128 v[133:136], v197 offset:7168
	v_xor_b32_e32 v151, 16, v191
	s_waitcnt vmcnt(0) lgkmcnt(0)
	s_barrier
	v_or_b32_e32 v152, v192, v146
	buffer_gl0_inv
	v_cmp_gt_i32_e32 vcc_lo, 32, v151
	v_or_b32_e32 v153, 2, v152
	v_or_b32_e32 v154, 4, v152
	;; [unrolled: 1-line block ×5, first 2 shown]
	v_cmp_gt_i32_e64 s3, s30, v153
	v_cmp_gt_i32_e64 s4, s30, v154
	;; [unrolled: 1-line block ×3, first 2 shown]
	v_or_b32_e32 v158, 12, v152
	v_or_b32_e32 v159, 14, v152
	v_cmp_gt_i32_e64 s6, s30, v156
	v_wmma_f32_16x16x16_f16 v[183:190], v[167:174], v[129:136], v[183:190]
	v_wmma_f32_16x16x16_f16 v[137:144], v[175:182], v[129:136], v[137:144]
	v_cndmask_b32_e32 v151, v191, v151, vcc_lo
	v_cmp_gt_i32_e32 vcc_lo, s30, v152
	v_cmp_gt_i32_e64 s7, s30, v157
	v_dual_mul_f32 v135, s36, v184 :: v_dual_mul_f32 v136, s36, v183
	v_dual_mul_f32 v133, s36, v186 :: v_dual_mul_f32 v134, s36, v185
	;; [unrolled: 1-line block ×3, first 2 shown]
	s_delay_alu instid0(VALU_DEP_3) | instskip(NEXT) | instid1(VALU_DEP_4)
	v_cndmask_b32_e32 v136, 0xff7fffff, v136, vcc_lo
	v_cndmask_b32_e64 v135, 0xff7fffff, v135, s3
	v_mul_f32_e32 v132, s36, v187
	v_cndmask_b32_e64 v134, 0xff7fffff, v134, s4
	v_cndmask_b32_e64 v133, 0xff7fffff, v133, s5
	v_or_b32_e32 v160, 16, v152
	v_max3_f32 v135, v136, 0xff7fffff, v135
	v_or_b32_e32 v161, 18, v152
	v_mul_f32_e32 v130, s36, v189
	v_dual_mul_f32 v172, s36, v140 :: v_dual_mul_f32 v129, s36, v190
	v_cndmask_b32_e64 v132, 0xff7fffff, v132, s6
	v_cndmask_b32_e64 v131, 0xff7fffff, v131, s7
	v_max3_f32 v133, v135, v134, v133
	v_cmp_gt_i32_e64 s8, s30, v158
	v_cmp_gt_i32_e64 s9, s30, v159
	v_or_b32_e32 v162, 20, v152
	v_or_b32_e32 v163, 22, v152
	v_mul_f32_e32 v175, s36, v137
	v_cndmask_b32_e64 v130, 0xff7fffff, v130, s8
	v_cndmask_b32_e64 v129, 0xff7fffff, v129, s9
	v_max3_f32 v131, v133, v132, v131
	v_cmp_gt_i32_e64 s10, s30, v160
	v_cmp_gt_i32_e64 s11, s30, v161
	v_or_b32_e32 v164, 24, v152
	v_or_b32_e32 v165, 26, v152
	v_mul_f32_e32 v173, s36, v139
	v_cndmask_b32_e64 v132, 0xff7fffff, v175, s10
	v_cndmask_b32_e64 v133, 0xff7fffff, v174, s11
	v_max3_f32 v129, v131, v130, v129
	v_cmp_gt_i32_e64 s12, s30, v162
	v_cmp_gt_i32_e64 s13, s30, v163
	v_or_b32_e32 v166, 28, v152
	v_or_b32_e32 v167, 30, v152
	v_dual_mul_f32 v170, s36, v142 :: v_dual_mul_f32 v171, s36, v141
	v_cndmask_b32_e64 v130, 0xff7fffff, v173, s12
	v_cndmask_b32_e64 v131, 0xff7fffff, v172, s13
	v_max3_f32 v129, v129, v132, v133
	v_cmp_gt_i32_e64 s15, s30, v164
	v_cmp_gt_i32_e64 s16, s30, v165
	v_dual_mul_f32 v168, s36, v144 :: v_dual_mul_f32 v169, s36, v143
	s_delay_alu instid0(VALU_DEP_4) | instskip(NEXT) | instid1(VALU_DEP_4)
	v_max3_f32 v129, v129, v130, v131
	v_cndmask_b32_e64 v132, 0xff7fffff, v171, s15
	s_delay_alu instid0(VALU_DEP_4) | instskip(SKIP_2) | instid1(VALU_DEP_3)
	v_cndmask_b32_e64 v133, 0xff7fffff, v170, s16
	v_cmp_gt_i32_e64 s17, s30, v166
	v_cmp_gt_i32_e64 s18, s30, v167
	v_max3_f32 v129, v129, v132, v133
	s_delay_alu instid0(VALU_DEP_3) | instskip(NEXT) | instid1(VALU_DEP_3)
	v_cndmask_b32_e64 v130, 0xff7fffff, v169, s17
	v_cndmask_b32_e64 v131, 0xff7fffff, v168, s18
	v_lshlrev_b32_e32 v132, 2, v151
	s_delay_alu instid0(VALU_DEP_2) | instskip(SKIP_3) | instid1(VALU_DEP_1)
	v_max3_f32 v129, v129, v130, v131
	ds_bpermute_b32 v130, v132, v129
	s_waitcnt lgkmcnt(0)
	v_max_f32_e32 v130, v130, v130
	v_max_f32_e32 v129, v129, v130
	s_delay_alu instid0(VALU_DEP_1) | instskip(SKIP_4) | instid1(VALU_DEP_4)
	v_fma_f32 v134, s36, v186, -v129
	v_fma_f32 v135, s36, v187, -v129
	;; [unrolled: 1-line block ×5, first 2 shown]
	v_dual_mul_f32 v134, 0x3fb8aa3b, v134 :: v_dual_mul_f32 v135, 0x3fb8aa3b, v135
	s_delay_alu instid0(VALU_DEP_4) | instskip(SKIP_1) | instid1(VALU_DEP_3)
	v_mul_f32_e32 v130, 0x3fb8aa3b, v130
	v_fma_f32 v136, s36, v189, -v129
	v_exp_f32_e32 v134, v134
	s_delay_alu instid0(VALU_DEP_3) | instskip(NEXT) | instid1(VALU_DEP_2)
	v_exp_f32_e32 v135, v135
	v_exp_f32_e32 v130, v130
	s_delay_alu instid0(VALU_DEP_1) | instskip(NEXT) | instid1(VALU_DEP_1)
	v_mul_f32_e32 v136, 0x3fb8aa3b, v136
	v_exp_f32_e32 v136, v136
	v_cndmask_b32_e64 v153, 0, v134, s5
	v_fma_f32 v134, s36, v137, -v129
	v_mul_f32_e32 v131, 0x3fb8aa3b, v131
	s_delay_alu instid0(TRANS32_DEP_3) | instskip(NEXT) | instid1(TRANS32_DEP_2)
	v_cndmask_b32_e64 v155, 0, v135, s6
	v_dual_mul_f32 v133, 0x3fb8aa3b, v133 :: v_dual_cndmask_b32 v152, 0, v130
	s_delay_alu instid0(VALU_DEP_4) | instskip(NEXT) | instid1(VALU_DEP_4)
	v_mul_f32_e32 v134, 0x3fb8aa3b, v134
	v_exp_f32_e32 v131, v131
	v_fma_f32 v135, s36, v138, -v129
	s_delay_alu instid0(VALU_DEP_3)
	v_exp_f32_e32 v133, v133
	v_fma_f32 v130, s36, v188, -v129
	v_cndmask_b32_e64 v156, 0, v136, s8
	v_fma_f32 v136, s36, v140, -v129
	v_mul_f32_e32 v135, 0x3fb8aa3b, v135
	v_exp_f32_e32 v134, v134
	v_mul_f32_e32 v130, 0x3fb8aa3b, v130
	s_delay_alu instid0(TRANS32_DEP_3) | instskip(SKIP_1) | instid1(TRANS32_DEP_2)
	v_cndmask_b32_e64 v151, 0, v131, s3
	v_add_f32_e32 v131, 0, v152
	v_cndmask_b32_e64 v154, 0, v133, s4
	v_exp_f32_e32 v135, v135
	v_fma_f32 v133, s36, v190, -v129
	v_exp_f32_e32 v130, v130
	v_dual_add_f32 v131, v131, v151 :: v_dual_mul_f32 v136, 0x3fb8aa3b, v136
	v_cmp_gt_u32_e64 s3, 16, v150
	s_delay_alu instid0(VALU_DEP_3) | instskip(NEXT) | instid1(VALU_DEP_3)
	v_mul_f32_e32 v133, 0x3fb8aa3b, v133
	v_add_f32_e32 v131, v131, v154
	s_delay_alu instid0(VALU_DEP_4) | instskip(NEXT) | instid1(TRANS32_DEP_3)
	v_exp_f32_e32 v136, v136
	v_cndmask_b32_e64 v140, 0, v135, s11
	s_delay_alu instid0(VALU_DEP_3) | instskip(NEXT) | instid1(TRANS32_DEP_3)
	v_exp_f32_e32 v133, v133
	v_cndmask_b32_e64 v138, 0, v130, s7
	v_add_f32_e32 v131, v131, v153
	v_fma_f32 v135, s36, v143, -v129
	s_delay_alu instid0(VALU_DEP_2)
	v_add_f32_e32 v130, v131, v155
	v_fma_f32 v131, s36, v139, -v129
	s_waitcnt_depctr 0xfff
	v_cndmask_b32_e64 v139, 0, v133, s9
	v_fma_f32 v133, s36, v141, -v129
	v_add_f32_e32 v130, v130, v138
	v_cndmask_b32_e64 v141, 0, v134, s10
	v_fma_f32 v134, s36, v142, -v129
	v_cndmask_b32_e64 v142, 0, v136, s13
	s_delay_alu instid0(VALU_DEP_4) | instskip(NEXT) | instid1(VALU_DEP_3)
	v_dual_mul_f32 v131, 0x3fb8aa3b, v131 :: v_dual_add_f32 v130, v130, v156
	v_mul_f32_e32 v134, 0x3fb8aa3b, v134
	s_delay_alu instid0(VALU_DEP_2) | instskip(NEXT) | instid1(VALU_DEP_2)
	v_exp_f32_e32 v131, v131
	v_add_f32_e32 v130, v130, v139
	s_delay_alu instid0(VALU_DEP_2) | instskip(NEXT) | instid1(VALU_DEP_1)
	v_exp_f32_e32 v134, v134
	v_add_f32_e32 v130, v130, v141
	s_waitcnt_depctr 0xfff
	v_cndmask_b32_e64 v143, 0, v131, s12
	v_dual_add_f32 v130, v130, v140 :: v_dual_mul_f32 v133, 0x3fb8aa3b, v133
	s_delay_alu instid0(VALU_DEP_1) | instskip(NEXT) | instid1(VALU_DEP_2)
	v_add_f32_e32 v130, v130, v143
	v_exp_f32_e32 v133, v133
	s_delay_alu instid0(VALU_DEP_1)
	v_add_f32_e32 v130, v130, v142
	s_waitcnt_depctr 0xfff
	v_cndmask_b32_e64 v157, 0, v133, s15
	v_mul_f32_e32 v131, 0x3fb8aa3b, v135
	v_fma_f32 v135, s36, v144, -v129
	v_cndmask_b32_e64 v144, 0, v134, s16
	s_delay_alu instid0(VALU_DEP_4) | instskip(NEXT) | instid1(VALU_DEP_4)
	v_add_f32_e32 v130, v130, v157
	v_exp_f32_e32 v131, v131
	s_delay_alu instid0(VALU_DEP_1) | instskip(NEXT) | instid1(VALU_DEP_1)
	v_dual_mul_f32 v133, 0x3fb8aa3b, v135 :: v_dual_add_f32 v130, v130, v144
	v_exp_f32_e32 v133, v133
	s_waitcnt_depctr 0xfff
	v_cndmask_b32_e64 v159, 0, v131, s17
	s_delay_alu instid0(VALU_DEP_1) | instskip(SKIP_1) | instid1(VALU_DEP_1)
	v_add_f32_e32 v130, v130, v159
	v_cndmask_b32_e64 v158, 0, v133, s18
	v_add_f32_e32 v130, v130, v158
	ds_bpermute_b32 v131, v132, v130
	s_and_saveexec_b32 s4, s3
	s_cbranch_execz .LBB46_12
; %bb.11:
	v_mul_u32_u24_e32 v132, 0x44, v149
	s_delay_alu instid0(VALU_DEP_1) | instskip(SKIP_1) | instid1(VALU_DEP_1)
	v_lshl_add_u32 v132, v148, 2, v132
	s_waitcnt lgkmcnt(0)
	v_dual_add_f32 v130, v130, v131 :: v_dual_add_nc_u32 v131, 0x4000, v132
	ds_store_2addr_b32 v131, v129, v130 offset1:136
.LBB46_12:
	s_or_b32 exec_lo, exec_lo, s4
	v_lshlrev_b32_e32 v129, 2, v148
	s_load_b32 s36, s[0:1], 0x94
	s_waitcnt lgkmcnt(0)
	s_barrier
	buffer_gl0_inv
	v_add_nc_u32_e32 v135, 0x4000, v129
	v_cmp_eq_u32_e32 vcc_lo, 1, v149
	v_cmp_eq_u32_e64 s4, 2, v149
	v_cmp_eq_u32_e64 s5, 3, v149
	v_cmp_eq_u32_e64 s6, 4, v149
	ds_load_2addr_b32 v[129:130], v135 offset1:17
	ds_load_2addr_b32 v[131:132], v135 offset0:34 offset1:51
	ds_load_2addr_b32 v[133:134], v135 offset0:68 offset1:85
	;; [unrolled: 1-line block ×3, first 2 shown]
	v_cmp_eq_u32_e64 s7, 5, v149
	v_cmp_eq_u32_e64 s8, 7, v149
	s_waitcnt lgkmcnt(3)
	v_max3_f32 v136, v129, 0xff7fffff, v130
	s_waitcnt lgkmcnt(2)
	s_delay_alu instid0(VALU_DEP_1) | instskip(SKIP_1) | instid1(VALU_DEP_1)
	v_max3_f32 v136, v136, v131, v132
	s_waitcnt lgkmcnt(1)
	v_max3_f32 v136, v136, v133, v134
	s_waitcnt lgkmcnt(0)
	s_delay_alu instid0(VALU_DEP_1) | instskip(NEXT) | instid1(VALU_DEP_1)
	v_max3_f32 v136, v136, v160, v161
	v_sub_f32_e32 v164, v132, v136
	ds_load_2addr_b32 v[162:163], v135 offset0:136 offset1:153
	v_sub_f32_e32 v129, v129, v136
	v_sub_f32_e32 v137, v130, v136
	v_sub_f32_e32 v133, v133, v136
	v_mul_f32_e32 v164, 0x3fb8aa3b, v164
	s_delay_alu instid0(VALU_DEP_4) | instskip(NEXT) | instid1(VALU_DEP_4)
	v_mul_f32_e32 v150, 0x3fb8aa3b, v129
	v_mul_f32_e32 v137, 0x3fb8aa3b, v137
	ds_load_2addr_b32 v[129:130], v135 offset0:170 offset1:187
	v_mul_f32_e32 v167, 0x3fb8aa3b, v133
	v_exp_f32_e32 v164, v164
	v_exp_f32_e32 v150, v150
	;; [unrolled: 1-line block ×3, first 2 shown]
	v_sub_f32_e32 v131, v131, v136
	s_delay_alu instid0(VALU_DEP_1)
	v_mul_f32_e32 v165, 0x3fb8aa3b, v131
	ds_load_2addr_b32 v[131:132], v135 offset0:204 offset1:221
	s_waitcnt lgkmcnt(2)
	v_fma_f32 v137, v150, v162, 0
	v_sub_f32_e32 v162, v134, v136
	v_exp_f32_e32 v165, v165
	ds_load_2addr_b32 v[133:134], v135 offset0:238 offset1:255
	v_sub_f32_e32 v135, v160, v136
	v_dual_fmac_f32 v137, v166, v163 :: v_dual_mul_f32 v160, 0x3fb8aa3b, v162
	v_exp_f32_e32 v162, v167
	s_waitcnt lgkmcnt(0)
	s_delay_alu instid0(VALU_DEP_2)
	v_mul_f32_e32 v135, 0x3fb8aa3b, v135
	s_barrier
	v_exp_f32_e32 v160, v160
	v_fmac_f32_e32 v137, v165, v129
	v_sub_f32_e32 v129, v161, v136
	v_exp_f32_e32 v161, v135
	buffer_gl0_inv
	v_fmac_f32_e32 v137, v164, v130
	v_dual_mul_f32 v129, 0x3fb8aa3b, v129 :: v_dual_cndmask_b32 v130, v150, v166
	s_delay_alu instid0(VALU_DEP_2) | instskip(NEXT) | instid1(VALU_DEP_2)
	v_fmac_f32_e32 v137, v162, v131
	v_exp_f32_e32 v163, v129
	s_delay_alu instid0(VALU_DEP_1) | instskip(NEXT) | instid1(VALU_DEP_1)
	v_fmac_f32_e32 v137, v160, v132
	v_fmac_f32_e32 v137, v161, v133
	v_lshlrev_b32_e32 v133, 6, v148
	s_waitcnt_depctr 0xfff
	v_fmac_f32_e32 v137, v163, v134
	v_lshl_or_b32 v135, v149, 11, v133
	s_delay_alu instid0(VALU_DEP_2) | instskip(NEXT) | instid1(VALU_DEP_1)
	v_add_f32_e32 v134, 0x358637bd, v137
	v_div_scale_f32 v167, null, v134, v134, 1.0
	v_div_scale_f32 v150, vcc_lo, 1.0, v134, 1.0
	s_delay_alu instid0(VALU_DEP_2) | instskip(SKIP_2) | instid1(VALU_DEP_1)
	v_rcp_f32_e32 v168, v167
	s_waitcnt_depctr 0xfff
	v_fma_f32 v129, -v167, v168, 1.0
	v_fmac_f32_e32 v168, v129, v168
	v_cndmask_b32_e64 v129, v130, v165, s4
	v_cmp_eq_u32_e64 s4, 6, v149
	s_delay_alu instid0(VALU_DEP_3) | instskip(NEXT) | instid1(VALU_DEP_3)
	v_mul_f32_e32 v165, v150, v168
	v_cndmask_b32_e64 v130, v129, v164, s5
	v_lshlrev_b32_e32 v129, 2, v146
	s_delay_alu instid0(VALU_DEP_3) | instskip(NEXT) | instid1(VALU_DEP_3)
	v_fma_f32 v131, -v167, v165, v150
	v_cndmask_b32_e64 v162, v130, v162, s6
	s_delay_alu instid0(VALU_DEP_3)
	v_or_b32_e32 v130, 1, v129
	v_or_b32_e32 v132, 2, v129
	v_cmp_eq_u32_e64 s5, 1, v129
	v_fmac_f32_e32 v165, v131, v168
	v_cndmask_b32_e64 v149, v162, v160, s7
	v_or_b32_e32 v131, 3, v129
	v_cmp_eq_u32_e64 s10, 1, v130
	v_cmp_eq_u32_e64 s11, 1, v132
	v_fma_f32 v150, -v167, v165, v150
	v_cndmask_b32_e64 v149, v149, v161, s4
	v_cmp_eq_u32_e64 s12, 1, v131
	v_cmp_eq_u32_e64 s6, 2, v129
	;; [unrolled: 1-line block ×3, first 2 shown]
	v_div_fmas_f32 v150, v150, v168, v165
	v_cndmask_b32_e64 v149, v149, v163, s8
	v_cmp_eq_u32_e64 s16, 2, v132
	v_cmp_eq_u32_e64 s17, 2, v131
	v_cmp_eq_u32_e32 vcc_lo, 3, v129
	v_div_fixup_f32 v150, v150, v134, 1.0
	v_lshl_or_b32 v134, v146, 4, v135
	v_cmp_eq_u32_e64 s15, 3, v130
	v_cmp_eq_u32_e64 s19, 3, v131
	;; [unrolled: 1-line block ×3, first 2 shown]
	v_mul_f32_e32 v149, v149, v150
	v_cmp_eq_u32_e64 s18, 3, v132
	v_cmp_eq_u32_e64 s20, 4, v130
	;; [unrolled: 1-line block ×4, first 2 shown]
	v_fma_mixlo_f16 v160, v149, v152, 0
	v_fma_mixlo_f16 v161, v149, v154, 0
	;; [unrolled: 1-line block ×8, first 2 shown]
	v_fma_mixhi_f16 v160, v149, v151, 0
	v_fma_mixhi_f16 v161, v149, v153, 0
	;; [unrolled: 1-line block ×8, first 2 shown]
	ds_store_b128 v134, v[160:163]
	ds_store_b128 v134, v[154:157] offset:1024
	s_waitcnt lgkmcnt(0)
	s_barrier
	buffer_gl0_inv
	ds_load_b128 v[138:141], v135
	ds_load_b128 v[149:152], v135 offset:16
	ds_load_b128 v[153:156], v135 offset:1024
	;; [unrolled: 1-line block ×3, first 2 shown]
	v_cmp_eq_u32_e64 s21, 5, v130
	v_cmp_eq_u32_e64 s22, 4, v132
	;; [unrolled: 1-line block ×12, first 2 shown]
	s_waitcnt lgkmcnt(3)
	v_lshrrev_b32_e32 v142, 16, v138
	s_waitcnt lgkmcnt(2)
	v_lshrrev_b32_e32 v162, 16, v149
	;; [unrolled: 2-line block ×4, first 2 shown]
	v_lshrrev_b32_e32 v143, 16, v139
	v_cndmask_b32_e64 v174, v138, v142, s5
	v_cndmask_b32_e64 v175, v149, v162, s5
	v_cndmask_b32_e64 v176, v138, v142, s10
	v_cndmask_b32_e64 v177, v149, v162, s10
	v_cndmask_b32_e64 v178, v138, v142, s11
	v_cndmask_b32_e64 v138, v138, v142, s12
	v_cndmask_b32_e64 v142, v149, v162, s12
	v_lshrrev_b32_e32 v163, 16, v150
	v_cndmask_b32_e64 v179, v149, v162, s11
	v_cndmask_b32_e64 v149, v153, v166, s5
	;; [unrolled: 1-line block ×16, first 2 shown]
	v_lshrrev_b32_e32 v167, 16, v154
	v_lshrrev_b32_e32 v171, 16, v158
	v_cndmask_b32_e64 v177, v179, v150, s16
	v_cndmask_b32_e64 v142, v149, v154, s6
	;; [unrolled: 1-line block ×7, first 2 shown]
	v_cndmask_b32_e32 v157, v166, v143, vcc_lo
	v_cndmask_b32_e32 v166, v170, v163, vcc_lo
	v_cndmask_b32_e64 v170, v174, v143, s15
	v_cndmask_b32_e64 v174, v175, v163, s15
	;; [unrolled: 1-line block ×4, first 2 shown]
	v_lshrrev_b32_e32 v144, 16, v140
	v_lshrrev_b32_e32 v164, 16, v151
	v_cndmask_b32_e64 v175, v176, v143, s18
	v_cndmask_b32_e64 v176, v177, v163, s18
	v_cndmask_b32_e32 v142, v142, v167, vcc_lo
	v_cndmask_b32_e32 v143, v149, v171, vcc_lo
	v_cndmask_b32_e64 v149, v150, v167, s15
	v_cndmask_b32_e64 v150, v157, v140, s4
	;; [unrolled: 1-line block ×7, first 2 shown]
	v_lshrrev_b32_e32 v168, 16, v155
	v_cndmask_b32_e64 v170, v175, v140, s22
	v_cndmask_b32_e64 v174, v176, v151, s22
	;; [unrolled: 1-line block ×11, first 2 shown]
	v_lshrrev_b32_e32 v161, 16, v141
	v_lshrrev_b32_e32 v165, 16, v152
	v_cndmask_b32_e64 v163, v170, v144, s24
	v_cndmask_b32_e64 v166, v174, v164, s24
	;; [unrolled: 1-line block ×9, first 2 shown]
	v_lshrrev_b32_e32 v169, 16, v156
	v_cndmask_b32_e64 v140, v140, v168, s7
	v_cndmask_b32_e64 v157, v163, v141, s27
	;; [unrolled: 1-line block ×14, first 2 shown]
	v_perm_b32 v141, v139, v138, 0x5040100
	v_perm_b32 v139, v151, v149, 0x5040100
	v_cndmask_b32_e64 v138, v183, v158, s16
	v_cndmask_b32_e64 v149, v181, v158, s13
	;; [unrolled: 1-line block ×3, first 2 shown]
	v_perm_b32 v140, v152, v150, 0x5040100
	v_cndmask_b32_e64 v150, v162, v167, s18
	v_cndmask_b32_e64 v151, v153, v167, s19
	v_cndmask_b32_e64 v152, v154, v171, s19
	v_cndmask_b32_e64 v138, v138, v171, s18
	v_cndmask_b32_e64 v149, v149, v171, s15
	v_lshrrev_b32_e32 v172, 16, v159
	v_cndmask_b32_e64 v150, v150, v155, s22
	v_cndmask_b32_e64 v151, v151, v155, s23
	;; [unrolled: 1-line block ×11, first 2 shown]
	v_lshrrev_b32_e32 v173, 16, v160
	v_cndmask_b32_e64 v142, v142, v160, s8
	v_cndmask_b32_e64 v150, v150, v156, s27
	;; [unrolled: 1-line block ×12, first 2 shown]
	v_perm_b32 v138, v144, v143, 0x5040100
	v_perm_b32 v152, v152, v151, 0x5040100
	;; [unrolled: 1-line block ×5, first 2 shown]
	s_mul_i32 s8, s35, 9
	s_mov_b32 s4, exec_lo
	ds_store_b128 v134, v[138:141]
	ds_store_b128 v134, v[149:152] offset:1024
	v_cmpx_gt_u32_e32 9, v0
	s_cbranch_execz .LBB46_14
; %bb.13:
	s_mul_i32 s5, s8, s34
	s_load_b128 s[16:19], s[0:1], 0x58
	v_add3_u32 v140, s5, s33, v148
	s_delay_alu instid0(VALU_DEP_1) | instskip(NEXT) | instid1(VALU_DEP_1)
	v_mad_u64_u32 v[138:139], null, v140, s36, s[14:15]
	v_ashrrev_i32_e32 v139, 31, v138
	s_delay_alu instid0(VALU_DEP_1) | instskip(SKIP_1) | instid1(VALU_DEP_1)
	v_lshlrev_b64 v[138:139], 2, v[138:139]
	s_waitcnt lgkmcnt(0)
	v_add_co_u32 v140, vcc_lo, s18, v138
	s_delay_alu instid0(VALU_DEP_2)
	v_add_co_ci_u32_e32 v141, vcc_lo, s19, v139, vcc_lo
	v_add_co_u32 v138, vcc_lo, s16, v138
	v_add_co_ci_u32_e32 v139, vcc_lo, s17, v139, vcc_lo
	global_store_b32 v[140:141], v136, off
	global_store_b32 v[138:139], v137, off
.LBB46_14:
	s_or_b32 exec_lo, exec_lo, s4
	s_waitcnt lgkmcnt(0)
	s_waitcnt_vscnt null, 0x0
	s_barrier
	buffer_gl0_inv
	ds_load_b128 v[148:151], v133
	ds_load_b128 v[152:155], v133 offset:16
	ds_load_b128 v[160:163], v133 offset:1040
	;; [unrolled: 1-line block ×5, first 2 shown]
	v_cmp_eq_u32_e32 vcc_lo, 1, v132
	v_mov_b32_e32 v136, 0
	ds_load_b128 v[176:179], v133 offset:3088
	ds_load_b128 v[172:175], v133 offset:3072
	;; [unrolled: 1-line block ×4, first 2 shown]
	v_cmp_eq_u32_e64 s4, 1, v129
	v_cmp_eq_u32_e64 s5, 1, v131
	;; [unrolled: 1-line block ×3, first 2 shown]
	v_mov_b32_e32 v137, v136
	v_mov_b32_e32 v138, v136
	;; [unrolled: 1-line block ×7, first 2 shown]
	v_cmp_eq_u32_e64 s7, 2, v129
	s_waitcnt lgkmcnt(8)
	s_delay_alu instid0(VALU_DEP_2)
	v_wmma_f32_16x16x16_f16 v[136:143], v[121:128], v[148:155], v[136:143]
	ds_load_b128 v[125:128], v133 offset:5136
	ds_load_b128 v[121:124], v133 offset:5120
	s_waitcnt lgkmcnt(8)
	v_wmma_f32_16x16x16_f16 v[136:143], v[113:120], v[156:163], v[136:143]
	ds_load_b128 v[117:120], v133 offset:6160
	ds_load_b128 v[113:116], v133 offset:6144
	s_waitcnt lgkmcnt(8)
	;; [unrolled: 4-line block ×11, first 2 shown]
	s_barrier
	buffer_gl0_inv
	v_wmma_f32_16x16x16_f16 v[136:143], v[1:8], v[73:80], v[136:143]
	s_delay_alu instid0(VALU_DEP_1) | instskip(NEXT) | instid1(VALU_DEP_1)
	v_wmma_f32_16x16x16_f16 v[136:143], v[9:16], v[65:72], v[136:143]
	v_wmma_f32_16x16x16_f16 v[136:143], v[33:40], v[57:64], v[136:143]
	s_delay_alu instid0(VALU_DEP_1) | instskip(NEXT) | instid1(VALU_DEP_1)
	v_wmma_f32_16x16x16_f16 v[136:143], v[41:48], v[49:56], v[136:143]
	v_wmma_f32_16x16x16_f16 v[136:143], v[17:24], v[25:32], v[136:143]
	s_delay_alu instid0(VALU_DEP_1) | instskip(NEXT) | instid1(VALU_DEP_2)
	v_cvt_f16_f32_e64 v1, v136
	v_cvt_f16_f32_e64 v2, v137
	s_delay_alu instid0(VALU_DEP_3) | instskip(NEXT) | instid1(VALU_DEP_4)
	v_cvt_f16_f32_e64 v3, v138
	v_cvt_f16_f32_e64 v4, v139
	;; [unrolled: 1-line block ×6, first 2 shown]
	v_pack_b32_f16 v1, v1, v2
	v_pack_b32_f16 v2, v3, v4
	;; [unrolled: 1-line block ×3, first 2 shown]
	s_delay_alu instid0(VALU_DEP_4)
	v_pack_b32_f16 v4, v7, v8
	ds_store_b128 v134, v[1:4]
	s_waitcnt lgkmcnt(0)
	s_barrier
	buffer_gl0_inv
	ds_load_b128 v[1:4], v135
	ds_load_b128 v[5:8], v135 offset:16
	s_waitcnt lgkmcnt(1)
	v_lshrrev_b32_e32 v9, 16, v1
	s_waitcnt lgkmcnt(0)
	v_lshrrev_b32_e32 v13, 16, v5
	v_lshrrev_b32_e32 v10, 16, v2
	;; [unrolled: 1-line block ×4, first 2 shown]
	v_cndmask_b32_e64 v17, v1, v9, s4
	v_cndmask_b32_e64 v18, v5, v13, s4
	;; [unrolled: 1-line block ×3, first 2 shown]
	v_cmp_eq_u32_e64 s4, 2, v130
	v_cndmask_b32_e64 v20, v5, v13, s6
	v_cndmask_b32_e32 v21, v1, v9, vcc_lo
	v_cndmask_b32_e32 v22, v5, v13, vcc_lo
	v_cndmask_b32_e64 v1, v1, v9, s5
	v_cndmask_b32_e64 v5, v5, v13, s5
	v_cmp_eq_u32_e32 vcc_lo, 2, v132
	v_cmp_eq_u32_e64 s5, 2, v131
	v_cndmask_b32_e64 v9, v17, v2, s7
	v_cndmask_b32_e64 v13, v18, v6, s7
	;; [unrolled: 1-line block ×4, first 2 shown]
	v_cndmask_b32_e32 v19, v21, v2, vcc_lo
	v_cmp_eq_u32_e64 s4, 3, v132
	v_cndmask_b32_e32 v20, v22, v6, vcc_lo
	v_cndmask_b32_e64 v1, v1, v2, s5
	v_cmp_eq_u32_e32 vcc_lo, 3, v131
	v_cmp_eq_u32_e64 s6, 3, v129
	v_cndmask_b32_e64 v2, v5, v6, s5
	v_cmp_eq_u32_e64 s5, 3, v130
	v_cmp_eq_u32_e64 s7, 4, v129
	v_cndmask_b32_e32 v1, v1, v10, vcc_lo
	v_cndmask_b32_e64 v5, v9, v10, s6
	v_cndmask_b32_e64 v6, v13, v14, s6
	;; [unrolled: 1-line block ×3, first 2 shown]
	v_cmp_eq_u32_e64 s6, 4, v130
	v_cndmask_b32_e64 v13, v18, v14, s5
	v_cndmask_b32_e64 v17, v19, v10, s4
	v_cndmask_b32_e64 v18, v20, v14, s4
	v_cndmask_b32_e32 v2, v2, v14, vcc_lo
	v_cmp_eq_u32_e32 vcc_lo, 4, v132
	v_cmp_eq_u32_e64 s5, 4, v131
	v_lshrrev_b32_e32 v15, 16, v7
	v_cndmask_b32_e64 v5, v5, v3, s7
	v_cndmask_b32_e64 v6, v6, v7, s7
	v_cndmask_b32_e32 v14, v18, v7, vcc_lo
	v_cndmask_b32_e64 v9, v9, v3, s6
	v_cndmask_b32_e64 v10, v13, v7, s6
	v_cndmask_b32_e32 v13, v17, v3, vcc_lo
	v_cmp_eq_u32_e64 s4, 5, v132
	v_cndmask_b32_e64 v1, v1, v3, s5
	v_cmp_eq_u32_e32 vcc_lo, 5, v131
	v_cmp_eq_u32_e64 s6, 5, v129
	v_cndmask_b32_e64 v2, v2, v7, s5
	v_cmp_eq_u32_e64 s5, 5, v130
	v_cmp_eq_u32_e64 s7, 6, v129
	v_lshrrev_b32_e32 v12, 16, v4
	v_cndmask_b32_e64 v3, v5, v11, s6
	v_cndmask_b32_e64 v5, v6, v15, s6
	;; [unrolled: 1-line block ×3, first 2 shown]
	v_cmp_eq_u32_e64 s6, 6, v130
	v_cndmask_b32_e64 v7, v10, v15, s5
	v_cndmask_b32_e64 v9, v13, v11, s4
	;; [unrolled: 1-line block ×3, first 2 shown]
	v_cndmask_b32_e32 v1, v1, v11, vcc_lo
	v_cndmask_b32_e32 v2, v2, v15, vcc_lo
	v_cmp_eq_u32_e32 vcc_lo, 6, v132
	v_cmp_eq_u32_e64 s4, 6, v131
	v_lshrrev_b32_e32 v16, 16, v8
	v_cndmask_b32_e64 v3, v3, v4, s7
	v_cndmask_b32_e64 v5, v5, v8, s7
	v_cndmask_b32_e32 v9, v9, v4, vcc_lo
	v_cndmask_b32_e64 v6, v6, v4, s6
	v_cndmask_b32_e64 v7, v7, v8, s6
	v_cmp_eq_u32_e64 s5, 7, v132
	v_cndmask_b32_e32 v10, v10, v8, vcc_lo
	v_cndmask_b32_e64 v1, v1, v4, s4
	v_cmp_eq_u32_e32 vcc_lo, 7, v131
	v_cndmask_b32_e64 v2, v2, v8, s4
	v_cmp_eq_u32_e64 s4, 7, v129
	v_cmp_eq_u32_e64 s6, 7, v130
	v_cndmask_b32_e32 v1, v1, v12, vcc_lo
	s_delay_alu instid0(VALU_DEP_4) | instskip(NEXT) | instid1(VALU_DEP_4)
	v_cndmask_b32_e32 v2, v2, v16, vcc_lo
	v_cndmask_b32_e64 v8, v3, v12, s4
	s_delay_alu instid0(VALU_DEP_4)
	v_cndmask_b32_e64 v6, v6, v12, s6
	v_cndmask_b32_e64 v3, v9, v12, s5
	;; [unrolled: 1-line block ×5, first 2 shown]
	v_cmp_gt_u32_e32 vcc_lo, 32, v0
	v_perm_b32 v4, v2, v1, 0x5040100
	v_perm_b32 v3, v9, v3, 0x5040100
	;; [unrolled: 1-line block ×4, first 2 shown]
	s_and_b32 s2, vcc_lo, s2
	ds_store_b128 v134, v[1:4]
	s_waitcnt lgkmcnt(0)
	s_barrier
	buffer_gl0_inv
	s_and_saveexec_b32 s4, s2
	s_cbranch_execz .LBB46_2
; %bb.15:
	s_load_b64 s[4:5], s[0:1], 0x68
	v_lshlrev_b32_e32 v0, 10, v0
	v_lshlrev_b32_e32 v1, 4, v147
	s_lshl_b32 s0, s36, 6
	v_add_nc_u32_e32 v2, s33, v146
	s_mul_i32 s1, s0, s34
	s_delay_alu instid0(SALU_CYCLE_1) | instskip(SKIP_1) | instid1(VALU_DEP_2)
	s_mul_i32 s6, s1, s8
	v_and_or_b32 v0, 0x3800, v0, v1
	v_mul_lo_u32 v1, v2, s0
	s_ashr_i32 s7, s6, 31
	v_add_nc_u32_e32 v3, 2, v2
	s_lshl_b64 s[6:7], s[6:7], 1
	v_add_nc_u32_e32 v4, 4, v2
	v_add_nc_u32_e32 v5, 6, v2
	v_lshl_or_b32 v15, v146, 6, v0
	v_mul_lo_u32 v3, v3, s0
	v_ashrrev_i32_e32 v2, 31, v1
	v_mul_lo_u32 v19, v4, s0
	v_mul_lo_u32 v21, v5, s0
	s_waitcnt lgkmcnt(0)
	s_add_u32 s1, s4, s6
	s_addc_u32 s2, s5, s7
	s_lshl_b32 s4, s14, 6
	v_lshlrev_b64 v[5:6], 1, v[1:2]
	s_ashr_i32 s5, s4, 31
	v_ashrrev_i32_e32 v4, 31, v3
	s_lshl_b64 s[4:5], s[4:5], 1
	v_ashrrev_i32_e32 v20, 31, v19
	s_add_u32 s1, s1, s4
	s_addc_u32 s2, s2, s5
	v_add_co_u32 v1, s1, s1, v145
	s_delay_alu instid0(VALU_DEP_1) | instskip(SKIP_1) | instid1(VALU_DEP_3)
	v_add_co_ci_u32_e64 v2, null, s2, 0, s1
	v_lshlrev_b64 v[25:26], 1, v[3:4]
	v_add_co_u32 v23, vcc_lo, v1, v5
	s_delay_alu instid0(VALU_DEP_3)
	v_add_co_ci_u32_e32 v24, vcc_lo, v2, v6, vcc_lo
	ds_load_b128 v[3:6], v15
	ds_load_b128 v[7:10], v15 offset:128
	ds_load_b128 v[11:14], v15 offset:256
	;; [unrolled: 1-line block ×3, first 2 shown]
	v_ashrrev_i32_e32 v22, 31, v21
	v_lshlrev_b64 v[19:20], 1, v[19:20]
	v_add_co_u32 v25, vcc_lo, v1, v25
	v_add_co_ci_u32_e32 v26, vcc_lo, v2, v26, vcc_lo
	s_delay_alu instid0(VALU_DEP_4) | instskip(NEXT) | instid1(VALU_DEP_4)
	v_lshlrev_b64 v[21:22], 1, v[21:22]
	v_add_co_u32 v19, vcc_lo, v1, v19
	v_add_co_ci_u32_e32 v20, vcc_lo, v2, v20, vcc_lo
	s_delay_alu instid0(VALU_DEP_3) | instskip(NEXT) | instid1(VALU_DEP_4)
	v_add_co_u32 v21, vcc_lo, v1, v21
	v_add_co_ci_u32_e32 v22, vcc_lo, v2, v22, vcc_lo
	s_waitcnt lgkmcnt(3)
	global_store_b128 v[23:24], v[3:6], off
	s_waitcnt lgkmcnt(2)
	global_store_b128 v[25:26], v[7:10], off
	;; [unrolled: 2-line block ×4, first 2 shown]
	s_and_b32 exec_lo, exec_lo, s3
	s_cbranch_execz .LBB46_2
; %bb.16:
	ds_load_b128 v[3:6], v0 offset:512
	s_add_i32 s1, s33, 8
	s_delay_alu instid0(SALU_CYCLE_1) | instskip(NEXT) | instid1(SALU_CYCLE_1)
	s_mul_i32 s0, s1, s0
	s_ashr_i32 s1, s0, 31
	s_delay_alu instid0(SALU_CYCLE_1) | instskip(NEXT) | instid1(SALU_CYCLE_1)
	s_lshl_b64 s[0:1], s[0:1], 1
	v_add_co_u32 v0, vcc_lo, v1, s0
	v_add_co_ci_u32_e32 v1, vcc_lo, s1, v2, vcc_lo
	s_waitcnt lgkmcnt(0)
	global_store_b128 v[0:1], v[3:6], off
	s_nop 0
	s_sendmsg sendmsg(MSG_DEALLOC_VGPRS)
	s_endpgm
	.section	.rodata,"a",@progbits
	.p2align	6, 0x0
	.amdhsa_kernel _Z39paged_attention_ll4mi_QKV_mfma16_kernelIDF16_DF16_LN4vllm18Fp8KVCacheDataTypeE0EhLi16ELi64ELi256ELb0ELi9EL8MFMAType0EEvPKT_PKT0_S8_ifPKiSA_SA_iPKfiiiPfSD_PS3_PT2_iSC_SC_
		.amdhsa_group_segment_fixed_size 17472
		.amdhsa_private_segment_fixed_size 0
		.amdhsa_kernarg_size 400
		.amdhsa_user_sgpr_count 13
		.amdhsa_user_sgpr_dispatch_ptr 0
		.amdhsa_user_sgpr_queue_ptr 0
		.amdhsa_user_sgpr_kernarg_segment_ptr 1
		.amdhsa_user_sgpr_dispatch_id 0
		.amdhsa_user_sgpr_private_segment_size 0
		.amdhsa_wavefront_size32 1
		.amdhsa_uses_dynamic_stack 0
		.amdhsa_enable_private_segment 0
		.amdhsa_system_sgpr_workgroup_id_x 1
		.amdhsa_system_sgpr_workgroup_id_y 1
		.amdhsa_system_sgpr_workgroup_id_z 1
		.amdhsa_system_sgpr_workgroup_info 0
		.amdhsa_system_vgpr_workitem_id 0
		.amdhsa_next_free_vgpr 198
		.amdhsa_next_free_sgpr 52
		.amdhsa_reserve_vcc 1
		.amdhsa_float_round_mode_32 0
		.amdhsa_float_round_mode_16_64 0
		.amdhsa_float_denorm_mode_32 3
		.amdhsa_float_denorm_mode_16_64 3
		.amdhsa_dx10_clamp 1
		.amdhsa_ieee_mode 1
		.amdhsa_fp16_overflow 0
		.amdhsa_workgroup_processor_mode 1
		.amdhsa_memory_ordered 1
		.amdhsa_forward_progress 0
		.amdhsa_shared_vgpr_count 0
		.amdhsa_exception_fp_ieee_invalid_op 0
		.amdhsa_exception_fp_denorm_src 0
		.amdhsa_exception_fp_ieee_div_zero 0
		.amdhsa_exception_fp_ieee_overflow 0
		.amdhsa_exception_fp_ieee_underflow 0
		.amdhsa_exception_fp_ieee_inexact 0
		.amdhsa_exception_int_div_zero 0
	.end_amdhsa_kernel
	.section	.text._Z39paged_attention_ll4mi_QKV_mfma16_kernelIDF16_DF16_LN4vllm18Fp8KVCacheDataTypeE0EhLi16ELi64ELi256ELb0ELi9EL8MFMAType0EEvPKT_PKT0_S8_ifPKiSA_SA_iPKfiiiPfSD_PS3_PT2_iSC_SC_,"axG",@progbits,_Z39paged_attention_ll4mi_QKV_mfma16_kernelIDF16_DF16_LN4vllm18Fp8KVCacheDataTypeE0EhLi16ELi64ELi256ELb0ELi9EL8MFMAType0EEvPKT_PKT0_S8_ifPKiSA_SA_iPKfiiiPfSD_PS3_PT2_iSC_SC_,comdat
.Lfunc_end46:
	.size	_Z39paged_attention_ll4mi_QKV_mfma16_kernelIDF16_DF16_LN4vllm18Fp8KVCacheDataTypeE0EhLi16ELi64ELi256ELb0ELi9EL8MFMAType0EEvPKT_PKT0_S8_ifPKiSA_SA_iPKfiiiPfSD_PS3_PT2_iSC_SC_, .Lfunc_end46-_Z39paged_attention_ll4mi_QKV_mfma16_kernelIDF16_DF16_LN4vllm18Fp8KVCacheDataTypeE0EhLi16ELi64ELi256ELb0ELi9EL8MFMAType0EEvPKT_PKT0_S8_ifPKiSA_SA_iPKfiiiPfSD_PS3_PT2_iSC_SC_
                                        ; -- End function
	.section	.AMDGPU.csdata,"",@progbits
; Kernel info:
; codeLenInByte = 7952
; NumSgprs: 54
; NumVgprs: 198
; ScratchSize: 0
; MemoryBound: 0
; FloatMode: 240
; IeeeMode: 1
; LDSByteSize: 17472 bytes/workgroup (compile time only)
; SGPRBlocks: 6
; VGPRBlocks: 24
; NumSGPRsForWavesPerEU: 54
; NumVGPRsForWavesPerEU: 198
; Occupancy: 7
; WaveLimiterHint : 1
; COMPUTE_PGM_RSRC2:SCRATCH_EN: 0
; COMPUTE_PGM_RSRC2:USER_SGPR: 13
; COMPUTE_PGM_RSRC2:TRAP_HANDLER: 0
; COMPUTE_PGM_RSRC2:TGID_X_EN: 1
; COMPUTE_PGM_RSRC2:TGID_Y_EN: 1
; COMPUTE_PGM_RSRC2:TGID_Z_EN: 1
; COMPUTE_PGM_RSRC2:TIDIG_COMP_CNT: 0
	.section	.text._Z39paged_attention_ll4mi_QKV_mfma16_kernelIDF16_DF16_LN4vllm18Fp8KVCacheDataTypeE0EhLi16ELi64ELi256ELb0ELi10EL8MFMAType0EEvPKT_PKT0_S8_ifPKiSA_SA_iPKfiiiPfSD_PS3_PT2_iSC_SC_,"axG",@progbits,_Z39paged_attention_ll4mi_QKV_mfma16_kernelIDF16_DF16_LN4vllm18Fp8KVCacheDataTypeE0EhLi16ELi64ELi256ELb0ELi10EL8MFMAType0EEvPKT_PKT0_S8_ifPKiSA_SA_iPKfiiiPfSD_PS3_PT2_iSC_SC_,comdat
	.protected	_Z39paged_attention_ll4mi_QKV_mfma16_kernelIDF16_DF16_LN4vllm18Fp8KVCacheDataTypeE0EhLi16ELi64ELi256ELb0ELi10EL8MFMAType0EEvPKT_PKT0_S8_ifPKiSA_SA_iPKfiiiPfSD_PS3_PT2_iSC_SC_ ; -- Begin function _Z39paged_attention_ll4mi_QKV_mfma16_kernelIDF16_DF16_LN4vllm18Fp8KVCacheDataTypeE0EhLi16ELi64ELi256ELb0ELi10EL8MFMAType0EEvPKT_PKT0_S8_ifPKiSA_SA_iPKfiiiPfSD_PS3_PT2_iSC_SC_
	.globl	_Z39paged_attention_ll4mi_QKV_mfma16_kernelIDF16_DF16_LN4vllm18Fp8KVCacheDataTypeE0EhLi16ELi64ELi256ELb0ELi10EL8MFMAType0EEvPKT_PKT0_S8_ifPKiSA_SA_iPKfiiiPfSD_PS3_PT2_iSC_SC_
	.p2align	8
	.type	_Z39paged_attention_ll4mi_QKV_mfma16_kernelIDF16_DF16_LN4vllm18Fp8KVCacheDataTypeE0EhLi16ELi64ELi256ELb0ELi10EL8MFMAType0EEvPKT_PKT0_S8_ifPKiSA_SA_iPKfiiiPfSD_PS3_PT2_iSC_SC_,@function
_Z39paged_attention_ll4mi_QKV_mfma16_kernelIDF16_DF16_LN4vllm18Fp8KVCacheDataTypeE0EhLi16ELi64ELi256ELb0ELi10EL8MFMAType0EEvPKT_PKT0_S8_ifPKiSA_SA_iPKfiiiPfSD_PS3_PT2_iSC_SC_: ; @_Z39paged_attention_ll4mi_QKV_mfma16_kernelIDF16_DF16_LN4vllm18Fp8KVCacheDataTypeE0EhLi16ELi64ELi256ELb0ELi10EL8MFMAType0EEvPKT_PKT0_S8_ifPKiSA_SA_iPKfiiiPfSD_PS3_PT2_iSC_SC_
; %bb.0:
	s_load_b64 s[2:3], s[0:1], 0x30
	s_mov_b32 s34, s13
	s_waitcnt lgkmcnt(0)
	s_cmp_lg_u64 s[2:3], 0
	s_cselect_b32 s6, -1, 0
	s_ashr_i32 s35, s13, 31
	s_cmp_eq_u64 s[2:3], 0
	s_cbranch_scc1 .LBB47_3
; %bb.1:
	s_lshl_b64 s[4:5], s[34:35], 2
	s_delay_alu instid0(SALU_CYCLE_1) | instskip(SKIP_4) | instid1(SALU_CYCLE_1)
	s_add_u32 s4, s2, s4
	s_addc_u32 s5, s3, s5
	s_load_b64 s[4:5], s[4:5], 0x0
	s_waitcnt lgkmcnt(0)
	s_sub_i32 s4, s5, s4
	s_cmp_eq_u32 s4, 1
	s_cselect_b32 s4, -1, 0
	s_delay_alu instid0(SALU_CYCLE_1)
	s_and_not1_b32 vcc_lo, exec_lo, s4
	s_cbranch_vccz .LBB47_4
.LBB47_2:
	s_endpgm
.LBB47_3:
.LBB47_4:
	s_load_b64 s[8:9], s[0:1], 0x28
	s_lshl_b64 s[4:5], s[34:35], 2
	s_waitcnt lgkmcnt(0)
	s_add_u32 s8, s8, s4
	s_addc_u32 s9, s9, s5
	s_lshl_b32 s35, s14, 8
	s_load_b32 s30, s[8:9], 0x0
	s_waitcnt lgkmcnt(0)
	s_cmp_ge_i32 s35, s30
	s_cbranch_scc1 .LBB47_2
; %bb.5:
	s_clause 0x1
	s_load_b128 s[8:11], s[0:1], 0x8
	s_load_b64 s[12:13], s[0:1], 0x20
	s_and_not1_b32 vcc_lo, exec_lo, s6
	s_cbranch_vccnz .LBB47_7
; %bb.6:
	s_add_u32 s2, s2, s4
	s_addc_u32 s3, s3, s5
	s_load_b32 s3, s[2:3], 0x0
	s_branch .LBB47_8
.LBB47_7:
	s_mov_b32 s3, s34
.LBB47_8:
	s_load_b128 s[4:7], s[0:1], 0x48
	v_and_b32_e32 v148, 15, v0
	v_cmp_gt_u32_e32 vcc_lo, 0xa0, v0
	v_lshrrev_b32_e32 v149, 5, v0
	v_and_b32_e32 v150, 31, v0
	v_and_b32_e32 v147, 1, v0
	v_lshlrev_b32_e32 v1, 3, v148
	v_cmp_gt_u32_e64 s2, 8, v148
	v_bfe_u32 v146, v0, 4, 1
	s_mul_i32 s31, s15, 10
	s_delay_alu instid0(VALU_DEP_3) | instskip(NEXT) | instid1(VALU_DEP_3)
	v_lshlrev_b32_e32 v145, 1, v1
	s_and_b32 s16, vcc_lo, s2
	s_waitcnt lgkmcnt(0)
	s_and_saveexec_b32 s7, s16
	s_cbranch_execz .LBB47_10
; %bb.9:
	s_load_b64 s[16:17], s[0:1], 0x0
	v_lshl_or_b32 v5, v149, 1, v146
	s_mul_hi_i32 s19, s3, s4
	s_mul_i32 s18, s3, s4
	v_lshlrev_b32_e32 v6, 10, v148
	s_lshl_b64 s[18:19], s[18:19], 1
	v_add_lshl_u32 v1, v5, s31, 6
	v_lshlrev_b32_e32 v5, 6, v5
	v_lshlrev_b32_e32 v7, 10, v147
	v_and_b32_e32 v6, 0x3800, v6
	s_delay_alu instid0(VALU_DEP_4) | instskip(NEXT) | instid1(VALU_DEP_2)
	v_ashrrev_i32_e32 v2, 31, v1
	v_or3_b32 v5, v6, v7, v5
	s_delay_alu instid0(VALU_DEP_2) | instskip(SKIP_3) | instid1(VALU_DEP_1)
	v_lshlrev_b64 v[1:2], 1, v[1:2]
	s_waitcnt lgkmcnt(0)
	s_add_u32 s3, s16, s18
	s_addc_u32 s4, s17, s19
	v_add_co_u32 v1, vcc_lo, s3, v1
	s_delay_alu instid0(VALU_DEP_2) | instskip(NEXT) | instid1(VALU_DEP_2)
	v_add_co_ci_u32_e32 v2, vcc_lo, s4, v2, vcc_lo
	v_add_co_u32 v1, vcc_lo, v1, v145
	s_delay_alu instid0(VALU_DEP_2)
	v_add_co_ci_u32_e32 v2, vcc_lo, 0, v2, vcc_lo
	global_load_b128 v[1:4], v[1:2], off
	s_waitcnt vmcnt(0)
	ds_store_b128 v5, v[1:4]
.LBB47_10:
	s_or_b32 exec_lo, exec_lo, s7
	s_mov_b32 s40, 0
	s_add_i32 s3, s30, 15
	s_mov_b32 s41, s40
	s_mov_b32 s42, s40
	;; [unrolled: 1-line block ×7, first 2 shown]
	s_delay_alu instid0(SALU_CYCLE_1)
	v_dual_mov_b32 v144, s47 :: v_dual_and_b32 v1, 0xef, v0
	v_mov_b32_e32 v142, s45
	s_ashr_i32 s7, s3, 31
	s_clause 0x1
	s_load_b32 s4, s[0:1], 0x38
	s_load_b32 s33, s[0:1], 0x98
	v_add_nc_u32_e32 v1, s35, v1
	s_lshr_b32 s7, s7, 28
	s_load_b32 s36, s[0:1], 0x1c
	s_add_i32 s3, s3, s7
	s_waitcnt lgkmcnt(0)
	v_ashrrev_i32_e32 v2, 31, v1
	v_or_b32_e32 v3, 16, v1
	s_ashr_i32 s3, s3, 4
	v_cmp_gt_i32_e32 vcc_lo, s30, v1
	s_add_i32 s3, s3, -1
	v_lshrrev_b32_e32 v2, 28, v2
	v_mov_b32_e32 v143, s46
	s_barrier
	buffer_gl0_inv
	s_mul_i32 s6, s15, s6
	v_dual_mov_b32 v141, s44 :: v_dual_add_nc_u32 v4, v1, v2
	v_mov_b32_e32 v139, s42
	s_mul_i32 s16, s34, s4
	v_mov_b32_e32 v137, s40
	s_delay_alu instid0(VALU_DEP_3)
	v_ashrrev_i32_e32 v4, 4, v4
	v_add_nc_u32_e32 v2, v3, v2
	s_ashr_i32 s17, s16, 31
	v_mov_b32_e32 v140, s43
	s_lshl_b64 s[16:17], s[16:17], 2
	v_cndmask_b32_e32 v1, s3, v4, vcc_lo
	v_ashrrev_i32_e32 v2, 4, v2
	v_cmp_gt_i32_e32 vcc_lo, s30, v3
	s_add_u32 s4, s12, s16
	s_addc_u32 s37, s13, s17
	s_ashr_i32 s7, s6, 31
	v_mov_b32_e32 v138, s41
	v_cndmask_b32_e32 v3, s3, v2, vcc_lo
	v_ashrrev_i32_e32 v2, 31, v1
	s_lshl_b64 s[6:7], s[6:7], 1
	s_delay_alu instid0(SALU_CYCLE_1) | instskip(NEXT) | instid1(VALU_DEP_2)
	s_add_u32 s24, s8, s6
	v_ashrrev_i32_e32 v4, 31, v3
	s_delay_alu instid0(VALU_DEP_2) | instskip(SKIP_2) | instid1(VALU_DEP_2)
	v_lshlrev_b64 v[1:2], 2, v[1:2]
	s_addc_u32 s25, s9, s7
	s_lshl_b32 s8, s14, 4
	v_lshlrev_b64 v[3:4], 2, v[3:4]
	s_ashr_i32 s9, s8, 31
	s_delay_alu instid0(VALU_DEP_2) | instskip(SKIP_1) | instid1(VALU_DEP_3)
	v_add_co_u32 v1, vcc_lo, s4, v1
	v_add_co_ci_u32_e32 v2, vcc_lo, s37, v2, vcc_lo
	v_add_co_u32 v3, vcc_lo, s4, v3
	s_delay_alu instid0(VALU_DEP_4)
	v_add_co_ci_u32_e32 v4, vcc_lo, s37, v4, vcc_lo
	s_clause 0x1
	global_load_b32 v5, v[1:2], off
	global_load_b32 v6, v[3:4], off
	s_lshl_b64 s[8:9], s[8:9], 2
	v_lshlrev_b32_e32 v3, 4, v0
	s_add_u32 s8, s4, s8
	s_addc_u32 s9, s37, s9
	s_or_b32 s12, s35, 16
	s_delay_alu instid0(SALU_CYCLE_1) | instskip(SKIP_2) | instid1(SALU_CYCLE_1)
	s_ashr_i32 s13, s12, 4
	s_cmp_lt_i32 s12, s30
	s_cselect_b32 s12, s13, s3
	s_ashr_i32 s13, s12, 31
	s_delay_alu instid0(SALU_CYCLE_1) | instskip(NEXT) | instid1(SALU_CYCLE_1)
	s_lshl_b64 s[12:13], s[12:13], 2
	s_add_u32 s12, s4, s12
	s_addc_u32 s13, s37, s13
	s_or_b32 s15, s35, 32
	s_delay_alu instid0(SALU_CYCLE_1) | instskip(SKIP_2) | instid1(SALU_CYCLE_1)
	s_ashr_i32 s16, s15, 4
	s_cmp_lt_i32 s15, s30
	s_cselect_b32 s16, s16, s3
	s_ashr_i32 s17, s16, 31
	s_delay_alu instid0(SALU_CYCLE_1) | instskip(NEXT) | instid1(SALU_CYCLE_1)
	s_lshl_b64 s[16:17], s[16:17], 2
	;; [unrolled: 10-line block ×5, first 2 shown]
	s_add_u32 s22, s4, s22
	s_addc_u32 s23, s37, s23
	s_clause 0x5
	s_load_b32 s8, s[8:9], 0x0
	s_load_b32 s12, s[12:13], 0x0
	;; [unrolled: 1-line block ×6, first 2 shown]
	s_waitcnt lgkmcnt(0)
	s_mul_hi_i32 s17, s16, s5
	s_mul_i32 s16, s16, s5
	s_waitcnt vmcnt(1)
	v_mad_i64_i32 v[1:2], null, v5, s5, 0
	v_and_b32_e32 v5, 0xf0, v3
	s_waitcnt vmcnt(0)
	v_mad_i64_i32 v[3:4], null, v6, s5, 0
	s_delay_alu instid0(VALU_DEP_2) | instskip(NEXT) | instid1(VALU_DEP_4)
	v_add_co_u32 v7, s9, s24, v5
	v_lshlrev_b64 v[1:2], 1, v[1:2]
	v_add_co_ci_u32_e64 v8, null, s25, 0, s9
	s_delay_alu instid0(VALU_DEP_4) | instskip(SKIP_1) | instid1(VALU_DEP_3)
	v_lshlrev_b64 v[5:6], 1, v[3:4]
	s_or_b32 s9, s35, 0x60
	v_add_co_u32 v3, vcc_lo, v7, v1
	s_delay_alu instid0(VALU_DEP_3) | instskip(NEXT) | instid1(VALU_DEP_3)
	v_add_co_ci_u32_e32 v4, vcc_lo, v8, v2, vcc_lo
	v_add_co_u32 v1, vcc_lo, v7, v5
	s_delay_alu instid0(VALU_DEP_4)
	v_add_co_ci_u32_e32 v2, vcc_lo, v8, v6, vcc_lo
	s_clause 0x9
	global_load_b128 v[9:12], v[3:4], off
	global_load_b128 v[13:16], v[3:4], off offset:256
	global_load_b128 v[129:132], v[1:2], off
	global_load_b128 v[133:136], v[1:2], off offset:256
	global_load_b128 v[41:44], v[3:4], off offset:512
	;; [unrolled: 1-line block ×7, first 2 shown]
	v_add_nc_u32_e32 v5, -10, v148
	v_cmp_gt_u32_e32 vcc_lo, 10, v148
	s_clause 0x1
	global_load_b128 v[151:154], v[1:2], off offset:1024
	global_load_b128 v[155:158], v[1:2], off offset:1280
	s_ashr_i32 s13, s9, 4
	s_cmp_lt_i32 s9, s30
	v_lshlrev_b32_e32 v6, 5, v148
	v_cndmask_b32_e32 v5, v5, v148, vcc_lo
	s_cselect_b32 s22, s13, s3
	s_delay_alu instid0(SALU_CYCLE_1) | instskip(NEXT) | instid1(VALU_DEP_2)
	s_ashr_i32 s23, s22, 31
	v_lshl_or_b32 v6, v149, 9, v6
	s_delay_alu instid0(VALU_DEP_2)
	v_lshlrev_b32_e32 v197, 6, v5
	ds_load_b128 v[159:162], v197
	ds_load_b128 v[163:166], v197 offset:1024
	s_clause 0x3
	global_load_b128 v[167:170], v[3:4], off offset:1536
	global_load_b128 v[171:174], v[3:4], off offset:1792
	;; [unrolled: 1-line block ×4, first 2 shown]
	s_lshl_b64 s[22:23], s[22:23], 2
	s_delay_alu instid0(SALU_CYCLE_1)
	s_add_u32 s22, s4, s22
	s_addc_u32 s23, s37, s23
	s_or_b32 s9, s35, 0x70
	s_load_b32 s46, s[22:23], 0x0
	s_ashr_i32 s13, s9, 4
	s_cmp_lt_i32 s9, s30
	s_cselect_b32 s24, s13, s3
	s_delay_alu instid0(SALU_CYCLE_1) | instskip(NEXT) | instid1(SALU_CYCLE_1)
	s_ashr_i32 s25, s24, 31
	s_lshl_b64 s[24:25], s[24:25], 2
	s_delay_alu instid0(SALU_CYCLE_1)
	s_add_u32 s24, s4, s24
	s_addc_u32 s25, s37, s25
	s_or_b32 s9, s35, 0x80
	s_load_b32 s47, s[24:25], 0x0
	s_ashr_i32 s13, s9, 4
	s_cmp_lt_i32 s9, s30
	s_cselect_b32 s26, s13, s3
	s_delay_alu instid0(SALU_CYCLE_1) | instskip(NEXT) | instid1(SALU_CYCLE_1)
	s_ashr_i32 s27, s26, 31
	;; [unrolled: 11-line block ×3, first 2 shown]
	s_lshl_b64 s[28:29], s[28:29], 2
	s_delay_alu instid0(SALU_CYCLE_1) | instskip(SKIP_2) | instid1(SALU_CYCLE_1)
	s_add_u32 s28, s4, s28
	s_addc_u32 s29, s37, s29
	s_or_b32 s9, s35, 0xa0
	s_ashr_i32 s13, s9, 4
	s_cmp_lt_i32 s9, s30
	s_cselect_b32 s38, s13, s3
	s_delay_alu instid0(SALU_CYCLE_1) | instskip(NEXT) | instid1(SALU_CYCLE_1)
	s_ashr_i32 s39, s38, 31
	s_lshl_b64 s[38:39], s[38:39], 2
	s_delay_alu instid0(SALU_CYCLE_1) | instskip(SKIP_2) | instid1(SALU_CYCLE_1)
	s_add_u32 s38, s4, s38
	s_addc_u32 s39, s37, s39
	s_or_b32 s9, s35, 0xb0
	s_ashr_i32 s13, s9, 4
	s_cmp_lt_i32 s9, s30
	s_mul_hi_i32 s9, s8, s5
	s_cselect_b32 s40, s13, s3
	s_mul_i32 s8, s8, s5
	s_ashr_i32 s41, s40, 31
	s_mul_hi_i32 s13, s12, s5
	s_lshl_b64 s[40:41], s[40:41], 2
	s_mul_i32 s12, s12, s5
	s_add_u32 s42, s4, s40
	s_addc_u32 s43, s37, s41
	s_or_b32 s19, s35, 0xc0
	s_delay_alu instid0(SALU_CYCLE_1)
	s_ashr_i32 s21, s19, 4
	s_cmp_lt_i32 s19, s30
	s_mul_hi_i32 s19, s18, s5
	s_cselect_b32 s40, s21, s3
	s_mul_i32 s18, s18, s5
	s_ashr_i32 s41, s40, 31
	s_mul_hi_i32 s21, s20, s5
	s_lshl_b64 s[40:41], s[40:41], 2
	s_mul_i32 s20, s20, s5
	s_add_u32 s44, s4, s40
	s_addc_u32 s45, s37, s41
	s_load_b32 s41, s[28:29], 0x0
	s_or_b32 s40, s35, 0xd0
	s_mul_hi_i32 s23, s15, s5
	s_ashr_i32 s22, s40, 4
	s_cmp_lt_i32 s40, s30
	s_load_b32 s40, s[38:39], 0x0
	s_cselect_b32 s24, s22, s3
	s_mul_i32 s22, s15, s5
	s_ashr_i32 s25, s24, 31
	s_waitcnt lgkmcnt(0)
	s_mul_hi_i32 s29, s48, s5
	s_lshl_b64 s[24:25], s[24:25], 2
	s_mul_i32 s28, s48, s5
	s_add_u32 s24, s4, s24
	s_addc_u32 s25, s37, s25
	s_or_b32 s49, s35, 0xe0
	s_clause 0x2
	s_load_b32 s39, s[42:43], 0x0
	s_load_b32 s38, s[44:45], 0x0
	s_load_b32 s15, s[24:25], 0x0
	s_ashr_i32 s50, s49, 4
	s_cmp_lt_i32 s49, s30
	s_mul_hi_i32 s25, s46, s5
	s_cselect_b32 s44, s50, s3
	s_mul_i32 s24, s46, s5
	s_ashr_i32 s45, s44, 31
	s_mul_hi_i32 s27, s47, s5
	s_lshl_b64 s[44:45], s[44:45], 2
	s_mul_i32 s26, s47, s5
	s_add_u32 s44, s4, s44
	s_addc_u32 s45, s37, s45
	s_or_b32 s46, s35, 0xf0
	s_mul_hi_i32 s43, s41, s5
	s_ashr_i32 s48, s46, 4
	s_cmp_lt_i32 s46, s30
	s_mul_i32 s42, s41, s5
	s_cselect_b32 s48, s48, s3
	s_mul_hi_i32 s41, s40, s5
	s_ashr_i32 s49, s48, 31
	s_mul_i32 s40, s40, s5
	s_lshl_b64 s[48:49], s[48:49], 2
	s_waitcnt lgkmcnt(0)
	s_mul_hi_i32 s47, s39, s5
	s_add_u32 s48, s4, s48
	s_addc_u32 s49, s37, s49
	s_add_u32 s3, s10, s6
	s_addc_u32 s4, s11, s7
	v_add_co_u32 v195, s3, s3, v6
	s_delay_alu instid0(VALU_DEP_1) | instskip(SKIP_2) | instid1(VALU_DEP_2)
	v_add_co_ci_u32_e64 v196, null, s4, 0, s3
	s_lshl_b64 s[6:7], s[8:9], 1
	s_lshl_b64 s[8:9], s[12:13], 1
	v_add_co_u32 v1, vcc_lo, v195, s6
	s_delay_alu instid0(VALU_DEP_2)
	v_add_co_ci_u32_e32 v2, vcc_lo, s7, v196, vcc_lo
	v_add_co_u32 v3, vcc_lo, v195, s8
	s_lshl_b64 s[10:11], s[16:17], 1
	v_add_co_ci_u32_e32 v4, vcc_lo, s9, v196, vcc_lo
	v_add_co_u32 v5, vcc_lo, v195, s10
	s_lshl_b64 s[12:13], s[18:19], 1
	v_add_co_ci_u32_e32 v6, vcc_lo, s11, v196, vcc_lo
	v_add_co_u32 v7, vcc_lo, v195, s12
	s_lshl_b64 s[16:17], s[20:21], 1
	v_add_co_ci_u32_e32 v8, vcc_lo, s13, v196, vcc_lo
	v_add_co_u32 v25, vcc_lo, v195, s16
	s_lshl_b64 s[18:19], s[22:23], 1
	v_add_co_ci_u32_e32 v26, vcc_lo, s17, v196, vcc_lo
	v_add_co_u32 v27, vcc_lo, v195, s18
	s_lshl_b64 s[20:21], s[24:25], 1
	v_add_co_ci_u32_e32 v28, vcc_lo, s19, v196, vcc_lo
	v_add_co_u32 v29, vcc_lo, v195, s20
	s_lshl_b64 s[22:23], s[26:27], 1
	v_add_co_ci_u32_e32 v30, vcc_lo, s21, v196, vcc_lo
	v_add_co_u32 v31, vcc_lo, v195, s22
	s_lshl_b64 s[24:25], s[28:29], 1
	v_add_co_ci_u32_e32 v32, vcc_lo, s23, v196, vcc_lo
	v_add_co_u32 v49, vcc_lo, v195, s24
	s_lshl_b64 s[26:27], s[42:43], 1
	v_add_co_ci_u32_e32 v50, vcc_lo, s25, v196, vcc_lo
	v_add_co_u32 v53, vcc_lo, v195, s26
	s_lshl_b64 s[28:29], s[40:41], 1
	s_mul_i32 s46, s39, s5
	v_add_co_ci_u32_e32 v54, vcc_lo, s27, v196, vcc_lo
	v_add_co_u32 v183, vcc_lo, v195, s28
	s_lshl_b64 s[40:41], s[46:47], 1
	s_mul_hi_i32 s39, s38, s5
	s_mul_i32 s38, s38, s5
	v_add_co_ci_u32_e32 v184, vcc_lo, s29, v196, vcc_lo
	v_add_co_u32 v185, vcc_lo, v195, s40
	s_lshl_b64 s[38:39], s[38:39], 1
	s_clause 0x1
	s_load_b32 s3, s[44:45], 0x0
	s_load_b32 s4, s[48:49], 0x0
	v_add_co_ci_u32_e32 v186, vcc_lo, s41, v196, vcc_lo
	v_add_co_u32 v191, vcc_lo, v195, s38
	v_add_co_ci_u32_e32 v192, vcc_lo, s39, v196, vcc_lo
	s_clause 0x17
	global_load_b128 v[121:124], v[1:2], off
	global_load_b128 v[125:128], v[1:2], off offset:16
	global_load_b128 v[113:116], v[3:4], off
	global_load_b128 v[117:120], v[3:4], off offset:16
	;; [unrolled: 2-line block ×12, first 2 shown]
	s_mul_hi_i32 s51, s15, s5
	s_mul_i32 s50, s15, s5
	s_delay_alu instid0(SALU_CYCLE_1) | instskip(NEXT) | instid1(SALU_CYCLE_1)
	s_lshl_b64 s[42:43], s[50:51], 1
	v_add_co_u32 v193, vcc_lo, v195, s42
	v_add_co_ci_u32_e32 v194, vcc_lo, s43, v196, vcc_lo
	s_waitcnt lgkmcnt(0)
	s_mul_hi_i32 s7, s3, s5
	s_mul_i32 s6, s3, s5
	s_mul_hi_i32 s9, s4, s5
	s_lshl_b64 s[6:7], s[6:7], 1
	s_mul_i32 s8, s4, s5
	s_delay_alu instid0(SALU_CYCLE_1)
	s_lshl_b64 s[4:5], s[8:9], 1
	s_waitcnt vmcnt(38)
	v_wmma_f32_16x16x16_f16 v[183:190], v[9:16], v[159:166], v[137:144]
	s_waitcnt vmcnt(36)
	v_wmma_f32_16x16x16_f16 v[137:144], v[129:136], v[159:166], v[137:144]
	s_clause 0x1
	global_load_b128 v[9:12], v[191:192], off
	global_load_b128 v[13:16], v[191:192], off offset:16
	ds_load_b128 v[129:132], v197 offset:2048
	ds_load_b128 v[133:136], v197 offset:3072
	;; [unrolled: 1-line block ×4, first 2 shown]
	v_add_co_u32 v191, vcc_lo, v195, s6
	v_add_co_ci_u32_e32 v192, vcc_lo, s7, v196, vcc_lo
	v_add_co_u32 v195, vcc_lo, v195, s4
	v_add_co_ci_u32_e32 v196, vcc_lo, s5, v196, vcc_lo
	s_waitcnt vmcnt(36) lgkmcnt(2)
	v_wmma_f32_16x16x16_f16 v[183:190], v[41:48], v[129:136], v[183:190]
	s_waitcnt vmcnt(34)
	v_wmma_f32_16x16x16_f16 v[137:144], v[33:40], v[129:136], v[137:144]
	s_clause 0x3
	global_load_b128 v[33:36], v[193:194], off
	global_load_b128 v[37:40], v[193:194], off offset:16
	global_load_b128 v[41:44], v[191:192], off
	global_load_b128 v[45:48], v[191:192], off offset:16
	v_and_b32_e32 v129, 0xe0, v0
	v_mbcnt_lo_u32_b32 v191, -1, 0
	s_waitcnt vmcnt(36) lgkmcnt(0)
	v_wmma_f32_16x16x16_f16 v[183:190], v[17:24], v[159:166], v[183:190]
	s_clause 0x1
	global_load_b128 v[17:20], v[195:196], off
	global_load_b128 v[21:24], v[195:196], off offset:16
	s_waitcnt vmcnt(36)
	v_wmma_f32_16x16x16_f16 v[137:144], v[151:158], v[159:166], v[137:144]
	v_add_nc_u32_e32 v192, s35, v129
	ds_load_b128 v[129:132], v197 offset:6144
	ds_load_b128 v[133:136], v197 offset:7168
	v_xor_b32_e32 v151, 16, v191
	s_waitcnt vmcnt(0) lgkmcnt(0)
	s_barrier
	v_or_b32_e32 v152, v192, v146
	buffer_gl0_inv
	v_cmp_gt_i32_e32 vcc_lo, 32, v151
	v_or_b32_e32 v153, 2, v152
	v_or_b32_e32 v154, 4, v152
	;; [unrolled: 1-line block ×5, first 2 shown]
	v_cmp_gt_i32_e64 s3, s30, v153
	v_cmp_gt_i32_e64 s4, s30, v154
	v_cmp_gt_i32_e64 s5, s30, v155
	v_or_b32_e32 v158, 12, v152
	v_or_b32_e32 v159, 14, v152
	v_cmp_gt_i32_e64 s6, s30, v156
	v_wmma_f32_16x16x16_f16 v[183:190], v[167:174], v[129:136], v[183:190]
	v_wmma_f32_16x16x16_f16 v[137:144], v[175:182], v[129:136], v[137:144]
	v_cndmask_b32_e32 v151, v191, v151, vcc_lo
	v_cmp_gt_i32_e32 vcc_lo, s30, v152
	v_cmp_gt_i32_e64 s7, s30, v157
	v_dual_mul_f32 v135, s36, v184 :: v_dual_mul_f32 v136, s36, v183
	v_dual_mul_f32 v133, s36, v186 :: v_dual_mul_f32 v134, s36, v185
	;; [unrolled: 1-line block ×3, first 2 shown]
	s_delay_alu instid0(VALU_DEP_3) | instskip(NEXT) | instid1(VALU_DEP_4)
	v_cndmask_b32_e32 v136, 0xff7fffff, v136, vcc_lo
	v_cndmask_b32_e64 v135, 0xff7fffff, v135, s3
	v_mul_f32_e32 v132, s36, v187
	v_cndmask_b32_e64 v134, 0xff7fffff, v134, s4
	v_cndmask_b32_e64 v133, 0xff7fffff, v133, s5
	v_or_b32_e32 v160, 16, v152
	v_max3_f32 v135, v136, 0xff7fffff, v135
	v_or_b32_e32 v161, 18, v152
	v_mul_f32_e32 v130, s36, v189
	v_dual_mul_f32 v172, s36, v140 :: v_dual_mul_f32 v129, s36, v190
	v_cndmask_b32_e64 v132, 0xff7fffff, v132, s6
	v_cndmask_b32_e64 v131, 0xff7fffff, v131, s7
	v_max3_f32 v133, v135, v134, v133
	v_cmp_gt_i32_e64 s8, s30, v158
	v_cmp_gt_i32_e64 s9, s30, v159
	v_or_b32_e32 v162, 20, v152
	v_or_b32_e32 v163, 22, v152
	v_mul_f32_e32 v175, s36, v137
	v_cndmask_b32_e64 v130, 0xff7fffff, v130, s8
	v_cndmask_b32_e64 v129, 0xff7fffff, v129, s9
	v_max3_f32 v131, v133, v132, v131
	v_cmp_gt_i32_e64 s10, s30, v160
	v_cmp_gt_i32_e64 s11, s30, v161
	v_or_b32_e32 v164, 24, v152
	v_or_b32_e32 v165, 26, v152
	v_mul_f32_e32 v173, s36, v139
	v_cndmask_b32_e64 v132, 0xff7fffff, v175, s10
	v_cndmask_b32_e64 v133, 0xff7fffff, v174, s11
	v_max3_f32 v129, v131, v130, v129
	v_cmp_gt_i32_e64 s12, s30, v162
	v_cmp_gt_i32_e64 s13, s30, v163
	v_or_b32_e32 v166, 28, v152
	v_or_b32_e32 v167, 30, v152
	v_dual_mul_f32 v170, s36, v142 :: v_dual_mul_f32 v171, s36, v141
	v_cndmask_b32_e64 v130, 0xff7fffff, v173, s12
	v_cndmask_b32_e64 v131, 0xff7fffff, v172, s13
	v_max3_f32 v129, v129, v132, v133
	v_cmp_gt_i32_e64 s15, s30, v164
	v_cmp_gt_i32_e64 s16, s30, v165
	v_dual_mul_f32 v168, s36, v144 :: v_dual_mul_f32 v169, s36, v143
	s_delay_alu instid0(VALU_DEP_4) | instskip(NEXT) | instid1(VALU_DEP_4)
	v_max3_f32 v129, v129, v130, v131
	v_cndmask_b32_e64 v132, 0xff7fffff, v171, s15
	s_delay_alu instid0(VALU_DEP_4) | instskip(SKIP_2) | instid1(VALU_DEP_3)
	v_cndmask_b32_e64 v133, 0xff7fffff, v170, s16
	v_cmp_gt_i32_e64 s17, s30, v166
	v_cmp_gt_i32_e64 s18, s30, v167
	v_max3_f32 v129, v129, v132, v133
	s_delay_alu instid0(VALU_DEP_3) | instskip(NEXT) | instid1(VALU_DEP_3)
	v_cndmask_b32_e64 v130, 0xff7fffff, v169, s17
	v_cndmask_b32_e64 v131, 0xff7fffff, v168, s18
	v_lshlrev_b32_e32 v132, 2, v151
	s_delay_alu instid0(VALU_DEP_2) | instskip(SKIP_3) | instid1(VALU_DEP_1)
	v_max3_f32 v129, v129, v130, v131
	ds_bpermute_b32 v130, v132, v129
	s_waitcnt lgkmcnt(0)
	v_max_f32_e32 v130, v130, v130
	v_max_f32_e32 v129, v129, v130
	s_delay_alu instid0(VALU_DEP_1) | instskip(SKIP_4) | instid1(VALU_DEP_4)
	v_fma_f32 v134, s36, v186, -v129
	v_fma_f32 v135, s36, v187, -v129
	;; [unrolled: 1-line block ×5, first 2 shown]
	v_dual_mul_f32 v134, 0x3fb8aa3b, v134 :: v_dual_mul_f32 v135, 0x3fb8aa3b, v135
	s_delay_alu instid0(VALU_DEP_4) | instskip(SKIP_1) | instid1(VALU_DEP_3)
	v_mul_f32_e32 v130, 0x3fb8aa3b, v130
	v_fma_f32 v136, s36, v189, -v129
	v_exp_f32_e32 v134, v134
	s_delay_alu instid0(VALU_DEP_3) | instskip(NEXT) | instid1(VALU_DEP_2)
	v_exp_f32_e32 v135, v135
	v_exp_f32_e32 v130, v130
	s_delay_alu instid0(VALU_DEP_1) | instskip(NEXT) | instid1(VALU_DEP_1)
	v_mul_f32_e32 v136, 0x3fb8aa3b, v136
	v_exp_f32_e32 v136, v136
	v_cndmask_b32_e64 v153, 0, v134, s5
	v_fma_f32 v134, s36, v137, -v129
	v_mul_f32_e32 v131, 0x3fb8aa3b, v131
	s_delay_alu instid0(TRANS32_DEP_3) | instskip(NEXT) | instid1(TRANS32_DEP_2)
	v_cndmask_b32_e64 v155, 0, v135, s6
	v_dual_mul_f32 v133, 0x3fb8aa3b, v133 :: v_dual_cndmask_b32 v152, 0, v130
	s_delay_alu instid0(VALU_DEP_4) | instskip(NEXT) | instid1(VALU_DEP_4)
	v_mul_f32_e32 v134, 0x3fb8aa3b, v134
	v_exp_f32_e32 v131, v131
	v_fma_f32 v135, s36, v138, -v129
	s_delay_alu instid0(VALU_DEP_3)
	v_exp_f32_e32 v133, v133
	v_fma_f32 v130, s36, v188, -v129
	v_cndmask_b32_e64 v156, 0, v136, s8
	v_fma_f32 v136, s36, v140, -v129
	v_mul_f32_e32 v135, 0x3fb8aa3b, v135
	v_exp_f32_e32 v134, v134
	v_mul_f32_e32 v130, 0x3fb8aa3b, v130
	s_delay_alu instid0(TRANS32_DEP_3) | instskip(SKIP_1) | instid1(TRANS32_DEP_2)
	v_cndmask_b32_e64 v151, 0, v131, s3
	v_add_f32_e32 v131, 0, v152
	v_cndmask_b32_e64 v154, 0, v133, s4
	v_exp_f32_e32 v135, v135
	v_fma_f32 v133, s36, v190, -v129
	v_exp_f32_e32 v130, v130
	v_dual_add_f32 v131, v131, v151 :: v_dual_mul_f32 v136, 0x3fb8aa3b, v136
	s_mov_b32 s3, exec_lo
	s_delay_alu instid0(VALU_DEP_2) | instskip(NEXT) | instid1(VALU_DEP_2)
	v_mul_f32_e32 v133, 0x3fb8aa3b, v133
	v_add_f32_e32 v131, v131, v154
	s_delay_alu instid0(VALU_DEP_3) | instskip(NEXT) | instid1(TRANS32_DEP_3)
	v_exp_f32_e32 v136, v136
	v_cndmask_b32_e64 v140, 0, v135, s11
	s_delay_alu instid0(VALU_DEP_3) | instskip(NEXT) | instid1(TRANS32_DEP_3)
	v_exp_f32_e32 v133, v133
	v_cndmask_b32_e64 v138, 0, v130, s7
	v_add_f32_e32 v131, v131, v153
	v_fma_f32 v135, s36, v143, -v129
	s_delay_alu instid0(VALU_DEP_2)
	v_add_f32_e32 v130, v131, v155
	v_fma_f32 v131, s36, v139, -v129
	s_waitcnt_depctr 0xfff
	v_cndmask_b32_e64 v139, 0, v133, s9
	v_fma_f32 v133, s36, v141, -v129
	v_add_f32_e32 v130, v130, v138
	v_cndmask_b32_e64 v141, 0, v134, s10
	v_fma_f32 v134, s36, v142, -v129
	v_cndmask_b32_e64 v142, 0, v136, s13
	s_delay_alu instid0(VALU_DEP_4) | instskip(NEXT) | instid1(VALU_DEP_3)
	v_dual_mul_f32 v131, 0x3fb8aa3b, v131 :: v_dual_add_f32 v130, v130, v156
	v_mul_f32_e32 v134, 0x3fb8aa3b, v134
	s_delay_alu instid0(VALU_DEP_2) | instskip(NEXT) | instid1(VALU_DEP_2)
	v_exp_f32_e32 v131, v131
	v_add_f32_e32 v130, v130, v139
	s_delay_alu instid0(VALU_DEP_2) | instskip(NEXT) | instid1(VALU_DEP_1)
	v_exp_f32_e32 v134, v134
	v_add_f32_e32 v130, v130, v141
	s_waitcnt_depctr 0xfff
	v_cndmask_b32_e64 v143, 0, v131, s12
	v_dual_add_f32 v130, v130, v140 :: v_dual_mul_f32 v133, 0x3fb8aa3b, v133
	s_delay_alu instid0(VALU_DEP_1) | instskip(NEXT) | instid1(VALU_DEP_2)
	v_add_f32_e32 v130, v130, v143
	v_exp_f32_e32 v133, v133
	s_delay_alu instid0(VALU_DEP_1)
	v_add_f32_e32 v130, v130, v142
	s_waitcnt_depctr 0xfff
	v_cndmask_b32_e64 v157, 0, v133, s15
	v_mul_f32_e32 v131, 0x3fb8aa3b, v135
	v_fma_f32 v135, s36, v144, -v129
	v_cndmask_b32_e64 v144, 0, v134, s16
	s_delay_alu instid0(VALU_DEP_4) | instskip(NEXT) | instid1(VALU_DEP_4)
	v_add_f32_e32 v130, v130, v157
	v_exp_f32_e32 v131, v131
	s_delay_alu instid0(VALU_DEP_1) | instskip(NEXT) | instid1(VALU_DEP_1)
	v_dual_mul_f32 v133, 0x3fb8aa3b, v135 :: v_dual_add_f32 v130, v130, v144
	v_exp_f32_e32 v133, v133
	s_waitcnt_depctr 0xfff
	v_cndmask_b32_e64 v159, 0, v131, s17
	s_delay_alu instid0(VALU_DEP_1) | instskip(SKIP_1) | instid1(VALU_DEP_1)
	v_add_f32_e32 v130, v130, v159
	v_cndmask_b32_e64 v158, 0, v133, s18
	v_add_f32_e32 v130, v130, v158
	ds_bpermute_b32 v131, v132, v130
	v_cmpx_gt_u32_e32 16, v150
	s_cbranch_execz .LBB47_12
; %bb.11:
	v_mul_u32_u24_e32 v132, 0x44, v149
	s_delay_alu instid0(VALU_DEP_1) | instskip(SKIP_1) | instid1(VALU_DEP_1)
	v_lshl_add_u32 v132, v148, 2, v132
	s_waitcnt lgkmcnt(0)
	v_dual_add_f32 v130, v130, v131 :: v_dual_add_nc_u32 v131, 0x4000, v132
	ds_store_2addr_b32 v131, v129, v130 offset1:136
.LBB47_12:
	s_or_b32 exec_lo, exec_lo, s3
	v_lshlrev_b32_e32 v129, 2, v148
	s_load_b32 s35, s[0:1], 0x94
	s_waitcnt lgkmcnt(0)
	s_barrier
	buffer_gl0_inv
	v_add_nc_u32_e32 v135, 0x4000, v129
	v_cmp_eq_u32_e32 vcc_lo, 1, v149
	v_cmp_eq_u32_e64 s3, 2, v149
	v_cmp_eq_u32_e64 s4, 3, v149
	;; [unrolled: 1-line block ×3, first 2 shown]
	ds_load_2addr_b32 v[129:130], v135 offset1:17
	ds_load_2addr_b32 v[131:132], v135 offset0:34 offset1:51
	ds_load_2addr_b32 v[133:134], v135 offset0:68 offset1:85
	;; [unrolled: 1-line block ×3, first 2 shown]
	v_cmp_eq_u32_e64 s6, 5, v149
	v_cmp_eq_u32_e64 s7, 7, v149
	s_waitcnt lgkmcnt(3)
	v_max3_f32 v136, v129, 0xff7fffff, v130
	s_waitcnt lgkmcnt(2)
	s_delay_alu instid0(VALU_DEP_1) | instskip(SKIP_1) | instid1(VALU_DEP_1)
	v_max3_f32 v136, v136, v131, v132
	s_waitcnt lgkmcnt(1)
	v_max3_f32 v136, v136, v133, v134
	s_waitcnt lgkmcnt(0)
	s_delay_alu instid0(VALU_DEP_1) | instskip(NEXT) | instid1(VALU_DEP_1)
	v_max3_f32 v136, v136, v160, v161
	v_sub_f32_e32 v164, v132, v136
	ds_load_2addr_b32 v[162:163], v135 offset0:136 offset1:153
	v_sub_f32_e32 v129, v129, v136
	v_sub_f32_e32 v137, v130, v136
	v_sub_f32_e32 v133, v133, v136
	v_mul_f32_e32 v164, 0x3fb8aa3b, v164
	s_delay_alu instid0(VALU_DEP_4) | instskip(NEXT) | instid1(VALU_DEP_4)
	v_mul_f32_e32 v150, 0x3fb8aa3b, v129
	v_mul_f32_e32 v137, 0x3fb8aa3b, v137
	ds_load_2addr_b32 v[129:130], v135 offset0:170 offset1:187
	v_mul_f32_e32 v167, 0x3fb8aa3b, v133
	v_exp_f32_e32 v164, v164
	v_exp_f32_e32 v150, v150
	;; [unrolled: 1-line block ×3, first 2 shown]
	v_sub_f32_e32 v131, v131, v136
	s_delay_alu instid0(VALU_DEP_1)
	v_mul_f32_e32 v165, 0x3fb8aa3b, v131
	ds_load_2addr_b32 v[131:132], v135 offset0:204 offset1:221
	s_waitcnt lgkmcnt(2)
	v_fma_f32 v137, v150, v162, 0
	v_sub_f32_e32 v162, v134, v136
	v_exp_f32_e32 v165, v165
	ds_load_2addr_b32 v[133:134], v135 offset0:238 offset1:255
	v_sub_f32_e32 v135, v160, v136
	v_dual_fmac_f32 v137, v166, v163 :: v_dual_mul_f32 v160, 0x3fb8aa3b, v162
	v_exp_f32_e32 v162, v167
	s_waitcnt lgkmcnt(0)
	s_delay_alu instid0(VALU_DEP_2)
	v_mul_f32_e32 v135, 0x3fb8aa3b, v135
	s_barrier
	v_exp_f32_e32 v160, v160
	v_fmac_f32_e32 v137, v165, v129
	v_sub_f32_e32 v129, v161, v136
	v_exp_f32_e32 v161, v135
	buffer_gl0_inv
	v_fmac_f32_e32 v137, v164, v130
	v_dual_mul_f32 v129, 0x3fb8aa3b, v129 :: v_dual_cndmask_b32 v130, v150, v166
	s_delay_alu instid0(VALU_DEP_2) | instskip(NEXT) | instid1(VALU_DEP_2)
	v_fmac_f32_e32 v137, v162, v131
	v_exp_f32_e32 v163, v129
	s_delay_alu instid0(VALU_DEP_1) | instskip(NEXT) | instid1(VALU_DEP_1)
	v_fmac_f32_e32 v137, v160, v132
	v_fmac_f32_e32 v137, v161, v133
	v_lshlrev_b32_e32 v133, 6, v148
	s_waitcnt_depctr 0xfff
	v_fmac_f32_e32 v137, v163, v134
	v_lshl_or_b32 v135, v149, 11, v133
	s_delay_alu instid0(VALU_DEP_2) | instskip(NEXT) | instid1(VALU_DEP_1)
	v_add_f32_e32 v134, 0x358637bd, v137
	v_div_scale_f32 v167, null, v134, v134, 1.0
	v_div_scale_f32 v150, vcc_lo, 1.0, v134, 1.0
	s_delay_alu instid0(VALU_DEP_2) | instskip(SKIP_2) | instid1(VALU_DEP_1)
	v_rcp_f32_e32 v168, v167
	s_waitcnt_depctr 0xfff
	v_fma_f32 v129, -v167, v168, 1.0
	v_fmac_f32_e32 v168, v129, v168
	v_cndmask_b32_e64 v129, v130, v165, s3
	v_cmp_eq_u32_e64 s3, 6, v149
	s_delay_alu instid0(VALU_DEP_3) | instskip(NEXT) | instid1(VALU_DEP_3)
	v_mul_f32_e32 v165, v150, v168
	v_cndmask_b32_e64 v130, v129, v164, s4
	v_lshlrev_b32_e32 v129, 2, v146
	s_delay_alu instid0(VALU_DEP_3) | instskip(NEXT) | instid1(VALU_DEP_3)
	v_fma_f32 v131, -v167, v165, v150
	v_cndmask_b32_e64 v162, v130, v162, s5
	s_delay_alu instid0(VALU_DEP_3)
	v_or_b32_e32 v130, 1, v129
	v_or_b32_e32 v132, 2, v129
	v_cmp_eq_u32_e64 s4, 1, v129
	v_fmac_f32_e32 v165, v131, v168
	v_cndmask_b32_e64 v149, v162, v160, s6
	v_or_b32_e32 v131, 3, v129
	v_cmp_eq_u32_e64 s9, 1, v130
	v_cmp_eq_u32_e64 s10, 1, v132
	v_fma_f32 v150, -v167, v165, v150
	v_cndmask_b32_e64 v149, v149, v161, s3
	v_cmp_eq_u32_e64 s11, 1, v131
	v_cmp_eq_u32_e64 s5, 2, v129
	v_cmp_eq_u32_e64 s12, 2, v130
	v_div_fmas_f32 v150, v150, v168, v165
	v_cndmask_b32_e64 v149, v149, v163, s7
	v_cmp_eq_u32_e64 s15, 2, v132
	v_cmp_eq_u32_e64 s16, 2, v131
	v_cmp_eq_u32_e32 vcc_lo, 3, v129
	v_div_fixup_f32 v150, v150, v134, 1.0
	v_lshl_or_b32 v134, v146, 4, v135
	v_cmp_eq_u32_e64 s13, 3, v130
	v_cmp_eq_u32_e64 s18, 3, v131
	;; [unrolled: 1-line block ×3, first 2 shown]
	v_mul_f32_e32 v149, v149, v150
	v_cmp_eq_u32_e64 s17, 3, v132
	v_cmp_eq_u32_e64 s19, 4, v130
	;; [unrolled: 1-line block ×4, first 2 shown]
	v_fma_mixlo_f16 v160, v149, v152, 0
	v_fma_mixlo_f16 v161, v149, v154, 0
	;; [unrolled: 1-line block ×8, first 2 shown]
	v_fma_mixhi_f16 v160, v149, v151, 0
	v_fma_mixhi_f16 v161, v149, v153, 0
	;; [unrolled: 1-line block ×8, first 2 shown]
	ds_store_b128 v134, v[160:163]
	ds_store_b128 v134, v[154:157] offset:1024
	s_waitcnt lgkmcnt(0)
	s_barrier
	buffer_gl0_inv
	ds_load_b128 v[138:141], v135
	ds_load_b128 v[149:152], v135 offset:16
	ds_load_b128 v[153:156], v135 offset:1024
	;; [unrolled: 1-line block ×3, first 2 shown]
	v_cmp_eq_u32_e64 s20, 5, v130
	v_cmp_eq_u32_e64 s21, 4, v132
	;; [unrolled: 1-line block ×12, first 2 shown]
	s_waitcnt lgkmcnt(3)
	v_lshrrev_b32_e32 v142, 16, v138
	s_waitcnt lgkmcnt(2)
	v_lshrrev_b32_e32 v162, 16, v149
	;; [unrolled: 2-line block ×4, first 2 shown]
	v_lshrrev_b32_e32 v143, 16, v139
	v_cndmask_b32_e64 v174, v138, v142, s4
	v_cndmask_b32_e64 v175, v149, v162, s4
	v_cndmask_b32_e64 v176, v138, v142, s9
	v_cndmask_b32_e64 v177, v149, v162, s9
	v_cndmask_b32_e64 v178, v138, v142, s10
	v_cndmask_b32_e64 v138, v138, v142, s11
	v_cndmask_b32_e64 v142, v149, v162, s11
	v_lshrrev_b32_e32 v163, 16, v150
	v_cndmask_b32_e64 v179, v149, v162, s10
	v_cndmask_b32_e64 v149, v153, v166, s4
	;; [unrolled: 1-line block ×16, first 2 shown]
	v_lshrrev_b32_e32 v167, 16, v154
	v_lshrrev_b32_e32 v171, 16, v158
	v_cndmask_b32_e64 v177, v179, v150, s15
	v_cndmask_b32_e64 v142, v149, v154, s5
	;; [unrolled: 1-line block ×7, first 2 shown]
	v_cndmask_b32_e32 v157, v166, v143, vcc_lo
	v_cndmask_b32_e32 v166, v170, v163, vcc_lo
	v_cndmask_b32_e64 v170, v174, v143, s13
	v_cndmask_b32_e64 v174, v175, v163, s13
	;; [unrolled: 1-line block ×4, first 2 shown]
	v_lshrrev_b32_e32 v144, 16, v140
	v_lshrrev_b32_e32 v164, 16, v151
	v_cndmask_b32_e64 v175, v176, v143, s17
	v_cndmask_b32_e64 v176, v177, v163, s17
	v_cndmask_b32_e32 v142, v142, v167, vcc_lo
	v_cndmask_b32_e32 v143, v149, v171, vcc_lo
	v_cndmask_b32_e64 v149, v150, v167, s13
	v_cndmask_b32_e64 v150, v157, v140, s3
	;; [unrolled: 1-line block ×7, first 2 shown]
	v_lshrrev_b32_e32 v168, 16, v155
	v_cndmask_b32_e64 v170, v175, v140, s21
	v_cndmask_b32_e64 v174, v176, v151, s21
	;; [unrolled: 1-line block ×11, first 2 shown]
	v_lshrrev_b32_e32 v161, 16, v141
	v_lshrrev_b32_e32 v165, 16, v152
	v_cndmask_b32_e64 v163, v170, v144, s23
	v_cndmask_b32_e64 v166, v174, v164, s23
	;; [unrolled: 1-line block ×9, first 2 shown]
	v_lshrrev_b32_e32 v169, 16, v156
	v_cndmask_b32_e64 v140, v140, v168, s6
	v_cndmask_b32_e64 v157, v163, v141, s26
	;; [unrolled: 1-line block ×14, first 2 shown]
	v_perm_b32 v141, v139, v138, 0x5040100
	v_perm_b32 v139, v151, v149, 0x5040100
	v_cndmask_b32_e64 v138, v183, v158, s15
	v_cndmask_b32_e64 v149, v181, v158, s12
	;; [unrolled: 1-line block ×3, first 2 shown]
	v_perm_b32 v140, v152, v150, 0x5040100
	v_cndmask_b32_e64 v150, v162, v167, s17
	v_cndmask_b32_e64 v151, v153, v167, s18
	v_cndmask_b32_e64 v152, v154, v171, s18
	v_cndmask_b32_e64 v138, v138, v171, s17
	v_cndmask_b32_e64 v149, v149, v171, s13
	v_lshrrev_b32_e32 v172, 16, v159
	v_cndmask_b32_e64 v150, v150, v155, s21
	v_cndmask_b32_e64 v151, v151, v155, s22
	v_cndmask_b32_e64 v152, v152, v159, s22
	v_cndmask_b32_e64 v138, v138, v159, s21
	v_cndmask_b32_e64 v149, v149, v159, s19
	v_cndmask_b32_e64 v142, v142, v172, s6
	v_cndmask_b32_e64 v150, v150, v168, s23
	v_cndmask_b32_e64 v151, v151, v168, s24
	v_cndmask_b32_e64 v152, v152, v172, s24
	v_cndmask_b32_e64 v138, v138, v172, s23
	v_cndmask_b32_e64 v149, v149, v172, s20
	v_lshrrev_b32_e32 v173, 16, v160
	v_cndmask_b32_e64 v142, v142, v160, s7
	v_cndmask_b32_e64 v150, v150, v156, s26
	;; [unrolled: 1-line block ×12, first 2 shown]
	v_perm_b32 v138, v144, v143, 0x5040100
	v_perm_b32 v152, v152, v151, 0x5040100
	;; [unrolled: 1-line block ×5, first 2 shown]
	s_mul_i32 s7, s33, 10
	s_mov_b32 s3, exec_lo
	ds_store_b128 v134, v[138:141]
	ds_store_b128 v134, v[149:152] offset:1024
	v_cmpx_gt_u32_e32 10, v0
	s_cbranch_execz .LBB47_14
; %bb.13:
	s_mul_i32 s4, s7, s34
	s_load_b128 s[8:11], s[0:1], 0x58
	v_add3_u32 v140, s4, s31, v148
	s_delay_alu instid0(VALU_DEP_1) | instskip(NEXT) | instid1(VALU_DEP_1)
	v_mad_u64_u32 v[138:139], null, v140, s35, s[14:15]
	v_ashrrev_i32_e32 v139, 31, v138
	s_delay_alu instid0(VALU_DEP_1) | instskip(SKIP_1) | instid1(VALU_DEP_1)
	v_lshlrev_b64 v[138:139], 2, v[138:139]
	s_waitcnt lgkmcnt(0)
	v_add_co_u32 v140, vcc_lo, s10, v138
	s_delay_alu instid0(VALU_DEP_2)
	v_add_co_ci_u32_e32 v141, vcc_lo, s11, v139, vcc_lo
	v_add_co_u32 v138, vcc_lo, s8, v138
	v_add_co_ci_u32_e32 v139, vcc_lo, s9, v139, vcc_lo
	global_store_b32 v[140:141], v136, off
	global_store_b32 v[138:139], v137, off
.LBB47_14:
	s_or_b32 exec_lo, exec_lo, s3
	s_waitcnt lgkmcnt(0)
	s_waitcnt_vscnt null, 0x0
	s_barrier
	buffer_gl0_inv
	ds_load_b128 v[148:151], v133
	ds_load_b128 v[152:155], v133 offset:16
	ds_load_b128 v[160:163], v133 offset:1040
	;; [unrolled: 1-line block ×5, first 2 shown]
	v_cmp_eq_u32_e32 vcc_lo, 1, v132
	v_mov_b32_e32 v136, 0
	ds_load_b128 v[176:179], v133 offset:3088
	ds_load_b128 v[172:175], v133 offset:3072
	;; [unrolled: 1-line block ×4, first 2 shown]
	v_cmp_eq_u32_e64 s3, 1, v129
	v_cmp_eq_u32_e64 s4, 1, v131
	;; [unrolled: 1-line block ×3, first 2 shown]
	v_mov_b32_e32 v137, v136
	v_mov_b32_e32 v138, v136
	;; [unrolled: 1-line block ×7, first 2 shown]
	v_cmp_eq_u32_e64 s6, 2, v129
	s_waitcnt lgkmcnt(8)
	s_delay_alu instid0(VALU_DEP_2)
	v_wmma_f32_16x16x16_f16 v[136:143], v[121:128], v[148:155], v[136:143]
	ds_load_b128 v[125:128], v133 offset:5136
	ds_load_b128 v[121:124], v133 offset:5120
	s_waitcnt lgkmcnt(8)
	v_wmma_f32_16x16x16_f16 v[136:143], v[113:120], v[156:163], v[136:143]
	ds_load_b128 v[117:120], v133 offset:6160
	ds_load_b128 v[113:116], v133 offset:6144
	s_waitcnt lgkmcnt(8)
	;; [unrolled: 4-line block ×11, first 2 shown]
	s_barrier
	buffer_gl0_inv
	v_wmma_f32_16x16x16_f16 v[136:143], v[1:8], v[73:80], v[136:143]
	s_delay_alu instid0(VALU_DEP_1) | instskip(NEXT) | instid1(VALU_DEP_1)
	v_wmma_f32_16x16x16_f16 v[136:143], v[9:16], v[65:72], v[136:143]
	v_wmma_f32_16x16x16_f16 v[136:143], v[33:40], v[57:64], v[136:143]
	s_delay_alu instid0(VALU_DEP_1) | instskip(NEXT) | instid1(VALU_DEP_1)
	v_wmma_f32_16x16x16_f16 v[136:143], v[41:48], v[49:56], v[136:143]
	v_wmma_f32_16x16x16_f16 v[136:143], v[17:24], v[25:32], v[136:143]
	s_delay_alu instid0(VALU_DEP_1) | instskip(NEXT) | instid1(VALU_DEP_2)
	v_cvt_f16_f32_e64 v1, v136
	v_cvt_f16_f32_e64 v2, v137
	s_delay_alu instid0(VALU_DEP_3) | instskip(NEXT) | instid1(VALU_DEP_4)
	v_cvt_f16_f32_e64 v3, v138
	v_cvt_f16_f32_e64 v4, v139
	;; [unrolled: 1-line block ×6, first 2 shown]
	v_pack_b32_f16 v1, v1, v2
	v_pack_b32_f16 v2, v3, v4
	;; [unrolled: 1-line block ×3, first 2 shown]
	s_delay_alu instid0(VALU_DEP_4)
	v_pack_b32_f16 v4, v7, v8
	ds_store_b128 v134, v[1:4]
	s_waitcnt lgkmcnt(0)
	s_barrier
	buffer_gl0_inv
	ds_load_b128 v[1:4], v135
	ds_load_b128 v[5:8], v135 offset:16
	s_waitcnt lgkmcnt(1)
	v_lshrrev_b32_e32 v9, 16, v1
	s_waitcnt lgkmcnt(0)
	v_lshrrev_b32_e32 v13, 16, v5
	v_lshrrev_b32_e32 v10, 16, v2
	;; [unrolled: 1-line block ×4, first 2 shown]
	v_cndmask_b32_e64 v17, v1, v9, s3
	v_cndmask_b32_e64 v18, v5, v13, s3
	;; [unrolled: 1-line block ×3, first 2 shown]
	v_cmp_eq_u32_e64 s3, 2, v130
	v_cndmask_b32_e64 v20, v5, v13, s5
	v_cndmask_b32_e32 v21, v1, v9, vcc_lo
	v_cndmask_b32_e32 v22, v5, v13, vcc_lo
	v_cndmask_b32_e64 v1, v1, v9, s4
	v_cndmask_b32_e64 v5, v5, v13, s4
	v_cmp_eq_u32_e32 vcc_lo, 2, v132
	v_cmp_eq_u32_e64 s4, 2, v131
	v_cndmask_b32_e64 v9, v17, v2, s6
	v_cndmask_b32_e64 v13, v18, v6, s6
	;; [unrolled: 1-line block ×4, first 2 shown]
	v_cndmask_b32_e32 v19, v21, v2, vcc_lo
	v_cmp_eq_u32_e64 s3, 3, v132
	v_cndmask_b32_e32 v20, v22, v6, vcc_lo
	v_cndmask_b32_e64 v1, v1, v2, s4
	v_cmp_eq_u32_e32 vcc_lo, 3, v131
	v_cmp_eq_u32_e64 s5, 3, v129
	v_cndmask_b32_e64 v2, v5, v6, s4
	v_cmp_eq_u32_e64 s4, 3, v130
	v_cmp_eq_u32_e64 s6, 4, v129
	v_cndmask_b32_e32 v1, v1, v10, vcc_lo
	v_cndmask_b32_e64 v5, v9, v10, s5
	v_cndmask_b32_e64 v6, v13, v14, s5
	;; [unrolled: 1-line block ×3, first 2 shown]
	v_cmp_eq_u32_e64 s5, 4, v130
	v_cndmask_b32_e64 v13, v18, v14, s4
	v_cndmask_b32_e64 v17, v19, v10, s3
	;; [unrolled: 1-line block ×3, first 2 shown]
	v_cndmask_b32_e32 v2, v2, v14, vcc_lo
	v_cmp_eq_u32_e32 vcc_lo, 4, v132
	v_cmp_eq_u32_e64 s4, 4, v131
	v_lshrrev_b32_e32 v15, 16, v7
	v_cndmask_b32_e64 v5, v5, v3, s6
	v_cndmask_b32_e64 v6, v6, v7, s6
	v_cndmask_b32_e32 v14, v18, v7, vcc_lo
	v_cndmask_b32_e64 v9, v9, v3, s5
	v_cndmask_b32_e64 v10, v13, v7, s5
	v_cndmask_b32_e32 v13, v17, v3, vcc_lo
	v_cmp_eq_u32_e64 s3, 5, v132
	v_cndmask_b32_e64 v1, v1, v3, s4
	v_cmp_eq_u32_e32 vcc_lo, 5, v131
	v_cmp_eq_u32_e64 s5, 5, v129
	v_cndmask_b32_e64 v2, v2, v7, s4
	v_cmp_eq_u32_e64 s4, 5, v130
	v_cmp_eq_u32_e64 s6, 6, v129
	v_lshrrev_b32_e32 v12, 16, v4
	v_cndmask_b32_e64 v3, v5, v11, s5
	v_cndmask_b32_e64 v5, v6, v15, s5
	;; [unrolled: 1-line block ×3, first 2 shown]
	v_cmp_eq_u32_e64 s5, 6, v130
	v_cndmask_b32_e64 v7, v10, v15, s4
	v_cndmask_b32_e64 v9, v13, v11, s3
	;; [unrolled: 1-line block ×3, first 2 shown]
	v_cndmask_b32_e32 v1, v1, v11, vcc_lo
	v_cndmask_b32_e32 v2, v2, v15, vcc_lo
	v_cmp_eq_u32_e32 vcc_lo, 6, v132
	v_cmp_eq_u32_e64 s3, 6, v131
	v_lshrrev_b32_e32 v16, 16, v8
	v_cndmask_b32_e64 v3, v3, v4, s6
	v_cndmask_b32_e64 v5, v5, v8, s6
	v_cndmask_b32_e32 v9, v9, v4, vcc_lo
	v_cndmask_b32_e64 v6, v6, v4, s5
	v_cndmask_b32_e64 v7, v7, v8, s5
	v_cmp_eq_u32_e64 s4, 7, v132
	v_cndmask_b32_e32 v10, v10, v8, vcc_lo
	v_cndmask_b32_e64 v1, v1, v4, s3
	v_cmp_eq_u32_e32 vcc_lo, 7, v131
	v_cndmask_b32_e64 v2, v2, v8, s3
	v_cmp_eq_u32_e64 s3, 7, v129
	v_cmp_eq_u32_e64 s5, 7, v130
	v_cndmask_b32_e32 v1, v1, v12, vcc_lo
	s_delay_alu instid0(VALU_DEP_4) | instskip(NEXT) | instid1(VALU_DEP_4)
	v_cndmask_b32_e32 v2, v2, v16, vcc_lo
	v_cndmask_b32_e64 v8, v3, v12, s3
	s_delay_alu instid0(VALU_DEP_4)
	v_cndmask_b32_e64 v6, v6, v12, s5
	v_cndmask_b32_e64 v3, v9, v12, s4
	;; [unrolled: 1-line block ×5, first 2 shown]
	v_cmp_gt_u32_e32 vcc_lo, 32, v0
	v_perm_b32 v4, v2, v1, 0x5040100
	v_perm_b32 v3, v9, v3, 0x5040100
	;; [unrolled: 1-line block ×4, first 2 shown]
	s_and_b32 s2, vcc_lo, s2
	ds_store_b128 v134, v[1:4]
	s_waitcnt lgkmcnt(0)
	s_barrier
	buffer_gl0_inv
	s_and_saveexec_b32 s3, s2
	s_cbranch_execz .LBB47_2
; %bb.15:
	s_load_b64 s[0:1], s[0:1], 0x68
	s_lshl_b32 s4, s35, 6
	v_or_b32_e32 v2, s31, v146
	s_mul_i32 s2, s4, s34
	v_lshlrev_b32_e32 v0, 10, v0
	s_mul_i32 s2, s2, s7
	v_lshlrev_b32_e32 v1, 4, v147
	s_ashr_i32 s3, s2, 31
	v_mul_lo_u32 v20, v2, s4
	s_lshl_b64 s[2:3], s[2:3], 1
	v_lshlrev_b32_e32 v3, 6, v146
	v_and_b32_e32 v0, 0x3800, v0
	s_delay_alu instid0(VALU_DEP_1) | instskip(NEXT) | instid1(VALU_DEP_4)
	v_or3_b32 v16, v0, v1, v3
	v_ashrrev_i32_e32 v21, 31, v20
	ds_load_b128 v[0:3], v16
	ds_load_b128 v[4:7], v16 offset:128
	s_waitcnt lgkmcnt(0)
	s_add_u32 s2, s0, s2
	s_addc_u32 s3, s1, s3
	s_lshl_b32 s0, s14, 6
	ds_load_b128 v[8:11], v16 offset:256
	ds_load_b128 v[12:15], v16 offset:384
	;; [unrolled: 1-line block ×3, first 2 shown]
	s_ashr_i32 s1, s0, 31
	s_delay_alu instid0(SALU_CYCLE_1) | instskip(NEXT) | instid1(SALU_CYCLE_1)
	s_lshl_b64 s[0:1], s[0:1], 1
	s_add_u32 s0, s2, s0
	s_addc_u32 s1, s3, s1
	s_lshl_b32 s2, s35, 7
	v_add_co_u32 v30, s0, s0, v145
	v_add_nc_u32_e32 v22, s2, v20
	v_lshlrev_b64 v[20:21], 1, v[20:21]
	v_add_co_ci_u32_e64 v31, null, s1, 0, s0
	s_delay_alu instid0(VALU_DEP_3) | instskip(SKIP_1) | instid1(VALU_DEP_4)
	v_add_nc_u32_e32 v24, s2, v22
	v_ashrrev_i32_e32 v23, 31, v22
	v_add_co_u32 v20, vcc_lo, v30, v20
	s_delay_alu instid0(VALU_DEP_4) | instskip(NEXT) | instid1(VALU_DEP_4)
	v_add_co_ci_u32_e32 v21, vcc_lo, v31, v21, vcc_lo
	v_add_nc_u32_e32 v26, s2, v24
	v_ashrrev_i32_e32 v25, 31, v24
	v_lshlrev_b64 v[22:23], 1, v[22:23]
	s_delay_alu instid0(VALU_DEP_3) | instskip(SKIP_1) | instid1(VALU_DEP_4)
	v_add_nc_u32_e32 v28, s2, v26
	v_ashrrev_i32_e32 v27, 31, v26
	v_lshlrev_b64 v[24:25], 1, v[24:25]
	s_delay_alu instid0(VALU_DEP_4) | instskip(NEXT) | instid1(VALU_DEP_4)
	v_add_co_u32 v22, vcc_lo, v30, v22
	v_ashrrev_i32_e32 v29, 31, v28
	s_delay_alu instid0(VALU_DEP_4) | instskip(SKIP_2) | instid1(VALU_DEP_4)
	v_lshlrev_b64 v[26:27], 1, v[26:27]
	v_add_co_ci_u32_e32 v23, vcc_lo, v31, v23, vcc_lo
	v_add_co_u32 v24, vcc_lo, v30, v24
	v_lshlrev_b64 v[28:29], 1, v[28:29]
	v_add_co_ci_u32_e32 v25, vcc_lo, v31, v25, vcc_lo
	v_add_co_u32 v26, vcc_lo, v30, v26
	v_add_co_ci_u32_e32 v27, vcc_lo, v31, v27, vcc_lo
	s_delay_alu instid0(VALU_DEP_4)
	v_add_co_u32 v28, vcc_lo, v30, v28
	v_add_co_ci_u32_e32 v29, vcc_lo, v31, v29, vcc_lo
	s_clause 0x1
	global_store_b128 v[20:21], v[0:3], off
	global_store_b128 v[22:23], v[4:7], off
	s_waitcnt lgkmcnt(2)
	global_store_b128 v[24:25], v[8:11], off
	s_waitcnt lgkmcnt(1)
	;; [unrolled: 2-line block ×3, first 2 shown]
	global_store_b128 v[28:29], v[16:19], off
	s_nop 0
	s_sendmsg sendmsg(MSG_DEALLOC_VGPRS)
	s_endpgm
	.section	.rodata,"a",@progbits
	.p2align	6, 0x0
	.amdhsa_kernel _Z39paged_attention_ll4mi_QKV_mfma16_kernelIDF16_DF16_LN4vllm18Fp8KVCacheDataTypeE0EhLi16ELi64ELi256ELb0ELi10EL8MFMAType0EEvPKT_PKT0_S8_ifPKiSA_SA_iPKfiiiPfSD_PS3_PT2_iSC_SC_
		.amdhsa_group_segment_fixed_size 17472
		.amdhsa_private_segment_fixed_size 0
		.amdhsa_kernarg_size 400
		.amdhsa_user_sgpr_count 13
		.amdhsa_user_sgpr_dispatch_ptr 0
		.amdhsa_user_sgpr_queue_ptr 0
		.amdhsa_user_sgpr_kernarg_segment_ptr 1
		.amdhsa_user_sgpr_dispatch_id 0
		.amdhsa_user_sgpr_private_segment_size 0
		.amdhsa_wavefront_size32 1
		.amdhsa_uses_dynamic_stack 0
		.amdhsa_enable_private_segment 0
		.amdhsa_system_sgpr_workgroup_id_x 1
		.amdhsa_system_sgpr_workgroup_id_y 1
		.amdhsa_system_sgpr_workgroup_id_z 1
		.amdhsa_system_sgpr_workgroup_info 0
		.amdhsa_system_vgpr_workitem_id 0
		.amdhsa_next_free_vgpr 198
		.amdhsa_next_free_sgpr 52
		.amdhsa_reserve_vcc 1
		.amdhsa_float_round_mode_32 0
		.amdhsa_float_round_mode_16_64 0
		.amdhsa_float_denorm_mode_32 3
		.amdhsa_float_denorm_mode_16_64 3
		.amdhsa_dx10_clamp 1
		.amdhsa_ieee_mode 1
		.amdhsa_fp16_overflow 0
		.amdhsa_workgroup_processor_mode 1
		.amdhsa_memory_ordered 1
		.amdhsa_forward_progress 0
		.amdhsa_shared_vgpr_count 0
		.amdhsa_exception_fp_ieee_invalid_op 0
		.amdhsa_exception_fp_denorm_src 0
		.amdhsa_exception_fp_ieee_div_zero 0
		.amdhsa_exception_fp_ieee_overflow 0
		.amdhsa_exception_fp_ieee_underflow 0
		.amdhsa_exception_fp_ieee_inexact 0
		.amdhsa_exception_int_div_zero 0
	.end_amdhsa_kernel
	.section	.text._Z39paged_attention_ll4mi_QKV_mfma16_kernelIDF16_DF16_LN4vllm18Fp8KVCacheDataTypeE0EhLi16ELi64ELi256ELb0ELi10EL8MFMAType0EEvPKT_PKT0_S8_ifPKiSA_SA_iPKfiiiPfSD_PS3_PT2_iSC_SC_,"axG",@progbits,_Z39paged_attention_ll4mi_QKV_mfma16_kernelIDF16_DF16_LN4vllm18Fp8KVCacheDataTypeE0EhLi16ELi64ELi256ELb0ELi10EL8MFMAType0EEvPKT_PKT0_S8_ifPKiSA_SA_iPKfiiiPfSD_PS3_PT2_iSC_SC_,comdat
.Lfunc_end47:
	.size	_Z39paged_attention_ll4mi_QKV_mfma16_kernelIDF16_DF16_LN4vllm18Fp8KVCacheDataTypeE0EhLi16ELi64ELi256ELb0ELi10EL8MFMAType0EEvPKT_PKT0_S8_ifPKiSA_SA_iPKfiiiPfSD_PS3_PT2_iSC_SC_, .Lfunc_end47-_Z39paged_attention_ll4mi_QKV_mfma16_kernelIDF16_DF16_LN4vllm18Fp8KVCacheDataTypeE0EhLi16ELi64ELi256ELb0ELi10EL8MFMAType0EEvPKT_PKT0_S8_ifPKiSA_SA_iPKfiiiPfSD_PS3_PT2_iSC_SC_
                                        ; -- End function
	.section	.AMDGPU.csdata,"",@progbits
; Kernel info:
; codeLenInByte = 7916
; NumSgprs: 54
; NumVgprs: 198
; ScratchSize: 0
; MemoryBound: 0
; FloatMode: 240
; IeeeMode: 1
; LDSByteSize: 17472 bytes/workgroup (compile time only)
; SGPRBlocks: 6
; VGPRBlocks: 24
; NumSGPRsForWavesPerEU: 54
; NumVGPRsForWavesPerEU: 198
; Occupancy: 7
; WaveLimiterHint : 1
; COMPUTE_PGM_RSRC2:SCRATCH_EN: 0
; COMPUTE_PGM_RSRC2:USER_SGPR: 13
; COMPUTE_PGM_RSRC2:TRAP_HANDLER: 0
; COMPUTE_PGM_RSRC2:TGID_X_EN: 1
; COMPUTE_PGM_RSRC2:TGID_Y_EN: 1
; COMPUTE_PGM_RSRC2:TGID_Z_EN: 1
; COMPUTE_PGM_RSRC2:TIDIG_COMP_CNT: 0
	.section	.text._Z39paged_attention_ll4mi_QKV_mfma16_kernelIDF16_DF16_LN4vllm18Fp8KVCacheDataTypeE0EhLi16ELi64ELi256ELb0ELi11EL8MFMAType0EEvPKT_PKT0_S8_ifPKiSA_SA_iPKfiiiPfSD_PS3_PT2_iSC_SC_,"axG",@progbits,_Z39paged_attention_ll4mi_QKV_mfma16_kernelIDF16_DF16_LN4vllm18Fp8KVCacheDataTypeE0EhLi16ELi64ELi256ELb0ELi11EL8MFMAType0EEvPKT_PKT0_S8_ifPKiSA_SA_iPKfiiiPfSD_PS3_PT2_iSC_SC_,comdat
	.protected	_Z39paged_attention_ll4mi_QKV_mfma16_kernelIDF16_DF16_LN4vllm18Fp8KVCacheDataTypeE0EhLi16ELi64ELi256ELb0ELi11EL8MFMAType0EEvPKT_PKT0_S8_ifPKiSA_SA_iPKfiiiPfSD_PS3_PT2_iSC_SC_ ; -- Begin function _Z39paged_attention_ll4mi_QKV_mfma16_kernelIDF16_DF16_LN4vllm18Fp8KVCacheDataTypeE0EhLi16ELi64ELi256ELb0ELi11EL8MFMAType0EEvPKT_PKT0_S8_ifPKiSA_SA_iPKfiiiPfSD_PS3_PT2_iSC_SC_
	.globl	_Z39paged_attention_ll4mi_QKV_mfma16_kernelIDF16_DF16_LN4vllm18Fp8KVCacheDataTypeE0EhLi16ELi64ELi256ELb0ELi11EL8MFMAType0EEvPKT_PKT0_S8_ifPKiSA_SA_iPKfiiiPfSD_PS3_PT2_iSC_SC_
	.p2align	8
	.type	_Z39paged_attention_ll4mi_QKV_mfma16_kernelIDF16_DF16_LN4vllm18Fp8KVCacheDataTypeE0EhLi16ELi64ELi256ELb0ELi11EL8MFMAType0EEvPKT_PKT0_S8_ifPKiSA_SA_iPKfiiiPfSD_PS3_PT2_iSC_SC_,@function
_Z39paged_attention_ll4mi_QKV_mfma16_kernelIDF16_DF16_LN4vllm18Fp8KVCacheDataTypeE0EhLi16ELi64ELi256ELb0ELi11EL8MFMAType0EEvPKT_PKT0_S8_ifPKiSA_SA_iPKfiiiPfSD_PS3_PT2_iSC_SC_: ; @_Z39paged_attention_ll4mi_QKV_mfma16_kernelIDF16_DF16_LN4vllm18Fp8KVCacheDataTypeE0EhLi16ELi64ELi256ELb0ELi11EL8MFMAType0EEvPKT_PKT0_S8_ifPKiSA_SA_iPKfiiiPfSD_PS3_PT2_iSC_SC_
; %bb.0:
	s_load_b64 s[2:3], s[0:1], 0x30
	s_mov_b32 s34, s13
	s_waitcnt lgkmcnt(0)
	s_cmp_lg_u64 s[2:3], 0
	s_cselect_b32 s6, -1, 0
	s_ashr_i32 s35, s13, 31
	s_cmp_eq_u64 s[2:3], 0
	s_cbranch_scc1 .LBB48_3
; %bb.1:
	s_lshl_b64 s[4:5], s[34:35], 2
	s_delay_alu instid0(SALU_CYCLE_1) | instskip(SKIP_4) | instid1(SALU_CYCLE_1)
	s_add_u32 s4, s2, s4
	s_addc_u32 s5, s3, s5
	s_load_b64 s[4:5], s[4:5], 0x0
	s_waitcnt lgkmcnt(0)
	s_sub_i32 s4, s5, s4
	s_cmp_eq_u32 s4, 1
	s_cselect_b32 s4, -1, 0
	s_delay_alu instid0(SALU_CYCLE_1)
	s_and_not1_b32 vcc_lo, exec_lo, s4
	s_cbranch_vccz .LBB48_4
.LBB48_2:
	s_nop 0
	s_sendmsg sendmsg(MSG_DEALLOC_VGPRS)
	s_endpgm
.LBB48_3:
.LBB48_4:
	s_load_b64 s[8:9], s[0:1], 0x28
	s_lshl_b64 s[4:5], s[34:35], 2
	s_waitcnt lgkmcnt(0)
	s_add_u32 s8, s8, s4
	s_addc_u32 s9, s9, s5
	s_lshl_b32 s31, s14, 8
	s_load_b32 s30, s[8:9], 0x0
	s_waitcnt lgkmcnt(0)
	s_cmp_ge_i32 s31, s30
	s_cbranch_scc1 .LBB48_2
; %bb.5:
	s_clause 0x1
	s_load_b128 s[8:11], s[0:1], 0x8
	s_load_b64 s[12:13], s[0:1], 0x20
	s_and_not1_b32 vcc_lo, exec_lo, s6
	s_cbranch_vccnz .LBB48_7
; %bb.6:
	s_add_u32 s2, s2, s4
	s_addc_u32 s3, s3, s5
	s_load_b32 s3, s[2:3], 0x0
	s_branch .LBB48_8
.LBB48_7:
	s_mov_b32 s3, s34
.LBB48_8:
	s_load_b128 s[4:7], s[0:1], 0x48
	v_lshrrev_b32_e32 v149, 5, v0
	v_bfe_u32 v146, v0, 4, 1
	v_and_b32_e32 v148, 15, v0
	v_and_b32_e32 v150, 31, v0
	;; [unrolled: 1-line block ×3, first 2 shown]
	s_mul_i32 s33, s15, 11
	v_lshl_or_b32 v1, v149, 1, v146
	v_lshlrev_b32_e32 v2, 3, v148
	v_cmp_gt_u32_e64 s2, 8, v148
	s_delay_alu instid0(VALU_DEP_3) | instskip(NEXT) | instid1(VALU_DEP_3)
	v_cmp_gt_u32_e32 vcc_lo, 11, v1
	v_lshlrev_b32_e32 v145, 1, v2
	s_delay_alu instid0(VALU_DEP_3)
	s_and_b32 s16, s2, vcc_lo
	s_waitcnt lgkmcnt(0)
	s_and_saveexec_b32 s7, s16
	s_cbranch_execz .LBB48_10
; %bb.9:
	s_load_b64 s[16:17], s[0:1], 0x0
	v_add_lshl_u32 v2, v1, s33, 6
	s_mul_hi_i32 s19, s3, s4
	s_mul_i32 s18, s3, s4
	v_lshlrev_b32_e32 v6, 10, v148
	s_lshl_b64 s[18:19], s[18:19], 1
	v_ashrrev_i32_e32 v3, 31, v2
	v_lshlrev_b32_e32 v1, 6, v1
	v_lshlrev_b32_e32 v7, 10, v147
	v_and_b32_e32 v6, 0x3800, v6
	s_delay_alu instid0(VALU_DEP_4) | instskip(NEXT) | instid1(VALU_DEP_2)
	v_lshlrev_b64 v[2:3], 1, v[2:3]
	v_or3_b32 v1, v6, v7, v1
	s_waitcnt lgkmcnt(0)
	s_add_u32 s3, s16, s18
	s_addc_u32 s4, s17, s19
	s_delay_alu instid0(VALU_DEP_2) | instskip(SKIP_1) | instid1(VALU_DEP_2)
	v_add_co_u32 v2, vcc_lo, s3, v2
	v_add_co_ci_u32_e32 v3, vcc_lo, s4, v3, vcc_lo
	v_add_co_u32 v2, vcc_lo, v2, v145
	s_delay_alu instid0(VALU_DEP_2)
	v_add_co_ci_u32_e32 v3, vcc_lo, 0, v3, vcc_lo
	global_load_b128 v[2:5], v[2:3], off
	s_waitcnt vmcnt(0)
	ds_store_b128 v1, v[2:5]
.LBB48_10:
	s_or_b32 exec_lo, exec_lo, s7
	s_mov_b32 s40, 0
	s_add_i32 s3, s30, 15
	s_mov_b32 s41, s40
	s_mov_b32 s42, s40
	;; [unrolled: 1-line block ×7, first 2 shown]
	s_delay_alu instid0(SALU_CYCLE_1)
	v_dual_mov_b32 v144, s47 :: v_dual_and_b32 v1, 0xef, v0
	v_mov_b32_e32 v142, s45
	s_ashr_i32 s7, s3, 31
	s_clause 0x1
	s_load_b32 s4, s[0:1], 0x38
	s_load_b32 s35, s[0:1], 0x98
	v_add_nc_u32_e32 v1, s31, v1
	s_lshr_b32 s7, s7, 28
	s_load_b32 s36, s[0:1], 0x1c
	s_add_i32 s3, s3, s7
	s_waitcnt lgkmcnt(0)
	v_ashrrev_i32_e32 v2, 31, v1
	v_or_b32_e32 v3, 16, v1
	s_ashr_i32 s3, s3, 4
	v_cmp_gt_i32_e32 vcc_lo, s30, v1
	s_add_i32 s3, s3, -1
	v_lshrrev_b32_e32 v2, 28, v2
	v_mov_b32_e32 v143, s46
	s_barrier
	buffer_gl0_inv
	s_mul_i32 s6, s15, s6
	v_dual_mov_b32 v141, s44 :: v_dual_add_nc_u32 v4, v1, v2
	v_mov_b32_e32 v139, s42
	s_mul_i32 s16, s34, s4
	v_mov_b32_e32 v137, s40
	s_delay_alu instid0(VALU_DEP_3)
	v_ashrrev_i32_e32 v4, 4, v4
	v_add_nc_u32_e32 v2, v3, v2
	s_ashr_i32 s17, s16, 31
	v_mov_b32_e32 v140, s43
	s_lshl_b64 s[16:17], s[16:17], 2
	v_cndmask_b32_e32 v1, s3, v4, vcc_lo
	v_ashrrev_i32_e32 v2, 4, v2
	v_cmp_gt_i32_e32 vcc_lo, s30, v3
	s_add_u32 s4, s12, s16
	s_addc_u32 s37, s13, s17
	s_ashr_i32 s7, s6, 31
	v_mov_b32_e32 v138, s41
	v_cndmask_b32_e32 v3, s3, v2, vcc_lo
	v_ashrrev_i32_e32 v2, 31, v1
	s_lshl_b64 s[6:7], s[6:7], 1
	s_delay_alu instid0(SALU_CYCLE_1) | instskip(NEXT) | instid1(VALU_DEP_2)
	s_add_u32 s24, s8, s6
	v_ashrrev_i32_e32 v4, 31, v3
	s_delay_alu instid0(VALU_DEP_2) | instskip(SKIP_2) | instid1(VALU_DEP_2)
	v_lshlrev_b64 v[1:2], 2, v[1:2]
	s_addc_u32 s25, s9, s7
	s_lshl_b32 s8, s14, 4
	v_lshlrev_b64 v[3:4], 2, v[3:4]
	s_ashr_i32 s9, s8, 31
	s_delay_alu instid0(VALU_DEP_2) | instskip(SKIP_1) | instid1(VALU_DEP_3)
	v_add_co_u32 v1, vcc_lo, s4, v1
	v_add_co_ci_u32_e32 v2, vcc_lo, s37, v2, vcc_lo
	v_add_co_u32 v3, vcc_lo, s4, v3
	s_delay_alu instid0(VALU_DEP_4)
	v_add_co_ci_u32_e32 v4, vcc_lo, s37, v4, vcc_lo
	s_clause 0x1
	global_load_b32 v5, v[1:2], off
	global_load_b32 v6, v[3:4], off
	s_lshl_b64 s[8:9], s[8:9], 2
	v_lshlrev_b32_e32 v3, 4, v0
	s_add_u32 s8, s4, s8
	s_addc_u32 s9, s37, s9
	s_or_b32 s12, s31, 16
	s_delay_alu instid0(SALU_CYCLE_1) | instskip(SKIP_2) | instid1(SALU_CYCLE_1)
	s_ashr_i32 s13, s12, 4
	s_cmp_lt_i32 s12, s30
	s_cselect_b32 s12, s13, s3
	s_ashr_i32 s13, s12, 31
	s_delay_alu instid0(SALU_CYCLE_1) | instskip(NEXT) | instid1(SALU_CYCLE_1)
	s_lshl_b64 s[12:13], s[12:13], 2
	s_add_u32 s12, s4, s12
	s_addc_u32 s13, s37, s13
	s_or_b32 s15, s31, 32
	s_delay_alu instid0(SALU_CYCLE_1) | instskip(SKIP_2) | instid1(SALU_CYCLE_1)
	s_ashr_i32 s16, s15, 4
	s_cmp_lt_i32 s15, s30
	s_cselect_b32 s16, s16, s3
	s_ashr_i32 s17, s16, 31
	s_delay_alu instid0(SALU_CYCLE_1) | instskip(NEXT) | instid1(SALU_CYCLE_1)
	s_lshl_b64 s[16:17], s[16:17], 2
	;; [unrolled: 10-line block ×5, first 2 shown]
	s_add_u32 s22, s4, s22
	s_addc_u32 s23, s37, s23
	s_clause 0x5
	s_load_b32 s8, s[8:9], 0x0
	s_load_b32 s12, s[12:13], 0x0
	;; [unrolled: 1-line block ×6, first 2 shown]
	s_waitcnt lgkmcnt(0)
	s_mul_hi_i32 s17, s16, s5
	s_mul_i32 s16, s16, s5
	s_waitcnt vmcnt(1)
	v_mad_i64_i32 v[1:2], null, v5, s5, 0
	v_and_b32_e32 v5, 0xf0, v3
	s_waitcnt vmcnt(0)
	v_mad_i64_i32 v[3:4], null, v6, s5, 0
	s_delay_alu instid0(VALU_DEP_2) | instskip(NEXT) | instid1(VALU_DEP_4)
	v_add_co_u32 v7, s9, s24, v5
	v_lshlrev_b64 v[1:2], 1, v[1:2]
	v_add_co_ci_u32_e64 v8, null, s25, 0, s9
	s_delay_alu instid0(VALU_DEP_4) | instskip(SKIP_1) | instid1(VALU_DEP_3)
	v_lshlrev_b64 v[5:6], 1, v[3:4]
	s_or_b32 s9, s31, 0x60
	v_add_co_u32 v3, vcc_lo, v7, v1
	s_delay_alu instid0(VALU_DEP_3) | instskip(NEXT) | instid1(VALU_DEP_3)
	v_add_co_ci_u32_e32 v4, vcc_lo, v8, v2, vcc_lo
	v_add_co_u32 v1, vcc_lo, v7, v5
	s_delay_alu instid0(VALU_DEP_4)
	v_add_co_ci_u32_e32 v2, vcc_lo, v8, v6, vcc_lo
	s_clause 0x9
	global_load_b128 v[9:12], v[3:4], off
	global_load_b128 v[13:16], v[3:4], off offset:256
	global_load_b128 v[129:132], v[1:2], off
	global_load_b128 v[133:136], v[1:2], off offset:256
	global_load_b128 v[41:44], v[3:4], off offset:512
	;; [unrolled: 1-line block ×7, first 2 shown]
	v_add_nc_u32_e32 v5, -11, v148
	v_cmp_gt_u32_e32 vcc_lo, 11, v148
	s_clause 0x1
	global_load_b128 v[151:154], v[1:2], off offset:1024
	global_load_b128 v[155:158], v[1:2], off offset:1280
	s_ashr_i32 s13, s9, 4
	s_cmp_lt_i32 s9, s30
	v_lshlrev_b32_e32 v6, 5, v148
	v_cndmask_b32_e32 v5, v5, v148, vcc_lo
	s_cselect_b32 s22, s13, s3
	s_delay_alu instid0(SALU_CYCLE_1) | instskip(NEXT) | instid1(VALU_DEP_2)
	s_ashr_i32 s23, s22, 31
	v_lshl_or_b32 v6, v149, 9, v6
	s_delay_alu instid0(VALU_DEP_2)
	v_lshlrev_b32_e32 v197, 6, v5
	ds_load_b128 v[159:162], v197
	ds_load_b128 v[163:166], v197 offset:1024
	s_clause 0x3
	global_load_b128 v[167:170], v[3:4], off offset:1536
	global_load_b128 v[171:174], v[3:4], off offset:1792
	;; [unrolled: 1-line block ×4, first 2 shown]
	s_lshl_b64 s[22:23], s[22:23], 2
	s_delay_alu instid0(SALU_CYCLE_1)
	s_add_u32 s22, s4, s22
	s_addc_u32 s23, s37, s23
	s_or_b32 s9, s31, 0x70
	s_load_b32 s46, s[22:23], 0x0
	s_ashr_i32 s13, s9, 4
	s_cmp_lt_i32 s9, s30
	s_cselect_b32 s24, s13, s3
	s_delay_alu instid0(SALU_CYCLE_1) | instskip(NEXT) | instid1(SALU_CYCLE_1)
	s_ashr_i32 s25, s24, 31
	s_lshl_b64 s[24:25], s[24:25], 2
	s_delay_alu instid0(SALU_CYCLE_1)
	s_add_u32 s24, s4, s24
	s_addc_u32 s25, s37, s25
	s_or_b32 s9, s31, 0x80
	s_load_b32 s47, s[24:25], 0x0
	s_ashr_i32 s13, s9, 4
	s_cmp_lt_i32 s9, s30
	s_cselect_b32 s26, s13, s3
	s_delay_alu instid0(SALU_CYCLE_1) | instskip(NEXT) | instid1(SALU_CYCLE_1)
	s_ashr_i32 s27, s26, 31
	;; [unrolled: 11-line block ×3, first 2 shown]
	s_lshl_b64 s[28:29], s[28:29], 2
	s_delay_alu instid0(SALU_CYCLE_1) | instskip(SKIP_2) | instid1(SALU_CYCLE_1)
	s_add_u32 s28, s4, s28
	s_addc_u32 s29, s37, s29
	s_or_b32 s9, s31, 0xa0
	s_ashr_i32 s13, s9, 4
	s_cmp_lt_i32 s9, s30
	s_cselect_b32 s38, s13, s3
	s_delay_alu instid0(SALU_CYCLE_1) | instskip(NEXT) | instid1(SALU_CYCLE_1)
	s_ashr_i32 s39, s38, 31
	s_lshl_b64 s[38:39], s[38:39], 2
	s_delay_alu instid0(SALU_CYCLE_1) | instskip(SKIP_2) | instid1(SALU_CYCLE_1)
	s_add_u32 s38, s4, s38
	s_addc_u32 s39, s37, s39
	s_or_b32 s9, s31, 0xb0
	s_ashr_i32 s13, s9, 4
	s_cmp_lt_i32 s9, s30
	s_mul_hi_i32 s9, s8, s5
	s_cselect_b32 s40, s13, s3
	s_mul_i32 s8, s8, s5
	s_ashr_i32 s41, s40, 31
	s_mul_hi_i32 s13, s12, s5
	s_lshl_b64 s[40:41], s[40:41], 2
	s_mul_i32 s12, s12, s5
	s_add_u32 s42, s4, s40
	s_addc_u32 s43, s37, s41
	s_or_b32 s19, s31, 0xc0
	s_delay_alu instid0(SALU_CYCLE_1)
	s_ashr_i32 s21, s19, 4
	s_cmp_lt_i32 s19, s30
	s_mul_hi_i32 s19, s18, s5
	s_cselect_b32 s40, s21, s3
	s_mul_i32 s18, s18, s5
	s_ashr_i32 s41, s40, 31
	s_mul_hi_i32 s21, s20, s5
	s_lshl_b64 s[40:41], s[40:41], 2
	s_mul_i32 s20, s20, s5
	s_add_u32 s44, s4, s40
	s_addc_u32 s45, s37, s41
	s_load_b32 s41, s[28:29], 0x0
	s_or_b32 s40, s31, 0xd0
	s_mul_hi_i32 s23, s15, s5
	s_ashr_i32 s22, s40, 4
	s_cmp_lt_i32 s40, s30
	s_load_b32 s40, s[38:39], 0x0
	s_cselect_b32 s24, s22, s3
	s_mul_i32 s22, s15, s5
	s_ashr_i32 s25, s24, 31
	s_waitcnt lgkmcnt(0)
	s_mul_hi_i32 s29, s48, s5
	s_lshl_b64 s[24:25], s[24:25], 2
	s_mul_i32 s28, s48, s5
	s_add_u32 s24, s4, s24
	s_addc_u32 s25, s37, s25
	s_or_b32 s49, s31, 0xe0
	s_clause 0x2
	s_load_b32 s39, s[42:43], 0x0
	s_load_b32 s38, s[44:45], 0x0
	s_load_b32 s15, s[24:25], 0x0
	s_ashr_i32 s50, s49, 4
	s_cmp_lt_i32 s49, s30
	s_mul_hi_i32 s25, s46, s5
	s_cselect_b32 s44, s50, s3
	s_mul_i32 s24, s46, s5
	s_ashr_i32 s45, s44, 31
	s_mul_hi_i32 s27, s47, s5
	s_lshl_b64 s[44:45], s[44:45], 2
	s_mul_i32 s26, s47, s5
	s_add_u32 s44, s4, s44
	s_addc_u32 s45, s37, s45
	s_or_b32 s46, s31, 0xf0
	s_mul_hi_i32 s43, s41, s5
	s_ashr_i32 s48, s46, 4
	s_cmp_lt_i32 s46, s30
	s_mul_i32 s42, s41, s5
	s_cselect_b32 s48, s48, s3
	s_mul_hi_i32 s41, s40, s5
	s_ashr_i32 s49, s48, 31
	s_mul_i32 s40, s40, s5
	s_lshl_b64 s[48:49], s[48:49], 2
	s_waitcnt lgkmcnt(0)
	s_mul_hi_i32 s47, s39, s5
	s_add_u32 s48, s4, s48
	s_addc_u32 s49, s37, s49
	s_add_u32 s3, s10, s6
	s_addc_u32 s4, s11, s7
	v_add_co_u32 v195, s3, s3, v6
	s_delay_alu instid0(VALU_DEP_1) | instskip(SKIP_2) | instid1(VALU_DEP_2)
	v_add_co_ci_u32_e64 v196, null, s4, 0, s3
	s_lshl_b64 s[6:7], s[8:9], 1
	s_lshl_b64 s[8:9], s[12:13], 1
	v_add_co_u32 v1, vcc_lo, v195, s6
	s_delay_alu instid0(VALU_DEP_2)
	v_add_co_ci_u32_e32 v2, vcc_lo, s7, v196, vcc_lo
	v_add_co_u32 v3, vcc_lo, v195, s8
	s_lshl_b64 s[10:11], s[16:17], 1
	v_add_co_ci_u32_e32 v4, vcc_lo, s9, v196, vcc_lo
	v_add_co_u32 v5, vcc_lo, v195, s10
	s_lshl_b64 s[12:13], s[18:19], 1
	;; [unrolled: 3-line block ×9, first 2 shown]
	s_mul_i32 s46, s39, s5
	v_add_co_ci_u32_e32 v54, vcc_lo, s27, v196, vcc_lo
	v_add_co_u32 v183, vcc_lo, v195, s28
	s_lshl_b64 s[40:41], s[46:47], 1
	s_mul_hi_i32 s39, s38, s5
	s_mul_i32 s38, s38, s5
	v_add_co_ci_u32_e32 v184, vcc_lo, s29, v196, vcc_lo
	v_add_co_u32 v185, vcc_lo, v195, s40
	s_lshl_b64 s[38:39], s[38:39], 1
	s_clause 0x1
	s_load_b32 s3, s[44:45], 0x0
	s_load_b32 s4, s[48:49], 0x0
	v_add_co_ci_u32_e32 v186, vcc_lo, s41, v196, vcc_lo
	v_add_co_u32 v191, vcc_lo, v195, s38
	v_add_co_ci_u32_e32 v192, vcc_lo, s39, v196, vcc_lo
	s_clause 0x17
	global_load_b128 v[121:124], v[1:2], off
	global_load_b128 v[125:128], v[1:2], off offset:16
	global_load_b128 v[113:116], v[3:4], off
	global_load_b128 v[117:120], v[3:4], off offset:16
	global_load_b128 v[105:108], v[5:6], off
	global_load_b128 v[109:112], v[5:6], off offset:16
	global_load_b128 v[97:100], v[7:8], off
	global_load_b128 v[101:104], v[7:8], off offset:16
	global_load_b128 v[89:92], v[25:26], off
	global_load_b128 v[93:96], v[25:26], off offset:16
	global_load_b128 v[81:84], v[27:28], off
	global_load_b128 v[85:88], v[27:28], off offset:16
	global_load_b128 v[73:76], v[29:30], off
	global_load_b128 v[77:80], v[29:30], off offset:16
	global_load_b128 v[65:68], v[31:32], off
	global_load_b128 v[69:72], v[31:32], off offset:16
	global_load_b128 v[57:60], v[49:50], off
	global_load_b128 v[61:64], v[49:50], off offset:16
	global_load_b128 v[49:52], v[53:54], off
	global_load_b128 v[53:56], v[53:54], off offset:16
	global_load_b128 v[25:28], v[183:184], off
	global_load_b128 v[29:32], v[183:184], off offset:16
	global_load_b128 v[1:4], v[185:186], off
	global_load_b128 v[5:8], v[185:186], off offset:16
	s_mul_hi_i32 s51, s15, s5
	s_mul_i32 s50, s15, s5
	s_delay_alu instid0(SALU_CYCLE_1) | instskip(NEXT) | instid1(SALU_CYCLE_1)
	s_lshl_b64 s[42:43], s[50:51], 1
	v_add_co_u32 v193, vcc_lo, v195, s42
	v_add_co_ci_u32_e32 v194, vcc_lo, s43, v196, vcc_lo
	s_waitcnt lgkmcnt(0)
	s_mul_hi_i32 s7, s3, s5
	s_mul_i32 s6, s3, s5
	s_mul_hi_i32 s9, s4, s5
	s_lshl_b64 s[6:7], s[6:7], 1
	s_mul_i32 s8, s4, s5
	s_delay_alu instid0(SALU_CYCLE_1)
	s_lshl_b64 s[4:5], s[8:9], 1
	s_waitcnt vmcnt(38)
	v_wmma_f32_16x16x16_f16 v[183:190], v[9:16], v[159:166], v[137:144]
	s_waitcnt vmcnt(36)
	v_wmma_f32_16x16x16_f16 v[137:144], v[129:136], v[159:166], v[137:144]
	s_clause 0x1
	global_load_b128 v[9:12], v[191:192], off
	global_load_b128 v[13:16], v[191:192], off offset:16
	ds_load_b128 v[129:132], v197 offset:2048
	ds_load_b128 v[133:136], v197 offset:3072
	;; [unrolled: 1-line block ×4, first 2 shown]
	v_add_co_u32 v191, vcc_lo, v195, s6
	v_add_co_ci_u32_e32 v192, vcc_lo, s7, v196, vcc_lo
	v_add_co_u32 v195, vcc_lo, v195, s4
	v_add_co_ci_u32_e32 v196, vcc_lo, s5, v196, vcc_lo
	s_waitcnt vmcnt(36) lgkmcnt(2)
	v_wmma_f32_16x16x16_f16 v[183:190], v[41:48], v[129:136], v[183:190]
	s_waitcnt vmcnt(34)
	v_wmma_f32_16x16x16_f16 v[137:144], v[33:40], v[129:136], v[137:144]
	s_clause 0x3
	global_load_b128 v[33:36], v[193:194], off
	global_load_b128 v[37:40], v[193:194], off offset:16
	global_load_b128 v[41:44], v[191:192], off
	global_load_b128 v[45:48], v[191:192], off offset:16
	v_and_b32_e32 v129, 0xe0, v0
	v_mbcnt_lo_u32_b32 v191, -1, 0
	s_waitcnt vmcnt(36) lgkmcnt(0)
	v_wmma_f32_16x16x16_f16 v[183:190], v[17:24], v[159:166], v[183:190]
	s_clause 0x1
	global_load_b128 v[17:20], v[195:196], off
	global_load_b128 v[21:24], v[195:196], off offset:16
	s_waitcnt vmcnt(36)
	v_wmma_f32_16x16x16_f16 v[137:144], v[151:158], v[159:166], v[137:144]
	v_add_nc_u32_e32 v192, s31, v129
	ds_load_b128 v[129:132], v197 offset:6144
	ds_load_b128 v[133:136], v197 offset:7168
	v_xor_b32_e32 v151, 16, v191
	s_waitcnt vmcnt(0) lgkmcnt(0)
	s_barrier
	v_or_b32_e32 v152, v192, v146
	buffer_gl0_inv
	v_cmp_gt_i32_e32 vcc_lo, 32, v151
	v_or_b32_e32 v153, 2, v152
	v_or_b32_e32 v154, 4, v152
	;; [unrolled: 1-line block ×5, first 2 shown]
	v_cmp_gt_i32_e64 s3, s30, v153
	v_cmp_gt_i32_e64 s4, s30, v154
	;; [unrolled: 1-line block ×3, first 2 shown]
	v_or_b32_e32 v158, 12, v152
	v_or_b32_e32 v159, 14, v152
	v_cmp_gt_i32_e64 s6, s30, v156
	v_wmma_f32_16x16x16_f16 v[183:190], v[167:174], v[129:136], v[183:190]
	v_wmma_f32_16x16x16_f16 v[137:144], v[175:182], v[129:136], v[137:144]
	v_cndmask_b32_e32 v151, v191, v151, vcc_lo
	v_cmp_gt_i32_e32 vcc_lo, s30, v152
	v_cmp_gt_i32_e64 s7, s30, v157
	v_dual_mul_f32 v135, s36, v184 :: v_dual_mul_f32 v136, s36, v183
	v_dual_mul_f32 v133, s36, v186 :: v_dual_mul_f32 v134, s36, v185
	;; [unrolled: 1-line block ×3, first 2 shown]
	s_delay_alu instid0(VALU_DEP_3) | instskip(NEXT) | instid1(VALU_DEP_4)
	v_cndmask_b32_e32 v136, 0xff7fffff, v136, vcc_lo
	v_cndmask_b32_e64 v135, 0xff7fffff, v135, s3
	v_mul_f32_e32 v132, s36, v187
	v_cndmask_b32_e64 v134, 0xff7fffff, v134, s4
	v_cndmask_b32_e64 v133, 0xff7fffff, v133, s5
	v_or_b32_e32 v160, 16, v152
	v_max3_f32 v135, v136, 0xff7fffff, v135
	v_or_b32_e32 v161, 18, v152
	v_mul_f32_e32 v130, s36, v189
	v_dual_mul_f32 v172, s36, v140 :: v_dual_mul_f32 v129, s36, v190
	v_cndmask_b32_e64 v132, 0xff7fffff, v132, s6
	v_cndmask_b32_e64 v131, 0xff7fffff, v131, s7
	v_max3_f32 v133, v135, v134, v133
	v_cmp_gt_i32_e64 s8, s30, v158
	v_cmp_gt_i32_e64 s9, s30, v159
	v_or_b32_e32 v162, 20, v152
	v_or_b32_e32 v163, 22, v152
	v_mul_f32_e32 v175, s36, v137
	v_cndmask_b32_e64 v130, 0xff7fffff, v130, s8
	v_cndmask_b32_e64 v129, 0xff7fffff, v129, s9
	v_max3_f32 v131, v133, v132, v131
	v_cmp_gt_i32_e64 s10, s30, v160
	v_cmp_gt_i32_e64 s11, s30, v161
	v_or_b32_e32 v164, 24, v152
	v_or_b32_e32 v165, 26, v152
	v_mul_f32_e32 v173, s36, v139
	v_cndmask_b32_e64 v132, 0xff7fffff, v175, s10
	v_cndmask_b32_e64 v133, 0xff7fffff, v174, s11
	v_max3_f32 v129, v131, v130, v129
	v_cmp_gt_i32_e64 s12, s30, v162
	v_cmp_gt_i32_e64 s13, s30, v163
	v_or_b32_e32 v166, 28, v152
	v_or_b32_e32 v167, 30, v152
	v_dual_mul_f32 v170, s36, v142 :: v_dual_mul_f32 v171, s36, v141
	v_cndmask_b32_e64 v130, 0xff7fffff, v173, s12
	v_cndmask_b32_e64 v131, 0xff7fffff, v172, s13
	v_max3_f32 v129, v129, v132, v133
	v_cmp_gt_i32_e64 s15, s30, v164
	v_cmp_gt_i32_e64 s16, s30, v165
	v_dual_mul_f32 v168, s36, v144 :: v_dual_mul_f32 v169, s36, v143
	s_delay_alu instid0(VALU_DEP_4) | instskip(NEXT) | instid1(VALU_DEP_4)
	v_max3_f32 v129, v129, v130, v131
	v_cndmask_b32_e64 v132, 0xff7fffff, v171, s15
	s_delay_alu instid0(VALU_DEP_4) | instskip(SKIP_2) | instid1(VALU_DEP_3)
	v_cndmask_b32_e64 v133, 0xff7fffff, v170, s16
	v_cmp_gt_i32_e64 s17, s30, v166
	v_cmp_gt_i32_e64 s18, s30, v167
	v_max3_f32 v129, v129, v132, v133
	s_delay_alu instid0(VALU_DEP_3) | instskip(NEXT) | instid1(VALU_DEP_3)
	v_cndmask_b32_e64 v130, 0xff7fffff, v169, s17
	v_cndmask_b32_e64 v131, 0xff7fffff, v168, s18
	v_lshlrev_b32_e32 v132, 2, v151
	s_delay_alu instid0(VALU_DEP_2) | instskip(SKIP_3) | instid1(VALU_DEP_1)
	v_max3_f32 v129, v129, v130, v131
	ds_bpermute_b32 v130, v132, v129
	s_waitcnt lgkmcnt(0)
	v_max_f32_e32 v130, v130, v130
	v_max_f32_e32 v129, v129, v130
	s_delay_alu instid0(VALU_DEP_1) | instskip(SKIP_4) | instid1(VALU_DEP_4)
	v_fma_f32 v134, s36, v186, -v129
	v_fma_f32 v135, s36, v187, -v129
	;; [unrolled: 1-line block ×5, first 2 shown]
	v_dual_mul_f32 v134, 0x3fb8aa3b, v134 :: v_dual_mul_f32 v135, 0x3fb8aa3b, v135
	s_delay_alu instid0(VALU_DEP_4) | instskip(SKIP_1) | instid1(VALU_DEP_3)
	v_mul_f32_e32 v130, 0x3fb8aa3b, v130
	v_fma_f32 v136, s36, v189, -v129
	v_exp_f32_e32 v134, v134
	s_delay_alu instid0(VALU_DEP_3) | instskip(NEXT) | instid1(VALU_DEP_2)
	v_exp_f32_e32 v135, v135
	v_exp_f32_e32 v130, v130
	s_delay_alu instid0(VALU_DEP_1) | instskip(NEXT) | instid1(VALU_DEP_1)
	v_mul_f32_e32 v136, 0x3fb8aa3b, v136
	v_exp_f32_e32 v136, v136
	v_cndmask_b32_e64 v153, 0, v134, s5
	v_fma_f32 v134, s36, v137, -v129
	v_mul_f32_e32 v131, 0x3fb8aa3b, v131
	s_delay_alu instid0(TRANS32_DEP_3) | instskip(NEXT) | instid1(TRANS32_DEP_2)
	v_cndmask_b32_e64 v155, 0, v135, s6
	v_dual_mul_f32 v133, 0x3fb8aa3b, v133 :: v_dual_cndmask_b32 v152, 0, v130
	s_delay_alu instid0(VALU_DEP_4) | instskip(NEXT) | instid1(VALU_DEP_4)
	v_mul_f32_e32 v134, 0x3fb8aa3b, v134
	v_exp_f32_e32 v131, v131
	v_fma_f32 v135, s36, v138, -v129
	s_delay_alu instid0(VALU_DEP_3)
	v_exp_f32_e32 v133, v133
	v_fma_f32 v130, s36, v188, -v129
	v_cndmask_b32_e64 v156, 0, v136, s8
	v_fma_f32 v136, s36, v140, -v129
	v_mul_f32_e32 v135, 0x3fb8aa3b, v135
	v_exp_f32_e32 v134, v134
	v_mul_f32_e32 v130, 0x3fb8aa3b, v130
	s_delay_alu instid0(TRANS32_DEP_3) | instskip(SKIP_1) | instid1(TRANS32_DEP_2)
	v_cndmask_b32_e64 v151, 0, v131, s3
	v_add_f32_e32 v131, 0, v152
	v_cndmask_b32_e64 v154, 0, v133, s4
	v_exp_f32_e32 v135, v135
	v_fma_f32 v133, s36, v190, -v129
	v_exp_f32_e32 v130, v130
	v_dual_add_f32 v131, v131, v151 :: v_dual_mul_f32 v136, 0x3fb8aa3b, v136
	v_cmp_gt_u32_e64 s3, 16, v150
	s_delay_alu instid0(VALU_DEP_3) | instskip(NEXT) | instid1(VALU_DEP_3)
	v_mul_f32_e32 v133, 0x3fb8aa3b, v133
	v_add_f32_e32 v131, v131, v154
	s_delay_alu instid0(VALU_DEP_4) | instskip(NEXT) | instid1(TRANS32_DEP_3)
	v_exp_f32_e32 v136, v136
	v_cndmask_b32_e64 v140, 0, v135, s11
	s_delay_alu instid0(VALU_DEP_3) | instskip(NEXT) | instid1(TRANS32_DEP_3)
	v_exp_f32_e32 v133, v133
	v_cndmask_b32_e64 v138, 0, v130, s7
	v_add_f32_e32 v131, v131, v153
	v_fma_f32 v135, s36, v143, -v129
	s_delay_alu instid0(VALU_DEP_2)
	v_add_f32_e32 v130, v131, v155
	v_fma_f32 v131, s36, v139, -v129
	s_waitcnt_depctr 0xfff
	v_cndmask_b32_e64 v139, 0, v133, s9
	v_fma_f32 v133, s36, v141, -v129
	v_add_f32_e32 v130, v130, v138
	v_cndmask_b32_e64 v141, 0, v134, s10
	v_fma_f32 v134, s36, v142, -v129
	v_cndmask_b32_e64 v142, 0, v136, s13
	s_delay_alu instid0(VALU_DEP_4) | instskip(NEXT) | instid1(VALU_DEP_3)
	v_dual_mul_f32 v131, 0x3fb8aa3b, v131 :: v_dual_add_f32 v130, v130, v156
	v_mul_f32_e32 v134, 0x3fb8aa3b, v134
	s_delay_alu instid0(VALU_DEP_2) | instskip(NEXT) | instid1(VALU_DEP_2)
	v_exp_f32_e32 v131, v131
	v_add_f32_e32 v130, v130, v139
	s_delay_alu instid0(VALU_DEP_2) | instskip(NEXT) | instid1(VALU_DEP_1)
	v_exp_f32_e32 v134, v134
	v_add_f32_e32 v130, v130, v141
	s_waitcnt_depctr 0xfff
	v_cndmask_b32_e64 v143, 0, v131, s12
	v_dual_add_f32 v130, v130, v140 :: v_dual_mul_f32 v133, 0x3fb8aa3b, v133
	s_delay_alu instid0(VALU_DEP_1) | instskip(NEXT) | instid1(VALU_DEP_2)
	v_add_f32_e32 v130, v130, v143
	v_exp_f32_e32 v133, v133
	s_delay_alu instid0(VALU_DEP_1)
	v_add_f32_e32 v130, v130, v142
	s_waitcnt_depctr 0xfff
	v_cndmask_b32_e64 v157, 0, v133, s15
	v_mul_f32_e32 v131, 0x3fb8aa3b, v135
	v_fma_f32 v135, s36, v144, -v129
	v_cndmask_b32_e64 v144, 0, v134, s16
	s_delay_alu instid0(VALU_DEP_4) | instskip(NEXT) | instid1(VALU_DEP_4)
	v_add_f32_e32 v130, v130, v157
	v_exp_f32_e32 v131, v131
	s_delay_alu instid0(VALU_DEP_1) | instskip(NEXT) | instid1(VALU_DEP_1)
	v_dual_mul_f32 v133, 0x3fb8aa3b, v135 :: v_dual_add_f32 v130, v130, v144
	v_exp_f32_e32 v133, v133
	s_waitcnt_depctr 0xfff
	v_cndmask_b32_e64 v159, 0, v131, s17
	s_delay_alu instid0(VALU_DEP_1) | instskip(SKIP_1) | instid1(VALU_DEP_1)
	v_add_f32_e32 v130, v130, v159
	v_cndmask_b32_e64 v158, 0, v133, s18
	v_add_f32_e32 v130, v130, v158
	ds_bpermute_b32 v131, v132, v130
	s_and_saveexec_b32 s4, s3
	s_cbranch_execz .LBB48_12
; %bb.11:
	v_mul_u32_u24_e32 v132, 0x44, v149
	s_delay_alu instid0(VALU_DEP_1) | instskip(SKIP_1) | instid1(VALU_DEP_1)
	v_lshl_add_u32 v132, v148, 2, v132
	s_waitcnt lgkmcnt(0)
	v_dual_add_f32 v130, v130, v131 :: v_dual_add_nc_u32 v131, 0x4000, v132
	ds_store_2addr_b32 v131, v129, v130 offset1:136
.LBB48_12:
	s_or_b32 exec_lo, exec_lo, s4
	v_lshlrev_b32_e32 v129, 2, v148
	s_load_b32 s36, s[0:1], 0x94
	s_waitcnt lgkmcnt(0)
	s_barrier
	buffer_gl0_inv
	v_add_nc_u32_e32 v135, 0x4000, v129
	v_cmp_eq_u32_e32 vcc_lo, 1, v149
	v_cmp_eq_u32_e64 s4, 2, v149
	v_cmp_eq_u32_e64 s5, 3, v149
	;; [unrolled: 1-line block ×3, first 2 shown]
	ds_load_2addr_b32 v[129:130], v135 offset1:17
	ds_load_2addr_b32 v[131:132], v135 offset0:34 offset1:51
	ds_load_2addr_b32 v[133:134], v135 offset0:68 offset1:85
	;; [unrolled: 1-line block ×3, first 2 shown]
	v_cmp_eq_u32_e64 s7, 5, v149
	v_cmp_eq_u32_e64 s8, 7, v149
	s_waitcnt lgkmcnt(3)
	v_max3_f32 v136, v129, 0xff7fffff, v130
	s_waitcnt lgkmcnt(2)
	s_delay_alu instid0(VALU_DEP_1) | instskip(SKIP_1) | instid1(VALU_DEP_1)
	v_max3_f32 v136, v136, v131, v132
	s_waitcnt lgkmcnt(1)
	v_max3_f32 v136, v136, v133, v134
	s_waitcnt lgkmcnt(0)
	s_delay_alu instid0(VALU_DEP_1) | instskip(NEXT) | instid1(VALU_DEP_1)
	v_max3_f32 v136, v136, v160, v161
	v_sub_f32_e32 v164, v132, v136
	ds_load_2addr_b32 v[162:163], v135 offset0:136 offset1:153
	v_sub_f32_e32 v129, v129, v136
	v_sub_f32_e32 v137, v130, v136
	;; [unrolled: 1-line block ×3, first 2 shown]
	v_mul_f32_e32 v164, 0x3fb8aa3b, v164
	s_delay_alu instid0(VALU_DEP_4) | instskip(NEXT) | instid1(VALU_DEP_4)
	v_mul_f32_e32 v150, 0x3fb8aa3b, v129
	v_mul_f32_e32 v137, 0x3fb8aa3b, v137
	ds_load_2addr_b32 v[129:130], v135 offset0:170 offset1:187
	v_mul_f32_e32 v167, 0x3fb8aa3b, v133
	v_exp_f32_e32 v164, v164
	v_exp_f32_e32 v150, v150
	;; [unrolled: 1-line block ×3, first 2 shown]
	v_sub_f32_e32 v131, v131, v136
	s_delay_alu instid0(VALU_DEP_1)
	v_mul_f32_e32 v165, 0x3fb8aa3b, v131
	ds_load_2addr_b32 v[131:132], v135 offset0:204 offset1:221
	s_waitcnt lgkmcnt(2)
	v_fma_f32 v137, v150, v162, 0
	v_sub_f32_e32 v162, v134, v136
	v_exp_f32_e32 v165, v165
	ds_load_2addr_b32 v[133:134], v135 offset0:238 offset1:255
	v_sub_f32_e32 v135, v160, v136
	v_dual_fmac_f32 v137, v166, v163 :: v_dual_mul_f32 v160, 0x3fb8aa3b, v162
	v_exp_f32_e32 v162, v167
	s_waitcnt lgkmcnt(0)
	s_delay_alu instid0(VALU_DEP_2)
	v_mul_f32_e32 v135, 0x3fb8aa3b, v135
	s_barrier
	v_exp_f32_e32 v160, v160
	v_fmac_f32_e32 v137, v165, v129
	v_sub_f32_e32 v129, v161, v136
	v_exp_f32_e32 v161, v135
	buffer_gl0_inv
	v_fmac_f32_e32 v137, v164, v130
	v_dual_mul_f32 v129, 0x3fb8aa3b, v129 :: v_dual_cndmask_b32 v130, v150, v166
	s_delay_alu instid0(VALU_DEP_2) | instskip(NEXT) | instid1(VALU_DEP_2)
	v_fmac_f32_e32 v137, v162, v131
	v_exp_f32_e32 v163, v129
	s_delay_alu instid0(VALU_DEP_1) | instskip(NEXT) | instid1(VALU_DEP_1)
	v_fmac_f32_e32 v137, v160, v132
	v_fmac_f32_e32 v137, v161, v133
	v_lshlrev_b32_e32 v133, 6, v148
	s_waitcnt_depctr 0xfff
	v_fmac_f32_e32 v137, v163, v134
	v_lshl_or_b32 v135, v149, 11, v133
	s_delay_alu instid0(VALU_DEP_2) | instskip(NEXT) | instid1(VALU_DEP_1)
	v_add_f32_e32 v134, 0x358637bd, v137
	v_div_scale_f32 v167, null, v134, v134, 1.0
	v_div_scale_f32 v150, vcc_lo, 1.0, v134, 1.0
	s_delay_alu instid0(VALU_DEP_2) | instskip(SKIP_2) | instid1(VALU_DEP_1)
	v_rcp_f32_e32 v168, v167
	s_waitcnt_depctr 0xfff
	v_fma_f32 v129, -v167, v168, 1.0
	v_fmac_f32_e32 v168, v129, v168
	v_cndmask_b32_e64 v129, v130, v165, s4
	v_cmp_eq_u32_e64 s4, 6, v149
	s_delay_alu instid0(VALU_DEP_3) | instskip(NEXT) | instid1(VALU_DEP_3)
	v_mul_f32_e32 v165, v150, v168
	v_cndmask_b32_e64 v130, v129, v164, s5
	v_lshlrev_b32_e32 v129, 2, v146
	s_delay_alu instid0(VALU_DEP_3) | instskip(NEXT) | instid1(VALU_DEP_3)
	v_fma_f32 v131, -v167, v165, v150
	v_cndmask_b32_e64 v162, v130, v162, s6
	s_delay_alu instid0(VALU_DEP_3)
	v_or_b32_e32 v130, 1, v129
	v_or_b32_e32 v132, 2, v129
	v_cmp_eq_u32_e64 s5, 1, v129
	v_fmac_f32_e32 v165, v131, v168
	v_cndmask_b32_e64 v149, v162, v160, s7
	v_or_b32_e32 v131, 3, v129
	v_cmp_eq_u32_e64 s10, 1, v130
	v_cmp_eq_u32_e64 s11, 1, v132
	v_fma_f32 v150, -v167, v165, v150
	v_cndmask_b32_e64 v149, v149, v161, s4
	v_cmp_eq_u32_e64 s12, 1, v131
	v_cmp_eq_u32_e64 s6, 2, v129
	;; [unrolled: 1-line block ×3, first 2 shown]
	v_div_fmas_f32 v150, v150, v168, v165
	v_cndmask_b32_e64 v149, v149, v163, s8
	v_cmp_eq_u32_e64 s16, 2, v132
	v_cmp_eq_u32_e64 s17, 2, v131
	v_cmp_eq_u32_e32 vcc_lo, 3, v129
	v_div_fixup_f32 v150, v150, v134, 1.0
	v_lshl_or_b32 v134, v146, 4, v135
	v_cmp_eq_u32_e64 s15, 3, v130
	v_cmp_eq_u32_e64 s19, 3, v131
	;; [unrolled: 1-line block ×3, first 2 shown]
	v_mul_f32_e32 v149, v149, v150
	v_cmp_eq_u32_e64 s18, 3, v132
	v_cmp_eq_u32_e64 s20, 4, v130
	;; [unrolled: 1-line block ×4, first 2 shown]
	v_fma_mixlo_f16 v160, v149, v152, 0
	v_fma_mixlo_f16 v161, v149, v154, 0
	;; [unrolled: 1-line block ×8, first 2 shown]
	v_fma_mixhi_f16 v160, v149, v151, 0
	v_fma_mixhi_f16 v161, v149, v153, 0
	;; [unrolled: 1-line block ×8, first 2 shown]
	ds_store_b128 v134, v[160:163]
	ds_store_b128 v134, v[154:157] offset:1024
	s_waitcnt lgkmcnt(0)
	s_barrier
	buffer_gl0_inv
	ds_load_b128 v[138:141], v135
	ds_load_b128 v[149:152], v135 offset:16
	ds_load_b128 v[153:156], v135 offset:1024
	ds_load_b128 v[157:160], v135 offset:1040
	v_cmp_eq_u32_e64 s21, 5, v130
	v_cmp_eq_u32_e64 s22, 4, v132
	;; [unrolled: 1-line block ×12, first 2 shown]
	s_waitcnt lgkmcnt(3)
	v_lshrrev_b32_e32 v142, 16, v138
	s_waitcnt lgkmcnt(2)
	v_lshrrev_b32_e32 v162, 16, v149
	;; [unrolled: 2-line block ×4, first 2 shown]
	v_lshrrev_b32_e32 v143, 16, v139
	v_cndmask_b32_e64 v174, v138, v142, s5
	v_cndmask_b32_e64 v175, v149, v162, s5
	;; [unrolled: 1-line block ×7, first 2 shown]
	v_lshrrev_b32_e32 v163, 16, v150
	v_cndmask_b32_e64 v179, v149, v162, s11
	v_cndmask_b32_e64 v149, v153, v166, s5
	;; [unrolled: 1-line block ×16, first 2 shown]
	v_lshrrev_b32_e32 v167, 16, v154
	v_lshrrev_b32_e32 v171, 16, v158
	v_cndmask_b32_e64 v177, v179, v150, s16
	v_cndmask_b32_e64 v142, v149, v154, s6
	;; [unrolled: 1-line block ×7, first 2 shown]
	v_cndmask_b32_e32 v157, v166, v143, vcc_lo
	v_cndmask_b32_e32 v166, v170, v163, vcc_lo
	v_cndmask_b32_e64 v170, v174, v143, s15
	v_cndmask_b32_e64 v174, v175, v163, s15
	;; [unrolled: 1-line block ×4, first 2 shown]
	v_lshrrev_b32_e32 v144, 16, v140
	v_lshrrev_b32_e32 v164, 16, v151
	v_cndmask_b32_e64 v175, v176, v143, s18
	v_cndmask_b32_e64 v176, v177, v163, s18
	v_cndmask_b32_e32 v142, v142, v167, vcc_lo
	v_cndmask_b32_e32 v143, v149, v171, vcc_lo
	v_cndmask_b32_e64 v149, v150, v167, s15
	v_cndmask_b32_e64 v150, v157, v140, s4
	;; [unrolled: 1-line block ×7, first 2 shown]
	v_lshrrev_b32_e32 v168, 16, v155
	v_cndmask_b32_e64 v170, v175, v140, s22
	v_cndmask_b32_e64 v174, v176, v151, s22
	;; [unrolled: 1-line block ×11, first 2 shown]
	v_lshrrev_b32_e32 v161, 16, v141
	v_lshrrev_b32_e32 v165, 16, v152
	v_cndmask_b32_e64 v163, v170, v144, s24
	v_cndmask_b32_e64 v166, v174, v164, s24
	;; [unrolled: 1-line block ×9, first 2 shown]
	v_lshrrev_b32_e32 v169, 16, v156
	v_cndmask_b32_e64 v140, v140, v168, s7
	v_cndmask_b32_e64 v157, v163, v141, s27
	;; [unrolled: 1-line block ×14, first 2 shown]
	v_perm_b32 v141, v139, v138, 0x5040100
	v_perm_b32 v139, v151, v149, 0x5040100
	v_cndmask_b32_e64 v138, v183, v158, s16
	v_cndmask_b32_e64 v149, v181, v158, s13
	v_cndmask_b32_e64 v157, v140, v169, s9
	v_perm_b32 v140, v152, v150, 0x5040100
	v_cndmask_b32_e64 v150, v162, v167, s18
	v_cndmask_b32_e64 v151, v153, v167, s19
	;; [unrolled: 1-line block ×5, first 2 shown]
	v_lshrrev_b32_e32 v172, 16, v159
	v_cndmask_b32_e64 v150, v150, v155, s22
	v_cndmask_b32_e64 v151, v151, v155, s23
	;; [unrolled: 1-line block ×11, first 2 shown]
	v_lshrrev_b32_e32 v173, 16, v160
	v_cndmask_b32_e64 v142, v142, v160, s8
	v_cndmask_b32_e64 v150, v150, v156, s27
	;; [unrolled: 1-line block ×12, first 2 shown]
	v_perm_b32 v138, v144, v143, 0x5040100
	v_perm_b32 v152, v152, v151, 0x5040100
	;; [unrolled: 1-line block ×5, first 2 shown]
	s_mul_i32 s8, s35, 11
	s_mov_b32 s4, exec_lo
	ds_store_b128 v134, v[138:141]
	ds_store_b128 v134, v[149:152] offset:1024
	v_cmpx_gt_u32_e32 11, v0
	s_cbranch_execz .LBB48_14
; %bb.13:
	s_mul_i32 s5, s8, s34
	s_load_b128 s[16:19], s[0:1], 0x58
	v_add3_u32 v140, s5, s33, v148
	s_delay_alu instid0(VALU_DEP_1) | instskip(NEXT) | instid1(VALU_DEP_1)
	v_mad_u64_u32 v[138:139], null, v140, s36, s[14:15]
	v_ashrrev_i32_e32 v139, 31, v138
	s_delay_alu instid0(VALU_DEP_1) | instskip(SKIP_1) | instid1(VALU_DEP_1)
	v_lshlrev_b64 v[138:139], 2, v[138:139]
	s_waitcnt lgkmcnt(0)
	v_add_co_u32 v140, vcc_lo, s18, v138
	s_delay_alu instid0(VALU_DEP_2)
	v_add_co_ci_u32_e32 v141, vcc_lo, s19, v139, vcc_lo
	v_add_co_u32 v138, vcc_lo, s16, v138
	v_add_co_ci_u32_e32 v139, vcc_lo, s17, v139, vcc_lo
	global_store_b32 v[140:141], v136, off
	global_store_b32 v[138:139], v137, off
.LBB48_14:
	s_or_b32 exec_lo, exec_lo, s4
	s_waitcnt lgkmcnt(0)
	s_waitcnt_vscnt null, 0x0
	s_barrier
	buffer_gl0_inv
	ds_load_b128 v[148:151], v133
	ds_load_b128 v[152:155], v133 offset:16
	ds_load_b128 v[160:163], v133 offset:1040
	;; [unrolled: 1-line block ×5, first 2 shown]
	v_cmp_eq_u32_e32 vcc_lo, 1, v132
	v_mov_b32_e32 v136, 0
	ds_load_b128 v[176:179], v133 offset:3088
	ds_load_b128 v[172:175], v133 offset:3072
	;; [unrolled: 1-line block ×4, first 2 shown]
	v_cmp_eq_u32_e64 s4, 1, v129
	v_cmp_eq_u32_e64 s5, 1, v131
	;; [unrolled: 1-line block ×3, first 2 shown]
	v_mov_b32_e32 v137, v136
	v_mov_b32_e32 v138, v136
	;; [unrolled: 1-line block ×7, first 2 shown]
	v_cmp_eq_u32_e64 s7, 2, v129
	s_waitcnt lgkmcnt(8)
	s_delay_alu instid0(VALU_DEP_2)
	v_wmma_f32_16x16x16_f16 v[136:143], v[121:128], v[148:155], v[136:143]
	ds_load_b128 v[125:128], v133 offset:5136
	ds_load_b128 v[121:124], v133 offset:5120
	s_waitcnt lgkmcnt(8)
	v_wmma_f32_16x16x16_f16 v[136:143], v[113:120], v[156:163], v[136:143]
	ds_load_b128 v[117:120], v133 offset:6160
	ds_load_b128 v[113:116], v133 offset:6144
	s_waitcnt lgkmcnt(8)
	;; [unrolled: 4-line block ×11, first 2 shown]
	s_barrier
	buffer_gl0_inv
	v_wmma_f32_16x16x16_f16 v[136:143], v[1:8], v[73:80], v[136:143]
	s_delay_alu instid0(VALU_DEP_1) | instskip(NEXT) | instid1(VALU_DEP_1)
	v_wmma_f32_16x16x16_f16 v[136:143], v[9:16], v[65:72], v[136:143]
	v_wmma_f32_16x16x16_f16 v[136:143], v[33:40], v[57:64], v[136:143]
	s_delay_alu instid0(VALU_DEP_1) | instskip(NEXT) | instid1(VALU_DEP_1)
	v_wmma_f32_16x16x16_f16 v[136:143], v[41:48], v[49:56], v[136:143]
	v_wmma_f32_16x16x16_f16 v[136:143], v[17:24], v[25:32], v[136:143]
	s_delay_alu instid0(VALU_DEP_1) | instskip(NEXT) | instid1(VALU_DEP_2)
	v_cvt_f16_f32_e64 v1, v136
	v_cvt_f16_f32_e64 v2, v137
	s_delay_alu instid0(VALU_DEP_3) | instskip(NEXT) | instid1(VALU_DEP_4)
	v_cvt_f16_f32_e64 v3, v138
	v_cvt_f16_f32_e64 v4, v139
	;; [unrolled: 1-line block ×6, first 2 shown]
	v_pack_b32_f16 v1, v1, v2
	v_pack_b32_f16 v2, v3, v4
	;; [unrolled: 1-line block ×3, first 2 shown]
	s_delay_alu instid0(VALU_DEP_4)
	v_pack_b32_f16 v4, v7, v8
	ds_store_b128 v134, v[1:4]
	s_waitcnt lgkmcnt(0)
	s_barrier
	buffer_gl0_inv
	ds_load_b128 v[1:4], v135
	ds_load_b128 v[5:8], v135 offset:16
	s_waitcnt lgkmcnt(1)
	v_lshrrev_b32_e32 v9, 16, v1
	s_waitcnt lgkmcnt(0)
	v_lshrrev_b32_e32 v13, 16, v5
	v_lshrrev_b32_e32 v10, 16, v2
	;; [unrolled: 1-line block ×4, first 2 shown]
	v_cndmask_b32_e64 v17, v1, v9, s4
	v_cndmask_b32_e64 v18, v5, v13, s4
	;; [unrolled: 1-line block ×3, first 2 shown]
	v_cmp_eq_u32_e64 s4, 2, v130
	v_cndmask_b32_e64 v20, v5, v13, s6
	v_cndmask_b32_e32 v21, v1, v9, vcc_lo
	v_cndmask_b32_e32 v22, v5, v13, vcc_lo
	v_cndmask_b32_e64 v1, v1, v9, s5
	v_cndmask_b32_e64 v5, v5, v13, s5
	v_cmp_eq_u32_e32 vcc_lo, 2, v132
	v_cmp_eq_u32_e64 s5, 2, v131
	v_cndmask_b32_e64 v9, v17, v2, s7
	v_cndmask_b32_e64 v13, v18, v6, s7
	;; [unrolled: 1-line block ×4, first 2 shown]
	v_cndmask_b32_e32 v19, v21, v2, vcc_lo
	v_cmp_eq_u32_e64 s4, 3, v132
	v_cndmask_b32_e32 v20, v22, v6, vcc_lo
	v_cndmask_b32_e64 v1, v1, v2, s5
	v_cmp_eq_u32_e32 vcc_lo, 3, v131
	v_cmp_eq_u32_e64 s6, 3, v129
	v_cndmask_b32_e64 v2, v5, v6, s5
	v_cmp_eq_u32_e64 s5, 3, v130
	v_cmp_eq_u32_e64 s7, 4, v129
	v_cndmask_b32_e32 v1, v1, v10, vcc_lo
	v_cndmask_b32_e64 v5, v9, v10, s6
	v_cndmask_b32_e64 v6, v13, v14, s6
	;; [unrolled: 1-line block ×3, first 2 shown]
	v_cmp_eq_u32_e64 s6, 4, v130
	v_cndmask_b32_e64 v13, v18, v14, s5
	v_cndmask_b32_e64 v17, v19, v10, s4
	;; [unrolled: 1-line block ×3, first 2 shown]
	v_cndmask_b32_e32 v2, v2, v14, vcc_lo
	v_cmp_eq_u32_e32 vcc_lo, 4, v132
	v_cmp_eq_u32_e64 s5, 4, v131
	v_lshrrev_b32_e32 v15, 16, v7
	v_cndmask_b32_e64 v5, v5, v3, s7
	v_cndmask_b32_e64 v6, v6, v7, s7
	v_cndmask_b32_e32 v14, v18, v7, vcc_lo
	v_cndmask_b32_e64 v9, v9, v3, s6
	v_cndmask_b32_e64 v10, v13, v7, s6
	v_cndmask_b32_e32 v13, v17, v3, vcc_lo
	v_cmp_eq_u32_e64 s4, 5, v132
	v_cndmask_b32_e64 v1, v1, v3, s5
	v_cmp_eq_u32_e32 vcc_lo, 5, v131
	v_cmp_eq_u32_e64 s6, 5, v129
	v_cndmask_b32_e64 v2, v2, v7, s5
	v_cmp_eq_u32_e64 s5, 5, v130
	v_cmp_eq_u32_e64 s7, 6, v129
	v_lshrrev_b32_e32 v12, 16, v4
	v_cndmask_b32_e64 v3, v5, v11, s6
	v_cndmask_b32_e64 v5, v6, v15, s6
	v_cndmask_b32_e64 v6, v9, v11, s5
	v_cmp_eq_u32_e64 s6, 6, v130
	v_cndmask_b32_e64 v7, v10, v15, s5
	v_cndmask_b32_e64 v9, v13, v11, s4
	;; [unrolled: 1-line block ×3, first 2 shown]
	v_cndmask_b32_e32 v1, v1, v11, vcc_lo
	v_cndmask_b32_e32 v2, v2, v15, vcc_lo
	v_cmp_eq_u32_e32 vcc_lo, 6, v132
	v_cmp_eq_u32_e64 s4, 6, v131
	v_lshrrev_b32_e32 v16, 16, v8
	v_cndmask_b32_e64 v3, v3, v4, s7
	v_cndmask_b32_e64 v5, v5, v8, s7
	v_cndmask_b32_e32 v9, v9, v4, vcc_lo
	v_cndmask_b32_e64 v6, v6, v4, s6
	v_cndmask_b32_e64 v7, v7, v8, s6
	v_cmp_eq_u32_e64 s5, 7, v132
	v_cndmask_b32_e32 v10, v10, v8, vcc_lo
	v_cndmask_b32_e64 v1, v1, v4, s4
	v_cmp_eq_u32_e32 vcc_lo, 7, v131
	v_cndmask_b32_e64 v2, v2, v8, s4
	v_cmp_eq_u32_e64 s4, 7, v129
	v_cmp_eq_u32_e64 s6, 7, v130
	v_cndmask_b32_e32 v1, v1, v12, vcc_lo
	s_delay_alu instid0(VALU_DEP_4) | instskip(NEXT) | instid1(VALU_DEP_4)
	v_cndmask_b32_e32 v2, v2, v16, vcc_lo
	v_cndmask_b32_e64 v8, v3, v12, s4
	s_delay_alu instid0(VALU_DEP_4)
	v_cndmask_b32_e64 v6, v6, v12, s6
	v_cndmask_b32_e64 v3, v9, v12, s5
	;; [unrolled: 1-line block ×5, first 2 shown]
	v_cmp_gt_u32_e32 vcc_lo, 32, v0
	v_perm_b32 v4, v2, v1, 0x5040100
	v_perm_b32 v3, v9, v3, 0x5040100
	;; [unrolled: 1-line block ×4, first 2 shown]
	s_and_b32 s2, vcc_lo, s2
	ds_store_b128 v134, v[1:4]
	s_waitcnt lgkmcnt(0)
	s_barrier
	buffer_gl0_inv
	s_and_saveexec_b32 s4, s2
	s_cbranch_execz .LBB48_2
; %bb.15:
	s_load_b64 s[4:5], s[0:1], 0x68
	v_lshlrev_b32_e32 v0, 10, v0
	v_lshlrev_b32_e32 v1, 4, v147
	s_lshl_b32 s0, s36, 6
	v_add_nc_u32_e32 v7, s33, v146
	s_mul_i32 s1, s0, s34
	s_delay_alu instid0(SALU_CYCLE_1) | instskip(SKIP_1) | instid1(VALU_DEP_2)
	s_mul_i32 s6, s1, s8
	v_and_or_b32 v0, 0x3800, v0, v1
	v_mul_lo_u32 v1, v7, s0
	v_add_nc_u32_e32 v2, 2, v7
	s_ashr_i32 s7, s6, 31
	v_add_nc_u32_e32 v4, 4, v7
	s_lshl_b64 s[6:7], s[6:7], 1
	v_add_nc_u32_e32 v8, 6, v7
	v_mul_lo_u32 v3, v2, s0
	v_lshl_or_b32 v19, v146, 6, v0
	v_ashrrev_i32_e32 v2, 31, v1
	v_mul_lo_u32 v11, v4, s0
	v_mul_lo_u32 v25, v8, s0
	s_waitcnt lgkmcnt(0)
	s_add_u32 s1, s4, s6
	s_addc_u32 s2, s5, s7
	s_lshl_b32 s4, s14, 6
	v_lshlrev_b64 v[5:6], 1, v[1:2]
	s_ashr_i32 s5, s4, 31
	v_ashrrev_i32_e32 v4, 31, v3
	s_lshl_b64 s[4:5], s[4:5], 1
	v_ashrrev_i32_e32 v12, 31, v11
	s_add_u32 s1, s1, s4
	s_addc_u32 s2, s2, s5
	v_add_co_u32 v1, s1, s1, v145
	s_delay_alu instid0(VALU_DEP_1) | instskip(SKIP_1) | instid1(VALU_DEP_3)
	v_add_co_ci_u32_e64 v2, null, s2, 0, s1
	v_lshlrev_b64 v[3:4], 1, v[3:4]
	v_add_co_u32 v23, vcc_lo, v1, v5
	v_add_nc_u32_e32 v5, 8, v7
	s_delay_alu instid0(VALU_DEP_4) | instskip(NEXT) | instid1(VALU_DEP_4)
	v_add_co_ci_u32_e32 v24, vcc_lo, v2, v6, vcc_lo
	v_add_co_u32 v27, vcc_lo, v1, v3
	s_delay_alu instid0(VALU_DEP_3)
	v_mul_lo_u32 v29, v5, s0
	v_add_co_ci_u32_e32 v28, vcc_lo, v2, v4, vcc_lo
	ds_load_b128 v[3:6], v19
	ds_load_b128 v[7:10], v19 offset:128
	v_lshlrev_b64 v[31:32], 1, v[11:12]
	ds_load_b128 v[11:14], v19 offset:256
	ds_load_b128 v[15:18], v19 offset:384
	ds_load_b128 v[19:22], v19 offset:512
	v_ashrrev_i32_e32 v26, 31, v25
	v_ashrrev_i32_e32 v30, 31, v29
	v_add_co_u32 v31, vcc_lo, v1, v31
	s_delay_alu instid0(VALU_DEP_3) | instskip(NEXT) | instid1(VALU_DEP_3)
	v_lshlrev_b64 v[25:26], 1, v[25:26]
	v_lshlrev_b64 v[29:30], 1, v[29:30]
	v_add_co_ci_u32_e32 v32, vcc_lo, v2, v32, vcc_lo
	s_delay_alu instid0(VALU_DEP_3) | instskip(NEXT) | instid1(VALU_DEP_4)
	v_add_co_u32 v25, vcc_lo, v1, v25
	v_add_co_ci_u32_e32 v26, vcc_lo, v2, v26, vcc_lo
	s_delay_alu instid0(VALU_DEP_4)
	v_add_co_u32 v29, vcc_lo, v1, v29
	v_add_co_ci_u32_e32 v30, vcc_lo, v2, v30, vcc_lo
	s_waitcnt lgkmcnt(4)
	global_store_b128 v[23:24], v[3:6], off
	s_waitcnt lgkmcnt(3)
	global_store_b128 v[27:28], v[7:10], off
	;; [unrolled: 2-line block ×5, first 2 shown]
	s_and_b32 exec_lo, exec_lo, s3
	s_cbranch_execz .LBB48_2
; %bb.16:
	ds_load_b128 v[3:6], v0 offset:640
	s_add_i32 s1, s33, 10
	s_delay_alu instid0(SALU_CYCLE_1) | instskip(NEXT) | instid1(SALU_CYCLE_1)
	s_mul_i32 s0, s1, s0
	s_ashr_i32 s1, s0, 31
	s_delay_alu instid0(SALU_CYCLE_1) | instskip(NEXT) | instid1(SALU_CYCLE_1)
	s_lshl_b64 s[0:1], s[0:1], 1
	v_add_co_u32 v0, vcc_lo, v1, s0
	v_add_co_ci_u32_e32 v1, vcc_lo, s1, v2, vcc_lo
	s_waitcnt lgkmcnt(0)
	global_store_b128 v[0:1], v[3:6], off
	s_nop 0
	s_sendmsg sendmsg(MSG_DEALLOC_VGPRS)
	s_endpgm
	.section	.rodata,"a",@progbits
	.p2align	6, 0x0
	.amdhsa_kernel _Z39paged_attention_ll4mi_QKV_mfma16_kernelIDF16_DF16_LN4vllm18Fp8KVCacheDataTypeE0EhLi16ELi64ELi256ELb0ELi11EL8MFMAType0EEvPKT_PKT0_S8_ifPKiSA_SA_iPKfiiiPfSD_PS3_PT2_iSC_SC_
		.amdhsa_group_segment_fixed_size 17472
		.amdhsa_private_segment_fixed_size 0
		.amdhsa_kernarg_size 400
		.amdhsa_user_sgpr_count 13
		.amdhsa_user_sgpr_dispatch_ptr 0
		.amdhsa_user_sgpr_queue_ptr 0
		.amdhsa_user_sgpr_kernarg_segment_ptr 1
		.amdhsa_user_sgpr_dispatch_id 0
		.amdhsa_user_sgpr_private_segment_size 0
		.amdhsa_wavefront_size32 1
		.amdhsa_uses_dynamic_stack 0
		.amdhsa_enable_private_segment 0
		.amdhsa_system_sgpr_workgroup_id_x 1
		.amdhsa_system_sgpr_workgroup_id_y 1
		.amdhsa_system_sgpr_workgroup_id_z 1
		.amdhsa_system_sgpr_workgroup_info 0
		.amdhsa_system_vgpr_workitem_id 0
		.amdhsa_next_free_vgpr 198
		.amdhsa_next_free_sgpr 52
		.amdhsa_reserve_vcc 1
		.amdhsa_float_round_mode_32 0
		.amdhsa_float_round_mode_16_64 0
		.amdhsa_float_denorm_mode_32 3
		.amdhsa_float_denorm_mode_16_64 3
		.amdhsa_dx10_clamp 1
		.amdhsa_ieee_mode 1
		.amdhsa_fp16_overflow 0
		.amdhsa_workgroup_processor_mode 1
		.amdhsa_memory_ordered 1
		.amdhsa_forward_progress 0
		.amdhsa_shared_vgpr_count 0
		.amdhsa_exception_fp_ieee_invalid_op 0
		.amdhsa_exception_fp_denorm_src 0
		.amdhsa_exception_fp_ieee_div_zero 0
		.amdhsa_exception_fp_ieee_overflow 0
		.amdhsa_exception_fp_ieee_underflow 0
		.amdhsa_exception_fp_ieee_inexact 0
		.amdhsa_exception_int_div_zero 0
	.end_amdhsa_kernel
	.section	.text._Z39paged_attention_ll4mi_QKV_mfma16_kernelIDF16_DF16_LN4vllm18Fp8KVCacheDataTypeE0EhLi16ELi64ELi256ELb0ELi11EL8MFMAType0EEvPKT_PKT0_S8_ifPKiSA_SA_iPKfiiiPfSD_PS3_PT2_iSC_SC_,"axG",@progbits,_Z39paged_attention_ll4mi_QKV_mfma16_kernelIDF16_DF16_LN4vllm18Fp8KVCacheDataTypeE0EhLi16ELi64ELi256ELb0ELi11EL8MFMAType0EEvPKT_PKT0_S8_ifPKiSA_SA_iPKfiiiPfSD_PS3_PT2_iSC_SC_,comdat
.Lfunc_end48:
	.size	_Z39paged_attention_ll4mi_QKV_mfma16_kernelIDF16_DF16_LN4vllm18Fp8KVCacheDataTypeE0EhLi16ELi64ELi256ELb0ELi11EL8MFMAType0EEvPKT_PKT0_S8_ifPKiSA_SA_iPKfiiiPfSD_PS3_PT2_iSC_SC_, .Lfunc_end48-_Z39paged_attention_ll4mi_QKV_mfma16_kernelIDF16_DF16_LN4vllm18Fp8KVCacheDataTypeE0EhLi16ELi64ELi256ELb0ELi11EL8MFMAType0EEvPKT_PKT0_S8_ifPKiSA_SA_iPKfiiiPfSD_PS3_PT2_iSC_SC_
                                        ; -- End function
	.section	.AMDGPU.csdata,"",@progbits
; Kernel info:
; codeLenInByte = 8016
; NumSgprs: 54
; NumVgprs: 198
; ScratchSize: 0
; MemoryBound: 0
; FloatMode: 240
; IeeeMode: 1
; LDSByteSize: 17472 bytes/workgroup (compile time only)
; SGPRBlocks: 6
; VGPRBlocks: 24
; NumSGPRsForWavesPerEU: 54
; NumVGPRsForWavesPerEU: 198
; Occupancy: 7
; WaveLimiterHint : 1
; COMPUTE_PGM_RSRC2:SCRATCH_EN: 0
; COMPUTE_PGM_RSRC2:USER_SGPR: 13
; COMPUTE_PGM_RSRC2:TRAP_HANDLER: 0
; COMPUTE_PGM_RSRC2:TGID_X_EN: 1
; COMPUTE_PGM_RSRC2:TGID_Y_EN: 1
; COMPUTE_PGM_RSRC2:TGID_Z_EN: 1
; COMPUTE_PGM_RSRC2:TIDIG_COMP_CNT: 0
	.section	.text._Z39paged_attention_ll4mi_QKV_mfma16_kernelIDF16_DF16_LN4vllm18Fp8KVCacheDataTypeE0EhLi16ELi64ELi256ELb0ELi12EL8MFMAType0EEvPKT_PKT0_S8_ifPKiSA_SA_iPKfiiiPfSD_PS3_PT2_iSC_SC_,"axG",@progbits,_Z39paged_attention_ll4mi_QKV_mfma16_kernelIDF16_DF16_LN4vllm18Fp8KVCacheDataTypeE0EhLi16ELi64ELi256ELb0ELi12EL8MFMAType0EEvPKT_PKT0_S8_ifPKiSA_SA_iPKfiiiPfSD_PS3_PT2_iSC_SC_,comdat
	.protected	_Z39paged_attention_ll4mi_QKV_mfma16_kernelIDF16_DF16_LN4vllm18Fp8KVCacheDataTypeE0EhLi16ELi64ELi256ELb0ELi12EL8MFMAType0EEvPKT_PKT0_S8_ifPKiSA_SA_iPKfiiiPfSD_PS3_PT2_iSC_SC_ ; -- Begin function _Z39paged_attention_ll4mi_QKV_mfma16_kernelIDF16_DF16_LN4vllm18Fp8KVCacheDataTypeE0EhLi16ELi64ELi256ELb0ELi12EL8MFMAType0EEvPKT_PKT0_S8_ifPKiSA_SA_iPKfiiiPfSD_PS3_PT2_iSC_SC_
	.globl	_Z39paged_attention_ll4mi_QKV_mfma16_kernelIDF16_DF16_LN4vllm18Fp8KVCacheDataTypeE0EhLi16ELi64ELi256ELb0ELi12EL8MFMAType0EEvPKT_PKT0_S8_ifPKiSA_SA_iPKfiiiPfSD_PS3_PT2_iSC_SC_
	.p2align	8
	.type	_Z39paged_attention_ll4mi_QKV_mfma16_kernelIDF16_DF16_LN4vllm18Fp8KVCacheDataTypeE0EhLi16ELi64ELi256ELb0ELi12EL8MFMAType0EEvPKT_PKT0_S8_ifPKiSA_SA_iPKfiiiPfSD_PS3_PT2_iSC_SC_,@function
_Z39paged_attention_ll4mi_QKV_mfma16_kernelIDF16_DF16_LN4vllm18Fp8KVCacheDataTypeE0EhLi16ELi64ELi256ELb0ELi12EL8MFMAType0EEvPKT_PKT0_S8_ifPKiSA_SA_iPKfiiiPfSD_PS3_PT2_iSC_SC_: ; @_Z39paged_attention_ll4mi_QKV_mfma16_kernelIDF16_DF16_LN4vllm18Fp8KVCacheDataTypeE0EhLi16ELi64ELi256ELb0ELi12EL8MFMAType0EEvPKT_PKT0_S8_ifPKiSA_SA_iPKfiiiPfSD_PS3_PT2_iSC_SC_
; %bb.0:
	s_load_b64 s[2:3], s[0:1], 0x30
	s_mov_b32 s34, s13
	s_waitcnt lgkmcnt(0)
	s_cmp_lg_u64 s[2:3], 0
	s_cselect_b32 s6, -1, 0
	s_ashr_i32 s35, s13, 31
	s_cmp_eq_u64 s[2:3], 0
	s_cbranch_scc1 .LBB49_3
; %bb.1:
	s_lshl_b64 s[4:5], s[34:35], 2
	s_delay_alu instid0(SALU_CYCLE_1) | instskip(SKIP_4) | instid1(SALU_CYCLE_1)
	s_add_u32 s4, s2, s4
	s_addc_u32 s5, s3, s5
	s_load_b64 s[4:5], s[4:5], 0x0
	s_waitcnt lgkmcnt(0)
	s_sub_i32 s4, s5, s4
	s_cmp_eq_u32 s4, 1
	s_cselect_b32 s4, -1, 0
	s_delay_alu instid0(SALU_CYCLE_1)
	s_and_not1_b32 vcc_lo, exec_lo, s4
	s_cbranch_vccz .LBB49_4
.LBB49_2:
	s_endpgm
.LBB49_3:
.LBB49_4:
	s_load_b64 s[8:9], s[0:1], 0x28
	s_lshl_b64 s[4:5], s[34:35], 2
	s_waitcnt lgkmcnt(0)
	s_add_u32 s8, s8, s4
	s_addc_u32 s9, s9, s5
	s_lshl_b32 s35, s14, 8
	s_load_b32 s30, s[8:9], 0x0
	s_waitcnt lgkmcnt(0)
	s_cmp_ge_i32 s35, s30
	s_cbranch_scc1 .LBB49_2
; %bb.5:
	s_clause 0x1
	s_load_b128 s[8:11], s[0:1], 0x8
	s_load_b64 s[12:13], s[0:1], 0x20
	s_and_not1_b32 vcc_lo, exec_lo, s6
	s_cbranch_vccnz .LBB49_7
; %bb.6:
	s_add_u32 s2, s2, s4
	s_addc_u32 s3, s3, s5
	s_load_b32 s3, s[2:3], 0x0
	s_branch .LBB49_8
.LBB49_7:
	s_mov_b32 s3, s34
.LBB49_8:
	s_load_b128 s[4:7], s[0:1], 0x48
	v_and_b32_e32 v148, 15, v0
	v_cmp_gt_u32_e32 vcc_lo, 0xc0, v0
	v_lshrrev_b32_e32 v149, 5, v0
	v_and_b32_e32 v150, 31, v0
	v_and_b32_e32 v147, 1, v0
	v_lshlrev_b32_e32 v1, 3, v148
	v_cmp_gt_u32_e64 s2, 8, v148
	v_bfe_u32 v146, v0, 4, 1
	s_mul_i32 s31, s15, 12
	s_delay_alu instid0(VALU_DEP_3) | instskip(NEXT) | instid1(VALU_DEP_3)
	v_lshlrev_b32_e32 v145, 1, v1
	s_and_b32 s16, vcc_lo, s2
	s_waitcnt lgkmcnt(0)
	s_and_saveexec_b32 s7, s16
	s_cbranch_execz .LBB49_10
; %bb.9:
	s_load_b64 s[16:17], s[0:1], 0x0
	v_lshl_or_b32 v5, v149, 1, v146
	s_mul_hi_i32 s19, s3, s4
	s_mul_i32 s18, s3, s4
	v_lshlrev_b32_e32 v6, 10, v148
	s_lshl_b64 s[18:19], s[18:19], 1
	v_add_lshl_u32 v1, v5, s31, 6
	v_lshlrev_b32_e32 v5, 6, v5
	v_lshlrev_b32_e32 v7, 10, v147
	v_and_b32_e32 v6, 0x3800, v6
	s_delay_alu instid0(VALU_DEP_4) | instskip(NEXT) | instid1(VALU_DEP_2)
	v_ashrrev_i32_e32 v2, 31, v1
	v_or3_b32 v5, v6, v7, v5
	s_delay_alu instid0(VALU_DEP_2) | instskip(SKIP_3) | instid1(VALU_DEP_1)
	v_lshlrev_b64 v[1:2], 1, v[1:2]
	s_waitcnt lgkmcnt(0)
	s_add_u32 s3, s16, s18
	s_addc_u32 s4, s17, s19
	v_add_co_u32 v1, vcc_lo, s3, v1
	s_delay_alu instid0(VALU_DEP_2) | instskip(NEXT) | instid1(VALU_DEP_2)
	v_add_co_ci_u32_e32 v2, vcc_lo, s4, v2, vcc_lo
	v_add_co_u32 v1, vcc_lo, v1, v145
	s_delay_alu instid0(VALU_DEP_2)
	v_add_co_ci_u32_e32 v2, vcc_lo, 0, v2, vcc_lo
	global_load_b128 v[1:4], v[1:2], off
	s_waitcnt vmcnt(0)
	ds_store_b128 v5, v[1:4]
.LBB49_10:
	s_or_b32 exec_lo, exec_lo, s7
	s_mov_b32 s40, 0
	s_add_i32 s3, s30, 15
	s_mov_b32 s41, s40
	s_mov_b32 s42, s40
	;; [unrolled: 1-line block ×7, first 2 shown]
	s_delay_alu instid0(SALU_CYCLE_1)
	v_dual_mov_b32 v144, s47 :: v_dual_and_b32 v1, 0xef, v0
	v_mov_b32_e32 v142, s45
	s_ashr_i32 s7, s3, 31
	s_clause 0x1
	s_load_b32 s4, s[0:1], 0x38
	s_load_b32 s33, s[0:1], 0x98
	v_add_nc_u32_e32 v1, s35, v1
	s_lshr_b32 s7, s7, 28
	s_load_b32 s36, s[0:1], 0x1c
	s_add_i32 s3, s3, s7
	s_waitcnt lgkmcnt(0)
	v_ashrrev_i32_e32 v2, 31, v1
	v_or_b32_e32 v3, 16, v1
	s_ashr_i32 s3, s3, 4
	v_cmp_gt_i32_e32 vcc_lo, s30, v1
	s_add_i32 s3, s3, -1
	v_lshrrev_b32_e32 v2, 28, v2
	v_mov_b32_e32 v143, s46
	s_barrier
	buffer_gl0_inv
	s_mul_i32 s6, s15, s6
	v_dual_mov_b32 v141, s44 :: v_dual_add_nc_u32 v4, v1, v2
	v_mov_b32_e32 v139, s42
	s_mul_i32 s16, s34, s4
	v_mov_b32_e32 v137, s40
	s_delay_alu instid0(VALU_DEP_3)
	v_ashrrev_i32_e32 v4, 4, v4
	v_add_nc_u32_e32 v2, v3, v2
	s_ashr_i32 s17, s16, 31
	v_mov_b32_e32 v140, s43
	s_lshl_b64 s[16:17], s[16:17], 2
	v_cndmask_b32_e32 v1, s3, v4, vcc_lo
	v_ashrrev_i32_e32 v2, 4, v2
	v_cmp_gt_i32_e32 vcc_lo, s30, v3
	s_add_u32 s4, s12, s16
	s_addc_u32 s37, s13, s17
	s_ashr_i32 s7, s6, 31
	v_mov_b32_e32 v138, s41
	v_cndmask_b32_e32 v3, s3, v2, vcc_lo
	v_ashrrev_i32_e32 v2, 31, v1
	s_lshl_b64 s[6:7], s[6:7], 1
	s_delay_alu instid0(SALU_CYCLE_1) | instskip(NEXT) | instid1(VALU_DEP_2)
	s_add_u32 s24, s8, s6
	v_ashrrev_i32_e32 v4, 31, v3
	s_delay_alu instid0(VALU_DEP_2) | instskip(SKIP_2) | instid1(VALU_DEP_2)
	v_lshlrev_b64 v[1:2], 2, v[1:2]
	s_addc_u32 s25, s9, s7
	s_lshl_b32 s8, s14, 4
	v_lshlrev_b64 v[3:4], 2, v[3:4]
	s_ashr_i32 s9, s8, 31
	s_delay_alu instid0(VALU_DEP_2) | instskip(SKIP_1) | instid1(VALU_DEP_3)
	v_add_co_u32 v1, vcc_lo, s4, v1
	v_add_co_ci_u32_e32 v2, vcc_lo, s37, v2, vcc_lo
	v_add_co_u32 v3, vcc_lo, s4, v3
	s_delay_alu instid0(VALU_DEP_4)
	v_add_co_ci_u32_e32 v4, vcc_lo, s37, v4, vcc_lo
	s_clause 0x1
	global_load_b32 v5, v[1:2], off
	global_load_b32 v6, v[3:4], off
	s_lshl_b64 s[8:9], s[8:9], 2
	v_lshlrev_b32_e32 v3, 4, v0
	s_add_u32 s8, s4, s8
	s_addc_u32 s9, s37, s9
	s_or_b32 s12, s35, 16
	s_delay_alu instid0(SALU_CYCLE_1) | instskip(SKIP_2) | instid1(SALU_CYCLE_1)
	s_ashr_i32 s13, s12, 4
	s_cmp_lt_i32 s12, s30
	s_cselect_b32 s12, s13, s3
	s_ashr_i32 s13, s12, 31
	s_delay_alu instid0(SALU_CYCLE_1) | instskip(NEXT) | instid1(SALU_CYCLE_1)
	s_lshl_b64 s[12:13], s[12:13], 2
	s_add_u32 s12, s4, s12
	s_addc_u32 s13, s37, s13
	s_or_b32 s15, s35, 32
	s_delay_alu instid0(SALU_CYCLE_1) | instskip(SKIP_2) | instid1(SALU_CYCLE_1)
	s_ashr_i32 s16, s15, 4
	s_cmp_lt_i32 s15, s30
	s_cselect_b32 s16, s16, s3
	s_ashr_i32 s17, s16, 31
	s_delay_alu instid0(SALU_CYCLE_1) | instskip(NEXT) | instid1(SALU_CYCLE_1)
	s_lshl_b64 s[16:17], s[16:17], 2
	;; [unrolled: 10-line block ×5, first 2 shown]
	s_add_u32 s22, s4, s22
	s_addc_u32 s23, s37, s23
	s_clause 0x5
	s_load_b32 s8, s[8:9], 0x0
	s_load_b32 s12, s[12:13], 0x0
	;; [unrolled: 1-line block ×6, first 2 shown]
	s_waitcnt lgkmcnt(0)
	s_mul_hi_i32 s17, s16, s5
	s_mul_i32 s16, s16, s5
	s_waitcnt vmcnt(1)
	v_mad_i64_i32 v[1:2], null, v5, s5, 0
	v_and_b32_e32 v5, 0xf0, v3
	s_waitcnt vmcnt(0)
	v_mad_i64_i32 v[3:4], null, v6, s5, 0
	s_delay_alu instid0(VALU_DEP_2) | instskip(NEXT) | instid1(VALU_DEP_4)
	v_add_co_u32 v7, s9, s24, v5
	v_lshlrev_b64 v[1:2], 1, v[1:2]
	v_add_co_ci_u32_e64 v8, null, s25, 0, s9
	s_delay_alu instid0(VALU_DEP_4) | instskip(SKIP_1) | instid1(VALU_DEP_3)
	v_lshlrev_b64 v[5:6], 1, v[3:4]
	s_or_b32 s9, s35, 0x60
	v_add_co_u32 v3, vcc_lo, v7, v1
	s_delay_alu instid0(VALU_DEP_3) | instskip(NEXT) | instid1(VALU_DEP_3)
	v_add_co_ci_u32_e32 v4, vcc_lo, v8, v2, vcc_lo
	v_add_co_u32 v1, vcc_lo, v7, v5
	s_delay_alu instid0(VALU_DEP_4)
	v_add_co_ci_u32_e32 v2, vcc_lo, v8, v6, vcc_lo
	s_clause 0x9
	global_load_b128 v[9:12], v[3:4], off
	global_load_b128 v[13:16], v[3:4], off offset:256
	global_load_b128 v[129:132], v[1:2], off
	global_load_b128 v[133:136], v[1:2], off offset:256
	global_load_b128 v[41:44], v[3:4], off offset:512
	global_load_b128 v[45:48], v[3:4], off offset:768
	global_load_b128 v[33:36], v[1:2], off offset:512
	global_load_b128 v[37:40], v[1:2], off offset:768
	global_load_b128 v[17:20], v[3:4], off offset:1024
	global_load_b128 v[21:24], v[3:4], off offset:1280
	v_add_nc_u32_e32 v5, -12, v148
	v_cmp_gt_u32_e32 vcc_lo, 12, v148
	s_clause 0x1
	global_load_b128 v[151:154], v[1:2], off offset:1024
	global_load_b128 v[155:158], v[1:2], off offset:1280
	s_ashr_i32 s13, s9, 4
	s_cmp_lt_i32 s9, s30
	v_lshlrev_b32_e32 v6, 5, v148
	v_cndmask_b32_e32 v5, v5, v148, vcc_lo
	s_cselect_b32 s22, s13, s3
	s_delay_alu instid0(SALU_CYCLE_1) | instskip(NEXT) | instid1(VALU_DEP_2)
	s_ashr_i32 s23, s22, 31
	v_lshl_or_b32 v6, v149, 9, v6
	s_delay_alu instid0(VALU_DEP_2)
	v_lshlrev_b32_e32 v197, 6, v5
	ds_load_b128 v[159:162], v197
	ds_load_b128 v[163:166], v197 offset:1024
	s_clause 0x3
	global_load_b128 v[167:170], v[3:4], off offset:1536
	global_load_b128 v[171:174], v[3:4], off offset:1792
	;; [unrolled: 1-line block ×4, first 2 shown]
	s_lshl_b64 s[22:23], s[22:23], 2
	s_delay_alu instid0(SALU_CYCLE_1)
	s_add_u32 s22, s4, s22
	s_addc_u32 s23, s37, s23
	s_or_b32 s9, s35, 0x70
	s_load_b32 s46, s[22:23], 0x0
	s_ashr_i32 s13, s9, 4
	s_cmp_lt_i32 s9, s30
	s_cselect_b32 s24, s13, s3
	s_delay_alu instid0(SALU_CYCLE_1) | instskip(NEXT) | instid1(SALU_CYCLE_1)
	s_ashr_i32 s25, s24, 31
	s_lshl_b64 s[24:25], s[24:25], 2
	s_delay_alu instid0(SALU_CYCLE_1)
	s_add_u32 s24, s4, s24
	s_addc_u32 s25, s37, s25
	s_or_b32 s9, s35, 0x80
	s_load_b32 s47, s[24:25], 0x0
	s_ashr_i32 s13, s9, 4
	s_cmp_lt_i32 s9, s30
	s_cselect_b32 s26, s13, s3
	s_delay_alu instid0(SALU_CYCLE_1) | instskip(NEXT) | instid1(SALU_CYCLE_1)
	s_ashr_i32 s27, s26, 31
	;; [unrolled: 11-line block ×3, first 2 shown]
	s_lshl_b64 s[28:29], s[28:29], 2
	s_delay_alu instid0(SALU_CYCLE_1) | instskip(SKIP_2) | instid1(SALU_CYCLE_1)
	s_add_u32 s28, s4, s28
	s_addc_u32 s29, s37, s29
	s_or_b32 s9, s35, 0xa0
	s_ashr_i32 s13, s9, 4
	s_cmp_lt_i32 s9, s30
	s_cselect_b32 s38, s13, s3
	s_delay_alu instid0(SALU_CYCLE_1) | instskip(NEXT) | instid1(SALU_CYCLE_1)
	s_ashr_i32 s39, s38, 31
	s_lshl_b64 s[38:39], s[38:39], 2
	s_delay_alu instid0(SALU_CYCLE_1) | instskip(SKIP_2) | instid1(SALU_CYCLE_1)
	s_add_u32 s38, s4, s38
	s_addc_u32 s39, s37, s39
	s_or_b32 s9, s35, 0xb0
	s_ashr_i32 s13, s9, 4
	s_cmp_lt_i32 s9, s30
	s_mul_hi_i32 s9, s8, s5
	s_cselect_b32 s40, s13, s3
	s_mul_i32 s8, s8, s5
	s_ashr_i32 s41, s40, 31
	s_mul_hi_i32 s13, s12, s5
	s_lshl_b64 s[40:41], s[40:41], 2
	s_mul_i32 s12, s12, s5
	s_add_u32 s42, s4, s40
	s_addc_u32 s43, s37, s41
	s_or_b32 s19, s35, 0xc0
	s_delay_alu instid0(SALU_CYCLE_1)
	s_ashr_i32 s21, s19, 4
	s_cmp_lt_i32 s19, s30
	s_mul_hi_i32 s19, s18, s5
	s_cselect_b32 s40, s21, s3
	s_mul_i32 s18, s18, s5
	s_ashr_i32 s41, s40, 31
	s_mul_hi_i32 s21, s20, s5
	s_lshl_b64 s[40:41], s[40:41], 2
	s_mul_i32 s20, s20, s5
	s_add_u32 s44, s4, s40
	s_addc_u32 s45, s37, s41
	s_load_b32 s41, s[28:29], 0x0
	s_or_b32 s40, s35, 0xd0
	s_mul_hi_i32 s23, s15, s5
	s_ashr_i32 s22, s40, 4
	s_cmp_lt_i32 s40, s30
	s_load_b32 s40, s[38:39], 0x0
	s_cselect_b32 s24, s22, s3
	s_mul_i32 s22, s15, s5
	s_ashr_i32 s25, s24, 31
	s_waitcnt lgkmcnt(0)
	s_mul_hi_i32 s29, s48, s5
	s_lshl_b64 s[24:25], s[24:25], 2
	s_mul_i32 s28, s48, s5
	s_add_u32 s24, s4, s24
	s_addc_u32 s25, s37, s25
	s_or_b32 s49, s35, 0xe0
	s_clause 0x2
	s_load_b32 s39, s[42:43], 0x0
	s_load_b32 s38, s[44:45], 0x0
	;; [unrolled: 1-line block ×3, first 2 shown]
	s_ashr_i32 s50, s49, 4
	s_cmp_lt_i32 s49, s30
	s_mul_hi_i32 s25, s46, s5
	s_cselect_b32 s44, s50, s3
	s_mul_i32 s24, s46, s5
	s_ashr_i32 s45, s44, 31
	s_mul_hi_i32 s27, s47, s5
	s_lshl_b64 s[44:45], s[44:45], 2
	s_mul_i32 s26, s47, s5
	s_add_u32 s44, s4, s44
	s_addc_u32 s45, s37, s45
	s_or_b32 s46, s35, 0xf0
	s_mul_hi_i32 s43, s41, s5
	s_ashr_i32 s48, s46, 4
	s_cmp_lt_i32 s46, s30
	s_mul_i32 s42, s41, s5
	s_cselect_b32 s48, s48, s3
	s_mul_hi_i32 s41, s40, s5
	s_ashr_i32 s49, s48, 31
	s_mul_i32 s40, s40, s5
	s_lshl_b64 s[48:49], s[48:49], 2
	s_waitcnt lgkmcnt(0)
	s_mul_hi_i32 s47, s39, s5
	s_add_u32 s48, s4, s48
	s_addc_u32 s49, s37, s49
	s_add_u32 s3, s10, s6
	s_addc_u32 s4, s11, s7
	v_add_co_u32 v195, s3, s3, v6
	s_delay_alu instid0(VALU_DEP_1) | instskip(SKIP_2) | instid1(VALU_DEP_2)
	v_add_co_ci_u32_e64 v196, null, s4, 0, s3
	s_lshl_b64 s[6:7], s[8:9], 1
	s_lshl_b64 s[8:9], s[12:13], 1
	v_add_co_u32 v1, vcc_lo, v195, s6
	s_delay_alu instid0(VALU_DEP_2)
	v_add_co_ci_u32_e32 v2, vcc_lo, s7, v196, vcc_lo
	v_add_co_u32 v3, vcc_lo, v195, s8
	s_lshl_b64 s[10:11], s[16:17], 1
	v_add_co_ci_u32_e32 v4, vcc_lo, s9, v196, vcc_lo
	v_add_co_u32 v5, vcc_lo, v195, s10
	s_lshl_b64 s[12:13], s[18:19], 1
	;; [unrolled: 3-line block ×9, first 2 shown]
	s_mul_i32 s46, s39, s5
	v_add_co_ci_u32_e32 v54, vcc_lo, s27, v196, vcc_lo
	v_add_co_u32 v183, vcc_lo, v195, s28
	s_lshl_b64 s[40:41], s[46:47], 1
	s_mul_hi_i32 s39, s38, s5
	s_mul_i32 s38, s38, s5
	v_add_co_ci_u32_e32 v184, vcc_lo, s29, v196, vcc_lo
	v_add_co_u32 v185, vcc_lo, v195, s40
	s_lshl_b64 s[38:39], s[38:39], 1
	s_clause 0x1
	s_load_b32 s3, s[44:45], 0x0
	s_load_b32 s4, s[48:49], 0x0
	v_add_co_ci_u32_e32 v186, vcc_lo, s41, v196, vcc_lo
	v_add_co_u32 v191, vcc_lo, v195, s38
	v_add_co_ci_u32_e32 v192, vcc_lo, s39, v196, vcc_lo
	s_clause 0x17
	global_load_b128 v[121:124], v[1:2], off
	global_load_b128 v[125:128], v[1:2], off offset:16
	global_load_b128 v[113:116], v[3:4], off
	global_load_b128 v[117:120], v[3:4], off offset:16
	;; [unrolled: 2-line block ×12, first 2 shown]
	s_mul_hi_i32 s51, s15, s5
	s_mul_i32 s50, s15, s5
	s_delay_alu instid0(SALU_CYCLE_1) | instskip(NEXT) | instid1(SALU_CYCLE_1)
	s_lshl_b64 s[42:43], s[50:51], 1
	v_add_co_u32 v193, vcc_lo, v195, s42
	v_add_co_ci_u32_e32 v194, vcc_lo, s43, v196, vcc_lo
	s_waitcnt lgkmcnt(0)
	s_mul_hi_i32 s7, s3, s5
	s_mul_i32 s6, s3, s5
	s_mul_hi_i32 s9, s4, s5
	s_lshl_b64 s[6:7], s[6:7], 1
	s_mul_i32 s8, s4, s5
	s_delay_alu instid0(SALU_CYCLE_1)
	s_lshl_b64 s[4:5], s[8:9], 1
	s_waitcnt vmcnt(38)
	v_wmma_f32_16x16x16_f16 v[183:190], v[9:16], v[159:166], v[137:144]
	s_waitcnt vmcnt(36)
	v_wmma_f32_16x16x16_f16 v[137:144], v[129:136], v[159:166], v[137:144]
	s_clause 0x1
	global_load_b128 v[9:12], v[191:192], off
	global_load_b128 v[13:16], v[191:192], off offset:16
	ds_load_b128 v[129:132], v197 offset:2048
	ds_load_b128 v[133:136], v197 offset:3072
	;; [unrolled: 1-line block ×4, first 2 shown]
	v_add_co_u32 v191, vcc_lo, v195, s6
	v_add_co_ci_u32_e32 v192, vcc_lo, s7, v196, vcc_lo
	v_add_co_u32 v195, vcc_lo, v195, s4
	v_add_co_ci_u32_e32 v196, vcc_lo, s5, v196, vcc_lo
	s_waitcnt vmcnt(36) lgkmcnt(2)
	v_wmma_f32_16x16x16_f16 v[183:190], v[41:48], v[129:136], v[183:190]
	s_waitcnt vmcnt(34)
	v_wmma_f32_16x16x16_f16 v[137:144], v[33:40], v[129:136], v[137:144]
	s_clause 0x3
	global_load_b128 v[33:36], v[193:194], off
	global_load_b128 v[37:40], v[193:194], off offset:16
	global_load_b128 v[41:44], v[191:192], off
	global_load_b128 v[45:48], v[191:192], off offset:16
	v_and_b32_e32 v129, 0xe0, v0
	v_mbcnt_lo_u32_b32 v191, -1, 0
	s_waitcnt vmcnt(36) lgkmcnt(0)
	v_wmma_f32_16x16x16_f16 v[183:190], v[17:24], v[159:166], v[183:190]
	s_clause 0x1
	global_load_b128 v[17:20], v[195:196], off
	global_load_b128 v[21:24], v[195:196], off offset:16
	s_waitcnt vmcnt(36)
	v_wmma_f32_16x16x16_f16 v[137:144], v[151:158], v[159:166], v[137:144]
	v_add_nc_u32_e32 v192, s35, v129
	ds_load_b128 v[129:132], v197 offset:6144
	ds_load_b128 v[133:136], v197 offset:7168
	v_xor_b32_e32 v151, 16, v191
	s_waitcnt vmcnt(0) lgkmcnt(0)
	s_barrier
	v_or_b32_e32 v152, v192, v146
	buffer_gl0_inv
	v_cmp_gt_i32_e32 vcc_lo, 32, v151
	v_or_b32_e32 v153, 2, v152
	v_or_b32_e32 v154, 4, v152
	;; [unrolled: 1-line block ×5, first 2 shown]
	v_cmp_gt_i32_e64 s3, s30, v153
	v_cmp_gt_i32_e64 s4, s30, v154
	;; [unrolled: 1-line block ×3, first 2 shown]
	v_or_b32_e32 v158, 12, v152
	v_or_b32_e32 v159, 14, v152
	v_cmp_gt_i32_e64 s6, s30, v156
	v_wmma_f32_16x16x16_f16 v[183:190], v[167:174], v[129:136], v[183:190]
	v_wmma_f32_16x16x16_f16 v[137:144], v[175:182], v[129:136], v[137:144]
	v_cndmask_b32_e32 v151, v191, v151, vcc_lo
	v_cmp_gt_i32_e32 vcc_lo, s30, v152
	v_cmp_gt_i32_e64 s7, s30, v157
	v_dual_mul_f32 v135, s36, v184 :: v_dual_mul_f32 v136, s36, v183
	v_dual_mul_f32 v133, s36, v186 :: v_dual_mul_f32 v134, s36, v185
	;; [unrolled: 1-line block ×3, first 2 shown]
	s_delay_alu instid0(VALU_DEP_3) | instskip(NEXT) | instid1(VALU_DEP_4)
	v_cndmask_b32_e32 v136, 0xff7fffff, v136, vcc_lo
	v_cndmask_b32_e64 v135, 0xff7fffff, v135, s3
	v_mul_f32_e32 v132, s36, v187
	v_cndmask_b32_e64 v134, 0xff7fffff, v134, s4
	v_cndmask_b32_e64 v133, 0xff7fffff, v133, s5
	v_or_b32_e32 v160, 16, v152
	v_max3_f32 v135, v136, 0xff7fffff, v135
	v_or_b32_e32 v161, 18, v152
	v_mul_f32_e32 v130, s36, v189
	v_dual_mul_f32 v172, s36, v140 :: v_dual_mul_f32 v129, s36, v190
	v_cndmask_b32_e64 v132, 0xff7fffff, v132, s6
	v_cndmask_b32_e64 v131, 0xff7fffff, v131, s7
	v_max3_f32 v133, v135, v134, v133
	v_cmp_gt_i32_e64 s8, s30, v158
	v_cmp_gt_i32_e64 s9, s30, v159
	v_or_b32_e32 v162, 20, v152
	v_or_b32_e32 v163, 22, v152
	v_mul_f32_e32 v175, s36, v137
	v_cndmask_b32_e64 v130, 0xff7fffff, v130, s8
	v_cndmask_b32_e64 v129, 0xff7fffff, v129, s9
	v_max3_f32 v131, v133, v132, v131
	v_cmp_gt_i32_e64 s10, s30, v160
	v_cmp_gt_i32_e64 s11, s30, v161
	v_or_b32_e32 v164, 24, v152
	v_or_b32_e32 v165, 26, v152
	v_mul_f32_e32 v173, s36, v139
	v_cndmask_b32_e64 v132, 0xff7fffff, v175, s10
	v_cndmask_b32_e64 v133, 0xff7fffff, v174, s11
	v_max3_f32 v129, v131, v130, v129
	v_cmp_gt_i32_e64 s12, s30, v162
	v_cmp_gt_i32_e64 s13, s30, v163
	v_or_b32_e32 v166, 28, v152
	v_or_b32_e32 v167, 30, v152
	v_dual_mul_f32 v170, s36, v142 :: v_dual_mul_f32 v171, s36, v141
	v_cndmask_b32_e64 v130, 0xff7fffff, v173, s12
	v_cndmask_b32_e64 v131, 0xff7fffff, v172, s13
	v_max3_f32 v129, v129, v132, v133
	v_cmp_gt_i32_e64 s15, s30, v164
	v_cmp_gt_i32_e64 s16, s30, v165
	v_dual_mul_f32 v168, s36, v144 :: v_dual_mul_f32 v169, s36, v143
	s_delay_alu instid0(VALU_DEP_4) | instskip(NEXT) | instid1(VALU_DEP_4)
	v_max3_f32 v129, v129, v130, v131
	v_cndmask_b32_e64 v132, 0xff7fffff, v171, s15
	s_delay_alu instid0(VALU_DEP_4) | instskip(SKIP_2) | instid1(VALU_DEP_3)
	v_cndmask_b32_e64 v133, 0xff7fffff, v170, s16
	v_cmp_gt_i32_e64 s17, s30, v166
	v_cmp_gt_i32_e64 s18, s30, v167
	v_max3_f32 v129, v129, v132, v133
	s_delay_alu instid0(VALU_DEP_3) | instskip(NEXT) | instid1(VALU_DEP_3)
	v_cndmask_b32_e64 v130, 0xff7fffff, v169, s17
	v_cndmask_b32_e64 v131, 0xff7fffff, v168, s18
	v_lshlrev_b32_e32 v132, 2, v151
	s_delay_alu instid0(VALU_DEP_2) | instskip(SKIP_3) | instid1(VALU_DEP_1)
	v_max3_f32 v129, v129, v130, v131
	ds_bpermute_b32 v130, v132, v129
	s_waitcnt lgkmcnt(0)
	v_max_f32_e32 v130, v130, v130
	v_max_f32_e32 v129, v129, v130
	s_delay_alu instid0(VALU_DEP_1) | instskip(SKIP_4) | instid1(VALU_DEP_4)
	v_fma_f32 v134, s36, v186, -v129
	v_fma_f32 v135, s36, v187, -v129
	;; [unrolled: 1-line block ×5, first 2 shown]
	v_dual_mul_f32 v134, 0x3fb8aa3b, v134 :: v_dual_mul_f32 v135, 0x3fb8aa3b, v135
	s_delay_alu instid0(VALU_DEP_4) | instskip(SKIP_1) | instid1(VALU_DEP_3)
	v_mul_f32_e32 v130, 0x3fb8aa3b, v130
	v_fma_f32 v136, s36, v189, -v129
	v_exp_f32_e32 v134, v134
	s_delay_alu instid0(VALU_DEP_3) | instskip(NEXT) | instid1(VALU_DEP_2)
	v_exp_f32_e32 v135, v135
	v_exp_f32_e32 v130, v130
	s_delay_alu instid0(VALU_DEP_1) | instskip(NEXT) | instid1(VALU_DEP_1)
	v_mul_f32_e32 v136, 0x3fb8aa3b, v136
	v_exp_f32_e32 v136, v136
	v_cndmask_b32_e64 v153, 0, v134, s5
	v_fma_f32 v134, s36, v137, -v129
	v_mul_f32_e32 v131, 0x3fb8aa3b, v131
	s_delay_alu instid0(TRANS32_DEP_3) | instskip(NEXT) | instid1(TRANS32_DEP_2)
	v_cndmask_b32_e64 v155, 0, v135, s6
	v_dual_mul_f32 v133, 0x3fb8aa3b, v133 :: v_dual_cndmask_b32 v152, 0, v130
	s_delay_alu instid0(VALU_DEP_4) | instskip(NEXT) | instid1(VALU_DEP_4)
	v_mul_f32_e32 v134, 0x3fb8aa3b, v134
	v_exp_f32_e32 v131, v131
	v_fma_f32 v135, s36, v138, -v129
	s_delay_alu instid0(VALU_DEP_3)
	v_exp_f32_e32 v133, v133
	v_fma_f32 v130, s36, v188, -v129
	v_cndmask_b32_e64 v156, 0, v136, s8
	v_fma_f32 v136, s36, v140, -v129
	v_mul_f32_e32 v135, 0x3fb8aa3b, v135
	v_exp_f32_e32 v134, v134
	v_mul_f32_e32 v130, 0x3fb8aa3b, v130
	s_delay_alu instid0(TRANS32_DEP_3) | instskip(SKIP_1) | instid1(TRANS32_DEP_2)
	v_cndmask_b32_e64 v151, 0, v131, s3
	v_add_f32_e32 v131, 0, v152
	v_cndmask_b32_e64 v154, 0, v133, s4
	v_exp_f32_e32 v135, v135
	v_fma_f32 v133, s36, v190, -v129
	v_exp_f32_e32 v130, v130
	v_dual_add_f32 v131, v131, v151 :: v_dual_mul_f32 v136, 0x3fb8aa3b, v136
	s_mov_b32 s3, exec_lo
	s_delay_alu instid0(VALU_DEP_2) | instskip(NEXT) | instid1(VALU_DEP_2)
	v_mul_f32_e32 v133, 0x3fb8aa3b, v133
	v_add_f32_e32 v131, v131, v154
	s_delay_alu instid0(VALU_DEP_3) | instskip(NEXT) | instid1(TRANS32_DEP_3)
	v_exp_f32_e32 v136, v136
	v_cndmask_b32_e64 v140, 0, v135, s11
	s_delay_alu instid0(VALU_DEP_3) | instskip(NEXT) | instid1(TRANS32_DEP_3)
	v_exp_f32_e32 v133, v133
	v_cndmask_b32_e64 v138, 0, v130, s7
	v_add_f32_e32 v131, v131, v153
	v_fma_f32 v135, s36, v143, -v129
	s_delay_alu instid0(VALU_DEP_2)
	v_add_f32_e32 v130, v131, v155
	v_fma_f32 v131, s36, v139, -v129
	s_waitcnt_depctr 0xfff
	v_cndmask_b32_e64 v139, 0, v133, s9
	v_fma_f32 v133, s36, v141, -v129
	v_add_f32_e32 v130, v130, v138
	v_cndmask_b32_e64 v141, 0, v134, s10
	v_fma_f32 v134, s36, v142, -v129
	v_cndmask_b32_e64 v142, 0, v136, s13
	s_delay_alu instid0(VALU_DEP_4) | instskip(NEXT) | instid1(VALU_DEP_3)
	v_dual_mul_f32 v131, 0x3fb8aa3b, v131 :: v_dual_add_f32 v130, v130, v156
	v_mul_f32_e32 v134, 0x3fb8aa3b, v134
	s_delay_alu instid0(VALU_DEP_2) | instskip(NEXT) | instid1(VALU_DEP_2)
	v_exp_f32_e32 v131, v131
	v_add_f32_e32 v130, v130, v139
	s_delay_alu instid0(VALU_DEP_2) | instskip(NEXT) | instid1(VALU_DEP_1)
	v_exp_f32_e32 v134, v134
	v_add_f32_e32 v130, v130, v141
	s_waitcnt_depctr 0xfff
	v_cndmask_b32_e64 v143, 0, v131, s12
	v_dual_add_f32 v130, v130, v140 :: v_dual_mul_f32 v133, 0x3fb8aa3b, v133
	s_delay_alu instid0(VALU_DEP_1) | instskip(NEXT) | instid1(VALU_DEP_2)
	v_add_f32_e32 v130, v130, v143
	v_exp_f32_e32 v133, v133
	s_delay_alu instid0(VALU_DEP_1)
	v_add_f32_e32 v130, v130, v142
	s_waitcnt_depctr 0xfff
	v_cndmask_b32_e64 v157, 0, v133, s15
	v_mul_f32_e32 v131, 0x3fb8aa3b, v135
	v_fma_f32 v135, s36, v144, -v129
	v_cndmask_b32_e64 v144, 0, v134, s16
	s_delay_alu instid0(VALU_DEP_4) | instskip(NEXT) | instid1(VALU_DEP_4)
	v_add_f32_e32 v130, v130, v157
	v_exp_f32_e32 v131, v131
	s_delay_alu instid0(VALU_DEP_1) | instskip(NEXT) | instid1(VALU_DEP_1)
	v_dual_mul_f32 v133, 0x3fb8aa3b, v135 :: v_dual_add_f32 v130, v130, v144
	v_exp_f32_e32 v133, v133
	s_waitcnt_depctr 0xfff
	v_cndmask_b32_e64 v159, 0, v131, s17
	s_delay_alu instid0(VALU_DEP_1) | instskip(SKIP_1) | instid1(VALU_DEP_1)
	v_add_f32_e32 v130, v130, v159
	v_cndmask_b32_e64 v158, 0, v133, s18
	v_add_f32_e32 v130, v130, v158
	ds_bpermute_b32 v131, v132, v130
	v_cmpx_gt_u32_e32 16, v150
	s_cbranch_execz .LBB49_12
; %bb.11:
	v_mul_u32_u24_e32 v132, 0x44, v149
	s_delay_alu instid0(VALU_DEP_1) | instskip(SKIP_1) | instid1(VALU_DEP_1)
	v_lshl_add_u32 v132, v148, 2, v132
	s_waitcnt lgkmcnt(0)
	v_dual_add_f32 v130, v130, v131 :: v_dual_add_nc_u32 v131, 0x4000, v132
	ds_store_2addr_b32 v131, v129, v130 offset1:136
.LBB49_12:
	s_or_b32 exec_lo, exec_lo, s3
	v_lshlrev_b32_e32 v129, 2, v148
	s_load_b32 s35, s[0:1], 0x94
	s_waitcnt lgkmcnt(0)
	s_barrier
	buffer_gl0_inv
	v_add_nc_u32_e32 v135, 0x4000, v129
	v_cmp_eq_u32_e32 vcc_lo, 1, v149
	v_cmp_eq_u32_e64 s3, 2, v149
	v_cmp_eq_u32_e64 s4, 3, v149
	;; [unrolled: 1-line block ×3, first 2 shown]
	ds_load_2addr_b32 v[129:130], v135 offset1:17
	ds_load_2addr_b32 v[131:132], v135 offset0:34 offset1:51
	ds_load_2addr_b32 v[133:134], v135 offset0:68 offset1:85
	;; [unrolled: 1-line block ×3, first 2 shown]
	v_cmp_eq_u32_e64 s6, 5, v149
	v_cmp_eq_u32_e64 s7, 7, v149
	s_waitcnt lgkmcnt(3)
	v_max3_f32 v136, v129, 0xff7fffff, v130
	s_waitcnt lgkmcnt(2)
	s_delay_alu instid0(VALU_DEP_1) | instskip(SKIP_1) | instid1(VALU_DEP_1)
	v_max3_f32 v136, v136, v131, v132
	s_waitcnt lgkmcnt(1)
	v_max3_f32 v136, v136, v133, v134
	s_waitcnt lgkmcnt(0)
	s_delay_alu instid0(VALU_DEP_1) | instskip(NEXT) | instid1(VALU_DEP_1)
	v_max3_f32 v136, v136, v160, v161
	v_sub_f32_e32 v164, v132, v136
	ds_load_2addr_b32 v[162:163], v135 offset0:136 offset1:153
	v_sub_f32_e32 v129, v129, v136
	v_sub_f32_e32 v137, v130, v136
	;; [unrolled: 1-line block ×3, first 2 shown]
	v_mul_f32_e32 v164, 0x3fb8aa3b, v164
	s_delay_alu instid0(VALU_DEP_4) | instskip(NEXT) | instid1(VALU_DEP_4)
	v_mul_f32_e32 v150, 0x3fb8aa3b, v129
	v_mul_f32_e32 v137, 0x3fb8aa3b, v137
	ds_load_2addr_b32 v[129:130], v135 offset0:170 offset1:187
	v_mul_f32_e32 v167, 0x3fb8aa3b, v133
	v_exp_f32_e32 v164, v164
	v_exp_f32_e32 v150, v150
	;; [unrolled: 1-line block ×3, first 2 shown]
	v_sub_f32_e32 v131, v131, v136
	s_delay_alu instid0(VALU_DEP_1)
	v_mul_f32_e32 v165, 0x3fb8aa3b, v131
	ds_load_2addr_b32 v[131:132], v135 offset0:204 offset1:221
	s_waitcnt lgkmcnt(2)
	v_fma_f32 v137, v150, v162, 0
	v_sub_f32_e32 v162, v134, v136
	v_exp_f32_e32 v165, v165
	ds_load_2addr_b32 v[133:134], v135 offset0:238 offset1:255
	v_sub_f32_e32 v135, v160, v136
	v_dual_fmac_f32 v137, v166, v163 :: v_dual_mul_f32 v160, 0x3fb8aa3b, v162
	v_exp_f32_e32 v162, v167
	s_waitcnt lgkmcnt(0)
	s_delay_alu instid0(VALU_DEP_2)
	v_mul_f32_e32 v135, 0x3fb8aa3b, v135
	s_barrier
	v_exp_f32_e32 v160, v160
	v_fmac_f32_e32 v137, v165, v129
	v_sub_f32_e32 v129, v161, v136
	v_exp_f32_e32 v161, v135
	buffer_gl0_inv
	v_fmac_f32_e32 v137, v164, v130
	v_dual_mul_f32 v129, 0x3fb8aa3b, v129 :: v_dual_cndmask_b32 v130, v150, v166
	s_delay_alu instid0(VALU_DEP_2) | instskip(NEXT) | instid1(VALU_DEP_2)
	v_fmac_f32_e32 v137, v162, v131
	v_exp_f32_e32 v163, v129
	s_delay_alu instid0(VALU_DEP_1) | instskip(NEXT) | instid1(VALU_DEP_1)
	v_fmac_f32_e32 v137, v160, v132
	v_fmac_f32_e32 v137, v161, v133
	v_lshlrev_b32_e32 v133, 6, v148
	s_waitcnt_depctr 0xfff
	v_fmac_f32_e32 v137, v163, v134
	v_lshl_or_b32 v135, v149, 11, v133
	s_delay_alu instid0(VALU_DEP_2) | instskip(NEXT) | instid1(VALU_DEP_1)
	v_add_f32_e32 v134, 0x358637bd, v137
	v_div_scale_f32 v167, null, v134, v134, 1.0
	v_div_scale_f32 v150, vcc_lo, 1.0, v134, 1.0
	s_delay_alu instid0(VALU_DEP_2) | instskip(SKIP_2) | instid1(VALU_DEP_1)
	v_rcp_f32_e32 v168, v167
	s_waitcnt_depctr 0xfff
	v_fma_f32 v129, -v167, v168, 1.0
	v_fmac_f32_e32 v168, v129, v168
	v_cndmask_b32_e64 v129, v130, v165, s3
	v_cmp_eq_u32_e64 s3, 6, v149
	s_delay_alu instid0(VALU_DEP_3) | instskip(NEXT) | instid1(VALU_DEP_3)
	v_mul_f32_e32 v165, v150, v168
	v_cndmask_b32_e64 v130, v129, v164, s4
	v_lshlrev_b32_e32 v129, 2, v146
	s_delay_alu instid0(VALU_DEP_3) | instskip(NEXT) | instid1(VALU_DEP_3)
	v_fma_f32 v131, -v167, v165, v150
	v_cndmask_b32_e64 v162, v130, v162, s5
	s_delay_alu instid0(VALU_DEP_3)
	v_or_b32_e32 v130, 1, v129
	v_or_b32_e32 v132, 2, v129
	v_cmp_eq_u32_e64 s4, 1, v129
	v_fmac_f32_e32 v165, v131, v168
	v_cndmask_b32_e64 v149, v162, v160, s6
	v_or_b32_e32 v131, 3, v129
	v_cmp_eq_u32_e64 s9, 1, v130
	v_cmp_eq_u32_e64 s10, 1, v132
	v_fma_f32 v150, -v167, v165, v150
	v_cndmask_b32_e64 v149, v149, v161, s3
	v_cmp_eq_u32_e64 s11, 1, v131
	v_cmp_eq_u32_e64 s5, 2, v129
	;; [unrolled: 1-line block ×3, first 2 shown]
	v_div_fmas_f32 v150, v150, v168, v165
	v_cndmask_b32_e64 v149, v149, v163, s7
	v_cmp_eq_u32_e64 s15, 2, v132
	v_cmp_eq_u32_e64 s16, 2, v131
	v_cmp_eq_u32_e32 vcc_lo, 3, v129
	v_div_fixup_f32 v150, v150, v134, 1.0
	v_lshl_or_b32 v134, v146, 4, v135
	v_cmp_eq_u32_e64 s13, 3, v130
	v_cmp_eq_u32_e64 s18, 3, v131
	;; [unrolled: 1-line block ×3, first 2 shown]
	v_mul_f32_e32 v149, v149, v150
	v_cmp_eq_u32_e64 s17, 3, v132
	v_cmp_eq_u32_e64 s19, 4, v130
	;; [unrolled: 1-line block ×4, first 2 shown]
	v_fma_mixlo_f16 v160, v149, v152, 0
	v_fma_mixlo_f16 v161, v149, v154, 0
	;; [unrolled: 1-line block ×8, first 2 shown]
	v_fma_mixhi_f16 v160, v149, v151, 0
	v_fma_mixhi_f16 v161, v149, v153, 0
	;; [unrolled: 1-line block ×8, first 2 shown]
	ds_store_b128 v134, v[160:163]
	ds_store_b128 v134, v[154:157] offset:1024
	s_waitcnt lgkmcnt(0)
	s_barrier
	buffer_gl0_inv
	ds_load_b128 v[138:141], v135
	ds_load_b128 v[149:152], v135 offset:16
	ds_load_b128 v[153:156], v135 offset:1024
	ds_load_b128 v[157:160], v135 offset:1040
	v_cmp_eq_u32_e64 s20, 5, v130
	v_cmp_eq_u32_e64 s21, 4, v132
	;; [unrolled: 1-line block ×12, first 2 shown]
	s_waitcnt lgkmcnt(3)
	v_lshrrev_b32_e32 v142, 16, v138
	s_waitcnt lgkmcnt(2)
	v_lshrrev_b32_e32 v162, 16, v149
	;; [unrolled: 2-line block ×4, first 2 shown]
	v_lshrrev_b32_e32 v143, 16, v139
	v_cndmask_b32_e64 v174, v138, v142, s4
	v_cndmask_b32_e64 v175, v149, v162, s4
	;; [unrolled: 1-line block ×7, first 2 shown]
	v_lshrrev_b32_e32 v163, 16, v150
	v_cndmask_b32_e64 v179, v149, v162, s10
	v_cndmask_b32_e64 v149, v153, v166, s4
	;; [unrolled: 1-line block ×16, first 2 shown]
	v_lshrrev_b32_e32 v167, 16, v154
	v_lshrrev_b32_e32 v171, 16, v158
	v_cndmask_b32_e64 v177, v179, v150, s15
	v_cndmask_b32_e64 v142, v149, v154, s5
	;; [unrolled: 1-line block ×7, first 2 shown]
	v_cndmask_b32_e32 v157, v166, v143, vcc_lo
	v_cndmask_b32_e32 v166, v170, v163, vcc_lo
	v_cndmask_b32_e64 v170, v174, v143, s13
	v_cndmask_b32_e64 v174, v175, v163, s13
	;; [unrolled: 1-line block ×4, first 2 shown]
	v_lshrrev_b32_e32 v144, 16, v140
	v_lshrrev_b32_e32 v164, 16, v151
	v_cndmask_b32_e64 v175, v176, v143, s17
	v_cndmask_b32_e64 v176, v177, v163, s17
	v_cndmask_b32_e32 v142, v142, v167, vcc_lo
	v_cndmask_b32_e32 v143, v149, v171, vcc_lo
	v_cndmask_b32_e64 v149, v150, v167, s13
	v_cndmask_b32_e64 v150, v157, v140, s3
	;; [unrolled: 1-line block ×7, first 2 shown]
	v_lshrrev_b32_e32 v168, 16, v155
	v_cndmask_b32_e64 v170, v175, v140, s21
	v_cndmask_b32_e64 v174, v176, v151, s21
	;; [unrolled: 1-line block ×11, first 2 shown]
	v_lshrrev_b32_e32 v161, 16, v141
	v_lshrrev_b32_e32 v165, 16, v152
	v_cndmask_b32_e64 v163, v170, v144, s23
	v_cndmask_b32_e64 v166, v174, v164, s23
	;; [unrolled: 1-line block ×9, first 2 shown]
	v_lshrrev_b32_e32 v169, 16, v156
	v_cndmask_b32_e64 v140, v140, v168, s6
	v_cndmask_b32_e64 v157, v163, v141, s26
	;; [unrolled: 1-line block ×14, first 2 shown]
	v_perm_b32 v141, v139, v138, 0x5040100
	v_perm_b32 v139, v151, v149, 0x5040100
	v_cndmask_b32_e64 v138, v183, v158, s15
	v_cndmask_b32_e64 v149, v181, v158, s12
	;; [unrolled: 1-line block ×3, first 2 shown]
	v_perm_b32 v140, v152, v150, 0x5040100
	v_cndmask_b32_e64 v150, v162, v167, s17
	v_cndmask_b32_e64 v151, v153, v167, s18
	;; [unrolled: 1-line block ×5, first 2 shown]
	v_lshrrev_b32_e32 v172, 16, v159
	v_cndmask_b32_e64 v150, v150, v155, s21
	v_cndmask_b32_e64 v151, v151, v155, s22
	;; [unrolled: 1-line block ×11, first 2 shown]
	v_lshrrev_b32_e32 v173, 16, v160
	v_cndmask_b32_e64 v142, v142, v160, s7
	v_cndmask_b32_e64 v150, v150, v156, s26
	;; [unrolled: 1-line block ×12, first 2 shown]
	v_perm_b32 v138, v144, v143, 0x5040100
	v_perm_b32 v152, v152, v151, 0x5040100
	;; [unrolled: 1-line block ×5, first 2 shown]
	s_mul_i32 s7, s33, 12
	s_mov_b32 s3, exec_lo
	ds_store_b128 v134, v[138:141]
	ds_store_b128 v134, v[149:152] offset:1024
	v_cmpx_gt_u32_e32 12, v0
	s_cbranch_execz .LBB49_14
; %bb.13:
	s_mul_i32 s4, s7, s34
	s_load_b128 s[8:11], s[0:1], 0x58
	v_add3_u32 v140, s4, s31, v148
	s_delay_alu instid0(VALU_DEP_1) | instskip(NEXT) | instid1(VALU_DEP_1)
	v_mad_u64_u32 v[138:139], null, v140, s35, s[14:15]
	v_ashrrev_i32_e32 v139, 31, v138
	s_delay_alu instid0(VALU_DEP_1) | instskip(SKIP_1) | instid1(VALU_DEP_1)
	v_lshlrev_b64 v[138:139], 2, v[138:139]
	s_waitcnt lgkmcnt(0)
	v_add_co_u32 v140, vcc_lo, s10, v138
	s_delay_alu instid0(VALU_DEP_2)
	v_add_co_ci_u32_e32 v141, vcc_lo, s11, v139, vcc_lo
	v_add_co_u32 v138, vcc_lo, s8, v138
	v_add_co_ci_u32_e32 v139, vcc_lo, s9, v139, vcc_lo
	global_store_b32 v[140:141], v136, off
	global_store_b32 v[138:139], v137, off
.LBB49_14:
	s_or_b32 exec_lo, exec_lo, s3
	s_waitcnt lgkmcnt(0)
	s_waitcnt_vscnt null, 0x0
	s_barrier
	buffer_gl0_inv
	ds_load_b128 v[148:151], v133
	ds_load_b128 v[152:155], v133 offset:16
	ds_load_b128 v[160:163], v133 offset:1040
	;; [unrolled: 1-line block ×5, first 2 shown]
	v_cmp_eq_u32_e32 vcc_lo, 1, v132
	v_mov_b32_e32 v136, 0
	ds_load_b128 v[176:179], v133 offset:3088
	ds_load_b128 v[172:175], v133 offset:3072
	;; [unrolled: 1-line block ×4, first 2 shown]
	v_cmp_eq_u32_e64 s3, 1, v129
	v_cmp_eq_u32_e64 s4, 1, v131
	;; [unrolled: 1-line block ×3, first 2 shown]
	v_mov_b32_e32 v137, v136
	v_mov_b32_e32 v138, v136
	;; [unrolled: 1-line block ×7, first 2 shown]
	v_cmp_eq_u32_e64 s6, 2, v129
	s_waitcnt lgkmcnt(8)
	s_delay_alu instid0(VALU_DEP_2)
	v_wmma_f32_16x16x16_f16 v[136:143], v[121:128], v[148:155], v[136:143]
	ds_load_b128 v[125:128], v133 offset:5136
	ds_load_b128 v[121:124], v133 offset:5120
	s_waitcnt lgkmcnt(8)
	v_wmma_f32_16x16x16_f16 v[136:143], v[113:120], v[156:163], v[136:143]
	ds_load_b128 v[117:120], v133 offset:6160
	ds_load_b128 v[113:116], v133 offset:6144
	s_waitcnt lgkmcnt(8)
	;; [unrolled: 4-line block ×11, first 2 shown]
	s_barrier
	buffer_gl0_inv
	v_wmma_f32_16x16x16_f16 v[136:143], v[1:8], v[73:80], v[136:143]
	s_delay_alu instid0(VALU_DEP_1) | instskip(NEXT) | instid1(VALU_DEP_1)
	v_wmma_f32_16x16x16_f16 v[136:143], v[9:16], v[65:72], v[136:143]
	v_wmma_f32_16x16x16_f16 v[136:143], v[33:40], v[57:64], v[136:143]
	s_delay_alu instid0(VALU_DEP_1) | instskip(NEXT) | instid1(VALU_DEP_1)
	v_wmma_f32_16x16x16_f16 v[136:143], v[41:48], v[49:56], v[136:143]
	v_wmma_f32_16x16x16_f16 v[136:143], v[17:24], v[25:32], v[136:143]
	s_delay_alu instid0(VALU_DEP_1) | instskip(NEXT) | instid1(VALU_DEP_2)
	v_cvt_f16_f32_e64 v1, v136
	v_cvt_f16_f32_e64 v2, v137
	s_delay_alu instid0(VALU_DEP_3) | instskip(NEXT) | instid1(VALU_DEP_4)
	v_cvt_f16_f32_e64 v3, v138
	v_cvt_f16_f32_e64 v4, v139
	;; [unrolled: 1-line block ×6, first 2 shown]
	v_pack_b32_f16 v1, v1, v2
	v_pack_b32_f16 v2, v3, v4
	;; [unrolled: 1-line block ×3, first 2 shown]
	s_delay_alu instid0(VALU_DEP_4)
	v_pack_b32_f16 v4, v7, v8
	ds_store_b128 v134, v[1:4]
	s_waitcnt lgkmcnt(0)
	s_barrier
	buffer_gl0_inv
	ds_load_b128 v[1:4], v135
	ds_load_b128 v[5:8], v135 offset:16
	s_waitcnt lgkmcnt(1)
	v_lshrrev_b32_e32 v9, 16, v1
	s_waitcnt lgkmcnt(0)
	v_lshrrev_b32_e32 v13, 16, v5
	v_lshrrev_b32_e32 v10, 16, v2
	;; [unrolled: 1-line block ×4, first 2 shown]
	v_cndmask_b32_e64 v17, v1, v9, s3
	v_cndmask_b32_e64 v18, v5, v13, s3
	;; [unrolled: 1-line block ×3, first 2 shown]
	v_cmp_eq_u32_e64 s3, 2, v130
	v_cndmask_b32_e64 v20, v5, v13, s5
	v_cndmask_b32_e32 v21, v1, v9, vcc_lo
	v_cndmask_b32_e32 v22, v5, v13, vcc_lo
	v_cndmask_b32_e64 v1, v1, v9, s4
	v_cndmask_b32_e64 v5, v5, v13, s4
	v_cmp_eq_u32_e32 vcc_lo, 2, v132
	v_cmp_eq_u32_e64 s4, 2, v131
	v_cndmask_b32_e64 v9, v17, v2, s6
	v_cndmask_b32_e64 v13, v18, v6, s6
	;; [unrolled: 1-line block ×4, first 2 shown]
	v_cndmask_b32_e32 v19, v21, v2, vcc_lo
	v_cmp_eq_u32_e64 s3, 3, v132
	v_cndmask_b32_e32 v20, v22, v6, vcc_lo
	v_cndmask_b32_e64 v1, v1, v2, s4
	v_cmp_eq_u32_e32 vcc_lo, 3, v131
	v_cmp_eq_u32_e64 s5, 3, v129
	v_cndmask_b32_e64 v2, v5, v6, s4
	v_cmp_eq_u32_e64 s4, 3, v130
	v_cmp_eq_u32_e64 s6, 4, v129
	v_cndmask_b32_e32 v1, v1, v10, vcc_lo
	v_cndmask_b32_e64 v5, v9, v10, s5
	v_cndmask_b32_e64 v6, v13, v14, s5
	;; [unrolled: 1-line block ×3, first 2 shown]
	v_cmp_eq_u32_e64 s5, 4, v130
	v_cndmask_b32_e64 v13, v18, v14, s4
	v_cndmask_b32_e64 v17, v19, v10, s3
	;; [unrolled: 1-line block ×3, first 2 shown]
	v_cndmask_b32_e32 v2, v2, v14, vcc_lo
	v_cmp_eq_u32_e32 vcc_lo, 4, v132
	v_cmp_eq_u32_e64 s4, 4, v131
	v_lshrrev_b32_e32 v15, 16, v7
	v_cndmask_b32_e64 v5, v5, v3, s6
	v_cndmask_b32_e64 v6, v6, v7, s6
	v_cndmask_b32_e32 v14, v18, v7, vcc_lo
	v_cndmask_b32_e64 v9, v9, v3, s5
	v_cndmask_b32_e64 v10, v13, v7, s5
	v_cndmask_b32_e32 v13, v17, v3, vcc_lo
	v_cmp_eq_u32_e64 s3, 5, v132
	v_cndmask_b32_e64 v1, v1, v3, s4
	v_cmp_eq_u32_e32 vcc_lo, 5, v131
	v_cmp_eq_u32_e64 s5, 5, v129
	v_cndmask_b32_e64 v2, v2, v7, s4
	v_cmp_eq_u32_e64 s4, 5, v130
	v_cmp_eq_u32_e64 s6, 6, v129
	v_lshrrev_b32_e32 v12, 16, v4
	v_cndmask_b32_e64 v3, v5, v11, s5
	v_cndmask_b32_e64 v5, v6, v15, s5
	;; [unrolled: 1-line block ×3, first 2 shown]
	v_cmp_eq_u32_e64 s5, 6, v130
	v_cndmask_b32_e64 v7, v10, v15, s4
	v_cndmask_b32_e64 v9, v13, v11, s3
	;; [unrolled: 1-line block ×3, first 2 shown]
	v_cndmask_b32_e32 v1, v1, v11, vcc_lo
	v_cndmask_b32_e32 v2, v2, v15, vcc_lo
	v_cmp_eq_u32_e32 vcc_lo, 6, v132
	v_cmp_eq_u32_e64 s3, 6, v131
	v_lshrrev_b32_e32 v16, 16, v8
	v_cndmask_b32_e64 v3, v3, v4, s6
	v_cndmask_b32_e64 v5, v5, v8, s6
	v_cndmask_b32_e32 v9, v9, v4, vcc_lo
	v_cndmask_b32_e64 v6, v6, v4, s5
	v_cndmask_b32_e64 v7, v7, v8, s5
	v_cmp_eq_u32_e64 s4, 7, v132
	v_cndmask_b32_e32 v10, v10, v8, vcc_lo
	v_cndmask_b32_e64 v1, v1, v4, s3
	v_cmp_eq_u32_e32 vcc_lo, 7, v131
	v_cndmask_b32_e64 v2, v2, v8, s3
	v_cmp_eq_u32_e64 s3, 7, v129
	v_cmp_eq_u32_e64 s5, 7, v130
	v_cndmask_b32_e32 v1, v1, v12, vcc_lo
	s_delay_alu instid0(VALU_DEP_4) | instskip(NEXT) | instid1(VALU_DEP_4)
	v_cndmask_b32_e32 v2, v2, v16, vcc_lo
	v_cndmask_b32_e64 v8, v3, v12, s3
	s_delay_alu instid0(VALU_DEP_4)
	v_cndmask_b32_e64 v6, v6, v12, s5
	v_cndmask_b32_e64 v3, v9, v12, s4
	;; [unrolled: 1-line block ×5, first 2 shown]
	v_cmp_gt_u32_e32 vcc_lo, 32, v0
	v_perm_b32 v4, v2, v1, 0x5040100
	v_perm_b32 v3, v9, v3, 0x5040100
	;; [unrolled: 1-line block ×4, first 2 shown]
	s_and_b32 s2, vcc_lo, s2
	ds_store_b128 v134, v[1:4]
	s_waitcnt lgkmcnt(0)
	s_barrier
	buffer_gl0_inv
	s_and_saveexec_b32 s3, s2
	s_cbranch_execz .LBB49_2
; %bb.15:
	s_load_b64 s[0:1], s[0:1], 0x68
	v_lshlrev_b32_e32 v0, 10, v0
	s_lshl_b32 s4, s35, 6
	v_or_b32_e32 v3, s31, v146
	s_mul_i32 s2, s4, s34
	v_lshlrev_b32_e32 v1, 4, v147
	s_mul_i32 s2, s2, s7
	v_lshlrev_b32_e32 v2, 6, v146
	v_and_b32_e32 v0, 0x3800, v0
	s_ashr_i32 s3, s2, 31
	v_mul_lo_u32 v4, v3, s4
	s_lshl_b64 s[2:3], s[2:3], 1
	s_delay_alu instid0(VALU_DEP_2) | instskip(NEXT) | instid1(VALU_DEP_2)
	v_or3_b32 v16, v0, v1, v2
	v_ashrrev_i32_e32 v5, 31, v4
	ds_load_b128 v[0:3], v16
	s_waitcnt lgkmcnt(0)
	s_add_u32 s2, s0, s2
	s_addc_u32 s3, s1, s3
	s_lshl_b32 s0, s14, 6
	v_lshlrev_b64 v[5:6], 1, v[4:5]
	s_ashr_i32 s1, s0, 31
	s_delay_alu instid0(SALU_CYCLE_1) | instskip(NEXT) | instid1(SALU_CYCLE_1)
	s_lshl_b64 s[0:1], s[0:1], 1
	s_add_u32 s0, s2, s0
	s_addc_u32 s1, s3, s1
	s_lshl_b32 s2, s35, 7
	v_add_co_u32 v30, s0, s0, v145
	v_add_nc_u32_e32 v8, s2, v4
	v_add_co_ci_u32_e64 v31, null, s1, 0, s0
	s_delay_alu instid0(VALU_DEP_3) | instskip(NEXT) | instid1(VALU_DEP_3)
	v_add_co_u32 v12, vcc_lo, v30, v5
	v_add_nc_u32_e32 v10, s2, v8
	v_ashrrev_i32_e32 v9, 31, v8
	s_delay_alu instid0(VALU_DEP_4)
	v_add_co_ci_u32_e32 v13, vcc_lo, v31, v6, vcc_lo
	ds_load_b128 v[4:7], v16 offset:128
	v_ashrrev_i32_e32 v11, 31, v10
	v_lshlrev_b64 v[8:9], 1, v[8:9]
	v_add_nc_u32_e32 v14, s2, v10
	global_store_b128 v[12:13], v[0:3], off
	v_lshlrev_b64 v[0:1], 1, v[10:11]
	v_ashrrev_i32_e32 v15, 31, v14
	v_add_co_u32 v22, vcc_lo, v30, v8
	v_add_nc_u32_e32 v20, s2, v14
	v_add_co_ci_u32_e32 v23, vcc_lo, v31, v9, vcc_lo
	v_add_co_u32 v26, vcc_lo, v30, v0
	v_lshlrev_b64 v[24:25], 1, v[14:15]
	v_add_co_ci_u32_e32 v27, vcc_lo, v31, v1, vcc_lo
	ds_load_b128 v[0:3], v16 offset:256
	ds_load_b128 v[8:11], v16 offset:384
	;; [unrolled: 1-line block ×4, first 2 shown]
	v_add_nc_u32_e32 v28, s2, v20
	v_ashrrev_i32_e32 v21, 31, v20
	v_add_co_u32 v24, vcc_lo, v30, v24
	v_add_co_ci_u32_e32 v25, vcc_lo, v31, v25, vcc_lo
	s_delay_alu instid0(VALU_DEP_4) | instskip(NEXT) | instid1(VALU_DEP_4)
	v_ashrrev_i32_e32 v29, 31, v28
	v_lshlrev_b64 v[20:21], 1, v[20:21]
	s_delay_alu instid0(VALU_DEP_2) | instskip(NEXT) | instid1(VALU_DEP_2)
	v_lshlrev_b64 v[28:29], 1, v[28:29]
	v_add_co_u32 v20, vcc_lo, v30, v20
	s_delay_alu instid0(VALU_DEP_3) | instskip(NEXT) | instid1(VALU_DEP_3)
	v_add_co_ci_u32_e32 v21, vcc_lo, v31, v21, vcc_lo
	v_add_co_u32 v28, vcc_lo, v30, v28
	s_delay_alu instid0(VALU_DEP_4)
	v_add_co_ci_u32_e32 v29, vcc_lo, v31, v29, vcc_lo
	s_waitcnt lgkmcnt(4)
	global_store_b128 v[22:23], v[4:7], off
	s_waitcnt lgkmcnt(3)
	global_store_b128 v[26:27], v[0:3], off
	;; [unrolled: 2-line block ×5, first 2 shown]
	s_nop 0
	s_sendmsg sendmsg(MSG_DEALLOC_VGPRS)
	s_endpgm
	.section	.rodata,"a",@progbits
	.p2align	6, 0x0
	.amdhsa_kernel _Z39paged_attention_ll4mi_QKV_mfma16_kernelIDF16_DF16_LN4vllm18Fp8KVCacheDataTypeE0EhLi16ELi64ELi256ELb0ELi12EL8MFMAType0EEvPKT_PKT0_S8_ifPKiSA_SA_iPKfiiiPfSD_PS3_PT2_iSC_SC_
		.amdhsa_group_segment_fixed_size 17472
		.amdhsa_private_segment_fixed_size 0
		.amdhsa_kernarg_size 400
		.amdhsa_user_sgpr_count 13
		.amdhsa_user_sgpr_dispatch_ptr 0
		.amdhsa_user_sgpr_queue_ptr 0
		.amdhsa_user_sgpr_kernarg_segment_ptr 1
		.amdhsa_user_sgpr_dispatch_id 0
		.amdhsa_user_sgpr_private_segment_size 0
		.amdhsa_wavefront_size32 1
		.amdhsa_uses_dynamic_stack 0
		.amdhsa_enable_private_segment 0
		.amdhsa_system_sgpr_workgroup_id_x 1
		.amdhsa_system_sgpr_workgroup_id_y 1
		.amdhsa_system_sgpr_workgroup_id_z 1
		.amdhsa_system_sgpr_workgroup_info 0
		.amdhsa_system_vgpr_workitem_id 0
		.amdhsa_next_free_vgpr 198
		.amdhsa_next_free_sgpr 52
		.amdhsa_reserve_vcc 1
		.amdhsa_float_round_mode_32 0
		.amdhsa_float_round_mode_16_64 0
		.amdhsa_float_denorm_mode_32 3
		.amdhsa_float_denorm_mode_16_64 3
		.amdhsa_dx10_clamp 1
		.amdhsa_ieee_mode 1
		.amdhsa_fp16_overflow 0
		.amdhsa_workgroup_processor_mode 1
		.amdhsa_memory_ordered 1
		.amdhsa_forward_progress 0
		.amdhsa_shared_vgpr_count 0
		.amdhsa_exception_fp_ieee_invalid_op 0
		.amdhsa_exception_fp_denorm_src 0
		.amdhsa_exception_fp_ieee_div_zero 0
		.amdhsa_exception_fp_ieee_overflow 0
		.amdhsa_exception_fp_ieee_underflow 0
		.amdhsa_exception_fp_ieee_inexact 0
		.amdhsa_exception_int_div_zero 0
	.end_amdhsa_kernel
	.section	.text._Z39paged_attention_ll4mi_QKV_mfma16_kernelIDF16_DF16_LN4vllm18Fp8KVCacheDataTypeE0EhLi16ELi64ELi256ELb0ELi12EL8MFMAType0EEvPKT_PKT0_S8_ifPKiSA_SA_iPKfiiiPfSD_PS3_PT2_iSC_SC_,"axG",@progbits,_Z39paged_attention_ll4mi_QKV_mfma16_kernelIDF16_DF16_LN4vllm18Fp8KVCacheDataTypeE0EhLi16ELi64ELi256ELb0ELi12EL8MFMAType0EEvPKT_PKT0_S8_ifPKiSA_SA_iPKfiiiPfSD_PS3_PT2_iSC_SC_,comdat
.Lfunc_end49:
	.size	_Z39paged_attention_ll4mi_QKV_mfma16_kernelIDF16_DF16_LN4vllm18Fp8KVCacheDataTypeE0EhLi16ELi64ELi256ELb0ELi12EL8MFMAType0EEvPKT_PKT0_S8_ifPKiSA_SA_iPKfiiiPfSD_PS3_PT2_iSC_SC_, .Lfunc_end49-_Z39paged_attention_ll4mi_QKV_mfma16_kernelIDF16_DF16_LN4vllm18Fp8KVCacheDataTypeE0EhLi16ELi64ELi256ELb0ELi12EL8MFMAType0EEvPKT_PKT0_S8_ifPKiSA_SA_iPKfiiiPfSD_PS3_PT2_iSC_SC_
                                        ; -- End function
	.section	.AMDGPU.csdata,"",@progbits
; Kernel info:
; codeLenInByte = 7964
; NumSgprs: 54
; NumVgprs: 198
; ScratchSize: 0
; MemoryBound: 0
; FloatMode: 240
; IeeeMode: 1
; LDSByteSize: 17472 bytes/workgroup (compile time only)
; SGPRBlocks: 6
; VGPRBlocks: 24
; NumSGPRsForWavesPerEU: 54
; NumVGPRsForWavesPerEU: 198
; Occupancy: 7
; WaveLimiterHint : 1
; COMPUTE_PGM_RSRC2:SCRATCH_EN: 0
; COMPUTE_PGM_RSRC2:USER_SGPR: 13
; COMPUTE_PGM_RSRC2:TRAP_HANDLER: 0
; COMPUTE_PGM_RSRC2:TGID_X_EN: 1
; COMPUTE_PGM_RSRC2:TGID_Y_EN: 1
; COMPUTE_PGM_RSRC2:TGID_Z_EN: 1
; COMPUTE_PGM_RSRC2:TIDIG_COMP_CNT: 0
	.section	.text._Z39paged_attention_ll4mi_QKV_mfma16_kernelIDF16_DF16_LN4vllm18Fp8KVCacheDataTypeE0EhLi16ELi64ELi256ELb0ELi13EL8MFMAType0EEvPKT_PKT0_S8_ifPKiSA_SA_iPKfiiiPfSD_PS3_PT2_iSC_SC_,"axG",@progbits,_Z39paged_attention_ll4mi_QKV_mfma16_kernelIDF16_DF16_LN4vllm18Fp8KVCacheDataTypeE0EhLi16ELi64ELi256ELb0ELi13EL8MFMAType0EEvPKT_PKT0_S8_ifPKiSA_SA_iPKfiiiPfSD_PS3_PT2_iSC_SC_,comdat
	.protected	_Z39paged_attention_ll4mi_QKV_mfma16_kernelIDF16_DF16_LN4vllm18Fp8KVCacheDataTypeE0EhLi16ELi64ELi256ELb0ELi13EL8MFMAType0EEvPKT_PKT0_S8_ifPKiSA_SA_iPKfiiiPfSD_PS3_PT2_iSC_SC_ ; -- Begin function _Z39paged_attention_ll4mi_QKV_mfma16_kernelIDF16_DF16_LN4vllm18Fp8KVCacheDataTypeE0EhLi16ELi64ELi256ELb0ELi13EL8MFMAType0EEvPKT_PKT0_S8_ifPKiSA_SA_iPKfiiiPfSD_PS3_PT2_iSC_SC_
	.globl	_Z39paged_attention_ll4mi_QKV_mfma16_kernelIDF16_DF16_LN4vllm18Fp8KVCacheDataTypeE0EhLi16ELi64ELi256ELb0ELi13EL8MFMAType0EEvPKT_PKT0_S8_ifPKiSA_SA_iPKfiiiPfSD_PS3_PT2_iSC_SC_
	.p2align	8
	.type	_Z39paged_attention_ll4mi_QKV_mfma16_kernelIDF16_DF16_LN4vllm18Fp8KVCacheDataTypeE0EhLi16ELi64ELi256ELb0ELi13EL8MFMAType0EEvPKT_PKT0_S8_ifPKiSA_SA_iPKfiiiPfSD_PS3_PT2_iSC_SC_,@function
_Z39paged_attention_ll4mi_QKV_mfma16_kernelIDF16_DF16_LN4vllm18Fp8KVCacheDataTypeE0EhLi16ELi64ELi256ELb0ELi13EL8MFMAType0EEvPKT_PKT0_S8_ifPKiSA_SA_iPKfiiiPfSD_PS3_PT2_iSC_SC_: ; @_Z39paged_attention_ll4mi_QKV_mfma16_kernelIDF16_DF16_LN4vllm18Fp8KVCacheDataTypeE0EhLi16ELi64ELi256ELb0ELi13EL8MFMAType0EEvPKT_PKT0_S8_ifPKiSA_SA_iPKfiiiPfSD_PS3_PT2_iSC_SC_
; %bb.0:
	s_load_b64 s[2:3], s[0:1], 0x30
	s_mov_b32 s34, s13
	s_waitcnt lgkmcnt(0)
	s_cmp_lg_u64 s[2:3], 0
	s_cselect_b32 s6, -1, 0
	s_ashr_i32 s35, s13, 31
	s_cmp_eq_u64 s[2:3], 0
	s_cbranch_scc1 .LBB50_3
; %bb.1:
	s_lshl_b64 s[4:5], s[34:35], 2
	s_delay_alu instid0(SALU_CYCLE_1) | instskip(SKIP_4) | instid1(SALU_CYCLE_1)
	s_add_u32 s4, s2, s4
	s_addc_u32 s5, s3, s5
	s_load_b64 s[4:5], s[4:5], 0x0
	s_waitcnt lgkmcnt(0)
	s_sub_i32 s4, s5, s4
	s_cmp_eq_u32 s4, 1
	s_cselect_b32 s4, -1, 0
	s_delay_alu instid0(SALU_CYCLE_1)
	s_and_not1_b32 vcc_lo, exec_lo, s4
	s_cbranch_vccz .LBB50_4
.LBB50_2:
	s_nop 0
	s_sendmsg sendmsg(MSG_DEALLOC_VGPRS)
	s_endpgm
.LBB50_3:
.LBB50_4:
	s_load_b64 s[8:9], s[0:1], 0x28
	s_lshl_b64 s[4:5], s[34:35], 2
	s_waitcnt lgkmcnt(0)
	s_add_u32 s8, s8, s4
	s_addc_u32 s9, s9, s5
	s_lshl_b32 s31, s14, 8
	s_load_b32 s30, s[8:9], 0x0
	s_waitcnt lgkmcnt(0)
	s_cmp_ge_i32 s31, s30
	s_cbranch_scc1 .LBB50_2
; %bb.5:
	s_clause 0x1
	s_load_b128 s[8:11], s[0:1], 0x8
	s_load_b64 s[12:13], s[0:1], 0x20
	s_and_not1_b32 vcc_lo, exec_lo, s6
	s_cbranch_vccnz .LBB50_7
; %bb.6:
	s_add_u32 s2, s2, s4
	s_addc_u32 s3, s3, s5
	s_load_b32 s3, s[2:3], 0x0
	s_branch .LBB50_8
.LBB50_7:
	s_mov_b32 s3, s34
.LBB50_8:
	s_load_b128 s[4:7], s[0:1], 0x48
	v_lshrrev_b32_e32 v149, 5, v0
	v_bfe_u32 v146, v0, 4, 1
	v_and_b32_e32 v148, 15, v0
	v_and_b32_e32 v150, 31, v0
	;; [unrolled: 1-line block ×3, first 2 shown]
	s_mul_i32 s33, s15, 13
	v_lshl_or_b32 v1, v149, 1, v146
	v_lshlrev_b32_e32 v2, 3, v148
	v_cmp_gt_u32_e64 s2, 8, v148
	s_delay_alu instid0(VALU_DEP_3) | instskip(NEXT) | instid1(VALU_DEP_3)
	v_cmp_gt_u32_e32 vcc_lo, 13, v1
	v_lshlrev_b32_e32 v145, 1, v2
	s_delay_alu instid0(VALU_DEP_3)
	s_and_b32 s16, s2, vcc_lo
	s_waitcnt lgkmcnt(0)
	s_and_saveexec_b32 s7, s16
	s_cbranch_execz .LBB50_10
; %bb.9:
	s_load_b64 s[16:17], s[0:1], 0x0
	v_add_lshl_u32 v2, v1, s33, 6
	s_mul_hi_i32 s19, s3, s4
	s_mul_i32 s18, s3, s4
	v_lshlrev_b32_e32 v6, 10, v148
	s_lshl_b64 s[18:19], s[18:19], 1
	v_ashrrev_i32_e32 v3, 31, v2
	v_lshlrev_b32_e32 v1, 6, v1
	v_lshlrev_b32_e32 v7, 10, v147
	v_and_b32_e32 v6, 0x3800, v6
	s_delay_alu instid0(VALU_DEP_4) | instskip(NEXT) | instid1(VALU_DEP_2)
	v_lshlrev_b64 v[2:3], 1, v[2:3]
	v_or3_b32 v1, v6, v7, v1
	s_waitcnt lgkmcnt(0)
	s_add_u32 s3, s16, s18
	s_addc_u32 s4, s17, s19
	s_delay_alu instid0(VALU_DEP_2) | instskip(SKIP_1) | instid1(VALU_DEP_2)
	v_add_co_u32 v2, vcc_lo, s3, v2
	v_add_co_ci_u32_e32 v3, vcc_lo, s4, v3, vcc_lo
	v_add_co_u32 v2, vcc_lo, v2, v145
	s_delay_alu instid0(VALU_DEP_2)
	v_add_co_ci_u32_e32 v3, vcc_lo, 0, v3, vcc_lo
	global_load_b128 v[2:5], v[2:3], off
	s_waitcnt vmcnt(0)
	ds_store_b128 v1, v[2:5]
.LBB50_10:
	s_or_b32 exec_lo, exec_lo, s7
	s_mov_b32 s40, 0
	s_add_i32 s3, s30, 15
	s_mov_b32 s41, s40
	s_mov_b32 s42, s40
	;; [unrolled: 1-line block ×7, first 2 shown]
	s_delay_alu instid0(SALU_CYCLE_1)
	v_dual_mov_b32 v144, s47 :: v_dual_and_b32 v1, 0xef, v0
	v_mov_b32_e32 v142, s45
	s_ashr_i32 s7, s3, 31
	s_clause 0x1
	s_load_b32 s4, s[0:1], 0x38
	s_load_b32 s35, s[0:1], 0x98
	v_add_nc_u32_e32 v1, s31, v1
	s_lshr_b32 s7, s7, 28
	s_load_b32 s36, s[0:1], 0x1c
	s_add_i32 s3, s3, s7
	s_waitcnt lgkmcnt(0)
	v_ashrrev_i32_e32 v2, 31, v1
	v_or_b32_e32 v3, 16, v1
	s_ashr_i32 s3, s3, 4
	v_cmp_gt_i32_e32 vcc_lo, s30, v1
	s_add_i32 s3, s3, -1
	v_lshrrev_b32_e32 v2, 28, v2
	v_mov_b32_e32 v143, s46
	s_barrier
	buffer_gl0_inv
	s_mul_i32 s6, s15, s6
	v_dual_mov_b32 v141, s44 :: v_dual_add_nc_u32 v4, v1, v2
	v_mov_b32_e32 v139, s42
	s_mul_i32 s16, s34, s4
	v_mov_b32_e32 v137, s40
	s_delay_alu instid0(VALU_DEP_3)
	v_ashrrev_i32_e32 v4, 4, v4
	v_add_nc_u32_e32 v2, v3, v2
	s_ashr_i32 s17, s16, 31
	v_mov_b32_e32 v140, s43
	s_lshl_b64 s[16:17], s[16:17], 2
	v_cndmask_b32_e32 v1, s3, v4, vcc_lo
	v_ashrrev_i32_e32 v2, 4, v2
	v_cmp_gt_i32_e32 vcc_lo, s30, v3
	s_add_u32 s4, s12, s16
	s_addc_u32 s37, s13, s17
	s_ashr_i32 s7, s6, 31
	v_mov_b32_e32 v138, s41
	v_cndmask_b32_e32 v3, s3, v2, vcc_lo
	v_ashrrev_i32_e32 v2, 31, v1
	s_lshl_b64 s[6:7], s[6:7], 1
	s_delay_alu instid0(SALU_CYCLE_1) | instskip(NEXT) | instid1(VALU_DEP_2)
	s_add_u32 s24, s8, s6
	v_ashrrev_i32_e32 v4, 31, v3
	s_delay_alu instid0(VALU_DEP_2) | instskip(SKIP_2) | instid1(VALU_DEP_2)
	v_lshlrev_b64 v[1:2], 2, v[1:2]
	s_addc_u32 s25, s9, s7
	s_lshl_b32 s8, s14, 4
	v_lshlrev_b64 v[3:4], 2, v[3:4]
	s_ashr_i32 s9, s8, 31
	s_delay_alu instid0(VALU_DEP_2) | instskip(SKIP_1) | instid1(VALU_DEP_3)
	v_add_co_u32 v1, vcc_lo, s4, v1
	v_add_co_ci_u32_e32 v2, vcc_lo, s37, v2, vcc_lo
	v_add_co_u32 v3, vcc_lo, s4, v3
	s_delay_alu instid0(VALU_DEP_4)
	v_add_co_ci_u32_e32 v4, vcc_lo, s37, v4, vcc_lo
	s_clause 0x1
	global_load_b32 v5, v[1:2], off
	global_load_b32 v6, v[3:4], off
	s_lshl_b64 s[8:9], s[8:9], 2
	v_lshlrev_b32_e32 v3, 4, v0
	s_add_u32 s8, s4, s8
	s_addc_u32 s9, s37, s9
	s_or_b32 s12, s31, 16
	s_delay_alu instid0(SALU_CYCLE_1) | instskip(SKIP_2) | instid1(SALU_CYCLE_1)
	s_ashr_i32 s13, s12, 4
	s_cmp_lt_i32 s12, s30
	s_cselect_b32 s12, s13, s3
	s_ashr_i32 s13, s12, 31
	s_delay_alu instid0(SALU_CYCLE_1) | instskip(NEXT) | instid1(SALU_CYCLE_1)
	s_lshl_b64 s[12:13], s[12:13], 2
	s_add_u32 s12, s4, s12
	s_addc_u32 s13, s37, s13
	s_or_b32 s15, s31, 32
	s_delay_alu instid0(SALU_CYCLE_1) | instskip(SKIP_2) | instid1(SALU_CYCLE_1)
	s_ashr_i32 s16, s15, 4
	s_cmp_lt_i32 s15, s30
	s_cselect_b32 s16, s16, s3
	s_ashr_i32 s17, s16, 31
	s_delay_alu instid0(SALU_CYCLE_1) | instskip(NEXT) | instid1(SALU_CYCLE_1)
	s_lshl_b64 s[16:17], s[16:17], 2
	;; [unrolled: 10-line block ×5, first 2 shown]
	s_add_u32 s22, s4, s22
	s_addc_u32 s23, s37, s23
	s_clause 0x5
	s_load_b32 s8, s[8:9], 0x0
	s_load_b32 s12, s[12:13], 0x0
	;; [unrolled: 1-line block ×6, first 2 shown]
	s_waitcnt lgkmcnt(0)
	s_mul_hi_i32 s17, s16, s5
	s_mul_i32 s16, s16, s5
	s_waitcnt vmcnt(1)
	v_mad_i64_i32 v[1:2], null, v5, s5, 0
	v_and_b32_e32 v5, 0xf0, v3
	s_waitcnt vmcnt(0)
	v_mad_i64_i32 v[3:4], null, v6, s5, 0
	s_delay_alu instid0(VALU_DEP_2) | instskip(NEXT) | instid1(VALU_DEP_4)
	v_add_co_u32 v7, s9, s24, v5
	v_lshlrev_b64 v[1:2], 1, v[1:2]
	v_add_co_ci_u32_e64 v8, null, s25, 0, s9
	s_delay_alu instid0(VALU_DEP_4) | instskip(SKIP_1) | instid1(VALU_DEP_3)
	v_lshlrev_b64 v[5:6], 1, v[3:4]
	s_or_b32 s9, s31, 0x60
	v_add_co_u32 v3, vcc_lo, v7, v1
	s_delay_alu instid0(VALU_DEP_3) | instskip(NEXT) | instid1(VALU_DEP_3)
	v_add_co_ci_u32_e32 v4, vcc_lo, v8, v2, vcc_lo
	v_add_co_u32 v1, vcc_lo, v7, v5
	s_delay_alu instid0(VALU_DEP_4)
	v_add_co_ci_u32_e32 v2, vcc_lo, v8, v6, vcc_lo
	s_clause 0x9
	global_load_b128 v[9:12], v[3:4], off
	global_load_b128 v[13:16], v[3:4], off offset:256
	global_load_b128 v[129:132], v[1:2], off
	global_load_b128 v[133:136], v[1:2], off offset:256
	global_load_b128 v[41:44], v[3:4], off offset:512
	;; [unrolled: 1-line block ×7, first 2 shown]
	v_add_nc_u32_e32 v5, -13, v148
	v_cmp_gt_u32_e32 vcc_lo, 13, v148
	s_clause 0x1
	global_load_b128 v[151:154], v[1:2], off offset:1024
	global_load_b128 v[155:158], v[1:2], off offset:1280
	s_ashr_i32 s13, s9, 4
	s_cmp_lt_i32 s9, s30
	v_lshlrev_b32_e32 v6, 5, v148
	v_cndmask_b32_e32 v5, v5, v148, vcc_lo
	s_cselect_b32 s22, s13, s3
	s_delay_alu instid0(SALU_CYCLE_1) | instskip(NEXT) | instid1(VALU_DEP_2)
	s_ashr_i32 s23, s22, 31
	v_lshl_or_b32 v6, v149, 9, v6
	s_delay_alu instid0(VALU_DEP_2)
	v_lshlrev_b32_e32 v197, 6, v5
	ds_load_b128 v[159:162], v197
	ds_load_b128 v[163:166], v197 offset:1024
	s_clause 0x3
	global_load_b128 v[167:170], v[3:4], off offset:1536
	global_load_b128 v[171:174], v[3:4], off offset:1792
	;; [unrolled: 1-line block ×4, first 2 shown]
	s_lshl_b64 s[22:23], s[22:23], 2
	s_delay_alu instid0(SALU_CYCLE_1)
	s_add_u32 s22, s4, s22
	s_addc_u32 s23, s37, s23
	s_or_b32 s9, s31, 0x70
	s_load_b32 s46, s[22:23], 0x0
	s_ashr_i32 s13, s9, 4
	s_cmp_lt_i32 s9, s30
	s_cselect_b32 s24, s13, s3
	s_delay_alu instid0(SALU_CYCLE_1) | instskip(NEXT) | instid1(SALU_CYCLE_1)
	s_ashr_i32 s25, s24, 31
	s_lshl_b64 s[24:25], s[24:25], 2
	s_delay_alu instid0(SALU_CYCLE_1)
	s_add_u32 s24, s4, s24
	s_addc_u32 s25, s37, s25
	s_or_b32 s9, s31, 0x80
	s_load_b32 s47, s[24:25], 0x0
	s_ashr_i32 s13, s9, 4
	s_cmp_lt_i32 s9, s30
	s_cselect_b32 s26, s13, s3
	s_delay_alu instid0(SALU_CYCLE_1) | instskip(NEXT) | instid1(SALU_CYCLE_1)
	s_ashr_i32 s27, s26, 31
	;; [unrolled: 11-line block ×3, first 2 shown]
	s_lshl_b64 s[28:29], s[28:29], 2
	s_delay_alu instid0(SALU_CYCLE_1) | instskip(SKIP_2) | instid1(SALU_CYCLE_1)
	s_add_u32 s28, s4, s28
	s_addc_u32 s29, s37, s29
	s_or_b32 s9, s31, 0xa0
	s_ashr_i32 s13, s9, 4
	s_cmp_lt_i32 s9, s30
	s_cselect_b32 s38, s13, s3
	s_delay_alu instid0(SALU_CYCLE_1) | instskip(NEXT) | instid1(SALU_CYCLE_1)
	s_ashr_i32 s39, s38, 31
	s_lshl_b64 s[38:39], s[38:39], 2
	s_delay_alu instid0(SALU_CYCLE_1) | instskip(SKIP_2) | instid1(SALU_CYCLE_1)
	s_add_u32 s38, s4, s38
	s_addc_u32 s39, s37, s39
	s_or_b32 s9, s31, 0xb0
	s_ashr_i32 s13, s9, 4
	s_cmp_lt_i32 s9, s30
	s_mul_hi_i32 s9, s8, s5
	s_cselect_b32 s40, s13, s3
	s_mul_i32 s8, s8, s5
	s_ashr_i32 s41, s40, 31
	s_mul_hi_i32 s13, s12, s5
	s_lshl_b64 s[40:41], s[40:41], 2
	s_mul_i32 s12, s12, s5
	s_add_u32 s42, s4, s40
	s_addc_u32 s43, s37, s41
	s_or_b32 s19, s31, 0xc0
	s_delay_alu instid0(SALU_CYCLE_1)
	s_ashr_i32 s21, s19, 4
	s_cmp_lt_i32 s19, s30
	s_mul_hi_i32 s19, s18, s5
	s_cselect_b32 s40, s21, s3
	s_mul_i32 s18, s18, s5
	s_ashr_i32 s41, s40, 31
	s_mul_hi_i32 s21, s20, s5
	s_lshl_b64 s[40:41], s[40:41], 2
	s_mul_i32 s20, s20, s5
	s_add_u32 s44, s4, s40
	s_addc_u32 s45, s37, s41
	s_load_b32 s41, s[28:29], 0x0
	s_or_b32 s40, s31, 0xd0
	s_mul_hi_i32 s23, s15, s5
	s_ashr_i32 s22, s40, 4
	s_cmp_lt_i32 s40, s30
	s_load_b32 s40, s[38:39], 0x0
	s_cselect_b32 s24, s22, s3
	s_mul_i32 s22, s15, s5
	s_ashr_i32 s25, s24, 31
	s_waitcnt lgkmcnt(0)
	s_mul_hi_i32 s29, s48, s5
	s_lshl_b64 s[24:25], s[24:25], 2
	s_mul_i32 s28, s48, s5
	s_add_u32 s24, s4, s24
	s_addc_u32 s25, s37, s25
	s_or_b32 s49, s31, 0xe0
	s_clause 0x2
	s_load_b32 s39, s[42:43], 0x0
	s_load_b32 s38, s[44:45], 0x0
	;; [unrolled: 1-line block ×3, first 2 shown]
	s_ashr_i32 s50, s49, 4
	s_cmp_lt_i32 s49, s30
	s_mul_hi_i32 s25, s46, s5
	s_cselect_b32 s44, s50, s3
	s_mul_i32 s24, s46, s5
	s_ashr_i32 s45, s44, 31
	s_mul_hi_i32 s27, s47, s5
	s_lshl_b64 s[44:45], s[44:45], 2
	s_mul_i32 s26, s47, s5
	s_add_u32 s44, s4, s44
	s_addc_u32 s45, s37, s45
	s_or_b32 s46, s31, 0xf0
	s_mul_hi_i32 s43, s41, s5
	s_ashr_i32 s48, s46, 4
	s_cmp_lt_i32 s46, s30
	s_mul_i32 s42, s41, s5
	s_cselect_b32 s48, s48, s3
	s_mul_hi_i32 s41, s40, s5
	s_ashr_i32 s49, s48, 31
	s_mul_i32 s40, s40, s5
	s_lshl_b64 s[48:49], s[48:49], 2
	s_waitcnt lgkmcnt(0)
	s_mul_hi_i32 s47, s39, s5
	s_add_u32 s48, s4, s48
	s_addc_u32 s49, s37, s49
	s_add_u32 s3, s10, s6
	s_addc_u32 s4, s11, s7
	v_add_co_u32 v195, s3, s3, v6
	s_delay_alu instid0(VALU_DEP_1) | instskip(SKIP_2) | instid1(VALU_DEP_2)
	v_add_co_ci_u32_e64 v196, null, s4, 0, s3
	s_lshl_b64 s[6:7], s[8:9], 1
	s_lshl_b64 s[8:9], s[12:13], 1
	v_add_co_u32 v1, vcc_lo, v195, s6
	s_delay_alu instid0(VALU_DEP_2)
	v_add_co_ci_u32_e32 v2, vcc_lo, s7, v196, vcc_lo
	v_add_co_u32 v3, vcc_lo, v195, s8
	s_lshl_b64 s[10:11], s[16:17], 1
	v_add_co_ci_u32_e32 v4, vcc_lo, s9, v196, vcc_lo
	v_add_co_u32 v5, vcc_lo, v195, s10
	s_lshl_b64 s[12:13], s[18:19], 1
	;; [unrolled: 3-line block ×9, first 2 shown]
	s_mul_i32 s46, s39, s5
	v_add_co_ci_u32_e32 v54, vcc_lo, s27, v196, vcc_lo
	v_add_co_u32 v183, vcc_lo, v195, s28
	s_lshl_b64 s[40:41], s[46:47], 1
	s_mul_hi_i32 s39, s38, s5
	s_mul_i32 s38, s38, s5
	v_add_co_ci_u32_e32 v184, vcc_lo, s29, v196, vcc_lo
	v_add_co_u32 v185, vcc_lo, v195, s40
	s_lshl_b64 s[38:39], s[38:39], 1
	s_clause 0x1
	s_load_b32 s3, s[44:45], 0x0
	s_load_b32 s4, s[48:49], 0x0
	v_add_co_ci_u32_e32 v186, vcc_lo, s41, v196, vcc_lo
	v_add_co_u32 v191, vcc_lo, v195, s38
	v_add_co_ci_u32_e32 v192, vcc_lo, s39, v196, vcc_lo
	s_clause 0x17
	global_load_b128 v[121:124], v[1:2], off
	global_load_b128 v[125:128], v[1:2], off offset:16
	global_load_b128 v[113:116], v[3:4], off
	global_load_b128 v[117:120], v[3:4], off offset:16
	;; [unrolled: 2-line block ×12, first 2 shown]
	s_mul_hi_i32 s51, s15, s5
	s_mul_i32 s50, s15, s5
	s_delay_alu instid0(SALU_CYCLE_1) | instskip(NEXT) | instid1(SALU_CYCLE_1)
	s_lshl_b64 s[42:43], s[50:51], 1
	v_add_co_u32 v193, vcc_lo, v195, s42
	v_add_co_ci_u32_e32 v194, vcc_lo, s43, v196, vcc_lo
	s_waitcnt lgkmcnt(0)
	s_mul_hi_i32 s7, s3, s5
	s_mul_i32 s6, s3, s5
	s_mul_hi_i32 s9, s4, s5
	s_lshl_b64 s[6:7], s[6:7], 1
	s_mul_i32 s8, s4, s5
	s_delay_alu instid0(SALU_CYCLE_1)
	s_lshl_b64 s[4:5], s[8:9], 1
	s_waitcnt vmcnt(38)
	v_wmma_f32_16x16x16_f16 v[183:190], v[9:16], v[159:166], v[137:144]
	s_waitcnt vmcnt(36)
	v_wmma_f32_16x16x16_f16 v[137:144], v[129:136], v[159:166], v[137:144]
	s_clause 0x1
	global_load_b128 v[9:12], v[191:192], off
	global_load_b128 v[13:16], v[191:192], off offset:16
	ds_load_b128 v[129:132], v197 offset:2048
	ds_load_b128 v[133:136], v197 offset:3072
	;; [unrolled: 1-line block ×4, first 2 shown]
	v_add_co_u32 v191, vcc_lo, v195, s6
	v_add_co_ci_u32_e32 v192, vcc_lo, s7, v196, vcc_lo
	v_add_co_u32 v195, vcc_lo, v195, s4
	v_add_co_ci_u32_e32 v196, vcc_lo, s5, v196, vcc_lo
	s_waitcnt vmcnt(36) lgkmcnt(2)
	v_wmma_f32_16x16x16_f16 v[183:190], v[41:48], v[129:136], v[183:190]
	s_waitcnt vmcnt(34)
	v_wmma_f32_16x16x16_f16 v[137:144], v[33:40], v[129:136], v[137:144]
	s_clause 0x3
	global_load_b128 v[33:36], v[193:194], off
	global_load_b128 v[37:40], v[193:194], off offset:16
	global_load_b128 v[41:44], v[191:192], off
	global_load_b128 v[45:48], v[191:192], off offset:16
	v_and_b32_e32 v129, 0xe0, v0
	v_mbcnt_lo_u32_b32 v191, -1, 0
	s_waitcnt vmcnt(36) lgkmcnt(0)
	v_wmma_f32_16x16x16_f16 v[183:190], v[17:24], v[159:166], v[183:190]
	s_clause 0x1
	global_load_b128 v[17:20], v[195:196], off
	global_load_b128 v[21:24], v[195:196], off offset:16
	s_waitcnt vmcnt(36)
	v_wmma_f32_16x16x16_f16 v[137:144], v[151:158], v[159:166], v[137:144]
	v_add_nc_u32_e32 v192, s31, v129
	ds_load_b128 v[129:132], v197 offset:6144
	ds_load_b128 v[133:136], v197 offset:7168
	v_xor_b32_e32 v151, 16, v191
	s_waitcnt vmcnt(0) lgkmcnt(0)
	s_barrier
	v_or_b32_e32 v152, v192, v146
	buffer_gl0_inv
	v_cmp_gt_i32_e32 vcc_lo, 32, v151
	v_or_b32_e32 v153, 2, v152
	v_or_b32_e32 v154, 4, v152
	;; [unrolled: 1-line block ×5, first 2 shown]
	v_cmp_gt_i32_e64 s3, s30, v153
	v_cmp_gt_i32_e64 s4, s30, v154
	;; [unrolled: 1-line block ×3, first 2 shown]
	v_or_b32_e32 v158, 12, v152
	v_or_b32_e32 v159, 14, v152
	v_cmp_gt_i32_e64 s6, s30, v156
	v_wmma_f32_16x16x16_f16 v[183:190], v[167:174], v[129:136], v[183:190]
	v_wmma_f32_16x16x16_f16 v[137:144], v[175:182], v[129:136], v[137:144]
	v_cndmask_b32_e32 v151, v191, v151, vcc_lo
	v_cmp_gt_i32_e32 vcc_lo, s30, v152
	v_cmp_gt_i32_e64 s7, s30, v157
	v_dual_mul_f32 v135, s36, v184 :: v_dual_mul_f32 v136, s36, v183
	v_dual_mul_f32 v133, s36, v186 :: v_dual_mul_f32 v134, s36, v185
	;; [unrolled: 1-line block ×3, first 2 shown]
	s_delay_alu instid0(VALU_DEP_3) | instskip(NEXT) | instid1(VALU_DEP_4)
	v_cndmask_b32_e32 v136, 0xff7fffff, v136, vcc_lo
	v_cndmask_b32_e64 v135, 0xff7fffff, v135, s3
	v_mul_f32_e32 v132, s36, v187
	v_cndmask_b32_e64 v134, 0xff7fffff, v134, s4
	v_cndmask_b32_e64 v133, 0xff7fffff, v133, s5
	v_or_b32_e32 v160, 16, v152
	v_max3_f32 v135, v136, 0xff7fffff, v135
	v_or_b32_e32 v161, 18, v152
	v_mul_f32_e32 v130, s36, v189
	v_dual_mul_f32 v172, s36, v140 :: v_dual_mul_f32 v129, s36, v190
	v_cndmask_b32_e64 v132, 0xff7fffff, v132, s6
	v_cndmask_b32_e64 v131, 0xff7fffff, v131, s7
	v_max3_f32 v133, v135, v134, v133
	v_cmp_gt_i32_e64 s8, s30, v158
	v_cmp_gt_i32_e64 s9, s30, v159
	v_or_b32_e32 v162, 20, v152
	v_or_b32_e32 v163, 22, v152
	v_mul_f32_e32 v175, s36, v137
	v_cndmask_b32_e64 v130, 0xff7fffff, v130, s8
	v_cndmask_b32_e64 v129, 0xff7fffff, v129, s9
	v_max3_f32 v131, v133, v132, v131
	v_cmp_gt_i32_e64 s10, s30, v160
	v_cmp_gt_i32_e64 s11, s30, v161
	v_or_b32_e32 v164, 24, v152
	v_or_b32_e32 v165, 26, v152
	v_mul_f32_e32 v173, s36, v139
	v_cndmask_b32_e64 v132, 0xff7fffff, v175, s10
	v_cndmask_b32_e64 v133, 0xff7fffff, v174, s11
	v_max3_f32 v129, v131, v130, v129
	v_cmp_gt_i32_e64 s12, s30, v162
	v_cmp_gt_i32_e64 s13, s30, v163
	v_or_b32_e32 v166, 28, v152
	v_or_b32_e32 v167, 30, v152
	v_dual_mul_f32 v170, s36, v142 :: v_dual_mul_f32 v171, s36, v141
	v_cndmask_b32_e64 v130, 0xff7fffff, v173, s12
	v_cndmask_b32_e64 v131, 0xff7fffff, v172, s13
	v_max3_f32 v129, v129, v132, v133
	v_cmp_gt_i32_e64 s15, s30, v164
	v_cmp_gt_i32_e64 s16, s30, v165
	v_dual_mul_f32 v168, s36, v144 :: v_dual_mul_f32 v169, s36, v143
	s_delay_alu instid0(VALU_DEP_4) | instskip(NEXT) | instid1(VALU_DEP_4)
	v_max3_f32 v129, v129, v130, v131
	v_cndmask_b32_e64 v132, 0xff7fffff, v171, s15
	s_delay_alu instid0(VALU_DEP_4) | instskip(SKIP_2) | instid1(VALU_DEP_3)
	v_cndmask_b32_e64 v133, 0xff7fffff, v170, s16
	v_cmp_gt_i32_e64 s17, s30, v166
	v_cmp_gt_i32_e64 s18, s30, v167
	v_max3_f32 v129, v129, v132, v133
	s_delay_alu instid0(VALU_DEP_3) | instskip(NEXT) | instid1(VALU_DEP_3)
	v_cndmask_b32_e64 v130, 0xff7fffff, v169, s17
	v_cndmask_b32_e64 v131, 0xff7fffff, v168, s18
	v_lshlrev_b32_e32 v132, 2, v151
	s_delay_alu instid0(VALU_DEP_2) | instskip(SKIP_3) | instid1(VALU_DEP_1)
	v_max3_f32 v129, v129, v130, v131
	ds_bpermute_b32 v130, v132, v129
	s_waitcnt lgkmcnt(0)
	v_max_f32_e32 v130, v130, v130
	v_max_f32_e32 v129, v129, v130
	s_delay_alu instid0(VALU_DEP_1) | instskip(SKIP_4) | instid1(VALU_DEP_4)
	v_fma_f32 v134, s36, v186, -v129
	v_fma_f32 v135, s36, v187, -v129
	;; [unrolled: 1-line block ×5, first 2 shown]
	v_dual_mul_f32 v134, 0x3fb8aa3b, v134 :: v_dual_mul_f32 v135, 0x3fb8aa3b, v135
	s_delay_alu instid0(VALU_DEP_4) | instskip(SKIP_1) | instid1(VALU_DEP_3)
	v_mul_f32_e32 v130, 0x3fb8aa3b, v130
	v_fma_f32 v136, s36, v189, -v129
	v_exp_f32_e32 v134, v134
	s_delay_alu instid0(VALU_DEP_3) | instskip(NEXT) | instid1(VALU_DEP_2)
	v_exp_f32_e32 v135, v135
	v_exp_f32_e32 v130, v130
	s_delay_alu instid0(VALU_DEP_1) | instskip(NEXT) | instid1(VALU_DEP_1)
	v_mul_f32_e32 v136, 0x3fb8aa3b, v136
	v_exp_f32_e32 v136, v136
	v_cndmask_b32_e64 v153, 0, v134, s5
	v_fma_f32 v134, s36, v137, -v129
	v_mul_f32_e32 v131, 0x3fb8aa3b, v131
	s_delay_alu instid0(TRANS32_DEP_3) | instskip(NEXT) | instid1(TRANS32_DEP_2)
	v_cndmask_b32_e64 v155, 0, v135, s6
	v_dual_mul_f32 v133, 0x3fb8aa3b, v133 :: v_dual_cndmask_b32 v152, 0, v130
	s_delay_alu instid0(VALU_DEP_4) | instskip(NEXT) | instid1(VALU_DEP_4)
	v_mul_f32_e32 v134, 0x3fb8aa3b, v134
	v_exp_f32_e32 v131, v131
	v_fma_f32 v135, s36, v138, -v129
	s_delay_alu instid0(VALU_DEP_3)
	v_exp_f32_e32 v133, v133
	v_fma_f32 v130, s36, v188, -v129
	v_cndmask_b32_e64 v156, 0, v136, s8
	v_fma_f32 v136, s36, v140, -v129
	v_mul_f32_e32 v135, 0x3fb8aa3b, v135
	v_exp_f32_e32 v134, v134
	v_mul_f32_e32 v130, 0x3fb8aa3b, v130
	s_delay_alu instid0(TRANS32_DEP_3) | instskip(SKIP_1) | instid1(TRANS32_DEP_2)
	v_cndmask_b32_e64 v151, 0, v131, s3
	v_add_f32_e32 v131, 0, v152
	v_cndmask_b32_e64 v154, 0, v133, s4
	v_exp_f32_e32 v135, v135
	v_fma_f32 v133, s36, v190, -v129
	v_exp_f32_e32 v130, v130
	v_dual_add_f32 v131, v131, v151 :: v_dual_mul_f32 v136, 0x3fb8aa3b, v136
	v_cmp_gt_u32_e64 s3, 16, v150
	s_delay_alu instid0(VALU_DEP_3) | instskip(NEXT) | instid1(VALU_DEP_3)
	v_mul_f32_e32 v133, 0x3fb8aa3b, v133
	v_add_f32_e32 v131, v131, v154
	s_delay_alu instid0(VALU_DEP_4) | instskip(NEXT) | instid1(TRANS32_DEP_3)
	v_exp_f32_e32 v136, v136
	v_cndmask_b32_e64 v140, 0, v135, s11
	s_delay_alu instid0(VALU_DEP_3) | instskip(NEXT) | instid1(TRANS32_DEP_3)
	v_exp_f32_e32 v133, v133
	v_cndmask_b32_e64 v138, 0, v130, s7
	v_add_f32_e32 v131, v131, v153
	v_fma_f32 v135, s36, v143, -v129
	s_delay_alu instid0(VALU_DEP_2)
	v_add_f32_e32 v130, v131, v155
	v_fma_f32 v131, s36, v139, -v129
	s_waitcnt_depctr 0xfff
	v_cndmask_b32_e64 v139, 0, v133, s9
	v_fma_f32 v133, s36, v141, -v129
	v_add_f32_e32 v130, v130, v138
	v_cndmask_b32_e64 v141, 0, v134, s10
	v_fma_f32 v134, s36, v142, -v129
	v_cndmask_b32_e64 v142, 0, v136, s13
	s_delay_alu instid0(VALU_DEP_4) | instskip(NEXT) | instid1(VALU_DEP_3)
	v_dual_mul_f32 v131, 0x3fb8aa3b, v131 :: v_dual_add_f32 v130, v130, v156
	v_mul_f32_e32 v134, 0x3fb8aa3b, v134
	s_delay_alu instid0(VALU_DEP_2) | instskip(NEXT) | instid1(VALU_DEP_2)
	v_exp_f32_e32 v131, v131
	v_add_f32_e32 v130, v130, v139
	s_delay_alu instid0(VALU_DEP_2) | instskip(NEXT) | instid1(VALU_DEP_1)
	v_exp_f32_e32 v134, v134
	v_add_f32_e32 v130, v130, v141
	s_waitcnt_depctr 0xfff
	v_cndmask_b32_e64 v143, 0, v131, s12
	v_dual_add_f32 v130, v130, v140 :: v_dual_mul_f32 v133, 0x3fb8aa3b, v133
	s_delay_alu instid0(VALU_DEP_1) | instskip(NEXT) | instid1(VALU_DEP_2)
	v_add_f32_e32 v130, v130, v143
	v_exp_f32_e32 v133, v133
	s_delay_alu instid0(VALU_DEP_1)
	v_add_f32_e32 v130, v130, v142
	s_waitcnt_depctr 0xfff
	v_cndmask_b32_e64 v157, 0, v133, s15
	v_mul_f32_e32 v131, 0x3fb8aa3b, v135
	v_fma_f32 v135, s36, v144, -v129
	v_cndmask_b32_e64 v144, 0, v134, s16
	s_delay_alu instid0(VALU_DEP_4) | instskip(NEXT) | instid1(VALU_DEP_4)
	v_add_f32_e32 v130, v130, v157
	v_exp_f32_e32 v131, v131
	s_delay_alu instid0(VALU_DEP_1) | instskip(NEXT) | instid1(VALU_DEP_1)
	v_dual_mul_f32 v133, 0x3fb8aa3b, v135 :: v_dual_add_f32 v130, v130, v144
	v_exp_f32_e32 v133, v133
	s_waitcnt_depctr 0xfff
	v_cndmask_b32_e64 v159, 0, v131, s17
	s_delay_alu instid0(VALU_DEP_1) | instskip(SKIP_1) | instid1(VALU_DEP_1)
	v_add_f32_e32 v130, v130, v159
	v_cndmask_b32_e64 v158, 0, v133, s18
	v_add_f32_e32 v130, v130, v158
	ds_bpermute_b32 v131, v132, v130
	s_and_saveexec_b32 s4, s3
	s_cbranch_execz .LBB50_12
; %bb.11:
	v_mul_u32_u24_e32 v132, 0x44, v149
	s_delay_alu instid0(VALU_DEP_1) | instskip(SKIP_1) | instid1(VALU_DEP_1)
	v_lshl_add_u32 v132, v148, 2, v132
	s_waitcnt lgkmcnt(0)
	v_dual_add_f32 v130, v130, v131 :: v_dual_add_nc_u32 v131, 0x4000, v132
	ds_store_2addr_b32 v131, v129, v130 offset1:136
.LBB50_12:
	s_or_b32 exec_lo, exec_lo, s4
	v_lshlrev_b32_e32 v129, 2, v148
	s_load_b32 s36, s[0:1], 0x94
	s_waitcnt lgkmcnt(0)
	s_barrier
	buffer_gl0_inv
	v_add_nc_u32_e32 v135, 0x4000, v129
	v_cmp_eq_u32_e32 vcc_lo, 1, v149
	v_cmp_eq_u32_e64 s4, 2, v149
	v_cmp_eq_u32_e64 s5, 3, v149
	;; [unrolled: 1-line block ×3, first 2 shown]
	ds_load_2addr_b32 v[129:130], v135 offset1:17
	ds_load_2addr_b32 v[131:132], v135 offset0:34 offset1:51
	ds_load_2addr_b32 v[133:134], v135 offset0:68 offset1:85
	;; [unrolled: 1-line block ×3, first 2 shown]
	v_cmp_eq_u32_e64 s7, 5, v149
	v_cmp_eq_u32_e64 s8, 7, v149
	s_waitcnt lgkmcnt(3)
	v_max3_f32 v136, v129, 0xff7fffff, v130
	s_waitcnt lgkmcnt(2)
	s_delay_alu instid0(VALU_DEP_1) | instskip(SKIP_1) | instid1(VALU_DEP_1)
	v_max3_f32 v136, v136, v131, v132
	s_waitcnt lgkmcnt(1)
	v_max3_f32 v136, v136, v133, v134
	s_waitcnt lgkmcnt(0)
	s_delay_alu instid0(VALU_DEP_1) | instskip(NEXT) | instid1(VALU_DEP_1)
	v_max3_f32 v136, v136, v160, v161
	v_sub_f32_e32 v164, v132, v136
	ds_load_2addr_b32 v[162:163], v135 offset0:136 offset1:153
	v_sub_f32_e32 v129, v129, v136
	v_sub_f32_e32 v137, v130, v136
	;; [unrolled: 1-line block ×3, first 2 shown]
	v_mul_f32_e32 v164, 0x3fb8aa3b, v164
	s_delay_alu instid0(VALU_DEP_4) | instskip(NEXT) | instid1(VALU_DEP_4)
	v_mul_f32_e32 v150, 0x3fb8aa3b, v129
	v_mul_f32_e32 v137, 0x3fb8aa3b, v137
	ds_load_2addr_b32 v[129:130], v135 offset0:170 offset1:187
	v_mul_f32_e32 v167, 0x3fb8aa3b, v133
	v_exp_f32_e32 v164, v164
	v_exp_f32_e32 v150, v150
	;; [unrolled: 1-line block ×3, first 2 shown]
	v_sub_f32_e32 v131, v131, v136
	s_delay_alu instid0(VALU_DEP_1)
	v_mul_f32_e32 v165, 0x3fb8aa3b, v131
	ds_load_2addr_b32 v[131:132], v135 offset0:204 offset1:221
	s_waitcnt lgkmcnt(2)
	v_fma_f32 v137, v150, v162, 0
	v_sub_f32_e32 v162, v134, v136
	v_exp_f32_e32 v165, v165
	ds_load_2addr_b32 v[133:134], v135 offset0:238 offset1:255
	v_sub_f32_e32 v135, v160, v136
	v_dual_fmac_f32 v137, v166, v163 :: v_dual_mul_f32 v160, 0x3fb8aa3b, v162
	v_exp_f32_e32 v162, v167
	s_waitcnt lgkmcnt(0)
	s_delay_alu instid0(VALU_DEP_2)
	v_mul_f32_e32 v135, 0x3fb8aa3b, v135
	s_barrier
	v_exp_f32_e32 v160, v160
	v_fmac_f32_e32 v137, v165, v129
	v_sub_f32_e32 v129, v161, v136
	v_exp_f32_e32 v161, v135
	buffer_gl0_inv
	v_fmac_f32_e32 v137, v164, v130
	v_dual_mul_f32 v129, 0x3fb8aa3b, v129 :: v_dual_cndmask_b32 v130, v150, v166
	s_delay_alu instid0(VALU_DEP_2) | instskip(NEXT) | instid1(VALU_DEP_2)
	v_fmac_f32_e32 v137, v162, v131
	v_exp_f32_e32 v163, v129
	s_delay_alu instid0(VALU_DEP_1) | instskip(NEXT) | instid1(VALU_DEP_1)
	v_fmac_f32_e32 v137, v160, v132
	v_fmac_f32_e32 v137, v161, v133
	v_lshlrev_b32_e32 v133, 6, v148
	s_waitcnt_depctr 0xfff
	v_fmac_f32_e32 v137, v163, v134
	v_lshl_or_b32 v135, v149, 11, v133
	s_delay_alu instid0(VALU_DEP_2) | instskip(NEXT) | instid1(VALU_DEP_1)
	v_add_f32_e32 v134, 0x358637bd, v137
	v_div_scale_f32 v167, null, v134, v134, 1.0
	v_div_scale_f32 v150, vcc_lo, 1.0, v134, 1.0
	s_delay_alu instid0(VALU_DEP_2) | instskip(SKIP_2) | instid1(VALU_DEP_1)
	v_rcp_f32_e32 v168, v167
	s_waitcnt_depctr 0xfff
	v_fma_f32 v129, -v167, v168, 1.0
	v_fmac_f32_e32 v168, v129, v168
	v_cndmask_b32_e64 v129, v130, v165, s4
	v_cmp_eq_u32_e64 s4, 6, v149
	s_delay_alu instid0(VALU_DEP_3) | instskip(NEXT) | instid1(VALU_DEP_3)
	v_mul_f32_e32 v165, v150, v168
	v_cndmask_b32_e64 v130, v129, v164, s5
	v_lshlrev_b32_e32 v129, 2, v146
	s_delay_alu instid0(VALU_DEP_3) | instskip(NEXT) | instid1(VALU_DEP_3)
	v_fma_f32 v131, -v167, v165, v150
	v_cndmask_b32_e64 v162, v130, v162, s6
	s_delay_alu instid0(VALU_DEP_3)
	v_or_b32_e32 v130, 1, v129
	v_or_b32_e32 v132, 2, v129
	v_cmp_eq_u32_e64 s5, 1, v129
	v_fmac_f32_e32 v165, v131, v168
	v_cndmask_b32_e64 v149, v162, v160, s7
	v_or_b32_e32 v131, 3, v129
	v_cmp_eq_u32_e64 s10, 1, v130
	v_cmp_eq_u32_e64 s11, 1, v132
	v_fma_f32 v150, -v167, v165, v150
	v_cndmask_b32_e64 v149, v149, v161, s4
	v_cmp_eq_u32_e64 s12, 1, v131
	v_cmp_eq_u32_e64 s6, 2, v129
	v_cmp_eq_u32_e64 s13, 2, v130
	v_div_fmas_f32 v150, v150, v168, v165
	v_cndmask_b32_e64 v149, v149, v163, s8
	v_cmp_eq_u32_e64 s16, 2, v132
	v_cmp_eq_u32_e64 s17, 2, v131
	v_cmp_eq_u32_e32 vcc_lo, 3, v129
	v_div_fixup_f32 v150, v150, v134, 1.0
	v_lshl_or_b32 v134, v146, 4, v135
	v_cmp_eq_u32_e64 s15, 3, v130
	v_cmp_eq_u32_e64 s19, 3, v131
	;; [unrolled: 1-line block ×3, first 2 shown]
	v_mul_f32_e32 v149, v149, v150
	v_cmp_eq_u32_e64 s18, 3, v132
	v_cmp_eq_u32_e64 s20, 4, v130
	;; [unrolled: 1-line block ×4, first 2 shown]
	v_fma_mixlo_f16 v160, v149, v152, 0
	v_fma_mixlo_f16 v161, v149, v154, 0
	;; [unrolled: 1-line block ×8, first 2 shown]
	v_fma_mixhi_f16 v160, v149, v151, 0
	v_fma_mixhi_f16 v161, v149, v153, 0
	;; [unrolled: 1-line block ×8, first 2 shown]
	ds_store_b128 v134, v[160:163]
	ds_store_b128 v134, v[154:157] offset:1024
	s_waitcnt lgkmcnt(0)
	s_barrier
	buffer_gl0_inv
	ds_load_b128 v[138:141], v135
	ds_load_b128 v[149:152], v135 offset:16
	ds_load_b128 v[153:156], v135 offset:1024
	;; [unrolled: 1-line block ×3, first 2 shown]
	v_cmp_eq_u32_e64 s21, 5, v130
	v_cmp_eq_u32_e64 s22, 4, v132
	;; [unrolled: 1-line block ×12, first 2 shown]
	s_waitcnt lgkmcnt(3)
	v_lshrrev_b32_e32 v142, 16, v138
	s_waitcnt lgkmcnt(2)
	v_lshrrev_b32_e32 v162, 16, v149
	;; [unrolled: 2-line block ×4, first 2 shown]
	v_lshrrev_b32_e32 v143, 16, v139
	v_cndmask_b32_e64 v174, v138, v142, s5
	v_cndmask_b32_e64 v175, v149, v162, s5
	;; [unrolled: 1-line block ×7, first 2 shown]
	v_lshrrev_b32_e32 v163, 16, v150
	v_cndmask_b32_e64 v179, v149, v162, s11
	v_cndmask_b32_e64 v149, v153, v166, s5
	;; [unrolled: 1-line block ×16, first 2 shown]
	v_lshrrev_b32_e32 v167, 16, v154
	v_lshrrev_b32_e32 v171, 16, v158
	v_cndmask_b32_e64 v177, v179, v150, s16
	v_cndmask_b32_e64 v142, v149, v154, s6
	;; [unrolled: 1-line block ×7, first 2 shown]
	v_cndmask_b32_e32 v157, v166, v143, vcc_lo
	v_cndmask_b32_e32 v166, v170, v163, vcc_lo
	v_cndmask_b32_e64 v170, v174, v143, s15
	v_cndmask_b32_e64 v174, v175, v163, s15
	;; [unrolled: 1-line block ×4, first 2 shown]
	v_lshrrev_b32_e32 v144, 16, v140
	v_lshrrev_b32_e32 v164, 16, v151
	v_cndmask_b32_e64 v175, v176, v143, s18
	v_cndmask_b32_e64 v176, v177, v163, s18
	v_cndmask_b32_e32 v142, v142, v167, vcc_lo
	v_cndmask_b32_e32 v143, v149, v171, vcc_lo
	v_cndmask_b32_e64 v149, v150, v167, s15
	v_cndmask_b32_e64 v150, v157, v140, s4
	;; [unrolled: 1-line block ×7, first 2 shown]
	v_lshrrev_b32_e32 v168, 16, v155
	v_cndmask_b32_e64 v170, v175, v140, s22
	v_cndmask_b32_e64 v174, v176, v151, s22
	;; [unrolled: 1-line block ×11, first 2 shown]
	v_lshrrev_b32_e32 v161, 16, v141
	v_lshrrev_b32_e32 v165, 16, v152
	v_cndmask_b32_e64 v163, v170, v144, s24
	v_cndmask_b32_e64 v166, v174, v164, s24
	;; [unrolled: 1-line block ×9, first 2 shown]
	v_lshrrev_b32_e32 v169, 16, v156
	v_cndmask_b32_e64 v140, v140, v168, s7
	v_cndmask_b32_e64 v157, v163, v141, s27
	;; [unrolled: 1-line block ×14, first 2 shown]
	v_perm_b32 v141, v139, v138, 0x5040100
	v_perm_b32 v139, v151, v149, 0x5040100
	v_cndmask_b32_e64 v138, v183, v158, s16
	v_cndmask_b32_e64 v149, v181, v158, s13
	;; [unrolled: 1-line block ×3, first 2 shown]
	v_perm_b32 v140, v152, v150, 0x5040100
	v_cndmask_b32_e64 v150, v162, v167, s18
	v_cndmask_b32_e64 v151, v153, v167, s19
	;; [unrolled: 1-line block ×5, first 2 shown]
	v_lshrrev_b32_e32 v172, 16, v159
	v_cndmask_b32_e64 v150, v150, v155, s22
	v_cndmask_b32_e64 v151, v151, v155, s23
	;; [unrolled: 1-line block ×11, first 2 shown]
	v_lshrrev_b32_e32 v173, 16, v160
	v_cndmask_b32_e64 v142, v142, v160, s8
	v_cndmask_b32_e64 v150, v150, v156, s27
	;; [unrolled: 1-line block ×12, first 2 shown]
	v_perm_b32 v138, v144, v143, 0x5040100
	v_perm_b32 v152, v152, v151, 0x5040100
	;; [unrolled: 1-line block ×5, first 2 shown]
	s_mul_i32 s8, s35, 13
	s_mov_b32 s4, exec_lo
	ds_store_b128 v134, v[138:141]
	ds_store_b128 v134, v[149:152] offset:1024
	v_cmpx_gt_u32_e32 13, v0
	s_cbranch_execz .LBB50_14
; %bb.13:
	s_mul_i32 s5, s8, s34
	s_load_b128 s[16:19], s[0:1], 0x58
	v_add3_u32 v140, s5, s33, v148
	s_delay_alu instid0(VALU_DEP_1) | instskip(NEXT) | instid1(VALU_DEP_1)
	v_mad_u64_u32 v[138:139], null, v140, s36, s[14:15]
	v_ashrrev_i32_e32 v139, 31, v138
	s_delay_alu instid0(VALU_DEP_1) | instskip(SKIP_1) | instid1(VALU_DEP_1)
	v_lshlrev_b64 v[138:139], 2, v[138:139]
	s_waitcnt lgkmcnt(0)
	v_add_co_u32 v140, vcc_lo, s18, v138
	s_delay_alu instid0(VALU_DEP_2)
	v_add_co_ci_u32_e32 v141, vcc_lo, s19, v139, vcc_lo
	v_add_co_u32 v138, vcc_lo, s16, v138
	v_add_co_ci_u32_e32 v139, vcc_lo, s17, v139, vcc_lo
	global_store_b32 v[140:141], v136, off
	global_store_b32 v[138:139], v137, off
.LBB50_14:
	s_or_b32 exec_lo, exec_lo, s4
	s_waitcnt lgkmcnt(0)
	s_waitcnt_vscnt null, 0x0
	s_barrier
	buffer_gl0_inv
	ds_load_b128 v[148:151], v133
	ds_load_b128 v[152:155], v133 offset:16
	ds_load_b128 v[160:163], v133 offset:1040
	;; [unrolled: 1-line block ×5, first 2 shown]
	v_cmp_eq_u32_e32 vcc_lo, 1, v132
	v_mov_b32_e32 v136, 0
	ds_load_b128 v[176:179], v133 offset:3088
	ds_load_b128 v[172:175], v133 offset:3072
	;; [unrolled: 1-line block ×4, first 2 shown]
	v_cmp_eq_u32_e64 s4, 1, v129
	v_cmp_eq_u32_e64 s5, 1, v131
	;; [unrolled: 1-line block ×3, first 2 shown]
	v_mov_b32_e32 v137, v136
	v_mov_b32_e32 v138, v136
	;; [unrolled: 1-line block ×7, first 2 shown]
	v_cmp_eq_u32_e64 s7, 2, v129
	s_waitcnt lgkmcnt(8)
	s_delay_alu instid0(VALU_DEP_2)
	v_wmma_f32_16x16x16_f16 v[136:143], v[121:128], v[148:155], v[136:143]
	ds_load_b128 v[125:128], v133 offset:5136
	ds_load_b128 v[121:124], v133 offset:5120
	s_waitcnt lgkmcnt(8)
	v_wmma_f32_16x16x16_f16 v[136:143], v[113:120], v[156:163], v[136:143]
	ds_load_b128 v[117:120], v133 offset:6160
	ds_load_b128 v[113:116], v133 offset:6144
	s_waitcnt lgkmcnt(8)
	;; [unrolled: 4-line block ×11, first 2 shown]
	s_barrier
	buffer_gl0_inv
	v_wmma_f32_16x16x16_f16 v[136:143], v[1:8], v[73:80], v[136:143]
	s_delay_alu instid0(VALU_DEP_1) | instskip(NEXT) | instid1(VALU_DEP_1)
	v_wmma_f32_16x16x16_f16 v[136:143], v[9:16], v[65:72], v[136:143]
	v_wmma_f32_16x16x16_f16 v[136:143], v[33:40], v[57:64], v[136:143]
	s_delay_alu instid0(VALU_DEP_1) | instskip(NEXT) | instid1(VALU_DEP_1)
	v_wmma_f32_16x16x16_f16 v[136:143], v[41:48], v[49:56], v[136:143]
	v_wmma_f32_16x16x16_f16 v[136:143], v[17:24], v[25:32], v[136:143]
	s_delay_alu instid0(VALU_DEP_1) | instskip(NEXT) | instid1(VALU_DEP_2)
	v_cvt_f16_f32_e64 v1, v136
	v_cvt_f16_f32_e64 v2, v137
	s_delay_alu instid0(VALU_DEP_3) | instskip(NEXT) | instid1(VALU_DEP_4)
	v_cvt_f16_f32_e64 v3, v138
	v_cvt_f16_f32_e64 v4, v139
	;; [unrolled: 1-line block ×6, first 2 shown]
	v_pack_b32_f16 v1, v1, v2
	v_pack_b32_f16 v2, v3, v4
	;; [unrolled: 1-line block ×3, first 2 shown]
	s_delay_alu instid0(VALU_DEP_4)
	v_pack_b32_f16 v4, v7, v8
	ds_store_b128 v134, v[1:4]
	s_waitcnt lgkmcnt(0)
	s_barrier
	buffer_gl0_inv
	ds_load_b128 v[1:4], v135
	ds_load_b128 v[5:8], v135 offset:16
	s_waitcnt lgkmcnt(1)
	v_lshrrev_b32_e32 v9, 16, v1
	s_waitcnt lgkmcnt(0)
	v_lshrrev_b32_e32 v13, 16, v5
	v_lshrrev_b32_e32 v10, 16, v2
	;; [unrolled: 1-line block ×4, first 2 shown]
	v_cndmask_b32_e64 v17, v1, v9, s4
	v_cndmask_b32_e64 v18, v5, v13, s4
	;; [unrolled: 1-line block ×3, first 2 shown]
	v_cmp_eq_u32_e64 s4, 2, v130
	v_cndmask_b32_e64 v20, v5, v13, s6
	v_cndmask_b32_e32 v21, v1, v9, vcc_lo
	v_cndmask_b32_e32 v22, v5, v13, vcc_lo
	v_cndmask_b32_e64 v1, v1, v9, s5
	v_cndmask_b32_e64 v5, v5, v13, s5
	v_cmp_eq_u32_e32 vcc_lo, 2, v132
	v_cmp_eq_u32_e64 s5, 2, v131
	v_cndmask_b32_e64 v9, v17, v2, s7
	v_cndmask_b32_e64 v13, v18, v6, s7
	;; [unrolled: 1-line block ×4, first 2 shown]
	v_cndmask_b32_e32 v19, v21, v2, vcc_lo
	v_cmp_eq_u32_e64 s4, 3, v132
	v_cndmask_b32_e32 v20, v22, v6, vcc_lo
	v_cndmask_b32_e64 v1, v1, v2, s5
	v_cmp_eq_u32_e32 vcc_lo, 3, v131
	v_cmp_eq_u32_e64 s6, 3, v129
	v_cndmask_b32_e64 v2, v5, v6, s5
	v_cmp_eq_u32_e64 s5, 3, v130
	v_cmp_eq_u32_e64 s7, 4, v129
	v_cndmask_b32_e32 v1, v1, v10, vcc_lo
	v_cndmask_b32_e64 v5, v9, v10, s6
	v_cndmask_b32_e64 v6, v13, v14, s6
	;; [unrolled: 1-line block ×3, first 2 shown]
	v_cmp_eq_u32_e64 s6, 4, v130
	v_cndmask_b32_e64 v13, v18, v14, s5
	v_cndmask_b32_e64 v17, v19, v10, s4
	;; [unrolled: 1-line block ×3, first 2 shown]
	v_cndmask_b32_e32 v2, v2, v14, vcc_lo
	v_cmp_eq_u32_e32 vcc_lo, 4, v132
	v_cmp_eq_u32_e64 s5, 4, v131
	v_lshrrev_b32_e32 v15, 16, v7
	v_cndmask_b32_e64 v5, v5, v3, s7
	v_cndmask_b32_e64 v6, v6, v7, s7
	v_cndmask_b32_e32 v14, v18, v7, vcc_lo
	v_cndmask_b32_e64 v9, v9, v3, s6
	v_cndmask_b32_e64 v10, v13, v7, s6
	v_cndmask_b32_e32 v13, v17, v3, vcc_lo
	v_cmp_eq_u32_e64 s4, 5, v132
	v_cndmask_b32_e64 v1, v1, v3, s5
	v_cmp_eq_u32_e32 vcc_lo, 5, v131
	v_cmp_eq_u32_e64 s6, 5, v129
	v_cndmask_b32_e64 v2, v2, v7, s5
	v_cmp_eq_u32_e64 s5, 5, v130
	v_cmp_eq_u32_e64 s7, 6, v129
	v_lshrrev_b32_e32 v12, 16, v4
	v_cndmask_b32_e64 v3, v5, v11, s6
	v_cndmask_b32_e64 v5, v6, v15, s6
	;; [unrolled: 1-line block ×3, first 2 shown]
	v_cmp_eq_u32_e64 s6, 6, v130
	v_cndmask_b32_e64 v7, v10, v15, s5
	v_cndmask_b32_e64 v9, v13, v11, s4
	;; [unrolled: 1-line block ×3, first 2 shown]
	v_cndmask_b32_e32 v1, v1, v11, vcc_lo
	v_cndmask_b32_e32 v2, v2, v15, vcc_lo
	v_cmp_eq_u32_e32 vcc_lo, 6, v132
	v_cmp_eq_u32_e64 s4, 6, v131
	v_lshrrev_b32_e32 v16, 16, v8
	v_cndmask_b32_e64 v3, v3, v4, s7
	v_cndmask_b32_e64 v5, v5, v8, s7
	v_cndmask_b32_e32 v9, v9, v4, vcc_lo
	v_cndmask_b32_e64 v6, v6, v4, s6
	v_cndmask_b32_e64 v7, v7, v8, s6
	v_cmp_eq_u32_e64 s5, 7, v132
	v_cndmask_b32_e32 v10, v10, v8, vcc_lo
	v_cndmask_b32_e64 v1, v1, v4, s4
	v_cmp_eq_u32_e32 vcc_lo, 7, v131
	v_cndmask_b32_e64 v2, v2, v8, s4
	v_cmp_eq_u32_e64 s4, 7, v129
	v_cmp_eq_u32_e64 s6, 7, v130
	v_cndmask_b32_e32 v1, v1, v12, vcc_lo
	s_delay_alu instid0(VALU_DEP_4) | instskip(NEXT) | instid1(VALU_DEP_4)
	v_cndmask_b32_e32 v2, v2, v16, vcc_lo
	v_cndmask_b32_e64 v8, v3, v12, s4
	s_delay_alu instid0(VALU_DEP_4)
	v_cndmask_b32_e64 v6, v6, v12, s6
	v_cndmask_b32_e64 v3, v9, v12, s5
	;; [unrolled: 1-line block ×5, first 2 shown]
	v_cmp_gt_u32_e32 vcc_lo, 32, v0
	v_perm_b32 v4, v2, v1, 0x5040100
	v_perm_b32 v3, v9, v3, 0x5040100
	v_perm_b32 v2, v7, v6, 0x5040100
	v_perm_b32 v1, v5, v8, 0x5040100
	s_and_b32 s2, vcc_lo, s2
	ds_store_b128 v134, v[1:4]
	s_waitcnt lgkmcnt(0)
	s_barrier
	buffer_gl0_inv
	s_and_saveexec_b32 s4, s2
	s_cbranch_execz .LBB50_2
; %bb.15:
	s_load_b64 s[4:5], s[0:1], 0x68
	v_lshlrev_b32_e32 v0, 10, v0
	v_lshlrev_b32_e32 v1, 4, v147
	s_lshl_b32 s0, s36, 6
	v_add_nc_u32_e32 v18, s33, v146
	s_mul_i32 s1, s0, s34
	s_delay_alu instid0(VALU_DEP_2) | instskip(SKIP_1) | instid1(VALU_DEP_2)
	v_and_or_b32 v0, 0x3800, v0, v1
	s_mul_i32 s6, s1, s8
	v_mul_lo_u32 v1, v18, s0
	s_ashr_i32 s7, s6, 31
	v_add_nc_u32_e32 v2, 2, v18
	v_lshl_or_b32 v19, v146, 6, v0
	s_lshl_b64 s[6:7], s[6:7], 1
	v_add_nc_u32_e32 v8, 4, v18
	v_add_nc_u32_e32 v15, 6, v18
	v_mul_lo_u32 v7, v2, s0
	ds_load_b128 v[3:6], v19
	v_ashrrev_i32_e32 v2, 31, v1
	v_mul_lo_u32 v11, v8, s0
	s_waitcnt lgkmcnt(0)
	s_add_u32 s1, s4, s6
	s_addc_u32 s2, s5, s7
	s_lshl_b32 s4, s14, 6
	v_lshlrev_b64 v[9:10], 1, v[1:2]
	s_ashr_i32 s5, s4, 31
	v_ashrrev_i32_e32 v8, 31, v7
	s_lshl_b64 s[4:5], s[4:5], 1
	v_ashrrev_i32_e32 v12, 31, v11
	s_add_u32 s1, s1, s4
	s_addc_u32 s2, s2, s5
	v_add_co_u32 v1, s1, s1, v145
	s_delay_alu instid0(VALU_DEP_1) | instskip(SKIP_1) | instid1(VALU_DEP_3)
	v_add_co_ci_u32_e64 v2, null, s2, 0, s1
	v_mul_lo_u32 v15, v15, s0
	v_add_co_u32 v13, vcc_lo, v1, v9
	s_delay_alu instid0(VALU_DEP_3)
	v_add_co_ci_u32_e32 v14, vcc_lo, v2, v10, vcc_lo
	v_lshlrev_b64 v[16:17], 1, v[7:8]
	ds_load_b128 v[7:10], v19 offset:128
	global_store_b128 v[13:14], v[3:6], off
	v_add_nc_u32_e32 v5, 8, v18
	v_lshlrev_b64 v[3:4], 1, v[11:12]
	v_add_co_u32 v23, vcc_lo, v1, v16
	v_ashrrev_i32_e32 v16, 31, v15
	s_delay_alu instid0(VALU_DEP_4) | instskip(SKIP_3) | instid1(VALU_DEP_3)
	v_mul_lo_u32 v25, v5, s0
	v_add_nc_u32_e32 v5, 10, v18
	v_add_co_ci_u32_e32 v24, vcc_lo, v2, v17, vcc_lo
	v_add_co_u32 v27, vcc_lo, v1, v3
	v_mul_lo_u32 v29, v5, s0
	v_add_co_ci_u32_e32 v28, vcc_lo, v2, v4, vcc_lo
	v_lshlrev_b64 v[31:32], 1, v[15:16]
	ds_load_b128 v[3:6], v19 offset:256
	ds_load_b128 v[11:14], v19 offset:384
	;; [unrolled: 1-line block ×4, first 2 shown]
	v_ashrrev_i32_e32 v26, 31, v25
	v_ashrrev_i32_e32 v30, 31, v29
	v_add_co_u32 v31, vcc_lo, v1, v31
	s_delay_alu instid0(VALU_DEP_3) | instskip(SKIP_1) | instid1(VALU_DEP_4)
	v_lshlrev_b64 v[25:26], 1, v[25:26]
	v_add_co_ci_u32_e32 v32, vcc_lo, v2, v32, vcc_lo
	v_lshlrev_b64 v[29:30], 1, v[29:30]
	s_delay_alu instid0(VALU_DEP_3) | instskip(NEXT) | instid1(VALU_DEP_4)
	v_add_co_u32 v25, vcc_lo, v1, v25
	v_add_co_ci_u32_e32 v26, vcc_lo, v2, v26, vcc_lo
	s_delay_alu instid0(VALU_DEP_3) | instskip(NEXT) | instid1(VALU_DEP_4)
	v_add_co_u32 v29, vcc_lo, v1, v29
	v_add_co_ci_u32_e32 v30, vcc_lo, v2, v30, vcc_lo
	s_waitcnt lgkmcnt(4)
	global_store_b128 v[23:24], v[7:10], off
	s_waitcnt lgkmcnt(3)
	global_store_b128 v[27:28], v[3:6], off
	;; [unrolled: 2-line block ×5, first 2 shown]
	s_and_b32 exec_lo, exec_lo, s3
	s_cbranch_execz .LBB50_2
; %bb.16:
	ds_load_b128 v[3:6], v0 offset:768
	s_add_i32 s1, s33, 12
	s_delay_alu instid0(SALU_CYCLE_1) | instskip(NEXT) | instid1(SALU_CYCLE_1)
	s_mul_i32 s0, s1, s0
	s_ashr_i32 s1, s0, 31
	s_delay_alu instid0(SALU_CYCLE_1) | instskip(NEXT) | instid1(SALU_CYCLE_1)
	s_lshl_b64 s[0:1], s[0:1], 1
	v_add_co_u32 v0, vcc_lo, v1, s0
	v_add_co_ci_u32_e32 v1, vcc_lo, s1, v2, vcc_lo
	s_waitcnt lgkmcnt(0)
	global_store_b128 v[0:1], v[3:6], off
	s_nop 0
	s_sendmsg sendmsg(MSG_DEALLOC_VGPRS)
	s_endpgm
	.section	.rodata,"a",@progbits
	.p2align	6, 0x0
	.amdhsa_kernel _Z39paged_attention_ll4mi_QKV_mfma16_kernelIDF16_DF16_LN4vllm18Fp8KVCacheDataTypeE0EhLi16ELi64ELi256ELb0ELi13EL8MFMAType0EEvPKT_PKT0_S8_ifPKiSA_SA_iPKfiiiPfSD_PS3_PT2_iSC_SC_
		.amdhsa_group_segment_fixed_size 17472
		.amdhsa_private_segment_fixed_size 0
		.amdhsa_kernarg_size 400
		.amdhsa_user_sgpr_count 13
		.amdhsa_user_sgpr_dispatch_ptr 0
		.amdhsa_user_sgpr_queue_ptr 0
		.amdhsa_user_sgpr_kernarg_segment_ptr 1
		.amdhsa_user_sgpr_dispatch_id 0
		.amdhsa_user_sgpr_private_segment_size 0
		.amdhsa_wavefront_size32 1
		.amdhsa_uses_dynamic_stack 0
		.amdhsa_enable_private_segment 0
		.amdhsa_system_sgpr_workgroup_id_x 1
		.amdhsa_system_sgpr_workgroup_id_y 1
		.amdhsa_system_sgpr_workgroup_id_z 1
		.amdhsa_system_sgpr_workgroup_info 0
		.amdhsa_system_vgpr_workitem_id 0
		.amdhsa_next_free_vgpr 198
		.amdhsa_next_free_sgpr 52
		.amdhsa_reserve_vcc 1
		.amdhsa_float_round_mode_32 0
		.amdhsa_float_round_mode_16_64 0
		.amdhsa_float_denorm_mode_32 3
		.amdhsa_float_denorm_mode_16_64 3
		.amdhsa_dx10_clamp 1
		.amdhsa_ieee_mode 1
		.amdhsa_fp16_overflow 0
		.amdhsa_workgroup_processor_mode 1
		.amdhsa_memory_ordered 1
		.amdhsa_forward_progress 0
		.amdhsa_shared_vgpr_count 0
		.amdhsa_exception_fp_ieee_invalid_op 0
		.amdhsa_exception_fp_denorm_src 0
		.amdhsa_exception_fp_ieee_div_zero 0
		.amdhsa_exception_fp_ieee_overflow 0
		.amdhsa_exception_fp_ieee_underflow 0
		.amdhsa_exception_fp_ieee_inexact 0
		.amdhsa_exception_int_div_zero 0
	.end_amdhsa_kernel
	.section	.text._Z39paged_attention_ll4mi_QKV_mfma16_kernelIDF16_DF16_LN4vllm18Fp8KVCacheDataTypeE0EhLi16ELi64ELi256ELb0ELi13EL8MFMAType0EEvPKT_PKT0_S8_ifPKiSA_SA_iPKfiiiPfSD_PS3_PT2_iSC_SC_,"axG",@progbits,_Z39paged_attention_ll4mi_QKV_mfma16_kernelIDF16_DF16_LN4vllm18Fp8KVCacheDataTypeE0EhLi16ELi64ELi256ELb0ELi13EL8MFMAType0EEvPKT_PKT0_S8_ifPKiSA_SA_iPKfiiiPfSD_PS3_PT2_iSC_SC_,comdat
.Lfunc_end50:
	.size	_Z39paged_attention_ll4mi_QKV_mfma16_kernelIDF16_DF16_LN4vllm18Fp8KVCacheDataTypeE0EhLi16ELi64ELi256ELb0ELi13EL8MFMAType0EEvPKT_PKT0_S8_ifPKiSA_SA_iPKfiiiPfSD_PS3_PT2_iSC_SC_, .Lfunc_end50-_Z39paged_attention_ll4mi_QKV_mfma16_kernelIDF16_DF16_LN4vllm18Fp8KVCacheDataTypeE0EhLi16ELi64ELi256ELb0ELi13EL8MFMAType0EEvPKT_PKT0_S8_ifPKiSA_SA_iPKfiiiPfSD_PS3_PT2_iSC_SC_
                                        ; -- End function
	.section	.AMDGPU.csdata,"",@progbits
; Kernel info:
; codeLenInByte = 8068
; NumSgprs: 54
; NumVgprs: 198
; ScratchSize: 0
; MemoryBound: 0
; FloatMode: 240
; IeeeMode: 1
; LDSByteSize: 17472 bytes/workgroup (compile time only)
; SGPRBlocks: 6
; VGPRBlocks: 24
; NumSGPRsForWavesPerEU: 54
; NumVGPRsForWavesPerEU: 198
; Occupancy: 7
; WaveLimiterHint : 1
; COMPUTE_PGM_RSRC2:SCRATCH_EN: 0
; COMPUTE_PGM_RSRC2:USER_SGPR: 13
; COMPUTE_PGM_RSRC2:TRAP_HANDLER: 0
; COMPUTE_PGM_RSRC2:TGID_X_EN: 1
; COMPUTE_PGM_RSRC2:TGID_Y_EN: 1
; COMPUTE_PGM_RSRC2:TGID_Z_EN: 1
; COMPUTE_PGM_RSRC2:TIDIG_COMP_CNT: 0
	.section	.text._Z39paged_attention_ll4mi_QKV_mfma16_kernelIDF16_DF16_LN4vllm18Fp8KVCacheDataTypeE0EhLi16ELi64ELi256ELb0ELi14EL8MFMAType0EEvPKT_PKT0_S8_ifPKiSA_SA_iPKfiiiPfSD_PS3_PT2_iSC_SC_,"axG",@progbits,_Z39paged_attention_ll4mi_QKV_mfma16_kernelIDF16_DF16_LN4vllm18Fp8KVCacheDataTypeE0EhLi16ELi64ELi256ELb0ELi14EL8MFMAType0EEvPKT_PKT0_S8_ifPKiSA_SA_iPKfiiiPfSD_PS3_PT2_iSC_SC_,comdat
	.protected	_Z39paged_attention_ll4mi_QKV_mfma16_kernelIDF16_DF16_LN4vllm18Fp8KVCacheDataTypeE0EhLi16ELi64ELi256ELb0ELi14EL8MFMAType0EEvPKT_PKT0_S8_ifPKiSA_SA_iPKfiiiPfSD_PS3_PT2_iSC_SC_ ; -- Begin function _Z39paged_attention_ll4mi_QKV_mfma16_kernelIDF16_DF16_LN4vllm18Fp8KVCacheDataTypeE0EhLi16ELi64ELi256ELb0ELi14EL8MFMAType0EEvPKT_PKT0_S8_ifPKiSA_SA_iPKfiiiPfSD_PS3_PT2_iSC_SC_
	.globl	_Z39paged_attention_ll4mi_QKV_mfma16_kernelIDF16_DF16_LN4vllm18Fp8KVCacheDataTypeE0EhLi16ELi64ELi256ELb0ELi14EL8MFMAType0EEvPKT_PKT0_S8_ifPKiSA_SA_iPKfiiiPfSD_PS3_PT2_iSC_SC_
	.p2align	8
	.type	_Z39paged_attention_ll4mi_QKV_mfma16_kernelIDF16_DF16_LN4vllm18Fp8KVCacheDataTypeE0EhLi16ELi64ELi256ELb0ELi14EL8MFMAType0EEvPKT_PKT0_S8_ifPKiSA_SA_iPKfiiiPfSD_PS3_PT2_iSC_SC_,@function
_Z39paged_attention_ll4mi_QKV_mfma16_kernelIDF16_DF16_LN4vllm18Fp8KVCacheDataTypeE0EhLi16ELi64ELi256ELb0ELi14EL8MFMAType0EEvPKT_PKT0_S8_ifPKiSA_SA_iPKfiiiPfSD_PS3_PT2_iSC_SC_: ; @_Z39paged_attention_ll4mi_QKV_mfma16_kernelIDF16_DF16_LN4vllm18Fp8KVCacheDataTypeE0EhLi16ELi64ELi256ELb0ELi14EL8MFMAType0EEvPKT_PKT0_S8_ifPKiSA_SA_iPKfiiiPfSD_PS3_PT2_iSC_SC_
; %bb.0:
	s_load_b64 s[2:3], s[0:1], 0x30
	s_mov_b32 s34, s13
	s_waitcnt lgkmcnt(0)
	s_cmp_lg_u64 s[2:3], 0
	s_cselect_b32 s6, -1, 0
	s_ashr_i32 s35, s13, 31
	s_cmp_eq_u64 s[2:3], 0
	s_cbranch_scc1 .LBB51_3
; %bb.1:
	s_lshl_b64 s[4:5], s[34:35], 2
	s_delay_alu instid0(SALU_CYCLE_1) | instskip(SKIP_4) | instid1(SALU_CYCLE_1)
	s_add_u32 s4, s2, s4
	s_addc_u32 s5, s3, s5
	s_load_b64 s[4:5], s[4:5], 0x0
	s_waitcnt lgkmcnt(0)
	s_sub_i32 s4, s5, s4
	s_cmp_eq_u32 s4, 1
	s_cselect_b32 s4, -1, 0
	s_delay_alu instid0(SALU_CYCLE_1)
	s_and_not1_b32 vcc_lo, exec_lo, s4
	s_cbranch_vccz .LBB51_4
.LBB51_2:
	s_endpgm
.LBB51_3:
.LBB51_4:
	s_load_b64 s[8:9], s[0:1], 0x28
	s_lshl_b64 s[4:5], s[34:35], 2
	s_waitcnt lgkmcnt(0)
	s_add_u32 s8, s8, s4
	s_addc_u32 s9, s9, s5
	s_lshl_b32 s35, s14, 8
	s_load_b32 s30, s[8:9], 0x0
	s_waitcnt lgkmcnt(0)
	s_cmp_ge_i32 s35, s30
	s_cbranch_scc1 .LBB51_2
; %bb.5:
	s_clause 0x1
	s_load_b128 s[8:11], s[0:1], 0x8
	s_load_b64 s[12:13], s[0:1], 0x20
	s_and_not1_b32 vcc_lo, exec_lo, s6
	s_cbranch_vccnz .LBB51_7
; %bb.6:
	s_add_u32 s2, s2, s4
	s_addc_u32 s3, s3, s5
	s_load_b32 s3, s[2:3], 0x0
	s_branch .LBB51_8
.LBB51_7:
	s_mov_b32 s3, s34
.LBB51_8:
	s_load_b128 s[4:7], s[0:1], 0x48
	v_and_b32_e32 v148, 15, v0
	v_cmp_gt_u32_e32 vcc_lo, 0xe0, v0
	v_lshrrev_b32_e32 v149, 5, v0
	v_and_b32_e32 v150, 31, v0
	v_and_b32_e32 v147, 1, v0
	v_lshlrev_b32_e32 v1, 3, v148
	v_cmp_gt_u32_e64 s2, 8, v148
	v_bfe_u32 v146, v0, 4, 1
	s_mul_i32 s31, s15, 14
	s_delay_alu instid0(VALU_DEP_3) | instskip(NEXT) | instid1(VALU_DEP_3)
	v_lshlrev_b32_e32 v145, 1, v1
	s_and_b32 s16, vcc_lo, s2
	s_waitcnt lgkmcnt(0)
	s_and_saveexec_b32 s7, s16
	s_cbranch_execz .LBB51_10
; %bb.9:
	s_load_b64 s[16:17], s[0:1], 0x0
	v_lshl_or_b32 v5, v149, 1, v146
	s_mul_hi_i32 s19, s3, s4
	s_mul_i32 s18, s3, s4
	v_lshlrev_b32_e32 v6, 10, v148
	s_lshl_b64 s[18:19], s[18:19], 1
	v_add_lshl_u32 v1, v5, s31, 6
	v_lshlrev_b32_e32 v5, 6, v5
	v_lshlrev_b32_e32 v7, 10, v147
	v_and_b32_e32 v6, 0x3800, v6
	s_delay_alu instid0(VALU_DEP_4) | instskip(NEXT) | instid1(VALU_DEP_2)
	v_ashrrev_i32_e32 v2, 31, v1
	v_or3_b32 v5, v6, v7, v5
	s_delay_alu instid0(VALU_DEP_2) | instskip(SKIP_3) | instid1(VALU_DEP_1)
	v_lshlrev_b64 v[1:2], 1, v[1:2]
	s_waitcnt lgkmcnt(0)
	s_add_u32 s3, s16, s18
	s_addc_u32 s4, s17, s19
	v_add_co_u32 v1, vcc_lo, s3, v1
	s_delay_alu instid0(VALU_DEP_2) | instskip(NEXT) | instid1(VALU_DEP_2)
	v_add_co_ci_u32_e32 v2, vcc_lo, s4, v2, vcc_lo
	v_add_co_u32 v1, vcc_lo, v1, v145
	s_delay_alu instid0(VALU_DEP_2)
	v_add_co_ci_u32_e32 v2, vcc_lo, 0, v2, vcc_lo
	global_load_b128 v[1:4], v[1:2], off
	s_waitcnt vmcnt(0)
	ds_store_b128 v5, v[1:4]
.LBB51_10:
	s_or_b32 exec_lo, exec_lo, s7
	s_mov_b32 s40, 0
	s_add_i32 s3, s30, 15
	s_mov_b32 s41, s40
	s_mov_b32 s42, s40
	;; [unrolled: 1-line block ×7, first 2 shown]
	s_delay_alu instid0(SALU_CYCLE_1)
	v_dual_mov_b32 v144, s47 :: v_dual_and_b32 v1, 0xef, v0
	v_mov_b32_e32 v142, s45
	s_ashr_i32 s7, s3, 31
	s_clause 0x1
	s_load_b32 s4, s[0:1], 0x38
	s_load_b32 s33, s[0:1], 0x98
	v_add_nc_u32_e32 v1, s35, v1
	s_lshr_b32 s7, s7, 28
	s_load_b32 s36, s[0:1], 0x1c
	s_add_i32 s3, s3, s7
	s_waitcnt lgkmcnt(0)
	v_ashrrev_i32_e32 v2, 31, v1
	v_or_b32_e32 v3, 16, v1
	s_ashr_i32 s3, s3, 4
	v_cmp_gt_i32_e32 vcc_lo, s30, v1
	s_add_i32 s3, s3, -1
	v_lshrrev_b32_e32 v2, 28, v2
	v_mov_b32_e32 v143, s46
	s_barrier
	buffer_gl0_inv
	s_mul_i32 s6, s15, s6
	v_dual_mov_b32 v141, s44 :: v_dual_add_nc_u32 v4, v1, v2
	v_mov_b32_e32 v139, s42
	s_mul_i32 s16, s34, s4
	v_mov_b32_e32 v137, s40
	s_delay_alu instid0(VALU_DEP_3)
	v_ashrrev_i32_e32 v4, 4, v4
	v_add_nc_u32_e32 v2, v3, v2
	s_ashr_i32 s17, s16, 31
	v_mov_b32_e32 v140, s43
	s_lshl_b64 s[16:17], s[16:17], 2
	v_cndmask_b32_e32 v1, s3, v4, vcc_lo
	v_ashrrev_i32_e32 v2, 4, v2
	v_cmp_gt_i32_e32 vcc_lo, s30, v3
	s_add_u32 s4, s12, s16
	s_addc_u32 s37, s13, s17
	s_ashr_i32 s7, s6, 31
	v_mov_b32_e32 v138, s41
	v_cndmask_b32_e32 v3, s3, v2, vcc_lo
	v_ashrrev_i32_e32 v2, 31, v1
	s_lshl_b64 s[6:7], s[6:7], 1
	s_delay_alu instid0(SALU_CYCLE_1) | instskip(NEXT) | instid1(VALU_DEP_2)
	s_add_u32 s24, s8, s6
	v_ashrrev_i32_e32 v4, 31, v3
	s_delay_alu instid0(VALU_DEP_2) | instskip(SKIP_2) | instid1(VALU_DEP_2)
	v_lshlrev_b64 v[1:2], 2, v[1:2]
	s_addc_u32 s25, s9, s7
	s_lshl_b32 s8, s14, 4
	v_lshlrev_b64 v[3:4], 2, v[3:4]
	s_ashr_i32 s9, s8, 31
	s_delay_alu instid0(VALU_DEP_2) | instskip(SKIP_1) | instid1(VALU_DEP_3)
	v_add_co_u32 v1, vcc_lo, s4, v1
	v_add_co_ci_u32_e32 v2, vcc_lo, s37, v2, vcc_lo
	v_add_co_u32 v3, vcc_lo, s4, v3
	s_delay_alu instid0(VALU_DEP_4)
	v_add_co_ci_u32_e32 v4, vcc_lo, s37, v4, vcc_lo
	s_clause 0x1
	global_load_b32 v5, v[1:2], off
	global_load_b32 v6, v[3:4], off
	s_lshl_b64 s[8:9], s[8:9], 2
	v_lshlrev_b32_e32 v3, 4, v0
	s_add_u32 s8, s4, s8
	s_addc_u32 s9, s37, s9
	s_or_b32 s12, s35, 16
	s_delay_alu instid0(SALU_CYCLE_1) | instskip(SKIP_2) | instid1(SALU_CYCLE_1)
	s_ashr_i32 s13, s12, 4
	s_cmp_lt_i32 s12, s30
	s_cselect_b32 s12, s13, s3
	s_ashr_i32 s13, s12, 31
	s_delay_alu instid0(SALU_CYCLE_1) | instskip(NEXT) | instid1(SALU_CYCLE_1)
	s_lshl_b64 s[12:13], s[12:13], 2
	s_add_u32 s12, s4, s12
	s_addc_u32 s13, s37, s13
	s_or_b32 s15, s35, 32
	s_delay_alu instid0(SALU_CYCLE_1) | instskip(SKIP_2) | instid1(SALU_CYCLE_1)
	s_ashr_i32 s16, s15, 4
	s_cmp_lt_i32 s15, s30
	s_cselect_b32 s16, s16, s3
	s_ashr_i32 s17, s16, 31
	s_delay_alu instid0(SALU_CYCLE_1) | instskip(NEXT) | instid1(SALU_CYCLE_1)
	s_lshl_b64 s[16:17], s[16:17], 2
	;; [unrolled: 10-line block ×5, first 2 shown]
	s_add_u32 s22, s4, s22
	s_addc_u32 s23, s37, s23
	s_clause 0x5
	s_load_b32 s8, s[8:9], 0x0
	s_load_b32 s12, s[12:13], 0x0
	;; [unrolled: 1-line block ×6, first 2 shown]
	s_waitcnt lgkmcnt(0)
	s_mul_hi_i32 s17, s16, s5
	s_mul_i32 s16, s16, s5
	s_waitcnt vmcnt(1)
	v_mad_i64_i32 v[1:2], null, v5, s5, 0
	v_and_b32_e32 v5, 0xf0, v3
	s_waitcnt vmcnt(0)
	v_mad_i64_i32 v[3:4], null, v6, s5, 0
	s_delay_alu instid0(VALU_DEP_2) | instskip(NEXT) | instid1(VALU_DEP_4)
	v_add_co_u32 v7, s9, s24, v5
	v_lshlrev_b64 v[1:2], 1, v[1:2]
	v_add_co_ci_u32_e64 v8, null, s25, 0, s9
	s_delay_alu instid0(VALU_DEP_4) | instskip(SKIP_1) | instid1(VALU_DEP_3)
	v_lshlrev_b64 v[5:6], 1, v[3:4]
	s_or_b32 s9, s35, 0x60
	v_add_co_u32 v3, vcc_lo, v7, v1
	s_delay_alu instid0(VALU_DEP_3) | instskip(NEXT) | instid1(VALU_DEP_3)
	v_add_co_ci_u32_e32 v4, vcc_lo, v8, v2, vcc_lo
	v_add_co_u32 v1, vcc_lo, v7, v5
	s_delay_alu instid0(VALU_DEP_4)
	v_add_co_ci_u32_e32 v2, vcc_lo, v8, v6, vcc_lo
	s_clause 0x9
	global_load_b128 v[9:12], v[3:4], off
	global_load_b128 v[13:16], v[3:4], off offset:256
	global_load_b128 v[129:132], v[1:2], off
	global_load_b128 v[133:136], v[1:2], off offset:256
	global_load_b128 v[41:44], v[3:4], off offset:512
	;; [unrolled: 1-line block ×7, first 2 shown]
	v_add_nc_u32_e32 v5, -14, v148
	v_cmp_gt_u32_e32 vcc_lo, 14, v148
	s_clause 0x1
	global_load_b128 v[151:154], v[1:2], off offset:1024
	global_load_b128 v[155:158], v[1:2], off offset:1280
	s_ashr_i32 s13, s9, 4
	s_cmp_lt_i32 s9, s30
	v_lshlrev_b32_e32 v6, 5, v148
	v_cndmask_b32_e32 v5, v5, v148, vcc_lo
	s_cselect_b32 s22, s13, s3
	s_delay_alu instid0(SALU_CYCLE_1) | instskip(NEXT) | instid1(VALU_DEP_2)
	s_ashr_i32 s23, s22, 31
	v_lshl_or_b32 v6, v149, 9, v6
	s_delay_alu instid0(VALU_DEP_2)
	v_lshlrev_b32_e32 v197, 6, v5
	ds_load_b128 v[159:162], v197
	ds_load_b128 v[163:166], v197 offset:1024
	s_clause 0x3
	global_load_b128 v[167:170], v[3:4], off offset:1536
	global_load_b128 v[171:174], v[3:4], off offset:1792
	;; [unrolled: 1-line block ×4, first 2 shown]
	s_lshl_b64 s[22:23], s[22:23], 2
	s_delay_alu instid0(SALU_CYCLE_1)
	s_add_u32 s22, s4, s22
	s_addc_u32 s23, s37, s23
	s_or_b32 s9, s35, 0x70
	s_load_b32 s46, s[22:23], 0x0
	s_ashr_i32 s13, s9, 4
	s_cmp_lt_i32 s9, s30
	s_cselect_b32 s24, s13, s3
	s_delay_alu instid0(SALU_CYCLE_1) | instskip(NEXT) | instid1(SALU_CYCLE_1)
	s_ashr_i32 s25, s24, 31
	s_lshl_b64 s[24:25], s[24:25], 2
	s_delay_alu instid0(SALU_CYCLE_1)
	s_add_u32 s24, s4, s24
	s_addc_u32 s25, s37, s25
	s_or_b32 s9, s35, 0x80
	s_load_b32 s47, s[24:25], 0x0
	s_ashr_i32 s13, s9, 4
	s_cmp_lt_i32 s9, s30
	s_cselect_b32 s26, s13, s3
	s_delay_alu instid0(SALU_CYCLE_1) | instskip(NEXT) | instid1(SALU_CYCLE_1)
	s_ashr_i32 s27, s26, 31
	;; [unrolled: 11-line block ×3, first 2 shown]
	s_lshl_b64 s[28:29], s[28:29], 2
	s_delay_alu instid0(SALU_CYCLE_1) | instskip(SKIP_2) | instid1(SALU_CYCLE_1)
	s_add_u32 s28, s4, s28
	s_addc_u32 s29, s37, s29
	s_or_b32 s9, s35, 0xa0
	s_ashr_i32 s13, s9, 4
	s_cmp_lt_i32 s9, s30
	s_cselect_b32 s38, s13, s3
	s_delay_alu instid0(SALU_CYCLE_1) | instskip(NEXT) | instid1(SALU_CYCLE_1)
	s_ashr_i32 s39, s38, 31
	s_lshl_b64 s[38:39], s[38:39], 2
	s_delay_alu instid0(SALU_CYCLE_1) | instskip(SKIP_2) | instid1(SALU_CYCLE_1)
	s_add_u32 s38, s4, s38
	s_addc_u32 s39, s37, s39
	s_or_b32 s9, s35, 0xb0
	s_ashr_i32 s13, s9, 4
	s_cmp_lt_i32 s9, s30
	s_mul_hi_i32 s9, s8, s5
	s_cselect_b32 s40, s13, s3
	s_mul_i32 s8, s8, s5
	s_ashr_i32 s41, s40, 31
	s_mul_hi_i32 s13, s12, s5
	s_lshl_b64 s[40:41], s[40:41], 2
	s_mul_i32 s12, s12, s5
	s_add_u32 s42, s4, s40
	s_addc_u32 s43, s37, s41
	s_or_b32 s19, s35, 0xc0
	s_delay_alu instid0(SALU_CYCLE_1)
	s_ashr_i32 s21, s19, 4
	s_cmp_lt_i32 s19, s30
	s_mul_hi_i32 s19, s18, s5
	s_cselect_b32 s40, s21, s3
	s_mul_i32 s18, s18, s5
	s_ashr_i32 s41, s40, 31
	s_mul_hi_i32 s21, s20, s5
	s_lshl_b64 s[40:41], s[40:41], 2
	s_mul_i32 s20, s20, s5
	s_add_u32 s44, s4, s40
	s_addc_u32 s45, s37, s41
	s_load_b32 s41, s[28:29], 0x0
	s_or_b32 s40, s35, 0xd0
	s_mul_hi_i32 s23, s15, s5
	s_ashr_i32 s22, s40, 4
	s_cmp_lt_i32 s40, s30
	s_load_b32 s40, s[38:39], 0x0
	s_cselect_b32 s24, s22, s3
	s_mul_i32 s22, s15, s5
	s_ashr_i32 s25, s24, 31
	s_waitcnt lgkmcnt(0)
	s_mul_hi_i32 s29, s48, s5
	s_lshl_b64 s[24:25], s[24:25], 2
	s_mul_i32 s28, s48, s5
	s_add_u32 s24, s4, s24
	s_addc_u32 s25, s37, s25
	s_or_b32 s49, s35, 0xe0
	s_clause 0x2
	s_load_b32 s39, s[42:43], 0x0
	s_load_b32 s38, s[44:45], 0x0
	;; [unrolled: 1-line block ×3, first 2 shown]
	s_ashr_i32 s50, s49, 4
	s_cmp_lt_i32 s49, s30
	s_mul_hi_i32 s25, s46, s5
	s_cselect_b32 s44, s50, s3
	s_mul_i32 s24, s46, s5
	s_ashr_i32 s45, s44, 31
	s_mul_hi_i32 s27, s47, s5
	s_lshl_b64 s[44:45], s[44:45], 2
	s_mul_i32 s26, s47, s5
	s_add_u32 s44, s4, s44
	s_addc_u32 s45, s37, s45
	s_or_b32 s46, s35, 0xf0
	s_mul_hi_i32 s43, s41, s5
	s_ashr_i32 s48, s46, 4
	s_cmp_lt_i32 s46, s30
	s_mul_i32 s42, s41, s5
	s_cselect_b32 s48, s48, s3
	s_mul_hi_i32 s41, s40, s5
	s_ashr_i32 s49, s48, 31
	s_mul_i32 s40, s40, s5
	s_lshl_b64 s[48:49], s[48:49], 2
	s_waitcnt lgkmcnt(0)
	s_mul_hi_i32 s47, s39, s5
	s_add_u32 s48, s4, s48
	s_addc_u32 s49, s37, s49
	s_add_u32 s3, s10, s6
	s_addc_u32 s4, s11, s7
	v_add_co_u32 v195, s3, s3, v6
	s_delay_alu instid0(VALU_DEP_1) | instskip(SKIP_2) | instid1(VALU_DEP_2)
	v_add_co_ci_u32_e64 v196, null, s4, 0, s3
	s_lshl_b64 s[6:7], s[8:9], 1
	s_lshl_b64 s[8:9], s[12:13], 1
	v_add_co_u32 v1, vcc_lo, v195, s6
	s_delay_alu instid0(VALU_DEP_2)
	v_add_co_ci_u32_e32 v2, vcc_lo, s7, v196, vcc_lo
	v_add_co_u32 v3, vcc_lo, v195, s8
	s_lshl_b64 s[10:11], s[16:17], 1
	v_add_co_ci_u32_e32 v4, vcc_lo, s9, v196, vcc_lo
	v_add_co_u32 v5, vcc_lo, v195, s10
	s_lshl_b64 s[12:13], s[18:19], 1
	;; [unrolled: 3-line block ×9, first 2 shown]
	s_mul_i32 s46, s39, s5
	v_add_co_ci_u32_e32 v54, vcc_lo, s27, v196, vcc_lo
	v_add_co_u32 v183, vcc_lo, v195, s28
	s_lshl_b64 s[40:41], s[46:47], 1
	s_mul_hi_i32 s39, s38, s5
	s_mul_i32 s38, s38, s5
	v_add_co_ci_u32_e32 v184, vcc_lo, s29, v196, vcc_lo
	v_add_co_u32 v185, vcc_lo, v195, s40
	s_lshl_b64 s[38:39], s[38:39], 1
	s_clause 0x1
	s_load_b32 s3, s[44:45], 0x0
	s_load_b32 s4, s[48:49], 0x0
	v_add_co_ci_u32_e32 v186, vcc_lo, s41, v196, vcc_lo
	v_add_co_u32 v191, vcc_lo, v195, s38
	v_add_co_ci_u32_e32 v192, vcc_lo, s39, v196, vcc_lo
	s_clause 0x17
	global_load_b128 v[121:124], v[1:2], off
	global_load_b128 v[125:128], v[1:2], off offset:16
	global_load_b128 v[113:116], v[3:4], off
	global_load_b128 v[117:120], v[3:4], off offset:16
	global_load_b128 v[105:108], v[5:6], off
	global_load_b128 v[109:112], v[5:6], off offset:16
	global_load_b128 v[97:100], v[7:8], off
	global_load_b128 v[101:104], v[7:8], off offset:16
	global_load_b128 v[89:92], v[25:26], off
	global_load_b128 v[93:96], v[25:26], off offset:16
	global_load_b128 v[81:84], v[27:28], off
	global_load_b128 v[85:88], v[27:28], off offset:16
	global_load_b128 v[73:76], v[29:30], off
	global_load_b128 v[77:80], v[29:30], off offset:16
	global_load_b128 v[65:68], v[31:32], off
	global_load_b128 v[69:72], v[31:32], off offset:16
	global_load_b128 v[57:60], v[49:50], off
	global_load_b128 v[61:64], v[49:50], off offset:16
	global_load_b128 v[49:52], v[53:54], off
	global_load_b128 v[53:56], v[53:54], off offset:16
	global_load_b128 v[25:28], v[183:184], off
	global_load_b128 v[29:32], v[183:184], off offset:16
	global_load_b128 v[1:4], v[185:186], off
	global_load_b128 v[5:8], v[185:186], off offset:16
	s_mul_hi_i32 s51, s15, s5
	s_mul_i32 s50, s15, s5
	s_delay_alu instid0(SALU_CYCLE_1) | instskip(NEXT) | instid1(SALU_CYCLE_1)
	s_lshl_b64 s[42:43], s[50:51], 1
	v_add_co_u32 v193, vcc_lo, v195, s42
	v_add_co_ci_u32_e32 v194, vcc_lo, s43, v196, vcc_lo
	s_waitcnt lgkmcnt(0)
	s_mul_hi_i32 s7, s3, s5
	s_mul_i32 s6, s3, s5
	s_mul_hi_i32 s9, s4, s5
	s_lshl_b64 s[6:7], s[6:7], 1
	s_mul_i32 s8, s4, s5
	s_delay_alu instid0(SALU_CYCLE_1)
	s_lshl_b64 s[4:5], s[8:9], 1
	s_waitcnt vmcnt(38)
	v_wmma_f32_16x16x16_f16 v[183:190], v[9:16], v[159:166], v[137:144]
	s_waitcnt vmcnt(36)
	v_wmma_f32_16x16x16_f16 v[137:144], v[129:136], v[159:166], v[137:144]
	s_clause 0x1
	global_load_b128 v[9:12], v[191:192], off
	global_load_b128 v[13:16], v[191:192], off offset:16
	ds_load_b128 v[129:132], v197 offset:2048
	ds_load_b128 v[133:136], v197 offset:3072
	;; [unrolled: 1-line block ×4, first 2 shown]
	v_add_co_u32 v191, vcc_lo, v195, s6
	v_add_co_ci_u32_e32 v192, vcc_lo, s7, v196, vcc_lo
	v_add_co_u32 v195, vcc_lo, v195, s4
	v_add_co_ci_u32_e32 v196, vcc_lo, s5, v196, vcc_lo
	s_waitcnt vmcnt(36) lgkmcnt(2)
	v_wmma_f32_16x16x16_f16 v[183:190], v[41:48], v[129:136], v[183:190]
	s_waitcnt vmcnt(34)
	v_wmma_f32_16x16x16_f16 v[137:144], v[33:40], v[129:136], v[137:144]
	s_clause 0x3
	global_load_b128 v[33:36], v[193:194], off
	global_load_b128 v[37:40], v[193:194], off offset:16
	global_load_b128 v[41:44], v[191:192], off
	global_load_b128 v[45:48], v[191:192], off offset:16
	v_and_b32_e32 v129, 0xe0, v0
	v_mbcnt_lo_u32_b32 v191, -1, 0
	s_waitcnt vmcnt(36) lgkmcnt(0)
	v_wmma_f32_16x16x16_f16 v[183:190], v[17:24], v[159:166], v[183:190]
	s_clause 0x1
	global_load_b128 v[17:20], v[195:196], off
	global_load_b128 v[21:24], v[195:196], off offset:16
	s_waitcnt vmcnt(36)
	v_wmma_f32_16x16x16_f16 v[137:144], v[151:158], v[159:166], v[137:144]
	v_add_nc_u32_e32 v192, s35, v129
	ds_load_b128 v[129:132], v197 offset:6144
	ds_load_b128 v[133:136], v197 offset:7168
	v_xor_b32_e32 v151, 16, v191
	s_waitcnt vmcnt(0) lgkmcnt(0)
	s_barrier
	v_or_b32_e32 v152, v192, v146
	buffer_gl0_inv
	v_cmp_gt_i32_e32 vcc_lo, 32, v151
	v_or_b32_e32 v153, 2, v152
	v_or_b32_e32 v154, 4, v152
	;; [unrolled: 1-line block ×5, first 2 shown]
	v_cmp_gt_i32_e64 s3, s30, v153
	v_cmp_gt_i32_e64 s4, s30, v154
	;; [unrolled: 1-line block ×3, first 2 shown]
	v_or_b32_e32 v158, 12, v152
	v_or_b32_e32 v159, 14, v152
	v_cmp_gt_i32_e64 s6, s30, v156
	v_wmma_f32_16x16x16_f16 v[183:190], v[167:174], v[129:136], v[183:190]
	v_wmma_f32_16x16x16_f16 v[137:144], v[175:182], v[129:136], v[137:144]
	v_cndmask_b32_e32 v151, v191, v151, vcc_lo
	v_cmp_gt_i32_e32 vcc_lo, s30, v152
	v_cmp_gt_i32_e64 s7, s30, v157
	v_dual_mul_f32 v135, s36, v184 :: v_dual_mul_f32 v136, s36, v183
	v_dual_mul_f32 v133, s36, v186 :: v_dual_mul_f32 v134, s36, v185
	;; [unrolled: 1-line block ×3, first 2 shown]
	s_delay_alu instid0(VALU_DEP_3) | instskip(NEXT) | instid1(VALU_DEP_4)
	v_cndmask_b32_e32 v136, 0xff7fffff, v136, vcc_lo
	v_cndmask_b32_e64 v135, 0xff7fffff, v135, s3
	v_mul_f32_e32 v132, s36, v187
	v_cndmask_b32_e64 v134, 0xff7fffff, v134, s4
	v_cndmask_b32_e64 v133, 0xff7fffff, v133, s5
	v_or_b32_e32 v160, 16, v152
	v_max3_f32 v135, v136, 0xff7fffff, v135
	v_or_b32_e32 v161, 18, v152
	v_mul_f32_e32 v130, s36, v189
	v_dual_mul_f32 v172, s36, v140 :: v_dual_mul_f32 v129, s36, v190
	v_cndmask_b32_e64 v132, 0xff7fffff, v132, s6
	v_cndmask_b32_e64 v131, 0xff7fffff, v131, s7
	v_max3_f32 v133, v135, v134, v133
	v_cmp_gt_i32_e64 s8, s30, v158
	v_cmp_gt_i32_e64 s9, s30, v159
	v_or_b32_e32 v162, 20, v152
	v_or_b32_e32 v163, 22, v152
	v_mul_f32_e32 v175, s36, v137
	v_cndmask_b32_e64 v130, 0xff7fffff, v130, s8
	v_cndmask_b32_e64 v129, 0xff7fffff, v129, s9
	v_max3_f32 v131, v133, v132, v131
	v_cmp_gt_i32_e64 s10, s30, v160
	v_cmp_gt_i32_e64 s11, s30, v161
	v_or_b32_e32 v164, 24, v152
	v_or_b32_e32 v165, 26, v152
	v_mul_f32_e32 v173, s36, v139
	v_cndmask_b32_e64 v132, 0xff7fffff, v175, s10
	v_cndmask_b32_e64 v133, 0xff7fffff, v174, s11
	v_max3_f32 v129, v131, v130, v129
	v_cmp_gt_i32_e64 s12, s30, v162
	v_cmp_gt_i32_e64 s13, s30, v163
	v_or_b32_e32 v166, 28, v152
	v_or_b32_e32 v167, 30, v152
	v_dual_mul_f32 v170, s36, v142 :: v_dual_mul_f32 v171, s36, v141
	v_cndmask_b32_e64 v130, 0xff7fffff, v173, s12
	v_cndmask_b32_e64 v131, 0xff7fffff, v172, s13
	v_max3_f32 v129, v129, v132, v133
	v_cmp_gt_i32_e64 s15, s30, v164
	v_cmp_gt_i32_e64 s16, s30, v165
	v_dual_mul_f32 v168, s36, v144 :: v_dual_mul_f32 v169, s36, v143
	s_delay_alu instid0(VALU_DEP_4) | instskip(NEXT) | instid1(VALU_DEP_4)
	v_max3_f32 v129, v129, v130, v131
	v_cndmask_b32_e64 v132, 0xff7fffff, v171, s15
	s_delay_alu instid0(VALU_DEP_4) | instskip(SKIP_2) | instid1(VALU_DEP_3)
	v_cndmask_b32_e64 v133, 0xff7fffff, v170, s16
	v_cmp_gt_i32_e64 s17, s30, v166
	v_cmp_gt_i32_e64 s18, s30, v167
	v_max3_f32 v129, v129, v132, v133
	s_delay_alu instid0(VALU_DEP_3) | instskip(NEXT) | instid1(VALU_DEP_3)
	v_cndmask_b32_e64 v130, 0xff7fffff, v169, s17
	v_cndmask_b32_e64 v131, 0xff7fffff, v168, s18
	v_lshlrev_b32_e32 v132, 2, v151
	s_delay_alu instid0(VALU_DEP_2) | instskip(SKIP_3) | instid1(VALU_DEP_1)
	v_max3_f32 v129, v129, v130, v131
	ds_bpermute_b32 v130, v132, v129
	s_waitcnt lgkmcnt(0)
	v_max_f32_e32 v130, v130, v130
	v_max_f32_e32 v129, v129, v130
	s_delay_alu instid0(VALU_DEP_1) | instskip(SKIP_4) | instid1(VALU_DEP_4)
	v_fma_f32 v134, s36, v186, -v129
	v_fma_f32 v135, s36, v187, -v129
	v_fma_f32 v130, s36, v183, -v129
	v_fma_f32 v131, s36, v184, -v129
	v_fma_f32 v133, s36, v185, -v129
	v_dual_mul_f32 v134, 0x3fb8aa3b, v134 :: v_dual_mul_f32 v135, 0x3fb8aa3b, v135
	s_delay_alu instid0(VALU_DEP_4) | instskip(SKIP_1) | instid1(VALU_DEP_3)
	v_mul_f32_e32 v130, 0x3fb8aa3b, v130
	v_fma_f32 v136, s36, v189, -v129
	v_exp_f32_e32 v134, v134
	s_delay_alu instid0(VALU_DEP_3) | instskip(NEXT) | instid1(VALU_DEP_2)
	v_exp_f32_e32 v135, v135
	v_exp_f32_e32 v130, v130
	s_delay_alu instid0(VALU_DEP_1) | instskip(NEXT) | instid1(VALU_DEP_1)
	v_mul_f32_e32 v136, 0x3fb8aa3b, v136
	v_exp_f32_e32 v136, v136
	v_cndmask_b32_e64 v153, 0, v134, s5
	v_fma_f32 v134, s36, v137, -v129
	v_mul_f32_e32 v131, 0x3fb8aa3b, v131
	s_delay_alu instid0(TRANS32_DEP_3) | instskip(NEXT) | instid1(TRANS32_DEP_2)
	v_cndmask_b32_e64 v155, 0, v135, s6
	v_dual_mul_f32 v133, 0x3fb8aa3b, v133 :: v_dual_cndmask_b32 v152, 0, v130
	s_delay_alu instid0(VALU_DEP_4) | instskip(NEXT) | instid1(VALU_DEP_4)
	v_mul_f32_e32 v134, 0x3fb8aa3b, v134
	v_exp_f32_e32 v131, v131
	v_fma_f32 v135, s36, v138, -v129
	s_delay_alu instid0(VALU_DEP_3)
	v_exp_f32_e32 v133, v133
	v_fma_f32 v130, s36, v188, -v129
	v_cndmask_b32_e64 v156, 0, v136, s8
	v_fma_f32 v136, s36, v140, -v129
	v_mul_f32_e32 v135, 0x3fb8aa3b, v135
	v_exp_f32_e32 v134, v134
	v_mul_f32_e32 v130, 0x3fb8aa3b, v130
	s_delay_alu instid0(TRANS32_DEP_3) | instskip(SKIP_1) | instid1(TRANS32_DEP_2)
	v_cndmask_b32_e64 v151, 0, v131, s3
	v_add_f32_e32 v131, 0, v152
	v_cndmask_b32_e64 v154, 0, v133, s4
	v_exp_f32_e32 v135, v135
	v_fma_f32 v133, s36, v190, -v129
	v_exp_f32_e32 v130, v130
	v_dual_add_f32 v131, v131, v151 :: v_dual_mul_f32 v136, 0x3fb8aa3b, v136
	s_mov_b32 s3, exec_lo
	s_delay_alu instid0(VALU_DEP_2) | instskip(NEXT) | instid1(VALU_DEP_2)
	v_mul_f32_e32 v133, 0x3fb8aa3b, v133
	v_add_f32_e32 v131, v131, v154
	s_delay_alu instid0(VALU_DEP_3) | instskip(NEXT) | instid1(TRANS32_DEP_3)
	v_exp_f32_e32 v136, v136
	v_cndmask_b32_e64 v140, 0, v135, s11
	s_delay_alu instid0(VALU_DEP_3) | instskip(NEXT) | instid1(TRANS32_DEP_3)
	v_exp_f32_e32 v133, v133
	v_cndmask_b32_e64 v138, 0, v130, s7
	v_add_f32_e32 v131, v131, v153
	v_fma_f32 v135, s36, v143, -v129
	s_delay_alu instid0(VALU_DEP_2)
	v_add_f32_e32 v130, v131, v155
	v_fma_f32 v131, s36, v139, -v129
	s_waitcnt_depctr 0xfff
	v_cndmask_b32_e64 v139, 0, v133, s9
	v_fma_f32 v133, s36, v141, -v129
	v_add_f32_e32 v130, v130, v138
	v_cndmask_b32_e64 v141, 0, v134, s10
	v_fma_f32 v134, s36, v142, -v129
	v_cndmask_b32_e64 v142, 0, v136, s13
	s_delay_alu instid0(VALU_DEP_4) | instskip(NEXT) | instid1(VALU_DEP_3)
	v_dual_mul_f32 v131, 0x3fb8aa3b, v131 :: v_dual_add_f32 v130, v130, v156
	v_mul_f32_e32 v134, 0x3fb8aa3b, v134
	s_delay_alu instid0(VALU_DEP_2) | instskip(NEXT) | instid1(VALU_DEP_2)
	v_exp_f32_e32 v131, v131
	v_add_f32_e32 v130, v130, v139
	s_delay_alu instid0(VALU_DEP_2) | instskip(NEXT) | instid1(VALU_DEP_1)
	v_exp_f32_e32 v134, v134
	v_add_f32_e32 v130, v130, v141
	s_waitcnt_depctr 0xfff
	v_cndmask_b32_e64 v143, 0, v131, s12
	v_dual_add_f32 v130, v130, v140 :: v_dual_mul_f32 v133, 0x3fb8aa3b, v133
	s_delay_alu instid0(VALU_DEP_1) | instskip(NEXT) | instid1(VALU_DEP_2)
	v_add_f32_e32 v130, v130, v143
	v_exp_f32_e32 v133, v133
	s_delay_alu instid0(VALU_DEP_1)
	v_add_f32_e32 v130, v130, v142
	s_waitcnt_depctr 0xfff
	v_cndmask_b32_e64 v157, 0, v133, s15
	v_mul_f32_e32 v131, 0x3fb8aa3b, v135
	v_fma_f32 v135, s36, v144, -v129
	v_cndmask_b32_e64 v144, 0, v134, s16
	s_delay_alu instid0(VALU_DEP_4) | instskip(NEXT) | instid1(VALU_DEP_4)
	v_add_f32_e32 v130, v130, v157
	v_exp_f32_e32 v131, v131
	s_delay_alu instid0(VALU_DEP_1) | instskip(NEXT) | instid1(VALU_DEP_1)
	v_dual_mul_f32 v133, 0x3fb8aa3b, v135 :: v_dual_add_f32 v130, v130, v144
	v_exp_f32_e32 v133, v133
	s_waitcnt_depctr 0xfff
	v_cndmask_b32_e64 v159, 0, v131, s17
	s_delay_alu instid0(VALU_DEP_1) | instskip(SKIP_1) | instid1(VALU_DEP_1)
	v_add_f32_e32 v130, v130, v159
	v_cndmask_b32_e64 v158, 0, v133, s18
	v_add_f32_e32 v130, v130, v158
	ds_bpermute_b32 v131, v132, v130
	v_cmpx_gt_u32_e32 16, v150
	s_cbranch_execz .LBB51_12
; %bb.11:
	v_mul_u32_u24_e32 v132, 0x44, v149
	s_delay_alu instid0(VALU_DEP_1) | instskip(SKIP_1) | instid1(VALU_DEP_1)
	v_lshl_add_u32 v132, v148, 2, v132
	s_waitcnt lgkmcnt(0)
	v_dual_add_f32 v130, v130, v131 :: v_dual_add_nc_u32 v131, 0x4000, v132
	ds_store_2addr_b32 v131, v129, v130 offset1:136
.LBB51_12:
	s_or_b32 exec_lo, exec_lo, s3
	v_lshlrev_b32_e32 v129, 2, v148
	s_load_b32 s35, s[0:1], 0x94
	s_waitcnt lgkmcnt(0)
	s_barrier
	buffer_gl0_inv
	v_add_nc_u32_e32 v135, 0x4000, v129
	v_cmp_eq_u32_e32 vcc_lo, 1, v149
	v_cmp_eq_u32_e64 s3, 2, v149
	v_cmp_eq_u32_e64 s4, 3, v149
	;; [unrolled: 1-line block ×3, first 2 shown]
	ds_load_2addr_b32 v[129:130], v135 offset1:17
	ds_load_2addr_b32 v[131:132], v135 offset0:34 offset1:51
	ds_load_2addr_b32 v[133:134], v135 offset0:68 offset1:85
	;; [unrolled: 1-line block ×3, first 2 shown]
	v_cmp_eq_u32_e64 s6, 5, v149
	v_cmp_eq_u32_e64 s7, 7, v149
	s_waitcnt lgkmcnt(3)
	v_max3_f32 v136, v129, 0xff7fffff, v130
	s_waitcnt lgkmcnt(2)
	s_delay_alu instid0(VALU_DEP_1) | instskip(SKIP_1) | instid1(VALU_DEP_1)
	v_max3_f32 v136, v136, v131, v132
	s_waitcnt lgkmcnt(1)
	v_max3_f32 v136, v136, v133, v134
	s_waitcnt lgkmcnt(0)
	s_delay_alu instid0(VALU_DEP_1) | instskip(NEXT) | instid1(VALU_DEP_1)
	v_max3_f32 v136, v136, v160, v161
	v_sub_f32_e32 v164, v132, v136
	ds_load_2addr_b32 v[162:163], v135 offset0:136 offset1:153
	v_sub_f32_e32 v129, v129, v136
	v_sub_f32_e32 v137, v130, v136
	v_sub_f32_e32 v133, v133, v136
	v_mul_f32_e32 v164, 0x3fb8aa3b, v164
	s_delay_alu instid0(VALU_DEP_4) | instskip(NEXT) | instid1(VALU_DEP_4)
	v_mul_f32_e32 v150, 0x3fb8aa3b, v129
	v_mul_f32_e32 v137, 0x3fb8aa3b, v137
	ds_load_2addr_b32 v[129:130], v135 offset0:170 offset1:187
	v_mul_f32_e32 v167, 0x3fb8aa3b, v133
	v_exp_f32_e32 v164, v164
	v_exp_f32_e32 v150, v150
	;; [unrolled: 1-line block ×3, first 2 shown]
	v_sub_f32_e32 v131, v131, v136
	s_delay_alu instid0(VALU_DEP_1)
	v_mul_f32_e32 v165, 0x3fb8aa3b, v131
	ds_load_2addr_b32 v[131:132], v135 offset0:204 offset1:221
	s_waitcnt lgkmcnt(2)
	v_fma_f32 v137, v150, v162, 0
	v_sub_f32_e32 v162, v134, v136
	v_exp_f32_e32 v165, v165
	ds_load_2addr_b32 v[133:134], v135 offset0:238 offset1:255
	v_sub_f32_e32 v135, v160, v136
	v_dual_fmac_f32 v137, v166, v163 :: v_dual_mul_f32 v160, 0x3fb8aa3b, v162
	v_exp_f32_e32 v162, v167
	s_waitcnt lgkmcnt(0)
	s_delay_alu instid0(VALU_DEP_2)
	v_mul_f32_e32 v135, 0x3fb8aa3b, v135
	s_barrier
	v_exp_f32_e32 v160, v160
	v_fmac_f32_e32 v137, v165, v129
	v_sub_f32_e32 v129, v161, v136
	v_exp_f32_e32 v161, v135
	buffer_gl0_inv
	v_fmac_f32_e32 v137, v164, v130
	v_dual_mul_f32 v129, 0x3fb8aa3b, v129 :: v_dual_cndmask_b32 v130, v150, v166
	s_delay_alu instid0(VALU_DEP_2) | instskip(NEXT) | instid1(VALU_DEP_2)
	v_fmac_f32_e32 v137, v162, v131
	v_exp_f32_e32 v163, v129
	s_delay_alu instid0(VALU_DEP_1) | instskip(NEXT) | instid1(VALU_DEP_1)
	v_fmac_f32_e32 v137, v160, v132
	v_fmac_f32_e32 v137, v161, v133
	v_lshlrev_b32_e32 v133, 6, v148
	s_waitcnt_depctr 0xfff
	v_fmac_f32_e32 v137, v163, v134
	v_lshl_or_b32 v135, v149, 11, v133
	s_delay_alu instid0(VALU_DEP_2) | instskip(NEXT) | instid1(VALU_DEP_1)
	v_add_f32_e32 v134, 0x358637bd, v137
	v_div_scale_f32 v167, null, v134, v134, 1.0
	v_div_scale_f32 v150, vcc_lo, 1.0, v134, 1.0
	s_delay_alu instid0(VALU_DEP_2) | instskip(SKIP_2) | instid1(VALU_DEP_1)
	v_rcp_f32_e32 v168, v167
	s_waitcnt_depctr 0xfff
	v_fma_f32 v129, -v167, v168, 1.0
	v_fmac_f32_e32 v168, v129, v168
	v_cndmask_b32_e64 v129, v130, v165, s3
	v_cmp_eq_u32_e64 s3, 6, v149
	s_delay_alu instid0(VALU_DEP_3) | instskip(NEXT) | instid1(VALU_DEP_3)
	v_mul_f32_e32 v165, v150, v168
	v_cndmask_b32_e64 v130, v129, v164, s4
	v_lshlrev_b32_e32 v129, 2, v146
	s_delay_alu instid0(VALU_DEP_3) | instskip(NEXT) | instid1(VALU_DEP_3)
	v_fma_f32 v131, -v167, v165, v150
	v_cndmask_b32_e64 v162, v130, v162, s5
	s_delay_alu instid0(VALU_DEP_3)
	v_or_b32_e32 v130, 1, v129
	v_or_b32_e32 v132, 2, v129
	v_cmp_eq_u32_e64 s4, 1, v129
	v_fmac_f32_e32 v165, v131, v168
	v_cndmask_b32_e64 v149, v162, v160, s6
	v_or_b32_e32 v131, 3, v129
	v_cmp_eq_u32_e64 s9, 1, v130
	v_cmp_eq_u32_e64 s10, 1, v132
	v_fma_f32 v150, -v167, v165, v150
	v_cndmask_b32_e64 v149, v149, v161, s3
	v_cmp_eq_u32_e64 s11, 1, v131
	v_cmp_eq_u32_e64 s5, 2, v129
	;; [unrolled: 1-line block ×3, first 2 shown]
	v_div_fmas_f32 v150, v150, v168, v165
	v_cndmask_b32_e64 v149, v149, v163, s7
	v_cmp_eq_u32_e64 s15, 2, v132
	v_cmp_eq_u32_e64 s16, 2, v131
	v_cmp_eq_u32_e32 vcc_lo, 3, v129
	v_div_fixup_f32 v150, v150, v134, 1.0
	v_lshl_or_b32 v134, v146, 4, v135
	v_cmp_eq_u32_e64 s13, 3, v130
	v_cmp_eq_u32_e64 s18, 3, v131
	;; [unrolled: 1-line block ×3, first 2 shown]
	v_mul_f32_e32 v149, v149, v150
	v_cmp_eq_u32_e64 s17, 3, v132
	v_cmp_eq_u32_e64 s19, 4, v130
	v_cmp_eq_u32_e64 s22, 4, v131
	v_cmp_eq_u32_e64 s6, 5, v129
	v_fma_mixlo_f16 v160, v149, v152, 0
	v_fma_mixlo_f16 v161, v149, v154, 0
	;; [unrolled: 1-line block ×8, first 2 shown]
	v_fma_mixhi_f16 v160, v149, v151, 0
	v_fma_mixhi_f16 v161, v149, v153, 0
	v_fma_mixhi_f16 v162, v149, v138, 0
	v_fma_mixhi_f16 v163, v149, v139, 0
	v_fma_mixhi_f16 v154, v149, v140, 0
	v_fma_mixhi_f16 v155, v149, v142, 0
	v_fma_mixhi_f16 v156, v149, v144, 0
	v_fma_mixhi_f16 v157, v149, v158, 0
	ds_store_b128 v134, v[160:163]
	ds_store_b128 v134, v[154:157] offset:1024
	s_waitcnt lgkmcnt(0)
	s_barrier
	buffer_gl0_inv
	ds_load_b128 v[138:141], v135
	ds_load_b128 v[149:152], v135 offset:16
	ds_load_b128 v[153:156], v135 offset:1024
	;; [unrolled: 1-line block ×3, first 2 shown]
	v_cmp_eq_u32_e64 s20, 5, v130
	v_cmp_eq_u32_e64 s21, 4, v132
	;; [unrolled: 1-line block ×12, first 2 shown]
	s_waitcnt lgkmcnt(3)
	v_lshrrev_b32_e32 v142, 16, v138
	s_waitcnt lgkmcnt(2)
	v_lshrrev_b32_e32 v162, 16, v149
	s_waitcnt lgkmcnt(1)
	v_lshrrev_b32_e32 v166, 16, v153
	s_waitcnt lgkmcnt(0)
	v_lshrrev_b32_e32 v170, 16, v157
	v_lshrrev_b32_e32 v143, 16, v139
	v_cndmask_b32_e64 v174, v138, v142, s4
	v_cndmask_b32_e64 v175, v149, v162, s4
	;; [unrolled: 1-line block ×7, first 2 shown]
	v_lshrrev_b32_e32 v163, 16, v150
	v_cndmask_b32_e64 v179, v149, v162, s10
	v_cndmask_b32_e64 v149, v153, v166, s4
	;; [unrolled: 1-line block ×16, first 2 shown]
	v_lshrrev_b32_e32 v167, 16, v154
	v_lshrrev_b32_e32 v171, 16, v158
	v_cndmask_b32_e64 v177, v179, v150, s15
	v_cndmask_b32_e64 v142, v149, v154, s5
	;; [unrolled: 1-line block ×7, first 2 shown]
	v_cndmask_b32_e32 v157, v166, v143, vcc_lo
	v_cndmask_b32_e32 v166, v170, v163, vcc_lo
	v_cndmask_b32_e64 v170, v174, v143, s13
	v_cndmask_b32_e64 v174, v175, v163, s13
	;; [unrolled: 1-line block ×4, first 2 shown]
	v_lshrrev_b32_e32 v144, 16, v140
	v_lshrrev_b32_e32 v164, 16, v151
	v_cndmask_b32_e64 v175, v176, v143, s17
	v_cndmask_b32_e64 v176, v177, v163, s17
	v_cndmask_b32_e32 v142, v142, v167, vcc_lo
	v_cndmask_b32_e32 v143, v149, v171, vcc_lo
	v_cndmask_b32_e64 v149, v150, v167, s13
	v_cndmask_b32_e64 v150, v157, v140, s3
	;; [unrolled: 1-line block ×7, first 2 shown]
	v_lshrrev_b32_e32 v168, 16, v155
	v_cndmask_b32_e64 v170, v175, v140, s21
	v_cndmask_b32_e64 v174, v176, v151, s21
	;; [unrolled: 1-line block ×11, first 2 shown]
	v_lshrrev_b32_e32 v161, 16, v141
	v_lshrrev_b32_e32 v165, 16, v152
	v_cndmask_b32_e64 v163, v170, v144, s23
	v_cndmask_b32_e64 v166, v174, v164, s23
	;; [unrolled: 1-line block ×9, first 2 shown]
	v_lshrrev_b32_e32 v169, 16, v156
	v_cndmask_b32_e64 v140, v140, v168, s6
	v_cndmask_b32_e64 v157, v163, v141, s26
	;; [unrolled: 1-line block ×14, first 2 shown]
	v_perm_b32 v141, v139, v138, 0x5040100
	v_perm_b32 v139, v151, v149, 0x5040100
	v_cndmask_b32_e64 v138, v183, v158, s15
	v_cndmask_b32_e64 v149, v181, v158, s12
	v_cndmask_b32_e64 v157, v140, v169, s8
	v_perm_b32 v140, v152, v150, 0x5040100
	v_cndmask_b32_e64 v150, v162, v167, s17
	v_cndmask_b32_e64 v151, v153, v167, s18
	;; [unrolled: 1-line block ×5, first 2 shown]
	v_lshrrev_b32_e32 v172, 16, v159
	v_cndmask_b32_e64 v150, v150, v155, s21
	v_cndmask_b32_e64 v151, v151, v155, s22
	;; [unrolled: 1-line block ×11, first 2 shown]
	v_lshrrev_b32_e32 v173, 16, v160
	v_cndmask_b32_e64 v142, v142, v160, s7
	v_cndmask_b32_e64 v150, v150, v156, s26
	;; [unrolled: 1-line block ×12, first 2 shown]
	v_perm_b32 v138, v144, v143, 0x5040100
	v_perm_b32 v152, v152, v151, 0x5040100
	;; [unrolled: 1-line block ×5, first 2 shown]
	s_mul_i32 s7, s33, 14
	s_mov_b32 s3, exec_lo
	ds_store_b128 v134, v[138:141]
	ds_store_b128 v134, v[149:152] offset:1024
	v_cmpx_gt_u32_e32 14, v0
	s_cbranch_execz .LBB51_14
; %bb.13:
	s_mul_i32 s4, s7, s34
	s_load_b128 s[8:11], s[0:1], 0x58
	v_add3_u32 v140, s4, s31, v148
	s_delay_alu instid0(VALU_DEP_1) | instskip(NEXT) | instid1(VALU_DEP_1)
	v_mad_u64_u32 v[138:139], null, v140, s35, s[14:15]
	v_ashrrev_i32_e32 v139, 31, v138
	s_delay_alu instid0(VALU_DEP_1) | instskip(SKIP_1) | instid1(VALU_DEP_1)
	v_lshlrev_b64 v[138:139], 2, v[138:139]
	s_waitcnt lgkmcnt(0)
	v_add_co_u32 v140, vcc_lo, s10, v138
	s_delay_alu instid0(VALU_DEP_2)
	v_add_co_ci_u32_e32 v141, vcc_lo, s11, v139, vcc_lo
	v_add_co_u32 v138, vcc_lo, s8, v138
	v_add_co_ci_u32_e32 v139, vcc_lo, s9, v139, vcc_lo
	global_store_b32 v[140:141], v136, off
	global_store_b32 v[138:139], v137, off
.LBB51_14:
	s_or_b32 exec_lo, exec_lo, s3
	s_waitcnt lgkmcnt(0)
	s_waitcnt_vscnt null, 0x0
	s_barrier
	buffer_gl0_inv
	ds_load_b128 v[148:151], v133
	ds_load_b128 v[152:155], v133 offset:16
	ds_load_b128 v[160:163], v133 offset:1040
	;; [unrolled: 1-line block ×5, first 2 shown]
	v_cmp_eq_u32_e32 vcc_lo, 1, v132
	v_mov_b32_e32 v136, 0
	ds_load_b128 v[176:179], v133 offset:3088
	ds_load_b128 v[172:175], v133 offset:3072
	;; [unrolled: 1-line block ×4, first 2 shown]
	v_cmp_eq_u32_e64 s3, 1, v129
	v_cmp_eq_u32_e64 s4, 1, v131
	;; [unrolled: 1-line block ×3, first 2 shown]
	v_mov_b32_e32 v137, v136
	v_mov_b32_e32 v138, v136
	;; [unrolled: 1-line block ×7, first 2 shown]
	v_cmp_eq_u32_e64 s6, 2, v129
	s_waitcnt lgkmcnt(8)
	s_delay_alu instid0(VALU_DEP_2)
	v_wmma_f32_16x16x16_f16 v[136:143], v[121:128], v[148:155], v[136:143]
	ds_load_b128 v[125:128], v133 offset:5136
	ds_load_b128 v[121:124], v133 offset:5120
	s_waitcnt lgkmcnt(8)
	v_wmma_f32_16x16x16_f16 v[136:143], v[113:120], v[156:163], v[136:143]
	ds_load_b128 v[117:120], v133 offset:6160
	ds_load_b128 v[113:116], v133 offset:6144
	s_waitcnt lgkmcnt(8)
	;; [unrolled: 4-line block ×11, first 2 shown]
	s_barrier
	buffer_gl0_inv
	v_wmma_f32_16x16x16_f16 v[136:143], v[1:8], v[73:80], v[136:143]
	s_delay_alu instid0(VALU_DEP_1) | instskip(NEXT) | instid1(VALU_DEP_1)
	v_wmma_f32_16x16x16_f16 v[136:143], v[9:16], v[65:72], v[136:143]
	v_wmma_f32_16x16x16_f16 v[136:143], v[33:40], v[57:64], v[136:143]
	s_delay_alu instid0(VALU_DEP_1) | instskip(NEXT) | instid1(VALU_DEP_1)
	v_wmma_f32_16x16x16_f16 v[136:143], v[41:48], v[49:56], v[136:143]
	v_wmma_f32_16x16x16_f16 v[136:143], v[17:24], v[25:32], v[136:143]
	s_delay_alu instid0(VALU_DEP_1) | instskip(NEXT) | instid1(VALU_DEP_2)
	v_cvt_f16_f32_e64 v1, v136
	v_cvt_f16_f32_e64 v2, v137
	s_delay_alu instid0(VALU_DEP_3) | instskip(NEXT) | instid1(VALU_DEP_4)
	v_cvt_f16_f32_e64 v3, v138
	v_cvt_f16_f32_e64 v4, v139
	;; [unrolled: 1-line block ×6, first 2 shown]
	v_pack_b32_f16 v1, v1, v2
	v_pack_b32_f16 v2, v3, v4
	;; [unrolled: 1-line block ×3, first 2 shown]
	s_delay_alu instid0(VALU_DEP_4)
	v_pack_b32_f16 v4, v7, v8
	ds_store_b128 v134, v[1:4]
	s_waitcnt lgkmcnt(0)
	s_barrier
	buffer_gl0_inv
	ds_load_b128 v[1:4], v135
	ds_load_b128 v[5:8], v135 offset:16
	s_waitcnt lgkmcnt(1)
	v_lshrrev_b32_e32 v9, 16, v1
	s_waitcnt lgkmcnt(0)
	v_lshrrev_b32_e32 v13, 16, v5
	v_lshrrev_b32_e32 v10, 16, v2
	v_lshrrev_b32_e32 v14, 16, v6
	v_lshrrev_b32_e32 v11, 16, v3
	v_cndmask_b32_e64 v17, v1, v9, s3
	v_cndmask_b32_e64 v18, v5, v13, s3
	;; [unrolled: 1-line block ×3, first 2 shown]
	v_cmp_eq_u32_e64 s3, 2, v130
	v_cndmask_b32_e64 v20, v5, v13, s5
	v_cndmask_b32_e32 v21, v1, v9, vcc_lo
	v_cndmask_b32_e32 v22, v5, v13, vcc_lo
	v_cndmask_b32_e64 v1, v1, v9, s4
	v_cndmask_b32_e64 v5, v5, v13, s4
	v_cmp_eq_u32_e32 vcc_lo, 2, v132
	v_cmp_eq_u32_e64 s4, 2, v131
	v_cndmask_b32_e64 v9, v17, v2, s6
	v_cndmask_b32_e64 v13, v18, v6, s6
	;; [unrolled: 1-line block ×4, first 2 shown]
	v_cndmask_b32_e32 v19, v21, v2, vcc_lo
	v_cmp_eq_u32_e64 s3, 3, v132
	v_cndmask_b32_e32 v20, v22, v6, vcc_lo
	v_cndmask_b32_e64 v1, v1, v2, s4
	v_cmp_eq_u32_e32 vcc_lo, 3, v131
	v_cmp_eq_u32_e64 s5, 3, v129
	v_cndmask_b32_e64 v2, v5, v6, s4
	v_cmp_eq_u32_e64 s4, 3, v130
	v_cmp_eq_u32_e64 s6, 4, v129
	v_cndmask_b32_e32 v1, v1, v10, vcc_lo
	v_cndmask_b32_e64 v5, v9, v10, s5
	v_cndmask_b32_e64 v6, v13, v14, s5
	;; [unrolled: 1-line block ×3, first 2 shown]
	v_cmp_eq_u32_e64 s5, 4, v130
	v_cndmask_b32_e64 v13, v18, v14, s4
	v_cndmask_b32_e64 v17, v19, v10, s3
	;; [unrolled: 1-line block ×3, first 2 shown]
	v_cndmask_b32_e32 v2, v2, v14, vcc_lo
	v_cmp_eq_u32_e32 vcc_lo, 4, v132
	v_cmp_eq_u32_e64 s4, 4, v131
	v_lshrrev_b32_e32 v15, 16, v7
	v_cndmask_b32_e64 v5, v5, v3, s6
	v_cndmask_b32_e64 v6, v6, v7, s6
	v_cndmask_b32_e32 v14, v18, v7, vcc_lo
	v_cndmask_b32_e64 v9, v9, v3, s5
	v_cndmask_b32_e64 v10, v13, v7, s5
	v_cndmask_b32_e32 v13, v17, v3, vcc_lo
	v_cmp_eq_u32_e64 s3, 5, v132
	v_cndmask_b32_e64 v1, v1, v3, s4
	v_cmp_eq_u32_e32 vcc_lo, 5, v131
	v_cmp_eq_u32_e64 s5, 5, v129
	v_cndmask_b32_e64 v2, v2, v7, s4
	v_cmp_eq_u32_e64 s4, 5, v130
	v_cmp_eq_u32_e64 s6, 6, v129
	v_lshrrev_b32_e32 v12, 16, v4
	v_cndmask_b32_e64 v3, v5, v11, s5
	v_cndmask_b32_e64 v5, v6, v15, s5
	;; [unrolled: 1-line block ×3, first 2 shown]
	v_cmp_eq_u32_e64 s5, 6, v130
	v_cndmask_b32_e64 v7, v10, v15, s4
	v_cndmask_b32_e64 v9, v13, v11, s3
	;; [unrolled: 1-line block ×3, first 2 shown]
	v_cndmask_b32_e32 v1, v1, v11, vcc_lo
	v_cndmask_b32_e32 v2, v2, v15, vcc_lo
	v_cmp_eq_u32_e32 vcc_lo, 6, v132
	v_cmp_eq_u32_e64 s3, 6, v131
	v_lshrrev_b32_e32 v16, 16, v8
	v_cndmask_b32_e64 v3, v3, v4, s6
	v_cndmask_b32_e64 v5, v5, v8, s6
	v_cndmask_b32_e32 v9, v9, v4, vcc_lo
	v_cndmask_b32_e64 v6, v6, v4, s5
	v_cndmask_b32_e64 v7, v7, v8, s5
	v_cmp_eq_u32_e64 s4, 7, v132
	v_cndmask_b32_e32 v10, v10, v8, vcc_lo
	v_cndmask_b32_e64 v1, v1, v4, s3
	v_cmp_eq_u32_e32 vcc_lo, 7, v131
	v_cndmask_b32_e64 v2, v2, v8, s3
	v_cmp_eq_u32_e64 s3, 7, v129
	v_cmp_eq_u32_e64 s5, 7, v130
	v_cndmask_b32_e32 v1, v1, v12, vcc_lo
	s_delay_alu instid0(VALU_DEP_4) | instskip(NEXT) | instid1(VALU_DEP_4)
	v_cndmask_b32_e32 v2, v2, v16, vcc_lo
	v_cndmask_b32_e64 v8, v3, v12, s3
	s_delay_alu instid0(VALU_DEP_4)
	v_cndmask_b32_e64 v6, v6, v12, s5
	v_cndmask_b32_e64 v3, v9, v12, s4
	;; [unrolled: 1-line block ×5, first 2 shown]
	v_cmp_gt_u32_e32 vcc_lo, 32, v0
	v_perm_b32 v4, v2, v1, 0x5040100
	v_perm_b32 v3, v9, v3, 0x5040100
	;; [unrolled: 1-line block ×4, first 2 shown]
	s_and_b32 s2, vcc_lo, s2
	ds_store_b128 v134, v[1:4]
	s_waitcnt lgkmcnt(0)
	s_barrier
	buffer_gl0_inv
	s_and_saveexec_b32 s3, s2
	s_cbranch_execz .LBB51_2
; %bb.15:
	s_load_b64 s[0:1], s[0:1], 0x68
	v_lshlrev_b32_e32 v0, 10, v0
	s_lshl_b32 s4, s35, 6
	v_or_b32_e32 v3, s31, v146
	s_mul_i32 s2, s4, s34
	v_lshlrev_b32_e32 v1, 4, v147
	v_lshlrev_b32_e32 v2, 6, v146
	v_and_b32_e32 v0, 0x3800, v0
	s_mul_i32 s2, s2, s7
	v_mul_lo_u32 v8, v3, s4
	s_ashr_i32 s3, s2, 31
	s_delay_alu instid0(SALU_CYCLE_1)
	s_lshl_b64 s[2:3], s[2:3], 1
	v_or3_b32 v16, v0, v1, v2
	ds_load_b128 v[0:3], v16
	ds_load_b128 v[4:7], v16 offset:128
	v_ashrrev_i32_e32 v9, 31, v8
	s_waitcnt lgkmcnt(0)
	s_add_u32 s2, s0, s2
	s_addc_u32 s3, s1, s3
	s_lshl_b32 s0, s14, 6
	s_delay_alu instid0(SALU_CYCLE_1) | instskip(SKIP_2) | instid1(SALU_CYCLE_1)
	s_ashr_i32 s1, s0, 31
	v_lshlrev_b64 v[9:10], 1, v[8:9]
	s_lshl_b64 s[0:1], s[0:1], 1
	s_add_u32 s0, s2, s0
	s_addc_u32 s1, s3, s1
	s_lshl_b32 s2, s35, 7
	v_add_co_u32 v30, s0, s0, v145
	v_add_nc_u32_e32 v11, s2, v8
	v_add_co_ci_u32_e64 v31, null, s1, 0, s0
	s_delay_alu instid0(VALU_DEP_3) | instskip(NEXT) | instid1(VALU_DEP_3)
	v_add_co_u32 v9, vcc_lo, v30, v9
	v_add_nc_u32_e32 v8, s2, v11
	s_delay_alu instid0(VALU_DEP_3) | instskip(SKIP_1) | instid1(VALU_DEP_3)
	v_add_co_ci_u32_e32 v10, vcc_lo, v31, v10, vcc_lo
	v_ashrrev_i32_e32 v12, 31, v11
	v_add_nc_u32_e32 v13, s2, v8
	global_store_b128 v[9:10], v[0:3], off
	v_ashrrev_i32_e32 v9, 31, v8
	v_lshlrev_b64 v[11:12], 1, v[11:12]
	v_ashrrev_i32_e32 v14, 31, v13
	v_add_nc_u32_e32 v10, s2, v13
	s_delay_alu instid0(VALU_DEP_4) | instskip(NEXT) | instid1(VALU_DEP_4)
	v_lshlrev_b64 v[2:3], 1, v[8:9]
	v_add_co_u32 v0, vcc_lo, v30, v11
	s_delay_alu instid0(VALU_DEP_4)
	v_lshlrev_b64 v[8:9], 1, v[13:14]
	v_add_co_ci_u32_e32 v1, vcc_lo, v31, v12, vcc_lo
	v_ashrrev_i32_e32 v11, 31, v10
	v_add_co_u32 v22, vcc_lo, v30, v2
	v_add_nc_u32_e32 v20, s2, v10
	v_add_co_ci_u32_e32 v23, vcc_lo, v31, v3, vcc_lo
	v_add_co_u32 v24, vcc_lo, v30, v8
	global_store_b128 v[0:1], v[4:7], off
	v_add_co_ci_u32_e32 v25, vcc_lo, v31, v9, vcc_lo
	ds_load_b128 v[0:3], v16 offset:256
	ds_load_b128 v[4:7], v16 offset:384
	v_lshlrev_b64 v[26:27], 1, v[10:11]
	ds_load_b128 v[8:11], v16 offset:512
	ds_load_b128 v[12:15], v16 offset:640
	;; [unrolled: 1-line block ×3, first 2 shown]
	v_add_nc_u32_e32 v28, s2, v20
	v_ashrrev_i32_e32 v21, 31, v20
	v_add_co_u32 v26, vcc_lo, v30, v26
	s_delay_alu instid0(VALU_DEP_3) | instskip(NEXT) | instid1(VALU_DEP_3)
	v_ashrrev_i32_e32 v29, 31, v28
	v_lshlrev_b64 v[20:21], 1, v[20:21]
	v_add_co_ci_u32_e32 v27, vcc_lo, v31, v27, vcc_lo
	s_delay_alu instid0(VALU_DEP_3) | instskip(NEXT) | instid1(VALU_DEP_3)
	v_lshlrev_b64 v[28:29], 1, v[28:29]
	v_add_co_u32 v20, vcc_lo, v30, v20
	s_delay_alu instid0(VALU_DEP_4) | instskip(NEXT) | instid1(VALU_DEP_3)
	v_add_co_ci_u32_e32 v21, vcc_lo, v31, v21, vcc_lo
	v_add_co_u32 v28, vcc_lo, v30, v28
	s_delay_alu instid0(VALU_DEP_4)
	v_add_co_ci_u32_e32 v29, vcc_lo, v31, v29, vcc_lo
	s_waitcnt lgkmcnt(4)
	global_store_b128 v[22:23], v[0:3], off
	s_waitcnt lgkmcnt(3)
	global_store_b128 v[24:25], v[4:7], off
	;; [unrolled: 2-line block ×5, first 2 shown]
	s_nop 0
	s_sendmsg sendmsg(MSG_DEALLOC_VGPRS)
	s_endpgm
	.section	.rodata,"a",@progbits
	.p2align	6, 0x0
	.amdhsa_kernel _Z39paged_attention_ll4mi_QKV_mfma16_kernelIDF16_DF16_LN4vllm18Fp8KVCacheDataTypeE0EhLi16ELi64ELi256ELb0ELi14EL8MFMAType0EEvPKT_PKT0_S8_ifPKiSA_SA_iPKfiiiPfSD_PS3_PT2_iSC_SC_
		.amdhsa_group_segment_fixed_size 17472
		.amdhsa_private_segment_fixed_size 0
		.amdhsa_kernarg_size 400
		.amdhsa_user_sgpr_count 13
		.amdhsa_user_sgpr_dispatch_ptr 0
		.amdhsa_user_sgpr_queue_ptr 0
		.amdhsa_user_sgpr_kernarg_segment_ptr 1
		.amdhsa_user_sgpr_dispatch_id 0
		.amdhsa_user_sgpr_private_segment_size 0
		.amdhsa_wavefront_size32 1
		.amdhsa_uses_dynamic_stack 0
		.amdhsa_enable_private_segment 0
		.amdhsa_system_sgpr_workgroup_id_x 1
		.amdhsa_system_sgpr_workgroup_id_y 1
		.amdhsa_system_sgpr_workgroup_id_z 1
		.amdhsa_system_sgpr_workgroup_info 0
		.amdhsa_system_vgpr_workitem_id 0
		.amdhsa_next_free_vgpr 198
		.amdhsa_next_free_sgpr 52
		.amdhsa_reserve_vcc 1
		.amdhsa_float_round_mode_32 0
		.amdhsa_float_round_mode_16_64 0
		.amdhsa_float_denorm_mode_32 3
		.amdhsa_float_denorm_mode_16_64 3
		.amdhsa_dx10_clamp 1
		.amdhsa_ieee_mode 1
		.amdhsa_fp16_overflow 0
		.amdhsa_workgroup_processor_mode 1
		.amdhsa_memory_ordered 1
		.amdhsa_forward_progress 0
		.amdhsa_shared_vgpr_count 0
		.amdhsa_exception_fp_ieee_invalid_op 0
		.amdhsa_exception_fp_denorm_src 0
		.amdhsa_exception_fp_ieee_div_zero 0
		.amdhsa_exception_fp_ieee_overflow 0
		.amdhsa_exception_fp_ieee_underflow 0
		.amdhsa_exception_fp_ieee_inexact 0
		.amdhsa_exception_int_div_zero 0
	.end_amdhsa_kernel
	.section	.text._Z39paged_attention_ll4mi_QKV_mfma16_kernelIDF16_DF16_LN4vllm18Fp8KVCacheDataTypeE0EhLi16ELi64ELi256ELb0ELi14EL8MFMAType0EEvPKT_PKT0_S8_ifPKiSA_SA_iPKfiiiPfSD_PS3_PT2_iSC_SC_,"axG",@progbits,_Z39paged_attention_ll4mi_QKV_mfma16_kernelIDF16_DF16_LN4vllm18Fp8KVCacheDataTypeE0EhLi16ELi64ELi256ELb0ELi14EL8MFMAType0EEvPKT_PKT0_S8_ifPKiSA_SA_iPKfiiiPfSD_PS3_PT2_iSC_SC_,comdat
.Lfunc_end51:
	.size	_Z39paged_attention_ll4mi_QKV_mfma16_kernelIDF16_DF16_LN4vllm18Fp8KVCacheDataTypeE0EhLi16ELi64ELi256ELb0ELi14EL8MFMAType0EEvPKT_PKT0_S8_ifPKiSA_SA_iPKfiiiPfSD_PS3_PT2_iSC_SC_, .Lfunc_end51-_Z39paged_attention_ll4mi_QKV_mfma16_kernelIDF16_DF16_LN4vllm18Fp8KVCacheDataTypeE0EhLi16ELi64ELi256ELb0ELi14EL8MFMAType0EEvPKT_PKT0_S8_ifPKiSA_SA_iPKfiiiPfSD_PS3_PT2_iSC_SC_
                                        ; -- End function
	.section	.AMDGPU.csdata,"",@progbits
; Kernel info:
; codeLenInByte = 8016
; NumSgprs: 54
; NumVgprs: 198
; ScratchSize: 0
; MemoryBound: 0
; FloatMode: 240
; IeeeMode: 1
; LDSByteSize: 17472 bytes/workgroup (compile time only)
; SGPRBlocks: 6
; VGPRBlocks: 24
; NumSGPRsForWavesPerEU: 54
; NumVGPRsForWavesPerEU: 198
; Occupancy: 7
; WaveLimiterHint : 1
; COMPUTE_PGM_RSRC2:SCRATCH_EN: 0
; COMPUTE_PGM_RSRC2:USER_SGPR: 13
; COMPUTE_PGM_RSRC2:TRAP_HANDLER: 0
; COMPUTE_PGM_RSRC2:TGID_X_EN: 1
; COMPUTE_PGM_RSRC2:TGID_Y_EN: 1
; COMPUTE_PGM_RSRC2:TGID_Z_EN: 1
; COMPUTE_PGM_RSRC2:TIDIG_COMP_CNT: 0
	.section	.text._Z39paged_attention_ll4mi_QKV_mfma16_kernelIDF16_DF16_LN4vllm18Fp8KVCacheDataTypeE0EhLi16ELi64ELi256ELb0ELi15EL8MFMAType0EEvPKT_PKT0_S8_ifPKiSA_SA_iPKfiiiPfSD_PS3_PT2_iSC_SC_,"axG",@progbits,_Z39paged_attention_ll4mi_QKV_mfma16_kernelIDF16_DF16_LN4vllm18Fp8KVCacheDataTypeE0EhLi16ELi64ELi256ELb0ELi15EL8MFMAType0EEvPKT_PKT0_S8_ifPKiSA_SA_iPKfiiiPfSD_PS3_PT2_iSC_SC_,comdat
	.protected	_Z39paged_attention_ll4mi_QKV_mfma16_kernelIDF16_DF16_LN4vllm18Fp8KVCacheDataTypeE0EhLi16ELi64ELi256ELb0ELi15EL8MFMAType0EEvPKT_PKT0_S8_ifPKiSA_SA_iPKfiiiPfSD_PS3_PT2_iSC_SC_ ; -- Begin function _Z39paged_attention_ll4mi_QKV_mfma16_kernelIDF16_DF16_LN4vllm18Fp8KVCacheDataTypeE0EhLi16ELi64ELi256ELb0ELi15EL8MFMAType0EEvPKT_PKT0_S8_ifPKiSA_SA_iPKfiiiPfSD_PS3_PT2_iSC_SC_
	.globl	_Z39paged_attention_ll4mi_QKV_mfma16_kernelIDF16_DF16_LN4vllm18Fp8KVCacheDataTypeE0EhLi16ELi64ELi256ELb0ELi15EL8MFMAType0EEvPKT_PKT0_S8_ifPKiSA_SA_iPKfiiiPfSD_PS3_PT2_iSC_SC_
	.p2align	8
	.type	_Z39paged_attention_ll4mi_QKV_mfma16_kernelIDF16_DF16_LN4vllm18Fp8KVCacheDataTypeE0EhLi16ELi64ELi256ELb0ELi15EL8MFMAType0EEvPKT_PKT0_S8_ifPKiSA_SA_iPKfiiiPfSD_PS3_PT2_iSC_SC_,@function
_Z39paged_attention_ll4mi_QKV_mfma16_kernelIDF16_DF16_LN4vllm18Fp8KVCacheDataTypeE0EhLi16ELi64ELi256ELb0ELi15EL8MFMAType0EEvPKT_PKT0_S8_ifPKiSA_SA_iPKfiiiPfSD_PS3_PT2_iSC_SC_: ; @_Z39paged_attention_ll4mi_QKV_mfma16_kernelIDF16_DF16_LN4vllm18Fp8KVCacheDataTypeE0EhLi16ELi64ELi256ELb0ELi15EL8MFMAType0EEvPKT_PKT0_S8_ifPKiSA_SA_iPKfiiiPfSD_PS3_PT2_iSC_SC_
; %bb.0:
	s_load_b64 s[2:3], s[0:1], 0x30
	s_mov_b32 s34, s13
	s_waitcnt lgkmcnt(0)
	s_cmp_lg_u64 s[2:3], 0
	s_cselect_b32 s6, -1, 0
	s_ashr_i32 s35, s13, 31
	s_cmp_eq_u64 s[2:3], 0
	s_cbranch_scc1 .LBB52_3
; %bb.1:
	s_lshl_b64 s[4:5], s[34:35], 2
	s_delay_alu instid0(SALU_CYCLE_1) | instskip(SKIP_4) | instid1(SALU_CYCLE_1)
	s_add_u32 s4, s2, s4
	s_addc_u32 s5, s3, s5
	s_load_b64 s[4:5], s[4:5], 0x0
	s_waitcnt lgkmcnt(0)
	s_sub_i32 s4, s5, s4
	s_cmp_eq_u32 s4, 1
	s_cselect_b32 s4, -1, 0
	s_delay_alu instid0(SALU_CYCLE_1)
	s_and_not1_b32 vcc_lo, exec_lo, s4
	s_cbranch_vccz .LBB52_4
.LBB52_2:
	s_nop 0
	s_sendmsg sendmsg(MSG_DEALLOC_VGPRS)
	s_endpgm
.LBB52_3:
.LBB52_4:
	s_load_b64 s[8:9], s[0:1], 0x28
	s_lshl_b64 s[4:5], s[34:35], 2
	s_waitcnt lgkmcnt(0)
	s_add_u32 s8, s8, s4
	s_addc_u32 s9, s9, s5
	s_lshl_b32 s31, s14, 8
	s_load_b32 s30, s[8:9], 0x0
	s_waitcnt lgkmcnt(0)
	s_cmp_ge_i32 s31, s30
	s_cbranch_scc1 .LBB52_2
; %bb.5:
	s_clause 0x1
	s_load_b128 s[8:11], s[0:1], 0x8
	s_load_b64 s[12:13], s[0:1], 0x20
	s_and_not1_b32 vcc_lo, exec_lo, s6
	s_cbranch_vccnz .LBB52_7
; %bb.6:
	s_add_u32 s2, s2, s4
	s_addc_u32 s3, s3, s5
	s_load_b32 s3, s[2:3], 0x0
	s_branch .LBB52_8
.LBB52_7:
	s_mov_b32 s3, s34
.LBB52_8:
	s_load_b128 s[4:7], s[0:1], 0x48
	v_lshrrev_b32_e32 v149, 5, v0
	v_bfe_u32 v146, v0, 4, 1
	v_and_b32_e32 v148, 15, v0
	v_and_b32_e32 v150, 31, v0
	v_and_b32_e32 v147, 1, v0
	s_mul_i32 s33, s15, 15
	v_lshl_or_b32 v1, v149, 1, v146
	v_lshlrev_b32_e32 v2, 3, v148
	v_cmp_gt_u32_e64 s2, 8, v148
	s_delay_alu instid0(VALU_DEP_3) | instskip(NEXT) | instid1(VALU_DEP_3)
	v_cmp_gt_u32_e32 vcc_lo, 15, v1
	v_lshlrev_b32_e32 v145, 1, v2
	s_delay_alu instid0(VALU_DEP_3)
	s_and_b32 s16, s2, vcc_lo
	s_waitcnt lgkmcnt(0)
	s_and_saveexec_b32 s7, s16
	s_cbranch_execz .LBB52_10
; %bb.9:
	s_load_b64 s[16:17], s[0:1], 0x0
	v_add_lshl_u32 v2, v1, s33, 6
	s_mul_hi_i32 s19, s3, s4
	s_mul_i32 s18, s3, s4
	v_lshlrev_b32_e32 v6, 10, v148
	s_lshl_b64 s[18:19], s[18:19], 1
	v_ashrrev_i32_e32 v3, 31, v2
	v_lshlrev_b32_e32 v1, 6, v1
	v_lshlrev_b32_e32 v7, 10, v147
	v_and_b32_e32 v6, 0x3800, v6
	s_delay_alu instid0(VALU_DEP_4) | instskip(NEXT) | instid1(VALU_DEP_2)
	v_lshlrev_b64 v[2:3], 1, v[2:3]
	v_or3_b32 v1, v6, v7, v1
	s_waitcnt lgkmcnt(0)
	s_add_u32 s3, s16, s18
	s_addc_u32 s4, s17, s19
	s_delay_alu instid0(VALU_DEP_2) | instskip(SKIP_1) | instid1(VALU_DEP_2)
	v_add_co_u32 v2, vcc_lo, s3, v2
	v_add_co_ci_u32_e32 v3, vcc_lo, s4, v3, vcc_lo
	v_add_co_u32 v2, vcc_lo, v2, v145
	s_delay_alu instid0(VALU_DEP_2)
	v_add_co_ci_u32_e32 v3, vcc_lo, 0, v3, vcc_lo
	global_load_b128 v[2:5], v[2:3], off
	s_waitcnt vmcnt(0)
	ds_store_b128 v1, v[2:5]
.LBB52_10:
	s_or_b32 exec_lo, exec_lo, s7
	s_mov_b32 s40, 0
	s_add_i32 s3, s30, 15
	s_mov_b32 s41, s40
	s_mov_b32 s42, s40
	;; [unrolled: 1-line block ×7, first 2 shown]
	s_delay_alu instid0(SALU_CYCLE_1)
	v_dual_mov_b32 v136, s47 :: v_dual_and_b32 v1, 0xef, v0
	v_mov_b32_e32 v134, s45
	s_clause 0x1
	s_load_b32 s4, s[0:1], 0x38
	s_load_b32 s35, s[0:1], 0x98
	v_add_nc_u32_e32 v1, s31, v1
	s_ashr_i32 s7, s3, 31
	s_load_b32 s36, s[0:1], 0x1c
	s_lshr_b32 s7, s7, 28
	s_waitcnt lgkmcnt(0)
	v_ashrrev_i32_e32 v2, 31, v1
	s_add_i32 s3, s3, s7
	v_cmp_gt_i32_e32 vcc_lo, s30, v1
	s_ashr_i32 s3, s3, 4
	v_mov_b32_e32 v132, s43
	v_lshrrev_b32_e32 v3, 28, v2
	v_or_b32_e32 v2, 16, v1
	s_add_i32 s3, s3, -1
	s_barrier
	buffer_gl0_inv
	v_add_nc_u32_e32 v4, v1, v3
	v_add_nc_u32_e32 v3, v2, v3
	s_mul_i32 s6, s15, s6
	s_mul_i32 s16, s34, s4
	v_mov_b32_e32 v135, s46
	v_ashrrev_i32_e32 v4, 4, v4
	v_ashrrev_i32_e32 v3, 4, v3
	s_ashr_i32 s17, s16, 31
	v_mov_b32_e32 v133, s44
	s_lshl_b64 s[16:17], s[16:17], 2
	v_cndmask_b32_e32 v1, s3, v4, vcc_lo
	v_cmp_gt_i32_e32 vcc_lo, s30, v2
	s_add_u32 s4, s12, s16
	s_addc_u32 s37, s13, s17
	s_ashr_i32 s7, s6, 31
	v_ashrrev_i32_e32 v2, 31, v1
	v_cndmask_b32_e32 v3, s3, v3, vcc_lo
	s_lshl_b64 s[6:7], s[6:7], 1
	v_mov_b32_e32 v131, s42
	s_add_u32 s24, s8, s6
	v_lshlrev_b64 v[1:2], 2, v[1:2]
	v_ashrrev_i32_e32 v4, 31, v3
	s_addc_u32 s25, s9, s7
	s_lshl_b32 s8, s14, 4
	v_mov_b32_e32 v129, s40
	s_ashr_i32 s9, s8, 31
	v_lshlrev_b64 v[3:4], 2, v[3:4]
	v_add_co_u32 v1, vcc_lo, s4, v1
	v_add_co_ci_u32_e32 v2, vcc_lo, s37, v2, vcc_lo
	s_lshl_b64 s[8:9], s[8:9], 2
	s_delay_alu instid0(VALU_DEP_3) | instskip(NEXT) | instid1(VALU_DEP_4)
	v_add_co_u32 v3, vcc_lo, s4, v3
	v_add_co_ci_u32_e32 v4, vcc_lo, s37, v4, vcc_lo
	s_clause 0x1
	global_load_b32 v5, v[1:2], off
	global_load_b32 v6, v[3:4], off
	s_add_u32 s8, s4, s8
	s_addc_u32 s9, s37, s9
	s_or_b32 s12, s31, 16
	v_dual_mov_b32 v130, s41 :: v_dual_lshlrev_b32 v3, 4, v0
	s_ashr_i32 s13, s12, 4
	s_cmp_lt_i32 s12, s30
	s_cselect_b32 s12, s13, s3
	s_delay_alu instid0(SALU_CYCLE_1) | instskip(NEXT) | instid1(SALU_CYCLE_1)
	s_ashr_i32 s13, s12, 31
	s_lshl_b64 s[12:13], s[12:13], 2
	s_delay_alu instid0(SALU_CYCLE_1) | instskip(SKIP_2) | instid1(SALU_CYCLE_1)
	s_add_u32 s12, s4, s12
	s_addc_u32 s13, s37, s13
	s_or_b32 s15, s31, 32
	s_ashr_i32 s16, s15, 4
	s_cmp_lt_i32 s15, s30
	s_cselect_b32 s16, s16, s3
	s_delay_alu instid0(SALU_CYCLE_1) | instskip(NEXT) | instid1(SALU_CYCLE_1)
	s_ashr_i32 s17, s16, 31
	s_lshl_b64 s[16:17], s[16:17], 2
	s_delay_alu instid0(SALU_CYCLE_1) | instskip(SKIP_2) | instid1(SALU_CYCLE_1)
	s_add_u32 s16, s4, s16
	s_addc_u32 s17, s37, s17
	s_or_b32 s15, s31, 48
	;; [unrolled: 10-line block ×4, first 2 shown]
	s_ashr_i32 s22, s15, 4
	s_cmp_lt_i32 s15, s30
	s_cselect_b32 s22, s22, s3
	s_delay_alu instid0(SALU_CYCLE_1) | instskip(NEXT) | instid1(SALU_CYCLE_1)
	s_ashr_i32 s23, s22, 31
	s_lshl_b64 s[22:23], s[22:23], 2
	s_delay_alu instid0(SALU_CYCLE_1)
	s_add_u32 s22, s4, s22
	s_addc_u32 s23, s37, s23
	s_clause 0x5
	s_load_b32 s8, s[8:9], 0x0
	s_load_b32 s12, s[12:13], 0x0
	;; [unrolled: 1-line block ×6, first 2 shown]
	s_waitcnt lgkmcnt(0)
	s_mul_hi_i32 s17, s16, s5
	s_mul_i32 s16, s16, s5
	s_waitcnt vmcnt(1)
	v_mad_i64_i32 v[1:2], null, v5, s5, 0
	v_and_b32_e32 v5, 0xf0, v3
	s_waitcnt vmcnt(0)
	v_mad_i64_i32 v[3:4], null, v6, s5, 0
	s_delay_alu instid0(VALU_DEP_2) | instskip(NEXT) | instid1(VALU_DEP_4)
	v_add_co_u32 v5, s9, s24, v5
	v_lshlrev_b64 v[1:2], 1, v[1:2]
	v_add_co_ci_u32_e64 v6, null, s25, 0, s9
	s_delay_alu instid0(VALU_DEP_4) | instskip(SKIP_1) | instid1(VALU_DEP_3)
	v_lshlrev_b64 v[3:4], 1, v[3:4]
	s_or_b32 s9, s31, 0x60
	v_add_co_u32 v1, vcc_lo, v5, v1
	s_delay_alu instid0(VALU_DEP_3) | instskip(NEXT) | instid1(VALU_DEP_3)
	v_add_co_ci_u32_e32 v2, vcc_lo, v6, v2, vcc_lo
	v_add_co_u32 v3, vcc_lo, v5, v3
	s_delay_alu instid0(VALU_DEP_4)
	v_add_co_ci_u32_e32 v4, vcc_lo, v6, v4, vcc_lo
	s_clause 0x9
	global_load_b128 v[9:12], v[1:2], off
	global_load_b128 v[13:16], v[1:2], off offset:256
	global_load_b128 v[137:140], v[3:4], off
	global_load_b128 v[141:144], v[3:4], off offset:256
	global_load_b128 v[41:44], v[1:2], off offset:512
	;; [unrolled: 1-line block ×7, first 2 shown]
	v_cmp_ne_u32_e32 vcc_lo, 15, v148
	s_clause 0x1
	global_load_b128 v[151:154], v[3:4], off offset:1024
	global_load_b128 v[155:158], v[3:4], off offset:1280
	s_ashr_i32 s13, s9, 4
	s_cmp_lt_i32 s9, s30
	v_lshlrev_b32_e32 v6, 5, v148
	v_cndmask_b32_e32 v5, 0, v148, vcc_lo
	s_cselect_b32 s22, s13, s3
	s_delay_alu instid0(SALU_CYCLE_1) | instskip(NEXT) | instid1(VALU_DEP_1)
	s_ashr_i32 s23, s22, 31
	v_lshlrev_b32_e32 v197, 6, v5
	ds_load_b128 v[159:162], v197
	ds_load_b128 v[163:166], v197 offset:1024
	s_clause 0x3
	global_load_b128 v[167:170], v[1:2], off offset:1536
	global_load_b128 v[171:174], v[1:2], off offset:1792
	;; [unrolled: 1-line block ×4, first 2 shown]
	s_lshl_b64 s[22:23], s[22:23], 2
	v_lshl_or_b32 v5, v149, 9, v6
	s_add_u32 s22, s4, s22
	s_addc_u32 s23, s37, s23
	s_or_b32 s9, s31, 0x70
	s_load_b32 s46, s[22:23], 0x0
	s_ashr_i32 s13, s9, 4
	s_cmp_lt_i32 s9, s30
	s_cselect_b32 s24, s13, s3
	s_delay_alu instid0(SALU_CYCLE_1) | instskip(NEXT) | instid1(SALU_CYCLE_1)
	s_ashr_i32 s25, s24, 31
	s_lshl_b64 s[24:25], s[24:25], 2
	s_delay_alu instid0(SALU_CYCLE_1)
	s_add_u32 s24, s4, s24
	s_addc_u32 s25, s37, s25
	s_or_b32 s9, s31, 0x80
	s_load_b32 s47, s[24:25], 0x0
	s_ashr_i32 s13, s9, 4
	s_cmp_lt_i32 s9, s30
	s_cselect_b32 s26, s13, s3
	s_delay_alu instid0(SALU_CYCLE_1) | instskip(NEXT) | instid1(SALU_CYCLE_1)
	s_ashr_i32 s27, s26, 31
	s_lshl_b64 s[26:27], s[26:27], 2
	s_delay_alu instid0(SALU_CYCLE_1)
	s_add_u32 s26, s4, s26
	s_addc_u32 s27, s37, s27
	s_or_b32 s9, s31, 0x90
	s_load_b32 s48, s[26:27], 0x0
	s_ashr_i32 s13, s9, 4
	s_cmp_lt_i32 s9, s30
	s_cselect_b32 s28, s13, s3
	s_delay_alu instid0(SALU_CYCLE_1) | instskip(NEXT) | instid1(SALU_CYCLE_1)
	s_ashr_i32 s29, s28, 31
	s_lshl_b64 s[28:29], s[28:29], 2
	s_delay_alu instid0(SALU_CYCLE_1) | instskip(SKIP_2) | instid1(SALU_CYCLE_1)
	s_add_u32 s28, s4, s28
	s_addc_u32 s29, s37, s29
	s_or_b32 s9, s31, 0xa0
	s_ashr_i32 s13, s9, 4
	s_cmp_lt_i32 s9, s30
	s_cselect_b32 s38, s13, s3
	s_delay_alu instid0(SALU_CYCLE_1) | instskip(NEXT) | instid1(SALU_CYCLE_1)
	s_ashr_i32 s39, s38, 31
	s_lshl_b64 s[38:39], s[38:39], 2
	s_delay_alu instid0(SALU_CYCLE_1) | instskip(SKIP_2) | instid1(SALU_CYCLE_1)
	s_add_u32 s38, s4, s38
	s_addc_u32 s39, s37, s39
	s_or_b32 s9, s31, 0xb0
	s_ashr_i32 s13, s9, 4
	s_cmp_lt_i32 s9, s30
	s_mul_hi_i32 s9, s8, s5
	s_cselect_b32 s40, s13, s3
	s_mul_i32 s8, s8, s5
	s_ashr_i32 s41, s40, 31
	s_mul_hi_i32 s13, s12, s5
	s_lshl_b64 s[40:41], s[40:41], 2
	s_mul_i32 s12, s12, s5
	s_add_u32 s42, s4, s40
	s_addc_u32 s43, s37, s41
	s_or_b32 s19, s31, 0xc0
	s_delay_alu instid0(SALU_CYCLE_1)
	s_ashr_i32 s21, s19, 4
	s_cmp_lt_i32 s19, s30
	s_mul_hi_i32 s19, s18, s5
	s_cselect_b32 s40, s21, s3
	s_mul_i32 s18, s18, s5
	s_ashr_i32 s41, s40, 31
	s_mul_hi_i32 s21, s20, s5
	s_lshl_b64 s[40:41], s[40:41], 2
	s_mul_i32 s20, s20, s5
	s_add_u32 s44, s4, s40
	s_addc_u32 s45, s37, s41
	s_load_b32 s41, s[28:29], 0x0
	s_or_b32 s40, s31, 0xd0
	s_mul_hi_i32 s23, s15, s5
	s_ashr_i32 s22, s40, 4
	s_cmp_lt_i32 s40, s30
	s_load_b32 s40, s[38:39], 0x0
	s_cselect_b32 s24, s22, s3
	s_mul_i32 s22, s15, s5
	s_ashr_i32 s25, s24, 31
	s_waitcnt lgkmcnt(0)
	s_mul_hi_i32 s29, s48, s5
	s_lshl_b64 s[24:25], s[24:25], 2
	s_mul_i32 s28, s48, s5
	s_add_u32 s24, s4, s24
	s_addc_u32 s25, s37, s25
	s_or_b32 s49, s31, 0xe0
	s_clause 0x2
	s_load_b32 s39, s[42:43], 0x0
	s_load_b32 s38, s[44:45], 0x0
	;; [unrolled: 1-line block ×3, first 2 shown]
	s_ashr_i32 s50, s49, 4
	s_cmp_lt_i32 s49, s30
	s_mul_hi_i32 s25, s46, s5
	s_cselect_b32 s44, s50, s3
	s_mul_i32 s24, s46, s5
	s_ashr_i32 s45, s44, 31
	s_mul_hi_i32 s27, s47, s5
	s_lshl_b64 s[44:45], s[44:45], 2
	s_mul_i32 s26, s47, s5
	s_add_u32 s44, s4, s44
	s_addc_u32 s45, s37, s45
	s_or_b32 s46, s31, 0xf0
	s_mul_hi_i32 s43, s41, s5
	s_ashr_i32 s48, s46, 4
	s_cmp_lt_i32 s46, s30
	s_mul_i32 s42, s41, s5
	s_cselect_b32 s48, s48, s3
	s_mul_hi_i32 s41, s40, s5
	s_ashr_i32 s49, s48, 31
	s_mul_i32 s40, s40, s5
	s_lshl_b64 s[48:49], s[48:49], 2
	s_waitcnt lgkmcnt(0)
	s_mul_hi_i32 s47, s39, s5
	s_add_u32 s48, s4, s48
	s_addc_u32 s49, s37, s49
	s_add_u32 s3, s10, s6
	s_addc_u32 s4, s11, s7
	v_add_co_u32 v195, s3, s3, v5
	s_delay_alu instid0(VALU_DEP_1) | instskip(SKIP_2) | instid1(VALU_DEP_2)
	v_add_co_ci_u32_e64 v196, null, s4, 0, s3
	s_lshl_b64 s[6:7], s[8:9], 1
	s_lshl_b64 s[8:9], s[12:13], 1
	v_add_co_u32 v1, vcc_lo, v195, s6
	s_delay_alu instid0(VALU_DEP_2)
	v_add_co_ci_u32_e32 v2, vcc_lo, s7, v196, vcc_lo
	v_add_co_u32 v3, vcc_lo, v195, s8
	s_lshl_b64 s[10:11], s[16:17], 1
	v_add_co_ci_u32_e32 v4, vcc_lo, s9, v196, vcc_lo
	v_add_co_u32 v5, vcc_lo, v195, s10
	s_lshl_b64 s[12:13], s[18:19], 1
	;; [unrolled: 3-line block ×9, first 2 shown]
	s_mul_i32 s46, s39, s5
	v_add_co_ci_u32_e32 v54, vcc_lo, s27, v196, vcc_lo
	v_add_co_u32 v183, vcc_lo, v195, s28
	s_lshl_b64 s[40:41], s[46:47], 1
	s_mul_hi_i32 s39, s38, s5
	s_mul_i32 s38, s38, s5
	v_add_co_ci_u32_e32 v184, vcc_lo, s29, v196, vcc_lo
	v_add_co_u32 v185, vcc_lo, v195, s40
	s_lshl_b64 s[38:39], s[38:39], 1
	s_clause 0x1
	s_load_b32 s3, s[44:45], 0x0
	s_load_b32 s4, s[48:49], 0x0
	v_add_co_ci_u32_e32 v186, vcc_lo, s41, v196, vcc_lo
	v_add_co_u32 v191, vcc_lo, v195, s38
	v_add_co_ci_u32_e32 v192, vcc_lo, s39, v196, vcc_lo
	s_clause 0x17
	global_load_b128 v[121:124], v[1:2], off
	global_load_b128 v[125:128], v[1:2], off offset:16
	global_load_b128 v[113:116], v[3:4], off
	global_load_b128 v[117:120], v[3:4], off offset:16
	;; [unrolled: 2-line block ×12, first 2 shown]
	s_mul_hi_i32 s51, s15, s5
	s_mul_i32 s50, s15, s5
	s_delay_alu instid0(SALU_CYCLE_1) | instskip(NEXT) | instid1(SALU_CYCLE_1)
	s_lshl_b64 s[42:43], s[50:51], 1
	v_add_co_u32 v193, vcc_lo, v195, s42
	v_add_co_ci_u32_e32 v194, vcc_lo, s43, v196, vcc_lo
	s_waitcnt lgkmcnt(0)
	s_mul_hi_i32 s7, s3, s5
	s_mul_i32 s6, s3, s5
	s_mul_hi_i32 s9, s4, s5
	s_lshl_b64 s[6:7], s[6:7], 1
	s_mul_i32 s8, s4, s5
	s_delay_alu instid0(SALU_CYCLE_1)
	s_lshl_b64 s[4:5], s[8:9], 1
	s_waitcnt vmcnt(38)
	v_wmma_f32_16x16x16_f16 v[183:190], v[9:16], v[159:166], v[129:136]
	s_waitcnt vmcnt(36)
	v_wmma_f32_16x16x16_f16 v[129:136], v[137:144], v[159:166], v[129:136]
	s_clause 0x1
	global_load_b128 v[9:12], v[191:192], off
	global_load_b128 v[13:16], v[191:192], off offset:16
	ds_load_b128 v[137:140], v197 offset:2048
	ds_load_b128 v[141:144], v197 offset:3072
	;; [unrolled: 1-line block ×4, first 2 shown]
	v_add_co_u32 v191, vcc_lo, v195, s6
	v_add_co_ci_u32_e32 v192, vcc_lo, s7, v196, vcc_lo
	v_add_co_u32 v195, vcc_lo, v195, s4
	v_add_co_ci_u32_e32 v196, vcc_lo, s5, v196, vcc_lo
	s_waitcnt vmcnt(36) lgkmcnt(2)
	v_wmma_f32_16x16x16_f16 v[183:190], v[41:48], v[137:144], v[183:190]
	s_waitcnt vmcnt(34)
	v_wmma_f32_16x16x16_f16 v[129:136], v[33:40], v[137:144], v[129:136]
	s_clause 0x3
	global_load_b128 v[33:36], v[193:194], off
	global_load_b128 v[37:40], v[193:194], off offset:16
	global_load_b128 v[41:44], v[191:192], off
	global_load_b128 v[45:48], v[191:192], off offset:16
	v_and_b32_e32 v137, 0xe0, v0
	v_mbcnt_lo_u32_b32 v191, -1, 0
	s_waitcnt vmcnt(36) lgkmcnt(0)
	v_wmma_f32_16x16x16_f16 v[183:190], v[17:24], v[159:166], v[183:190]
	s_clause 0x1
	global_load_b128 v[17:20], v[195:196], off
	global_load_b128 v[21:24], v[195:196], off offset:16
	s_waitcnt vmcnt(36)
	v_wmma_f32_16x16x16_f16 v[129:136], v[151:158], v[159:166], v[129:136]
	v_add_nc_u32_e32 v192, s31, v137
	ds_load_b128 v[137:140], v197 offset:6144
	ds_load_b128 v[141:144], v197 offset:7168
	v_xor_b32_e32 v151, 16, v191
	s_waitcnt vmcnt(0) lgkmcnt(0)
	s_barrier
	v_or_b32_e32 v152, v192, v146
	buffer_gl0_inv
	v_cmp_gt_i32_e32 vcc_lo, 32, v151
	v_or_b32_e32 v153, 2, v152
	v_or_b32_e32 v154, 4, v152
	;; [unrolled: 1-line block ×5, first 2 shown]
	v_cmp_gt_i32_e64 s3, s30, v153
	v_cmp_gt_i32_e64 s4, s30, v154
	;; [unrolled: 1-line block ×3, first 2 shown]
	v_or_b32_e32 v158, 12, v152
	v_or_b32_e32 v159, 14, v152
	v_cmp_gt_i32_e64 s6, s30, v156
	v_wmma_f32_16x16x16_f16 v[183:190], v[167:174], v[137:144], v[183:190]
	v_wmma_f32_16x16x16_f16 v[129:136], v[175:182], v[137:144], v[129:136]
	v_cndmask_b32_e32 v151, v191, v151, vcc_lo
	v_cmp_gt_i32_e32 vcc_lo, s30, v152
	v_cmp_gt_i32_e64 s7, s30, v157
	v_dual_mul_f32 v143, s36, v184 :: v_dual_mul_f32 v144, s36, v183
	v_dual_mul_f32 v141, s36, v186 :: v_dual_mul_f32 v142, s36, v185
	;; [unrolled: 1-line block ×3, first 2 shown]
	s_delay_alu instid0(VALU_DEP_3) | instskip(NEXT) | instid1(VALU_DEP_4)
	v_cndmask_b32_e32 v144, 0xff7fffff, v144, vcc_lo
	v_cndmask_b32_e64 v143, 0xff7fffff, v143, s3
	v_mul_f32_e32 v140, s36, v187
	v_cndmask_b32_e64 v142, 0xff7fffff, v142, s4
	v_cndmask_b32_e64 v141, 0xff7fffff, v141, s5
	v_or_b32_e32 v160, 16, v152
	v_max3_f32 v143, v144, 0xff7fffff, v143
	v_or_b32_e32 v161, 18, v152
	v_dual_mul_f32 v137, s36, v190 :: v_dual_mul_f32 v138, s36, v189
	v_cndmask_b32_e64 v140, 0xff7fffff, v140, s6
	v_cndmask_b32_e64 v139, 0xff7fffff, v139, s7
	v_max3_f32 v141, v143, v142, v141
	v_cmp_gt_i32_e64 s8, s30, v158
	v_cmp_gt_i32_e64 s9, s30, v159
	v_or_b32_e32 v162, 20, v152
	v_or_b32_e32 v163, 22, v152
	v_mul_f32_e32 v175, s36, v129
	v_cndmask_b32_e64 v138, 0xff7fffff, v138, s8
	v_cndmask_b32_e64 v137, 0xff7fffff, v137, s9
	v_max3_f32 v139, v141, v140, v139
	v_cmp_gt_i32_e64 s10, s30, v160
	v_cmp_gt_i32_e64 s11, s30, v161
	v_or_b32_e32 v164, 24, v152
	v_or_b32_e32 v165, 26, v152
	v_dual_mul_f32 v172, s36, v132 :: v_dual_mul_f32 v173, s36, v131
	v_cndmask_b32_e64 v140, 0xff7fffff, v175, s10
	v_cndmask_b32_e64 v141, 0xff7fffff, v174, s11
	v_max3_f32 v137, v139, v138, v137
	v_cmp_gt_i32_e64 s12, s30, v162
	v_cmp_gt_i32_e64 s13, s30, v163
	v_or_b32_e32 v166, 28, v152
	v_or_b32_e32 v167, 30, v152
	v_dual_mul_f32 v170, s36, v134 :: v_dual_mul_f32 v171, s36, v133
	v_cndmask_b32_e64 v138, 0xff7fffff, v173, s12
	v_cndmask_b32_e64 v139, 0xff7fffff, v172, s13
	v_max3_f32 v137, v137, v140, v141
	v_cmp_gt_i32_e64 s15, s30, v164
	v_cmp_gt_i32_e64 s16, s30, v165
	v_dual_mul_f32 v168, s36, v136 :: v_dual_mul_f32 v169, s36, v135
	s_delay_alu instid0(VALU_DEP_4) | instskip(NEXT) | instid1(VALU_DEP_4)
	v_max3_f32 v137, v137, v138, v139
	v_cndmask_b32_e64 v140, 0xff7fffff, v171, s15
	s_delay_alu instid0(VALU_DEP_4) | instskip(SKIP_3) | instid1(VALU_DEP_4)
	v_cndmask_b32_e64 v141, 0xff7fffff, v170, s16
	v_cmp_gt_i32_e64 s17, s30, v166
	v_cmp_gt_i32_e64 s18, s30, v167
	v_lshlrev_b32_e32 v160, 2, v151
	v_max3_f32 v137, v137, v140, v141
	s_delay_alu instid0(VALU_DEP_4) | instskip(NEXT) | instid1(VALU_DEP_4)
	v_cndmask_b32_e64 v138, 0xff7fffff, v169, s17
	v_cndmask_b32_e64 v139, 0xff7fffff, v168, s18
	s_delay_alu instid0(VALU_DEP_1) | instskip(SKIP_3) | instid1(VALU_DEP_1)
	v_max3_f32 v137, v137, v138, v139
	ds_bpermute_b32 v138, v160, v137
	s_waitcnt lgkmcnt(0)
	v_max_f32_e32 v138, v138, v138
	v_max_f32_e32 v137, v137, v138
	s_delay_alu instid0(VALU_DEP_1) | instskip(SKIP_4) | instid1(VALU_DEP_4)
	v_fma_f32 v143, s36, v187, -v137
	v_fma_f32 v130, s36, v130, -v137
	;; [unrolled: 1-line block ×5, first 2 shown]
	v_dual_mul_f32 v143, 0x3fb8aa3b, v143 :: v_dual_mul_f32 v130, 0x3fb8aa3b, v130
	s_delay_alu instid0(VALU_DEP_4) | instskip(SKIP_2) | instid1(VALU_DEP_4)
	v_mul_f32_e32 v140, 0x3fb8aa3b, v140
	v_fma_f32 v152, s36, v189, -v137
	v_fma_f32 v139, s36, v184, -v137
	v_exp_f32_e32 v143, v143
	v_mul_f32_e32 v138, 0x3fb8aa3b, v138
	v_exp_f32_e32 v140, v140
	v_mul_f32_e32 v152, 0x3fb8aa3b, v152
	v_fma_f32 v153, s36, v190, -v137
	v_fma_f32 v144, s36, v188, -v137
	v_exp_f32_e32 v138, v138
	v_fma_f32 v129, s36, v129, -v137
	v_exp_f32_e32 v152, v152
	v_fma_f32 v134, s36, v134, -v137
	v_cndmask_b32_e64 v143, 0, v143, s6
	v_dual_mul_f32 v141, 0x3fb8aa3b, v141 :: v_dual_mul_f32 v144, 0x3fb8aa3b, v144
	v_fma_f32 v132, s36, v132, -v137
	v_mul_f32_e32 v129, 0x3fb8aa3b, v129
	v_exp_f32_e32 v130, v130
	s_delay_alu instid0(VALU_DEP_3)
	v_exp_f32_e32 v151, v141
	v_cndmask_b32_e64 v141, 0, v140, s4
	v_dual_mul_f32 v132, 0x3fb8aa3b, v132 :: v_dual_mul_f32 v139, 0x3fb8aa3b, v139
	v_exp_f32_e32 v144, v144
	v_mul_f32_e32 v134, 0x3fb8aa3b, v134
	v_exp_f32_e32 v129, v129
	v_fma_f32 v131, s36, v131, -v137
	v_exp_f32_e32 v142, v139
	v_exp_f32_e32 v132, v132
	v_cndmask_b32_e64 v140, 0, v151, s5
	v_mul_f32_e32 v151, 0x3fb8aa3b, v153
	v_fma_f32 v133, s36, v133, -v137
	s_delay_alu instid0(VALU_DEP_2) | instskip(SKIP_2) | instid1(TRANS32_DEP_3)
	v_exp_f32_e32 v154, v151
	v_cndmask_b32_e64 v151, 0, v152, s8
	v_cndmask_b32_e32 v139, 0, v138, vcc_lo
	v_cndmask_b32_e64 v138, 0, v142, s3
	v_cmp_gt_u32_e64 s3, 16, v150
	s_delay_alu instid0(VALU_DEP_3) | instskip(NEXT) | instid1(VALU_DEP_1)
	v_add_f32_e32 v142, 0, v139
	v_add_f32_e32 v142, v142, v138
	s_delay_alu instid0(VALU_DEP_1) | instskip(NEXT) | instid1(VALU_DEP_1)
	v_add_f32_e32 v142, v142, v141
	v_add_f32_e32 v153, v142, v140
	v_cndmask_b32_e64 v142, 0, v144, s7
	s_delay_alu instid0(VALU_DEP_2) | instskip(SKIP_1) | instid1(VALU_DEP_2)
	v_add_f32_e32 v144, v153, v143
	v_cndmask_b32_e64 v153, 0, v129, s10
	v_add_f32_e32 v152, v144, v142
	v_cndmask_b32_e64 v144, 0, v154, s9
	v_cndmask_b32_e64 v154, 0, v132, s13
	v_fma_f32 v132, s36, v136, -v137
	s_delay_alu instid0(VALU_DEP_4) | instskip(NEXT) | instid1(VALU_DEP_2)
	v_dual_mul_f32 v133, 0x3fb8aa3b, v133 :: v_dual_add_f32 v152, v152, v151
	v_mul_f32_e32 v132, 0x3fb8aa3b, v132
	s_delay_alu instid0(VALU_DEP_2) | instskip(NEXT) | instid1(VALU_DEP_2)
	v_exp_f32_e32 v133, v133
	v_add_f32_e32 v129, v152, v144
	v_cndmask_b32_e64 v152, 0, v130, s11
	v_fma_f32 v130, s36, v135, -v137
	v_mul_f32_e32 v131, 0x3fb8aa3b, v131
	s_delay_alu instid0(VALU_DEP_2) | instskip(NEXT) | instid1(VALU_DEP_2)
	v_dual_add_f32 v129, v129, v153 :: v_dual_mul_f32 v130, 0x3fb8aa3b, v130
	v_exp_f32_e32 v131, v131
	s_delay_alu instid0(TRANS32_DEP_2) | instskip(NEXT) | instid1(VALU_DEP_2)
	v_cndmask_b32_e64 v157, 0, v133, s15
	v_add_f32_e32 v129, v129, v152
	s_delay_alu instid0(VALU_DEP_3) | instskip(SKIP_4) | instid1(VALU_DEP_2)
	v_exp_f32_e32 v130, v130
	s_waitcnt_depctr 0xfff
	v_cndmask_b32_e64 v155, 0, v131, s12
	v_exp_f32_e32 v131, v134
	v_cndmask_b32_e64 v159, 0, v130, s17
	v_add_f32_e32 v129, v129, v155
	s_delay_alu instid0(VALU_DEP_1) | instskip(SKIP_4) | instid1(VALU_DEP_1)
	v_add_f32_e32 v129, v129, v154
	s_waitcnt_depctr 0xfff
	v_cndmask_b32_e64 v156, 0, v131, s16
	v_exp_f32_e32 v131, v132
	v_add_f32_e32 v129, v129, v157
	v_add_f32_e32 v129, v129, v156
	s_waitcnt_depctr 0xfff
	v_cndmask_b32_e64 v158, 0, v131, s18
	v_add_f32_e32 v129, v129, v159
	s_delay_alu instid0(VALU_DEP_1)
	v_add_f32_e32 v129, v129, v158
	ds_bpermute_b32 v130, v160, v129
	s_and_saveexec_b32 s4, s3
	s_cbranch_execz .LBB52_12
; %bb.11:
	v_mul_u32_u24_e32 v131, 0x44, v149
	s_delay_alu instid0(VALU_DEP_1) | instskip(SKIP_1) | instid1(VALU_DEP_1)
	v_lshl_add_u32 v131, v148, 2, v131
	s_waitcnt lgkmcnt(0)
	v_dual_add_f32 v129, v129, v130 :: v_dual_add_nc_u32 v130, 0x4000, v131
	ds_store_2addr_b32 v130, v137, v129 offset1:136
.LBB52_12:
	s_or_b32 exec_lo, exec_lo, s4
	v_lshlrev_b32_e32 v129, 2, v148
	s_load_b32 s36, s[0:1], 0x94
	s_waitcnt lgkmcnt(0)
	s_barrier
	buffer_gl0_inv
	v_add_nc_u32_e32 v135, 0x4000, v129
	v_cmp_eq_u32_e32 vcc_lo, 1, v149
	v_cmp_eq_u32_e64 s4, 2, v149
	v_cmp_eq_u32_e64 s5, 3, v149
	;; [unrolled: 1-line block ×3, first 2 shown]
	ds_load_2addr_b32 v[129:130], v135 offset1:17
	ds_load_2addr_b32 v[131:132], v135 offset0:34 offset1:51
	ds_load_2addr_b32 v[133:134], v135 offset0:68 offset1:85
	;; [unrolled: 1-line block ×3, first 2 shown]
	v_cmp_eq_u32_e64 s7, 5, v149
	v_cmp_eq_u32_e64 s8, 7, v149
	s_waitcnt lgkmcnt(3)
	v_max3_f32 v136, v129, 0xff7fffff, v130
	s_waitcnt lgkmcnt(2)
	s_delay_alu instid0(VALU_DEP_1) | instskip(SKIP_1) | instid1(VALU_DEP_1)
	v_max3_f32 v136, v136, v131, v132
	s_waitcnt lgkmcnt(1)
	v_max3_f32 v136, v136, v133, v134
	s_waitcnt lgkmcnt(0)
	s_delay_alu instid0(VALU_DEP_1) | instskip(NEXT) | instid1(VALU_DEP_1)
	v_max3_f32 v136, v136, v160, v161
	v_sub_f32_e32 v164, v132, v136
	ds_load_2addr_b32 v[162:163], v135 offset0:136 offset1:153
	v_sub_f32_e32 v129, v129, v136
	v_sub_f32_e32 v137, v130, v136
	;; [unrolled: 1-line block ×3, first 2 shown]
	v_mul_f32_e32 v164, 0x3fb8aa3b, v164
	s_delay_alu instid0(VALU_DEP_4) | instskip(NEXT) | instid1(VALU_DEP_4)
	v_mul_f32_e32 v150, 0x3fb8aa3b, v129
	v_mul_f32_e32 v137, 0x3fb8aa3b, v137
	ds_load_2addr_b32 v[129:130], v135 offset0:170 offset1:187
	v_mul_f32_e32 v167, 0x3fb8aa3b, v133
	v_exp_f32_e32 v164, v164
	v_exp_f32_e32 v150, v150
	;; [unrolled: 1-line block ×3, first 2 shown]
	v_sub_f32_e32 v131, v131, v136
	s_delay_alu instid0(VALU_DEP_1)
	v_mul_f32_e32 v165, 0x3fb8aa3b, v131
	ds_load_2addr_b32 v[131:132], v135 offset0:204 offset1:221
	s_waitcnt lgkmcnt(2)
	v_fma_f32 v137, v150, v162, 0
	v_sub_f32_e32 v162, v134, v136
	v_exp_f32_e32 v165, v165
	ds_load_2addr_b32 v[133:134], v135 offset0:238 offset1:255
	v_sub_f32_e32 v135, v160, v136
	v_dual_fmac_f32 v137, v166, v163 :: v_dual_mul_f32 v160, 0x3fb8aa3b, v162
	v_exp_f32_e32 v162, v167
	s_waitcnt lgkmcnt(0)
	s_delay_alu instid0(VALU_DEP_2)
	v_mul_f32_e32 v135, 0x3fb8aa3b, v135
	s_barrier
	v_exp_f32_e32 v160, v160
	v_fmac_f32_e32 v137, v165, v129
	v_sub_f32_e32 v129, v161, v136
	v_exp_f32_e32 v161, v135
	buffer_gl0_inv
	v_fmac_f32_e32 v137, v164, v130
	v_dual_mul_f32 v129, 0x3fb8aa3b, v129 :: v_dual_cndmask_b32 v130, v150, v166
	s_delay_alu instid0(VALU_DEP_2) | instskip(NEXT) | instid1(VALU_DEP_2)
	v_fmac_f32_e32 v137, v162, v131
	v_exp_f32_e32 v163, v129
	s_delay_alu instid0(VALU_DEP_1) | instskip(NEXT) | instid1(VALU_DEP_1)
	v_fmac_f32_e32 v137, v160, v132
	v_fmac_f32_e32 v137, v161, v133
	v_lshlrev_b32_e32 v133, 6, v148
	s_waitcnt_depctr 0xfff
	v_fmac_f32_e32 v137, v163, v134
	v_lshl_or_b32 v135, v149, 11, v133
	s_delay_alu instid0(VALU_DEP_2) | instskip(NEXT) | instid1(VALU_DEP_1)
	v_add_f32_e32 v134, 0x358637bd, v137
	v_div_scale_f32 v167, null, v134, v134, 1.0
	v_div_scale_f32 v150, vcc_lo, 1.0, v134, 1.0
	s_delay_alu instid0(VALU_DEP_2) | instskip(SKIP_2) | instid1(VALU_DEP_1)
	v_rcp_f32_e32 v168, v167
	s_waitcnt_depctr 0xfff
	v_fma_f32 v129, -v167, v168, 1.0
	v_fmac_f32_e32 v168, v129, v168
	v_cndmask_b32_e64 v129, v130, v165, s4
	v_cmp_eq_u32_e64 s4, 6, v149
	s_delay_alu instid0(VALU_DEP_3) | instskip(NEXT) | instid1(VALU_DEP_3)
	v_mul_f32_e32 v165, v150, v168
	v_cndmask_b32_e64 v130, v129, v164, s5
	v_lshlrev_b32_e32 v129, 2, v146
	s_delay_alu instid0(VALU_DEP_3) | instskip(NEXT) | instid1(VALU_DEP_3)
	v_fma_f32 v131, -v167, v165, v150
	v_cndmask_b32_e64 v162, v130, v162, s6
	s_delay_alu instid0(VALU_DEP_3)
	v_or_b32_e32 v130, 1, v129
	v_or_b32_e32 v132, 2, v129
	v_cmp_eq_u32_e64 s5, 1, v129
	v_fmac_f32_e32 v165, v131, v168
	v_cndmask_b32_e64 v149, v162, v160, s7
	v_or_b32_e32 v131, 3, v129
	v_cmp_eq_u32_e64 s10, 1, v130
	v_cmp_eq_u32_e64 s11, 1, v132
	v_fma_f32 v150, -v167, v165, v150
	v_cndmask_b32_e64 v149, v149, v161, s4
	v_cmp_eq_u32_e64 s12, 1, v131
	v_cmp_eq_u32_e64 s6, 2, v129
	;; [unrolled: 1-line block ×3, first 2 shown]
	v_div_fmas_f32 v150, v150, v168, v165
	v_cndmask_b32_e64 v149, v149, v163, s8
	v_cmp_eq_u32_e64 s16, 2, v132
	v_cmp_eq_u32_e64 s17, 2, v131
	v_cmp_eq_u32_e32 vcc_lo, 3, v129
	v_div_fixup_f32 v150, v150, v134, 1.0
	v_lshl_or_b32 v134, v146, 4, v135
	v_cmp_eq_u32_e64 s15, 3, v130
	v_cmp_eq_u32_e64 s19, 3, v131
	v_cmp_eq_u32_e64 s4, 4, v129
	v_mul_f32_e32 v149, v149, v150
	v_cmp_eq_u32_e64 s18, 3, v132
	v_cmp_eq_u32_e64 s20, 4, v130
	;; [unrolled: 1-line block ×4, first 2 shown]
	v_fma_mixlo_f16 v160, v149, v139, 0
	v_fma_mixlo_f16 v161, v149, v141, 0
	;; [unrolled: 1-line block ×8, first 2 shown]
	v_fma_mixhi_f16 v160, v149, v138, 0
	v_fma_mixhi_f16 v161, v149, v140, 0
	;; [unrolled: 1-line block ×8, first 2 shown]
	ds_store_b128 v134, v[160:163]
	ds_store_b128 v134, v[164:167] offset:1024
	s_waitcnt lgkmcnt(0)
	s_barrier
	buffer_gl0_inv
	ds_load_b128 v[138:141], v135
	ds_load_b128 v[149:152], v135 offset:16
	ds_load_b128 v[153:156], v135 offset:1024
	ds_load_b128 v[157:160], v135 offset:1040
	v_cmp_eq_u32_e64 s21, 5, v130
	v_cmp_eq_u32_e64 s22, 4, v132
	;; [unrolled: 1-line block ×12, first 2 shown]
	s_waitcnt lgkmcnt(3)
	v_lshrrev_b32_e32 v142, 16, v138
	s_waitcnt lgkmcnt(2)
	v_lshrrev_b32_e32 v162, 16, v149
	;; [unrolled: 2-line block ×4, first 2 shown]
	v_lshrrev_b32_e32 v143, 16, v139
	v_cndmask_b32_e64 v174, v138, v142, s5
	v_cndmask_b32_e64 v175, v149, v162, s5
	;; [unrolled: 1-line block ×7, first 2 shown]
	v_lshrrev_b32_e32 v163, 16, v150
	v_cndmask_b32_e64 v179, v149, v162, s11
	v_cndmask_b32_e64 v149, v153, v166, s5
	;; [unrolled: 1-line block ×16, first 2 shown]
	v_lshrrev_b32_e32 v167, 16, v154
	v_lshrrev_b32_e32 v171, 16, v158
	v_cndmask_b32_e64 v177, v179, v150, s16
	v_cndmask_b32_e64 v142, v149, v154, s6
	;; [unrolled: 1-line block ×7, first 2 shown]
	v_cndmask_b32_e32 v157, v166, v143, vcc_lo
	v_cndmask_b32_e32 v166, v170, v163, vcc_lo
	v_cndmask_b32_e64 v170, v174, v143, s15
	v_cndmask_b32_e64 v174, v175, v163, s15
	v_cndmask_b32_e64 v138, v138, v143, s19
	v_cndmask_b32_e64 v139, v139, v163, s19
	v_lshrrev_b32_e32 v144, 16, v140
	v_lshrrev_b32_e32 v164, 16, v151
	v_cndmask_b32_e64 v175, v176, v143, s18
	v_cndmask_b32_e64 v176, v177, v163, s18
	v_cndmask_b32_e32 v142, v142, v167, vcc_lo
	v_cndmask_b32_e32 v143, v149, v171, vcc_lo
	v_cndmask_b32_e64 v149, v150, v167, s15
	v_cndmask_b32_e64 v150, v157, v140, s4
	;; [unrolled: 1-line block ×7, first 2 shown]
	v_lshrrev_b32_e32 v168, 16, v155
	v_cndmask_b32_e64 v170, v175, v140, s22
	v_cndmask_b32_e64 v174, v176, v151, s22
	;; [unrolled: 1-line block ×11, first 2 shown]
	v_lshrrev_b32_e32 v161, 16, v141
	v_lshrrev_b32_e32 v165, 16, v152
	v_cndmask_b32_e64 v163, v170, v144, s24
	v_cndmask_b32_e64 v166, v174, v164, s24
	;; [unrolled: 1-line block ×9, first 2 shown]
	v_lshrrev_b32_e32 v169, 16, v156
	v_cndmask_b32_e64 v140, v140, v168, s7
	v_cndmask_b32_e64 v157, v163, v141, s27
	;; [unrolled: 1-line block ×14, first 2 shown]
	v_perm_b32 v141, v139, v138, 0x5040100
	v_perm_b32 v139, v151, v149, 0x5040100
	v_cndmask_b32_e64 v138, v183, v158, s16
	v_cndmask_b32_e64 v149, v181, v158, s13
	;; [unrolled: 1-line block ×3, first 2 shown]
	v_perm_b32 v140, v152, v150, 0x5040100
	v_cndmask_b32_e64 v150, v162, v167, s18
	v_cndmask_b32_e64 v151, v153, v167, s19
	;; [unrolled: 1-line block ×5, first 2 shown]
	v_lshrrev_b32_e32 v172, 16, v159
	v_cndmask_b32_e64 v150, v150, v155, s22
	v_cndmask_b32_e64 v151, v151, v155, s23
	v_cndmask_b32_e64 v152, v152, v159, s23
	v_cndmask_b32_e64 v138, v138, v159, s22
	v_cndmask_b32_e64 v149, v149, v159, s20
	v_cndmask_b32_e64 v142, v142, v172, s7
	v_cndmask_b32_e64 v150, v150, v168, s24
	v_cndmask_b32_e64 v151, v151, v168, s25
	v_cndmask_b32_e64 v152, v152, v172, s25
	v_cndmask_b32_e64 v138, v138, v172, s24
	v_cndmask_b32_e64 v149, v149, v172, s21
	v_lshrrev_b32_e32 v173, 16, v160
	v_cndmask_b32_e64 v142, v142, v160, s8
	v_cndmask_b32_e64 v150, v150, v156, s27
	;; [unrolled: 1-line block ×12, first 2 shown]
	v_perm_b32 v138, v144, v143, 0x5040100
	v_perm_b32 v152, v152, v151, 0x5040100
	;; [unrolled: 1-line block ×5, first 2 shown]
	s_mul_i32 s8, s35, 15
	s_mov_b32 s4, exec_lo
	ds_store_b128 v134, v[138:141]
	ds_store_b128 v134, v[149:152] offset:1024
	v_cmpx_gt_u32_e32 15, v0
	s_cbranch_execz .LBB52_14
; %bb.13:
	s_mul_i32 s5, s8, s34
	s_load_b128 s[16:19], s[0:1], 0x58
	v_add3_u32 v140, s5, s33, v148
	s_delay_alu instid0(VALU_DEP_1) | instskip(NEXT) | instid1(VALU_DEP_1)
	v_mad_u64_u32 v[138:139], null, v140, s36, s[14:15]
	v_ashrrev_i32_e32 v139, 31, v138
	s_delay_alu instid0(VALU_DEP_1) | instskip(SKIP_1) | instid1(VALU_DEP_1)
	v_lshlrev_b64 v[138:139], 2, v[138:139]
	s_waitcnt lgkmcnt(0)
	v_add_co_u32 v140, vcc_lo, s18, v138
	s_delay_alu instid0(VALU_DEP_2)
	v_add_co_ci_u32_e32 v141, vcc_lo, s19, v139, vcc_lo
	v_add_co_u32 v138, vcc_lo, s16, v138
	v_add_co_ci_u32_e32 v139, vcc_lo, s17, v139, vcc_lo
	global_store_b32 v[140:141], v136, off
	global_store_b32 v[138:139], v137, off
.LBB52_14:
	s_or_b32 exec_lo, exec_lo, s4
	s_waitcnt lgkmcnt(0)
	s_waitcnt_vscnt null, 0x0
	s_barrier
	buffer_gl0_inv
	ds_load_b128 v[148:151], v133
	ds_load_b128 v[152:155], v133 offset:16
	ds_load_b128 v[160:163], v133 offset:1040
	ds_load_b128 v[156:159], v133 offset:1024
	ds_load_b128 v[168:171], v133 offset:2064
	ds_load_b128 v[164:167], v133 offset:2048
	v_cmp_eq_u32_e32 vcc_lo, 1, v132
	v_mov_b32_e32 v136, 0
	ds_load_b128 v[176:179], v133 offset:3088
	ds_load_b128 v[172:175], v133 offset:3072
	ds_load_b128 v[184:187], v133 offset:4112
	ds_load_b128 v[180:183], v133 offset:4096
	v_cmp_eq_u32_e64 s4, 1, v129
	v_cmp_eq_u32_e64 s5, 1, v131
	;; [unrolled: 1-line block ×3, first 2 shown]
	v_mov_b32_e32 v137, v136
	v_mov_b32_e32 v138, v136
	;; [unrolled: 1-line block ×7, first 2 shown]
	v_cmp_eq_u32_e64 s7, 2, v129
	s_waitcnt lgkmcnt(8)
	s_delay_alu instid0(VALU_DEP_2)
	v_wmma_f32_16x16x16_f16 v[136:143], v[121:128], v[148:155], v[136:143]
	ds_load_b128 v[125:128], v133 offset:5136
	ds_load_b128 v[121:124], v133 offset:5120
	s_waitcnt lgkmcnt(8)
	v_wmma_f32_16x16x16_f16 v[136:143], v[113:120], v[156:163], v[136:143]
	ds_load_b128 v[117:120], v133 offset:6160
	ds_load_b128 v[113:116], v133 offset:6144
	s_waitcnt lgkmcnt(8)
	;; [unrolled: 4-line block ×11, first 2 shown]
	s_barrier
	buffer_gl0_inv
	v_wmma_f32_16x16x16_f16 v[136:143], v[1:8], v[73:80], v[136:143]
	s_delay_alu instid0(VALU_DEP_1) | instskip(NEXT) | instid1(VALU_DEP_1)
	v_wmma_f32_16x16x16_f16 v[136:143], v[9:16], v[65:72], v[136:143]
	v_wmma_f32_16x16x16_f16 v[136:143], v[33:40], v[57:64], v[136:143]
	s_delay_alu instid0(VALU_DEP_1) | instskip(NEXT) | instid1(VALU_DEP_1)
	v_wmma_f32_16x16x16_f16 v[136:143], v[41:48], v[49:56], v[136:143]
	v_wmma_f32_16x16x16_f16 v[136:143], v[17:24], v[25:32], v[136:143]
	s_delay_alu instid0(VALU_DEP_1) | instskip(NEXT) | instid1(VALU_DEP_2)
	v_cvt_f16_f32_e64 v1, v136
	v_cvt_f16_f32_e64 v2, v137
	s_delay_alu instid0(VALU_DEP_3) | instskip(NEXT) | instid1(VALU_DEP_4)
	v_cvt_f16_f32_e64 v3, v138
	v_cvt_f16_f32_e64 v4, v139
	;; [unrolled: 1-line block ×6, first 2 shown]
	v_pack_b32_f16 v1, v1, v2
	v_pack_b32_f16 v2, v3, v4
	;; [unrolled: 1-line block ×3, first 2 shown]
	s_delay_alu instid0(VALU_DEP_4)
	v_pack_b32_f16 v4, v7, v8
	ds_store_b128 v134, v[1:4]
	s_waitcnt lgkmcnt(0)
	s_barrier
	buffer_gl0_inv
	ds_load_b128 v[1:4], v135
	ds_load_b128 v[5:8], v135 offset:16
	s_waitcnt lgkmcnt(1)
	v_lshrrev_b32_e32 v9, 16, v1
	s_waitcnt lgkmcnt(0)
	v_lshrrev_b32_e32 v13, 16, v5
	v_lshrrev_b32_e32 v10, 16, v2
	;; [unrolled: 1-line block ×4, first 2 shown]
	v_cndmask_b32_e64 v17, v1, v9, s4
	v_cndmask_b32_e64 v18, v5, v13, s4
	;; [unrolled: 1-line block ×3, first 2 shown]
	v_cmp_eq_u32_e64 s4, 2, v130
	v_cndmask_b32_e64 v20, v5, v13, s6
	v_cndmask_b32_e32 v21, v1, v9, vcc_lo
	v_cndmask_b32_e32 v22, v5, v13, vcc_lo
	v_cndmask_b32_e64 v1, v1, v9, s5
	v_cndmask_b32_e64 v5, v5, v13, s5
	v_cmp_eq_u32_e32 vcc_lo, 2, v132
	v_cmp_eq_u32_e64 s5, 2, v131
	v_cndmask_b32_e64 v9, v17, v2, s7
	v_cndmask_b32_e64 v13, v18, v6, s7
	;; [unrolled: 1-line block ×4, first 2 shown]
	v_cndmask_b32_e32 v19, v21, v2, vcc_lo
	v_cmp_eq_u32_e64 s4, 3, v132
	v_cndmask_b32_e32 v20, v22, v6, vcc_lo
	v_cndmask_b32_e64 v1, v1, v2, s5
	v_cmp_eq_u32_e32 vcc_lo, 3, v131
	v_cmp_eq_u32_e64 s6, 3, v129
	v_cndmask_b32_e64 v2, v5, v6, s5
	v_cmp_eq_u32_e64 s5, 3, v130
	v_cmp_eq_u32_e64 s7, 4, v129
	v_cndmask_b32_e32 v1, v1, v10, vcc_lo
	v_cndmask_b32_e64 v5, v9, v10, s6
	v_cndmask_b32_e64 v6, v13, v14, s6
	;; [unrolled: 1-line block ×3, first 2 shown]
	v_cmp_eq_u32_e64 s6, 4, v130
	v_cndmask_b32_e64 v13, v18, v14, s5
	v_cndmask_b32_e64 v17, v19, v10, s4
	;; [unrolled: 1-line block ×3, first 2 shown]
	v_cndmask_b32_e32 v2, v2, v14, vcc_lo
	v_cmp_eq_u32_e32 vcc_lo, 4, v132
	v_cmp_eq_u32_e64 s5, 4, v131
	v_lshrrev_b32_e32 v15, 16, v7
	v_cndmask_b32_e64 v5, v5, v3, s7
	v_cndmask_b32_e64 v6, v6, v7, s7
	v_cndmask_b32_e32 v14, v18, v7, vcc_lo
	v_cndmask_b32_e64 v9, v9, v3, s6
	v_cndmask_b32_e64 v10, v13, v7, s6
	v_cndmask_b32_e32 v13, v17, v3, vcc_lo
	v_cmp_eq_u32_e64 s4, 5, v132
	v_cndmask_b32_e64 v1, v1, v3, s5
	v_cmp_eq_u32_e32 vcc_lo, 5, v131
	v_cmp_eq_u32_e64 s6, 5, v129
	v_cndmask_b32_e64 v2, v2, v7, s5
	v_cmp_eq_u32_e64 s5, 5, v130
	v_cmp_eq_u32_e64 s7, 6, v129
	v_lshrrev_b32_e32 v12, 16, v4
	v_cndmask_b32_e64 v3, v5, v11, s6
	v_cndmask_b32_e64 v5, v6, v15, s6
	;; [unrolled: 1-line block ×3, first 2 shown]
	v_cmp_eq_u32_e64 s6, 6, v130
	v_cndmask_b32_e64 v7, v10, v15, s5
	v_cndmask_b32_e64 v9, v13, v11, s4
	;; [unrolled: 1-line block ×3, first 2 shown]
	v_cndmask_b32_e32 v1, v1, v11, vcc_lo
	v_cndmask_b32_e32 v2, v2, v15, vcc_lo
	v_cmp_eq_u32_e32 vcc_lo, 6, v132
	v_cmp_eq_u32_e64 s4, 6, v131
	v_lshrrev_b32_e32 v16, 16, v8
	v_cndmask_b32_e64 v3, v3, v4, s7
	v_cndmask_b32_e64 v5, v5, v8, s7
	v_cndmask_b32_e32 v9, v9, v4, vcc_lo
	v_cndmask_b32_e64 v6, v6, v4, s6
	v_cndmask_b32_e64 v7, v7, v8, s6
	v_cmp_eq_u32_e64 s5, 7, v132
	v_cndmask_b32_e32 v10, v10, v8, vcc_lo
	v_cndmask_b32_e64 v1, v1, v4, s4
	v_cmp_eq_u32_e32 vcc_lo, 7, v131
	v_cndmask_b32_e64 v2, v2, v8, s4
	v_cmp_eq_u32_e64 s4, 7, v129
	v_cmp_eq_u32_e64 s6, 7, v130
	v_cndmask_b32_e32 v1, v1, v12, vcc_lo
	s_delay_alu instid0(VALU_DEP_4) | instskip(NEXT) | instid1(VALU_DEP_4)
	v_cndmask_b32_e32 v2, v2, v16, vcc_lo
	v_cndmask_b32_e64 v8, v3, v12, s4
	s_delay_alu instid0(VALU_DEP_4)
	v_cndmask_b32_e64 v6, v6, v12, s6
	v_cndmask_b32_e64 v3, v9, v12, s5
	;; [unrolled: 1-line block ×5, first 2 shown]
	v_cmp_gt_u32_e32 vcc_lo, 32, v0
	v_perm_b32 v4, v2, v1, 0x5040100
	v_perm_b32 v3, v9, v3, 0x5040100
	;; [unrolled: 1-line block ×4, first 2 shown]
	s_and_b32 s2, vcc_lo, s2
	ds_store_b128 v134, v[1:4]
	s_waitcnt lgkmcnt(0)
	s_barrier
	buffer_gl0_inv
	s_and_saveexec_b32 s4, s2
	s_cbranch_execz .LBB52_2
; %bb.15:
	s_load_b64 s[4:5], s[0:1], 0x68
	v_add_nc_u32_e32 v20, s33, v146
	v_lshlrev_b32_e32 v0, 10, v0
	v_lshlrev_b32_e32 v1, 4, v147
	s_lshl_b32 s0, s36, 6
	s_delay_alu instid0(SALU_CYCLE_1)
	s_mul_i32 s1, s0, s34
	v_add_nc_u32_e32 v2, 2, v20
	s_mul_i32 s6, s1, s8
	v_and_or_b32 v0, 0x3800, v0, v1
	v_mul_lo_u32 v1, v20, s0
	s_ashr_i32 s7, s6, 31
	v_mul_lo_u32 v11, v2, s0
	s_lshl_b64 s[6:7], s[6:7], 1
	v_add_nc_u32_e32 v3, 4, v20
	v_lshl_or_b32 v21, v146, 6, v0
	v_add_nc_u32_e32 v16, 6, v20
	v_ashrrev_i32_e32 v2, 31, v1
	s_delay_alu instid0(VALU_DEP_4)
	v_mul_lo_u32 v13, v3, s0
	s_waitcnt lgkmcnt(0)
	s_add_u32 s1, s4, s6
	s_addc_u32 s2, s5, s7
	s_lshl_b32 s4, s14, 6
	ds_load_b128 v[3:6], v21
	ds_load_b128 v[7:10], v21 offset:128
	s_ashr_i32 s5, s4, 31
	v_ashrrev_i32_e32 v12, 31, v11
	s_lshl_b64 s[4:5], s[4:5], 1
	v_lshlrev_b64 v[14:15], 1, v[1:2]
	s_add_u32 s1, s1, s4
	s_addc_u32 s2, s2, s5
	v_add_co_u32 v1, s1, s1, v145
	s_delay_alu instid0(VALU_DEP_1) | instskip(SKIP_1) | instid1(VALU_DEP_3)
	v_add_co_ci_u32_e64 v2, null, s2, 0, s1
	v_lshlrev_b64 v[11:12], 1, v[11:12]
	v_add_co_u32 v18, vcc_lo, v1, v14
	v_mul_lo_u32 v16, v16, s0
	s_delay_alu instid0(VALU_DEP_4) | instskip(NEXT) | instid1(VALU_DEP_4)
	v_add_co_ci_u32_e32 v19, vcc_lo, v2, v15, vcc_lo
	v_add_co_u32 v11, vcc_lo, v1, v11
	v_ashrrev_i32_e32 v14, 31, v13
	v_add_co_ci_u32_e32 v12, vcc_lo, v2, v12, vcc_lo
	v_add_nc_u32_e32 v15, 8, v20
	v_ashrrev_i32_e32 v17, 31, v16
	s_waitcnt lgkmcnt(1)
	global_store_b128 v[18:19], v[3:6], off
	v_lshlrev_b64 v[3:4], 1, v[13:14]
	s_waitcnt lgkmcnt(0)
	global_store_b128 v[11:12], v[7:10], off
	v_mul_lo_u32 v11, v15, s0
	v_add_nc_u32_e32 v7, 10, v20
	v_lshlrev_b64 v[5:6], 1, v[16:17]
	v_add_co_u32 v23, vcc_lo, v1, v3
	v_add_nc_u32_e32 v3, 12, v20
	s_delay_alu instid0(VALU_DEP_4)
	v_mul_lo_u32 v25, v7, s0
	v_ashrrev_i32_e32 v12, 31, v11
	v_add_co_ci_u32_e32 v24, vcc_lo, v2, v4, vcc_lo
	v_add_co_u32 v27, vcc_lo, v1, v5
	v_mul_lo_u32 v29, v3, s0
	v_add_co_ci_u32_e32 v28, vcc_lo, v2, v6, vcc_lo
	ds_load_b128 v[3:6], v21 offset:256
	ds_load_b128 v[7:10], v21 offset:384
	v_lshlrev_b64 v[31:32], 1, v[11:12]
	ds_load_b128 v[11:14], v21 offset:512
	ds_load_b128 v[15:18], v21 offset:640
	;; [unrolled: 1-line block ×3, first 2 shown]
	v_ashrrev_i32_e32 v26, 31, v25
	v_ashrrev_i32_e32 v30, 31, v29
	v_add_co_u32 v31, vcc_lo, v1, v31
	s_delay_alu instid0(VALU_DEP_3) | instskip(NEXT) | instid1(VALU_DEP_3)
	v_lshlrev_b64 v[25:26], 1, v[25:26]
	v_lshlrev_b64 v[29:30], 1, v[29:30]
	v_add_co_ci_u32_e32 v32, vcc_lo, v2, v32, vcc_lo
	s_delay_alu instid0(VALU_DEP_3) | instskip(NEXT) | instid1(VALU_DEP_4)
	v_add_co_u32 v25, vcc_lo, v1, v25
	v_add_co_ci_u32_e32 v26, vcc_lo, v2, v26, vcc_lo
	s_delay_alu instid0(VALU_DEP_4)
	v_add_co_u32 v29, vcc_lo, v1, v29
	v_add_co_ci_u32_e32 v30, vcc_lo, v2, v30, vcc_lo
	s_waitcnt lgkmcnt(4)
	global_store_b128 v[23:24], v[3:6], off
	s_waitcnt lgkmcnt(3)
	global_store_b128 v[27:28], v[7:10], off
	;; [unrolled: 2-line block ×5, first 2 shown]
	s_and_b32 exec_lo, exec_lo, s3
	s_cbranch_execz .LBB52_2
; %bb.16:
	ds_load_b128 v[3:6], v0 offset:896
	s_add_i32 s1, s33, 14
	s_delay_alu instid0(SALU_CYCLE_1) | instskip(NEXT) | instid1(SALU_CYCLE_1)
	s_mul_i32 s0, s1, s0
	s_ashr_i32 s1, s0, 31
	s_delay_alu instid0(SALU_CYCLE_1) | instskip(NEXT) | instid1(SALU_CYCLE_1)
	s_lshl_b64 s[0:1], s[0:1], 1
	v_add_co_u32 v0, vcc_lo, v1, s0
	v_add_co_ci_u32_e32 v1, vcc_lo, s1, v2, vcc_lo
	s_waitcnt lgkmcnt(0)
	global_store_b128 v[0:1], v[3:6], off
	s_nop 0
	s_sendmsg sendmsg(MSG_DEALLOC_VGPRS)
	s_endpgm
	.section	.rodata,"a",@progbits
	.p2align	6, 0x0
	.amdhsa_kernel _Z39paged_attention_ll4mi_QKV_mfma16_kernelIDF16_DF16_LN4vllm18Fp8KVCacheDataTypeE0EhLi16ELi64ELi256ELb0ELi15EL8MFMAType0EEvPKT_PKT0_S8_ifPKiSA_SA_iPKfiiiPfSD_PS3_PT2_iSC_SC_
		.amdhsa_group_segment_fixed_size 17472
		.amdhsa_private_segment_fixed_size 0
		.amdhsa_kernarg_size 400
		.amdhsa_user_sgpr_count 13
		.amdhsa_user_sgpr_dispatch_ptr 0
		.amdhsa_user_sgpr_queue_ptr 0
		.amdhsa_user_sgpr_kernarg_segment_ptr 1
		.amdhsa_user_sgpr_dispatch_id 0
		.amdhsa_user_sgpr_private_segment_size 0
		.amdhsa_wavefront_size32 1
		.amdhsa_uses_dynamic_stack 0
		.amdhsa_enable_private_segment 0
		.amdhsa_system_sgpr_workgroup_id_x 1
		.amdhsa_system_sgpr_workgroup_id_y 1
		.amdhsa_system_sgpr_workgroup_id_z 1
		.amdhsa_system_sgpr_workgroup_info 0
		.amdhsa_system_vgpr_workitem_id 0
		.amdhsa_next_free_vgpr 198
		.amdhsa_next_free_sgpr 52
		.amdhsa_reserve_vcc 1
		.amdhsa_float_round_mode_32 0
		.amdhsa_float_round_mode_16_64 0
		.amdhsa_float_denorm_mode_32 3
		.amdhsa_float_denorm_mode_16_64 3
		.amdhsa_dx10_clamp 1
		.amdhsa_ieee_mode 1
		.amdhsa_fp16_overflow 0
		.amdhsa_workgroup_processor_mode 1
		.amdhsa_memory_ordered 1
		.amdhsa_forward_progress 0
		.amdhsa_shared_vgpr_count 0
		.amdhsa_exception_fp_ieee_invalid_op 0
		.amdhsa_exception_fp_denorm_src 0
		.amdhsa_exception_fp_ieee_div_zero 0
		.amdhsa_exception_fp_ieee_overflow 0
		.amdhsa_exception_fp_ieee_underflow 0
		.amdhsa_exception_fp_ieee_inexact 0
		.amdhsa_exception_int_div_zero 0
	.end_amdhsa_kernel
	.section	.text._Z39paged_attention_ll4mi_QKV_mfma16_kernelIDF16_DF16_LN4vllm18Fp8KVCacheDataTypeE0EhLi16ELi64ELi256ELb0ELi15EL8MFMAType0EEvPKT_PKT0_S8_ifPKiSA_SA_iPKfiiiPfSD_PS3_PT2_iSC_SC_,"axG",@progbits,_Z39paged_attention_ll4mi_QKV_mfma16_kernelIDF16_DF16_LN4vllm18Fp8KVCacheDataTypeE0EhLi16ELi64ELi256ELb0ELi15EL8MFMAType0EEvPKT_PKT0_S8_ifPKiSA_SA_iPKfiiiPfSD_PS3_PT2_iSC_SC_,comdat
.Lfunc_end52:
	.size	_Z39paged_attention_ll4mi_QKV_mfma16_kernelIDF16_DF16_LN4vllm18Fp8KVCacheDataTypeE0EhLi16ELi64ELi256ELb0ELi15EL8MFMAType0EEvPKT_PKT0_S8_ifPKiSA_SA_iPKfiiiPfSD_PS3_PT2_iSC_SC_, .Lfunc_end52-_Z39paged_attention_ll4mi_QKV_mfma16_kernelIDF16_DF16_LN4vllm18Fp8KVCacheDataTypeE0EhLi16ELi64ELi256ELb0ELi15EL8MFMAType0EEvPKT_PKT0_S8_ifPKiSA_SA_iPKfiiiPfSD_PS3_PT2_iSC_SC_
                                        ; -- End function
	.section	.AMDGPU.csdata,"",@progbits
; Kernel info:
; codeLenInByte = 8068
; NumSgprs: 54
; NumVgprs: 198
; ScratchSize: 0
; MemoryBound: 0
; FloatMode: 240
; IeeeMode: 1
; LDSByteSize: 17472 bytes/workgroup (compile time only)
; SGPRBlocks: 6
; VGPRBlocks: 24
; NumSGPRsForWavesPerEU: 54
; NumVGPRsForWavesPerEU: 198
; Occupancy: 7
; WaveLimiterHint : 1
; COMPUTE_PGM_RSRC2:SCRATCH_EN: 0
; COMPUTE_PGM_RSRC2:USER_SGPR: 13
; COMPUTE_PGM_RSRC2:TRAP_HANDLER: 0
; COMPUTE_PGM_RSRC2:TGID_X_EN: 1
; COMPUTE_PGM_RSRC2:TGID_Y_EN: 1
; COMPUTE_PGM_RSRC2:TGID_Z_EN: 1
; COMPUTE_PGM_RSRC2:TIDIG_COMP_CNT: 0
	.section	.text._Z39paged_attention_ll4mi_QKV_mfma16_kernelIDF16_DF16_LN4vllm18Fp8KVCacheDataTypeE0EhLi16ELi64ELi256ELb0ELi16EL8MFMAType0EEvPKT_PKT0_S8_ifPKiSA_SA_iPKfiiiPfSD_PS3_PT2_iSC_SC_,"axG",@progbits,_Z39paged_attention_ll4mi_QKV_mfma16_kernelIDF16_DF16_LN4vllm18Fp8KVCacheDataTypeE0EhLi16ELi64ELi256ELb0ELi16EL8MFMAType0EEvPKT_PKT0_S8_ifPKiSA_SA_iPKfiiiPfSD_PS3_PT2_iSC_SC_,comdat
	.protected	_Z39paged_attention_ll4mi_QKV_mfma16_kernelIDF16_DF16_LN4vllm18Fp8KVCacheDataTypeE0EhLi16ELi64ELi256ELb0ELi16EL8MFMAType0EEvPKT_PKT0_S8_ifPKiSA_SA_iPKfiiiPfSD_PS3_PT2_iSC_SC_ ; -- Begin function _Z39paged_attention_ll4mi_QKV_mfma16_kernelIDF16_DF16_LN4vllm18Fp8KVCacheDataTypeE0EhLi16ELi64ELi256ELb0ELi16EL8MFMAType0EEvPKT_PKT0_S8_ifPKiSA_SA_iPKfiiiPfSD_PS3_PT2_iSC_SC_
	.globl	_Z39paged_attention_ll4mi_QKV_mfma16_kernelIDF16_DF16_LN4vllm18Fp8KVCacheDataTypeE0EhLi16ELi64ELi256ELb0ELi16EL8MFMAType0EEvPKT_PKT0_S8_ifPKiSA_SA_iPKfiiiPfSD_PS3_PT2_iSC_SC_
	.p2align	8
	.type	_Z39paged_attention_ll4mi_QKV_mfma16_kernelIDF16_DF16_LN4vllm18Fp8KVCacheDataTypeE0EhLi16ELi64ELi256ELb0ELi16EL8MFMAType0EEvPKT_PKT0_S8_ifPKiSA_SA_iPKfiiiPfSD_PS3_PT2_iSC_SC_,@function
_Z39paged_attention_ll4mi_QKV_mfma16_kernelIDF16_DF16_LN4vllm18Fp8KVCacheDataTypeE0EhLi16ELi64ELi256ELb0ELi16EL8MFMAType0EEvPKT_PKT0_S8_ifPKiSA_SA_iPKfiiiPfSD_PS3_PT2_iSC_SC_: ; @_Z39paged_attention_ll4mi_QKV_mfma16_kernelIDF16_DF16_LN4vllm18Fp8KVCacheDataTypeE0EhLi16ELi64ELi256ELb0ELi16EL8MFMAType0EEvPKT_PKT0_S8_ifPKiSA_SA_iPKfiiiPfSD_PS3_PT2_iSC_SC_
; %bb.0:
	s_load_b64 s[2:3], s[0:1], 0x30
	s_mov_b32 s34, s13
	s_waitcnt lgkmcnt(0)
	s_cmp_lg_u64 s[2:3], 0
	s_cselect_b32 s6, -1, 0
	s_ashr_i32 s35, s13, 31
	s_cmp_eq_u64 s[2:3], 0
	s_cbranch_scc1 .LBB53_3
; %bb.1:
	s_lshl_b64 s[4:5], s[34:35], 2
	s_delay_alu instid0(SALU_CYCLE_1) | instskip(SKIP_4) | instid1(SALU_CYCLE_1)
	s_add_u32 s4, s2, s4
	s_addc_u32 s5, s3, s5
	s_load_b64 s[4:5], s[4:5], 0x0
	s_waitcnt lgkmcnt(0)
	s_sub_i32 s4, s5, s4
	s_cmp_eq_u32 s4, 1
	s_cselect_b32 s4, -1, 0
	s_delay_alu instid0(SALU_CYCLE_1)
	s_and_not1_b32 vcc_lo, exec_lo, s4
	s_cbranch_vccz .LBB53_4
.LBB53_2:
	s_endpgm
.LBB53_3:
.LBB53_4:
	s_load_b64 s[8:9], s[0:1], 0x28
	s_lshl_b64 s[4:5], s[34:35], 2
	s_waitcnt lgkmcnt(0)
	s_add_u32 s8, s8, s4
	s_addc_u32 s9, s9, s5
	s_lshl_b32 s35, s14, 8
	s_load_b32 s30, s[8:9], 0x0
	s_waitcnt lgkmcnt(0)
	s_cmp_ge_i32 s35, s30
	s_cbranch_scc1 .LBB53_2
; %bb.5:
	s_clause 0x1
	s_load_b128 s[8:11], s[0:1], 0x8
	s_load_b64 s[12:13], s[0:1], 0x20
	s_and_not1_b32 vcc_lo, exec_lo, s6
	s_cbranch_vccnz .LBB53_7
; %bb.6:
	s_add_u32 s2, s2, s4
	s_addc_u32 s3, s3, s5
	s_load_b32 s3, s[2:3], 0x0
	s_branch .LBB53_8
.LBB53_7:
	s_mov_b32 s3, s34
.LBB53_8:
	s_load_b128 s[4:7], s[0:1], 0x48
	v_and_b32_e32 v150, 15, v0
	v_cmp_gt_u32_e32 vcc_lo, 0x100, v0
	v_lshrrev_b32_e32 v148, 5, v0
	v_and_b32_e32 v151, 31, v0
	v_and_b32_e32 v147, 1, v0
	v_lshlrev_b32_e32 v1, 3, v150
	v_cmp_gt_u32_e64 s2, 8, v150
	v_bfe_u32 v146, v0, 4, 1
	s_lshl_b32 s31, s15, 4
	s_delay_alu instid0(VALU_DEP_3) | instskip(NEXT) | instid1(VALU_DEP_3)
	v_lshlrev_b32_e32 v145, 1, v1
	s_and_b32 s16, vcc_lo, s2
	s_waitcnt lgkmcnt(0)
	s_and_saveexec_b32 s7, s16
	s_cbranch_execz .LBB53_10
; %bb.9:
	v_lshl_or_b32 v5, v148, 1, v146
	s_load_b64 s[16:17], s[0:1], 0x0
	s_mul_hi_i32 s19, s3, s4
	s_mul_i32 s18, s3, s4
	v_lshlrev_b32_e32 v6, 10, v150
	v_or_b32_e32 v1, s31, v5
	s_lshl_b64 s[18:19], s[18:19], 1
	v_lshlrev_b32_e32 v5, 6, v5
	v_lshlrev_b32_e32 v7, 10, v147
	v_and_b32_e32 v6, 0x3800, v6
	v_lshlrev_b32_e32 v1, 6, v1
	s_delay_alu instid0(VALU_DEP_2) | instskip(NEXT) | instid1(VALU_DEP_2)
	v_or3_b32 v5, v6, v7, v5
	v_ashrrev_i32_e32 v2, 31, v1
	s_delay_alu instid0(VALU_DEP_1) | instskip(SKIP_3) | instid1(VALU_DEP_1)
	v_lshlrev_b64 v[1:2], 1, v[1:2]
	s_waitcnt lgkmcnt(0)
	s_add_u32 s3, s16, s18
	s_addc_u32 s4, s17, s19
	v_add_co_u32 v1, vcc_lo, s3, v1
	s_delay_alu instid0(VALU_DEP_2) | instskip(NEXT) | instid1(VALU_DEP_2)
	v_add_co_ci_u32_e32 v2, vcc_lo, s4, v2, vcc_lo
	v_add_co_u32 v1, vcc_lo, v1, v145
	s_delay_alu instid0(VALU_DEP_2)
	v_add_co_ci_u32_e32 v2, vcc_lo, 0, v2, vcc_lo
	global_load_b128 v[1:4], v[1:2], off
	s_waitcnt vmcnt(0)
	ds_store_b128 v5, v[1:4]
.LBB53_10:
	s_or_b32 exec_lo, exec_lo, s7
	s_mov_b32 s40, 0
	s_add_i32 s3, s30, 15
	s_mov_b32 s41, s40
	s_mov_b32 s42, s40
	s_mov_b32 s43, s40
	s_mov_b32 s44, s40
	s_mov_b32 s45, s40
	s_mov_b32 s46, s40
	s_mov_b32 s47, s40
	s_delay_alu instid0(SALU_CYCLE_1)
	v_dual_mov_b32 v136, s47 :: v_dual_and_b32 v1, 0xef, v0
	v_mov_b32_e32 v134, s45
	s_clause 0x1
	s_load_b32 s4, s[0:1], 0x38
	s_load_b32 s33, s[0:1], 0x98
	v_add_nc_u32_e32 v1, s35, v1
	s_ashr_i32 s7, s3, 31
	s_load_b32 s36, s[0:1], 0x1c
	s_lshr_b32 s7, s7, 28
	s_waitcnt lgkmcnt(0)
	v_ashrrev_i32_e32 v2, 31, v1
	s_add_i32 s3, s3, s7
	v_cmp_gt_i32_e32 vcc_lo, s30, v1
	v_mov_b32_e32 v135, s46
	s_ashr_i32 s3, s3, 4
	v_lshrrev_b32_e32 v3, 28, v2
	v_or_b32_e32 v2, 16, v1
	s_add_i32 s3, s3, -1
	v_mov_b32_e32 v132, s43
	s_barrier
	v_add_nc_u32_e32 v4, v1, v3
	v_add_nc_u32_e32 v3, v2, v3
	buffer_gl0_inv
	s_mul_i32 s16, s34, s4
	s_mul_i32 s6, s15, s6
	v_ashrrev_i32_e32 v4, 4, v4
	v_ashrrev_i32_e32 v3, 4, v3
	s_ashr_i32 s17, s16, 31
	v_lshlrev_b32_e32 v149, 6, v150
	s_lshl_b64 s[16:17], s[16:17], 2
	v_cndmask_b32_e32 v1, s3, v4, vcc_lo
	v_cmp_gt_i32_e32 vcc_lo, s30, v2
	s_add_u32 s4, s12, s16
	s_addc_u32 s37, s13, s17
	s_ashr_i32 s7, s6, 31
	v_ashrrev_i32_e32 v2, 31, v1
	v_cndmask_b32_e32 v3, s3, v3, vcc_lo
	s_lshl_b64 s[6:7], s[6:7], 1
	v_mov_b32_e32 v133, s44
	s_add_u32 s24, s8, s6
	v_lshlrev_b64 v[1:2], 2, v[1:2]
	v_ashrrev_i32_e32 v4, 31, v3
	s_addc_u32 s25, s9, s7
	s_lshl_b32 s8, s14, 4
	v_mov_b32_e32 v131, s42
	s_ashr_i32 s9, s8, 31
	v_lshlrev_b64 v[3:4], 2, v[3:4]
	v_add_co_u32 v1, vcc_lo, s4, v1
	v_add_co_ci_u32_e32 v2, vcc_lo, s37, v2, vcc_lo
	s_lshl_b64 s[8:9], s[8:9], 2
	s_delay_alu instid0(VALU_DEP_3) | instskip(NEXT) | instid1(VALU_DEP_4)
	v_add_co_u32 v3, vcc_lo, s4, v3
	v_add_co_ci_u32_e32 v4, vcc_lo, s37, v4, vcc_lo
	s_clause 0x1
	global_load_b32 v5, v[1:2], off
	global_load_b32 v6, v[3:4], off
	s_add_u32 s8, s4, s8
	s_addc_u32 s9, s37, s9
	s_or_b32 s12, s35, 16
	v_dual_mov_b32 v130, s41 :: v_dual_lshlrev_b32 v3, 4, v0
	s_ashr_i32 s13, s12, 4
	s_cmp_lt_i32 s12, s30
	v_mov_b32_e32 v129, s40
	s_cselect_b32 s12, s13, s3
	s_delay_alu instid0(SALU_CYCLE_1) | instskip(NEXT) | instid1(SALU_CYCLE_1)
	s_ashr_i32 s13, s12, 31
	s_lshl_b64 s[12:13], s[12:13], 2
	s_delay_alu instid0(SALU_CYCLE_1) | instskip(SKIP_2) | instid1(SALU_CYCLE_1)
	s_add_u32 s12, s4, s12
	s_addc_u32 s13, s37, s13
	s_or_b32 s15, s35, 32
	s_ashr_i32 s16, s15, 4
	s_cmp_lt_i32 s15, s30
	s_cselect_b32 s16, s16, s3
	s_delay_alu instid0(SALU_CYCLE_1) | instskip(NEXT) | instid1(SALU_CYCLE_1)
	s_ashr_i32 s17, s16, 31
	s_lshl_b64 s[16:17], s[16:17], 2
	s_delay_alu instid0(SALU_CYCLE_1) | instskip(SKIP_2) | instid1(SALU_CYCLE_1)
	s_add_u32 s16, s4, s16
	s_addc_u32 s17, s37, s17
	s_or_b32 s15, s35, 48
	s_ashr_i32 s18, s15, 4
	s_cmp_lt_i32 s15, s30
	;; [unrolled: 10-line block ×4, first 2 shown]
	s_cselect_b32 s22, s22, s3
	s_delay_alu instid0(SALU_CYCLE_1) | instskip(NEXT) | instid1(SALU_CYCLE_1)
	s_ashr_i32 s23, s22, 31
	s_lshl_b64 s[22:23], s[22:23], 2
	s_delay_alu instid0(SALU_CYCLE_1)
	s_add_u32 s22, s4, s22
	s_addc_u32 s23, s37, s23
	s_clause 0x5
	s_load_b32 s48, s[8:9], 0x0
	s_load_b32 s12, s[12:13], 0x0
	;; [unrolled: 1-line block ×6, first 2 shown]
	s_waitcnt lgkmcnt(0)
	s_mul_hi_i32 s17, s16, s5
	s_mul_i32 s16, s16, s5
	s_waitcnt vmcnt(1)
	v_mad_i64_i32 v[1:2], null, v5, s5, 0
	v_and_b32_e32 v5, 0xf0, v3
	s_waitcnt vmcnt(0)
	v_mad_i64_i32 v[3:4], null, v6, s5, 0
	s_delay_alu instid0(VALU_DEP_2) | instskip(NEXT) | instid1(VALU_DEP_4)
	v_add_co_u32 v5, s8, s24, v5
	v_lshlrev_b64 v[1:2], 1, v[1:2]
	v_add_co_ci_u32_e64 v6, null, s25, 0, s8
	s_delay_alu instid0(VALU_DEP_4) | instskip(SKIP_1) | instid1(VALU_DEP_3)
	v_lshlrev_b64 v[3:4], 1, v[3:4]
	s_or_b32 s8, s35, 0x60
	v_add_co_u32 v1, vcc_lo, v5, v1
	s_delay_alu instid0(VALU_DEP_3) | instskip(NEXT) | instid1(VALU_DEP_3)
	v_add_co_ci_u32_e32 v2, vcc_lo, v6, v2, vcc_lo
	v_add_co_u32 v3, vcc_lo, v5, v3
	s_delay_alu instid0(VALU_DEP_4)
	v_add_co_ci_u32_e32 v4, vcc_lo, v6, v4, vcc_lo
	s_clause 0x9
	global_load_b128 v[9:12], v[1:2], off
	global_load_b128 v[13:16], v[1:2], off offset:256
	global_load_b128 v[137:140], v[3:4], off
	global_load_b128 v[141:144], v[3:4], off offset:256
	global_load_b128 v[41:44], v[1:2], off offset:512
	;; [unrolled: 1-line block ×7, first 2 shown]
	ds_load_b128 v[152:155], v149
	ds_load_b128 v[156:159], v149 offset:1024
	s_clause 0x5
	global_load_b128 v[160:163], v[3:4], off offset:1024
	global_load_b128 v[164:167], v[3:4], off offset:1280
	;; [unrolled: 1-line block ×6, first 2 shown]
	s_ashr_i32 s9, s8, 4
	s_cmp_lt_i32 s8, s30
	v_lshlrev_b32_e32 v5, 5, v150
	s_cselect_b32 s8, s9, s3
	s_delay_alu instid0(SALU_CYCLE_1) | instskip(NEXT) | instid1(SALU_CYCLE_1)
	s_ashr_i32 s9, s8, 31
	s_lshl_b64 s[8:9], s[8:9], 2
	s_delay_alu instid0(VALU_DEP_1)
	v_lshl_or_b32 v5, v148, 9, v5
	s_add_u32 s22, s4, s8
	s_addc_u32 s23, s37, s9
	s_or_b32 s8, s35, 0x70
	s_load_b32 s46, s[22:23], 0x0
	s_ashr_i32 s9, s8, 4
	s_cmp_lt_i32 s8, s30
	s_cselect_b32 s8, s9, s3
	s_delay_alu instid0(SALU_CYCLE_1) | instskip(NEXT) | instid1(SALU_CYCLE_1)
	s_ashr_i32 s9, s8, 31
	s_lshl_b64 s[8:9], s[8:9], 2
	s_delay_alu instid0(SALU_CYCLE_1)
	s_add_u32 s24, s4, s8
	s_addc_u32 s25, s37, s9
	s_or_b32 s8, s35, 0x80
	s_load_b32 s47, s[24:25], 0x0
	s_ashr_i32 s9, s8, 4
	s_cmp_lt_i32 s8, s30
	s_cselect_b32 s8, s9, s3
	s_delay_alu instid0(SALU_CYCLE_1) | instskip(NEXT) | instid1(SALU_CYCLE_1)
	s_ashr_i32 s9, s8, 31
	s_lshl_b64 s[8:9], s[8:9], 2
	s_delay_alu instid0(SALU_CYCLE_1) | instskip(SKIP_2) | instid1(SALU_CYCLE_1)
	s_add_u32 s26, s4, s8
	s_addc_u32 s27, s37, s9
	s_or_b32 s8, s35, 0x90
	s_ashr_i32 s9, s8, 4
	s_cmp_lt_i32 s8, s30
	s_cselect_b32 s8, s9, s3
	s_delay_alu instid0(SALU_CYCLE_1) | instskip(NEXT) | instid1(SALU_CYCLE_1)
	s_ashr_i32 s9, s8, 31
	s_lshl_b64 s[8:9], s[8:9], 2
	s_delay_alu instid0(SALU_CYCLE_1) | instskip(SKIP_2) | instid1(SALU_CYCLE_1)
	s_add_u32 s28, s4, s8
	s_addc_u32 s29, s37, s9
	s_or_b32 s8, s35, 0xa0
	s_ashr_i32 s9, s8, 4
	s_cmp_lt_i32 s8, s30
	s_cselect_b32 s8, s9, s3
	s_delay_alu instid0(SALU_CYCLE_1) | instskip(NEXT) | instid1(SALU_CYCLE_1)
	s_ashr_i32 s9, s8, 31
	s_lshl_b64 s[8:9], s[8:9], 2
	s_delay_alu instid0(SALU_CYCLE_1)
	s_add_u32 s38, s4, s8
	s_addc_u32 s39, s37, s9
	s_or_b32 s8, s35, 0xb0
	s_mul_hi_i32 s9, s48, s5
	s_ashr_i32 s13, s8, 4
	s_cmp_lt_i32 s8, s30
	s_mul_i32 s8, s48, s5
	s_load_b32 s48, s[26:27], 0x0
	s_cselect_b32 s40, s13, s3
	s_mul_hi_i32 s13, s12, s5
	s_ashr_i32 s41, s40, 31
	s_mul_i32 s12, s12, s5
	s_lshl_b64 s[40:41], s[40:41], 2
	s_delay_alu instid0(SALU_CYCLE_1) | instskip(SKIP_2) | instid1(SALU_CYCLE_1)
	s_add_u32 s42, s4, s40
	s_addc_u32 s43, s37, s41
	s_or_b32 s19, s35, 0xc0
	s_ashr_i32 s21, s19, 4
	s_cmp_lt_i32 s19, s30
	s_mul_hi_i32 s19, s18, s5
	s_cselect_b32 s40, s21, s3
	s_mul_i32 s18, s18, s5
	s_ashr_i32 s41, s40, 31
	s_mul_hi_i32 s21, s20, s5
	s_lshl_b64 s[40:41], s[40:41], 2
	s_mul_i32 s20, s20, s5
	s_add_u32 s44, s4, s40
	s_addc_u32 s45, s37, s41
	s_load_b32 s41, s[28:29], 0x0
	s_or_b32 s40, s35, 0xd0
	s_mul_hi_i32 s23, s15, s5
	s_ashr_i32 s22, s40, 4
	s_cmp_lt_i32 s40, s30
	s_load_b32 s40, s[38:39], 0x0
	s_cselect_b32 s24, s22, s3
	s_mul_i32 s22, s15, s5
	s_ashr_i32 s25, s24, 31
	s_waitcnt lgkmcnt(0)
	s_mul_hi_i32 s29, s48, s5
	s_lshl_b64 s[24:25], s[24:25], 2
	s_mul_i32 s28, s48, s5
	s_add_u32 s24, s4, s24
	s_addc_u32 s25, s37, s25
	s_or_b32 s49, s35, 0xe0
	s_clause 0x2
	s_load_b32 s39, s[42:43], 0x0
	s_load_b32 s38, s[44:45], 0x0
	;; [unrolled: 1-line block ×3, first 2 shown]
	s_ashr_i32 s50, s49, 4
	s_cmp_lt_i32 s49, s30
	s_mul_hi_i32 s25, s46, s5
	s_cselect_b32 s44, s50, s3
	s_mul_i32 s24, s46, s5
	s_ashr_i32 s45, s44, 31
	s_mul_hi_i32 s27, s47, s5
	s_lshl_b64 s[44:45], s[44:45], 2
	s_mul_i32 s26, s47, s5
	s_add_u32 s44, s4, s44
	s_addc_u32 s45, s37, s45
	s_or_b32 s46, s35, 0xf0
	s_mul_hi_i32 s43, s41, s5
	s_ashr_i32 s48, s46, 4
	s_cmp_lt_i32 s46, s30
	s_mul_i32 s42, s41, s5
	s_cselect_b32 s48, s48, s3
	s_mul_hi_i32 s41, s40, s5
	s_ashr_i32 s49, s48, 31
	s_mul_i32 s40, s40, s5
	s_lshl_b64 s[48:49], s[48:49], 2
	s_waitcnt lgkmcnt(0)
	s_mul_hi_i32 s47, s39, s5
	s_add_u32 s48, s4, s48
	s_addc_u32 s49, s37, s49
	s_add_u32 s3, s10, s6
	s_addc_u32 s4, s11, s7
	v_add_co_u32 v196, s3, s3, v5
	s_delay_alu instid0(VALU_DEP_1) | instskip(SKIP_2) | instid1(VALU_DEP_2)
	v_add_co_ci_u32_e64 v197, null, s4, 0, s3
	s_lshl_b64 s[6:7], s[8:9], 1
	s_lshl_b64 s[8:9], s[12:13], 1
	v_add_co_u32 v1, vcc_lo, v196, s6
	s_delay_alu instid0(VALU_DEP_2)
	v_add_co_ci_u32_e32 v2, vcc_lo, s7, v197, vcc_lo
	v_add_co_u32 v3, vcc_lo, v196, s8
	s_lshl_b64 s[10:11], s[16:17], 1
	v_add_co_ci_u32_e32 v4, vcc_lo, s9, v197, vcc_lo
	v_add_co_u32 v5, vcc_lo, v196, s10
	s_lshl_b64 s[12:13], s[18:19], 1
	;; [unrolled: 3-line block ×9, first 2 shown]
	s_mul_i32 s46, s39, s5
	v_add_co_ci_u32_e32 v54, vcc_lo, s27, v197, vcc_lo
	v_add_co_u32 v184, vcc_lo, v196, s28
	s_lshl_b64 s[40:41], s[46:47], 1
	s_mul_hi_i32 s39, s38, s5
	s_mul_i32 s38, s38, s5
	v_add_co_ci_u32_e32 v185, vcc_lo, s29, v197, vcc_lo
	v_add_co_u32 v186, vcc_lo, v196, s40
	s_lshl_b64 s[38:39], s[38:39], 1
	s_clause 0x1
	s_load_b32 s3, s[44:45], 0x0
	s_load_b32 s4, s[48:49], 0x0
	v_add_co_ci_u32_e32 v187, vcc_lo, s41, v197, vcc_lo
	v_add_co_u32 v192, vcc_lo, v196, s38
	v_add_co_ci_u32_e32 v193, vcc_lo, s39, v197, vcc_lo
	s_clause 0x17
	global_load_b128 v[121:124], v[1:2], off
	global_load_b128 v[125:128], v[1:2], off offset:16
	global_load_b128 v[113:116], v[3:4], off
	global_load_b128 v[117:120], v[3:4], off offset:16
	global_load_b128 v[105:108], v[5:6], off
	global_load_b128 v[109:112], v[5:6], off offset:16
	global_load_b128 v[97:100], v[7:8], off
	global_load_b128 v[101:104], v[7:8], off offset:16
	global_load_b128 v[89:92], v[25:26], off
	global_load_b128 v[93:96], v[25:26], off offset:16
	global_load_b128 v[81:84], v[27:28], off
	global_load_b128 v[85:88], v[27:28], off offset:16
	global_load_b128 v[73:76], v[29:30], off
	global_load_b128 v[77:80], v[29:30], off offset:16
	global_load_b128 v[65:68], v[31:32], off
	global_load_b128 v[69:72], v[31:32], off offset:16
	global_load_b128 v[57:60], v[49:50], off
	global_load_b128 v[61:64], v[49:50], off offset:16
	global_load_b128 v[49:52], v[53:54], off
	global_load_b128 v[53:56], v[53:54], off offset:16
	global_load_b128 v[25:28], v[184:185], off
	global_load_b128 v[29:32], v[184:185], off offset:16
	global_load_b128 v[1:4], v[186:187], off
	global_load_b128 v[5:8], v[186:187], off offset:16
	s_mul_hi_i32 s51, s15, s5
	s_mul_i32 s50, s15, s5
	s_delay_alu instid0(SALU_CYCLE_1) | instskip(NEXT) | instid1(SALU_CYCLE_1)
	s_lshl_b64 s[42:43], s[50:51], 1
	v_add_co_u32 v194, vcc_lo, v196, s42
	v_add_co_ci_u32_e32 v195, vcc_lo, s43, v197, vcc_lo
	s_waitcnt lgkmcnt(0)
	s_mul_hi_i32 s7, s3, s5
	s_mul_i32 s6, s3, s5
	s_mul_hi_i32 s9, s4, s5
	s_lshl_b64 s[6:7], s[6:7], 1
	s_mul_i32 s8, s4, s5
	s_delay_alu instid0(SALU_CYCLE_1)
	s_lshl_b64 s[4:5], s[8:9], 1
	s_waitcnt vmcnt(38)
	v_wmma_f32_16x16x16_f16 v[184:191], v[9:16], v[152:159], v[129:136]
	s_waitcnt vmcnt(36)
	v_wmma_f32_16x16x16_f16 v[129:136], v[137:144], v[152:159], v[129:136]
	s_clause 0x1
	global_load_b128 v[9:12], v[192:193], off
	global_load_b128 v[13:16], v[192:193], off offset:16
	ds_load_b128 v[137:140], v149 offset:2048
	ds_load_b128 v[141:144], v149 offset:3072
	;; [unrolled: 1-line block ×4, first 2 shown]
	v_add_co_u32 v192, vcc_lo, v196, s6
	v_add_co_ci_u32_e32 v193, vcc_lo, s7, v197, vcc_lo
	v_add_co_u32 v196, vcc_lo, v196, s4
	v_add_co_ci_u32_e32 v197, vcc_lo, s5, v197, vcc_lo
	s_waitcnt vmcnt(36) lgkmcnt(2)
	v_wmma_f32_16x16x16_f16 v[184:191], v[41:48], v[137:144], v[184:191]
	s_waitcnt vmcnt(34)
	v_wmma_f32_16x16x16_f16 v[129:136], v[33:40], v[137:144], v[129:136]
	s_clause 0x3
	global_load_b128 v[33:36], v[194:195], off
	global_load_b128 v[37:40], v[194:195], off offset:16
	global_load_b128 v[41:44], v[192:193], off
	global_load_b128 v[45:48], v[192:193], off offset:16
	v_and_b32_e32 v137, 0xe0, v0
	v_mbcnt_lo_u32_b32 v192, -1, 0
	s_waitcnt vmcnt(36) lgkmcnt(0)
	v_wmma_f32_16x16x16_f16 v[184:191], v[17:24], v[152:159], v[184:191]
	s_clause 0x1
	global_load_b128 v[17:20], v[196:197], off
	global_load_b128 v[21:24], v[196:197], off offset:16
	s_waitcnt vmcnt(36)
	v_wmma_f32_16x16x16_f16 v[129:136], v[160:167], v[152:159], v[129:136]
	v_add_nc_u32_e32 v193, s35, v137
	ds_load_b128 v[137:140], v149 offset:6144
	ds_load_b128 v[141:144], v149 offset:7168
	v_xor_b32_e32 v152, 16, v192
	s_waitcnt vmcnt(0) lgkmcnt(0)
	s_barrier
	buffer_gl0_inv
	v_cmp_gt_i32_e32 vcc_lo, 32, v152
	v_cndmask_b32_e32 v152, v192, v152, vcc_lo
	v_wmma_f32_16x16x16_f16 v[129:136], v[176:183], v[137:144], v[129:136]
	v_wmma_f32_16x16x16_f16 v[184:191], v[168:175], v[137:144], v[184:191]
	s_delay_alu instid0(VALU_DEP_2) | instskip(SKIP_1) | instid1(VALU_DEP_3)
	v_mul_f32_e32 v174, s36, v131
	v_or_b32_e32 v153, v193, v146
	v_dual_mul_f32 v143, s36, v185 :: v_dual_mul_f32 v144, s36, v184
	s_delay_alu instid0(VALU_DEP_4) | instskip(NEXT) | instid1(VALU_DEP_3)
	v_dual_mul_f32 v141, s36, v187 :: v_dual_mul_f32 v142, s36, v186
	v_or_b32_e32 v154, 2, v153
	v_or_b32_e32 v155, 4, v153
	v_or_b32_e32 v156, 6, v153
	v_cmp_gt_i32_e32 vcc_lo, s30, v153
	v_or_b32_e32 v157, 8, v153
	v_cmp_gt_i32_e64 s3, s30, v154
	v_or_b32_e32 v158, 10, v153
	v_cmp_gt_i32_e64 s4, s30, v155
	v_cndmask_b32_e32 v144, 0xff7fffff, v144, vcc_lo
	v_cmp_gt_i32_e64 s5, s30, v156
	v_cndmask_b32_e64 v143, 0xff7fffff, v143, s3
	v_or_b32_e32 v159, 12, v153
	v_or_b32_e32 v160, 14, v153
	v_dual_mul_f32 v139, s36, v189 :: v_dual_mul_f32 v140, s36, v188
	v_cndmask_b32_e64 v142, 0xff7fffff, v142, s4
	v_cndmask_b32_e64 v141, 0xff7fffff, v141, s5
	v_max3_f32 v143, v144, 0xff7fffff, v143
	v_cmp_gt_i32_e64 s6, s30, v157
	v_cmp_gt_i32_e64 s7, s30, v158
	v_or_b32_e32 v161, 16, v153
	v_or_b32_e32 v162, 18, v153
	v_dual_mul_f32 v137, s36, v191 :: v_dual_mul_f32 v176, s36, v129
	v_mul_f32_e32 v138, s36, v190
	v_cndmask_b32_e64 v140, 0xff7fffff, v140, s6
	v_cndmask_b32_e64 v139, 0xff7fffff, v139, s7
	v_max3_f32 v141, v143, v142, v141
	v_cmp_gt_i32_e64 s8, s30, v159
	v_cmp_gt_i32_e64 s9, s30, v160
	v_or_b32_e32 v163, 20, v153
	v_or_b32_e32 v164, 22, v153
	v_mul_f32_e32 v175, s36, v130
	v_cndmask_b32_e64 v138, 0xff7fffff, v138, s8
	v_cndmask_b32_e64 v137, 0xff7fffff, v137, s9
	v_max3_f32 v139, v141, v140, v139
	v_cmp_gt_i32_e64 s10, s30, v161
	v_cmp_gt_i32_e64 s11, s30, v162
	v_or_b32_e32 v165, 24, v153
	v_or_b32_e32 v166, 26, v153
	;; [unrolled: 8-line block ×3, first 2 shown]
	v_dual_mul_f32 v171, s36, v134 :: v_dual_mul_f32 v172, s36, v133
	v_cndmask_b32_e64 v138, 0xff7fffff, v174, s12
	v_cndmask_b32_e64 v139, 0xff7fffff, v173, s13
	v_max3_f32 v137, v137, v140, v141
	v_cmp_gt_i32_e64 s15, s30, v165
	v_cmp_gt_i32_e64 s16, s30, v166
	v_dual_mul_f32 v169, s36, v136 :: v_dual_mul_f32 v170, s36, v135
	s_delay_alu instid0(VALU_DEP_4) | instskip(NEXT) | instid1(VALU_DEP_4)
	v_max3_f32 v137, v137, v138, v139
	v_cndmask_b32_e64 v140, 0xff7fffff, v172, s15
	s_delay_alu instid0(VALU_DEP_4) | instskip(SKIP_3) | instid1(VALU_DEP_4)
	v_cndmask_b32_e64 v141, 0xff7fffff, v171, s16
	v_cmp_gt_i32_e64 s17, s30, v167
	v_cmp_gt_i32_e64 s18, s30, v168
	v_lshlrev_b32_e32 v161, 2, v152
	v_max3_f32 v137, v137, v140, v141
	s_delay_alu instid0(VALU_DEP_4) | instskip(NEXT) | instid1(VALU_DEP_4)
	v_cndmask_b32_e64 v138, 0xff7fffff, v170, s17
	v_cndmask_b32_e64 v139, 0xff7fffff, v169, s18
	s_delay_alu instid0(VALU_DEP_1) | instskip(SKIP_3) | instid1(VALU_DEP_1)
	v_max3_f32 v137, v137, v138, v139
	ds_bpermute_b32 v138, v161, v137
	s_waitcnt lgkmcnt(0)
	v_max_f32_e32 v138, v138, v138
	v_max_f32_e32 v160, v137, v138
	s_delay_alu instid0(VALU_DEP_1) | instskip(SKIP_4) | instid1(VALU_DEP_4)
	v_fma_f32 v139, s36, v186, -v160
	v_fma_f32 v140, s36, v187, -v160
	;; [unrolled: 1-line block ×5, first 2 shown]
	v_dual_mul_f32 v139, 0x3fb8aa3b, v139 :: v_dual_mul_f32 v140, 0x3fb8aa3b, v140
	s_delay_alu instid0(VALU_DEP_4) | instskip(NEXT) | instid1(VALU_DEP_4)
	v_mul_f32_e32 v152, 0x3fb8aa3b, v152
	v_mul_f32_e32 v132, 0x3fb8aa3b, v132
	v_fma_f32 v137, s36, v184, -v160
	s_delay_alu instid0(VALU_DEP_4)
	v_exp_f32_e32 v139, v139
	v_exp_f32_e32 v144, v140
	;; [unrolled: 1-line block ×3, first 2 shown]
	v_fma_f32 v138, s36, v185, -v160
	v_fma_f32 v142, s36, v188, -v160
	;; [unrolled: 1-line block ×5, first 2 shown]
	v_mul_f32_e32 v138, 0x3fb8aa3b, v138
	v_mul_f32_e32 v142, 0x3fb8aa3b, v142
	v_cndmask_b32_e64 v140, 0, v139, s4
	v_cndmask_b32_e64 v139, 0, v144, s5
	v_mul_f32_e32 v144, 0x3fb8aa3b, v153
	v_exp_f32_e32 v141, v138
	v_dual_mul_f32 v143, 0x3fb8aa3b, v143 :: v_dual_mul_f32 v134, 0x3fb8aa3b, v134
	v_exp_f32_e32 v142, v142
	s_delay_alu instid0(VALU_DEP_2)
	v_exp_f32_e32 v154, v144
	v_cndmask_b32_e64 v144, 0, v152, s8
	v_mul_f32_e32 v137, 0x3fb8aa3b, v137
	v_exp_f32_e32 v143, v143
	v_fma_f32 v130, s36, v130, -v160
	v_mul_f32_e32 v129, 0x3fb8aa3b, v129
	v_fma_f32 v131, s36, v131, -v160
	v_exp_f32_e32 v137, v137
	v_fma_f32 v133, s36, v133, -v160
	v_cndmask_b32_e64 v142, 0, v142, s6
	v_mul_f32_e32 v130, 0x3fb8aa3b, v130
	v_exp_f32_e32 v129, v129
	v_mul_f32_e32 v131, 0x3fb8aa3b, v131
	v_mul_f32_e32 v133, 0x3fb8aa3b, v133
	v_exp_f32_e32 v132, v132
	v_exp_f32_e32 v130, v130
	v_cndmask_b32_e32 v138, 0, v137, vcc_lo
	v_cndmask_b32_e64 v137, 0, v141, s3
	v_exp_f32_e32 v131, v131
	v_exp_f32_e32 v133, v133
	s_mov_b32 s3, exec_lo
	v_add_f32_e32 v141, 0, v138
	s_delay_alu instid0(VALU_DEP_1)
	v_add_f32_e32 v141, v141, v137
	s_waitcnt_depctr 0xfff
	v_cndmask_b32_e64 v155, 0, v131, s12
	v_exp_f32_e32 v131, v134
	v_cndmask_b32_e64 v157, 0, v133, s15
	v_add_f32_e32 v141, v141, v140
	s_delay_alu instid0(VALU_DEP_1)
	v_add_f32_e32 v153, v141, v139
	v_cndmask_b32_e64 v141, 0, v143, s7
	s_waitcnt_depctr 0xfff
	v_cndmask_b32_e64 v156, 0, v131, s16
	v_add_f32_e32 v143, v153, v142
	v_cndmask_b32_e64 v153, 0, v129, s10
	s_delay_alu instid0(VALU_DEP_2) | instskip(SKIP_3) | instid1(VALU_DEP_4)
	v_add_f32_e32 v152, v143, v141
	v_cndmask_b32_e64 v143, 0, v154, s9
	v_cndmask_b32_e64 v154, 0, v132, s13
	v_fma_f32 v132, s36, v136, -v160
	v_add_f32_e32 v152, v152, v144
	s_delay_alu instid0(VALU_DEP_1) | instskip(SKIP_2) | instid1(VALU_DEP_3)
	v_dual_mul_f32 v132, 0x3fb8aa3b, v132 :: v_dual_add_f32 v129, v152, v143
	v_cndmask_b32_e64 v152, 0, v130, s11
	v_fma_f32 v130, s36, v135, -v160
	v_exp_f32_e32 v131, v132
	s_delay_alu instid0(VALU_DEP_1) | instskip(NEXT) | instid1(VALU_DEP_1)
	v_dual_add_f32 v129, v129, v153 :: v_dual_mul_f32 v130, 0x3fb8aa3b, v130
	v_add_f32_e32 v129, v129, v152
	s_delay_alu instid0(VALU_DEP_2) | instskip(SKIP_3) | instid1(VALU_DEP_1)
	v_exp_f32_e32 v130, v130
	s_waitcnt_depctr 0xfff
	v_cndmask_b32_e64 v158, 0, v131, s18
	v_add_f32_e32 v129, v129, v155
	v_add_f32_e32 v129, v129, v154
	v_cndmask_b32_e64 v159, 0, v130, s17
	s_delay_alu instid0(VALU_DEP_2) | instskip(NEXT) | instid1(VALU_DEP_1)
	v_add_f32_e32 v129, v129, v157
	v_add_f32_e32 v129, v129, v156
	s_delay_alu instid0(VALU_DEP_1) | instskip(NEXT) | instid1(VALU_DEP_1)
	v_add_f32_e32 v129, v129, v159
	v_add_f32_e32 v129, v129, v158
	ds_bpermute_b32 v130, v161, v129
	v_cmpx_gt_u32_e32 16, v151
	s_cbranch_execz .LBB53_12
; %bb.11:
	v_mul_u32_u24_e32 v131, 0x44, v148
	s_delay_alu instid0(VALU_DEP_1) | instskip(SKIP_1) | instid1(VALU_DEP_1)
	v_lshl_add_u32 v131, v150, 2, v131
	s_waitcnt lgkmcnt(0)
	v_dual_add_f32 v129, v129, v130 :: v_dual_add_nc_u32 v130, 0x4000, v131
	ds_store_2addr_b32 v130, v160, v129 offset1:136
.LBB53_12:
	s_or_b32 exec_lo, exec_lo, s3
	v_lshlrev_b32_e32 v129, 2, v150
	s_load_b32 s35, s[0:1], 0x94
	s_waitcnt lgkmcnt(0)
	s_barrier
	buffer_gl0_inv
	v_add_nc_u32_e32 v162, 0x4000, v129
	v_cmp_eq_u32_e32 vcc_lo, 1, v148
	v_cmp_eq_u32_e64 s3, 2, v148
	v_cmp_eq_u32_e64 s4, 3, v148
	;; [unrolled: 1-line block ×3, first 2 shown]
	ds_load_2addr_b32 v[129:130], v162 offset1:17
	ds_load_2addr_b32 v[131:132], v162 offset0:34 offset1:51
	ds_load_2addr_b32 v[133:134], v162 offset0:68 offset1:85
	;; [unrolled: 1-line block ×3, first 2 shown]
	v_cmp_eq_u32_e64 s6, 7, v148
	s_waitcnt lgkmcnt(3)
	v_max3_f32 v135, v129, 0xff7fffff, v130
	s_waitcnt lgkmcnt(2)
	s_delay_alu instid0(VALU_DEP_1) | instskip(SKIP_1) | instid1(VALU_DEP_1)
	v_max3_f32 v135, v135, v131, v132
	s_waitcnt lgkmcnt(1)
	v_max3_f32 v135, v135, v133, v134
	s_waitcnt lgkmcnt(0)
	s_delay_alu instid0(VALU_DEP_1) | instskip(NEXT) | instid1(VALU_DEP_1)
	v_max3_f32 v135, v135, v150, v151
	v_sub_f32_e32 v129, v129, v135
	ds_load_2addr_b32 v[160:161], v162 offset0:136 offset1:153
	v_sub_f32_e32 v136, v130, v135
	v_dual_sub_f32 v150, v150, v135 :: v_dual_mul_f32 v163, 0x3fb8aa3b, v129
	ds_load_2addr_b32 v[129:130], v162 offset0:170 offset1:187
	v_mul_f32_e32 v136, 0x3fb8aa3b, v136
	v_mul_f32_e32 v150, 0x3fb8aa3b, v150
	v_exp_f32_e32 v163, v163
	s_delay_alu instid0(VALU_DEP_2) | instskip(NEXT) | instid1(VALU_DEP_1)
	v_exp_f32_e32 v166, v136
	v_exp_f32_e32 v150, v150
	s_waitcnt lgkmcnt(1)
	s_delay_alu instid0(TRANS32_DEP_3) | instskip(SKIP_4) | instid1(VALU_DEP_2)
	v_fma_f32 v136, v163, v160, 0
	v_sub_f32_e32 v160, v134, v135
	s_waitcnt_depctr 0xfff
	v_dual_sub_f32 v133, v133, v135 :: v_dual_fmac_f32 v136, v166, v161
	v_mul_f32_e32 v160, 0x3fb8aa3b, v160
	v_dual_sub_f32 v164, v132, v135 :: v_dual_mul_f32 v167, 0x3fb8aa3b, v133
	v_sub_f32_e32 v131, v131, v135
	ds_load_2addr_b32 v[133:134], v162 offset0:238 offset1:255
	v_mul_f32_e32 v164, 0x3fb8aa3b, v164
	v_exp_f32_e32 v161, v167
	v_mul_f32_e32 v165, 0x3fb8aa3b, v131
	ds_load_2addr_b32 v[131:132], v162 offset0:204 offset1:221
	s_waitcnt lgkmcnt(0)
	v_exp_f32_e32 v164, v164
	s_barrier
	v_exp_f32_e32 v165, v165
	buffer_gl0_inv
	v_dual_fmac_f32 v136, v165, v129 :: v_dual_sub_f32 v129, v151, v135
	v_exp_f32_e32 v151, v160
	s_delay_alu instid0(VALU_DEP_1) | instskip(SKIP_1) | instid1(VALU_DEP_2)
	v_dual_fmac_f32 v136, v164, v130 :: v_dual_mul_f32 v129, 0x3fb8aa3b, v129
	v_cndmask_b32_e32 v130, v163, v166, vcc_lo
	v_fmac_f32_e32 v136, v161, v131
	s_delay_alu instid0(VALU_DEP_3) | instskip(SKIP_3) | instid1(VALU_DEP_1)
	v_exp_f32_e32 v160, v129
	v_lshl_or_b32 v131, v148, 11, v149
	s_waitcnt_depctr 0xfff
	v_fmac_f32_e32 v136, v151, v132
	v_fmac_f32_e32 v136, v150, v133
	s_delay_alu instid0(VALU_DEP_1) | instskip(NEXT) | instid1(VALU_DEP_1)
	v_fmac_f32_e32 v136, v160, v134
	v_add_f32_e32 v162, 0x358637bd, v136
	s_delay_alu instid0(VALU_DEP_1) | instskip(SKIP_1) | instid1(VALU_DEP_2)
	v_div_scale_f32 v167, null, v162, v162, 1.0
	v_div_scale_f32 v163, vcc_lo, 1.0, v162, 1.0
	v_rcp_f32_e32 v168, v167
	s_waitcnt_depctr 0xfff
	v_fma_f32 v129, -v167, v168, 1.0
	s_delay_alu instid0(VALU_DEP_1) | instskip(SKIP_2) | instid1(VALU_DEP_3)
	v_fmac_f32_e32 v168, v129, v168
	v_cndmask_b32_e64 v129, v130, v165, s3
	v_cmp_eq_u32_e64 s3, 4, v148
	v_dual_mul_f32 v165, v163, v168 :: v_dual_lshlrev_b32 v130, 2, v146
	s_delay_alu instid0(VALU_DEP_3) | instskip(SKIP_1) | instid1(VALU_DEP_3)
	v_cndmask_b32_e64 v129, v129, v164, s4
	v_cmp_eq_u32_e64 s4, 6, v148
	v_or_b32_e32 v134, 2, v130
	v_cmp_eq_u32_e64 s7, 6, v130
	v_fma_f32 v132, -v167, v165, v163
	v_cndmask_b32_e64 v133, v129, v161, s3
	v_lshl_or_b32 v129, v146, 4, v131
	v_cmp_eq_u32_e64 s3, 1, v130
	v_cmp_eq_u32_e64 s10, 1, v134
	v_fmac_f32_e32 v165, v132, v168
	v_cndmask_b32_e64 v148, v133, v151, s5
	v_or_b32_e32 v132, 1, v130
	v_or_b32_e32 v133, 3, v130
	v_cmp_eq_u32_e64 s15, 2, v134
	v_fma_f32 v151, -v167, v165, v163
	v_cndmask_b32_e64 v148, v148, v150, s4
	v_cmp_eq_u32_e64 s9, 1, v132
	v_cmp_eq_u32_e64 s11, 1, v133
	;; [unrolled: 1-line block ×3, first 2 shown]
	v_div_fmas_f32 v150, v151, v168, v165
	v_cndmask_b32_e64 v148, v148, v160, s6
	v_cmp_eq_u32_e32 vcc_lo, 2, v130
	v_cmp_eq_u32_e64 s16, 2, v133
	v_cmp_eq_u32_e64 s18, 3, v133
	v_div_fixup_f32 v150, v150, v162, 1.0
	v_cmp_eq_u32_e64 s4, 3, v130
	v_cmp_eq_u32_e64 s13, 3, v132
	;; [unrolled: 1-line block ×4, first 2 shown]
	v_mul_f32_e32 v148, v148, v150
	v_cmp_eq_u32_e64 s5, 4, v130
	v_cmp_eq_u32_e64 s19, 4, v132
	;; [unrolled: 1-line block ×4, first 2 shown]
	v_fma_mixlo_f16 v160, v148, v138, 0
	v_fma_mixlo_f16 v161, v148, v140, 0
	;; [unrolled: 1-line block ×8, first 2 shown]
	v_fma_mixhi_f16 v160, v148, v137, 0
	v_fma_mixhi_f16 v161, v148, v139, 0
	;; [unrolled: 1-line block ×8, first 2 shown]
	ds_store_b128 v129, v[160:163]
	ds_store_b128 v129, v[164:167] offset:1024
	s_waitcnt lgkmcnt(0)
	s_barrier
	buffer_gl0_inv
	ds_load_b128 v[137:140], v131
	ds_load_b128 v[141:144], v131 offset:16
	ds_load_b128 v[150:153], v131 offset:1024
	;; [unrolled: 1-line block ×3, first 2 shown]
	v_cmp_eq_u32_e64 s6, 5, v130
	v_cmp_eq_u32_e64 s20, 5, v132
	;; [unrolled: 1-line block ×10, first 2 shown]
	s_waitcnt lgkmcnt(3)
	v_lshrrev_b32_e32 v148, 16, v137
	s_waitcnt lgkmcnt(2)
	v_lshrrev_b32_e32 v161, 16, v141
	;; [unrolled: 2-line block ×4, first 2 shown]
	v_lshrrev_b32_e32 v158, 16, v138
	v_cndmask_b32_e64 v173, v137, v148, s3
	v_cndmask_b32_e64 v174, v141, v161, s3
	;; [unrolled: 1-line block ×8, first 2 shown]
	v_lshrrev_b32_e32 v162, 16, v142
	v_cndmask_b32_e64 v148, v150, v165, s3
	v_cndmask_b32_e64 v161, v154, v169, s3
	;; [unrolled: 1-line block ×5, first 2 shown]
	v_cndmask_b32_e32 v165, v173, v138, vcc_lo
	v_cndmask_b32_e64 v173, v175, v138, s12
	v_cndmask_b32_e64 v175, v177, v138, s15
	;; [unrolled: 1-line block ×4, first 2 shown]
	v_lshrrev_b32_e32 v166, 16, v151
	v_lshrrev_b32_e32 v170, 16, v155
	v_cndmask_b32_e64 v180, v154, v169, s9
	v_cndmask_b32_e64 v182, v154, v169, s10
	;; [unrolled: 1-line block ×3, first 2 shown]
	v_cndmask_b32_e32 v169, v174, v142, vcc_lo
	v_cndmask_b32_e64 v174, v176, v142, s12
	v_cndmask_b32_e64 v176, v178, v142, s15
	v_cndmask_b32_e32 v141, v148, v151, vcc_lo
	v_cndmask_b32_e32 v142, v161, v155, vcc_lo
	v_cndmask_b32_e64 v148, v179, v151, s12
	v_cndmask_b32_e64 v137, v137, v158, s18
	;; [unrolled: 1-line block ×3, first 2 shown]
	v_lshrrev_b32_e32 v159, 16, v139
	v_lshrrev_b32_e32 v163, 16, v143
	v_cndmask_b32_e64 v161, v181, v151, s15
	v_cndmask_b32_e64 v150, v150, v151, s16
	v_cndmask_b32_e64 v151, v154, v155, s16
	v_cndmask_b32_e64 v154, v165, v158, s4
	v_cndmask_b32_e64 v165, v169, v162, s4
	v_cndmask_b32_e64 v169, v173, v158, s13
	v_cndmask_b32_e64 v173, v174, v162, s13
	v_cndmask_b32_e64 v174, v175, v158, s17
	v_cndmask_b32_e64 v175, v176, v162, s17
	v_cndmask_b32_e64 v141, v141, v166, s4
	v_cndmask_b32_e64 v142, v142, v170, s4
	v_cndmask_b32_e64 v148, v148, v166, s13
	v_cndmask_b32_e64 v137, v137, v139, s22
	v_cndmask_b32_e64 v138, v138, v143, s22
	v_lshrrev_b32_e32 v167, 16, v152
	v_cndmask_b32_e64 v154, v154, v139, s5
	v_cndmask_b32_e64 v158, v165, v143, s5
	;; [unrolled: 1-line block ×11, first 2 shown]
	v_lshrrev_b32_e32 v160, 16, v140
	v_lshrrev_b32_e32 v164, 16, v144
	v_cndmask_b32_e64 v143, v154, v159, s6
	v_cndmask_b32_e64 v148, v158, v163, s6
	v_cndmask_b32_e64 v154, v162, v159, s20
	v_cndmask_b32_e64 v158, v165, v163, s20
	v_cndmask_b32_e64 v162, v169, v159, s23
	v_cndmask_b32_e64 v165, v173, v163, s23
	v_cndmask_b32_e64 v142, v142, v167, s20
	v_cndmask_b32_e64 v137, v137, v140, s27
	v_cndmask_b32_e64 v138, v138, v144, s27
	v_lshrrev_b32_e32 v168, 16, v153
	v_cndmask_b32_e64 v139, v139, v167, s6
	v_cndmask_b32_e64 v143, v143, v140, s7
	;; [unrolled: 1-line block ×19, first 2 shown]
	v_perm_b32 v140, v138, v137, 0x5040100
	v_cndmask_b32_e64 v137, v180, v155, s12
	v_cndmask_b32_e64 v159, v139, v168, s8
	v_perm_b32 v139, v154, v148, 0x5040100
	v_perm_b32 v138, v158, v144, 0x5040100
	v_cndmask_b32_e64 v144, v161, v166, s17
	v_cndmask_b32_e64 v148, v150, v166, s18
	;; [unrolled: 1-line block ×5, first 2 shown]
	v_lshrrev_b32_e32 v171, 16, v156
	v_cndmask_b32_e64 v144, v144, v152, s21
	v_cndmask_b32_e64 v148, v148, v152, s22
	;; [unrolled: 1-line block ×11, first 2 shown]
	v_lshrrev_b32_e32 v172, 16, v157
	v_cndmask_b32_e64 v141, v141, v157, s7
	v_cndmask_b32_e64 v144, v144, v153, s26
	;; [unrolled: 1-line block ×12, first 2 shown]
	v_perm_b32 v137, v143, v142, 0x5040100
	v_perm_b32 v144, v148, v144, 0x5040100
	;; [unrolled: 1-line block ×5, first 2 shown]
	s_lshl_b32 s7, s33, 4
	s_mov_b32 s3, exec_lo
	ds_store_b128 v129, v[137:140]
	ds_store_b128 v129, v[141:144] offset:1024
	v_cmpx_gt_u32_e32 16, v0
	s_cbranch_execz .LBB53_14
; %bb.13:
	v_or_b32_e32 v137, s31, v0
	s_load_b128 s[8:11], s[0:1], 0x58
	s_delay_alu instid0(VALU_DEP_1) | instskip(NEXT) | instid1(VALU_DEP_1)
	v_mad_u64_u32 v[138:139], null, s7, s34, v[137:138]
	v_mad_u64_u32 v[139:140], null, v138, s35, s[14:15]
	s_delay_alu instid0(VALU_DEP_1) | instskip(NEXT) | instid1(VALU_DEP_1)
	v_ashrrev_i32_e32 v140, 31, v139
	v_lshlrev_b64 v[137:138], 2, v[139:140]
	s_waitcnt lgkmcnt(0)
	s_delay_alu instid0(VALU_DEP_1) | instskip(NEXT) | instid1(VALU_DEP_2)
	v_add_co_u32 v139, vcc_lo, s10, v137
	v_add_co_ci_u32_e32 v140, vcc_lo, s11, v138, vcc_lo
	v_add_co_u32 v137, vcc_lo, s8, v137
	v_add_co_ci_u32_e32 v138, vcc_lo, s9, v138, vcc_lo
	global_store_b32 v[139:140], v135, off
	global_store_b32 v[137:138], v136, off
.LBB53_14:
	s_or_b32 exec_lo, exec_lo, s3
	s_waitcnt lgkmcnt(0)
	s_waitcnt_vscnt null, 0x0
	s_barrier
	buffer_gl0_inv
	ds_load_b128 v[150:153], v149
	ds_load_b128 v[154:157], v149 offset:16
	ds_load_b128 v[162:165], v149 offset:1040
	;; [unrolled: 1-line block ×5, first 2 shown]
	v_cmp_eq_u32_e32 vcc_lo, 1, v134
	v_mov_b32_e32 v135, 0
	ds_load_b128 v[178:181], v149 offset:3088
	ds_load_b128 v[174:177], v149 offset:3072
	;; [unrolled: 1-line block ×4, first 2 shown]
	v_cmp_eq_u32_e64 s3, 1, v130
	v_cmp_eq_u32_e64 s4, 1, v133
	;; [unrolled: 1-line block ×3, first 2 shown]
	v_mov_b32_e32 v136, v135
	v_mov_b32_e32 v137, v135
	;; [unrolled: 1-line block ×7, first 2 shown]
	v_cmp_eq_u32_e64 s6, 2, v130
	s_waitcnt lgkmcnt(8)
	s_delay_alu instid0(VALU_DEP_2)
	v_wmma_f32_16x16x16_f16 v[135:142], v[121:128], v[150:157], v[135:142]
	ds_load_b128 v[125:128], v149 offset:5136
	ds_load_b128 v[121:124], v149 offset:5120
	s_waitcnt lgkmcnt(8)
	v_wmma_f32_16x16x16_f16 v[135:142], v[113:120], v[158:165], v[135:142]
	ds_load_b128 v[117:120], v149 offset:6160
	ds_load_b128 v[113:116], v149 offset:6144
	s_waitcnt lgkmcnt(8)
	;; [unrolled: 4-line block ×11, first 2 shown]
	s_barrier
	buffer_gl0_inv
	v_wmma_f32_16x16x16_f16 v[135:142], v[1:8], v[73:80], v[135:142]
	s_delay_alu instid0(VALU_DEP_1) | instskip(NEXT) | instid1(VALU_DEP_1)
	v_wmma_f32_16x16x16_f16 v[135:142], v[9:16], v[65:72], v[135:142]
	v_wmma_f32_16x16x16_f16 v[135:142], v[33:40], v[57:64], v[135:142]
	s_delay_alu instid0(VALU_DEP_1) | instskip(NEXT) | instid1(VALU_DEP_1)
	v_wmma_f32_16x16x16_f16 v[135:142], v[41:48], v[49:56], v[135:142]
	v_wmma_f32_16x16x16_f16 v[135:142], v[17:24], v[25:32], v[135:142]
	s_delay_alu instid0(VALU_DEP_1) | instskip(NEXT) | instid1(VALU_DEP_2)
	v_cvt_f16_f32_e64 v1, v135
	v_cvt_f16_f32_e64 v2, v136
	s_delay_alu instid0(VALU_DEP_3) | instskip(NEXT) | instid1(VALU_DEP_4)
	v_cvt_f16_f32_e64 v3, v137
	v_cvt_f16_f32_e64 v4, v138
	;; [unrolled: 1-line block ×6, first 2 shown]
	v_pack_b32_f16 v1, v1, v2
	v_pack_b32_f16 v2, v3, v4
	v_pack_b32_f16 v3, v5, v6
	s_delay_alu instid0(VALU_DEP_4)
	v_pack_b32_f16 v4, v7, v8
	ds_store_b128 v129, v[1:4]
	s_waitcnt lgkmcnt(0)
	s_barrier
	buffer_gl0_inv
	ds_load_b128 v[1:4], v131
	ds_load_b128 v[5:8], v131 offset:16
	s_waitcnt lgkmcnt(1)
	v_lshrrev_b32_e32 v9, 16, v1
	s_waitcnt lgkmcnt(0)
	v_lshrrev_b32_e32 v13, 16, v5
	v_lshrrev_b32_e32 v10, 16, v2
	;; [unrolled: 1-line block ×4, first 2 shown]
	v_cndmask_b32_e64 v17, v1, v9, s3
	v_cndmask_b32_e64 v18, v5, v13, s3
	;; [unrolled: 1-line block ×3, first 2 shown]
	v_cmp_eq_u32_e64 s3, 2, v132
	v_cndmask_b32_e64 v20, v5, v13, s5
	v_cndmask_b32_e32 v21, v1, v9, vcc_lo
	v_cndmask_b32_e32 v22, v5, v13, vcc_lo
	v_cndmask_b32_e64 v1, v1, v9, s4
	v_cndmask_b32_e64 v5, v5, v13, s4
	v_cmp_eq_u32_e32 vcc_lo, 2, v134
	v_cmp_eq_u32_e64 s4, 2, v133
	v_cndmask_b32_e64 v9, v17, v2, s6
	v_cndmask_b32_e64 v13, v18, v6, s6
	;; [unrolled: 1-line block ×4, first 2 shown]
	v_cndmask_b32_e32 v19, v21, v2, vcc_lo
	v_cmp_eq_u32_e64 s3, 3, v134
	v_cndmask_b32_e32 v20, v22, v6, vcc_lo
	v_cndmask_b32_e64 v1, v1, v2, s4
	v_cmp_eq_u32_e32 vcc_lo, 3, v133
	v_cmp_eq_u32_e64 s5, 3, v130
	v_cndmask_b32_e64 v2, v5, v6, s4
	v_cmp_eq_u32_e64 s4, 3, v132
	v_cmp_eq_u32_e64 s6, 4, v130
	v_cndmask_b32_e32 v1, v1, v10, vcc_lo
	v_cndmask_b32_e64 v5, v9, v10, s5
	v_cndmask_b32_e64 v6, v13, v14, s5
	v_cndmask_b32_e64 v9, v17, v10, s4
	v_cmp_eq_u32_e64 s5, 4, v132
	v_cndmask_b32_e64 v13, v18, v14, s4
	v_cndmask_b32_e64 v17, v19, v10, s3
	;; [unrolled: 1-line block ×3, first 2 shown]
	v_cndmask_b32_e32 v2, v2, v14, vcc_lo
	v_cmp_eq_u32_e32 vcc_lo, 4, v134
	v_cmp_eq_u32_e64 s4, 4, v133
	v_lshrrev_b32_e32 v15, 16, v7
	v_cndmask_b32_e64 v5, v5, v3, s6
	v_cndmask_b32_e64 v6, v6, v7, s6
	;; [unrolled: 1-line block ×4, first 2 shown]
	v_cndmask_b32_e32 v13, v17, v3, vcc_lo
	v_cmp_eq_u32_e64 s3, 5, v134
	v_cndmask_b32_e32 v14, v18, v7, vcc_lo
	v_cndmask_b32_e64 v1, v1, v3, s4
	v_cmp_eq_u32_e32 vcc_lo, 5, v133
	v_cmp_eq_u32_e64 s5, 5, v130
	v_cndmask_b32_e64 v2, v2, v7, s4
	v_cmp_eq_u32_e64 s4, 5, v132
	v_cmp_eq_u32_e64 s6, 6, v130
	v_lshrrev_b32_e32 v12, 16, v4
	v_cndmask_b32_e64 v3, v5, v11, s5
	v_cndmask_b32_e64 v5, v6, v15, s5
	;; [unrolled: 1-line block ×3, first 2 shown]
	v_cmp_eq_u32_e64 s5, 6, v132
	v_cndmask_b32_e64 v7, v10, v15, s4
	v_cndmask_b32_e64 v9, v13, v11, s3
	;; [unrolled: 1-line block ×3, first 2 shown]
	v_cndmask_b32_e32 v1, v1, v11, vcc_lo
	v_cndmask_b32_e32 v2, v2, v15, vcc_lo
	v_cmp_eq_u32_e32 vcc_lo, 6, v134
	v_cmp_eq_u32_e64 s3, 6, v133
	v_lshrrev_b32_e32 v16, 16, v8
	v_cndmask_b32_e64 v3, v3, v4, s6
	v_cndmask_b32_e64 v5, v5, v8, s6
	v_cndmask_b32_e32 v9, v9, v4, vcc_lo
	v_cndmask_b32_e64 v6, v6, v4, s5
	v_cndmask_b32_e64 v7, v7, v8, s5
	v_cmp_eq_u32_e64 s4, 7, v134
	v_cndmask_b32_e32 v10, v10, v8, vcc_lo
	v_cndmask_b32_e64 v1, v1, v4, s3
	v_cmp_eq_u32_e32 vcc_lo, 7, v133
	v_cndmask_b32_e64 v2, v2, v8, s3
	v_cmp_eq_u32_e64 s3, 7, v130
	v_cmp_eq_u32_e64 s5, 7, v132
	v_cndmask_b32_e32 v1, v1, v12, vcc_lo
	s_delay_alu instid0(VALU_DEP_4) | instskip(NEXT) | instid1(VALU_DEP_4)
	v_cndmask_b32_e32 v2, v2, v16, vcc_lo
	v_cndmask_b32_e64 v8, v3, v12, s3
	s_delay_alu instid0(VALU_DEP_4)
	v_cndmask_b32_e64 v6, v6, v12, s5
	v_cndmask_b32_e64 v3, v9, v12, s4
	;; [unrolled: 1-line block ×5, first 2 shown]
	v_cmp_gt_u32_e32 vcc_lo, 32, v0
	v_perm_b32 v4, v2, v1, 0x5040100
	v_perm_b32 v3, v9, v3, 0x5040100
	;; [unrolled: 1-line block ×4, first 2 shown]
	s_and_b32 s2, vcc_lo, s2
	ds_store_b128 v129, v[1:4]
	s_waitcnt lgkmcnt(0)
	s_barrier
	buffer_gl0_inv
	s_and_saveexec_b32 s3, s2
	s_cbranch_execz .LBB53_2
; %bb.15:
	s_load_b64 s[0:1], s[0:1], 0x68
	v_lshlrev_b32_e32 v0, 10, v0
	s_lshl_b32 s4, s35, 6
	v_or_b32_e32 v23, s31, v146
	s_mul_i32 s2, s4, s34
	v_lshlrev_b32_e32 v1, 4, v147
	v_lshlrev_b32_e32 v2, 6, v146
	s_mul_i32 s2, s2, s7
	v_and_b32_e32 v0, 0x3800, v0
	v_mul_lo_u32 v8, v23, s4
	s_ashr_i32 s3, s2, 31
	v_or_b32_e32 v3, 2, v23
	s_lshl_b64 s[2:3], s[2:3], 1
	v_or3_b32 v27, v0, v1, v2
	v_or_b32_e32 v11, 4, v23
	v_or_b32_e32 v18, 6, v23
	v_mul_lo_u32 v10, v3, s4
	v_ashrrev_i32_e32 v9, 31, v8
	ds_load_b128 v[0:3], v27
	ds_load_b128 v[4:7], v27 offset:128
	v_mul_lo_u32 v12, v11, s4
	s_waitcnt lgkmcnt(0)
	s_add_u32 s2, s0, s2
	s_addc_u32 s3, s1, s3
	s_lshl_b32 s0, s14, 6
	v_lshlrev_b64 v[8:9], 1, v[8:9]
	s_ashr_i32 s1, s0, 31
	v_ashrrev_i32_e32 v11, 31, v10
	s_lshl_b64 s[0:1], s[0:1], 1
	v_ashrrev_i32_e32 v13, 31, v12
	s_add_u32 s0, s2, s0
	s_addc_u32 s1, s3, s1
	v_add_co_u32 v30, s0, s0, v145
	s_delay_alu instid0(VALU_DEP_1) | instskip(SKIP_1) | instid1(VALU_DEP_3)
	v_add_co_ci_u32_e64 v31, null, s1, 0, s0
	v_lshlrev_b64 v[16:17], 1, v[10:11]
	v_add_co_u32 v14, vcc_lo, v30, v8
	s_delay_alu instid0(VALU_DEP_3)
	v_add_co_ci_u32_e32 v15, vcc_lo, v31, v9, vcc_lo
	ds_load_b128 v[8:11], v27 offset:256
	v_mul_lo_u32 v18, v18, s4
	v_or_b32_e32 v19, 8, v23
	v_add_co_u32 v16, vcc_lo, v30, v16
	global_store_b128 v[14:15], v[0:3], off
	v_lshlrev_b64 v[0:1], 1, v[12:13]
	v_add_co_ci_u32_e32 v17, vcc_lo, v31, v17, vcc_lo
	v_mul_lo_u32 v12, v19, s4
	v_ashrrev_i32_e32 v19, 31, v18
	v_or_b32_e32 v14, 10, v23
	global_store_b128 v[16:17], v[4:7], off
	v_add_co_u32 v4, vcc_lo, v30, v0
	v_add_co_ci_u32_e32 v5, vcc_lo, v31, v1, vcc_lo
	ds_load_b128 v[0:3], v27 offset:384
	v_ashrrev_i32_e32 v13, 31, v12
	v_lshlrev_b64 v[6:7], 1, v[18:19]
	v_mul_lo_u32 v14, v14, s4
	s_waitcnt lgkmcnt(1)
	global_store_b128 v[4:5], v[8:11], off
	v_or_b32_e32 v8, 12, v23
	v_lshlrev_b64 v[4:5], 1, v[12:13]
	v_add_co_u32 v20, vcc_lo, v30, v6
	v_or_b32_e32 v6, 14, v23
	v_ashrrev_i32_e32 v15, 31, v14
	v_mul_lo_u32 v22, v8, s4
	v_add_co_ci_u32_e32 v21, vcc_lo, v31, v7, vcc_lo
	v_add_co_u32 v24, vcc_lo, v30, v4
	v_mul_lo_u32 v26, v6, s4
	v_add_co_ci_u32_e32 v25, vcc_lo, v31, v5, vcc_lo
	v_lshlrev_b64 v[28:29], 1, v[14:15]
	ds_load_b128 v[4:7], v27 offset:512
	ds_load_b128 v[8:11], v27 offset:640
	;; [unrolled: 1-line block ×4, first 2 shown]
	v_ashrrev_i32_e32 v23, 31, v22
	v_ashrrev_i32_e32 v27, 31, v26
	v_add_co_u32 v28, vcc_lo, v30, v28
	s_delay_alu instid0(VALU_DEP_3) | instskip(SKIP_1) | instid1(VALU_DEP_4)
	v_lshlrev_b64 v[22:23], 1, v[22:23]
	v_add_co_ci_u32_e32 v29, vcc_lo, v31, v29, vcc_lo
	v_lshlrev_b64 v[26:27], 1, v[26:27]
	s_delay_alu instid0(VALU_DEP_3) | instskip(NEXT) | instid1(VALU_DEP_4)
	v_add_co_u32 v22, vcc_lo, v30, v22
	v_add_co_ci_u32_e32 v23, vcc_lo, v31, v23, vcc_lo
	s_delay_alu instid0(VALU_DEP_3) | instskip(NEXT) | instid1(VALU_DEP_4)
	v_add_co_u32 v26, vcc_lo, v30, v26
	v_add_co_ci_u32_e32 v27, vcc_lo, v31, v27, vcc_lo
	s_waitcnt lgkmcnt(4)
	global_store_b128 v[20:21], v[0:3], off
	s_waitcnt lgkmcnt(3)
	global_store_b128 v[24:25], v[4:7], off
	;; [unrolled: 2-line block ×5, first 2 shown]
	s_nop 0
	s_sendmsg sendmsg(MSG_DEALLOC_VGPRS)
	s_endpgm
	.section	.rodata,"a",@progbits
	.p2align	6, 0x0
	.amdhsa_kernel _Z39paged_attention_ll4mi_QKV_mfma16_kernelIDF16_DF16_LN4vllm18Fp8KVCacheDataTypeE0EhLi16ELi64ELi256ELb0ELi16EL8MFMAType0EEvPKT_PKT0_S8_ifPKiSA_SA_iPKfiiiPfSD_PS3_PT2_iSC_SC_
		.amdhsa_group_segment_fixed_size 17472
		.amdhsa_private_segment_fixed_size 0
		.amdhsa_kernarg_size 400
		.amdhsa_user_sgpr_count 13
		.amdhsa_user_sgpr_dispatch_ptr 0
		.amdhsa_user_sgpr_queue_ptr 0
		.amdhsa_user_sgpr_kernarg_segment_ptr 1
		.amdhsa_user_sgpr_dispatch_id 0
		.amdhsa_user_sgpr_private_segment_size 0
		.amdhsa_wavefront_size32 1
		.amdhsa_uses_dynamic_stack 0
		.amdhsa_enable_private_segment 0
		.amdhsa_system_sgpr_workgroup_id_x 1
		.amdhsa_system_sgpr_workgroup_id_y 1
		.amdhsa_system_sgpr_workgroup_id_z 1
		.amdhsa_system_sgpr_workgroup_info 0
		.amdhsa_system_vgpr_workitem_id 0
		.amdhsa_next_free_vgpr 198
		.amdhsa_next_free_sgpr 52
		.amdhsa_reserve_vcc 1
		.amdhsa_float_round_mode_32 0
		.amdhsa_float_round_mode_16_64 0
		.amdhsa_float_denorm_mode_32 3
		.amdhsa_float_denorm_mode_16_64 3
		.amdhsa_dx10_clamp 1
		.amdhsa_ieee_mode 1
		.amdhsa_fp16_overflow 0
		.amdhsa_workgroup_processor_mode 1
		.amdhsa_memory_ordered 1
		.amdhsa_forward_progress 0
		.amdhsa_shared_vgpr_count 0
		.amdhsa_exception_fp_ieee_invalid_op 0
		.amdhsa_exception_fp_denorm_src 0
		.amdhsa_exception_fp_ieee_div_zero 0
		.amdhsa_exception_fp_ieee_overflow 0
		.amdhsa_exception_fp_ieee_underflow 0
		.amdhsa_exception_fp_ieee_inexact 0
		.amdhsa_exception_int_div_zero 0
	.end_amdhsa_kernel
	.section	.text._Z39paged_attention_ll4mi_QKV_mfma16_kernelIDF16_DF16_LN4vllm18Fp8KVCacheDataTypeE0EhLi16ELi64ELi256ELb0ELi16EL8MFMAType0EEvPKT_PKT0_S8_ifPKiSA_SA_iPKfiiiPfSD_PS3_PT2_iSC_SC_,"axG",@progbits,_Z39paged_attention_ll4mi_QKV_mfma16_kernelIDF16_DF16_LN4vllm18Fp8KVCacheDataTypeE0EhLi16ELi64ELi256ELb0ELi16EL8MFMAType0EEvPKT_PKT0_S8_ifPKiSA_SA_iPKfiiiPfSD_PS3_PT2_iSC_SC_,comdat
.Lfunc_end53:
	.size	_Z39paged_attention_ll4mi_QKV_mfma16_kernelIDF16_DF16_LN4vllm18Fp8KVCacheDataTypeE0EhLi16ELi64ELi256ELb0ELi16EL8MFMAType0EEvPKT_PKT0_S8_ifPKiSA_SA_iPKfiiiPfSD_PS3_PT2_iSC_SC_, .Lfunc_end53-_Z39paged_attention_ll4mi_QKV_mfma16_kernelIDF16_DF16_LN4vllm18Fp8KVCacheDataTypeE0EhLi16ELi64ELi256ELb0ELi16EL8MFMAType0EEvPKT_PKT0_S8_ifPKiSA_SA_iPKfiiiPfSD_PS3_PT2_iSC_SC_
                                        ; -- End function
	.section	.AMDGPU.csdata,"",@progbits
; Kernel info:
; codeLenInByte = 8016
; NumSgprs: 54
; NumVgprs: 198
; ScratchSize: 0
; MemoryBound: 0
; FloatMode: 240
; IeeeMode: 1
; LDSByteSize: 17472 bytes/workgroup (compile time only)
; SGPRBlocks: 6
; VGPRBlocks: 24
; NumSGPRsForWavesPerEU: 54
; NumVGPRsForWavesPerEU: 198
; Occupancy: 7
; WaveLimiterHint : 1
; COMPUTE_PGM_RSRC2:SCRATCH_EN: 0
; COMPUTE_PGM_RSRC2:USER_SGPR: 13
; COMPUTE_PGM_RSRC2:TRAP_HANDLER: 0
; COMPUTE_PGM_RSRC2:TGID_X_EN: 1
; COMPUTE_PGM_RSRC2:TGID_Y_EN: 1
; COMPUTE_PGM_RSRC2:TGID_Z_EN: 1
; COMPUTE_PGM_RSRC2:TIDIG_COMP_CNT: 0
	.section	.text._Z39paged_attention_ll4mi_QKV_mfma16_kernelIDF16_DF16_LN4vllm18Fp8KVCacheDataTypeE0EhLi16ELi64ELi256ELb0ELi1EL8MFMAType0EEvPKT_PKT0_S8_ifPKiSA_SA_iPKfiiiPfSD_PS3_PT2_iSC_SC_,"axG",@progbits,_Z39paged_attention_ll4mi_QKV_mfma16_kernelIDF16_DF16_LN4vllm18Fp8KVCacheDataTypeE0EhLi16ELi64ELi256ELb0ELi1EL8MFMAType0EEvPKT_PKT0_S8_ifPKiSA_SA_iPKfiiiPfSD_PS3_PT2_iSC_SC_,comdat
	.protected	_Z39paged_attention_ll4mi_QKV_mfma16_kernelIDF16_DF16_LN4vllm18Fp8KVCacheDataTypeE0EhLi16ELi64ELi256ELb0ELi1EL8MFMAType0EEvPKT_PKT0_S8_ifPKiSA_SA_iPKfiiiPfSD_PS3_PT2_iSC_SC_ ; -- Begin function _Z39paged_attention_ll4mi_QKV_mfma16_kernelIDF16_DF16_LN4vllm18Fp8KVCacheDataTypeE0EhLi16ELi64ELi256ELb0ELi1EL8MFMAType0EEvPKT_PKT0_S8_ifPKiSA_SA_iPKfiiiPfSD_PS3_PT2_iSC_SC_
	.globl	_Z39paged_attention_ll4mi_QKV_mfma16_kernelIDF16_DF16_LN4vllm18Fp8KVCacheDataTypeE0EhLi16ELi64ELi256ELb0ELi1EL8MFMAType0EEvPKT_PKT0_S8_ifPKiSA_SA_iPKfiiiPfSD_PS3_PT2_iSC_SC_
	.p2align	8
	.type	_Z39paged_attention_ll4mi_QKV_mfma16_kernelIDF16_DF16_LN4vllm18Fp8KVCacheDataTypeE0EhLi16ELi64ELi256ELb0ELi1EL8MFMAType0EEvPKT_PKT0_S8_ifPKiSA_SA_iPKfiiiPfSD_PS3_PT2_iSC_SC_,@function
_Z39paged_attention_ll4mi_QKV_mfma16_kernelIDF16_DF16_LN4vllm18Fp8KVCacheDataTypeE0EhLi16ELi64ELi256ELb0ELi1EL8MFMAType0EEvPKT_PKT0_S8_ifPKiSA_SA_iPKfiiiPfSD_PS3_PT2_iSC_SC_: ; @_Z39paged_attention_ll4mi_QKV_mfma16_kernelIDF16_DF16_LN4vllm18Fp8KVCacheDataTypeE0EhLi16ELi64ELi256ELb0ELi1EL8MFMAType0EEvPKT_PKT0_S8_ifPKiSA_SA_iPKfiiiPfSD_PS3_PT2_iSC_SC_
; %bb.0:
	s_load_b64 s[4:5], s[0:1], 0x30
	s_mov_b32 s34, s13
	s_waitcnt lgkmcnt(0)
	s_cmp_lg_u64 s[4:5], 0
	s_cselect_b32 s6, -1, 0
	s_ashr_i32 s35, s13, 31
	s_cmp_eq_u64 s[4:5], 0
	s_cbranch_scc1 .LBB54_3
; %bb.1:
	s_lshl_b64 s[2:3], s[34:35], 2
	s_delay_alu instid0(SALU_CYCLE_1) | instskip(SKIP_4) | instid1(SALU_CYCLE_1)
	s_add_u32 s2, s4, s2
	s_addc_u32 s3, s5, s3
	s_load_b64 s[2:3], s[2:3], 0x0
	s_waitcnt lgkmcnt(0)
	s_sub_i32 s2, s3, s2
	s_cmp_eq_u32 s2, 1
	s_cselect_b32 s2, -1, 0
	s_delay_alu instid0(SALU_CYCLE_1)
	s_and_not1_b32 vcc_lo, exec_lo, s2
	s_cbranch_vccz .LBB54_4
.LBB54_2:
	s_endpgm
.LBB54_3:
.LBB54_4:
	s_load_b64 s[2:3], s[0:1], 0x28
	s_lshl_b64 s[8:9], s[34:35], 2
	s_waitcnt lgkmcnt(0)
	s_add_u32 s2, s2, s8
	s_addc_u32 s3, s3, s9
	s_lshl_b32 s62, s14, 8
	s_load_b32 s33, s[2:3], 0x0
	s_waitcnt lgkmcnt(0)
	s_cmp_ge_i32 s62, s33
	s_cbranch_scc1 .LBB54_2
; %bb.5:
	s_clause 0x1
	s_load_b128 s[56:59], s[0:1], 0x8
	s_load_b64 s[2:3], s[0:1], 0x20
	s_and_not1_b32 vcc_lo, exec_lo, s6
	s_mov_b64 s[6:7], s[34:35]
	s_cbranch_vccnz .LBB54_7
; %bb.6:
	s_add_u32 s4, s4, s8
	s_addc_u32 s5, s5, s9
	s_load_b32 s6, s[4:5], 0x0
.LBB54_7:
	s_load_b128 s[52:55], s[0:1], 0x48
	v_and_b32_e32 v145, 15, v0
	s_mov_b32 s12, exec_lo
                                        ; implicit-def: $sgpr24
                                        ; implicit-def: $sgpr36
                                        ; implicit-def: $sgpr16
                                        ; implicit-def: $sgpr4
	s_delay_alu instid0(VALU_DEP_1)
	v_cmpx_eq_u32_e32 0, v145
	s_cbranch_execz .LBB54_9
; %bb.8:
	s_load_b64 s[4:5], s[0:1], 0x0
	s_waitcnt lgkmcnt(0)
	s_mul_hi_i32 s7, s6, s52
	s_mul_i32 s6, s6, s52
	s_delay_alu instid0(SALU_CYCLE_1) | instskip(NEXT) | instid1(SALU_CYCLE_1)
	s_lshl_b64 s[6:7], s[6:7], 1
	s_add_u32 s6, s4, s6
	s_addc_u32 s7, s5, s7
	s_lshl_b32 s4, s15, 6
	s_delay_alu instid0(SALU_CYCLE_1) | instskip(NEXT) | instid1(SALU_CYCLE_1)
	s_ashr_i32 s5, s4, 31
	s_lshl_b64 s[4:5], s[4:5], 1
	s_delay_alu instid0(SALU_CYCLE_1)
	s_add_u32 s4, s6, s4
	s_addc_u32 s5, s7, s5
	s_clause 0x3
	s_load_b256 s[24:31], s[4:5], 0x0
	s_load_b256 s[36:43], s[4:5], 0x20
	;; [unrolled: 1-line block ×4, first 2 shown]
.LBB54_9:
	s_or_b32 exec_lo, exec_lo, s12
	s_waitcnt lgkmcnt(0)
	v_dual_mov_b32 v48, s31 :: v_dual_and_b32 v1, 0xef, v0
	s_add_i32 s13, s33, 15
	s_clause 0x1
	s_load_b32 s12, s[0:1], 0x38
	s_load_b32 s52, s[0:1], 0x1c
	v_dual_mov_b32 v46, s29 :: v_dual_add_nc_u32 v1, s62, v1
	s_ashr_i32 s35, s13, 31
	v_mov_b32_e32 v45, s28
	s_lshr_b32 s35, s35, 28
	s_delay_alu instid0(VALU_DEP_2)
	v_ashrrev_i32_e32 v2, 31, v1
	v_or_b32_e32 v3, 16, v1
	s_add_i32 s13, s13, s35
	v_cmp_gt_i32_e32 vcc_lo, s33, v1
	s_ashr_i32 s35, s13, 4
	v_lshrrev_b32_e32 v2, 28, v2
	s_add_i32 s35, s35, -1
	v_mov_b32_e32 v43, s26
	v_mov_b32_e32 v41, s24
	v_dual_mov_b32 v162, s43 :: v_dual_lshlrev_b32 v37, 5, v145
	v_dual_mov_b32 v47, s30 :: v_dual_add_nc_u32 v4, v1, v2
	s_waitcnt lgkmcnt(0)
	s_mul_i32 s12, s34, s12
	v_mov_b32_e32 v160, s41
	s_ashr_i32 s13, s12, 31
	v_ashrrev_i32_e32 v4, 4, v4
	v_add_nc_u32_e32 v2, v3, v2
	s_lshl_b64 s[12:13], s[12:13], 2
	v_mov_b32_e32 v158, s39
	s_add_u32 s63, s2, s12
	v_cndmask_b32_e32 v1, s35, v4, vcc_lo
	v_ashrrev_i32_e32 v2, 4, v2
	v_cmp_gt_i32_e32 vcc_lo, s33, v3
	s_addc_u32 s64, s3, s13
	s_mul_i32 s2, s15, s54
	v_mov_b32_e32 v156, s37
	s_ashr_i32 s3, s2, 31
	v_cndmask_b32_e32 v3, s35, v2, vcc_lo
	v_ashrrev_i32_e32 v2, 31, v1
	s_lshl_b64 s[2:3], s[2:3], 1
	v_lshrrev_b32_e32 v146, 5, v0
	s_add_u32 s56, s56, s2
	v_ashrrev_i32_e32 v4, 31, v3
	v_lshlrev_b64 v[1:2], 2, v[1:2]
	s_addc_u32 s57, s57, s3
	s_lshl_b32 s12, s14, 4
	v_mov_b32_e32 v44, s27
	v_lshlrev_b64 v[3:4], 2, v[3:4]
	s_ashr_i32 s13, s12, 31
	v_add_co_u32 v1, vcc_lo, s63, v1
	v_add_co_ci_u32_e32 v2, vcc_lo, s64, v2, vcc_lo
	s_delay_alu instid0(VALU_DEP_3) | instskip(NEXT) | instid1(VALU_DEP_4)
	v_add_co_u32 v3, vcc_lo, s63, v3
	v_add_co_ci_u32_e32 v4, vcc_lo, s64, v4, vcc_lo
	s_clause 0x1
	global_load_b32 v5, v[1:2], off
	global_load_b32 v6, v[3:4], off
	s_lshl_b64 s[12:13], s[12:13], 2
	v_lshlrev_b32_e32 v3, 4, v0
	s_add_u32 s12, s63, s12
	s_addc_u32 s13, s64, s13
	s_or_b32 s44, s62, 16
	v_mov_b32_e32 v42, s25
	s_ashr_i32 s45, s44, 4
	s_cmp_lt_i32 s44, s33
	s_cselect_b32 s44, s45, s35
	s_delay_alu instid0(SALU_CYCLE_1) | instskip(NEXT) | instid1(SALU_CYCLE_1)
	s_ashr_i32 s45, s44, 31
	s_lshl_b64 s[44:45], s[44:45], 2
	s_delay_alu instid0(SALU_CYCLE_1) | instskip(SKIP_2) | instid1(SALU_CYCLE_1)
	s_add_u32 s44, s63, s44
	s_addc_u32 s45, s64, s45
	s_or_b32 s46, s62, 32
	s_ashr_i32 s47, s46, 4
	s_cmp_lt_i32 s46, s33
	s_cselect_b32 s46, s47, s35
	s_delay_alu instid0(SALU_CYCLE_1) | instskip(NEXT) | instid1(SALU_CYCLE_1)
	s_ashr_i32 s47, s46, 31
	s_lshl_b64 s[46:47], s[46:47], 2
	s_delay_alu instid0(SALU_CYCLE_1) | instskip(SKIP_2) | instid1(SALU_CYCLE_1)
	s_add_u32 s46, s63, s46
	s_addc_u32 s47, s64, s47
	s_or_b32 s48, s62, 48
	;; [unrolled: 10-line block ×4, first 2 shown]
	s_ashr_i32 s55, s54, 4
	s_cmp_lt_i32 s54, s33
	s_cselect_b32 s54, s55, s35
	s_delay_alu instid0(SALU_CYCLE_1) | instskip(NEXT) | instid1(SALU_CYCLE_1)
	s_ashr_i32 s55, s54, 31
	s_lshl_b64 s[54:55], s[54:55], 2
	s_delay_alu instid0(SALU_CYCLE_1)
	s_add_u32 s54, s63, s54
	s_addc_u32 s55, s64, s55
	s_clause 0x5
	s_load_b32 s12, s[12:13], 0x0
	s_load_b32 s69, s[44:45], 0x0
	;; [unrolled: 1-line block ×6, first 2 shown]
	s_waitcnt lgkmcnt(0)
	s_mul_hi_i32 s29, s67, s53
	s_waitcnt vmcnt(1)
	v_mad_i64_i32 v[1:2], null, v5, s53, 0
	v_and_b32_e32 v5, 0xf0, v3
	s_waitcnt vmcnt(0)
	v_mad_i64_i32 v[3:4], null, v6, s53, 0
	s_delay_alu instid0(VALU_DEP_2) | instskip(NEXT) | instid1(VALU_DEP_4)
	v_add_co_u32 v5, s13, s56, v5
	v_lshlrev_b64 v[1:2], 1, v[1:2]
	v_add_co_ci_u32_e64 v6, null, s57, 0, s13
	s_delay_alu instid0(VALU_DEP_4) | instskip(SKIP_1) | instid1(VALU_DEP_3)
	v_lshlrev_b64 v[3:4], 1, v[3:4]
	s_or_b32 s13, s62, 0x60
	v_add_co_u32 v33, vcc_lo, v5, v1
	s_delay_alu instid0(VALU_DEP_3) | instskip(NEXT) | instid1(VALU_DEP_3)
	v_add_co_ci_u32_e32 v34, vcc_lo, v6, v2, vcc_lo
	v_add_co_u32 v35, vcc_lo, v5, v3
	s_delay_alu instid0(VALU_DEP_4)
	v_add_co_ci_u32_e32 v36, vcc_lo, v6, v4, vcc_lo
	s_clause 0xf
	global_load_b128 v[1:4], v[33:34], off
	global_load_b128 v[5:8], v[33:34], off offset:256
	global_load_b128 v[9:12], v[35:36], off
	global_load_b128 v[13:16], v[35:36], off offset:256
	global_load_b128 v[25:28], v[33:34], off offset:512
	;; [unrolled: 1-line block ×13, first 2 shown]
	s_ashr_i32 s44, s13, 4
	s_cmp_lt_i32 s13, s33
	v_lshl_or_b32 v33, v146, 9, v37
	s_cselect_b32 s44, s44, s35
	s_delay_alu instid0(SALU_CYCLE_1) | instskip(NEXT) | instid1(SALU_CYCLE_1)
	s_ashr_i32 s45, s44, 31
	s_lshl_b64 s[44:45], s[44:45], 2
	s_delay_alu instid0(SALU_CYCLE_1) | instskip(SKIP_2) | instid1(SALU_CYCLE_1)
	s_add_u32 s54, s63, s44
	s_addc_u32 s55, s64, s45
	s_or_b32 s13, s62, 0x70
	s_ashr_i32 s44, s13, 4
	s_cmp_lt_i32 s13, s33
	s_cselect_b32 s44, s44, s35
	s_delay_alu instid0(SALU_CYCLE_1) | instskip(NEXT) | instid1(SALU_CYCLE_1)
	s_ashr_i32 s45, s44, 31
	s_lshl_b64 s[44:45], s[44:45], 2
	s_delay_alu instid0(SALU_CYCLE_1)
	s_add_u32 s56, s63, s44
	s_addc_u32 s57, s64, s45
	s_or_b32 s13, s62, 0x80
	s_mov_b32 s44, 0
	s_ashr_i32 s45, s13, 4
	s_cmp_lt_i32 s13, s33
	s_mov_b32 s48, s44
	s_cselect_b32 s46, s45, s35
	s_mov_b32 s45, s44
	s_ashr_i32 s47, s46, 31
	s_mov_b32 s49, s44
	s_lshl_b64 s[46:47], s[46:47], 2
	s_mov_b32 s50, s44
	s_add_u32 s60, s63, s46
	s_addc_u32 s61, s64, s47
	s_or_b32 s13, s62, 0x90
	s_mov_b32 s46, s44
	s_ashr_i32 s24, s13, 4
	s_cmp_lt_i32 s13, s33
	s_mov_b32 s47, s44
	s_cselect_b32 s24, s24, s35
	s_mov_b32 s51, s44
	s_ashr_i32 s25, s24, 31
	v_dual_mov_b32 v161, s42 :: v_dual_mov_b32 v136, s51
	s_lshl_b64 s[24:25], s[24:25], 2
	v_dual_mov_b32 v159, s40 :: v_dual_mov_b32 v134, s49
	v_dual_mov_b32 v157, s38 :: v_dual_mov_b32 v132, s47
	;; [unrolled: 1-line block ×3, first 2 shown]
	s_add_u32 s36, s63, s24
	s_addc_u32 s37, s64, s25
	s_or_b32 s13, s62, 0xa0
	v_mov_b32_e32 v135, s50
	s_ashr_i32 s24, s13, 4
	s_cmp_lt_i32 s13, s33
	v_mov_b32_e32 v133, s48
	s_cselect_b32 s24, s24, s35
	v_mov_b32_e32 v131, s46
	s_ashr_i32 s25, s24, 31
	v_mov_b32_e32 v129, s44
	s_lshl_b64 s[24:25], s[24:25], 2
	s_clause 0x2
	s_load_b32 s49, s[54:55], 0x0
	s_load_b32 s50, s[56:57], 0x0
	s_load_b32 s51, s[60:61], 0x0
	s_add_u32 s38, s63, s24
	s_addc_u32 s39, s64, s25
	s_or_b32 s13, s62, 0xb0
	s_clause 0x1
	s_load_b32 s48, s[36:37], 0x0
	s_load_b32 s47, s[38:39], 0x0
	s_ashr_i32 s24, s13, 4
	s_cmp_lt_i32 s13, s33
	s_mul_hi_i32 s13, s12, s53
	s_cselect_b32 s26, s24, s35
	s_mul_i32 s12, s12, s53
	s_ashr_i32 s27, s26, 31
	s_mul_hi_i32 s25, s69, s53
	s_lshl_b64 s[26:27], s[26:27], 2
	s_mul_i32 s24, s69, s53
	s_add_u32 s40, s63, s26
	s_addc_u32 s41, s64, s27
	s_or_b32 s26, s62, 0xc0
	s_mul_hi_i32 s27, s68, s53
	s_ashr_i32 s28, s26, 4
	s_cmp_lt_i32 s26, s33
	s_mul_i32 s26, s68, s53
	s_cselect_b32 s30, s28, s35
	s_mul_i32 s28, s67, s53
	s_ashr_i32 s31, s30, 31
	s_mul_hi_i32 s37, s65, s53
	s_lshl_b64 s[42:43], s[30:31], 2
	s_mul_hi_i32 s31, s66, s53
	s_add_u32 s42, s63, s42
	s_addc_u32 s43, s64, s43
	s_or_b32 s30, s62, 0xd0
	s_mul_i32 s36, s65, s53
	s_ashr_i32 s44, s30, 4
	s_cmp_lt_i32 s30, s33
	s_mul_i32 s30, s66, s53
	s_cselect_b32 s44, s44, s35
	s_delay_alu instid0(SALU_CYCLE_1) | instskip(NEXT) | instid1(SALU_CYCLE_1)
	s_ashr_i32 s45, s44, 31
	s_lshl_b64 s[44:45], s[44:45], 2
	s_delay_alu instid0(SALU_CYCLE_1)
	s_add_u32 s38, s63, s44
	s_addc_u32 s39, s64, s45
	s_or_b32 s54, s62, 0xe0
	s_clause 0x2
	s_load_b32 s46, s[40:41], 0x0
	s_load_b32 s45, s[42:43], 0x0
	;; [unrolled: 1-line block ×3, first 2 shown]
	s_ashr_i32 s55, s54, 4
	s_cmp_lt_i32 s54, s33
	s_waitcnt lgkmcnt(0)
	s_mul_hi_i32 s41, s50, s53
	s_mul_i32 s40, s50, s53
	s_cselect_b32 s50, s55, s35
	s_mul_hi_i32 s43, s51, s53
	s_mul_i32 s42, s51, s53
	s_ashr_i32 s51, s50, 31
	s_mul_hi_i32 s39, s49, s53
	s_lshl_b64 s[50:51], s[50:51], 2
	s_mul_i32 s38, s49, s53
	s_add_u32 s50, s63, s50
	s_addc_u32 s51, s64, s51
	s_or_b32 s56, s62, 0xf0
	s_mul_hi_i32 s49, s48, s53
	s_ashr_i32 s57, s56, 4
	s_cmp_lt_i32 s56, s33
	s_mul_i32 s48, s48, s53
	s_cselect_b32 s56, s57, s35
	s_mul_hi_i32 s55, s47, s53
	s_ashr_i32 s57, s56, 31
	s_mul_i32 s54, s47, s53
	s_lshl_b64 s[56:57], s[56:57], 2
	s_mul_hi_i32 s47, s46, s53
	s_add_u32 s56, s63, s56
	s_addc_u32 s57, s64, s57
	s_add_u32 s35, s58, s2
	s_addc_u32 s58, s59, s3
	v_add_co_u32 v193, s35, s35, v33
	s_delay_alu instid0(VALU_DEP_1) | instskip(SKIP_2) | instid1(VALU_DEP_2)
	v_add_co_ci_u32_e64 v194, null, s58, 0, s35
	s_lshl_b64 s[2:3], s[12:13], 1
	s_lshl_b64 s[12:13], s[24:25], 1
	v_add_co_u32 v33, vcc_lo, v193, s2
	s_delay_alu instid0(VALU_DEP_2)
	v_add_co_ci_u32_e32 v34, vcc_lo, s3, v194, vcc_lo
	v_add_co_u32 v35, vcc_lo, v193, s12
	s_lshl_b64 s[24:25], s[26:27], 1
	v_add_co_ci_u32_e32 v36, vcc_lo, s13, v194, vcc_lo
	v_add_co_u32 v37, vcc_lo, v193, s24
	s_lshl_b64 s[26:27], s[28:29], 1
	v_add_co_ci_u32_e32 v38, vcc_lo, s25, v194, vcc_lo
	v_add_co_u32 v39, vcc_lo, v193, s26
	s_lshl_b64 s[28:29], s[30:31], 1
	v_add_co_ci_u32_e32 v40, vcc_lo, s27, v194, vcc_lo
	v_add_co_u32 v49, vcc_lo, v193, s28
	s_lshl_b64 s[30:31], s[36:37], 1
	v_add_co_ci_u32_e32 v50, vcc_lo, s29, v194, vcc_lo
	v_add_co_u32 v51, vcc_lo, v193, s30
	s_lshl_b64 s[36:37], s[38:39], 1
	v_add_co_ci_u32_e32 v52, vcc_lo, s31, v194, vcc_lo
	v_add_co_u32 v53, vcc_lo, v193, s36
	s_lshl_b64 s[38:39], s[40:41], 1
	s_clause 0x1
	s_load_b32 s35, s[50:51], 0x0
	s_load_b32 s50, s[56:57], 0x0
	v_add_co_ci_u32_e32 v54, vcc_lo, s37, v194, vcc_lo
	v_add_co_u32 v55, vcc_lo, v193, s38
	s_lshl_b64 s[40:41], s[42:43], 1
	v_add_co_ci_u32_e32 v56, vcc_lo, s39, v194, vcc_lo
	v_add_co_u32 v61, vcc_lo, v193, s40
	s_lshl_b64 s[42:43], s[48:49], 1
	;; [unrolled: 3-line block ×3, first 2 shown]
	s_mul_i32 s46, s46, s53
	v_add_co_ci_u32_e32 v180, vcc_lo, s43, v194, vcc_lo
	v_add_co_u32 v181, vcc_lo, v193, s48
	s_lshl_b64 s[46:47], s[46:47], 1
	s_mul_hi_i32 s61, s45, s53
	s_mul_i32 s60, s45, s53
	v_add_co_ci_u32_e32 v182, vcc_lo, s49, v194, vcc_lo
	v_add_co_u32 v187, vcc_lo, v193, s46
	s_clause 0x15
	global_load_b128 v[121:124], v[33:34], off
	global_load_b128 v[125:128], v[33:34], off offset:16
	global_load_b128 v[113:116], v[35:36], off
	global_load_b128 v[117:120], v[35:36], off offset:16
	;; [unrolled: 2-line block ×11, first 2 shown]
	s_lshl_b64 s[54:55], s[60:61], 1
	s_mul_hi_i32 s45, s44, s53
	s_mul_i32 s44, s44, s53
	v_add_co_ci_u32_e32 v188, vcc_lo, s47, v194, vcc_lo
	v_add_co_u32 v189, vcc_lo, v193, s54
	s_lshl_b64 s[44:45], s[44:45], 1
	v_add_co_ci_u32_e32 v190, vcc_lo, s55, v194, vcc_lo
	s_waitcnt lgkmcnt(0)
	s_mul_hi_i32 s3, s35, s53
	s_mul_i32 s2, s35, s53
	v_add_co_u32 v191, vcc_lo, v193, s44
	s_lshl_b64 s[2:3], s[2:3], 1
	v_add_co_ci_u32_e32 v192, vcc_lo, s45, v194, vcc_lo
	s_mul_hi_i32 s13, s50, s53
	s_mul_i32 s12, s50, s53
	s_waitcnt vmcnt(36)
	v_wmma_f32_16x16x16_f16 v[179:186], v[1:8], v[41:48], v[129:136]
	s_waitcnt vmcnt(34)
	v_wmma_f32_16x16x16_f16 v[129:136], v[9:16], v[41:48], v[129:136]
	v_add_co_u32 v45, vcc_lo, v193, s2
	v_add_co_ci_u32_e32 v46, vcc_lo, s3, v194, vcc_lo
	s_lshl_b64 s[2:3], s[12:13], 1
	s_clause 0x3
	global_load_b128 v[1:4], v[187:188], off
	global_load_b128 v[5:8], v[187:188], off offset:16
	global_load_b128 v[9:12], v[189:190], off
	global_load_b128 v[13:16], v[189:190], off offset:16
	v_add_co_u32 v187, vcc_lo, v193, s2
	v_add_co_ci_u32_e32 v188, vcc_lo, s3, v194, vcc_lo
	s_waitcnt vmcnt(36)
	v_wmma_f32_16x16x16_f16 v[179:186], v[25:32], v[155:162], v[179:186]
	s_clause 0x1
	global_load_b128 v[25:28], v[191:192], off
	global_load_b128 v[29:32], v[191:192], off offset:16
	s_waitcnt vmcnt(36)
	v_wmma_f32_16x16x16_f16 v[129:136], v[17:24], v[155:162], v[129:136]
	s_clause 0x3
	global_load_b128 v[41:44], v[45:46], off
	global_load_b128 v[45:48], v[45:46], off offset:16
	global_load_b128 v[17:20], v[187:188], off
	global_load_b128 v[21:24], v[187:188], off offset:16
	v_dual_mov_b32 v162, s23 :: v_dual_mov_b32 v161, s22
	v_dual_mov_b32 v160, s21 :: v_dual_mov_b32 v159, s20
	;; [unrolled: 1-line block ×4, first 2 shown]
	s_waitcnt vmcnt(0)
	s_barrier
	buffer_gl0_inv
	v_wmma_f32_16x16x16_f16 v[129:136], v[147:154], v[155:162], v[129:136]
	v_mov_b32_e32 v154, s11
	v_dual_mov_b32 v148, s5 :: v_dual_mov_b32 v153, s10
	v_dual_mov_b32 v152, s9 :: v_dual_mov_b32 v151, s8
	v_mov_b32_e32 v150, s7
	v_wmma_f32_16x16x16_f16 v[179:186], v[137:144], v[155:162], v[179:186]
	v_mbcnt_lo_u32_b32 v138, -1, 0
	v_mov_b32_e32 v149, s6
	v_mov_b32_e32 v147, s4
	v_bfe_u32 v137, v0, 4, 1
	s_delay_alu instid0(VALU_DEP_4) | instskip(NEXT) | instid1(VALU_DEP_3)
	v_xor_b32_e32 v140, 16, v138
	v_wmma_f32_16x16x16_f16 v[179:186], v[163:170], v[147:154], v[179:186]
	v_and_b32_e32 v187, 0xe0, v0
	v_wmma_f32_16x16x16_f16 v[129:136], v[171:178], v[147:154], v[129:136]
	s_delay_alu instid0(VALU_DEP_4) | instskip(NEXT) | instid1(VALU_DEP_3)
	v_cmp_gt_i32_e32 vcc_lo, 32, v140
	v_dual_mul_f32 v148, s52, v185 :: v_dual_add_nc_u32 v139, s62, v187
	v_mul_f32_e32 v154, s52, v179
	v_cndmask_b32_e32 v138, v138, v140, vcc_lo
	v_mul_f32_e32 v153, s52, v180
	v_dual_mul_f32 v151, s52, v182 :: v_dual_mul_f32 v172, s52, v129
	v_or_b32_e32 v139, v139, v137
	v_dual_mul_f32 v152, s52, v181 :: v_dual_mul_f32 v149, s52, v184
	v_mul_f32_e32 v170, s52, v131
	v_mul_f32_e32 v150, s52, v183
	s_delay_alu instid0(VALU_DEP_4)
	v_or_b32_e32 v140, 2, v139
	v_or_b32_e32 v141, 4, v139
	;; [unrolled: 1-line block ×3, first 2 shown]
	v_cmp_gt_i32_e32 vcc_lo, s33, v139
	v_or_b32_e32 v143, 8, v139
	v_cmp_gt_i32_e64 s2, s33, v140
	v_or_b32_e32 v144, 10, v139
	v_or_b32_e32 v155, 12, v139
	;; [unrolled: 1-line block ×11, first 2 shown]
	v_cndmask_b32_e32 v139, 0xff7fffff, v154, vcc_lo
	v_cndmask_b32_e64 v140, 0xff7fffff, v153, s2
	v_cmp_gt_i32_e64 s3, s33, v141
	v_cmp_gt_i32_e64 s4, s33, v142
	;; [unrolled: 1-line block ×4, first 2 shown]
	v_max3_f32 v139, v139, 0xff7fffff, v140
	v_cndmask_b32_e64 v141, 0xff7fffff, v152, s3
	v_cndmask_b32_e64 v142, 0xff7fffff, v151, s4
	v_dual_mul_f32 v147, s52, v186 :: v_dual_mul_f32 v168, s52, v133
	v_cndmask_b32_e64 v140, 0xff7fffff, v150, s5
	v_cndmask_b32_e64 v143, 0xff7fffff, v149, s6
	s_delay_alu instid0(VALU_DEP_4)
	v_max3_f32 v139, v139, v141, v142
	v_cmp_gt_i32_e64 s7, s33, v155
	v_cmp_gt_i32_e64 s8, s33, v156
	v_mul_f32_e32 v171, s52, v130
	v_cmp_gt_i32_e64 s9, s33, v157
	v_max3_f32 v139, v139, v140, v143
	v_cndmask_b32_e64 v141, 0xff7fffff, v148, s7
	v_cndmask_b32_e64 v142, 0xff7fffff, v147, s8
	v_cmp_gt_i32_e64 s10, s33, v158
	v_mul_f32_e32 v169, s52, v132
	v_cndmask_b32_e64 v140, 0xff7fffff, v172, s9
	v_cmp_gt_i32_e64 s11, s33, v159
	v_max3_f32 v139, v139, v141, v142
	v_cndmask_b32_e64 v143, 0xff7fffff, v171, s10
	v_cmp_gt_i32_e64 s12, s33, v160
	v_mul_f32_e32 v167, s52, v134
	v_cndmask_b32_e64 v141, 0xff7fffff, v170, s11
	v_cmp_gt_i32_e64 s13, s33, v161
	v_max3_f32 v139, v139, v140, v143
	v_cndmask_b32_e64 v142, 0xff7fffff, v169, s12
	v_cmp_gt_i32_e64 s16, s33, v162
	v_dual_mul_f32 v165, s52, v136 :: v_dual_mul_f32 v166, s52, v135
	v_cndmask_b32_e64 v140, 0xff7fffff, v168, s13
	s_delay_alu instid0(VALU_DEP_4) | instskip(NEXT) | instid1(VALU_DEP_4)
	v_max3_f32 v139, v139, v141, v142
	v_cndmask_b32_e64 v143, 0xff7fffff, v167, s16
	v_cmp_gt_i32_e64 s17, s33, v163
	v_cmp_gt_i32_e64 s18, s33, v164
	s_delay_alu instid0(VALU_DEP_3) | instskip(NEXT) | instid1(VALU_DEP_3)
	v_max3_f32 v139, v139, v140, v143
	v_cndmask_b32_e64 v141, 0xff7fffff, v166, s17
	s_delay_alu instid0(VALU_DEP_3) | instskip(SKIP_1) | instid1(VALU_DEP_2)
	v_cndmask_b32_e64 v142, 0xff7fffff, v165, s18
	v_lshlrev_b32_e32 v140, 2, v138
	v_max3_f32 v138, v139, v141, v142
	ds_bpermute_b32 v139, v140, v138
	s_waitcnt lgkmcnt(0)
	v_max_f32_e32 v139, v139, v139
	s_delay_alu instid0(VALU_DEP_1) | instskip(NEXT) | instid1(VALU_DEP_1)
	v_max_f32_e32 v138, v138, v139
	v_fma_f32 v139, s52, v179, -v138
	v_fma_f32 v141, s52, v180, -v138
	;; [unrolled: 1-line block ×5, first 2 shown]
	v_mul_f32_e32 v139, 0x3fb8aa3b, v139
	s_delay_alu instid0(VALU_DEP_4) | instskip(NEXT) | instid1(VALU_DEP_4)
	v_dual_mul_f32 v141, 0x3fb8aa3b, v141 :: v_dual_mul_f32 v134, 0x3fb8aa3b, v134
	v_mul_f32_e32 v142, 0x3fb8aa3b, v142
	v_fma_f32 v144, s52, v183, -v138
	s_delay_alu instid0(VALU_DEP_4) | instskip(NEXT) | instid1(VALU_DEP_3)
	v_exp_f32_e32 v139, v139
	v_exp_f32_e32 v141, v141
	v_mul_f32_e32 v143, 0x3fb8aa3b, v143
	v_exp_f32_e32 v142, v142
	v_mul_f32_e32 v144, 0x3fb8aa3b, v144
	v_fma_f32 v149, s52, v185, -v138
	v_fma_f32 v129, s52, v129, -v138
	v_exp_f32_e32 v143, v143
	v_fma_f32 v130, s52, v130, -v138
	v_exp_f32_e32 v144, v144
	v_cndmask_b32_e32 v148, 0, v139, vcc_lo
	v_fma_f32 v139, s52, v184, -v138
	v_cndmask_b32_e64 v147, 0, v141, s2
	v_cndmask_b32_e64 v150, 0, v142, s3
	v_fma_f32 v142, s52, v186, -v138
	v_add_f32_e32 v141, 0, v148
	v_mul_f32_e32 v139, 0x3fb8aa3b, v139
	v_mul_f32_e32 v151, 0x3fb8aa3b, v149
	v_cndmask_b32_e64 v149, 0, v143, s4
	s_delay_alu instid0(VALU_DEP_4) | instskip(NEXT) | instid1(VALU_DEP_4)
	v_dual_mul_f32 v142, 0x3fb8aa3b, v142 :: v_dual_add_f32 v141, v141, v147
	v_exp_f32_e32 v139, v139
	s_delay_alu instid0(VALU_DEP_3)
	v_exp_f32_e32 v143, v151
	v_cndmask_b32_e64 v152, 0, v144, s5
	v_mul_f32_e32 v129, 0x3fb8aa3b, v129
	v_add_f32_e32 v141, v141, v150
	v_exp_f32_e32 v142, v142
	v_fma_f32 v131, s52, v131, -v138
	v_mul_f32_e32 v130, 0x3fb8aa3b, v130
	v_exp_f32_e32 v129, v129
	v_add_f32_e32 v141, v141, v149
	v_cndmask_b32_e64 v151, 0, v139, s6
	v_cndmask_b32_e64 v153, 0, v143, s7
	v_mul_f32_e32 v131, 0x3fb8aa3b, v131
	v_exp_f32_e32 v130, v130
	v_add_f32_e32 v139, v141, v152
	v_fma_f32 v141, s52, v132, -v138
	v_cndmask_b32_e64 v132, 0, v142, s8
	v_fma_f32 v133, s52, v133, -v138
	v_exp_f32_e32 v131, v131
	v_add_f32_e32 v139, v139, v151
	v_mul_f32_e32 v141, 0x3fb8aa3b, v141
	v_cndmask_b32_e64 v154, 0, v129, s9
	v_fma_f32 v136, s52, v136, -v138
	s_mov_b32 s3, exec_lo
	v_add_f32_e32 v139, v139, v153
	v_exp_f32_e32 v141, v141
	s_delay_alu instid0(VALU_DEP_1)
	v_add_f32_e32 v129, v139, v132
	v_mul_f32_e32 v139, 0x3fb8aa3b, v133
	v_cndmask_b32_e64 v133, 0, v130, s10
	v_fma_f32 v130, s52, v135, -v138
	v_cndmask_b32_e64 v135, 0, v131, s11
	v_add_f32_e32 v129, v129, v154
	v_exp_f32_e32 v139, v139
	v_exp_f32_e32 v131, v134
	v_mul_f32_e32 v130, 0x3fb8aa3b, v130
	v_cndmask_b32_e64 v134, 0, v141, s12
	v_add_f32_e32 v129, v129, v133
	s_delay_alu instid0(VALU_DEP_3) | instskip(NEXT) | instid1(VALU_DEP_1)
	v_exp_f32_e32 v130, v130
	v_add_f32_e32 v129, v129, v135
	s_delay_alu instid0(TRANS32_DEP_3) | instskip(SKIP_1) | instid1(TRANS32_DEP_2)
	v_cndmask_b32_e64 v155, 0, v139, s13
	v_mul_f32_e32 v139, 0x3fb8aa3b, v136
	v_cndmask_b32_e64 v136, 0, v131, s16
	s_delay_alu instid0(VALU_DEP_4) | instskip(NEXT) | instid1(VALU_DEP_3)
	v_add_f32_e32 v129, v129, v134
	v_exp_f32_e32 v131, v139
	s_delay_alu instid0(TRANS32_DEP_2) | instskip(NEXT) | instid1(VALU_DEP_2)
	v_cndmask_b32_e64 v157, 0, v130, s17
	v_add_f32_e32 v129, v129, v155
	s_delay_alu instid0(VALU_DEP_1) | instskip(SKIP_4) | instid1(VALU_DEP_2)
	v_add_f32_e32 v129, v129, v136
	s_waitcnt_depctr 0xfff
	v_cndmask_b32_e64 v156, 0, v131, s18
	v_and_b32_e32 v131, 31, v0
	v_add_f32_e32 v129, v129, v157
	v_cmp_lt_u32_e64 s2, 15, v131
	s_delay_alu instid0(VALU_DEP_2)
	v_add_f32_e32 v129, v129, v156
	ds_bpermute_b32 v130, v140, v129
	v_cmpx_gt_u32_e32 16, v131
	s_cbranch_execz .LBB54_11
; %bb.10:
	v_mul_u32_u24_e32 v131, 0x44, v146
	s_delay_alu instid0(VALU_DEP_1) | instskip(SKIP_1) | instid1(VALU_DEP_1)
	v_lshl_add_u32 v131, v145, 2, v131
	s_waitcnt lgkmcnt(0)
	v_dual_add_f32 v129, v129, v130 :: v_dual_add_nc_u32 v130, 0x4000, v131
	ds_store_2addr_b32 v130, v138, v129 offset1:136
.LBB54_11:
	s_or_b32 exec_lo, exec_lo, s3
	v_lshlrev_b32_e32 v129, 2, v145
	s_load_b64 s[36:37], s[0:1], 0x94
	s_waitcnt lgkmcnt(0)
	s_barrier
	buffer_gl0_inv
	v_add_nc_u32_e32 v129, 0x4000, v129
	v_cmp_eq_u32_e32 vcc_lo, 1, v146
	v_cmp_eq_u32_e64 s3, 2, v146
	v_cmp_eq_u32_e64 s5, 3, v146
	;; [unrolled: 1-line block ×3, first 2 shown]
	ds_load_2addr_b32 v[138:139], v129 offset1:17
	ds_load_2addr_b32 v[140:141], v129 offset0:34 offset1:51
	ds_load_2addr_b32 v[142:143], v129 offset0:68 offset1:85
	ds_load_2addr_b32 v[158:159], v129 offset0:102 offset1:119
	v_cmp_eq_u32_e64 s7, 5, v146
	v_cmp_eq_u32_e64 s4, 6, v146
	s_waitcnt lgkmcnt(3)
	v_max3_f32 v130, v138, 0xff7fffff, v139
	s_waitcnt lgkmcnt(2)
	s_delay_alu instid0(VALU_DEP_1) | instskip(SKIP_1) | instid1(VALU_DEP_1)
	v_max3_f32 v130, v130, v140, v141
	s_waitcnt lgkmcnt(1)
	v_max3_f32 v130, v130, v142, v143
	s_waitcnt lgkmcnt(0)
	s_delay_alu instid0(VALU_DEP_1) | instskip(NEXT) | instid1(VALU_DEP_1)
	v_max3_f32 v130, v130, v158, v159
	v_sub_f32_e32 v140, v140, v130
	ds_load_2addr_b32 v[160:161], v129 offset0:136 offset1:153
	v_sub_f32_e32 v144, v139, v130
	v_sub_f32_e32 v131, v138, v130
	ds_load_2addr_b32 v[138:139], v129 offset0:170 offset1:187
	v_sub_f32_e32 v142, v142, v130
	v_dual_mul_f32 v144, 0x3fb8aa3b, v144 :: v_dual_mul_f32 v131, 0x3fb8aa3b, v131
	s_delay_alu instid0(VALU_DEP_1) | instskip(NEXT) | instid1(VALU_DEP_1)
	v_exp_f32_e32 v144, v144
	v_exp_f32_e32 v162, v131
	v_sub_f32_e32 v131, v141, v130
	v_mul_f32_e32 v163, 0x3fb8aa3b, v140
	ds_load_2addr_b32 v[140:141], v129 offset0:204 offset1:221
	v_dual_mul_f32 v165, 0x3fb8aa3b, v142 :: v_dual_mul_f32 v164, 0x3fb8aa3b, v131
	v_exp_f32_e32 v163, v163
	s_waitcnt lgkmcnt(2)
	v_fma_f32 v131, v162, v160, 0
	v_sub_f32_e32 v160, v143, v130
	v_exp_f32_e32 v164, v164
	ds_load_2addr_b32 v[142:143], v129 offset0:238 offset1:255
	v_sub_f32_e32 v129, v158, v130
	v_dual_fmac_f32 v131, v144, v161 :: v_dual_mul_f32 v158, 0x3fb8aa3b, v160
	s_waitcnt lgkmcnt(0)
	s_barrier
	s_delay_alu instid0(VALU_DEP_2) | instskip(NEXT) | instid1(VALU_DEP_2)
	v_mul_f32_e32 v129, 0x3fb8aa3b, v129
	v_fmac_f32_e32 v131, v163, v138
	v_sub_f32_e32 v138, v159, v130
	v_exp_f32_e32 v158, v158
	buffer_gl0_inv
	v_exp_f32_e32 v159, v129
	v_dual_fmac_f32 v131, v164, v139 :: v_dual_mul_f32 v138, 0x3fb8aa3b, v138
	s_delay_alu instid0(VALU_DEP_1) | instskip(SKIP_4) | instid1(VALU_DEP_1)
	v_exp_f32_e32 v161, v138
	v_cndmask_b32_e32 v138, v162, v144, vcc_lo
	v_exp_f32_e32 v160, v165
	s_waitcnt_depctr 0xfff
	v_fmac_f32_e32 v131, v160, v140
	v_fmac_f32_e32 v131, v158, v141
	s_delay_alu instid0(VALU_DEP_1) | instskip(NEXT) | instid1(VALU_DEP_1)
	v_dual_fmac_f32 v131, v159, v142 :: v_dual_lshlrev_b32 v142, 6, v145
	v_fmac_f32_e32 v131, v161, v143
	s_delay_alu instid0(VALU_DEP_2) | instskip(NEXT) | instid1(VALU_DEP_2)
	v_lshl_or_b32 v144, v146, 11, v142
	v_add_f32_e32 v143, 0x358637bd, v131
	s_delay_alu instid0(VALU_DEP_1) | instskip(SKIP_1) | instid1(VALU_DEP_2)
	v_div_scale_f32 v165, null, v143, v143, 1.0
	v_div_scale_f32 v162, vcc_lo, 1.0, v143, 1.0
	v_rcp_f32_e32 v166, v165
	s_waitcnt_depctr 0xfff
	v_fma_f32 v129, -v165, v166, 1.0
	s_delay_alu instid0(VALU_DEP_1) | instskip(SKIP_2) | instid1(VALU_DEP_3)
	v_fmac_f32_e32 v166, v129, v166
	v_cndmask_b32_e64 v129, v138, v163, s3
	v_cmp_eq_u32_e64 s3, 7, v146
	v_dual_mul_f32 v163, v162, v166 :: v_dual_lshlrev_b32 v138, 2, v137
	s_delay_alu instid0(VALU_DEP_3) | instskip(SKIP_1) | instid1(VALU_DEP_3)
	v_cndmask_b32_e64 v139, v129, v164, s5
	v_mov_b32_e32 v129, 0
	v_or_b32_e32 v141, 2, v138
	v_cmp_eq_u32_e64 s5, 1, v138
	v_fma_f32 v140, -v165, v163, v162
	v_cndmask_b32_e64 v160, v139, v160, s6
	v_or_b32_e32 v139, 1, v138
	v_cmp_eq_u32_e64 s10, 1, v141
	v_cmp_eq_u32_e64 s6, 2, v138
	v_fmac_f32_e32 v163, v140, v166
	v_cndmask_b32_e64 v146, v160, v158, s7
	v_or_b32_e32 v140, 3, v138
	v_cmp_eq_u32_e64 s9, 1, v139
	v_cmp_eq_u32_e64 s12, 2, v139
	v_fma_f32 v158, -v165, v163, v162
	v_cndmask_b32_e64 v146, v146, v159, s4
	v_cmp_eq_u32_e64 s11, 1, v140
	v_cmp_eq_u32_e64 s16, 2, v141
	;; [unrolled: 1-line block ×3, first 2 shown]
	v_div_fmas_f32 v158, v158, v166, v163
	v_cndmask_b32_e64 v146, v146, v161, s3
	v_cmp_eq_u32_e32 vcc_lo, 3, v138
	v_cmp_eq_u32_e64 s13, 3, v139
	v_cmp_eq_u32_e64 s18, 3, v141
	v_div_fixup_f32 v158, v158, v143, 1.0
	v_lshl_or_b32 v143, v137, 4, v144
	v_cmp_eq_u32_e64 s19, 3, v140
	v_cmp_eq_u32_e64 s4, 4, v138
	;; [unrolled: 1-line block ×3, first 2 shown]
	v_mul_f32_e32 v146, v146, v158
	v_cmp_eq_u32_e64 s22, 4, v141
	v_cmp_eq_u32_e64 s23, 4, v140
	;; [unrolled: 1-line block ×4, first 2 shown]
	v_fma_mixlo_f16 v158, v146, v148, 0
	v_fma_mixlo_f16 v159, v146, v150, 0
	;; [unrolled: 1-line block ×8, first 2 shown]
	v_fma_mixhi_f16 v158, v146, v147, 0
	v_fma_mixhi_f16 v159, v146, v149, 0
	;; [unrolled: 1-line block ×8, first 2 shown]
	ds_store_b128 v143, v[158:161]
	ds_store_b128 v143, v[152:155] offset:1024
	s_waitcnt lgkmcnt(0)
	s_barrier
	buffer_gl0_inv
	ds_load_b128 v[132:135], v144
	ds_load_b128 v[146:149], v144 offset:16
	ds_load_b128 v[150:153], v144 offset:1024
	;; [unrolled: 1-line block ×3, first 2 shown]
	v_cmp_eq_u32_e64 s24, 5, v141
	v_cmp_eq_u32_e64 s25, 5, v140
	;; [unrolled: 1-line block ×10, first 2 shown]
	s_waitcnt lgkmcnt(3)
	v_lshrrev_b32_e32 v136, 16, v132
	s_waitcnt lgkmcnt(2)
	v_lshrrev_b32_e32 v161, 16, v146
	;; [unrolled: 2-line block ×4, first 2 shown]
	v_lshrrev_b32_e32 v158, 16, v133
	v_cndmask_b32_e64 v173, v132, v136, s5
	v_cndmask_b32_e64 v174, v146, v161, s5
	;; [unrolled: 1-line block ×8, first 2 shown]
	v_lshrrev_b32_e32 v162, 16, v147
	v_cndmask_b32_e64 v146, v150, v165, s5
	v_cndmask_b32_e64 v161, v154, v169, s5
	;; [unrolled: 1-line block ×16, first 2 shown]
	v_lshrrev_b32_e32 v166, 16, v151
	v_lshrrev_b32_e32 v170, 16, v155
	v_cndmask_b32_e64 v136, v146, v151, s6
	v_cndmask_b32_e64 v146, v161, v155, s6
	;; [unrolled: 1-line block ×5, first 2 shown]
	v_cndmask_b32_e32 v151, v165, v158, vcc_lo
	v_cndmask_b32_e32 v165, v169, v162, vcc_lo
	v_cndmask_b32_e64 v169, v173, v158, s13
	v_cndmask_b32_e64 v173, v174, v162, s13
	;; [unrolled: 1-line block ×6, first 2 shown]
	v_lshrrev_b32_e32 v159, 16, v134
	v_lshrrev_b32_e32 v163, 16, v148
	v_cndmask_b32_e32 v136, v136, v166, vcc_lo
	v_cndmask_b32_e32 v146, v146, v170, vcc_lo
	v_cndmask_b32_e64 v147, v147, v166, s13
	v_cndmask_b32_e64 v151, v151, v134, s4
	;; [unrolled: 1-line block ×9, first 2 shown]
	v_lshrrev_b32_e32 v167, 16, v152
	v_cndmask_b32_e64 v134, v136, v152, s4
	v_cndmask_b32_e64 v136, v146, v156, s4
	;; [unrolled: 1-line block ×11, first 2 shown]
	v_lshrrev_b32_e32 v160, 16, v135
	v_lshrrev_b32_e32 v164, 16, v149
	v_cndmask_b32_e64 v134, v134, v167, s7
	v_cndmask_b32_e64 v146, v146, v167, s21
	v_cndmask_b32_e64 v147, v147, v135, s3
	v_cndmask_b32_e64 v148, v148, v149, s3
	v_cndmask_b32_e64 v151, v151, v135, s26
	v_cndmask_b32_e64 v158, v158, v149, s26
	v_cndmask_b32_e64 v159, v162, v135, s27
	v_cndmask_b32_e64 v162, v165, v149, s27
	v_cndmask_b32_e64 v132, v132, v135, s28
	v_cndmask_b32_e64 v133, v133, v149, s28
	v_lshrrev_b32_e32 v168, 16, v153
	v_cndmask_b32_e64 v134, v134, v153, s3
	v_cndmask_b32_e64 v135, v146, v153, s26
	;; [unrolled: 1-line block ×12, first 2 shown]
	v_perm_b32 v135, v133, v132, 0x5040100
	v_perm_b32 v134, v151, v149, 0x5040100
	;; [unrolled: 1-line block ×3, first 2 shown]
	v_cndmask_b32_e64 v132, v154, v155, s17
	v_cndmask_b32_e64 v148, v182, v155, s16
	v_cndmask_b32_e64 v149, v180, v155, s12
	v_cndmask_b32_e64 v151, v161, v166, s18
	v_cndmask_b32_e64 v150, v150, v166, s19
	v_cndmask_b32_e64 v132, v132, v170, s19
	v_cndmask_b32_e64 v148, v148, v170, s18
	v_cndmask_b32_e64 v149, v149, v170, s13
	v_lshrrev_b32_e32 v171, 16, v156
	v_cndmask_b32_e64 v151, v151, v152, s22
	v_cndmask_b32_e64 v150, v150, v152, s23
	v_cndmask_b32_e64 v132, v132, v156, s23
	v_cndmask_b32_e64 v148, v148, v156, s22
	v_cndmask_b32_e64 v149, v149, v156, s20
	v_cndmask_b32_e64 v136, v136, v171, s7
	v_cndmask_b32_e64 v151, v151, v167, s24
	v_cndmask_b32_e64 v150, v150, v167, s25
	v_cndmask_b32_e64 v132, v132, v171, s25
	v_cndmask_b32_e64 v148, v148, v171, s24
	v_cndmask_b32_e64 v149, v149, v171, s21
	v_lshrrev_b32_e32 v172, 16, v157
	v_cndmask_b32_e64 v136, v136, v157, s3
	v_cndmask_b32_e64 v151, v151, v153, s27
	;; [unrolled: 1-line block ×12, first 2 shown]
	v_perm_b32 v132, v147, v146, 0x5040100
	v_perm_b32 v149, v152, v150, 0x5040100
	;; [unrolled: 1-line block ×5, first 2 shown]
	s_mov_b32 s3, exec_lo
	ds_store_b128 v143, v[132:135]
	ds_store_b128 v143, v[146:149] offset:1024
	v_cmpx_eq_u32_e32 0, v0
	s_cbranch_execz .LBB54_13
; %bb.12:
	s_load_b128 s[4:7], s[0:1], 0x58
	s_mul_i32 s8, s37, s34
	s_delay_alu instid0(SALU_CYCLE_1) | instskip(NEXT) | instid1(SALU_CYCLE_1)
	s_add_i32 s8, s8, s15
	s_mul_i32 s8, s8, s36
	s_delay_alu instid0(SALU_CYCLE_1) | instskip(NEXT) | instid1(SALU_CYCLE_1)
	s_add_i32 s8, s8, s14
	s_ashr_i32 s9, s8, 31
	s_delay_alu instid0(SALU_CYCLE_1)
	s_lshl_b64 s[8:9], s[8:9], 2
	s_waitcnt lgkmcnt(0)
	s_add_u32 s6, s6, s8
	s_addc_u32 s7, s7, s9
	s_add_u32 s4, s4, s8
	s_addc_u32 s5, s5, s9
	s_clause 0x1
	global_store_b32 v129, v130, s[6:7]
	global_store_b32 v129, v131, s[4:5]
.LBB54_13:
	s_or_b32 exec_lo, exec_lo, s3
	s_waitcnt lgkmcnt(0)
	s_waitcnt_vscnt null, 0x0
	s_barrier
	buffer_gl0_inv
	ds_load_b128 v[146:149], v142
	ds_load_b128 v[150:153], v142 offset:16
	ds_load_b128 v[158:161], v142 offset:1040
	;; [unrolled: 1-line block ×5, first 2 shown]
	v_mov_b32_e32 v130, v129
	v_mov_b32_e32 v131, v129
	;; [unrolled: 1-line block ×7, first 2 shown]
	ds_load_b128 v[174:177], v142 offset:3088
	ds_load_b128 v[170:173], v142 offset:3072
	;; [unrolled: 1-line block ×4, first 2 shown]
	v_cmp_eq_u32_e32 vcc_lo, 1, v141
	v_cmp_eq_u32_e64 s3, 1, v138
	v_cmp_eq_u32_e64 s4, 1, v140
	;; [unrolled: 1-line block ×4, first 2 shown]
	s_waitcnt lgkmcnt(8)
	v_wmma_f32_16x16x16_f16 v[129:136], v[121:128], v[146:153], v[129:136]
	ds_load_b128 v[125:128], v142 offset:5136
	ds_load_b128 v[121:124], v142 offset:5120
	s_waitcnt lgkmcnt(8)
	v_wmma_f32_16x16x16_f16 v[129:136], v[113:120], v[154:161], v[129:136]
	ds_load_b128 v[117:120], v142 offset:6160
	ds_load_b128 v[113:116], v142 offset:6144
	;; [unrolled: 4-line block ×11, first 2 shown]
	s_waitcnt lgkmcnt(0)
	s_barrier
	buffer_gl0_inv
	v_wmma_f32_16x16x16_f16 v[129:136], v[1:8], v[73:80], v[129:136]
	s_delay_alu instid0(VALU_DEP_1) | instskip(NEXT) | instid1(VALU_DEP_1)
	v_wmma_f32_16x16x16_f16 v[129:136], v[9:16], v[65:72], v[129:136]
	v_wmma_f32_16x16x16_f16 v[129:136], v[25:32], v[57:64], v[129:136]
	s_delay_alu instid0(VALU_DEP_1) | instskip(NEXT) | instid1(VALU_DEP_1)
	v_wmma_f32_16x16x16_f16 v[129:136], v[41:48], v[49:56], v[129:136]
	v_wmma_f32_16x16x16_f16 v[129:136], v[17:24], v[33:40], v[129:136]
	s_delay_alu instid0(VALU_DEP_1) | instskip(NEXT) | instid1(VALU_DEP_2)
	v_cvt_f16_f32_e64 v1, v129
	v_cvt_f16_f32_e64 v2, v130
	s_delay_alu instid0(VALU_DEP_3) | instskip(NEXT) | instid1(VALU_DEP_4)
	v_cvt_f16_f32_e64 v3, v131
	v_cvt_f16_f32_e64 v4, v132
	;; [unrolled: 1-line block ×6, first 2 shown]
	v_pack_b32_f16 v1, v1, v2
	v_pack_b32_f16 v2, v3, v4
	;; [unrolled: 1-line block ×3, first 2 shown]
	s_delay_alu instid0(VALU_DEP_4)
	v_pack_b32_f16 v4, v7, v8
	ds_store_b128 v143, v[1:4]
	s_waitcnt lgkmcnt(0)
	s_barrier
	buffer_gl0_inv
	ds_load_b128 v[1:4], v144
	ds_load_b128 v[5:8], v144 offset:16
	s_waitcnt lgkmcnt(1)
	v_lshrrev_b32_e32 v9, 16, v1
	s_waitcnt lgkmcnt(0)
	v_lshrrev_b32_e32 v13, 16, v5
	v_lshrrev_b32_e32 v15, 16, v7
	;; [unrolled: 1-line block ×4, first 2 shown]
	v_cndmask_b32_e64 v17, v1, v9, s3
	v_cndmask_b32_e64 v18, v5, v13, s3
	;; [unrolled: 1-line block ×3, first 2 shown]
	v_cmp_eq_u32_e64 s3, 2, v139
	v_cndmask_b32_e64 v20, v5, v13, s5
	v_cndmask_b32_e32 v21, v1, v9, vcc_lo
	v_cndmask_b32_e32 v22, v5, v13, vcc_lo
	v_cndmask_b32_e64 v1, v1, v9, s4
	v_cndmask_b32_e64 v5, v5, v13, s4
	v_cmp_eq_u32_e32 vcc_lo, 2, v141
	v_cmp_eq_u32_e64 s4, 2, v140
	v_cndmask_b32_e64 v9, v17, v2, s6
	v_cndmask_b32_e64 v13, v18, v6, s6
	v_cndmask_b32_e64 v17, v19, v2, s3
	v_cndmask_b32_e64 v18, v20, v6, s3
	v_cndmask_b32_e32 v19, v21, v2, vcc_lo
	v_cmp_eq_u32_e64 s3, 3, v141
	v_cndmask_b32_e32 v20, v22, v6, vcc_lo
	v_cndmask_b32_e64 v1, v1, v2, s4
	v_cmp_eq_u32_e32 vcc_lo, 3, v140
	v_cmp_eq_u32_e64 s5, 3, v138
	v_cndmask_b32_e64 v2, v5, v6, s4
	v_cmp_eq_u32_e64 s4, 3, v139
	v_lshrrev_b32_e32 v16, 16, v8
	v_cmp_eq_u32_e64 s6, 4, v138
	v_cndmask_b32_e64 v5, v9, v10, s5
	v_cndmask_b32_e64 v6, v13, v14, s5
	;; [unrolled: 1-line block ×3, first 2 shown]
	v_cmp_eq_u32_e64 s5, 4, v139
	v_cndmask_b32_e64 v13, v18, v14, s4
	v_cndmask_b32_e64 v17, v19, v10, s3
	v_cndmask_b32_e64 v18, v20, v14, s3
	v_cndmask_b32_e32 v1, v1, v10, vcc_lo
	v_cndmask_b32_e32 v2, v2, v14, vcc_lo
	v_cmp_eq_u32_e32 vcc_lo, 4, v141
	v_cmp_eq_u32_e64 s4, 4, v140
	v_lshrrev_b32_e32 v11, 16, v3
	v_cndmask_b32_e64 v5, v5, v3, s6
	v_cndmask_b32_e64 v6, v6, v7, s6
	;; [unrolled: 1-line block ×4, first 2 shown]
	v_cndmask_b32_e32 v13, v17, v3, vcc_lo
	v_cmp_eq_u32_e64 s3, 5, v141
	v_cndmask_b32_e32 v14, v18, v7, vcc_lo
	v_cndmask_b32_e64 v1, v1, v3, s4
	v_cmp_eq_u32_e32 vcc_lo, 5, v140
	v_cmp_eq_u32_e64 s5, 5, v138
	v_cndmask_b32_e64 v2, v2, v7, s4
	v_cmp_eq_u32_e64 s4, 5, v139
	v_cmp_eq_u32_e64 s6, 6, v138
	v_cndmask_b32_e32 v1, v1, v11, vcc_lo
	v_cndmask_b32_e64 v3, v5, v11, s5
	v_cndmask_b32_e64 v5, v6, v15, s5
	v_cndmask_b32_e64 v6, v9, v11, s4
	v_cndmask_b32_e64 v7, v10, v15, s4
	v_cndmask_b32_e64 v9, v13, v11, s3
	v_cndmask_b32_e64 v10, v14, v15, s3
	v_cndmask_b32_e32 v2, v2, v15, vcc_lo
	v_cmp_eq_u32_e32 vcc_lo, 6, v141
	v_cmp_eq_u32_e64 s3, 6, v140
	v_cmp_eq_u32_e64 s5, 6, v139
	v_lshrrev_b32_e32 v12, 16, v4
	v_cndmask_b32_e64 v3, v3, v4, s6
	v_cndmask_b32_e64 v5, v5, v8, s6
	v_cndmask_b32_e32 v9, v9, v4, vcc_lo
	v_cndmask_b32_e32 v10, v10, v8, vcc_lo
	v_cndmask_b32_e64 v1, v1, v4, s3
	v_cmp_eq_u32_e32 vcc_lo, 7, v140
	v_cndmask_b32_e64 v2, v2, v8, s3
	v_cmp_eq_u32_e64 s3, 7, v138
	v_cndmask_b32_e64 v6, v6, v4, s5
	v_cndmask_b32_e64 v7, v7, v8, s5
	v_cmp_eq_u32_e64 s4, 7, v141
	v_cndmask_b32_e32 v2, v2, v16, vcc_lo
	v_cmp_eq_u32_e64 s5, 7, v139
	v_cndmask_b32_e64 v8, v3, v12, s3
	v_cndmask_b32_e32 v1, v1, v12, vcc_lo
	v_cndmask_b32_e64 v5, v5, v16, s3
	v_cmp_lt_u32_e32 vcc_lo, 31, v0
	v_cmp_lt_u32_e64 s3, 7, v145
	v_cndmask_b32_e64 v6, v6, v12, s5
	v_cndmask_b32_e64 v3, v9, v12, s4
	;; [unrolled: 1-line block ×4, first 2 shown]
	s_or_b32 s3, vcc_lo, s3
	v_perm_b32 v4, v2, v1, 0x5040100
	v_perm_b32 v1, v5, v8, 0x5040100
	v_perm_b32 v3, v9, v3, 0x5040100
	v_perm_b32 v2, v7, v6, 0x5040100
	s_or_b32 s2, s2, s3
	s_delay_alu instid0(SALU_CYCLE_1)
	s_xor_b32 s2, s2, -1
	ds_store_b128 v143, v[1:4]
	s_waitcnt lgkmcnt(0)
	s_barrier
	buffer_gl0_inv
	s_and_saveexec_b32 s3, s2
	s_cbranch_execz .LBB54_2
; %bb.14:
	s_load_b64 s[0:1], s[0:1], 0x68
	v_lshlrev_b32_e32 v1, 10, v0
	v_and_b32_e32 v0, 1, v0
	v_lshlrev_b32_e32 v2, 6, v137
	s_lshl_b32 s4, s36, 6
	v_lshlrev_b32_e32 v4, 4, v145
	v_and_b32_e32 v1, 0x3800, v1
	v_lshlrev_b32_e32 v0, 4, v0
	s_mul_i32 s2, s4, s34
	s_delay_alu instid0(SALU_CYCLE_1) | instskip(NEXT) | instid1(VALU_DEP_1)
	s_mul_i32 s2, s2, s37
	v_or3_b32 v0, v1, v2, v0
	s_ashr_i32 s3, s2, 31
	s_delay_alu instid0(SALU_CYCLE_1)
	s_lshl_b64 s[2:3], s[2:3], 1
	ds_load_b128 v[0:3], v0
	s_waitcnt lgkmcnt(0)
	s_add_u32 s5, s0, s2
	s_addc_u32 s3, s1, s3
	s_lshl_b32 s0, s14, 6
	s_mul_i32 s2, s4, s15
	s_ashr_i32 s1, s0, 31
	s_delay_alu instid0(SALU_CYCLE_1) | instskip(NEXT) | instid1(SALU_CYCLE_1)
	s_lshl_b64 s[0:1], s[0:1], 1
	s_add_u32 s4, s5, s0
	s_addc_u32 s5, s3, s1
	s_ashr_i32 s3, s2, 31
	s_delay_alu instid0(SALU_CYCLE_1) | instskip(NEXT) | instid1(SALU_CYCLE_1)
	s_lshl_b64 s[0:1], s[2:3], 1
	s_add_u32 s0, s4, s0
	s_addc_u32 s1, s5, s1
	global_store_b128 v4, v[0:3], s[0:1]
	s_nop 0
	s_sendmsg sendmsg(MSG_DEALLOC_VGPRS)
	s_endpgm
	.section	.rodata,"a",@progbits
	.p2align	6, 0x0
	.amdhsa_kernel _Z39paged_attention_ll4mi_QKV_mfma16_kernelIDF16_DF16_LN4vllm18Fp8KVCacheDataTypeE0EhLi16ELi64ELi256ELb0ELi1EL8MFMAType0EEvPKT_PKT0_S8_ifPKiSA_SA_iPKfiiiPfSD_PS3_PT2_iSC_SC_
		.amdhsa_group_segment_fixed_size 17472
		.amdhsa_private_segment_fixed_size 0
		.amdhsa_kernarg_size 400
		.amdhsa_user_sgpr_count 13
		.amdhsa_user_sgpr_dispatch_ptr 0
		.amdhsa_user_sgpr_queue_ptr 0
		.amdhsa_user_sgpr_kernarg_segment_ptr 1
		.amdhsa_user_sgpr_dispatch_id 0
		.amdhsa_user_sgpr_private_segment_size 0
		.amdhsa_wavefront_size32 1
		.amdhsa_uses_dynamic_stack 0
		.amdhsa_enable_private_segment 0
		.amdhsa_system_sgpr_workgroup_id_x 1
		.amdhsa_system_sgpr_workgroup_id_y 1
		.amdhsa_system_sgpr_workgroup_id_z 1
		.amdhsa_system_sgpr_workgroup_info 0
		.amdhsa_system_vgpr_workitem_id 0
		.amdhsa_next_free_vgpr 195
		.amdhsa_next_free_sgpr 70
		.amdhsa_reserve_vcc 1
		.amdhsa_float_round_mode_32 0
		.amdhsa_float_round_mode_16_64 0
		.amdhsa_float_denorm_mode_32 3
		.amdhsa_float_denorm_mode_16_64 3
		.amdhsa_dx10_clamp 1
		.amdhsa_ieee_mode 1
		.amdhsa_fp16_overflow 0
		.amdhsa_workgroup_processor_mode 1
		.amdhsa_memory_ordered 1
		.amdhsa_forward_progress 0
		.amdhsa_shared_vgpr_count 0
		.amdhsa_exception_fp_ieee_invalid_op 0
		.amdhsa_exception_fp_denorm_src 0
		.amdhsa_exception_fp_ieee_div_zero 0
		.amdhsa_exception_fp_ieee_overflow 0
		.amdhsa_exception_fp_ieee_underflow 0
		.amdhsa_exception_fp_ieee_inexact 0
		.amdhsa_exception_int_div_zero 0
	.end_amdhsa_kernel
	.section	.text._Z39paged_attention_ll4mi_QKV_mfma16_kernelIDF16_DF16_LN4vllm18Fp8KVCacheDataTypeE0EhLi16ELi64ELi256ELb0ELi1EL8MFMAType0EEvPKT_PKT0_S8_ifPKiSA_SA_iPKfiiiPfSD_PS3_PT2_iSC_SC_,"axG",@progbits,_Z39paged_attention_ll4mi_QKV_mfma16_kernelIDF16_DF16_LN4vllm18Fp8KVCacheDataTypeE0EhLi16ELi64ELi256ELb0ELi1EL8MFMAType0EEvPKT_PKT0_S8_ifPKiSA_SA_iPKfiiiPfSD_PS3_PT2_iSC_SC_,comdat
.Lfunc_end54:
	.size	_Z39paged_attention_ll4mi_QKV_mfma16_kernelIDF16_DF16_LN4vllm18Fp8KVCacheDataTypeE0EhLi16ELi64ELi256ELb0ELi1EL8MFMAType0EEvPKT_PKT0_S8_ifPKiSA_SA_iPKfiiiPfSD_PS3_PT2_iSC_SC_, .Lfunc_end54-_Z39paged_attention_ll4mi_QKV_mfma16_kernelIDF16_DF16_LN4vllm18Fp8KVCacheDataTypeE0EhLi16ELi64ELi256ELb0ELi1EL8MFMAType0EEvPKT_PKT0_S8_ifPKiSA_SA_iPKfiiiPfSD_PS3_PT2_iSC_SC_
                                        ; -- End function
	.section	.AMDGPU.csdata,"",@progbits
; Kernel info:
; codeLenInByte = 7512
; NumSgprs: 72
; NumVgprs: 195
; ScratchSize: 0
; MemoryBound: 1
; FloatMode: 240
; IeeeMode: 1
; LDSByteSize: 17472 bytes/workgroup (compile time only)
; SGPRBlocks: 8
; VGPRBlocks: 24
; NumSGPRsForWavesPerEU: 72
; NumVGPRsForWavesPerEU: 195
; Occupancy: 7
; WaveLimiterHint : 1
; COMPUTE_PGM_RSRC2:SCRATCH_EN: 0
; COMPUTE_PGM_RSRC2:USER_SGPR: 13
; COMPUTE_PGM_RSRC2:TRAP_HANDLER: 0
; COMPUTE_PGM_RSRC2:TGID_X_EN: 1
; COMPUTE_PGM_RSRC2:TGID_Y_EN: 1
; COMPUTE_PGM_RSRC2:TGID_Z_EN: 1
; COMPUTE_PGM_RSRC2:TIDIG_COMP_CNT: 0
	.section	.text._Z39paged_attention_ll4mi_QKV_mfma16_kernelIDF16_DF16_LN4vllm18Fp8KVCacheDataTypeE0EhLi16ELi64ELi256ELb0ELi2EL8MFMAType0EEvPKT_PKT0_S8_ifPKiSA_SA_iPKfiiiPfSD_PS3_PT2_iSC_SC_,"axG",@progbits,_Z39paged_attention_ll4mi_QKV_mfma16_kernelIDF16_DF16_LN4vllm18Fp8KVCacheDataTypeE0EhLi16ELi64ELi256ELb0ELi2EL8MFMAType0EEvPKT_PKT0_S8_ifPKiSA_SA_iPKfiiiPfSD_PS3_PT2_iSC_SC_,comdat
	.protected	_Z39paged_attention_ll4mi_QKV_mfma16_kernelIDF16_DF16_LN4vllm18Fp8KVCacheDataTypeE0EhLi16ELi64ELi256ELb0ELi2EL8MFMAType0EEvPKT_PKT0_S8_ifPKiSA_SA_iPKfiiiPfSD_PS3_PT2_iSC_SC_ ; -- Begin function _Z39paged_attention_ll4mi_QKV_mfma16_kernelIDF16_DF16_LN4vllm18Fp8KVCacheDataTypeE0EhLi16ELi64ELi256ELb0ELi2EL8MFMAType0EEvPKT_PKT0_S8_ifPKiSA_SA_iPKfiiiPfSD_PS3_PT2_iSC_SC_
	.globl	_Z39paged_attention_ll4mi_QKV_mfma16_kernelIDF16_DF16_LN4vllm18Fp8KVCacheDataTypeE0EhLi16ELi64ELi256ELb0ELi2EL8MFMAType0EEvPKT_PKT0_S8_ifPKiSA_SA_iPKfiiiPfSD_PS3_PT2_iSC_SC_
	.p2align	8
	.type	_Z39paged_attention_ll4mi_QKV_mfma16_kernelIDF16_DF16_LN4vllm18Fp8KVCacheDataTypeE0EhLi16ELi64ELi256ELb0ELi2EL8MFMAType0EEvPKT_PKT0_S8_ifPKiSA_SA_iPKfiiiPfSD_PS3_PT2_iSC_SC_,@function
_Z39paged_attention_ll4mi_QKV_mfma16_kernelIDF16_DF16_LN4vllm18Fp8KVCacheDataTypeE0EhLi16ELi64ELi256ELb0ELi2EL8MFMAType0EEvPKT_PKT0_S8_ifPKiSA_SA_iPKfiiiPfSD_PS3_PT2_iSC_SC_: ; @_Z39paged_attention_ll4mi_QKV_mfma16_kernelIDF16_DF16_LN4vllm18Fp8KVCacheDataTypeE0EhLi16ELi64ELi256ELb0ELi2EL8MFMAType0EEvPKT_PKT0_S8_ifPKiSA_SA_iPKfiiiPfSD_PS3_PT2_iSC_SC_
; %bb.0:
	s_load_b64 s[2:3], s[0:1], 0x30
	s_mov_b32 s30, s13
	s_waitcnt lgkmcnt(0)
	s_cmp_lg_u64 s[2:3], 0
	s_cselect_b32 s8, -1, 0
	s_ashr_i32 s31, s13, 31
	s_cmp_eq_u64 s[2:3], 0
	s_cbranch_scc1 .LBB55_3
; %bb.1:
	s_lshl_b64 s[4:5], s[30:31], 2
	s_delay_alu instid0(SALU_CYCLE_1) | instskip(SKIP_4) | instid1(SALU_CYCLE_1)
	s_add_u32 s4, s2, s4
	s_addc_u32 s5, s3, s5
	s_load_b64 s[4:5], s[4:5], 0x0
	s_waitcnt lgkmcnt(0)
	s_sub_i32 s4, s5, s4
	s_cmp_eq_u32 s4, 1
	s_cselect_b32 s4, -1, 0
	s_delay_alu instid0(SALU_CYCLE_1)
	s_and_not1_b32 vcc_lo, exec_lo, s4
	s_cbranch_vccz .LBB55_4
.LBB55_2:
	s_endpgm
.LBB55_3:
.LBB55_4:
	s_load_b64 s[4:5], s[0:1], 0x28
	s_lshl_b64 s[6:7], s[30:31], 2
	s_waitcnt lgkmcnt(0)
	s_add_u32 s4, s4, s6
	s_addc_u32 s5, s5, s7
	s_lshl_b32 s29, s14, 8
	s_load_b32 s28, s[4:5], 0x0
	s_waitcnt lgkmcnt(0)
	s_cmp_ge_i32 s29, s28
	s_cbranch_scc1 .LBB55_2
; %bb.5:
	s_clause 0x1
	s_load_b128 s[20:23], s[0:1], 0x8
	s_load_b64 s[4:5], s[0:1], 0x20
	s_and_not1_b32 vcc_lo, exec_lo, s8
	s_cbranch_vccnz .LBB55_7
; %bb.6:
	s_add_u32 s2, s2, s6
	s_addc_u32 s3, s3, s7
	s_load_b32 s3, s[2:3], 0x0
	s_branch .LBB55_8
.LBB55_7:
	s_mov_b32 s3, s30
.LBB55_8:
	s_load_b128 s[16:19], s[0:1], 0x48
	v_and_b32_e32 v142, 15, v0
	v_bfe_u32 v141, v0, 4, 1
	s_lshl_b32 s33, s15, 1
	v_cmp_gt_u32_e32 vcc_lo, 32, v0
	v_and_b32_e32 v143, 31, v0
	v_lshlrev_b32_e32 v1, 3, v142
	v_cmp_gt_u32_e64 s2, 8, v142
	v_and_b32_e32 v140, 1, v0
	v_or_b32_e32 v139, s33, v141
	v_lshlrev_b32_e32 v138, 6, v141
	v_lshlrev_b32_e32 v137, 1, v1
	s_and_b32 s31, vcc_lo, s2
	s_delay_alu instid0(SALU_CYCLE_1)
	s_and_saveexec_b32 s2, s31
	s_cbranch_execz .LBB55_10
; %bb.9:
	s_load_b64 s[6:7], s[0:1], 0x0
	v_lshlrev_b32_e32 v1, 6, v139
	s_waitcnt lgkmcnt(0)
	s_mul_hi_i32 s9, s3, s16
	s_mul_i32 s8, s3, s16
	v_lshlrev_b32_e32 v5, 10, v142
	s_lshl_b64 s[8:9], s[8:9], 1
	v_ashrrev_i32_e32 v2, 31, v1
	v_lshlrev_b32_e32 v6, 10, v140
	s_delay_alu instid0(VALU_DEP_3) | instskip(NEXT) | instid1(VALU_DEP_3)
	v_and_b32_e32 v5, 0x3800, v5
	v_lshlrev_b64 v[1:2], 1, v[1:2]
	s_delay_alu instid0(VALU_DEP_2) | instskip(SKIP_2) | instid1(VALU_DEP_2)
	v_or3_b32 v5, v5, v6, v138
	s_add_u32 s3, s6, s8
	s_addc_u32 s6, s7, s9
	v_add_co_u32 v1, vcc_lo, s3, v1
	s_delay_alu instid0(VALU_DEP_3) | instskip(NEXT) | instid1(VALU_DEP_2)
	v_add_co_ci_u32_e32 v2, vcc_lo, s6, v2, vcc_lo
	v_add_co_u32 v1, vcc_lo, v1, v137
	s_delay_alu instid0(VALU_DEP_2)
	v_add_co_ci_u32_e32 v2, vcc_lo, 0, v2, vcc_lo
	global_load_b128 v[1:4], v[1:2], off
	s_waitcnt vmcnt(0)
	ds_store_b128 v5, v[1:4]
.LBB55_10:
	s_or_b32 exec_lo, exec_lo, s2
	v_and_b32_e32 v1, 0xef, v0
	s_waitcnt lgkmcnt(0)
	s_add_i32 s3, s28, 15
	s_clause 0x1
	s_load_b32 s2, s[0:1], 0x38
	s_load_b32 s34, s[0:1], 0x98
	s_ashr_i32 s6, s3, 31
	v_add_nc_u32_e32 v1, s29, v1
	s_lshr_b32 s6, s6, 28
	s_load_b32 s35, s[0:1], 0x1c
	s_add_i32 s3, s3, s6
	s_waitcnt lgkmcnt(0)
	v_ashrrev_i32_e32 v2, 31, v1
	v_cmp_gt_i32_e32 vcc_lo, s28, v1
	s_ashr_i32 s16, s3, 4
	s_barrier
	s_add_i32 s16, s16, -1
	v_lshrrev_b32_e32 v3, 28, v2
	v_or_b32_e32 v2, 16, v1
	buffer_gl0_inv
	v_lshlrev_b32_e32 v145, 6, v140
	v_lshrrev_b32_e32 v144, 5, v0
	v_add_nc_u32_e32 v4, v1, v3
	v_add_nc_u32_e32 v3, v2, v3
	s_mul_i32 s2, s30, s2
	v_lshlrev_b32_e32 v49, 5, v142
	s_ashr_i32 s3, s2, 31
	v_ashrrev_i32_e32 v4, 4, v4
	v_ashrrev_i32_e32 v3, 4, v3
	s_lshl_b64 s[2:3], s[2:3], 2
	v_lshl_or_b32 v49, v144, 9, v49
	s_add_u32 s36, s4, s2
	v_cndmask_b32_e32 v1, s16, v4, vcc_lo
	v_cmp_gt_i32_e32 vcc_lo, s28, v2
	s_addc_u32 s37, s5, s3
	s_mul_i32 s2, s15, s18
	s_delay_alu instid0(SALU_CYCLE_1) | instskip(SKIP_3) | instid1(SALU_CYCLE_1)
	s_ashr_i32 s3, s2, 31
	v_cndmask_b32_e32 v3, s16, v3, vcc_lo
	v_ashrrev_i32_e32 v2, 31, v1
	s_lshl_b64 s[2:3], s[2:3], 1
	s_add_u32 s24, s20, s2
	s_delay_alu instid0(VALU_DEP_2) | instskip(NEXT) | instid1(VALU_DEP_2)
	v_ashrrev_i32_e32 v4, 31, v3
	v_lshlrev_b64 v[1:2], 2, v[1:2]
	s_addc_u32 s25, s21, s3
	s_lshl_b32 s4, s14, 4
	s_delay_alu instid0(VALU_DEP_2) | instskip(SKIP_1) | instid1(VALU_DEP_2)
	v_lshlrev_b64 v[3:4], 2, v[3:4]
	s_ashr_i32 s5, s4, 31
	v_add_co_u32 v1, vcc_lo, s36, v1
	v_add_co_ci_u32_e32 v2, vcc_lo, s37, v2, vcc_lo
	s_delay_alu instid0(VALU_DEP_3) | instskip(NEXT) | instid1(VALU_DEP_4)
	v_add_co_u32 v3, vcc_lo, s36, v3
	v_add_co_ci_u32_e32 v4, vcc_lo, s37, v4, vcc_lo
	s_lshl_b64 s[4:5], s[4:5], 2
	s_clause 0x1
	global_load_b32 v5, v[1:2], off
	global_load_b32 v6, v[3:4], off
	s_add_u32 s4, s36, s4
	s_addc_u32 s5, s37, s5
	s_or_b32 s6, s29, 16
	v_lshlrev_b32_e32 v3, 4, v0
	s_ashr_i32 s7, s6, 4
	s_cmp_lt_i32 s6, s28
	s_cselect_b32 s6, s7, s16
	s_delay_alu instid0(SALU_CYCLE_1) | instskip(NEXT) | instid1(SALU_CYCLE_1)
	s_ashr_i32 s7, s6, 31
	s_lshl_b64 s[6:7], s[6:7], 2
	s_delay_alu instid0(SALU_CYCLE_1) | instskip(SKIP_2) | instid1(SALU_CYCLE_1)
	s_add_u32 s6, s36, s6
	s_addc_u32 s7, s37, s7
	s_or_b32 s8, s29, 32
	s_ashr_i32 s9, s8, 4
	s_cmp_lt_i32 s8, s28
	s_cselect_b32 s8, s9, s16
	s_delay_alu instid0(SALU_CYCLE_1) | instskip(NEXT) | instid1(SALU_CYCLE_1)
	s_ashr_i32 s9, s8, 31
	s_lshl_b64 s[8:9], s[8:9], 2
	s_delay_alu instid0(SALU_CYCLE_1) | instskip(SKIP_2) | instid1(SALU_CYCLE_1)
	s_add_u32 s8, s36, s8
	s_addc_u32 s9, s37, s9
	s_or_b32 s10, s29, 48
	s_ashr_i32 s11, s10, 4
	s_cmp_lt_i32 s10, s28
	s_cselect_b32 s10, s11, s16
	s_delay_alu instid0(SALU_CYCLE_1) | instskip(NEXT) | instid1(SALU_CYCLE_1)
	s_ashr_i32 s11, s10, 31
	s_lshl_b64 s[10:11], s[10:11], 2
	s_delay_alu instid0(SALU_CYCLE_1) | instskip(SKIP_2) | instid1(SALU_CYCLE_1)
	s_add_u32 s10, s36, s10
	s_addc_u32 s11, s37, s11
	s_or_b32 s12, s29, 64
	s_ashr_i32 s13, s12, 4
	s_cmp_lt_i32 s12, s28
	s_cselect_b32 s12, s13, s16
	s_delay_alu instid0(SALU_CYCLE_1) | instskip(NEXT) | instid1(SALU_CYCLE_1)
	s_ashr_i32 s13, s12, 31
	s_lshl_b64 s[12:13], s[12:13], 2
	s_delay_alu instid0(SALU_CYCLE_1) | instskip(SKIP_2) | instid1(SALU_CYCLE_1)
	s_add_u32 s18, s36, s12
	s_addc_u32 s19, s37, s13
	s_or_b32 s12, s29, 0x50
	s_ashr_i32 s13, s12, 4
	s_cmp_lt_i32 s12, s28
	s_cselect_b32 s12, s13, s16
	s_delay_alu instid0(SALU_CYCLE_1) | instskip(NEXT) | instid1(SALU_CYCLE_1)
	s_ashr_i32 s13, s12, 31
	s_lshl_b64 s[12:13], s[12:13], 2
	s_delay_alu instid0(SALU_CYCLE_1)
	s_add_u32 s20, s36, s12
	s_addc_u32 s21, s37, s13
	s_clause 0x5
	s_load_b32 s40, s[4:5], 0x0
	s_load_b32 s27, s[6:7], 0x0
	;; [unrolled: 1-line block ×6, first 2 shown]
	s_waitcnt vmcnt(1)
	v_mad_i64_i32 v[1:2], null, v5, s17, 0
	v_and_b32_e32 v5, 0xf0, v3
	s_waitcnt vmcnt(0)
	v_mad_i64_i32 v[3:4], null, v6, s17, 0
	s_delay_alu instid0(VALU_DEP_2) | instskip(NEXT) | instid1(VALU_DEP_4)
	v_add_co_u32 v5, s4, s24, v5
	v_lshlrev_b64 v[1:2], 1, v[1:2]
	v_add_co_ci_u32_e64 v6, null, s25, 0, s4
	s_delay_alu instid0(VALU_DEP_4) | instskip(SKIP_1) | instid1(VALU_DEP_3)
	v_lshlrev_b64 v[3:4], 1, v[3:4]
	s_or_b32 s4, s29, 0x60
	v_add_co_u32 v41, vcc_lo, v5, v1
	s_delay_alu instid0(VALU_DEP_3) | instskip(NEXT) | instid1(VALU_DEP_3)
	v_add_co_ci_u32_e32 v42, vcc_lo, v6, v2, vcc_lo
	v_add_co_u32 v43, vcc_lo, v5, v3
	s_delay_alu instid0(VALU_DEP_4)
	v_add_co_ci_u32_e32 v44, vcc_lo, v6, v4, vcc_lo
	s_clause 0xf
	global_load_b128 v[1:4], v[41:42], off
	global_load_b128 v[5:8], v[41:42], off offset:256
	global_load_b128 v[25:28], v[43:44], off
	global_load_b128 v[29:32], v[43:44], off offset:256
	global_load_b128 v[9:12], v[41:42], off offset:512
	;; [unrolled: 1-line block ×13, first 2 shown]
	s_ashr_i32 s5, s4, 4
	s_cmp_lt_i32 s4, s28
	ds_load_b128 v[41:44], v145
	ds_load_b128 v[45:48], v145 offset:1024
	s_cselect_b32 s4, s5, s16
	ds_load_b128 v[170:173], v145 offset:2048
	ds_load_b128 v[174:177], v145 offset:3072
	s_ashr_i32 s5, s4, 31
	ds_load_b128 v[178:181], v145 offset:4096
	ds_load_b128 v[182:185], v145 offset:5120
	s_lshl_b64 s[4:5], s[4:5], 2
	s_delay_alu instid0(SALU_CYCLE_1)
	s_add_u32 s18, s36, s4
	s_addc_u32 s19, s37, s5
	s_or_b32 s4, s29, 0x70
	s_load_b32 s46, s[18:19], 0x0
	s_ashr_i32 s5, s4, 4
	s_cmp_lt_i32 s4, s28
	s_cselect_b32 s4, s5, s16
	s_delay_alu instid0(SALU_CYCLE_1) | instskip(NEXT) | instid1(SALU_CYCLE_1)
	s_ashr_i32 s5, s4, 31
	s_lshl_b64 s[6:7], s[4:5], 2
	s_mov_b32 s4, 0
	s_add_u32 s20, s36, s6
	s_addc_u32 s21, s37, s7
	s_or_b32 s5, s29, 0x80
	s_load_b32 s47, s[20:21], 0x0
	s_ashr_i32 s6, s5, 4
	s_cmp_lt_i32 s5, s28
	s_mov_b32 s11, s4
	s_cselect_b32 s6, s6, s16
	s_mov_b32 s5, s4
	s_ashr_i32 s7, s6, 31
	s_mov_b32 s10, s4
	s_lshl_b64 s[8:9], s[6:7], 2
	s_mov_b32 s6, s4
	s_add_u32 s24, s36, s8
	s_addc_u32 s25, s37, s9
	s_or_b32 s8, s29, 0x90
	s_load_b32 s48, s[24:25], 0x0
	s_ashr_i32 s9, s8, 4
	s_cmp_lt_i32 s8, s28
	s_mov_b32 s7, s4
	s_cselect_b32 s38, s9, s16
	s_mov_b32 s8, s4
	s_ashr_i32 s39, s38, 31
	s_mov_b32 s9, s4
	s_lshl_b64 s[38:39], s[38:39], 2
	v_mov_b32_e32 v136, s11
	s_add_u32 s38, s36, s38
	s_addc_u32 s39, s37, s39
	s_or_b32 s41, s29, 0xa0
	v_mov_b32_e32 v135, s10
	s_ashr_i32 s42, s41, 4
	s_cmp_lt_i32 s41, s28
	s_load_b32 s41, s[38:39], 0x0
	v_dual_mov_b32 v134, s9 :: v_dual_mov_b32 v133, s8
	v_dual_mov_b32 v132, s7 :: v_dual_mov_b32 v131, s6
	;; [unrolled: 1-line block ×3, first 2 shown]
	s_cselect_b32 s4, s42, s16
	s_waitcnt lgkmcnt(0)
	s_mul_hi_i32 s7, s27, s17
	s_ashr_i32 s5, s4, 31
	s_mul_hi_i32 s19, s15, s17
	s_lshl_b64 s[4:5], s[4:5], 2
	s_mul_hi_i32 s11, s13, s17
	s_add_u32 s42, s36, s4
	s_addc_u32 s43, s37, s5
	s_or_b32 s4, s29, 0xb0
	s_mul_hi_i32 s5, s40, s17
	s_ashr_i32 s6, s4, 4
	s_cmp_lt_i32 s4, s28
	s_mul_i32 s4, s40, s17
	s_cselect_b32 s8, s6, s16
	s_mul_i32 s6, s27, s17
	s_ashr_i32 s9, s8, 31
	s_mul_hi_i32 s25, s47, s17
	s_lshl_b64 s[8:9], s[8:9], 2
	s_mul_i32 s24, s47, s17
	s_add_u32 s44, s36, s8
	s_addc_u32 s45, s37, s9
	s_or_b32 s8, s29, 0xc0
	s_mul_hi_i32 s9, s26, s17
	s_ashr_i32 s10, s8, 4
	s_cmp_lt_i32 s8, s28
	s_mul_i32 s8, s26, s17
	s_cselect_b32 s26, s10, s16
	s_mul_i32 s10, s13, s17
	s_ashr_i32 s27, s26, 31
	s_mul_hi_i32 s13, s12, s17
	s_lshl_b64 s[26:27], s[26:27], 2
	s_mul_i32 s12, s12, s17
	s_add_u32 s26, s36, s26
	s_addc_u32 s27, s37, s27
	s_or_b32 s40, s29, 0xd0
	s_delay_alu instid0(SALU_CYCLE_1)
	s_ashr_i32 s18, s40, 4
	s_cmp_lt_i32 s40, s28
	s_load_b32 s40, s[42:43], 0x0
	s_cselect_b32 s20, s18, s16
	s_mul_i32 s18, s15, s17
	s_ashr_i32 s21, s20, 31
	s_mul_hi_i32 s43, s41, s17
	s_lshl_b64 s[20:21], s[20:21], 2
	s_delay_alu instid0(SALU_CYCLE_1)
	s_add_u32 s20, s36, s20
	s_addc_u32 s21, s37, s21
	s_or_b32 s42, s29, 0xe0
	s_clause 0x2
	s_load_b32 s39, s[44:45], 0x0
	s_load_b32 s38, s[26:27], 0x0
	;; [unrolled: 1-line block ×3, first 2 shown]
	s_ashr_i32 s49, s42, 4
	s_cmp_lt_i32 s42, s28
	s_mul_hi_i32 s21, s46, s17
	s_cselect_b32 s44, s49, s16
	s_mul_i32 s20, s46, s17
	s_ashr_i32 s45, s44, 31
	s_mul_hi_i32 s27, s48, s17
	s_lshl_b64 s[44:45], s[44:45], 2
	s_mul_i32 s26, s48, s17
	s_add_u32 s44, s36, s44
	s_addc_u32 s45, s37, s45
	s_or_b32 s46, s29, 0xf0
	s_mul_i32 s42, s41, s17
	s_ashr_i32 s48, s46, 4
	s_cmp_lt_i32 s46, s28
	s_waitcnt lgkmcnt(0)
	s_mul_hi_i32 s41, s40, s17
	s_cselect_b32 s48, s48, s16
	s_mul_i32 s40, s40, s17
	s_ashr_i32 s49, s48, 31
	s_mul_hi_i32 s51, s15, s17
	s_lshl_b64 s[48:49], s[48:49], 2
	s_mul_i32 s50, s15, s17
	s_add_u32 s36, s36, s48
	s_addc_u32 s37, s37, s49
	s_add_u32 s15, s22, s2
	s_addc_u32 s16, s23, s3
	v_add_co_u32 v200, s15, s15, v49
	s_delay_alu instid0(VALU_DEP_1) | instskip(SKIP_2) | instid1(VALU_DEP_2)
	v_add_co_ci_u32_e64 v201, null, s16, 0, s15
	s_lshl_b64 s[2:3], s[4:5], 1
	s_lshl_b64 s[4:5], s[6:7], 1
	v_add_co_u32 v49, vcc_lo, v200, s2
	s_delay_alu instid0(VALU_DEP_2)
	v_add_co_ci_u32_e32 v50, vcc_lo, s3, v201, vcc_lo
	v_add_co_u32 v51, vcc_lo, v200, s4
	s_lshl_b64 s[6:7], s[8:9], 1
	v_add_co_ci_u32_e32 v52, vcc_lo, s5, v201, vcc_lo
	v_add_co_u32 v53, vcc_lo, v200, s6
	s_lshl_b64 s[8:9], s[10:11], 1
	;; [unrolled: 3-line block ×7, first 2 shown]
	v_add_co_ci_u32_e32 v64, vcc_lo, s21, v201, vcc_lo
	s_clause 0x1
	s_load_b32 s15, s[44:45], 0x0
	s_load_b32 s16, s[36:37], 0x0
	v_add_co_u32 v186, vcc_lo, v200, s22
	s_lshl_b64 s[24:25], s[42:43], 1
	v_add_co_ci_u32_e32 v187, vcc_lo, s23, v201, vcc_lo
	v_add_co_u32 v194, vcc_lo, v200, s24
	s_lshl_b64 s[26:27], s[40:41], 1
	s_mul_hi_i32 s47, s39, s17
	s_mul_i32 s46, s39, s17
	v_add_co_ci_u32_e32 v195, vcc_lo, s25, v201, vcc_lo
	v_add_co_u32 v196, vcc_lo, v200, s26
	s_lshl_b64 s[40:41], s[46:47], 1
	s_mul_hi_i32 s39, s38, s17
	s_mul_i32 s38, s38, s17
	v_add_co_ci_u32_e32 v197, vcc_lo, s27, v201, vcc_lo
	v_add_co_u32 v198, vcc_lo, v200, s40
	s_lshl_b64 s[38:39], s[38:39], 1
	v_add_co_ci_u32_e32 v199, vcc_lo, s41, v201, vcc_lo
	s_clause 0x11
	global_load_b128 v[121:124], v[49:50], off
	global_load_b128 v[125:128], v[49:50], off offset:16
	global_load_b128 v[113:116], v[51:52], off
	global_load_b128 v[117:120], v[51:52], off offset:16
	;; [unrolled: 2-line block ×9, first 2 shown]
	s_lshl_b64 s[2:3], s[50:51], 1
	s_waitcnt lgkmcnt(0)
	s_mul_hi_i32 s5, s15, s17
	s_mul_i32 s4, s15, s17
	s_waitcnt vmcnt(32)
	v_wmma_f32_16x16x16_f16 v[186:193], v[1:8], v[41:48], v[129:136]
	s_waitcnt vmcnt(30)
	v_wmma_f32_16x16x16_f16 v[129:136], v[25:32], v[41:48], v[129:136]
	v_add_co_u32 v41, vcc_lo, v200, s38
	v_add_co_ci_u32_e32 v42, vcc_lo, s39, v201, vcc_lo
	s_clause 0x5
	global_load_b128 v[49:52], v[194:195], off
	global_load_b128 v[53:56], v[194:195], off offset:16
	global_load_b128 v[25:28], v[196:197], off
	global_load_b128 v[29:32], v[196:197], off offset:16
	;; [unrolled: 2-line block ×3, first 2 shown]
	s_waitcnt vmcnt(34)
	v_wmma_f32_16x16x16_f16 v[186:193], v[9:16], v[170:177], v[186:193]
	s_clause 0x1
	global_load_b128 v[9:12], v[41:42], off
	global_load_b128 v[13:16], v[41:42], off offset:16
	v_add_co_u32 v41, vcc_lo, v200, s2
	v_add_co_ci_u32_e32 v42, vcc_lo, s3, v201, vcc_lo
	s_lshl_b64 s[2:3], s[4:5], 1
	s_mul_hi_i32 s5, s16, s17
	s_mul_i32 s4, s16, s17
	v_add_co_u32 v45, vcc_lo, v200, s2
	v_add_co_ci_u32_e32 v46, vcc_lo, s3, v201, vcc_lo
	s_lshl_b64 s[2:3], s[4:5], 1
	s_waitcnt vmcnt(34)
	v_wmma_f32_16x16x16_f16 v[129:136], v[33:40], v[170:177], v[129:136]
	v_add_co_u32 v170, vcc_lo, v200, s2
	v_add_co_ci_u32_e32 v171, vcc_lo, s3, v201, vcc_lo
	s_clause 0x3
	global_load_b128 v[33:36], v[41:42], off
	global_load_b128 v[37:40], v[41:42], off offset:16
	global_load_b128 v[41:44], v[45:46], off
	global_load_b128 v[45:48], v[45:46], off offset:16
	s_waitcnt vmcnt(36)
	v_wmma_f32_16x16x16_f16 v[186:193], v[17:24], v[178:185], v[186:193]
	s_clause 0x1
	global_load_b128 v[17:20], v[170:171], off
	global_load_b128 v[21:24], v[170:171], off offset:16
	s_waitcnt vmcnt(36)
	v_wmma_f32_16x16x16_f16 v[129:136], v[146:153], v[178:185], v[129:136]
	ds_load_b128 v[146:149], v145 offset:6144
	ds_load_b128 v[150:153], v145 offset:7168
	v_and_b32_e32 v170, 0xe0, v0
	v_mbcnt_lo_u32_b32 v171, -1, 0
	s_waitcnt vmcnt(0) lgkmcnt(0)
	s_barrier
	buffer_gl0_inv
	v_add_nc_u32_e32 v170, s29, v170
	v_xor_b32_e32 v145, 16, v171
	s_delay_alu instid0(VALU_DEP_2) | instskip(NEXT) | instid1(VALU_DEP_2)
	v_or_b32_e32 v170, v170, v141
	v_cmp_gt_i32_e32 vcc_lo, 32, v145
	s_delay_alu instid0(VALU_DEP_2)
	v_or_b32_e32 v172, 4, v170
	v_or_b32_e32 v173, 6, v170
	;; [unrolled: 1-line block ×4, first 2 shown]
	v_wmma_f32_16x16x16_f16 v[186:193], v[154:161], v[146:153], v[186:193]
	v_wmma_f32_16x16x16_f16 v[129:136], v[162:169], v[146:153], v[129:136]
	v_cndmask_b32_e32 v145, v171, v145, vcc_lo
	v_or_b32_e32 v171, 2, v170
	v_cmp_gt_i32_e32 vcc_lo, s28, v170
	v_mul_f32_e32 v152, s35, v187
	v_dual_mul_f32 v158, s35, v135 :: v_dual_mul_f32 v153, s35, v186
	s_delay_alu instid0(VALU_DEP_4) | instskip(SKIP_2) | instid1(VALU_DEP_4)
	v_cmp_gt_i32_e64 s2, s28, v171
	v_dual_mul_f32 v150, s35, v189 :: v_dual_mul_f32 v151, s35, v188
	v_mul_f32_e32 v164, s35, v129
	v_cndmask_b32_e32 v153, 0xff7fffff, v153, vcc_lo
	s_delay_alu instid0(VALU_DEP_4)
	v_cndmask_b32_e64 v152, 0xff7fffff, v152, s2
	v_cmp_gt_i32_e64 s3, s28, v172
	v_cmp_gt_i32_e64 s4, s28, v173
	v_or_b32_e32 v176, 12, v170
	v_or_b32_e32 v177, 14, v170
	v_dual_mul_f32 v148, s35, v191 :: v_dual_mul_f32 v149, s35, v190
	v_mul_f32_e32 v162, s35, v131
	v_cndmask_b32_e64 v151, 0xff7fffff, v151, s3
	v_cndmask_b32_e64 v150, 0xff7fffff, v150, s4
	v_max3_f32 v152, v153, 0xff7fffff, v152
	v_cmp_gt_i32_e64 s5, s28, v174
	v_cmp_gt_i32_e64 s6, s28, v175
	v_or_b32_e32 v178, 16, v170
	v_or_b32_e32 v179, 18, v170
	v_dual_mul_f32 v146, s35, v193 :: v_dual_mul_f32 v147, s35, v192
	v_mul_f32_e32 v160, s35, v133
	v_cndmask_b32_e64 v149, 0xff7fffff, v149, s5
	v_cndmask_b32_e64 v148, 0xff7fffff, v148, s6
	v_max3_f32 v150, v152, v151, v150
	v_cmp_gt_i32_e64 s7, s28, v176
	v_cmp_gt_i32_e64 s8, s28, v177
	v_or_b32_e32 v180, 20, v170
	v_or_b32_e32 v181, 22, v170
	v_mul_f32_e32 v163, s35, v130
	v_cndmask_b32_e64 v147, 0xff7fffff, v147, s7
	v_cndmask_b32_e64 v146, 0xff7fffff, v146, s8
	v_max3_f32 v148, v150, v149, v148
	v_cmp_gt_i32_e64 s9, s28, v178
	v_cmp_gt_i32_e64 s10, s28, v179
	v_or_b32_e32 v182, 24, v170
	v_or_b32_e32 v154, 26, v170
	;; [unrolled: 8-line block ×3, first 2 shown]
	v_mul_f32_e32 v159, s35, v134
	v_cndmask_b32_e64 v147, 0xff7fffff, v162, s11
	v_cndmask_b32_e64 v148, 0xff7fffff, v161, s12
	v_max3_f32 v146, v146, v149, v150
	v_cmp_gt_i32_e64 s13, s28, v182
	v_cmp_gt_i32_e64 s15, s28, v154
	v_mul_f32_e32 v157, s35, v136
	v_cmp_gt_i32_e64 s16, s28, v155
	v_max3_f32 v146, v146, v147, v148
	v_cndmask_b32_e64 v149, 0xff7fffff, v160, s13
	v_cndmask_b32_e64 v150, 0xff7fffff, v159, s15
	v_cmp_gt_i32_e64 s17, s28, v156
	v_cndmask_b32_e64 v147, 0xff7fffff, v158, s16
	v_lshlrev_b32_e32 v162, 2, v145
	s_delay_alu instid0(VALU_DEP_4) | instskip(NEXT) | instid1(VALU_DEP_4)
	v_max3_f32 v146, v146, v149, v150
	v_cndmask_b32_e64 v148, 0xff7fffff, v157, s17
	s_delay_alu instid0(VALU_DEP_1) | instskip(SKIP_3) | instid1(VALU_DEP_1)
	v_max3_f32 v145, v146, v147, v148
	ds_bpermute_b32 v146, v162, v145
	s_waitcnt lgkmcnt(0)
	v_max_f32_e32 v146, v146, v146
	v_max_f32_e32 v161, v145, v146
	s_delay_alu instid0(VALU_DEP_1) | instskip(NEXT) | instid1(VALU_DEP_1)
	v_fma_f32 v132, s35, v132, -v161
	v_mul_f32_e32 v132, 0x3fb8aa3b, v132
	v_fma_f32 v147, s35, v188, -v161
	v_fma_f32 v148, s35, v189, -v161
	;; [unrolled: 1-line block ×5, first 2 shown]
	s_delay_alu instid0(VALU_DEP_4) | instskip(NEXT) | instid1(VALU_DEP_4)
	v_dual_mul_f32 v147, 0x3fb8aa3b, v147 :: v_dual_mul_f32 v148, 0x3fb8aa3b, v148
	v_mul_f32_e32 v130, 0x3fb8aa3b, v130
	v_fma_f32 v154, s35, v193, -v161
	v_mul_f32_e32 v145, 0x3fb8aa3b, v145
	s_delay_alu instid0(VALU_DEP_4)
	v_exp_f32_e32 v147, v147
	v_exp_f32_e32 v152, v148
	v_mul_f32_e32 v146, 0x3fb8aa3b, v146
	v_fma_f32 v150, s35, v190, -v161
	v_fma_f32 v151, s35, v191, -v161
	;; [unrolled: 1-line block ×4, first 2 shown]
	v_exp_f32_e32 v149, v146
	s_delay_alu instid0(VALU_DEP_3) | instskip(NEXT) | instid1(TRANS32_DEP_3)
	v_dual_mul_f32 v150, 0x3fb8aa3b, v150 :: v_dual_mul_f32 v151, 0x3fb8aa3b, v151
	v_cndmask_b32_e64 v148, 0, v147, s3
	s_delay_alu instid0(VALU_DEP_3)
	v_mul_f32_e32 v134, 0x3fb8aa3b, v134
	v_cndmask_b32_e64 v147, 0, v152, s4
	v_mul_f32_e32 v152, 0x3fb8aa3b, v154
	v_exp_f32_e32 v145, v145
	v_exp_f32_e32 v150, v150
	v_mul_f32_e32 v153, 0x3fb8aa3b, v153
	v_exp_f32_e32 v151, v151
	v_fma_f32 v129, s35, v129, -v161
	v_exp_f32_e32 v155, v152
	v_fma_f32 v131, s35, v131, -v161
	v_exp_f32_e32 v153, v153
	v_exp_f32_e32 v130, v130
	v_mul_f32_e32 v129, 0x3fb8aa3b, v129
	v_cndmask_b32_e32 v146, 0, v145, vcc_lo
	v_cndmask_b32_e64 v145, 0, v149, s2
	v_cndmask_b32_e64 v150, 0, v150, s5
	v_mul_f32_e32 v131, 0x3fb8aa3b, v131
	v_exp_f32_e32 v129, v129
	v_add_f32_e32 v149, 0, v146
	v_fma_f32 v133, s35, v133, -v161
	v_cndmask_b32_e64 v152, 0, v153, s7
	v_exp_f32_e32 v131, v131
	v_exp_f32_e32 v132, v132
	v_add_f32_e32 v149, v149, v145
	v_mul_f32_e32 v133, 0x3fb8aa3b, v133
	s_mov_b32 s2, exec_lo
	s_delay_alu instid0(VALU_DEP_2) | instskip(NEXT) | instid1(VALU_DEP_2)
	v_add_f32_e32 v149, v149, v148
	v_exp_f32_e32 v133, v133
	s_delay_alu instid0(TRANS32_DEP_3) | instskip(SKIP_1) | instid1(VALU_DEP_2)
	v_cndmask_b32_e64 v156, 0, v131, s11
	v_exp_f32_e32 v131, v134
	v_add_f32_e32 v154, v149, v147
	v_cndmask_b32_e64 v149, 0, v151, s6
	s_delay_alu instid0(VALU_DEP_2) | instskip(SKIP_1) | instid1(TRANS32_DEP_2)
	v_add_f32_e32 v151, v154, v150
	v_cndmask_b32_e64 v154, 0, v129, s9
	v_cndmask_b32_e64 v158, 0, v133, s13
	s_waitcnt_depctr 0xfff
	v_cndmask_b32_e64 v157, 0, v131, s15
	v_add_f32_e32 v153, v151, v149
	v_cndmask_b32_e64 v151, 0, v155, s8
	v_cndmask_b32_e64 v155, 0, v132, s12
	v_fma_f32 v132, s35, v136, -v161
	s_delay_alu instid0(VALU_DEP_4) | instskip(NEXT) | instid1(VALU_DEP_1)
	v_add_f32_e32 v153, v153, v152
	v_dual_mul_f32 v132, 0x3fb8aa3b, v132 :: v_dual_add_f32 v129, v153, v151
	v_cndmask_b32_e64 v153, 0, v130, s10
	v_fma_f32 v130, s35, v135, -v161
	s_delay_alu instid0(VALU_DEP_3) | instskip(NEXT) | instid1(VALU_DEP_3)
	v_exp_f32_e32 v131, v132
	v_add_f32_e32 v129, v129, v154
	s_delay_alu instid0(VALU_DEP_1) | instskip(NEXT) | instid1(VALU_DEP_1)
	v_dual_mul_f32 v130, 0x3fb8aa3b, v130 :: v_dual_add_f32 v129, v129, v153
	v_exp_f32_e32 v130, v130
	s_waitcnt_depctr 0xfff
	v_cndmask_b32_e64 v159, 0, v131, s17
	v_add_f32_e32 v129, v129, v156
	s_delay_alu instid0(VALU_DEP_1) | instskip(SKIP_1) | instid1(VALU_DEP_2)
	v_add_f32_e32 v129, v129, v155
	v_cndmask_b32_e64 v160, 0, v130, s16
	v_add_f32_e32 v129, v129, v158
	s_delay_alu instid0(VALU_DEP_1) | instskip(NEXT) | instid1(VALU_DEP_1)
	v_add_f32_e32 v129, v129, v157
	v_add_f32_e32 v129, v129, v160
	s_delay_alu instid0(VALU_DEP_1)
	v_add_f32_e32 v129, v129, v159
	ds_bpermute_b32 v130, v162, v129
	v_cmpx_gt_u32_e32 16, v143
	s_cbranch_execz .LBB55_12
; %bb.11:
	v_mul_u32_u24_e32 v131, 0x44, v144
	s_delay_alu instid0(VALU_DEP_1) | instskip(SKIP_1) | instid1(VALU_DEP_1)
	v_lshl_add_u32 v131, v142, 2, v131
	s_waitcnt lgkmcnt(0)
	v_dual_add_f32 v129, v129, v130 :: v_dual_add_nc_u32 v130, 0x4000, v131
	ds_store_2addr_b32 v130, v161, v129 offset1:136
.LBB55_12:
	s_or_b32 exec_lo, exec_lo, s2
	v_lshlrev_b32_e32 v129, 2, v142
	v_cmp_eq_u32_e32 vcc_lo, 1, v144
	s_load_b32 s35, s[0:1], 0x94
	s_waitcnt lgkmcnt(0)
	s_barrier
	v_add_nc_u32_e32 v135, 0x4000, v129
	buffer_gl0_inv
	v_cmp_eq_u32_e64 s2, 2, v144
	v_cmp_eq_u32_e64 s3, 3, v144
	;; [unrolled: 1-line block ×3, first 2 shown]
	ds_load_2addr_b32 v[129:130], v135 offset1:17
	ds_load_2addr_b32 v[131:132], v135 offset0:34 offset1:51
	ds_load_2addr_b32 v[133:134], v135 offset0:68 offset1:85
	;; [unrolled: 1-line block ×4, first 2 shown]
	v_cmp_eq_u32_e64 s5, 5, v144
	v_cmp_eq_u32_e64 s6, 7, v144
	s_waitcnt lgkmcnt(4)
	v_max3_f32 v136, v129, 0xff7fffff, v130
	s_waitcnt lgkmcnt(3)
	s_delay_alu instid0(VALU_DEP_1) | instskip(SKIP_1) | instid1(VALU_DEP_1)
	v_max3_f32 v136, v136, v131, v132
	s_waitcnt lgkmcnt(2)
	v_max3_f32 v136, v136, v133, v134
	s_waitcnt lgkmcnt(1)
	s_delay_alu instid0(VALU_DEP_1) | instskip(NEXT) | instid1(VALU_DEP_1)
	v_max3_f32 v136, v136, v161, v162
	v_sub_f32_e32 v166, v132, v136
	v_sub_f32_e32 v129, v129, v136
	;; [unrolled: 1-line block ×4, first 2 shown]
	s_delay_alu instid0(VALU_DEP_4) | instskip(NEXT) | instid1(VALU_DEP_4)
	v_dual_sub_f32 v133, v133, v136 :: v_dual_mul_f32 v166, 0x3fb8aa3b, v166
	v_mul_f32_e32 v165, 0x3fb8aa3b, v129
	ds_load_2addr_b32 v[129:130], v135 offset0:170 offset1:187
	v_mul_f32_e32 v143, 0x3fb8aa3b, v143
	v_mul_f32_e32 v167, 0x3fb8aa3b, v131
	v_exp_f32_e32 v166, v166
	v_exp_f32_e32 v165, v165
	v_mul_f32_e32 v169, 0x3fb8aa3b, v133
	v_exp_f32_e32 v168, v143
	v_exp_f32_e32 v167, v167
	s_waitcnt lgkmcnt(1)
	s_delay_alu instid0(TRANS32_DEP_3) | instskip(SKIP_4) | instid1(VALU_DEP_1)
	v_fma_f32 v143, v165, v163, 0
	v_sub_f32_e32 v163, v134, v136
	s_waitcnt_depctr 0xfff
	v_fmac_f32_e32 v143, v168, v164
	s_waitcnt lgkmcnt(0)
	v_fmac_f32_e32 v143, v167, v129
	v_sub_f32_e32 v129, v162, v136
	s_delay_alu instid0(VALU_DEP_2)
	v_dual_fmac_f32 v143, v166, v130 :: v_dual_cndmask_b32 v130, v165, v168
	ds_load_2addr_b32 v[131:132], v135 offset0:204 offset1:221
	ds_load_2addr_b32 v[133:134], v135 offset0:238 offset1:255
	v_sub_f32_e32 v135, v161, v136
	v_mul_f32_e32 v161, 0x3fb8aa3b, v163
	v_exp_f32_e32 v163, v169
	v_mul_f32_e32 v129, 0x3fb8aa3b, v129
	s_waitcnt lgkmcnt(0)
	v_mul_f32_e32 v135, 0x3fb8aa3b, v135
	v_exp_f32_e32 v161, v161
	s_barrier
	v_exp_f32_e32 v162, v129
	buffer_gl0_inv
	v_exp_f32_e32 v135, v135
	v_fmac_f32_e32 v143, v163, v131
	s_delay_alu instid0(VALU_DEP_1) | instskip(SKIP_3) | instid1(VALU_DEP_2)
	v_fmac_f32_e32 v143, v161, v132
	s_waitcnt_depctr 0xfff
	v_fmac_f32_e32 v143, v135, v133
	v_lshlrev_b32_e32 v133, 6, v142
	v_fmac_f32_e32 v143, v162, v134
	s_delay_alu instid0(VALU_DEP_2) | instskip(NEXT) | instid1(VALU_DEP_2)
	v_lshl_or_b32 v134, v144, 11, v133
	v_add_f32_e32 v164, 0x358637bd, v143
	s_delay_alu instid0(VALU_DEP_1) | instskip(SKIP_1) | instid1(VALU_DEP_2)
	v_div_scale_f32 v169, null, v164, v164, 1.0
	v_div_scale_f32 v165, vcc_lo, 1.0, v164, 1.0
	v_rcp_f32_e32 v170, v169
	s_waitcnt_depctr 0xfff
	v_fma_f32 v129, -v169, v170, 1.0
	s_delay_alu instid0(VALU_DEP_1) | instskip(SKIP_2) | instid1(VALU_DEP_3)
	v_fmac_f32_e32 v170, v129, v170
	v_cndmask_b32_e64 v129, v130, v167, s2
	v_cmp_eq_u32_e64 s2, 6, v144
	v_mul_f32_e32 v167, v165, v170
	s_delay_alu instid0(VALU_DEP_3) | instskip(SKIP_1) | instid1(VALU_DEP_3)
	v_cndmask_b32_e64 v130, v129, v166, s3
	v_lshlrev_b32_e32 v129, 2, v141
	v_fma_f32 v131, -v169, v167, v165
	s_delay_alu instid0(VALU_DEP_3) | instskip(NEXT) | instid1(VALU_DEP_3)
	v_cndmask_b32_e64 v142, v130, v163, s4
	v_or_b32_e32 v130, 1, v129
	v_or_b32_e32 v132, 2, v129
	v_cmp_eq_u32_e64 s3, 1, v129
	v_fmac_f32_e32 v167, v131, v170
	v_cndmask_b32_e64 v142, v142, v161, s5
	v_or_b32_e32 v131, 3, v129
	v_cmp_eq_u32_e64 s8, 1, v130
	v_cmp_eq_u32_e64 s9, 1, v132
	v_fma_f32 v144, -v169, v167, v165
	v_cndmask_b32_e64 v135, v142, v135, s2
	v_cmp_eq_u32_e64 s10, 1, v131
	v_cmp_eq_u32_e64 s4, 2, v129
	;; [unrolled: 1-line block ×3, first 2 shown]
	v_div_fmas_f32 v142, v144, v170, v167
	v_cndmask_b32_e64 v144, v135, v162, s6
	v_lshl_or_b32 v135, v141, 4, v134
	v_cmp_eq_u32_e64 s13, 2, v132
	v_cmp_eq_u32_e64 s15, 2, v131
	v_div_fixup_f32 v142, v142, v164, 1.0
	v_cmp_eq_u32_e32 vcc_lo, 3, v129
	v_cmp_eq_u32_e64 s12, 3, v130
	v_cmp_eq_u32_e64 s16, 3, v132
	;; [unrolled: 1-line block ×3, first 2 shown]
	v_mul_f32_e32 v141, v144, v142
	v_cmp_eq_u32_e64 s21, 4, v131
	v_cmp_eq_u32_e64 s2, 4, v129
	;; [unrolled: 1-line block ×4, first 2 shown]
	v_fma_mixlo_f16 v161, v141, v146, 0
	v_fma_mixlo_f16 v162, v141, v148, 0
	;; [unrolled: 1-line block ×8, first 2 shown]
	v_fma_mixhi_f16 v161, v141, v145, 0
	v_fma_mixhi_f16 v162, v141, v147, 0
	;; [unrolled: 1-line block ×8, first 2 shown]
	ds_store_b128 v135, v[161:164]
	ds_store_b128 v135, v[165:168] offset:1024
	s_waitcnt lgkmcnt(0)
	s_barrier
	buffer_gl0_inv
	ds_load_b128 v[144:147], v134
	ds_load_b128 v[148:151], v134 offset:16
	ds_load_b128 v[152:155], v134 offset:1024
	;; [unrolled: 1-line block ×3, first 2 shown]
	v_cmp_eq_u32_e64 s5, 5, v129
	v_cmp_eq_u32_e64 s19, 5, v130
	;; [unrolled: 1-line block ×12, first 2 shown]
	s_waitcnt lgkmcnt(3)
	v_lshrrev_b32_e32 v141, 16, v144
	s_waitcnt lgkmcnt(2)
	v_lshrrev_b32_e32 v162, 16, v148
	;; [unrolled: 2-line block ×4, first 2 shown]
	v_lshrrev_b32_e32 v142, 16, v145
	v_cndmask_b32_e64 v174, v144, v141, s3
	v_cndmask_b32_e64 v175, v148, v162, s3
	;; [unrolled: 1-line block ×7, first 2 shown]
	v_lshrrev_b32_e32 v163, 16, v149
	v_cndmask_b32_e64 v179, v148, v162, s9
	v_cndmask_b32_e64 v148, v152, v166, s3
	;; [unrolled: 1-line block ×16, first 2 shown]
	v_lshrrev_b32_e32 v167, 16, v153
	v_cndmask_b32_e64 v177, v179, v149, s13
	v_cndmask_b32_e64 v145, v148, v153, s4
	;; [unrolled: 1-line block ×7, first 2 shown]
	v_cndmask_b32_e32 v156, v166, v142, vcc_lo
	v_cndmask_b32_e32 v166, v170, v163, vcc_lo
	v_cndmask_b32_e64 v170, v174, v142, s12
	v_cndmask_b32_e64 v174, v175, v163, s12
	;; [unrolled: 1-line block ×5, first 2 shown]
	v_lshrrev_b32_e32 v160, 16, v146
	v_lshrrev_b32_e32 v164, 16, v150
	;; [unrolled: 1-line block ×3, first 2 shown]
	v_cndmask_b32_e64 v141, v141, v146, s21
	v_cndmask_b32_e64 v142, v142, v150, s21
	;; [unrolled: 1-line block ×3, first 2 shown]
	v_cndmask_b32_e32 v144, v145, v167, vcc_lo
	v_cndmask_b32_e32 v145, v148, v171, vcc_lo
	v_cndmask_b32_e64 v148, v149, v167, s12
	v_cndmask_b32_e64 v149, v156, v146, s2
	;; [unrolled: 1-line block ×7, first 2 shown]
	v_lshrrev_b32_e32 v161, 16, v147
	v_lshrrev_b32_e32 v165, 16, v151
	;; [unrolled: 1-line block ×4, first 2 shown]
	v_cndmask_b32_e64 v170, v175, v146, s20
	v_cndmask_b32_e64 v174, v176, v150, s20
	;; [unrolled: 1-line block ×20, first 2 shown]
	v_lshrrev_b32_e32 v169, 16, v155
	v_cndmask_b32_e64 v148, v148, v147, s6
	v_cndmask_b32_e64 v149, v149, v151, s6
	;; [unrolled: 1-line block ×9, first 2 shown]
	v_perm_b32 v147, v142, v141, 0x5040100
	v_cndmask_b32_e64 v141, v183, v157, s13
	v_cndmask_b32_e64 v142, v181, v157, s11
	;; [unrolled: 1-line block ×7, first 2 shown]
	v_perm_b32 v145, v156, v150, 0x5040100
	v_cndmask_b32_e64 v144, v162, v167, s16
	v_cndmask_b32_e64 v150, v152, v167, s17
	;; [unrolled: 1-line block ×15, first 2 shown]
	v_lshrrev_b32_e32 v173, 16, v159
	v_cndmask_b32_e64 v144, v144, v155, s25
	v_cndmask_b32_e64 v150, v150, v155, s26
	;; [unrolled: 1-line block ×12, first 2 shown]
	v_perm_b32 v146, v160, v146, 0x5040100
	v_perm_b32 v144, v149, v148, 0x5040100
	;; [unrolled: 1-line block ×6, first 2 shown]
	s_lshl_b32 s6, s34, 1
	s_mov_b32 s2, exec_lo
	ds_store_b128 v135, v[144:147]
	ds_store_b128 v135, v[148:151] offset:1024
	v_cmpx_gt_u32_e32 2, v0
	s_cbranch_execz .LBB55_14
; %bb.13:
	v_or_b32_e32 v141, s33, v0
	s_load_b128 s[8:11], s[0:1], 0x58
	s_delay_alu instid0(VALU_DEP_1) | instskip(NEXT) | instid1(VALU_DEP_1)
	v_mad_u64_u32 v[144:145], null, s6, s30, v[141:142]
	v_mad_u64_u32 v[141:142], null, v144, s35, s[14:15]
	s_delay_alu instid0(VALU_DEP_1) | instskip(NEXT) | instid1(VALU_DEP_1)
	v_ashrrev_i32_e32 v142, 31, v141
	v_lshlrev_b64 v[141:142], 2, v[141:142]
	s_waitcnt lgkmcnt(0)
	s_delay_alu instid0(VALU_DEP_1) | instskip(NEXT) | instid1(VALU_DEP_2)
	v_add_co_u32 v144, vcc_lo, s10, v141
	v_add_co_ci_u32_e32 v145, vcc_lo, s11, v142, vcc_lo
	v_add_co_u32 v141, vcc_lo, s8, v141
	v_add_co_ci_u32_e32 v142, vcc_lo, s9, v142, vcc_lo
	global_store_b32 v[144:145], v136, off
	global_store_b32 v[141:142], v143, off
.LBB55_14:
	s_or_b32 exec_lo, exec_lo, s2
	s_waitcnt lgkmcnt(0)
	s_waitcnt_vscnt null, 0x0
	s_barrier
	buffer_gl0_inv
	ds_load_b128 v[149:152], v133
	ds_load_b128 v[153:156], v133 offset:16
	ds_load_b128 v[161:164], v133 offset:1040
	;; [unrolled: 1-line block ×5, first 2 shown]
	v_cmp_eq_u32_e32 vcc_lo, 1, v132
	v_mov_b32_e32 v141, 0
	ds_load_b128 v[177:180], v133 offset:3088
	ds_load_b128 v[173:176], v133 offset:3072
	;; [unrolled: 1-line block ×4, first 2 shown]
	v_cmp_eq_u32_e64 s2, 1, v129
	v_cmp_eq_u32_e64 s3, 1, v131
	v_cmp_eq_u32_e64 s4, 1, v130
	v_mov_b32_e32 v142, v141
	v_mov_b32_e32 v143, v141
	;; [unrolled: 1-line block ×7, first 2 shown]
	v_cmp_eq_u32_e64 s5, 2, v129
	s_waitcnt lgkmcnt(8)
	s_delay_alu instid0(VALU_DEP_2)
	v_wmma_f32_16x16x16_f16 v[141:148], v[121:128], v[149:156], v[141:148]
	ds_load_b128 v[125:128], v133 offset:5136
	ds_load_b128 v[121:124], v133 offset:5120
	s_waitcnt lgkmcnt(8)
	v_wmma_f32_16x16x16_f16 v[141:148], v[113:120], v[157:164], v[141:148]
	ds_load_b128 v[117:120], v133 offset:6160
	ds_load_b128 v[113:116], v133 offset:6144
	s_waitcnt lgkmcnt(8)
	;; [unrolled: 4-line block ×11, first 2 shown]
	s_barrier
	buffer_gl0_inv
	v_wmma_f32_16x16x16_f16 v[141:148], v[1:8], v[73:80], v[141:148]
	s_delay_alu instid0(VALU_DEP_1) | instskip(NEXT) | instid1(VALU_DEP_1)
	v_wmma_f32_16x16x16_f16 v[141:148], v[9:16], v[65:72], v[141:148]
	v_wmma_f32_16x16x16_f16 v[141:148], v[33:40], v[57:64], v[141:148]
	s_delay_alu instid0(VALU_DEP_1) | instskip(NEXT) | instid1(VALU_DEP_1)
	v_wmma_f32_16x16x16_f16 v[141:148], v[41:48], v[49:56], v[141:148]
	v_wmma_f32_16x16x16_f16 v[141:148], v[17:24], v[25:32], v[141:148]
	s_delay_alu instid0(VALU_DEP_1) | instskip(NEXT) | instid1(VALU_DEP_2)
	v_cvt_f16_f32_e64 v1, v141
	v_cvt_f16_f32_e64 v2, v142
	s_delay_alu instid0(VALU_DEP_3) | instskip(NEXT) | instid1(VALU_DEP_4)
	v_cvt_f16_f32_e64 v3, v143
	v_cvt_f16_f32_e64 v4, v144
	v_cvt_f16_f32_e64 v5, v145
	v_cvt_f16_f32_e64 v6, v146
	v_cvt_f16_f32_e64 v7, v147
	v_cvt_f16_f32_e64 v8, v148
	v_pack_b32_f16 v1, v1, v2
	v_pack_b32_f16 v2, v3, v4
	;; [unrolled: 1-line block ×3, first 2 shown]
	s_delay_alu instid0(VALU_DEP_4)
	v_pack_b32_f16 v4, v7, v8
	ds_store_b128 v135, v[1:4]
	s_waitcnt lgkmcnt(0)
	s_barrier
	buffer_gl0_inv
	ds_load_b128 v[1:4], v134
	ds_load_b128 v[5:8], v134 offset:16
	s_waitcnt lgkmcnt(1)
	v_lshrrev_b32_e32 v9, 16, v1
	s_waitcnt lgkmcnt(0)
	v_lshrrev_b32_e32 v13, 16, v5
	v_lshrrev_b32_e32 v15, 16, v7
	;; [unrolled: 1-line block ×4, first 2 shown]
	v_cndmask_b32_e64 v17, v1, v9, s2
	v_cndmask_b32_e64 v18, v5, v13, s2
	;; [unrolled: 1-line block ×3, first 2 shown]
	v_cmp_eq_u32_e64 s2, 2, v130
	v_cndmask_b32_e64 v20, v5, v13, s4
	v_cndmask_b32_e32 v21, v1, v9, vcc_lo
	v_cndmask_b32_e32 v22, v5, v13, vcc_lo
	v_cndmask_b32_e64 v1, v1, v9, s3
	v_cndmask_b32_e64 v5, v5, v13, s3
	v_cmp_eq_u32_e32 vcc_lo, 2, v132
	v_cmp_eq_u32_e64 s3, 2, v131
	v_cndmask_b32_e64 v9, v17, v2, s5
	v_cndmask_b32_e64 v13, v18, v6, s5
	v_cndmask_b32_e64 v17, v19, v2, s2
	v_cndmask_b32_e64 v18, v20, v6, s2
	v_cndmask_b32_e32 v19, v21, v2, vcc_lo
	v_cmp_eq_u32_e64 s2, 3, v132
	v_cndmask_b32_e32 v20, v22, v6, vcc_lo
	v_cndmask_b32_e64 v1, v1, v2, s3
	v_cmp_eq_u32_e32 vcc_lo, 3, v131
	v_cmp_eq_u32_e64 s4, 3, v129
	v_cndmask_b32_e64 v2, v5, v6, s3
	v_cmp_eq_u32_e64 s3, 3, v130
	v_lshrrev_b32_e32 v16, 16, v8
	v_cmp_eq_u32_e64 s5, 4, v129
	v_cndmask_b32_e64 v5, v9, v10, s4
	v_cndmask_b32_e64 v6, v13, v14, s4
	;; [unrolled: 1-line block ×3, first 2 shown]
	v_cmp_eq_u32_e64 s4, 4, v130
	v_cndmask_b32_e64 v13, v18, v14, s3
	v_cndmask_b32_e64 v17, v19, v10, s2
	;; [unrolled: 1-line block ×3, first 2 shown]
	v_cndmask_b32_e32 v1, v1, v10, vcc_lo
	v_cndmask_b32_e32 v2, v2, v14, vcc_lo
	v_cmp_eq_u32_e32 vcc_lo, 4, v132
	v_cmp_eq_u32_e64 s3, 4, v131
	v_lshrrev_b32_e32 v11, 16, v3
	v_cndmask_b32_e64 v5, v5, v3, s5
	v_cndmask_b32_e64 v6, v6, v7, s5
	;; [unrolled: 1-line block ×4, first 2 shown]
	v_cndmask_b32_e32 v13, v17, v3, vcc_lo
	v_cmp_eq_u32_e64 s2, 5, v132
	v_cndmask_b32_e32 v14, v18, v7, vcc_lo
	v_cndmask_b32_e64 v1, v1, v3, s3
	v_cmp_eq_u32_e32 vcc_lo, 5, v131
	v_cmp_eq_u32_e64 s4, 5, v129
	v_cndmask_b32_e64 v2, v2, v7, s3
	v_cmp_eq_u32_e64 s3, 5, v130
	v_cmp_eq_u32_e64 s5, 6, v129
	v_cndmask_b32_e32 v1, v1, v11, vcc_lo
	v_cndmask_b32_e64 v3, v5, v11, s4
	v_cndmask_b32_e64 v5, v6, v15, s4
	;; [unrolled: 1-line block ×3, first 2 shown]
	v_cmp_eq_u32_e64 s4, 6, v130
	v_cndmask_b32_e64 v7, v10, v15, s3
	v_cndmask_b32_e64 v9, v13, v11, s2
	;; [unrolled: 1-line block ×3, first 2 shown]
	v_cndmask_b32_e32 v2, v2, v15, vcc_lo
	v_cmp_eq_u32_e32 vcc_lo, 6, v132
	v_cmp_eq_u32_e64 s2, 6, v131
	v_lshrrev_b32_e32 v12, 16, v4
	v_cndmask_b32_e64 v3, v3, v4, s5
	v_cndmask_b32_e64 v5, v5, v8, s5
	;; [unrolled: 1-line block ×4, first 2 shown]
	v_cndmask_b32_e32 v9, v9, v4, vcc_lo
	v_cmp_eq_u32_e64 s3, 7, v132
	v_cndmask_b32_e32 v10, v10, v8, vcc_lo
	v_cndmask_b32_e64 v1, v1, v4, s2
	v_cmp_eq_u32_e32 vcc_lo, 7, v131
	v_cndmask_b32_e64 v2, v2, v8, s2
	v_cmp_eq_u32_e64 s2, 7, v129
	v_cmp_eq_u32_e64 s4, 7, v130
	v_cndmask_b32_e32 v1, v1, v12, vcc_lo
	s_delay_alu instid0(VALU_DEP_4) | instskip(NEXT) | instid1(VALU_DEP_4)
	v_cndmask_b32_e32 v2, v2, v16, vcc_lo
	v_cndmask_b32_e64 v8, v3, v12, s2
	s_delay_alu instid0(VALU_DEP_4)
	v_cndmask_b32_e64 v6, v6, v12, s4
	v_cndmask_b32_e64 v3, v9, v12, s3
	;; [unrolled: 1-line block ×5, first 2 shown]
	v_perm_b32 v4, v2, v1, 0x5040100
	s_delay_alu instid0(VALU_DEP_4) | instskip(NEXT) | instid1(VALU_DEP_4)
	v_perm_b32 v3, v9, v3, 0x5040100
	v_perm_b32 v2, v7, v6, 0x5040100
	s_delay_alu instid0(VALU_DEP_4)
	v_perm_b32 v1, v5, v8, 0x5040100
	ds_store_b128 v135, v[1:4]
	s_waitcnt lgkmcnt(0)
	s_barrier
	buffer_gl0_inv
	s_and_saveexec_b32 s2, s31
	s_cbranch_execz .LBB55_2
; %bb.15:
	s_load_b64 s[0:1], s[0:1], 0x68
	v_lshlrev_b32_e32 v0, 10, v0
	s_lshl_b32 s2, s35, 6
	v_lshlrev_b32_e32 v1, 4, v140
	v_mul_lo_u32 v4, s2, v139
	s_mul_i32 s3, s2, s30
	v_and_b32_e32 v0, 0x3800, v0
	s_mul_i32 s2, s3, s6
	s_delay_alu instid0(SALU_CYCLE_1) | instskip(NEXT) | instid1(VALU_DEP_1)
	s_ashr_i32 s3, s2, 31
	v_or3_b32 v0, v0, v138, v1
	s_lshl_b64 s[2:3], s[2:3], 1
	s_delay_alu instid0(VALU_DEP_3)
	v_ashrrev_i32_e32 v5, 31, v4
	ds_load_b128 v[0:3], v0
	v_lshlrev_b64 v[4:5], 1, v[4:5]
	s_waitcnt lgkmcnt(0)
	s_add_u32 s2, s0, s2
	s_addc_u32 s3, s1, s3
	s_lshl_b32 s0, s14, 6
	s_delay_alu instid0(SALU_CYCLE_1) | instskip(NEXT) | instid1(SALU_CYCLE_1)
	s_ashr_i32 s1, s0, 31
	s_lshl_b64 s[0:1], s[0:1], 1
	s_delay_alu instid0(SALU_CYCLE_1) | instskip(SKIP_3) | instid1(VALU_DEP_2)
	s_add_u32 s0, s2, s0
	s_addc_u32 s1, s3, s1
	v_add_co_u32 v4, vcc_lo, s0, v4
	v_add_co_ci_u32_e32 v5, vcc_lo, s1, v5, vcc_lo
	v_add_co_u32 v4, vcc_lo, v4, v137
	s_delay_alu instid0(VALU_DEP_2)
	v_add_co_ci_u32_e32 v5, vcc_lo, 0, v5, vcc_lo
	global_store_b128 v[4:5], v[0:3], off
	s_nop 0
	s_sendmsg sendmsg(MSG_DEALLOC_VGPRS)
	s_endpgm
	.section	.rodata,"a",@progbits
	.p2align	6, 0x0
	.amdhsa_kernel _Z39paged_attention_ll4mi_QKV_mfma16_kernelIDF16_DF16_LN4vllm18Fp8KVCacheDataTypeE0EhLi16ELi64ELi256ELb0ELi2EL8MFMAType0EEvPKT_PKT0_S8_ifPKiSA_SA_iPKfiiiPfSD_PS3_PT2_iSC_SC_
		.amdhsa_group_segment_fixed_size 17472
		.amdhsa_private_segment_fixed_size 0
		.amdhsa_kernarg_size 400
		.amdhsa_user_sgpr_count 13
		.amdhsa_user_sgpr_dispatch_ptr 0
		.amdhsa_user_sgpr_queue_ptr 0
		.amdhsa_user_sgpr_kernarg_segment_ptr 1
		.amdhsa_user_sgpr_dispatch_id 0
		.amdhsa_user_sgpr_private_segment_size 0
		.amdhsa_wavefront_size32 1
		.amdhsa_uses_dynamic_stack 0
		.amdhsa_enable_private_segment 0
		.amdhsa_system_sgpr_workgroup_id_x 1
		.amdhsa_system_sgpr_workgroup_id_y 1
		.amdhsa_system_sgpr_workgroup_id_z 1
		.amdhsa_system_sgpr_workgroup_info 0
		.amdhsa_system_vgpr_workitem_id 0
		.amdhsa_next_free_vgpr 202
		.amdhsa_next_free_sgpr 52
		.amdhsa_reserve_vcc 1
		.amdhsa_float_round_mode_32 0
		.amdhsa_float_round_mode_16_64 0
		.amdhsa_float_denorm_mode_32 3
		.amdhsa_float_denorm_mode_16_64 3
		.amdhsa_dx10_clamp 1
		.amdhsa_ieee_mode 1
		.amdhsa_fp16_overflow 0
		.amdhsa_workgroup_processor_mode 1
		.amdhsa_memory_ordered 1
		.amdhsa_forward_progress 0
		.amdhsa_shared_vgpr_count 0
		.amdhsa_exception_fp_ieee_invalid_op 0
		.amdhsa_exception_fp_denorm_src 0
		.amdhsa_exception_fp_ieee_div_zero 0
		.amdhsa_exception_fp_ieee_overflow 0
		.amdhsa_exception_fp_ieee_underflow 0
		.amdhsa_exception_fp_ieee_inexact 0
		.amdhsa_exception_int_div_zero 0
	.end_amdhsa_kernel
	.section	.text._Z39paged_attention_ll4mi_QKV_mfma16_kernelIDF16_DF16_LN4vllm18Fp8KVCacheDataTypeE0EhLi16ELi64ELi256ELb0ELi2EL8MFMAType0EEvPKT_PKT0_S8_ifPKiSA_SA_iPKfiiiPfSD_PS3_PT2_iSC_SC_,"axG",@progbits,_Z39paged_attention_ll4mi_QKV_mfma16_kernelIDF16_DF16_LN4vllm18Fp8KVCacheDataTypeE0EhLi16ELi64ELi256ELb0ELi2EL8MFMAType0EEvPKT_PKT0_S8_ifPKiSA_SA_iPKfiiiPfSD_PS3_PT2_iSC_SC_,comdat
.Lfunc_end55:
	.size	_Z39paged_attention_ll4mi_QKV_mfma16_kernelIDF16_DF16_LN4vllm18Fp8KVCacheDataTypeE0EhLi16ELi64ELi256ELb0ELi2EL8MFMAType0EEvPKT_PKT0_S8_ifPKiSA_SA_iPKfiiiPfSD_PS3_PT2_iSC_SC_, .Lfunc_end55-_Z39paged_attention_ll4mi_QKV_mfma16_kernelIDF16_DF16_LN4vllm18Fp8KVCacheDataTypeE0EhLi16ELi64ELi256ELb0ELi2EL8MFMAType0EEvPKT_PKT0_S8_ifPKiSA_SA_iPKfiiiPfSD_PS3_PT2_iSC_SC_
                                        ; -- End function
	.section	.AMDGPU.csdata,"",@progbits
; Kernel info:
; codeLenInByte = 7588
; NumSgprs: 54
; NumVgprs: 202
; ScratchSize: 0
; MemoryBound: 0
; FloatMode: 240
; IeeeMode: 1
; LDSByteSize: 17472 bytes/workgroup (compile time only)
; SGPRBlocks: 6
; VGPRBlocks: 25
; NumSGPRsForWavesPerEU: 54
; NumVGPRsForWavesPerEU: 202
; Occupancy: 7
; WaveLimiterHint : 1
; COMPUTE_PGM_RSRC2:SCRATCH_EN: 0
; COMPUTE_PGM_RSRC2:USER_SGPR: 13
; COMPUTE_PGM_RSRC2:TRAP_HANDLER: 0
; COMPUTE_PGM_RSRC2:TGID_X_EN: 1
; COMPUTE_PGM_RSRC2:TGID_Y_EN: 1
; COMPUTE_PGM_RSRC2:TGID_Z_EN: 1
; COMPUTE_PGM_RSRC2:TIDIG_COMP_CNT: 0
	.section	.text._Z39paged_attention_ll4mi_QKV_mfma16_kernelIDF16_DF16_LN4vllm18Fp8KVCacheDataTypeE0EhLi16ELi64ELi256ELb0ELi3EL8MFMAType0EEvPKT_PKT0_S8_ifPKiSA_SA_iPKfiiiPfSD_PS3_PT2_iSC_SC_,"axG",@progbits,_Z39paged_attention_ll4mi_QKV_mfma16_kernelIDF16_DF16_LN4vllm18Fp8KVCacheDataTypeE0EhLi16ELi64ELi256ELb0ELi3EL8MFMAType0EEvPKT_PKT0_S8_ifPKiSA_SA_iPKfiiiPfSD_PS3_PT2_iSC_SC_,comdat
	.protected	_Z39paged_attention_ll4mi_QKV_mfma16_kernelIDF16_DF16_LN4vllm18Fp8KVCacheDataTypeE0EhLi16ELi64ELi256ELb0ELi3EL8MFMAType0EEvPKT_PKT0_S8_ifPKiSA_SA_iPKfiiiPfSD_PS3_PT2_iSC_SC_ ; -- Begin function _Z39paged_attention_ll4mi_QKV_mfma16_kernelIDF16_DF16_LN4vllm18Fp8KVCacheDataTypeE0EhLi16ELi64ELi256ELb0ELi3EL8MFMAType0EEvPKT_PKT0_S8_ifPKiSA_SA_iPKfiiiPfSD_PS3_PT2_iSC_SC_
	.globl	_Z39paged_attention_ll4mi_QKV_mfma16_kernelIDF16_DF16_LN4vllm18Fp8KVCacheDataTypeE0EhLi16ELi64ELi256ELb0ELi3EL8MFMAType0EEvPKT_PKT0_S8_ifPKiSA_SA_iPKfiiiPfSD_PS3_PT2_iSC_SC_
	.p2align	8
	.type	_Z39paged_attention_ll4mi_QKV_mfma16_kernelIDF16_DF16_LN4vllm18Fp8KVCacheDataTypeE0EhLi16ELi64ELi256ELb0ELi3EL8MFMAType0EEvPKT_PKT0_S8_ifPKiSA_SA_iPKfiiiPfSD_PS3_PT2_iSC_SC_,@function
_Z39paged_attention_ll4mi_QKV_mfma16_kernelIDF16_DF16_LN4vllm18Fp8KVCacheDataTypeE0EhLi16ELi64ELi256ELb0ELi3EL8MFMAType0EEvPKT_PKT0_S8_ifPKiSA_SA_iPKfiiiPfSD_PS3_PT2_iSC_SC_: ; @_Z39paged_attention_ll4mi_QKV_mfma16_kernelIDF16_DF16_LN4vllm18Fp8KVCacheDataTypeE0EhLi16ELi64ELi256ELb0ELi3EL8MFMAType0EEvPKT_PKT0_S8_ifPKiSA_SA_iPKfiiiPfSD_PS3_PT2_iSC_SC_
; %bb.0:
	s_load_b64 s[2:3], s[0:1], 0x30
	s_mov_b32 s34, s13
	s_waitcnt lgkmcnt(0)
	s_cmp_lg_u64 s[2:3], 0
	s_cselect_b32 s8, -1, 0
	s_ashr_i32 s35, s13, 31
	s_cmp_eq_u64 s[2:3], 0
	s_cbranch_scc1 .LBB56_3
; %bb.1:
	s_lshl_b64 s[4:5], s[34:35], 2
	s_delay_alu instid0(SALU_CYCLE_1) | instskip(SKIP_4) | instid1(SALU_CYCLE_1)
	s_add_u32 s4, s2, s4
	s_addc_u32 s5, s3, s5
	s_load_b64 s[4:5], s[4:5], 0x0
	s_waitcnt lgkmcnt(0)
	s_sub_i32 s4, s5, s4
	s_cmp_eq_u32 s4, 1
	s_cselect_b32 s4, -1, 0
	s_delay_alu instid0(SALU_CYCLE_1)
	s_and_not1_b32 vcc_lo, exec_lo, s4
	s_cbranch_vccz .LBB56_4
.LBB56_2:
	s_nop 0
	s_sendmsg sendmsg(MSG_DEALLOC_VGPRS)
	s_endpgm
.LBB56_3:
.LBB56_4:
	s_load_b64 s[4:5], s[0:1], 0x28
	s_lshl_b64 s[6:7], s[34:35], 2
	s_waitcnt lgkmcnt(0)
	s_add_u32 s4, s4, s6
	s_addc_u32 s5, s5, s7
	s_lshl_b32 s31, s14, 8
	s_load_b32 s30, s[4:5], 0x0
	s_waitcnt lgkmcnt(0)
	s_cmp_ge_i32 s31, s30
	s_cbranch_scc1 .LBB56_2
; %bb.5:
	s_clause 0x1
	s_load_b128 s[20:23], s[0:1], 0x8
	s_load_b64 s[4:5], s[0:1], 0x20
	s_and_not1_b32 vcc_lo, exec_lo, s8
	s_cbranch_vccnz .LBB56_7
; %bb.6:
	s_add_u32 s2, s2, s6
	s_addc_u32 s3, s3, s7
	s_load_b32 s3, s[2:3], 0x0
	s_branch .LBB56_8
.LBB56_7:
	s_mov_b32 s3, s34
.LBB56_8:
	s_load_b128 s[16:19], s[0:1], 0x48
	v_lshrrev_b32_e32 v149, 5, v0
	v_bfe_u32 v146, v0, 4, 1
	v_and_b32_e32 v148, 15, v0
	v_and_b32_e32 v150, 31, v0
	;; [unrolled: 1-line block ×3, first 2 shown]
	s_mul_i32 s33, s15, 3
	v_lshl_or_b32 v1, v149, 1, v146
	v_lshlrev_b32_e32 v2, 3, v148
	v_cmp_gt_u32_e64 s2, 8, v148
	s_delay_alu instid0(VALU_DEP_3) | instskip(NEXT) | instid1(VALU_DEP_3)
	v_cmp_gt_u32_e32 vcc_lo, 3, v1
	v_lshlrev_b32_e32 v145, 1, v2
	s_delay_alu instid0(VALU_DEP_3) | instskip(NEXT) | instid1(SALU_CYCLE_1)
	s_and_b32 s7, s2, vcc_lo
	s_and_saveexec_b32 s6, s7
	s_cbranch_execz .LBB56_10
; %bb.9:
	s_load_b64 s[8:9], s[0:1], 0x0
	v_add_lshl_u32 v2, v1, s33, 6
	s_waitcnt lgkmcnt(0)
	s_mul_hi_i32 s11, s3, s16
	s_mul_i32 s10, s3, s16
	v_lshlrev_b32_e32 v6, 10, v148
	s_lshl_b64 s[10:11], s[10:11], 1
	v_ashrrev_i32_e32 v3, 31, v2
	v_lshlrev_b32_e32 v1, 6, v1
	v_lshlrev_b32_e32 v7, 10, v147
	v_and_b32_e32 v6, 0x3800, v6
	s_delay_alu instid0(VALU_DEP_4) | instskip(NEXT) | instid1(VALU_DEP_2)
	v_lshlrev_b64 v[2:3], 1, v[2:3]
	v_or3_b32 v1, v6, v7, v1
	s_add_u32 s3, s8, s10
	s_addc_u32 s7, s9, s11
	s_delay_alu instid0(VALU_DEP_2) | instskip(NEXT) | instid1(VALU_DEP_3)
	v_add_co_u32 v2, vcc_lo, s3, v2
	v_add_co_ci_u32_e32 v3, vcc_lo, s7, v3, vcc_lo
	s_delay_alu instid0(VALU_DEP_2) | instskip(NEXT) | instid1(VALU_DEP_2)
	v_add_co_u32 v2, vcc_lo, v2, v145
	v_add_co_ci_u32_e32 v3, vcc_lo, 0, v3, vcc_lo
	global_load_b128 v[2:5], v[2:3], off
	s_waitcnt vmcnt(0)
	ds_store_b128 v1, v[2:5]
.LBB56_10:
	s_or_b32 exec_lo, exec_lo, s6
	v_and_b32_e32 v1, 0xef, v0
	s_waitcnt lgkmcnt(0)
	s_add_i32 s3, s30, 15
	s_clause 0x1
	s_load_b32 s6, s[0:1], 0x38
	s_load_b32 s35, s[0:1], 0x98
	s_ashr_i32 s7, s3, 31
	v_add_nc_u32_e32 v1, s31, v1
	s_lshr_b32 s7, s7, 28
	s_load_b32 s36, s[0:1], 0x1c
	s_add_i32 s3, s3, s7
	s_waitcnt lgkmcnt(0)
	v_ashrrev_i32_e32 v2, 31, v1
	v_or_b32_e32 v3, 16, v1
	s_ashr_i32 s3, s3, 4
	v_cmp_gt_i32_e32 vcc_lo, s30, v1
	s_add_i32 s3, s3, -1
	v_lshrrev_b32_e32 v2, 28, v2
	s_barrier
	buffer_gl0_inv
	v_add_nc_u32_e32 v4, v1, v2
	s_mul_i32 s6, s34, s6
	s_delay_alu instid0(SALU_CYCLE_1) | instskip(NEXT) | instid1(VALU_DEP_1)
	s_ashr_i32 s7, s6, 31
	v_ashrrev_i32_e32 v4, 4, v4
	v_add_nc_u32_e32 v2, v3, v2
	s_lshl_b64 s[6:7], s[6:7], 2
	s_delay_alu instid0(SALU_CYCLE_1) | instskip(NEXT) | instid1(VALU_DEP_2)
	s_add_u32 s16, s4, s6
	v_cndmask_b32_e32 v1, s3, v4, vcc_lo
	s_delay_alu instid0(VALU_DEP_2) | instskip(SKIP_3) | instid1(SALU_CYCLE_1)
	v_ashrrev_i32_e32 v2, 4, v2
	v_cmp_gt_i32_e32 vcc_lo, s30, v3
	s_addc_u32 s37, s5, s7
	s_mul_i32 s4, s15, s18
	s_ashr_i32 s5, s4, 31
	v_cndmask_b32_e32 v3, s3, v2, vcc_lo
	v_ashrrev_i32_e32 v2, 31, v1
	s_lshl_b64 s[12:13], s[4:5], 1
	s_delay_alu instid0(SALU_CYCLE_1) | instskip(NEXT) | instid1(VALU_DEP_2)
	s_add_u32 s26, s20, s12
	v_ashrrev_i32_e32 v4, 31, v3
	s_delay_alu instid0(VALU_DEP_2) | instskip(SKIP_2) | instid1(VALU_DEP_2)
	v_lshlrev_b64 v[1:2], 2, v[1:2]
	s_addc_u32 s27, s21, s13
	s_lshl_b32 s4, s14, 4
	v_lshlrev_b64 v[3:4], 2, v[3:4]
	s_ashr_i32 s5, s4, 31
	s_delay_alu instid0(VALU_DEP_2) | instskip(SKIP_1) | instid1(VALU_DEP_3)
	v_add_co_u32 v1, vcc_lo, s16, v1
	v_add_co_ci_u32_e32 v2, vcc_lo, s37, v2, vcc_lo
	v_add_co_u32 v3, vcc_lo, s16, v3
	s_delay_alu instid0(VALU_DEP_4)
	v_add_co_ci_u32_e32 v4, vcc_lo, s37, v4, vcc_lo
	s_clause 0x1
	global_load_b32 v5, v[1:2], off
	global_load_b32 v6, v[3:4], off
	s_lshl_b64 s[4:5], s[4:5], 2
	v_lshlrev_b32_e32 v3, 4, v0
	s_add_u32 s4, s16, s4
	s_addc_u32 s5, s37, s5
	s_or_b32 s6, s31, 16
	s_delay_alu instid0(SALU_CYCLE_1) | instskip(SKIP_2) | instid1(SALU_CYCLE_1)
	s_ashr_i32 s7, s6, 4
	s_cmp_lt_i32 s6, s30
	s_cselect_b32 s6, s7, s3
	s_ashr_i32 s7, s6, 31
	s_delay_alu instid0(SALU_CYCLE_1) | instskip(NEXT) | instid1(SALU_CYCLE_1)
	s_lshl_b64 s[6:7], s[6:7], 2
	s_add_u32 s6, s16, s6
	s_addc_u32 s7, s37, s7
	s_or_b32 s8, s31, 32
	s_delay_alu instid0(SALU_CYCLE_1) | instskip(SKIP_2) | instid1(SALU_CYCLE_1)
	s_ashr_i32 s9, s8, 4
	s_cmp_lt_i32 s8, s30
	s_cselect_b32 s8, s9, s3
	s_ashr_i32 s9, s8, 31
	s_delay_alu instid0(SALU_CYCLE_1) | instskip(NEXT) | instid1(SALU_CYCLE_1)
	s_lshl_b64 s[8:9], s[8:9], 2
	;; [unrolled: 10-line block ×5, first 2 shown]
	s_add_u32 s24, s16, s18
	s_addc_u32 s25, s37, s19
	s_clause 0x5
	s_load_b32 s38, s[4:5], 0x0
	s_load_b32 s29, s[6:7], 0x0
	;; [unrolled: 1-line block ×6, first 2 shown]
	s_waitcnt vmcnt(1)
	v_mad_i64_i32 v[1:2], null, v5, s17, 0
	v_and_b32_e32 v5, 0xf0, v3
	s_waitcnt vmcnt(0)
	v_mad_i64_i32 v[3:4], null, v6, s17, 0
	s_delay_alu instid0(VALU_DEP_2) | instskip(NEXT) | instid1(VALU_DEP_4)
	v_add_co_u32 v7, s4, s26, v5
	v_lshlrev_b64 v[1:2], 1, v[1:2]
	v_add_co_ci_u32_e64 v8, null, s27, 0, s4
	s_delay_alu instid0(VALU_DEP_4) | instskip(SKIP_1) | instid1(VALU_DEP_3)
	v_lshlrev_b64 v[5:6], 1, v[3:4]
	s_or_b32 s4, s31, 0x60
	v_add_co_u32 v3, vcc_lo, v7, v1
	s_delay_alu instid0(VALU_DEP_3) | instskip(NEXT) | instid1(VALU_DEP_3)
	v_add_co_ci_u32_e32 v4, vcc_lo, v8, v2, vcc_lo
	v_add_co_u32 v1, vcc_lo, v7, v5
	s_delay_alu instid0(VALU_DEP_4)
	v_add_co_ci_u32_e32 v2, vcc_lo, v8, v6, vcc_lo
	s_clause 0x9
	global_load_b128 v[9:12], v[3:4], off
	global_load_b128 v[13:16], v[3:4], off offset:256
	global_load_b128 v[129:132], v[1:2], off
	global_load_b128 v[133:136], v[1:2], off offset:256
	global_load_b128 v[41:44], v[3:4], off offset:512
	;; [unrolled: 1-line block ×7, first 2 shown]
	v_mul_lo_u16 v5, 0x56, v148
	s_clause 0x1
	global_load_b128 v[151:154], v[1:2], off offset:1024
	global_load_b128 v[155:158], v[1:2], off offset:1280
	s_ashr_i32 s5, s4, 4
	s_cmp_lt_i32 s4, s30
	v_lshlrev_b32_e32 v6, 5, v148
	v_lshrrev_b16 v5, 8, v5
	s_cselect_b32 s4, s5, s3
	s_delay_alu instid0(SALU_CYCLE_1) | instskip(NEXT) | instid1(VALU_DEP_2)
	s_ashr_i32 s5, s4, 31
	v_lshl_or_b32 v6, v149, 9, v6
	s_delay_alu instid0(VALU_DEP_2) | instskip(SKIP_1) | instid1(SALU_CYCLE_1)
	v_mul_lo_u16 v5, v5, 3
	s_lshl_b64 s[4:5], s[4:5], 2
	s_add_u32 s20, s16, s4
	s_addc_u32 s21, s37, s5
	s_delay_alu instid0(VALU_DEP_1) | instskip(SKIP_1) | instid1(SALU_CYCLE_1)
	v_sub_nc_u16 v5, v148, v5
	s_or_b32 s4, s31, 0x70
	s_ashr_i32 s5, s4, 4
	s_cmp_lt_i32 s4, s30
	s_delay_alu instid0(VALU_DEP_1) | instskip(SKIP_1) | instid1(SALU_CYCLE_1)
	v_and_b32_e32 v5, 0xff, v5
	s_cselect_b32 s4, s5, s3
	s_ashr_i32 s5, s4, 31
	s_delay_alu instid0(VALU_DEP_1)
	v_lshlrev_b32_e32 v197, 6, v5
	ds_load_b128 v[159:162], v197
	ds_load_b128 v[163:166], v197 offset:1024
	s_clause 0x3
	global_load_b128 v[167:170], v[3:4], off offset:1536
	global_load_b128 v[171:174], v[3:4], off offset:1792
	;; [unrolled: 1-line block ×4, first 2 shown]
	s_lshl_b64 s[6:7], s[4:5], 2
	s_mov_b32 s4, 0
	s_add_u32 s24, s16, s6
	s_addc_u32 s25, s37, s7
	s_or_b32 s5, s31, 0x80
	s_mov_b32 s11, s4
	s_ashr_i32 s6, s5, 4
	s_cmp_lt_i32 s5, s30
	s_mov_b32 s5, s4
	s_cselect_b32 s8, s6, s3
	s_mov_b32 s6, s4
	s_ashr_i32 s9, s8, 31
	s_mov_b32 s7, s4
	s_lshl_b64 s[8:9], s[8:9], 2
	s_clause 0x1
	s_load_b32 s45, s[20:21], 0x0
	s_load_b32 s46, s[24:25], 0x0
	s_add_u32 s26, s16, s8
	s_addc_u32 s27, s37, s9
	s_or_b32 s9, s31, 0x90
	s_mov_b32 s8, s4
	s_ashr_i32 s10, s9, 4
	s_cmp_lt_i32 s9, s30
	s_mov_b32 s9, s4
	s_cselect_b32 s40, s10, s3
	s_mov_b32 s10, s4
	s_ashr_i32 s41, s40, 31
	v_mov_b32_e32 v144, s11
	s_lshl_b64 s[40:41], s[40:41], 2
	v_mov_b32_e32 v143, s10
	s_add_u32 s40, s16, s40
	s_addc_u32 s41, s37, s41
	s_or_b32 s39, s31, 0xa0
	s_load_b32 s41, s[40:41], 0x0
	s_ashr_i32 s42, s39, 4
	s_cmp_lt_i32 s39, s30
	v_mov_b32_e32 v142, s9
	s_cselect_b32 s42, s42, s3
	v_mov_b32_e32 v141, s8
	s_ashr_i32 s43, s42, 31
	v_dual_mov_b32 v140, s7 :: v_dual_mov_b32 v139, s6
	v_dual_mov_b32 v138, s5 :: v_dual_mov_b32 v137, s4
	s_lshl_b64 s[4:5], s[42:43], 2
	s_waitcnt lgkmcnt(0)
	s_mul_hi_i32 s7, s29, s17
	s_add_u32 s42, s16, s4
	s_addc_u32 s43, s37, s5
	s_or_b32 s4, s31, 0xb0
	s_mul_hi_i32 s5, s38, s17
	s_ashr_i32 s6, s4, 4
	s_cmp_lt_i32 s4, s30
	s_mul_i32 s4, s38, s17
	s_cselect_b32 s8, s6, s3
	s_mul_i32 s6, s29, s17
	s_ashr_i32 s9, s8, 31
	s_load_b32 s40, s[42:43], 0x0
	s_lshl_b64 s[8:9], s[8:9], 2
	s_mul_hi_i32 s21, s15, s17
	s_add_u32 s38, s16, s8
	s_addc_u32 s39, s37, s9
	s_or_b32 s8, s31, 0xc0
	s_mul_hi_i32 s9, s28, s17
	s_ashr_i32 s10, s8, 4
	s_cmp_lt_i32 s8, s30
	s_mul_i32 s8, s28, s17
	s_cselect_b32 s28, s10, s3
	s_mul_hi_i32 s11, s19, s17
	s_ashr_i32 s29, s28, 31
	s_mul_i32 s10, s19, s17
	s_lshl_b64 s[28:29], s[28:29], 2
	s_mul_hi_i32 s19, s18, s17
	s_add_u32 s28, s16, s28
	s_addc_u32 s29, s37, s29
	s_or_b32 s44, s31, 0xd0
	s_mul_i32 s18, s18, s17
	s_ashr_i32 s20, s44, 4
	s_cmp_lt_i32 s44, s30
	s_load_b32 s44, s[26:27], 0x0
	s_cselect_b32 s24, s20, s3
	s_mul_i32 s20, s15, s17
	s_ashr_i32 s25, s24, 31
	s_mul_hi_i32 s27, s46, s17
	s_lshl_b64 s[24:25], s[24:25], 2
	s_mul_i32 s26, s46, s17
	s_add_u32 s24, s16, s24
	s_addc_u32 s25, s37, s25
	s_or_b32 s42, s31, 0xe0
	s_clause 0x2
	s_load_b32 s39, s[38:39], 0x0
	s_load_b32 s38, s[28:29], 0x0
	;; [unrolled: 1-line block ×3, first 2 shown]
	s_ashr_i32 s47, s42, 4
	s_cmp_lt_i32 s42, s30
	s_mul_hi_i32 s25, s45, s17
	s_mul_i32 s24, s45, s17
	s_mul_hi_i32 s43, s41, s17
	s_mul_i32 s42, s41, s17
	s_waitcnt lgkmcnt(0)
	s_mul_hi_i32 s41, s40, s17
	s_mul_i32 s40, s40, s17
	s_mul_hi_i32 s29, s44, s17
	s_mul_i32 s28, s44, s17
	s_cselect_b32 s44, s47, s3
	s_delay_alu instid0(SALU_CYCLE_1) | instskip(NEXT) | instid1(SALU_CYCLE_1)
	s_ashr_i32 s45, s44, 31
	s_lshl_b64 s[44:45], s[44:45], 2
	s_delay_alu instid0(SALU_CYCLE_1)
	s_add_u32 s44, s16, s44
	s_addc_u32 s45, s37, s45
	s_or_b32 s46, s31, 0xf0
	s_mul_hi_i32 s51, s15, s17
	s_ashr_i32 s48, s46, 4
	s_cmp_lt_i32 s46, s30
	s_mul_i32 s50, s15, s17
	s_cselect_b32 s48, s48, s3
	s_mul_hi_i32 s47, s39, s17
	s_ashr_i32 s49, s48, 31
	s_mul_i32 s46, s39, s17
	s_lshl_b64 s[48:49], s[48:49], 2
	s_mul_hi_i32 s39, s38, s17
	s_add_u32 s48, s16, s48
	s_addc_u32 s49, s37, s49
	s_add_u32 s3, s22, s12
	s_addc_u32 s15, s23, s13
	v_add_co_u32 v195, s3, s3, v6
	s_delay_alu instid0(VALU_DEP_1) | instskip(SKIP_2) | instid1(VALU_DEP_2)
	v_add_co_ci_u32_e64 v196, null, s15, 0, s3
	s_lshl_b64 s[4:5], s[4:5], 1
	s_lshl_b64 s[6:7], s[6:7], 1
	v_add_co_u32 v1, vcc_lo, v195, s4
	s_delay_alu instid0(VALU_DEP_2)
	v_add_co_ci_u32_e32 v2, vcc_lo, s5, v196, vcc_lo
	v_add_co_u32 v3, vcc_lo, v195, s6
	s_lshl_b64 s[8:9], s[8:9], 1
	v_add_co_ci_u32_e32 v4, vcc_lo, s7, v196, vcc_lo
	v_add_co_u32 v5, vcc_lo, v195, s8
	s_lshl_b64 s[10:11], s[10:11], 1
	;; [unrolled: 3-line block ×10, first 2 shown]
	s_mul_i32 s38, s38, s17
	v_add_co_ci_u32_e32 v184, vcc_lo, s29, v196, vcc_lo
	v_add_co_u32 v185, vcc_lo, v195, s40
	s_lshl_b64 s[38:39], s[38:39], 1
	s_clause 0x1
	s_load_b32 s3, s[44:45], 0x0
	s_load_b32 s15, s[48:49], 0x0
	v_add_co_ci_u32_e32 v186, vcc_lo, s41, v196, vcc_lo
	v_add_co_u32 v191, vcc_lo, v195, s38
	v_add_co_ci_u32_e32 v192, vcc_lo, s39, v196, vcc_lo
	s_clause 0x17
	global_load_b128 v[121:124], v[1:2], off
	global_load_b128 v[125:128], v[1:2], off offset:16
	global_load_b128 v[113:116], v[3:4], off
	global_load_b128 v[117:120], v[3:4], off offset:16
	;; [unrolled: 2-line block ×12, first 2 shown]
	s_lshl_b64 s[42:43], s[50:51], 1
	s_delay_alu instid0(SALU_CYCLE_1)
	v_add_co_u32 v193, vcc_lo, v195, s42
	v_add_co_ci_u32_e32 v194, vcc_lo, s43, v196, vcc_lo
	s_waitcnt lgkmcnt(0)
	s_mul_hi_i32 s5, s3, s17
	s_mul_i32 s4, s3, s17
	s_mul_hi_i32 s7, s15, s17
	s_lshl_b64 s[4:5], s[4:5], 1
	s_mul_i32 s6, s15, s17
	s_waitcnt vmcnt(38)
	v_wmma_f32_16x16x16_f16 v[183:190], v[9:16], v[159:166], v[137:144]
	s_waitcnt vmcnt(36)
	v_wmma_f32_16x16x16_f16 v[137:144], v[129:136], v[159:166], v[137:144]
	s_clause 0x1
	global_load_b128 v[9:12], v[191:192], off
	global_load_b128 v[13:16], v[191:192], off offset:16
	ds_load_b128 v[129:132], v197 offset:2048
	ds_load_b128 v[133:136], v197 offset:3072
	;; [unrolled: 1-line block ×4, first 2 shown]
	v_add_co_u32 v191, vcc_lo, v195, s4
	v_add_co_ci_u32_e32 v192, vcc_lo, s5, v196, vcc_lo
	s_lshl_b64 s[4:5], s[6:7], 1
	s_delay_alu instid0(SALU_CYCLE_1)
	v_add_co_u32 v195, vcc_lo, v195, s4
	v_add_co_ci_u32_e32 v196, vcc_lo, s5, v196, vcc_lo
	s_waitcnt vmcnt(36) lgkmcnt(2)
	v_wmma_f32_16x16x16_f16 v[183:190], v[41:48], v[129:136], v[183:190]
	s_waitcnt vmcnt(34)
	v_wmma_f32_16x16x16_f16 v[137:144], v[33:40], v[129:136], v[137:144]
	s_clause 0x3
	global_load_b128 v[33:36], v[193:194], off
	global_load_b128 v[37:40], v[193:194], off offset:16
	global_load_b128 v[41:44], v[191:192], off
	global_load_b128 v[45:48], v[191:192], off offset:16
	v_and_b32_e32 v129, 0xe0, v0
	v_mbcnt_lo_u32_b32 v191, -1, 0
	s_waitcnt vmcnt(36) lgkmcnt(0)
	v_wmma_f32_16x16x16_f16 v[183:190], v[17:24], v[159:166], v[183:190]
	s_clause 0x1
	global_load_b128 v[17:20], v[195:196], off
	global_load_b128 v[21:24], v[195:196], off offset:16
	s_waitcnt vmcnt(36)
	v_wmma_f32_16x16x16_f16 v[137:144], v[151:158], v[159:166], v[137:144]
	v_add_nc_u32_e32 v192, s31, v129
	ds_load_b128 v[129:132], v197 offset:6144
	ds_load_b128 v[133:136], v197 offset:7168
	v_xor_b32_e32 v151, 16, v191
	s_waitcnt vmcnt(0) lgkmcnt(0)
	s_barrier
	v_or_b32_e32 v152, v192, v146
	buffer_gl0_inv
	v_cmp_gt_i32_e32 vcc_lo, 32, v151
	v_or_b32_e32 v153, 2, v152
	v_or_b32_e32 v154, 4, v152
	;; [unrolled: 1-line block ×5, first 2 shown]
	v_cmp_gt_i32_e64 s3, s30, v153
	v_cmp_gt_i32_e64 s4, s30, v154
	;; [unrolled: 1-line block ×3, first 2 shown]
	v_or_b32_e32 v158, 12, v152
	v_or_b32_e32 v159, 14, v152
	v_cmp_gt_i32_e64 s6, s30, v156
	v_wmma_f32_16x16x16_f16 v[183:190], v[167:174], v[129:136], v[183:190]
	v_wmma_f32_16x16x16_f16 v[137:144], v[175:182], v[129:136], v[137:144]
	v_cndmask_b32_e32 v151, v191, v151, vcc_lo
	v_cmp_gt_i32_e32 vcc_lo, s30, v152
	v_cmp_gt_i32_e64 s7, s30, v157
	v_dual_mul_f32 v135, s36, v184 :: v_dual_mul_f32 v136, s36, v183
	v_mul_f32_e32 v134, s36, v185
	v_dual_mul_f32 v168, s36, v144 :: v_dual_mul_f32 v133, s36, v186
	s_delay_alu instid0(VALU_DEP_3) | instskip(NEXT) | instid1(VALU_DEP_4)
	v_cndmask_b32_e64 v135, 0xff7fffff, v135, s3
	v_cndmask_b32_e32 v136, 0xff7fffff, v136, vcc_lo
	v_dual_mul_f32 v131, s36, v188 :: v_dual_mul_f32 v174, s36, v138
	v_mul_f32_e32 v132, s36, v187
	v_cndmask_b32_e64 v134, 0xff7fffff, v134, s4
	v_cndmask_b32_e64 v133, 0xff7fffff, v133, s5
	v_max3_f32 v135, v136, 0xff7fffff, v135
	v_or_b32_e32 v160, 16, v152
	v_or_b32_e32 v161, 18, v152
	v_dual_mul_f32 v129, s36, v190 :: v_dual_mul_f32 v172, s36, v140
	v_mul_f32_e32 v130, s36, v189
	v_cndmask_b32_e64 v132, 0xff7fffff, v132, s6
	v_cndmask_b32_e64 v131, 0xff7fffff, v131, s7
	v_max3_f32 v133, v135, v134, v133
	v_cmp_gt_i32_e64 s8, s30, v158
	v_cmp_gt_i32_e64 s9, s30, v159
	v_or_b32_e32 v162, 20, v152
	v_or_b32_e32 v163, 22, v152
	v_mul_f32_e32 v175, s36, v137
	v_cndmask_b32_e64 v130, 0xff7fffff, v130, s8
	v_cndmask_b32_e64 v129, 0xff7fffff, v129, s9
	v_max3_f32 v131, v133, v132, v131
	v_cmp_gt_i32_e64 s10, s30, v160
	v_cmp_gt_i32_e64 s11, s30, v161
	v_or_b32_e32 v164, 24, v152
	v_or_b32_e32 v165, 26, v152
	;; [unrolled: 8-line block ×3, first 2 shown]
	v_dual_mul_f32 v170, s36, v142 :: v_dual_mul_f32 v171, s36, v141
	v_cndmask_b32_e64 v130, 0xff7fffff, v173, s12
	v_cndmask_b32_e64 v131, 0xff7fffff, v172, s13
	v_max3_f32 v129, v129, v132, v133
	v_cmp_gt_i32_e64 s15, s30, v164
	v_cmp_gt_i32_e64 s16, s30, v165
	v_mul_f32_e32 v169, s36, v143
	v_cmp_gt_i32_e64 s17, s30, v166
	v_max3_f32 v129, v129, v130, v131
	v_cndmask_b32_e64 v132, 0xff7fffff, v171, s15
	v_cndmask_b32_e64 v133, 0xff7fffff, v170, s16
	v_cmp_gt_i32_e64 s18, s30, v167
	v_cndmask_b32_e64 v130, 0xff7fffff, v169, s17
	s_delay_alu instid0(VALU_DEP_3) | instskip(NEXT) | instid1(VALU_DEP_3)
	v_max3_f32 v129, v129, v132, v133
	v_cndmask_b32_e64 v131, 0xff7fffff, v168, s18
	v_lshlrev_b32_e32 v132, 2, v151
	s_delay_alu instid0(VALU_DEP_2) | instskip(SKIP_3) | instid1(VALU_DEP_1)
	v_max3_f32 v129, v129, v130, v131
	ds_bpermute_b32 v130, v132, v129
	s_waitcnt lgkmcnt(0)
	v_max_f32_e32 v130, v130, v130
	v_max_f32_e32 v129, v129, v130
	s_delay_alu instid0(VALU_DEP_1)
	v_fma_f32 v134, s36, v186, -v129
	v_fma_f32 v130, s36, v183, -v129
	;; [unrolled: 1-line block ×5, first 2 shown]
	v_mul_f32_e32 v134, 0x3fb8aa3b, v134
	s_delay_alu instid0(VALU_DEP_4) | instskip(SKIP_1) | instid1(VALU_DEP_4)
	v_dual_mul_f32 v130, 0x3fb8aa3b, v130 :: v_dual_mul_f32 v131, 0x3fb8aa3b, v131
	v_fma_f32 v135, s36, v187, -v129
	v_mul_f32_e32 v136, 0x3fb8aa3b, v136
	s_delay_alu instid0(VALU_DEP_4) | instskip(NEXT) | instid1(VALU_DEP_3)
	v_exp_f32_e32 v134, v134
	v_exp_f32_e32 v130, v130
	;; [unrolled: 1-line block ×3, first 2 shown]
	v_mul_f32_e32 v135, 0x3fb8aa3b, v135
	v_exp_f32_e32 v136, v136
	s_delay_alu instid0(VALU_DEP_1) | instskip(SKIP_4) | instid1(TRANS32_DEP_3)
	v_exp_f32_e32 v135, v135
	v_cndmask_b32_e64 v153, 0, v134, s5
	v_fma_f32 v134, s36, v137, -v129
	v_dual_mul_f32 v133, 0x3fb8aa3b, v133 :: v_dual_cndmask_b32 v152, 0, v130
	v_fma_f32 v130, s36, v188, -v129
	v_cndmask_b32_e64 v151, 0, v131, s3
	s_delay_alu instid0(VALU_DEP_4) | instskip(NEXT) | instid1(VALU_DEP_4)
	v_mul_f32_e32 v134, 0x3fb8aa3b, v134
	v_exp_f32_e32 v133, v133
	s_delay_alu instid0(VALU_DEP_3) | instskip(SKIP_3) | instid1(VALU_DEP_4)
	v_dual_add_f32 v131, 0, v152 :: v_dual_mul_f32 v130, 0x3fb8aa3b, v130
	v_cndmask_b32_e64 v156, 0, v136, s8
	v_fma_f32 v136, s36, v140, -v129
	v_cndmask_b32_e64 v155, 0, v135, s6
	v_add_f32_e32 v131, v131, v151
	v_exp_f32_e32 v130, v130
	v_fma_f32 v135, s36, v138, -v129
	v_mul_f32_e32 v136, 0x3fb8aa3b, v136
	s_delay_alu instid0(TRANS32_DEP_2)
	v_cndmask_b32_e64 v154, 0, v133, s4
	v_fma_f32 v133, s36, v190, -v129
	v_exp_f32_e32 v134, v134
	v_cmp_gt_u32_e64 s3, 16, v150
	v_exp_f32_e32 v136, v136
	v_add_f32_e32 v131, v131, v154
	s_delay_alu instid0(TRANS32_DEP_3) | instskip(NEXT) | instid1(VALU_DEP_2)
	v_cndmask_b32_e64 v138, 0, v130, s7
	v_add_f32_e32 v131, v131, v153
	s_delay_alu instid0(VALU_DEP_1) | instskip(NEXT) | instid1(VALU_DEP_1)
	v_dual_mul_f32 v133, 0x3fb8aa3b, v133 :: v_dual_add_f32 v130, v131, v155
	v_exp_f32_e32 v133, v133
	v_fma_f32 v131, s36, v139, -v129
	s_delay_alu instid0(VALU_DEP_2) | instskip(NEXT) | instid1(VALU_DEP_1)
	v_add_f32_e32 v130, v130, v138
	v_add_f32_e32 v130, v130, v156
	s_waitcnt_depctr 0xfff
	v_cndmask_b32_e64 v139, 0, v133, s9
	v_fma_f32 v133, s36, v141, -v129
	v_cndmask_b32_e64 v141, 0, v134, s10
	v_fma_f32 v134, s36, v142, -v129
	v_cndmask_b32_e64 v142, 0, v136, s13
	v_add_f32_e32 v130, v130, v139
	s_delay_alu instid0(VALU_DEP_3) | instskip(NEXT) | instid1(VALU_DEP_2)
	v_dual_mul_f32 v135, 0x3fb8aa3b, v135 :: v_dual_mul_f32 v134, 0x3fb8aa3b, v134
	v_add_f32_e32 v130, v130, v141
	s_delay_alu instid0(VALU_DEP_2) | instskip(NEXT) | instid1(VALU_DEP_2)
	v_exp_f32_e32 v135, v135
	v_exp_f32_e32 v134, v134
	s_waitcnt_depctr 0xfff
	v_cndmask_b32_e64 v140, 0, v135, s11
	v_mul_f32_e32 v131, 0x3fb8aa3b, v131
	v_fma_f32 v135, s36, v143, -v129
	s_delay_alu instid0(VALU_DEP_3) | instskip(NEXT) | instid1(VALU_DEP_3)
	v_add_f32_e32 v130, v130, v140
	v_exp_f32_e32 v131, v131
	s_waitcnt_depctr 0xfff
	v_cndmask_b32_e64 v143, 0, v131, s12
	s_delay_alu instid0(VALU_DEP_1) | instskip(NEXT) | instid1(VALU_DEP_1)
	v_dual_mul_f32 v133, 0x3fb8aa3b, v133 :: v_dual_add_f32 v130, v130, v143
	v_exp_f32_e32 v133, v133
	v_mul_f32_e32 v131, 0x3fb8aa3b, v135
	v_fma_f32 v135, s36, v144, -v129
	v_cndmask_b32_e64 v144, 0, v134, s16
	v_add_f32_e32 v130, v130, v142
	s_delay_alu instid0(VALU_DEP_4) | instskip(SKIP_2) | instid1(VALU_DEP_1)
	v_exp_f32_e32 v131, v131
	s_waitcnt_depctr 0xfff
	v_cndmask_b32_e64 v157, 0, v133, s15
	v_dual_mul_f32 v133, 0x3fb8aa3b, v135 :: v_dual_add_f32 v130, v130, v157
	s_delay_alu instid0(VALU_DEP_1) | instskip(SKIP_1) | instid1(VALU_DEP_2)
	v_exp_f32_e32 v133, v133
	v_cndmask_b32_e64 v159, 0, v131, s17
	v_add_f32_e32 v130, v130, v144
	s_delay_alu instid0(VALU_DEP_1) | instskip(SKIP_2) | instid1(VALU_DEP_1)
	v_add_f32_e32 v130, v130, v159
	s_waitcnt_depctr 0xfff
	v_cndmask_b32_e64 v158, 0, v133, s18
	v_add_f32_e32 v130, v130, v158
	ds_bpermute_b32 v131, v132, v130
	s_and_saveexec_b32 s4, s3
	s_cbranch_execz .LBB56_12
; %bb.11:
	v_mul_u32_u24_e32 v132, 0x44, v149
	s_delay_alu instid0(VALU_DEP_1) | instskip(SKIP_1) | instid1(VALU_DEP_1)
	v_lshl_add_u32 v132, v148, 2, v132
	s_waitcnt lgkmcnt(0)
	v_dual_add_f32 v130, v130, v131 :: v_dual_add_nc_u32 v131, 0x4000, v132
	ds_store_2addr_b32 v131, v129, v130 offset1:136
.LBB56_12:
	s_or_b32 exec_lo, exec_lo, s4
	v_lshlrev_b32_e32 v129, 2, v148
	s_load_b32 s36, s[0:1], 0x94
	s_waitcnt lgkmcnt(0)
	s_barrier
	buffer_gl0_inv
	v_add_nc_u32_e32 v135, 0x4000, v129
	v_cmp_eq_u32_e32 vcc_lo, 1, v149
	v_cmp_eq_u32_e64 s4, 2, v149
	v_cmp_eq_u32_e64 s5, 3, v149
	;; [unrolled: 1-line block ×3, first 2 shown]
	ds_load_2addr_b32 v[129:130], v135 offset1:17
	ds_load_2addr_b32 v[131:132], v135 offset0:34 offset1:51
	ds_load_2addr_b32 v[133:134], v135 offset0:68 offset1:85
	;; [unrolled: 1-line block ×3, first 2 shown]
	v_cmp_eq_u32_e64 s7, 5, v149
	v_cmp_eq_u32_e64 s8, 7, v149
	s_waitcnt lgkmcnt(3)
	v_max3_f32 v136, v129, 0xff7fffff, v130
	s_waitcnt lgkmcnt(2)
	s_delay_alu instid0(VALU_DEP_1) | instskip(SKIP_1) | instid1(VALU_DEP_1)
	v_max3_f32 v136, v136, v131, v132
	s_waitcnt lgkmcnt(1)
	v_max3_f32 v136, v136, v133, v134
	s_waitcnt lgkmcnt(0)
	s_delay_alu instid0(VALU_DEP_1) | instskip(NEXT) | instid1(VALU_DEP_1)
	v_max3_f32 v136, v136, v160, v161
	v_sub_f32_e32 v164, v132, v136
	ds_load_2addr_b32 v[162:163], v135 offset0:136 offset1:153
	v_sub_f32_e32 v129, v129, v136
	v_sub_f32_e32 v137, v130, v136
	;; [unrolled: 1-line block ×3, first 2 shown]
	v_mul_f32_e32 v164, 0x3fb8aa3b, v164
	s_delay_alu instid0(VALU_DEP_4) | instskip(NEXT) | instid1(VALU_DEP_4)
	v_mul_f32_e32 v150, 0x3fb8aa3b, v129
	v_mul_f32_e32 v137, 0x3fb8aa3b, v137
	ds_load_2addr_b32 v[129:130], v135 offset0:170 offset1:187
	v_mul_f32_e32 v167, 0x3fb8aa3b, v133
	v_exp_f32_e32 v164, v164
	v_exp_f32_e32 v150, v150
	;; [unrolled: 1-line block ×3, first 2 shown]
	v_sub_f32_e32 v131, v131, v136
	s_delay_alu instid0(VALU_DEP_1)
	v_mul_f32_e32 v165, 0x3fb8aa3b, v131
	ds_load_2addr_b32 v[131:132], v135 offset0:204 offset1:221
	s_waitcnt lgkmcnt(2)
	v_fma_f32 v137, v150, v162, 0
	v_sub_f32_e32 v162, v134, v136
	v_exp_f32_e32 v165, v165
	ds_load_2addr_b32 v[133:134], v135 offset0:238 offset1:255
	v_sub_f32_e32 v135, v160, v136
	v_dual_fmac_f32 v137, v166, v163 :: v_dual_mul_f32 v160, 0x3fb8aa3b, v162
	v_exp_f32_e32 v162, v167
	s_waitcnt lgkmcnt(0)
	s_delay_alu instid0(VALU_DEP_2)
	v_mul_f32_e32 v135, 0x3fb8aa3b, v135
	s_barrier
	v_exp_f32_e32 v160, v160
	v_fmac_f32_e32 v137, v165, v129
	v_sub_f32_e32 v129, v161, v136
	v_exp_f32_e32 v161, v135
	buffer_gl0_inv
	v_fmac_f32_e32 v137, v164, v130
	v_dual_mul_f32 v129, 0x3fb8aa3b, v129 :: v_dual_cndmask_b32 v130, v150, v166
	s_delay_alu instid0(VALU_DEP_2) | instskip(NEXT) | instid1(VALU_DEP_2)
	v_fmac_f32_e32 v137, v162, v131
	v_exp_f32_e32 v163, v129
	s_delay_alu instid0(VALU_DEP_1) | instskip(NEXT) | instid1(VALU_DEP_1)
	v_fmac_f32_e32 v137, v160, v132
	v_fmac_f32_e32 v137, v161, v133
	v_lshlrev_b32_e32 v133, 6, v148
	s_waitcnt_depctr 0xfff
	v_fmac_f32_e32 v137, v163, v134
	v_lshl_or_b32 v135, v149, 11, v133
	s_delay_alu instid0(VALU_DEP_2) | instskip(NEXT) | instid1(VALU_DEP_1)
	v_add_f32_e32 v134, 0x358637bd, v137
	v_div_scale_f32 v167, null, v134, v134, 1.0
	v_div_scale_f32 v150, vcc_lo, 1.0, v134, 1.0
	s_delay_alu instid0(VALU_DEP_2) | instskip(SKIP_2) | instid1(VALU_DEP_1)
	v_rcp_f32_e32 v168, v167
	s_waitcnt_depctr 0xfff
	v_fma_f32 v129, -v167, v168, 1.0
	v_fmac_f32_e32 v168, v129, v168
	v_cndmask_b32_e64 v129, v130, v165, s4
	v_cmp_eq_u32_e64 s4, 6, v149
	s_delay_alu instid0(VALU_DEP_3) | instskip(NEXT) | instid1(VALU_DEP_3)
	v_mul_f32_e32 v165, v150, v168
	v_cndmask_b32_e64 v130, v129, v164, s5
	v_lshlrev_b32_e32 v129, 2, v146
	s_delay_alu instid0(VALU_DEP_3) | instskip(NEXT) | instid1(VALU_DEP_3)
	v_fma_f32 v131, -v167, v165, v150
	v_cndmask_b32_e64 v162, v130, v162, s6
	s_delay_alu instid0(VALU_DEP_3)
	v_or_b32_e32 v130, 1, v129
	v_or_b32_e32 v132, 2, v129
	v_cmp_eq_u32_e64 s5, 1, v129
	v_fmac_f32_e32 v165, v131, v168
	v_cndmask_b32_e64 v149, v162, v160, s7
	v_or_b32_e32 v131, 3, v129
	v_cmp_eq_u32_e64 s10, 1, v130
	v_cmp_eq_u32_e64 s11, 1, v132
	v_fma_f32 v150, -v167, v165, v150
	v_cndmask_b32_e64 v149, v149, v161, s4
	v_cmp_eq_u32_e64 s12, 1, v131
	v_cmp_eq_u32_e64 s6, 2, v129
	;; [unrolled: 1-line block ×3, first 2 shown]
	v_div_fmas_f32 v150, v150, v168, v165
	v_cndmask_b32_e64 v149, v149, v163, s8
	v_cmp_eq_u32_e64 s16, 2, v132
	v_cmp_eq_u32_e64 s17, 2, v131
	v_cmp_eq_u32_e32 vcc_lo, 3, v129
	v_div_fixup_f32 v150, v150, v134, 1.0
	v_lshl_or_b32 v134, v146, 4, v135
	v_cmp_eq_u32_e64 s15, 3, v130
	v_cmp_eq_u32_e64 s19, 3, v131
	;; [unrolled: 1-line block ×3, first 2 shown]
	v_mul_f32_e32 v149, v149, v150
	v_cmp_eq_u32_e64 s18, 3, v132
	v_cmp_eq_u32_e64 s20, 4, v130
	;; [unrolled: 1-line block ×4, first 2 shown]
	v_fma_mixlo_f16 v160, v149, v152, 0
	v_fma_mixlo_f16 v161, v149, v154, 0
	;; [unrolled: 1-line block ×8, first 2 shown]
	v_fma_mixhi_f16 v160, v149, v151, 0
	v_fma_mixhi_f16 v161, v149, v153, 0
	;; [unrolled: 1-line block ×8, first 2 shown]
	ds_store_b128 v134, v[160:163]
	ds_store_b128 v134, v[154:157] offset:1024
	s_waitcnt lgkmcnt(0)
	s_barrier
	buffer_gl0_inv
	ds_load_b128 v[138:141], v135
	ds_load_b128 v[149:152], v135 offset:16
	ds_load_b128 v[153:156], v135 offset:1024
	;; [unrolled: 1-line block ×3, first 2 shown]
	v_cmp_eq_u32_e64 s21, 5, v130
	v_cmp_eq_u32_e64 s22, 4, v132
	;; [unrolled: 1-line block ×12, first 2 shown]
	s_waitcnt lgkmcnt(3)
	v_lshrrev_b32_e32 v142, 16, v138
	s_waitcnt lgkmcnt(2)
	v_lshrrev_b32_e32 v162, 16, v149
	;; [unrolled: 2-line block ×4, first 2 shown]
	v_lshrrev_b32_e32 v143, 16, v139
	v_cndmask_b32_e64 v174, v138, v142, s5
	v_cndmask_b32_e64 v175, v149, v162, s5
	v_cndmask_b32_e64 v176, v138, v142, s10
	v_cndmask_b32_e64 v177, v149, v162, s10
	v_cndmask_b32_e64 v178, v138, v142, s11
	v_cndmask_b32_e64 v138, v138, v142, s12
	v_cndmask_b32_e64 v142, v149, v162, s12
	v_lshrrev_b32_e32 v163, 16, v150
	v_cndmask_b32_e64 v179, v149, v162, s11
	v_cndmask_b32_e64 v149, v153, v166, s5
	;; [unrolled: 1-line block ×16, first 2 shown]
	v_lshrrev_b32_e32 v167, 16, v154
	v_lshrrev_b32_e32 v171, 16, v158
	v_cndmask_b32_e64 v177, v179, v150, s16
	v_cndmask_b32_e64 v142, v149, v154, s6
	;; [unrolled: 1-line block ×7, first 2 shown]
	v_cndmask_b32_e32 v157, v166, v143, vcc_lo
	v_cndmask_b32_e32 v166, v170, v163, vcc_lo
	v_cndmask_b32_e64 v170, v174, v143, s15
	v_cndmask_b32_e64 v174, v175, v163, s15
	;; [unrolled: 1-line block ×4, first 2 shown]
	v_lshrrev_b32_e32 v144, 16, v140
	v_lshrrev_b32_e32 v164, 16, v151
	v_cndmask_b32_e64 v175, v176, v143, s18
	v_cndmask_b32_e64 v176, v177, v163, s18
	v_cndmask_b32_e32 v142, v142, v167, vcc_lo
	v_cndmask_b32_e32 v143, v149, v171, vcc_lo
	v_cndmask_b32_e64 v149, v150, v167, s15
	v_cndmask_b32_e64 v150, v157, v140, s4
	v_cndmask_b32_e64 v157, v166, v151, s4
	v_cndmask_b32_e64 v163, v170, v140, s20
	v_cndmask_b32_e64 v166, v174, v151, s20
	v_cndmask_b32_e64 v138, v138, v140, s23
	v_cndmask_b32_e64 v139, v139, v151, s23
	v_lshrrev_b32_e32 v168, 16, v155
	v_cndmask_b32_e64 v170, v175, v140, s22
	v_cndmask_b32_e64 v174, v176, v151, s22
	;; [unrolled: 1-line block ×11, first 2 shown]
	v_lshrrev_b32_e32 v161, 16, v141
	v_lshrrev_b32_e32 v165, 16, v152
	v_cndmask_b32_e64 v163, v170, v144, s24
	v_cndmask_b32_e64 v166, v174, v164, s24
	;; [unrolled: 1-line block ×9, first 2 shown]
	v_lshrrev_b32_e32 v169, 16, v156
	v_cndmask_b32_e64 v140, v140, v168, s7
	v_cndmask_b32_e64 v157, v163, v141, s27
	;; [unrolled: 1-line block ×14, first 2 shown]
	v_perm_b32 v141, v139, v138, 0x5040100
	v_perm_b32 v139, v151, v149, 0x5040100
	v_cndmask_b32_e64 v138, v183, v158, s16
	v_cndmask_b32_e64 v149, v181, v158, s13
	v_cndmask_b32_e64 v157, v140, v169, s9
	v_perm_b32 v140, v152, v150, 0x5040100
	v_cndmask_b32_e64 v150, v162, v167, s18
	v_cndmask_b32_e64 v151, v153, v167, s19
	;; [unrolled: 1-line block ×5, first 2 shown]
	v_lshrrev_b32_e32 v172, 16, v159
	v_cndmask_b32_e64 v150, v150, v155, s22
	v_cndmask_b32_e64 v151, v151, v155, s23
	;; [unrolled: 1-line block ×11, first 2 shown]
	v_lshrrev_b32_e32 v173, 16, v160
	v_cndmask_b32_e64 v142, v142, v160, s8
	v_cndmask_b32_e64 v150, v150, v156, s27
	;; [unrolled: 1-line block ×12, first 2 shown]
	v_perm_b32 v138, v144, v143, 0x5040100
	v_perm_b32 v152, v152, v151, 0x5040100
	;; [unrolled: 1-line block ×5, first 2 shown]
	s_mul_i32 s8, s35, 3
	s_mov_b32 s4, exec_lo
	ds_store_b128 v134, v[138:141]
	ds_store_b128 v134, v[149:152] offset:1024
	v_cmpx_gt_u32_e32 3, v0
	s_cbranch_execz .LBB56_14
; %bb.13:
	s_mul_i32 s5, s8, s34
	s_load_b128 s[16:19], s[0:1], 0x58
	v_add3_u32 v140, s5, s33, v148
	s_delay_alu instid0(VALU_DEP_1) | instskip(NEXT) | instid1(VALU_DEP_1)
	v_mad_u64_u32 v[138:139], null, v140, s36, s[14:15]
	v_ashrrev_i32_e32 v139, 31, v138
	s_delay_alu instid0(VALU_DEP_1) | instskip(SKIP_1) | instid1(VALU_DEP_1)
	v_lshlrev_b64 v[138:139], 2, v[138:139]
	s_waitcnt lgkmcnt(0)
	v_add_co_u32 v140, vcc_lo, s18, v138
	s_delay_alu instid0(VALU_DEP_2)
	v_add_co_ci_u32_e32 v141, vcc_lo, s19, v139, vcc_lo
	v_add_co_u32 v138, vcc_lo, s16, v138
	v_add_co_ci_u32_e32 v139, vcc_lo, s17, v139, vcc_lo
	global_store_b32 v[140:141], v136, off
	global_store_b32 v[138:139], v137, off
.LBB56_14:
	s_or_b32 exec_lo, exec_lo, s4
	s_waitcnt lgkmcnt(0)
	s_waitcnt_vscnt null, 0x0
	s_barrier
	buffer_gl0_inv
	ds_load_b128 v[148:151], v133
	ds_load_b128 v[152:155], v133 offset:16
	ds_load_b128 v[160:163], v133 offset:1040
	;; [unrolled: 1-line block ×5, first 2 shown]
	v_cmp_eq_u32_e32 vcc_lo, 1, v132
	v_mov_b32_e32 v136, 0
	ds_load_b128 v[176:179], v133 offset:3088
	ds_load_b128 v[172:175], v133 offset:3072
	;; [unrolled: 1-line block ×4, first 2 shown]
	v_cmp_eq_u32_e64 s4, 1, v129
	v_cmp_eq_u32_e64 s5, 1, v131
	;; [unrolled: 1-line block ×3, first 2 shown]
	v_mov_b32_e32 v137, v136
	v_mov_b32_e32 v138, v136
	;; [unrolled: 1-line block ×7, first 2 shown]
	v_cmp_eq_u32_e64 s7, 2, v129
	s_waitcnt lgkmcnt(8)
	s_delay_alu instid0(VALU_DEP_2)
	v_wmma_f32_16x16x16_f16 v[136:143], v[121:128], v[148:155], v[136:143]
	ds_load_b128 v[125:128], v133 offset:5136
	ds_load_b128 v[121:124], v133 offset:5120
	s_waitcnt lgkmcnt(8)
	v_wmma_f32_16x16x16_f16 v[136:143], v[113:120], v[156:163], v[136:143]
	ds_load_b128 v[117:120], v133 offset:6160
	ds_load_b128 v[113:116], v133 offset:6144
	s_waitcnt lgkmcnt(8)
	;; [unrolled: 4-line block ×11, first 2 shown]
	s_barrier
	buffer_gl0_inv
	v_wmma_f32_16x16x16_f16 v[136:143], v[1:8], v[73:80], v[136:143]
	s_delay_alu instid0(VALU_DEP_1) | instskip(NEXT) | instid1(VALU_DEP_1)
	v_wmma_f32_16x16x16_f16 v[136:143], v[9:16], v[65:72], v[136:143]
	v_wmma_f32_16x16x16_f16 v[136:143], v[33:40], v[57:64], v[136:143]
	s_delay_alu instid0(VALU_DEP_1) | instskip(NEXT) | instid1(VALU_DEP_1)
	v_wmma_f32_16x16x16_f16 v[136:143], v[41:48], v[49:56], v[136:143]
	v_wmma_f32_16x16x16_f16 v[136:143], v[17:24], v[25:32], v[136:143]
	s_delay_alu instid0(VALU_DEP_1) | instskip(NEXT) | instid1(VALU_DEP_2)
	v_cvt_f16_f32_e64 v1, v136
	v_cvt_f16_f32_e64 v2, v137
	s_delay_alu instid0(VALU_DEP_3) | instskip(NEXT) | instid1(VALU_DEP_4)
	v_cvt_f16_f32_e64 v3, v138
	v_cvt_f16_f32_e64 v4, v139
	;; [unrolled: 1-line block ×6, first 2 shown]
	v_pack_b32_f16 v1, v1, v2
	v_pack_b32_f16 v2, v3, v4
	;; [unrolled: 1-line block ×3, first 2 shown]
	s_delay_alu instid0(VALU_DEP_4)
	v_pack_b32_f16 v4, v7, v8
	ds_store_b128 v134, v[1:4]
	s_waitcnt lgkmcnt(0)
	s_barrier
	buffer_gl0_inv
	ds_load_b128 v[1:4], v135
	ds_load_b128 v[5:8], v135 offset:16
	s_waitcnt lgkmcnt(1)
	v_lshrrev_b32_e32 v9, 16, v1
	s_waitcnt lgkmcnt(0)
	v_lshrrev_b32_e32 v13, 16, v5
	v_lshrrev_b32_e32 v10, 16, v2
	;; [unrolled: 1-line block ×4, first 2 shown]
	v_cndmask_b32_e64 v17, v1, v9, s4
	v_cndmask_b32_e64 v18, v5, v13, s4
	;; [unrolled: 1-line block ×3, first 2 shown]
	v_cmp_eq_u32_e64 s4, 2, v130
	v_cndmask_b32_e64 v20, v5, v13, s6
	v_cndmask_b32_e32 v21, v1, v9, vcc_lo
	v_cndmask_b32_e32 v22, v5, v13, vcc_lo
	v_cndmask_b32_e64 v1, v1, v9, s5
	v_cndmask_b32_e64 v5, v5, v13, s5
	v_cmp_eq_u32_e32 vcc_lo, 2, v132
	v_cmp_eq_u32_e64 s5, 2, v131
	v_cndmask_b32_e64 v9, v17, v2, s7
	v_cndmask_b32_e64 v13, v18, v6, s7
	;; [unrolled: 1-line block ×4, first 2 shown]
	v_cndmask_b32_e32 v19, v21, v2, vcc_lo
	v_cmp_eq_u32_e64 s4, 3, v132
	v_cndmask_b32_e32 v20, v22, v6, vcc_lo
	v_cndmask_b32_e64 v1, v1, v2, s5
	v_cmp_eq_u32_e32 vcc_lo, 3, v131
	v_cmp_eq_u32_e64 s6, 3, v129
	v_cndmask_b32_e64 v2, v5, v6, s5
	v_cmp_eq_u32_e64 s5, 3, v130
	v_cmp_eq_u32_e64 s7, 4, v129
	v_cndmask_b32_e32 v1, v1, v10, vcc_lo
	v_cndmask_b32_e64 v5, v9, v10, s6
	v_cndmask_b32_e64 v6, v13, v14, s6
	;; [unrolled: 1-line block ×3, first 2 shown]
	v_cmp_eq_u32_e64 s6, 4, v130
	v_cndmask_b32_e64 v13, v18, v14, s5
	v_cndmask_b32_e64 v17, v19, v10, s4
	;; [unrolled: 1-line block ×3, first 2 shown]
	v_cndmask_b32_e32 v2, v2, v14, vcc_lo
	v_cmp_eq_u32_e32 vcc_lo, 4, v132
	v_cmp_eq_u32_e64 s5, 4, v131
	v_lshrrev_b32_e32 v15, 16, v7
	v_cndmask_b32_e64 v5, v5, v3, s7
	v_cndmask_b32_e64 v6, v6, v7, s7
	v_cndmask_b32_e32 v14, v18, v7, vcc_lo
	v_cndmask_b32_e64 v9, v9, v3, s6
	v_cndmask_b32_e64 v10, v13, v7, s6
	v_cndmask_b32_e32 v13, v17, v3, vcc_lo
	v_cmp_eq_u32_e64 s4, 5, v132
	v_cndmask_b32_e64 v1, v1, v3, s5
	v_cmp_eq_u32_e32 vcc_lo, 5, v131
	v_cmp_eq_u32_e64 s6, 5, v129
	v_cndmask_b32_e64 v2, v2, v7, s5
	v_cmp_eq_u32_e64 s5, 5, v130
	v_cmp_eq_u32_e64 s7, 6, v129
	v_lshrrev_b32_e32 v12, 16, v4
	v_cndmask_b32_e64 v3, v5, v11, s6
	v_cndmask_b32_e64 v5, v6, v15, s6
	;; [unrolled: 1-line block ×3, first 2 shown]
	v_cmp_eq_u32_e64 s6, 6, v130
	v_cndmask_b32_e64 v7, v10, v15, s5
	v_cndmask_b32_e64 v9, v13, v11, s4
	;; [unrolled: 1-line block ×3, first 2 shown]
	v_cndmask_b32_e32 v1, v1, v11, vcc_lo
	v_cndmask_b32_e32 v2, v2, v15, vcc_lo
	v_cmp_eq_u32_e32 vcc_lo, 6, v132
	v_cmp_eq_u32_e64 s4, 6, v131
	v_lshrrev_b32_e32 v16, 16, v8
	v_cndmask_b32_e64 v3, v3, v4, s7
	v_cndmask_b32_e64 v5, v5, v8, s7
	v_cndmask_b32_e32 v9, v9, v4, vcc_lo
	v_cndmask_b32_e64 v6, v6, v4, s6
	v_cndmask_b32_e64 v7, v7, v8, s6
	v_cmp_eq_u32_e64 s5, 7, v132
	v_cndmask_b32_e32 v10, v10, v8, vcc_lo
	v_cndmask_b32_e64 v1, v1, v4, s4
	v_cmp_eq_u32_e32 vcc_lo, 7, v131
	v_cndmask_b32_e64 v2, v2, v8, s4
	v_cmp_eq_u32_e64 s4, 7, v129
	v_cmp_eq_u32_e64 s6, 7, v130
	v_cndmask_b32_e32 v1, v1, v12, vcc_lo
	s_delay_alu instid0(VALU_DEP_4) | instskip(NEXT) | instid1(VALU_DEP_4)
	v_cndmask_b32_e32 v2, v2, v16, vcc_lo
	v_cndmask_b32_e64 v8, v3, v12, s4
	s_delay_alu instid0(VALU_DEP_4)
	v_cndmask_b32_e64 v6, v6, v12, s6
	v_cndmask_b32_e64 v3, v9, v12, s5
	;; [unrolled: 1-line block ×5, first 2 shown]
	v_cmp_gt_u32_e32 vcc_lo, 32, v0
	v_perm_b32 v4, v2, v1, 0x5040100
	v_perm_b32 v3, v9, v3, 0x5040100
	;; [unrolled: 1-line block ×4, first 2 shown]
	s_and_b32 s2, vcc_lo, s2
	ds_store_b128 v134, v[1:4]
	s_waitcnt lgkmcnt(0)
	s_barrier
	buffer_gl0_inv
	s_and_saveexec_b32 s4, s2
	s_cbranch_execz .LBB56_2
; %bb.15:
	s_load_b64 s[4:5], s[0:1], 0x68
	v_lshlrev_b32_e32 v0, 10, v0
	v_lshlrev_b32_e32 v2, 4, v147
	v_add_nc_u32_e32 v1, s33, v146
	s_lshl_b32 s0, s36, 6
	s_delay_alu instid0(SALU_CYCLE_1) | instskip(NEXT) | instid1(VALU_DEP_2)
	s_mul_i32 s1, s0, s34
	v_and_or_b32 v0, 0x3800, v0, v2
	s_mul_i32 s6, s1, s8
	v_mul_lo_u32 v1, v1, s0
	s_ashr_i32 s7, s6, 31
	s_delay_alu instid0(VALU_DEP_2) | instskip(SKIP_1) | instid1(VALU_DEP_2)
	v_lshl_or_b32 v3, v146, 6, v0
	s_lshl_b64 s[6:7], s[6:7], 1
	v_ashrrev_i32_e32 v2, 31, v1
	ds_load_b128 v[3:6], v3
	s_waitcnt lgkmcnt(0)
	s_add_u32 s1, s4, s6
	s_addc_u32 s2, s5, s7
	s_lshl_b32 s4, s14, 6
	v_lshlrev_b64 v[7:8], 1, v[1:2]
	s_ashr_i32 s5, s4, 31
	s_delay_alu instid0(SALU_CYCLE_1) | instskip(NEXT) | instid1(SALU_CYCLE_1)
	s_lshl_b64 s[4:5], s[4:5], 1
	s_add_u32 s1, s1, s4
	s_addc_u32 s2, s2, s5
	v_add_co_u32 v1, s1, s1, v145
	s_delay_alu instid0(VALU_DEP_1) | instskip(NEXT) | instid1(VALU_DEP_2)
	v_add_co_ci_u32_e64 v2, null, s2, 0, s1
	v_add_co_u32 v7, vcc_lo, v1, v7
	s_delay_alu instid0(VALU_DEP_2)
	v_add_co_ci_u32_e32 v8, vcc_lo, v2, v8, vcc_lo
	global_store_b128 v[7:8], v[3:6], off
	s_and_b32 exec_lo, exec_lo, s3
	s_cbranch_execz .LBB56_2
; %bb.16:
	ds_load_b128 v[3:6], v0 offset:128
	s_add_i32 s1, s33, 2
	s_delay_alu instid0(SALU_CYCLE_1) | instskip(NEXT) | instid1(SALU_CYCLE_1)
	s_mul_i32 s0, s1, s0
	s_ashr_i32 s1, s0, 31
	s_delay_alu instid0(SALU_CYCLE_1) | instskip(NEXT) | instid1(SALU_CYCLE_1)
	s_lshl_b64 s[0:1], s[0:1], 1
	v_add_co_u32 v0, vcc_lo, v1, s0
	v_add_co_ci_u32_e32 v1, vcc_lo, s1, v2, vcc_lo
	s_waitcnt lgkmcnt(0)
	global_store_b128 v[0:1], v[3:6], off
	s_nop 0
	s_sendmsg sendmsg(MSG_DEALLOC_VGPRS)
	s_endpgm
	.section	.rodata,"a",@progbits
	.p2align	6, 0x0
	.amdhsa_kernel _Z39paged_attention_ll4mi_QKV_mfma16_kernelIDF16_DF16_LN4vllm18Fp8KVCacheDataTypeE0EhLi16ELi64ELi256ELb0ELi3EL8MFMAType0EEvPKT_PKT0_S8_ifPKiSA_SA_iPKfiiiPfSD_PS3_PT2_iSC_SC_
		.amdhsa_group_segment_fixed_size 17472
		.amdhsa_private_segment_fixed_size 0
		.amdhsa_kernarg_size 400
		.amdhsa_user_sgpr_count 13
		.amdhsa_user_sgpr_dispatch_ptr 0
		.amdhsa_user_sgpr_queue_ptr 0
		.amdhsa_user_sgpr_kernarg_segment_ptr 1
		.amdhsa_user_sgpr_dispatch_id 0
		.amdhsa_user_sgpr_private_segment_size 0
		.amdhsa_wavefront_size32 1
		.amdhsa_uses_dynamic_stack 0
		.amdhsa_enable_private_segment 0
		.amdhsa_system_sgpr_workgroup_id_x 1
		.amdhsa_system_sgpr_workgroup_id_y 1
		.amdhsa_system_sgpr_workgroup_id_z 1
		.amdhsa_system_sgpr_workgroup_info 0
		.amdhsa_system_vgpr_workitem_id 0
		.amdhsa_next_free_vgpr 198
		.amdhsa_next_free_sgpr 52
		.amdhsa_reserve_vcc 1
		.amdhsa_float_round_mode_32 0
		.amdhsa_float_round_mode_16_64 0
		.amdhsa_float_denorm_mode_32 3
		.amdhsa_float_denorm_mode_16_64 3
		.amdhsa_dx10_clamp 1
		.amdhsa_ieee_mode 1
		.amdhsa_fp16_overflow 0
		.amdhsa_workgroup_processor_mode 1
		.amdhsa_memory_ordered 1
		.amdhsa_forward_progress 0
		.amdhsa_shared_vgpr_count 0
		.amdhsa_exception_fp_ieee_invalid_op 0
		.amdhsa_exception_fp_denorm_src 0
		.amdhsa_exception_fp_ieee_div_zero 0
		.amdhsa_exception_fp_ieee_overflow 0
		.amdhsa_exception_fp_ieee_underflow 0
		.amdhsa_exception_fp_ieee_inexact 0
		.amdhsa_exception_int_div_zero 0
	.end_amdhsa_kernel
	.section	.text._Z39paged_attention_ll4mi_QKV_mfma16_kernelIDF16_DF16_LN4vllm18Fp8KVCacheDataTypeE0EhLi16ELi64ELi256ELb0ELi3EL8MFMAType0EEvPKT_PKT0_S8_ifPKiSA_SA_iPKfiiiPfSD_PS3_PT2_iSC_SC_,"axG",@progbits,_Z39paged_attention_ll4mi_QKV_mfma16_kernelIDF16_DF16_LN4vllm18Fp8KVCacheDataTypeE0EhLi16ELi64ELi256ELb0ELi3EL8MFMAType0EEvPKT_PKT0_S8_ifPKiSA_SA_iPKfiiiPfSD_PS3_PT2_iSC_SC_,comdat
.Lfunc_end56:
	.size	_Z39paged_attention_ll4mi_QKV_mfma16_kernelIDF16_DF16_LN4vllm18Fp8KVCacheDataTypeE0EhLi16ELi64ELi256ELb0ELi3EL8MFMAType0EEvPKT_PKT0_S8_ifPKiSA_SA_iPKfiiiPfSD_PS3_PT2_iSC_SC_, .Lfunc_end56-_Z39paged_attention_ll4mi_QKV_mfma16_kernelIDF16_DF16_LN4vllm18Fp8KVCacheDataTypeE0EhLi16ELi64ELi256ELb0ELi3EL8MFMAType0EEvPKT_PKT0_S8_ifPKiSA_SA_iPKfiiiPfSD_PS3_PT2_iSC_SC_
                                        ; -- End function
	.section	.AMDGPU.csdata,"",@progbits
; Kernel info:
; codeLenInByte = 7776
; NumSgprs: 54
; NumVgprs: 198
; ScratchSize: 0
; MemoryBound: 0
; FloatMode: 240
; IeeeMode: 1
; LDSByteSize: 17472 bytes/workgroup (compile time only)
; SGPRBlocks: 6
; VGPRBlocks: 24
; NumSGPRsForWavesPerEU: 54
; NumVGPRsForWavesPerEU: 198
; Occupancy: 7
; WaveLimiterHint : 1
; COMPUTE_PGM_RSRC2:SCRATCH_EN: 0
; COMPUTE_PGM_RSRC2:USER_SGPR: 13
; COMPUTE_PGM_RSRC2:TRAP_HANDLER: 0
; COMPUTE_PGM_RSRC2:TGID_X_EN: 1
; COMPUTE_PGM_RSRC2:TGID_Y_EN: 1
; COMPUTE_PGM_RSRC2:TGID_Z_EN: 1
; COMPUTE_PGM_RSRC2:TIDIG_COMP_CNT: 0
	.section	.text._Z39paged_attention_ll4mi_QKV_mfma16_kernelIDF16_DF16_LN4vllm18Fp8KVCacheDataTypeE0EhLi16ELi64ELi256ELb0ELi4EL8MFMAType0EEvPKT_PKT0_S8_ifPKiSA_SA_iPKfiiiPfSD_PS3_PT2_iSC_SC_,"axG",@progbits,_Z39paged_attention_ll4mi_QKV_mfma16_kernelIDF16_DF16_LN4vllm18Fp8KVCacheDataTypeE0EhLi16ELi64ELi256ELb0ELi4EL8MFMAType0EEvPKT_PKT0_S8_ifPKiSA_SA_iPKfiiiPfSD_PS3_PT2_iSC_SC_,comdat
	.protected	_Z39paged_attention_ll4mi_QKV_mfma16_kernelIDF16_DF16_LN4vllm18Fp8KVCacheDataTypeE0EhLi16ELi64ELi256ELb0ELi4EL8MFMAType0EEvPKT_PKT0_S8_ifPKiSA_SA_iPKfiiiPfSD_PS3_PT2_iSC_SC_ ; -- Begin function _Z39paged_attention_ll4mi_QKV_mfma16_kernelIDF16_DF16_LN4vllm18Fp8KVCacheDataTypeE0EhLi16ELi64ELi256ELb0ELi4EL8MFMAType0EEvPKT_PKT0_S8_ifPKiSA_SA_iPKfiiiPfSD_PS3_PT2_iSC_SC_
	.globl	_Z39paged_attention_ll4mi_QKV_mfma16_kernelIDF16_DF16_LN4vllm18Fp8KVCacheDataTypeE0EhLi16ELi64ELi256ELb0ELi4EL8MFMAType0EEvPKT_PKT0_S8_ifPKiSA_SA_iPKfiiiPfSD_PS3_PT2_iSC_SC_
	.p2align	8
	.type	_Z39paged_attention_ll4mi_QKV_mfma16_kernelIDF16_DF16_LN4vllm18Fp8KVCacheDataTypeE0EhLi16ELi64ELi256ELb0ELi4EL8MFMAType0EEvPKT_PKT0_S8_ifPKiSA_SA_iPKfiiiPfSD_PS3_PT2_iSC_SC_,@function
_Z39paged_attention_ll4mi_QKV_mfma16_kernelIDF16_DF16_LN4vllm18Fp8KVCacheDataTypeE0EhLi16ELi64ELi256ELb0ELi4EL8MFMAType0EEvPKT_PKT0_S8_ifPKiSA_SA_iPKfiiiPfSD_PS3_PT2_iSC_SC_: ; @_Z39paged_attention_ll4mi_QKV_mfma16_kernelIDF16_DF16_LN4vllm18Fp8KVCacheDataTypeE0EhLi16ELi64ELi256ELb0ELi4EL8MFMAType0EEvPKT_PKT0_S8_ifPKiSA_SA_iPKfiiiPfSD_PS3_PT2_iSC_SC_
; %bb.0:
	s_load_b64 s[2:3], s[0:1], 0x30
	s_mov_b32 s34, s13
	s_waitcnt lgkmcnt(0)
	s_cmp_lg_u64 s[2:3], 0
	s_cselect_b32 s6, -1, 0
	s_ashr_i32 s35, s13, 31
	s_cmp_eq_u64 s[2:3], 0
	s_cbranch_scc1 .LBB57_3
; %bb.1:
	s_lshl_b64 s[4:5], s[34:35], 2
	s_delay_alu instid0(SALU_CYCLE_1) | instskip(SKIP_4) | instid1(SALU_CYCLE_1)
	s_add_u32 s4, s2, s4
	s_addc_u32 s5, s3, s5
	s_load_b64 s[4:5], s[4:5], 0x0
	s_waitcnt lgkmcnt(0)
	s_sub_i32 s4, s5, s4
	s_cmp_eq_u32 s4, 1
	s_cselect_b32 s4, -1, 0
	s_delay_alu instid0(SALU_CYCLE_1)
	s_and_not1_b32 vcc_lo, exec_lo, s4
	s_cbranch_vccz .LBB57_4
.LBB57_2:
	s_endpgm
.LBB57_3:
.LBB57_4:
	s_load_b64 s[8:9], s[0:1], 0x28
	s_lshl_b64 s[4:5], s[34:35], 2
	s_waitcnt lgkmcnt(0)
	s_add_u32 s8, s8, s4
	s_addc_u32 s9, s9, s5
	s_lshl_b32 s35, s14, 8
	s_load_b32 s30, s[8:9], 0x0
	s_waitcnt lgkmcnt(0)
	s_cmp_ge_i32 s35, s30
	s_cbranch_scc1 .LBB57_2
; %bb.5:
	s_clause 0x1
	s_load_b128 s[8:11], s[0:1], 0x8
	s_load_b64 s[12:13], s[0:1], 0x20
	s_and_not1_b32 vcc_lo, exec_lo, s6
	s_cbranch_vccnz .LBB57_7
; %bb.6:
	s_add_u32 s2, s2, s4
	s_addc_u32 s3, s3, s5
	s_load_b32 s3, s[2:3], 0x0
	s_branch .LBB57_8
.LBB57_7:
	s_mov_b32 s3, s34
.LBB57_8:
	s_load_b128 s[4:7], s[0:1], 0x48
	v_and_b32_e32 v149, 15, v0
	v_cmp_gt_u32_e32 vcc_lo, 64, v0
	v_lshrrev_b32_e32 v148, 5, v0
	v_and_b32_e32 v150, 31, v0
	v_and_b32_e32 v146, 1, v0
	v_lshlrev_b32_e32 v1, 3, v149
	v_cmp_gt_u32_e64 s2, 8, v149
	v_bfe_u32 v147, v0, 4, 1
	s_lshl_b32 s31, s15, 2
	s_delay_alu instid0(VALU_DEP_3) | instskip(NEXT) | instid1(VALU_DEP_3)
	v_lshlrev_b32_e32 v145, 1, v1
	s_and_b32 s16, vcc_lo, s2
	s_waitcnt lgkmcnt(0)
	s_and_saveexec_b32 s7, s16
	s_cbranch_execz .LBB57_10
; %bb.9:
	v_lshl_or_b32 v5, v148, 1, v147
	s_load_b64 s[16:17], s[0:1], 0x0
	s_mul_hi_i32 s19, s3, s4
	s_mul_i32 s18, s3, s4
	v_lshlrev_b32_e32 v6, 10, v149
	v_or_b32_e32 v1, s31, v5
	s_lshl_b64 s[18:19], s[18:19], 1
	v_lshlrev_b32_e32 v5, 6, v5
	v_lshlrev_b32_e32 v7, 10, v146
	v_and_b32_e32 v6, 0x3800, v6
	v_lshlrev_b32_e32 v1, 6, v1
	s_delay_alu instid0(VALU_DEP_2) | instskip(NEXT) | instid1(VALU_DEP_2)
	v_or3_b32 v5, v6, v7, v5
	v_ashrrev_i32_e32 v2, 31, v1
	s_delay_alu instid0(VALU_DEP_1) | instskip(SKIP_3) | instid1(VALU_DEP_1)
	v_lshlrev_b64 v[1:2], 1, v[1:2]
	s_waitcnt lgkmcnt(0)
	s_add_u32 s3, s16, s18
	s_addc_u32 s4, s17, s19
	v_add_co_u32 v1, vcc_lo, s3, v1
	s_delay_alu instid0(VALU_DEP_2) | instskip(NEXT) | instid1(VALU_DEP_2)
	v_add_co_ci_u32_e32 v2, vcc_lo, s4, v2, vcc_lo
	v_add_co_u32 v1, vcc_lo, v1, v145
	s_delay_alu instid0(VALU_DEP_2)
	v_add_co_ci_u32_e32 v2, vcc_lo, 0, v2, vcc_lo
	global_load_b128 v[1:4], v[1:2], off
	s_waitcnt vmcnt(0)
	ds_store_b128 v5, v[1:4]
.LBB57_10:
	s_or_b32 exec_lo, exec_lo, s7
	s_mov_b32 s40, 0
	s_add_i32 s3, s30, 15
	s_mov_b32 s41, s40
	s_mov_b32 s42, s40
	;; [unrolled: 1-line block ×7, first 2 shown]
	s_delay_alu instid0(SALU_CYCLE_1)
	v_dual_mov_b32 v136, s47 :: v_dual_and_b32 v1, 0xef, v0
	v_mov_b32_e32 v134, s45
	s_clause 0x1
	s_load_b32 s4, s[0:1], 0x38
	s_load_b32 s33, s[0:1], 0x98
	v_add_nc_u32_e32 v1, s35, v1
	s_ashr_i32 s7, s3, 31
	s_load_b32 s36, s[0:1], 0x1c
	s_lshr_b32 s7, s7, 28
	s_waitcnt lgkmcnt(0)
	v_ashrrev_i32_e32 v2, 31, v1
	s_add_i32 s3, s3, s7
	v_cmp_gt_i32_e32 vcc_lo, s30, v1
	v_mov_b32_e32 v135, s46
	s_ashr_i32 s3, s3, 4
	v_lshrrev_b32_e32 v3, 28, v2
	v_or_b32_e32 v2, 16, v1
	s_add_i32 s3, s3, -1
	v_mov_b32_e32 v132, s43
	s_barrier
	v_add_nc_u32_e32 v4, v1, v3
	v_add_nc_u32_e32 v3, v2, v3
	buffer_gl0_inv
	s_mul_i32 s16, s34, s4
	s_mul_i32 s6, s15, s6
	v_ashrrev_i32_e32 v4, 4, v4
	v_ashrrev_i32_e32 v3, 4, v3
	s_ashr_i32 s17, s16, 31
	v_mov_b32_e32 v133, s44
	s_lshl_b64 s[16:17], s[16:17], 2
	v_cndmask_b32_e32 v1, s3, v4, vcc_lo
	v_cmp_gt_i32_e32 vcc_lo, s30, v2
	s_add_u32 s4, s12, s16
	s_addc_u32 s37, s13, s17
	s_ashr_i32 s7, s6, 31
	v_ashrrev_i32_e32 v2, 31, v1
	v_cndmask_b32_e32 v3, s3, v3, vcc_lo
	s_lshl_b64 s[6:7], s[6:7], 1
	v_mov_b32_e32 v131, s42
	s_add_u32 s24, s8, s6
	v_lshlrev_b64 v[1:2], 2, v[1:2]
	v_ashrrev_i32_e32 v4, 31, v3
	s_addc_u32 s25, s9, s7
	s_lshl_b32 s8, s14, 4
	v_mov_b32_e32 v129, s40
	s_ashr_i32 s9, s8, 31
	v_lshlrev_b64 v[3:4], 2, v[3:4]
	v_add_co_u32 v1, vcc_lo, s4, v1
	v_add_co_ci_u32_e32 v2, vcc_lo, s37, v2, vcc_lo
	s_lshl_b64 s[8:9], s[8:9], 2
	s_delay_alu instid0(VALU_DEP_3) | instskip(NEXT) | instid1(VALU_DEP_4)
	v_add_co_u32 v3, vcc_lo, s4, v3
	v_add_co_ci_u32_e32 v4, vcc_lo, s37, v4, vcc_lo
	s_clause 0x1
	global_load_b32 v5, v[1:2], off
	global_load_b32 v6, v[3:4], off
	s_add_u32 s8, s4, s8
	s_addc_u32 s9, s37, s9
	s_or_b32 s12, s35, 16
	v_dual_mov_b32 v130, s41 :: v_dual_lshlrev_b32 v3, 4, v0
	s_ashr_i32 s13, s12, 4
	s_cmp_lt_i32 s12, s30
	s_cselect_b32 s12, s13, s3
	s_delay_alu instid0(SALU_CYCLE_1) | instskip(NEXT) | instid1(SALU_CYCLE_1)
	s_ashr_i32 s13, s12, 31
	s_lshl_b64 s[12:13], s[12:13], 2
	s_delay_alu instid0(SALU_CYCLE_1) | instskip(SKIP_2) | instid1(SALU_CYCLE_1)
	s_add_u32 s12, s4, s12
	s_addc_u32 s13, s37, s13
	s_or_b32 s15, s35, 32
	s_ashr_i32 s16, s15, 4
	s_cmp_lt_i32 s15, s30
	s_cselect_b32 s16, s16, s3
	s_delay_alu instid0(SALU_CYCLE_1) | instskip(NEXT) | instid1(SALU_CYCLE_1)
	s_ashr_i32 s17, s16, 31
	s_lshl_b64 s[16:17], s[16:17], 2
	s_delay_alu instid0(SALU_CYCLE_1) | instskip(SKIP_2) | instid1(SALU_CYCLE_1)
	s_add_u32 s16, s4, s16
	s_addc_u32 s17, s37, s17
	s_or_b32 s15, s35, 48
	;; [unrolled: 10-line block ×4, first 2 shown]
	s_ashr_i32 s22, s15, 4
	s_cmp_lt_i32 s15, s30
	s_cselect_b32 s22, s22, s3
	s_delay_alu instid0(SALU_CYCLE_1) | instskip(NEXT) | instid1(SALU_CYCLE_1)
	s_ashr_i32 s23, s22, 31
	s_lshl_b64 s[22:23], s[22:23], 2
	s_delay_alu instid0(SALU_CYCLE_1)
	s_add_u32 s22, s4, s22
	s_addc_u32 s23, s37, s23
	s_clause 0x5
	s_load_b32 s8, s[8:9], 0x0
	s_load_b32 s12, s[12:13], 0x0
	;; [unrolled: 1-line block ×6, first 2 shown]
	s_waitcnt lgkmcnt(0)
	s_mul_hi_i32 s17, s16, s5
	s_mul_i32 s16, s16, s5
	s_waitcnt vmcnt(1)
	v_mad_i64_i32 v[1:2], null, v5, s5, 0
	v_and_b32_e32 v5, 0xf0, v3
	s_waitcnt vmcnt(0)
	v_mad_i64_i32 v[3:4], null, v6, s5, 0
	s_delay_alu instid0(VALU_DEP_2) | instskip(NEXT) | instid1(VALU_DEP_4)
	v_add_co_u32 v5, s9, s24, v5
	v_lshlrev_b64 v[1:2], 1, v[1:2]
	v_add_co_ci_u32_e64 v6, null, s25, 0, s9
	s_delay_alu instid0(VALU_DEP_4) | instskip(SKIP_1) | instid1(VALU_DEP_3)
	v_lshlrev_b64 v[3:4], 1, v[3:4]
	s_or_b32 s9, s35, 0x60
	v_add_co_u32 v1, vcc_lo, v5, v1
	s_delay_alu instid0(VALU_DEP_3) | instskip(NEXT) | instid1(VALU_DEP_3)
	v_add_co_ci_u32_e32 v2, vcc_lo, v6, v2, vcc_lo
	v_add_co_u32 v3, vcc_lo, v5, v3
	s_delay_alu instid0(VALU_DEP_4)
	v_add_co_ci_u32_e32 v4, vcc_lo, v6, v4, vcc_lo
	s_clause 0x9
	global_load_b128 v[9:12], v[1:2], off
	global_load_b128 v[13:16], v[1:2], off offset:256
	global_load_b128 v[137:140], v[3:4], off
	global_load_b128 v[141:144], v[3:4], off offset:256
	global_load_b128 v[41:44], v[1:2], off offset:512
	;; [unrolled: 1-line block ×7, first 2 shown]
	v_and_b32_e32 v5, 3, v0
	s_clause 0x1
	global_load_b128 v[151:154], v[3:4], off offset:1024
	global_load_b128 v[155:158], v[3:4], off offset:1280
	s_ashr_i32 s13, s9, 4
	s_cmp_lt_i32 s9, s30
	v_lshlrev_b32_e32 v6, 5, v149
	v_lshlrev_b32_e32 v197, 6, v5
	ds_load_b128 v[159:162], v197
	ds_load_b128 v[163:166], v197 offset:1024
	s_clause 0x3
	global_load_b128 v[167:170], v[1:2], off offset:1536
	global_load_b128 v[171:174], v[1:2], off offset:1792
	;; [unrolled: 1-line block ×4, first 2 shown]
	s_cselect_b32 s22, s13, s3
	v_lshl_or_b32 v5, v148, 9, v6
	s_ashr_i32 s23, s22, 31
	s_delay_alu instid0(SALU_CYCLE_1) | instskip(NEXT) | instid1(SALU_CYCLE_1)
	s_lshl_b64 s[22:23], s[22:23], 2
	s_add_u32 s22, s4, s22
	s_addc_u32 s23, s37, s23
	s_or_b32 s9, s35, 0x70
	s_load_b32 s46, s[22:23], 0x0
	s_ashr_i32 s13, s9, 4
	s_cmp_lt_i32 s9, s30
	s_cselect_b32 s24, s13, s3
	s_delay_alu instid0(SALU_CYCLE_1) | instskip(NEXT) | instid1(SALU_CYCLE_1)
	s_ashr_i32 s25, s24, 31
	s_lshl_b64 s[24:25], s[24:25], 2
	s_delay_alu instid0(SALU_CYCLE_1)
	s_add_u32 s24, s4, s24
	s_addc_u32 s25, s37, s25
	s_or_b32 s9, s35, 0x80
	s_load_b32 s47, s[24:25], 0x0
	s_ashr_i32 s13, s9, 4
	s_cmp_lt_i32 s9, s30
	s_cselect_b32 s26, s13, s3
	s_delay_alu instid0(SALU_CYCLE_1) | instskip(NEXT) | instid1(SALU_CYCLE_1)
	s_ashr_i32 s27, s26, 31
	s_lshl_b64 s[26:27], s[26:27], 2
	s_delay_alu instid0(SALU_CYCLE_1)
	s_add_u32 s26, s4, s26
	s_addc_u32 s27, s37, s27
	s_or_b32 s9, s35, 0x90
	s_load_b32 s48, s[26:27], 0x0
	s_ashr_i32 s13, s9, 4
	s_cmp_lt_i32 s9, s30
	s_cselect_b32 s28, s13, s3
	s_delay_alu instid0(SALU_CYCLE_1) | instskip(NEXT) | instid1(SALU_CYCLE_1)
	s_ashr_i32 s29, s28, 31
	s_lshl_b64 s[28:29], s[28:29], 2
	s_delay_alu instid0(SALU_CYCLE_1) | instskip(SKIP_2) | instid1(SALU_CYCLE_1)
	s_add_u32 s28, s4, s28
	s_addc_u32 s29, s37, s29
	s_or_b32 s9, s35, 0xa0
	s_ashr_i32 s13, s9, 4
	s_cmp_lt_i32 s9, s30
	s_cselect_b32 s38, s13, s3
	s_delay_alu instid0(SALU_CYCLE_1) | instskip(NEXT) | instid1(SALU_CYCLE_1)
	s_ashr_i32 s39, s38, 31
	s_lshl_b64 s[38:39], s[38:39], 2
	s_delay_alu instid0(SALU_CYCLE_1) | instskip(SKIP_2) | instid1(SALU_CYCLE_1)
	s_add_u32 s38, s4, s38
	s_addc_u32 s39, s37, s39
	s_or_b32 s9, s35, 0xb0
	s_ashr_i32 s13, s9, 4
	s_cmp_lt_i32 s9, s30
	s_mul_hi_i32 s9, s8, s5
	s_cselect_b32 s40, s13, s3
	s_mul_i32 s8, s8, s5
	s_ashr_i32 s41, s40, 31
	s_mul_hi_i32 s13, s12, s5
	s_lshl_b64 s[40:41], s[40:41], 2
	s_mul_i32 s12, s12, s5
	s_add_u32 s42, s4, s40
	s_addc_u32 s43, s37, s41
	s_or_b32 s19, s35, 0xc0
	s_delay_alu instid0(SALU_CYCLE_1)
	s_ashr_i32 s21, s19, 4
	s_cmp_lt_i32 s19, s30
	s_mul_hi_i32 s19, s18, s5
	s_cselect_b32 s40, s21, s3
	s_mul_i32 s18, s18, s5
	s_ashr_i32 s41, s40, 31
	s_mul_hi_i32 s21, s20, s5
	s_lshl_b64 s[40:41], s[40:41], 2
	s_mul_i32 s20, s20, s5
	s_add_u32 s44, s4, s40
	s_addc_u32 s45, s37, s41
	s_load_b32 s41, s[28:29], 0x0
	s_or_b32 s40, s35, 0xd0
	s_mul_hi_i32 s23, s15, s5
	s_ashr_i32 s22, s40, 4
	s_cmp_lt_i32 s40, s30
	s_load_b32 s40, s[38:39], 0x0
	s_cselect_b32 s24, s22, s3
	s_mul_i32 s22, s15, s5
	s_ashr_i32 s25, s24, 31
	s_waitcnt lgkmcnt(0)
	s_mul_hi_i32 s29, s48, s5
	s_lshl_b64 s[24:25], s[24:25], 2
	s_mul_i32 s28, s48, s5
	s_add_u32 s24, s4, s24
	s_addc_u32 s25, s37, s25
	s_or_b32 s49, s35, 0xe0
	s_clause 0x2
	s_load_b32 s39, s[42:43], 0x0
	s_load_b32 s38, s[44:45], 0x0
	s_load_b32 s15, s[24:25], 0x0
	s_ashr_i32 s50, s49, 4
	s_cmp_lt_i32 s49, s30
	s_mul_hi_i32 s25, s46, s5
	s_cselect_b32 s44, s50, s3
	s_mul_i32 s24, s46, s5
	s_ashr_i32 s45, s44, 31
	s_mul_hi_i32 s27, s47, s5
	s_lshl_b64 s[44:45], s[44:45], 2
	s_mul_i32 s26, s47, s5
	s_add_u32 s44, s4, s44
	s_addc_u32 s45, s37, s45
	s_or_b32 s46, s35, 0xf0
	s_mul_hi_i32 s43, s41, s5
	s_ashr_i32 s48, s46, 4
	s_cmp_lt_i32 s46, s30
	s_mul_i32 s42, s41, s5
	s_cselect_b32 s48, s48, s3
	s_mul_hi_i32 s41, s40, s5
	s_ashr_i32 s49, s48, 31
	s_mul_i32 s40, s40, s5
	s_lshl_b64 s[48:49], s[48:49], 2
	s_waitcnt lgkmcnt(0)
	s_mul_hi_i32 s47, s39, s5
	s_add_u32 s48, s4, s48
	s_addc_u32 s49, s37, s49
	s_add_u32 s3, s10, s6
	s_addc_u32 s4, s11, s7
	v_add_co_u32 v195, s3, s3, v5
	s_delay_alu instid0(VALU_DEP_1) | instskip(SKIP_2) | instid1(VALU_DEP_2)
	v_add_co_ci_u32_e64 v196, null, s4, 0, s3
	s_lshl_b64 s[6:7], s[8:9], 1
	s_lshl_b64 s[8:9], s[12:13], 1
	v_add_co_u32 v1, vcc_lo, v195, s6
	s_delay_alu instid0(VALU_DEP_2)
	v_add_co_ci_u32_e32 v2, vcc_lo, s7, v196, vcc_lo
	v_add_co_u32 v3, vcc_lo, v195, s8
	s_lshl_b64 s[10:11], s[16:17], 1
	v_add_co_ci_u32_e32 v4, vcc_lo, s9, v196, vcc_lo
	v_add_co_u32 v5, vcc_lo, v195, s10
	s_lshl_b64 s[12:13], s[18:19], 1
	;; [unrolled: 3-line block ×9, first 2 shown]
	s_mul_i32 s46, s39, s5
	v_add_co_ci_u32_e32 v54, vcc_lo, s27, v196, vcc_lo
	v_add_co_u32 v183, vcc_lo, v195, s28
	s_lshl_b64 s[40:41], s[46:47], 1
	s_mul_hi_i32 s39, s38, s5
	s_mul_i32 s38, s38, s5
	v_add_co_ci_u32_e32 v184, vcc_lo, s29, v196, vcc_lo
	v_add_co_u32 v185, vcc_lo, v195, s40
	s_lshl_b64 s[38:39], s[38:39], 1
	s_clause 0x1
	s_load_b32 s3, s[44:45], 0x0
	s_load_b32 s4, s[48:49], 0x0
	v_add_co_ci_u32_e32 v186, vcc_lo, s41, v196, vcc_lo
	v_add_co_u32 v191, vcc_lo, v195, s38
	v_add_co_ci_u32_e32 v192, vcc_lo, s39, v196, vcc_lo
	s_clause 0x17
	global_load_b128 v[121:124], v[1:2], off
	global_load_b128 v[125:128], v[1:2], off offset:16
	global_load_b128 v[113:116], v[3:4], off
	global_load_b128 v[117:120], v[3:4], off offset:16
	global_load_b128 v[105:108], v[5:6], off
	global_load_b128 v[109:112], v[5:6], off offset:16
	global_load_b128 v[97:100], v[7:8], off
	global_load_b128 v[101:104], v[7:8], off offset:16
	global_load_b128 v[89:92], v[25:26], off
	global_load_b128 v[93:96], v[25:26], off offset:16
	global_load_b128 v[81:84], v[27:28], off
	global_load_b128 v[85:88], v[27:28], off offset:16
	global_load_b128 v[73:76], v[29:30], off
	global_load_b128 v[77:80], v[29:30], off offset:16
	global_load_b128 v[65:68], v[31:32], off
	global_load_b128 v[69:72], v[31:32], off offset:16
	global_load_b128 v[57:60], v[49:50], off
	global_load_b128 v[61:64], v[49:50], off offset:16
	global_load_b128 v[49:52], v[53:54], off
	global_load_b128 v[53:56], v[53:54], off offset:16
	global_load_b128 v[25:28], v[183:184], off
	global_load_b128 v[29:32], v[183:184], off offset:16
	global_load_b128 v[1:4], v[185:186], off
	global_load_b128 v[5:8], v[185:186], off offset:16
	s_mul_hi_i32 s51, s15, s5
	s_mul_i32 s50, s15, s5
	s_delay_alu instid0(SALU_CYCLE_1) | instskip(NEXT) | instid1(SALU_CYCLE_1)
	s_lshl_b64 s[42:43], s[50:51], 1
	v_add_co_u32 v193, vcc_lo, v195, s42
	v_add_co_ci_u32_e32 v194, vcc_lo, s43, v196, vcc_lo
	s_waitcnt lgkmcnt(0)
	s_mul_hi_i32 s7, s3, s5
	s_mul_i32 s6, s3, s5
	s_mul_hi_i32 s9, s4, s5
	s_lshl_b64 s[6:7], s[6:7], 1
	s_mul_i32 s8, s4, s5
	s_delay_alu instid0(SALU_CYCLE_1)
	s_lshl_b64 s[4:5], s[8:9], 1
	s_waitcnt vmcnt(38)
	v_wmma_f32_16x16x16_f16 v[183:190], v[9:16], v[159:166], v[129:136]
	s_waitcnt vmcnt(36)
	v_wmma_f32_16x16x16_f16 v[129:136], v[137:144], v[159:166], v[129:136]
	s_clause 0x1
	global_load_b128 v[9:12], v[191:192], off
	global_load_b128 v[13:16], v[191:192], off offset:16
	ds_load_b128 v[137:140], v197 offset:2048
	ds_load_b128 v[141:144], v197 offset:3072
	ds_load_b128 v[159:162], v197 offset:4096
	ds_load_b128 v[163:166], v197 offset:5120
	v_add_co_u32 v191, vcc_lo, v195, s6
	v_add_co_ci_u32_e32 v192, vcc_lo, s7, v196, vcc_lo
	v_add_co_u32 v195, vcc_lo, v195, s4
	v_add_co_ci_u32_e32 v196, vcc_lo, s5, v196, vcc_lo
	s_waitcnt vmcnt(36) lgkmcnt(2)
	v_wmma_f32_16x16x16_f16 v[183:190], v[41:48], v[137:144], v[183:190]
	s_waitcnt vmcnt(34)
	v_wmma_f32_16x16x16_f16 v[129:136], v[33:40], v[137:144], v[129:136]
	s_clause 0x3
	global_load_b128 v[33:36], v[193:194], off
	global_load_b128 v[37:40], v[193:194], off offset:16
	global_load_b128 v[41:44], v[191:192], off
	global_load_b128 v[45:48], v[191:192], off offset:16
	v_and_b32_e32 v137, 0xe0, v0
	v_mbcnt_lo_u32_b32 v191, -1, 0
	s_waitcnt vmcnt(36) lgkmcnt(0)
	v_wmma_f32_16x16x16_f16 v[183:190], v[17:24], v[159:166], v[183:190]
	s_clause 0x1
	global_load_b128 v[17:20], v[195:196], off
	global_load_b128 v[21:24], v[195:196], off offset:16
	s_waitcnt vmcnt(36)
	v_wmma_f32_16x16x16_f16 v[129:136], v[151:158], v[159:166], v[129:136]
	v_add_nc_u32_e32 v192, s35, v137
	ds_load_b128 v[137:140], v197 offset:6144
	ds_load_b128 v[141:144], v197 offset:7168
	v_xor_b32_e32 v151, 16, v191
	s_waitcnt vmcnt(0) lgkmcnt(0)
	s_barrier
	v_or_b32_e32 v152, v192, v147
	buffer_gl0_inv
	v_cmp_gt_i32_e32 vcc_lo, 32, v151
	v_or_b32_e32 v153, 2, v152
	v_or_b32_e32 v154, 4, v152
	;; [unrolled: 1-line block ×5, first 2 shown]
	v_cmp_gt_i32_e64 s3, s30, v153
	v_cmp_gt_i32_e64 s4, s30, v154
	;; [unrolled: 1-line block ×3, first 2 shown]
	v_or_b32_e32 v158, 12, v152
	v_or_b32_e32 v159, 14, v152
	v_cmp_gt_i32_e64 s6, s30, v156
	v_wmma_f32_16x16x16_f16 v[183:190], v[167:174], v[137:144], v[183:190]
	v_wmma_f32_16x16x16_f16 v[129:136], v[175:182], v[137:144], v[129:136]
	v_cndmask_b32_e32 v151, v191, v151, vcc_lo
	v_cmp_gt_i32_e32 vcc_lo, s30, v152
	v_cmp_gt_i32_e64 s7, s30, v157
	v_dual_mul_f32 v143, s36, v184 :: v_dual_mul_f32 v144, s36, v183
	v_dual_mul_f32 v141, s36, v186 :: v_dual_mul_f32 v142, s36, v185
	;; [unrolled: 1-line block ×3, first 2 shown]
	s_delay_alu instid0(VALU_DEP_3) | instskip(NEXT) | instid1(VALU_DEP_4)
	v_cndmask_b32_e32 v144, 0xff7fffff, v144, vcc_lo
	v_cndmask_b32_e64 v143, 0xff7fffff, v143, s3
	v_mul_f32_e32 v140, s36, v187
	v_cndmask_b32_e64 v142, 0xff7fffff, v142, s4
	v_cndmask_b32_e64 v141, 0xff7fffff, v141, s5
	v_or_b32_e32 v160, 16, v152
	v_max3_f32 v143, v144, 0xff7fffff, v143
	v_or_b32_e32 v161, 18, v152
	v_mul_f32_e32 v138, s36, v189
	v_dual_mul_f32 v172, s36, v132 :: v_dual_mul_f32 v137, s36, v190
	v_cndmask_b32_e64 v140, 0xff7fffff, v140, s6
	v_cndmask_b32_e64 v139, 0xff7fffff, v139, s7
	v_max3_f32 v141, v143, v142, v141
	v_cmp_gt_i32_e64 s8, s30, v158
	v_cmp_gt_i32_e64 s9, s30, v159
	v_or_b32_e32 v162, 20, v152
	v_or_b32_e32 v163, 22, v152
	v_mul_f32_e32 v175, s36, v129
	v_cndmask_b32_e64 v138, 0xff7fffff, v138, s8
	v_max3_f32 v139, v141, v140, v139
	v_cmp_gt_i32_e64 s10, s30, v160
	v_cmp_gt_i32_e64 s11, s30, v161
	v_lshlrev_b32_e32 v160, 2, v151
	v_cndmask_b32_e64 v137, 0xff7fffff, v137, s9
	v_or_b32_e32 v164, 24, v152
	v_or_b32_e32 v165, 26, v152
	v_mul_f32_e32 v173, s36, v131
	v_cndmask_b32_e64 v140, 0xff7fffff, v175, s10
	v_cndmask_b32_e64 v141, 0xff7fffff, v174, s11
	v_max3_f32 v137, v139, v138, v137
	v_cmp_gt_i32_e64 s12, s30, v162
	v_cmp_gt_i32_e64 s13, s30, v163
	v_or_b32_e32 v166, 28, v152
	v_or_b32_e32 v167, 30, v152
	v_dual_mul_f32 v170, s36, v134 :: v_dual_mul_f32 v171, s36, v133
	v_cndmask_b32_e64 v138, 0xff7fffff, v173, s12
	v_cndmask_b32_e64 v139, 0xff7fffff, v172, s13
	v_max3_f32 v137, v137, v140, v141
	v_cmp_gt_i32_e64 s15, s30, v164
	v_cmp_gt_i32_e64 s16, s30, v165
	v_dual_mul_f32 v168, s36, v136 :: v_dual_mul_f32 v169, s36, v135
	s_delay_alu instid0(VALU_DEP_4) | instskip(NEXT) | instid1(VALU_DEP_4)
	v_max3_f32 v137, v137, v138, v139
	v_cndmask_b32_e64 v140, 0xff7fffff, v171, s15
	s_delay_alu instid0(VALU_DEP_4) | instskip(SKIP_2) | instid1(VALU_DEP_3)
	v_cndmask_b32_e64 v141, 0xff7fffff, v170, s16
	v_cmp_gt_i32_e64 s17, s30, v166
	v_cmp_gt_i32_e64 s18, s30, v167
	v_max3_f32 v137, v137, v140, v141
	s_delay_alu instid0(VALU_DEP_3) | instskip(NEXT) | instid1(VALU_DEP_3)
	v_cndmask_b32_e64 v138, 0xff7fffff, v169, s17
	v_cndmask_b32_e64 v139, 0xff7fffff, v168, s18
	s_delay_alu instid0(VALU_DEP_1) | instskip(SKIP_3) | instid1(VALU_DEP_1)
	v_max3_f32 v137, v137, v138, v139
	ds_bpermute_b32 v138, v160, v137
	s_waitcnt lgkmcnt(0)
	v_max_f32_e32 v138, v138, v138
	v_max_f32_e32 v137, v137, v138
	s_delay_alu instid0(VALU_DEP_1) | instskip(SKIP_4) | instid1(VALU_DEP_4)
	v_fma_f32 v143, s36, v187, -v137
	v_fma_f32 v130, s36, v130, -v137
	;; [unrolled: 1-line block ×5, first 2 shown]
	v_dual_mul_f32 v143, 0x3fb8aa3b, v143 :: v_dual_mul_f32 v130, 0x3fb8aa3b, v130
	s_delay_alu instid0(VALU_DEP_4) | instskip(SKIP_2) | instid1(VALU_DEP_4)
	v_mul_f32_e32 v140, 0x3fb8aa3b, v140
	v_fma_f32 v152, s36, v189, -v137
	v_fma_f32 v139, s36, v184, -v137
	v_exp_f32_e32 v143, v143
	v_mul_f32_e32 v138, 0x3fb8aa3b, v138
	v_exp_f32_e32 v140, v140
	v_mul_f32_e32 v152, 0x3fb8aa3b, v152
	v_fma_f32 v153, s36, v190, -v137
	v_fma_f32 v144, s36, v188, -v137
	v_exp_f32_e32 v138, v138
	v_fma_f32 v129, s36, v129, -v137
	v_exp_f32_e32 v152, v152
	v_fma_f32 v134, s36, v134, -v137
	v_cndmask_b32_e64 v143, 0, v143, s6
	v_dual_mul_f32 v141, 0x3fb8aa3b, v141 :: v_dual_mul_f32 v144, 0x3fb8aa3b, v144
	v_fma_f32 v132, s36, v132, -v137
	s_delay_alu instid0(VALU_DEP_4) | instskip(NEXT) | instid1(VALU_DEP_3)
	v_dual_mul_f32 v129, 0x3fb8aa3b, v129 :: v_dual_mul_f32 v134, 0x3fb8aa3b, v134
	v_exp_f32_e32 v151, v141
	v_cndmask_b32_e64 v141, 0, v140, s4
	s_delay_alu instid0(VALU_DEP_3)
	v_dual_mul_f32 v132, 0x3fb8aa3b, v132 :: v_dual_mul_f32 v139, 0x3fb8aa3b, v139
	v_exp_f32_e32 v144, v144
	v_exp_f32_e32 v129, v129
	;; [unrolled: 1-line block ×3, first 2 shown]
	v_fma_f32 v131, s36, v131, -v137
	v_exp_f32_e32 v142, v139
	v_exp_f32_e32 v132, v132
	v_cndmask_b32_e64 v140, 0, v151, s5
	v_mul_f32_e32 v151, 0x3fb8aa3b, v153
	v_fma_f32 v133, s36, v133, -v137
	s_delay_alu instid0(VALU_DEP_2) | instskip(SKIP_2) | instid1(TRANS32_DEP_3)
	v_exp_f32_e32 v154, v151
	v_cndmask_b32_e64 v151, 0, v152, s8
	v_cndmask_b32_e32 v139, 0, v138, vcc_lo
	v_cndmask_b32_e64 v138, 0, v142, s3
	s_mov_b32 s3, exec_lo
	s_delay_alu instid0(VALU_DEP_2) | instskip(NEXT) | instid1(VALU_DEP_1)
	v_add_f32_e32 v142, 0, v139
	v_add_f32_e32 v142, v142, v138
	s_delay_alu instid0(VALU_DEP_1) | instskip(NEXT) | instid1(VALU_DEP_1)
	v_add_f32_e32 v142, v142, v141
	v_add_f32_e32 v153, v142, v140
	v_cndmask_b32_e64 v142, 0, v144, s7
	s_delay_alu instid0(VALU_DEP_2) | instskip(SKIP_1) | instid1(VALU_DEP_2)
	v_add_f32_e32 v144, v153, v143
	v_cndmask_b32_e64 v153, 0, v129, s10
	v_add_f32_e32 v152, v144, v142
	v_cndmask_b32_e64 v144, 0, v154, s9
	v_cndmask_b32_e64 v154, 0, v132, s13
	v_fma_f32 v132, s36, v136, -v137
	s_delay_alu instid0(VALU_DEP_4) | instskip(NEXT) | instid1(VALU_DEP_2)
	v_dual_mul_f32 v133, 0x3fb8aa3b, v133 :: v_dual_add_f32 v152, v152, v151
	v_mul_f32_e32 v132, 0x3fb8aa3b, v132
	s_delay_alu instid0(VALU_DEP_2) | instskip(NEXT) | instid1(VALU_DEP_2)
	v_exp_f32_e32 v133, v133
	v_add_f32_e32 v129, v152, v144
	v_cndmask_b32_e64 v152, 0, v130, s11
	v_fma_f32 v130, s36, v135, -v137
	v_mul_f32_e32 v131, 0x3fb8aa3b, v131
	s_delay_alu instid0(VALU_DEP_2) | instskip(NEXT) | instid1(VALU_DEP_2)
	v_dual_add_f32 v129, v129, v153 :: v_dual_mul_f32 v130, 0x3fb8aa3b, v130
	v_exp_f32_e32 v131, v131
	s_delay_alu instid0(TRANS32_DEP_2) | instskip(NEXT) | instid1(VALU_DEP_2)
	v_cndmask_b32_e64 v157, 0, v133, s15
	v_add_f32_e32 v129, v129, v152
	s_delay_alu instid0(VALU_DEP_3) | instskip(SKIP_4) | instid1(VALU_DEP_2)
	v_exp_f32_e32 v130, v130
	s_waitcnt_depctr 0xfff
	v_cndmask_b32_e64 v155, 0, v131, s12
	v_exp_f32_e32 v131, v134
	v_cndmask_b32_e64 v159, 0, v130, s17
	v_add_f32_e32 v129, v129, v155
	s_delay_alu instid0(VALU_DEP_1) | instskip(SKIP_4) | instid1(VALU_DEP_1)
	v_add_f32_e32 v129, v129, v154
	s_waitcnt_depctr 0xfff
	v_cndmask_b32_e64 v156, 0, v131, s16
	v_exp_f32_e32 v131, v132
	v_add_f32_e32 v129, v129, v157
	v_add_f32_e32 v129, v129, v156
	s_waitcnt_depctr 0xfff
	v_cndmask_b32_e64 v158, 0, v131, s18
	v_add_f32_e32 v129, v129, v159
	s_delay_alu instid0(VALU_DEP_1)
	v_add_f32_e32 v129, v129, v158
	ds_bpermute_b32 v130, v160, v129
	v_cmpx_gt_u32_e32 16, v150
	s_cbranch_execz .LBB57_12
; %bb.11:
	v_mul_u32_u24_e32 v131, 0x44, v148
	s_delay_alu instid0(VALU_DEP_1) | instskip(SKIP_1) | instid1(VALU_DEP_1)
	v_lshl_add_u32 v131, v149, 2, v131
	s_waitcnt lgkmcnt(0)
	v_dual_add_f32 v129, v129, v130 :: v_dual_add_nc_u32 v130, 0x4000, v131
	ds_store_2addr_b32 v130, v137, v129 offset1:136
.LBB57_12:
	s_or_b32 exec_lo, exec_lo, s3
	v_lshlrev_b32_e32 v129, 2, v149
	s_load_b32 s35, s[0:1], 0x94
	s_waitcnt lgkmcnt(0)
	s_barrier
	buffer_gl0_inv
	v_add_nc_u32_e32 v135, 0x4000, v129
	v_cmp_eq_u32_e32 vcc_lo, 1, v148
	v_cmp_eq_u32_e64 s3, 2, v148
	v_cmp_eq_u32_e64 s4, 3, v148
	;; [unrolled: 1-line block ×3, first 2 shown]
	ds_load_2addr_b32 v[129:130], v135 offset1:17
	ds_load_2addr_b32 v[131:132], v135 offset0:34 offset1:51
	ds_load_2addr_b32 v[133:134], v135 offset0:68 offset1:85
	;; [unrolled: 1-line block ×4, first 2 shown]
	v_cmp_eq_u32_e64 s6, 5, v148
	v_cmp_eq_u32_e64 s7, 7, v148
	s_waitcnt lgkmcnt(4)
	v_max3_f32 v136, v129, 0xff7fffff, v130
	s_waitcnt lgkmcnt(3)
	s_delay_alu instid0(VALU_DEP_1) | instskip(SKIP_1) | instid1(VALU_DEP_1)
	v_max3_f32 v136, v136, v131, v132
	s_waitcnt lgkmcnt(2)
	v_max3_f32 v136, v136, v133, v134
	s_waitcnt lgkmcnt(1)
	s_delay_alu instid0(VALU_DEP_1) | instskip(NEXT) | instid1(VALU_DEP_1)
	v_max3_f32 v136, v136, v160, v161
	v_sub_f32_e32 v129, v129, v136
	v_sub_f32_e32 v137, v130, v136
	;; [unrolled: 1-line block ×4, first 2 shown]
	s_delay_alu instid0(VALU_DEP_4) | instskip(NEXT) | instid1(VALU_DEP_3)
	v_dual_sub_f32 v133, v133, v136 :: v_dual_mul_f32 v150, 0x3fb8aa3b, v129
	v_dual_mul_f32 v137, 0x3fb8aa3b, v137 :: v_dual_mul_f32 v164, 0x3fb8aa3b, v164
	s_delay_alu instid0(VALU_DEP_2) | instskip(NEXT) | instid1(VALU_DEP_3)
	v_mul_f32_e32 v167, 0x3fb8aa3b, v133
	v_exp_f32_e32 v150, v150
	s_delay_alu instid0(VALU_DEP_2) | instskip(SKIP_2) | instid1(VALU_DEP_1)
	v_exp_f32_e32 v166, v137
	v_mul_f32_e32 v165, 0x3fb8aa3b, v131
	v_exp_f32_e32 v164, v164
	v_exp_f32_e32 v165, v165
	s_waitcnt lgkmcnt(0)
	v_fma_f32 v137, v150, v162, 0
	v_sub_f32_e32 v162, v134, v136
	ds_load_2addr_b32 v[129:130], v135 offset0:170 offset1:187
	ds_load_2addr_b32 v[131:132], v135 offset0:204 offset1:221
	ds_load_2addr_b32 v[133:134], v135 offset0:238 offset1:255
	v_fmac_f32_e32 v137, v166, v163
	v_dual_sub_f32 v135, v160, v136 :: v_dual_mul_f32 v160, 0x3fb8aa3b, v162
	v_exp_f32_e32 v162, v167
	s_waitcnt lgkmcnt(0)
	s_barrier
	s_delay_alu instid0(VALU_DEP_1)
	v_mul_f32_e32 v135, 0x3fb8aa3b, v135
	v_exp_f32_e32 v160, v160
	buffer_gl0_inv
	v_fmac_f32_e32 v137, v165, v129
	v_sub_f32_e32 v129, v161, v136
	v_exp_f32_e32 v161, v135
	s_delay_alu instid0(VALU_DEP_2) | instskip(NEXT) | instid1(VALU_DEP_2)
	v_fmac_f32_e32 v137, v164, v130
	v_dual_mul_f32 v129, 0x3fb8aa3b, v129 :: v_dual_cndmask_b32 v130, v150, v166
	s_delay_alu instid0(VALU_DEP_2) | instskip(NEXT) | instid1(VALU_DEP_2)
	v_fmac_f32_e32 v137, v162, v131
	v_exp_f32_e32 v163, v129
	s_delay_alu instid0(VALU_DEP_1) | instskip(SKIP_3) | instid1(VALU_DEP_2)
	v_fmac_f32_e32 v137, v160, v132
	s_waitcnt_depctr 0xfff
	v_fmac_f32_e32 v137, v161, v133
	v_lshlrev_b32_e32 v133, 6, v149
	v_fmac_f32_e32 v137, v163, v134
	s_delay_alu instid0(VALU_DEP_2) | instskip(NEXT) | instid1(VALU_DEP_2)
	v_lshl_or_b32 v135, v148, 11, v133
	v_add_f32_e32 v134, 0x358637bd, v137
	s_delay_alu instid0(VALU_DEP_1) | instskip(SKIP_1) | instid1(VALU_DEP_2)
	v_div_scale_f32 v167, null, v134, v134, 1.0
	v_div_scale_f32 v150, vcc_lo, 1.0, v134, 1.0
	v_rcp_f32_e32 v168, v167
	s_waitcnt_depctr 0xfff
	v_fma_f32 v129, -v167, v168, 1.0
	s_delay_alu instid0(VALU_DEP_1) | instskip(SKIP_2) | instid1(VALU_DEP_3)
	v_fmac_f32_e32 v168, v129, v168
	v_cndmask_b32_e64 v129, v130, v165, s3
	v_cmp_eq_u32_e64 s3, 6, v148
	v_mul_f32_e32 v165, v150, v168
	s_delay_alu instid0(VALU_DEP_3) | instskip(SKIP_1) | instid1(VALU_DEP_3)
	v_cndmask_b32_e64 v130, v129, v164, s4
	v_lshlrev_b32_e32 v129, 2, v147
	v_fma_f32 v131, -v167, v165, v150
	s_delay_alu instid0(VALU_DEP_3) | instskip(NEXT) | instid1(VALU_DEP_3)
	v_cndmask_b32_e64 v149, v130, v162, s5
	v_or_b32_e32 v130, 1, v129
	v_or_b32_e32 v132, 2, v129
	v_cmp_eq_u32_e64 s4, 1, v129
	v_fmac_f32_e32 v165, v131, v168
	v_cndmask_b32_e64 v148, v149, v160, s6
	v_or_b32_e32 v131, 3, v129
	v_cmp_eq_u32_e64 s9, 1, v130
	v_cmp_eq_u32_e64 s10, 1, v132
	v_fma_f32 v149, -v167, v165, v150
	v_cndmask_b32_e64 v148, v148, v161, s3
	v_cmp_eq_u32_e64 s11, 1, v131
	v_cmp_eq_u32_e64 s5, 2, v129
	;; [unrolled: 1-line block ×3, first 2 shown]
	v_div_fmas_f32 v149, v149, v168, v165
	v_cndmask_b32_e64 v148, v148, v163, s7
	v_cmp_eq_u32_e64 s15, 2, v132
	v_cmp_eq_u32_e64 s16, 2, v131
	v_cmp_eq_u32_e32 vcc_lo, 3, v129
	v_div_fixup_f32 v149, v149, v134, 1.0
	v_lshl_or_b32 v134, v147, 4, v135
	v_cmp_eq_u32_e64 s13, 3, v130
	v_cmp_eq_u32_e64 s18, 3, v131
	;; [unrolled: 1-line block ×3, first 2 shown]
	v_mul_f32_e32 v164, v148, v149
	v_cmp_eq_u32_e64 s17, 3, v132
	v_cmp_eq_u32_e64 s19, 4, v130
	;; [unrolled: 1-line block ×4, first 2 shown]
	v_fma_mixlo_f16 v148, v164, v139, 0
	v_fma_mixlo_f16 v149, v164, v141, 0
	;; [unrolled: 1-line block ×8, first 2 shown]
	v_fma_mixhi_f16 v148, v164, v138, 0
	v_fma_mixhi_f16 v149, v164, v140, 0
	;; [unrolled: 1-line block ×8, first 2 shown]
	ds_store_b128 v134, v[148:151]
	ds_store_b128 v134, v[160:163] offset:1024
	s_waitcnt lgkmcnt(0)
	s_barrier
	buffer_gl0_inv
	ds_load_b128 v[138:141], v135
	ds_load_b128 v[148:151], v135 offset:16
	ds_load_b128 v[152:155], v135 offset:1024
	;; [unrolled: 1-line block ×3, first 2 shown]
	v_cmp_eq_u32_e64 s20, 5, v130
	v_cmp_eq_u32_e64 s21, 4, v132
	;; [unrolled: 1-line block ×12, first 2 shown]
	s_waitcnt lgkmcnt(3)
	v_lshrrev_b32_e32 v142, 16, v138
	s_waitcnt lgkmcnt(2)
	v_lshrrev_b32_e32 v161, 16, v148
	;; [unrolled: 2-line block ×4, first 2 shown]
	v_lshrrev_b32_e32 v143, 16, v139
	v_cndmask_b32_e64 v173, v138, v142, s4
	v_cndmask_b32_e64 v174, v148, v161, s4
	;; [unrolled: 1-line block ×7, first 2 shown]
	v_lshrrev_b32_e32 v162, 16, v149
	v_cndmask_b32_e64 v178, v148, v161, s10
	v_cndmask_b32_e64 v148, v152, v165, s4
	;; [unrolled: 1-line block ×16, first 2 shown]
	v_lshrrev_b32_e32 v166, 16, v153
	v_lshrrev_b32_e32 v170, 16, v157
	v_cndmask_b32_e64 v176, v178, v149, s15
	v_cndmask_b32_e64 v142, v148, v153, s5
	;; [unrolled: 1-line block ×7, first 2 shown]
	v_cndmask_b32_e32 v156, v165, v143, vcc_lo
	v_cndmask_b32_e32 v165, v169, v162, vcc_lo
	v_cndmask_b32_e64 v169, v173, v143, s13
	v_cndmask_b32_e64 v173, v174, v162, s13
	;; [unrolled: 1-line block ×4, first 2 shown]
	v_lshrrev_b32_e32 v144, 16, v140
	v_lshrrev_b32_e32 v163, 16, v150
	v_cndmask_b32_e64 v174, v175, v143, s17
	v_cndmask_b32_e64 v175, v176, v162, s17
	v_cndmask_b32_e32 v142, v142, v166, vcc_lo
	v_cndmask_b32_e32 v143, v148, v170, vcc_lo
	v_cndmask_b32_e64 v148, v149, v166, s13
	v_cndmask_b32_e64 v149, v156, v140, s3
	;; [unrolled: 1-line block ×7, first 2 shown]
	v_lshrrev_b32_e32 v167, 16, v154
	v_cndmask_b32_e64 v169, v174, v140, s21
	v_cndmask_b32_e64 v173, v175, v150, s21
	v_cndmask_b32_e64 v140, v142, v154, s3
	v_cndmask_b32_e64 v142, v143, v158, s3
	v_cndmask_b32_e64 v143, v148, v154, s19
	v_cndmask_b32_e64 v148, v149, v144, s6
	v_cndmask_b32_e64 v149, v156, v163, s6
	v_cndmask_b32_e64 v150, v162, v144, s20
	v_cndmask_b32_e64 v156, v165, v163, s20
	v_cndmask_b32_e64 v138, v138, v144, s24
	v_cndmask_b32_e64 v139, v139, v163, s24
	v_lshrrev_b32_e32 v160, 16, v141
	v_lshrrev_b32_e32 v164, 16, v151
	v_cndmask_b32_e64 v162, v169, v144, s23
	v_cndmask_b32_e64 v165, v173, v163, s23
	;; [unrolled: 1-line block ×9, first 2 shown]
	v_lshrrev_b32_e32 v168, 16, v155
	v_cndmask_b32_e64 v140, v140, v167, s6
	v_cndmask_b32_e64 v156, v162, v141, s26
	;; [unrolled: 1-line block ×14, first 2 shown]
	v_perm_b32 v141, v139, v138, 0x5040100
	v_perm_b32 v139, v150, v148, 0x5040100
	v_cndmask_b32_e64 v138, v182, v157, s15
	v_cndmask_b32_e64 v148, v180, v157, s12
	;; [unrolled: 1-line block ×3, first 2 shown]
	v_perm_b32 v140, v151, v149, 0x5040100
	v_cndmask_b32_e64 v149, v161, v166, s17
	v_cndmask_b32_e64 v150, v152, v166, s18
	;; [unrolled: 1-line block ×5, first 2 shown]
	v_lshrrev_b32_e32 v171, 16, v158
	v_cndmask_b32_e64 v149, v149, v154, s21
	v_cndmask_b32_e64 v150, v150, v154, s22
	;; [unrolled: 1-line block ×11, first 2 shown]
	v_lshrrev_b32_e32 v172, 16, v159
	v_cndmask_b32_e64 v142, v142, v159, s7
	v_cndmask_b32_e64 v149, v149, v155, s26
	;; [unrolled: 1-line block ×12, first 2 shown]
	v_perm_b32 v138, v144, v143, 0x5040100
	v_perm_b32 v151, v151, v150, 0x5040100
	;; [unrolled: 1-line block ×5, first 2 shown]
	s_lshl_b32 s7, s33, 2
	s_mov_b32 s3, exec_lo
	ds_store_b128 v134, v[138:141]
	ds_store_b128 v134, v[148:151] offset:1024
	v_cmpx_gt_u32_e32 4, v0
	s_cbranch_execz .LBB57_14
; %bb.13:
	v_or_b32_e32 v138, s31, v0
	s_load_b128 s[8:11], s[0:1], 0x58
	s_delay_alu instid0(VALU_DEP_1) | instskip(NEXT) | instid1(VALU_DEP_1)
	v_mad_u64_u32 v[139:140], null, s7, s34, v[138:139]
	v_mad_u64_u32 v[140:141], null, v139, s35, s[14:15]
	s_delay_alu instid0(VALU_DEP_1) | instskip(NEXT) | instid1(VALU_DEP_1)
	v_ashrrev_i32_e32 v141, 31, v140
	v_lshlrev_b64 v[138:139], 2, v[140:141]
	s_waitcnt lgkmcnt(0)
	s_delay_alu instid0(VALU_DEP_1) | instskip(NEXT) | instid1(VALU_DEP_2)
	v_add_co_u32 v140, vcc_lo, s10, v138
	v_add_co_ci_u32_e32 v141, vcc_lo, s11, v139, vcc_lo
	v_add_co_u32 v138, vcc_lo, s8, v138
	v_add_co_ci_u32_e32 v139, vcc_lo, s9, v139, vcc_lo
	global_store_b32 v[140:141], v136, off
	global_store_b32 v[138:139], v137, off
.LBB57_14:
	s_or_b32 exec_lo, exec_lo, s3
	s_waitcnt lgkmcnt(0)
	s_waitcnt_vscnt null, 0x0
	s_barrier
	buffer_gl0_inv
	ds_load_b128 v[148:151], v133
	ds_load_b128 v[152:155], v133 offset:16
	ds_load_b128 v[160:163], v133 offset:1040
	;; [unrolled: 1-line block ×5, first 2 shown]
	v_cmp_eq_u32_e32 vcc_lo, 1, v132
	v_mov_b32_e32 v136, 0
	ds_load_b128 v[176:179], v133 offset:3088
	ds_load_b128 v[172:175], v133 offset:3072
	;; [unrolled: 1-line block ×4, first 2 shown]
	v_cmp_eq_u32_e64 s3, 1, v129
	v_cmp_eq_u32_e64 s4, 1, v131
	;; [unrolled: 1-line block ×3, first 2 shown]
	v_mov_b32_e32 v137, v136
	v_mov_b32_e32 v138, v136
	v_mov_b32_e32 v139, v136
	v_mov_b32_e32 v140, v136
	v_mov_b32_e32 v141, v136
	v_mov_b32_e32 v142, v136
	v_mov_b32_e32 v143, v136
	v_cmp_eq_u32_e64 s6, 2, v129
	s_waitcnt lgkmcnt(8)
	s_delay_alu instid0(VALU_DEP_2)
	v_wmma_f32_16x16x16_f16 v[136:143], v[121:128], v[148:155], v[136:143]
	ds_load_b128 v[125:128], v133 offset:5136
	ds_load_b128 v[121:124], v133 offset:5120
	s_waitcnt lgkmcnt(8)
	v_wmma_f32_16x16x16_f16 v[136:143], v[113:120], v[156:163], v[136:143]
	ds_load_b128 v[117:120], v133 offset:6160
	ds_load_b128 v[113:116], v133 offset:6144
	s_waitcnt lgkmcnt(8)
	;; [unrolled: 4-line block ×11, first 2 shown]
	s_barrier
	buffer_gl0_inv
	v_wmma_f32_16x16x16_f16 v[136:143], v[1:8], v[73:80], v[136:143]
	s_delay_alu instid0(VALU_DEP_1) | instskip(NEXT) | instid1(VALU_DEP_1)
	v_wmma_f32_16x16x16_f16 v[136:143], v[9:16], v[65:72], v[136:143]
	v_wmma_f32_16x16x16_f16 v[136:143], v[33:40], v[57:64], v[136:143]
	s_delay_alu instid0(VALU_DEP_1) | instskip(NEXT) | instid1(VALU_DEP_1)
	v_wmma_f32_16x16x16_f16 v[136:143], v[41:48], v[49:56], v[136:143]
	v_wmma_f32_16x16x16_f16 v[136:143], v[17:24], v[25:32], v[136:143]
	s_delay_alu instid0(VALU_DEP_1) | instskip(NEXT) | instid1(VALU_DEP_2)
	v_cvt_f16_f32_e64 v1, v136
	v_cvt_f16_f32_e64 v2, v137
	s_delay_alu instid0(VALU_DEP_3) | instskip(NEXT) | instid1(VALU_DEP_4)
	v_cvt_f16_f32_e64 v3, v138
	v_cvt_f16_f32_e64 v4, v139
	;; [unrolled: 1-line block ×6, first 2 shown]
	v_pack_b32_f16 v1, v1, v2
	v_pack_b32_f16 v2, v3, v4
	v_pack_b32_f16 v3, v5, v6
	s_delay_alu instid0(VALU_DEP_4)
	v_pack_b32_f16 v4, v7, v8
	ds_store_b128 v134, v[1:4]
	s_waitcnt lgkmcnt(0)
	s_barrier
	buffer_gl0_inv
	ds_load_b128 v[1:4], v135
	ds_load_b128 v[5:8], v135 offset:16
	s_waitcnt lgkmcnt(1)
	v_lshrrev_b32_e32 v9, 16, v1
	s_waitcnt lgkmcnt(0)
	v_lshrrev_b32_e32 v13, 16, v5
	v_lshrrev_b32_e32 v10, 16, v2
	;; [unrolled: 1-line block ×4, first 2 shown]
	v_cndmask_b32_e64 v17, v1, v9, s3
	v_cndmask_b32_e64 v18, v5, v13, s3
	;; [unrolled: 1-line block ×3, first 2 shown]
	v_cmp_eq_u32_e64 s3, 2, v130
	v_cndmask_b32_e64 v20, v5, v13, s5
	v_cndmask_b32_e32 v21, v1, v9, vcc_lo
	v_cndmask_b32_e32 v22, v5, v13, vcc_lo
	v_cndmask_b32_e64 v1, v1, v9, s4
	v_cndmask_b32_e64 v5, v5, v13, s4
	v_cmp_eq_u32_e32 vcc_lo, 2, v132
	v_cmp_eq_u32_e64 s4, 2, v131
	v_cndmask_b32_e64 v9, v17, v2, s6
	v_cndmask_b32_e64 v13, v18, v6, s6
	;; [unrolled: 1-line block ×4, first 2 shown]
	v_cndmask_b32_e32 v19, v21, v2, vcc_lo
	v_cmp_eq_u32_e64 s3, 3, v132
	v_cndmask_b32_e32 v20, v22, v6, vcc_lo
	v_cndmask_b32_e64 v1, v1, v2, s4
	v_cmp_eq_u32_e32 vcc_lo, 3, v131
	v_cmp_eq_u32_e64 s5, 3, v129
	v_cndmask_b32_e64 v2, v5, v6, s4
	v_cmp_eq_u32_e64 s4, 3, v130
	v_cmp_eq_u32_e64 s6, 4, v129
	v_cndmask_b32_e32 v1, v1, v10, vcc_lo
	v_cndmask_b32_e64 v5, v9, v10, s5
	v_cndmask_b32_e64 v6, v13, v14, s5
	;; [unrolled: 1-line block ×3, first 2 shown]
	v_cmp_eq_u32_e64 s5, 4, v130
	v_cndmask_b32_e64 v13, v18, v14, s4
	v_cndmask_b32_e64 v17, v19, v10, s3
	;; [unrolled: 1-line block ×3, first 2 shown]
	v_cndmask_b32_e32 v2, v2, v14, vcc_lo
	v_cmp_eq_u32_e32 vcc_lo, 4, v132
	v_cmp_eq_u32_e64 s4, 4, v131
	v_lshrrev_b32_e32 v15, 16, v7
	v_cndmask_b32_e64 v5, v5, v3, s6
	v_cndmask_b32_e64 v6, v6, v7, s6
	v_cndmask_b32_e32 v14, v18, v7, vcc_lo
	v_cndmask_b32_e64 v9, v9, v3, s5
	v_cndmask_b32_e64 v10, v13, v7, s5
	v_cndmask_b32_e32 v13, v17, v3, vcc_lo
	v_cmp_eq_u32_e64 s3, 5, v132
	v_cndmask_b32_e64 v1, v1, v3, s4
	v_cmp_eq_u32_e32 vcc_lo, 5, v131
	v_cmp_eq_u32_e64 s5, 5, v129
	v_cndmask_b32_e64 v2, v2, v7, s4
	v_cmp_eq_u32_e64 s4, 5, v130
	v_cmp_eq_u32_e64 s6, 6, v129
	v_lshrrev_b32_e32 v12, 16, v4
	v_cndmask_b32_e64 v3, v5, v11, s5
	v_cndmask_b32_e64 v5, v6, v15, s5
	;; [unrolled: 1-line block ×3, first 2 shown]
	v_cmp_eq_u32_e64 s5, 6, v130
	v_cndmask_b32_e64 v7, v10, v15, s4
	v_cndmask_b32_e64 v9, v13, v11, s3
	;; [unrolled: 1-line block ×3, first 2 shown]
	v_cndmask_b32_e32 v1, v1, v11, vcc_lo
	v_cndmask_b32_e32 v2, v2, v15, vcc_lo
	v_cmp_eq_u32_e32 vcc_lo, 6, v132
	v_cmp_eq_u32_e64 s3, 6, v131
	v_lshrrev_b32_e32 v16, 16, v8
	v_cndmask_b32_e64 v3, v3, v4, s6
	v_cndmask_b32_e64 v5, v5, v8, s6
	v_cndmask_b32_e32 v9, v9, v4, vcc_lo
	v_cndmask_b32_e64 v6, v6, v4, s5
	v_cndmask_b32_e64 v7, v7, v8, s5
	v_cmp_eq_u32_e64 s4, 7, v132
	v_cndmask_b32_e32 v10, v10, v8, vcc_lo
	v_cndmask_b32_e64 v1, v1, v4, s3
	v_cmp_eq_u32_e32 vcc_lo, 7, v131
	v_cndmask_b32_e64 v2, v2, v8, s3
	v_cmp_eq_u32_e64 s3, 7, v129
	v_cmp_eq_u32_e64 s5, 7, v130
	v_cndmask_b32_e32 v1, v1, v12, vcc_lo
	s_delay_alu instid0(VALU_DEP_4) | instskip(NEXT) | instid1(VALU_DEP_4)
	v_cndmask_b32_e32 v2, v2, v16, vcc_lo
	v_cndmask_b32_e64 v8, v3, v12, s3
	s_delay_alu instid0(VALU_DEP_4)
	v_cndmask_b32_e64 v6, v6, v12, s5
	v_cndmask_b32_e64 v3, v9, v12, s4
	;; [unrolled: 1-line block ×5, first 2 shown]
	v_cmp_gt_u32_e32 vcc_lo, 32, v0
	v_perm_b32 v4, v2, v1, 0x5040100
	v_perm_b32 v3, v9, v3, 0x5040100
	;; [unrolled: 1-line block ×4, first 2 shown]
	s_and_b32 s2, vcc_lo, s2
	ds_store_b128 v134, v[1:4]
	s_waitcnt lgkmcnt(0)
	s_barrier
	buffer_gl0_inv
	s_and_saveexec_b32 s3, s2
	s_cbranch_execz .LBB57_2
; %bb.15:
	s_load_b64 s[0:1], s[0:1], 0x68
	v_lshlrev_b32_e32 v0, 10, v0
	v_or_b32_e32 v1, s31, v147
	s_lshl_b32 s4, s35, 6
	v_lshlrev_b32_e32 v2, 4, v146
	s_mul_i32 s2, s4, s34
	v_lshlrev_b32_e32 v3, 6, v147
	v_mul_lo_u32 v8, v1, s4
	v_and_b32_e32 v0, 0x3800, v0
	v_or_b32_e32 v1, 2, v1
	s_mul_i32 s2, s2, s7
	s_delay_alu instid0(SALU_CYCLE_1) | instskip(NEXT) | instid1(VALU_DEP_2)
	s_ashr_i32 s3, s2, 31
	v_or3_b32 v4, v0, v2, v3
	s_lshl_b64 s[2:3], s[2:3], 1
	v_mul_lo_u32 v10, v1, s4
	v_ashrrev_i32_e32 v9, 31, v8
	ds_load_b128 v[0:3], v4
	ds_load_b128 v[4:7], v4 offset:128
	s_waitcnt lgkmcnt(0)
	s_add_u32 s2, s0, s2
	s_addc_u32 s3, s1, s3
	s_lshl_b32 s0, s14, 6
	v_ashrrev_i32_e32 v11, 31, v10
	s_ashr_i32 s1, s0, 31
	v_lshlrev_b64 v[8:9], 1, v[8:9]
	s_lshl_b64 s[0:1], s[0:1], 1
	s_delay_alu instid0(SALU_CYCLE_1) | instskip(SKIP_2) | instid1(VALU_DEP_1)
	s_add_u32 s0, s2, s0
	s_addc_u32 s1, s3, s1
	v_add_co_u32 v12, s0, s0, v145
	v_add_co_ci_u32_e64 v13, null, s1, 0, s0
	v_lshlrev_b64 v[10:11], 1, v[10:11]
	s_delay_alu instid0(VALU_DEP_3) | instskip(NEXT) | instid1(VALU_DEP_3)
	v_add_co_u32 v8, vcc_lo, v12, v8
	v_add_co_ci_u32_e32 v9, vcc_lo, v13, v9, vcc_lo
	s_delay_alu instid0(VALU_DEP_3) | instskip(NEXT) | instid1(VALU_DEP_4)
	v_add_co_u32 v10, vcc_lo, v12, v10
	v_add_co_ci_u32_e32 v11, vcc_lo, v13, v11, vcc_lo
	s_clause 0x1
	global_store_b128 v[8:9], v[0:3], off
	global_store_b128 v[10:11], v[4:7], off
	s_nop 0
	s_sendmsg sendmsg(MSG_DEALLOC_VGPRS)
	s_endpgm
	.section	.rodata,"a",@progbits
	.p2align	6, 0x0
	.amdhsa_kernel _Z39paged_attention_ll4mi_QKV_mfma16_kernelIDF16_DF16_LN4vllm18Fp8KVCacheDataTypeE0EhLi16ELi64ELi256ELb0ELi4EL8MFMAType0EEvPKT_PKT0_S8_ifPKiSA_SA_iPKfiiiPfSD_PS3_PT2_iSC_SC_
		.amdhsa_group_segment_fixed_size 17472
		.amdhsa_private_segment_fixed_size 0
		.amdhsa_kernarg_size 400
		.amdhsa_user_sgpr_count 13
		.amdhsa_user_sgpr_dispatch_ptr 0
		.amdhsa_user_sgpr_queue_ptr 0
		.amdhsa_user_sgpr_kernarg_segment_ptr 1
		.amdhsa_user_sgpr_dispatch_id 0
		.amdhsa_user_sgpr_private_segment_size 0
		.amdhsa_wavefront_size32 1
		.amdhsa_uses_dynamic_stack 0
		.amdhsa_enable_private_segment 0
		.amdhsa_system_sgpr_workgroup_id_x 1
		.amdhsa_system_sgpr_workgroup_id_y 1
		.amdhsa_system_sgpr_workgroup_id_z 1
		.amdhsa_system_sgpr_workgroup_info 0
		.amdhsa_system_vgpr_workitem_id 0
		.amdhsa_next_free_vgpr 198
		.amdhsa_next_free_sgpr 52
		.amdhsa_reserve_vcc 1
		.amdhsa_float_round_mode_32 0
		.amdhsa_float_round_mode_16_64 0
		.amdhsa_float_denorm_mode_32 3
		.amdhsa_float_denorm_mode_16_64 3
		.amdhsa_dx10_clamp 1
		.amdhsa_ieee_mode 1
		.amdhsa_fp16_overflow 0
		.amdhsa_workgroup_processor_mode 1
		.amdhsa_memory_ordered 1
		.amdhsa_forward_progress 0
		.amdhsa_shared_vgpr_count 0
		.amdhsa_exception_fp_ieee_invalid_op 0
		.amdhsa_exception_fp_denorm_src 0
		.amdhsa_exception_fp_ieee_div_zero 0
		.amdhsa_exception_fp_ieee_overflow 0
		.amdhsa_exception_fp_ieee_underflow 0
		.amdhsa_exception_fp_ieee_inexact 0
		.amdhsa_exception_int_div_zero 0
	.end_amdhsa_kernel
	.section	.text._Z39paged_attention_ll4mi_QKV_mfma16_kernelIDF16_DF16_LN4vllm18Fp8KVCacheDataTypeE0EhLi16ELi64ELi256ELb0ELi4EL8MFMAType0EEvPKT_PKT0_S8_ifPKiSA_SA_iPKfiiiPfSD_PS3_PT2_iSC_SC_,"axG",@progbits,_Z39paged_attention_ll4mi_QKV_mfma16_kernelIDF16_DF16_LN4vllm18Fp8KVCacheDataTypeE0EhLi16ELi64ELi256ELb0ELi4EL8MFMAType0EEvPKT_PKT0_S8_ifPKiSA_SA_iPKfiiiPfSD_PS3_PT2_iSC_SC_,comdat
.Lfunc_end57:
	.size	_Z39paged_attention_ll4mi_QKV_mfma16_kernelIDF16_DF16_LN4vllm18Fp8KVCacheDataTypeE0EhLi16ELi64ELi256ELb0ELi4EL8MFMAType0EEvPKT_PKT0_S8_ifPKiSA_SA_iPKfiiiPfSD_PS3_PT2_iSC_SC_, .Lfunc_end57-_Z39paged_attention_ll4mi_QKV_mfma16_kernelIDF16_DF16_LN4vllm18Fp8KVCacheDataTypeE0EhLi16ELi64ELi256ELb0ELi4EL8MFMAType0EEvPKT_PKT0_S8_ifPKiSA_SA_iPKfiiiPfSD_PS3_PT2_iSC_SC_
                                        ; -- End function
	.section	.AMDGPU.csdata,"",@progbits
; Kernel info:
; codeLenInByte = 7692
; NumSgprs: 54
; NumVgprs: 198
; ScratchSize: 0
; MemoryBound: 0
; FloatMode: 240
; IeeeMode: 1
; LDSByteSize: 17472 bytes/workgroup (compile time only)
; SGPRBlocks: 6
; VGPRBlocks: 24
; NumSGPRsForWavesPerEU: 54
; NumVGPRsForWavesPerEU: 198
; Occupancy: 7
; WaveLimiterHint : 1
; COMPUTE_PGM_RSRC2:SCRATCH_EN: 0
; COMPUTE_PGM_RSRC2:USER_SGPR: 13
; COMPUTE_PGM_RSRC2:TRAP_HANDLER: 0
; COMPUTE_PGM_RSRC2:TGID_X_EN: 1
; COMPUTE_PGM_RSRC2:TGID_Y_EN: 1
; COMPUTE_PGM_RSRC2:TGID_Z_EN: 1
; COMPUTE_PGM_RSRC2:TIDIG_COMP_CNT: 0
	.section	.text._Z38paged_attention_ll4mi_QKV_mfma4_kernelIDF16_DF16_LN4vllm18Fp8KVCacheDataTypeE0EDF16_Li16ELi64ELi256ELb1ELi1EEvPKT_PKT0_S7_ifPKiS9_S9_iPKfiiiPfSC_PS2_PT2_iSB_SB_,"axG",@progbits,_Z38paged_attention_ll4mi_QKV_mfma4_kernelIDF16_DF16_LN4vllm18Fp8KVCacheDataTypeE0EDF16_Li16ELi64ELi256ELb1ELi1EEvPKT_PKT0_S7_ifPKiS9_S9_iPKfiiiPfSC_PS2_PT2_iSB_SB_,comdat
	.protected	_Z38paged_attention_ll4mi_QKV_mfma4_kernelIDF16_DF16_LN4vllm18Fp8KVCacheDataTypeE0EDF16_Li16ELi64ELi256ELb1ELi1EEvPKT_PKT0_S7_ifPKiS9_S9_iPKfiiiPfSC_PS2_PT2_iSB_SB_ ; -- Begin function _Z38paged_attention_ll4mi_QKV_mfma4_kernelIDF16_DF16_LN4vllm18Fp8KVCacheDataTypeE0EDF16_Li16ELi64ELi256ELb1ELi1EEvPKT_PKT0_S7_ifPKiS9_S9_iPKfiiiPfSC_PS2_PT2_iSB_SB_
	.globl	_Z38paged_attention_ll4mi_QKV_mfma4_kernelIDF16_DF16_LN4vllm18Fp8KVCacheDataTypeE0EDF16_Li16ELi64ELi256ELb1ELi1EEvPKT_PKT0_S7_ifPKiS9_S9_iPKfiiiPfSC_PS2_PT2_iSB_SB_
	.p2align	8
	.type	_Z38paged_attention_ll4mi_QKV_mfma4_kernelIDF16_DF16_LN4vllm18Fp8KVCacheDataTypeE0EDF16_Li16ELi64ELi256ELb1ELi1EEvPKT_PKT0_S7_ifPKiS9_S9_iPKfiiiPfSC_PS2_PT2_iSB_SB_,@function
_Z38paged_attention_ll4mi_QKV_mfma4_kernelIDF16_DF16_LN4vllm18Fp8KVCacheDataTypeE0EDF16_Li16ELi64ELi256ELb1ELi1EEvPKT_PKT0_S7_ifPKiS9_S9_iPKfiiiPfSC_PS2_PT2_iSB_SB_: ; @_Z38paged_attention_ll4mi_QKV_mfma4_kernelIDF16_DF16_LN4vllm18Fp8KVCacheDataTypeE0EDF16_Li16ELi64ELi256ELb1ELi1EEvPKT_PKT0_S7_ifPKiS9_S9_iPKfiiiPfSC_PS2_PT2_iSB_SB_
; %bb.0:
	s_add_u32 s8, s0, 0x90
	s_addc_u32 s9, s1, 0
	s_getpc_b64 s[0:1]
	s_add_u32 s0, s0, __PRETTY_FUNCTION__._Z38paged_attention_ll4mi_QKV_mfma4_kernelIDF16_DF16_LN4vllm18Fp8KVCacheDataTypeE0EDF16_Li16ELi64ELi256ELb1ELi1EEvPKT_PKT0_S7_ifPKiS9_S9_iPKfiiiPfSC_PS2_PT2_iSB_SB_@rel32@lo+4
	s_addc_u32 s1, s1, __PRETTY_FUNCTION__._Z38paged_attention_ll4mi_QKV_mfma4_kernelIDF16_DF16_LN4vllm18Fp8KVCacheDataTypeE0EDF16_Li16ELi64ELi256ELb1ELi1EEvPKT_PKT0_S7_ifPKiS9_S9_iPKfiiiPfSC_PS2_PT2_iSB_SB_@rel32@hi+12
	s_delay_alu instid0(SALU_CYCLE_1) | instskip(SKIP_4) | instid1(SALU_CYCLE_1)
	v_dual_mov_b32 v0, s0 :: v_dual_mov_b32 v1, s1
	s_mov_b32 s32, 0
	s_getpc_b64 s[2:3]
	s_add_u32 s2, s2, __assert_fail@rel32@lo+4
	s_addc_u32 s3, s3, __assert_fail@rel32@hi+12
	s_swappc_b64 s[30:31], s[2:3]
	.section	.rodata,"a",@progbits
	.p2align	6, 0x0
	.amdhsa_kernel _Z38paged_attention_ll4mi_QKV_mfma4_kernelIDF16_DF16_LN4vllm18Fp8KVCacheDataTypeE0EDF16_Li16ELi64ELi256ELb1ELi1EEvPKT_PKT0_S7_ifPKiS9_S9_iPKfiiiPfSC_PS2_PT2_iSB_SB_
		.amdhsa_group_segment_fixed_size 0
		.amdhsa_private_segment_fixed_size 64
		.amdhsa_kernarg_size 400
		.amdhsa_user_sgpr_count 15
		.amdhsa_user_sgpr_dispatch_ptr 0
		.amdhsa_user_sgpr_queue_ptr 0
		.amdhsa_user_sgpr_kernarg_segment_ptr 1
		.amdhsa_user_sgpr_dispatch_id 0
		.amdhsa_user_sgpr_private_segment_size 0
		.amdhsa_wavefront_size32 1
		.amdhsa_uses_dynamic_stack 0
		.amdhsa_enable_private_segment 1
		.amdhsa_system_sgpr_workgroup_id_x 1
		.amdhsa_system_sgpr_workgroup_id_y 0
		.amdhsa_system_sgpr_workgroup_id_z 0
		.amdhsa_system_sgpr_workgroup_info 0
		.amdhsa_system_vgpr_workitem_id 0
		.amdhsa_next_free_vgpr 41
		.amdhsa_next_free_sgpr 34
		.amdhsa_reserve_vcc 1
		.amdhsa_float_round_mode_32 0
		.amdhsa_float_round_mode_16_64 0
		.amdhsa_float_denorm_mode_32 3
		.amdhsa_float_denorm_mode_16_64 3
		.amdhsa_dx10_clamp 1
		.amdhsa_ieee_mode 1
		.amdhsa_fp16_overflow 0
		.amdhsa_workgroup_processor_mode 1
		.amdhsa_memory_ordered 1
		.amdhsa_forward_progress 0
		.amdhsa_shared_vgpr_count 0
		.amdhsa_exception_fp_ieee_invalid_op 0
		.amdhsa_exception_fp_denorm_src 0
		.amdhsa_exception_fp_ieee_div_zero 0
		.amdhsa_exception_fp_ieee_overflow 0
		.amdhsa_exception_fp_ieee_underflow 0
		.amdhsa_exception_fp_ieee_inexact 0
		.amdhsa_exception_int_div_zero 0
	.end_amdhsa_kernel
	.section	.text._Z38paged_attention_ll4mi_QKV_mfma4_kernelIDF16_DF16_LN4vllm18Fp8KVCacheDataTypeE0EDF16_Li16ELi64ELi256ELb1ELi1EEvPKT_PKT0_S7_ifPKiS9_S9_iPKfiiiPfSC_PS2_PT2_iSB_SB_,"axG",@progbits,_Z38paged_attention_ll4mi_QKV_mfma4_kernelIDF16_DF16_LN4vllm18Fp8KVCacheDataTypeE0EDF16_Li16ELi64ELi256ELb1ELi1EEvPKT_PKT0_S7_ifPKiS9_S9_iPKfiiiPfSC_PS2_PT2_iSB_SB_,comdat
.Lfunc_end58:
	.size	_Z38paged_attention_ll4mi_QKV_mfma4_kernelIDF16_DF16_LN4vllm18Fp8KVCacheDataTypeE0EDF16_Li16ELi64ELi256ELb1ELi1EEvPKT_PKT0_S7_ifPKiS9_S9_iPKfiiiPfSC_PS2_PT2_iSB_SB_, .Lfunc_end58-_Z38paged_attention_ll4mi_QKV_mfma4_kernelIDF16_DF16_LN4vllm18Fp8KVCacheDataTypeE0EDF16_Li16ELi64ELi256ELb1ELi1EEvPKT_PKT0_S7_ifPKiS9_S9_iPKfiiiPfSC_PS2_PT2_iSB_SB_
                                        ; -- End function
	.section	.AMDGPU.csdata,"",@progbits
; Kernel info:
; codeLenInByte = 72
; NumSgprs: 36
; NumVgprs: 41
; ScratchSize: 64
; MemoryBound: 0
; FloatMode: 240
; IeeeMode: 1
; LDSByteSize: 0 bytes/workgroup (compile time only)
; SGPRBlocks: 4
; VGPRBlocks: 5
; NumSGPRsForWavesPerEU: 36
; NumVGPRsForWavesPerEU: 41
; Occupancy: 16
; WaveLimiterHint : 1
; COMPUTE_PGM_RSRC2:SCRATCH_EN: 1
; COMPUTE_PGM_RSRC2:USER_SGPR: 15
; COMPUTE_PGM_RSRC2:TRAP_HANDLER: 0
; COMPUTE_PGM_RSRC2:TGID_X_EN: 1
; COMPUTE_PGM_RSRC2:TGID_Y_EN: 0
; COMPUTE_PGM_RSRC2:TGID_Z_EN: 0
; COMPUTE_PGM_RSRC2:TIDIG_COMP_CNT: 0
	.section	.text._Z38paged_attention_ll4mi_QKV_mfma4_kernelIDF16_DF16_LN4vllm18Fp8KVCacheDataTypeE0EDF16_Li16ELi64ELi256ELb1ELi2EEvPKT_PKT0_S7_ifPKiS9_S9_iPKfiiiPfSC_PS2_PT2_iSB_SB_,"axG",@progbits,_Z38paged_attention_ll4mi_QKV_mfma4_kernelIDF16_DF16_LN4vllm18Fp8KVCacheDataTypeE0EDF16_Li16ELi64ELi256ELb1ELi2EEvPKT_PKT0_S7_ifPKiS9_S9_iPKfiiiPfSC_PS2_PT2_iSB_SB_,comdat
	.protected	_Z38paged_attention_ll4mi_QKV_mfma4_kernelIDF16_DF16_LN4vllm18Fp8KVCacheDataTypeE0EDF16_Li16ELi64ELi256ELb1ELi2EEvPKT_PKT0_S7_ifPKiS9_S9_iPKfiiiPfSC_PS2_PT2_iSB_SB_ ; -- Begin function _Z38paged_attention_ll4mi_QKV_mfma4_kernelIDF16_DF16_LN4vllm18Fp8KVCacheDataTypeE0EDF16_Li16ELi64ELi256ELb1ELi2EEvPKT_PKT0_S7_ifPKiS9_S9_iPKfiiiPfSC_PS2_PT2_iSB_SB_
	.globl	_Z38paged_attention_ll4mi_QKV_mfma4_kernelIDF16_DF16_LN4vllm18Fp8KVCacheDataTypeE0EDF16_Li16ELi64ELi256ELb1ELi2EEvPKT_PKT0_S7_ifPKiS9_S9_iPKfiiiPfSC_PS2_PT2_iSB_SB_
	.p2align	8
	.type	_Z38paged_attention_ll4mi_QKV_mfma4_kernelIDF16_DF16_LN4vllm18Fp8KVCacheDataTypeE0EDF16_Li16ELi64ELi256ELb1ELi2EEvPKT_PKT0_S7_ifPKiS9_S9_iPKfiiiPfSC_PS2_PT2_iSB_SB_,@function
_Z38paged_attention_ll4mi_QKV_mfma4_kernelIDF16_DF16_LN4vllm18Fp8KVCacheDataTypeE0EDF16_Li16ELi64ELi256ELb1ELi2EEvPKT_PKT0_S7_ifPKiS9_S9_iPKfiiiPfSC_PS2_PT2_iSB_SB_: ; @_Z38paged_attention_ll4mi_QKV_mfma4_kernelIDF16_DF16_LN4vllm18Fp8KVCacheDataTypeE0EDF16_Li16ELi64ELi256ELb1ELi2EEvPKT_PKT0_S7_ifPKiS9_S9_iPKfiiiPfSC_PS2_PT2_iSB_SB_
; %bb.0:
	s_add_u32 s8, s0, 0x90
	s_addc_u32 s9, s1, 0
	s_getpc_b64 s[0:1]
	s_add_u32 s0, s0, __PRETTY_FUNCTION__._Z38paged_attention_ll4mi_QKV_mfma4_kernelIDF16_DF16_LN4vllm18Fp8KVCacheDataTypeE0EDF16_Li16ELi64ELi256ELb1ELi2EEvPKT_PKT0_S7_ifPKiS9_S9_iPKfiiiPfSC_PS2_PT2_iSB_SB_@rel32@lo+4
	s_addc_u32 s1, s1, __PRETTY_FUNCTION__._Z38paged_attention_ll4mi_QKV_mfma4_kernelIDF16_DF16_LN4vllm18Fp8KVCacheDataTypeE0EDF16_Li16ELi64ELi256ELb1ELi2EEvPKT_PKT0_S7_ifPKiS9_S9_iPKfiiiPfSC_PS2_PT2_iSB_SB_@rel32@hi+12
	s_delay_alu instid0(SALU_CYCLE_1) | instskip(SKIP_4) | instid1(SALU_CYCLE_1)
	v_dual_mov_b32 v0, s0 :: v_dual_mov_b32 v1, s1
	s_mov_b32 s32, 0
	s_getpc_b64 s[2:3]
	s_add_u32 s2, s2, __assert_fail@rel32@lo+4
	s_addc_u32 s3, s3, __assert_fail@rel32@hi+12
	s_swappc_b64 s[30:31], s[2:3]
	.section	.rodata,"a",@progbits
	.p2align	6, 0x0
	.amdhsa_kernel _Z38paged_attention_ll4mi_QKV_mfma4_kernelIDF16_DF16_LN4vllm18Fp8KVCacheDataTypeE0EDF16_Li16ELi64ELi256ELb1ELi2EEvPKT_PKT0_S7_ifPKiS9_S9_iPKfiiiPfSC_PS2_PT2_iSB_SB_
		.amdhsa_group_segment_fixed_size 0
		.amdhsa_private_segment_fixed_size 64
		.amdhsa_kernarg_size 400
		.amdhsa_user_sgpr_count 15
		.amdhsa_user_sgpr_dispatch_ptr 0
		.amdhsa_user_sgpr_queue_ptr 0
		.amdhsa_user_sgpr_kernarg_segment_ptr 1
		.amdhsa_user_sgpr_dispatch_id 0
		.amdhsa_user_sgpr_private_segment_size 0
		.amdhsa_wavefront_size32 1
		.amdhsa_uses_dynamic_stack 0
		.amdhsa_enable_private_segment 1
		.amdhsa_system_sgpr_workgroup_id_x 1
		.amdhsa_system_sgpr_workgroup_id_y 0
		.amdhsa_system_sgpr_workgroup_id_z 0
		.amdhsa_system_sgpr_workgroup_info 0
		.amdhsa_system_vgpr_workitem_id 0
		.amdhsa_next_free_vgpr 41
		.amdhsa_next_free_sgpr 34
		.amdhsa_reserve_vcc 1
		.amdhsa_float_round_mode_32 0
		.amdhsa_float_round_mode_16_64 0
		.amdhsa_float_denorm_mode_32 3
		.amdhsa_float_denorm_mode_16_64 3
		.amdhsa_dx10_clamp 1
		.amdhsa_ieee_mode 1
		.amdhsa_fp16_overflow 0
		.amdhsa_workgroup_processor_mode 1
		.amdhsa_memory_ordered 1
		.amdhsa_forward_progress 0
		.amdhsa_shared_vgpr_count 0
		.amdhsa_exception_fp_ieee_invalid_op 0
		.amdhsa_exception_fp_denorm_src 0
		.amdhsa_exception_fp_ieee_div_zero 0
		.amdhsa_exception_fp_ieee_overflow 0
		.amdhsa_exception_fp_ieee_underflow 0
		.amdhsa_exception_fp_ieee_inexact 0
		.amdhsa_exception_int_div_zero 0
	.end_amdhsa_kernel
	.section	.text._Z38paged_attention_ll4mi_QKV_mfma4_kernelIDF16_DF16_LN4vllm18Fp8KVCacheDataTypeE0EDF16_Li16ELi64ELi256ELb1ELi2EEvPKT_PKT0_S7_ifPKiS9_S9_iPKfiiiPfSC_PS2_PT2_iSB_SB_,"axG",@progbits,_Z38paged_attention_ll4mi_QKV_mfma4_kernelIDF16_DF16_LN4vllm18Fp8KVCacheDataTypeE0EDF16_Li16ELi64ELi256ELb1ELi2EEvPKT_PKT0_S7_ifPKiS9_S9_iPKfiiiPfSC_PS2_PT2_iSB_SB_,comdat
.Lfunc_end59:
	.size	_Z38paged_attention_ll4mi_QKV_mfma4_kernelIDF16_DF16_LN4vllm18Fp8KVCacheDataTypeE0EDF16_Li16ELi64ELi256ELb1ELi2EEvPKT_PKT0_S7_ifPKiS9_S9_iPKfiiiPfSC_PS2_PT2_iSB_SB_, .Lfunc_end59-_Z38paged_attention_ll4mi_QKV_mfma4_kernelIDF16_DF16_LN4vllm18Fp8KVCacheDataTypeE0EDF16_Li16ELi64ELi256ELb1ELi2EEvPKT_PKT0_S7_ifPKiS9_S9_iPKfiiiPfSC_PS2_PT2_iSB_SB_
                                        ; -- End function
	.section	.AMDGPU.csdata,"",@progbits
; Kernel info:
; codeLenInByte = 72
; NumSgprs: 36
; NumVgprs: 41
; ScratchSize: 64
; MemoryBound: 0
; FloatMode: 240
; IeeeMode: 1
; LDSByteSize: 0 bytes/workgroup (compile time only)
; SGPRBlocks: 4
; VGPRBlocks: 5
; NumSGPRsForWavesPerEU: 36
; NumVGPRsForWavesPerEU: 41
; Occupancy: 16
; WaveLimiterHint : 1
; COMPUTE_PGM_RSRC2:SCRATCH_EN: 1
; COMPUTE_PGM_RSRC2:USER_SGPR: 15
; COMPUTE_PGM_RSRC2:TRAP_HANDLER: 0
; COMPUTE_PGM_RSRC2:TGID_X_EN: 1
; COMPUTE_PGM_RSRC2:TGID_Y_EN: 0
; COMPUTE_PGM_RSRC2:TGID_Z_EN: 0
; COMPUTE_PGM_RSRC2:TIDIG_COMP_CNT: 0
	.section	.text._Z38paged_attention_ll4mi_QKV_mfma4_kernelIDF16_DF16_LN4vllm18Fp8KVCacheDataTypeE0EDF16_Li16ELi64ELi256ELb1ELi3EEvPKT_PKT0_S7_ifPKiS9_S9_iPKfiiiPfSC_PS2_PT2_iSB_SB_,"axG",@progbits,_Z38paged_attention_ll4mi_QKV_mfma4_kernelIDF16_DF16_LN4vllm18Fp8KVCacheDataTypeE0EDF16_Li16ELi64ELi256ELb1ELi3EEvPKT_PKT0_S7_ifPKiS9_S9_iPKfiiiPfSC_PS2_PT2_iSB_SB_,comdat
	.protected	_Z38paged_attention_ll4mi_QKV_mfma4_kernelIDF16_DF16_LN4vllm18Fp8KVCacheDataTypeE0EDF16_Li16ELi64ELi256ELb1ELi3EEvPKT_PKT0_S7_ifPKiS9_S9_iPKfiiiPfSC_PS2_PT2_iSB_SB_ ; -- Begin function _Z38paged_attention_ll4mi_QKV_mfma4_kernelIDF16_DF16_LN4vllm18Fp8KVCacheDataTypeE0EDF16_Li16ELi64ELi256ELb1ELi3EEvPKT_PKT0_S7_ifPKiS9_S9_iPKfiiiPfSC_PS2_PT2_iSB_SB_
	.globl	_Z38paged_attention_ll4mi_QKV_mfma4_kernelIDF16_DF16_LN4vllm18Fp8KVCacheDataTypeE0EDF16_Li16ELi64ELi256ELb1ELi3EEvPKT_PKT0_S7_ifPKiS9_S9_iPKfiiiPfSC_PS2_PT2_iSB_SB_
	.p2align	8
	.type	_Z38paged_attention_ll4mi_QKV_mfma4_kernelIDF16_DF16_LN4vllm18Fp8KVCacheDataTypeE0EDF16_Li16ELi64ELi256ELb1ELi3EEvPKT_PKT0_S7_ifPKiS9_S9_iPKfiiiPfSC_PS2_PT2_iSB_SB_,@function
_Z38paged_attention_ll4mi_QKV_mfma4_kernelIDF16_DF16_LN4vllm18Fp8KVCacheDataTypeE0EDF16_Li16ELi64ELi256ELb1ELi3EEvPKT_PKT0_S7_ifPKiS9_S9_iPKfiiiPfSC_PS2_PT2_iSB_SB_: ; @_Z38paged_attention_ll4mi_QKV_mfma4_kernelIDF16_DF16_LN4vllm18Fp8KVCacheDataTypeE0EDF16_Li16ELi64ELi256ELb1ELi3EEvPKT_PKT0_S7_ifPKiS9_S9_iPKfiiiPfSC_PS2_PT2_iSB_SB_
; %bb.0:
	s_add_u32 s8, s0, 0x90
	s_addc_u32 s9, s1, 0
	s_getpc_b64 s[0:1]
	s_add_u32 s0, s0, __PRETTY_FUNCTION__._Z38paged_attention_ll4mi_QKV_mfma4_kernelIDF16_DF16_LN4vllm18Fp8KVCacheDataTypeE0EDF16_Li16ELi64ELi256ELb1ELi3EEvPKT_PKT0_S7_ifPKiS9_S9_iPKfiiiPfSC_PS2_PT2_iSB_SB_@rel32@lo+4
	s_addc_u32 s1, s1, __PRETTY_FUNCTION__._Z38paged_attention_ll4mi_QKV_mfma4_kernelIDF16_DF16_LN4vllm18Fp8KVCacheDataTypeE0EDF16_Li16ELi64ELi256ELb1ELi3EEvPKT_PKT0_S7_ifPKiS9_S9_iPKfiiiPfSC_PS2_PT2_iSB_SB_@rel32@hi+12
	s_delay_alu instid0(SALU_CYCLE_1) | instskip(SKIP_4) | instid1(SALU_CYCLE_1)
	v_dual_mov_b32 v0, s0 :: v_dual_mov_b32 v1, s1
	s_mov_b32 s32, 0
	s_getpc_b64 s[2:3]
	s_add_u32 s2, s2, __assert_fail@rel32@lo+4
	s_addc_u32 s3, s3, __assert_fail@rel32@hi+12
	s_swappc_b64 s[30:31], s[2:3]
	.section	.rodata,"a",@progbits
	.p2align	6, 0x0
	.amdhsa_kernel _Z38paged_attention_ll4mi_QKV_mfma4_kernelIDF16_DF16_LN4vllm18Fp8KVCacheDataTypeE0EDF16_Li16ELi64ELi256ELb1ELi3EEvPKT_PKT0_S7_ifPKiS9_S9_iPKfiiiPfSC_PS2_PT2_iSB_SB_
		.amdhsa_group_segment_fixed_size 0
		.amdhsa_private_segment_fixed_size 64
		.amdhsa_kernarg_size 400
		.amdhsa_user_sgpr_count 15
		.amdhsa_user_sgpr_dispatch_ptr 0
		.amdhsa_user_sgpr_queue_ptr 0
		.amdhsa_user_sgpr_kernarg_segment_ptr 1
		.amdhsa_user_sgpr_dispatch_id 0
		.amdhsa_user_sgpr_private_segment_size 0
		.amdhsa_wavefront_size32 1
		.amdhsa_uses_dynamic_stack 0
		.amdhsa_enable_private_segment 1
		.amdhsa_system_sgpr_workgroup_id_x 1
		.amdhsa_system_sgpr_workgroup_id_y 0
		.amdhsa_system_sgpr_workgroup_id_z 0
		.amdhsa_system_sgpr_workgroup_info 0
		.amdhsa_system_vgpr_workitem_id 0
		.amdhsa_next_free_vgpr 41
		.amdhsa_next_free_sgpr 34
		.amdhsa_reserve_vcc 1
		.amdhsa_float_round_mode_32 0
		.amdhsa_float_round_mode_16_64 0
		.amdhsa_float_denorm_mode_32 3
		.amdhsa_float_denorm_mode_16_64 3
		.amdhsa_dx10_clamp 1
		.amdhsa_ieee_mode 1
		.amdhsa_fp16_overflow 0
		.amdhsa_workgroup_processor_mode 1
		.amdhsa_memory_ordered 1
		.amdhsa_forward_progress 0
		.amdhsa_shared_vgpr_count 0
		.amdhsa_exception_fp_ieee_invalid_op 0
		.amdhsa_exception_fp_denorm_src 0
		.amdhsa_exception_fp_ieee_div_zero 0
		.amdhsa_exception_fp_ieee_overflow 0
		.amdhsa_exception_fp_ieee_underflow 0
		.amdhsa_exception_fp_ieee_inexact 0
		.amdhsa_exception_int_div_zero 0
	.end_amdhsa_kernel
	.section	.text._Z38paged_attention_ll4mi_QKV_mfma4_kernelIDF16_DF16_LN4vllm18Fp8KVCacheDataTypeE0EDF16_Li16ELi64ELi256ELb1ELi3EEvPKT_PKT0_S7_ifPKiS9_S9_iPKfiiiPfSC_PS2_PT2_iSB_SB_,"axG",@progbits,_Z38paged_attention_ll4mi_QKV_mfma4_kernelIDF16_DF16_LN4vllm18Fp8KVCacheDataTypeE0EDF16_Li16ELi64ELi256ELb1ELi3EEvPKT_PKT0_S7_ifPKiS9_S9_iPKfiiiPfSC_PS2_PT2_iSB_SB_,comdat
.Lfunc_end60:
	.size	_Z38paged_attention_ll4mi_QKV_mfma4_kernelIDF16_DF16_LN4vllm18Fp8KVCacheDataTypeE0EDF16_Li16ELi64ELi256ELb1ELi3EEvPKT_PKT0_S7_ifPKiS9_S9_iPKfiiiPfSC_PS2_PT2_iSB_SB_, .Lfunc_end60-_Z38paged_attention_ll4mi_QKV_mfma4_kernelIDF16_DF16_LN4vllm18Fp8KVCacheDataTypeE0EDF16_Li16ELi64ELi256ELb1ELi3EEvPKT_PKT0_S7_ifPKiS9_S9_iPKfiiiPfSC_PS2_PT2_iSB_SB_
                                        ; -- End function
	.section	.AMDGPU.csdata,"",@progbits
; Kernel info:
; codeLenInByte = 72
; NumSgprs: 36
; NumVgprs: 41
; ScratchSize: 64
; MemoryBound: 0
; FloatMode: 240
; IeeeMode: 1
; LDSByteSize: 0 bytes/workgroup (compile time only)
; SGPRBlocks: 4
; VGPRBlocks: 5
; NumSGPRsForWavesPerEU: 36
; NumVGPRsForWavesPerEU: 41
; Occupancy: 16
; WaveLimiterHint : 1
; COMPUTE_PGM_RSRC2:SCRATCH_EN: 1
; COMPUTE_PGM_RSRC2:USER_SGPR: 15
; COMPUTE_PGM_RSRC2:TRAP_HANDLER: 0
; COMPUTE_PGM_RSRC2:TGID_X_EN: 1
; COMPUTE_PGM_RSRC2:TGID_Y_EN: 0
; COMPUTE_PGM_RSRC2:TGID_Z_EN: 0
; COMPUTE_PGM_RSRC2:TIDIG_COMP_CNT: 0
	.section	.text._Z38paged_attention_ll4mi_QKV_mfma4_kernelIDF16_DF16_LN4vllm18Fp8KVCacheDataTypeE0EDF16_Li16ELi64ELi256ELb1ELi4EEvPKT_PKT0_S7_ifPKiS9_S9_iPKfiiiPfSC_PS2_PT2_iSB_SB_,"axG",@progbits,_Z38paged_attention_ll4mi_QKV_mfma4_kernelIDF16_DF16_LN4vllm18Fp8KVCacheDataTypeE0EDF16_Li16ELi64ELi256ELb1ELi4EEvPKT_PKT0_S7_ifPKiS9_S9_iPKfiiiPfSC_PS2_PT2_iSB_SB_,comdat
	.protected	_Z38paged_attention_ll4mi_QKV_mfma4_kernelIDF16_DF16_LN4vllm18Fp8KVCacheDataTypeE0EDF16_Li16ELi64ELi256ELb1ELi4EEvPKT_PKT0_S7_ifPKiS9_S9_iPKfiiiPfSC_PS2_PT2_iSB_SB_ ; -- Begin function _Z38paged_attention_ll4mi_QKV_mfma4_kernelIDF16_DF16_LN4vllm18Fp8KVCacheDataTypeE0EDF16_Li16ELi64ELi256ELb1ELi4EEvPKT_PKT0_S7_ifPKiS9_S9_iPKfiiiPfSC_PS2_PT2_iSB_SB_
	.globl	_Z38paged_attention_ll4mi_QKV_mfma4_kernelIDF16_DF16_LN4vllm18Fp8KVCacheDataTypeE0EDF16_Li16ELi64ELi256ELb1ELi4EEvPKT_PKT0_S7_ifPKiS9_S9_iPKfiiiPfSC_PS2_PT2_iSB_SB_
	.p2align	8
	.type	_Z38paged_attention_ll4mi_QKV_mfma4_kernelIDF16_DF16_LN4vllm18Fp8KVCacheDataTypeE0EDF16_Li16ELi64ELi256ELb1ELi4EEvPKT_PKT0_S7_ifPKiS9_S9_iPKfiiiPfSC_PS2_PT2_iSB_SB_,@function
_Z38paged_attention_ll4mi_QKV_mfma4_kernelIDF16_DF16_LN4vllm18Fp8KVCacheDataTypeE0EDF16_Li16ELi64ELi256ELb1ELi4EEvPKT_PKT0_S7_ifPKiS9_S9_iPKfiiiPfSC_PS2_PT2_iSB_SB_: ; @_Z38paged_attention_ll4mi_QKV_mfma4_kernelIDF16_DF16_LN4vllm18Fp8KVCacheDataTypeE0EDF16_Li16ELi64ELi256ELb1ELi4EEvPKT_PKT0_S7_ifPKiS9_S9_iPKfiiiPfSC_PS2_PT2_iSB_SB_
; %bb.0:
	s_add_u32 s8, s0, 0x90
	s_addc_u32 s9, s1, 0
	s_getpc_b64 s[0:1]
	s_add_u32 s0, s0, __PRETTY_FUNCTION__._Z38paged_attention_ll4mi_QKV_mfma4_kernelIDF16_DF16_LN4vllm18Fp8KVCacheDataTypeE0EDF16_Li16ELi64ELi256ELb1ELi4EEvPKT_PKT0_S7_ifPKiS9_S9_iPKfiiiPfSC_PS2_PT2_iSB_SB_@rel32@lo+4
	s_addc_u32 s1, s1, __PRETTY_FUNCTION__._Z38paged_attention_ll4mi_QKV_mfma4_kernelIDF16_DF16_LN4vllm18Fp8KVCacheDataTypeE0EDF16_Li16ELi64ELi256ELb1ELi4EEvPKT_PKT0_S7_ifPKiS9_S9_iPKfiiiPfSC_PS2_PT2_iSB_SB_@rel32@hi+12
	s_delay_alu instid0(SALU_CYCLE_1) | instskip(SKIP_4) | instid1(SALU_CYCLE_1)
	v_dual_mov_b32 v0, s0 :: v_dual_mov_b32 v1, s1
	s_mov_b32 s32, 0
	s_getpc_b64 s[2:3]
	s_add_u32 s2, s2, __assert_fail@rel32@lo+4
	s_addc_u32 s3, s3, __assert_fail@rel32@hi+12
	s_swappc_b64 s[30:31], s[2:3]
	.section	.rodata,"a",@progbits
	.p2align	6, 0x0
	.amdhsa_kernel _Z38paged_attention_ll4mi_QKV_mfma4_kernelIDF16_DF16_LN4vllm18Fp8KVCacheDataTypeE0EDF16_Li16ELi64ELi256ELb1ELi4EEvPKT_PKT0_S7_ifPKiS9_S9_iPKfiiiPfSC_PS2_PT2_iSB_SB_
		.amdhsa_group_segment_fixed_size 0
		.amdhsa_private_segment_fixed_size 64
		.amdhsa_kernarg_size 400
		.amdhsa_user_sgpr_count 15
		.amdhsa_user_sgpr_dispatch_ptr 0
		.amdhsa_user_sgpr_queue_ptr 0
		.amdhsa_user_sgpr_kernarg_segment_ptr 1
		.amdhsa_user_sgpr_dispatch_id 0
		.amdhsa_user_sgpr_private_segment_size 0
		.amdhsa_wavefront_size32 1
		.amdhsa_uses_dynamic_stack 0
		.amdhsa_enable_private_segment 1
		.amdhsa_system_sgpr_workgroup_id_x 1
		.amdhsa_system_sgpr_workgroup_id_y 0
		.amdhsa_system_sgpr_workgroup_id_z 0
		.amdhsa_system_sgpr_workgroup_info 0
		.amdhsa_system_vgpr_workitem_id 0
		.amdhsa_next_free_vgpr 41
		.amdhsa_next_free_sgpr 34
		.amdhsa_reserve_vcc 1
		.amdhsa_float_round_mode_32 0
		.amdhsa_float_round_mode_16_64 0
		.amdhsa_float_denorm_mode_32 3
		.amdhsa_float_denorm_mode_16_64 3
		.amdhsa_dx10_clamp 1
		.amdhsa_ieee_mode 1
		.amdhsa_fp16_overflow 0
		.amdhsa_workgroup_processor_mode 1
		.amdhsa_memory_ordered 1
		.amdhsa_forward_progress 0
		.amdhsa_shared_vgpr_count 0
		.amdhsa_exception_fp_ieee_invalid_op 0
		.amdhsa_exception_fp_denorm_src 0
		.amdhsa_exception_fp_ieee_div_zero 0
		.amdhsa_exception_fp_ieee_overflow 0
		.amdhsa_exception_fp_ieee_underflow 0
		.amdhsa_exception_fp_ieee_inexact 0
		.amdhsa_exception_int_div_zero 0
	.end_amdhsa_kernel
	.section	.text._Z38paged_attention_ll4mi_QKV_mfma4_kernelIDF16_DF16_LN4vllm18Fp8KVCacheDataTypeE0EDF16_Li16ELi64ELi256ELb1ELi4EEvPKT_PKT0_S7_ifPKiS9_S9_iPKfiiiPfSC_PS2_PT2_iSB_SB_,"axG",@progbits,_Z38paged_attention_ll4mi_QKV_mfma4_kernelIDF16_DF16_LN4vllm18Fp8KVCacheDataTypeE0EDF16_Li16ELi64ELi256ELb1ELi4EEvPKT_PKT0_S7_ifPKiS9_S9_iPKfiiiPfSC_PS2_PT2_iSB_SB_,comdat
.Lfunc_end61:
	.size	_Z38paged_attention_ll4mi_QKV_mfma4_kernelIDF16_DF16_LN4vllm18Fp8KVCacheDataTypeE0EDF16_Li16ELi64ELi256ELb1ELi4EEvPKT_PKT0_S7_ifPKiS9_S9_iPKfiiiPfSC_PS2_PT2_iSB_SB_, .Lfunc_end61-_Z38paged_attention_ll4mi_QKV_mfma4_kernelIDF16_DF16_LN4vllm18Fp8KVCacheDataTypeE0EDF16_Li16ELi64ELi256ELb1ELi4EEvPKT_PKT0_S7_ifPKiS9_S9_iPKfiiiPfSC_PS2_PT2_iSB_SB_
                                        ; -- End function
	.section	.AMDGPU.csdata,"",@progbits
; Kernel info:
; codeLenInByte = 72
; NumSgprs: 36
; NumVgprs: 41
; ScratchSize: 64
; MemoryBound: 0
; FloatMode: 240
; IeeeMode: 1
; LDSByteSize: 0 bytes/workgroup (compile time only)
; SGPRBlocks: 4
; VGPRBlocks: 5
; NumSGPRsForWavesPerEU: 36
; NumVGPRsForWavesPerEU: 41
; Occupancy: 16
; WaveLimiterHint : 1
; COMPUTE_PGM_RSRC2:SCRATCH_EN: 1
; COMPUTE_PGM_RSRC2:USER_SGPR: 15
; COMPUTE_PGM_RSRC2:TRAP_HANDLER: 0
; COMPUTE_PGM_RSRC2:TGID_X_EN: 1
; COMPUTE_PGM_RSRC2:TGID_Y_EN: 0
; COMPUTE_PGM_RSRC2:TGID_Z_EN: 0
; COMPUTE_PGM_RSRC2:TIDIG_COMP_CNT: 0
	.section	.text._Z39paged_attention_ll4mi_QKV_mfma16_kernelIDF16_DF16_LN4vllm18Fp8KVCacheDataTypeE0EDF16_Li16ELi64ELi256ELb1ELi5EL8MFMAType0EEvPKT_PKT0_S8_ifPKiSA_SA_iPKfiiiPfSD_PS3_PT2_iSC_SC_,"axG",@progbits,_Z39paged_attention_ll4mi_QKV_mfma16_kernelIDF16_DF16_LN4vllm18Fp8KVCacheDataTypeE0EDF16_Li16ELi64ELi256ELb1ELi5EL8MFMAType0EEvPKT_PKT0_S8_ifPKiSA_SA_iPKfiiiPfSD_PS3_PT2_iSC_SC_,comdat
	.protected	_Z39paged_attention_ll4mi_QKV_mfma16_kernelIDF16_DF16_LN4vllm18Fp8KVCacheDataTypeE0EDF16_Li16ELi64ELi256ELb1ELi5EL8MFMAType0EEvPKT_PKT0_S8_ifPKiSA_SA_iPKfiiiPfSD_PS3_PT2_iSC_SC_ ; -- Begin function _Z39paged_attention_ll4mi_QKV_mfma16_kernelIDF16_DF16_LN4vllm18Fp8KVCacheDataTypeE0EDF16_Li16ELi64ELi256ELb1ELi5EL8MFMAType0EEvPKT_PKT0_S8_ifPKiSA_SA_iPKfiiiPfSD_PS3_PT2_iSC_SC_
	.globl	_Z39paged_attention_ll4mi_QKV_mfma16_kernelIDF16_DF16_LN4vllm18Fp8KVCacheDataTypeE0EDF16_Li16ELi64ELi256ELb1ELi5EL8MFMAType0EEvPKT_PKT0_S8_ifPKiSA_SA_iPKfiiiPfSD_PS3_PT2_iSC_SC_
	.p2align	8
	.type	_Z39paged_attention_ll4mi_QKV_mfma16_kernelIDF16_DF16_LN4vllm18Fp8KVCacheDataTypeE0EDF16_Li16ELi64ELi256ELb1ELi5EL8MFMAType0EEvPKT_PKT0_S8_ifPKiSA_SA_iPKfiiiPfSD_PS3_PT2_iSC_SC_,@function
_Z39paged_attention_ll4mi_QKV_mfma16_kernelIDF16_DF16_LN4vllm18Fp8KVCacheDataTypeE0EDF16_Li16ELi64ELi256ELb1ELi5EL8MFMAType0EEvPKT_PKT0_S8_ifPKiSA_SA_iPKfiiiPfSD_PS3_PT2_iSC_SC_: ; @_Z39paged_attention_ll4mi_QKV_mfma16_kernelIDF16_DF16_LN4vllm18Fp8KVCacheDataTypeE0EDF16_Li16ELi64ELi256ELb1ELi5EL8MFMAType0EEvPKT_PKT0_S8_ifPKiSA_SA_iPKfiiiPfSD_PS3_PT2_iSC_SC_
; %bb.0:
	s_load_b64 s[2:3], s[0:1], 0x30
	s_mov_b32 s34, s13
	s_waitcnt lgkmcnt(0)
	s_cmp_lg_u64 s[2:3], 0
	s_cselect_b32 s8, -1, 0
	s_ashr_i32 s35, s13, 31
	s_cmp_eq_u64 s[2:3], 0
	s_cbranch_scc1 .LBB62_3
; %bb.1:
	s_lshl_b64 s[4:5], s[34:35], 2
	s_delay_alu instid0(SALU_CYCLE_1) | instskip(SKIP_4) | instid1(SALU_CYCLE_1)
	s_add_u32 s4, s2, s4
	s_addc_u32 s5, s3, s5
	s_load_b64 s[4:5], s[4:5], 0x0
	s_waitcnt lgkmcnt(0)
	s_sub_i32 s4, s5, s4
	s_cmp_eq_u32 s4, 1
	s_cselect_b32 s4, -1, 0
	s_delay_alu instid0(SALU_CYCLE_1)
	s_and_not1_b32 vcc_lo, exec_lo, s4
	s_cbranch_vccz .LBB62_4
.LBB62_2:
	s_nop 0
	s_sendmsg sendmsg(MSG_DEALLOC_VGPRS)
	s_endpgm
.LBB62_3:
.LBB62_4:
	s_load_b64 s[4:5], s[0:1], 0x28
	s_lshl_b64 s[6:7], s[34:35], 2
	s_waitcnt lgkmcnt(0)
	s_add_u32 s4, s4, s6
	s_addc_u32 s5, s5, s7
	s_lshl_b32 s31, s14, 8
	s_load_b32 s30, s[4:5], 0x0
	s_waitcnt lgkmcnt(0)
	s_cmp_ge_i32 s31, s30
	s_cbranch_scc1 .LBB62_2
; %bb.5:
	s_clause 0x1
	s_load_b128 s[20:23], s[0:1], 0x8
	s_load_b64 s[4:5], s[0:1], 0x20
	s_and_not1_b32 vcc_lo, exec_lo, s8
	s_cbranch_vccnz .LBB62_7
; %bb.6:
	s_add_u32 s2, s2, s6
	s_addc_u32 s3, s3, s7
	s_load_b32 s3, s[2:3], 0x0
	s_branch .LBB62_8
.LBB62_7:
	s_mov_b32 s3, s34
.LBB62_8:
	s_load_b128 s[16:19], s[0:1], 0x48
	v_lshrrev_b32_e32 v149, 5, v0
	v_bfe_u32 v146, v0, 4, 1
	v_and_b32_e32 v148, 15, v0
	v_and_b32_e32 v150, 31, v0
	;; [unrolled: 1-line block ×3, first 2 shown]
	s_mul_i32 s33, s15, 5
	v_lshl_or_b32 v1, v149, 1, v146
	v_lshlrev_b32_e32 v2, 3, v148
	v_cmp_gt_u32_e64 s2, 8, v148
	s_delay_alu instid0(VALU_DEP_3) | instskip(NEXT) | instid1(VALU_DEP_3)
	v_cmp_gt_u32_e32 vcc_lo, 5, v1
	v_lshlrev_b32_e32 v145, 1, v2
	s_delay_alu instid0(VALU_DEP_3) | instskip(NEXT) | instid1(SALU_CYCLE_1)
	s_and_b32 s7, s2, vcc_lo
	s_and_saveexec_b32 s6, s7
	s_cbranch_execz .LBB62_10
; %bb.9:
	s_load_b64 s[8:9], s[0:1], 0x0
	v_add_lshl_u32 v2, v1, s33, 6
	s_waitcnt lgkmcnt(0)
	s_mul_hi_i32 s11, s3, s16
	s_mul_i32 s10, s3, s16
	v_lshlrev_b32_e32 v6, 10, v148
	s_lshl_b64 s[10:11], s[10:11], 1
	v_ashrrev_i32_e32 v3, 31, v2
	v_lshlrev_b32_e32 v1, 6, v1
	v_lshlrev_b32_e32 v7, 10, v147
	v_and_b32_e32 v6, 0x3800, v6
	s_delay_alu instid0(VALU_DEP_4) | instskip(NEXT) | instid1(VALU_DEP_2)
	v_lshlrev_b64 v[2:3], 1, v[2:3]
	v_or3_b32 v1, v6, v7, v1
	s_add_u32 s3, s8, s10
	s_addc_u32 s7, s9, s11
	s_delay_alu instid0(VALU_DEP_2) | instskip(NEXT) | instid1(VALU_DEP_3)
	v_add_co_u32 v2, vcc_lo, s3, v2
	v_add_co_ci_u32_e32 v3, vcc_lo, s7, v3, vcc_lo
	s_delay_alu instid0(VALU_DEP_2) | instskip(NEXT) | instid1(VALU_DEP_2)
	v_add_co_u32 v2, vcc_lo, v2, v145
	v_add_co_ci_u32_e32 v3, vcc_lo, 0, v3, vcc_lo
	global_load_b128 v[2:5], v[2:3], off
	s_waitcnt vmcnt(0)
	ds_store_b128 v1, v[2:5]
.LBB62_10:
	s_or_b32 exec_lo, exec_lo, s6
	v_and_b32_e32 v1, 0xef, v0
	s_waitcnt lgkmcnt(0)
	s_add_i32 s3, s30, 15
	s_clause 0x1
	s_load_b32 s6, s[0:1], 0x38
	s_load_b32 s35, s[0:1], 0x98
	s_ashr_i32 s7, s3, 31
	v_add_nc_u32_e32 v1, s31, v1
	s_lshr_b32 s7, s7, 28
	s_load_b32 s36, s[0:1], 0x1c
	s_add_i32 s3, s3, s7
	s_waitcnt lgkmcnt(0)
	v_ashrrev_i32_e32 v2, 31, v1
	v_or_b32_e32 v3, 16, v1
	s_ashr_i32 s3, s3, 4
	v_cmp_gt_i32_e32 vcc_lo, s30, v1
	s_add_i32 s3, s3, -1
	v_lshrrev_b32_e32 v2, 28, v2
	s_barrier
	buffer_gl0_inv
	v_add_nc_u32_e32 v4, v1, v2
	s_mul_i32 s6, s34, s6
	s_delay_alu instid0(SALU_CYCLE_1) | instskip(NEXT) | instid1(VALU_DEP_1)
	s_ashr_i32 s7, s6, 31
	v_ashrrev_i32_e32 v4, 4, v4
	v_add_nc_u32_e32 v2, v3, v2
	s_lshl_b64 s[6:7], s[6:7], 2
	s_delay_alu instid0(SALU_CYCLE_1) | instskip(NEXT) | instid1(VALU_DEP_2)
	s_add_u32 s16, s4, s6
	v_cndmask_b32_e32 v1, s3, v4, vcc_lo
	s_delay_alu instid0(VALU_DEP_2) | instskip(SKIP_3) | instid1(SALU_CYCLE_1)
	v_ashrrev_i32_e32 v2, 4, v2
	v_cmp_gt_i32_e32 vcc_lo, s30, v3
	s_addc_u32 s37, s5, s7
	s_mul_i32 s4, s15, s18
	s_ashr_i32 s5, s4, 31
	v_cndmask_b32_e32 v3, s3, v2, vcc_lo
	v_ashrrev_i32_e32 v2, 31, v1
	s_lshl_b64 s[12:13], s[4:5], 1
	s_delay_alu instid0(SALU_CYCLE_1) | instskip(NEXT) | instid1(VALU_DEP_2)
	s_add_u32 s26, s20, s12
	v_ashrrev_i32_e32 v4, 31, v3
	s_delay_alu instid0(VALU_DEP_2) | instskip(SKIP_2) | instid1(VALU_DEP_2)
	v_lshlrev_b64 v[1:2], 2, v[1:2]
	s_addc_u32 s27, s21, s13
	s_lshl_b32 s4, s14, 4
	v_lshlrev_b64 v[3:4], 2, v[3:4]
	s_ashr_i32 s5, s4, 31
	s_delay_alu instid0(VALU_DEP_2) | instskip(SKIP_1) | instid1(VALU_DEP_3)
	v_add_co_u32 v1, vcc_lo, s16, v1
	v_add_co_ci_u32_e32 v2, vcc_lo, s37, v2, vcc_lo
	v_add_co_u32 v3, vcc_lo, s16, v3
	s_delay_alu instid0(VALU_DEP_4)
	v_add_co_ci_u32_e32 v4, vcc_lo, s37, v4, vcc_lo
	s_clause 0x1
	global_load_b32 v5, v[1:2], off
	global_load_b32 v6, v[3:4], off
	s_lshl_b64 s[4:5], s[4:5], 2
	v_lshlrev_b32_e32 v3, 4, v0
	s_add_u32 s4, s16, s4
	s_addc_u32 s5, s37, s5
	s_or_b32 s6, s31, 16
	s_delay_alu instid0(SALU_CYCLE_1) | instskip(SKIP_2) | instid1(SALU_CYCLE_1)
	s_ashr_i32 s7, s6, 4
	s_cmp_lt_i32 s6, s30
	s_cselect_b32 s6, s7, s3
	s_ashr_i32 s7, s6, 31
	s_delay_alu instid0(SALU_CYCLE_1) | instskip(NEXT) | instid1(SALU_CYCLE_1)
	s_lshl_b64 s[6:7], s[6:7], 2
	s_add_u32 s6, s16, s6
	s_addc_u32 s7, s37, s7
	s_or_b32 s8, s31, 32
	s_delay_alu instid0(SALU_CYCLE_1) | instskip(SKIP_2) | instid1(SALU_CYCLE_1)
	s_ashr_i32 s9, s8, 4
	s_cmp_lt_i32 s8, s30
	s_cselect_b32 s8, s9, s3
	s_ashr_i32 s9, s8, 31
	s_delay_alu instid0(SALU_CYCLE_1) | instskip(NEXT) | instid1(SALU_CYCLE_1)
	s_lshl_b64 s[8:9], s[8:9], 2
	;; [unrolled: 10-line block ×5, first 2 shown]
	s_add_u32 s24, s16, s18
	s_addc_u32 s25, s37, s19
	s_clause 0x5
	s_load_b32 s38, s[4:5], 0x0
	s_load_b32 s29, s[6:7], 0x0
	;; [unrolled: 1-line block ×6, first 2 shown]
	s_waitcnt vmcnt(1)
	v_mad_i64_i32 v[1:2], null, v5, s17, 0
	v_and_b32_e32 v5, 0xf0, v3
	s_waitcnt vmcnt(0)
	v_mad_i64_i32 v[3:4], null, v6, s17, 0
	s_delay_alu instid0(VALU_DEP_2) | instskip(NEXT) | instid1(VALU_DEP_4)
	v_add_co_u32 v7, s4, s26, v5
	v_lshlrev_b64 v[1:2], 1, v[1:2]
	v_add_co_ci_u32_e64 v8, null, s27, 0, s4
	s_delay_alu instid0(VALU_DEP_4) | instskip(SKIP_1) | instid1(VALU_DEP_3)
	v_lshlrev_b64 v[5:6], 1, v[3:4]
	s_or_b32 s4, s31, 0x60
	v_add_co_u32 v3, vcc_lo, v7, v1
	s_delay_alu instid0(VALU_DEP_3) | instskip(NEXT) | instid1(VALU_DEP_3)
	v_add_co_ci_u32_e32 v4, vcc_lo, v8, v2, vcc_lo
	v_add_co_u32 v1, vcc_lo, v7, v5
	s_delay_alu instid0(VALU_DEP_4)
	v_add_co_ci_u32_e32 v2, vcc_lo, v8, v6, vcc_lo
	s_clause 0x9
	global_load_b128 v[9:12], v[3:4], off
	global_load_b128 v[13:16], v[3:4], off offset:256
	global_load_b128 v[129:132], v[1:2], off
	global_load_b128 v[133:136], v[1:2], off offset:256
	global_load_b128 v[41:44], v[3:4], off offset:512
	;; [unrolled: 1-line block ×7, first 2 shown]
	v_mul_lo_u16 v5, v148, 52
	s_clause 0x1
	global_load_b128 v[151:154], v[1:2], off offset:1024
	global_load_b128 v[155:158], v[1:2], off offset:1280
	s_ashr_i32 s5, s4, 4
	s_cmp_lt_i32 s4, s30
	v_lshlrev_b32_e32 v6, 5, v148
	v_lshrrev_b16 v5, 8, v5
	s_cselect_b32 s4, s5, s3
	s_delay_alu instid0(SALU_CYCLE_1) | instskip(NEXT) | instid1(VALU_DEP_2)
	s_ashr_i32 s5, s4, 31
	v_lshl_or_b32 v6, v149, 9, v6
	s_delay_alu instid0(VALU_DEP_2) | instskip(SKIP_1) | instid1(SALU_CYCLE_1)
	v_mul_lo_u16 v5, v5, 5
	s_lshl_b64 s[4:5], s[4:5], 2
	s_add_u32 s20, s16, s4
	s_addc_u32 s21, s37, s5
	s_delay_alu instid0(VALU_DEP_1) | instskip(SKIP_1) | instid1(SALU_CYCLE_1)
	v_sub_nc_u16 v5, v148, v5
	s_or_b32 s4, s31, 0x70
	s_ashr_i32 s5, s4, 4
	s_cmp_lt_i32 s4, s30
	s_delay_alu instid0(VALU_DEP_1) | instskip(SKIP_1) | instid1(SALU_CYCLE_1)
	v_and_b32_e32 v5, 0xff, v5
	s_cselect_b32 s4, s5, s3
	s_ashr_i32 s5, s4, 31
	s_delay_alu instid0(VALU_DEP_1)
	v_lshlrev_b32_e32 v197, 6, v5
	ds_load_b128 v[159:162], v197
	ds_load_b128 v[163:166], v197 offset:1024
	s_clause 0x3
	global_load_b128 v[167:170], v[3:4], off offset:1536
	global_load_b128 v[171:174], v[3:4], off offset:1792
	;; [unrolled: 1-line block ×4, first 2 shown]
	s_lshl_b64 s[6:7], s[4:5], 2
	s_mov_b32 s4, 0
	s_add_u32 s24, s16, s6
	s_addc_u32 s25, s37, s7
	s_or_b32 s5, s31, 0x80
	s_mov_b32 s11, s4
	s_ashr_i32 s6, s5, 4
	s_cmp_lt_i32 s5, s30
	s_mov_b32 s5, s4
	s_cselect_b32 s8, s6, s3
	s_mov_b32 s6, s4
	s_ashr_i32 s9, s8, 31
	s_mov_b32 s7, s4
	s_lshl_b64 s[8:9], s[8:9], 2
	s_clause 0x1
	s_load_b32 s45, s[20:21], 0x0
	s_load_b32 s46, s[24:25], 0x0
	s_add_u32 s26, s16, s8
	s_addc_u32 s27, s37, s9
	s_or_b32 s9, s31, 0x90
	s_mov_b32 s8, s4
	s_ashr_i32 s10, s9, 4
	s_cmp_lt_i32 s9, s30
	s_mov_b32 s9, s4
	s_cselect_b32 s40, s10, s3
	s_mov_b32 s10, s4
	s_ashr_i32 s41, s40, 31
	v_mov_b32_e32 v144, s11
	s_lshl_b64 s[40:41], s[40:41], 2
	v_mov_b32_e32 v143, s10
	s_add_u32 s40, s16, s40
	s_addc_u32 s41, s37, s41
	s_or_b32 s39, s31, 0xa0
	s_load_b32 s41, s[40:41], 0x0
	s_ashr_i32 s42, s39, 4
	s_cmp_lt_i32 s39, s30
	v_mov_b32_e32 v142, s9
	s_cselect_b32 s42, s42, s3
	v_mov_b32_e32 v141, s8
	s_ashr_i32 s43, s42, 31
	v_dual_mov_b32 v140, s7 :: v_dual_mov_b32 v139, s6
	v_dual_mov_b32 v138, s5 :: v_dual_mov_b32 v137, s4
	s_lshl_b64 s[4:5], s[42:43], 2
	s_waitcnt lgkmcnt(0)
	s_mul_hi_i32 s7, s29, s17
	s_add_u32 s42, s16, s4
	s_addc_u32 s43, s37, s5
	s_or_b32 s4, s31, 0xb0
	s_mul_hi_i32 s5, s38, s17
	s_ashr_i32 s6, s4, 4
	s_cmp_lt_i32 s4, s30
	s_mul_i32 s4, s38, s17
	s_cselect_b32 s8, s6, s3
	s_mul_i32 s6, s29, s17
	s_ashr_i32 s9, s8, 31
	s_load_b32 s40, s[42:43], 0x0
	s_lshl_b64 s[8:9], s[8:9], 2
	s_mul_hi_i32 s21, s15, s17
	s_add_u32 s38, s16, s8
	s_addc_u32 s39, s37, s9
	s_or_b32 s8, s31, 0xc0
	s_mul_hi_i32 s9, s28, s17
	s_ashr_i32 s10, s8, 4
	s_cmp_lt_i32 s8, s30
	s_mul_i32 s8, s28, s17
	s_cselect_b32 s28, s10, s3
	s_mul_hi_i32 s11, s19, s17
	s_ashr_i32 s29, s28, 31
	s_mul_i32 s10, s19, s17
	s_lshl_b64 s[28:29], s[28:29], 2
	s_mul_hi_i32 s19, s18, s17
	s_add_u32 s28, s16, s28
	s_addc_u32 s29, s37, s29
	s_or_b32 s44, s31, 0xd0
	s_mul_i32 s18, s18, s17
	s_ashr_i32 s20, s44, 4
	s_cmp_lt_i32 s44, s30
	s_load_b32 s44, s[26:27], 0x0
	s_cselect_b32 s24, s20, s3
	s_mul_i32 s20, s15, s17
	s_ashr_i32 s25, s24, 31
	s_mul_hi_i32 s27, s46, s17
	s_lshl_b64 s[24:25], s[24:25], 2
	s_mul_i32 s26, s46, s17
	s_add_u32 s24, s16, s24
	s_addc_u32 s25, s37, s25
	s_or_b32 s42, s31, 0xe0
	s_clause 0x2
	s_load_b32 s39, s[38:39], 0x0
	s_load_b32 s38, s[28:29], 0x0
	;; [unrolled: 1-line block ×3, first 2 shown]
	s_ashr_i32 s47, s42, 4
	s_cmp_lt_i32 s42, s30
	s_mul_hi_i32 s25, s45, s17
	s_mul_i32 s24, s45, s17
	s_mul_hi_i32 s43, s41, s17
	s_mul_i32 s42, s41, s17
	s_waitcnt lgkmcnt(0)
	s_mul_hi_i32 s41, s40, s17
	s_mul_i32 s40, s40, s17
	s_mul_hi_i32 s29, s44, s17
	s_mul_i32 s28, s44, s17
	s_cselect_b32 s44, s47, s3
	s_delay_alu instid0(SALU_CYCLE_1) | instskip(NEXT) | instid1(SALU_CYCLE_1)
	s_ashr_i32 s45, s44, 31
	s_lshl_b64 s[44:45], s[44:45], 2
	s_delay_alu instid0(SALU_CYCLE_1)
	s_add_u32 s44, s16, s44
	s_addc_u32 s45, s37, s45
	s_or_b32 s46, s31, 0xf0
	s_mul_hi_i32 s51, s15, s17
	s_ashr_i32 s48, s46, 4
	s_cmp_lt_i32 s46, s30
	s_mul_i32 s50, s15, s17
	s_cselect_b32 s48, s48, s3
	s_mul_hi_i32 s47, s39, s17
	s_ashr_i32 s49, s48, 31
	s_mul_i32 s46, s39, s17
	s_lshl_b64 s[48:49], s[48:49], 2
	s_mul_hi_i32 s39, s38, s17
	s_add_u32 s48, s16, s48
	s_addc_u32 s49, s37, s49
	s_add_u32 s3, s22, s12
	s_addc_u32 s15, s23, s13
	v_add_co_u32 v195, s3, s3, v6
	s_delay_alu instid0(VALU_DEP_1) | instskip(SKIP_2) | instid1(VALU_DEP_2)
	v_add_co_ci_u32_e64 v196, null, s15, 0, s3
	s_lshl_b64 s[4:5], s[4:5], 1
	s_lshl_b64 s[6:7], s[6:7], 1
	v_add_co_u32 v1, vcc_lo, v195, s4
	s_delay_alu instid0(VALU_DEP_2)
	v_add_co_ci_u32_e32 v2, vcc_lo, s5, v196, vcc_lo
	v_add_co_u32 v3, vcc_lo, v195, s6
	s_lshl_b64 s[8:9], s[8:9], 1
	v_add_co_ci_u32_e32 v4, vcc_lo, s7, v196, vcc_lo
	v_add_co_u32 v5, vcc_lo, v195, s8
	s_lshl_b64 s[10:11], s[10:11], 1
	;; [unrolled: 3-line block ×10, first 2 shown]
	s_mul_i32 s38, s38, s17
	v_add_co_ci_u32_e32 v184, vcc_lo, s29, v196, vcc_lo
	v_add_co_u32 v185, vcc_lo, v195, s40
	s_lshl_b64 s[38:39], s[38:39], 1
	s_clause 0x1
	s_load_b32 s3, s[44:45], 0x0
	s_load_b32 s15, s[48:49], 0x0
	v_add_co_ci_u32_e32 v186, vcc_lo, s41, v196, vcc_lo
	v_add_co_u32 v191, vcc_lo, v195, s38
	v_add_co_ci_u32_e32 v192, vcc_lo, s39, v196, vcc_lo
	s_clause 0x17
	global_load_b128 v[121:124], v[1:2], off
	global_load_b128 v[125:128], v[1:2], off offset:16
	global_load_b128 v[113:116], v[3:4], off
	global_load_b128 v[117:120], v[3:4], off offset:16
	;; [unrolled: 2-line block ×12, first 2 shown]
	s_lshl_b64 s[42:43], s[50:51], 1
	s_delay_alu instid0(SALU_CYCLE_1)
	v_add_co_u32 v193, vcc_lo, v195, s42
	v_add_co_ci_u32_e32 v194, vcc_lo, s43, v196, vcc_lo
	s_waitcnt lgkmcnt(0)
	s_mul_hi_i32 s5, s3, s17
	s_mul_i32 s4, s3, s17
	s_mul_hi_i32 s7, s15, s17
	s_lshl_b64 s[4:5], s[4:5], 1
	s_mul_i32 s6, s15, s17
	s_waitcnt vmcnt(38)
	v_wmma_f32_16x16x16_f16 v[183:190], v[9:16], v[159:166], v[137:144]
	s_waitcnt vmcnt(36)
	v_wmma_f32_16x16x16_f16 v[137:144], v[129:136], v[159:166], v[137:144]
	s_clause 0x1
	global_load_b128 v[9:12], v[191:192], off
	global_load_b128 v[13:16], v[191:192], off offset:16
	ds_load_b128 v[129:132], v197 offset:2048
	ds_load_b128 v[133:136], v197 offset:3072
	;; [unrolled: 1-line block ×4, first 2 shown]
	v_add_co_u32 v191, vcc_lo, v195, s4
	v_add_co_ci_u32_e32 v192, vcc_lo, s5, v196, vcc_lo
	s_lshl_b64 s[4:5], s[6:7], 1
	s_delay_alu instid0(SALU_CYCLE_1)
	v_add_co_u32 v195, vcc_lo, v195, s4
	v_add_co_ci_u32_e32 v196, vcc_lo, s5, v196, vcc_lo
	s_waitcnt vmcnt(36) lgkmcnt(2)
	v_wmma_f32_16x16x16_f16 v[183:190], v[41:48], v[129:136], v[183:190]
	s_waitcnt vmcnt(34)
	v_wmma_f32_16x16x16_f16 v[137:144], v[33:40], v[129:136], v[137:144]
	s_clause 0x3
	global_load_b128 v[33:36], v[193:194], off
	global_load_b128 v[37:40], v[193:194], off offset:16
	global_load_b128 v[41:44], v[191:192], off
	global_load_b128 v[45:48], v[191:192], off offset:16
	v_and_b32_e32 v129, 0xe0, v0
	v_mbcnt_lo_u32_b32 v191, -1, 0
	s_waitcnt vmcnt(36) lgkmcnt(0)
	v_wmma_f32_16x16x16_f16 v[183:190], v[17:24], v[159:166], v[183:190]
	s_clause 0x1
	global_load_b128 v[17:20], v[195:196], off
	global_load_b128 v[21:24], v[195:196], off offset:16
	s_waitcnt vmcnt(36)
	v_wmma_f32_16x16x16_f16 v[137:144], v[151:158], v[159:166], v[137:144]
	v_add_nc_u32_e32 v192, s31, v129
	ds_load_b128 v[129:132], v197 offset:6144
	ds_load_b128 v[133:136], v197 offset:7168
	v_xor_b32_e32 v151, 16, v191
	s_waitcnt vmcnt(0) lgkmcnt(0)
	s_barrier
	v_or_b32_e32 v152, v192, v146
	buffer_gl0_inv
	v_cmp_gt_i32_e32 vcc_lo, 32, v151
	v_or_b32_e32 v153, 2, v152
	v_or_b32_e32 v154, 4, v152
	;; [unrolled: 1-line block ×5, first 2 shown]
	v_cmp_gt_i32_e64 s3, s30, v153
	v_cmp_gt_i32_e64 s4, s30, v154
	;; [unrolled: 1-line block ×3, first 2 shown]
	v_or_b32_e32 v158, 12, v152
	v_or_b32_e32 v159, 14, v152
	v_cmp_gt_i32_e64 s6, s30, v156
	v_wmma_f32_16x16x16_f16 v[183:190], v[167:174], v[129:136], v[183:190]
	v_wmma_f32_16x16x16_f16 v[137:144], v[175:182], v[129:136], v[137:144]
	v_cndmask_b32_e32 v151, v191, v151, vcc_lo
	v_cmp_gt_i32_e32 vcc_lo, s30, v152
	v_cmp_gt_i32_e64 s7, s30, v157
	v_dual_mul_f32 v135, s36, v184 :: v_dual_mul_f32 v136, s36, v183
	v_mul_f32_e32 v134, s36, v185
	v_dual_mul_f32 v168, s36, v144 :: v_dual_mul_f32 v133, s36, v186
	s_delay_alu instid0(VALU_DEP_3) | instskip(NEXT) | instid1(VALU_DEP_4)
	v_cndmask_b32_e64 v135, 0xff7fffff, v135, s3
	v_cndmask_b32_e32 v136, 0xff7fffff, v136, vcc_lo
	v_dual_mul_f32 v131, s36, v188 :: v_dual_mul_f32 v174, s36, v138
	v_mul_f32_e32 v132, s36, v187
	v_cndmask_b32_e64 v134, 0xff7fffff, v134, s4
	v_cndmask_b32_e64 v133, 0xff7fffff, v133, s5
	v_max3_f32 v135, v136, 0xff7fffff, v135
	v_or_b32_e32 v160, 16, v152
	v_or_b32_e32 v161, 18, v152
	v_dual_mul_f32 v129, s36, v190 :: v_dual_mul_f32 v172, s36, v140
	v_mul_f32_e32 v130, s36, v189
	v_cndmask_b32_e64 v132, 0xff7fffff, v132, s6
	v_cndmask_b32_e64 v131, 0xff7fffff, v131, s7
	v_max3_f32 v133, v135, v134, v133
	v_cmp_gt_i32_e64 s8, s30, v158
	v_cmp_gt_i32_e64 s9, s30, v159
	v_or_b32_e32 v162, 20, v152
	v_or_b32_e32 v163, 22, v152
	v_mul_f32_e32 v175, s36, v137
	v_cndmask_b32_e64 v130, 0xff7fffff, v130, s8
	v_cndmask_b32_e64 v129, 0xff7fffff, v129, s9
	v_max3_f32 v131, v133, v132, v131
	v_cmp_gt_i32_e64 s10, s30, v160
	v_cmp_gt_i32_e64 s11, s30, v161
	v_or_b32_e32 v164, 24, v152
	v_or_b32_e32 v165, 26, v152
	;; [unrolled: 8-line block ×3, first 2 shown]
	v_dual_mul_f32 v170, s36, v142 :: v_dual_mul_f32 v171, s36, v141
	v_cndmask_b32_e64 v130, 0xff7fffff, v173, s12
	v_cndmask_b32_e64 v131, 0xff7fffff, v172, s13
	v_max3_f32 v129, v129, v132, v133
	v_cmp_gt_i32_e64 s15, s30, v164
	v_cmp_gt_i32_e64 s16, s30, v165
	v_mul_f32_e32 v169, s36, v143
	v_cmp_gt_i32_e64 s17, s30, v166
	v_max3_f32 v129, v129, v130, v131
	v_cndmask_b32_e64 v132, 0xff7fffff, v171, s15
	v_cndmask_b32_e64 v133, 0xff7fffff, v170, s16
	v_cmp_gt_i32_e64 s18, s30, v167
	v_cndmask_b32_e64 v130, 0xff7fffff, v169, s17
	s_delay_alu instid0(VALU_DEP_3) | instskip(NEXT) | instid1(VALU_DEP_3)
	v_max3_f32 v129, v129, v132, v133
	v_cndmask_b32_e64 v131, 0xff7fffff, v168, s18
	v_lshlrev_b32_e32 v132, 2, v151
	s_delay_alu instid0(VALU_DEP_2) | instskip(SKIP_3) | instid1(VALU_DEP_1)
	v_max3_f32 v129, v129, v130, v131
	ds_bpermute_b32 v130, v132, v129
	s_waitcnt lgkmcnt(0)
	v_max_f32_e32 v130, v130, v130
	v_max_f32_e32 v129, v129, v130
	s_delay_alu instid0(VALU_DEP_1)
	v_fma_f32 v134, s36, v186, -v129
	v_fma_f32 v130, s36, v183, -v129
	;; [unrolled: 1-line block ×5, first 2 shown]
	v_mul_f32_e32 v134, 0x3fb8aa3b, v134
	s_delay_alu instid0(VALU_DEP_4) | instskip(SKIP_1) | instid1(VALU_DEP_4)
	v_dual_mul_f32 v130, 0x3fb8aa3b, v130 :: v_dual_mul_f32 v131, 0x3fb8aa3b, v131
	v_fma_f32 v135, s36, v187, -v129
	v_mul_f32_e32 v136, 0x3fb8aa3b, v136
	s_delay_alu instid0(VALU_DEP_4) | instskip(NEXT) | instid1(VALU_DEP_3)
	v_exp_f32_e32 v134, v134
	v_exp_f32_e32 v130, v130
	;; [unrolled: 1-line block ×3, first 2 shown]
	v_mul_f32_e32 v135, 0x3fb8aa3b, v135
	v_exp_f32_e32 v136, v136
	s_delay_alu instid0(VALU_DEP_1) | instskip(SKIP_4) | instid1(TRANS32_DEP_3)
	v_exp_f32_e32 v135, v135
	v_cndmask_b32_e64 v153, 0, v134, s5
	v_fma_f32 v134, s36, v137, -v129
	v_dual_mul_f32 v133, 0x3fb8aa3b, v133 :: v_dual_cndmask_b32 v152, 0, v130
	v_fma_f32 v130, s36, v188, -v129
	v_cndmask_b32_e64 v151, 0, v131, s3
	s_delay_alu instid0(VALU_DEP_4) | instskip(NEXT) | instid1(VALU_DEP_4)
	v_mul_f32_e32 v134, 0x3fb8aa3b, v134
	v_exp_f32_e32 v133, v133
	s_delay_alu instid0(VALU_DEP_3) | instskip(SKIP_3) | instid1(VALU_DEP_4)
	v_dual_add_f32 v131, 0, v152 :: v_dual_mul_f32 v130, 0x3fb8aa3b, v130
	v_cndmask_b32_e64 v156, 0, v136, s8
	v_fma_f32 v136, s36, v140, -v129
	v_cndmask_b32_e64 v155, 0, v135, s6
	v_add_f32_e32 v131, v131, v151
	v_exp_f32_e32 v130, v130
	v_fma_f32 v135, s36, v138, -v129
	v_mul_f32_e32 v136, 0x3fb8aa3b, v136
	s_delay_alu instid0(TRANS32_DEP_2)
	v_cndmask_b32_e64 v154, 0, v133, s4
	v_fma_f32 v133, s36, v190, -v129
	v_exp_f32_e32 v134, v134
	v_cmp_gt_u32_e64 s3, 16, v150
	v_exp_f32_e32 v136, v136
	v_add_f32_e32 v131, v131, v154
	s_delay_alu instid0(TRANS32_DEP_3) | instskip(NEXT) | instid1(VALU_DEP_2)
	v_cndmask_b32_e64 v138, 0, v130, s7
	v_add_f32_e32 v131, v131, v153
	s_delay_alu instid0(VALU_DEP_1) | instskip(NEXT) | instid1(VALU_DEP_1)
	v_dual_mul_f32 v133, 0x3fb8aa3b, v133 :: v_dual_add_f32 v130, v131, v155
	v_exp_f32_e32 v133, v133
	v_fma_f32 v131, s36, v139, -v129
	s_delay_alu instid0(VALU_DEP_2) | instskip(NEXT) | instid1(VALU_DEP_1)
	v_add_f32_e32 v130, v130, v138
	v_add_f32_e32 v130, v130, v156
	s_waitcnt_depctr 0xfff
	v_cndmask_b32_e64 v139, 0, v133, s9
	v_fma_f32 v133, s36, v141, -v129
	v_cndmask_b32_e64 v141, 0, v134, s10
	v_fma_f32 v134, s36, v142, -v129
	v_cndmask_b32_e64 v142, 0, v136, s13
	v_add_f32_e32 v130, v130, v139
	s_delay_alu instid0(VALU_DEP_3) | instskip(NEXT) | instid1(VALU_DEP_2)
	v_dual_mul_f32 v135, 0x3fb8aa3b, v135 :: v_dual_mul_f32 v134, 0x3fb8aa3b, v134
	v_add_f32_e32 v130, v130, v141
	s_delay_alu instid0(VALU_DEP_2) | instskip(NEXT) | instid1(VALU_DEP_2)
	v_exp_f32_e32 v135, v135
	v_exp_f32_e32 v134, v134
	s_waitcnt_depctr 0xfff
	v_cndmask_b32_e64 v140, 0, v135, s11
	v_mul_f32_e32 v131, 0x3fb8aa3b, v131
	v_fma_f32 v135, s36, v143, -v129
	s_delay_alu instid0(VALU_DEP_3) | instskip(NEXT) | instid1(VALU_DEP_3)
	v_add_f32_e32 v130, v130, v140
	v_exp_f32_e32 v131, v131
	s_waitcnt_depctr 0xfff
	v_cndmask_b32_e64 v143, 0, v131, s12
	s_delay_alu instid0(VALU_DEP_1) | instskip(NEXT) | instid1(VALU_DEP_1)
	v_dual_mul_f32 v133, 0x3fb8aa3b, v133 :: v_dual_add_f32 v130, v130, v143
	v_exp_f32_e32 v133, v133
	v_mul_f32_e32 v131, 0x3fb8aa3b, v135
	v_fma_f32 v135, s36, v144, -v129
	v_cndmask_b32_e64 v144, 0, v134, s16
	v_add_f32_e32 v130, v130, v142
	s_delay_alu instid0(VALU_DEP_4) | instskip(SKIP_2) | instid1(VALU_DEP_1)
	v_exp_f32_e32 v131, v131
	s_waitcnt_depctr 0xfff
	v_cndmask_b32_e64 v157, 0, v133, s15
	v_dual_mul_f32 v133, 0x3fb8aa3b, v135 :: v_dual_add_f32 v130, v130, v157
	s_delay_alu instid0(VALU_DEP_1) | instskip(SKIP_1) | instid1(VALU_DEP_2)
	v_exp_f32_e32 v133, v133
	v_cndmask_b32_e64 v159, 0, v131, s17
	v_add_f32_e32 v130, v130, v144
	s_delay_alu instid0(VALU_DEP_1) | instskip(SKIP_2) | instid1(VALU_DEP_1)
	v_add_f32_e32 v130, v130, v159
	s_waitcnt_depctr 0xfff
	v_cndmask_b32_e64 v158, 0, v133, s18
	v_add_f32_e32 v130, v130, v158
	ds_bpermute_b32 v131, v132, v130
	s_and_saveexec_b32 s4, s3
	s_cbranch_execz .LBB62_12
; %bb.11:
	v_mul_u32_u24_e32 v132, 0x44, v149
	s_delay_alu instid0(VALU_DEP_1) | instskip(SKIP_1) | instid1(VALU_DEP_1)
	v_lshl_add_u32 v132, v148, 2, v132
	s_waitcnt lgkmcnt(0)
	v_dual_add_f32 v130, v130, v131 :: v_dual_add_nc_u32 v131, 0x4000, v132
	ds_store_2addr_b32 v131, v129, v130 offset1:136
.LBB62_12:
	s_or_b32 exec_lo, exec_lo, s4
	v_lshlrev_b32_e32 v129, 2, v148
	s_load_b32 s36, s[0:1], 0x94
	s_waitcnt lgkmcnt(0)
	s_barrier
	buffer_gl0_inv
	v_add_nc_u32_e32 v135, 0x4000, v129
	v_cmp_eq_u32_e32 vcc_lo, 1, v149
	v_cmp_eq_u32_e64 s4, 2, v149
	v_cmp_eq_u32_e64 s5, 3, v149
	;; [unrolled: 1-line block ×3, first 2 shown]
	ds_load_2addr_b32 v[129:130], v135 offset1:17
	ds_load_2addr_b32 v[131:132], v135 offset0:34 offset1:51
	ds_load_2addr_b32 v[133:134], v135 offset0:68 offset1:85
	;; [unrolled: 1-line block ×3, first 2 shown]
	v_cmp_eq_u32_e64 s7, 5, v149
	v_cmp_eq_u32_e64 s8, 7, v149
	s_waitcnt lgkmcnt(3)
	v_max3_f32 v136, v129, 0xff7fffff, v130
	s_waitcnt lgkmcnt(2)
	s_delay_alu instid0(VALU_DEP_1) | instskip(SKIP_1) | instid1(VALU_DEP_1)
	v_max3_f32 v136, v136, v131, v132
	s_waitcnt lgkmcnt(1)
	v_max3_f32 v136, v136, v133, v134
	s_waitcnt lgkmcnt(0)
	s_delay_alu instid0(VALU_DEP_1) | instskip(NEXT) | instid1(VALU_DEP_1)
	v_max3_f32 v136, v136, v160, v161
	v_sub_f32_e32 v164, v132, v136
	ds_load_2addr_b32 v[162:163], v135 offset0:136 offset1:153
	v_sub_f32_e32 v129, v129, v136
	v_sub_f32_e32 v137, v130, v136
	;; [unrolled: 1-line block ×3, first 2 shown]
	v_mul_f32_e32 v164, 0x3fb8aa3b, v164
	s_delay_alu instid0(VALU_DEP_4) | instskip(NEXT) | instid1(VALU_DEP_4)
	v_mul_f32_e32 v150, 0x3fb8aa3b, v129
	v_mul_f32_e32 v137, 0x3fb8aa3b, v137
	ds_load_2addr_b32 v[129:130], v135 offset0:170 offset1:187
	v_mul_f32_e32 v167, 0x3fb8aa3b, v133
	v_exp_f32_e32 v164, v164
	v_exp_f32_e32 v150, v150
	v_exp_f32_e32 v166, v137
	v_sub_f32_e32 v131, v131, v136
	s_delay_alu instid0(VALU_DEP_1)
	v_mul_f32_e32 v165, 0x3fb8aa3b, v131
	ds_load_2addr_b32 v[131:132], v135 offset0:204 offset1:221
	s_waitcnt lgkmcnt(2)
	v_fma_f32 v137, v150, v162, 0
	v_sub_f32_e32 v162, v134, v136
	v_exp_f32_e32 v165, v165
	ds_load_2addr_b32 v[133:134], v135 offset0:238 offset1:255
	v_sub_f32_e32 v135, v160, v136
	v_dual_fmac_f32 v137, v166, v163 :: v_dual_mul_f32 v160, 0x3fb8aa3b, v162
	v_exp_f32_e32 v162, v167
	s_waitcnt lgkmcnt(0)
	s_delay_alu instid0(VALU_DEP_2)
	v_mul_f32_e32 v135, 0x3fb8aa3b, v135
	s_barrier
	v_exp_f32_e32 v160, v160
	v_fmac_f32_e32 v137, v165, v129
	v_sub_f32_e32 v129, v161, v136
	v_exp_f32_e32 v161, v135
	buffer_gl0_inv
	v_fmac_f32_e32 v137, v164, v130
	v_dual_mul_f32 v129, 0x3fb8aa3b, v129 :: v_dual_cndmask_b32 v130, v150, v166
	s_delay_alu instid0(VALU_DEP_2) | instskip(NEXT) | instid1(VALU_DEP_2)
	v_fmac_f32_e32 v137, v162, v131
	v_exp_f32_e32 v163, v129
	s_delay_alu instid0(VALU_DEP_1) | instskip(NEXT) | instid1(VALU_DEP_1)
	v_fmac_f32_e32 v137, v160, v132
	v_fmac_f32_e32 v137, v161, v133
	v_lshlrev_b32_e32 v133, 6, v148
	s_waitcnt_depctr 0xfff
	v_fmac_f32_e32 v137, v163, v134
	v_lshl_or_b32 v135, v149, 11, v133
	s_delay_alu instid0(VALU_DEP_2) | instskip(NEXT) | instid1(VALU_DEP_1)
	v_add_f32_e32 v134, 0x358637bd, v137
	v_div_scale_f32 v167, null, v134, v134, 1.0
	v_div_scale_f32 v150, vcc_lo, 1.0, v134, 1.0
	s_delay_alu instid0(VALU_DEP_2) | instskip(SKIP_2) | instid1(VALU_DEP_1)
	v_rcp_f32_e32 v168, v167
	s_waitcnt_depctr 0xfff
	v_fma_f32 v129, -v167, v168, 1.0
	v_fmac_f32_e32 v168, v129, v168
	v_cndmask_b32_e64 v129, v130, v165, s4
	v_cmp_eq_u32_e64 s4, 6, v149
	s_delay_alu instid0(VALU_DEP_3) | instskip(NEXT) | instid1(VALU_DEP_3)
	v_mul_f32_e32 v165, v150, v168
	v_cndmask_b32_e64 v130, v129, v164, s5
	v_lshlrev_b32_e32 v129, 2, v146
	s_delay_alu instid0(VALU_DEP_3) | instskip(NEXT) | instid1(VALU_DEP_3)
	v_fma_f32 v131, -v167, v165, v150
	v_cndmask_b32_e64 v162, v130, v162, s6
	s_delay_alu instid0(VALU_DEP_3)
	v_or_b32_e32 v130, 1, v129
	v_or_b32_e32 v132, 2, v129
	v_cmp_eq_u32_e64 s5, 1, v129
	v_fmac_f32_e32 v165, v131, v168
	v_cndmask_b32_e64 v149, v162, v160, s7
	v_or_b32_e32 v131, 3, v129
	v_cmp_eq_u32_e64 s10, 1, v130
	v_cmp_eq_u32_e64 s11, 1, v132
	v_fma_f32 v150, -v167, v165, v150
	v_cndmask_b32_e64 v149, v149, v161, s4
	v_cmp_eq_u32_e64 s12, 1, v131
	v_cmp_eq_u32_e64 s6, 2, v129
	v_cmp_eq_u32_e64 s13, 2, v130
	v_div_fmas_f32 v150, v150, v168, v165
	v_cndmask_b32_e64 v149, v149, v163, s8
	v_cmp_eq_u32_e64 s16, 2, v132
	v_cmp_eq_u32_e64 s17, 2, v131
	v_cmp_eq_u32_e32 vcc_lo, 3, v129
	v_div_fixup_f32 v150, v150, v134, 1.0
	v_lshl_or_b32 v134, v146, 4, v135
	v_cmp_eq_u32_e64 s15, 3, v130
	v_cmp_eq_u32_e64 s19, 3, v131
	;; [unrolled: 1-line block ×3, first 2 shown]
	v_mul_f32_e32 v149, v149, v150
	v_cmp_eq_u32_e64 s18, 3, v132
	v_cmp_eq_u32_e64 s20, 4, v130
	;; [unrolled: 1-line block ×4, first 2 shown]
	v_fma_mixlo_f16 v160, v149, v152, 0
	v_fma_mixlo_f16 v161, v149, v154, 0
	;; [unrolled: 1-line block ×8, first 2 shown]
	v_fma_mixhi_f16 v160, v149, v151, 0
	v_fma_mixhi_f16 v161, v149, v153, 0
	;; [unrolled: 1-line block ×8, first 2 shown]
	ds_store_b128 v134, v[160:163]
	ds_store_b128 v134, v[154:157] offset:1024
	s_waitcnt lgkmcnt(0)
	s_barrier
	buffer_gl0_inv
	ds_load_b128 v[138:141], v135
	ds_load_b128 v[149:152], v135 offset:16
	ds_load_b128 v[153:156], v135 offset:1024
	;; [unrolled: 1-line block ×3, first 2 shown]
	v_cmp_eq_u32_e64 s21, 5, v130
	v_cmp_eq_u32_e64 s22, 4, v132
	;; [unrolled: 1-line block ×12, first 2 shown]
	s_waitcnt lgkmcnt(3)
	v_lshrrev_b32_e32 v142, 16, v138
	s_waitcnt lgkmcnt(2)
	v_lshrrev_b32_e32 v162, 16, v149
	;; [unrolled: 2-line block ×4, first 2 shown]
	v_lshrrev_b32_e32 v143, 16, v139
	v_cndmask_b32_e64 v174, v138, v142, s5
	v_cndmask_b32_e64 v175, v149, v162, s5
	;; [unrolled: 1-line block ×7, first 2 shown]
	v_lshrrev_b32_e32 v163, 16, v150
	v_cndmask_b32_e64 v179, v149, v162, s11
	v_cndmask_b32_e64 v149, v153, v166, s5
	;; [unrolled: 1-line block ×16, first 2 shown]
	v_lshrrev_b32_e32 v167, 16, v154
	v_lshrrev_b32_e32 v171, 16, v158
	v_cndmask_b32_e64 v177, v179, v150, s16
	v_cndmask_b32_e64 v142, v149, v154, s6
	;; [unrolled: 1-line block ×7, first 2 shown]
	v_cndmask_b32_e32 v157, v166, v143, vcc_lo
	v_cndmask_b32_e32 v166, v170, v163, vcc_lo
	v_cndmask_b32_e64 v170, v174, v143, s15
	v_cndmask_b32_e64 v174, v175, v163, s15
	;; [unrolled: 1-line block ×4, first 2 shown]
	v_lshrrev_b32_e32 v144, 16, v140
	v_lshrrev_b32_e32 v164, 16, v151
	v_cndmask_b32_e64 v175, v176, v143, s18
	v_cndmask_b32_e64 v176, v177, v163, s18
	v_cndmask_b32_e32 v142, v142, v167, vcc_lo
	v_cndmask_b32_e32 v143, v149, v171, vcc_lo
	v_cndmask_b32_e64 v149, v150, v167, s15
	v_cndmask_b32_e64 v150, v157, v140, s4
	;; [unrolled: 1-line block ×7, first 2 shown]
	v_lshrrev_b32_e32 v168, 16, v155
	v_cndmask_b32_e64 v170, v175, v140, s22
	v_cndmask_b32_e64 v174, v176, v151, s22
	;; [unrolled: 1-line block ×11, first 2 shown]
	v_lshrrev_b32_e32 v161, 16, v141
	v_lshrrev_b32_e32 v165, 16, v152
	v_cndmask_b32_e64 v163, v170, v144, s24
	v_cndmask_b32_e64 v166, v174, v164, s24
	;; [unrolled: 1-line block ×9, first 2 shown]
	v_lshrrev_b32_e32 v169, 16, v156
	v_cndmask_b32_e64 v140, v140, v168, s7
	v_cndmask_b32_e64 v157, v163, v141, s27
	;; [unrolled: 1-line block ×14, first 2 shown]
	v_perm_b32 v141, v139, v138, 0x5040100
	v_perm_b32 v139, v151, v149, 0x5040100
	v_cndmask_b32_e64 v138, v183, v158, s16
	v_cndmask_b32_e64 v149, v181, v158, s13
	;; [unrolled: 1-line block ×3, first 2 shown]
	v_perm_b32 v140, v152, v150, 0x5040100
	v_cndmask_b32_e64 v150, v162, v167, s18
	v_cndmask_b32_e64 v151, v153, v167, s19
	;; [unrolled: 1-line block ×5, first 2 shown]
	v_lshrrev_b32_e32 v172, 16, v159
	v_cndmask_b32_e64 v150, v150, v155, s22
	v_cndmask_b32_e64 v151, v151, v155, s23
	;; [unrolled: 1-line block ×11, first 2 shown]
	v_lshrrev_b32_e32 v173, 16, v160
	v_cndmask_b32_e64 v142, v142, v160, s8
	v_cndmask_b32_e64 v150, v150, v156, s27
	;; [unrolled: 1-line block ×12, first 2 shown]
	v_perm_b32 v138, v144, v143, 0x5040100
	v_perm_b32 v152, v152, v151, 0x5040100
	;; [unrolled: 1-line block ×5, first 2 shown]
	s_mul_i32 s8, s35, 5
	s_mov_b32 s4, exec_lo
	ds_store_b128 v134, v[138:141]
	ds_store_b128 v134, v[149:152] offset:1024
	v_cmpx_gt_u32_e32 5, v0
	s_cbranch_execz .LBB62_14
; %bb.13:
	s_mul_i32 s5, s8, s34
	s_load_b128 s[16:19], s[0:1], 0x58
	v_add3_u32 v140, s5, s33, v148
	s_delay_alu instid0(VALU_DEP_1) | instskip(NEXT) | instid1(VALU_DEP_1)
	v_mad_u64_u32 v[138:139], null, v140, s36, s[14:15]
	v_ashrrev_i32_e32 v139, 31, v138
	s_delay_alu instid0(VALU_DEP_1) | instskip(SKIP_1) | instid1(VALU_DEP_1)
	v_lshlrev_b64 v[138:139], 2, v[138:139]
	s_waitcnt lgkmcnt(0)
	v_add_co_u32 v140, vcc_lo, s18, v138
	s_delay_alu instid0(VALU_DEP_2)
	v_add_co_ci_u32_e32 v141, vcc_lo, s19, v139, vcc_lo
	v_add_co_u32 v138, vcc_lo, s16, v138
	v_add_co_ci_u32_e32 v139, vcc_lo, s17, v139, vcc_lo
	global_store_b32 v[140:141], v136, off
	global_store_b32 v[138:139], v137, off
.LBB62_14:
	s_or_b32 exec_lo, exec_lo, s4
	s_waitcnt lgkmcnt(0)
	s_waitcnt_vscnt null, 0x0
	s_barrier
	buffer_gl0_inv
	ds_load_b128 v[148:151], v133
	ds_load_b128 v[152:155], v133 offset:16
	ds_load_b128 v[160:163], v133 offset:1040
	;; [unrolled: 1-line block ×5, first 2 shown]
	v_cmp_eq_u32_e32 vcc_lo, 1, v132
	v_mov_b32_e32 v136, 0
	ds_load_b128 v[176:179], v133 offset:3088
	ds_load_b128 v[172:175], v133 offset:3072
	ds_load_b128 v[184:187], v133 offset:4112
	ds_load_b128 v[180:183], v133 offset:4096
	v_cmp_eq_u32_e64 s4, 1, v129
	v_cmp_eq_u32_e64 s5, 1, v131
	;; [unrolled: 1-line block ×3, first 2 shown]
	v_mov_b32_e32 v137, v136
	v_mov_b32_e32 v138, v136
	;; [unrolled: 1-line block ×7, first 2 shown]
	v_cmp_eq_u32_e64 s7, 2, v129
	s_waitcnt lgkmcnt(8)
	s_delay_alu instid0(VALU_DEP_2)
	v_wmma_f32_16x16x16_f16 v[136:143], v[121:128], v[148:155], v[136:143]
	ds_load_b128 v[125:128], v133 offset:5136
	ds_load_b128 v[121:124], v133 offset:5120
	s_waitcnt lgkmcnt(8)
	v_wmma_f32_16x16x16_f16 v[136:143], v[113:120], v[156:163], v[136:143]
	ds_load_b128 v[117:120], v133 offset:6160
	ds_load_b128 v[113:116], v133 offset:6144
	s_waitcnt lgkmcnt(8)
	;; [unrolled: 4-line block ×11, first 2 shown]
	s_barrier
	buffer_gl0_inv
	v_wmma_f32_16x16x16_f16 v[136:143], v[1:8], v[73:80], v[136:143]
	s_delay_alu instid0(VALU_DEP_1) | instskip(NEXT) | instid1(VALU_DEP_1)
	v_wmma_f32_16x16x16_f16 v[136:143], v[9:16], v[65:72], v[136:143]
	v_wmma_f32_16x16x16_f16 v[136:143], v[33:40], v[57:64], v[136:143]
	s_delay_alu instid0(VALU_DEP_1) | instskip(NEXT) | instid1(VALU_DEP_1)
	v_wmma_f32_16x16x16_f16 v[136:143], v[41:48], v[49:56], v[136:143]
	v_wmma_f32_16x16x16_f16 v[136:143], v[17:24], v[25:32], v[136:143]
	s_delay_alu instid0(VALU_DEP_1) | instskip(NEXT) | instid1(VALU_DEP_2)
	v_cvt_f16_f32_e64 v1, v136
	v_cvt_f16_f32_e64 v2, v137
	s_delay_alu instid0(VALU_DEP_3) | instskip(NEXT) | instid1(VALU_DEP_4)
	v_cvt_f16_f32_e64 v3, v138
	v_cvt_f16_f32_e64 v4, v139
	;; [unrolled: 1-line block ×6, first 2 shown]
	v_pack_b32_f16 v1, v1, v2
	v_pack_b32_f16 v2, v3, v4
	;; [unrolled: 1-line block ×3, first 2 shown]
	s_delay_alu instid0(VALU_DEP_4)
	v_pack_b32_f16 v4, v7, v8
	ds_store_b128 v134, v[1:4]
	s_waitcnt lgkmcnt(0)
	s_barrier
	buffer_gl0_inv
	ds_load_b128 v[1:4], v135
	ds_load_b128 v[5:8], v135 offset:16
	s_waitcnt lgkmcnt(1)
	v_lshrrev_b32_e32 v9, 16, v1
	s_waitcnt lgkmcnt(0)
	v_lshrrev_b32_e32 v13, 16, v5
	v_lshrrev_b32_e32 v10, 16, v2
	;; [unrolled: 1-line block ×4, first 2 shown]
	v_cndmask_b32_e64 v17, v1, v9, s4
	v_cndmask_b32_e64 v18, v5, v13, s4
	;; [unrolled: 1-line block ×3, first 2 shown]
	v_cmp_eq_u32_e64 s4, 2, v130
	v_cndmask_b32_e64 v20, v5, v13, s6
	v_cndmask_b32_e32 v21, v1, v9, vcc_lo
	v_cndmask_b32_e32 v22, v5, v13, vcc_lo
	v_cndmask_b32_e64 v1, v1, v9, s5
	v_cndmask_b32_e64 v5, v5, v13, s5
	v_cmp_eq_u32_e32 vcc_lo, 2, v132
	v_cmp_eq_u32_e64 s5, 2, v131
	v_cndmask_b32_e64 v9, v17, v2, s7
	v_cndmask_b32_e64 v13, v18, v6, s7
	;; [unrolled: 1-line block ×4, first 2 shown]
	v_cndmask_b32_e32 v19, v21, v2, vcc_lo
	v_cmp_eq_u32_e64 s4, 3, v132
	v_cndmask_b32_e32 v20, v22, v6, vcc_lo
	v_cndmask_b32_e64 v1, v1, v2, s5
	v_cmp_eq_u32_e32 vcc_lo, 3, v131
	v_cmp_eq_u32_e64 s6, 3, v129
	v_cndmask_b32_e64 v2, v5, v6, s5
	v_cmp_eq_u32_e64 s5, 3, v130
	v_cmp_eq_u32_e64 s7, 4, v129
	v_cndmask_b32_e32 v1, v1, v10, vcc_lo
	v_cndmask_b32_e64 v5, v9, v10, s6
	v_cndmask_b32_e64 v6, v13, v14, s6
	;; [unrolled: 1-line block ×3, first 2 shown]
	v_cmp_eq_u32_e64 s6, 4, v130
	v_cndmask_b32_e64 v13, v18, v14, s5
	v_cndmask_b32_e64 v17, v19, v10, s4
	;; [unrolled: 1-line block ×3, first 2 shown]
	v_cndmask_b32_e32 v2, v2, v14, vcc_lo
	v_cmp_eq_u32_e32 vcc_lo, 4, v132
	v_cmp_eq_u32_e64 s5, 4, v131
	v_lshrrev_b32_e32 v15, 16, v7
	v_cndmask_b32_e64 v5, v5, v3, s7
	v_cndmask_b32_e64 v6, v6, v7, s7
	v_cndmask_b32_e32 v14, v18, v7, vcc_lo
	v_cndmask_b32_e64 v9, v9, v3, s6
	v_cndmask_b32_e64 v10, v13, v7, s6
	v_cndmask_b32_e32 v13, v17, v3, vcc_lo
	v_cmp_eq_u32_e64 s4, 5, v132
	v_cndmask_b32_e64 v1, v1, v3, s5
	v_cmp_eq_u32_e32 vcc_lo, 5, v131
	v_cmp_eq_u32_e64 s6, 5, v129
	v_cndmask_b32_e64 v2, v2, v7, s5
	v_cmp_eq_u32_e64 s5, 5, v130
	v_cmp_eq_u32_e64 s7, 6, v129
	v_lshrrev_b32_e32 v12, 16, v4
	v_cndmask_b32_e64 v3, v5, v11, s6
	v_cndmask_b32_e64 v5, v6, v15, s6
	;; [unrolled: 1-line block ×3, first 2 shown]
	v_cmp_eq_u32_e64 s6, 6, v130
	v_cndmask_b32_e64 v7, v10, v15, s5
	v_cndmask_b32_e64 v9, v13, v11, s4
	v_cndmask_b32_e64 v10, v14, v15, s4
	v_cndmask_b32_e32 v1, v1, v11, vcc_lo
	v_cndmask_b32_e32 v2, v2, v15, vcc_lo
	v_cmp_eq_u32_e32 vcc_lo, 6, v132
	v_cmp_eq_u32_e64 s4, 6, v131
	v_lshrrev_b32_e32 v16, 16, v8
	v_cndmask_b32_e64 v3, v3, v4, s7
	v_cndmask_b32_e64 v5, v5, v8, s7
	v_cndmask_b32_e32 v9, v9, v4, vcc_lo
	v_cndmask_b32_e64 v6, v6, v4, s6
	v_cndmask_b32_e64 v7, v7, v8, s6
	v_cmp_eq_u32_e64 s5, 7, v132
	v_cndmask_b32_e32 v10, v10, v8, vcc_lo
	v_cndmask_b32_e64 v1, v1, v4, s4
	v_cmp_eq_u32_e32 vcc_lo, 7, v131
	v_cndmask_b32_e64 v2, v2, v8, s4
	v_cmp_eq_u32_e64 s4, 7, v129
	v_cmp_eq_u32_e64 s6, 7, v130
	v_cndmask_b32_e32 v1, v1, v12, vcc_lo
	s_delay_alu instid0(VALU_DEP_4) | instskip(NEXT) | instid1(VALU_DEP_4)
	v_cndmask_b32_e32 v2, v2, v16, vcc_lo
	v_cndmask_b32_e64 v8, v3, v12, s4
	s_delay_alu instid0(VALU_DEP_4)
	v_cndmask_b32_e64 v6, v6, v12, s6
	v_cndmask_b32_e64 v3, v9, v12, s5
	;; [unrolled: 1-line block ×5, first 2 shown]
	v_cmp_gt_u32_e32 vcc_lo, 32, v0
	v_perm_b32 v4, v2, v1, 0x5040100
	v_perm_b32 v3, v9, v3, 0x5040100
	;; [unrolled: 1-line block ×4, first 2 shown]
	s_and_b32 s2, vcc_lo, s2
	ds_store_b128 v134, v[1:4]
	s_waitcnt lgkmcnt(0)
	s_barrier
	buffer_gl0_inv
	s_and_saveexec_b32 s4, s2
	s_cbranch_execz .LBB62_2
; %bb.15:
	s_load_b64 s[4:5], s[0:1], 0x68
	v_lshlrev_b32_e32 v0, 10, v0
	v_add_nc_u32_e32 v2, s33, v146
	v_lshlrev_b32_e32 v3, 4, v147
	s_lshl_b32 s0, s36, 6
	s_delay_alu instid0(SALU_CYCLE_1) | instskip(NEXT) | instid1(VALU_DEP_2)
	s_mul_i32 s1, s0, s34
	v_mul_lo_u32 v1, v2, s0
	s_delay_alu instid0(VALU_DEP_2) | instskip(SKIP_2) | instid1(SALU_CYCLE_1)
	v_and_or_b32 v0, 0x3800, v0, v3
	v_add_nc_u32_e32 v2, 2, v2
	s_mul_i32 s6, s1, s8
	s_ashr_i32 s7, s6, 31
	s_delay_alu instid0(VALU_DEP_2)
	v_lshl_or_b32 v7, v146, 6, v0
	s_lshl_b64 s[6:7], s[6:7], 1
	v_mul_lo_u32 v11, v2, s0
	v_ashrrev_i32_e32 v2, 31, v1
	ds_load_b128 v[3:6], v7
	ds_load_b128 v[7:10], v7 offset:128
	s_waitcnt lgkmcnt(0)
	s_add_u32 s1, s4, s6
	s_addc_u32 s2, s5, s7
	s_lshl_b32 s4, s14, 6
	v_ashrrev_i32_e32 v12, 31, v11
	s_ashr_i32 s5, s4, 31
	v_lshlrev_b64 v[13:14], 1, v[1:2]
	s_lshl_b64 s[4:5], s[4:5], 1
	s_delay_alu instid0(SALU_CYCLE_1) | instskip(SKIP_2) | instid1(VALU_DEP_1)
	s_add_u32 s1, s1, s4
	s_addc_u32 s2, s2, s5
	v_add_co_u32 v1, s1, s1, v145
	v_add_co_ci_u32_e64 v2, null, s2, 0, s1
	v_lshlrev_b64 v[11:12], 1, v[11:12]
	s_delay_alu instid0(VALU_DEP_3) | instskip(NEXT) | instid1(VALU_DEP_3)
	v_add_co_u32 v13, vcc_lo, v1, v13
	v_add_co_ci_u32_e32 v14, vcc_lo, v2, v14, vcc_lo
	s_delay_alu instid0(VALU_DEP_3) | instskip(NEXT) | instid1(VALU_DEP_4)
	v_add_co_u32 v11, vcc_lo, v1, v11
	v_add_co_ci_u32_e32 v12, vcc_lo, v2, v12, vcc_lo
	s_clause 0x1
	global_store_b128 v[13:14], v[3:6], off
	global_store_b128 v[11:12], v[7:10], off
	s_and_b32 exec_lo, exec_lo, s3
	s_cbranch_execz .LBB62_2
; %bb.16:
	ds_load_b128 v[3:6], v0 offset:256
	s_add_i32 s1, s33, 4
	s_delay_alu instid0(SALU_CYCLE_1) | instskip(NEXT) | instid1(SALU_CYCLE_1)
	s_mul_i32 s0, s1, s0
	s_ashr_i32 s1, s0, 31
	s_delay_alu instid0(SALU_CYCLE_1) | instskip(NEXT) | instid1(SALU_CYCLE_1)
	s_lshl_b64 s[0:1], s[0:1], 1
	v_add_co_u32 v0, vcc_lo, v1, s0
	v_add_co_ci_u32_e32 v1, vcc_lo, s1, v2, vcc_lo
	s_waitcnt lgkmcnt(0)
	global_store_b128 v[0:1], v[3:6], off
	s_nop 0
	s_sendmsg sendmsg(MSG_DEALLOC_VGPRS)
	s_endpgm
	.section	.rodata,"a",@progbits
	.p2align	6, 0x0
	.amdhsa_kernel _Z39paged_attention_ll4mi_QKV_mfma16_kernelIDF16_DF16_LN4vllm18Fp8KVCacheDataTypeE0EDF16_Li16ELi64ELi256ELb1ELi5EL8MFMAType0EEvPKT_PKT0_S8_ifPKiSA_SA_iPKfiiiPfSD_PS3_PT2_iSC_SC_
		.amdhsa_group_segment_fixed_size 17472
		.amdhsa_private_segment_fixed_size 0
		.amdhsa_kernarg_size 400
		.amdhsa_user_sgpr_count 13
		.amdhsa_user_sgpr_dispatch_ptr 0
		.amdhsa_user_sgpr_queue_ptr 0
		.amdhsa_user_sgpr_kernarg_segment_ptr 1
		.amdhsa_user_sgpr_dispatch_id 0
		.amdhsa_user_sgpr_private_segment_size 0
		.amdhsa_wavefront_size32 1
		.amdhsa_uses_dynamic_stack 0
		.amdhsa_enable_private_segment 0
		.amdhsa_system_sgpr_workgroup_id_x 1
		.amdhsa_system_sgpr_workgroup_id_y 1
		.amdhsa_system_sgpr_workgroup_id_z 1
		.amdhsa_system_sgpr_workgroup_info 0
		.amdhsa_system_vgpr_workitem_id 0
		.amdhsa_next_free_vgpr 198
		.amdhsa_next_free_sgpr 52
		.amdhsa_reserve_vcc 1
		.amdhsa_float_round_mode_32 0
		.amdhsa_float_round_mode_16_64 0
		.amdhsa_float_denorm_mode_32 3
		.amdhsa_float_denorm_mode_16_64 3
		.amdhsa_dx10_clamp 1
		.amdhsa_ieee_mode 1
		.amdhsa_fp16_overflow 0
		.amdhsa_workgroup_processor_mode 1
		.amdhsa_memory_ordered 1
		.amdhsa_forward_progress 0
		.amdhsa_shared_vgpr_count 0
		.amdhsa_exception_fp_ieee_invalid_op 0
		.amdhsa_exception_fp_denorm_src 0
		.amdhsa_exception_fp_ieee_div_zero 0
		.amdhsa_exception_fp_ieee_overflow 0
		.amdhsa_exception_fp_ieee_underflow 0
		.amdhsa_exception_fp_ieee_inexact 0
		.amdhsa_exception_int_div_zero 0
	.end_amdhsa_kernel
	.section	.text._Z39paged_attention_ll4mi_QKV_mfma16_kernelIDF16_DF16_LN4vllm18Fp8KVCacheDataTypeE0EDF16_Li16ELi64ELi256ELb1ELi5EL8MFMAType0EEvPKT_PKT0_S8_ifPKiSA_SA_iPKfiiiPfSD_PS3_PT2_iSC_SC_,"axG",@progbits,_Z39paged_attention_ll4mi_QKV_mfma16_kernelIDF16_DF16_LN4vllm18Fp8KVCacheDataTypeE0EDF16_Li16ELi64ELi256ELb1ELi5EL8MFMAType0EEvPKT_PKT0_S8_ifPKiSA_SA_iPKfiiiPfSD_PS3_PT2_iSC_SC_,comdat
.Lfunc_end62:
	.size	_Z39paged_attention_ll4mi_QKV_mfma16_kernelIDF16_DF16_LN4vllm18Fp8KVCacheDataTypeE0EDF16_Li16ELi64ELi256ELb1ELi5EL8MFMAType0EEvPKT_PKT0_S8_ifPKiSA_SA_iPKfiiiPfSD_PS3_PT2_iSC_SC_, .Lfunc_end62-_Z39paged_attention_ll4mi_QKV_mfma16_kernelIDF16_DF16_LN4vllm18Fp8KVCacheDataTypeE0EDF16_Li16ELi64ELi256ELb1ELi5EL8MFMAType0EEvPKT_PKT0_S8_ifPKiSA_SA_iPKfiiiPfSD_PS3_PT2_iSC_SC_
                                        ; -- End function
	.section	.AMDGPU.csdata,"",@progbits
; Kernel info:
; codeLenInByte = 7832
; NumSgprs: 54
; NumVgprs: 198
; ScratchSize: 0
; MemoryBound: 0
; FloatMode: 240
; IeeeMode: 1
; LDSByteSize: 17472 bytes/workgroup (compile time only)
; SGPRBlocks: 6
; VGPRBlocks: 24
; NumSGPRsForWavesPerEU: 54
; NumVGPRsForWavesPerEU: 198
; Occupancy: 7
; WaveLimiterHint : 1
; COMPUTE_PGM_RSRC2:SCRATCH_EN: 0
; COMPUTE_PGM_RSRC2:USER_SGPR: 13
; COMPUTE_PGM_RSRC2:TRAP_HANDLER: 0
; COMPUTE_PGM_RSRC2:TGID_X_EN: 1
; COMPUTE_PGM_RSRC2:TGID_Y_EN: 1
; COMPUTE_PGM_RSRC2:TGID_Z_EN: 1
; COMPUTE_PGM_RSRC2:TIDIG_COMP_CNT: 0
	.section	.text._Z39paged_attention_ll4mi_QKV_mfma16_kernelIDF16_DF16_LN4vllm18Fp8KVCacheDataTypeE0EDF16_Li16ELi64ELi256ELb1ELi6EL8MFMAType0EEvPKT_PKT0_S8_ifPKiSA_SA_iPKfiiiPfSD_PS3_PT2_iSC_SC_,"axG",@progbits,_Z39paged_attention_ll4mi_QKV_mfma16_kernelIDF16_DF16_LN4vllm18Fp8KVCacheDataTypeE0EDF16_Li16ELi64ELi256ELb1ELi6EL8MFMAType0EEvPKT_PKT0_S8_ifPKiSA_SA_iPKfiiiPfSD_PS3_PT2_iSC_SC_,comdat
	.protected	_Z39paged_attention_ll4mi_QKV_mfma16_kernelIDF16_DF16_LN4vllm18Fp8KVCacheDataTypeE0EDF16_Li16ELi64ELi256ELb1ELi6EL8MFMAType0EEvPKT_PKT0_S8_ifPKiSA_SA_iPKfiiiPfSD_PS3_PT2_iSC_SC_ ; -- Begin function _Z39paged_attention_ll4mi_QKV_mfma16_kernelIDF16_DF16_LN4vllm18Fp8KVCacheDataTypeE0EDF16_Li16ELi64ELi256ELb1ELi6EL8MFMAType0EEvPKT_PKT0_S8_ifPKiSA_SA_iPKfiiiPfSD_PS3_PT2_iSC_SC_
	.globl	_Z39paged_attention_ll4mi_QKV_mfma16_kernelIDF16_DF16_LN4vllm18Fp8KVCacheDataTypeE0EDF16_Li16ELi64ELi256ELb1ELi6EL8MFMAType0EEvPKT_PKT0_S8_ifPKiSA_SA_iPKfiiiPfSD_PS3_PT2_iSC_SC_
	.p2align	8
	.type	_Z39paged_attention_ll4mi_QKV_mfma16_kernelIDF16_DF16_LN4vllm18Fp8KVCacheDataTypeE0EDF16_Li16ELi64ELi256ELb1ELi6EL8MFMAType0EEvPKT_PKT0_S8_ifPKiSA_SA_iPKfiiiPfSD_PS3_PT2_iSC_SC_,@function
_Z39paged_attention_ll4mi_QKV_mfma16_kernelIDF16_DF16_LN4vllm18Fp8KVCacheDataTypeE0EDF16_Li16ELi64ELi256ELb1ELi6EL8MFMAType0EEvPKT_PKT0_S8_ifPKiSA_SA_iPKfiiiPfSD_PS3_PT2_iSC_SC_: ; @_Z39paged_attention_ll4mi_QKV_mfma16_kernelIDF16_DF16_LN4vllm18Fp8KVCacheDataTypeE0EDF16_Li16ELi64ELi256ELb1ELi6EL8MFMAType0EEvPKT_PKT0_S8_ifPKiSA_SA_iPKfiiiPfSD_PS3_PT2_iSC_SC_
; %bb.0:
	s_load_b64 s[2:3], s[0:1], 0x30
	s_mov_b32 s34, s13
	s_waitcnt lgkmcnt(0)
	s_cmp_lg_u64 s[2:3], 0
	s_cselect_b32 s8, -1, 0
	s_ashr_i32 s35, s13, 31
	s_cmp_eq_u64 s[2:3], 0
	s_cbranch_scc1 .LBB63_3
; %bb.1:
	s_lshl_b64 s[4:5], s[34:35], 2
	s_delay_alu instid0(SALU_CYCLE_1) | instskip(SKIP_4) | instid1(SALU_CYCLE_1)
	s_add_u32 s4, s2, s4
	s_addc_u32 s5, s3, s5
	s_load_b64 s[4:5], s[4:5], 0x0
	s_waitcnt lgkmcnt(0)
	s_sub_i32 s4, s5, s4
	s_cmp_eq_u32 s4, 1
	s_cselect_b32 s4, -1, 0
	s_delay_alu instid0(SALU_CYCLE_1)
	s_and_not1_b32 vcc_lo, exec_lo, s4
	s_cbranch_vccz .LBB63_4
.LBB63_2:
	s_endpgm
.LBB63_3:
.LBB63_4:
	s_load_b64 s[4:5], s[0:1], 0x28
	s_lshl_b64 s[6:7], s[34:35], 2
	s_waitcnt lgkmcnt(0)
	s_add_u32 s4, s4, s6
	s_addc_u32 s5, s5, s7
	s_lshl_b32 s35, s14, 8
	s_load_b32 s30, s[4:5], 0x0
	s_waitcnt lgkmcnt(0)
	s_cmp_ge_i32 s35, s30
	s_cbranch_scc1 .LBB63_2
; %bb.5:
	s_clause 0x1
	s_load_b128 s[20:23], s[0:1], 0x8
	s_load_b64 s[4:5], s[0:1], 0x20
	s_and_not1_b32 vcc_lo, exec_lo, s8
	s_cbranch_vccnz .LBB63_7
; %bb.6:
	s_add_u32 s2, s2, s6
	s_addc_u32 s3, s3, s7
	s_load_b32 s3, s[2:3], 0x0
	s_branch .LBB63_8
.LBB63_7:
	s_mov_b32 s3, s34
.LBB63_8:
	s_load_b128 s[16:19], s[0:1], 0x48
	v_and_b32_e32 v148, 15, v0
	v_cmp_gt_u32_e32 vcc_lo, 0x60, v0
	v_lshrrev_b32_e32 v149, 5, v0
	v_and_b32_e32 v150, 31, v0
	v_and_b32_e32 v147, 1, v0
	v_lshlrev_b32_e32 v1, 3, v148
	v_cmp_gt_u32_e64 s2, 8, v148
	v_bfe_u32 v146, v0, 4, 1
	s_mul_i32 s31, s15, 6
	s_delay_alu instid0(VALU_DEP_3) | instskip(NEXT) | instid1(VALU_DEP_3)
	v_lshlrev_b32_e32 v145, 1, v1
	s_and_b32 s7, vcc_lo, s2
	s_delay_alu instid0(SALU_CYCLE_1)
	s_and_saveexec_b32 s6, s7
	s_cbranch_execz .LBB63_10
; %bb.9:
	s_load_b64 s[8:9], s[0:1], 0x0
	v_lshl_or_b32 v5, v149, 1, v146
	s_waitcnt lgkmcnt(0)
	s_mul_hi_i32 s11, s3, s16
	s_mul_i32 s10, s3, s16
	v_lshlrev_b32_e32 v6, 10, v148
	s_lshl_b64 s[10:11], s[10:11], 1
	v_add_lshl_u32 v1, v5, s31, 6
	v_lshlrev_b32_e32 v5, 6, v5
	v_lshlrev_b32_e32 v7, 10, v147
	v_and_b32_e32 v6, 0x3800, v6
	s_delay_alu instid0(VALU_DEP_4) | instskip(NEXT) | instid1(VALU_DEP_2)
	v_ashrrev_i32_e32 v2, 31, v1
	v_or3_b32 v5, v6, v7, v5
	s_delay_alu instid0(VALU_DEP_2) | instskip(SKIP_2) | instid1(VALU_DEP_1)
	v_lshlrev_b64 v[1:2], 1, v[1:2]
	s_add_u32 s3, s8, s10
	s_addc_u32 s7, s9, s11
	v_add_co_u32 v1, vcc_lo, s3, v1
	s_delay_alu instid0(VALU_DEP_2) | instskip(NEXT) | instid1(VALU_DEP_2)
	v_add_co_ci_u32_e32 v2, vcc_lo, s7, v2, vcc_lo
	v_add_co_u32 v1, vcc_lo, v1, v145
	s_delay_alu instid0(VALU_DEP_2)
	v_add_co_ci_u32_e32 v2, vcc_lo, 0, v2, vcc_lo
	global_load_b128 v[1:4], v[1:2], off
	s_waitcnt vmcnt(0)
	ds_store_b128 v5, v[1:4]
.LBB63_10:
	s_or_b32 exec_lo, exec_lo, s6
	v_and_b32_e32 v1, 0xef, v0
	s_waitcnt lgkmcnt(0)
	s_add_i32 s3, s30, 15
	s_clause 0x1
	s_load_b32 s6, s[0:1], 0x38
	s_load_b32 s33, s[0:1], 0x98
	s_ashr_i32 s7, s3, 31
	v_add_nc_u32_e32 v1, s35, v1
	s_lshr_b32 s7, s7, 28
	s_load_b32 s36, s[0:1], 0x1c
	s_add_i32 s3, s3, s7
	s_waitcnt lgkmcnt(0)
	v_ashrrev_i32_e32 v2, 31, v1
	v_or_b32_e32 v3, 16, v1
	s_ashr_i32 s3, s3, 4
	v_cmp_gt_i32_e32 vcc_lo, s30, v1
	s_add_i32 s3, s3, -1
	v_lshrrev_b32_e32 v2, 28, v2
	s_barrier
	buffer_gl0_inv
	v_add_nc_u32_e32 v4, v1, v2
	s_mul_i32 s6, s34, s6
	s_delay_alu instid0(SALU_CYCLE_1) | instskip(NEXT) | instid1(VALU_DEP_1)
	s_ashr_i32 s7, s6, 31
	v_ashrrev_i32_e32 v4, 4, v4
	v_add_nc_u32_e32 v2, v3, v2
	s_lshl_b64 s[6:7], s[6:7], 2
	s_delay_alu instid0(SALU_CYCLE_1) | instskip(NEXT) | instid1(VALU_DEP_2)
	s_add_u32 s16, s4, s6
	v_cndmask_b32_e32 v1, s3, v4, vcc_lo
	s_delay_alu instid0(VALU_DEP_2) | instskip(SKIP_3) | instid1(SALU_CYCLE_1)
	v_ashrrev_i32_e32 v2, 4, v2
	v_cmp_gt_i32_e32 vcc_lo, s30, v3
	s_addc_u32 s37, s5, s7
	s_mul_i32 s4, s15, s18
	s_ashr_i32 s5, s4, 31
	v_cndmask_b32_e32 v3, s3, v2, vcc_lo
	v_ashrrev_i32_e32 v2, 31, v1
	s_lshl_b64 s[12:13], s[4:5], 1
	s_delay_alu instid0(SALU_CYCLE_1) | instskip(NEXT) | instid1(VALU_DEP_2)
	s_add_u32 s26, s20, s12
	v_ashrrev_i32_e32 v4, 31, v3
	s_delay_alu instid0(VALU_DEP_2) | instskip(SKIP_2) | instid1(VALU_DEP_2)
	v_lshlrev_b64 v[1:2], 2, v[1:2]
	s_addc_u32 s27, s21, s13
	s_lshl_b32 s4, s14, 4
	v_lshlrev_b64 v[3:4], 2, v[3:4]
	s_ashr_i32 s5, s4, 31
	s_delay_alu instid0(VALU_DEP_2) | instskip(SKIP_1) | instid1(VALU_DEP_3)
	v_add_co_u32 v1, vcc_lo, s16, v1
	v_add_co_ci_u32_e32 v2, vcc_lo, s37, v2, vcc_lo
	v_add_co_u32 v3, vcc_lo, s16, v3
	s_delay_alu instid0(VALU_DEP_4)
	v_add_co_ci_u32_e32 v4, vcc_lo, s37, v4, vcc_lo
	s_clause 0x1
	global_load_b32 v5, v[1:2], off
	global_load_b32 v6, v[3:4], off
	s_lshl_b64 s[4:5], s[4:5], 2
	v_lshlrev_b32_e32 v3, 4, v0
	s_add_u32 s4, s16, s4
	s_addc_u32 s5, s37, s5
	s_or_b32 s6, s35, 16
	s_delay_alu instid0(SALU_CYCLE_1) | instskip(SKIP_2) | instid1(SALU_CYCLE_1)
	s_ashr_i32 s7, s6, 4
	s_cmp_lt_i32 s6, s30
	s_cselect_b32 s6, s7, s3
	s_ashr_i32 s7, s6, 31
	s_delay_alu instid0(SALU_CYCLE_1) | instskip(NEXT) | instid1(SALU_CYCLE_1)
	s_lshl_b64 s[6:7], s[6:7], 2
	s_add_u32 s6, s16, s6
	s_addc_u32 s7, s37, s7
	s_or_b32 s8, s35, 32
	s_delay_alu instid0(SALU_CYCLE_1) | instskip(SKIP_2) | instid1(SALU_CYCLE_1)
	s_ashr_i32 s9, s8, 4
	s_cmp_lt_i32 s8, s30
	s_cselect_b32 s8, s9, s3
	s_ashr_i32 s9, s8, 31
	s_delay_alu instid0(SALU_CYCLE_1) | instskip(NEXT) | instid1(SALU_CYCLE_1)
	s_lshl_b64 s[8:9], s[8:9], 2
	;; [unrolled: 10-line block ×5, first 2 shown]
	s_add_u32 s24, s16, s18
	s_addc_u32 s25, s37, s19
	s_clause 0x5
	s_load_b32 s38, s[4:5], 0x0
	s_load_b32 s29, s[6:7], 0x0
	;; [unrolled: 1-line block ×6, first 2 shown]
	s_waitcnt vmcnt(1)
	v_mad_i64_i32 v[1:2], null, v5, s17, 0
	v_and_b32_e32 v5, 0xf0, v3
	s_waitcnt vmcnt(0)
	v_mad_i64_i32 v[3:4], null, v6, s17, 0
	s_delay_alu instid0(VALU_DEP_2) | instskip(NEXT) | instid1(VALU_DEP_4)
	v_add_co_u32 v7, s4, s26, v5
	v_lshlrev_b64 v[1:2], 1, v[1:2]
	v_add_co_ci_u32_e64 v8, null, s27, 0, s4
	s_delay_alu instid0(VALU_DEP_4) | instskip(SKIP_1) | instid1(VALU_DEP_3)
	v_lshlrev_b64 v[5:6], 1, v[3:4]
	s_or_b32 s4, s35, 0x60
	v_add_co_u32 v3, vcc_lo, v7, v1
	s_delay_alu instid0(VALU_DEP_3) | instskip(NEXT) | instid1(VALU_DEP_3)
	v_add_co_ci_u32_e32 v4, vcc_lo, v8, v2, vcc_lo
	v_add_co_u32 v1, vcc_lo, v7, v5
	s_delay_alu instid0(VALU_DEP_4)
	v_add_co_ci_u32_e32 v2, vcc_lo, v8, v6, vcc_lo
	s_clause 0x9
	global_load_b128 v[9:12], v[3:4], off
	global_load_b128 v[13:16], v[3:4], off offset:256
	global_load_b128 v[129:132], v[1:2], off
	global_load_b128 v[133:136], v[1:2], off offset:256
	global_load_b128 v[41:44], v[3:4], off offset:512
	;; [unrolled: 1-line block ×7, first 2 shown]
	v_mul_lo_u16 v5, v148, 43
	s_clause 0x1
	global_load_b128 v[151:154], v[1:2], off offset:1024
	global_load_b128 v[155:158], v[1:2], off offset:1280
	s_ashr_i32 s5, s4, 4
	s_cmp_lt_i32 s4, s30
	v_lshlrev_b32_e32 v6, 5, v148
	v_lshrrev_b16 v5, 8, v5
	s_cselect_b32 s4, s5, s3
	s_delay_alu instid0(SALU_CYCLE_1) | instskip(NEXT) | instid1(VALU_DEP_2)
	s_ashr_i32 s5, s4, 31
	v_lshl_or_b32 v6, v149, 9, v6
	s_delay_alu instid0(VALU_DEP_2) | instskip(SKIP_1) | instid1(SALU_CYCLE_1)
	v_mul_lo_u16 v5, v5, 6
	s_lshl_b64 s[4:5], s[4:5], 2
	s_add_u32 s20, s16, s4
	s_addc_u32 s21, s37, s5
	s_delay_alu instid0(VALU_DEP_1) | instskip(SKIP_1) | instid1(SALU_CYCLE_1)
	v_sub_nc_u16 v5, v148, v5
	s_or_b32 s4, s35, 0x70
	s_ashr_i32 s5, s4, 4
	s_cmp_lt_i32 s4, s30
	s_delay_alu instid0(VALU_DEP_1) | instskip(SKIP_1) | instid1(SALU_CYCLE_1)
	v_and_b32_e32 v5, 0xff, v5
	s_cselect_b32 s4, s5, s3
	s_ashr_i32 s5, s4, 31
	s_delay_alu instid0(VALU_DEP_1)
	v_lshlrev_b32_e32 v197, 6, v5
	ds_load_b128 v[159:162], v197
	ds_load_b128 v[163:166], v197 offset:1024
	s_clause 0x3
	global_load_b128 v[167:170], v[3:4], off offset:1536
	global_load_b128 v[171:174], v[3:4], off offset:1792
	;; [unrolled: 1-line block ×4, first 2 shown]
	s_lshl_b64 s[6:7], s[4:5], 2
	s_mov_b32 s4, 0
	s_add_u32 s24, s16, s6
	s_addc_u32 s25, s37, s7
	s_or_b32 s5, s35, 0x80
	s_mov_b32 s11, s4
	s_ashr_i32 s6, s5, 4
	s_cmp_lt_i32 s5, s30
	s_mov_b32 s5, s4
	s_cselect_b32 s8, s6, s3
	s_mov_b32 s6, s4
	s_ashr_i32 s9, s8, 31
	s_mov_b32 s7, s4
	s_lshl_b64 s[8:9], s[8:9], 2
	s_clause 0x1
	s_load_b32 s45, s[20:21], 0x0
	s_load_b32 s46, s[24:25], 0x0
	s_add_u32 s26, s16, s8
	s_addc_u32 s27, s37, s9
	s_or_b32 s9, s35, 0x90
	s_mov_b32 s8, s4
	s_ashr_i32 s10, s9, 4
	s_cmp_lt_i32 s9, s30
	s_mov_b32 s9, s4
	s_cselect_b32 s40, s10, s3
	s_mov_b32 s10, s4
	s_ashr_i32 s41, s40, 31
	v_mov_b32_e32 v144, s11
	s_lshl_b64 s[40:41], s[40:41], 2
	v_mov_b32_e32 v143, s10
	s_add_u32 s40, s16, s40
	s_addc_u32 s41, s37, s41
	s_or_b32 s39, s35, 0xa0
	s_load_b32 s41, s[40:41], 0x0
	s_ashr_i32 s42, s39, 4
	s_cmp_lt_i32 s39, s30
	v_mov_b32_e32 v142, s9
	s_cselect_b32 s42, s42, s3
	v_mov_b32_e32 v141, s8
	s_ashr_i32 s43, s42, 31
	v_dual_mov_b32 v140, s7 :: v_dual_mov_b32 v139, s6
	v_dual_mov_b32 v138, s5 :: v_dual_mov_b32 v137, s4
	s_lshl_b64 s[4:5], s[42:43], 2
	s_waitcnt lgkmcnt(0)
	s_mul_hi_i32 s7, s29, s17
	s_add_u32 s42, s16, s4
	s_addc_u32 s43, s37, s5
	s_or_b32 s4, s35, 0xb0
	s_mul_hi_i32 s5, s38, s17
	s_ashr_i32 s6, s4, 4
	s_cmp_lt_i32 s4, s30
	s_mul_i32 s4, s38, s17
	s_cselect_b32 s8, s6, s3
	s_mul_i32 s6, s29, s17
	s_ashr_i32 s9, s8, 31
	s_load_b32 s40, s[42:43], 0x0
	s_lshl_b64 s[8:9], s[8:9], 2
	s_mul_hi_i32 s21, s15, s17
	s_add_u32 s38, s16, s8
	s_addc_u32 s39, s37, s9
	s_or_b32 s8, s35, 0xc0
	s_mul_hi_i32 s9, s28, s17
	s_ashr_i32 s10, s8, 4
	s_cmp_lt_i32 s8, s30
	s_mul_i32 s8, s28, s17
	s_cselect_b32 s28, s10, s3
	s_mul_hi_i32 s11, s19, s17
	s_ashr_i32 s29, s28, 31
	s_mul_i32 s10, s19, s17
	s_lshl_b64 s[28:29], s[28:29], 2
	s_mul_hi_i32 s19, s18, s17
	s_add_u32 s28, s16, s28
	s_addc_u32 s29, s37, s29
	s_or_b32 s44, s35, 0xd0
	s_mul_i32 s18, s18, s17
	s_ashr_i32 s20, s44, 4
	s_cmp_lt_i32 s44, s30
	s_load_b32 s44, s[26:27], 0x0
	s_cselect_b32 s24, s20, s3
	s_mul_i32 s20, s15, s17
	s_ashr_i32 s25, s24, 31
	s_mul_hi_i32 s27, s46, s17
	s_lshl_b64 s[24:25], s[24:25], 2
	s_mul_i32 s26, s46, s17
	s_add_u32 s24, s16, s24
	s_addc_u32 s25, s37, s25
	s_or_b32 s42, s35, 0xe0
	s_clause 0x2
	s_load_b32 s39, s[38:39], 0x0
	s_load_b32 s38, s[28:29], 0x0
	;; [unrolled: 1-line block ×3, first 2 shown]
	s_ashr_i32 s47, s42, 4
	s_cmp_lt_i32 s42, s30
	s_mul_hi_i32 s25, s45, s17
	s_mul_i32 s24, s45, s17
	s_mul_hi_i32 s43, s41, s17
	s_mul_i32 s42, s41, s17
	s_waitcnt lgkmcnt(0)
	s_mul_hi_i32 s41, s40, s17
	s_mul_i32 s40, s40, s17
	s_mul_hi_i32 s29, s44, s17
	s_mul_i32 s28, s44, s17
	s_cselect_b32 s44, s47, s3
	s_delay_alu instid0(SALU_CYCLE_1) | instskip(NEXT) | instid1(SALU_CYCLE_1)
	s_ashr_i32 s45, s44, 31
	s_lshl_b64 s[44:45], s[44:45], 2
	s_delay_alu instid0(SALU_CYCLE_1)
	s_add_u32 s44, s16, s44
	s_addc_u32 s45, s37, s45
	s_or_b32 s46, s35, 0xf0
	s_mul_hi_i32 s51, s15, s17
	s_ashr_i32 s48, s46, 4
	s_cmp_lt_i32 s46, s30
	s_mul_i32 s50, s15, s17
	s_cselect_b32 s48, s48, s3
	s_mul_hi_i32 s47, s39, s17
	s_ashr_i32 s49, s48, 31
	s_mul_i32 s46, s39, s17
	s_lshl_b64 s[48:49], s[48:49], 2
	s_mul_hi_i32 s39, s38, s17
	s_add_u32 s48, s16, s48
	s_addc_u32 s49, s37, s49
	s_add_u32 s3, s22, s12
	s_addc_u32 s15, s23, s13
	v_add_co_u32 v195, s3, s3, v6
	s_delay_alu instid0(VALU_DEP_1) | instskip(SKIP_2) | instid1(VALU_DEP_2)
	v_add_co_ci_u32_e64 v196, null, s15, 0, s3
	s_lshl_b64 s[4:5], s[4:5], 1
	s_lshl_b64 s[6:7], s[6:7], 1
	v_add_co_u32 v1, vcc_lo, v195, s4
	s_delay_alu instid0(VALU_DEP_2)
	v_add_co_ci_u32_e32 v2, vcc_lo, s5, v196, vcc_lo
	v_add_co_u32 v3, vcc_lo, v195, s6
	s_lshl_b64 s[8:9], s[8:9], 1
	v_add_co_ci_u32_e32 v4, vcc_lo, s7, v196, vcc_lo
	v_add_co_u32 v5, vcc_lo, v195, s8
	s_lshl_b64 s[10:11], s[10:11], 1
	;; [unrolled: 3-line block ×10, first 2 shown]
	s_mul_i32 s38, s38, s17
	v_add_co_ci_u32_e32 v184, vcc_lo, s29, v196, vcc_lo
	v_add_co_u32 v185, vcc_lo, v195, s40
	s_lshl_b64 s[38:39], s[38:39], 1
	s_clause 0x1
	s_load_b32 s3, s[44:45], 0x0
	s_load_b32 s15, s[48:49], 0x0
	v_add_co_ci_u32_e32 v186, vcc_lo, s41, v196, vcc_lo
	v_add_co_u32 v191, vcc_lo, v195, s38
	v_add_co_ci_u32_e32 v192, vcc_lo, s39, v196, vcc_lo
	s_clause 0x17
	global_load_b128 v[121:124], v[1:2], off
	global_load_b128 v[125:128], v[1:2], off offset:16
	global_load_b128 v[113:116], v[3:4], off
	global_load_b128 v[117:120], v[3:4], off offset:16
	;; [unrolled: 2-line block ×12, first 2 shown]
	s_lshl_b64 s[42:43], s[50:51], 1
	s_delay_alu instid0(SALU_CYCLE_1)
	v_add_co_u32 v193, vcc_lo, v195, s42
	v_add_co_ci_u32_e32 v194, vcc_lo, s43, v196, vcc_lo
	s_waitcnt lgkmcnt(0)
	s_mul_hi_i32 s5, s3, s17
	s_mul_i32 s4, s3, s17
	s_mul_hi_i32 s7, s15, s17
	s_lshl_b64 s[4:5], s[4:5], 1
	s_mul_i32 s6, s15, s17
	s_waitcnt vmcnt(38)
	v_wmma_f32_16x16x16_f16 v[183:190], v[9:16], v[159:166], v[137:144]
	s_waitcnt vmcnt(36)
	v_wmma_f32_16x16x16_f16 v[137:144], v[129:136], v[159:166], v[137:144]
	s_clause 0x1
	global_load_b128 v[9:12], v[191:192], off
	global_load_b128 v[13:16], v[191:192], off offset:16
	ds_load_b128 v[129:132], v197 offset:2048
	ds_load_b128 v[133:136], v197 offset:3072
	;; [unrolled: 1-line block ×4, first 2 shown]
	v_add_co_u32 v191, vcc_lo, v195, s4
	v_add_co_ci_u32_e32 v192, vcc_lo, s5, v196, vcc_lo
	s_lshl_b64 s[4:5], s[6:7], 1
	s_delay_alu instid0(SALU_CYCLE_1)
	v_add_co_u32 v195, vcc_lo, v195, s4
	v_add_co_ci_u32_e32 v196, vcc_lo, s5, v196, vcc_lo
	s_waitcnt vmcnt(36) lgkmcnt(2)
	v_wmma_f32_16x16x16_f16 v[183:190], v[41:48], v[129:136], v[183:190]
	s_waitcnt vmcnt(34)
	v_wmma_f32_16x16x16_f16 v[137:144], v[33:40], v[129:136], v[137:144]
	s_clause 0x3
	global_load_b128 v[33:36], v[193:194], off
	global_load_b128 v[37:40], v[193:194], off offset:16
	global_load_b128 v[41:44], v[191:192], off
	global_load_b128 v[45:48], v[191:192], off offset:16
	v_and_b32_e32 v129, 0xe0, v0
	v_mbcnt_lo_u32_b32 v191, -1, 0
	s_waitcnt vmcnt(36) lgkmcnt(0)
	v_wmma_f32_16x16x16_f16 v[183:190], v[17:24], v[159:166], v[183:190]
	s_clause 0x1
	global_load_b128 v[17:20], v[195:196], off
	global_load_b128 v[21:24], v[195:196], off offset:16
	s_waitcnt vmcnt(36)
	v_wmma_f32_16x16x16_f16 v[137:144], v[151:158], v[159:166], v[137:144]
	v_add_nc_u32_e32 v192, s35, v129
	ds_load_b128 v[129:132], v197 offset:6144
	ds_load_b128 v[133:136], v197 offset:7168
	v_xor_b32_e32 v151, 16, v191
	s_waitcnt vmcnt(0) lgkmcnt(0)
	s_barrier
	v_or_b32_e32 v152, v192, v146
	buffer_gl0_inv
	v_cmp_gt_i32_e32 vcc_lo, 32, v151
	v_or_b32_e32 v153, 2, v152
	v_or_b32_e32 v154, 4, v152
	;; [unrolled: 1-line block ×5, first 2 shown]
	v_cmp_gt_i32_e64 s3, s30, v153
	v_cmp_gt_i32_e64 s4, s30, v154
	;; [unrolled: 1-line block ×3, first 2 shown]
	v_or_b32_e32 v158, 12, v152
	v_or_b32_e32 v159, 14, v152
	v_cmp_gt_i32_e64 s6, s30, v156
	v_wmma_f32_16x16x16_f16 v[183:190], v[167:174], v[129:136], v[183:190]
	v_wmma_f32_16x16x16_f16 v[137:144], v[175:182], v[129:136], v[137:144]
	v_cndmask_b32_e32 v151, v191, v151, vcc_lo
	v_cmp_gt_i32_e32 vcc_lo, s30, v152
	v_cmp_gt_i32_e64 s7, s30, v157
	v_dual_mul_f32 v135, s36, v184 :: v_dual_mul_f32 v136, s36, v183
	v_mul_f32_e32 v134, s36, v185
	v_dual_mul_f32 v168, s36, v144 :: v_dual_mul_f32 v133, s36, v186
	s_delay_alu instid0(VALU_DEP_3) | instskip(NEXT) | instid1(VALU_DEP_4)
	v_cndmask_b32_e64 v135, 0xff7fffff, v135, s3
	v_cndmask_b32_e32 v136, 0xff7fffff, v136, vcc_lo
	v_dual_mul_f32 v131, s36, v188 :: v_dual_mul_f32 v174, s36, v138
	v_mul_f32_e32 v132, s36, v187
	v_cndmask_b32_e64 v134, 0xff7fffff, v134, s4
	v_cndmask_b32_e64 v133, 0xff7fffff, v133, s5
	v_max3_f32 v135, v136, 0xff7fffff, v135
	v_or_b32_e32 v160, 16, v152
	v_or_b32_e32 v161, 18, v152
	v_dual_mul_f32 v129, s36, v190 :: v_dual_mul_f32 v172, s36, v140
	v_mul_f32_e32 v130, s36, v189
	v_cndmask_b32_e64 v132, 0xff7fffff, v132, s6
	v_cndmask_b32_e64 v131, 0xff7fffff, v131, s7
	v_max3_f32 v133, v135, v134, v133
	v_cmp_gt_i32_e64 s8, s30, v158
	v_cmp_gt_i32_e64 s9, s30, v159
	v_or_b32_e32 v162, 20, v152
	v_or_b32_e32 v163, 22, v152
	v_mul_f32_e32 v175, s36, v137
	v_cndmask_b32_e64 v130, 0xff7fffff, v130, s8
	v_cndmask_b32_e64 v129, 0xff7fffff, v129, s9
	v_max3_f32 v131, v133, v132, v131
	v_cmp_gt_i32_e64 s10, s30, v160
	v_cmp_gt_i32_e64 s11, s30, v161
	v_or_b32_e32 v164, 24, v152
	v_or_b32_e32 v165, 26, v152
	;; [unrolled: 8-line block ×3, first 2 shown]
	v_dual_mul_f32 v170, s36, v142 :: v_dual_mul_f32 v171, s36, v141
	v_cndmask_b32_e64 v130, 0xff7fffff, v173, s12
	v_cndmask_b32_e64 v131, 0xff7fffff, v172, s13
	v_max3_f32 v129, v129, v132, v133
	v_cmp_gt_i32_e64 s15, s30, v164
	v_cmp_gt_i32_e64 s16, s30, v165
	v_mul_f32_e32 v169, s36, v143
	v_cmp_gt_i32_e64 s17, s30, v166
	v_max3_f32 v129, v129, v130, v131
	v_cndmask_b32_e64 v132, 0xff7fffff, v171, s15
	v_cndmask_b32_e64 v133, 0xff7fffff, v170, s16
	v_cmp_gt_i32_e64 s18, s30, v167
	v_cndmask_b32_e64 v130, 0xff7fffff, v169, s17
	s_delay_alu instid0(VALU_DEP_3) | instskip(NEXT) | instid1(VALU_DEP_3)
	v_max3_f32 v129, v129, v132, v133
	v_cndmask_b32_e64 v131, 0xff7fffff, v168, s18
	v_lshlrev_b32_e32 v132, 2, v151
	s_delay_alu instid0(VALU_DEP_2) | instskip(SKIP_3) | instid1(VALU_DEP_1)
	v_max3_f32 v129, v129, v130, v131
	ds_bpermute_b32 v130, v132, v129
	s_waitcnt lgkmcnt(0)
	v_max_f32_e32 v130, v130, v130
	v_max_f32_e32 v129, v129, v130
	s_delay_alu instid0(VALU_DEP_1)
	v_fma_f32 v134, s36, v186, -v129
	v_fma_f32 v130, s36, v183, -v129
	;; [unrolled: 1-line block ×5, first 2 shown]
	v_mul_f32_e32 v134, 0x3fb8aa3b, v134
	s_delay_alu instid0(VALU_DEP_4) | instskip(SKIP_1) | instid1(VALU_DEP_4)
	v_dual_mul_f32 v130, 0x3fb8aa3b, v130 :: v_dual_mul_f32 v131, 0x3fb8aa3b, v131
	v_fma_f32 v135, s36, v187, -v129
	v_mul_f32_e32 v136, 0x3fb8aa3b, v136
	s_delay_alu instid0(VALU_DEP_4) | instskip(NEXT) | instid1(VALU_DEP_3)
	v_exp_f32_e32 v134, v134
	v_exp_f32_e32 v130, v130
	;; [unrolled: 1-line block ×3, first 2 shown]
	v_mul_f32_e32 v135, 0x3fb8aa3b, v135
	v_exp_f32_e32 v136, v136
	s_delay_alu instid0(VALU_DEP_1) | instskip(SKIP_4) | instid1(TRANS32_DEP_3)
	v_exp_f32_e32 v135, v135
	v_cndmask_b32_e64 v153, 0, v134, s5
	v_fma_f32 v134, s36, v137, -v129
	v_dual_mul_f32 v133, 0x3fb8aa3b, v133 :: v_dual_cndmask_b32 v152, 0, v130
	v_fma_f32 v130, s36, v188, -v129
	v_cndmask_b32_e64 v151, 0, v131, s3
	s_delay_alu instid0(VALU_DEP_4) | instskip(NEXT) | instid1(VALU_DEP_4)
	v_mul_f32_e32 v134, 0x3fb8aa3b, v134
	v_exp_f32_e32 v133, v133
	s_delay_alu instid0(VALU_DEP_3) | instskip(SKIP_3) | instid1(VALU_DEP_4)
	v_dual_add_f32 v131, 0, v152 :: v_dual_mul_f32 v130, 0x3fb8aa3b, v130
	v_cndmask_b32_e64 v156, 0, v136, s8
	v_fma_f32 v136, s36, v140, -v129
	v_cndmask_b32_e64 v155, 0, v135, s6
	v_add_f32_e32 v131, v131, v151
	v_exp_f32_e32 v130, v130
	v_fma_f32 v135, s36, v138, -v129
	v_mul_f32_e32 v136, 0x3fb8aa3b, v136
	s_delay_alu instid0(TRANS32_DEP_2)
	v_cndmask_b32_e64 v154, 0, v133, s4
	v_fma_f32 v133, s36, v190, -v129
	v_exp_f32_e32 v134, v134
	s_mov_b32 s3, exec_lo
	v_exp_f32_e32 v136, v136
	v_add_f32_e32 v131, v131, v154
	s_delay_alu instid0(TRANS32_DEP_3) | instskip(NEXT) | instid1(VALU_DEP_2)
	v_cndmask_b32_e64 v138, 0, v130, s7
	v_add_f32_e32 v131, v131, v153
	s_delay_alu instid0(VALU_DEP_1) | instskip(NEXT) | instid1(VALU_DEP_1)
	v_dual_mul_f32 v133, 0x3fb8aa3b, v133 :: v_dual_add_f32 v130, v131, v155
	v_exp_f32_e32 v133, v133
	v_fma_f32 v131, s36, v139, -v129
	s_delay_alu instid0(VALU_DEP_2) | instskip(NEXT) | instid1(VALU_DEP_1)
	v_add_f32_e32 v130, v130, v138
	v_add_f32_e32 v130, v130, v156
	s_waitcnt_depctr 0xfff
	v_cndmask_b32_e64 v139, 0, v133, s9
	v_fma_f32 v133, s36, v141, -v129
	v_cndmask_b32_e64 v141, 0, v134, s10
	v_fma_f32 v134, s36, v142, -v129
	v_cndmask_b32_e64 v142, 0, v136, s13
	v_add_f32_e32 v130, v130, v139
	s_delay_alu instid0(VALU_DEP_3) | instskip(NEXT) | instid1(VALU_DEP_2)
	v_dual_mul_f32 v135, 0x3fb8aa3b, v135 :: v_dual_mul_f32 v134, 0x3fb8aa3b, v134
	v_add_f32_e32 v130, v130, v141
	s_delay_alu instid0(VALU_DEP_2) | instskip(NEXT) | instid1(VALU_DEP_2)
	v_exp_f32_e32 v135, v135
	v_exp_f32_e32 v134, v134
	s_waitcnt_depctr 0xfff
	v_cndmask_b32_e64 v140, 0, v135, s11
	v_mul_f32_e32 v131, 0x3fb8aa3b, v131
	v_fma_f32 v135, s36, v143, -v129
	s_delay_alu instid0(VALU_DEP_3) | instskip(NEXT) | instid1(VALU_DEP_3)
	v_add_f32_e32 v130, v130, v140
	v_exp_f32_e32 v131, v131
	s_waitcnt_depctr 0xfff
	v_cndmask_b32_e64 v143, 0, v131, s12
	s_delay_alu instid0(VALU_DEP_1) | instskip(NEXT) | instid1(VALU_DEP_1)
	v_dual_mul_f32 v133, 0x3fb8aa3b, v133 :: v_dual_add_f32 v130, v130, v143
	v_exp_f32_e32 v133, v133
	v_mul_f32_e32 v131, 0x3fb8aa3b, v135
	v_fma_f32 v135, s36, v144, -v129
	v_cndmask_b32_e64 v144, 0, v134, s16
	v_add_f32_e32 v130, v130, v142
	s_delay_alu instid0(VALU_DEP_4) | instskip(SKIP_2) | instid1(VALU_DEP_1)
	v_exp_f32_e32 v131, v131
	s_waitcnt_depctr 0xfff
	v_cndmask_b32_e64 v157, 0, v133, s15
	v_dual_mul_f32 v133, 0x3fb8aa3b, v135 :: v_dual_add_f32 v130, v130, v157
	s_delay_alu instid0(VALU_DEP_1) | instskip(SKIP_1) | instid1(VALU_DEP_2)
	v_exp_f32_e32 v133, v133
	v_cndmask_b32_e64 v159, 0, v131, s17
	v_add_f32_e32 v130, v130, v144
	s_delay_alu instid0(VALU_DEP_1) | instskip(SKIP_2) | instid1(VALU_DEP_1)
	v_add_f32_e32 v130, v130, v159
	s_waitcnt_depctr 0xfff
	v_cndmask_b32_e64 v158, 0, v133, s18
	v_add_f32_e32 v130, v130, v158
	ds_bpermute_b32 v131, v132, v130
	v_cmpx_gt_u32_e32 16, v150
	s_cbranch_execz .LBB63_12
; %bb.11:
	v_mul_u32_u24_e32 v132, 0x44, v149
	s_delay_alu instid0(VALU_DEP_1) | instskip(SKIP_1) | instid1(VALU_DEP_1)
	v_lshl_add_u32 v132, v148, 2, v132
	s_waitcnt lgkmcnt(0)
	v_dual_add_f32 v130, v130, v131 :: v_dual_add_nc_u32 v131, 0x4000, v132
	ds_store_2addr_b32 v131, v129, v130 offset1:136
.LBB63_12:
	s_or_b32 exec_lo, exec_lo, s3
	v_lshlrev_b32_e32 v129, 2, v148
	s_load_b32 s35, s[0:1], 0x94
	s_waitcnt lgkmcnt(0)
	s_barrier
	buffer_gl0_inv
	v_add_nc_u32_e32 v135, 0x4000, v129
	v_cmp_eq_u32_e32 vcc_lo, 1, v149
	v_cmp_eq_u32_e64 s3, 2, v149
	v_cmp_eq_u32_e64 s4, 3, v149
	;; [unrolled: 1-line block ×3, first 2 shown]
	ds_load_2addr_b32 v[129:130], v135 offset1:17
	ds_load_2addr_b32 v[131:132], v135 offset0:34 offset1:51
	ds_load_2addr_b32 v[133:134], v135 offset0:68 offset1:85
	;; [unrolled: 1-line block ×3, first 2 shown]
	v_cmp_eq_u32_e64 s6, 5, v149
	v_cmp_eq_u32_e64 s7, 7, v149
	s_waitcnt lgkmcnt(3)
	v_max3_f32 v136, v129, 0xff7fffff, v130
	s_waitcnt lgkmcnt(2)
	s_delay_alu instid0(VALU_DEP_1) | instskip(SKIP_1) | instid1(VALU_DEP_1)
	v_max3_f32 v136, v136, v131, v132
	s_waitcnt lgkmcnt(1)
	v_max3_f32 v136, v136, v133, v134
	s_waitcnt lgkmcnt(0)
	s_delay_alu instid0(VALU_DEP_1) | instskip(NEXT) | instid1(VALU_DEP_1)
	v_max3_f32 v136, v136, v160, v161
	v_sub_f32_e32 v164, v132, v136
	ds_load_2addr_b32 v[162:163], v135 offset0:136 offset1:153
	v_sub_f32_e32 v129, v129, v136
	v_sub_f32_e32 v137, v130, v136
	;; [unrolled: 1-line block ×3, first 2 shown]
	v_mul_f32_e32 v164, 0x3fb8aa3b, v164
	s_delay_alu instid0(VALU_DEP_4) | instskip(NEXT) | instid1(VALU_DEP_4)
	v_mul_f32_e32 v150, 0x3fb8aa3b, v129
	v_mul_f32_e32 v137, 0x3fb8aa3b, v137
	ds_load_2addr_b32 v[129:130], v135 offset0:170 offset1:187
	v_mul_f32_e32 v167, 0x3fb8aa3b, v133
	v_exp_f32_e32 v164, v164
	v_exp_f32_e32 v150, v150
	;; [unrolled: 1-line block ×3, first 2 shown]
	v_sub_f32_e32 v131, v131, v136
	s_delay_alu instid0(VALU_DEP_1)
	v_mul_f32_e32 v165, 0x3fb8aa3b, v131
	ds_load_2addr_b32 v[131:132], v135 offset0:204 offset1:221
	s_waitcnt lgkmcnt(2)
	v_fma_f32 v137, v150, v162, 0
	v_sub_f32_e32 v162, v134, v136
	v_exp_f32_e32 v165, v165
	ds_load_2addr_b32 v[133:134], v135 offset0:238 offset1:255
	v_sub_f32_e32 v135, v160, v136
	v_dual_fmac_f32 v137, v166, v163 :: v_dual_mul_f32 v160, 0x3fb8aa3b, v162
	v_exp_f32_e32 v162, v167
	s_waitcnt lgkmcnt(0)
	s_delay_alu instid0(VALU_DEP_2)
	v_mul_f32_e32 v135, 0x3fb8aa3b, v135
	s_barrier
	v_exp_f32_e32 v160, v160
	v_fmac_f32_e32 v137, v165, v129
	v_sub_f32_e32 v129, v161, v136
	v_exp_f32_e32 v161, v135
	buffer_gl0_inv
	v_fmac_f32_e32 v137, v164, v130
	v_dual_mul_f32 v129, 0x3fb8aa3b, v129 :: v_dual_cndmask_b32 v130, v150, v166
	s_delay_alu instid0(VALU_DEP_2) | instskip(NEXT) | instid1(VALU_DEP_2)
	v_fmac_f32_e32 v137, v162, v131
	v_exp_f32_e32 v163, v129
	s_delay_alu instid0(VALU_DEP_1) | instskip(NEXT) | instid1(VALU_DEP_1)
	v_fmac_f32_e32 v137, v160, v132
	v_fmac_f32_e32 v137, v161, v133
	v_lshlrev_b32_e32 v133, 6, v148
	s_waitcnt_depctr 0xfff
	v_fmac_f32_e32 v137, v163, v134
	v_lshl_or_b32 v135, v149, 11, v133
	s_delay_alu instid0(VALU_DEP_2) | instskip(NEXT) | instid1(VALU_DEP_1)
	v_add_f32_e32 v134, 0x358637bd, v137
	v_div_scale_f32 v167, null, v134, v134, 1.0
	v_div_scale_f32 v150, vcc_lo, 1.0, v134, 1.0
	s_delay_alu instid0(VALU_DEP_2) | instskip(SKIP_2) | instid1(VALU_DEP_1)
	v_rcp_f32_e32 v168, v167
	s_waitcnt_depctr 0xfff
	v_fma_f32 v129, -v167, v168, 1.0
	v_fmac_f32_e32 v168, v129, v168
	v_cndmask_b32_e64 v129, v130, v165, s3
	v_cmp_eq_u32_e64 s3, 6, v149
	s_delay_alu instid0(VALU_DEP_3) | instskip(NEXT) | instid1(VALU_DEP_3)
	v_mul_f32_e32 v165, v150, v168
	v_cndmask_b32_e64 v130, v129, v164, s4
	v_lshlrev_b32_e32 v129, 2, v146
	s_delay_alu instid0(VALU_DEP_3) | instskip(NEXT) | instid1(VALU_DEP_3)
	v_fma_f32 v131, -v167, v165, v150
	v_cndmask_b32_e64 v162, v130, v162, s5
	s_delay_alu instid0(VALU_DEP_3)
	v_or_b32_e32 v130, 1, v129
	v_or_b32_e32 v132, 2, v129
	v_cmp_eq_u32_e64 s4, 1, v129
	v_fmac_f32_e32 v165, v131, v168
	v_cndmask_b32_e64 v149, v162, v160, s6
	v_or_b32_e32 v131, 3, v129
	v_cmp_eq_u32_e64 s9, 1, v130
	v_cmp_eq_u32_e64 s10, 1, v132
	v_fma_f32 v150, -v167, v165, v150
	v_cndmask_b32_e64 v149, v149, v161, s3
	v_cmp_eq_u32_e64 s11, 1, v131
	v_cmp_eq_u32_e64 s5, 2, v129
	;; [unrolled: 1-line block ×3, first 2 shown]
	v_div_fmas_f32 v150, v150, v168, v165
	v_cndmask_b32_e64 v149, v149, v163, s7
	v_cmp_eq_u32_e64 s15, 2, v132
	v_cmp_eq_u32_e64 s16, 2, v131
	v_cmp_eq_u32_e32 vcc_lo, 3, v129
	v_div_fixup_f32 v150, v150, v134, 1.0
	v_lshl_or_b32 v134, v146, 4, v135
	v_cmp_eq_u32_e64 s13, 3, v130
	v_cmp_eq_u32_e64 s18, 3, v131
	;; [unrolled: 1-line block ×3, first 2 shown]
	v_mul_f32_e32 v149, v149, v150
	v_cmp_eq_u32_e64 s17, 3, v132
	v_cmp_eq_u32_e64 s19, 4, v130
	;; [unrolled: 1-line block ×4, first 2 shown]
	v_fma_mixlo_f16 v160, v149, v152, 0
	v_fma_mixlo_f16 v161, v149, v154, 0
	;; [unrolled: 1-line block ×8, first 2 shown]
	v_fma_mixhi_f16 v160, v149, v151, 0
	v_fma_mixhi_f16 v161, v149, v153, 0
	;; [unrolled: 1-line block ×8, first 2 shown]
	ds_store_b128 v134, v[160:163]
	ds_store_b128 v134, v[154:157] offset:1024
	s_waitcnt lgkmcnt(0)
	s_barrier
	buffer_gl0_inv
	ds_load_b128 v[138:141], v135
	ds_load_b128 v[149:152], v135 offset:16
	ds_load_b128 v[153:156], v135 offset:1024
	;; [unrolled: 1-line block ×3, first 2 shown]
	v_cmp_eq_u32_e64 s20, 5, v130
	v_cmp_eq_u32_e64 s21, 4, v132
	;; [unrolled: 1-line block ×12, first 2 shown]
	s_waitcnt lgkmcnt(3)
	v_lshrrev_b32_e32 v142, 16, v138
	s_waitcnt lgkmcnt(2)
	v_lshrrev_b32_e32 v162, 16, v149
	;; [unrolled: 2-line block ×4, first 2 shown]
	v_lshrrev_b32_e32 v143, 16, v139
	v_cndmask_b32_e64 v174, v138, v142, s4
	v_cndmask_b32_e64 v175, v149, v162, s4
	;; [unrolled: 1-line block ×7, first 2 shown]
	v_lshrrev_b32_e32 v163, 16, v150
	v_cndmask_b32_e64 v179, v149, v162, s10
	v_cndmask_b32_e64 v149, v153, v166, s4
	;; [unrolled: 1-line block ×16, first 2 shown]
	v_lshrrev_b32_e32 v167, 16, v154
	v_lshrrev_b32_e32 v171, 16, v158
	v_cndmask_b32_e64 v177, v179, v150, s15
	v_cndmask_b32_e64 v142, v149, v154, s5
	;; [unrolled: 1-line block ×7, first 2 shown]
	v_cndmask_b32_e32 v157, v166, v143, vcc_lo
	v_cndmask_b32_e32 v166, v170, v163, vcc_lo
	v_cndmask_b32_e64 v170, v174, v143, s13
	v_cndmask_b32_e64 v174, v175, v163, s13
	;; [unrolled: 1-line block ×4, first 2 shown]
	v_lshrrev_b32_e32 v144, 16, v140
	v_lshrrev_b32_e32 v164, 16, v151
	v_cndmask_b32_e64 v175, v176, v143, s17
	v_cndmask_b32_e64 v176, v177, v163, s17
	v_cndmask_b32_e32 v142, v142, v167, vcc_lo
	v_cndmask_b32_e32 v143, v149, v171, vcc_lo
	v_cndmask_b32_e64 v149, v150, v167, s13
	v_cndmask_b32_e64 v150, v157, v140, s3
	;; [unrolled: 1-line block ×7, first 2 shown]
	v_lshrrev_b32_e32 v168, 16, v155
	v_cndmask_b32_e64 v170, v175, v140, s21
	v_cndmask_b32_e64 v174, v176, v151, s21
	;; [unrolled: 1-line block ×11, first 2 shown]
	v_lshrrev_b32_e32 v161, 16, v141
	v_lshrrev_b32_e32 v165, 16, v152
	v_cndmask_b32_e64 v163, v170, v144, s23
	v_cndmask_b32_e64 v166, v174, v164, s23
	;; [unrolled: 1-line block ×9, first 2 shown]
	v_lshrrev_b32_e32 v169, 16, v156
	v_cndmask_b32_e64 v140, v140, v168, s6
	v_cndmask_b32_e64 v157, v163, v141, s26
	;; [unrolled: 1-line block ×14, first 2 shown]
	v_perm_b32 v141, v139, v138, 0x5040100
	v_perm_b32 v139, v151, v149, 0x5040100
	v_cndmask_b32_e64 v138, v183, v158, s15
	v_cndmask_b32_e64 v149, v181, v158, s12
	;; [unrolled: 1-line block ×3, first 2 shown]
	v_perm_b32 v140, v152, v150, 0x5040100
	v_cndmask_b32_e64 v150, v162, v167, s17
	v_cndmask_b32_e64 v151, v153, v167, s18
	v_cndmask_b32_e64 v152, v154, v171, s18
	v_cndmask_b32_e64 v138, v138, v171, s17
	v_cndmask_b32_e64 v149, v149, v171, s13
	v_lshrrev_b32_e32 v172, 16, v159
	v_cndmask_b32_e64 v150, v150, v155, s21
	v_cndmask_b32_e64 v151, v151, v155, s22
	;; [unrolled: 1-line block ×11, first 2 shown]
	v_lshrrev_b32_e32 v173, 16, v160
	v_cndmask_b32_e64 v142, v142, v160, s7
	v_cndmask_b32_e64 v150, v150, v156, s26
	;; [unrolled: 1-line block ×12, first 2 shown]
	v_perm_b32 v138, v144, v143, 0x5040100
	v_perm_b32 v152, v152, v151, 0x5040100
	;; [unrolled: 1-line block ×5, first 2 shown]
	s_mul_i32 s7, s33, 6
	s_mov_b32 s3, exec_lo
	ds_store_b128 v134, v[138:141]
	ds_store_b128 v134, v[149:152] offset:1024
	v_cmpx_gt_u32_e32 6, v0
	s_cbranch_execz .LBB63_14
; %bb.13:
	s_mul_i32 s4, s7, s34
	s_load_b128 s[8:11], s[0:1], 0x58
	v_add3_u32 v140, s4, s31, v148
	s_delay_alu instid0(VALU_DEP_1) | instskip(NEXT) | instid1(VALU_DEP_1)
	v_mad_u64_u32 v[138:139], null, v140, s35, s[14:15]
	v_ashrrev_i32_e32 v139, 31, v138
	s_delay_alu instid0(VALU_DEP_1) | instskip(SKIP_1) | instid1(VALU_DEP_1)
	v_lshlrev_b64 v[138:139], 2, v[138:139]
	s_waitcnt lgkmcnt(0)
	v_add_co_u32 v140, vcc_lo, s10, v138
	s_delay_alu instid0(VALU_DEP_2)
	v_add_co_ci_u32_e32 v141, vcc_lo, s11, v139, vcc_lo
	v_add_co_u32 v138, vcc_lo, s8, v138
	v_add_co_ci_u32_e32 v139, vcc_lo, s9, v139, vcc_lo
	global_store_b32 v[140:141], v136, off
	global_store_b32 v[138:139], v137, off
.LBB63_14:
	s_or_b32 exec_lo, exec_lo, s3
	s_waitcnt lgkmcnt(0)
	s_waitcnt_vscnt null, 0x0
	s_barrier
	buffer_gl0_inv
	ds_load_b128 v[148:151], v133
	ds_load_b128 v[152:155], v133 offset:16
	ds_load_b128 v[160:163], v133 offset:1040
	;; [unrolled: 1-line block ×5, first 2 shown]
	v_cmp_eq_u32_e32 vcc_lo, 1, v132
	v_mov_b32_e32 v136, 0
	ds_load_b128 v[176:179], v133 offset:3088
	ds_load_b128 v[172:175], v133 offset:3072
	;; [unrolled: 1-line block ×4, first 2 shown]
	v_cmp_eq_u32_e64 s3, 1, v129
	v_cmp_eq_u32_e64 s4, 1, v131
	;; [unrolled: 1-line block ×3, first 2 shown]
	v_mov_b32_e32 v137, v136
	v_mov_b32_e32 v138, v136
	;; [unrolled: 1-line block ×7, first 2 shown]
	v_cmp_eq_u32_e64 s6, 2, v129
	s_waitcnt lgkmcnt(8)
	s_delay_alu instid0(VALU_DEP_2)
	v_wmma_f32_16x16x16_f16 v[136:143], v[121:128], v[148:155], v[136:143]
	ds_load_b128 v[125:128], v133 offset:5136
	ds_load_b128 v[121:124], v133 offset:5120
	s_waitcnt lgkmcnt(8)
	v_wmma_f32_16x16x16_f16 v[136:143], v[113:120], v[156:163], v[136:143]
	ds_load_b128 v[117:120], v133 offset:6160
	ds_load_b128 v[113:116], v133 offset:6144
	s_waitcnt lgkmcnt(8)
	;; [unrolled: 4-line block ×11, first 2 shown]
	s_barrier
	buffer_gl0_inv
	v_wmma_f32_16x16x16_f16 v[136:143], v[1:8], v[73:80], v[136:143]
	s_delay_alu instid0(VALU_DEP_1) | instskip(NEXT) | instid1(VALU_DEP_1)
	v_wmma_f32_16x16x16_f16 v[136:143], v[9:16], v[65:72], v[136:143]
	v_wmma_f32_16x16x16_f16 v[136:143], v[33:40], v[57:64], v[136:143]
	s_delay_alu instid0(VALU_DEP_1) | instskip(NEXT) | instid1(VALU_DEP_1)
	v_wmma_f32_16x16x16_f16 v[136:143], v[41:48], v[49:56], v[136:143]
	v_wmma_f32_16x16x16_f16 v[136:143], v[17:24], v[25:32], v[136:143]
	s_delay_alu instid0(VALU_DEP_1) | instskip(NEXT) | instid1(VALU_DEP_2)
	v_cvt_f16_f32_e64 v1, v136
	v_cvt_f16_f32_e64 v2, v137
	s_delay_alu instid0(VALU_DEP_3) | instskip(NEXT) | instid1(VALU_DEP_4)
	v_cvt_f16_f32_e64 v3, v138
	v_cvt_f16_f32_e64 v4, v139
	;; [unrolled: 1-line block ×6, first 2 shown]
	v_pack_b32_f16 v1, v1, v2
	v_pack_b32_f16 v2, v3, v4
	;; [unrolled: 1-line block ×3, first 2 shown]
	s_delay_alu instid0(VALU_DEP_4)
	v_pack_b32_f16 v4, v7, v8
	ds_store_b128 v134, v[1:4]
	s_waitcnt lgkmcnt(0)
	s_barrier
	buffer_gl0_inv
	ds_load_b128 v[1:4], v135
	ds_load_b128 v[5:8], v135 offset:16
	s_waitcnt lgkmcnt(1)
	v_lshrrev_b32_e32 v9, 16, v1
	s_waitcnt lgkmcnt(0)
	v_lshrrev_b32_e32 v13, 16, v5
	v_lshrrev_b32_e32 v10, 16, v2
	;; [unrolled: 1-line block ×4, first 2 shown]
	v_cndmask_b32_e64 v17, v1, v9, s3
	v_cndmask_b32_e64 v18, v5, v13, s3
	;; [unrolled: 1-line block ×3, first 2 shown]
	v_cmp_eq_u32_e64 s3, 2, v130
	v_cndmask_b32_e64 v20, v5, v13, s5
	v_cndmask_b32_e32 v21, v1, v9, vcc_lo
	v_cndmask_b32_e32 v22, v5, v13, vcc_lo
	v_cndmask_b32_e64 v1, v1, v9, s4
	v_cndmask_b32_e64 v5, v5, v13, s4
	v_cmp_eq_u32_e32 vcc_lo, 2, v132
	v_cmp_eq_u32_e64 s4, 2, v131
	v_cndmask_b32_e64 v9, v17, v2, s6
	v_cndmask_b32_e64 v13, v18, v6, s6
	;; [unrolled: 1-line block ×4, first 2 shown]
	v_cndmask_b32_e32 v19, v21, v2, vcc_lo
	v_cmp_eq_u32_e64 s3, 3, v132
	v_cndmask_b32_e32 v20, v22, v6, vcc_lo
	v_cndmask_b32_e64 v1, v1, v2, s4
	v_cmp_eq_u32_e32 vcc_lo, 3, v131
	v_cmp_eq_u32_e64 s5, 3, v129
	v_cndmask_b32_e64 v2, v5, v6, s4
	v_cmp_eq_u32_e64 s4, 3, v130
	v_cmp_eq_u32_e64 s6, 4, v129
	v_cndmask_b32_e32 v1, v1, v10, vcc_lo
	v_cndmask_b32_e64 v5, v9, v10, s5
	v_cndmask_b32_e64 v6, v13, v14, s5
	;; [unrolled: 1-line block ×3, first 2 shown]
	v_cmp_eq_u32_e64 s5, 4, v130
	v_cndmask_b32_e64 v13, v18, v14, s4
	v_cndmask_b32_e64 v17, v19, v10, s3
	v_cndmask_b32_e64 v18, v20, v14, s3
	v_cndmask_b32_e32 v2, v2, v14, vcc_lo
	v_cmp_eq_u32_e32 vcc_lo, 4, v132
	v_cmp_eq_u32_e64 s4, 4, v131
	v_lshrrev_b32_e32 v15, 16, v7
	v_cndmask_b32_e64 v5, v5, v3, s6
	v_cndmask_b32_e64 v6, v6, v7, s6
	v_cndmask_b32_e32 v14, v18, v7, vcc_lo
	v_cndmask_b32_e64 v9, v9, v3, s5
	v_cndmask_b32_e64 v10, v13, v7, s5
	v_cndmask_b32_e32 v13, v17, v3, vcc_lo
	v_cmp_eq_u32_e64 s3, 5, v132
	v_cndmask_b32_e64 v1, v1, v3, s4
	v_cmp_eq_u32_e32 vcc_lo, 5, v131
	v_cmp_eq_u32_e64 s5, 5, v129
	v_cndmask_b32_e64 v2, v2, v7, s4
	v_cmp_eq_u32_e64 s4, 5, v130
	v_cmp_eq_u32_e64 s6, 6, v129
	v_lshrrev_b32_e32 v12, 16, v4
	v_cndmask_b32_e64 v3, v5, v11, s5
	v_cndmask_b32_e64 v5, v6, v15, s5
	;; [unrolled: 1-line block ×3, first 2 shown]
	v_cmp_eq_u32_e64 s5, 6, v130
	v_cndmask_b32_e64 v7, v10, v15, s4
	v_cndmask_b32_e64 v9, v13, v11, s3
	;; [unrolled: 1-line block ×3, first 2 shown]
	v_cndmask_b32_e32 v1, v1, v11, vcc_lo
	v_cndmask_b32_e32 v2, v2, v15, vcc_lo
	v_cmp_eq_u32_e32 vcc_lo, 6, v132
	v_cmp_eq_u32_e64 s3, 6, v131
	v_lshrrev_b32_e32 v16, 16, v8
	v_cndmask_b32_e64 v3, v3, v4, s6
	v_cndmask_b32_e64 v5, v5, v8, s6
	v_cndmask_b32_e32 v9, v9, v4, vcc_lo
	v_cndmask_b32_e64 v6, v6, v4, s5
	v_cndmask_b32_e64 v7, v7, v8, s5
	v_cmp_eq_u32_e64 s4, 7, v132
	v_cndmask_b32_e32 v10, v10, v8, vcc_lo
	v_cndmask_b32_e64 v1, v1, v4, s3
	v_cmp_eq_u32_e32 vcc_lo, 7, v131
	v_cndmask_b32_e64 v2, v2, v8, s3
	v_cmp_eq_u32_e64 s3, 7, v129
	v_cmp_eq_u32_e64 s5, 7, v130
	v_cndmask_b32_e32 v1, v1, v12, vcc_lo
	s_delay_alu instid0(VALU_DEP_4) | instskip(NEXT) | instid1(VALU_DEP_4)
	v_cndmask_b32_e32 v2, v2, v16, vcc_lo
	v_cndmask_b32_e64 v8, v3, v12, s3
	s_delay_alu instid0(VALU_DEP_4)
	v_cndmask_b32_e64 v6, v6, v12, s5
	v_cndmask_b32_e64 v3, v9, v12, s4
	;; [unrolled: 1-line block ×5, first 2 shown]
	v_cmp_gt_u32_e32 vcc_lo, 32, v0
	v_perm_b32 v4, v2, v1, 0x5040100
	v_perm_b32 v3, v9, v3, 0x5040100
	;; [unrolled: 1-line block ×4, first 2 shown]
	s_and_b32 s2, vcc_lo, s2
	ds_store_b128 v134, v[1:4]
	s_waitcnt lgkmcnt(0)
	s_barrier
	buffer_gl0_inv
	s_and_saveexec_b32 s3, s2
	s_cbranch_execz .LBB63_2
; %bb.15:
	s_load_b64 s[0:1], s[0:1], 0x68
	s_lshl_b32 s4, s35, 6
	v_or_b32_e32 v3, s31, v146
	s_mul_i32 s2, s4, s34
	v_lshlrev_b32_e32 v0, 10, v0
	s_mul_i32 s2, s2, s7
	v_lshlrev_b32_e32 v1, 4, v147
	s_ashr_i32 s3, s2, 31
	v_mul_lo_u32 v12, v3, s4
	s_lshl_b64 s[2:3], s[2:3], 1
	v_lshlrev_b32_e32 v2, 6, v146
	v_and_b32_e32 v0, 0x3800, v0
	s_delay_alu instid0(VALU_DEP_1) | instskip(NEXT) | instid1(VALU_DEP_4)
	v_or3_b32 v8, v0, v1, v2
	v_ashrrev_i32_e32 v13, 31, v12
	ds_load_b128 v[0:3], v8
	ds_load_b128 v[4:7], v8 offset:128
	ds_load_b128 v[8:11], v8 offset:256
	s_waitcnt lgkmcnt(0)
	s_add_u32 s2, s0, s2
	s_addc_u32 s3, s1, s3
	s_lshl_b32 s0, s14, 6
	s_delay_alu instid0(SALU_CYCLE_1) | instskip(NEXT) | instid1(SALU_CYCLE_1)
	s_ashr_i32 s1, s0, 31
	s_lshl_b64 s[0:1], s[0:1], 1
	s_delay_alu instid0(SALU_CYCLE_1)
	s_add_u32 s0, s2, s0
	s_addc_u32 s1, s3, s1
	s_lshl_b32 s2, s35, 7
	v_add_co_u32 v18, s0, s0, v145
	v_add_nc_u32_e32 v14, s2, v12
	v_lshlrev_b64 v[12:13], 1, v[12:13]
	v_add_co_ci_u32_e64 v19, null, s1, 0, s0
	s_delay_alu instid0(VALU_DEP_3) | instskip(SKIP_1) | instid1(VALU_DEP_4)
	v_add_nc_u32_e32 v16, s2, v14
	v_ashrrev_i32_e32 v15, 31, v14
	v_add_co_u32 v12, vcc_lo, v18, v12
	s_delay_alu instid0(VALU_DEP_4) | instskip(NEXT) | instid1(VALU_DEP_4)
	v_add_co_ci_u32_e32 v13, vcc_lo, v19, v13, vcc_lo
	v_ashrrev_i32_e32 v17, 31, v16
	s_delay_alu instid0(VALU_DEP_4) | instskip(NEXT) | instid1(VALU_DEP_2)
	v_lshlrev_b64 v[14:15], 1, v[14:15]
	v_lshlrev_b64 v[16:17], 1, v[16:17]
	s_delay_alu instid0(VALU_DEP_2) | instskip(NEXT) | instid1(VALU_DEP_3)
	v_add_co_u32 v14, vcc_lo, v18, v14
	v_add_co_ci_u32_e32 v15, vcc_lo, v19, v15, vcc_lo
	s_delay_alu instid0(VALU_DEP_3) | instskip(NEXT) | instid1(VALU_DEP_4)
	v_add_co_u32 v16, vcc_lo, v18, v16
	v_add_co_ci_u32_e32 v17, vcc_lo, v19, v17, vcc_lo
	s_clause 0x2
	global_store_b128 v[12:13], v[0:3], off
	global_store_b128 v[14:15], v[4:7], off
	;; [unrolled: 1-line block ×3, first 2 shown]
	s_nop 0
	s_sendmsg sendmsg(MSG_DEALLOC_VGPRS)
	s_endpgm
	.section	.rodata,"a",@progbits
	.p2align	6, 0x0
	.amdhsa_kernel _Z39paged_attention_ll4mi_QKV_mfma16_kernelIDF16_DF16_LN4vllm18Fp8KVCacheDataTypeE0EDF16_Li16ELi64ELi256ELb1ELi6EL8MFMAType0EEvPKT_PKT0_S8_ifPKiSA_SA_iPKfiiiPfSD_PS3_PT2_iSC_SC_
		.amdhsa_group_segment_fixed_size 17472
		.amdhsa_private_segment_fixed_size 0
		.amdhsa_kernarg_size 400
		.amdhsa_user_sgpr_count 13
		.amdhsa_user_sgpr_dispatch_ptr 0
		.amdhsa_user_sgpr_queue_ptr 0
		.amdhsa_user_sgpr_kernarg_segment_ptr 1
		.amdhsa_user_sgpr_dispatch_id 0
		.amdhsa_user_sgpr_private_segment_size 0
		.amdhsa_wavefront_size32 1
		.amdhsa_uses_dynamic_stack 0
		.amdhsa_enable_private_segment 0
		.amdhsa_system_sgpr_workgroup_id_x 1
		.amdhsa_system_sgpr_workgroup_id_y 1
		.amdhsa_system_sgpr_workgroup_id_z 1
		.amdhsa_system_sgpr_workgroup_info 0
		.amdhsa_system_vgpr_workitem_id 0
		.amdhsa_next_free_vgpr 198
		.amdhsa_next_free_sgpr 52
		.amdhsa_reserve_vcc 1
		.amdhsa_float_round_mode_32 0
		.amdhsa_float_round_mode_16_64 0
		.amdhsa_float_denorm_mode_32 3
		.amdhsa_float_denorm_mode_16_64 3
		.amdhsa_dx10_clamp 1
		.amdhsa_ieee_mode 1
		.amdhsa_fp16_overflow 0
		.amdhsa_workgroup_processor_mode 1
		.amdhsa_memory_ordered 1
		.amdhsa_forward_progress 0
		.amdhsa_shared_vgpr_count 0
		.amdhsa_exception_fp_ieee_invalid_op 0
		.amdhsa_exception_fp_denorm_src 0
		.amdhsa_exception_fp_ieee_div_zero 0
		.amdhsa_exception_fp_ieee_overflow 0
		.amdhsa_exception_fp_ieee_underflow 0
		.amdhsa_exception_fp_ieee_inexact 0
		.amdhsa_exception_int_div_zero 0
	.end_amdhsa_kernel
	.section	.text._Z39paged_attention_ll4mi_QKV_mfma16_kernelIDF16_DF16_LN4vllm18Fp8KVCacheDataTypeE0EDF16_Li16ELi64ELi256ELb1ELi6EL8MFMAType0EEvPKT_PKT0_S8_ifPKiSA_SA_iPKfiiiPfSD_PS3_PT2_iSC_SC_,"axG",@progbits,_Z39paged_attention_ll4mi_QKV_mfma16_kernelIDF16_DF16_LN4vllm18Fp8KVCacheDataTypeE0EDF16_Li16ELi64ELi256ELb1ELi6EL8MFMAType0EEvPKT_PKT0_S8_ifPKiSA_SA_iPKfiiiPfSD_PS3_PT2_iSC_SC_,comdat
.Lfunc_end63:
	.size	_Z39paged_attention_ll4mi_QKV_mfma16_kernelIDF16_DF16_LN4vllm18Fp8KVCacheDataTypeE0EDF16_Li16ELi64ELi256ELb1ELi6EL8MFMAType0EEvPKT_PKT0_S8_ifPKiSA_SA_iPKfiiiPfSD_PS3_PT2_iSC_SC_, .Lfunc_end63-_Z39paged_attention_ll4mi_QKV_mfma16_kernelIDF16_DF16_LN4vllm18Fp8KVCacheDataTypeE0EDF16_Li16ELi64ELi256ELb1ELi6EL8MFMAType0EEvPKT_PKT0_S8_ifPKiSA_SA_iPKfiiiPfSD_PS3_PT2_iSC_SC_
                                        ; -- End function
	.section	.AMDGPU.csdata,"",@progbits
; Kernel info:
; codeLenInByte = 7812
; NumSgprs: 54
; NumVgprs: 198
; ScratchSize: 0
; MemoryBound: 0
; FloatMode: 240
; IeeeMode: 1
; LDSByteSize: 17472 bytes/workgroup (compile time only)
; SGPRBlocks: 6
; VGPRBlocks: 24
; NumSGPRsForWavesPerEU: 54
; NumVGPRsForWavesPerEU: 198
; Occupancy: 7
; WaveLimiterHint : 1
; COMPUTE_PGM_RSRC2:SCRATCH_EN: 0
; COMPUTE_PGM_RSRC2:USER_SGPR: 13
; COMPUTE_PGM_RSRC2:TRAP_HANDLER: 0
; COMPUTE_PGM_RSRC2:TGID_X_EN: 1
; COMPUTE_PGM_RSRC2:TGID_Y_EN: 1
; COMPUTE_PGM_RSRC2:TGID_Z_EN: 1
; COMPUTE_PGM_RSRC2:TIDIG_COMP_CNT: 0
	.section	.text._Z39paged_attention_ll4mi_QKV_mfma16_kernelIDF16_DF16_LN4vllm18Fp8KVCacheDataTypeE0EDF16_Li16ELi64ELi256ELb1ELi7EL8MFMAType0EEvPKT_PKT0_S8_ifPKiSA_SA_iPKfiiiPfSD_PS3_PT2_iSC_SC_,"axG",@progbits,_Z39paged_attention_ll4mi_QKV_mfma16_kernelIDF16_DF16_LN4vllm18Fp8KVCacheDataTypeE0EDF16_Li16ELi64ELi256ELb1ELi7EL8MFMAType0EEvPKT_PKT0_S8_ifPKiSA_SA_iPKfiiiPfSD_PS3_PT2_iSC_SC_,comdat
	.protected	_Z39paged_attention_ll4mi_QKV_mfma16_kernelIDF16_DF16_LN4vllm18Fp8KVCacheDataTypeE0EDF16_Li16ELi64ELi256ELb1ELi7EL8MFMAType0EEvPKT_PKT0_S8_ifPKiSA_SA_iPKfiiiPfSD_PS3_PT2_iSC_SC_ ; -- Begin function _Z39paged_attention_ll4mi_QKV_mfma16_kernelIDF16_DF16_LN4vllm18Fp8KVCacheDataTypeE0EDF16_Li16ELi64ELi256ELb1ELi7EL8MFMAType0EEvPKT_PKT0_S8_ifPKiSA_SA_iPKfiiiPfSD_PS3_PT2_iSC_SC_
	.globl	_Z39paged_attention_ll4mi_QKV_mfma16_kernelIDF16_DF16_LN4vllm18Fp8KVCacheDataTypeE0EDF16_Li16ELi64ELi256ELb1ELi7EL8MFMAType0EEvPKT_PKT0_S8_ifPKiSA_SA_iPKfiiiPfSD_PS3_PT2_iSC_SC_
	.p2align	8
	.type	_Z39paged_attention_ll4mi_QKV_mfma16_kernelIDF16_DF16_LN4vllm18Fp8KVCacheDataTypeE0EDF16_Li16ELi64ELi256ELb1ELi7EL8MFMAType0EEvPKT_PKT0_S8_ifPKiSA_SA_iPKfiiiPfSD_PS3_PT2_iSC_SC_,@function
_Z39paged_attention_ll4mi_QKV_mfma16_kernelIDF16_DF16_LN4vllm18Fp8KVCacheDataTypeE0EDF16_Li16ELi64ELi256ELb1ELi7EL8MFMAType0EEvPKT_PKT0_S8_ifPKiSA_SA_iPKfiiiPfSD_PS3_PT2_iSC_SC_: ; @_Z39paged_attention_ll4mi_QKV_mfma16_kernelIDF16_DF16_LN4vllm18Fp8KVCacheDataTypeE0EDF16_Li16ELi64ELi256ELb1ELi7EL8MFMAType0EEvPKT_PKT0_S8_ifPKiSA_SA_iPKfiiiPfSD_PS3_PT2_iSC_SC_
; %bb.0:
	s_load_b64 s[2:3], s[0:1], 0x30
	s_mov_b32 s34, s13
	s_waitcnt lgkmcnt(0)
	s_cmp_lg_u64 s[2:3], 0
	s_cselect_b32 s8, -1, 0
	s_ashr_i32 s35, s13, 31
	s_cmp_eq_u64 s[2:3], 0
	s_cbranch_scc1 .LBB64_3
; %bb.1:
	s_lshl_b64 s[4:5], s[34:35], 2
	s_delay_alu instid0(SALU_CYCLE_1) | instskip(SKIP_4) | instid1(SALU_CYCLE_1)
	s_add_u32 s4, s2, s4
	s_addc_u32 s5, s3, s5
	s_load_b64 s[4:5], s[4:5], 0x0
	s_waitcnt lgkmcnt(0)
	s_sub_i32 s4, s5, s4
	s_cmp_eq_u32 s4, 1
	s_cselect_b32 s4, -1, 0
	s_delay_alu instid0(SALU_CYCLE_1)
	s_and_not1_b32 vcc_lo, exec_lo, s4
	s_cbranch_vccz .LBB64_4
.LBB64_2:
	s_nop 0
	s_sendmsg sendmsg(MSG_DEALLOC_VGPRS)
	s_endpgm
.LBB64_3:
.LBB64_4:
	s_load_b64 s[4:5], s[0:1], 0x28
	s_lshl_b64 s[6:7], s[34:35], 2
	s_waitcnt lgkmcnt(0)
	s_add_u32 s4, s4, s6
	s_addc_u32 s5, s5, s7
	s_lshl_b32 s31, s14, 8
	s_load_b32 s30, s[4:5], 0x0
	s_waitcnt lgkmcnt(0)
	s_cmp_ge_i32 s31, s30
	s_cbranch_scc1 .LBB64_2
; %bb.5:
	s_clause 0x1
	s_load_b128 s[20:23], s[0:1], 0x8
	s_load_b64 s[4:5], s[0:1], 0x20
	s_and_not1_b32 vcc_lo, exec_lo, s8
	s_cbranch_vccnz .LBB64_7
; %bb.6:
	s_add_u32 s2, s2, s6
	s_addc_u32 s3, s3, s7
	s_load_b32 s3, s[2:3], 0x0
	s_branch .LBB64_8
.LBB64_7:
	s_mov_b32 s3, s34
.LBB64_8:
	s_load_b128 s[16:19], s[0:1], 0x48
	v_lshrrev_b32_e32 v149, 5, v0
	v_bfe_u32 v146, v0, 4, 1
	v_and_b32_e32 v148, 15, v0
	v_and_b32_e32 v150, 31, v0
	;; [unrolled: 1-line block ×3, first 2 shown]
	s_mul_i32 s33, s15, 7
	v_lshl_or_b32 v1, v149, 1, v146
	v_lshlrev_b32_e32 v2, 3, v148
	v_cmp_gt_u32_e64 s2, 8, v148
	s_delay_alu instid0(VALU_DEP_3) | instskip(NEXT) | instid1(VALU_DEP_3)
	v_cmp_gt_u32_e32 vcc_lo, 7, v1
	v_lshlrev_b32_e32 v145, 1, v2
	s_delay_alu instid0(VALU_DEP_3) | instskip(NEXT) | instid1(SALU_CYCLE_1)
	s_and_b32 s7, s2, vcc_lo
	s_and_saveexec_b32 s6, s7
	s_cbranch_execz .LBB64_10
; %bb.9:
	s_load_b64 s[8:9], s[0:1], 0x0
	v_add_lshl_u32 v2, v1, s33, 6
	s_waitcnt lgkmcnt(0)
	s_mul_hi_i32 s11, s3, s16
	s_mul_i32 s10, s3, s16
	v_lshlrev_b32_e32 v6, 10, v148
	s_lshl_b64 s[10:11], s[10:11], 1
	v_ashrrev_i32_e32 v3, 31, v2
	v_lshlrev_b32_e32 v1, 6, v1
	v_lshlrev_b32_e32 v7, 10, v147
	v_and_b32_e32 v6, 0x3800, v6
	s_delay_alu instid0(VALU_DEP_4) | instskip(NEXT) | instid1(VALU_DEP_2)
	v_lshlrev_b64 v[2:3], 1, v[2:3]
	v_or3_b32 v1, v6, v7, v1
	s_add_u32 s3, s8, s10
	s_addc_u32 s7, s9, s11
	s_delay_alu instid0(VALU_DEP_2) | instskip(NEXT) | instid1(VALU_DEP_3)
	v_add_co_u32 v2, vcc_lo, s3, v2
	v_add_co_ci_u32_e32 v3, vcc_lo, s7, v3, vcc_lo
	s_delay_alu instid0(VALU_DEP_2) | instskip(NEXT) | instid1(VALU_DEP_2)
	v_add_co_u32 v2, vcc_lo, v2, v145
	v_add_co_ci_u32_e32 v3, vcc_lo, 0, v3, vcc_lo
	global_load_b128 v[2:5], v[2:3], off
	s_waitcnt vmcnt(0)
	ds_store_b128 v1, v[2:5]
.LBB64_10:
	s_or_b32 exec_lo, exec_lo, s6
	v_and_b32_e32 v1, 0xef, v0
	s_waitcnt lgkmcnt(0)
	s_add_i32 s3, s30, 15
	s_clause 0x1
	s_load_b32 s6, s[0:1], 0x38
	s_load_b32 s35, s[0:1], 0x98
	s_ashr_i32 s7, s3, 31
	v_add_nc_u32_e32 v1, s31, v1
	s_lshr_b32 s7, s7, 28
	s_load_b32 s36, s[0:1], 0x1c
	s_add_i32 s3, s3, s7
	s_waitcnt lgkmcnt(0)
	v_ashrrev_i32_e32 v2, 31, v1
	v_or_b32_e32 v3, 16, v1
	s_ashr_i32 s3, s3, 4
	v_cmp_gt_i32_e32 vcc_lo, s30, v1
	s_add_i32 s3, s3, -1
	v_lshrrev_b32_e32 v2, 28, v2
	s_barrier
	buffer_gl0_inv
	v_add_nc_u32_e32 v4, v1, v2
	s_mul_i32 s6, s34, s6
	s_delay_alu instid0(SALU_CYCLE_1) | instskip(NEXT) | instid1(VALU_DEP_1)
	s_ashr_i32 s7, s6, 31
	v_ashrrev_i32_e32 v4, 4, v4
	v_add_nc_u32_e32 v2, v3, v2
	s_lshl_b64 s[6:7], s[6:7], 2
	s_delay_alu instid0(SALU_CYCLE_1) | instskip(NEXT) | instid1(VALU_DEP_2)
	s_add_u32 s16, s4, s6
	v_cndmask_b32_e32 v1, s3, v4, vcc_lo
	s_delay_alu instid0(VALU_DEP_2) | instskip(SKIP_3) | instid1(SALU_CYCLE_1)
	v_ashrrev_i32_e32 v2, 4, v2
	v_cmp_gt_i32_e32 vcc_lo, s30, v3
	s_addc_u32 s37, s5, s7
	s_mul_i32 s4, s15, s18
	s_ashr_i32 s5, s4, 31
	v_cndmask_b32_e32 v3, s3, v2, vcc_lo
	v_ashrrev_i32_e32 v2, 31, v1
	s_lshl_b64 s[12:13], s[4:5], 1
	s_delay_alu instid0(SALU_CYCLE_1) | instskip(NEXT) | instid1(VALU_DEP_2)
	s_add_u32 s26, s20, s12
	v_ashrrev_i32_e32 v4, 31, v3
	s_delay_alu instid0(VALU_DEP_2) | instskip(SKIP_2) | instid1(VALU_DEP_2)
	v_lshlrev_b64 v[1:2], 2, v[1:2]
	s_addc_u32 s27, s21, s13
	s_lshl_b32 s4, s14, 4
	v_lshlrev_b64 v[3:4], 2, v[3:4]
	s_ashr_i32 s5, s4, 31
	s_delay_alu instid0(VALU_DEP_2) | instskip(SKIP_1) | instid1(VALU_DEP_3)
	v_add_co_u32 v1, vcc_lo, s16, v1
	v_add_co_ci_u32_e32 v2, vcc_lo, s37, v2, vcc_lo
	v_add_co_u32 v3, vcc_lo, s16, v3
	s_delay_alu instid0(VALU_DEP_4)
	v_add_co_ci_u32_e32 v4, vcc_lo, s37, v4, vcc_lo
	s_clause 0x1
	global_load_b32 v5, v[1:2], off
	global_load_b32 v6, v[3:4], off
	s_lshl_b64 s[4:5], s[4:5], 2
	v_lshlrev_b32_e32 v3, 4, v0
	s_add_u32 s4, s16, s4
	s_addc_u32 s5, s37, s5
	s_or_b32 s6, s31, 16
	s_delay_alu instid0(SALU_CYCLE_1) | instskip(SKIP_2) | instid1(SALU_CYCLE_1)
	s_ashr_i32 s7, s6, 4
	s_cmp_lt_i32 s6, s30
	s_cselect_b32 s6, s7, s3
	s_ashr_i32 s7, s6, 31
	s_delay_alu instid0(SALU_CYCLE_1) | instskip(NEXT) | instid1(SALU_CYCLE_1)
	s_lshl_b64 s[6:7], s[6:7], 2
	s_add_u32 s6, s16, s6
	s_addc_u32 s7, s37, s7
	s_or_b32 s8, s31, 32
	s_delay_alu instid0(SALU_CYCLE_1) | instskip(SKIP_2) | instid1(SALU_CYCLE_1)
	s_ashr_i32 s9, s8, 4
	s_cmp_lt_i32 s8, s30
	s_cselect_b32 s8, s9, s3
	s_ashr_i32 s9, s8, 31
	s_delay_alu instid0(SALU_CYCLE_1) | instskip(NEXT) | instid1(SALU_CYCLE_1)
	s_lshl_b64 s[8:9], s[8:9], 2
	;; [unrolled: 10-line block ×5, first 2 shown]
	s_add_u32 s24, s16, s18
	s_addc_u32 s25, s37, s19
	s_clause 0x5
	s_load_b32 s38, s[4:5], 0x0
	s_load_b32 s29, s[6:7], 0x0
	;; [unrolled: 1-line block ×6, first 2 shown]
	s_waitcnt vmcnt(1)
	v_mad_i64_i32 v[1:2], null, v5, s17, 0
	v_and_b32_e32 v5, 0xf0, v3
	s_waitcnt vmcnt(0)
	v_mad_i64_i32 v[3:4], null, v6, s17, 0
	s_delay_alu instid0(VALU_DEP_2) | instskip(NEXT) | instid1(VALU_DEP_4)
	v_add_co_u32 v7, s4, s26, v5
	v_lshlrev_b64 v[1:2], 1, v[1:2]
	v_add_co_ci_u32_e64 v8, null, s27, 0, s4
	s_delay_alu instid0(VALU_DEP_4) | instskip(SKIP_1) | instid1(VALU_DEP_3)
	v_lshlrev_b64 v[5:6], 1, v[3:4]
	s_or_b32 s4, s31, 0x60
	v_add_co_u32 v3, vcc_lo, v7, v1
	s_delay_alu instid0(VALU_DEP_3) | instskip(NEXT) | instid1(VALU_DEP_3)
	v_add_co_ci_u32_e32 v4, vcc_lo, v8, v2, vcc_lo
	v_add_co_u32 v1, vcc_lo, v7, v5
	s_delay_alu instid0(VALU_DEP_4)
	v_add_co_ci_u32_e32 v2, vcc_lo, v8, v6, vcc_lo
	s_clause 0x9
	global_load_b128 v[9:12], v[3:4], off
	global_load_b128 v[13:16], v[3:4], off offset:256
	global_load_b128 v[129:132], v[1:2], off
	global_load_b128 v[133:136], v[1:2], off offset:256
	global_load_b128 v[41:44], v[3:4], off offset:512
	;; [unrolled: 1-line block ×7, first 2 shown]
	v_mul_lo_u16 v5, v148, 37
	s_clause 0x1
	global_load_b128 v[151:154], v[1:2], off offset:1024
	global_load_b128 v[155:158], v[1:2], off offset:1280
	s_ashr_i32 s5, s4, 4
	s_cmp_lt_i32 s4, s30
	v_lshlrev_b32_e32 v6, 5, v148
	v_lshrrev_b16 v5, 8, v5
	s_cselect_b32 s4, s5, s3
	s_delay_alu instid0(SALU_CYCLE_1) | instskip(NEXT) | instid1(VALU_DEP_2)
	s_ashr_i32 s5, s4, 31
	v_lshl_or_b32 v6, v149, 9, v6
	s_delay_alu instid0(VALU_DEP_2) | instskip(SKIP_1) | instid1(SALU_CYCLE_1)
	v_mul_lo_u16 v5, v5, 7
	s_lshl_b64 s[4:5], s[4:5], 2
	s_add_u32 s20, s16, s4
	s_addc_u32 s21, s37, s5
	s_delay_alu instid0(VALU_DEP_1) | instskip(SKIP_1) | instid1(SALU_CYCLE_1)
	v_sub_nc_u16 v5, v148, v5
	s_or_b32 s4, s31, 0x70
	s_ashr_i32 s5, s4, 4
	s_cmp_lt_i32 s4, s30
	s_delay_alu instid0(VALU_DEP_1) | instskip(SKIP_1) | instid1(SALU_CYCLE_1)
	v_and_b32_e32 v5, 0xff, v5
	s_cselect_b32 s4, s5, s3
	s_ashr_i32 s5, s4, 31
	s_delay_alu instid0(VALU_DEP_1)
	v_lshlrev_b32_e32 v197, 6, v5
	ds_load_b128 v[159:162], v197
	ds_load_b128 v[163:166], v197 offset:1024
	s_clause 0x3
	global_load_b128 v[167:170], v[3:4], off offset:1536
	global_load_b128 v[171:174], v[3:4], off offset:1792
	;; [unrolled: 1-line block ×4, first 2 shown]
	s_lshl_b64 s[6:7], s[4:5], 2
	s_mov_b32 s4, 0
	s_add_u32 s24, s16, s6
	s_addc_u32 s25, s37, s7
	s_or_b32 s5, s31, 0x80
	s_mov_b32 s11, s4
	s_ashr_i32 s6, s5, 4
	s_cmp_lt_i32 s5, s30
	s_mov_b32 s5, s4
	s_cselect_b32 s8, s6, s3
	s_mov_b32 s6, s4
	s_ashr_i32 s9, s8, 31
	s_mov_b32 s7, s4
	s_lshl_b64 s[8:9], s[8:9], 2
	s_clause 0x1
	s_load_b32 s45, s[20:21], 0x0
	s_load_b32 s46, s[24:25], 0x0
	s_add_u32 s26, s16, s8
	s_addc_u32 s27, s37, s9
	s_or_b32 s9, s31, 0x90
	s_mov_b32 s8, s4
	s_ashr_i32 s10, s9, 4
	s_cmp_lt_i32 s9, s30
	s_mov_b32 s9, s4
	s_cselect_b32 s40, s10, s3
	s_mov_b32 s10, s4
	s_ashr_i32 s41, s40, 31
	v_mov_b32_e32 v144, s11
	s_lshl_b64 s[40:41], s[40:41], 2
	v_mov_b32_e32 v143, s10
	s_add_u32 s40, s16, s40
	s_addc_u32 s41, s37, s41
	s_or_b32 s39, s31, 0xa0
	s_load_b32 s41, s[40:41], 0x0
	s_ashr_i32 s42, s39, 4
	s_cmp_lt_i32 s39, s30
	v_mov_b32_e32 v142, s9
	s_cselect_b32 s42, s42, s3
	v_mov_b32_e32 v141, s8
	s_ashr_i32 s43, s42, 31
	v_dual_mov_b32 v140, s7 :: v_dual_mov_b32 v139, s6
	v_dual_mov_b32 v138, s5 :: v_dual_mov_b32 v137, s4
	s_lshl_b64 s[4:5], s[42:43], 2
	s_waitcnt lgkmcnt(0)
	s_mul_hi_i32 s7, s29, s17
	s_add_u32 s42, s16, s4
	s_addc_u32 s43, s37, s5
	s_or_b32 s4, s31, 0xb0
	s_mul_hi_i32 s5, s38, s17
	s_ashr_i32 s6, s4, 4
	s_cmp_lt_i32 s4, s30
	s_mul_i32 s4, s38, s17
	s_cselect_b32 s8, s6, s3
	s_mul_i32 s6, s29, s17
	s_ashr_i32 s9, s8, 31
	s_load_b32 s40, s[42:43], 0x0
	s_lshl_b64 s[8:9], s[8:9], 2
	s_mul_hi_i32 s21, s15, s17
	s_add_u32 s38, s16, s8
	s_addc_u32 s39, s37, s9
	s_or_b32 s8, s31, 0xc0
	s_mul_hi_i32 s9, s28, s17
	s_ashr_i32 s10, s8, 4
	s_cmp_lt_i32 s8, s30
	s_mul_i32 s8, s28, s17
	s_cselect_b32 s28, s10, s3
	s_mul_hi_i32 s11, s19, s17
	s_ashr_i32 s29, s28, 31
	s_mul_i32 s10, s19, s17
	s_lshl_b64 s[28:29], s[28:29], 2
	s_mul_hi_i32 s19, s18, s17
	s_add_u32 s28, s16, s28
	s_addc_u32 s29, s37, s29
	s_or_b32 s44, s31, 0xd0
	s_mul_i32 s18, s18, s17
	s_ashr_i32 s20, s44, 4
	s_cmp_lt_i32 s44, s30
	s_load_b32 s44, s[26:27], 0x0
	s_cselect_b32 s24, s20, s3
	s_mul_i32 s20, s15, s17
	s_ashr_i32 s25, s24, 31
	s_mul_hi_i32 s27, s46, s17
	s_lshl_b64 s[24:25], s[24:25], 2
	s_mul_i32 s26, s46, s17
	s_add_u32 s24, s16, s24
	s_addc_u32 s25, s37, s25
	s_or_b32 s42, s31, 0xe0
	s_clause 0x2
	s_load_b32 s39, s[38:39], 0x0
	s_load_b32 s38, s[28:29], 0x0
	;; [unrolled: 1-line block ×3, first 2 shown]
	s_ashr_i32 s47, s42, 4
	s_cmp_lt_i32 s42, s30
	s_mul_hi_i32 s25, s45, s17
	s_mul_i32 s24, s45, s17
	s_mul_hi_i32 s43, s41, s17
	s_mul_i32 s42, s41, s17
	s_waitcnt lgkmcnt(0)
	s_mul_hi_i32 s41, s40, s17
	s_mul_i32 s40, s40, s17
	s_mul_hi_i32 s29, s44, s17
	s_mul_i32 s28, s44, s17
	s_cselect_b32 s44, s47, s3
	s_delay_alu instid0(SALU_CYCLE_1) | instskip(NEXT) | instid1(SALU_CYCLE_1)
	s_ashr_i32 s45, s44, 31
	s_lshl_b64 s[44:45], s[44:45], 2
	s_delay_alu instid0(SALU_CYCLE_1)
	s_add_u32 s44, s16, s44
	s_addc_u32 s45, s37, s45
	s_or_b32 s46, s31, 0xf0
	s_mul_hi_i32 s51, s15, s17
	s_ashr_i32 s48, s46, 4
	s_cmp_lt_i32 s46, s30
	s_mul_i32 s50, s15, s17
	s_cselect_b32 s48, s48, s3
	s_mul_hi_i32 s47, s39, s17
	s_ashr_i32 s49, s48, 31
	s_mul_i32 s46, s39, s17
	s_lshl_b64 s[48:49], s[48:49], 2
	s_mul_hi_i32 s39, s38, s17
	s_add_u32 s48, s16, s48
	s_addc_u32 s49, s37, s49
	s_add_u32 s3, s22, s12
	s_addc_u32 s15, s23, s13
	v_add_co_u32 v195, s3, s3, v6
	s_delay_alu instid0(VALU_DEP_1) | instskip(SKIP_2) | instid1(VALU_DEP_2)
	v_add_co_ci_u32_e64 v196, null, s15, 0, s3
	s_lshl_b64 s[4:5], s[4:5], 1
	s_lshl_b64 s[6:7], s[6:7], 1
	v_add_co_u32 v1, vcc_lo, v195, s4
	s_delay_alu instid0(VALU_DEP_2)
	v_add_co_ci_u32_e32 v2, vcc_lo, s5, v196, vcc_lo
	v_add_co_u32 v3, vcc_lo, v195, s6
	s_lshl_b64 s[8:9], s[8:9], 1
	v_add_co_ci_u32_e32 v4, vcc_lo, s7, v196, vcc_lo
	v_add_co_u32 v5, vcc_lo, v195, s8
	s_lshl_b64 s[10:11], s[10:11], 1
	;; [unrolled: 3-line block ×10, first 2 shown]
	s_mul_i32 s38, s38, s17
	v_add_co_ci_u32_e32 v184, vcc_lo, s29, v196, vcc_lo
	v_add_co_u32 v185, vcc_lo, v195, s40
	s_lshl_b64 s[38:39], s[38:39], 1
	s_clause 0x1
	s_load_b32 s3, s[44:45], 0x0
	s_load_b32 s15, s[48:49], 0x0
	v_add_co_ci_u32_e32 v186, vcc_lo, s41, v196, vcc_lo
	v_add_co_u32 v191, vcc_lo, v195, s38
	v_add_co_ci_u32_e32 v192, vcc_lo, s39, v196, vcc_lo
	s_clause 0x17
	global_load_b128 v[121:124], v[1:2], off
	global_load_b128 v[125:128], v[1:2], off offset:16
	global_load_b128 v[113:116], v[3:4], off
	global_load_b128 v[117:120], v[3:4], off offset:16
	;; [unrolled: 2-line block ×12, first 2 shown]
	s_lshl_b64 s[42:43], s[50:51], 1
	s_delay_alu instid0(SALU_CYCLE_1)
	v_add_co_u32 v193, vcc_lo, v195, s42
	v_add_co_ci_u32_e32 v194, vcc_lo, s43, v196, vcc_lo
	s_waitcnt lgkmcnt(0)
	s_mul_hi_i32 s5, s3, s17
	s_mul_i32 s4, s3, s17
	s_mul_hi_i32 s7, s15, s17
	s_lshl_b64 s[4:5], s[4:5], 1
	s_mul_i32 s6, s15, s17
	s_waitcnt vmcnt(38)
	v_wmma_f32_16x16x16_f16 v[183:190], v[9:16], v[159:166], v[137:144]
	s_waitcnt vmcnt(36)
	v_wmma_f32_16x16x16_f16 v[137:144], v[129:136], v[159:166], v[137:144]
	s_clause 0x1
	global_load_b128 v[9:12], v[191:192], off
	global_load_b128 v[13:16], v[191:192], off offset:16
	ds_load_b128 v[129:132], v197 offset:2048
	ds_load_b128 v[133:136], v197 offset:3072
	;; [unrolled: 1-line block ×4, first 2 shown]
	v_add_co_u32 v191, vcc_lo, v195, s4
	v_add_co_ci_u32_e32 v192, vcc_lo, s5, v196, vcc_lo
	s_lshl_b64 s[4:5], s[6:7], 1
	s_delay_alu instid0(SALU_CYCLE_1)
	v_add_co_u32 v195, vcc_lo, v195, s4
	v_add_co_ci_u32_e32 v196, vcc_lo, s5, v196, vcc_lo
	s_waitcnt vmcnt(36) lgkmcnt(2)
	v_wmma_f32_16x16x16_f16 v[183:190], v[41:48], v[129:136], v[183:190]
	s_waitcnt vmcnt(34)
	v_wmma_f32_16x16x16_f16 v[137:144], v[33:40], v[129:136], v[137:144]
	s_clause 0x3
	global_load_b128 v[33:36], v[193:194], off
	global_load_b128 v[37:40], v[193:194], off offset:16
	global_load_b128 v[41:44], v[191:192], off
	global_load_b128 v[45:48], v[191:192], off offset:16
	v_and_b32_e32 v129, 0xe0, v0
	v_mbcnt_lo_u32_b32 v191, -1, 0
	s_waitcnt vmcnt(36) lgkmcnt(0)
	v_wmma_f32_16x16x16_f16 v[183:190], v[17:24], v[159:166], v[183:190]
	s_clause 0x1
	global_load_b128 v[17:20], v[195:196], off
	global_load_b128 v[21:24], v[195:196], off offset:16
	s_waitcnt vmcnt(36)
	v_wmma_f32_16x16x16_f16 v[137:144], v[151:158], v[159:166], v[137:144]
	v_add_nc_u32_e32 v192, s31, v129
	ds_load_b128 v[129:132], v197 offset:6144
	ds_load_b128 v[133:136], v197 offset:7168
	v_xor_b32_e32 v151, 16, v191
	s_waitcnt vmcnt(0) lgkmcnt(0)
	s_barrier
	v_or_b32_e32 v152, v192, v146
	buffer_gl0_inv
	v_cmp_gt_i32_e32 vcc_lo, 32, v151
	v_or_b32_e32 v153, 2, v152
	v_or_b32_e32 v154, 4, v152
	;; [unrolled: 1-line block ×5, first 2 shown]
	v_cmp_gt_i32_e64 s3, s30, v153
	v_cmp_gt_i32_e64 s4, s30, v154
	;; [unrolled: 1-line block ×3, first 2 shown]
	v_or_b32_e32 v158, 12, v152
	v_or_b32_e32 v159, 14, v152
	v_cmp_gt_i32_e64 s6, s30, v156
	v_wmma_f32_16x16x16_f16 v[183:190], v[167:174], v[129:136], v[183:190]
	v_wmma_f32_16x16x16_f16 v[137:144], v[175:182], v[129:136], v[137:144]
	v_cndmask_b32_e32 v151, v191, v151, vcc_lo
	v_cmp_gt_i32_e32 vcc_lo, s30, v152
	v_cmp_gt_i32_e64 s7, s30, v157
	v_dual_mul_f32 v135, s36, v184 :: v_dual_mul_f32 v136, s36, v183
	v_mul_f32_e32 v134, s36, v185
	v_dual_mul_f32 v168, s36, v144 :: v_dual_mul_f32 v133, s36, v186
	s_delay_alu instid0(VALU_DEP_3) | instskip(NEXT) | instid1(VALU_DEP_4)
	v_cndmask_b32_e64 v135, 0xff7fffff, v135, s3
	v_cndmask_b32_e32 v136, 0xff7fffff, v136, vcc_lo
	v_dual_mul_f32 v131, s36, v188 :: v_dual_mul_f32 v174, s36, v138
	v_mul_f32_e32 v132, s36, v187
	v_cndmask_b32_e64 v134, 0xff7fffff, v134, s4
	v_cndmask_b32_e64 v133, 0xff7fffff, v133, s5
	v_max3_f32 v135, v136, 0xff7fffff, v135
	v_or_b32_e32 v160, 16, v152
	v_or_b32_e32 v161, 18, v152
	v_dual_mul_f32 v129, s36, v190 :: v_dual_mul_f32 v172, s36, v140
	v_mul_f32_e32 v130, s36, v189
	v_cndmask_b32_e64 v132, 0xff7fffff, v132, s6
	v_cndmask_b32_e64 v131, 0xff7fffff, v131, s7
	v_max3_f32 v133, v135, v134, v133
	v_cmp_gt_i32_e64 s8, s30, v158
	v_cmp_gt_i32_e64 s9, s30, v159
	v_or_b32_e32 v162, 20, v152
	v_or_b32_e32 v163, 22, v152
	v_mul_f32_e32 v175, s36, v137
	v_cndmask_b32_e64 v130, 0xff7fffff, v130, s8
	v_cndmask_b32_e64 v129, 0xff7fffff, v129, s9
	v_max3_f32 v131, v133, v132, v131
	v_cmp_gt_i32_e64 s10, s30, v160
	v_cmp_gt_i32_e64 s11, s30, v161
	v_or_b32_e32 v164, 24, v152
	v_or_b32_e32 v165, 26, v152
	;; [unrolled: 8-line block ×3, first 2 shown]
	v_dual_mul_f32 v170, s36, v142 :: v_dual_mul_f32 v171, s36, v141
	v_cndmask_b32_e64 v130, 0xff7fffff, v173, s12
	v_cndmask_b32_e64 v131, 0xff7fffff, v172, s13
	v_max3_f32 v129, v129, v132, v133
	v_cmp_gt_i32_e64 s15, s30, v164
	v_cmp_gt_i32_e64 s16, s30, v165
	v_mul_f32_e32 v169, s36, v143
	v_cmp_gt_i32_e64 s17, s30, v166
	v_max3_f32 v129, v129, v130, v131
	v_cndmask_b32_e64 v132, 0xff7fffff, v171, s15
	v_cndmask_b32_e64 v133, 0xff7fffff, v170, s16
	v_cmp_gt_i32_e64 s18, s30, v167
	v_cndmask_b32_e64 v130, 0xff7fffff, v169, s17
	s_delay_alu instid0(VALU_DEP_3) | instskip(NEXT) | instid1(VALU_DEP_3)
	v_max3_f32 v129, v129, v132, v133
	v_cndmask_b32_e64 v131, 0xff7fffff, v168, s18
	v_lshlrev_b32_e32 v132, 2, v151
	s_delay_alu instid0(VALU_DEP_2) | instskip(SKIP_3) | instid1(VALU_DEP_1)
	v_max3_f32 v129, v129, v130, v131
	ds_bpermute_b32 v130, v132, v129
	s_waitcnt lgkmcnt(0)
	v_max_f32_e32 v130, v130, v130
	v_max_f32_e32 v129, v129, v130
	s_delay_alu instid0(VALU_DEP_1)
	v_fma_f32 v134, s36, v186, -v129
	v_fma_f32 v130, s36, v183, -v129
	;; [unrolled: 1-line block ×5, first 2 shown]
	v_mul_f32_e32 v134, 0x3fb8aa3b, v134
	s_delay_alu instid0(VALU_DEP_4) | instskip(SKIP_1) | instid1(VALU_DEP_4)
	v_dual_mul_f32 v130, 0x3fb8aa3b, v130 :: v_dual_mul_f32 v131, 0x3fb8aa3b, v131
	v_fma_f32 v135, s36, v187, -v129
	v_mul_f32_e32 v136, 0x3fb8aa3b, v136
	s_delay_alu instid0(VALU_DEP_4) | instskip(NEXT) | instid1(VALU_DEP_3)
	v_exp_f32_e32 v134, v134
	v_exp_f32_e32 v130, v130
	;; [unrolled: 1-line block ×3, first 2 shown]
	v_mul_f32_e32 v135, 0x3fb8aa3b, v135
	v_exp_f32_e32 v136, v136
	s_delay_alu instid0(VALU_DEP_1) | instskip(SKIP_4) | instid1(TRANS32_DEP_3)
	v_exp_f32_e32 v135, v135
	v_cndmask_b32_e64 v153, 0, v134, s5
	v_fma_f32 v134, s36, v137, -v129
	v_dual_mul_f32 v133, 0x3fb8aa3b, v133 :: v_dual_cndmask_b32 v152, 0, v130
	v_fma_f32 v130, s36, v188, -v129
	v_cndmask_b32_e64 v151, 0, v131, s3
	s_delay_alu instid0(VALU_DEP_4) | instskip(NEXT) | instid1(VALU_DEP_4)
	v_mul_f32_e32 v134, 0x3fb8aa3b, v134
	v_exp_f32_e32 v133, v133
	s_delay_alu instid0(VALU_DEP_3) | instskip(SKIP_3) | instid1(VALU_DEP_4)
	v_dual_add_f32 v131, 0, v152 :: v_dual_mul_f32 v130, 0x3fb8aa3b, v130
	v_cndmask_b32_e64 v156, 0, v136, s8
	v_fma_f32 v136, s36, v140, -v129
	v_cndmask_b32_e64 v155, 0, v135, s6
	v_add_f32_e32 v131, v131, v151
	v_exp_f32_e32 v130, v130
	v_fma_f32 v135, s36, v138, -v129
	v_mul_f32_e32 v136, 0x3fb8aa3b, v136
	s_delay_alu instid0(TRANS32_DEP_2)
	v_cndmask_b32_e64 v154, 0, v133, s4
	v_fma_f32 v133, s36, v190, -v129
	v_exp_f32_e32 v134, v134
	v_cmp_gt_u32_e64 s3, 16, v150
	v_exp_f32_e32 v136, v136
	v_add_f32_e32 v131, v131, v154
	s_delay_alu instid0(TRANS32_DEP_3) | instskip(NEXT) | instid1(VALU_DEP_2)
	v_cndmask_b32_e64 v138, 0, v130, s7
	v_add_f32_e32 v131, v131, v153
	s_delay_alu instid0(VALU_DEP_1) | instskip(NEXT) | instid1(VALU_DEP_1)
	v_dual_mul_f32 v133, 0x3fb8aa3b, v133 :: v_dual_add_f32 v130, v131, v155
	v_exp_f32_e32 v133, v133
	v_fma_f32 v131, s36, v139, -v129
	s_delay_alu instid0(VALU_DEP_2) | instskip(NEXT) | instid1(VALU_DEP_1)
	v_add_f32_e32 v130, v130, v138
	v_add_f32_e32 v130, v130, v156
	s_waitcnt_depctr 0xfff
	v_cndmask_b32_e64 v139, 0, v133, s9
	v_fma_f32 v133, s36, v141, -v129
	v_cndmask_b32_e64 v141, 0, v134, s10
	v_fma_f32 v134, s36, v142, -v129
	v_cndmask_b32_e64 v142, 0, v136, s13
	v_add_f32_e32 v130, v130, v139
	s_delay_alu instid0(VALU_DEP_3) | instskip(NEXT) | instid1(VALU_DEP_2)
	v_dual_mul_f32 v135, 0x3fb8aa3b, v135 :: v_dual_mul_f32 v134, 0x3fb8aa3b, v134
	v_add_f32_e32 v130, v130, v141
	s_delay_alu instid0(VALU_DEP_2) | instskip(NEXT) | instid1(VALU_DEP_2)
	v_exp_f32_e32 v135, v135
	v_exp_f32_e32 v134, v134
	s_waitcnt_depctr 0xfff
	v_cndmask_b32_e64 v140, 0, v135, s11
	v_mul_f32_e32 v131, 0x3fb8aa3b, v131
	v_fma_f32 v135, s36, v143, -v129
	s_delay_alu instid0(VALU_DEP_3) | instskip(NEXT) | instid1(VALU_DEP_3)
	v_add_f32_e32 v130, v130, v140
	v_exp_f32_e32 v131, v131
	s_waitcnt_depctr 0xfff
	v_cndmask_b32_e64 v143, 0, v131, s12
	s_delay_alu instid0(VALU_DEP_1) | instskip(NEXT) | instid1(VALU_DEP_1)
	v_dual_mul_f32 v133, 0x3fb8aa3b, v133 :: v_dual_add_f32 v130, v130, v143
	v_exp_f32_e32 v133, v133
	v_mul_f32_e32 v131, 0x3fb8aa3b, v135
	v_fma_f32 v135, s36, v144, -v129
	v_cndmask_b32_e64 v144, 0, v134, s16
	v_add_f32_e32 v130, v130, v142
	s_delay_alu instid0(VALU_DEP_4) | instskip(SKIP_2) | instid1(VALU_DEP_1)
	v_exp_f32_e32 v131, v131
	s_waitcnt_depctr 0xfff
	v_cndmask_b32_e64 v157, 0, v133, s15
	v_dual_mul_f32 v133, 0x3fb8aa3b, v135 :: v_dual_add_f32 v130, v130, v157
	s_delay_alu instid0(VALU_DEP_1) | instskip(SKIP_1) | instid1(VALU_DEP_2)
	v_exp_f32_e32 v133, v133
	v_cndmask_b32_e64 v159, 0, v131, s17
	v_add_f32_e32 v130, v130, v144
	s_delay_alu instid0(VALU_DEP_1) | instskip(SKIP_2) | instid1(VALU_DEP_1)
	v_add_f32_e32 v130, v130, v159
	s_waitcnt_depctr 0xfff
	v_cndmask_b32_e64 v158, 0, v133, s18
	v_add_f32_e32 v130, v130, v158
	ds_bpermute_b32 v131, v132, v130
	s_and_saveexec_b32 s4, s3
	s_cbranch_execz .LBB64_12
; %bb.11:
	v_mul_u32_u24_e32 v132, 0x44, v149
	s_delay_alu instid0(VALU_DEP_1) | instskip(SKIP_1) | instid1(VALU_DEP_1)
	v_lshl_add_u32 v132, v148, 2, v132
	s_waitcnt lgkmcnt(0)
	v_dual_add_f32 v130, v130, v131 :: v_dual_add_nc_u32 v131, 0x4000, v132
	ds_store_2addr_b32 v131, v129, v130 offset1:136
.LBB64_12:
	s_or_b32 exec_lo, exec_lo, s4
	v_lshlrev_b32_e32 v129, 2, v148
	s_load_b32 s36, s[0:1], 0x94
	s_waitcnt lgkmcnt(0)
	s_barrier
	buffer_gl0_inv
	v_add_nc_u32_e32 v135, 0x4000, v129
	v_cmp_eq_u32_e32 vcc_lo, 1, v149
	v_cmp_eq_u32_e64 s4, 2, v149
	v_cmp_eq_u32_e64 s5, 3, v149
	;; [unrolled: 1-line block ×3, first 2 shown]
	ds_load_2addr_b32 v[129:130], v135 offset1:17
	ds_load_2addr_b32 v[131:132], v135 offset0:34 offset1:51
	ds_load_2addr_b32 v[133:134], v135 offset0:68 offset1:85
	;; [unrolled: 1-line block ×3, first 2 shown]
	v_cmp_eq_u32_e64 s7, 5, v149
	v_cmp_eq_u32_e64 s8, 7, v149
	s_waitcnt lgkmcnt(3)
	v_max3_f32 v136, v129, 0xff7fffff, v130
	s_waitcnt lgkmcnt(2)
	s_delay_alu instid0(VALU_DEP_1) | instskip(SKIP_1) | instid1(VALU_DEP_1)
	v_max3_f32 v136, v136, v131, v132
	s_waitcnt lgkmcnt(1)
	v_max3_f32 v136, v136, v133, v134
	s_waitcnt lgkmcnt(0)
	s_delay_alu instid0(VALU_DEP_1) | instskip(NEXT) | instid1(VALU_DEP_1)
	v_max3_f32 v136, v136, v160, v161
	v_sub_f32_e32 v164, v132, v136
	ds_load_2addr_b32 v[162:163], v135 offset0:136 offset1:153
	v_sub_f32_e32 v129, v129, v136
	v_sub_f32_e32 v137, v130, v136
	;; [unrolled: 1-line block ×3, first 2 shown]
	v_mul_f32_e32 v164, 0x3fb8aa3b, v164
	s_delay_alu instid0(VALU_DEP_4) | instskip(NEXT) | instid1(VALU_DEP_4)
	v_mul_f32_e32 v150, 0x3fb8aa3b, v129
	v_mul_f32_e32 v137, 0x3fb8aa3b, v137
	ds_load_2addr_b32 v[129:130], v135 offset0:170 offset1:187
	v_mul_f32_e32 v167, 0x3fb8aa3b, v133
	v_exp_f32_e32 v164, v164
	v_exp_f32_e32 v150, v150
	;; [unrolled: 1-line block ×3, first 2 shown]
	v_sub_f32_e32 v131, v131, v136
	s_delay_alu instid0(VALU_DEP_1)
	v_mul_f32_e32 v165, 0x3fb8aa3b, v131
	ds_load_2addr_b32 v[131:132], v135 offset0:204 offset1:221
	s_waitcnt lgkmcnt(2)
	v_fma_f32 v137, v150, v162, 0
	v_sub_f32_e32 v162, v134, v136
	v_exp_f32_e32 v165, v165
	ds_load_2addr_b32 v[133:134], v135 offset0:238 offset1:255
	v_sub_f32_e32 v135, v160, v136
	v_dual_fmac_f32 v137, v166, v163 :: v_dual_mul_f32 v160, 0x3fb8aa3b, v162
	v_exp_f32_e32 v162, v167
	s_waitcnt lgkmcnt(0)
	s_delay_alu instid0(VALU_DEP_2)
	v_mul_f32_e32 v135, 0x3fb8aa3b, v135
	s_barrier
	v_exp_f32_e32 v160, v160
	v_fmac_f32_e32 v137, v165, v129
	v_sub_f32_e32 v129, v161, v136
	v_exp_f32_e32 v161, v135
	buffer_gl0_inv
	v_fmac_f32_e32 v137, v164, v130
	v_dual_mul_f32 v129, 0x3fb8aa3b, v129 :: v_dual_cndmask_b32 v130, v150, v166
	s_delay_alu instid0(VALU_DEP_2) | instskip(NEXT) | instid1(VALU_DEP_2)
	v_fmac_f32_e32 v137, v162, v131
	v_exp_f32_e32 v163, v129
	s_delay_alu instid0(VALU_DEP_1) | instskip(NEXT) | instid1(VALU_DEP_1)
	v_fmac_f32_e32 v137, v160, v132
	v_fmac_f32_e32 v137, v161, v133
	v_lshlrev_b32_e32 v133, 6, v148
	s_waitcnt_depctr 0xfff
	v_fmac_f32_e32 v137, v163, v134
	v_lshl_or_b32 v135, v149, 11, v133
	s_delay_alu instid0(VALU_DEP_2) | instskip(NEXT) | instid1(VALU_DEP_1)
	v_add_f32_e32 v134, 0x358637bd, v137
	v_div_scale_f32 v167, null, v134, v134, 1.0
	v_div_scale_f32 v150, vcc_lo, 1.0, v134, 1.0
	s_delay_alu instid0(VALU_DEP_2) | instskip(SKIP_2) | instid1(VALU_DEP_1)
	v_rcp_f32_e32 v168, v167
	s_waitcnt_depctr 0xfff
	v_fma_f32 v129, -v167, v168, 1.0
	v_fmac_f32_e32 v168, v129, v168
	v_cndmask_b32_e64 v129, v130, v165, s4
	v_cmp_eq_u32_e64 s4, 6, v149
	s_delay_alu instid0(VALU_DEP_3) | instskip(NEXT) | instid1(VALU_DEP_3)
	v_mul_f32_e32 v165, v150, v168
	v_cndmask_b32_e64 v130, v129, v164, s5
	v_lshlrev_b32_e32 v129, 2, v146
	s_delay_alu instid0(VALU_DEP_3) | instskip(NEXT) | instid1(VALU_DEP_3)
	v_fma_f32 v131, -v167, v165, v150
	v_cndmask_b32_e64 v162, v130, v162, s6
	s_delay_alu instid0(VALU_DEP_3)
	v_or_b32_e32 v130, 1, v129
	v_or_b32_e32 v132, 2, v129
	v_cmp_eq_u32_e64 s5, 1, v129
	v_fmac_f32_e32 v165, v131, v168
	v_cndmask_b32_e64 v149, v162, v160, s7
	v_or_b32_e32 v131, 3, v129
	v_cmp_eq_u32_e64 s10, 1, v130
	v_cmp_eq_u32_e64 s11, 1, v132
	v_fma_f32 v150, -v167, v165, v150
	v_cndmask_b32_e64 v149, v149, v161, s4
	v_cmp_eq_u32_e64 s12, 1, v131
	v_cmp_eq_u32_e64 s6, 2, v129
	;; [unrolled: 1-line block ×3, first 2 shown]
	v_div_fmas_f32 v150, v150, v168, v165
	v_cndmask_b32_e64 v149, v149, v163, s8
	v_cmp_eq_u32_e64 s16, 2, v132
	v_cmp_eq_u32_e64 s17, 2, v131
	v_cmp_eq_u32_e32 vcc_lo, 3, v129
	v_div_fixup_f32 v150, v150, v134, 1.0
	v_lshl_or_b32 v134, v146, 4, v135
	v_cmp_eq_u32_e64 s15, 3, v130
	v_cmp_eq_u32_e64 s19, 3, v131
	;; [unrolled: 1-line block ×3, first 2 shown]
	v_mul_f32_e32 v149, v149, v150
	v_cmp_eq_u32_e64 s18, 3, v132
	v_cmp_eq_u32_e64 s20, 4, v130
	;; [unrolled: 1-line block ×4, first 2 shown]
	v_fma_mixlo_f16 v160, v149, v152, 0
	v_fma_mixlo_f16 v161, v149, v154, 0
	;; [unrolled: 1-line block ×8, first 2 shown]
	v_fma_mixhi_f16 v160, v149, v151, 0
	v_fma_mixhi_f16 v161, v149, v153, 0
	;; [unrolled: 1-line block ×8, first 2 shown]
	ds_store_b128 v134, v[160:163]
	ds_store_b128 v134, v[154:157] offset:1024
	s_waitcnt lgkmcnt(0)
	s_barrier
	buffer_gl0_inv
	ds_load_b128 v[138:141], v135
	ds_load_b128 v[149:152], v135 offset:16
	ds_load_b128 v[153:156], v135 offset:1024
	;; [unrolled: 1-line block ×3, first 2 shown]
	v_cmp_eq_u32_e64 s21, 5, v130
	v_cmp_eq_u32_e64 s22, 4, v132
	;; [unrolled: 1-line block ×12, first 2 shown]
	s_waitcnt lgkmcnt(3)
	v_lshrrev_b32_e32 v142, 16, v138
	s_waitcnt lgkmcnt(2)
	v_lshrrev_b32_e32 v162, 16, v149
	;; [unrolled: 2-line block ×4, first 2 shown]
	v_lshrrev_b32_e32 v143, 16, v139
	v_cndmask_b32_e64 v174, v138, v142, s5
	v_cndmask_b32_e64 v175, v149, v162, s5
	;; [unrolled: 1-line block ×7, first 2 shown]
	v_lshrrev_b32_e32 v163, 16, v150
	v_cndmask_b32_e64 v179, v149, v162, s11
	v_cndmask_b32_e64 v149, v153, v166, s5
	;; [unrolled: 1-line block ×16, first 2 shown]
	v_lshrrev_b32_e32 v167, 16, v154
	v_lshrrev_b32_e32 v171, 16, v158
	v_cndmask_b32_e64 v177, v179, v150, s16
	v_cndmask_b32_e64 v142, v149, v154, s6
	;; [unrolled: 1-line block ×7, first 2 shown]
	v_cndmask_b32_e32 v157, v166, v143, vcc_lo
	v_cndmask_b32_e32 v166, v170, v163, vcc_lo
	v_cndmask_b32_e64 v170, v174, v143, s15
	v_cndmask_b32_e64 v174, v175, v163, s15
	;; [unrolled: 1-line block ×4, first 2 shown]
	v_lshrrev_b32_e32 v144, 16, v140
	v_lshrrev_b32_e32 v164, 16, v151
	v_cndmask_b32_e64 v175, v176, v143, s18
	v_cndmask_b32_e64 v176, v177, v163, s18
	v_cndmask_b32_e32 v142, v142, v167, vcc_lo
	v_cndmask_b32_e32 v143, v149, v171, vcc_lo
	v_cndmask_b32_e64 v149, v150, v167, s15
	v_cndmask_b32_e64 v150, v157, v140, s4
	;; [unrolled: 1-line block ×7, first 2 shown]
	v_lshrrev_b32_e32 v168, 16, v155
	v_cndmask_b32_e64 v170, v175, v140, s22
	v_cndmask_b32_e64 v174, v176, v151, s22
	;; [unrolled: 1-line block ×11, first 2 shown]
	v_lshrrev_b32_e32 v161, 16, v141
	v_lshrrev_b32_e32 v165, 16, v152
	v_cndmask_b32_e64 v163, v170, v144, s24
	v_cndmask_b32_e64 v166, v174, v164, s24
	;; [unrolled: 1-line block ×9, first 2 shown]
	v_lshrrev_b32_e32 v169, 16, v156
	v_cndmask_b32_e64 v140, v140, v168, s7
	v_cndmask_b32_e64 v157, v163, v141, s27
	;; [unrolled: 1-line block ×14, first 2 shown]
	v_perm_b32 v141, v139, v138, 0x5040100
	v_perm_b32 v139, v151, v149, 0x5040100
	v_cndmask_b32_e64 v138, v183, v158, s16
	v_cndmask_b32_e64 v149, v181, v158, s13
	;; [unrolled: 1-line block ×3, first 2 shown]
	v_perm_b32 v140, v152, v150, 0x5040100
	v_cndmask_b32_e64 v150, v162, v167, s18
	v_cndmask_b32_e64 v151, v153, v167, s19
	;; [unrolled: 1-line block ×5, first 2 shown]
	v_lshrrev_b32_e32 v172, 16, v159
	v_cndmask_b32_e64 v150, v150, v155, s22
	v_cndmask_b32_e64 v151, v151, v155, s23
	;; [unrolled: 1-line block ×11, first 2 shown]
	v_lshrrev_b32_e32 v173, 16, v160
	v_cndmask_b32_e64 v142, v142, v160, s8
	v_cndmask_b32_e64 v150, v150, v156, s27
	;; [unrolled: 1-line block ×12, first 2 shown]
	v_perm_b32 v138, v144, v143, 0x5040100
	v_perm_b32 v152, v152, v151, 0x5040100
	;; [unrolled: 1-line block ×5, first 2 shown]
	s_mul_i32 s8, s35, 7
	s_mov_b32 s4, exec_lo
	ds_store_b128 v134, v[138:141]
	ds_store_b128 v134, v[149:152] offset:1024
	v_cmpx_gt_u32_e32 7, v0
	s_cbranch_execz .LBB64_14
; %bb.13:
	s_mul_i32 s5, s8, s34
	s_load_b128 s[16:19], s[0:1], 0x58
	v_add3_u32 v140, s5, s33, v148
	s_delay_alu instid0(VALU_DEP_1) | instskip(NEXT) | instid1(VALU_DEP_1)
	v_mad_u64_u32 v[138:139], null, v140, s36, s[14:15]
	v_ashrrev_i32_e32 v139, 31, v138
	s_delay_alu instid0(VALU_DEP_1) | instskip(SKIP_1) | instid1(VALU_DEP_1)
	v_lshlrev_b64 v[138:139], 2, v[138:139]
	s_waitcnt lgkmcnt(0)
	v_add_co_u32 v140, vcc_lo, s18, v138
	s_delay_alu instid0(VALU_DEP_2)
	v_add_co_ci_u32_e32 v141, vcc_lo, s19, v139, vcc_lo
	v_add_co_u32 v138, vcc_lo, s16, v138
	v_add_co_ci_u32_e32 v139, vcc_lo, s17, v139, vcc_lo
	global_store_b32 v[140:141], v136, off
	global_store_b32 v[138:139], v137, off
.LBB64_14:
	s_or_b32 exec_lo, exec_lo, s4
	s_waitcnt lgkmcnt(0)
	s_waitcnt_vscnt null, 0x0
	s_barrier
	buffer_gl0_inv
	ds_load_b128 v[148:151], v133
	ds_load_b128 v[152:155], v133 offset:16
	ds_load_b128 v[160:163], v133 offset:1040
	;; [unrolled: 1-line block ×5, first 2 shown]
	v_cmp_eq_u32_e32 vcc_lo, 1, v132
	v_mov_b32_e32 v136, 0
	ds_load_b128 v[176:179], v133 offset:3088
	ds_load_b128 v[172:175], v133 offset:3072
	ds_load_b128 v[184:187], v133 offset:4112
	ds_load_b128 v[180:183], v133 offset:4096
	v_cmp_eq_u32_e64 s4, 1, v129
	v_cmp_eq_u32_e64 s5, 1, v131
	;; [unrolled: 1-line block ×3, first 2 shown]
	v_mov_b32_e32 v137, v136
	v_mov_b32_e32 v138, v136
	;; [unrolled: 1-line block ×7, first 2 shown]
	v_cmp_eq_u32_e64 s7, 2, v129
	s_waitcnt lgkmcnt(8)
	s_delay_alu instid0(VALU_DEP_2)
	v_wmma_f32_16x16x16_f16 v[136:143], v[121:128], v[148:155], v[136:143]
	ds_load_b128 v[125:128], v133 offset:5136
	ds_load_b128 v[121:124], v133 offset:5120
	s_waitcnt lgkmcnt(8)
	v_wmma_f32_16x16x16_f16 v[136:143], v[113:120], v[156:163], v[136:143]
	ds_load_b128 v[117:120], v133 offset:6160
	ds_load_b128 v[113:116], v133 offset:6144
	s_waitcnt lgkmcnt(8)
	;; [unrolled: 4-line block ×11, first 2 shown]
	s_barrier
	buffer_gl0_inv
	v_wmma_f32_16x16x16_f16 v[136:143], v[1:8], v[73:80], v[136:143]
	s_delay_alu instid0(VALU_DEP_1) | instskip(NEXT) | instid1(VALU_DEP_1)
	v_wmma_f32_16x16x16_f16 v[136:143], v[9:16], v[65:72], v[136:143]
	v_wmma_f32_16x16x16_f16 v[136:143], v[33:40], v[57:64], v[136:143]
	s_delay_alu instid0(VALU_DEP_1) | instskip(NEXT) | instid1(VALU_DEP_1)
	v_wmma_f32_16x16x16_f16 v[136:143], v[41:48], v[49:56], v[136:143]
	v_wmma_f32_16x16x16_f16 v[136:143], v[17:24], v[25:32], v[136:143]
	s_delay_alu instid0(VALU_DEP_1) | instskip(NEXT) | instid1(VALU_DEP_2)
	v_cvt_f16_f32_e64 v1, v136
	v_cvt_f16_f32_e64 v2, v137
	s_delay_alu instid0(VALU_DEP_3) | instskip(NEXT) | instid1(VALU_DEP_4)
	v_cvt_f16_f32_e64 v3, v138
	v_cvt_f16_f32_e64 v4, v139
	;; [unrolled: 1-line block ×6, first 2 shown]
	v_pack_b32_f16 v1, v1, v2
	v_pack_b32_f16 v2, v3, v4
	;; [unrolled: 1-line block ×3, first 2 shown]
	s_delay_alu instid0(VALU_DEP_4)
	v_pack_b32_f16 v4, v7, v8
	ds_store_b128 v134, v[1:4]
	s_waitcnt lgkmcnt(0)
	s_barrier
	buffer_gl0_inv
	ds_load_b128 v[1:4], v135
	ds_load_b128 v[5:8], v135 offset:16
	s_waitcnt lgkmcnt(1)
	v_lshrrev_b32_e32 v9, 16, v1
	s_waitcnt lgkmcnt(0)
	v_lshrrev_b32_e32 v13, 16, v5
	v_lshrrev_b32_e32 v10, 16, v2
	;; [unrolled: 1-line block ×4, first 2 shown]
	v_cndmask_b32_e64 v17, v1, v9, s4
	v_cndmask_b32_e64 v18, v5, v13, s4
	;; [unrolled: 1-line block ×3, first 2 shown]
	v_cmp_eq_u32_e64 s4, 2, v130
	v_cndmask_b32_e64 v20, v5, v13, s6
	v_cndmask_b32_e32 v21, v1, v9, vcc_lo
	v_cndmask_b32_e32 v22, v5, v13, vcc_lo
	v_cndmask_b32_e64 v1, v1, v9, s5
	v_cndmask_b32_e64 v5, v5, v13, s5
	v_cmp_eq_u32_e32 vcc_lo, 2, v132
	v_cmp_eq_u32_e64 s5, 2, v131
	v_cndmask_b32_e64 v9, v17, v2, s7
	v_cndmask_b32_e64 v13, v18, v6, s7
	;; [unrolled: 1-line block ×4, first 2 shown]
	v_cndmask_b32_e32 v19, v21, v2, vcc_lo
	v_cmp_eq_u32_e64 s4, 3, v132
	v_cndmask_b32_e32 v20, v22, v6, vcc_lo
	v_cndmask_b32_e64 v1, v1, v2, s5
	v_cmp_eq_u32_e32 vcc_lo, 3, v131
	v_cmp_eq_u32_e64 s6, 3, v129
	v_cndmask_b32_e64 v2, v5, v6, s5
	v_cmp_eq_u32_e64 s5, 3, v130
	v_cmp_eq_u32_e64 s7, 4, v129
	v_cndmask_b32_e32 v1, v1, v10, vcc_lo
	v_cndmask_b32_e64 v5, v9, v10, s6
	v_cndmask_b32_e64 v6, v13, v14, s6
	v_cndmask_b32_e64 v9, v17, v10, s5
	v_cmp_eq_u32_e64 s6, 4, v130
	v_cndmask_b32_e64 v13, v18, v14, s5
	v_cndmask_b32_e64 v17, v19, v10, s4
	;; [unrolled: 1-line block ×3, first 2 shown]
	v_cndmask_b32_e32 v2, v2, v14, vcc_lo
	v_cmp_eq_u32_e32 vcc_lo, 4, v132
	v_cmp_eq_u32_e64 s5, 4, v131
	v_lshrrev_b32_e32 v15, 16, v7
	v_cndmask_b32_e64 v5, v5, v3, s7
	v_cndmask_b32_e64 v6, v6, v7, s7
	v_cndmask_b32_e32 v14, v18, v7, vcc_lo
	v_cndmask_b32_e64 v9, v9, v3, s6
	v_cndmask_b32_e64 v10, v13, v7, s6
	v_cndmask_b32_e32 v13, v17, v3, vcc_lo
	v_cmp_eq_u32_e64 s4, 5, v132
	v_cndmask_b32_e64 v1, v1, v3, s5
	v_cmp_eq_u32_e32 vcc_lo, 5, v131
	v_cmp_eq_u32_e64 s6, 5, v129
	v_cndmask_b32_e64 v2, v2, v7, s5
	v_cmp_eq_u32_e64 s5, 5, v130
	v_cmp_eq_u32_e64 s7, 6, v129
	v_lshrrev_b32_e32 v12, 16, v4
	v_cndmask_b32_e64 v3, v5, v11, s6
	v_cndmask_b32_e64 v5, v6, v15, s6
	;; [unrolled: 1-line block ×3, first 2 shown]
	v_cmp_eq_u32_e64 s6, 6, v130
	v_cndmask_b32_e64 v7, v10, v15, s5
	v_cndmask_b32_e64 v9, v13, v11, s4
	;; [unrolled: 1-line block ×3, first 2 shown]
	v_cndmask_b32_e32 v1, v1, v11, vcc_lo
	v_cndmask_b32_e32 v2, v2, v15, vcc_lo
	v_cmp_eq_u32_e32 vcc_lo, 6, v132
	v_cmp_eq_u32_e64 s4, 6, v131
	v_lshrrev_b32_e32 v16, 16, v8
	v_cndmask_b32_e64 v3, v3, v4, s7
	v_cndmask_b32_e64 v5, v5, v8, s7
	v_cndmask_b32_e32 v9, v9, v4, vcc_lo
	v_cndmask_b32_e64 v6, v6, v4, s6
	v_cndmask_b32_e64 v7, v7, v8, s6
	v_cmp_eq_u32_e64 s5, 7, v132
	v_cndmask_b32_e32 v10, v10, v8, vcc_lo
	v_cndmask_b32_e64 v1, v1, v4, s4
	v_cmp_eq_u32_e32 vcc_lo, 7, v131
	v_cndmask_b32_e64 v2, v2, v8, s4
	v_cmp_eq_u32_e64 s4, 7, v129
	v_cmp_eq_u32_e64 s6, 7, v130
	v_cndmask_b32_e32 v1, v1, v12, vcc_lo
	s_delay_alu instid0(VALU_DEP_4) | instskip(NEXT) | instid1(VALU_DEP_4)
	v_cndmask_b32_e32 v2, v2, v16, vcc_lo
	v_cndmask_b32_e64 v8, v3, v12, s4
	s_delay_alu instid0(VALU_DEP_4)
	v_cndmask_b32_e64 v6, v6, v12, s6
	v_cndmask_b32_e64 v3, v9, v12, s5
	;; [unrolled: 1-line block ×5, first 2 shown]
	v_cmp_gt_u32_e32 vcc_lo, 32, v0
	v_perm_b32 v4, v2, v1, 0x5040100
	v_perm_b32 v3, v9, v3, 0x5040100
	;; [unrolled: 1-line block ×4, first 2 shown]
	s_and_b32 s2, vcc_lo, s2
	ds_store_b128 v134, v[1:4]
	s_waitcnt lgkmcnt(0)
	s_barrier
	buffer_gl0_inv
	s_and_saveexec_b32 s4, s2
	s_cbranch_execz .LBB64_2
; %bb.15:
	s_load_b64 s[4:5], s[0:1], 0x68
	v_lshlrev_b32_e32 v0, 10, v0
	v_add_nc_u32_e32 v2, s33, v146
	v_lshlrev_b32_e32 v3, 4, v147
	s_lshl_b32 s0, s36, 6
	s_delay_alu instid0(SALU_CYCLE_1) | instskip(NEXT) | instid1(VALU_DEP_2)
	s_mul_i32 s1, s0, s34
	v_mul_lo_u32 v1, v2, s0
	s_delay_alu instid0(VALU_DEP_2)
	v_and_or_b32 v0, 0x3800, v0, v3
	v_add_nc_u32_e32 v3, 2, v2
	s_mul_i32 s6, s1, s8
	v_add_nc_u32_e32 v4, 4, v2
	s_ashr_i32 s7, s6, 31
	v_lshl_or_b32 v11, v146, 6, v0
	s_lshl_b64 s[6:7], s[6:7], 1
	v_mul_lo_u32 v15, v3, s0
	v_mul_lo_u32 v17, v4, s0
	v_ashrrev_i32_e32 v2, 31, v1
	ds_load_b128 v[3:6], v11
	ds_load_b128 v[7:10], v11 offset:128
	ds_load_b128 v[11:14], v11 offset:256
	s_waitcnt lgkmcnt(0)
	s_add_u32 s1, s4, s6
	s_addc_u32 s2, s5, s7
	s_lshl_b32 s4, s14, 6
	v_ashrrev_i32_e32 v16, 31, v15
	s_ashr_i32 s5, s4, 31
	v_lshlrev_b64 v[19:20], 1, v[1:2]
	s_lshl_b64 s[4:5], s[4:5], 1
	v_ashrrev_i32_e32 v18, 31, v17
	s_add_u32 s1, s1, s4
	s_addc_u32 s2, s2, s5
	v_add_co_u32 v1, s1, s1, v145
	s_delay_alu instid0(VALU_DEP_1) | instskip(SKIP_1) | instid1(VALU_DEP_3)
	v_add_co_ci_u32_e64 v2, null, s2, 0, s1
	v_lshlrev_b64 v[15:16], 1, v[15:16]
	v_add_co_u32 v19, vcc_lo, v1, v19
	v_lshlrev_b64 v[17:18], 1, v[17:18]
	s_delay_alu instid0(VALU_DEP_4) | instskip(NEXT) | instid1(VALU_DEP_4)
	v_add_co_ci_u32_e32 v20, vcc_lo, v2, v20, vcc_lo
	v_add_co_u32 v15, vcc_lo, v1, v15
	v_add_co_ci_u32_e32 v16, vcc_lo, v2, v16, vcc_lo
	s_delay_alu instid0(VALU_DEP_4)
	v_add_co_u32 v17, vcc_lo, v1, v17
	v_add_co_ci_u32_e32 v18, vcc_lo, v2, v18, vcc_lo
	s_clause 0x2
	global_store_b128 v[19:20], v[3:6], off
	global_store_b128 v[15:16], v[7:10], off
	;; [unrolled: 1-line block ×3, first 2 shown]
	s_and_b32 exec_lo, exec_lo, s3
	s_cbranch_execz .LBB64_2
; %bb.16:
	ds_load_b128 v[3:6], v0 offset:384
	s_add_i32 s1, s33, 6
	s_delay_alu instid0(SALU_CYCLE_1) | instskip(NEXT) | instid1(SALU_CYCLE_1)
	s_mul_i32 s0, s1, s0
	s_ashr_i32 s1, s0, 31
	s_delay_alu instid0(SALU_CYCLE_1) | instskip(NEXT) | instid1(SALU_CYCLE_1)
	s_lshl_b64 s[0:1], s[0:1], 1
	v_add_co_u32 v0, vcc_lo, v1, s0
	v_add_co_ci_u32_e32 v1, vcc_lo, s1, v2, vcc_lo
	s_waitcnt lgkmcnt(0)
	global_store_b128 v[0:1], v[3:6], off
	s_nop 0
	s_sendmsg sendmsg(MSG_DEALLOC_VGPRS)
	s_endpgm
	.section	.rodata,"a",@progbits
	.p2align	6, 0x0
	.amdhsa_kernel _Z39paged_attention_ll4mi_QKV_mfma16_kernelIDF16_DF16_LN4vllm18Fp8KVCacheDataTypeE0EDF16_Li16ELi64ELi256ELb1ELi7EL8MFMAType0EEvPKT_PKT0_S8_ifPKiSA_SA_iPKfiiiPfSD_PS3_PT2_iSC_SC_
		.amdhsa_group_segment_fixed_size 17472
		.amdhsa_private_segment_fixed_size 0
		.amdhsa_kernarg_size 400
		.amdhsa_user_sgpr_count 13
		.amdhsa_user_sgpr_dispatch_ptr 0
		.amdhsa_user_sgpr_queue_ptr 0
		.amdhsa_user_sgpr_kernarg_segment_ptr 1
		.amdhsa_user_sgpr_dispatch_id 0
		.amdhsa_user_sgpr_private_segment_size 0
		.amdhsa_wavefront_size32 1
		.amdhsa_uses_dynamic_stack 0
		.amdhsa_enable_private_segment 0
		.amdhsa_system_sgpr_workgroup_id_x 1
		.amdhsa_system_sgpr_workgroup_id_y 1
		.amdhsa_system_sgpr_workgroup_id_z 1
		.amdhsa_system_sgpr_workgroup_info 0
		.amdhsa_system_vgpr_workitem_id 0
		.amdhsa_next_free_vgpr 198
		.amdhsa_next_free_sgpr 52
		.amdhsa_reserve_vcc 1
		.amdhsa_float_round_mode_32 0
		.amdhsa_float_round_mode_16_64 0
		.amdhsa_float_denorm_mode_32 3
		.amdhsa_float_denorm_mode_16_64 3
		.amdhsa_dx10_clamp 1
		.amdhsa_ieee_mode 1
		.amdhsa_fp16_overflow 0
		.amdhsa_workgroup_processor_mode 1
		.amdhsa_memory_ordered 1
		.amdhsa_forward_progress 0
		.amdhsa_shared_vgpr_count 0
		.amdhsa_exception_fp_ieee_invalid_op 0
		.amdhsa_exception_fp_denorm_src 0
		.amdhsa_exception_fp_ieee_div_zero 0
		.amdhsa_exception_fp_ieee_overflow 0
		.amdhsa_exception_fp_ieee_underflow 0
		.amdhsa_exception_fp_ieee_inexact 0
		.amdhsa_exception_int_div_zero 0
	.end_amdhsa_kernel
	.section	.text._Z39paged_attention_ll4mi_QKV_mfma16_kernelIDF16_DF16_LN4vllm18Fp8KVCacheDataTypeE0EDF16_Li16ELi64ELi256ELb1ELi7EL8MFMAType0EEvPKT_PKT0_S8_ifPKiSA_SA_iPKfiiiPfSD_PS3_PT2_iSC_SC_,"axG",@progbits,_Z39paged_attention_ll4mi_QKV_mfma16_kernelIDF16_DF16_LN4vllm18Fp8KVCacheDataTypeE0EDF16_Li16ELi64ELi256ELb1ELi7EL8MFMAType0EEvPKT_PKT0_S8_ifPKiSA_SA_iPKfiiiPfSD_PS3_PT2_iSC_SC_,comdat
.Lfunc_end64:
	.size	_Z39paged_attention_ll4mi_QKV_mfma16_kernelIDF16_DF16_LN4vllm18Fp8KVCacheDataTypeE0EDF16_Li16ELi64ELi256ELb1ELi7EL8MFMAType0EEvPKT_PKT0_S8_ifPKiSA_SA_iPKfiiiPfSD_PS3_PT2_iSC_SC_, .Lfunc_end64-_Z39paged_attention_ll4mi_QKV_mfma16_kernelIDF16_DF16_LN4vllm18Fp8KVCacheDataTypeE0EDF16_Li16ELi64ELi256ELb1ELi7EL8MFMAType0EEvPKT_PKT0_S8_ifPKiSA_SA_iPKfiiiPfSD_PS3_PT2_iSC_SC_
                                        ; -- End function
	.section	.AMDGPU.csdata,"",@progbits
; Kernel info:
; codeLenInByte = 7880
; NumSgprs: 54
; NumVgprs: 198
; ScratchSize: 0
; MemoryBound: 0
; FloatMode: 240
; IeeeMode: 1
; LDSByteSize: 17472 bytes/workgroup (compile time only)
; SGPRBlocks: 6
; VGPRBlocks: 24
; NumSGPRsForWavesPerEU: 54
; NumVGPRsForWavesPerEU: 198
; Occupancy: 7
; WaveLimiterHint : 1
; COMPUTE_PGM_RSRC2:SCRATCH_EN: 0
; COMPUTE_PGM_RSRC2:USER_SGPR: 13
; COMPUTE_PGM_RSRC2:TRAP_HANDLER: 0
; COMPUTE_PGM_RSRC2:TGID_X_EN: 1
; COMPUTE_PGM_RSRC2:TGID_Y_EN: 1
; COMPUTE_PGM_RSRC2:TGID_Z_EN: 1
; COMPUTE_PGM_RSRC2:TIDIG_COMP_CNT: 0
	.section	.text._Z39paged_attention_ll4mi_QKV_mfma16_kernelIDF16_DF16_LN4vllm18Fp8KVCacheDataTypeE0EDF16_Li16ELi64ELi256ELb1ELi8EL8MFMAType0EEvPKT_PKT0_S8_ifPKiSA_SA_iPKfiiiPfSD_PS3_PT2_iSC_SC_,"axG",@progbits,_Z39paged_attention_ll4mi_QKV_mfma16_kernelIDF16_DF16_LN4vllm18Fp8KVCacheDataTypeE0EDF16_Li16ELi64ELi256ELb1ELi8EL8MFMAType0EEvPKT_PKT0_S8_ifPKiSA_SA_iPKfiiiPfSD_PS3_PT2_iSC_SC_,comdat
	.protected	_Z39paged_attention_ll4mi_QKV_mfma16_kernelIDF16_DF16_LN4vllm18Fp8KVCacheDataTypeE0EDF16_Li16ELi64ELi256ELb1ELi8EL8MFMAType0EEvPKT_PKT0_S8_ifPKiSA_SA_iPKfiiiPfSD_PS3_PT2_iSC_SC_ ; -- Begin function _Z39paged_attention_ll4mi_QKV_mfma16_kernelIDF16_DF16_LN4vllm18Fp8KVCacheDataTypeE0EDF16_Li16ELi64ELi256ELb1ELi8EL8MFMAType0EEvPKT_PKT0_S8_ifPKiSA_SA_iPKfiiiPfSD_PS3_PT2_iSC_SC_
	.globl	_Z39paged_attention_ll4mi_QKV_mfma16_kernelIDF16_DF16_LN4vllm18Fp8KVCacheDataTypeE0EDF16_Li16ELi64ELi256ELb1ELi8EL8MFMAType0EEvPKT_PKT0_S8_ifPKiSA_SA_iPKfiiiPfSD_PS3_PT2_iSC_SC_
	.p2align	8
	.type	_Z39paged_attention_ll4mi_QKV_mfma16_kernelIDF16_DF16_LN4vllm18Fp8KVCacheDataTypeE0EDF16_Li16ELi64ELi256ELb1ELi8EL8MFMAType0EEvPKT_PKT0_S8_ifPKiSA_SA_iPKfiiiPfSD_PS3_PT2_iSC_SC_,@function
_Z39paged_attention_ll4mi_QKV_mfma16_kernelIDF16_DF16_LN4vllm18Fp8KVCacheDataTypeE0EDF16_Li16ELi64ELi256ELb1ELi8EL8MFMAType0EEvPKT_PKT0_S8_ifPKiSA_SA_iPKfiiiPfSD_PS3_PT2_iSC_SC_: ; @_Z39paged_attention_ll4mi_QKV_mfma16_kernelIDF16_DF16_LN4vllm18Fp8KVCacheDataTypeE0EDF16_Li16ELi64ELi256ELb1ELi8EL8MFMAType0EEvPKT_PKT0_S8_ifPKiSA_SA_iPKfiiiPfSD_PS3_PT2_iSC_SC_
; %bb.0:
	s_load_b64 s[2:3], s[0:1], 0x30
	s_mov_b32 s34, s13
	s_waitcnt lgkmcnt(0)
	s_cmp_lg_u64 s[2:3], 0
	s_cselect_b32 s6, -1, 0
	s_ashr_i32 s35, s13, 31
	s_cmp_eq_u64 s[2:3], 0
	s_cbranch_scc1 .LBB65_3
; %bb.1:
	s_lshl_b64 s[4:5], s[34:35], 2
	s_delay_alu instid0(SALU_CYCLE_1) | instskip(SKIP_4) | instid1(SALU_CYCLE_1)
	s_add_u32 s4, s2, s4
	s_addc_u32 s5, s3, s5
	s_load_b64 s[4:5], s[4:5], 0x0
	s_waitcnt lgkmcnt(0)
	s_sub_i32 s4, s5, s4
	s_cmp_eq_u32 s4, 1
	s_cselect_b32 s4, -1, 0
	s_delay_alu instid0(SALU_CYCLE_1)
	s_and_not1_b32 vcc_lo, exec_lo, s4
	s_cbranch_vccz .LBB65_4
.LBB65_2:
	s_endpgm
.LBB65_3:
.LBB65_4:
	s_load_b64 s[8:9], s[0:1], 0x28
	s_lshl_b64 s[4:5], s[34:35], 2
	s_waitcnt lgkmcnt(0)
	s_add_u32 s8, s8, s4
	s_addc_u32 s9, s9, s5
	s_lshl_b32 s35, s14, 8
	s_load_b32 s30, s[8:9], 0x0
	s_waitcnt lgkmcnt(0)
	s_cmp_ge_i32 s35, s30
	s_cbranch_scc1 .LBB65_2
; %bb.5:
	s_clause 0x1
	s_load_b128 s[8:11], s[0:1], 0x8
	s_load_b64 s[12:13], s[0:1], 0x20
	s_and_not1_b32 vcc_lo, exec_lo, s6
	s_cbranch_vccnz .LBB65_7
; %bb.6:
	s_add_u32 s2, s2, s4
	s_addc_u32 s3, s3, s5
	s_load_b32 s3, s[2:3], 0x0
	s_branch .LBB65_8
.LBB65_7:
	s_mov_b32 s3, s34
.LBB65_8:
	s_load_b128 s[4:7], s[0:1], 0x48
	v_and_b32_e32 v149, 15, v0
	v_cmp_gt_u32_e32 vcc_lo, 0x80, v0
	v_lshrrev_b32_e32 v148, 5, v0
	v_and_b32_e32 v150, 31, v0
	v_and_b32_e32 v146, 1, v0
	v_lshlrev_b32_e32 v1, 3, v149
	v_cmp_gt_u32_e64 s2, 8, v149
	v_bfe_u32 v147, v0, 4, 1
	s_lshl_b32 s31, s15, 3
	s_delay_alu instid0(VALU_DEP_3) | instskip(NEXT) | instid1(VALU_DEP_3)
	v_lshlrev_b32_e32 v145, 1, v1
	s_and_b32 s16, vcc_lo, s2
	s_waitcnt lgkmcnt(0)
	s_and_saveexec_b32 s7, s16
	s_cbranch_execz .LBB65_10
; %bb.9:
	v_lshl_or_b32 v5, v148, 1, v147
	s_load_b64 s[16:17], s[0:1], 0x0
	s_mul_hi_i32 s19, s3, s4
	s_mul_i32 s18, s3, s4
	v_lshlrev_b32_e32 v6, 10, v149
	v_or_b32_e32 v1, s31, v5
	s_lshl_b64 s[18:19], s[18:19], 1
	v_lshlrev_b32_e32 v5, 6, v5
	v_lshlrev_b32_e32 v7, 10, v146
	v_and_b32_e32 v6, 0x3800, v6
	v_lshlrev_b32_e32 v1, 6, v1
	s_delay_alu instid0(VALU_DEP_2) | instskip(NEXT) | instid1(VALU_DEP_2)
	v_or3_b32 v5, v6, v7, v5
	v_ashrrev_i32_e32 v2, 31, v1
	s_delay_alu instid0(VALU_DEP_1) | instskip(SKIP_3) | instid1(VALU_DEP_1)
	v_lshlrev_b64 v[1:2], 1, v[1:2]
	s_waitcnt lgkmcnt(0)
	s_add_u32 s3, s16, s18
	s_addc_u32 s4, s17, s19
	v_add_co_u32 v1, vcc_lo, s3, v1
	s_delay_alu instid0(VALU_DEP_2) | instskip(NEXT) | instid1(VALU_DEP_2)
	v_add_co_ci_u32_e32 v2, vcc_lo, s4, v2, vcc_lo
	v_add_co_u32 v1, vcc_lo, v1, v145
	s_delay_alu instid0(VALU_DEP_2)
	v_add_co_ci_u32_e32 v2, vcc_lo, 0, v2, vcc_lo
	global_load_b128 v[1:4], v[1:2], off
	s_waitcnt vmcnt(0)
	ds_store_b128 v5, v[1:4]
.LBB65_10:
	s_or_b32 exec_lo, exec_lo, s7
	s_mov_b32 s40, 0
	s_add_i32 s3, s30, 15
	s_mov_b32 s41, s40
	s_mov_b32 s42, s40
	;; [unrolled: 1-line block ×7, first 2 shown]
	s_delay_alu instid0(SALU_CYCLE_1)
	v_dual_mov_b32 v136, s47 :: v_dual_and_b32 v1, 0xef, v0
	v_mov_b32_e32 v134, s45
	s_clause 0x1
	s_load_b32 s4, s[0:1], 0x38
	s_load_b32 s33, s[0:1], 0x98
	v_add_nc_u32_e32 v1, s35, v1
	s_ashr_i32 s7, s3, 31
	s_load_b32 s36, s[0:1], 0x1c
	s_lshr_b32 s7, s7, 28
	s_waitcnt lgkmcnt(0)
	v_ashrrev_i32_e32 v2, 31, v1
	s_add_i32 s3, s3, s7
	v_cmp_gt_i32_e32 vcc_lo, s30, v1
	v_mov_b32_e32 v135, s46
	s_ashr_i32 s3, s3, 4
	v_lshrrev_b32_e32 v3, 28, v2
	v_or_b32_e32 v2, 16, v1
	s_add_i32 s3, s3, -1
	v_mov_b32_e32 v132, s43
	s_barrier
	v_add_nc_u32_e32 v4, v1, v3
	v_add_nc_u32_e32 v3, v2, v3
	buffer_gl0_inv
	s_mul_i32 s16, s34, s4
	s_mul_i32 s6, s15, s6
	v_ashrrev_i32_e32 v4, 4, v4
	v_ashrrev_i32_e32 v3, 4, v3
	s_ashr_i32 s17, s16, 31
	v_mov_b32_e32 v133, s44
	s_lshl_b64 s[16:17], s[16:17], 2
	v_cndmask_b32_e32 v1, s3, v4, vcc_lo
	v_cmp_gt_i32_e32 vcc_lo, s30, v2
	s_add_u32 s4, s12, s16
	s_addc_u32 s37, s13, s17
	s_ashr_i32 s7, s6, 31
	v_ashrrev_i32_e32 v2, 31, v1
	v_cndmask_b32_e32 v3, s3, v3, vcc_lo
	s_lshl_b64 s[6:7], s[6:7], 1
	v_mov_b32_e32 v131, s42
	s_add_u32 s24, s8, s6
	v_lshlrev_b64 v[1:2], 2, v[1:2]
	v_ashrrev_i32_e32 v4, 31, v3
	s_addc_u32 s25, s9, s7
	s_lshl_b32 s8, s14, 4
	v_mov_b32_e32 v129, s40
	s_ashr_i32 s9, s8, 31
	v_lshlrev_b64 v[3:4], 2, v[3:4]
	v_add_co_u32 v1, vcc_lo, s4, v1
	v_add_co_ci_u32_e32 v2, vcc_lo, s37, v2, vcc_lo
	s_lshl_b64 s[8:9], s[8:9], 2
	s_delay_alu instid0(VALU_DEP_3) | instskip(NEXT) | instid1(VALU_DEP_4)
	v_add_co_u32 v3, vcc_lo, s4, v3
	v_add_co_ci_u32_e32 v4, vcc_lo, s37, v4, vcc_lo
	s_clause 0x1
	global_load_b32 v5, v[1:2], off
	global_load_b32 v6, v[3:4], off
	s_add_u32 s8, s4, s8
	s_addc_u32 s9, s37, s9
	s_or_b32 s12, s35, 16
	v_dual_mov_b32 v130, s41 :: v_dual_lshlrev_b32 v3, 4, v0
	s_ashr_i32 s13, s12, 4
	s_cmp_lt_i32 s12, s30
	s_cselect_b32 s12, s13, s3
	s_delay_alu instid0(SALU_CYCLE_1) | instskip(NEXT) | instid1(SALU_CYCLE_1)
	s_ashr_i32 s13, s12, 31
	s_lshl_b64 s[12:13], s[12:13], 2
	s_delay_alu instid0(SALU_CYCLE_1) | instskip(SKIP_2) | instid1(SALU_CYCLE_1)
	s_add_u32 s12, s4, s12
	s_addc_u32 s13, s37, s13
	s_or_b32 s15, s35, 32
	s_ashr_i32 s16, s15, 4
	s_cmp_lt_i32 s15, s30
	s_cselect_b32 s16, s16, s3
	s_delay_alu instid0(SALU_CYCLE_1) | instskip(NEXT) | instid1(SALU_CYCLE_1)
	s_ashr_i32 s17, s16, 31
	s_lshl_b64 s[16:17], s[16:17], 2
	s_delay_alu instid0(SALU_CYCLE_1) | instskip(SKIP_2) | instid1(SALU_CYCLE_1)
	s_add_u32 s16, s4, s16
	s_addc_u32 s17, s37, s17
	s_or_b32 s15, s35, 48
	;; [unrolled: 10-line block ×4, first 2 shown]
	s_ashr_i32 s22, s15, 4
	s_cmp_lt_i32 s15, s30
	s_cselect_b32 s22, s22, s3
	s_delay_alu instid0(SALU_CYCLE_1) | instskip(NEXT) | instid1(SALU_CYCLE_1)
	s_ashr_i32 s23, s22, 31
	s_lshl_b64 s[22:23], s[22:23], 2
	s_delay_alu instid0(SALU_CYCLE_1)
	s_add_u32 s22, s4, s22
	s_addc_u32 s23, s37, s23
	s_clause 0x5
	s_load_b32 s8, s[8:9], 0x0
	s_load_b32 s12, s[12:13], 0x0
	s_load_b32 s16, s[16:17], 0x0
	s_load_b32 s18, s[18:19], 0x0
	s_load_b32 s20, s[20:21], 0x0
	s_load_b32 s15, s[22:23], 0x0
	s_waitcnt lgkmcnt(0)
	s_mul_hi_i32 s17, s16, s5
	s_mul_i32 s16, s16, s5
	s_waitcnt vmcnt(1)
	v_mad_i64_i32 v[1:2], null, v5, s5, 0
	v_and_b32_e32 v5, 0xf0, v3
	s_waitcnt vmcnt(0)
	v_mad_i64_i32 v[3:4], null, v6, s5, 0
	s_delay_alu instid0(VALU_DEP_2) | instskip(NEXT) | instid1(VALU_DEP_4)
	v_add_co_u32 v5, s9, s24, v5
	v_lshlrev_b64 v[1:2], 1, v[1:2]
	v_add_co_ci_u32_e64 v6, null, s25, 0, s9
	s_delay_alu instid0(VALU_DEP_4) | instskip(SKIP_1) | instid1(VALU_DEP_3)
	v_lshlrev_b64 v[3:4], 1, v[3:4]
	s_or_b32 s9, s35, 0x60
	v_add_co_u32 v1, vcc_lo, v5, v1
	s_delay_alu instid0(VALU_DEP_3) | instskip(NEXT) | instid1(VALU_DEP_3)
	v_add_co_ci_u32_e32 v2, vcc_lo, v6, v2, vcc_lo
	v_add_co_u32 v3, vcc_lo, v5, v3
	s_delay_alu instid0(VALU_DEP_4)
	v_add_co_ci_u32_e32 v4, vcc_lo, v6, v4, vcc_lo
	s_clause 0x9
	global_load_b128 v[9:12], v[1:2], off
	global_load_b128 v[13:16], v[1:2], off offset:256
	global_load_b128 v[137:140], v[3:4], off
	global_load_b128 v[141:144], v[3:4], off offset:256
	global_load_b128 v[41:44], v[1:2], off offset:512
	;; [unrolled: 1-line block ×7, first 2 shown]
	v_and_b32_e32 v5, 7, v0
	s_clause 0x1
	global_load_b128 v[151:154], v[3:4], off offset:1024
	global_load_b128 v[155:158], v[3:4], off offset:1280
	s_ashr_i32 s13, s9, 4
	s_cmp_lt_i32 s9, s30
	v_lshlrev_b32_e32 v6, 5, v149
	v_lshlrev_b32_e32 v197, 6, v5
	ds_load_b128 v[159:162], v197
	ds_load_b128 v[163:166], v197 offset:1024
	s_clause 0x3
	global_load_b128 v[167:170], v[1:2], off offset:1536
	global_load_b128 v[171:174], v[1:2], off offset:1792
	;; [unrolled: 1-line block ×4, first 2 shown]
	s_cselect_b32 s22, s13, s3
	v_lshl_or_b32 v5, v148, 9, v6
	s_ashr_i32 s23, s22, 31
	s_delay_alu instid0(SALU_CYCLE_1) | instskip(NEXT) | instid1(SALU_CYCLE_1)
	s_lshl_b64 s[22:23], s[22:23], 2
	s_add_u32 s22, s4, s22
	s_addc_u32 s23, s37, s23
	s_or_b32 s9, s35, 0x70
	s_load_b32 s46, s[22:23], 0x0
	s_ashr_i32 s13, s9, 4
	s_cmp_lt_i32 s9, s30
	s_cselect_b32 s24, s13, s3
	s_delay_alu instid0(SALU_CYCLE_1) | instskip(NEXT) | instid1(SALU_CYCLE_1)
	s_ashr_i32 s25, s24, 31
	s_lshl_b64 s[24:25], s[24:25], 2
	s_delay_alu instid0(SALU_CYCLE_1)
	s_add_u32 s24, s4, s24
	s_addc_u32 s25, s37, s25
	s_or_b32 s9, s35, 0x80
	s_load_b32 s47, s[24:25], 0x0
	s_ashr_i32 s13, s9, 4
	s_cmp_lt_i32 s9, s30
	s_cselect_b32 s26, s13, s3
	s_delay_alu instid0(SALU_CYCLE_1) | instskip(NEXT) | instid1(SALU_CYCLE_1)
	s_ashr_i32 s27, s26, 31
	s_lshl_b64 s[26:27], s[26:27], 2
	s_delay_alu instid0(SALU_CYCLE_1)
	s_add_u32 s26, s4, s26
	s_addc_u32 s27, s37, s27
	s_or_b32 s9, s35, 0x90
	s_load_b32 s48, s[26:27], 0x0
	s_ashr_i32 s13, s9, 4
	s_cmp_lt_i32 s9, s30
	s_cselect_b32 s28, s13, s3
	s_delay_alu instid0(SALU_CYCLE_1) | instskip(NEXT) | instid1(SALU_CYCLE_1)
	s_ashr_i32 s29, s28, 31
	s_lshl_b64 s[28:29], s[28:29], 2
	s_delay_alu instid0(SALU_CYCLE_1) | instskip(SKIP_2) | instid1(SALU_CYCLE_1)
	s_add_u32 s28, s4, s28
	s_addc_u32 s29, s37, s29
	s_or_b32 s9, s35, 0xa0
	s_ashr_i32 s13, s9, 4
	s_cmp_lt_i32 s9, s30
	s_cselect_b32 s38, s13, s3
	s_delay_alu instid0(SALU_CYCLE_1) | instskip(NEXT) | instid1(SALU_CYCLE_1)
	s_ashr_i32 s39, s38, 31
	s_lshl_b64 s[38:39], s[38:39], 2
	s_delay_alu instid0(SALU_CYCLE_1) | instskip(SKIP_2) | instid1(SALU_CYCLE_1)
	s_add_u32 s38, s4, s38
	s_addc_u32 s39, s37, s39
	s_or_b32 s9, s35, 0xb0
	s_ashr_i32 s13, s9, 4
	s_cmp_lt_i32 s9, s30
	s_mul_hi_i32 s9, s8, s5
	s_cselect_b32 s40, s13, s3
	s_mul_i32 s8, s8, s5
	s_ashr_i32 s41, s40, 31
	s_mul_hi_i32 s13, s12, s5
	s_lshl_b64 s[40:41], s[40:41], 2
	s_mul_i32 s12, s12, s5
	s_add_u32 s42, s4, s40
	s_addc_u32 s43, s37, s41
	s_or_b32 s19, s35, 0xc0
	s_delay_alu instid0(SALU_CYCLE_1)
	s_ashr_i32 s21, s19, 4
	s_cmp_lt_i32 s19, s30
	s_mul_hi_i32 s19, s18, s5
	s_cselect_b32 s40, s21, s3
	s_mul_i32 s18, s18, s5
	s_ashr_i32 s41, s40, 31
	s_mul_hi_i32 s21, s20, s5
	s_lshl_b64 s[40:41], s[40:41], 2
	s_mul_i32 s20, s20, s5
	s_add_u32 s44, s4, s40
	s_addc_u32 s45, s37, s41
	s_load_b32 s41, s[28:29], 0x0
	s_or_b32 s40, s35, 0xd0
	s_mul_hi_i32 s23, s15, s5
	s_ashr_i32 s22, s40, 4
	s_cmp_lt_i32 s40, s30
	s_load_b32 s40, s[38:39], 0x0
	s_cselect_b32 s24, s22, s3
	s_mul_i32 s22, s15, s5
	s_ashr_i32 s25, s24, 31
	s_waitcnt lgkmcnt(0)
	s_mul_hi_i32 s29, s48, s5
	s_lshl_b64 s[24:25], s[24:25], 2
	s_mul_i32 s28, s48, s5
	s_add_u32 s24, s4, s24
	s_addc_u32 s25, s37, s25
	s_or_b32 s49, s35, 0xe0
	s_clause 0x2
	s_load_b32 s39, s[42:43], 0x0
	s_load_b32 s38, s[44:45], 0x0
	;; [unrolled: 1-line block ×3, first 2 shown]
	s_ashr_i32 s50, s49, 4
	s_cmp_lt_i32 s49, s30
	s_mul_hi_i32 s25, s46, s5
	s_cselect_b32 s44, s50, s3
	s_mul_i32 s24, s46, s5
	s_ashr_i32 s45, s44, 31
	s_mul_hi_i32 s27, s47, s5
	s_lshl_b64 s[44:45], s[44:45], 2
	s_mul_i32 s26, s47, s5
	s_add_u32 s44, s4, s44
	s_addc_u32 s45, s37, s45
	s_or_b32 s46, s35, 0xf0
	s_mul_hi_i32 s43, s41, s5
	s_ashr_i32 s48, s46, 4
	s_cmp_lt_i32 s46, s30
	s_mul_i32 s42, s41, s5
	s_cselect_b32 s48, s48, s3
	s_mul_hi_i32 s41, s40, s5
	s_ashr_i32 s49, s48, 31
	s_mul_i32 s40, s40, s5
	s_lshl_b64 s[48:49], s[48:49], 2
	s_waitcnt lgkmcnt(0)
	s_mul_hi_i32 s47, s39, s5
	s_add_u32 s48, s4, s48
	s_addc_u32 s49, s37, s49
	s_add_u32 s3, s10, s6
	s_addc_u32 s4, s11, s7
	v_add_co_u32 v195, s3, s3, v5
	s_delay_alu instid0(VALU_DEP_1) | instskip(SKIP_2) | instid1(VALU_DEP_2)
	v_add_co_ci_u32_e64 v196, null, s4, 0, s3
	s_lshl_b64 s[6:7], s[8:9], 1
	s_lshl_b64 s[8:9], s[12:13], 1
	v_add_co_u32 v1, vcc_lo, v195, s6
	s_delay_alu instid0(VALU_DEP_2)
	v_add_co_ci_u32_e32 v2, vcc_lo, s7, v196, vcc_lo
	v_add_co_u32 v3, vcc_lo, v195, s8
	s_lshl_b64 s[10:11], s[16:17], 1
	v_add_co_ci_u32_e32 v4, vcc_lo, s9, v196, vcc_lo
	v_add_co_u32 v5, vcc_lo, v195, s10
	s_lshl_b64 s[12:13], s[18:19], 1
	;; [unrolled: 3-line block ×9, first 2 shown]
	s_mul_i32 s46, s39, s5
	v_add_co_ci_u32_e32 v54, vcc_lo, s27, v196, vcc_lo
	v_add_co_u32 v183, vcc_lo, v195, s28
	s_lshl_b64 s[40:41], s[46:47], 1
	s_mul_hi_i32 s39, s38, s5
	s_mul_i32 s38, s38, s5
	v_add_co_ci_u32_e32 v184, vcc_lo, s29, v196, vcc_lo
	v_add_co_u32 v185, vcc_lo, v195, s40
	s_lshl_b64 s[38:39], s[38:39], 1
	s_clause 0x1
	s_load_b32 s3, s[44:45], 0x0
	s_load_b32 s4, s[48:49], 0x0
	v_add_co_ci_u32_e32 v186, vcc_lo, s41, v196, vcc_lo
	v_add_co_u32 v191, vcc_lo, v195, s38
	v_add_co_ci_u32_e32 v192, vcc_lo, s39, v196, vcc_lo
	s_clause 0x17
	global_load_b128 v[121:124], v[1:2], off
	global_load_b128 v[125:128], v[1:2], off offset:16
	global_load_b128 v[113:116], v[3:4], off
	global_load_b128 v[117:120], v[3:4], off offset:16
	;; [unrolled: 2-line block ×12, first 2 shown]
	s_mul_hi_i32 s51, s15, s5
	s_mul_i32 s50, s15, s5
	s_delay_alu instid0(SALU_CYCLE_1) | instskip(NEXT) | instid1(SALU_CYCLE_1)
	s_lshl_b64 s[42:43], s[50:51], 1
	v_add_co_u32 v193, vcc_lo, v195, s42
	v_add_co_ci_u32_e32 v194, vcc_lo, s43, v196, vcc_lo
	s_waitcnt lgkmcnt(0)
	s_mul_hi_i32 s7, s3, s5
	s_mul_i32 s6, s3, s5
	s_mul_hi_i32 s9, s4, s5
	s_lshl_b64 s[6:7], s[6:7], 1
	s_mul_i32 s8, s4, s5
	s_delay_alu instid0(SALU_CYCLE_1)
	s_lshl_b64 s[4:5], s[8:9], 1
	s_waitcnt vmcnt(38)
	v_wmma_f32_16x16x16_f16 v[183:190], v[9:16], v[159:166], v[129:136]
	s_waitcnt vmcnt(36)
	v_wmma_f32_16x16x16_f16 v[129:136], v[137:144], v[159:166], v[129:136]
	s_clause 0x1
	global_load_b128 v[9:12], v[191:192], off
	global_load_b128 v[13:16], v[191:192], off offset:16
	ds_load_b128 v[137:140], v197 offset:2048
	ds_load_b128 v[141:144], v197 offset:3072
	;; [unrolled: 1-line block ×4, first 2 shown]
	v_add_co_u32 v191, vcc_lo, v195, s6
	v_add_co_ci_u32_e32 v192, vcc_lo, s7, v196, vcc_lo
	v_add_co_u32 v195, vcc_lo, v195, s4
	v_add_co_ci_u32_e32 v196, vcc_lo, s5, v196, vcc_lo
	s_waitcnt vmcnt(36) lgkmcnt(2)
	v_wmma_f32_16x16x16_f16 v[183:190], v[41:48], v[137:144], v[183:190]
	s_waitcnt vmcnt(34)
	v_wmma_f32_16x16x16_f16 v[129:136], v[33:40], v[137:144], v[129:136]
	s_clause 0x3
	global_load_b128 v[33:36], v[193:194], off
	global_load_b128 v[37:40], v[193:194], off offset:16
	global_load_b128 v[41:44], v[191:192], off
	global_load_b128 v[45:48], v[191:192], off offset:16
	v_and_b32_e32 v137, 0xe0, v0
	v_mbcnt_lo_u32_b32 v191, -1, 0
	s_waitcnt vmcnt(36) lgkmcnt(0)
	v_wmma_f32_16x16x16_f16 v[183:190], v[17:24], v[159:166], v[183:190]
	s_clause 0x1
	global_load_b128 v[17:20], v[195:196], off
	global_load_b128 v[21:24], v[195:196], off offset:16
	s_waitcnt vmcnt(36)
	v_wmma_f32_16x16x16_f16 v[129:136], v[151:158], v[159:166], v[129:136]
	v_add_nc_u32_e32 v192, s35, v137
	ds_load_b128 v[137:140], v197 offset:6144
	ds_load_b128 v[141:144], v197 offset:7168
	v_xor_b32_e32 v151, 16, v191
	s_waitcnt vmcnt(0) lgkmcnt(0)
	s_barrier
	v_or_b32_e32 v152, v192, v147
	buffer_gl0_inv
	v_cmp_gt_i32_e32 vcc_lo, 32, v151
	v_or_b32_e32 v153, 2, v152
	v_or_b32_e32 v154, 4, v152
	;; [unrolled: 1-line block ×5, first 2 shown]
	v_cmp_gt_i32_e64 s3, s30, v153
	v_cmp_gt_i32_e64 s4, s30, v154
	;; [unrolled: 1-line block ×3, first 2 shown]
	v_or_b32_e32 v158, 12, v152
	v_or_b32_e32 v159, 14, v152
	v_cmp_gt_i32_e64 s6, s30, v156
	v_wmma_f32_16x16x16_f16 v[183:190], v[167:174], v[137:144], v[183:190]
	v_wmma_f32_16x16x16_f16 v[129:136], v[175:182], v[137:144], v[129:136]
	v_cndmask_b32_e32 v151, v191, v151, vcc_lo
	v_cmp_gt_i32_e32 vcc_lo, s30, v152
	v_cmp_gt_i32_e64 s7, s30, v157
	v_dual_mul_f32 v143, s36, v184 :: v_dual_mul_f32 v144, s36, v183
	v_dual_mul_f32 v141, s36, v186 :: v_dual_mul_f32 v142, s36, v185
	;; [unrolled: 1-line block ×3, first 2 shown]
	s_delay_alu instid0(VALU_DEP_3) | instskip(NEXT) | instid1(VALU_DEP_4)
	v_cndmask_b32_e32 v144, 0xff7fffff, v144, vcc_lo
	v_cndmask_b32_e64 v143, 0xff7fffff, v143, s3
	v_mul_f32_e32 v140, s36, v187
	v_cndmask_b32_e64 v142, 0xff7fffff, v142, s4
	v_cndmask_b32_e64 v141, 0xff7fffff, v141, s5
	v_or_b32_e32 v160, 16, v152
	v_max3_f32 v143, v144, 0xff7fffff, v143
	v_or_b32_e32 v161, 18, v152
	v_mul_f32_e32 v138, s36, v189
	v_dual_mul_f32 v172, s36, v132 :: v_dual_mul_f32 v137, s36, v190
	v_cndmask_b32_e64 v140, 0xff7fffff, v140, s6
	v_cndmask_b32_e64 v139, 0xff7fffff, v139, s7
	v_max3_f32 v141, v143, v142, v141
	v_cmp_gt_i32_e64 s8, s30, v158
	v_cmp_gt_i32_e64 s9, s30, v159
	v_or_b32_e32 v162, 20, v152
	v_or_b32_e32 v163, 22, v152
	v_mul_f32_e32 v175, s36, v129
	v_cndmask_b32_e64 v138, 0xff7fffff, v138, s8
	v_max3_f32 v139, v141, v140, v139
	v_cmp_gt_i32_e64 s10, s30, v160
	v_cmp_gt_i32_e64 s11, s30, v161
	v_lshlrev_b32_e32 v160, 2, v151
	v_cndmask_b32_e64 v137, 0xff7fffff, v137, s9
	v_or_b32_e32 v164, 24, v152
	v_or_b32_e32 v165, 26, v152
	v_mul_f32_e32 v173, s36, v131
	v_cndmask_b32_e64 v140, 0xff7fffff, v175, s10
	v_cndmask_b32_e64 v141, 0xff7fffff, v174, s11
	v_max3_f32 v137, v139, v138, v137
	v_cmp_gt_i32_e64 s12, s30, v162
	v_cmp_gt_i32_e64 s13, s30, v163
	v_or_b32_e32 v166, 28, v152
	v_or_b32_e32 v167, 30, v152
	v_dual_mul_f32 v170, s36, v134 :: v_dual_mul_f32 v171, s36, v133
	v_cndmask_b32_e64 v138, 0xff7fffff, v173, s12
	v_cndmask_b32_e64 v139, 0xff7fffff, v172, s13
	v_max3_f32 v137, v137, v140, v141
	v_cmp_gt_i32_e64 s15, s30, v164
	v_cmp_gt_i32_e64 s16, s30, v165
	v_dual_mul_f32 v168, s36, v136 :: v_dual_mul_f32 v169, s36, v135
	s_delay_alu instid0(VALU_DEP_4) | instskip(NEXT) | instid1(VALU_DEP_4)
	v_max3_f32 v137, v137, v138, v139
	v_cndmask_b32_e64 v140, 0xff7fffff, v171, s15
	s_delay_alu instid0(VALU_DEP_4) | instskip(SKIP_2) | instid1(VALU_DEP_3)
	v_cndmask_b32_e64 v141, 0xff7fffff, v170, s16
	v_cmp_gt_i32_e64 s17, s30, v166
	v_cmp_gt_i32_e64 s18, s30, v167
	v_max3_f32 v137, v137, v140, v141
	s_delay_alu instid0(VALU_DEP_3) | instskip(NEXT) | instid1(VALU_DEP_3)
	v_cndmask_b32_e64 v138, 0xff7fffff, v169, s17
	v_cndmask_b32_e64 v139, 0xff7fffff, v168, s18
	s_delay_alu instid0(VALU_DEP_1) | instskip(SKIP_3) | instid1(VALU_DEP_1)
	v_max3_f32 v137, v137, v138, v139
	ds_bpermute_b32 v138, v160, v137
	s_waitcnt lgkmcnt(0)
	v_max_f32_e32 v138, v138, v138
	v_max_f32_e32 v137, v137, v138
	s_delay_alu instid0(VALU_DEP_1) | instskip(SKIP_4) | instid1(VALU_DEP_4)
	v_fma_f32 v143, s36, v187, -v137
	v_fma_f32 v130, s36, v130, -v137
	;; [unrolled: 1-line block ×5, first 2 shown]
	v_dual_mul_f32 v143, 0x3fb8aa3b, v143 :: v_dual_mul_f32 v130, 0x3fb8aa3b, v130
	s_delay_alu instid0(VALU_DEP_4) | instskip(SKIP_2) | instid1(VALU_DEP_4)
	v_mul_f32_e32 v140, 0x3fb8aa3b, v140
	v_fma_f32 v152, s36, v189, -v137
	v_fma_f32 v139, s36, v184, -v137
	v_exp_f32_e32 v143, v143
	v_mul_f32_e32 v138, 0x3fb8aa3b, v138
	v_exp_f32_e32 v140, v140
	v_mul_f32_e32 v152, 0x3fb8aa3b, v152
	v_fma_f32 v153, s36, v190, -v137
	v_fma_f32 v144, s36, v188, -v137
	v_exp_f32_e32 v138, v138
	v_fma_f32 v129, s36, v129, -v137
	v_exp_f32_e32 v152, v152
	v_fma_f32 v134, s36, v134, -v137
	v_cndmask_b32_e64 v143, 0, v143, s6
	v_dual_mul_f32 v141, 0x3fb8aa3b, v141 :: v_dual_mul_f32 v144, 0x3fb8aa3b, v144
	v_fma_f32 v132, s36, v132, -v137
	s_delay_alu instid0(VALU_DEP_4) | instskip(NEXT) | instid1(VALU_DEP_3)
	v_dual_mul_f32 v129, 0x3fb8aa3b, v129 :: v_dual_mul_f32 v134, 0x3fb8aa3b, v134
	v_exp_f32_e32 v151, v141
	v_cndmask_b32_e64 v141, 0, v140, s4
	s_delay_alu instid0(VALU_DEP_3)
	v_dual_mul_f32 v132, 0x3fb8aa3b, v132 :: v_dual_mul_f32 v139, 0x3fb8aa3b, v139
	v_exp_f32_e32 v144, v144
	v_exp_f32_e32 v129, v129
	;; [unrolled: 1-line block ×3, first 2 shown]
	v_fma_f32 v131, s36, v131, -v137
	v_exp_f32_e32 v142, v139
	v_exp_f32_e32 v132, v132
	v_cndmask_b32_e64 v140, 0, v151, s5
	v_mul_f32_e32 v151, 0x3fb8aa3b, v153
	v_fma_f32 v133, s36, v133, -v137
	s_delay_alu instid0(VALU_DEP_2) | instskip(SKIP_2) | instid1(TRANS32_DEP_3)
	v_exp_f32_e32 v154, v151
	v_cndmask_b32_e64 v151, 0, v152, s8
	v_cndmask_b32_e32 v139, 0, v138, vcc_lo
	v_cndmask_b32_e64 v138, 0, v142, s3
	s_mov_b32 s3, exec_lo
	s_delay_alu instid0(VALU_DEP_2) | instskip(NEXT) | instid1(VALU_DEP_1)
	v_add_f32_e32 v142, 0, v139
	v_add_f32_e32 v142, v142, v138
	s_delay_alu instid0(VALU_DEP_1) | instskip(NEXT) | instid1(VALU_DEP_1)
	v_add_f32_e32 v142, v142, v141
	v_add_f32_e32 v153, v142, v140
	v_cndmask_b32_e64 v142, 0, v144, s7
	s_delay_alu instid0(VALU_DEP_2) | instskip(SKIP_1) | instid1(VALU_DEP_2)
	v_add_f32_e32 v144, v153, v143
	v_cndmask_b32_e64 v153, 0, v129, s10
	v_add_f32_e32 v152, v144, v142
	v_cndmask_b32_e64 v144, 0, v154, s9
	v_cndmask_b32_e64 v154, 0, v132, s13
	v_fma_f32 v132, s36, v136, -v137
	s_delay_alu instid0(VALU_DEP_4) | instskip(NEXT) | instid1(VALU_DEP_2)
	v_dual_mul_f32 v133, 0x3fb8aa3b, v133 :: v_dual_add_f32 v152, v152, v151
	v_mul_f32_e32 v132, 0x3fb8aa3b, v132
	s_delay_alu instid0(VALU_DEP_2) | instskip(NEXT) | instid1(VALU_DEP_2)
	v_exp_f32_e32 v133, v133
	v_add_f32_e32 v129, v152, v144
	v_cndmask_b32_e64 v152, 0, v130, s11
	v_fma_f32 v130, s36, v135, -v137
	v_mul_f32_e32 v131, 0x3fb8aa3b, v131
	s_delay_alu instid0(VALU_DEP_2) | instskip(NEXT) | instid1(VALU_DEP_2)
	v_dual_add_f32 v129, v129, v153 :: v_dual_mul_f32 v130, 0x3fb8aa3b, v130
	v_exp_f32_e32 v131, v131
	s_delay_alu instid0(TRANS32_DEP_2) | instskip(NEXT) | instid1(VALU_DEP_2)
	v_cndmask_b32_e64 v157, 0, v133, s15
	v_add_f32_e32 v129, v129, v152
	s_delay_alu instid0(VALU_DEP_3) | instskip(SKIP_4) | instid1(VALU_DEP_2)
	v_exp_f32_e32 v130, v130
	s_waitcnt_depctr 0xfff
	v_cndmask_b32_e64 v155, 0, v131, s12
	v_exp_f32_e32 v131, v134
	v_cndmask_b32_e64 v159, 0, v130, s17
	v_add_f32_e32 v129, v129, v155
	s_delay_alu instid0(VALU_DEP_1) | instskip(SKIP_4) | instid1(VALU_DEP_1)
	v_add_f32_e32 v129, v129, v154
	s_waitcnt_depctr 0xfff
	v_cndmask_b32_e64 v156, 0, v131, s16
	v_exp_f32_e32 v131, v132
	v_add_f32_e32 v129, v129, v157
	v_add_f32_e32 v129, v129, v156
	s_waitcnt_depctr 0xfff
	v_cndmask_b32_e64 v158, 0, v131, s18
	v_add_f32_e32 v129, v129, v159
	s_delay_alu instid0(VALU_DEP_1)
	v_add_f32_e32 v129, v129, v158
	ds_bpermute_b32 v130, v160, v129
	v_cmpx_gt_u32_e32 16, v150
	s_cbranch_execz .LBB65_12
; %bb.11:
	v_mul_u32_u24_e32 v131, 0x44, v148
	s_delay_alu instid0(VALU_DEP_1) | instskip(SKIP_1) | instid1(VALU_DEP_1)
	v_lshl_add_u32 v131, v149, 2, v131
	s_waitcnt lgkmcnt(0)
	v_dual_add_f32 v129, v129, v130 :: v_dual_add_nc_u32 v130, 0x4000, v131
	ds_store_2addr_b32 v130, v137, v129 offset1:136
.LBB65_12:
	s_or_b32 exec_lo, exec_lo, s3
	v_lshlrev_b32_e32 v129, 2, v149
	s_load_b32 s35, s[0:1], 0x94
	s_waitcnt lgkmcnt(0)
	s_barrier
	buffer_gl0_inv
	v_add_nc_u32_e32 v135, 0x4000, v129
	v_cmp_eq_u32_e32 vcc_lo, 1, v148
	v_cmp_eq_u32_e64 s3, 2, v148
	v_cmp_eq_u32_e64 s4, 3, v148
	;; [unrolled: 1-line block ×3, first 2 shown]
	ds_load_2addr_b32 v[129:130], v135 offset1:17
	ds_load_2addr_b32 v[131:132], v135 offset0:34 offset1:51
	ds_load_2addr_b32 v[133:134], v135 offset0:68 offset1:85
	;; [unrolled: 1-line block ×4, first 2 shown]
	v_cmp_eq_u32_e64 s6, 5, v148
	v_cmp_eq_u32_e64 s7, 7, v148
	s_waitcnt lgkmcnt(4)
	v_max3_f32 v136, v129, 0xff7fffff, v130
	s_waitcnt lgkmcnt(3)
	s_delay_alu instid0(VALU_DEP_1) | instskip(SKIP_1) | instid1(VALU_DEP_1)
	v_max3_f32 v136, v136, v131, v132
	s_waitcnt lgkmcnt(2)
	v_max3_f32 v136, v136, v133, v134
	s_waitcnt lgkmcnt(1)
	s_delay_alu instid0(VALU_DEP_1) | instskip(NEXT) | instid1(VALU_DEP_1)
	v_max3_f32 v136, v136, v160, v161
	v_sub_f32_e32 v129, v129, v136
	v_sub_f32_e32 v137, v130, v136
	;; [unrolled: 1-line block ×4, first 2 shown]
	s_delay_alu instid0(VALU_DEP_4) | instskip(NEXT) | instid1(VALU_DEP_3)
	v_dual_sub_f32 v133, v133, v136 :: v_dual_mul_f32 v150, 0x3fb8aa3b, v129
	v_dual_mul_f32 v137, 0x3fb8aa3b, v137 :: v_dual_mul_f32 v164, 0x3fb8aa3b, v164
	s_delay_alu instid0(VALU_DEP_2) | instskip(NEXT) | instid1(VALU_DEP_3)
	v_mul_f32_e32 v167, 0x3fb8aa3b, v133
	v_exp_f32_e32 v150, v150
	s_delay_alu instid0(VALU_DEP_2) | instskip(SKIP_2) | instid1(VALU_DEP_1)
	v_exp_f32_e32 v166, v137
	v_mul_f32_e32 v165, 0x3fb8aa3b, v131
	v_exp_f32_e32 v164, v164
	v_exp_f32_e32 v165, v165
	s_waitcnt lgkmcnt(0)
	v_fma_f32 v137, v150, v162, 0
	v_sub_f32_e32 v162, v134, v136
	ds_load_2addr_b32 v[129:130], v135 offset0:170 offset1:187
	ds_load_2addr_b32 v[131:132], v135 offset0:204 offset1:221
	ds_load_2addr_b32 v[133:134], v135 offset0:238 offset1:255
	v_fmac_f32_e32 v137, v166, v163
	v_dual_sub_f32 v135, v160, v136 :: v_dual_mul_f32 v160, 0x3fb8aa3b, v162
	v_exp_f32_e32 v162, v167
	s_waitcnt lgkmcnt(0)
	s_barrier
	s_delay_alu instid0(VALU_DEP_1)
	v_mul_f32_e32 v135, 0x3fb8aa3b, v135
	v_exp_f32_e32 v160, v160
	buffer_gl0_inv
	v_fmac_f32_e32 v137, v165, v129
	v_sub_f32_e32 v129, v161, v136
	v_exp_f32_e32 v161, v135
	s_delay_alu instid0(VALU_DEP_2) | instskip(NEXT) | instid1(VALU_DEP_2)
	v_fmac_f32_e32 v137, v164, v130
	v_dual_mul_f32 v129, 0x3fb8aa3b, v129 :: v_dual_cndmask_b32 v130, v150, v166
	s_delay_alu instid0(VALU_DEP_2) | instskip(NEXT) | instid1(VALU_DEP_2)
	v_fmac_f32_e32 v137, v162, v131
	v_exp_f32_e32 v163, v129
	s_delay_alu instid0(VALU_DEP_1) | instskip(SKIP_3) | instid1(VALU_DEP_2)
	v_fmac_f32_e32 v137, v160, v132
	s_waitcnt_depctr 0xfff
	v_fmac_f32_e32 v137, v161, v133
	v_lshlrev_b32_e32 v133, 6, v149
	v_fmac_f32_e32 v137, v163, v134
	s_delay_alu instid0(VALU_DEP_2) | instskip(NEXT) | instid1(VALU_DEP_2)
	v_lshl_or_b32 v135, v148, 11, v133
	v_add_f32_e32 v134, 0x358637bd, v137
	s_delay_alu instid0(VALU_DEP_1) | instskip(SKIP_1) | instid1(VALU_DEP_2)
	v_div_scale_f32 v167, null, v134, v134, 1.0
	v_div_scale_f32 v150, vcc_lo, 1.0, v134, 1.0
	v_rcp_f32_e32 v168, v167
	s_waitcnt_depctr 0xfff
	v_fma_f32 v129, -v167, v168, 1.0
	s_delay_alu instid0(VALU_DEP_1) | instskip(SKIP_2) | instid1(VALU_DEP_3)
	v_fmac_f32_e32 v168, v129, v168
	v_cndmask_b32_e64 v129, v130, v165, s3
	v_cmp_eq_u32_e64 s3, 6, v148
	v_mul_f32_e32 v165, v150, v168
	s_delay_alu instid0(VALU_DEP_3) | instskip(SKIP_1) | instid1(VALU_DEP_3)
	v_cndmask_b32_e64 v130, v129, v164, s4
	v_lshlrev_b32_e32 v129, 2, v147
	v_fma_f32 v131, -v167, v165, v150
	s_delay_alu instid0(VALU_DEP_3) | instskip(NEXT) | instid1(VALU_DEP_3)
	v_cndmask_b32_e64 v149, v130, v162, s5
	v_or_b32_e32 v130, 1, v129
	v_or_b32_e32 v132, 2, v129
	v_cmp_eq_u32_e64 s4, 1, v129
	v_fmac_f32_e32 v165, v131, v168
	v_cndmask_b32_e64 v148, v149, v160, s6
	v_or_b32_e32 v131, 3, v129
	v_cmp_eq_u32_e64 s9, 1, v130
	v_cmp_eq_u32_e64 s10, 1, v132
	v_fma_f32 v149, -v167, v165, v150
	v_cndmask_b32_e64 v148, v148, v161, s3
	v_cmp_eq_u32_e64 s11, 1, v131
	v_cmp_eq_u32_e64 s5, 2, v129
	;; [unrolled: 1-line block ×3, first 2 shown]
	v_div_fmas_f32 v149, v149, v168, v165
	v_cndmask_b32_e64 v148, v148, v163, s7
	v_cmp_eq_u32_e64 s15, 2, v132
	v_cmp_eq_u32_e64 s16, 2, v131
	v_cmp_eq_u32_e32 vcc_lo, 3, v129
	v_div_fixup_f32 v149, v149, v134, 1.0
	v_lshl_or_b32 v134, v147, 4, v135
	v_cmp_eq_u32_e64 s13, 3, v130
	v_cmp_eq_u32_e64 s18, 3, v131
	v_cmp_eq_u32_e64 s3, 4, v129
	v_mul_f32_e32 v164, v148, v149
	v_cmp_eq_u32_e64 s17, 3, v132
	v_cmp_eq_u32_e64 s19, 4, v130
	;; [unrolled: 1-line block ×4, first 2 shown]
	v_fma_mixlo_f16 v148, v164, v139, 0
	v_fma_mixlo_f16 v149, v164, v141, 0
	;; [unrolled: 1-line block ×8, first 2 shown]
	v_fma_mixhi_f16 v148, v164, v138, 0
	v_fma_mixhi_f16 v149, v164, v140, 0
	;; [unrolled: 1-line block ×8, first 2 shown]
	ds_store_b128 v134, v[148:151]
	ds_store_b128 v134, v[160:163] offset:1024
	s_waitcnt lgkmcnt(0)
	s_barrier
	buffer_gl0_inv
	ds_load_b128 v[138:141], v135
	ds_load_b128 v[148:151], v135 offset:16
	ds_load_b128 v[152:155], v135 offset:1024
	;; [unrolled: 1-line block ×3, first 2 shown]
	v_cmp_eq_u32_e64 s20, 5, v130
	v_cmp_eq_u32_e64 s21, 4, v132
	v_cmp_eq_u32_e64 s24, 5, v131
	v_cmp_eq_u32_e64 s7, 6, v129
	v_cmp_eq_u32_e64 s23, 5, v132
	v_cmp_eq_u32_e64 s25, 6, v130
	v_cmp_eq_u32_e64 s27, 6, v131
	v_cmp_eq_u32_e64 s8, 7, v129
	v_cmp_eq_u32_e64 s26, 6, v132
	v_cmp_eq_u32_e64 s29, 7, v131
	v_cmp_eq_u32_e64 s30, 7, v130
	v_cmp_eq_u32_e64 s28, 7, v132
	s_waitcnt lgkmcnt(3)
	v_lshrrev_b32_e32 v142, 16, v138
	s_waitcnt lgkmcnt(2)
	v_lshrrev_b32_e32 v161, 16, v148
	;; [unrolled: 2-line block ×4, first 2 shown]
	v_lshrrev_b32_e32 v143, 16, v139
	v_cndmask_b32_e64 v173, v138, v142, s4
	v_cndmask_b32_e64 v174, v148, v161, s4
	;; [unrolled: 1-line block ×7, first 2 shown]
	v_lshrrev_b32_e32 v162, 16, v149
	v_cndmask_b32_e64 v178, v148, v161, s10
	v_cndmask_b32_e64 v148, v152, v165, s4
	;; [unrolled: 1-line block ×16, first 2 shown]
	v_lshrrev_b32_e32 v166, 16, v153
	v_lshrrev_b32_e32 v170, 16, v157
	v_cndmask_b32_e64 v176, v178, v149, s15
	v_cndmask_b32_e64 v142, v148, v153, s5
	;; [unrolled: 1-line block ×7, first 2 shown]
	v_cndmask_b32_e32 v156, v165, v143, vcc_lo
	v_cndmask_b32_e32 v165, v169, v162, vcc_lo
	v_cndmask_b32_e64 v169, v173, v143, s13
	v_cndmask_b32_e64 v173, v174, v162, s13
	v_cndmask_b32_e64 v138, v138, v143, s18
	v_cndmask_b32_e64 v139, v139, v162, s18
	v_lshrrev_b32_e32 v144, 16, v140
	v_lshrrev_b32_e32 v163, 16, v150
	v_cndmask_b32_e64 v174, v175, v143, s17
	v_cndmask_b32_e64 v175, v176, v162, s17
	v_cndmask_b32_e32 v142, v142, v166, vcc_lo
	v_cndmask_b32_e32 v143, v148, v170, vcc_lo
	v_cndmask_b32_e64 v148, v149, v166, s13
	v_cndmask_b32_e64 v149, v156, v140, s3
	;; [unrolled: 1-line block ×7, first 2 shown]
	v_lshrrev_b32_e32 v167, 16, v154
	v_cndmask_b32_e64 v169, v174, v140, s21
	v_cndmask_b32_e64 v173, v175, v150, s21
	;; [unrolled: 1-line block ×11, first 2 shown]
	v_lshrrev_b32_e32 v160, 16, v141
	v_lshrrev_b32_e32 v164, 16, v151
	v_cndmask_b32_e64 v162, v169, v144, s23
	v_cndmask_b32_e64 v165, v173, v163, s23
	v_cndmask_b32_e64 v143, v143, v167, s20
	v_cndmask_b32_e64 v144, v148, v141, s7
	v_cndmask_b32_e64 v148, v149, v151, s7
	v_cndmask_b32_e64 v149, v150, v141, s25
	v_cndmask_b32_e64 v150, v156, v151, s25
	v_cndmask_b32_e64 v138, v138, v141, s27
	v_cndmask_b32_e64 v139, v139, v151, s27
	v_lshrrev_b32_e32 v168, 16, v155
	v_cndmask_b32_e64 v140, v140, v167, s6
	v_cndmask_b32_e64 v156, v162, v141, s26
	;; [unrolled: 1-line block ×14, first 2 shown]
	v_perm_b32 v141, v139, v138, 0x5040100
	v_perm_b32 v139, v150, v148, 0x5040100
	v_cndmask_b32_e64 v138, v182, v157, s15
	v_cndmask_b32_e64 v148, v180, v157, s12
	;; [unrolled: 1-line block ×3, first 2 shown]
	v_perm_b32 v140, v151, v149, 0x5040100
	v_cndmask_b32_e64 v149, v161, v166, s17
	v_cndmask_b32_e64 v150, v152, v166, s18
	;; [unrolled: 1-line block ×5, first 2 shown]
	v_lshrrev_b32_e32 v171, 16, v158
	v_cndmask_b32_e64 v149, v149, v154, s21
	v_cndmask_b32_e64 v150, v150, v154, s22
	;; [unrolled: 1-line block ×11, first 2 shown]
	v_lshrrev_b32_e32 v172, 16, v159
	v_cndmask_b32_e64 v142, v142, v159, s7
	v_cndmask_b32_e64 v149, v149, v155, s26
	;; [unrolled: 1-line block ×12, first 2 shown]
	v_perm_b32 v138, v144, v143, 0x5040100
	v_perm_b32 v151, v151, v150, 0x5040100
	;; [unrolled: 1-line block ×5, first 2 shown]
	s_lshl_b32 s7, s33, 3
	s_mov_b32 s3, exec_lo
	ds_store_b128 v134, v[138:141]
	ds_store_b128 v134, v[148:151] offset:1024
	v_cmpx_gt_u32_e32 8, v0
	s_cbranch_execz .LBB65_14
; %bb.13:
	v_or_b32_e32 v138, s31, v0
	s_load_b128 s[8:11], s[0:1], 0x58
	s_delay_alu instid0(VALU_DEP_1) | instskip(NEXT) | instid1(VALU_DEP_1)
	v_mad_u64_u32 v[139:140], null, s7, s34, v[138:139]
	v_mad_u64_u32 v[140:141], null, v139, s35, s[14:15]
	s_delay_alu instid0(VALU_DEP_1) | instskip(NEXT) | instid1(VALU_DEP_1)
	v_ashrrev_i32_e32 v141, 31, v140
	v_lshlrev_b64 v[138:139], 2, v[140:141]
	s_waitcnt lgkmcnt(0)
	s_delay_alu instid0(VALU_DEP_1) | instskip(NEXT) | instid1(VALU_DEP_2)
	v_add_co_u32 v140, vcc_lo, s10, v138
	v_add_co_ci_u32_e32 v141, vcc_lo, s11, v139, vcc_lo
	v_add_co_u32 v138, vcc_lo, s8, v138
	v_add_co_ci_u32_e32 v139, vcc_lo, s9, v139, vcc_lo
	global_store_b32 v[140:141], v136, off
	global_store_b32 v[138:139], v137, off
.LBB65_14:
	s_or_b32 exec_lo, exec_lo, s3
	s_waitcnt lgkmcnt(0)
	s_waitcnt_vscnt null, 0x0
	s_barrier
	buffer_gl0_inv
	ds_load_b128 v[148:151], v133
	ds_load_b128 v[152:155], v133 offset:16
	ds_load_b128 v[160:163], v133 offset:1040
	;; [unrolled: 1-line block ×5, first 2 shown]
	v_cmp_eq_u32_e32 vcc_lo, 1, v132
	v_mov_b32_e32 v136, 0
	ds_load_b128 v[176:179], v133 offset:3088
	ds_load_b128 v[172:175], v133 offset:3072
	;; [unrolled: 1-line block ×4, first 2 shown]
	v_cmp_eq_u32_e64 s3, 1, v129
	v_cmp_eq_u32_e64 s4, 1, v131
	;; [unrolled: 1-line block ×3, first 2 shown]
	v_mov_b32_e32 v137, v136
	v_mov_b32_e32 v138, v136
	;; [unrolled: 1-line block ×7, first 2 shown]
	v_cmp_eq_u32_e64 s6, 2, v129
	s_waitcnt lgkmcnt(8)
	s_delay_alu instid0(VALU_DEP_2)
	v_wmma_f32_16x16x16_f16 v[136:143], v[121:128], v[148:155], v[136:143]
	ds_load_b128 v[125:128], v133 offset:5136
	ds_load_b128 v[121:124], v133 offset:5120
	s_waitcnt lgkmcnt(8)
	v_wmma_f32_16x16x16_f16 v[136:143], v[113:120], v[156:163], v[136:143]
	ds_load_b128 v[117:120], v133 offset:6160
	ds_load_b128 v[113:116], v133 offset:6144
	s_waitcnt lgkmcnt(8)
	;; [unrolled: 4-line block ×11, first 2 shown]
	s_barrier
	buffer_gl0_inv
	v_wmma_f32_16x16x16_f16 v[136:143], v[1:8], v[73:80], v[136:143]
	s_delay_alu instid0(VALU_DEP_1) | instskip(NEXT) | instid1(VALU_DEP_1)
	v_wmma_f32_16x16x16_f16 v[136:143], v[9:16], v[65:72], v[136:143]
	v_wmma_f32_16x16x16_f16 v[136:143], v[33:40], v[57:64], v[136:143]
	s_delay_alu instid0(VALU_DEP_1) | instskip(NEXT) | instid1(VALU_DEP_1)
	v_wmma_f32_16x16x16_f16 v[136:143], v[41:48], v[49:56], v[136:143]
	v_wmma_f32_16x16x16_f16 v[136:143], v[17:24], v[25:32], v[136:143]
	s_delay_alu instid0(VALU_DEP_1) | instskip(NEXT) | instid1(VALU_DEP_2)
	v_cvt_f16_f32_e64 v1, v136
	v_cvt_f16_f32_e64 v2, v137
	s_delay_alu instid0(VALU_DEP_3) | instskip(NEXT) | instid1(VALU_DEP_4)
	v_cvt_f16_f32_e64 v3, v138
	v_cvt_f16_f32_e64 v4, v139
	;; [unrolled: 1-line block ×6, first 2 shown]
	v_pack_b32_f16 v1, v1, v2
	v_pack_b32_f16 v2, v3, v4
	;; [unrolled: 1-line block ×3, first 2 shown]
	s_delay_alu instid0(VALU_DEP_4)
	v_pack_b32_f16 v4, v7, v8
	ds_store_b128 v134, v[1:4]
	s_waitcnt lgkmcnt(0)
	s_barrier
	buffer_gl0_inv
	ds_load_b128 v[1:4], v135
	ds_load_b128 v[5:8], v135 offset:16
	s_waitcnt lgkmcnt(1)
	v_lshrrev_b32_e32 v9, 16, v1
	s_waitcnt lgkmcnt(0)
	v_lshrrev_b32_e32 v13, 16, v5
	v_lshrrev_b32_e32 v10, 16, v2
	;; [unrolled: 1-line block ×4, first 2 shown]
	v_cndmask_b32_e64 v17, v1, v9, s3
	v_cndmask_b32_e64 v18, v5, v13, s3
	;; [unrolled: 1-line block ×3, first 2 shown]
	v_cmp_eq_u32_e64 s3, 2, v130
	v_cndmask_b32_e64 v20, v5, v13, s5
	v_cndmask_b32_e32 v21, v1, v9, vcc_lo
	v_cndmask_b32_e32 v22, v5, v13, vcc_lo
	v_cndmask_b32_e64 v1, v1, v9, s4
	v_cndmask_b32_e64 v5, v5, v13, s4
	v_cmp_eq_u32_e32 vcc_lo, 2, v132
	v_cmp_eq_u32_e64 s4, 2, v131
	v_cndmask_b32_e64 v9, v17, v2, s6
	v_cndmask_b32_e64 v13, v18, v6, s6
	;; [unrolled: 1-line block ×4, first 2 shown]
	v_cndmask_b32_e32 v19, v21, v2, vcc_lo
	v_cmp_eq_u32_e64 s3, 3, v132
	v_cndmask_b32_e32 v20, v22, v6, vcc_lo
	v_cndmask_b32_e64 v1, v1, v2, s4
	v_cmp_eq_u32_e32 vcc_lo, 3, v131
	v_cmp_eq_u32_e64 s5, 3, v129
	v_cndmask_b32_e64 v2, v5, v6, s4
	v_cmp_eq_u32_e64 s4, 3, v130
	v_cmp_eq_u32_e64 s6, 4, v129
	v_cndmask_b32_e32 v1, v1, v10, vcc_lo
	v_cndmask_b32_e64 v5, v9, v10, s5
	v_cndmask_b32_e64 v6, v13, v14, s5
	;; [unrolled: 1-line block ×3, first 2 shown]
	v_cmp_eq_u32_e64 s5, 4, v130
	v_cndmask_b32_e64 v13, v18, v14, s4
	v_cndmask_b32_e64 v17, v19, v10, s3
	;; [unrolled: 1-line block ×3, first 2 shown]
	v_cndmask_b32_e32 v2, v2, v14, vcc_lo
	v_cmp_eq_u32_e32 vcc_lo, 4, v132
	v_cmp_eq_u32_e64 s4, 4, v131
	v_lshrrev_b32_e32 v15, 16, v7
	v_cndmask_b32_e64 v5, v5, v3, s6
	v_cndmask_b32_e64 v6, v6, v7, s6
	v_cndmask_b32_e32 v14, v18, v7, vcc_lo
	v_cndmask_b32_e64 v9, v9, v3, s5
	v_cndmask_b32_e64 v10, v13, v7, s5
	v_cndmask_b32_e32 v13, v17, v3, vcc_lo
	v_cmp_eq_u32_e64 s3, 5, v132
	v_cndmask_b32_e64 v1, v1, v3, s4
	v_cmp_eq_u32_e32 vcc_lo, 5, v131
	v_cmp_eq_u32_e64 s5, 5, v129
	v_cndmask_b32_e64 v2, v2, v7, s4
	v_cmp_eq_u32_e64 s4, 5, v130
	v_cmp_eq_u32_e64 s6, 6, v129
	v_lshrrev_b32_e32 v12, 16, v4
	v_cndmask_b32_e64 v3, v5, v11, s5
	v_cndmask_b32_e64 v5, v6, v15, s5
	;; [unrolled: 1-line block ×3, first 2 shown]
	v_cmp_eq_u32_e64 s5, 6, v130
	v_cndmask_b32_e64 v7, v10, v15, s4
	v_cndmask_b32_e64 v9, v13, v11, s3
	;; [unrolled: 1-line block ×3, first 2 shown]
	v_cndmask_b32_e32 v1, v1, v11, vcc_lo
	v_cndmask_b32_e32 v2, v2, v15, vcc_lo
	v_cmp_eq_u32_e32 vcc_lo, 6, v132
	v_cmp_eq_u32_e64 s3, 6, v131
	v_lshrrev_b32_e32 v16, 16, v8
	v_cndmask_b32_e64 v3, v3, v4, s6
	v_cndmask_b32_e64 v5, v5, v8, s6
	v_cndmask_b32_e32 v9, v9, v4, vcc_lo
	v_cndmask_b32_e64 v6, v6, v4, s5
	v_cndmask_b32_e64 v7, v7, v8, s5
	v_cmp_eq_u32_e64 s4, 7, v132
	v_cndmask_b32_e32 v10, v10, v8, vcc_lo
	v_cndmask_b32_e64 v1, v1, v4, s3
	v_cmp_eq_u32_e32 vcc_lo, 7, v131
	v_cndmask_b32_e64 v2, v2, v8, s3
	v_cmp_eq_u32_e64 s3, 7, v129
	v_cmp_eq_u32_e64 s5, 7, v130
	v_cndmask_b32_e32 v1, v1, v12, vcc_lo
	s_delay_alu instid0(VALU_DEP_4) | instskip(NEXT) | instid1(VALU_DEP_4)
	v_cndmask_b32_e32 v2, v2, v16, vcc_lo
	v_cndmask_b32_e64 v8, v3, v12, s3
	s_delay_alu instid0(VALU_DEP_4)
	v_cndmask_b32_e64 v6, v6, v12, s5
	v_cndmask_b32_e64 v3, v9, v12, s4
	;; [unrolled: 1-line block ×5, first 2 shown]
	v_cmp_gt_u32_e32 vcc_lo, 32, v0
	v_perm_b32 v4, v2, v1, 0x5040100
	v_perm_b32 v3, v9, v3, 0x5040100
	;; [unrolled: 1-line block ×4, first 2 shown]
	s_and_b32 s2, vcc_lo, s2
	ds_store_b128 v134, v[1:4]
	s_waitcnt lgkmcnt(0)
	s_barrier
	buffer_gl0_inv
	s_and_saveexec_b32 s3, s2
	s_cbranch_execz .LBB65_2
; %bb.15:
	s_load_b64 s[0:1], s[0:1], 0x68
	s_lshl_b32 s4, s35, 6
	v_or_b32_e32 v2, s31, v147
	s_mul_i32 s2, s4, s34
	v_lshlrev_b32_e32 v1, 10, v0
	s_mul_i32 s2, s2, s7
	v_lshlrev_b32_e32 v3, 4, v146
	v_mul_lo_u32 v0, v2, s4
	s_ashr_i32 s3, s2, 31
	v_lshlrev_b32_e32 v4, 6, v147
	v_and_b32_e32 v1, 0x3800, v1
	v_or_b32_e32 v5, 2, v2
	s_lshl_b64 s[2:3], s[2:3], 1
	v_or_b32_e32 v6, 4, v2
	v_or_b32_e32 v7, 6, v2
	v_or3_b32 v12, v1, v3, v4
	v_ashrrev_i32_e32 v1, 31, v0
	v_mul_lo_u32 v2, v5, s4
	v_mul_lo_u32 v16, v6, s4
	;; [unrolled: 1-line block ×3, first 2 shown]
	s_waitcnt lgkmcnt(0)
	s_add_u32 s2, s0, s2
	s_addc_u32 s3, s1, s3
	s_lshl_b32 s0, s14, 6
	v_lshlrev_b64 v[0:1], 1, v[0:1]
	s_ashr_i32 s1, s0, 31
	v_ashrrev_i32_e32 v3, 31, v2
	s_lshl_b64 s[0:1], s[0:1], 1
	v_ashrrev_i32_e32 v17, 31, v16
	s_add_u32 s0, s2, s0
	s_addc_u32 s1, s3, s1
	v_add_co_u32 v24, s0, s0, v145
	s_delay_alu instid0(VALU_DEP_1) | instskip(SKIP_1) | instid1(VALU_DEP_3)
	v_add_co_ci_u32_e64 v25, null, s1, 0, s0
	v_lshlrev_b64 v[22:23], 1, v[2:3]
	v_add_co_u32 v18, vcc_lo, v24, v0
	s_delay_alu instid0(VALU_DEP_3)
	v_add_co_ci_u32_e32 v19, vcc_lo, v25, v1, vcc_lo
	ds_load_b128 v[0:3], v12
	ds_load_b128 v[4:7], v12 offset:128
	ds_load_b128 v[8:11], v12 offset:256
	;; [unrolled: 1-line block ×3, first 2 shown]
	v_ashrrev_i32_e32 v21, 31, v20
	v_lshlrev_b64 v[16:17], 1, v[16:17]
	v_add_co_u32 v22, vcc_lo, v24, v22
	v_add_co_ci_u32_e32 v23, vcc_lo, v25, v23, vcc_lo
	s_delay_alu instid0(VALU_DEP_4) | instskip(NEXT) | instid1(VALU_DEP_4)
	v_lshlrev_b64 v[20:21], 1, v[20:21]
	v_add_co_u32 v16, vcc_lo, v24, v16
	v_add_co_ci_u32_e32 v17, vcc_lo, v25, v17, vcc_lo
	s_delay_alu instid0(VALU_DEP_3) | instskip(NEXT) | instid1(VALU_DEP_4)
	v_add_co_u32 v20, vcc_lo, v24, v20
	v_add_co_ci_u32_e32 v21, vcc_lo, v25, v21, vcc_lo
	s_waitcnt lgkmcnt(3)
	global_store_b128 v[18:19], v[0:3], off
	s_waitcnt lgkmcnt(2)
	global_store_b128 v[22:23], v[4:7], off
	;; [unrolled: 2-line block ×4, first 2 shown]
	s_nop 0
	s_sendmsg sendmsg(MSG_DEALLOC_VGPRS)
	s_endpgm
	.section	.rodata,"a",@progbits
	.p2align	6, 0x0
	.amdhsa_kernel _Z39paged_attention_ll4mi_QKV_mfma16_kernelIDF16_DF16_LN4vllm18Fp8KVCacheDataTypeE0EDF16_Li16ELi64ELi256ELb1ELi8EL8MFMAType0EEvPKT_PKT0_S8_ifPKiSA_SA_iPKfiiiPfSD_PS3_PT2_iSC_SC_
		.amdhsa_group_segment_fixed_size 17472
		.amdhsa_private_segment_fixed_size 0
		.amdhsa_kernarg_size 400
		.amdhsa_user_sgpr_count 13
		.amdhsa_user_sgpr_dispatch_ptr 0
		.amdhsa_user_sgpr_queue_ptr 0
		.amdhsa_user_sgpr_kernarg_segment_ptr 1
		.amdhsa_user_sgpr_dispatch_id 0
		.amdhsa_user_sgpr_private_segment_size 0
		.amdhsa_wavefront_size32 1
		.amdhsa_uses_dynamic_stack 0
		.amdhsa_enable_private_segment 0
		.amdhsa_system_sgpr_workgroup_id_x 1
		.amdhsa_system_sgpr_workgroup_id_y 1
		.amdhsa_system_sgpr_workgroup_id_z 1
		.amdhsa_system_sgpr_workgroup_info 0
		.amdhsa_system_vgpr_workitem_id 0
		.amdhsa_next_free_vgpr 198
		.amdhsa_next_free_sgpr 52
		.amdhsa_reserve_vcc 1
		.amdhsa_float_round_mode_32 0
		.amdhsa_float_round_mode_16_64 0
		.amdhsa_float_denorm_mode_32 3
		.amdhsa_float_denorm_mode_16_64 3
		.amdhsa_dx10_clamp 1
		.amdhsa_ieee_mode 1
		.amdhsa_fp16_overflow 0
		.amdhsa_workgroup_processor_mode 1
		.amdhsa_memory_ordered 1
		.amdhsa_forward_progress 0
		.amdhsa_shared_vgpr_count 0
		.amdhsa_exception_fp_ieee_invalid_op 0
		.amdhsa_exception_fp_denorm_src 0
		.amdhsa_exception_fp_ieee_div_zero 0
		.amdhsa_exception_fp_ieee_overflow 0
		.amdhsa_exception_fp_ieee_underflow 0
		.amdhsa_exception_fp_ieee_inexact 0
		.amdhsa_exception_int_div_zero 0
	.end_amdhsa_kernel
	.section	.text._Z39paged_attention_ll4mi_QKV_mfma16_kernelIDF16_DF16_LN4vllm18Fp8KVCacheDataTypeE0EDF16_Li16ELi64ELi256ELb1ELi8EL8MFMAType0EEvPKT_PKT0_S8_ifPKiSA_SA_iPKfiiiPfSD_PS3_PT2_iSC_SC_,"axG",@progbits,_Z39paged_attention_ll4mi_QKV_mfma16_kernelIDF16_DF16_LN4vllm18Fp8KVCacheDataTypeE0EDF16_Li16ELi64ELi256ELb1ELi8EL8MFMAType0EEvPKT_PKT0_S8_ifPKiSA_SA_iPKfiiiPfSD_PS3_PT2_iSC_SC_,comdat
.Lfunc_end65:
	.size	_Z39paged_attention_ll4mi_QKV_mfma16_kernelIDF16_DF16_LN4vllm18Fp8KVCacheDataTypeE0EDF16_Li16ELi64ELi256ELb1ELi8EL8MFMAType0EEvPKT_PKT0_S8_ifPKiSA_SA_iPKfiiiPfSD_PS3_PT2_iSC_SC_, .Lfunc_end65-_Z39paged_attention_ll4mi_QKV_mfma16_kernelIDF16_DF16_LN4vllm18Fp8KVCacheDataTypeE0EDF16_Li16ELi64ELi256ELb1ELi8EL8MFMAType0EEvPKT_PKT0_S8_ifPKiSA_SA_iPKfiiiPfSD_PS3_PT2_iSC_SC_
                                        ; -- End function
	.section	.AMDGPU.csdata,"",@progbits
; Kernel info:
; codeLenInByte = 7812
; NumSgprs: 54
; NumVgprs: 198
; ScratchSize: 0
; MemoryBound: 0
; FloatMode: 240
; IeeeMode: 1
; LDSByteSize: 17472 bytes/workgroup (compile time only)
; SGPRBlocks: 6
; VGPRBlocks: 24
; NumSGPRsForWavesPerEU: 54
; NumVGPRsForWavesPerEU: 198
; Occupancy: 7
; WaveLimiterHint : 1
; COMPUTE_PGM_RSRC2:SCRATCH_EN: 0
; COMPUTE_PGM_RSRC2:USER_SGPR: 13
; COMPUTE_PGM_RSRC2:TRAP_HANDLER: 0
; COMPUTE_PGM_RSRC2:TGID_X_EN: 1
; COMPUTE_PGM_RSRC2:TGID_Y_EN: 1
; COMPUTE_PGM_RSRC2:TGID_Z_EN: 1
; COMPUTE_PGM_RSRC2:TIDIG_COMP_CNT: 0
	.section	.text._Z39paged_attention_ll4mi_QKV_mfma16_kernelIDF16_DF16_LN4vllm18Fp8KVCacheDataTypeE0EDF16_Li16ELi64ELi256ELb1ELi9EL8MFMAType0EEvPKT_PKT0_S8_ifPKiSA_SA_iPKfiiiPfSD_PS3_PT2_iSC_SC_,"axG",@progbits,_Z39paged_attention_ll4mi_QKV_mfma16_kernelIDF16_DF16_LN4vllm18Fp8KVCacheDataTypeE0EDF16_Li16ELi64ELi256ELb1ELi9EL8MFMAType0EEvPKT_PKT0_S8_ifPKiSA_SA_iPKfiiiPfSD_PS3_PT2_iSC_SC_,comdat
	.protected	_Z39paged_attention_ll4mi_QKV_mfma16_kernelIDF16_DF16_LN4vllm18Fp8KVCacheDataTypeE0EDF16_Li16ELi64ELi256ELb1ELi9EL8MFMAType0EEvPKT_PKT0_S8_ifPKiSA_SA_iPKfiiiPfSD_PS3_PT2_iSC_SC_ ; -- Begin function _Z39paged_attention_ll4mi_QKV_mfma16_kernelIDF16_DF16_LN4vllm18Fp8KVCacheDataTypeE0EDF16_Li16ELi64ELi256ELb1ELi9EL8MFMAType0EEvPKT_PKT0_S8_ifPKiSA_SA_iPKfiiiPfSD_PS3_PT2_iSC_SC_
	.globl	_Z39paged_attention_ll4mi_QKV_mfma16_kernelIDF16_DF16_LN4vllm18Fp8KVCacheDataTypeE0EDF16_Li16ELi64ELi256ELb1ELi9EL8MFMAType0EEvPKT_PKT0_S8_ifPKiSA_SA_iPKfiiiPfSD_PS3_PT2_iSC_SC_
	.p2align	8
	.type	_Z39paged_attention_ll4mi_QKV_mfma16_kernelIDF16_DF16_LN4vllm18Fp8KVCacheDataTypeE0EDF16_Li16ELi64ELi256ELb1ELi9EL8MFMAType0EEvPKT_PKT0_S8_ifPKiSA_SA_iPKfiiiPfSD_PS3_PT2_iSC_SC_,@function
_Z39paged_attention_ll4mi_QKV_mfma16_kernelIDF16_DF16_LN4vllm18Fp8KVCacheDataTypeE0EDF16_Li16ELi64ELi256ELb1ELi9EL8MFMAType0EEvPKT_PKT0_S8_ifPKiSA_SA_iPKfiiiPfSD_PS3_PT2_iSC_SC_: ; @_Z39paged_attention_ll4mi_QKV_mfma16_kernelIDF16_DF16_LN4vllm18Fp8KVCacheDataTypeE0EDF16_Li16ELi64ELi256ELb1ELi9EL8MFMAType0EEvPKT_PKT0_S8_ifPKiSA_SA_iPKfiiiPfSD_PS3_PT2_iSC_SC_
; %bb.0:
	s_load_b64 s[2:3], s[0:1], 0x30
	s_mov_b32 s34, s13
	s_waitcnt lgkmcnt(0)
	s_cmp_lg_u64 s[2:3], 0
	s_cselect_b32 s6, -1, 0
	s_ashr_i32 s35, s13, 31
	s_cmp_eq_u64 s[2:3], 0
	s_cbranch_scc1 .LBB66_3
; %bb.1:
	s_lshl_b64 s[4:5], s[34:35], 2
	s_delay_alu instid0(SALU_CYCLE_1) | instskip(SKIP_4) | instid1(SALU_CYCLE_1)
	s_add_u32 s4, s2, s4
	s_addc_u32 s5, s3, s5
	s_load_b64 s[4:5], s[4:5], 0x0
	s_waitcnt lgkmcnt(0)
	s_sub_i32 s4, s5, s4
	s_cmp_eq_u32 s4, 1
	s_cselect_b32 s4, -1, 0
	s_delay_alu instid0(SALU_CYCLE_1)
	s_and_not1_b32 vcc_lo, exec_lo, s4
	s_cbranch_vccz .LBB66_4
.LBB66_2:
	s_nop 0
	s_sendmsg sendmsg(MSG_DEALLOC_VGPRS)
	s_endpgm
.LBB66_3:
.LBB66_4:
	s_load_b64 s[8:9], s[0:1], 0x28
	s_lshl_b64 s[4:5], s[34:35], 2
	s_waitcnt lgkmcnt(0)
	s_add_u32 s8, s8, s4
	s_addc_u32 s9, s9, s5
	s_lshl_b32 s31, s14, 8
	s_load_b32 s30, s[8:9], 0x0
	s_waitcnt lgkmcnt(0)
	s_cmp_ge_i32 s31, s30
	s_cbranch_scc1 .LBB66_2
; %bb.5:
	s_clause 0x1
	s_load_b128 s[8:11], s[0:1], 0x8
	s_load_b64 s[12:13], s[0:1], 0x20
	s_and_not1_b32 vcc_lo, exec_lo, s6
	s_cbranch_vccnz .LBB66_7
; %bb.6:
	s_add_u32 s2, s2, s4
	s_addc_u32 s3, s3, s5
	s_load_b32 s3, s[2:3], 0x0
	s_branch .LBB66_8
.LBB66_7:
	s_mov_b32 s3, s34
.LBB66_8:
	s_load_b128 s[4:7], s[0:1], 0x48
	v_lshrrev_b32_e32 v149, 5, v0
	v_bfe_u32 v146, v0, 4, 1
	v_and_b32_e32 v148, 15, v0
	v_and_b32_e32 v150, 31, v0
	;; [unrolled: 1-line block ×3, first 2 shown]
	s_mul_i32 s33, s15, 9
	v_lshl_or_b32 v1, v149, 1, v146
	v_lshlrev_b32_e32 v2, 3, v148
	v_cmp_gt_u32_e64 s2, 8, v148
	s_delay_alu instid0(VALU_DEP_3) | instskip(NEXT) | instid1(VALU_DEP_3)
	v_cmp_gt_u32_e32 vcc_lo, 9, v1
	v_lshlrev_b32_e32 v145, 1, v2
	s_delay_alu instid0(VALU_DEP_3)
	s_and_b32 s16, s2, vcc_lo
	s_waitcnt lgkmcnt(0)
	s_and_saveexec_b32 s7, s16
	s_cbranch_execz .LBB66_10
; %bb.9:
	s_load_b64 s[16:17], s[0:1], 0x0
	v_add_lshl_u32 v2, v1, s33, 6
	s_mul_hi_i32 s19, s3, s4
	s_mul_i32 s18, s3, s4
	v_lshlrev_b32_e32 v6, 10, v148
	s_lshl_b64 s[18:19], s[18:19], 1
	v_ashrrev_i32_e32 v3, 31, v2
	v_lshlrev_b32_e32 v1, 6, v1
	v_lshlrev_b32_e32 v7, 10, v147
	v_and_b32_e32 v6, 0x3800, v6
	s_delay_alu instid0(VALU_DEP_4) | instskip(NEXT) | instid1(VALU_DEP_2)
	v_lshlrev_b64 v[2:3], 1, v[2:3]
	v_or3_b32 v1, v6, v7, v1
	s_waitcnt lgkmcnt(0)
	s_add_u32 s3, s16, s18
	s_addc_u32 s4, s17, s19
	s_delay_alu instid0(VALU_DEP_2) | instskip(SKIP_1) | instid1(VALU_DEP_2)
	v_add_co_u32 v2, vcc_lo, s3, v2
	v_add_co_ci_u32_e32 v3, vcc_lo, s4, v3, vcc_lo
	v_add_co_u32 v2, vcc_lo, v2, v145
	s_delay_alu instid0(VALU_DEP_2)
	v_add_co_ci_u32_e32 v3, vcc_lo, 0, v3, vcc_lo
	global_load_b128 v[2:5], v[2:3], off
	s_waitcnt vmcnt(0)
	ds_store_b128 v1, v[2:5]
.LBB66_10:
	s_or_b32 exec_lo, exec_lo, s7
	s_mov_b32 s40, 0
	s_add_i32 s3, s30, 15
	s_mov_b32 s41, s40
	s_mov_b32 s42, s40
	;; [unrolled: 1-line block ×7, first 2 shown]
	s_delay_alu instid0(SALU_CYCLE_1)
	v_dual_mov_b32 v144, s47 :: v_dual_and_b32 v1, 0xef, v0
	v_mov_b32_e32 v142, s45
	s_ashr_i32 s7, s3, 31
	s_clause 0x1
	s_load_b32 s4, s[0:1], 0x38
	s_load_b32 s35, s[0:1], 0x98
	v_add_nc_u32_e32 v1, s31, v1
	s_lshr_b32 s7, s7, 28
	s_load_b32 s36, s[0:1], 0x1c
	s_add_i32 s3, s3, s7
	s_waitcnt lgkmcnt(0)
	v_ashrrev_i32_e32 v2, 31, v1
	v_or_b32_e32 v3, 16, v1
	s_ashr_i32 s3, s3, 4
	v_cmp_gt_i32_e32 vcc_lo, s30, v1
	s_add_i32 s3, s3, -1
	v_lshrrev_b32_e32 v2, 28, v2
	v_mov_b32_e32 v143, s46
	s_barrier
	buffer_gl0_inv
	s_mul_i32 s6, s15, s6
	v_dual_mov_b32 v141, s44 :: v_dual_add_nc_u32 v4, v1, v2
	v_mov_b32_e32 v139, s42
	s_mul_i32 s16, s34, s4
	v_mov_b32_e32 v137, s40
	s_delay_alu instid0(VALU_DEP_3)
	v_ashrrev_i32_e32 v4, 4, v4
	v_add_nc_u32_e32 v2, v3, v2
	s_ashr_i32 s17, s16, 31
	v_mov_b32_e32 v140, s43
	s_lshl_b64 s[16:17], s[16:17], 2
	v_cndmask_b32_e32 v1, s3, v4, vcc_lo
	v_ashrrev_i32_e32 v2, 4, v2
	v_cmp_gt_i32_e32 vcc_lo, s30, v3
	s_add_u32 s4, s12, s16
	s_addc_u32 s37, s13, s17
	s_ashr_i32 s7, s6, 31
	v_mov_b32_e32 v138, s41
	v_cndmask_b32_e32 v3, s3, v2, vcc_lo
	v_ashrrev_i32_e32 v2, 31, v1
	s_lshl_b64 s[6:7], s[6:7], 1
	s_delay_alu instid0(SALU_CYCLE_1) | instskip(NEXT) | instid1(VALU_DEP_2)
	s_add_u32 s24, s8, s6
	v_ashrrev_i32_e32 v4, 31, v3
	s_delay_alu instid0(VALU_DEP_2) | instskip(SKIP_2) | instid1(VALU_DEP_2)
	v_lshlrev_b64 v[1:2], 2, v[1:2]
	s_addc_u32 s25, s9, s7
	s_lshl_b32 s8, s14, 4
	v_lshlrev_b64 v[3:4], 2, v[3:4]
	s_ashr_i32 s9, s8, 31
	s_delay_alu instid0(VALU_DEP_2) | instskip(SKIP_1) | instid1(VALU_DEP_3)
	v_add_co_u32 v1, vcc_lo, s4, v1
	v_add_co_ci_u32_e32 v2, vcc_lo, s37, v2, vcc_lo
	v_add_co_u32 v3, vcc_lo, s4, v3
	s_delay_alu instid0(VALU_DEP_4)
	v_add_co_ci_u32_e32 v4, vcc_lo, s37, v4, vcc_lo
	s_clause 0x1
	global_load_b32 v5, v[1:2], off
	global_load_b32 v6, v[3:4], off
	s_lshl_b64 s[8:9], s[8:9], 2
	v_lshlrev_b32_e32 v3, 4, v0
	s_add_u32 s8, s4, s8
	s_addc_u32 s9, s37, s9
	s_or_b32 s12, s31, 16
	s_delay_alu instid0(SALU_CYCLE_1) | instskip(SKIP_2) | instid1(SALU_CYCLE_1)
	s_ashr_i32 s13, s12, 4
	s_cmp_lt_i32 s12, s30
	s_cselect_b32 s12, s13, s3
	s_ashr_i32 s13, s12, 31
	s_delay_alu instid0(SALU_CYCLE_1) | instskip(NEXT) | instid1(SALU_CYCLE_1)
	s_lshl_b64 s[12:13], s[12:13], 2
	s_add_u32 s12, s4, s12
	s_addc_u32 s13, s37, s13
	s_or_b32 s15, s31, 32
	s_delay_alu instid0(SALU_CYCLE_1) | instskip(SKIP_2) | instid1(SALU_CYCLE_1)
	s_ashr_i32 s16, s15, 4
	s_cmp_lt_i32 s15, s30
	s_cselect_b32 s16, s16, s3
	s_ashr_i32 s17, s16, 31
	s_delay_alu instid0(SALU_CYCLE_1) | instskip(NEXT) | instid1(SALU_CYCLE_1)
	s_lshl_b64 s[16:17], s[16:17], 2
	;; [unrolled: 10-line block ×5, first 2 shown]
	s_add_u32 s22, s4, s22
	s_addc_u32 s23, s37, s23
	s_clause 0x5
	s_load_b32 s8, s[8:9], 0x0
	s_load_b32 s12, s[12:13], 0x0
	;; [unrolled: 1-line block ×6, first 2 shown]
	s_waitcnt lgkmcnt(0)
	s_mul_hi_i32 s17, s16, s5
	s_mul_i32 s16, s16, s5
	s_waitcnt vmcnt(1)
	v_mad_i64_i32 v[1:2], null, v5, s5, 0
	v_and_b32_e32 v5, 0xf0, v3
	s_waitcnt vmcnt(0)
	v_mad_i64_i32 v[3:4], null, v6, s5, 0
	s_delay_alu instid0(VALU_DEP_2) | instskip(NEXT) | instid1(VALU_DEP_4)
	v_add_co_u32 v7, s9, s24, v5
	v_lshlrev_b64 v[1:2], 1, v[1:2]
	v_add_co_ci_u32_e64 v8, null, s25, 0, s9
	s_delay_alu instid0(VALU_DEP_4) | instskip(SKIP_1) | instid1(VALU_DEP_3)
	v_lshlrev_b64 v[5:6], 1, v[3:4]
	s_or_b32 s9, s31, 0x60
	v_add_co_u32 v3, vcc_lo, v7, v1
	s_delay_alu instid0(VALU_DEP_3) | instskip(NEXT) | instid1(VALU_DEP_3)
	v_add_co_ci_u32_e32 v4, vcc_lo, v8, v2, vcc_lo
	v_add_co_u32 v1, vcc_lo, v7, v5
	s_delay_alu instid0(VALU_DEP_4)
	v_add_co_ci_u32_e32 v2, vcc_lo, v8, v6, vcc_lo
	s_clause 0x9
	global_load_b128 v[9:12], v[3:4], off
	global_load_b128 v[13:16], v[3:4], off offset:256
	global_load_b128 v[129:132], v[1:2], off
	global_load_b128 v[133:136], v[1:2], off offset:256
	global_load_b128 v[41:44], v[3:4], off offset:512
	;; [unrolled: 1-line block ×7, first 2 shown]
	v_add_nc_u32_e32 v5, -9, v148
	v_cmp_gt_u32_e32 vcc_lo, 9, v148
	s_clause 0x1
	global_load_b128 v[151:154], v[1:2], off offset:1024
	global_load_b128 v[155:158], v[1:2], off offset:1280
	s_ashr_i32 s13, s9, 4
	s_cmp_lt_i32 s9, s30
	v_lshlrev_b32_e32 v6, 5, v148
	v_cndmask_b32_e32 v5, v5, v148, vcc_lo
	s_cselect_b32 s22, s13, s3
	s_delay_alu instid0(SALU_CYCLE_1) | instskip(NEXT) | instid1(VALU_DEP_2)
	s_ashr_i32 s23, s22, 31
	v_lshl_or_b32 v6, v149, 9, v6
	s_delay_alu instid0(VALU_DEP_2)
	v_lshlrev_b32_e32 v197, 6, v5
	ds_load_b128 v[159:162], v197
	ds_load_b128 v[163:166], v197 offset:1024
	s_clause 0x3
	global_load_b128 v[167:170], v[3:4], off offset:1536
	global_load_b128 v[171:174], v[3:4], off offset:1792
	;; [unrolled: 1-line block ×4, first 2 shown]
	s_lshl_b64 s[22:23], s[22:23], 2
	s_delay_alu instid0(SALU_CYCLE_1)
	s_add_u32 s22, s4, s22
	s_addc_u32 s23, s37, s23
	s_or_b32 s9, s31, 0x70
	s_load_b32 s46, s[22:23], 0x0
	s_ashr_i32 s13, s9, 4
	s_cmp_lt_i32 s9, s30
	s_cselect_b32 s24, s13, s3
	s_delay_alu instid0(SALU_CYCLE_1) | instskip(NEXT) | instid1(SALU_CYCLE_1)
	s_ashr_i32 s25, s24, 31
	s_lshl_b64 s[24:25], s[24:25], 2
	s_delay_alu instid0(SALU_CYCLE_1)
	s_add_u32 s24, s4, s24
	s_addc_u32 s25, s37, s25
	s_or_b32 s9, s31, 0x80
	s_load_b32 s47, s[24:25], 0x0
	s_ashr_i32 s13, s9, 4
	s_cmp_lt_i32 s9, s30
	s_cselect_b32 s26, s13, s3
	s_delay_alu instid0(SALU_CYCLE_1) | instskip(NEXT) | instid1(SALU_CYCLE_1)
	s_ashr_i32 s27, s26, 31
	;; [unrolled: 11-line block ×3, first 2 shown]
	s_lshl_b64 s[28:29], s[28:29], 2
	s_delay_alu instid0(SALU_CYCLE_1) | instskip(SKIP_2) | instid1(SALU_CYCLE_1)
	s_add_u32 s28, s4, s28
	s_addc_u32 s29, s37, s29
	s_or_b32 s9, s31, 0xa0
	s_ashr_i32 s13, s9, 4
	s_cmp_lt_i32 s9, s30
	s_cselect_b32 s38, s13, s3
	s_delay_alu instid0(SALU_CYCLE_1) | instskip(NEXT) | instid1(SALU_CYCLE_1)
	s_ashr_i32 s39, s38, 31
	s_lshl_b64 s[38:39], s[38:39], 2
	s_delay_alu instid0(SALU_CYCLE_1) | instskip(SKIP_2) | instid1(SALU_CYCLE_1)
	s_add_u32 s38, s4, s38
	s_addc_u32 s39, s37, s39
	s_or_b32 s9, s31, 0xb0
	s_ashr_i32 s13, s9, 4
	s_cmp_lt_i32 s9, s30
	s_mul_hi_i32 s9, s8, s5
	s_cselect_b32 s40, s13, s3
	s_mul_i32 s8, s8, s5
	s_ashr_i32 s41, s40, 31
	s_mul_hi_i32 s13, s12, s5
	s_lshl_b64 s[40:41], s[40:41], 2
	s_mul_i32 s12, s12, s5
	s_add_u32 s42, s4, s40
	s_addc_u32 s43, s37, s41
	s_or_b32 s19, s31, 0xc0
	s_delay_alu instid0(SALU_CYCLE_1)
	s_ashr_i32 s21, s19, 4
	s_cmp_lt_i32 s19, s30
	s_mul_hi_i32 s19, s18, s5
	s_cselect_b32 s40, s21, s3
	s_mul_i32 s18, s18, s5
	s_ashr_i32 s41, s40, 31
	s_mul_hi_i32 s21, s20, s5
	s_lshl_b64 s[40:41], s[40:41], 2
	s_mul_i32 s20, s20, s5
	s_add_u32 s44, s4, s40
	s_addc_u32 s45, s37, s41
	s_load_b32 s41, s[28:29], 0x0
	s_or_b32 s40, s31, 0xd0
	s_mul_hi_i32 s23, s15, s5
	s_ashr_i32 s22, s40, 4
	s_cmp_lt_i32 s40, s30
	s_load_b32 s40, s[38:39], 0x0
	s_cselect_b32 s24, s22, s3
	s_mul_i32 s22, s15, s5
	s_ashr_i32 s25, s24, 31
	s_waitcnt lgkmcnt(0)
	s_mul_hi_i32 s29, s48, s5
	s_lshl_b64 s[24:25], s[24:25], 2
	s_mul_i32 s28, s48, s5
	s_add_u32 s24, s4, s24
	s_addc_u32 s25, s37, s25
	s_or_b32 s49, s31, 0xe0
	s_clause 0x2
	s_load_b32 s39, s[42:43], 0x0
	s_load_b32 s38, s[44:45], 0x0
	s_load_b32 s15, s[24:25], 0x0
	s_ashr_i32 s50, s49, 4
	s_cmp_lt_i32 s49, s30
	s_mul_hi_i32 s25, s46, s5
	s_cselect_b32 s44, s50, s3
	s_mul_i32 s24, s46, s5
	s_ashr_i32 s45, s44, 31
	s_mul_hi_i32 s27, s47, s5
	s_lshl_b64 s[44:45], s[44:45], 2
	s_mul_i32 s26, s47, s5
	s_add_u32 s44, s4, s44
	s_addc_u32 s45, s37, s45
	s_or_b32 s46, s31, 0xf0
	s_mul_hi_i32 s43, s41, s5
	s_ashr_i32 s48, s46, 4
	s_cmp_lt_i32 s46, s30
	s_mul_i32 s42, s41, s5
	s_cselect_b32 s48, s48, s3
	s_mul_hi_i32 s41, s40, s5
	s_ashr_i32 s49, s48, 31
	s_mul_i32 s40, s40, s5
	s_lshl_b64 s[48:49], s[48:49], 2
	s_waitcnt lgkmcnt(0)
	s_mul_hi_i32 s47, s39, s5
	s_add_u32 s48, s4, s48
	s_addc_u32 s49, s37, s49
	s_add_u32 s3, s10, s6
	s_addc_u32 s4, s11, s7
	v_add_co_u32 v195, s3, s3, v6
	s_delay_alu instid0(VALU_DEP_1) | instskip(SKIP_2) | instid1(VALU_DEP_2)
	v_add_co_ci_u32_e64 v196, null, s4, 0, s3
	s_lshl_b64 s[6:7], s[8:9], 1
	s_lshl_b64 s[8:9], s[12:13], 1
	v_add_co_u32 v1, vcc_lo, v195, s6
	s_delay_alu instid0(VALU_DEP_2)
	v_add_co_ci_u32_e32 v2, vcc_lo, s7, v196, vcc_lo
	v_add_co_u32 v3, vcc_lo, v195, s8
	s_lshl_b64 s[10:11], s[16:17], 1
	v_add_co_ci_u32_e32 v4, vcc_lo, s9, v196, vcc_lo
	v_add_co_u32 v5, vcc_lo, v195, s10
	s_lshl_b64 s[12:13], s[18:19], 1
	;; [unrolled: 3-line block ×9, first 2 shown]
	s_mul_i32 s46, s39, s5
	v_add_co_ci_u32_e32 v54, vcc_lo, s27, v196, vcc_lo
	v_add_co_u32 v183, vcc_lo, v195, s28
	s_lshl_b64 s[40:41], s[46:47], 1
	s_mul_hi_i32 s39, s38, s5
	s_mul_i32 s38, s38, s5
	v_add_co_ci_u32_e32 v184, vcc_lo, s29, v196, vcc_lo
	v_add_co_u32 v185, vcc_lo, v195, s40
	s_lshl_b64 s[38:39], s[38:39], 1
	s_clause 0x1
	s_load_b32 s3, s[44:45], 0x0
	s_load_b32 s4, s[48:49], 0x0
	v_add_co_ci_u32_e32 v186, vcc_lo, s41, v196, vcc_lo
	v_add_co_u32 v191, vcc_lo, v195, s38
	v_add_co_ci_u32_e32 v192, vcc_lo, s39, v196, vcc_lo
	s_clause 0x17
	global_load_b128 v[121:124], v[1:2], off
	global_load_b128 v[125:128], v[1:2], off offset:16
	global_load_b128 v[113:116], v[3:4], off
	global_load_b128 v[117:120], v[3:4], off offset:16
	;; [unrolled: 2-line block ×12, first 2 shown]
	s_mul_hi_i32 s51, s15, s5
	s_mul_i32 s50, s15, s5
	s_delay_alu instid0(SALU_CYCLE_1) | instskip(NEXT) | instid1(SALU_CYCLE_1)
	s_lshl_b64 s[42:43], s[50:51], 1
	v_add_co_u32 v193, vcc_lo, v195, s42
	v_add_co_ci_u32_e32 v194, vcc_lo, s43, v196, vcc_lo
	s_waitcnt lgkmcnt(0)
	s_mul_hi_i32 s7, s3, s5
	s_mul_i32 s6, s3, s5
	s_mul_hi_i32 s9, s4, s5
	s_lshl_b64 s[6:7], s[6:7], 1
	s_mul_i32 s8, s4, s5
	s_delay_alu instid0(SALU_CYCLE_1)
	s_lshl_b64 s[4:5], s[8:9], 1
	s_waitcnt vmcnt(38)
	v_wmma_f32_16x16x16_f16 v[183:190], v[9:16], v[159:166], v[137:144]
	s_waitcnt vmcnt(36)
	v_wmma_f32_16x16x16_f16 v[137:144], v[129:136], v[159:166], v[137:144]
	s_clause 0x1
	global_load_b128 v[9:12], v[191:192], off
	global_load_b128 v[13:16], v[191:192], off offset:16
	ds_load_b128 v[129:132], v197 offset:2048
	ds_load_b128 v[133:136], v197 offset:3072
	;; [unrolled: 1-line block ×4, first 2 shown]
	v_add_co_u32 v191, vcc_lo, v195, s6
	v_add_co_ci_u32_e32 v192, vcc_lo, s7, v196, vcc_lo
	v_add_co_u32 v195, vcc_lo, v195, s4
	v_add_co_ci_u32_e32 v196, vcc_lo, s5, v196, vcc_lo
	s_waitcnt vmcnt(36) lgkmcnt(2)
	v_wmma_f32_16x16x16_f16 v[183:190], v[41:48], v[129:136], v[183:190]
	s_waitcnt vmcnt(34)
	v_wmma_f32_16x16x16_f16 v[137:144], v[33:40], v[129:136], v[137:144]
	s_clause 0x3
	global_load_b128 v[33:36], v[193:194], off
	global_load_b128 v[37:40], v[193:194], off offset:16
	global_load_b128 v[41:44], v[191:192], off
	global_load_b128 v[45:48], v[191:192], off offset:16
	v_and_b32_e32 v129, 0xe0, v0
	v_mbcnt_lo_u32_b32 v191, -1, 0
	s_waitcnt vmcnt(36) lgkmcnt(0)
	v_wmma_f32_16x16x16_f16 v[183:190], v[17:24], v[159:166], v[183:190]
	s_clause 0x1
	global_load_b128 v[17:20], v[195:196], off
	global_load_b128 v[21:24], v[195:196], off offset:16
	s_waitcnt vmcnt(36)
	v_wmma_f32_16x16x16_f16 v[137:144], v[151:158], v[159:166], v[137:144]
	v_add_nc_u32_e32 v192, s31, v129
	ds_load_b128 v[129:132], v197 offset:6144
	ds_load_b128 v[133:136], v197 offset:7168
	v_xor_b32_e32 v151, 16, v191
	s_waitcnt vmcnt(0) lgkmcnt(0)
	s_barrier
	v_or_b32_e32 v152, v192, v146
	buffer_gl0_inv
	v_cmp_gt_i32_e32 vcc_lo, 32, v151
	v_or_b32_e32 v153, 2, v152
	v_or_b32_e32 v154, 4, v152
	;; [unrolled: 1-line block ×5, first 2 shown]
	v_cmp_gt_i32_e64 s3, s30, v153
	v_cmp_gt_i32_e64 s4, s30, v154
	;; [unrolled: 1-line block ×3, first 2 shown]
	v_or_b32_e32 v158, 12, v152
	v_or_b32_e32 v159, 14, v152
	v_cmp_gt_i32_e64 s6, s30, v156
	v_wmma_f32_16x16x16_f16 v[183:190], v[167:174], v[129:136], v[183:190]
	v_wmma_f32_16x16x16_f16 v[137:144], v[175:182], v[129:136], v[137:144]
	v_cndmask_b32_e32 v151, v191, v151, vcc_lo
	v_cmp_gt_i32_e32 vcc_lo, s30, v152
	v_cmp_gt_i32_e64 s7, s30, v157
	v_dual_mul_f32 v135, s36, v184 :: v_dual_mul_f32 v136, s36, v183
	v_dual_mul_f32 v133, s36, v186 :: v_dual_mul_f32 v134, s36, v185
	;; [unrolled: 1-line block ×3, first 2 shown]
	s_delay_alu instid0(VALU_DEP_3) | instskip(NEXT) | instid1(VALU_DEP_4)
	v_cndmask_b32_e32 v136, 0xff7fffff, v136, vcc_lo
	v_cndmask_b32_e64 v135, 0xff7fffff, v135, s3
	v_mul_f32_e32 v132, s36, v187
	v_cndmask_b32_e64 v134, 0xff7fffff, v134, s4
	v_cndmask_b32_e64 v133, 0xff7fffff, v133, s5
	v_or_b32_e32 v160, 16, v152
	v_max3_f32 v135, v136, 0xff7fffff, v135
	v_or_b32_e32 v161, 18, v152
	v_mul_f32_e32 v130, s36, v189
	v_dual_mul_f32 v172, s36, v140 :: v_dual_mul_f32 v129, s36, v190
	v_cndmask_b32_e64 v132, 0xff7fffff, v132, s6
	v_cndmask_b32_e64 v131, 0xff7fffff, v131, s7
	v_max3_f32 v133, v135, v134, v133
	v_cmp_gt_i32_e64 s8, s30, v158
	v_cmp_gt_i32_e64 s9, s30, v159
	v_or_b32_e32 v162, 20, v152
	v_or_b32_e32 v163, 22, v152
	v_mul_f32_e32 v175, s36, v137
	v_cndmask_b32_e64 v130, 0xff7fffff, v130, s8
	v_cndmask_b32_e64 v129, 0xff7fffff, v129, s9
	v_max3_f32 v131, v133, v132, v131
	v_cmp_gt_i32_e64 s10, s30, v160
	v_cmp_gt_i32_e64 s11, s30, v161
	v_or_b32_e32 v164, 24, v152
	v_or_b32_e32 v165, 26, v152
	v_mul_f32_e32 v173, s36, v139
	v_cndmask_b32_e64 v132, 0xff7fffff, v175, s10
	v_cndmask_b32_e64 v133, 0xff7fffff, v174, s11
	v_max3_f32 v129, v131, v130, v129
	v_cmp_gt_i32_e64 s12, s30, v162
	v_cmp_gt_i32_e64 s13, s30, v163
	v_or_b32_e32 v166, 28, v152
	v_or_b32_e32 v167, 30, v152
	v_dual_mul_f32 v170, s36, v142 :: v_dual_mul_f32 v171, s36, v141
	v_cndmask_b32_e64 v130, 0xff7fffff, v173, s12
	v_cndmask_b32_e64 v131, 0xff7fffff, v172, s13
	v_max3_f32 v129, v129, v132, v133
	v_cmp_gt_i32_e64 s15, s30, v164
	v_cmp_gt_i32_e64 s16, s30, v165
	v_dual_mul_f32 v168, s36, v144 :: v_dual_mul_f32 v169, s36, v143
	s_delay_alu instid0(VALU_DEP_4) | instskip(NEXT) | instid1(VALU_DEP_4)
	v_max3_f32 v129, v129, v130, v131
	v_cndmask_b32_e64 v132, 0xff7fffff, v171, s15
	s_delay_alu instid0(VALU_DEP_4) | instskip(SKIP_2) | instid1(VALU_DEP_3)
	v_cndmask_b32_e64 v133, 0xff7fffff, v170, s16
	v_cmp_gt_i32_e64 s17, s30, v166
	v_cmp_gt_i32_e64 s18, s30, v167
	v_max3_f32 v129, v129, v132, v133
	s_delay_alu instid0(VALU_DEP_3) | instskip(NEXT) | instid1(VALU_DEP_3)
	v_cndmask_b32_e64 v130, 0xff7fffff, v169, s17
	v_cndmask_b32_e64 v131, 0xff7fffff, v168, s18
	v_lshlrev_b32_e32 v132, 2, v151
	s_delay_alu instid0(VALU_DEP_2) | instskip(SKIP_3) | instid1(VALU_DEP_1)
	v_max3_f32 v129, v129, v130, v131
	ds_bpermute_b32 v130, v132, v129
	s_waitcnt lgkmcnt(0)
	v_max_f32_e32 v130, v130, v130
	v_max_f32_e32 v129, v129, v130
	s_delay_alu instid0(VALU_DEP_1) | instskip(SKIP_4) | instid1(VALU_DEP_4)
	v_fma_f32 v134, s36, v186, -v129
	v_fma_f32 v135, s36, v187, -v129
	;; [unrolled: 1-line block ×5, first 2 shown]
	v_dual_mul_f32 v134, 0x3fb8aa3b, v134 :: v_dual_mul_f32 v135, 0x3fb8aa3b, v135
	s_delay_alu instid0(VALU_DEP_4) | instskip(SKIP_1) | instid1(VALU_DEP_3)
	v_mul_f32_e32 v130, 0x3fb8aa3b, v130
	v_fma_f32 v136, s36, v189, -v129
	v_exp_f32_e32 v134, v134
	s_delay_alu instid0(VALU_DEP_3) | instskip(NEXT) | instid1(VALU_DEP_2)
	v_exp_f32_e32 v135, v135
	v_exp_f32_e32 v130, v130
	s_delay_alu instid0(VALU_DEP_1) | instskip(NEXT) | instid1(VALU_DEP_1)
	v_mul_f32_e32 v136, 0x3fb8aa3b, v136
	v_exp_f32_e32 v136, v136
	v_cndmask_b32_e64 v153, 0, v134, s5
	v_fma_f32 v134, s36, v137, -v129
	v_mul_f32_e32 v131, 0x3fb8aa3b, v131
	s_delay_alu instid0(TRANS32_DEP_3) | instskip(NEXT) | instid1(TRANS32_DEP_2)
	v_cndmask_b32_e64 v155, 0, v135, s6
	v_dual_mul_f32 v133, 0x3fb8aa3b, v133 :: v_dual_cndmask_b32 v152, 0, v130
	s_delay_alu instid0(VALU_DEP_4) | instskip(NEXT) | instid1(VALU_DEP_4)
	v_mul_f32_e32 v134, 0x3fb8aa3b, v134
	v_exp_f32_e32 v131, v131
	v_fma_f32 v135, s36, v138, -v129
	s_delay_alu instid0(VALU_DEP_3)
	v_exp_f32_e32 v133, v133
	v_fma_f32 v130, s36, v188, -v129
	v_cndmask_b32_e64 v156, 0, v136, s8
	v_fma_f32 v136, s36, v140, -v129
	v_mul_f32_e32 v135, 0x3fb8aa3b, v135
	v_exp_f32_e32 v134, v134
	v_mul_f32_e32 v130, 0x3fb8aa3b, v130
	s_delay_alu instid0(TRANS32_DEP_3) | instskip(SKIP_1) | instid1(TRANS32_DEP_2)
	v_cndmask_b32_e64 v151, 0, v131, s3
	v_add_f32_e32 v131, 0, v152
	v_cndmask_b32_e64 v154, 0, v133, s4
	v_exp_f32_e32 v135, v135
	v_fma_f32 v133, s36, v190, -v129
	v_exp_f32_e32 v130, v130
	v_dual_add_f32 v131, v131, v151 :: v_dual_mul_f32 v136, 0x3fb8aa3b, v136
	v_cmp_gt_u32_e64 s3, 16, v150
	s_delay_alu instid0(VALU_DEP_3) | instskip(NEXT) | instid1(VALU_DEP_3)
	v_mul_f32_e32 v133, 0x3fb8aa3b, v133
	v_add_f32_e32 v131, v131, v154
	s_delay_alu instid0(VALU_DEP_4) | instskip(NEXT) | instid1(TRANS32_DEP_3)
	v_exp_f32_e32 v136, v136
	v_cndmask_b32_e64 v140, 0, v135, s11
	s_delay_alu instid0(VALU_DEP_3) | instskip(NEXT) | instid1(TRANS32_DEP_3)
	v_exp_f32_e32 v133, v133
	v_cndmask_b32_e64 v138, 0, v130, s7
	v_add_f32_e32 v131, v131, v153
	v_fma_f32 v135, s36, v143, -v129
	s_delay_alu instid0(VALU_DEP_2)
	v_add_f32_e32 v130, v131, v155
	v_fma_f32 v131, s36, v139, -v129
	s_waitcnt_depctr 0xfff
	v_cndmask_b32_e64 v139, 0, v133, s9
	v_fma_f32 v133, s36, v141, -v129
	v_add_f32_e32 v130, v130, v138
	v_cndmask_b32_e64 v141, 0, v134, s10
	v_fma_f32 v134, s36, v142, -v129
	v_cndmask_b32_e64 v142, 0, v136, s13
	s_delay_alu instid0(VALU_DEP_4) | instskip(NEXT) | instid1(VALU_DEP_3)
	v_dual_mul_f32 v131, 0x3fb8aa3b, v131 :: v_dual_add_f32 v130, v130, v156
	v_mul_f32_e32 v134, 0x3fb8aa3b, v134
	s_delay_alu instid0(VALU_DEP_2) | instskip(NEXT) | instid1(VALU_DEP_2)
	v_exp_f32_e32 v131, v131
	v_add_f32_e32 v130, v130, v139
	s_delay_alu instid0(VALU_DEP_2) | instskip(NEXT) | instid1(VALU_DEP_1)
	v_exp_f32_e32 v134, v134
	v_add_f32_e32 v130, v130, v141
	s_waitcnt_depctr 0xfff
	v_cndmask_b32_e64 v143, 0, v131, s12
	v_dual_add_f32 v130, v130, v140 :: v_dual_mul_f32 v133, 0x3fb8aa3b, v133
	s_delay_alu instid0(VALU_DEP_1) | instskip(NEXT) | instid1(VALU_DEP_2)
	v_add_f32_e32 v130, v130, v143
	v_exp_f32_e32 v133, v133
	s_delay_alu instid0(VALU_DEP_1)
	v_add_f32_e32 v130, v130, v142
	s_waitcnt_depctr 0xfff
	v_cndmask_b32_e64 v157, 0, v133, s15
	v_mul_f32_e32 v131, 0x3fb8aa3b, v135
	v_fma_f32 v135, s36, v144, -v129
	v_cndmask_b32_e64 v144, 0, v134, s16
	s_delay_alu instid0(VALU_DEP_4) | instskip(NEXT) | instid1(VALU_DEP_4)
	v_add_f32_e32 v130, v130, v157
	v_exp_f32_e32 v131, v131
	s_delay_alu instid0(VALU_DEP_1) | instskip(NEXT) | instid1(VALU_DEP_1)
	v_dual_mul_f32 v133, 0x3fb8aa3b, v135 :: v_dual_add_f32 v130, v130, v144
	v_exp_f32_e32 v133, v133
	s_waitcnt_depctr 0xfff
	v_cndmask_b32_e64 v159, 0, v131, s17
	s_delay_alu instid0(VALU_DEP_1) | instskip(SKIP_1) | instid1(VALU_DEP_1)
	v_add_f32_e32 v130, v130, v159
	v_cndmask_b32_e64 v158, 0, v133, s18
	v_add_f32_e32 v130, v130, v158
	ds_bpermute_b32 v131, v132, v130
	s_and_saveexec_b32 s4, s3
	s_cbranch_execz .LBB66_12
; %bb.11:
	v_mul_u32_u24_e32 v132, 0x44, v149
	s_delay_alu instid0(VALU_DEP_1) | instskip(SKIP_1) | instid1(VALU_DEP_1)
	v_lshl_add_u32 v132, v148, 2, v132
	s_waitcnt lgkmcnt(0)
	v_dual_add_f32 v130, v130, v131 :: v_dual_add_nc_u32 v131, 0x4000, v132
	ds_store_2addr_b32 v131, v129, v130 offset1:136
.LBB66_12:
	s_or_b32 exec_lo, exec_lo, s4
	v_lshlrev_b32_e32 v129, 2, v148
	s_load_b32 s36, s[0:1], 0x94
	s_waitcnt lgkmcnt(0)
	s_barrier
	buffer_gl0_inv
	v_add_nc_u32_e32 v135, 0x4000, v129
	v_cmp_eq_u32_e32 vcc_lo, 1, v149
	v_cmp_eq_u32_e64 s4, 2, v149
	v_cmp_eq_u32_e64 s5, 3, v149
	;; [unrolled: 1-line block ×3, first 2 shown]
	ds_load_2addr_b32 v[129:130], v135 offset1:17
	ds_load_2addr_b32 v[131:132], v135 offset0:34 offset1:51
	ds_load_2addr_b32 v[133:134], v135 offset0:68 offset1:85
	;; [unrolled: 1-line block ×3, first 2 shown]
	v_cmp_eq_u32_e64 s7, 5, v149
	v_cmp_eq_u32_e64 s8, 7, v149
	s_waitcnt lgkmcnt(3)
	v_max3_f32 v136, v129, 0xff7fffff, v130
	s_waitcnt lgkmcnt(2)
	s_delay_alu instid0(VALU_DEP_1) | instskip(SKIP_1) | instid1(VALU_DEP_1)
	v_max3_f32 v136, v136, v131, v132
	s_waitcnt lgkmcnt(1)
	v_max3_f32 v136, v136, v133, v134
	s_waitcnt lgkmcnt(0)
	s_delay_alu instid0(VALU_DEP_1) | instskip(NEXT) | instid1(VALU_DEP_1)
	v_max3_f32 v136, v136, v160, v161
	v_sub_f32_e32 v164, v132, v136
	ds_load_2addr_b32 v[162:163], v135 offset0:136 offset1:153
	v_sub_f32_e32 v129, v129, v136
	v_sub_f32_e32 v137, v130, v136
	;; [unrolled: 1-line block ×3, first 2 shown]
	v_mul_f32_e32 v164, 0x3fb8aa3b, v164
	s_delay_alu instid0(VALU_DEP_4) | instskip(NEXT) | instid1(VALU_DEP_4)
	v_mul_f32_e32 v150, 0x3fb8aa3b, v129
	v_mul_f32_e32 v137, 0x3fb8aa3b, v137
	ds_load_2addr_b32 v[129:130], v135 offset0:170 offset1:187
	v_mul_f32_e32 v167, 0x3fb8aa3b, v133
	v_exp_f32_e32 v164, v164
	v_exp_f32_e32 v150, v150
	;; [unrolled: 1-line block ×3, first 2 shown]
	v_sub_f32_e32 v131, v131, v136
	s_delay_alu instid0(VALU_DEP_1)
	v_mul_f32_e32 v165, 0x3fb8aa3b, v131
	ds_load_2addr_b32 v[131:132], v135 offset0:204 offset1:221
	s_waitcnt lgkmcnt(2)
	v_fma_f32 v137, v150, v162, 0
	v_sub_f32_e32 v162, v134, v136
	v_exp_f32_e32 v165, v165
	ds_load_2addr_b32 v[133:134], v135 offset0:238 offset1:255
	v_sub_f32_e32 v135, v160, v136
	v_dual_fmac_f32 v137, v166, v163 :: v_dual_mul_f32 v160, 0x3fb8aa3b, v162
	v_exp_f32_e32 v162, v167
	s_waitcnt lgkmcnt(0)
	s_delay_alu instid0(VALU_DEP_2)
	v_mul_f32_e32 v135, 0x3fb8aa3b, v135
	s_barrier
	v_exp_f32_e32 v160, v160
	v_fmac_f32_e32 v137, v165, v129
	v_sub_f32_e32 v129, v161, v136
	v_exp_f32_e32 v161, v135
	buffer_gl0_inv
	v_fmac_f32_e32 v137, v164, v130
	v_dual_mul_f32 v129, 0x3fb8aa3b, v129 :: v_dual_cndmask_b32 v130, v150, v166
	s_delay_alu instid0(VALU_DEP_2) | instskip(NEXT) | instid1(VALU_DEP_2)
	v_fmac_f32_e32 v137, v162, v131
	v_exp_f32_e32 v163, v129
	s_delay_alu instid0(VALU_DEP_1) | instskip(NEXT) | instid1(VALU_DEP_1)
	v_fmac_f32_e32 v137, v160, v132
	v_fmac_f32_e32 v137, v161, v133
	v_lshlrev_b32_e32 v133, 6, v148
	s_waitcnt_depctr 0xfff
	v_fmac_f32_e32 v137, v163, v134
	v_lshl_or_b32 v135, v149, 11, v133
	s_delay_alu instid0(VALU_DEP_2) | instskip(NEXT) | instid1(VALU_DEP_1)
	v_add_f32_e32 v134, 0x358637bd, v137
	v_div_scale_f32 v167, null, v134, v134, 1.0
	v_div_scale_f32 v150, vcc_lo, 1.0, v134, 1.0
	s_delay_alu instid0(VALU_DEP_2) | instskip(SKIP_2) | instid1(VALU_DEP_1)
	v_rcp_f32_e32 v168, v167
	s_waitcnt_depctr 0xfff
	v_fma_f32 v129, -v167, v168, 1.0
	v_fmac_f32_e32 v168, v129, v168
	v_cndmask_b32_e64 v129, v130, v165, s4
	v_cmp_eq_u32_e64 s4, 6, v149
	s_delay_alu instid0(VALU_DEP_3) | instskip(NEXT) | instid1(VALU_DEP_3)
	v_mul_f32_e32 v165, v150, v168
	v_cndmask_b32_e64 v130, v129, v164, s5
	v_lshlrev_b32_e32 v129, 2, v146
	s_delay_alu instid0(VALU_DEP_3) | instskip(NEXT) | instid1(VALU_DEP_3)
	v_fma_f32 v131, -v167, v165, v150
	v_cndmask_b32_e64 v162, v130, v162, s6
	s_delay_alu instid0(VALU_DEP_3)
	v_or_b32_e32 v130, 1, v129
	v_or_b32_e32 v132, 2, v129
	v_cmp_eq_u32_e64 s5, 1, v129
	v_fmac_f32_e32 v165, v131, v168
	v_cndmask_b32_e64 v149, v162, v160, s7
	v_or_b32_e32 v131, 3, v129
	v_cmp_eq_u32_e64 s10, 1, v130
	v_cmp_eq_u32_e64 s11, 1, v132
	v_fma_f32 v150, -v167, v165, v150
	v_cndmask_b32_e64 v149, v149, v161, s4
	v_cmp_eq_u32_e64 s12, 1, v131
	v_cmp_eq_u32_e64 s6, 2, v129
	;; [unrolled: 1-line block ×3, first 2 shown]
	v_div_fmas_f32 v150, v150, v168, v165
	v_cndmask_b32_e64 v149, v149, v163, s8
	v_cmp_eq_u32_e64 s16, 2, v132
	v_cmp_eq_u32_e64 s17, 2, v131
	v_cmp_eq_u32_e32 vcc_lo, 3, v129
	v_div_fixup_f32 v150, v150, v134, 1.0
	v_lshl_or_b32 v134, v146, 4, v135
	v_cmp_eq_u32_e64 s15, 3, v130
	v_cmp_eq_u32_e64 s19, 3, v131
	;; [unrolled: 1-line block ×3, first 2 shown]
	v_mul_f32_e32 v149, v149, v150
	v_cmp_eq_u32_e64 s18, 3, v132
	v_cmp_eq_u32_e64 s20, 4, v130
	;; [unrolled: 1-line block ×4, first 2 shown]
	v_fma_mixlo_f16 v160, v149, v152, 0
	v_fma_mixlo_f16 v161, v149, v154, 0
	;; [unrolled: 1-line block ×8, first 2 shown]
	v_fma_mixhi_f16 v160, v149, v151, 0
	v_fma_mixhi_f16 v161, v149, v153, 0
	;; [unrolled: 1-line block ×8, first 2 shown]
	ds_store_b128 v134, v[160:163]
	ds_store_b128 v134, v[154:157] offset:1024
	s_waitcnt lgkmcnt(0)
	s_barrier
	buffer_gl0_inv
	ds_load_b128 v[138:141], v135
	ds_load_b128 v[149:152], v135 offset:16
	ds_load_b128 v[153:156], v135 offset:1024
	;; [unrolled: 1-line block ×3, first 2 shown]
	v_cmp_eq_u32_e64 s21, 5, v130
	v_cmp_eq_u32_e64 s22, 4, v132
	;; [unrolled: 1-line block ×12, first 2 shown]
	s_waitcnt lgkmcnt(3)
	v_lshrrev_b32_e32 v142, 16, v138
	s_waitcnt lgkmcnt(2)
	v_lshrrev_b32_e32 v162, 16, v149
	;; [unrolled: 2-line block ×4, first 2 shown]
	v_lshrrev_b32_e32 v143, 16, v139
	v_cndmask_b32_e64 v174, v138, v142, s5
	v_cndmask_b32_e64 v175, v149, v162, s5
	;; [unrolled: 1-line block ×7, first 2 shown]
	v_lshrrev_b32_e32 v163, 16, v150
	v_cndmask_b32_e64 v179, v149, v162, s11
	v_cndmask_b32_e64 v149, v153, v166, s5
	;; [unrolled: 1-line block ×16, first 2 shown]
	v_lshrrev_b32_e32 v167, 16, v154
	v_lshrrev_b32_e32 v171, 16, v158
	v_cndmask_b32_e64 v177, v179, v150, s16
	v_cndmask_b32_e64 v142, v149, v154, s6
	;; [unrolled: 1-line block ×7, first 2 shown]
	v_cndmask_b32_e32 v157, v166, v143, vcc_lo
	v_cndmask_b32_e32 v166, v170, v163, vcc_lo
	v_cndmask_b32_e64 v170, v174, v143, s15
	v_cndmask_b32_e64 v174, v175, v163, s15
	;; [unrolled: 1-line block ×4, first 2 shown]
	v_lshrrev_b32_e32 v144, 16, v140
	v_lshrrev_b32_e32 v164, 16, v151
	v_cndmask_b32_e64 v175, v176, v143, s18
	v_cndmask_b32_e64 v176, v177, v163, s18
	v_cndmask_b32_e32 v142, v142, v167, vcc_lo
	v_cndmask_b32_e32 v143, v149, v171, vcc_lo
	v_cndmask_b32_e64 v149, v150, v167, s15
	v_cndmask_b32_e64 v150, v157, v140, s4
	;; [unrolled: 1-line block ×7, first 2 shown]
	v_lshrrev_b32_e32 v168, 16, v155
	v_cndmask_b32_e64 v170, v175, v140, s22
	v_cndmask_b32_e64 v174, v176, v151, s22
	;; [unrolled: 1-line block ×11, first 2 shown]
	v_lshrrev_b32_e32 v161, 16, v141
	v_lshrrev_b32_e32 v165, 16, v152
	v_cndmask_b32_e64 v163, v170, v144, s24
	v_cndmask_b32_e64 v166, v174, v164, s24
	;; [unrolled: 1-line block ×9, first 2 shown]
	v_lshrrev_b32_e32 v169, 16, v156
	v_cndmask_b32_e64 v140, v140, v168, s7
	v_cndmask_b32_e64 v157, v163, v141, s27
	;; [unrolled: 1-line block ×14, first 2 shown]
	v_perm_b32 v141, v139, v138, 0x5040100
	v_perm_b32 v139, v151, v149, 0x5040100
	v_cndmask_b32_e64 v138, v183, v158, s16
	v_cndmask_b32_e64 v149, v181, v158, s13
	;; [unrolled: 1-line block ×3, first 2 shown]
	v_perm_b32 v140, v152, v150, 0x5040100
	v_cndmask_b32_e64 v150, v162, v167, s18
	v_cndmask_b32_e64 v151, v153, v167, s19
	;; [unrolled: 1-line block ×5, first 2 shown]
	v_lshrrev_b32_e32 v172, 16, v159
	v_cndmask_b32_e64 v150, v150, v155, s22
	v_cndmask_b32_e64 v151, v151, v155, s23
	;; [unrolled: 1-line block ×11, first 2 shown]
	v_lshrrev_b32_e32 v173, 16, v160
	v_cndmask_b32_e64 v142, v142, v160, s8
	v_cndmask_b32_e64 v150, v150, v156, s27
	;; [unrolled: 1-line block ×12, first 2 shown]
	v_perm_b32 v138, v144, v143, 0x5040100
	v_perm_b32 v152, v152, v151, 0x5040100
	;; [unrolled: 1-line block ×5, first 2 shown]
	s_mul_i32 s8, s35, 9
	s_mov_b32 s4, exec_lo
	ds_store_b128 v134, v[138:141]
	ds_store_b128 v134, v[149:152] offset:1024
	v_cmpx_gt_u32_e32 9, v0
	s_cbranch_execz .LBB66_14
; %bb.13:
	s_mul_i32 s5, s8, s34
	s_load_b128 s[16:19], s[0:1], 0x58
	v_add3_u32 v140, s5, s33, v148
	s_delay_alu instid0(VALU_DEP_1) | instskip(NEXT) | instid1(VALU_DEP_1)
	v_mad_u64_u32 v[138:139], null, v140, s36, s[14:15]
	v_ashrrev_i32_e32 v139, 31, v138
	s_delay_alu instid0(VALU_DEP_1) | instskip(SKIP_1) | instid1(VALU_DEP_1)
	v_lshlrev_b64 v[138:139], 2, v[138:139]
	s_waitcnt lgkmcnt(0)
	v_add_co_u32 v140, vcc_lo, s18, v138
	s_delay_alu instid0(VALU_DEP_2)
	v_add_co_ci_u32_e32 v141, vcc_lo, s19, v139, vcc_lo
	v_add_co_u32 v138, vcc_lo, s16, v138
	v_add_co_ci_u32_e32 v139, vcc_lo, s17, v139, vcc_lo
	global_store_b32 v[140:141], v136, off
	global_store_b32 v[138:139], v137, off
.LBB66_14:
	s_or_b32 exec_lo, exec_lo, s4
	s_waitcnt lgkmcnt(0)
	s_waitcnt_vscnt null, 0x0
	s_barrier
	buffer_gl0_inv
	ds_load_b128 v[148:151], v133
	ds_load_b128 v[152:155], v133 offset:16
	ds_load_b128 v[160:163], v133 offset:1040
	;; [unrolled: 1-line block ×5, first 2 shown]
	v_cmp_eq_u32_e32 vcc_lo, 1, v132
	v_mov_b32_e32 v136, 0
	ds_load_b128 v[176:179], v133 offset:3088
	ds_load_b128 v[172:175], v133 offset:3072
	;; [unrolled: 1-line block ×4, first 2 shown]
	v_cmp_eq_u32_e64 s4, 1, v129
	v_cmp_eq_u32_e64 s5, 1, v131
	;; [unrolled: 1-line block ×3, first 2 shown]
	v_mov_b32_e32 v137, v136
	v_mov_b32_e32 v138, v136
	;; [unrolled: 1-line block ×7, first 2 shown]
	v_cmp_eq_u32_e64 s7, 2, v129
	s_waitcnt lgkmcnt(8)
	s_delay_alu instid0(VALU_DEP_2)
	v_wmma_f32_16x16x16_f16 v[136:143], v[121:128], v[148:155], v[136:143]
	ds_load_b128 v[125:128], v133 offset:5136
	ds_load_b128 v[121:124], v133 offset:5120
	s_waitcnt lgkmcnt(8)
	v_wmma_f32_16x16x16_f16 v[136:143], v[113:120], v[156:163], v[136:143]
	ds_load_b128 v[117:120], v133 offset:6160
	ds_load_b128 v[113:116], v133 offset:6144
	s_waitcnt lgkmcnt(8)
	;; [unrolled: 4-line block ×11, first 2 shown]
	s_barrier
	buffer_gl0_inv
	v_wmma_f32_16x16x16_f16 v[136:143], v[1:8], v[73:80], v[136:143]
	s_delay_alu instid0(VALU_DEP_1) | instskip(NEXT) | instid1(VALU_DEP_1)
	v_wmma_f32_16x16x16_f16 v[136:143], v[9:16], v[65:72], v[136:143]
	v_wmma_f32_16x16x16_f16 v[136:143], v[33:40], v[57:64], v[136:143]
	s_delay_alu instid0(VALU_DEP_1) | instskip(NEXT) | instid1(VALU_DEP_1)
	v_wmma_f32_16x16x16_f16 v[136:143], v[41:48], v[49:56], v[136:143]
	v_wmma_f32_16x16x16_f16 v[136:143], v[17:24], v[25:32], v[136:143]
	s_delay_alu instid0(VALU_DEP_1) | instskip(NEXT) | instid1(VALU_DEP_2)
	v_cvt_f16_f32_e64 v1, v136
	v_cvt_f16_f32_e64 v2, v137
	s_delay_alu instid0(VALU_DEP_3) | instskip(NEXT) | instid1(VALU_DEP_4)
	v_cvt_f16_f32_e64 v3, v138
	v_cvt_f16_f32_e64 v4, v139
	;; [unrolled: 1-line block ×6, first 2 shown]
	v_pack_b32_f16 v1, v1, v2
	v_pack_b32_f16 v2, v3, v4
	;; [unrolled: 1-line block ×3, first 2 shown]
	s_delay_alu instid0(VALU_DEP_4)
	v_pack_b32_f16 v4, v7, v8
	ds_store_b128 v134, v[1:4]
	s_waitcnt lgkmcnt(0)
	s_barrier
	buffer_gl0_inv
	ds_load_b128 v[1:4], v135
	ds_load_b128 v[5:8], v135 offset:16
	s_waitcnt lgkmcnt(1)
	v_lshrrev_b32_e32 v9, 16, v1
	s_waitcnt lgkmcnt(0)
	v_lshrrev_b32_e32 v13, 16, v5
	v_lshrrev_b32_e32 v10, 16, v2
	;; [unrolled: 1-line block ×4, first 2 shown]
	v_cndmask_b32_e64 v17, v1, v9, s4
	v_cndmask_b32_e64 v18, v5, v13, s4
	;; [unrolled: 1-line block ×3, first 2 shown]
	v_cmp_eq_u32_e64 s4, 2, v130
	v_cndmask_b32_e64 v20, v5, v13, s6
	v_cndmask_b32_e32 v21, v1, v9, vcc_lo
	v_cndmask_b32_e32 v22, v5, v13, vcc_lo
	v_cndmask_b32_e64 v1, v1, v9, s5
	v_cndmask_b32_e64 v5, v5, v13, s5
	v_cmp_eq_u32_e32 vcc_lo, 2, v132
	v_cmp_eq_u32_e64 s5, 2, v131
	v_cndmask_b32_e64 v9, v17, v2, s7
	v_cndmask_b32_e64 v13, v18, v6, s7
	;; [unrolled: 1-line block ×4, first 2 shown]
	v_cndmask_b32_e32 v19, v21, v2, vcc_lo
	v_cmp_eq_u32_e64 s4, 3, v132
	v_cndmask_b32_e32 v20, v22, v6, vcc_lo
	v_cndmask_b32_e64 v1, v1, v2, s5
	v_cmp_eq_u32_e32 vcc_lo, 3, v131
	v_cmp_eq_u32_e64 s6, 3, v129
	v_cndmask_b32_e64 v2, v5, v6, s5
	v_cmp_eq_u32_e64 s5, 3, v130
	v_cmp_eq_u32_e64 s7, 4, v129
	v_cndmask_b32_e32 v1, v1, v10, vcc_lo
	v_cndmask_b32_e64 v5, v9, v10, s6
	v_cndmask_b32_e64 v6, v13, v14, s6
	;; [unrolled: 1-line block ×3, first 2 shown]
	v_cmp_eq_u32_e64 s6, 4, v130
	v_cndmask_b32_e64 v13, v18, v14, s5
	v_cndmask_b32_e64 v17, v19, v10, s4
	;; [unrolled: 1-line block ×3, first 2 shown]
	v_cndmask_b32_e32 v2, v2, v14, vcc_lo
	v_cmp_eq_u32_e32 vcc_lo, 4, v132
	v_cmp_eq_u32_e64 s5, 4, v131
	v_lshrrev_b32_e32 v15, 16, v7
	v_cndmask_b32_e64 v5, v5, v3, s7
	v_cndmask_b32_e64 v6, v6, v7, s7
	v_cndmask_b32_e32 v14, v18, v7, vcc_lo
	v_cndmask_b32_e64 v9, v9, v3, s6
	v_cndmask_b32_e64 v10, v13, v7, s6
	v_cndmask_b32_e32 v13, v17, v3, vcc_lo
	v_cmp_eq_u32_e64 s4, 5, v132
	v_cndmask_b32_e64 v1, v1, v3, s5
	v_cmp_eq_u32_e32 vcc_lo, 5, v131
	v_cmp_eq_u32_e64 s6, 5, v129
	v_cndmask_b32_e64 v2, v2, v7, s5
	v_cmp_eq_u32_e64 s5, 5, v130
	v_cmp_eq_u32_e64 s7, 6, v129
	v_lshrrev_b32_e32 v12, 16, v4
	v_cndmask_b32_e64 v3, v5, v11, s6
	v_cndmask_b32_e64 v5, v6, v15, s6
	;; [unrolled: 1-line block ×3, first 2 shown]
	v_cmp_eq_u32_e64 s6, 6, v130
	v_cndmask_b32_e64 v7, v10, v15, s5
	v_cndmask_b32_e64 v9, v13, v11, s4
	;; [unrolled: 1-line block ×3, first 2 shown]
	v_cndmask_b32_e32 v1, v1, v11, vcc_lo
	v_cndmask_b32_e32 v2, v2, v15, vcc_lo
	v_cmp_eq_u32_e32 vcc_lo, 6, v132
	v_cmp_eq_u32_e64 s4, 6, v131
	v_lshrrev_b32_e32 v16, 16, v8
	v_cndmask_b32_e64 v3, v3, v4, s7
	v_cndmask_b32_e64 v5, v5, v8, s7
	v_cndmask_b32_e32 v9, v9, v4, vcc_lo
	v_cndmask_b32_e64 v6, v6, v4, s6
	v_cndmask_b32_e64 v7, v7, v8, s6
	v_cmp_eq_u32_e64 s5, 7, v132
	v_cndmask_b32_e32 v10, v10, v8, vcc_lo
	v_cndmask_b32_e64 v1, v1, v4, s4
	v_cmp_eq_u32_e32 vcc_lo, 7, v131
	v_cndmask_b32_e64 v2, v2, v8, s4
	v_cmp_eq_u32_e64 s4, 7, v129
	v_cmp_eq_u32_e64 s6, 7, v130
	v_cndmask_b32_e32 v1, v1, v12, vcc_lo
	s_delay_alu instid0(VALU_DEP_4) | instskip(NEXT) | instid1(VALU_DEP_4)
	v_cndmask_b32_e32 v2, v2, v16, vcc_lo
	v_cndmask_b32_e64 v8, v3, v12, s4
	s_delay_alu instid0(VALU_DEP_4)
	v_cndmask_b32_e64 v6, v6, v12, s6
	v_cndmask_b32_e64 v3, v9, v12, s5
	;; [unrolled: 1-line block ×5, first 2 shown]
	v_cmp_gt_u32_e32 vcc_lo, 32, v0
	v_perm_b32 v4, v2, v1, 0x5040100
	v_perm_b32 v3, v9, v3, 0x5040100
	;; [unrolled: 1-line block ×4, first 2 shown]
	s_and_b32 s2, vcc_lo, s2
	ds_store_b128 v134, v[1:4]
	s_waitcnt lgkmcnt(0)
	s_barrier
	buffer_gl0_inv
	s_and_saveexec_b32 s4, s2
	s_cbranch_execz .LBB66_2
; %bb.15:
	s_load_b64 s[4:5], s[0:1], 0x68
	v_lshlrev_b32_e32 v0, 10, v0
	v_lshlrev_b32_e32 v1, 4, v147
	s_lshl_b32 s0, s36, 6
	v_add_nc_u32_e32 v2, s33, v146
	s_mul_i32 s1, s0, s34
	s_delay_alu instid0(SALU_CYCLE_1) | instskip(SKIP_1) | instid1(VALU_DEP_2)
	s_mul_i32 s6, s1, s8
	v_and_or_b32 v0, 0x3800, v0, v1
	v_mul_lo_u32 v1, v2, s0
	s_ashr_i32 s7, s6, 31
	v_add_nc_u32_e32 v3, 2, v2
	s_lshl_b64 s[6:7], s[6:7], 1
	v_add_nc_u32_e32 v4, 4, v2
	v_add_nc_u32_e32 v5, 6, v2
	v_lshl_or_b32 v15, v146, 6, v0
	v_mul_lo_u32 v3, v3, s0
	v_ashrrev_i32_e32 v2, 31, v1
	v_mul_lo_u32 v19, v4, s0
	v_mul_lo_u32 v21, v5, s0
	s_waitcnt lgkmcnt(0)
	s_add_u32 s1, s4, s6
	s_addc_u32 s2, s5, s7
	s_lshl_b32 s4, s14, 6
	v_lshlrev_b64 v[5:6], 1, v[1:2]
	s_ashr_i32 s5, s4, 31
	v_ashrrev_i32_e32 v4, 31, v3
	s_lshl_b64 s[4:5], s[4:5], 1
	v_ashrrev_i32_e32 v20, 31, v19
	s_add_u32 s1, s1, s4
	s_addc_u32 s2, s2, s5
	v_add_co_u32 v1, s1, s1, v145
	s_delay_alu instid0(VALU_DEP_1) | instskip(SKIP_1) | instid1(VALU_DEP_3)
	v_add_co_ci_u32_e64 v2, null, s2, 0, s1
	v_lshlrev_b64 v[25:26], 1, v[3:4]
	v_add_co_u32 v23, vcc_lo, v1, v5
	s_delay_alu instid0(VALU_DEP_3)
	v_add_co_ci_u32_e32 v24, vcc_lo, v2, v6, vcc_lo
	ds_load_b128 v[3:6], v15
	ds_load_b128 v[7:10], v15 offset:128
	ds_load_b128 v[11:14], v15 offset:256
	;; [unrolled: 1-line block ×3, first 2 shown]
	v_ashrrev_i32_e32 v22, 31, v21
	v_lshlrev_b64 v[19:20], 1, v[19:20]
	v_add_co_u32 v25, vcc_lo, v1, v25
	v_add_co_ci_u32_e32 v26, vcc_lo, v2, v26, vcc_lo
	s_delay_alu instid0(VALU_DEP_4) | instskip(NEXT) | instid1(VALU_DEP_4)
	v_lshlrev_b64 v[21:22], 1, v[21:22]
	v_add_co_u32 v19, vcc_lo, v1, v19
	v_add_co_ci_u32_e32 v20, vcc_lo, v2, v20, vcc_lo
	s_delay_alu instid0(VALU_DEP_3) | instskip(NEXT) | instid1(VALU_DEP_4)
	v_add_co_u32 v21, vcc_lo, v1, v21
	v_add_co_ci_u32_e32 v22, vcc_lo, v2, v22, vcc_lo
	s_waitcnt lgkmcnt(3)
	global_store_b128 v[23:24], v[3:6], off
	s_waitcnt lgkmcnt(2)
	global_store_b128 v[25:26], v[7:10], off
	;; [unrolled: 2-line block ×4, first 2 shown]
	s_and_b32 exec_lo, exec_lo, s3
	s_cbranch_execz .LBB66_2
; %bb.16:
	ds_load_b128 v[3:6], v0 offset:512
	s_add_i32 s1, s33, 8
	s_delay_alu instid0(SALU_CYCLE_1) | instskip(NEXT) | instid1(SALU_CYCLE_1)
	s_mul_i32 s0, s1, s0
	s_ashr_i32 s1, s0, 31
	s_delay_alu instid0(SALU_CYCLE_1) | instskip(NEXT) | instid1(SALU_CYCLE_1)
	s_lshl_b64 s[0:1], s[0:1], 1
	v_add_co_u32 v0, vcc_lo, v1, s0
	v_add_co_ci_u32_e32 v1, vcc_lo, s1, v2, vcc_lo
	s_waitcnt lgkmcnt(0)
	global_store_b128 v[0:1], v[3:6], off
	s_nop 0
	s_sendmsg sendmsg(MSG_DEALLOC_VGPRS)
	s_endpgm
	.section	.rodata,"a",@progbits
	.p2align	6, 0x0
	.amdhsa_kernel _Z39paged_attention_ll4mi_QKV_mfma16_kernelIDF16_DF16_LN4vllm18Fp8KVCacheDataTypeE0EDF16_Li16ELi64ELi256ELb1ELi9EL8MFMAType0EEvPKT_PKT0_S8_ifPKiSA_SA_iPKfiiiPfSD_PS3_PT2_iSC_SC_
		.amdhsa_group_segment_fixed_size 17472
		.amdhsa_private_segment_fixed_size 0
		.amdhsa_kernarg_size 400
		.amdhsa_user_sgpr_count 13
		.amdhsa_user_sgpr_dispatch_ptr 0
		.amdhsa_user_sgpr_queue_ptr 0
		.amdhsa_user_sgpr_kernarg_segment_ptr 1
		.amdhsa_user_sgpr_dispatch_id 0
		.amdhsa_user_sgpr_private_segment_size 0
		.amdhsa_wavefront_size32 1
		.amdhsa_uses_dynamic_stack 0
		.amdhsa_enable_private_segment 0
		.amdhsa_system_sgpr_workgroup_id_x 1
		.amdhsa_system_sgpr_workgroup_id_y 1
		.amdhsa_system_sgpr_workgroup_id_z 1
		.amdhsa_system_sgpr_workgroup_info 0
		.amdhsa_system_vgpr_workitem_id 0
		.amdhsa_next_free_vgpr 198
		.amdhsa_next_free_sgpr 52
		.amdhsa_reserve_vcc 1
		.amdhsa_float_round_mode_32 0
		.amdhsa_float_round_mode_16_64 0
		.amdhsa_float_denorm_mode_32 3
		.amdhsa_float_denorm_mode_16_64 3
		.amdhsa_dx10_clamp 1
		.amdhsa_ieee_mode 1
		.amdhsa_fp16_overflow 0
		.amdhsa_workgroup_processor_mode 1
		.amdhsa_memory_ordered 1
		.amdhsa_forward_progress 0
		.amdhsa_shared_vgpr_count 0
		.amdhsa_exception_fp_ieee_invalid_op 0
		.amdhsa_exception_fp_denorm_src 0
		.amdhsa_exception_fp_ieee_div_zero 0
		.amdhsa_exception_fp_ieee_overflow 0
		.amdhsa_exception_fp_ieee_underflow 0
		.amdhsa_exception_fp_ieee_inexact 0
		.amdhsa_exception_int_div_zero 0
	.end_amdhsa_kernel
	.section	.text._Z39paged_attention_ll4mi_QKV_mfma16_kernelIDF16_DF16_LN4vllm18Fp8KVCacheDataTypeE0EDF16_Li16ELi64ELi256ELb1ELi9EL8MFMAType0EEvPKT_PKT0_S8_ifPKiSA_SA_iPKfiiiPfSD_PS3_PT2_iSC_SC_,"axG",@progbits,_Z39paged_attention_ll4mi_QKV_mfma16_kernelIDF16_DF16_LN4vllm18Fp8KVCacheDataTypeE0EDF16_Li16ELi64ELi256ELb1ELi9EL8MFMAType0EEvPKT_PKT0_S8_ifPKiSA_SA_iPKfiiiPfSD_PS3_PT2_iSC_SC_,comdat
.Lfunc_end66:
	.size	_Z39paged_attention_ll4mi_QKV_mfma16_kernelIDF16_DF16_LN4vllm18Fp8KVCacheDataTypeE0EDF16_Li16ELi64ELi256ELb1ELi9EL8MFMAType0EEvPKT_PKT0_S8_ifPKiSA_SA_iPKfiiiPfSD_PS3_PT2_iSC_SC_, .Lfunc_end66-_Z39paged_attention_ll4mi_QKV_mfma16_kernelIDF16_DF16_LN4vllm18Fp8KVCacheDataTypeE0EDF16_Li16ELi64ELi256ELb1ELi9EL8MFMAType0EEvPKT_PKT0_S8_ifPKiSA_SA_iPKfiiiPfSD_PS3_PT2_iSC_SC_
                                        ; -- End function
	.section	.AMDGPU.csdata,"",@progbits
; Kernel info:
; codeLenInByte = 7952
; NumSgprs: 54
; NumVgprs: 198
; ScratchSize: 0
; MemoryBound: 0
; FloatMode: 240
; IeeeMode: 1
; LDSByteSize: 17472 bytes/workgroup (compile time only)
; SGPRBlocks: 6
; VGPRBlocks: 24
; NumSGPRsForWavesPerEU: 54
; NumVGPRsForWavesPerEU: 198
; Occupancy: 7
; WaveLimiterHint : 1
; COMPUTE_PGM_RSRC2:SCRATCH_EN: 0
; COMPUTE_PGM_RSRC2:USER_SGPR: 13
; COMPUTE_PGM_RSRC2:TRAP_HANDLER: 0
; COMPUTE_PGM_RSRC2:TGID_X_EN: 1
; COMPUTE_PGM_RSRC2:TGID_Y_EN: 1
; COMPUTE_PGM_RSRC2:TGID_Z_EN: 1
; COMPUTE_PGM_RSRC2:TIDIG_COMP_CNT: 0
	.section	.text._Z39paged_attention_ll4mi_QKV_mfma16_kernelIDF16_DF16_LN4vllm18Fp8KVCacheDataTypeE0EDF16_Li16ELi64ELi256ELb1ELi10EL8MFMAType0EEvPKT_PKT0_S8_ifPKiSA_SA_iPKfiiiPfSD_PS3_PT2_iSC_SC_,"axG",@progbits,_Z39paged_attention_ll4mi_QKV_mfma16_kernelIDF16_DF16_LN4vllm18Fp8KVCacheDataTypeE0EDF16_Li16ELi64ELi256ELb1ELi10EL8MFMAType0EEvPKT_PKT0_S8_ifPKiSA_SA_iPKfiiiPfSD_PS3_PT2_iSC_SC_,comdat
	.protected	_Z39paged_attention_ll4mi_QKV_mfma16_kernelIDF16_DF16_LN4vllm18Fp8KVCacheDataTypeE0EDF16_Li16ELi64ELi256ELb1ELi10EL8MFMAType0EEvPKT_PKT0_S8_ifPKiSA_SA_iPKfiiiPfSD_PS3_PT2_iSC_SC_ ; -- Begin function _Z39paged_attention_ll4mi_QKV_mfma16_kernelIDF16_DF16_LN4vllm18Fp8KVCacheDataTypeE0EDF16_Li16ELi64ELi256ELb1ELi10EL8MFMAType0EEvPKT_PKT0_S8_ifPKiSA_SA_iPKfiiiPfSD_PS3_PT2_iSC_SC_
	.globl	_Z39paged_attention_ll4mi_QKV_mfma16_kernelIDF16_DF16_LN4vllm18Fp8KVCacheDataTypeE0EDF16_Li16ELi64ELi256ELb1ELi10EL8MFMAType0EEvPKT_PKT0_S8_ifPKiSA_SA_iPKfiiiPfSD_PS3_PT2_iSC_SC_
	.p2align	8
	.type	_Z39paged_attention_ll4mi_QKV_mfma16_kernelIDF16_DF16_LN4vllm18Fp8KVCacheDataTypeE0EDF16_Li16ELi64ELi256ELb1ELi10EL8MFMAType0EEvPKT_PKT0_S8_ifPKiSA_SA_iPKfiiiPfSD_PS3_PT2_iSC_SC_,@function
_Z39paged_attention_ll4mi_QKV_mfma16_kernelIDF16_DF16_LN4vllm18Fp8KVCacheDataTypeE0EDF16_Li16ELi64ELi256ELb1ELi10EL8MFMAType0EEvPKT_PKT0_S8_ifPKiSA_SA_iPKfiiiPfSD_PS3_PT2_iSC_SC_: ; @_Z39paged_attention_ll4mi_QKV_mfma16_kernelIDF16_DF16_LN4vllm18Fp8KVCacheDataTypeE0EDF16_Li16ELi64ELi256ELb1ELi10EL8MFMAType0EEvPKT_PKT0_S8_ifPKiSA_SA_iPKfiiiPfSD_PS3_PT2_iSC_SC_
; %bb.0:
	s_load_b64 s[2:3], s[0:1], 0x30
	s_mov_b32 s34, s13
	s_waitcnt lgkmcnt(0)
	s_cmp_lg_u64 s[2:3], 0
	s_cselect_b32 s6, -1, 0
	s_ashr_i32 s35, s13, 31
	s_cmp_eq_u64 s[2:3], 0
	s_cbranch_scc1 .LBB67_3
; %bb.1:
	s_lshl_b64 s[4:5], s[34:35], 2
	s_delay_alu instid0(SALU_CYCLE_1) | instskip(SKIP_4) | instid1(SALU_CYCLE_1)
	s_add_u32 s4, s2, s4
	s_addc_u32 s5, s3, s5
	s_load_b64 s[4:5], s[4:5], 0x0
	s_waitcnt lgkmcnt(0)
	s_sub_i32 s4, s5, s4
	s_cmp_eq_u32 s4, 1
	s_cselect_b32 s4, -1, 0
	s_delay_alu instid0(SALU_CYCLE_1)
	s_and_not1_b32 vcc_lo, exec_lo, s4
	s_cbranch_vccz .LBB67_4
.LBB67_2:
	s_endpgm
.LBB67_3:
.LBB67_4:
	s_load_b64 s[8:9], s[0:1], 0x28
	s_lshl_b64 s[4:5], s[34:35], 2
	s_waitcnt lgkmcnt(0)
	s_add_u32 s8, s8, s4
	s_addc_u32 s9, s9, s5
	s_lshl_b32 s35, s14, 8
	s_load_b32 s30, s[8:9], 0x0
	s_waitcnt lgkmcnt(0)
	s_cmp_ge_i32 s35, s30
	s_cbranch_scc1 .LBB67_2
; %bb.5:
	s_clause 0x1
	s_load_b128 s[8:11], s[0:1], 0x8
	s_load_b64 s[12:13], s[0:1], 0x20
	s_and_not1_b32 vcc_lo, exec_lo, s6
	s_cbranch_vccnz .LBB67_7
; %bb.6:
	s_add_u32 s2, s2, s4
	s_addc_u32 s3, s3, s5
	s_load_b32 s3, s[2:3], 0x0
	s_branch .LBB67_8
.LBB67_7:
	s_mov_b32 s3, s34
.LBB67_8:
	s_load_b128 s[4:7], s[0:1], 0x48
	v_and_b32_e32 v148, 15, v0
	v_cmp_gt_u32_e32 vcc_lo, 0xa0, v0
	v_lshrrev_b32_e32 v149, 5, v0
	v_and_b32_e32 v150, 31, v0
	v_and_b32_e32 v147, 1, v0
	v_lshlrev_b32_e32 v1, 3, v148
	v_cmp_gt_u32_e64 s2, 8, v148
	v_bfe_u32 v146, v0, 4, 1
	s_mul_i32 s31, s15, 10
	s_delay_alu instid0(VALU_DEP_3) | instskip(NEXT) | instid1(VALU_DEP_3)
	v_lshlrev_b32_e32 v145, 1, v1
	s_and_b32 s16, vcc_lo, s2
	s_waitcnt lgkmcnt(0)
	s_and_saveexec_b32 s7, s16
	s_cbranch_execz .LBB67_10
; %bb.9:
	s_load_b64 s[16:17], s[0:1], 0x0
	v_lshl_or_b32 v5, v149, 1, v146
	s_mul_hi_i32 s19, s3, s4
	s_mul_i32 s18, s3, s4
	v_lshlrev_b32_e32 v6, 10, v148
	s_lshl_b64 s[18:19], s[18:19], 1
	v_add_lshl_u32 v1, v5, s31, 6
	v_lshlrev_b32_e32 v5, 6, v5
	v_lshlrev_b32_e32 v7, 10, v147
	v_and_b32_e32 v6, 0x3800, v6
	s_delay_alu instid0(VALU_DEP_4) | instskip(NEXT) | instid1(VALU_DEP_2)
	v_ashrrev_i32_e32 v2, 31, v1
	v_or3_b32 v5, v6, v7, v5
	s_delay_alu instid0(VALU_DEP_2) | instskip(SKIP_3) | instid1(VALU_DEP_1)
	v_lshlrev_b64 v[1:2], 1, v[1:2]
	s_waitcnt lgkmcnt(0)
	s_add_u32 s3, s16, s18
	s_addc_u32 s4, s17, s19
	v_add_co_u32 v1, vcc_lo, s3, v1
	s_delay_alu instid0(VALU_DEP_2) | instskip(NEXT) | instid1(VALU_DEP_2)
	v_add_co_ci_u32_e32 v2, vcc_lo, s4, v2, vcc_lo
	v_add_co_u32 v1, vcc_lo, v1, v145
	s_delay_alu instid0(VALU_DEP_2)
	v_add_co_ci_u32_e32 v2, vcc_lo, 0, v2, vcc_lo
	global_load_b128 v[1:4], v[1:2], off
	s_waitcnt vmcnt(0)
	ds_store_b128 v5, v[1:4]
.LBB67_10:
	s_or_b32 exec_lo, exec_lo, s7
	s_mov_b32 s40, 0
	s_add_i32 s3, s30, 15
	s_mov_b32 s41, s40
	s_mov_b32 s42, s40
	;; [unrolled: 1-line block ×7, first 2 shown]
	s_delay_alu instid0(SALU_CYCLE_1)
	v_dual_mov_b32 v144, s47 :: v_dual_and_b32 v1, 0xef, v0
	v_mov_b32_e32 v142, s45
	s_ashr_i32 s7, s3, 31
	s_clause 0x1
	s_load_b32 s4, s[0:1], 0x38
	s_load_b32 s33, s[0:1], 0x98
	v_add_nc_u32_e32 v1, s35, v1
	s_lshr_b32 s7, s7, 28
	s_load_b32 s36, s[0:1], 0x1c
	s_add_i32 s3, s3, s7
	s_waitcnt lgkmcnt(0)
	v_ashrrev_i32_e32 v2, 31, v1
	v_or_b32_e32 v3, 16, v1
	s_ashr_i32 s3, s3, 4
	v_cmp_gt_i32_e32 vcc_lo, s30, v1
	s_add_i32 s3, s3, -1
	v_lshrrev_b32_e32 v2, 28, v2
	v_mov_b32_e32 v143, s46
	s_barrier
	buffer_gl0_inv
	s_mul_i32 s6, s15, s6
	v_dual_mov_b32 v141, s44 :: v_dual_add_nc_u32 v4, v1, v2
	v_mov_b32_e32 v139, s42
	s_mul_i32 s16, s34, s4
	v_mov_b32_e32 v137, s40
	s_delay_alu instid0(VALU_DEP_3)
	v_ashrrev_i32_e32 v4, 4, v4
	v_add_nc_u32_e32 v2, v3, v2
	s_ashr_i32 s17, s16, 31
	v_mov_b32_e32 v140, s43
	s_lshl_b64 s[16:17], s[16:17], 2
	v_cndmask_b32_e32 v1, s3, v4, vcc_lo
	v_ashrrev_i32_e32 v2, 4, v2
	v_cmp_gt_i32_e32 vcc_lo, s30, v3
	s_add_u32 s4, s12, s16
	s_addc_u32 s37, s13, s17
	s_ashr_i32 s7, s6, 31
	v_mov_b32_e32 v138, s41
	v_cndmask_b32_e32 v3, s3, v2, vcc_lo
	v_ashrrev_i32_e32 v2, 31, v1
	s_lshl_b64 s[6:7], s[6:7], 1
	s_delay_alu instid0(SALU_CYCLE_1) | instskip(NEXT) | instid1(VALU_DEP_2)
	s_add_u32 s24, s8, s6
	v_ashrrev_i32_e32 v4, 31, v3
	s_delay_alu instid0(VALU_DEP_2) | instskip(SKIP_2) | instid1(VALU_DEP_2)
	v_lshlrev_b64 v[1:2], 2, v[1:2]
	s_addc_u32 s25, s9, s7
	s_lshl_b32 s8, s14, 4
	v_lshlrev_b64 v[3:4], 2, v[3:4]
	s_ashr_i32 s9, s8, 31
	s_delay_alu instid0(VALU_DEP_2) | instskip(SKIP_1) | instid1(VALU_DEP_3)
	v_add_co_u32 v1, vcc_lo, s4, v1
	v_add_co_ci_u32_e32 v2, vcc_lo, s37, v2, vcc_lo
	v_add_co_u32 v3, vcc_lo, s4, v3
	s_delay_alu instid0(VALU_DEP_4)
	v_add_co_ci_u32_e32 v4, vcc_lo, s37, v4, vcc_lo
	s_clause 0x1
	global_load_b32 v5, v[1:2], off
	global_load_b32 v6, v[3:4], off
	s_lshl_b64 s[8:9], s[8:9], 2
	v_lshlrev_b32_e32 v3, 4, v0
	s_add_u32 s8, s4, s8
	s_addc_u32 s9, s37, s9
	s_or_b32 s12, s35, 16
	s_delay_alu instid0(SALU_CYCLE_1) | instskip(SKIP_2) | instid1(SALU_CYCLE_1)
	s_ashr_i32 s13, s12, 4
	s_cmp_lt_i32 s12, s30
	s_cselect_b32 s12, s13, s3
	s_ashr_i32 s13, s12, 31
	s_delay_alu instid0(SALU_CYCLE_1) | instskip(NEXT) | instid1(SALU_CYCLE_1)
	s_lshl_b64 s[12:13], s[12:13], 2
	s_add_u32 s12, s4, s12
	s_addc_u32 s13, s37, s13
	s_or_b32 s15, s35, 32
	s_delay_alu instid0(SALU_CYCLE_1) | instskip(SKIP_2) | instid1(SALU_CYCLE_1)
	s_ashr_i32 s16, s15, 4
	s_cmp_lt_i32 s15, s30
	s_cselect_b32 s16, s16, s3
	s_ashr_i32 s17, s16, 31
	s_delay_alu instid0(SALU_CYCLE_1) | instskip(NEXT) | instid1(SALU_CYCLE_1)
	s_lshl_b64 s[16:17], s[16:17], 2
	s_add_u32 s16, s4, s16
	s_addc_u32 s17, s37, s17
	s_or_b32 s15, s35, 48
	s_delay_alu instid0(SALU_CYCLE_1) | instskip(SKIP_2) | instid1(SALU_CYCLE_1)
	s_ashr_i32 s18, s15, 4
	s_cmp_lt_i32 s15, s30
	s_cselect_b32 s18, s18, s3
	s_ashr_i32 s19, s18, 31
	s_delay_alu instid0(SALU_CYCLE_1) | instskip(NEXT) | instid1(SALU_CYCLE_1)
	s_lshl_b64 s[18:19], s[18:19], 2
	s_add_u32 s18, s4, s18
	s_addc_u32 s19, s37, s19
	s_or_b32 s15, s35, 64
	s_delay_alu instid0(SALU_CYCLE_1) | instskip(SKIP_2) | instid1(SALU_CYCLE_1)
	s_ashr_i32 s20, s15, 4
	s_cmp_lt_i32 s15, s30
	s_cselect_b32 s20, s20, s3
	s_ashr_i32 s21, s20, 31
	s_delay_alu instid0(SALU_CYCLE_1) | instskip(NEXT) | instid1(SALU_CYCLE_1)
	s_lshl_b64 s[20:21], s[20:21], 2
	s_add_u32 s20, s4, s20
	s_addc_u32 s21, s37, s21
	s_or_b32 s15, s35, 0x50
	s_delay_alu instid0(SALU_CYCLE_1) | instskip(SKIP_2) | instid1(SALU_CYCLE_1)
	s_ashr_i32 s22, s15, 4
	s_cmp_lt_i32 s15, s30
	s_cselect_b32 s22, s22, s3
	s_ashr_i32 s23, s22, 31
	s_delay_alu instid0(SALU_CYCLE_1) | instskip(NEXT) | instid1(SALU_CYCLE_1)
	s_lshl_b64 s[22:23], s[22:23], 2
	s_add_u32 s22, s4, s22
	s_addc_u32 s23, s37, s23
	s_clause 0x5
	s_load_b32 s8, s[8:9], 0x0
	s_load_b32 s12, s[12:13], 0x0
	;; [unrolled: 1-line block ×6, first 2 shown]
	s_waitcnt lgkmcnt(0)
	s_mul_hi_i32 s17, s16, s5
	s_mul_i32 s16, s16, s5
	s_waitcnt vmcnt(1)
	v_mad_i64_i32 v[1:2], null, v5, s5, 0
	v_and_b32_e32 v5, 0xf0, v3
	s_waitcnt vmcnt(0)
	v_mad_i64_i32 v[3:4], null, v6, s5, 0
	s_delay_alu instid0(VALU_DEP_2) | instskip(NEXT) | instid1(VALU_DEP_4)
	v_add_co_u32 v7, s9, s24, v5
	v_lshlrev_b64 v[1:2], 1, v[1:2]
	v_add_co_ci_u32_e64 v8, null, s25, 0, s9
	s_delay_alu instid0(VALU_DEP_4) | instskip(SKIP_1) | instid1(VALU_DEP_3)
	v_lshlrev_b64 v[5:6], 1, v[3:4]
	s_or_b32 s9, s35, 0x60
	v_add_co_u32 v3, vcc_lo, v7, v1
	s_delay_alu instid0(VALU_DEP_3) | instskip(NEXT) | instid1(VALU_DEP_3)
	v_add_co_ci_u32_e32 v4, vcc_lo, v8, v2, vcc_lo
	v_add_co_u32 v1, vcc_lo, v7, v5
	s_delay_alu instid0(VALU_DEP_4)
	v_add_co_ci_u32_e32 v2, vcc_lo, v8, v6, vcc_lo
	s_clause 0x9
	global_load_b128 v[9:12], v[3:4], off
	global_load_b128 v[13:16], v[3:4], off offset:256
	global_load_b128 v[129:132], v[1:2], off
	global_load_b128 v[133:136], v[1:2], off offset:256
	global_load_b128 v[41:44], v[3:4], off offset:512
	;; [unrolled: 1-line block ×7, first 2 shown]
	v_add_nc_u32_e32 v5, -10, v148
	v_cmp_gt_u32_e32 vcc_lo, 10, v148
	s_clause 0x1
	global_load_b128 v[151:154], v[1:2], off offset:1024
	global_load_b128 v[155:158], v[1:2], off offset:1280
	s_ashr_i32 s13, s9, 4
	s_cmp_lt_i32 s9, s30
	v_lshlrev_b32_e32 v6, 5, v148
	v_cndmask_b32_e32 v5, v5, v148, vcc_lo
	s_cselect_b32 s22, s13, s3
	s_delay_alu instid0(SALU_CYCLE_1) | instskip(NEXT) | instid1(VALU_DEP_2)
	s_ashr_i32 s23, s22, 31
	v_lshl_or_b32 v6, v149, 9, v6
	s_delay_alu instid0(VALU_DEP_2)
	v_lshlrev_b32_e32 v197, 6, v5
	ds_load_b128 v[159:162], v197
	ds_load_b128 v[163:166], v197 offset:1024
	s_clause 0x3
	global_load_b128 v[167:170], v[3:4], off offset:1536
	global_load_b128 v[171:174], v[3:4], off offset:1792
	;; [unrolled: 1-line block ×4, first 2 shown]
	s_lshl_b64 s[22:23], s[22:23], 2
	s_delay_alu instid0(SALU_CYCLE_1)
	s_add_u32 s22, s4, s22
	s_addc_u32 s23, s37, s23
	s_or_b32 s9, s35, 0x70
	s_load_b32 s46, s[22:23], 0x0
	s_ashr_i32 s13, s9, 4
	s_cmp_lt_i32 s9, s30
	s_cselect_b32 s24, s13, s3
	s_delay_alu instid0(SALU_CYCLE_1) | instskip(NEXT) | instid1(SALU_CYCLE_1)
	s_ashr_i32 s25, s24, 31
	s_lshl_b64 s[24:25], s[24:25], 2
	s_delay_alu instid0(SALU_CYCLE_1)
	s_add_u32 s24, s4, s24
	s_addc_u32 s25, s37, s25
	s_or_b32 s9, s35, 0x80
	s_load_b32 s47, s[24:25], 0x0
	s_ashr_i32 s13, s9, 4
	s_cmp_lt_i32 s9, s30
	s_cselect_b32 s26, s13, s3
	s_delay_alu instid0(SALU_CYCLE_1) | instskip(NEXT) | instid1(SALU_CYCLE_1)
	s_ashr_i32 s27, s26, 31
	;; [unrolled: 11-line block ×3, first 2 shown]
	s_lshl_b64 s[28:29], s[28:29], 2
	s_delay_alu instid0(SALU_CYCLE_1) | instskip(SKIP_2) | instid1(SALU_CYCLE_1)
	s_add_u32 s28, s4, s28
	s_addc_u32 s29, s37, s29
	s_or_b32 s9, s35, 0xa0
	s_ashr_i32 s13, s9, 4
	s_cmp_lt_i32 s9, s30
	s_cselect_b32 s38, s13, s3
	s_delay_alu instid0(SALU_CYCLE_1) | instskip(NEXT) | instid1(SALU_CYCLE_1)
	s_ashr_i32 s39, s38, 31
	s_lshl_b64 s[38:39], s[38:39], 2
	s_delay_alu instid0(SALU_CYCLE_1) | instskip(SKIP_2) | instid1(SALU_CYCLE_1)
	s_add_u32 s38, s4, s38
	s_addc_u32 s39, s37, s39
	s_or_b32 s9, s35, 0xb0
	s_ashr_i32 s13, s9, 4
	s_cmp_lt_i32 s9, s30
	s_mul_hi_i32 s9, s8, s5
	s_cselect_b32 s40, s13, s3
	s_mul_i32 s8, s8, s5
	s_ashr_i32 s41, s40, 31
	s_mul_hi_i32 s13, s12, s5
	s_lshl_b64 s[40:41], s[40:41], 2
	s_mul_i32 s12, s12, s5
	s_add_u32 s42, s4, s40
	s_addc_u32 s43, s37, s41
	s_or_b32 s19, s35, 0xc0
	s_delay_alu instid0(SALU_CYCLE_1)
	s_ashr_i32 s21, s19, 4
	s_cmp_lt_i32 s19, s30
	s_mul_hi_i32 s19, s18, s5
	s_cselect_b32 s40, s21, s3
	s_mul_i32 s18, s18, s5
	s_ashr_i32 s41, s40, 31
	s_mul_hi_i32 s21, s20, s5
	s_lshl_b64 s[40:41], s[40:41], 2
	s_mul_i32 s20, s20, s5
	s_add_u32 s44, s4, s40
	s_addc_u32 s45, s37, s41
	s_load_b32 s41, s[28:29], 0x0
	s_or_b32 s40, s35, 0xd0
	s_mul_hi_i32 s23, s15, s5
	s_ashr_i32 s22, s40, 4
	s_cmp_lt_i32 s40, s30
	s_load_b32 s40, s[38:39], 0x0
	s_cselect_b32 s24, s22, s3
	s_mul_i32 s22, s15, s5
	s_ashr_i32 s25, s24, 31
	s_waitcnt lgkmcnt(0)
	s_mul_hi_i32 s29, s48, s5
	s_lshl_b64 s[24:25], s[24:25], 2
	s_mul_i32 s28, s48, s5
	s_add_u32 s24, s4, s24
	s_addc_u32 s25, s37, s25
	s_or_b32 s49, s35, 0xe0
	s_clause 0x2
	s_load_b32 s39, s[42:43], 0x0
	s_load_b32 s38, s[44:45], 0x0
	;; [unrolled: 1-line block ×3, first 2 shown]
	s_ashr_i32 s50, s49, 4
	s_cmp_lt_i32 s49, s30
	s_mul_hi_i32 s25, s46, s5
	s_cselect_b32 s44, s50, s3
	s_mul_i32 s24, s46, s5
	s_ashr_i32 s45, s44, 31
	s_mul_hi_i32 s27, s47, s5
	s_lshl_b64 s[44:45], s[44:45], 2
	s_mul_i32 s26, s47, s5
	s_add_u32 s44, s4, s44
	s_addc_u32 s45, s37, s45
	s_or_b32 s46, s35, 0xf0
	s_mul_hi_i32 s43, s41, s5
	s_ashr_i32 s48, s46, 4
	s_cmp_lt_i32 s46, s30
	s_mul_i32 s42, s41, s5
	s_cselect_b32 s48, s48, s3
	s_mul_hi_i32 s41, s40, s5
	s_ashr_i32 s49, s48, 31
	s_mul_i32 s40, s40, s5
	s_lshl_b64 s[48:49], s[48:49], 2
	s_waitcnt lgkmcnt(0)
	s_mul_hi_i32 s47, s39, s5
	s_add_u32 s48, s4, s48
	s_addc_u32 s49, s37, s49
	s_add_u32 s3, s10, s6
	s_addc_u32 s4, s11, s7
	v_add_co_u32 v195, s3, s3, v6
	s_delay_alu instid0(VALU_DEP_1) | instskip(SKIP_2) | instid1(VALU_DEP_2)
	v_add_co_ci_u32_e64 v196, null, s4, 0, s3
	s_lshl_b64 s[6:7], s[8:9], 1
	s_lshl_b64 s[8:9], s[12:13], 1
	v_add_co_u32 v1, vcc_lo, v195, s6
	s_delay_alu instid0(VALU_DEP_2)
	v_add_co_ci_u32_e32 v2, vcc_lo, s7, v196, vcc_lo
	v_add_co_u32 v3, vcc_lo, v195, s8
	s_lshl_b64 s[10:11], s[16:17], 1
	v_add_co_ci_u32_e32 v4, vcc_lo, s9, v196, vcc_lo
	v_add_co_u32 v5, vcc_lo, v195, s10
	s_lshl_b64 s[12:13], s[18:19], 1
	v_add_co_ci_u32_e32 v6, vcc_lo, s11, v196, vcc_lo
	v_add_co_u32 v7, vcc_lo, v195, s12
	s_lshl_b64 s[16:17], s[20:21], 1
	v_add_co_ci_u32_e32 v8, vcc_lo, s13, v196, vcc_lo
	v_add_co_u32 v25, vcc_lo, v195, s16
	s_lshl_b64 s[18:19], s[22:23], 1
	v_add_co_ci_u32_e32 v26, vcc_lo, s17, v196, vcc_lo
	v_add_co_u32 v27, vcc_lo, v195, s18
	s_lshl_b64 s[20:21], s[24:25], 1
	v_add_co_ci_u32_e32 v28, vcc_lo, s19, v196, vcc_lo
	v_add_co_u32 v29, vcc_lo, v195, s20
	s_lshl_b64 s[22:23], s[26:27], 1
	v_add_co_ci_u32_e32 v30, vcc_lo, s21, v196, vcc_lo
	v_add_co_u32 v31, vcc_lo, v195, s22
	s_lshl_b64 s[24:25], s[28:29], 1
	v_add_co_ci_u32_e32 v32, vcc_lo, s23, v196, vcc_lo
	v_add_co_u32 v49, vcc_lo, v195, s24
	s_lshl_b64 s[26:27], s[42:43], 1
	v_add_co_ci_u32_e32 v50, vcc_lo, s25, v196, vcc_lo
	v_add_co_u32 v53, vcc_lo, v195, s26
	s_lshl_b64 s[28:29], s[40:41], 1
	s_mul_i32 s46, s39, s5
	v_add_co_ci_u32_e32 v54, vcc_lo, s27, v196, vcc_lo
	v_add_co_u32 v183, vcc_lo, v195, s28
	s_lshl_b64 s[40:41], s[46:47], 1
	s_mul_hi_i32 s39, s38, s5
	s_mul_i32 s38, s38, s5
	v_add_co_ci_u32_e32 v184, vcc_lo, s29, v196, vcc_lo
	v_add_co_u32 v185, vcc_lo, v195, s40
	s_lshl_b64 s[38:39], s[38:39], 1
	s_clause 0x1
	s_load_b32 s3, s[44:45], 0x0
	s_load_b32 s4, s[48:49], 0x0
	v_add_co_ci_u32_e32 v186, vcc_lo, s41, v196, vcc_lo
	v_add_co_u32 v191, vcc_lo, v195, s38
	v_add_co_ci_u32_e32 v192, vcc_lo, s39, v196, vcc_lo
	s_clause 0x17
	global_load_b128 v[121:124], v[1:2], off
	global_load_b128 v[125:128], v[1:2], off offset:16
	global_load_b128 v[113:116], v[3:4], off
	global_load_b128 v[117:120], v[3:4], off offset:16
	;; [unrolled: 2-line block ×12, first 2 shown]
	s_mul_hi_i32 s51, s15, s5
	s_mul_i32 s50, s15, s5
	s_delay_alu instid0(SALU_CYCLE_1) | instskip(NEXT) | instid1(SALU_CYCLE_1)
	s_lshl_b64 s[42:43], s[50:51], 1
	v_add_co_u32 v193, vcc_lo, v195, s42
	v_add_co_ci_u32_e32 v194, vcc_lo, s43, v196, vcc_lo
	s_waitcnt lgkmcnt(0)
	s_mul_hi_i32 s7, s3, s5
	s_mul_i32 s6, s3, s5
	s_mul_hi_i32 s9, s4, s5
	s_lshl_b64 s[6:7], s[6:7], 1
	s_mul_i32 s8, s4, s5
	s_delay_alu instid0(SALU_CYCLE_1)
	s_lshl_b64 s[4:5], s[8:9], 1
	s_waitcnt vmcnt(38)
	v_wmma_f32_16x16x16_f16 v[183:190], v[9:16], v[159:166], v[137:144]
	s_waitcnt vmcnt(36)
	v_wmma_f32_16x16x16_f16 v[137:144], v[129:136], v[159:166], v[137:144]
	s_clause 0x1
	global_load_b128 v[9:12], v[191:192], off
	global_load_b128 v[13:16], v[191:192], off offset:16
	ds_load_b128 v[129:132], v197 offset:2048
	ds_load_b128 v[133:136], v197 offset:3072
	;; [unrolled: 1-line block ×4, first 2 shown]
	v_add_co_u32 v191, vcc_lo, v195, s6
	v_add_co_ci_u32_e32 v192, vcc_lo, s7, v196, vcc_lo
	v_add_co_u32 v195, vcc_lo, v195, s4
	v_add_co_ci_u32_e32 v196, vcc_lo, s5, v196, vcc_lo
	s_waitcnt vmcnt(36) lgkmcnt(2)
	v_wmma_f32_16x16x16_f16 v[183:190], v[41:48], v[129:136], v[183:190]
	s_waitcnt vmcnt(34)
	v_wmma_f32_16x16x16_f16 v[137:144], v[33:40], v[129:136], v[137:144]
	s_clause 0x3
	global_load_b128 v[33:36], v[193:194], off
	global_load_b128 v[37:40], v[193:194], off offset:16
	global_load_b128 v[41:44], v[191:192], off
	global_load_b128 v[45:48], v[191:192], off offset:16
	v_and_b32_e32 v129, 0xe0, v0
	v_mbcnt_lo_u32_b32 v191, -1, 0
	s_waitcnt vmcnt(36) lgkmcnt(0)
	v_wmma_f32_16x16x16_f16 v[183:190], v[17:24], v[159:166], v[183:190]
	s_clause 0x1
	global_load_b128 v[17:20], v[195:196], off
	global_load_b128 v[21:24], v[195:196], off offset:16
	s_waitcnt vmcnt(36)
	v_wmma_f32_16x16x16_f16 v[137:144], v[151:158], v[159:166], v[137:144]
	v_add_nc_u32_e32 v192, s35, v129
	ds_load_b128 v[129:132], v197 offset:6144
	ds_load_b128 v[133:136], v197 offset:7168
	v_xor_b32_e32 v151, 16, v191
	s_waitcnt vmcnt(0) lgkmcnt(0)
	s_barrier
	v_or_b32_e32 v152, v192, v146
	buffer_gl0_inv
	v_cmp_gt_i32_e32 vcc_lo, 32, v151
	v_or_b32_e32 v153, 2, v152
	v_or_b32_e32 v154, 4, v152
	;; [unrolled: 1-line block ×5, first 2 shown]
	v_cmp_gt_i32_e64 s3, s30, v153
	v_cmp_gt_i32_e64 s4, s30, v154
	;; [unrolled: 1-line block ×3, first 2 shown]
	v_or_b32_e32 v158, 12, v152
	v_or_b32_e32 v159, 14, v152
	v_cmp_gt_i32_e64 s6, s30, v156
	v_wmma_f32_16x16x16_f16 v[183:190], v[167:174], v[129:136], v[183:190]
	v_wmma_f32_16x16x16_f16 v[137:144], v[175:182], v[129:136], v[137:144]
	v_cndmask_b32_e32 v151, v191, v151, vcc_lo
	v_cmp_gt_i32_e32 vcc_lo, s30, v152
	v_cmp_gt_i32_e64 s7, s30, v157
	v_dual_mul_f32 v135, s36, v184 :: v_dual_mul_f32 v136, s36, v183
	v_dual_mul_f32 v133, s36, v186 :: v_dual_mul_f32 v134, s36, v185
	;; [unrolled: 1-line block ×3, first 2 shown]
	s_delay_alu instid0(VALU_DEP_3) | instskip(NEXT) | instid1(VALU_DEP_4)
	v_cndmask_b32_e32 v136, 0xff7fffff, v136, vcc_lo
	v_cndmask_b32_e64 v135, 0xff7fffff, v135, s3
	v_mul_f32_e32 v132, s36, v187
	v_cndmask_b32_e64 v134, 0xff7fffff, v134, s4
	v_cndmask_b32_e64 v133, 0xff7fffff, v133, s5
	v_or_b32_e32 v160, 16, v152
	v_max3_f32 v135, v136, 0xff7fffff, v135
	v_or_b32_e32 v161, 18, v152
	v_mul_f32_e32 v130, s36, v189
	v_dual_mul_f32 v172, s36, v140 :: v_dual_mul_f32 v129, s36, v190
	v_cndmask_b32_e64 v132, 0xff7fffff, v132, s6
	v_cndmask_b32_e64 v131, 0xff7fffff, v131, s7
	v_max3_f32 v133, v135, v134, v133
	v_cmp_gt_i32_e64 s8, s30, v158
	v_cmp_gt_i32_e64 s9, s30, v159
	v_or_b32_e32 v162, 20, v152
	v_or_b32_e32 v163, 22, v152
	v_mul_f32_e32 v175, s36, v137
	v_cndmask_b32_e64 v130, 0xff7fffff, v130, s8
	v_cndmask_b32_e64 v129, 0xff7fffff, v129, s9
	v_max3_f32 v131, v133, v132, v131
	v_cmp_gt_i32_e64 s10, s30, v160
	v_cmp_gt_i32_e64 s11, s30, v161
	v_or_b32_e32 v164, 24, v152
	v_or_b32_e32 v165, 26, v152
	v_mul_f32_e32 v173, s36, v139
	v_cndmask_b32_e64 v132, 0xff7fffff, v175, s10
	v_cndmask_b32_e64 v133, 0xff7fffff, v174, s11
	v_max3_f32 v129, v131, v130, v129
	v_cmp_gt_i32_e64 s12, s30, v162
	v_cmp_gt_i32_e64 s13, s30, v163
	v_or_b32_e32 v166, 28, v152
	v_or_b32_e32 v167, 30, v152
	v_dual_mul_f32 v170, s36, v142 :: v_dual_mul_f32 v171, s36, v141
	v_cndmask_b32_e64 v130, 0xff7fffff, v173, s12
	v_cndmask_b32_e64 v131, 0xff7fffff, v172, s13
	v_max3_f32 v129, v129, v132, v133
	v_cmp_gt_i32_e64 s15, s30, v164
	v_cmp_gt_i32_e64 s16, s30, v165
	v_dual_mul_f32 v168, s36, v144 :: v_dual_mul_f32 v169, s36, v143
	s_delay_alu instid0(VALU_DEP_4) | instskip(NEXT) | instid1(VALU_DEP_4)
	v_max3_f32 v129, v129, v130, v131
	v_cndmask_b32_e64 v132, 0xff7fffff, v171, s15
	s_delay_alu instid0(VALU_DEP_4) | instskip(SKIP_2) | instid1(VALU_DEP_3)
	v_cndmask_b32_e64 v133, 0xff7fffff, v170, s16
	v_cmp_gt_i32_e64 s17, s30, v166
	v_cmp_gt_i32_e64 s18, s30, v167
	v_max3_f32 v129, v129, v132, v133
	s_delay_alu instid0(VALU_DEP_3) | instskip(NEXT) | instid1(VALU_DEP_3)
	v_cndmask_b32_e64 v130, 0xff7fffff, v169, s17
	v_cndmask_b32_e64 v131, 0xff7fffff, v168, s18
	v_lshlrev_b32_e32 v132, 2, v151
	s_delay_alu instid0(VALU_DEP_2) | instskip(SKIP_3) | instid1(VALU_DEP_1)
	v_max3_f32 v129, v129, v130, v131
	ds_bpermute_b32 v130, v132, v129
	s_waitcnt lgkmcnt(0)
	v_max_f32_e32 v130, v130, v130
	v_max_f32_e32 v129, v129, v130
	s_delay_alu instid0(VALU_DEP_1) | instskip(SKIP_4) | instid1(VALU_DEP_4)
	v_fma_f32 v134, s36, v186, -v129
	v_fma_f32 v135, s36, v187, -v129
	;; [unrolled: 1-line block ×5, first 2 shown]
	v_dual_mul_f32 v134, 0x3fb8aa3b, v134 :: v_dual_mul_f32 v135, 0x3fb8aa3b, v135
	s_delay_alu instid0(VALU_DEP_4) | instskip(SKIP_1) | instid1(VALU_DEP_3)
	v_mul_f32_e32 v130, 0x3fb8aa3b, v130
	v_fma_f32 v136, s36, v189, -v129
	v_exp_f32_e32 v134, v134
	s_delay_alu instid0(VALU_DEP_3) | instskip(NEXT) | instid1(VALU_DEP_2)
	v_exp_f32_e32 v135, v135
	v_exp_f32_e32 v130, v130
	s_delay_alu instid0(VALU_DEP_1) | instskip(NEXT) | instid1(VALU_DEP_1)
	v_mul_f32_e32 v136, 0x3fb8aa3b, v136
	v_exp_f32_e32 v136, v136
	v_cndmask_b32_e64 v153, 0, v134, s5
	v_fma_f32 v134, s36, v137, -v129
	v_mul_f32_e32 v131, 0x3fb8aa3b, v131
	s_delay_alu instid0(TRANS32_DEP_3) | instskip(NEXT) | instid1(TRANS32_DEP_2)
	v_cndmask_b32_e64 v155, 0, v135, s6
	v_dual_mul_f32 v133, 0x3fb8aa3b, v133 :: v_dual_cndmask_b32 v152, 0, v130
	s_delay_alu instid0(VALU_DEP_4) | instskip(NEXT) | instid1(VALU_DEP_4)
	v_mul_f32_e32 v134, 0x3fb8aa3b, v134
	v_exp_f32_e32 v131, v131
	v_fma_f32 v135, s36, v138, -v129
	s_delay_alu instid0(VALU_DEP_3)
	v_exp_f32_e32 v133, v133
	v_fma_f32 v130, s36, v188, -v129
	v_cndmask_b32_e64 v156, 0, v136, s8
	v_fma_f32 v136, s36, v140, -v129
	v_mul_f32_e32 v135, 0x3fb8aa3b, v135
	v_exp_f32_e32 v134, v134
	v_mul_f32_e32 v130, 0x3fb8aa3b, v130
	s_delay_alu instid0(TRANS32_DEP_3) | instskip(SKIP_1) | instid1(TRANS32_DEP_2)
	v_cndmask_b32_e64 v151, 0, v131, s3
	v_add_f32_e32 v131, 0, v152
	v_cndmask_b32_e64 v154, 0, v133, s4
	v_exp_f32_e32 v135, v135
	v_fma_f32 v133, s36, v190, -v129
	v_exp_f32_e32 v130, v130
	v_dual_add_f32 v131, v131, v151 :: v_dual_mul_f32 v136, 0x3fb8aa3b, v136
	s_mov_b32 s3, exec_lo
	s_delay_alu instid0(VALU_DEP_2) | instskip(NEXT) | instid1(VALU_DEP_2)
	v_mul_f32_e32 v133, 0x3fb8aa3b, v133
	v_add_f32_e32 v131, v131, v154
	s_delay_alu instid0(VALU_DEP_3) | instskip(NEXT) | instid1(TRANS32_DEP_3)
	v_exp_f32_e32 v136, v136
	v_cndmask_b32_e64 v140, 0, v135, s11
	s_delay_alu instid0(VALU_DEP_3) | instskip(NEXT) | instid1(TRANS32_DEP_3)
	v_exp_f32_e32 v133, v133
	v_cndmask_b32_e64 v138, 0, v130, s7
	v_add_f32_e32 v131, v131, v153
	v_fma_f32 v135, s36, v143, -v129
	s_delay_alu instid0(VALU_DEP_2)
	v_add_f32_e32 v130, v131, v155
	v_fma_f32 v131, s36, v139, -v129
	s_waitcnt_depctr 0xfff
	v_cndmask_b32_e64 v139, 0, v133, s9
	v_fma_f32 v133, s36, v141, -v129
	v_add_f32_e32 v130, v130, v138
	v_cndmask_b32_e64 v141, 0, v134, s10
	v_fma_f32 v134, s36, v142, -v129
	v_cndmask_b32_e64 v142, 0, v136, s13
	s_delay_alu instid0(VALU_DEP_4) | instskip(NEXT) | instid1(VALU_DEP_3)
	v_dual_mul_f32 v131, 0x3fb8aa3b, v131 :: v_dual_add_f32 v130, v130, v156
	v_mul_f32_e32 v134, 0x3fb8aa3b, v134
	s_delay_alu instid0(VALU_DEP_2) | instskip(NEXT) | instid1(VALU_DEP_2)
	v_exp_f32_e32 v131, v131
	v_add_f32_e32 v130, v130, v139
	s_delay_alu instid0(VALU_DEP_2) | instskip(NEXT) | instid1(VALU_DEP_1)
	v_exp_f32_e32 v134, v134
	v_add_f32_e32 v130, v130, v141
	s_waitcnt_depctr 0xfff
	v_cndmask_b32_e64 v143, 0, v131, s12
	v_dual_add_f32 v130, v130, v140 :: v_dual_mul_f32 v133, 0x3fb8aa3b, v133
	s_delay_alu instid0(VALU_DEP_1) | instskip(NEXT) | instid1(VALU_DEP_2)
	v_add_f32_e32 v130, v130, v143
	v_exp_f32_e32 v133, v133
	s_delay_alu instid0(VALU_DEP_1)
	v_add_f32_e32 v130, v130, v142
	s_waitcnt_depctr 0xfff
	v_cndmask_b32_e64 v157, 0, v133, s15
	v_mul_f32_e32 v131, 0x3fb8aa3b, v135
	v_fma_f32 v135, s36, v144, -v129
	v_cndmask_b32_e64 v144, 0, v134, s16
	s_delay_alu instid0(VALU_DEP_4) | instskip(NEXT) | instid1(VALU_DEP_4)
	v_add_f32_e32 v130, v130, v157
	v_exp_f32_e32 v131, v131
	s_delay_alu instid0(VALU_DEP_1) | instskip(NEXT) | instid1(VALU_DEP_1)
	v_dual_mul_f32 v133, 0x3fb8aa3b, v135 :: v_dual_add_f32 v130, v130, v144
	v_exp_f32_e32 v133, v133
	s_waitcnt_depctr 0xfff
	v_cndmask_b32_e64 v159, 0, v131, s17
	s_delay_alu instid0(VALU_DEP_1) | instskip(SKIP_1) | instid1(VALU_DEP_1)
	v_add_f32_e32 v130, v130, v159
	v_cndmask_b32_e64 v158, 0, v133, s18
	v_add_f32_e32 v130, v130, v158
	ds_bpermute_b32 v131, v132, v130
	v_cmpx_gt_u32_e32 16, v150
	s_cbranch_execz .LBB67_12
; %bb.11:
	v_mul_u32_u24_e32 v132, 0x44, v149
	s_delay_alu instid0(VALU_DEP_1) | instskip(SKIP_1) | instid1(VALU_DEP_1)
	v_lshl_add_u32 v132, v148, 2, v132
	s_waitcnt lgkmcnt(0)
	v_dual_add_f32 v130, v130, v131 :: v_dual_add_nc_u32 v131, 0x4000, v132
	ds_store_2addr_b32 v131, v129, v130 offset1:136
.LBB67_12:
	s_or_b32 exec_lo, exec_lo, s3
	v_lshlrev_b32_e32 v129, 2, v148
	s_load_b32 s35, s[0:1], 0x94
	s_waitcnt lgkmcnt(0)
	s_barrier
	buffer_gl0_inv
	v_add_nc_u32_e32 v135, 0x4000, v129
	v_cmp_eq_u32_e32 vcc_lo, 1, v149
	v_cmp_eq_u32_e64 s3, 2, v149
	v_cmp_eq_u32_e64 s4, 3, v149
	;; [unrolled: 1-line block ×3, first 2 shown]
	ds_load_2addr_b32 v[129:130], v135 offset1:17
	ds_load_2addr_b32 v[131:132], v135 offset0:34 offset1:51
	ds_load_2addr_b32 v[133:134], v135 offset0:68 offset1:85
	;; [unrolled: 1-line block ×3, first 2 shown]
	v_cmp_eq_u32_e64 s6, 5, v149
	v_cmp_eq_u32_e64 s7, 7, v149
	s_waitcnt lgkmcnt(3)
	v_max3_f32 v136, v129, 0xff7fffff, v130
	s_waitcnt lgkmcnt(2)
	s_delay_alu instid0(VALU_DEP_1) | instskip(SKIP_1) | instid1(VALU_DEP_1)
	v_max3_f32 v136, v136, v131, v132
	s_waitcnt lgkmcnt(1)
	v_max3_f32 v136, v136, v133, v134
	s_waitcnt lgkmcnt(0)
	s_delay_alu instid0(VALU_DEP_1) | instskip(NEXT) | instid1(VALU_DEP_1)
	v_max3_f32 v136, v136, v160, v161
	v_sub_f32_e32 v164, v132, v136
	ds_load_2addr_b32 v[162:163], v135 offset0:136 offset1:153
	v_sub_f32_e32 v129, v129, v136
	v_sub_f32_e32 v137, v130, v136
	;; [unrolled: 1-line block ×3, first 2 shown]
	v_mul_f32_e32 v164, 0x3fb8aa3b, v164
	s_delay_alu instid0(VALU_DEP_4) | instskip(NEXT) | instid1(VALU_DEP_4)
	v_mul_f32_e32 v150, 0x3fb8aa3b, v129
	v_mul_f32_e32 v137, 0x3fb8aa3b, v137
	ds_load_2addr_b32 v[129:130], v135 offset0:170 offset1:187
	v_mul_f32_e32 v167, 0x3fb8aa3b, v133
	v_exp_f32_e32 v164, v164
	v_exp_f32_e32 v150, v150
	;; [unrolled: 1-line block ×3, first 2 shown]
	v_sub_f32_e32 v131, v131, v136
	s_delay_alu instid0(VALU_DEP_1)
	v_mul_f32_e32 v165, 0x3fb8aa3b, v131
	ds_load_2addr_b32 v[131:132], v135 offset0:204 offset1:221
	s_waitcnt lgkmcnt(2)
	v_fma_f32 v137, v150, v162, 0
	v_sub_f32_e32 v162, v134, v136
	v_exp_f32_e32 v165, v165
	ds_load_2addr_b32 v[133:134], v135 offset0:238 offset1:255
	v_sub_f32_e32 v135, v160, v136
	v_dual_fmac_f32 v137, v166, v163 :: v_dual_mul_f32 v160, 0x3fb8aa3b, v162
	v_exp_f32_e32 v162, v167
	s_waitcnt lgkmcnt(0)
	s_delay_alu instid0(VALU_DEP_2)
	v_mul_f32_e32 v135, 0x3fb8aa3b, v135
	s_barrier
	v_exp_f32_e32 v160, v160
	v_fmac_f32_e32 v137, v165, v129
	v_sub_f32_e32 v129, v161, v136
	v_exp_f32_e32 v161, v135
	buffer_gl0_inv
	v_fmac_f32_e32 v137, v164, v130
	v_dual_mul_f32 v129, 0x3fb8aa3b, v129 :: v_dual_cndmask_b32 v130, v150, v166
	s_delay_alu instid0(VALU_DEP_2) | instskip(NEXT) | instid1(VALU_DEP_2)
	v_fmac_f32_e32 v137, v162, v131
	v_exp_f32_e32 v163, v129
	s_delay_alu instid0(VALU_DEP_1) | instskip(NEXT) | instid1(VALU_DEP_1)
	v_fmac_f32_e32 v137, v160, v132
	v_fmac_f32_e32 v137, v161, v133
	v_lshlrev_b32_e32 v133, 6, v148
	s_waitcnt_depctr 0xfff
	v_fmac_f32_e32 v137, v163, v134
	v_lshl_or_b32 v135, v149, 11, v133
	s_delay_alu instid0(VALU_DEP_2) | instskip(NEXT) | instid1(VALU_DEP_1)
	v_add_f32_e32 v134, 0x358637bd, v137
	v_div_scale_f32 v167, null, v134, v134, 1.0
	v_div_scale_f32 v150, vcc_lo, 1.0, v134, 1.0
	s_delay_alu instid0(VALU_DEP_2) | instskip(SKIP_2) | instid1(VALU_DEP_1)
	v_rcp_f32_e32 v168, v167
	s_waitcnt_depctr 0xfff
	v_fma_f32 v129, -v167, v168, 1.0
	v_fmac_f32_e32 v168, v129, v168
	v_cndmask_b32_e64 v129, v130, v165, s3
	v_cmp_eq_u32_e64 s3, 6, v149
	s_delay_alu instid0(VALU_DEP_3) | instskip(NEXT) | instid1(VALU_DEP_3)
	v_mul_f32_e32 v165, v150, v168
	v_cndmask_b32_e64 v130, v129, v164, s4
	v_lshlrev_b32_e32 v129, 2, v146
	s_delay_alu instid0(VALU_DEP_3) | instskip(NEXT) | instid1(VALU_DEP_3)
	v_fma_f32 v131, -v167, v165, v150
	v_cndmask_b32_e64 v162, v130, v162, s5
	s_delay_alu instid0(VALU_DEP_3)
	v_or_b32_e32 v130, 1, v129
	v_or_b32_e32 v132, 2, v129
	v_cmp_eq_u32_e64 s4, 1, v129
	v_fmac_f32_e32 v165, v131, v168
	v_cndmask_b32_e64 v149, v162, v160, s6
	v_or_b32_e32 v131, 3, v129
	v_cmp_eq_u32_e64 s9, 1, v130
	v_cmp_eq_u32_e64 s10, 1, v132
	v_fma_f32 v150, -v167, v165, v150
	v_cndmask_b32_e64 v149, v149, v161, s3
	v_cmp_eq_u32_e64 s11, 1, v131
	v_cmp_eq_u32_e64 s5, 2, v129
	;; [unrolled: 1-line block ×3, first 2 shown]
	v_div_fmas_f32 v150, v150, v168, v165
	v_cndmask_b32_e64 v149, v149, v163, s7
	v_cmp_eq_u32_e64 s15, 2, v132
	v_cmp_eq_u32_e64 s16, 2, v131
	v_cmp_eq_u32_e32 vcc_lo, 3, v129
	v_div_fixup_f32 v150, v150, v134, 1.0
	v_lshl_or_b32 v134, v146, 4, v135
	v_cmp_eq_u32_e64 s13, 3, v130
	v_cmp_eq_u32_e64 s18, 3, v131
	;; [unrolled: 1-line block ×3, first 2 shown]
	v_mul_f32_e32 v149, v149, v150
	v_cmp_eq_u32_e64 s17, 3, v132
	v_cmp_eq_u32_e64 s19, 4, v130
	;; [unrolled: 1-line block ×4, first 2 shown]
	v_fma_mixlo_f16 v160, v149, v152, 0
	v_fma_mixlo_f16 v161, v149, v154, 0
	;; [unrolled: 1-line block ×8, first 2 shown]
	v_fma_mixhi_f16 v160, v149, v151, 0
	v_fma_mixhi_f16 v161, v149, v153, 0
	v_fma_mixhi_f16 v162, v149, v138, 0
	v_fma_mixhi_f16 v163, v149, v139, 0
	v_fma_mixhi_f16 v154, v149, v140, 0
	v_fma_mixhi_f16 v155, v149, v142, 0
	v_fma_mixhi_f16 v156, v149, v144, 0
	v_fma_mixhi_f16 v157, v149, v158, 0
	ds_store_b128 v134, v[160:163]
	ds_store_b128 v134, v[154:157] offset:1024
	s_waitcnt lgkmcnt(0)
	s_barrier
	buffer_gl0_inv
	ds_load_b128 v[138:141], v135
	ds_load_b128 v[149:152], v135 offset:16
	ds_load_b128 v[153:156], v135 offset:1024
	;; [unrolled: 1-line block ×3, first 2 shown]
	v_cmp_eq_u32_e64 s20, 5, v130
	v_cmp_eq_u32_e64 s21, 4, v132
	;; [unrolled: 1-line block ×12, first 2 shown]
	s_waitcnt lgkmcnt(3)
	v_lshrrev_b32_e32 v142, 16, v138
	s_waitcnt lgkmcnt(2)
	v_lshrrev_b32_e32 v162, 16, v149
	;; [unrolled: 2-line block ×4, first 2 shown]
	v_lshrrev_b32_e32 v143, 16, v139
	v_cndmask_b32_e64 v174, v138, v142, s4
	v_cndmask_b32_e64 v175, v149, v162, s4
	;; [unrolled: 1-line block ×7, first 2 shown]
	v_lshrrev_b32_e32 v163, 16, v150
	v_cndmask_b32_e64 v179, v149, v162, s10
	v_cndmask_b32_e64 v149, v153, v166, s4
	;; [unrolled: 1-line block ×16, first 2 shown]
	v_lshrrev_b32_e32 v167, 16, v154
	v_lshrrev_b32_e32 v171, 16, v158
	v_cndmask_b32_e64 v177, v179, v150, s15
	v_cndmask_b32_e64 v142, v149, v154, s5
	;; [unrolled: 1-line block ×7, first 2 shown]
	v_cndmask_b32_e32 v157, v166, v143, vcc_lo
	v_cndmask_b32_e32 v166, v170, v163, vcc_lo
	v_cndmask_b32_e64 v170, v174, v143, s13
	v_cndmask_b32_e64 v174, v175, v163, s13
	;; [unrolled: 1-line block ×4, first 2 shown]
	v_lshrrev_b32_e32 v144, 16, v140
	v_lshrrev_b32_e32 v164, 16, v151
	v_cndmask_b32_e64 v175, v176, v143, s17
	v_cndmask_b32_e64 v176, v177, v163, s17
	v_cndmask_b32_e32 v142, v142, v167, vcc_lo
	v_cndmask_b32_e32 v143, v149, v171, vcc_lo
	v_cndmask_b32_e64 v149, v150, v167, s13
	v_cndmask_b32_e64 v150, v157, v140, s3
	;; [unrolled: 1-line block ×7, first 2 shown]
	v_lshrrev_b32_e32 v168, 16, v155
	v_cndmask_b32_e64 v170, v175, v140, s21
	v_cndmask_b32_e64 v174, v176, v151, s21
	;; [unrolled: 1-line block ×11, first 2 shown]
	v_lshrrev_b32_e32 v161, 16, v141
	v_lshrrev_b32_e32 v165, 16, v152
	v_cndmask_b32_e64 v163, v170, v144, s23
	v_cndmask_b32_e64 v166, v174, v164, s23
	;; [unrolled: 1-line block ×9, first 2 shown]
	v_lshrrev_b32_e32 v169, 16, v156
	v_cndmask_b32_e64 v140, v140, v168, s6
	v_cndmask_b32_e64 v157, v163, v141, s26
	v_cndmask_b32_e64 v163, v166, v152, s26
	v_cndmask_b32_e64 v141, v143, v156, s25
	v_cndmask_b32_e64 v143, v144, v161, s8
	v_cndmask_b32_e64 v144, v149, v165, s8
	v_cndmask_b32_e64 v149, v150, v161, s30
	v_cndmask_b32_e64 v138, v138, v161, s29
	v_cndmask_b32_e64 v139, v139, v165, s29
	v_cndmask_b32_e64 v151, v151, v165, s30
	v_cndmask_b32_e64 v140, v140, v156, s7
	v_cndmask_b32_e64 v150, v157, v161, s28
	v_cndmask_b32_e64 v152, v163, v165, s28
	v_cndmask_b32_e64 v161, v141, v169, s30
	v_perm_b32 v141, v139, v138, 0x5040100
	v_perm_b32 v139, v151, v149, 0x5040100
	v_cndmask_b32_e64 v138, v183, v158, s15
	v_cndmask_b32_e64 v149, v181, v158, s12
	;; [unrolled: 1-line block ×3, first 2 shown]
	v_perm_b32 v140, v152, v150, 0x5040100
	v_cndmask_b32_e64 v150, v162, v167, s17
	v_cndmask_b32_e64 v151, v153, v167, s18
	;; [unrolled: 1-line block ×5, first 2 shown]
	v_lshrrev_b32_e32 v172, 16, v159
	v_cndmask_b32_e64 v150, v150, v155, s21
	v_cndmask_b32_e64 v151, v151, v155, s22
	;; [unrolled: 1-line block ×11, first 2 shown]
	v_lshrrev_b32_e32 v173, 16, v160
	v_cndmask_b32_e64 v142, v142, v160, s7
	v_cndmask_b32_e64 v150, v150, v156, s26
	;; [unrolled: 1-line block ×12, first 2 shown]
	v_perm_b32 v138, v144, v143, 0x5040100
	v_perm_b32 v152, v152, v151, 0x5040100
	;; [unrolled: 1-line block ×5, first 2 shown]
	s_mul_i32 s7, s33, 10
	s_mov_b32 s3, exec_lo
	ds_store_b128 v134, v[138:141]
	ds_store_b128 v134, v[149:152] offset:1024
	v_cmpx_gt_u32_e32 10, v0
	s_cbranch_execz .LBB67_14
; %bb.13:
	s_mul_i32 s4, s7, s34
	s_load_b128 s[8:11], s[0:1], 0x58
	v_add3_u32 v140, s4, s31, v148
	s_delay_alu instid0(VALU_DEP_1) | instskip(NEXT) | instid1(VALU_DEP_1)
	v_mad_u64_u32 v[138:139], null, v140, s35, s[14:15]
	v_ashrrev_i32_e32 v139, 31, v138
	s_delay_alu instid0(VALU_DEP_1) | instskip(SKIP_1) | instid1(VALU_DEP_1)
	v_lshlrev_b64 v[138:139], 2, v[138:139]
	s_waitcnt lgkmcnt(0)
	v_add_co_u32 v140, vcc_lo, s10, v138
	s_delay_alu instid0(VALU_DEP_2)
	v_add_co_ci_u32_e32 v141, vcc_lo, s11, v139, vcc_lo
	v_add_co_u32 v138, vcc_lo, s8, v138
	v_add_co_ci_u32_e32 v139, vcc_lo, s9, v139, vcc_lo
	global_store_b32 v[140:141], v136, off
	global_store_b32 v[138:139], v137, off
.LBB67_14:
	s_or_b32 exec_lo, exec_lo, s3
	s_waitcnt lgkmcnt(0)
	s_waitcnt_vscnt null, 0x0
	s_barrier
	buffer_gl0_inv
	ds_load_b128 v[148:151], v133
	ds_load_b128 v[152:155], v133 offset:16
	ds_load_b128 v[160:163], v133 offset:1040
	;; [unrolled: 1-line block ×5, first 2 shown]
	v_cmp_eq_u32_e32 vcc_lo, 1, v132
	v_mov_b32_e32 v136, 0
	ds_load_b128 v[176:179], v133 offset:3088
	ds_load_b128 v[172:175], v133 offset:3072
	;; [unrolled: 1-line block ×4, first 2 shown]
	v_cmp_eq_u32_e64 s3, 1, v129
	v_cmp_eq_u32_e64 s4, 1, v131
	;; [unrolled: 1-line block ×3, first 2 shown]
	v_mov_b32_e32 v137, v136
	v_mov_b32_e32 v138, v136
	;; [unrolled: 1-line block ×7, first 2 shown]
	v_cmp_eq_u32_e64 s6, 2, v129
	s_waitcnt lgkmcnt(8)
	s_delay_alu instid0(VALU_DEP_2)
	v_wmma_f32_16x16x16_f16 v[136:143], v[121:128], v[148:155], v[136:143]
	ds_load_b128 v[125:128], v133 offset:5136
	ds_load_b128 v[121:124], v133 offset:5120
	s_waitcnt lgkmcnt(8)
	v_wmma_f32_16x16x16_f16 v[136:143], v[113:120], v[156:163], v[136:143]
	ds_load_b128 v[117:120], v133 offset:6160
	ds_load_b128 v[113:116], v133 offset:6144
	s_waitcnt lgkmcnt(8)
	;; [unrolled: 4-line block ×11, first 2 shown]
	s_barrier
	buffer_gl0_inv
	v_wmma_f32_16x16x16_f16 v[136:143], v[1:8], v[73:80], v[136:143]
	s_delay_alu instid0(VALU_DEP_1) | instskip(NEXT) | instid1(VALU_DEP_1)
	v_wmma_f32_16x16x16_f16 v[136:143], v[9:16], v[65:72], v[136:143]
	v_wmma_f32_16x16x16_f16 v[136:143], v[33:40], v[57:64], v[136:143]
	s_delay_alu instid0(VALU_DEP_1) | instskip(NEXT) | instid1(VALU_DEP_1)
	v_wmma_f32_16x16x16_f16 v[136:143], v[41:48], v[49:56], v[136:143]
	v_wmma_f32_16x16x16_f16 v[136:143], v[17:24], v[25:32], v[136:143]
	s_delay_alu instid0(VALU_DEP_1) | instskip(NEXT) | instid1(VALU_DEP_2)
	v_cvt_f16_f32_e64 v1, v136
	v_cvt_f16_f32_e64 v2, v137
	s_delay_alu instid0(VALU_DEP_3) | instskip(NEXT) | instid1(VALU_DEP_4)
	v_cvt_f16_f32_e64 v3, v138
	v_cvt_f16_f32_e64 v4, v139
	;; [unrolled: 1-line block ×6, first 2 shown]
	v_pack_b32_f16 v1, v1, v2
	v_pack_b32_f16 v2, v3, v4
	;; [unrolled: 1-line block ×3, first 2 shown]
	s_delay_alu instid0(VALU_DEP_4)
	v_pack_b32_f16 v4, v7, v8
	ds_store_b128 v134, v[1:4]
	s_waitcnt lgkmcnt(0)
	s_barrier
	buffer_gl0_inv
	ds_load_b128 v[1:4], v135
	ds_load_b128 v[5:8], v135 offset:16
	s_waitcnt lgkmcnt(1)
	v_lshrrev_b32_e32 v9, 16, v1
	s_waitcnt lgkmcnt(0)
	v_lshrrev_b32_e32 v13, 16, v5
	v_lshrrev_b32_e32 v10, 16, v2
	;; [unrolled: 1-line block ×4, first 2 shown]
	v_cndmask_b32_e64 v17, v1, v9, s3
	v_cndmask_b32_e64 v18, v5, v13, s3
	;; [unrolled: 1-line block ×3, first 2 shown]
	v_cmp_eq_u32_e64 s3, 2, v130
	v_cndmask_b32_e64 v20, v5, v13, s5
	v_cndmask_b32_e32 v21, v1, v9, vcc_lo
	v_cndmask_b32_e32 v22, v5, v13, vcc_lo
	v_cndmask_b32_e64 v1, v1, v9, s4
	v_cndmask_b32_e64 v5, v5, v13, s4
	v_cmp_eq_u32_e32 vcc_lo, 2, v132
	v_cmp_eq_u32_e64 s4, 2, v131
	v_cndmask_b32_e64 v9, v17, v2, s6
	v_cndmask_b32_e64 v13, v18, v6, s6
	;; [unrolled: 1-line block ×4, first 2 shown]
	v_cndmask_b32_e32 v19, v21, v2, vcc_lo
	v_cmp_eq_u32_e64 s3, 3, v132
	v_cndmask_b32_e32 v20, v22, v6, vcc_lo
	v_cndmask_b32_e64 v1, v1, v2, s4
	v_cmp_eq_u32_e32 vcc_lo, 3, v131
	v_cmp_eq_u32_e64 s5, 3, v129
	v_cndmask_b32_e64 v2, v5, v6, s4
	v_cmp_eq_u32_e64 s4, 3, v130
	v_cmp_eq_u32_e64 s6, 4, v129
	v_cndmask_b32_e32 v1, v1, v10, vcc_lo
	v_cndmask_b32_e64 v5, v9, v10, s5
	v_cndmask_b32_e64 v6, v13, v14, s5
	;; [unrolled: 1-line block ×3, first 2 shown]
	v_cmp_eq_u32_e64 s5, 4, v130
	v_cndmask_b32_e64 v13, v18, v14, s4
	v_cndmask_b32_e64 v17, v19, v10, s3
	;; [unrolled: 1-line block ×3, first 2 shown]
	v_cndmask_b32_e32 v2, v2, v14, vcc_lo
	v_cmp_eq_u32_e32 vcc_lo, 4, v132
	v_cmp_eq_u32_e64 s4, 4, v131
	v_lshrrev_b32_e32 v15, 16, v7
	v_cndmask_b32_e64 v5, v5, v3, s6
	v_cndmask_b32_e64 v6, v6, v7, s6
	v_cndmask_b32_e32 v14, v18, v7, vcc_lo
	v_cndmask_b32_e64 v9, v9, v3, s5
	v_cndmask_b32_e64 v10, v13, v7, s5
	v_cndmask_b32_e32 v13, v17, v3, vcc_lo
	v_cmp_eq_u32_e64 s3, 5, v132
	v_cndmask_b32_e64 v1, v1, v3, s4
	v_cmp_eq_u32_e32 vcc_lo, 5, v131
	v_cmp_eq_u32_e64 s5, 5, v129
	v_cndmask_b32_e64 v2, v2, v7, s4
	v_cmp_eq_u32_e64 s4, 5, v130
	v_cmp_eq_u32_e64 s6, 6, v129
	v_lshrrev_b32_e32 v12, 16, v4
	v_cndmask_b32_e64 v3, v5, v11, s5
	v_cndmask_b32_e64 v5, v6, v15, s5
	;; [unrolled: 1-line block ×3, first 2 shown]
	v_cmp_eq_u32_e64 s5, 6, v130
	v_cndmask_b32_e64 v7, v10, v15, s4
	v_cndmask_b32_e64 v9, v13, v11, s3
	;; [unrolled: 1-line block ×3, first 2 shown]
	v_cndmask_b32_e32 v1, v1, v11, vcc_lo
	v_cndmask_b32_e32 v2, v2, v15, vcc_lo
	v_cmp_eq_u32_e32 vcc_lo, 6, v132
	v_cmp_eq_u32_e64 s3, 6, v131
	v_lshrrev_b32_e32 v16, 16, v8
	v_cndmask_b32_e64 v3, v3, v4, s6
	v_cndmask_b32_e64 v5, v5, v8, s6
	v_cndmask_b32_e32 v9, v9, v4, vcc_lo
	v_cndmask_b32_e64 v6, v6, v4, s5
	v_cndmask_b32_e64 v7, v7, v8, s5
	v_cmp_eq_u32_e64 s4, 7, v132
	v_cndmask_b32_e32 v10, v10, v8, vcc_lo
	v_cndmask_b32_e64 v1, v1, v4, s3
	v_cmp_eq_u32_e32 vcc_lo, 7, v131
	v_cndmask_b32_e64 v2, v2, v8, s3
	v_cmp_eq_u32_e64 s3, 7, v129
	v_cmp_eq_u32_e64 s5, 7, v130
	v_cndmask_b32_e32 v1, v1, v12, vcc_lo
	s_delay_alu instid0(VALU_DEP_4) | instskip(NEXT) | instid1(VALU_DEP_4)
	v_cndmask_b32_e32 v2, v2, v16, vcc_lo
	v_cndmask_b32_e64 v8, v3, v12, s3
	s_delay_alu instid0(VALU_DEP_4)
	v_cndmask_b32_e64 v6, v6, v12, s5
	v_cndmask_b32_e64 v3, v9, v12, s4
	;; [unrolled: 1-line block ×5, first 2 shown]
	v_cmp_gt_u32_e32 vcc_lo, 32, v0
	v_perm_b32 v4, v2, v1, 0x5040100
	v_perm_b32 v3, v9, v3, 0x5040100
	;; [unrolled: 1-line block ×4, first 2 shown]
	s_and_b32 s2, vcc_lo, s2
	ds_store_b128 v134, v[1:4]
	s_waitcnt lgkmcnt(0)
	s_barrier
	buffer_gl0_inv
	s_and_saveexec_b32 s3, s2
	s_cbranch_execz .LBB67_2
; %bb.15:
	s_load_b64 s[0:1], s[0:1], 0x68
	s_lshl_b32 s4, s35, 6
	v_or_b32_e32 v2, s31, v146
	s_mul_i32 s2, s4, s34
	v_lshlrev_b32_e32 v0, 10, v0
	s_mul_i32 s2, s2, s7
	v_lshlrev_b32_e32 v1, 4, v147
	s_ashr_i32 s3, s2, 31
	v_mul_lo_u32 v20, v2, s4
	s_lshl_b64 s[2:3], s[2:3], 1
	v_lshlrev_b32_e32 v3, 6, v146
	v_and_b32_e32 v0, 0x3800, v0
	s_delay_alu instid0(VALU_DEP_1) | instskip(NEXT) | instid1(VALU_DEP_4)
	v_or3_b32 v16, v0, v1, v3
	v_ashrrev_i32_e32 v21, 31, v20
	ds_load_b128 v[0:3], v16
	ds_load_b128 v[4:7], v16 offset:128
	s_waitcnt lgkmcnt(0)
	s_add_u32 s2, s0, s2
	s_addc_u32 s3, s1, s3
	s_lshl_b32 s0, s14, 6
	ds_load_b128 v[8:11], v16 offset:256
	ds_load_b128 v[12:15], v16 offset:384
	;; [unrolled: 1-line block ×3, first 2 shown]
	s_ashr_i32 s1, s0, 31
	s_delay_alu instid0(SALU_CYCLE_1) | instskip(NEXT) | instid1(SALU_CYCLE_1)
	s_lshl_b64 s[0:1], s[0:1], 1
	s_add_u32 s0, s2, s0
	s_addc_u32 s1, s3, s1
	s_lshl_b32 s2, s35, 7
	v_add_co_u32 v30, s0, s0, v145
	v_add_nc_u32_e32 v22, s2, v20
	v_lshlrev_b64 v[20:21], 1, v[20:21]
	v_add_co_ci_u32_e64 v31, null, s1, 0, s0
	s_delay_alu instid0(VALU_DEP_3) | instskip(SKIP_1) | instid1(VALU_DEP_4)
	v_add_nc_u32_e32 v24, s2, v22
	v_ashrrev_i32_e32 v23, 31, v22
	v_add_co_u32 v20, vcc_lo, v30, v20
	s_delay_alu instid0(VALU_DEP_4) | instskip(NEXT) | instid1(VALU_DEP_4)
	v_add_co_ci_u32_e32 v21, vcc_lo, v31, v21, vcc_lo
	v_add_nc_u32_e32 v26, s2, v24
	v_ashrrev_i32_e32 v25, 31, v24
	v_lshlrev_b64 v[22:23], 1, v[22:23]
	s_delay_alu instid0(VALU_DEP_3) | instskip(SKIP_1) | instid1(VALU_DEP_4)
	v_add_nc_u32_e32 v28, s2, v26
	v_ashrrev_i32_e32 v27, 31, v26
	v_lshlrev_b64 v[24:25], 1, v[24:25]
	s_delay_alu instid0(VALU_DEP_4) | instskip(NEXT) | instid1(VALU_DEP_4)
	v_add_co_u32 v22, vcc_lo, v30, v22
	v_ashrrev_i32_e32 v29, 31, v28
	s_delay_alu instid0(VALU_DEP_4) | instskip(SKIP_2) | instid1(VALU_DEP_4)
	v_lshlrev_b64 v[26:27], 1, v[26:27]
	v_add_co_ci_u32_e32 v23, vcc_lo, v31, v23, vcc_lo
	v_add_co_u32 v24, vcc_lo, v30, v24
	v_lshlrev_b64 v[28:29], 1, v[28:29]
	v_add_co_ci_u32_e32 v25, vcc_lo, v31, v25, vcc_lo
	v_add_co_u32 v26, vcc_lo, v30, v26
	v_add_co_ci_u32_e32 v27, vcc_lo, v31, v27, vcc_lo
	s_delay_alu instid0(VALU_DEP_4)
	v_add_co_u32 v28, vcc_lo, v30, v28
	v_add_co_ci_u32_e32 v29, vcc_lo, v31, v29, vcc_lo
	s_clause 0x1
	global_store_b128 v[20:21], v[0:3], off
	global_store_b128 v[22:23], v[4:7], off
	s_waitcnt lgkmcnt(2)
	global_store_b128 v[24:25], v[8:11], off
	s_waitcnt lgkmcnt(1)
	;; [unrolled: 2-line block ×3, first 2 shown]
	global_store_b128 v[28:29], v[16:19], off
	s_nop 0
	s_sendmsg sendmsg(MSG_DEALLOC_VGPRS)
	s_endpgm
	.section	.rodata,"a",@progbits
	.p2align	6, 0x0
	.amdhsa_kernel _Z39paged_attention_ll4mi_QKV_mfma16_kernelIDF16_DF16_LN4vllm18Fp8KVCacheDataTypeE0EDF16_Li16ELi64ELi256ELb1ELi10EL8MFMAType0EEvPKT_PKT0_S8_ifPKiSA_SA_iPKfiiiPfSD_PS3_PT2_iSC_SC_
		.amdhsa_group_segment_fixed_size 17472
		.amdhsa_private_segment_fixed_size 0
		.amdhsa_kernarg_size 400
		.amdhsa_user_sgpr_count 13
		.amdhsa_user_sgpr_dispatch_ptr 0
		.amdhsa_user_sgpr_queue_ptr 0
		.amdhsa_user_sgpr_kernarg_segment_ptr 1
		.amdhsa_user_sgpr_dispatch_id 0
		.amdhsa_user_sgpr_private_segment_size 0
		.amdhsa_wavefront_size32 1
		.amdhsa_uses_dynamic_stack 0
		.amdhsa_enable_private_segment 0
		.amdhsa_system_sgpr_workgroup_id_x 1
		.amdhsa_system_sgpr_workgroup_id_y 1
		.amdhsa_system_sgpr_workgroup_id_z 1
		.amdhsa_system_sgpr_workgroup_info 0
		.amdhsa_system_vgpr_workitem_id 0
		.amdhsa_next_free_vgpr 198
		.amdhsa_next_free_sgpr 52
		.amdhsa_reserve_vcc 1
		.amdhsa_float_round_mode_32 0
		.amdhsa_float_round_mode_16_64 0
		.amdhsa_float_denorm_mode_32 3
		.amdhsa_float_denorm_mode_16_64 3
		.amdhsa_dx10_clamp 1
		.amdhsa_ieee_mode 1
		.amdhsa_fp16_overflow 0
		.amdhsa_workgroup_processor_mode 1
		.amdhsa_memory_ordered 1
		.amdhsa_forward_progress 0
		.amdhsa_shared_vgpr_count 0
		.amdhsa_exception_fp_ieee_invalid_op 0
		.amdhsa_exception_fp_denorm_src 0
		.amdhsa_exception_fp_ieee_div_zero 0
		.amdhsa_exception_fp_ieee_overflow 0
		.amdhsa_exception_fp_ieee_underflow 0
		.amdhsa_exception_fp_ieee_inexact 0
		.amdhsa_exception_int_div_zero 0
	.end_amdhsa_kernel
	.section	.text._Z39paged_attention_ll4mi_QKV_mfma16_kernelIDF16_DF16_LN4vllm18Fp8KVCacheDataTypeE0EDF16_Li16ELi64ELi256ELb1ELi10EL8MFMAType0EEvPKT_PKT0_S8_ifPKiSA_SA_iPKfiiiPfSD_PS3_PT2_iSC_SC_,"axG",@progbits,_Z39paged_attention_ll4mi_QKV_mfma16_kernelIDF16_DF16_LN4vllm18Fp8KVCacheDataTypeE0EDF16_Li16ELi64ELi256ELb1ELi10EL8MFMAType0EEvPKT_PKT0_S8_ifPKiSA_SA_iPKfiiiPfSD_PS3_PT2_iSC_SC_,comdat
.Lfunc_end67:
	.size	_Z39paged_attention_ll4mi_QKV_mfma16_kernelIDF16_DF16_LN4vllm18Fp8KVCacheDataTypeE0EDF16_Li16ELi64ELi256ELb1ELi10EL8MFMAType0EEvPKT_PKT0_S8_ifPKiSA_SA_iPKfiiiPfSD_PS3_PT2_iSC_SC_, .Lfunc_end67-_Z39paged_attention_ll4mi_QKV_mfma16_kernelIDF16_DF16_LN4vllm18Fp8KVCacheDataTypeE0EDF16_Li16ELi64ELi256ELb1ELi10EL8MFMAType0EEvPKT_PKT0_S8_ifPKiSA_SA_iPKfiiiPfSD_PS3_PT2_iSC_SC_
                                        ; -- End function
	.section	.AMDGPU.csdata,"",@progbits
; Kernel info:
; codeLenInByte = 7916
; NumSgprs: 54
; NumVgprs: 198
; ScratchSize: 0
; MemoryBound: 0
; FloatMode: 240
; IeeeMode: 1
; LDSByteSize: 17472 bytes/workgroup (compile time only)
; SGPRBlocks: 6
; VGPRBlocks: 24
; NumSGPRsForWavesPerEU: 54
; NumVGPRsForWavesPerEU: 198
; Occupancy: 7
; WaveLimiterHint : 1
; COMPUTE_PGM_RSRC2:SCRATCH_EN: 0
; COMPUTE_PGM_RSRC2:USER_SGPR: 13
; COMPUTE_PGM_RSRC2:TRAP_HANDLER: 0
; COMPUTE_PGM_RSRC2:TGID_X_EN: 1
; COMPUTE_PGM_RSRC2:TGID_Y_EN: 1
; COMPUTE_PGM_RSRC2:TGID_Z_EN: 1
; COMPUTE_PGM_RSRC2:TIDIG_COMP_CNT: 0
	.section	.text._Z39paged_attention_ll4mi_QKV_mfma16_kernelIDF16_DF16_LN4vllm18Fp8KVCacheDataTypeE0EDF16_Li16ELi64ELi256ELb1ELi11EL8MFMAType0EEvPKT_PKT0_S8_ifPKiSA_SA_iPKfiiiPfSD_PS3_PT2_iSC_SC_,"axG",@progbits,_Z39paged_attention_ll4mi_QKV_mfma16_kernelIDF16_DF16_LN4vllm18Fp8KVCacheDataTypeE0EDF16_Li16ELi64ELi256ELb1ELi11EL8MFMAType0EEvPKT_PKT0_S8_ifPKiSA_SA_iPKfiiiPfSD_PS3_PT2_iSC_SC_,comdat
	.protected	_Z39paged_attention_ll4mi_QKV_mfma16_kernelIDF16_DF16_LN4vllm18Fp8KVCacheDataTypeE0EDF16_Li16ELi64ELi256ELb1ELi11EL8MFMAType0EEvPKT_PKT0_S8_ifPKiSA_SA_iPKfiiiPfSD_PS3_PT2_iSC_SC_ ; -- Begin function _Z39paged_attention_ll4mi_QKV_mfma16_kernelIDF16_DF16_LN4vllm18Fp8KVCacheDataTypeE0EDF16_Li16ELi64ELi256ELb1ELi11EL8MFMAType0EEvPKT_PKT0_S8_ifPKiSA_SA_iPKfiiiPfSD_PS3_PT2_iSC_SC_
	.globl	_Z39paged_attention_ll4mi_QKV_mfma16_kernelIDF16_DF16_LN4vllm18Fp8KVCacheDataTypeE0EDF16_Li16ELi64ELi256ELb1ELi11EL8MFMAType0EEvPKT_PKT0_S8_ifPKiSA_SA_iPKfiiiPfSD_PS3_PT2_iSC_SC_
	.p2align	8
	.type	_Z39paged_attention_ll4mi_QKV_mfma16_kernelIDF16_DF16_LN4vllm18Fp8KVCacheDataTypeE0EDF16_Li16ELi64ELi256ELb1ELi11EL8MFMAType0EEvPKT_PKT0_S8_ifPKiSA_SA_iPKfiiiPfSD_PS3_PT2_iSC_SC_,@function
_Z39paged_attention_ll4mi_QKV_mfma16_kernelIDF16_DF16_LN4vllm18Fp8KVCacheDataTypeE0EDF16_Li16ELi64ELi256ELb1ELi11EL8MFMAType0EEvPKT_PKT0_S8_ifPKiSA_SA_iPKfiiiPfSD_PS3_PT2_iSC_SC_: ; @_Z39paged_attention_ll4mi_QKV_mfma16_kernelIDF16_DF16_LN4vllm18Fp8KVCacheDataTypeE0EDF16_Li16ELi64ELi256ELb1ELi11EL8MFMAType0EEvPKT_PKT0_S8_ifPKiSA_SA_iPKfiiiPfSD_PS3_PT2_iSC_SC_
; %bb.0:
	s_load_b64 s[2:3], s[0:1], 0x30
	s_mov_b32 s34, s13
	s_waitcnt lgkmcnt(0)
	s_cmp_lg_u64 s[2:3], 0
	s_cselect_b32 s6, -1, 0
	s_ashr_i32 s35, s13, 31
	s_cmp_eq_u64 s[2:3], 0
	s_cbranch_scc1 .LBB68_3
; %bb.1:
	s_lshl_b64 s[4:5], s[34:35], 2
	s_delay_alu instid0(SALU_CYCLE_1) | instskip(SKIP_4) | instid1(SALU_CYCLE_1)
	s_add_u32 s4, s2, s4
	s_addc_u32 s5, s3, s5
	s_load_b64 s[4:5], s[4:5], 0x0
	s_waitcnt lgkmcnt(0)
	s_sub_i32 s4, s5, s4
	s_cmp_eq_u32 s4, 1
	s_cselect_b32 s4, -1, 0
	s_delay_alu instid0(SALU_CYCLE_1)
	s_and_not1_b32 vcc_lo, exec_lo, s4
	s_cbranch_vccz .LBB68_4
.LBB68_2:
	s_nop 0
	s_sendmsg sendmsg(MSG_DEALLOC_VGPRS)
	s_endpgm
.LBB68_3:
.LBB68_4:
	s_load_b64 s[8:9], s[0:1], 0x28
	s_lshl_b64 s[4:5], s[34:35], 2
	s_waitcnt lgkmcnt(0)
	s_add_u32 s8, s8, s4
	s_addc_u32 s9, s9, s5
	s_lshl_b32 s31, s14, 8
	s_load_b32 s30, s[8:9], 0x0
	s_waitcnt lgkmcnt(0)
	s_cmp_ge_i32 s31, s30
	s_cbranch_scc1 .LBB68_2
; %bb.5:
	s_clause 0x1
	s_load_b128 s[8:11], s[0:1], 0x8
	s_load_b64 s[12:13], s[0:1], 0x20
	s_and_not1_b32 vcc_lo, exec_lo, s6
	s_cbranch_vccnz .LBB68_7
; %bb.6:
	s_add_u32 s2, s2, s4
	s_addc_u32 s3, s3, s5
	s_load_b32 s3, s[2:3], 0x0
	s_branch .LBB68_8
.LBB68_7:
	s_mov_b32 s3, s34
.LBB68_8:
	s_load_b128 s[4:7], s[0:1], 0x48
	v_lshrrev_b32_e32 v149, 5, v0
	v_bfe_u32 v146, v0, 4, 1
	v_and_b32_e32 v148, 15, v0
	v_and_b32_e32 v150, 31, v0
	;; [unrolled: 1-line block ×3, first 2 shown]
	s_mul_i32 s33, s15, 11
	v_lshl_or_b32 v1, v149, 1, v146
	v_lshlrev_b32_e32 v2, 3, v148
	v_cmp_gt_u32_e64 s2, 8, v148
	s_delay_alu instid0(VALU_DEP_3) | instskip(NEXT) | instid1(VALU_DEP_3)
	v_cmp_gt_u32_e32 vcc_lo, 11, v1
	v_lshlrev_b32_e32 v145, 1, v2
	s_delay_alu instid0(VALU_DEP_3)
	s_and_b32 s16, s2, vcc_lo
	s_waitcnt lgkmcnt(0)
	s_and_saveexec_b32 s7, s16
	s_cbranch_execz .LBB68_10
; %bb.9:
	s_load_b64 s[16:17], s[0:1], 0x0
	v_add_lshl_u32 v2, v1, s33, 6
	s_mul_hi_i32 s19, s3, s4
	s_mul_i32 s18, s3, s4
	v_lshlrev_b32_e32 v6, 10, v148
	s_lshl_b64 s[18:19], s[18:19], 1
	v_ashrrev_i32_e32 v3, 31, v2
	v_lshlrev_b32_e32 v1, 6, v1
	v_lshlrev_b32_e32 v7, 10, v147
	v_and_b32_e32 v6, 0x3800, v6
	s_delay_alu instid0(VALU_DEP_4) | instskip(NEXT) | instid1(VALU_DEP_2)
	v_lshlrev_b64 v[2:3], 1, v[2:3]
	v_or3_b32 v1, v6, v7, v1
	s_waitcnt lgkmcnt(0)
	s_add_u32 s3, s16, s18
	s_addc_u32 s4, s17, s19
	s_delay_alu instid0(VALU_DEP_2) | instskip(SKIP_1) | instid1(VALU_DEP_2)
	v_add_co_u32 v2, vcc_lo, s3, v2
	v_add_co_ci_u32_e32 v3, vcc_lo, s4, v3, vcc_lo
	v_add_co_u32 v2, vcc_lo, v2, v145
	s_delay_alu instid0(VALU_DEP_2)
	v_add_co_ci_u32_e32 v3, vcc_lo, 0, v3, vcc_lo
	global_load_b128 v[2:5], v[2:3], off
	s_waitcnt vmcnt(0)
	ds_store_b128 v1, v[2:5]
.LBB68_10:
	s_or_b32 exec_lo, exec_lo, s7
	s_mov_b32 s40, 0
	s_add_i32 s3, s30, 15
	s_mov_b32 s41, s40
	s_mov_b32 s42, s40
	;; [unrolled: 1-line block ×7, first 2 shown]
	s_delay_alu instid0(SALU_CYCLE_1)
	v_dual_mov_b32 v144, s47 :: v_dual_and_b32 v1, 0xef, v0
	v_mov_b32_e32 v142, s45
	s_ashr_i32 s7, s3, 31
	s_clause 0x1
	s_load_b32 s4, s[0:1], 0x38
	s_load_b32 s35, s[0:1], 0x98
	v_add_nc_u32_e32 v1, s31, v1
	s_lshr_b32 s7, s7, 28
	s_load_b32 s36, s[0:1], 0x1c
	s_add_i32 s3, s3, s7
	s_waitcnt lgkmcnt(0)
	v_ashrrev_i32_e32 v2, 31, v1
	v_or_b32_e32 v3, 16, v1
	s_ashr_i32 s3, s3, 4
	v_cmp_gt_i32_e32 vcc_lo, s30, v1
	s_add_i32 s3, s3, -1
	v_lshrrev_b32_e32 v2, 28, v2
	v_mov_b32_e32 v143, s46
	s_barrier
	buffer_gl0_inv
	s_mul_i32 s6, s15, s6
	v_dual_mov_b32 v141, s44 :: v_dual_add_nc_u32 v4, v1, v2
	v_mov_b32_e32 v139, s42
	s_mul_i32 s16, s34, s4
	v_mov_b32_e32 v137, s40
	s_delay_alu instid0(VALU_DEP_3)
	v_ashrrev_i32_e32 v4, 4, v4
	v_add_nc_u32_e32 v2, v3, v2
	s_ashr_i32 s17, s16, 31
	v_mov_b32_e32 v140, s43
	s_lshl_b64 s[16:17], s[16:17], 2
	v_cndmask_b32_e32 v1, s3, v4, vcc_lo
	v_ashrrev_i32_e32 v2, 4, v2
	v_cmp_gt_i32_e32 vcc_lo, s30, v3
	s_add_u32 s4, s12, s16
	s_addc_u32 s37, s13, s17
	s_ashr_i32 s7, s6, 31
	v_mov_b32_e32 v138, s41
	v_cndmask_b32_e32 v3, s3, v2, vcc_lo
	v_ashrrev_i32_e32 v2, 31, v1
	s_lshl_b64 s[6:7], s[6:7], 1
	s_delay_alu instid0(SALU_CYCLE_1) | instskip(NEXT) | instid1(VALU_DEP_2)
	s_add_u32 s24, s8, s6
	v_ashrrev_i32_e32 v4, 31, v3
	s_delay_alu instid0(VALU_DEP_2) | instskip(SKIP_2) | instid1(VALU_DEP_2)
	v_lshlrev_b64 v[1:2], 2, v[1:2]
	s_addc_u32 s25, s9, s7
	s_lshl_b32 s8, s14, 4
	v_lshlrev_b64 v[3:4], 2, v[3:4]
	s_ashr_i32 s9, s8, 31
	s_delay_alu instid0(VALU_DEP_2) | instskip(SKIP_1) | instid1(VALU_DEP_3)
	v_add_co_u32 v1, vcc_lo, s4, v1
	v_add_co_ci_u32_e32 v2, vcc_lo, s37, v2, vcc_lo
	v_add_co_u32 v3, vcc_lo, s4, v3
	s_delay_alu instid0(VALU_DEP_4)
	v_add_co_ci_u32_e32 v4, vcc_lo, s37, v4, vcc_lo
	s_clause 0x1
	global_load_b32 v5, v[1:2], off
	global_load_b32 v6, v[3:4], off
	s_lshl_b64 s[8:9], s[8:9], 2
	v_lshlrev_b32_e32 v3, 4, v0
	s_add_u32 s8, s4, s8
	s_addc_u32 s9, s37, s9
	s_or_b32 s12, s31, 16
	s_delay_alu instid0(SALU_CYCLE_1) | instskip(SKIP_2) | instid1(SALU_CYCLE_1)
	s_ashr_i32 s13, s12, 4
	s_cmp_lt_i32 s12, s30
	s_cselect_b32 s12, s13, s3
	s_ashr_i32 s13, s12, 31
	s_delay_alu instid0(SALU_CYCLE_1) | instskip(NEXT) | instid1(SALU_CYCLE_1)
	s_lshl_b64 s[12:13], s[12:13], 2
	s_add_u32 s12, s4, s12
	s_addc_u32 s13, s37, s13
	s_or_b32 s15, s31, 32
	s_delay_alu instid0(SALU_CYCLE_1) | instskip(SKIP_2) | instid1(SALU_CYCLE_1)
	s_ashr_i32 s16, s15, 4
	s_cmp_lt_i32 s15, s30
	s_cselect_b32 s16, s16, s3
	s_ashr_i32 s17, s16, 31
	s_delay_alu instid0(SALU_CYCLE_1) | instskip(NEXT) | instid1(SALU_CYCLE_1)
	s_lshl_b64 s[16:17], s[16:17], 2
	;; [unrolled: 10-line block ×5, first 2 shown]
	s_add_u32 s22, s4, s22
	s_addc_u32 s23, s37, s23
	s_clause 0x5
	s_load_b32 s8, s[8:9], 0x0
	s_load_b32 s12, s[12:13], 0x0
	;; [unrolled: 1-line block ×6, first 2 shown]
	s_waitcnt lgkmcnt(0)
	s_mul_hi_i32 s17, s16, s5
	s_mul_i32 s16, s16, s5
	s_waitcnt vmcnt(1)
	v_mad_i64_i32 v[1:2], null, v5, s5, 0
	v_and_b32_e32 v5, 0xf0, v3
	s_waitcnt vmcnt(0)
	v_mad_i64_i32 v[3:4], null, v6, s5, 0
	s_delay_alu instid0(VALU_DEP_2) | instskip(NEXT) | instid1(VALU_DEP_4)
	v_add_co_u32 v7, s9, s24, v5
	v_lshlrev_b64 v[1:2], 1, v[1:2]
	v_add_co_ci_u32_e64 v8, null, s25, 0, s9
	s_delay_alu instid0(VALU_DEP_4) | instskip(SKIP_1) | instid1(VALU_DEP_3)
	v_lshlrev_b64 v[5:6], 1, v[3:4]
	s_or_b32 s9, s31, 0x60
	v_add_co_u32 v3, vcc_lo, v7, v1
	s_delay_alu instid0(VALU_DEP_3) | instskip(NEXT) | instid1(VALU_DEP_3)
	v_add_co_ci_u32_e32 v4, vcc_lo, v8, v2, vcc_lo
	v_add_co_u32 v1, vcc_lo, v7, v5
	s_delay_alu instid0(VALU_DEP_4)
	v_add_co_ci_u32_e32 v2, vcc_lo, v8, v6, vcc_lo
	s_clause 0x9
	global_load_b128 v[9:12], v[3:4], off
	global_load_b128 v[13:16], v[3:4], off offset:256
	global_load_b128 v[129:132], v[1:2], off
	global_load_b128 v[133:136], v[1:2], off offset:256
	global_load_b128 v[41:44], v[3:4], off offset:512
	;; [unrolled: 1-line block ×7, first 2 shown]
	v_add_nc_u32_e32 v5, -11, v148
	v_cmp_gt_u32_e32 vcc_lo, 11, v148
	s_clause 0x1
	global_load_b128 v[151:154], v[1:2], off offset:1024
	global_load_b128 v[155:158], v[1:2], off offset:1280
	s_ashr_i32 s13, s9, 4
	s_cmp_lt_i32 s9, s30
	v_lshlrev_b32_e32 v6, 5, v148
	v_cndmask_b32_e32 v5, v5, v148, vcc_lo
	s_cselect_b32 s22, s13, s3
	s_delay_alu instid0(SALU_CYCLE_1) | instskip(NEXT) | instid1(VALU_DEP_2)
	s_ashr_i32 s23, s22, 31
	v_lshl_or_b32 v6, v149, 9, v6
	s_delay_alu instid0(VALU_DEP_2)
	v_lshlrev_b32_e32 v197, 6, v5
	ds_load_b128 v[159:162], v197
	ds_load_b128 v[163:166], v197 offset:1024
	s_clause 0x3
	global_load_b128 v[167:170], v[3:4], off offset:1536
	global_load_b128 v[171:174], v[3:4], off offset:1792
	;; [unrolled: 1-line block ×4, first 2 shown]
	s_lshl_b64 s[22:23], s[22:23], 2
	s_delay_alu instid0(SALU_CYCLE_1)
	s_add_u32 s22, s4, s22
	s_addc_u32 s23, s37, s23
	s_or_b32 s9, s31, 0x70
	s_load_b32 s46, s[22:23], 0x0
	s_ashr_i32 s13, s9, 4
	s_cmp_lt_i32 s9, s30
	s_cselect_b32 s24, s13, s3
	s_delay_alu instid0(SALU_CYCLE_1) | instskip(NEXT) | instid1(SALU_CYCLE_1)
	s_ashr_i32 s25, s24, 31
	s_lshl_b64 s[24:25], s[24:25], 2
	s_delay_alu instid0(SALU_CYCLE_1)
	s_add_u32 s24, s4, s24
	s_addc_u32 s25, s37, s25
	s_or_b32 s9, s31, 0x80
	s_load_b32 s47, s[24:25], 0x0
	s_ashr_i32 s13, s9, 4
	s_cmp_lt_i32 s9, s30
	s_cselect_b32 s26, s13, s3
	s_delay_alu instid0(SALU_CYCLE_1) | instskip(NEXT) | instid1(SALU_CYCLE_1)
	s_ashr_i32 s27, s26, 31
	;; [unrolled: 11-line block ×3, first 2 shown]
	s_lshl_b64 s[28:29], s[28:29], 2
	s_delay_alu instid0(SALU_CYCLE_1) | instskip(SKIP_2) | instid1(SALU_CYCLE_1)
	s_add_u32 s28, s4, s28
	s_addc_u32 s29, s37, s29
	s_or_b32 s9, s31, 0xa0
	s_ashr_i32 s13, s9, 4
	s_cmp_lt_i32 s9, s30
	s_cselect_b32 s38, s13, s3
	s_delay_alu instid0(SALU_CYCLE_1) | instskip(NEXT) | instid1(SALU_CYCLE_1)
	s_ashr_i32 s39, s38, 31
	s_lshl_b64 s[38:39], s[38:39], 2
	s_delay_alu instid0(SALU_CYCLE_1) | instskip(SKIP_2) | instid1(SALU_CYCLE_1)
	s_add_u32 s38, s4, s38
	s_addc_u32 s39, s37, s39
	s_or_b32 s9, s31, 0xb0
	s_ashr_i32 s13, s9, 4
	s_cmp_lt_i32 s9, s30
	s_mul_hi_i32 s9, s8, s5
	s_cselect_b32 s40, s13, s3
	s_mul_i32 s8, s8, s5
	s_ashr_i32 s41, s40, 31
	s_mul_hi_i32 s13, s12, s5
	s_lshl_b64 s[40:41], s[40:41], 2
	s_mul_i32 s12, s12, s5
	s_add_u32 s42, s4, s40
	s_addc_u32 s43, s37, s41
	s_or_b32 s19, s31, 0xc0
	s_delay_alu instid0(SALU_CYCLE_1)
	s_ashr_i32 s21, s19, 4
	s_cmp_lt_i32 s19, s30
	s_mul_hi_i32 s19, s18, s5
	s_cselect_b32 s40, s21, s3
	s_mul_i32 s18, s18, s5
	s_ashr_i32 s41, s40, 31
	s_mul_hi_i32 s21, s20, s5
	s_lshl_b64 s[40:41], s[40:41], 2
	s_mul_i32 s20, s20, s5
	s_add_u32 s44, s4, s40
	s_addc_u32 s45, s37, s41
	s_load_b32 s41, s[28:29], 0x0
	s_or_b32 s40, s31, 0xd0
	s_mul_hi_i32 s23, s15, s5
	s_ashr_i32 s22, s40, 4
	s_cmp_lt_i32 s40, s30
	s_load_b32 s40, s[38:39], 0x0
	s_cselect_b32 s24, s22, s3
	s_mul_i32 s22, s15, s5
	s_ashr_i32 s25, s24, 31
	s_waitcnt lgkmcnt(0)
	s_mul_hi_i32 s29, s48, s5
	s_lshl_b64 s[24:25], s[24:25], 2
	s_mul_i32 s28, s48, s5
	s_add_u32 s24, s4, s24
	s_addc_u32 s25, s37, s25
	s_or_b32 s49, s31, 0xe0
	s_clause 0x2
	s_load_b32 s39, s[42:43], 0x0
	s_load_b32 s38, s[44:45], 0x0
	s_load_b32 s15, s[24:25], 0x0
	s_ashr_i32 s50, s49, 4
	s_cmp_lt_i32 s49, s30
	s_mul_hi_i32 s25, s46, s5
	s_cselect_b32 s44, s50, s3
	s_mul_i32 s24, s46, s5
	s_ashr_i32 s45, s44, 31
	s_mul_hi_i32 s27, s47, s5
	s_lshl_b64 s[44:45], s[44:45], 2
	s_mul_i32 s26, s47, s5
	s_add_u32 s44, s4, s44
	s_addc_u32 s45, s37, s45
	s_or_b32 s46, s31, 0xf0
	s_mul_hi_i32 s43, s41, s5
	s_ashr_i32 s48, s46, 4
	s_cmp_lt_i32 s46, s30
	s_mul_i32 s42, s41, s5
	s_cselect_b32 s48, s48, s3
	s_mul_hi_i32 s41, s40, s5
	s_ashr_i32 s49, s48, 31
	s_mul_i32 s40, s40, s5
	s_lshl_b64 s[48:49], s[48:49], 2
	s_waitcnt lgkmcnt(0)
	s_mul_hi_i32 s47, s39, s5
	s_add_u32 s48, s4, s48
	s_addc_u32 s49, s37, s49
	s_add_u32 s3, s10, s6
	s_addc_u32 s4, s11, s7
	v_add_co_u32 v195, s3, s3, v6
	s_delay_alu instid0(VALU_DEP_1) | instskip(SKIP_2) | instid1(VALU_DEP_2)
	v_add_co_ci_u32_e64 v196, null, s4, 0, s3
	s_lshl_b64 s[6:7], s[8:9], 1
	s_lshl_b64 s[8:9], s[12:13], 1
	v_add_co_u32 v1, vcc_lo, v195, s6
	s_delay_alu instid0(VALU_DEP_2)
	v_add_co_ci_u32_e32 v2, vcc_lo, s7, v196, vcc_lo
	v_add_co_u32 v3, vcc_lo, v195, s8
	s_lshl_b64 s[10:11], s[16:17], 1
	v_add_co_ci_u32_e32 v4, vcc_lo, s9, v196, vcc_lo
	v_add_co_u32 v5, vcc_lo, v195, s10
	s_lshl_b64 s[12:13], s[18:19], 1
	;; [unrolled: 3-line block ×9, first 2 shown]
	s_mul_i32 s46, s39, s5
	v_add_co_ci_u32_e32 v54, vcc_lo, s27, v196, vcc_lo
	v_add_co_u32 v183, vcc_lo, v195, s28
	s_lshl_b64 s[40:41], s[46:47], 1
	s_mul_hi_i32 s39, s38, s5
	s_mul_i32 s38, s38, s5
	v_add_co_ci_u32_e32 v184, vcc_lo, s29, v196, vcc_lo
	v_add_co_u32 v185, vcc_lo, v195, s40
	s_lshl_b64 s[38:39], s[38:39], 1
	s_clause 0x1
	s_load_b32 s3, s[44:45], 0x0
	s_load_b32 s4, s[48:49], 0x0
	v_add_co_ci_u32_e32 v186, vcc_lo, s41, v196, vcc_lo
	v_add_co_u32 v191, vcc_lo, v195, s38
	v_add_co_ci_u32_e32 v192, vcc_lo, s39, v196, vcc_lo
	s_clause 0x17
	global_load_b128 v[121:124], v[1:2], off
	global_load_b128 v[125:128], v[1:2], off offset:16
	global_load_b128 v[113:116], v[3:4], off
	global_load_b128 v[117:120], v[3:4], off offset:16
	;; [unrolled: 2-line block ×12, first 2 shown]
	s_mul_hi_i32 s51, s15, s5
	s_mul_i32 s50, s15, s5
	s_delay_alu instid0(SALU_CYCLE_1) | instskip(NEXT) | instid1(SALU_CYCLE_1)
	s_lshl_b64 s[42:43], s[50:51], 1
	v_add_co_u32 v193, vcc_lo, v195, s42
	v_add_co_ci_u32_e32 v194, vcc_lo, s43, v196, vcc_lo
	s_waitcnt lgkmcnt(0)
	s_mul_hi_i32 s7, s3, s5
	s_mul_i32 s6, s3, s5
	s_mul_hi_i32 s9, s4, s5
	s_lshl_b64 s[6:7], s[6:7], 1
	s_mul_i32 s8, s4, s5
	s_delay_alu instid0(SALU_CYCLE_1)
	s_lshl_b64 s[4:5], s[8:9], 1
	s_waitcnt vmcnt(38)
	v_wmma_f32_16x16x16_f16 v[183:190], v[9:16], v[159:166], v[137:144]
	s_waitcnt vmcnt(36)
	v_wmma_f32_16x16x16_f16 v[137:144], v[129:136], v[159:166], v[137:144]
	s_clause 0x1
	global_load_b128 v[9:12], v[191:192], off
	global_load_b128 v[13:16], v[191:192], off offset:16
	ds_load_b128 v[129:132], v197 offset:2048
	ds_load_b128 v[133:136], v197 offset:3072
	;; [unrolled: 1-line block ×4, first 2 shown]
	v_add_co_u32 v191, vcc_lo, v195, s6
	v_add_co_ci_u32_e32 v192, vcc_lo, s7, v196, vcc_lo
	v_add_co_u32 v195, vcc_lo, v195, s4
	v_add_co_ci_u32_e32 v196, vcc_lo, s5, v196, vcc_lo
	s_waitcnt vmcnt(36) lgkmcnt(2)
	v_wmma_f32_16x16x16_f16 v[183:190], v[41:48], v[129:136], v[183:190]
	s_waitcnt vmcnt(34)
	v_wmma_f32_16x16x16_f16 v[137:144], v[33:40], v[129:136], v[137:144]
	s_clause 0x3
	global_load_b128 v[33:36], v[193:194], off
	global_load_b128 v[37:40], v[193:194], off offset:16
	global_load_b128 v[41:44], v[191:192], off
	global_load_b128 v[45:48], v[191:192], off offset:16
	v_and_b32_e32 v129, 0xe0, v0
	v_mbcnt_lo_u32_b32 v191, -1, 0
	s_waitcnt vmcnt(36) lgkmcnt(0)
	v_wmma_f32_16x16x16_f16 v[183:190], v[17:24], v[159:166], v[183:190]
	s_clause 0x1
	global_load_b128 v[17:20], v[195:196], off
	global_load_b128 v[21:24], v[195:196], off offset:16
	s_waitcnt vmcnt(36)
	v_wmma_f32_16x16x16_f16 v[137:144], v[151:158], v[159:166], v[137:144]
	v_add_nc_u32_e32 v192, s31, v129
	ds_load_b128 v[129:132], v197 offset:6144
	ds_load_b128 v[133:136], v197 offset:7168
	v_xor_b32_e32 v151, 16, v191
	s_waitcnt vmcnt(0) lgkmcnt(0)
	s_barrier
	v_or_b32_e32 v152, v192, v146
	buffer_gl0_inv
	v_cmp_gt_i32_e32 vcc_lo, 32, v151
	v_or_b32_e32 v153, 2, v152
	v_or_b32_e32 v154, 4, v152
	;; [unrolled: 1-line block ×5, first 2 shown]
	v_cmp_gt_i32_e64 s3, s30, v153
	v_cmp_gt_i32_e64 s4, s30, v154
	;; [unrolled: 1-line block ×3, first 2 shown]
	v_or_b32_e32 v158, 12, v152
	v_or_b32_e32 v159, 14, v152
	v_cmp_gt_i32_e64 s6, s30, v156
	v_wmma_f32_16x16x16_f16 v[183:190], v[167:174], v[129:136], v[183:190]
	v_wmma_f32_16x16x16_f16 v[137:144], v[175:182], v[129:136], v[137:144]
	v_cndmask_b32_e32 v151, v191, v151, vcc_lo
	v_cmp_gt_i32_e32 vcc_lo, s30, v152
	v_cmp_gt_i32_e64 s7, s30, v157
	v_dual_mul_f32 v135, s36, v184 :: v_dual_mul_f32 v136, s36, v183
	v_dual_mul_f32 v133, s36, v186 :: v_dual_mul_f32 v134, s36, v185
	;; [unrolled: 1-line block ×3, first 2 shown]
	s_delay_alu instid0(VALU_DEP_3) | instskip(NEXT) | instid1(VALU_DEP_4)
	v_cndmask_b32_e32 v136, 0xff7fffff, v136, vcc_lo
	v_cndmask_b32_e64 v135, 0xff7fffff, v135, s3
	v_mul_f32_e32 v132, s36, v187
	v_cndmask_b32_e64 v134, 0xff7fffff, v134, s4
	v_cndmask_b32_e64 v133, 0xff7fffff, v133, s5
	v_or_b32_e32 v160, 16, v152
	v_max3_f32 v135, v136, 0xff7fffff, v135
	v_or_b32_e32 v161, 18, v152
	v_mul_f32_e32 v130, s36, v189
	v_dual_mul_f32 v172, s36, v140 :: v_dual_mul_f32 v129, s36, v190
	v_cndmask_b32_e64 v132, 0xff7fffff, v132, s6
	v_cndmask_b32_e64 v131, 0xff7fffff, v131, s7
	v_max3_f32 v133, v135, v134, v133
	v_cmp_gt_i32_e64 s8, s30, v158
	v_cmp_gt_i32_e64 s9, s30, v159
	v_or_b32_e32 v162, 20, v152
	v_or_b32_e32 v163, 22, v152
	v_mul_f32_e32 v175, s36, v137
	v_cndmask_b32_e64 v130, 0xff7fffff, v130, s8
	v_cndmask_b32_e64 v129, 0xff7fffff, v129, s9
	v_max3_f32 v131, v133, v132, v131
	v_cmp_gt_i32_e64 s10, s30, v160
	v_cmp_gt_i32_e64 s11, s30, v161
	v_or_b32_e32 v164, 24, v152
	v_or_b32_e32 v165, 26, v152
	v_mul_f32_e32 v173, s36, v139
	v_cndmask_b32_e64 v132, 0xff7fffff, v175, s10
	v_cndmask_b32_e64 v133, 0xff7fffff, v174, s11
	v_max3_f32 v129, v131, v130, v129
	v_cmp_gt_i32_e64 s12, s30, v162
	v_cmp_gt_i32_e64 s13, s30, v163
	v_or_b32_e32 v166, 28, v152
	v_or_b32_e32 v167, 30, v152
	v_dual_mul_f32 v170, s36, v142 :: v_dual_mul_f32 v171, s36, v141
	v_cndmask_b32_e64 v130, 0xff7fffff, v173, s12
	v_cndmask_b32_e64 v131, 0xff7fffff, v172, s13
	v_max3_f32 v129, v129, v132, v133
	v_cmp_gt_i32_e64 s15, s30, v164
	v_cmp_gt_i32_e64 s16, s30, v165
	v_dual_mul_f32 v168, s36, v144 :: v_dual_mul_f32 v169, s36, v143
	s_delay_alu instid0(VALU_DEP_4) | instskip(NEXT) | instid1(VALU_DEP_4)
	v_max3_f32 v129, v129, v130, v131
	v_cndmask_b32_e64 v132, 0xff7fffff, v171, s15
	s_delay_alu instid0(VALU_DEP_4) | instskip(SKIP_2) | instid1(VALU_DEP_3)
	v_cndmask_b32_e64 v133, 0xff7fffff, v170, s16
	v_cmp_gt_i32_e64 s17, s30, v166
	v_cmp_gt_i32_e64 s18, s30, v167
	v_max3_f32 v129, v129, v132, v133
	s_delay_alu instid0(VALU_DEP_3) | instskip(NEXT) | instid1(VALU_DEP_3)
	v_cndmask_b32_e64 v130, 0xff7fffff, v169, s17
	v_cndmask_b32_e64 v131, 0xff7fffff, v168, s18
	v_lshlrev_b32_e32 v132, 2, v151
	s_delay_alu instid0(VALU_DEP_2) | instskip(SKIP_3) | instid1(VALU_DEP_1)
	v_max3_f32 v129, v129, v130, v131
	ds_bpermute_b32 v130, v132, v129
	s_waitcnt lgkmcnt(0)
	v_max_f32_e32 v130, v130, v130
	v_max_f32_e32 v129, v129, v130
	s_delay_alu instid0(VALU_DEP_1) | instskip(SKIP_4) | instid1(VALU_DEP_4)
	v_fma_f32 v134, s36, v186, -v129
	v_fma_f32 v135, s36, v187, -v129
	;; [unrolled: 1-line block ×5, first 2 shown]
	v_dual_mul_f32 v134, 0x3fb8aa3b, v134 :: v_dual_mul_f32 v135, 0x3fb8aa3b, v135
	s_delay_alu instid0(VALU_DEP_4) | instskip(SKIP_1) | instid1(VALU_DEP_3)
	v_mul_f32_e32 v130, 0x3fb8aa3b, v130
	v_fma_f32 v136, s36, v189, -v129
	v_exp_f32_e32 v134, v134
	s_delay_alu instid0(VALU_DEP_3) | instskip(NEXT) | instid1(VALU_DEP_2)
	v_exp_f32_e32 v135, v135
	v_exp_f32_e32 v130, v130
	s_delay_alu instid0(VALU_DEP_1) | instskip(NEXT) | instid1(VALU_DEP_1)
	v_mul_f32_e32 v136, 0x3fb8aa3b, v136
	v_exp_f32_e32 v136, v136
	v_cndmask_b32_e64 v153, 0, v134, s5
	v_fma_f32 v134, s36, v137, -v129
	v_mul_f32_e32 v131, 0x3fb8aa3b, v131
	s_delay_alu instid0(TRANS32_DEP_3) | instskip(NEXT) | instid1(TRANS32_DEP_2)
	v_cndmask_b32_e64 v155, 0, v135, s6
	v_dual_mul_f32 v133, 0x3fb8aa3b, v133 :: v_dual_cndmask_b32 v152, 0, v130
	s_delay_alu instid0(VALU_DEP_4) | instskip(NEXT) | instid1(VALU_DEP_4)
	v_mul_f32_e32 v134, 0x3fb8aa3b, v134
	v_exp_f32_e32 v131, v131
	v_fma_f32 v135, s36, v138, -v129
	s_delay_alu instid0(VALU_DEP_3)
	v_exp_f32_e32 v133, v133
	v_fma_f32 v130, s36, v188, -v129
	v_cndmask_b32_e64 v156, 0, v136, s8
	v_fma_f32 v136, s36, v140, -v129
	v_mul_f32_e32 v135, 0x3fb8aa3b, v135
	v_exp_f32_e32 v134, v134
	v_mul_f32_e32 v130, 0x3fb8aa3b, v130
	s_delay_alu instid0(TRANS32_DEP_3) | instskip(SKIP_1) | instid1(TRANS32_DEP_2)
	v_cndmask_b32_e64 v151, 0, v131, s3
	v_add_f32_e32 v131, 0, v152
	v_cndmask_b32_e64 v154, 0, v133, s4
	v_exp_f32_e32 v135, v135
	v_fma_f32 v133, s36, v190, -v129
	v_exp_f32_e32 v130, v130
	v_dual_add_f32 v131, v131, v151 :: v_dual_mul_f32 v136, 0x3fb8aa3b, v136
	v_cmp_gt_u32_e64 s3, 16, v150
	s_delay_alu instid0(VALU_DEP_3) | instskip(NEXT) | instid1(VALU_DEP_3)
	v_mul_f32_e32 v133, 0x3fb8aa3b, v133
	v_add_f32_e32 v131, v131, v154
	s_delay_alu instid0(VALU_DEP_4) | instskip(NEXT) | instid1(TRANS32_DEP_3)
	v_exp_f32_e32 v136, v136
	v_cndmask_b32_e64 v140, 0, v135, s11
	s_delay_alu instid0(VALU_DEP_3) | instskip(NEXT) | instid1(TRANS32_DEP_3)
	v_exp_f32_e32 v133, v133
	v_cndmask_b32_e64 v138, 0, v130, s7
	v_add_f32_e32 v131, v131, v153
	v_fma_f32 v135, s36, v143, -v129
	s_delay_alu instid0(VALU_DEP_2)
	v_add_f32_e32 v130, v131, v155
	v_fma_f32 v131, s36, v139, -v129
	s_waitcnt_depctr 0xfff
	v_cndmask_b32_e64 v139, 0, v133, s9
	v_fma_f32 v133, s36, v141, -v129
	v_add_f32_e32 v130, v130, v138
	v_cndmask_b32_e64 v141, 0, v134, s10
	v_fma_f32 v134, s36, v142, -v129
	v_cndmask_b32_e64 v142, 0, v136, s13
	s_delay_alu instid0(VALU_DEP_4) | instskip(NEXT) | instid1(VALU_DEP_3)
	v_dual_mul_f32 v131, 0x3fb8aa3b, v131 :: v_dual_add_f32 v130, v130, v156
	v_mul_f32_e32 v134, 0x3fb8aa3b, v134
	s_delay_alu instid0(VALU_DEP_2) | instskip(NEXT) | instid1(VALU_DEP_2)
	v_exp_f32_e32 v131, v131
	v_add_f32_e32 v130, v130, v139
	s_delay_alu instid0(VALU_DEP_2) | instskip(NEXT) | instid1(VALU_DEP_1)
	v_exp_f32_e32 v134, v134
	v_add_f32_e32 v130, v130, v141
	s_waitcnt_depctr 0xfff
	v_cndmask_b32_e64 v143, 0, v131, s12
	v_dual_add_f32 v130, v130, v140 :: v_dual_mul_f32 v133, 0x3fb8aa3b, v133
	s_delay_alu instid0(VALU_DEP_1) | instskip(NEXT) | instid1(VALU_DEP_2)
	v_add_f32_e32 v130, v130, v143
	v_exp_f32_e32 v133, v133
	s_delay_alu instid0(VALU_DEP_1)
	v_add_f32_e32 v130, v130, v142
	s_waitcnt_depctr 0xfff
	v_cndmask_b32_e64 v157, 0, v133, s15
	v_mul_f32_e32 v131, 0x3fb8aa3b, v135
	v_fma_f32 v135, s36, v144, -v129
	v_cndmask_b32_e64 v144, 0, v134, s16
	s_delay_alu instid0(VALU_DEP_4) | instskip(NEXT) | instid1(VALU_DEP_4)
	v_add_f32_e32 v130, v130, v157
	v_exp_f32_e32 v131, v131
	s_delay_alu instid0(VALU_DEP_1) | instskip(NEXT) | instid1(VALU_DEP_1)
	v_dual_mul_f32 v133, 0x3fb8aa3b, v135 :: v_dual_add_f32 v130, v130, v144
	v_exp_f32_e32 v133, v133
	s_waitcnt_depctr 0xfff
	v_cndmask_b32_e64 v159, 0, v131, s17
	s_delay_alu instid0(VALU_DEP_1) | instskip(SKIP_1) | instid1(VALU_DEP_1)
	v_add_f32_e32 v130, v130, v159
	v_cndmask_b32_e64 v158, 0, v133, s18
	v_add_f32_e32 v130, v130, v158
	ds_bpermute_b32 v131, v132, v130
	s_and_saveexec_b32 s4, s3
	s_cbranch_execz .LBB68_12
; %bb.11:
	v_mul_u32_u24_e32 v132, 0x44, v149
	s_delay_alu instid0(VALU_DEP_1) | instskip(SKIP_1) | instid1(VALU_DEP_1)
	v_lshl_add_u32 v132, v148, 2, v132
	s_waitcnt lgkmcnt(0)
	v_dual_add_f32 v130, v130, v131 :: v_dual_add_nc_u32 v131, 0x4000, v132
	ds_store_2addr_b32 v131, v129, v130 offset1:136
.LBB68_12:
	s_or_b32 exec_lo, exec_lo, s4
	v_lshlrev_b32_e32 v129, 2, v148
	s_load_b32 s36, s[0:1], 0x94
	s_waitcnt lgkmcnt(0)
	s_barrier
	buffer_gl0_inv
	v_add_nc_u32_e32 v135, 0x4000, v129
	v_cmp_eq_u32_e32 vcc_lo, 1, v149
	v_cmp_eq_u32_e64 s4, 2, v149
	v_cmp_eq_u32_e64 s5, 3, v149
	;; [unrolled: 1-line block ×3, first 2 shown]
	ds_load_2addr_b32 v[129:130], v135 offset1:17
	ds_load_2addr_b32 v[131:132], v135 offset0:34 offset1:51
	ds_load_2addr_b32 v[133:134], v135 offset0:68 offset1:85
	;; [unrolled: 1-line block ×3, first 2 shown]
	v_cmp_eq_u32_e64 s7, 5, v149
	v_cmp_eq_u32_e64 s8, 7, v149
	s_waitcnt lgkmcnt(3)
	v_max3_f32 v136, v129, 0xff7fffff, v130
	s_waitcnt lgkmcnt(2)
	s_delay_alu instid0(VALU_DEP_1) | instskip(SKIP_1) | instid1(VALU_DEP_1)
	v_max3_f32 v136, v136, v131, v132
	s_waitcnt lgkmcnt(1)
	v_max3_f32 v136, v136, v133, v134
	s_waitcnt lgkmcnt(0)
	s_delay_alu instid0(VALU_DEP_1) | instskip(NEXT) | instid1(VALU_DEP_1)
	v_max3_f32 v136, v136, v160, v161
	v_sub_f32_e32 v164, v132, v136
	ds_load_2addr_b32 v[162:163], v135 offset0:136 offset1:153
	v_sub_f32_e32 v129, v129, v136
	v_sub_f32_e32 v137, v130, v136
	;; [unrolled: 1-line block ×3, first 2 shown]
	v_mul_f32_e32 v164, 0x3fb8aa3b, v164
	s_delay_alu instid0(VALU_DEP_4) | instskip(NEXT) | instid1(VALU_DEP_4)
	v_mul_f32_e32 v150, 0x3fb8aa3b, v129
	v_mul_f32_e32 v137, 0x3fb8aa3b, v137
	ds_load_2addr_b32 v[129:130], v135 offset0:170 offset1:187
	v_mul_f32_e32 v167, 0x3fb8aa3b, v133
	v_exp_f32_e32 v164, v164
	v_exp_f32_e32 v150, v150
	;; [unrolled: 1-line block ×3, first 2 shown]
	v_sub_f32_e32 v131, v131, v136
	s_delay_alu instid0(VALU_DEP_1)
	v_mul_f32_e32 v165, 0x3fb8aa3b, v131
	ds_load_2addr_b32 v[131:132], v135 offset0:204 offset1:221
	s_waitcnt lgkmcnt(2)
	v_fma_f32 v137, v150, v162, 0
	v_sub_f32_e32 v162, v134, v136
	v_exp_f32_e32 v165, v165
	ds_load_2addr_b32 v[133:134], v135 offset0:238 offset1:255
	v_sub_f32_e32 v135, v160, v136
	v_dual_fmac_f32 v137, v166, v163 :: v_dual_mul_f32 v160, 0x3fb8aa3b, v162
	v_exp_f32_e32 v162, v167
	s_waitcnt lgkmcnt(0)
	s_delay_alu instid0(VALU_DEP_2)
	v_mul_f32_e32 v135, 0x3fb8aa3b, v135
	s_barrier
	v_exp_f32_e32 v160, v160
	v_fmac_f32_e32 v137, v165, v129
	v_sub_f32_e32 v129, v161, v136
	v_exp_f32_e32 v161, v135
	buffer_gl0_inv
	v_fmac_f32_e32 v137, v164, v130
	v_dual_mul_f32 v129, 0x3fb8aa3b, v129 :: v_dual_cndmask_b32 v130, v150, v166
	s_delay_alu instid0(VALU_DEP_2) | instskip(NEXT) | instid1(VALU_DEP_2)
	v_fmac_f32_e32 v137, v162, v131
	v_exp_f32_e32 v163, v129
	s_delay_alu instid0(VALU_DEP_1) | instskip(NEXT) | instid1(VALU_DEP_1)
	v_fmac_f32_e32 v137, v160, v132
	v_fmac_f32_e32 v137, v161, v133
	v_lshlrev_b32_e32 v133, 6, v148
	s_waitcnt_depctr 0xfff
	v_fmac_f32_e32 v137, v163, v134
	v_lshl_or_b32 v135, v149, 11, v133
	s_delay_alu instid0(VALU_DEP_2) | instskip(NEXT) | instid1(VALU_DEP_1)
	v_add_f32_e32 v134, 0x358637bd, v137
	v_div_scale_f32 v167, null, v134, v134, 1.0
	v_div_scale_f32 v150, vcc_lo, 1.0, v134, 1.0
	s_delay_alu instid0(VALU_DEP_2) | instskip(SKIP_2) | instid1(VALU_DEP_1)
	v_rcp_f32_e32 v168, v167
	s_waitcnt_depctr 0xfff
	v_fma_f32 v129, -v167, v168, 1.0
	v_fmac_f32_e32 v168, v129, v168
	v_cndmask_b32_e64 v129, v130, v165, s4
	v_cmp_eq_u32_e64 s4, 6, v149
	s_delay_alu instid0(VALU_DEP_3) | instskip(NEXT) | instid1(VALU_DEP_3)
	v_mul_f32_e32 v165, v150, v168
	v_cndmask_b32_e64 v130, v129, v164, s5
	v_lshlrev_b32_e32 v129, 2, v146
	s_delay_alu instid0(VALU_DEP_3) | instskip(NEXT) | instid1(VALU_DEP_3)
	v_fma_f32 v131, -v167, v165, v150
	v_cndmask_b32_e64 v162, v130, v162, s6
	s_delay_alu instid0(VALU_DEP_3)
	v_or_b32_e32 v130, 1, v129
	v_or_b32_e32 v132, 2, v129
	v_cmp_eq_u32_e64 s5, 1, v129
	v_fmac_f32_e32 v165, v131, v168
	v_cndmask_b32_e64 v149, v162, v160, s7
	v_or_b32_e32 v131, 3, v129
	v_cmp_eq_u32_e64 s10, 1, v130
	v_cmp_eq_u32_e64 s11, 1, v132
	v_fma_f32 v150, -v167, v165, v150
	v_cndmask_b32_e64 v149, v149, v161, s4
	v_cmp_eq_u32_e64 s12, 1, v131
	v_cmp_eq_u32_e64 s6, 2, v129
	;; [unrolled: 1-line block ×3, first 2 shown]
	v_div_fmas_f32 v150, v150, v168, v165
	v_cndmask_b32_e64 v149, v149, v163, s8
	v_cmp_eq_u32_e64 s16, 2, v132
	v_cmp_eq_u32_e64 s17, 2, v131
	v_cmp_eq_u32_e32 vcc_lo, 3, v129
	v_div_fixup_f32 v150, v150, v134, 1.0
	v_lshl_or_b32 v134, v146, 4, v135
	v_cmp_eq_u32_e64 s15, 3, v130
	v_cmp_eq_u32_e64 s19, 3, v131
	;; [unrolled: 1-line block ×3, first 2 shown]
	v_mul_f32_e32 v149, v149, v150
	v_cmp_eq_u32_e64 s18, 3, v132
	v_cmp_eq_u32_e64 s20, 4, v130
	;; [unrolled: 1-line block ×4, first 2 shown]
	v_fma_mixlo_f16 v160, v149, v152, 0
	v_fma_mixlo_f16 v161, v149, v154, 0
	;; [unrolled: 1-line block ×8, first 2 shown]
	v_fma_mixhi_f16 v160, v149, v151, 0
	v_fma_mixhi_f16 v161, v149, v153, 0
	;; [unrolled: 1-line block ×8, first 2 shown]
	ds_store_b128 v134, v[160:163]
	ds_store_b128 v134, v[154:157] offset:1024
	s_waitcnt lgkmcnt(0)
	s_barrier
	buffer_gl0_inv
	ds_load_b128 v[138:141], v135
	ds_load_b128 v[149:152], v135 offset:16
	ds_load_b128 v[153:156], v135 offset:1024
	;; [unrolled: 1-line block ×3, first 2 shown]
	v_cmp_eq_u32_e64 s21, 5, v130
	v_cmp_eq_u32_e64 s22, 4, v132
	;; [unrolled: 1-line block ×12, first 2 shown]
	s_waitcnt lgkmcnt(3)
	v_lshrrev_b32_e32 v142, 16, v138
	s_waitcnt lgkmcnt(2)
	v_lshrrev_b32_e32 v162, 16, v149
	;; [unrolled: 2-line block ×4, first 2 shown]
	v_lshrrev_b32_e32 v143, 16, v139
	v_cndmask_b32_e64 v174, v138, v142, s5
	v_cndmask_b32_e64 v175, v149, v162, s5
	;; [unrolled: 1-line block ×7, first 2 shown]
	v_lshrrev_b32_e32 v163, 16, v150
	v_cndmask_b32_e64 v179, v149, v162, s11
	v_cndmask_b32_e64 v149, v153, v166, s5
	;; [unrolled: 1-line block ×16, first 2 shown]
	v_lshrrev_b32_e32 v167, 16, v154
	v_lshrrev_b32_e32 v171, 16, v158
	v_cndmask_b32_e64 v177, v179, v150, s16
	v_cndmask_b32_e64 v142, v149, v154, s6
	;; [unrolled: 1-line block ×7, first 2 shown]
	v_cndmask_b32_e32 v157, v166, v143, vcc_lo
	v_cndmask_b32_e32 v166, v170, v163, vcc_lo
	v_cndmask_b32_e64 v170, v174, v143, s15
	v_cndmask_b32_e64 v174, v175, v163, s15
	;; [unrolled: 1-line block ×4, first 2 shown]
	v_lshrrev_b32_e32 v144, 16, v140
	v_lshrrev_b32_e32 v164, 16, v151
	v_cndmask_b32_e64 v175, v176, v143, s18
	v_cndmask_b32_e64 v176, v177, v163, s18
	v_cndmask_b32_e32 v142, v142, v167, vcc_lo
	v_cndmask_b32_e32 v143, v149, v171, vcc_lo
	v_cndmask_b32_e64 v149, v150, v167, s15
	v_cndmask_b32_e64 v150, v157, v140, s4
	;; [unrolled: 1-line block ×7, first 2 shown]
	v_lshrrev_b32_e32 v168, 16, v155
	v_cndmask_b32_e64 v170, v175, v140, s22
	v_cndmask_b32_e64 v174, v176, v151, s22
	v_cndmask_b32_e64 v140, v142, v155, s4
	v_cndmask_b32_e64 v142, v143, v159, s4
	v_cndmask_b32_e64 v143, v149, v155, s20
	v_cndmask_b32_e64 v149, v150, v144, s7
	v_cndmask_b32_e64 v150, v157, v164, s7
	v_cndmask_b32_e64 v151, v163, v144, s21
	v_cndmask_b32_e64 v157, v166, v164, s21
	v_cndmask_b32_e64 v138, v138, v144, s25
	v_cndmask_b32_e64 v139, v139, v164, s25
	v_lshrrev_b32_e32 v161, 16, v141
	v_lshrrev_b32_e32 v165, 16, v152
	v_cndmask_b32_e64 v163, v170, v144, s24
	v_cndmask_b32_e64 v166, v174, v164, s24
	;; [unrolled: 1-line block ×9, first 2 shown]
	v_lshrrev_b32_e32 v169, 16, v156
	v_cndmask_b32_e64 v140, v140, v168, s7
	v_cndmask_b32_e64 v157, v163, v141, s27
	;; [unrolled: 1-line block ×14, first 2 shown]
	v_perm_b32 v141, v139, v138, 0x5040100
	v_perm_b32 v139, v151, v149, 0x5040100
	v_cndmask_b32_e64 v138, v183, v158, s16
	v_cndmask_b32_e64 v149, v181, v158, s13
	;; [unrolled: 1-line block ×3, first 2 shown]
	v_perm_b32 v140, v152, v150, 0x5040100
	v_cndmask_b32_e64 v150, v162, v167, s18
	v_cndmask_b32_e64 v151, v153, v167, s19
	;; [unrolled: 1-line block ×5, first 2 shown]
	v_lshrrev_b32_e32 v172, 16, v159
	v_cndmask_b32_e64 v150, v150, v155, s22
	v_cndmask_b32_e64 v151, v151, v155, s23
	;; [unrolled: 1-line block ×11, first 2 shown]
	v_lshrrev_b32_e32 v173, 16, v160
	v_cndmask_b32_e64 v142, v142, v160, s8
	v_cndmask_b32_e64 v150, v150, v156, s27
	;; [unrolled: 1-line block ×12, first 2 shown]
	v_perm_b32 v138, v144, v143, 0x5040100
	v_perm_b32 v152, v152, v151, 0x5040100
	;; [unrolled: 1-line block ×5, first 2 shown]
	s_mul_i32 s8, s35, 11
	s_mov_b32 s4, exec_lo
	ds_store_b128 v134, v[138:141]
	ds_store_b128 v134, v[149:152] offset:1024
	v_cmpx_gt_u32_e32 11, v0
	s_cbranch_execz .LBB68_14
; %bb.13:
	s_mul_i32 s5, s8, s34
	s_load_b128 s[16:19], s[0:1], 0x58
	v_add3_u32 v140, s5, s33, v148
	s_delay_alu instid0(VALU_DEP_1) | instskip(NEXT) | instid1(VALU_DEP_1)
	v_mad_u64_u32 v[138:139], null, v140, s36, s[14:15]
	v_ashrrev_i32_e32 v139, 31, v138
	s_delay_alu instid0(VALU_DEP_1) | instskip(SKIP_1) | instid1(VALU_DEP_1)
	v_lshlrev_b64 v[138:139], 2, v[138:139]
	s_waitcnt lgkmcnt(0)
	v_add_co_u32 v140, vcc_lo, s18, v138
	s_delay_alu instid0(VALU_DEP_2)
	v_add_co_ci_u32_e32 v141, vcc_lo, s19, v139, vcc_lo
	v_add_co_u32 v138, vcc_lo, s16, v138
	v_add_co_ci_u32_e32 v139, vcc_lo, s17, v139, vcc_lo
	global_store_b32 v[140:141], v136, off
	global_store_b32 v[138:139], v137, off
.LBB68_14:
	s_or_b32 exec_lo, exec_lo, s4
	s_waitcnt lgkmcnt(0)
	s_waitcnt_vscnt null, 0x0
	s_barrier
	buffer_gl0_inv
	ds_load_b128 v[148:151], v133
	ds_load_b128 v[152:155], v133 offset:16
	ds_load_b128 v[160:163], v133 offset:1040
	;; [unrolled: 1-line block ×5, first 2 shown]
	v_cmp_eq_u32_e32 vcc_lo, 1, v132
	v_mov_b32_e32 v136, 0
	ds_load_b128 v[176:179], v133 offset:3088
	ds_load_b128 v[172:175], v133 offset:3072
	;; [unrolled: 1-line block ×4, first 2 shown]
	v_cmp_eq_u32_e64 s4, 1, v129
	v_cmp_eq_u32_e64 s5, 1, v131
	;; [unrolled: 1-line block ×3, first 2 shown]
	v_mov_b32_e32 v137, v136
	v_mov_b32_e32 v138, v136
	;; [unrolled: 1-line block ×7, first 2 shown]
	v_cmp_eq_u32_e64 s7, 2, v129
	s_waitcnt lgkmcnt(8)
	s_delay_alu instid0(VALU_DEP_2)
	v_wmma_f32_16x16x16_f16 v[136:143], v[121:128], v[148:155], v[136:143]
	ds_load_b128 v[125:128], v133 offset:5136
	ds_load_b128 v[121:124], v133 offset:5120
	s_waitcnt lgkmcnt(8)
	v_wmma_f32_16x16x16_f16 v[136:143], v[113:120], v[156:163], v[136:143]
	ds_load_b128 v[117:120], v133 offset:6160
	ds_load_b128 v[113:116], v133 offset:6144
	s_waitcnt lgkmcnt(8)
	;; [unrolled: 4-line block ×11, first 2 shown]
	s_barrier
	buffer_gl0_inv
	v_wmma_f32_16x16x16_f16 v[136:143], v[1:8], v[73:80], v[136:143]
	s_delay_alu instid0(VALU_DEP_1) | instskip(NEXT) | instid1(VALU_DEP_1)
	v_wmma_f32_16x16x16_f16 v[136:143], v[9:16], v[65:72], v[136:143]
	v_wmma_f32_16x16x16_f16 v[136:143], v[33:40], v[57:64], v[136:143]
	s_delay_alu instid0(VALU_DEP_1) | instskip(NEXT) | instid1(VALU_DEP_1)
	v_wmma_f32_16x16x16_f16 v[136:143], v[41:48], v[49:56], v[136:143]
	v_wmma_f32_16x16x16_f16 v[136:143], v[17:24], v[25:32], v[136:143]
	s_delay_alu instid0(VALU_DEP_1) | instskip(NEXT) | instid1(VALU_DEP_2)
	v_cvt_f16_f32_e64 v1, v136
	v_cvt_f16_f32_e64 v2, v137
	s_delay_alu instid0(VALU_DEP_3) | instskip(NEXT) | instid1(VALU_DEP_4)
	v_cvt_f16_f32_e64 v3, v138
	v_cvt_f16_f32_e64 v4, v139
	;; [unrolled: 1-line block ×6, first 2 shown]
	v_pack_b32_f16 v1, v1, v2
	v_pack_b32_f16 v2, v3, v4
	;; [unrolled: 1-line block ×3, first 2 shown]
	s_delay_alu instid0(VALU_DEP_4)
	v_pack_b32_f16 v4, v7, v8
	ds_store_b128 v134, v[1:4]
	s_waitcnt lgkmcnt(0)
	s_barrier
	buffer_gl0_inv
	ds_load_b128 v[1:4], v135
	ds_load_b128 v[5:8], v135 offset:16
	s_waitcnt lgkmcnt(1)
	v_lshrrev_b32_e32 v9, 16, v1
	s_waitcnt lgkmcnt(0)
	v_lshrrev_b32_e32 v13, 16, v5
	v_lshrrev_b32_e32 v10, 16, v2
	;; [unrolled: 1-line block ×4, first 2 shown]
	v_cndmask_b32_e64 v17, v1, v9, s4
	v_cndmask_b32_e64 v18, v5, v13, s4
	;; [unrolled: 1-line block ×3, first 2 shown]
	v_cmp_eq_u32_e64 s4, 2, v130
	v_cndmask_b32_e64 v20, v5, v13, s6
	v_cndmask_b32_e32 v21, v1, v9, vcc_lo
	v_cndmask_b32_e32 v22, v5, v13, vcc_lo
	v_cndmask_b32_e64 v1, v1, v9, s5
	v_cndmask_b32_e64 v5, v5, v13, s5
	v_cmp_eq_u32_e32 vcc_lo, 2, v132
	v_cmp_eq_u32_e64 s5, 2, v131
	v_cndmask_b32_e64 v9, v17, v2, s7
	v_cndmask_b32_e64 v13, v18, v6, s7
	;; [unrolled: 1-line block ×4, first 2 shown]
	v_cndmask_b32_e32 v19, v21, v2, vcc_lo
	v_cmp_eq_u32_e64 s4, 3, v132
	v_cndmask_b32_e32 v20, v22, v6, vcc_lo
	v_cndmask_b32_e64 v1, v1, v2, s5
	v_cmp_eq_u32_e32 vcc_lo, 3, v131
	v_cmp_eq_u32_e64 s6, 3, v129
	v_cndmask_b32_e64 v2, v5, v6, s5
	v_cmp_eq_u32_e64 s5, 3, v130
	v_cmp_eq_u32_e64 s7, 4, v129
	v_cndmask_b32_e32 v1, v1, v10, vcc_lo
	v_cndmask_b32_e64 v5, v9, v10, s6
	v_cndmask_b32_e64 v6, v13, v14, s6
	;; [unrolled: 1-line block ×3, first 2 shown]
	v_cmp_eq_u32_e64 s6, 4, v130
	v_cndmask_b32_e64 v13, v18, v14, s5
	v_cndmask_b32_e64 v17, v19, v10, s4
	;; [unrolled: 1-line block ×3, first 2 shown]
	v_cndmask_b32_e32 v2, v2, v14, vcc_lo
	v_cmp_eq_u32_e32 vcc_lo, 4, v132
	v_cmp_eq_u32_e64 s5, 4, v131
	v_lshrrev_b32_e32 v15, 16, v7
	v_cndmask_b32_e64 v5, v5, v3, s7
	v_cndmask_b32_e64 v6, v6, v7, s7
	v_cndmask_b32_e32 v14, v18, v7, vcc_lo
	v_cndmask_b32_e64 v9, v9, v3, s6
	v_cndmask_b32_e64 v10, v13, v7, s6
	v_cndmask_b32_e32 v13, v17, v3, vcc_lo
	v_cmp_eq_u32_e64 s4, 5, v132
	v_cndmask_b32_e64 v1, v1, v3, s5
	v_cmp_eq_u32_e32 vcc_lo, 5, v131
	v_cmp_eq_u32_e64 s6, 5, v129
	v_cndmask_b32_e64 v2, v2, v7, s5
	v_cmp_eq_u32_e64 s5, 5, v130
	v_cmp_eq_u32_e64 s7, 6, v129
	v_lshrrev_b32_e32 v12, 16, v4
	v_cndmask_b32_e64 v3, v5, v11, s6
	v_cndmask_b32_e64 v5, v6, v15, s6
	;; [unrolled: 1-line block ×3, first 2 shown]
	v_cmp_eq_u32_e64 s6, 6, v130
	v_cndmask_b32_e64 v7, v10, v15, s5
	v_cndmask_b32_e64 v9, v13, v11, s4
	;; [unrolled: 1-line block ×3, first 2 shown]
	v_cndmask_b32_e32 v1, v1, v11, vcc_lo
	v_cndmask_b32_e32 v2, v2, v15, vcc_lo
	v_cmp_eq_u32_e32 vcc_lo, 6, v132
	v_cmp_eq_u32_e64 s4, 6, v131
	v_lshrrev_b32_e32 v16, 16, v8
	v_cndmask_b32_e64 v3, v3, v4, s7
	v_cndmask_b32_e64 v5, v5, v8, s7
	v_cndmask_b32_e32 v9, v9, v4, vcc_lo
	v_cndmask_b32_e64 v6, v6, v4, s6
	v_cndmask_b32_e64 v7, v7, v8, s6
	v_cmp_eq_u32_e64 s5, 7, v132
	v_cndmask_b32_e32 v10, v10, v8, vcc_lo
	v_cndmask_b32_e64 v1, v1, v4, s4
	v_cmp_eq_u32_e32 vcc_lo, 7, v131
	v_cndmask_b32_e64 v2, v2, v8, s4
	v_cmp_eq_u32_e64 s4, 7, v129
	v_cmp_eq_u32_e64 s6, 7, v130
	v_cndmask_b32_e32 v1, v1, v12, vcc_lo
	s_delay_alu instid0(VALU_DEP_4) | instskip(NEXT) | instid1(VALU_DEP_4)
	v_cndmask_b32_e32 v2, v2, v16, vcc_lo
	v_cndmask_b32_e64 v8, v3, v12, s4
	s_delay_alu instid0(VALU_DEP_4)
	v_cndmask_b32_e64 v6, v6, v12, s6
	v_cndmask_b32_e64 v3, v9, v12, s5
	;; [unrolled: 1-line block ×5, first 2 shown]
	v_cmp_gt_u32_e32 vcc_lo, 32, v0
	v_perm_b32 v4, v2, v1, 0x5040100
	v_perm_b32 v3, v9, v3, 0x5040100
	v_perm_b32 v2, v7, v6, 0x5040100
	v_perm_b32 v1, v5, v8, 0x5040100
	s_and_b32 s2, vcc_lo, s2
	ds_store_b128 v134, v[1:4]
	s_waitcnt lgkmcnt(0)
	s_barrier
	buffer_gl0_inv
	s_and_saveexec_b32 s4, s2
	s_cbranch_execz .LBB68_2
; %bb.15:
	s_load_b64 s[4:5], s[0:1], 0x68
	v_lshlrev_b32_e32 v0, 10, v0
	v_lshlrev_b32_e32 v1, 4, v147
	s_lshl_b32 s0, s36, 6
	v_add_nc_u32_e32 v7, s33, v146
	s_mul_i32 s1, s0, s34
	s_delay_alu instid0(SALU_CYCLE_1) | instskip(SKIP_1) | instid1(VALU_DEP_2)
	s_mul_i32 s6, s1, s8
	v_and_or_b32 v0, 0x3800, v0, v1
	v_mul_lo_u32 v1, v7, s0
	v_add_nc_u32_e32 v2, 2, v7
	s_ashr_i32 s7, s6, 31
	v_add_nc_u32_e32 v4, 4, v7
	s_lshl_b64 s[6:7], s[6:7], 1
	v_add_nc_u32_e32 v8, 6, v7
	v_mul_lo_u32 v3, v2, s0
	v_lshl_or_b32 v19, v146, 6, v0
	v_ashrrev_i32_e32 v2, 31, v1
	v_mul_lo_u32 v11, v4, s0
	v_mul_lo_u32 v25, v8, s0
	s_waitcnt lgkmcnt(0)
	s_add_u32 s1, s4, s6
	s_addc_u32 s2, s5, s7
	s_lshl_b32 s4, s14, 6
	v_lshlrev_b64 v[5:6], 1, v[1:2]
	s_ashr_i32 s5, s4, 31
	v_ashrrev_i32_e32 v4, 31, v3
	s_lshl_b64 s[4:5], s[4:5], 1
	v_ashrrev_i32_e32 v12, 31, v11
	s_add_u32 s1, s1, s4
	s_addc_u32 s2, s2, s5
	v_add_co_u32 v1, s1, s1, v145
	s_delay_alu instid0(VALU_DEP_1) | instskip(SKIP_1) | instid1(VALU_DEP_3)
	v_add_co_ci_u32_e64 v2, null, s2, 0, s1
	v_lshlrev_b64 v[3:4], 1, v[3:4]
	v_add_co_u32 v23, vcc_lo, v1, v5
	v_add_nc_u32_e32 v5, 8, v7
	s_delay_alu instid0(VALU_DEP_4) | instskip(NEXT) | instid1(VALU_DEP_4)
	v_add_co_ci_u32_e32 v24, vcc_lo, v2, v6, vcc_lo
	v_add_co_u32 v27, vcc_lo, v1, v3
	s_delay_alu instid0(VALU_DEP_3)
	v_mul_lo_u32 v29, v5, s0
	v_add_co_ci_u32_e32 v28, vcc_lo, v2, v4, vcc_lo
	ds_load_b128 v[3:6], v19
	ds_load_b128 v[7:10], v19 offset:128
	v_lshlrev_b64 v[31:32], 1, v[11:12]
	ds_load_b128 v[11:14], v19 offset:256
	ds_load_b128 v[15:18], v19 offset:384
	;; [unrolled: 1-line block ×3, first 2 shown]
	v_ashrrev_i32_e32 v26, 31, v25
	v_ashrrev_i32_e32 v30, 31, v29
	v_add_co_u32 v31, vcc_lo, v1, v31
	s_delay_alu instid0(VALU_DEP_3) | instskip(NEXT) | instid1(VALU_DEP_3)
	v_lshlrev_b64 v[25:26], 1, v[25:26]
	v_lshlrev_b64 v[29:30], 1, v[29:30]
	v_add_co_ci_u32_e32 v32, vcc_lo, v2, v32, vcc_lo
	s_delay_alu instid0(VALU_DEP_3) | instskip(NEXT) | instid1(VALU_DEP_4)
	v_add_co_u32 v25, vcc_lo, v1, v25
	v_add_co_ci_u32_e32 v26, vcc_lo, v2, v26, vcc_lo
	s_delay_alu instid0(VALU_DEP_4)
	v_add_co_u32 v29, vcc_lo, v1, v29
	v_add_co_ci_u32_e32 v30, vcc_lo, v2, v30, vcc_lo
	s_waitcnt lgkmcnt(4)
	global_store_b128 v[23:24], v[3:6], off
	s_waitcnt lgkmcnt(3)
	global_store_b128 v[27:28], v[7:10], off
	;; [unrolled: 2-line block ×5, first 2 shown]
	s_and_b32 exec_lo, exec_lo, s3
	s_cbranch_execz .LBB68_2
; %bb.16:
	ds_load_b128 v[3:6], v0 offset:640
	s_add_i32 s1, s33, 10
	s_delay_alu instid0(SALU_CYCLE_1) | instskip(NEXT) | instid1(SALU_CYCLE_1)
	s_mul_i32 s0, s1, s0
	s_ashr_i32 s1, s0, 31
	s_delay_alu instid0(SALU_CYCLE_1) | instskip(NEXT) | instid1(SALU_CYCLE_1)
	s_lshl_b64 s[0:1], s[0:1], 1
	v_add_co_u32 v0, vcc_lo, v1, s0
	v_add_co_ci_u32_e32 v1, vcc_lo, s1, v2, vcc_lo
	s_waitcnt lgkmcnt(0)
	global_store_b128 v[0:1], v[3:6], off
	s_nop 0
	s_sendmsg sendmsg(MSG_DEALLOC_VGPRS)
	s_endpgm
	.section	.rodata,"a",@progbits
	.p2align	6, 0x0
	.amdhsa_kernel _Z39paged_attention_ll4mi_QKV_mfma16_kernelIDF16_DF16_LN4vllm18Fp8KVCacheDataTypeE0EDF16_Li16ELi64ELi256ELb1ELi11EL8MFMAType0EEvPKT_PKT0_S8_ifPKiSA_SA_iPKfiiiPfSD_PS3_PT2_iSC_SC_
		.amdhsa_group_segment_fixed_size 17472
		.amdhsa_private_segment_fixed_size 0
		.amdhsa_kernarg_size 400
		.amdhsa_user_sgpr_count 13
		.amdhsa_user_sgpr_dispatch_ptr 0
		.amdhsa_user_sgpr_queue_ptr 0
		.amdhsa_user_sgpr_kernarg_segment_ptr 1
		.amdhsa_user_sgpr_dispatch_id 0
		.amdhsa_user_sgpr_private_segment_size 0
		.amdhsa_wavefront_size32 1
		.amdhsa_uses_dynamic_stack 0
		.amdhsa_enable_private_segment 0
		.amdhsa_system_sgpr_workgroup_id_x 1
		.amdhsa_system_sgpr_workgroup_id_y 1
		.amdhsa_system_sgpr_workgroup_id_z 1
		.amdhsa_system_sgpr_workgroup_info 0
		.amdhsa_system_vgpr_workitem_id 0
		.amdhsa_next_free_vgpr 198
		.amdhsa_next_free_sgpr 52
		.amdhsa_reserve_vcc 1
		.amdhsa_float_round_mode_32 0
		.amdhsa_float_round_mode_16_64 0
		.amdhsa_float_denorm_mode_32 3
		.amdhsa_float_denorm_mode_16_64 3
		.amdhsa_dx10_clamp 1
		.amdhsa_ieee_mode 1
		.amdhsa_fp16_overflow 0
		.amdhsa_workgroup_processor_mode 1
		.amdhsa_memory_ordered 1
		.amdhsa_forward_progress 0
		.amdhsa_shared_vgpr_count 0
		.amdhsa_exception_fp_ieee_invalid_op 0
		.amdhsa_exception_fp_denorm_src 0
		.amdhsa_exception_fp_ieee_div_zero 0
		.amdhsa_exception_fp_ieee_overflow 0
		.amdhsa_exception_fp_ieee_underflow 0
		.amdhsa_exception_fp_ieee_inexact 0
		.amdhsa_exception_int_div_zero 0
	.end_amdhsa_kernel
	.section	.text._Z39paged_attention_ll4mi_QKV_mfma16_kernelIDF16_DF16_LN4vllm18Fp8KVCacheDataTypeE0EDF16_Li16ELi64ELi256ELb1ELi11EL8MFMAType0EEvPKT_PKT0_S8_ifPKiSA_SA_iPKfiiiPfSD_PS3_PT2_iSC_SC_,"axG",@progbits,_Z39paged_attention_ll4mi_QKV_mfma16_kernelIDF16_DF16_LN4vllm18Fp8KVCacheDataTypeE0EDF16_Li16ELi64ELi256ELb1ELi11EL8MFMAType0EEvPKT_PKT0_S8_ifPKiSA_SA_iPKfiiiPfSD_PS3_PT2_iSC_SC_,comdat
.Lfunc_end68:
	.size	_Z39paged_attention_ll4mi_QKV_mfma16_kernelIDF16_DF16_LN4vllm18Fp8KVCacheDataTypeE0EDF16_Li16ELi64ELi256ELb1ELi11EL8MFMAType0EEvPKT_PKT0_S8_ifPKiSA_SA_iPKfiiiPfSD_PS3_PT2_iSC_SC_, .Lfunc_end68-_Z39paged_attention_ll4mi_QKV_mfma16_kernelIDF16_DF16_LN4vllm18Fp8KVCacheDataTypeE0EDF16_Li16ELi64ELi256ELb1ELi11EL8MFMAType0EEvPKT_PKT0_S8_ifPKiSA_SA_iPKfiiiPfSD_PS3_PT2_iSC_SC_
                                        ; -- End function
	.section	.AMDGPU.csdata,"",@progbits
; Kernel info:
; codeLenInByte = 8016
; NumSgprs: 54
; NumVgprs: 198
; ScratchSize: 0
; MemoryBound: 0
; FloatMode: 240
; IeeeMode: 1
; LDSByteSize: 17472 bytes/workgroup (compile time only)
; SGPRBlocks: 6
; VGPRBlocks: 24
; NumSGPRsForWavesPerEU: 54
; NumVGPRsForWavesPerEU: 198
; Occupancy: 7
; WaveLimiterHint : 1
; COMPUTE_PGM_RSRC2:SCRATCH_EN: 0
; COMPUTE_PGM_RSRC2:USER_SGPR: 13
; COMPUTE_PGM_RSRC2:TRAP_HANDLER: 0
; COMPUTE_PGM_RSRC2:TGID_X_EN: 1
; COMPUTE_PGM_RSRC2:TGID_Y_EN: 1
; COMPUTE_PGM_RSRC2:TGID_Z_EN: 1
; COMPUTE_PGM_RSRC2:TIDIG_COMP_CNT: 0
	.section	.text._Z39paged_attention_ll4mi_QKV_mfma16_kernelIDF16_DF16_LN4vllm18Fp8KVCacheDataTypeE0EDF16_Li16ELi64ELi256ELb1ELi12EL8MFMAType0EEvPKT_PKT0_S8_ifPKiSA_SA_iPKfiiiPfSD_PS3_PT2_iSC_SC_,"axG",@progbits,_Z39paged_attention_ll4mi_QKV_mfma16_kernelIDF16_DF16_LN4vllm18Fp8KVCacheDataTypeE0EDF16_Li16ELi64ELi256ELb1ELi12EL8MFMAType0EEvPKT_PKT0_S8_ifPKiSA_SA_iPKfiiiPfSD_PS3_PT2_iSC_SC_,comdat
	.protected	_Z39paged_attention_ll4mi_QKV_mfma16_kernelIDF16_DF16_LN4vllm18Fp8KVCacheDataTypeE0EDF16_Li16ELi64ELi256ELb1ELi12EL8MFMAType0EEvPKT_PKT0_S8_ifPKiSA_SA_iPKfiiiPfSD_PS3_PT2_iSC_SC_ ; -- Begin function _Z39paged_attention_ll4mi_QKV_mfma16_kernelIDF16_DF16_LN4vllm18Fp8KVCacheDataTypeE0EDF16_Li16ELi64ELi256ELb1ELi12EL8MFMAType0EEvPKT_PKT0_S8_ifPKiSA_SA_iPKfiiiPfSD_PS3_PT2_iSC_SC_
	.globl	_Z39paged_attention_ll4mi_QKV_mfma16_kernelIDF16_DF16_LN4vllm18Fp8KVCacheDataTypeE0EDF16_Li16ELi64ELi256ELb1ELi12EL8MFMAType0EEvPKT_PKT0_S8_ifPKiSA_SA_iPKfiiiPfSD_PS3_PT2_iSC_SC_
	.p2align	8
	.type	_Z39paged_attention_ll4mi_QKV_mfma16_kernelIDF16_DF16_LN4vllm18Fp8KVCacheDataTypeE0EDF16_Li16ELi64ELi256ELb1ELi12EL8MFMAType0EEvPKT_PKT0_S8_ifPKiSA_SA_iPKfiiiPfSD_PS3_PT2_iSC_SC_,@function
_Z39paged_attention_ll4mi_QKV_mfma16_kernelIDF16_DF16_LN4vllm18Fp8KVCacheDataTypeE0EDF16_Li16ELi64ELi256ELb1ELi12EL8MFMAType0EEvPKT_PKT0_S8_ifPKiSA_SA_iPKfiiiPfSD_PS3_PT2_iSC_SC_: ; @_Z39paged_attention_ll4mi_QKV_mfma16_kernelIDF16_DF16_LN4vllm18Fp8KVCacheDataTypeE0EDF16_Li16ELi64ELi256ELb1ELi12EL8MFMAType0EEvPKT_PKT0_S8_ifPKiSA_SA_iPKfiiiPfSD_PS3_PT2_iSC_SC_
; %bb.0:
	s_load_b64 s[2:3], s[0:1], 0x30
	s_mov_b32 s34, s13
	s_waitcnt lgkmcnt(0)
	s_cmp_lg_u64 s[2:3], 0
	s_cselect_b32 s6, -1, 0
	s_ashr_i32 s35, s13, 31
	s_cmp_eq_u64 s[2:3], 0
	s_cbranch_scc1 .LBB69_3
; %bb.1:
	s_lshl_b64 s[4:5], s[34:35], 2
	s_delay_alu instid0(SALU_CYCLE_1) | instskip(SKIP_4) | instid1(SALU_CYCLE_1)
	s_add_u32 s4, s2, s4
	s_addc_u32 s5, s3, s5
	s_load_b64 s[4:5], s[4:5], 0x0
	s_waitcnt lgkmcnt(0)
	s_sub_i32 s4, s5, s4
	s_cmp_eq_u32 s4, 1
	s_cselect_b32 s4, -1, 0
	s_delay_alu instid0(SALU_CYCLE_1)
	s_and_not1_b32 vcc_lo, exec_lo, s4
	s_cbranch_vccz .LBB69_4
.LBB69_2:
	s_endpgm
.LBB69_3:
.LBB69_4:
	s_load_b64 s[8:9], s[0:1], 0x28
	s_lshl_b64 s[4:5], s[34:35], 2
	s_waitcnt lgkmcnt(0)
	s_add_u32 s8, s8, s4
	s_addc_u32 s9, s9, s5
	s_lshl_b32 s35, s14, 8
	s_load_b32 s30, s[8:9], 0x0
	s_waitcnt lgkmcnt(0)
	s_cmp_ge_i32 s35, s30
	s_cbranch_scc1 .LBB69_2
; %bb.5:
	s_clause 0x1
	s_load_b128 s[8:11], s[0:1], 0x8
	s_load_b64 s[12:13], s[0:1], 0x20
	s_and_not1_b32 vcc_lo, exec_lo, s6
	s_cbranch_vccnz .LBB69_7
; %bb.6:
	s_add_u32 s2, s2, s4
	s_addc_u32 s3, s3, s5
	s_load_b32 s3, s[2:3], 0x0
	s_branch .LBB69_8
.LBB69_7:
	s_mov_b32 s3, s34
.LBB69_8:
	s_load_b128 s[4:7], s[0:1], 0x48
	v_and_b32_e32 v148, 15, v0
	v_cmp_gt_u32_e32 vcc_lo, 0xc0, v0
	v_lshrrev_b32_e32 v149, 5, v0
	v_and_b32_e32 v150, 31, v0
	v_and_b32_e32 v147, 1, v0
	v_lshlrev_b32_e32 v1, 3, v148
	v_cmp_gt_u32_e64 s2, 8, v148
	v_bfe_u32 v146, v0, 4, 1
	s_mul_i32 s31, s15, 12
	s_delay_alu instid0(VALU_DEP_3) | instskip(NEXT) | instid1(VALU_DEP_3)
	v_lshlrev_b32_e32 v145, 1, v1
	s_and_b32 s16, vcc_lo, s2
	s_waitcnt lgkmcnt(0)
	s_and_saveexec_b32 s7, s16
	s_cbranch_execz .LBB69_10
; %bb.9:
	s_load_b64 s[16:17], s[0:1], 0x0
	v_lshl_or_b32 v5, v149, 1, v146
	s_mul_hi_i32 s19, s3, s4
	s_mul_i32 s18, s3, s4
	v_lshlrev_b32_e32 v6, 10, v148
	s_lshl_b64 s[18:19], s[18:19], 1
	v_add_lshl_u32 v1, v5, s31, 6
	v_lshlrev_b32_e32 v5, 6, v5
	v_lshlrev_b32_e32 v7, 10, v147
	v_and_b32_e32 v6, 0x3800, v6
	s_delay_alu instid0(VALU_DEP_4) | instskip(NEXT) | instid1(VALU_DEP_2)
	v_ashrrev_i32_e32 v2, 31, v1
	v_or3_b32 v5, v6, v7, v5
	s_delay_alu instid0(VALU_DEP_2) | instskip(SKIP_3) | instid1(VALU_DEP_1)
	v_lshlrev_b64 v[1:2], 1, v[1:2]
	s_waitcnt lgkmcnt(0)
	s_add_u32 s3, s16, s18
	s_addc_u32 s4, s17, s19
	v_add_co_u32 v1, vcc_lo, s3, v1
	s_delay_alu instid0(VALU_DEP_2) | instskip(NEXT) | instid1(VALU_DEP_2)
	v_add_co_ci_u32_e32 v2, vcc_lo, s4, v2, vcc_lo
	v_add_co_u32 v1, vcc_lo, v1, v145
	s_delay_alu instid0(VALU_DEP_2)
	v_add_co_ci_u32_e32 v2, vcc_lo, 0, v2, vcc_lo
	global_load_b128 v[1:4], v[1:2], off
	s_waitcnt vmcnt(0)
	ds_store_b128 v5, v[1:4]
.LBB69_10:
	s_or_b32 exec_lo, exec_lo, s7
	s_mov_b32 s40, 0
	s_add_i32 s3, s30, 15
	s_mov_b32 s41, s40
	s_mov_b32 s42, s40
	;; [unrolled: 1-line block ×7, first 2 shown]
	s_delay_alu instid0(SALU_CYCLE_1)
	v_dual_mov_b32 v144, s47 :: v_dual_and_b32 v1, 0xef, v0
	v_mov_b32_e32 v142, s45
	s_ashr_i32 s7, s3, 31
	s_clause 0x1
	s_load_b32 s4, s[0:1], 0x38
	s_load_b32 s33, s[0:1], 0x98
	v_add_nc_u32_e32 v1, s35, v1
	s_lshr_b32 s7, s7, 28
	s_load_b32 s36, s[0:1], 0x1c
	s_add_i32 s3, s3, s7
	s_waitcnt lgkmcnt(0)
	v_ashrrev_i32_e32 v2, 31, v1
	v_or_b32_e32 v3, 16, v1
	s_ashr_i32 s3, s3, 4
	v_cmp_gt_i32_e32 vcc_lo, s30, v1
	s_add_i32 s3, s3, -1
	v_lshrrev_b32_e32 v2, 28, v2
	v_mov_b32_e32 v143, s46
	s_barrier
	buffer_gl0_inv
	s_mul_i32 s6, s15, s6
	v_dual_mov_b32 v141, s44 :: v_dual_add_nc_u32 v4, v1, v2
	v_mov_b32_e32 v139, s42
	s_mul_i32 s16, s34, s4
	v_mov_b32_e32 v137, s40
	s_delay_alu instid0(VALU_DEP_3)
	v_ashrrev_i32_e32 v4, 4, v4
	v_add_nc_u32_e32 v2, v3, v2
	s_ashr_i32 s17, s16, 31
	v_mov_b32_e32 v140, s43
	s_lshl_b64 s[16:17], s[16:17], 2
	v_cndmask_b32_e32 v1, s3, v4, vcc_lo
	v_ashrrev_i32_e32 v2, 4, v2
	v_cmp_gt_i32_e32 vcc_lo, s30, v3
	s_add_u32 s4, s12, s16
	s_addc_u32 s37, s13, s17
	s_ashr_i32 s7, s6, 31
	v_mov_b32_e32 v138, s41
	v_cndmask_b32_e32 v3, s3, v2, vcc_lo
	v_ashrrev_i32_e32 v2, 31, v1
	s_lshl_b64 s[6:7], s[6:7], 1
	s_delay_alu instid0(SALU_CYCLE_1) | instskip(NEXT) | instid1(VALU_DEP_2)
	s_add_u32 s24, s8, s6
	v_ashrrev_i32_e32 v4, 31, v3
	s_delay_alu instid0(VALU_DEP_2) | instskip(SKIP_2) | instid1(VALU_DEP_2)
	v_lshlrev_b64 v[1:2], 2, v[1:2]
	s_addc_u32 s25, s9, s7
	s_lshl_b32 s8, s14, 4
	v_lshlrev_b64 v[3:4], 2, v[3:4]
	s_ashr_i32 s9, s8, 31
	s_delay_alu instid0(VALU_DEP_2) | instskip(SKIP_1) | instid1(VALU_DEP_3)
	v_add_co_u32 v1, vcc_lo, s4, v1
	v_add_co_ci_u32_e32 v2, vcc_lo, s37, v2, vcc_lo
	v_add_co_u32 v3, vcc_lo, s4, v3
	s_delay_alu instid0(VALU_DEP_4)
	v_add_co_ci_u32_e32 v4, vcc_lo, s37, v4, vcc_lo
	s_clause 0x1
	global_load_b32 v5, v[1:2], off
	global_load_b32 v6, v[3:4], off
	s_lshl_b64 s[8:9], s[8:9], 2
	v_lshlrev_b32_e32 v3, 4, v0
	s_add_u32 s8, s4, s8
	s_addc_u32 s9, s37, s9
	s_or_b32 s12, s35, 16
	s_delay_alu instid0(SALU_CYCLE_1) | instskip(SKIP_2) | instid1(SALU_CYCLE_1)
	s_ashr_i32 s13, s12, 4
	s_cmp_lt_i32 s12, s30
	s_cselect_b32 s12, s13, s3
	s_ashr_i32 s13, s12, 31
	s_delay_alu instid0(SALU_CYCLE_1) | instskip(NEXT) | instid1(SALU_CYCLE_1)
	s_lshl_b64 s[12:13], s[12:13], 2
	s_add_u32 s12, s4, s12
	s_addc_u32 s13, s37, s13
	s_or_b32 s15, s35, 32
	s_delay_alu instid0(SALU_CYCLE_1) | instskip(SKIP_2) | instid1(SALU_CYCLE_1)
	s_ashr_i32 s16, s15, 4
	s_cmp_lt_i32 s15, s30
	s_cselect_b32 s16, s16, s3
	s_ashr_i32 s17, s16, 31
	s_delay_alu instid0(SALU_CYCLE_1) | instskip(NEXT) | instid1(SALU_CYCLE_1)
	s_lshl_b64 s[16:17], s[16:17], 2
	;; [unrolled: 10-line block ×5, first 2 shown]
	s_add_u32 s22, s4, s22
	s_addc_u32 s23, s37, s23
	s_clause 0x5
	s_load_b32 s8, s[8:9], 0x0
	s_load_b32 s12, s[12:13], 0x0
	;; [unrolled: 1-line block ×6, first 2 shown]
	s_waitcnt lgkmcnt(0)
	s_mul_hi_i32 s17, s16, s5
	s_mul_i32 s16, s16, s5
	s_waitcnt vmcnt(1)
	v_mad_i64_i32 v[1:2], null, v5, s5, 0
	v_and_b32_e32 v5, 0xf0, v3
	s_waitcnt vmcnt(0)
	v_mad_i64_i32 v[3:4], null, v6, s5, 0
	s_delay_alu instid0(VALU_DEP_2) | instskip(NEXT) | instid1(VALU_DEP_4)
	v_add_co_u32 v7, s9, s24, v5
	v_lshlrev_b64 v[1:2], 1, v[1:2]
	v_add_co_ci_u32_e64 v8, null, s25, 0, s9
	s_delay_alu instid0(VALU_DEP_4) | instskip(SKIP_1) | instid1(VALU_DEP_3)
	v_lshlrev_b64 v[5:6], 1, v[3:4]
	s_or_b32 s9, s35, 0x60
	v_add_co_u32 v3, vcc_lo, v7, v1
	s_delay_alu instid0(VALU_DEP_3) | instskip(NEXT) | instid1(VALU_DEP_3)
	v_add_co_ci_u32_e32 v4, vcc_lo, v8, v2, vcc_lo
	v_add_co_u32 v1, vcc_lo, v7, v5
	s_delay_alu instid0(VALU_DEP_4)
	v_add_co_ci_u32_e32 v2, vcc_lo, v8, v6, vcc_lo
	s_clause 0x9
	global_load_b128 v[9:12], v[3:4], off
	global_load_b128 v[13:16], v[3:4], off offset:256
	global_load_b128 v[129:132], v[1:2], off
	global_load_b128 v[133:136], v[1:2], off offset:256
	global_load_b128 v[41:44], v[3:4], off offset:512
	global_load_b128 v[45:48], v[3:4], off offset:768
	global_load_b128 v[33:36], v[1:2], off offset:512
	global_load_b128 v[37:40], v[1:2], off offset:768
	global_load_b128 v[17:20], v[3:4], off offset:1024
	global_load_b128 v[21:24], v[3:4], off offset:1280
	v_add_nc_u32_e32 v5, -12, v148
	v_cmp_gt_u32_e32 vcc_lo, 12, v148
	s_clause 0x1
	global_load_b128 v[151:154], v[1:2], off offset:1024
	global_load_b128 v[155:158], v[1:2], off offset:1280
	s_ashr_i32 s13, s9, 4
	s_cmp_lt_i32 s9, s30
	v_lshlrev_b32_e32 v6, 5, v148
	v_cndmask_b32_e32 v5, v5, v148, vcc_lo
	s_cselect_b32 s22, s13, s3
	s_delay_alu instid0(SALU_CYCLE_1) | instskip(NEXT) | instid1(VALU_DEP_2)
	s_ashr_i32 s23, s22, 31
	v_lshl_or_b32 v6, v149, 9, v6
	s_delay_alu instid0(VALU_DEP_2)
	v_lshlrev_b32_e32 v197, 6, v5
	ds_load_b128 v[159:162], v197
	ds_load_b128 v[163:166], v197 offset:1024
	s_clause 0x3
	global_load_b128 v[167:170], v[3:4], off offset:1536
	global_load_b128 v[171:174], v[3:4], off offset:1792
	global_load_b128 v[175:178], v[1:2], off offset:1536
	global_load_b128 v[179:182], v[1:2], off offset:1792
	s_lshl_b64 s[22:23], s[22:23], 2
	s_delay_alu instid0(SALU_CYCLE_1)
	s_add_u32 s22, s4, s22
	s_addc_u32 s23, s37, s23
	s_or_b32 s9, s35, 0x70
	s_load_b32 s46, s[22:23], 0x0
	s_ashr_i32 s13, s9, 4
	s_cmp_lt_i32 s9, s30
	s_cselect_b32 s24, s13, s3
	s_delay_alu instid0(SALU_CYCLE_1) | instskip(NEXT) | instid1(SALU_CYCLE_1)
	s_ashr_i32 s25, s24, 31
	s_lshl_b64 s[24:25], s[24:25], 2
	s_delay_alu instid0(SALU_CYCLE_1)
	s_add_u32 s24, s4, s24
	s_addc_u32 s25, s37, s25
	s_or_b32 s9, s35, 0x80
	s_load_b32 s47, s[24:25], 0x0
	s_ashr_i32 s13, s9, 4
	s_cmp_lt_i32 s9, s30
	s_cselect_b32 s26, s13, s3
	s_delay_alu instid0(SALU_CYCLE_1) | instskip(NEXT) | instid1(SALU_CYCLE_1)
	s_ashr_i32 s27, s26, 31
	;; [unrolled: 11-line block ×3, first 2 shown]
	s_lshl_b64 s[28:29], s[28:29], 2
	s_delay_alu instid0(SALU_CYCLE_1) | instskip(SKIP_2) | instid1(SALU_CYCLE_1)
	s_add_u32 s28, s4, s28
	s_addc_u32 s29, s37, s29
	s_or_b32 s9, s35, 0xa0
	s_ashr_i32 s13, s9, 4
	s_cmp_lt_i32 s9, s30
	s_cselect_b32 s38, s13, s3
	s_delay_alu instid0(SALU_CYCLE_1) | instskip(NEXT) | instid1(SALU_CYCLE_1)
	s_ashr_i32 s39, s38, 31
	s_lshl_b64 s[38:39], s[38:39], 2
	s_delay_alu instid0(SALU_CYCLE_1) | instskip(SKIP_2) | instid1(SALU_CYCLE_1)
	s_add_u32 s38, s4, s38
	s_addc_u32 s39, s37, s39
	s_or_b32 s9, s35, 0xb0
	s_ashr_i32 s13, s9, 4
	s_cmp_lt_i32 s9, s30
	s_mul_hi_i32 s9, s8, s5
	s_cselect_b32 s40, s13, s3
	s_mul_i32 s8, s8, s5
	s_ashr_i32 s41, s40, 31
	s_mul_hi_i32 s13, s12, s5
	s_lshl_b64 s[40:41], s[40:41], 2
	s_mul_i32 s12, s12, s5
	s_add_u32 s42, s4, s40
	s_addc_u32 s43, s37, s41
	s_or_b32 s19, s35, 0xc0
	s_delay_alu instid0(SALU_CYCLE_1)
	s_ashr_i32 s21, s19, 4
	s_cmp_lt_i32 s19, s30
	s_mul_hi_i32 s19, s18, s5
	s_cselect_b32 s40, s21, s3
	s_mul_i32 s18, s18, s5
	s_ashr_i32 s41, s40, 31
	s_mul_hi_i32 s21, s20, s5
	s_lshl_b64 s[40:41], s[40:41], 2
	s_mul_i32 s20, s20, s5
	s_add_u32 s44, s4, s40
	s_addc_u32 s45, s37, s41
	s_load_b32 s41, s[28:29], 0x0
	s_or_b32 s40, s35, 0xd0
	s_mul_hi_i32 s23, s15, s5
	s_ashr_i32 s22, s40, 4
	s_cmp_lt_i32 s40, s30
	s_load_b32 s40, s[38:39], 0x0
	s_cselect_b32 s24, s22, s3
	s_mul_i32 s22, s15, s5
	s_ashr_i32 s25, s24, 31
	s_waitcnt lgkmcnt(0)
	s_mul_hi_i32 s29, s48, s5
	s_lshl_b64 s[24:25], s[24:25], 2
	s_mul_i32 s28, s48, s5
	s_add_u32 s24, s4, s24
	s_addc_u32 s25, s37, s25
	s_or_b32 s49, s35, 0xe0
	s_clause 0x2
	s_load_b32 s39, s[42:43], 0x0
	s_load_b32 s38, s[44:45], 0x0
	;; [unrolled: 1-line block ×3, first 2 shown]
	s_ashr_i32 s50, s49, 4
	s_cmp_lt_i32 s49, s30
	s_mul_hi_i32 s25, s46, s5
	s_cselect_b32 s44, s50, s3
	s_mul_i32 s24, s46, s5
	s_ashr_i32 s45, s44, 31
	s_mul_hi_i32 s27, s47, s5
	s_lshl_b64 s[44:45], s[44:45], 2
	s_mul_i32 s26, s47, s5
	s_add_u32 s44, s4, s44
	s_addc_u32 s45, s37, s45
	s_or_b32 s46, s35, 0xf0
	s_mul_hi_i32 s43, s41, s5
	s_ashr_i32 s48, s46, 4
	s_cmp_lt_i32 s46, s30
	s_mul_i32 s42, s41, s5
	s_cselect_b32 s48, s48, s3
	s_mul_hi_i32 s41, s40, s5
	s_ashr_i32 s49, s48, 31
	s_mul_i32 s40, s40, s5
	s_lshl_b64 s[48:49], s[48:49], 2
	s_waitcnt lgkmcnt(0)
	s_mul_hi_i32 s47, s39, s5
	s_add_u32 s48, s4, s48
	s_addc_u32 s49, s37, s49
	s_add_u32 s3, s10, s6
	s_addc_u32 s4, s11, s7
	v_add_co_u32 v195, s3, s3, v6
	s_delay_alu instid0(VALU_DEP_1) | instskip(SKIP_2) | instid1(VALU_DEP_2)
	v_add_co_ci_u32_e64 v196, null, s4, 0, s3
	s_lshl_b64 s[6:7], s[8:9], 1
	s_lshl_b64 s[8:9], s[12:13], 1
	v_add_co_u32 v1, vcc_lo, v195, s6
	s_delay_alu instid0(VALU_DEP_2)
	v_add_co_ci_u32_e32 v2, vcc_lo, s7, v196, vcc_lo
	v_add_co_u32 v3, vcc_lo, v195, s8
	s_lshl_b64 s[10:11], s[16:17], 1
	v_add_co_ci_u32_e32 v4, vcc_lo, s9, v196, vcc_lo
	v_add_co_u32 v5, vcc_lo, v195, s10
	s_lshl_b64 s[12:13], s[18:19], 1
	v_add_co_ci_u32_e32 v6, vcc_lo, s11, v196, vcc_lo
	v_add_co_u32 v7, vcc_lo, v195, s12
	s_lshl_b64 s[16:17], s[20:21], 1
	v_add_co_ci_u32_e32 v8, vcc_lo, s13, v196, vcc_lo
	v_add_co_u32 v25, vcc_lo, v195, s16
	s_lshl_b64 s[18:19], s[22:23], 1
	v_add_co_ci_u32_e32 v26, vcc_lo, s17, v196, vcc_lo
	v_add_co_u32 v27, vcc_lo, v195, s18
	s_lshl_b64 s[20:21], s[24:25], 1
	v_add_co_ci_u32_e32 v28, vcc_lo, s19, v196, vcc_lo
	v_add_co_u32 v29, vcc_lo, v195, s20
	s_lshl_b64 s[22:23], s[26:27], 1
	v_add_co_ci_u32_e32 v30, vcc_lo, s21, v196, vcc_lo
	v_add_co_u32 v31, vcc_lo, v195, s22
	s_lshl_b64 s[24:25], s[28:29], 1
	v_add_co_ci_u32_e32 v32, vcc_lo, s23, v196, vcc_lo
	v_add_co_u32 v49, vcc_lo, v195, s24
	s_lshl_b64 s[26:27], s[42:43], 1
	v_add_co_ci_u32_e32 v50, vcc_lo, s25, v196, vcc_lo
	v_add_co_u32 v53, vcc_lo, v195, s26
	s_lshl_b64 s[28:29], s[40:41], 1
	s_mul_i32 s46, s39, s5
	v_add_co_ci_u32_e32 v54, vcc_lo, s27, v196, vcc_lo
	v_add_co_u32 v183, vcc_lo, v195, s28
	s_lshl_b64 s[40:41], s[46:47], 1
	s_mul_hi_i32 s39, s38, s5
	s_mul_i32 s38, s38, s5
	v_add_co_ci_u32_e32 v184, vcc_lo, s29, v196, vcc_lo
	v_add_co_u32 v185, vcc_lo, v195, s40
	s_lshl_b64 s[38:39], s[38:39], 1
	s_clause 0x1
	s_load_b32 s3, s[44:45], 0x0
	s_load_b32 s4, s[48:49], 0x0
	v_add_co_ci_u32_e32 v186, vcc_lo, s41, v196, vcc_lo
	v_add_co_u32 v191, vcc_lo, v195, s38
	v_add_co_ci_u32_e32 v192, vcc_lo, s39, v196, vcc_lo
	s_clause 0x17
	global_load_b128 v[121:124], v[1:2], off
	global_load_b128 v[125:128], v[1:2], off offset:16
	global_load_b128 v[113:116], v[3:4], off
	global_load_b128 v[117:120], v[3:4], off offset:16
	;; [unrolled: 2-line block ×12, first 2 shown]
	s_mul_hi_i32 s51, s15, s5
	s_mul_i32 s50, s15, s5
	s_delay_alu instid0(SALU_CYCLE_1) | instskip(NEXT) | instid1(SALU_CYCLE_1)
	s_lshl_b64 s[42:43], s[50:51], 1
	v_add_co_u32 v193, vcc_lo, v195, s42
	v_add_co_ci_u32_e32 v194, vcc_lo, s43, v196, vcc_lo
	s_waitcnt lgkmcnt(0)
	s_mul_hi_i32 s7, s3, s5
	s_mul_i32 s6, s3, s5
	s_mul_hi_i32 s9, s4, s5
	s_lshl_b64 s[6:7], s[6:7], 1
	s_mul_i32 s8, s4, s5
	s_delay_alu instid0(SALU_CYCLE_1)
	s_lshl_b64 s[4:5], s[8:9], 1
	s_waitcnt vmcnt(38)
	v_wmma_f32_16x16x16_f16 v[183:190], v[9:16], v[159:166], v[137:144]
	s_waitcnt vmcnt(36)
	v_wmma_f32_16x16x16_f16 v[137:144], v[129:136], v[159:166], v[137:144]
	s_clause 0x1
	global_load_b128 v[9:12], v[191:192], off
	global_load_b128 v[13:16], v[191:192], off offset:16
	ds_load_b128 v[129:132], v197 offset:2048
	ds_load_b128 v[133:136], v197 offset:3072
	;; [unrolled: 1-line block ×4, first 2 shown]
	v_add_co_u32 v191, vcc_lo, v195, s6
	v_add_co_ci_u32_e32 v192, vcc_lo, s7, v196, vcc_lo
	v_add_co_u32 v195, vcc_lo, v195, s4
	v_add_co_ci_u32_e32 v196, vcc_lo, s5, v196, vcc_lo
	s_waitcnt vmcnt(36) lgkmcnt(2)
	v_wmma_f32_16x16x16_f16 v[183:190], v[41:48], v[129:136], v[183:190]
	s_waitcnt vmcnt(34)
	v_wmma_f32_16x16x16_f16 v[137:144], v[33:40], v[129:136], v[137:144]
	s_clause 0x3
	global_load_b128 v[33:36], v[193:194], off
	global_load_b128 v[37:40], v[193:194], off offset:16
	global_load_b128 v[41:44], v[191:192], off
	global_load_b128 v[45:48], v[191:192], off offset:16
	v_and_b32_e32 v129, 0xe0, v0
	v_mbcnt_lo_u32_b32 v191, -1, 0
	s_waitcnt vmcnt(36) lgkmcnt(0)
	v_wmma_f32_16x16x16_f16 v[183:190], v[17:24], v[159:166], v[183:190]
	s_clause 0x1
	global_load_b128 v[17:20], v[195:196], off
	global_load_b128 v[21:24], v[195:196], off offset:16
	s_waitcnt vmcnt(36)
	v_wmma_f32_16x16x16_f16 v[137:144], v[151:158], v[159:166], v[137:144]
	v_add_nc_u32_e32 v192, s35, v129
	ds_load_b128 v[129:132], v197 offset:6144
	ds_load_b128 v[133:136], v197 offset:7168
	v_xor_b32_e32 v151, 16, v191
	s_waitcnt vmcnt(0) lgkmcnt(0)
	s_barrier
	v_or_b32_e32 v152, v192, v146
	buffer_gl0_inv
	v_cmp_gt_i32_e32 vcc_lo, 32, v151
	v_or_b32_e32 v153, 2, v152
	v_or_b32_e32 v154, 4, v152
	;; [unrolled: 1-line block ×5, first 2 shown]
	v_cmp_gt_i32_e64 s3, s30, v153
	v_cmp_gt_i32_e64 s4, s30, v154
	v_cmp_gt_i32_e64 s5, s30, v155
	v_or_b32_e32 v158, 12, v152
	v_or_b32_e32 v159, 14, v152
	v_cmp_gt_i32_e64 s6, s30, v156
	v_wmma_f32_16x16x16_f16 v[183:190], v[167:174], v[129:136], v[183:190]
	v_wmma_f32_16x16x16_f16 v[137:144], v[175:182], v[129:136], v[137:144]
	v_cndmask_b32_e32 v151, v191, v151, vcc_lo
	v_cmp_gt_i32_e32 vcc_lo, s30, v152
	v_cmp_gt_i32_e64 s7, s30, v157
	v_dual_mul_f32 v135, s36, v184 :: v_dual_mul_f32 v136, s36, v183
	v_dual_mul_f32 v133, s36, v186 :: v_dual_mul_f32 v134, s36, v185
	;; [unrolled: 1-line block ×3, first 2 shown]
	s_delay_alu instid0(VALU_DEP_3) | instskip(NEXT) | instid1(VALU_DEP_4)
	v_cndmask_b32_e32 v136, 0xff7fffff, v136, vcc_lo
	v_cndmask_b32_e64 v135, 0xff7fffff, v135, s3
	v_mul_f32_e32 v132, s36, v187
	v_cndmask_b32_e64 v134, 0xff7fffff, v134, s4
	v_cndmask_b32_e64 v133, 0xff7fffff, v133, s5
	v_or_b32_e32 v160, 16, v152
	v_max3_f32 v135, v136, 0xff7fffff, v135
	v_or_b32_e32 v161, 18, v152
	v_mul_f32_e32 v130, s36, v189
	v_dual_mul_f32 v172, s36, v140 :: v_dual_mul_f32 v129, s36, v190
	v_cndmask_b32_e64 v132, 0xff7fffff, v132, s6
	v_cndmask_b32_e64 v131, 0xff7fffff, v131, s7
	v_max3_f32 v133, v135, v134, v133
	v_cmp_gt_i32_e64 s8, s30, v158
	v_cmp_gt_i32_e64 s9, s30, v159
	v_or_b32_e32 v162, 20, v152
	v_or_b32_e32 v163, 22, v152
	v_mul_f32_e32 v175, s36, v137
	v_cndmask_b32_e64 v130, 0xff7fffff, v130, s8
	v_cndmask_b32_e64 v129, 0xff7fffff, v129, s9
	v_max3_f32 v131, v133, v132, v131
	v_cmp_gt_i32_e64 s10, s30, v160
	v_cmp_gt_i32_e64 s11, s30, v161
	v_or_b32_e32 v164, 24, v152
	v_or_b32_e32 v165, 26, v152
	v_mul_f32_e32 v173, s36, v139
	v_cndmask_b32_e64 v132, 0xff7fffff, v175, s10
	v_cndmask_b32_e64 v133, 0xff7fffff, v174, s11
	v_max3_f32 v129, v131, v130, v129
	v_cmp_gt_i32_e64 s12, s30, v162
	v_cmp_gt_i32_e64 s13, s30, v163
	v_or_b32_e32 v166, 28, v152
	v_or_b32_e32 v167, 30, v152
	v_dual_mul_f32 v170, s36, v142 :: v_dual_mul_f32 v171, s36, v141
	v_cndmask_b32_e64 v130, 0xff7fffff, v173, s12
	v_cndmask_b32_e64 v131, 0xff7fffff, v172, s13
	v_max3_f32 v129, v129, v132, v133
	v_cmp_gt_i32_e64 s15, s30, v164
	v_cmp_gt_i32_e64 s16, s30, v165
	v_dual_mul_f32 v168, s36, v144 :: v_dual_mul_f32 v169, s36, v143
	s_delay_alu instid0(VALU_DEP_4) | instskip(NEXT) | instid1(VALU_DEP_4)
	v_max3_f32 v129, v129, v130, v131
	v_cndmask_b32_e64 v132, 0xff7fffff, v171, s15
	s_delay_alu instid0(VALU_DEP_4) | instskip(SKIP_2) | instid1(VALU_DEP_3)
	v_cndmask_b32_e64 v133, 0xff7fffff, v170, s16
	v_cmp_gt_i32_e64 s17, s30, v166
	v_cmp_gt_i32_e64 s18, s30, v167
	v_max3_f32 v129, v129, v132, v133
	s_delay_alu instid0(VALU_DEP_3) | instskip(NEXT) | instid1(VALU_DEP_3)
	v_cndmask_b32_e64 v130, 0xff7fffff, v169, s17
	v_cndmask_b32_e64 v131, 0xff7fffff, v168, s18
	v_lshlrev_b32_e32 v132, 2, v151
	s_delay_alu instid0(VALU_DEP_2) | instskip(SKIP_3) | instid1(VALU_DEP_1)
	v_max3_f32 v129, v129, v130, v131
	ds_bpermute_b32 v130, v132, v129
	s_waitcnt lgkmcnt(0)
	v_max_f32_e32 v130, v130, v130
	v_max_f32_e32 v129, v129, v130
	s_delay_alu instid0(VALU_DEP_1) | instskip(SKIP_4) | instid1(VALU_DEP_4)
	v_fma_f32 v134, s36, v186, -v129
	v_fma_f32 v135, s36, v187, -v129
	;; [unrolled: 1-line block ×5, first 2 shown]
	v_dual_mul_f32 v134, 0x3fb8aa3b, v134 :: v_dual_mul_f32 v135, 0x3fb8aa3b, v135
	s_delay_alu instid0(VALU_DEP_4) | instskip(SKIP_1) | instid1(VALU_DEP_3)
	v_mul_f32_e32 v130, 0x3fb8aa3b, v130
	v_fma_f32 v136, s36, v189, -v129
	v_exp_f32_e32 v134, v134
	s_delay_alu instid0(VALU_DEP_3) | instskip(NEXT) | instid1(VALU_DEP_2)
	v_exp_f32_e32 v135, v135
	v_exp_f32_e32 v130, v130
	s_delay_alu instid0(VALU_DEP_1) | instskip(NEXT) | instid1(VALU_DEP_1)
	v_mul_f32_e32 v136, 0x3fb8aa3b, v136
	v_exp_f32_e32 v136, v136
	v_cndmask_b32_e64 v153, 0, v134, s5
	v_fma_f32 v134, s36, v137, -v129
	v_mul_f32_e32 v131, 0x3fb8aa3b, v131
	s_delay_alu instid0(TRANS32_DEP_3) | instskip(NEXT) | instid1(TRANS32_DEP_2)
	v_cndmask_b32_e64 v155, 0, v135, s6
	v_dual_mul_f32 v133, 0x3fb8aa3b, v133 :: v_dual_cndmask_b32 v152, 0, v130
	s_delay_alu instid0(VALU_DEP_4) | instskip(NEXT) | instid1(VALU_DEP_4)
	v_mul_f32_e32 v134, 0x3fb8aa3b, v134
	v_exp_f32_e32 v131, v131
	v_fma_f32 v135, s36, v138, -v129
	s_delay_alu instid0(VALU_DEP_3)
	v_exp_f32_e32 v133, v133
	v_fma_f32 v130, s36, v188, -v129
	v_cndmask_b32_e64 v156, 0, v136, s8
	v_fma_f32 v136, s36, v140, -v129
	v_mul_f32_e32 v135, 0x3fb8aa3b, v135
	v_exp_f32_e32 v134, v134
	v_mul_f32_e32 v130, 0x3fb8aa3b, v130
	s_delay_alu instid0(TRANS32_DEP_3) | instskip(SKIP_1) | instid1(TRANS32_DEP_2)
	v_cndmask_b32_e64 v151, 0, v131, s3
	v_add_f32_e32 v131, 0, v152
	v_cndmask_b32_e64 v154, 0, v133, s4
	v_exp_f32_e32 v135, v135
	v_fma_f32 v133, s36, v190, -v129
	v_exp_f32_e32 v130, v130
	v_dual_add_f32 v131, v131, v151 :: v_dual_mul_f32 v136, 0x3fb8aa3b, v136
	s_mov_b32 s3, exec_lo
	s_delay_alu instid0(VALU_DEP_2) | instskip(NEXT) | instid1(VALU_DEP_2)
	v_mul_f32_e32 v133, 0x3fb8aa3b, v133
	v_add_f32_e32 v131, v131, v154
	s_delay_alu instid0(VALU_DEP_3) | instskip(NEXT) | instid1(TRANS32_DEP_3)
	v_exp_f32_e32 v136, v136
	v_cndmask_b32_e64 v140, 0, v135, s11
	s_delay_alu instid0(VALU_DEP_3) | instskip(NEXT) | instid1(TRANS32_DEP_3)
	v_exp_f32_e32 v133, v133
	v_cndmask_b32_e64 v138, 0, v130, s7
	v_add_f32_e32 v131, v131, v153
	v_fma_f32 v135, s36, v143, -v129
	s_delay_alu instid0(VALU_DEP_2)
	v_add_f32_e32 v130, v131, v155
	v_fma_f32 v131, s36, v139, -v129
	s_waitcnt_depctr 0xfff
	v_cndmask_b32_e64 v139, 0, v133, s9
	v_fma_f32 v133, s36, v141, -v129
	v_add_f32_e32 v130, v130, v138
	v_cndmask_b32_e64 v141, 0, v134, s10
	v_fma_f32 v134, s36, v142, -v129
	v_cndmask_b32_e64 v142, 0, v136, s13
	s_delay_alu instid0(VALU_DEP_4) | instskip(NEXT) | instid1(VALU_DEP_3)
	v_dual_mul_f32 v131, 0x3fb8aa3b, v131 :: v_dual_add_f32 v130, v130, v156
	v_mul_f32_e32 v134, 0x3fb8aa3b, v134
	s_delay_alu instid0(VALU_DEP_2) | instskip(NEXT) | instid1(VALU_DEP_2)
	v_exp_f32_e32 v131, v131
	v_add_f32_e32 v130, v130, v139
	s_delay_alu instid0(VALU_DEP_2) | instskip(NEXT) | instid1(VALU_DEP_1)
	v_exp_f32_e32 v134, v134
	v_add_f32_e32 v130, v130, v141
	s_waitcnt_depctr 0xfff
	v_cndmask_b32_e64 v143, 0, v131, s12
	v_dual_add_f32 v130, v130, v140 :: v_dual_mul_f32 v133, 0x3fb8aa3b, v133
	s_delay_alu instid0(VALU_DEP_1) | instskip(NEXT) | instid1(VALU_DEP_2)
	v_add_f32_e32 v130, v130, v143
	v_exp_f32_e32 v133, v133
	s_delay_alu instid0(VALU_DEP_1)
	v_add_f32_e32 v130, v130, v142
	s_waitcnt_depctr 0xfff
	v_cndmask_b32_e64 v157, 0, v133, s15
	v_mul_f32_e32 v131, 0x3fb8aa3b, v135
	v_fma_f32 v135, s36, v144, -v129
	v_cndmask_b32_e64 v144, 0, v134, s16
	s_delay_alu instid0(VALU_DEP_4) | instskip(NEXT) | instid1(VALU_DEP_4)
	v_add_f32_e32 v130, v130, v157
	v_exp_f32_e32 v131, v131
	s_delay_alu instid0(VALU_DEP_1) | instskip(NEXT) | instid1(VALU_DEP_1)
	v_dual_mul_f32 v133, 0x3fb8aa3b, v135 :: v_dual_add_f32 v130, v130, v144
	v_exp_f32_e32 v133, v133
	s_waitcnt_depctr 0xfff
	v_cndmask_b32_e64 v159, 0, v131, s17
	s_delay_alu instid0(VALU_DEP_1) | instskip(SKIP_1) | instid1(VALU_DEP_1)
	v_add_f32_e32 v130, v130, v159
	v_cndmask_b32_e64 v158, 0, v133, s18
	v_add_f32_e32 v130, v130, v158
	ds_bpermute_b32 v131, v132, v130
	v_cmpx_gt_u32_e32 16, v150
	s_cbranch_execz .LBB69_12
; %bb.11:
	v_mul_u32_u24_e32 v132, 0x44, v149
	s_delay_alu instid0(VALU_DEP_1) | instskip(SKIP_1) | instid1(VALU_DEP_1)
	v_lshl_add_u32 v132, v148, 2, v132
	s_waitcnt lgkmcnt(0)
	v_dual_add_f32 v130, v130, v131 :: v_dual_add_nc_u32 v131, 0x4000, v132
	ds_store_2addr_b32 v131, v129, v130 offset1:136
.LBB69_12:
	s_or_b32 exec_lo, exec_lo, s3
	v_lshlrev_b32_e32 v129, 2, v148
	s_load_b32 s35, s[0:1], 0x94
	s_waitcnt lgkmcnt(0)
	s_barrier
	buffer_gl0_inv
	v_add_nc_u32_e32 v135, 0x4000, v129
	v_cmp_eq_u32_e32 vcc_lo, 1, v149
	v_cmp_eq_u32_e64 s3, 2, v149
	v_cmp_eq_u32_e64 s4, 3, v149
	;; [unrolled: 1-line block ×3, first 2 shown]
	ds_load_2addr_b32 v[129:130], v135 offset1:17
	ds_load_2addr_b32 v[131:132], v135 offset0:34 offset1:51
	ds_load_2addr_b32 v[133:134], v135 offset0:68 offset1:85
	;; [unrolled: 1-line block ×3, first 2 shown]
	v_cmp_eq_u32_e64 s6, 5, v149
	v_cmp_eq_u32_e64 s7, 7, v149
	s_waitcnt lgkmcnt(3)
	v_max3_f32 v136, v129, 0xff7fffff, v130
	s_waitcnt lgkmcnt(2)
	s_delay_alu instid0(VALU_DEP_1) | instskip(SKIP_1) | instid1(VALU_DEP_1)
	v_max3_f32 v136, v136, v131, v132
	s_waitcnt lgkmcnt(1)
	v_max3_f32 v136, v136, v133, v134
	s_waitcnt lgkmcnt(0)
	s_delay_alu instid0(VALU_DEP_1) | instskip(NEXT) | instid1(VALU_DEP_1)
	v_max3_f32 v136, v136, v160, v161
	v_sub_f32_e32 v164, v132, v136
	ds_load_2addr_b32 v[162:163], v135 offset0:136 offset1:153
	v_sub_f32_e32 v129, v129, v136
	v_sub_f32_e32 v137, v130, v136
	;; [unrolled: 1-line block ×3, first 2 shown]
	v_mul_f32_e32 v164, 0x3fb8aa3b, v164
	s_delay_alu instid0(VALU_DEP_4) | instskip(NEXT) | instid1(VALU_DEP_4)
	v_mul_f32_e32 v150, 0x3fb8aa3b, v129
	v_mul_f32_e32 v137, 0x3fb8aa3b, v137
	ds_load_2addr_b32 v[129:130], v135 offset0:170 offset1:187
	v_mul_f32_e32 v167, 0x3fb8aa3b, v133
	v_exp_f32_e32 v164, v164
	v_exp_f32_e32 v150, v150
	;; [unrolled: 1-line block ×3, first 2 shown]
	v_sub_f32_e32 v131, v131, v136
	s_delay_alu instid0(VALU_DEP_1)
	v_mul_f32_e32 v165, 0x3fb8aa3b, v131
	ds_load_2addr_b32 v[131:132], v135 offset0:204 offset1:221
	s_waitcnt lgkmcnt(2)
	v_fma_f32 v137, v150, v162, 0
	v_sub_f32_e32 v162, v134, v136
	v_exp_f32_e32 v165, v165
	ds_load_2addr_b32 v[133:134], v135 offset0:238 offset1:255
	v_sub_f32_e32 v135, v160, v136
	v_dual_fmac_f32 v137, v166, v163 :: v_dual_mul_f32 v160, 0x3fb8aa3b, v162
	v_exp_f32_e32 v162, v167
	s_waitcnt lgkmcnt(0)
	s_delay_alu instid0(VALU_DEP_2)
	v_mul_f32_e32 v135, 0x3fb8aa3b, v135
	s_barrier
	v_exp_f32_e32 v160, v160
	v_fmac_f32_e32 v137, v165, v129
	v_sub_f32_e32 v129, v161, v136
	v_exp_f32_e32 v161, v135
	buffer_gl0_inv
	v_fmac_f32_e32 v137, v164, v130
	v_dual_mul_f32 v129, 0x3fb8aa3b, v129 :: v_dual_cndmask_b32 v130, v150, v166
	s_delay_alu instid0(VALU_DEP_2) | instskip(NEXT) | instid1(VALU_DEP_2)
	v_fmac_f32_e32 v137, v162, v131
	v_exp_f32_e32 v163, v129
	s_delay_alu instid0(VALU_DEP_1) | instskip(NEXT) | instid1(VALU_DEP_1)
	v_fmac_f32_e32 v137, v160, v132
	v_fmac_f32_e32 v137, v161, v133
	v_lshlrev_b32_e32 v133, 6, v148
	s_waitcnt_depctr 0xfff
	v_fmac_f32_e32 v137, v163, v134
	v_lshl_or_b32 v135, v149, 11, v133
	s_delay_alu instid0(VALU_DEP_2) | instskip(NEXT) | instid1(VALU_DEP_1)
	v_add_f32_e32 v134, 0x358637bd, v137
	v_div_scale_f32 v167, null, v134, v134, 1.0
	v_div_scale_f32 v150, vcc_lo, 1.0, v134, 1.0
	s_delay_alu instid0(VALU_DEP_2) | instskip(SKIP_2) | instid1(VALU_DEP_1)
	v_rcp_f32_e32 v168, v167
	s_waitcnt_depctr 0xfff
	v_fma_f32 v129, -v167, v168, 1.0
	v_fmac_f32_e32 v168, v129, v168
	v_cndmask_b32_e64 v129, v130, v165, s3
	v_cmp_eq_u32_e64 s3, 6, v149
	s_delay_alu instid0(VALU_DEP_3) | instskip(NEXT) | instid1(VALU_DEP_3)
	v_mul_f32_e32 v165, v150, v168
	v_cndmask_b32_e64 v130, v129, v164, s4
	v_lshlrev_b32_e32 v129, 2, v146
	s_delay_alu instid0(VALU_DEP_3) | instskip(NEXT) | instid1(VALU_DEP_3)
	v_fma_f32 v131, -v167, v165, v150
	v_cndmask_b32_e64 v162, v130, v162, s5
	s_delay_alu instid0(VALU_DEP_3)
	v_or_b32_e32 v130, 1, v129
	v_or_b32_e32 v132, 2, v129
	v_cmp_eq_u32_e64 s4, 1, v129
	v_fmac_f32_e32 v165, v131, v168
	v_cndmask_b32_e64 v149, v162, v160, s6
	v_or_b32_e32 v131, 3, v129
	v_cmp_eq_u32_e64 s9, 1, v130
	v_cmp_eq_u32_e64 s10, 1, v132
	v_fma_f32 v150, -v167, v165, v150
	v_cndmask_b32_e64 v149, v149, v161, s3
	v_cmp_eq_u32_e64 s11, 1, v131
	v_cmp_eq_u32_e64 s5, 2, v129
	;; [unrolled: 1-line block ×3, first 2 shown]
	v_div_fmas_f32 v150, v150, v168, v165
	v_cndmask_b32_e64 v149, v149, v163, s7
	v_cmp_eq_u32_e64 s15, 2, v132
	v_cmp_eq_u32_e64 s16, 2, v131
	v_cmp_eq_u32_e32 vcc_lo, 3, v129
	v_div_fixup_f32 v150, v150, v134, 1.0
	v_lshl_or_b32 v134, v146, 4, v135
	v_cmp_eq_u32_e64 s13, 3, v130
	v_cmp_eq_u32_e64 s18, 3, v131
	;; [unrolled: 1-line block ×3, first 2 shown]
	v_mul_f32_e32 v149, v149, v150
	v_cmp_eq_u32_e64 s17, 3, v132
	v_cmp_eq_u32_e64 s19, 4, v130
	;; [unrolled: 1-line block ×4, first 2 shown]
	v_fma_mixlo_f16 v160, v149, v152, 0
	v_fma_mixlo_f16 v161, v149, v154, 0
	;; [unrolled: 1-line block ×8, first 2 shown]
	v_fma_mixhi_f16 v160, v149, v151, 0
	v_fma_mixhi_f16 v161, v149, v153, 0
	;; [unrolled: 1-line block ×8, first 2 shown]
	ds_store_b128 v134, v[160:163]
	ds_store_b128 v134, v[154:157] offset:1024
	s_waitcnt lgkmcnt(0)
	s_barrier
	buffer_gl0_inv
	ds_load_b128 v[138:141], v135
	ds_load_b128 v[149:152], v135 offset:16
	ds_load_b128 v[153:156], v135 offset:1024
	;; [unrolled: 1-line block ×3, first 2 shown]
	v_cmp_eq_u32_e64 s20, 5, v130
	v_cmp_eq_u32_e64 s21, 4, v132
	;; [unrolled: 1-line block ×12, first 2 shown]
	s_waitcnt lgkmcnt(3)
	v_lshrrev_b32_e32 v142, 16, v138
	s_waitcnt lgkmcnt(2)
	v_lshrrev_b32_e32 v162, 16, v149
	;; [unrolled: 2-line block ×4, first 2 shown]
	v_lshrrev_b32_e32 v143, 16, v139
	v_cndmask_b32_e64 v174, v138, v142, s4
	v_cndmask_b32_e64 v175, v149, v162, s4
	;; [unrolled: 1-line block ×7, first 2 shown]
	v_lshrrev_b32_e32 v163, 16, v150
	v_cndmask_b32_e64 v179, v149, v162, s10
	v_cndmask_b32_e64 v149, v153, v166, s4
	;; [unrolled: 1-line block ×16, first 2 shown]
	v_lshrrev_b32_e32 v167, 16, v154
	v_lshrrev_b32_e32 v171, 16, v158
	v_cndmask_b32_e64 v177, v179, v150, s15
	v_cndmask_b32_e64 v142, v149, v154, s5
	;; [unrolled: 1-line block ×7, first 2 shown]
	v_cndmask_b32_e32 v157, v166, v143, vcc_lo
	v_cndmask_b32_e32 v166, v170, v163, vcc_lo
	v_cndmask_b32_e64 v170, v174, v143, s13
	v_cndmask_b32_e64 v174, v175, v163, s13
	;; [unrolled: 1-line block ×4, first 2 shown]
	v_lshrrev_b32_e32 v144, 16, v140
	v_lshrrev_b32_e32 v164, 16, v151
	v_cndmask_b32_e64 v175, v176, v143, s17
	v_cndmask_b32_e64 v176, v177, v163, s17
	v_cndmask_b32_e32 v142, v142, v167, vcc_lo
	v_cndmask_b32_e32 v143, v149, v171, vcc_lo
	v_cndmask_b32_e64 v149, v150, v167, s13
	v_cndmask_b32_e64 v150, v157, v140, s3
	;; [unrolled: 1-line block ×7, first 2 shown]
	v_lshrrev_b32_e32 v168, 16, v155
	v_cndmask_b32_e64 v170, v175, v140, s21
	v_cndmask_b32_e64 v174, v176, v151, s21
	;; [unrolled: 1-line block ×11, first 2 shown]
	v_lshrrev_b32_e32 v161, 16, v141
	v_lshrrev_b32_e32 v165, 16, v152
	v_cndmask_b32_e64 v163, v170, v144, s23
	v_cndmask_b32_e64 v166, v174, v164, s23
	;; [unrolled: 1-line block ×9, first 2 shown]
	v_lshrrev_b32_e32 v169, 16, v156
	v_cndmask_b32_e64 v140, v140, v168, s6
	v_cndmask_b32_e64 v157, v163, v141, s26
	;; [unrolled: 1-line block ×14, first 2 shown]
	v_perm_b32 v141, v139, v138, 0x5040100
	v_perm_b32 v139, v151, v149, 0x5040100
	v_cndmask_b32_e64 v138, v183, v158, s15
	v_cndmask_b32_e64 v149, v181, v158, s12
	;; [unrolled: 1-line block ×3, first 2 shown]
	v_perm_b32 v140, v152, v150, 0x5040100
	v_cndmask_b32_e64 v150, v162, v167, s17
	v_cndmask_b32_e64 v151, v153, v167, s18
	;; [unrolled: 1-line block ×5, first 2 shown]
	v_lshrrev_b32_e32 v172, 16, v159
	v_cndmask_b32_e64 v150, v150, v155, s21
	v_cndmask_b32_e64 v151, v151, v155, s22
	;; [unrolled: 1-line block ×11, first 2 shown]
	v_lshrrev_b32_e32 v173, 16, v160
	v_cndmask_b32_e64 v142, v142, v160, s7
	v_cndmask_b32_e64 v150, v150, v156, s26
	;; [unrolled: 1-line block ×12, first 2 shown]
	v_perm_b32 v138, v144, v143, 0x5040100
	v_perm_b32 v152, v152, v151, 0x5040100
	v_perm_b32 v151, v153, v150, 0x5040100
	v_perm_b32 v150, v149, v161, 0x5040100
	v_perm_b32 v149, v142, v157, 0x5040100
	s_mul_i32 s7, s33, 12
	s_mov_b32 s3, exec_lo
	ds_store_b128 v134, v[138:141]
	ds_store_b128 v134, v[149:152] offset:1024
	v_cmpx_gt_u32_e32 12, v0
	s_cbranch_execz .LBB69_14
; %bb.13:
	s_mul_i32 s4, s7, s34
	s_load_b128 s[8:11], s[0:1], 0x58
	v_add3_u32 v140, s4, s31, v148
	s_delay_alu instid0(VALU_DEP_1) | instskip(NEXT) | instid1(VALU_DEP_1)
	v_mad_u64_u32 v[138:139], null, v140, s35, s[14:15]
	v_ashrrev_i32_e32 v139, 31, v138
	s_delay_alu instid0(VALU_DEP_1) | instskip(SKIP_1) | instid1(VALU_DEP_1)
	v_lshlrev_b64 v[138:139], 2, v[138:139]
	s_waitcnt lgkmcnt(0)
	v_add_co_u32 v140, vcc_lo, s10, v138
	s_delay_alu instid0(VALU_DEP_2)
	v_add_co_ci_u32_e32 v141, vcc_lo, s11, v139, vcc_lo
	v_add_co_u32 v138, vcc_lo, s8, v138
	v_add_co_ci_u32_e32 v139, vcc_lo, s9, v139, vcc_lo
	global_store_b32 v[140:141], v136, off
	global_store_b32 v[138:139], v137, off
.LBB69_14:
	s_or_b32 exec_lo, exec_lo, s3
	s_waitcnt lgkmcnt(0)
	s_waitcnt_vscnt null, 0x0
	s_barrier
	buffer_gl0_inv
	ds_load_b128 v[148:151], v133
	ds_load_b128 v[152:155], v133 offset:16
	ds_load_b128 v[160:163], v133 offset:1040
	;; [unrolled: 1-line block ×5, first 2 shown]
	v_cmp_eq_u32_e32 vcc_lo, 1, v132
	v_mov_b32_e32 v136, 0
	ds_load_b128 v[176:179], v133 offset:3088
	ds_load_b128 v[172:175], v133 offset:3072
	;; [unrolled: 1-line block ×4, first 2 shown]
	v_cmp_eq_u32_e64 s3, 1, v129
	v_cmp_eq_u32_e64 s4, 1, v131
	;; [unrolled: 1-line block ×3, first 2 shown]
	v_mov_b32_e32 v137, v136
	v_mov_b32_e32 v138, v136
	;; [unrolled: 1-line block ×7, first 2 shown]
	v_cmp_eq_u32_e64 s6, 2, v129
	s_waitcnt lgkmcnt(8)
	s_delay_alu instid0(VALU_DEP_2)
	v_wmma_f32_16x16x16_f16 v[136:143], v[121:128], v[148:155], v[136:143]
	ds_load_b128 v[125:128], v133 offset:5136
	ds_load_b128 v[121:124], v133 offset:5120
	s_waitcnt lgkmcnt(8)
	v_wmma_f32_16x16x16_f16 v[136:143], v[113:120], v[156:163], v[136:143]
	ds_load_b128 v[117:120], v133 offset:6160
	ds_load_b128 v[113:116], v133 offset:6144
	s_waitcnt lgkmcnt(8)
	v_wmma_f32_16x16x16_f16 v[136:143], v[105:112], v[164:171], v[136:143]
	ds_load_b128 v[109:112], v133 offset:7184
	ds_load_b128 v[105:108], v133 offset:7168
	s_waitcnt lgkmcnt(8)
	v_wmma_f32_16x16x16_f16 v[136:143], v[97:104], v[172:179], v[136:143]
	ds_load_b128 v[101:104], v133 offset:8208
	ds_load_b128 v[97:100], v133 offset:8192
	s_waitcnt lgkmcnt(8)
	v_wmma_f32_16x16x16_f16 v[136:143], v[89:96], v[180:187], v[136:143]
	ds_load_b128 v[93:96], v133 offset:9232
	ds_load_b128 v[89:92], v133 offset:9216
	s_waitcnt lgkmcnt(8)
	v_wmma_f32_16x16x16_f16 v[136:143], v[81:88], v[121:128], v[136:143]
	ds_load_b128 v[85:88], v133 offset:10256
	ds_load_b128 v[81:84], v133 offset:10240
	s_waitcnt lgkmcnt(8)
	v_wmma_f32_16x16x16_f16 v[136:143], v[73:80], v[113:120], v[136:143]
	ds_load_b128 v[77:80], v133 offset:11280
	ds_load_b128 v[73:76], v133 offset:11264
	s_waitcnt lgkmcnt(8)
	v_wmma_f32_16x16x16_f16 v[136:143], v[65:72], v[105:112], v[136:143]
	ds_load_b128 v[69:72], v133 offset:12304
	ds_load_b128 v[65:68], v133 offset:12288
	s_waitcnt lgkmcnt(8)
	v_wmma_f32_16x16x16_f16 v[136:143], v[57:64], v[97:104], v[136:143]
	ds_load_b128 v[61:64], v133 offset:13328
	ds_load_b128 v[57:60], v133 offset:13312
	s_waitcnt lgkmcnt(8)
	v_wmma_f32_16x16x16_f16 v[136:143], v[49:56], v[89:96], v[136:143]
	ds_load_b128 v[53:56], v133 offset:14352
	ds_load_b128 v[49:52], v133 offset:14336
	s_waitcnt lgkmcnt(8)
	v_wmma_f32_16x16x16_f16 v[136:143], v[25:32], v[81:88], v[136:143]
	ds_load_b128 v[29:32], v133 offset:15376
	ds_load_b128 v[25:28], v133 offset:15360
	s_waitcnt lgkmcnt(0)
	s_barrier
	buffer_gl0_inv
	v_wmma_f32_16x16x16_f16 v[136:143], v[1:8], v[73:80], v[136:143]
	s_delay_alu instid0(VALU_DEP_1) | instskip(NEXT) | instid1(VALU_DEP_1)
	v_wmma_f32_16x16x16_f16 v[136:143], v[9:16], v[65:72], v[136:143]
	v_wmma_f32_16x16x16_f16 v[136:143], v[33:40], v[57:64], v[136:143]
	s_delay_alu instid0(VALU_DEP_1) | instskip(NEXT) | instid1(VALU_DEP_1)
	v_wmma_f32_16x16x16_f16 v[136:143], v[41:48], v[49:56], v[136:143]
	v_wmma_f32_16x16x16_f16 v[136:143], v[17:24], v[25:32], v[136:143]
	s_delay_alu instid0(VALU_DEP_1) | instskip(NEXT) | instid1(VALU_DEP_2)
	v_cvt_f16_f32_e64 v1, v136
	v_cvt_f16_f32_e64 v2, v137
	s_delay_alu instid0(VALU_DEP_3) | instskip(NEXT) | instid1(VALU_DEP_4)
	v_cvt_f16_f32_e64 v3, v138
	v_cvt_f16_f32_e64 v4, v139
	;; [unrolled: 1-line block ×6, first 2 shown]
	v_pack_b32_f16 v1, v1, v2
	v_pack_b32_f16 v2, v3, v4
	;; [unrolled: 1-line block ×3, first 2 shown]
	s_delay_alu instid0(VALU_DEP_4)
	v_pack_b32_f16 v4, v7, v8
	ds_store_b128 v134, v[1:4]
	s_waitcnt lgkmcnt(0)
	s_barrier
	buffer_gl0_inv
	ds_load_b128 v[1:4], v135
	ds_load_b128 v[5:8], v135 offset:16
	s_waitcnt lgkmcnt(1)
	v_lshrrev_b32_e32 v9, 16, v1
	s_waitcnt lgkmcnt(0)
	v_lshrrev_b32_e32 v13, 16, v5
	v_lshrrev_b32_e32 v10, 16, v2
	;; [unrolled: 1-line block ×4, first 2 shown]
	v_cndmask_b32_e64 v17, v1, v9, s3
	v_cndmask_b32_e64 v18, v5, v13, s3
	v_cndmask_b32_e64 v19, v1, v9, s5
	v_cmp_eq_u32_e64 s3, 2, v130
	v_cndmask_b32_e64 v20, v5, v13, s5
	v_cndmask_b32_e32 v21, v1, v9, vcc_lo
	v_cndmask_b32_e32 v22, v5, v13, vcc_lo
	v_cndmask_b32_e64 v1, v1, v9, s4
	v_cndmask_b32_e64 v5, v5, v13, s4
	v_cmp_eq_u32_e32 vcc_lo, 2, v132
	v_cmp_eq_u32_e64 s4, 2, v131
	v_cndmask_b32_e64 v9, v17, v2, s6
	v_cndmask_b32_e64 v13, v18, v6, s6
	v_cndmask_b32_e64 v17, v19, v2, s3
	v_cndmask_b32_e64 v18, v20, v6, s3
	v_cndmask_b32_e32 v19, v21, v2, vcc_lo
	v_cmp_eq_u32_e64 s3, 3, v132
	v_cndmask_b32_e32 v20, v22, v6, vcc_lo
	v_cndmask_b32_e64 v1, v1, v2, s4
	v_cmp_eq_u32_e32 vcc_lo, 3, v131
	v_cmp_eq_u32_e64 s5, 3, v129
	v_cndmask_b32_e64 v2, v5, v6, s4
	v_cmp_eq_u32_e64 s4, 3, v130
	v_cmp_eq_u32_e64 s6, 4, v129
	v_cndmask_b32_e32 v1, v1, v10, vcc_lo
	v_cndmask_b32_e64 v5, v9, v10, s5
	v_cndmask_b32_e64 v6, v13, v14, s5
	;; [unrolled: 1-line block ×3, first 2 shown]
	v_cmp_eq_u32_e64 s5, 4, v130
	v_cndmask_b32_e64 v13, v18, v14, s4
	v_cndmask_b32_e64 v17, v19, v10, s3
	;; [unrolled: 1-line block ×3, first 2 shown]
	v_cndmask_b32_e32 v2, v2, v14, vcc_lo
	v_cmp_eq_u32_e32 vcc_lo, 4, v132
	v_cmp_eq_u32_e64 s4, 4, v131
	v_lshrrev_b32_e32 v15, 16, v7
	v_cndmask_b32_e64 v5, v5, v3, s6
	v_cndmask_b32_e64 v6, v6, v7, s6
	v_cndmask_b32_e32 v14, v18, v7, vcc_lo
	v_cndmask_b32_e64 v9, v9, v3, s5
	v_cndmask_b32_e64 v10, v13, v7, s5
	v_cndmask_b32_e32 v13, v17, v3, vcc_lo
	v_cmp_eq_u32_e64 s3, 5, v132
	v_cndmask_b32_e64 v1, v1, v3, s4
	v_cmp_eq_u32_e32 vcc_lo, 5, v131
	v_cmp_eq_u32_e64 s5, 5, v129
	v_cndmask_b32_e64 v2, v2, v7, s4
	v_cmp_eq_u32_e64 s4, 5, v130
	v_cmp_eq_u32_e64 s6, 6, v129
	v_lshrrev_b32_e32 v12, 16, v4
	v_cndmask_b32_e64 v3, v5, v11, s5
	v_cndmask_b32_e64 v5, v6, v15, s5
	;; [unrolled: 1-line block ×3, first 2 shown]
	v_cmp_eq_u32_e64 s5, 6, v130
	v_cndmask_b32_e64 v7, v10, v15, s4
	v_cndmask_b32_e64 v9, v13, v11, s3
	v_cndmask_b32_e64 v10, v14, v15, s3
	v_cndmask_b32_e32 v1, v1, v11, vcc_lo
	v_cndmask_b32_e32 v2, v2, v15, vcc_lo
	v_cmp_eq_u32_e32 vcc_lo, 6, v132
	v_cmp_eq_u32_e64 s3, 6, v131
	v_lshrrev_b32_e32 v16, 16, v8
	v_cndmask_b32_e64 v3, v3, v4, s6
	v_cndmask_b32_e64 v5, v5, v8, s6
	v_cndmask_b32_e32 v9, v9, v4, vcc_lo
	v_cndmask_b32_e64 v6, v6, v4, s5
	v_cndmask_b32_e64 v7, v7, v8, s5
	v_cmp_eq_u32_e64 s4, 7, v132
	v_cndmask_b32_e32 v10, v10, v8, vcc_lo
	v_cndmask_b32_e64 v1, v1, v4, s3
	v_cmp_eq_u32_e32 vcc_lo, 7, v131
	v_cndmask_b32_e64 v2, v2, v8, s3
	v_cmp_eq_u32_e64 s3, 7, v129
	v_cmp_eq_u32_e64 s5, 7, v130
	v_cndmask_b32_e32 v1, v1, v12, vcc_lo
	s_delay_alu instid0(VALU_DEP_4) | instskip(NEXT) | instid1(VALU_DEP_4)
	v_cndmask_b32_e32 v2, v2, v16, vcc_lo
	v_cndmask_b32_e64 v8, v3, v12, s3
	s_delay_alu instid0(VALU_DEP_4)
	v_cndmask_b32_e64 v6, v6, v12, s5
	v_cndmask_b32_e64 v3, v9, v12, s4
	v_cndmask_b32_e64 v9, v10, v16, s4
	v_cndmask_b32_e64 v7, v7, v16, s5
	v_cndmask_b32_e64 v5, v5, v16, s3
	v_cmp_gt_u32_e32 vcc_lo, 32, v0
	v_perm_b32 v4, v2, v1, 0x5040100
	v_perm_b32 v3, v9, v3, 0x5040100
	;; [unrolled: 1-line block ×4, first 2 shown]
	s_and_b32 s2, vcc_lo, s2
	ds_store_b128 v134, v[1:4]
	s_waitcnt lgkmcnt(0)
	s_barrier
	buffer_gl0_inv
	s_and_saveexec_b32 s3, s2
	s_cbranch_execz .LBB69_2
; %bb.15:
	s_load_b64 s[0:1], s[0:1], 0x68
	v_lshlrev_b32_e32 v0, 10, v0
	s_lshl_b32 s4, s35, 6
	v_or_b32_e32 v3, s31, v146
	s_mul_i32 s2, s4, s34
	v_lshlrev_b32_e32 v1, 4, v147
	s_mul_i32 s2, s2, s7
	v_lshlrev_b32_e32 v2, 6, v146
	v_and_b32_e32 v0, 0x3800, v0
	s_ashr_i32 s3, s2, 31
	v_mul_lo_u32 v4, v3, s4
	s_lshl_b64 s[2:3], s[2:3], 1
	s_delay_alu instid0(VALU_DEP_2) | instskip(NEXT) | instid1(VALU_DEP_2)
	v_or3_b32 v16, v0, v1, v2
	v_ashrrev_i32_e32 v5, 31, v4
	ds_load_b128 v[0:3], v16
	s_waitcnt lgkmcnt(0)
	s_add_u32 s2, s0, s2
	s_addc_u32 s3, s1, s3
	s_lshl_b32 s0, s14, 6
	v_lshlrev_b64 v[5:6], 1, v[4:5]
	s_ashr_i32 s1, s0, 31
	s_delay_alu instid0(SALU_CYCLE_1) | instskip(NEXT) | instid1(SALU_CYCLE_1)
	s_lshl_b64 s[0:1], s[0:1], 1
	s_add_u32 s0, s2, s0
	s_addc_u32 s1, s3, s1
	s_lshl_b32 s2, s35, 7
	v_add_co_u32 v30, s0, s0, v145
	v_add_nc_u32_e32 v8, s2, v4
	v_add_co_ci_u32_e64 v31, null, s1, 0, s0
	s_delay_alu instid0(VALU_DEP_3) | instskip(NEXT) | instid1(VALU_DEP_3)
	v_add_co_u32 v12, vcc_lo, v30, v5
	v_add_nc_u32_e32 v10, s2, v8
	v_ashrrev_i32_e32 v9, 31, v8
	s_delay_alu instid0(VALU_DEP_4)
	v_add_co_ci_u32_e32 v13, vcc_lo, v31, v6, vcc_lo
	ds_load_b128 v[4:7], v16 offset:128
	v_ashrrev_i32_e32 v11, 31, v10
	v_lshlrev_b64 v[8:9], 1, v[8:9]
	v_add_nc_u32_e32 v14, s2, v10
	global_store_b128 v[12:13], v[0:3], off
	v_lshlrev_b64 v[0:1], 1, v[10:11]
	v_ashrrev_i32_e32 v15, 31, v14
	v_add_co_u32 v22, vcc_lo, v30, v8
	v_add_nc_u32_e32 v20, s2, v14
	v_add_co_ci_u32_e32 v23, vcc_lo, v31, v9, vcc_lo
	v_add_co_u32 v26, vcc_lo, v30, v0
	v_lshlrev_b64 v[24:25], 1, v[14:15]
	v_add_co_ci_u32_e32 v27, vcc_lo, v31, v1, vcc_lo
	ds_load_b128 v[0:3], v16 offset:256
	ds_load_b128 v[8:11], v16 offset:384
	;; [unrolled: 1-line block ×4, first 2 shown]
	v_add_nc_u32_e32 v28, s2, v20
	v_ashrrev_i32_e32 v21, 31, v20
	v_add_co_u32 v24, vcc_lo, v30, v24
	v_add_co_ci_u32_e32 v25, vcc_lo, v31, v25, vcc_lo
	s_delay_alu instid0(VALU_DEP_4) | instskip(NEXT) | instid1(VALU_DEP_4)
	v_ashrrev_i32_e32 v29, 31, v28
	v_lshlrev_b64 v[20:21], 1, v[20:21]
	s_delay_alu instid0(VALU_DEP_2) | instskip(NEXT) | instid1(VALU_DEP_2)
	v_lshlrev_b64 v[28:29], 1, v[28:29]
	v_add_co_u32 v20, vcc_lo, v30, v20
	s_delay_alu instid0(VALU_DEP_3) | instskip(NEXT) | instid1(VALU_DEP_3)
	v_add_co_ci_u32_e32 v21, vcc_lo, v31, v21, vcc_lo
	v_add_co_u32 v28, vcc_lo, v30, v28
	s_delay_alu instid0(VALU_DEP_4)
	v_add_co_ci_u32_e32 v29, vcc_lo, v31, v29, vcc_lo
	s_waitcnt lgkmcnt(4)
	global_store_b128 v[22:23], v[4:7], off
	s_waitcnt lgkmcnt(3)
	global_store_b128 v[26:27], v[0:3], off
	;; [unrolled: 2-line block ×5, first 2 shown]
	s_nop 0
	s_sendmsg sendmsg(MSG_DEALLOC_VGPRS)
	s_endpgm
	.section	.rodata,"a",@progbits
	.p2align	6, 0x0
	.amdhsa_kernel _Z39paged_attention_ll4mi_QKV_mfma16_kernelIDF16_DF16_LN4vllm18Fp8KVCacheDataTypeE0EDF16_Li16ELi64ELi256ELb1ELi12EL8MFMAType0EEvPKT_PKT0_S8_ifPKiSA_SA_iPKfiiiPfSD_PS3_PT2_iSC_SC_
		.amdhsa_group_segment_fixed_size 17472
		.amdhsa_private_segment_fixed_size 0
		.amdhsa_kernarg_size 400
		.amdhsa_user_sgpr_count 13
		.amdhsa_user_sgpr_dispatch_ptr 0
		.amdhsa_user_sgpr_queue_ptr 0
		.amdhsa_user_sgpr_kernarg_segment_ptr 1
		.amdhsa_user_sgpr_dispatch_id 0
		.amdhsa_user_sgpr_private_segment_size 0
		.amdhsa_wavefront_size32 1
		.amdhsa_uses_dynamic_stack 0
		.amdhsa_enable_private_segment 0
		.amdhsa_system_sgpr_workgroup_id_x 1
		.amdhsa_system_sgpr_workgroup_id_y 1
		.amdhsa_system_sgpr_workgroup_id_z 1
		.amdhsa_system_sgpr_workgroup_info 0
		.amdhsa_system_vgpr_workitem_id 0
		.amdhsa_next_free_vgpr 198
		.amdhsa_next_free_sgpr 52
		.amdhsa_reserve_vcc 1
		.amdhsa_float_round_mode_32 0
		.amdhsa_float_round_mode_16_64 0
		.amdhsa_float_denorm_mode_32 3
		.amdhsa_float_denorm_mode_16_64 3
		.amdhsa_dx10_clamp 1
		.amdhsa_ieee_mode 1
		.amdhsa_fp16_overflow 0
		.amdhsa_workgroup_processor_mode 1
		.amdhsa_memory_ordered 1
		.amdhsa_forward_progress 0
		.amdhsa_shared_vgpr_count 0
		.amdhsa_exception_fp_ieee_invalid_op 0
		.amdhsa_exception_fp_denorm_src 0
		.amdhsa_exception_fp_ieee_div_zero 0
		.amdhsa_exception_fp_ieee_overflow 0
		.amdhsa_exception_fp_ieee_underflow 0
		.amdhsa_exception_fp_ieee_inexact 0
		.amdhsa_exception_int_div_zero 0
	.end_amdhsa_kernel
	.section	.text._Z39paged_attention_ll4mi_QKV_mfma16_kernelIDF16_DF16_LN4vllm18Fp8KVCacheDataTypeE0EDF16_Li16ELi64ELi256ELb1ELi12EL8MFMAType0EEvPKT_PKT0_S8_ifPKiSA_SA_iPKfiiiPfSD_PS3_PT2_iSC_SC_,"axG",@progbits,_Z39paged_attention_ll4mi_QKV_mfma16_kernelIDF16_DF16_LN4vllm18Fp8KVCacheDataTypeE0EDF16_Li16ELi64ELi256ELb1ELi12EL8MFMAType0EEvPKT_PKT0_S8_ifPKiSA_SA_iPKfiiiPfSD_PS3_PT2_iSC_SC_,comdat
.Lfunc_end69:
	.size	_Z39paged_attention_ll4mi_QKV_mfma16_kernelIDF16_DF16_LN4vllm18Fp8KVCacheDataTypeE0EDF16_Li16ELi64ELi256ELb1ELi12EL8MFMAType0EEvPKT_PKT0_S8_ifPKiSA_SA_iPKfiiiPfSD_PS3_PT2_iSC_SC_, .Lfunc_end69-_Z39paged_attention_ll4mi_QKV_mfma16_kernelIDF16_DF16_LN4vllm18Fp8KVCacheDataTypeE0EDF16_Li16ELi64ELi256ELb1ELi12EL8MFMAType0EEvPKT_PKT0_S8_ifPKiSA_SA_iPKfiiiPfSD_PS3_PT2_iSC_SC_
                                        ; -- End function
	.section	.AMDGPU.csdata,"",@progbits
; Kernel info:
; codeLenInByte = 7964
; NumSgprs: 54
; NumVgprs: 198
; ScratchSize: 0
; MemoryBound: 0
; FloatMode: 240
; IeeeMode: 1
; LDSByteSize: 17472 bytes/workgroup (compile time only)
; SGPRBlocks: 6
; VGPRBlocks: 24
; NumSGPRsForWavesPerEU: 54
; NumVGPRsForWavesPerEU: 198
; Occupancy: 7
; WaveLimiterHint : 1
; COMPUTE_PGM_RSRC2:SCRATCH_EN: 0
; COMPUTE_PGM_RSRC2:USER_SGPR: 13
; COMPUTE_PGM_RSRC2:TRAP_HANDLER: 0
; COMPUTE_PGM_RSRC2:TGID_X_EN: 1
; COMPUTE_PGM_RSRC2:TGID_Y_EN: 1
; COMPUTE_PGM_RSRC2:TGID_Z_EN: 1
; COMPUTE_PGM_RSRC2:TIDIG_COMP_CNT: 0
	.section	.text._Z39paged_attention_ll4mi_QKV_mfma16_kernelIDF16_DF16_LN4vllm18Fp8KVCacheDataTypeE0EDF16_Li16ELi64ELi256ELb1ELi13EL8MFMAType0EEvPKT_PKT0_S8_ifPKiSA_SA_iPKfiiiPfSD_PS3_PT2_iSC_SC_,"axG",@progbits,_Z39paged_attention_ll4mi_QKV_mfma16_kernelIDF16_DF16_LN4vllm18Fp8KVCacheDataTypeE0EDF16_Li16ELi64ELi256ELb1ELi13EL8MFMAType0EEvPKT_PKT0_S8_ifPKiSA_SA_iPKfiiiPfSD_PS3_PT2_iSC_SC_,comdat
	.protected	_Z39paged_attention_ll4mi_QKV_mfma16_kernelIDF16_DF16_LN4vllm18Fp8KVCacheDataTypeE0EDF16_Li16ELi64ELi256ELb1ELi13EL8MFMAType0EEvPKT_PKT0_S8_ifPKiSA_SA_iPKfiiiPfSD_PS3_PT2_iSC_SC_ ; -- Begin function _Z39paged_attention_ll4mi_QKV_mfma16_kernelIDF16_DF16_LN4vllm18Fp8KVCacheDataTypeE0EDF16_Li16ELi64ELi256ELb1ELi13EL8MFMAType0EEvPKT_PKT0_S8_ifPKiSA_SA_iPKfiiiPfSD_PS3_PT2_iSC_SC_
	.globl	_Z39paged_attention_ll4mi_QKV_mfma16_kernelIDF16_DF16_LN4vllm18Fp8KVCacheDataTypeE0EDF16_Li16ELi64ELi256ELb1ELi13EL8MFMAType0EEvPKT_PKT0_S8_ifPKiSA_SA_iPKfiiiPfSD_PS3_PT2_iSC_SC_
	.p2align	8
	.type	_Z39paged_attention_ll4mi_QKV_mfma16_kernelIDF16_DF16_LN4vllm18Fp8KVCacheDataTypeE0EDF16_Li16ELi64ELi256ELb1ELi13EL8MFMAType0EEvPKT_PKT0_S8_ifPKiSA_SA_iPKfiiiPfSD_PS3_PT2_iSC_SC_,@function
_Z39paged_attention_ll4mi_QKV_mfma16_kernelIDF16_DF16_LN4vllm18Fp8KVCacheDataTypeE0EDF16_Li16ELi64ELi256ELb1ELi13EL8MFMAType0EEvPKT_PKT0_S8_ifPKiSA_SA_iPKfiiiPfSD_PS3_PT2_iSC_SC_: ; @_Z39paged_attention_ll4mi_QKV_mfma16_kernelIDF16_DF16_LN4vllm18Fp8KVCacheDataTypeE0EDF16_Li16ELi64ELi256ELb1ELi13EL8MFMAType0EEvPKT_PKT0_S8_ifPKiSA_SA_iPKfiiiPfSD_PS3_PT2_iSC_SC_
; %bb.0:
	s_load_b64 s[2:3], s[0:1], 0x30
	s_mov_b32 s34, s13
	s_waitcnt lgkmcnt(0)
	s_cmp_lg_u64 s[2:3], 0
	s_cselect_b32 s6, -1, 0
	s_ashr_i32 s35, s13, 31
	s_cmp_eq_u64 s[2:3], 0
	s_cbranch_scc1 .LBB70_3
; %bb.1:
	s_lshl_b64 s[4:5], s[34:35], 2
	s_delay_alu instid0(SALU_CYCLE_1) | instskip(SKIP_4) | instid1(SALU_CYCLE_1)
	s_add_u32 s4, s2, s4
	s_addc_u32 s5, s3, s5
	s_load_b64 s[4:5], s[4:5], 0x0
	s_waitcnt lgkmcnt(0)
	s_sub_i32 s4, s5, s4
	s_cmp_eq_u32 s4, 1
	s_cselect_b32 s4, -1, 0
	s_delay_alu instid0(SALU_CYCLE_1)
	s_and_not1_b32 vcc_lo, exec_lo, s4
	s_cbranch_vccz .LBB70_4
.LBB70_2:
	s_nop 0
	s_sendmsg sendmsg(MSG_DEALLOC_VGPRS)
	s_endpgm
.LBB70_3:
.LBB70_4:
	s_load_b64 s[8:9], s[0:1], 0x28
	s_lshl_b64 s[4:5], s[34:35], 2
	s_waitcnt lgkmcnt(0)
	s_add_u32 s8, s8, s4
	s_addc_u32 s9, s9, s5
	s_lshl_b32 s31, s14, 8
	s_load_b32 s30, s[8:9], 0x0
	s_waitcnt lgkmcnt(0)
	s_cmp_ge_i32 s31, s30
	s_cbranch_scc1 .LBB70_2
; %bb.5:
	s_clause 0x1
	s_load_b128 s[8:11], s[0:1], 0x8
	s_load_b64 s[12:13], s[0:1], 0x20
	s_and_not1_b32 vcc_lo, exec_lo, s6
	s_cbranch_vccnz .LBB70_7
; %bb.6:
	s_add_u32 s2, s2, s4
	s_addc_u32 s3, s3, s5
	s_load_b32 s3, s[2:3], 0x0
	s_branch .LBB70_8
.LBB70_7:
	s_mov_b32 s3, s34
.LBB70_8:
	s_load_b128 s[4:7], s[0:1], 0x48
	v_lshrrev_b32_e32 v149, 5, v0
	v_bfe_u32 v146, v0, 4, 1
	v_and_b32_e32 v148, 15, v0
	v_and_b32_e32 v150, 31, v0
	;; [unrolled: 1-line block ×3, first 2 shown]
	s_mul_i32 s33, s15, 13
	v_lshl_or_b32 v1, v149, 1, v146
	v_lshlrev_b32_e32 v2, 3, v148
	v_cmp_gt_u32_e64 s2, 8, v148
	s_delay_alu instid0(VALU_DEP_3) | instskip(NEXT) | instid1(VALU_DEP_3)
	v_cmp_gt_u32_e32 vcc_lo, 13, v1
	v_lshlrev_b32_e32 v145, 1, v2
	s_delay_alu instid0(VALU_DEP_3)
	s_and_b32 s16, s2, vcc_lo
	s_waitcnt lgkmcnt(0)
	s_and_saveexec_b32 s7, s16
	s_cbranch_execz .LBB70_10
; %bb.9:
	s_load_b64 s[16:17], s[0:1], 0x0
	v_add_lshl_u32 v2, v1, s33, 6
	s_mul_hi_i32 s19, s3, s4
	s_mul_i32 s18, s3, s4
	v_lshlrev_b32_e32 v6, 10, v148
	s_lshl_b64 s[18:19], s[18:19], 1
	v_ashrrev_i32_e32 v3, 31, v2
	v_lshlrev_b32_e32 v1, 6, v1
	v_lshlrev_b32_e32 v7, 10, v147
	v_and_b32_e32 v6, 0x3800, v6
	s_delay_alu instid0(VALU_DEP_4) | instskip(NEXT) | instid1(VALU_DEP_2)
	v_lshlrev_b64 v[2:3], 1, v[2:3]
	v_or3_b32 v1, v6, v7, v1
	s_waitcnt lgkmcnt(0)
	s_add_u32 s3, s16, s18
	s_addc_u32 s4, s17, s19
	s_delay_alu instid0(VALU_DEP_2) | instskip(SKIP_1) | instid1(VALU_DEP_2)
	v_add_co_u32 v2, vcc_lo, s3, v2
	v_add_co_ci_u32_e32 v3, vcc_lo, s4, v3, vcc_lo
	v_add_co_u32 v2, vcc_lo, v2, v145
	s_delay_alu instid0(VALU_DEP_2)
	v_add_co_ci_u32_e32 v3, vcc_lo, 0, v3, vcc_lo
	global_load_b128 v[2:5], v[2:3], off
	s_waitcnt vmcnt(0)
	ds_store_b128 v1, v[2:5]
.LBB70_10:
	s_or_b32 exec_lo, exec_lo, s7
	s_mov_b32 s40, 0
	s_add_i32 s3, s30, 15
	s_mov_b32 s41, s40
	s_mov_b32 s42, s40
	;; [unrolled: 1-line block ×7, first 2 shown]
	s_delay_alu instid0(SALU_CYCLE_1)
	v_dual_mov_b32 v144, s47 :: v_dual_and_b32 v1, 0xef, v0
	v_mov_b32_e32 v142, s45
	s_ashr_i32 s7, s3, 31
	s_clause 0x1
	s_load_b32 s4, s[0:1], 0x38
	s_load_b32 s35, s[0:1], 0x98
	v_add_nc_u32_e32 v1, s31, v1
	s_lshr_b32 s7, s7, 28
	s_load_b32 s36, s[0:1], 0x1c
	s_add_i32 s3, s3, s7
	s_waitcnt lgkmcnt(0)
	v_ashrrev_i32_e32 v2, 31, v1
	v_or_b32_e32 v3, 16, v1
	s_ashr_i32 s3, s3, 4
	v_cmp_gt_i32_e32 vcc_lo, s30, v1
	s_add_i32 s3, s3, -1
	v_lshrrev_b32_e32 v2, 28, v2
	v_mov_b32_e32 v143, s46
	s_barrier
	buffer_gl0_inv
	s_mul_i32 s6, s15, s6
	v_dual_mov_b32 v141, s44 :: v_dual_add_nc_u32 v4, v1, v2
	v_mov_b32_e32 v139, s42
	s_mul_i32 s16, s34, s4
	v_mov_b32_e32 v137, s40
	s_delay_alu instid0(VALU_DEP_3)
	v_ashrrev_i32_e32 v4, 4, v4
	v_add_nc_u32_e32 v2, v3, v2
	s_ashr_i32 s17, s16, 31
	v_mov_b32_e32 v140, s43
	s_lshl_b64 s[16:17], s[16:17], 2
	v_cndmask_b32_e32 v1, s3, v4, vcc_lo
	v_ashrrev_i32_e32 v2, 4, v2
	v_cmp_gt_i32_e32 vcc_lo, s30, v3
	s_add_u32 s4, s12, s16
	s_addc_u32 s37, s13, s17
	s_ashr_i32 s7, s6, 31
	v_mov_b32_e32 v138, s41
	v_cndmask_b32_e32 v3, s3, v2, vcc_lo
	v_ashrrev_i32_e32 v2, 31, v1
	s_lshl_b64 s[6:7], s[6:7], 1
	s_delay_alu instid0(SALU_CYCLE_1) | instskip(NEXT) | instid1(VALU_DEP_2)
	s_add_u32 s24, s8, s6
	v_ashrrev_i32_e32 v4, 31, v3
	s_delay_alu instid0(VALU_DEP_2) | instskip(SKIP_2) | instid1(VALU_DEP_2)
	v_lshlrev_b64 v[1:2], 2, v[1:2]
	s_addc_u32 s25, s9, s7
	s_lshl_b32 s8, s14, 4
	v_lshlrev_b64 v[3:4], 2, v[3:4]
	s_ashr_i32 s9, s8, 31
	s_delay_alu instid0(VALU_DEP_2) | instskip(SKIP_1) | instid1(VALU_DEP_3)
	v_add_co_u32 v1, vcc_lo, s4, v1
	v_add_co_ci_u32_e32 v2, vcc_lo, s37, v2, vcc_lo
	v_add_co_u32 v3, vcc_lo, s4, v3
	s_delay_alu instid0(VALU_DEP_4)
	v_add_co_ci_u32_e32 v4, vcc_lo, s37, v4, vcc_lo
	s_clause 0x1
	global_load_b32 v5, v[1:2], off
	global_load_b32 v6, v[3:4], off
	s_lshl_b64 s[8:9], s[8:9], 2
	v_lshlrev_b32_e32 v3, 4, v0
	s_add_u32 s8, s4, s8
	s_addc_u32 s9, s37, s9
	s_or_b32 s12, s31, 16
	s_delay_alu instid0(SALU_CYCLE_1) | instskip(SKIP_2) | instid1(SALU_CYCLE_1)
	s_ashr_i32 s13, s12, 4
	s_cmp_lt_i32 s12, s30
	s_cselect_b32 s12, s13, s3
	s_ashr_i32 s13, s12, 31
	s_delay_alu instid0(SALU_CYCLE_1) | instskip(NEXT) | instid1(SALU_CYCLE_1)
	s_lshl_b64 s[12:13], s[12:13], 2
	s_add_u32 s12, s4, s12
	s_addc_u32 s13, s37, s13
	s_or_b32 s15, s31, 32
	s_delay_alu instid0(SALU_CYCLE_1) | instskip(SKIP_2) | instid1(SALU_CYCLE_1)
	s_ashr_i32 s16, s15, 4
	s_cmp_lt_i32 s15, s30
	s_cselect_b32 s16, s16, s3
	s_ashr_i32 s17, s16, 31
	s_delay_alu instid0(SALU_CYCLE_1) | instskip(NEXT) | instid1(SALU_CYCLE_1)
	s_lshl_b64 s[16:17], s[16:17], 2
	;; [unrolled: 10-line block ×5, first 2 shown]
	s_add_u32 s22, s4, s22
	s_addc_u32 s23, s37, s23
	s_clause 0x5
	s_load_b32 s8, s[8:9], 0x0
	s_load_b32 s12, s[12:13], 0x0
	;; [unrolled: 1-line block ×6, first 2 shown]
	s_waitcnt lgkmcnt(0)
	s_mul_hi_i32 s17, s16, s5
	s_mul_i32 s16, s16, s5
	s_waitcnt vmcnt(1)
	v_mad_i64_i32 v[1:2], null, v5, s5, 0
	v_and_b32_e32 v5, 0xf0, v3
	s_waitcnt vmcnt(0)
	v_mad_i64_i32 v[3:4], null, v6, s5, 0
	s_delay_alu instid0(VALU_DEP_2) | instskip(NEXT) | instid1(VALU_DEP_4)
	v_add_co_u32 v7, s9, s24, v5
	v_lshlrev_b64 v[1:2], 1, v[1:2]
	v_add_co_ci_u32_e64 v8, null, s25, 0, s9
	s_delay_alu instid0(VALU_DEP_4) | instskip(SKIP_1) | instid1(VALU_DEP_3)
	v_lshlrev_b64 v[5:6], 1, v[3:4]
	s_or_b32 s9, s31, 0x60
	v_add_co_u32 v3, vcc_lo, v7, v1
	s_delay_alu instid0(VALU_DEP_3) | instskip(NEXT) | instid1(VALU_DEP_3)
	v_add_co_ci_u32_e32 v4, vcc_lo, v8, v2, vcc_lo
	v_add_co_u32 v1, vcc_lo, v7, v5
	s_delay_alu instid0(VALU_DEP_4)
	v_add_co_ci_u32_e32 v2, vcc_lo, v8, v6, vcc_lo
	s_clause 0x9
	global_load_b128 v[9:12], v[3:4], off
	global_load_b128 v[13:16], v[3:4], off offset:256
	global_load_b128 v[129:132], v[1:2], off
	global_load_b128 v[133:136], v[1:2], off offset:256
	global_load_b128 v[41:44], v[3:4], off offset:512
	;; [unrolled: 1-line block ×7, first 2 shown]
	v_add_nc_u32_e32 v5, -13, v148
	v_cmp_gt_u32_e32 vcc_lo, 13, v148
	s_clause 0x1
	global_load_b128 v[151:154], v[1:2], off offset:1024
	global_load_b128 v[155:158], v[1:2], off offset:1280
	s_ashr_i32 s13, s9, 4
	s_cmp_lt_i32 s9, s30
	v_lshlrev_b32_e32 v6, 5, v148
	v_cndmask_b32_e32 v5, v5, v148, vcc_lo
	s_cselect_b32 s22, s13, s3
	s_delay_alu instid0(SALU_CYCLE_1) | instskip(NEXT) | instid1(VALU_DEP_2)
	s_ashr_i32 s23, s22, 31
	v_lshl_or_b32 v6, v149, 9, v6
	s_delay_alu instid0(VALU_DEP_2)
	v_lshlrev_b32_e32 v197, 6, v5
	ds_load_b128 v[159:162], v197
	ds_load_b128 v[163:166], v197 offset:1024
	s_clause 0x3
	global_load_b128 v[167:170], v[3:4], off offset:1536
	global_load_b128 v[171:174], v[3:4], off offset:1792
	;; [unrolled: 1-line block ×4, first 2 shown]
	s_lshl_b64 s[22:23], s[22:23], 2
	s_delay_alu instid0(SALU_CYCLE_1)
	s_add_u32 s22, s4, s22
	s_addc_u32 s23, s37, s23
	s_or_b32 s9, s31, 0x70
	s_load_b32 s46, s[22:23], 0x0
	s_ashr_i32 s13, s9, 4
	s_cmp_lt_i32 s9, s30
	s_cselect_b32 s24, s13, s3
	s_delay_alu instid0(SALU_CYCLE_1) | instskip(NEXT) | instid1(SALU_CYCLE_1)
	s_ashr_i32 s25, s24, 31
	s_lshl_b64 s[24:25], s[24:25], 2
	s_delay_alu instid0(SALU_CYCLE_1)
	s_add_u32 s24, s4, s24
	s_addc_u32 s25, s37, s25
	s_or_b32 s9, s31, 0x80
	s_load_b32 s47, s[24:25], 0x0
	s_ashr_i32 s13, s9, 4
	s_cmp_lt_i32 s9, s30
	s_cselect_b32 s26, s13, s3
	s_delay_alu instid0(SALU_CYCLE_1) | instskip(NEXT) | instid1(SALU_CYCLE_1)
	s_ashr_i32 s27, s26, 31
	;; [unrolled: 11-line block ×3, first 2 shown]
	s_lshl_b64 s[28:29], s[28:29], 2
	s_delay_alu instid0(SALU_CYCLE_1) | instskip(SKIP_2) | instid1(SALU_CYCLE_1)
	s_add_u32 s28, s4, s28
	s_addc_u32 s29, s37, s29
	s_or_b32 s9, s31, 0xa0
	s_ashr_i32 s13, s9, 4
	s_cmp_lt_i32 s9, s30
	s_cselect_b32 s38, s13, s3
	s_delay_alu instid0(SALU_CYCLE_1) | instskip(NEXT) | instid1(SALU_CYCLE_1)
	s_ashr_i32 s39, s38, 31
	s_lshl_b64 s[38:39], s[38:39], 2
	s_delay_alu instid0(SALU_CYCLE_1) | instskip(SKIP_2) | instid1(SALU_CYCLE_1)
	s_add_u32 s38, s4, s38
	s_addc_u32 s39, s37, s39
	s_or_b32 s9, s31, 0xb0
	s_ashr_i32 s13, s9, 4
	s_cmp_lt_i32 s9, s30
	s_mul_hi_i32 s9, s8, s5
	s_cselect_b32 s40, s13, s3
	s_mul_i32 s8, s8, s5
	s_ashr_i32 s41, s40, 31
	s_mul_hi_i32 s13, s12, s5
	s_lshl_b64 s[40:41], s[40:41], 2
	s_mul_i32 s12, s12, s5
	s_add_u32 s42, s4, s40
	s_addc_u32 s43, s37, s41
	s_or_b32 s19, s31, 0xc0
	s_delay_alu instid0(SALU_CYCLE_1)
	s_ashr_i32 s21, s19, 4
	s_cmp_lt_i32 s19, s30
	s_mul_hi_i32 s19, s18, s5
	s_cselect_b32 s40, s21, s3
	s_mul_i32 s18, s18, s5
	s_ashr_i32 s41, s40, 31
	s_mul_hi_i32 s21, s20, s5
	s_lshl_b64 s[40:41], s[40:41], 2
	s_mul_i32 s20, s20, s5
	s_add_u32 s44, s4, s40
	s_addc_u32 s45, s37, s41
	s_load_b32 s41, s[28:29], 0x0
	s_or_b32 s40, s31, 0xd0
	s_mul_hi_i32 s23, s15, s5
	s_ashr_i32 s22, s40, 4
	s_cmp_lt_i32 s40, s30
	s_load_b32 s40, s[38:39], 0x0
	s_cselect_b32 s24, s22, s3
	s_mul_i32 s22, s15, s5
	s_ashr_i32 s25, s24, 31
	s_waitcnt lgkmcnt(0)
	s_mul_hi_i32 s29, s48, s5
	s_lshl_b64 s[24:25], s[24:25], 2
	s_mul_i32 s28, s48, s5
	s_add_u32 s24, s4, s24
	s_addc_u32 s25, s37, s25
	s_or_b32 s49, s31, 0xe0
	s_clause 0x2
	s_load_b32 s39, s[42:43], 0x0
	s_load_b32 s38, s[44:45], 0x0
	;; [unrolled: 1-line block ×3, first 2 shown]
	s_ashr_i32 s50, s49, 4
	s_cmp_lt_i32 s49, s30
	s_mul_hi_i32 s25, s46, s5
	s_cselect_b32 s44, s50, s3
	s_mul_i32 s24, s46, s5
	s_ashr_i32 s45, s44, 31
	s_mul_hi_i32 s27, s47, s5
	s_lshl_b64 s[44:45], s[44:45], 2
	s_mul_i32 s26, s47, s5
	s_add_u32 s44, s4, s44
	s_addc_u32 s45, s37, s45
	s_or_b32 s46, s31, 0xf0
	s_mul_hi_i32 s43, s41, s5
	s_ashr_i32 s48, s46, 4
	s_cmp_lt_i32 s46, s30
	s_mul_i32 s42, s41, s5
	s_cselect_b32 s48, s48, s3
	s_mul_hi_i32 s41, s40, s5
	s_ashr_i32 s49, s48, 31
	s_mul_i32 s40, s40, s5
	s_lshl_b64 s[48:49], s[48:49], 2
	s_waitcnt lgkmcnt(0)
	s_mul_hi_i32 s47, s39, s5
	s_add_u32 s48, s4, s48
	s_addc_u32 s49, s37, s49
	s_add_u32 s3, s10, s6
	s_addc_u32 s4, s11, s7
	v_add_co_u32 v195, s3, s3, v6
	s_delay_alu instid0(VALU_DEP_1) | instskip(SKIP_2) | instid1(VALU_DEP_2)
	v_add_co_ci_u32_e64 v196, null, s4, 0, s3
	s_lshl_b64 s[6:7], s[8:9], 1
	s_lshl_b64 s[8:9], s[12:13], 1
	v_add_co_u32 v1, vcc_lo, v195, s6
	s_delay_alu instid0(VALU_DEP_2)
	v_add_co_ci_u32_e32 v2, vcc_lo, s7, v196, vcc_lo
	v_add_co_u32 v3, vcc_lo, v195, s8
	s_lshl_b64 s[10:11], s[16:17], 1
	v_add_co_ci_u32_e32 v4, vcc_lo, s9, v196, vcc_lo
	v_add_co_u32 v5, vcc_lo, v195, s10
	s_lshl_b64 s[12:13], s[18:19], 1
	v_add_co_ci_u32_e32 v6, vcc_lo, s11, v196, vcc_lo
	v_add_co_u32 v7, vcc_lo, v195, s12
	s_lshl_b64 s[16:17], s[20:21], 1
	v_add_co_ci_u32_e32 v8, vcc_lo, s13, v196, vcc_lo
	v_add_co_u32 v25, vcc_lo, v195, s16
	s_lshl_b64 s[18:19], s[22:23], 1
	v_add_co_ci_u32_e32 v26, vcc_lo, s17, v196, vcc_lo
	v_add_co_u32 v27, vcc_lo, v195, s18
	s_lshl_b64 s[20:21], s[24:25], 1
	v_add_co_ci_u32_e32 v28, vcc_lo, s19, v196, vcc_lo
	v_add_co_u32 v29, vcc_lo, v195, s20
	s_lshl_b64 s[22:23], s[26:27], 1
	v_add_co_ci_u32_e32 v30, vcc_lo, s21, v196, vcc_lo
	v_add_co_u32 v31, vcc_lo, v195, s22
	s_lshl_b64 s[24:25], s[28:29], 1
	v_add_co_ci_u32_e32 v32, vcc_lo, s23, v196, vcc_lo
	v_add_co_u32 v49, vcc_lo, v195, s24
	s_lshl_b64 s[26:27], s[42:43], 1
	v_add_co_ci_u32_e32 v50, vcc_lo, s25, v196, vcc_lo
	v_add_co_u32 v53, vcc_lo, v195, s26
	s_lshl_b64 s[28:29], s[40:41], 1
	s_mul_i32 s46, s39, s5
	v_add_co_ci_u32_e32 v54, vcc_lo, s27, v196, vcc_lo
	v_add_co_u32 v183, vcc_lo, v195, s28
	s_lshl_b64 s[40:41], s[46:47], 1
	s_mul_hi_i32 s39, s38, s5
	s_mul_i32 s38, s38, s5
	v_add_co_ci_u32_e32 v184, vcc_lo, s29, v196, vcc_lo
	v_add_co_u32 v185, vcc_lo, v195, s40
	s_lshl_b64 s[38:39], s[38:39], 1
	s_clause 0x1
	s_load_b32 s3, s[44:45], 0x0
	s_load_b32 s4, s[48:49], 0x0
	v_add_co_ci_u32_e32 v186, vcc_lo, s41, v196, vcc_lo
	v_add_co_u32 v191, vcc_lo, v195, s38
	v_add_co_ci_u32_e32 v192, vcc_lo, s39, v196, vcc_lo
	s_clause 0x17
	global_load_b128 v[121:124], v[1:2], off
	global_load_b128 v[125:128], v[1:2], off offset:16
	global_load_b128 v[113:116], v[3:4], off
	global_load_b128 v[117:120], v[3:4], off offset:16
	;; [unrolled: 2-line block ×12, first 2 shown]
	s_mul_hi_i32 s51, s15, s5
	s_mul_i32 s50, s15, s5
	s_delay_alu instid0(SALU_CYCLE_1) | instskip(NEXT) | instid1(SALU_CYCLE_1)
	s_lshl_b64 s[42:43], s[50:51], 1
	v_add_co_u32 v193, vcc_lo, v195, s42
	v_add_co_ci_u32_e32 v194, vcc_lo, s43, v196, vcc_lo
	s_waitcnt lgkmcnt(0)
	s_mul_hi_i32 s7, s3, s5
	s_mul_i32 s6, s3, s5
	s_mul_hi_i32 s9, s4, s5
	s_lshl_b64 s[6:7], s[6:7], 1
	s_mul_i32 s8, s4, s5
	s_delay_alu instid0(SALU_CYCLE_1)
	s_lshl_b64 s[4:5], s[8:9], 1
	s_waitcnt vmcnt(38)
	v_wmma_f32_16x16x16_f16 v[183:190], v[9:16], v[159:166], v[137:144]
	s_waitcnt vmcnt(36)
	v_wmma_f32_16x16x16_f16 v[137:144], v[129:136], v[159:166], v[137:144]
	s_clause 0x1
	global_load_b128 v[9:12], v[191:192], off
	global_load_b128 v[13:16], v[191:192], off offset:16
	ds_load_b128 v[129:132], v197 offset:2048
	ds_load_b128 v[133:136], v197 offset:3072
	ds_load_b128 v[159:162], v197 offset:4096
	ds_load_b128 v[163:166], v197 offset:5120
	v_add_co_u32 v191, vcc_lo, v195, s6
	v_add_co_ci_u32_e32 v192, vcc_lo, s7, v196, vcc_lo
	v_add_co_u32 v195, vcc_lo, v195, s4
	v_add_co_ci_u32_e32 v196, vcc_lo, s5, v196, vcc_lo
	s_waitcnt vmcnt(36) lgkmcnt(2)
	v_wmma_f32_16x16x16_f16 v[183:190], v[41:48], v[129:136], v[183:190]
	s_waitcnt vmcnt(34)
	v_wmma_f32_16x16x16_f16 v[137:144], v[33:40], v[129:136], v[137:144]
	s_clause 0x3
	global_load_b128 v[33:36], v[193:194], off
	global_load_b128 v[37:40], v[193:194], off offset:16
	global_load_b128 v[41:44], v[191:192], off
	global_load_b128 v[45:48], v[191:192], off offset:16
	v_and_b32_e32 v129, 0xe0, v0
	v_mbcnt_lo_u32_b32 v191, -1, 0
	s_waitcnt vmcnt(36) lgkmcnt(0)
	v_wmma_f32_16x16x16_f16 v[183:190], v[17:24], v[159:166], v[183:190]
	s_clause 0x1
	global_load_b128 v[17:20], v[195:196], off
	global_load_b128 v[21:24], v[195:196], off offset:16
	s_waitcnt vmcnt(36)
	v_wmma_f32_16x16x16_f16 v[137:144], v[151:158], v[159:166], v[137:144]
	v_add_nc_u32_e32 v192, s31, v129
	ds_load_b128 v[129:132], v197 offset:6144
	ds_load_b128 v[133:136], v197 offset:7168
	v_xor_b32_e32 v151, 16, v191
	s_waitcnt vmcnt(0) lgkmcnt(0)
	s_barrier
	v_or_b32_e32 v152, v192, v146
	buffer_gl0_inv
	v_cmp_gt_i32_e32 vcc_lo, 32, v151
	v_or_b32_e32 v153, 2, v152
	v_or_b32_e32 v154, 4, v152
	;; [unrolled: 1-line block ×5, first 2 shown]
	v_cmp_gt_i32_e64 s3, s30, v153
	v_cmp_gt_i32_e64 s4, s30, v154
	;; [unrolled: 1-line block ×3, first 2 shown]
	v_or_b32_e32 v158, 12, v152
	v_or_b32_e32 v159, 14, v152
	v_cmp_gt_i32_e64 s6, s30, v156
	v_wmma_f32_16x16x16_f16 v[183:190], v[167:174], v[129:136], v[183:190]
	v_wmma_f32_16x16x16_f16 v[137:144], v[175:182], v[129:136], v[137:144]
	v_cndmask_b32_e32 v151, v191, v151, vcc_lo
	v_cmp_gt_i32_e32 vcc_lo, s30, v152
	v_cmp_gt_i32_e64 s7, s30, v157
	v_dual_mul_f32 v135, s36, v184 :: v_dual_mul_f32 v136, s36, v183
	v_dual_mul_f32 v133, s36, v186 :: v_dual_mul_f32 v134, s36, v185
	;; [unrolled: 1-line block ×3, first 2 shown]
	s_delay_alu instid0(VALU_DEP_3) | instskip(NEXT) | instid1(VALU_DEP_4)
	v_cndmask_b32_e32 v136, 0xff7fffff, v136, vcc_lo
	v_cndmask_b32_e64 v135, 0xff7fffff, v135, s3
	v_mul_f32_e32 v132, s36, v187
	v_cndmask_b32_e64 v134, 0xff7fffff, v134, s4
	v_cndmask_b32_e64 v133, 0xff7fffff, v133, s5
	v_or_b32_e32 v160, 16, v152
	v_max3_f32 v135, v136, 0xff7fffff, v135
	v_or_b32_e32 v161, 18, v152
	v_mul_f32_e32 v130, s36, v189
	v_dual_mul_f32 v172, s36, v140 :: v_dual_mul_f32 v129, s36, v190
	v_cndmask_b32_e64 v132, 0xff7fffff, v132, s6
	v_cndmask_b32_e64 v131, 0xff7fffff, v131, s7
	v_max3_f32 v133, v135, v134, v133
	v_cmp_gt_i32_e64 s8, s30, v158
	v_cmp_gt_i32_e64 s9, s30, v159
	v_or_b32_e32 v162, 20, v152
	v_or_b32_e32 v163, 22, v152
	v_mul_f32_e32 v175, s36, v137
	v_cndmask_b32_e64 v130, 0xff7fffff, v130, s8
	v_cndmask_b32_e64 v129, 0xff7fffff, v129, s9
	v_max3_f32 v131, v133, v132, v131
	v_cmp_gt_i32_e64 s10, s30, v160
	v_cmp_gt_i32_e64 s11, s30, v161
	v_or_b32_e32 v164, 24, v152
	v_or_b32_e32 v165, 26, v152
	v_mul_f32_e32 v173, s36, v139
	v_cndmask_b32_e64 v132, 0xff7fffff, v175, s10
	v_cndmask_b32_e64 v133, 0xff7fffff, v174, s11
	v_max3_f32 v129, v131, v130, v129
	v_cmp_gt_i32_e64 s12, s30, v162
	v_cmp_gt_i32_e64 s13, s30, v163
	v_or_b32_e32 v166, 28, v152
	v_or_b32_e32 v167, 30, v152
	v_dual_mul_f32 v170, s36, v142 :: v_dual_mul_f32 v171, s36, v141
	v_cndmask_b32_e64 v130, 0xff7fffff, v173, s12
	v_cndmask_b32_e64 v131, 0xff7fffff, v172, s13
	v_max3_f32 v129, v129, v132, v133
	v_cmp_gt_i32_e64 s15, s30, v164
	v_cmp_gt_i32_e64 s16, s30, v165
	v_dual_mul_f32 v168, s36, v144 :: v_dual_mul_f32 v169, s36, v143
	s_delay_alu instid0(VALU_DEP_4) | instskip(NEXT) | instid1(VALU_DEP_4)
	v_max3_f32 v129, v129, v130, v131
	v_cndmask_b32_e64 v132, 0xff7fffff, v171, s15
	s_delay_alu instid0(VALU_DEP_4) | instskip(SKIP_2) | instid1(VALU_DEP_3)
	v_cndmask_b32_e64 v133, 0xff7fffff, v170, s16
	v_cmp_gt_i32_e64 s17, s30, v166
	v_cmp_gt_i32_e64 s18, s30, v167
	v_max3_f32 v129, v129, v132, v133
	s_delay_alu instid0(VALU_DEP_3) | instskip(NEXT) | instid1(VALU_DEP_3)
	v_cndmask_b32_e64 v130, 0xff7fffff, v169, s17
	v_cndmask_b32_e64 v131, 0xff7fffff, v168, s18
	v_lshlrev_b32_e32 v132, 2, v151
	s_delay_alu instid0(VALU_DEP_2) | instskip(SKIP_3) | instid1(VALU_DEP_1)
	v_max3_f32 v129, v129, v130, v131
	ds_bpermute_b32 v130, v132, v129
	s_waitcnt lgkmcnt(0)
	v_max_f32_e32 v130, v130, v130
	v_max_f32_e32 v129, v129, v130
	s_delay_alu instid0(VALU_DEP_1) | instskip(SKIP_4) | instid1(VALU_DEP_4)
	v_fma_f32 v134, s36, v186, -v129
	v_fma_f32 v135, s36, v187, -v129
	;; [unrolled: 1-line block ×5, first 2 shown]
	v_dual_mul_f32 v134, 0x3fb8aa3b, v134 :: v_dual_mul_f32 v135, 0x3fb8aa3b, v135
	s_delay_alu instid0(VALU_DEP_4) | instskip(SKIP_1) | instid1(VALU_DEP_3)
	v_mul_f32_e32 v130, 0x3fb8aa3b, v130
	v_fma_f32 v136, s36, v189, -v129
	v_exp_f32_e32 v134, v134
	s_delay_alu instid0(VALU_DEP_3) | instskip(NEXT) | instid1(VALU_DEP_2)
	v_exp_f32_e32 v135, v135
	v_exp_f32_e32 v130, v130
	s_delay_alu instid0(VALU_DEP_1) | instskip(NEXT) | instid1(VALU_DEP_1)
	v_mul_f32_e32 v136, 0x3fb8aa3b, v136
	v_exp_f32_e32 v136, v136
	v_cndmask_b32_e64 v153, 0, v134, s5
	v_fma_f32 v134, s36, v137, -v129
	v_mul_f32_e32 v131, 0x3fb8aa3b, v131
	s_delay_alu instid0(TRANS32_DEP_3) | instskip(NEXT) | instid1(TRANS32_DEP_2)
	v_cndmask_b32_e64 v155, 0, v135, s6
	v_dual_mul_f32 v133, 0x3fb8aa3b, v133 :: v_dual_cndmask_b32 v152, 0, v130
	s_delay_alu instid0(VALU_DEP_4) | instskip(NEXT) | instid1(VALU_DEP_4)
	v_mul_f32_e32 v134, 0x3fb8aa3b, v134
	v_exp_f32_e32 v131, v131
	v_fma_f32 v135, s36, v138, -v129
	s_delay_alu instid0(VALU_DEP_3)
	v_exp_f32_e32 v133, v133
	v_fma_f32 v130, s36, v188, -v129
	v_cndmask_b32_e64 v156, 0, v136, s8
	v_fma_f32 v136, s36, v140, -v129
	v_mul_f32_e32 v135, 0x3fb8aa3b, v135
	v_exp_f32_e32 v134, v134
	v_mul_f32_e32 v130, 0x3fb8aa3b, v130
	s_delay_alu instid0(TRANS32_DEP_3) | instskip(SKIP_1) | instid1(TRANS32_DEP_2)
	v_cndmask_b32_e64 v151, 0, v131, s3
	v_add_f32_e32 v131, 0, v152
	v_cndmask_b32_e64 v154, 0, v133, s4
	v_exp_f32_e32 v135, v135
	v_fma_f32 v133, s36, v190, -v129
	v_exp_f32_e32 v130, v130
	v_dual_add_f32 v131, v131, v151 :: v_dual_mul_f32 v136, 0x3fb8aa3b, v136
	v_cmp_gt_u32_e64 s3, 16, v150
	s_delay_alu instid0(VALU_DEP_3) | instskip(NEXT) | instid1(VALU_DEP_3)
	v_mul_f32_e32 v133, 0x3fb8aa3b, v133
	v_add_f32_e32 v131, v131, v154
	s_delay_alu instid0(VALU_DEP_4) | instskip(NEXT) | instid1(TRANS32_DEP_3)
	v_exp_f32_e32 v136, v136
	v_cndmask_b32_e64 v140, 0, v135, s11
	s_delay_alu instid0(VALU_DEP_3) | instskip(NEXT) | instid1(TRANS32_DEP_3)
	v_exp_f32_e32 v133, v133
	v_cndmask_b32_e64 v138, 0, v130, s7
	v_add_f32_e32 v131, v131, v153
	v_fma_f32 v135, s36, v143, -v129
	s_delay_alu instid0(VALU_DEP_2)
	v_add_f32_e32 v130, v131, v155
	v_fma_f32 v131, s36, v139, -v129
	s_waitcnt_depctr 0xfff
	v_cndmask_b32_e64 v139, 0, v133, s9
	v_fma_f32 v133, s36, v141, -v129
	v_add_f32_e32 v130, v130, v138
	v_cndmask_b32_e64 v141, 0, v134, s10
	v_fma_f32 v134, s36, v142, -v129
	v_cndmask_b32_e64 v142, 0, v136, s13
	s_delay_alu instid0(VALU_DEP_4) | instskip(NEXT) | instid1(VALU_DEP_3)
	v_dual_mul_f32 v131, 0x3fb8aa3b, v131 :: v_dual_add_f32 v130, v130, v156
	v_mul_f32_e32 v134, 0x3fb8aa3b, v134
	s_delay_alu instid0(VALU_DEP_2) | instskip(NEXT) | instid1(VALU_DEP_2)
	v_exp_f32_e32 v131, v131
	v_add_f32_e32 v130, v130, v139
	s_delay_alu instid0(VALU_DEP_2) | instskip(NEXT) | instid1(VALU_DEP_1)
	v_exp_f32_e32 v134, v134
	v_add_f32_e32 v130, v130, v141
	s_waitcnt_depctr 0xfff
	v_cndmask_b32_e64 v143, 0, v131, s12
	v_dual_add_f32 v130, v130, v140 :: v_dual_mul_f32 v133, 0x3fb8aa3b, v133
	s_delay_alu instid0(VALU_DEP_1) | instskip(NEXT) | instid1(VALU_DEP_2)
	v_add_f32_e32 v130, v130, v143
	v_exp_f32_e32 v133, v133
	s_delay_alu instid0(VALU_DEP_1)
	v_add_f32_e32 v130, v130, v142
	s_waitcnt_depctr 0xfff
	v_cndmask_b32_e64 v157, 0, v133, s15
	v_mul_f32_e32 v131, 0x3fb8aa3b, v135
	v_fma_f32 v135, s36, v144, -v129
	v_cndmask_b32_e64 v144, 0, v134, s16
	s_delay_alu instid0(VALU_DEP_4) | instskip(NEXT) | instid1(VALU_DEP_4)
	v_add_f32_e32 v130, v130, v157
	v_exp_f32_e32 v131, v131
	s_delay_alu instid0(VALU_DEP_1) | instskip(NEXT) | instid1(VALU_DEP_1)
	v_dual_mul_f32 v133, 0x3fb8aa3b, v135 :: v_dual_add_f32 v130, v130, v144
	v_exp_f32_e32 v133, v133
	s_waitcnt_depctr 0xfff
	v_cndmask_b32_e64 v159, 0, v131, s17
	s_delay_alu instid0(VALU_DEP_1) | instskip(SKIP_1) | instid1(VALU_DEP_1)
	v_add_f32_e32 v130, v130, v159
	v_cndmask_b32_e64 v158, 0, v133, s18
	v_add_f32_e32 v130, v130, v158
	ds_bpermute_b32 v131, v132, v130
	s_and_saveexec_b32 s4, s3
	s_cbranch_execz .LBB70_12
; %bb.11:
	v_mul_u32_u24_e32 v132, 0x44, v149
	s_delay_alu instid0(VALU_DEP_1) | instskip(SKIP_1) | instid1(VALU_DEP_1)
	v_lshl_add_u32 v132, v148, 2, v132
	s_waitcnt lgkmcnt(0)
	v_dual_add_f32 v130, v130, v131 :: v_dual_add_nc_u32 v131, 0x4000, v132
	ds_store_2addr_b32 v131, v129, v130 offset1:136
.LBB70_12:
	s_or_b32 exec_lo, exec_lo, s4
	v_lshlrev_b32_e32 v129, 2, v148
	s_load_b32 s36, s[0:1], 0x94
	s_waitcnt lgkmcnt(0)
	s_barrier
	buffer_gl0_inv
	v_add_nc_u32_e32 v135, 0x4000, v129
	v_cmp_eq_u32_e32 vcc_lo, 1, v149
	v_cmp_eq_u32_e64 s4, 2, v149
	v_cmp_eq_u32_e64 s5, 3, v149
	v_cmp_eq_u32_e64 s6, 4, v149
	ds_load_2addr_b32 v[129:130], v135 offset1:17
	ds_load_2addr_b32 v[131:132], v135 offset0:34 offset1:51
	ds_load_2addr_b32 v[133:134], v135 offset0:68 offset1:85
	;; [unrolled: 1-line block ×3, first 2 shown]
	v_cmp_eq_u32_e64 s7, 5, v149
	v_cmp_eq_u32_e64 s8, 7, v149
	s_waitcnt lgkmcnt(3)
	v_max3_f32 v136, v129, 0xff7fffff, v130
	s_waitcnt lgkmcnt(2)
	s_delay_alu instid0(VALU_DEP_1) | instskip(SKIP_1) | instid1(VALU_DEP_1)
	v_max3_f32 v136, v136, v131, v132
	s_waitcnt lgkmcnt(1)
	v_max3_f32 v136, v136, v133, v134
	s_waitcnt lgkmcnt(0)
	s_delay_alu instid0(VALU_DEP_1) | instskip(NEXT) | instid1(VALU_DEP_1)
	v_max3_f32 v136, v136, v160, v161
	v_sub_f32_e32 v164, v132, v136
	ds_load_2addr_b32 v[162:163], v135 offset0:136 offset1:153
	v_sub_f32_e32 v129, v129, v136
	v_sub_f32_e32 v137, v130, v136
	;; [unrolled: 1-line block ×3, first 2 shown]
	v_mul_f32_e32 v164, 0x3fb8aa3b, v164
	s_delay_alu instid0(VALU_DEP_4) | instskip(NEXT) | instid1(VALU_DEP_4)
	v_mul_f32_e32 v150, 0x3fb8aa3b, v129
	v_mul_f32_e32 v137, 0x3fb8aa3b, v137
	ds_load_2addr_b32 v[129:130], v135 offset0:170 offset1:187
	v_mul_f32_e32 v167, 0x3fb8aa3b, v133
	v_exp_f32_e32 v164, v164
	v_exp_f32_e32 v150, v150
	;; [unrolled: 1-line block ×3, first 2 shown]
	v_sub_f32_e32 v131, v131, v136
	s_delay_alu instid0(VALU_DEP_1)
	v_mul_f32_e32 v165, 0x3fb8aa3b, v131
	ds_load_2addr_b32 v[131:132], v135 offset0:204 offset1:221
	s_waitcnt lgkmcnt(2)
	v_fma_f32 v137, v150, v162, 0
	v_sub_f32_e32 v162, v134, v136
	v_exp_f32_e32 v165, v165
	ds_load_2addr_b32 v[133:134], v135 offset0:238 offset1:255
	v_sub_f32_e32 v135, v160, v136
	v_dual_fmac_f32 v137, v166, v163 :: v_dual_mul_f32 v160, 0x3fb8aa3b, v162
	v_exp_f32_e32 v162, v167
	s_waitcnt lgkmcnt(0)
	s_delay_alu instid0(VALU_DEP_2)
	v_mul_f32_e32 v135, 0x3fb8aa3b, v135
	s_barrier
	v_exp_f32_e32 v160, v160
	v_fmac_f32_e32 v137, v165, v129
	v_sub_f32_e32 v129, v161, v136
	v_exp_f32_e32 v161, v135
	buffer_gl0_inv
	v_fmac_f32_e32 v137, v164, v130
	v_dual_mul_f32 v129, 0x3fb8aa3b, v129 :: v_dual_cndmask_b32 v130, v150, v166
	s_delay_alu instid0(VALU_DEP_2) | instskip(NEXT) | instid1(VALU_DEP_2)
	v_fmac_f32_e32 v137, v162, v131
	v_exp_f32_e32 v163, v129
	s_delay_alu instid0(VALU_DEP_1) | instskip(NEXT) | instid1(VALU_DEP_1)
	v_fmac_f32_e32 v137, v160, v132
	v_fmac_f32_e32 v137, v161, v133
	v_lshlrev_b32_e32 v133, 6, v148
	s_waitcnt_depctr 0xfff
	v_fmac_f32_e32 v137, v163, v134
	v_lshl_or_b32 v135, v149, 11, v133
	s_delay_alu instid0(VALU_DEP_2) | instskip(NEXT) | instid1(VALU_DEP_1)
	v_add_f32_e32 v134, 0x358637bd, v137
	v_div_scale_f32 v167, null, v134, v134, 1.0
	v_div_scale_f32 v150, vcc_lo, 1.0, v134, 1.0
	s_delay_alu instid0(VALU_DEP_2) | instskip(SKIP_2) | instid1(VALU_DEP_1)
	v_rcp_f32_e32 v168, v167
	s_waitcnt_depctr 0xfff
	v_fma_f32 v129, -v167, v168, 1.0
	v_fmac_f32_e32 v168, v129, v168
	v_cndmask_b32_e64 v129, v130, v165, s4
	v_cmp_eq_u32_e64 s4, 6, v149
	s_delay_alu instid0(VALU_DEP_3) | instskip(NEXT) | instid1(VALU_DEP_3)
	v_mul_f32_e32 v165, v150, v168
	v_cndmask_b32_e64 v130, v129, v164, s5
	v_lshlrev_b32_e32 v129, 2, v146
	s_delay_alu instid0(VALU_DEP_3) | instskip(NEXT) | instid1(VALU_DEP_3)
	v_fma_f32 v131, -v167, v165, v150
	v_cndmask_b32_e64 v162, v130, v162, s6
	s_delay_alu instid0(VALU_DEP_3)
	v_or_b32_e32 v130, 1, v129
	v_or_b32_e32 v132, 2, v129
	v_cmp_eq_u32_e64 s5, 1, v129
	v_fmac_f32_e32 v165, v131, v168
	v_cndmask_b32_e64 v149, v162, v160, s7
	v_or_b32_e32 v131, 3, v129
	v_cmp_eq_u32_e64 s10, 1, v130
	v_cmp_eq_u32_e64 s11, 1, v132
	v_fma_f32 v150, -v167, v165, v150
	v_cndmask_b32_e64 v149, v149, v161, s4
	v_cmp_eq_u32_e64 s12, 1, v131
	v_cmp_eq_u32_e64 s6, 2, v129
	v_cmp_eq_u32_e64 s13, 2, v130
	v_div_fmas_f32 v150, v150, v168, v165
	v_cndmask_b32_e64 v149, v149, v163, s8
	v_cmp_eq_u32_e64 s16, 2, v132
	v_cmp_eq_u32_e64 s17, 2, v131
	v_cmp_eq_u32_e32 vcc_lo, 3, v129
	v_div_fixup_f32 v150, v150, v134, 1.0
	v_lshl_or_b32 v134, v146, 4, v135
	v_cmp_eq_u32_e64 s15, 3, v130
	v_cmp_eq_u32_e64 s19, 3, v131
	;; [unrolled: 1-line block ×3, first 2 shown]
	v_mul_f32_e32 v149, v149, v150
	v_cmp_eq_u32_e64 s18, 3, v132
	v_cmp_eq_u32_e64 s20, 4, v130
	;; [unrolled: 1-line block ×4, first 2 shown]
	v_fma_mixlo_f16 v160, v149, v152, 0
	v_fma_mixlo_f16 v161, v149, v154, 0
	;; [unrolled: 1-line block ×8, first 2 shown]
	v_fma_mixhi_f16 v160, v149, v151, 0
	v_fma_mixhi_f16 v161, v149, v153, 0
	;; [unrolled: 1-line block ×8, first 2 shown]
	ds_store_b128 v134, v[160:163]
	ds_store_b128 v134, v[154:157] offset:1024
	s_waitcnt lgkmcnt(0)
	s_barrier
	buffer_gl0_inv
	ds_load_b128 v[138:141], v135
	ds_load_b128 v[149:152], v135 offset:16
	ds_load_b128 v[153:156], v135 offset:1024
	;; [unrolled: 1-line block ×3, first 2 shown]
	v_cmp_eq_u32_e64 s21, 5, v130
	v_cmp_eq_u32_e64 s22, 4, v132
	;; [unrolled: 1-line block ×12, first 2 shown]
	s_waitcnt lgkmcnt(3)
	v_lshrrev_b32_e32 v142, 16, v138
	s_waitcnt lgkmcnt(2)
	v_lshrrev_b32_e32 v162, 16, v149
	;; [unrolled: 2-line block ×4, first 2 shown]
	v_lshrrev_b32_e32 v143, 16, v139
	v_cndmask_b32_e64 v174, v138, v142, s5
	v_cndmask_b32_e64 v175, v149, v162, s5
	;; [unrolled: 1-line block ×7, first 2 shown]
	v_lshrrev_b32_e32 v163, 16, v150
	v_cndmask_b32_e64 v179, v149, v162, s11
	v_cndmask_b32_e64 v149, v153, v166, s5
	;; [unrolled: 1-line block ×16, first 2 shown]
	v_lshrrev_b32_e32 v167, 16, v154
	v_lshrrev_b32_e32 v171, 16, v158
	v_cndmask_b32_e64 v177, v179, v150, s16
	v_cndmask_b32_e64 v142, v149, v154, s6
	;; [unrolled: 1-line block ×7, first 2 shown]
	v_cndmask_b32_e32 v157, v166, v143, vcc_lo
	v_cndmask_b32_e32 v166, v170, v163, vcc_lo
	v_cndmask_b32_e64 v170, v174, v143, s15
	v_cndmask_b32_e64 v174, v175, v163, s15
	;; [unrolled: 1-line block ×4, first 2 shown]
	v_lshrrev_b32_e32 v144, 16, v140
	v_lshrrev_b32_e32 v164, 16, v151
	v_cndmask_b32_e64 v175, v176, v143, s18
	v_cndmask_b32_e64 v176, v177, v163, s18
	v_cndmask_b32_e32 v142, v142, v167, vcc_lo
	v_cndmask_b32_e32 v143, v149, v171, vcc_lo
	v_cndmask_b32_e64 v149, v150, v167, s15
	v_cndmask_b32_e64 v150, v157, v140, s4
	;; [unrolled: 1-line block ×7, first 2 shown]
	v_lshrrev_b32_e32 v168, 16, v155
	v_cndmask_b32_e64 v170, v175, v140, s22
	v_cndmask_b32_e64 v174, v176, v151, s22
	;; [unrolled: 1-line block ×11, first 2 shown]
	v_lshrrev_b32_e32 v161, 16, v141
	v_lshrrev_b32_e32 v165, 16, v152
	v_cndmask_b32_e64 v163, v170, v144, s24
	v_cndmask_b32_e64 v166, v174, v164, s24
	;; [unrolled: 1-line block ×9, first 2 shown]
	v_lshrrev_b32_e32 v169, 16, v156
	v_cndmask_b32_e64 v140, v140, v168, s7
	v_cndmask_b32_e64 v157, v163, v141, s27
	;; [unrolled: 1-line block ×14, first 2 shown]
	v_perm_b32 v141, v139, v138, 0x5040100
	v_perm_b32 v139, v151, v149, 0x5040100
	v_cndmask_b32_e64 v138, v183, v158, s16
	v_cndmask_b32_e64 v149, v181, v158, s13
	;; [unrolled: 1-line block ×3, first 2 shown]
	v_perm_b32 v140, v152, v150, 0x5040100
	v_cndmask_b32_e64 v150, v162, v167, s18
	v_cndmask_b32_e64 v151, v153, v167, s19
	v_cndmask_b32_e64 v152, v154, v171, s19
	v_cndmask_b32_e64 v138, v138, v171, s18
	v_cndmask_b32_e64 v149, v149, v171, s15
	v_lshrrev_b32_e32 v172, 16, v159
	v_cndmask_b32_e64 v150, v150, v155, s22
	v_cndmask_b32_e64 v151, v151, v155, s23
	;; [unrolled: 1-line block ×11, first 2 shown]
	v_lshrrev_b32_e32 v173, 16, v160
	v_cndmask_b32_e64 v142, v142, v160, s8
	v_cndmask_b32_e64 v150, v150, v156, s27
	;; [unrolled: 1-line block ×12, first 2 shown]
	v_perm_b32 v138, v144, v143, 0x5040100
	v_perm_b32 v152, v152, v151, 0x5040100
	;; [unrolled: 1-line block ×5, first 2 shown]
	s_mul_i32 s8, s35, 13
	s_mov_b32 s4, exec_lo
	ds_store_b128 v134, v[138:141]
	ds_store_b128 v134, v[149:152] offset:1024
	v_cmpx_gt_u32_e32 13, v0
	s_cbranch_execz .LBB70_14
; %bb.13:
	s_mul_i32 s5, s8, s34
	s_load_b128 s[16:19], s[0:1], 0x58
	v_add3_u32 v140, s5, s33, v148
	s_delay_alu instid0(VALU_DEP_1) | instskip(NEXT) | instid1(VALU_DEP_1)
	v_mad_u64_u32 v[138:139], null, v140, s36, s[14:15]
	v_ashrrev_i32_e32 v139, 31, v138
	s_delay_alu instid0(VALU_DEP_1) | instskip(SKIP_1) | instid1(VALU_DEP_1)
	v_lshlrev_b64 v[138:139], 2, v[138:139]
	s_waitcnt lgkmcnt(0)
	v_add_co_u32 v140, vcc_lo, s18, v138
	s_delay_alu instid0(VALU_DEP_2)
	v_add_co_ci_u32_e32 v141, vcc_lo, s19, v139, vcc_lo
	v_add_co_u32 v138, vcc_lo, s16, v138
	v_add_co_ci_u32_e32 v139, vcc_lo, s17, v139, vcc_lo
	global_store_b32 v[140:141], v136, off
	global_store_b32 v[138:139], v137, off
.LBB70_14:
	s_or_b32 exec_lo, exec_lo, s4
	s_waitcnt lgkmcnt(0)
	s_waitcnt_vscnt null, 0x0
	s_barrier
	buffer_gl0_inv
	ds_load_b128 v[148:151], v133
	ds_load_b128 v[152:155], v133 offset:16
	ds_load_b128 v[160:163], v133 offset:1040
	;; [unrolled: 1-line block ×5, first 2 shown]
	v_cmp_eq_u32_e32 vcc_lo, 1, v132
	v_mov_b32_e32 v136, 0
	ds_load_b128 v[176:179], v133 offset:3088
	ds_load_b128 v[172:175], v133 offset:3072
	;; [unrolled: 1-line block ×4, first 2 shown]
	v_cmp_eq_u32_e64 s4, 1, v129
	v_cmp_eq_u32_e64 s5, 1, v131
	;; [unrolled: 1-line block ×3, first 2 shown]
	v_mov_b32_e32 v137, v136
	v_mov_b32_e32 v138, v136
	;; [unrolled: 1-line block ×7, first 2 shown]
	v_cmp_eq_u32_e64 s7, 2, v129
	s_waitcnt lgkmcnt(8)
	s_delay_alu instid0(VALU_DEP_2)
	v_wmma_f32_16x16x16_f16 v[136:143], v[121:128], v[148:155], v[136:143]
	ds_load_b128 v[125:128], v133 offset:5136
	ds_load_b128 v[121:124], v133 offset:5120
	s_waitcnt lgkmcnt(8)
	v_wmma_f32_16x16x16_f16 v[136:143], v[113:120], v[156:163], v[136:143]
	ds_load_b128 v[117:120], v133 offset:6160
	ds_load_b128 v[113:116], v133 offset:6144
	s_waitcnt lgkmcnt(8)
	;; [unrolled: 4-line block ×11, first 2 shown]
	s_barrier
	buffer_gl0_inv
	v_wmma_f32_16x16x16_f16 v[136:143], v[1:8], v[73:80], v[136:143]
	s_delay_alu instid0(VALU_DEP_1) | instskip(NEXT) | instid1(VALU_DEP_1)
	v_wmma_f32_16x16x16_f16 v[136:143], v[9:16], v[65:72], v[136:143]
	v_wmma_f32_16x16x16_f16 v[136:143], v[33:40], v[57:64], v[136:143]
	s_delay_alu instid0(VALU_DEP_1) | instskip(NEXT) | instid1(VALU_DEP_1)
	v_wmma_f32_16x16x16_f16 v[136:143], v[41:48], v[49:56], v[136:143]
	v_wmma_f32_16x16x16_f16 v[136:143], v[17:24], v[25:32], v[136:143]
	s_delay_alu instid0(VALU_DEP_1) | instskip(NEXT) | instid1(VALU_DEP_2)
	v_cvt_f16_f32_e64 v1, v136
	v_cvt_f16_f32_e64 v2, v137
	s_delay_alu instid0(VALU_DEP_3) | instskip(NEXT) | instid1(VALU_DEP_4)
	v_cvt_f16_f32_e64 v3, v138
	v_cvt_f16_f32_e64 v4, v139
	;; [unrolled: 1-line block ×6, first 2 shown]
	v_pack_b32_f16 v1, v1, v2
	v_pack_b32_f16 v2, v3, v4
	;; [unrolled: 1-line block ×3, first 2 shown]
	s_delay_alu instid0(VALU_DEP_4)
	v_pack_b32_f16 v4, v7, v8
	ds_store_b128 v134, v[1:4]
	s_waitcnt lgkmcnt(0)
	s_barrier
	buffer_gl0_inv
	ds_load_b128 v[1:4], v135
	ds_load_b128 v[5:8], v135 offset:16
	s_waitcnt lgkmcnt(1)
	v_lshrrev_b32_e32 v9, 16, v1
	s_waitcnt lgkmcnt(0)
	v_lshrrev_b32_e32 v13, 16, v5
	v_lshrrev_b32_e32 v10, 16, v2
	;; [unrolled: 1-line block ×4, first 2 shown]
	v_cndmask_b32_e64 v17, v1, v9, s4
	v_cndmask_b32_e64 v18, v5, v13, s4
	;; [unrolled: 1-line block ×3, first 2 shown]
	v_cmp_eq_u32_e64 s4, 2, v130
	v_cndmask_b32_e64 v20, v5, v13, s6
	v_cndmask_b32_e32 v21, v1, v9, vcc_lo
	v_cndmask_b32_e32 v22, v5, v13, vcc_lo
	v_cndmask_b32_e64 v1, v1, v9, s5
	v_cndmask_b32_e64 v5, v5, v13, s5
	v_cmp_eq_u32_e32 vcc_lo, 2, v132
	v_cmp_eq_u32_e64 s5, 2, v131
	v_cndmask_b32_e64 v9, v17, v2, s7
	v_cndmask_b32_e64 v13, v18, v6, s7
	;; [unrolled: 1-line block ×4, first 2 shown]
	v_cndmask_b32_e32 v19, v21, v2, vcc_lo
	v_cmp_eq_u32_e64 s4, 3, v132
	v_cndmask_b32_e32 v20, v22, v6, vcc_lo
	v_cndmask_b32_e64 v1, v1, v2, s5
	v_cmp_eq_u32_e32 vcc_lo, 3, v131
	v_cmp_eq_u32_e64 s6, 3, v129
	v_cndmask_b32_e64 v2, v5, v6, s5
	v_cmp_eq_u32_e64 s5, 3, v130
	v_cmp_eq_u32_e64 s7, 4, v129
	v_cndmask_b32_e32 v1, v1, v10, vcc_lo
	v_cndmask_b32_e64 v5, v9, v10, s6
	v_cndmask_b32_e64 v6, v13, v14, s6
	;; [unrolled: 1-line block ×3, first 2 shown]
	v_cmp_eq_u32_e64 s6, 4, v130
	v_cndmask_b32_e64 v13, v18, v14, s5
	v_cndmask_b32_e64 v17, v19, v10, s4
	;; [unrolled: 1-line block ×3, first 2 shown]
	v_cndmask_b32_e32 v2, v2, v14, vcc_lo
	v_cmp_eq_u32_e32 vcc_lo, 4, v132
	v_cmp_eq_u32_e64 s5, 4, v131
	v_lshrrev_b32_e32 v15, 16, v7
	v_cndmask_b32_e64 v5, v5, v3, s7
	v_cndmask_b32_e64 v6, v6, v7, s7
	v_cndmask_b32_e32 v14, v18, v7, vcc_lo
	v_cndmask_b32_e64 v9, v9, v3, s6
	v_cndmask_b32_e64 v10, v13, v7, s6
	v_cndmask_b32_e32 v13, v17, v3, vcc_lo
	v_cmp_eq_u32_e64 s4, 5, v132
	v_cndmask_b32_e64 v1, v1, v3, s5
	v_cmp_eq_u32_e32 vcc_lo, 5, v131
	v_cmp_eq_u32_e64 s6, 5, v129
	v_cndmask_b32_e64 v2, v2, v7, s5
	v_cmp_eq_u32_e64 s5, 5, v130
	v_cmp_eq_u32_e64 s7, 6, v129
	v_lshrrev_b32_e32 v12, 16, v4
	v_cndmask_b32_e64 v3, v5, v11, s6
	v_cndmask_b32_e64 v5, v6, v15, s6
	;; [unrolled: 1-line block ×3, first 2 shown]
	v_cmp_eq_u32_e64 s6, 6, v130
	v_cndmask_b32_e64 v7, v10, v15, s5
	v_cndmask_b32_e64 v9, v13, v11, s4
	;; [unrolled: 1-line block ×3, first 2 shown]
	v_cndmask_b32_e32 v1, v1, v11, vcc_lo
	v_cndmask_b32_e32 v2, v2, v15, vcc_lo
	v_cmp_eq_u32_e32 vcc_lo, 6, v132
	v_cmp_eq_u32_e64 s4, 6, v131
	v_lshrrev_b32_e32 v16, 16, v8
	v_cndmask_b32_e64 v3, v3, v4, s7
	v_cndmask_b32_e64 v5, v5, v8, s7
	v_cndmask_b32_e32 v9, v9, v4, vcc_lo
	v_cndmask_b32_e64 v6, v6, v4, s6
	v_cndmask_b32_e64 v7, v7, v8, s6
	v_cmp_eq_u32_e64 s5, 7, v132
	v_cndmask_b32_e32 v10, v10, v8, vcc_lo
	v_cndmask_b32_e64 v1, v1, v4, s4
	v_cmp_eq_u32_e32 vcc_lo, 7, v131
	v_cndmask_b32_e64 v2, v2, v8, s4
	v_cmp_eq_u32_e64 s4, 7, v129
	v_cmp_eq_u32_e64 s6, 7, v130
	v_cndmask_b32_e32 v1, v1, v12, vcc_lo
	s_delay_alu instid0(VALU_DEP_4) | instskip(NEXT) | instid1(VALU_DEP_4)
	v_cndmask_b32_e32 v2, v2, v16, vcc_lo
	v_cndmask_b32_e64 v8, v3, v12, s4
	s_delay_alu instid0(VALU_DEP_4)
	v_cndmask_b32_e64 v6, v6, v12, s6
	v_cndmask_b32_e64 v3, v9, v12, s5
	;; [unrolled: 1-line block ×5, first 2 shown]
	v_cmp_gt_u32_e32 vcc_lo, 32, v0
	v_perm_b32 v4, v2, v1, 0x5040100
	v_perm_b32 v3, v9, v3, 0x5040100
	;; [unrolled: 1-line block ×4, first 2 shown]
	s_and_b32 s2, vcc_lo, s2
	ds_store_b128 v134, v[1:4]
	s_waitcnt lgkmcnt(0)
	s_barrier
	buffer_gl0_inv
	s_and_saveexec_b32 s4, s2
	s_cbranch_execz .LBB70_2
; %bb.15:
	s_load_b64 s[4:5], s[0:1], 0x68
	v_lshlrev_b32_e32 v0, 10, v0
	v_lshlrev_b32_e32 v1, 4, v147
	s_lshl_b32 s0, s36, 6
	v_add_nc_u32_e32 v18, s33, v146
	s_mul_i32 s1, s0, s34
	s_delay_alu instid0(VALU_DEP_2) | instskip(SKIP_1) | instid1(VALU_DEP_2)
	v_and_or_b32 v0, 0x3800, v0, v1
	s_mul_i32 s6, s1, s8
	v_mul_lo_u32 v1, v18, s0
	s_ashr_i32 s7, s6, 31
	v_add_nc_u32_e32 v2, 2, v18
	v_lshl_or_b32 v19, v146, 6, v0
	s_lshl_b64 s[6:7], s[6:7], 1
	v_add_nc_u32_e32 v8, 4, v18
	v_add_nc_u32_e32 v15, 6, v18
	v_mul_lo_u32 v7, v2, s0
	ds_load_b128 v[3:6], v19
	v_ashrrev_i32_e32 v2, 31, v1
	v_mul_lo_u32 v11, v8, s0
	s_waitcnt lgkmcnt(0)
	s_add_u32 s1, s4, s6
	s_addc_u32 s2, s5, s7
	s_lshl_b32 s4, s14, 6
	v_lshlrev_b64 v[9:10], 1, v[1:2]
	s_ashr_i32 s5, s4, 31
	v_ashrrev_i32_e32 v8, 31, v7
	s_lshl_b64 s[4:5], s[4:5], 1
	v_ashrrev_i32_e32 v12, 31, v11
	s_add_u32 s1, s1, s4
	s_addc_u32 s2, s2, s5
	v_add_co_u32 v1, s1, s1, v145
	s_delay_alu instid0(VALU_DEP_1) | instskip(SKIP_1) | instid1(VALU_DEP_3)
	v_add_co_ci_u32_e64 v2, null, s2, 0, s1
	v_mul_lo_u32 v15, v15, s0
	v_add_co_u32 v13, vcc_lo, v1, v9
	s_delay_alu instid0(VALU_DEP_3)
	v_add_co_ci_u32_e32 v14, vcc_lo, v2, v10, vcc_lo
	v_lshlrev_b64 v[16:17], 1, v[7:8]
	ds_load_b128 v[7:10], v19 offset:128
	global_store_b128 v[13:14], v[3:6], off
	v_add_nc_u32_e32 v5, 8, v18
	v_lshlrev_b64 v[3:4], 1, v[11:12]
	v_add_co_u32 v23, vcc_lo, v1, v16
	v_ashrrev_i32_e32 v16, 31, v15
	s_delay_alu instid0(VALU_DEP_4) | instskip(SKIP_3) | instid1(VALU_DEP_3)
	v_mul_lo_u32 v25, v5, s0
	v_add_nc_u32_e32 v5, 10, v18
	v_add_co_ci_u32_e32 v24, vcc_lo, v2, v17, vcc_lo
	v_add_co_u32 v27, vcc_lo, v1, v3
	v_mul_lo_u32 v29, v5, s0
	v_add_co_ci_u32_e32 v28, vcc_lo, v2, v4, vcc_lo
	v_lshlrev_b64 v[31:32], 1, v[15:16]
	ds_load_b128 v[3:6], v19 offset:256
	ds_load_b128 v[11:14], v19 offset:384
	;; [unrolled: 1-line block ×4, first 2 shown]
	v_ashrrev_i32_e32 v26, 31, v25
	v_ashrrev_i32_e32 v30, 31, v29
	v_add_co_u32 v31, vcc_lo, v1, v31
	s_delay_alu instid0(VALU_DEP_3) | instskip(SKIP_1) | instid1(VALU_DEP_4)
	v_lshlrev_b64 v[25:26], 1, v[25:26]
	v_add_co_ci_u32_e32 v32, vcc_lo, v2, v32, vcc_lo
	v_lshlrev_b64 v[29:30], 1, v[29:30]
	s_delay_alu instid0(VALU_DEP_3) | instskip(NEXT) | instid1(VALU_DEP_4)
	v_add_co_u32 v25, vcc_lo, v1, v25
	v_add_co_ci_u32_e32 v26, vcc_lo, v2, v26, vcc_lo
	s_delay_alu instid0(VALU_DEP_3) | instskip(NEXT) | instid1(VALU_DEP_4)
	v_add_co_u32 v29, vcc_lo, v1, v29
	v_add_co_ci_u32_e32 v30, vcc_lo, v2, v30, vcc_lo
	s_waitcnt lgkmcnt(4)
	global_store_b128 v[23:24], v[7:10], off
	s_waitcnt lgkmcnt(3)
	global_store_b128 v[27:28], v[3:6], off
	;; [unrolled: 2-line block ×5, first 2 shown]
	s_and_b32 exec_lo, exec_lo, s3
	s_cbranch_execz .LBB70_2
; %bb.16:
	ds_load_b128 v[3:6], v0 offset:768
	s_add_i32 s1, s33, 12
	s_delay_alu instid0(SALU_CYCLE_1) | instskip(NEXT) | instid1(SALU_CYCLE_1)
	s_mul_i32 s0, s1, s0
	s_ashr_i32 s1, s0, 31
	s_delay_alu instid0(SALU_CYCLE_1) | instskip(NEXT) | instid1(SALU_CYCLE_1)
	s_lshl_b64 s[0:1], s[0:1], 1
	v_add_co_u32 v0, vcc_lo, v1, s0
	v_add_co_ci_u32_e32 v1, vcc_lo, s1, v2, vcc_lo
	s_waitcnt lgkmcnt(0)
	global_store_b128 v[0:1], v[3:6], off
	s_nop 0
	s_sendmsg sendmsg(MSG_DEALLOC_VGPRS)
	s_endpgm
	.section	.rodata,"a",@progbits
	.p2align	6, 0x0
	.amdhsa_kernel _Z39paged_attention_ll4mi_QKV_mfma16_kernelIDF16_DF16_LN4vllm18Fp8KVCacheDataTypeE0EDF16_Li16ELi64ELi256ELb1ELi13EL8MFMAType0EEvPKT_PKT0_S8_ifPKiSA_SA_iPKfiiiPfSD_PS3_PT2_iSC_SC_
		.amdhsa_group_segment_fixed_size 17472
		.amdhsa_private_segment_fixed_size 0
		.amdhsa_kernarg_size 400
		.amdhsa_user_sgpr_count 13
		.amdhsa_user_sgpr_dispatch_ptr 0
		.amdhsa_user_sgpr_queue_ptr 0
		.amdhsa_user_sgpr_kernarg_segment_ptr 1
		.amdhsa_user_sgpr_dispatch_id 0
		.amdhsa_user_sgpr_private_segment_size 0
		.amdhsa_wavefront_size32 1
		.amdhsa_uses_dynamic_stack 0
		.amdhsa_enable_private_segment 0
		.amdhsa_system_sgpr_workgroup_id_x 1
		.amdhsa_system_sgpr_workgroup_id_y 1
		.amdhsa_system_sgpr_workgroup_id_z 1
		.amdhsa_system_sgpr_workgroup_info 0
		.amdhsa_system_vgpr_workitem_id 0
		.amdhsa_next_free_vgpr 198
		.amdhsa_next_free_sgpr 52
		.amdhsa_reserve_vcc 1
		.amdhsa_float_round_mode_32 0
		.amdhsa_float_round_mode_16_64 0
		.amdhsa_float_denorm_mode_32 3
		.amdhsa_float_denorm_mode_16_64 3
		.amdhsa_dx10_clamp 1
		.amdhsa_ieee_mode 1
		.amdhsa_fp16_overflow 0
		.amdhsa_workgroup_processor_mode 1
		.amdhsa_memory_ordered 1
		.amdhsa_forward_progress 0
		.amdhsa_shared_vgpr_count 0
		.amdhsa_exception_fp_ieee_invalid_op 0
		.amdhsa_exception_fp_denorm_src 0
		.amdhsa_exception_fp_ieee_div_zero 0
		.amdhsa_exception_fp_ieee_overflow 0
		.amdhsa_exception_fp_ieee_underflow 0
		.amdhsa_exception_fp_ieee_inexact 0
		.amdhsa_exception_int_div_zero 0
	.end_amdhsa_kernel
	.section	.text._Z39paged_attention_ll4mi_QKV_mfma16_kernelIDF16_DF16_LN4vllm18Fp8KVCacheDataTypeE0EDF16_Li16ELi64ELi256ELb1ELi13EL8MFMAType0EEvPKT_PKT0_S8_ifPKiSA_SA_iPKfiiiPfSD_PS3_PT2_iSC_SC_,"axG",@progbits,_Z39paged_attention_ll4mi_QKV_mfma16_kernelIDF16_DF16_LN4vllm18Fp8KVCacheDataTypeE0EDF16_Li16ELi64ELi256ELb1ELi13EL8MFMAType0EEvPKT_PKT0_S8_ifPKiSA_SA_iPKfiiiPfSD_PS3_PT2_iSC_SC_,comdat
.Lfunc_end70:
	.size	_Z39paged_attention_ll4mi_QKV_mfma16_kernelIDF16_DF16_LN4vllm18Fp8KVCacheDataTypeE0EDF16_Li16ELi64ELi256ELb1ELi13EL8MFMAType0EEvPKT_PKT0_S8_ifPKiSA_SA_iPKfiiiPfSD_PS3_PT2_iSC_SC_, .Lfunc_end70-_Z39paged_attention_ll4mi_QKV_mfma16_kernelIDF16_DF16_LN4vllm18Fp8KVCacheDataTypeE0EDF16_Li16ELi64ELi256ELb1ELi13EL8MFMAType0EEvPKT_PKT0_S8_ifPKiSA_SA_iPKfiiiPfSD_PS3_PT2_iSC_SC_
                                        ; -- End function
	.section	.AMDGPU.csdata,"",@progbits
; Kernel info:
; codeLenInByte = 8068
; NumSgprs: 54
; NumVgprs: 198
; ScratchSize: 0
; MemoryBound: 0
; FloatMode: 240
; IeeeMode: 1
; LDSByteSize: 17472 bytes/workgroup (compile time only)
; SGPRBlocks: 6
; VGPRBlocks: 24
; NumSGPRsForWavesPerEU: 54
; NumVGPRsForWavesPerEU: 198
; Occupancy: 7
; WaveLimiterHint : 1
; COMPUTE_PGM_RSRC2:SCRATCH_EN: 0
; COMPUTE_PGM_RSRC2:USER_SGPR: 13
; COMPUTE_PGM_RSRC2:TRAP_HANDLER: 0
; COMPUTE_PGM_RSRC2:TGID_X_EN: 1
; COMPUTE_PGM_RSRC2:TGID_Y_EN: 1
; COMPUTE_PGM_RSRC2:TGID_Z_EN: 1
; COMPUTE_PGM_RSRC2:TIDIG_COMP_CNT: 0
	.section	.text._Z39paged_attention_ll4mi_QKV_mfma16_kernelIDF16_DF16_LN4vllm18Fp8KVCacheDataTypeE0EDF16_Li16ELi64ELi256ELb1ELi14EL8MFMAType0EEvPKT_PKT0_S8_ifPKiSA_SA_iPKfiiiPfSD_PS3_PT2_iSC_SC_,"axG",@progbits,_Z39paged_attention_ll4mi_QKV_mfma16_kernelIDF16_DF16_LN4vllm18Fp8KVCacheDataTypeE0EDF16_Li16ELi64ELi256ELb1ELi14EL8MFMAType0EEvPKT_PKT0_S8_ifPKiSA_SA_iPKfiiiPfSD_PS3_PT2_iSC_SC_,comdat
	.protected	_Z39paged_attention_ll4mi_QKV_mfma16_kernelIDF16_DF16_LN4vllm18Fp8KVCacheDataTypeE0EDF16_Li16ELi64ELi256ELb1ELi14EL8MFMAType0EEvPKT_PKT0_S8_ifPKiSA_SA_iPKfiiiPfSD_PS3_PT2_iSC_SC_ ; -- Begin function _Z39paged_attention_ll4mi_QKV_mfma16_kernelIDF16_DF16_LN4vllm18Fp8KVCacheDataTypeE0EDF16_Li16ELi64ELi256ELb1ELi14EL8MFMAType0EEvPKT_PKT0_S8_ifPKiSA_SA_iPKfiiiPfSD_PS3_PT2_iSC_SC_
	.globl	_Z39paged_attention_ll4mi_QKV_mfma16_kernelIDF16_DF16_LN4vllm18Fp8KVCacheDataTypeE0EDF16_Li16ELi64ELi256ELb1ELi14EL8MFMAType0EEvPKT_PKT0_S8_ifPKiSA_SA_iPKfiiiPfSD_PS3_PT2_iSC_SC_
	.p2align	8
	.type	_Z39paged_attention_ll4mi_QKV_mfma16_kernelIDF16_DF16_LN4vllm18Fp8KVCacheDataTypeE0EDF16_Li16ELi64ELi256ELb1ELi14EL8MFMAType0EEvPKT_PKT0_S8_ifPKiSA_SA_iPKfiiiPfSD_PS3_PT2_iSC_SC_,@function
_Z39paged_attention_ll4mi_QKV_mfma16_kernelIDF16_DF16_LN4vllm18Fp8KVCacheDataTypeE0EDF16_Li16ELi64ELi256ELb1ELi14EL8MFMAType0EEvPKT_PKT0_S8_ifPKiSA_SA_iPKfiiiPfSD_PS3_PT2_iSC_SC_: ; @_Z39paged_attention_ll4mi_QKV_mfma16_kernelIDF16_DF16_LN4vllm18Fp8KVCacheDataTypeE0EDF16_Li16ELi64ELi256ELb1ELi14EL8MFMAType0EEvPKT_PKT0_S8_ifPKiSA_SA_iPKfiiiPfSD_PS3_PT2_iSC_SC_
; %bb.0:
	s_load_b64 s[2:3], s[0:1], 0x30
	s_mov_b32 s34, s13
	s_waitcnt lgkmcnt(0)
	s_cmp_lg_u64 s[2:3], 0
	s_cselect_b32 s6, -1, 0
	s_ashr_i32 s35, s13, 31
	s_cmp_eq_u64 s[2:3], 0
	s_cbranch_scc1 .LBB71_3
; %bb.1:
	s_lshl_b64 s[4:5], s[34:35], 2
	s_delay_alu instid0(SALU_CYCLE_1) | instskip(SKIP_4) | instid1(SALU_CYCLE_1)
	s_add_u32 s4, s2, s4
	s_addc_u32 s5, s3, s5
	s_load_b64 s[4:5], s[4:5], 0x0
	s_waitcnt lgkmcnt(0)
	s_sub_i32 s4, s5, s4
	s_cmp_eq_u32 s4, 1
	s_cselect_b32 s4, -1, 0
	s_delay_alu instid0(SALU_CYCLE_1)
	s_and_not1_b32 vcc_lo, exec_lo, s4
	s_cbranch_vccz .LBB71_4
.LBB71_2:
	s_endpgm
.LBB71_3:
.LBB71_4:
	s_load_b64 s[8:9], s[0:1], 0x28
	s_lshl_b64 s[4:5], s[34:35], 2
	s_waitcnt lgkmcnt(0)
	s_add_u32 s8, s8, s4
	s_addc_u32 s9, s9, s5
	s_lshl_b32 s35, s14, 8
	s_load_b32 s30, s[8:9], 0x0
	s_waitcnt lgkmcnt(0)
	s_cmp_ge_i32 s35, s30
	s_cbranch_scc1 .LBB71_2
; %bb.5:
	s_clause 0x1
	s_load_b128 s[8:11], s[0:1], 0x8
	s_load_b64 s[12:13], s[0:1], 0x20
	s_and_not1_b32 vcc_lo, exec_lo, s6
	s_cbranch_vccnz .LBB71_7
; %bb.6:
	s_add_u32 s2, s2, s4
	s_addc_u32 s3, s3, s5
	s_load_b32 s3, s[2:3], 0x0
	s_branch .LBB71_8
.LBB71_7:
	s_mov_b32 s3, s34
.LBB71_8:
	s_load_b128 s[4:7], s[0:1], 0x48
	v_and_b32_e32 v148, 15, v0
	v_cmp_gt_u32_e32 vcc_lo, 0xe0, v0
	v_lshrrev_b32_e32 v149, 5, v0
	v_and_b32_e32 v150, 31, v0
	v_and_b32_e32 v147, 1, v0
	v_lshlrev_b32_e32 v1, 3, v148
	v_cmp_gt_u32_e64 s2, 8, v148
	v_bfe_u32 v146, v0, 4, 1
	s_mul_i32 s31, s15, 14
	s_delay_alu instid0(VALU_DEP_3) | instskip(NEXT) | instid1(VALU_DEP_3)
	v_lshlrev_b32_e32 v145, 1, v1
	s_and_b32 s16, vcc_lo, s2
	s_waitcnt lgkmcnt(0)
	s_and_saveexec_b32 s7, s16
	s_cbranch_execz .LBB71_10
; %bb.9:
	s_load_b64 s[16:17], s[0:1], 0x0
	v_lshl_or_b32 v5, v149, 1, v146
	s_mul_hi_i32 s19, s3, s4
	s_mul_i32 s18, s3, s4
	v_lshlrev_b32_e32 v6, 10, v148
	s_lshl_b64 s[18:19], s[18:19], 1
	v_add_lshl_u32 v1, v5, s31, 6
	v_lshlrev_b32_e32 v5, 6, v5
	v_lshlrev_b32_e32 v7, 10, v147
	v_and_b32_e32 v6, 0x3800, v6
	s_delay_alu instid0(VALU_DEP_4) | instskip(NEXT) | instid1(VALU_DEP_2)
	v_ashrrev_i32_e32 v2, 31, v1
	v_or3_b32 v5, v6, v7, v5
	s_delay_alu instid0(VALU_DEP_2) | instskip(SKIP_3) | instid1(VALU_DEP_1)
	v_lshlrev_b64 v[1:2], 1, v[1:2]
	s_waitcnt lgkmcnt(0)
	s_add_u32 s3, s16, s18
	s_addc_u32 s4, s17, s19
	v_add_co_u32 v1, vcc_lo, s3, v1
	s_delay_alu instid0(VALU_DEP_2) | instskip(NEXT) | instid1(VALU_DEP_2)
	v_add_co_ci_u32_e32 v2, vcc_lo, s4, v2, vcc_lo
	v_add_co_u32 v1, vcc_lo, v1, v145
	s_delay_alu instid0(VALU_DEP_2)
	v_add_co_ci_u32_e32 v2, vcc_lo, 0, v2, vcc_lo
	global_load_b128 v[1:4], v[1:2], off
	s_waitcnt vmcnt(0)
	ds_store_b128 v5, v[1:4]
.LBB71_10:
	s_or_b32 exec_lo, exec_lo, s7
	s_mov_b32 s40, 0
	s_add_i32 s3, s30, 15
	s_mov_b32 s41, s40
	s_mov_b32 s42, s40
	;; [unrolled: 1-line block ×7, first 2 shown]
	s_delay_alu instid0(SALU_CYCLE_1)
	v_dual_mov_b32 v144, s47 :: v_dual_and_b32 v1, 0xef, v0
	v_mov_b32_e32 v142, s45
	s_ashr_i32 s7, s3, 31
	s_clause 0x1
	s_load_b32 s4, s[0:1], 0x38
	s_load_b32 s33, s[0:1], 0x98
	v_add_nc_u32_e32 v1, s35, v1
	s_lshr_b32 s7, s7, 28
	s_load_b32 s36, s[0:1], 0x1c
	s_add_i32 s3, s3, s7
	s_waitcnt lgkmcnt(0)
	v_ashrrev_i32_e32 v2, 31, v1
	v_or_b32_e32 v3, 16, v1
	s_ashr_i32 s3, s3, 4
	v_cmp_gt_i32_e32 vcc_lo, s30, v1
	s_add_i32 s3, s3, -1
	v_lshrrev_b32_e32 v2, 28, v2
	v_mov_b32_e32 v143, s46
	s_barrier
	buffer_gl0_inv
	s_mul_i32 s6, s15, s6
	v_dual_mov_b32 v141, s44 :: v_dual_add_nc_u32 v4, v1, v2
	v_mov_b32_e32 v139, s42
	s_mul_i32 s16, s34, s4
	v_mov_b32_e32 v137, s40
	s_delay_alu instid0(VALU_DEP_3)
	v_ashrrev_i32_e32 v4, 4, v4
	v_add_nc_u32_e32 v2, v3, v2
	s_ashr_i32 s17, s16, 31
	v_mov_b32_e32 v140, s43
	s_lshl_b64 s[16:17], s[16:17], 2
	v_cndmask_b32_e32 v1, s3, v4, vcc_lo
	v_ashrrev_i32_e32 v2, 4, v2
	v_cmp_gt_i32_e32 vcc_lo, s30, v3
	s_add_u32 s4, s12, s16
	s_addc_u32 s37, s13, s17
	s_ashr_i32 s7, s6, 31
	v_mov_b32_e32 v138, s41
	v_cndmask_b32_e32 v3, s3, v2, vcc_lo
	v_ashrrev_i32_e32 v2, 31, v1
	s_lshl_b64 s[6:7], s[6:7], 1
	s_delay_alu instid0(SALU_CYCLE_1) | instskip(NEXT) | instid1(VALU_DEP_2)
	s_add_u32 s24, s8, s6
	v_ashrrev_i32_e32 v4, 31, v3
	s_delay_alu instid0(VALU_DEP_2) | instskip(SKIP_2) | instid1(VALU_DEP_2)
	v_lshlrev_b64 v[1:2], 2, v[1:2]
	s_addc_u32 s25, s9, s7
	s_lshl_b32 s8, s14, 4
	v_lshlrev_b64 v[3:4], 2, v[3:4]
	s_ashr_i32 s9, s8, 31
	s_delay_alu instid0(VALU_DEP_2) | instskip(SKIP_1) | instid1(VALU_DEP_3)
	v_add_co_u32 v1, vcc_lo, s4, v1
	v_add_co_ci_u32_e32 v2, vcc_lo, s37, v2, vcc_lo
	v_add_co_u32 v3, vcc_lo, s4, v3
	s_delay_alu instid0(VALU_DEP_4)
	v_add_co_ci_u32_e32 v4, vcc_lo, s37, v4, vcc_lo
	s_clause 0x1
	global_load_b32 v5, v[1:2], off
	global_load_b32 v6, v[3:4], off
	s_lshl_b64 s[8:9], s[8:9], 2
	v_lshlrev_b32_e32 v3, 4, v0
	s_add_u32 s8, s4, s8
	s_addc_u32 s9, s37, s9
	s_or_b32 s12, s35, 16
	s_delay_alu instid0(SALU_CYCLE_1) | instskip(SKIP_2) | instid1(SALU_CYCLE_1)
	s_ashr_i32 s13, s12, 4
	s_cmp_lt_i32 s12, s30
	s_cselect_b32 s12, s13, s3
	s_ashr_i32 s13, s12, 31
	s_delay_alu instid0(SALU_CYCLE_1) | instskip(NEXT) | instid1(SALU_CYCLE_1)
	s_lshl_b64 s[12:13], s[12:13], 2
	s_add_u32 s12, s4, s12
	s_addc_u32 s13, s37, s13
	s_or_b32 s15, s35, 32
	s_delay_alu instid0(SALU_CYCLE_1) | instskip(SKIP_2) | instid1(SALU_CYCLE_1)
	s_ashr_i32 s16, s15, 4
	s_cmp_lt_i32 s15, s30
	s_cselect_b32 s16, s16, s3
	s_ashr_i32 s17, s16, 31
	s_delay_alu instid0(SALU_CYCLE_1) | instskip(NEXT) | instid1(SALU_CYCLE_1)
	s_lshl_b64 s[16:17], s[16:17], 2
	;; [unrolled: 10-line block ×5, first 2 shown]
	s_add_u32 s22, s4, s22
	s_addc_u32 s23, s37, s23
	s_clause 0x5
	s_load_b32 s8, s[8:9], 0x0
	s_load_b32 s12, s[12:13], 0x0
	;; [unrolled: 1-line block ×6, first 2 shown]
	s_waitcnt lgkmcnt(0)
	s_mul_hi_i32 s17, s16, s5
	s_mul_i32 s16, s16, s5
	s_waitcnt vmcnt(1)
	v_mad_i64_i32 v[1:2], null, v5, s5, 0
	v_and_b32_e32 v5, 0xf0, v3
	s_waitcnt vmcnt(0)
	v_mad_i64_i32 v[3:4], null, v6, s5, 0
	s_delay_alu instid0(VALU_DEP_2) | instskip(NEXT) | instid1(VALU_DEP_4)
	v_add_co_u32 v7, s9, s24, v5
	v_lshlrev_b64 v[1:2], 1, v[1:2]
	v_add_co_ci_u32_e64 v8, null, s25, 0, s9
	s_delay_alu instid0(VALU_DEP_4) | instskip(SKIP_1) | instid1(VALU_DEP_3)
	v_lshlrev_b64 v[5:6], 1, v[3:4]
	s_or_b32 s9, s35, 0x60
	v_add_co_u32 v3, vcc_lo, v7, v1
	s_delay_alu instid0(VALU_DEP_3) | instskip(NEXT) | instid1(VALU_DEP_3)
	v_add_co_ci_u32_e32 v4, vcc_lo, v8, v2, vcc_lo
	v_add_co_u32 v1, vcc_lo, v7, v5
	s_delay_alu instid0(VALU_DEP_4)
	v_add_co_ci_u32_e32 v2, vcc_lo, v8, v6, vcc_lo
	s_clause 0x9
	global_load_b128 v[9:12], v[3:4], off
	global_load_b128 v[13:16], v[3:4], off offset:256
	global_load_b128 v[129:132], v[1:2], off
	global_load_b128 v[133:136], v[1:2], off offset:256
	global_load_b128 v[41:44], v[3:4], off offset:512
	;; [unrolled: 1-line block ×7, first 2 shown]
	v_add_nc_u32_e32 v5, -14, v148
	v_cmp_gt_u32_e32 vcc_lo, 14, v148
	s_clause 0x1
	global_load_b128 v[151:154], v[1:2], off offset:1024
	global_load_b128 v[155:158], v[1:2], off offset:1280
	s_ashr_i32 s13, s9, 4
	s_cmp_lt_i32 s9, s30
	v_lshlrev_b32_e32 v6, 5, v148
	v_cndmask_b32_e32 v5, v5, v148, vcc_lo
	s_cselect_b32 s22, s13, s3
	s_delay_alu instid0(SALU_CYCLE_1) | instskip(NEXT) | instid1(VALU_DEP_2)
	s_ashr_i32 s23, s22, 31
	v_lshl_or_b32 v6, v149, 9, v6
	s_delay_alu instid0(VALU_DEP_2)
	v_lshlrev_b32_e32 v197, 6, v5
	ds_load_b128 v[159:162], v197
	ds_load_b128 v[163:166], v197 offset:1024
	s_clause 0x3
	global_load_b128 v[167:170], v[3:4], off offset:1536
	global_load_b128 v[171:174], v[3:4], off offset:1792
	global_load_b128 v[175:178], v[1:2], off offset:1536
	global_load_b128 v[179:182], v[1:2], off offset:1792
	s_lshl_b64 s[22:23], s[22:23], 2
	s_delay_alu instid0(SALU_CYCLE_1)
	s_add_u32 s22, s4, s22
	s_addc_u32 s23, s37, s23
	s_or_b32 s9, s35, 0x70
	s_load_b32 s46, s[22:23], 0x0
	s_ashr_i32 s13, s9, 4
	s_cmp_lt_i32 s9, s30
	s_cselect_b32 s24, s13, s3
	s_delay_alu instid0(SALU_CYCLE_1) | instskip(NEXT) | instid1(SALU_CYCLE_1)
	s_ashr_i32 s25, s24, 31
	s_lshl_b64 s[24:25], s[24:25], 2
	s_delay_alu instid0(SALU_CYCLE_1)
	s_add_u32 s24, s4, s24
	s_addc_u32 s25, s37, s25
	s_or_b32 s9, s35, 0x80
	s_load_b32 s47, s[24:25], 0x0
	s_ashr_i32 s13, s9, 4
	s_cmp_lt_i32 s9, s30
	s_cselect_b32 s26, s13, s3
	s_delay_alu instid0(SALU_CYCLE_1) | instskip(NEXT) | instid1(SALU_CYCLE_1)
	s_ashr_i32 s27, s26, 31
	;; [unrolled: 11-line block ×3, first 2 shown]
	s_lshl_b64 s[28:29], s[28:29], 2
	s_delay_alu instid0(SALU_CYCLE_1) | instskip(SKIP_2) | instid1(SALU_CYCLE_1)
	s_add_u32 s28, s4, s28
	s_addc_u32 s29, s37, s29
	s_or_b32 s9, s35, 0xa0
	s_ashr_i32 s13, s9, 4
	s_cmp_lt_i32 s9, s30
	s_cselect_b32 s38, s13, s3
	s_delay_alu instid0(SALU_CYCLE_1) | instskip(NEXT) | instid1(SALU_CYCLE_1)
	s_ashr_i32 s39, s38, 31
	s_lshl_b64 s[38:39], s[38:39], 2
	s_delay_alu instid0(SALU_CYCLE_1) | instskip(SKIP_2) | instid1(SALU_CYCLE_1)
	s_add_u32 s38, s4, s38
	s_addc_u32 s39, s37, s39
	s_or_b32 s9, s35, 0xb0
	s_ashr_i32 s13, s9, 4
	s_cmp_lt_i32 s9, s30
	s_mul_hi_i32 s9, s8, s5
	s_cselect_b32 s40, s13, s3
	s_mul_i32 s8, s8, s5
	s_ashr_i32 s41, s40, 31
	s_mul_hi_i32 s13, s12, s5
	s_lshl_b64 s[40:41], s[40:41], 2
	s_mul_i32 s12, s12, s5
	s_add_u32 s42, s4, s40
	s_addc_u32 s43, s37, s41
	s_or_b32 s19, s35, 0xc0
	s_delay_alu instid0(SALU_CYCLE_1)
	s_ashr_i32 s21, s19, 4
	s_cmp_lt_i32 s19, s30
	s_mul_hi_i32 s19, s18, s5
	s_cselect_b32 s40, s21, s3
	s_mul_i32 s18, s18, s5
	s_ashr_i32 s41, s40, 31
	s_mul_hi_i32 s21, s20, s5
	s_lshl_b64 s[40:41], s[40:41], 2
	s_mul_i32 s20, s20, s5
	s_add_u32 s44, s4, s40
	s_addc_u32 s45, s37, s41
	s_load_b32 s41, s[28:29], 0x0
	s_or_b32 s40, s35, 0xd0
	s_mul_hi_i32 s23, s15, s5
	s_ashr_i32 s22, s40, 4
	s_cmp_lt_i32 s40, s30
	s_load_b32 s40, s[38:39], 0x0
	s_cselect_b32 s24, s22, s3
	s_mul_i32 s22, s15, s5
	s_ashr_i32 s25, s24, 31
	s_waitcnt lgkmcnt(0)
	s_mul_hi_i32 s29, s48, s5
	s_lshl_b64 s[24:25], s[24:25], 2
	s_mul_i32 s28, s48, s5
	s_add_u32 s24, s4, s24
	s_addc_u32 s25, s37, s25
	s_or_b32 s49, s35, 0xe0
	s_clause 0x2
	s_load_b32 s39, s[42:43], 0x0
	s_load_b32 s38, s[44:45], 0x0
	;; [unrolled: 1-line block ×3, first 2 shown]
	s_ashr_i32 s50, s49, 4
	s_cmp_lt_i32 s49, s30
	s_mul_hi_i32 s25, s46, s5
	s_cselect_b32 s44, s50, s3
	s_mul_i32 s24, s46, s5
	s_ashr_i32 s45, s44, 31
	s_mul_hi_i32 s27, s47, s5
	s_lshl_b64 s[44:45], s[44:45], 2
	s_mul_i32 s26, s47, s5
	s_add_u32 s44, s4, s44
	s_addc_u32 s45, s37, s45
	s_or_b32 s46, s35, 0xf0
	s_mul_hi_i32 s43, s41, s5
	s_ashr_i32 s48, s46, 4
	s_cmp_lt_i32 s46, s30
	s_mul_i32 s42, s41, s5
	s_cselect_b32 s48, s48, s3
	s_mul_hi_i32 s41, s40, s5
	s_ashr_i32 s49, s48, 31
	s_mul_i32 s40, s40, s5
	s_lshl_b64 s[48:49], s[48:49], 2
	s_waitcnt lgkmcnt(0)
	s_mul_hi_i32 s47, s39, s5
	s_add_u32 s48, s4, s48
	s_addc_u32 s49, s37, s49
	s_add_u32 s3, s10, s6
	s_addc_u32 s4, s11, s7
	v_add_co_u32 v195, s3, s3, v6
	s_delay_alu instid0(VALU_DEP_1) | instskip(SKIP_2) | instid1(VALU_DEP_2)
	v_add_co_ci_u32_e64 v196, null, s4, 0, s3
	s_lshl_b64 s[6:7], s[8:9], 1
	s_lshl_b64 s[8:9], s[12:13], 1
	v_add_co_u32 v1, vcc_lo, v195, s6
	s_delay_alu instid0(VALU_DEP_2)
	v_add_co_ci_u32_e32 v2, vcc_lo, s7, v196, vcc_lo
	v_add_co_u32 v3, vcc_lo, v195, s8
	s_lshl_b64 s[10:11], s[16:17], 1
	v_add_co_ci_u32_e32 v4, vcc_lo, s9, v196, vcc_lo
	v_add_co_u32 v5, vcc_lo, v195, s10
	s_lshl_b64 s[12:13], s[18:19], 1
	;; [unrolled: 3-line block ×9, first 2 shown]
	s_mul_i32 s46, s39, s5
	v_add_co_ci_u32_e32 v54, vcc_lo, s27, v196, vcc_lo
	v_add_co_u32 v183, vcc_lo, v195, s28
	s_lshl_b64 s[40:41], s[46:47], 1
	s_mul_hi_i32 s39, s38, s5
	s_mul_i32 s38, s38, s5
	v_add_co_ci_u32_e32 v184, vcc_lo, s29, v196, vcc_lo
	v_add_co_u32 v185, vcc_lo, v195, s40
	s_lshl_b64 s[38:39], s[38:39], 1
	s_clause 0x1
	s_load_b32 s3, s[44:45], 0x0
	s_load_b32 s4, s[48:49], 0x0
	v_add_co_ci_u32_e32 v186, vcc_lo, s41, v196, vcc_lo
	v_add_co_u32 v191, vcc_lo, v195, s38
	v_add_co_ci_u32_e32 v192, vcc_lo, s39, v196, vcc_lo
	s_clause 0x17
	global_load_b128 v[121:124], v[1:2], off
	global_load_b128 v[125:128], v[1:2], off offset:16
	global_load_b128 v[113:116], v[3:4], off
	global_load_b128 v[117:120], v[3:4], off offset:16
	;; [unrolled: 2-line block ×12, first 2 shown]
	s_mul_hi_i32 s51, s15, s5
	s_mul_i32 s50, s15, s5
	s_delay_alu instid0(SALU_CYCLE_1) | instskip(NEXT) | instid1(SALU_CYCLE_1)
	s_lshl_b64 s[42:43], s[50:51], 1
	v_add_co_u32 v193, vcc_lo, v195, s42
	v_add_co_ci_u32_e32 v194, vcc_lo, s43, v196, vcc_lo
	s_waitcnt lgkmcnt(0)
	s_mul_hi_i32 s7, s3, s5
	s_mul_i32 s6, s3, s5
	s_mul_hi_i32 s9, s4, s5
	s_lshl_b64 s[6:7], s[6:7], 1
	s_mul_i32 s8, s4, s5
	s_delay_alu instid0(SALU_CYCLE_1)
	s_lshl_b64 s[4:5], s[8:9], 1
	s_waitcnt vmcnt(38)
	v_wmma_f32_16x16x16_f16 v[183:190], v[9:16], v[159:166], v[137:144]
	s_waitcnt vmcnt(36)
	v_wmma_f32_16x16x16_f16 v[137:144], v[129:136], v[159:166], v[137:144]
	s_clause 0x1
	global_load_b128 v[9:12], v[191:192], off
	global_load_b128 v[13:16], v[191:192], off offset:16
	ds_load_b128 v[129:132], v197 offset:2048
	ds_load_b128 v[133:136], v197 offset:3072
	;; [unrolled: 1-line block ×4, first 2 shown]
	v_add_co_u32 v191, vcc_lo, v195, s6
	v_add_co_ci_u32_e32 v192, vcc_lo, s7, v196, vcc_lo
	v_add_co_u32 v195, vcc_lo, v195, s4
	v_add_co_ci_u32_e32 v196, vcc_lo, s5, v196, vcc_lo
	s_waitcnt vmcnt(36) lgkmcnt(2)
	v_wmma_f32_16x16x16_f16 v[183:190], v[41:48], v[129:136], v[183:190]
	s_waitcnt vmcnt(34)
	v_wmma_f32_16x16x16_f16 v[137:144], v[33:40], v[129:136], v[137:144]
	s_clause 0x3
	global_load_b128 v[33:36], v[193:194], off
	global_load_b128 v[37:40], v[193:194], off offset:16
	global_load_b128 v[41:44], v[191:192], off
	global_load_b128 v[45:48], v[191:192], off offset:16
	v_and_b32_e32 v129, 0xe0, v0
	v_mbcnt_lo_u32_b32 v191, -1, 0
	s_waitcnt vmcnt(36) lgkmcnt(0)
	v_wmma_f32_16x16x16_f16 v[183:190], v[17:24], v[159:166], v[183:190]
	s_clause 0x1
	global_load_b128 v[17:20], v[195:196], off
	global_load_b128 v[21:24], v[195:196], off offset:16
	s_waitcnt vmcnt(36)
	v_wmma_f32_16x16x16_f16 v[137:144], v[151:158], v[159:166], v[137:144]
	v_add_nc_u32_e32 v192, s35, v129
	ds_load_b128 v[129:132], v197 offset:6144
	ds_load_b128 v[133:136], v197 offset:7168
	v_xor_b32_e32 v151, 16, v191
	s_waitcnt vmcnt(0) lgkmcnt(0)
	s_barrier
	v_or_b32_e32 v152, v192, v146
	buffer_gl0_inv
	v_cmp_gt_i32_e32 vcc_lo, 32, v151
	v_or_b32_e32 v153, 2, v152
	v_or_b32_e32 v154, 4, v152
	;; [unrolled: 1-line block ×5, first 2 shown]
	v_cmp_gt_i32_e64 s3, s30, v153
	v_cmp_gt_i32_e64 s4, s30, v154
	;; [unrolled: 1-line block ×3, first 2 shown]
	v_or_b32_e32 v158, 12, v152
	v_or_b32_e32 v159, 14, v152
	v_cmp_gt_i32_e64 s6, s30, v156
	v_wmma_f32_16x16x16_f16 v[183:190], v[167:174], v[129:136], v[183:190]
	v_wmma_f32_16x16x16_f16 v[137:144], v[175:182], v[129:136], v[137:144]
	v_cndmask_b32_e32 v151, v191, v151, vcc_lo
	v_cmp_gt_i32_e32 vcc_lo, s30, v152
	v_cmp_gt_i32_e64 s7, s30, v157
	v_dual_mul_f32 v135, s36, v184 :: v_dual_mul_f32 v136, s36, v183
	v_dual_mul_f32 v133, s36, v186 :: v_dual_mul_f32 v134, s36, v185
	;; [unrolled: 1-line block ×3, first 2 shown]
	s_delay_alu instid0(VALU_DEP_3) | instskip(NEXT) | instid1(VALU_DEP_4)
	v_cndmask_b32_e32 v136, 0xff7fffff, v136, vcc_lo
	v_cndmask_b32_e64 v135, 0xff7fffff, v135, s3
	v_mul_f32_e32 v132, s36, v187
	v_cndmask_b32_e64 v134, 0xff7fffff, v134, s4
	v_cndmask_b32_e64 v133, 0xff7fffff, v133, s5
	v_or_b32_e32 v160, 16, v152
	v_max3_f32 v135, v136, 0xff7fffff, v135
	v_or_b32_e32 v161, 18, v152
	v_mul_f32_e32 v130, s36, v189
	v_dual_mul_f32 v172, s36, v140 :: v_dual_mul_f32 v129, s36, v190
	v_cndmask_b32_e64 v132, 0xff7fffff, v132, s6
	v_cndmask_b32_e64 v131, 0xff7fffff, v131, s7
	v_max3_f32 v133, v135, v134, v133
	v_cmp_gt_i32_e64 s8, s30, v158
	v_cmp_gt_i32_e64 s9, s30, v159
	v_or_b32_e32 v162, 20, v152
	v_or_b32_e32 v163, 22, v152
	v_mul_f32_e32 v175, s36, v137
	v_cndmask_b32_e64 v130, 0xff7fffff, v130, s8
	v_cndmask_b32_e64 v129, 0xff7fffff, v129, s9
	v_max3_f32 v131, v133, v132, v131
	v_cmp_gt_i32_e64 s10, s30, v160
	v_cmp_gt_i32_e64 s11, s30, v161
	v_or_b32_e32 v164, 24, v152
	v_or_b32_e32 v165, 26, v152
	v_mul_f32_e32 v173, s36, v139
	v_cndmask_b32_e64 v132, 0xff7fffff, v175, s10
	v_cndmask_b32_e64 v133, 0xff7fffff, v174, s11
	v_max3_f32 v129, v131, v130, v129
	v_cmp_gt_i32_e64 s12, s30, v162
	v_cmp_gt_i32_e64 s13, s30, v163
	v_or_b32_e32 v166, 28, v152
	v_or_b32_e32 v167, 30, v152
	v_dual_mul_f32 v170, s36, v142 :: v_dual_mul_f32 v171, s36, v141
	v_cndmask_b32_e64 v130, 0xff7fffff, v173, s12
	v_cndmask_b32_e64 v131, 0xff7fffff, v172, s13
	v_max3_f32 v129, v129, v132, v133
	v_cmp_gt_i32_e64 s15, s30, v164
	v_cmp_gt_i32_e64 s16, s30, v165
	v_dual_mul_f32 v168, s36, v144 :: v_dual_mul_f32 v169, s36, v143
	s_delay_alu instid0(VALU_DEP_4) | instskip(NEXT) | instid1(VALU_DEP_4)
	v_max3_f32 v129, v129, v130, v131
	v_cndmask_b32_e64 v132, 0xff7fffff, v171, s15
	s_delay_alu instid0(VALU_DEP_4) | instskip(SKIP_2) | instid1(VALU_DEP_3)
	v_cndmask_b32_e64 v133, 0xff7fffff, v170, s16
	v_cmp_gt_i32_e64 s17, s30, v166
	v_cmp_gt_i32_e64 s18, s30, v167
	v_max3_f32 v129, v129, v132, v133
	s_delay_alu instid0(VALU_DEP_3) | instskip(NEXT) | instid1(VALU_DEP_3)
	v_cndmask_b32_e64 v130, 0xff7fffff, v169, s17
	v_cndmask_b32_e64 v131, 0xff7fffff, v168, s18
	v_lshlrev_b32_e32 v132, 2, v151
	s_delay_alu instid0(VALU_DEP_2) | instskip(SKIP_3) | instid1(VALU_DEP_1)
	v_max3_f32 v129, v129, v130, v131
	ds_bpermute_b32 v130, v132, v129
	s_waitcnt lgkmcnt(0)
	v_max_f32_e32 v130, v130, v130
	v_max_f32_e32 v129, v129, v130
	s_delay_alu instid0(VALU_DEP_1) | instskip(SKIP_4) | instid1(VALU_DEP_4)
	v_fma_f32 v134, s36, v186, -v129
	v_fma_f32 v135, s36, v187, -v129
	;; [unrolled: 1-line block ×5, first 2 shown]
	v_dual_mul_f32 v134, 0x3fb8aa3b, v134 :: v_dual_mul_f32 v135, 0x3fb8aa3b, v135
	s_delay_alu instid0(VALU_DEP_4) | instskip(SKIP_1) | instid1(VALU_DEP_3)
	v_mul_f32_e32 v130, 0x3fb8aa3b, v130
	v_fma_f32 v136, s36, v189, -v129
	v_exp_f32_e32 v134, v134
	s_delay_alu instid0(VALU_DEP_3) | instskip(NEXT) | instid1(VALU_DEP_2)
	v_exp_f32_e32 v135, v135
	v_exp_f32_e32 v130, v130
	s_delay_alu instid0(VALU_DEP_1) | instskip(NEXT) | instid1(VALU_DEP_1)
	v_mul_f32_e32 v136, 0x3fb8aa3b, v136
	v_exp_f32_e32 v136, v136
	v_cndmask_b32_e64 v153, 0, v134, s5
	v_fma_f32 v134, s36, v137, -v129
	v_mul_f32_e32 v131, 0x3fb8aa3b, v131
	s_delay_alu instid0(TRANS32_DEP_3) | instskip(NEXT) | instid1(TRANS32_DEP_2)
	v_cndmask_b32_e64 v155, 0, v135, s6
	v_dual_mul_f32 v133, 0x3fb8aa3b, v133 :: v_dual_cndmask_b32 v152, 0, v130
	s_delay_alu instid0(VALU_DEP_4) | instskip(NEXT) | instid1(VALU_DEP_4)
	v_mul_f32_e32 v134, 0x3fb8aa3b, v134
	v_exp_f32_e32 v131, v131
	v_fma_f32 v135, s36, v138, -v129
	s_delay_alu instid0(VALU_DEP_3)
	v_exp_f32_e32 v133, v133
	v_fma_f32 v130, s36, v188, -v129
	v_cndmask_b32_e64 v156, 0, v136, s8
	v_fma_f32 v136, s36, v140, -v129
	v_mul_f32_e32 v135, 0x3fb8aa3b, v135
	v_exp_f32_e32 v134, v134
	v_mul_f32_e32 v130, 0x3fb8aa3b, v130
	s_delay_alu instid0(TRANS32_DEP_3) | instskip(SKIP_1) | instid1(TRANS32_DEP_2)
	v_cndmask_b32_e64 v151, 0, v131, s3
	v_add_f32_e32 v131, 0, v152
	v_cndmask_b32_e64 v154, 0, v133, s4
	v_exp_f32_e32 v135, v135
	v_fma_f32 v133, s36, v190, -v129
	v_exp_f32_e32 v130, v130
	v_dual_add_f32 v131, v131, v151 :: v_dual_mul_f32 v136, 0x3fb8aa3b, v136
	s_mov_b32 s3, exec_lo
	s_delay_alu instid0(VALU_DEP_2) | instskip(NEXT) | instid1(VALU_DEP_2)
	v_mul_f32_e32 v133, 0x3fb8aa3b, v133
	v_add_f32_e32 v131, v131, v154
	s_delay_alu instid0(VALU_DEP_3) | instskip(NEXT) | instid1(TRANS32_DEP_3)
	v_exp_f32_e32 v136, v136
	v_cndmask_b32_e64 v140, 0, v135, s11
	s_delay_alu instid0(VALU_DEP_3) | instskip(NEXT) | instid1(TRANS32_DEP_3)
	v_exp_f32_e32 v133, v133
	v_cndmask_b32_e64 v138, 0, v130, s7
	v_add_f32_e32 v131, v131, v153
	v_fma_f32 v135, s36, v143, -v129
	s_delay_alu instid0(VALU_DEP_2)
	v_add_f32_e32 v130, v131, v155
	v_fma_f32 v131, s36, v139, -v129
	s_waitcnt_depctr 0xfff
	v_cndmask_b32_e64 v139, 0, v133, s9
	v_fma_f32 v133, s36, v141, -v129
	v_add_f32_e32 v130, v130, v138
	v_cndmask_b32_e64 v141, 0, v134, s10
	v_fma_f32 v134, s36, v142, -v129
	v_cndmask_b32_e64 v142, 0, v136, s13
	s_delay_alu instid0(VALU_DEP_4) | instskip(NEXT) | instid1(VALU_DEP_3)
	v_dual_mul_f32 v131, 0x3fb8aa3b, v131 :: v_dual_add_f32 v130, v130, v156
	v_mul_f32_e32 v134, 0x3fb8aa3b, v134
	s_delay_alu instid0(VALU_DEP_2) | instskip(NEXT) | instid1(VALU_DEP_2)
	v_exp_f32_e32 v131, v131
	v_add_f32_e32 v130, v130, v139
	s_delay_alu instid0(VALU_DEP_2) | instskip(NEXT) | instid1(VALU_DEP_1)
	v_exp_f32_e32 v134, v134
	v_add_f32_e32 v130, v130, v141
	s_waitcnt_depctr 0xfff
	v_cndmask_b32_e64 v143, 0, v131, s12
	v_dual_add_f32 v130, v130, v140 :: v_dual_mul_f32 v133, 0x3fb8aa3b, v133
	s_delay_alu instid0(VALU_DEP_1) | instskip(NEXT) | instid1(VALU_DEP_2)
	v_add_f32_e32 v130, v130, v143
	v_exp_f32_e32 v133, v133
	s_delay_alu instid0(VALU_DEP_1)
	v_add_f32_e32 v130, v130, v142
	s_waitcnt_depctr 0xfff
	v_cndmask_b32_e64 v157, 0, v133, s15
	v_mul_f32_e32 v131, 0x3fb8aa3b, v135
	v_fma_f32 v135, s36, v144, -v129
	v_cndmask_b32_e64 v144, 0, v134, s16
	s_delay_alu instid0(VALU_DEP_4) | instskip(NEXT) | instid1(VALU_DEP_4)
	v_add_f32_e32 v130, v130, v157
	v_exp_f32_e32 v131, v131
	s_delay_alu instid0(VALU_DEP_1) | instskip(NEXT) | instid1(VALU_DEP_1)
	v_dual_mul_f32 v133, 0x3fb8aa3b, v135 :: v_dual_add_f32 v130, v130, v144
	v_exp_f32_e32 v133, v133
	s_waitcnt_depctr 0xfff
	v_cndmask_b32_e64 v159, 0, v131, s17
	s_delay_alu instid0(VALU_DEP_1) | instskip(SKIP_1) | instid1(VALU_DEP_1)
	v_add_f32_e32 v130, v130, v159
	v_cndmask_b32_e64 v158, 0, v133, s18
	v_add_f32_e32 v130, v130, v158
	ds_bpermute_b32 v131, v132, v130
	v_cmpx_gt_u32_e32 16, v150
	s_cbranch_execz .LBB71_12
; %bb.11:
	v_mul_u32_u24_e32 v132, 0x44, v149
	s_delay_alu instid0(VALU_DEP_1) | instskip(SKIP_1) | instid1(VALU_DEP_1)
	v_lshl_add_u32 v132, v148, 2, v132
	s_waitcnt lgkmcnt(0)
	v_dual_add_f32 v130, v130, v131 :: v_dual_add_nc_u32 v131, 0x4000, v132
	ds_store_2addr_b32 v131, v129, v130 offset1:136
.LBB71_12:
	s_or_b32 exec_lo, exec_lo, s3
	v_lshlrev_b32_e32 v129, 2, v148
	s_load_b32 s35, s[0:1], 0x94
	s_waitcnt lgkmcnt(0)
	s_barrier
	buffer_gl0_inv
	v_add_nc_u32_e32 v135, 0x4000, v129
	v_cmp_eq_u32_e32 vcc_lo, 1, v149
	v_cmp_eq_u32_e64 s3, 2, v149
	v_cmp_eq_u32_e64 s4, 3, v149
	;; [unrolled: 1-line block ×3, first 2 shown]
	ds_load_2addr_b32 v[129:130], v135 offset1:17
	ds_load_2addr_b32 v[131:132], v135 offset0:34 offset1:51
	ds_load_2addr_b32 v[133:134], v135 offset0:68 offset1:85
	;; [unrolled: 1-line block ×3, first 2 shown]
	v_cmp_eq_u32_e64 s6, 5, v149
	v_cmp_eq_u32_e64 s7, 7, v149
	s_waitcnt lgkmcnt(3)
	v_max3_f32 v136, v129, 0xff7fffff, v130
	s_waitcnt lgkmcnt(2)
	s_delay_alu instid0(VALU_DEP_1) | instskip(SKIP_1) | instid1(VALU_DEP_1)
	v_max3_f32 v136, v136, v131, v132
	s_waitcnt lgkmcnt(1)
	v_max3_f32 v136, v136, v133, v134
	s_waitcnt lgkmcnt(0)
	s_delay_alu instid0(VALU_DEP_1) | instskip(NEXT) | instid1(VALU_DEP_1)
	v_max3_f32 v136, v136, v160, v161
	v_sub_f32_e32 v164, v132, v136
	ds_load_2addr_b32 v[162:163], v135 offset0:136 offset1:153
	v_sub_f32_e32 v129, v129, v136
	v_sub_f32_e32 v137, v130, v136
	;; [unrolled: 1-line block ×3, first 2 shown]
	v_mul_f32_e32 v164, 0x3fb8aa3b, v164
	s_delay_alu instid0(VALU_DEP_4) | instskip(NEXT) | instid1(VALU_DEP_4)
	v_mul_f32_e32 v150, 0x3fb8aa3b, v129
	v_mul_f32_e32 v137, 0x3fb8aa3b, v137
	ds_load_2addr_b32 v[129:130], v135 offset0:170 offset1:187
	v_mul_f32_e32 v167, 0x3fb8aa3b, v133
	v_exp_f32_e32 v164, v164
	v_exp_f32_e32 v150, v150
	;; [unrolled: 1-line block ×3, first 2 shown]
	v_sub_f32_e32 v131, v131, v136
	s_delay_alu instid0(VALU_DEP_1)
	v_mul_f32_e32 v165, 0x3fb8aa3b, v131
	ds_load_2addr_b32 v[131:132], v135 offset0:204 offset1:221
	s_waitcnt lgkmcnt(2)
	v_fma_f32 v137, v150, v162, 0
	v_sub_f32_e32 v162, v134, v136
	v_exp_f32_e32 v165, v165
	ds_load_2addr_b32 v[133:134], v135 offset0:238 offset1:255
	v_sub_f32_e32 v135, v160, v136
	v_dual_fmac_f32 v137, v166, v163 :: v_dual_mul_f32 v160, 0x3fb8aa3b, v162
	v_exp_f32_e32 v162, v167
	s_waitcnt lgkmcnt(0)
	s_delay_alu instid0(VALU_DEP_2)
	v_mul_f32_e32 v135, 0x3fb8aa3b, v135
	s_barrier
	v_exp_f32_e32 v160, v160
	v_fmac_f32_e32 v137, v165, v129
	v_sub_f32_e32 v129, v161, v136
	v_exp_f32_e32 v161, v135
	buffer_gl0_inv
	v_fmac_f32_e32 v137, v164, v130
	v_dual_mul_f32 v129, 0x3fb8aa3b, v129 :: v_dual_cndmask_b32 v130, v150, v166
	s_delay_alu instid0(VALU_DEP_2) | instskip(NEXT) | instid1(VALU_DEP_2)
	v_fmac_f32_e32 v137, v162, v131
	v_exp_f32_e32 v163, v129
	s_delay_alu instid0(VALU_DEP_1) | instskip(NEXT) | instid1(VALU_DEP_1)
	v_fmac_f32_e32 v137, v160, v132
	v_fmac_f32_e32 v137, v161, v133
	v_lshlrev_b32_e32 v133, 6, v148
	s_waitcnt_depctr 0xfff
	v_fmac_f32_e32 v137, v163, v134
	v_lshl_or_b32 v135, v149, 11, v133
	s_delay_alu instid0(VALU_DEP_2) | instskip(NEXT) | instid1(VALU_DEP_1)
	v_add_f32_e32 v134, 0x358637bd, v137
	v_div_scale_f32 v167, null, v134, v134, 1.0
	v_div_scale_f32 v150, vcc_lo, 1.0, v134, 1.0
	s_delay_alu instid0(VALU_DEP_2) | instskip(SKIP_2) | instid1(VALU_DEP_1)
	v_rcp_f32_e32 v168, v167
	s_waitcnt_depctr 0xfff
	v_fma_f32 v129, -v167, v168, 1.0
	v_fmac_f32_e32 v168, v129, v168
	v_cndmask_b32_e64 v129, v130, v165, s3
	v_cmp_eq_u32_e64 s3, 6, v149
	s_delay_alu instid0(VALU_DEP_3) | instskip(NEXT) | instid1(VALU_DEP_3)
	v_mul_f32_e32 v165, v150, v168
	v_cndmask_b32_e64 v130, v129, v164, s4
	v_lshlrev_b32_e32 v129, 2, v146
	s_delay_alu instid0(VALU_DEP_3) | instskip(NEXT) | instid1(VALU_DEP_3)
	v_fma_f32 v131, -v167, v165, v150
	v_cndmask_b32_e64 v162, v130, v162, s5
	s_delay_alu instid0(VALU_DEP_3)
	v_or_b32_e32 v130, 1, v129
	v_or_b32_e32 v132, 2, v129
	v_cmp_eq_u32_e64 s4, 1, v129
	v_fmac_f32_e32 v165, v131, v168
	v_cndmask_b32_e64 v149, v162, v160, s6
	v_or_b32_e32 v131, 3, v129
	v_cmp_eq_u32_e64 s9, 1, v130
	v_cmp_eq_u32_e64 s10, 1, v132
	v_fma_f32 v150, -v167, v165, v150
	v_cndmask_b32_e64 v149, v149, v161, s3
	v_cmp_eq_u32_e64 s11, 1, v131
	v_cmp_eq_u32_e64 s5, 2, v129
	;; [unrolled: 1-line block ×3, first 2 shown]
	v_div_fmas_f32 v150, v150, v168, v165
	v_cndmask_b32_e64 v149, v149, v163, s7
	v_cmp_eq_u32_e64 s15, 2, v132
	v_cmp_eq_u32_e64 s16, 2, v131
	v_cmp_eq_u32_e32 vcc_lo, 3, v129
	v_div_fixup_f32 v150, v150, v134, 1.0
	v_lshl_or_b32 v134, v146, 4, v135
	v_cmp_eq_u32_e64 s13, 3, v130
	v_cmp_eq_u32_e64 s18, 3, v131
	;; [unrolled: 1-line block ×3, first 2 shown]
	v_mul_f32_e32 v149, v149, v150
	v_cmp_eq_u32_e64 s17, 3, v132
	v_cmp_eq_u32_e64 s19, 4, v130
	;; [unrolled: 1-line block ×4, first 2 shown]
	v_fma_mixlo_f16 v160, v149, v152, 0
	v_fma_mixlo_f16 v161, v149, v154, 0
	;; [unrolled: 1-line block ×8, first 2 shown]
	v_fma_mixhi_f16 v160, v149, v151, 0
	v_fma_mixhi_f16 v161, v149, v153, 0
	;; [unrolled: 1-line block ×8, first 2 shown]
	ds_store_b128 v134, v[160:163]
	ds_store_b128 v134, v[154:157] offset:1024
	s_waitcnt lgkmcnt(0)
	s_barrier
	buffer_gl0_inv
	ds_load_b128 v[138:141], v135
	ds_load_b128 v[149:152], v135 offset:16
	ds_load_b128 v[153:156], v135 offset:1024
	;; [unrolled: 1-line block ×3, first 2 shown]
	v_cmp_eq_u32_e64 s20, 5, v130
	v_cmp_eq_u32_e64 s21, 4, v132
	;; [unrolled: 1-line block ×12, first 2 shown]
	s_waitcnt lgkmcnt(3)
	v_lshrrev_b32_e32 v142, 16, v138
	s_waitcnt lgkmcnt(2)
	v_lshrrev_b32_e32 v162, 16, v149
	s_waitcnt lgkmcnt(1)
	v_lshrrev_b32_e32 v166, 16, v153
	s_waitcnt lgkmcnt(0)
	v_lshrrev_b32_e32 v170, 16, v157
	v_lshrrev_b32_e32 v143, 16, v139
	v_cndmask_b32_e64 v174, v138, v142, s4
	v_cndmask_b32_e64 v175, v149, v162, s4
	;; [unrolled: 1-line block ×7, first 2 shown]
	v_lshrrev_b32_e32 v163, 16, v150
	v_cndmask_b32_e64 v179, v149, v162, s10
	v_cndmask_b32_e64 v149, v153, v166, s4
	;; [unrolled: 1-line block ×16, first 2 shown]
	v_lshrrev_b32_e32 v167, 16, v154
	v_lshrrev_b32_e32 v171, 16, v158
	v_cndmask_b32_e64 v177, v179, v150, s15
	v_cndmask_b32_e64 v142, v149, v154, s5
	;; [unrolled: 1-line block ×7, first 2 shown]
	v_cndmask_b32_e32 v157, v166, v143, vcc_lo
	v_cndmask_b32_e32 v166, v170, v163, vcc_lo
	v_cndmask_b32_e64 v170, v174, v143, s13
	v_cndmask_b32_e64 v174, v175, v163, s13
	;; [unrolled: 1-line block ×4, first 2 shown]
	v_lshrrev_b32_e32 v144, 16, v140
	v_lshrrev_b32_e32 v164, 16, v151
	v_cndmask_b32_e64 v175, v176, v143, s17
	v_cndmask_b32_e64 v176, v177, v163, s17
	v_cndmask_b32_e32 v142, v142, v167, vcc_lo
	v_cndmask_b32_e32 v143, v149, v171, vcc_lo
	v_cndmask_b32_e64 v149, v150, v167, s13
	v_cndmask_b32_e64 v150, v157, v140, s3
	;; [unrolled: 1-line block ×7, first 2 shown]
	v_lshrrev_b32_e32 v168, 16, v155
	v_cndmask_b32_e64 v170, v175, v140, s21
	v_cndmask_b32_e64 v174, v176, v151, s21
	;; [unrolled: 1-line block ×11, first 2 shown]
	v_lshrrev_b32_e32 v161, 16, v141
	v_lshrrev_b32_e32 v165, 16, v152
	v_cndmask_b32_e64 v163, v170, v144, s23
	v_cndmask_b32_e64 v166, v174, v164, s23
	;; [unrolled: 1-line block ×9, first 2 shown]
	v_lshrrev_b32_e32 v169, 16, v156
	v_cndmask_b32_e64 v140, v140, v168, s6
	v_cndmask_b32_e64 v157, v163, v141, s26
	;; [unrolled: 1-line block ×14, first 2 shown]
	v_perm_b32 v141, v139, v138, 0x5040100
	v_perm_b32 v139, v151, v149, 0x5040100
	v_cndmask_b32_e64 v138, v183, v158, s15
	v_cndmask_b32_e64 v149, v181, v158, s12
	;; [unrolled: 1-line block ×3, first 2 shown]
	v_perm_b32 v140, v152, v150, 0x5040100
	v_cndmask_b32_e64 v150, v162, v167, s17
	v_cndmask_b32_e64 v151, v153, v167, s18
	;; [unrolled: 1-line block ×5, first 2 shown]
	v_lshrrev_b32_e32 v172, 16, v159
	v_cndmask_b32_e64 v150, v150, v155, s21
	v_cndmask_b32_e64 v151, v151, v155, s22
	;; [unrolled: 1-line block ×11, first 2 shown]
	v_lshrrev_b32_e32 v173, 16, v160
	v_cndmask_b32_e64 v142, v142, v160, s7
	v_cndmask_b32_e64 v150, v150, v156, s26
	;; [unrolled: 1-line block ×12, first 2 shown]
	v_perm_b32 v138, v144, v143, 0x5040100
	v_perm_b32 v152, v152, v151, 0x5040100
	;; [unrolled: 1-line block ×5, first 2 shown]
	s_mul_i32 s7, s33, 14
	s_mov_b32 s3, exec_lo
	ds_store_b128 v134, v[138:141]
	ds_store_b128 v134, v[149:152] offset:1024
	v_cmpx_gt_u32_e32 14, v0
	s_cbranch_execz .LBB71_14
; %bb.13:
	s_mul_i32 s4, s7, s34
	s_load_b128 s[8:11], s[0:1], 0x58
	v_add3_u32 v140, s4, s31, v148
	s_delay_alu instid0(VALU_DEP_1) | instskip(NEXT) | instid1(VALU_DEP_1)
	v_mad_u64_u32 v[138:139], null, v140, s35, s[14:15]
	v_ashrrev_i32_e32 v139, 31, v138
	s_delay_alu instid0(VALU_DEP_1) | instskip(SKIP_1) | instid1(VALU_DEP_1)
	v_lshlrev_b64 v[138:139], 2, v[138:139]
	s_waitcnt lgkmcnt(0)
	v_add_co_u32 v140, vcc_lo, s10, v138
	s_delay_alu instid0(VALU_DEP_2)
	v_add_co_ci_u32_e32 v141, vcc_lo, s11, v139, vcc_lo
	v_add_co_u32 v138, vcc_lo, s8, v138
	v_add_co_ci_u32_e32 v139, vcc_lo, s9, v139, vcc_lo
	global_store_b32 v[140:141], v136, off
	global_store_b32 v[138:139], v137, off
.LBB71_14:
	s_or_b32 exec_lo, exec_lo, s3
	s_waitcnt lgkmcnt(0)
	s_waitcnt_vscnt null, 0x0
	s_barrier
	buffer_gl0_inv
	ds_load_b128 v[148:151], v133
	ds_load_b128 v[152:155], v133 offset:16
	ds_load_b128 v[160:163], v133 offset:1040
	;; [unrolled: 1-line block ×5, first 2 shown]
	v_cmp_eq_u32_e32 vcc_lo, 1, v132
	v_mov_b32_e32 v136, 0
	ds_load_b128 v[176:179], v133 offset:3088
	ds_load_b128 v[172:175], v133 offset:3072
	;; [unrolled: 1-line block ×4, first 2 shown]
	v_cmp_eq_u32_e64 s3, 1, v129
	v_cmp_eq_u32_e64 s4, 1, v131
	;; [unrolled: 1-line block ×3, first 2 shown]
	v_mov_b32_e32 v137, v136
	v_mov_b32_e32 v138, v136
	;; [unrolled: 1-line block ×7, first 2 shown]
	v_cmp_eq_u32_e64 s6, 2, v129
	s_waitcnt lgkmcnt(8)
	s_delay_alu instid0(VALU_DEP_2)
	v_wmma_f32_16x16x16_f16 v[136:143], v[121:128], v[148:155], v[136:143]
	ds_load_b128 v[125:128], v133 offset:5136
	ds_load_b128 v[121:124], v133 offset:5120
	s_waitcnt lgkmcnt(8)
	v_wmma_f32_16x16x16_f16 v[136:143], v[113:120], v[156:163], v[136:143]
	ds_load_b128 v[117:120], v133 offset:6160
	ds_load_b128 v[113:116], v133 offset:6144
	s_waitcnt lgkmcnt(8)
	v_wmma_f32_16x16x16_f16 v[136:143], v[105:112], v[164:171], v[136:143]
	ds_load_b128 v[109:112], v133 offset:7184
	ds_load_b128 v[105:108], v133 offset:7168
	s_waitcnt lgkmcnt(8)
	v_wmma_f32_16x16x16_f16 v[136:143], v[97:104], v[172:179], v[136:143]
	ds_load_b128 v[101:104], v133 offset:8208
	ds_load_b128 v[97:100], v133 offset:8192
	s_waitcnt lgkmcnt(8)
	v_wmma_f32_16x16x16_f16 v[136:143], v[89:96], v[180:187], v[136:143]
	ds_load_b128 v[93:96], v133 offset:9232
	ds_load_b128 v[89:92], v133 offset:9216
	s_waitcnt lgkmcnt(8)
	v_wmma_f32_16x16x16_f16 v[136:143], v[81:88], v[121:128], v[136:143]
	ds_load_b128 v[85:88], v133 offset:10256
	ds_load_b128 v[81:84], v133 offset:10240
	s_waitcnt lgkmcnt(8)
	v_wmma_f32_16x16x16_f16 v[136:143], v[73:80], v[113:120], v[136:143]
	ds_load_b128 v[77:80], v133 offset:11280
	ds_load_b128 v[73:76], v133 offset:11264
	s_waitcnt lgkmcnt(8)
	v_wmma_f32_16x16x16_f16 v[136:143], v[65:72], v[105:112], v[136:143]
	ds_load_b128 v[69:72], v133 offset:12304
	ds_load_b128 v[65:68], v133 offset:12288
	s_waitcnt lgkmcnt(8)
	v_wmma_f32_16x16x16_f16 v[136:143], v[57:64], v[97:104], v[136:143]
	ds_load_b128 v[61:64], v133 offset:13328
	ds_load_b128 v[57:60], v133 offset:13312
	s_waitcnt lgkmcnt(8)
	v_wmma_f32_16x16x16_f16 v[136:143], v[49:56], v[89:96], v[136:143]
	ds_load_b128 v[53:56], v133 offset:14352
	ds_load_b128 v[49:52], v133 offset:14336
	s_waitcnt lgkmcnt(8)
	v_wmma_f32_16x16x16_f16 v[136:143], v[25:32], v[81:88], v[136:143]
	ds_load_b128 v[29:32], v133 offset:15376
	ds_load_b128 v[25:28], v133 offset:15360
	s_waitcnt lgkmcnt(0)
	s_barrier
	buffer_gl0_inv
	v_wmma_f32_16x16x16_f16 v[136:143], v[1:8], v[73:80], v[136:143]
	s_delay_alu instid0(VALU_DEP_1) | instskip(NEXT) | instid1(VALU_DEP_1)
	v_wmma_f32_16x16x16_f16 v[136:143], v[9:16], v[65:72], v[136:143]
	v_wmma_f32_16x16x16_f16 v[136:143], v[33:40], v[57:64], v[136:143]
	s_delay_alu instid0(VALU_DEP_1) | instskip(NEXT) | instid1(VALU_DEP_1)
	v_wmma_f32_16x16x16_f16 v[136:143], v[41:48], v[49:56], v[136:143]
	v_wmma_f32_16x16x16_f16 v[136:143], v[17:24], v[25:32], v[136:143]
	s_delay_alu instid0(VALU_DEP_1) | instskip(NEXT) | instid1(VALU_DEP_2)
	v_cvt_f16_f32_e64 v1, v136
	v_cvt_f16_f32_e64 v2, v137
	s_delay_alu instid0(VALU_DEP_3) | instskip(NEXT) | instid1(VALU_DEP_4)
	v_cvt_f16_f32_e64 v3, v138
	v_cvt_f16_f32_e64 v4, v139
	;; [unrolled: 1-line block ×6, first 2 shown]
	v_pack_b32_f16 v1, v1, v2
	v_pack_b32_f16 v2, v3, v4
	;; [unrolled: 1-line block ×3, first 2 shown]
	s_delay_alu instid0(VALU_DEP_4)
	v_pack_b32_f16 v4, v7, v8
	ds_store_b128 v134, v[1:4]
	s_waitcnt lgkmcnt(0)
	s_barrier
	buffer_gl0_inv
	ds_load_b128 v[1:4], v135
	ds_load_b128 v[5:8], v135 offset:16
	s_waitcnt lgkmcnt(1)
	v_lshrrev_b32_e32 v9, 16, v1
	s_waitcnt lgkmcnt(0)
	v_lshrrev_b32_e32 v13, 16, v5
	v_lshrrev_b32_e32 v10, 16, v2
	;; [unrolled: 1-line block ×4, first 2 shown]
	v_cndmask_b32_e64 v17, v1, v9, s3
	v_cndmask_b32_e64 v18, v5, v13, s3
	;; [unrolled: 1-line block ×3, first 2 shown]
	v_cmp_eq_u32_e64 s3, 2, v130
	v_cndmask_b32_e64 v20, v5, v13, s5
	v_cndmask_b32_e32 v21, v1, v9, vcc_lo
	v_cndmask_b32_e32 v22, v5, v13, vcc_lo
	v_cndmask_b32_e64 v1, v1, v9, s4
	v_cndmask_b32_e64 v5, v5, v13, s4
	v_cmp_eq_u32_e32 vcc_lo, 2, v132
	v_cmp_eq_u32_e64 s4, 2, v131
	v_cndmask_b32_e64 v9, v17, v2, s6
	v_cndmask_b32_e64 v13, v18, v6, s6
	;; [unrolled: 1-line block ×4, first 2 shown]
	v_cndmask_b32_e32 v19, v21, v2, vcc_lo
	v_cmp_eq_u32_e64 s3, 3, v132
	v_cndmask_b32_e32 v20, v22, v6, vcc_lo
	v_cndmask_b32_e64 v1, v1, v2, s4
	v_cmp_eq_u32_e32 vcc_lo, 3, v131
	v_cmp_eq_u32_e64 s5, 3, v129
	v_cndmask_b32_e64 v2, v5, v6, s4
	v_cmp_eq_u32_e64 s4, 3, v130
	v_cmp_eq_u32_e64 s6, 4, v129
	v_cndmask_b32_e32 v1, v1, v10, vcc_lo
	v_cndmask_b32_e64 v5, v9, v10, s5
	v_cndmask_b32_e64 v6, v13, v14, s5
	;; [unrolled: 1-line block ×3, first 2 shown]
	v_cmp_eq_u32_e64 s5, 4, v130
	v_cndmask_b32_e64 v13, v18, v14, s4
	v_cndmask_b32_e64 v17, v19, v10, s3
	;; [unrolled: 1-line block ×3, first 2 shown]
	v_cndmask_b32_e32 v2, v2, v14, vcc_lo
	v_cmp_eq_u32_e32 vcc_lo, 4, v132
	v_cmp_eq_u32_e64 s4, 4, v131
	v_lshrrev_b32_e32 v15, 16, v7
	v_cndmask_b32_e64 v5, v5, v3, s6
	v_cndmask_b32_e64 v6, v6, v7, s6
	v_cndmask_b32_e32 v14, v18, v7, vcc_lo
	v_cndmask_b32_e64 v9, v9, v3, s5
	v_cndmask_b32_e64 v10, v13, v7, s5
	v_cndmask_b32_e32 v13, v17, v3, vcc_lo
	v_cmp_eq_u32_e64 s3, 5, v132
	v_cndmask_b32_e64 v1, v1, v3, s4
	v_cmp_eq_u32_e32 vcc_lo, 5, v131
	v_cmp_eq_u32_e64 s5, 5, v129
	v_cndmask_b32_e64 v2, v2, v7, s4
	v_cmp_eq_u32_e64 s4, 5, v130
	v_cmp_eq_u32_e64 s6, 6, v129
	v_lshrrev_b32_e32 v12, 16, v4
	v_cndmask_b32_e64 v3, v5, v11, s5
	v_cndmask_b32_e64 v5, v6, v15, s5
	;; [unrolled: 1-line block ×3, first 2 shown]
	v_cmp_eq_u32_e64 s5, 6, v130
	v_cndmask_b32_e64 v7, v10, v15, s4
	v_cndmask_b32_e64 v9, v13, v11, s3
	;; [unrolled: 1-line block ×3, first 2 shown]
	v_cndmask_b32_e32 v1, v1, v11, vcc_lo
	v_cndmask_b32_e32 v2, v2, v15, vcc_lo
	v_cmp_eq_u32_e32 vcc_lo, 6, v132
	v_cmp_eq_u32_e64 s3, 6, v131
	v_lshrrev_b32_e32 v16, 16, v8
	v_cndmask_b32_e64 v3, v3, v4, s6
	v_cndmask_b32_e64 v5, v5, v8, s6
	v_cndmask_b32_e32 v9, v9, v4, vcc_lo
	v_cndmask_b32_e64 v6, v6, v4, s5
	v_cndmask_b32_e64 v7, v7, v8, s5
	v_cmp_eq_u32_e64 s4, 7, v132
	v_cndmask_b32_e32 v10, v10, v8, vcc_lo
	v_cndmask_b32_e64 v1, v1, v4, s3
	v_cmp_eq_u32_e32 vcc_lo, 7, v131
	v_cndmask_b32_e64 v2, v2, v8, s3
	v_cmp_eq_u32_e64 s3, 7, v129
	v_cmp_eq_u32_e64 s5, 7, v130
	v_cndmask_b32_e32 v1, v1, v12, vcc_lo
	s_delay_alu instid0(VALU_DEP_4) | instskip(NEXT) | instid1(VALU_DEP_4)
	v_cndmask_b32_e32 v2, v2, v16, vcc_lo
	v_cndmask_b32_e64 v8, v3, v12, s3
	s_delay_alu instid0(VALU_DEP_4)
	v_cndmask_b32_e64 v6, v6, v12, s5
	v_cndmask_b32_e64 v3, v9, v12, s4
	;; [unrolled: 1-line block ×5, first 2 shown]
	v_cmp_gt_u32_e32 vcc_lo, 32, v0
	v_perm_b32 v4, v2, v1, 0x5040100
	v_perm_b32 v3, v9, v3, 0x5040100
	;; [unrolled: 1-line block ×4, first 2 shown]
	s_and_b32 s2, vcc_lo, s2
	ds_store_b128 v134, v[1:4]
	s_waitcnt lgkmcnt(0)
	s_barrier
	buffer_gl0_inv
	s_and_saveexec_b32 s3, s2
	s_cbranch_execz .LBB71_2
; %bb.15:
	s_load_b64 s[0:1], s[0:1], 0x68
	v_lshlrev_b32_e32 v0, 10, v0
	s_lshl_b32 s4, s35, 6
	v_or_b32_e32 v3, s31, v146
	s_mul_i32 s2, s4, s34
	v_lshlrev_b32_e32 v1, 4, v147
	v_lshlrev_b32_e32 v2, 6, v146
	v_and_b32_e32 v0, 0x3800, v0
	s_mul_i32 s2, s2, s7
	v_mul_lo_u32 v8, v3, s4
	s_ashr_i32 s3, s2, 31
	s_delay_alu instid0(SALU_CYCLE_1)
	s_lshl_b64 s[2:3], s[2:3], 1
	v_or3_b32 v16, v0, v1, v2
	ds_load_b128 v[0:3], v16
	ds_load_b128 v[4:7], v16 offset:128
	v_ashrrev_i32_e32 v9, 31, v8
	s_waitcnt lgkmcnt(0)
	s_add_u32 s2, s0, s2
	s_addc_u32 s3, s1, s3
	s_lshl_b32 s0, s14, 6
	s_delay_alu instid0(SALU_CYCLE_1) | instskip(SKIP_2) | instid1(SALU_CYCLE_1)
	s_ashr_i32 s1, s0, 31
	v_lshlrev_b64 v[9:10], 1, v[8:9]
	s_lshl_b64 s[0:1], s[0:1], 1
	s_add_u32 s0, s2, s0
	s_addc_u32 s1, s3, s1
	s_lshl_b32 s2, s35, 7
	v_add_co_u32 v30, s0, s0, v145
	v_add_nc_u32_e32 v11, s2, v8
	v_add_co_ci_u32_e64 v31, null, s1, 0, s0
	s_delay_alu instid0(VALU_DEP_3) | instskip(NEXT) | instid1(VALU_DEP_3)
	v_add_co_u32 v9, vcc_lo, v30, v9
	v_add_nc_u32_e32 v8, s2, v11
	s_delay_alu instid0(VALU_DEP_3) | instskip(SKIP_1) | instid1(VALU_DEP_3)
	v_add_co_ci_u32_e32 v10, vcc_lo, v31, v10, vcc_lo
	v_ashrrev_i32_e32 v12, 31, v11
	v_add_nc_u32_e32 v13, s2, v8
	global_store_b128 v[9:10], v[0:3], off
	v_ashrrev_i32_e32 v9, 31, v8
	v_lshlrev_b64 v[11:12], 1, v[11:12]
	v_ashrrev_i32_e32 v14, 31, v13
	v_add_nc_u32_e32 v10, s2, v13
	s_delay_alu instid0(VALU_DEP_4) | instskip(NEXT) | instid1(VALU_DEP_4)
	v_lshlrev_b64 v[2:3], 1, v[8:9]
	v_add_co_u32 v0, vcc_lo, v30, v11
	s_delay_alu instid0(VALU_DEP_4)
	v_lshlrev_b64 v[8:9], 1, v[13:14]
	v_add_co_ci_u32_e32 v1, vcc_lo, v31, v12, vcc_lo
	v_ashrrev_i32_e32 v11, 31, v10
	v_add_co_u32 v22, vcc_lo, v30, v2
	v_add_nc_u32_e32 v20, s2, v10
	v_add_co_ci_u32_e32 v23, vcc_lo, v31, v3, vcc_lo
	v_add_co_u32 v24, vcc_lo, v30, v8
	global_store_b128 v[0:1], v[4:7], off
	v_add_co_ci_u32_e32 v25, vcc_lo, v31, v9, vcc_lo
	ds_load_b128 v[0:3], v16 offset:256
	ds_load_b128 v[4:7], v16 offset:384
	v_lshlrev_b64 v[26:27], 1, v[10:11]
	ds_load_b128 v[8:11], v16 offset:512
	ds_load_b128 v[12:15], v16 offset:640
	;; [unrolled: 1-line block ×3, first 2 shown]
	v_add_nc_u32_e32 v28, s2, v20
	v_ashrrev_i32_e32 v21, 31, v20
	v_add_co_u32 v26, vcc_lo, v30, v26
	s_delay_alu instid0(VALU_DEP_3) | instskip(NEXT) | instid1(VALU_DEP_3)
	v_ashrrev_i32_e32 v29, 31, v28
	v_lshlrev_b64 v[20:21], 1, v[20:21]
	v_add_co_ci_u32_e32 v27, vcc_lo, v31, v27, vcc_lo
	s_delay_alu instid0(VALU_DEP_3) | instskip(NEXT) | instid1(VALU_DEP_3)
	v_lshlrev_b64 v[28:29], 1, v[28:29]
	v_add_co_u32 v20, vcc_lo, v30, v20
	s_delay_alu instid0(VALU_DEP_4) | instskip(NEXT) | instid1(VALU_DEP_3)
	v_add_co_ci_u32_e32 v21, vcc_lo, v31, v21, vcc_lo
	v_add_co_u32 v28, vcc_lo, v30, v28
	s_delay_alu instid0(VALU_DEP_4)
	v_add_co_ci_u32_e32 v29, vcc_lo, v31, v29, vcc_lo
	s_waitcnt lgkmcnt(4)
	global_store_b128 v[22:23], v[0:3], off
	s_waitcnt lgkmcnt(3)
	global_store_b128 v[24:25], v[4:7], off
	;; [unrolled: 2-line block ×5, first 2 shown]
	s_nop 0
	s_sendmsg sendmsg(MSG_DEALLOC_VGPRS)
	s_endpgm
	.section	.rodata,"a",@progbits
	.p2align	6, 0x0
	.amdhsa_kernel _Z39paged_attention_ll4mi_QKV_mfma16_kernelIDF16_DF16_LN4vllm18Fp8KVCacheDataTypeE0EDF16_Li16ELi64ELi256ELb1ELi14EL8MFMAType0EEvPKT_PKT0_S8_ifPKiSA_SA_iPKfiiiPfSD_PS3_PT2_iSC_SC_
		.amdhsa_group_segment_fixed_size 17472
		.amdhsa_private_segment_fixed_size 0
		.amdhsa_kernarg_size 400
		.amdhsa_user_sgpr_count 13
		.amdhsa_user_sgpr_dispatch_ptr 0
		.amdhsa_user_sgpr_queue_ptr 0
		.amdhsa_user_sgpr_kernarg_segment_ptr 1
		.amdhsa_user_sgpr_dispatch_id 0
		.amdhsa_user_sgpr_private_segment_size 0
		.amdhsa_wavefront_size32 1
		.amdhsa_uses_dynamic_stack 0
		.amdhsa_enable_private_segment 0
		.amdhsa_system_sgpr_workgroup_id_x 1
		.amdhsa_system_sgpr_workgroup_id_y 1
		.amdhsa_system_sgpr_workgroup_id_z 1
		.amdhsa_system_sgpr_workgroup_info 0
		.amdhsa_system_vgpr_workitem_id 0
		.amdhsa_next_free_vgpr 198
		.amdhsa_next_free_sgpr 52
		.amdhsa_reserve_vcc 1
		.amdhsa_float_round_mode_32 0
		.amdhsa_float_round_mode_16_64 0
		.amdhsa_float_denorm_mode_32 3
		.amdhsa_float_denorm_mode_16_64 3
		.amdhsa_dx10_clamp 1
		.amdhsa_ieee_mode 1
		.amdhsa_fp16_overflow 0
		.amdhsa_workgroup_processor_mode 1
		.amdhsa_memory_ordered 1
		.amdhsa_forward_progress 0
		.amdhsa_shared_vgpr_count 0
		.amdhsa_exception_fp_ieee_invalid_op 0
		.amdhsa_exception_fp_denorm_src 0
		.amdhsa_exception_fp_ieee_div_zero 0
		.amdhsa_exception_fp_ieee_overflow 0
		.amdhsa_exception_fp_ieee_underflow 0
		.amdhsa_exception_fp_ieee_inexact 0
		.amdhsa_exception_int_div_zero 0
	.end_amdhsa_kernel
	.section	.text._Z39paged_attention_ll4mi_QKV_mfma16_kernelIDF16_DF16_LN4vllm18Fp8KVCacheDataTypeE0EDF16_Li16ELi64ELi256ELb1ELi14EL8MFMAType0EEvPKT_PKT0_S8_ifPKiSA_SA_iPKfiiiPfSD_PS3_PT2_iSC_SC_,"axG",@progbits,_Z39paged_attention_ll4mi_QKV_mfma16_kernelIDF16_DF16_LN4vllm18Fp8KVCacheDataTypeE0EDF16_Li16ELi64ELi256ELb1ELi14EL8MFMAType0EEvPKT_PKT0_S8_ifPKiSA_SA_iPKfiiiPfSD_PS3_PT2_iSC_SC_,comdat
.Lfunc_end71:
	.size	_Z39paged_attention_ll4mi_QKV_mfma16_kernelIDF16_DF16_LN4vllm18Fp8KVCacheDataTypeE0EDF16_Li16ELi64ELi256ELb1ELi14EL8MFMAType0EEvPKT_PKT0_S8_ifPKiSA_SA_iPKfiiiPfSD_PS3_PT2_iSC_SC_, .Lfunc_end71-_Z39paged_attention_ll4mi_QKV_mfma16_kernelIDF16_DF16_LN4vllm18Fp8KVCacheDataTypeE0EDF16_Li16ELi64ELi256ELb1ELi14EL8MFMAType0EEvPKT_PKT0_S8_ifPKiSA_SA_iPKfiiiPfSD_PS3_PT2_iSC_SC_
                                        ; -- End function
	.section	.AMDGPU.csdata,"",@progbits
; Kernel info:
; codeLenInByte = 8016
; NumSgprs: 54
; NumVgprs: 198
; ScratchSize: 0
; MemoryBound: 0
; FloatMode: 240
; IeeeMode: 1
; LDSByteSize: 17472 bytes/workgroup (compile time only)
; SGPRBlocks: 6
; VGPRBlocks: 24
; NumSGPRsForWavesPerEU: 54
; NumVGPRsForWavesPerEU: 198
; Occupancy: 7
; WaveLimiterHint : 1
; COMPUTE_PGM_RSRC2:SCRATCH_EN: 0
; COMPUTE_PGM_RSRC2:USER_SGPR: 13
; COMPUTE_PGM_RSRC2:TRAP_HANDLER: 0
; COMPUTE_PGM_RSRC2:TGID_X_EN: 1
; COMPUTE_PGM_RSRC2:TGID_Y_EN: 1
; COMPUTE_PGM_RSRC2:TGID_Z_EN: 1
; COMPUTE_PGM_RSRC2:TIDIG_COMP_CNT: 0
	.section	.text._Z39paged_attention_ll4mi_QKV_mfma16_kernelIDF16_DF16_LN4vllm18Fp8KVCacheDataTypeE0EDF16_Li16ELi64ELi256ELb1ELi15EL8MFMAType0EEvPKT_PKT0_S8_ifPKiSA_SA_iPKfiiiPfSD_PS3_PT2_iSC_SC_,"axG",@progbits,_Z39paged_attention_ll4mi_QKV_mfma16_kernelIDF16_DF16_LN4vllm18Fp8KVCacheDataTypeE0EDF16_Li16ELi64ELi256ELb1ELi15EL8MFMAType0EEvPKT_PKT0_S8_ifPKiSA_SA_iPKfiiiPfSD_PS3_PT2_iSC_SC_,comdat
	.protected	_Z39paged_attention_ll4mi_QKV_mfma16_kernelIDF16_DF16_LN4vllm18Fp8KVCacheDataTypeE0EDF16_Li16ELi64ELi256ELb1ELi15EL8MFMAType0EEvPKT_PKT0_S8_ifPKiSA_SA_iPKfiiiPfSD_PS3_PT2_iSC_SC_ ; -- Begin function _Z39paged_attention_ll4mi_QKV_mfma16_kernelIDF16_DF16_LN4vllm18Fp8KVCacheDataTypeE0EDF16_Li16ELi64ELi256ELb1ELi15EL8MFMAType0EEvPKT_PKT0_S8_ifPKiSA_SA_iPKfiiiPfSD_PS3_PT2_iSC_SC_
	.globl	_Z39paged_attention_ll4mi_QKV_mfma16_kernelIDF16_DF16_LN4vllm18Fp8KVCacheDataTypeE0EDF16_Li16ELi64ELi256ELb1ELi15EL8MFMAType0EEvPKT_PKT0_S8_ifPKiSA_SA_iPKfiiiPfSD_PS3_PT2_iSC_SC_
	.p2align	8
	.type	_Z39paged_attention_ll4mi_QKV_mfma16_kernelIDF16_DF16_LN4vllm18Fp8KVCacheDataTypeE0EDF16_Li16ELi64ELi256ELb1ELi15EL8MFMAType0EEvPKT_PKT0_S8_ifPKiSA_SA_iPKfiiiPfSD_PS3_PT2_iSC_SC_,@function
_Z39paged_attention_ll4mi_QKV_mfma16_kernelIDF16_DF16_LN4vllm18Fp8KVCacheDataTypeE0EDF16_Li16ELi64ELi256ELb1ELi15EL8MFMAType0EEvPKT_PKT0_S8_ifPKiSA_SA_iPKfiiiPfSD_PS3_PT2_iSC_SC_: ; @_Z39paged_attention_ll4mi_QKV_mfma16_kernelIDF16_DF16_LN4vllm18Fp8KVCacheDataTypeE0EDF16_Li16ELi64ELi256ELb1ELi15EL8MFMAType0EEvPKT_PKT0_S8_ifPKiSA_SA_iPKfiiiPfSD_PS3_PT2_iSC_SC_
; %bb.0:
	s_load_b64 s[2:3], s[0:1], 0x30
	s_mov_b32 s34, s13
	s_waitcnt lgkmcnt(0)
	s_cmp_lg_u64 s[2:3], 0
	s_cselect_b32 s6, -1, 0
	s_ashr_i32 s35, s13, 31
	s_cmp_eq_u64 s[2:3], 0
	s_cbranch_scc1 .LBB72_3
; %bb.1:
	s_lshl_b64 s[4:5], s[34:35], 2
	s_delay_alu instid0(SALU_CYCLE_1) | instskip(SKIP_4) | instid1(SALU_CYCLE_1)
	s_add_u32 s4, s2, s4
	s_addc_u32 s5, s3, s5
	s_load_b64 s[4:5], s[4:5], 0x0
	s_waitcnt lgkmcnt(0)
	s_sub_i32 s4, s5, s4
	s_cmp_eq_u32 s4, 1
	s_cselect_b32 s4, -1, 0
	s_delay_alu instid0(SALU_CYCLE_1)
	s_and_not1_b32 vcc_lo, exec_lo, s4
	s_cbranch_vccz .LBB72_4
.LBB72_2:
	s_nop 0
	s_sendmsg sendmsg(MSG_DEALLOC_VGPRS)
	s_endpgm
.LBB72_3:
.LBB72_4:
	s_load_b64 s[8:9], s[0:1], 0x28
	s_lshl_b64 s[4:5], s[34:35], 2
	s_waitcnt lgkmcnt(0)
	s_add_u32 s8, s8, s4
	s_addc_u32 s9, s9, s5
	s_lshl_b32 s31, s14, 8
	s_load_b32 s30, s[8:9], 0x0
	s_waitcnt lgkmcnt(0)
	s_cmp_ge_i32 s31, s30
	s_cbranch_scc1 .LBB72_2
; %bb.5:
	s_clause 0x1
	s_load_b128 s[8:11], s[0:1], 0x8
	s_load_b64 s[12:13], s[0:1], 0x20
	s_and_not1_b32 vcc_lo, exec_lo, s6
	s_cbranch_vccnz .LBB72_7
; %bb.6:
	s_add_u32 s2, s2, s4
	s_addc_u32 s3, s3, s5
	s_load_b32 s3, s[2:3], 0x0
	s_branch .LBB72_8
.LBB72_7:
	s_mov_b32 s3, s34
.LBB72_8:
	s_load_b128 s[4:7], s[0:1], 0x48
	v_lshrrev_b32_e32 v149, 5, v0
	v_bfe_u32 v146, v0, 4, 1
	v_and_b32_e32 v148, 15, v0
	v_and_b32_e32 v150, 31, v0
	;; [unrolled: 1-line block ×3, first 2 shown]
	s_mul_i32 s33, s15, 15
	v_lshl_or_b32 v1, v149, 1, v146
	v_lshlrev_b32_e32 v2, 3, v148
	v_cmp_gt_u32_e64 s2, 8, v148
	s_delay_alu instid0(VALU_DEP_3) | instskip(NEXT) | instid1(VALU_DEP_3)
	v_cmp_gt_u32_e32 vcc_lo, 15, v1
	v_lshlrev_b32_e32 v145, 1, v2
	s_delay_alu instid0(VALU_DEP_3)
	s_and_b32 s16, s2, vcc_lo
	s_waitcnt lgkmcnt(0)
	s_and_saveexec_b32 s7, s16
	s_cbranch_execz .LBB72_10
; %bb.9:
	s_load_b64 s[16:17], s[0:1], 0x0
	v_add_lshl_u32 v2, v1, s33, 6
	s_mul_hi_i32 s19, s3, s4
	s_mul_i32 s18, s3, s4
	v_lshlrev_b32_e32 v6, 10, v148
	s_lshl_b64 s[18:19], s[18:19], 1
	v_ashrrev_i32_e32 v3, 31, v2
	v_lshlrev_b32_e32 v1, 6, v1
	v_lshlrev_b32_e32 v7, 10, v147
	v_and_b32_e32 v6, 0x3800, v6
	s_delay_alu instid0(VALU_DEP_4) | instskip(NEXT) | instid1(VALU_DEP_2)
	v_lshlrev_b64 v[2:3], 1, v[2:3]
	v_or3_b32 v1, v6, v7, v1
	s_waitcnt lgkmcnt(0)
	s_add_u32 s3, s16, s18
	s_addc_u32 s4, s17, s19
	s_delay_alu instid0(VALU_DEP_2) | instskip(SKIP_1) | instid1(VALU_DEP_2)
	v_add_co_u32 v2, vcc_lo, s3, v2
	v_add_co_ci_u32_e32 v3, vcc_lo, s4, v3, vcc_lo
	v_add_co_u32 v2, vcc_lo, v2, v145
	s_delay_alu instid0(VALU_DEP_2)
	v_add_co_ci_u32_e32 v3, vcc_lo, 0, v3, vcc_lo
	global_load_b128 v[2:5], v[2:3], off
	s_waitcnt vmcnt(0)
	ds_store_b128 v1, v[2:5]
.LBB72_10:
	s_or_b32 exec_lo, exec_lo, s7
	s_mov_b32 s40, 0
	s_add_i32 s3, s30, 15
	s_mov_b32 s41, s40
	s_mov_b32 s42, s40
	;; [unrolled: 1-line block ×7, first 2 shown]
	s_delay_alu instid0(SALU_CYCLE_1)
	v_dual_mov_b32 v136, s47 :: v_dual_and_b32 v1, 0xef, v0
	v_mov_b32_e32 v134, s45
	s_clause 0x1
	s_load_b32 s4, s[0:1], 0x38
	s_load_b32 s35, s[0:1], 0x98
	v_add_nc_u32_e32 v1, s31, v1
	s_ashr_i32 s7, s3, 31
	s_load_b32 s36, s[0:1], 0x1c
	s_lshr_b32 s7, s7, 28
	s_waitcnt lgkmcnt(0)
	v_ashrrev_i32_e32 v2, 31, v1
	s_add_i32 s3, s3, s7
	v_cmp_gt_i32_e32 vcc_lo, s30, v1
	s_ashr_i32 s3, s3, 4
	v_mov_b32_e32 v132, s43
	v_lshrrev_b32_e32 v3, 28, v2
	v_or_b32_e32 v2, 16, v1
	s_add_i32 s3, s3, -1
	s_barrier
	buffer_gl0_inv
	v_add_nc_u32_e32 v4, v1, v3
	v_add_nc_u32_e32 v3, v2, v3
	s_mul_i32 s6, s15, s6
	s_mul_i32 s16, s34, s4
	v_mov_b32_e32 v135, s46
	v_ashrrev_i32_e32 v4, 4, v4
	v_ashrrev_i32_e32 v3, 4, v3
	s_ashr_i32 s17, s16, 31
	v_mov_b32_e32 v133, s44
	s_lshl_b64 s[16:17], s[16:17], 2
	v_cndmask_b32_e32 v1, s3, v4, vcc_lo
	v_cmp_gt_i32_e32 vcc_lo, s30, v2
	s_add_u32 s4, s12, s16
	s_addc_u32 s37, s13, s17
	s_ashr_i32 s7, s6, 31
	v_ashrrev_i32_e32 v2, 31, v1
	v_cndmask_b32_e32 v3, s3, v3, vcc_lo
	s_lshl_b64 s[6:7], s[6:7], 1
	v_mov_b32_e32 v131, s42
	s_add_u32 s24, s8, s6
	v_lshlrev_b64 v[1:2], 2, v[1:2]
	v_ashrrev_i32_e32 v4, 31, v3
	s_addc_u32 s25, s9, s7
	s_lshl_b32 s8, s14, 4
	v_mov_b32_e32 v129, s40
	s_ashr_i32 s9, s8, 31
	v_lshlrev_b64 v[3:4], 2, v[3:4]
	v_add_co_u32 v1, vcc_lo, s4, v1
	v_add_co_ci_u32_e32 v2, vcc_lo, s37, v2, vcc_lo
	s_lshl_b64 s[8:9], s[8:9], 2
	s_delay_alu instid0(VALU_DEP_3) | instskip(NEXT) | instid1(VALU_DEP_4)
	v_add_co_u32 v3, vcc_lo, s4, v3
	v_add_co_ci_u32_e32 v4, vcc_lo, s37, v4, vcc_lo
	s_clause 0x1
	global_load_b32 v5, v[1:2], off
	global_load_b32 v6, v[3:4], off
	s_add_u32 s8, s4, s8
	s_addc_u32 s9, s37, s9
	s_or_b32 s12, s31, 16
	v_dual_mov_b32 v130, s41 :: v_dual_lshlrev_b32 v3, 4, v0
	s_ashr_i32 s13, s12, 4
	s_cmp_lt_i32 s12, s30
	s_cselect_b32 s12, s13, s3
	s_delay_alu instid0(SALU_CYCLE_1) | instskip(NEXT) | instid1(SALU_CYCLE_1)
	s_ashr_i32 s13, s12, 31
	s_lshl_b64 s[12:13], s[12:13], 2
	s_delay_alu instid0(SALU_CYCLE_1) | instskip(SKIP_2) | instid1(SALU_CYCLE_1)
	s_add_u32 s12, s4, s12
	s_addc_u32 s13, s37, s13
	s_or_b32 s15, s31, 32
	s_ashr_i32 s16, s15, 4
	s_cmp_lt_i32 s15, s30
	s_cselect_b32 s16, s16, s3
	s_delay_alu instid0(SALU_CYCLE_1) | instskip(NEXT) | instid1(SALU_CYCLE_1)
	s_ashr_i32 s17, s16, 31
	s_lshl_b64 s[16:17], s[16:17], 2
	s_delay_alu instid0(SALU_CYCLE_1) | instskip(SKIP_2) | instid1(SALU_CYCLE_1)
	s_add_u32 s16, s4, s16
	s_addc_u32 s17, s37, s17
	s_or_b32 s15, s31, 48
	;; [unrolled: 10-line block ×4, first 2 shown]
	s_ashr_i32 s22, s15, 4
	s_cmp_lt_i32 s15, s30
	s_cselect_b32 s22, s22, s3
	s_delay_alu instid0(SALU_CYCLE_1) | instskip(NEXT) | instid1(SALU_CYCLE_1)
	s_ashr_i32 s23, s22, 31
	s_lshl_b64 s[22:23], s[22:23], 2
	s_delay_alu instid0(SALU_CYCLE_1)
	s_add_u32 s22, s4, s22
	s_addc_u32 s23, s37, s23
	s_clause 0x5
	s_load_b32 s8, s[8:9], 0x0
	s_load_b32 s12, s[12:13], 0x0
	;; [unrolled: 1-line block ×6, first 2 shown]
	s_waitcnt lgkmcnt(0)
	s_mul_hi_i32 s17, s16, s5
	s_mul_i32 s16, s16, s5
	s_waitcnt vmcnt(1)
	v_mad_i64_i32 v[1:2], null, v5, s5, 0
	v_and_b32_e32 v5, 0xf0, v3
	s_waitcnt vmcnt(0)
	v_mad_i64_i32 v[3:4], null, v6, s5, 0
	s_delay_alu instid0(VALU_DEP_2) | instskip(NEXT) | instid1(VALU_DEP_4)
	v_add_co_u32 v5, s9, s24, v5
	v_lshlrev_b64 v[1:2], 1, v[1:2]
	v_add_co_ci_u32_e64 v6, null, s25, 0, s9
	s_delay_alu instid0(VALU_DEP_4) | instskip(SKIP_1) | instid1(VALU_DEP_3)
	v_lshlrev_b64 v[3:4], 1, v[3:4]
	s_or_b32 s9, s31, 0x60
	v_add_co_u32 v1, vcc_lo, v5, v1
	s_delay_alu instid0(VALU_DEP_3) | instskip(NEXT) | instid1(VALU_DEP_3)
	v_add_co_ci_u32_e32 v2, vcc_lo, v6, v2, vcc_lo
	v_add_co_u32 v3, vcc_lo, v5, v3
	s_delay_alu instid0(VALU_DEP_4)
	v_add_co_ci_u32_e32 v4, vcc_lo, v6, v4, vcc_lo
	s_clause 0x9
	global_load_b128 v[9:12], v[1:2], off
	global_load_b128 v[13:16], v[1:2], off offset:256
	global_load_b128 v[137:140], v[3:4], off
	global_load_b128 v[141:144], v[3:4], off offset:256
	global_load_b128 v[41:44], v[1:2], off offset:512
	;; [unrolled: 1-line block ×7, first 2 shown]
	v_cmp_ne_u32_e32 vcc_lo, 15, v148
	s_clause 0x1
	global_load_b128 v[151:154], v[3:4], off offset:1024
	global_load_b128 v[155:158], v[3:4], off offset:1280
	s_ashr_i32 s13, s9, 4
	s_cmp_lt_i32 s9, s30
	v_lshlrev_b32_e32 v6, 5, v148
	v_cndmask_b32_e32 v5, 0, v148, vcc_lo
	s_cselect_b32 s22, s13, s3
	s_delay_alu instid0(SALU_CYCLE_1) | instskip(NEXT) | instid1(VALU_DEP_1)
	s_ashr_i32 s23, s22, 31
	v_lshlrev_b32_e32 v197, 6, v5
	ds_load_b128 v[159:162], v197
	ds_load_b128 v[163:166], v197 offset:1024
	s_clause 0x3
	global_load_b128 v[167:170], v[1:2], off offset:1536
	global_load_b128 v[171:174], v[1:2], off offset:1792
	;; [unrolled: 1-line block ×4, first 2 shown]
	s_lshl_b64 s[22:23], s[22:23], 2
	v_lshl_or_b32 v5, v149, 9, v6
	s_add_u32 s22, s4, s22
	s_addc_u32 s23, s37, s23
	s_or_b32 s9, s31, 0x70
	s_load_b32 s46, s[22:23], 0x0
	s_ashr_i32 s13, s9, 4
	s_cmp_lt_i32 s9, s30
	s_cselect_b32 s24, s13, s3
	s_delay_alu instid0(SALU_CYCLE_1) | instskip(NEXT) | instid1(SALU_CYCLE_1)
	s_ashr_i32 s25, s24, 31
	s_lshl_b64 s[24:25], s[24:25], 2
	s_delay_alu instid0(SALU_CYCLE_1)
	s_add_u32 s24, s4, s24
	s_addc_u32 s25, s37, s25
	s_or_b32 s9, s31, 0x80
	s_load_b32 s47, s[24:25], 0x0
	s_ashr_i32 s13, s9, 4
	s_cmp_lt_i32 s9, s30
	s_cselect_b32 s26, s13, s3
	s_delay_alu instid0(SALU_CYCLE_1) | instskip(NEXT) | instid1(SALU_CYCLE_1)
	s_ashr_i32 s27, s26, 31
	s_lshl_b64 s[26:27], s[26:27], 2
	s_delay_alu instid0(SALU_CYCLE_1)
	s_add_u32 s26, s4, s26
	s_addc_u32 s27, s37, s27
	s_or_b32 s9, s31, 0x90
	s_load_b32 s48, s[26:27], 0x0
	s_ashr_i32 s13, s9, 4
	s_cmp_lt_i32 s9, s30
	s_cselect_b32 s28, s13, s3
	s_delay_alu instid0(SALU_CYCLE_1) | instskip(NEXT) | instid1(SALU_CYCLE_1)
	s_ashr_i32 s29, s28, 31
	s_lshl_b64 s[28:29], s[28:29], 2
	s_delay_alu instid0(SALU_CYCLE_1) | instskip(SKIP_2) | instid1(SALU_CYCLE_1)
	s_add_u32 s28, s4, s28
	s_addc_u32 s29, s37, s29
	s_or_b32 s9, s31, 0xa0
	s_ashr_i32 s13, s9, 4
	s_cmp_lt_i32 s9, s30
	s_cselect_b32 s38, s13, s3
	s_delay_alu instid0(SALU_CYCLE_1) | instskip(NEXT) | instid1(SALU_CYCLE_1)
	s_ashr_i32 s39, s38, 31
	s_lshl_b64 s[38:39], s[38:39], 2
	s_delay_alu instid0(SALU_CYCLE_1) | instskip(SKIP_2) | instid1(SALU_CYCLE_1)
	s_add_u32 s38, s4, s38
	s_addc_u32 s39, s37, s39
	s_or_b32 s9, s31, 0xb0
	s_ashr_i32 s13, s9, 4
	s_cmp_lt_i32 s9, s30
	s_mul_hi_i32 s9, s8, s5
	s_cselect_b32 s40, s13, s3
	s_mul_i32 s8, s8, s5
	s_ashr_i32 s41, s40, 31
	s_mul_hi_i32 s13, s12, s5
	s_lshl_b64 s[40:41], s[40:41], 2
	s_mul_i32 s12, s12, s5
	s_add_u32 s42, s4, s40
	s_addc_u32 s43, s37, s41
	s_or_b32 s19, s31, 0xc0
	s_delay_alu instid0(SALU_CYCLE_1)
	s_ashr_i32 s21, s19, 4
	s_cmp_lt_i32 s19, s30
	s_mul_hi_i32 s19, s18, s5
	s_cselect_b32 s40, s21, s3
	s_mul_i32 s18, s18, s5
	s_ashr_i32 s41, s40, 31
	s_mul_hi_i32 s21, s20, s5
	s_lshl_b64 s[40:41], s[40:41], 2
	s_mul_i32 s20, s20, s5
	s_add_u32 s44, s4, s40
	s_addc_u32 s45, s37, s41
	s_load_b32 s41, s[28:29], 0x0
	s_or_b32 s40, s31, 0xd0
	s_mul_hi_i32 s23, s15, s5
	s_ashr_i32 s22, s40, 4
	s_cmp_lt_i32 s40, s30
	s_load_b32 s40, s[38:39], 0x0
	s_cselect_b32 s24, s22, s3
	s_mul_i32 s22, s15, s5
	s_ashr_i32 s25, s24, 31
	s_waitcnt lgkmcnt(0)
	s_mul_hi_i32 s29, s48, s5
	s_lshl_b64 s[24:25], s[24:25], 2
	s_mul_i32 s28, s48, s5
	s_add_u32 s24, s4, s24
	s_addc_u32 s25, s37, s25
	s_or_b32 s49, s31, 0xe0
	s_clause 0x2
	s_load_b32 s39, s[42:43], 0x0
	s_load_b32 s38, s[44:45], 0x0
	s_load_b32 s15, s[24:25], 0x0
	s_ashr_i32 s50, s49, 4
	s_cmp_lt_i32 s49, s30
	s_mul_hi_i32 s25, s46, s5
	s_cselect_b32 s44, s50, s3
	s_mul_i32 s24, s46, s5
	s_ashr_i32 s45, s44, 31
	s_mul_hi_i32 s27, s47, s5
	s_lshl_b64 s[44:45], s[44:45], 2
	s_mul_i32 s26, s47, s5
	s_add_u32 s44, s4, s44
	s_addc_u32 s45, s37, s45
	s_or_b32 s46, s31, 0xf0
	s_mul_hi_i32 s43, s41, s5
	s_ashr_i32 s48, s46, 4
	s_cmp_lt_i32 s46, s30
	s_mul_i32 s42, s41, s5
	s_cselect_b32 s48, s48, s3
	s_mul_hi_i32 s41, s40, s5
	s_ashr_i32 s49, s48, 31
	s_mul_i32 s40, s40, s5
	s_lshl_b64 s[48:49], s[48:49], 2
	s_waitcnt lgkmcnt(0)
	s_mul_hi_i32 s47, s39, s5
	s_add_u32 s48, s4, s48
	s_addc_u32 s49, s37, s49
	s_add_u32 s3, s10, s6
	s_addc_u32 s4, s11, s7
	v_add_co_u32 v195, s3, s3, v5
	s_delay_alu instid0(VALU_DEP_1) | instskip(SKIP_2) | instid1(VALU_DEP_2)
	v_add_co_ci_u32_e64 v196, null, s4, 0, s3
	s_lshl_b64 s[6:7], s[8:9], 1
	s_lshl_b64 s[8:9], s[12:13], 1
	v_add_co_u32 v1, vcc_lo, v195, s6
	s_delay_alu instid0(VALU_DEP_2)
	v_add_co_ci_u32_e32 v2, vcc_lo, s7, v196, vcc_lo
	v_add_co_u32 v3, vcc_lo, v195, s8
	s_lshl_b64 s[10:11], s[16:17], 1
	v_add_co_ci_u32_e32 v4, vcc_lo, s9, v196, vcc_lo
	v_add_co_u32 v5, vcc_lo, v195, s10
	s_lshl_b64 s[12:13], s[18:19], 1
	;; [unrolled: 3-line block ×9, first 2 shown]
	s_mul_i32 s46, s39, s5
	v_add_co_ci_u32_e32 v54, vcc_lo, s27, v196, vcc_lo
	v_add_co_u32 v183, vcc_lo, v195, s28
	s_lshl_b64 s[40:41], s[46:47], 1
	s_mul_hi_i32 s39, s38, s5
	s_mul_i32 s38, s38, s5
	v_add_co_ci_u32_e32 v184, vcc_lo, s29, v196, vcc_lo
	v_add_co_u32 v185, vcc_lo, v195, s40
	s_lshl_b64 s[38:39], s[38:39], 1
	s_clause 0x1
	s_load_b32 s3, s[44:45], 0x0
	s_load_b32 s4, s[48:49], 0x0
	v_add_co_ci_u32_e32 v186, vcc_lo, s41, v196, vcc_lo
	v_add_co_u32 v191, vcc_lo, v195, s38
	v_add_co_ci_u32_e32 v192, vcc_lo, s39, v196, vcc_lo
	s_clause 0x17
	global_load_b128 v[121:124], v[1:2], off
	global_load_b128 v[125:128], v[1:2], off offset:16
	global_load_b128 v[113:116], v[3:4], off
	global_load_b128 v[117:120], v[3:4], off offset:16
	;; [unrolled: 2-line block ×12, first 2 shown]
	s_mul_hi_i32 s51, s15, s5
	s_mul_i32 s50, s15, s5
	s_delay_alu instid0(SALU_CYCLE_1) | instskip(NEXT) | instid1(SALU_CYCLE_1)
	s_lshl_b64 s[42:43], s[50:51], 1
	v_add_co_u32 v193, vcc_lo, v195, s42
	v_add_co_ci_u32_e32 v194, vcc_lo, s43, v196, vcc_lo
	s_waitcnt lgkmcnt(0)
	s_mul_hi_i32 s7, s3, s5
	s_mul_i32 s6, s3, s5
	s_mul_hi_i32 s9, s4, s5
	s_lshl_b64 s[6:7], s[6:7], 1
	s_mul_i32 s8, s4, s5
	s_delay_alu instid0(SALU_CYCLE_1)
	s_lshl_b64 s[4:5], s[8:9], 1
	s_waitcnt vmcnt(38)
	v_wmma_f32_16x16x16_f16 v[183:190], v[9:16], v[159:166], v[129:136]
	s_waitcnt vmcnt(36)
	v_wmma_f32_16x16x16_f16 v[129:136], v[137:144], v[159:166], v[129:136]
	s_clause 0x1
	global_load_b128 v[9:12], v[191:192], off
	global_load_b128 v[13:16], v[191:192], off offset:16
	ds_load_b128 v[137:140], v197 offset:2048
	ds_load_b128 v[141:144], v197 offset:3072
	;; [unrolled: 1-line block ×4, first 2 shown]
	v_add_co_u32 v191, vcc_lo, v195, s6
	v_add_co_ci_u32_e32 v192, vcc_lo, s7, v196, vcc_lo
	v_add_co_u32 v195, vcc_lo, v195, s4
	v_add_co_ci_u32_e32 v196, vcc_lo, s5, v196, vcc_lo
	s_waitcnt vmcnt(36) lgkmcnt(2)
	v_wmma_f32_16x16x16_f16 v[183:190], v[41:48], v[137:144], v[183:190]
	s_waitcnt vmcnt(34)
	v_wmma_f32_16x16x16_f16 v[129:136], v[33:40], v[137:144], v[129:136]
	s_clause 0x3
	global_load_b128 v[33:36], v[193:194], off
	global_load_b128 v[37:40], v[193:194], off offset:16
	global_load_b128 v[41:44], v[191:192], off
	global_load_b128 v[45:48], v[191:192], off offset:16
	v_and_b32_e32 v137, 0xe0, v0
	v_mbcnt_lo_u32_b32 v191, -1, 0
	s_waitcnt vmcnt(36) lgkmcnt(0)
	v_wmma_f32_16x16x16_f16 v[183:190], v[17:24], v[159:166], v[183:190]
	s_clause 0x1
	global_load_b128 v[17:20], v[195:196], off
	global_load_b128 v[21:24], v[195:196], off offset:16
	s_waitcnt vmcnt(36)
	v_wmma_f32_16x16x16_f16 v[129:136], v[151:158], v[159:166], v[129:136]
	v_add_nc_u32_e32 v192, s31, v137
	ds_load_b128 v[137:140], v197 offset:6144
	ds_load_b128 v[141:144], v197 offset:7168
	v_xor_b32_e32 v151, 16, v191
	s_waitcnt vmcnt(0) lgkmcnt(0)
	s_barrier
	v_or_b32_e32 v152, v192, v146
	buffer_gl0_inv
	v_cmp_gt_i32_e32 vcc_lo, 32, v151
	v_or_b32_e32 v153, 2, v152
	v_or_b32_e32 v154, 4, v152
	;; [unrolled: 1-line block ×5, first 2 shown]
	v_cmp_gt_i32_e64 s3, s30, v153
	v_cmp_gt_i32_e64 s4, s30, v154
	;; [unrolled: 1-line block ×3, first 2 shown]
	v_or_b32_e32 v158, 12, v152
	v_or_b32_e32 v159, 14, v152
	v_cmp_gt_i32_e64 s6, s30, v156
	v_wmma_f32_16x16x16_f16 v[183:190], v[167:174], v[137:144], v[183:190]
	v_wmma_f32_16x16x16_f16 v[129:136], v[175:182], v[137:144], v[129:136]
	v_cndmask_b32_e32 v151, v191, v151, vcc_lo
	v_cmp_gt_i32_e32 vcc_lo, s30, v152
	v_cmp_gt_i32_e64 s7, s30, v157
	v_dual_mul_f32 v143, s36, v184 :: v_dual_mul_f32 v144, s36, v183
	v_dual_mul_f32 v141, s36, v186 :: v_dual_mul_f32 v142, s36, v185
	;; [unrolled: 1-line block ×3, first 2 shown]
	s_delay_alu instid0(VALU_DEP_3) | instskip(NEXT) | instid1(VALU_DEP_4)
	v_cndmask_b32_e32 v144, 0xff7fffff, v144, vcc_lo
	v_cndmask_b32_e64 v143, 0xff7fffff, v143, s3
	v_mul_f32_e32 v140, s36, v187
	v_cndmask_b32_e64 v142, 0xff7fffff, v142, s4
	v_cndmask_b32_e64 v141, 0xff7fffff, v141, s5
	v_or_b32_e32 v160, 16, v152
	v_max3_f32 v143, v144, 0xff7fffff, v143
	v_or_b32_e32 v161, 18, v152
	v_dual_mul_f32 v137, s36, v190 :: v_dual_mul_f32 v138, s36, v189
	v_cndmask_b32_e64 v140, 0xff7fffff, v140, s6
	v_cndmask_b32_e64 v139, 0xff7fffff, v139, s7
	v_max3_f32 v141, v143, v142, v141
	v_cmp_gt_i32_e64 s8, s30, v158
	v_cmp_gt_i32_e64 s9, s30, v159
	v_or_b32_e32 v162, 20, v152
	v_or_b32_e32 v163, 22, v152
	v_mul_f32_e32 v175, s36, v129
	v_cndmask_b32_e64 v138, 0xff7fffff, v138, s8
	v_cndmask_b32_e64 v137, 0xff7fffff, v137, s9
	v_max3_f32 v139, v141, v140, v139
	v_cmp_gt_i32_e64 s10, s30, v160
	v_cmp_gt_i32_e64 s11, s30, v161
	v_or_b32_e32 v164, 24, v152
	v_or_b32_e32 v165, 26, v152
	v_dual_mul_f32 v172, s36, v132 :: v_dual_mul_f32 v173, s36, v131
	v_cndmask_b32_e64 v140, 0xff7fffff, v175, s10
	v_cndmask_b32_e64 v141, 0xff7fffff, v174, s11
	v_max3_f32 v137, v139, v138, v137
	v_cmp_gt_i32_e64 s12, s30, v162
	v_cmp_gt_i32_e64 s13, s30, v163
	v_or_b32_e32 v166, 28, v152
	v_or_b32_e32 v167, 30, v152
	v_dual_mul_f32 v170, s36, v134 :: v_dual_mul_f32 v171, s36, v133
	v_cndmask_b32_e64 v138, 0xff7fffff, v173, s12
	v_cndmask_b32_e64 v139, 0xff7fffff, v172, s13
	v_max3_f32 v137, v137, v140, v141
	v_cmp_gt_i32_e64 s15, s30, v164
	v_cmp_gt_i32_e64 s16, s30, v165
	v_dual_mul_f32 v168, s36, v136 :: v_dual_mul_f32 v169, s36, v135
	s_delay_alu instid0(VALU_DEP_4) | instskip(NEXT) | instid1(VALU_DEP_4)
	v_max3_f32 v137, v137, v138, v139
	v_cndmask_b32_e64 v140, 0xff7fffff, v171, s15
	s_delay_alu instid0(VALU_DEP_4) | instskip(SKIP_3) | instid1(VALU_DEP_4)
	v_cndmask_b32_e64 v141, 0xff7fffff, v170, s16
	v_cmp_gt_i32_e64 s17, s30, v166
	v_cmp_gt_i32_e64 s18, s30, v167
	v_lshlrev_b32_e32 v160, 2, v151
	v_max3_f32 v137, v137, v140, v141
	s_delay_alu instid0(VALU_DEP_4) | instskip(NEXT) | instid1(VALU_DEP_4)
	v_cndmask_b32_e64 v138, 0xff7fffff, v169, s17
	v_cndmask_b32_e64 v139, 0xff7fffff, v168, s18
	s_delay_alu instid0(VALU_DEP_1) | instskip(SKIP_3) | instid1(VALU_DEP_1)
	v_max3_f32 v137, v137, v138, v139
	ds_bpermute_b32 v138, v160, v137
	s_waitcnt lgkmcnt(0)
	v_max_f32_e32 v138, v138, v138
	v_max_f32_e32 v137, v137, v138
	s_delay_alu instid0(VALU_DEP_1) | instskip(SKIP_4) | instid1(VALU_DEP_4)
	v_fma_f32 v143, s36, v187, -v137
	v_fma_f32 v130, s36, v130, -v137
	;; [unrolled: 1-line block ×5, first 2 shown]
	v_dual_mul_f32 v143, 0x3fb8aa3b, v143 :: v_dual_mul_f32 v130, 0x3fb8aa3b, v130
	s_delay_alu instid0(VALU_DEP_4) | instskip(SKIP_2) | instid1(VALU_DEP_4)
	v_mul_f32_e32 v140, 0x3fb8aa3b, v140
	v_fma_f32 v152, s36, v189, -v137
	v_fma_f32 v139, s36, v184, -v137
	v_exp_f32_e32 v143, v143
	v_mul_f32_e32 v138, 0x3fb8aa3b, v138
	v_exp_f32_e32 v140, v140
	v_mul_f32_e32 v152, 0x3fb8aa3b, v152
	v_fma_f32 v153, s36, v190, -v137
	v_fma_f32 v144, s36, v188, -v137
	v_exp_f32_e32 v138, v138
	v_fma_f32 v129, s36, v129, -v137
	v_exp_f32_e32 v152, v152
	v_fma_f32 v134, s36, v134, -v137
	v_cndmask_b32_e64 v143, 0, v143, s6
	v_dual_mul_f32 v141, 0x3fb8aa3b, v141 :: v_dual_mul_f32 v144, 0x3fb8aa3b, v144
	v_fma_f32 v132, s36, v132, -v137
	v_mul_f32_e32 v129, 0x3fb8aa3b, v129
	v_exp_f32_e32 v130, v130
	s_delay_alu instid0(VALU_DEP_3)
	v_exp_f32_e32 v151, v141
	v_cndmask_b32_e64 v141, 0, v140, s4
	v_dual_mul_f32 v132, 0x3fb8aa3b, v132 :: v_dual_mul_f32 v139, 0x3fb8aa3b, v139
	v_exp_f32_e32 v144, v144
	v_mul_f32_e32 v134, 0x3fb8aa3b, v134
	v_exp_f32_e32 v129, v129
	v_fma_f32 v131, s36, v131, -v137
	v_exp_f32_e32 v142, v139
	v_exp_f32_e32 v132, v132
	v_cndmask_b32_e64 v140, 0, v151, s5
	v_mul_f32_e32 v151, 0x3fb8aa3b, v153
	v_fma_f32 v133, s36, v133, -v137
	s_delay_alu instid0(VALU_DEP_2) | instskip(SKIP_2) | instid1(TRANS32_DEP_3)
	v_exp_f32_e32 v154, v151
	v_cndmask_b32_e64 v151, 0, v152, s8
	v_cndmask_b32_e32 v139, 0, v138, vcc_lo
	v_cndmask_b32_e64 v138, 0, v142, s3
	v_cmp_gt_u32_e64 s3, 16, v150
	s_delay_alu instid0(VALU_DEP_3) | instskip(NEXT) | instid1(VALU_DEP_1)
	v_add_f32_e32 v142, 0, v139
	v_add_f32_e32 v142, v142, v138
	s_delay_alu instid0(VALU_DEP_1) | instskip(NEXT) | instid1(VALU_DEP_1)
	v_add_f32_e32 v142, v142, v141
	v_add_f32_e32 v153, v142, v140
	v_cndmask_b32_e64 v142, 0, v144, s7
	s_delay_alu instid0(VALU_DEP_2) | instskip(SKIP_1) | instid1(VALU_DEP_2)
	v_add_f32_e32 v144, v153, v143
	v_cndmask_b32_e64 v153, 0, v129, s10
	v_add_f32_e32 v152, v144, v142
	v_cndmask_b32_e64 v144, 0, v154, s9
	v_cndmask_b32_e64 v154, 0, v132, s13
	v_fma_f32 v132, s36, v136, -v137
	s_delay_alu instid0(VALU_DEP_4) | instskip(NEXT) | instid1(VALU_DEP_2)
	v_dual_mul_f32 v133, 0x3fb8aa3b, v133 :: v_dual_add_f32 v152, v152, v151
	v_mul_f32_e32 v132, 0x3fb8aa3b, v132
	s_delay_alu instid0(VALU_DEP_2) | instskip(NEXT) | instid1(VALU_DEP_2)
	v_exp_f32_e32 v133, v133
	v_add_f32_e32 v129, v152, v144
	v_cndmask_b32_e64 v152, 0, v130, s11
	v_fma_f32 v130, s36, v135, -v137
	v_mul_f32_e32 v131, 0x3fb8aa3b, v131
	s_delay_alu instid0(VALU_DEP_2) | instskip(NEXT) | instid1(VALU_DEP_2)
	v_dual_add_f32 v129, v129, v153 :: v_dual_mul_f32 v130, 0x3fb8aa3b, v130
	v_exp_f32_e32 v131, v131
	s_delay_alu instid0(TRANS32_DEP_2) | instskip(NEXT) | instid1(VALU_DEP_2)
	v_cndmask_b32_e64 v157, 0, v133, s15
	v_add_f32_e32 v129, v129, v152
	s_delay_alu instid0(VALU_DEP_3) | instskip(SKIP_4) | instid1(VALU_DEP_2)
	v_exp_f32_e32 v130, v130
	s_waitcnt_depctr 0xfff
	v_cndmask_b32_e64 v155, 0, v131, s12
	v_exp_f32_e32 v131, v134
	v_cndmask_b32_e64 v159, 0, v130, s17
	v_add_f32_e32 v129, v129, v155
	s_delay_alu instid0(VALU_DEP_1) | instskip(SKIP_4) | instid1(VALU_DEP_1)
	v_add_f32_e32 v129, v129, v154
	s_waitcnt_depctr 0xfff
	v_cndmask_b32_e64 v156, 0, v131, s16
	v_exp_f32_e32 v131, v132
	v_add_f32_e32 v129, v129, v157
	v_add_f32_e32 v129, v129, v156
	s_waitcnt_depctr 0xfff
	v_cndmask_b32_e64 v158, 0, v131, s18
	v_add_f32_e32 v129, v129, v159
	s_delay_alu instid0(VALU_DEP_1)
	v_add_f32_e32 v129, v129, v158
	ds_bpermute_b32 v130, v160, v129
	s_and_saveexec_b32 s4, s3
	s_cbranch_execz .LBB72_12
; %bb.11:
	v_mul_u32_u24_e32 v131, 0x44, v149
	s_delay_alu instid0(VALU_DEP_1) | instskip(SKIP_1) | instid1(VALU_DEP_1)
	v_lshl_add_u32 v131, v148, 2, v131
	s_waitcnt lgkmcnt(0)
	v_dual_add_f32 v129, v129, v130 :: v_dual_add_nc_u32 v130, 0x4000, v131
	ds_store_2addr_b32 v130, v137, v129 offset1:136
.LBB72_12:
	s_or_b32 exec_lo, exec_lo, s4
	v_lshlrev_b32_e32 v129, 2, v148
	s_load_b32 s36, s[0:1], 0x94
	s_waitcnt lgkmcnt(0)
	s_barrier
	buffer_gl0_inv
	v_add_nc_u32_e32 v135, 0x4000, v129
	v_cmp_eq_u32_e32 vcc_lo, 1, v149
	v_cmp_eq_u32_e64 s4, 2, v149
	v_cmp_eq_u32_e64 s5, 3, v149
	;; [unrolled: 1-line block ×3, first 2 shown]
	ds_load_2addr_b32 v[129:130], v135 offset1:17
	ds_load_2addr_b32 v[131:132], v135 offset0:34 offset1:51
	ds_load_2addr_b32 v[133:134], v135 offset0:68 offset1:85
	;; [unrolled: 1-line block ×3, first 2 shown]
	v_cmp_eq_u32_e64 s7, 5, v149
	v_cmp_eq_u32_e64 s8, 7, v149
	s_waitcnt lgkmcnt(3)
	v_max3_f32 v136, v129, 0xff7fffff, v130
	s_waitcnt lgkmcnt(2)
	s_delay_alu instid0(VALU_DEP_1) | instskip(SKIP_1) | instid1(VALU_DEP_1)
	v_max3_f32 v136, v136, v131, v132
	s_waitcnt lgkmcnt(1)
	v_max3_f32 v136, v136, v133, v134
	s_waitcnt lgkmcnt(0)
	s_delay_alu instid0(VALU_DEP_1) | instskip(NEXT) | instid1(VALU_DEP_1)
	v_max3_f32 v136, v136, v160, v161
	v_sub_f32_e32 v164, v132, v136
	ds_load_2addr_b32 v[162:163], v135 offset0:136 offset1:153
	v_sub_f32_e32 v129, v129, v136
	v_sub_f32_e32 v137, v130, v136
	;; [unrolled: 1-line block ×3, first 2 shown]
	v_mul_f32_e32 v164, 0x3fb8aa3b, v164
	s_delay_alu instid0(VALU_DEP_4) | instskip(NEXT) | instid1(VALU_DEP_4)
	v_mul_f32_e32 v150, 0x3fb8aa3b, v129
	v_mul_f32_e32 v137, 0x3fb8aa3b, v137
	ds_load_2addr_b32 v[129:130], v135 offset0:170 offset1:187
	v_mul_f32_e32 v167, 0x3fb8aa3b, v133
	v_exp_f32_e32 v164, v164
	v_exp_f32_e32 v150, v150
	;; [unrolled: 1-line block ×3, first 2 shown]
	v_sub_f32_e32 v131, v131, v136
	s_delay_alu instid0(VALU_DEP_1)
	v_mul_f32_e32 v165, 0x3fb8aa3b, v131
	ds_load_2addr_b32 v[131:132], v135 offset0:204 offset1:221
	s_waitcnt lgkmcnt(2)
	v_fma_f32 v137, v150, v162, 0
	v_sub_f32_e32 v162, v134, v136
	v_exp_f32_e32 v165, v165
	ds_load_2addr_b32 v[133:134], v135 offset0:238 offset1:255
	v_sub_f32_e32 v135, v160, v136
	v_dual_fmac_f32 v137, v166, v163 :: v_dual_mul_f32 v160, 0x3fb8aa3b, v162
	v_exp_f32_e32 v162, v167
	s_waitcnt lgkmcnt(0)
	s_delay_alu instid0(VALU_DEP_2)
	v_mul_f32_e32 v135, 0x3fb8aa3b, v135
	s_barrier
	v_exp_f32_e32 v160, v160
	v_fmac_f32_e32 v137, v165, v129
	v_sub_f32_e32 v129, v161, v136
	v_exp_f32_e32 v161, v135
	buffer_gl0_inv
	v_fmac_f32_e32 v137, v164, v130
	v_dual_mul_f32 v129, 0x3fb8aa3b, v129 :: v_dual_cndmask_b32 v130, v150, v166
	s_delay_alu instid0(VALU_DEP_2) | instskip(NEXT) | instid1(VALU_DEP_2)
	v_fmac_f32_e32 v137, v162, v131
	v_exp_f32_e32 v163, v129
	s_delay_alu instid0(VALU_DEP_1) | instskip(NEXT) | instid1(VALU_DEP_1)
	v_fmac_f32_e32 v137, v160, v132
	v_fmac_f32_e32 v137, v161, v133
	v_lshlrev_b32_e32 v133, 6, v148
	s_waitcnt_depctr 0xfff
	v_fmac_f32_e32 v137, v163, v134
	v_lshl_or_b32 v135, v149, 11, v133
	s_delay_alu instid0(VALU_DEP_2) | instskip(NEXT) | instid1(VALU_DEP_1)
	v_add_f32_e32 v134, 0x358637bd, v137
	v_div_scale_f32 v167, null, v134, v134, 1.0
	v_div_scale_f32 v150, vcc_lo, 1.0, v134, 1.0
	s_delay_alu instid0(VALU_DEP_2) | instskip(SKIP_2) | instid1(VALU_DEP_1)
	v_rcp_f32_e32 v168, v167
	s_waitcnt_depctr 0xfff
	v_fma_f32 v129, -v167, v168, 1.0
	v_fmac_f32_e32 v168, v129, v168
	v_cndmask_b32_e64 v129, v130, v165, s4
	v_cmp_eq_u32_e64 s4, 6, v149
	s_delay_alu instid0(VALU_DEP_3) | instskip(NEXT) | instid1(VALU_DEP_3)
	v_mul_f32_e32 v165, v150, v168
	v_cndmask_b32_e64 v130, v129, v164, s5
	v_lshlrev_b32_e32 v129, 2, v146
	s_delay_alu instid0(VALU_DEP_3) | instskip(NEXT) | instid1(VALU_DEP_3)
	v_fma_f32 v131, -v167, v165, v150
	v_cndmask_b32_e64 v162, v130, v162, s6
	s_delay_alu instid0(VALU_DEP_3)
	v_or_b32_e32 v130, 1, v129
	v_or_b32_e32 v132, 2, v129
	v_cmp_eq_u32_e64 s5, 1, v129
	v_fmac_f32_e32 v165, v131, v168
	v_cndmask_b32_e64 v149, v162, v160, s7
	v_or_b32_e32 v131, 3, v129
	v_cmp_eq_u32_e64 s10, 1, v130
	v_cmp_eq_u32_e64 s11, 1, v132
	v_fma_f32 v150, -v167, v165, v150
	v_cndmask_b32_e64 v149, v149, v161, s4
	v_cmp_eq_u32_e64 s12, 1, v131
	v_cmp_eq_u32_e64 s6, 2, v129
	;; [unrolled: 1-line block ×3, first 2 shown]
	v_div_fmas_f32 v150, v150, v168, v165
	v_cndmask_b32_e64 v149, v149, v163, s8
	v_cmp_eq_u32_e64 s16, 2, v132
	v_cmp_eq_u32_e64 s17, 2, v131
	v_cmp_eq_u32_e32 vcc_lo, 3, v129
	v_div_fixup_f32 v150, v150, v134, 1.0
	v_lshl_or_b32 v134, v146, 4, v135
	v_cmp_eq_u32_e64 s15, 3, v130
	v_cmp_eq_u32_e64 s19, 3, v131
	;; [unrolled: 1-line block ×3, first 2 shown]
	v_mul_f32_e32 v149, v149, v150
	v_cmp_eq_u32_e64 s18, 3, v132
	v_cmp_eq_u32_e64 s20, 4, v130
	v_cmp_eq_u32_e64 s23, 4, v131
	v_cmp_eq_u32_e64 s7, 5, v129
	v_fma_mixlo_f16 v160, v149, v139, 0
	v_fma_mixlo_f16 v161, v149, v141, 0
	;; [unrolled: 1-line block ×8, first 2 shown]
	v_fma_mixhi_f16 v160, v149, v138, 0
	v_fma_mixhi_f16 v161, v149, v140, 0
	;; [unrolled: 1-line block ×8, first 2 shown]
	ds_store_b128 v134, v[160:163]
	ds_store_b128 v134, v[164:167] offset:1024
	s_waitcnt lgkmcnt(0)
	s_barrier
	buffer_gl0_inv
	ds_load_b128 v[138:141], v135
	ds_load_b128 v[149:152], v135 offset:16
	ds_load_b128 v[153:156], v135 offset:1024
	;; [unrolled: 1-line block ×3, first 2 shown]
	v_cmp_eq_u32_e64 s21, 5, v130
	v_cmp_eq_u32_e64 s22, 4, v132
	;; [unrolled: 1-line block ×12, first 2 shown]
	s_waitcnt lgkmcnt(3)
	v_lshrrev_b32_e32 v142, 16, v138
	s_waitcnt lgkmcnt(2)
	v_lshrrev_b32_e32 v162, 16, v149
	;; [unrolled: 2-line block ×4, first 2 shown]
	v_lshrrev_b32_e32 v143, 16, v139
	v_cndmask_b32_e64 v174, v138, v142, s5
	v_cndmask_b32_e64 v175, v149, v162, s5
	;; [unrolled: 1-line block ×7, first 2 shown]
	v_lshrrev_b32_e32 v163, 16, v150
	v_cndmask_b32_e64 v179, v149, v162, s11
	v_cndmask_b32_e64 v149, v153, v166, s5
	;; [unrolled: 1-line block ×16, first 2 shown]
	v_lshrrev_b32_e32 v167, 16, v154
	v_lshrrev_b32_e32 v171, 16, v158
	v_cndmask_b32_e64 v177, v179, v150, s16
	v_cndmask_b32_e64 v142, v149, v154, s6
	;; [unrolled: 1-line block ×7, first 2 shown]
	v_cndmask_b32_e32 v157, v166, v143, vcc_lo
	v_cndmask_b32_e32 v166, v170, v163, vcc_lo
	v_cndmask_b32_e64 v170, v174, v143, s15
	v_cndmask_b32_e64 v174, v175, v163, s15
	;; [unrolled: 1-line block ×4, first 2 shown]
	v_lshrrev_b32_e32 v144, 16, v140
	v_lshrrev_b32_e32 v164, 16, v151
	v_cndmask_b32_e64 v175, v176, v143, s18
	v_cndmask_b32_e64 v176, v177, v163, s18
	v_cndmask_b32_e32 v142, v142, v167, vcc_lo
	v_cndmask_b32_e32 v143, v149, v171, vcc_lo
	v_cndmask_b32_e64 v149, v150, v167, s15
	v_cndmask_b32_e64 v150, v157, v140, s4
	;; [unrolled: 1-line block ×7, first 2 shown]
	v_lshrrev_b32_e32 v168, 16, v155
	v_cndmask_b32_e64 v170, v175, v140, s22
	v_cndmask_b32_e64 v174, v176, v151, s22
	v_cndmask_b32_e64 v140, v142, v155, s4
	v_cndmask_b32_e64 v142, v143, v159, s4
	v_cndmask_b32_e64 v143, v149, v155, s20
	v_cndmask_b32_e64 v149, v150, v144, s7
	v_cndmask_b32_e64 v150, v157, v164, s7
	v_cndmask_b32_e64 v151, v163, v144, s21
	v_cndmask_b32_e64 v157, v166, v164, s21
	v_cndmask_b32_e64 v138, v138, v144, s25
	v_cndmask_b32_e64 v139, v139, v164, s25
	v_lshrrev_b32_e32 v161, 16, v141
	v_lshrrev_b32_e32 v165, 16, v152
	v_cndmask_b32_e64 v163, v170, v144, s24
	v_cndmask_b32_e64 v166, v174, v164, s24
	;; [unrolled: 1-line block ×9, first 2 shown]
	v_lshrrev_b32_e32 v169, 16, v156
	v_cndmask_b32_e64 v140, v140, v168, s7
	v_cndmask_b32_e64 v157, v163, v141, s27
	;; [unrolled: 1-line block ×14, first 2 shown]
	v_perm_b32 v141, v139, v138, 0x5040100
	v_perm_b32 v139, v151, v149, 0x5040100
	v_cndmask_b32_e64 v138, v183, v158, s16
	v_cndmask_b32_e64 v149, v181, v158, s13
	;; [unrolled: 1-line block ×3, first 2 shown]
	v_perm_b32 v140, v152, v150, 0x5040100
	v_cndmask_b32_e64 v150, v162, v167, s18
	v_cndmask_b32_e64 v151, v153, v167, s19
	;; [unrolled: 1-line block ×5, first 2 shown]
	v_lshrrev_b32_e32 v172, 16, v159
	v_cndmask_b32_e64 v150, v150, v155, s22
	v_cndmask_b32_e64 v151, v151, v155, s23
	;; [unrolled: 1-line block ×11, first 2 shown]
	v_lshrrev_b32_e32 v173, 16, v160
	v_cndmask_b32_e64 v142, v142, v160, s8
	v_cndmask_b32_e64 v150, v150, v156, s27
	;; [unrolled: 1-line block ×12, first 2 shown]
	v_perm_b32 v138, v144, v143, 0x5040100
	v_perm_b32 v152, v152, v151, 0x5040100
	;; [unrolled: 1-line block ×5, first 2 shown]
	s_mul_i32 s8, s35, 15
	s_mov_b32 s4, exec_lo
	ds_store_b128 v134, v[138:141]
	ds_store_b128 v134, v[149:152] offset:1024
	v_cmpx_gt_u32_e32 15, v0
	s_cbranch_execz .LBB72_14
; %bb.13:
	s_mul_i32 s5, s8, s34
	s_load_b128 s[16:19], s[0:1], 0x58
	v_add3_u32 v140, s5, s33, v148
	s_delay_alu instid0(VALU_DEP_1) | instskip(NEXT) | instid1(VALU_DEP_1)
	v_mad_u64_u32 v[138:139], null, v140, s36, s[14:15]
	v_ashrrev_i32_e32 v139, 31, v138
	s_delay_alu instid0(VALU_DEP_1) | instskip(SKIP_1) | instid1(VALU_DEP_1)
	v_lshlrev_b64 v[138:139], 2, v[138:139]
	s_waitcnt lgkmcnt(0)
	v_add_co_u32 v140, vcc_lo, s18, v138
	s_delay_alu instid0(VALU_DEP_2)
	v_add_co_ci_u32_e32 v141, vcc_lo, s19, v139, vcc_lo
	v_add_co_u32 v138, vcc_lo, s16, v138
	v_add_co_ci_u32_e32 v139, vcc_lo, s17, v139, vcc_lo
	global_store_b32 v[140:141], v136, off
	global_store_b32 v[138:139], v137, off
.LBB72_14:
	s_or_b32 exec_lo, exec_lo, s4
	s_waitcnt lgkmcnt(0)
	s_waitcnt_vscnt null, 0x0
	s_barrier
	buffer_gl0_inv
	ds_load_b128 v[148:151], v133
	ds_load_b128 v[152:155], v133 offset:16
	ds_load_b128 v[160:163], v133 offset:1040
	;; [unrolled: 1-line block ×5, first 2 shown]
	v_cmp_eq_u32_e32 vcc_lo, 1, v132
	v_mov_b32_e32 v136, 0
	ds_load_b128 v[176:179], v133 offset:3088
	ds_load_b128 v[172:175], v133 offset:3072
	;; [unrolled: 1-line block ×4, first 2 shown]
	v_cmp_eq_u32_e64 s4, 1, v129
	v_cmp_eq_u32_e64 s5, 1, v131
	;; [unrolled: 1-line block ×3, first 2 shown]
	v_mov_b32_e32 v137, v136
	v_mov_b32_e32 v138, v136
	;; [unrolled: 1-line block ×7, first 2 shown]
	v_cmp_eq_u32_e64 s7, 2, v129
	s_waitcnt lgkmcnt(8)
	s_delay_alu instid0(VALU_DEP_2)
	v_wmma_f32_16x16x16_f16 v[136:143], v[121:128], v[148:155], v[136:143]
	ds_load_b128 v[125:128], v133 offset:5136
	ds_load_b128 v[121:124], v133 offset:5120
	s_waitcnt lgkmcnt(8)
	v_wmma_f32_16x16x16_f16 v[136:143], v[113:120], v[156:163], v[136:143]
	ds_load_b128 v[117:120], v133 offset:6160
	ds_load_b128 v[113:116], v133 offset:6144
	s_waitcnt lgkmcnt(8)
	;; [unrolled: 4-line block ×11, first 2 shown]
	s_barrier
	buffer_gl0_inv
	v_wmma_f32_16x16x16_f16 v[136:143], v[1:8], v[73:80], v[136:143]
	s_delay_alu instid0(VALU_DEP_1) | instskip(NEXT) | instid1(VALU_DEP_1)
	v_wmma_f32_16x16x16_f16 v[136:143], v[9:16], v[65:72], v[136:143]
	v_wmma_f32_16x16x16_f16 v[136:143], v[33:40], v[57:64], v[136:143]
	s_delay_alu instid0(VALU_DEP_1) | instskip(NEXT) | instid1(VALU_DEP_1)
	v_wmma_f32_16x16x16_f16 v[136:143], v[41:48], v[49:56], v[136:143]
	v_wmma_f32_16x16x16_f16 v[136:143], v[17:24], v[25:32], v[136:143]
	s_delay_alu instid0(VALU_DEP_1) | instskip(NEXT) | instid1(VALU_DEP_2)
	v_cvt_f16_f32_e64 v1, v136
	v_cvt_f16_f32_e64 v2, v137
	s_delay_alu instid0(VALU_DEP_3) | instskip(NEXT) | instid1(VALU_DEP_4)
	v_cvt_f16_f32_e64 v3, v138
	v_cvt_f16_f32_e64 v4, v139
	;; [unrolled: 1-line block ×6, first 2 shown]
	v_pack_b32_f16 v1, v1, v2
	v_pack_b32_f16 v2, v3, v4
	;; [unrolled: 1-line block ×3, first 2 shown]
	s_delay_alu instid0(VALU_DEP_4)
	v_pack_b32_f16 v4, v7, v8
	ds_store_b128 v134, v[1:4]
	s_waitcnt lgkmcnt(0)
	s_barrier
	buffer_gl0_inv
	ds_load_b128 v[1:4], v135
	ds_load_b128 v[5:8], v135 offset:16
	s_waitcnt lgkmcnt(1)
	v_lshrrev_b32_e32 v9, 16, v1
	s_waitcnt lgkmcnt(0)
	v_lshrrev_b32_e32 v13, 16, v5
	v_lshrrev_b32_e32 v10, 16, v2
	;; [unrolled: 1-line block ×4, first 2 shown]
	v_cndmask_b32_e64 v17, v1, v9, s4
	v_cndmask_b32_e64 v18, v5, v13, s4
	;; [unrolled: 1-line block ×3, first 2 shown]
	v_cmp_eq_u32_e64 s4, 2, v130
	v_cndmask_b32_e64 v20, v5, v13, s6
	v_cndmask_b32_e32 v21, v1, v9, vcc_lo
	v_cndmask_b32_e32 v22, v5, v13, vcc_lo
	v_cndmask_b32_e64 v1, v1, v9, s5
	v_cndmask_b32_e64 v5, v5, v13, s5
	v_cmp_eq_u32_e32 vcc_lo, 2, v132
	v_cmp_eq_u32_e64 s5, 2, v131
	v_cndmask_b32_e64 v9, v17, v2, s7
	v_cndmask_b32_e64 v13, v18, v6, s7
	;; [unrolled: 1-line block ×4, first 2 shown]
	v_cndmask_b32_e32 v19, v21, v2, vcc_lo
	v_cmp_eq_u32_e64 s4, 3, v132
	v_cndmask_b32_e32 v20, v22, v6, vcc_lo
	v_cndmask_b32_e64 v1, v1, v2, s5
	v_cmp_eq_u32_e32 vcc_lo, 3, v131
	v_cmp_eq_u32_e64 s6, 3, v129
	v_cndmask_b32_e64 v2, v5, v6, s5
	v_cmp_eq_u32_e64 s5, 3, v130
	v_cmp_eq_u32_e64 s7, 4, v129
	v_cndmask_b32_e32 v1, v1, v10, vcc_lo
	v_cndmask_b32_e64 v5, v9, v10, s6
	v_cndmask_b32_e64 v6, v13, v14, s6
	;; [unrolled: 1-line block ×3, first 2 shown]
	v_cmp_eq_u32_e64 s6, 4, v130
	v_cndmask_b32_e64 v13, v18, v14, s5
	v_cndmask_b32_e64 v17, v19, v10, s4
	;; [unrolled: 1-line block ×3, first 2 shown]
	v_cndmask_b32_e32 v2, v2, v14, vcc_lo
	v_cmp_eq_u32_e32 vcc_lo, 4, v132
	v_cmp_eq_u32_e64 s5, 4, v131
	v_lshrrev_b32_e32 v15, 16, v7
	v_cndmask_b32_e64 v5, v5, v3, s7
	v_cndmask_b32_e64 v6, v6, v7, s7
	v_cndmask_b32_e32 v14, v18, v7, vcc_lo
	v_cndmask_b32_e64 v9, v9, v3, s6
	v_cndmask_b32_e64 v10, v13, v7, s6
	v_cndmask_b32_e32 v13, v17, v3, vcc_lo
	v_cmp_eq_u32_e64 s4, 5, v132
	v_cndmask_b32_e64 v1, v1, v3, s5
	v_cmp_eq_u32_e32 vcc_lo, 5, v131
	v_cmp_eq_u32_e64 s6, 5, v129
	v_cndmask_b32_e64 v2, v2, v7, s5
	v_cmp_eq_u32_e64 s5, 5, v130
	v_cmp_eq_u32_e64 s7, 6, v129
	v_lshrrev_b32_e32 v12, 16, v4
	v_cndmask_b32_e64 v3, v5, v11, s6
	v_cndmask_b32_e64 v5, v6, v15, s6
	;; [unrolled: 1-line block ×3, first 2 shown]
	v_cmp_eq_u32_e64 s6, 6, v130
	v_cndmask_b32_e64 v7, v10, v15, s5
	v_cndmask_b32_e64 v9, v13, v11, s4
	;; [unrolled: 1-line block ×3, first 2 shown]
	v_cndmask_b32_e32 v1, v1, v11, vcc_lo
	v_cndmask_b32_e32 v2, v2, v15, vcc_lo
	v_cmp_eq_u32_e32 vcc_lo, 6, v132
	v_cmp_eq_u32_e64 s4, 6, v131
	v_lshrrev_b32_e32 v16, 16, v8
	v_cndmask_b32_e64 v3, v3, v4, s7
	v_cndmask_b32_e64 v5, v5, v8, s7
	v_cndmask_b32_e32 v9, v9, v4, vcc_lo
	v_cndmask_b32_e64 v6, v6, v4, s6
	v_cndmask_b32_e64 v7, v7, v8, s6
	v_cmp_eq_u32_e64 s5, 7, v132
	v_cndmask_b32_e32 v10, v10, v8, vcc_lo
	v_cndmask_b32_e64 v1, v1, v4, s4
	v_cmp_eq_u32_e32 vcc_lo, 7, v131
	v_cndmask_b32_e64 v2, v2, v8, s4
	v_cmp_eq_u32_e64 s4, 7, v129
	v_cmp_eq_u32_e64 s6, 7, v130
	v_cndmask_b32_e32 v1, v1, v12, vcc_lo
	s_delay_alu instid0(VALU_DEP_4) | instskip(NEXT) | instid1(VALU_DEP_4)
	v_cndmask_b32_e32 v2, v2, v16, vcc_lo
	v_cndmask_b32_e64 v8, v3, v12, s4
	s_delay_alu instid0(VALU_DEP_4)
	v_cndmask_b32_e64 v6, v6, v12, s6
	v_cndmask_b32_e64 v3, v9, v12, s5
	;; [unrolled: 1-line block ×5, first 2 shown]
	v_cmp_gt_u32_e32 vcc_lo, 32, v0
	v_perm_b32 v4, v2, v1, 0x5040100
	v_perm_b32 v3, v9, v3, 0x5040100
	;; [unrolled: 1-line block ×4, first 2 shown]
	s_and_b32 s2, vcc_lo, s2
	ds_store_b128 v134, v[1:4]
	s_waitcnt lgkmcnt(0)
	s_barrier
	buffer_gl0_inv
	s_and_saveexec_b32 s4, s2
	s_cbranch_execz .LBB72_2
; %bb.15:
	s_load_b64 s[4:5], s[0:1], 0x68
	v_add_nc_u32_e32 v20, s33, v146
	v_lshlrev_b32_e32 v0, 10, v0
	v_lshlrev_b32_e32 v1, 4, v147
	s_lshl_b32 s0, s36, 6
	s_delay_alu instid0(SALU_CYCLE_1)
	s_mul_i32 s1, s0, s34
	v_add_nc_u32_e32 v2, 2, v20
	s_mul_i32 s6, s1, s8
	v_and_or_b32 v0, 0x3800, v0, v1
	v_mul_lo_u32 v1, v20, s0
	s_ashr_i32 s7, s6, 31
	v_mul_lo_u32 v11, v2, s0
	s_lshl_b64 s[6:7], s[6:7], 1
	v_add_nc_u32_e32 v3, 4, v20
	v_lshl_or_b32 v21, v146, 6, v0
	v_add_nc_u32_e32 v16, 6, v20
	v_ashrrev_i32_e32 v2, 31, v1
	s_delay_alu instid0(VALU_DEP_4)
	v_mul_lo_u32 v13, v3, s0
	s_waitcnt lgkmcnt(0)
	s_add_u32 s1, s4, s6
	s_addc_u32 s2, s5, s7
	s_lshl_b32 s4, s14, 6
	ds_load_b128 v[3:6], v21
	ds_load_b128 v[7:10], v21 offset:128
	s_ashr_i32 s5, s4, 31
	v_ashrrev_i32_e32 v12, 31, v11
	s_lshl_b64 s[4:5], s[4:5], 1
	v_lshlrev_b64 v[14:15], 1, v[1:2]
	s_add_u32 s1, s1, s4
	s_addc_u32 s2, s2, s5
	v_add_co_u32 v1, s1, s1, v145
	s_delay_alu instid0(VALU_DEP_1) | instskip(SKIP_1) | instid1(VALU_DEP_3)
	v_add_co_ci_u32_e64 v2, null, s2, 0, s1
	v_lshlrev_b64 v[11:12], 1, v[11:12]
	v_add_co_u32 v18, vcc_lo, v1, v14
	v_mul_lo_u32 v16, v16, s0
	s_delay_alu instid0(VALU_DEP_4) | instskip(NEXT) | instid1(VALU_DEP_4)
	v_add_co_ci_u32_e32 v19, vcc_lo, v2, v15, vcc_lo
	v_add_co_u32 v11, vcc_lo, v1, v11
	v_ashrrev_i32_e32 v14, 31, v13
	v_add_co_ci_u32_e32 v12, vcc_lo, v2, v12, vcc_lo
	v_add_nc_u32_e32 v15, 8, v20
	v_ashrrev_i32_e32 v17, 31, v16
	s_waitcnt lgkmcnt(1)
	global_store_b128 v[18:19], v[3:6], off
	v_lshlrev_b64 v[3:4], 1, v[13:14]
	s_waitcnt lgkmcnt(0)
	global_store_b128 v[11:12], v[7:10], off
	v_mul_lo_u32 v11, v15, s0
	v_add_nc_u32_e32 v7, 10, v20
	v_lshlrev_b64 v[5:6], 1, v[16:17]
	v_add_co_u32 v23, vcc_lo, v1, v3
	v_add_nc_u32_e32 v3, 12, v20
	s_delay_alu instid0(VALU_DEP_4)
	v_mul_lo_u32 v25, v7, s0
	v_ashrrev_i32_e32 v12, 31, v11
	v_add_co_ci_u32_e32 v24, vcc_lo, v2, v4, vcc_lo
	v_add_co_u32 v27, vcc_lo, v1, v5
	v_mul_lo_u32 v29, v3, s0
	v_add_co_ci_u32_e32 v28, vcc_lo, v2, v6, vcc_lo
	ds_load_b128 v[3:6], v21 offset:256
	ds_load_b128 v[7:10], v21 offset:384
	v_lshlrev_b64 v[31:32], 1, v[11:12]
	ds_load_b128 v[11:14], v21 offset:512
	ds_load_b128 v[15:18], v21 offset:640
	;; [unrolled: 1-line block ×3, first 2 shown]
	v_ashrrev_i32_e32 v26, 31, v25
	v_ashrrev_i32_e32 v30, 31, v29
	v_add_co_u32 v31, vcc_lo, v1, v31
	s_delay_alu instid0(VALU_DEP_3) | instskip(NEXT) | instid1(VALU_DEP_3)
	v_lshlrev_b64 v[25:26], 1, v[25:26]
	v_lshlrev_b64 v[29:30], 1, v[29:30]
	v_add_co_ci_u32_e32 v32, vcc_lo, v2, v32, vcc_lo
	s_delay_alu instid0(VALU_DEP_3) | instskip(NEXT) | instid1(VALU_DEP_4)
	v_add_co_u32 v25, vcc_lo, v1, v25
	v_add_co_ci_u32_e32 v26, vcc_lo, v2, v26, vcc_lo
	s_delay_alu instid0(VALU_DEP_4)
	v_add_co_u32 v29, vcc_lo, v1, v29
	v_add_co_ci_u32_e32 v30, vcc_lo, v2, v30, vcc_lo
	s_waitcnt lgkmcnt(4)
	global_store_b128 v[23:24], v[3:6], off
	s_waitcnt lgkmcnt(3)
	global_store_b128 v[27:28], v[7:10], off
	;; [unrolled: 2-line block ×5, first 2 shown]
	s_and_b32 exec_lo, exec_lo, s3
	s_cbranch_execz .LBB72_2
; %bb.16:
	ds_load_b128 v[3:6], v0 offset:896
	s_add_i32 s1, s33, 14
	s_delay_alu instid0(SALU_CYCLE_1) | instskip(NEXT) | instid1(SALU_CYCLE_1)
	s_mul_i32 s0, s1, s0
	s_ashr_i32 s1, s0, 31
	s_delay_alu instid0(SALU_CYCLE_1) | instskip(NEXT) | instid1(SALU_CYCLE_1)
	s_lshl_b64 s[0:1], s[0:1], 1
	v_add_co_u32 v0, vcc_lo, v1, s0
	v_add_co_ci_u32_e32 v1, vcc_lo, s1, v2, vcc_lo
	s_waitcnt lgkmcnt(0)
	global_store_b128 v[0:1], v[3:6], off
	s_nop 0
	s_sendmsg sendmsg(MSG_DEALLOC_VGPRS)
	s_endpgm
	.section	.rodata,"a",@progbits
	.p2align	6, 0x0
	.amdhsa_kernel _Z39paged_attention_ll4mi_QKV_mfma16_kernelIDF16_DF16_LN4vllm18Fp8KVCacheDataTypeE0EDF16_Li16ELi64ELi256ELb1ELi15EL8MFMAType0EEvPKT_PKT0_S8_ifPKiSA_SA_iPKfiiiPfSD_PS3_PT2_iSC_SC_
		.amdhsa_group_segment_fixed_size 17472
		.amdhsa_private_segment_fixed_size 0
		.amdhsa_kernarg_size 400
		.amdhsa_user_sgpr_count 13
		.amdhsa_user_sgpr_dispatch_ptr 0
		.amdhsa_user_sgpr_queue_ptr 0
		.amdhsa_user_sgpr_kernarg_segment_ptr 1
		.amdhsa_user_sgpr_dispatch_id 0
		.amdhsa_user_sgpr_private_segment_size 0
		.amdhsa_wavefront_size32 1
		.amdhsa_uses_dynamic_stack 0
		.amdhsa_enable_private_segment 0
		.amdhsa_system_sgpr_workgroup_id_x 1
		.amdhsa_system_sgpr_workgroup_id_y 1
		.amdhsa_system_sgpr_workgroup_id_z 1
		.amdhsa_system_sgpr_workgroup_info 0
		.amdhsa_system_vgpr_workitem_id 0
		.amdhsa_next_free_vgpr 198
		.amdhsa_next_free_sgpr 52
		.amdhsa_reserve_vcc 1
		.amdhsa_float_round_mode_32 0
		.amdhsa_float_round_mode_16_64 0
		.amdhsa_float_denorm_mode_32 3
		.amdhsa_float_denorm_mode_16_64 3
		.amdhsa_dx10_clamp 1
		.amdhsa_ieee_mode 1
		.amdhsa_fp16_overflow 0
		.amdhsa_workgroup_processor_mode 1
		.amdhsa_memory_ordered 1
		.amdhsa_forward_progress 0
		.amdhsa_shared_vgpr_count 0
		.amdhsa_exception_fp_ieee_invalid_op 0
		.amdhsa_exception_fp_denorm_src 0
		.amdhsa_exception_fp_ieee_div_zero 0
		.amdhsa_exception_fp_ieee_overflow 0
		.amdhsa_exception_fp_ieee_underflow 0
		.amdhsa_exception_fp_ieee_inexact 0
		.amdhsa_exception_int_div_zero 0
	.end_amdhsa_kernel
	.section	.text._Z39paged_attention_ll4mi_QKV_mfma16_kernelIDF16_DF16_LN4vllm18Fp8KVCacheDataTypeE0EDF16_Li16ELi64ELi256ELb1ELi15EL8MFMAType0EEvPKT_PKT0_S8_ifPKiSA_SA_iPKfiiiPfSD_PS3_PT2_iSC_SC_,"axG",@progbits,_Z39paged_attention_ll4mi_QKV_mfma16_kernelIDF16_DF16_LN4vllm18Fp8KVCacheDataTypeE0EDF16_Li16ELi64ELi256ELb1ELi15EL8MFMAType0EEvPKT_PKT0_S8_ifPKiSA_SA_iPKfiiiPfSD_PS3_PT2_iSC_SC_,comdat
.Lfunc_end72:
	.size	_Z39paged_attention_ll4mi_QKV_mfma16_kernelIDF16_DF16_LN4vllm18Fp8KVCacheDataTypeE0EDF16_Li16ELi64ELi256ELb1ELi15EL8MFMAType0EEvPKT_PKT0_S8_ifPKiSA_SA_iPKfiiiPfSD_PS3_PT2_iSC_SC_, .Lfunc_end72-_Z39paged_attention_ll4mi_QKV_mfma16_kernelIDF16_DF16_LN4vllm18Fp8KVCacheDataTypeE0EDF16_Li16ELi64ELi256ELb1ELi15EL8MFMAType0EEvPKT_PKT0_S8_ifPKiSA_SA_iPKfiiiPfSD_PS3_PT2_iSC_SC_
                                        ; -- End function
	.section	.AMDGPU.csdata,"",@progbits
; Kernel info:
; codeLenInByte = 8068
; NumSgprs: 54
; NumVgprs: 198
; ScratchSize: 0
; MemoryBound: 0
; FloatMode: 240
; IeeeMode: 1
; LDSByteSize: 17472 bytes/workgroup (compile time only)
; SGPRBlocks: 6
; VGPRBlocks: 24
; NumSGPRsForWavesPerEU: 54
; NumVGPRsForWavesPerEU: 198
; Occupancy: 7
; WaveLimiterHint : 1
; COMPUTE_PGM_RSRC2:SCRATCH_EN: 0
; COMPUTE_PGM_RSRC2:USER_SGPR: 13
; COMPUTE_PGM_RSRC2:TRAP_HANDLER: 0
; COMPUTE_PGM_RSRC2:TGID_X_EN: 1
; COMPUTE_PGM_RSRC2:TGID_Y_EN: 1
; COMPUTE_PGM_RSRC2:TGID_Z_EN: 1
; COMPUTE_PGM_RSRC2:TIDIG_COMP_CNT: 0
	.section	.text._Z39paged_attention_ll4mi_QKV_mfma16_kernelIDF16_DF16_LN4vllm18Fp8KVCacheDataTypeE0EDF16_Li16ELi64ELi256ELb1ELi16EL8MFMAType0EEvPKT_PKT0_S8_ifPKiSA_SA_iPKfiiiPfSD_PS3_PT2_iSC_SC_,"axG",@progbits,_Z39paged_attention_ll4mi_QKV_mfma16_kernelIDF16_DF16_LN4vllm18Fp8KVCacheDataTypeE0EDF16_Li16ELi64ELi256ELb1ELi16EL8MFMAType0EEvPKT_PKT0_S8_ifPKiSA_SA_iPKfiiiPfSD_PS3_PT2_iSC_SC_,comdat
	.protected	_Z39paged_attention_ll4mi_QKV_mfma16_kernelIDF16_DF16_LN4vllm18Fp8KVCacheDataTypeE0EDF16_Li16ELi64ELi256ELb1ELi16EL8MFMAType0EEvPKT_PKT0_S8_ifPKiSA_SA_iPKfiiiPfSD_PS3_PT2_iSC_SC_ ; -- Begin function _Z39paged_attention_ll4mi_QKV_mfma16_kernelIDF16_DF16_LN4vllm18Fp8KVCacheDataTypeE0EDF16_Li16ELi64ELi256ELb1ELi16EL8MFMAType0EEvPKT_PKT0_S8_ifPKiSA_SA_iPKfiiiPfSD_PS3_PT2_iSC_SC_
	.globl	_Z39paged_attention_ll4mi_QKV_mfma16_kernelIDF16_DF16_LN4vllm18Fp8KVCacheDataTypeE0EDF16_Li16ELi64ELi256ELb1ELi16EL8MFMAType0EEvPKT_PKT0_S8_ifPKiSA_SA_iPKfiiiPfSD_PS3_PT2_iSC_SC_
	.p2align	8
	.type	_Z39paged_attention_ll4mi_QKV_mfma16_kernelIDF16_DF16_LN4vllm18Fp8KVCacheDataTypeE0EDF16_Li16ELi64ELi256ELb1ELi16EL8MFMAType0EEvPKT_PKT0_S8_ifPKiSA_SA_iPKfiiiPfSD_PS3_PT2_iSC_SC_,@function
_Z39paged_attention_ll4mi_QKV_mfma16_kernelIDF16_DF16_LN4vllm18Fp8KVCacheDataTypeE0EDF16_Li16ELi64ELi256ELb1ELi16EL8MFMAType0EEvPKT_PKT0_S8_ifPKiSA_SA_iPKfiiiPfSD_PS3_PT2_iSC_SC_: ; @_Z39paged_attention_ll4mi_QKV_mfma16_kernelIDF16_DF16_LN4vllm18Fp8KVCacheDataTypeE0EDF16_Li16ELi64ELi256ELb1ELi16EL8MFMAType0EEvPKT_PKT0_S8_ifPKiSA_SA_iPKfiiiPfSD_PS3_PT2_iSC_SC_
; %bb.0:
	s_load_b64 s[2:3], s[0:1], 0x30
	s_mov_b32 s34, s13
	s_waitcnt lgkmcnt(0)
	s_cmp_lg_u64 s[2:3], 0
	s_cselect_b32 s6, -1, 0
	s_ashr_i32 s35, s13, 31
	s_cmp_eq_u64 s[2:3], 0
	s_cbranch_scc1 .LBB73_3
; %bb.1:
	s_lshl_b64 s[4:5], s[34:35], 2
	s_delay_alu instid0(SALU_CYCLE_1) | instskip(SKIP_4) | instid1(SALU_CYCLE_1)
	s_add_u32 s4, s2, s4
	s_addc_u32 s5, s3, s5
	s_load_b64 s[4:5], s[4:5], 0x0
	s_waitcnt lgkmcnt(0)
	s_sub_i32 s4, s5, s4
	s_cmp_eq_u32 s4, 1
	s_cselect_b32 s4, -1, 0
	s_delay_alu instid0(SALU_CYCLE_1)
	s_and_not1_b32 vcc_lo, exec_lo, s4
	s_cbranch_vccz .LBB73_4
.LBB73_2:
	s_endpgm
.LBB73_3:
.LBB73_4:
	s_load_b64 s[8:9], s[0:1], 0x28
	s_lshl_b64 s[4:5], s[34:35], 2
	s_waitcnt lgkmcnt(0)
	s_add_u32 s8, s8, s4
	s_addc_u32 s9, s9, s5
	s_lshl_b32 s35, s14, 8
	s_load_b32 s30, s[8:9], 0x0
	s_waitcnt lgkmcnt(0)
	s_cmp_ge_i32 s35, s30
	s_cbranch_scc1 .LBB73_2
; %bb.5:
	s_clause 0x1
	s_load_b128 s[8:11], s[0:1], 0x8
	s_load_b64 s[12:13], s[0:1], 0x20
	s_and_not1_b32 vcc_lo, exec_lo, s6
	s_cbranch_vccnz .LBB73_7
; %bb.6:
	s_add_u32 s2, s2, s4
	s_addc_u32 s3, s3, s5
	s_load_b32 s3, s[2:3], 0x0
	s_branch .LBB73_8
.LBB73_7:
	s_mov_b32 s3, s34
.LBB73_8:
	s_load_b128 s[4:7], s[0:1], 0x48
	v_and_b32_e32 v150, 15, v0
	v_cmp_gt_u32_e32 vcc_lo, 0x100, v0
	v_lshrrev_b32_e32 v148, 5, v0
	v_and_b32_e32 v151, 31, v0
	v_and_b32_e32 v147, 1, v0
	v_lshlrev_b32_e32 v1, 3, v150
	v_cmp_gt_u32_e64 s2, 8, v150
	v_bfe_u32 v146, v0, 4, 1
	s_lshl_b32 s31, s15, 4
	s_delay_alu instid0(VALU_DEP_3) | instskip(NEXT) | instid1(VALU_DEP_3)
	v_lshlrev_b32_e32 v145, 1, v1
	s_and_b32 s16, vcc_lo, s2
	s_waitcnt lgkmcnt(0)
	s_and_saveexec_b32 s7, s16
	s_cbranch_execz .LBB73_10
; %bb.9:
	v_lshl_or_b32 v5, v148, 1, v146
	s_load_b64 s[16:17], s[0:1], 0x0
	s_mul_hi_i32 s19, s3, s4
	s_mul_i32 s18, s3, s4
	v_lshlrev_b32_e32 v6, 10, v150
	v_or_b32_e32 v1, s31, v5
	s_lshl_b64 s[18:19], s[18:19], 1
	v_lshlrev_b32_e32 v5, 6, v5
	v_lshlrev_b32_e32 v7, 10, v147
	v_and_b32_e32 v6, 0x3800, v6
	v_lshlrev_b32_e32 v1, 6, v1
	s_delay_alu instid0(VALU_DEP_2) | instskip(NEXT) | instid1(VALU_DEP_2)
	v_or3_b32 v5, v6, v7, v5
	v_ashrrev_i32_e32 v2, 31, v1
	s_delay_alu instid0(VALU_DEP_1) | instskip(SKIP_3) | instid1(VALU_DEP_1)
	v_lshlrev_b64 v[1:2], 1, v[1:2]
	s_waitcnt lgkmcnt(0)
	s_add_u32 s3, s16, s18
	s_addc_u32 s4, s17, s19
	v_add_co_u32 v1, vcc_lo, s3, v1
	s_delay_alu instid0(VALU_DEP_2) | instskip(NEXT) | instid1(VALU_DEP_2)
	v_add_co_ci_u32_e32 v2, vcc_lo, s4, v2, vcc_lo
	v_add_co_u32 v1, vcc_lo, v1, v145
	s_delay_alu instid0(VALU_DEP_2)
	v_add_co_ci_u32_e32 v2, vcc_lo, 0, v2, vcc_lo
	global_load_b128 v[1:4], v[1:2], off
	s_waitcnt vmcnt(0)
	ds_store_b128 v5, v[1:4]
.LBB73_10:
	s_or_b32 exec_lo, exec_lo, s7
	s_mov_b32 s40, 0
	s_add_i32 s3, s30, 15
	s_mov_b32 s41, s40
	s_mov_b32 s42, s40
	;; [unrolled: 1-line block ×7, first 2 shown]
	s_delay_alu instid0(SALU_CYCLE_1)
	v_dual_mov_b32 v136, s47 :: v_dual_and_b32 v1, 0xef, v0
	v_mov_b32_e32 v134, s45
	s_clause 0x1
	s_load_b32 s4, s[0:1], 0x38
	s_load_b32 s33, s[0:1], 0x98
	v_add_nc_u32_e32 v1, s35, v1
	s_ashr_i32 s7, s3, 31
	s_load_b32 s36, s[0:1], 0x1c
	s_lshr_b32 s7, s7, 28
	s_waitcnt lgkmcnt(0)
	v_ashrrev_i32_e32 v2, 31, v1
	s_add_i32 s3, s3, s7
	v_cmp_gt_i32_e32 vcc_lo, s30, v1
	v_mov_b32_e32 v135, s46
	s_ashr_i32 s3, s3, 4
	v_lshrrev_b32_e32 v3, 28, v2
	v_or_b32_e32 v2, 16, v1
	s_add_i32 s3, s3, -1
	v_mov_b32_e32 v132, s43
	s_barrier
	v_add_nc_u32_e32 v4, v1, v3
	v_add_nc_u32_e32 v3, v2, v3
	buffer_gl0_inv
	s_mul_i32 s16, s34, s4
	s_mul_i32 s6, s15, s6
	v_ashrrev_i32_e32 v4, 4, v4
	v_ashrrev_i32_e32 v3, 4, v3
	s_ashr_i32 s17, s16, 31
	v_lshlrev_b32_e32 v149, 6, v150
	s_lshl_b64 s[16:17], s[16:17], 2
	v_cndmask_b32_e32 v1, s3, v4, vcc_lo
	v_cmp_gt_i32_e32 vcc_lo, s30, v2
	s_add_u32 s4, s12, s16
	s_addc_u32 s37, s13, s17
	s_ashr_i32 s7, s6, 31
	v_ashrrev_i32_e32 v2, 31, v1
	v_cndmask_b32_e32 v3, s3, v3, vcc_lo
	s_lshl_b64 s[6:7], s[6:7], 1
	v_mov_b32_e32 v133, s44
	s_add_u32 s24, s8, s6
	v_lshlrev_b64 v[1:2], 2, v[1:2]
	v_ashrrev_i32_e32 v4, 31, v3
	s_addc_u32 s25, s9, s7
	s_lshl_b32 s8, s14, 4
	v_mov_b32_e32 v131, s42
	s_ashr_i32 s9, s8, 31
	v_lshlrev_b64 v[3:4], 2, v[3:4]
	v_add_co_u32 v1, vcc_lo, s4, v1
	v_add_co_ci_u32_e32 v2, vcc_lo, s37, v2, vcc_lo
	s_lshl_b64 s[8:9], s[8:9], 2
	s_delay_alu instid0(VALU_DEP_3) | instskip(NEXT) | instid1(VALU_DEP_4)
	v_add_co_u32 v3, vcc_lo, s4, v3
	v_add_co_ci_u32_e32 v4, vcc_lo, s37, v4, vcc_lo
	s_clause 0x1
	global_load_b32 v5, v[1:2], off
	global_load_b32 v6, v[3:4], off
	s_add_u32 s8, s4, s8
	s_addc_u32 s9, s37, s9
	s_or_b32 s12, s35, 16
	v_dual_mov_b32 v130, s41 :: v_dual_lshlrev_b32 v3, 4, v0
	s_ashr_i32 s13, s12, 4
	s_cmp_lt_i32 s12, s30
	v_mov_b32_e32 v129, s40
	s_cselect_b32 s12, s13, s3
	s_delay_alu instid0(SALU_CYCLE_1) | instskip(NEXT) | instid1(SALU_CYCLE_1)
	s_ashr_i32 s13, s12, 31
	s_lshl_b64 s[12:13], s[12:13], 2
	s_delay_alu instid0(SALU_CYCLE_1) | instskip(SKIP_2) | instid1(SALU_CYCLE_1)
	s_add_u32 s12, s4, s12
	s_addc_u32 s13, s37, s13
	s_or_b32 s15, s35, 32
	s_ashr_i32 s16, s15, 4
	s_cmp_lt_i32 s15, s30
	s_cselect_b32 s16, s16, s3
	s_delay_alu instid0(SALU_CYCLE_1) | instskip(NEXT) | instid1(SALU_CYCLE_1)
	s_ashr_i32 s17, s16, 31
	s_lshl_b64 s[16:17], s[16:17], 2
	s_delay_alu instid0(SALU_CYCLE_1) | instskip(SKIP_2) | instid1(SALU_CYCLE_1)
	s_add_u32 s16, s4, s16
	s_addc_u32 s17, s37, s17
	s_or_b32 s15, s35, 48
	s_ashr_i32 s18, s15, 4
	s_cmp_lt_i32 s15, s30
	;; [unrolled: 10-line block ×4, first 2 shown]
	s_cselect_b32 s22, s22, s3
	s_delay_alu instid0(SALU_CYCLE_1) | instskip(NEXT) | instid1(SALU_CYCLE_1)
	s_ashr_i32 s23, s22, 31
	s_lshl_b64 s[22:23], s[22:23], 2
	s_delay_alu instid0(SALU_CYCLE_1)
	s_add_u32 s22, s4, s22
	s_addc_u32 s23, s37, s23
	s_clause 0x5
	s_load_b32 s48, s[8:9], 0x0
	s_load_b32 s12, s[12:13], 0x0
	;; [unrolled: 1-line block ×6, first 2 shown]
	s_waitcnt lgkmcnt(0)
	s_mul_hi_i32 s17, s16, s5
	s_mul_i32 s16, s16, s5
	s_waitcnt vmcnt(1)
	v_mad_i64_i32 v[1:2], null, v5, s5, 0
	v_and_b32_e32 v5, 0xf0, v3
	s_waitcnt vmcnt(0)
	v_mad_i64_i32 v[3:4], null, v6, s5, 0
	s_delay_alu instid0(VALU_DEP_2) | instskip(NEXT) | instid1(VALU_DEP_4)
	v_add_co_u32 v5, s8, s24, v5
	v_lshlrev_b64 v[1:2], 1, v[1:2]
	v_add_co_ci_u32_e64 v6, null, s25, 0, s8
	s_delay_alu instid0(VALU_DEP_4) | instskip(SKIP_1) | instid1(VALU_DEP_3)
	v_lshlrev_b64 v[3:4], 1, v[3:4]
	s_or_b32 s8, s35, 0x60
	v_add_co_u32 v1, vcc_lo, v5, v1
	s_delay_alu instid0(VALU_DEP_3) | instskip(NEXT) | instid1(VALU_DEP_3)
	v_add_co_ci_u32_e32 v2, vcc_lo, v6, v2, vcc_lo
	v_add_co_u32 v3, vcc_lo, v5, v3
	s_delay_alu instid0(VALU_DEP_4)
	v_add_co_ci_u32_e32 v4, vcc_lo, v6, v4, vcc_lo
	s_clause 0x9
	global_load_b128 v[9:12], v[1:2], off
	global_load_b128 v[13:16], v[1:2], off offset:256
	global_load_b128 v[137:140], v[3:4], off
	global_load_b128 v[141:144], v[3:4], off offset:256
	global_load_b128 v[41:44], v[1:2], off offset:512
	;; [unrolled: 1-line block ×7, first 2 shown]
	ds_load_b128 v[152:155], v149
	ds_load_b128 v[156:159], v149 offset:1024
	s_clause 0x5
	global_load_b128 v[160:163], v[3:4], off offset:1024
	global_load_b128 v[164:167], v[3:4], off offset:1280
	;; [unrolled: 1-line block ×6, first 2 shown]
	s_ashr_i32 s9, s8, 4
	s_cmp_lt_i32 s8, s30
	v_lshlrev_b32_e32 v5, 5, v150
	s_cselect_b32 s8, s9, s3
	s_delay_alu instid0(SALU_CYCLE_1) | instskip(NEXT) | instid1(SALU_CYCLE_1)
	s_ashr_i32 s9, s8, 31
	s_lshl_b64 s[8:9], s[8:9], 2
	s_delay_alu instid0(VALU_DEP_1)
	v_lshl_or_b32 v5, v148, 9, v5
	s_add_u32 s22, s4, s8
	s_addc_u32 s23, s37, s9
	s_or_b32 s8, s35, 0x70
	s_load_b32 s46, s[22:23], 0x0
	s_ashr_i32 s9, s8, 4
	s_cmp_lt_i32 s8, s30
	s_cselect_b32 s8, s9, s3
	s_delay_alu instid0(SALU_CYCLE_1) | instskip(NEXT) | instid1(SALU_CYCLE_1)
	s_ashr_i32 s9, s8, 31
	s_lshl_b64 s[8:9], s[8:9], 2
	s_delay_alu instid0(SALU_CYCLE_1)
	s_add_u32 s24, s4, s8
	s_addc_u32 s25, s37, s9
	s_or_b32 s8, s35, 0x80
	s_load_b32 s47, s[24:25], 0x0
	s_ashr_i32 s9, s8, 4
	s_cmp_lt_i32 s8, s30
	s_cselect_b32 s8, s9, s3
	s_delay_alu instid0(SALU_CYCLE_1) | instskip(NEXT) | instid1(SALU_CYCLE_1)
	s_ashr_i32 s9, s8, 31
	s_lshl_b64 s[8:9], s[8:9], 2
	s_delay_alu instid0(SALU_CYCLE_1) | instskip(SKIP_2) | instid1(SALU_CYCLE_1)
	s_add_u32 s26, s4, s8
	s_addc_u32 s27, s37, s9
	s_or_b32 s8, s35, 0x90
	s_ashr_i32 s9, s8, 4
	s_cmp_lt_i32 s8, s30
	s_cselect_b32 s8, s9, s3
	s_delay_alu instid0(SALU_CYCLE_1) | instskip(NEXT) | instid1(SALU_CYCLE_1)
	s_ashr_i32 s9, s8, 31
	s_lshl_b64 s[8:9], s[8:9], 2
	s_delay_alu instid0(SALU_CYCLE_1) | instskip(SKIP_2) | instid1(SALU_CYCLE_1)
	s_add_u32 s28, s4, s8
	s_addc_u32 s29, s37, s9
	s_or_b32 s8, s35, 0xa0
	s_ashr_i32 s9, s8, 4
	s_cmp_lt_i32 s8, s30
	s_cselect_b32 s8, s9, s3
	s_delay_alu instid0(SALU_CYCLE_1) | instskip(NEXT) | instid1(SALU_CYCLE_1)
	s_ashr_i32 s9, s8, 31
	s_lshl_b64 s[8:9], s[8:9], 2
	s_delay_alu instid0(SALU_CYCLE_1)
	s_add_u32 s38, s4, s8
	s_addc_u32 s39, s37, s9
	s_or_b32 s8, s35, 0xb0
	s_mul_hi_i32 s9, s48, s5
	s_ashr_i32 s13, s8, 4
	s_cmp_lt_i32 s8, s30
	s_mul_i32 s8, s48, s5
	s_load_b32 s48, s[26:27], 0x0
	s_cselect_b32 s40, s13, s3
	s_mul_hi_i32 s13, s12, s5
	s_ashr_i32 s41, s40, 31
	s_mul_i32 s12, s12, s5
	s_lshl_b64 s[40:41], s[40:41], 2
	s_delay_alu instid0(SALU_CYCLE_1) | instskip(SKIP_2) | instid1(SALU_CYCLE_1)
	s_add_u32 s42, s4, s40
	s_addc_u32 s43, s37, s41
	s_or_b32 s19, s35, 0xc0
	s_ashr_i32 s21, s19, 4
	s_cmp_lt_i32 s19, s30
	s_mul_hi_i32 s19, s18, s5
	s_cselect_b32 s40, s21, s3
	s_mul_i32 s18, s18, s5
	s_ashr_i32 s41, s40, 31
	s_mul_hi_i32 s21, s20, s5
	s_lshl_b64 s[40:41], s[40:41], 2
	s_mul_i32 s20, s20, s5
	s_add_u32 s44, s4, s40
	s_addc_u32 s45, s37, s41
	s_load_b32 s41, s[28:29], 0x0
	s_or_b32 s40, s35, 0xd0
	s_mul_hi_i32 s23, s15, s5
	s_ashr_i32 s22, s40, 4
	s_cmp_lt_i32 s40, s30
	s_load_b32 s40, s[38:39], 0x0
	s_cselect_b32 s24, s22, s3
	s_mul_i32 s22, s15, s5
	s_ashr_i32 s25, s24, 31
	s_waitcnt lgkmcnt(0)
	s_mul_hi_i32 s29, s48, s5
	s_lshl_b64 s[24:25], s[24:25], 2
	s_mul_i32 s28, s48, s5
	s_add_u32 s24, s4, s24
	s_addc_u32 s25, s37, s25
	s_or_b32 s49, s35, 0xe0
	s_clause 0x2
	s_load_b32 s39, s[42:43], 0x0
	s_load_b32 s38, s[44:45], 0x0
	;; [unrolled: 1-line block ×3, first 2 shown]
	s_ashr_i32 s50, s49, 4
	s_cmp_lt_i32 s49, s30
	s_mul_hi_i32 s25, s46, s5
	s_cselect_b32 s44, s50, s3
	s_mul_i32 s24, s46, s5
	s_ashr_i32 s45, s44, 31
	s_mul_hi_i32 s27, s47, s5
	s_lshl_b64 s[44:45], s[44:45], 2
	s_mul_i32 s26, s47, s5
	s_add_u32 s44, s4, s44
	s_addc_u32 s45, s37, s45
	s_or_b32 s46, s35, 0xf0
	s_mul_hi_i32 s43, s41, s5
	s_ashr_i32 s48, s46, 4
	s_cmp_lt_i32 s46, s30
	s_mul_i32 s42, s41, s5
	s_cselect_b32 s48, s48, s3
	s_mul_hi_i32 s41, s40, s5
	s_ashr_i32 s49, s48, 31
	s_mul_i32 s40, s40, s5
	s_lshl_b64 s[48:49], s[48:49], 2
	s_waitcnt lgkmcnt(0)
	s_mul_hi_i32 s47, s39, s5
	s_add_u32 s48, s4, s48
	s_addc_u32 s49, s37, s49
	s_add_u32 s3, s10, s6
	s_addc_u32 s4, s11, s7
	v_add_co_u32 v196, s3, s3, v5
	s_delay_alu instid0(VALU_DEP_1) | instskip(SKIP_2) | instid1(VALU_DEP_2)
	v_add_co_ci_u32_e64 v197, null, s4, 0, s3
	s_lshl_b64 s[6:7], s[8:9], 1
	s_lshl_b64 s[8:9], s[12:13], 1
	v_add_co_u32 v1, vcc_lo, v196, s6
	s_delay_alu instid0(VALU_DEP_2)
	v_add_co_ci_u32_e32 v2, vcc_lo, s7, v197, vcc_lo
	v_add_co_u32 v3, vcc_lo, v196, s8
	s_lshl_b64 s[10:11], s[16:17], 1
	v_add_co_ci_u32_e32 v4, vcc_lo, s9, v197, vcc_lo
	v_add_co_u32 v5, vcc_lo, v196, s10
	s_lshl_b64 s[12:13], s[18:19], 1
	;; [unrolled: 3-line block ×9, first 2 shown]
	s_mul_i32 s46, s39, s5
	v_add_co_ci_u32_e32 v54, vcc_lo, s27, v197, vcc_lo
	v_add_co_u32 v184, vcc_lo, v196, s28
	s_lshl_b64 s[40:41], s[46:47], 1
	s_mul_hi_i32 s39, s38, s5
	s_mul_i32 s38, s38, s5
	v_add_co_ci_u32_e32 v185, vcc_lo, s29, v197, vcc_lo
	v_add_co_u32 v186, vcc_lo, v196, s40
	s_lshl_b64 s[38:39], s[38:39], 1
	s_clause 0x1
	s_load_b32 s3, s[44:45], 0x0
	s_load_b32 s4, s[48:49], 0x0
	v_add_co_ci_u32_e32 v187, vcc_lo, s41, v197, vcc_lo
	v_add_co_u32 v192, vcc_lo, v196, s38
	v_add_co_ci_u32_e32 v193, vcc_lo, s39, v197, vcc_lo
	s_clause 0x17
	global_load_b128 v[121:124], v[1:2], off
	global_load_b128 v[125:128], v[1:2], off offset:16
	global_load_b128 v[113:116], v[3:4], off
	global_load_b128 v[117:120], v[3:4], off offset:16
	;; [unrolled: 2-line block ×12, first 2 shown]
	s_mul_hi_i32 s51, s15, s5
	s_mul_i32 s50, s15, s5
	s_delay_alu instid0(SALU_CYCLE_1) | instskip(NEXT) | instid1(SALU_CYCLE_1)
	s_lshl_b64 s[42:43], s[50:51], 1
	v_add_co_u32 v194, vcc_lo, v196, s42
	v_add_co_ci_u32_e32 v195, vcc_lo, s43, v197, vcc_lo
	s_waitcnt lgkmcnt(0)
	s_mul_hi_i32 s7, s3, s5
	s_mul_i32 s6, s3, s5
	s_mul_hi_i32 s9, s4, s5
	s_lshl_b64 s[6:7], s[6:7], 1
	s_mul_i32 s8, s4, s5
	s_delay_alu instid0(SALU_CYCLE_1)
	s_lshl_b64 s[4:5], s[8:9], 1
	s_waitcnt vmcnt(38)
	v_wmma_f32_16x16x16_f16 v[184:191], v[9:16], v[152:159], v[129:136]
	s_waitcnt vmcnt(36)
	v_wmma_f32_16x16x16_f16 v[129:136], v[137:144], v[152:159], v[129:136]
	s_clause 0x1
	global_load_b128 v[9:12], v[192:193], off
	global_load_b128 v[13:16], v[192:193], off offset:16
	ds_load_b128 v[137:140], v149 offset:2048
	ds_load_b128 v[141:144], v149 offset:3072
	;; [unrolled: 1-line block ×4, first 2 shown]
	v_add_co_u32 v192, vcc_lo, v196, s6
	v_add_co_ci_u32_e32 v193, vcc_lo, s7, v197, vcc_lo
	v_add_co_u32 v196, vcc_lo, v196, s4
	v_add_co_ci_u32_e32 v197, vcc_lo, s5, v197, vcc_lo
	s_waitcnt vmcnt(36) lgkmcnt(2)
	v_wmma_f32_16x16x16_f16 v[184:191], v[41:48], v[137:144], v[184:191]
	s_waitcnt vmcnt(34)
	v_wmma_f32_16x16x16_f16 v[129:136], v[33:40], v[137:144], v[129:136]
	s_clause 0x3
	global_load_b128 v[33:36], v[194:195], off
	global_load_b128 v[37:40], v[194:195], off offset:16
	global_load_b128 v[41:44], v[192:193], off
	global_load_b128 v[45:48], v[192:193], off offset:16
	v_and_b32_e32 v137, 0xe0, v0
	v_mbcnt_lo_u32_b32 v192, -1, 0
	s_waitcnt vmcnt(36) lgkmcnt(0)
	v_wmma_f32_16x16x16_f16 v[184:191], v[17:24], v[152:159], v[184:191]
	s_clause 0x1
	global_load_b128 v[17:20], v[196:197], off
	global_load_b128 v[21:24], v[196:197], off offset:16
	s_waitcnt vmcnt(36)
	v_wmma_f32_16x16x16_f16 v[129:136], v[160:167], v[152:159], v[129:136]
	v_add_nc_u32_e32 v193, s35, v137
	ds_load_b128 v[137:140], v149 offset:6144
	ds_load_b128 v[141:144], v149 offset:7168
	v_xor_b32_e32 v152, 16, v192
	s_waitcnt vmcnt(0) lgkmcnt(0)
	s_barrier
	buffer_gl0_inv
	v_cmp_gt_i32_e32 vcc_lo, 32, v152
	v_cndmask_b32_e32 v152, v192, v152, vcc_lo
	v_wmma_f32_16x16x16_f16 v[129:136], v[176:183], v[137:144], v[129:136]
	v_wmma_f32_16x16x16_f16 v[184:191], v[168:175], v[137:144], v[184:191]
	s_delay_alu instid0(VALU_DEP_2) | instskip(SKIP_1) | instid1(VALU_DEP_3)
	v_mul_f32_e32 v174, s36, v131
	v_or_b32_e32 v153, v193, v146
	v_dual_mul_f32 v143, s36, v185 :: v_dual_mul_f32 v144, s36, v184
	s_delay_alu instid0(VALU_DEP_4) | instskip(NEXT) | instid1(VALU_DEP_3)
	v_dual_mul_f32 v141, s36, v187 :: v_dual_mul_f32 v142, s36, v186
	v_or_b32_e32 v154, 2, v153
	v_or_b32_e32 v155, 4, v153
	;; [unrolled: 1-line block ×3, first 2 shown]
	v_cmp_gt_i32_e32 vcc_lo, s30, v153
	v_or_b32_e32 v157, 8, v153
	v_cmp_gt_i32_e64 s3, s30, v154
	v_or_b32_e32 v158, 10, v153
	v_cmp_gt_i32_e64 s4, s30, v155
	v_cndmask_b32_e32 v144, 0xff7fffff, v144, vcc_lo
	v_cmp_gt_i32_e64 s5, s30, v156
	v_cndmask_b32_e64 v143, 0xff7fffff, v143, s3
	v_or_b32_e32 v159, 12, v153
	v_or_b32_e32 v160, 14, v153
	v_dual_mul_f32 v139, s36, v189 :: v_dual_mul_f32 v140, s36, v188
	v_cndmask_b32_e64 v142, 0xff7fffff, v142, s4
	v_cndmask_b32_e64 v141, 0xff7fffff, v141, s5
	v_max3_f32 v143, v144, 0xff7fffff, v143
	v_cmp_gt_i32_e64 s6, s30, v157
	v_cmp_gt_i32_e64 s7, s30, v158
	v_or_b32_e32 v161, 16, v153
	v_or_b32_e32 v162, 18, v153
	v_dual_mul_f32 v137, s36, v191 :: v_dual_mul_f32 v176, s36, v129
	v_mul_f32_e32 v138, s36, v190
	v_cndmask_b32_e64 v140, 0xff7fffff, v140, s6
	v_cndmask_b32_e64 v139, 0xff7fffff, v139, s7
	v_max3_f32 v141, v143, v142, v141
	v_cmp_gt_i32_e64 s8, s30, v159
	v_cmp_gt_i32_e64 s9, s30, v160
	v_or_b32_e32 v163, 20, v153
	v_or_b32_e32 v164, 22, v153
	v_mul_f32_e32 v175, s36, v130
	v_cndmask_b32_e64 v138, 0xff7fffff, v138, s8
	v_cndmask_b32_e64 v137, 0xff7fffff, v137, s9
	v_max3_f32 v139, v141, v140, v139
	v_cmp_gt_i32_e64 s10, s30, v161
	v_cmp_gt_i32_e64 s11, s30, v162
	v_or_b32_e32 v165, 24, v153
	v_or_b32_e32 v166, 26, v153
	;; [unrolled: 8-line block ×3, first 2 shown]
	v_dual_mul_f32 v171, s36, v134 :: v_dual_mul_f32 v172, s36, v133
	v_cndmask_b32_e64 v138, 0xff7fffff, v174, s12
	v_cndmask_b32_e64 v139, 0xff7fffff, v173, s13
	v_max3_f32 v137, v137, v140, v141
	v_cmp_gt_i32_e64 s15, s30, v165
	v_cmp_gt_i32_e64 s16, s30, v166
	v_dual_mul_f32 v169, s36, v136 :: v_dual_mul_f32 v170, s36, v135
	s_delay_alu instid0(VALU_DEP_4) | instskip(NEXT) | instid1(VALU_DEP_4)
	v_max3_f32 v137, v137, v138, v139
	v_cndmask_b32_e64 v140, 0xff7fffff, v172, s15
	s_delay_alu instid0(VALU_DEP_4) | instskip(SKIP_3) | instid1(VALU_DEP_4)
	v_cndmask_b32_e64 v141, 0xff7fffff, v171, s16
	v_cmp_gt_i32_e64 s17, s30, v167
	v_cmp_gt_i32_e64 s18, s30, v168
	v_lshlrev_b32_e32 v161, 2, v152
	v_max3_f32 v137, v137, v140, v141
	s_delay_alu instid0(VALU_DEP_4) | instskip(NEXT) | instid1(VALU_DEP_4)
	v_cndmask_b32_e64 v138, 0xff7fffff, v170, s17
	v_cndmask_b32_e64 v139, 0xff7fffff, v169, s18
	s_delay_alu instid0(VALU_DEP_1) | instskip(SKIP_3) | instid1(VALU_DEP_1)
	v_max3_f32 v137, v137, v138, v139
	ds_bpermute_b32 v138, v161, v137
	s_waitcnt lgkmcnt(0)
	v_max_f32_e32 v138, v138, v138
	v_max_f32_e32 v160, v137, v138
	s_delay_alu instid0(VALU_DEP_1) | instskip(SKIP_4) | instid1(VALU_DEP_4)
	v_fma_f32 v139, s36, v186, -v160
	v_fma_f32 v140, s36, v187, -v160
	;; [unrolled: 1-line block ×5, first 2 shown]
	v_dual_mul_f32 v139, 0x3fb8aa3b, v139 :: v_dual_mul_f32 v140, 0x3fb8aa3b, v140
	s_delay_alu instid0(VALU_DEP_4) | instskip(NEXT) | instid1(VALU_DEP_4)
	v_mul_f32_e32 v152, 0x3fb8aa3b, v152
	v_mul_f32_e32 v132, 0x3fb8aa3b, v132
	v_fma_f32 v137, s36, v184, -v160
	s_delay_alu instid0(VALU_DEP_4)
	v_exp_f32_e32 v139, v139
	v_exp_f32_e32 v144, v140
	;; [unrolled: 1-line block ×3, first 2 shown]
	v_fma_f32 v138, s36, v185, -v160
	v_fma_f32 v142, s36, v188, -v160
	;; [unrolled: 1-line block ×5, first 2 shown]
	v_mul_f32_e32 v138, 0x3fb8aa3b, v138
	v_mul_f32_e32 v142, 0x3fb8aa3b, v142
	v_cndmask_b32_e64 v140, 0, v139, s4
	v_cndmask_b32_e64 v139, 0, v144, s5
	v_mul_f32_e32 v144, 0x3fb8aa3b, v153
	v_exp_f32_e32 v141, v138
	v_dual_mul_f32 v143, 0x3fb8aa3b, v143 :: v_dual_mul_f32 v134, 0x3fb8aa3b, v134
	v_exp_f32_e32 v142, v142
	s_delay_alu instid0(VALU_DEP_2)
	v_exp_f32_e32 v154, v144
	v_cndmask_b32_e64 v144, 0, v152, s8
	v_mul_f32_e32 v137, 0x3fb8aa3b, v137
	v_exp_f32_e32 v143, v143
	v_fma_f32 v130, s36, v130, -v160
	v_mul_f32_e32 v129, 0x3fb8aa3b, v129
	v_fma_f32 v131, s36, v131, -v160
	v_exp_f32_e32 v137, v137
	v_fma_f32 v133, s36, v133, -v160
	v_cndmask_b32_e64 v142, 0, v142, s6
	v_mul_f32_e32 v130, 0x3fb8aa3b, v130
	v_exp_f32_e32 v129, v129
	v_mul_f32_e32 v131, 0x3fb8aa3b, v131
	v_mul_f32_e32 v133, 0x3fb8aa3b, v133
	v_exp_f32_e32 v132, v132
	v_exp_f32_e32 v130, v130
	v_cndmask_b32_e32 v138, 0, v137, vcc_lo
	v_cndmask_b32_e64 v137, 0, v141, s3
	v_exp_f32_e32 v131, v131
	v_exp_f32_e32 v133, v133
	s_mov_b32 s3, exec_lo
	v_add_f32_e32 v141, 0, v138
	s_delay_alu instid0(VALU_DEP_1)
	v_add_f32_e32 v141, v141, v137
	s_waitcnt_depctr 0xfff
	v_cndmask_b32_e64 v155, 0, v131, s12
	v_exp_f32_e32 v131, v134
	v_cndmask_b32_e64 v157, 0, v133, s15
	v_add_f32_e32 v141, v141, v140
	s_delay_alu instid0(VALU_DEP_1)
	v_add_f32_e32 v153, v141, v139
	v_cndmask_b32_e64 v141, 0, v143, s7
	s_waitcnt_depctr 0xfff
	v_cndmask_b32_e64 v156, 0, v131, s16
	v_add_f32_e32 v143, v153, v142
	v_cndmask_b32_e64 v153, 0, v129, s10
	s_delay_alu instid0(VALU_DEP_2) | instskip(SKIP_3) | instid1(VALU_DEP_4)
	v_add_f32_e32 v152, v143, v141
	v_cndmask_b32_e64 v143, 0, v154, s9
	v_cndmask_b32_e64 v154, 0, v132, s13
	v_fma_f32 v132, s36, v136, -v160
	v_add_f32_e32 v152, v152, v144
	s_delay_alu instid0(VALU_DEP_1) | instskip(SKIP_2) | instid1(VALU_DEP_3)
	v_dual_mul_f32 v132, 0x3fb8aa3b, v132 :: v_dual_add_f32 v129, v152, v143
	v_cndmask_b32_e64 v152, 0, v130, s11
	v_fma_f32 v130, s36, v135, -v160
	v_exp_f32_e32 v131, v132
	s_delay_alu instid0(VALU_DEP_1) | instskip(NEXT) | instid1(VALU_DEP_1)
	v_dual_add_f32 v129, v129, v153 :: v_dual_mul_f32 v130, 0x3fb8aa3b, v130
	v_add_f32_e32 v129, v129, v152
	s_delay_alu instid0(VALU_DEP_2) | instskip(SKIP_3) | instid1(VALU_DEP_1)
	v_exp_f32_e32 v130, v130
	s_waitcnt_depctr 0xfff
	v_cndmask_b32_e64 v158, 0, v131, s18
	v_add_f32_e32 v129, v129, v155
	v_add_f32_e32 v129, v129, v154
	v_cndmask_b32_e64 v159, 0, v130, s17
	s_delay_alu instid0(VALU_DEP_2) | instskip(NEXT) | instid1(VALU_DEP_1)
	v_add_f32_e32 v129, v129, v157
	v_add_f32_e32 v129, v129, v156
	s_delay_alu instid0(VALU_DEP_1) | instskip(NEXT) | instid1(VALU_DEP_1)
	v_add_f32_e32 v129, v129, v159
	v_add_f32_e32 v129, v129, v158
	ds_bpermute_b32 v130, v161, v129
	v_cmpx_gt_u32_e32 16, v151
	s_cbranch_execz .LBB73_12
; %bb.11:
	v_mul_u32_u24_e32 v131, 0x44, v148
	s_delay_alu instid0(VALU_DEP_1) | instskip(SKIP_1) | instid1(VALU_DEP_1)
	v_lshl_add_u32 v131, v150, 2, v131
	s_waitcnt lgkmcnt(0)
	v_dual_add_f32 v129, v129, v130 :: v_dual_add_nc_u32 v130, 0x4000, v131
	ds_store_2addr_b32 v130, v160, v129 offset1:136
.LBB73_12:
	s_or_b32 exec_lo, exec_lo, s3
	v_lshlrev_b32_e32 v129, 2, v150
	s_load_b32 s35, s[0:1], 0x94
	s_waitcnt lgkmcnt(0)
	s_barrier
	buffer_gl0_inv
	v_add_nc_u32_e32 v162, 0x4000, v129
	v_cmp_eq_u32_e32 vcc_lo, 1, v148
	v_cmp_eq_u32_e64 s3, 2, v148
	v_cmp_eq_u32_e64 s4, 3, v148
	;; [unrolled: 1-line block ×3, first 2 shown]
	ds_load_2addr_b32 v[129:130], v162 offset1:17
	ds_load_2addr_b32 v[131:132], v162 offset0:34 offset1:51
	ds_load_2addr_b32 v[133:134], v162 offset0:68 offset1:85
	;; [unrolled: 1-line block ×3, first 2 shown]
	v_cmp_eq_u32_e64 s6, 7, v148
	s_waitcnt lgkmcnt(3)
	v_max3_f32 v135, v129, 0xff7fffff, v130
	s_waitcnt lgkmcnt(2)
	s_delay_alu instid0(VALU_DEP_1) | instskip(SKIP_1) | instid1(VALU_DEP_1)
	v_max3_f32 v135, v135, v131, v132
	s_waitcnt lgkmcnt(1)
	v_max3_f32 v135, v135, v133, v134
	s_waitcnt lgkmcnt(0)
	s_delay_alu instid0(VALU_DEP_1) | instskip(NEXT) | instid1(VALU_DEP_1)
	v_max3_f32 v135, v135, v150, v151
	v_sub_f32_e32 v129, v129, v135
	ds_load_2addr_b32 v[160:161], v162 offset0:136 offset1:153
	v_sub_f32_e32 v136, v130, v135
	v_dual_sub_f32 v150, v150, v135 :: v_dual_mul_f32 v163, 0x3fb8aa3b, v129
	ds_load_2addr_b32 v[129:130], v162 offset0:170 offset1:187
	v_mul_f32_e32 v136, 0x3fb8aa3b, v136
	v_mul_f32_e32 v150, 0x3fb8aa3b, v150
	v_exp_f32_e32 v163, v163
	s_delay_alu instid0(VALU_DEP_2) | instskip(NEXT) | instid1(VALU_DEP_1)
	v_exp_f32_e32 v166, v136
	v_exp_f32_e32 v150, v150
	s_waitcnt lgkmcnt(1)
	s_delay_alu instid0(TRANS32_DEP_3) | instskip(SKIP_4) | instid1(VALU_DEP_2)
	v_fma_f32 v136, v163, v160, 0
	v_sub_f32_e32 v160, v134, v135
	s_waitcnt_depctr 0xfff
	v_dual_sub_f32 v133, v133, v135 :: v_dual_fmac_f32 v136, v166, v161
	v_mul_f32_e32 v160, 0x3fb8aa3b, v160
	v_dual_sub_f32 v164, v132, v135 :: v_dual_mul_f32 v167, 0x3fb8aa3b, v133
	v_sub_f32_e32 v131, v131, v135
	ds_load_2addr_b32 v[133:134], v162 offset0:238 offset1:255
	v_mul_f32_e32 v164, 0x3fb8aa3b, v164
	v_exp_f32_e32 v161, v167
	v_mul_f32_e32 v165, 0x3fb8aa3b, v131
	ds_load_2addr_b32 v[131:132], v162 offset0:204 offset1:221
	s_waitcnt lgkmcnt(0)
	v_exp_f32_e32 v164, v164
	s_barrier
	v_exp_f32_e32 v165, v165
	buffer_gl0_inv
	v_dual_fmac_f32 v136, v165, v129 :: v_dual_sub_f32 v129, v151, v135
	v_exp_f32_e32 v151, v160
	s_delay_alu instid0(VALU_DEP_1) | instskip(SKIP_1) | instid1(VALU_DEP_2)
	v_dual_fmac_f32 v136, v164, v130 :: v_dual_mul_f32 v129, 0x3fb8aa3b, v129
	v_cndmask_b32_e32 v130, v163, v166, vcc_lo
	v_fmac_f32_e32 v136, v161, v131
	s_delay_alu instid0(VALU_DEP_3) | instskip(SKIP_3) | instid1(VALU_DEP_1)
	v_exp_f32_e32 v160, v129
	v_lshl_or_b32 v131, v148, 11, v149
	s_waitcnt_depctr 0xfff
	v_fmac_f32_e32 v136, v151, v132
	v_fmac_f32_e32 v136, v150, v133
	s_delay_alu instid0(VALU_DEP_1) | instskip(NEXT) | instid1(VALU_DEP_1)
	v_fmac_f32_e32 v136, v160, v134
	v_add_f32_e32 v162, 0x358637bd, v136
	s_delay_alu instid0(VALU_DEP_1) | instskip(SKIP_1) | instid1(VALU_DEP_2)
	v_div_scale_f32 v167, null, v162, v162, 1.0
	v_div_scale_f32 v163, vcc_lo, 1.0, v162, 1.0
	v_rcp_f32_e32 v168, v167
	s_waitcnt_depctr 0xfff
	v_fma_f32 v129, -v167, v168, 1.0
	s_delay_alu instid0(VALU_DEP_1) | instskip(SKIP_2) | instid1(VALU_DEP_3)
	v_fmac_f32_e32 v168, v129, v168
	v_cndmask_b32_e64 v129, v130, v165, s3
	v_cmp_eq_u32_e64 s3, 4, v148
	v_dual_mul_f32 v165, v163, v168 :: v_dual_lshlrev_b32 v130, 2, v146
	s_delay_alu instid0(VALU_DEP_3) | instskip(SKIP_1) | instid1(VALU_DEP_3)
	v_cndmask_b32_e64 v129, v129, v164, s4
	v_cmp_eq_u32_e64 s4, 6, v148
	v_or_b32_e32 v134, 2, v130
	v_cmp_eq_u32_e64 s7, 6, v130
	v_fma_f32 v132, -v167, v165, v163
	v_cndmask_b32_e64 v133, v129, v161, s3
	v_lshl_or_b32 v129, v146, 4, v131
	v_cmp_eq_u32_e64 s3, 1, v130
	v_cmp_eq_u32_e64 s10, 1, v134
	v_fmac_f32_e32 v165, v132, v168
	v_cndmask_b32_e64 v148, v133, v151, s5
	v_or_b32_e32 v132, 1, v130
	v_or_b32_e32 v133, 3, v130
	v_cmp_eq_u32_e64 s15, 2, v134
	v_fma_f32 v151, -v167, v165, v163
	v_cndmask_b32_e64 v148, v148, v150, s4
	v_cmp_eq_u32_e64 s9, 1, v132
	v_cmp_eq_u32_e64 s11, 1, v133
	v_cmp_eq_u32_e64 s12, 2, v132
	v_div_fmas_f32 v150, v151, v168, v165
	v_cndmask_b32_e64 v148, v148, v160, s6
	v_cmp_eq_u32_e32 vcc_lo, 2, v130
	v_cmp_eq_u32_e64 s16, 2, v133
	v_cmp_eq_u32_e64 s18, 3, v133
	v_div_fixup_f32 v150, v150, v162, 1.0
	v_cmp_eq_u32_e64 s4, 3, v130
	v_cmp_eq_u32_e64 s13, 3, v132
	;; [unrolled: 1-line block ×4, first 2 shown]
	v_mul_f32_e32 v148, v148, v150
	v_cmp_eq_u32_e64 s5, 4, v130
	v_cmp_eq_u32_e64 s19, 4, v132
	;; [unrolled: 1-line block ×4, first 2 shown]
	v_fma_mixlo_f16 v160, v148, v138, 0
	v_fma_mixlo_f16 v161, v148, v140, 0
	;; [unrolled: 1-line block ×8, first 2 shown]
	v_fma_mixhi_f16 v160, v148, v137, 0
	v_fma_mixhi_f16 v161, v148, v139, 0
	;; [unrolled: 1-line block ×8, first 2 shown]
	ds_store_b128 v129, v[160:163]
	ds_store_b128 v129, v[164:167] offset:1024
	s_waitcnt lgkmcnt(0)
	s_barrier
	buffer_gl0_inv
	ds_load_b128 v[137:140], v131
	ds_load_b128 v[141:144], v131 offset:16
	ds_load_b128 v[150:153], v131 offset:1024
	ds_load_b128 v[154:157], v131 offset:1040
	v_cmp_eq_u32_e64 s6, 5, v130
	v_cmp_eq_u32_e64 s20, 5, v132
	;; [unrolled: 1-line block ×10, first 2 shown]
	s_waitcnt lgkmcnt(3)
	v_lshrrev_b32_e32 v148, 16, v137
	s_waitcnt lgkmcnt(2)
	v_lshrrev_b32_e32 v161, 16, v141
	;; [unrolled: 2-line block ×4, first 2 shown]
	v_lshrrev_b32_e32 v158, 16, v138
	v_cndmask_b32_e64 v173, v137, v148, s3
	v_cndmask_b32_e64 v174, v141, v161, s3
	;; [unrolled: 1-line block ×8, first 2 shown]
	v_lshrrev_b32_e32 v162, 16, v142
	v_cndmask_b32_e64 v148, v150, v165, s3
	v_cndmask_b32_e64 v161, v154, v169, s3
	;; [unrolled: 1-line block ×5, first 2 shown]
	v_cndmask_b32_e32 v165, v173, v138, vcc_lo
	v_cndmask_b32_e64 v173, v175, v138, s12
	v_cndmask_b32_e64 v175, v177, v138, s15
	;; [unrolled: 1-line block ×4, first 2 shown]
	v_lshrrev_b32_e32 v166, 16, v151
	v_lshrrev_b32_e32 v170, 16, v155
	v_cndmask_b32_e64 v180, v154, v169, s9
	v_cndmask_b32_e64 v182, v154, v169, s10
	;; [unrolled: 1-line block ×3, first 2 shown]
	v_cndmask_b32_e32 v169, v174, v142, vcc_lo
	v_cndmask_b32_e64 v174, v176, v142, s12
	v_cndmask_b32_e64 v176, v178, v142, s15
	v_cndmask_b32_e32 v141, v148, v151, vcc_lo
	v_cndmask_b32_e32 v142, v161, v155, vcc_lo
	v_cndmask_b32_e64 v148, v179, v151, s12
	v_cndmask_b32_e64 v137, v137, v158, s18
	;; [unrolled: 1-line block ×3, first 2 shown]
	v_lshrrev_b32_e32 v159, 16, v139
	v_lshrrev_b32_e32 v163, 16, v143
	v_cndmask_b32_e64 v161, v181, v151, s15
	v_cndmask_b32_e64 v150, v150, v151, s16
	;; [unrolled: 1-line block ×14, first 2 shown]
	v_lshrrev_b32_e32 v167, 16, v152
	v_cndmask_b32_e64 v154, v154, v139, s5
	v_cndmask_b32_e64 v158, v165, v143, s5
	v_cndmask_b32_e64 v162, v169, v139, s19
	v_cndmask_b32_e64 v165, v173, v143, s19
	v_cndmask_b32_e64 v169, v174, v139, s21
	v_cndmask_b32_e64 v173, v175, v143, s21
	v_cndmask_b32_e64 v139, v141, v152, s5
	v_cndmask_b32_e64 v141, v142, v156, s5
	v_cndmask_b32_e64 v142, v148, v152, s19
	v_cndmask_b32_e64 v137, v137, v159, s24
	v_cndmask_b32_e64 v138, v138, v163, s24
	v_lshrrev_b32_e32 v160, 16, v140
	v_lshrrev_b32_e32 v164, 16, v144
	v_cndmask_b32_e64 v143, v154, v159, s6
	v_cndmask_b32_e64 v148, v158, v163, s6
	;; [unrolled: 1-line block ×9, first 2 shown]
	v_lshrrev_b32_e32 v168, 16, v153
	v_cndmask_b32_e64 v139, v139, v167, s6
	v_cndmask_b32_e64 v143, v143, v140, s7
	;; [unrolled: 1-line block ×19, first 2 shown]
	v_perm_b32 v140, v138, v137, 0x5040100
	v_cndmask_b32_e64 v137, v180, v155, s12
	v_cndmask_b32_e64 v159, v139, v168, s8
	v_perm_b32 v139, v154, v148, 0x5040100
	v_perm_b32 v138, v158, v144, 0x5040100
	v_cndmask_b32_e64 v144, v161, v166, s17
	v_cndmask_b32_e64 v148, v150, v166, s18
	;; [unrolled: 1-line block ×5, first 2 shown]
	v_lshrrev_b32_e32 v171, 16, v156
	v_cndmask_b32_e64 v144, v144, v152, s21
	v_cndmask_b32_e64 v148, v148, v152, s22
	;; [unrolled: 1-line block ×11, first 2 shown]
	v_lshrrev_b32_e32 v172, 16, v157
	v_cndmask_b32_e64 v141, v141, v157, s7
	v_cndmask_b32_e64 v144, v144, v153, s26
	;; [unrolled: 1-line block ×12, first 2 shown]
	v_perm_b32 v137, v143, v142, 0x5040100
	v_perm_b32 v144, v148, v144, 0x5040100
	;; [unrolled: 1-line block ×5, first 2 shown]
	s_lshl_b32 s7, s33, 4
	s_mov_b32 s3, exec_lo
	ds_store_b128 v129, v[137:140]
	ds_store_b128 v129, v[141:144] offset:1024
	v_cmpx_gt_u32_e32 16, v0
	s_cbranch_execz .LBB73_14
; %bb.13:
	v_or_b32_e32 v137, s31, v0
	s_load_b128 s[8:11], s[0:1], 0x58
	s_delay_alu instid0(VALU_DEP_1) | instskip(NEXT) | instid1(VALU_DEP_1)
	v_mad_u64_u32 v[138:139], null, s7, s34, v[137:138]
	v_mad_u64_u32 v[139:140], null, v138, s35, s[14:15]
	s_delay_alu instid0(VALU_DEP_1) | instskip(NEXT) | instid1(VALU_DEP_1)
	v_ashrrev_i32_e32 v140, 31, v139
	v_lshlrev_b64 v[137:138], 2, v[139:140]
	s_waitcnt lgkmcnt(0)
	s_delay_alu instid0(VALU_DEP_1) | instskip(NEXT) | instid1(VALU_DEP_2)
	v_add_co_u32 v139, vcc_lo, s10, v137
	v_add_co_ci_u32_e32 v140, vcc_lo, s11, v138, vcc_lo
	v_add_co_u32 v137, vcc_lo, s8, v137
	v_add_co_ci_u32_e32 v138, vcc_lo, s9, v138, vcc_lo
	global_store_b32 v[139:140], v135, off
	global_store_b32 v[137:138], v136, off
.LBB73_14:
	s_or_b32 exec_lo, exec_lo, s3
	s_waitcnt lgkmcnt(0)
	s_waitcnt_vscnt null, 0x0
	s_barrier
	buffer_gl0_inv
	ds_load_b128 v[150:153], v149
	ds_load_b128 v[154:157], v149 offset:16
	ds_load_b128 v[162:165], v149 offset:1040
	;; [unrolled: 1-line block ×5, first 2 shown]
	v_cmp_eq_u32_e32 vcc_lo, 1, v134
	v_mov_b32_e32 v135, 0
	ds_load_b128 v[178:181], v149 offset:3088
	ds_load_b128 v[174:177], v149 offset:3072
	ds_load_b128 v[186:189], v149 offset:4112
	ds_load_b128 v[182:185], v149 offset:4096
	v_cmp_eq_u32_e64 s3, 1, v130
	v_cmp_eq_u32_e64 s4, 1, v133
	;; [unrolled: 1-line block ×3, first 2 shown]
	v_mov_b32_e32 v136, v135
	v_mov_b32_e32 v137, v135
	;; [unrolled: 1-line block ×7, first 2 shown]
	v_cmp_eq_u32_e64 s6, 2, v130
	s_waitcnt lgkmcnt(8)
	s_delay_alu instid0(VALU_DEP_2)
	v_wmma_f32_16x16x16_f16 v[135:142], v[121:128], v[150:157], v[135:142]
	ds_load_b128 v[125:128], v149 offset:5136
	ds_load_b128 v[121:124], v149 offset:5120
	s_waitcnt lgkmcnt(8)
	v_wmma_f32_16x16x16_f16 v[135:142], v[113:120], v[158:165], v[135:142]
	ds_load_b128 v[117:120], v149 offset:6160
	ds_load_b128 v[113:116], v149 offset:6144
	s_waitcnt lgkmcnt(8)
	;; [unrolled: 4-line block ×11, first 2 shown]
	s_barrier
	buffer_gl0_inv
	v_wmma_f32_16x16x16_f16 v[135:142], v[1:8], v[73:80], v[135:142]
	s_delay_alu instid0(VALU_DEP_1) | instskip(NEXT) | instid1(VALU_DEP_1)
	v_wmma_f32_16x16x16_f16 v[135:142], v[9:16], v[65:72], v[135:142]
	v_wmma_f32_16x16x16_f16 v[135:142], v[33:40], v[57:64], v[135:142]
	s_delay_alu instid0(VALU_DEP_1) | instskip(NEXT) | instid1(VALU_DEP_1)
	v_wmma_f32_16x16x16_f16 v[135:142], v[41:48], v[49:56], v[135:142]
	v_wmma_f32_16x16x16_f16 v[135:142], v[17:24], v[25:32], v[135:142]
	s_delay_alu instid0(VALU_DEP_1) | instskip(NEXT) | instid1(VALU_DEP_2)
	v_cvt_f16_f32_e64 v1, v135
	v_cvt_f16_f32_e64 v2, v136
	s_delay_alu instid0(VALU_DEP_3) | instskip(NEXT) | instid1(VALU_DEP_4)
	v_cvt_f16_f32_e64 v3, v137
	v_cvt_f16_f32_e64 v4, v138
	;; [unrolled: 1-line block ×6, first 2 shown]
	v_pack_b32_f16 v1, v1, v2
	v_pack_b32_f16 v2, v3, v4
	;; [unrolled: 1-line block ×3, first 2 shown]
	s_delay_alu instid0(VALU_DEP_4)
	v_pack_b32_f16 v4, v7, v8
	ds_store_b128 v129, v[1:4]
	s_waitcnt lgkmcnt(0)
	s_barrier
	buffer_gl0_inv
	ds_load_b128 v[1:4], v131
	ds_load_b128 v[5:8], v131 offset:16
	s_waitcnt lgkmcnt(1)
	v_lshrrev_b32_e32 v9, 16, v1
	s_waitcnt lgkmcnt(0)
	v_lshrrev_b32_e32 v13, 16, v5
	v_lshrrev_b32_e32 v10, 16, v2
	v_lshrrev_b32_e32 v14, 16, v6
	v_lshrrev_b32_e32 v11, 16, v3
	v_cndmask_b32_e64 v17, v1, v9, s3
	v_cndmask_b32_e64 v18, v5, v13, s3
	;; [unrolled: 1-line block ×3, first 2 shown]
	v_cmp_eq_u32_e64 s3, 2, v132
	v_cndmask_b32_e64 v20, v5, v13, s5
	v_cndmask_b32_e32 v21, v1, v9, vcc_lo
	v_cndmask_b32_e32 v22, v5, v13, vcc_lo
	v_cndmask_b32_e64 v1, v1, v9, s4
	v_cndmask_b32_e64 v5, v5, v13, s4
	v_cmp_eq_u32_e32 vcc_lo, 2, v134
	v_cmp_eq_u32_e64 s4, 2, v133
	v_cndmask_b32_e64 v9, v17, v2, s6
	v_cndmask_b32_e64 v13, v18, v6, s6
	;; [unrolled: 1-line block ×4, first 2 shown]
	v_cndmask_b32_e32 v19, v21, v2, vcc_lo
	v_cmp_eq_u32_e64 s3, 3, v134
	v_cndmask_b32_e32 v20, v22, v6, vcc_lo
	v_cndmask_b32_e64 v1, v1, v2, s4
	v_cmp_eq_u32_e32 vcc_lo, 3, v133
	v_cmp_eq_u32_e64 s5, 3, v130
	v_cndmask_b32_e64 v2, v5, v6, s4
	v_cmp_eq_u32_e64 s4, 3, v132
	v_cmp_eq_u32_e64 s6, 4, v130
	v_cndmask_b32_e32 v1, v1, v10, vcc_lo
	v_cndmask_b32_e64 v5, v9, v10, s5
	v_cndmask_b32_e64 v6, v13, v14, s5
	;; [unrolled: 1-line block ×3, first 2 shown]
	v_cmp_eq_u32_e64 s5, 4, v132
	v_cndmask_b32_e64 v13, v18, v14, s4
	v_cndmask_b32_e64 v17, v19, v10, s3
	;; [unrolled: 1-line block ×3, first 2 shown]
	v_cndmask_b32_e32 v2, v2, v14, vcc_lo
	v_cmp_eq_u32_e32 vcc_lo, 4, v134
	v_cmp_eq_u32_e64 s4, 4, v133
	v_lshrrev_b32_e32 v15, 16, v7
	v_cndmask_b32_e64 v5, v5, v3, s6
	v_cndmask_b32_e64 v6, v6, v7, s6
	;; [unrolled: 1-line block ×4, first 2 shown]
	v_cndmask_b32_e32 v13, v17, v3, vcc_lo
	v_cmp_eq_u32_e64 s3, 5, v134
	v_cndmask_b32_e32 v14, v18, v7, vcc_lo
	v_cndmask_b32_e64 v1, v1, v3, s4
	v_cmp_eq_u32_e32 vcc_lo, 5, v133
	v_cmp_eq_u32_e64 s5, 5, v130
	v_cndmask_b32_e64 v2, v2, v7, s4
	v_cmp_eq_u32_e64 s4, 5, v132
	v_cmp_eq_u32_e64 s6, 6, v130
	v_lshrrev_b32_e32 v12, 16, v4
	v_cndmask_b32_e64 v3, v5, v11, s5
	v_cndmask_b32_e64 v5, v6, v15, s5
	;; [unrolled: 1-line block ×3, first 2 shown]
	v_cmp_eq_u32_e64 s5, 6, v132
	v_cndmask_b32_e64 v7, v10, v15, s4
	v_cndmask_b32_e64 v9, v13, v11, s3
	;; [unrolled: 1-line block ×3, first 2 shown]
	v_cndmask_b32_e32 v1, v1, v11, vcc_lo
	v_cndmask_b32_e32 v2, v2, v15, vcc_lo
	v_cmp_eq_u32_e32 vcc_lo, 6, v134
	v_cmp_eq_u32_e64 s3, 6, v133
	v_lshrrev_b32_e32 v16, 16, v8
	v_cndmask_b32_e64 v3, v3, v4, s6
	v_cndmask_b32_e64 v5, v5, v8, s6
	v_cndmask_b32_e32 v9, v9, v4, vcc_lo
	v_cndmask_b32_e64 v6, v6, v4, s5
	v_cndmask_b32_e64 v7, v7, v8, s5
	v_cmp_eq_u32_e64 s4, 7, v134
	v_cndmask_b32_e32 v10, v10, v8, vcc_lo
	v_cndmask_b32_e64 v1, v1, v4, s3
	v_cmp_eq_u32_e32 vcc_lo, 7, v133
	v_cndmask_b32_e64 v2, v2, v8, s3
	v_cmp_eq_u32_e64 s3, 7, v130
	v_cmp_eq_u32_e64 s5, 7, v132
	v_cndmask_b32_e32 v1, v1, v12, vcc_lo
	s_delay_alu instid0(VALU_DEP_4) | instskip(NEXT) | instid1(VALU_DEP_4)
	v_cndmask_b32_e32 v2, v2, v16, vcc_lo
	v_cndmask_b32_e64 v8, v3, v12, s3
	s_delay_alu instid0(VALU_DEP_4)
	v_cndmask_b32_e64 v6, v6, v12, s5
	v_cndmask_b32_e64 v3, v9, v12, s4
	;; [unrolled: 1-line block ×5, first 2 shown]
	v_cmp_gt_u32_e32 vcc_lo, 32, v0
	v_perm_b32 v4, v2, v1, 0x5040100
	v_perm_b32 v3, v9, v3, 0x5040100
	;; [unrolled: 1-line block ×4, first 2 shown]
	s_and_b32 s2, vcc_lo, s2
	ds_store_b128 v129, v[1:4]
	s_waitcnt lgkmcnt(0)
	s_barrier
	buffer_gl0_inv
	s_and_saveexec_b32 s3, s2
	s_cbranch_execz .LBB73_2
; %bb.15:
	s_load_b64 s[0:1], s[0:1], 0x68
	v_lshlrev_b32_e32 v0, 10, v0
	s_lshl_b32 s4, s35, 6
	v_or_b32_e32 v23, s31, v146
	s_mul_i32 s2, s4, s34
	v_lshlrev_b32_e32 v1, 4, v147
	v_lshlrev_b32_e32 v2, 6, v146
	s_mul_i32 s2, s2, s7
	v_and_b32_e32 v0, 0x3800, v0
	v_mul_lo_u32 v8, v23, s4
	s_ashr_i32 s3, s2, 31
	v_or_b32_e32 v3, 2, v23
	s_lshl_b64 s[2:3], s[2:3], 1
	v_or3_b32 v27, v0, v1, v2
	v_or_b32_e32 v11, 4, v23
	v_or_b32_e32 v18, 6, v23
	v_mul_lo_u32 v10, v3, s4
	v_ashrrev_i32_e32 v9, 31, v8
	ds_load_b128 v[0:3], v27
	ds_load_b128 v[4:7], v27 offset:128
	v_mul_lo_u32 v12, v11, s4
	s_waitcnt lgkmcnt(0)
	s_add_u32 s2, s0, s2
	s_addc_u32 s3, s1, s3
	s_lshl_b32 s0, s14, 6
	v_lshlrev_b64 v[8:9], 1, v[8:9]
	s_ashr_i32 s1, s0, 31
	v_ashrrev_i32_e32 v11, 31, v10
	s_lshl_b64 s[0:1], s[0:1], 1
	v_ashrrev_i32_e32 v13, 31, v12
	s_add_u32 s0, s2, s0
	s_addc_u32 s1, s3, s1
	v_add_co_u32 v30, s0, s0, v145
	s_delay_alu instid0(VALU_DEP_1) | instskip(SKIP_1) | instid1(VALU_DEP_3)
	v_add_co_ci_u32_e64 v31, null, s1, 0, s0
	v_lshlrev_b64 v[16:17], 1, v[10:11]
	v_add_co_u32 v14, vcc_lo, v30, v8
	s_delay_alu instid0(VALU_DEP_3)
	v_add_co_ci_u32_e32 v15, vcc_lo, v31, v9, vcc_lo
	ds_load_b128 v[8:11], v27 offset:256
	v_mul_lo_u32 v18, v18, s4
	v_or_b32_e32 v19, 8, v23
	v_add_co_u32 v16, vcc_lo, v30, v16
	global_store_b128 v[14:15], v[0:3], off
	v_lshlrev_b64 v[0:1], 1, v[12:13]
	v_add_co_ci_u32_e32 v17, vcc_lo, v31, v17, vcc_lo
	v_mul_lo_u32 v12, v19, s4
	v_ashrrev_i32_e32 v19, 31, v18
	v_or_b32_e32 v14, 10, v23
	global_store_b128 v[16:17], v[4:7], off
	v_add_co_u32 v4, vcc_lo, v30, v0
	v_add_co_ci_u32_e32 v5, vcc_lo, v31, v1, vcc_lo
	ds_load_b128 v[0:3], v27 offset:384
	v_ashrrev_i32_e32 v13, 31, v12
	v_lshlrev_b64 v[6:7], 1, v[18:19]
	v_mul_lo_u32 v14, v14, s4
	s_waitcnt lgkmcnt(1)
	global_store_b128 v[4:5], v[8:11], off
	v_or_b32_e32 v8, 12, v23
	v_lshlrev_b64 v[4:5], 1, v[12:13]
	v_add_co_u32 v20, vcc_lo, v30, v6
	v_or_b32_e32 v6, 14, v23
	v_ashrrev_i32_e32 v15, 31, v14
	v_mul_lo_u32 v22, v8, s4
	v_add_co_ci_u32_e32 v21, vcc_lo, v31, v7, vcc_lo
	v_add_co_u32 v24, vcc_lo, v30, v4
	v_mul_lo_u32 v26, v6, s4
	v_add_co_ci_u32_e32 v25, vcc_lo, v31, v5, vcc_lo
	v_lshlrev_b64 v[28:29], 1, v[14:15]
	ds_load_b128 v[4:7], v27 offset:512
	ds_load_b128 v[8:11], v27 offset:640
	;; [unrolled: 1-line block ×4, first 2 shown]
	v_ashrrev_i32_e32 v23, 31, v22
	v_ashrrev_i32_e32 v27, 31, v26
	v_add_co_u32 v28, vcc_lo, v30, v28
	s_delay_alu instid0(VALU_DEP_3) | instskip(SKIP_1) | instid1(VALU_DEP_4)
	v_lshlrev_b64 v[22:23], 1, v[22:23]
	v_add_co_ci_u32_e32 v29, vcc_lo, v31, v29, vcc_lo
	v_lshlrev_b64 v[26:27], 1, v[26:27]
	s_delay_alu instid0(VALU_DEP_3) | instskip(NEXT) | instid1(VALU_DEP_4)
	v_add_co_u32 v22, vcc_lo, v30, v22
	v_add_co_ci_u32_e32 v23, vcc_lo, v31, v23, vcc_lo
	s_delay_alu instid0(VALU_DEP_3) | instskip(NEXT) | instid1(VALU_DEP_4)
	v_add_co_u32 v26, vcc_lo, v30, v26
	v_add_co_ci_u32_e32 v27, vcc_lo, v31, v27, vcc_lo
	s_waitcnt lgkmcnt(4)
	global_store_b128 v[20:21], v[0:3], off
	s_waitcnt lgkmcnt(3)
	global_store_b128 v[24:25], v[4:7], off
	;; [unrolled: 2-line block ×5, first 2 shown]
	s_nop 0
	s_sendmsg sendmsg(MSG_DEALLOC_VGPRS)
	s_endpgm
	.section	.rodata,"a",@progbits
	.p2align	6, 0x0
	.amdhsa_kernel _Z39paged_attention_ll4mi_QKV_mfma16_kernelIDF16_DF16_LN4vllm18Fp8KVCacheDataTypeE0EDF16_Li16ELi64ELi256ELb1ELi16EL8MFMAType0EEvPKT_PKT0_S8_ifPKiSA_SA_iPKfiiiPfSD_PS3_PT2_iSC_SC_
		.amdhsa_group_segment_fixed_size 17472
		.amdhsa_private_segment_fixed_size 0
		.amdhsa_kernarg_size 400
		.amdhsa_user_sgpr_count 13
		.amdhsa_user_sgpr_dispatch_ptr 0
		.amdhsa_user_sgpr_queue_ptr 0
		.amdhsa_user_sgpr_kernarg_segment_ptr 1
		.amdhsa_user_sgpr_dispatch_id 0
		.amdhsa_user_sgpr_private_segment_size 0
		.amdhsa_wavefront_size32 1
		.amdhsa_uses_dynamic_stack 0
		.amdhsa_enable_private_segment 0
		.amdhsa_system_sgpr_workgroup_id_x 1
		.amdhsa_system_sgpr_workgroup_id_y 1
		.amdhsa_system_sgpr_workgroup_id_z 1
		.amdhsa_system_sgpr_workgroup_info 0
		.amdhsa_system_vgpr_workitem_id 0
		.amdhsa_next_free_vgpr 198
		.amdhsa_next_free_sgpr 52
		.amdhsa_reserve_vcc 1
		.amdhsa_float_round_mode_32 0
		.amdhsa_float_round_mode_16_64 0
		.amdhsa_float_denorm_mode_32 3
		.amdhsa_float_denorm_mode_16_64 3
		.amdhsa_dx10_clamp 1
		.amdhsa_ieee_mode 1
		.amdhsa_fp16_overflow 0
		.amdhsa_workgroup_processor_mode 1
		.amdhsa_memory_ordered 1
		.amdhsa_forward_progress 0
		.amdhsa_shared_vgpr_count 0
		.amdhsa_exception_fp_ieee_invalid_op 0
		.amdhsa_exception_fp_denorm_src 0
		.amdhsa_exception_fp_ieee_div_zero 0
		.amdhsa_exception_fp_ieee_overflow 0
		.amdhsa_exception_fp_ieee_underflow 0
		.amdhsa_exception_fp_ieee_inexact 0
		.amdhsa_exception_int_div_zero 0
	.end_amdhsa_kernel
	.section	.text._Z39paged_attention_ll4mi_QKV_mfma16_kernelIDF16_DF16_LN4vllm18Fp8KVCacheDataTypeE0EDF16_Li16ELi64ELi256ELb1ELi16EL8MFMAType0EEvPKT_PKT0_S8_ifPKiSA_SA_iPKfiiiPfSD_PS3_PT2_iSC_SC_,"axG",@progbits,_Z39paged_attention_ll4mi_QKV_mfma16_kernelIDF16_DF16_LN4vllm18Fp8KVCacheDataTypeE0EDF16_Li16ELi64ELi256ELb1ELi16EL8MFMAType0EEvPKT_PKT0_S8_ifPKiSA_SA_iPKfiiiPfSD_PS3_PT2_iSC_SC_,comdat
.Lfunc_end73:
	.size	_Z39paged_attention_ll4mi_QKV_mfma16_kernelIDF16_DF16_LN4vllm18Fp8KVCacheDataTypeE0EDF16_Li16ELi64ELi256ELb1ELi16EL8MFMAType0EEvPKT_PKT0_S8_ifPKiSA_SA_iPKfiiiPfSD_PS3_PT2_iSC_SC_, .Lfunc_end73-_Z39paged_attention_ll4mi_QKV_mfma16_kernelIDF16_DF16_LN4vllm18Fp8KVCacheDataTypeE0EDF16_Li16ELi64ELi256ELb1ELi16EL8MFMAType0EEvPKT_PKT0_S8_ifPKiSA_SA_iPKfiiiPfSD_PS3_PT2_iSC_SC_
                                        ; -- End function
	.section	.AMDGPU.csdata,"",@progbits
; Kernel info:
; codeLenInByte = 8016
; NumSgprs: 54
; NumVgprs: 198
; ScratchSize: 0
; MemoryBound: 0
; FloatMode: 240
; IeeeMode: 1
; LDSByteSize: 17472 bytes/workgroup (compile time only)
; SGPRBlocks: 6
; VGPRBlocks: 24
; NumSGPRsForWavesPerEU: 54
; NumVGPRsForWavesPerEU: 198
; Occupancy: 7
; WaveLimiterHint : 1
; COMPUTE_PGM_RSRC2:SCRATCH_EN: 0
; COMPUTE_PGM_RSRC2:USER_SGPR: 13
; COMPUTE_PGM_RSRC2:TRAP_HANDLER: 0
; COMPUTE_PGM_RSRC2:TGID_X_EN: 1
; COMPUTE_PGM_RSRC2:TGID_Y_EN: 1
; COMPUTE_PGM_RSRC2:TGID_Z_EN: 1
; COMPUTE_PGM_RSRC2:TIDIG_COMP_CNT: 0
	.section	.text._Z35paged_attention_ll4mi_reduce_kernelIDF16_DF16_Li64ELi64ELi256ELi1EEvPT0_PKfS3_PKT_PKiS8_iS3_,"axG",@progbits,_Z35paged_attention_ll4mi_reduce_kernelIDF16_DF16_Li64ELi64ELi256ELi1EEvPT0_PKfS3_PKT_PKiS8_iS3_,comdat
	.protected	_Z35paged_attention_ll4mi_reduce_kernelIDF16_DF16_Li64ELi64ELi256ELi1EEvPT0_PKfS3_PKT_PKiS8_iS3_ ; -- Begin function _Z35paged_attention_ll4mi_reduce_kernelIDF16_DF16_Li64ELi64ELi256ELi1EEvPT0_PKfS3_PKT_PKiS8_iS3_
	.globl	_Z35paged_attention_ll4mi_reduce_kernelIDF16_DF16_Li64ELi64ELi256ELi1EEvPT0_PKfS3_PKT_PKiS8_iS3_
	.p2align	8
	.type	_Z35paged_attention_ll4mi_reduce_kernelIDF16_DF16_Li64ELi64ELi256ELi1EEvPT0_PKfS3_PKT_PKiS8_iS3_,@function
_Z35paged_attention_ll4mi_reduce_kernelIDF16_DF16_Li64ELi64ELi256ELi1EEvPT0_PKfS3_PKT_PKiS8_iS3_: ; @_Z35paged_attention_ll4mi_reduce_kernelIDF16_DF16_Li64ELi64ELi256ELi1EEvPT0_PKfS3_PKT_PKiS8_iS3_
; %bb.0:
	s_load_b64 s[16:17], s[0:1], 0x28
	s_mov_b32 s12, s15
	s_waitcnt lgkmcnt(0)
	s_cmp_lg_u64 s[16:17], 0
	s_cselect_b32 s15, -1, 0
	s_delay_alu instid0(SALU_CYCLE_1)
	s_and_b32 vcc_lo, exec_lo, s15
	s_cbranch_vccz .LBB74_16
; %bb.1:
	s_add_i32 s2, s12, 1
	s_mov_b32 s3, 0
	s_delay_alu instid0(SALU_CYCLE_1) | instskip(SKIP_4) | instid1(SALU_CYCLE_1)
	s_lshl_b64 s[4:5], s[2:3], 2
	s_mov_b32 s13, s3
	s_add_u32 s4, s16, s4
	s_addc_u32 s5, s17, s5
	s_lshl_b64 s[6:7], s[12:13], 2
	s_add_u32 s6, s16, s6
	s_addc_u32 s7, s17, s7
	s_clause 0x1
	s_load_b32 s2, s[4:5], 0x0
	s_load_b32 s4, s[6:7], 0x0
	s_waitcnt lgkmcnt(0)
	s_sub_i32 s2, s2, s4
	s_delay_alu instid0(SALU_CYCLE_1)
	s_cmp_eq_u32 s2, 1
	s_cselect_b32 s2, -1, 0
	s_cbranch_execnz .LBB74_3
.LBB74_2:
	s_mov_b32 s13, 0
	s_mov_b32 s2, -1
.LBB74_3:
	s_delay_alu instid0(SALU_CYCLE_1)
	s_and_not1_b32 vcc_lo, exec_lo, s2
	s_cbranch_vccz .LBB74_5
; %bb.4:
	s_endpgm
.LBB74_5:
	s_clause 0x1
	s_load_b128 s[4:7], s[0:1], 0x18
	s_load_b32 s8, s[0:1], 0x30
	s_lshl_b64 s[18:19], s[12:13], 2
	s_waitcnt lgkmcnt(0)
	s_add_u32 s2, s6, s18
	s_addc_u32 s3, s7, s19
	s_mov_b32 s7, exec_lo
	s_load_b32 s23, s[2:3], 0x0
	s_load_b32 s22, s[0:1], 0x40
	s_waitcnt lgkmcnt(0)
	s_add_i32 s3, s23, 0xff
	s_delay_alu instid0(SALU_CYCLE_1) | instskip(NEXT) | instid1(SALU_CYCLE_1)
	s_ashr_i32 s2, s3, 31
	s_lshr_b32 s6, s2, 24
	s_mul_i32 s2, s12, s8
	s_add_i32 s3, s3, s6
	s_mul_i32 s6, s14, s8
	v_cmpx_lt_u32_e32 31, v0
	s_xor_b32 s7, exec_lo, s7
	s_delay_alu instid0(SALU_CYCLE_1)
	s_or_saveexec_b32 s24, s7
	v_mov_b32_e32 v1, s6
	s_ashr_i32 s3, s3, 8
	s_mul_i32 s20, s2, s22
	s_xor_b32 exec_lo, exec_lo, s24
	s_cbranch_execz .LBB74_9
; %bb.6:
	s_load_b128 s[8:11], s[0:1], 0x8
	s_mov_b32 s21, 0
	v_cmp_gt_i32_e32 vcc_lo, s3, v0
	s_lshl_b64 s[26:27], s[20:21], 2
	s_mov_b32 s7, s21
	s_waitcnt lgkmcnt(0)
	s_add_u32 s2, s10, s26
	s_addc_u32 s21, s11, s27
	s_lshl_b64 s[10:11], s[6:7], 2
	s_delay_alu instid0(SALU_CYCLE_1) | instskip(SKIP_2) | instid1(SALU_CYCLE_1)
	s_add_u32 s2, s2, s10
	s_addc_u32 s7, s21, s11
	s_add_i32 s21, s3, -1
	v_cndmask_b32_e32 v1, s21, v0, vcc_lo
	s_delay_alu instid0(VALU_DEP_1) | instskip(NEXT) | instid1(VALU_DEP_1)
	v_ashrrev_i32_e32 v2, 31, v1
	v_lshlrev_b64 v[1:2], 2, v[1:2]
	s_delay_alu instid0(VALU_DEP_1) | instskip(NEXT) | instid1(VALU_DEP_1)
	v_add_co_u32 v3, s2, s2, v1
	v_add_co_ci_u32_e64 v4, s2, s7, v2, s2
	s_add_u32 s2, s8, s26
	s_addc_u32 s7, s9, s27
	s_add_u32 s2, s2, s10
	global_load_b32 v3, v[3:4], off
	s_addc_u32 s7, s7, s11
	v_add_co_u32 v1, s2, s2, v1
	s_delay_alu instid0(VALU_DEP_1) | instskip(SKIP_2) | instid1(VALU_DEP_1)
	v_add_co_ci_u32_e64 v2, s2, s7, v2, s2
	global_load_b32 v1, v[1:2], off
	v_mbcnt_lo_u32_b32 v2, -1, 0
	v_xor_b32_e32 v4, 16, v2
	v_xor_b32_e32 v6, 8, v2
	;; [unrolled: 1-line block ×5, first 2 shown]
	v_cmp_gt_i32_e64 s2, 32, v4
	s_delay_alu instid0(VALU_DEP_1) | instskip(SKIP_1) | instid1(VALU_DEP_2)
	v_cndmask_b32_e64 v4, v2, v4, s2
	v_cmp_gt_i32_e64 s2, 32, v6
	v_lshlrev_b32_e32 v4, 2, v4
	s_delay_alu instid0(VALU_DEP_2) | instskip(SKIP_1) | instid1(VALU_DEP_2)
	v_cndmask_b32_e64 v6, v2, v6, s2
	v_cmp_gt_i32_e64 s2, 32, v8
	v_lshlrev_b32_e32 v6, 2, v6
	s_delay_alu instid0(VALU_DEP_2) | instskip(SKIP_1) | instid1(VALU_DEP_2)
	;; [unrolled: 4-line block ×3, first 2 shown]
	v_cndmask_b32_e64 v9, v2, v9, s2
	v_cmp_gt_i32_e64 s2, 32, v10
	v_lshlrev_b32_e32 v9, 2, v9
	s_delay_alu instid0(VALU_DEP_2) | instskip(SKIP_1) | instid1(VALU_DEP_1)
	v_cndmask_b32_e64 v2, v2, v10, s2
	s_waitcnt vmcnt(1)
	v_dual_max_f32 v7, v3, v3 :: v_dual_lshlrev_b32 v2, 2, v2
	ds_bpermute_b32 v5, v4, v3
	s_waitcnt lgkmcnt(0)
	v_max_f32_e32 v5, v5, v5
	s_delay_alu instid0(VALU_DEP_1) | instskip(SKIP_3) | instid1(VALU_DEP_1)
	v_max_f32_e32 v5, v7, v5
	ds_bpermute_b32 v7, v6, v5
	s_waitcnt lgkmcnt(0)
	v_max_f32_e32 v7, v7, v7
	v_max_f32_e32 v5, v5, v7
	ds_bpermute_b32 v7, v8, v5
	s_waitcnt lgkmcnt(0)
	v_max_f32_e32 v7, v7, v7
	s_delay_alu instid0(VALU_DEP_1) | instskip(SKIP_3) | instid1(VALU_DEP_1)
	v_max_f32_e32 v5, v5, v7
	ds_bpermute_b32 v7, v9, v5
	s_waitcnt lgkmcnt(0)
	v_max_f32_e32 v7, v7, v7
	v_max_f32_e32 v5, v5, v7
	ds_bpermute_b32 v7, v2, v5
	s_waitcnt lgkmcnt(0)
	v_max_f32_e32 v7, v7, v7
	s_delay_alu instid0(VALU_DEP_1) | instskip(NEXT) | instid1(VALU_DEP_1)
	v_max_f32_e32 v5, v5, v7
	v_sub_f32_e32 v3, v3, v5
	s_delay_alu instid0(VALU_DEP_1) | instskip(SKIP_1) | instid1(VALU_DEP_2)
	v_mul_f32_e32 v5, 0x3fb8aa3b, v3
	v_cmp_ngt_f32_e64 s2, 0xc2ce8ed0, v3
	v_fma_f32 v7, 0x3fb8aa3b, v3, -v5
	v_rndne_f32_e32 v10, v5
	s_delay_alu instid0(VALU_DEP_2) | instskip(NEXT) | instid1(VALU_DEP_2)
	v_fmamk_f32 v7, v3, 0x32a5705f, v7
	v_sub_f32_e32 v5, v5, v10
	s_delay_alu instid0(VALU_DEP_1) | instskip(SKIP_1) | instid1(VALU_DEP_2)
	v_add_f32_e32 v5, v5, v7
	v_cvt_i32_f32_e32 v7, v10
	v_exp_f32_e32 v5, v5
	s_waitcnt_depctr 0xfff
	v_ldexp_f32 v5, v5, v7
	s_delay_alu instid0(VALU_DEP_1) | instskip(SKIP_1) | instid1(VALU_DEP_1)
	v_cndmask_b32_e64 v5, 0, v5, s2
	v_cmp_nlt_f32_e64 s2, 0x42b17218, v3
	v_cndmask_b32_e64 v3, 0x7f800000, v5, s2
	s_mov_b32 s2, exec_lo
	s_delay_alu instid0(VALU_DEP_1) | instskip(SKIP_1) | instid1(VALU_DEP_1)
	v_cndmask_b32_e32 v3, 0, v3, vcc_lo
	s_waitcnt vmcnt(0)
	v_mul_f32_e32 v3, v3, v1
	ds_bpermute_b32 v1, v4, v3
	s_waitcnt lgkmcnt(0)
	v_add_f32_e32 v1, v3, v1
	ds_bpermute_b32 v4, v6, v1
	s_waitcnt lgkmcnt(0)
	v_add_f32_e32 v1, v1, v4
	;; [unrolled: 3-line block ×4, first 2 shown]
	v_lshlrev_b32_e32 v4, 2, v0
	ds_bpermute_b32 v2, v2, v1
	ds_store_b32 v4, v3
	v_cmpx_eq_u32_e32 0, v0
	s_cbranch_execz .LBB74_8
; %bb.7:
	s_waitcnt lgkmcnt(1)
	v_dual_add_f32 v1, v1, v2 :: v_dual_mov_b32 v2, 0
	ds_store_b32 v2, v1 offset:128
.LBB74_8:
	s_or_b32 exec_lo, exec_lo, s2
	v_mov_b32_e32 v1, s6
.LBB74_9:
	s_or_b32 exec_lo, exec_lo, s24
	s_lshl_b32 s6, s20, 6
	s_mov_b32 s7, 0
	s_waitcnt lgkmcnt(1)
	v_dual_mov_b32 v2, 0 :: v_dual_lshlrev_b32 v1, 6, v1
	s_lshl_b64 s[6:7], s[6:7], 1
	v_lshlrev_b32_e32 v3, 1, v0
	s_add_u32 s9, s4, s6
	s_addc_u32 s33, s5, s7
	s_lshl_b32 s2, s3, 6
	v_lshlrev_b64 v[4:5], 1, v[1:2]
	s_sub_i32 s8, s2, 64
	s_cmp_lt_i32 s23, 1
	v_dual_mov_b32 v31, 0 :: v_dual_mov_b32 v32, 0
	s_cselect_b32 s2, s8, 0
	s_delay_alu instid0(VALU_DEP_2)
	v_add_co_u32 v0, vcc_lo, s9, v4
	s_ashr_i32 s3, s2, 31
	v_add_co_ci_u32_e32 v1, vcc_lo, s33, v5, vcc_lo
	s_lshl_b64 s[2:3], s[2:3], 1
	s_cmpk_lt_i32 s23, 0x101
	v_add_co_u32 v0, vcc_lo, v0, v3
	s_cselect_b32 s4, s8, 64
	v_add_co_ci_u32_e32 v1, vcc_lo, 0, v1, vcc_lo
	s_ashr_i32 s5, s4, 31
	s_delay_alu instid0(VALU_DEP_2)
	v_add_co_u32 v4, vcc_lo, v0, s2
	s_lshl_b64 s[4:5], s[4:5], 1
	s_cmpk_lt_i32 s23, 0x201
	v_add_co_ci_u32_e32 v5, vcc_lo, s3, v1, vcc_lo
	s_cselect_b32 s6, s8, 0x80
	v_add_co_u32 v8, vcc_lo, v0, s4
	s_ashr_i32 s7, s6, 31
	v_add_co_ci_u32_e32 v9, vcc_lo, s5, v1, vcc_lo
	s_lshl_b64 s[6:7], s[6:7], 1
	s_cmpk_lt_i32 s23, 0x301
	v_add_co_u32 v10, vcc_lo, v0, s6
	s_cselect_b32 s10, s8, 0xc0
	v_add_co_ci_u32_e32 v11, vcc_lo, s7, v1, vcc_lo
	s_ashr_i32 s11, s10, 31
	v_dual_mov_b32 v33, 0 :: v_dual_mov_b32 v34, 0
	s_lshl_b64 s[10:11], s[10:11], 1
	s_cmpk_lt_i32 s23, 0x401
	v_add_co_u32 v12, vcc_lo, v0, s10
	s_cselect_b32 s20, s8, 0x100
	v_add_co_ci_u32_e32 v13, vcc_lo, s11, v1, vcc_lo
	s_ashr_i32 s21, s20, 31
	v_mov_b32_e32 v35, 0
	s_lshl_b64 s[20:21], s[20:21], 1
	s_cmpk_lt_i32 s23, 0x501
	v_add_co_u32 v14, vcc_lo, v0, s20
	s_cselect_b32 s24, s8, 0x140
	v_add_co_ci_u32_e32 v15, vcc_lo, s21, v1, vcc_lo
	s_ashr_i32 s25, s24, 31
	v_mov_b32_e32 v30, 0
	s_lshl_b64 s[24:25], s[24:25], 1
	s_cmpk_lt_i32 s23, 0x601
	v_add_co_u32 v16, vcc_lo, v0, s24
	s_cselect_b32 s26, s8, 0x180
	v_add_co_ci_u32_e32 v17, vcc_lo, s25, v1, vcc_lo
	s_ashr_i32 s27, s26, 31
	s_delay_alu instid0(SALU_CYCLE_1)
	s_lshl_b64 s[26:27], s[26:27], 1
	s_cmpk_lt_i32 s23, 0x701
	v_add_co_u32 v18, vcc_lo, v0, s26
	s_cselect_b32 s28, s8, 0x1c0
	v_add_co_ci_u32_e32 v19, vcc_lo, s27, v1, vcc_lo
	s_ashr_i32 s29, s28, 31
	s_delay_alu instid0(SALU_CYCLE_1)
	s_lshl_b64 s[28:29], s[28:29], 1
	s_cmpk_lt_i32 s23, 0x801
	v_add_co_u32 v20, vcc_lo, v0, s28
	s_cselect_b32 s30, s8, 0x200
	v_add_co_ci_u32_e32 v21, vcc_lo, s29, v1, vcc_lo
	s_ashr_i32 s31, s30, 31
	s_clause 0x7
	global_load_u16 v7, v[4:5], off
	global_load_u16 v8, v[8:9], off
	;; [unrolled: 1-line block ×8, first 2 shown]
	s_lshl_b64 s[30:31], s[30:31], 1
	s_cmpk_lt_i32 s23, 0x901
	v_add_co_u32 v12, vcc_lo, v0, s30
	s_cselect_b32 s34, s8, 0x240
	v_add_co_ci_u32_e32 v13, vcc_lo, s31, v1, vcc_lo
	s_ashr_i32 s35, s34, 31
	s_delay_alu instid0(SALU_CYCLE_1)
	s_lshl_b64 s[34:35], s[34:35], 1
	s_cmpk_lt_i32 s23, 0xa01
	v_add_co_u32 v14, vcc_lo, v0, s34
	s_cselect_b32 s36, s8, 0x280
	v_add_co_ci_u32_e32 v15, vcc_lo, s35, v1, vcc_lo
	s_ashr_i32 s37, s36, 31
	s_delay_alu instid0(SALU_CYCLE_1)
	s_lshl_b64 s[2:3], s[36:37], 1
	s_cmpk_lt_i32 s23, 0xb01
	v_add_co_u32 v18, vcc_lo, v0, s2
	s_cselect_b32 s4, s8, 0x2c0
	v_add_co_ci_u32_e32 v19, vcc_lo, s3, v1, vcc_lo
	s_ashr_i32 s5, s4, 31
	s_delay_alu instid0(SALU_CYCLE_1)
	s_lshl_b64 s[4:5], s[4:5], 1
	s_cmpk_lt_i32 s23, 0xc01
	v_add_co_u32 v20, vcc_lo, v0, s4
	s_cselect_b32 s6, s8, 0x300
	v_add_co_ci_u32_e32 v21, vcc_lo, s5, v1, vcc_lo
	s_ashr_i32 s7, s6, 31
	s_delay_alu instid0(SALU_CYCLE_1)
	s_lshl_b64 s[6:7], s[6:7], 1
	s_cmpk_lt_i32 s23, 0xd01
	v_add_co_u32 v22, vcc_lo, v0, s6
	s_cselect_b32 s10, s8, 0x340
	v_add_co_ci_u32_e32 v23, vcc_lo, s7, v1, vcc_lo
	s_ashr_i32 s11, s10, 31
	s_delay_alu instid0(SALU_CYCLE_1)
	s_lshl_b64 s[10:11], s[10:11], 1
	s_cmpk_lt_i32 s23, 0xe01
	v_add_co_u32 v24, vcc_lo, v0, s10
	s_cselect_b32 s20, s8, 0x380
	v_add_co_ci_u32_e32 v25, vcc_lo, s11, v1, vcc_lo
	s_ashr_i32 s21, s20, 31
	s_delay_alu instid0(SALU_CYCLE_1)
	s_lshl_b64 s[2:3], s[20:21], 1
	s_cmpk_lt_i32 s23, 0xf01
	v_add_co_u32 v26, vcc_lo, v0, s2
	s_cselect_b32 s4, s8, 0x3c0
	v_add_co_ci_u32_e32 v27, vcc_lo, s3, v1, vcc_lo
	s_ashr_i32 s5, s4, 31
	s_delay_alu instid0(SALU_CYCLE_1)
	s_lshl_b64 s[2:3], s[4:5], 1
	s_cmpk_gt_i32 s23, 0x1000
	v_add_co_u32 v28, vcc_lo, v0, s2
	v_add_co_ci_u32_e32 v29, vcc_lo, s3, v1, vcc_lo
	s_clause 0x7
	global_load_u16 v16, v[12:13], off
	global_load_u16 v17, v[14:15], off
	;; [unrolled: 1-line block ×8, first 2 shown]
	v_dual_mov_b32 v20, 0 :: v_dual_mov_b32 v21, 0
	v_dual_mov_b32 v22, 0 :: v_dual_mov_b32 v23, 0
	;; [unrolled: 1-line block ×5, first 2 shown]
	s_cselect_b32 s4, -1, 0
	s_cmpk_lt_i32 s23, 0x1001
	s_waitcnt vmcnt(0) lgkmcnt(0)
	s_barrier
	buffer_gl0_inv
	s_cbranch_scc1 .LBB74_11
; %bb.10:
	s_cmpk_lt_u32 s23, 0x1101
	s_cselect_b32 s2, s8, 0x440
	s_delay_alu instid0(SALU_CYCLE_1) | instskip(NEXT) | instid1(SALU_CYCLE_1)
	s_ashr_i32 s3, s2, 31
	s_lshl_b64 s[2:3], s[2:3], 1
	s_cmpk_lt_u32 s23, 0x1201
	v_add_co_u32 v20, vcc_lo, v0, s2
	s_cselect_b32 s6, s8, 0x480
	v_add_co_ci_u32_e32 v21, vcc_lo, s3, v1, vcc_lo
	s_ashr_i32 s7, s6, 31
	s_delay_alu instid0(SALU_CYCLE_1)
	s_lshl_b64 s[6:7], s[6:7], 1
	s_cmpk_lt_u32 s23, 0x1301
	v_add_co_u32 v22, vcc_lo, v0, s6
	s_cselect_b32 s10, s8, 0x4c0
	v_add_co_ci_u32_e32 v23, vcc_lo, s7, v1, vcc_lo
	s_ashr_i32 s11, s10, 31
	s_delay_alu instid0(SALU_CYCLE_1)
	;; [unrolled: 7-line block ×6, first 2 shown]
	s_lshl_b64 s[28:29], s[28:29], 1
	s_cmpk_lt_u32 s23, 0x1801
	v_add_co_u32 v32, vcc_lo, v0, s28
	s_cselect_b32 s30, s8, 0x600
	v_add_co_ci_u32_e32 v33, vcc_lo, s29, v1, vcc_lo
	s_ashr_i32 s31, s30, 31
	s_clause 0x7
	global_load_u16 v34, v[0:1], off offset:2048
	global_load_u16 v36, v[20:21], off
	global_load_u16 v37, v[22:23], off
	;; [unrolled: 1-line block ×7, first 2 shown]
	s_lshl_b64 s[30:31], s[30:31], 1
	s_cmpk_lt_u32 s23, 0x1901
	v_add_co_u32 v20, vcc_lo, v0, s30
	s_cselect_b32 s34, s8, 0x640
	v_add_co_ci_u32_e32 v21, vcc_lo, s31, v1, vcc_lo
	s_ashr_i32 s35, s34, 31
	s_delay_alu instid0(SALU_CYCLE_1)
	s_lshl_b64 s[34:35], s[34:35], 1
	s_cmpk_lt_u32 s23, 0x1a01
	v_add_co_u32 v22, vcc_lo, v0, s34
	s_cselect_b32 s36, s8, 0x680
	v_add_co_ci_u32_e32 v23, vcc_lo, s35, v1, vcc_lo
	s_ashr_i32 s37, s36, 31
	s_delay_alu instid0(SALU_CYCLE_1)
	;; [unrolled: 7-line block ×6, first 2 shown]
	s_lshl_b64 s[2:3], s[20:21], 1
	s_cmpk_lt_u32 s23, 0x1f01
	v_add_co_u32 v32, vcc_lo, v0, s2
	s_cselect_b32 s6, s8, 0x7c0
	v_add_co_ci_u32_e32 v33, vcc_lo, s3, v1, vcc_lo
	s_ashr_i32 s7, s6, 31
	s_delay_alu instid0(SALU_CYCLE_1) | instskip(NEXT) | instid1(SALU_CYCLE_1)
	s_lshl_b64 s[2:3], s[6:7], 1
	v_add_co_u32 v0, vcc_lo, v0, s2
	v_add_co_ci_u32_e32 v1, vcc_lo, s3, v1, vcc_lo
	s_clause 0x7
	global_load_u16 v20, v[20:21], off
	global_load_u16 v21, v[22:23], off
	;; [unrolled: 1-line block ×8, first 2 shown]
	s_waitcnt vmcnt(15)
	v_cvt_f32_f16_e32 v35, v34
	s_waitcnt vmcnt(14)
	v_cvt_f32_f16_e32 v34, v36
	;; [unrolled: 2-line block ×16, first 2 shown]
.LBB74_11:
	ds_load_b128 v[36:39], v2
	ds_load_b128 v[40:43], v2 offset:16
	s_load_b64 s[0:1], s[0:1], 0x0
	s_and_not1_b32 vcc_lo, exec_lo, s4
	s_waitcnt lgkmcnt(0)
	v_fma_mix_f32 v0, v36, v7, 0 op_sel_hi:[0,1,0]
	s_delay_alu instid0(VALU_DEP_1) | instskip(NEXT) | instid1(VALU_DEP_1)
	v_fma_mix_f32 v0, v37, v8, v0 op_sel_hi:[0,1,0]
	v_fma_mix_f32 v0, v38, v9, v0 op_sel_hi:[0,1,0]
	s_delay_alu instid0(VALU_DEP_1) | instskip(SKIP_3) | instid1(VALU_DEP_1)
	v_fma_mix_f32 v0, v39, v10, v0 op_sel_hi:[0,1,0]
	ds_load_b128 v[7:10], v2 offset:32
	ds_load_b128 v[36:39], v2 offset:48
	v_fma_mix_f32 v0, v40, v11, v0 op_sel_hi:[0,1,0]
	v_fma_mix_f32 v0, v41, v4, v0 op_sel_hi:[0,1,0]
	s_delay_alu instid0(VALU_DEP_1) | instskip(NEXT) | instid1(VALU_DEP_1)
	v_fma_mix_f32 v0, v42, v5, v0 op_sel_hi:[0,1,0]
	v_fma_mix_f32 v0, v43, v6, v0 op_sel_hi:[0,1,0]
	s_waitcnt lgkmcnt(1)
	s_delay_alu instid0(VALU_DEP_1) | instskip(NEXT) | instid1(VALU_DEP_1)
	v_fma_mix_f32 v0, v7, v16, v0 op_sel_hi:[0,1,0]
	v_fma_mix_f32 v0, v8, v17, v0 op_sel_hi:[0,1,0]
	s_delay_alu instid0(VALU_DEP_1) | instskip(NEXT) | instid1(VALU_DEP_1)
	v_fma_mix_f32 v0, v9, v18, v0 op_sel_hi:[0,1,0]
	v_fma_mix_f32 v0, v10, v19, v0 op_sel_hi:[0,1,0]
	s_waitcnt lgkmcnt(0)
	s_delay_alu instid0(VALU_DEP_1) | instskip(NEXT) | instid1(VALU_DEP_1)
	v_fma_mix_f32 v0, v36, v14, v0 op_sel_hi:[0,1,0]
	v_fma_mix_f32 v0, v37, v15, v0 op_sel_hi:[0,1,0]
	s_delay_alu instid0(VALU_DEP_1) | instskip(NEXT) | instid1(VALU_DEP_1)
	v_fma_mix_f32 v0, v38, v12, v0 op_sel_hi:[0,1,0]
	v_fma_mix_f32 v0, v39, v13, v0 op_sel_hi:[0,1,0]
	s_cbranch_vccnz .LBB74_13
; %bb.12:
	ds_load_b128 v[4:7], v2 offset:64
	ds_load_b128 v[8:11], v2 offset:80
	s_waitcnt lgkmcnt(1)
	v_fmac_f32_e32 v0, v4, v35
	s_delay_alu instid0(VALU_DEP_1) | instskip(NEXT) | instid1(VALU_DEP_1)
	v_fmac_f32_e32 v0, v5, v34
	v_fmac_f32_e32 v0, v6, v33
	s_delay_alu instid0(VALU_DEP_1) | instskip(SKIP_3) | instid1(VALU_DEP_1)
	v_fmac_f32_e32 v0, v7, v32
	ds_load_b128 v[4:7], v2 offset:96
	s_waitcnt lgkmcnt(1)
	v_fmac_f32_e32 v0, v8, v31
	v_fmac_f32_e32 v0, v9, v30
	s_delay_alu instid0(VALU_DEP_1) | instskip(NEXT) | instid1(VALU_DEP_1)
	v_fmac_f32_e32 v0, v10, v29
	v_fmac_f32_e32 v0, v11, v28
	ds_load_b128 v[8:11], v2 offset:112
	s_waitcnt lgkmcnt(1)
	v_fmac_f32_e32 v0, v4, v27
	s_delay_alu instid0(VALU_DEP_1) | instskip(NEXT) | instid1(VALU_DEP_1)
	v_fmac_f32_e32 v0, v5, v26
	v_fmac_f32_e32 v0, v6, v25
	s_delay_alu instid0(VALU_DEP_1) | instskip(SKIP_1) | instid1(VALU_DEP_1)
	v_fmac_f32_e32 v0, v7, v24
	s_waitcnt lgkmcnt(0)
	v_fmac_f32_e32 v0, v8, v23
	s_delay_alu instid0(VALU_DEP_1) | instskip(NEXT) | instid1(VALU_DEP_1)
	v_fmac_f32_e32 v0, v9, v22
	v_fmac_f32_e32 v0, v10, v21
	s_delay_alu instid0(VALU_DEP_1)
	v_fmac_f32_e32 v0, v11, v20
.LBB74_13:
	ds_load_b32 v1, v2 offset:128
	s_and_not1_b32 vcc_lo, exec_lo, s15
	s_cbranch_vccnz .LBB74_15
; %bb.14:
	s_add_u32 s2, s16, s18
	s_addc_u32 s3, s17, s19
	s_mov_b32 s13, 0
	s_load_b32 s12, s[2:3], 0x0
.LBB74_15:
	s_waitcnt lgkmcnt(0)
	v_add_f32_e32 v1, 0x358637bd, v1
	s_mul_i32 s2, s22, s13
	s_mul_hi_u32 s3, s22, s12
	s_mov_b32 s15, 0
	s_add_i32 s3, s3, s2
	v_div_scale_f32 v2, null, v1, v1, 1.0
	s_mul_i32 s2, s22, s12
	s_delay_alu instid0(SALU_CYCLE_1) | instskip(NEXT) | instid1(VALU_DEP_1)
	s_lshl_b64 s[2:3], s[2:3], 7
	v_rcp_f32_e32 v4, v2
	s_add_u32 s2, s0, s2
	s_addc_u32 s3, s1, s3
	s_lshl_b64 s[0:1], s[14:15], 7
	s_delay_alu instid0(SALU_CYCLE_1) | instskip(SKIP_3) | instid1(VALU_DEP_1)
	s_add_u32 s0, s2, s0
	s_addc_u32 s1, s3, s1
	s_waitcnt_depctr 0xfff
	v_fma_f32 v5, -v2, v4, 1.0
	v_fmac_f32_e32 v4, v5, v4
	v_div_scale_f32 v5, vcc_lo, 1.0, v1, 1.0
	s_delay_alu instid0(VALU_DEP_1) | instskip(NEXT) | instid1(VALU_DEP_1)
	v_mul_f32_e32 v6, v5, v4
	v_fma_f32 v7, -v2, v6, v5
	s_delay_alu instid0(VALU_DEP_1) | instskip(NEXT) | instid1(VALU_DEP_1)
	v_fmac_f32_e32 v6, v7, v4
	v_fma_f32 v2, -v2, v6, v5
	s_delay_alu instid0(VALU_DEP_1) | instskip(NEXT) | instid1(VALU_DEP_1)
	v_div_fmas_f32 v2, v2, v4, v6
	v_div_fixup_f32 v1, v2, v1, 1.0
	s_delay_alu instid0(VALU_DEP_1)
	v_fma_mixlo_f16 v0, v0, v1, 0
	global_store_b16 v3, v0, s[0:1]
	s_nop 0
	s_sendmsg sendmsg(MSG_DEALLOC_VGPRS)
	s_endpgm
.LBB74_16:
	s_mov_b32 s2, 0
	s_branch .LBB74_2
	.section	.rodata,"a",@progbits
	.p2align	6, 0x0
	.amdhsa_kernel _Z35paged_attention_ll4mi_reduce_kernelIDF16_DF16_Li64ELi64ELi256ELi1EEvPT0_PKfS3_PKT_PKiS8_iS3_
		.amdhsa_group_segment_fixed_size 132
		.amdhsa_private_segment_fixed_size 0
		.amdhsa_kernarg_size 320
		.amdhsa_user_sgpr_count 14
		.amdhsa_user_sgpr_dispatch_ptr 0
		.amdhsa_user_sgpr_queue_ptr 0
		.amdhsa_user_sgpr_kernarg_segment_ptr 1
		.amdhsa_user_sgpr_dispatch_id 0
		.amdhsa_user_sgpr_private_segment_size 0
		.amdhsa_wavefront_size32 1
		.amdhsa_uses_dynamic_stack 0
		.amdhsa_enable_private_segment 0
		.amdhsa_system_sgpr_workgroup_id_x 1
		.amdhsa_system_sgpr_workgroup_id_y 1
		.amdhsa_system_sgpr_workgroup_id_z 0
		.amdhsa_system_sgpr_workgroup_info 0
		.amdhsa_system_vgpr_workitem_id 0
		.amdhsa_next_free_vgpr 46
		.amdhsa_next_free_sgpr 38
		.amdhsa_reserve_vcc 1
		.amdhsa_float_round_mode_32 0
		.amdhsa_float_round_mode_16_64 0
		.amdhsa_float_denorm_mode_32 3
		.amdhsa_float_denorm_mode_16_64 3
		.amdhsa_dx10_clamp 1
		.amdhsa_ieee_mode 1
		.amdhsa_fp16_overflow 0
		.amdhsa_workgroup_processor_mode 1
		.amdhsa_memory_ordered 1
		.amdhsa_forward_progress 0
		.amdhsa_shared_vgpr_count 0
		.amdhsa_exception_fp_ieee_invalid_op 0
		.amdhsa_exception_fp_denorm_src 0
		.amdhsa_exception_fp_ieee_div_zero 0
		.amdhsa_exception_fp_ieee_overflow 0
		.amdhsa_exception_fp_ieee_underflow 0
		.amdhsa_exception_fp_ieee_inexact 0
		.amdhsa_exception_int_div_zero 0
	.end_amdhsa_kernel
	.section	.text._Z35paged_attention_ll4mi_reduce_kernelIDF16_DF16_Li64ELi64ELi256ELi1EEvPT0_PKfS3_PKT_PKiS8_iS3_,"axG",@progbits,_Z35paged_attention_ll4mi_reduce_kernelIDF16_DF16_Li64ELi64ELi256ELi1EEvPT0_PKfS3_PKT_PKiS8_iS3_,comdat
.Lfunc_end74:
	.size	_Z35paged_attention_ll4mi_reduce_kernelIDF16_DF16_Li64ELi64ELi256ELi1EEvPT0_PKfS3_PKT_PKiS8_iS3_, .Lfunc_end74-_Z35paged_attention_ll4mi_reduce_kernelIDF16_DF16_Li64ELi64ELi256ELi1EEvPT0_PKfS3_PKT_PKiS8_iS3_
                                        ; -- End function
	.section	.AMDGPU.csdata,"",@progbits
; Kernel info:
; codeLenInByte = 3196
; NumSgprs: 40
; NumVgprs: 46
; ScratchSize: 0
; MemoryBound: 0
; FloatMode: 240
; IeeeMode: 1
; LDSByteSize: 132 bytes/workgroup (compile time only)
; SGPRBlocks: 4
; VGPRBlocks: 5
; NumSGPRsForWavesPerEU: 40
; NumVGPRsForWavesPerEU: 46
; Occupancy: 16
; WaveLimiterHint : 1
; COMPUTE_PGM_RSRC2:SCRATCH_EN: 0
; COMPUTE_PGM_RSRC2:USER_SGPR: 14
; COMPUTE_PGM_RSRC2:TRAP_HANDLER: 0
; COMPUTE_PGM_RSRC2:TGID_X_EN: 1
; COMPUTE_PGM_RSRC2:TGID_Y_EN: 1
; COMPUTE_PGM_RSRC2:TGID_Z_EN: 0
; COMPUTE_PGM_RSRC2:TIDIG_COMP_CNT: 0
	.section	.text._Z35paged_attention_ll4mi_reduce_kernelIDF16_DF16_Li64ELi64ELi256ELi2EEvPT0_PKfS3_PKT_PKiS8_iS3_,"axG",@progbits,_Z35paged_attention_ll4mi_reduce_kernelIDF16_DF16_Li64ELi64ELi256ELi2EEvPT0_PKfS3_PKT_PKiS8_iS3_,comdat
	.protected	_Z35paged_attention_ll4mi_reduce_kernelIDF16_DF16_Li64ELi64ELi256ELi2EEvPT0_PKfS3_PKT_PKiS8_iS3_ ; -- Begin function _Z35paged_attention_ll4mi_reduce_kernelIDF16_DF16_Li64ELi64ELi256ELi2EEvPT0_PKfS3_PKT_PKiS8_iS3_
	.globl	_Z35paged_attention_ll4mi_reduce_kernelIDF16_DF16_Li64ELi64ELi256ELi2EEvPT0_PKfS3_PKT_PKiS8_iS3_
	.p2align	8
	.type	_Z35paged_attention_ll4mi_reduce_kernelIDF16_DF16_Li64ELi64ELi256ELi2EEvPT0_PKfS3_PKT_PKiS8_iS3_,@function
_Z35paged_attention_ll4mi_reduce_kernelIDF16_DF16_Li64ELi64ELi256ELi2EEvPT0_PKfS3_PKT_PKiS8_iS3_: ; @_Z35paged_attention_ll4mi_reduce_kernelIDF16_DF16_Li64ELi64ELi256ELi2EEvPT0_PKfS3_PKT_PKiS8_iS3_
; %bb.0:
	s_load_b64 s[12:13], s[0:1], 0x28
	s_mov_b32 s2, s15
	s_waitcnt lgkmcnt(0)
	s_cmp_lg_u64 s[12:13], 0
	s_cselect_b32 s15, -1, 0
	s_delay_alu instid0(SALU_CYCLE_1)
	s_and_b32 vcc_lo, exec_lo, s15
	s_cbranch_vccz .LBB75_16
; %bb.1:
	s_add_i32 s4, s2, 1
	s_mov_b32 s5, 0
	s_delay_alu instid0(SALU_CYCLE_1) | instskip(SKIP_4) | instid1(SALU_CYCLE_1)
	s_lshl_b64 s[6:7], s[4:5], 2
	s_mov_b32 s3, s5
	s_add_u32 s6, s12, s6
	s_addc_u32 s7, s13, s7
	s_lshl_b64 s[8:9], s[2:3], 2
	s_add_u32 s8, s12, s8
	s_addc_u32 s9, s13, s9
	s_clause 0x1
	s_load_b32 s4, s[6:7], 0x0
	s_load_b32 s6, s[8:9], 0x0
	s_waitcnt lgkmcnt(0)
	s_sub_i32 s4, s4, s6
	s_delay_alu instid0(SALU_CYCLE_1)
	s_cmp_eq_u32 s4, 1
	s_cselect_b32 s4, -1, 0
	s_cbranch_execnz .LBB75_3
.LBB75_2:
	s_mov_b32 s3, 0
	s_mov_b32 s4, -1
.LBB75_3:
	s_delay_alu instid0(SALU_CYCLE_1)
	s_and_not1_b32 vcc_lo, exec_lo, s4
	s_cbranch_vccz .LBB75_5
; %bb.4:
	s_endpgm
.LBB75_5:
	s_clause 0x1
	s_load_b128 s[4:7], s[0:1], 0x18
	s_load_b32 s9, s[0:1], 0x30
	s_lshl_b64 s[16:17], s[2:3], 2
	s_waitcnt lgkmcnt(0)
	s_add_u32 s6, s6, s16
	s_addc_u32 s7, s7, s17
	s_load_b32 s20, s[6:7], 0x0
	s_load_b32 s33, s[0:1], 0x40
	s_mul_i32 s7, s2, s9
	s_waitcnt lgkmcnt(0)
	s_add_i32 s50, s20, 0xff
	s_delay_alu instid0(SALU_CYCLE_1) | instskip(NEXT) | instid1(SALU_CYCLE_1)
	s_ashr_i32 s6, s50, 31
	s_lshr_b32 s6, s6, 24
	s_delay_alu instid0(SALU_CYCLE_1) | instskip(SKIP_4) | instid1(SALU_CYCLE_1)
	s_add_i32 s8, s50, s6
	s_mul_i32 s6, s14, s9
	s_mov_b32 s9, exec_lo
	v_cmpx_lt_u32_e32 31, v0
	s_xor_b32 s9, exec_lo, s9
	s_or_saveexec_b32 s22, s9
	v_mov_b32_e32 v1, s6
	s_ashr_i32 s21, s8, 8
	s_mul_i32 s18, s7, s33
	s_xor_b32 exec_lo, exec_lo, s22
	s_cbranch_execz .LBB75_9
; %bb.6:
	v_or_b32_e32 v1, 32, v0
	s_load_b128 s[8:11], s[0:1], 0x8
	s_add_i32 s7, s21, -1
	s_mov_b32 s19, 0
	s_delay_alu instid0(SALU_CYCLE_1) | instskip(SKIP_3) | instid1(VALU_DEP_2)
	s_lshl_b64 s[24:25], s[18:19], 2
	v_cmp_gt_i32_e32 vcc_lo, s21, v1
	v_cndmask_b32_e32 v1, s7, v1, vcc_lo
	v_cmp_gt_i32_e32 vcc_lo, s21, v0
	v_ashrrev_i32_e32 v2, 31, v1
	v_cndmask_b32_e32 v3, s7, v0, vcc_lo
	s_mov_b32 s7, s19
	s_delay_alu instid0(VALU_DEP_2) | instskip(NEXT) | instid1(VALU_DEP_2)
	v_lshlrev_b64 v[1:2], 2, v[1:2]
	v_ashrrev_i32_e32 v4, 31, v3
	s_waitcnt lgkmcnt(0)
	s_add_u32 s19, s10, s24
	s_addc_u32 s23, s11, s25
	s_lshl_b64 s[10:11], s[6:7], 2
	v_lshlrev_b64 v[3:4], 2, v[3:4]
	s_add_u32 s7, s19, s10
	s_addc_u32 s19, s23, s11
	v_add_co_u32 v5, vcc_lo, s7, v1
	v_add_co_ci_u32_e32 v6, vcc_lo, s19, v2, vcc_lo
	s_delay_alu instid0(VALU_DEP_3)
	v_add_co_u32 v7, vcc_lo, s7, v3
	v_add_co_ci_u32_e32 v8, vcc_lo, s19, v4, vcc_lo
	s_clause 0x1
	global_load_b32 v5, v[5:6], off
	global_load_b32 v6, v[7:8], off
	s_add_u32 s7, s8, s24
	s_addc_u32 s8, s9, s25
	s_add_u32 s7, s7, s10
	s_addc_u32 s8, s8, s11
	v_add_co_u32 v3, vcc_lo, s7, v3
	v_add_co_ci_u32_e32 v4, vcc_lo, s8, v4, vcc_lo
	v_add_co_u32 v1, vcc_lo, s7, v1
	v_add_co_ci_u32_e32 v2, vcc_lo, s8, v2, vcc_lo
	s_clause 0x1
	global_load_b32 v3, v[3:4], off
	global_load_b32 v1, v[1:2], off
	v_mbcnt_lo_u32_b32 v2, -1, 0
	s_mov_b32 s7, exec_lo
	s_delay_alu instid0(VALU_DEP_1)
	v_xor_b32_e32 v4, 16, v2
	v_xor_b32_e32 v9, 8, v2
	;; [unrolled: 1-line block ×5, first 2 shown]
	v_cmp_gt_i32_e32 vcc_lo, 32, v4
	v_cndmask_b32_e32 v4, v2, v4, vcc_lo
	v_cmp_gt_i32_e32 vcc_lo, 32, v9
	s_waitcnt vmcnt(2)
	v_dual_max_f32 v7, v5, v5 :: v_dual_max_f32 v8, v6, v6
	s_delay_alu instid0(VALU_DEP_1)
	v_dual_max_f32 v7, v8, v7 :: v_dual_lshlrev_b32 v4, 2, v4
	ds_bpermute_b32 v8, v4, v7
	v_cndmask_b32_e32 v9, v2, v9, vcc_lo
	v_cmp_gt_i32_e32 vcc_lo, 32, v10
	v_cndmask_b32_e32 v10, v2, v10, vcc_lo
	v_cmp_gt_i32_e32 vcc_lo, 32, v11
	s_delay_alu instid0(VALU_DEP_2) | instskip(SKIP_1) | instid1(VALU_DEP_2)
	v_dual_cndmask_b32 v11, v2, v11 :: v_dual_lshlrev_b32 v10, 2, v10
	v_cmp_gt_i32_e32 vcc_lo, 32, v12
	v_dual_cndmask_b32 v2, v2, v12 :: v_dual_lshlrev_b32 v11, 2, v11
	s_waitcnt lgkmcnt(0)
	v_dual_max_f32 v8, v8, v8 :: v_dual_lshlrev_b32 v9, 2, v9
	s_delay_alu instid0(VALU_DEP_1) | instskip(SKIP_3) | instid1(VALU_DEP_1)
	v_dual_max_f32 v7, v7, v8 :: v_dual_lshlrev_b32 v2, 2, v2
	ds_bpermute_b32 v8, v9, v7
	s_waitcnt lgkmcnt(0)
	v_max_f32_e32 v8, v8, v8
	v_max_f32_e32 v7, v7, v8
	ds_bpermute_b32 v8, v10, v7
	s_waitcnt lgkmcnt(0)
	v_max_f32_e32 v8, v8, v8
	s_delay_alu instid0(VALU_DEP_1) | instskip(SKIP_3) | instid1(VALU_DEP_1)
	v_max_f32_e32 v7, v7, v8
	ds_bpermute_b32 v8, v11, v7
	s_waitcnt lgkmcnt(0)
	v_max_f32_e32 v8, v8, v8
	v_max_f32_e32 v7, v7, v8
	ds_bpermute_b32 v8, v2, v7
	s_waitcnt lgkmcnt(0)
	v_max_f32_e32 v8, v8, v8
	s_delay_alu instid0(VALU_DEP_1) | instskip(NEXT) | instid1(VALU_DEP_1)
	v_max_f32_e32 v7, v7, v8
	v_sub_f32_e32 v5, v5, v7
	s_delay_alu instid0(VALU_DEP_1) | instskip(NEXT) | instid1(VALU_DEP_1)
	v_mul_f32_e32 v8, 0x3fb8aa3b, v5
	v_rndne_f32_e32 v15, v8
	v_fma_f32 v14, 0x3fb8aa3b, v5, -v8
	s_delay_alu instid0(VALU_DEP_2) | instskip(SKIP_1) | instid1(VALU_DEP_3)
	v_sub_f32_e32 v8, v8, v15
	v_sub_f32_e32 v6, v6, v7
	v_fmac_f32_e32 v14, 0x32a5705f, v5
	s_delay_alu instid0(VALU_DEP_2) | instskip(NEXT) | instid1(VALU_DEP_1)
	v_mul_f32_e32 v7, 0x3fb8aa3b, v6
	v_fma_f32 v12, 0x3fb8aa3b, v6, -v7
	v_rndne_f32_e32 v13, v7
	s_delay_alu instid0(VALU_DEP_1) | instskip(NEXT) | instid1(VALU_DEP_1)
	v_dual_fmac_f32 v12, 0x32a5705f, v6 :: v_dual_sub_f32 v7, v7, v13
	v_add_f32_e32 v7, v7, v12
	v_cvt_i32_f32_e32 v12, v13
	v_cmp_ngt_f32_e32 vcc_lo, 0xc2ce8ed0, v6
	v_cvt_i32_f32_e32 v13, v15
	s_delay_alu instid0(VALU_DEP_4) | instskip(SKIP_4) | instid1(VALU_DEP_3)
	v_exp_f32_e32 v7, v7
	s_waitcnt_depctr 0xfff
	v_ldexp_f32 v7, v7, v12
	v_add_f32_e32 v8, v8, v14
	v_sub_nc_u32_e32 v12, s21, v0
	v_cndmask_b32_e32 v7, 0, v7, vcc_lo
	s_delay_alu instid0(VALU_DEP_3) | instskip(SKIP_3) | instid1(VALU_DEP_1)
	v_exp_f32_e32 v8, v8
	v_cmp_ngt_f32_e32 vcc_lo, 0xc2ce8ed0, v5
	s_waitcnt_depctr 0xfff
	v_ldexp_f32 v8, v8, v13
	v_cndmask_b32_e32 v8, 0, v8, vcc_lo
	v_cmp_nlt_f32_e32 vcc_lo, 0x42b17218, v6
	v_dual_cndmask_b32 v6, 0x7f800000, v7 :: v_dual_lshlrev_b32 v7, 2, v0
	v_cmp_nlt_f32_e32 vcc_lo, 0x42b17218, v5
	s_delay_alu instid0(VALU_DEP_4) | instskip(SKIP_1) | instid1(VALU_DEP_4)
	v_cndmask_b32_e32 v5, 0x7f800000, v8, vcc_lo
	v_cmp_lt_i32_e32 vcc_lo, 0, v12
	v_cndmask_b32_e32 v6, 0, v6, vcc_lo
	v_cmp_lt_i32_e32 vcc_lo, 32, v12
	s_delay_alu instid0(VALU_DEP_4) | instskip(SKIP_1) | instid1(VALU_DEP_1)
	v_cndmask_b32_e32 v5, 0, v5, vcc_lo
	s_waitcnt vmcnt(0)
	v_dual_mul_f32 v3, v3, v6 :: v_dual_mul_f32 v6, v1, v5
	ds_store_2addr_b32 v7, v3, v6 offset1:32
	v_fmac_f32_e32 v3, v1, v5
	ds_bpermute_b32 v1, v4, v3
	s_waitcnt lgkmcnt(0)
	v_add_f32_e32 v1, v3, v1
	ds_bpermute_b32 v3, v9, v1
	s_waitcnt lgkmcnt(0)
	v_add_f32_e32 v1, v1, v3
	;; [unrolled: 3-line block ×4, first 2 shown]
	ds_bpermute_b32 v2, v2, v1
	v_cmpx_eq_u32_e32 0, v0
	s_cbranch_execz .LBB75_8
; %bb.7:
	s_waitcnt lgkmcnt(0)
	v_dual_add_f32 v1, v1, v2 :: v_dual_mov_b32 v2, 0
	ds_store_b32 v2, v1 offset:256
.LBB75_8:
	s_or_b32 exec_lo, exec_lo, s7
	v_mov_b32_e32 v1, s6
.LBB75_9:
	s_or_b32 exec_lo, exec_lo, s22
	s_lshl_b32 s6, s18, 6
	s_mov_b32 s7, 0
	s_waitcnt lgkmcnt(0)
	v_dual_mov_b32 v2, 0 :: v_dual_lshlrev_b32 v1, 6, v1
	s_lshl_b64 s[6:7], s[6:7], 1
	v_lshlrev_b32_e32 v0, 1, v0
	s_add_u32 s34, s4, s6
	s_addc_u32 s35, s5, s7
	s_lshl_b32 s4, s21, 6
	v_lshlrev_b64 v[3:4], 1, v[1:2]
	s_sub_i32 s51, s4, 64
	s_cmpk_lt_i32 s50, 0x100
	v_dual_mov_b32 v30, 0 :: v_dual_mov_b32 v33, 0
	s_cselect_b32 s4, s51, 0
	s_delay_alu instid0(VALU_DEP_2)
	v_add_co_u32 v1, vcc_lo, s34, v3
	s_ashr_i32 s5, s4, 31
	v_add_co_ci_u32_e32 v3, vcc_lo, s35, v4, vcc_lo
	s_lshl_b64 s[4:5], s[4:5], 1
	s_cmpk_lt_i32 s50, 0x200
	v_add_co_u32 v1, vcc_lo, v1, v0
	s_cselect_b32 s6, s51, 64
	v_add_co_ci_u32_e32 v3, vcc_lo, 0, v3, vcc_lo
	s_ashr_i32 s7, s6, 31
	s_delay_alu instid0(VALU_DEP_2)
	v_add_co_u32 v4, vcc_lo, v1, s4
	s_lshl_b64 s[6:7], s[6:7], 1
	s_cmpk_lt_i32 s50, 0x300
	v_add_co_ci_u32_e32 v5, vcc_lo, s5, v3, vcc_lo
	s_cselect_b32 s8, s51, 0x80
	v_add_co_u32 v8, vcc_lo, v1, s6
	s_ashr_i32 s9, s8, 31
	v_add_co_ci_u32_e32 v9, vcc_lo, s7, v3, vcc_lo
	s_lshl_b64 s[8:9], s[8:9], 1
	s_cmpk_lt_i32 s50, 0x400
	v_add_co_u32 v10, vcc_lo, v1, s8
	s_cselect_b32 s10, s51, 0xc0
	v_add_co_ci_u32_e32 v11, vcc_lo, s9, v3, vcc_lo
	s_ashr_i32 s11, s10, 31
	v_dual_mov_b32 v32, 0 :: v_dual_mov_b32 v35, 0
	s_lshl_b64 s[10:11], s[10:11], 1
	s_cmpk_lt_i32 s50, 0x500
	v_add_co_u32 v12, vcc_lo, v1, s10
	s_cselect_b32 s18, s51, 0x100
	v_add_co_ci_u32_e32 v13, vcc_lo, s11, v3, vcc_lo
	s_ashr_i32 s19, s18, 31
	v_mov_b32_e32 v34, 0
	s_lshl_b64 s[18:19], s[18:19], 1
	s_cmpk_lt_i32 s50, 0x600
	v_add_co_u32 v14, vcc_lo, v1, s18
	s_cselect_b32 s22, s51, 0x140
	v_add_co_ci_u32_e32 v15, vcc_lo, s19, v3, vcc_lo
	s_ashr_i32 s23, s22, 31
	v_mov_b32_e32 v29, 0
	s_lshl_b64 s[22:23], s[22:23], 1
	s_cmpk_lt_i32 s50, 0x700
	v_add_co_u32 v16, vcc_lo, v1, s22
	s_cselect_b32 s24, s51, 0x180
	v_add_co_ci_u32_e32 v17, vcc_lo, s23, v3, vcc_lo
	s_ashr_i32 s25, s24, 31
	v_mov_b32_e32 v31, 0
	s_lshl_b64 s[24:25], s[24:25], 1
	s_cmpk_lt_i32 s50, 0x800
	v_add_co_u32 v18, vcc_lo, v1, s24
	s_cselect_b32 s26, s51, 0x1c0
	v_add_co_ci_u32_e32 v19, vcc_lo, s25, v3, vcc_lo
	s_ashr_i32 s27, s26, 31
	s_delay_alu instid0(SALU_CYCLE_1)
	s_lshl_b64 s[26:27], s[26:27], 1
	s_cmpk_lt_i32 s50, 0x900
	v_add_co_u32 v20, vcc_lo, v1, s26
	s_cselect_b32 s28, s51, 0x200
	v_add_co_ci_u32_e32 v21, vcc_lo, s27, v3, vcc_lo
	s_ashr_i32 s29, s28, 31
	s_clause 0x7
	global_load_u16 v7, v[4:5], off
	global_load_u16 v8, v[8:9], off
	global_load_u16 v9, v[10:11], off
	global_load_u16 v10, v[12:13], off
	global_load_u16 v11, v[14:15], off
	global_load_u16 v4, v[16:17], off
	global_load_u16 v5, v[18:19], off
	global_load_u16 v6, v[20:21], off
	s_lshl_b64 s[28:29], s[28:29], 1
	s_cmpk_lt_i32 s50, 0xa00
	v_add_co_u32 v12, vcc_lo, v1, s28
	s_cselect_b32 s30, s51, 0x240
	v_add_co_ci_u32_e32 v13, vcc_lo, s29, v3, vcc_lo
	s_ashr_i32 s31, s30, 31
	s_delay_alu instid0(SALU_CYCLE_1)
	s_lshl_b64 s[30:31], s[30:31], 1
	s_cmpk_lt_i32 s50, 0xb00
	v_add_co_u32 v15, vcc_lo, v1, s30
	s_cselect_b32 s34, s51, 0x280
	v_add_co_ci_u32_e32 v16, vcc_lo, s31, v3, vcc_lo
	s_ashr_i32 s35, s34, 31
	s_delay_alu instid0(SALU_CYCLE_1)
	;; [unrolled: 7-line block ×7, first 2 shown]
	s_lshl_b64 s[4:5], s[6:7], 1
	s_cmpk_gt_i32 s20, 0x1000
	v_add_co_u32 v27, vcc_lo, v1, s4
	v_add_co_ci_u32_e32 v28, vcc_lo, s5, v3, vcc_lo
	s_clause 0x7
	global_load_u16 v14, v[12:13], off
	global_load_u16 v15, v[15:16], off
	;; [unrolled: 1-line block ×8, first 2 shown]
	v_dual_mov_b32 v20, 0 :: v_dual_mov_b32 v23, 0
	v_dual_mov_b32 v21, 0 :: v_dual_mov_b32 v22, 0
	v_dual_mov_b32 v25, 0 :: v_dual_mov_b32 v24, 0
	v_dual_mov_b32 v27, 0 :: v_dual_mov_b32 v26, 0
	v_mov_b32_e32 v28, 0
	s_cselect_b32 s8, -1, 0
	s_cmpk_lt_i32 s20, 0x1001
	s_waitcnt vmcnt(0)
	s_barrier
	buffer_gl0_inv
	s_cbranch_scc1 .LBB75_11
; %bb.10:
	s_cmpk_lt_i32 s50, 0x1100
	s_cselect_b32 s4, s51, 0x400
	s_delay_alu instid0(SALU_CYCLE_1) | instskip(NEXT) | instid1(SALU_CYCLE_1)
	s_ashr_i32 s5, s4, 31
	s_lshl_b64 s[4:5], s[4:5], 1
	s_cmpk_lt_i32 s50, 0x1200
	v_add_co_u32 v20, vcc_lo, v1, s4
	s_cselect_b32 s6, s51, 0x440
	v_add_co_ci_u32_e32 v21, vcc_lo, s5, v3, vcc_lo
	s_ashr_i32 s7, s6, 31
	s_delay_alu instid0(SALU_CYCLE_1)
	s_lshl_b64 s[6:7], s[6:7], 1
	s_cmpk_lt_i32 s50, 0x1300
	v_add_co_u32 v22, vcc_lo, v1, s6
	s_cselect_b32 s10, s51, 0x480
	v_add_co_ci_u32_e32 v23, vcc_lo, s7, v3, vcc_lo
	s_ashr_i32 s11, s10, 31
	s_delay_alu instid0(SALU_CYCLE_1)
	;; [unrolled: 7-line block ×7, first 2 shown]
	s_lshl_b64 s[28:29], s[28:29], 1
	s_cmpk_lt_i32 s50, 0x1900
	v_add_co_u32 v34, vcc_lo, v1, s28
	s_cselect_b32 s30, s51, 0x600
	v_add_co_ci_u32_e32 v35, vcc_lo, s29, v3, vcc_lo
	s_ashr_i32 s31, s30, 31
	s_clause 0x7
	global_load_u16 v36, v[20:21], off
	global_load_u16 v37, v[22:23], off
	;; [unrolled: 1-line block ×8, first 2 shown]
	s_lshl_b64 s[30:31], s[30:31], 1
	s_cmpk_lt_i32 s50, 0x1a00
	v_add_co_u32 v20, vcc_lo, v1, s30
	s_cselect_b32 s34, s51, 0x640
	v_add_co_ci_u32_e32 v21, vcc_lo, s31, v3, vcc_lo
	s_ashr_i32 s35, s34, 31
	s_delay_alu instid0(SALU_CYCLE_1)
	s_lshl_b64 s[34:35], s[34:35], 1
	s_cmpk_lt_i32 s50, 0x1b00
	v_add_co_u32 v22, vcc_lo, v1, s34
	s_cselect_b32 s36, s51, 0x680
	v_add_co_ci_u32_e32 v23, vcc_lo, s35, v3, vcc_lo
	s_ashr_i32 s37, s36, 31
	s_delay_alu instid0(SALU_CYCLE_1)
	;; [unrolled: 7-line block ×6, first 2 shown]
	s_lshl_b64 s[4:5], s[22:23], 1
	s_cmpk_lt_i32 s50, 0x2000
	v_add_co_u32 v32, vcc_lo, v1, s4
	s_cselect_b32 s6, s51, 0x7c0
	v_add_co_ci_u32_e32 v33, vcc_lo, s5, v3, vcc_lo
	s_ashr_i32 s7, s6, 31
	s_delay_alu instid0(SALU_CYCLE_1) | instskip(NEXT) | instid1(SALU_CYCLE_1)
	s_lshl_b64 s[4:5], s[6:7], 1
	v_add_co_u32 v34, vcc_lo, v1, s4
	v_add_co_ci_u32_e32 v35, vcc_lo, s5, v3, vcc_lo
	s_clause 0x7
	global_load_u16 v20, v[20:21], off
	global_load_u16 v21, v[22:23], off
	;; [unrolled: 1-line block ×8, first 2 shown]
	s_waitcnt vmcnt(15)
	v_cvt_f32_f16_e32 v35, v36
	s_waitcnt vmcnt(14)
	v_cvt_f32_f16_e32 v34, v37
	;; [unrolled: 2-line block ×16, first 2 shown]
.LBB75_11:
	ds_load_b128 v[36:39], v2
	ds_load_b128 v[40:43], v2 offset:16
	s_and_not1_b32 vcc_lo, exec_lo, s8
	s_waitcnt lgkmcnt(1)
	v_fma_mix_f32 v7, v36, v7, 0 op_sel_hi:[0,1,0]
	s_delay_alu instid0(VALU_DEP_1) | instskip(NEXT) | instid1(VALU_DEP_1)
	v_fma_mix_f32 v7, v37, v8, v7 op_sel_hi:[0,1,0]
	v_fma_mix_f32 v7, v38, v9, v7 op_sel_hi:[0,1,0]
	s_delay_alu instid0(VALU_DEP_1)
	v_fma_mix_f32 v7, v39, v10, v7 op_sel_hi:[0,1,0]
	ds_load_b128 v[36:39], v2 offset:48
	s_waitcnt lgkmcnt(1)
	v_fma_mix_f32 v11, v40, v11, v7 op_sel_hi:[0,1,0]
	ds_load_b128 v[7:10], v2 offset:32
	v_fma_mix_f32 v4, v41, v4, v11 op_sel_hi:[0,1,0]
	s_delay_alu instid0(VALU_DEP_1) | instskip(NEXT) | instid1(VALU_DEP_1)
	v_fma_mix_f32 v4, v42, v5, v4 op_sel_hi:[0,1,0]
	v_fma_mix_f32 v4, v43, v6, v4 op_sel_hi:[0,1,0]
	s_waitcnt lgkmcnt(0)
	s_delay_alu instid0(VALU_DEP_1) | instskip(NEXT) | instid1(VALU_DEP_1)
	v_fma_mix_f32 v4, v7, v14, v4 op_sel_hi:[0,1,0]
	v_fma_mix_f32 v4, v8, v15, v4 op_sel_hi:[0,1,0]
	s_delay_alu instid0(VALU_DEP_1) | instskip(NEXT) | instid1(VALU_DEP_1)
	v_fma_mix_f32 v4, v9, v16, v4 op_sel_hi:[0,1,0]
	v_fma_mix_f32 v4, v10, v17, v4 op_sel_hi:[0,1,0]
	;; [unrolled: 3-line block ×4, first 2 shown]
	s_cbranch_vccz .LBB75_17
; %bb.12:
	s_load_b64 s[0:1], s[0:1], 0x0
	s_cmpk_lt_i32 s20, 0x2001
	s_cbranch_scc0 .LBB75_18
.LBB75_13:
	v_mov_b32_e32 v1, 0
	s_and_not1_b32 vcc_lo, exec_lo, s15
	ds_load_b32 v1, v1 offset:256
	s_cbranch_vccnz .LBB75_15
.LBB75_14:
	s_add_u32 s2, s12, s16
	s_addc_u32 s3, s13, s17
	s_load_b32 s2, s[2:3], 0x0
	s_mov_b32 s3, 0
.LBB75_15:
	s_waitcnt lgkmcnt(0)
	v_add_f32_e32 v1, 0x358637bd, v1
	s_mul_i32 s3, s33, s3
	s_mul_hi_u32 s4, s33, s2
	s_mul_i32 s2, s33, s2
	s_add_i32 s3, s4, s3
	v_div_scale_f32 v2, null, v1, v1, 1.0
	s_lshl_b64 s[2:3], s[2:3], 7
	s_mov_b32 s15, 0
	s_add_u32 s2, s0, s2
	s_delay_alu instid0(VALU_DEP_1) | instskip(SKIP_2) | instid1(SALU_CYCLE_1)
	v_rcp_f32_e32 v3, v2
	s_addc_u32 s3, s1, s3
	s_lshl_b64 s[0:1], s[14:15], 7
	s_add_u32 s0, s2, s0
	s_addc_u32 s1, s3, s1
	s_waitcnt_depctr 0xfff
	v_fma_f32 v5, -v2, v3, 1.0
	s_delay_alu instid0(VALU_DEP_1) | instskip(SKIP_1) | instid1(VALU_DEP_1)
	v_fmac_f32_e32 v3, v5, v3
	v_div_scale_f32 v5, vcc_lo, 1.0, v1, 1.0
	v_mul_f32_e32 v6, v5, v3
	s_delay_alu instid0(VALU_DEP_1) | instskip(NEXT) | instid1(VALU_DEP_1)
	v_fma_f32 v7, -v2, v6, v5
	v_fmac_f32_e32 v6, v7, v3
	s_delay_alu instid0(VALU_DEP_1) | instskip(NEXT) | instid1(VALU_DEP_1)
	v_fma_f32 v2, -v2, v6, v5
	v_div_fmas_f32 v2, v2, v3, v6
	s_delay_alu instid0(VALU_DEP_1) | instskip(NEXT) | instid1(VALU_DEP_1)
	v_div_fixup_f32 v1, v2, v1, 1.0
	v_fma_mixlo_f16 v1, v4, v1, 0
	global_store_b16 v0, v1, s[0:1]
	s_nop 0
	s_sendmsg sendmsg(MSG_DEALLOC_VGPRS)
	s_endpgm
.LBB75_16:
	s_mov_b32 s4, 0
	s_branch .LBB75_2
.LBB75_17:
	ds_load_b128 v[5:8], v2 offset:64
	ds_load_b128 v[9:12], v2 offset:80
	s_waitcnt lgkmcnt(1)
	v_fmac_f32_e32 v4, v5, v35
	s_delay_alu instid0(VALU_DEP_1) | instskip(NEXT) | instid1(VALU_DEP_1)
	v_fmac_f32_e32 v4, v6, v34
	v_fmac_f32_e32 v4, v7, v33
	s_delay_alu instid0(VALU_DEP_1) | instskip(SKIP_3) | instid1(VALU_DEP_1)
	v_fmac_f32_e32 v4, v8, v32
	ds_load_b128 v[5:8], v2 offset:96
	s_waitcnt lgkmcnt(1)
	v_fmac_f32_e32 v4, v9, v31
	v_fmac_f32_e32 v4, v10, v30
	s_delay_alu instid0(VALU_DEP_1) | instskip(NEXT) | instid1(VALU_DEP_1)
	v_fmac_f32_e32 v4, v11, v29
	v_fmac_f32_e32 v4, v12, v28
	ds_load_b128 v[9:12], v2 offset:112
	s_waitcnt lgkmcnt(1)
	v_fmac_f32_e32 v4, v5, v27
	s_delay_alu instid0(VALU_DEP_1) | instskip(NEXT) | instid1(VALU_DEP_1)
	v_fmac_f32_e32 v4, v6, v26
	v_fmac_f32_e32 v4, v7, v25
	s_delay_alu instid0(VALU_DEP_1) | instskip(SKIP_1) | instid1(VALU_DEP_1)
	v_fmac_f32_e32 v4, v8, v24
	s_waitcnt lgkmcnt(0)
	v_fmac_f32_e32 v4, v9, v23
	s_delay_alu instid0(VALU_DEP_1) | instskip(NEXT) | instid1(VALU_DEP_1)
	v_fmac_f32_e32 v4, v10, v22
	v_fmac_f32_e32 v4, v11, v21
	s_delay_alu instid0(VALU_DEP_1)
	v_fmac_f32_e32 v4, v12, v20
	s_load_b64 s[0:1], s[0:1], 0x0
	s_cmpk_lt_i32 s20, 0x2001
	s_cbranch_scc1 .LBB75_13
.LBB75_18:
	s_cmpk_lt_i32 s50, 0x2100
	v_mov_b32_e32 v45, 0
	s_cselect_b32 s4, s51, 0x800
	s_delay_alu instid0(SALU_CYCLE_1) | instskip(NEXT) | instid1(SALU_CYCLE_1)
	s_ashr_i32 s5, s4, 31
	s_lshl_b64 s[4:5], s[4:5], 1
	s_cmpk_lt_i32 s50, 0x2200
	v_add_co_u32 v5, vcc_lo, v1, s4
	s_cselect_b32 s6, s51, 0x840
	v_add_co_ci_u32_e32 v6, vcc_lo, s5, v3, vcc_lo
	s_ashr_i32 s7, s6, 31
	s_delay_alu instid0(SALU_CYCLE_1)
	s_lshl_b64 s[6:7], s[6:7], 1
	s_cmpk_lt_i32 s50, 0x2300
	v_add_co_u32 v7, vcc_lo, v1, s6
	s_cselect_b32 s8, s51, 0x880
	v_add_co_ci_u32_e32 v8, vcc_lo, s7, v3, vcc_lo
	s_ashr_i32 s9, s8, 31
	s_delay_alu instid0(SALU_CYCLE_1)
	;; [unrolled: 7-line block ×7, first 2 shown]
	s_lshl_b64 s[28:29], s[20:21], 1
	s_cmpk_lt_i32 s50, 0x2900
	v_add_co_u32 v19, vcc_lo, v1, s28
	s_cselect_b32 s20, s51, 0xa00
	v_add_co_ci_u32_e32 v20, vcc_lo, s29, v3, vcc_lo
	s_ashr_i32 s21, s20, 31
	s_clause 0x7
	global_load_u16 v21, v[5:6], off
	global_load_u16 v22, v[7:8], off
	;; [unrolled: 1-line block ×8, first 2 shown]
	s_lshl_b64 s[20:21], s[20:21], 1
	s_cmpk_lt_i32 s50, 0x2a00
	v_add_co_u32 v5, vcc_lo, v1, s20
	s_cselect_b32 s26, s51, 0xa40
	v_add_co_ci_u32_e32 v6, vcc_lo, s21, v3, vcc_lo
	s_ashr_i32 s27, s26, 31
	s_delay_alu instid0(SALU_CYCLE_1)
	s_lshl_b64 s[26:27], s[26:27], 1
	s_cmpk_lt_i32 s50, 0x2b00
	v_add_co_u32 v7, vcc_lo, v1, s26
	s_cselect_b32 s30, s51, 0xa80
	v_add_co_ci_u32_e32 v8, vcc_lo, s27, v3, vcc_lo
	s_ashr_i32 s31, s30, 31
	s_delay_alu instid0(SALU_CYCLE_1)
	;; [unrolled: 7-line block ×7, first 2 shown]
	s_lshl_b64 s[46:47], s[38:39], 1
	s_cmpk_lt_i32 s50, 0x3100
	v_add_co_u32 v19, vcc_lo, v1, s46
	s_cselect_b32 s38, s51, 0xc00
	v_add_co_ci_u32_e32 v20, vcc_lo, s47, v3, vcc_lo
	s_ashr_i32 s39, s38, 31
	s_clause 0x7
	global_load_u16 v29, v[5:6], off
	global_load_u16 v30, v[7:8], off
	;; [unrolled: 1-line block ×8, first 2 shown]
	s_lshl_b64 s[38:39], s[38:39], 1
	s_cmpk_lt_i32 s50, 0x3200
	v_add_co_u32 v5, vcc_lo, v1, s38
	s_cselect_b32 s44, s51, 0xc40
	v_add_co_ci_u32_e32 v6, vcc_lo, s39, v3, vcc_lo
	s_ashr_i32 s45, s44, 31
	s_delay_alu instid0(SALU_CYCLE_1)
	s_lshl_b64 s[44:45], s[44:45], 1
	s_cmpk_lt_i32 s50, 0x3300
	v_add_co_u32 v7, vcc_lo, v1, s44
	s_cselect_b32 s48, s51, 0xc80
	v_add_co_ci_u32_e32 v8, vcc_lo, s45, v3, vcc_lo
	s_ashr_i32 s49, s48, 31
	s_delay_alu instid0(SALU_CYCLE_1)
	;; [unrolled: 7-line block ×5, first 2 shown]
	s_lshl_b64 s[8:9], s[8:9], 1
	s_cmpk_lt_i32 s50, 0x3700
	v_add_co_u32 v15, vcc_lo, v1, s8
	s_cselect_b32 s10, s51, 0xd80
	v_add_co_ci_u32_e32 v16, vcc_lo, s9, v3, vcc_lo
	s_ashr_i32 s11, s10, 31
	s_clause 0x5
	global_load_u16 v19, v[5:6], off
	global_load_u16 v20, v[7:8], off
	;; [unrolled: 1-line block ×6, first 2 shown]
	s_lshl_b64 s[10:11], s[10:11], 1
	s_cmpk_lt_i32 s50, 0x3800
	v_add_co_u32 v5, vcc_lo, v1, s10
	s_cselect_b32 s18, s51, 0xdc0
	v_add_co_ci_u32_e32 v6, vcc_lo, s11, v3, vcc_lo
	s_ashr_i32 s19, s18, 31
	s_delay_alu instid0(SALU_CYCLE_1)
	s_lshl_b64 s[18:19], s[18:19], 1
	s_cmpk_lt_i32 s50, 0x3900
	v_add_co_u32 v7, vcc_lo, v1, s18
	s_cselect_b32 s20, s51, 0xe00
	v_add_co_ci_u32_e32 v8, vcc_lo, s19, v3, vcc_lo
	s_ashr_i32 s21, s20, 31
	global_load_u16 v16, v[5:6], off
	s_lshl_b64 s[20:21], s[20:21], 1
	global_load_u16 v38, v[7:8], off
	s_cmpk_lt_i32 s50, 0x3a00
	v_add_co_u32 v9, vcc_lo, v1, s20
	s_cselect_b32 s22, s51, 0xe40
	v_add_co_ci_u32_e32 v10, vcc_lo, s21, v3, vcc_lo
	s_ashr_i32 s23, s22, 31
	s_delay_alu instid0(SALU_CYCLE_1)
	s_lshl_b64 s[22:23], s[22:23], 1
	s_cmpk_lt_i32 s50, 0x3b00
	v_add_co_u32 v11, vcc_lo, v1, s22
	s_cselect_b32 s4, s51, 0xe80
	v_add_co_ci_u32_e32 v12, vcc_lo, s23, v3, vcc_lo
	s_ashr_i32 s5, s4, 31
	s_delay_alu instid0(SALU_CYCLE_1)
	s_lshl_b64 s[4:5], s[4:5], 1
	s_cmpk_lt_i32 s50, 0x3c00
	v_add_co_u32 v13, vcc_lo, v1, s4
	s_cselect_b32 s6, s51, 0xec0
	v_add_co_ci_u32_e32 v14, vcc_lo, s5, v3, vcc_lo
	s_ashr_i32 s7, s6, 31
	s_clause 0x2
	global_load_u16 v39, v[9:10], off
	global_load_u16 v40, v[11:12], off
	;; [unrolled: 1-line block ×3, first 2 shown]
	s_lshl_b64 s[6:7], s[6:7], 1
	s_cmpk_lt_i32 s50, 0x3d00
	v_add_co_u32 v5, vcc_lo, v1, s6
	s_cselect_b32 s8, s51, 0xf00
	v_add_co_ci_u32_e32 v6, vcc_lo, s7, v3, vcc_lo
	s_ashr_i32 s9, s8, 31
	s_delay_alu instid0(SALU_CYCLE_1)
	s_lshl_b64 s[4:5], s[8:9], 1
	s_cmpk_lt_i32 s50, 0x3e00
	v_add_co_u32 v7, vcc_lo, v1, s4
	s_cselect_b32 s8, s51, 0xf40
	v_add_co_ci_u32_e32 v8, vcc_lo, s5, v3, vcc_lo
	s_ashr_i32 s9, s8, 31
	global_load_u16 v14, v[5:6], off
	s_lshl_b64 s[8:9], s[8:9], 1
	s_cmpk_lt_i32 s50, 0x3f00
	v_add_co_u32 v9, vcc_lo, v1, s8
	s_cselect_b32 s6, s51, 0xf80
	v_add_co_ci_u32_e32 v10, vcc_lo, s9, v3, vcc_lo
	s_ashr_i32 s7, s6, 31
	s_clause 0x1
	global_load_u16 v41, v[7:8], off
	global_load_u16 v42, v[9:10], off
	s_lshl_b64 s[4:5], s[6:7], 1
	s_cmpk_lt_i32 s50, 0x4000
	v_add_co_u32 v5, vcc_lo, v1, s4
	s_cselect_b32 s6, s51, 0xfc0
	v_add_co_ci_u32_e32 v6, vcc_lo, s5, v3, vcc_lo
	s_ashr_i32 s7, s6, 31
	s_delay_alu instid0(SALU_CYCLE_1) | instskip(NEXT) | instid1(SALU_CYCLE_1)
	s_lshl_b64 s[4:5], s[6:7], 1
	v_add_co_u32 v1, vcc_lo, v1, s4
	v_add_co_ci_u32_e32 v2, vcc_lo, s5, v3, vcc_lo
	s_clause 0x1
	global_load_u16 v43, v[5:6], off
	global_load_u16 v44, v[1:2], off
	ds_load_b128 v[5:8], v45 offset:128
	ds_load_b128 v[9:12], v45 offset:144
	s_waitcnt vmcnt(31) lgkmcnt(0)
	v_fma_mix_f32 v1, v5, v21, v4 op_sel_hi:[0,1,0]
	s_waitcnt vmcnt(30)
	s_delay_alu instid0(VALU_DEP_1) | instskip(SKIP_1) | instid1(VALU_DEP_1)
	v_fma_mix_f32 v1, v6, v22, v1 op_sel_hi:[0,1,0]
	s_waitcnt vmcnt(29)
	v_fma_mix_f32 v1, v7, v23, v1 op_sel_hi:[0,1,0]
	s_waitcnt vmcnt(28)
	s_delay_alu instid0(VALU_DEP_1) | instskip(SKIP_1) | instid1(VALU_DEP_1)
	v_fma_mix_f32 v1, v8, v24, v1 op_sel_hi:[0,1,0]
	s_waitcnt vmcnt(27)
	v_fma_mix_f32 v5, v9, v25, v1 op_sel_hi:[0,1,0]
	ds_load_b128 v[1:4], v45 offset:160
	s_waitcnt vmcnt(26)
	v_fma_mix_f32 v5, v10, v26, v5 op_sel_hi:[0,1,0]
	s_waitcnt vmcnt(25)
	s_delay_alu instid0(VALU_DEP_1) | instskip(SKIP_1) | instid1(VALU_DEP_1)
	v_fma_mix_f32 v5, v11, v27, v5 op_sel_hi:[0,1,0]
	s_waitcnt vmcnt(24)
	v_fma_mix_f32 v9, v12, v28, v5 op_sel_hi:[0,1,0]
	ds_load_b128 v[5:8], v45 offset:176
	s_waitcnt vmcnt(23) lgkmcnt(1)
	v_fma_mix_f32 v1, v1, v29, v9 op_sel_hi:[0,1,0]
	s_waitcnt vmcnt(22)
	s_delay_alu instid0(VALU_DEP_1) | instskip(SKIP_1) | instid1(VALU_DEP_1)
	v_fma_mix_f32 v1, v2, v30, v1 op_sel_hi:[0,1,0]
	s_waitcnt vmcnt(21)
	v_fma_mix_f32 v1, v3, v31, v1 op_sel_hi:[0,1,0]
	s_waitcnt vmcnt(20)
	s_delay_alu instid0(VALU_DEP_1) | instskip(SKIP_1) | instid1(VALU_DEP_1)
	v_fma_mix_f32 v1, v4, v32, v1 op_sel_hi:[0,1,0]
	s_waitcnt vmcnt(19) lgkmcnt(0)
	v_fma_mix_f32 v5, v5, v33, v1 op_sel_hi:[0,1,0]
	ds_load_b128 v[1:4], v45 offset:192
	s_waitcnt vmcnt(18)
	v_fma_mix_f32 v5, v6, v34, v5 op_sel_hi:[0,1,0]
	s_waitcnt vmcnt(17)
	s_delay_alu instid0(VALU_DEP_1) | instskip(SKIP_1) | instid1(VALU_DEP_1)
	v_fma_mix_f32 v5, v7, v17, v5 op_sel_hi:[0,1,0]
	s_waitcnt vmcnt(16)
	v_fma_mix_f32 v9, v8, v18, v5 op_sel_hi:[0,1,0]
	ds_load_b128 v[5:8], v45 offset:208
	s_waitcnt vmcnt(15) lgkmcnt(1)
	v_fma_mix_f32 v1, v1, v19, v9 op_sel_hi:[0,1,0]
	s_waitcnt vmcnt(14)
	s_delay_alu instid0(VALU_DEP_1) | instskip(SKIP_1) | instid1(VALU_DEP_1)
	v_fma_mix_f32 v1, v2, v20, v1 op_sel_hi:[0,1,0]
	s_waitcnt vmcnt(13)
	v_fma_mix_f32 v1, v3, v35, v1 op_sel_hi:[0,1,0]
	s_waitcnt vmcnt(12)
	s_delay_alu instid0(VALU_DEP_1) | instskip(SKIP_1) | instid1(VALU_DEP_1)
	v_fma_mix_f32 v1, v4, v36, v1 op_sel_hi:[0,1,0]
	s_waitcnt vmcnt(11) lgkmcnt(0)
	;; [unrolled: 21-line block ×3, first 2 shown]
	v_fma_mix_f32 v1, v5, v41, v1 op_sel_hi:[0,1,0]
	s_waitcnt vmcnt(2)
	s_delay_alu instid0(VALU_DEP_1) | instskip(SKIP_1) | instid1(VALU_DEP_1)
	v_fma_mix_f32 v1, v6, v42, v1 op_sel_hi:[0,1,0]
	s_waitcnt vmcnt(1)
	v_fma_mix_f32 v1, v7, v43, v1 op_sel_hi:[0,1,0]
	s_waitcnt vmcnt(0)
	s_delay_alu instid0(VALU_DEP_1)
	v_fma_mix_f32 v4, v8, v44, v1 op_sel_hi:[0,1,0]
	v_mov_b32_e32 v1, 0
	s_and_not1_b32 vcc_lo, exec_lo, s15
	ds_load_b32 v1, v1 offset:256
	s_cbranch_vccz .LBB75_14
	s_branch .LBB75_15
	.section	.rodata,"a",@progbits
	.p2align	6, 0x0
	.amdhsa_kernel _Z35paged_attention_ll4mi_reduce_kernelIDF16_DF16_Li64ELi64ELi256ELi2EEvPT0_PKfS3_PKT_PKiS8_iS3_
		.amdhsa_group_segment_fixed_size 260
		.amdhsa_private_segment_fixed_size 0
		.amdhsa_kernarg_size 320
		.amdhsa_user_sgpr_count 14
		.amdhsa_user_sgpr_dispatch_ptr 0
		.amdhsa_user_sgpr_queue_ptr 0
		.amdhsa_user_sgpr_kernarg_segment_ptr 1
		.amdhsa_user_sgpr_dispatch_id 0
		.amdhsa_user_sgpr_private_segment_size 0
		.amdhsa_wavefront_size32 1
		.amdhsa_uses_dynamic_stack 0
		.amdhsa_enable_private_segment 0
		.amdhsa_system_sgpr_workgroup_id_x 1
		.amdhsa_system_sgpr_workgroup_id_y 1
		.amdhsa_system_sgpr_workgroup_id_z 0
		.amdhsa_system_sgpr_workgroup_info 0
		.amdhsa_system_vgpr_workitem_id 0
		.amdhsa_next_free_vgpr 48
		.amdhsa_next_free_sgpr 52
		.amdhsa_reserve_vcc 1
		.amdhsa_float_round_mode_32 0
		.amdhsa_float_round_mode_16_64 0
		.amdhsa_float_denorm_mode_32 3
		.amdhsa_float_denorm_mode_16_64 3
		.amdhsa_dx10_clamp 1
		.amdhsa_ieee_mode 1
		.amdhsa_fp16_overflow 0
		.amdhsa_workgroup_processor_mode 1
		.amdhsa_memory_ordered 1
		.amdhsa_forward_progress 0
		.amdhsa_shared_vgpr_count 0
		.amdhsa_exception_fp_ieee_invalid_op 0
		.amdhsa_exception_fp_denorm_src 0
		.amdhsa_exception_fp_ieee_div_zero 0
		.amdhsa_exception_fp_ieee_overflow 0
		.amdhsa_exception_fp_ieee_underflow 0
		.amdhsa_exception_fp_ieee_inexact 0
		.amdhsa_exception_int_div_zero 0
	.end_amdhsa_kernel
	.section	.text._Z35paged_attention_ll4mi_reduce_kernelIDF16_DF16_Li64ELi64ELi256ELi2EEvPT0_PKfS3_PKT_PKiS8_iS3_,"axG",@progbits,_Z35paged_attention_ll4mi_reduce_kernelIDF16_DF16_Li64ELi64ELi256ELi2EEvPT0_PKfS3_PKT_PKiS8_iS3_,comdat
.Lfunc_end75:
	.size	_Z35paged_attention_ll4mi_reduce_kernelIDF16_DF16_Li64ELi64ELi256ELi2EEvPT0_PKfS3_PKT_PKiS8_iS3_, .Lfunc_end75-_Z35paged_attention_ll4mi_reduce_kernelIDF16_DF16_Li64ELi64ELi256ELi2EEvPT0_PKfS3_PKT_PKiS8_iS3_
                                        ; -- End function
	.section	.AMDGPU.csdata,"",@progbits
; Kernel info:
; codeLenInByte = 5316
; NumSgprs: 54
; NumVgprs: 48
; ScratchSize: 0
; MemoryBound: 0
; FloatMode: 240
; IeeeMode: 1
; LDSByteSize: 260 bytes/workgroup (compile time only)
; SGPRBlocks: 6
; VGPRBlocks: 5
; NumSGPRsForWavesPerEU: 54
; NumVGPRsForWavesPerEU: 48
; Occupancy: 16
; WaveLimiterHint : 0
; COMPUTE_PGM_RSRC2:SCRATCH_EN: 0
; COMPUTE_PGM_RSRC2:USER_SGPR: 14
; COMPUTE_PGM_RSRC2:TRAP_HANDLER: 0
; COMPUTE_PGM_RSRC2:TGID_X_EN: 1
; COMPUTE_PGM_RSRC2:TGID_Y_EN: 1
; COMPUTE_PGM_RSRC2:TGID_Z_EN: 0
; COMPUTE_PGM_RSRC2:TIDIG_COMP_CNT: 0
	.section	.text._Z35paged_attention_ll4mi_reduce_kernelIDF16_DF16_Li64ELi64ELi256ELi3EEvPT0_PKfS3_PKT_PKiS8_iS3_,"axG",@progbits,_Z35paged_attention_ll4mi_reduce_kernelIDF16_DF16_Li64ELi64ELi256ELi3EEvPT0_PKfS3_PKT_PKiS8_iS3_,comdat
	.protected	_Z35paged_attention_ll4mi_reduce_kernelIDF16_DF16_Li64ELi64ELi256ELi3EEvPT0_PKfS3_PKT_PKiS8_iS3_ ; -- Begin function _Z35paged_attention_ll4mi_reduce_kernelIDF16_DF16_Li64ELi64ELi256ELi3EEvPT0_PKfS3_PKT_PKiS8_iS3_
	.globl	_Z35paged_attention_ll4mi_reduce_kernelIDF16_DF16_Li64ELi64ELi256ELi3EEvPT0_PKfS3_PKT_PKiS8_iS3_
	.p2align	8
	.type	_Z35paged_attention_ll4mi_reduce_kernelIDF16_DF16_Li64ELi64ELi256ELi3EEvPT0_PKfS3_PKT_PKiS8_iS3_,@function
_Z35paged_attention_ll4mi_reduce_kernelIDF16_DF16_Li64ELi64ELi256ELi3EEvPT0_PKfS3_PKT_PKiS8_iS3_: ; @_Z35paged_attention_ll4mi_reduce_kernelIDF16_DF16_Li64ELi64ELi256ELi3EEvPT0_PKfS3_PKT_PKiS8_iS3_
; %bb.0:
	s_load_b64 s[12:13], s[0:1], 0x28
	s_mov_b32 s2, s15
	s_waitcnt lgkmcnt(0)
	s_cmp_lg_u64 s[12:13], 0
	s_cselect_b32 s15, -1, 0
	s_delay_alu instid0(SALU_CYCLE_1)
	s_and_b32 vcc_lo, exec_lo, s15
	s_cbranch_vccz .LBB76_17
; %bb.1:
	s_add_i32 s4, s2, 1
	s_mov_b32 s5, 0
	s_delay_alu instid0(SALU_CYCLE_1) | instskip(SKIP_4) | instid1(SALU_CYCLE_1)
	s_lshl_b64 s[6:7], s[4:5], 2
	s_mov_b32 s3, s5
	s_add_u32 s6, s12, s6
	s_addc_u32 s7, s13, s7
	s_lshl_b64 s[8:9], s[2:3], 2
	s_add_u32 s8, s12, s8
	s_addc_u32 s9, s13, s9
	s_clause 0x1
	s_load_b32 s4, s[6:7], 0x0
	s_load_b32 s6, s[8:9], 0x0
	s_waitcnt lgkmcnt(0)
	s_sub_i32 s4, s4, s6
	s_delay_alu instid0(SALU_CYCLE_1)
	s_cmp_eq_u32 s4, 1
	s_cselect_b32 s4, -1, 0
	s_cbranch_execnz .LBB76_3
.LBB76_2:
	s_mov_b32 s3, 0
	s_mov_b32 s4, -1
.LBB76_3:
	s_delay_alu instid0(SALU_CYCLE_1)
	s_and_not1_b32 vcc_lo, exec_lo, s4
	s_cbranch_vccz .LBB76_5
; %bb.4:
	s_endpgm
.LBB76_5:
	s_clause 0x1
	s_load_b128 s[4:7], s[0:1], 0x18
	s_load_b32 s9, s[0:1], 0x30
	s_lshl_b64 s[16:17], s[2:3], 2
	s_waitcnt lgkmcnt(0)
	s_add_u32 s6, s6, s16
	s_addc_u32 s7, s7, s17
	s_load_b32 s20, s[6:7], 0x0
	s_load_b32 s33, s[0:1], 0x40
	s_mul_i32 s7, s2, s9
	s_waitcnt lgkmcnt(0)
	s_add_i32 s48, s20, 0xff
	s_delay_alu instid0(SALU_CYCLE_1) | instskip(NEXT) | instid1(SALU_CYCLE_1)
	s_ashr_i32 s6, s48, 31
	s_lshr_b32 s6, s6, 24
	s_delay_alu instid0(SALU_CYCLE_1) | instskip(SKIP_4) | instid1(SALU_CYCLE_1)
	s_add_i32 s8, s48, s6
	s_mul_i32 s6, s14, s9
	s_mov_b32 s9, exec_lo
	v_cmpx_lt_u32_e32 31, v0
	s_xor_b32 s9, exec_lo, s9
	s_or_saveexec_b32 s22, s9
	v_mov_b32_e32 v1, s6
	s_ashr_i32 s21, s8, 8
	s_mul_i32 s18, s7, s33
	s_xor_b32 exec_lo, exec_lo, s22
	s_cbranch_execz .LBB76_9
; %bb.6:
	s_load_b128 s[8:11], s[0:1], 0x8
	v_or_b32_e32 v2, 32, v0
	v_cmp_gt_i32_e32 vcc_lo, s21, v0
	s_add_i32 s7, s21, -1
	v_or_b32_e32 v4, 64, v0
	s_mov_b32 s19, 0
	v_cndmask_b32_e32 v1, s7, v0, vcc_lo
	v_cmp_gt_i32_e32 vcc_lo, s21, v2
	s_lshl_b64 s[24:25], s[18:19], 2
	v_cndmask_b32_e32 v3, s7, v2, vcc_lo
	v_cmp_gt_i32_e32 vcc_lo, s21, v4
	v_ashrrev_i32_e32 v2, 31, v1
	v_cndmask_b32_e32 v5, s7, v4, vcc_lo
	s_delay_alu instid0(VALU_DEP_4) | instskip(SKIP_1) | instid1(VALU_DEP_3)
	v_ashrrev_i32_e32 v4, 31, v3
	s_mov_b32 s7, s19
	v_lshlrev_b64 v[1:2], 2, v[1:2]
	s_waitcnt lgkmcnt(0)
	s_add_u32 s19, s10, s24
	v_ashrrev_i32_e32 v6, 31, v5
	s_addc_u32 s23, s11, s25
	s_lshl_b64 s[10:11], s[6:7], 2
	v_lshlrev_b64 v[3:4], 2, v[3:4]
	s_add_u32 s7, s19, s10
	s_addc_u32 s19, s23, s11
	v_add_co_u32 v7, vcc_lo, s7, v1
	v_lshlrev_b64 v[5:6], 2, v[5:6]
	v_add_co_ci_u32_e32 v8, vcc_lo, s19, v2, vcc_lo
	v_add_co_u32 v9, vcc_lo, s7, v3
	v_add_co_ci_u32_e32 v10, vcc_lo, s19, v4, vcc_lo
	s_delay_alu instid0(VALU_DEP_4)
	v_add_co_u32 v11, vcc_lo, s7, v5
	v_add_co_ci_u32_e32 v12, vcc_lo, s19, v6, vcc_lo
	s_clause 0x2
	global_load_b32 v7, v[7:8], off
	global_load_b32 v8, v[9:10], off
	;; [unrolled: 1-line block ×3, first 2 shown]
	s_add_u32 s7, s8, s24
	s_addc_u32 s8, s9, s25
	s_add_u32 s7, s7, s10
	s_addc_u32 s8, s8, s11
	v_add_co_u32 v1, vcc_lo, s7, v1
	v_add_co_ci_u32_e32 v2, vcc_lo, s8, v2, vcc_lo
	v_add_co_u32 v3, vcc_lo, s7, v3
	v_add_co_ci_u32_e32 v4, vcc_lo, s8, v4, vcc_lo
	;; [unrolled: 2-line block ×3, first 2 shown]
	s_clause 0x2
	global_load_b32 v1, v[1:2], off
	global_load_b32 v2, v[3:4], off
	;; [unrolled: 1-line block ×3, first 2 shown]
	v_mbcnt_lo_u32_b32 v4, -1, 0
	s_mov_b32 s7, exec_lo
	s_delay_alu instid0(VALU_DEP_1)
	v_xor_b32_e32 v5, 16, v4
	v_xor_b32_e32 v11, 8, v4
	;; [unrolled: 1-line block ×5, first 2 shown]
	v_cmp_gt_i32_e32 vcc_lo, 32, v5
	v_cndmask_b32_e32 v5, v4, v5, vcc_lo
	v_cmp_gt_i32_e32 vcc_lo, 32, v11
	v_cndmask_b32_e32 v11, v4, v11, vcc_lo
	v_cmp_gt_i32_e32 vcc_lo, 32, v12
	s_delay_alu instid0(VALU_DEP_4) | instskip(NEXT) | instid1(VALU_DEP_3)
	v_lshlrev_b32_e32 v5, 2, v5
	v_dual_cndmask_b32 v12, v4, v12 :: v_dual_lshlrev_b32 v11, 2, v11
	v_cmp_gt_i32_e32 vcc_lo, 32, v13
	s_delay_alu instid0(VALU_DEP_2)
	v_lshlrev_b32_e32 v12, 2, v12
	s_waitcnt vmcnt(3)
	v_max3_f32 v6, v7, v8, v9
	ds_bpermute_b32 v10, v5, v6
	s_waitcnt lgkmcnt(0)
	v_max_f32_e32 v10, v10, v10
	s_delay_alu instid0(VALU_DEP_1) | instskip(SKIP_3) | instid1(VALU_DEP_1)
	v_max_f32_e32 v6, v6, v10
	ds_bpermute_b32 v10, v11, v6
	s_waitcnt lgkmcnt(0)
	v_max_f32_e32 v10, v10, v10
	v_max_f32_e32 v6, v6, v10
	ds_bpermute_b32 v10, v12, v6
	s_waitcnt lgkmcnt(0)
	v_dual_max_f32 v10, v10, v10 :: v_dual_cndmask_b32 v13, v4, v13
	v_cmp_gt_i32_e32 vcc_lo, 32, v14
	s_delay_alu instid0(VALU_DEP_2)
	v_dual_max_f32 v6, v6, v10 :: v_dual_lshlrev_b32 v13, 2, v13
	v_cndmask_b32_e32 v4, v4, v14, vcc_lo
	ds_bpermute_b32 v10, v13, v6
	v_lshlrev_b32_e32 v4, 2, v4
	s_waitcnt lgkmcnt(0)
	v_max_f32_e32 v10, v10, v10
	s_delay_alu instid0(VALU_DEP_1) | instskip(SKIP_3) | instid1(VALU_DEP_1)
	v_max_f32_e32 v6, v6, v10
	ds_bpermute_b32 v10, v4, v6
	s_waitcnt lgkmcnt(0)
	v_max_f32_e32 v10, v10, v10
	v_max_f32_e32 v6, v6, v10
	s_delay_alu instid0(VALU_DEP_1) | instskip(NEXT) | instid1(VALU_DEP_1)
	v_sub_f32_e32 v8, v8, v6
	v_mul_f32_e32 v10, 0x3fb8aa3b, v8
	s_delay_alu instid0(VALU_DEP_1) | instskip(SKIP_1) | instid1(VALU_DEP_2)
	v_fma_f32 v17, 0x3fb8aa3b, v8, -v10
	v_rndne_f32_e32 v18, v10
	v_fmac_f32_e32 v17, 0x32a5705f, v8
	v_sub_f32_e32 v7, v7, v6
	s_delay_alu instid0(VALU_DEP_1) | instskip(SKIP_1) | instid1(VALU_DEP_1)
	v_cmp_ngt_f32_e32 vcc_lo, 0xc2ce8ed0, v7
	v_dual_sub_f32 v6, v9, v6 :: v_dual_mul_f32 v9, 0x3fb8aa3b, v7
	v_fma_f32 v15, 0x3fb8aa3b, v7, -v9
	v_rndne_f32_e32 v16, v9
	s_delay_alu instid0(VALU_DEP_2) | instskip(NEXT) | instid1(VALU_DEP_2)
	v_fmac_f32_e32 v15, 0x32a5705f, v7
	v_sub_f32_e32 v9, v9, v16
	s_delay_alu instid0(VALU_DEP_1) | instskip(SKIP_2) | instid1(VALU_DEP_3)
	v_add_f32_e32 v9, v9, v15
	v_cvt_i32_f32_e32 v15, v16
	v_cvt_i32_f32_e32 v16, v18
	v_exp_f32_e32 v9, v9
	s_waitcnt_depctr 0xfff
	v_ldexp_f32 v9, v9, v15
	v_sub_nc_u32_e32 v15, s21, v0
	s_delay_alu instid0(VALU_DEP_2) | instskip(SKIP_2) | instid1(VALU_DEP_3)
	v_dual_cndmask_b32 v9, 0, v9 :: v_dual_mul_f32 v14, 0x3fb8aa3b, v6
	v_sub_f32_e32 v10, v10, v18
	v_cmp_ngt_f32_e32 vcc_lo, 0xc2ce8ed0, v8
	v_fma_f32 v19, 0x3fb8aa3b, v6, -v14
	v_rndne_f32_e32 v20, v14
	s_delay_alu instid0(VALU_DEP_2) | instskip(NEXT) | instid1(VALU_DEP_2)
	v_dual_add_f32 v10, v10, v17 :: v_dual_fmac_f32 v19, 0x32a5705f, v6
	v_sub_f32_e32 v14, v14, v20
	s_delay_alu instid0(VALU_DEP_2) | instskip(SKIP_1) | instid1(VALU_DEP_2)
	v_exp_f32_e32 v10, v10
	v_cvt_i32_f32_e32 v17, v20
	v_add_f32_e32 v14, v14, v19
	s_delay_alu instid0(VALU_DEP_1) | instskip(SKIP_2) | instid1(VALU_DEP_1)
	v_exp_f32_e32 v14, v14
	s_waitcnt_depctr 0xfff
	v_ldexp_f32 v10, v10, v16
	v_cndmask_b32_e32 v10, 0, v10, vcc_lo
	v_cmp_ngt_f32_e32 vcc_lo, 0xc2ce8ed0, v6
	v_ldexp_f32 v14, v14, v17
	s_delay_alu instid0(VALU_DEP_1)
	v_cndmask_b32_e32 v14, 0, v14, vcc_lo
	v_cmp_nlt_f32_e32 vcc_lo, 0x42b17218, v7
	v_cndmask_b32_e32 v7, 0x7f800000, v9, vcc_lo
	v_cmp_nlt_f32_e32 vcc_lo, 0x42b17218, v8
	;; [unrolled: 2-line block ×3, first 2 shown]
	v_cndmask_b32_e32 v6, 0x7f800000, v14, vcc_lo
	v_cmp_lt_i32_e32 vcc_lo, 0, v15
	v_cndmask_b32_e32 v7, 0, v7, vcc_lo
	v_cmp_lt_i32_e32 vcc_lo, 32, v15
	s_waitcnt vmcnt(2)
	s_delay_alu instid0(VALU_DEP_2) | instskip(SKIP_2) | instid1(VALU_DEP_2)
	v_dual_mul_f32 v7, v1, v7 :: v_dual_cndmask_b32 v8, 0, v8
	v_cmp_lt_i32_e32 vcc_lo, 64, v15
	s_waitcnt vmcnt(1)
	v_mul_f32_e32 v8, v2, v8
	s_delay_alu instid0(VALU_DEP_1) | instskip(SKIP_1) | instid1(VALU_DEP_1)
	v_dual_cndmask_b32 v6, 0, v6 :: v_dual_add_f32 v1, v7, v8
	s_waitcnt vmcnt(0)
	v_mul_f32_e32 v3, v3, v6
	s_delay_alu instid0(VALU_DEP_1)
	v_add_f32_e32 v1, v1, v3
	ds_bpermute_b32 v2, v5, v1
	s_waitcnt lgkmcnt(0)
	v_add_f32_e32 v1, v1, v2
	ds_bpermute_b32 v2, v11, v1
	s_waitcnt lgkmcnt(0)
	;; [unrolled: 3-line block ×4, first 2 shown]
	v_add_f32_e32 v1, v1, v2
	ds_bpermute_b32 v2, v4, v1
	v_lshlrev_b32_e32 v4, 2, v0
	ds_store_2addr_b32 v4, v7, v8 offset1:32
	ds_store_b32 v4, v3 offset:256
	v_cmpx_eq_u32_e32 0, v0
	s_cbranch_execz .LBB76_8
; %bb.7:
	s_waitcnt lgkmcnt(2)
	v_dual_add_f32 v1, v1, v2 :: v_dual_mov_b32 v2, 0
	ds_store_b32 v2, v1 offset:384
.LBB76_8:
	s_or_b32 exec_lo, exec_lo, s7
	v_mov_b32_e32 v1, s6
.LBB76_9:
	s_or_b32 exec_lo, exec_lo, s22
	s_lshl_b32 s6, s18, 6
	s_mov_b32 s7, 0
	s_waitcnt lgkmcnt(2)
	v_dual_mov_b32 v2, 0 :: v_dual_lshlrev_b32 v1, 6, v1
	s_lshl_b64 s[6:7], s[6:7], 1
	v_lshlrev_b32_e32 v0, 1, v0
	s_add_u32 s34, s4, s6
	s_addc_u32 s35, s5, s7
	s_lshl_b32 s4, s21, 6
	v_lshlrev_b64 v[3:4], 1, v[1:2]
	s_sub_i32 s49, s4, 64
	s_cmpk_lt_i32 s48, 0x100
	v_dual_mov_b32 v30, 0 :: v_dual_mov_b32 v33, 0
	s_cselect_b32 s4, s49, 0
	s_delay_alu instid0(VALU_DEP_2)
	v_add_co_u32 v1, vcc_lo, s34, v3
	s_ashr_i32 s5, s4, 31
	v_add_co_ci_u32_e32 v3, vcc_lo, s35, v4, vcc_lo
	s_lshl_b64 s[4:5], s[4:5], 1
	s_cmpk_lt_i32 s48, 0x200
	v_add_co_u32 v1, vcc_lo, v1, v0
	s_cselect_b32 s6, s49, 64
	v_add_co_ci_u32_e32 v3, vcc_lo, 0, v3, vcc_lo
	s_ashr_i32 s7, s6, 31
	s_delay_alu instid0(VALU_DEP_2)
	v_add_co_u32 v4, vcc_lo, v1, s4
	s_lshl_b64 s[6:7], s[6:7], 1
	s_cmpk_lt_i32 s48, 0x300
	v_add_co_ci_u32_e32 v5, vcc_lo, s5, v3, vcc_lo
	s_cselect_b32 s8, s49, 0x80
	v_add_co_u32 v8, vcc_lo, v1, s6
	s_ashr_i32 s9, s8, 31
	v_add_co_ci_u32_e32 v9, vcc_lo, s7, v3, vcc_lo
	s_lshl_b64 s[8:9], s[8:9], 1
	s_cmpk_lt_i32 s48, 0x400
	v_add_co_u32 v10, vcc_lo, v1, s8
	s_cselect_b32 s10, s49, 0xc0
	v_add_co_ci_u32_e32 v11, vcc_lo, s9, v3, vcc_lo
	s_ashr_i32 s11, s10, 31
	v_dual_mov_b32 v32, 0 :: v_dual_mov_b32 v35, 0
	s_lshl_b64 s[10:11], s[10:11], 1
	s_cmpk_lt_i32 s48, 0x500
	v_add_co_u32 v12, vcc_lo, v1, s10
	s_cselect_b32 s18, s49, 0x100
	v_add_co_ci_u32_e32 v13, vcc_lo, s11, v3, vcc_lo
	s_ashr_i32 s19, s18, 31
	v_mov_b32_e32 v34, 0
	s_lshl_b64 s[18:19], s[18:19], 1
	s_cmpk_lt_i32 s48, 0x600
	v_add_co_u32 v14, vcc_lo, v1, s18
	s_cselect_b32 s22, s49, 0x140
	v_add_co_ci_u32_e32 v15, vcc_lo, s19, v3, vcc_lo
	s_ashr_i32 s23, s22, 31
	v_mov_b32_e32 v29, 0
	;; [unrolled: 7-line block ×3, first 2 shown]
	s_lshl_b64 s[24:25], s[24:25], 1
	s_cmpk_lt_i32 s48, 0x800
	v_add_co_u32 v18, vcc_lo, v1, s24
	s_cselect_b32 s26, s49, 0x1c0
	v_add_co_ci_u32_e32 v19, vcc_lo, s25, v3, vcc_lo
	s_ashr_i32 s27, s26, 31
	s_delay_alu instid0(SALU_CYCLE_1)
	s_lshl_b64 s[26:27], s[26:27], 1
	s_cmpk_lt_i32 s48, 0x900
	v_add_co_u32 v20, vcc_lo, v1, s26
	s_cselect_b32 s28, s49, 0x200
	v_add_co_ci_u32_e32 v21, vcc_lo, s27, v3, vcc_lo
	s_ashr_i32 s29, s28, 31
	s_clause 0x7
	global_load_u16 v7, v[4:5], off
	global_load_u16 v8, v[8:9], off
	;; [unrolled: 1-line block ×8, first 2 shown]
	s_lshl_b64 s[28:29], s[28:29], 1
	s_cmpk_lt_i32 s48, 0xa00
	v_add_co_u32 v12, vcc_lo, v1, s28
	s_cselect_b32 s30, s49, 0x240
	v_add_co_ci_u32_e32 v13, vcc_lo, s29, v3, vcc_lo
	s_ashr_i32 s31, s30, 31
	s_delay_alu instid0(SALU_CYCLE_1)
	s_lshl_b64 s[30:31], s[30:31], 1
	s_cmpk_lt_i32 s48, 0xb00
	v_add_co_u32 v15, vcc_lo, v1, s30
	s_cselect_b32 s34, s49, 0x280
	v_add_co_ci_u32_e32 v16, vcc_lo, s31, v3, vcc_lo
	s_ashr_i32 s35, s34, 31
	s_delay_alu instid0(SALU_CYCLE_1)
	;; [unrolled: 7-line block ×7, first 2 shown]
	s_lshl_b64 s[4:5], s[6:7], 1
	s_cmpk_gt_i32 s20, 0x1000
	v_add_co_u32 v27, vcc_lo, v1, s4
	v_add_co_ci_u32_e32 v28, vcc_lo, s5, v3, vcc_lo
	s_clause 0x7
	global_load_u16 v14, v[12:13], off
	global_load_u16 v15, v[15:16], off
	global_load_u16 v16, v[17:18], off
	global_load_u16 v17, v[19:20], off
	global_load_u16 v18, v[21:22], off
	global_load_u16 v19, v[23:24], off
	global_load_u16 v12, v[25:26], off
	global_load_u16 v13, v[27:28], off
	v_dual_mov_b32 v20, 0 :: v_dual_mov_b32 v23, 0
	v_dual_mov_b32 v21, 0 :: v_dual_mov_b32 v22, 0
	;; [unrolled: 1-line block ×4, first 2 shown]
	v_mov_b32_e32 v28, 0
	s_cselect_b32 s8, -1, 0
	s_cmpk_lt_i32 s20, 0x1001
	s_waitcnt vmcnt(0) lgkmcnt(0)
	s_barrier
	buffer_gl0_inv
	s_cbranch_scc1 .LBB76_11
; %bb.10:
	s_cmpk_lt_i32 s48, 0x1100
	s_cselect_b32 s4, s49, 0x400
	s_delay_alu instid0(SALU_CYCLE_1) | instskip(NEXT) | instid1(SALU_CYCLE_1)
	s_ashr_i32 s5, s4, 31
	s_lshl_b64 s[4:5], s[4:5], 1
	s_cmpk_lt_i32 s48, 0x1200
	v_add_co_u32 v20, vcc_lo, v1, s4
	s_cselect_b32 s6, s49, 0x440
	v_add_co_ci_u32_e32 v21, vcc_lo, s5, v3, vcc_lo
	s_ashr_i32 s7, s6, 31
	s_delay_alu instid0(SALU_CYCLE_1)
	s_lshl_b64 s[6:7], s[6:7], 1
	s_cmpk_lt_i32 s48, 0x1300
	v_add_co_u32 v22, vcc_lo, v1, s6
	s_cselect_b32 s10, s49, 0x480
	v_add_co_ci_u32_e32 v23, vcc_lo, s7, v3, vcc_lo
	s_ashr_i32 s11, s10, 31
	s_delay_alu instid0(SALU_CYCLE_1)
	;; [unrolled: 7-line block ×7, first 2 shown]
	s_lshl_b64 s[26:27], s[26:27], 1
	s_cmpk_lt_i32 s48, 0x1900
	v_add_co_u32 v34, vcc_lo, v1, s26
	s_cselect_b32 s28, s49, 0x600
	v_add_co_ci_u32_e32 v35, vcc_lo, s27, v3, vcc_lo
	s_ashr_i32 s29, s28, 31
	s_clause 0x7
	global_load_u16 v36, v[20:21], off
	global_load_u16 v37, v[22:23], off
	;; [unrolled: 1-line block ×8, first 2 shown]
	s_lshl_b64 s[28:29], s[28:29], 1
	s_cmpk_lt_i32 s48, 0x1a00
	v_add_co_u32 v20, vcc_lo, v1, s28
	s_cselect_b32 s30, s49, 0x640
	v_add_co_ci_u32_e32 v21, vcc_lo, s29, v3, vcc_lo
	s_ashr_i32 s31, s30, 31
	s_delay_alu instid0(SALU_CYCLE_1)
	s_lshl_b64 s[30:31], s[30:31], 1
	s_cmpk_lt_i32 s48, 0x1b00
	v_add_co_u32 v22, vcc_lo, v1, s30
	s_cselect_b32 s34, s49, 0x680
	v_add_co_ci_u32_e32 v23, vcc_lo, s31, v3, vcc_lo
	s_ashr_i32 s35, s34, 31
	s_delay_alu instid0(SALU_CYCLE_1)
	;; [unrolled: 7-line block ×6, first 2 shown]
	s_lshl_b64 s[4:5], s[20:21], 1
	s_cmpk_lt_i32 s48, 0x2000
	v_add_co_u32 v32, vcc_lo, v1, s4
	s_cselect_b32 s6, s49, 0x7c0
	v_add_co_ci_u32_e32 v33, vcc_lo, s5, v3, vcc_lo
	s_ashr_i32 s7, s6, 31
	s_delay_alu instid0(SALU_CYCLE_1) | instskip(NEXT) | instid1(SALU_CYCLE_1)
	s_lshl_b64 s[4:5], s[6:7], 1
	v_add_co_u32 v34, vcc_lo, v1, s4
	v_add_co_ci_u32_e32 v35, vcc_lo, s5, v3, vcc_lo
	s_clause 0x7
	global_load_u16 v20, v[20:21], off
	global_load_u16 v21, v[22:23], off
	;; [unrolled: 1-line block ×8, first 2 shown]
	s_waitcnt vmcnt(15)
	v_cvt_f32_f16_e32 v35, v36
	s_waitcnt vmcnt(14)
	v_cvt_f32_f16_e32 v34, v37
	;; [unrolled: 2-line block ×16, first 2 shown]
.LBB76_11:
	ds_load_b128 v[36:39], v2
	ds_load_b128 v[40:43], v2 offset:16
	s_and_not1_b32 vcc_lo, exec_lo, s8
	s_waitcnt lgkmcnt(1)
	v_fma_mix_f32 v7, v36, v7, 0 op_sel_hi:[0,1,0]
	s_delay_alu instid0(VALU_DEP_1) | instskip(NEXT) | instid1(VALU_DEP_1)
	v_fma_mix_f32 v7, v37, v8, v7 op_sel_hi:[0,1,0]
	v_fma_mix_f32 v7, v38, v9, v7 op_sel_hi:[0,1,0]
	s_delay_alu instid0(VALU_DEP_1)
	v_fma_mix_f32 v7, v39, v10, v7 op_sel_hi:[0,1,0]
	ds_load_b128 v[36:39], v2 offset:48
	s_waitcnt lgkmcnt(1)
	v_fma_mix_f32 v11, v40, v11, v7 op_sel_hi:[0,1,0]
	ds_load_b128 v[7:10], v2 offset:32
	v_fma_mix_f32 v4, v41, v4, v11 op_sel_hi:[0,1,0]
	s_delay_alu instid0(VALU_DEP_1) | instskip(NEXT) | instid1(VALU_DEP_1)
	v_fma_mix_f32 v4, v42, v5, v4 op_sel_hi:[0,1,0]
	v_fma_mix_f32 v4, v43, v6, v4 op_sel_hi:[0,1,0]
	s_waitcnt lgkmcnt(0)
	s_delay_alu instid0(VALU_DEP_1) | instskip(NEXT) | instid1(VALU_DEP_1)
	v_fma_mix_f32 v4, v7, v14, v4 op_sel_hi:[0,1,0]
	v_fma_mix_f32 v4, v8, v15, v4 op_sel_hi:[0,1,0]
	s_delay_alu instid0(VALU_DEP_1) | instskip(NEXT) | instid1(VALU_DEP_1)
	v_fma_mix_f32 v4, v9, v16, v4 op_sel_hi:[0,1,0]
	v_fma_mix_f32 v4, v10, v17, v4 op_sel_hi:[0,1,0]
	;; [unrolled: 3-line block ×4, first 2 shown]
	s_cbranch_vccz .LBB76_18
; %bb.12:
	s_cmpk_lt_i32 s48, 0x2100
	s_cbranch_scc0 .LBB76_19
.LBB76_13:
	s_load_b64 s[0:1], s[0:1], 0x0
	s_cmpk_lt_i32 s48, 0x4100
	s_cbranch_scc0 .LBB76_20
.LBB76_14:
	v_mov_b32_e32 v1, 0
	s_and_not1_b32 vcc_lo, exec_lo, s15
	ds_load_b32 v1, v1 offset:384
	s_cbranch_vccnz .LBB76_16
.LBB76_15:
	s_add_u32 s2, s12, s16
	s_addc_u32 s3, s13, s17
	s_load_b32 s2, s[2:3], 0x0
	s_mov_b32 s3, 0
.LBB76_16:
	s_waitcnt lgkmcnt(0)
	v_add_f32_e32 v1, 0x358637bd, v1
	s_mul_i32 s3, s33, s3
	s_mul_hi_u32 s4, s33, s2
	s_mul_i32 s2, s33, s2
	s_add_i32 s3, s4, s3
	v_div_scale_f32 v2, null, v1, v1, 1.0
	s_lshl_b64 s[2:3], s[2:3], 7
	s_mov_b32 s15, 0
	s_add_u32 s2, s0, s2
	s_delay_alu instid0(VALU_DEP_1) | instskip(SKIP_2) | instid1(SALU_CYCLE_1)
	v_rcp_f32_e32 v3, v2
	s_addc_u32 s3, s1, s3
	s_lshl_b64 s[0:1], s[14:15], 7
	s_add_u32 s0, s2, s0
	s_addc_u32 s1, s3, s1
	s_waitcnt_depctr 0xfff
	v_fma_f32 v5, -v2, v3, 1.0
	s_delay_alu instid0(VALU_DEP_1) | instskip(SKIP_1) | instid1(VALU_DEP_1)
	v_fmac_f32_e32 v3, v5, v3
	v_div_scale_f32 v5, vcc_lo, 1.0, v1, 1.0
	v_mul_f32_e32 v6, v5, v3
	s_delay_alu instid0(VALU_DEP_1) | instskip(NEXT) | instid1(VALU_DEP_1)
	v_fma_f32 v7, -v2, v6, v5
	v_fmac_f32_e32 v6, v7, v3
	s_delay_alu instid0(VALU_DEP_1) | instskip(NEXT) | instid1(VALU_DEP_1)
	v_fma_f32 v2, -v2, v6, v5
	v_div_fmas_f32 v2, v2, v3, v6
	s_delay_alu instid0(VALU_DEP_1) | instskip(NEXT) | instid1(VALU_DEP_1)
	v_div_fixup_f32 v1, v2, v1, 1.0
	v_fma_mixlo_f16 v1, v4, v1, 0
	global_store_b16 v0, v1, s[0:1]
	s_nop 0
	s_sendmsg sendmsg(MSG_DEALLOC_VGPRS)
	s_endpgm
.LBB76_17:
	s_mov_b32 s4, 0
	s_branch .LBB76_2
.LBB76_18:
	ds_load_b128 v[5:8], v2 offset:64
	ds_load_b128 v[9:12], v2 offset:80
	s_waitcnt lgkmcnt(1)
	v_fmac_f32_e32 v4, v5, v35
	s_delay_alu instid0(VALU_DEP_1) | instskip(NEXT) | instid1(VALU_DEP_1)
	v_fmac_f32_e32 v4, v6, v34
	v_fmac_f32_e32 v4, v7, v33
	s_delay_alu instid0(VALU_DEP_1) | instskip(SKIP_3) | instid1(VALU_DEP_1)
	v_fmac_f32_e32 v4, v8, v32
	ds_load_b128 v[5:8], v2 offset:96
	s_waitcnt lgkmcnt(1)
	v_fmac_f32_e32 v4, v9, v31
	v_fmac_f32_e32 v4, v10, v30
	s_delay_alu instid0(VALU_DEP_1) | instskip(NEXT) | instid1(VALU_DEP_1)
	v_fmac_f32_e32 v4, v11, v29
	v_fmac_f32_e32 v4, v12, v28
	ds_load_b128 v[9:12], v2 offset:112
	s_waitcnt lgkmcnt(1)
	v_fmac_f32_e32 v4, v5, v27
	s_delay_alu instid0(VALU_DEP_1) | instskip(NEXT) | instid1(VALU_DEP_1)
	v_fmac_f32_e32 v4, v6, v26
	v_fmac_f32_e32 v4, v7, v25
	s_delay_alu instid0(VALU_DEP_1) | instskip(SKIP_1) | instid1(VALU_DEP_1)
	v_fmac_f32_e32 v4, v8, v24
	s_waitcnt lgkmcnt(0)
	v_fmac_f32_e32 v4, v9, v23
	s_delay_alu instid0(VALU_DEP_1) | instskip(NEXT) | instid1(VALU_DEP_1)
	v_fmac_f32_e32 v4, v10, v22
	v_fmac_f32_e32 v4, v11, v21
	s_delay_alu instid0(VALU_DEP_1)
	v_fmac_f32_e32 v4, v12, v20
	s_cmpk_lt_i32 s48, 0x2100
	s_cbranch_scc1 .LBB76_13
.LBB76_19:
	s_cmpk_lt_u32 s48, 0x2200
	v_add_co_u32 v5, vcc_lo, 0x1000, v1
	s_cselect_b32 s4, s49, 0x840
	v_add_co_ci_u32_e32 v6, vcc_lo, 0, v3, vcc_lo
	s_ashr_i32 s5, s4, 31
	v_mov_b32_e32 v44, 0
	s_lshl_b64 s[4:5], s[4:5], 1
	s_cmpk_lt_u32 s48, 0x2300
	v_add_co_u32 v7, vcc_lo, v1, s4
	s_cselect_b32 s6, s49, 0x880
	v_add_co_ci_u32_e32 v8, vcc_lo, s5, v3, vcc_lo
	s_ashr_i32 s7, s6, 31
	s_delay_alu instid0(SALU_CYCLE_1)
	s_lshl_b64 s[6:7], s[6:7], 1
	s_cmpk_lt_u32 s48, 0x2400
	v_add_co_u32 v9, vcc_lo, v1, s6
	s_cselect_b32 s8, s49, 0x8c0
	v_add_co_ci_u32_e32 v10, vcc_lo, s7, v3, vcc_lo
	s_ashr_i32 s9, s8, 31
	s_delay_alu instid0(SALU_CYCLE_1)
	;; [unrolled: 7-line block ×6, first 2 shown]
	s_lshl_b64 s[26:27], s[18:19], 1
	s_cmpk_lt_u32 s48, 0x2900
	v_add_co_u32 v19, vcc_lo, v1, s26
	s_cselect_b32 s18, s49, 0xa00
	v_add_co_ci_u32_e32 v20, vcc_lo, s27, v3, vcc_lo
	s_ashr_i32 s19, s18, 31
	s_clause 0x7
	global_load_u16 v2, v[5:6], off
	global_load_u16 v21, v[7:8], off
	;; [unrolled: 1-line block ×8, first 2 shown]
	s_lshl_b64 s[18:19], s[18:19], 1
	s_cmpk_lt_u32 s48, 0x2a00
	v_add_co_u32 v5, vcc_lo, v1, s18
	s_cselect_b32 s24, s49, 0xa40
	v_add_co_ci_u32_e32 v6, vcc_lo, s19, v3, vcc_lo
	s_ashr_i32 s25, s24, 31
	s_delay_alu instid0(SALU_CYCLE_1)
	s_lshl_b64 s[24:25], s[24:25], 1
	s_cmpk_lt_u32 s48, 0x2b00
	v_add_co_u32 v7, vcc_lo, v1, s24
	s_cselect_b32 s28, s49, 0xa80
	v_add_co_ci_u32_e32 v8, vcc_lo, s25, v3, vcc_lo
	s_ashr_i32 s29, s28, 31
	s_delay_alu instid0(SALU_CYCLE_1)
	;; [unrolled: 7-line block ×7, first 2 shown]
	s_lshl_b64 s[44:45], s[36:37], 1
	s_cmpk_lt_u32 s48, 0x3100
	v_add_co_u32 v19, vcc_lo, v1, s44
	s_cselect_b32 s36, s49, 0xc00
	v_add_co_ci_u32_e32 v20, vcc_lo, s45, v3, vcc_lo
	s_ashr_i32 s37, s36, 31
	s_clause 0x7
	global_load_u16 v28, v[5:6], off
	global_load_u16 v29, v[7:8], off
	;; [unrolled: 1-line block ×8, first 2 shown]
	s_lshl_b64 s[36:37], s[36:37], 1
	s_cmpk_lt_u32 s48, 0x3200
	v_add_co_u32 v5, vcc_lo, v1, s36
	s_cselect_b32 s42, s49, 0xc40
	v_add_co_ci_u32_e32 v6, vcc_lo, s37, v3, vcc_lo
	s_ashr_i32 s43, s42, 31
	s_delay_alu instid0(SALU_CYCLE_1)
	s_lshl_b64 s[42:43], s[42:43], 1
	s_cmpk_lt_u32 s48, 0x3300
	v_add_co_u32 v7, vcc_lo, v1, s42
	s_cselect_b32 s46, s49, 0xc80
	v_add_co_ci_u32_e32 v8, vcc_lo, s43, v3, vcc_lo
	s_ashr_i32 s47, s46, 31
	s_delay_alu instid0(SALU_CYCLE_1)
	;; [unrolled: 7-line block ×5, first 2 shown]
	s_lshl_b64 s[8:9], s[8:9], 1
	s_cmpk_lt_u32 s48, 0x3700
	v_add_co_u32 v15, vcc_lo, v1, s8
	s_cselect_b32 s10, s49, 0xd80
	v_add_co_ci_u32_e32 v16, vcc_lo, s9, v3, vcc_lo
	s_ashr_i32 s11, s10, 31
	s_clause 0x5
	global_load_u16 v19, v[5:6], off
	global_load_u16 v20, v[7:8], off
	;; [unrolled: 1-line block ×6, first 2 shown]
	s_lshl_b64 s[10:11], s[10:11], 1
	s_cmpk_lt_u32 s48, 0x3800
	v_add_co_u32 v5, vcc_lo, v1, s10
	s_cselect_b32 s18, s49, 0xdc0
	v_add_co_ci_u32_e32 v6, vcc_lo, s11, v3, vcc_lo
	s_ashr_i32 s19, s18, 31
	s_delay_alu instid0(SALU_CYCLE_1)
	s_lshl_b64 s[18:19], s[18:19], 1
	s_cmpk_lt_u32 s48, 0x3900
	v_add_co_u32 v7, vcc_lo, v1, s18
	s_cselect_b32 s20, s49, 0xe00
	v_add_co_ci_u32_e32 v8, vcc_lo, s19, v3, vcc_lo
	s_ashr_i32 s21, s20, 31
	global_load_u16 v16, v[5:6], off
	s_lshl_b64 s[20:21], s[20:21], 1
	global_load_u16 v37, v[7:8], off
	s_cmpk_lt_u32 s48, 0x3a00
	v_add_co_u32 v9, vcc_lo, v1, s20
	s_cselect_b32 s22, s49, 0xe40
	v_add_co_ci_u32_e32 v10, vcc_lo, s21, v3, vcc_lo
	s_ashr_i32 s23, s22, 31
	s_delay_alu instid0(SALU_CYCLE_1)
	s_lshl_b64 s[22:23], s[22:23], 1
	s_cmpk_lt_u32 s48, 0x3b00
	v_add_co_u32 v11, vcc_lo, v1, s22
	s_cselect_b32 s4, s49, 0xe80
	v_add_co_ci_u32_e32 v12, vcc_lo, s23, v3, vcc_lo
	s_ashr_i32 s5, s4, 31
	s_delay_alu instid0(SALU_CYCLE_1)
	s_lshl_b64 s[4:5], s[4:5], 1
	s_cmpk_lt_u32 s48, 0x3c00
	v_add_co_u32 v13, vcc_lo, v1, s4
	s_cselect_b32 s6, s49, 0xec0
	v_add_co_ci_u32_e32 v14, vcc_lo, s5, v3, vcc_lo
	s_ashr_i32 s7, s6, 31
	s_clause 0x2
	global_load_u16 v38, v[9:10], off
	global_load_u16 v39, v[11:12], off
	;; [unrolled: 1-line block ×3, first 2 shown]
	s_lshl_b64 s[6:7], s[6:7], 1
	s_cmpk_lt_u32 s48, 0x3d00
	v_add_co_u32 v5, vcc_lo, v1, s6
	s_cselect_b32 s8, s49, 0xf00
	v_add_co_ci_u32_e32 v6, vcc_lo, s7, v3, vcc_lo
	s_ashr_i32 s9, s8, 31
	s_delay_alu instid0(SALU_CYCLE_1)
	s_lshl_b64 s[4:5], s[8:9], 1
	s_cmpk_lt_u32 s48, 0x3e00
	v_add_co_u32 v7, vcc_lo, v1, s4
	s_cselect_b32 s8, s49, 0xf40
	v_add_co_ci_u32_e32 v8, vcc_lo, s5, v3, vcc_lo
	s_ashr_i32 s9, s8, 31
	global_load_u16 v14, v[5:6], off
	s_lshl_b64 s[8:9], s[8:9], 1
	s_cmpk_lt_u32 s48, 0x3f00
	v_add_co_u32 v9, vcc_lo, v1, s8
	s_cselect_b32 s6, s49, 0xf80
	v_add_co_ci_u32_e32 v10, vcc_lo, s9, v3, vcc_lo
	s_ashr_i32 s7, s6, 31
	s_clause 0x1
	global_load_u16 v40, v[7:8], off
	global_load_u16 v41, v[9:10], off
	s_lshl_b64 s[4:5], s[6:7], 1
	s_cmpk_lt_u32 s48, 0x4000
	v_add_co_u32 v5, vcc_lo, v1, s4
	s_cselect_b32 s6, s49, 0xfc0
	v_add_co_ci_u32_e32 v6, vcc_lo, s5, v3, vcc_lo
	s_ashr_i32 s7, s6, 31
	s_delay_alu instid0(SALU_CYCLE_1) | instskip(NEXT) | instid1(SALU_CYCLE_1)
	s_lshl_b64 s[4:5], s[6:7], 1
	v_add_co_u32 v7, vcc_lo, v1, s4
	v_add_co_ci_u32_e32 v8, vcc_lo, s5, v3, vcc_lo
	s_clause 0x1
	global_load_u16 v42, v[5:6], off
	global_load_u16 v43, v[7:8], off
	ds_load_b128 v[5:8], v44 offset:128
	ds_load_b128 v[9:12], v44 offset:144
	s_waitcnt vmcnt(31) lgkmcnt(1)
	v_fma_mix_f32 v2, v5, v2, v4 op_sel_hi:[0,1,0]
	s_waitcnt vmcnt(30)
	s_delay_alu instid0(VALU_DEP_1) | instskip(SKIP_1) | instid1(VALU_DEP_1)
	v_fma_mix_f32 v2, v6, v21, v2 op_sel_hi:[0,1,0]
	s_waitcnt vmcnt(29)
	v_fma_mix_f32 v2, v7, v22, v2 op_sel_hi:[0,1,0]
	ds_load_b128 v[4:7], v44 offset:160
	s_waitcnt vmcnt(28)
	v_fma_mix_f32 v2, v8, v23, v2 op_sel_hi:[0,1,0]
	s_waitcnt vmcnt(27) lgkmcnt(1)
	s_delay_alu instid0(VALU_DEP_1) | instskip(SKIP_1) | instid1(VALU_DEP_1)
	v_fma_mix_f32 v2, v9, v24, v2 op_sel_hi:[0,1,0]
	s_waitcnt vmcnt(26)
	v_fma_mix_f32 v2, v10, v25, v2 op_sel_hi:[0,1,0]
	s_waitcnt vmcnt(25)
	s_delay_alu instid0(VALU_DEP_1) | instskip(SKIP_4) | instid1(VALU_DEP_1)
	v_fma_mix_f32 v2, v11, v26, v2 op_sel_hi:[0,1,0]
	ds_load_b128 v[8:11], v44 offset:176
	s_waitcnt vmcnt(24)
	v_fma_mix_f32 v2, v12, v27, v2 op_sel_hi:[0,1,0]
	s_waitcnt vmcnt(23) lgkmcnt(1)
	v_fma_mix_f32 v2, v4, v28, v2 op_sel_hi:[0,1,0]
	s_waitcnt vmcnt(22)
	s_delay_alu instid0(VALU_DEP_1) | instskip(SKIP_1) | instid1(VALU_DEP_1)
	v_fma_mix_f32 v2, v5, v29, v2 op_sel_hi:[0,1,0]
	s_waitcnt vmcnt(21)
	v_fma_mix_f32 v2, v6, v30, v2 op_sel_hi:[0,1,0]
	s_waitcnt vmcnt(20)
	s_delay_alu instid0(VALU_DEP_1) | instskip(SKIP_4) | instid1(VALU_DEP_1)
	v_fma_mix_f32 v2, v7, v31, v2 op_sel_hi:[0,1,0]
	ds_load_b128 v[4:7], v44 offset:192
	s_waitcnt vmcnt(19) lgkmcnt(1)
	v_fma_mix_f32 v2, v8, v32, v2 op_sel_hi:[0,1,0]
	s_waitcnt vmcnt(18)
	v_fma_mix_f32 v2, v9, v33, v2 op_sel_hi:[0,1,0]
	s_waitcnt vmcnt(17)
	s_delay_alu instid0(VALU_DEP_1) | instskip(SKIP_1) | instid1(VALU_DEP_1)
	v_fma_mix_f32 v2, v10, v17, v2 op_sel_hi:[0,1,0]
	s_waitcnt vmcnt(16)
	v_fma_mix_f32 v2, v11, v18, v2 op_sel_hi:[0,1,0]
	ds_load_b128 v[8:11], v44 offset:208
	s_waitcnt vmcnt(15) lgkmcnt(1)
	v_fma_mix_f32 v2, v4, v19, v2 op_sel_hi:[0,1,0]
	s_waitcnt vmcnt(14)
	s_delay_alu instid0(VALU_DEP_1) | instskip(SKIP_1) | instid1(VALU_DEP_1)
	v_fma_mix_f32 v2, v5, v20, v2 op_sel_hi:[0,1,0]
	s_waitcnt vmcnt(13)
	v_fma_mix_f32 v2, v6, v34, v2 op_sel_hi:[0,1,0]
	s_waitcnt vmcnt(12)
	s_delay_alu instid0(VALU_DEP_1) | instskip(SKIP_4) | instid1(VALU_DEP_1)
	v_fma_mix_f32 v2, v7, v35, v2 op_sel_hi:[0,1,0]
	ds_load_b128 v[4:7], v44 offset:224
	s_waitcnt vmcnt(11) lgkmcnt(1)
	v_fma_mix_f32 v2, v8, v36, v2 op_sel_hi:[0,1,0]
	s_waitcnt vmcnt(10)
	v_fma_mix_f32 v2, v9, v15, v2 op_sel_hi:[0,1,0]
	s_waitcnt vmcnt(9)
	s_delay_alu instid0(VALU_DEP_1) | instskip(SKIP_1) | instid1(VALU_DEP_1)
	v_fma_mix_f32 v2, v10, v16, v2 op_sel_hi:[0,1,0]
	s_waitcnt vmcnt(8)
	v_fma_mix_f32 v2, v11, v37, v2 op_sel_hi:[0,1,0]
	ds_load_b128 v[8:11], v44 offset:240
	s_waitcnt vmcnt(7) lgkmcnt(1)
	v_fma_mix_f32 v2, v4, v38, v2 op_sel_hi:[0,1,0]
	s_waitcnt vmcnt(6)
	s_delay_alu instid0(VALU_DEP_1) | instskip(SKIP_1) | instid1(VALU_DEP_1)
	v_fma_mix_f32 v2, v5, v39, v2 op_sel_hi:[0,1,0]
	s_waitcnt vmcnt(5)
	v_fma_mix_f32 v2, v6, v13, v2 op_sel_hi:[0,1,0]
	s_waitcnt vmcnt(4)
	s_delay_alu instid0(VALU_DEP_1) | instskip(SKIP_1) | instid1(VALU_DEP_1)
	v_fma_mix_f32 v2, v7, v14, v2 op_sel_hi:[0,1,0]
	s_waitcnt vmcnt(3) lgkmcnt(0)
	v_fma_mix_f32 v2, v8, v40, v2 op_sel_hi:[0,1,0]
	s_waitcnt vmcnt(2)
	s_delay_alu instid0(VALU_DEP_1) | instskip(SKIP_1) | instid1(VALU_DEP_1)
	v_fma_mix_f32 v2, v9, v41, v2 op_sel_hi:[0,1,0]
	s_waitcnt vmcnt(1)
	v_fma_mix_f32 v2, v10, v42, v2 op_sel_hi:[0,1,0]
	s_waitcnt vmcnt(0)
	s_delay_alu instid0(VALU_DEP_1)
	v_fma_mix_f32 v4, v11, v43, v2 op_sel_hi:[0,1,0]
	s_load_b64 s[0:1], s[0:1], 0x0
	s_cmpk_lt_i32 s48, 0x4100
	s_cbranch_scc1 .LBB76_14
.LBB76_20:
	s_cmpk_lt_u32 s48, 0x4200
	v_add_co_u32 v5, vcc_lo, 0x2000, v1
	s_cselect_b32 s4, s49, 0x1040
	v_add_co_ci_u32_e32 v6, vcc_lo, 0, v3, vcc_lo
	s_ashr_i32 s5, s4, 31
	v_mov_b32_e32 v45, 0
	s_lshl_b64 s[4:5], s[4:5], 1
	s_cmpk_lt_u32 s48, 0x4300
	v_add_co_u32 v7, vcc_lo, v1, s4
	s_cselect_b32 s6, s49, 0x1080
	v_add_co_ci_u32_e32 v8, vcc_lo, s5, v3, vcc_lo
	s_ashr_i32 s7, s6, 31
	s_delay_alu instid0(SALU_CYCLE_1)
	s_lshl_b64 s[6:7], s[6:7], 1
	s_cmpk_lt_u32 s48, 0x4400
	v_add_co_u32 v9, vcc_lo, v1, s6
	s_cselect_b32 s8, s49, 0x10c0
	v_add_co_ci_u32_e32 v10, vcc_lo, s7, v3, vcc_lo
	s_ashr_i32 s9, s8, 31
	s_delay_alu instid0(SALU_CYCLE_1)
	;; [unrolled: 7-line block ×6, first 2 shown]
	s_lshl_b64 s[26:27], s[18:19], 1
	s_cmpk_lt_u32 s48, 0x4900
	v_add_co_u32 v19, vcc_lo, v1, s26
	s_cselect_b32 s18, s49, 0x1200
	v_add_co_ci_u32_e32 v20, vcc_lo, s27, v3, vcc_lo
	s_ashr_i32 s19, s18, 31
	s_clause 0x7
	global_load_u16 v21, v[5:6], off
	global_load_u16 v22, v[7:8], off
	;; [unrolled: 1-line block ×8, first 2 shown]
	s_lshl_b64 s[18:19], s[18:19], 1
	s_cmpk_lt_u32 s48, 0x4a00
	v_add_co_u32 v5, vcc_lo, v1, s18
	s_cselect_b32 s24, s49, 0x1240
	v_add_co_ci_u32_e32 v6, vcc_lo, s19, v3, vcc_lo
	s_ashr_i32 s25, s24, 31
	s_delay_alu instid0(SALU_CYCLE_1)
	s_lshl_b64 s[24:25], s[24:25], 1
	s_cmpk_lt_u32 s48, 0x4b00
	v_add_co_u32 v7, vcc_lo, v1, s24
	s_cselect_b32 s28, s49, 0x1280
	v_add_co_ci_u32_e32 v8, vcc_lo, s25, v3, vcc_lo
	s_ashr_i32 s29, s28, 31
	s_delay_alu instid0(SALU_CYCLE_1)
	;; [unrolled: 7-line block ×7, first 2 shown]
	s_lshl_b64 s[44:45], s[36:37], 1
	s_cmpk_lt_u32 s48, 0x5100
	v_add_co_u32 v19, vcc_lo, v1, s44
	s_cselect_b32 s36, s49, 0x1400
	v_add_co_ci_u32_e32 v20, vcc_lo, s45, v3, vcc_lo
	s_ashr_i32 s37, s36, 31
	s_clause 0x7
	global_load_u16 v29, v[5:6], off
	global_load_u16 v30, v[7:8], off
	;; [unrolled: 1-line block ×8, first 2 shown]
	s_lshl_b64 s[36:37], s[36:37], 1
	s_cmpk_lt_u32 s48, 0x5200
	v_add_co_u32 v5, vcc_lo, v1, s36
	s_cselect_b32 s42, s49, 0x1440
	v_add_co_ci_u32_e32 v6, vcc_lo, s37, v3, vcc_lo
	s_ashr_i32 s43, s42, 31
	s_delay_alu instid0(SALU_CYCLE_1)
	s_lshl_b64 s[42:43], s[42:43], 1
	s_cmpk_lt_u32 s48, 0x5300
	v_add_co_u32 v7, vcc_lo, v1, s42
	s_cselect_b32 s46, s49, 0x1480
	v_add_co_ci_u32_e32 v8, vcc_lo, s43, v3, vcc_lo
	s_ashr_i32 s47, s46, 31
	s_delay_alu instid0(SALU_CYCLE_1)
	;; [unrolled: 7-line block ×5, first 2 shown]
	s_lshl_b64 s[8:9], s[8:9], 1
	s_cmpk_lt_u32 s48, 0x5700
	v_add_co_u32 v15, vcc_lo, v1, s8
	s_cselect_b32 s10, s49, 0x1580
	v_add_co_ci_u32_e32 v16, vcc_lo, s9, v3, vcc_lo
	s_ashr_i32 s11, s10, 31
	s_clause 0x5
	global_load_u16 v19, v[5:6], off
	global_load_u16 v20, v[7:8], off
	;; [unrolled: 1-line block ×6, first 2 shown]
	s_lshl_b64 s[10:11], s[10:11], 1
	s_cmpk_lt_u32 s48, 0x5800
	v_add_co_u32 v5, vcc_lo, v1, s10
	s_cselect_b32 s18, s49, 0x15c0
	v_add_co_ci_u32_e32 v6, vcc_lo, s11, v3, vcc_lo
	s_ashr_i32 s19, s18, 31
	s_delay_alu instid0(SALU_CYCLE_1)
	s_lshl_b64 s[18:19], s[18:19], 1
	s_cmpk_lt_u32 s48, 0x5900
	v_add_co_u32 v7, vcc_lo, v1, s18
	s_cselect_b32 s20, s49, 0x1600
	v_add_co_ci_u32_e32 v8, vcc_lo, s19, v3, vcc_lo
	s_ashr_i32 s21, s20, 31
	global_load_u16 v16, v[5:6], off
	s_lshl_b64 s[20:21], s[20:21], 1
	global_load_u16 v38, v[7:8], off
	s_cmpk_lt_u32 s48, 0x5a00
	v_add_co_u32 v9, vcc_lo, v1, s20
	s_cselect_b32 s22, s49, 0x1640
	v_add_co_ci_u32_e32 v10, vcc_lo, s21, v3, vcc_lo
	s_ashr_i32 s23, s22, 31
	s_delay_alu instid0(SALU_CYCLE_1)
	s_lshl_b64 s[22:23], s[22:23], 1
	s_cmpk_lt_u32 s48, 0x5b00
	v_add_co_u32 v11, vcc_lo, v1, s22
	s_cselect_b32 s4, s49, 0x1680
	v_add_co_ci_u32_e32 v12, vcc_lo, s23, v3, vcc_lo
	s_ashr_i32 s5, s4, 31
	s_delay_alu instid0(SALU_CYCLE_1)
	s_lshl_b64 s[4:5], s[4:5], 1
	s_cmpk_lt_u32 s48, 0x5c00
	v_add_co_u32 v13, vcc_lo, v1, s4
	s_cselect_b32 s6, s49, 0x16c0
	v_add_co_ci_u32_e32 v14, vcc_lo, s5, v3, vcc_lo
	s_ashr_i32 s7, s6, 31
	s_clause 0x2
	global_load_u16 v39, v[9:10], off
	global_load_u16 v40, v[11:12], off
	;; [unrolled: 1-line block ×3, first 2 shown]
	s_lshl_b64 s[6:7], s[6:7], 1
	s_cmpk_lt_u32 s48, 0x5d00
	v_add_co_u32 v5, vcc_lo, v1, s6
	s_cselect_b32 s8, s49, 0x1700
	v_add_co_ci_u32_e32 v6, vcc_lo, s7, v3, vcc_lo
	s_ashr_i32 s9, s8, 31
	s_delay_alu instid0(SALU_CYCLE_1)
	s_lshl_b64 s[4:5], s[8:9], 1
	s_cmpk_lt_u32 s48, 0x5e00
	v_add_co_u32 v7, vcc_lo, v1, s4
	s_cselect_b32 s8, s49, 0x1740
	v_add_co_ci_u32_e32 v8, vcc_lo, s5, v3, vcc_lo
	s_ashr_i32 s9, s8, 31
	global_load_u16 v14, v[5:6], off
	s_lshl_b64 s[8:9], s[8:9], 1
	s_cmpk_lt_u32 s48, 0x5f00
	v_add_co_u32 v9, vcc_lo, v1, s8
	s_cselect_b32 s6, s49, 0x1780
	v_add_co_ci_u32_e32 v10, vcc_lo, s9, v3, vcc_lo
	s_ashr_i32 s7, s6, 31
	s_clause 0x1
	global_load_u16 v41, v[7:8], off
	global_load_u16 v42, v[9:10], off
	s_lshl_b64 s[4:5], s[6:7], 1
	s_cmpk_lt_u32 s48, 0x6000
	v_add_co_u32 v5, vcc_lo, v1, s4
	s_cselect_b32 s6, s49, 0x17c0
	v_add_co_ci_u32_e32 v6, vcc_lo, s5, v3, vcc_lo
	s_ashr_i32 s7, s6, 31
	s_delay_alu instid0(SALU_CYCLE_1) | instskip(NEXT) | instid1(SALU_CYCLE_1)
	s_lshl_b64 s[4:5], s[6:7], 1
	v_add_co_u32 v1, vcc_lo, v1, s4
	v_add_co_ci_u32_e32 v2, vcc_lo, s5, v3, vcc_lo
	s_clause 0x1
	global_load_u16 v43, v[5:6], off
	global_load_u16 v44, v[1:2], off
	ds_load_b128 v[5:8], v45 offset:256
	ds_load_b128 v[9:12], v45 offset:272
	s_waitcnt vmcnt(31) lgkmcnt(0)
	v_fma_mix_f32 v1, v5, v21, v4 op_sel_hi:[0,1,0]
	s_waitcnt vmcnt(30)
	s_delay_alu instid0(VALU_DEP_1) | instskip(SKIP_1) | instid1(VALU_DEP_1)
	v_fma_mix_f32 v1, v6, v22, v1 op_sel_hi:[0,1,0]
	s_waitcnt vmcnt(29)
	v_fma_mix_f32 v1, v7, v23, v1 op_sel_hi:[0,1,0]
	s_waitcnt vmcnt(28)
	s_delay_alu instid0(VALU_DEP_1) | instskip(SKIP_1) | instid1(VALU_DEP_1)
	v_fma_mix_f32 v1, v8, v24, v1 op_sel_hi:[0,1,0]
	s_waitcnt vmcnt(27)
	v_fma_mix_f32 v5, v9, v25, v1 op_sel_hi:[0,1,0]
	ds_load_b128 v[1:4], v45 offset:288
	s_waitcnt vmcnt(26)
	v_fma_mix_f32 v5, v10, v26, v5 op_sel_hi:[0,1,0]
	s_waitcnt vmcnt(25)
	s_delay_alu instid0(VALU_DEP_1) | instskip(SKIP_1) | instid1(VALU_DEP_1)
	v_fma_mix_f32 v5, v11, v27, v5 op_sel_hi:[0,1,0]
	s_waitcnt vmcnt(24)
	v_fma_mix_f32 v9, v12, v28, v5 op_sel_hi:[0,1,0]
	ds_load_b128 v[5:8], v45 offset:304
	s_waitcnt vmcnt(23) lgkmcnt(1)
	v_fma_mix_f32 v1, v1, v29, v9 op_sel_hi:[0,1,0]
	s_waitcnt vmcnt(22)
	s_delay_alu instid0(VALU_DEP_1) | instskip(SKIP_1) | instid1(VALU_DEP_1)
	v_fma_mix_f32 v1, v2, v30, v1 op_sel_hi:[0,1,0]
	s_waitcnt vmcnt(21)
	v_fma_mix_f32 v1, v3, v31, v1 op_sel_hi:[0,1,0]
	s_waitcnt vmcnt(20)
	s_delay_alu instid0(VALU_DEP_1) | instskip(SKIP_1) | instid1(VALU_DEP_1)
	v_fma_mix_f32 v1, v4, v32, v1 op_sel_hi:[0,1,0]
	s_waitcnt vmcnt(19) lgkmcnt(0)
	v_fma_mix_f32 v5, v5, v33, v1 op_sel_hi:[0,1,0]
	ds_load_b128 v[1:4], v45 offset:320
	s_waitcnt vmcnt(18)
	v_fma_mix_f32 v5, v6, v34, v5 op_sel_hi:[0,1,0]
	s_waitcnt vmcnt(17)
	s_delay_alu instid0(VALU_DEP_1) | instskip(SKIP_1) | instid1(VALU_DEP_1)
	v_fma_mix_f32 v5, v7, v17, v5 op_sel_hi:[0,1,0]
	s_waitcnt vmcnt(16)
	v_fma_mix_f32 v9, v8, v18, v5 op_sel_hi:[0,1,0]
	ds_load_b128 v[5:8], v45 offset:336
	s_waitcnt vmcnt(15) lgkmcnt(1)
	v_fma_mix_f32 v1, v1, v19, v9 op_sel_hi:[0,1,0]
	s_waitcnt vmcnt(14)
	s_delay_alu instid0(VALU_DEP_1) | instskip(SKIP_1) | instid1(VALU_DEP_1)
	v_fma_mix_f32 v1, v2, v20, v1 op_sel_hi:[0,1,0]
	s_waitcnt vmcnt(13)
	v_fma_mix_f32 v1, v3, v35, v1 op_sel_hi:[0,1,0]
	s_waitcnt vmcnt(12)
	s_delay_alu instid0(VALU_DEP_1) | instskip(SKIP_1) | instid1(VALU_DEP_1)
	v_fma_mix_f32 v1, v4, v36, v1 op_sel_hi:[0,1,0]
	s_waitcnt vmcnt(11) lgkmcnt(0)
	;; [unrolled: 21-line block ×3, first 2 shown]
	v_fma_mix_f32 v1, v5, v41, v1 op_sel_hi:[0,1,0]
	s_waitcnt vmcnt(2)
	s_delay_alu instid0(VALU_DEP_1) | instskip(SKIP_1) | instid1(VALU_DEP_1)
	v_fma_mix_f32 v1, v6, v42, v1 op_sel_hi:[0,1,0]
	s_waitcnt vmcnt(1)
	v_fma_mix_f32 v1, v7, v43, v1 op_sel_hi:[0,1,0]
	s_waitcnt vmcnt(0)
	s_delay_alu instid0(VALU_DEP_1)
	v_fma_mix_f32 v4, v8, v44, v1 op_sel_hi:[0,1,0]
	v_mov_b32_e32 v1, 0
	s_and_not1_b32 vcc_lo, exec_lo, s15
	ds_load_b32 v1, v1 offset:384
	s_cbranch_vccz .LBB76_15
	s_branch .LBB76_16
	.section	.rodata,"a",@progbits
	.p2align	6, 0x0
	.amdhsa_kernel _Z35paged_attention_ll4mi_reduce_kernelIDF16_DF16_Li64ELi64ELi256ELi3EEvPT0_PKfS3_PKT_PKiS8_iS3_
		.amdhsa_group_segment_fixed_size 388
		.amdhsa_private_segment_fixed_size 0
		.amdhsa_kernarg_size 320
		.amdhsa_user_sgpr_count 14
		.amdhsa_user_sgpr_dispatch_ptr 0
		.amdhsa_user_sgpr_queue_ptr 0
		.amdhsa_user_sgpr_kernarg_segment_ptr 1
		.amdhsa_user_sgpr_dispatch_id 0
		.amdhsa_user_sgpr_private_segment_size 0
		.amdhsa_wavefront_size32 1
		.amdhsa_uses_dynamic_stack 0
		.amdhsa_enable_private_segment 0
		.amdhsa_system_sgpr_workgroup_id_x 1
		.amdhsa_system_sgpr_workgroup_id_y 1
		.amdhsa_system_sgpr_workgroup_id_z 0
		.amdhsa_system_sgpr_workgroup_info 0
		.amdhsa_system_vgpr_workitem_id 0
		.amdhsa_next_free_vgpr 48
		.amdhsa_next_free_sgpr 52
		.amdhsa_reserve_vcc 1
		.amdhsa_float_round_mode_32 0
		.amdhsa_float_round_mode_16_64 0
		.amdhsa_float_denorm_mode_32 3
		.amdhsa_float_denorm_mode_16_64 3
		.amdhsa_dx10_clamp 1
		.amdhsa_ieee_mode 1
		.amdhsa_fp16_overflow 0
		.amdhsa_workgroup_processor_mode 1
		.amdhsa_memory_ordered 1
		.amdhsa_forward_progress 0
		.amdhsa_shared_vgpr_count 0
		.amdhsa_exception_fp_ieee_invalid_op 0
		.amdhsa_exception_fp_denorm_src 0
		.amdhsa_exception_fp_ieee_div_zero 0
		.amdhsa_exception_fp_ieee_overflow 0
		.amdhsa_exception_fp_ieee_underflow 0
		.amdhsa_exception_fp_ieee_inexact 0
		.amdhsa_exception_int_div_zero 0
	.end_amdhsa_kernel
	.section	.text._Z35paged_attention_ll4mi_reduce_kernelIDF16_DF16_Li64ELi64ELi256ELi3EEvPT0_PKfS3_PKT_PKiS8_iS3_,"axG",@progbits,_Z35paged_attention_ll4mi_reduce_kernelIDF16_DF16_Li64ELi64ELi256ELi3EEvPT0_PKfS3_PKT_PKiS8_iS3_,comdat
.Lfunc_end76:
	.size	_Z35paged_attention_ll4mi_reduce_kernelIDF16_DF16_Li64ELi64ELi256ELi3EEvPT0_PKfS3_PKT_PKiS8_iS3_, .Lfunc_end76-_Z35paged_attention_ll4mi_reduce_kernelIDF16_DF16_Li64ELi64ELi256ELi3EEvPT0_PKfS3_PKT_PKiS8_iS3_
                                        ; -- End function
	.section	.AMDGPU.csdata,"",@progbits
; Kernel info:
; codeLenInByte = 7388
; NumSgprs: 54
; NumVgprs: 48
; ScratchSize: 0
; MemoryBound: 0
; FloatMode: 240
; IeeeMode: 1
; LDSByteSize: 388 bytes/workgroup (compile time only)
; SGPRBlocks: 6
; VGPRBlocks: 5
; NumSGPRsForWavesPerEU: 54
; NumVGPRsForWavesPerEU: 48
; Occupancy: 16
; WaveLimiterHint : 0
; COMPUTE_PGM_RSRC2:SCRATCH_EN: 0
; COMPUTE_PGM_RSRC2:USER_SGPR: 14
; COMPUTE_PGM_RSRC2:TRAP_HANDLER: 0
; COMPUTE_PGM_RSRC2:TGID_X_EN: 1
; COMPUTE_PGM_RSRC2:TGID_Y_EN: 1
; COMPUTE_PGM_RSRC2:TGID_Z_EN: 0
; COMPUTE_PGM_RSRC2:TIDIG_COMP_CNT: 0
	.section	.text._Z35paged_attention_ll4mi_reduce_kernelIDF16_DF16_Li64ELi64ELi256ELi4EEvPT0_PKfS3_PKT_PKiS8_iS3_,"axG",@progbits,_Z35paged_attention_ll4mi_reduce_kernelIDF16_DF16_Li64ELi64ELi256ELi4EEvPT0_PKfS3_PKT_PKiS8_iS3_,comdat
	.protected	_Z35paged_attention_ll4mi_reduce_kernelIDF16_DF16_Li64ELi64ELi256ELi4EEvPT0_PKfS3_PKT_PKiS8_iS3_ ; -- Begin function _Z35paged_attention_ll4mi_reduce_kernelIDF16_DF16_Li64ELi64ELi256ELi4EEvPT0_PKfS3_PKT_PKiS8_iS3_
	.globl	_Z35paged_attention_ll4mi_reduce_kernelIDF16_DF16_Li64ELi64ELi256ELi4EEvPT0_PKfS3_PKT_PKiS8_iS3_
	.p2align	8
	.type	_Z35paged_attention_ll4mi_reduce_kernelIDF16_DF16_Li64ELi64ELi256ELi4EEvPT0_PKfS3_PKT_PKiS8_iS3_,@function
_Z35paged_attention_ll4mi_reduce_kernelIDF16_DF16_Li64ELi64ELi256ELi4EEvPT0_PKfS3_PKT_PKiS8_iS3_: ; @_Z35paged_attention_ll4mi_reduce_kernelIDF16_DF16_Li64ELi64ELi256ELi4EEvPT0_PKfS3_PKT_PKiS8_iS3_
; %bb.0:
	s_load_b64 s[12:13], s[0:1], 0x28
	s_mov_b32 s2, s15
	s_waitcnt lgkmcnt(0)
	s_cmp_lg_u64 s[12:13], 0
	s_cselect_b32 s15, -1, 0
	s_delay_alu instid0(SALU_CYCLE_1)
	s_and_b32 vcc_lo, exec_lo, s15
	s_cbranch_vccz .LBB77_18
; %bb.1:
	s_add_i32 s4, s2, 1
	s_mov_b32 s5, 0
	s_delay_alu instid0(SALU_CYCLE_1) | instskip(SKIP_4) | instid1(SALU_CYCLE_1)
	s_lshl_b64 s[6:7], s[4:5], 2
	s_mov_b32 s3, s5
	s_add_u32 s6, s12, s6
	s_addc_u32 s7, s13, s7
	s_lshl_b64 s[8:9], s[2:3], 2
	s_add_u32 s8, s12, s8
	s_addc_u32 s9, s13, s9
	s_clause 0x1
	s_load_b32 s4, s[6:7], 0x0
	s_load_b32 s6, s[8:9], 0x0
	s_waitcnt lgkmcnt(0)
	s_sub_i32 s4, s4, s6
	s_delay_alu instid0(SALU_CYCLE_1)
	s_cmp_eq_u32 s4, 1
	s_cselect_b32 s4, -1, 0
	s_cbranch_execnz .LBB77_3
.LBB77_2:
	s_mov_b32 s3, 0
	s_mov_b32 s4, -1
.LBB77_3:
	s_delay_alu instid0(SALU_CYCLE_1)
	s_and_not1_b32 vcc_lo, exec_lo, s4
	s_cbranch_vccz .LBB77_5
; %bb.4:
	s_endpgm
.LBB77_5:
	s_clause 0x1
	s_load_b128 s[4:7], s[0:1], 0x18
	s_load_b32 s9, s[0:1], 0x30
	s_lshl_b64 s[16:17], s[2:3], 2
	s_waitcnt lgkmcnt(0)
	s_add_u32 s6, s6, s16
	s_addc_u32 s7, s7, s17
	s_load_b32 s20, s[6:7], 0x0
	s_load_b32 s33, s[0:1], 0x40
	s_mul_i32 s7, s2, s9
	s_waitcnt lgkmcnt(0)
	s_add_i32 s48, s20, 0xff
	s_delay_alu instid0(SALU_CYCLE_1) | instskip(NEXT) | instid1(SALU_CYCLE_1)
	s_ashr_i32 s6, s48, 31
	s_lshr_b32 s6, s6, 24
	s_delay_alu instid0(SALU_CYCLE_1) | instskip(SKIP_4) | instid1(SALU_CYCLE_1)
	s_add_i32 s8, s48, s6
	s_mul_i32 s6, s14, s9
	s_mov_b32 s9, exec_lo
	v_cmpx_lt_u32_e32 31, v0
	s_xor_b32 s9, exec_lo, s9
	s_or_saveexec_b32 s22, s9
	v_mov_b32_e32 v1, s6
	s_ashr_i32 s21, s8, 8
	s_mul_i32 s18, s7, s33
	s_xor_b32 exec_lo, exec_lo, s22
	s_cbranch_execz .LBB77_9
; %bb.6:
	s_load_b128 s[8:11], s[0:1], 0x8
	v_or_b32_e32 v2, 32, v0
	v_cmp_gt_i32_e32 vcc_lo, s21, v0
	s_add_i32 s23, s21, -1
	v_or_b32_e32 v4, 64, v0
	v_or_b32_e32 v6, 0x60, v0
	s_mov_b32 s19, 0
	v_cndmask_b32_e32 v1, s23, v0, vcc_lo
	v_cmp_gt_i32_e32 vcc_lo, s21, v2
	s_lshl_b64 s[24:25], s[18:19], 2
	s_mov_b32 s7, s19
	v_cndmask_b32_e32 v3, s23, v2, vcc_lo
	v_cmp_gt_i32_e32 vcc_lo, s21, v4
	v_ashrrev_i32_e32 v2, 31, v1
	v_cndmask_b32_e32 v5, s23, v4, vcc_lo
	v_cmp_gt_i32_e32 vcc_lo, s21, v6
	v_ashrrev_i32_e32 v4, 31, v3
	s_delay_alu instid0(VALU_DEP_4)
	v_lshlrev_b64 v[1:2], 2, v[1:2]
	s_waitcnt lgkmcnt(0)
	s_add_u32 s19, s10, s24
	v_cndmask_b32_e32 v7, s23, v6, vcc_lo
	s_addc_u32 s23, s11, s25
	s_lshl_b64 s[10:11], s[6:7], 2
	v_lshlrev_b64 v[3:4], 2, v[3:4]
	s_add_u32 s7, s19, s10
	v_ashrrev_i32_e32 v6, 31, v5
	s_addc_u32 s19, s23, s11
	v_add_co_u32 v9, vcc_lo, s7, v1
	v_add_co_ci_u32_e32 v10, vcc_lo, s19, v2, vcc_lo
	v_ashrrev_i32_e32 v8, 31, v7
	v_add_co_u32 v11, vcc_lo, s7, v3
	v_lshlrev_b64 v[5:6], 2, v[5:6]
	v_add_co_ci_u32_e32 v12, vcc_lo, s19, v4, vcc_lo
	s_delay_alu instid0(VALU_DEP_4)
	v_lshlrev_b64 v[7:8], 2, v[7:8]
	s_clause 0x1
	global_load_b32 v13, v[9:10], off
	global_load_b32 v14, v[11:12], off
	v_add_co_u32 v9, vcc_lo, s7, v5
	v_add_co_ci_u32_e32 v10, vcc_lo, s19, v6, vcc_lo
	v_add_co_u32 v11, vcc_lo, s7, v7
	v_add_co_ci_u32_e32 v12, vcc_lo, s19, v8, vcc_lo
	s_clause 0x1
	global_load_b32 v9, v[9:10], off
	global_load_b32 v10, v[11:12], off
	s_add_u32 s7, s8, s24
	s_addc_u32 s8, s9, s25
	s_add_u32 s7, s7, s10
	s_addc_u32 s8, s8, s11
	v_add_co_u32 v1, vcc_lo, s7, v1
	v_add_co_ci_u32_e32 v2, vcc_lo, s8, v2, vcc_lo
	v_add_co_u32 v3, vcc_lo, s7, v3
	v_add_co_ci_u32_e32 v4, vcc_lo, s8, v4, vcc_lo
	v_add_co_u32 v5, vcc_lo, s7, v5
	v_add_co_ci_u32_e32 v6, vcc_lo, s8, v6, vcc_lo
	s_clause 0x2
	global_load_b32 v11, v[1:2], off
	global_load_b32 v3, v[3:4], off
	;; [unrolled: 1-line block ×3, first 2 shown]
	v_add_co_u32 v1, vcc_lo, s7, v7
	v_add_co_ci_u32_e32 v2, vcc_lo, s8, v8, vcc_lo
	s_mov_b32 s7, exec_lo
	global_load_b32 v5, v[1:2], off
	v_mbcnt_lo_u32_b32 v1, -1, 0
	s_delay_alu instid0(VALU_DEP_1)
	v_xor_b32_e32 v2, 16, v1
	v_xor_b32_e32 v8, 8, v1
	;; [unrolled: 1-line block ×5, first 2 shown]
	v_cmp_gt_i32_e32 vcc_lo, 32, v2
	v_cndmask_b32_e32 v2, v1, v2, vcc_lo
	v_cmp_gt_i32_e32 vcc_lo, 32, v8
	s_delay_alu instid0(VALU_DEP_2) | instskip(SKIP_2) | instid1(VALU_DEP_2)
	v_lshlrev_b32_e32 v2, 2, v2
	v_cndmask_b32_e32 v8, v1, v8, vcc_lo
	v_cmp_gt_i32_e32 vcc_lo, 32, v12
	v_lshlrev_b32_e32 v8, 2, v8
	v_cndmask_b32_e32 v12, v1, v12, vcc_lo
	v_cmp_gt_i32_e32 vcc_lo, 32, v15
	s_delay_alu instid0(VALU_DEP_2) | instskip(SKIP_2) | instid1(VALU_DEP_1)
	v_dual_cndmask_b32 v15, v1, v15 :: v_dual_lshlrev_b32 v12, 2, v12
	v_cmp_gt_i32_e32 vcc_lo, 32, v16
	v_cndmask_b32_e32 v1, v1, v16, vcc_lo
	v_lshlrev_b32_e32 v16, 2, v1
	s_delay_alu instid0(VALU_DEP_4) | instskip(SKIP_2) | instid1(VALU_DEP_1)
	v_lshlrev_b32_e32 v15, 2, v15
	s_waitcnt vmcnt(6)
	v_dual_max_f32 v7, v13, v13 :: v_dual_max_f32 v6, v14, v14
	v_max_f32_e32 v6, v7, v6
	s_waitcnt vmcnt(4)
	s_delay_alu instid0(VALU_DEP_1) | instskip(SKIP_3) | instid1(VALU_DEP_1)
	v_max3_f32 v6, v6, v9, v10
	ds_bpermute_b32 v7, v2, v6
	s_waitcnt lgkmcnt(0)
	v_max_f32_e32 v7, v7, v7
	v_max_f32_e32 v6, v6, v7
	ds_bpermute_b32 v7, v8, v6
	s_waitcnt lgkmcnt(0)
	v_max_f32_e32 v7, v7, v7
	s_delay_alu instid0(VALU_DEP_1) | instskip(SKIP_3) | instid1(VALU_DEP_1)
	v_max_f32_e32 v6, v6, v7
	ds_bpermute_b32 v7, v12, v6
	s_waitcnt lgkmcnt(0)
	v_max_f32_e32 v7, v7, v7
	v_max_f32_e32 v6, v6, v7
	ds_bpermute_b32 v7, v15, v6
	s_waitcnt lgkmcnt(0)
	v_max_f32_e32 v7, v7, v7
	s_delay_alu instid0(VALU_DEP_1) | instskip(SKIP_3) | instid1(VALU_DEP_1)
	v_max_f32_e32 v1, v6, v7
	ds_bpermute_b32 v6, v16, v1
	s_waitcnt lgkmcnt(0)
	v_max_f32_e32 v6, v6, v6
	v_max_f32_e32 v1, v1, v6
	s_delay_alu instid0(VALU_DEP_1) | instskip(SKIP_1) | instid1(VALU_DEP_2)
	v_sub_f32_e32 v9, v9, v1
	v_sub_f32_e32 v7, v14, v1
	v_mul_f32_e32 v14, 0x3fb8aa3b, v9
	v_sub_f32_e32 v6, v13, v1
	v_sub_f32_e32 v1, v10, v1
	s_delay_alu instid0(VALU_DEP_3) | instskip(NEXT) | instid1(VALU_DEP_3)
	v_fma_f32 v22, 0x3fb8aa3b, v9, -v14
	v_mul_f32_e32 v10, 0x3fb8aa3b, v6
	v_rndne_f32_e32 v23, v14
	v_cmp_ngt_f32_e32 vcc_lo, 0xc2ce8ed0, v6
	s_delay_alu instid0(VALU_DEP_3) | instskip(SKIP_1) | instid1(VALU_DEP_2)
	v_fma_f32 v18, 0x3fb8aa3b, v6, -v10
	v_rndne_f32_e32 v19, v10
	v_fmac_f32_e32 v18, 0x32a5705f, v6
	s_delay_alu instid0(VALU_DEP_2) | instskip(NEXT) | instid1(VALU_DEP_1)
	v_sub_f32_e32 v10, v10, v19
	v_dual_mul_f32 v13, 0x3fb8aa3b, v7 :: v_dual_add_f32 v10, v10, v18
	s_delay_alu instid0(VALU_DEP_1) | instskip(SKIP_2) | instid1(VALU_DEP_4)
	v_fma_f32 v20, 0x3fb8aa3b, v7, -v13
	v_rndne_f32_e32 v21, v13
	v_cvt_i32_f32_e32 v18, v19
	v_exp_f32_e32 v10, v10
	s_delay_alu instid0(VALU_DEP_3) | instskip(SKIP_4) | instid1(VALU_DEP_4)
	v_fmac_f32_e32 v20, 0x32a5705f, v7
	v_mul_f32_e32 v17, 0x3fb8aa3b, v1
	v_sub_f32_e32 v13, v13, v21
	v_fmac_f32_e32 v22, 0x32a5705f, v9
	v_cvt_i32_f32_e32 v19, v21
	v_rndne_f32_e32 v25, v17
	s_delay_alu instid0(VALU_DEP_4) | instskip(SKIP_1) | instid1(TRANS32_DEP_1)
	v_dual_add_f32 v13, v13, v20 :: v_dual_sub_f32 v14, v14, v23
	v_fma_f32 v24, 0x3fb8aa3b, v1, -v17
	v_ldexp_f32 v10, v10, v18
	s_delay_alu instid0(VALU_DEP_4) | instskip(NEXT) | instid1(VALU_DEP_4)
	v_sub_f32_e32 v17, v17, v25
	v_exp_f32_e32 v13, v13
	v_add_f32_e32 v14, v14, v22
	v_cvt_i32_f32_e32 v20, v23
	v_sub_nc_u32_e32 v22, s21, v0
	v_cvt_i32_f32_e32 v21, v25
	s_delay_alu instid0(VALU_DEP_4)
	v_exp_f32_e32 v14, v14
	s_waitcnt_depctr 0xfff
	v_ldexp_f32 v13, v13, v19
	v_cndmask_b32_e32 v10, 0, v10, vcc_lo
	v_cmp_ngt_f32_e32 vcc_lo, 0xc2ce8ed0, v7
	v_ldexp_f32 v14, v14, v20
	s_delay_alu instid0(VALU_DEP_4) | instskip(SKIP_1) | instid1(VALU_DEP_3)
	v_cndmask_b32_e32 v13, 0, v13, vcc_lo
	v_cmp_ngt_f32_e32 vcc_lo, 0xc2ce8ed0, v9
	v_cndmask_b32_e32 v14, 0, v14, vcc_lo
	v_cmp_nlt_f32_e32 vcc_lo, 0x42b17218, v6
	v_cndmask_b32_e32 v6, 0x7f800000, v10, vcc_lo
	v_cmp_nlt_f32_e32 vcc_lo, 0x42b17218, v7
	v_cndmask_b32_e32 v7, 0x7f800000, v13, vcc_lo
	v_cmp_nlt_f32_e32 vcc_lo, 0x42b17218, v9
	v_cndmask_b32_e32 v9, 0x7f800000, v14, vcc_lo
	v_cmp_lt_i32_e32 vcc_lo, 0, v22
	v_cndmask_b32_e32 v6, 0, v6, vcc_lo
	v_cmp_lt_i32_e32 vcc_lo, 32, v22
	s_waitcnt vmcnt(3)
	s_delay_alu instid0(VALU_DEP_2) | instskip(SKIP_2) | instid1(VALU_DEP_2)
	v_mul_f32_e32 v6, v11, v6
	v_dual_fmac_f32 v24, 0x32a5705f, v1 :: v_dual_cndmask_b32 v7, 0, v7
	v_cmp_lt_i32_e32 vcc_lo, 64, v22
	v_add_f32_e32 v17, v17, v24
	s_waitcnt vmcnt(2)
	s_delay_alu instid0(VALU_DEP_3) | instskip(SKIP_3) | instid1(VALU_DEP_3)
	v_mul_f32_e32 v3, v3, v7
	v_cndmask_b32_e32 v9, 0, v9, vcc_lo
	v_cmp_ngt_f32_e32 vcc_lo, 0xc2ce8ed0, v1
	v_exp_f32_e32 v17, v17
	v_add_f32_e32 v7, v6, v3
	s_waitcnt_depctr 0xfff
	v_ldexp_f32 v17, v17, v21
	s_delay_alu instid0(VALU_DEP_1) | instskip(SKIP_2) | instid1(VALU_DEP_2)
	v_cndmask_b32_e32 v10, 0, v17, vcc_lo
	v_cmp_nlt_f32_e32 vcc_lo, 0x42b17218, v1
	s_waitcnt vmcnt(1)
	v_dual_mul_f32 v4, v4, v9 :: v_dual_cndmask_b32 v1, 0x7f800000, v10
	v_cmp_lt_i32_e32 vcc_lo, 0x60, v22
	s_delay_alu instid0(VALU_DEP_2) | instskip(NEXT) | instid1(VALU_DEP_3)
	v_cndmask_b32_e32 v9, 0, v1, vcc_lo
	v_add_f32_e32 v1, v7, v4
	v_lshlrev_b32_e32 v7, 2, v0
	s_waitcnt vmcnt(0)
	s_delay_alu instid0(VALU_DEP_2)
	v_fmac_f32_e32 v1, v5, v9
	v_mul_f32_e32 v5, v5, v9
	ds_store_2addr_b32 v7, v6, v3 offset1:32
	ds_store_2addr_b32 v7, v4, v5 offset0:64 offset1:96
	ds_bpermute_b32 v2, v2, v1
	s_waitcnt lgkmcnt(0)
	v_add_f32_e32 v1, v1, v2
	ds_bpermute_b32 v2, v8, v1
	s_waitcnt lgkmcnt(0)
	v_add_f32_e32 v1, v1, v2
	;; [unrolled: 3-line block ×4, first 2 shown]
	ds_bpermute_b32 v2, v16, v1
	v_cmpx_eq_u32_e32 0, v0
	s_cbranch_execz .LBB77_8
; %bb.7:
	s_waitcnt lgkmcnt(0)
	v_dual_add_f32 v1, v1, v2 :: v_dual_mov_b32 v2, 0
	ds_store_b32 v2, v1 offset:512
.LBB77_8:
	s_or_b32 exec_lo, exec_lo, s7
	v_mov_b32_e32 v1, s6
.LBB77_9:
	s_or_b32 exec_lo, exec_lo, s22
	s_lshl_b32 s6, s18, 6
	s_mov_b32 s7, 0
	s_waitcnt lgkmcnt(0)
	v_dual_mov_b32 v2, 0 :: v_dual_lshlrev_b32 v1, 6, v1
	s_lshl_b64 s[6:7], s[6:7], 1
	v_lshlrev_b32_e32 v0, 1, v0
	s_add_u32 s34, s4, s6
	s_addc_u32 s35, s5, s7
	s_lshl_b32 s4, s21, 6
	v_lshlrev_b64 v[3:4], 1, v[1:2]
	s_sub_i32 s49, s4, 64
	s_cmpk_lt_i32 s48, 0x100
	v_dual_mov_b32 v30, 0 :: v_dual_mov_b32 v33, 0
	s_cselect_b32 s4, s49, 0
	s_delay_alu instid0(VALU_DEP_2)
	v_add_co_u32 v1, vcc_lo, s34, v3
	s_ashr_i32 s5, s4, 31
	v_add_co_ci_u32_e32 v3, vcc_lo, s35, v4, vcc_lo
	s_lshl_b64 s[4:5], s[4:5], 1
	s_cmpk_lt_i32 s48, 0x200
	v_add_co_u32 v1, vcc_lo, v1, v0
	s_cselect_b32 s6, s49, 64
	v_add_co_ci_u32_e32 v3, vcc_lo, 0, v3, vcc_lo
	s_ashr_i32 s7, s6, 31
	s_delay_alu instid0(VALU_DEP_2)
	v_add_co_u32 v4, vcc_lo, v1, s4
	s_lshl_b64 s[6:7], s[6:7], 1
	s_cmpk_lt_i32 s48, 0x300
	v_add_co_ci_u32_e32 v5, vcc_lo, s5, v3, vcc_lo
	s_cselect_b32 s8, s49, 0x80
	v_add_co_u32 v8, vcc_lo, v1, s6
	s_ashr_i32 s9, s8, 31
	v_add_co_ci_u32_e32 v9, vcc_lo, s7, v3, vcc_lo
	s_lshl_b64 s[8:9], s[8:9], 1
	s_cmpk_lt_i32 s48, 0x400
	v_add_co_u32 v10, vcc_lo, v1, s8
	s_cselect_b32 s10, s49, 0xc0
	v_add_co_ci_u32_e32 v11, vcc_lo, s9, v3, vcc_lo
	s_ashr_i32 s11, s10, 31
	v_dual_mov_b32 v32, 0 :: v_dual_mov_b32 v35, 0
	s_lshl_b64 s[10:11], s[10:11], 1
	s_cmpk_lt_i32 s48, 0x500
	v_add_co_u32 v12, vcc_lo, v1, s10
	s_cselect_b32 s18, s49, 0x100
	v_add_co_ci_u32_e32 v13, vcc_lo, s11, v3, vcc_lo
	s_ashr_i32 s19, s18, 31
	v_mov_b32_e32 v34, 0
	s_lshl_b64 s[18:19], s[18:19], 1
	s_cmpk_lt_i32 s48, 0x600
	v_add_co_u32 v14, vcc_lo, v1, s18
	s_cselect_b32 s22, s49, 0x140
	v_add_co_ci_u32_e32 v15, vcc_lo, s19, v3, vcc_lo
	s_ashr_i32 s23, s22, 31
	v_mov_b32_e32 v29, 0
	;; [unrolled: 7-line block ×3, first 2 shown]
	s_lshl_b64 s[24:25], s[24:25], 1
	s_cmpk_lt_i32 s48, 0x800
	v_add_co_u32 v18, vcc_lo, v1, s24
	s_cselect_b32 s26, s49, 0x1c0
	v_add_co_ci_u32_e32 v19, vcc_lo, s25, v3, vcc_lo
	s_ashr_i32 s27, s26, 31
	s_delay_alu instid0(SALU_CYCLE_1)
	s_lshl_b64 s[26:27], s[26:27], 1
	s_cmpk_lt_i32 s48, 0x900
	v_add_co_u32 v20, vcc_lo, v1, s26
	s_cselect_b32 s28, s49, 0x200
	v_add_co_ci_u32_e32 v21, vcc_lo, s27, v3, vcc_lo
	s_ashr_i32 s29, s28, 31
	s_clause 0x7
	global_load_u16 v7, v[4:5], off
	global_load_u16 v8, v[8:9], off
	;; [unrolled: 1-line block ×8, first 2 shown]
	s_lshl_b64 s[28:29], s[28:29], 1
	s_cmpk_lt_i32 s48, 0xa00
	v_add_co_u32 v12, vcc_lo, v1, s28
	s_cselect_b32 s30, s49, 0x240
	v_add_co_ci_u32_e32 v13, vcc_lo, s29, v3, vcc_lo
	s_ashr_i32 s31, s30, 31
	s_delay_alu instid0(SALU_CYCLE_1)
	s_lshl_b64 s[30:31], s[30:31], 1
	s_cmpk_lt_i32 s48, 0xb00
	v_add_co_u32 v15, vcc_lo, v1, s30
	s_cselect_b32 s34, s49, 0x280
	v_add_co_ci_u32_e32 v16, vcc_lo, s31, v3, vcc_lo
	s_ashr_i32 s35, s34, 31
	s_delay_alu instid0(SALU_CYCLE_1)
	;; [unrolled: 7-line block ×7, first 2 shown]
	s_lshl_b64 s[4:5], s[6:7], 1
	s_cmpk_gt_i32 s20, 0x1000
	v_add_co_u32 v27, vcc_lo, v1, s4
	v_add_co_ci_u32_e32 v28, vcc_lo, s5, v3, vcc_lo
	s_clause 0x7
	global_load_u16 v14, v[12:13], off
	global_load_u16 v15, v[15:16], off
	;; [unrolled: 1-line block ×8, first 2 shown]
	v_dual_mov_b32 v20, 0 :: v_dual_mov_b32 v23, 0
	v_dual_mov_b32 v21, 0 :: v_dual_mov_b32 v22, 0
	;; [unrolled: 1-line block ×4, first 2 shown]
	v_mov_b32_e32 v28, 0
	s_cselect_b32 s8, -1, 0
	s_cmpk_lt_i32 s20, 0x1001
	s_waitcnt vmcnt(0)
	s_barrier
	buffer_gl0_inv
	s_cbranch_scc1 .LBB77_11
; %bb.10:
	s_cmpk_lt_i32 s48, 0x1100
	s_cselect_b32 s4, s49, 0x400
	s_delay_alu instid0(SALU_CYCLE_1) | instskip(NEXT) | instid1(SALU_CYCLE_1)
	s_ashr_i32 s5, s4, 31
	s_lshl_b64 s[4:5], s[4:5], 1
	s_cmpk_lt_i32 s48, 0x1200
	v_add_co_u32 v20, vcc_lo, v1, s4
	s_cselect_b32 s6, s49, 0x440
	v_add_co_ci_u32_e32 v21, vcc_lo, s5, v3, vcc_lo
	s_ashr_i32 s7, s6, 31
	s_delay_alu instid0(SALU_CYCLE_1)
	s_lshl_b64 s[6:7], s[6:7], 1
	s_cmpk_lt_i32 s48, 0x1300
	v_add_co_u32 v22, vcc_lo, v1, s6
	s_cselect_b32 s10, s49, 0x480
	v_add_co_ci_u32_e32 v23, vcc_lo, s7, v3, vcc_lo
	s_ashr_i32 s11, s10, 31
	s_delay_alu instid0(SALU_CYCLE_1)
	;; [unrolled: 7-line block ×7, first 2 shown]
	s_lshl_b64 s[26:27], s[26:27], 1
	s_cmpk_lt_i32 s48, 0x1900
	v_add_co_u32 v34, vcc_lo, v1, s26
	s_cselect_b32 s28, s49, 0x600
	v_add_co_ci_u32_e32 v35, vcc_lo, s27, v3, vcc_lo
	s_ashr_i32 s29, s28, 31
	s_clause 0x7
	global_load_u16 v36, v[20:21], off
	global_load_u16 v37, v[22:23], off
	;; [unrolled: 1-line block ×8, first 2 shown]
	s_lshl_b64 s[28:29], s[28:29], 1
	s_cmpk_lt_i32 s48, 0x1a00
	v_add_co_u32 v20, vcc_lo, v1, s28
	s_cselect_b32 s30, s49, 0x640
	v_add_co_ci_u32_e32 v21, vcc_lo, s29, v3, vcc_lo
	s_ashr_i32 s31, s30, 31
	s_delay_alu instid0(SALU_CYCLE_1)
	s_lshl_b64 s[30:31], s[30:31], 1
	s_cmpk_lt_i32 s48, 0x1b00
	v_add_co_u32 v22, vcc_lo, v1, s30
	s_cselect_b32 s34, s49, 0x680
	v_add_co_ci_u32_e32 v23, vcc_lo, s31, v3, vcc_lo
	s_ashr_i32 s35, s34, 31
	s_delay_alu instid0(SALU_CYCLE_1)
	;; [unrolled: 7-line block ×6, first 2 shown]
	s_lshl_b64 s[4:5], s[20:21], 1
	s_cmpk_lt_i32 s48, 0x2000
	v_add_co_u32 v32, vcc_lo, v1, s4
	s_cselect_b32 s6, s49, 0x7c0
	v_add_co_ci_u32_e32 v33, vcc_lo, s5, v3, vcc_lo
	s_ashr_i32 s7, s6, 31
	s_delay_alu instid0(SALU_CYCLE_1) | instskip(NEXT) | instid1(SALU_CYCLE_1)
	s_lshl_b64 s[4:5], s[6:7], 1
	v_add_co_u32 v34, vcc_lo, v1, s4
	v_add_co_ci_u32_e32 v35, vcc_lo, s5, v3, vcc_lo
	s_clause 0x7
	global_load_u16 v20, v[20:21], off
	global_load_u16 v21, v[22:23], off
	global_load_u16 v22, v[24:25], off
	global_load_u16 v23, v[26:27], off
	global_load_u16 v44, v[28:29], off
	global_load_u16 v45, v[30:31], off
	global_load_u16 v46, v[32:33], off
	global_load_u16 v47, v[34:35], off
	s_waitcnt vmcnt(15)
	v_cvt_f32_f16_e32 v35, v36
	s_waitcnt vmcnt(14)
	v_cvt_f32_f16_e32 v34, v37
	;; [unrolled: 2-line block ×16, first 2 shown]
.LBB77_11:
	ds_load_b128 v[36:39], v2
	ds_load_b128 v[40:43], v2 offset:16
	s_and_not1_b32 vcc_lo, exec_lo, s8
	s_waitcnt lgkmcnt(1)
	v_fma_mix_f32 v7, v36, v7, 0 op_sel_hi:[0,1,0]
	s_delay_alu instid0(VALU_DEP_1) | instskip(NEXT) | instid1(VALU_DEP_1)
	v_fma_mix_f32 v7, v37, v8, v7 op_sel_hi:[0,1,0]
	v_fma_mix_f32 v7, v38, v9, v7 op_sel_hi:[0,1,0]
	s_delay_alu instid0(VALU_DEP_1)
	v_fma_mix_f32 v7, v39, v10, v7 op_sel_hi:[0,1,0]
	ds_load_b128 v[36:39], v2 offset:48
	s_waitcnt lgkmcnt(1)
	v_fma_mix_f32 v11, v40, v11, v7 op_sel_hi:[0,1,0]
	ds_load_b128 v[7:10], v2 offset:32
	v_fma_mix_f32 v4, v41, v4, v11 op_sel_hi:[0,1,0]
	s_delay_alu instid0(VALU_DEP_1) | instskip(NEXT) | instid1(VALU_DEP_1)
	v_fma_mix_f32 v4, v42, v5, v4 op_sel_hi:[0,1,0]
	v_fma_mix_f32 v4, v43, v6, v4 op_sel_hi:[0,1,0]
	s_waitcnt lgkmcnt(0)
	s_delay_alu instid0(VALU_DEP_1) | instskip(NEXT) | instid1(VALU_DEP_1)
	v_fma_mix_f32 v4, v7, v14, v4 op_sel_hi:[0,1,0]
	v_fma_mix_f32 v4, v8, v15, v4 op_sel_hi:[0,1,0]
	s_delay_alu instid0(VALU_DEP_1) | instskip(NEXT) | instid1(VALU_DEP_1)
	v_fma_mix_f32 v4, v9, v16, v4 op_sel_hi:[0,1,0]
	v_fma_mix_f32 v4, v10, v17, v4 op_sel_hi:[0,1,0]
	;; [unrolled: 3-line block ×4, first 2 shown]
	s_cbranch_vccz .LBB77_19
; %bb.12:
	s_cmpk_lt_i32 s48, 0x2100
	s_cbranch_scc0 .LBB77_20
.LBB77_13:
	s_cmpk_lt_i32 s48, 0x4100
	s_cbranch_scc0 .LBB77_21
.LBB77_14:
	s_load_b64 s[0:1], s[0:1], 0x0
	s_cmpk_lt_i32 s48, 0x6100
	s_cbranch_scc0 .LBB77_22
.LBB77_15:
	v_mov_b32_e32 v1, 0
	s_and_not1_b32 vcc_lo, exec_lo, s15
	ds_load_b32 v1, v1 offset:512
	s_cbranch_vccnz .LBB77_17
.LBB77_16:
	s_add_u32 s2, s12, s16
	s_addc_u32 s3, s13, s17
	s_load_b32 s2, s[2:3], 0x0
	s_mov_b32 s3, 0
.LBB77_17:
	s_waitcnt lgkmcnt(0)
	v_add_f32_e32 v1, 0x358637bd, v1
	s_mul_i32 s3, s33, s3
	s_mul_hi_u32 s4, s33, s2
	s_mul_i32 s2, s33, s2
	s_add_i32 s3, s4, s3
	v_div_scale_f32 v2, null, v1, v1, 1.0
	s_lshl_b64 s[2:3], s[2:3], 7
	s_mov_b32 s15, 0
	s_add_u32 s2, s0, s2
	s_delay_alu instid0(VALU_DEP_1) | instskip(SKIP_2) | instid1(SALU_CYCLE_1)
	v_rcp_f32_e32 v3, v2
	s_addc_u32 s3, s1, s3
	s_lshl_b64 s[0:1], s[14:15], 7
	s_add_u32 s0, s2, s0
	s_addc_u32 s1, s3, s1
	s_waitcnt_depctr 0xfff
	v_fma_f32 v5, -v2, v3, 1.0
	s_delay_alu instid0(VALU_DEP_1) | instskip(SKIP_1) | instid1(VALU_DEP_1)
	v_fmac_f32_e32 v3, v5, v3
	v_div_scale_f32 v5, vcc_lo, 1.0, v1, 1.0
	v_mul_f32_e32 v6, v5, v3
	s_delay_alu instid0(VALU_DEP_1) | instskip(NEXT) | instid1(VALU_DEP_1)
	v_fma_f32 v7, -v2, v6, v5
	v_fmac_f32_e32 v6, v7, v3
	s_delay_alu instid0(VALU_DEP_1) | instskip(NEXT) | instid1(VALU_DEP_1)
	v_fma_f32 v2, -v2, v6, v5
	v_div_fmas_f32 v2, v2, v3, v6
	s_delay_alu instid0(VALU_DEP_1) | instskip(NEXT) | instid1(VALU_DEP_1)
	v_div_fixup_f32 v1, v2, v1, 1.0
	v_fma_mixlo_f16 v1, v4, v1, 0
	global_store_b16 v0, v1, s[0:1]
	s_nop 0
	s_sendmsg sendmsg(MSG_DEALLOC_VGPRS)
	s_endpgm
.LBB77_18:
	s_mov_b32 s4, 0
	s_branch .LBB77_2
.LBB77_19:
	ds_load_b128 v[5:8], v2 offset:64
	ds_load_b128 v[9:12], v2 offset:80
	s_waitcnt lgkmcnt(1)
	v_fmac_f32_e32 v4, v5, v35
	s_delay_alu instid0(VALU_DEP_1) | instskip(NEXT) | instid1(VALU_DEP_1)
	v_fmac_f32_e32 v4, v6, v34
	v_fmac_f32_e32 v4, v7, v33
	s_delay_alu instid0(VALU_DEP_1) | instskip(SKIP_3) | instid1(VALU_DEP_1)
	v_fmac_f32_e32 v4, v8, v32
	ds_load_b128 v[5:8], v2 offset:96
	s_waitcnt lgkmcnt(1)
	v_fmac_f32_e32 v4, v9, v31
	v_fmac_f32_e32 v4, v10, v30
	s_delay_alu instid0(VALU_DEP_1) | instskip(NEXT) | instid1(VALU_DEP_1)
	v_fmac_f32_e32 v4, v11, v29
	v_fmac_f32_e32 v4, v12, v28
	ds_load_b128 v[9:12], v2 offset:112
	s_waitcnt lgkmcnt(1)
	v_fmac_f32_e32 v4, v5, v27
	s_delay_alu instid0(VALU_DEP_1) | instskip(NEXT) | instid1(VALU_DEP_1)
	v_fmac_f32_e32 v4, v6, v26
	v_fmac_f32_e32 v4, v7, v25
	s_delay_alu instid0(VALU_DEP_1) | instskip(SKIP_1) | instid1(VALU_DEP_1)
	v_fmac_f32_e32 v4, v8, v24
	s_waitcnt lgkmcnt(0)
	v_fmac_f32_e32 v4, v9, v23
	s_delay_alu instid0(VALU_DEP_1) | instskip(NEXT) | instid1(VALU_DEP_1)
	v_fmac_f32_e32 v4, v10, v22
	v_fmac_f32_e32 v4, v11, v21
	s_delay_alu instid0(VALU_DEP_1)
	v_fmac_f32_e32 v4, v12, v20
	s_cmpk_lt_i32 s48, 0x2100
	s_cbranch_scc1 .LBB77_13
.LBB77_20:
	s_cmpk_lt_u32 s48, 0x2200
	v_add_co_u32 v5, vcc_lo, 0x1000, v1
	s_cselect_b32 s4, s49, 0x840
	v_add_co_ci_u32_e32 v6, vcc_lo, 0, v3, vcc_lo
	s_ashr_i32 s5, s4, 31
	v_mov_b32_e32 v44, 0
	s_lshl_b64 s[4:5], s[4:5], 1
	s_cmpk_lt_u32 s48, 0x2300
	v_add_co_u32 v7, vcc_lo, v1, s4
	s_cselect_b32 s6, s49, 0x880
	v_add_co_ci_u32_e32 v8, vcc_lo, s5, v3, vcc_lo
	s_ashr_i32 s7, s6, 31
	s_delay_alu instid0(SALU_CYCLE_1)
	s_lshl_b64 s[6:7], s[6:7], 1
	s_cmpk_lt_u32 s48, 0x2400
	v_add_co_u32 v9, vcc_lo, v1, s6
	s_cselect_b32 s8, s49, 0x8c0
	v_add_co_ci_u32_e32 v10, vcc_lo, s7, v3, vcc_lo
	s_ashr_i32 s9, s8, 31
	s_delay_alu instid0(SALU_CYCLE_1)
	;; [unrolled: 7-line block ×6, first 2 shown]
	s_lshl_b64 s[26:27], s[18:19], 1
	s_cmpk_lt_u32 s48, 0x2900
	v_add_co_u32 v19, vcc_lo, v1, s26
	s_cselect_b32 s18, s49, 0xa00
	v_add_co_ci_u32_e32 v20, vcc_lo, s27, v3, vcc_lo
	s_ashr_i32 s19, s18, 31
	s_clause 0x7
	global_load_u16 v2, v[5:6], off
	global_load_u16 v21, v[7:8], off
	;; [unrolled: 1-line block ×8, first 2 shown]
	s_lshl_b64 s[18:19], s[18:19], 1
	s_cmpk_lt_u32 s48, 0x2a00
	v_add_co_u32 v5, vcc_lo, v1, s18
	s_cselect_b32 s24, s49, 0xa40
	v_add_co_ci_u32_e32 v6, vcc_lo, s19, v3, vcc_lo
	s_ashr_i32 s25, s24, 31
	s_delay_alu instid0(SALU_CYCLE_1)
	s_lshl_b64 s[24:25], s[24:25], 1
	s_cmpk_lt_u32 s48, 0x2b00
	v_add_co_u32 v7, vcc_lo, v1, s24
	s_cselect_b32 s28, s49, 0xa80
	v_add_co_ci_u32_e32 v8, vcc_lo, s25, v3, vcc_lo
	s_ashr_i32 s29, s28, 31
	s_delay_alu instid0(SALU_CYCLE_1)
	;; [unrolled: 7-line block ×7, first 2 shown]
	s_lshl_b64 s[44:45], s[36:37], 1
	s_cmpk_lt_u32 s48, 0x3100
	v_add_co_u32 v19, vcc_lo, v1, s44
	s_cselect_b32 s36, s49, 0xc00
	v_add_co_ci_u32_e32 v20, vcc_lo, s45, v3, vcc_lo
	s_ashr_i32 s37, s36, 31
	s_clause 0x7
	global_load_u16 v28, v[5:6], off
	global_load_u16 v29, v[7:8], off
	global_load_u16 v30, v[9:10], off
	global_load_u16 v31, v[11:12], off
	global_load_u16 v32, v[13:14], off
	global_load_u16 v33, v[15:16], off
	global_load_u16 v17, v[17:18], off
	global_load_u16 v18, v[19:20], off
	s_lshl_b64 s[36:37], s[36:37], 1
	s_cmpk_lt_u32 s48, 0x3200
	v_add_co_u32 v5, vcc_lo, v1, s36
	s_cselect_b32 s42, s49, 0xc40
	v_add_co_ci_u32_e32 v6, vcc_lo, s37, v3, vcc_lo
	s_ashr_i32 s43, s42, 31
	s_delay_alu instid0(SALU_CYCLE_1)
	s_lshl_b64 s[42:43], s[42:43], 1
	s_cmpk_lt_u32 s48, 0x3300
	v_add_co_u32 v7, vcc_lo, v1, s42
	s_cselect_b32 s46, s49, 0xc80
	v_add_co_ci_u32_e32 v8, vcc_lo, s43, v3, vcc_lo
	s_ashr_i32 s47, s46, 31
	s_delay_alu instid0(SALU_CYCLE_1)
	;; [unrolled: 7-line block ×5, first 2 shown]
	s_lshl_b64 s[8:9], s[8:9], 1
	s_cmpk_lt_u32 s48, 0x3700
	v_add_co_u32 v15, vcc_lo, v1, s8
	s_cselect_b32 s10, s49, 0xd80
	v_add_co_ci_u32_e32 v16, vcc_lo, s9, v3, vcc_lo
	s_ashr_i32 s11, s10, 31
	s_clause 0x5
	global_load_u16 v19, v[5:6], off
	global_load_u16 v20, v[7:8], off
	;; [unrolled: 1-line block ×6, first 2 shown]
	s_lshl_b64 s[10:11], s[10:11], 1
	s_cmpk_lt_u32 s48, 0x3800
	v_add_co_u32 v5, vcc_lo, v1, s10
	s_cselect_b32 s18, s49, 0xdc0
	v_add_co_ci_u32_e32 v6, vcc_lo, s11, v3, vcc_lo
	s_ashr_i32 s19, s18, 31
	s_delay_alu instid0(SALU_CYCLE_1)
	s_lshl_b64 s[18:19], s[18:19], 1
	s_cmpk_lt_u32 s48, 0x3900
	v_add_co_u32 v7, vcc_lo, v1, s18
	s_cselect_b32 s20, s49, 0xe00
	v_add_co_ci_u32_e32 v8, vcc_lo, s19, v3, vcc_lo
	s_ashr_i32 s21, s20, 31
	global_load_u16 v16, v[5:6], off
	s_lshl_b64 s[20:21], s[20:21], 1
	global_load_u16 v37, v[7:8], off
	s_cmpk_lt_u32 s48, 0x3a00
	v_add_co_u32 v9, vcc_lo, v1, s20
	s_cselect_b32 s22, s49, 0xe40
	v_add_co_ci_u32_e32 v10, vcc_lo, s21, v3, vcc_lo
	s_ashr_i32 s23, s22, 31
	s_delay_alu instid0(SALU_CYCLE_1)
	s_lshl_b64 s[22:23], s[22:23], 1
	s_cmpk_lt_u32 s48, 0x3b00
	v_add_co_u32 v11, vcc_lo, v1, s22
	s_cselect_b32 s4, s49, 0xe80
	v_add_co_ci_u32_e32 v12, vcc_lo, s23, v3, vcc_lo
	s_ashr_i32 s5, s4, 31
	s_delay_alu instid0(SALU_CYCLE_1)
	s_lshl_b64 s[4:5], s[4:5], 1
	s_cmpk_lt_u32 s48, 0x3c00
	v_add_co_u32 v13, vcc_lo, v1, s4
	s_cselect_b32 s6, s49, 0xec0
	v_add_co_ci_u32_e32 v14, vcc_lo, s5, v3, vcc_lo
	s_ashr_i32 s7, s6, 31
	s_clause 0x2
	global_load_u16 v38, v[9:10], off
	global_load_u16 v39, v[11:12], off
	;; [unrolled: 1-line block ×3, first 2 shown]
	s_lshl_b64 s[6:7], s[6:7], 1
	s_cmpk_lt_u32 s48, 0x3d00
	v_add_co_u32 v5, vcc_lo, v1, s6
	s_cselect_b32 s8, s49, 0xf00
	v_add_co_ci_u32_e32 v6, vcc_lo, s7, v3, vcc_lo
	s_ashr_i32 s9, s8, 31
	s_delay_alu instid0(SALU_CYCLE_1)
	s_lshl_b64 s[4:5], s[8:9], 1
	s_cmpk_lt_u32 s48, 0x3e00
	v_add_co_u32 v7, vcc_lo, v1, s4
	s_cselect_b32 s8, s49, 0xf40
	v_add_co_ci_u32_e32 v8, vcc_lo, s5, v3, vcc_lo
	s_ashr_i32 s9, s8, 31
	global_load_u16 v14, v[5:6], off
	s_lshl_b64 s[8:9], s[8:9], 1
	s_cmpk_lt_u32 s48, 0x3f00
	v_add_co_u32 v9, vcc_lo, v1, s8
	s_cselect_b32 s6, s49, 0xf80
	v_add_co_ci_u32_e32 v10, vcc_lo, s9, v3, vcc_lo
	s_ashr_i32 s7, s6, 31
	s_clause 0x1
	global_load_u16 v40, v[7:8], off
	global_load_u16 v41, v[9:10], off
	s_lshl_b64 s[4:5], s[6:7], 1
	s_cmpk_lt_u32 s48, 0x4000
	v_add_co_u32 v5, vcc_lo, v1, s4
	s_cselect_b32 s6, s49, 0xfc0
	v_add_co_ci_u32_e32 v6, vcc_lo, s5, v3, vcc_lo
	s_ashr_i32 s7, s6, 31
	s_delay_alu instid0(SALU_CYCLE_1) | instskip(NEXT) | instid1(SALU_CYCLE_1)
	s_lshl_b64 s[4:5], s[6:7], 1
	v_add_co_u32 v7, vcc_lo, v1, s4
	v_add_co_ci_u32_e32 v8, vcc_lo, s5, v3, vcc_lo
	s_clause 0x1
	global_load_u16 v42, v[5:6], off
	global_load_u16 v43, v[7:8], off
	ds_load_b128 v[5:8], v44 offset:128
	ds_load_b128 v[9:12], v44 offset:144
	s_waitcnt vmcnt(31) lgkmcnt(1)
	v_fma_mix_f32 v2, v5, v2, v4 op_sel_hi:[0,1,0]
	s_waitcnt vmcnt(30)
	s_delay_alu instid0(VALU_DEP_1) | instskip(SKIP_1) | instid1(VALU_DEP_1)
	v_fma_mix_f32 v2, v6, v21, v2 op_sel_hi:[0,1,0]
	s_waitcnt vmcnt(29)
	v_fma_mix_f32 v2, v7, v22, v2 op_sel_hi:[0,1,0]
	ds_load_b128 v[4:7], v44 offset:160
	s_waitcnt vmcnt(28)
	v_fma_mix_f32 v2, v8, v23, v2 op_sel_hi:[0,1,0]
	s_waitcnt vmcnt(27) lgkmcnt(1)
	s_delay_alu instid0(VALU_DEP_1) | instskip(SKIP_1) | instid1(VALU_DEP_1)
	v_fma_mix_f32 v2, v9, v24, v2 op_sel_hi:[0,1,0]
	s_waitcnt vmcnt(26)
	v_fma_mix_f32 v2, v10, v25, v2 op_sel_hi:[0,1,0]
	s_waitcnt vmcnt(25)
	s_delay_alu instid0(VALU_DEP_1) | instskip(SKIP_4) | instid1(VALU_DEP_1)
	v_fma_mix_f32 v2, v11, v26, v2 op_sel_hi:[0,1,0]
	ds_load_b128 v[8:11], v44 offset:176
	s_waitcnt vmcnt(24)
	v_fma_mix_f32 v2, v12, v27, v2 op_sel_hi:[0,1,0]
	s_waitcnt vmcnt(23) lgkmcnt(1)
	v_fma_mix_f32 v2, v4, v28, v2 op_sel_hi:[0,1,0]
	s_waitcnt vmcnt(22)
	s_delay_alu instid0(VALU_DEP_1) | instskip(SKIP_1) | instid1(VALU_DEP_1)
	v_fma_mix_f32 v2, v5, v29, v2 op_sel_hi:[0,1,0]
	s_waitcnt vmcnt(21)
	v_fma_mix_f32 v2, v6, v30, v2 op_sel_hi:[0,1,0]
	s_waitcnt vmcnt(20)
	s_delay_alu instid0(VALU_DEP_1) | instskip(SKIP_4) | instid1(VALU_DEP_1)
	v_fma_mix_f32 v2, v7, v31, v2 op_sel_hi:[0,1,0]
	ds_load_b128 v[4:7], v44 offset:192
	s_waitcnt vmcnt(19) lgkmcnt(1)
	v_fma_mix_f32 v2, v8, v32, v2 op_sel_hi:[0,1,0]
	s_waitcnt vmcnt(18)
	v_fma_mix_f32 v2, v9, v33, v2 op_sel_hi:[0,1,0]
	s_waitcnt vmcnt(17)
	s_delay_alu instid0(VALU_DEP_1) | instskip(SKIP_1) | instid1(VALU_DEP_1)
	v_fma_mix_f32 v2, v10, v17, v2 op_sel_hi:[0,1,0]
	s_waitcnt vmcnt(16)
	v_fma_mix_f32 v2, v11, v18, v2 op_sel_hi:[0,1,0]
	ds_load_b128 v[8:11], v44 offset:208
	s_waitcnt vmcnt(15) lgkmcnt(1)
	v_fma_mix_f32 v2, v4, v19, v2 op_sel_hi:[0,1,0]
	s_waitcnt vmcnt(14)
	s_delay_alu instid0(VALU_DEP_1) | instskip(SKIP_1) | instid1(VALU_DEP_1)
	v_fma_mix_f32 v2, v5, v20, v2 op_sel_hi:[0,1,0]
	s_waitcnt vmcnt(13)
	v_fma_mix_f32 v2, v6, v34, v2 op_sel_hi:[0,1,0]
	s_waitcnt vmcnt(12)
	s_delay_alu instid0(VALU_DEP_1) | instskip(SKIP_4) | instid1(VALU_DEP_1)
	v_fma_mix_f32 v2, v7, v35, v2 op_sel_hi:[0,1,0]
	ds_load_b128 v[4:7], v44 offset:224
	s_waitcnt vmcnt(11) lgkmcnt(1)
	v_fma_mix_f32 v2, v8, v36, v2 op_sel_hi:[0,1,0]
	s_waitcnt vmcnt(10)
	v_fma_mix_f32 v2, v9, v15, v2 op_sel_hi:[0,1,0]
	s_waitcnt vmcnt(9)
	s_delay_alu instid0(VALU_DEP_1) | instskip(SKIP_1) | instid1(VALU_DEP_1)
	v_fma_mix_f32 v2, v10, v16, v2 op_sel_hi:[0,1,0]
	s_waitcnt vmcnt(8)
	v_fma_mix_f32 v2, v11, v37, v2 op_sel_hi:[0,1,0]
	ds_load_b128 v[8:11], v44 offset:240
	s_waitcnt vmcnt(7) lgkmcnt(1)
	v_fma_mix_f32 v2, v4, v38, v2 op_sel_hi:[0,1,0]
	s_waitcnt vmcnt(6)
	s_delay_alu instid0(VALU_DEP_1) | instskip(SKIP_1) | instid1(VALU_DEP_1)
	v_fma_mix_f32 v2, v5, v39, v2 op_sel_hi:[0,1,0]
	s_waitcnt vmcnt(5)
	v_fma_mix_f32 v2, v6, v13, v2 op_sel_hi:[0,1,0]
	s_waitcnt vmcnt(4)
	s_delay_alu instid0(VALU_DEP_1) | instskip(SKIP_1) | instid1(VALU_DEP_1)
	v_fma_mix_f32 v2, v7, v14, v2 op_sel_hi:[0,1,0]
	s_waitcnt vmcnt(3) lgkmcnt(0)
	v_fma_mix_f32 v2, v8, v40, v2 op_sel_hi:[0,1,0]
	s_waitcnt vmcnt(2)
	s_delay_alu instid0(VALU_DEP_1) | instskip(SKIP_1) | instid1(VALU_DEP_1)
	v_fma_mix_f32 v2, v9, v41, v2 op_sel_hi:[0,1,0]
	s_waitcnt vmcnt(1)
	v_fma_mix_f32 v2, v10, v42, v2 op_sel_hi:[0,1,0]
	s_waitcnt vmcnt(0)
	s_delay_alu instid0(VALU_DEP_1)
	v_fma_mix_f32 v4, v11, v43, v2 op_sel_hi:[0,1,0]
	s_cmpk_lt_i32 s48, 0x4100
	s_cbranch_scc1 .LBB77_14
.LBB77_21:
	s_cmpk_lt_u32 s48, 0x4200
	v_add_co_u32 v5, vcc_lo, 0x2000, v1
	s_cselect_b32 s4, s49, 0x1040
	v_add_co_ci_u32_e32 v6, vcc_lo, 0, v3, vcc_lo
	s_ashr_i32 s5, s4, 31
	v_mov_b32_e32 v44, 0
	s_lshl_b64 s[4:5], s[4:5], 1
	s_cmpk_lt_u32 s48, 0x4300
	v_add_co_u32 v7, vcc_lo, v1, s4
	s_cselect_b32 s6, s49, 0x1080
	v_add_co_ci_u32_e32 v8, vcc_lo, s5, v3, vcc_lo
	s_ashr_i32 s7, s6, 31
	s_delay_alu instid0(SALU_CYCLE_1)
	s_lshl_b64 s[6:7], s[6:7], 1
	s_cmpk_lt_u32 s48, 0x4400
	v_add_co_u32 v9, vcc_lo, v1, s6
	s_cselect_b32 s8, s49, 0x10c0
	v_add_co_ci_u32_e32 v10, vcc_lo, s7, v3, vcc_lo
	s_ashr_i32 s9, s8, 31
	s_delay_alu instid0(SALU_CYCLE_1)
	;; [unrolled: 7-line block ×6, first 2 shown]
	s_lshl_b64 s[26:27], s[18:19], 1
	s_cmpk_lt_u32 s48, 0x4900
	v_add_co_u32 v19, vcc_lo, v1, s26
	s_cselect_b32 s18, s49, 0x1200
	v_add_co_ci_u32_e32 v20, vcc_lo, s27, v3, vcc_lo
	s_ashr_i32 s19, s18, 31
	s_clause 0x7
	global_load_u16 v2, v[5:6], off
	global_load_u16 v21, v[7:8], off
	;; [unrolled: 1-line block ×8, first 2 shown]
	s_lshl_b64 s[18:19], s[18:19], 1
	s_cmpk_lt_u32 s48, 0x4a00
	v_add_co_u32 v5, vcc_lo, v1, s18
	s_cselect_b32 s24, s49, 0x1240
	v_add_co_ci_u32_e32 v6, vcc_lo, s19, v3, vcc_lo
	s_ashr_i32 s25, s24, 31
	s_delay_alu instid0(SALU_CYCLE_1)
	s_lshl_b64 s[24:25], s[24:25], 1
	s_cmpk_lt_u32 s48, 0x4b00
	v_add_co_u32 v7, vcc_lo, v1, s24
	s_cselect_b32 s28, s49, 0x1280
	v_add_co_ci_u32_e32 v8, vcc_lo, s25, v3, vcc_lo
	s_ashr_i32 s29, s28, 31
	s_delay_alu instid0(SALU_CYCLE_1)
	;; [unrolled: 7-line block ×7, first 2 shown]
	s_lshl_b64 s[44:45], s[36:37], 1
	s_cmpk_lt_u32 s48, 0x5100
	v_add_co_u32 v19, vcc_lo, v1, s44
	s_cselect_b32 s36, s49, 0x1400
	v_add_co_ci_u32_e32 v20, vcc_lo, s45, v3, vcc_lo
	s_ashr_i32 s37, s36, 31
	s_clause 0x7
	global_load_u16 v28, v[5:6], off
	global_load_u16 v29, v[7:8], off
	;; [unrolled: 1-line block ×8, first 2 shown]
	s_lshl_b64 s[36:37], s[36:37], 1
	s_cmpk_lt_u32 s48, 0x5200
	v_add_co_u32 v5, vcc_lo, v1, s36
	s_cselect_b32 s42, s49, 0x1440
	v_add_co_ci_u32_e32 v6, vcc_lo, s37, v3, vcc_lo
	s_ashr_i32 s43, s42, 31
	s_delay_alu instid0(SALU_CYCLE_1)
	s_lshl_b64 s[42:43], s[42:43], 1
	s_cmpk_lt_u32 s48, 0x5300
	v_add_co_u32 v7, vcc_lo, v1, s42
	s_cselect_b32 s46, s49, 0x1480
	v_add_co_ci_u32_e32 v8, vcc_lo, s43, v3, vcc_lo
	s_ashr_i32 s47, s46, 31
	s_delay_alu instid0(SALU_CYCLE_1)
	;; [unrolled: 7-line block ×5, first 2 shown]
	s_lshl_b64 s[8:9], s[8:9], 1
	s_cmpk_lt_u32 s48, 0x5700
	v_add_co_u32 v15, vcc_lo, v1, s8
	s_cselect_b32 s10, s49, 0x1580
	v_add_co_ci_u32_e32 v16, vcc_lo, s9, v3, vcc_lo
	s_ashr_i32 s11, s10, 31
	s_clause 0x5
	global_load_u16 v19, v[5:6], off
	global_load_u16 v20, v[7:8], off
	;; [unrolled: 1-line block ×6, first 2 shown]
	s_lshl_b64 s[10:11], s[10:11], 1
	s_cmpk_lt_u32 s48, 0x5800
	v_add_co_u32 v5, vcc_lo, v1, s10
	s_cselect_b32 s18, s49, 0x15c0
	v_add_co_ci_u32_e32 v6, vcc_lo, s11, v3, vcc_lo
	s_ashr_i32 s19, s18, 31
	s_delay_alu instid0(SALU_CYCLE_1)
	s_lshl_b64 s[18:19], s[18:19], 1
	s_cmpk_lt_u32 s48, 0x5900
	v_add_co_u32 v7, vcc_lo, v1, s18
	s_cselect_b32 s20, s49, 0x1600
	v_add_co_ci_u32_e32 v8, vcc_lo, s19, v3, vcc_lo
	s_ashr_i32 s21, s20, 31
	global_load_u16 v16, v[5:6], off
	s_lshl_b64 s[20:21], s[20:21], 1
	global_load_u16 v37, v[7:8], off
	s_cmpk_lt_u32 s48, 0x5a00
	v_add_co_u32 v9, vcc_lo, v1, s20
	s_cselect_b32 s22, s49, 0x1640
	v_add_co_ci_u32_e32 v10, vcc_lo, s21, v3, vcc_lo
	s_ashr_i32 s23, s22, 31
	s_delay_alu instid0(SALU_CYCLE_1)
	s_lshl_b64 s[22:23], s[22:23], 1
	s_cmpk_lt_u32 s48, 0x5b00
	v_add_co_u32 v11, vcc_lo, v1, s22
	s_cselect_b32 s4, s49, 0x1680
	v_add_co_ci_u32_e32 v12, vcc_lo, s23, v3, vcc_lo
	s_ashr_i32 s5, s4, 31
	s_delay_alu instid0(SALU_CYCLE_1)
	s_lshl_b64 s[4:5], s[4:5], 1
	s_cmpk_lt_u32 s48, 0x5c00
	v_add_co_u32 v13, vcc_lo, v1, s4
	s_cselect_b32 s6, s49, 0x16c0
	v_add_co_ci_u32_e32 v14, vcc_lo, s5, v3, vcc_lo
	s_ashr_i32 s7, s6, 31
	s_clause 0x2
	global_load_u16 v38, v[9:10], off
	global_load_u16 v39, v[11:12], off
	;; [unrolled: 1-line block ×3, first 2 shown]
	s_lshl_b64 s[6:7], s[6:7], 1
	s_cmpk_lt_u32 s48, 0x5d00
	v_add_co_u32 v5, vcc_lo, v1, s6
	s_cselect_b32 s8, s49, 0x1700
	v_add_co_ci_u32_e32 v6, vcc_lo, s7, v3, vcc_lo
	s_ashr_i32 s9, s8, 31
	s_delay_alu instid0(SALU_CYCLE_1)
	s_lshl_b64 s[4:5], s[8:9], 1
	s_cmpk_lt_u32 s48, 0x5e00
	v_add_co_u32 v7, vcc_lo, v1, s4
	s_cselect_b32 s8, s49, 0x1740
	v_add_co_ci_u32_e32 v8, vcc_lo, s5, v3, vcc_lo
	s_ashr_i32 s9, s8, 31
	global_load_u16 v14, v[5:6], off
	s_lshl_b64 s[8:9], s[8:9], 1
	s_cmpk_lt_u32 s48, 0x5f00
	v_add_co_u32 v9, vcc_lo, v1, s8
	s_cselect_b32 s6, s49, 0x1780
	v_add_co_ci_u32_e32 v10, vcc_lo, s9, v3, vcc_lo
	s_ashr_i32 s7, s6, 31
	s_clause 0x1
	global_load_u16 v40, v[7:8], off
	global_load_u16 v41, v[9:10], off
	s_lshl_b64 s[4:5], s[6:7], 1
	s_cmpk_lt_u32 s48, 0x6000
	v_add_co_u32 v5, vcc_lo, v1, s4
	s_cselect_b32 s6, s49, 0x17c0
	v_add_co_ci_u32_e32 v6, vcc_lo, s5, v3, vcc_lo
	s_ashr_i32 s7, s6, 31
	s_delay_alu instid0(SALU_CYCLE_1) | instskip(NEXT) | instid1(SALU_CYCLE_1)
	s_lshl_b64 s[4:5], s[6:7], 1
	v_add_co_u32 v7, vcc_lo, v1, s4
	v_add_co_ci_u32_e32 v8, vcc_lo, s5, v3, vcc_lo
	s_clause 0x1
	global_load_u16 v42, v[5:6], off
	global_load_u16 v43, v[7:8], off
	ds_load_b128 v[5:8], v44 offset:256
	ds_load_b128 v[9:12], v44 offset:272
	s_waitcnt vmcnt(31) lgkmcnt(1)
	v_fma_mix_f32 v2, v5, v2, v4 op_sel_hi:[0,1,0]
	s_waitcnt vmcnt(30)
	s_delay_alu instid0(VALU_DEP_1) | instskip(SKIP_1) | instid1(VALU_DEP_1)
	v_fma_mix_f32 v2, v6, v21, v2 op_sel_hi:[0,1,0]
	s_waitcnt vmcnt(29)
	v_fma_mix_f32 v2, v7, v22, v2 op_sel_hi:[0,1,0]
	ds_load_b128 v[4:7], v44 offset:288
	s_waitcnt vmcnt(28)
	v_fma_mix_f32 v2, v8, v23, v2 op_sel_hi:[0,1,0]
	s_waitcnt vmcnt(27) lgkmcnt(1)
	s_delay_alu instid0(VALU_DEP_1) | instskip(SKIP_1) | instid1(VALU_DEP_1)
	v_fma_mix_f32 v2, v9, v24, v2 op_sel_hi:[0,1,0]
	s_waitcnt vmcnt(26)
	v_fma_mix_f32 v2, v10, v25, v2 op_sel_hi:[0,1,0]
	s_waitcnt vmcnt(25)
	s_delay_alu instid0(VALU_DEP_1) | instskip(SKIP_4) | instid1(VALU_DEP_1)
	v_fma_mix_f32 v2, v11, v26, v2 op_sel_hi:[0,1,0]
	ds_load_b128 v[8:11], v44 offset:304
	s_waitcnt vmcnt(24)
	v_fma_mix_f32 v2, v12, v27, v2 op_sel_hi:[0,1,0]
	s_waitcnt vmcnt(23) lgkmcnt(1)
	v_fma_mix_f32 v2, v4, v28, v2 op_sel_hi:[0,1,0]
	s_waitcnt vmcnt(22)
	s_delay_alu instid0(VALU_DEP_1) | instskip(SKIP_1) | instid1(VALU_DEP_1)
	v_fma_mix_f32 v2, v5, v29, v2 op_sel_hi:[0,1,0]
	s_waitcnt vmcnt(21)
	v_fma_mix_f32 v2, v6, v30, v2 op_sel_hi:[0,1,0]
	s_waitcnt vmcnt(20)
	s_delay_alu instid0(VALU_DEP_1) | instskip(SKIP_4) | instid1(VALU_DEP_1)
	v_fma_mix_f32 v2, v7, v31, v2 op_sel_hi:[0,1,0]
	ds_load_b128 v[4:7], v44 offset:320
	s_waitcnt vmcnt(19) lgkmcnt(1)
	v_fma_mix_f32 v2, v8, v32, v2 op_sel_hi:[0,1,0]
	s_waitcnt vmcnt(18)
	v_fma_mix_f32 v2, v9, v33, v2 op_sel_hi:[0,1,0]
	s_waitcnt vmcnt(17)
	s_delay_alu instid0(VALU_DEP_1) | instskip(SKIP_1) | instid1(VALU_DEP_1)
	v_fma_mix_f32 v2, v10, v17, v2 op_sel_hi:[0,1,0]
	s_waitcnt vmcnt(16)
	v_fma_mix_f32 v2, v11, v18, v2 op_sel_hi:[0,1,0]
	ds_load_b128 v[8:11], v44 offset:336
	s_waitcnt vmcnt(15) lgkmcnt(1)
	v_fma_mix_f32 v2, v4, v19, v2 op_sel_hi:[0,1,0]
	s_waitcnt vmcnt(14)
	s_delay_alu instid0(VALU_DEP_1) | instskip(SKIP_1) | instid1(VALU_DEP_1)
	v_fma_mix_f32 v2, v5, v20, v2 op_sel_hi:[0,1,0]
	s_waitcnt vmcnt(13)
	v_fma_mix_f32 v2, v6, v34, v2 op_sel_hi:[0,1,0]
	s_waitcnt vmcnt(12)
	s_delay_alu instid0(VALU_DEP_1) | instskip(SKIP_4) | instid1(VALU_DEP_1)
	v_fma_mix_f32 v2, v7, v35, v2 op_sel_hi:[0,1,0]
	ds_load_b128 v[4:7], v44 offset:352
	s_waitcnt vmcnt(11) lgkmcnt(1)
	v_fma_mix_f32 v2, v8, v36, v2 op_sel_hi:[0,1,0]
	s_waitcnt vmcnt(10)
	v_fma_mix_f32 v2, v9, v15, v2 op_sel_hi:[0,1,0]
	s_waitcnt vmcnt(9)
	s_delay_alu instid0(VALU_DEP_1) | instskip(SKIP_1) | instid1(VALU_DEP_1)
	v_fma_mix_f32 v2, v10, v16, v2 op_sel_hi:[0,1,0]
	s_waitcnt vmcnt(8)
	v_fma_mix_f32 v2, v11, v37, v2 op_sel_hi:[0,1,0]
	ds_load_b128 v[8:11], v44 offset:368
	s_waitcnt vmcnt(7) lgkmcnt(1)
	v_fma_mix_f32 v2, v4, v38, v2 op_sel_hi:[0,1,0]
	s_waitcnt vmcnt(6)
	s_delay_alu instid0(VALU_DEP_1) | instskip(SKIP_1) | instid1(VALU_DEP_1)
	v_fma_mix_f32 v2, v5, v39, v2 op_sel_hi:[0,1,0]
	s_waitcnt vmcnt(5)
	v_fma_mix_f32 v2, v6, v13, v2 op_sel_hi:[0,1,0]
	s_waitcnt vmcnt(4)
	s_delay_alu instid0(VALU_DEP_1) | instskip(SKIP_1) | instid1(VALU_DEP_1)
	v_fma_mix_f32 v2, v7, v14, v2 op_sel_hi:[0,1,0]
	s_waitcnt vmcnt(3) lgkmcnt(0)
	v_fma_mix_f32 v2, v8, v40, v2 op_sel_hi:[0,1,0]
	s_waitcnt vmcnt(2)
	s_delay_alu instid0(VALU_DEP_1) | instskip(SKIP_1) | instid1(VALU_DEP_1)
	v_fma_mix_f32 v2, v9, v41, v2 op_sel_hi:[0,1,0]
	s_waitcnt vmcnt(1)
	v_fma_mix_f32 v2, v10, v42, v2 op_sel_hi:[0,1,0]
	s_waitcnt vmcnt(0)
	s_delay_alu instid0(VALU_DEP_1)
	v_fma_mix_f32 v4, v11, v43, v2 op_sel_hi:[0,1,0]
	s_load_b64 s[0:1], s[0:1], 0x0
	s_cmpk_lt_i32 s48, 0x6100
	s_cbranch_scc1 .LBB77_15
.LBB77_22:
	s_cmpk_lt_u32 s48, 0x6200
	v_add_co_u32 v5, vcc_lo, 0x3000, v1
	s_cselect_b32 s4, s49, 0x1840
	v_add_co_ci_u32_e32 v6, vcc_lo, 0, v3, vcc_lo
	s_ashr_i32 s5, s4, 31
	v_mov_b32_e32 v45, 0
	s_lshl_b64 s[4:5], s[4:5], 1
	s_cmpk_lt_u32 s48, 0x6300
	v_add_co_u32 v7, vcc_lo, v1, s4
	s_cselect_b32 s6, s49, 0x1880
	v_add_co_ci_u32_e32 v8, vcc_lo, s5, v3, vcc_lo
	s_ashr_i32 s7, s6, 31
	s_delay_alu instid0(SALU_CYCLE_1)
	s_lshl_b64 s[6:7], s[6:7], 1
	s_cmpk_lt_u32 s48, 0x6400
	v_add_co_u32 v9, vcc_lo, v1, s6
	s_cselect_b32 s8, s49, 0x18c0
	v_add_co_ci_u32_e32 v10, vcc_lo, s7, v3, vcc_lo
	s_ashr_i32 s9, s8, 31
	s_delay_alu instid0(SALU_CYCLE_1)
	;; [unrolled: 7-line block ×6, first 2 shown]
	s_lshl_b64 s[26:27], s[18:19], 1
	s_cmpk_lt_u32 s48, 0x6900
	v_add_co_u32 v19, vcc_lo, v1, s26
	s_cselect_b32 s18, s49, 0x1a00
	v_add_co_ci_u32_e32 v20, vcc_lo, s27, v3, vcc_lo
	s_ashr_i32 s19, s18, 31
	s_clause 0x7
	global_load_u16 v21, v[5:6], off
	global_load_u16 v22, v[7:8], off
	;; [unrolled: 1-line block ×8, first 2 shown]
	s_lshl_b64 s[18:19], s[18:19], 1
	s_cmpk_lt_u32 s48, 0x6a00
	v_add_co_u32 v5, vcc_lo, v1, s18
	s_cselect_b32 s24, s49, 0x1a40
	v_add_co_ci_u32_e32 v6, vcc_lo, s19, v3, vcc_lo
	s_ashr_i32 s25, s24, 31
	s_delay_alu instid0(SALU_CYCLE_1)
	s_lshl_b64 s[24:25], s[24:25], 1
	s_cmpk_lt_u32 s48, 0x6b00
	v_add_co_u32 v7, vcc_lo, v1, s24
	s_cselect_b32 s28, s49, 0x1a80
	v_add_co_ci_u32_e32 v8, vcc_lo, s25, v3, vcc_lo
	s_ashr_i32 s29, s28, 31
	s_delay_alu instid0(SALU_CYCLE_1)
	;; [unrolled: 7-line block ×7, first 2 shown]
	s_lshl_b64 s[44:45], s[36:37], 1
	s_cmpk_lt_u32 s48, 0x7100
	v_add_co_u32 v19, vcc_lo, v1, s44
	s_cselect_b32 s36, s49, 0x1c00
	v_add_co_ci_u32_e32 v20, vcc_lo, s45, v3, vcc_lo
	s_ashr_i32 s37, s36, 31
	s_clause 0x7
	global_load_u16 v29, v[5:6], off
	global_load_u16 v30, v[7:8], off
	;; [unrolled: 1-line block ×8, first 2 shown]
	s_lshl_b64 s[36:37], s[36:37], 1
	s_cmpk_lt_u32 s48, 0x7200
	v_add_co_u32 v5, vcc_lo, v1, s36
	s_cselect_b32 s42, s49, 0x1c40
	v_add_co_ci_u32_e32 v6, vcc_lo, s37, v3, vcc_lo
	s_ashr_i32 s43, s42, 31
	s_delay_alu instid0(SALU_CYCLE_1)
	s_lshl_b64 s[42:43], s[42:43], 1
	s_cmpk_lt_u32 s48, 0x7300
	v_add_co_u32 v7, vcc_lo, v1, s42
	s_cselect_b32 s46, s49, 0x1c80
	v_add_co_ci_u32_e32 v8, vcc_lo, s43, v3, vcc_lo
	s_ashr_i32 s47, s46, 31
	s_delay_alu instid0(SALU_CYCLE_1)
	;; [unrolled: 7-line block ×5, first 2 shown]
	s_lshl_b64 s[8:9], s[8:9], 1
	s_cmpk_lt_u32 s48, 0x7700
	v_add_co_u32 v15, vcc_lo, v1, s8
	s_cselect_b32 s10, s49, 0x1d80
	v_add_co_ci_u32_e32 v16, vcc_lo, s9, v3, vcc_lo
	s_ashr_i32 s11, s10, 31
	s_clause 0x5
	global_load_u16 v19, v[5:6], off
	global_load_u16 v20, v[7:8], off
	;; [unrolled: 1-line block ×6, first 2 shown]
	s_lshl_b64 s[10:11], s[10:11], 1
	s_cmpk_lt_u32 s48, 0x7800
	v_add_co_u32 v5, vcc_lo, v1, s10
	s_cselect_b32 s18, s49, 0x1dc0
	v_add_co_ci_u32_e32 v6, vcc_lo, s11, v3, vcc_lo
	s_ashr_i32 s19, s18, 31
	s_delay_alu instid0(SALU_CYCLE_1)
	s_lshl_b64 s[18:19], s[18:19], 1
	s_cmpk_lt_u32 s48, 0x7900
	v_add_co_u32 v7, vcc_lo, v1, s18
	s_cselect_b32 s20, s49, 0x1e00
	v_add_co_ci_u32_e32 v8, vcc_lo, s19, v3, vcc_lo
	s_ashr_i32 s21, s20, 31
	global_load_u16 v16, v[5:6], off
	s_lshl_b64 s[20:21], s[20:21], 1
	global_load_u16 v38, v[7:8], off
	s_cmpk_lt_u32 s48, 0x7a00
	v_add_co_u32 v9, vcc_lo, v1, s20
	s_cselect_b32 s22, s49, 0x1e40
	v_add_co_ci_u32_e32 v10, vcc_lo, s21, v3, vcc_lo
	s_ashr_i32 s23, s22, 31
	s_delay_alu instid0(SALU_CYCLE_1)
	s_lshl_b64 s[22:23], s[22:23], 1
	s_cmpk_lt_u32 s48, 0x7b00
	v_add_co_u32 v11, vcc_lo, v1, s22
	s_cselect_b32 s4, s49, 0x1e80
	v_add_co_ci_u32_e32 v12, vcc_lo, s23, v3, vcc_lo
	s_ashr_i32 s5, s4, 31
	s_delay_alu instid0(SALU_CYCLE_1)
	s_lshl_b64 s[4:5], s[4:5], 1
	s_cmpk_lt_u32 s48, 0x7c00
	v_add_co_u32 v13, vcc_lo, v1, s4
	s_cselect_b32 s6, s49, 0x1ec0
	v_add_co_ci_u32_e32 v14, vcc_lo, s5, v3, vcc_lo
	s_ashr_i32 s7, s6, 31
	s_clause 0x2
	global_load_u16 v39, v[9:10], off
	global_load_u16 v40, v[11:12], off
	;; [unrolled: 1-line block ×3, first 2 shown]
	s_lshl_b64 s[6:7], s[6:7], 1
	s_cmpk_lt_u32 s48, 0x7d00
	v_add_co_u32 v5, vcc_lo, v1, s6
	s_cselect_b32 s8, s49, 0x1f00
	v_add_co_ci_u32_e32 v6, vcc_lo, s7, v3, vcc_lo
	s_ashr_i32 s9, s8, 31
	s_delay_alu instid0(SALU_CYCLE_1)
	s_lshl_b64 s[4:5], s[8:9], 1
	s_cmpk_lt_u32 s48, 0x7e00
	v_add_co_u32 v7, vcc_lo, v1, s4
	s_cselect_b32 s8, s49, 0x1f40
	v_add_co_ci_u32_e32 v8, vcc_lo, s5, v3, vcc_lo
	s_ashr_i32 s9, s8, 31
	global_load_u16 v14, v[5:6], off
	s_lshl_b64 s[8:9], s[8:9], 1
	s_cmpk_lt_u32 s48, 0x7f00
	v_add_co_u32 v9, vcc_lo, v1, s8
	s_cselect_b32 s6, s49, 0x1f80
	v_add_co_ci_u32_e32 v10, vcc_lo, s9, v3, vcc_lo
	s_ashr_i32 s7, s6, 31
	s_clause 0x1
	global_load_u16 v41, v[7:8], off
	global_load_u16 v42, v[9:10], off
	s_lshl_b64 s[4:5], s[6:7], 1
	s_cmpk_lt_u32 s48, 0x8000
	v_add_co_u32 v5, vcc_lo, v1, s4
	s_cselect_b32 s6, s49, 0x1fc0
	v_add_co_ci_u32_e32 v6, vcc_lo, s5, v3, vcc_lo
	s_ashr_i32 s7, s6, 31
	s_delay_alu instid0(SALU_CYCLE_1) | instskip(NEXT) | instid1(SALU_CYCLE_1)
	s_lshl_b64 s[4:5], s[6:7], 1
	v_add_co_u32 v1, vcc_lo, v1, s4
	v_add_co_ci_u32_e32 v2, vcc_lo, s5, v3, vcc_lo
	s_clause 0x1
	global_load_u16 v43, v[5:6], off
	global_load_u16 v44, v[1:2], off
	ds_load_b128 v[5:8], v45 offset:384
	ds_load_b128 v[9:12], v45 offset:400
	s_waitcnt vmcnt(31) lgkmcnt(0)
	v_fma_mix_f32 v1, v5, v21, v4 op_sel_hi:[0,1,0]
	s_waitcnt vmcnt(30)
	s_delay_alu instid0(VALU_DEP_1) | instskip(SKIP_1) | instid1(VALU_DEP_1)
	v_fma_mix_f32 v1, v6, v22, v1 op_sel_hi:[0,1,0]
	s_waitcnt vmcnt(29)
	v_fma_mix_f32 v1, v7, v23, v1 op_sel_hi:[0,1,0]
	s_waitcnt vmcnt(28)
	s_delay_alu instid0(VALU_DEP_1) | instskip(SKIP_1) | instid1(VALU_DEP_1)
	v_fma_mix_f32 v1, v8, v24, v1 op_sel_hi:[0,1,0]
	s_waitcnt vmcnt(27)
	v_fma_mix_f32 v5, v9, v25, v1 op_sel_hi:[0,1,0]
	ds_load_b128 v[1:4], v45 offset:416
	s_waitcnt vmcnt(26)
	v_fma_mix_f32 v5, v10, v26, v5 op_sel_hi:[0,1,0]
	s_waitcnt vmcnt(25)
	s_delay_alu instid0(VALU_DEP_1) | instskip(SKIP_1) | instid1(VALU_DEP_1)
	v_fma_mix_f32 v5, v11, v27, v5 op_sel_hi:[0,1,0]
	s_waitcnt vmcnt(24)
	v_fma_mix_f32 v9, v12, v28, v5 op_sel_hi:[0,1,0]
	ds_load_b128 v[5:8], v45 offset:432
	s_waitcnt vmcnt(23) lgkmcnt(1)
	v_fma_mix_f32 v1, v1, v29, v9 op_sel_hi:[0,1,0]
	s_waitcnt vmcnt(22)
	s_delay_alu instid0(VALU_DEP_1) | instskip(SKIP_1) | instid1(VALU_DEP_1)
	v_fma_mix_f32 v1, v2, v30, v1 op_sel_hi:[0,1,0]
	s_waitcnt vmcnt(21)
	v_fma_mix_f32 v1, v3, v31, v1 op_sel_hi:[0,1,0]
	s_waitcnt vmcnt(20)
	s_delay_alu instid0(VALU_DEP_1) | instskip(SKIP_1) | instid1(VALU_DEP_1)
	v_fma_mix_f32 v1, v4, v32, v1 op_sel_hi:[0,1,0]
	s_waitcnt vmcnt(19) lgkmcnt(0)
	v_fma_mix_f32 v5, v5, v33, v1 op_sel_hi:[0,1,0]
	ds_load_b128 v[1:4], v45 offset:448
	s_waitcnt vmcnt(18)
	v_fma_mix_f32 v5, v6, v34, v5 op_sel_hi:[0,1,0]
	s_waitcnt vmcnt(17)
	s_delay_alu instid0(VALU_DEP_1) | instskip(SKIP_1) | instid1(VALU_DEP_1)
	v_fma_mix_f32 v5, v7, v17, v5 op_sel_hi:[0,1,0]
	s_waitcnt vmcnt(16)
	v_fma_mix_f32 v9, v8, v18, v5 op_sel_hi:[0,1,0]
	ds_load_b128 v[5:8], v45 offset:464
	s_waitcnt vmcnt(15) lgkmcnt(1)
	v_fma_mix_f32 v1, v1, v19, v9 op_sel_hi:[0,1,0]
	s_waitcnt vmcnt(14)
	s_delay_alu instid0(VALU_DEP_1) | instskip(SKIP_1) | instid1(VALU_DEP_1)
	v_fma_mix_f32 v1, v2, v20, v1 op_sel_hi:[0,1,0]
	s_waitcnt vmcnt(13)
	v_fma_mix_f32 v1, v3, v35, v1 op_sel_hi:[0,1,0]
	s_waitcnt vmcnt(12)
	s_delay_alu instid0(VALU_DEP_1) | instskip(SKIP_1) | instid1(VALU_DEP_1)
	v_fma_mix_f32 v1, v4, v36, v1 op_sel_hi:[0,1,0]
	s_waitcnt vmcnt(11) lgkmcnt(0)
	;; [unrolled: 21-line block ×3, first 2 shown]
	v_fma_mix_f32 v1, v5, v41, v1 op_sel_hi:[0,1,0]
	s_waitcnt vmcnt(2)
	s_delay_alu instid0(VALU_DEP_1) | instskip(SKIP_1) | instid1(VALU_DEP_1)
	v_fma_mix_f32 v1, v6, v42, v1 op_sel_hi:[0,1,0]
	s_waitcnt vmcnt(1)
	v_fma_mix_f32 v1, v7, v43, v1 op_sel_hi:[0,1,0]
	s_waitcnt vmcnt(0)
	s_delay_alu instid0(VALU_DEP_1)
	v_fma_mix_f32 v4, v8, v44, v1 op_sel_hi:[0,1,0]
	v_mov_b32_e32 v1, 0
	s_and_not1_b32 vcc_lo, exec_lo, s15
	ds_load_b32 v1, v1 offset:512
	s_cbranch_vccz .LBB77_16
	s_branch .LBB77_17
	.section	.rodata,"a",@progbits
	.p2align	6, 0x0
	.amdhsa_kernel _Z35paged_attention_ll4mi_reduce_kernelIDF16_DF16_Li64ELi64ELi256ELi4EEvPT0_PKfS3_PKT_PKiS8_iS3_
		.amdhsa_group_segment_fixed_size 516
		.amdhsa_private_segment_fixed_size 0
		.amdhsa_kernarg_size 320
		.amdhsa_user_sgpr_count 14
		.amdhsa_user_sgpr_dispatch_ptr 0
		.amdhsa_user_sgpr_queue_ptr 0
		.amdhsa_user_sgpr_kernarg_segment_ptr 1
		.amdhsa_user_sgpr_dispatch_id 0
		.amdhsa_user_sgpr_private_segment_size 0
		.amdhsa_wavefront_size32 1
		.amdhsa_uses_dynamic_stack 0
		.amdhsa_enable_private_segment 0
		.amdhsa_system_sgpr_workgroup_id_x 1
		.amdhsa_system_sgpr_workgroup_id_y 1
		.amdhsa_system_sgpr_workgroup_id_z 0
		.amdhsa_system_sgpr_workgroup_info 0
		.amdhsa_system_vgpr_workitem_id 0
		.amdhsa_next_free_vgpr 48
		.amdhsa_next_free_sgpr 52
		.amdhsa_reserve_vcc 1
		.amdhsa_float_round_mode_32 0
		.amdhsa_float_round_mode_16_64 0
		.amdhsa_float_denorm_mode_32 3
		.amdhsa_float_denorm_mode_16_64 3
		.amdhsa_dx10_clamp 1
		.amdhsa_ieee_mode 1
		.amdhsa_fp16_overflow 0
		.amdhsa_workgroup_processor_mode 1
		.amdhsa_memory_ordered 1
		.amdhsa_forward_progress 0
		.amdhsa_shared_vgpr_count 0
		.amdhsa_exception_fp_ieee_invalid_op 0
		.amdhsa_exception_fp_denorm_src 0
		.amdhsa_exception_fp_ieee_div_zero 0
		.amdhsa_exception_fp_ieee_overflow 0
		.amdhsa_exception_fp_ieee_underflow 0
		.amdhsa_exception_fp_ieee_inexact 0
		.amdhsa_exception_int_div_zero 0
	.end_amdhsa_kernel
	.section	.text._Z35paged_attention_ll4mi_reduce_kernelIDF16_DF16_Li64ELi64ELi256ELi4EEvPT0_PKfS3_PKT_PKiS8_iS3_,"axG",@progbits,_Z35paged_attention_ll4mi_reduce_kernelIDF16_DF16_Li64ELi64ELi256ELi4EEvPT0_PKfS3_PKT_PKiS8_iS3_,comdat
.Lfunc_end77:
	.size	_Z35paged_attention_ll4mi_reduce_kernelIDF16_DF16_Li64ELi64ELi256ELi4EEvPT0_PKfS3_PKT_PKiS8_iS3_, .Lfunc_end77-_Z35paged_attention_ll4mi_reduce_kernelIDF16_DF16_Li64ELi64ELi256ELi4EEvPT0_PKfS3_PKT_PKiS8_iS3_
                                        ; -- End function
	.section	.AMDGPU.csdata,"",@progbits
; Kernel info:
; codeLenInByte = 9500
; NumSgprs: 54
; NumVgprs: 48
; ScratchSize: 0
; MemoryBound: 0
; FloatMode: 240
; IeeeMode: 1
; LDSByteSize: 516 bytes/workgroup (compile time only)
; SGPRBlocks: 6
; VGPRBlocks: 5
; NumSGPRsForWavesPerEU: 54
; NumVGPRsForWavesPerEU: 48
; Occupancy: 16
; WaveLimiterHint : 0
; COMPUTE_PGM_RSRC2:SCRATCH_EN: 0
; COMPUTE_PGM_RSRC2:USER_SGPR: 14
; COMPUTE_PGM_RSRC2:TRAP_HANDLER: 0
; COMPUTE_PGM_RSRC2:TGID_X_EN: 1
; COMPUTE_PGM_RSRC2:TGID_Y_EN: 1
; COMPUTE_PGM_RSRC2:TGID_Z_EN: 0
; COMPUTE_PGM_RSRC2:TIDIG_COMP_CNT: 0
	.section	.text._Z35paged_attention_ll4mi_reduce_kernelIDF16_DF16_Li64ELi64ELi256ELi5EEvPT0_PKfS3_PKT_PKiS8_iS3_,"axG",@progbits,_Z35paged_attention_ll4mi_reduce_kernelIDF16_DF16_Li64ELi64ELi256ELi5EEvPT0_PKfS3_PKT_PKiS8_iS3_,comdat
	.protected	_Z35paged_attention_ll4mi_reduce_kernelIDF16_DF16_Li64ELi64ELi256ELi5EEvPT0_PKfS3_PKT_PKiS8_iS3_ ; -- Begin function _Z35paged_attention_ll4mi_reduce_kernelIDF16_DF16_Li64ELi64ELi256ELi5EEvPT0_PKfS3_PKT_PKiS8_iS3_
	.globl	_Z35paged_attention_ll4mi_reduce_kernelIDF16_DF16_Li64ELi64ELi256ELi5EEvPT0_PKfS3_PKT_PKiS8_iS3_
	.p2align	8
	.type	_Z35paged_attention_ll4mi_reduce_kernelIDF16_DF16_Li64ELi64ELi256ELi5EEvPT0_PKfS3_PKT_PKiS8_iS3_,@function
_Z35paged_attention_ll4mi_reduce_kernelIDF16_DF16_Li64ELi64ELi256ELi5EEvPT0_PKfS3_PKT_PKiS8_iS3_: ; @_Z35paged_attention_ll4mi_reduce_kernelIDF16_DF16_Li64ELi64ELi256ELi5EEvPT0_PKfS3_PKT_PKiS8_iS3_
; %bb.0:
	s_load_b64 s[12:13], s[0:1], 0x28
	s_mov_b32 s2, s15
	s_waitcnt lgkmcnt(0)
	s_cmp_lg_u64 s[12:13], 0
	s_cselect_b32 s15, -1, 0
	s_delay_alu instid0(SALU_CYCLE_1)
	s_and_b32 vcc_lo, exec_lo, s15
	s_cbranch_vccz .LBB78_19
; %bb.1:
	s_add_i32 s4, s2, 1
	s_mov_b32 s5, 0
	s_delay_alu instid0(SALU_CYCLE_1) | instskip(SKIP_4) | instid1(SALU_CYCLE_1)
	s_lshl_b64 s[6:7], s[4:5], 2
	s_mov_b32 s3, s5
	s_add_u32 s6, s12, s6
	s_addc_u32 s7, s13, s7
	s_lshl_b64 s[8:9], s[2:3], 2
	s_add_u32 s8, s12, s8
	s_addc_u32 s9, s13, s9
	s_clause 0x1
	s_load_b32 s4, s[6:7], 0x0
	s_load_b32 s6, s[8:9], 0x0
	s_waitcnt lgkmcnt(0)
	s_sub_i32 s4, s4, s6
	s_delay_alu instid0(SALU_CYCLE_1)
	s_cmp_eq_u32 s4, 1
	s_cselect_b32 s4, -1, 0
	s_cbranch_execnz .LBB78_3
.LBB78_2:
	s_mov_b32 s3, 0
	s_mov_b32 s4, -1
.LBB78_3:
	s_delay_alu instid0(SALU_CYCLE_1)
	s_and_not1_b32 vcc_lo, exec_lo, s4
	s_cbranch_vccz .LBB78_5
; %bb.4:
	s_endpgm
.LBB78_5:
	s_clause 0x1
	s_load_b128 s[4:7], s[0:1], 0x18
	s_load_b32 s9, s[0:1], 0x30
	s_lshl_b64 s[16:17], s[2:3], 2
	s_waitcnt lgkmcnt(0)
	s_add_u32 s6, s6, s16
	s_addc_u32 s7, s7, s17
	s_load_b32 s22, s[6:7], 0x0
	s_load_b32 s33, s[0:1], 0x40
	s_mul_i32 s7, s2, s9
	s_waitcnt lgkmcnt(0)
	s_add_i32 s48, s22, 0xff
	s_delay_alu instid0(SALU_CYCLE_1) | instskip(NEXT) | instid1(SALU_CYCLE_1)
	s_ashr_i32 s6, s48, 31
	s_lshr_b32 s6, s6, 24
	s_delay_alu instid0(SALU_CYCLE_1) | instskip(SKIP_4) | instid1(SALU_CYCLE_1)
	s_add_i32 s8, s48, s6
	s_mul_i32 s6, s14, s9
	s_mov_b32 s9, exec_lo
	v_cmpx_lt_u32_e32 31, v0
	s_xor_b32 s9, exec_lo, s9
	s_or_saveexec_b32 s24, s9
	v_mov_b32_e32 v1, s6
	s_ashr_i32 s23, s8, 8
	s_mul_i32 s18, s7, s33
	s_xor_b32 exec_lo, exec_lo, s24
	s_cbranch_execz .LBB78_9
; %bb.6:
	v_or_b32_e32 v2, 32, v0
	v_cmp_gt_i32_e32 vcc_lo, s23, v0
	s_add_i32 s25, s23, -1
	s_load_b128 s[8:11], s[0:1], 0x8
	v_or_b32_e32 v4, 64, v0
	v_or_b32_e32 v6, 0x60, v0
	v_cndmask_b32_e32 v1, s25, v0, vcc_lo
	v_cmp_gt_i32_e32 vcc_lo, s23, v2
	v_or_b32_e32 v8, 0x80, v0
	s_mov_b32 s19, 0
	s_delay_alu instid0(SALU_CYCLE_1)
	s_lshl_b64 s[20:21], s[18:19], 2
	v_cndmask_b32_e32 v3, s25, v2, vcc_lo
	v_cmp_gt_i32_e32 vcc_lo, s23, v4
	v_ashrrev_i32_e32 v2, 31, v1
	s_mov_b32 s7, s19
	v_cndmask_b32_e32 v5, s25, v4, vcc_lo
	v_cmp_gt_i32_e32 vcc_lo, s23, v6
	v_ashrrev_i32_e32 v4, 31, v3
	v_lshlrev_b64 v[1:2], 2, v[1:2]
	s_waitcnt lgkmcnt(0)
	s_add_u32 s19, s10, s20
	v_cndmask_b32_e32 v7, s25, v6, vcc_lo
	v_cmp_gt_i32_e32 vcc_lo, s23, v8
	v_ashrrev_i32_e32 v6, 31, v5
	v_lshlrev_b64 v[3:4], 2, v[3:4]
	v_cndmask_b32_e32 v9, s25, v8, vcc_lo
	s_addc_u32 s25, s11, s21
	s_lshl_b64 s[10:11], s[6:7], 2
	v_ashrrev_i32_e32 v8, 31, v7
	s_add_u32 s7, s19, s10
	s_addc_u32 s19, s25, s11
	v_add_co_u32 v11, vcc_lo, s7, v1
	v_lshlrev_b64 v[5:6], 2, v[5:6]
	v_ashrrev_i32_e32 v10, 31, v9
	v_add_co_ci_u32_e32 v12, vcc_lo, s19, v2, vcc_lo
	v_add_co_u32 v13, vcc_lo, s7, v3
	v_lshlrev_b64 v[7:8], 2, v[7:8]
	v_add_co_ci_u32_e32 v14, vcc_lo, s19, v4, vcc_lo
	v_add_co_u32 v15, vcc_lo, s7, v5
	v_lshlrev_b64 v[9:10], 2, v[9:10]
	v_add_co_ci_u32_e32 v16, vcc_lo, s19, v6, vcc_lo
	v_add_co_u32 v17, vcc_lo, s7, v7
	v_add_co_ci_u32_e32 v18, vcc_lo, s19, v8, vcc_lo
	s_delay_alu instid0(VALU_DEP_4)
	v_add_co_u32 v19, vcc_lo, s7, v9
	v_add_co_ci_u32_e32 v20, vcc_lo, s19, v10, vcc_lo
	s_clause 0x4
	global_load_b32 v11, v[11:12], off
	global_load_b32 v12, v[13:14], off
	;; [unrolled: 1-line block ×5, first 2 shown]
	s_add_u32 s7, s8, s20
	s_addc_u32 s8, s9, s21
	s_add_u32 s7, s7, s10
	s_addc_u32 s8, s8, s11
	v_add_co_u32 v1, vcc_lo, s7, v1
	v_add_co_ci_u32_e32 v2, vcc_lo, s8, v2, vcc_lo
	v_add_co_u32 v3, vcc_lo, s7, v3
	v_add_co_ci_u32_e32 v4, vcc_lo, s8, v4, vcc_lo
	;; [unrolled: 2-line block ×4, first 2 shown]
	s_clause 0x3
	global_load_b32 v16, v[1:2], off
	global_load_b32 v3, v[3:4], off
	;; [unrolled: 1-line block ×4, first 2 shown]
	v_add_co_u32 v1, vcc_lo, s7, v9
	v_add_co_ci_u32_e32 v2, vcc_lo, s8, v10, vcc_lo
	s_mov_b32 s7, exec_lo
	global_load_b32 v1, v[1:2], off
	v_mbcnt_lo_u32_b32 v2, -1, 0
	s_delay_alu instid0(VALU_DEP_1)
	v_xor_b32_e32 v6, 16, v2
	v_xor_b32_e32 v9, 8, v2
	v_xor_b32_e32 v10, 4, v2
	v_xor_b32_e32 v17, 2, v2
	v_xor_b32_e32 v18, 1, v2
	v_cmp_gt_i32_e32 vcc_lo, 32, v6
	v_cndmask_b32_e32 v6, v2, v6, vcc_lo
	v_cmp_gt_i32_e32 vcc_lo, 32, v9
	v_cndmask_b32_e32 v9, v2, v9, vcc_lo
	v_cmp_gt_i32_e32 vcc_lo, 32, v10
	s_delay_alu instid0(VALU_DEP_2) | instskip(SKIP_3) | instid1(VALU_DEP_2)
	v_lshlrev_b32_e32 v9, 2, v9
	v_lshlrev_b32_e32 v6, 2, v6
	v_cndmask_b32_e32 v10, v2, v10, vcc_lo
	v_cmp_gt_i32_e32 vcc_lo, 32, v17
	v_dual_cndmask_b32 v17, v2, v17 :: v_dual_lshlrev_b32 v10, 2, v10
	v_cmp_gt_i32_e32 vcc_lo, 32, v18
	s_delay_alu instid0(VALU_DEP_2) | instskip(NEXT) | instid1(VALU_DEP_1)
	v_dual_cndmask_b32 v2, v2, v18 :: v_dual_lshlrev_b32 v17, 2, v17
	v_lshlrev_b32_e32 v2, 2, v2
	s_waitcnt vmcnt(7)
	v_max3_f32 v7, v11, v12, v13
	s_waitcnt vmcnt(5)
	s_delay_alu instid0(VALU_DEP_1) | instskip(SKIP_3) | instid1(VALU_DEP_1)
	v_max3_f32 v7, v7, v14, v15
	ds_bpermute_b32 v8, v6, v7
	s_waitcnt lgkmcnt(0)
	v_max_f32_e32 v8, v8, v8
	v_max_f32_e32 v7, v7, v8
	ds_bpermute_b32 v8, v9, v7
	s_waitcnt lgkmcnt(0)
	v_max_f32_e32 v8, v8, v8
	s_delay_alu instid0(VALU_DEP_1) | instskip(SKIP_3) | instid1(VALU_DEP_1)
	v_max_f32_e32 v7, v7, v8
	ds_bpermute_b32 v8, v10, v7
	s_waitcnt lgkmcnt(0)
	v_max_f32_e32 v8, v8, v8
	v_max_f32_e32 v7, v7, v8
	ds_bpermute_b32 v8, v17, v7
	s_waitcnt lgkmcnt(0)
	v_max_f32_e32 v8, v8, v8
	s_delay_alu instid0(VALU_DEP_1) | instskip(SKIP_3) | instid1(VALU_DEP_1)
	v_max_f32_e32 v7, v7, v8
	ds_bpermute_b32 v8, v2, v7
	s_waitcnt lgkmcnt(0)
	v_max_f32_e32 v8, v8, v8
	v_max_f32_e32 v7, v7, v8
	v_sub_nc_u32_e32 v8, s23, v0
	s_delay_alu instid0(VALU_DEP_2) | instskip(NEXT) | instid1(VALU_DEP_1)
	v_sub_f32_e32 v12, v12, v7
	v_mul_f32_e32 v18, 0x3fb8aa3b, v12
	s_delay_alu instid0(VALU_DEP_1) | instskip(SKIP_1) | instid1(VALU_DEP_2)
	v_rndne_f32_e32 v25, v18
	v_fma_f32 v24, 0x3fb8aa3b, v12, -v18
	v_sub_f32_e32 v18, v18, v25
	v_sub_f32_e32 v14, v14, v7
	s_delay_alu instid0(VALU_DEP_1) | instskip(NEXT) | instid1(VALU_DEP_1)
	v_mul_f32_e32 v20, 0x3fb8aa3b, v14
	v_fma_f32 v28, 0x3fb8aa3b, v14, -v20
	v_sub_f32_e32 v13, v13, v7
	v_rndne_f32_e32 v29, v20
	s_delay_alu instid0(VALU_DEP_3) | instskip(NEXT) | instid1(VALU_DEP_3)
	v_fmac_f32_e32 v28, 0x32a5705f, v14
	v_mul_f32_e32 v19, 0x3fb8aa3b, v13
	v_dual_sub_f32 v11, v11, v7 :: v_dual_fmac_f32 v24, 0x32a5705f, v12
	s_delay_alu instid0(VALU_DEP_4) | instskip(NEXT) | instid1(VALU_DEP_3)
	v_sub_f32_e32 v20, v20, v29
	v_fma_f32 v26, 0x3fb8aa3b, v13, -v19
	v_sub_f32_e32 v7, v15, v7
	s_delay_alu instid0(VALU_DEP_4)
	v_mul_f32_e32 v15, 0x3fb8aa3b, v11
	v_rndne_f32_e32 v27, v19
	v_add_f32_e32 v18, v18, v24
	v_fmac_f32_e32 v26, 0x32a5705f, v13
	v_mul_f32_e32 v21, 0x3fb8aa3b, v7
	v_fma_f32 v22, 0x3fb8aa3b, v11, -v15
	v_rndne_f32_e32 v23, v15
	v_dual_sub_f32 v19, v19, v27 :: v_dual_add_f32 v20, v20, v28
	s_delay_alu instid0(VALU_DEP_4) | instskip(NEXT) | instid1(VALU_DEP_4)
	v_fma_f32 v30, 0x3fb8aa3b, v7, -v21
	v_fmac_f32_e32 v22, 0x32a5705f, v11
	s_delay_alu instid0(VALU_DEP_4) | instskip(NEXT) | instid1(VALU_DEP_4)
	v_sub_f32_e32 v15, v15, v23
	v_add_f32_e32 v19, v19, v26
	v_exp_f32_e32 v18, v18
	v_fmac_f32_e32 v30, 0x32a5705f, v7
	v_cmp_ngt_f32_e32 vcc_lo, 0xc2ce8ed0, v11
	v_add_f32_e32 v15, v15, v22
	v_cvt_i32_f32_e32 v22, v23
	v_exp_f32_e32 v19, v19
	v_cvt_i32_f32_e32 v23, v25
	v_rndne_f32_e32 v31, v21
	v_exp_f32_e32 v15, v15
	v_exp_f32_e32 v20, v20
	v_cvt_i32_f32_e32 v24, v27
	v_ldexp_f32 v18, v18, v23
	v_cvt_i32_f32_e32 v25, v29
	v_cvt_i32_f32_e32 v26, v31
	s_delay_alu instid0(TRANS32_DEP_3) | instid1(VALU_DEP_4)
	v_ldexp_f32 v19, v19, v24
	s_delay_alu instid0(TRANS32_DEP_2)
	v_ldexp_f32 v15, v15, v22
	s_delay_alu instid0(TRANS32_DEP_1) | instid1(VALU_DEP_4)
	v_ldexp_f32 v20, v20, v25
	s_delay_alu instid0(VALU_DEP_2)
	v_cndmask_b32_e32 v15, 0, v15, vcc_lo
	v_cmp_ngt_f32_e32 vcc_lo, 0xc2ce8ed0, v12
	v_dual_sub_f32 v21, v21, v31 :: v_dual_cndmask_b32 v18, 0, v18
	v_cmp_ngt_f32_e32 vcc_lo, 0xc2ce8ed0, v13
	v_cndmask_b32_e32 v19, 0, v19, vcc_lo
	v_cmp_ngt_f32_e32 vcc_lo, 0xc2ce8ed0, v14
	s_delay_alu instid0(VALU_DEP_4) | instskip(NEXT) | instid1(VALU_DEP_1)
	v_dual_add_f32 v21, v21, v30 :: v_dual_cndmask_b32 v20, 0, v20
	v_exp_f32_e32 v21, v21
	v_cmp_ngt_f32_e32 vcc_lo, 0xc2ce8ed0, v7
	s_waitcnt_depctr 0xfff
	v_ldexp_f32 v21, v21, v26
	s_delay_alu instid0(VALU_DEP_1)
	v_cndmask_b32_e32 v21, 0, v21, vcc_lo
	v_cmp_nlt_f32_e32 vcc_lo, 0x42b17218, v11
	v_cndmask_b32_e32 v11, 0x7f800000, v15, vcc_lo
	v_cmp_nlt_f32_e32 vcc_lo, 0x42b17218, v12
	;; [unrolled: 2-line block ×3, first 2 shown]
	v_cndmask_b32_e32 v13, 0x7f800000, v19, vcc_lo
	v_cmp_lt_i32_e32 vcc_lo, 0, v8
	v_cndmask_b32_e32 v11, 0, v11, vcc_lo
	v_cmp_lt_i32_e32 vcc_lo, 32, v8
	s_waitcnt vmcnt(4)
	s_delay_alu instid0(VALU_DEP_2) | instskip(SKIP_2) | instid1(VALU_DEP_2)
	v_dual_mul_f32 v11, v16, v11 :: v_dual_cndmask_b32 v12, 0, v12
	v_cmp_lt_i32_e32 vcc_lo, 64, v8
	s_waitcnt vmcnt(3)
	v_mul_f32_e32 v3, v3, v12
	v_cndmask_b32_e32 v13, 0, v13, vcc_lo
	v_cmp_nlt_f32_e32 vcc_lo, 0x42b17218, v14
	s_waitcnt vmcnt(2)
	s_delay_alu instid0(VALU_DEP_2) | instskip(SKIP_2) | instid1(VALU_DEP_2)
	v_mul_f32_e32 v4, v4, v13
	v_dual_cndmask_b32 v14, 0x7f800000, v20 :: v_dual_add_f32 v13, v11, v3
	v_cmp_lt_i32_e32 vcc_lo, 0x60, v8
	v_cndmask_b32_e32 v12, 0, v14, vcc_lo
	v_cmp_nlt_f32_e32 vcc_lo, 0x42b17218, v7
	s_waitcnt vmcnt(1)
	s_delay_alu instid0(VALU_DEP_2) | instskip(SKIP_2) | instid1(VALU_DEP_2)
	v_mul_f32_e32 v5, v5, v12
	v_cndmask_b32_e32 v7, 0x7f800000, v21, vcc_lo
	v_cmp_lt_i32_e32 vcc_lo, 0x80, v8
	v_dual_add_f32 v8, v13, v4 :: v_dual_cndmask_b32 v7, 0, v7
	s_waitcnt vmcnt(0)
	s_delay_alu instid0(VALU_DEP_1) | instskip(NEXT) | instid1(VALU_DEP_2)
	v_mul_f32_e32 v7, v1, v7
	v_add_f32_e32 v1, v8, v5
	s_delay_alu instid0(VALU_DEP_1)
	v_add_f32_e32 v1, v1, v7
	ds_bpermute_b32 v6, v6, v1
	s_waitcnt lgkmcnt(0)
	v_add_f32_e32 v1, v1, v6
	ds_bpermute_b32 v6, v9, v1
	s_waitcnt lgkmcnt(0)
	;; [unrolled: 3-line block ×4, first 2 shown]
	v_dual_add_f32 v1, v1, v6 :: v_dual_lshlrev_b32 v6, 2, v0
	ds_store_2addr_b32 v6, v11, v3 offset1:32
	ds_store_2addr_b32 v6, v4, v5 offset0:64 offset1:96
	ds_store_b32 v6, v7 offset:512
	ds_bpermute_b32 v2, v2, v1
	v_cmpx_eq_u32_e32 0, v0
	s_cbranch_execz .LBB78_8
; %bb.7:
	s_waitcnt lgkmcnt(0)
	v_dual_add_f32 v1, v1, v2 :: v_dual_mov_b32 v2, 0
	ds_store_b32 v2, v1 offset:640
.LBB78_8:
	s_or_b32 exec_lo, exec_lo, s7
	v_mov_b32_e32 v1, s6
.LBB78_9:
	s_or_b32 exec_lo, exec_lo, s24
	s_lshl_b32 s6, s18, 6
	s_mov_b32 s7, 0
	s_waitcnt lgkmcnt(0)
	v_dual_mov_b32 v2, 0 :: v_dual_lshlrev_b32 v1, 6, v1
	s_lshl_b64 s[6:7], s[6:7], 1
	v_lshlrev_b32_e32 v0, 1, v0
	s_add_u32 s34, s4, s6
	s_addc_u32 s35, s5, s7
	s_lshl_b32 s4, s23, 6
	v_lshlrev_b64 v[3:4], 1, v[1:2]
	s_sub_i32 s49, s4, 64
	s_cmpk_lt_i32 s48, 0x100
	v_dual_mov_b32 v30, 0 :: v_dual_mov_b32 v33, 0
	s_cselect_b32 s4, s49, 0
	s_delay_alu instid0(VALU_DEP_2)
	v_add_co_u32 v1, vcc_lo, s34, v3
	s_ashr_i32 s5, s4, 31
	v_add_co_ci_u32_e32 v3, vcc_lo, s35, v4, vcc_lo
	s_lshl_b64 s[4:5], s[4:5], 1
	s_cmpk_lt_i32 s48, 0x200
	v_add_co_u32 v1, vcc_lo, v1, v0
	s_cselect_b32 s6, s49, 64
	v_add_co_ci_u32_e32 v3, vcc_lo, 0, v3, vcc_lo
	s_ashr_i32 s7, s6, 31
	s_delay_alu instid0(VALU_DEP_2)
	v_add_co_u32 v4, vcc_lo, v1, s4
	s_lshl_b64 s[6:7], s[6:7], 1
	s_cmpk_lt_i32 s48, 0x300
	v_add_co_ci_u32_e32 v5, vcc_lo, s5, v3, vcc_lo
	s_cselect_b32 s8, s49, 0x80
	v_add_co_u32 v8, vcc_lo, v1, s6
	s_ashr_i32 s9, s8, 31
	v_add_co_ci_u32_e32 v9, vcc_lo, s7, v3, vcc_lo
	s_lshl_b64 s[8:9], s[8:9], 1
	s_cmpk_lt_i32 s48, 0x400
	v_add_co_u32 v10, vcc_lo, v1, s8
	s_cselect_b32 s10, s49, 0xc0
	v_add_co_ci_u32_e32 v11, vcc_lo, s9, v3, vcc_lo
	s_ashr_i32 s11, s10, 31
	v_dual_mov_b32 v32, 0 :: v_dual_mov_b32 v35, 0
	s_lshl_b64 s[10:11], s[10:11], 1
	s_cmpk_lt_i32 s48, 0x500
	v_add_co_u32 v12, vcc_lo, v1, s10
	s_cselect_b32 s18, s49, 0x100
	v_add_co_ci_u32_e32 v13, vcc_lo, s11, v3, vcc_lo
	s_ashr_i32 s19, s18, 31
	v_mov_b32_e32 v34, 0
	s_lshl_b64 s[18:19], s[18:19], 1
	s_cmpk_lt_i32 s48, 0x600
	v_add_co_u32 v14, vcc_lo, v1, s18
	s_cselect_b32 s20, s49, 0x140
	v_add_co_ci_u32_e32 v15, vcc_lo, s19, v3, vcc_lo
	s_ashr_i32 s21, s20, 31
	v_mov_b32_e32 v29, 0
	;; [unrolled: 7-line block ×3, first 2 shown]
	s_lshl_b64 s[24:25], s[24:25], 1
	s_cmpk_lt_i32 s48, 0x800
	v_add_co_u32 v18, vcc_lo, v1, s24
	s_cselect_b32 s26, s49, 0x1c0
	v_add_co_ci_u32_e32 v19, vcc_lo, s25, v3, vcc_lo
	s_ashr_i32 s27, s26, 31
	s_delay_alu instid0(SALU_CYCLE_1)
	s_lshl_b64 s[26:27], s[26:27], 1
	s_cmpk_lt_i32 s48, 0x900
	v_add_co_u32 v20, vcc_lo, v1, s26
	s_cselect_b32 s28, s49, 0x200
	v_add_co_ci_u32_e32 v21, vcc_lo, s27, v3, vcc_lo
	s_ashr_i32 s29, s28, 31
	s_clause 0x7
	global_load_u16 v7, v[4:5], off
	global_load_u16 v8, v[8:9], off
	;; [unrolled: 1-line block ×8, first 2 shown]
	s_lshl_b64 s[28:29], s[28:29], 1
	s_cmpk_lt_i32 s48, 0xa00
	v_add_co_u32 v12, vcc_lo, v1, s28
	s_cselect_b32 s30, s49, 0x240
	v_add_co_ci_u32_e32 v13, vcc_lo, s29, v3, vcc_lo
	s_ashr_i32 s31, s30, 31
	s_delay_alu instid0(SALU_CYCLE_1)
	s_lshl_b64 s[30:31], s[30:31], 1
	s_cmpk_lt_i32 s48, 0xb00
	v_add_co_u32 v15, vcc_lo, v1, s30
	s_cselect_b32 s34, s49, 0x280
	v_add_co_ci_u32_e32 v16, vcc_lo, s31, v3, vcc_lo
	s_ashr_i32 s35, s34, 31
	s_delay_alu instid0(SALU_CYCLE_1)
	;; [unrolled: 7-line block ×7, first 2 shown]
	s_lshl_b64 s[4:5], s[6:7], 1
	s_cmpk_gt_i32 s22, 0x1000
	v_add_co_u32 v27, vcc_lo, v1, s4
	v_add_co_ci_u32_e32 v28, vcc_lo, s5, v3, vcc_lo
	s_clause 0x7
	global_load_u16 v14, v[12:13], off
	global_load_u16 v15, v[15:16], off
	;; [unrolled: 1-line block ×8, first 2 shown]
	v_dual_mov_b32 v20, 0 :: v_dual_mov_b32 v23, 0
	v_dual_mov_b32 v21, 0 :: v_dual_mov_b32 v22, 0
	;; [unrolled: 1-line block ×4, first 2 shown]
	v_mov_b32_e32 v28, 0
	s_cselect_b32 s8, -1, 0
	s_cmpk_lt_i32 s22, 0x1001
	s_waitcnt vmcnt(0)
	s_barrier
	buffer_gl0_inv
	s_cbranch_scc1 .LBB78_11
; %bb.10:
	s_cmpk_lt_i32 s48, 0x1100
	s_cselect_b32 s4, s49, 0x400
	s_delay_alu instid0(SALU_CYCLE_1) | instskip(NEXT) | instid1(SALU_CYCLE_1)
	s_ashr_i32 s5, s4, 31
	s_lshl_b64 s[4:5], s[4:5], 1
	s_cmpk_lt_i32 s48, 0x1200
	v_add_co_u32 v20, vcc_lo, v1, s4
	s_cselect_b32 s6, s49, 0x440
	v_add_co_ci_u32_e32 v21, vcc_lo, s5, v3, vcc_lo
	s_ashr_i32 s7, s6, 31
	s_delay_alu instid0(SALU_CYCLE_1)
	s_lshl_b64 s[6:7], s[6:7], 1
	s_cmpk_lt_i32 s48, 0x1300
	v_add_co_u32 v22, vcc_lo, v1, s6
	s_cselect_b32 s10, s49, 0x480
	v_add_co_ci_u32_e32 v23, vcc_lo, s7, v3, vcc_lo
	s_ashr_i32 s11, s10, 31
	s_delay_alu instid0(SALU_CYCLE_1)
	;; [unrolled: 7-line block ×7, first 2 shown]
	s_lshl_b64 s[26:27], s[26:27], 1
	s_cmpk_lt_i32 s48, 0x1900
	v_add_co_u32 v34, vcc_lo, v1, s26
	s_cselect_b32 s28, s49, 0x600
	v_add_co_ci_u32_e32 v35, vcc_lo, s27, v3, vcc_lo
	s_ashr_i32 s29, s28, 31
	s_clause 0x7
	global_load_u16 v36, v[20:21], off
	global_load_u16 v37, v[22:23], off
	;; [unrolled: 1-line block ×8, first 2 shown]
	s_lshl_b64 s[28:29], s[28:29], 1
	s_cmpk_lt_i32 s48, 0x1a00
	v_add_co_u32 v20, vcc_lo, v1, s28
	s_cselect_b32 s30, s49, 0x640
	v_add_co_ci_u32_e32 v21, vcc_lo, s29, v3, vcc_lo
	s_ashr_i32 s31, s30, 31
	s_delay_alu instid0(SALU_CYCLE_1)
	s_lshl_b64 s[30:31], s[30:31], 1
	s_cmpk_lt_i32 s48, 0x1b00
	v_add_co_u32 v22, vcc_lo, v1, s30
	s_cselect_b32 s34, s49, 0x680
	v_add_co_ci_u32_e32 v23, vcc_lo, s31, v3, vcc_lo
	s_ashr_i32 s35, s34, 31
	s_delay_alu instid0(SALU_CYCLE_1)
	;; [unrolled: 7-line block ×6, first 2 shown]
	s_lshl_b64 s[4:5], s[20:21], 1
	s_cmpk_lt_i32 s48, 0x2000
	v_add_co_u32 v32, vcc_lo, v1, s4
	s_cselect_b32 s6, s49, 0x7c0
	v_add_co_ci_u32_e32 v33, vcc_lo, s5, v3, vcc_lo
	s_ashr_i32 s7, s6, 31
	s_delay_alu instid0(SALU_CYCLE_1) | instskip(NEXT) | instid1(SALU_CYCLE_1)
	s_lshl_b64 s[4:5], s[6:7], 1
	v_add_co_u32 v34, vcc_lo, v1, s4
	v_add_co_ci_u32_e32 v35, vcc_lo, s5, v3, vcc_lo
	s_clause 0x7
	global_load_u16 v20, v[20:21], off
	global_load_u16 v21, v[22:23], off
	;; [unrolled: 1-line block ×8, first 2 shown]
	s_waitcnt vmcnt(15)
	v_cvt_f32_f16_e32 v35, v36
	s_waitcnt vmcnt(14)
	v_cvt_f32_f16_e32 v34, v37
	;; [unrolled: 2-line block ×16, first 2 shown]
.LBB78_11:
	ds_load_b128 v[36:39], v2
	ds_load_b128 v[40:43], v2 offset:16
	s_and_not1_b32 vcc_lo, exec_lo, s8
	s_waitcnt lgkmcnt(1)
	v_fma_mix_f32 v7, v36, v7, 0 op_sel_hi:[0,1,0]
	s_delay_alu instid0(VALU_DEP_1) | instskip(NEXT) | instid1(VALU_DEP_1)
	v_fma_mix_f32 v7, v37, v8, v7 op_sel_hi:[0,1,0]
	v_fma_mix_f32 v7, v38, v9, v7 op_sel_hi:[0,1,0]
	s_delay_alu instid0(VALU_DEP_1)
	v_fma_mix_f32 v7, v39, v10, v7 op_sel_hi:[0,1,0]
	ds_load_b128 v[36:39], v2 offset:48
	s_waitcnt lgkmcnt(1)
	v_fma_mix_f32 v11, v40, v11, v7 op_sel_hi:[0,1,0]
	ds_load_b128 v[7:10], v2 offset:32
	v_fma_mix_f32 v4, v41, v4, v11 op_sel_hi:[0,1,0]
	s_delay_alu instid0(VALU_DEP_1) | instskip(NEXT) | instid1(VALU_DEP_1)
	v_fma_mix_f32 v4, v42, v5, v4 op_sel_hi:[0,1,0]
	v_fma_mix_f32 v4, v43, v6, v4 op_sel_hi:[0,1,0]
	s_waitcnt lgkmcnt(0)
	s_delay_alu instid0(VALU_DEP_1) | instskip(NEXT) | instid1(VALU_DEP_1)
	v_fma_mix_f32 v4, v7, v14, v4 op_sel_hi:[0,1,0]
	v_fma_mix_f32 v4, v8, v15, v4 op_sel_hi:[0,1,0]
	s_delay_alu instid0(VALU_DEP_1) | instskip(NEXT) | instid1(VALU_DEP_1)
	v_fma_mix_f32 v4, v9, v16, v4 op_sel_hi:[0,1,0]
	v_fma_mix_f32 v4, v10, v17, v4 op_sel_hi:[0,1,0]
	;; [unrolled: 3-line block ×4, first 2 shown]
	s_cbranch_vccz .LBB78_20
; %bb.12:
	s_cmpk_lt_i32 s48, 0x2100
	s_cbranch_scc0 .LBB78_21
.LBB78_13:
	s_cmpk_lt_i32 s48, 0x4100
	s_cbranch_scc0 .LBB78_22
.LBB78_14:
	s_cmpk_lt_i32 s48, 0x6100
	s_cbranch_scc0 .LBB78_23
.LBB78_15:
	s_load_b64 s[0:1], s[0:1], 0x0
	s_cmp_lt_i32 s48, 0x8100
	s_cbranch_scc0 .LBB78_24
.LBB78_16:
	v_mov_b32_e32 v1, 0
	s_and_not1_b32 vcc_lo, exec_lo, s15
	ds_load_b32 v1, v1 offset:640
	s_cbranch_vccnz .LBB78_18
.LBB78_17:
	s_add_u32 s2, s12, s16
	s_addc_u32 s3, s13, s17
	s_load_b32 s2, s[2:3], 0x0
	s_mov_b32 s3, 0
.LBB78_18:
	s_waitcnt lgkmcnt(0)
	v_add_f32_e32 v1, 0x358637bd, v1
	s_mul_i32 s3, s33, s3
	s_mul_hi_u32 s4, s33, s2
	s_mul_i32 s2, s33, s2
	s_add_i32 s3, s4, s3
	v_div_scale_f32 v2, null, v1, v1, 1.0
	s_lshl_b64 s[2:3], s[2:3], 7
	s_mov_b32 s15, 0
	s_add_u32 s2, s0, s2
	s_delay_alu instid0(VALU_DEP_1) | instskip(SKIP_2) | instid1(SALU_CYCLE_1)
	v_rcp_f32_e32 v3, v2
	s_addc_u32 s3, s1, s3
	s_lshl_b64 s[0:1], s[14:15], 7
	s_add_u32 s0, s2, s0
	s_addc_u32 s1, s3, s1
	s_waitcnt_depctr 0xfff
	v_fma_f32 v5, -v2, v3, 1.0
	s_delay_alu instid0(VALU_DEP_1) | instskip(SKIP_1) | instid1(VALU_DEP_1)
	v_fmac_f32_e32 v3, v5, v3
	v_div_scale_f32 v5, vcc_lo, 1.0, v1, 1.0
	v_mul_f32_e32 v6, v5, v3
	s_delay_alu instid0(VALU_DEP_1) | instskip(NEXT) | instid1(VALU_DEP_1)
	v_fma_f32 v7, -v2, v6, v5
	v_fmac_f32_e32 v6, v7, v3
	s_delay_alu instid0(VALU_DEP_1) | instskip(NEXT) | instid1(VALU_DEP_1)
	v_fma_f32 v2, -v2, v6, v5
	v_div_fmas_f32 v2, v2, v3, v6
	s_delay_alu instid0(VALU_DEP_1) | instskip(NEXT) | instid1(VALU_DEP_1)
	v_div_fixup_f32 v1, v2, v1, 1.0
	v_fma_mixlo_f16 v1, v4, v1, 0
	global_store_b16 v0, v1, s[0:1]
	s_nop 0
	s_sendmsg sendmsg(MSG_DEALLOC_VGPRS)
	s_endpgm
.LBB78_19:
	s_mov_b32 s4, 0
	s_branch .LBB78_2
.LBB78_20:
	ds_load_b128 v[5:8], v2 offset:64
	ds_load_b128 v[9:12], v2 offset:80
	s_waitcnt lgkmcnt(1)
	v_fmac_f32_e32 v4, v5, v35
	s_delay_alu instid0(VALU_DEP_1) | instskip(NEXT) | instid1(VALU_DEP_1)
	v_fmac_f32_e32 v4, v6, v34
	v_fmac_f32_e32 v4, v7, v33
	s_delay_alu instid0(VALU_DEP_1) | instskip(SKIP_3) | instid1(VALU_DEP_1)
	v_fmac_f32_e32 v4, v8, v32
	ds_load_b128 v[5:8], v2 offset:96
	s_waitcnt lgkmcnt(1)
	v_fmac_f32_e32 v4, v9, v31
	v_fmac_f32_e32 v4, v10, v30
	s_delay_alu instid0(VALU_DEP_1) | instskip(NEXT) | instid1(VALU_DEP_1)
	v_fmac_f32_e32 v4, v11, v29
	v_fmac_f32_e32 v4, v12, v28
	ds_load_b128 v[9:12], v2 offset:112
	s_waitcnt lgkmcnt(1)
	v_fmac_f32_e32 v4, v5, v27
	s_delay_alu instid0(VALU_DEP_1) | instskip(NEXT) | instid1(VALU_DEP_1)
	v_fmac_f32_e32 v4, v6, v26
	v_fmac_f32_e32 v4, v7, v25
	s_delay_alu instid0(VALU_DEP_1) | instskip(SKIP_1) | instid1(VALU_DEP_1)
	v_fmac_f32_e32 v4, v8, v24
	s_waitcnt lgkmcnt(0)
	v_fmac_f32_e32 v4, v9, v23
	s_delay_alu instid0(VALU_DEP_1) | instskip(NEXT) | instid1(VALU_DEP_1)
	v_fmac_f32_e32 v4, v10, v22
	v_fmac_f32_e32 v4, v11, v21
	s_delay_alu instid0(VALU_DEP_1)
	v_fmac_f32_e32 v4, v12, v20
	s_cmpk_lt_i32 s48, 0x2100
	s_cbranch_scc1 .LBB78_13
.LBB78_21:
	s_cmpk_lt_i32 s48, 0x2200
	v_add_co_u32 v5, vcc_lo, 0x1000, v1
	s_cselect_b32 s4, s49, 0x840
	v_add_co_ci_u32_e32 v6, vcc_lo, 0, v3, vcc_lo
	s_ashr_i32 s5, s4, 31
	v_mov_b32_e32 v44, 0
	s_lshl_b64 s[4:5], s[4:5], 1
	s_cmpk_lt_i32 s48, 0x2300
	v_add_co_u32 v7, vcc_lo, v1, s4
	s_cselect_b32 s6, s49, 0x880
	v_add_co_ci_u32_e32 v8, vcc_lo, s5, v3, vcc_lo
	s_ashr_i32 s7, s6, 31
	s_delay_alu instid0(SALU_CYCLE_1)
	s_lshl_b64 s[6:7], s[6:7], 1
	s_cmpk_lt_i32 s48, 0x2400
	v_add_co_u32 v9, vcc_lo, v1, s6
	s_cselect_b32 s8, s49, 0x8c0
	v_add_co_ci_u32_e32 v10, vcc_lo, s7, v3, vcc_lo
	s_ashr_i32 s9, s8, 31
	s_delay_alu instid0(SALU_CYCLE_1)
	s_lshl_b64 s[8:9], s[8:9], 1
	s_cmpk_lt_i32 s48, 0x2500
	v_add_co_u32 v11, vcc_lo, v1, s8
	s_cselect_b32 s10, s49, 0x900
	v_add_co_ci_u32_e32 v12, vcc_lo, s9, v3, vcc_lo
	s_ashr_i32 s11, s10, 31
	s_delay_alu instid0(SALU_CYCLE_1)
	s_lshl_b64 s[10:11], s[10:11], 1
	s_cmpk_lt_i32 s48, 0x2600
	v_add_co_u32 v13, vcc_lo, v1, s10
	s_cselect_b32 s18, s49, 0x940
	v_add_co_ci_u32_e32 v14, vcc_lo, s11, v3, vcc_lo
	s_ashr_i32 s19, s18, 31
	s_delay_alu instid0(SALU_CYCLE_1)
	s_lshl_b64 s[20:21], s[18:19], 1
	s_cmpk_lt_i32 s48, 0x2700
	v_add_co_u32 v15, vcc_lo, v1, s20
	s_cselect_b32 s18, s49, 0x980
	v_add_co_ci_u32_e32 v16, vcc_lo, s21, v3, vcc_lo
	s_ashr_i32 s19, s18, 31
	s_delay_alu instid0(SALU_CYCLE_1)
	s_lshl_b64 s[22:23], s[18:19], 1
	s_cmpk_lt_i32 s48, 0x2800
	v_add_co_u32 v17, vcc_lo, v1, s22
	s_cselect_b32 s18, s49, 0x9c0
	v_add_co_ci_u32_e32 v18, vcc_lo, s23, v3, vcc_lo
	s_ashr_i32 s19, s18, 31
	s_delay_alu instid0(SALU_CYCLE_1)
	s_lshl_b64 s[26:27], s[18:19], 1
	s_cmpk_lt_i32 s48, 0x2900
	v_add_co_u32 v19, vcc_lo, v1, s26
	s_cselect_b32 s18, s49, 0xa00
	v_add_co_ci_u32_e32 v20, vcc_lo, s27, v3, vcc_lo
	s_ashr_i32 s19, s18, 31
	s_clause 0x7
	global_load_u16 v2, v[5:6], off
	global_load_u16 v21, v[7:8], off
	;; [unrolled: 1-line block ×8, first 2 shown]
	s_lshl_b64 s[18:19], s[18:19], 1
	s_cmpk_lt_i32 s48, 0x2a00
	v_add_co_u32 v5, vcc_lo, v1, s18
	s_cselect_b32 s24, s49, 0xa40
	v_add_co_ci_u32_e32 v6, vcc_lo, s19, v3, vcc_lo
	s_ashr_i32 s25, s24, 31
	s_delay_alu instid0(SALU_CYCLE_1)
	s_lshl_b64 s[24:25], s[24:25], 1
	s_cmpk_lt_i32 s48, 0x2b00
	v_add_co_u32 v7, vcc_lo, v1, s24
	s_cselect_b32 s28, s49, 0xa80
	v_add_co_ci_u32_e32 v8, vcc_lo, s25, v3, vcc_lo
	s_ashr_i32 s29, s28, 31
	s_delay_alu instid0(SALU_CYCLE_1)
	;; [unrolled: 7-line block ×7, first 2 shown]
	s_lshl_b64 s[44:45], s[36:37], 1
	s_cmpk_lt_i32 s48, 0x3100
	v_add_co_u32 v19, vcc_lo, v1, s44
	s_cselect_b32 s36, s49, 0xc00
	v_add_co_ci_u32_e32 v20, vcc_lo, s45, v3, vcc_lo
	s_ashr_i32 s37, s36, 31
	s_clause 0x7
	global_load_u16 v28, v[5:6], off
	global_load_u16 v29, v[7:8], off
	;; [unrolled: 1-line block ×8, first 2 shown]
	s_lshl_b64 s[36:37], s[36:37], 1
	s_cmpk_lt_i32 s48, 0x3200
	v_add_co_u32 v5, vcc_lo, v1, s36
	s_cselect_b32 s42, s49, 0xc40
	v_add_co_ci_u32_e32 v6, vcc_lo, s37, v3, vcc_lo
	s_ashr_i32 s43, s42, 31
	s_delay_alu instid0(SALU_CYCLE_1)
	s_lshl_b64 s[42:43], s[42:43], 1
	s_cmpk_lt_i32 s48, 0x3300
	v_add_co_u32 v7, vcc_lo, v1, s42
	s_cselect_b32 s46, s49, 0xc80
	v_add_co_ci_u32_e32 v8, vcc_lo, s43, v3, vcc_lo
	s_ashr_i32 s47, s46, 31
	s_delay_alu instid0(SALU_CYCLE_1)
	;; [unrolled: 7-line block ×5, first 2 shown]
	s_lshl_b64 s[8:9], s[8:9], 1
	s_cmpk_lt_i32 s48, 0x3700
	v_add_co_u32 v15, vcc_lo, v1, s8
	s_cselect_b32 s10, s49, 0xd80
	v_add_co_ci_u32_e32 v16, vcc_lo, s9, v3, vcc_lo
	s_ashr_i32 s11, s10, 31
	s_clause 0x5
	global_load_u16 v19, v[5:6], off
	global_load_u16 v20, v[7:8], off
	;; [unrolled: 1-line block ×6, first 2 shown]
	s_lshl_b64 s[10:11], s[10:11], 1
	s_cmpk_lt_i32 s48, 0x3800
	v_add_co_u32 v5, vcc_lo, v1, s10
	s_cselect_b32 s18, s49, 0xdc0
	v_add_co_ci_u32_e32 v6, vcc_lo, s11, v3, vcc_lo
	s_ashr_i32 s19, s18, 31
	s_delay_alu instid0(SALU_CYCLE_1)
	s_lshl_b64 s[18:19], s[18:19], 1
	s_cmpk_lt_i32 s48, 0x3900
	v_add_co_u32 v7, vcc_lo, v1, s18
	s_cselect_b32 s20, s49, 0xe00
	v_add_co_ci_u32_e32 v8, vcc_lo, s19, v3, vcc_lo
	s_ashr_i32 s21, s20, 31
	global_load_u16 v16, v[5:6], off
	s_lshl_b64 s[20:21], s[20:21], 1
	global_load_u16 v37, v[7:8], off
	s_cmpk_lt_i32 s48, 0x3a00
	v_add_co_u32 v9, vcc_lo, v1, s20
	s_cselect_b32 s22, s49, 0xe40
	v_add_co_ci_u32_e32 v10, vcc_lo, s21, v3, vcc_lo
	s_ashr_i32 s23, s22, 31
	s_delay_alu instid0(SALU_CYCLE_1)
	s_lshl_b64 s[22:23], s[22:23], 1
	s_cmpk_lt_i32 s48, 0x3b00
	v_add_co_u32 v11, vcc_lo, v1, s22
	s_cselect_b32 s4, s49, 0xe80
	v_add_co_ci_u32_e32 v12, vcc_lo, s23, v3, vcc_lo
	s_ashr_i32 s5, s4, 31
	s_delay_alu instid0(SALU_CYCLE_1)
	s_lshl_b64 s[4:5], s[4:5], 1
	s_cmpk_lt_i32 s48, 0x3c00
	v_add_co_u32 v13, vcc_lo, v1, s4
	s_cselect_b32 s6, s49, 0xec0
	v_add_co_ci_u32_e32 v14, vcc_lo, s5, v3, vcc_lo
	s_ashr_i32 s7, s6, 31
	s_clause 0x2
	global_load_u16 v38, v[9:10], off
	global_load_u16 v39, v[11:12], off
	;; [unrolled: 1-line block ×3, first 2 shown]
	s_lshl_b64 s[6:7], s[6:7], 1
	s_cmpk_lt_i32 s48, 0x3d00
	v_add_co_u32 v5, vcc_lo, v1, s6
	s_cselect_b32 s8, s49, 0xf00
	v_add_co_ci_u32_e32 v6, vcc_lo, s7, v3, vcc_lo
	s_ashr_i32 s9, s8, 31
	s_delay_alu instid0(SALU_CYCLE_1)
	s_lshl_b64 s[4:5], s[8:9], 1
	s_cmpk_lt_i32 s48, 0x3e00
	v_add_co_u32 v7, vcc_lo, v1, s4
	s_cselect_b32 s8, s49, 0xf40
	v_add_co_ci_u32_e32 v8, vcc_lo, s5, v3, vcc_lo
	s_ashr_i32 s9, s8, 31
	global_load_u16 v14, v[5:6], off
	s_lshl_b64 s[8:9], s[8:9], 1
	s_cmpk_lt_i32 s48, 0x3f00
	v_add_co_u32 v9, vcc_lo, v1, s8
	s_cselect_b32 s6, s49, 0xf80
	v_add_co_ci_u32_e32 v10, vcc_lo, s9, v3, vcc_lo
	s_ashr_i32 s7, s6, 31
	s_clause 0x1
	global_load_u16 v40, v[7:8], off
	global_load_u16 v41, v[9:10], off
	s_lshl_b64 s[4:5], s[6:7], 1
	s_cmpk_lt_i32 s48, 0x4000
	v_add_co_u32 v5, vcc_lo, v1, s4
	s_cselect_b32 s6, s49, 0xfc0
	v_add_co_ci_u32_e32 v6, vcc_lo, s5, v3, vcc_lo
	s_ashr_i32 s7, s6, 31
	s_delay_alu instid0(SALU_CYCLE_1) | instskip(NEXT) | instid1(SALU_CYCLE_1)
	s_lshl_b64 s[4:5], s[6:7], 1
	v_add_co_u32 v7, vcc_lo, v1, s4
	v_add_co_ci_u32_e32 v8, vcc_lo, s5, v3, vcc_lo
	s_clause 0x1
	global_load_u16 v42, v[5:6], off
	global_load_u16 v43, v[7:8], off
	ds_load_b128 v[5:8], v44 offset:128
	ds_load_b128 v[9:12], v44 offset:144
	s_waitcnt vmcnt(31) lgkmcnt(1)
	v_fma_mix_f32 v2, v5, v2, v4 op_sel_hi:[0,1,0]
	s_waitcnt vmcnt(30)
	s_delay_alu instid0(VALU_DEP_1) | instskip(SKIP_1) | instid1(VALU_DEP_1)
	v_fma_mix_f32 v2, v6, v21, v2 op_sel_hi:[0,1,0]
	s_waitcnt vmcnt(29)
	v_fma_mix_f32 v2, v7, v22, v2 op_sel_hi:[0,1,0]
	ds_load_b128 v[4:7], v44 offset:160
	s_waitcnt vmcnt(28)
	v_fma_mix_f32 v2, v8, v23, v2 op_sel_hi:[0,1,0]
	s_waitcnt vmcnt(27) lgkmcnt(1)
	s_delay_alu instid0(VALU_DEP_1) | instskip(SKIP_1) | instid1(VALU_DEP_1)
	v_fma_mix_f32 v2, v9, v24, v2 op_sel_hi:[0,1,0]
	s_waitcnt vmcnt(26)
	v_fma_mix_f32 v2, v10, v25, v2 op_sel_hi:[0,1,0]
	s_waitcnt vmcnt(25)
	s_delay_alu instid0(VALU_DEP_1) | instskip(SKIP_4) | instid1(VALU_DEP_1)
	v_fma_mix_f32 v2, v11, v26, v2 op_sel_hi:[0,1,0]
	ds_load_b128 v[8:11], v44 offset:176
	s_waitcnt vmcnt(24)
	v_fma_mix_f32 v2, v12, v27, v2 op_sel_hi:[0,1,0]
	s_waitcnt vmcnt(23) lgkmcnt(1)
	v_fma_mix_f32 v2, v4, v28, v2 op_sel_hi:[0,1,0]
	s_waitcnt vmcnt(22)
	s_delay_alu instid0(VALU_DEP_1) | instskip(SKIP_1) | instid1(VALU_DEP_1)
	v_fma_mix_f32 v2, v5, v29, v2 op_sel_hi:[0,1,0]
	s_waitcnt vmcnt(21)
	v_fma_mix_f32 v2, v6, v30, v2 op_sel_hi:[0,1,0]
	s_waitcnt vmcnt(20)
	s_delay_alu instid0(VALU_DEP_1) | instskip(SKIP_4) | instid1(VALU_DEP_1)
	v_fma_mix_f32 v2, v7, v31, v2 op_sel_hi:[0,1,0]
	ds_load_b128 v[4:7], v44 offset:192
	s_waitcnt vmcnt(19) lgkmcnt(1)
	v_fma_mix_f32 v2, v8, v32, v2 op_sel_hi:[0,1,0]
	s_waitcnt vmcnt(18)
	v_fma_mix_f32 v2, v9, v33, v2 op_sel_hi:[0,1,0]
	s_waitcnt vmcnt(17)
	s_delay_alu instid0(VALU_DEP_1) | instskip(SKIP_1) | instid1(VALU_DEP_1)
	v_fma_mix_f32 v2, v10, v17, v2 op_sel_hi:[0,1,0]
	s_waitcnt vmcnt(16)
	v_fma_mix_f32 v2, v11, v18, v2 op_sel_hi:[0,1,0]
	ds_load_b128 v[8:11], v44 offset:208
	s_waitcnt vmcnt(15) lgkmcnt(1)
	v_fma_mix_f32 v2, v4, v19, v2 op_sel_hi:[0,1,0]
	s_waitcnt vmcnt(14)
	s_delay_alu instid0(VALU_DEP_1) | instskip(SKIP_1) | instid1(VALU_DEP_1)
	v_fma_mix_f32 v2, v5, v20, v2 op_sel_hi:[0,1,0]
	s_waitcnt vmcnt(13)
	v_fma_mix_f32 v2, v6, v34, v2 op_sel_hi:[0,1,0]
	s_waitcnt vmcnt(12)
	s_delay_alu instid0(VALU_DEP_1) | instskip(SKIP_4) | instid1(VALU_DEP_1)
	v_fma_mix_f32 v2, v7, v35, v2 op_sel_hi:[0,1,0]
	ds_load_b128 v[4:7], v44 offset:224
	s_waitcnt vmcnt(11) lgkmcnt(1)
	v_fma_mix_f32 v2, v8, v36, v2 op_sel_hi:[0,1,0]
	s_waitcnt vmcnt(10)
	v_fma_mix_f32 v2, v9, v15, v2 op_sel_hi:[0,1,0]
	s_waitcnt vmcnt(9)
	s_delay_alu instid0(VALU_DEP_1) | instskip(SKIP_1) | instid1(VALU_DEP_1)
	v_fma_mix_f32 v2, v10, v16, v2 op_sel_hi:[0,1,0]
	s_waitcnt vmcnt(8)
	v_fma_mix_f32 v2, v11, v37, v2 op_sel_hi:[0,1,0]
	ds_load_b128 v[8:11], v44 offset:240
	s_waitcnt vmcnt(7) lgkmcnt(1)
	v_fma_mix_f32 v2, v4, v38, v2 op_sel_hi:[0,1,0]
	s_waitcnt vmcnt(6)
	s_delay_alu instid0(VALU_DEP_1) | instskip(SKIP_1) | instid1(VALU_DEP_1)
	v_fma_mix_f32 v2, v5, v39, v2 op_sel_hi:[0,1,0]
	s_waitcnt vmcnt(5)
	v_fma_mix_f32 v2, v6, v13, v2 op_sel_hi:[0,1,0]
	s_waitcnt vmcnt(4)
	s_delay_alu instid0(VALU_DEP_1) | instskip(SKIP_1) | instid1(VALU_DEP_1)
	v_fma_mix_f32 v2, v7, v14, v2 op_sel_hi:[0,1,0]
	s_waitcnt vmcnt(3) lgkmcnt(0)
	v_fma_mix_f32 v2, v8, v40, v2 op_sel_hi:[0,1,0]
	s_waitcnt vmcnt(2)
	s_delay_alu instid0(VALU_DEP_1) | instskip(SKIP_1) | instid1(VALU_DEP_1)
	v_fma_mix_f32 v2, v9, v41, v2 op_sel_hi:[0,1,0]
	s_waitcnt vmcnt(1)
	v_fma_mix_f32 v2, v10, v42, v2 op_sel_hi:[0,1,0]
	s_waitcnt vmcnt(0)
	s_delay_alu instid0(VALU_DEP_1)
	v_fma_mix_f32 v4, v11, v43, v2 op_sel_hi:[0,1,0]
	s_cmpk_lt_i32 s48, 0x4100
	s_cbranch_scc1 .LBB78_14
.LBB78_22:
	s_cmpk_lt_i32 s48, 0x4200
	v_add_co_u32 v5, vcc_lo, 0x2000, v1
	s_cselect_b32 s4, s49, 0x1040
	v_add_co_ci_u32_e32 v6, vcc_lo, 0, v3, vcc_lo
	s_ashr_i32 s5, s4, 31
	v_mov_b32_e32 v44, 0
	s_lshl_b64 s[4:5], s[4:5], 1
	s_cmpk_lt_i32 s48, 0x4300
	v_add_co_u32 v7, vcc_lo, v1, s4
	s_cselect_b32 s6, s49, 0x1080
	v_add_co_ci_u32_e32 v8, vcc_lo, s5, v3, vcc_lo
	s_ashr_i32 s7, s6, 31
	s_delay_alu instid0(SALU_CYCLE_1)
	s_lshl_b64 s[6:7], s[6:7], 1
	s_cmpk_lt_i32 s48, 0x4400
	v_add_co_u32 v9, vcc_lo, v1, s6
	s_cselect_b32 s8, s49, 0x10c0
	v_add_co_ci_u32_e32 v10, vcc_lo, s7, v3, vcc_lo
	s_ashr_i32 s9, s8, 31
	s_delay_alu instid0(SALU_CYCLE_1)
	;; [unrolled: 7-line block ×6, first 2 shown]
	s_lshl_b64 s[26:27], s[18:19], 1
	s_cmpk_lt_i32 s48, 0x4900
	v_add_co_u32 v19, vcc_lo, v1, s26
	s_cselect_b32 s18, s49, 0x1200
	v_add_co_ci_u32_e32 v20, vcc_lo, s27, v3, vcc_lo
	s_ashr_i32 s19, s18, 31
	s_clause 0x7
	global_load_u16 v2, v[5:6], off
	global_load_u16 v21, v[7:8], off
	;; [unrolled: 1-line block ×8, first 2 shown]
	s_lshl_b64 s[18:19], s[18:19], 1
	s_cmpk_lt_i32 s48, 0x4a00
	v_add_co_u32 v5, vcc_lo, v1, s18
	s_cselect_b32 s24, s49, 0x1240
	v_add_co_ci_u32_e32 v6, vcc_lo, s19, v3, vcc_lo
	s_ashr_i32 s25, s24, 31
	s_delay_alu instid0(SALU_CYCLE_1)
	s_lshl_b64 s[24:25], s[24:25], 1
	s_cmpk_lt_i32 s48, 0x4b00
	v_add_co_u32 v7, vcc_lo, v1, s24
	s_cselect_b32 s28, s49, 0x1280
	v_add_co_ci_u32_e32 v8, vcc_lo, s25, v3, vcc_lo
	s_ashr_i32 s29, s28, 31
	s_delay_alu instid0(SALU_CYCLE_1)
	;; [unrolled: 7-line block ×7, first 2 shown]
	s_lshl_b64 s[44:45], s[36:37], 1
	s_cmpk_lt_i32 s48, 0x5100
	v_add_co_u32 v19, vcc_lo, v1, s44
	s_cselect_b32 s36, s49, 0x1400
	v_add_co_ci_u32_e32 v20, vcc_lo, s45, v3, vcc_lo
	s_ashr_i32 s37, s36, 31
	s_clause 0x7
	global_load_u16 v28, v[5:6], off
	global_load_u16 v29, v[7:8], off
	;; [unrolled: 1-line block ×8, first 2 shown]
	s_lshl_b64 s[36:37], s[36:37], 1
	s_cmpk_lt_i32 s48, 0x5200
	v_add_co_u32 v5, vcc_lo, v1, s36
	s_cselect_b32 s42, s49, 0x1440
	v_add_co_ci_u32_e32 v6, vcc_lo, s37, v3, vcc_lo
	s_ashr_i32 s43, s42, 31
	s_delay_alu instid0(SALU_CYCLE_1)
	s_lshl_b64 s[42:43], s[42:43], 1
	s_cmpk_lt_i32 s48, 0x5300
	v_add_co_u32 v7, vcc_lo, v1, s42
	s_cselect_b32 s46, s49, 0x1480
	v_add_co_ci_u32_e32 v8, vcc_lo, s43, v3, vcc_lo
	s_ashr_i32 s47, s46, 31
	s_delay_alu instid0(SALU_CYCLE_1)
	;; [unrolled: 7-line block ×5, first 2 shown]
	s_lshl_b64 s[8:9], s[8:9], 1
	s_cmpk_lt_i32 s48, 0x5700
	v_add_co_u32 v15, vcc_lo, v1, s8
	s_cselect_b32 s10, s49, 0x1580
	v_add_co_ci_u32_e32 v16, vcc_lo, s9, v3, vcc_lo
	s_ashr_i32 s11, s10, 31
	s_clause 0x5
	global_load_u16 v19, v[5:6], off
	global_load_u16 v20, v[7:8], off
	;; [unrolled: 1-line block ×6, first 2 shown]
	s_lshl_b64 s[10:11], s[10:11], 1
	s_cmpk_lt_i32 s48, 0x5800
	v_add_co_u32 v5, vcc_lo, v1, s10
	s_cselect_b32 s18, s49, 0x15c0
	v_add_co_ci_u32_e32 v6, vcc_lo, s11, v3, vcc_lo
	s_ashr_i32 s19, s18, 31
	s_delay_alu instid0(SALU_CYCLE_1)
	s_lshl_b64 s[18:19], s[18:19], 1
	s_cmpk_lt_i32 s48, 0x5900
	v_add_co_u32 v7, vcc_lo, v1, s18
	s_cselect_b32 s20, s49, 0x1600
	v_add_co_ci_u32_e32 v8, vcc_lo, s19, v3, vcc_lo
	s_ashr_i32 s21, s20, 31
	global_load_u16 v16, v[5:6], off
	s_lshl_b64 s[20:21], s[20:21], 1
	global_load_u16 v37, v[7:8], off
	s_cmpk_lt_i32 s48, 0x5a00
	v_add_co_u32 v9, vcc_lo, v1, s20
	s_cselect_b32 s22, s49, 0x1640
	v_add_co_ci_u32_e32 v10, vcc_lo, s21, v3, vcc_lo
	s_ashr_i32 s23, s22, 31
	s_delay_alu instid0(SALU_CYCLE_1)
	s_lshl_b64 s[22:23], s[22:23], 1
	s_cmpk_lt_i32 s48, 0x5b00
	v_add_co_u32 v11, vcc_lo, v1, s22
	s_cselect_b32 s4, s49, 0x1680
	v_add_co_ci_u32_e32 v12, vcc_lo, s23, v3, vcc_lo
	s_ashr_i32 s5, s4, 31
	s_delay_alu instid0(SALU_CYCLE_1)
	s_lshl_b64 s[4:5], s[4:5], 1
	s_cmpk_lt_i32 s48, 0x5c00
	v_add_co_u32 v13, vcc_lo, v1, s4
	s_cselect_b32 s6, s49, 0x16c0
	v_add_co_ci_u32_e32 v14, vcc_lo, s5, v3, vcc_lo
	s_ashr_i32 s7, s6, 31
	s_clause 0x2
	global_load_u16 v38, v[9:10], off
	global_load_u16 v39, v[11:12], off
	;; [unrolled: 1-line block ×3, first 2 shown]
	s_lshl_b64 s[6:7], s[6:7], 1
	s_cmpk_lt_i32 s48, 0x5d00
	v_add_co_u32 v5, vcc_lo, v1, s6
	s_cselect_b32 s8, s49, 0x1700
	v_add_co_ci_u32_e32 v6, vcc_lo, s7, v3, vcc_lo
	s_ashr_i32 s9, s8, 31
	s_delay_alu instid0(SALU_CYCLE_1)
	s_lshl_b64 s[4:5], s[8:9], 1
	s_cmpk_lt_i32 s48, 0x5e00
	v_add_co_u32 v7, vcc_lo, v1, s4
	s_cselect_b32 s8, s49, 0x1740
	v_add_co_ci_u32_e32 v8, vcc_lo, s5, v3, vcc_lo
	s_ashr_i32 s9, s8, 31
	global_load_u16 v14, v[5:6], off
	s_lshl_b64 s[8:9], s[8:9], 1
	s_cmpk_lt_i32 s48, 0x5f00
	v_add_co_u32 v9, vcc_lo, v1, s8
	s_cselect_b32 s6, s49, 0x1780
	v_add_co_ci_u32_e32 v10, vcc_lo, s9, v3, vcc_lo
	s_ashr_i32 s7, s6, 31
	s_clause 0x1
	global_load_u16 v40, v[7:8], off
	global_load_u16 v41, v[9:10], off
	s_lshl_b64 s[4:5], s[6:7], 1
	s_cmpk_lt_i32 s48, 0x6000
	v_add_co_u32 v5, vcc_lo, v1, s4
	s_cselect_b32 s6, s49, 0x17c0
	v_add_co_ci_u32_e32 v6, vcc_lo, s5, v3, vcc_lo
	s_ashr_i32 s7, s6, 31
	s_delay_alu instid0(SALU_CYCLE_1) | instskip(NEXT) | instid1(SALU_CYCLE_1)
	s_lshl_b64 s[4:5], s[6:7], 1
	v_add_co_u32 v7, vcc_lo, v1, s4
	v_add_co_ci_u32_e32 v8, vcc_lo, s5, v3, vcc_lo
	s_clause 0x1
	global_load_u16 v42, v[5:6], off
	global_load_u16 v43, v[7:8], off
	ds_load_b128 v[5:8], v44 offset:256
	ds_load_b128 v[9:12], v44 offset:272
	s_waitcnt vmcnt(31) lgkmcnt(1)
	v_fma_mix_f32 v2, v5, v2, v4 op_sel_hi:[0,1,0]
	s_waitcnt vmcnt(30)
	s_delay_alu instid0(VALU_DEP_1) | instskip(SKIP_1) | instid1(VALU_DEP_1)
	v_fma_mix_f32 v2, v6, v21, v2 op_sel_hi:[0,1,0]
	s_waitcnt vmcnt(29)
	v_fma_mix_f32 v2, v7, v22, v2 op_sel_hi:[0,1,0]
	ds_load_b128 v[4:7], v44 offset:288
	s_waitcnt vmcnt(28)
	v_fma_mix_f32 v2, v8, v23, v2 op_sel_hi:[0,1,0]
	s_waitcnt vmcnt(27) lgkmcnt(1)
	s_delay_alu instid0(VALU_DEP_1) | instskip(SKIP_1) | instid1(VALU_DEP_1)
	v_fma_mix_f32 v2, v9, v24, v2 op_sel_hi:[0,1,0]
	s_waitcnt vmcnt(26)
	v_fma_mix_f32 v2, v10, v25, v2 op_sel_hi:[0,1,0]
	s_waitcnt vmcnt(25)
	s_delay_alu instid0(VALU_DEP_1) | instskip(SKIP_4) | instid1(VALU_DEP_1)
	v_fma_mix_f32 v2, v11, v26, v2 op_sel_hi:[0,1,0]
	ds_load_b128 v[8:11], v44 offset:304
	s_waitcnt vmcnt(24)
	v_fma_mix_f32 v2, v12, v27, v2 op_sel_hi:[0,1,0]
	s_waitcnt vmcnt(23) lgkmcnt(1)
	v_fma_mix_f32 v2, v4, v28, v2 op_sel_hi:[0,1,0]
	s_waitcnt vmcnt(22)
	s_delay_alu instid0(VALU_DEP_1) | instskip(SKIP_1) | instid1(VALU_DEP_1)
	v_fma_mix_f32 v2, v5, v29, v2 op_sel_hi:[0,1,0]
	s_waitcnt vmcnt(21)
	v_fma_mix_f32 v2, v6, v30, v2 op_sel_hi:[0,1,0]
	s_waitcnt vmcnt(20)
	s_delay_alu instid0(VALU_DEP_1) | instskip(SKIP_4) | instid1(VALU_DEP_1)
	v_fma_mix_f32 v2, v7, v31, v2 op_sel_hi:[0,1,0]
	ds_load_b128 v[4:7], v44 offset:320
	s_waitcnt vmcnt(19) lgkmcnt(1)
	v_fma_mix_f32 v2, v8, v32, v2 op_sel_hi:[0,1,0]
	s_waitcnt vmcnt(18)
	v_fma_mix_f32 v2, v9, v33, v2 op_sel_hi:[0,1,0]
	s_waitcnt vmcnt(17)
	s_delay_alu instid0(VALU_DEP_1) | instskip(SKIP_1) | instid1(VALU_DEP_1)
	v_fma_mix_f32 v2, v10, v17, v2 op_sel_hi:[0,1,0]
	s_waitcnt vmcnt(16)
	v_fma_mix_f32 v2, v11, v18, v2 op_sel_hi:[0,1,0]
	ds_load_b128 v[8:11], v44 offset:336
	s_waitcnt vmcnt(15) lgkmcnt(1)
	v_fma_mix_f32 v2, v4, v19, v2 op_sel_hi:[0,1,0]
	s_waitcnt vmcnt(14)
	s_delay_alu instid0(VALU_DEP_1) | instskip(SKIP_1) | instid1(VALU_DEP_1)
	v_fma_mix_f32 v2, v5, v20, v2 op_sel_hi:[0,1,0]
	s_waitcnt vmcnt(13)
	v_fma_mix_f32 v2, v6, v34, v2 op_sel_hi:[0,1,0]
	s_waitcnt vmcnt(12)
	s_delay_alu instid0(VALU_DEP_1) | instskip(SKIP_4) | instid1(VALU_DEP_1)
	v_fma_mix_f32 v2, v7, v35, v2 op_sel_hi:[0,1,0]
	ds_load_b128 v[4:7], v44 offset:352
	s_waitcnt vmcnt(11) lgkmcnt(1)
	v_fma_mix_f32 v2, v8, v36, v2 op_sel_hi:[0,1,0]
	s_waitcnt vmcnt(10)
	v_fma_mix_f32 v2, v9, v15, v2 op_sel_hi:[0,1,0]
	s_waitcnt vmcnt(9)
	s_delay_alu instid0(VALU_DEP_1) | instskip(SKIP_1) | instid1(VALU_DEP_1)
	v_fma_mix_f32 v2, v10, v16, v2 op_sel_hi:[0,1,0]
	s_waitcnt vmcnt(8)
	v_fma_mix_f32 v2, v11, v37, v2 op_sel_hi:[0,1,0]
	ds_load_b128 v[8:11], v44 offset:368
	s_waitcnt vmcnt(7) lgkmcnt(1)
	v_fma_mix_f32 v2, v4, v38, v2 op_sel_hi:[0,1,0]
	s_waitcnt vmcnt(6)
	s_delay_alu instid0(VALU_DEP_1) | instskip(SKIP_1) | instid1(VALU_DEP_1)
	v_fma_mix_f32 v2, v5, v39, v2 op_sel_hi:[0,1,0]
	s_waitcnt vmcnt(5)
	v_fma_mix_f32 v2, v6, v13, v2 op_sel_hi:[0,1,0]
	s_waitcnt vmcnt(4)
	s_delay_alu instid0(VALU_DEP_1) | instskip(SKIP_1) | instid1(VALU_DEP_1)
	v_fma_mix_f32 v2, v7, v14, v2 op_sel_hi:[0,1,0]
	s_waitcnt vmcnt(3) lgkmcnt(0)
	v_fma_mix_f32 v2, v8, v40, v2 op_sel_hi:[0,1,0]
	s_waitcnt vmcnt(2)
	s_delay_alu instid0(VALU_DEP_1) | instskip(SKIP_1) | instid1(VALU_DEP_1)
	v_fma_mix_f32 v2, v9, v41, v2 op_sel_hi:[0,1,0]
	s_waitcnt vmcnt(1)
	v_fma_mix_f32 v2, v10, v42, v2 op_sel_hi:[0,1,0]
	s_waitcnt vmcnt(0)
	s_delay_alu instid0(VALU_DEP_1)
	v_fma_mix_f32 v4, v11, v43, v2 op_sel_hi:[0,1,0]
	s_cmpk_lt_i32 s48, 0x6100
	s_cbranch_scc1 .LBB78_15
.LBB78_23:
	s_cmpk_lt_i32 s48, 0x6200
	v_add_co_u32 v5, vcc_lo, 0x3000, v1
	s_cselect_b32 s4, s49, 0x1840
	v_add_co_ci_u32_e32 v6, vcc_lo, 0, v3, vcc_lo
	s_ashr_i32 s5, s4, 31
	v_mov_b32_e32 v44, 0
	s_lshl_b64 s[4:5], s[4:5], 1
	s_cmpk_lt_i32 s48, 0x6300
	v_add_co_u32 v7, vcc_lo, v1, s4
	s_cselect_b32 s6, s49, 0x1880
	v_add_co_ci_u32_e32 v8, vcc_lo, s5, v3, vcc_lo
	s_ashr_i32 s7, s6, 31
	s_delay_alu instid0(SALU_CYCLE_1)
	s_lshl_b64 s[6:7], s[6:7], 1
	s_cmpk_lt_i32 s48, 0x6400
	v_add_co_u32 v9, vcc_lo, v1, s6
	s_cselect_b32 s8, s49, 0x18c0
	v_add_co_ci_u32_e32 v10, vcc_lo, s7, v3, vcc_lo
	s_ashr_i32 s9, s8, 31
	s_delay_alu instid0(SALU_CYCLE_1)
	s_lshl_b64 s[8:9], s[8:9], 1
	s_cmpk_lt_i32 s48, 0x6500
	v_add_co_u32 v11, vcc_lo, v1, s8
	s_cselect_b32 s10, s49, 0x1900
	v_add_co_ci_u32_e32 v12, vcc_lo, s9, v3, vcc_lo
	s_ashr_i32 s11, s10, 31
	s_delay_alu instid0(SALU_CYCLE_1)
	s_lshl_b64 s[10:11], s[10:11], 1
	s_cmpk_lt_i32 s48, 0x6600
	v_add_co_u32 v13, vcc_lo, v1, s10
	s_cselect_b32 s18, s49, 0x1940
	v_add_co_ci_u32_e32 v14, vcc_lo, s11, v3, vcc_lo
	s_ashr_i32 s19, s18, 31
	s_delay_alu instid0(SALU_CYCLE_1)
	s_lshl_b64 s[20:21], s[18:19], 1
	s_cmpk_lt_i32 s48, 0x6700
	v_add_co_u32 v15, vcc_lo, v1, s20
	s_cselect_b32 s18, s49, 0x1980
	v_add_co_ci_u32_e32 v16, vcc_lo, s21, v3, vcc_lo
	s_ashr_i32 s19, s18, 31
	s_delay_alu instid0(SALU_CYCLE_1)
	s_lshl_b64 s[22:23], s[18:19], 1
	s_cmpk_lt_i32 s48, 0x6800
	v_add_co_u32 v17, vcc_lo, v1, s22
	s_cselect_b32 s18, s49, 0x19c0
	v_add_co_ci_u32_e32 v18, vcc_lo, s23, v3, vcc_lo
	s_ashr_i32 s19, s18, 31
	s_delay_alu instid0(SALU_CYCLE_1)
	s_lshl_b64 s[26:27], s[18:19], 1
	s_cmpk_lt_i32 s48, 0x6900
	v_add_co_u32 v19, vcc_lo, v1, s26
	s_cselect_b32 s18, s49, 0x1a00
	v_add_co_ci_u32_e32 v20, vcc_lo, s27, v3, vcc_lo
	s_ashr_i32 s19, s18, 31
	s_clause 0x7
	global_load_u16 v2, v[5:6], off
	global_load_u16 v21, v[7:8], off
	;; [unrolled: 1-line block ×8, first 2 shown]
	s_lshl_b64 s[18:19], s[18:19], 1
	s_cmpk_lt_i32 s48, 0x6a00
	v_add_co_u32 v5, vcc_lo, v1, s18
	s_cselect_b32 s24, s49, 0x1a40
	v_add_co_ci_u32_e32 v6, vcc_lo, s19, v3, vcc_lo
	s_ashr_i32 s25, s24, 31
	s_delay_alu instid0(SALU_CYCLE_1)
	s_lshl_b64 s[24:25], s[24:25], 1
	s_cmpk_lt_i32 s48, 0x6b00
	v_add_co_u32 v7, vcc_lo, v1, s24
	s_cselect_b32 s28, s49, 0x1a80
	v_add_co_ci_u32_e32 v8, vcc_lo, s25, v3, vcc_lo
	s_ashr_i32 s29, s28, 31
	s_delay_alu instid0(SALU_CYCLE_1)
	;; [unrolled: 7-line block ×7, first 2 shown]
	s_lshl_b64 s[44:45], s[36:37], 1
	s_cmpk_lt_i32 s48, 0x7100
	v_add_co_u32 v19, vcc_lo, v1, s44
	s_cselect_b32 s36, s49, 0x1c00
	v_add_co_ci_u32_e32 v20, vcc_lo, s45, v3, vcc_lo
	s_ashr_i32 s37, s36, 31
	s_clause 0x7
	global_load_u16 v28, v[5:6], off
	global_load_u16 v29, v[7:8], off
	;; [unrolled: 1-line block ×8, first 2 shown]
	s_lshl_b64 s[36:37], s[36:37], 1
	s_cmpk_lt_i32 s48, 0x7200
	v_add_co_u32 v5, vcc_lo, v1, s36
	s_cselect_b32 s42, s49, 0x1c40
	v_add_co_ci_u32_e32 v6, vcc_lo, s37, v3, vcc_lo
	s_ashr_i32 s43, s42, 31
	s_delay_alu instid0(SALU_CYCLE_1)
	s_lshl_b64 s[42:43], s[42:43], 1
	s_cmpk_lt_i32 s48, 0x7300
	v_add_co_u32 v7, vcc_lo, v1, s42
	s_cselect_b32 s46, s49, 0x1c80
	v_add_co_ci_u32_e32 v8, vcc_lo, s43, v3, vcc_lo
	s_ashr_i32 s47, s46, 31
	s_delay_alu instid0(SALU_CYCLE_1)
	;; [unrolled: 7-line block ×5, first 2 shown]
	s_lshl_b64 s[8:9], s[8:9], 1
	s_cmpk_lt_i32 s48, 0x7700
	v_add_co_u32 v15, vcc_lo, v1, s8
	s_cselect_b32 s10, s49, 0x1d80
	v_add_co_ci_u32_e32 v16, vcc_lo, s9, v3, vcc_lo
	s_ashr_i32 s11, s10, 31
	s_clause 0x5
	global_load_u16 v19, v[5:6], off
	global_load_u16 v20, v[7:8], off
	;; [unrolled: 1-line block ×6, first 2 shown]
	s_lshl_b64 s[10:11], s[10:11], 1
	s_cmpk_lt_i32 s48, 0x7800
	v_add_co_u32 v5, vcc_lo, v1, s10
	s_cselect_b32 s18, s49, 0x1dc0
	v_add_co_ci_u32_e32 v6, vcc_lo, s11, v3, vcc_lo
	s_ashr_i32 s19, s18, 31
	s_delay_alu instid0(SALU_CYCLE_1)
	s_lshl_b64 s[18:19], s[18:19], 1
	s_cmpk_lt_i32 s48, 0x7900
	v_add_co_u32 v7, vcc_lo, v1, s18
	s_cselect_b32 s20, s49, 0x1e00
	v_add_co_ci_u32_e32 v8, vcc_lo, s19, v3, vcc_lo
	s_ashr_i32 s21, s20, 31
	global_load_u16 v16, v[5:6], off
	s_lshl_b64 s[20:21], s[20:21], 1
	global_load_u16 v37, v[7:8], off
	s_cmpk_lt_i32 s48, 0x7a00
	v_add_co_u32 v9, vcc_lo, v1, s20
	s_cselect_b32 s22, s49, 0x1e40
	v_add_co_ci_u32_e32 v10, vcc_lo, s21, v3, vcc_lo
	s_ashr_i32 s23, s22, 31
	s_delay_alu instid0(SALU_CYCLE_1)
	s_lshl_b64 s[22:23], s[22:23], 1
	s_cmpk_lt_i32 s48, 0x7b00
	v_add_co_u32 v11, vcc_lo, v1, s22
	s_cselect_b32 s4, s49, 0x1e80
	v_add_co_ci_u32_e32 v12, vcc_lo, s23, v3, vcc_lo
	s_ashr_i32 s5, s4, 31
	s_delay_alu instid0(SALU_CYCLE_1)
	s_lshl_b64 s[4:5], s[4:5], 1
	s_cmpk_lt_i32 s48, 0x7c00
	v_add_co_u32 v13, vcc_lo, v1, s4
	s_cselect_b32 s6, s49, 0x1ec0
	v_add_co_ci_u32_e32 v14, vcc_lo, s5, v3, vcc_lo
	s_ashr_i32 s7, s6, 31
	s_clause 0x2
	global_load_u16 v38, v[9:10], off
	global_load_u16 v39, v[11:12], off
	;; [unrolled: 1-line block ×3, first 2 shown]
	s_lshl_b64 s[6:7], s[6:7], 1
	s_cmpk_lt_i32 s48, 0x7d00
	v_add_co_u32 v5, vcc_lo, v1, s6
	s_cselect_b32 s8, s49, 0x1f00
	v_add_co_ci_u32_e32 v6, vcc_lo, s7, v3, vcc_lo
	s_ashr_i32 s9, s8, 31
	s_delay_alu instid0(SALU_CYCLE_1)
	s_lshl_b64 s[4:5], s[8:9], 1
	s_cmpk_lt_i32 s48, 0x7e00
	v_add_co_u32 v7, vcc_lo, v1, s4
	s_cselect_b32 s8, s49, 0x1f40
	v_add_co_ci_u32_e32 v8, vcc_lo, s5, v3, vcc_lo
	s_ashr_i32 s9, s8, 31
	global_load_u16 v14, v[5:6], off
	s_lshl_b64 s[8:9], s[8:9], 1
	s_cmpk_lt_i32 s48, 0x7f00
	v_add_co_u32 v9, vcc_lo, v1, s8
	s_cselect_b32 s6, s49, 0x1f80
	v_add_co_ci_u32_e32 v10, vcc_lo, s9, v3, vcc_lo
	s_ashr_i32 s7, s6, 31
	s_clause 0x1
	global_load_u16 v40, v[7:8], off
	global_load_u16 v41, v[9:10], off
	s_lshl_b64 s[4:5], s[6:7], 1
	s_cmp_lt_i32 s48, 0x8000
	v_add_co_u32 v5, vcc_lo, v1, s4
	s_cselect_b32 s6, s49, 0x1fc0
	v_add_co_ci_u32_e32 v6, vcc_lo, s5, v3, vcc_lo
	s_ashr_i32 s7, s6, 31
	s_delay_alu instid0(SALU_CYCLE_1) | instskip(NEXT) | instid1(SALU_CYCLE_1)
	s_lshl_b64 s[4:5], s[6:7], 1
	v_add_co_u32 v7, vcc_lo, v1, s4
	v_add_co_ci_u32_e32 v8, vcc_lo, s5, v3, vcc_lo
	s_clause 0x1
	global_load_u16 v42, v[5:6], off
	global_load_u16 v43, v[7:8], off
	ds_load_b128 v[5:8], v44 offset:384
	ds_load_b128 v[9:12], v44 offset:400
	s_waitcnt vmcnt(31) lgkmcnt(1)
	v_fma_mix_f32 v2, v5, v2, v4 op_sel_hi:[0,1,0]
	s_waitcnt vmcnt(30)
	s_delay_alu instid0(VALU_DEP_1) | instskip(SKIP_1) | instid1(VALU_DEP_1)
	v_fma_mix_f32 v2, v6, v21, v2 op_sel_hi:[0,1,0]
	s_waitcnt vmcnt(29)
	v_fma_mix_f32 v2, v7, v22, v2 op_sel_hi:[0,1,0]
	ds_load_b128 v[4:7], v44 offset:416
	s_waitcnt vmcnt(28)
	v_fma_mix_f32 v2, v8, v23, v2 op_sel_hi:[0,1,0]
	s_waitcnt vmcnt(27) lgkmcnt(1)
	s_delay_alu instid0(VALU_DEP_1) | instskip(SKIP_1) | instid1(VALU_DEP_1)
	v_fma_mix_f32 v2, v9, v24, v2 op_sel_hi:[0,1,0]
	s_waitcnt vmcnt(26)
	v_fma_mix_f32 v2, v10, v25, v2 op_sel_hi:[0,1,0]
	s_waitcnt vmcnt(25)
	s_delay_alu instid0(VALU_DEP_1) | instskip(SKIP_4) | instid1(VALU_DEP_1)
	v_fma_mix_f32 v2, v11, v26, v2 op_sel_hi:[0,1,0]
	ds_load_b128 v[8:11], v44 offset:432
	s_waitcnt vmcnt(24)
	v_fma_mix_f32 v2, v12, v27, v2 op_sel_hi:[0,1,0]
	s_waitcnt vmcnt(23) lgkmcnt(1)
	v_fma_mix_f32 v2, v4, v28, v2 op_sel_hi:[0,1,0]
	s_waitcnt vmcnt(22)
	s_delay_alu instid0(VALU_DEP_1) | instskip(SKIP_1) | instid1(VALU_DEP_1)
	v_fma_mix_f32 v2, v5, v29, v2 op_sel_hi:[0,1,0]
	s_waitcnt vmcnt(21)
	v_fma_mix_f32 v2, v6, v30, v2 op_sel_hi:[0,1,0]
	s_waitcnt vmcnt(20)
	s_delay_alu instid0(VALU_DEP_1) | instskip(SKIP_4) | instid1(VALU_DEP_1)
	v_fma_mix_f32 v2, v7, v31, v2 op_sel_hi:[0,1,0]
	ds_load_b128 v[4:7], v44 offset:448
	s_waitcnt vmcnt(19) lgkmcnt(1)
	v_fma_mix_f32 v2, v8, v32, v2 op_sel_hi:[0,1,0]
	s_waitcnt vmcnt(18)
	v_fma_mix_f32 v2, v9, v33, v2 op_sel_hi:[0,1,0]
	s_waitcnt vmcnt(17)
	s_delay_alu instid0(VALU_DEP_1) | instskip(SKIP_1) | instid1(VALU_DEP_1)
	v_fma_mix_f32 v2, v10, v17, v2 op_sel_hi:[0,1,0]
	s_waitcnt vmcnt(16)
	v_fma_mix_f32 v2, v11, v18, v2 op_sel_hi:[0,1,0]
	ds_load_b128 v[8:11], v44 offset:464
	s_waitcnt vmcnt(15) lgkmcnt(1)
	v_fma_mix_f32 v2, v4, v19, v2 op_sel_hi:[0,1,0]
	s_waitcnt vmcnt(14)
	s_delay_alu instid0(VALU_DEP_1) | instskip(SKIP_1) | instid1(VALU_DEP_1)
	v_fma_mix_f32 v2, v5, v20, v2 op_sel_hi:[0,1,0]
	s_waitcnt vmcnt(13)
	v_fma_mix_f32 v2, v6, v34, v2 op_sel_hi:[0,1,0]
	s_waitcnt vmcnt(12)
	s_delay_alu instid0(VALU_DEP_1) | instskip(SKIP_4) | instid1(VALU_DEP_1)
	v_fma_mix_f32 v2, v7, v35, v2 op_sel_hi:[0,1,0]
	ds_load_b128 v[4:7], v44 offset:480
	s_waitcnt vmcnt(11) lgkmcnt(1)
	v_fma_mix_f32 v2, v8, v36, v2 op_sel_hi:[0,1,0]
	s_waitcnt vmcnt(10)
	v_fma_mix_f32 v2, v9, v15, v2 op_sel_hi:[0,1,0]
	s_waitcnt vmcnt(9)
	s_delay_alu instid0(VALU_DEP_1) | instskip(SKIP_1) | instid1(VALU_DEP_1)
	v_fma_mix_f32 v2, v10, v16, v2 op_sel_hi:[0,1,0]
	s_waitcnt vmcnt(8)
	v_fma_mix_f32 v2, v11, v37, v2 op_sel_hi:[0,1,0]
	ds_load_b128 v[8:11], v44 offset:496
	s_waitcnt vmcnt(7) lgkmcnt(1)
	v_fma_mix_f32 v2, v4, v38, v2 op_sel_hi:[0,1,0]
	s_waitcnt vmcnt(6)
	s_delay_alu instid0(VALU_DEP_1) | instskip(SKIP_1) | instid1(VALU_DEP_1)
	v_fma_mix_f32 v2, v5, v39, v2 op_sel_hi:[0,1,0]
	s_waitcnt vmcnt(5)
	v_fma_mix_f32 v2, v6, v13, v2 op_sel_hi:[0,1,0]
	s_waitcnt vmcnt(4)
	s_delay_alu instid0(VALU_DEP_1) | instskip(SKIP_1) | instid1(VALU_DEP_1)
	v_fma_mix_f32 v2, v7, v14, v2 op_sel_hi:[0,1,0]
	s_waitcnt vmcnt(3) lgkmcnt(0)
	v_fma_mix_f32 v2, v8, v40, v2 op_sel_hi:[0,1,0]
	s_waitcnt vmcnt(2)
	s_delay_alu instid0(VALU_DEP_1) | instskip(SKIP_1) | instid1(VALU_DEP_1)
	v_fma_mix_f32 v2, v9, v41, v2 op_sel_hi:[0,1,0]
	s_waitcnt vmcnt(1)
	v_fma_mix_f32 v2, v10, v42, v2 op_sel_hi:[0,1,0]
	s_waitcnt vmcnt(0)
	s_delay_alu instid0(VALU_DEP_1)
	v_fma_mix_f32 v4, v11, v43, v2 op_sel_hi:[0,1,0]
	s_load_b64 s[0:1], s[0:1], 0x0
	s_cmp_lt_i32 s48, 0x8100
	s_cbranch_scc1 .LBB78_16
.LBB78_24:
	s_cmp_lt_i32 s48, 0x8200
	v_add_co_u32 v5, vcc_lo, 0x4000, v1
	s_cselect_b32 s4, s49, 0x2040
	v_add_co_ci_u32_e32 v6, vcc_lo, 0, v3, vcc_lo
	s_ashr_i32 s5, s4, 31
	v_mov_b32_e32 v45, 0
	s_lshl_b64 s[4:5], s[4:5], 1
	s_cmp_lt_i32 s48, 0x8300
	v_add_co_u32 v7, vcc_lo, v1, s4
	s_cselect_b32 s6, s49, 0x2080
	v_add_co_ci_u32_e32 v8, vcc_lo, s5, v3, vcc_lo
	s_ashr_i32 s7, s6, 31
	s_delay_alu instid0(SALU_CYCLE_1)
	s_lshl_b64 s[6:7], s[6:7], 1
	s_cmp_lt_i32 s48, 0x8400
	v_add_co_u32 v9, vcc_lo, v1, s6
	s_cselect_b32 s8, s49, 0x20c0
	v_add_co_ci_u32_e32 v10, vcc_lo, s7, v3, vcc_lo
	s_ashr_i32 s9, s8, 31
	s_delay_alu instid0(SALU_CYCLE_1)
	;; [unrolled: 7-line block ×6, first 2 shown]
	s_lshl_b64 s[26:27], s[18:19], 1
	s_cmp_lt_i32 s48, 0x8900
	v_add_co_u32 v19, vcc_lo, v1, s26
	s_cselect_b32 s18, s49, 0x2200
	v_add_co_ci_u32_e32 v20, vcc_lo, s27, v3, vcc_lo
	s_ashr_i32 s19, s18, 31
	s_clause 0x7
	global_load_u16 v21, v[5:6], off
	global_load_u16 v22, v[7:8], off
	;; [unrolled: 1-line block ×8, first 2 shown]
	s_lshl_b64 s[18:19], s[18:19], 1
	s_cmp_lt_i32 s48, 0x8a00
	v_add_co_u32 v5, vcc_lo, v1, s18
	s_cselect_b32 s24, s49, 0x2240
	v_add_co_ci_u32_e32 v6, vcc_lo, s19, v3, vcc_lo
	s_ashr_i32 s25, s24, 31
	s_delay_alu instid0(SALU_CYCLE_1)
	s_lshl_b64 s[24:25], s[24:25], 1
	s_cmp_lt_i32 s48, 0x8b00
	v_add_co_u32 v7, vcc_lo, v1, s24
	s_cselect_b32 s28, s49, 0x2280
	v_add_co_ci_u32_e32 v8, vcc_lo, s25, v3, vcc_lo
	s_ashr_i32 s29, s28, 31
	s_delay_alu instid0(SALU_CYCLE_1)
	;; [unrolled: 7-line block ×7, first 2 shown]
	s_lshl_b64 s[44:45], s[36:37], 1
	s_cmp_lt_i32 s48, 0x9100
	v_add_co_u32 v19, vcc_lo, v1, s44
	s_cselect_b32 s36, s49, 0x2400
	v_add_co_ci_u32_e32 v20, vcc_lo, s45, v3, vcc_lo
	s_ashr_i32 s37, s36, 31
	s_clause 0x7
	global_load_u16 v29, v[5:6], off
	global_load_u16 v30, v[7:8], off
	;; [unrolled: 1-line block ×8, first 2 shown]
	s_lshl_b64 s[36:37], s[36:37], 1
	s_cmp_lt_i32 s48, 0x9200
	v_add_co_u32 v5, vcc_lo, v1, s36
	s_cselect_b32 s42, s49, 0x2440
	v_add_co_ci_u32_e32 v6, vcc_lo, s37, v3, vcc_lo
	s_ashr_i32 s43, s42, 31
	s_delay_alu instid0(SALU_CYCLE_1)
	s_lshl_b64 s[42:43], s[42:43], 1
	s_cmp_lt_i32 s48, 0x9300
	v_add_co_u32 v7, vcc_lo, v1, s42
	s_cselect_b32 s46, s49, 0x2480
	v_add_co_ci_u32_e32 v8, vcc_lo, s43, v3, vcc_lo
	s_ashr_i32 s47, s46, 31
	s_delay_alu instid0(SALU_CYCLE_1)
	;; [unrolled: 7-line block ×5, first 2 shown]
	s_lshl_b64 s[8:9], s[8:9], 1
	s_cmp_lt_i32 s48, 0x9700
	v_add_co_u32 v15, vcc_lo, v1, s8
	s_cselect_b32 s10, s49, 0x2580
	v_add_co_ci_u32_e32 v16, vcc_lo, s9, v3, vcc_lo
	s_ashr_i32 s11, s10, 31
	s_clause 0x5
	global_load_u16 v19, v[5:6], off
	global_load_u16 v20, v[7:8], off
	;; [unrolled: 1-line block ×6, first 2 shown]
	s_lshl_b64 s[10:11], s[10:11], 1
	s_cmp_lt_i32 s48, 0x9800
	v_add_co_u32 v5, vcc_lo, v1, s10
	s_cselect_b32 s18, s49, 0x25c0
	v_add_co_ci_u32_e32 v6, vcc_lo, s11, v3, vcc_lo
	s_ashr_i32 s19, s18, 31
	s_delay_alu instid0(SALU_CYCLE_1)
	s_lshl_b64 s[18:19], s[18:19], 1
	s_cmp_lt_i32 s48, 0x9900
	v_add_co_u32 v7, vcc_lo, v1, s18
	s_cselect_b32 s20, s49, 0x2600
	v_add_co_ci_u32_e32 v8, vcc_lo, s19, v3, vcc_lo
	s_ashr_i32 s21, s20, 31
	global_load_u16 v16, v[5:6], off
	s_lshl_b64 s[20:21], s[20:21], 1
	global_load_u16 v38, v[7:8], off
	s_cmp_lt_i32 s48, 0x9a00
	v_add_co_u32 v9, vcc_lo, v1, s20
	s_cselect_b32 s22, s49, 0x2640
	v_add_co_ci_u32_e32 v10, vcc_lo, s21, v3, vcc_lo
	s_ashr_i32 s23, s22, 31
	s_delay_alu instid0(SALU_CYCLE_1)
	s_lshl_b64 s[22:23], s[22:23], 1
	s_cmp_lt_i32 s48, 0x9b00
	v_add_co_u32 v11, vcc_lo, v1, s22
	s_cselect_b32 s4, s49, 0x2680
	v_add_co_ci_u32_e32 v12, vcc_lo, s23, v3, vcc_lo
	s_ashr_i32 s5, s4, 31
	s_delay_alu instid0(SALU_CYCLE_1)
	s_lshl_b64 s[4:5], s[4:5], 1
	s_cmp_lt_i32 s48, 0x9c00
	v_add_co_u32 v13, vcc_lo, v1, s4
	s_cselect_b32 s6, s49, 0x26c0
	v_add_co_ci_u32_e32 v14, vcc_lo, s5, v3, vcc_lo
	s_ashr_i32 s7, s6, 31
	s_clause 0x2
	global_load_u16 v39, v[9:10], off
	global_load_u16 v40, v[11:12], off
	;; [unrolled: 1-line block ×3, first 2 shown]
	s_lshl_b64 s[6:7], s[6:7], 1
	s_cmp_lt_i32 s48, 0x9d00
	v_add_co_u32 v5, vcc_lo, v1, s6
	s_cselect_b32 s8, s49, 0x2700
	v_add_co_ci_u32_e32 v6, vcc_lo, s7, v3, vcc_lo
	s_ashr_i32 s9, s8, 31
	s_delay_alu instid0(SALU_CYCLE_1)
	s_lshl_b64 s[4:5], s[8:9], 1
	s_cmp_lt_i32 s48, 0x9e00
	v_add_co_u32 v7, vcc_lo, v1, s4
	s_cselect_b32 s8, s49, 0x2740
	v_add_co_ci_u32_e32 v8, vcc_lo, s5, v3, vcc_lo
	s_ashr_i32 s9, s8, 31
	global_load_u16 v14, v[5:6], off
	s_lshl_b64 s[8:9], s[8:9], 1
	s_cmp_lt_i32 s48, 0x9f00
	v_add_co_u32 v9, vcc_lo, v1, s8
	s_cselect_b32 s6, s49, 0x2780
	v_add_co_ci_u32_e32 v10, vcc_lo, s9, v3, vcc_lo
	s_ashr_i32 s7, s6, 31
	s_clause 0x1
	global_load_u16 v41, v[7:8], off
	global_load_u16 v42, v[9:10], off
	s_lshl_b64 s[4:5], s[6:7], 1
	s_cmp_lt_i32 s48, 0xa000
	v_add_co_u32 v5, vcc_lo, v1, s4
	s_cselect_b32 s6, s49, 0x27c0
	v_add_co_ci_u32_e32 v6, vcc_lo, s5, v3, vcc_lo
	s_ashr_i32 s7, s6, 31
	s_delay_alu instid0(SALU_CYCLE_1) | instskip(NEXT) | instid1(SALU_CYCLE_1)
	s_lshl_b64 s[4:5], s[6:7], 1
	v_add_co_u32 v1, vcc_lo, v1, s4
	v_add_co_ci_u32_e32 v2, vcc_lo, s5, v3, vcc_lo
	s_clause 0x1
	global_load_u16 v43, v[5:6], off
	global_load_u16 v44, v[1:2], off
	ds_load_b128 v[5:8], v45 offset:512
	ds_load_b128 v[9:12], v45 offset:528
	s_waitcnt vmcnt(31) lgkmcnt(0)
	v_fma_mix_f32 v1, v5, v21, v4 op_sel_hi:[0,1,0]
	s_waitcnt vmcnt(30)
	s_delay_alu instid0(VALU_DEP_1) | instskip(SKIP_1) | instid1(VALU_DEP_1)
	v_fma_mix_f32 v1, v6, v22, v1 op_sel_hi:[0,1,0]
	s_waitcnt vmcnt(29)
	v_fma_mix_f32 v1, v7, v23, v1 op_sel_hi:[0,1,0]
	s_waitcnt vmcnt(28)
	s_delay_alu instid0(VALU_DEP_1) | instskip(SKIP_1) | instid1(VALU_DEP_1)
	v_fma_mix_f32 v1, v8, v24, v1 op_sel_hi:[0,1,0]
	s_waitcnt vmcnt(27)
	v_fma_mix_f32 v5, v9, v25, v1 op_sel_hi:[0,1,0]
	ds_load_b128 v[1:4], v45 offset:544
	s_waitcnt vmcnt(26)
	v_fma_mix_f32 v5, v10, v26, v5 op_sel_hi:[0,1,0]
	s_waitcnt vmcnt(25)
	s_delay_alu instid0(VALU_DEP_1) | instskip(SKIP_1) | instid1(VALU_DEP_1)
	v_fma_mix_f32 v5, v11, v27, v5 op_sel_hi:[0,1,0]
	s_waitcnt vmcnt(24)
	v_fma_mix_f32 v9, v12, v28, v5 op_sel_hi:[0,1,0]
	ds_load_b128 v[5:8], v45 offset:560
	s_waitcnt vmcnt(23) lgkmcnt(1)
	v_fma_mix_f32 v1, v1, v29, v9 op_sel_hi:[0,1,0]
	s_waitcnt vmcnt(22)
	s_delay_alu instid0(VALU_DEP_1) | instskip(SKIP_1) | instid1(VALU_DEP_1)
	v_fma_mix_f32 v1, v2, v30, v1 op_sel_hi:[0,1,0]
	s_waitcnt vmcnt(21)
	v_fma_mix_f32 v1, v3, v31, v1 op_sel_hi:[0,1,0]
	s_waitcnt vmcnt(20)
	s_delay_alu instid0(VALU_DEP_1) | instskip(SKIP_1) | instid1(VALU_DEP_1)
	v_fma_mix_f32 v1, v4, v32, v1 op_sel_hi:[0,1,0]
	s_waitcnt vmcnt(19) lgkmcnt(0)
	v_fma_mix_f32 v5, v5, v33, v1 op_sel_hi:[0,1,0]
	ds_load_b128 v[1:4], v45 offset:576
	s_waitcnt vmcnt(18)
	v_fma_mix_f32 v5, v6, v34, v5 op_sel_hi:[0,1,0]
	s_waitcnt vmcnt(17)
	s_delay_alu instid0(VALU_DEP_1) | instskip(SKIP_1) | instid1(VALU_DEP_1)
	v_fma_mix_f32 v5, v7, v17, v5 op_sel_hi:[0,1,0]
	s_waitcnt vmcnt(16)
	v_fma_mix_f32 v9, v8, v18, v5 op_sel_hi:[0,1,0]
	ds_load_b128 v[5:8], v45 offset:592
	s_waitcnt vmcnt(15) lgkmcnt(1)
	v_fma_mix_f32 v1, v1, v19, v9 op_sel_hi:[0,1,0]
	s_waitcnt vmcnt(14)
	s_delay_alu instid0(VALU_DEP_1) | instskip(SKIP_1) | instid1(VALU_DEP_1)
	v_fma_mix_f32 v1, v2, v20, v1 op_sel_hi:[0,1,0]
	s_waitcnt vmcnt(13)
	v_fma_mix_f32 v1, v3, v35, v1 op_sel_hi:[0,1,0]
	s_waitcnt vmcnt(12)
	s_delay_alu instid0(VALU_DEP_1) | instskip(SKIP_1) | instid1(VALU_DEP_1)
	v_fma_mix_f32 v1, v4, v36, v1 op_sel_hi:[0,1,0]
	s_waitcnt vmcnt(11) lgkmcnt(0)
	;; [unrolled: 21-line block ×3, first 2 shown]
	v_fma_mix_f32 v1, v5, v41, v1 op_sel_hi:[0,1,0]
	s_waitcnt vmcnt(2)
	s_delay_alu instid0(VALU_DEP_1) | instskip(SKIP_1) | instid1(VALU_DEP_1)
	v_fma_mix_f32 v1, v6, v42, v1 op_sel_hi:[0,1,0]
	s_waitcnt vmcnt(1)
	v_fma_mix_f32 v1, v7, v43, v1 op_sel_hi:[0,1,0]
	s_waitcnt vmcnt(0)
	s_delay_alu instid0(VALU_DEP_1)
	v_fma_mix_f32 v4, v8, v44, v1 op_sel_hi:[0,1,0]
	v_mov_b32_e32 v1, 0
	s_and_not1_b32 vcc_lo, exec_lo, s15
	ds_load_b32 v1, v1 offset:640
	s_cbranch_vccz .LBB78_17
	s_branch .LBB78_18
	.section	.rodata,"a",@progbits
	.p2align	6, 0x0
	.amdhsa_kernel _Z35paged_attention_ll4mi_reduce_kernelIDF16_DF16_Li64ELi64ELi256ELi5EEvPT0_PKfS3_PKT_PKiS8_iS3_
		.amdhsa_group_segment_fixed_size 644
		.amdhsa_private_segment_fixed_size 0
		.amdhsa_kernarg_size 320
		.amdhsa_user_sgpr_count 14
		.amdhsa_user_sgpr_dispatch_ptr 0
		.amdhsa_user_sgpr_queue_ptr 0
		.amdhsa_user_sgpr_kernarg_segment_ptr 1
		.amdhsa_user_sgpr_dispatch_id 0
		.amdhsa_user_sgpr_private_segment_size 0
		.amdhsa_wavefront_size32 1
		.amdhsa_uses_dynamic_stack 0
		.amdhsa_enable_private_segment 0
		.amdhsa_system_sgpr_workgroup_id_x 1
		.amdhsa_system_sgpr_workgroup_id_y 1
		.amdhsa_system_sgpr_workgroup_id_z 0
		.amdhsa_system_sgpr_workgroup_info 0
		.amdhsa_system_vgpr_workitem_id 0
		.amdhsa_next_free_vgpr 48
		.amdhsa_next_free_sgpr 52
		.amdhsa_reserve_vcc 1
		.amdhsa_float_round_mode_32 0
		.amdhsa_float_round_mode_16_64 0
		.amdhsa_float_denorm_mode_32 3
		.amdhsa_float_denorm_mode_16_64 3
		.amdhsa_dx10_clamp 1
		.amdhsa_ieee_mode 1
		.amdhsa_fp16_overflow 0
		.amdhsa_workgroup_processor_mode 1
		.amdhsa_memory_ordered 1
		.amdhsa_forward_progress 0
		.amdhsa_shared_vgpr_count 0
		.amdhsa_exception_fp_ieee_invalid_op 0
		.amdhsa_exception_fp_denorm_src 0
		.amdhsa_exception_fp_ieee_div_zero 0
		.amdhsa_exception_fp_ieee_overflow 0
		.amdhsa_exception_fp_ieee_underflow 0
		.amdhsa_exception_fp_ieee_inexact 0
		.amdhsa_exception_int_div_zero 0
	.end_amdhsa_kernel
	.section	.text._Z35paged_attention_ll4mi_reduce_kernelIDF16_DF16_Li64ELi64ELi256ELi5EEvPT0_PKfS3_PKT_PKiS8_iS3_,"axG",@progbits,_Z35paged_attention_ll4mi_reduce_kernelIDF16_DF16_Li64ELi64ELi256ELi5EEvPT0_PKfS3_PKT_PKiS8_iS3_,comdat
.Lfunc_end78:
	.size	_Z35paged_attention_ll4mi_reduce_kernelIDF16_DF16_Li64ELi64ELi256ELi5EEvPT0_PKfS3_PKT_PKiS8_iS3_, .Lfunc_end78-_Z35paged_attention_ll4mi_reduce_kernelIDF16_DF16_Li64ELi64ELi256ELi5EEvPT0_PKfS3_PKT_PKiS8_iS3_
                                        ; -- End function
	.section	.AMDGPU.csdata,"",@progbits
; Kernel info:
; codeLenInByte = 11724
; NumSgprs: 54
; NumVgprs: 48
; ScratchSize: 0
; MemoryBound: 0
; FloatMode: 240
; IeeeMode: 1
; LDSByteSize: 644 bytes/workgroup (compile time only)
; SGPRBlocks: 6
; VGPRBlocks: 5
; NumSGPRsForWavesPerEU: 54
; NumVGPRsForWavesPerEU: 48
; Occupancy: 16
; WaveLimiterHint : 0
; COMPUTE_PGM_RSRC2:SCRATCH_EN: 0
; COMPUTE_PGM_RSRC2:USER_SGPR: 14
; COMPUTE_PGM_RSRC2:TRAP_HANDLER: 0
; COMPUTE_PGM_RSRC2:TGID_X_EN: 1
; COMPUTE_PGM_RSRC2:TGID_Y_EN: 1
; COMPUTE_PGM_RSRC2:TGID_Z_EN: 0
; COMPUTE_PGM_RSRC2:TIDIG_COMP_CNT: 0
	.section	.text._Z35paged_attention_ll4mi_reduce_kernelIDF16_DF16_Li64ELi64ELi256ELi6EEvPT0_PKfS3_PKT_PKiS8_iS3_,"axG",@progbits,_Z35paged_attention_ll4mi_reduce_kernelIDF16_DF16_Li64ELi64ELi256ELi6EEvPT0_PKfS3_PKT_PKiS8_iS3_,comdat
	.protected	_Z35paged_attention_ll4mi_reduce_kernelIDF16_DF16_Li64ELi64ELi256ELi6EEvPT0_PKfS3_PKT_PKiS8_iS3_ ; -- Begin function _Z35paged_attention_ll4mi_reduce_kernelIDF16_DF16_Li64ELi64ELi256ELi6EEvPT0_PKfS3_PKT_PKiS8_iS3_
	.globl	_Z35paged_attention_ll4mi_reduce_kernelIDF16_DF16_Li64ELi64ELi256ELi6EEvPT0_PKfS3_PKT_PKiS8_iS3_
	.p2align	8
	.type	_Z35paged_attention_ll4mi_reduce_kernelIDF16_DF16_Li64ELi64ELi256ELi6EEvPT0_PKfS3_PKT_PKiS8_iS3_,@function
_Z35paged_attention_ll4mi_reduce_kernelIDF16_DF16_Li64ELi64ELi256ELi6EEvPT0_PKfS3_PKT_PKiS8_iS3_: ; @_Z35paged_attention_ll4mi_reduce_kernelIDF16_DF16_Li64ELi64ELi256ELi6EEvPT0_PKfS3_PKT_PKiS8_iS3_
; %bb.0:
	s_load_b64 s[12:13], s[0:1], 0x28
	s_mov_b32 s2, s15
	s_waitcnt lgkmcnt(0)
	s_cmp_lg_u64 s[12:13], 0
	s_cselect_b32 s15, -1, 0
	s_delay_alu instid0(SALU_CYCLE_1)
	s_and_b32 vcc_lo, exec_lo, s15
	s_cbranch_vccz .LBB79_20
; %bb.1:
	s_add_i32 s4, s2, 1
	s_mov_b32 s5, 0
	s_delay_alu instid0(SALU_CYCLE_1) | instskip(SKIP_4) | instid1(SALU_CYCLE_1)
	s_lshl_b64 s[6:7], s[4:5], 2
	s_mov_b32 s3, s5
	s_add_u32 s6, s12, s6
	s_addc_u32 s7, s13, s7
	s_lshl_b64 s[8:9], s[2:3], 2
	s_add_u32 s8, s12, s8
	s_addc_u32 s9, s13, s9
	s_clause 0x1
	s_load_b32 s4, s[6:7], 0x0
	s_load_b32 s6, s[8:9], 0x0
	s_waitcnt lgkmcnt(0)
	s_sub_i32 s4, s4, s6
	s_delay_alu instid0(SALU_CYCLE_1)
	s_cmp_eq_u32 s4, 1
	s_cselect_b32 s4, -1, 0
	s_cbranch_execnz .LBB79_3
.LBB79_2:
	s_mov_b32 s3, 0
	s_mov_b32 s4, -1
.LBB79_3:
	s_delay_alu instid0(SALU_CYCLE_1)
	s_and_not1_b32 vcc_lo, exec_lo, s4
	s_cbranch_vccz .LBB79_5
; %bb.4:
	s_endpgm
.LBB79_5:
	s_clause 0x1
	s_load_b128 s[4:7], s[0:1], 0x18
	s_load_b32 s9, s[0:1], 0x30
	s_lshl_b64 s[16:17], s[2:3], 2
	s_waitcnt lgkmcnt(0)
	s_add_u32 s6, s6, s16
	s_addc_u32 s7, s7, s17
	s_load_b32 s22, s[6:7], 0x0
	s_load_b32 s33, s[0:1], 0x40
	s_mul_i32 s7, s2, s9
	s_waitcnt lgkmcnt(0)
	s_add_i32 s48, s22, 0xff
	s_delay_alu instid0(SALU_CYCLE_1) | instskip(NEXT) | instid1(SALU_CYCLE_1)
	s_ashr_i32 s6, s48, 31
	s_lshr_b32 s6, s6, 24
	s_delay_alu instid0(SALU_CYCLE_1) | instskip(SKIP_4) | instid1(SALU_CYCLE_1)
	s_add_i32 s8, s48, s6
	s_mul_i32 s6, s14, s9
	s_mov_b32 s9, exec_lo
	v_cmpx_lt_u32_e32 31, v0
	s_xor_b32 s9, exec_lo, s9
	s_or_saveexec_b32 s24, s9
	v_mov_b32_e32 v1, s6
	s_ashr_i32 s23, s8, 8
	s_mul_i32 s18, s7, s33
	s_xor_b32 exec_lo, exec_lo, s24
	s_cbranch_execz .LBB79_9
; %bb.6:
	s_load_b128 s[8:11], s[0:1], 0x8
	v_or_b32_e32 v2, 32, v0
	v_cmp_gt_i32_e32 vcc_lo, s23, v0
	s_add_i32 s25, s23, -1
	v_or_b32_e32 v4, 64, v0
	v_or_b32_e32 v6, 0x60, v0
	;; [unrolled: 1-line block ×3, first 2 shown]
	v_cndmask_b32_e32 v1, s25, v0, vcc_lo
	v_cmp_gt_i32_e32 vcc_lo, s23, v2
	s_mov_b32 s19, 0
	v_or_b32_e32 v14, 0xa0, v0
	s_lshl_b64 s[20:21], s[18:19], 2
	s_mov_b32 s7, s19
	v_cndmask_b32_e32 v3, s25, v2, vcc_lo
	v_cmp_gt_i32_e32 vcc_lo, s23, v4
	v_ashrrev_i32_e32 v2, 31, v1
	v_cndmask_b32_e32 v5, s25, v4, vcc_lo
	v_cmp_gt_i32_e32 vcc_lo, s23, v6
	v_ashrrev_i32_e32 v4, 31, v3
	s_delay_alu instid0(VALU_DEP_4)
	v_lshlrev_b64 v[1:2], 2, v[1:2]
	s_waitcnt lgkmcnt(0)
	s_add_u32 s19, s10, s20
	s_addc_u32 s26, s11, s21
	v_cndmask_b32_e32 v7, s25, v6, vcc_lo
	v_cmp_gt_i32_e32 vcc_lo, s23, v8
	s_lshl_b64 s[10:11], s[6:7], 2
	v_lshlrev_b64 v[3:4], 2, v[3:4]
	s_add_u32 s7, s19, s10
	s_addc_u32 s19, s26, s11
	v_cndmask_b32_e32 v9, s25, v8, vcc_lo
	v_add_co_u32 v10, vcc_lo, s7, v1
	v_add_co_ci_u32_e32 v11, vcc_lo, s19, v2, vcc_lo
	v_add_co_u32 v12, vcc_lo, s7, v3
	v_add_co_ci_u32_e32 v13, vcc_lo, s19, v4, vcc_lo
	v_cmp_gt_i32_e32 vcc_lo, s23, v14
	v_ashrrev_i32_e32 v6, 31, v5
	v_ashrrev_i32_e32 v8, 31, v7
	s_clause 0x1
	global_load_b32 v22, v[10:11], off
	global_load_b32 v23, v[12:13], off
	v_ashrrev_i32_e32 v10, 31, v9
	v_cndmask_b32_e32 v14, s25, v14, vcc_lo
	v_lshlrev_b64 v[5:6], 2, v[5:6]
	v_lshlrev_b64 v[7:8], 2, v[7:8]
	s_delay_alu instid0(VALU_DEP_4) | instskip(NEXT) | instid1(VALU_DEP_4)
	v_lshlrev_b64 v[9:10], 2, v[9:10]
	v_ashrrev_i32_e32 v15, 31, v14
	s_delay_alu instid0(VALU_DEP_4) | instskip(SKIP_2) | instid1(VALU_DEP_4)
	v_add_co_u32 v11, vcc_lo, s7, v5
	v_add_co_ci_u32_e32 v12, vcc_lo, s19, v6, vcc_lo
	v_add_co_u32 v16, vcc_lo, s7, v7
	v_lshlrev_b64 v[13:14], 2, v[14:15]
	v_add_co_ci_u32_e32 v17, vcc_lo, s19, v8, vcc_lo
	v_add_co_u32 v18, vcc_lo, s7, v9
	v_add_co_ci_u32_e32 v19, vcc_lo, s19, v10, vcc_lo
	s_delay_alu instid0(VALU_DEP_4)
	v_add_co_u32 v20, vcc_lo, s7, v13
	v_add_co_ci_u32_e32 v21, vcc_lo, s19, v14, vcc_lo
	s_clause 0x3
	global_load_b32 v11, v[11:12], off
	global_load_b32 v12, v[16:17], off
	global_load_b32 v15, v[18:19], off
	global_load_b32 v16, v[20:21], off
	s_add_u32 s7, s8, s20
	s_addc_u32 s8, s9, s21
	s_add_u32 s7, s7, s10
	s_addc_u32 s8, s8, s11
	v_add_co_u32 v1, vcc_lo, s7, v1
	v_add_co_ci_u32_e32 v2, vcc_lo, s8, v2, vcc_lo
	v_add_co_u32 v3, vcc_lo, s7, v3
	v_add_co_ci_u32_e32 v4, vcc_lo, s8, v4, vcc_lo
	;; [unrolled: 2-line block ×4, first 2 shown]
	s_clause 0x3
	global_load_b32 v17, v[1:2], off
	global_load_b32 v3, v[3:4], off
	;; [unrolled: 1-line block ×4, first 2 shown]
	v_add_co_u32 v1, vcc_lo, s7, v9
	v_add_co_ci_u32_e32 v2, vcc_lo, s8, v10, vcc_lo
	global_load_b32 v6, v[1:2], off
	v_add_co_u32 v1, vcc_lo, s7, v13
	v_add_co_ci_u32_e32 v2, vcc_lo, s8, v14, vcc_lo
	s_mov_b32 s7, exec_lo
	global_load_b32 v7, v[1:2], off
	v_mbcnt_lo_u32_b32 v1, -1, 0
	s_delay_alu instid0(VALU_DEP_1)
	v_xor_b32_e32 v9, 16, v1
	v_xor_b32_e32 v10, 8, v1
	v_xor_b32_e32 v13, 4, v1
	v_xor_b32_e32 v14, 2, v1
	v_xor_b32_e32 v18, 1, v1
	v_cmp_gt_i32_e32 vcc_lo, 32, v9
	s_waitcnt vmcnt(11)
	v_max_f32_e32 v8, v22, v22
	s_waitcnt vmcnt(10)
	v_max_f32_e32 v2, v23, v23
	s_delay_alu instid0(VALU_DEP_1) | instskip(SKIP_2) | instid1(VALU_DEP_2)
	v_max_f32_e32 v2, v8, v2
	v_cndmask_b32_e32 v8, v1, v9, vcc_lo
	v_cmp_gt_i32_e32 vcc_lo, 32, v10
	v_lshlrev_b32_e32 v8, 2, v8
	v_cndmask_b32_e32 v10, v1, v10, vcc_lo
	v_cmp_gt_i32_e32 vcc_lo, 32, v13
	v_cndmask_b32_e32 v13, v1, v13, vcc_lo
	v_cmp_gt_i32_e32 vcc_lo, 32, v14
	s_waitcnt vmcnt(8)
	v_max3_f32 v2, v2, v11, v12
	v_cndmask_b32_e32 v14, v1, v14, vcc_lo
	v_cmp_gt_i32_e32 vcc_lo, 32, v18
	s_waitcnt vmcnt(6)
	s_delay_alu instid0(VALU_DEP_3) | instskip(NEXT) | instid1(VALU_DEP_3)
	v_max3_f32 v2, v2, v15, v16
	v_lshlrev_b32_e32 v14, 2, v14
	v_lshlrev_b32_e32 v13, 2, v13
	;; [unrolled: 1-line block ×3, first 2 shown]
	v_cndmask_b32_e32 v1, v1, v18, vcc_lo
	ds_bpermute_b32 v9, v8, v2
	v_lshlrev_b32_e32 v18, 2, v1
	s_waitcnt lgkmcnt(0)
	v_max_f32_e32 v9, v9, v9
	s_delay_alu instid0(VALU_DEP_1) | instskip(SKIP_3) | instid1(VALU_DEP_1)
	v_max_f32_e32 v2, v2, v9
	ds_bpermute_b32 v9, v10, v2
	s_waitcnt lgkmcnt(0)
	v_max_f32_e32 v9, v9, v9
	v_max_f32_e32 v2, v2, v9
	ds_bpermute_b32 v9, v13, v2
	s_waitcnt lgkmcnt(0)
	v_max_f32_e32 v9, v9, v9
	s_delay_alu instid0(VALU_DEP_1) | instskip(SKIP_3) | instid1(VALU_DEP_1)
	v_max_f32_e32 v2, v2, v9
	ds_bpermute_b32 v9, v14, v2
	s_waitcnt lgkmcnt(0)
	v_max_f32_e32 v9, v9, v9
	v_max_f32_e32 v1, v2, v9
	ds_bpermute_b32 v2, v18, v1
	s_waitcnt lgkmcnt(0)
	v_max_f32_e32 v2, v2, v2
	s_delay_alu instid0(VALU_DEP_1) | instskip(SKIP_1) | instid1(VALU_DEP_2)
	v_max_f32_e32 v1, v1, v2
	v_sub_nc_u32_e32 v2, s23, v0
	v_sub_f32_e32 v19, v23, v1
	v_sub_f32_e32 v12, v12, v1
	;; [unrolled: 1-line block ×3, first 2 shown]
	s_delay_alu instid0(VALU_DEP_2) | instskip(NEXT) | instid1(VALU_DEP_2)
	v_dual_sub_f32 v11, v11, v1 :: v_dual_mul_f32 v22, 0x3fb8aa3b, v12
	v_cmp_ngt_f32_e32 vcc_lo, 0xc2ce8ed0, v9
	s_delay_alu instid0(VALU_DEP_2) | instskip(SKIP_3) | instid1(VALU_DEP_1)
	v_rndne_f32_e32 v32, v22
	v_sub_f32_e32 v15, v15, v1
	v_sub_f32_e32 v1, v16, v1
	v_mul_f32_e32 v16, 0x3fb8aa3b, v9
	v_rndne_f32_e32 v26, v16
	v_fma_f32 v25, 0x3fb8aa3b, v9, -v16
	s_delay_alu instid0(VALU_DEP_2) | instskip(SKIP_2) | instid1(VALU_DEP_2)
	v_sub_f32_e32 v16, v16, v26
	v_mul_f32_e32 v20, 0x3fb8aa3b, v19
	v_cvt_i32_f32_e32 v26, v26
	v_fma_f32 v27, 0x3fb8aa3b, v19, -v20
	v_rndne_f32_e32 v28, v20
	s_delay_alu instid0(VALU_DEP_2) | instskip(SKIP_1) | instid1(VALU_DEP_3)
	v_fmac_f32_e32 v27, 0x32a5705f, v19
	v_fma_f32 v31, 0x3fb8aa3b, v12, -v22
	v_sub_f32_e32 v20, v20, v28
	v_dual_sub_f32 v22, v22, v32 :: v_dual_mul_f32 v23, 0x3fb8aa3b, v15
	v_mul_f32_e32 v21, 0x3fb8aa3b, v11
	s_delay_alu instid0(VALU_DEP_3) | instskip(SKIP_1) | instid1(VALU_DEP_4)
	v_dual_fmac_f32 v31, 0x32a5705f, v12 :: v_dual_add_f32 v20, v20, v27
	v_cvt_i32_f32_e32 v28, v28
	v_rndne_f32_e32 v34, v23
	s_delay_alu instid0(VALU_DEP_4) | instskip(NEXT) | instid1(VALU_DEP_4)
	v_fma_f32 v29, 0x3fb8aa3b, v11, -v21
	v_add_f32_e32 v22, v22, v31
	v_mul_f32_e32 v24, 0x3fb8aa3b, v1
	v_fma_f32 v33, 0x3fb8aa3b, v15, -v23
	v_sub_f32_e32 v23, v23, v34
	v_exp_f32_e32 v20, v20
	v_rndne_f32_e32 v30, v21
	v_rndne_f32_e32 v36, v24
	v_fmac_f32_e32 v25, 0x32a5705f, v9
	v_fma_f32 v35, 0x3fb8aa3b, v1, -v24
	v_exp_f32_e32 v22, v22
	s_delay_alu instid0(VALU_DEP_3) | instskip(NEXT) | instid1(VALU_DEP_3)
	v_dual_sub_f32 v21, v21, v30 :: v_dual_sub_f32 v24, v24, v36
	v_dual_fmac_f32 v29, 0x32a5705f, v11 :: v_dual_add_f32 v16, v16, v25
	s_delay_alu instid0(TRANS32_DEP_2)
	v_ldexp_f32 v20, v20, v28
	v_cvt_i32_f32_e32 v25, v30
	v_cvt_i32_f32_e32 v27, v32
	;; [unrolled: 1-line block ×3, first 2 shown]
	v_exp_f32_e32 v16, v16
	s_delay_alu instid0(TRANS32_DEP_2) | instid1(VALU_DEP_2)
	v_ldexp_f32 v22, v22, v27
	s_waitcnt_depctr 0xfff
	v_ldexp_f32 v16, v16, v26
	s_delay_alu instid0(VALU_DEP_1) | instskip(SKIP_2) | instid1(VALU_DEP_1)
	v_dual_fmac_f32 v33, 0x32a5705f, v15 :: v_dual_cndmask_b32 v16, 0, v16
	v_cmp_ngt_f32_e32 vcc_lo, 0xc2ce8ed0, v19
	v_dual_fmac_f32 v35, 0x32a5705f, v1 :: v_dual_cndmask_b32 v20, 0, v20
	v_dual_add_f32 v21, v21, v29 :: v_dual_add_f32 v24, v24, v35
	v_cmp_ngt_f32_e32 vcc_lo, 0xc2ce8ed0, v11
	v_cvt_i32_f32_e32 v29, v34
	s_delay_alu instid0(VALU_DEP_3) | instskip(NEXT) | instid1(VALU_DEP_3)
	v_exp_f32_e32 v21, v21
	v_exp_f32_e32 v24, v24
	s_waitcnt_depctr 0xfff
	v_ldexp_f32 v21, v21, v25
	s_delay_alu instid0(VALU_DEP_1) | instskip(SKIP_2) | instid1(VALU_DEP_1)
	v_cndmask_b32_e32 v21, 0, v21, vcc_lo
	v_cmp_ngt_f32_e32 vcc_lo, 0xc2ce8ed0, v12
	v_dual_add_f32 v23, v23, v33 :: v_dual_cndmask_b32 v22, 0, v22
	v_exp_f32_e32 v23, v23
	v_cmp_ngt_f32_e32 vcc_lo, 0xc2ce8ed0, v15
	s_waitcnt_depctr 0xfff
	v_ldexp_f32 v23, v23, v29
	s_delay_alu instid0(VALU_DEP_1)
	v_cndmask_b32_e32 v23, 0, v23, vcc_lo
	v_cmp_nlt_f32_e32 vcc_lo, 0x42b17218, v9
	v_cndmask_b32_e32 v9, 0x7f800000, v16, vcc_lo
	v_cmp_nlt_f32_e32 vcc_lo, 0x42b17218, v19
	v_cndmask_b32_e32 v16, 0x7f800000, v20, vcc_lo
	v_cmp_nlt_f32_e32 vcc_lo, 0x42b17218, v11
	v_cndmask_b32_e32 v11, 0x7f800000, v21, vcc_lo
	v_cmp_nlt_f32_e32 vcc_lo, 0x42b17218, v12
	v_cndmask_b32_e32 v12, 0x7f800000, v22, vcc_lo
	v_cmp_lt_i32_e32 vcc_lo, 0, v2
	v_cndmask_b32_e32 v9, 0, v9, vcc_lo
	v_cmp_lt_i32_e32 vcc_lo, 32, v2
	s_waitcnt vmcnt(5)
	s_delay_alu instid0(VALU_DEP_2) | instskip(SKIP_2) | instid1(VALU_DEP_2)
	v_dual_mul_f32 v9, v17, v9 :: v_dual_cndmask_b32 v16, 0, v16
	v_cmp_lt_i32_e32 vcc_lo, 64, v2
	s_waitcnt vmcnt(4)
	v_mul_f32_e32 v3, v3, v16
	v_cndmask_b32_e32 v11, 0, v11, vcc_lo
	v_cmp_lt_i32_e32 vcc_lo, 0x60, v2
	s_waitcnt vmcnt(3)
	s_delay_alu instid0(VALU_DEP_2)
	v_mul_f32_e32 v4, v4, v11
	v_cndmask_b32_e32 v12, 0, v12, vcc_lo
	v_cmp_nlt_f32_e32 vcc_lo, 0x42b17218, v15
	v_add_f32_e32 v15, v9, v3
	v_cndmask_b32_e32 v11, 0x7f800000, v23, vcc_lo
	v_cmp_lt_i32_e32 vcc_lo, 0x80, v2
	s_delay_alu instid0(VALU_DEP_3) | instskip(NEXT) | instid1(VALU_DEP_3)
	v_add_f32_e32 v15, v15, v4
	v_cndmask_b32_e32 v11, 0, v11, vcc_lo
	s_waitcnt vmcnt(2)
	v_mul_f32_e32 v5, v5, v12
	v_ldexp_f32 v12, v24, v30
	v_cmp_ngt_f32_e32 vcc_lo, 0xc2ce8ed0, v1
	s_waitcnt vmcnt(1)
	s_delay_alu instid0(VALU_DEP_3) | instskip(NEXT) | instid1(VALU_DEP_3)
	v_dual_mul_f32 v6, v6, v11 :: v_dual_add_f32 v11, v15, v5
	v_cndmask_b32_e32 v12, 0, v12, vcc_lo
	v_cmp_nlt_f32_e32 vcc_lo, 0x42b17218, v1
	s_delay_alu instid0(VALU_DEP_2) | instskip(SKIP_1) | instid1(VALU_DEP_2)
	v_cndmask_b32_e32 v1, 0x7f800000, v12, vcc_lo
	v_cmp_lt_i32_e32 vcc_lo, 0xa0, v2
	v_dual_cndmask_b32 v12, 0, v1 :: v_dual_add_f32 v1, v11, v6
	s_waitcnt vmcnt(0)
	s_delay_alu instid0(VALU_DEP_1)
	v_fmac_f32_e32 v1, v7, v12
	v_mul_f32_e32 v7, v7, v12
	ds_bpermute_b32 v2, v8, v1
	v_lshlrev_b32_e32 v8, 2, v0
	ds_store_2addr_b32 v8, v9, v3 offset1:32
	ds_store_2addr_b32 v8, v4, v5 offset0:64 offset1:96
	ds_store_2addr_b32 v8, v6, v7 offset0:128 offset1:160
	s_waitcnt lgkmcnt(3)
	v_add_f32_e32 v1, v1, v2
	ds_bpermute_b32 v2, v10, v1
	s_waitcnt lgkmcnt(0)
	v_add_f32_e32 v1, v1, v2
	ds_bpermute_b32 v2, v13, v1
	;; [unrolled: 3-line block ×4, first 2 shown]
	v_cmpx_eq_u32_e32 0, v0
	s_cbranch_execz .LBB79_8
; %bb.7:
	s_waitcnt lgkmcnt(0)
	v_dual_add_f32 v1, v1, v2 :: v_dual_mov_b32 v2, 0
	ds_store_b32 v2, v1 offset:768
.LBB79_8:
	s_or_b32 exec_lo, exec_lo, s7
	v_mov_b32_e32 v1, s6
.LBB79_9:
	s_or_b32 exec_lo, exec_lo, s24
	s_lshl_b32 s6, s18, 6
	s_mov_b32 s7, 0
	s_waitcnt lgkmcnt(0)
	v_dual_mov_b32 v2, 0 :: v_dual_lshlrev_b32 v1, 6, v1
	s_lshl_b64 s[6:7], s[6:7], 1
	v_lshlrev_b32_e32 v0, 1, v0
	s_add_u32 s34, s4, s6
	s_addc_u32 s35, s5, s7
	s_lshl_b32 s4, s23, 6
	v_lshlrev_b64 v[3:4], 1, v[1:2]
	s_sub_i32 s49, s4, 64
	s_cmpk_lt_i32 s48, 0x100
	v_dual_mov_b32 v30, 0 :: v_dual_mov_b32 v33, 0
	s_cselect_b32 s4, s49, 0
	s_delay_alu instid0(VALU_DEP_2)
	v_add_co_u32 v1, vcc_lo, s34, v3
	s_ashr_i32 s5, s4, 31
	v_add_co_ci_u32_e32 v3, vcc_lo, s35, v4, vcc_lo
	s_lshl_b64 s[4:5], s[4:5], 1
	s_cmpk_lt_i32 s48, 0x200
	v_add_co_u32 v1, vcc_lo, v1, v0
	s_cselect_b32 s6, s49, 64
	v_add_co_ci_u32_e32 v3, vcc_lo, 0, v3, vcc_lo
	s_ashr_i32 s7, s6, 31
	s_delay_alu instid0(VALU_DEP_2)
	v_add_co_u32 v4, vcc_lo, v1, s4
	s_lshl_b64 s[6:7], s[6:7], 1
	s_cmpk_lt_i32 s48, 0x300
	v_add_co_ci_u32_e32 v5, vcc_lo, s5, v3, vcc_lo
	s_cselect_b32 s8, s49, 0x80
	v_add_co_u32 v8, vcc_lo, v1, s6
	s_ashr_i32 s9, s8, 31
	v_add_co_ci_u32_e32 v9, vcc_lo, s7, v3, vcc_lo
	s_lshl_b64 s[8:9], s[8:9], 1
	s_cmpk_lt_i32 s48, 0x400
	v_add_co_u32 v10, vcc_lo, v1, s8
	s_cselect_b32 s10, s49, 0xc0
	v_add_co_ci_u32_e32 v11, vcc_lo, s9, v3, vcc_lo
	s_ashr_i32 s11, s10, 31
	v_dual_mov_b32 v32, 0 :: v_dual_mov_b32 v35, 0
	s_lshl_b64 s[10:11], s[10:11], 1
	s_cmpk_lt_i32 s48, 0x500
	v_add_co_u32 v12, vcc_lo, v1, s10
	s_cselect_b32 s18, s49, 0x100
	v_add_co_ci_u32_e32 v13, vcc_lo, s11, v3, vcc_lo
	s_ashr_i32 s19, s18, 31
	v_mov_b32_e32 v34, 0
	s_lshl_b64 s[18:19], s[18:19], 1
	s_cmpk_lt_i32 s48, 0x600
	v_add_co_u32 v14, vcc_lo, v1, s18
	s_cselect_b32 s20, s49, 0x140
	v_add_co_ci_u32_e32 v15, vcc_lo, s19, v3, vcc_lo
	s_ashr_i32 s21, s20, 31
	v_mov_b32_e32 v29, 0
	s_lshl_b64 s[20:21], s[20:21], 1
	s_cmpk_lt_i32 s48, 0x700
	v_add_co_u32 v16, vcc_lo, v1, s20
	s_cselect_b32 s24, s49, 0x180
	v_add_co_ci_u32_e32 v17, vcc_lo, s21, v3, vcc_lo
	s_ashr_i32 s25, s24, 31
	v_mov_b32_e32 v31, 0
	s_lshl_b64 s[24:25], s[24:25], 1
	s_cmpk_lt_i32 s48, 0x800
	v_add_co_u32 v18, vcc_lo, v1, s24
	s_cselect_b32 s26, s49, 0x1c0
	v_add_co_ci_u32_e32 v19, vcc_lo, s25, v3, vcc_lo
	s_ashr_i32 s27, s26, 31
	s_delay_alu instid0(SALU_CYCLE_1)
	s_lshl_b64 s[26:27], s[26:27], 1
	s_cmpk_lt_i32 s48, 0x900
	v_add_co_u32 v20, vcc_lo, v1, s26
	s_cselect_b32 s28, s49, 0x200
	v_add_co_ci_u32_e32 v21, vcc_lo, s27, v3, vcc_lo
	s_ashr_i32 s29, s28, 31
	s_clause 0x7
	global_load_u16 v7, v[4:5], off
	global_load_u16 v8, v[8:9], off
	;; [unrolled: 1-line block ×8, first 2 shown]
	s_lshl_b64 s[28:29], s[28:29], 1
	s_cmpk_lt_i32 s48, 0xa00
	v_add_co_u32 v12, vcc_lo, v1, s28
	s_cselect_b32 s30, s49, 0x240
	v_add_co_ci_u32_e32 v13, vcc_lo, s29, v3, vcc_lo
	s_ashr_i32 s31, s30, 31
	s_delay_alu instid0(SALU_CYCLE_1)
	s_lshl_b64 s[30:31], s[30:31], 1
	s_cmpk_lt_i32 s48, 0xb00
	v_add_co_u32 v15, vcc_lo, v1, s30
	s_cselect_b32 s34, s49, 0x280
	v_add_co_ci_u32_e32 v16, vcc_lo, s31, v3, vcc_lo
	s_ashr_i32 s35, s34, 31
	s_delay_alu instid0(SALU_CYCLE_1)
	;; [unrolled: 7-line block ×7, first 2 shown]
	s_lshl_b64 s[4:5], s[6:7], 1
	s_cmpk_gt_i32 s22, 0x1000
	v_add_co_u32 v27, vcc_lo, v1, s4
	v_add_co_ci_u32_e32 v28, vcc_lo, s5, v3, vcc_lo
	s_clause 0x7
	global_load_u16 v14, v[12:13], off
	global_load_u16 v15, v[15:16], off
	;; [unrolled: 1-line block ×8, first 2 shown]
	v_dual_mov_b32 v20, 0 :: v_dual_mov_b32 v23, 0
	v_dual_mov_b32 v21, 0 :: v_dual_mov_b32 v22, 0
	;; [unrolled: 1-line block ×4, first 2 shown]
	v_mov_b32_e32 v28, 0
	s_cselect_b32 s8, -1, 0
	s_cmpk_lt_i32 s22, 0x1001
	s_waitcnt vmcnt(0)
	s_barrier
	buffer_gl0_inv
	s_cbranch_scc1 .LBB79_11
; %bb.10:
	s_cmpk_lt_i32 s48, 0x1100
	s_cselect_b32 s4, s49, 0x400
	s_delay_alu instid0(SALU_CYCLE_1) | instskip(NEXT) | instid1(SALU_CYCLE_1)
	s_ashr_i32 s5, s4, 31
	s_lshl_b64 s[4:5], s[4:5], 1
	s_cmpk_lt_i32 s48, 0x1200
	v_add_co_u32 v20, vcc_lo, v1, s4
	s_cselect_b32 s6, s49, 0x440
	v_add_co_ci_u32_e32 v21, vcc_lo, s5, v3, vcc_lo
	s_ashr_i32 s7, s6, 31
	s_delay_alu instid0(SALU_CYCLE_1)
	s_lshl_b64 s[6:7], s[6:7], 1
	s_cmpk_lt_i32 s48, 0x1300
	v_add_co_u32 v22, vcc_lo, v1, s6
	s_cselect_b32 s10, s49, 0x480
	v_add_co_ci_u32_e32 v23, vcc_lo, s7, v3, vcc_lo
	s_ashr_i32 s11, s10, 31
	s_delay_alu instid0(SALU_CYCLE_1)
	;; [unrolled: 7-line block ×7, first 2 shown]
	s_lshl_b64 s[26:27], s[26:27], 1
	s_cmpk_lt_i32 s48, 0x1900
	v_add_co_u32 v34, vcc_lo, v1, s26
	s_cselect_b32 s28, s49, 0x600
	v_add_co_ci_u32_e32 v35, vcc_lo, s27, v3, vcc_lo
	s_ashr_i32 s29, s28, 31
	s_clause 0x7
	global_load_u16 v36, v[20:21], off
	global_load_u16 v37, v[22:23], off
	;; [unrolled: 1-line block ×8, first 2 shown]
	s_lshl_b64 s[28:29], s[28:29], 1
	s_cmpk_lt_i32 s48, 0x1a00
	v_add_co_u32 v20, vcc_lo, v1, s28
	s_cselect_b32 s30, s49, 0x640
	v_add_co_ci_u32_e32 v21, vcc_lo, s29, v3, vcc_lo
	s_ashr_i32 s31, s30, 31
	s_delay_alu instid0(SALU_CYCLE_1)
	s_lshl_b64 s[30:31], s[30:31], 1
	s_cmpk_lt_i32 s48, 0x1b00
	v_add_co_u32 v22, vcc_lo, v1, s30
	s_cselect_b32 s34, s49, 0x680
	v_add_co_ci_u32_e32 v23, vcc_lo, s31, v3, vcc_lo
	s_ashr_i32 s35, s34, 31
	s_delay_alu instid0(SALU_CYCLE_1)
	s_lshl_b64 s[4:5], s[34:35], 1
	s_cmpk_lt_i32 s48, 0x1c00
	v_add_co_u32 v24, vcc_lo, v1, s4
	s_cselect_b32 s6, s49, 0x6c0
	v_add_co_ci_u32_e32 v25, vcc_lo, s5, v3, vcc_lo
	s_ashr_i32 s7, s6, 31
	s_delay_alu instid0(SALU_CYCLE_1)
	s_lshl_b64 s[6:7], s[6:7], 1
	s_cmpk_lt_i32 s48, 0x1d00
	v_add_co_u32 v26, vcc_lo, v1, s6
	s_cselect_b32 s10, s49, 0x700
	v_add_co_ci_u32_e32 v27, vcc_lo, s7, v3, vcc_lo
	s_ashr_i32 s11, s10, 31
	s_delay_alu instid0(SALU_CYCLE_1)
	s_lshl_b64 s[10:11], s[10:11], 1
	s_cmpk_lt_i32 s48, 0x1e00
	v_add_co_u32 v28, vcc_lo, v1, s10
	s_cselect_b32 s18, s49, 0x740
	v_add_co_ci_u32_e32 v29, vcc_lo, s11, v3, vcc_lo
	s_ashr_i32 s19, s18, 31
	s_delay_alu instid0(SALU_CYCLE_1)
	s_lshl_b64 s[18:19], s[18:19], 1
	s_cmpk_lt_i32 s48, 0x1f00
	v_add_co_u32 v30, vcc_lo, v1, s18
	s_cselect_b32 s20, s49, 0x780
	v_add_co_ci_u32_e32 v31, vcc_lo, s19, v3, vcc_lo
	s_ashr_i32 s21, s20, 31
	s_delay_alu instid0(SALU_CYCLE_1)
	s_lshl_b64 s[4:5], s[20:21], 1
	s_cmpk_lt_i32 s48, 0x2000
	v_add_co_u32 v32, vcc_lo, v1, s4
	s_cselect_b32 s6, s49, 0x7c0
	v_add_co_ci_u32_e32 v33, vcc_lo, s5, v3, vcc_lo
	s_ashr_i32 s7, s6, 31
	s_delay_alu instid0(SALU_CYCLE_1) | instskip(NEXT) | instid1(SALU_CYCLE_1)
	s_lshl_b64 s[4:5], s[6:7], 1
	v_add_co_u32 v34, vcc_lo, v1, s4
	v_add_co_ci_u32_e32 v35, vcc_lo, s5, v3, vcc_lo
	s_clause 0x7
	global_load_u16 v20, v[20:21], off
	global_load_u16 v21, v[22:23], off
	;; [unrolled: 1-line block ×8, first 2 shown]
	s_waitcnt vmcnt(15)
	v_cvt_f32_f16_e32 v35, v36
	s_waitcnt vmcnt(14)
	v_cvt_f32_f16_e32 v34, v37
	;; [unrolled: 2-line block ×16, first 2 shown]
.LBB79_11:
	ds_load_b128 v[36:39], v2
	ds_load_b128 v[40:43], v2 offset:16
	s_and_not1_b32 vcc_lo, exec_lo, s8
	s_waitcnt lgkmcnt(1)
	v_fma_mix_f32 v7, v36, v7, 0 op_sel_hi:[0,1,0]
	s_delay_alu instid0(VALU_DEP_1) | instskip(NEXT) | instid1(VALU_DEP_1)
	v_fma_mix_f32 v7, v37, v8, v7 op_sel_hi:[0,1,0]
	v_fma_mix_f32 v7, v38, v9, v7 op_sel_hi:[0,1,0]
	s_delay_alu instid0(VALU_DEP_1)
	v_fma_mix_f32 v7, v39, v10, v7 op_sel_hi:[0,1,0]
	ds_load_b128 v[36:39], v2 offset:48
	s_waitcnt lgkmcnt(1)
	v_fma_mix_f32 v11, v40, v11, v7 op_sel_hi:[0,1,0]
	ds_load_b128 v[7:10], v2 offset:32
	v_fma_mix_f32 v4, v41, v4, v11 op_sel_hi:[0,1,0]
	s_delay_alu instid0(VALU_DEP_1) | instskip(NEXT) | instid1(VALU_DEP_1)
	v_fma_mix_f32 v4, v42, v5, v4 op_sel_hi:[0,1,0]
	v_fma_mix_f32 v4, v43, v6, v4 op_sel_hi:[0,1,0]
	s_waitcnt lgkmcnt(0)
	s_delay_alu instid0(VALU_DEP_1) | instskip(NEXT) | instid1(VALU_DEP_1)
	v_fma_mix_f32 v4, v7, v14, v4 op_sel_hi:[0,1,0]
	v_fma_mix_f32 v4, v8, v15, v4 op_sel_hi:[0,1,0]
	s_delay_alu instid0(VALU_DEP_1) | instskip(NEXT) | instid1(VALU_DEP_1)
	v_fma_mix_f32 v4, v9, v16, v4 op_sel_hi:[0,1,0]
	v_fma_mix_f32 v4, v10, v17, v4 op_sel_hi:[0,1,0]
	;; [unrolled: 3-line block ×4, first 2 shown]
	s_cbranch_vccz .LBB79_21
; %bb.12:
	s_cmpk_lt_i32 s48, 0x2100
	s_cbranch_scc0 .LBB79_22
.LBB79_13:
	s_cmpk_lt_i32 s48, 0x4100
	s_cbranch_scc0 .LBB79_23
.LBB79_14:
	s_cmpk_lt_i32 s48, 0x6100
	s_cbranch_scc0 .LBB79_24
.LBB79_15:
	s_cmp_lt_i32 s48, 0x8100
	s_cbranch_scc0 .LBB79_25
.LBB79_16:
	s_load_b64 s[0:1], s[0:1], 0x0
	s_cmp_lt_i32 s48, 0xa100
	s_cbranch_scc0 .LBB79_26
.LBB79_17:
	v_mov_b32_e32 v1, 0
	s_and_not1_b32 vcc_lo, exec_lo, s15
	ds_load_b32 v1, v1 offset:768
	s_cbranch_vccnz .LBB79_19
.LBB79_18:
	s_add_u32 s2, s12, s16
	s_addc_u32 s3, s13, s17
	s_load_b32 s2, s[2:3], 0x0
	s_mov_b32 s3, 0
.LBB79_19:
	s_waitcnt lgkmcnt(0)
	v_add_f32_e32 v1, 0x358637bd, v1
	s_mul_i32 s3, s33, s3
	s_mul_hi_u32 s4, s33, s2
	s_mul_i32 s2, s33, s2
	s_add_i32 s3, s4, s3
	v_div_scale_f32 v2, null, v1, v1, 1.0
	s_lshl_b64 s[2:3], s[2:3], 7
	s_mov_b32 s15, 0
	s_add_u32 s2, s0, s2
	s_delay_alu instid0(VALU_DEP_1) | instskip(SKIP_2) | instid1(SALU_CYCLE_1)
	v_rcp_f32_e32 v3, v2
	s_addc_u32 s3, s1, s3
	s_lshl_b64 s[0:1], s[14:15], 7
	s_add_u32 s0, s2, s0
	s_addc_u32 s1, s3, s1
	s_waitcnt_depctr 0xfff
	v_fma_f32 v5, -v2, v3, 1.0
	s_delay_alu instid0(VALU_DEP_1) | instskip(SKIP_1) | instid1(VALU_DEP_1)
	v_fmac_f32_e32 v3, v5, v3
	v_div_scale_f32 v5, vcc_lo, 1.0, v1, 1.0
	v_mul_f32_e32 v6, v5, v3
	s_delay_alu instid0(VALU_DEP_1) | instskip(NEXT) | instid1(VALU_DEP_1)
	v_fma_f32 v7, -v2, v6, v5
	v_fmac_f32_e32 v6, v7, v3
	s_delay_alu instid0(VALU_DEP_1) | instskip(NEXT) | instid1(VALU_DEP_1)
	v_fma_f32 v2, -v2, v6, v5
	v_div_fmas_f32 v2, v2, v3, v6
	s_delay_alu instid0(VALU_DEP_1) | instskip(NEXT) | instid1(VALU_DEP_1)
	v_div_fixup_f32 v1, v2, v1, 1.0
	v_fma_mixlo_f16 v1, v4, v1, 0
	global_store_b16 v0, v1, s[0:1]
	s_nop 0
	s_sendmsg sendmsg(MSG_DEALLOC_VGPRS)
	s_endpgm
.LBB79_20:
	s_mov_b32 s4, 0
	s_branch .LBB79_2
.LBB79_21:
	ds_load_b128 v[5:8], v2 offset:64
	ds_load_b128 v[9:12], v2 offset:80
	s_waitcnt lgkmcnt(1)
	v_fmac_f32_e32 v4, v5, v35
	s_delay_alu instid0(VALU_DEP_1) | instskip(NEXT) | instid1(VALU_DEP_1)
	v_fmac_f32_e32 v4, v6, v34
	v_fmac_f32_e32 v4, v7, v33
	s_delay_alu instid0(VALU_DEP_1) | instskip(SKIP_3) | instid1(VALU_DEP_1)
	v_fmac_f32_e32 v4, v8, v32
	ds_load_b128 v[5:8], v2 offset:96
	s_waitcnt lgkmcnt(1)
	v_fmac_f32_e32 v4, v9, v31
	v_fmac_f32_e32 v4, v10, v30
	s_delay_alu instid0(VALU_DEP_1) | instskip(NEXT) | instid1(VALU_DEP_1)
	v_fmac_f32_e32 v4, v11, v29
	v_fmac_f32_e32 v4, v12, v28
	ds_load_b128 v[9:12], v2 offset:112
	s_waitcnt lgkmcnt(1)
	v_fmac_f32_e32 v4, v5, v27
	s_delay_alu instid0(VALU_DEP_1) | instskip(NEXT) | instid1(VALU_DEP_1)
	v_fmac_f32_e32 v4, v6, v26
	v_fmac_f32_e32 v4, v7, v25
	s_delay_alu instid0(VALU_DEP_1) | instskip(SKIP_1) | instid1(VALU_DEP_1)
	v_fmac_f32_e32 v4, v8, v24
	s_waitcnt lgkmcnt(0)
	v_fmac_f32_e32 v4, v9, v23
	s_delay_alu instid0(VALU_DEP_1) | instskip(NEXT) | instid1(VALU_DEP_1)
	v_fmac_f32_e32 v4, v10, v22
	v_fmac_f32_e32 v4, v11, v21
	s_delay_alu instid0(VALU_DEP_1)
	v_fmac_f32_e32 v4, v12, v20
	s_cmpk_lt_i32 s48, 0x2100
	s_cbranch_scc1 .LBB79_13
.LBB79_22:
	s_cmpk_lt_i32 s48, 0x2200
	v_add_co_u32 v5, vcc_lo, 0x1000, v1
	s_cselect_b32 s4, s49, 0x840
	v_add_co_ci_u32_e32 v6, vcc_lo, 0, v3, vcc_lo
	s_ashr_i32 s5, s4, 31
	v_mov_b32_e32 v44, 0
	s_lshl_b64 s[4:5], s[4:5], 1
	s_cmpk_lt_i32 s48, 0x2300
	v_add_co_u32 v7, vcc_lo, v1, s4
	s_cselect_b32 s6, s49, 0x880
	v_add_co_ci_u32_e32 v8, vcc_lo, s5, v3, vcc_lo
	s_ashr_i32 s7, s6, 31
	s_delay_alu instid0(SALU_CYCLE_1)
	s_lshl_b64 s[6:7], s[6:7], 1
	s_cmpk_lt_i32 s48, 0x2400
	v_add_co_u32 v9, vcc_lo, v1, s6
	s_cselect_b32 s8, s49, 0x8c0
	v_add_co_ci_u32_e32 v10, vcc_lo, s7, v3, vcc_lo
	s_ashr_i32 s9, s8, 31
	s_delay_alu instid0(SALU_CYCLE_1)
	s_lshl_b64 s[8:9], s[8:9], 1
	s_cmpk_lt_i32 s48, 0x2500
	v_add_co_u32 v11, vcc_lo, v1, s8
	s_cselect_b32 s10, s49, 0x900
	v_add_co_ci_u32_e32 v12, vcc_lo, s9, v3, vcc_lo
	s_ashr_i32 s11, s10, 31
	s_delay_alu instid0(SALU_CYCLE_1)
	s_lshl_b64 s[10:11], s[10:11], 1
	s_cmpk_lt_i32 s48, 0x2600
	v_add_co_u32 v13, vcc_lo, v1, s10
	s_cselect_b32 s18, s49, 0x940
	v_add_co_ci_u32_e32 v14, vcc_lo, s11, v3, vcc_lo
	s_ashr_i32 s19, s18, 31
	s_delay_alu instid0(SALU_CYCLE_1)
	s_lshl_b64 s[20:21], s[18:19], 1
	s_cmpk_lt_i32 s48, 0x2700
	v_add_co_u32 v15, vcc_lo, v1, s20
	s_cselect_b32 s18, s49, 0x980
	v_add_co_ci_u32_e32 v16, vcc_lo, s21, v3, vcc_lo
	s_ashr_i32 s19, s18, 31
	s_delay_alu instid0(SALU_CYCLE_1)
	s_lshl_b64 s[22:23], s[18:19], 1
	s_cmpk_lt_i32 s48, 0x2800
	v_add_co_u32 v17, vcc_lo, v1, s22
	s_cselect_b32 s18, s49, 0x9c0
	v_add_co_ci_u32_e32 v18, vcc_lo, s23, v3, vcc_lo
	s_ashr_i32 s19, s18, 31
	s_delay_alu instid0(SALU_CYCLE_1)
	s_lshl_b64 s[26:27], s[18:19], 1
	s_cmpk_lt_i32 s48, 0x2900
	v_add_co_u32 v19, vcc_lo, v1, s26
	s_cselect_b32 s18, s49, 0xa00
	v_add_co_ci_u32_e32 v20, vcc_lo, s27, v3, vcc_lo
	s_ashr_i32 s19, s18, 31
	s_clause 0x7
	global_load_u16 v2, v[5:6], off
	global_load_u16 v21, v[7:8], off
	global_load_u16 v22, v[9:10], off
	global_load_u16 v23, v[11:12], off
	global_load_u16 v24, v[13:14], off
	global_load_u16 v25, v[15:16], off
	global_load_u16 v26, v[17:18], off
	global_load_u16 v27, v[19:20], off
	s_lshl_b64 s[18:19], s[18:19], 1
	s_cmpk_lt_i32 s48, 0x2a00
	v_add_co_u32 v5, vcc_lo, v1, s18
	s_cselect_b32 s24, s49, 0xa40
	v_add_co_ci_u32_e32 v6, vcc_lo, s19, v3, vcc_lo
	s_ashr_i32 s25, s24, 31
	s_delay_alu instid0(SALU_CYCLE_1)
	s_lshl_b64 s[24:25], s[24:25], 1
	s_cmpk_lt_i32 s48, 0x2b00
	v_add_co_u32 v7, vcc_lo, v1, s24
	s_cselect_b32 s28, s49, 0xa80
	v_add_co_ci_u32_e32 v8, vcc_lo, s25, v3, vcc_lo
	s_ashr_i32 s29, s28, 31
	s_delay_alu instid0(SALU_CYCLE_1)
	;; [unrolled: 7-line block ×7, first 2 shown]
	s_lshl_b64 s[44:45], s[36:37], 1
	s_cmpk_lt_i32 s48, 0x3100
	v_add_co_u32 v19, vcc_lo, v1, s44
	s_cselect_b32 s36, s49, 0xc00
	v_add_co_ci_u32_e32 v20, vcc_lo, s45, v3, vcc_lo
	s_ashr_i32 s37, s36, 31
	s_clause 0x7
	global_load_u16 v28, v[5:6], off
	global_load_u16 v29, v[7:8], off
	global_load_u16 v30, v[9:10], off
	global_load_u16 v31, v[11:12], off
	global_load_u16 v32, v[13:14], off
	global_load_u16 v33, v[15:16], off
	global_load_u16 v17, v[17:18], off
	global_load_u16 v18, v[19:20], off
	s_lshl_b64 s[36:37], s[36:37], 1
	s_cmpk_lt_i32 s48, 0x3200
	v_add_co_u32 v5, vcc_lo, v1, s36
	s_cselect_b32 s42, s49, 0xc40
	v_add_co_ci_u32_e32 v6, vcc_lo, s37, v3, vcc_lo
	s_ashr_i32 s43, s42, 31
	s_delay_alu instid0(SALU_CYCLE_1)
	s_lshl_b64 s[42:43], s[42:43], 1
	s_cmpk_lt_i32 s48, 0x3300
	v_add_co_u32 v7, vcc_lo, v1, s42
	s_cselect_b32 s46, s49, 0xc80
	v_add_co_ci_u32_e32 v8, vcc_lo, s43, v3, vcc_lo
	s_ashr_i32 s47, s46, 31
	s_delay_alu instid0(SALU_CYCLE_1)
	;; [unrolled: 7-line block ×5, first 2 shown]
	s_lshl_b64 s[8:9], s[8:9], 1
	s_cmpk_lt_i32 s48, 0x3700
	v_add_co_u32 v15, vcc_lo, v1, s8
	s_cselect_b32 s10, s49, 0xd80
	v_add_co_ci_u32_e32 v16, vcc_lo, s9, v3, vcc_lo
	s_ashr_i32 s11, s10, 31
	s_clause 0x5
	global_load_u16 v19, v[5:6], off
	global_load_u16 v20, v[7:8], off
	;; [unrolled: 1-line block ×6, first 2 shown]
	s_lshl_b64 s[10:11], s[10:11], 1
	s_cmpk_lt_i32 s48, 0x3800
	v_add_co_u32 v5, vcc_lo, v1, s10
	s_cselect_b32 s18, s49, 0xdc0
	v_add_co_ci_u32_e32 v6, vcc_lo, s11, v3, vcc_lo
	s_ashr_i32 s19, s18, 31
	s_delay_alu instid0(SALU_CYCLE_1)
	s_lshl_b64 s[18:19], s[18:19], 1
	s_cmpk_lt_i32 s48, 0x3900
	v_add_co_u32 v7, vcc_lo, v1, s18
	s_cselect_b32 s20, s49, 0xe00
	v_add_co_ci_u32_e32 v8, vcc_lo, s19, v3, vcc_lo
	s_ashr_i32 s21, s20, 31
	global_load_u16 v16, v[5:6], off
	s_lshl_b64 s[20:21], s[20:21], 1
	global_load_u16 v37, v[7:8], off
	s_cmpk_lt_i32 s48, 0x3a00
	v_add_co_u32 v9, vcc_lo, v1, s20
	s_cselect_b32 s22, s49, 0xe40
	v_add_co_ci_u32_e32 v10, vcc_lo, s21, v3, vcc_lo
	s_ashr_i32 s23, s22, 31
	s_delay_alu instid0(SALU_CYCLE_1)
	s_lshl_b64 s[22:23], s[22:23], 1
	s_cmpk_lt_i32 s48, 0x3b00
	v_add_co_u32 v11, vcc_lo, v1, s22
	s_cselect_b32 s4, s49, 0xe80
	v_add_co_ci_u32_e32 v12, vcc_lo, s23, v3, vcc_lo
	s_ashr_i32 s5, s4, 31
	s_delay_alu instid0(SALU_CYCLE_1)
	s_lshl_b64 s[4:5], s[4:5], 1
	s_cmpk_lt_i32 s48, 0x3c00
	v_add_co_u32 v13, vcc_lo, v1, s4
	s_cselect_b32 s6, s49, 0xec0
	v_add_co_ci_u32_e32 v14, vcc_lo, s5, v3, vcc_lo
	s_ashr_i32 s7, s6, 31
	s_clause 0x2
	global_load_u16 v38, v[9:10], off
	global_load_u16 v39, v[11:12], off
	;; [unrolled: 1-line block ×3, first 2 shown]
	s_lshl_b64 s[6:7], s[6:7], 1
	s_cmpk_lt_i32 s48, 0x3d00
	v_add_co_u32 v5, vcc_lo, v1, s6
	s_cselect_b32 s8, s49, 0xf00
	v_add_co_ci_u32_e32 v6, vcc_lo, s7, v3, vcc_lo
	s_ashr_i32 s9, s8, 31
	s_delay_alu instid0(SALU_CYCLE_1)
	s_lshl_b64 s[4:5], s[8:9], 1
	s_cmpk_lt_i32 s48, 0x3e00
	v_add_co_u32 v7, vcc_lo, v1, s4
	s_cselect_b32 s8, s49, 0xf40
	v_add_co_ci_u32_e32 v8, vcc_lo, s5, v3, vcc_lo
	s_ashr_i32 s9, s8, 31
	global_load_u16 v14, v[5:6], off
	s_lshl_b64 s[8:9], s[8:9], 1
	s_cmpk_lt_i32 s48, 0x3f00
	v_add_co_u32 v9, vcc_lo, v1, s8
	s_cselect_b32 s6, s49, 0xf80
	v_add_co_ci_u32_e32 v10, vcc_lo, s9, v3, vcc_lo
	s_ashr_i32 s7, s6, 31
	s_clause 0x1
	global_load_u16 v40, v[7:8], off
	global_load_u16 v41, v[9:10], off
	s_lshl_b64 s[4:5], s[6:7], 1
	s_cmpk_lt_i32 s48, 0x4000
	v_add_co_u32 v5, vcc_lo, v1, s4
	s_cselect_b32 s6, s49, 0xfc0
	v_add_co_ci_u32_e32 v6, vcc_lo, s5, v3, vcc_lo
	s_ashr_i32 s7, s6, 31
	s_delay_alu instid0(SALU_CYCLE_1) | instskip(NEXT) | instid1(SALU_CYCLE_1)
	s_lshl_b64 s[4:5], s[6:7], 1
	v_add_co_u32 v7, vcc_lo, v1, s4
	v_add_co_ci_u32_e32 v8, vcc_lo, s5, v3, vcc_lo
	s_clause 0x1
	global_load_u16 v42, v[5:6], off
	global_load_u16 v43, v[7:8], off
	ds_load_b128 v[5:8], v44 offset:128
	ds_load_b128 v[9:12], v44 offset:144
	s_waitcnt vmcnt(31) lgkmcnt(1)
	v_fma_mix_f32 v2, v5, v2, v4 op_sel_hi:[0,1,0]
	s_waitcnt vmcnt(30)
	s_delay_alu instid0(VALU_DEP_1) | instskip(SKIP_1) | instid1(VALU_DEP_1)
	v_fma_mix_f32 v2, v6, v21, v2 op_sel_hi:[0,1,0]
	s_waitcnt vmcnt(29)
	v_fma_mix_f32 v2, v7, v22, v2 op_sel_hi:[0,1,0]
	ds_load_b128 v[4:7], v44 offset:160
	s_waitcnt vmcnt(28)
	v_fma_mix_f32 v2, v8, v23, v2 op_sel_hi:[0,1,0]
	s_waitcnt vmcnt(27) lgkmcnt(1)
	s_delay_alu instid0(VALU_DEP_1) | instskip(SKIP_1) | instid1(VALU_DEP_1)
	v_fma_mix_f32 v2, v9, v24, v2 op_sel_hi:[0,1,0]
	s_waitcnt vmcnt(26)
	v_fma_mix_f32 v2, v10, v25, v2 op_sel_hi:[0,1,0]
	s_waitcnt vmcnt(25)
	s_delay_alu instid0(VALU_DEP_1) | instskip(SKIP_4) | instid1(VALU_DEP_1)
	v_fma_mix_f32 v2, v11, v26, v2 op_sel_hi:[0,1,0]
	ds_load_b128 v[8:11], v44 offset:176
	s_waitcnt vmcnt(24)
	v_fma_mix_f32 v2, v12, v27, v2 op_sel_hi:[0,1,0]
	s_waitcnt vmcnt(23) lgkmcnt(1)
	v_fma_mix_f32 v2, v4, v28, v2 op_sel_hi:[0,1,0]
	s_waitcnt vmcnt(22)
	s_delay_alu instid0(VALU_DEP_1) | instskip(SKIP_1) | instid1(VALU_DEP_1)
	v_fma_mix_f32 v2, v5, v29, v2 op_sel_hi:[0,1,0]
	s_waitcnt vmcnt(21)
	v_fma_mix_f32 v2, v6, v30, v2 op_sel_hi:[0,1,0]
	s_waitcnt vmcnt(20)
	s_delay_alu instid0(VALU_DEP_1) | instskip(SKIP_4) | instid1(VALU_DEP_1)
	v_fma_mix_f32 v2, v7, v31, v2 op_sel_hi:[0,1,0]
	ds_load_b128 v[4:7], v44 offset:192
	s_waitcnt vmcnt(19) lgkmcnt(1)
	v_fma_mix_f32 v2, v8, v32, v2 op_sel_hi:[0,1,0]
	s_waitcnt vmcnt(18)
	v_fma_mix_f32 v2, v9, v33, v2 op_sel_hi:[0,1,0]
	s_waitcnt vmcnt(17)
	s_delay_alu instid0(VALU_DEP_1) | instskip(SKIP_1) | instid1(VALU_DEP_1)
	v_fma_mix_f32 v2, v10, v17, v2 op_sel_hi:[0,1,0]
	s_waitcnt vmcnt(16)
	v_fma_mix_f32 v2, v11, v18, v2 op_sel_hi:[0,1,0]
	ds_load_b128 v[8:11], v44 offset:208
	s_waitcnt vmcnt(15) lgkmcnt(1)
	v_fma_mix_f32 v2, v4, v19, v2 op_sel_hi:[0,1,0]
	s_waitcnt vmcnt(14)
	s_delay_alu instid0(VALU_DEP_1) | instskip(SKIP_1) | instid1(VALU_DEP_1)
	v_fma_mix_f32 v2, v5, v20, v2 op_sel_hi:[0,1,0]
	s_waitcnt vmcnt(13)
	v_fma_mix_f32 v2, v6, v34, v2 op_sel_hi:[0,1,0]
	s_waitcnt vmcnt(12)
	s_delay_alu instid0(VALU_DEP_1) | instskip(SKIP_4) | instid1(VALU_DEP_1)
	v_fma_mix_f32 v2, v7, v35, v2 op_sel_hi:[0,1,0]
	ds_load_b128 v[4:7], v44 offset:224
	s_waitcnt vmcnt(11) lgkmcnt(1)
	v_fma_mix_f32 v2, v8, v36, v2 op_sel_hi:[0,1,0]
	s_waitcnt vmcnt(10)
	v_fma_mix_f32 v2, v9, v15, v2 op_sel_hi:[0,1,0]
	s_waitcnt vmcnt(9)
	s_delay_alu instid0(VALU_DEP_1) | instskip(SKIP_1) | instid1(VALU_DEP_1)
	v_fma_mix_f32 v2, v10, v16, v2 op_sel_hi:[0,1,0]
	s_waitcnt vmcnt(8)
	v_fma_mix_f32 v2, v11, v37, v2 op_sel_hi:[0,1,0]
	ds_load_b128 v[8:11], v44 offset:240
	s_waitcnt vmcnt(7) lgkmcnt(1)
	v_fma_mix_f32 v2, v4, v38, v2 op_sel_hi:[0,1,0]
	s_waitcnt vmcnt(6)
	s_delay_alu instid0(VALU_DEP_1) | instskip(SKIP_1) | instid1(VALU_DEP_1)
	v_fma_mix_f32 v2, v5, v39, v2 op_sel_hi:[0,1,0]
	s_waitcnt vmcnt(5)
	v_fma_mix_f32 v2, v6, v13, v2 op_sel_hi:[0,1,0]
	s_waitcnt vmcnt(4)
	s_delay_alu instid0(VALU_DEP_1) | instskip(SKIP_1) | instid1(VALU_DEP_1)
	v_fma_mix_f32 v2, v7, v14, v2 op_sel_hi:[0,1,0]
	s_waitcnt vmcnt(3) lgkmcnt(0)
	v_fma_mix_f32 v2, v8, v40, v2 op_sel_hi:[0,1,0]
	s_waitcnt vmcnt(2)
	s_delay_alu instid0(VALU_DEP_1) | instskip(SKIP_1) | instid1(VALU_DEP_1)
	v_fma_mix_f32 v2, v9, v41, v2 op_sel_hi:[0,1,0]
	s_waitcnt vmcnt(1)
	v_fma_mix_f32 v2, v10, v42, v2 op_sel_hi:[0,1,0]
	s_waitcnt vmcnt(0)
	s_delay_alu instid0(VALU_DEP_1)
	v_fma_mix_f32 v4, v11, v43, v2 op_sel_hi:[0,1,0]
	s_cmpk_lt_i32 s48, 0x4100
	s_cbranch_scc1 .LBB79_14
.LBB79_23:
	s_cmpk_lt_i32 s48, 0x4200
	v_add_co_u32 v5, vcc_lo, 0x2000, v1
	s_cselect_b32 s4, s49, 0x1040
	v_add_co_ci_u32_e32 v6, vcc_lo, 0, v3, vcc_lo
	s_ashr_i32 s5, s4, 31
	v_mov_b32_e32 v44, 0
	s_lshl_b64 s[4:5], s[4:5], 1
	s_cmpk_lt_i32 s48, 0x4300
	v_add_co_u32 v7, vcc_lo, v1, s4
	s_cselect_b32 s6, s49, 0x1080
	v_add_co_ci_u32_e32 v8, vcc_lo, s5, v3, vcc_lo
	s_ashr_i32 s7, s6, 31
	s_delay_alu instid0(SALU_CYCLE_1)
	s_lshl_b64 s[6:7], s[6:7], 1
	s_cmpk_lt_i32 s48, 0x4400
	v_add_co_u32 v9, vcc_lo, v1, s6
	s_cselect_b32 s8, s49, 0x10c0
	v_add_co_ci_u32_e32 v10, vcc_lo, s7, v3, vcc_lo
	s_ashr_i32 s9, s8, 31
	s_delay_alu instid0(SALU_CYCLE_1)
	;; [unrolled: 7-line block ×6, first 2 shown]
	s_lshl_b64 s[26:27], s[18:19], 1
	s_cmpk_lt_i32 s48, 0x4900
	v_add_co_u32 v19, vcc_lo, v1, s26
	s_cselect_b32 s18, s49, 0x1200
	v_add_co_ci_u32_e32 v20, vcc_lo, s27, v3, vcc_lo
	s_ashr_i32 s19, s18, 31
	s_clause 0x7
	global_load_u16 v2, v[5:6], off
	global_load_u16 v21, v[7:8], off
	;; [unrolled: 1-line block ×8, first 2 shown]
	s_lshl_b64 s[18:19], s[18:19], 1
	s_cmpk_lt_i32 s48, 0x4a00
	v_add_co_u32 v5, vcc_lo, v1, s18
	s_cselect_b32 s24, s49, 0x1240
	v_add_co_ci_u32_e32 v6, vcc_lo, s19, v3, vcc_lo
	s_ashr_i32 s25, s24, 31
	s_delay_alu instid0(SALU_CYCLE_1)
	s_lshl_b64 s[24:25], s[24:25], 1
	s_cmpk_lt_i32 s48, 0x4b00
	v_add_co_u32 v7, vcc_lo, v1, s24
	s_cselect_b32 s28, s49, 0x1280
	v_add_co_ci_u32_e32 v8, vcc_lo, s25, v3, vcc_lo
	s_ashr_i32 s29, s28, 31
	s_delay_alu instid0(SALU_CYCLE_1)
	s_lshl_b64 s[28:29], s[28:29], 1
	s_cmpk_lt_i32 s48, 0x4c00
	v_add_co_u32 v9, vcc_lo, v1, s28
	s_cselect_b32 s30, s49, 0x12c0
	v_add_co_ci_u32_e32 v10, vcc_lo, s29, v3, vcc_lo
	s_ashr_i32 s31, s30, 31
	s_delay_alu instid0(SALU_CYCLE_1)
	s_lshl_b64 s[30:31], s[30:31], 1
	s_cmpk_lt_i32 s48, 0x4d00
	v_add_co_u32 v11, vcc_lo, v1, s30
	s_cselect_b32 s34, s49, 0x1300
	v_add_co_ci_u32_e32 v12, vcc_lo, s31, v3, vcc_lo
	s_ashr_i32 s35, s34, 31
	s_delay_alu instid0(SALU_CYCLE_1)
	s_lshl_b64 s[34:35], s[34:35], 1
	s_cmpk_lt_i32 s48, 0x4e00
	v_add_co_u32 v13, vcc_lo, v1, s34
	s_cselect_b32 s36, s49, 0x1340
	v_add_co_ci_u32_e32 v14, vcc_lo, s35, v3, vcc_lo
	s_ashr_i32 s37, s36, 31
	s_delay_alu instid0(SALU_CYCLE_1)
	s_lshl_b64 s[38:39], s[36:37], 1
	s_cmpk_lt_i32 s48, 0x4f00
	v_add_co_u32 v15, vcc_lo, v1, s38
	s_cselect_b32 s36, s49, 0x1380
	v_add_co_ci_u32_e32 v16, vcc_lo, s39, v3, vcc_lo
	s_ashr_i32 s37, s36, 31
	s_delay_alu instid0(SALU_CYCLE_1)
	s_lshl_b64 s[40:41], s[36:37], 1
	s_cmpk_lt_i32 s48, 0x5000
	v_add_co_u32 v17, vcc_lo, v1, s40
	s_cselect_b32 s36, s49, 0x13c0
	v_add_co_ci_u32_e32 v18, vcc_lo, s41, v3, vcc_lo
	s_ashr_i32 s37, s36, 31
	s_delay_alu instid0(SALU_CYCLE_1)
	s_lshl_b64 s[44:45], s[36:37], 1
	s_cmpk_lt_i32 s48, 0x5100
	v_add_co_u32 v19, vcc_lo, v1, s44
	s_cselect_b32 s36, s49, 0x1400
	v_add_co_ci_u32_e32 v20, vcc_lo, s45, v3, vcc_lo
	s_ashr_i32 s37, s36, 31
	s_clause 0x7
	global_load_u16 v28, v[5:6], off
	global_load_u16 v29, v[7:8], off
	;; [unrolled: 1-line block ×8, first 2 shown]
	s_lshl_b64 s[36:37], s[36:37], 1
	s_cmpk_lt_i32 s48, 0x5200
	v_add_co_u32 v5, vcc_lo, v1, s36
	s_cselect_b32 s42, s49, 0x1440
	v_add_co_ci_u32_e32 v6, vcc_lo, s37, v3, vcc_lo
	s_ashr_i32 s43, s42, 31
	s_delay_alu instid0(SALU_CYCLE_1)
	s_lshl_b64 s[42:43], s[42:43], 1
	s_cmpk_lt_i32 s48, 0x5300
	v_add_co_u32 v7, vcc_lo, v1, s42
	s_cselect_b32 s46, s49, 0x1480
	v_add_co_ci_u32_e32 v8, vcc_lo, s43, v3, vcc_lo
	s_ashr_i32 s47, s46, 31
	s_delay_alu instid0(SALU_CYCLE_1)
	;; [unrolled: 7-line block ×5, first 2 shown]
	s_lshl_b64 s[8:9], s[8:9], 1
	s_cmpk_lt_i32 s48, 0x5700
	v_add_co_u32 v15, vcc_lo, v1, s8
	s_cselect_b32 s10, s49, 0x1580
	v_add_co_ci_u32_e32 v16, vcc_lo, s9, v3, vcc_lo
	s_ashr_i32 s11, s10, 31
	s_clause 0x5
	global_load_u16 v19, v[5:6], off
	global_load_u16 v20, v[7:8], off
	;; [unrolled: 1-line block ×6, first 2 shown]
	s_lshl_b64 s[10:11], s[10:11], 1
	s_cmpk_lt_i32 s48, 0x5800
	v_add_co_u32 v5, vcc_lo, v1, s10
	s_cselect_b32 s18, s49, 0x15c0
	v_add_co_ci_u32_e32 v6, vcc_lo, s11, v3, vcc_lo
	s_ashr_i32 s19, s18, 31
	s_delay_alu instid0(SALU_CYCLE_1)
	s_lshl_b64 s[18:19], s[18:19], 1
	s_cmpk_lt_i32 s48, 0x5900
	v_add_co_u32 v7, vcc_lo, v1, s18
	s_cselect_b32 s20, s49, 0x1600
	v_add_co_ci_u32_e32 v8, vcc_lo, s19, v3, vcc_lo
	s_ashr_i32 s21, s20, 31
	global_load_u16 v16, v[5:6], off
	s_lshl_b64 s[20:21], s[20:21], 1
	global_load_u16 v37, v[7:8], off
	s_cmpk_lt_i32 s48, 0x5a00
	v_add_co_u32 v9, vcc_lo, v1, s20
	s_cselect_b32 s22, s49, 0x1640
	v_add_co_ci_u32_e32 v10, vcc_lo, s21, v3, vcc_lo
	s_ashr_i32 s23, s22, 31
	s_delay_alu instid0(SALU_CYCLE_1)
	s_lshl_b64 s[22:23], s[22:23], 1
	s_cmpk_lt_i32 s48, 0x5b00
	v_add_co_u32 v11, vcc_lo, v1, s22
	s_cselect_b32 s4, s49, 0x1680
	v_add_co_ci_u32_e32 v12, vcc_lo, s23, v3, vcc_lo
	s_ashr_i32 s5, s4, 31
	s_delay_alu instid0(SALU_CYCLE_1)
	s_lshl_b64 s[4:5], s[4:5], 1
	s_cmpk_lt_i32 s48, 0x5c00
	v_add_co_u32 v13, vcc_lo, v1, s4
	s_cselect_b32 s6, s49, 0x16c0
	v_add_co_ci_u32_e32 v14, vcc_lo, s5, v3, vcc_lo
	s_ashr_i32 s7, s6, 31
	s_clause 0x2
	global_load_u16 v38, v[9:10], off
	global_load_u16 v39, v[11:12], off
	global_load_u16 v13, v[13:14], off
	s_lshl_b64 s[6:7], s[6:7], 1
	s_cmpk_lt_i32 s48, 0x5d00
	v_add_co_u32 v5, vcc_lo, v1, s6
	s_cselect_b32 s8, s49, 0x1700
	v_add_co_ci_u32_e32 v6, vcc_lo, s7, v3, vcc_lo
	s_ashr_i32 s9, s8, 31
	s_delay_alu instid0(SALU_CYCLE_1)
	s_lshl_b64 s[4:5], s[8:9], 1
	s_cmpk_lt_i32 s48, 0x5e00
	v_add_co_u32 v7, vcc_lo, v1, s4
	s_cselect_b32 s8, s49, 0x1740
	v_add_co_ci_u32_e32 v8, vcc_lo, s5, v3, vcc_lo
	s_ashr_i32 s9, s8, 31
	global_load_u16 v14, v[5:6], off
	s_lshl_b64 s[8:9], s[8:9], 1
	s_cmpk_lt_i32 s48, 0x5f00
	v_add_co_u32 v9, vcc_lo, v1, s8
	s_cselect_b32 s6, s49, 0x1780
	v_add_co_ci_u32_e32 v10, vcc_lo, s9, v3, vcc_lo
	s_ashr_i32 s7, s6, 31
	s_clause 0x1
	global_load_u16 v40, v[7:8], off
	global_load_u16 v41, v[9:10], off
	s_lshl_b64 s[4:5], s[6:7], 1
	s_cmpk_lt_i32 s48, 0x6000
	v_add_co_u32 v5, vcc_lo, v1, s4
	s_cselect_b32 s6, s49, 0x17c0
	v_add_co_ci_u32_e32 v6, vcc_lo, s5, v3, vcc_lo
	s_ashr_i32 s7, s6, 31
	s_delay_alu instid0(SALU_CYCLE_1) | instskip(NEXT) | instid1(SALU_CYCLE_1)
	s_lshl_b64 s[4:5], s[6:7], 1
	v_add_co_u32 v7, vcc_lo, v1, s4
	v_add_co_ci_u32_e32 v8, vcc_lo, s5, v3, vcc_lo
	s_clause 0x1
	global_load_u16 v42, v[5:6], off
	global_load_u16 v43, v[7:8], off
	ds_load_b128 v[5:8], v44 offset:256
	ds_load_b128 v[9:12], v44 offset:272
	s_waitcnt vmcnt(31) lgkmcnt(1)
	v_fma_mix_f32 v2, v5, v2, v4 op_sel_hi:[0,1,0]
	s_waitcnt vmcnt(30)
	s_delay_alu instid0(VALU_DEP_1) | instskip(SKIP_1) | instid1(VALU_DEP_1)
	v_fma_mix_f32 v2, v6, v21, v2 op_sel_hi:[0,1,0]
	s_waitcnt vmcnt(29)
	v_fma_mix_f32 v2, v7, v22, v2 op_sel_hi:[0,1,0]
	ds_load_b128 v[4:7], v44 offset:288
	s_waitcnt vmcnt(28)
	v_fma_mix_f32 v2, v8, v23, v2 op_sel_hi:[0,1,0]
	s_waitcnt vmcnt(27) lgkmcnt(1)
	s_delay_alu instid0(VALU_DEP_1) | instskip(SKIP_1) | instid1(VALU_DEP_1)
	v_fma_mix_f32 v2, v9, v24, v2 op_sel_hi:[0,1,0]
	s_waitcnt vmcnt(26)
	v_fma_mix_f32 v2, v10, v25, v2 op_sel_hi:[0,1,0]
	s_waitcnt vmcnt(25)
	s_delay_alu instid0(VALU_DEP_1) | instskip(SKIP_4) | instid1(VALU_DEP_1)
	v_fma_mix_f32 v2, v11, v26, v2 op_sel_hi:[0,1,0]
	ds_load_b128 v[8:11], v44 offset:304
	s_waitcnt vmcnt(24)
	v_fma_mix_f32 v2, v12, v27, v2 op_sel_hi:[0,1,0]
	s_waitcnt vmcnt(23) lgkmcnt(1)
	v_fma_mix_f32 v2, v4, v28, v2 op_sel_hi:[0,1,0]
	s_waitcnt vmcnt(22)
	s_delay_alu instid0(VALU_DEP_1) | instskip(SKIP_1) | instid1(VALU_DEP_1)
	v_fma_mix_f32 v2, v5, v29, v2 op_sel_hi:[0,1,0]
	s_waitcnt vmcnt(21)
	v_fma_mix_f32 v2, v6, v30, v2 op_sel_hi:[0,1,0]
	s_waitcnt vmcnt(20)
	s_delay_alu instid0(VALU_DEP_1) | instskip(SKIP_4) | instid1(VALU_DEP_1)
	v_fma_mix_f32 v2, v7, v31, v2 op_sel_hi:[0,1,0]
	ds_load_b128 v[4:7], v44 offset:320
	s_waitcnt vmcnt(19) lgkmcnt(1)
	v_fma_mix_f32 v2, v8, v32, v2 op_sel_hi:[0,1,0]
	s_waitcnt vmcnt(18)
	v_fma_mix_f32 v2, v9, v33, v2 op_sel_hi:[0,1,0]
	s_waitcnt vmcnt(17)
	s_delay_alu instid0(VALU_DEP_1) | instskip(SKIP_1) | instid1(VALU_DEP_1)
	v_fma_mix_f32 v2, v10, v17, v2 op_sel_hi:[0,1,0]
	s_waitcnt vmcnt(16)
	v_fma_mix_f32 v2, v11, v18, v2 op_sel_hi:[0,1,0]
	ds_load_b128 v[8:11], v44 offset:336
	s_waitcnt vmcnt(15) lgkmcnt(1)
	v_fma_mix_f32 v2, v4, v19, v2 op_sel_hi:[0,1,0]
	s_waitcnt vmcnt(14)
	s_delay_alu instid0(VALU_DEP_1) | instskip(SKIP_1) | instid1(VALU_DEP_1)
	v_fma_mix_f32 v2, v5, v20, v2 op_sel_hi:[0,1,0]
	s_waitcnt vmcnt(13)
	v_fma_mix_f32 v2, v6, v34, v2 op_sel_hi:[0,1,0]
	s_waitcnt vmcnt(12)
	s_delay_alu instid0(VALU_DEP_1) | instskip(SKIP_4) | instid1(VALU_DEP_1)
	v_fma_mix_f32 v2, v7, v35, v2 op_sel_hi:[0,1,0]
	ds_load_b128 v[4:7], v44 offset:352
	s_waitcnt vmcnt(11) lgkmcnt(1)
	v_fma_mix_f32 v2, v8, v36, v2 op_sel_hi:[0,1,0]
	s_waitcnt vmcnt(10)
	v_fma_mix_f32 v2, v9, v15, v2 op_sel_hi:[0,1,0]
	s_waitcnt vmcnt(9)
	s_delay_alu instid0(VALU_DEP_1) | instskip(SKIP_1) | instid1(VALU_DEP_1)
	v_fma_mix_f32 v2, v10, v16, v2 op_sel_hi:[0,1,0]
	s_waitcnt vmcnt(8)
	v_fma_mix_f32 v2, v11, v37, v2 op_sel_hi:[0,1,0]
	ds_load_b128 v[8:11], v44 offset:368
	s_waitcnt vmcnt(7) lgkmcnt(1)
	v_fma_mix_f32 v2, v4, v38, v2 op_sel_hi:[0,1,0]
	s_waitcnt vmcnt(6)
	s_delay_alu instid0(VALU_DEP_1) | instskip(SKIP_1) | instid1(VALU_DEP_1)
	v_fma_mix_f32 v2, v5, v39, v2 op_sel_hi:[0,1,0]
	s_waitcnt vmcnt(5)
	v_fma_mix_f32 v2, v6, v13, v2 op_sel_hi:[0,1,0]
	s_waitcnt vmcnt(4)
	s_delay_alu instid0(VALU_DEP_1) | instskip(SKIP_1) | instid1(VALU_DEP_1)
	v_fma_mix_f32 v2, v7, v14, v2 op_sel_hi:[0,1,0]
	s_waitcnt vmcnt(3) lgkmcnt(0)
	v_fma_mix_f32 v2, v8, v40, v2 op_sel_hi:[0,1,0]
	s_waitcnt vmcnt(2)
	s_delay_alu instid0(VALU_DEP_1) | instskip(SKIP_1) | instid1(VALU_DEP_1)
	v_fma_mix_f32 v2, v9, v41, v2 op_sel_hi:[0,1,0]
	s_waitcnt vmcnt(1)
	v_fma_mix_f32 v2, v10, v42, v2 op_sel_hi:[0,1,0]
	s_waitcnt vmcnt(0)
	s_delay_alu instid0(VALU_DEP_1)
	v_fma_mix_f32 v4, v11, v43, v2 op_sel_hi:[0,1,0]
	s_cmpk_lt_i32 s48, 0x6100
	s_cbranch_scc1 .LBB79_15
.LBB79_24:
	s_cmpk_lt_i32 s48, 0x6200
	v_add_co_u32 v5, vcc_lo, 0x3000, v1
	s_cselect_b32 s4, s49, 0x1840
	v_add_co_ci_u32_e32 v6, vcc_lo, 0, v3, vcc_lo
	s_ashr_i32 s5, s4, 31
	v_mov_b32_e32 v44, 0
	s_lshl_b64 s[4:5], s[4:5], 1
	s_cmpk_lt_i32 s48, 0x6300
	v_add_co_u32 v7, vcc_lo, v1, s4
	s_cselect_b32 s6, s49, 0x1880
	v_add_co_ci_u32_e32 v8, vcc_lo, s5, v3, vcc_lo
	s_ashr_i32 s7, s6, 31
	s_delay_alu instid0(SALU_CYCLE_1)
	s_lshl_b64 s[6:7], s[6:7], 1
	s_cmpk_lt_i32 s48, 0x6400
	v_add_co_u32 v9, vcc_lo, v1, s6
	s_cselect_b32 s8, s49, 0x18c0
	v_add_co_ci_u32_e32 v10, vcc_lo, s7, v3, vcc_lo
	s_ashr_i32 s9, s8, 31
	s_delay_alu instid0(SALU_CYCLE_1)
	;; [unrolled: 7-line block ×6, first 2 shown]
	s_lshl_b64 s[26:27], s[18:19], 1
	s_cmpk_lt_i32 s48, 0x6900
	v_add_co_u32 v19, vcc_lo, v1, s26
	s_cselect_b32 s18, s49, 0x1a00
	v_add_co_ci_u32_e32 v20, vcc_lo, s27, v3, vcc_lo
	s_ashr_i32 s19, s18, 31
	s_clause 0x7
	global_load_u16 v2, v[5:6], off
	global_load_u16 v21, v[7:8], off
	global_load_u16 v22, v[9:10], off
	global_load_u16 v23, v[11:12], off
	global_load_u16 v24, v[13:14], off
	global_load_u16 v25, v[15:16], off
	global_load_u16 v26, v[17:18], off
	global_load_u16 v27, v[19:20], off
	s_lshl_b64 s[18:19], s[18:19], 1
	s_cmpk_lt_i32 s48, 0x6a00
	v_add_co_u32 v5, vcc_lo, v1, s18
	s_cselect_b32 s24, s49, 0x1a40
	v_add_co_ci_u32_e32 v6, vcc_lo, s19, v3, vcc_lo
	s_ashr_i32 s25, s24, 31
	s_delay_alu instid0(SALU_CYCLE_1)
	s_lshl_b64 s[24:25], s[24:25], 1
	s_cmpk_lt_i32 s48, 0x6b00
	v_add_co_u32 v7, vcc_lo, v1, s24
	s_cselect_b32 s28, s49, 0x1a80
	v_add_co_ci_u32_e32 v8, vcc_lo, s25, v3, vcc_lo
	s_ashr_i32 s29, s28, 31
	s_delay_alu instid0(SALU_CYCLE_1)
	;; [unrolled: 7-line block ×7, first 2 shown]
	s_lshl_b64 s[44:45], s[36:37], 1
	s_cmpk_lt_i32 s48, 0x7100
	v_add_co_u32 v19, vcc_lo, v1, s44
	s_cselect_b32 s36, s49, 0x1c00
	v_add_co_ci_u32_e32 v20, vcc_lo, s45, v3, vcc_lo
	s_ashr_i32 s37, s36, 31
	s_clause 0x7
	global_load_u16 v28, v[5:6], off
	global_load_u16 v29, v[7:8], off
	global_load_u16 v30, v[9:10], off
	global_load_u16 v31, v[11:12], off
	global_load_u16 v32, v[13:14], off
	global_load_u16 v33, v[15:16], off
	global_load_u16 v17, v[17:18], off
	global_load_u16 v18, v[19:20], off
	s_lshl_b64 s[36:37], s[36:37], 1
	s_cmpk_lt_i32 s48, 0x7200
	v_add_co_u32 v5, vcc_lo, v1, s36
	s_cselect_b32 s42, s49, 0x1c40
	v_add_co_ci_u32_e32 v6, vcc_lo, s37, v3, vcc_lo
	s_ashr_i32 s43, s42, 31
	s_delay_alu instid0(SALU_CYCLE_1)
	s_lshl_b64 s[42:43], s[42:43], 1
	s_cmpk_lt_i32 s48, 0x7300
	v_add_co_u32 v7, vcc_lo, v1, s42
	s_cselect_b32 s46, s49, 0x1c80
	v_add_co_ci_u32_e32 v8, vcc_lo, s43, v3, vcc_lo
	s_ashr_i32 s47, s46, 31
	s_delay_alu instid0(SALU_CYCLE_1)
	;; [unrolled: 7-line block ×5, first 2 shown]
	s_lshl_b64 s[8:9], s[8:9], 1
	s_cmpk_lt_i32 s48, 0x7700
	v_add_co_u32 v15, vcc_lo, v1, s8
	s_cselect_b32 s10, s49, 0x1d80
	v_add_co_ci_u32_e32 v16, vcc_lo, s9, v3, vcc_lo
	s_ashr_i32 s11, s10, 31
	s_clause 0x5
	global_load_u16 v19, v[5:6], off
	global_load_u16 v20, v[7:8], off
	;; [unrolled: 1-line block ×6, first 2 shown]
	s_lshl_b64 s[10:11], s[10:11], 1
	s_cmpk_lt_i32 s48, 0x7800
	v_add_co_u32 v5, vcc_lo, v1, s10
	s_cselect_b32 s18, s49, 0x1dc0
	v_add_co_ci_u32_e32 v6, vcc_lo, s11, v3, vcc_lo
	s_ashr_i32 s19, s18, 31
	s_delay_alu instid0(SALU_CYCLE_1)
	s_lshl_b64 s[18:19], s[18:19], 1
	s_cmpk_lt_i32 s48, 0x7900
	v_add_co_u32 v7, vcc_lo, v1, s18
	s_cselect_b32 s20, s49, 0x1e00
	v_add_co_ci_u32_e32 v8, vcc_lo, s19, v3, vcc_lo
	s_ashr_i32 s21, s20, 31
	global_load_u16 v16, v[5:6], off
	s_lshl_b64 s[20:21], s[20:21], 1
	global_load_u16 v37, v[7:8], off
	s_cmpk_lt_i32 s48, 0x7a00
	v_add_co_u32 v9, vcc_lo, v1, s20
	s_cselect_b32 s22, s49, 0x1e40
	v_add_co_ci_u32_e32 v10, vcc_lo, s21, v3, vcc_lo
	s_ashr_i32 s23, s22, 31
	s_delay_alu instid0(SALU_CYCLE_1)
	s_lshl_b64 s[22:23], s[22:23], 1
	s_cmpk_lt_i32 s48, 0x7b00
	v_add_co_u32 v11, vcc_lo, v1, s22
	s_cselect_b32 s4, s49, 0x1e80
	v_add_co_ci_u32_e32 v12, vcc_lo, s23, v3, vcc_lo
	s_ashr_i32 s5, s4, 31
	s_delay_alu instid0(SALU_CYCLE_1)
	s_lshl_b64 s[4:5], s[4:5], 1
	s_cmpk_lt_i32 s48, 0x7c00
	v_add_co_u32 v13, vcc_lo, v1, s4
	s_cselect_b32 s6, s49, 0x1ec0
	v_add_co_ci_u32_e32 v14, vcc_lo, s5, v3, vcc_lo
	s_ashr_i32 s7, s6, 31
	s_clause 0x2
	global_load_u16 v38, v[9:10], off
	global_load_u16 v39, v[11:12], off
	;; [unrolled: 1-line block ×3, first 2 shown]
	s_lshl_b64 s[6:7], s[6:7], 1
	s_cmpk_lt_i32 s48, 0x7d00
	v_add_co_u32 v5, vcc_lo, v1, s6
	s_cselect_b32 s8, s49, 0x1f00
	v_add_co_ci_u32_e32 v6, vcc_lo, s7, v3, vcc_lo
	s_ashr_i32 s9, s8, 31
	s_delay_alu instid0(SALU_CYCLE_1)
	s_lshl_b64 s[4:5], s[8:9], 1
	s_cmpk_lt_i32 s48, 0x7e00
	v_add_co_u32 v7, vcc_lo, v1, s4
	s_cselect_b32 s8, s49, 0x1f40
	v_add_co_ci_u32_e32 v8, vcc_lo, s5, v3, vcc_lo
	s_ashr_i32 s9, s8, 31
	global_load_u16 v14, v[5:6], off
	s_lshl_b64 s[8:9], s[8:9], 1
	s_cmpk_lt_i32 s48, 0x7f00
	v_add_co_u32 v9, vcc_lo, v1, s8
	s_cselect_b32 s6, s49, 0x1f80
	v_add_co_ci_u32_e32 v10, vcc_lo, s9, v3, vcc_lo
	s_ashr_i32 s7, s6, 31
	s_clause 0x1
	global_load_u16 v40, v[7:8], off
	global_load_u16 v41, v[9:10], off
	s_lshl_b64 s[4:5], s[6:7], 1
	s_cmp_lt_i32 s48, 0x8000
	v_add_co_u32 v5, vcc_lo, v1, s4
	s_cselect_b32 s6, s49, 0x1fc0
	v_add_co_ci_u32_e32 v6, vcc_lo, s5, v3, vcc_lo
	s_ashr_i32 s7, s6, 31
	s_delay_alu instid0(SALU_CYCLE_1) | instskip(NEXT) | instid1(SALU_CYCLE_1)
	s_lshl_b64 s[4:5], s[6:7], 1
	v_add_co_u32 v7, vcc_lo, v1, s4
	v_add_co_ci_u32_e32 v8, vcc_lo, s5, v3, vcc_lo
	s_clause 0x1
	global_load_u16 v42, v[5:6], off
	global_load_u16 v43, v[7:8], off
	ds_load_b128 v[5:8], v44 offset:384
	ds_load_b128 v[9:12], v44 offset:400
	s_waitcnt vmcnt(31) lgkmcnt(1)
	v_fma_mix_f32 v2, v5, v2, v4 op_sel_hi:[0,1,0]
	s_waitcnt vmcnt(30)
	s_delay_alu instid0(VALU_DEP_1) | instskip(SKIP_1) | instid1(VALU_DEP_1)
	v_fma_mix_f32 v2, v6, v21, v2 op_sel_hi:[0,1,0]
	s_waitcnt vmcnt(29)
	v_fma_mix_f32 v2, v7, v22, v2 op_sel_hi:[0,1,0]
	ds_load_b128 v[4:7], v44 offset:416
	s_waitcnt vmcnt(28)
	v_fma_mix_f32 v2, v8, v23, v2 op_sel_hi:[0,1,0]
	s_waitcnt vmcnt(27) lgkmcnt(1)
	s_delay_alu instid0(VALU_DEP_1) | instskip(SKIP_1) | instid1(VALU_DEP_1)
	v_fma_mix_f32 v2, v9, v24, v2 op_sel_hi:[0,1,0]
	s_waitcnt vmcnt(26)
	v_fma_mix_f32 v2, v10, v25, v2 op_sel_hi:[0,1,0]
	s_waitcnt vmcnt(25)
	s_delay_alu instid0(VALU_DEP_1) | instskip(SKIP_4) | instid1(VALU_DEP_1)
	v_fma_mix_f32 v2, v11, v26, v2 op_sel_hi:[0,1,0]
	ds_load_b128 v[8:11], v44 offset:432
	s_waitcnt vmcnt(24)
	v_fma_mix_f32 v2, v12, v27, v2 op_sel_hi:[0,1,0]
	s_waitcnt vmcnt(23) lgkmcnt(1)
	v_fma_mix_f32 v2, v4, v28, v2 op_sel_hi:[0,1,0]
	s_waitcnt vmcnt(22)
	s_delay_alu instid0(VALU_DEP_1) | instskip(SKIP_1) | instid1(VALU_DEP_1)
	v_fma_mix_f32 v2, v5, v29, v2 op_sel_hi:[0,1,0]
	s_waitcnt vmcnt(21)
	v_fma_mix_f32 v2, v6, v30, v2 op_sel_hi:[0,1,0]
	s_waitcnt vmcnt(20)
	s_delay_alu instid0(VALU_DEP_1) | instskip(SKIP_4) | instid1(VALU_DEP_1)
	v_fma_mix_f32 v2, v7, v31, v2 op_sel_hi:[0,1,0]
	ds_load_b128 v[4:7], v44 offset:448
	s_waitcnt vmcnt(19) lgkmcnt(1)
	v_fma_mix_f32 v2, v8, v32, v2 op_sel_hi:[0,1,0]
	s_waitcnt vmcnt(18)
	v_fma_mix_f32 v2, v9, v33, v2 op_sel_hi:[0,1,0]
	s_waitcnt vmcnt(17)
	s_delay_alu instid0(VALU_DEP_1) | instskip(SKIP_1) | instid1(VALU_DEP_1)
	v_fma_mix_f32 v2, v10, v17, v2 op_sel_hi:[0,1,0]
	s_waitcnt vmcnt(16)
	v_fma_mix_f32 v2, v11, v18, v2 op_sel_hi:[0,1,0]
	ds_load_b128 v[8:11], v44 offset:464
	s_waitcnt vmcnt(15) lgkmcnt(1)
	v_fma_mix_f32 v2, v4, v19, v2 op_sel_hi:[0,1,0]
	s_waitcnt vmcnt(14)
	s_delay_alu instid0(VALU_DEP_1) | instskip(SKIP_1) | instid1(VALU_DEP_1)
	v_fma_mix_f32 v2, v5, v20, v2 op_sel_hi:[0,1,0]
	s_waitcnt vmcnt(13)
	v_fma_mix_f32 v2, v6, v34, v2 op_sel_hi:[0,1,0]
	s_waitcnt vmcnt(12)
	s_delay_alu instid0(VALU_DEP_1) | instskip(SKIP_4) | instid1(VALU_DEP_1)
	v_fma_mix_f32 v2, v7, v35, v2 op_sel_hi:[0,1,0]
	ds_load_b128 v[4:7], v44 offset:480
	s_waitcnt vmcnt(11) lgkmcnt(1)
	v_fma_mix_f32 v2, v8, v36, v2 op_sel_hi:[0,1,0]
	s_waitcnt vmcnt(10)
	v_fma_mix_f32 v2, v9, v15, v2 op_sel_hi:[0,1,0]
	s_waitcnt vmcnt(9)
	s_delay_alu instid0(VALU_DEP_1) | instskip(SKIP_1) | instid1(VALU_DEP_1)
	v_fma_mix_f32 v2, v10, v16, v2 op_sel_hi:[0,1,0]
	s_waitcnt vmcnt(8)
	v_fma_mix_f32 v2, v11, v37, v2 op_sel_hi:[0,1,0]
	ds_load_b128 v[8:11], v44 offset:496
	s_waitcnt vmcnt(7) lgkmcnt(1)
	v_fma_mix_f32 v2, v4, v38, v2 op_sel_hi:[0,1,0]
	s_waitcnt vmcnt(6)
	s_delay_alu instid0(VALU_DEP_1) | instskip(SKIP_1) | instid1(VALU_DEP_1)
	v_fma_mix_f32 v2, v5, v39, v2 op_sel_hi:[0,1,0]
	s_waitcnt vmcnt(5)
	v_fma_mix_f32 v2, v6, v13, v2 op_sel_hi:[0,1,0]
	s_waitcnt vmcnt(4)
	s_delay_alu instid0(VALU_DEP_1) | instskip(SKIP_1) | instid1(VALU_DEP_1)
	v_fma_mix_f32 v2, v7, v14, v2 op_sel_hi:[0,1,0]
	s_waitcnt vmcnt(3) lgkmcnt(0)
	v_fma_mix_f32 v2, v8, v40, v2 op_sel_hi:[0,1,0]
	s_waitcnt vmcnt(2)
	s_delay_alu instid0(VALU_DEP_1) | instskip(SKIP_1) | instid1(VALU_DEP_1)
	v_fma_mix_f32 v2, v9, v41, v2 op_sel_hi:[0,1,0]
	s_waitcnt vmcnt(1)
	v_fma_mix_f32 v2, v10, v42, v2 op_sel_hi:[0,1,0]
	s_waitcnt vmcnt(0)
	s_delay_alu instid0(VALU_DEP_1)
	v_fma_mix_f32 v4, v11, v43, v2 op_sel_hi:[0,1,0]
	s_cmp_lt_i32 s48, 0x8100
	s_cbranch_scc1 .LBB79_16
.LBB79_25:
	s_cmp_lt_i32 s48, 0x8200
	v_add_co_u32 v5, vcc_lo, 0x4000, v1
	s_cselect_b32 s4, s49, 0x2040
	v_add_co_ci_u32_e32 v6, vcc_lo, 0, v3, vcc_lo
	s_ashr_i32 s5, s4, 31
	v_mov_b32_e32 v44, 0
	s_lshl_b64 s[4:5], s[4:5], 1
	s_cmp_lt_i32 s48, 0x8300
	v_add_co_u32 v7, vcc_lo, v1, s4
	s_cselect_b32 s6, s49, 0x2080
	v_add_co_ci_u32_e32 v8, vcc_lo, s5, v3, vcc_lo
	s_ashr_i32 s7, s6, 31
	s_delay_alu instid0(SALU_CYCLE_1)
	s_lshl_b64 s[6:7], s[6:7], 1
	s_cmp_lt_i32 s48, 0x8400
	v_add_co_u32 v9, vcc_lo, v1, s6
	s_cselect_b32 s8, s49, 0x20c0
	v_add_co_ci_u32_e32 v10, vcc_lo, s7, v3, vcc_lo
	s_ashr_i32 s9, s8, 31
	s_delay_alu instid0(SALU_CYCLE_1)
	;; [unrolled: 7-line block ×6, first 2 shown]
	s_lshl_b64 s[26:27], s[18:19], 1
	s_cmp_lt_i32 s48, 0x8900
	v_add_co_u32 v19, vcc_lo, v1, s26
	s_cselect_b32 s18, s49, 0x2200
	v_add_co_ci_u32_e32 v20, vcc_lo, s27, v3, vcc_lo
	s_ashr_i32 s19, s18, 31
	s_clause 0x7
	global_load_u16 v2, v[5:6], off
	global_load_u16 v21, v[7:8], off
	;; [unrolled: 1-line block ×8, first 2 shown]
	s_lshl_b64 s[18:19], s[18:19], 1
	s_cmp_lt_i32 s48, 0x8a00
	v_add_co_u32 v5, vcc_lo, v1, s18
	s_cselect_b32 s24, s49, 0x2240
	v_add_co_ci_u32_e32 v6, vcc_lo, s19, v3, vcc_lo
	s_ashr_i32 s25, s24, 31
	s_delay_alu instid0(SALU_CYCLE_1)
	s_lshl_b64 s[24:25], s[24:25], 1
	s_cmp_lt_i32 s48, 0x8b00
	v_add_co_u32 v7, vcc_lo, v1, s24
	s_cselect_b32 s28, s49, 0x2280
	v_add_co_ci_u32_e32 v8, vcc_lo, s25, v3, vcc_lo
	s_ashr_i32 s29, s28, 31
	s_delay_alu instid0(SALU_CYCLE_1)
	;; [unrolled: 7-line block ×7, first 2 shown]
	s_lshl_b64 s[44:45], s[36:37], 1
	s_cmp_lt_i32 s48, 0x9100
	v_add_co_u32 v19, vcc_lo, v1, s44
	s_cselect_b32 s36, s49, 0x2400
	v_add_co_ci_u32_e32 v20, vcc_lo, s45, v3, vcc_lo
	s_ashr_i32 s37, s36, 31
	s_clause 0x7
	global_load_u16 v28, v[5:6], off
	global_load_u16 v29, v[7:8], off
	;; [unrolled: 1-line block ×8, first 2 shown]
	s_lshl_b64 s[36:37], s[36:37], 1
	s_cmp_lt_i32 s48, 0x9200
	v_add_co_u32 v5, vcc_lo, v1, s36
	s_cselect_b32 s42, s49, 0x2440
	v_add_co_ci_u32_e32 v6, vcc_lo, s37, v3, vcc_lo
	s_ashr_i32 s43, s42, 31
	s_delay_alu instid0(SALU_CYCLE_1)
	s_lshl_b64 s[42:43], s[42:43], 1
	s_cmp_lt_i32 s48, 0x9300
	v_add_co_u32 v7, vcc_lo, v1, s42
	s_cselect_b32 s46, s49, 0x2480
	v_add_co_ci_u32_e32 v8, vcc_lo, s43, v3, vcc_lo
	s_ashr_i32 s47, s46, 31
	s_delay_alu instid0(SALU_CYCLE_1)
	;; [unrolled: 7-line block ×5, first 2 shown]
	s_lshl_b64 s[8:9], s[8:9], 1
	s_cmp_lt_i32 s48, 0x9700
	v_add_co_u32 v15, vcc_lo, v1, s8
	s_cselect_b32 s10, s49, 0x2580
	v_add_co_ci_u32_e32 v16, vcc_lo, s9, v3, vcc_lo
	s_ashr_i32 s11, s10, 31
	s_clause 0x5
	global_load_u16 v19, v[5:6], off
	global_load_u16 v20, v[7:8], off
	;; [unrolled: 1-line block ×6, first 2 shown]
	s_lshl_b64 s[10:11], s[10:11], 1
	s_cmp_lt_i32 s48, 0x9800
	v_add_co_u32 v5, vcc_lo, v1, s10
	s_cselect_b32 s18, s49, 0x25c0
	v_add_co_ci_u32_e32 v6, vcc_lo, s11, v3, vcc_lo
	s_ashr_i32 s19, s18, 31
	s_delay_alu instid0(SALU_CYCLE_1)
	s_lshl_b64 s[18:19], s[18:19], 1
	s_cmp_lt_i32 s48, 0x9900
	v_add_co_u32 v7, vcc_lo, v1, s18
	s_cselect_b32 s20, s49, 0x2600
	v_add_co_ci_u32_e32 v8, vcc_lo, s19, v3, vcc_lo
	s_ashr_i32 s21, s20, 31
	global_load_u16 v16, v[5:6], off
	s_lshl_b64 s[20:21], s[20:21], 1
	global_load_u16 v37, v[7:8], off
	s_cmp_lt_i32 s48, 0x9a00
	v_add_co_u32 v9, vcc_lo, v1, s20
	s_cselect_b32 s22, s49, 0x2640
	v_add_co_ci_u32_e32 v10, vcc_lo, s21, v3, vcc_lo
	s_ashr_i32 s23, s22, 31
	s_delay_alu instid0(SALU_CYCLE_1)
	s_lshl_b64 s[22:23], s[22:23], 1
	s_cmp_lt_i32 s48, 0x9b00
	v_add_co_u32 v11, vcc_lo, v1, s22
	s_cselect_b32 s4, s49, 0x2680
	v_add_co_ci_u32_e32 v12, vcc_lo, s23, v3, vcc_lo
	s_ashr_i32 s5, s4, 31
	s_delay_alu instid0(SALU_CYCLE_1)
	s_lshl_b64 s[4:5], s[4:5], 1
	s_cmp_lt_i32 s48, 0x9c00
	v_add_co_u32 v13, vcc_lo, v1, s4
	s_cselect_b32 s6, s49, 0x26c0
	v_add_co_ci_u32_e32 v14, vcc_lo, s5, v3, vcc_lo
	s_ashr_i32 s7, s6, 31
	s_clause 0x2
	global_load_u16 v38, v[9:10], off
	global_load_u16 v39, v[11:12], off
	;; [unrolled: 1-line block ×3, first 2 shown]
	s_lshl_b64 s[6:7], s[6:7], 1
	s_cmp_lt_i32 s48, 0x9d00
	v_add_co_u32 v5, vcc_lo, v1, s6
	s_cselect_b32 s8, s49, 0x2700
	v_add_co_ci_u32_e32 v6, vcc_lo, s7, v3, vcc_lo
	s_ashr_i32 s9, s8, 31
	s_delay_alu instid0(SALU_CYCLE_1)
	s_lshl_b64 s[4:5], s[8:9], 1
	s_cmp_lt_i32 s48, 0x9e00
	v_add_co_u32 v7, vcc_lo, v1, s4
	s_cselect_b32 s8, s49, 0x2740
	v_add_co_ci_u32_e32 v8, vcc_lo, s5, v3, vcc_lo
	s_ashr_i32 s9, s8, 31
	global_load_u16 v14, v[5:6], off
	s_lshl_b64 s[8:9], s[8:9], 1
	s_cmp_lt_i32 s48, 0x9f00
	v_add_co_u32 v9, vcc_lo, v1, s8
	s_cselect_b32 s6, s49, 0x2780
	v_add_co_ci_u32_e32 v10, vcc_lo, s9, v3, vcc_lo
	s_ashr_i32 s7, s6, 31
	s_clause 0x1
	global_load_u16 v40, v[7:8], off
	global_load_u16 v41, v[9:10], off
	s_lshl_b64 s[4:5], s[6:7], 1
	s_cmp_lt_i32 s48, 0xa000
	v_add_co_u32 v5, vcc_lo, v1, s4
	s_cselect_b32 s6, s49, 0x27c0
	v_add_co_ci_u32_e32 v6, vcc_lo, s5, v3, vcc_lo
	s_ashr_i32 s7, s6, 31
	s_delay_alu instid0(SALU_CYCLE_1) | instskip(NEXT) | instid1(SALU_CYCLE_1)
	s_lshl_b64 s[4:5], s[6:7], 1
	v_add_co_u32 v7, vcc_lo, v1, s4
	v_add_co_ci_u32_e32 v8, vcc_lo, s5, v3, vcc_lo
	s_clause 0x1
	global_load_u16 v42, v[5:6], off
	global_load_u16 v43, v[7:8], off
	ds_load_b128 v[5:8], v44 offset:512
	ds_load_b128 v[9:12], v44 offset:528
	s_waitcnt vmcnt(31) lgkmcnt(1)
	v_fma_mix_f32 v2, v5, v2, v4 op_sel_hi:[0,1,0]
	s_waitcnt vmcnt(30)
	s_delay_alu instid0(VALU_DEP_1) | instskip(SKIP_1) | instid1(VALU_DEP_1)
	v_fma_mix_f32 v2, v6, v21, v2 op_sel_hi:[0,1,0]
	s_waitcnt vmcnt(29)
	v_fma_mix_f32 v2, v7, v22, v2 op_sel_hi:[0,1,0]
	ds_load_b128 v[4:7], v44 offset:544
	s_waitcnt vmcnt(28)
	v_fma_mix_f32 v2, v8, v23, v2 op_sel_hi:[0,1,0]
	s_waitcnt vmcnt(27) lgkmcnt(1)
	s_delay_alu instid0(VALU_DEP_1) | instskip(SKIP_1) | instid1(VALU_DEP_1)
	v_fma_mix_f32 v2, v9, v24, v2 op_sel_hi:[0,1,0]
	s_waitcnt vmcnt(26)
	v_fma_mix_f32 v2, v10, v25, v2 op_sel_hi:[0,1,0]
	s_waitcnt vmcnt(25)
	s_delay_alu instid0(VALU_DEP_1) | instskip(SKIP_4) | instid1(VALU_DEP_1)
	v_fma_mix_f32 v2, v11, v26, v2 op_sel_hi:[0,1,0]
	ds_load_b128 v[8:11], v44 offset:560
	s_waitcnt vmcnt(24)
	v_fma_mix_f32 v2, v12, v27, v2 op_sel_hi:[0,1,0]
	s_waitcnt vmcnt(23) lgkmcnt(1)
	v_fma_mix_f32 v2, v4, v28, v2 op_sel_hi:[0,1,0]
	s_waitcnt vmcnt(22)
	s_delay_alu instid0(VALU_DEP_1) | instskip(SKIP_1) | instid1(VALU_DEP_1)
	v_fma_mix_f32 v2, v5, v29, v2 op_sel_hi:[0,1,0]
	s_waitcnt vmcnt(21)
	v_fma_mix_f32 v2, v6, v30, v2 op_sel_hi:[0,1,0]
	s_waitcnt vmcnt(20)
	s_delay_alu instid0(VALU_DEP_1) | instskip(SKIP_4) | instid1(VALU_DEP_1)
	v_fma_mix_f32 v2, v7, v31, v2 op_sel_hi:[0,1,0]
	ds_load_b128 v[4:7], v44 offset:576
	s_waitcnt vmcnt(19) lgkmcnt(1)
	v_fma_mix_f32 v2, v8, v32, v2 op_sel_hi:[0,1,0]
	s_waitcnt vmcnt(18)
	v_fma_mix_f32 v2, v9, v33, v2 op_sel_hi:[0,1,0]
	s_waitcnt vmcnt(17)
	s_delay_alu instid0(VALU_DEP_1) | instskip(SKIP_1) | instid1(VALU_DEP_1)
	v_fma_mix_f32 v2, v10, v17, v2 op_sel_hi:[0,1,0]
	s_waitcnt vmcnt(16)
	v_fma_mix_f32 v2, v11, v18, v2 op_sel_hi:[0,1,0]
	ds_load_b128 v[8:11], v44 offset:592
	s_waitcnt vmcnt(15) lgkmcnt(1)
	v_fma_mix_f32 v2, v4, v19, v2 op_sel_hi:[0,1,0]
	s_waitcnt vmcnt(14)
	s_delay_alu instid0(VALU_DEP_1) | instskip(SKIP_1) | instid1(VALU_DEP_1)
	v_fma_mix_f32 v2, v5, v20, v2 op_sel_hi:[0,1,0]
	s_waitcnt vmcnt(13)
	v_fma_mix_f32 v2, v6, v34, v2 op_sel_hi:[0,1,0]
	s_waitcnt vmcnt(12)
	s_delay_alu instid0(VALU_DEP_1) | instskip(SKIP_4) | instid1(VALU_DEP_1)
	v_fma_mix_f32 v2, v7, v35, v2 op_sel_hi:[0,1,0]
	ds_load_b128 v[4:7], v44 offset:608
	s_waitcnt vmcnt(11) lgkmcnt(1)
	v_fma_mix_f32 v2, v8, v36, v2 op_sel_hi:[0,1,0]
	s_waitcnt vmcnt(10)
	v_fma_mix_f32 v2, v9, v15, v2 op_sel_hi:[0,1,0]
	s_waitcnt vmcnt(9)
	s_delay_alu instid0(VALU_DEP_1) | instskip(SKIP_1) | instid1(VALU_DEP_1)
	v_fma_mix_f32 v2, v10, v16, v2 op_sel_hi:[0,1,0]
	s_waitcnt vmcnt(8)
	v_fma_mix_f32 v2, v11, v37, v2 op_sel_hi:[0,1,0]
	ds_load_b128 v[8:11], v44 offset:624
	s_waitcnt vmcnt(7) lgkmcnt(1)
	v_fma_mix_f32 v2, v4, v38, v2 op_sel_hi:[0,1,0]
	s_waitcnt vmcnt(6)
	s_delay_alu instid0(VALU_DEP_1) | instskip(SKIP_1) | instid1(VALU_DEP_1)
	v_fma_mix_f32 v2, v5, v39, v2 op_sel_hi:[0,1,0]
	s_waitcnt vmcnt(5)
	v_fma_mix_f32 v2, v6, v13, v2 op_sel_hi:[0,1,0]
	s_waitcnt vmcnt(4)
	s_delay_alu instid0(VALU_DEP_1) | instskip(SKIP_1) | instid1(VALU_DEP_1)
	v_fma_mix_f32 v2, v7, v14, v2 op_sel_hi:[0,1,0]
	s_waitcnt vmcnt(3) lgkmcnt(0)
	v_fma_mix_f32 v2, v8, v40, v2 op_sel_hi:[0,1,0]
	s_waitcnt vmcnt(2)
	s_delay_alu instid0(VALU_DEP_1) | instskip(SKIP_1) | instid1(VALU_DEP_1)
	v_fma_mix_f32 v2, v9, v41, v2 op_sel_hi:[0,1,0]
	s_waitcnt vmcnt(1)
	v_fma_mix_f32 v2, v10, v42, v2 op_sel_hi:[0,1,0]
	s_waitcnt vmcnt(0)
	s_delay_alu instid0(VALU_DEP_1)
	v_fma_mix_f32 v4, v11, v43, v2 op_sel_hi:[0,1,0]
	s_load_b64 s[0:1], s[0:1], 0x0
	s_cmp_lt_i32 s48, 0xa100
	s_cbranch_scc1 .LBB79_17
.LBB79_26:
	s_cmp_lt_i32 s48, 0xa200
	v_add_co_u32 v5, vcc_lo, 0x5000, v1
	s_cselect_b32 s4, s49, 0x2840
	v_add_co_ci_u32_e32 v6, vcc_lo, 0, v3, vcc_lo
	s_ashr_i32 s5, s4, 31
	v_mov_b32_e32 v45, 0
	s_lshl_b64 s[4:5], s[4:5], 1
	s_cmp_lt_i32 s48, 0xa300
	v_add_co_u32 v7, vcc_lo, v1, s4
	s_cselect_b32 s6, s49, 0x2880
	v_add_co_ci_u32_e32 v8, vcc_lo, s5, v3, vcc_lo
	s_ashr_i32 s7, s6, 31
	s_delay_alu instid0(SALU_CYCLE_1)
	s_lshl_b64 s[6:7], s[6:7], 1
	s_cmp_lt_i32 s48, 0xa400
	v_add_co_u32 v9, vcc_lo, v1, s6
	s_cselect_b32 s8, s49, 0x28c0
	v_add_co_ci_u32_e32 v10, vcc_lo, s7, v3, vcc_lo
	s_ashr_i32 s9, s8, 31
	s_delay_alu instid0(SALU_CYCLE_1)
	;; [unrolled: 7-line block ×6, first 2 shown]
	s_lshl_b64 s[26:27], s[18:19], 1
	s_cmp_lt_i32 s48, 0xa900
	v_add_co_u32 v19, vcc_lo, v1, s26
	s_cselect_b32 s18, s49, 0x2a00
	v_add_co_ci_u32_e32 v20, vcc_lo, s27, v3, vcc_lo
	s_ashr_i32 s19, s18, 31
	s_clause 0x7
	global_load_u16 v21, v[5:6], off
	global_load_u16 v22, v[7:8], off
	;; [unrolled: 1-line block ×8, first 2 shown]
	s_lshl_b64 s[18:19], s[18:19], 1
	s_cmp_lt_i32 s48, 0xaa00
	v_add_co_u32 v5, vcc_lo, v1, s18
	s_cselect_b32 s24, s49, 0x2a40
	v_add_co_ci_u32_e32 v6, vcc_lo, s19, v3, vcc_lo
	s_ashr_i32 s25, s24, 31
	s_delay_alu instid0(SALU_CYCLE_1)
	s_lshl_b64 s[24:25], s[24:25], 1
	s_cmp_lt_i32 s48, 0xab00
	v_add_co_u32 v7, vcc_lo, v1, s24
	s_cselect_b32 s28, s49, 0x2a80
	v_add_co_ci_u32_e32 v8, vcc_lo, s25, v3, vcc_lo
	s_ashr_i32 s29, s28, 31
	s_delay_alu instid0(SALU_CYCLE_1)
	s_lshl_b64 s[28:29], s[28:29], 1
	s_cmp_lt_i32 s48, 0xac00
	v_add_co_u32 v9, vcc_lo, v1, s28
	s_cselect_b32 s30, s49, 0x2ac0
	v_add_co_ci_u32_e32 v10, vcc_lo, s29, v3, vcc_lo
	s_ashr_i32 s31, s30, 31
	s_delay_alu instid0(SALU_CYCLE_1)
	s_lshl_b64 s[30:31], s[30:31], 1
	s_cmp_lt_i32 s48, 0xad00
	v_add_co_u32 v11, vcc_lo, v1, s30
	s_cselect_b32 s34, s49, 0x2b00
	v_add_co_ci_u32_e32 v12, vcc_lo, s31, v3, vcc_lo
	s_ashr_i32 s35, s34, 31
	s_delay_alu instid0(SALU_CYCLE_1)
	s_lshl_b64 s[34:35], s[34:35], 1
	s_cmp_lt_i32 s48, 0xae00
	v_add_co_u32 v13, vcc_lo, v1, s34
	s_cselect_b32 s36, s49, 0x2b40
	v_add_co_ci_u32_e32 v14, vcc_lo, s35, v3, vcc_lo
	s_ashr_i32 s37, s36, 31
	s_delay_alu instid0(SALU_CYCLE_1)
	s_lshl_b64 s[38:39], s[36:37], 1
	s_cmp_lt_i32 s48, 0xaf00
	v_add_co_u32 v15, vcc_lo, v1, s38
	s_cselect_b32 s36, s49, 0x2b80
	v_add_co_ci_u32_e32 v16, vcc_lo, s39, v3, vcc_lo
	s_ashr_i32 s37, s36, 31
	s_delay_alu instid0(SALU_CYCLE_1)
	s_lshl_b64 s[40:41], s[36:37], 1
	s_cmp_lt_i32 s48, 0xb000
	v_add_co_u32 v17, vcc_lo, v1, s40
	s_cselect_b32 s36, s49, 0x2bc0
	v_add_co_ci_u32_e32 v18, vcc_lo, s41, v3, vcc_lo
	s_ashr_i32 s37, s36, 31
	s_delay_alu instid0(SALU_CYCLE_1)
	s_lshl_b64 s[44:45], s[36:37], 1
	s_cmp_lt_i32 s48, 0xb100
	v_add_co_u32 v19, vcc_lo, v1, s44
	s_cselect_b32 s36, s49, 0x2c00
	v_add_co_ci_u32_e32 v20, vcc_lo, s45, v3, vcc_lo
	s_ashr_i32 s37, s36, 31
	s_clause 0x7
	global_load_u16 v29, v[5:6], off
	global_load_u16 v30, v[7:8], off
	global_load_u16 v31, v[9:10], off
	global_load_u16 v32, v[11:12], off
	global_load_u16 v33, v[13:14], off
	global_load_u16 v34, v[15:16], off
	global_load_u16 v17, v[17:18], off
	global_load_u16 v18, v[19:20], off
	s_lshl_b64 s[36:37], s[36:37], 1
	s_cmp_lt_i32 s48, 0xb200
	v_add_co_u32 v5, vcc_lo, v1, s36
	s_cselect_b32 s42, s49, 0x2c40
	v_add_co_ci_u32_e32 v6, vcc_lo, s37, v3, vcc_lo
	s_ashr_i32 s43, s42, 31
	s_delay_alu instid0(SALU_CYCLE_1)
	s_lshl_b64 s[42:43], s[42:43], 1
	s_cmp_lt_i32 s48, 0xb300
	v_add_co_u32 v7, vcc_lo, v1, s42
	s_cselect_b32 s46, s49, 0x2c80
	v_add_co_ci_u32_e32 v8, vcc_lo, s43, v3, vcc_lo
	s_ashr_i32 s47, s46, 31
	s_delay_alu instid0(SALU_CYCLE_1)
	;; [unrolled: 7-line block ×5, first 2 shown]
	s_lshl_b64 s[8:9], s[8:9], 1
	s_cmp_lt_i32 s48, 0xb700
	v_add_co_u32 v15, vcc_lo, v1, s8
	s_cselect_b32 s10, s49, 0x2d80
	v_add_co_ci_u32_e32 v16, vcc_lo, s9, v3, vcc_lo
	s_ashr_i32 s11, s10, 31
	s_clause 0x5
	global_load_u16 v19, v[5:6], off
	global_load_u16 v20, v[7:8], off
	;; [unrolled: 1-line block ×6, first 2 shown]
	s_lshl_b64 s[10:11], s[10:11], 1
	s_cmp_lt_i32 s48, 0xb800
	v_add_co_u32 v5, vcc_lo, v1, s10
	s_cselect_b32 s18, s49, 0x2dc0
	v_add_co_ci_u32_e32 v6, vcc_lo, s11, v3, vcc_lo
	s_ashr_i32 s19, s18, 31
	s_delay_alu instid0(SALU_CYCLE_1)
	s_lshl_b64 s[18:19], s[18:19], 1
	s_cmp_lt_i32 s48, 0xb900
	v_add_co_u32 v7, vcc_lo, v1, s18
	s_cselect_b32 s20, s49, 0x2e00
	v_add_co_ci_u32_e32 v8, vcc_lo, s19, v3, vcc_lo
	s_ashr_i32 s21, s20, 31
	global_load_u16 v16, v[5:6], off
	s_lshl_b64 s[20:21], s[20:21], 1
	global_load_u16 v38, v[7:8], off
	s_cmp_lt_i32 s48, 0xba00
	v_add_co_u32 v9, vcc_lo, v1, s20
	s_cselect_b32 s22, s49, 0x2e40
	v_add_co_ci_u32_e32 v10, vcc_lo, s21, v3, vcc_lo
	s_ashr_i32 s23, s22, 31
	s_delay_alu instid0(SALU_CYCLE_1)
	s_lshl_b64 s[22:23], s[22:23], 1
	s_cmp_lt_i32 s48, 0xbb00
	v_add_co_u32 v11, vcc_lo, v1, s22
	s_cselect_b32 s4, s49, 0x2e80
	v_add_co_ci_u32_e32 v12, vcc_lo, s23, v3, vcc_lo
	s_ashr_i32 s5, s4, 31
	s_delay_alu instid0(SALU_CYCLE_1)
	s_lshl_b64 s[4:5], s[4:5], 1
	s_cmp_lt_i32 s48, 0xbc00
	v_add_co_u32 v13, vcc_lo, v1, s4
	s_cselect_b32 s6, s49, 0x2ec0
	v_add_co_ci_u32_e32 v14, vcc_lo, s5, v3, vcc_lo
	s_ashr_i32 s7, s6, 31
	s_clause 0x2
	global_load_u16 v39, v[9:10], off
	global_load_u16 v40, v[11:12], off
	;; [unrolled: 1-line block ×3, first 2 shown]
	s_lshl_b64 s[6:7], s[6:7], 1
	s_cmp_lt_i32 s48, 0xbd00
	v_add_co_u32 v5, vcc_lo, v1, s6
	s_cselect_b32 s8, s49, 0x2f00
	v_add_co_ci_u32_e32 v6, vcc_lo, s7, v3, vcc_lo
	s_ashr_i32 s9, s8, 31
	s_delay_alu instid0(SALU_CYCLE_1)
	s_lshl_b64 s[4:5], s[8:9], 1
	s_cmp_lt_i32 s48, 0xbe00
	v_add_co_u32 v7, vcc_lo, v1, s4
	s_cselect_b32 s8, s49, 0x2f40
	v_add_co_ci_u32_e32 v8, vcc_lo, s5, v3, vcc_lo
	s_ashr_i32 s9, s8, 31
	global_load_u16 v14, v[5:6], off
	s_lshl_b64 s[8:9], s[8:9], 1
	s_cmp_lt_i32 s48, 0xbf00
	v_add_co_u32 v9, vcc_lo, v1, s8
	s_cselect_b32 s6, s49, 0x2f80
	v_add_co_ci_u32_e32 v10, vcc_lo, s9, v3, vcc_lo
	s_ashr_i32 s7, s6, 31
	s_clause 0x1
	global_load_u16 v41, v[7:8], off
	global_load_u16 v42, v[9:10], off
	s_lshl_b64 s[4:5], s[6:7], 1
	s_cmp_lt_i32 s48, 0xc000
	v_add_co_u32 v5, vcc_lo, v1, s4
	s_cselect_b32 s6, s49, 0x2fc0
	v_add_co_ci_u32_e32 v6, vcc_lo, s5, v3, vcc_lo
	s_ashr_i32 s7, s6, 31
	s_delay_alu instid0(SALU_CYCLE_1) | instskip(NEXT) | instid1(SALU_CYCLE_1)
	s_lshl_b64 s[4:5], s[6:7], 1
	v_add_co_u32 v1, vcc_lo, v1, s4
	v_add_co_ci_u32_e32 v2, vcc_lo, s5, v3, vcc_lo
	s_clause 0x1
	global_load_u16 v43, v[5:6], off
	global_load_u16 v44, v[1:2], off
	ds_load_b128 v[5:8], v45 offset:640
	ds_load_b128 v[9:12], v45 offset:656
	s_waitcnt vmcnt(31) lgkmcnt(0)
	v_fma_mix_f32 v1, v5, v21, v4 op_sel_hi:[0,1,0]
	s_waitcnt vmcnt(30)
	s_delay_alu instid0(VALU_DEP_1) | instskip(SKIP_1) | instid1(VALU_DEP_1)
	v_fma_mix_f32 v1, v6, v22, v1 op_sel_hi:[0,1,0]
	s_waitcnt vmcnt(29)
	v_fma_mix_f32 v1, v7, v23, v1 op_sel_hi:[0,1,0]
	s_waitcnt vmcnt(28)
	s_delay_alu instid0(VALU_DEP_1) | instskip(SKIP_1) | instid1(VALU_DEP_1)
	v_fma_mix_f32 v1, v8, v24, v1 op_sel_hi:[0,1,0]
	s_waitcnt vmcnt(27)
	v_fma_mix_f32 v5, v9, v25, v1 op_sel_hi:[0,1,0]
	ds_load_b128 v[1:4], v45 offset:672
	s_waitcnt vmcnt(26)
	v_fma_mix_f32 v5, v10, v26, v5 op_sel_hi:[0,1,0]
	s_waitcnt vmcnt(25)
	s_delay_alu instid0(VALU_DEP_1) | instskip(SKIP_1) | instid1(VALU_DEP_1)
	v_fma_mix_f32 v5, v11, v27, v5 op_sel_hi:[0,1,0]
	s_waitcnt vmcnt(24)
	v_fma_mix_f32 v9, v12, v28, v5 op_sel_hi:[0,1,0]
	ds_load_b128 v[5:8], v45 offset:688
	s_waitcnt vmcnt(23) lgkmcnt(1)
	v_fma_mix_f32 v1, v1, v29, v9 op_sel_hi:[0,1,0]
	s_waitcnt vmcnt(22)
	s_delay_alu instid0(VALU_DEP_1) | instskip(SKIP_1) | instid1(VALU_DEP_1)
	v_fma_mix_f32 v1, v2, v30, v1 op_sel_hi:[0,1,0]
	s_waitcnt vmcnt(21)
	v_fma_mix_f32 v1, v3, v31, v1 op_sel_hi:[0,1,0]
	s_waitcnt vmcnt(20)
	s_delay_alu instid0(VALU_DEP_1) | instskip(SKIP_1) | instid1(VALU_DEP_1)
	v_fma_mix_f32 v1, v4, v32, v1 op_sel_hi:[0,1,0]
	s_waitcnt vmcnt(19) lgkmcnt(0)
	v_fma_mix_f32 v5, v5, v33, v1 op_sel_hi:[0,1,0]
	ds_load_b128 v[1:4], v45 offset:704
	s_waitcnt vmcnt(18)
	v_fma_mix_f32 v5, v6, v34, v5 op_sel_hi:[0,1,0]
	s_waitcnt vmcnt(17)
	s_delay_alu instid0(VALU_DEP_1) | instskip(SKIP_1) | instid1(VALU_DEP_1)
	v_fma_mix_f32 v5, v7, v17, v5 op_sel_hi:[0,1,0]
	s_waitcnt vmcnt(16)
	v_fma_mix_f32 v9, v8, v18, v5 op_sel_hi:[0,1,0]
	ds_load_b128 v[5:8], v45 offset:720
	s_waitcnt vmcnt(15) lgkmcnt(1)
	v_fma_mix_f32 v1, v1, v19, v9 op_sel_hi:[0,1,0]
	s_waitcnt vmcnt(14)
	s_delay_alu instid0(VALU_DEP_1) | instskip(SKIP_1) | instid1(VALU_DEP_1)
	v_fma_mix_f32 v1, v2, v20, v1 op_sel_hi:[0,1,0]
	s_waitcnt vmcnt(13)
	v_fma_mix_f32 v1, v3, v35, v1 op_sel_hi:[0,1,0]
	s_waitcnt vmcnt(12)
	s_delay_alu instid0(VALU_DEP_1) | instskip(SKIP_1) | instid1(VALU_DEP_1)
	v_fma_mix_f32 v1, v4, v36, v1 op_sel_hi:[0,1,0]
	s_waitcnt vmcnt(11) lgkmcnt(0)
	;; [unrolled: 21-line block ×3, first 2 shown]
	v_fma_mix_f32 v1, v5, v41, v1 op_sel_hi:[0,1,0]
	s_waitcnt vmcnt(2)
	s_delay_alu instid0(VALU_DEP_1) | instskip(SKIP_1) | instid1(VALU_DEP_1)
	v_fma_mix_f32 v1, v6, v42, v1 op_sel_hi:[0,1,0]
	s_waitcnt vmcnt(1)
	v_fma_mix_f32 v1, v7, v43, v1 op_sel_hi:[0,1,0]
	s_waitcnt vmcnt(0)
	s_delay_alu instid0(VALU_DEP_1)
	v_fma_mix_f32 v4, v8, v44, v1 op_sel_hi:[0,1,0]
	v_mov_b32_e32 v1, 0
	s_and_not1_b32 vcc_lo, exec_lo, s15
	ds_load_b32 v1, v1 offset:768
	s_cbranch_vccz .LBB79_18
	s_branch .LBB79_19
	.section	.rodata,"a",@progbits
	.p2align	6, 0x0
	.amdhsa_kernel _Z35paged_attention_ll4mi_reduce_kernelIDF16_DF16_Li64ELi64ELi256ELi6EEvPT0_PKfS3_PKT_PKiS8_iS3_
		.amdhsa_group_segment_fixed_size 772
		.amdhsa_private_segment_fixed_size 0
		.amdhsa_kernarg_size 320
		.amdhsa_user_sgpr_count 14
		.amdhsa_user_sgpr_dispatch_ptr 0
		.amdhsa_user_sgpr_queue_ptr 0
		.amdhsa_user_sgpr_kernarg_segment_ptr 1
		.amdhsa_user_sgpr_dispatch_id 0
		.amdhsa_user_sgpr_private_segment_size 0
		.amdhsa_wavefront_size32 1
		.amdhsa_uses_dynamic_stack 0
		.amdhsa_enable_private_segment 0
		.amdhsa_system_sgpr_workgroup_id_x 1
		.amdhsa_system_sgpr_workgroup_id_y 1
		.amdhsa_system_sgpr_workgroup_id_z 0
		.amdhsa_system_sgpr_workgroup_info 0
		.amdhsa_system_vgpr_workitem_id 0
		.amdhsa_next_free_vgpr 48
		.amdhsa_next_free_sgpr 52
		.amdhsa_reserve_vcc 1
		.amdhsa_float_round_mode_32 0
		.amdhsa_float_round_mode_16_64 0
		.amdhsa_float_denorm_mode_32 3
		.amdhsa_float_denorm_mode_16_64 3
		.amdhsa_dx10_clamp 1
		.amdhsa_ieee_mode 1
		.amdhsa_fp16_overflow 0
		.amdhsa_workgroup_processor_mode 1
		.amdhsa_memory_ordered 1
		.amdhsa_forward_progress 0
		.amdhsa_shared_vgpr_count 0
		.amdhsa_exception_fp_ieee_invalid_op 0
		.amdhsa_exception_fp_denorm_src 0
		.amdhsa_exception_fp_ieee_div_zero 0
		.amdhsa_exception_fp_ieee_overflow 0
		.amdhsa_exception_fp_ieee_underflow 0
		.amdhsa_exception_fp_ieee_inexact 0
		.amdhsa_exception_int_div_zero 0
	.end_amdhsa_kernel
	.section	.text._Z35paged_attention_ll4mi_reduce_kernelIDF16_DF16_Li64ELi64ELi256ELi6EEvPT0_PKfS3_PKT_PKiS8_iS3_,"axG",@progbits,_Z35paged_attention_ll4mi_reduce_kernelIDF16_DF16_Li64ELi64ELi256ELi6EEvPT0_PKfS3_PKT_PKiS8_iS3_,comdat
.Lfunc_end79:
	.size	_Z35paged_attention_ll4mi_reduce_kernelIDF16_DF16_Li64ELi64ELi256ELi6EEvPT0_PKfS3_PKT_PKiS8_iS3_, .Lfunc_end79-_Z35paged_attention_ll4mi_reduce_kernelIDF16_DF16_Li64ELi64ELi256ELi6EEvPT0_PKfS3_PKT_PKiS8_iS3_
                                        ; -- End function
	.section	.AMDGPU.csdata,"",@progbits
; Kernel info:
; codeLenInByte = 13976
; NumSgprs: 54
; NumVgprs: 48
; ScratchSize: 0
; MemoryBound: 0
; FloatMode: 240
; IeeeMode: 1
; LDSByteSize: 772 bytes/workgroup (compile time only)
; SGPRBlocks: 6
; VGPRBlocks: 5
; NumSGPRsForWavesPerEU: 54
; NumVGPRsForWavesPerEU: 48
; Occupancy: 16
; WaveLimiterHint : 0
; COMPUTE_PGM_RSRC2:SCRATCH_EN: 0
; COMPUTE_PGM_RSRC2:USER_SGPR: 14
; COMPUTE_PGM_RSRC2:TRAP_HANDLER: 0
; COMPUTE_PGM_RSRC2:TGID_X_EN: 1
; COMPUTE_PGM_RSRC2:TGID_Y_EN: 1
; COMPUTE_PGM_RSRC2:TGID_Z_EN: 0
; COMPUTE_PGM_RSRC2:TIDIG_COMP_CNT: 0
	.section	.text._Z35paged_attention_ll4mi_reduce_kernelIDF16_DF16_Li64ELi64ELi256ELi7EEvPT0_PKfS3_PKT_PKiS8_iS3_,"axG",@progbits,_Z35paged_attention_ll4mi_reduce_kernelIDF16_DF16_Li64ELi64ELi256ELi7EEvPT0_PKfS3_PKT_PKiS8_iS3_,comdat
	.protected	_Z35paged_attention_ll4mi_reduce_kernelIDF16_DF16_Li64ELi64ELi256ELi7EEvPT0_PKfS3_PKT_PKiS8_iS3_ ; -- Begin function _Z35paged_attention_ll4mi_reduce_kernelIDF16_DF16_Li64ELi64ELi256ELi7EEvPT0_PKfS3_PKT_PKiS8_iS3_
	.globl	_Z35paged_attention_ll4mi_reduce_kernelIDF16_DF16_Li64ELi64ELi256ELi7EEvPT0_PKfS3_PKT_PKiS8_iS3_
	.p2align	8
	.type	_Z35paged_attention_ll4mi_reduce_kernelIDF16_DF16_Li64ELi64ELi256ELi7EEvPT0_PKfS3_PKT_PKiS8_iS3_,@function
_Z35paged_attention_ll4mi_reduce_kernelIDF16_DF16_Li64ELi64ELi256ELi7EEvPT0_PKfS3_PKT_PKiS8_iS3_: ; @_Z35paged_attention_ll4mi_reduce_kernelIDF16_DF16_Li64ELi64ELi256ELi7EEvPT0_PKfS3_PKT_PKiS8_iS3_
; %bb.0:
	s_load_b64 s[12:13], s[0:1], 0x28
	s_mov_b32 s2, s15
	s_waitcnt lgkmcnt(0)
	s_cmp_lg_u64 s[12:13], 0
	s_cselect_b32 s15, -1, 0
	s_delay_alu instid0(SALU_CYCLE_1)
	s_and_b32 vcc_lo, exec_lo, s15
	s_cbranch_vccz .LBB80_20
; %bb.1:
	s_add_i32 s4, s2, 1
	s_mov_b32 s5, 0
	s_delay_alu instid0(SALU_CYCLE_1) | instskip(SKIP_4) | instid1(SALU_CYCLE_1)
	s_lshl_b64 s[6:7], s[4:5], 2
	s_mov_b32 s3, s5
	s_add_u32 s6, s12, s6
	s_addc_u32 s7, s13, s7
	s_lshl_b64 s[8:9], s[2:3], 2
	s_add_u32 s8, s12, s8
	s_addc_u32 s9, s13, s9
	s_clause 0x1
	s_load_b32 s4, s[6:7], 0x0
	s_load_b32 s6, s[8:9], 0x0
	s_waitcnt lgkmcnt(0)
	s_sub_i32 s4, s4, s6
	s_delay_alu instid0(SALU_CYCLE_1)
	s_cmp_eq_u32 s4, 1
	s_cselect_b32 s4, -1, 0
	s_cbranch_execnz .LBB80_3
.LBB80_2:
	s_mov_b32 s3, 0
	s_mov_b32 s4, -1
.LBB80_3:
	s_delay_alu instid0(SALU_CYCLE_1)
	s_and_not1_b32 vcc_lo, exec_lo, s4
	s_cbranch_vccz .LBB80_5
; %bb.4:
	s_endpgm
.LBB80_5:
	s_clause 0x1
	s_load_b128 s[4:7], s[0:1], 0x18
	s_load_b32 s9, s[0:1], 0x30
	s_lshl_b64 s[16:17], s[2:3], 2
	s_waitcnt lgkmcnt(0)
	s_add_u32 s6, s6, s16
	s_addc_u32 s7, s7, s17
	s_load_b32 s23, s[6:7], 0x0
	s_load_b32 s33, s[0:1], 0x40
	s_mul_i32 s7, s2, s9
	s_waitcnt lgkmcnt(0)
	s_add_i32 s22, s23, 0xff
	s_delay_alu instid0(SALU_CYCLE_1) | instskip(NEXT) | instid1(SALU_CYCLE_1)
	s_ashr_i32 s6, s22, 31
	s_lshr_b32 s6, s6, 24
	s_delay_alu instid0(SALU_CYCLE_1) | instskip(SKIP_4) | instid1(SALU_CYCLE_1)
	s_add_i32 s8, s22, s6
	s_mul_i32 s6, s14, s9
	s_mov_b32 s9, exec_lo
	v_cmpx_lt_u32_e32 31, v0
	s_xor_b32 s9, exec_lo, s9
	s_or_saveexec_b32 s24, s9
	v_mov_b32_e32 v1, s6
	s_ashr_i32 s40, s8, 8
	s_mul_i32 s18, s7, s33
	s_xor_b32 exec_lo, exec_lo, s24
	s_cbranch_execz .LBB80_9
; %bb.6:
	v_or_b32_e32 v2, 32, v0
	v_cmp_gt_i32_e32 vcc_lo, s40, v0
	s_add_i32 s20, s40, -1
	v_or_b32_e32 v4, 64, v0
	v_or_b32_e32 v6, 0xa0, v0
	s_load_b128 s[8:11], s[0:1], 0x8
	v_cndmask_b32_e32 v1, s20, v0, vcc_lo
	v_cmp_gt_i32_e32 vcc_lo, s40, v2
	s_mov_b32 s19, 0
	s_delay_alu instid0(SALU_CYCLE_1)
	s_mov_b32 s7, s19
	v_cndmask_b32_e32 v3, s20, v2, vcc_lo
	v_or_b32_e32 v2, 0x60, v0
	v_cmp_gt_i32_e32 vcc_lo, s40, v4
	v_cndmask_b32_e32 v5, s20, v4, vcc_lo
	v_or_b32_e32 v4, 0x80, v0
	s_delay_alu instid0(VALU_DEP_4) | instskip(SKIP_1) | instid1(VALU_DEP_3)
	v_cmp_gt_i32_e32 vcc_lo, s40, v2
	v_cndmask_b32_e32 v7, s20, v2, vcc_lo
	v_cmp_gt_i32_e32 vcc_lo, s40, v4
	v_or_b32_e32 v2, 0xc0, v0
	s_delay_alu instid0(VALU_DEP_3) | instskip(SKIP_3) | instid1(VALU_DEP_4)
	v_ashrrev_i32_e32 v8, 31, v7
	v_cndmask_b32_e32 v9, s20, v4, vcc_lo
	v_cmp_gt_i32_e32 vcc_lo, s40, v6
	v_ashrrev_i32_e32 v4, 31, v3
	v_lshlrev_b64 v[7:8], 2, v[7:8]
	s_delay_alu instid0(VALU_DEP_4)
	v_ashrrev_i32_e32 v10, 31, v9
	v_cndmask_b32_e32 v11, s20, v6, vcc_lo
	v_cmp_gt_i32_e32 vcc_lo, s40, v2
	v_ashrrev_i32_e32 v6, 31, v5
	v_lshlrev_b64 v[3:4], 2, v[3:4]
	v_lshlrev_b64 v[9:10], 2, v[9:10]
	v_ashrrev_i32_e32 v12, 31, v11
	v_cndmask_b32_e32 v13, s20, v2, vcc_lo
	v_ashrrev_i32_e32 v2, 31, v1
	s_lshl_b64 s[20:21], s[18:19], 2
	v_lshlrev_b64 v[5:6], 2, v[5:6]
	s_waitcnt lgkmcnt(0)
	s_add_u32 s19, s10, s20
	s_addc_u32 s25, s11, s21
	v_lshlrev_b64 v[1:2], 2, v[1:2]
	s_lshl_b64 s[10:11], s[6:7], 2
	v_lshlrev_b64 v[11:12], 2, v[11:12]
	s_add_u32 s7, s19, s10
	s_addc_u32 s19, s25, s11
	s_delay_alu instid0(VALU_DEP_2)
	v_add_co_u32 v14, vcc_lo, s7, v1
	v_add_co_ci_u32_e32 v15, vcc_lo, s19, v2, vcc_lo
	v_add_co_u32 v16, vcc_lo, s7, v3
	v_add_co_ci_u32_e32 v17, vcc_lo, s19, v4, vcc_lo
	;; [unrolled: 2-line block ×3, first 2 shown]
	s_clause 0x2
	global_load_b32 v23, v[14:15], off
	global_load_b32 v24, v[16:17], off
	global_load_b32 v25, v[18:19], off
	v_ashrrev_i32_e32 v14, 31, v13
	v_add_co_u32 v15, vcc_lo, s7, v7
	v_add_co_ci_u32_e32 v16, vcc_lo, s19, v8, vcc_lo
	v_add_co_u32 v17, vcc_lo, s7, v9
	s_delay_alu instid0(VALU_DEP_4) | instskip(SKIP_3) | instid1(VALU_DEP_4)
	v_lshlrev_b64 v[13:14], 2, v[13:14]
	v_add_co_ci_u32_e32 v18, vcc_lo, s19, v10, vcc_lo
	v_add_co_u32 v19, vcc_lo, s7, v11
	v_add_co_ci_u32_e32 v20, vcc_lo, s19, v12, vcc_lo
	v_add_co_u32 v21, vcc_lo, s7, v13
	v_add_co_ci_u32_e32 v22, vcc_lo, s19, v14, vcc_lo
	s_clause 0x3
	global_load_b32 v15, v[15:16], off
	global_load_b32 v16, v[17:18], off
	;; [unrolled: 1-line block ×4, first 2 shown]
	s_add_u32 s7, s8, s20
	s_addc_u32 s8, s9, s21
	s_add_u32 s7, s7, s10
	s_addc_u32 s8, s8, s11
	v_add_co_u32 v1, vcc_lo, s7, v1
	v_add_co_ci_u32_e32 v2, vcc_lo, s8, v2, vcc_lo
	v_add_co_u32 v3, vcc_lo, s7, v3
	v_add_co_ci_u32_e32 v4, vcc_lo, s8, v4, vcc_lo
	;; [unrolled: 2-line block ×5, first 2 shown]
	s_clause 0x4
	global_load_b32 v19, v[1:2], off
	global_load_b32 v3, v[3:4], off
	;; [unrolled: 1-line block ×5, first 2 shown]
	v_add_co_u32 v1, vcc_lo, s7, v11
	v_add_co_ci_u32_e32 v2, vcc_lo, s8, v12, vcc_lo
	global_load_b32 v7, v[1:2], off
	v_add_co_u32 v1, vcc_lo, s7, v13
	v_add_co_ci_u32_e32 v2, vcc_lo, s8, v14, vcc_lo
	s_mov_b32 s7, exec_lo
	global_load_b32 v1, v[1:2], off
	v_mbcnt_lo_u32_b32 v2, -1, 0
	s_delay_alu instid0(VALU_DEP_1)
	v_xor_b32_e32 v8, 16, v2
	v_xor_b32_e32 v11, 8, v2
	;; [unrolled: 1-line block ×5, first 2 shown]
	v_cmp_gt_i32_e32 vcc_lo, 32, v8
	v_cndmask_b32_e32 v8, v2, v8, vcc_lo
	v_cmp_gt_i32_e32 vcc_lo, 32, v11
	v_cndmask_b32_e32 v11, v2, v11, vcc_lo
	;; [unrolled: 2-line block ×4, first 2 shown]
	v_cmp_gt_i32_e32 vcc_lo, 32, v14
	s_delay_alu instid0(VALU_DEP_2) | instskip(NEXT) | instid1(VALU_DEP_1)
	v_dual_cndmask_b32 v2, v2, v14 :: v_dual_lshlrev_b32 v13, 2, v13
	v_lshlrev_b32_e32 v2, 2, v2
	v_lshlrev_b32_e32 v11, 2, v11
	;; [unrolled: 1-line block ×3, first 2 shown]
	s_waitcnt vmcnt(11)
	v_max3_f32 v9, v23, v24, v25
	s_waitcnt vmcnt(9)
	s_delay_alu instid0(VALU_DEP_1) | instskip(SKIP_1) | instid1(VALU_DEP_1)
	v_max3_f32 v9, v9, v15, v16
	s_waitcnt vmcnt(7)
	v_max3_f32 v9, v9, v17, v18
	ds_bpermute_b32 v10, v8, v9
	s_waitcnt lgkmcnt(0)
	v_max_f32_e32 v10, v10, v10
	s_delay_alu instid0(VALU_DEP_1) | instskip(SKIP_3) | instid1(VALU_DEP_1)
	v_max_f32_e32 v9, v9, v10
	ds_bpermute_b32 v10, v11, v9
	s_waitcnt lgkmcnt(0)
	v_max_f32_e32 v10, v10, v10
	v_dual_max_f32 v9, v9, v10 :: v_dual_lshlrev_b32 v12, 2, v12
	ds_bpermute_b32 v10, v12, v9
	s_waitcnt lgkmcnt(0)
	v_max_f32_e32 v10, v10, v10
	s_delay_alu instid0(VALU_DEP_1) | instskip(SKIP_3) | instid1(VALU_DEP_1)
	v_max_f32_e32 v9, v9, v10
	ds_bpermute_b32 v10, v13, v9
	s_waitcnt lgkmcnt(0)
	v_max_f32_e32 v10, v10, v10
	v_max_f32_e32 v9, v9, v10
	ds_bpermute_b32 v10, v2, v9
	s_waitcnt lgkmcnt(0)
	v_max_f32_e32 v10, v10, v10
	s_delay_alu instid0(VALU_DEP_1) | instskip(SKIP_1) | instid1(VALU_DEP_2)
	v_max_f32_e32 v9, v9, v10
	v_sub_nc_u32_e32 v10, s40, v0
	v_sub_f32_e32 v20, v24, v9
	v_sub_f32_e32 v21, v25, v9
	;; [unrolled: 1-line block ×4, first 2 shown]
	s_delay_alu instid0(VALU_DEP_4) | instskip(NEXT) | instid1(VALU_DEP_3)
	v_dual_sub_f32 v17, v17, v9 :: v_dual_mul_f32 v22, 0x3fb8aa3b, v20
	v_mul_f32_e32 v24, 0x3fb8aa3b, v15
	s_delay_alu instid0(VALU_DEP_3) | instskip(NEXT) | instid1(VALU_DEP_3)
	v_cmp_ngt_f32_e32 vcc_lo, 0xc2ce8ed0, v14
	v_rndne_f32_e32 v31, v22
	v_mul_f32_e32 v23, 0x3fb8aa3b, v21
	v_fma_f32 v30, 0x3fb8aa3b, v20, -v22
	v_fma_f32 v34, 0x3fb8aa3b, v15, -v24
	v_rndne_f32_e32 v35, v24
	v_sub_f32_e32 v22, v22, v31
	v_fma_f32 v32, 0x3fb8aa3b, v21, -v23
	v_rndne_f32_e32 v33, v23
	v_fmac_f32_e32 v34, 0x32a5705f, v15
	v_sub_f32_e32 v24, v24, v35
	v_fmac_f32_e32 v30, 0x32a5705f, v20
	v_fmac_f32_e32 v32, 0x32a5705f, v21
	v_sub_f32_e32 v23, v23, v33
	v_sub_f32_e32 v16, v16, v9
	v_dual_sub_f32 v9, v18, v9 :: v_dual_mul_f32 v18, 0x3fb8aa3b, v14
	v_cvt_i32_f32_e32 v31, v31
	s_delay_alu instid0(VALU_DEP_4) | instskip(NEXT) | instid1(VALU_DEP_4)
	v_add_f32_e32 v23, v23, v32
	v_dual_mul_f32 v25, 0x3fb8aa3b, v16 :: v_dual_add_f32 v24, v24, v34
	s_delay_alu instid0(VALU_DEP_4) | instskip(SKIP_1) | instid1(VALU_DEP_4)
	v_fma_f32 v28, 0x3fb8aa3b, v14, -v18
	v_rndne_f32_e32 v29, v18
	v_exp_f32_e32 v23, v23
	s_delay_alu instid0(VALU_DEP_3) | instskip(SKIP_4) | instid1(VALU_DEP_4)
	v_fma_f32 v36, 0x3fb8aa3b, v16, -v25
	v_rndne_f32_e32 v37, v25
	v_fmac_f32_e32 v28, 0x32a5705f, v14
	v_mul_f32_e32 v26, 0x3fb8aa3b, v17
	v_sub_f32_e32 v18, v18, v29
	v_dual_fmac_f32 v36, 0x32a5705f, v16 :: v_dual_sub_f32 v25, v25, v37
	v_cvt_i32_f32_e32 v29, v29
	s_delay_alu instid0(VALU_DEP_4)
	v_rndne_f32_e32 v39, v26
	v_mul_f32_e32 v27, 0x3fb8aa3b, v9
	v_fma_f32 v38, 0x3fb8aa3b, v17, -v26
	v_add_f32_e32 v25, v25, v36
	v_add_f32_e32 v18, v18, v28
	v_sub_f32_e32 v26, v26, v39
	v_rndne_f32_e32 v41, v27
	v_fma_f32 v40, 0x3fb8aa3b, v9, -v27
	v_exp_f32_e32 v25, v25
	v_cvt_i32_f32_e32 v28, v37
	v_exp_f32_e32 v18, v18
	v_sub_f32_e32 v27, v27, v41
	v_cvt_i32_f32_e32 v33, v33
	v_exp_f32_e32 v24, v24
	v_cvt_i32_f32_e32 v35, v35
	v_cvt_i32_f32_e32 v32, v41
	s_delay_alu instid0(VALU_DEP_3) | instskip(NEXT) | instid1(TRANS32_DEP_3)
	v_ldexp_f32 v23, v23, v33
	v_ldexp_f32 v25, v25, v28
	v_add_f32_e32 v22, v22, v30
	s_delay_alu instid0(TRANS32_DEP_2) | instskip(SKIP_1) | instid1(TRANS32_DEP_1)
	v_ldexp_f32 v18, v18, v29
	v_cvt_i32_f32_e32 v30, v39
	v_ldexp_f32 v24, v24, v35
	s_delay_alu instid0(VALU_DEP_4) | instskip(NEXT) | instid1(VALU_DEP_3)
	v_exp_f32_e32 v22, v22
	v_cndmask_b32_e32 v18, 0, v18, vcc_lo
	v_cmp_ngt_f32_e32 vcc_lo, 0xc2ce8ed0, v20
	s_waitcnt_depctr 0xfff
	v_ldexp_f32 v22, v22, v31
	s_delay_alu instid0(VALU_DEP_1) | instskip(SKIP_3) | instid1(VALU_DEP_2)
	v_cndmask_b32_e32 v22, 0, v22, vcc_lo
	v_cmp_ngt_f32_e32 vcc_lo, 0xc2ce8ed0, v21
	v_dual_fmac_f32 v40, 0x32a5705f, v9 :: v_dual_cndmask_b32 v23, 0, v23
	v_cmp_ngt_f32_e32 vcc_lo, 0xc2ce8ed0, v15
	v_dual_fmac_f32 v38, 0x32a5705f, v17 :: v_dual_add_f32 v27, v27, v40
	v_cndmask_b32_e32 v24, 0, v24, vcc_lo
	v_cmp_ngt_f32_e32 vcc_lo, 0xc2ce8ed0, v16
	s_delay_alu instid0(VALU_DEP_3)
	v_exp_f32_e32 v27, v27
	v_cndmask_b32_e32 v25, 0, v25, vcc_lo
	v_cmp_nlt_f32_e32 vcc_lo, 0x42b17218, v14
	v_cndmask_b32_e32 v14, 0x7f800000, v18, vcc_lo
	v_cmp_nlt_f32_e32 vcc_lo, 0x42b17218, v20
	;; [unrolled: 2-line block ×4, first 2 shown]
	v_dual_add_f32 v26, v26, v38 :: v_dual_cndmask_b32 v15, 0x7f800000, v24
	v_cmp_nlt_f32_e32 vcc_lo, 0x42b17218, v16
	s_delay_alu instid0(VALU_DEP_2)
	v_exp_f32_e32 v26, v26
	v_cndmask_b32_e32 v16, 0x7f800000, v25, vcc_lo
	v_cmp_lt_i32_e32 vcc_lo, 0, v10
	v_cndmask_b32_e32 v14, 0, v14, vcc_lo
	v_cmp_lt_i32_e32 vcc_lo, 32, v10
	s_waitcnt_depctr 0xfff
	v_ldexp_f32 v26, v26, v30
	v_cndmask_b32_e32 v18, 0, v18, vcc_lo
	v_cmp_lt_i32_e32 vcc_lo, 64, v10
	v_cndmask_b32_e32 v20, 0, v20, vcc_lo
	v_cmp_lt_i32_e32 vcc_lo, 0x60, v10
	;; [unrolled: 2-line block ×3, first 2 shown]
	s_waitcnt vmcnt(3)
	s_delay_alu instid0(VALU_DEP_2) | instskip(SKIP_2) | instid1(VALU_DEP_2)
	v_dual_mul_f32 v5, v5, v15 :: v_dual_cndmask_b32 v16, 0, v16
	v_cmp_ngt_f32_e32 vcc_lo, 0xc2ce8ed0, v17
	s_waitcnt vmcnt(2)
	v_dual_mul_f32 v6, v6, v16 :: v_dual_cndmask_b32 v15, 0, v26
	v_cmp_nlt_f32_e32 vcc_lo, 0x42b17218, v17
	v_mul_f32_e32 v4, v4, v20
	v_ldexp_f32 v16, v27, v32
	s_delay_alu instid0(VALU_DEP_4) | instskip(SKIP_1) | instid1(VALU_DEP_3)
	v_cndmask_b32_e32 v15, 0x7f800000, v15, vcc_lo
	v_cmp_ngt_f32_e32 vcc_lo, 0xc2ce8ed0, v9
	v_cndmask_b32_e32 v16, 0, v16, vcc_lo
	v_cmp_lt_i32_e32 vcc_lo, 0xa0, v10
	s_delay_alu instid0(VALU_DEP_4) | instskip(SKIP_3) | instid1(VALU_DEP_3)
	v_cndmask_b32_e32 v15, 0, v15, vcc_lo
	v_cmp_nlt_f32_e32 vcc_lo, 0x42b17218, v9
	v_mul_f32_e32 v14, v19, v14
	s_waitcnt vmcnt(1)
	v_mul_f32_e32 v7, v7, v15
	v_cndmask_b32_e32 v9, 0x7f800000, v16, vcc_lo
	v_cmp_lt_i32_e32 vcc_lo, 0xc0, v10
	s_delay_alu instid0(VALU_DEP_2) | instskip(SKIP_2) | instid1(VALU_DEP_1)
	v_cndmask_b32_e32 v9, 0, v9, vcc_lo
	v_mul_f32_e32 v3, v3, v18
	s_waitcnt vmcnt(0)
	v_dual_mul_f32 v9, v1, v9 :: v_dual_add_f32 v18, v14, v3
	s_delay_alu instid0(VALU_DEP_1) | instskip(NEXT) | instid1(VALU_DEP_1)
	v_add_f32_e32 v17, v18, v4
	v_add_f32_e32 v16, v17, v5
	s_delay_alu instid0(VALU_DEP_1) | instskip(NEXT) | instid1(VALU_DEP_1)
	v_add_f32_e32 v10, v16, v6
	v_add_f32_e32 v1, v10, v7
	s_delay_alu instid0(VALU_DEP_1)
	v_add_f32_e32 v1, v1, v9
	ds_bpermute_b32 v8, v8, v1
	s_waitcnt lgkmcnt(0)
	v_add_f32_e32 v1, v1, v8
	ds_bpermute_b32 v8, v11, v1
	s_waitcnt lgkmcnt(0)
	v_add_f32_e32 v1, v1, v8
	ds_bpermute_b32 v8, v12, v1
	s_waitcnt lgkmcnt(0)
	v_add_f32_e32 v1, v1, v8
	ds_bpermute_b32 v8, v13, v1
	s_waitcnt lgkmcnt(0)
	v_add_f32_e32 v1, v1, v8
	v_lshlrev_b32_e32 v8, 2, v0
	ds_store_2addr_b32 v8, v14, v3 offset1:32
	ds_store_2addr_b32 v8, v4, v5 offset0:64 offset1:96
	ds_store_2addr_b32 v8, v6, v7 offset0:128 offset1:160
	ds_store_b32 v8, v9 offset:768
	ds_bpermute_b32 v2, v2, v1
	v_cmpx_eq_u32_e32 0, v0
	s_cbranch_execz .LBB80_8
; %bb.7:
	s_waitcnt lgkmcnt(0)
	v_dual_add_f32 v1, v1, v2 :: v_dual_mov_b32 v2, 0
	ds_store_b32 v2, v1 offset:896
.LBB80_8:
	s_or_b32 exec_lo, exec_lo, s7
	v_mov_b32_e32 v1, s6
.LBB80_9:
	s_or_b32 exec_lo, exec_lo, s24
	s_lshl_b32 s6, s18, 6
	s_mov_b32 s7, 0
	s_waitcnt lgkmcnt(0)
	v_dual_mov_b32 v2, 0 :: v_dual_lshlrev_b32 v1, 6, v1
	s_lshl_b64 s[6:7], s[6:7], 1
	v_lshlrev_b32_e32 v0, 1, v0
	s_add_u32 s34, s4, s6
	s_addc_u32 s35, s5, s7
	s_lshl_b32 s41, s40, 6
	v_lshlrev_b64 v[3:4], 1, v[1:2]
	s_sub_i32 s42, s41, 64
	s_cmpk_lt_i32 s22, 0x100
	v_dual_mov_b32 v30, 0 :: v_dual_mov_b32 v33, 0
	s_cselect_b32 s4, s42, 0
	s_delay_alu instid0(VALU_DEP_2)
	v_add_co_u32 v1, vcc_lo, s34, v3
	s_ashr_i32 s5, s4, 31
	v_add_co_ci_u32_e32 v3, vcc_lo, s35, v4, vcc_lo
	s_lshl_b64 s[4:5], s[4:5], 1
	s_cmpk_lt_i32 s22, 0x200
	v_add_co_u32 v1, vcc_lo, v1, v0
	s_cselect_b32 s6, s42, 64
	v_add_co_ci_u32_e32 v3, vcc_lo, 0, v3, vcc_lo
	s_ashr_i32 s7, s6, 31
	s_delay_alu instid0(VALU_DEP_2)
	v_add_co_u32 v4, vcc_lo, v1, s4
	s_lshl_b64 s[6:7], s[6:7], 1
	s_cmpk_lt_i32 s22, 0x300
	v_add_co_ci_u32_e32 v5, vcc_lo, s5, v3, vcc_lo
	s_cselect_b32 s8, s42, 0x80
	v_add_co_u32 v8, vcc_lo, v1, s6
	s_ashr_i32 s9, s8, 31
	v_add_co_ci_u32_e32 v9, vcc_lo, s7, v3, vcc_lo
	s_lshl_b64 s[8:9], s[8:9], 1
	s_cmpk_lt_i32 s22, 0x400
	v_add_co_u32 v10, vcc_lo, v1, s8
	s_cselect_b32 s10, s42, 0xc0
	v_add_co_ci_u32_e32 v11, vcc_lo, s9, v3, vcc_lo
	s_ashr_i32 s11, s10, 31
	v_dual_mov_b32 v32, 0 :: v_dual_mov_b32 v35, 0
	s_lshl_b64 s[10:11], s[10:11], 1
	s_cmpk_lt_i32 s22, 0x500
	v_add_co_u32 v12, vcc_lo, v1, s10
	s_cselect_b32 s18, s42, 0x100
	v_add_co_ci_u32_e32 v13, vcc_lo, s11, v3, vcc_lo
	s_ashr_i32 s19, s18, 31
	v_mov_b32_e32 v34, 0
	s_lshl_b64 s[18:19], s[18:19], 1
	s_cmpk_lt_i32 s22, 0x600
	v_add_co_u32 v14, vcc_lo, v1, s18
	s_cselect_b32 s20, s42, 0x140
	v_add_co_ci_u32_e32 v15, vcc_lo, s19, v3, vcc_lo
	s_ashr_i32 s21, s20, 31
	v_mov_b32_e32 v29, 0
	;; [unrolled: 7-line block ×3, first 2 shown]
	s_lshl_b64 s[24:25], s[24:25], 1
	s_cmpk_lt_i32 s22, 0x800
	v_add_co_u32 v18, vcc_lo, v1, s24
	s_cselect_b32 s26, s42, 0x1c0
	v_add_co_ci_u32_e32 v19, vcc_lo, s25, v3, vcc_lo
	s_ashr_i32 s27, s26, 31
	s_delay_alu instid0(SALU_CYCLE_1)
	s_lshl_b64 s[26:27], s[26:27], 1
	s_cmpk_lt_i32 s22, 0x900
	v_add_co_u32 v20, vcc_lo, v1, s26
	s_cselect_b32 s28, s42, 0x200
	v_add_co_ci_u32_e32 v21, vcc_lo, s27, v3, vcc_lo
	s_ashr_i32 s29, s28, 31
	s_clause 0x7
	global_load_u16 v7, v[4:5], off
	global_load_u16 v8, v[8:9], off
	;; [unrolled: 1-line block ×8, first 2 shown]
	s_lshl_b64 s[28:29], s[28:29], 1
	s_cmpk_lt_i32 s22, 0xa00
	v_add_co_u32 v12, vcc_lo, v1, s28
	s_cselect_b32 s30, s42, 0x240
	v_add_co_ci_u32_e32 v13, vcc_lo, s29, v3, vcc_lo
	s_ashr_i32 s31, s30, 31
	s_delay_alu instid0(SALU_CYCLE_1)
	s_lshl_b64 s[30:31], s[30:31], 1
	s_cmpk_lt_i32 s22, 0xb00
	v_add_co_u32 v15, vcc_lo, v1, s30
	s_cselect_b32 s34, s42, 0x280
	v_add_co_ci_u32_e32 v16, vcc_lo, s31, v3, vcc_lo
	s_ashr_i32 s35, s34, 31
	s_delay_alu instid0(SALU_CYCLE_1)
	;; [unrolled: 7-line block ×7, first 2 shown]
	s_lshl_b64 s[4:5], s[6:7], 1
	s_cmpk_gt_i32 s23, 0x1000
	v_add_co_u32 v27, vcc_lo, v1, s4
	v_add_co_ci_u32_e32 v28, vcc_lo, s5, v3, vcc_lo
	s_clause 0x7
	global_load_u16 v14, v[12:13], off
	global_load_u16 v15, v[15:16], off
	;; [unrolled: 1-line block ×8, first 2 shown]
	v_dual_mov_b32 v20, 0 :: v_dual_mov_b32 v23, 0
	v_dual_mov_b32 v21, 0 :: v_dual_mov_b32 v22, 0
	;; [unrolled: 1-line block ×4, first 2 shown]
	v_mov_b32_e32 v28, 0
	s_cselect_b32 s8, -1, 0
	s_cmpk_lt_i32 s23, 0x1001
	s_waitcnt vmcnt(0)
	s_barrier
	buffer_gl0_inv
	s_cbranch_scc1 .LBB80_11
; %bb.10:
	s_cmpk_lt_i32 s22, 0x1100
	s_cselect_b32 s4, s42, 0x400
	s_delay_alu instid0(SALU_CYCLE_1) | instskip(NEXT) | instid1(SALU_CYCLE_1)
	s_ashr_i32 s5, s4, 31
	s_lshl_b64 s[4:5], s[4:5], 1
	s_cmpk_lt_i32 s22, 0x1200
	v_add_co_u32 v20, vcc_lo, v1, s4
	s_cselect_b32 s6, s42, 0x440
	v_add_co_ci_u32_e32 v21, vcc_lo, s5, v3, vcc_lo
	s_ashr_i32 s7, s6, 31
	s_delay_alu instid0(SALU_CYCLE_1)
	s_lshl_b64 s[6:7], s[6:7], 1
	s_cmpk_lt_i32 s22, 0x1300
	v_add_co_u32 v22, vcc_lo, v1, s6
	s_cselect_b32 s10, s42, 0x480
	v_add_co_ci_u32_e32 v23, vcc_lo, s7, v3, vcc_lo
	s_ashr_i32 s11, s10, 31
	s_delay_alu instid0(SALU_CYCLE_1)
	;; [unrolled: 7-line block ×7, first 2 shown]
	s_lshl_b64 s[28:29], s[28:29], 1
	s_cmpk_lt_i32 s22, 0x1900
	v_add_co_u32 v34, vcc_lo, v1, s28
	s_cselect_b32 s30, s42, 0x600
	v_add_co_ci_u32_e32 v35, vcc_lo, s29, v3, vcc_lo
	s_ashr_i32 s31, s30, 31
	s_clause 0x7
	global_load_u16 v36, v[20:21], off
	global_load_u16 v37, v[22:23], off
	;; [unrolled: 1-line block ×8, first 2 shown]
	s_lshl_b64 s[30:31], s[30:31], 1
	s_cmpk_lt_i32 s22, 0x1a00
	v_add_co_u32 v20, vcc_lo, v1, s30
	s_cselect_b32 s34, s42, 0x640
	v_add_co_ci_u32_e32 v21, vcc_lo, s31, v3, vcc_lo
	s_ashr_i32 s35, s34, 31
	s_delay_alu instid0(SALU_CYCLE_1)
	s_lshl_b64 s[34:35], s[34:35], 1
	s_cmpk_lt_i32 s22, 0x1b00
	v_add_co_u32 v22, vcc_lo, v1, s34
	s_cselect_b32 s36, s42, 0x680
	v_add_co_ci_u32_e32 v23, vcc_lo, s35, v3, vcc_lo
	s_ashr_i32 s37, s36, 31
	s_delay_alu instid0(SALU_CYCLE_1)
	;; [unrolled: 7-line block ×6, first 2 shown]
	s_lshl_b64 s[4:5], s[20:21], 1
	s_cmpk_lt_i32 s22, 0x2000
	v_add_co_u32 v32, vcc_lo, v1, s4
	s_cselect_b32 s6, s42, 0x7c0
	v_add_co_ci_u32_e32 v33, vcc_lo, s5, v3, vcc_lo
	s_ashr_i32 s7, s6, 31
	s_delay_alu instid0(SALU_CYCLE_1) | instskip(NEXT) | instid1(SALU_CYCLE_1)
	s_lshl_b64 s[4:5], s[6:7], 1
	v_add_co_u32 v34, vcc_lo, v1, s4
	v_add_co_ci_u32_e32 v35, vcc_lo, s5, v3, vcc_lo
	s_clause 0x7
	global_load_u16 v20, v[20:21], off
	global_load_u16 v21, v[22:23], off
	;; [unrolled: 1-line block ×8, first 2 shown]
	s_waitcnt vmcnt(15)
	v_cvt_f32_f16_e32 v35, v36
	s_waitcnt vmcnt(14)
	v_cvt_f32_f16_e32 v34, v37
	;; [unrolled: 2-line block ×16, first 2 shown]
.LBB80_11:
	ds_load_b128 v[36:39], v2
	ds_load_b128 v[40:43], v2 offset:16
	s_load_b64 s[0:1], s[0:1], 0x0
	s_and_b32 vcc_lo, exec_lo, s8
	s_waitcnt lgkmcnt(0)
	v_fma_mix_f32 v7, v36, v7, 0 op_sel_hi:[0,1,0]
	s_delay_alu instid0(VALU_DEP_1) | instskip(NEXT) | instid1(VALU_DEP_1)
	v_fma_mix_f32 v7, v37, v8, v7 op_sel_hi:[0,1,0]
	v_fma_mix_f32 v7, v38, v9, v7 op_sel_hi:[0,1,0]
	s_delay_alu instid0(VALU_DEP_1) | instskip(SKIP_4) | instid1(VALU_DEP_1)
	v_fma_mix_f32 v7, v39, v10, v7 op_sel_hi:[0,1,0]
	ds_load_b128 v[36:39], v2 offset:48
	v_fma_mix_f32 v11, v40, v11, v7 op_sel_hi:[0,1,0]
	ds_load_b128 v[7:10], v2 offset:32
	v_fma_mix_f32 v4, v41, v4, v11 op_sel_hi:[0,1,0]
	v_fma_mix_f32 v4, v42, v5, v4 op_sel_hi:[0,1,0]
	s_delay_alu instid0(VALU_DEP_1) | instskip(SKIP_1) | instid1(VALU_DEP_1)
	v_fma_mix_f32 v4, v43, v6, v4 op_sel_hi:[0,1,0]
	s_waitcnt lgkmcnt(0)
	v_fma_mix_f32 v4, v7, v14, v4 op_sel_hi:[0,1,0]
	s_delay_alu instid0(VALU_DEP_1) | instskip(NEXT) | instid1(VALU_DEP_1)
	v_fma_mix_f32 v4, v8, v15, v4 op_sel_hi:[0,1,0]
	v_fma_mix_f32 v4, v9, v16, v4 op_sel_hi:[0,1,0]
	s_delay_alu instid0(VALU_DEP_1) | instskip(NEXT) | instid1(VALU_DEP_1)
	v_fma_mix_f32 v4, v10, v17, v4 op_sel_hi:[0,1,0]
	;; [unrolled: 3-line block ×3, first 2 shown]
	v_fma_mix_f32 v4, v38, v13, v4 op_sel_hi:[0,1,0]
	s_delay_alu instid0(VALU_DEP_1)
	v_fma_mix_f32 v4, v39, v19, v4 op_sel_hi:[0,1,0]
	s_cbranch_vccz .LBB80_13
; %bb.12:
	ds_load_b128 v[5:8], v2 offset:64
	ds_load_b128 v[9:12], v2 offset:80
	s_waitcnt lgkmcnt(1)
	v_fmac_f32_e32 v4, v5, v35
	s_delay_alu instid0(VALU_DEP_1) | instskip(NEXT) | instid1(VALU_DEP_1)
	v_fmac_f32_e32 v4, v6, v34
	v_fmac_f32_e32 v4, v7, v33
	s_delay_alu instid0(VALU_DEP_1) | instskip(SKIP_3) | instid1(VALU_DEP_1)
	v_fmac_f32_e32 v4, v8, v32
	ds_load_b128 v[5:8], v2 offset:96
	s_waitcnt lgkmcnt(1)
	v_fmac_f32_e32 v4, v9, v31
	v_fmac_f32_e32 v4, v10, v30
	s_delay_alu instid0(VALU_DEP_1) | instskip(NEXT) | instid1(VALU_DEP_1)
	v_fmac_f32_e32 v4, v11, v29
	v_fmac_f32_e32 v4, v12, v28
	ds_load_b128 v[9:12], v2 offset:112
	s_waitcnt lgkmcnt(1)
	v_fmac_f32_e32 v4, v5, v27
	s_delay_alu instid0(VALU_DEP_1) | instskip(NEXT) | instid1(VALU_DEP_1)
	v_fmac_f32_e32 v4, v6, v26
	v_fmac_f32_e32 v4, v7, v25
	s_delay_alu instid0(VALU_DEP_1) | instskip(SKIP_1) | instid1(VALU_DEP_1)
	v_fmac_f32_e32 v4, v8, v24
	s_waitcnt lgkmcnt(0)
	v_fmac_f32_e32 v4, v9, v23
	s_delay_alu instid0(VALU_DEP_1) | instskip(NEXT) | instid1(VALU_DEP_1)
	v_fmac_f32_e32 v4, v10, v22
	v_fmac_f32_e32 v4, v11, v21
	s_delay_alu instid0(VALU_DEP_1)
	v_fmac_f32_e32 v4, v12, v20
.LBB80_13:
	s_movk_i32 s43, 0xfc0
	s_movk_i32 s44, 0x80
	s_mov_b32 s45, 32
	s_branch .LBB80_15
.LBB80_14:                              ;   in Loop: Header=BB80_15 Depth=1
	s_addk_i32 s43, 0x800
	s_addk_i32 s44, 0x80
	s_add_i32 s45, s45, 32
	s_cmpk_eq_i32 s43, 0x3fc0
	s_cbranch_scc1 .LBB80_17
.LBB80_15:                              ; =>This Inner Loop Header: Depth=1
	s_cmp_le_i32 s40, s45
	s_cbranch_scc1 .LBB80_14
; %bb.16:                               ;   in Loop: Header=BB80_15 Depth=1
	s_add_i32 s4, s43, 0xfffff840
	v_mov_b32_e32 v44, s44
	s_cmp_lt_i32 s4, s41
	s_cselect_b32 s4, s4, s42
	s_add_i32 s6, s43, 0xfffff880
	s_ashr_i32 s5, s4, 31
	s_delay_alu instid0(SALU_CYCLE_1)
	s_lshl_b64 s[4:5], s[4:5], 1
	s_cmp_lt_i32 s6, s41
	v_add_co_u32 v5, vcc_lo, v1, s4
	s_cselect_b32 s6, s6, s42
	s_add_i32 s10, s43, 0xfffff8c0
	s_ashr_i32 s7, s6, 31
	v_add_co_ci_u32_e32 v6, vcc_lo, s5, v3, vcc_lo
	s_lshl_b64 s[8:9], s[6:7], 1
	s_cmp_lt_i32 s10, s41
	v_add_co_u32 v7, vcc_lo, v1, s8
	s_cselect_b32 s6, s10, s42
	s_add_i32 s10, s43, 0xfffff900
	s_ashr_i32 s7, s6, 31
	v_add_co_ci_u32_e32 v8, vcc_lo, s9, v3, vcc_lo
	;; [unrolled: 7-line block ×8, first 2 shown]
	s_lshl_b64 s[24:25], s[20:21], 1
	s_cmp_lt_i32 s28, s41
	s_clause 0x7
	global_load_u16 v2, v[5:6], off
	global_load_u16 v21, v[7:8], off
	;; [unrolled: 1-line block ×8, first 2 shown]
	s_cselect_b32 s20, s28, s42
	s_add_i32 s28, s43, 0xfffffac0
	s_ashr_i32 s21, s20, 31
	v_add_co_u32 v5, vcc_lo, v1, s24
	s_lshl_b64 s[20:21], s[20:21], 1
	s_cmp_lt_i32 s28, s41
	v_add_co_ci_u32_e32 v6, vcc_lo, s25, v3, vcc_lo
	s_cselect_b32 s28, s28, s42
	s_add_i32 s36, s43, 0xfffffb00
	s_ashr_i32 s29, s28, 31
	v_add_co_u32 v7, vcc_lo, v1, s20
	s_lshl_b64 s[30:31], s[28:29], 1
	s_cmp_lt_i32 s36, s41
	v_add_co_ci_u32_e32 v8, vcc_lo, s21, v3, vcc_lo
	;; [unrolled: 7-line block ×8, first 2 shown]
	s_cselect_b32 s10, s10, s42
	s_add_i32 s18, s43, 0xfffffcc0
	s_ashr_i32 s11, s10, 31
	s_clause 0x7
	global_load_u16 v28, v[5:6], off
	global_load_u16 v29, v[7:8], off
	;; [unrolled: 1-line block ×8, first 2 shown]
	s_lshl_b64 s[10:11], s[10:11], 1
	s_cmp_lt_i32 s18, s41
	v_add_co_u32 v5, vcc_lo, v1, s4
	s_cselect_b32 s18, s18, s42
	s_add_i32 s22, s43, 0xfffffd00
	s_ashr_i32 s19, s18, 31
	v_add_co_ci_u32_e32 v6, vcc_lo, s5, v3, vcc_lo
	s_lshl_b64 s[18:19], s[18:19], 1
	s_cmp_lt_i32 s22, s41
	v_add_co_u32 v7, vcc_lo, v1, s10
	s_cselect_b32 s20, s22, s42
	s_add_i32 s22, s43, 0xfffffd40
	s_ashr_i32 s21, s20, 31
	v_add_co_ci_u32_e32 v8, vcc_lo, s11, v3, vcc_lo
	;; [unrolled: 7-line block ×5, first 2 shown]
	s_lshl_b64 s[6:7], s[6:7], 1
	s_cmp_lt_i32 s24, s41
	s_clause 0x4
	global_load_u16 v19, v[5:6], off
	global_load_u16 v20, v[7:8], off
	;; [unrolled: 1-line block ×5, first 2 shown]
	s_cselect_b32 s4, s24, s42
	s_add_i32 s10, s43, 0xfffffe40
	s_ashr_i32 s5, s4, 31
	v_add_co_u32 v5, vcc_lo, v1, s8
	s_lshl_b64 s[4:5], s[4:5], 1
	s_cmp_lt_i32 s10, s41
	v_add_co_ci_u32_e32 v6, vcc_lo, s9, v3, vcc_lo
	s_cselect_b32 s10, s10, s42
	s_add_i32 s18, s43, 0xfffffe80
	s_ashr_i32 s11, s10, 31
	v_add_co_u32 v7, vcc_lo, v1, s6
	s_lshl_b64 s[10:11], s[10:11], 1
	s_cmp_lt_i32 s18, s41
	v_add_co_ci_u32_e32 v8, vcc_lo, s7, v3, vcc_lo
	s_cselect_b32 s18, s18, s42
	s_add_i32 s20, s43, 0xfffffec0
	s_ashr_i32 s19, s18, 31
	v_add_co_u32 v9, vcc_lo, v1, s4
	s_lshl_b64 s[18:19], s[18:19], 1
	s_cmp_lt_i32 s20, s41
	global_load_u16 v37, v[5:6], off
	s_cselect_b32 s8, s20, s42
	s_add_i32 s20, s43, 0xffffff00
	s_ashr_i32 s9, s8, 31
	v_add_co_ci_u32_e32 v10, vcc_lo, s5, v3, vcc_lo
	s_lshl_b64 s[6:7], s[8:9], 1
	s_cmp_lt_i32 s20, s41
	v_add_co_u32 v11, vcc_lo, v1, s10
	s_cselect_b32 s4, s20, s42
	s_clause 0x1
	global_load_u16 v38, v[7:8], off
	global_load_u16 v39, v[9:10], off
	v_add_co_ci_u32_e32 v12, vcc_lo, s11, v3, vcc_lo
	s_ashr_i32 s5, s4, 31
	s_add_i32 s8, s43, 0xffffff40
	v_add_co_u32 v13, vcc_lo, v1, s18
	s_lshl_b64 s[4:5], s[4:5], 1
	s_cmp_lt_i32 s8, s41
	v_add_co_ci_u32_e32 v14, vcc_lo, s19, v3, vcc_lo
	v_add_co_u32 v15, vcc_lo, v1, s6
	s_cselect_b32 s8, s8, s42
	v_add_co_ci_u32_e32 v16, vcc_lo, s7, v3, vcc_lo
	s_ashr_i32 s9, s8, 31
	s_add_i32 s10, s43, 0xffffff80
	s_lshl_b64 s[6:7], s[8:9], 1
	s_clause 0x2
	global_load_u16 v40, v[11:12], off
	global_load_u16 v13, v[13:14], off
	;; [unrolled: 1-line block ×3, first 2 shown]
	s_cmp_lt_i32 s10, s41
	v_add_co_u32 v5, vcc_lo, v1, s4
	s_cselect_b32 s8, s10, s42
	s_sub_i32 s10, s43, 64
	s_ashr_i32 s9, s8, 31
	v_add_co_ci_u32_e32 v6, vcc_lo, s5, v3, vcc_lo
	s_lshl_b64 s[8:9], s[8:9], 1
	s_cmp_lt_i32 s10, s41
	v_add_co_u32 v7, vcc_lo, v1, s6
	s_cselect_b32 s4, s10, s42
	v_add_co_ci_u32_e32 v8, vcc_lo, s7, v3, vcc_lo
	s_ashr_i32 s5, s4, 31
	v_add_co_u32 v9, vcc_lo, v1, s8
	global_load_u16 v15, v[5:6], off
	s_lshl_b64 s[4:5], s[4:5], 1
	v_add_co_ci_u32_e32 v10, vcc_lo, s9, v3, vcc_lo
	s_cmp_lt_i32 s43, s41
	s_clause 0x1
	global_load_u16 v16, v[7:8], off
	global_load_u16 v41, v[9:10], off
	s_cselect_b32 s6, s43, s42
	v_add_co_u32 v5, vcc_lo, v1, s4
	s_ashr_i32 s7, s6, 31
	v_add_co_ci_u32_e32 v6, vcc_lo, s5, v3, vcc_lo
	s_lshl_b64 s[4:5], s[6:7], 1
	s_delay_alu instid0(SALU_CYCLE_1)
	v_add_co_u32 v7, vcc_lo, v1, s4
	v_add_co_ci_u32_e32 v8, vcc_lo, s5, v3, vcc_lo
	s_clause 0x1
	global_load_u16 v42, v[5:6], off
	global_load_u16 v43, v[7:8], off
	ds_load_b128 v[5:8], v44
	ds_load_b128 v[9:12], v44 offset:16
	s_waitcnt vmcnt(31) lgkmcnt(1)
	v_fma_mix_f32 v2, v5, v2, v4 op_sel_hi:[0,1,0]
	s_waitcnt vmcnt(30)
	s_delay_alu instid0(VALU_DEP_1) | instskip(SKIP_1) | instid1(VALU_DEP_1)
	v_fma_mix_f32 v2, v6, v21, v2 op_sel_hi:[0,1,0]
	s_waitcnt vmcnt(29)
	v_fma_mix_f32 v2, v7, v22, v2 op_sel_hi:[0,1,0]
	ds_load_b128 v[4:7], v44 offset:32
	s_waitcnt vmcnt(28)
	v_fma_mix_f32 v2, v8, v23, v2 op_sel_hi:[0,1,0]
	s_waitcnt vmcnt(27) lgkmcnt(1)
	s_delay_alu instid0(VALU_DEP_1) | instskip(SKIP_1) | instid1(VALU_DEP_1)
	v_fma_mix_f32 v2, v9, v24, v2 op_sel_hi:[0,1,0]
	s_waitcnt vmcnt(26)
	v_fma_mix_f32 v2, v10, v25, v2 op_sel_hi:[0,1,0]
	s_waitcnt vmcnt(25)
	s_delay_alu instid0(VALU_DEP_1) | instskip(SKIP_4) | instid1(VALU_DEP_1)
	v_fma_mix_f32 v2, v11, v26, v2 op_sel_hi:[0,1,0]
	ds_load_b128 v[8:11], v44 offset:48
	s_waitcnt vmcnt(24)
	v_fma_mix_f32 v2, v12, v27, v2 op_sel_hi:[0,1,0]
	s_waitcnt vmcnt(23) lgkmcnt(1)
	v_fma_mix_f32 v2, v4, v28, v2 op_sel_hi:[0,1,0]
	s_waitcnt vmcnt(22)
	s_delay_alu instid0(VALU_DEP_1) | instskip(SKIP_1) | instid1(VALU_DEP_1)
	v_fma_mix_f32 v2, v5, v29, v2 op_sel_hi:[0,1,0]
	s_waitcnt vmcnt(21)
	v_fma_mix_f32 v2, v6, v30, v2 op_sel_hi:[0,1,0]
	s_waitcnt vmcnt(20)
	s_delay_alu instid0(VALU_DEP_1) | instskip(SKIP_4) | instid1(VALU_DEP_1)
	v_fma_mix_f32 v2, v7, v31, v2 op_sel_hi:[0,1,0]
	ds_load_b128 v[4:7], v44 offset:64
	s_waitcnt vmcnt(19) lgkmcnt(1)
	v_fma_mix_f32 v2, v8, v32, v2 op_sel_hi:[0,1,0]
	s_waitcnt vmcnt(18)
	v_fma_mix_f32 v2, v9, v33, v2 op_sel_hi:[0,1,0]
	s_waitcnt vmcnt(17)
	s_delay_alu instid0(VALU_DEP_1) | instskip(SKIP_1) | instid1(VALU_DEP_1)
	v_fma_mix_f32 v2, v10, v17, v2 op_sel_hi:[0,1,0]
	s_waitcnt vmcnt(16)
	v_fma_mix_f32 v2, v11, v18, v2 op_sel_hi:[0,1,0]
	ds_load_b128 v[8:11], v44 offset:80
	s_waitcnt vmcnt(15) lgkmcnt(1)
	v_fma_mix_f32 v2, v4, v19, v2 op_sel_hi:[0,1,0]
	s_waitcnt vmcnt(14)
	s_delay_alu instid0(VALU_DEP_1) | instskip(SKIP_1) | instid1(VALU_DEP_1)
	v_fma_mix_f32 v2, v5, v20, v2 op_sel_hi:[0,1,0]
	s_waitcnt vmcnt(13)
	v_fma_mix_f32 v2, v6, v34, v2 op_sel_hi:[0,1,0]
	s_waitcnt vmcnt(12)
	s_delay_alu instid0(VALU_DEP_1) | instskip(SKIP_4) | instid1(VALU_DEP_1)
	v_fma_mix_f32 v2, v7, v35, v2 op_sel_hi:[0,1,0]
	ds_load_b128 v[4:7], v44 offset:96
	s_waitcnt vmcnt(11) lgkmcnt(1)
	v_fma_mix_f32 v2, v8, v36, v2 op_sel_hi:[0,1,0]
	s_waitcnt vmcnt(10)
	v_fma_mix_f32 v2, v9, v37, v2 op_sel_hi:[0,1,0]
	s_waitcnt vmcnt(9)
	s_delay_alu instid0(VALU_DEP_1) | instskip(SKIP_1) | instid1(VALU_DEP_1)
	v_fma_mix_f32 v2, v10, v38, v2 op_sel_hi:[0,1,0]
	s_waitcnt vmcnt(8)
	v_fma_mix_f32 v2, v11, v39, v2 op_sel_hi:[0,1,0]
	ds_load_b128 v[8:11], v44 offset:112
	s_waitcnt vmcnt(7) lgkmcnt(1)
	v_fma_mix_f32 v2, v4, v40, v2 op_sel_hi:[0,1,0]
	s_waitcnt vmcnt(6)
	s_delay_alu instid0(VALU_DEP_1) | instskip(SKIP_1) | instid1(VALU_DEP_1)
	v_fma_mix_f32 v2, v5, v13, v2 op_sel_hi:[0,1,0]
	s_waitcnt vmcnt(5)
	v_fma_mix_f32 v2, v6, v14, v2 op_sel_hi:[0,1,0]
	s_waitcnt vmcnt(4)
	s_delay_alu instid0(VALU_DEP_1) | instskip(SKIP_1) | instid1(VALU_DEP_1)
	v_fma_mix_f32 v2, v7, v15, v2 op_sel_hi:[0,1,0]
	s_waitcnt vmcnt(3) lgkmcnt(0)
	v_fma_mix_f32 v2, v8, v16, v2 op_sel_hi:[0,1,0]
	s_waitcnt vmcnt(2)
	s_delay_alu instid0(VALU_DEP_1) | instskip(SKIP_1) | instid1(VALU_DEP_1)
	v_fma_mix_f32 v2, v9, v41, v2 op_sel_hi:[0,1,0]
	s_waitcnt vmcnt(1)
	v_fma_mix_f32 v2, v10, v42, v2 op_sel_hi:[0,1,0]
	s_waitcnt vmcnt(0)
	s_delay_alu instid0(VALU_DEP_1)
	v_fma_mix_f32 v4, v11, v43, v2 op_sel_hi:[0,1,0]
	s_branch .LBB80_14
.LBB80_17:
	v_mov_b32_e32 v1, 0
	s_and_b32 vcc_lo, exec_lo, s15
	ds_load_b32 v1, v1 offset:896
	s_cbranch_vccz .LBB80_19
; %bb.18:
	s_add_u32 s2, s12, s16
	s_addc_u32 s3, s13, s17
	s_load_b32 s2, s[2:3], 0x0
	s_mov_b32 s3, 0
.LBB80_19:
	s_waitcnt lgkmcnt(0)
	v_add_f32_e32 v1, 0x358637bd, v1
	s_mul_i32 s3, s33, s3
	s_mul_hi_u32 s4, s33, s2
	s_mul_i32 s2, s33, s2
	s_add_i32 s3, s4, s3
	v_div_scale_f32 v2, null, v1, v1, 1.0
	s_lshl_b64 s[2:3], s[2:3], 7
	s_mov_b32 s15, 0
	s_add_u32 s2, s0, s2
	s_delay_alu instid0(VALU_DEP_1) | instskip(SKIP_2) | instid1(SALU_CYCLE_1)
	v_rcp_f32_e32 v3, v2
	s_addc_u32 s3, s1, s3
	s_lshl_b64 s[0:1], s[14:15], 7
	s_add_u32 s0, s2, s0
	s_addc_u32 s1, s3, s1
	s_waitcnt_depctr 0xfff
	v_fma_f32 v5, -v2, v3, 1.0
	s_delay_alu instid0(VALU_DEP_1) | instskip(SKIP_1) | instid1(VALU_DEP_1)
	v_fmac_f32_e32 v3, v5, v3
	v_div_scale_f32 v5, vcc_lo, 1.0, v1, 1.0
	v_mul_f32_e32 v6, v5, v3
	s_delay_alu instid0(VALU_DEP_1) | instskip(NEXT) | instid1(VALU_DEP_1)
	v_fma_f32 v7, -v2, v6, v5
	v_fmac_f32_e32 v6, v7, v3
	s_delay_alu instid0(VALU_DEP_1) | instskip(NEXT) | instid1(VALU_DEP_1)
	v_fma_f32 v2, -v2, v6, v5
	v_div_fmas_f32 v2, v2, v3, v6
	s_delay_alu instid0(VALU_DEP_1) | instskip(NEXT) | instid1(VALU_DEP_1)
	v_div_fixup_f32 v1, v2, v1, 1.0
	v_fma_mixlo_f16 v1, v4, v1, 0
	global_store_b16 v0, v1, s[0:1]
	s_nop 0
	s_sendmsg sendmsg(MSG_DEALLOC_VGPRS)
	s_endpgm
.LBB80_20:
	s_mov_b32 s4, 0
	s_branch .LBB80_2
	.section	.rodata,"a",@progbits
	.p2align	6, 0x0
	.amdhsa_kernel _Z35paged_attention_ll4mi_reduce_kernelIDF16_DF16_Li64ELi64ELi256ELi7EEvPT0_PKfS3_PKT_PKiS8_iS3_
		.amdhsa_group_segment_fixed_size 900
		.amdhsa_private_segment_fixed_size 0
		.amdhsa_kernarg_size 320
		.amdhsa_user_sgpr_count 14
		.amdhsa_user_sgpr_dispatch_ptr 0
		.amdhsa_user_sgpr_queue_ptr 0
		.amdhsa_user_sgpr_kernarg_segment_ptr 1
		.amdhsa_user_sgpr_dispatch_id 0
		.amdhsa_user_sgpr_private_segment_size 0
		.amdhsa_wavefront_size32 1
		.amdhsa_uses_dynamic_stack 0
		.amdhsa_enable_private_segment 0
		.amdhsa_system_sgpr_workgroup_id_x 1
		.amdhsa_system_sgpr_workgroup_id_y 1
		.amdhsa_system_sgpr_workgroup_id_z 0
		.amdhsa_system_sgpr_workgroup_info 0
		.amdhsa_system_vgpr_workitem_id 0
		.amdhsa_next_free_vgpr 48
		.amdhsa_next_free_sgpr 47
		.amdhsa_reserve_vcc 1
		.amdhsa_float_round_mode_32 0
		.amdhsa_float_round_mode_16_64 0
		.amdhsa_float_denorm_mode_32 3
		.amdhsa_float_denorm_mode_16_64 3
		.amdhsa_dx10_clamp 1
		.amdhsa_ieee_mode 1
		.amdhsa_fp16_overflow 0
		.amdhsa_workgroup_processor_mode 1
		.amdhsa_memory_ordered 1
		.amdhsa_forward_progress 0
		.amdhsa_shared_vgpr_count 0
		.amdhsa_exception_fp_ieee_invalid_op 0
		.amdhsa_exception_fp_denorm_src 0
		.amdhsa_exception_fp_ieee_div_zero 0
		.amdhsa_exception_fp_ieee_overflow 0
		.amdhsa_exception_fp_ieee_underflow 0
		.amdhsa_exception_fp_ieee_inexact 0
		.amdhsa_exception_int_div_zero 0
	.end_amdhsa_kernel
	.section	.text._Z35paged_attention_ll4mi_reduce_kernelIDF16_DF16_Li64ELi64ELi256ELi7EEvPT0_PKfS3_PKT_PKiS8_iS3_,"axG",@progbits,_Z35paged_attention_ll4mi_reduce_kernelIDF16_DF16_Li64ELi64ELi256ELi7EEvPT0_PKfS3_PKT_PKiS8_iS3_,comdat
.Lfunc_end80:
	.size	_Z35paged_attention_ll4mi_reduce_kernelIDF16_DF16_Li64ELi64ELi256ELi7EEvPT0_PKfS3_PKT_PKiS8_iS3_, .Lfunc_end80-_Z35paged_attention_ll4mi_reduce_kernelIDF16_DF16_Li64ELi64ELi256ELi7EEvPT0_PKfS3_PKT_PKiS8_iS3_
                                        ; -- End function
	.section	.AMDGPU.csdata,"",@progbits
; Kernel info:
; codeLenInByte = 6328
; NumSgprs: 49
; NumVgprs: 48
; ScratchSize: 0
; MemoryBound: 0
; FloatMode: 240
; IeeeMode: 1
; LDSByteSize: 900 bytes/workgroup (compile time only)
; SGPRBlocks: 6
; VGPRBlocks: 5
; NumSGPRsForWavesPerEU: 49
; NumVGPRsForWavesPerEU: 48
; Occupancy: 16
; WaveLimiterHint : 0
; COMPUTE_PGM_RSRC2:SCRATCH_EN: 0
; COMPUTE_PGM_RSRC2:USER_SGPR: 14
; COMPUTE_PGM_RSRC2:TRAP_HANDLER: 0
; COMPUTE_PGM_RSRC2:TGID_X_EN: 1
; COMPUTE_PGM_RSRC2:TGID_Y_EN: 1
; COMPUTE_PGM_RSRC2:TGID_Z_EN: 0
; COMPUTE_PGM_RSRC2:TIDIG_COMP_CNT: 0
	.section	.text._Z35paged_attention_ll4mi_reduce_kernelIDF16_DF16_Li64ELi64ELi256ELi8EEvPT0_PKfS3_PKT_PKiS8_iS3_,"axG",@progbits,_Z35paged_attention_ll4mi_reduce_kernelIDF16_DF16_Li64ELi64ELi256ELi8EEvPT0_PKfS3_PKT_PKiS8_iS3_,comdat
	.protected	_Z35paged_attention_ll4mi_reduce_kernelIDF16_DF16_Li64ELi64ELi256ELi8EEvPT0_PKfS3_PKT_PKiS8_iS3_ ; -- Begin function _Z35paged_attention_ll4mi_reduce_kernelIDF16_DF16_Li64ELi64ELi256ELi8EEvPT0_PKfS3_PKT_PKiS8_iS3_
	.globl	_Z35paged_attention_ll4mi_reduce_kernelIDF16_DF16_Li64ELi64ELi256ELi8EEvPT0_PKfS3_PKT_PKiS8_iS3_
	.p2align	8
	.type	_Z35paged_attention_ll4mi_reduce_kernelIDF16_DF16_Li64ELi64ELi256ELi8EEvPT0_PKfS3_PKT_PKiS8_iS3_,@function
_Z35paged_attention_ll4mi_reduce_kernelIDF16_DF16_Li64ELi64ELi256ELi8EEvPT0_PKfS3_PKT_PKiS8_iS3_: ; @_Z35paged_attention_ll4mi_reduce_kernelIDF16_DF16_Li64ELi64ELi256ELi8EEvPT0_PKfS3_PKT_PKiS8_iS3_
; %bb.0:
	s_load_b64 s[12:13], s[0:1], 0x28
	s_mov_b32 s2, s15
	s_waitcnt lgkmcnt(0)
	s_cmp_lg_u64 s[12:13], 0
	s_cselect_b32 s15, -1, 0
	s_delay_alu instid0(SALU_CYCLE_1)
	s_and_b32 vcc_lo, exec_lo, s15
	s_cbranch_vccz .LBB81_20
; %bb.1:
	s_add_i32 s4, s2, 1
	s_mov_b32 s5, 0
	s_delay_alu instid0(SALU_CYCLE_1) | instskip(SKIP_4) | instid1(SALU_CYCLE_1)
	s_lshl_b64 s[6:7], s[4:5], 2
	s_mov_b32 s3, s5
	s_add_u32 s6, s12, s6
	s_addc_u32 s7, s13, s7
	s_lshl_b64 s[8:9], s[2:3], 2
	s_add_u32 s8, s12, s8
	s_addc_u32 s9, s13, s9
	s_clause 0x1
	s_load_b32 s4, s[6:7], 0x0
	s_load_b32 s6, s[8:9], 0x0
	s_waitcnt lgkmcnt(0)
	s_sub_i32 s4, s4, s6
	s_delay_alu instid0(SALU_CYCLE_1)
	s_cmp_eq_u32 s4, 1
	s_cselect_b32 s4, -1, 0
	s_cbranch_execnz .LBB81_3
.LBB81_2:
	s_mov_b32 s3, 0
	s_mov_b32 s4, -1
.LBB81_3:
	s_delay_alu instid0(SALU_CYCLE_1)
	s_and_not1_b32 vcc_lo, exec_lo, s4
	s_cbranch_vccz .LBB81_5
; %bb.4:
	s_endpgm
.LBB81_5:
	s_clause 0x1
	s_load_b128 s[4:7], s[0:1], 0x18
	s_load_b32 s9, s[0:1], 0x30
	s_lshl_b64 s[16:17], s[2:3], 2
	s_waitcnt lgkmcnt(0)
	s_add_u32 s6, s6, s16
	s_addc_u32 s7, s7, s17
	s_load_b32 s23, s[6:7], 0x0
	s_load_b32 s33, s[0:1], 0x40
	s_mul_i32 s7, s2, s9
	s_waitcnt lgkmcnt(0)
	s_add_i32 s22, s23, 0xff
	s_delay_alu instid0(SALU_CYCLE_1) | instskip(NEXT) | instid1(SALU_CYCLE_1)
	s_ashr_i32 s6, s22, 31
	s_lshr_b32 s6, s6, 24
	s_delay_alu instid0(SALU_CYCLE_1) | instskip(SKIP_4) | instid1(SALU_CYCLE_1)
	s_add_i32 s8, s22, s6
	s_mul_i32 s6, s14, s9
	s_mov_b32 s9, exec_lo
	v_cmpx_lt_u32_e32 31, v0
	s_xor_b32 s9, exec_lo, s9
	s_or_saveexec_b32 s24, s9
	v_mov_b32_e32 v1, s6
	s_ashr_i32 s40, s8, 8
	s_mul_i32 s18, s7, s33
	s_xor_b32 exec_lo, exec_lo, s24
	s_cbranch_execz .LBB81_9
; %bb.6:
	v_or_b32_e32 v2, 32, v0
	v_cmp_gt_i32_e32 vcc_lo, s40, v0
	s_add_i32 s20, s40, -1
	v_or_b32_e32 v4, 64, v0
	v_or_b32_e32 v6, 0x60, v0
	s_load_b128 s[8:11], s[0:1], 0x8
	v_cndmask_b32_e32 v1, s20, v0, vcc_lo
	v_cmp_gt_i32_e32 vcc_lo, s40, v2
	s_mov_b32 s19, 0
	s_delay_alu instid0(SALU_CYCLE_1)
	s_mov_b32 s7, s19
	v_cndmask_b32_e32 v3, s20, v2, vcc_lo
	v_cmp_gt_i32_e32 vcc_lo, s40, v4
	v_or_b32_e32 v2, 0x80, v0
	v_cndmask_b32_e32 v5, s20, v4, vcc_lo
	v_cmp_gt_i32_e32 vcc_lo, s40, v6
	v_or_b32_e32 v4, 0xa0, v0
	;; [unrolled: 3-line block ×3, first 2 shown]
	s_delay_alu instid0(VALU_DEP_3) | instskip(SKIP_3) | instid1(VALU_DEP_4)
	v_ashrrev_i32_e32 v8, 31, v7
	v_cndmask_b32_e32 v9, s20, v2, vcc_lo
	v_cmp_gt_i32_e32 vcc_lo, s40, v4
	v_or_b32_e32 v2, 0xe0, v0
	v_lshlrev_b64 v[7:8], 2, v[7:8]
	s_delay_alu instid0(VALU_DEP_4) | instskip(SKIP_3) | instid1(VALU_DEP_4)
	v_ashrrev_i32_e32 v10, 31, v9
	v_cndmask_b32_e32 v11, s20, v4, vcc_lo
	v_cmp_gt_i32_e32 vcc_lo, s40, v6
	v_ashrrev_i32_e32 v4, 31, v3
	v_lshlrev_b64 v[9:10], 2, v[9:10]
	s_delay_alu instid0(VALU_DEP_4)
	v_ashrrev_i32_e32 v12, 31, v11
	v_cndmask_b32_e32 v13, s20, v6, vcc_lo
	v_cmp_gt_i32_e32 vcc_lo, s40, v2
	v_ashrrev_i32_e32 v6, 31, v5
	v_lshlrev_b64 v[3:4], 2, v[3:4]
	v_lshlrev_b64 v[11:12], 2, v[11:12]
	v_ashrrev_i32_e32 v14, 31, v13
	v_cndmask_b32_e32 v15, s20, v2, vcc_lo
	v_ashrrev_i32_e32 v2, 31, v1
	s_lshl_b64 s[20:21], s[18:19], 2
	v_lshlrev_b64 v[5:6], 2, v[5:6]
	s_waitcnt lgkmcnt(0)
	s_add_u32 s19, s10, s20
	s_addc_u32 s25, s11, s21
	v_lshlrev_b64 v[1:2], 2, v[1:2]
	s_lshl_b64 s[10:11], s[6:7], 2
	v_lshlrev_b64 v[13:14], 2, v[13:14]
	s_add_u32 s7, s19, s10
	s_addc_u32 s19, s25, s11
	s_delay_alu instid0(VALU_DEP_2)
	v_add_co_u32 v16, vcc_lo, s7, v1
	v_add_co_ci_u32_e32 v17, vcc_lo, s19, v2, vcc_lo
	v_add_co_u32 v18, vcc_lo, s7, v3
	v_add_co_ci_u32_e32 v19, vcc_lo, s19, v4, vcc_lo
	;; [unrolled: 2-line block ×4, first 2 shown]
	s_clause 0x3
	global_load_b32 v25, v[16:17], off
	global_load_b32 v26, v[18:19], off
	;; [unrolled: 1-line block ×4, first 2 shown]
	v_ashrrev_i32_e32 v16, 31, v15
	v_add_co_u32 v17, vcc_lo, s7, v9
	v_add_co_ci_u32_e32 v18, vcc_lo, s19, v10, vcc_lo
	v_add_co_u32 v19, vcc_lo, s7, v11
	s_delay_alu instid0(VALU_DEP_4) | instskip(SKIP_3) | instid1(VALU_DEP_4)
	v_lshlrev_b64 v[15:16], 2, v[15:16]
	v_add_co_ci_u32_e32 v20, vcc_lo, s19, v12, vcc_lo
	v_add_co_u32 v21, vcc_lo, s7, v13
	v_add_co_ci_u32_e32 v22, vcc_lo, s19, v14, vcc_lo
	v_add_co_u32 v23, vcc_lo, s7, v15
	v_add_co_ci_u32_e32 v24, vcc_lo, s19, v16, vcc_lo
	s_clause 0x3
	global_load_b32 v17, v[17:18], off
	global_load_b32 v18, v[19:20], off
	;; [unrolled: 1-line block ×4, first 2 shown]
	s_add_u32 s7, s8, s20
	s_addc_u32 s8, s9, s21
	s_add_u32 s7, s7, s10
	s_addc_u32 s8, s8, s11
	v_add_co_u32 v1, vcc_lo, s7, v1
	v_add_co_ci_u32_e32 v2, vcc_lo, s8, v2, vcc_lo
	v_add_co_u32 v3, vcc_lo, s7, v3
	v_add_co_ci_u32_e32 v4, vcc_lo, s8, v4, vcc_lo
	;; [unrolled: 2-line block ×5, first 2 shown]
	s_clause 0x4
	global_load_b32 v21, v[1:2], off
	global_load_b32 v3, v[3:4], off
	;; [unrolled: 1-line block ×5, first 2 shown]
	v_add_co_u32 v1, vcc_lo, s7, v11
	v_add_co_ci_u32_e32 v2, vcc_lo, s8, v12, vcc_lo
	global_load_b32 v7, v[1:2], off
	v_add_co_u32 v1, vcc_lo, s7, v13
	v_add_co_ci_u32_e32 v2, vcc_lo, s8, v14, vcc_lo
	global_load_b32 v8, v[1:2], off
	v_add_co_u32 v1, vcc_lo, s7, v15
	v_add_co_ci_u32_e32 v2, vcc_lo, s8, v16, vcc_lo
	s_mov_b32 s7, exec_lo
	global_load_b32 v11, v[1:2], off
	v_mbcnt_lo_u32_b32 v1, -1, 0
	s_delay_alu instid0(VALU_DEP_1)
	v_xor_b32_e32 v12, 8, v1
	v_xor_b32_e32 v13, 4, v1
	;; [unrolled: 1-line block ×4, first 2 shown]
	s_waitcnt vmcnt(14)
	v_dual_max_f32 v10, v25, v25 :: v_dual_max_f32 v9, v26, v26
	s_delay_alu instid0(VALU_DEP_1) | instskip(SKIP_2) | instid1(VALU_DEP_2)
	v_max_f32_e32 v2, v10, v9
	v_xor_b32_e32 v9, 16, v1
	s_waitcnt vmcnt(12)
	v_max3_f32 v2, v2, v27, v28
	s_delay_alu instid0(VALU_DEP_2) | instskip(SKIP_4) | instid1(VALU_DEP_3)
	v_cmp_gt_i32_e32 vcc_lo, 32, v9
	v_cndmask_b32_e32 v9, v1, v9, vcc_lo
	v_cmp_gt_i32_e32 vcc_lo, 32, v12
	s_waitcnt vmcnt(10)
	v_max3_f32 v2, v2, v17, v18
	v_dual_cndmask_b32 v12, v1, v12 :: v_dual_lshlrev_b32 v9, 2, v9
	v_cmp_gt_i32_e32 vcc_lo, 32, v13
	s_waitcnt vmcnt(8)
	s_delay_alu instid0(VALU_DEP_3) | instskip(NEXT) | instid1(VALU_DEP_3)
	v_max3_f32 v2, v2, v19, v20
	v_dual_cndmask_b32 v13, v1, v13 :: v_dual_lshlrev_b32 v12, 2, v12
	ds_bpermute_b32 v10, v9, v2
	v_cmp_gt_i32_e32 vcc_lo, 32, v14
	v_dual_cndmask_b32 v14, v1, v14 :: v_dual_lshlrev_b32 v13, 2, v13
	v_cmp_gt_i32_e32 vcc_lo, 32, v15
	s_delay_alu instid0(VALU_DEP_2) | instskip(SKIP_1) | instid1(VALU_DEP_1)
	v_dual_cndmask_b32 v1, v1, v15 :: v_dual_lshlrev_b32 v14, 2, v14
	s_waitcnt lgkmcnt(0)
	v_dual_max_f32 v10, v10, v10 :: v_dual_lshlrev_b32 v15, 2, v1
	s_delay_alu instid0(VALU_DEP_1) | instskip(SKIP_3) | instid1(VALU_DEP_1)
	v_max_f32_e32 v2, v2, v10
	ds_bpermute_b32 v10, v12, v2
	s_waitcnt lgkmcnt(0)
	v_max_f32_e32 v10, v10, v10
	v_max_f32_e32 v2, v2, v10
	ds_bpermute_b32 v10, v13, v2
	s_waitcnt lgkmcnt(0)
	v_max_f32_e32 v10, v10, v10
	s_delay_alu instid0(VALU_DEP_1) | instskip(SKIP_3) | instid1(VALU_DEP_1)
	v_max_f32_e32 v2, v2, v10
	ds_bpermute_b32 v10, v14, v2
	s_waitcnt lgkmcnt(0)
	v_max_f32_e32 v10, v10, v10
	v_max_f32_e32 v1, v2, v10
	ds_bpermute_b32 v2, v15, v1
	s_waitcnt lgkmcnt(0)
	v_max_f32_e32 v2, v2, v2
	s_delay_alu instid0(VALU_DEP_1) | instskip(SKIP_1) | instid1(VALU_DEP_2)
	v_max_f32_e32 v1, v1, v2
	v_sub_nc_u32_e32 v2, s40, v0
	v_sub_f32_e32 v23, v28, v1
	v_sub_f32_e32 v16, v26, v1
	s_delay_alu instid0(VALU_DEP_2)
	v_mul_f32_e32 v26, 0x3fb8aa3b, v23
	v_sub_f32_e32 v10, v25, v1
	v_sub_f32_e32 v22, v27, v1
	;; [unrolled: 1-line block ×4, first 2 shown]
	v_dual_sub_f32 v19, v19, v1 :: v_dual_mul_f32 v24, 0x3fb8aa3b, v16
	s_delay_alu instid0(VALU_DEP_4) | instskip(NEXT) | instid1(VALU_DEP_3)
	v_mul_f32_e32 v25, 0x3fb8aa3b, v22
	v_dual_sub_f32 v1, v20, v1 :: v_dual_mul_f32 v28, 0x3fb8aa3b, v18
	v_mul_f32_e32 v20, 0x3fb8aa3b, v10
	s_delay_alu instid0(VALU_DEP_4)
	v_fma_f32 v33, 0x3fb8aa3b, v16, -v24
	v_rndne_f32_e32 v34, v24
	v_fma_f32 v35, 0x3fb8aa3b, v22, -v25
	v_dual_mul_f32 v29, 0x3fb8aa3b, v19 :: v_dual_mul_f32 v30, 0x3fb8aa3b, v1
	v_fma_f32 v31, 0x3fb8aa3b, v10, -v20
	v_rndne_f32_e32 v32, v20
	v_mul_f32_e32 v27, 0x3fb8aa3b, v17
	v_dual_fmac_f32 v33, 0x32a5705f, v16 :: v_dual_sub_f32 v24, v24, v34
	s_delay_alu instid0(VALU_DEP_3) | instskip(SKIP_2) | instid1(VALU_DEP_4)
	v_dual_fmac_f32 v31, 0x32a5705f, v10 :: v_dual_sub_f32 v20, v20, v32
	v_cvt_i32_f32_e32 v32, v32
	v_fma_f32 v37, 0x3fb8aa3b, v23, -v26
	v_dual_add_f32 v24, v24, v33 :: v_dual_fmac_f32 v35, 0x32a5705f, v22
	s_delay_alu instid0(VALU_DEP_4)
	v_add_f32_e32 v20, v20, v31
	v_fma_f32 v39, 0x3fb8aa3b, v17, -v27
	v_fma_f32 v41, 0x3fb8aa3b, v18, -v28
	v_rndne_f32_e32 v42, v28
	v_fma_f32 v45, 0x3fb8aa3b, v1, -v30
	v_exp_f32_e32 v20, v20
	v_rndne_f32_e32 v46, v30
	v_cmp_ngt_f32_e32 vcc_lo, 0xc2ce8ed0, v10
	v_rndne_f32_e32 v36, v25
	v_fma_f32 v43, 0x3fb8aa3b, v19, -v29
	v_dual_fmac_f32 v37, 0x32a5705f, v23 :: v_dual_sub_f32 v28, v28, v42
	v_dual_fmac_f32 v39, 0x32a5705f, v17 :: v_dual_sub_f32 v30, v30, v46
	v_exp_f32_e32 v24, v24
	s_delay_alu instid0(TRANS32_DEP_2)
	v_ldexp_f32 v20, v20, v32
	v_fmac_f32_e32 v45, 0x32a5705f, v1
	v_rndne_f32_e32 v38, v26
	v_cvt_i32_f32_e32 v34, v34
	v_sub_f32_e32 v25, v25, v36
	v_dual_cndmask_b32 v20, 0, v20 :: v_dual_fmac_f32 v41, 0x32a5705f, v18
	v_dual_add_f32 v30, v30, v45 :: v_dual_fmac_f32 v43, 0x32a5705f, v19
	v_rndne_f32_e32 v40, v27
	v_sub_f32_e32 v26, v26, v38
	s_delay_alu instid0(VALU_DEP_4)
	v_add_f32_e32 v28, v28, v41
	v_ldexp_f32 v24, v24, v34
	v_cmp_ngt_f32_e32 vcc_lo, 0xc2ce8ed0, v16
	v_add_f32_e32 v25, v25, v35
	v_dual_sub_f32 v27, v27, v40 :: v_dual_add_f32 v26, v26, v37
	v_exp_f32_e32 v28, v28
	v_cvt_i32_f32_e32 v31, v42
	v_cndmask_b32_e32 v24, 0, v24, vcc_lo
	v_exp_f32_e32 v25, v25
	v_cvt_i32_f32_e32 v36, v36
	v_exp_f32_e32 v26, v26
	v_cvt_i32_f32_e32 v38, v38
	v_cmp_ngt_f32_e32 vcc_lo, 0xc2ce8ed0, v22
	v_rndne_f32_e32 v44, v29
	v_cvt_i32_f32_e32 v40, v40
	v_ldexp_f32 v28, v28, v31
	v_add_f32_e32 v27, v27, v39
	v_exp_f32_e32 v30, v30
	v_ldexp_f32 v25, v25, v36
	v_cvt_i32_f32_e32 v33, v44
	v_ldexp_f32 v26, v26, v38
	v_exp_f32_e32 v27, v27
	s_delay_alu instid0(VALU_DEP_3) | instskip(SKIP_1) | instid1(VALU_DEP_3)
	v_cndmask_b32_e32 v25, 0, v25, vcc_lo
	v_cmp_ngt_f32_e32 vcc_lo, 0xc2ce8ed0, v23
	v_dual_sub_f32 v29, v29, v44 :: v_dual_cndmask_b32 v26, 0, v26
	v_cmp_ngt_f32_e32 vcc_lo, 0xc2ce8ed0, v17
	s_waitcnt_depctr 0xfff
	v_ldexp_f32 v27, v27, v40
	s_delay_alu instid0(VALU_DEP_1)
	v_cndmask_b32_e32 v27, 0, v27, vcc_lo
	v_cmp_ngt_f32_e32 vcc_lo, 0xc2ce8ed0, v18
	v_cndmask_b32_e32 v28, 0, v28, vcc_lo
	v_cmp_nlt_f32_e32 vcc_lo, 0x42b17218, v10
	v_dual_add_f32 v29, v29, v43 :: v_dual_cndmask_b32 v10, 0x7f800000, v20
	v_cmp_nlt_f32_e32 vcc_lo, 0x42b17218, v16
	s_delay_alu instid0(VALU_DEP_2)
	v_exp_f32_e32 v29, v29
	v_cndmask_b32_e32 v16, 0x7f800000, v24, vcc_lo
	v_cmp_nlt_f32_e32 vcc_lo, 0x42b17218, v22
	v_cndmask_b32_e32 v20, 0x7f800000, v25, vcc_lo
	v_cmp_nlt_f32_e32 vcc_lo, 0x42b17218, v23
	s_waitcnt_depctr 0xfff
	v_ldexp_f32 v29, v29, v33
	v_cndmask_b32_e32 v22, 0x7f800000, v26, vcc_lo
	v_cmp_nlt_f32_e32 vcc_lo, 0x42b17218, v17
	v_cndmask_b32_e32 v17, 0x7f800000, v27, vcc_lo
	v_cmp_lt_i32_e32 vcc_lo, 0, v2
	v_cndmask_b32_e32 v10, 0, v10, vcc_lo
	v_cmp_lt_i32_e32 vcc_lo, 32, v2
	s_waitcnt vmcnt(7)
	s_delay_alu instid0(VALU_DEP_2) | instskip(SKIP_3) | instid1(VALU_DEP_2)
	v_mul_f32_e32 v10, v21, v10
	v_cndmask_b32_e32 v16, 0, v16, vcc_lo
	v_cmp_lt_i32_e32 vcc_lo, 64, v2
	s_waitcnt vmcnt(6)
	v_mul_f32_e32 v3, v3, v16
	v_cndmask_b32_e32 v20, 0, v20, vcc_lo
	v_cmp_lt_i32_e32 vcc_lo, 0x60, v2
	v_cndmask_b32_e32 v22, 0, v22, vcc_lo
	v_cmp_lt_i32_e32 vcc_lo, 0x80, v2
	v_cndmask_b32_e32 v17, 0, v17, vcc_lo
	v_cmp_nlt_f32_e32 vcc_lo, 0x42b17218, v18
	s_waitcnt vmcnt(3)
	s_delay_alu instid0(VALU_DEP_2) | instskip(SKIP_2) | instid1(VALU_DEP_2)
	v_mul_f32_e32 v6, v6, v17
	v_dual_mul_f32 v4, v4, v20 :: v_dual_add_f32 v17, v10, v3
	v_cvt_i32_f32_e32 v20, v46
	v_add_f32_e32 v17, v17, v4
	v_dual_mul_f32 v5, v5, v22 :: v_dual_cndmask_b32 v16, 0x7f800000, v28
	v_cmp_ngt_f32_e32 vcc_lo, 0xc2ce8ed0, v19
	s_delay_alu instid0(VALU_DEP_2)
	v_add_f32_e32 v17, v17, v5
	v_cndmask_b32_e32 v18, 0, v29, vcc_lo
	v_cmp_lt_i32_e32 vcc_lo, 0xa0, v2
	v_cndmask_b32_e32 v16, 0, v16, vcc_lo
	v_cmp_nlt_f32_e32 vcc_lo, 0x42b17218, v19
	s_waitcnt vmcnt(2)
	s_delay_alu instid0(VALU_DEP_2) | instskip(SKIP_3) | instid1(VALU_DEP_4)
	v_dual_mul_f32 v7, v7, v16 :: v_dual_cndmask_b32 v18, 0x7f800000, v18
	v_cmp_lt_i32_e32 vcc_lo, 0xc0, v2
	v_ldexp_f32 v16, v30, v20
	v_add_f32_e32 v17, v17, v6
	v_cndmask_b32_e32 v18, 0, v18, vcc_lo
	v_cmp_ngt_f32_e32 vcc_lo, 0xc2ce8ed0, v1
	s_delay_alu instid0(VALU_DEP_4) | instskip(SKIP_2) | instid1(VALU_DEP_2)
	v_cndmask_b32_e32 v16, 0, v16, vcc_lo
	v_cmp_nlt_f32_e32 vcc_lo, 0x42b17218, v1
	s_waitcnt vmcnt(1)
	v_dual_mul_f32 v8, v8, v18 :: v_dual_cndmask_b32 v1, 0x7f800000, v16
	v_add_f32_e32 v16, v17, v7
	v_cmp_lt_i32_e32 vcc_lo, 0xe0, v2
	s_delay_alu instid0(VALU_DEP_3) | instskip(NEXT) | instid1(VALU_DEP_3)
	v_cndmask_b32_e32 v17, 0, v1, vcc_lo
	v_add_f32_e32 v1, v16, v8
	s_waitcnt vmcnt(0)
	s_delay_alu instid0(VALU_DEP_1)
	v_fmac_f32_e32 v1, v11, v17
	v_mul_f32_e32 v11, v11, v17
	ds_bpermute_b32 v2, v9, v1
	v_lshlrev_b32_e32 v9, 2, v0
	ds_store_2addr_b32 v9, v10, v3 offset1:32
	ds_store_2addr_b32 v9, v4, v5 offset0:64 offset1:96
	ds_store_2addr_b32 v9, v6, v7 offset0:128 offset1:160
	;; [unrolled: 1-line block ×3, first 2 shown]
	s_waitcnt lgkmcnt(4)
	v_add_f32_e32 v1, v1, v2
	ds_bpermute_b32 v2, v12, v1
	s_waitcnt lgkmcnt(0)
	v_add_f32_e32 v1, v1, v2
	ds_bpermute_b32 v2, v13, v1
	;; [unrolled: 3-line block ×4, first 2 shown]
	v_cmpx_eq_u32_e32 0, v0
	s_cbranch_execz .LBB81_8
; %bb.7:
	s_waitcnt lgkmcnt(0)
	v_dual_add_f32 v1, v1, v2 :: v_dual_mov_b32 v2, 0
	ds_store_b32 v2, v1 offset:1024
.LBB81_8:
	s_or_b32 exec_lo, exec_lo, s7
	v_mov_b32_e32 v1, s6
.LBB81_9:
	s_or_b32 exec_lo, exec_lo, s24
	s_lshl_b32 s6, s18, 6
	s_mov_b32 s7, 0
	s_waitcnt lgkmcnt(0)
	v_dual_mov_b32 v2, 0 :: v_dual_lshlrev_b32 v1, 6, v1
	s_lshl_b64 s[6:7], s[6:7], 1
	v_lshlrev_b32_e32 v0, 1, v0
	s_add_u32 s34, s4, s6
	s_addc_u32 s35, s5, s7
	s_lshl_b32 s41, s40, 6
	v_lshlrev_b64 v[3:4], 1, v[1:2]
	s_sub_i32 s42, s41, 64
	s_cmpk_lt_i32 s22, 0x100
	v_dual_mov_b32 v30, 0 :: v_dual_mov_b32 v33, 0
	s_cselect_b32 s4, s42, 0
	s_delay_alu instid0(VALU_DEP_2)
	v_add_co_u32 v1, vcc_lo, s34, v3
	s_ashr_i32 s5, s4, 31
	v_add_co_ci_u32_e32 v3, vcc_lo, s35, v4, vcc_lo
	s_lshl_b64 s[4:5], s[4:5], 1
	s_cmpk_lt_i32 s22, 0x200
	v_add_co_u32 v1, vcc_lo, v1, v0
	s_cselect_b32 s6, s42, 64
	v_add_co_ci_u32_e32 v3, vcc_lo, 0, v3, vcc_lo
	s_ashr_i32 s7, s6, 31
	s_delay_alu instid0(VALU_DEP_2)
	v_add_co_u32 v4, vcc_lo, v1, s4
	s_lshl_b64 s[6:7], s[6:7], 1
	s_cmpk_lt_i32 s22, 0x300
	v_add_co_ci_u32_e32 v5, vcc_lo, s5, v3, vcc_lo
	s_cselect_b32 s8, s42, 0x80
	v_add_co_u32 v8, vcc_lo, v1, s6
	s_ashr_i32 s9, s8, 31
	v_add_co_ci_u32_e32 v9, vcc_lo, s7, v3, vcc_lo
	s_lshl_b64 s[8:9], s[8:9], 1
	s_cmpk_lt_i32 s22, 0x400
	v_add_co_u32 v10, vcc_lo, v1, s8
	s_cselect_b32 s10, s42, 0xc0
	v_add_co_ci_u32_e32 v11, vcc_lo, s9, v3, vcc_lo
	s_ashr_i32 s11, s10, 31
	v_dual_mov_b32 v32, 0 :: v_dual_mov_b32 v35, 0
	s_lshl_b64 s[10:11], s[10:11], 1
	s_cmpk_lt_i32 s22, 0x500
	v_add_co_u32 v12, vcc_lo, v1, s10
	s_cselect_b32 s18, s42, 0x100
	v_add_co_ci_u32_e32 v13, vcc_lo, s11, v3, vcc_lo
	s_ashr_i32 s19, s18, 31
	v_mov_b32_e32 v34, 0
	s_lshl_b64 s[18:19], s[18:19], 1
	s_cmpk_lt_i32 s22, 0x600
	v_add_co_u32 v14, vcc_lo, v1, s18
	s_cselect_b32 s20, s42, 0x140
	v_add_co_ci_u32_e32 v15, vcc_lo, s19, v3, vcc_lo
	s_ashr_i32 s21, s20, 31
	v_mov_b32_e32 v29, 0
	;; [unrolled: 7-line block ×3, first 2 shown]
	s_lshl_b64 s[24:25], s[24:25], 1
	s_cmpk_lt_i32 s22, 0x800
	v_add_co_u32 v18, vcc_lo, v1, s24
	s_cselect_b32 s26, s42, 0x1c0
	v_add_co_ci_u32_e32 v19, vcc_lo, s25, v3, vcc_lo
	s_ashr_i32 s27, s26, 31
	s_delay_alu instid0(SALU_CYCLE_1)
	s_lshl_b64 s[26:27], s[26:27], 1
	s_cmpk_lt_i32 s22, 0x900
	v_add_co_u32 v20, vcc_lo, v1, s26
	s_cselect_b32 s28, s42, 0x200
	v_add_co_ci_u32_e32 v21, vcc_lo, s27, v3, vcc_lo
	s_ashr_i32 s29, s28, 31
	s_clause 0x7
	global_load_u16 v7, v[4:5], off
	global_load_u16 v8, v[8:9], off
	;; [unrolled: 1-line block ×8, first 2 shown]
	s_lshl_b64 s[28:29], s[28:29], 1
	s_cmpk_lt_i32 s22, 0xa00
	v_add_co_u32 v12, vcc_lo, v1, s28
	s_cselect_b32 s30, s42, 0x240
	v_add_co_ci_u32_e32 v13, vcc_lo, s29, v3, vcc_lo
	s_ashr_i32 s31, s30, 31
	s_delay_alu instid0(SALU_CYCLE_1)
	s_lshl_b64 s[30:31], s[30:31], 1
	s_cmpk_lt_i32 s22, 0xb00
	v_add_co_u32 v15, vcc_lo, v1, s30
	s_cselect_b32 s34, s42, 0x280
	v_add_co_ci_u32_e32 v16, vcc_lo, s31, v3, vcc_lo
	s_ashr_i32 s35, s34, 31
	s_delay_alu instid0(SALU_CYCLE_1)
	;; [unrolled: 7-line block ×7, first 2 shown]
	s_lshl_b64 s[4:5], s[6:7], 1
	s_cmpk_gt_i32 s23, 0x1000
	v_add_co_u32 v27, vcc_lo, v1, s4
	v_add_co_ci_u32_e32 v28, vcc_lo, s5, v3, vcc_lo
	s_clause 0x7
	global_load_u16 v14, v[12:13], off
	global_load_u16 v15, v[15:16], off
	;; [unrolled: 1-line block ×8, first 2 shown]
	v_dual_mov_b32 v20, 0 :: v_dual_mov_b32 v23, 0
	v_dual_mov_b32 v21, 0 :: v_dual_mov_b32 v22, 0
	v_dual_mov_b32 v25, 0 :: v_dual_mov_b32 v24, 0
	v_dual_mov_b32 v27, 0 :: v_dual_mov_b32 v26, 0
	v_mov_b32_e32 v28, 0
	s_cselect_b32 s8, -1, 0
	s_cmpk_lt_i32 s23, 0x1001
	s_waitcnt vmcnt(0)
	s_barrier
	buffer_gl0_inv
	s_cbranch_scc1 .LBB81_11
; %bb.10:
	s_cmpk_lt_i32 s22, 0x1100
	s_cselect_b32 s4, s42, 0x400
	s_delay_alu instid0(SALU_CYCLE_1) | instskip(NEXT) | instid1(SALU_CYCLE_1)
	s_ashr_i32 s5, s4, 31
	s_lshl_b64 s[4:5], s[4:5], 1
	s_cmpk_lt_i32 s22, 0x1200
	v_add_co_u32 v20, vcc_lo, v1, s4
	s_cselect_b32 s6, s42, 0x440
	v_add_co_ci_u32_e32 v21, vcc_lo, s5, v3, vcc_lo
	s_ashr_i32 s7, s6, 31
	s_delay_alu instid0(SALU_CYCLE_1)
	s_lshl_b64 s[6:7], s[6:7], 1
	s_cmpk_lt_i32 s22, 0x1300
	v_add_co_u32 v22, vcc_lo, v1, s6
	s_cselect_b32 s10, s42, 0x480
	v_add_co_ci_u32_e32 v23, vcc_lo, s7, v3, vcc_lo
	s_ashr_i32 s11, s10, 31
	s_delay_alu instid0(SALU_CYCLE_1)
	;; [unrolled: 7-line block ×7, first 2 shown]
	s_lshl_b64 s[28:29], s[28:29], 1
	s_cmpk_lt_i32 s22, 0x1900
	v_add_co_u32 v34, vcc_lo, v1, s28
	s_cselect_b32 s30, s42, 0x600
	v_add_co_ci_u32_e32 v35, vcc_lo, s29, v3, vcc_lo
	s_ashr_i32 s31, s30, 31
	s_clause 0x7
	global_load_u16 v36, v[20:21], off
	global_load_u16 v37, v[22:23], off
	;; [unrolled: 1-line block ×8, first 2 shown]
	s_lshl_b64 s[30:31], s[30:31], 1
	s_cmpk_lt_i32 s22, 0x1a00
	v_add_co_u32 v20, vcc_lo, v1, s30
	s_cselect_b32 s34, s42, 0x640
	v_add_co_ci_u32_e32 v21, vcc_lo, s31, v3, vcc_lo
	s_ashr_i32 s35, s34, 31
	s_delay_alu instid0(SALU_CYCLE_1)
	s_lshl_b64 s[34:35], s[34:35], 1
	s_cmpk_lt_i32 s22, 0x1b00
	v_add_co_u32 v22, vcc_lo, v1, s34
	s_cselect_b32 s36, s42, 0x680
	v_add_co_ci_u32_e32 v23, vcc_lo, s35, v3, vcc_lo
	s_ashr_i32 s37, s36, 31
	s_delay_alu instid0(SALU_CYCLE_1)
	;; [unrolled: 7-line block ×6, first 2 shown]
	s_lshl_b64 s[4:5], s[20:21], 1
	s_cmpk_lt_i32 s22, 0x2000
	v_add_co_u32 v32, vcc_lo, v1, s4
	s_cselect_b32 s6, s42, 0x7c0
	v_add_co_ci_u32_e32 v33, vcc_lo, s5, v3, vcc_lo
	s_ashr_i32 s7, s6, 31
	s_delay_alu instid0(SALU_CYCLE_1) | instskip(NEXT) | instid1(SALU_CYCLE_1)
	s_lshl_b64 s[4:5], s[6:7], 1
	v_add_co_u32 v34, vcc_lo, v1, s4
	v_add_co_ci_u32_e32 v35, vcc_lo, s5, v3, vcc_lo
	s_clause 0x7
	global_load_u16 v20, v[20:21], off
	global_load_u16 v21, v[22:23], off
	;; [unrolled: 1-line block ×8, first 2 shown]
	s_waitcnt vmcnt(15)
	v_cvt_f32_f16_e32 v35, v36
	s_waitcnt vmcnt(14)
	v_cvt_f32_f16_e32 v34, v37
	;; [unrolled: 2-line block ×16, first 2 shown]
.LBB81_11:
	ds_load_b128 v[36:39], v2
	ds_load_b128 v[40:43], v2 offset:16
	s_load_b64 s[0:1], s[0:1], 0x0
	s_and_b32 vcc_lo, exec_lo, s8
	s_waitcnt lgkmcnt(0)
	v_fma_mix_f32 v7, v36, v7, 0 op_sel_hi:[0,1,0]
	s_delay_alu instid0(VALU_DEP_1) | instskip(NEXT) | instid1(VALU_DEP_1)
	v_fma_mix_f32 v7, v37, v8, v7 op_sel_hi:[0,1,0]
	v_fma_mix_f32 v7, v38, v9, v7 op_sel_hi:[0,1,0]
	s_delay_alu instid0(VALU_DEP_1) | instskip(SKIP_4) | instid1(VALU_DEP_1)
	v_fma_mix_f32 v7, v39, v10, v7 op_sel_hi:[0,1,0]
	ds_load_b128 v[36:39], v2 offset:48
	v_fma_mix_f32 v11, v40, v11, v7 op_sel_hi:[0,1,0]
	ds_load_b128 v[7:10], v2 offset:32
	v_fma_mix_f32 v4, v41, v4, v11 op_sel_hi:[0,1,0]
	v_fma_mix_f32 v4, v42, v5, v4 op_sel_hi:[0,1,0]
	s_delay_alu instid0(VALU_DEP_1) | instskip(SKIP_1) | instid1(VALU_DEP_1)
	v_fma_mix_f32 v4, v43, v6, v4 op_sel_hi:[0,1,0]
	s_waitcnt lgkmcnt(0)
	v_fma_mix_f32 v4, v7, v14, v4 op_sel_hi:[0,1,0]
	s_delay_alu instid0(VALU_DEP_1) | instskip(NEXT) | instid1(VALU_DEP_1)
	v_fma_mix_f32 v4, v8, v15, v4 op_sel_hi:[0,1,0]
	v_fma_mix_f32 v4, v9, v16, v4 op_sel_hi:[0,1,0]
	s_delay_alu instid0(VALU_DEP_1) | instskip(NEXT) | instid1(VALU_DEP_1)
	v_fma_mix_f32 v4, v10, v17, v4 op_sel_hi:[0,1,0]
	;; [unrolled: 3-line block ×3, first 2 shown]
	v_fma_mix_f32 v4, v38, v13, v4 op_sel_hi:[0,1,0]
	s_delay_alu instid0(VALU_DEP_1)
	v_fma_mix_f32 v4, v39, v19, v4 op_sel_hi:[0,1,0]
	s_cbranch_vccz .LBB81_13
; %bb.12:
	ds_load_b128 v[5:8], v2 offset:64
	ds_load_b128 v[9:12], v2 offset:80
	s_waitcnt lgkmcnt(1)
	v_fmac_f32_e32 v4, v5, v35
	s_delay_alu instid0(VALU_DEP_1) | instskip(NEXT) | instid1(VALU_DEP_1)
	v_fmac_f32_e32 v4, v6, v34
	v_fmac_f32_e32 v4, v7, v33
	s_delay_alu instid0(VALU_DEP_1) | instskip(SKIP_3) | instid1(VALU_DEP_1)
	v_fmac_f32_e32 v4, v8, v32
	ds_load_b128 v[5:8], v2 offset:96
	s_waitcnt lgkmcnt(1)
	v_fmac_f32_e32 v4, v9, v31
	v_fmac_f32_e32 v4, v10, v30
	s_delay_alu instid0(VALU_DEP_1) | instskip(NEXT) | instid1(VALU_DEP_1)
	v_fmac_f32_e32 v4, v11, v29
	v_fmac_f32_e32 v4, v12, v28
	ds_load_b128 v[9:12], v2 offset:112
	s_waitcnt lgkmcnt(1)
	v_fmac_f32_e32 v4, v5, v27
	s_delay_alu instid0(VALU_DEP_1) | instskip(NEXT) | instid1(VALU_DEP_1)
	v_fmac_f32_e32 v4, v6, v26
	v_fmac_f32_e32 v4, v7, v25
	s_delay_alu instid0(VALU_DEP_1) | instskip(SKIP_1) | instid1(VALU_DEP_1)
	v_fmac_f32_e32 v4, v8, v24
	s_waitcnt lgkmcnt(0)
	v_fmac_f32_e32 v4, v9, v23
	s_delay_alu instid0(VALU_DEP_1) | instskip(NEXT) | instid1(VALU_DEP_1)
	v_fmac_f32_e32 v4, v10, v22
	v_fmac_f32_e32 v4, v11, v21
	s_delay_alu instid0(VALU_DEP_1)
	v_fmac_f32_e32 v4, v12, v20
.LBB81_13:
	s_movk_i32 s43, 0xfc0
	s_movk_i32 s44, 0x80
	s_mov_b32 s45, 32
	s_branch .LBB81_15
.LBB81_14:                              ;   in Loop: Header=BB81_15 Depth=1
	s_addk_i32 s43, 0x800
	s_addk_i32 s44, 0x80
	s_add_i32 s45, s45, 32
	s_cmpk_eq_i32 s43, 0x47c0
	s_cbranch_scc1 .LBB81_17
.LBB81_15:                              ; =>This Inner Loop Header: Depth=1
	s_cmp_le_i32 s40, s45
	s_cbranch_scc1 .LBB81_14
; %bb.16:                               ;   in Loop: Header=BB81_15 Depth=1
	s_add_i32 s4, s43, 0xfffff840
	v_mov_b32_e32 v44, s44
	s_cmp_lt_i32 s4, s41
	s_cselect_b32 s4, s4, s42
	s_add_i32 s6, s43, 0xfffff880
	s_ashr_i32 s5, s4, 31
	s_delay_alu instid0(SALU_CYCLE_1)
	s_lshl_b64 s[4:5], s[4:5], 1
	s_cmp_lt_i32 s6, s41
	v_add_co_u32 v5, vcc_lo, v1, s4
	s_cselect_b32 s6, s6, s42
	s_add_i32 s10, s43, 0xfffff8c0
	s_ashr_i32 s7, s6, 31
	v_add_co_ci_u32_e32 v6, vcc_lo, s5, v3, vcc_lo
	s_lshl_b64 s[8:9], s[6:7], 1
	s_cmp_lt_i32 s10, s41
	v_add_co_u32 v7, vcc_lo, v1, s8
	s_cselect_b32 s6, s10, s42
	s_add_i32 s10, s43, 0xfffff900
	s_ashr_i32 s7, s6, 31
	v_add_co_ci_u32_e32 v8, vcc_lo, s9, v3, vcc_lo
	;; [unrolled: 7-line block ×8, first 2 shown]
	s_lshl_b64 s[24:25], s[20:21], 1
	s_cmp_lt_i32 s28, s41
	s_clause 0x7
	global_load_u16 v2, v[5:6], off
	global_load_u16 v21, v[7:8], off
	;; [unrolled: 1-line block ×8, first 2 shown]
	s_cselect_b32 s20, s28, s42
	s_add_i32 s28, s43, 0xfffffac0
	s_ashr_i32 s21, s20, 31
	v_add_co_u32 v5, vcc_lo, v1, s24
	s_lshl_b64 s[20:21], s[20:21], 1
	s_cmp_lt_i32 s28, s41
	v_add_co_ci_u32_e32 v6, vcc_lo, s25, v3, vcc_lo
	s_cselect_b32 s28, s28, s42
	s_add_i32 s36, s43, 0xfffffb00
	s_ashr_i32 s29, s28, 31
	v_add_co_u32 v7, vcc_lo, v1, s20
	s_lshl_b64 s[30:31], s[28:29], 1
	s_cmp_lt_i32 s36, s41
	v_add_co_ci_u32_e32 v8, vcc_lo, s21, v3, vcc_lo
	;; [unrolled: 7-line block ×8, first 2 shown]
	s_cselect_b32 s10, s10, s42
	s_add_i32 s18, s43, 0xfffffcc0
	s_ashr_i32 s11, s10, 31
	s_clause 0x7
	global_load_u16 v28, v[5:6], off
	global_load_u16 v29, v[7:8], off
	global_load_u16 v30, v[9:10], off
	global_load_u16 v31, v[11:12], off
	global_load_u16 v32, v[13:14], off
	global_load_u16 v33, v[15:16], off
	global_load_u16 v17, v[17:18], off
	global_load_u16 v18, v[19:20], off
	s_lshl_b64 s[10:11], s[10:11], 1
	s_cmp_lt_i32 s18, s41
	v_add_co_u32 v5, vcc_lo, v1, s4
	s_cselect_b32 s18, s18, s42
	s_add_i32 s22, s43, 0xfffffd00
	s_ashr_i32 s19, s18, 31
	v_add_co_ci_u32_e32 v6, vcc_lo, s5, v3, vcc_lo
	s_lshl_b64 s[18:19], s[18:19], 1
	s_cmp_lt_i32 s22, s41
	v_add_co_u32 v7, vcc_lo, v1, s10
	s_cselect_b32 s20, s22, s42
	s_add_i32 s22, s43, 0xfffffd40
	s_ashr_i32 s21, s20, 31
	v_add_co_ci_u32_e32 v8, vcc_lo, s11, v3, vcc_lo
	;; [unrolled: 7-line block ×5, first 2 shown]
	s_lshl_b64 s[6:7], s[6:7], 1
	s_cmp_lt_i32 s24, s41
	s_clause 0x4
	global_load_u16 v19, v[5:6], off
	global_load_u16 v20, v[7:8], off
	;; [unrolled: 1-line block ×5, first 2 shown]
	s_cselect_b32 s4, s24, s42
	s_add_i32 s10, s43, 0xfffffe40
	s_ashr_i32 s5, s4, 31
	v_add_co_u32 v5, vcc_lo, v1, s8
	s_lshl_b64 s[4:5], s[4:5], 1
	s_cmp_lt_i32 s10, s41
	v_add_co_ci_u32_e32 v6, vcc_lo, s9, v3, vcc_lo
	s_cselect_b32 s10, s10, s42
	s_add_i32 s18, s43, 0xfffffe80
	s_ashr_i32 s11, s10, 31
	v_add_co_u32 v7, vcc_lo, v1, s6
	s_lshl_b64 s[10:11], s[10:11], 1
	s_cmp_lt_i32 s18, s41
	v_add_co_ci_u32_e32 v8, vcc_lo, s7, v3, vcc_lo
	s_cselect_b32 s18, s18, s42
	s_add_i32 s20, s43, 0xfffffec0
	s_ashr_i32 s19, s18, 31
	v_add_co_u32 v9, vcc_lo, v1, s4
	s_lshl_b64 s[18:19], s[18:19], 1
	s_cmp_lt_i32 s20, s41
	global_load_u16 v37, v[5:6], off
	s_cselect_b32 s8, s20, s42
	s_add_i32 s20, s43, 0xffffff00
	s_ashr_i32 s9, s8, 31
	v_add_co_ci_u32_e32 v10, vcc_lo, s5, v3, vcc_lo
	s_lshl_b64 s[6:7], s[8:9], 1
	s_cmp_lt_i32 s20, s41
	v_add_co_u32 v11, vcc_lo, v1, s10
	s_cselect_b32 s4, s20, s42
	s_clause 0x1
	global_load_u16 v38, v[7:8], off
	global_load_u16 v39, v[9:10], off
	v_add_co_ci_u32_e32 v12, vcc_lo, s11, v3, vcc_lo
	s_ashr_i32 s5, s4, 31
	s_add_i32 s8, s43, 0xffffff40
	v_add_co_u32 v13, vcc_lo, v1, s18
	s_lshl_b64 s[4:5], s[4:5], 1
	s_cmp_lt_i32 s8, s41
	v_add_co_ci_u32_e32 v14, vcc_lo, s19, v3, vcc_lo
	v_add_co_u32 v15, vcc_lo, v1, s6
	s_cselect_b32 s8, s8, s42
	v_add_co_ci_u32_e32 v16, vcc_lo, s7, v3, vcc_lo
	s_ashr_i32 s9, s8, 31
	s_add_i32 s10, s43, 0xffffff80
	s_lshl_b64 s[6:7], s[8:9], 1
	s_clause 0x2
	global_load_u16 v40, v[11:12], off
	global_load_u16 v13, v[13:14], off
	;; [unrolled: 1-line block ×3, first 2 shown]
	s_cmp_lt_i32 s10, s41
	v_add_co_u32 v5, vcc_lo, v1, s4
	s_cselect_b32 s8, s10, s42
	s_sub_i32 s10, s43, 64
	s_ashr_i32 s9, s8, 31
	v_add_co_ci_u32_e32 v6, vcc_lo, s5, v3, vcc_lo
	s_lshl_b64 s[8:9], s[8:9], 1
	s_cmp_lt_i32 s10, s41
	v_add_co_u32 v7, vcc_lo, v1, s6
	s_cselect_b32 s4, s10, s42
	v_add_co_ci_u32_e32 v8, vcc_lo, s7, v3, vcc_lo
	s_ashr_i32 s5, s4, 31
	v_add_co_u32 v9, vcc_lo, v1, s8
	global_load_u16 v15, v[5:6], off
	s_lshl_b64 s[4:5], s[4:5], 1
	v_add_co_ci_u32_e32 v10, vcc_lo, s9, v3, vcc_lo
	s_cmp_lt_i32 s43, s41
	s_clause 0x1
	global_load_u16 v16, v[7:8], off
	global_load_u16 v41, v[9:10], off
	s_cselect_b32 s6, s43, s42
	v_add_co_u32 v5, vcc_lo, v1, s4
	s_ashr_i32 s7, s6, 31
	v_add_co_ci_u32_e32 v6, vcc_lo, s5, v3, vcc_lo
	s_lshl_b64 s[4:5], s[6:7], 1
	s_delay_alu instid0(SALU_CYCLE_1)
	v_add_co_u32 v7, vcc_lo, v1, s4
	v_add_co_ci_u32_e32 v8, vcc_lo, s5, v3, vcc_lo
	s_clause 0x1
	global_load_u16 v42, v[5:6], off
	global_load_u16 v43, v[7:8], off
	ds_load_b128 v[5:8], v44
	ds_load_b128 v[9:12], v44 offset:16
	s_waitcnt vmcnt(31) lgkmcnt(1)
	v_fma_mix_f32 v2, v5, v2, v4 op_sel_hi:[0,1,0]
	s_waitcnt vmcnt(30)
	s_delay_alu instid0(VALU_DEP_1) | instskip(SKIP_1) | instid1(VALU_DEP_1)
	v_fma_mix_f32 v2, v6, v21, v2 op_sel_hi:[0,1,0]
	s_waitcnt vmcnt(29)
	v_fma_mix_f32 v2, v7, v22, v2 op_sel_hi:[0,1,0]
	ds_load_b128 v[4:7], v44 offset:32
	s_waitcnt vmcnt(28)
	v_fma_mix_f32 v2, v8, v23, v2 op_sel_hi:[0,1,0]
	s_waitcnt vmcnt(27) lgkmcnt(1)
	s_delay_alu instid0(VALU_DEP_1) | instskip(SKIP_1) | instid1(VALU_DEP_1)
	v_fma_mix_f32 v2, v9, v24, v2 op_sel_hi:[0,1,0]
	s_waitcnt vmcnt(26)
	v_fma_mix_f32 v2, v10, v25, v2 op_sel_hi:[0,1,0]
	s_waitcnt vmcnt(25)
	s_delay_alu instid0(VALU_DEP_1) | instskip(SKIP_4) | instid1(VALU_DEP_1)
	v_fma_mix_f32 v2, v11, v26, v2 op_sel_hi:[0,1,0]
	ds_load_b128 v[8:11], v44 offset:48
	s_waitcnt vmcnt(24)
	v_fma_mix_f32 v2, v12, v27, v2 op_sel_hi:[0,1,0]
	s_waitcnt vmcnt(23) lgkmcnt(1)
	v_fma_mix_f32 v2, v4, v28, v2 op_sel_hi:[0,1,0]
	s_waitcnt vmcnt(22)
	s_delay_alu instid0(VALU_DEP_1) | instskip(SKIP_1) | instid1(VALU_DEP_1)
	v_fma_mix_f32 v2, v5, v29, v2 op_sel_hi:[0,1,0]
	s_waitcnt vmcnt(21)
	v_fma_mix_f32 v2, v6, v30, v2 op_sel_hi:[0,1,0]
	s_waitcnt vmcnt(20)
	s_delay_alu instid0(VALU_DEP_1) | instskip(SKIP_4) | instid1(VALU_DEP_1)
	v_fma_mix_f32 v2, v7, v31, v2 op_sel_hi:[0,1,0]
	ds_load_b128 v[4:7], v44 offset:64
	s_waitcnt vmcnt(19) lgkmcnt(1)
	v_fma_mix_f32 v2, v8, v32, v2 op_sel_hi:[0,1,0]
	s_waitcnt vmcnt(18)
	v_fma_mix_f32 v2, v9, v33, v2 op_sel_hi:[0,1,0]
	s_waitcnt vmcnt(17)
	s_delay_alu instid0(VALU_DEP_1) | instskip(SKIP_1) | instid1(VALU_DEP_1)
	v_fma_mix_f32 v2, v10, v17, v2 op_sel_hi:[0,1,0]
	s_waitcnt vmcnt(16)
	v_fma_mix_f32 v2, v11, v18, v2 op_sel_hi:[0,1,0]
	ds_load_b128 v[8:11], v44 offset:80
	s_waitcnt vmcnt(15) lgkmcnt(1)
	v_fma_mix_f32 v2, v4, v19, v2 op_sel_hi:[0,1,0]
	s_waitcnt vmcnt(14)
	s_delay_alu instid0(VALU_DEP_1) | instskip(SKIP_1) | instid1(VALU_DEP_1)
	v_fma_mix_f32 v2, v5, v20, v2 op_sel_hi:[0,1,0]
	s_waitcnt vmcnt(13)
	v_fma_mix_f32 v2, v6, v34, v2 op_sel_hi:[0,1,0]
	s_waitcnt vmcnt(12)
	s_delay_alu instid0(VALU_DEP_1) | instskip(SKIP_4) | instid1(VALU_DEP_1)
	v_fma_mix_f32 v2, v7, v35, v2 op_sel_hi:[0,1,0]
	ds_load_b128 v[4:7], v44 offset:96
	s_waitcnt vmcnt(11) lgkmcnt(1)
	v_fma_mix_f32 v2, v8, v36, v2 op_sel_hi:[0,1,0]
	s_waitcnt vmcnt(10)
	v_fma_mix_f32 v2, v9, v37, v2 op_sel_hi:[0,1,0]
	s_waitcnt vmcnt(9)
	s_delay_alu instid0(VALU_DEP_1) | instskip(SKIP_1) | instid1(VALU_DEP_1)
	v_fma_mix_f32 v2, v10, v38, v2 op_sel_hi:[0,1,0]
	s_waitcnt vmcnt(8)
	v_fma_mix_f32 v2, v11, v39, v2 op_sel_hi:[0,1,0]
	ds_load_b128 v[8:11], v44 offset:112
	s_waitcnt vmcnt(7) lgkmcnt(1)
	v_fma_mix_f32 v2, v4, v40, v2 op_sel_hi:[0,1,0]
	s_waitcnt vmcnt(6)
	s_delay_alu instid0(VALU_DEP_1) | instskip(SKIP_1) | instid1(VALU_DEP_1)
	v_fma_mix_f32 v2, v5, v13, v2 op_sel_hi:[0,1,0]
	s_waitcnt vmcnt(5)
	v_fma_mix_f32 v2, v6, v14, v2 op_sel_hi:[0,1,0]
	s_waitcnt vmcnt(4)
	s_delay_alu instid0(VALU_DEP_1) | instskip(SKIP_1) | instid1(VALU_DEP_1)
	v_fma_mix_f32 v2, v7, v15, v2 op_sel_hi:[0,1,0]
	s_waitcnt vmcnt(3) lgkmcnt(0)
	v_fma_mix_f32 v2, v8, v16, v2 op_sel_hi:[0,1,0]
	s_waitcnt vmcnt(2)
	s_delay_alu instid0(VALU_DEP_1) | instskip(SKIP_1) | instid1(VALU_DEP_1)
	v_fma_mix_f32 v2, v9, v41, v2 op_sel_hi:[0,1,0]
	s_waitcnt vmcnt(1)
	v_fma_mix_f32 v2, v10, v42, v2 op_sel_hi:[0,1,0]
	s_waitcnt vmcnt(0)
	s_delay_alu instid0(VALU_DEP_1)
	v_fma_mix_f32 v4, v11, v43, v2 op_sel_hi:[0,1,0]
	s_branch .LBB81_14
.LBB81_17:
	v_mov_b32_e32 v1, 0
	s_and_b32 vcc_lo, exec_lo, s15
	ds_load_b32 v1, v1 offset:1024
	s_cbranch_vccz .LBB81_19
; %bb.18:
	s_add_u32 s2, s12, s16
	s_addc_u32 s3, s13, s17
	s_load_b32 s2, s[2:3], 0x0
	s_mov_b32 s3, 0
.LBB81_19:
	s_waitcnt lgkmcnt(0)
	v_add_f32_e32 v1, 0x358637bd, v1
	s_mul_i32 s3, s33, s3
	s_mul_hi_u32 s4, s33, s2
	s_mul_i32 s2, s33, s2
	s_add_i32 s3, s4, s3
	v_div_scale_f32 v2, null, v1, v1, 1.0
	s_lshl_b64 s[2:3], s[2:3], 7
	s_mov_b32 s15, 0
	s_add_u32 s2, s0, s2
	s_delay_alu instid0(VALU_DEP_1) | instskip(SKIP_2) | instid1(SALU_CYCLE_1)
	v_rcp_f32_e32 v3, v2
	s_addc_u32 s3, s1, s3
	s_lshl_b64 s[0:1], s[14:15], 7
	s_add_u32 s0, s2, s0
	s_addc_u32 s1, s3, s1
	s_waitcnt_depctr 0xfff
	v_fma_f32 v5, -v2, v3, 1.0
	s_delay_alu instid0(VALU_DEP_1) | instskip(SKIP_1) | instid1(VALU_DEP_1)
	v_fmac_f32_e32 v3, v5, v3
	v_div_scale_f32 v5, vcc_lo, 1.0, v1, 1.0
	v_mul_f32_e32 v6, v5, v3
	s_delay_alu instid0(VALU_DEP_1) | instskip(NEXT) | instid1(VALU_DEP_1)
	v_fma_f32 v7, -v2, v6, v5
	v_fmac_f32_e32 v6, v7, v3
	s_delay_alu instid0(VALU_DEP_1) | instskip(NEXT) | instid1(VALU_DEP_1)
	v_fma_f32 v2, -v2, v6, v5
	v_div_fmas_f32 v2, v2, v3, v6
	s_delay_alu instid0(VALU_DEP_1) | instskip(NEXT) | instid1(VALU_DEP_1)
	v_div_fixup_f32 v1, v2, v1, 1.0
	v_fma_mixlo_f16 v1, v4, v1, 0
	global_store_b16 v0, v1, s[0:1]
	s_nop 0
	s_sendmsg sendmsg(MSG_DEALLOC_VGPRS)
	s_endpgm
.LBB81_20:
	s_mov_b32 s4, 0
	s_branch .LBB81_2
	.section	.rodata,"a",@progbits
	.p2align	6, 0x0
	.amdhsa_kernel _Z35paged_attention_ll4mi_reduce_kernelIDF16_DF16_Li64ELi64ELi256ELi8EEvPT0_PKfS3_PKT_PKiS8_iS3_
		.amdhsa_group_segment_fixed_size 1028
		.amdhsa_private_segment_fixed_size 0
		.amdhsa_kernarg_size 320
		.amdhsa_user_sgpr_count 14
		.amdhsa_user_sgpr_dispatch_ptr 0
		.amdhsa_user_sgpr_queue_ptr 0
		.amdhsa_user_sgpr_kernarg_segment_ptr 1
		.amdhsa_user_sgpr_dispatch_id 0
		.amdhsa_user_sgpr_private_segment_size 0
		.amdhsa_wavefront_size32 1
		.amdhsa_uses_dynamic_stack 0
		.amdhsa_enable_private_segment 0
		.amdhsa_system_sgpr_workgroup_id_x 1
		.amdhsa_system_sgpr_workgroup_id_y 1
		.amdhsa_system_sgpr_workgroup_id_z 0
		.amdhsa_system_sgpr_workgroup_info 0
		.amdhsa_system_vgpr_workitem_id 0
		.amdhsa_next_free_vgpr 48
		.amdhsa_next_free_sgpr 47
		.amdhsa_reserve_vcc 1
		.amdhsa_float_round_mode_32 0
		.amdhsa_float_round_mode_16_64 0
		.amdhsa_float_denorm_mode_32 3
		.amdhsa_float_denorm_mode_16_64 3
		.amdhsa_dx10_clamp 1
		.amdhsa_ieee_mode 1
		.amdhsa_fp16_overflow 0
		.amdhsa_workgroup_processor_mode 1
		.amdhsa_memory_ordered 1
		.amdhsa_forward_progress 0
		.amdhsa_shared_vgpr_count 0
		.amdhsa_exception_fp_ieee_invalid_op 0
		.amdhsa_exception_fp_denorm_src 0
		.amdhsa_exception_fp_ieee_div_zero 0
		.amdhsa_exception_fp_ieee_overflow 0
		.amdhsa_exception_fp_ieee_underflow 0
		.amdhsa_exception_fp_ieee_inexact 0
		.amdhsa_exception_int_div_zero 0
	.end_amdhsa_kernel
	.section	.text._Z35paged_attention_ll4mi_reduce_kernelIDF16_DF16_Li64ELi64ELi256ELi8EEvPT0_PKfS3_PKT_PKiS8_iS3_,"axG",@progbits,_Z35paged_attention_ll4mi_reduce_kernelIDF16_DF16_Li64ELi64ELi256ELi8EEvPT0_PKfS3_PKT_PKiS8_iS3_,comdat
.Lfunc_end81:
	.size	_Z35paged_attention_ll4mi_reduce_kernelIDF16_DF16_Li64ELi64ELi256ELi8EEvPT0_PKfS3_PKT_PKiS8_iS3_, .Lfunc_end81-_Z35paged_attention_ll4mi_reduce_kernelIDF16_DF16_Li64ELi64ELi256ELi8EEvPT0_PKfS3_PKT_PKiS8_iS3_
                                        ; -- End function
	.section	.AMDGPU.csdata,"",@progbits
; Kernel info:
; codeLenInByte = 6524
; NumSgprs: 49
; NumVgprs: 48
; ScratchSize: 0
; MemoryBound: 0
; FloatMode: 240
; IeeeMode: 1
; LDSByteSize: 1028 bytes/workgroup (compile time only)
; SGPRBlocks: 6
; VGPRBlocks: 5
; NumSGPRsForWavesPerEU: 49
; NumVGPRsForWavesPerEU: 48
; Occupancy: 16
; WaveLimiterHint : 0
; COMPUTE_PGM_RSRC2:SCRATCH_EN: 0
; COMPUTE_PGM_RSRC2:USER_SGPR: 14
; COMPUTE_PGM_RSRC2:TRAP_HANDLER: 0
; COMPUTE_PGM_RSRC2:TGID_X_EN: 1
; COMPUTE_PGM_RSRC2:TGID_Y_EN: 1
; COMPUTE_PGM_RSRC2:TGID_Z_EN: 0
; COMPUTE_PGM_RSRC2:TIDIG_COMP_CNT: 0
	.section	.text._Z39paged_attention_ll4mi_QKV_mfma16_kernelIDF16_DF16_LN4vllm18Fp8KVCacheDataTypeE0EDF16_Li16ELi64ELi256ELb1ELi1EL8MFMAType0EEvPKT_PKT0_S8_ifPKiSA_SA_iPKfiiiPfSD_PS3_PT2_iSC_SC_,"axG",@progbits,_Z39paged_attention_ll4mi_QKV_mfma16_kernelIDF16_DF16_LN4vllm18Fp8KVCacheDataTypeE0EDF16_Li16ELi64ELi256ELb1ELi1EL8MFMAType0EEvPKT_PKT0_S8_ifPKiSA_SA_iPKfiiiPfSD_PS3_PT2_iSC_SC_,comdat
	.protected	_Z39paged_attention_ll4mi_QKV_mfma16_kernelIDF16_DF16_LN4vllm18Fp8KVCacheDataTypeE0EDF16_Li16ELi64ELi256ELb1ELi1EL8MFMAType0EEvPKT_PKT0_S8_ifPKiSA_SA_iPKfiiiPfSD_PS3_PT2_iSC_SC_ ; -- Begin function _Z39paged_attention_ll4mi_QKV_mfma16_kernelIDF16_DF16_LN4vllm18Fp8KVCacheDataTypeE0EDF16_Li16ELi64ELi256ELb1ELi1EL8MFMAType0EEvPKT_PKT0_S8_ifPKiSA_SA_iPKfiiiPfSD_PS3_PT2_iSC_SC_
	.globl	_Z39paged_attention_ll4mi_QKV_mfma16_kernelIDF16_DF16_LN4vllm18Fp8KVCacheDataTypeE0EDF16_Li16ELi64ELi256ELb1ELi1EL8MFMAType0EEvPKT_PKT0_S8_ifPKiSA_SA_iPKfiiiPfSD_PS3_PT2_iSC_SC_
	.p2align	8
	.type	_Z39paged_attention_ll4mi_QKV_mfma16_kernelIDF16_DF16_LN4vllm18Fp8KVCacheDataTypeE0EDF16_Li16ELi64ELi256ELb1ELi1EL8MFMAType0EEvPKT_PKT0_S8_ifPKiSA_SA_iPKfiiiPfSD_PS3_PT2_iSC_SC_,@function
_Z39paged_attention_ll4mi_QKV_mfma16_kernelIDF16_DF16_LN4vllm18Fp8KVCacheDataTypeE0EDF16_Li16ELi64ELi256ELb1ELi1EL8MFMAType0EEvPKT_PKT0_S8_ifPKiSA_SA_iPKfiiiPfSD_PS3_PT2_iSC_SC_: ; @_Z39paged_attention_ll4mi_QKV_mfma16_kernelIDF16_DF16_LN4vllm18Fp8KVCacheDataTypeE0EDF16_Li16ELi64ELi256ELb1ELi1EL8MFMAType0EEvPKT_PKT0_S8_ifPKiSA_SA_iPKfiiiPfSD_PS3_PT2_iSC_SC_
; %bb.0:
	s_load_b64 s[4:5], s[0:1], 0x30
	s_mov_b32 s34, s13
	s_waitcnt lgkmcnt(0)
	s_cmp_lg_u64 s[4:5], 0
	s_cselect_b32 s6, -1, 0
	s_ashr_i32 s35, s13, 31
	s_cmp_eq_u64 s[4:5], 0
	s_cbranch_scc1 .LBB82_3
; %bb.1:
	s_lshl_b64 s[2:3], s[34:35], 2
	s_delay_alu instid0(SALU_CYCLE_1) | instskip(SKIP_4) | instid1(SALU_CYCLE_1)
	s_add_u32 s2, s4, s2
	s_addc_u32 s3, s5, s3
	s_load_b64 s[2:3], s[2:3], 0x0
	s_waitcnt lgkmcnt(0)
	s_sub_i32 s2, s3, s2
	s_cmp_eq_u32 s2, 1
	s_cselect_b32 s2, -1, 0
	s_delay_alu instid0(SALU_CYCLE_1)
	s_and_not1_b32 vcc_lo, exec_lo, s2
	s_cbranch_vccz .LBB82_4
.LBB82_2:
	s_endpgm
.LBB82_3:
.LBB82_4:
	s_load_b64 s[2:3], s[0:1], 0x28
	s_lshl_b64 s[8:9], s[34:35], 2
	s_waitcnt lgkmcnt(0)
	s_add_u32 s2, s2, s8
	s_addc_u32 s3, s3, s9
	s_lshl_b32 s62, s14, 8
	s_load_b32 s33, s[2:3], 0x0
	s_waitcnt lgkmcnt(0)
	s_cmp_ge_i32 s62, s33
	s_cbranch_scc1 .LBB82_2
; %bb.5:
	s_clause 0x1
	s_load_b128 s[56:59], s[0:1], 0x8
	s_load_b64 s[2:3], s[0:1], 0x20
	s_and_not1_b32 vcc_lo, exec_lo, s6
	s_mov_b64 s[6:7], s[34:35]
	s_cbranch_vccnz .LBB82_7
; %bb.6:
	s_add_u32 s4, s4, s8
	s_addc_u32 s5, s5, s9
	s_load_b32 s6, s[4:5], 0x0
.LBB82_7:
	s_load_b128 s[52:55], s[0:1], 0x48
	v_and_b32_e32 v145, 15, v0
	s_mov_b32 s12, exec_lo
                                        ; implicit-def: $sgpr24
                                        ; implicit-def: $sgpr36
                                        ; implicit-def: $sgpr16
                                        ; implicit-def: $sgpr4
	s_delay_alu instid0(VALU_DEP_1)
	v_cmpx_eq_u32_e32 0, v145
	s_cbranch_execz .LBB82_9
; %bb.8:
	s_load_b64 s[4:5], s[0:1], 0x0
	s_waitcnt lgkmcnt(0)
	s_mul_hi_i32 s7, s6, s52
	s_mul_i32 s6, s6, s52
	s_delay_alu instid0(SALU_CYCLE_1) | instskip(NEXT) | instid1(SALU_CYCLE_1)
	s_lshl_b64 s[6:7], s[6:7], 1
	s_add_u32 s6, s4, s6
	s_addc_u32 s7, s5, s7
	s_lshl_b32 s4, s15, 6
	s_delay_alu instid0(SALU_CYCLE_1) | instskip(NEXT) | instid1(SALU_CYCLE_1)
	s_ashr_i32 s5, s4, 31
	s_lshl_b64 s[4:5], s[4:5], 1
	s_delay_alu instid0(SALU_CYCLE_1)
	s_add_u32 s4, s6, s4
	s_addc_u32 s5, s7, s5
	s_clause 0x3
	s_load_b256 s[24:31], s[4:5], 0x0
	s_load_b256 s[36:43], s[4:5], 0x20
	;; [unrolled: 1-line block ×4, first 2 shown]
.LBB82_9:
	s_or_b32 exec_lo, exec_lo, s12
	s_waitcnt lgkmcnt(0)
	v_dual_mov_b32 v48, s31 :: v_dual_and_b32 v1, 0xef, v0
	s_add_i32 s13, s33, 15
	s_clause 0x1
	s_load_b32 s12, s[0:1], 0x38
	s_load_b32 s52, s[0:1], 0x1c
	v_dual_mov_b32 v46, s29 :: v_dual_add_nc_u32 v1, s62, v1
	s_ashr_i32 s35, s13, 31
	v_mov_b32_e32 v45, s28
	s_lshr_b32 s35, s35, 28
	s_delay_alu instid0(VALU_DEP_2)
	v_ashrrev_i32_e32 v2, 31, v1
	v_or_b32_e32 v3, 16, v1
	s_add_i32 s13, s13, s35
	v_cmp_gt_i32_e32 vcc_lo, s33, v1
	s_ashr_i32 s35, s13, 4
	v_lshrrev_b32_e32 v2, 28, v2
	s_add_i32 s35, s35, -1
	v_mov_b32_e32 v43, s26
	v_mov_b32_e32 v41, s24
	v_dual_mov_b32 v162, s43 :: v_dual_lshlrev_b32 v37, 5, v145
	v_dual_mov_b32 v47, s30 :: v_dual_add_nc_u32 v4, v1, v2
	s_waitcnt lgkmcnt(0)
	s_mul_i32 s12, s34, s12
	v_mov_b32_e32 v160, s41
	s_ashr_i32 s13, s12, 31
	v_ashrrev_i32_e32 v4, 4, v4
	v_add_nc_u32_e32 v2, v3, v2
	s_lshl_b64 s[12:13], s[12:13], 2
	v_mov_b32_e32 v158, s39
	s_add_u32 s63, s2, s12
	v_cndmask_b32_e32 v1, s35, v4, vcc_lo
	v_ashrrev_i32_e32 v2, 4, v2
	v_cmp_gt_i32_e32 vcc_lo, s33, v3
	s_addc_u32 s64, s3, s13
	s_mul_i32 s2, s15, s54
	v_mov_b32_e32 v156, s37
	s_ashr_i32 s3, s2, 31
	v_cndmask_b32_e32 v3, s35, v2, vcc_lo
	v_ashrrev_i32_e32 v2, 31, v1
	s_lshl_b64 s[2:3], s[2:3], 1
	v_lshrrev_b32_e32 v146, 5, v0
	s_add_u32 s56, s56, s2
	v_ashrrev_i32_e32 v4, 31, v3
	v_lshlrev_b64 v[1:2], 2, v[1:2]
	s_addc_u32 s57, s57, s3
	s_lshl_b32 s12, s14, 4
	v_mov_b32_e32 v44, s27
	v_lshlrev_b64 v[3:4], 2, v[3:4]
	s_ashr_i32 s13, s12, 31
	v_add_co_u32 v1, vcc_lo, s63, v1
	v_add_co_ci_u32_e32 v2, vcc_lo, s64, v2, vcc_lo
	s_delay_alu instid0(VALU_DEP_3) | instskip(NEXT) | instid1(VALU_DEP_4)
	v_add_co_u32 v3, vcc_lo, s63, v3
	v_add_co_ci_u32_e32 v4, vcc_lo, s64, v4, vcc_lo
	s_clause 0x1
	global_load_b32 v5, v[1:2], off
	global_load_b32 v6, v[3:4], off
	s_lshl_b64 s[12:13], s[12:13], 2
	v_lshlrev_b32_e32 v3, 4, v0
	s_add_u32 s12, s63, s12
	s_addc_u32 s13, s64, s13
	s_or_b32 s44, s62, 16
	v_mov_b32_e32 v42, s25
	s_ashr_i32 s45, s44, 4
	s_cmp_lt_i32 s44, s33
	s_cselect_b32 s44, s45, s35
	s_delay_alu instid0(SALU_CYCLE_1) | instskip(NEXT) | instid1(SALU_CYCLE_1)
	s_ashr_i32 s45, s44, 31
	s_lshl_b64 s[44:45], s[44:45], 2
	s_delay_alu instid0(SALU_CYCLE_1) | instskip(SKIP_2) | instid1(SALU_CYCLE_1)
	s_add_u32 s44, s63, s44
	s_addc_u32 s45, s64, s45
	s_or_b32 s46, s62, 32
	s_ashr_i32 s47, s46, 4
	s_cmp_lt_i32 s46, s33
	s_cselect_b32 s46, s47, s35
	s_delay_alu instid0(SALU_CYCLE_1) | instskip(NEXT) | instid1(SALU_CYCLE_1)
	s_ashr_i32 s47, s46, 31
	s_lshl_b64 s[46:47], s[46:47], 2
	s_delay_alu instid0(SALU_CYCLE_1) | instskip(SKIP_2) | instid1(SALU_CYCLE_1)
	s_add_u32 s46, s63, s46
	s_addc_u32 s47, s64, s47
	s_or_b32 s48, s62, 48
	;; [unrolled: 10-line block ×4, first 2 shown]
	s_ashr_i32 s55, s54, 4
	s_cmp_lt_i32 s54, s33
	s_cselect_b32 s54, s55, s35
	s_delay_alu instid0(SALU_CYCLE_1) | instskip(NEXT) | instid1(SALU_CYCLE_1)
	s_ashr_i32 s55, s54, 31
	s_lshl_b64 s[54:55], s[54:55], 2
	s_delay_alu instid0(SALU_CYCLE_1)
	s_add_u32 s54, s63, s54
	s_addc_u32 s55, s64, s55
	s_clause 0x5
	s_load_b32 s12, s[12:13], 0x0
	s_load_b32 s69, s[44:45], 0x0
	;; [unrolled: 1-line block ×6, first 2 shown]
	s_waitcnt lgkmcnt(0)
	s_mul_hi_i32 s29, s67, s53
	s_waitcnt vmcnt(1)
	v_mad_i64_i32 v[1:2], null, v5, s53, 0
	v_and_b32_e32 v5, 0xf0, v3
	s_waitcnt vmcnt(0)
	v_mad_i64_i32 v[3:4], null, v6, s53, 0
	s_delay_alu instid0(VALU_DEP_2) | instskip(NEXT) | instid1(VALU_DEP_4)
	v_add_co_u32 v5, s13, s56, v5
	v_lshlrev_b64 v[1:2], 1, v[1:2]
	v_add_co_ci_u32_e64 v6, null, s57, 0, s13
	s_delay_alu instid0(VALU_DEP_4) | instskip(SKIP_1) | instid1(VALU_DEP_3)
	v_lshlrev_b64 v[3:4], 1, v[3:4]
	s_or_b32 s13, s62, 0x60
	v_add_co_u32 v33, vcc_lo, v5, v1
	s_delay_alu instid0(VALU_DEP_3) | instskip(NEXT) | instid1(VALU_DEP_3)
	v_add_co_ci_u32_e32 v34, vcc_lo, v6, v2, vcc_lo
	v_add_co_u32 v35, vcc_lo, v5, v3
	s_delay_alu instid0(VALU_DEP_4)
	v_add_co_ci_u32_e32 v36, vcc_lo, v6, v4, vcc_lo
	s_clause 0xf
	global_load_b128 v[1:4], v[33:34], off
	global_load_b128 v[5:8], v[33:34], off offset:256
	global_load_b128 v[9:12], v[35:36], off
	global_load_b128 v[13:16], v[35:36], off offset:256
	global_load_b128 v[25:28], v[33:34], off offset:512
	;; [unrolled: 1-line block ×13, first 2 shown]
	s_ashr_i32 s44, s13, 4
	s_cmp_lt_i32 s13, s33
	v_lshl_or_b32 v33, v146, 9, v37
	s_cselect_b32 s44, s44, s35
	s_delay_alu instid0(SALU_CYCLE_1) | instskip(NEXT) | instid1(SALU_CYCLE_1)
	s_ashr_i32 s45, s44, 31
	s_lshl_b64 s[44:45], s[44:45], 2
	s_delay_alu instid0(SALU_CYCLE_1) | instskip(SKIP_2) | instid1(SALU_CYCLE_1)
	s_add_u32 s54, s63, s44
	s_addc_u32 s55, s64, s45
	s_or_b32 s13, s62, 0x70
	s_ashr_i32 s44, s13, 4
	s_cmp_lt_i32 s13, s33
	s_cselect_b32 s44, s44, s35
	s_delay_alu instid0(SALU_CYCLE_1) | instskip(NEXT) | instid1(SALU_CYCLE_1)
	s_ashr_i32 s45, s44, 31
	s_lshl_b64 s[44:45], s[44:45], 2
	s_delay_alu instid0(SALU_CYCLE_1)
	s_add_u32 s56, s63, s44
	s_addc_u32 s57, s64, s45
	s_or_b32 s13, s62, 0x80
	s_mov_b32 s44, 0
	s_ashr_i32 s45, s13, 4
	s_cmp_lt_i32 s13, s33
	s_mov_b32 s48, s44
	s_cselect_b32 s46, s45, s35
	s_mov_b32 s45, s44
	s_ashr_i32 s47, s46, 31
	s_mov_b32 s49, s44
	s_lshl_b64 s[46:47], s[46:47], 2
	s_mov_b32 s50, s44
	s_add_u32 s60, s63, s46
	s_addc_u32 s61, s64, s47
	s_or_b32 s13, s62, 0x90
	s_mov_b32 s46, s44
	s_ashr_i32 s24, s13, 4
	s_cmp_lt_i32 s13, s33
	s_mov_b32 s47, s44
	s_cselect_b32 s24, s24, s35
	s_mov_b32 s51, s44
	s_ashr_i32 s25, s24, 31
	v_dual_mov_b32 v161, s42 :: v_dual_mov_b32 v136, s51
	s_lshl_b64 s[24:25], s[24:25], 2
	v_dual_mov_b32 v159, s40 :: v_dual_mov_b32 v134, s49
	v_dual_mov_b32 v157, s38 :: v_dual_mov_b32 v132, s47
	;; [unrolled: 1-line block ×3, first 2 shown]
	s_add_u32 s36, s63, s24
	s_addc_u32 s37, s64, s25
	s_or_b32 s13, s62, 0xa0
	v_mov_b32_e32 v135, s50
	s_ashr_i32 s24, s13, 4
	s_cmp_lt_i32 s13, s33
	v_mov_b32_e32 v133, s48
	s_cselect_b32 s24, s24, s35
	v_mov_b32_e32 v131, s46
	s_ashr_i32 s25, s24, 31
	v_mov_b32_e32 v129, s44
	s_lshl_b64 s[24:25], s[24:25], 2
	s_clause 0x2
	s_load_b32 s49, s[54:55], 0x0
	s_load_b32 s50, s[56:57], 0x0
	;; [unrolled: 1-line block ×3, first 2 shown]
	s_add_u32 s38, s63, s24
	s_addc_u32 s39, s64, s25
	s_or_b32 s13, s62, 0xb0
	s_clause 0x1
	s_load_b32 s48, s[36:37], 0x0
	s_load_b32 s47, s[38:39], 0x0
	s_ashr_i32 s24, s13, 4
	s_cmp_lt_i32 s13, s33
	s_mul_hi_i32 s13, s12, s53
	s_cselect_b32 s26, s24, s35
	s_mul_i32 s12, s12, s53
	s_ashr_i32 s27, s26, 31
	s_mul_hi_i32 s25, s69, s53
	s_lshl_b64 s[26:27], s[26:27], 2
	s_mul_i32 s24, s69, s53
	s_add_u32 s40, s63, s26
	s_addc_u32 s41, s64, s27
	s_or_b32 s26, s62, 0xc0
	s_mul_hi_i32 s27, s68, s53
	s_ashr_i32 s28, s26, 4
	s_cmp_lt_i32 s26, s33
	s_mul_i32 s26, s68, s53
	s_cselect_b32 s30, s28, s35
	s_mul_i32 s28, s67, s53
	s_ashr_i32 s31, s30, 31
	s_mul_hi_i32 s37, s65, s53
	s_lshl_b64 s[42:43], s[30:31], 2
	s_mul_hi_i32 s31, s66, s53
	s_add_u32 s42, s63, s42
	s_addc_u32 s43, s64, s43
	s_or_b32 s30, s62, 0xd0
	s_mul_i32 s36, s65, s53
	s_ashr_i32 s44, s30, 4
	s_cmp_lt_i32 s30, s33
	s_mul_i32 s30, s66, s53
	s_cselect_b32 s44, s44, s35
	s_delay_alu instid0(SALU_CYCLE_1) | instskip(NEXT) | instid1(SALU_CYCLE_1)
	s_ashr_i32 s45, s44, 31
	s_lshl_b64 s[44:45], s[44:45], 2
	s_delay_alu instid0(SALU_CYCLE_1)
	s_add_u32 s38, s63, s44
	s_addc_u32 s39, s64, s45
	s_or_b32 s54, s62, 0xe0
	s_clause 0x2
	s_load_b32 s46, s[40:41], 0x0
	s_load_b32 s45, s[42:43], 0x0
	;; [unrolled: 1-line block ×3, first 2 shown]
	s_ashr_i32 s55, s54, 4
	s_cmp_lt_i32 s54, s33
	s_waitcnt lgkmcnt(0)
	s_mul_hi_i32 s41, s50, s53
	s_mul_i32 s40, s50, s53
	s_cselect_b32 s50, s55, s35
	s_mul_hi_i32 s43, s51, s53
	s_mul_i32 s42, s51, s53
	s_ashr_i32 s51, s50, 31
	s_mul_hi_i32 s39, s49, s53
	s_lshl_b64 s[50:51], s[50:51], 2
	s_mul_i32 s38, s49, s53
	s_add_u32 s50, s63, s50
	s_addc_u32 s51, s64, s51
	s_or_b32 s56, s62, 0xf0
	s_mul_hi_i32 s49, s48, s53
	s_ashr_i32 s57, s56, 4
	s_cmp_lt_i32 s56, s33
	s_mul_i32 s48, s48, s53
	s_cselect_b32 s56, s57, s35
	s_mul_hi_i32 s55, s47, s53
	s_ashr_i32 s57, s56, 31
	s_mul_i32 s54, s47, s53
	s_lshl_b64 s[56:57], s[56:57], 2
	s_mul_hi_i32 s47, s46, s53
	s_add_u32 s56, s63, s56
	s_addc_u32 s57, s64, s57
	s_add_u32 s35, s58, s2
	s_addc_u32 s58, s59, s3
	v_add_co_u32 v193, s35, s35, v33
	s_delay_alu instid0(VALU_DEP_1) | instskip(SKIP_2) | instid1(VALU_DEP_2)
	v_add_co_ci_u32_e64 v194, null, s58, 0, s35
	s_lshl_b64 s[2:3], s[12:13], 1
	s_lshl_b64 s[12:13], s[24:25], 1
	v_add_co_u32 v33, vcc_lo, v193, s2
	s_delay_alu instid0(VALU_DEP_2)
	v_add_co_ci_u32_e32 v34, vcc_lo, s3, v194, vcc_lo
	v_add_co_u32 v35, vcc_lo, v193, s12
	s_lshl_b64 s[24:25], s[26:27], 1
	v_add_co_ci_u32_e32 v36, vcc_lo, s13, v194, vcc_lo
	v_add_co_u32 v37, vcc_lo, v193, s24
	s_lshl_b64 s[26:27], s[28:29], 1
	v_add_co_ci_u32_e32 v38, vcc_lo, s25, v194, vcc_lo
	v_add_co_u32 v39, vcc_lo, v193, s26
	s_lshl_b64 s[28:29], s[30:31], 1
	v_add_co_ci_u32_e32 v40, vcc_lo, s27, v194, vcc_lo
	v_add_co_u32 v49, vcc_lo, v193, s28
	s_lshl_b64 s[30:31], s[36:37], 1
	v_add_co_ci_u32_e32 v50, vcc_lo, s29, v194, vcc_lo
	v_add_co_u32 v51, vcc_lo, v193, s30
	s_lshl_b64 s[36:37], s[38:39], 1
	v_add_co_ci_u32_e32 v52, vcc_lo, s31, v194, vcc_lo
	v_add_co_u32 v53, vcc_lo, v193, s36
	s_lshl_b64 s[38:39], s[40:41], 1
	s_clause 0x1
	s_load_b32 s35, s[50:51], 0x0
	s_load_b32 s50, s[56:57], 0x0
	v_add_co_ci_u32_e32 v54, vcc_lo, s37, v194, vcc_lo
	v_add_co_u32 v55, vcc_lo, v193, s38
	s_lshl_b64 s[40:41], s[42:43], 1
	v_add_co_ci_u32_e32 v56, vcc_lo, s39, v194, vcc_lo
	v_add_co_u32 v61, vcc_lo, v193, s40
	s_lshl_b64 s[42:43], s[48:49], 1
	;; [unrolled: 3-line block ×3, first 2 shown]
	s_mul_i32 s46, s46, s53
	v_add_co_ci_u32_e32 v180, vcc_lo, s43, v194, vcc_lo
	v_add_co_u32 v181, vcc_lo, v193, s48
	s_lshl_b64 s[46:47], s[46:47], 1
	s_mul_hi_i32 s61, s45, s53
	s_mul_i32 s60, s45, s53
	v_add_co_ci_u32_e32 v182, vcc_lo, s49, v194, vcc_lo
	v_add_co_u32 v187, vcc_lo, v193, s46
	s_clause 0x15
	global_load_b128 v[121:124], v[33:34], off
	global_load_b128 v[125:128], v[33:34], off offset:16
	global_load_b128 v[113:116], v[35:36], off
	global_load_b128 v[117:120], v[35:36], off offset:16
	;; [unrolled: 2-line block ×11, first 2 shown]
	s_lshl_b64 s[54:55], s[60:61], 1
	s_mul_hi_i32 s45, s44, s53
	s_mul_i32 s44, s44, s53
	v_add_co_ci_u32_e32 v188, vcc_lo, s47, v194, vcc_lo
	v_add_co_u32 v189, vcc_lo, v193, s54
	s_lshl_b64 s[44:45], s[44:45], 1
	v_add_co_ci_u32_e32 v190, vcc_lo, s55, v194, vcc_lo
	s_waitcnt lgkmcnt(0)
	s_mul_hi_i32 s3, s35, s53
	s_mul_i32 s2, s35, s53
	v_add_co_u32 v191, vcc_lo, v193, s44
	s_lshl_b64 s[2:3], s[2:3], 1
	v_add_co_ci_u32_e32 v192, vcc_lo, s45, v194, vcc_lo
	s_mul_hi_i32 s13, s50, s53
	s_mul_i32 s12, s50, s53
	s_waitcnt vmcnt(36)
	v_wmma_f32_16x16x16_f16 v[179:186], v[1:8], v[41:48], v[129:136]
	s_waitcnt vmcnt(34)
	v_wmma_f32_16x16x16_f16 v[129:136], v[9:16], v[41:48], v[129:136]
	v_add_co_u32 v45, vcc_lo, v193, s2
	v_add_co_ci_u32_e32 v46, vcc_lo, s3, v194, vcc_lo
	s_lshl_b64 s[2:3], s[12:13], 1
	s_clause 0x3
	global_load_b128 v[1:4], v[187:188], off
	global_load_b128 v[5:8], v[187:188], off offset:16
	global_load_b128 v[9:12], v[189:190], off
	global_load_b128 v[13:16], v[189:190], off offset:16
	v_add_co_u32 v187, vcc_lo, v193, s2
	v_add_co_ci_u32_e32 v188, vcc_lo, s3, v194, vcc_lo
	s_waitcnt vmcnt(36)
	v_wmma_f32_16x16x16_f16 v[179:186], v[25:32], v[155:162], v[179:186]
	s_clause 0x1
	global_load_b128 v[25:28], v[191:192], off
	global_load_b128 v[29:32], v[191:192], off offset:16
	s_waitcnt vmcnt(36)
	v_wmma_f32_16x16x16_f16 v[129:136], v[17:24], v[155:162], v[129:136]
	s_clause 0x3
	global_load_b128 v[41:44], v[45:46], off
	global_load_b128 v[45:48], v[45:46], off offset:16
	global_load_b128 v[17:20], v[187:188], off
	global_load_b128 v[21:24], v[187:188], off offset:16
	v_dual_mov_b32 v162, s23 :: v_dual_mov_b32 v161, s22
	v_dual_mov_b32 v160, s21 :: v_dual_mov_b32 v159, s20
	;; [unrolled: 1-line block ×4, first 2 shown]
	s_waitcnt vmcnt(0)
	s_barrier
	buffer_gl0_inv
	v_wmma_f32_16x16x16_f16 v[129:136], v[147:154], v[155:162], v[129:136]
	v_mov_b32_e32 v154, s11
	v_dual_mov_b32 v148, s5 :: v_dual_mov_b32 v153, s10
	v_dual_mov_b32 v152, s9 :: v_dual_mov_b32 v151, s8
	v_mov_b32_e32 v150, s7
	v_wmma_f32_16x16x16_f16 v[179:186], v[137:144], v[155:162], v[179:186]
	v_mbcnt_lo_u32_b32 v138, -1, 0
	v_mov_b32_e32 v149, s6
	v_mov_b32_e32 v147, s4
	v_bfe_u32 v137, v0, 4, 1
	s_delay_alu instid0(VALU_DEP_4) | instskip(NEXT) | instid1(VALU_DEP_3)
	v_xor_b32_e32 v140, 16, v138
	v_wmma_f32_16x16x16_f16 v[179:186], v[163:170], v[147:154], v[179:186]
	v_and_b32_e32 v187, 0xe0, v0
	v_wmma_f32_16x16x16_f16 v[129:136], v[171:178], v[147:154], v[129:136]
	s_delay_alu instid0(VALU_DEP_4) | instskip(NEXT) | instid1(VALU_DEP_3)
	v_cmp_gt_i32_e32 vcc_lo, 32, v140
	v_dual_mul_f32 v148, s52, v185 :: v_dual_add_nc_u32 v139, s62, v187
	v_mul_f32_e32 v154, s52, v179
	v_cndmask_b32_e32 v138, v138, v140, vcc_lo
	v_mul_f32_e32 v153, s52, v180
	v_dual_mul_f32 v151, s52, v182 :: v_dual_mul_f32 v172, s52, v129
	v_or_b32_e32 v139, v139, v137
	v_dual_mul_f32 v152, s52, v181 :: v_dual_mul_f32 v149, s52, v184
	v_mul_f32_e32 v170, s52, v131
	v_mul_f32_e32 v150, s52, v183
	s_delay_alu instid0(VALU_DEP_4)
	v_or_b32_e32 v140, 2, v139
	v_or_b32_e32 v141, 4, v139
	;; [unrolled: 1-line block ×3, first 2 shown]
	v_cmp_gt_i32_e32 vcc_lo, s33, v139
	v_or_b32_e32 v143, 8, v139
	v_cmp_gt_i32_e64 s2, s33, v140
	v_or_b32_e32 v144, 10, v139
	v_or_b32_e32 v155, 12, v139
	;; [unrolled: 1-line block ×11, first 2 shown]
	v_cndmask_b32_e32 v139, 0xff7fffff, v154, vcc_lo
	v_cndmask_b32_e64 v140, 0xff7fffff, v153, s2
	v_cmp_gt_i32_e64 s3, s33, v141
	v_cmp_gt_i32_e64 s4, s33, v142
	;; [unrolled: 1-line block ×4, first 2 shown]
	v_max3_f32 v139, v139, 0xff7fffff, v140
	v_cndmask_b32_e64 v141, 0xff7fffff, v152, s3
	v_cndmask_b32_e64 v142, 0xff7fffff, v151, s4
	v_dual_mul_f32 v147, s52, v186 :: v_dual_mul_f32 v168, s52, v133
	v_cndmask_b32_e64 v140, 0xff7fffff, v150, s5
	v_cndmask_b32_e64 v143, 0xff7fffff, v149, s6
	s_delay_alu instid0(VALU_DEP_4)
	v_max3_f32 v139, v139, v141, v142
	v_cmp_gt_i32_e64 s7, s33, v155
	v_cmp_gt_i32_e64 s8, s33, v156
	v_mul_f32_e32 v171, s52, v130
	v_cmp_gt_i32_e64 s9, s33, v157
	v_max3_f32 v139, v139, v140, v143
	v_cndmask_b32_e64 v141, 0xff7fffff, v148, s7
	v_cndmask_b32_e64 v142, 0xff7fffff, v147, s8
	v_cmp_gt_i32_e64 s10, s33, v158
	v_mul_f32_e32 v169, s52, v132
	v_cndmask_b32_e64 v140, 0xff7fffff, v172, s9
	v_cmp_gt_i32_e64 s11, s33, v159
	v_max3_f32 v139, v139, v141, v142
	v_cndmask_b32_e64 v143, 0xff7fffff, v171, s10
	v_cmp_gt_i32_e64 s12, s33, v160
	v_mul_f32_e32 v167, s52, v134
	v_cndmask_b32_e64 v141, 0xff7fffff, v170, s11
	v_cmp_gt_i32_e64 s13, s33, v161
	v_max3_f32 v139, v139, v140, v143
	v_cndmask_b32_e64 v142, 0xff7fffff, v169, s12
	v_cmp_gt_i32_e64 s16, s33, v162
	v_dual_mul_f32 v165, s52, v136 :: v_dual_mul_f32 v166, s52, v135
	v_cndmask_b32_e64 v140, 0xff7fffff, v168, s13
	s_delay_alu instid0(VALU_DEP_4) | instskip(NEXT) | instid1(VALU_DEP_4)
	v_max3_f32 v139, v139, v141, v142
	v_cndmask_b32_e64 v143, 0xff7fffff, v167, s16
	v_cmp_gt_i32_e64 s17, s33, v163
	v_cmp_gt_i32_e64 s18, s33, v164
	s_delay_alu instid0(VALU_DEP_3) | instskip(NEXT) | instid1(VALU_DEP_3)
	v_max3_f32 v139, v139, v140, v143
	v_cndmask_b32_e64 v141, 0xff7fffff, v166, s17
	s_delay_alu instid0(VALU_DEP_3) | instskip(SKIP_1) | instid1(VALU_DEP_2)
	v_cndmask_b32_e64 v142, 0xff7fffff, v165, s18
	v_lshlrev_b32_e32 v140, 2, v138
	v_max3_f32 v138, v139, v141, v142
	ds_bpermute_b32 v139, v140, v138
	s_waitcnt lgkmcnt(0)
	v_max_f32_e32 v139, v139, v139
	s_delay_alu instid0(VALU_DEP_1) | instskip(NEXT) | instid1(VALU_DEP_1)
	v_max_f32_e32 v138, v138, v139
	v_fma_f32 v139, s52, v179, -v138
	v_fma_f32 v141, s52, v180, -v138
	;; [unrolled: 1-line block ×5, first 2 shown]
	v_mul_f32_e32 v139, 0x3fb8aa3b, v139
	s_delay_alu instid0(VALU_DEP_4) | instskip(NEXT) | instid1(VALU_DEP_4)
	v_dual_mul_f32 v141, 0x3fb8aa3b, v141 :: v_dual_mul_f32 v134, 0x3fb8aa3b, v134
	v_mul_f32_e32 v142, 0x3fb8aa3b, v142
	v_fma_f32 v144, s52, v183, -v138
	s_delay_alu instid0(VALU_DEP_4) | instskip(NEXT) | instid1(VALU_DEP_3)
	v_exp_f32_e32 v139, v139
	v_exp_f32_e32 v141, v141
	v_mul_f32_e32 v143, 0x3fb8aa3b, v143
	v_exp_f32_e32 v142, v142
	v_mul_f32_e32 v144, 0x3fb8aa3b, v144
	v_fma_f32 v149, s52, v185, -v138
	v_fma_f32 v129, s52, v129, -v138
	v_exp_f32_e32 v143, v143
	v_fma_f32 v130, s52, v130, -v138
	v_exp_f32_e32 v144, v144
	v_cndmask_b32_e32 v148, 0, v139, vcc_lo
	v_fma_f32 v139, s52, v184, -v138
	v_cndmask_b32_e64 v147, 0, v141, s2
	v_cndmask_b32_e64 v150, 0, v142, s3
	v_fma_f32 v142, s52, v186, -v138
	v_add_f32_e32 v141, 0, v148
	v_mul_f32_e32 v139, 0x3fb8aa3b, v139
	v_mul_f32_e32 v151, 0x3fb8aa3b, v149
	v_cndmask_b32_e64 v149, 0, v143, s4
	s_delay_alu instid0(VALU_DEP_4) | instskip(NEXT) | instid1(VALU_DEP_4)
	v_dual_mul_f32 v142, 0x3fb8aa3b, v142 :: v_dual_add_f32 v141, v141, v147
	v_exp_f32_e32 v139, v139
	s_delay_alu instid0(VALU_DEP_3)
	v_exp_f32_e32 v143, v151
	v_cndmask_b32_e64 v152, 0, v144, s5
	v_mul_f32_e32 v129, 0x3fb8aa3b, v129
	v_add_f32_e32 v141, v141, v150
	v_exp_f32_e32 v142, v142
	v_fma_f32 v131, s52, v131, -v138
	v_mul_f32_e32 v130, 0x3fb8aa3b, v130
	v_exp_f32_e32 v129, v129
	v_add_f32_e32 v141, v141, v149
	v_cndmask_b32_e64 v151, 0, v139, s6
	v_cndmask_b32_e64 v153, 0, v143, s7
	v_mul_f32_e32 v131, 0x3fb8aa3b, v131
	v_exp_f32_e32 v130, v130
	v_add_f32_e32 v139, v141, v152
	v_fma_f32 v141, s52, v132, -v138
	v_cndmask_b32_e64 v132, 0, v142, s8
	v_fma_f32 v133, s52, v133, -v138
	v_exp_f32_e32 v131, v131
	v_add_f32_e32 v139, v139, v151
	v_mul_f32_e32 v141, 0x3fb8aa3b, v141
	v_cndmask_b32_e64 v154, 0, v129, s9
	v_fma_f32 v136, s52, v136, -v138
	s_mov_b32 s3, exec_lo
	v_add_f32_e32 v139, v139, v153
	v_exp_f32_e32 v141, v141
	s_delay_alu instid0(VALU_DEP_1)
	v_add_f32_e32 v129, v139, v132
	v_mul_f32_e32 v139, 0x3fb8aa3b, v133
	v_cndmask_b32_e64 v133, 0, v130, s10
	v_fma_f32 v130, s52, v135, -v138
	v_cndmask_b32_e64 v135, 0, v131, s11
	v_add_f32_e32 v129, v129, v154
	v_exp_f32_e32 v139, v139
	v_exp_f32_e32 v131, v134
	v_mul_f32_e32 v130, 0x3fb8aa3b, v130
	v_cndmask_b32_e64 v134, 0, v141, s12
	v_add_f32_e32 v129, v129, v133
	s_delay_alu instid0(VALU_DEP_3) | instskip(NEXT) | instid1(VALU_DEP_1)
	v_exp_f32_e32 v130, v130
	v_add_f32_e32 v129, v129, v135
	s_delay_alu instid0(TRANS32_DEP_3) | instskip(SKIP_1) | instid1(TRANS32_DEP_2)
	v_cndmask_b32_e64 v155, 0, v139, s13
	v_mul_f32_e32 v139, 0x3fb8aa3b, v136
	v_cndmask_b32_e64 v136, 0, v131, s16
	s_delay_alu instid0(VALU_DEP_4) | instskip(NEXT) | instid1(VALU_DEP_3)
	v_add_f32_e32 v129, v129, v134
	v_exp_f32_e32 v131, v139
	s_delay_alu instid0(TRANS32_DEP_2) | instskip(NEXT) | instid1(VALU_DEP_2)
	v_cndmask_b32_e64 v157, 0, v130, s17
	v_add_f32_e32 v129, v129, v155
	s_delay_alu instid0(VALU_DEP_1) | instskip(SKIP_4) | instid1(VALU_DEP_2)
	v_add_f32_e32 v129, v129, v136
	s_waitcnt_depctr 0xfff
	v_cndmask_b32_e64 v156, 0, v131, s18
	v_and_b32_e32 v131, 31, v0
	v_add_f32_e32 v129, v129, v157
	v_cmp_lt_u32_e64 s2, 15, v131
	s_delay_alu instid0(VALU_DEP_2)
	v_add_f32_e32 v129, v129, v156
	ds_bpermute_b32 v130, v140, v129
	v_cmpx_gt_u32_e32 16, v131
	s_cbranch_execz .LBB82_11
; %bb.10:
	v_mul_u32_u24_e32 v131, 0x44, v146
	s_delay_alu instid0(VALU_DEP_1) | instskip(SKIP_1) | instid1(VALU_DEP_1)
	v_lshl_add_u32 v131, v145, 2, v131
	s_waitcnt lgkmcnt(0)
	v_dual_add_f32 v129, v129, v130 :: v_dual_add_nc_u32 v130, 0x4000, v131
	ds_store_2addr_b32 v130, v138, v129 offset1:136
.LBB82_11:
	s_or_b32 exec_lo, exec_lo, s3
	v_lshlrev_b32_e32 v129, 2, v145
	s_load_b64 s[36:37], s[0:1], 0x94
	s_waitcnt lgkmcnt(0)
	s_barrier
	buffer_gl0_inv
	v_add_nc_u32_e32 v129, 0x4000, v129
	v_cmp_eq_u32_e32 vcc_lo, 1, v146
	v_cmp_eq_u32_e64 s3, 2, v146
	v_cmp_eq_u32_e64 s5, 3, v146
	;; [unrolled: 1-line block ×3, first 2 shown]
	ds_load_2addr_b32 v[138:139], v129 offset1:17
	ds_load_2addr_b32 v[140:141], v129 offset0:34 offset1:51
	ds_load_2addr_b32 v[142:143], v129 offset0:68 offset1:85
	;; [unrolled: 1-line block ×3, first 2 shown]
	v_cmp_eq_u32_e64 s7, 5, v146
	v_cmp_eq_u32_e64 s4, 6, v146
	s_waitcnt lgkmcnt(3)
	v_max3_f32 v130, v138, 0xff7fffff, v139
	s_waitcnt lgkmcnt(2)
	s_delay_alu instid0(VALU_DEP_1) | instskip(SKIP_1) | instid1(VALU_DEP_1)
	v_max3_f32 v130, v130, v140, v141
	s_waitcnt lgkmcnt(1)
	v_max3_f32 v130, v130, v142, v143
	s_waitcnt lgkmcnt(0)
	s_delay_alu instid0(VALU_DEP_1) | instskip(NEXT) | instid1(VALU_DEP_1)
	v_max3_f32 v130, v130, v158, v159
	v_sub_f32_e32 v140, v140, v130
	ds_load_2addr_b32 v[160:161], v129 offset0:136 offset1:153
	v_sub_f32_e32 v144, v139, v130
	v_sub_f32_e32 v131, v138, v130
	ds_load_2addr_b32 v[138:139], v129 offset0:170 offset1:187
	v_sub_f32_e32 v142, v142, v130
	v_dual_mul_f32 v144, 0x3fb8aa3b, v144 :: v_dual_mul_f32 v131, 0x3fb8aa3b, v131
	s_delay_alu instid0(VALU_DEP_1) | instskip(NEXT) | instid1(VALU_DEP_1)
	v_exp_f32_e32 v144, v144
	v_exp_f32_e32 v162, v131
	v_sub_f32_e32 v131, v141, v130
	v_mul_f32_e32 v163, 0x3fb8aa3b, v140
	ds_load_2addr_b32 v[140:141], v129 offset0:204 offset1:221
	v_dual_mul_f32 v165, 0x3fb8aa3b, v142 :: v_dual_mul_f32 v164, 0x3fb8aa3b, v131
	v_exp_f32_e32 v163, v163
	s_waitcnt lgkmcnt(2)
	v_fma_f32 v131, v162, v160, 0
	v_sub_f32_e32 v160, v143, v130
	v_exp_f32_e32 v164, v164
	ds_load_2addr_b32 v[142:143], v129 offset0:238 offset1:255
	v_sub_f32_e32 v129, v158, v130
	v_dual_fmac_f32 v131, v144, v161 :: v_dual_mul_f32 v158, 0x3fb8aa3b, v160
	s_waitcnt lgkmcnt(0)
	s_barrier
	s_delay_alu instid0(VALU_DEP_2) | instskip(NEXT) | instid1(VALU_DEP_2)
	v_mul_f32_e32 v129, 0x3fb8aa3b, v129
	v_fmac_f32_e32 v131, v163, v138
	v_sub_f32_e32 v138, v159, v130
	v_exp_f32_e32 v158, v158
	buffer_gl0_inv
	v_exp_f32_e32 v159, v129
	v_dual_fmac_f32 v131, v164, v139 :: v_dual_mul_f32 v138, 0x3fb8aa3b, v138
	s_delay_alu instid0(VALU_DEP_1) | instskip(SKIP_4) | instid1(VALU_DEP_1)
	v_exp_f32_e32 v161, v138
	v_cndmask_b32_e32 v138, v162, v144, vcc_lo
	v_exp_f32_e32 v160, v165
	s_waitcnt_depctr 0xfff
	v_fmac_f32_e32 v131, v160, v140
	v_fmac_f32_e32 v131, v158, v141
	s_delay_alu instid0(VALU_DEP_1) | instskip(NEXT) | instid1(VALU_DEP_1)
	v_dual_fmac_f32 v131, v159, v142 :: v_dual_lshlrev_b32 v142, 6, v145
	v_fmac_f32_e32 v131, v161, v143
	s_delay_alu instid0(VALU_DEP_2) | instskip(NEXT) | instid1(VALU_DEP_2)
	v_lshl_or_b32 v144, v146, 11, v142
	v_add_f32_e32 v143, 0x358637bd, v131
	s_delay_alu instid0(VALU_DEP_1) | instskip(SKIP_1) | instid1(VALU_DEP_2)
	v_div_scale_f32 v165, null, v143, v143, 1.0
	v_div_scale_f32 v162, vcc_lo, 1.0, v143, 1.0
	v_rcp_f32_e32 v166, v165
	s_waitcnt_depctr 0xfff
	v_fma_f32 v129, -v165, v166, 1.0
	s_delay_alu instid0(VALU_DEP_1) | instskip(SKIP_2) | instid1(VALU_DEP_3)
	v_fmac_f32_e32 v166, v129, v166
	v_cndmask_b32_e64 v129, v138, v163, s3
	v_cmp_eq_u32_e64 s3, 7, v146
	v_dual_mul_f32 v163, v162, v166 :: v_dual_lshlrev_b32 v138, 2, v137
	s_delay_alu instid0(VALU_DEP_3) | instskip(SKIP_1) | instid1(VALU_DEP_3)
	v_cndmask_b32_e64 v139, v129, v164, s5
	v_mov_b32_e32 v129, 0
	v_or_b32_e32 v141, 2, v138
	v_cmp_eq_u32_e64 s5, 1, v138
	v_fma_f32 v140, -v165, v163, v162
	v_cndmask_b32_e64 v160, v139, v160, s6
	v_or_b32_e32 v139, 1, v138
	v_cmp_eq_u32_e64 s10, 1, v141
	v_cmp_eq_u32_e64 s6, 2, v138
	v_fmac_f32_e32 v163, v140, v166
	v_cndmask_b32_e64 v146, v160, v158, s7
	v_or_b32_e32 v140, 3, v138
	v_cmp_eq_u32_e64 s9, 1, v139
	v_cmp_eq_u32_e64 s12, 2, v139
	v_fma_f32 v158, -v165, v163, v162
	v_cndmask_b32_e64 v146, v146, v159, s4
	v_cmp_eq_u32_e64 s11, 1, v140
	v_cmp_eq_u32_e64 s16, 2, v141
	;; [unrolled: 1-line block ×3, first 2 shown]
	v_div_fmas_f32 v158, v158, v166, v163
	v_cndmask_b32_e64 v146, v146, v161, s3
	v_cmp_eq_u32_e32 vcc_lo, 3, v138
	v_cmp_eq_u32_e64 s13, 3, v139
	v_cmp_eq_u32_e64 s18, 3, v141
	v_div_fixup_f32 v158, v158, v143, 1.0
	v_lshl_or_b32 v143, v137, 4, v144
	v_cmp_eq_u32_e64 s19, 3, v140
	v_cmp_eq_u32_e64 s4, 4, v138
	;; [unrolled: 1-line block ×3, first 2 shown]
	v_mul_f32_e32 v146, v146, v158
	v_cmp_eq_u32_e64 s22, 4, v141
	v_cmp_eq_u32_e64 s23, 4, v140
	;; [unrolled: 1-line block ×4, first 2 shown]
	v_fma_mixlo_f16 v158, v146, v148, 0
	v_fma_mixlo_f16 v159, v146, v150, 0
	;; [unrolled: 1-line block ×8, first 2 shown]
	v_fma_mixhi_f16 v158, v146, v147, 0
	v_fma_mixhi_f16 v159, v146, v149, 0
	;; [unrolled: 1-line block ×8, first 2 shown]
	ds_store_b128 v143, v[158:161]
	ds_store_b128 v143, v[152:155] offset:1024
	s_waitcnt lgkmcnt(0)
	s_barrier
	buffer_gl0_inv
	ds_load_b128 v[132:135], v144
	ds_load_b128 v[146:149], v144 offset:16
	ds_load_b128 v[150:153], v144 offset:1024
	ds_load_b128 v[154:157], v144 offset:1040
	v_cmp_eq_u32_e64 s24, 5, v141
	v_cmp_eq_u32_e64 s25, 5, v140
	;; [unrolled: 1-line block ×10, first 2 shown]
	s_waitcnt lgkmcnt(3)
	v_lshrrev_b32_e32 v136, 16, v132
	s_waitcnt lgkmcnt(2)
	v_lshrrev_b32_e32 v161, 16, v146
	;; [unrolled: 2-line block ×4, first 2 shown]
	v_lshrrev_b32_e32 v158, 16, v133
	v_cndmask_b32_e64 v173, v132, v136, s5
	v_cndmask_b32_e64 v174, v146, v161, s5
	;; [unrolled: 1-line block ×8, first 2 shown]
	v_lshrrev_b32_e32 v162, 16, v147
	v_cndmask_b32_e64 v146, v150, v165, s5
	v_cndmask_b32_e64 v161, v154, v169, s5
	;; [unrolled: 1-line block ×16, first 2 shown]
	v_lshrrev_b32_e32 v166, 16, v151
	v_lshrrev_b32_e32 v170, 16, v155
	v_cndmask_b32_e64 v136, v146, v151, s6
	v_cndmask_b32_e64 v146, v161, v155, s6
	v_cndmask_b32_e64 v147, v179, v151, s12
	v_cndmask_b32_e64 v161, v181, v151, s16
	v_cndmask_b32_e64 v150, v150, v151, s17
	v_cndmask_b32_e32 v151, v165, v158, vcc_lo
	v_cndmask_b32_e32 v165, v169, v162, vcc_lo
	v_cndmask_b32_e64 v169, v173, v158, s13
	v_cndmask_b32_e64 v173, v174, v162, s13
	;; [unrolled: 1-line block ×6, first 2 shown]
	v_lshrrev_b32_e32 v159, 16, v134
	v_lshrrev_b32_e32 v163, 16, v148
	v_cndmask_b32_e32 v136, v136, v166, vcc_lo
	v_cndmask_b32_e32 v146, v146, v170, vcc_lo
	v_cndmask_b32_e64 v147, v147, v166, s13
	v_cndmask_b32_e64 v151, v151, v134, s4
	;; [unrolled: 1-line block ×9, first 2 shown]
	v_lshrrev_b32_e32 v167, 16, v152
	v_cndmask_b32_e64 v134, v136, v152, s4
	v_cndmask_b32_e64 v136, v146, v156, s4
	;; [unrolled: 1-line block ×11, first 2 shown]
	v_lshrrev_b32_e32 v160, 16, v135
	v_lshrrev_b32_e32 v164, 16, v149
	v_cndmask_b32_e64 v134, v134, v167, s7
	v_cndmask_b32_e64 v146, v146, v167, s21
	;; [unrolled: 1-line block ×10, first 2 shown]
	v_lshrrev_b32_e32 v168, 16, v153
	v_cndmask_b32_e64 v134, v134, v153, s3
	v_cndmask_b32_e64 v135, v146, v153, s26
	;; [unrolled: 1-line block ×12, first 2 shown]
	v_perm_b32 v135, v133, v132, 0x5040100
	v_perm_b32 v134, v151, v149, 0x5040100
	;; [unrolled: 1-line block ×3, first 2 shown]
	v_cndmask_b32_e64 v132, v154, v155, s17
	v_cndmask_b32_e64 v148, v182, v155, s16
	;; [unrolled: 1-line block ×8, first 2 shown]
	v_lshrrev_b32_e32 v171, 16, v156
	v_cndmask_b32_e64 v151, v151, v152, s22
	v_cndmask_b32_e64 v150, v150, v152, s23
	v_cndmask_b32_e64 v132, v132, v156, s23
	v_cndmask_b32_e64 v148, v148, v156, s22
	v_cndmask_b32_e64 v149, v149, v156, s20
	v_cndmask_b32_e64 v136, v136, v171, s7
	v_cndmask_b32_e64 v151, v151, v167, s24
	v_cndmask_b32_e64 v150, v150, v167, s25
	v_cndmask_b32_e64 v132, v132, v171, s25
	v_cndmask_b32_e64 v148, v148, v171, s24
	v_cndmask_b32_e64 v149, v149, v171, s21
	v_lshrrev_b32_e32 v172, 16, v157
	v_cndmask_b32_e64 v136, v136, v157, s3
	v_cndmask_b32_e64 v151, v151, v153, s27
	;; [unrolled: 1-line block ×12, first 2 shown]
	v_perm_b32 v132, v147, v146, 0x5040100
	v_perm_b32 v149, v152, v150, 0x5040100
	;; [unrolled: 1-line block ×5, first 2 shown]
	s_mov_b32 s3, exec_lo
	ds_store_b128 v143, v[132:135]
	ds_store_b128 v143, v[146:149] offset:1024
	v_cmpx_eq_u32_e32 0, v0
	s_cbranch_execz .LBB82_13
; %bb.12:
	s_load_b128 s[4:7], s[0:1], 0x58
	s_mul_i32 s8, s37, s34
	s_delay_alu instid0(SALU_CYCLE_1) | instskip(NEXT) | instid1(SALU_CYCLE_1)
	s_add_i32 s8, s8, s15
	s_mul_i32 s8, s8, s36
	s_delay_alu instid0(SALU_CYCLE_1) | instskip(NEXT) | instid1(SALU_CYCLE_1)
	s_add_i32 s8, s8, s14
	s_ashr_i32 s9, s8, 31
	s_delay_alu instid0(SALU_CYCLE_1)
	s_lshl_b64 s[8:9], s[8:9], 2
	s_waitcnt lgkmcnt(0)
	s_add_u32 s6, s6, s8
	s_addc_u32 s7, s7, s9
	s_add_u32 s4, s4, s8
	s_addc_u32 s5, s5, s9
	s_clause 0x1
	global_store_b32 v129, v130, s[6:7]
	global_store_b32 v129, v131, s[4:5]
.LBB82_13:
	s_or_b32 exec_lo, exec_lo, s3
	s_waitcnt lgkmcnt(0)
	s_waitcnt_vscnt null, 0x0
	s_barrier
	buffer_gl0_inv
	ds_load_b128 v[146:149], v142
	ds_load_b128 v[150:153], v142 offset:16
	ds_load_b128 v[158:161], v142 offset:1040
	;; [unrolled: 1-line block ×5, first 2 shown]
	v_mov_b32_e32 v130, v129
	v_mov_b32_e32 v131, v129
	v_mov_b32_e32 v132, v129
	v_mov_b32_e32 v133, v129
	v_mov_b32_e32 v134, v129
	v_mov_b32_e32 v135, v129
	v_mov_b32_e32 v136, v129
	ds_load_b128 v[174:177], v142 offset:3088
	ds_load_b128 v[170:173], v142 offset:3072
	;; [unrolled: 1-line block ×4, first 2 shown]
	v_cmp_eq_u32_e32 vcc_lo, 1, v141
	v_cmp_eq_u32_e64 s3, 1, v138
	v_cmp_eq_u32_e64 s4, 1, v140
	;; [unrolled: 1-line block ×4, first 2 shown]
	s_waitcnt lgkmcnt(8)
	v_wmma_f32_16x16x16_f16 v[129:136], v[121:128], v[146:153], v[129:136]
	ds_load_b128 v[125:128], v142 offset:5136
	ds_load_b128 v[121:124], v142 offset:5120
	s_waitcnt lgkmcnt(8)
	v_wmma_f32_16x16x16_f16 v[129:136], v[113:120], v[154:161], v[129:136]
	ds_load_b128 v[117:120], v142 offset:6160
	ds_load_b128 v[113:116], v142 offset:6144
	;; [unrolled: 4-line block ×11, first 2 shown]
	s_waitcnt lgkmcnt(0)
	s_barrier
	buffer_gl0_inv
	v_wmma_f32_16x16x16_f16 v[129:136], v[1:8], v[73:80], v[129:136]
	s_delay_alu instid0(VALU_DEP_1) | instskip(NEXT) | instid1(VALU_DEP_1)
	v_wmma_f32_16x16x16_f16 v[129:136], v[9:16], v[65:72], v[129:136]
	v_wmma_f32_16x16x16_f16 v[129:136], v[25:32], v[57:64], v[129:136]
	s_delay_alu instid0(VALU_DEP_1) | instskip(NEXT) | instid1(VALU_DEP_1)
	v_wmma_f32_16x16x16_f16 v[129:136], v[41:48], v[49:56], v[129:136]
	v_wmma_f32_16x16x16_f16 v[129:136], v[17:24], v[33:40], v[129:136]
	s_delay_alu instid0(VALU_DEP_1) | instskip(NEXT) | instid1(VALU_DEP_2)
	v_cvt_f16_f32_e64 v1, v129
	v_cvt_f16_f32_e64 v2, v130
	s_delay_alu instid0(VALU_DEP_3) | instskip(NEXT) | instid1(VALU_DEP_4)
	v_cvt_f16_f32_e64 v3, v131
	v_cvt_f16_f32_e64 v4, v132
	;; [unrolled: 1-line block ×6, first 2 shown]
	v_pack_b32_f16 v1, v1, v2
	v_pack_b32_f16 v2, v3, v4
	;; [unrolled: 1-line block ×3, first 2 shown]
	s_delay_alu instid0(VALU_DEP_4)
	v_pack_b32_f16 v4, v7, v8
	ds_store_b128 v143, v[1:4]
	s_waitcnt lgkmcnt(0)
	s_barrier
	buffer_gl0_inv
	ds_load_b128 v[1:4], v144
	ds_load_b128 v[5:8], v144 offset:16
	s_waitcnt lgkmcnt(1)
	v_lshrrev_b32_e32 v9, 16, v1
	s_waitcnt lgkmcnt(0)
	v_lshrrev_b32_e32 v13, 16, v5
	v_lshrrev_b32_e32 v15, 16, v7
	;; [unrolled: 1-line block ×4, first 2 shown]
	v_cndmask_b32_e64 v17, v1, v9, s3
	v_cndmask_b32_e64 v18, v5, v13, s3
	;; [unrolled: 1-line block ×3, first 2 shown]
	v_cmp_eq_u32_e64 s3, 2, v139
	v_cndmask_b32_e64 v20, v5, v13, s5
	v_cndmask_b32_e32 v21, v1, v9, vcc_lo
	v_cndmask_b32_e32 v22, v5, v13, vcc_lo
	v_cndmask_b32_e64 v1, v1, v9, s4
	v_cndmask_b32_e64 v5, v5, v13, s4
	v_cmp_eq_u32_e32 vcc_lo, 2, v141
	v_cmp_eq_u32_e64 s4, 2, v140
	v_cndmask_b32_e64 v9, v17, v2, s6
	v_cndmask_b32_e64 v13, v18, v6, s6
	;; [unrolled: 1-line block ×4, first 2 shown]
	v_cndmask_b32_e32 v19, v21, v2, vcc_lo
	v_cmp_eq_u32_e64 s3, 3, v141
	v_cndmask_b32_e32 v20, v22, v6, vcc_lo
	v_cndmask_b32_e64 v1, v1, v2, s4
	v_cmp_eq_u32_e32 vcc_lo, 3, v140
	v_cmp_eq_u32_e64 s5, 3, v138
	v_cndmask_b32_e64 v2, v5, v6, s4
	v_cmp_eq_u32_e64 s4, 3, v139
	v_lshrrev_b32_e32 v16, 16, v8
	v_cmp_eq_u32_e64 s6, 4, v138
	v_cndmask_b32_e64 v5, v9, v10, s5
	v_cndmask_b32_e64 v6, v13, v14, s5
	;; [unrolled: 1-line block ×3, first 2 shown]
	v_cmp_eq_u32_e64 s5, 4, v139
	v_cndmask_b32_e64 v13, v18, v14, s4
	v_cndmask_b32_e64 v17, v19, v10, s3
	;; [unrolled: 1-line block ×3, first 2 shown]
	v_cndmask_b32_e32 v1, v1, v10, vcc_lo
	v_cndmask_b32_e32 v2, v2, v14, vcc_lo
	v_cmp_eq_u32_e32 vcc_lo, 4, v141
	v_cmp_eq_u32_e64 s4, 4, v140
	v_lshrrev_b32_e32 v11, 16, v3
	v_cndmask_b32_e64 v5, v5, v3, s6
	v_cndmask_b32_e64 v6, v6, v7, s6
	;; [unrolled: 1-line block ×4, first 2 shown]
	v_cndmask_b32_e32 v13, v17, v3, vcc_lo
	v_cmp_eq_u32_e64 s3, 5, v141
	v_cndmask_b32_e32 v14, v18, v7, vcc_lo
	v_cndmask_b32_e64 v1, v1, v3, s4
	v_cmp_eq_u32_e32 vcc_lo, 5, v140
	v_cmp_eq_u32_e64 s5, 5, v138
	v_cndmask_b32_e64 v2, v2, v7, s4
	v_cmp_eq_u32_e64 s4, 5, v139
	v_cmp_eq_u32_e64 s6, 6, v138
	v_cndmask_b32_e32 v1, v1, v11, vcc_lo
	v_cndmask_b32_e64 v3, v5, v11, s5
	v_cndmask_b32_e64 v5, v6, v15, s5
	;; [unrolled: 1-line block ×6, first 2 shown]
	v_cndmask_b32_e32 v2, v2, v15, vcc_lo
	v_cmp_eq_u32_e32 vcc_lo, 6, v141
	v_cmp_eq_u32_e64 s3, 6, v140
	v_cmp_eq_u32_e64 s5, 6, v139
	v_lshrrev_b32_e32 v12, 16, v4
	v_cndmask_b32_e64 v3, v3, v4, s6
	v_cndmask_b32_e64 v5, v5, v8, s6
	v_cndmask_b32_e32 v9, v9, v4, vcc_lo
	v_cndmask_b32_e32 v10, v10, v8, vcc_lo
	v_cndmask_b32_e64 v1, v1, v4, s3
	v_cmp_eq_u32_e32 vcc_lo, 7, v140
	v_cndmask_b32_e64 v2, v2, v8, s3
	v_cmp_eq_u32_e64 s3, 7, v138
	v_cndmask_b32_e64 v6, v6, v4, s5
	v_cndmask_b32_e64 v7, v7, v8, s5
	v_cmp_eq_u32_e64 s4, 7, v141
	v_cndmask_b32_e32 v2, v2, v16, vcc_lo
	v_cmp_eq_u32_e64 s5, 7, v139
	v_cndmask_b32_e64 v8, v3, v12, s3
	v_cndmask_b32_e32 v1, v1, v12, vcc_lo
	v_cndmask_b32_e64 v5, v5, v16, s3
	v_cmp_lt_u32_e32 vcc_lo, 31, v0
	v_cmp_lt_u32_e64 s3, 7, v145
	v_cndmask_b32_e64 v6, v6, v12, s5
	v_cndmask_b32_e64 v3, v9, v12, s4
	v_cndmask_b32_e64 v9, v10, v16, s4
	v_cndmask_b32_e64 v7, v7, v16, s5
	s_or_b32 s3, vcc_lo, s3
	v_perm_b32 v4, v2, v1, 0x5040100
	v_perm_b32 v1, v5, v8, 0x5040100
	;; [unrolled: 1-line block ×4, first 2 shown]
	s_or_b32 s2, s2, s3
	s_delay_alu instid0(SALU_CYCLE_1)
	s_xor_b32 s2, s2, -1
	ds_store_b128 v143, v[1:4]
	s_waitcnt lgkmcnt(0)
	s_barrier
	buffer_gl0_inv
	s_and_saveexec_b32 s3, s2
	s_cbranch_execz .LBB82_2
; %bb.14:
	s_load_b64 s[0:1], s[0:1], 0x68
	v_lshlrev_b32_e32 v1, 10, v0
	v_and_b32_e32 v0, 1, v0
	v_lshlrev_b32_e32 v2, 6, v137
	s_lshl_b32 s4, s36, 6
	v_lshlrev_b32_e32 v4, 4, v145
	v_and_b32_e32 v1, 0x3800, v1
	v_lshlrev_b32_e32 v0, 4, v0
	s_mul_i32 s2, s4, s34
	s_delay_alu instid0(SALU_CYCLE_1) | instskip(NEXT) | instid1(VALU_DEP_1)
	s_mul_i32 s2, s2, s37
	v_or3_b32 v0, v1, v2, v0
	s_ashr_i32 s3, s2, 31
	s_delay_alu instid0(SALU_CYCLE_1)
	s_lshl_b64 s[2:3], s[2:3], 1
	ds_load_b128 v[0:3], v0
	s_waitcnt lgkmcnt(0)
	s_add_u32 s5, s0, s2
	s_addc_u32 s3, s1, s3
	s_lshl_b32 s0, s14, 6
	s_mul_i32 s2, s4, s15
	s_ashr_i32 s1, s0, 31
	s_delay_alu instid0(SALU_CYCLE_1) | instskip(NEXT) | instid1(SALU_CYCLE_1)
	s_lshl_b64 s[0:1], s[0:1], 1
	s_add_u32 s4, s5, s0
	s_addc_u32 s5, s3, s1
	s_ashr_i32 s3, s2, 31
	s_delay_alu instid0(SALU_CYCLE_1) | instskip(NEXT) | instid1(SALU_CYCLE_1)
	s_lshl_b64 s[0:1], s[2:3], 1
	s_add_u32 s0, s4, s0
	s_addc_u32 s1, s5, s1
	global_store_b128 v4, v[0:3], s[0:1]
	s_nop 0
	s_sendmsg sendmsg(MSG_DEALLOC_VGPRS)
	s_endpgm
	.section	.rodata,"a",@progbits
	.p2align	6, 0x0
	.amdhsa_kernel _Z39paged_attention_ll4mi_QKV_mfma16_kernelIDF16_DF16_LN4vllm18Fp8KVCacheDataTypeE0EDF16_Li16ELi64ELi256ELb1ELi1EL8MFMAType0EEvPKT_PKT0_S8_ifPKiSA_SA_iPKfiiiPfSD_PS3_PT2_iSC_SC_
		.amdhsa_group_segment_fixed_size 17472
		.amdhsa_private_segment_fixed_size 0
		.amdhsa_kernarg_size 400
		.amdhsa_user_sgpr_count 13
		.amdhsa_user_sgpr_dispatch_ptr 0
		.amdhsa_user_sgpr_queue_ptr 0
		.amdhsa_user_sgpr_kernarg_segment_ptr 1
		.amdhsa_user_sgpr_dispatch_id 0
		.amdhsa_user_sgpr_private_segment_size 0
		.amdhsa_wavefront_size32 1
		.amdhsa_uses_dynamic_stack 0
		.amdhsa_enable_private_segment 0
		.amdhsa_system_sgpr_workgroup_id_x 1
		.amdhsa_system_sgpr_workgroup_id_y 1
		.amdhsa_system_sgpr_workgroup_id_z 1
		.amdhsa_system_sgpr_workgroup_info 0
		.amdhsa_system_vgpr_workitem_id 0
		.amdhsa_next_free_vgpr 195
		.amdhsa_next_free_sgpr 70
		.amdhsa_reserve_vcc 1
		.amdhsa_float_round_mode_32 0
		.amdhsa_float_round_mode_16_64 0
		.amdhsa_float_denorm_mode_32 3
		.amdhsa_float_denorm_mode_16_64 3
		.amdhsa_dx10_clamp 1
		.amdhsa_ieee_mode 1
		.amdhsa_fp16_overflow 0
		.amdhsa_workgroup_processor_mode 1
		.amdhsa_memory_ordered 1
		.amdhsa_forward_progress 0
		.amdhsa_shared_vgpr_count 0
		.amdhsa_exception_fp_ieee_invalid_op 0
		.amdhsa_exception_fp_denorm_src 0
		.amdhsa_exception_fp_ieee_div_zero 0
		.amdhsa_exception_fp_ieee_overflow 0
		.amdhsa_exception_fp_ieee_underflow 0
		.amdhsa_exception_fp_ieee_inexact 0
		.amdhsa_exception_int_div_zero 0
	.end_amdhsa_kernel
	.section	.text._Z39paged_attention_ll4mi_QKV_mfma16_kernelIDF16_DF16_LN4vllm18Fp8KVCacheDataTypeE0EDF16_Li16ELi64ELi256ELb1ELi1EL8MFMAType0EEvPKT_PKT0_S8_ifPKiSA_SA_iPKfiiiPfSD_PS3_PT2_iSC_SC_,"axG",@progbits,_Z39paged_attention_ll4mi_QKV_mfma16_kernelIDF16_DF16_LN4vllm18Fp8KVCacheDataTypeE0EDF16_Li16ELi64ELi256ELb1ELi1EL8MFMAType0EEvPKT_PKT0_S8_ifPKiSA_SA_iPKfiiiPfSD_PS3_PT2_iSC_SC_,comdat
.Lfunc_end82:
	.size	_Z39paged_attention_ll4mi_QKV_mfma16_kernelIDF16_DF16_LN4vllm18Fp8KVCacheDataTypeE0EDF16_Li16ELi64ELi256ELb1ELi1EL8MFMAType0EEvPKT_PKT0_S8_ifPKiSA_SA_iPKfiiiPfSD_PS3_PT2_iSC_SC_, .Lfunc_end82-_Z39paged_attention_ll4mi_QKV_mfma16_kernelIDF16_DF16_LN4vllm18Fp8KVCacheDataTypeE0EDF16_Li16ELi64ELi256ELb1ELi1EL8MFMAType0EEvPKT_PKT0_S8_ifPKiSA_SA_iPKfiiiPfSD_PS3_PT2_iSC_SC_
                                        ; -- End function
	.section	.AMDGPU.csdata,"",@progbits
; Kernel info:
; codeLenInByte = 7512
; NumSgprs: 72
; NumVgprs: 195
; ScratchSize: 0
; MemoryBound: 1
; FloatMode: 240
; IeeeMode: 1
; LDSByteSize: 17472 bytes/workgroup (compile time only)
; SGPRBlocks: 8
; VGPRBlocks: 24
; NumSGPRsForWavesPerEU: 72
; NumVGPRsForWavesPerEU: 195
; Occupancy: 7
; WaveLimiterHint : 1
; COMPUTE_PGM_RSRC2:SCRATCH_EN: 0
; COMPUTE_PGM_RSRC2:USER_SGPR: 13
; COMPUTE_PGM_RSRC2:TRAP_HANDLER: 0
; COMPUTE_PGM_RSRC2:TGID_X_EN: 1
; COMPUTE_PGM_RSRC2:TGID_Y_EN: 1
; COMPUTE_PGM_RSRC2:TGID_Z_EN: 1
; COMPUTE_PGM_RSRC2:TIDIG_COMP_CNT: 0
	.section	.text._Z39paged_attention_ll4mi_QKV_mfma16_kernelIDF16_DF16_LN4vllm18Fp8KVCacheDataTypeE0EDF16_Li16ELi64ELi256ELb1ELi2EL8MFMAType0EEvPKT_PKT0_S8_ifPKiSA_SA_iPKfiiiPfSD_PS3_PT2_iSC_SC_,"axG",@progbits,_Z39paged_attention_ll4mi_QKV_mfma16_kernelIDF16_DF16_LN4vllm18Fp8KVCacheDataTypeE0EDF16_Li16ELi64ELi256ELb1ELi2EL8MFMAType0EEvPKT_PKT0_S8_ifPKiSA_SA_iPKfiiiPfSD_PS3_PT2_iSC_SC_,comdat
	.protected	_Z39paged_attention_ll4mi_QKV_mfma16_kernelIDF16_DF16_LN4vllm18Fp8KVCacheDataTypeE0EDF16_Li16ELi64ELi256ELb1ELi2EL8MFMAType0EEvPKT_PKT0_S8_ifPKiSA_SA_iPKfiiiPfSD_PS3_PT2_iSC_SC_ ; -- Begin function _Z39paged_attention_ll4mi_QKV_mfma16_kernelIDF16_DF16_LN4vllm18Fp8KVCacheDataTypeE0EDF16_Li16ELi64ELi256ELb1ELi2EL8MFMAType0EEvPKT_PKT0_S8_ifPKiSA_SA_iPKfiiiPfSD_PS3_PT2_iSC_SC_
	.globl	_Z39paged_attention_ll4mi_QKV_mfma16_kernelIDF16_DF16_LN4vllm18Fp8KVCacheDataTypeE0EDF16_Li16ELi64ELi256ELb1ELi2EL8MFMAType0EEvPKT_PKT0_S8_ifPKiSA_SA_iPKfiiiPfSD_PS3_PT2_iSC_SC_
	.p2align	8
	.type	_Z39paged_attention_ll4mi_QKV_mfma16_kernelIDF16_DF16_LN4vllm18Fp8KVCacheDataTypeE0EDF16_Li16ELi64ELi256ELb1ELi2EL8MFMAType0EEvPKT_PKT0_S8_ifPKiSA_SA_iPKfiiiPfSD_PS3_PT2_iSC_SC_,@function
_Z39paged_attention_ll4mi_QKV_mfma16_kernelIDF16_DF16_LN4vllm18Fp8KVCacheDataTypeE0EDF16_Li16ELi64ELi256ELb1ELi2EL8MFMAType0EEvPKT_PKT0_S8_ifPKiSA_SA_iPKfiiiPfSD_PS3_PT2_iSC_SC_: ; @_Z39paged_attention_ll4mi_QKV_mfma16_kernelIDF16_DF16_LN4vllm18Fp8KVCacheDataTypeE0EDF16_Li16ELi64ELi256ELb1ELi2EL8MFMAType0EEvPKT_PKT0_S8_ifPKiSA_SA_iPKfiiiPfSD_PS3_PT2_iSC_SC_
; %bb.0:
	s_load_b64 s[2:3], s[0:1], 0x30
	s_mov_b32 s30, s13
	s_waitcnt lgkmcnt(0)
	s_cmp_lg_u64 s[2:3], 0
	s_cselect_b32 s8, -1, 0
	s_ashr_i32 s31, s13, 31
	s_cmp_eq_u64 s[2:3], 0
	s_cbranch_scc1 .LBB83_3
; %bb.1:
	s_lshl_b64 s[4:5], s[30:31], 2
	s_delay_alu instid0(SALU_CYCLE_1) | instskip(SKIP_4) | instid1(SALU_CYCLE_1)
	s_add_u32 s4, s2, s4
	s_addc_u32 s5, s3, s5
	s_load_b64 s[4:5], s[4:5], 0x0
	s_waitcnt lgkmcnt(0)
	s_sub_i32 s4, s5, s4
	s_cmp_eq_u32 s4, 1
	s_cselect_b32 s4, -1, 0
	s_delay_alu instid0(SALU_CYCLE_1)
	s_and_not1_b32 vcc_lo, exec_lo, s4
	s_cbranch_vccz .LBB83_4
.LBB83_2:
	s_endpgm
.LBB83_3:
.LBB83_4:
	s_load_b64 s[4:5], s[0:1], 0x28
	s_lshl_b64 s[6:7], s[30:31], 2
	s_waitcnt lgkmcnt(0)
	s_add_u32 s4, s4, s6
	s_addc_u32 s5, s5, s7
	s_lshl_b32 s29, s14, 8
	s_load_b32 s28, s[4:5], 0x0
	s_waitcnt lgkmcnt(0)
	s_cmp_ge_i32 s29, s28
	s_cbranch_scc1 .LBB83_2
; %bb.5:
	s_clause 0x1
	s_load_b128 s[20:23], s[0:1], 0x8
	s_load_b64 s[4:5], s[0:1], 0x20
	s_and_not1_b32 vcc_lo, exec_lo, s8
	s_cbranch_vccnz .LBB83_7
; %bb.6:
	s_add_u32 s2, s2, s6
	s_addc_u32 s3, s3, s7
	s_load_b32 s3, s[2:3], 0x0
	s_branch .LBB83_8
.LBB83_7:
	s_mov_b32 s3, s30
.LBB83_8:
	s_load_b128 s[16:19], s[0:1], 0x48
	v_and_b32_e32 v142, 15, v0
	v_bfe_u32 v141, v0, 4, 1
	s_lshl_b32 s33, s15, 1
	v_cmp_gt_u32_e32 vcc_lo, 32, v0
	v_and_b32_e32 v143, 31, v0
	v_lshlrev_b32_e32 v1, 3, v142
	v_cmp_gt_u32_e64 s2, 8, v142
	v_and_b32_e32 v140, 1, v0
	v_or_b32_e32 v139, s33, v141
	v_lshlrev_b32_e32 v138, 6, v141
	v_lshlrev_b32_e32 v137, 1, v1
	s_and_b32 s31, vcc_lo, s2
	s_delay_alu instid0(SALU_CYCLE_1)
	s_and_saveexec_b32 s2, s31
	s_cbranch_execz .LBB83_10
; %bb.9:
	s_load_b64 s[6:7], s[0:1], 0x0
	v_lshlrev_b32_e32 v1, 6, v139
	s_waitcnt lgkmcnt(0)
	s_mul_hi_i32 s9, s3, s16
	s_mul_i32 s8, s3, s16
	v_lshlrev_b32_e32 v5, 10, v142
	s_lshl_b64 s[8:9], s[8:9], 1
	v_ashrrev_i32_e32 v2, 31, v1
	v_lshlrev_b32_e32 v6, 10, v140
	s_delay_alu instid0(VALU_DEP_3) | instskip(NEXT) | instid1(VALU_DEP_3)
	v_and_b32_e32 v5, 0x3800, v5
	v_lshlrev_b64 v[1:2], 1, v[1:2]
	s_delay_alu instid0(VALU_DEP_2) | instskip(SKIP_2) | instid1(VALU_DEP_2)
	v_or3_b32 v5, v5, v6, v138
	s_add_u32 s3, s6, s8
	s_addc_u32 s6, s7, s9
	v_add_co_u32 v1, vcc_lo, s3, v1
	s_delay_alu instid0(VALU_DEP_3) | instskip(NEXT) | instid1(VALU_DEP_2)
	v_add_co_ci_u32_e32 v2, vcc_lo, s6, v2, vcc_lo
	v_add_co_u32 v1, vcc_lo, v1, v137
	s_delay_alu instid0(VALU_DEP_2)
	v_add_co_ci_u32_e32 v2, vcc_lo, 0, v2, vcc_lo
	global_load_b128 v[1:4], v[1:2], off
	s_waitcnt vmcnt(0)
	ds_store_b128 v5, v[1:4]
.LBB83_10:
	s_or_b32 exec_lo, exec_lo, s2
	v_and_b32_e32 v1, 0xef, v0
	s_waitcnt lgkmcnt(0)
	s_add_i32 s3, s28, 15
	s_clause 0x1
	s_load_b32 s2, s[0:1], 0x38
	s_load_b32 s34, s[0:1], 0x98
	s_ashr_i32 s6, s3, 31
	v_add_nc_u32_e32 v1, s29, v1
	s_lshr_b32 s6, s6, 28
	s_load_b32 s35, s[0:1], 0x1c
	s_add_i32 s3, s3, s6
	s_waitcnt lgkmcnt(0)
	v_ashrrev_i32_e32 v2, 31, v1
	v_cmp_gt_i32_e32 vcc_lo, s28, v1
	s_ashr_i32 s16, s3, 4
	s_barrier
	s_add_i32 s16, s16, -1
	v_lshrrev_b32_e32 v3, 28, v2
	v_or_b32_e32 v2, 16, v1
	buffer_gl0_inv
	v_lshlrev_b32_e32 v145, 6, v140
	v_lshrrev_b32_e32 v144, 5, v0
	v_add_nc_u32_e32 v4, v1, v3
	v_add_nc_u32_e32 v3, v2, v3
	s_mul_i32 s2, s30, s2
	v_lshlrev_b32_e32 v49, 5, v142
	s_ashr_i32 s3, s2, 31
	v_ashrrev_i32_e32 v4, 4, v4
	v_ashrrev_i32_e32 v3, 4, v3
	s_lshl_b64 s[2:3], s[2:3], 2
	v_lshl_or_b32 v49, v144, 9, v49
	s_add_u32 s36, s4, s2
	v_cndmask_b32_e32 v1, s16, v4, vcc_lo
	v_cmp_gt_i32_e32 vcc_lo, s28, v2
	s_addc_u32 s37, s5, s3
	s_mul_i32 s2, s15, s18
	s_delay_alu instid0(SALU_CYCLE_1) | instskip(SKIP_3) | instid1(SALU_CYCLE_1)
	s_ashr_i32 s3, s2, 31
	v_cndmask_b32_e32 v3, s16, v3, vcc_lo
	v_ashrrev_i32_e32 v2, 31, v1
	s_lshl_b64 s[2:3], s[2:3], 1
	s_add_u32 s24, s20, s2
	s_delay_alu instid0(VALU_DEP_2) | instskip(NEXT) | instid1(VALU_DEP_2)
	v_ashrrev_i32_e32 v4, 31, v3
	v_lshlrev_b64 v[1:2], 2, v[1:2]
	s_addc_u32 s25, s21, s3
	s_lshl_b32 s4, s14, 4
	s_delay_alu instid0(VALU_DEP_2) | instskip(SKIP_1) | instid1(VALU_DEP_2)
	v_lshlrev_b64 v[3:4], 2, v[3:4]
	s_ashr_i32 s5, s4, 31
	v_add_co_u32 v1, vcc_lo, s36, v1
	v_add_co_ci_u32_e32 v2, vcc_lo, s37, v2, vcc_lo
	s_delay_alu instid0(VALU_DEP_3) | instskip(NEXT) | instid1(VALU_DEP_4)
	v_add_co_u32 v3, vcc_lo, s36, v3
	v_add_co_ci_u32_e32 v4, vcc_lo, s37, v4, vcc_lo
	s_lshl_b64 s[4:5], s[4:5], 2
	s_clause 0x1
	global_load_b32 v5, v[1:2], off
	global_load_b32 v6, v[3:4], off
	s_add_u32 s4, s36, s4
	s_addc_u32 s5, s37, s5
	s_or_b32 s6, s29, 16
	v_lshlrev_b32_e32 v3, 4, v0
	s_ashr_i32 s7, s6, 4
	s_cmp_lt_i32 s6, s28
	s_cselect_b32 s6, s7, s16
	s_delay_alu instid0(SALU_CYCLE_1) | instskip(NEXT) | instid1(SALU_CYCLE_1)
	s_ashr_i32 s7, s6, 31
	s_lshl_b64 s[6:7], s[6:7], 2
	s_delay_alu instid0(SALU_CYCLE_1) | instskip(SKIP_2) | instid1(SALU_CYCLE_1)
	s_add_u32 s6, s36, s6
	s_addc_u32 s7, s37, s7
	s_or_b32 s8, s29, 32
	s_ashr_i32 s9, s8, 4
	s_cmp_lt_i32 s8, s28
	s_cselect_b32 s8, s9, s16
	s_delay_alu instid0(SALU_CYCLE_1) | instskip(NEXT) | instid1(SALU_CYCLE_1)
	s_ashr_i32 s9, s8, 31
	s_lshl_b64 s[8:9], s[8:9], 2
	s_delay_alu instid0(SALU_CYCLE_1) | instskip(SKIP_2) | instid1(SALU_CYCLE_1)
	s_add_u32 s8, s36, s8
	s_addc_u32 s9, s37, s9
	s_or_b32 s10, s29, 48
	;; [unrolled: 10-line block ×4, first 2 shown]
	s_ashr_i32 s13, s12, 4
	s_cmp_lt_i32 s12, s28
	s_cselect_b32 s12, s13, s16
	s_delay_alu instid0(SALU_CYCLE_1) | instskip(NEXT) | instid1(SALU_CYCLE_1)
	s_ashr_i32 s13, s12, 31
	s_lshl_b64 s[12:13], s[12:13], 2
	s_delay_alu instid0(SALU_CYCLE_1)
	s_add_u32 s20, s36, s12
	s_addc_u32 s21, s37, s13
	s_clause 0x5
	s_load_b32 s40, s[4:5], 0x0
	s_load_b32 s27, s[6:7], 0x0
	;; [unrolled: 1-line block ×6, first 2 shown]
	s_waitcnt vmcnt(1)
	v_mad_i64_i32 v[1:2], null, v5, s17, 0
	v_and_b32_e32 v5, 0xf0, v3
	s_waitcnt vmcnt(0)
	v_mad_i64_i32 v[3:4], null, v6, s17, 0
	s_delay_alu instid0(VALU_DEP_2) | instskip(NEXT) | instid1(VALU_DEP_4)
	v_add_co_u32 v5, s4, s24, v5
	v_lshlrev_b64 v[1:2], 1, v[1:2]
	v_add_co_ci_u32_e64 v6, null, s25, 0, s4
	s_delay_alu instid0(VALU_DEP_4) | instskip(SKIP_1) | instid1(VALU_DEP_3)
	v_lshlrev_b64 v[3:4], 1, v[3:4]
	s_or_b32 s4, s29, 0x60
	v_add_co_u32 v41, vcc_lo, v5, v1
	s_delay_alu instid0(VALU_DEP_3) | instskip(NEXT) | instid1(VALU_DEP_3)
	v_add_co_ci_u32_e32 v42, vcc_lo, v6, v2, vcc_lo
	v_add_co_u32 v43, vcc_lo, v5, v3
	s_delay_alu instid0(VALU_DEP_4)
	v_add_co_ci_u32_e32 v44, vcc_lo, v6, v4, vcc_lo
	s_clause 0xf
	global_load_b128 v[1:4], v[41:42], off
	global_load_b128 v[5:8], v[41:42], off offset:256
	global_load_b128 v[25:28], v[43:44], off
	global_load_b128 v[29:32], v[43:44], off offset:256
	global_load_b128 v[9:12], v[41:42], off offset:512
	;; [unrolled: 1-line block ×13, first 2 shown]
	s_ashr_i32 s5, s4, 4
	s_cmp_lt_i32 s4, s28
	ds_load_b128 v[41:44], v145
	ds_load_b128 v[45:48], v145 offset:1024
	s_cselect_b32 s4, s5, s16
	ds_load_b128 v[170:173], v145 offset:2048
	ds_load_b128 v[174:177], v145 offset:3072
	s_ashr_i32 s5, s4, 31
	ds_load_b128 v[178:181], v145 offset:4096
	ds_load_b128 v[182:185], v145 offset:5120
	s_lshl_b64 s[4:5], s[4:5], 2
	s_delay_alu instid0(SALU_CYCLE_1)
	s_add_u32 s18, s36, s4
	s_addc_u32 s19, s37, s5
	s_or_b32 s4, s29, 0x70
	s_load_b32 s46, s[18:19], 0x0
	s_ashr_i32 s5, s4, 4
	s_cmp_lt_i32 s4, s28
	s_cselect_b32 s4, s5, s16
	s_delay_alu instid0(SALU_CYCLE_1) | instskip(NEXT) | instid1(SALU_CYCLE_1)
	s_ashr_i32 s5, s4, 31
	s_lshl_b64 s[6:7], s[4:5], 2
	s_mov_b32 s4, 0
	s_add_u32 s20, s36, s6
	s_addc_u32 s21, s37, s7
	s_or_b32 s5, s29, 0x80
	s_load_b32 s47, s[20:21], 0x0
	s_ashr_i32 s6, s5, 4
	s_cmp_lt_i32 s5, s28
	s_mov_b32 s11, s4
	s_cselect_b32 s6, s6, s16
	s_mov_b32 s5, s4
	s_ashr_i32 s7, s6, 31
	s_mov_b32 s10, s4
	s_lshl_b64 s[8:9], s[6:7], 2
	s_mov_b32 s6, s4
	s_add_u32 s24, s36, s8
	s_addc_u32 s25, s37, s9
	s_or_b32 s8, s29, 0x90
	s_load_b32 s48, s[24:25], 0x0
	s_ashr_i32 s9, s8, 4
	s_cmp_lt_i32 s8, s28
	s_mov_b32 s7, s4
	s_cselect_b32 s38, s9, s16
	s_mov_b32 s8, s4
	s_ashr_i32 s39, s38, 31
	s_mov_b32 s9, s4
	s_lshl_b64 s[38:39], s[38:39], 2
	v_mov_b32_e32 v136, s11
	s_add_u32 s38, s36, s38
	s_addc_u32 s39, s37, s39
	s_or_b32 s41, s29, 0xa0
	v_mov_b32_e32 v135, s10
	s_ashr_i32 s42, s41, 4
	s_cmp_lt_i32 s41, s28
	s_load_b32 s41, s[38:39], 0x0
	v_dual_mov_b32 v134, s9 :: v_dual_mov_b32 v133, s8
	v_dual_mov_b32 v132, s7 :: v_dual_mov_b32 v131, s6
	;; [unrolled: 1-line block ×3, first 2 shown]
	s_cselect_b32 s4, s42, s16
	s_waitcnt lgkmcnt(0)
	s_mul_hi_i32 s7, s27, s17
	s_ashr_i32 s5, s4, 31
	s_mul_hi_i32 s19, s15, s17
	s_lshl_b64 s[4:5], s[4:5], 2
	s_mul_hi_i32 s11, s13, s17
	s_add_u32 s42, s36, s4
	s_addc_u32 s43, s37, s5
	s_or_b32 s4, s29, 0xb0
	s_mul_hi_i32 s5, s40, s17
	s_ashr_i32 s6, s4, 4
	s_cmp_lt_i32 s4, s28
	s_mul_i32 s4, s40, s17
	s_cselect_b32 s8, s6, s16
	s_mul_i32 s6, s27, s17
	s_ashr_i32 s9, s8, 31
	s_mul_hi_i32 s25, s47, s17
	s_lshl_b64 s[8:9], s[8:9], 2
	s_mul_i32 s24, s47, s17
	s_add_u32 s44, s36, s8
	s_addc_u32 s45, s37, s9
	s_or_b32 s8, s29, 0xc0
	s_mul_hi_i32 s9, s26, s17
	s_ashr_i32 s10, s8, 4
	s_cmp_lt_i32 s8, s28
	s_mul_i32 s8, s26, s17
	s_cselect_b32 s26, s10, s16
	s_mul_i32 s10, s13, s17
	s_ashr_i32 s27, s26, 31
	s_mul_hi_i32 s13, s12, s17
	s_lshl_b64 s[26:27], s[26:27], 2
	s_mul_i32 s12, s12, s17
	s_add_u32 s26, s36, s26
	s_addc_u32 s27, s37, s27
	s_or_b32 s40, s29, 0xd0
	s_delay_alu instid0(SALU_CYCLE_1)
	s_ashr_i32 s18, s40, 4
	s_cmp_lt_i32 s40, s28
	s_load_b32 s40, s[42:43], 0x0
	s_cselect_b32 s20, s18, s16
	s_mul_i32 s18, s15, s17
	s_ashr_i32 s21, s20, 31
	s_mul_hi_i32 s43, s41, s17
	s_lshl_b64 s[20:21], s[20:21], 2
	s_delay_alu instid0(SALU_CYCLE_1)
	s_add_u32 s20, s36, s20
	s_addc_u32 s21, s37, s21
	s_or_b32 s42, s29, 0xe0
	s_clause 0x2
	s_load_b32 s39, s[44:45], 0x0
	s_load_b32 s38, s[26:27], 0x0
	;; [unrolled: 1-line block ×3, first 2 shown]
	s_ashr_i32 s49, s42, 4
	s_cmp_lt_i32 s42, s28
	s_mul_hi_i32 s21, s46, s17
	s_cselect_b32 s44, s49, s16
	s_mul_i32 s20, s46, s17
	s_ashr_i32 s45, s44, 31
	s_mul_hi_i32 s27, s48, s17
	s_lshl_b64 s[44:45], s[44:45], 2
	s_mul_i32 s26, s48, s17
	s_add_u32 s44, s36, s44
	s_addc_u32 s45, s37, s45
	s_or_b32 s46, s29, 0xf0
	s_mul_i32 s42, s41, s17
	s_ashr_i32 s48, s46, 4
	s_cmp_lt_i32 s46, s28
	s_waitcnt lgkmcnt(0)
	s_mul_hi_i32 s41, s40, s17
	s_cselect_b32 s48, s48, s16
	s_mul_i32 s40, s40, s17
	s_ashr_i32 s49, s48, 31
	s_mul_hi_i32 s51, s15, s17
	s_lshl_b64 s[48:49], s[48:49], 2
	s_mul_i32 s50, s15, s17
	s_add_u32 s36, s36, s48
	s_addc_u32 s37, s37, s49
	s_add_u32 s15, s22, s2
	s_addc_u32 s16, s23, s3
	v_add_co_u32 v200, s15, s15, v49
	s_delay_alu instid0(VALU_DEP_1) | instskip(SKIP_2) | instid1(VALU_DEP_2)
	v_add_co_ci_u32_e64 v201, null, s16, 0, s15
	s_lshl_b64 s[2:3], s[4:5], 1
	s_lshl_b64 s[4:5], s[6:7], 1
	v_add_co_u32 v49, vcc_lo, v200, s2
	s_delay_alu instid0(VALU_DEP_2)
	v_add_co_ci_u32_e32 v50, vcc_lo, s3, v201, vcc_lo
	v_add_co_u32 v51, vcc_lo, v200, s4
	s_lshl_b64 s[6:7], s[8:9], 1
	v_add_co_ci_u32_e32 v52, vcc_lo, s5, v201, vcc_lo
	v_add_co_u32 v53, vcc_lo, v200, s6
	s_lshl_b64 s[8:9], s[10:11], 1
	;; [unrolled: 3-line block ×7, first 2 shown]
	v_add_co_ci_u32_e32 v64, vcc_lo, s21, v201, vcc_lo
	s_clause 0x1
	s_load_b32 s15, s[44:45], 0x0
	s_load_b32 s16, s[36:37], 0x0
	v_add_co_u32 v186, vcc_lo, v200, s22
	s_lshl_b64 s[24:25], s[42:43], 1
	v_add_co_ci_u32_e32 v187, vcc_lo, s23, v201, vcc_lo
	v_add_co_u32 v194, vcc_lo, v200, s24
	s_lshl_b64 s[26:27], s[40:41], 1
	s_mul_hi_i32 s47, s39, s17
	s_mul_i32 s46, s39, s17
	v_add_co_ci_u32_e32 v195, vcc_lo, s25, v201, vcc_lo
	v_add_co_u32 v196, vcc_lo, v200, s26
	s_lshl_b64 s[40:41], s[46:47], 1
	s_mul_hi_i32 s39, s38, s17
	s_mul_i32 s38, s38, s17
	v_add_co_ci_u32_e32 v197, vcc_lo, s27, v201, vcc_lo
	v_add_co_u32 v198, vcc_lo, v200, s40
	s_lshl_b64 s[38:39], s[38:39], 1
	v_add_co_ci_u32_e32 v199, vcc_lo, s41, v201, vcc_lo
	s_clause 0x11
	global_load_b128 v[121:124], v[49:50], off
	global_load_b128 v[125:128], v[49:50], off offset:16
	global_load_b128 v[113:116], v[51:52], off
	global_load_b128 v[117:120], v[51:52], off offset:16
	;; [unrolled: 2-line block ×9, first 2 shown]
	s_lshl_b64 s[2:3], s[50:51], 1
	s_waitcnt lgkmcnt(0)
	s_mul_hi_i32 s5, s15, s17
	s_mul_i32 s4, s15, s17
	s_waitcnt vmcnt(32)
	v_wmma_f32_16x16x16_f16 v[186:193], v[1:8], v[41:48], v[129:136]
	s_waitcnt vmcnt(30)
	v_wmma_f32_16x16x16_f16 v[129:136], v[25:32], v[41:48], v[129:136]
	v_add_co_u32 v41, vcc_lo, v200, s38
	v_add_co_ci_u32_e32 v42, vcc_lo, s39, v201, vcc_lo
	s_clause 0x5
	global_load_b128 v[49:52], v[194:195], off
	global_load_b128 v[53:56], v[194:195], off offset:16
	global_load_b128 v[25:28], v[196:197], off
	global_load_b128 v[29:32], v[196:197], off offset:16
	;; [unrolled: 2-line block ×3, first 2 shown]
	s_waitcnt vmcnt(34)
	v_wmma_f32_16x16x16_f16 v[186:193], v[9:16], v[170:177], v[186:193]
	s_clause 0x1
	global_load_b128 v[9:12], v[41:42], off
	global_load_b128 v[13:16], v[41:42], off offset:16
	v_add_co_u32 v41, vcc_lo, v200, s2
	v_add_co_ci_u32_e32 v42, vcc_lo, s3, v201, vcc_lo
	s_lshl_b64 s[2:3], s[4:5], 1
	s_mul_hi_i32 s5, s16, s17
	s_mul_i32 s4, s16, s17
	v_add_co_u32 v45, vcc_lo, v200, s2
	v_add_co_ci_u32_e32 v46, vcc_lo, s3, v201, vcc_lo
	s_lshl_b64 s[2:3], s[4:5], 1
	s_waitcnt vmcnt(34)
	v_wmma_f32_16x16x16_f16 v[129:136], v[33:40], v[170:177], v[129:136]
	v_add_co_u32 v170, vcc_lo, v200, s2
	v_add_co_ci_u32_e32 v171, vcc_lo, s3, v201, vcc_lo
	s_clause 0x3
	global_load_b128 v[33:36], v[41:42], off
	global_load_b128 v[37:40], v[41:42], off offset:16
	global_load_b128 v[41:44], v[45:46], off
	global_load_b128 v[45:48], v[45:46], off offset:16
	s_waitcnt vmcnt(36)
	v_wmma_f32_16x16x16_f16 v[186:193], v[17:24], v[178:185], v[186:193]
	s_clause 0x1
	global_load_b128 v[17:20], v[170:171], off
	global_load_b128 v[21:24], v[170:171], off offset:16
	s_waitcnt vmcnt(36)
	v_wmma_f32_16x16x16_f16 v[129:136], v[146:153], v[178:185], v[129:136]
	ds_load_b128 v[146:149], v145 offset:6144
	ds_load_b128 v[150:153], v145 offset:7168
	v_and_b32_e32 v170, 0xe0, v0
	v_mbcnt_lo_u32_b32 v171, -1, 0
	s_waitcnt vmcnt(0) lgkmcnt(0)
	s_barrier
	buffer_gl0_inv
	v_add_nc_u32_e32 v170, s29, v170
	v_xor_b32_e32 v145, 16, v171
	s_delay_alu instid0(VALU_DEP_2) | instskip(NEXT) | instid1(VALU_DEP_2)
	v_or_b32_e32 v170, v170, v141
	v_cmp_gt_i32_e32 vcc_lo, 32, v145
	s_delay_alu instid0(VALU_DEP_2)
	v_or_b32_e32 v172, 4, v170
	v_or_b32_e32 v173, 6, v170
	;; [unrolled: 1-line block ×4, first 2 shown]
	v_wmma_f32_16x16x16_f16 v[186:193], v[154:161], v[146:153], v[186:193]
	v_wmma_f32_16x16x16_f16 v[129:136], v[162:169], v[146:153], v[129:136]
	v_cndmask_b32_e32 v145, v171, v145, vcc_lo
	v_or_b32_e32 v171, 2, v170
	v_cmp_gt_i32_e32 vcc_lo, s28, v170
	v_mul_f32_e32 v152, s35, v187
	v_dual_mul_f32 v158, s35, v135 :: v_dual_mul_f32 v153, s35, v186
	s_delay_alu instid0(VALU_DEP_4) | instskip(SKIP_2) | instid1(VALU_DEP_4)
	v_cmp_gt_i32_e64 s2, s28, v171
	v_dual_mul_f32 v150, s35, v189 :: v_dual_mul_f32 v151, s35, v188
	v_mul_f32_e32 v164, s35, v129
	v_cndmask_b32_e32 v153, 0xff7fffff, v153, vcc_lo
	s_delay_alu instid0(VALU_DEP_4)
	v_cndmask_b32_e64 v152, 0xff7fffff, v152, s2
	v_cmp_gt_i32_e64 s3, s28, v172
	v_cmp_gt_i32_e64 s4, s28, v173
	v_or_b32_e32 v176, 12, v170
	v_or_b32_e32 v177, 14, v170
	v_dual_mul_f32 v148, s35, v191 :: v_dual_mul_f32 v149, s35, v190
	v_mul_f32_e32 v162, s35, v131
	v_cndmask_b32_e64 v151, 0xff7fffff, v151, s3
	v_cndmask_b32_e64 v150, 0xff7fffff, v150, s4
	v_max3_f32 v152, v153, 0xff7fffff, v152
	v_cmp_gt_i32_e64 s5, s28, v174
	v_cmp_gt_i32_e64 s6, s28, v175
	v_or_b32_e32 v178, 16, v170
	v_or_b32_e32 v179, 18, v170
	v_dual_mul_f32 v146, s35, v193 :: v_dual_mul_f32 v147, s35, v192
	v_mul_f32_e32 v160, s35, v133
	v_cndmask_b32_e64 v149, 0xff7fffff, v149, s5
	v_cndmask_b32_e64 v148, 0xff7fffff, v148, s6
	v_max3_f32 v150, v152, v151, v150
	v_cmp_gt_i32_e64 s7, s28, v176
	v_cmp_gt_i32_e64 s8, s28, v177
	v_or_b32_e32 v180, 20, v170
	v_or_b32_e32 v181, 22, v170
	v_mul_f32_e32 v163, s35, v130
	v_cndmask_b32_e64 v147, 0xff7fffff, v147, s7
	v_cndmask_b32_e64 v146, 0xff7fffff, v146, s8
	v_max3_f32 v148, v150, v149, v148
	v_cmp_gt_i32_e64 s9, s28, v178
	v_cmp_gt_i32_e64 s10, s28, v179
	v_or_b32_e32 v182, 24, v170
	v_or_b32_e32 v154, 26, v170
	;; [unrolled: 8-line block ×3, first 2 shown]
	v_mul_f32_e32 v159, s35, v134
	v_cndmask_b32_e64 v147, 0xff7fffff, v162, s11
	v_cndmask_b32_e64 v148, 0xff7fffff, v161, s12
	v_max3_f32 v146, v146, v149, v150
	v_cmp_gt_i32_e64 s13, s28, v182
	v_cmp_gt_i32_e64 s15, s28, v154
	v_mul_f32_e32 v157, s35, v136
	v_cmp_gt_i32_e64 s16, s28, v155
	v_max3_f32 v146, v146, v147, v148
	v_cndmask_b32_e64 v149, 0xff7fffff, v160, s13
	v_cndmask_b32_e64 v150, 0xff7fffff, v159, s15
	v_cmp_gt_i32_e64 s17, s28, v156
	v_cndmask_b32_e64 v147, 0xff7fffff, v158, s16
	v_lshlrev_b32_e32 v162, 2, v145
	s_delay_alu instid0(VALU_DEP_4) | instskip(NEXT) | instid1(VALU_DEP_4)
	v_max3_f32 v146, v146, v149, v150
	v_cndmask_b32_e64 v148, 0xff7fffff, v157, s17
	s_delay_alu instid0(VALU_DEP_1) | instskip(SKIP_3) | instid1(VALU_DEP_1)
	v_max3_f32 v145, v146, v147, v148
	ds_bpermute_b32 v146, v162, v145
	s_waitcnt lgkmcnt(0)
	v_max_f32_e32 v146, v146, v146
	v_max_f32_e32 v161, v145, v146
	s_delay_alu instid0(VALU_DEP_1) | instskip(NEXT) | instid1(VALU_DEP_1)
	v_fma_f32 v132, s35, v132, -v161
	v_mul_f32_e32 v132, 0x3fb8aa3b, v132
	v_fma_f32 v147, s35, v188, -v161
	v_fma_f32 v148, s35, v189, -v161
	v_fma_f32 v130, s35, v130, -v161
	v_fma_f32 v145, s35, v186, -v161
	v_fma_f32 v146, s35, v187, -v161
	s_delay_alu instid0(VALU_DEP_4) | instskip(NEXT) | instid1(VALU_DEP_4)
	v_dual_mul_f32 v147, 0x3fb8aa3b, v147 :: v_dual_mul_f32 v148, 0x3fb8aa3b, v148
	v_mul_f32_e32 v130, 0x3fb8aa3b, v130
	v_fma_f32 v154, s35, v193, -v161
	v_mul_f32_e32 v145, 0x3fb8aa3b, v145
	s_delay_alu instid0(VALU_DEP_4)
	v_exp_f32_e32 v147, v147
	v_exp_f32_e32 v152, v148
	v_mul_f32_e32 v146, 0x3fb8aa3b, v146
	v_fma_f32 v150, s35, v190, -v161
	v_fma_f32 v151, s35, v191, -v161
	;; [unrolled: 1-line block ×4, first 2 shown]
	v_exp_f32_e32 v149, v146
	s_delay_alu instid0(VALU_DEP_3) | instskip(NEXT) | instid1(TRANS32_DEP_3)
	v_dual_mul_f32 v150, 0x3fb8aa3b, v150 :: v_dual_mul_f32 v151, 0x3fb8aa3b, v151
	v_cndmask_b32_e64 v148, 0, v147, s3
	s_delay_alu instid0(VALU_DEP_3)
	v_mul_f32_e32 v134, 0x3fb8aa3b, v134
	v_cndmask_b32_e64 v147, 0, v152, s4
	v_mul_f32_e32 v152, 0x3fb8aa3b, v154
	v_exp_f32_e32 v145, v145
	v_exp_f32_e32 v150, v150
	v_mul_f32_e32 v153, 0x3fb8aa3b, v153
	v_exp_f32_e32 v151, v151
	v_fma_f32 v129, s35, v129, -v161
	v_exp_f32_e32 v155, v152
	v_fma_f32 v131, s35, v131, -v161
	v_exp_f32_e32 v153, v153
	v_exp_f32_e32 v130, v130
	v_mul_f32_e32 v129, 0x3fb8aa3b, v129
	v_cndmask_b32_e32 v146, 0, v145, vcc_lo
	v_cndmask_b32_e64 v145, 0, v149, s2
	v_cndmask_b32_e64 v150, 0, v150, s5
	v_mul_f32_e32 v131, 0x3fb8aa3b, v131
	v_exp_f32_e32 v129, v129
	v_add_f32_e32 v149, 0, v146
	v_fma_f32 v133, s35, v133, -v161
	v_cndmask_b32_e64 v152, 0, v153, s7
	v_exp_f32_e32 v131, v131
	v_exp_f32_e32 v132, v132
	v_add_f32_e32 v149, v149, v145
	v_mul_f32_e32 v133, 0x3fb8aa3b, v133
	s_mov_b32 s2, exec_lo
	s_delay_alu instid0(VALU_DEP_2) | instskip(NEXT) | instid1(VALU_DEP_2)
	v_add_f32_e32 v149, v149, v148
	v_exp_f32_e32 v133, v133
	s_delay_alu instid0(TRANS32_DEP_3) | instskip(SKIP_1) | instid1(VALU_DEP_2)
	v_cndmask_b32_e64 v156, 0, v131, s11
	v_exp_f32_e32 v131, v134
	v_add_f32_e32 v154, v149, v147
	v_cndmask_b32_e64 v149, 0, v151, s6
	s_delay_alu instid0(VALU_DEP_2) | instskip(SKIP_1) | instid1(TRANS32_DEP_2)
	v_add_f32_e32 v151, v154, v150
	v_cndmask_b32_e64 v154, 0, v129, s9
	v_cndmask_b32_e64 v158, 0, v133, s13
	s_waitcnt_depctr 0xfff
	v_cndmask_b32_e64 v157, 0, v131, s15
	v_add_f32_e32 v153, v151, v149
	v_cndmask_b32_e64 v151, 0, v155, s8
	v_cndmask_b32_e64 v155, 0, v132, s12
	v_fma_f32 v132, s35, v136, -v161
	s_delay_alu instid0(VALU_DEP_4) | instskip(NEXT) | instid1(VALU_DEP_1)
	v_add_f32_e32 v153, v153, v152
	v_dual_mul_f32 v132, 0x3fb8aa3b, v132 :: v_dual_add_f32 v129, v153, v151
	v_cndmask_b32_e64 v153, 0, v130, s10
	v_fma_f32 v130, s35, v135, -v161
	s_delay_alu instid0(VALU_DEP_3) | instskip(NEXT) | instid1(VALU_DEP_3)
	v_exp_f32_e32 v131, v132
	v_add_f32_e32 v129, v129, v154
	s_delay_alu instid0(VALU_DEP_1) | instskip(NEXT) | instid1(VALU_DEP_1)
	v_dual_mul_f32 v130, 0x3fb8aa3b, v130 :: v_dual_add_f32 v129, v129, v153
	v_exp_f32_e32 v130, v130
	s_waitcnt_depctr 0xfff
	v_cndmask_b32_e64 v159, 0, v131, s17
	v_add_f32_e32 v129, v129, v156
	s_delay_alu instid0(VALU_DEP_1) | instskip(SKIP_1) | instid1(VALU_DEP_2)
	v_add_f32_e32 v129, v129, v155
	v_cndmask_b32_e64 v160, 0, v130, s16
	v_add_f32_e32 v129, v129, v158
	s_delay_alu instid0(VALU_DEP_1) | instskip(NEXT) | instid1(VALU_DEP_1)
	v_add_f32_e32 v129, v129, v157
	v_add_f32_e32 v129, v129, v160
	s_delay_alu instid0(VALU_DEP_1)
	v_add_f32_e32 v129, v129, v159
	ds_bpermute_b32 v130, v162, v129
	v_cmpx_gt_u32_e32 16, v143
	s_cbranch_execz .LBB83_12
; %bb.11:
	v_mul_u32_u24_e32 v131, 0x44, v144
	s_delay_alu instid0(VALU_DEP_1) | instskip(SKIP_1) | instid1(VALU_DEP_1)
	v_lshl_add_u32 v131, v142, 2, v131
	s_waitcnt lgkmcnt(0)
	v_dual_add_f32 v129, v129, v130 :: v_dual_add_nc_u32 v130, 0x4000, v131
	ds_store_2addr_b32 v130, v161, v129 offset1:136
.LBB83_12:
	s_or_b32 exec_lo, exec_lo, s2
	v_lshlrev_b32_e32 v129, 2, v142
	v_cmp_eq_u32_e32 vcc_lo, 1, v144
	s_load_b32 s35, s[0:1], 0x94
	s_waitcnt lgkmcnt(0)
	s_barrier
	v_add_nc_u32_e32 v135, 0x4000, v129
	buffer_gl0_inv
	v_cmp_eq_u32_e64 s2, 2, v144
	v_cmp_eq_u32_e64 s3, 3, v144
	;; [unrolled: 1-line block ×3, first 2 shown]
	ds_load_2addr_b32 v[129:130], v135 offset1:17
	ds_load_2addr_b32 v[131:132], v135 offset0:34 offset1:51
	ds_load_2addr_b32 v[133:134], v135 offset0:68 offset1:85
	ds_load_2addr_b32 v[161:162], v135 offset0:102 offset1:119
	ds_load_2addr_b32 v[163:164], v135 offset0:136 offset1:153
	v_cmp_eq_u32_e64 s5, 5, v144
	v_cmp_eq_u32_e64 s6, 7, v144
	s_waitcnt lgkmcnt(4)
	v_max3_f32 v136, v129, 0xff7fffff, v130
	s_waitcnt lgkmcnt(3)
	s_delay_alu instid0(VALU_DEP_1) | instskip(SKIP_1) | instid1(VALU_DEP_1)
	v_max3_f32 v136, v136, v131, v132
	s_waitcnt lgkmcnt(2)
	v_max3_f32 v136, v136, v133, v134
	s_waitcnt lgkmcnt(1)
	s_delay_alu instid0(VALU_DEP_1) | instskip(NEXT) | instid1(VALU_DEP_1)
	v_max3_f32 v136, v136, v161, v162
	v_sub_f32_e32 v166, v132, v136
	v_sub_f32_e32 v129, v129, v136
	;; [unrolled: 1-line block ×4, first 2 shown]
	s_delay_alu instid0(VALU_DEP_4) | instskip(NEXT) | instid1(VALU_DEP_4)
	v_dual_sub_f32 v133, v133, v136 :: v_dual_mul_f32 v166, 0x3fb8aa3b, v166
	v_mul_f32_e32 v165, 0x3fb8aa3b, v129
	ds_load_2addr_b32 v[129:130], v135 offset0:170 offset1:187
	v_mul_f32_e32 v143, 0x3fb8aa3b, v143
	v_mul_f32_e32 v167, 0x3fb8aa3b, v131
	v_exp_f32_e32 v166, v166
	v_exp_f32_e32 v165, v165
	v_mul_f32_e32 v169, 0x3fb8aa3b, v133
	v_exp_f32_e32 v168, v143
	v_exp_f32_e32 v167, v167
	s_waitcnt lgkmcnt(1)
	s_delay_alu instid0(TRANS32_DEP_3) | instskip(SKIP_4) | instid1(VALU_DEP_1)
	v_fma_f32 v143, v165, v163, 0
	v_sub_f32_e32 v163, v134, v136
	s_waitcnt_depctr 0xfff
	v_fmac_f32_e32 v143, v168, v164
	s_waitcnt lgkmcnt(0)
	v_fmac_f32_e32 v143, v167, v129
	v_sub_f32_e32 v129, v162, v136
	s_delay_alu instid0(VALU_DEP_2)
	v_dual_fmac_f32 v143, v166, v130 :: v_dual_cndmask_b32 v130, v165, v168
	ds_load_2addr_b32 v[131:132], v135 offset0:204 offset1:221
	ds_load_2addr_b32 v[133:134], v135 offset0:238 offset1:255
	v_sub_f32_e32 v135, v161, v136
	v_mul_f32_e32 v161, 0x3fb8aa3b, v163
	v_exp_f32_e32 v163, v169
	v_mul_f32_e32 v129, 0x3fb8aa3b, v129
	s_waitcnt lgkmcnt(0)
	v_mul_f32_e32 v135, 0x3fb8aa3b, v135
	v_exp_f32_e32 v161, v161
	s_barrier
	v_exp_f32_e32 v162, v129
	buffer_gl0_inv
	v_exp_f32_e32 v135, v135
	v_fmac_f32_e32 v143, v163, v131
	s_delay_alu instid0(VALU_DEP_1) | instskip(SKIP_3) | instid1(VALU_DEP_2)
	v_fmac_f32_e32 v143, v161, v132
	s_waitcnt_depctr 0xfff
	v_fmac_f32_e32 v143, v135, v133
	v_lshlrev_b32_e32 v133, 6, v142
	v_fmac_f32_e32 v143, v162, v134
	s_delay_alu instid0(VALU_DEP_2) | instskip(NEXT) | instid1(VALU_DEP_2)
	v_lshl_or_b32 v134, v144, 11, v133
	v_add_f32_e32 v164, 0x358637bd, v143
	s_delay_alu instid0(VALU_DEP_1) | instskip(SKIP_1) | instid1(VALU_DEP_2)
	v_div_scale_f32 v169, null, v164, v164, 1.0
	v_div_scale_f32 v165, vcc_lo, 1.0, v164, 1.0
	v_rcp_f32_e32 v170, v169
	s_waitcnt_depctr 0xfff
	v_fma_f32 v129, -v169, v170, 1.0
	s_delay_alu instid0(VALU_DEP_1) | instskip(SKIP_2) | instid1(VALU_DEP_3)
	v_fmac_f32_e32 v170, v129, v170
	v_cndmask_b32_e64 v129, v130, v167, s2
	v_cmp_eq_u32_e64 s2, 6, v144
	v_mul_f32_e32 v167, v165, v170
	s_delay_alu instid0(VALU_DEP_3) | instskip(SKIP_1) | instid1(VALU_DEP_3)
	v_cndmask_b32_e64 v130, v129, v166, s3
	v_lshlrev_b32_e32 v129, 2, v141
	v_fma_f32 v131, -v169, v167, v165
	s_delay_alu instid0(VALU_DEP_3) | instskip(NEXT) | instid1(VALU_DEP_3)
	v_cndmask_b32_e64 v142, v130, v163, s4
	v_or_b32_e32 v130, 1, v129
	v_or_b32_e32 v132, 2, v129
	v_cmp_eq_u32_e64 s3, 1, v129
	v_fmac_f32_e32 v167, v131, v170
	v_cndmask_b32_e64 v142, v142, v161, s5
	v_or_b32_e32 v131, 3, v129
	v_cmp_eq_u32_e64 s8, 1, v130
	v_cmp_eq_u32_e64 s9, 1, v132
	v_fma_f32 v144, -v169, v167, v165
	v_cndmask_b32_e64 v135, v142, v135, s2
	v_cmp_eq_u32_e64 s10, 1, v131
	v_cmp_eq_u32_e64 s4, 2, v129
	;; [unrolled: 1-line block ×3, first 2 shown]
	v_div_fmas_f32 v142, v144, v170, v167
	v_cndmask_b32_e64 v144, v135, v162, s6
	v_lshl_or_b32 v135, v141, 4, v134
	v_cmp_eq_u32_e64 s13, 2, v132
	v_cmp_eq_u32_e64 s15, 2, v131
	v_div_fixup_f32 v142, v142, v164, 1.0
	v_cmp_eq_u32_e32 vcc_lo, 3, v129
	v_cmp_eq_u32_e64 s12, 3, v130
	v_cmp_eq_u32_e64 s16, 3, v132
	;; [unrolled: 1-line block ×3, first 2 shown]
	v_mul_f32_e32 v141, v144, v142
	v_cmp_eq_u32_e64 s21, 4, v131
	v_cmp_eq_u32_e64 s2, 4, v129
	;; [unrolled: 1-line block ×4, first 2 shown]
	v_fma_mixlo_f16 v161, v141, v146, 0
	v_fma_mixlo_f16 v162, v141, v148, 0
	v_fma_mixlo_f16 v163, v141, v150, 0
	v_fma_mixlo_f16 v164, v141, v152, 0
	v_fma_mixlo_f16 v165, v141, v154, 0
	v_fma_mixlo_f16 v166, v141, v156, 0
	v_fma_mixlo_f16 v167, v141, v158, 0
	v_fma_mixlo_f16 v168, v141, v160, 0
	v_fma_mixhi_f16 v161, v141, v145, 0
	v_fma_mixhi_f16 v162, v141, v147, 0
	;; [unrolled: 1-line block ×8, first 2 shown]
	ds_store_b128 v135, v[161:164]
	ds_store_b128 v135, v[165:168] offset:1024
	s_waitcnt lgkmcnt(0)
	s_barrier
	buffer_gl0_inv
	ds_load_b128 v[144:147], v134
	ds_load_b128 v[148:151], v134 offset:16
	ds_load_b128 v[152:155], v134 offset:1024
	;; [unrolled: 1-line block ×3, first 2 shown]
	v_cmp_eq_u32_e64 s5, 5, v129
	v_cmp_eq_u32_e64 s19, 5, v130
	;; [unrolled: 1-line block ×12, first 2 shown]
	s_waitcnt lgkmcnt(3)
	v_lshrrev_b32_e32 v141, 16, v144
	s_waitcnt lgkmcnt(2)
	v_lshrrev_b32_e32 v162, 16, v148
	;; [unrolled: 2-line block ×4, first 2 shown]
	v_lshrrev_b32_e32 v142, 16, v145
	v_cndmask_b32_e64 v174, v144, v141, s3
	v_cndmask_b32_e64 v175, v148, v162, s3
	;; [unrolled: 1-line block ×7, first 2 shown]
	v_lshrrev_b32_e32 v163, 16, v149
	v_cndmask_b32_e64 v179, v148, v162, s9
	v_cndmask_b32_e64 v148, v152, v166, s3
	;; [unrolled: 1-line block ×16, first 2 shown]
	v_lshrrev_b32_e32 v167, 16, v153
	v_cndmask_b32_e64 v177, v179, v149, s13
	v_cndmask_b32_e64 v145, v148, v153, s4
	;; [unrolled: 1-line block ×7, first 2 shown]
	v_cndmask_b32_e32 v156, v166, v142, vcc_lo
	v_cndmask_b32_e32 v166, v170, v163, vcc_lo
	v_cndmask_b32_e64 v170, v174, v142, s12
	v_cndmask_b32_e64 v174, v175, v163, s12
	;; [unrolled: 1-line block ×5, first 2 shown]
	v_lshrrev_b32_e32 v160, 16, v146
	v_lshrrev_b32_e32 v164, 16, v150
	;; [unrolled: 1-line block ×3, first 2 shown]
	v_cndmask_b32_e64 v141, v141, v146, s21
	v_cndmask_b32_e64 v142, v142, v150, s21
	;; [unrolled: 1-line block ×3, first 2 shown]
	v_cndmask_b32_e32 v144, v145, v167, vcc_lo
	v_cndmask_b32_e32 v145, v148, v171, vcc_lo
	v_cndmask_b32_e64 v148, v149, v167, s12
	v_cndmask_b32_e64 v149, v156, v146, s2
	;; [unrolled: 1-line block ×7, first 2 shown]
	v_lshrrev_b32_e32 v161, 16, v147
	v_lshrrev_b32_e32 v165, 16, v151
	;; [unrolled: 1-line block ×4, first 2 shown]
	v_cndmask_b32_e64 v170, v175, v146, s20
	v_cndmask_b32_e64 v174, v176, v150, s20
	;; [unrolled: 1-line block ×20, first 2 shown]
	v_lshrrev_b32_e32 v169, 16, v155
	v_cndmask_b32_e64 v148, v148, v147, s6
	v_cndmask_b32_e64 v149, v149, v151, s6
	;; [unrolled: 1-line block ×9, first 2 shown]
	v_perm_b32 v147, v142, v141, 0x5040100
	v_cndmask_b32_e64 v141, v183, v157, s13
	v_cndmask_b32_e64 v142, v181, v157, s11
	;; [unrolled: 1-line block ×7, first 2 shown]
	v_perm_b32 v145, v156, v150, 0x5040100
	v_cndmask_b32_e64 v144, v162, v167, s16
	v_cndmask_b32_e64 v150, v152, v167, s17
	;; [unrolled: 1-line block ×15, first 2 shown]
	v_lshrrev_b32_e32 v173, 16, v159
	v_cndmask_b32_e64 v144, v144, v155, s25
	v_cndmask_b32_e64 v150, v150, v155, s26
	;; [unrolled: 1-line block ×12, first 2 shown]
	v_perm_b32 v146, v160, v146, 0x5040100
	v_perm_b32 v144, v149, v148, 0x5040100
	;; [unrolled: 1-line block ×6, first 2 shown]
	s_lshl_b32 s6, s34, 1
	s_mov_b32 s2, exec_lo
	ds_store_b128 v135, v[144:147]
	ds_store_b128 v135, v[148:151] offset:1024
	v_cmpx_gt_u32_e32 2, v0
	s_cbranch_execz .LBB83_14
; %bb.13:
	v_or_b32_e32 v141, s33, v0
	s_load_b128 s[8:11], s[0:1], 0x58
	s_delay_alu instid0(VALU_DEP_1) | instskip(NEXT) | instid1(VALU_DEP_1)
	v_mad_u64_u32 v[144:145], null, s6, s30, v[141:142]
	v_mad_u64_u32 v[141:142], null, v144, s35, s[14:15]
	s_delay_alu instid0(VALU_DEP_1) | instskip(NEXT) | instid1(VALU_DEP_1)
	v_ashrrev_i32_e32 v142, 31, v141
	v_lshlrev_b64 v[141:142], 2, v[141:142]
	s_waitcnt lgkmcnt(0)
	s_delay_alu instid0(VALU_DEP_1) | instskip(NEXT) | instid1(VALU_DEP_2)
	v_add_co_u32 v144, vcc_lo, s10, v141
	v_add_co_ci_u32_e32 v145, vcc_lo, s11, v142, vcc_lo
	v_add_co_u32 v141, vcc_lo, s8, v141
	v_add_co_ci_u32_e32 v142, vcc_lo, s9, v142, vcc_lo
	global_store_b32 v[144:145], v136, off
	global_store_b32 v[141:142], v143, off
.LBB83_14:
	s_or_b32 exec_lo, exec_lo, s2
	s_waitcnt lgkmcnt(0)
	s_waitcnt_vscnt null, 0x0
	s_barrier
	buffer_gl0_inv
	ds_load_b128 v[149:152], v133
	ds_load_b128 v[153:156], v133 offset:16
	ds_load_b128 v[161:164], v133 offset:1040
	ds_load_b128 v[157:160], v133 offset:1024
	ds_load_b128 v[169:172], v133 offset:2064
	ds_load_b128 v[165:168], v133 offset:2048
	v_cmp_eq_u32_e32 vcc_lo, 1, v132
	v_mov_b32_e32 v141, 0
	ds_load_b128 v[177:180], v133 offset:3088
	ds_load_b128 v[173:176], v133 offset:3072
	;; [unrolled: 1-line block ×4, first 2 shown]
	v_cmp_eq_u32_e64 s2, 1, v129
	v_cmp_eq_u32_e64 s3, 1, v131
	;; [unrolled: 1-line block ×3, first 2 shown]
	v_mov_b32_e32 v142, v141
	v_mov_b32_e32 v143, v141
	;; [unrolled: 1-line block ×7, first 2 shown]
	v_cmp_eq_u32_e64 s5, 2, v129
	s_waitcnt lgkmcnt(8)
	s_delay_alu instid0(VALU_DEP_2)
	v_wmma_f32_16x16x16_f16 v[141:148], v[121:128], v[149:156], v[141:148]
	ds_load_b128 v[125:128], v133 offset:5136
	ds_load_b128 v[121:124], v133 offset:5120
	s_waitcnt lgkmcnt(8)
	v_wmma_f32_16x16x16_f16 v[141:148], v[113:120], v[157:164], v[141:148]
	ds_load_b128 v[117:120], v133 offset:6160
	ds_load_b128 v[113:116], v133 offset:6144
	s_waitcnt lgkmcnt(8)
	v_wmma_f32_16x16x16_f16 v[141:148], v[105:112], v[165:172], v[141:148]
	ds_load_b128 v[109:112], v133 offset:7184
	ds_load_b128 v[105:108], v133 offset:7168
	s_waitcnt lgkmcnt(8)
	v_wmma_f32_16x16x16_f16 v[141:148], v[97:104], v[173:180], v[141:148]
	ds_load_b128 v[101:104], v133 offset:8208
	ds_load_b128 v[97:100], v133 offset:8192
	s_waitcnt lgkmcnt(8)
	v_wmma_f32_16x16x16_f16 v[141:148], v[89:96], v[181:188], v[141:148]
	ds_load_b128 v[93:96], v133 offset:9232
	ds_load_b128 v[89:92], v133 offset:9216
	s_waitcnt lgkmcnt(8)
	v_wmma_f32_16x16x16_f16 v[141:148], v[81:88], v[121:128], v[141:148]
	ds_load_b128 v[85:88], v133 offset:10256
	ds_load_b128 v[81:84], v133 offset:10240
	s_waitcnt lgkmcnt(8)
	v_wmma_f32_16x16x16_f16 v[141:148], v[73:80], v[113:120], v[141:148]
	ds_load_b128 v[77:80], v133 offset:11280
	ds_load_b128 v[73:76], v133 offset:11264
	s_waitcnt lgkmcnt(8)
	v_wmma_f32_16x16x16_f16 v[141:148], v[65:72], v[105:112], v[141:148]
	ds_load_b128 v[69:72], v133 offset:12304
	ds_load_b128 v[65:68], v133 offset:12288
	s_waitcnt lgkmcnt(8)
	v_wmma_f32_16x16x16_f16 v[141:148], v[57:64], v[97:104], v[141:148]
	ds_load_b128 v[61:64], v133 offset:13328
	ds_load_b128 v[57:60], v133 offset:13312
	s_waitcnt lgkmcnt(8)
	v_wmma_f32_16x16x16_f16 v[141:148], v[49:56], v[89:96], v[141:148]
	ds_load_b128 v[53:56], v133 offset:14352
	ds_load_b128 v[49:52], v133 offset:14336
	s_waitcnt lgkmcnt(8)
	v_wmma_f32_16x16x16_f16 v[141:148], v[25:32], v[81:88], v[141:148]
	ds_load_b128 v[29:32], v133 offset:15376
	ds_load_b128 v[25:28], v133 offset:15360
	s_waitcnt lgkmcnt(0)
	s_barrier
	buffer_gl0_inv
	v_wmma_f32_16x16x16_f16 v[141:148], v[1:8], v[73:80], v[141:148]
	s_delay_alu instid0(VALU_DEP_1) | instskip(NEXT) | instid1(VALU_DEP_1)
	v_wmma_f32_16x16x16_f16 v[141:148], v[9:16], v[65:72], v[141:148]
	v_wmma_f32_16x16x16_f16 v[141:148], v[33:40], v[57:64], v[141:148]
	s_delay_alu instid0(VALU_DEP_1) | instskip(NEXT) | instid1(VALU_DEP_1)
	v_wmma_f32_16x16x16_f16 v[141:148], v[41:48], v[49:56], v[141:148]
	v_wmma_f32_16x16x16_f16 v[141:148], v[17:24], v[25:32], v[141:148]
	s_delay_alu instid0(VALU_DEP_1) | instskip(NEXT) | instid1(VALU_DEP_2)
	v_cvt_f16_f32_e64 v1, v141
	v_cvt_f16_f32_e64 v2, v142
	s_delay_alu instid0(VALU_DEP_3) | instskip(NEXT) | instid1(VALU_DEP_4)
	v_cvt_f16_f32_e64 v3, v143
	v_cvt_f16_f32_e64 v4, v144
	;; [unrolled: 1-line block ×6, first 2 shown]
	v_pack_b32_f16 v1, v1, v2
	v_pack_b32_f16 v2, v3, v4
	;; [unrolled: 1-line block ×3, first 2 shown]
	s_delay_alu instid0(VALU_DEP_4)
	v_pack_b32_f16 v4, v7, v8
	ds_store_b128 v135, v[1:4]
	s_waitcnt lgkmcnt(0)
	s_barrier
	buffer_gl0_inv
	ds_load_b128 v[1:4], v134
	ds_load_b128 v[5:8], v134 offset:16
	s_waitcnt lgkmcnt(1)
	v_lshrrev_b32_e32 v9, 16, v1
	s_waitcnt lgkmcnt(0)
	v_lshrrev_b32_e32 v13, 16, v5
	v_lshrrev_b32_e32 v15, 16, v7
	;; [unrolled: 1-line block ×4, first 2 shown]
	v_cndmask_b32_e64 v17, v1, v9, s2
	v_cndmask_b32_e64 v18, v5, v13, s2
	;; [unrolled: 1-line block ×3, first 2 shown]
	v_cmp_eq_u32_e64 s2, 2, v130
	v_cndmask_b32_e64 v20, v5, v13, s4
	v_cndmask_b32_e32 v21, v1, v9, vcc_lo
	v_cndmask_b32_e32 v22, v5, v13, vcc_lo
	v_cndmask_b32_e64 v1, v1, v9, s3
	v_cndmask_b32_e64 v5, v5, v13, s3
	v_cmp_eq_u32_e32 vcc_lo, 2, v132
	v_cmp_eq_u32_e64 s3, 2, v131
	v_cndmask_b32_e64 v9, v17, v2, s5
	v_cndmask_b32_e64 v13, v18, v6, s5
	;; [unrolled: 1-line block ×4, first 2 shown]
	v_cndmask_b32_e32 v19, v21, v2, vcc_lo
	v_cmp_eq_u32_e64 s2, 3, v132
	v_cndmask_b32_e32 v20, v22, v6, vcc_lo
	v_cndmask_b32_e64 v1, v1, v2, s3
	v_cmp_eq_u32_e32 vcc_lo, 3, v131
	v_cmp_eq_u32_e64 s4, 3, v129
	v_cndmask_b32_e64 v2, v5, v6, s3
	v_cmp_eq_u32_e64 s3, 3, v130
	v_lshrrev_b32_e32 v16, 16, v8
	v_cmp_eq_u32_e64 s5, 4, v129
	v_cndmask_b32_e64 v5, v9, v10, s4
	v_cndmask_b32_e64 v6, v13, v14, s4
	;; [unrolled: 1-line block ×3, first 2 shown]
	v_cmp_eq_u32_e64 s4, 4, v130
	v_cndmask_b32_e64 v13, v18, v14, s3
	v_cndmask_b32_e64 v17, v19, v10, s2
	;; [unrolled: 1-line block ×3, first 2 shown]
	v_cndmask_b32_e32 v1, v1, v10, vcc_lo
	v_cndmask_b32_e32 v2, v2, v14, vcc_lo
	v_cmp_eq_u32_e32 vcc_lo, 4, v132
	v_cmp_eq_u32_e64 s3, 4, v131
	v_lshrrev_b32_e32 v11, 16, v3
	v_cndmask_b32_e64 v5, v5, v3, s5
	v_cndmask_b32_e64 v6, v6, v7, s5
	;; [unrolled: 1-line block ×4, first 2 shown]
	v_cndmask_b32_e32 v13, v17, v3, vcc_lo
	v_cmp_eq_u32_e64 s2, 5, v132
	v_cndmask_b32_e32 v14, v18, v7, vcc_lo
	v_cndmask_b32_e64 v1, v1, v3, s3
	v_cmp_eq_u32_e32 vcc_lo, 5, v131
	v_cmp_eq_u32_e64 s4, 5, v129
	v_cndmask_b32_e64 v2, v2, v7, s3
	v_cmp_eq_u32_e64 s3, 5, v130
	v_cmp_eq_u32_e64 s5, 6, v129
	v_cndmask_b32_e32 v1, v1, v11, vcc_lo
	v_cndmask_b32_e64 v3, v5, v11, s4
	v_cndmask_b32_e64 v5, v6, v15, s4
	;; [unrolled: 1-line block ×3, first 2 shown]
	v_cmp_eq_u32_e64 s4, 6, v130
	v_cndmask_b32_e64 v7, v10, v15, s3
	v_cndmask_b32_e64 v9, v13, v11, s2
	;; [unrolled: 1-line block ×3, first 2 shown]
	v_cndmask_b32_e32 v2, v2, v15, vcc_lo
	v_cmp_eq_u32_e32 vcc_lo, 6, v132
	v_cmp_eq_u32_e64 s2, 6, v131
	v_lshrrev_b32_e32 v12, 16, v4
	v_cndmask_b32_e64 v3, v3, v4, s5
	v_cndmask_b32_e64 v5, v5, v8, s5
	v_cndmask_b32_e64 v6, v6, v4, s4
	v_cndmask_b32_e64 v7, v7, v8, s4
	v_cndmask_b32_e32 v9, v9, v4, vcc_lo
	v_cmp_eq_u32_e64 s3, 7, v132
	v_cndmask_b32_e32 v10, v10, v8, vcc_lo
	v_cndmask_b32_e64 v1, v1, v4, s2
	v_cmp_eq_u32_e32 vcc_lo, 7, v131
	v_cndmask_b32_e64 v2, v2, v8, s2
	v_cmp_eq_u32_e64 s2, 7, v129
	v_cmp_eq_u32_e64 s4, 7, v130
	v_cndmask_b32_e32 v1, v1, v12, vcc_lo
	s_delay_alu instid0(VALU_DEP_4) | instskip(NEXT) | instid1(VALU_DEP_4)
	v_cndmask_b32_e32 v2, v2, v16, vcc_lo
	v_cndmask_b32_e64 v8, v3, v12, s2
	s_delay_alu instid0(VALU_DEP_4)
	v_cndmask_b32_e64 v6, v6, v12, s4
	v_cndmask_b32_e64 v3, v9, v12, s3
	;; [unrolled: 1-line block ×5, first 2 shown]
	v_perm_b32 v4, v2, v1, 0x5040100
	s_delay_alu instid0(VALU_DEP_4) | instskip(NEXT) | instid1(VALU_DEP_4)
	v_perm_b32 v3, v9, v3, 0x5040100
	v_perm_b32 v2, v7, v6, 0x5040100
	s_delay_alu instid0(VALU_DEP_4)
	v_perm_b32 v1, v5, v8, 0x5040100
	ds_store_b128 v135, v[1:4]
	s_waitcnt lgkmcnt(0)
	s_barrier
	buffer_gl0_inv
	s_and_saveexec_b32 s2, s31
	s_cbranch_execz .LBB83_2
; %bb.15:
	s_load_b64 s[0:1], s[0:1], 0x68
	v_lshlrev_b32_e32 v0, 10, v0
	s_lshl_b32 s2, s35, 6
	v_lshlrev_b32_e32 v1, 4, v140
	v_mul_lo_u32 v4, s2, v139
	s_mul_i32 s3, s2, s30
	v_and_b32_e32 v0, 0x3800, v0
	s_mul_i32 s2, s3, s6
	s_delay_alu instid0(SALU_CYCLE_1) | instskip(NEXT) | instid1(VALU_DEP_1)
	s_ashr_i32 s3, s2, 31
	v_or3_b32 v0, v0, v138, v1
	s_lshl_b64 s[2:3], s[2:3], 1
	s_delay_alu instid0(VALU_DEP_3)
	v_ashrrev_i32_e32 v5, 31, v4
	ds_load_b128 v[0:3], v0
	v_lshlrev_b64 v[4:5], 1, v[4:5]
	s_waitcnt lgkmcnt(0)
	s_add_u32 s2, s0, s2
	s_addc_u32 s3, s1, s3
	s_lshl_b32 s0, s14, 6
	s_delay_alu instid0(SALU_CYCLE_1) | instskip(NEXT) | instid1(SALU_CYCLE_1)
	s_ashr_i32 s1, s0, 31
	s_lshl_b64 s[0:1], s[0:1], 1
	s_delay_alu instid0(SALU_CYCLE_1) | instskip(SKIP_3) | instid1(VALU_DEP_2)
	s_add_u32 s0, s2, s0
	s_addc_u32 s1, s3, s1
	v_add_co_u32 v4, vcc_lo, s0, v4
	v_add_co_ci_u32_e32 v5, vcc_lo, s1, v5, vcc_lo
	v_add_co_u32 v4, vcc_lo, v4, v137
	s_delay_alu instid0(VALU_DEP_2)
	v_add_co_ci_u32_e32 v5, vcc_lo, 0, v5, vcc_lo
	global_store_b128 v[4:5], v[0:3], off
	s_nop 0
	s_sendmsg sendmsg(MSG_DEALLOC_VGPRS)
	s_endpgm
	.section	.rodata,"a",@progbits
	.p2align	6, 0x0
	.amdhsa_kernel _Z39paged_attention_ll4mi_QKV_mfma16_kernelIDF16_DF16_LN4vllm18Fp8KVCacheDataTypeE0EDF16_Li16ELi64ELi256ELb1ELi2EL8MFMAType0EEvPKT_PKT0_S8_ifPKiSA_SA_iPKfiiiPfSD_PS3_PT2_iSC_SC_
		.amdhsa_group_segment_fixed_size 17472
		.amdhsa_private_segment_fixed_size 0
		.amdhsa_kernarg_size 400
		.amdhsa_user_sgpr_count 13
		.amdhsa_user_sgpr_dispatch_ptr 0
		.amdhsa_user_sgpr_queue_ptr 0
		.amdhsa_user_sgpr_kernarg_segment_ptr 1
		.amdhsa_user_sgpr_dispatch_id 0
		.amdhsa_user_sgpr_private_segment_size 0
		.amdhsa_wavefront_size32 1
		.amdhsa_uses_dynamic_stack 0
		.amdhsa_enable_private_segment 0
		.amdhsa_system_sgpr_workgroup_id_x 1
		.amdhsa_system_sgpr_workgroup_id_y 1
		.amdhsa_system_sgpr_workgroup_id_z 1
		.amdhsa_system_sgpr_workgroup_info 0
		.amdhsa_system_vgpr_workitem_id 0
		.amdhsa_next_free_vgpr 202
		.amdhsa_next_free_sgpr 52
		.amdhsa_reserve_vcc 1
		.amdhsa_float_round_mode_32 0
		.amdhsa_float_round_mode_16_64 0
		.amdhsa_float_denorm_mode_32 3
		.amdhsa_float_denorm_mode_16_64 3
		.amdhsa_dx10_clamp 1
		.amdhsa_ieee_mode 1
		.amdhsa_fp16_overflow 0
		.amdhsa_workgroup_processor_mode 1
		.amdhsa_memory_ordered 1
		.amdhsa_forward_progress 0
		.amdhsa_shared_vgpr_count 0
		.amdhsa_exception_fp_ieee_invalid_op 0
		.amdhsa_exception_fp_denorm_src 0
		.amdhsa_exception_fp_ieee_div_zero 0
		.amdhsa_exception_fp_ieee_overflow 0
		.amdhsa_exception_fp_ieee_underflow 0
		.amdhsa_exception_fp_ieee_inexact 0
		.amdhsa_exception_int_div_zero 0
	.end_amdhsa_kernel
	.section	.text._Z39paged_attention_ll4mi_QKV_mfma16_kernelIDF16_DF16_LN4vllm18Fp8KVCacheDataTypeE0EDF16_Li16ELi64ELi256ELb1ELi2EL8MFMAType0EEvPKT_PKT0_S8_ifPKiSA_SA_iPKfiiiPfSD_PS3_PT2_iSC_SC_,"axG",@progbits,_Z39paged_attention_ll4mi_QKV_mfma16_kernelIDF16_DF16_LN4vllm18Fp8KVCacheDataTypeE0EDF16_Li16ELi64ELi256ELb1ELi2EL8MFMAType0EEvPKT_PKT0_S8_ifPKiSA_SA_iPKfiiiPfSD_PS3_PT2_iSC_SC_,comdat
.Lfunc_end83:
	.size	_Z39paged_attention_ll4mi_QKV_mfma16_kernelIDF16_DF16_LN4vllm18Fp8KVCacheDataTypeE0EDF16_Li16ELi64ELi256ELb1ELi2EL8MFMAType0EEvPKT_PKT0_S8_ifPKiSA_SA_iPKfiiiPfSD_PS3_PT2_iSC_SC_, .Lfunc_end83-_Z39paged_attention_ll4mi_QKV_mfma16_kernelIDF16_DF16_LN4vllm18Fp8KVCacheDataTypeE0EDF16_Li16ELi64ELi256ELb1ELi2EL8MFMAType0EEvPKT_PKT0_S8_ifPKiSA_SA_iPKfiiiPfSD_PS3_PT2_iSC_SC_
                                        ; -- End function
	.section	.AMDGPU.csdata,"",@progbits
; Kernel info:
; codeLenInByte = 7588
; NumSgprs: 54
; NumVgprs: 202
; ScratchSize: 0
; MemoryBound: 0
; FloatMode: 240
; IeeeMode: 1
; LDSByteSize: 17472 bytes/workgroup (compile time only)
; SGPRBlocks: 6
; VGPRBlocks: 25
; NumSGPRsForWavesPerEU: 54
; NumVGPRsForWavesPerEU: 202
; Occupancy: 7
; WaveLimiterHint : 1
; COMPUTE_PGM_RSRC2:SCRATCH_EN: 0
; COMPUTE_PGM_RSRC2:USER_SGPR: 13
; COMPUTE_PGM_RSRC2:TRAP_HANDLER: 0
; COMPUTE_PGM_RSRC2:TGID_X_EN: 1
; COMPUTE_PGM_RSRC2:TGID_Y_EN: 1
; COMPUTE_PGM_RSRC2:TGID_Z_EN: 1
; COMPUTE_PGM_RSRC2:TIDIG_COMP_CNT: 0
	.section	.text._Z39paged_attention_ll4mi_QKV_mfma16_kernelIDF16_DF16_LN4vllm18Fp8KVCacheDataTypeE0EDF16_Li16ELi64ELi256ELb1ELi3EL8MFMAType0EEvPKT_PKT0_S8_ifPKiSA_SA_iPKfiiiPfSD_PS3_PT2_iSC_SC_,"axG",@progbits,_Z39paged_attention_ll4mi_QKV_mfma16_kernelIDF16_DF16_LN4vllm18Fp8KVCacheDataTypeE0EDF16_Li16ELi64ELi256ELb1ELi3EL8MFMAType0EEvPKT_PKT0_S8_ifPKiSA_SA_iPKfiiiPfSD_PS3_PT2_iSC_SC_,comdat
	.protected	_Z39paged_attention_ll4mi_QKV_mfma16_kernelIDF16_DF16_LN4vllm18Fp8KVCacheDataTypeE0EDF16_Li16ELi64ELi256ELb1ELi3EL8MFMAType0EEvPKT_PKT0_S8_ifPKiSA_SA_iPKfiiiPfSD_PS3_PT2_iSC_SC_ ; -- Begin function _Z39paged_attention_ll4mi_QKV_mfma16_kernelIDF16_DF16_LN4vllm18Fp8KVCacheDataTypeE0EDF16_Li16ELi64ELi256ELb1ELi3EL8MFMAType0EEvPKT_PKT0_S8_ifPKiSA_SA_iPKfiiiPfSD_PS3_PT2_iSC_SC_
	.globl	_Z39paged_attention_ll4mi_QKV_mfma16_kernelIDF16_DF16_LN4vllm18Fp8KVCacheDataTypeE0EDF16_Li16ELi64ELi256ELb1ELi3EL8MFMAType0EEvPKT_PKT0_S8_ifPKiSA_SA_iPKfiiiPfSD_PS3_PT2_iSC_SC_
	.p2align	8
	.type	_Z39paged_attention_ll4mi_QKV_mfma16_kernelIDF16_DF16_LN4vllm18Fp8KVCacheDataTypeE0EDF16_Li16ELi64ELi256ELb1ELi3EL8MFMAType0EEvPKT_PKT0_S8_ifPKiSA_SA_iPKfiiiPfSD_PS3_PT2_iSC_SC_,@function
_Z39paged_attention_ll4mi_QKV_mfma16_kernelIDF16_DF16_LN4vllm18Fp8KVCacheDataTypeE0EDF16_Li16ELi64ELi256ELb1ELi3EL8MFMAType0EEvPKT_PKT0_S8_ifPKiSA_SA_iPKfiiiPfSD_PS3_PT2_iSC_SC_: ; @_Z39paged_attention_ll4mi_QKV_mfma16_kernelIDF16_DF16_LN4vllm18Fp8KVCacheDataTypeE0EDF16_Li16ELi64ELi256ELb1ELi3EL8MFMAType0EEvPKT_PKT0_S8_ifPKiSA_SA_iPKfiiiPfSD_PS3_PT2_iSC_SC_
; %bb.0:
	s_load_b64 s[2:3], s[0:1], 0x30
	s_mov_b32 s34, s13
	s_waitcnt lgkmcnt(0)
	s_cmp_lg_u64 s[2:3], 0
	s_cselect_b32 s8, -1, 0
	s_ashr_i32 s35, s13, 31
	s_cmp_eq_u64 s[2:3], 0
	s_cbranch_scc1 .LBB84_3
; %bb.1:
	s_lshl_b64 s[4:5], s[34:35], 2
	s_delay_alu instid0(SALU_CYCLE_1) | instskip(SKIP_4) | instid1(SALU_CYCLE_1)
	s_add_u32 s4, s2, s4
	s_addc_u32 s5, s3, s5
	s_load_b64 s[4:5], s[4:5], 0x0
	s_waitcnt lgkmcnt(0)
	s_sub_i32 s4, s5, s4
	s_cmp_eq_u32 s4, 1
	s_cselect_b32 s4, -1, 0
	s_delay_alu instid0(SALU_CYCLE_1)
	s_and_not1_b32 vcc_lo, exec_lo, s4
	s_cbranch_vccz .LBB84_4
.LBB84_2:
	s_nop 0
	s_sendmsg sendmsg(MSG_DEALLOC_VGPRS)
	s_endpgm
.LBB84_3:
.LBB84_4:
	s_load_b64 s[4:5], s[0:1], 0x28
	s_lshl_b64 s[6:7], s[34:35], 2
	s_waitcnt lgkmcnt(0)
	s_add_u32 s4, s4, s6
	s_addc_u32 s5, s5, s7
	s_lshl_b32 s31, s14, 8
	s_load_b32 s30, s[4:5], 0x0
	s_waitcnt lgkmcnt(0)
	s_cmp_ge_i32 s31, s30
	s_cbranch_scc1 .LBB84_2
; %bb.5:
	s_clause 0x1
	s_load_b128 s[20:23], s[0:1], 0x8
	s_load_b64 s[4:5], s[0:1], 0x20
	s_and_not1_b32 vcc_lo, exec_lo, s8
	s_cbranch_vccnz .LBB84_7
; %bb.6:
	s_add_u32 s2, s2, s6
	s_addc_u32 s3, s3, s7
	s_load_b32 s3, s[2:3], 0x0
	s_branch .LBB84_8
.LBB84_7:
	s_mov_b32 s3, s34
.LBB84_8:
	s_load_b128 s[16:19], s[0:1], 0x48
	v_lshrrev_b32_e32 v149, 5, v0
	v_bfe_u32 v146, v0, 4, 1
	v_and_b32_e32 v148, 15, v0
	v_and_b32_e32 v150, 31, v0
	;; [unrolled: 1-line block ×3, first 2 shown]
	s_mul_i32 s33, s15, 3
	v_lshl_or_b32 v1, v149, 1, v146
	v_lshlrev_b32_e32 v2, 3, v148
	v_cmp_gt_u32_e64 s2, 8, v148
	s_delay_alu instid0(VALU_DEP_3) | instskip(NEXT) | instid1(VALU_DEP_3)
	v_cmp_gt_u32_e32 vcc_lo, 3, v1
	v_lshlrev_b32_e32 v145, 1, v2
	s_delay_alu instid0(VALU_DEP_3) | instskip(NEXT) | instid1(SALU_CYCLE_1)
	s_and_b32 s7, s2, vcc_lo
	s_and_saveexec_b32 s6, s7
	s_cbranch_execz .LBB84_10
; %bb.9:
	s_load_b64 s[8:9], s[0:1], 0x0
	v_add_lshl_u32 v2, v1, s33, 6
	s_waitcnt lgkmcnt(0)
	s_mul_hi_i32 s11, s3, s16
	s_mul_i32 s10, s3, s16
	v_lshlrev_b32_e32 v6, 10, v148
	s_lshl_b64 s[10:11], s[10:11], 1
	v_ashrrev_i32_e32 v3, 31, v2
	v_lshlrev_b32_e32 v1, 6, v1
	v_lshlrev_b32_e32 v7, 10, v147
	v_and_b32_e32 v6, 0x3800, v6
	s_delay_alu instid0(VALU_DEP_4) | instskip(NEXT) | instid1(VALU_DEP_2)
	v_lshlrev_b64 v[2:3], 1, v[2:3]
	v_or3_b32 v1, v6, v7, v1
	s_add_u32 s3, s8, s10
	s_addc_u32 s7, s9, s11
	s_delay_alu instid0(VALU_DEP_2) | instskip(NEXT) | instid1(VALU_DEP_3)
	v_add_co_u32 v2, vcc_lo, s3, v2
	v_add_co_ci_u32_e32 v3, vcc_lo, s7, v3, vcc_lo
	s_delay_alu instid0(VALU_DEP_2) | instskip(NEXT) | instid1(VALU_DEP_2)
	v_add_co_u32 v2, vcc_lo, v2, v145
	v_add_co_ci_u32_e32 v3, vcc_lo, 0, v3, vcc_lo
	global_load_b128 v[2:5], v[2:3], off
	s_waitcnt vmcnt(0)
	ds_store_b128 v1, v[2:5]
.LBB84_10:
	s_or_b32 exec_lo, exec_lo, s6
	v_and_b32_e32 v1, 0xef, v0
	s_waitcnt lgkmcnt(0)
	s_add_i32 s3, s30, 15
	s_clause 0x1
	s_load_b32 s6, s[0:1], 0x38
	s_load_b32 s35, s[0:1], 0x98
	s_ashr_i32 s7, s3, 31
	v_add_nc_u32_e32 v1, s31, v1
	s_lshr_b32 s7, s7, 28
	s_load_b32 s36, s[0:1], 0x1c
	s_add_i32 s3, s3, s7
	s_waitcnt lgkmcnt(0)
	v_ashrrev_i32_e32 v2, 31, v1
	v_or_b32_e32 v3, 16, v1
	s_ashr_i32 s3, s3, 4
	v_cmp_gt_i32_e32 vcc_lo, s30, v1
	s_add_i32 s3, s3, -1
	v_lshrrev_b32_e32 v2, 28, v2
	s_barrier
	buffer_gl0_inv
	v_add_nc_u32_e32 v4, v1, v2
	s_mul_i32 s6, s34, s6
	s_delay_alu instid0(SALU_CYCLE_1) | instskip(NEXT) | instid1(VALU_DEP_1)
	s_ashr_i32 s7, s6, 31
	v_ashrrev_i32_e32 v4, 4, v4
	v_add_nc_u32_e32 v2, v3, v2
	s_lshl_b64 s[6:7], s[6:7], 2
	s_delay_alu instid0(SALU_CYCLE_1) | instskip(NEXT) | instid1(VALU_DEP_2)
	s_add_u32 s16, s4, s6
	v_cndmask_b32_e32 v1, s3, v4, vcc_lo
	s_delay_alu instid0(VALU_DEP_2) | instskip(SKIP_3) | instid1(SALU_CYCLE_1)
	v_ashrrev_i32_e32 v2, 4, v2
	v_cmp_gt_i32_e32 vcc_lo, s30, v3
	s_addc_u32 s37, s5, s7
	s_mul_i32 s4, s15, s18
	s_ashr_i32 s5, s4, 31
	v_cndmask_b32_e32 v3, s3, v2, vcc_lo
	v_ashrrev_i32_e32 v2, 31, v1
	s_lshl_b64 s[12:13], s[4:5], 1
	s_delay_alu instid0(SALU_CYCLE_1) | instskip(NEXT) | instid1(VALU_DEP_2)
	s_add_u32 s26, s20, s12
	v_ashrrev_i32_e32 v4, 31, v3
	s_delay_alu instid0(VALU_DEP_2) | instskip(SKIP_2) | instid1(VALU_DEP_2)
	v_lshlrev_b64 v[1:2], 2, v[1:2]
	s_addc_u32 s27, s21, s13
	s_lshl_b32 s4, s14, 4
	v_lshlrev_b64 v[3:4], 2, v[3:4]
	s_ashr_i32 s5, s4, 31
	s_delay_alu instid0(VALU_DEP_2) | instskip(SKIP_1) | instid1(VALU_DEP_3)
	v_add_co_u32 v1, vcc_lo, s16, v1
	v_add_co_ci_u32_e32 v2, vcc_lo, s37, v2, vcc_lo
	v_add_co_u32 v3, vcc_lo, s16, v3
	s_delay_alu instid0(VALU_DEP_4)
	v_add_co_ci_u32_e32 v4, vcc_lo, s37, v4, vcc_lo
	s_clause 0x1
	global_load_b32 v5, v[1:2], off
	global_load_b32 v6, v[3:4], off
	s_lshl_b64 s[4:5], s[4:5], 2
	v_lshlrev_b32_e32 v3, 4, v0
	s_add_u32 s4, s16, s4
	s_addc_u32 s5, s37, s5
	s_or_b32 s6, s31, 16
	s_delay_alu instid0(SALU_CYCLE_1) | instskip(SKIP_2) | instid1(SALU_CYCLE_1)
	s_ashr_i32 s7, s6, 4
	s_cmp_lt_i32 s6, s30
	s_cselect_b32 s6, s7, s3
	s_ashr_i32 s7, s6, 31
	s_delay_alu instid0(SALU_CYCLE_1) | instskip(NEXT) | instid1(SALU_CYCLE_1)
	s_lshl_b64 s[6:7], s[6:7], 2
	s_add_u32 s6, s16, s6
	s_addc_u32 s7, s37, s7
	s_or_b32 s8, s31, 32
	s_delay_alu instid0(SALU_CYCLE_1) | instskip(SKIP_2) | instid1(SALU_CYCLE_1)
	s_ashr_i32 s9, s8, 4
	s_cmp_lt_i32 s8, s30
	s_cselect_b32 s8, s9, s3
	s_ashr_i32 s9, s8, 31
	s_delay_alu instid0(SALU_CYCLE_1) | instskip(NEXT) | instid1(SALU_CYCLE_1)
	s_lshl_b64 s[8:9], s[8:9], 2
	;; [unrolled: 10-line block ×5, first 2 shown]
	s_add_u32 s24, s16, s18
	s_addc_u32 s25, s37, s19
	s_clause 0x5
	s_load_b32 s38, s[4:5], 0x0
	s_load_b32 s29, s[6:7], 0x0
	s_load_b32 s28, s[8:9], 0x0
	s_load_b32 s19, s[10:11], 0x0
	s_load_b32 s18, s[20:21], 0x0
	s_load_b32 s15, s[24:25], 0x0
	s_waitcnt vmcnt(1)
	v_mad_i64_i32 v[1:2], null, v5, s17, 0
	v_and_b32_e32 v5, 0xf0, v3
	s_waitcnt vmcnt(0)
	v_mad_i64_i32 v[3:4], null, v6, s17, 0
	s_delay_alu instid0(VALU_DEP_2) | instskip(NEXT) | instid1(VALU_DEP_4)
	v_add_co_u32 v7, s4, s26, v5
	v_lshlrev_b64 v[1:2], 1, v[1:2]
	v_add_co_ci_u32_e64 v8, null, s27, 0, s4
	s_delay_alu instid0(VALU_DEP_4) | instskip(SKIP_1) | instid1(VALU_DEP_3)
	v_lshlrev_b64 v[5:6], 1, v[3:4]
	s_or_b32 s4, s31, 0x60
	v_add_co_u32 v3, vcc_lo, v7, v1
	s_delay_alu instid0(VALU_DEP_3) | instskip(NEXT) | instid1(VALU_DEP_3)
	v_add_co_ci_u32_e32 v4, vcc_lo, v8, v2, vcc_lo
	v_add_co_u32 v1, vcc_lo, v7, v5
	s_delay_alu instid0(VALU_DEP_4)
	v_add_co_ci_u32_e32 v2, vcc_lo, v8, v6, vcc_lo
	s_clause 0x9
	global_load_b128 v[9:12], v[3:4], off
	global_load_b128 v[13:16], v[3:4], off offset:256
	global_load_b128 v[129:132], v[1:2], off
	global_load_b128 v[133:136], v[1:2], off offset:256
	global_load_b128 v[41:44], v[3:4], off offset:512
	;; [unrolled: 1-line block ×7, first 2 shown]
	v_mul_lo_u16 v5, 0x56, v148
	s_clause 0x1
	global_load_b128 v[151:154], v[1:2], off offset:1024
	global_load_b128 v[155:158], v[1:2], off offset:1280
	s_ashr_i32 s5, s4, 4
	s_cmp_lt_i32 s4, s30
	v_lshlrev_b32_e32 v6, 5, v148
	v_lshrrev_b16 v5, 8, v5
	s_cselect_b32 s4, s5, s3
	s_delay_alu instid0(SALU_CYCLE_1) | instskip(NEXT) | instid1(VALU_DEP_2)
	s_ashr_i32 s5, s4, 31
	v_lshl_or_b32 v6, v149, 9, v6
	s_delay_alu instid0(VALU_DEP_2) | instskip(SKIP_1) | instid1(SALU_CYCLE_1)
	v_mul_lo_u16 v5, v5, 3
	s_lshl_b64 s[4:5], s[4:5], 2
	s_add_u32 s20, s16, s4
	s_addc_u32 s21, s37, s5
	s_delay_alu instid0(VALU_DEP_1) | instskip(SKIP_1) | instid1(SALU_CYCLE_1)
	v_sub_nc_u16 v5, v148, v5
	s_or_b32 s4, s31, 0x70
	s_ashr_i32 s5, s4, 4
	s_cmp_lt_i32 s4, s30
	s_delay_alu instid0(VALU_DEP_1) | instskip(SKIP_1) | instid1(SALU_CYCLE_1)
	v_and_b32_e32 v5, 0xff, v5
	s_cselect_b32 s4, s5, s3
	s_ashr_i32 s5, s4, 31
	s_delay_alu instid0(VALU_DEP_1)
	v_lshlrev_b32_e32 v197, 6, v5
	ds_load_b128 v[159:162], v197
	ds_load_b128 v[163:166], v197 offset:1024
	s_clause 0x3
	global_load_b128 v[167:170], v[3:4], off offset:1536
	global_load_b128 v[171:174], v[3:4], off offset:1792
	;; [unrolled: 1-line block ×4, first 2 shown]
	s_lshl_b64 s[6:7], s[4:5], 2
	s_mov_b32 s4, 0
	s_add_u32 s24, s16, s6
	s_addc_u32 s25, s37, s7
	s_or_b32 s5, s31, 0x80
	s_mov_b32 s11, s4
	s_ashr_i32 s6, s5, 4
	s_cmp_lt_i32 s5, s30
	s_mov_b32 s5, s4
	s_cselect_b32 s8, s6, s3
	s_mov_b32 s6, s4
	s_ashr_i32 s9, s8, 31
	s_mov_b32 s7, s4
	s_lshl_b64 s[8:9], s[8:9], 2
	s_clause 0x1
	s_load_b32 s45, s[20:21], 0x0
	s_load_b32 s46, s[24:25], 0x0
	s_add_u32 s26, s16, s8
	s_addc_u32 s27, s37, s9
	s_or_b32 s9, s31, 0x90
	s_mov_b32 s8, s4
	s_ashr_i32 s10, s9, 4
	s_cmp_lt_i32 s9, s30
	s_mov_b32 s9, s4
	s_cselect_b32 s40, s10, s3
	s_mov_b32 s10, s4
	s_ashr_i32 s41, s40, 31
	v_mov_b32_e32 v144, s11
	s_lshl_b64 s[40:41], s[40:41], 2
	v_mov_b32_e32 v143, s10
	s_add_u32 s40, s16, s40
	s_addc_u32 s41, s37, s41
	s_or_b32 s39, s31, 0xa0
	s_load_b32 s41, s[40:41], 0x0
	s_ashr_i32 s42, s39, 4
	s_cmp_lt_i32 s39, s30
	v_mov_b32_e32 v142, s9
	s_cselect_b32 s42, s42, s3
	v_mov_b32_e32 v141, s8
	s_ashr_i32 s43, s42, 31
	v_dual_mov_b32 v140, s7 :: v_dual_mov_b32 v139, s6
	v_dual_mov_b32 v138, s5 :: v_dual_mov_b32 v137, s4
	s_lshl_b64 s[4:5], s[42:43], 2
	s_waitcnt lgkmcnt(0)
	s_mul_hi_i32 s7, s29, s17
	s_add_u32 s42, s16, s4
	s_addc_u32 s43, s37, s5
	s_or_b32 s4, s31, 0xb0
	s_mul_hi_i32 s5, s38, s17
	s_ashr_i32 s6, s4, 4
	s_cmp_lt_i32 s4, s30
	s_mul_i32 s4, s38, s17
	s_cselect_b32 s8, s6, s3
	s_mul_i32 s6, s29, s17
	s_ashr_i32 s9, s8, 31
	s_load_b32 s40, s[42:43], 0x0
	s_lshl_b64 s[8:9], s[8:9], 2
	s_mul_hi_i32 s21, s15, s17
	s_add_u32 s38, s16, s8
	s_addc_u32 s39, s37, s9
	s_or_b32 s8, s31, 0xc0
	s_mul_hi_i32 s9, s28, s17
	s_ashr_i32 s10, s8, 4
	s_cmp_lt_i32 s8, s30
	s_mul_i32 s8, s28, s17
	s_cselect_b32 s28, s10, s3
	s_mul_hi_i32 s11, s19, s17
	s_ashr_i32 s29, s28, 31
	s_mul_i32 s10, s19, s17
	s_lshl_b64 s[28:29], s[28:29], 2
	s_mul_hi_i32 s19, s18, s17
	s_add_u32 s28, s16, s28
	s_addc_u32 s29, s37, s29
	s_or_b32 s44, s31, 0xd0
	s_mul_i32 s18, s18, s17
	s_ashr_i32 s20, s44, 4
	s_cmp_lt_i32 s44, s30
	s_load_b32 s44, s[26:27], 0x0
	s_cselect_b32 s24, s20, s3
	s_mul_i32 s20, s15, s17
	s_ashr_i32 s25, s24, 31
	s_mul_hi_i32 s27, s46, s17
	s_lshl_b64 s[24:25], s[24:25], 2
	s_mul_i32 s26, s46, s17
	s_add_u32 s24, s16, s24
	s_addc_u32 s25, s37, s25
	s_or_b32 s42, s31, 0xe0
	s_clause 0x2
	s_load_b32 s39, s[38:39], 0x0
	s_load_b32 s38, s[28:29], 0x0
	;; [unrolled: 1-line block ×3, first 2 shown]
	s_ashr_i32 s47, s42, 4
	s_cmp_lt_i32 s42, s30
	s_mul_hi_i32 s25, s45, s17
	s_mul_i32 s24, s45, s17
	s_mul_hi_i32 s43, s41, s17
	s_mul_i32 s42, s41, s17
	s_waitcnt lgkmcnt(0)
	s_mul_hi_i32 s41, s40, s17
	s_mul_i32 s40, s40, s17
	s_mul_hi_i32 s29, s44, s17
	s_mul_i32 s28, s44, s17
	s_cselect_b32 s44, s47, s3
	s_delay_alu instid0(SALU_CYCLE_1) | instskip(NEXT) | instid1(SALU_CYCLE_1)
	s_ashr_i32 s45, s44, 31
	s_lshl_b64 s[44:45], s[44:45], 2
	s_delay_alu instid0(SALU_CYCLE_1)
	s_add_u32 s44, s16, s44
	s_addc_u32 s45, s37, s45
	s_or_b32 s46, s31, 0xf0
	s_mul_hi_i32 s51, s15, s17
	s_ashr_i32 s48, s46, 4
	s_cmp_lt_i32 s46, s30
	s_mul_i32 s50, s15, s17
	s_cselect_b32 s48, s48, s3
	s_mul_hi_i32 s47, s39, s17
	s_ashr_i32 s49, s48, 31
	s_mul_i32 s46, s39, s17
	s_lshl_b64 s[48:49], s[48:49], 2
	s_mul_hi_i32 s39, s38, s17
	s_add_u32 s48, s16, s48
	s_addc_u32 s49, s37, s49
	s_add_u32 s3, s22, s12
	s_addc_u32 s15, s23, s13
	v_add_co_u32 v195, s3, s3, v6
	s_delay_alu instid0(VALU_DEP_1) | instskip(SKIP_2) | instid1(VALU_DEP_2)
	v_add_co_ci_u32_e64 v196, null, s15, 0, s3
	s_lshl_b64 s[4:5], s[4:5], 1
	s_lshl_b64 s[6:7], s[6:7], 1
	v_add_co_u32 v1, vcc_lo, v195, s4
	s_delay_alu instid0(VALU_DEP_2)
	v_add_co_ci_u32_e32 v2, vcc_lo, s5, v196, vcc_lo
	v_add_co_u32 v3, vcc_lo, v195, s6
	s_lshl_b64 s[8:9], s[8:9], 1
	v_add_co_ci_u32_e32 v4, vcc_lo, s7, v196, vcc_lo
	v_add_co_u32 v5, vcc_lo, v195, s8
	s_lshl_b64 s[10:11], s[10:11], 1
	;; [unrolled: 3-line block ×10, first 2 shown]
	s_mul_i32 s38, s38, s17
	v_add_co_ci_u32_e32 v184, vcc_lo, s29, v196, vcc_lo
	v_add_co_u32 v185, vcc_lo, v195, s40
	s_lshl_b64 s[38:39], s[38:39], 1
	s_clause 0x1
	s_load_b32 s3, s[44:45], 0x0
	s_load_b32 s15, s[48:49], 0x0
	v_add_co_ci_u32_e32 v186, vcc_lo, s41, v196, vcc_lo
	v_add_co_u32 v191, vcc_lo, v195, s38
	v_add_co_ci_u32_e32 v192, vcc_lo, s39, v196, vcc_lo
	s_clause 0x17
	global_load_b128 v[121:124], v[1:2], off
	global_load_b128 v[125:128], v[1:2], off offset:16
	global_load_b128 v[113:116], v[3:4], off
	global_load_b128 v[117:120], v[3:4], off offset:16
	global_load_b128 v[105:108], v[5:6], off
	global_load_b128 v[109:112], v[5:6], off offset:16
	global_load_b128 v[97:100], v[7:8], off
	global_load_b128 v[101:104], v[7:8], off offset:16
	global_load_b128 v[89:92], v[25:26], off
	global_load_b128 v[93:96], v[25:26], off offset:16
	global_load_b128 v[81:84], v[27:28], off
	global_load_b128 v[85:88], v[27:28], off offset:16
	global_load_b128 v[73:76], v[29:30], off
	global_load_b128 v[77:80], v[29:30], off offset:16
	global_load_b128 v[65:68], v[31:32], off
	global_load_b128 v[69:72], v[31:32], off offset:16
	global_load_b128 v[57:60], v[49:50], off
	global_load_b128 v[61:64], v[49:50], off offset:16
	global_load_b128 v[49:52], v[53:54], off
	global_load_b128 v[53:56], v[53:54], off offset:16
	global_load_b128 v[25:28], v[183:184], off
	global_load_b128 v[29:32], v[183:184], off offset:16
	global_load_b128 v[1:4], v[185:186], off
	global_load_b128 v[5:8], v[185:186], off offset:16
	s_lshl_b64 s[42:43], s[50:51], 1
	s_delay_alu instid0(SALU_CYCLE_1)
	v_add_co_u32 v193, vcc_lo, v195, s42
	v_add_co_ci_u32_e32 v194, vcc_lo, s43, v196, vcc_lo
	s_waitcnt lgkmcnt(0)
	s_mul_hi_i32 s5, s3, s17
	s_mul_i32 s4, s3, s17
	s_mul_hi_i32 s7, s15, s17
	s_lshl_b64 s[4:5], s[4:5], 1
	s_mul_i32 s6, s15, s17
	s_waitcnt vmcnt(38)
	v_wmma_f32_16x16x16_f16 v[183:190], v[9:16], v[159:166], v[137:144]
	s_waitcnt vmcnt(36)
	v_wmma_f32_16x16x16_f16 v[137:144], v[129:136], v[159:166], v[137:144]
	s_clause 0x1
	global_load_b128 v[9:12], v[191:192], off
	global_load_b128 v[13:16], v[191:192], off offset:16
	ds_load_b128 v[129:132], v197 offset:2048
	ds_load_b128 v[133:136], v197 offset:3072
	;; [unrolled: 1-line block ×4, first 2 shown]
	v_add_co_u32 v191, vcc_lo, v195, s4
	v_add_co_ci_u32_e32 v192, vcc_lo, s5, v196, vcc_lo
	s_lshl_b64 s[4:5], s[6:7], 1
	s_delay_alu instid0(SALU_CYCLE_1)
	v_add_co_u32 v195, vcc_lo, v195, s4
	v_add_co_ci_u32_e32 v196, vcc_lo, s5, v196, vcc_lo
	s_waitcnt vmcnt(36) lgkmcnt(2)
	v_wmma_f32_16x16x16_f16 v[183:190], v[41:48], v[129:136], v[183:190]
	s_waitcnt vmcnt(34)
	v_wmma_f32_16x16x16_f16 v[137:144], v[33:40], v[129:136], v[137:144]
	s_clause 0x3
	global_load_b128 v[33:36], v[193:194], off
	global_load_b128 v[37:40], v[193:194], off offset:16
	global_load_b128 v[41:44], v[191:192], off
	global_load_b128 v[45:48], v[191:192], off offset:16
	v_and_b32_e32 v129, 0xe0, v0
	v_mbcnt_lo_u32_b32 v191, -1, 0
	s_waitcnt vmcnt(36) lgkmcnt(0)
	v_wmma_f32_16x16x16_f16 v[183:190], v[17:24], v[159:166], v[183:190]
	s_clause 0x1
	global_load_b128 v[17:20], v[195:196], off
	global_load_b128 v[21:24], v[195:196], off offset:16
	s_waitcnt vmcnt(36)
	v_wmma_f32_16x16x16_f16 v[137:144], v[151:158], v[159:166], v[137:144]
	v_add_nc_u32_e32 v192, s31, v129
	ds_load_b128 v[129:132], v197 offset:6144
	ds_load_b128 v[133:136], v197 offset:7168
	v_xor_b32_e32 v151, 16, v191
	s_waitcnt vmcnt(0) lgkmcnt(0)
	s_barrier
	v_or_b32_e32 v152, v192, v146
	buffer_gl0_inv
	v_cmp_gt_i32_e32 vcc_lo, 32, v151
	v_or_b32_e32 v153, 2, v152
	v_or_b32_e32 v154, 4, v152
	;; [unrolled: 1-line block ×5, first 2 shown]
	v_cmp_gt_i32_e64 s3, s30, v153
	v_cmp_gt_i32_e64 s4, s30, v154
	;; [unrolled: 1-line block ×3, first 2 shown]
	v_or_b32_e32 v158, 12, v152
	v_or_b32_e32 v159, 14, v152
	v_cmp_gt_i32_e64 s6, s30, v156
	v_wmma_f32_16x16x16_f16 v[183:190], v[167:174], v[129:136], v[183:190]
	v_wmma_f32_16x16x16_f16 v[137:144], v[175:182], v[129:136], v[137:144]
	v_cndmask_b32_e32 v151, v191, v151, vcc_lo
	v_cmp_gt_i32_e32 vcc_lo, s30, v152
	v_cmp_gt_i32_e64 s7, s30, v157
	v_dual_mul_f32 v135, s36, v184 :: v_dual_mul_f32 v136, s36, v183
	v_mul_f32_e32 v134, s36, v185
	v_dual_mul_f32 v168, s36, v144 :: v_dual_mul_f32 v133, s36, v186
	s_delay_alu instid0(VALU_DEP_3) | instskip(NEXT) | instid1(VALU_DEP_4)
	v_cndmask_b32_e64 v135, 0xff7fffff, v135, s3
	v_cndmask_b32_e32 v136, 0xff7fffff, v136, vcc_lo
	v_dual_mul_f32 v131, s36, v188 :: v_dual_mul_f32 v174, s36, v138
	v_mul_f32_e32 v132, s36, v187
	v_cndmask_b32_e64 v134, 0xff7fffff, v134, s4
	v_cndmask_b32_e64 v133, 0xff7fffff, v133, s5
	v_max3_f32 v135, v136, 0xff7fffff, v135
	v_or_b32_e32 v160, 16, v152
	v_or_b32_e32 v161, 18, v152
	v_dual_mul_f32 v129, s36, v190 :: v_dual_mul_f32 v172, s36, v140
	v_mul_f32_e32 v130, s36, v189
	v_cndmask_b32_e64 v132, 0xff7fffff, v132, s6
	v_cndmask_b32_e64 v131, 0xff7fffff, v131, s7
	v_max3_f32 v133, v135, v134, v133
	v_cmp_gt_i32_e64 s8, s30, v158
	v_cmp_gt_i32_e64 s9, s30, v159
	v_or_b32_e32 v162, 20, v152
	v_or_b32_e32 v163, 22, v152
	v_mul_f32_e32 v175, s36, v137
	v_cndmask_b32_e64 v130, 0xff7fffff, v130, s8
	v_cndmask_b32_e64 v129, 0xff7fffff, v129, s9
	v_max3_f32 v131, v133, v132, v131
	v_cmp_gt_i32_e64 s10, s30, v160
	v_cmp_gt_i32_e64 s11, s30, v161
	v_or_b32_e32 v164, 24, v152
	v_or_b32_e32 v165, 26, v152
	;; [unrolled: 8-line block ×3, first 2 shown]
	v_dual_mul_f32 v170, s36, v142 :: v_dual_mul_f32 v171, s36, v141
	v_cndmask_b32_e64 v130, 0xff7fffff, v173, s12
	v_cndmask_b32_e64 v131, 0xff7fffff, v172, s13
	v_max3_f32 v129, v129, v132, v133
	v_cmp_gt_i32_e64 s15, s30, v164
	v_cmp_gt_i32_e64 s16, s30, v165
	v_mul_f32_e32 v169, s36, v143
	v_cmp_gt_i32_e64 s17, s30, v166
	v_max3_f32 v129, v129, v130, v131
	v_cndmask_b32_e64 v132, 0xff7fffff, v171, s15
	v_cndmask_b32_e64 v133, 0xff7fffff, v170, s16
	v_cmp_gt_i32_e64 s18, s30, v167
	v_cndmask_b32_e64 v130, 0xff7fffff, v169, s17
	s_delay_alu instid0(VALU_DEP_3) | instskip(NEXT) | instid1(VALU_DEP_3)
	v_max3_f32 v129, v129, v132, v133
	v_cndmask_b32_e64 v131, 0xff7fffff, v168, s18
	v_lshlrev_b32_e32 v132, 2, v151
	s_delay_alu instid0(VALU_DEP_2) | instskip(SKIP_3) | instid1(VALU_DEP_1)
	v_max3_f32 v129, v129, v130, v131
	ds_bpermute_b32 v130, v132, v129
	s_waitcnt lgkmcnt(0)
	v_max_f32_e32 v130, v130, v130
	v_max_f32_e32 v129, v129, v130
	s_delay_alu instid0(VALU_DEP_1)
	v_fma_f32 v134, s36, v186, -v129
	v_fma_f32 v130, s36, v183, -v129
	;; [unrolled: 1-line block ×5, first 2 shown]
	v_mul_f32_e32 v134, 0x3fb8aa3b, v134
	s_delay_alu instid0(VALU_DEP_4) | instskip(SKIP_1) | instid1(VALU_DEP_4)
	v_dual_mul_f32 v130, 0x3fb8aa3b, v130 :: v_dual_mul_f32 v131, 0x3fb8aa3b, v131
	v_fma_f32 v135, s36, v187, -v129
	v_mul_f32_e32 v136, 0x3fb8aa3b, v136
	s_delay_alu instid0(VALU_DEP_4) | instskip(NEXT) | instid1(VALU_DEP_3)
	v_exp_f32_e32 v134, v134
	v_exp_f32_e32 v130, v130
	v_exp_f32_e32 v131, v131
	v_mul_f32_e32 v135, 0x3fb8aa3b, v135
	v_exp_f32_e32 v136, v136
	s_delay_alu instid0(VALU_DEP_1) | instskip(SKIP_4) | instid1(TRANS32_DEP_3)
	v_exp_f32_e32 v135, v135
	v_cndmask_b32_e64 v153, 0, v134, s5
	v_fma_f32 v134, s36, v137, -v129
	v_dual_mul_f32 v133, 0x3fb8aa3b, v133 :: v_dual_cndmask_b32 v152, 0, v130
	v_fma_f32 v130, s36, v188, -v129
	v_cndmask_b32_e64 v151, 0, v131, s3
	s_delay_alu instid0(VALU_DEP_4) | instskip(NEXT) | instid1(VALU_DEP_4)
	v_mul_f32_e32 v134, 0x3fb8aa3b, v134
	v_exp_f32_e32 v133, v133
	s_delay_alu instid0(VALU_DEP_3) | instskip(SKIP_3) | instid1(VALU_DEP_4)
	v_dual_add_f32 v131, 0, v152 :: v_dual_mul_f32 v130, 0x3fb8aa3b, v130
	v_cndmask_b32_e64 v156, 0, v136, s8
	v_fma_f32 v136, s36, v140, -v129
	v_cndmask_b32_e64 v155, 0, v135, s6
	v_add_f32_e32 v131, v131, v151
	v_exp_f32_e32 v130, v130
	v_fma_f32 v135, s36, v138, -v129
	v_mul_f32_e32 v136, 0x3fb8aa3b, v136
	s_delay_alu instid0(TRANS32_DEP_2)
	v_cndmask_b32_e64 v154, 0, v133, s4
	v_fma_f32 v133, s36, v190, -v129
	v_exp_f32_e32 v134, v134
	v_cmp_gt_u32_e64 s3, 16, v150
	v_exp_f32_e32 v136, v136
	v_add_f32_e32 v131, v131, v154
	s_delay_alu instid0(TRANS32_DEP_3) | instskip(NEXT) | instid1(VALU_DEP_2)
	v_cndmask_b32_e64 v138, 0, v130, s7
	v_add_f32_e32 v131, v131, v153
	s_delay_alu instid0(VALU_DEP_1) | instskip(NEXT) | instid1(VALU_DEP_1)
	v_dual_mul_f32 v133, 0x3fb8aa3b, v133 :: v_dual_add_f32 v130, v131, v155
	v_exp_f32_e32 v133, v133
	v_fma_f32 v131, s36, v139, -v129
	s_delay_alu instid0(VALU_DEP_2) | instskip(NEXT) | instid1(VALU_DEP_1)
	v_add_f32_e32 v130, v130, v138
	v_add_f32_e32 v130, v130, v156
	s_waitcnt_depctr 0xfff
	v_cndmask_b32_e64 v139, 0, v133, s9
	v_fma_f32 v133, s36, v141, -v129
	v_cndmask_b32_e64 v141, 0, v134, s10
	v_fma_f32 v134, s36, v142, -v129
	v_cndmask_b32_e64 v142, 0, v136, s13
	v_add_f32_e32 v130, v130, v139
	s_delay_alu instid0(VALU_DEP_3) | instskip(NEXT) | instid1(VALU_DEP_2)
	v_dual_mul_f32 v135, 0x3fb8aa3b, v135 :: v_dual_mul_f32 v134, 0x3fb8aa3b, v134
	v_add_f32_e32 v130, v130, v141
	s_delay_alu instid0(VALU_DEP_2) | instskip(NEXT) | instid1(VALU_DEP_2)
	v_exp_f32_e32 v135, v135
	v_exp_f32_e32 v134, v134
	s_waitcnt_depctr 0xfff
	v_cndmask_b32_e64 v140, 0, v135, s11
	v_mul_f32_e32 v131, 0x3fb8aa3b, v131
	v_fma_f32 v135, s36, v143, -v129
	s_delay_alu instid0(VALU_DEP_3) | instskip(NEXT) | instid1(VALU_DEP_3)
	v_add_f32_e32 v130, v130, v140
	v_exp_f32_e32 v131, v131
	s_waitcnt_depctr 0xfff
	v_cndmask_b32_e64 v143, 0, v131, s12
	s_delay_alu instid0(VALU_DEP_1) | instskip(NEXT) | instid1(VALU_DEP_1)
	v_dual_mul_f32 v133, 0x3fb8aa3b, v133 :: v_dual_add_f32 v130, v130, v143
	v_exp_f32_e32 v133, v133
	v_mul_f32_e32 v131, 0x3fb8aa3b, v135
	v_fma_f32 v135, s36, v144, -v129
	v_cndmask_b32_e64 v144, 0, v134, s16
	v_add_f32_e32 v130, v130, v142
	s_delay_alu instid0(VALU_DEP_4) | instskip(SKIP_2) | instid1(VALU_DEP_1)
	v_exp_f32_e32 v131, v131
	s_waitcnt_depctr 0xfff
	v_cndmask_b32_e64 v157, 0, v133, s15
	v_dual_mul_f32 v133, 0x3fb8aa3b, v135 :: v_dual_add_f32 v130, v130, v157
	s_delay_alu instid0(VALU_DEP_1) | instskip(SKIP_1) | instid1(VALU_DEP_2)
	v_exp_f32_e32 v133, v133
	v_cndmask_b32_e64 v159, 0, v131, s17
	v_add_f32_e32 v130, v130, v144
	s_delay_alu instid0(VALU_DEP_1) | instskip(SKIP_2) | instid1(VALU_DEP_1)
	v_add_f32_e32 v130, v130, v159
	s_waitcnt_depctr 0xfff
	v_cndmask_b32_e64 v158, 0, v133, s18
	v_add_f32_e32 v130, v130, v158
	ds_bpermute_b32 v131, v132, v130
	s_and_saveexec_b32 s4, s3
	s_cbranch_execz .LBB84_12
; %bb.11:
	v_mul_u32_u24_e32 v132, 0x44, v149
	s_delay_alu instid0(VALU_DEP_1) | instskip(SKIP_1) | instid1(VALU_DEP_1)
	v_lshl_add_u32 v132, v148, 2, v132
	s_waitcnt lgkmcnt(0)
	v_dual_add_f32 v130, v130, v131 :: v_dual_add_nc_u32 v131, 0x4000, v132
	ds_store_2addr_b32 v131, v129, v130 offset1:136
.LBB84_12:
	s_or_b32 exec_lo, exec_lo, s4
	v_lshlrev_b32_e32 v129, 2, v148
	s_load_b32 s36, s[0:1], 0x94
	s_waitcnt lgkmcnt(0)
	s_barrier
	buffer_gl0_inv
	v_add_nc_u32_e32 v135, 0x4000, v129
	v_cmp_eq_u32_e32 vcc_lo, 1, v149
	v_cmp_eq_u32_e64 s4, 2, v149
	v_cmp_eq_u32_e64 s5, 3, v149
	;; [unrolled: 1-line block ×3, first 2 shown]
	ds_load_2addr_b32 v[129:130], v135 offset1:17
	ds_load_2addr_b32 v[131:132], v135 offset0:34 offset1:51
	ds_load_2addr_b32 v[133:134], v135 offset0:68 offset1:85
	;; [unrolled: 1-line block ×3, first 2 shown]
	v_cmp_eq_u32_e64 s7, 5, v149
	v_cmp_eq_u32_e64 s8, 7, v149
	s_waitcnt lgkmcnt(3)
	v_max3_f32 v136, v129, 0xff7fffff, v130
	s_waitcnt lgkmcnt(2)
	s_delay_alu instid0(VALU_DEP_1) | instskip(SKIP_1) | instid1(VALU_DEP_1)
	v_max3_f32 v136, v136, v131, v132
	s_waitcnt lgkmcnt(1)
	v_max3_f32 v136, v136, v133, v134
	s_waitcnt lgkmcnt(0)
	s_delay_alu instid0(VALU_DEP_1) | instskip(NEXT) | instid1(VALU_DEP_1)
	v_max3_f32 v136, v136, v160, v161
	v_sub_f32_e32 v164, v132, v136
	ds_load_2addr_b32 v[162:163], v135 offset0:136 offset1:153
	v_sub_f32_e32 v129, v129, v136
	v_sub_f32_e32 v137, v130, v136
	;; [unrolled: 1-line block ×3, first 2 shown]
	v_mul_f32_e32 v164, 0x3fb8aa3b, v164
	s_delay_alu instid0(VALU_DEP_4) | instskip(NEXT) | instid1(VALU_DEP_4)
	v_mul_f32_e32 v150, 0x3fb8aa3b, v129
	v_mul_f32_e32 v137, 0x3fb8aa3b, v137
	ds_load_2addr_b32 v[129:130], v135 offset0:170 offset1:187
	v_mul_f32_e32 v167, 0x3fb8aa3b, v133
	v_exp_f32_e32 v164, v164
	v_exp_f32_e32 v150, v150
	;; [unrolled: 1-line block ×3, first 2 shown]
	v_sub_f32_e32 v131, v131, v136
	s_delay_alu instid0(VALU_DEP_1)
	v_mul_f32_e32 v165, 0x3fb8aa3b, v131
	ds_load_2addr_b32 v[131:132], v135 offset0:204 offset1:221
	s_waitcnt lgkmcnt(2)
	v_fma_f32 v137, v150, v162, 0
	v_sub_f32_e32 v162, v134, v136
	v_exp_f32_e32 v165, v165
	ds_load_2addr_b32 v[133:134], v135 offset0:238 offset1:255
	v_sub_f32_e32 v135, v160, v136
	v_dual_fmac_f32 v137, v166, v163 :: v_dual_mul_f32 v160, 0x3fb8aa3b, v162
	v_exp_f32_e32 v162, v167
	s_waitcnt lgkmcnt(0)
	s_delay_alu instid0(VALU_DEP_2)
	v_mul_f32_e32 v135, 0x3fb8aa3b, v135
	s_barrier
	v_exp_f32_e32 v160, v160
	v_fmac_f32_e32 v137, v165, v129
	v_sub_f32_e32 v129, v161, v136
	v_exp_f32_e32 v161, v135
	buffer_gl0_inv
	v_fmac_f32_e32 v137, v164, v130
	v_dual_mul_f32 v129, 0x3fb8aa3b, v129 :: v_dual_cndmask_b32 v130, v150, v166
	s_delay_alu instid0(VALU_DEP_2) | instskip(NEXT) | instid1(VALU_DEP_2)
	v_fmac_f32_e32 v137, v162, v131
	v_exp_f32_e32 v163, v129
	s_delay_alu instid0(VALU_DEP_1) | instskip(NEXT) | instid1(VALU_DEP_1)
	v_fmac_f32_e32 v137, v160, v132
	v_fmac_f32_e32 v137, v161, v133
	v_lshlrev_b32_e32 v133, 6, v148
	s_waitcnt_depctr 0xfff
	v_fmac_f32_e32 v137, v163, v134
	v_lshl_or_b32 v135, v149, 11, v133
	s_delay_alu instid0(VALU_DEP_2) | instskip(NEXT) | instid1(VALU_DEP_1)
	v_add_f32_e32 v134, 0x358637bd, v137
	v_div_scale_f32 v167, null, v134, v134, 1.0
	v_div_scale_f32 v150, vcc_lo, 1.0, v134, 1.0
	s_delay_alu instid0(VALU_DEP_2) | instskip(SKIP_2) | instid1(VALU_DEP_1)
	v_rcp_f32_e32 v168, v167
	s_waitcnt_depctr 0xfff
	v_fma_f32 v129, -v167, v168, 1.0
	v_fmac_f32_e32 v168, v129, v168
	v_cndmask_b32_e64 v129, v130, v165, s4
	v_cmp_eq_u32_e64 s4, 6, v149
	s_delay_alu instid0(VALU_DEP_3) | instskip(NEXT) | instid1(VALU_DEP_3)
	v_mul_f32_e32 v165, v150, v168
	v_cndmask_b32_e64 v130, v129, v164, s5
	v_lshlrev_b32_e32 v129, 2, v146
	s_delay_alu instid0(VALU_DEP_3) | instskip(NEXT) | instid1(VALU_DEP_3)
	v_fma_f32 v131, -v167, v165, v150
	v_cndmask_b32_e64 v162, v130, v162, s6
	s_delay_alu instid0(VALU_DEP_3)
	v_or_b32_e32 v130, 1, v129
	v_or_b32_e32 v132, 2, v129
	v_cmp_eq_u32_e64 s5, 1, v129
	v_fmac_f32_e32 v165, v131, v168
	v_cndmask_b32_e64 v149, v162, v160, s7
	v_or_b32_e32 v131, 3, v129
	v_cmp_eq_u32_e64 s10, 1, v130
	v_cmp_eq_u32_e64 s11, 1, v132
	v_fma_f32 v150, -v167, v165, v150
	v_cndmask_b32_e64 v149, v149, v161, s4
	v_cmp_eq_u32_e64 s12, 1, v131
	v_cmp_eq_u32_e64 s6, 2, v129
	;; [unrolled: 1-line block ×3, first 2 shown]
	v_div_fmas_f32 v150, v150, v168, v165
	v_cndmask_b32_e64 v149, v149, v163, s8
	v_cmp_eq_u32_e64 s16, 2, v132
	v_cmp_eq_u32_e64 s17, 2, v131
	v_cmp_eq_u32_e32 vcc_lo, 3, v129
	v_div_fixup_f32 v150, v150, v134, 1.0
	v_lshl_or_b32 v134, v146, 4, v135
	v_cmp_eq_u32_e64 s15, 3, v130
	v_cmp_eq_u32_e64 s19, 3, v131
	;; [unrolled: 1-line block ×3, first 2 shown]
	v_mul_f32_e32 v149, v149, v150
	v_cmp_eq_u32_e64 s18, 3, v132
	v_cmp_eq_u32_e64 s20, 4, v130
	;; [unrolled: 1-line block ×4, first 2 shown]
	v_fma_mixlo_f16 v160, v149, v152, 0
	v_fma_mixlo_f16 v161, v149, v154, 0
	;; [unrolled: 1-line block ×8, first 2 shown]
	v_fma_mixhi_f16 v160, v149, v151, 0
	v_fma_mixhi_f16 v161, v149, v153, 0
	;; [unrolled: 1-line block ×8, first 2 shown]
	ds_store_b128 v134, v[160:163]
	ds_store_b128 v134, v[154:157] offset:1024
	s_waitcnt lgkmcnt(0)
	s_barrier
	buffer_gl0_inv
	ds_load_b128 v[138:141], v135
	ds_load_b128 v[149:152], v135 offset:16
	ds_load_b128 v[153:156], v135 offset:1024
	;; [unrolled: 1-line block ×3, first 2 shown]
	v_cmp_eq_u32_e64 s21, 5, v130
	v_cmp_eq_u32_e64 s22, 4, v132
	;; [unrolled: 1-line block ×12, first 2 shown]
	s_waitcnt lgkmcnt(3)
	v_lshrrev_b32_e32 v142, 16, v138
	s_waitcnt lgkmcnt(2)
	v_lshrrev_b32_e32 v162, 16, v149
	;; [unrolled: 2-line block ×4, first 2 shown]
	v_lshrrev_b32_e32 v143, 16, v139
	v_cndmask_b32_e64 v174, v138, v142, s5
	v_cndmask_b32_e64 v175, v149, v162, s5
	;; [unrolled: 1-line block ×7, first 2 shown]
	v_lshrrev_b32_e32 v163, 16, v150
	v_cndmask_b32_e64 v179, v149, v162, s11
	v_cndmask_b32_e64 v149, v153, v166, s5
	;; [unrolled: 1-line block ×16, first 2 shown]
	v_lshrrev_b32_e32 v167, 16, v154
	v_lshrrev_b32_e32 v171, 16, v158
	v_cndmask_b32_e64 v177, v179, v150, s16
	v_cndmask_b32_e64 v142, v149, v154, s6
	;; [unrolled: 1-line block ×7, first 2 shown]
	v_cndmask_b32_e32 v157, v166, v143, vcc_lo
	v_cndmask_b32_e32 v166, v170, v163, vcc_lo
	v_cndmask_b32_e64 v170, v174, v143, s15
	v_cndmask_b32_e64 v174, v175, v163, s15
	;; [unrolled: 1-line block ×4, first 2 shown]
	v_lshrrev_b32_e32 v144, 16, v140
	v_lshrrev_b32_e32 v164, 16, v151
	v_cndmask_b32_e64 v175, v176, v143, s18
	v_cndmask_b32_e64 v176, v177, v163, s18
	v_cndmask_b32_e32 v142, v142, v167, vcc_lo
	v_cndmask_b32_e32 v143, v149, v171, vcc_lo
	v_cndmask_b32_e64 v149, v150, v167, s15
	v_cndmask_b32_e64 v150, v157, v140, s4
	;; [unrolled: 1-line block ×7, first 2 shown]
	v_lshrrev_b32_e32 v168, 16, v155
	v_cndmask_b32_e64 v170, v175, v140, s22
	v_cndmask_b32_e64 v174, v176, v151, s22
	;; [unrolled: 1-line block ×11, first 2 shown]
	v_lshrrev_b32_e32 v161, 16, v141
	v_lshrrev_b32_e32 v165, 16, v152
	v_cndmask_b32_e64 v163, v170, v144, s24
	v_cndmask_b32_e64 v166, v174, v164, s24
	;; [unrolled: 1-line block ×9, first 2 shown]
	v_lshrrev_b32_e32 v169, 16, v156
	v_cndmask_b32_e64 v140, v140, v168, s7
	v_cndmask_b32_e64 v157, v163, v141, s27
	;; [unrolled: 1-line block ×14, first 2 shown]
	v_perm_b32 v141, v139, v138, 0x5040100
	v_perm_b32 v139, v151, v149, 0x5040100
	v_cndmask_b32_e64 v138, v183, v158, s16
	v_cndmask_b32_e64 v149, v181, v158, s13
	;; [unrolled: 1-line block ×3, first 2 shown]
	v_perm_b32 v140, v152, v150, 0x5040100
	v_cndmask_b32_e64 v150, v162, v167, s18
	v_cndmask_b32_e64 v151, v153, v167, s19
	;; [unrolled: 1-line block ×5, first 2 shown]
	v_lshrrev_b32_e32 v172, 16, v159
	v_cndmask_b32_e64 v150, v150, v155, s22
	v_cndmask_b32_e64 v151, v151, v155, s23
	;; [unrolled: 1-line block ×11, first 2 shown]
	v_lshrrev_b32_e32 v173, 16, v160
	v_cndmask_b32_e64 v142, v142, v160, s8
	v_cndmask_b32_e64 v150, v150, v156, s27
	;; [unrolled: 1-line block ×12, first 2 shown]
	v_perm_b32 v138, v144, v143, 0x5040100
	v_perm_b32 v152, v152, v151, 0x5040100
	v_perm_b32 v151, v153, v150, 0x5040100
	v_perm_b32 v150, v149, v161, 0x5040100
	v_perm_b32 v149, v142, v157, 0x5040100
	s_mul_i32 s8, s35, 3
	s_mov_b32 s4, exec_lo
	ds_store_b128 v134, v[138:141]
	ds_store_b128 v134, v[149:152] offset:1024
	v_cmpx_gt_u32_e32 3, v0
	s_cbranch_execz .LBB84_14
; %bb.13:
	s_mul_i32 s5, s8, s34
	s_load_b128 s[16:19], s[0:1], 0x58
	v_add3_u32 v140, s5, s33, v148
	s_delay_alu instid0(VALU_DEP_1) | instskip(NEXT) | instid1(VALU_DEP_1)
	v_mad_u64_u32 v[138:139], null, v140, s36, s[14:15]
	v_ashrrev_i32_e32 v139, 31, v138
	s_delay_alu instid0(VALU_DEP_1) | instskip(SKIP_1) | instid1(VALU_DEP_1)
	v_lshlrev_b64 v[138:139], 2, v[138:139]
	s_waitcnt lgkmcnt(0)
	v_add_co_u32 v140, vcc_lo, s18, v138
	s_delay_alu instid0(VALU_DEP_2)
	v_add_co_ci_u32_e32 v141, vcc_lo, s19, v139, vcc_lo
	v_add_co_u32 v138, vcc_lo, s16, v138
	v_add_co_ci_u32_e32 v139, vcc_lo, s17, v139, vcc_lo
	global_store_b32 v[140:141], v136, off
	global_store_b32 v[138:139], v137, off
.LBB84_14:
	s_or_b32 exec_lo, exec_lo, s4
	s_waitcnt lgkmcnt(0)
	s_waitcnt_vscnt null, 0x0
	s_barrier
	buffer_gl0_inv
	ds_load_b128 v[148:151], v133
	ds_load_b128 v[152:155], v133 offset:16
	ds_load_b128 v[160:163], v133 offset:1040
	;; [unrolled: 1-line block ×5, first 2 shown]
	v_cmp_eq_u32_e32 vcc_lo, 1, v132
	v_mov_b32_e32 v136, 0
	ds_load_b128 v[176:179], v133 offset:3088
	ds_load_b128 v[172:175], v133 offset:3072
	;; [unrolled: 1-line block ×4, first 2 shown]
	v_cmp_eq_u32_e64 s4, 1, v129
	v_cmp_eq_u32_e64 s5, 1, v131
	;; [unrolled: 1-line block ×3, first 2 shown]
	v_mov_b32_e32 v137, v136
	v_mov_b32_e32 v138, v136
	v_mov_b32_e32 v139, v136
	v_mov_b32_e32 v140, v136
	v_mov_b32_e32 v141, v136
	v_mov_b32_e32 v142, v136
	v_mov_b32_e32 v143, v136
	v_cmp_eq_u32_e64 s7, 2, v129
	s_waitcnt lgkmcnt(8)
	s_delay_alu instid0(VALU_DEP_2)
	v_wmma_f32_16x16x16_f16 v[136:143], v[121:128], v[148:155], v[136:143]
	ds_load_b128 v[125:128], v133 offset:5136
	ds_load_b128 v[121:124], v133 offset:5120
	s_waitcnt lgkmcnt(8)
	v_wmma_f32_16x16x16_f16 v[136:143], v[113:120], v[156:163], v[136:143]
	ds_load_b128 v[117:120], v133 offset:6160
	ds_load_b128 v[113:116], v133 offset:6144
	s_waitcnt lgkmcnt(8)
	;; [unrolled: 4-line block ×11, first 2 shown]
	s_barrier
	buffer_gl0_inv
	v_wmma_f32_16x16x16_f16 v[136:143], v[1:8], v[73:80], v[136:143]
	s_delay_alu instid0(VALU_DEP_1) | instskip(NEXT) | instid1(VALU_DEP_1)
	v_wmma_f32_16x16x16_f16 v[136:143], v[9:16], v[65:72], v[136:143]
	v_wmma_f32_16x16x16_f16 v[136:143], v[33:40], v[57:64], v[136:143]
	s_delay_alu instid0(VALU_DEP_1) | instskip(NEXT) | instid1(VALU_DEP_1)
	v_wmma_f32_16x16x16_f16 v[136:143], v[41:48], v[49:56], v[136:143]
	v_wmma_f32_16x16x16_f16 v[136:143], v[17:24], v[25:32], v[136:143]
	s_delay_alu instid0(VALU_DEP_1) | instskip(NEXT) | instid1(VALU_DEP_2)
	v_cvt_f16_f32_e64 v1, v136
	v_cvt_f16_f32_e64 v2, v137
	s_delay_alu instid0(VALU_DEP_3) | instskip(NEXT) | instid1(VALU_DEP_4)
	v_cvt_f16_f32_e64 v3, v138
	v_cvt_f16_f32_e64 v4, v139
	;; [unrolled: 1-line block ×6, first 2 shown]
	v_pack_b32_f16 v1, v1, v2
	v_pack_b32_f16 v2, v3, v4
	;; [unrolled: 1-line block ×3, first 2 shown]
	s_delay_alu instid0(VALU_DEP_4)
	v_pack_b32_f16 v4, v7, v8
	ds_store_b128 v134, v[1:4]
	s_waitcnt lgkmcnt(0)
	s_barrier
	buffer_gl0_inv
	ds_load_b128 v[1:4], v135
	ds_load_b128 v[5:8], v135 offset:16
	s_waitcnt lgkmcnt(1)
	v_lshrrev_b32_e32 v9, 16, v1
	s_waitcnt lgkmcnt(0)
	v_lshrrev_b32_e32 v13, 16, v5
	v_lshrrev_b32_e32 v10, 16, v2
	;; [unrolled: 1-line block ×4, first 2 shown]
	v_cndmask_b32_e64 v17, v1, v9, s4
	v_cndmask_b32_e64 v18, v5, v13, s4
	;; [unrolled: 1-line block ×3, first 2 shown]
	v_cmp_eq_u32_e64 s4, 2, v130
	v_cndmask_b32_e64 v20, v5, v13, s6
	v_cndmask_b32_e32 v21, v1, v9, vcc_lo
	v_cndmask_b32_e32 v22, v5, v13, vcc_lo
	v_cndmask_b32_e64 v1, v1, v9, s5
	v_cndmask_b32_e64 v5, v5, v13, s5
	v_cmp_eq_u32_e32 vcc_lo, 2, v132
	v_cmp_eq_u32_e64 s5, 2, v131
	v_cndmask_b32_e64 v9, v17, v2, s7
	v_cndmask_b32_e64 v13, v18, v6, s7
	;; [unrolled: 1-line block ×4, first 2 shown]
	v_cndmask_b32_e32 v19, v21, v2, vcc_lo
	v_cmp_eq_u32_e64 s4, 3, v132
	v_cndmask_b32_e32 v20, v22, v6, vcc_lo
	v_cndmask_b32_e64 v1, v1, v2, s5
	v_cmp_eq_u32_e32 vcc_lo, 3, v131
	v_cmp_eq_u32_e64 s6, 3, v129
	v_cndmask_b32_e64 v2, v5, v6, s5
	v_cmp_eq_u32_e64 s5, 3, v130
	v_cmp_eq_u32_e64 s7, 4, v129
	v_cndmask_b32_e32 v1, v1, v10, vcc_lo
	v_cndmask_b32_e64 v5, v9, v10, s6
	v_cndmask_b32_e64 v6, v13, v14, s6
	;; [unrolled: 1-line block ×3, first 2 shown]
	v_cmp_eq_u32_e64 s6, 4, v130
	v_cndmask_b32_e64 v13, v18, v14, s5
	v_cndmask_b32_e64 v17, v19, v10, s4
	;; [unrolled: 1-line block ×3, first 2 shown]
	v_cndmask_b32_e32 v2, v2, v14, vcc_lo
	v_cmp_eq_u32_e32 vcc_lo, 4, v132
	v_cmp_eq_u32_e64 s5, 4, v131
	v_lshrrev_b32_e32 v15, 16, v7
	v_cndmask_b32_e64 v5, v5, v3, s7
	v_cndmask_b32_e64 v6, v6, v7, s7
	v_cndmask_b32_e32 v14, v18, v7, vcc_lo
	v_cndmask_b32_e64 v9, v9, v3, s6
	v_cndmask_b32_e64 v10, v13, v7, s6
	v_cndmask_b32_e32 v13, v17, v3, vcc_lo
	v_cmp_eq_u32_e64 s4, 5, v132
	v_cndmask_b32_e64 v1, v1, v3, s5
	v_cmp_eq_u32_e32 vcc_lo, 5, v131
	v_cmp_eq_u32_e64 s6, 5, v129
	v_cndmask_b32_e64 v2, v2, v7, s5
	v_cmp_eq_u32_e64 s5, 5, v130
	v_cmp_eq_u32_e64 s7, 6, v129
	v_lshrrev_b32_e32 v12, 16, v4
	v_cndmask_b32_e64 v3, v5, v11, s6
	v_cndmask_b32_e64 v5, v6, v15, s6
	;; [unrolled: 1-line block ×3, first 2 shown]
	v_cmp_eq_u32_e64 s6, 6, v130
	v_cndmask_b32_e64 v7, v10, v15, s5
	v_cndmask_b32_e64 v9, v13, v11, s4
	;; [unrolled: 1-line block ×3, first 2 shown]
	v_cndmask_b32_e32 v1, v1, v11, vcc_lo
	v_cndmask_b32_e32 v2, v2, v15, vcc_lo
	v_cmp_eq_u32_e32 vcc_lo, 6, v132
	v_cmp_eq_u32_e64 s4, 6, v131
	v_lshrrev_b32_e32 v16, 16, v8
	v_cndmask_b32_e64 v3, v3, v4, s7
	v_cndmask_b32_e64 v5, v5, v8, s7
	v_cndmask_b32_e32 v9, v9, v4, vcc_lo
	v_cndmask_b32_e64 v6, v6, v4, s6
	v_cndmask_b32_e64 v7, v7, v8, s6
	v_cmp_eq_u32_e64 s5, 7, v132
	v_cndmask_b32_e32 v10, v10, v8, vcc_lo
	v_cndmask_b32_e64 v1, v1, v4, s4
	v_cmp_eq_u32_e32 vcc_lo, 7, v131
	v_cndmask_b32_e64 v2, v2, v8, s4
	v_cmp_eq_u32_e64 s4, 7, v129
	v_cmp_eq_u32_e64 s6, 7, v130
	v_cndmask_b32_e32 v1, v1, v12, vcc_lo
	s_delay_alu instid0(VALU_DEP_4) | instskip(NEXT) | instid1(VALU_DEP_4)
	v_cndmask_b32_e32 v2, v2, v16, vcc_lo
	v_cndmask_b32_e64 v8, v3, v12, s4
	s_delay_alu instid0(VALU_DEP_4)
	v_cndmask_b32_e64 v6, v6, v12, s6
	v_cndmask_b32_e64 v3, v9, v12, s5
	;; [unrolled: 1-line block ×5, first 2 shown]
	v_cmp_gt_u32_e32 vcc_lo, 32, v0
	v_perm_b32 v4, v2, v1, 0x5040100
	v_perm_b32 v3, v9, v3, 0x5040100
	;; [unrolled: 1-line block ×4, first 2 shown]
	s_and_b32 s2, vcc_lo, s2
	ds_store_b128 v134, v[1:4]
	s_waitcnt lgkmcnt(0)
	s_barrier
	buffer_gl0_inv
	s_and_saveexec_b32 s4, s2
	s_cbranch_execz .LBB84_2
; %bb.15:
	s_load_b64 s[4:5], s[0:1], 0x68
	v_lshlrev_b32_e32 v0, 10, v0
	v_lshlrev_b32_e32 v2, 4, v147
	v_add_nc_u32_e32 v1, s33, v146
	s_lshl_b32 s0, s36, 6
	s_delay_alu instid0(SALU_CYCLE_1) | instskip(NEXT) | instid1(VALU_DEP_2)
	s_mul_i32 s1, s0, s34
	v_and_or_b32 v0, 0x3800, v0, v2
	s_mul_i32 s6, s1, s8
	v_mul_lo_u32 v1, v1, s0
	s_ashr_i32 s7, s6, 31
	s_delay_alu instid0(VALU_DEP_2) | instskip(SKIP_1) | instid1(VALU_DEP_2)
	v_lshl_or_b32 v3, v146, 6, v0
	s_lshl_b64 s[6:7], s[6:7], 1
	v_ashrrev_i32_e32 v2, 31, v1
	ds_load_b128 v[3:6], v3
	s_waitcnt lgkmcnt(0)
	s_add_u32 s1, s4, s6
	s_addc_u32 s2, s5, s7
	s_lshl_b32 s4, s14, 6
	v_lshlrev_b64 v[7:8], 1, v[1:2]
	s_ashr_i32 s5, s4, 31
	s_delay_alu instid0(SALU_CYCLE_1) | instskip(NEXT) | instid1(SALU_CYCLE_1)
	s_lshl_b64 s[4:5], s[4:5], 1
	s_add_u32 s1, s1, s4
	s_addc_u32 s2, s2, s5
	v_add_co_u32 v1, s1, s1, v145
	s_delay_alu instid0(VALU_DEP_1) | instskip(NEXT) | instid1(VALU_DEP_2)
	v_add_co_ci_u32_e64 v2, null, s2, 0, s1
	v_add_co_u32 v7, vcc_lo, v1, v7
	s_delay_alu instid0(VALU_DEP_2)
	v_add_co_ci_u32_e32 v8, vcc_lo, v2, v8, vcc_lo
	global_store_b128 v[7:8], v[3:6], off
	s_and_b32 exec_lo, exec_lo, s3
	s_cbranch_execz .LBB84_2
; %bb.16:
	ds_load_b128 v[3:6], v0 offset:128
	s_add_i32 s1, s33, 2
	s_delay_alu instid0(SALU_CYCLE_1) | instskip(NEXT) | instid1(SALU_CYCLE_1)
	s_mul_i32 s0, s1, s0
	s_ashr_i32 s1, s0, 31
	s_delay_alu instid0(SALU_CYCLE_1) | instskip(NEXT) | instid1(SALU_CYCLE_1)
	s_lshl_b64 s[0:1], s[0:1], 1
	v_add_co_u32 v0, vcc_lo, v1, s0
	v_add_co_ci_u32_e32 v1, vcc_lo, s1, v2, vcc_lo
	s_waitcnt lgkmcnt(0)
	global_store_b128 v[0:1], v[3:6], off
	s_nop 0
	s_sendmsg sendmsg(MSG_DEALLOC_VGPRS)
	s_endpgm
	.section	.rodata,"a",@progbits
	.p2align	6, 0x0
	.amdhsa_kernel _Z39paged_attention_ll4mi_QKV_mfma16_kernelIDF16_DF16_LN4vllm18Fp8KVCacheDataTypeE0EDF16_Li16ELi64ELi256ELb1ELi3EL8MFMAType0EEvPKT_PKT0_S8_ifPKiSA_SA_iPKfiiiPfSD_PS3_PT2_iSC_SC_
		.amdhsa_group_segment_fixed_size 17472
		.amdhsa_private_segment_fixed_size 0
		.amdhsa_kernarg_size 400
		.amdhsa_user_sgpr_count 13
		.amdhsa_user_sgpr_dispatch_ptr 0
		.amdhsa_user_sgpr_queue_ptr 0
		.amdhsa_user_sgpr_kernarg_segment_ptr 1
		.amdhsa_user_sgpr_dispatch_id 0
		.amdhsa_user_sgpr_private_segment_size 0
		.amdhsa_wavefront_size32 1
		.amdhsa_uses_dynamic_stack 0
		.amdhsa_enable_private_segment 0
		.amdhsa_system_sgpr_workgroup_id_x 1
		.amdhsa_system_sgpr_workgroup_id_y 1
		.amdhsa_system_sgpr_workgroup_id_z 1
		.amdhsa_system_sgpr_workgroup_info 0
		.amdhsa_system_vgpr_workitem_id 0
		.amdhsa_next_free_vgpr 198
		.amdhsa_next_free_sgpr 52
		.amdhsa_reserve_vcc 1
		.amdhsa_float_round_mode_32 0
		.amdhsa_float_round_mode_16_64 0
		.amdhsa_float_denorm_mode_32 3
		.amdhsa_float_denorm_mode_16_64 3
		.amdhsa_dx10_clamp 1
		.amdhsa_ieee_mode 1
		.amdhsa_fp16_overflow 0
		.amdhsa_workgroup_processor_mode 1
		.amdhsa_memory_ordered 1
		.amdhsa_forward_progress 0
		.amdhsa_shared_vgpr_count 0
		.amdhsa_exception_fp_ieee_invalid_op 0
		.amdhsa_exception_fp_denorm_src 0
		.amdhsa_exception_fp_ieee_div_zero 0
		.amdhsa_exception_fp_ieee_overflow 0
		.amdhsa_exception_fp_ieee_underflow 0
		.amdhsa_exception_fp_ieee_inexact 0
		.amdhsa_exception_int_div_zero 0
	.end_amdhsa_kernel
	.section	.text._Z39paged_attention_ll4mi_QKV_mfma16_kernelIDF16_DF16_LN4vllm18Fp8KVCacheDataTypeE0EDF16_Li16ELi64ELi256ELb1ELi3EL8MFMAType0EEvPKT_PKT0_S8_ifPKiSA_SA_iPKfiiiPfSD_PS3_PT2_iSC_SC_,"axG",@progbits,_Z39paged_attention_ll4mi_QKV_mfma16_kernelIDF16_DF16_LN4vllm18Fp8KVCacheDataTypeE0EDF16_Li16ELi64ELi256ELb1ELi3EL8MFMAType0EEvPKT_PKT0_S8_ifPKiSA_SA_iPKfiiiPfSD_PS3_PT2_iSC_SC_,comdat
.Lfunc_end84:
	.size	_Z39paged_attention_ll4mi_QKV_mfma16_kernelIDF16_DF16_LN4vllm18Fp8KVCacheDataTypeE0EDF16_Li16ELi64ELi256ELb1ELi3EL8MFMAType0EEvPKT_PKT0_S8_ifPKiSA_SA_iPKfiiiPfSD_PS3_PT2_iSC_SC_, .Lfunc_end84-_Z39paged_attention_ll4mi_QKV_mfma16_kernelIDF16_DF16_LN4vllm18Fp8KVCacheDataTypeE0EDF16_Li16ELi64ELi256ELb1ELi3EL8MFMAType0EEvPKT_PKT0_S8_ifPKiSA_SA_iPKfiiiPfSD_PS3_PT2_iSC_SC_
                                        ; -- End function
	.section	.AMDGPU.csdata,"",@progbits
; Kernel info:
; codeLenInByte = 7776
; NumSgprs: 54
; NumVgprs: 198
; ScratchSize: 0
; MemoryBound: 0
; FloatMode: 240
; IeeeMode: 1
; LDSByteSize: 17472 bytes/workgroup (compile time only)
; SGPRBlocks: 6
; VGPRBlocks: 24
; NumSGPRsForWavesPerEU: 54
; NumVGPRsForWavesPerEU: 198
; Occupancy: 7
; WaveLimiterHint : 1
; COMPUTE_PGM_RSRC2:SCRATCH_EN: 0
; COMPUTE_PGM_RSRC2:USER_SGPR: 13
; COMPUTE_PGM_RSRC2:TRAP_HANDLER: 0
; COMPUTE_PGM_RSRC2:TGID_X_EN: 1
; COMPUTE_PGM_RSRC2:TGID_Y_EN: 1
; COMPUTE_PGM_RSRC2:TGID_Z_EN: 1
; COMPUTE_PGM_RSRC2:TIDIG_COMP_CNT: 0
	.section	.text._Z39paged_attention_ll4mi_QKV_mfma16_kernelIDF16_DF16_LN4vllm18Fp8KVCacheDataTypeE0EDF16_Li16ELi64ELi256ELb1ELi4EL8MFMAType0EEvPKT_PKT0_S8_ifPKiSA_SA_iPKfiiiPfSD_PS3_PT2_iSC_SC_,"axG",@progbits,_Z39paged_attention_ll4mi_QKV_mfma16_kernelIDF16_DF16_LN4vllm18Fp8KVCacheDataTypeE0EDF16_Li16ELi64ELi256ELb1ELi4EL8MFMAType0EEvPKT_PKT0_S8_ifPKiSA_SA_iPKfiiiPfSD_PS3_PT2_iSC_SC_,comdat
	.protected	_Z39paged_attention_ll4mi_QKV_mfma16_kernelIDF16_DF16_LN4vllm18Fp8KVCacheDataTypeE0EDF16_Li16ELi64ELi256ELb1ELi4EL8MFMAType0EEvPKT_PKT0_S8_ifPKiSA_SA_iPKfiiiPfSD_PS3_PT2_iSC_SC_ ; -- Begin function _Z39paged_attention_ll4mi_QKV_mfma16_kernelIDF16_DF16_LN4vllm18Fp8KVCacheDataTypeE0EDF16_Li16ELi64ELi256ELb1ELi4EL8MFMAType0EEvPKT_PKT0_S8_ifPKiSA_SA_iPKfiiiPfSD_PS3_PT2_iSC_SC_
	.globl	_Z39paged_attention_ll4mi_QKV_mfma16_kernelIDF16_DF16_LN4vllm18Fp8KVCacheDataTypeE0EDF16_Li16ELi64ELi256ELb1ELi4EL8MFMAType0EEvPKT_PKT0_S8_ifPKiSA_SA_iPKfiiiPfSD_PS3_PT2_iSC_SC_
	.p2align	8
	.type	_Z39paged_attention_ll4mi_QKV_mfma16_kernelIDF16_DF16_LN4vllm18Fp8KVCacheDataTypeE0EDF16_Li16ELi64ELi256ELb1ELi4EL8MFMAType0EEvPKT_PKT0_S8_ifPKiSA_SA_iPKfiiiPfSD_PS3_PT2_iSC_SC_,@function
_Z39paged_attention_ll4mi_QKV_mfma16_kernelIDF16_DF16_LN4vllm18Fp8KVCacheDataTypeE0EDF16_Li16ELi64ELi256ELb1ELi4EL8MFMAType0EEvPKT_PKT0_S8_ifPKiSA_SA_iPKfiiiPfSD_PS3_PT2_iSC_SC_: ; @_Z39paged_attention_ll4mi_QKV_mfma16_kernelIDF16_DF16_LN4vllm18Fp8KVCacheDataTypeE0EDF16_Li16ELi64ELi256ELb1ELi4EL8MFMAType0EEvPKT_PKT0_S8_ifPKiSA_SA_iPKfiiiPfSD_PS3_PT2_iSC_SC_
; %bb.0:
	s_load_b64 s[2:3], s[0:1], 0x30
	s_mov_b32 s34, s13
	s_waitcnt lgkmcnt(0)
	s_cmp_lg_u64 s[2:3], 0
	s_cselect_b32 s6, -1, 0
	s_ashr_i32 s35, s13, 31
	s_cmp_eq_u64 s[2:3], 0
	s_cbranch_scc1 .LBB85_3
; %bb.1:
	s_lshl_b64 s[4:5], s[34:35], 2
	s_delay_alu instid0(SALU_CYCLE_1) | instskip(SKIP_4) | instid1(SALU_CYCLE_1)
	s_add_u32 s4, s2, s4
	s_addc_u32 s5, s3, s5
	s_load_b64 s[4:5], s[4:5], 0x0
	s_waitcnt lgkmcnt(0)
	s_sub_i32 s4, s5, s4
	s_cmp_eq_u32 s4, 1
	s_cselect_b32 s4, -1, 0
	s_delay_alu instid0(SALU_CYCLE_1)
	s_and_not1_b32 vcc_lo, exec_lo, s4
	s_cbranch_vccz .LBB85_4
.LBB85_2:
	s_endpgm
.LBB85_3:
.LBB85_4:
	s_load_b64 s[8:9], s[0:1], 0x28
	s_lshl_b64 s[4:5], s[34:35], 2
	s_waitcnt lgkmcnt(0)
	s_add_u32 s8, s8, s4
	s_addc_u32 s9, s9, s5
	s_lshl_b32 s35, s14, 8
	s_load_b32 s30, s[8:9], 0x0
	s_waitcnt lgkmcnt(0)
	s_cmp_ge_i32 s35, s30
	s_cbranch_scc1 .LBB85_2
; %bb.5:
	s_clause 0x1
	s_load_b128 s[8:11], s[0:1], 0x8
	s_load_b64 s[12:13], s[0:1], 0x20
	s_and_not1_b32 vcc_lo, exec_lo, s6
	s_cbranch_vccnz .LBB85_7
; %bb.6:
	s_add_u32 s2, s2, s4
	s_addc_u32 s3, s3, s5
	s_load_b32 s3, s[2:3], 0x0
	s_branch .LBB85_8
.LBB85_7:
	s_mov_b32 s3, s34
.LBB85_8:
	s_load_b128 s[4:7], s[0:1], 0x48
	v_and_b32_e32 v149, 15, v0
	v_cmp_gt_u32_e32 vcc_lo, 64, v0
	v_lshrrev_b32_e32 v148, 5, v0
	v_and_b32_e32 v150, 31, v0
	v_and_b32_e32 v146, 1, v0
	v_lshlrev_b32_e32 v1, 3, v149
	v_cmp_gt_u32_e64 s2, 8, v149
	v_bfe_u32 v147, v0, 4, 1
	s_lshl_b32 s31, s15, 2
	s_delay_alu instid0(VALU_DEP_3) | instskip(NEXT) | instid1(VALU_DEP_3)
	v_lshlrev_b32_e32 v145, 1, v1
	s_and_b32 s16, vcc_lo, s2
	s_waitcnt lgkmcnt(0)
	s_and_saveexec_b32 s7, s16
	s_cbranch_execz .LBB85_10
; %bb.9:
	v_lshl_or_b32 v5, v148, 1, v147
	s_load_b64 s[16:17], s[0:1], 0x0
	s_mul_hi_i32 s19, s3, s4
	s_mul_i32 s18, s3, s4
	v_lshlrev_b32_e32 v6, 10, v149
	v_or_b32_e32 v1, s31, v5
	s_lshl_b64 s[18:19], s[18:19], 1
	v_lshlrev_b32_e32 v5, 6, v5
	v_lshlrev_b32_e32 v7, 10, v146
	v_and_b32_e32 v6, 0x3800, v6
	v_lshlrev_b32_e32 v1, 6, v1
	s_delay_alu instid0(VALU_DEP_2) | instskip(NEXT) | instid1(VALU_DEP_2)
	v_or3_b32 v5, v6, v7, v5
	v_ashrrev_i32_e32 v2, 31, v1
	s_delay_alu instid0(VALU_DEP_1) | instskip(SKIP_3) | instid1(VALU_DEP_1)
	v_lshlrev_b64 v[1:2], 1, v[1:2]
	s_waitcnt lgkmcnt(0)
	s_add_u32 s3, s16, s18
	s_addc_u32 s4, s17, s19
	v_add_co_u32 v1, vcc_lo, s3, v1
	s_delay_alu instid0(VALU_DEP_2) | instskip(NEXT) | instid1(VALU_DEP_2)
	v_add_co_ci_u32_e32 v2, vcc_lo, s4, v2, vcc_lo
	v_add_co_u32 v1, vcc_lo, v1, v145
	s_delay_alu instid0(VALU_DEP_2)
	v_add_co_ci_u32_e32 v2, vcc_lo, 0, v2, vcc_lo
	global_load_b128 v[1:4], v[1:2], off
	s_waitcnt vmcnt(0)
	ds_store_b128 v5, v[1:4]
.LBB85_10:
	s_or_b32 exec_lo, exec_lo, s7
	s_mov_b32 s40, 0
	s_add_i32 s3, s30, 15
	s_mov_b32 s41, s40
	s_mov_b32 s42, s40
	;; [unrolled: 1-line block ×7, first 2 shown]
	s_delay_alu instid0(SALU_CYCLE_1)
	v_dual_mov_b32 v136, s47 :: v_dual_and_b32 v1, 0xef, v0
	v_mov_b32_e32 v134, s45
	s_clause 0x1
	s_load_b32 s4, s[0:1], 0x38
	s_load_b32 s33, s[0:1], 0x98
	v_add_nc_u32_e32 v1, s35, v1
	s_ashr_i32 s7, s3, 31
	s_load_b32 s36, s[0:1], 0x1c
	s_lshr_b32 s7, s7, 28
	s_waitcnt lgkmcnt(0)
	v_ashrrev_i32_e32 v2, 31, v1
	s_add_i32 s3, s3, s7
	v_cmp_gt_i32_e32 vcc_lo, s30, v1
	v_mov_b32_e32 v135, s46
	s_ashr_i32 s3, s3, 4
	v_lshrrev_b32_e32 v3, 28, v2
	v_or_b32_e32 v2, 16, v1
	s_add_i32 s3, s3, -1
	v_mov_b32_e32 v132, s43
	s_barrier
	v_add_nc_u32_e32 v4, v1, v3
	v_add_nc_u32_e32 v3, v2, v3
	buffer_gl0_inv
	s_mul_i32 s16, s34, s4
	s_mul_i32 s6, s15, s6
	v_ashrrev_i32_e32 v4, 4, v4
	v_ashrrev_i32_e32 v3, 4, v3
	s_ashr_i32 s17, s16, 31
	v_mov_b32_e32 v133, s44
	s_lshl_b64 s[16:17], s[16:17], 2
	v_cndmask_b32_e32 v1, s3, v4, vcc_lo
	v_cmp_gt_i32_e32 vcc_lo, s30, v2
	s_add_u32 s4, s12, s16
	s_addc_u32 s37, s13, s17
	s_ashr_i32 s7, s6, 31
	v_ashrrev_i32_e32 v2, 31, v1
	v_cndmask_b32_e32 v3, s3, v3, vcc_lo
	s_lshl_b64 s[6:7], s[6:7], 1
	v_mov_b32_e32 v131, s42
	s_add_u32 s24, s8, s6
	v_lshlrev_b64 v[1:2], 2, v[1:2]
	v_ashrrev_i32_e32 v4, 31, v3
	s_addc_u32 s25, s9, s7
	s_lshl_b32 s8, s14, 4
	v_mov_b32_e32 v129, s40
	s_ashr_i32 s9, s8, 31
	v_lshlrev_b64 v[3:4], 2, v[3:4]
	v_add_co_u32 v1, vcc_lo, s4, v1
	v_add_co_ci_u32_e32 v2, vcc_lo, s37, v2, vcc_lo
	s_lshl_b64 s[8:9], s[8:9], 2
	s_delay_alu instid0(VALU_DEP_3) | instskip(NEXT) | instid1(VALU_DEP_4)
	v_add_co_u32 v3, vcc_lo, s4, v3
	v_add_co_ci_u32_e32 v4, vcc_lo, s37, v4, vcc_lo
	s_clause 0x1
	global_load_b32 v5, v[1:2], off
	global_load_b32 v6, v[3:4], off
	s_add_u32 s8, s4, s8
	s_addc_u32 s9, s37, s9
	s_or_b32 s12, s35, 16
	v_dual_mov_b32 v130, s41 :: v_dual_lshlrev_b32 v3, 4, v0
	s_ashr_i32 s13, s12, 4
	s_cmp_lt_i32 s12, s30
	s_cselect_b32 s12, s13, s3
	s_delay_alu instid0(SALU_CYCLE_1) | instskip(NEXT) | instid1(SALU_CYCLE_1)
	s_ashr_i32 s13, s12, 31
	s_lshl_b64 s[12:13], s[12:13], 2
	s_delay_alu instid0(SALU_CYCLE_1) | instskip(SKIP_2) | instid1(SALU_CYCLE_1)
	s_add_u32 s12, s4, s12
	s_addc_u32 s13, s37, s13
	s_or_b32 s15, s35, 32
	s_ashr_i32 s16, s15, 4
	s_cmp_lt_i32 s15, s30
	s_cselect_b32 s16, s16, s3
	s_delay_alu instid0(SALU_CYCLE_1) | instskip(NEXT) | instid1(SALU_CYCLE_1)
	s_ashr_i32 s17, s16, 31
	s_lshl_b64 s[16:17], s[16:17], 2
	s_delay_alu instid0(SALU_CYCLE_1) | instskip(SKIP_2) | instid1(SALU_CYCLE_1)
	s_add_u32 s16, s4, s16
	s_addc_u32 s17, s37, s17
	s_or_b32 s15, s35, 48
	;; [unrolled: 10-line block ×4, first 2 shown]
	s_ashr_i32 s22, s15, 4
	s_cmp_lt_i32 s15, s30
	s_cselect_b32 s22, s22, s3
	s_delay_alu instid0(SALU_CYCLE_1) | instskip(NEXT) | instid1(SALU_CYCLE_1)
	s_ashr_i32 s23, s22, 31
	s_lshl_b64 s[22:23], s[22:23], 2
	s_delay_alu instid0(SALU_CYCLE_1)
	s_add_u32 s22, s4, s22
	s_addc_u32 s23, s37, s23
	s_clause 0x5
	s_load_b32 s8, s[8:9], 0x0
	s_load_b32 s12, s[12:13], 0x0
	;; [unrolled: 1-line block ×6, first 2 shown]
	s_waitcnt lgkmcnt(0)
	s_mul_hi_i32 s17, s16, s5
	s_mul_i32 s16, s16, s5
	s_waitcnt vmcnt(1)
	v_mad_i64_i32 v[1:2], null, v5, s5, 0
	v_and_b32_e32 v5, 0xf0, v3
	s_waitcnt vmcnt(0)
	v_mad_i64_i32 v[3:4], null, v6, s5, 0
	s_delay_alu instid0(VALU_DEP_2) | instskip(NEXT) | instid1(VALU_DEP_4)
	v_add_co_u32 v5, s9, s24, v5
	v_lshlrev_b64 v[1:2], 1, v[1:2]
	v_add_co_ci_u32_e64 v6, null, s25, 0, s9
	s_delay_alu instid0(VALU_DEP_4) | instskip(SKIP_1) | instid1(VALU_DEP_3)
	v_lshlrev_b64 v[3:4], 1, v[3:4]
	s_or_b32 s9, s35, 0x60
	v_add_co_u32 v1, vcc_lo, v5, v1
	s_delay_alu instid0(VALU_DEP_3) | instskip(NEXT) | instid1(VALU_DEP_3)
	v_add_co_ci_u32_e32 v2, vcc_lo, v6, v2, vcc_lo
	v_add_co_u32 v3, vcc_lo, v5, v3
	s_delay_alu instid0(VALU_DEP_4)
	v_add_co_ci_u32_e32 v4, vcc_lo, v6, v4, vcc_lo
	s_clause 0x9
	global_load_b128 v[9:12], v[1:2], off
	global_load_b128 v[13:16], v[1:2], off offset:256
	global_load_b128 v[137:140], v[3:4], off
	global_load_b128 v[141:144], v[3:4], off offset:256
	global_load_b128 v[41:44], v[1:2], off offset:512
	;; [unrolled: 1-line block ×7, first 2 shown]
	v_and_b32_e32 v5, 3, v0
	s_clause 0x1
	global_load_b128 v[151:154], v[3:4], off offset:1024
	global_load_b128 v[155:158], v[3:4], off offset:1280
	s_ashr_i32 s13, s9, 4
	s_cmp_lt_i32 s9, s30
	v_lshlrev_b32_e32 v6, 5, v149
	v_lshlrev_b32_e32 v197, 6, v5
	ds_load_b128 v[159:162], v197
	ds_load_b128 v[163:166], v197 offset:1024
	s_clause 0x3
	global_load_b128 v[167:170], v[1:2], off offset:1536
	global_load_b128 v[171:174], v[1:2], off offset:1792
	;; [unrolled: 1-line block ×4, first 2 shown]
	s_cselect_b32 s22, s13, s3
	v_lshl_or_b32 v5, v148, 9, v6
	s_ashr_i32 s23, s22, 31
	s_delay_alu instid0(SALU_CYCLE_1) | instskip(NEXT) | instid1(SALU_CYCLE_1)
	s_lshl_b64 s[22:23], s[22:23], 2
	s_add_u32 s22, s4, s22
	s_addc_u32 s23, s37, s23
	s_or_b32 s9, s35, 0x70
	s_load_b32 s46, s[22:23], 0x0
	s_ashr_i32 s13, s9, 4
	s_cmp_lt_i32 s9, s30
	s_cselect_b32 s24, s13, s3
	s_delay_alu instid0(SALU_CYCLE_1) | instskip(NEXT) | instid1(SALU_CYCLE_1)
	s_ashr_i32 s25, s24, 31
	s_lshl_b64 s[24:25], s[24:25], 2
	s_delay_alu instid0(SALU_CYCLE_1)
	s_add_u32 s24, s4, s24
	s_addc_u32 s25, s37, s25
	s_or_b32 s9, s35, 0x80
	s_load_b32 s47, s[24:25], 0x0
	s_ashr_i32 s13, s9, 4
	s_cmp_lt_i32 s9, s30
	s_cselect_b32 s26, s13, s3
	s_delay_alu instid0(SALU_CYCLE_1) | instskip(NEXT) | instid1(SALU_CYCLE_1)
	s_ashr_i32 s27, s26, 31
	s_lshl_b64 s[26:27], s[26:27], 2
	s_delay_alu instid0(SALU_CYCLE_1)
	s_add_u32 s26, s4, s26
	s_addc_u32 s27, s37, s27
	s_or_b32 s9, s35, 0x90
	s_load_b32 s48, s[26:27], 0x0
	s_ashr_i32 s13, s9, 4
	s_cmp_lt_i32 s9, s30
	s_cselect_b32 s28, s13, s3
	s_delay_alu instid0(SALU_CYCLE_1) | instskip(NEXT) | instid1(SALU_CYCLE_1)
	s_ashr_i32 s29, s28, 31
	s_lshl_b64 s[28:29], s[28:29], 2
	s_delay_alu instid0(SALU_CYCLE_1) | instskip(SKIP_2) | instid1(SALU_CYCLE_1)
	s_add_u32 s28, s4, s28
	s_addc_u32 s29, s37, s29
	s_or_b32 s9, s35, 0xa0
	s_ashr_i32 s13, s9, 4
	s_cmp_lt_i32 s9, s30
	s_cselect_b32 s38, s13, s3
	s_delay_alu instid0(SALU_CYCLE_1) | instskip(NEXT) | instid1(SALU_CYCLE_1)
	s_ashr_i32 s39, s38, 31
	s_lshl_b64 s[38:39], s[38:39], 2
	s_delay_alu instid0(SALU_CYCLE_1) | instskip(SKIP_2) | instid1(SALU_CYCLE_1)
	s_add_u32 s38, s4, s38
	s_addc_u32 s39, s37, s39
	s_or_b32 s9, s35, 0xb0
	s_ashr_i32 s13, s9, 4
	s_cmp_lt_i32 s9, s30
	s_mul_hi_i32 s9, s8, s5
	s_cselect_b32 s40, s13, s3
	s_mul_i32 s8, s8, s5
	s_ashr_i32 s41, s40, 31
	s_mul_hi_i32 s13, s12, s5
	s_lshl_b64 s[40:41], s[40:41], 2
	s_mul_i32 s12, s12, s5
	s_add_u32 s42, s4, s40
	s_addc_u32 s43, s37, s41
	s_or_b32 s19, s35, 0xc0
	s_delay_alu instid0(SALU_CYCLE_1)
	s_ashr_i32 s21, s19, 4
	s_cmp_lt_i32 s19, s30
	s_mul_hi_i32 s19, s18, s5
	s_cselect_b32 s40, s21, s3
	s_mul_i32 s18, s18, s5
	s_ashr_i32 s41, s40, 31
	s_mul_hi_i32 s21, s20, s5
	s_lshl_b64 s[40:41], s[40:41], 2
	s_mul_i32 s20, s20, s5
	s_add_u32 s44, s4, s40
	s_addc_u32 s45, s37, s41
	s_load_b32 s41, s[28:29], 0x0
	s_or_b32 s40, s35, 0xd0
	s_mul_hi_i32 s23, s15, s5
	s_ashr_i32 s22, s40, 4
	s_cmp_lt_i32 s40, s30
	s_load_b32 s40, s[38:39], 0x0
	s_cselect_b32 s24, s22, s3
	s_mul_i32 s22, s15, s5
	s_ashr_i32 s25, s24, 31
	s_waitcnt lgkmcnt(0)
	s_mul_hi_i32 s29, s48, s5
	s_lshl_b64 s[24:25], s[24:25], 2
	s_mul_i32 s28, s48, s5
	s_add_u32 s24, s4, s24
	s_addc_u32 s25, s37, s25
	s_or_b32 s49, s35, 0xe0
	s_clause 0x2
	s_load_b32 s39, s[42:43], 0x0
	s_load_b32 s38, s[44:45], 0x0
	;; [unrolled: 1-line block ×3, first 2 shown]
	s_ashr_i32 s50, s49, 4
	s_cmp_lt_i32 s49, s30
	s_mul_hi_i32 s25, s46, s5
	s_cselect_b32 s44, s50, s3
	s_mul_i32 s24, s46, s5
	s_ashr_i32 s45, s44, 31
	s_mul_hi_i32 s27, s47, s5
	s_lshl_b64 s[44:45], s[44:45], 2
	s_mul_i32 s26, s47, s5
	s_add_u32 s44, s4, s44
	s_addc_u32 s45, s37, s45
	s_or_b32 s46, s35, 0xf0
	s_mul_hi_i32 s43, s41, s5
	s_ashr_i32 s48, s46, 4
	s_cmp_lt_i32 s46, s30
	s_mul_i32 s42, s41, s5
	s_cselect_b32 s48, s48, s3
	s_mul_hi_i32 s41, s40, s5
	s_ashr_i32 s49, s48, 31
	s_mul_i32 s40, s40, s5
	s_lshl_b64 s[48:49], s[48:49], 2
	s_waitcnt lgkmcnt(0)
	s_mul_hi_i32 s47, s39, s5
	s_add_u32 s48, s4, s48
	s_addc_u32 s49, s37, s49
	s_add_u32 s3, s10, s6
	s_addc_u32 s4, s11, s7
	v_add_co_u32 v195, s3, s3, v5
	s_delay_alu instid0(VALU_DEP_1) | instskip(SKIP_2) | instid1(VALU_DEP_2)
	v_add_co_ci_u32_e64 v196, null, s4, 0, s3
	s_lshl_b64 s[6:7], s[8:9], 1
	s_lshl_b64 s[8:9], s[12:13], 1
	v_add_co_u32 v1, vcc_lo, v195, s6
	s_delay_alu instid0(VALU_DEP_2)
	v_add_co_ci_u32_e32 v2, vcc_lo, s7, v196, vcc_lo
	v_add_co_u32 v3, vcc_lo, v195, s8
	s_lshl_b64 s[10:11], s[16:17], 1
	v_add_co_ci_u32_e32 v4, vcc_lo, s9, v196, vcc_lo
	v_add_co_u32 v5, vcc_lo, v195, s10
	s_lshl_b64 s[12:13], s[18:19], 1
	;; [unrolled: 3-line block ×9, first 2 shown]
	s_mul_i32 s46, s39, s5
	v_add_co_ci_u32_e32 v54, vcc_lo, s27, v196, vcc_lo
	v_add_co_u32 v183, vcc_lo, v195, s28
	s_lshl_b64 s[40:41], s[46:47], 1
	s_mul_hi_i32 s39, s38, s5
	s_mul_i32 s38, s38, s5
	v_add_co_ci_u32_e32 v184, vcc_lo, s29, v196, vcc_lo
	v_add_co_u32 v185, vcc_lo, v195, s40
	s_lshl_b64 s[38:39], s[38:39], 1
	s_clause 0x1
	s_load_b32 s3, s[44:45], 0x0
	s_load_b32 s4, s[48:49], 0x0
	v_add_co_ci_u32_e32 v186, vcc_lo, s41, v196, vcc_lo
	v_add_co_u32 v191, vcc_lo, v195, s38
	v_add_co_ci_u32_e32 v192, vcc_lo, s39, v196, vcc_lo
	s_clause 0x17
	global_load_b128 v[121:124], v[1:2], off
	global_load_b128 v[125:128], v[1:2], off offset:16
	global_load_b128 v[113:116], v[3:4], off
	global_load_b128 v[117:120], v[3:4], off offset:16
	;; [unrolled: 2-line block ×12, first 2 shown]
	s_mul_hi_i32 s51, s15, s5
	s_mul_i32 s50, s15, s5
	s_delay_alu instid0(SALU_CYCLE_1) | instskip(NEXT) | instid1(SALU_CYCLE_1)
	s_lshl_b64 s[42:43], s[50:51], 1
	v_add_co_u32 v193, vcc_lo, v195, s42
	v_add_co_ci_u32_e32 v194, vcc_lo, s43, v196, vcc_lo
	s_waitcnt lgkmcnt(0)
	s_mul_hi_i32 s7, s3, s5
	s_mul_i32 s6, s3, s5
	s_mul_hi_i32 s9, s4, s5
	s_lshl_b64 s[6:7], s[6:7], 1
	s_mul_i32 s8, s4, s5
	s_delay_alu instid0(SALU_CYCLE_1)
	s_lshl_b64 s[4:5], s[8:9], 1
	s_waitcnt vmcnt(38)
	v_wmma_f32_16x16x16_f16 v[183:190], v[9:16], v[159:166], v[129:136]
	s_waitcnt vmcnt(36)
	v_wmma_f32_16x16x16_f16 v[129:136], v[137:144], v[159:166], v[129:136]
	s_clause 0x1
	global_load_b128 v[9:12], v[191:192], off
	global_load_b128 v[13:16], v[191:192], off offset:16
	ds_load_b128 v[137:140], v197 offset:2048
	ds_load_b128 v[141:144], v197 offset:3072
	ds_load_b128 v[159:162], v197 offset:4096
	ds_load_b128 v[163:166], v197 offset:5120
	v_add_co_u32 v191, vcc_lo, v195, s6
	v_add_co_ci_u32_e32 v192, vcc_lo, s7, v196, vcc_lo
	v_add_co_u32 v195, vcc_lo, v195, s4
	v_add_co_ci_u32_e32 v196, vcc_lo, s5, v196, vcc_lo
	s_waitcnt vmcnt(36) lgkmcnt(2)
	v_wmma_f32_16x16x16_f16 v[183:190], v[41:48], v[137:144], v[183:190]
	s_waitcnt vmcnt(34)
	v_wmma_f32_16x16x16_f16 v[129:136], v[33:40], v[137:144], v[129:136]
	s_clause 0x3
	global_load_b128 v[33:36], v[193:194], off
	global_load_b128 v[37:40], v[193:194], off offset:16
	global_load_b128 v[41:44], v[191:192], off
	global_load_b128 v[45:48], v[191:192], off offset:16
	v_and_b32_e32 v137, 0xe0, v0
	v_mbcnt_lo_u32_b32 v191, -1, 0
	s_waitcnt vmcnt(36) lgkmcnt(0)
	v_wmma_f32_16x16x16_f16 v[183:190], v[17:24], v[159:166], v[183:190]
	s_clause 0x1
	global_load_b128 v[17:20], v[195:196], off
	global_load_b128 v[21:24], v[195:196], off offset:16
	s_waitcnt vmcnt(36)
	v_wmma_f32_16x16x16_f16 v[129:136], v[151:158], v[159:166], v[129:136]
	v_add_nc_u32_e32 v192, s35, v137
	ds_load_b128 v[137:140], v197 offset:6144
	ds_load_b128 v[141:144], v197 offset:7168
	v_xor_b32_e32 v151, 16, v191
	s_waitcnt vmcnt(0) lgkmcnt(0)
	s_barrier
	v_or_b32_e32 v152, v192, v147
	buffer_gl0_inv
	v_cmp_gt_i32_e32 vcc_lo, 32, v151
	v_or_b32_e32 v153, 2, v152
	v_or_b32_e32 v154, 4, v152
	;; [unrolled: 1-line block ×5, first 2 shown]
	v_cmp_gt_i32_e64 s3, s30, v153
	v_cmp_gt_i32_e64 s4, s30, v154
	;; [unrolled: 1-line block ×3, first 2 shown]
	v_or_b32_e32 v158, 12, v152
	v_or_b32_e32 v159, 14, v152
	v_cmp_gt_i32_e64 s6, s30, v156
	v_wmma_f32_16x16x16_f16 v[183:190], v[167:174], v[137:144], v[183:190]
	v_wmma_f32_16x16x16_f16 v[129:136], v[175:182], v[137:144], v[129:136]
	v_cndmask_b32_e32 v151, v191, v151, vcc_lo
	v_cmp_gt_i32_e32 vcc_lo, s30, v152
	v_cmp_gt_i32_e64 s7, s30, v157
	v_dual_mul_f32 v143, s36, v184 :: v_dual_mul_f32 v144, s36, v183
	v_dual_mul_f32 v141, s36, v186 :: v_dual_mul_f32 v142, s36, v185
	;; [unrolled: 1-line block ×3, first 2 shown]
	s_delay_alu instid0(VALU_DEP_3) | instskip(NEXT) | instid1(VALU_DEP_4)
	v_cndmask_b32_e32 v144, 0xff7fffff, v144, vcc_lo
	v_cndmask_b32_e64 v143, 0xff7fffff, v143, s3
	v_mul_f32_e32 v140, s36, v187
	v_cndmask_b32_e64 v142, 0xff7fffff, v142, s4
	v_cndmask_b32_e64 v141, 0xff7fffff, v141, s5
	v_or_b32_e32 v160, 16, v152
	v_max3_f32 v143, v144, 0xff7fffff, v143
	v_or_b32_e32 v161, 18, v152
	v_mul_f32_e32 v138, s36, v189
	v_dual_mul_f32 v172, s36, v132 :: v_dual_mul_f32 v137, s36, v190
	v_cndmask_b32_e64 v140, 0xff7fffff, v140, s6
	v_cndmask_b32_e64 v139, 0xff7fffff, v139, s7
	v_max3_f32 v141, v143, v142, v141
	v_cmp_gt_i32_e64 s8, s30, v158
	v_cmp_gt_i32_e64 s9, s30, v159
	v_or_b32_e32 v162, 20, v152
	v_or_b32_e32 v163, 22, v152
	v_mul_f32_e32 v175, s36, v129
	v_cndmask_b32_e64 v138, 0xff7fffff, v138, s8
	v_max3_f32 v139, v141, v140, v139
	v_cmp_gt_i32_e64 s10, s30, v160
	v_cmp_gt_i32_e64 s11, s30, v161
	v_lshlrev_b32_e32 v160, 2, v151
	v_cndmask_b32_e64 v137, 0xff7fffff, v137, s9
	v_or_b32_e32 v164, 24, v152
	v_or_b32_e32 v165, 26, v152
	v_mul_f32_e32 v173, s36, v131
	v_cndmask_b32_e64 v140, 0xff7fffff, v175, s10
	v_cndmask_b32_e64 v141, 0xff7fffff, v174, s11
	v_max3_f32 v137, v139, v138, v137
	v_cmp_gt_i32_e64 s12, s30, v162
	v_cmp_gt_i32_e64 s13, s30, v163
	v_or_b32_e32 v166, 28, v152
	v_or_b32_e32 v167, 30, v152
	v_dual_mul_f32 v170, s36, v134 :: v_dual_mul_f32 v171, s36, v133
	v_cndmask_b32_e64 v138, 0xff7fffff, v173, s12
	v_cndmask_b32_e64 v139, 0xff7fffff, v172, s13
	v_max3_f32 v137, v137, v140, v141
	v_cmp_gt_i32_e64 s15, s30, v164
	v_cmp_gt_i32_e64 s16, s30, v165
	v_dual_mul_f32 v168, s36, v136 :: v_dual_mul_f32 v169, s36, v135
	s_delay_alu instid0(VALU_DEP_4) | instskip(NEXT) | instid1(VALU_DEP_4)
	v_max3_f32 v137, v137, v138, v139
	v_cndmask_b32_e64 v140, 0xff7fffff, v171, s15
	s_delay_alu instid0(VALU_DEP_4) | instskip(SKIP_2) | instid1(VALU_DEP_3)
	v_cndmask_b32_e64 v141, 0xff7fffff, v170, s16
	v_cmp_gt_i32_e64 s17, s30, v166
	v_cmp_gt_i32_e64 s18, s30, v167
	v_max3_f32 v137, v137, v140, v141
	s_delay_alu instid0(VALU_DEP_3) | instskip(NEXT) | instid1(VALU_DEP_3)
	v_cndmask_b32_e64 v138, 0xff7fffff, v169, s17
	v_cndmask_b32_e64 v139, 0xff7fffff, v168, s18
	s_delay_alu instid0(VALU_DEP_1) | instskip(SKIP_3) | instid1(VALU_DEP_1)
	v_max3_f32 v137, v137, v138, v139
	ds_bpermute_b32 v138, v160, v137
	s_waitcnt lgkmcnt(0)
	v_max_f32_e32 v138, v138, v138
	v_max_f32_e32 v137, v137, v138
	s_delay_alu instid0(VALU_DEP_1) | instskip(SKIP_4) | instid1(VALU_DEP_4)
	v_fma_f32 v143, s36, v187, -v137
	v_fma_f32 v130, s36, v130, -v137
	;; [unrolled: 1-line block ×5, first 2 shown]
	v_dual_mul_f32 v143, 0x3fb8aa3b, v143 :: v_dual_mul_f32 v130, 0x3fb8aa3b, v130
	s_delay_alu instid0(VALU_DEP_4) | instskip(SKIP_2) | instid1(VALU_DEP_4)
	v_mul_f32_e32 v140, 0x3fb8aa3b, v140
	v_fma_f32 v152, s36, v189, -v137
	v_fma_f32 v139, s36, v184, -v137
	v_exp_f32_e32 v143, v143
	v_mul_f32_e32 v138, 0x3fb8aa3b, v138
	v_exp_f32_e32 v140, v140
	v_mul_f32_e32 v152, 0x3fb8aa3b, v152
	v_fma_f32 v153, s36, v190, -v137
	v_fma_f32 v144, s36, v188, -v137
	v_exp_f32_e32 v138, v138
	v_fma_f32 v129, s36, v129, -v137
	v_exp_f32_e32 v152, v152
	v_fma_f32 v134, s36, v134, -v137
	v_cndmask_b32_e64 v143, 0, v143, s6
	v_dual_mul_f32 v141, 0x3fb8aa3b, v141 :: v_dual_mul_f32 v144, 0x3fb8aa3b, v144
	v_fma_f32 v132, s36, v132, -v137
	s_delay_alu instid0(VALU_DEP_4) | instskip(NEXT) | instid1(VALU_DEP_3)
	v_dual_mul_f32 v129, 0x3fb8aa3b, v129 :: v_dual_mul_f32 v134, 0x3fb8aa3b, v134
	v_exp_f32_e32 v151, v141
	v_cndmask_b32_e64 v141, 0, v140, s4
	s_delay_alu instid0(VALU_DEP_3)
	v_dual_mul_f32 v132, 0x3fb8aa3b, v132 :: v_dual_mul_f32 v139, 0x3fb8aa3b, v139
	v_exp_f32_e32 v144, v144
	v_exp_f32_e32 v129, v129
	;; [unrolled: 1-line block ×3, first 2 shown]
	v_fma_f32 v131, s36, v131, -v137
	v_exp_f32_e32 v142, v139
	v_exp_f32_e32 v132, v132
	v_cndmask_b32_e64 v140, 0, v151, s5
	v_mul_f32_e32 v151, 0x3fb8aa3b, v153
	v_fma_f32 v133, s36, v133, -v137
	s_delay_alu instid0(VALU_DEP_2) | instskip(SKIP_2) | instid1(TRANS32_DEP_3)
	v_exp_f32_e32 v154, v151
	v_cndmask_b32_e64 v151, 0, v152, s8
	v_cndmask_b32_e32 v139, 0, v138, vcc_lo
	v_cndmask_b32_e64 v138, 0, v142, s3
	s_mov_b32 s3, exec_lo
	s_delay_alu instid0(VALU_DEP_2) | instskip(NEXT) | instid1(VALU_DEP_1)
	v_add_f32_e32 v142, 0, v139
	v_add_f32_e32 v142, v142, v138
	s_delay_alu instid0(VALU_DEP_1) | instskip(NEXT) | instid1(VALU_DEP_1)
	v_add_f32_e32 v142, v142, v141
	v_add_f32_e32 v153, v142, v140
	v_cndmask_b32_e64 v142, 0, v144, s7
	s_delay_alu instid0(VALU_DEP_2) | instskip(SKIP_1) | instid1(VALU_DEP_2)
	v_add_f32_e32 v144, v153, v143
	v_cndmask_b32_e64 v153, 0, v129, s10
	v_add_f32_e32 v152, v144, v142
	v_cndmask_b32_e64 v144, 0, v154, s9
	v_cndmask_b32_e64 v154, 0, v132, s13
	v_fma_f32 v132, s36, v136, -v137
	s_delay_alu instid0(VALU_DEP_4) | instskip(NEXT) | instid1(VALU_DEP_2)
	v_dual_mul_f32 v133, 0x3fb8aa3b, v133 :: v_dual_add_f32 v152, v152, v151
	v_mul_f32_e32 v132, 0x3fb8aa3b, v132
	s_delay_alu instid0(VALU_DEP_2) | instskip(NEXT) | instid1(VALU_DEP_2)
	v_exp_f32_e32 v133, v133
	v_add_f32_e32 v129, v152, v144
	v_cndmask_b32_e64 v152, 0, v130, s11
	v_fma_f32 v130, s36, v135, -v137
	v_mul_f32_e32 v131, 0x3fb8aa3b, v131
	s_delay_alu instid0(VALU_DEP_2) | instskip(NEXT) | instid1(VALU_DEP_2)
	v_dual_add_f32 v129, v129, v153 :: v_dual_mul_f32 v130, 0x3fb8aa3b, v130
	v_exp_f32_e32 v131, v131
	s_delay_alu instid0(TRANS32_DEP_2) | instskip(NEXT) | instid1(VALU_DEP_2)
	v_cndmask_b32_e64 v157, 0, v133, s15
	v_add_f32_e32 v129, v129, v152
	s_delay_alu instid0(VALU_DEP_3) | instskip(SKIP_4) | instid1(VALU_DEP_2)
	v_exp_f32_e32 v130, v130
	s_waitcnt_depctr 0xfff
	v_cndmask_b32_e64 v155, 0, v131, s12
	v_exp_f32_e32 v131, v134
	v_cndmask_b32_e64 v159, 0, v130, s17
	v_add_f32_e32 v129, v129, v155
	s_delay_alu instid0(VALU_DEP_1) | instskip(SKIP_4) | instid1(VALU_DEP_1)
	v_add_f32_e32 v129, v129, v154
	s_waitcnt_depctr 0xfff
	v_cndmask_b32_e64 v156, 0, v131, s16
	v_exp_f32_e32 v131, v132
	v_add_f32_e32 v129, v129, v157
	v_add_f32_e32 v129, v129, v156
	s_waitcnt_depctr 0xfff
	v_cndmask_b32_e64 v158, 0, v131, s18
	v_add_f32_e32 v129, v129, v159
	s_delay_alu instid0(VALU_DEP_1)
	v_add_f32_e32 v129, v129, v158
	ds_bpermute_b32 v130, v160, v129
	v_cmpx_gt_u32_e32 16, v150
	s_cbranch_execz .LBB85_12
; %bb.11:
	v_mul_u32_u24_e32 v131, 0x44, v148
	s_delay_alu instid0(VALU_DEP_1) | instskip(SKIP_1) | instid1(VALU_DEP_1)
	v_lshl_add_u32 v131, v149, 2, v131
	s_waitcnt lgkmcnt(0)
	v_dual_add_f32 v129, v129, v130 :: v_dual_add_nc_u32 v130, 0x4000, v131
	ds_store_2addr_b32 v130, v137, v129 offset1:136
.LBB85_12:
	s_or_b32 exec_lo, exec_lo, s3
	v_lshlrev_b32_e32 v129, 2, v149
	s_load_b32 s35, s[0:1], 0x94
	s_waitcnt lgkmcnt(0)
	s_barrier
	buffer_gl0_inv
	v_add_nc_u32_e32 v135, 0x4000, v129
	v_cmp_eq_u32_e32 vcc_lo, 1, v148
	v_cmp_eq_u32_e64 s3, 2, v148
	v_cmp_eq_u32_e64 s4, 3, v148
	;; [unrolled: 1-line block ×3, first 2 shown]
	ds_load_2addr_b32 v[129:130], v135 offset1:17
	ds_load_2addr_b32 v[131:132], v135 offset0:34 offset1:51
	ds_load_2addr_b32 v[133:134], v135 offset0:68 offset1:85
	;; [unrolled: 1-line block ×4, first 2 shown]
	v_cmp_eq_u32_e64 s6, 5, v148
	v_cmp_eq_u32_e64 s7, 7, v148
	s_waitcnt lgkmcnt(4)
	v_max3_f32 v136, v129, 0xff7fffff, v130
	s_waitcnt lgkmcnt(3)
	s_delay_alu instid0(VALU_DEP_1) | instskip(SKIP_1) | instid1(VALU_DEP_1)
	v_max3_f32 v136, v136, v131, v132
	s_waitcnt lgkmcnt(2)
	v_max3_f32 v136, v136, v133, v134
	s_waitcnt lgkmcnt(1)
	s_delay_alu instid0(VALU_DEP_1) | instskip(NEXT) | instid1(VALU_DEP_1)
	v_max3_f32 v136, v136, v160, v161
	v_sub_f32_e32 v129, v129, v136
	v_sub_f32_e32 v137, v130, v136
	;; [unrolled: 1-line block ×4, first 2 shown]
	s_delay_alu instid0(VALU_DEP_4) | instskip(NEXT) | instid1(VALU_DEP_3)
	v_dual_sub_f32 v133, v133, v136 :: v_dual_mul_f32 v150, 0x3fb8aa3b, v129
	v_dual_mul_f32 v137, 0x3fb8aa3b, v137 :: v_dual_mul_f32 v164, 0x3fb8aa3b, v164
	s_delay_alu instid0(VALU_DEP_2) | instskip(NEXT) | instid1(VALU_DEP_3)
	v_mul_f32_e32 v167, 0x3fb8aa3b, v133
	v_exp_f32_e32 v150, v150
	s_delay_alu instid0(VALU_DEP_2) | instskip(SKIP_2) | instid1(VALU_DEP_1)
	v_exp_f32_e32 v166, v137
	v_mul_f32_e32 v165, 0x3fb8aa3b, v131
	v_exp_f32_e32 v164, v164
	v_exp_f32_e32 v165, v165
	s_waitcnt lgkmcnt(0)
	v_fma_f32 v137, v150, v162, 0
	v_sub_f32_e32 v162, v134, v136
	ds_load_2addr_b32 v[129:130], v135 offset0:170 offset1:187
	ds_load_2addr_b32 v[131:132], v135 offset0:204 offset1:221
	ds_load_2addr_b32 v[133:134], v135 offset0:238 offset1:255
	v_fmac_f32_e32 v137, v166, v163
	v_dual_sub_f32 v135, v160, v136 :: v_dual_mul_f32 v160, 0x3fb8aa3b, v162
	v_exp_f32_e32 v162, v167
	s_waitcnt lgkmcnt(0)
	s_barrier
	s_delay_alu instid0(VALU_DEP_1)
	v_mul_f32_e32 v135, 0x3fb8aa3b, v135
	v_exp_f32_e32 v160, v160
	buffer_gl0_inv
	v_fmac_f32_e32 v137, v165, v129
	v_sub_f32_e32 v129, v161, v136
	v_exp_f32_e32 v161, v135
	s_delay_alu instid0(VALU_DEP_2) | instskip(NEXT) | instid1(VALU_DEP_2)
	v_fmac_f32_e32 v137, v164, v130
	v_dual_mul_f32 v129, 0x3fb8aa3b, v129 :: v_dual_cndmask_b32 v130, v150, v166
	s_delay_alu instid0(VALU_DEP_2) | instskip(NEXT) | instid1(VALU_DEP_2)
	v_fmac_f32_e32 v137, v162, v131
	v_exp_f32_e32 v163, v129
	s_delay_alu instid0(VALU_DEP_1) | instskip(SKIP_3) | instid1(VALU_DEP_2)
	v_fmac_f32_e32 v137, v160, v132
	s_waitcnt_depctr 0xfff
	v_fmac_f32_e32 v137, v161, v133
	v_lshlrev_b32_e32 v133, 6, v149
	v_fmac_f32_e32 v137, v163, v134
	s_delay_alu instid0(VALU_DEP_2) | instskip(NEXT) | instid1(VALU_DEP_2)
	v_lshl_or_b32 v135, v148, 11, v133
	v_add_f32_e32 v134, 0x358637bd, v137
	s_delay_alu instid0(VALU_DEP_1) | instskip(SKIP_1) | instid1(VALU_DEP_2)
	v_div_scale_f32 v167, null, v134, v134, 1.0
	v_div_scale_f32 v150, vcc_lo, 1.0, v134, 1.0
	v_rcp_f32_e32 v168, v167
	s_waitcnt_depctr 0xfff
	v_fma_f32 v129, -v167, v168, 1.0
	s_delay_alu instid0(VALU_DEP_1) | instskip(SKIP_2) | instid1(VALU_DEP_3)
	v_fmac_f32_e32 v168, v129, v168
	v_cndmask_b32_e64 v129, v130, v165, s3
	v_cmp_eq_u32_e64 s3, 6, v148
	v_mul_f32_e32 v165, v150, v168
	s_delay_alu instid0(VALU_DEP_3) | instskip(SKIP_1) | instid1(VALU_DEP_3)
	v_cndmask_b32_e64 v130, v129, v164, s4
	v_lshlrev_b32_e32 v129, 2, v147
	v_fma_f32 v131, -v167, v165, v150
	s_delay_alu instid0(VALU_DEP_3) | instskip(NEXT) | instid1(VALU_DEP_3)
	v_cndmask_b32_e64 v149, v130, v162, s5
	v_or_b32_e32 v130, 1, v129
	v_or_b32_e32 v132, 2, v129
	v_cmp_eq_u32_e64 s4, 1, v129
	v_fmac_f32_e32 v165, v131, v168
	v_cndmask_b32_e64 v148, v149, v160, s6
	v_or_b32_e32 v131, 3, v129
	v_cmp_eq_u32_e64 s9, 1, v130
	v_cmp_eq_u32_e64 s10, 1, v132
	v_fma_f32 v149, -v167, v165, v150
	v_cndmask_b32_e64 v148, v148, v161, s3
	v_cmp_eq_u32_e64 s11, 1, v131
	v_cmp_eq_u32_e64 s5, 2, v129
	;; [unrolled: 1-line block ×3, first 2 shown]
	v_div_fmas_f32 v149, v149, v168, v165
	v_cndmask_b32_e64 v148, v148, v163, s7
	v_cmp_eq_u32_e64 s15, 2, v132
	v_cmp_eq_u32_e64 s16, 2, v131
	v_cmp_eq_u32_e32 vcc_lo, 3, v129
	v_div_fixup_f32 v149, v149, v134, 1.0
	v_lshl_or_b32 v134, v147, 4, v135
	v_cmp_eq_u32_e64 s13, 3, v130
	v_cmp_eq_u32_e64 s18, 3, v131
	;; [unrolled: 1-line block ×3, first 2 shown]
	v_mul_f32_e32 v164, v148, v149
	v_cmp_eq_u32_e64 s17, 3, v132
	v_cmp_eq_u32_e64 s19, 4, v130
	;; [unrolled: 1-line block ×4, first 2 shown]
	v_fma_mixlo_f16 v148, v164, v139, 0
	v_fma_mixlo_f16 v149, v164, v141, 0
	v_fma_mixlo_f16 v150, v164, v143, 0
	v_fma_mixlo_f16 v151, v164, v151, 0
	v_fma_mixlo_f16 v160, v164, v153, 0
	v_fma_mixlo_f16 v161, v164, v155, 0
	v_fma_mixlo_f16 v162, v164, v157, 0
	v_fma_mixlo_f16 v163, v164, v159, 0
	v_fma_mixhi_f16 v148, v164, v138, 0
	v_fma_mixhi_f16 v149, v164, v140, 0
	;; [unrolled: 1-line block ×8, first 2 shown]
	ds_store_b128 v134, v[148:151]
	ds_store_b128 v134, v[160:163] offset:1024
	s_waitcnt lgkmcnt(0)
	s_barrier
	buffer_gl0_inv
	ds_load_b128 v[138:141], v135
	ds_load_b128 v[148:151], v135 offset:16
	ds_load_b128 v[152:155], v135 offset:1024
	;; [unrolled: 1-line block ×3, first 2 shown]
	v_cmp_eq_u32_e64 s20, 5, v130
	v_cmp_eq_u32_e64 s21, 4, v132
	;; [unrolled: 1-line block ×12, first 2 shown]
	s_waitcnt lgkmcnt(3)
	v_lshrrev_b32_e32 v142, 16, v138
	s_waitcnt lgkmcnt(2)
	v_lshrrev_b32_e32 v161, 16, v148
	;; [unrolled: 2-line block ×4, first 2 shown]
	v_lshrrev_b32_e32 v143, 16, v139
	v_cndmask_b32_e64 v173, v138, v142, s4
	v_cndmask_b32_e64 v174, v148, v161, s4
	v_cndmask_b32_e64 v175, v138, v142, s9
	v_cndmask_b32_e64 v176, v148, v161, s9
	v_cndmask_b32_e64 v177, v138, v142, s10
	v_cndmask_b32_e64 v138, v138, v142, s11
	v_cndmask_b32_e64 v142, v148, v161, s11
	v_lshrrev_b32_e32 v162, 16, v149
	v_cndmask_b32_e64 v178, v148, v161, s10
	v_cndmask_b32_e64 v148, v152, v165, s4
	;; [unrolled: 1-line block ×16, first 2 shown]
	v_lshrrev_b32_e32 v166, 16, v153
	v_lshrrev_b32_e32 v170, 16, v157
	v_cndmask_b32_e64 v176, v178, v149, s15
	v_cndmask_b32_e64 v142, v148, v153, s5
	;; [unrolled: 1-line block ×7, first 2 shown]
	v_cndmask_b32_e32 v156, v165, v143, vcc_lo
	v_cndmask_b32_e32 v165, v169, v162, vcc_lo
	v_cndmask_b32_e64 v169, v173, v143, s13
	v_cndmask_b32_e64 v173, v174, v162, s13
	;; [unrolled: 1-line block ×4, first 2 shown]
	v_lshrrev_b32_e32 v144, 16, v140
	v_lshrrev_b32_e32 v163, 16, v150
	v_cndmask_b32_e64 v174, v175, v143, s17
	v_cndmask_b32_e64 v175, v176, v162, s17
	v_cndmask_b32_e32 v142, v142, v166, vcc_lo
	v_cndmask_b32_e32 v143, v148, v170, vcc_lo
	v_cndmask_b32_e64 v148, v149, v166, s13
	v_cndmask_b32_e64 v149, v156, v140, s3
	;; [unrolled: 1-line block ×7, first 2 shown]
	v_lshrrev_b32_e32 v167, 16, v154
	v_cndmask_b32_e64 v169, v174, v140, s21
	v_cndmask_b32_e64 v173, v175, v150, s21
	;; [unrolled: 1-line block ×11, first 2 shown]
	v_lshrrev_b32_e32 v160, 16, v141
	v_lshrrev_b32_e32 v164, 16, v151
	v_cndmask_b32_e64 v162, v169, v144, s23
	v_cndmask_b32_e64 v165, v173, v163, s23
	;; [unrolled: 1-line block ×9, first 2 shown]
	v_lshrrev_b32_e32 v168, 16, v155
	v_cndmask_b32_e64 v140, v140, v167, s6
	v_cndmask_b32_e64 v156, v162, v141, s26
	;; [unrolled: 1-line block ×14, first 2 shown]
	v_perm_b32 v141, v139, v138, 0x5040100
	v_perm_b32 v139, v150, v148, 0x5040100
	v_cndmask_b32_e64 v138, v182, v157, s15
	v_cndmask_b32_e64 v148, v180, v157, s12
	;; [unrolled: 1-line block ×3, first 2 shown]
	v_perm_b32 v140, v151, v149, 0x5040100
	v_cndmask_b32_e64 v149, v161, v166, s17
	v_cndmask_b32_e64 v150, v152, v166, s18
	;; [unrolled: 1-line block ×5, first 2 shown]
	v_lshrrev_b32_e32 v171, 16, v158
	v_cndmask_b32_e64 v149, v149, v154, s21
	v_cndmask_b32_e64 v150, v150, v154, s22
	;; [unrolled: 1-line block ×11, first 2 shown]
	v_lshrrev_b32_e32 v172, 16, v159
	v_cndmask_b32_e64 v142, v142, v159, s7
	v_cndmask_b32_e64 v149, v149, v155, s26
	;; [unrolled: 1-line block ×12, first 2 shown]
	v_perm_b32 v138, v144, v143, 0x5040100
	v_perm_b32 v151, v151, v150, 0x5040100
	;; [unrolled: 1-line block ×5, first 2 shown]
	s_lshl_b32 s7, s33, 2
	s_mov_b32 s3, exec_lo
	ds_store_b128 v134, v[138:141]
	ds_store_b128 v134, v[148:151] offset:1024
	v_cmpx_gt_u32_e32 4, v0
	s_cbranch_execz .LBB85_14
; %bb.13:
	v_or_b32_e32 v138, s31, v0
	s_load_b128 s[8:11], s[0:1], 0x58
	s_delay_alu instid0(VALU_DEP_1) | instskip(NEXT) | instid1(VALU_DEP_1)
	v_mad_u64_u32 v[139:140], null, s7, s34, v[138:139]
	v_mad_u64_u32 v[140:141], null, v139, s35, s[14:15]
	s_delay_alu instid0(VALU_DEP_1) | instskip(NEXT) | instid1(VALU_DEP_1)
	v_ashrrev_i32_e32 v141, 31, v140
	v_lshlrev_b64 v[138:139], 2, v[140:141]
	s_waitcnt lgkmcnt(0)
	s_delay_alu instid0(VALU_DEP_1) | instskip(NEXT) | instid1(VALU_DEP_2)
	v_add_co_u32 v140, vcc_lo, s10, v138
	v_add_co_ci_u32_e32 v141, vcc_lo, s11, v139, vcc_lo
	v_add_co_u32 v138, vcc_lo, s8, v138
	v_add_co_ci_u32_e32 v139, vcc_lo, s9, v139, vcc_lo
	global_store_b32 v[140:141], v136, off
	global_store_b32 v[138:139], v137, off
.LBB85_14:
	s_or_b32 exec_lo, exec_lo, s3
	s_waitcnt lgkmcnt(0)
	s_waitcnt_vscnt null, 0x0
	s_barrier
	buffer_gl0_inv
	ds_load_b128 v[148:151], v133
	ds_load_b128 v[152:155], v133 offset:16
	ds_load_b128 v[160:163], v133 offset:1040
	;; [unrolled: 1-line block ×5, first 2 shown]
	v_cmp_eq_u32_e32 vcc_lo, 1, v132
	v_mov_b32_e32 v136, 0
	ds_load_b128 v[176:179], v133 offset:3088
	ds_load_b128 v[172:175], v133 offset:3072
	;; [unrolled: 1-line block ×4, first 2 shown]
	v_cmp_eq_u32_e64 s3, 1, v129
	v_cmp_eq_u32_e64 s4, 1, v131
	;; [unrolled: 1-line block ×3, first 2 shown]
	v_mov_b32_e32 v137, v136
	v_mov_b32_e32 v138, v136
	;; [unrolled: 1-line block ×7, first 2 shown]
	v_cmp_eq_u32_e64 s6, 2, v129
	s_waitcnt lgkmcnt(8)
	s_delay_alu instid0(VALU_DEP_2)
	v_wmma_f32_16x16x16_f16 v[136:143], v[121:128], v[148:155], v[136:143]
	ds_load_b128 v[125:128], v133 offset:5136
	ds_load_b128 v[121:124], v133 offset:5120
	s_waitcnt lgkmcnt(8)
	v_wmma_f32_16x16x16_f16 v[136:143], v[113:120], v[156:163], v[136:143]
	ds_load_b128 v[117:120], v133 offset:6160
	ds_load_b128 v[113:116], v133 offset:6144
	s_waitcnt lgkmcnt(8)
	;; [unrolled: 4-line block ×11, first 2 shown]
	s_barrier
	buffer_gl0_inv
	v_wmma_f32_16x16x16_f16 v[136:143], v[1:8], v[73:80], v[136:143]
	s_delay_alu instid0(VALU_DEP_1) | instskip(NEXT) | instid1(VALU_DEP_1)
	v_wmma_f32_16x16x16_f16 v[136:143], v[9:16], v[65:72], v[136:143]
	v_wmma_f32_16x16x16_f16 v[136:143], v[33:40], v[57:64], v[136:143]
	s_delay_alu instid0(VALU_DEP_1) | instskip(NEXT) | instid1(VALU_DEP_1)
	v_wmma_f32_16x16x16_f16 v[136:143], v[41:48], v[49:56], v[136:143]
	v_wmma_f32_16x16x16_f16 v[136:143], v[17:24], v[25:32], v[136:143]
	s_delay_alu instid0(VALU_DEP_1) | instskip(NEXT) | instid1(VALU_DEP_2)
	v_cvt_f16_f32_e64 v1, v136
	v_cvt_f16_f32_e64 v2, v137
	s_delay_alu instid0(VALU_DEP_3) | instskip(NEXT) | instid1(VALU_DEP_4)
	v_cvt_f16_f32_e64 v3, v138
	v_cvt_f16_f32_e64 v4, v139
	;; [unrolled: 1-line block ×6, first 2 shown]
	v_pack_b32_f16 v1, v1, v2
	v_pack_b32_f16 v2, v3, v4
	;; [unrolled: 1-line block ×3, first 2 shown]
	s_delay_alu instid0(VALU_DEP_4)
	v_pack_b32_f16 v4, v7, v8
	ds_store_b128 v134, v[1:4]
	s_waitcnt lgkmcnt(0)
	s_barrier
	buffer_gl0_inv
	ds_load_b128 v[1:4], v135
	ds_load_b128 v[5:8], v135 offset:16
	s_waitcnt lgkmcnt(1)
	v_lshrrev_b32_e32 v9, 16, v1
	s_waitcnt lgkmcnt(0)
	v_lshrrev_b32_e32 v13, 16, v5
	v_lshrrev_b32_e32 v10, 16, v2
	;; [unrolled: 1-line block ×4, first 2 shown]
	v_cndmask_b32_e64 v17, v1, v9, s3
	v_cndmask_b32_e64 v18, v5, v13, s3
	;; [unrolled: 1-line block ×3, first 2 shown]
	v_cmp_eq_u32_e64 s3, 2, v130
	v_cndmask_b32_e64 v20, v5, v13, s5
	v_cndmask_b32_e32 v21, v1, v9, vcc_lo
	v_cndmask_b32_e32 v22, v5, v13, vcc_lo
	v_cndmask_b32_e64 v1, v1, v9, s4
	v_cndmask_b32_e64 v5, v5, v13, s4
	v_cmp_eq_u32_e32 vcc_lo, 2, v132
	v_cmp_eq_u32_e64 s4, 2, v131
	v_cndmask_b32_e64 v9, v17, v2, s6
	v_cndmask_b32_e64 v13, v18, v6, s6
	;; [unrolled: 1-line block ×4, first 2 shown]
	v_cndmask_b32_e32 v19, v21, v2, vcc_lo
	v_cmp_eq_u32_e64 s3, 3, v132
	v_cndmask_b32_e32 v20, v22, v6, vcc_lo
	v_cndmask_b32_e64 v1, v1, v2, s4
	v_cmp_eq_u32_e32 vcc_lo, 3, v131
	v_cmp_eq_u32_e64 s5, 3, v129
	v_cndmask_b32_e64 v2, v5, v6, s4
	v_cmp_eq_u32_e64 s4, 3, v130
	v_cmp_eq_u32_e64 s6, 4, v129
	v_cndmask_b32_e32 v1, v1, v10, vcc_lo
	v_cndmask_b32_e64 v5, v9, v10, s5
	v_cndmask_b32_e64 v6, v13, v14, s5
	;; [unrolled: 1-line block ×3, first 2 shown]
	v_cmp_eq_u32_e64 s5, 4, v130
	v_cndmask_b32_e64 v13, v18, v14, s4
	v_cndmask_b32_e64 v17, v19, v10, s3
	;; [unrolled: 1-line block ×3, first 2 shown]
	v_cndmask_b32_e32 v2, v2, v14, vcc_lo
	v_cmp_eq_u32_e32 vcc_lo, 4, v132
	v_cmp_eq_u32_e64 s4, 4, v131
	v_lshrrev_b32_e32 v15, 16, v7
	v_cndmask_b32_e64 v5, v5, v3, s6
	v_cndmask_b32_e64 v6, v6, v7, s6
	v_cndmask_b32_e32 v14, v18, v7, vcc_lo
	v_cndmask_b32_e64 v9, v9, v3, s5
	v_cndmask_b32_e64 v10, v13, v7, s5
	v_cndmask_b32_e32 v13, v17, v3, vcc_lo
	v_cmp_eq_u32_e64 s3, 5, v132
	v_cndmask_b32_e64 v1, v1, v3, s4
	v_cmp_eq_u32_e32 vcc_lo, 5, v131
	v_cmp_eq_u32_e64 s5, 5, v129
	v_cndmask_b32_e64 v2, v2, v7, s4
	v_cmp_eq_u32_e64 s4, 5, v130
	v_cmp_eq_u32_e64 s6, 6, v129
	v_lshrrev_b32_e32 v12, 16, v4
	v_cndmask_b32_e64 v3, v5, v11, s5
	v_cndmask_b32_e64 v5, v6, v15, s5
	;; [unrolled: 1-line block ×3, first 2 shown]
	v_cmp_eq_u32_e64 s5, 6, v130
	v_cndmask_b32_e64 v7, v10, v15, s4
	v_cndmask_b32_e64 v9, v13, v11, s3
	;; [unrolled: 1-line block ×3, first 2 shown]
	v_cndmask_b32_e32 v1, v1, v11, vcc_lo
	v_cndmask_b32_e32 v2, v2, v15, vcc_lo
	v_cmp_eq_u32_e32 vcc_lo, 6, v132
	v_cmp_eq_u32_e64 s3, 6, v131
	v_lshrrev_b32_e32 v16, 16, v8
	v_cndmask_b32_e64 v3, v3, v4, s6
	v_cndmask_b32_e64 v5, v5, v8, s6
	v_cndmask_b32_e32 v9, v9, v4, vcc_lo
	v_cndmask_b32_e64 v6, v6, v4, s5
	v_cndmask_b32_e64 v7, v7, v8, s5
	v_cmp_eq_u32_e64 s4, 7, v132
	v_cndmask_b32_e32 v10, v10, v8, vcc_lo
	v_cndmask_b32_e64 v1, v1, v4, s3
	v_cmp_eq_u32_e32 vcc_lo, 7, v131
	v_cndmask_b32_e64 v2, v2, v8, s3
	v_cmp_eq_u32_e64 s3, 7, v129
	v_cmp_eq_u32_e64 s5, 7, v130
	v_cndmask_b32_e32 v1, v1, v12, vcc_lo
	s_delay_alu instid0(VALU_DEP_4) | instskip(NEXT) | instid1(VALU_DEP_4)
	v_cndmask_b32_e32 v2, v2, v16, vcc_lo
	v_cndmask_b32_e64 v8, v3, v12, s3
	s_delay_alu instid0(VALU_DEP_4)
	v_cndmask_b32_e64 v6, v6, v12, s5
	v_cndmask_b32_e64 v3, v9, v12, s4
	;; [unrolled: 1-line block ×5, first 2 shown]
	v_cmp_gt_u32_e32 vcc_lo, 32, v0
	v_perm_b32 v4, v2, v1, 0x5040100
	v_perm_b32 v3, v9, v3, 0x5040100
	;; [unrolled: 1-line block ×4, first 2 shown]
	s_and_b32 s2, vcc_lo, s2
	ds_store_b128 v134, v[1:4]
	s_waitcnt lgkmcnt(0)
	s_barrier
	buffer_gl0_inv
	s_and_saveexec_b32 s3, s2
	s_cbranch_execz .LBB85_2
; %bb.15:
	s_load_b64 s[0:1], s[0:1], 0x68
	v_lshlrev_b32_e32 v0, 10, v0
	v_or_b32_e32 v1, s31, v147
	s_lshl_b32 s4, s35, 6
	v_lshlrev_b32_e32 v2, 4, v146
	s_mul_i32 s2, s4, s34
	v_lshlrev_b32_e32 v3, 6, v147
	v_mul_lo_u32 v8, v1, s4
	v_and_b32_e32 v0, 0x3800, v0
	v_or_b32_e32 v1, 2, v1
	s_mul_i32 s2, s2, s7
	s_delay_alu instid0(SALU_CYCLE_1) | instskip(NEXT) | instid1(VALU_DEP_2)
	s_ashr_i32 s3, s2, 31
	v_or3_b32 v4, v0, v2, v3
	s_lshl_b64 s[2:3], s[2:3], 1
	v_mul_lo_u32 v10, v1, s4
	v_ashrrev_i32_e32 v9, 31, v8
	ds_load_b128 v[0:3], v4
	ds_load_b128 v[4:7], v4 offset:128
	s_waitcnt lgkmcnt(0)
	s_add_u32 s2, s0, s2
	s_addc_u32 s3, s1, s3
	s_lshl_b32 s0, s14, 6
	v_ashrrev_i32_e32 v11, 31, v10
	s_ashr_i32 s1, s0, 31
	v_lshlrev_b64 v[8:9], 1, v[8:9]
	s_lshl_b64 s[0:1], s[0:1], 1
	s_delay_alu instid0(SALU_CYCLE_1) | instskip(SKIP_2) | instid1(VALU_DEP_1)
	s_add_u32 s0, s2, s0
	s_addc_u32 s1, s3, s1
	v_add_co_u32 v12, s0, s0, v145
	v_add_co_ci_u32_e64 v13, null, s1, 0, s0
	v_lshlrev_b64 v[10:11], 1, v[10:11]
	s_delay_alu instid0(VALU_DEP_3) | instskip(NEXT) | instid1(VALU_DEP_3)
	v_add_co_u32 v8, vcc_lo, v12, v8
	v_add_co_ci_u32_e32 v9, vcc_lo, v13, v9, vcc_lo
	s_delay_alu instid0(VALU_DEP_3) | instskip(NEXT) | instid1(VALU_DEP_4)
	v_add_co_u32 v10, vcc_lo, v12, v10
	v_add_co_ci_u32_e32 v11, vcc_lo, v13, v11, vcc_lo
	s_clause 0x1
	global_store_b128 v[8:9], v[0:3], off
	global_store_b128 v[10:11], v[4:7], off
	s_nop 0
	s_sendmsg sendmsg(MSG_DEALLOC_VGPRS)
	s_endpgm
	.section	.rodata,"a",@progbits
	.p2align	6, 0x0
	.amdhsa_kernel _Z39paged_attention_ll4mi_QKV_mfma16_kernelIDF16_DF16_LN4vllm18Fp8KVCacheDataTypeE0EDF16_Li16ELi64ELi256ELb1ELi4EL8MFMAType0EEvPKT_PKT0_S8_ifPKiSA_SA_iPKfiiiPfSD_PS3_PT2_iSC_SC_
		.amdhsa_group_segment_fixed_size 17472
		.amdhsa_private_segment_fixed_size 0
		.amdhsa_kernarg_size 400
		.amdhsa_user_sgpr_count 13
		.amdhsa_user_sgpr_dispatch_ptr 0
		.amdhsa_user_sgpr_queue_ptr 0
		.amdhsa_user_sgpr_kernarg_segment_ptr 1
		.amdhsa_user_sgpr_dispatch_id 0
		.amdhsa_user_sgpr_private_segment_size 0
		.amdhsa_wavefront_size32 1
		.amdhsa_uses_dynamic_stack 0
		.amdhsa_enable_private_segment 0
		.amdhsa_system_sgpr_workgroup_id_x 1
		.amdhsa_system_sgpr_workgroup_id_y 1
		.amdhsa_system_sgpr_workgroup_id_z 1
		.amdhsa_system_sgpr_workgroup_info 0
		.amdhsa_system_vgpr_workitem_id 0
		.amdhsa_next_free_vgpr 198
		.amdhsa_next_free_sgpr 52
		.amdhsa_reserve_vcc 1
		.amdhsa_float_round_mode_32 0
		.amdhsa_float_round_mode_16_64 0
		.amdhsa_float_denorm_mode_32 3
		.amdhsa_float_denorm_mode_16_64 3
		.amdhsa_dx10_clamp 1
		.amdhsa_ieee_mode 1
		.amdhsa_fp16_overflow 0
		.amdhsa_workgroup_processor_mode 1
		.amdhsa_memory_ordered 1
		.amdhsa_forward_progress 0
		.amdhsa_shared_vgpr_count 0
		.amdhsa_exception_fp_ieee_invalid_op 0
		.amdhsa_exception_fp_denorm_src 0
		.amdhsa_exception_fp_ieee_div_zero 0
		.amdhsa_exception_fp_ieee_overflow 0
		.amdhsa_exception_fp_ieee_underflow 0
		.amdhsa_exception_fp_ieee_inexact 0
		.amdhsa_exception_int_div_zero 0
	.end_amdhsa_kernel
	.section	.text._Z39paged_attention_ll4mi_QKV_mfma16_kernelIDF16_DF16_LN4vllm18Fp8KVCacheDataTypeE0EDF16_Li16ELi64ELi256ELb1ELi4EL8MFMAType0EEvPKT_PKT0_S8_ifPKiSA_SA_iPKfiiiPfSD_PS3_PT2_iSC_SC_,"axG",@progbits,_Z39paged_attention_ll4mi_QKV_mfma16_kernelIDF16_DF16_LN4vllm18Fp8KVCacheDataTypeE0EDF16_Li16ELi64ELi256ELb1ELi4EL8MFMAType0EEvPKT_PKT0_S8_ifPKiSA_SA_iPKfiiiPfSD_PS3_PT2_iSC_SC_,comdat
.Lfunc_end85:
	.size	_Z39paged_attention_ll4mi_QKV_mfma16_kernelIDF16_DF16_LN4vllm18Fp8KVCacheDataTypeE0EDF16_Li16ELi64ELi256ELb1ELi4EL8MFMAType0EEvPKT_PKT0_S8_ifPKiSA_SA_iPKfiiiPfSD_PS3_PT2_iSC_SC_, .Lfunc_end85-_Z39paged_attention_ll4mi_QKV_mfma16_kernelIDF16_DF16_LN4vllm18Fp8KVCacheDataTypeE0EDF16_Li16ELi64ELi256ELb1ELi4EL8MFMAType0EEvPKT_PKT0_S8_ifPKiSA_SA_iPKfiiiPfSD_PS3_PT2_iSC_SC_
                                        ; -- End function
	.section	.AMDGPU.csdata,"",@progbits
; Kernel info:
; codeLenInByte = 7692
; NumSgprs: 54
; NumVgprs: 198
; ScratchSize: 0
; MemoryBound: 0
; FloatMode: 240
; IeeeMode: 1
; LDSByteSize: 17472 bytes/workgroup (compile time only)
; SGPRBlocks: 6
; VGPRBlocks: 24
; NumSGPRsForWavesPerEU: 54
; NumVGPRsForWavesPerEU: 198
; Occupancy: 7
; WaveLimiterHint : 1
; COMPUTE_PGM_RSRC2:SCRATCH_EN: 0
; COMPUTE_PGM_RSRC2:USER_SGPR: 13
; COMPUTE_PGM_RSRC2:TRAP_HANDLER: 0
; COMPUTE_PGM_RSRC2:TGID_X_EN: 1
; COMPUTE_PGM_RSRC2:TGID_Y_EN: 1
; COMPUTE_PGM_RSRC2:TGID_Z_EN: 1
; COMPUTE_PGM_RSRC2:TIDIG_COMP_CNT: 0
	.section	.text._Z35paged_attention_ll4mi_reduce_kernelIDF16_DF16_Li64ELi64ELi256ELi9EEvPT0_PKfS3_PKT_PKiS8_iS3_,"axG",@progbits,_Z35paged_attention_ll4mi_reduce_kernelIDF16_DF16_Li64ELi64ELi256ELi9EEvPT0_PKfS3_PKT_PKiS8_iS3_,comdat
	.protected	_Z35paged_attention_ll4mi_reduce_kernelIDF16_DF16_Li64ELi64ELi256ELi9EEvPT0_PKfS3_PKT_PKiS8_iS3_ ; -- Begin function _Z35paged_attention_ll4mi_reduce_kernelIDF16_DF16_Li64ELi64ELi256ELi9EEvPT0_PKfS3_PKT_PKiS8_iS3_
	.globl	_Z35paged_attention_ll4mi_reduce_kernelIDF16_DF16_Li64ELi64ELi256ELi9EEvPT0_PKfS3_PKT_PKiS8_iS3_
	.p2align	8
	.type	_Z35paged_attention_ll4mi_reduce_kernelIDF16_DF16_Li64ELi64ELi256ELi9EEvPT0_PKfS3_PKT_PKiS8_iS3_,@function
_Z35paged_attention_ll4mi_reduce_kernelIDF16_DF16_Li64ELi64ELi256ELi9EEvPT0_PKfS3_PKT_PKiS8_iS3_: ; @_Z35paged_attention_ll4mi_reduce_kernelIDF16_DF16_Li64ELi64ELi256ELi9EEvPT0_PKfS3_PKT_PKiS8_iS3_
; %bb.0:
	s_load_b64 s[12:13], s[0:1], 0x28
	s_mov_b32 s2, s15
	s_waitcnt lgkmcnt(0)
	s_cmp_lg_u64 s[12:13], 0
	s_cselect_b32 s15, -1, 0
	s_delay_alu instid0(SALU_CYCLE_1)
	s_and_b32 vcc_lo, exec_lo, s15
	s_cbranch_vccz .LBB86_20
; %bb.1:
	s_add_i32 s4, s2, 1
	s_mov_b32 s5, 0
	s_delay_alu instid0(SALU_CYCLE_1) | instskip(SKIP_4) | instid1(SALU_CYCLE_1)
	s_lshl_b64 s[6:7], s[4:5], 2
	s_mov_b32 s3, s5
	s_add_u32 s6, s12, s6
	s_addc_u32 s7, s13, s7
	s_lshl_b64 s[8:9], s[2:3], 2
	s_add_u32 s8, s12, s8
	s_addc_u32 s9, s13, s9
	s_clause 0x1
	s_load_b32 s4, s[6:7], 0x0
	s_load_b32 s6, s[8:9], 0x0
	s_waitcnt lgkmcnt(0)
	s_sub_i32 s4, s4, s6
	s_delay_alu instid0(SALU_CYCLE_1)
	s_cmp_eq_u32 s4, 1
	s_cselect_b32 s4, -1, 0
	s_cbranch_execnz .LBB86_3
.LBB86_2:
	s_mov_b32 s3, 0
	s_mov_b32 s4, -1
.LBB86_3:
	s_delay_alu instid0(SALU_CYCLE_1)
	s_and_not1_b32 vcc_lo, exec_lo, s4
	s_cbranch_vccz .LBB86_5
; %bb.4:
	s_endpgm
.LBB86_5:
	s_clause 0x1
	s_load_b128 s[4:7], s[0:1], 0x18
	s_load_b32 s9, s[0:1], 0x30
	s_lshl_b64 s[16:17], s[2:3], 2
	s_waitcnt lgkmcnt(0)
	s_add_u32 s6, s6, s16
	s_addc_u32 s7, s7, s17
	s_load_b32 s23, s[6:7], 0x0
	s_load_b32 s33, s[0:1], 0x40
	s_mul_i32 s7, s2, s9
	s_waitcnt lgkmcnt(0)
	s_add_i32 s22, s23, 0xff
	s_delay_alu instid0(SALU_CYCLE_1) | instskip(NEXT) | instid1(SALU_CYCLE_1)
	s_ashr_i32 s6, s22, 31
	s_lshr_b32 s6, s6, 24
	s_delay_alu instid0(SALU_CYCLE_1) | instskip(SKIP_4) | instid1(SALU_CYCLE_1)
	s_add_i32 s8, s22, s6
	s_mul_i32 s6, s14, s9
	s_mov_b32 s9, exec_lo
	v_cmpx_lt_u32_e32 31, v0
	s_xor_b32 s9, exec_lo, s9
	s_or_saveexec_b32 s24, s9
	v_mov_b32_e32 v1, s6
	s_ashr_i32 s40, s8, 8
	s_mul_i32 s18, s7, s33
	s_xor_b32 exec_lo, exec_lo, s24
	s_cbranch_execz .LBB86_9
; %bb.6:
	v_or_b32_e32 v2, 32, v0
	v_cmp_gt_i32_e32 vcc_lo, s40, v0
	s_add_i32 s20, s40, -1
	v_or_b32_e32 v4, 64, v0
	v_or_b32_e32 v6, 0x60, v0
	s_load_b128 s[8:11], s[0:1], 0x8
	v_cndmask_b32_e32 v1, s20, v0, vcc_lo
	v_cmp_gt_i32_e32 vcc_lo, s40, v2
	s_mov_b32 s19, 0
	s_delay_alu instid0(SALU_CYCLE_1)
	s_mov_b32 s7, s19
	v_cndmask_b32_e32 v3, s20, v2, vcc_lo
	v_cmp_gt_i32_e32 vcc_lo, s40, v4
	v_or_b32_e32 v2, 0x80, v0
	v_cndmask_b32_e32 v5, s20, v4, vcc_lo
	v_cmp_gt_i32_e32 vcc_lo, s40, v6
	v_or_b32_e32 v4, 0xa0, v0
	;; [unrolled: 3-line block ×3, first 2 shown]
	s_delay_alu instid0(VALU_DEP_3) | instskip(SKIP_3) | instid1(VALU_DEP_4)
	v_ashrrev_i32_e32 v8, 31, v7
	v_cndmask_b32_e32 v9, s20, v2, vcc_lo
	v_or_b32_e32 v2, 0xc0, v0
	v_cmp_gt_i32_e32 vcc_lo, s40, v4
	v_lshlrev_b64 v[7:8], 2, v[7:8]
	s_delay_alu instid0(VALU_DEP_4) | instskip(SKIP_3) | instid1(VALU_DEP_4)
	v_ashrrev_i32_e32 v10, 31, v9
	v_cndmask_b32_e32 v11, s20, v4, vcc_lo
	v_cmp_gt_i32_e32 vcc_lo, s40, v2
	v_or_b32_e32 v4, 0x100, v0
	v_lshlrev_b64 v[9:10], 2, v[9:10]
	s_delay_alu instid0(VALU_DEP_4) | instskip(SKIP_3) | instid1(VALU_DEP_4)
	v_ashrrev_i32_e32 v12, 31, v11
	v_cndmask_b32_e32 v13, s20, v2, vcc_lo
	v_cmp_gt_i32_e32 vcc_lo, s40, v6
	v_ashrrev_i32_e32 v2, 31, v1
	v_lshlrev_b64 v[11:12], 2, v[11:12]
	s_delay_alu instid0(VALU_DEP_4)
	v_ashrrev_i32_e32 v14, 31, v13
	v_cndmask_b32_e32 v15, s20, v6, vcc_lo
	v_cmp_gt_i32_e32 vcc_lo, s40, v4
	v_lshlrev_b64 v[1:2], 2, v[1:2]
	v_ashrrev_i32_e32 v6, 31, v5
	v_lshlrev_b64 v[13:14], 2, v[13:14]
	v_ashrrev_i32_e32 v16, 31, v15
	v_cndmask_b32_e32 v17, s20, v4, vcc_lo
	v_ashrrev_i32_e32 v4, 31, v3
	s_lshl_b64 s[20:21], s[18:19], 2
	v_lshlrev_b64 v[5:6], 2, v[5:6]
	s_waitcnt lgkmcnt(0)
	s_add_u32 s19, s10, s20
	s_addc_u32 s25, s11, s21
	s_lshl_b64 s[10:11], s[6:7], 2
	v_lshlrev_b64 v[3:4], 2, v[3:4]
	s_add_u32 s7, s19, s10
	s_addc_u32 s19, s25, s11
	v_add_co_u32 v18, vcc_lo, s7, v1
	v_add_co_ci_u32_e32 v19, vcc_lo, s19, v2, vcc_lo
	s_delay_alu instid0(VALU_DEP_3)
	v_add_co_u32 v20, vcc_lo, s7, v3
	v_add_co_ci_u32_e32 v21, vcc_lo, s19, v4, vcc_lo
	v_add_co_u32 v22, vcc_lo, s7, v5
	v_add_co_ci_u32_e32 v23, vcc_lo, s19, v6, vcc_lo
	v_add_co_u32 v24, vcc_lo, s7, v7
	v_add_co_ci_u32_e32 v25, vcc_lo, s19, v8, vcc_lo
	v_add_co_u32 v26, vcc_lo, s7, v9
	v_add_co_ci_u32_e32 v27, vcc_lo, s19, v10, vcc_lo
	s_clause 0x4
	global_load_b32 v28, v[18:19], off
	global_load_b32 v29, v[20:21], off
	;; [unrolled: 1-line block ×5, first 2 shown]
	v_ashrrev_i32_e32 v18, 31, v17
	v_add_co_u32 v19, vcc_lo, s7, v11
	v_lshlrev_b64 v[15:16], 2, v[15:16]
	v_add_co_ci_u32_e32 v20, vcc_lo, s19, v12, vcc_lo
	v_add_co_u32 v21, vcc_lo, s7, v13
	v_lshlrev_b64 v[17:18], 2, v[17:18]
	v_add_co_ci_u32_e32 v22, vcc_lo, s19, v14, vcc_lo
	v_add_co_u32 v23, vcc_lo, s7, v15
	v_add_co_ci_u32_e32 v24, vcc_lo, s19, v16, vcc_lo
	s_delay_alu instid0(VALU_DEP_4)
	v_add_co_u32 v25, vcc_lo, s7, v17
	v_add_co_ci_u32_e32 v26, vcc_lo, s19, v18, vcc_lo
	s_clause 0x3
	global_load_b32 v19, v[19:20], off
	global_load_b32 v20, v[21:22], off
	;; [unrolled: 1-line block ×4, first 2 shown]
	s_add_u32 s7, s8, s20
	s_addc_u32 s8, s9, s21
	s_add_u32 s7, s7, s10
	s_addc_u32 s8, s8, s11
	v_add_co_u32 v1, vcc_lo, s7, v1
	v_add_co_ci_u32_e32 v2, vcc_lo, s8, v2, vcc_lo
	v_add_co_u32 v3, vcc_lo, s7, v3
	v_add_co_ci_u32_e32 v4, vcc_lo, s8, v4, vcc_lo
	v_add_co_u32 v5, vcc_lo, s7, v5
	v_add_co_ci_u32_e32 v6, vcc_lo, s8, v6, vcc_lo
	v_add_co_u32 v7, vcc_lo, s7, v7
	v_add_co_ci_u32_e32 v8, vcc_lo, s8, v8, vcc_lo
	v_add_co_u32 v9, vcc_lo, s7, v9
	v_add_co_ci_u32_e32 v10, vcc_lo, s8, v10, vcc_lo
	v_add_co_u32 v11, vcc_lo, s7, v11
	v_add_co_ci_u32_e32 v12, vcc_lo, s8, v12, vcc_lo
	s_clause 0x5
	global_load_b32 v23, v[1:2], off
	global_load_b32 v3, v[3:4], off
	;; [unrolled: 1-line block ×6, first 2 shown]
	v_add_co_u32 v1, vcc_lo, s7, v13
	v_add_co_ci_u32_e32 v2, vcc_lo, s8, v14, vcc_lo
	v_mbcnt_lo_u32_b32 v9, -1, 0
	global_load_b32 v8, v[1:2], off
	v_add_co_u32 v1, vcc_lo, s7, v15
	v_add_co_ci_u32_e32 v2, vcc_lo, s8, v16, vcc_lo
	v_xor_b32_e32 v11, 16, v9
	v_xor_b32_e32 v13, 8, v9
	;; [unrolled: 1-line block ×3, first 2 shown]
	global_load_b32 v12, v[1:2], off
	v_add_co_u32 v1, vcc_lo, s7, v17
	v_add_co_ci_u32_e32 v2, vcc_lo, s8, v18, vcc_lo
	v_cmp_gt_i32_e32 vcc_lo, 32, v11
	v_xor_b32_e32 v15, 2, v9
	v_xor_b32_e32 v16, 1, v9
	global_load_b32 v1, v[1:2], off
	s_mov_b32 s7, exec_lo
	v_cndmask_b32_e32 v11, v9, v11, vcc_lo
	v_cmp_gt_i32_e32 vcc_lo, 32, v13
	s_delay_alu instid0(VALU_DEP_2) | instskip(SKIP_1) | instid1(VALU_DEP_2)
	v_dual_cndmask_b32 v13, v9, v13 :: v_dual_lshlrev_b32 v2, 2, v11
	v_cmp_gt_i32_e32 vcc_lo, 32, v14
	v_dual_cndmask_b32 v14, v9, v14 :: v_dual_lshlrev_b32 v13, 2, v13
	v_cmp_gt_i32_e32 vcc_lo, 32, v15
	s_delay_alu instid0(VALU_DEP_2) | instskip(SKIP_1) | instid1(VALU_DEP_2)
	v_dual_cndmask_b32 v15, v9, v15 :: v_dual_lshlrev_b32 v14, 2, v14
	v_cmp_gt_i32_e32 vcc_lo, 32, v16
	v_lshlrev_b32_e32 v15, 2, v15
	v_cndmask_b32_e32 v9, v9, v16, vcc_lo
	s_delay_alu instid0(VALU_DEP_1) | instskip(SKIP_3) | instid1(VALU_DEP_1)
	v_lshlrev_b32_e32 v9, 2, v9
	s_waitcnt vmcnt(15)
	v_max3_f32 v10, v28, v29, v30
	s_waitcnt vmcnt(13)
	v_max3_f32 v10, v10, v31, v27
	s_waitcnt vmcnt(11)
	s_delay_alu instid0(VALU_DEP_1) | instskip(SKIP_1) | instid1(VALU_DEP_1)
	v_max3_f32 v10, v10, v19, v20
	s_waitcnt vmcnt(9)
	v_max3_f32 v10, v10, v21, v22
	ds_bpermute_b32 v11, v2, v10
	s_waitcnt lgkmcnt(0)
	v_max_f32_e32 v11, v11, v11
	s_delay_alu instid0(VALU_DEP_1) | instskip(SKIP_3) | instid1(VALU_DEP_1)
	v_max_f32_e32 v10, v10, v11
	ds_bpermute_b32 v11, v13, v10
	s_waitcnt lgkmcnt(0)
	v_max_f32_e32 v11, v11, v11
	v_max_f32_e32 v10, v10, v11
	ds_bpermute_b32 v11, v14, v10
	s_waitcnt lgkmcnt(0)
	v_max_f32_e32 v11, v11, v11
	s_delay_alu instid0(VALU_DEP_1) | instskip(SKIP_3) | instid1(VALU_DEP_1)
	v_max_f32_e32 v10, v10, v11
	ds_bpermute_b32 v11, v15, v10
	s_waitcnt lgkmcnt(0)
	v_max_f32_e32 v11, v11, v11
	v_max_f32_e32 v10, v10, v11
	ds_bpermute_b32 v11, v9, v10
	s_waitcnt lgkmcnt(0)
	v_max_f32_e32 v11, v11, v11
	s_delay_alu instid0(VALU_DEP_1) | instskip(SKIP_1) | instid1(VALU_DEP_2)
	v_max_f32_e32 v10, v10, v11
	v_sub_nc_u32_e32 v11, s40, v0
	v_sub_f32_e32 v24, v31, v10
	v_sub_f32_e32 v16, v28, v10
	;; [unrolled: 1-line block ×5, first 2 shown]
	v_mul_f32_e32 v28, 0x3fb8aa3b, v24
	v_cmp_ngt_f32_e32 vcc_lo, 0xc2ce8ed0, v16
	v_mul_f32_e32 v26, 0x3fb8aa3b, v17
	s_delay_alu instid0(VALU_DEP_3)
	v_fma_f32 v40, 0x3fb8aa3b, v24, -v28
	v_sub_f32_e32 v25, v27, v10
	v_rndne_f32_e32 v41, v28
	v_sub_f32_e32 v19, v19, v10
	v_fma_f32 v36, 0x3fb8aa3b, v17, -v26
	v_fmac_f32_e32 v40, 0x32a5705f, v24
	v_mul_f32_e32 v29, 0x3fb8aa3b, v25
	v_sub_f32_e32 v28, v28, v41
	v_mul_f32_e32 v30, 0x3fb8aa3b, v19
	v_rndne_f32_e32 v37, v26
	v_cvt_i32_f32_e32 v41, v41
	v_fma_f32 v42, 0x3fb8aa3b, v25, -v29
	v_sub_f32_e32 v21, v21, v10
	v_sub_f32_e32 v10, v22, v10
	v_mul_f32_e32 v22, 0x3fb8aa3b, v16
	v_rndne_f32_e32 v45, v30
	v_fmac_f32_e32 v42, 0x32a5705f, v25
	v_dual_mul_f32 v27, 0x3fb8aa3b, v18 :: v_dual_mul_f32 v32, 0x3fb8aa3b, v21
	s_delay_alu instid0(VALU_DEP_4)
	v_fma_f32 v34, 0x3fb8aa3b, v16, -v22
	v_rndne_f32_e32 v35, v22
	v_fma_f32 v44, 0x3fb8aa3b, v19, -v30
	v_sub_f32_e32 v30, v30, v45
	v_fma_f32 v38, 0x3fb8aa3b, v18, -v27
	v_rndne_f32_e32 v39, v27
	v_fmac_f32_e32 v34, 0x32a5705f, v16
	v_sub_f32_e32 v22, v22, v35
	v_rndne_f32_e32 v49, v32
	v_dual_mul_f32 v31, 0x3fb8aa3b, v20 :: v_dual_sub_f32 v26, v26, v37
	v_fmac_f32_e32 v36, 0x32a5705f, v17
	v_dual_fmac_f32 v38, 0x32a5705f, v18 :: v_dual_sub_f32 v27, v27, v39
	v_add_f32_e32 v22, v22, v34
	v_rndne_f32_e32 v43, v29
	s_delay_alu instid0(VALU_DEP_4)
	v_dual_mul_f32 v33, 0x3fb8aa3b, v10 :: v_dual_add_f32 v26, v26, v36
	v_fma_f32 v48, 0x3fb8aa3b, v21, -v32
	v_dual_fmac_f32 v44, 0x32a5705f, v19 :: v_dual_add_f32 v27, v27, v38
	v_sub_f32_e32 v32, v32, v49
	v_fma_f32 v46, 0x3fb8aa3b, v20, -v31
	v_sub_f32_e32 v29, v29, v43
	v_exp_f32_e32 v22, v22
	v_rndne_f32_e32 v47, v31
	v_cvt_i32_f32_e32 v35, v35
	v_fmac_f32_e32 v46, 0x32a5705f, v20
	v_dual_add_f32 v28, v28, v40 :: v_dual_add_f32 v29, v29, v42
	v_exp_f32_e32 v26, v26
	v_exp_f32_e32 v27, v27
	v_cvt_i32_f32_e32 v37, v37
	v_cvt_i32_f32_e32 v39, v39
	v_dual_sub_f32 v31, v31, v47 :: v_dual_fmac_f32 v48, 0x32a5705f, v21
	v_exp_f32_e32 v29, v29
	v_ldexp_f32 v22, v22, v35
	v_cvt_i32_f32_e32 v43, v43
	s_delay_alu instid0(VALU_DEP_3)
	v_dual_add_f32 v30, v30, v44 :: v_dual_add_f32 v31, v31, v46
	v_exp_f32_e32 v28, v28
	v_ldexp_f32 v26, v26, v37
	v_ldexp_f32 v27, v27, v39
	v_cndmask_b32_e32 v22, 0, v22, vcc_lo
	v_cmp_ngt_f32_e32 vcc_lo, 0xc2ce8ed0, v17
	v_exp_f32_e32 v31, v31
	v_ldexp_f32 v29, v29, v43
	v_exp_f32_e32 v30, v30
	v_cvt_i32_f32_e32 v34, v47
	v_cndmask_b32_e32 v26, 0, v26, vcc_lo
	v_cmp_ngt_f32_e32 vcc_lo, 0xc2ce8ed0, v18
	v_ldexp_f32 v28, v28, v41
	v_cvt_i32_f32_e32 v45, v45
	v_fma_f32 v50, 0x3fb8aa3b, v10, -v33
	v_rndne_f32_e32 v51, v33
	v_cndmask_b32_e32 v27, 0, v27, vcc_lo
	v_cmp_ngt_f32_e32 vcc_lo, 0xc2ce8ed0, v24
	v_ldexp_f32 v31, v31, v34
	v_ldexp_f32 v30, v30, v45
	v_dual_fmac_f32 v50, 0x32a5705f, v10 :: v_dual_sub_f32 v33, v33, v51
	v_cndmask_b32_e32 v28, 0, v28, vcc_lo
	v_cmp_ngt_f32_e32 vcc_lo, 0xc2ce8ed0, v25
	s_delay_alu instid0(VALU_DEP_3) | instskip(SKIP_2) | instid1(VALU_DEP_3)
	v_dual_add_f32 v32, v32, v48 :: v_dual_add_f32 v33, v33, v50
	v_cndmask_b32_e32 v29, 0, v29, vcc_lo
	v_cmp_ngt_f32_e32 vcc_lo, 0xc2ce8ed0, v19
	v_exp_f32_e32 v32, v32
	v_cndmask_b32_e32 v30, 0, v30, vcc_lo
	v_cmp_ngt_f32_e32 vcc_lo, 0xc2ce8ed0, v20
	v_cndmask_b32_e32 v31, 0, v31, vcc_lo
	v_cmp_nlt_f32_e32 vcc_lo, 0x42b17218, v16
	v_cndmask_b32_e32 v16, 0x7f800000, v22, vcc_lo
	v_cmp_nlt_f32_e32 vcc_lo, 0x42b17218, v17
	;; [unrolled: 2-line block ×6, first 2 shown]
	v_cndmask_b32_e32 v19, 0x7f800000, v30, vcc_lo
	v_cmp_lt_i32_e32 vcc_lo, 0, v11
	v_cndmask_b32_e32 v16, 0, v16, vcc_lo
	v_cmp_lt_i32_e32 vcc_lo, 32, v11
	s_waitcnt vmcnt(8)
	s_delay_alu instid0(VALU_DEP_2) | instskip(SKIP_2) | instid1(VALU_DEP_2)
	v_dual_mul_f32 v16, v23, v16 :: v_dual_cndmask_b32 v17, 0, v17
	v_cmp_lt_i32_e32 vcc_lo, 64, v11
	s_waitcnt vmcnt(7)
	v_mul_f32_e32 v3, v3, v17
	v_cvt_i32_f32_e32 v17, v49
	s_delay_alu instid0(VALU_DEP_1) | instskip(SKIP_3) | instid1(VALU_DEP_2)
	v_ldexp_f32 v17, v32, v17
	v_cndmask_b32_e32 v18, 0, v18, vcc_lo
	v_cmp_lt_i32_e32 vcc_lo, 0x60, v11
	s_waitcnt vmcnt(6)
	v_mul_f32_e32 v4, v4, v18
	v_cndmask_b32_e32 v22, 0, v22, vcc_lo
	v_cmp_lt_i32_e32 vcc_lo, 0x80, v11
	s_waitcnt vmcnt(5)
	s_delay_alu instid0(VALU_DEP_2) | instskip(SKIP_3) | instid1(VALU_DEP_3)
	v_dual_mul_f32 v5, v5, v22 :: v_dual_cndmask_b32 v24, 0, v24
	v_cmp_lt_i32_e32 vcc_lo, 0xa0, v11
	v_cvt_i32_f32_e32 v22, v51
	s_waitcnt vmcnt(4)
	v_dual_mul_f32 v6, v6, v24 :: v_dual_cndmask_b32 v19, 0, v19
	v_cmp_nlt_f32_e32 vcc_lo, 0x42b17218, v20
	s_waitcnt vmcnt(3)
	s_delay_alu instid0(VALU_DEP_2) | instskip(SKIP_3) | instid1(VALU_DEP_2)
	v_mul_f32_e32 v7, v7, v19
	v_cndmask_b32_e32 v18, 0x7f800000, v31, vcc_lo
	v_cmp_lt_i32_e32 vcc_lo, 0xc0, v11
	v_exp_f32_e32 v19, v33
	v_cndmask_b32_e32 v18, 0, v18, vcc_lo
	v_cmp_ngt_f32_e32 vcc_lo, 0xc2ce8ed0, v21
	s_waitcnt vmcnt(2)
	s_delay_alu instid0(VALU_DEP_2)
	v_dual_mul_f32 v8, v8, v18 :: v_dual_cndmask_b32 v17, 0, v17
	v_cmp_nlt_f32_e32 vcc_lo, 0x42b17218, v21
	s_waitcnt_depctr 0xfff
	v_ldexp_f32 v18, v19, v22
	v_dual_add_f32 v20, v16, v3 :: v_dual_cndmask_b32 v17, 0x7f800000, v17
	v_cmp_ngt_f32_e32 vcc_lo, 0xc2ce8ed0, v10
	s_delay_alu instid0(VALU_DEP_3) | instskip(SKIP_1) | instid1(VALU_DEP_4)
	v_cndmask_b32_e32 v18, 0, v18, vcc_lo
	v_cmp_lt_i32_e32 vcc_lo, 0xe0, v11
	v_cndmask_b32_e32 v17, 0, v17, vcc_lo
	v_cmp_nlt_f32_e32 vcc_lo, 0x42b17218, v10
	s_waitcnt vmcnt(1)
	s_delay_alu instid0(VALU_DEP_2) | instskip(SKIP_2) | instid1(VALU_DEP_2)
	v_mul_f32_e32 v12, v12, v17
	v_cndmask_b32_e32 v10, 0x7f800000, v18, vcc_lo
	v_cmp_lt_i32_e32 vcc_lo, 0x100, v11
	v_cndmask_b32_e32 v10, 0, v10, vcc_lo
	s_waitcnt vmcnt(0)
	s_delay_alu instid0(VALU_DEP_1) | instskip(SKIP_1) | instid1(VALU_DEP_1)
	v_mul_f32_e32 v10, v1, v10
	v_add_f32_e32 v20, v20, v4
	v_add_f32_e32 v19, v20, v5
	s_delay_alu instid0(VALU_DEP_1) | instskip(NEXT) | instid1(VALU_DEP_1)
	v_add_f32_e32 v19, v19, v6
	v_add_f32_e32 v18, v19, v7
	s_delay_alu instid0(VALU_DEP_1) | instskip(NEXT) | instid1(VALU_DEP_1)
	v_add_f32_e32 v11, v18, v8
	v_add_f32_e32 v1, v11, v12
	s_delay_alu instid0(VALU_DEP_1)
	v_add_f32_e32 v1, v1, v10
	ds_bpermute_b32 v2, v2, v1
	s_waitcnt lgkmcnt(0)
	v_add_f32_e32 v1, v1, v2
	ds_bpermute_b32 v2, v13, v1
	s_waitcnt lgkmcnt(0)
	;; [unrolled: 3-line block ×4, first 2 shown]
	v_add_f32_e32 v1, v1, v2
	ds_bpermute_b32 v2, v9, v1
	v_lshlrev_b32_e32 v9, 2, v0
	ds_store_2addr_b32 v9, v16, v3 offset1:32
	ds_store_2addr_b32 v9, v4, v5 offset0:64 offset1:96
	ds_store_2addr_b32 v9, v6, v7 offset0:128 offset1:160
	;; [unrolled: 1-line block ×3, first 2 shown]
	ds_store_b32 v9, v10 offset:1024
	v_cmpx_eq_u32_e32 0, v0
	s_cbranch_execz .LBB86_8
; %bb.7:
	s_waitcnt lgkmcnt(5)
	v_dual_add_f32 v1, v1, v2 :: v_dual_mov_b32 v2, 0
	ds_store_b32 v2, v1 offset:1152
.LBB86_8:
	s_or_b32 exec_lo, exec_lo, s7
	v_mov_b32_e32 v1, s6
.LBB86_9:
	s_or_b32 exec_lo, exec_lo, s24
	s_lshl_b32 s6, s18, 6
	s_mov_b32 s7, 0
	s_waitcnt lgkmcnt(5)
	v_dual_mov_b32 v2, 0 :: v_dual_lshlrev_b32 v1, 6, v1
	s_lshl_b64 s[6:7], s[6:7], 1
	v_lshlrev_b32_e32 v0, 1, v0
	s_add_u32 s34, s4, s6
	s_addc_u32 s35, s5, s7
	s_lshl_b32 s41, s40, 6
	v_lshlrev_b64 v[3:4], 1, v[1:2]
	s_sub_i32 s42, s41, 64
	s_cmpk_lt_i32 s22, 0x100
	v_dual_mov_b32 v30, 0 :: v_dual_mov_b32 v33, 0
	s_cselect_b32 s4, s42, 0
	s_delay_alu instid0(VALU_DEP_2)
	v_add_co_u32 v1, vcc_lo, s34, v3
	s_ashr_i32 s5, s4, 31
	v_add_co_ci_u32_e32 v3, vcc_lo, s35, v4, vcc_lo
	s_lshl_b64 s[4:5], s[4:5], 1
	s_cmpk_lt_i32 s22, 0x200
	v_add_co_u32 v1, vcc_lo, v1, v0
	s_cselect_b32 s6, s42, 64
	v_add_co_ci_u32_e32 v3, vcc_lo, 0, v3, vcc_lo
	s_ashr_i32 s7, s6, 31
	s_delay_alu instid0(VALU_DEP_2)
	v_add_co_u32 v4, vcc_lo, v1, s4
	s_lshl_b64 s[6:7], s[6:7], 1
	s_cmpk_lt_i32 s22, 0x300
	v_add_co_ci_u32_e32 v5, vcc_lo, s5, v3, vcc_lo
	s_cselect_b32 s8, s42, 0x80
	v_add_co_u32 v8, vcc_lo, v1, s6
	s_ashr_i32 s9, s8, 31
	v_add_co_ci_u32_e32 v9, vcc_lo, s7, v3, vcc_lo
	s_lshl_b64 s[8:9], s[8:9], 1
	s_cmpk_lt_i32 s22, 0x400
	v_add_co_u32 v10, vcc_lo, v1, s8
	s_cselect_b32 s10, s42, 0xc0
	v_add_co_ci_u32_e32 v11, vcc_lo, s9, v3, vcc_lo
	s_ashr_i32 s11, s10, 31
	v_dual_mov_b32 v32, 0 :: v_dual_mov_b32 v35, 0
	s_lshl_b64 s[10:11], s[10:11], 1
	s_cmpk_lt_i32 s22, 0x500
	v_add_co_u32 v12, vcc_lo, v1, s10
	s_cselect_b32 s18, s42, 0x100
	v_add_co_ci_u32_e32 v13, vcc_lo, s11, v3, vcc_lo
	s_ashr_i32 s19, s18, 31
	v_mov_b32_e32 v34, 0
	s_lshl_b64 s[18:19], s[18:19], 1
	s_cmpk_lt_i32 s22, 0x600
	v_add_co_u32 v14, vcc_lo, v1, s18
	s_cselect_b32 s20, s42, 0x140
	v_add_co_ci_u32_e32 v15, vcc_lo, s19, v3, vcc_lo
	s_ashr_i32 s21, s20, 31
	v_mov_b32_e32 v29, 0
	;; [unrolled: 7-line block ×3, first 2 shown]
	s_lshl_b64 s[24:25], s[24:25], 1
	s_cmpk_lt_i32 s22, 0x800
	v_add_co_u32 v18, vcc_lo, v1, s24
	s_cselect_b32 s26, s42, 0x1c0
	v_add_co_ci_u32_e32 v19, vcc_lo, s25, v3, vcc_lo
	s_ashr_i32 s27, s26, 31
	s_delay_alu instid0(SALU_CYCLE_1)
	s_lshl_b64 s[26:27], s[26:27], 1
	s_cmpk_lt_i32 s22, 0x900
	v_add_co_u32 v20, vcc_lo, v1, s26
	s_cselect_b32 s28, s42, 0x200
	v_add_co_ci_u32_e32 v21, vcc_lo, s27, v3, vcc_lo
	s_ashr_i32 s29, s28, 31
	s_clause 0x7
	global_load_u16 v7, v[4:5], off
	global_load_u16 v8, v[8:9], off
	;; [unrolled: 1-line block ×8, first 2 shown]
	s_lshl_b64 s[28:29], s[28:29], 1
	s_cmpk_lt_i32 s22, 0xa00
	v_add_co_u32 v12, vcc_lo, v1, s28
	s_cselect_b32 s30, s42, 0x240
	v_add_co_ci_u32_e32 v13, vcc_lo, s29, v3, vcc_lo
	s_ashr_i32 s31, s30, 31
	s_delay_alu instid0(SALU_CYCLE_1)
	s_lshl_b64 s[30:31], s[30:31], 1
	s_cmpk_lt_i32 s22, 0xb00
	v_add_co_u32 v15, vcc_lo, v1, s30
	s_cselect_b32 s34, s42, 0x280
	v_add_co_ci_u32_e32 v16, vcc_lo, s31, v3, vcc_lo
	s_ashr_i32 s35, s34, 31
	s_delay_alu instid0(SALU_CYCLE_1)
	s_lshl_b64 s[4:5], s[34:35], 1
	s_cmpk_lt_i32 s22, 0xc00
	v_add_co_u32 v17, vcc_lo, v1, s4
	s_cselect_b32 s6, s42, 0x2c0
	v_add_co_ci_u32_e32 v18, vcc_lo, s5, v3, vcc_lo
	s_ashr_i32 s7, s6, 31
	s_delay_alu instid0(SALU_CYCLE_1)
	s_lshl_b64 s[6:7], s[6:7], 1
	s_cmpk_lt_i32 s22, 0xd00
	v_add_co_u32 v19, vcc_lo, v1, s6
	s_cselect_b32 s8, s42, 0x300
	v_add_co_ci_u32_e32 v20, vcc_lo, s7, v3, vcc_lo
	s_ashr_i32 s9, s8, 31
	s_delay_alu instid0(SALU_CYCLE_1)
	s_lshl_b64 s[8:9], s[8:9], 1
	s_cmpk_lt_i32 s22, 0xe00
	v_add_co_u32 v21, vcc_lo, v1, s8
	s_cselect_b32 s10, s42, 0x340
	v_add_co_ci_u32_e32 v22, vcc_lo, s9, v3, vcc_lo
	s_ashr_i32 s11, s10, 31
	s_delay_alu instid0(SALU_CYCLE_1)
	s_lshl_b64 s[10:11], s[10:11], 1
	s_cmpk_lt_i32 s22, 0xf00
	v_add_co_u32 v23, vcc_lo, v1, s10
	s_cselect_b32 s18, s42, 0x380
	v_add_co_ci_u32_e32 v24, vcc_lo, s11, v3, vcc_lo
	s_ashr_i32 s19, s18, 31
	s_delay_alu instid0(SALU_CYCLE_1)
	s_lshl_b64 s[4:5], s[18:19], 1
	s_cmpk_lt_i32 s22, 0x1000
	v_add_co_u32 v25, vcc_lo, v1, s4
	s_cselect_b32 s6, s42, 0x3c0
	v_add_co_ci_u32_e32 v26, vcc_lo, s5, v3, vcc_lo
	s_ashr_i32 s7, s6, 31
	s_delay_alu instid0(SALU_CYCLE_1)
	s_lshl_b64 s[4:5], s[6:7], 1
	s_cmpk_gt_i32 s23, 0x1000
	v_add_co_u32 v27, vcc_lo, v1, s4
	v_add_co_ci_u32_e32 v28, vcc_lo, s5, v3, vcc_lo
	s_clause 0x7
	global_load_u16 v14, v[12:13], off
	global_load_u16 v15, v[15:16], off
	;; [unrolled: 1-line block ×8, first 2 shown]
	v_dual_mov_b32 v20, 0 :: v_dual_mov_b32 v23, 0
	v_dual_mov_b32 v21, 0 :: v_dual_mov_b32 v22, 0
	;; [unrolled: 1-line block ×4, first 2 shown]
	v_mov_b32_e32 v28, 0
	s_cselect_b32 s8, -1, 0
	s_cmpk_lt_i32 s23, 0x1001
	s_waitcnt vmcnt(0) lgkmcnt(0)
	s_barrier
	buffer_gl0_inv
	s_cbranch_scc1 .LBB86_11
; %bb.10:
	s_cmpk_lt_i32 s22, 0x1100
	s_cselect_b32 s4, s42, 0x400
	s_delay_alu instid0(SALU_CYCLE_1) | instskip(NEXT) | instid1(SALU_CYCLE_1)
	s_ashr_i32 s5, s4, 31
	s_lshl_b64 s[4:5], s[4:5], 1
	s_cmpk_lt_i32 s22, 0x1200
	v_add_co_u32 v20, vcc_lo, v1, s4
	s_cselect_b32 s6, s42, 0x440
	v_add_co_ci_u32_e32 v21, vcc_lo, s5, v3, vcc_lo
	s_ashr_i32 s7, s6, 31
	s_delay_alu instid0(SALU_CYCLE_1)
	s_lshl_b64 s[6:7], s[6:7], 1
	s_cmpk_lt_i32 s22, 0x1300
	v_add_co_u32 v22, vcc_lo, v1, s6
	s_cselect_b32 s10, s42, 0x480
	v_add_co_ci_u32_e32 v23, vcc_lo, s7, v3, vcc_lo
	s_ashr_i32 s11, s10, 31
	s_delay_alu instid0(SALU_CYCLE_1)
	;; [unrolled: 7-line block ×7, first 2 shown]
	s_lshl_b64 s[28:29], s[28:29], 1
	s_cmpk_lt_i32 s22, 0x1900
	v_add_co_u32 v34, vcc_lo, v1, s28
	s_cselect_b32 s30, s42, 0x600
	v_add_co_ci_u32_e32 v35, vcc_lo, s29, v3, vcc_lo
	s_ashr_i32 s31, s30, 31
	s_clause 0x7
	global_load_u16 v36, v[20:21], off
	global_load_u16 v37, v[22:23], off
	;; [unrolled: 1-line block ×8, first 2 shown]
	s_lshl_b64 s[30:31], s[30:31], 1
	s_cmpk_lt_i32 s22, 0x1a00
	v_add_co_u32 v20, vcc_lo, v1, s30
	s_cselect_b32 s34, s42, 0x640
	v_add_co_ci_u32_e32 v21, vcc_lo, s31, v3, vcc_lo
	s_ashr_i32 s35, s34, 31
	s_delay_alu instid0(SALU_CYCLE_1)
	s_lshl_b64 s[34:35], s[34:35], 1
	s_cmpk_lt_i32 s22, 0x1b00
	v_add_co_u32 v22, vcc_lo, v1, s34
	s_cselect_b32 s36, s42, 0x680
	v_add_co_ci_u32_e32 v23, vcc_lo, s35, v3, vcc_lo
	s_ashr_i32 s37, s36, 31
	s_delay_alu instid0(SALU_CYCLE_1)
	;; [unrolled: 7-line block ×6, first 2 shown]
	s_lshl_b64 s[4:5], s[20:21], 1
	s_cmpk_lt_i32 s22, 0x2000
	v_add_co_u32 v32, vcc_lo, v1, s4
	s_cselect_b32 s6, s42, 0x7c0
	v_add_co_ci_u32_e32 v33, vcc_lo, s5, v3, vcc_lo
	s_ashr_i32 s7, s6, 31
	s_delay_alu instid0(SALU_CYCLE_1) | instskip(NEXT) | instid1(SALU_CYCLE_1)
	s_lshl_b64 s[4:5], s[6:7], 1
	v_add_co_u32 v34, vcc_lo, v1, s4
	v_add_co_ci_u32_e32 v35, vcc_lo, s5, v3, vcc_lo
	s_clause 0x7
	global_load_u16 v20, v[20:21], off
	global_load_u16 v21, v[22:23], off
	;; [unrolled: 1-line block ×8, first 2 shown]
	s_waitcnt vmcnt(15)
	v_cvt_f32_f16_e32 v35, v36
	s_waitcnt vmcnt(14)
	v_cvt_f32_f16_e32 v34, v37
	;; [unrolled: 2-line block ×16, first 2 shown]
.LBB86_11:
	ds_load_b128 v[36:39], v2
	ds_load_b128 v[40:43], v2 offset:16
	s_load_b64 s[0:1], s[0:1], 0x0
	s_and_b32 vcc_lo, exec_lo, s8
	s_waitcnt lgkmcnt(0)
	v_fma_mix_f32 v7, v36, v7, 0 op_sel_hi:[0,1,0]
	s_delay_alu instid0(VALU_DEP_1) | instskip(NEXT) | instid1(VALU_DEP_1)
	v_fma_mix_f32 v7, v37, v8, v7 op_sel_hi:[0,1,0]
	v_fma_mix_f32 v7, v38, v9, v7 op_sel_hi:[0,1,0]
	s_delay_alu instid0(VALU_DEP_1) | instskip(SKIP_4) | instid1(VALU_DEP_1)
	v_fma_mix_f32 v7, v39, v10, v7 op_sel_hi:[0,1,0]
	ds_load_b128 v[36:39], v2 offset:48
	v_fma_mix_f32 v11, v40, v11, v7 op_sel_hi:[0,1,0]
	ds_load_b128 v[7:10], v2 offset:32
	v_fma_mix_f32 v4, v41, v4, v11 op_sel_hi:[0,1,0]
	v_fma_mix_f32 v4, v42, v5, v4 op_sel_hi:[0,1,0]
	s_delay_alu instid0(VALU_DEP_1) | instskip(SKIP_1) | instid1(VALU_DEP_1)
	v_fma_mix_f32 v4, v43, v6, v4 op_sel_hi:[0,1,0]
	s_waitcnt lgkmcnt(0)
	v_fma_mix_f32 v4, v7, v14, v4 op_sel_hi:[0,1,0]
	s_delay_alu instid0(VALU_DEP_1) | instskip(NEXT) | instid1(VALU_DEP_1)
	v_fma_mix_f32 v4, v8, v15, v4 op_sel_hi:[0,1,0]
	v_fma_mix_f32 v4, v9, v16, v4 op_sel_hi:[0,1,0]
	s_delay_alu instid0(VALU_DEP_1) | instskip(NEXT) | instid1(VALU_DEP_1)
	v_fma_mix_f32 v4, v10, v17, v4 op_sel_hi:[0,1,0]
	;; [unrolled: 3-line block ×3, first 2 shown]
	v_fma_mix_f32 v4, v38, v13, v4 op_sel_hi:[0,1,0]
	s_delay_alu instid0(VALU_DEP_1)
	v_fma_mix_f32 v4, v39, v19, v4 op_sel_hi:[0,1,0]
	s_cbranch_vccz .LBB86_13
; %bb.12:
	ds_load_b128 v[5:8], v2 offset:64
	ds_load_b128 v[9:12], v2 offset:80
	s_waitcnt lgkmcnt(1)
	v_fmac_f32_e32 v4, v5, v35
	s_delay_alu instid0(VALU_DEP_1) | instskip(NEXT) | instid1(VALU_DEP_1)
	v_fmac_f32_e32 v4, v6, v34
	v_fmac_f32_e32 v4, v7, v33
	s_delay_alu instid0(VALU_DEP_1) | instskip(SKIP_3) | instid1(VALU_DEP_1)
	v_fmac_f32_e32 v4, v8, v32
	ds_load_b128 v[5:8], v2 offset:96
	s_waitcnt lgkmcnt(1)
	v_fmac_f32_e32 v4, v9, v31
	v_fmac_f32_e32 v4, v10, v30
	s_delay_alu instid0(VALU_DEP_1) | instskip(NEXT) | instid1(VALU_DEP_1)
	v_fmac_f32_e32 v4, v11, v29
	v_fmac_f32_e32 v4, v12, v28
	ds_load_b128 v[9:12], v2 offset:112
	s_waitcnt lgkmcnt(1)
	v_fmac_f32_e32 v4, v5, v27
	s_delay_alu instid0(VALU_DEP_1) | instskip(NEXT) | instid1(VALU_DEP_1)
	v_fmac_f32_e32 v4, v6, v26
	v_fmac_f32_e32 v4, v7, v25
	s_delay_alu instid0(VALU_DEP_1) | instskip(SKIP_1) | instid1(VALU_DEP_1)
	v_fmac_f32_e32 v4, v8, v24
	s_waitcnt lgkmcnt(0)
	v_fmac_f32_e32 v4, v9, v23
	s_delay_alu instid0(VALU_DEP_1) | instskip(NEXT) | instid1(VALU_DEP_1)
	v_fmac_f32_e32 v4, v10, v22
	v_fmac_f32_e32 v4, v11, v21
	s_delay_alu instid0(VALU_DEP_1)
	v_fmac_f32_e32 v4, v12, v20
.LBB86_13:
	s_movk_i32 s43, 0xfc0
	s_movk_i32 s44, 0x80
	s_mov_b32 s45, 32
	s_branch .LBB86_15
.LBB86_14:                              ;   in Loop: Header=BB86_15 Depth=1
	s_addk_i32 s43, 0x800
	s_addk_i32 s44, 0x80
	s_add_i32 s45, s45, 32
	s_cmpk_eq_i32 s43, 0x4fc0
	s_cbranch_scc1 .LBB86_17
.LBB86_15:                              ; =>This Inner Loop Header: Depth=1
	s_cmp_le_i32 s40, s45
	s_cbranch_scc1 .LBB86_14
; %bb.16:                               ;   in Loop: Header=BB86_15 Depth=1
	s_add_i32 s4, s43, 0xfffff840
	v_mov_b32_e32 v44, s44
	s_cmp_lt_i32 s4, s41
	s_cselect_b32 s4, s4, s42
	s_add_i32 s6, s43, 0xfffff880
	s_ashr_i32 s5, s4, 31
	s_delay_alu instid0(SALU_CYCLE_1)
	s_lshl_b64 s[4:5], s[4:5], 1
	s_cmp_lt_i32 s6, s41
	v_add_co_u32 v5, vcc_lo, v1, s4
	s_cselect_b32 s6, s6, s42
	s_add_i32 s10, s43, 0xfffff8c0
	s_ashr_i32 s7, s6, 31
	v_add_co_ci_u32_e32 v6, vcc_lo, s5, v3, vcc_lo
	s_lshl_b64 s[8:9], s[6:7], 1
	s_cmp_lt_i32 s10, s41
	v_add_co_u32 v7, vcc_lo, v1, s8
	s_cselect_b32 s6, s10, s42
	s_add_i32 s10, s43, 0xfffff900
	s_ashr_i32 s7, s6, 31
	v_add_co_ci_u32_e32 v8, vcc_lo, s9, v3, vcc_lo
	;; [unrolled: 7-line block ×8, first 2 shown]
	s_lshl_b64 s[24:25], s[20:21], 1
	s_cmp_lt_i32 s28, s41
	s_clause 0x7
	global_load_u16 v2, v[5:6], off
	global_load_u16 v21, v[7:8], off
	;; [unrolled: 1-line block ×8, first 2 shown]
	s_cselect_b32 s20, s28, s42
	s_add_i32 s28, s43, 0xfffffac0
	s_ashr_i32 s21, s20, 31
	v_add_co_u32 v5, vcc_lo, v1, s24
	s_lshl_b64 s[20:21], s[20:21], 1
	s_cmp_lt_i32 s28, s41
	v_add_co_ci_u32_e32 v6, vcc_lo, s25, v3, vcc_lo
	s_cselect_b32 s28, s28, s42
	s_add_i32 s36, s43, 0xfffffb00
	s_ashr_i32 s29, s28, 31
	v_add_co_u32 v7, vcc_lo, v1, s20
	s_lshl_b64 s[30:31], s[28:29], 1
	s_cmp_lt_i32 s36, s41
	v_add_co_ci_u32_e32 v8, vcc_lo, s21, v3, vcc_lo
	;; [unrolled: 7-line block ×8, first 2 shown]
	s_cselect_b32 s10, s10, s42
	s_add_i32 s18, s43, 0xfffffcc0
	s_ashr_i32 s11, s10, 31
	s_clause 0x7
	global_load_u16 v28, v[5:6], off
	global_load_u16 v29, v[7:8], off
	;; [unrolled: 1-line block ×8, first 2 shown]
	s_lshl_b64 s[10:11], s[10:11], 1
	s_cmp_lt_i32 s18, s41
	v_add_co_u32 v5, vcc_lo, v1, s4
	s_cselect_b32 s18, s18, s42
	s_add_i32 s22, s43, 0xfffffd00
	s_ashr_i32 s19, s18, 31
	v_add_co_ci_u32_e32 v6, vcc_lo, s5, v3, vcc_lo
	s_lshl_b64 s[18:19], s[18:19], 1
	s_cmp_lt_i32 s22, s41
	v_add_co_u32 v7, vcc_lo, v1, s10
	s_cselect_b32 s20, s22, s42
	s_add_i32 s22, s43, 0xfffffd40
	s_ashr_i32 s21, s20, 31
	v_add_co_ci_u32_e32 v8, vcc_lo, s11, v3, vcc_lo
	;; [unrolled: 7-line block ×5, first 2 shown]
	s_lshl_b64 s[6:7], s[6:7], 1
	s_cmp_lt_i32 s24, s41
	s_clause 0x4
	global_load_u16 v19, v[5:6], off
	global_load_u16 v20, v[7:8], off
	;; [unrolled: 1-line block ×5, first 2 shown]
	s_cselect_b32 s4, s24, s42
	s_add_i32 s10, s43, 0xfffffe40
	s_ashr_i32 s5, s4, 31
	v_add_co_u32 v5, vcc_lo, v1, s8
	s_lshl_b64 s[4:5], s[4:5], 1
	s_cmp_lt_i32 s10, s41
	v_add_co_ci_u32_e32 v6, vcc_lo, s9, v3, vcc_lo
	s_cselect_b32 s10, s10, s42
	s_add_i32 s18, s43, 0xfffffe80
	s_ashr_i32 s11, s10, 31
	v_add_co_u32 v7, vcc_lo, v1, s6
	s_lshl_b64 s[10:11], s[10:11], 1
	s_cmp_lt_i32 s18, s41
	v_add_co_ci_u32_e32 v8, vcc_lo, s7, v3, vcc_lo
	s_cselect_b32 s18, s18, s42
	s_add_i32 s20, s43, 0xfffffec0
	s_ashr_i32 s19, s18, 31
	v_add_co_u32 v9, vcc_lo, v1, s4
	s_lshl_b64 s[18:19], s[18:19], 1
	s_cmp_lt_i32 s20, s41
	global_load_u16 v37, v[5:6], off
	s_cselect_b32 s8, s20, s42
	s_add_i32 s20, s43, 0xffffff00
	s_ashr_i32 s9, s8, 31
	v_add_co_ci_u32_e32 v10, vcc_lo, s5, v3, vcc_lo
	s_lshl_b64 s[6:7], s[8:9], 1
	s_cmp_lt_i32 s20, s41
	v_add_co_u32 v11, vcc_lo, v1, s10
	s_cselect_b32 s4, s20, s42
	s_clause 0x1
	global_load_u16 v38, v[7:8], off
	global_load_u16 v39, v[9:10], off
	v_add_co_ci_u32_e32 v12, vcc_lo, s11, v3, vcc_lo
	s_ashr_i32 s5, s4, 31
	s_add_i32 s8, s43, 0xffffff40
	v_add_co_u32 v13, vcc_lo, v1, s18
	s_lshl_b64 s[4:5], s[4:5], 1
	s_cmp_lt_i32 s8, s41
	v_add_co_ci_u32_e32 v14, vcc_lo, s19, v3, vcc_lo
	v_add_co_u32 v15, vcc_lo, v1, s6
	s_cselect_b32 s8, s8, s42
	v_add_co_ci_u32_e32 v16, vcc_lo, s7, v3, vcc_lo
	s_ashr_i32 s9, s8, 31
	s_add_i32 s10, s43, 0xffffff80
	s_lshl_b64 s[6:7], s[8:9], 1
	s_clause 0x2
	global_load_u16 v40, v[11:12], off
	global_load_u16 v13, v[13:14], off
	global_load_u16 v14, v[15:16], off
	s_cmp_lt_i32 s10, s41
	v_add_co_u32 v5, vcc_lo, v1, s4
	s_cselect_b32 s8, s10, s42
	s_sub_i32 s10, s43, 64
	s_ashr_i32 s9, s8, 31
	v_add_co_ci_u32_e32 v6, vcc_lo, s5, v3, vcc_lo
	s_lshl_b64 s[8:9], s[8:9], 1
	s_cmp_lt_i32 s10, s41
	v_add_co_u32 v7, vcc_lo, v1, s6
	s_cselect_b32 s4, s10, s42
	v_add_co_ci_u32_e32 v8, vcc_lo, s7, v3, vcc_lo
	s_ashr_i32 s5, s4, 31
	v_add_co_u32 v9, vcc_lo, v1, s8
	global_load_u16 v15, v[5:6], off
	s_lshl_b64 s[4:5], s[4:5], 1
	v_add_co_ci_u32_e32 v10, vcc_lo, s9, v3, vcc_lo
	s_cmp_lt_i32 s43, s41
	s_clause 0x1
	global_load_u16 v16, v[7:8], off
	global_load_u16 v41, v[9:10], off
	s_cselect_b32 s6, s43, s42
	v_add_co_u32 v5, vcc_lo, v1, s4
	s_ashr_i32 s7, s6, 31
	v_add_co_ci_u32_e32 v6, vcc_lo, s5, v3, vcc_lo
	s_lshl_b64 s[4:5], s[6:7], 1
	s_delay_alu instid0(SALU_CYCLE_1)
	v_add_co_u32 v7, vcc_lo, v1, s4
	v_add_co_ci_u32_e32 v8, vcc_lo, s5, v3, vcc_lo
	s_clause 0x1
	global_load_u16 v42, v[5:6], off
	global_load_u16 v43, v[7:8], off
	ds_load_b128 v[5:8], v44
	ds_load_b128 v[9:12], v44 offset:16
	s_waitcnt vmcnt(31) lgkmcnt(1)
	v_fma_mix_f32 v2, v5, v2, v4 op_sel_hi:[0,1,0]
	s_waitcnt vmcnt(30)
	s_delay_alu instid0(VALU_DEP_1) | instskip(SKIP_1) | instid1(VALU_DEP_1)
	v_fma_mix_f32 v2, v6, v21, v2 op_sel_hi:[0,1,0]
	s_waitcnt vmcnt(29)
	v_fma_mix_f32 v2, v7, v22, v2 op_sel_hi:[0,1,0]
	ds_load_b128 v[4:7], v44 offset:32
	s_waitcnt vmcnt(28)
	v_fma_mix_f32 v2, v8, v23, v2 op_sel_hi:[0,1,0]
	s_waitcnt vmcnt(27) lgkmcnt(1)
	s_delay_alu instid0(VALU_DEP_1) | instskip(SKIP_1) | instid1(VALU_DEP_1)
	v_fma_mix_f32 v2, v9, v24, v2 op_sel_hi:[0,1,0]
	s_waitcnt vmcnt(26)
	v_fma_mix_f32 v2, v10, v25, v2 op_sel_hi:[0,1,0]
	s_waitcnt vmcnt(25)
	s_delay_alu instid0(VALU_DEP_1) | instskip(SKIP_4) | instid1(VALU_DEP_1)
	v_fma_mix_f32 v2, v11, v26, v2 op_sel_hi:[0,1,0]
	ds_load_b128 v[8:11], v44 offset:48
	s_waitcnt vmcnt(24)
	v_fma_mix_f32 v2, v12, v27, v2 op_sel_hi:[0,1,0]
	s_waitcnt vmcnt(23) lgkmcnt(1)
	v_fma_mix_f32 v2, v4, v28, v2 op_sel_hi:[0,1,0]
	s_waitcnt vmcnt(22)
	s_delay_alu instid0(VALU_DEP_1) | instskip(SKIP_1) | instid1(VALU_DEP_1)
	v_fma_mix_f32 v2, v5, v29, v2 op_sel_hi:[0,1,0]
	s_waitcnt vmcnt(21)
	v_fma_mix_f32 v2, v6, v30, v2 op_sel_hi:[0,1,0]
	s_waitcnt vmcnt(20)
	s_delay_alu instid0(VALU_DEP_1) | instskip(SKIP_4) | instid1(VALU_DEP_1)
	v_fma_mix_f32 v2, v7, v31, v2 op_sel_hi:[0,1,0]
	ds_load_b128 v[4:7], v44 offset:64
	s_waitcnt vmcnt(19) lgkmcnt(1)
	v_fma_mix_f32 v2, v8, v32, v2 op_sel_hi:[0,1,0]
	s_waitcnt vmcnt(18)
	v_fma_mix_f32 v2, v9, v33, v2 op_sel_hi:[0,1,0]
	s_waitcnt vmcnt(17)
	s_delay_alu instid0(VALU_DEP_1) | instskip(SKIP_1) | instid1(VALU_DEP_1)
	v_fma_mix_f32 v2, v10, v17, v2 op_sel_hi:[0,1,0]
	s_waitcnt vmcnt(16)
	v_fma_mix_f32 v2, v11, v18, v2 op_sel_hi:[0,1,0]
	ds_load_b128 v[8:11], v44 offset:80
	s_waitcnt vmcnt(15) lgkmcnt(1)
	v_fma_mix_f32 v2, v4, v19, v2 op_sel_hi:[0,1,0]
	s_waitcnt vmcnt(14)
	s_delay_alu instid0(VALU_DEP_1) | instskip(SKIP_1) | instid1(VALU_DEP_1)
	v_fma_mix_f32 v2, v5, v20, v2 op_sel_hi:[0,1,0]
	s_waitcnt vmcnt(13)
	v_fma_mix_f32 v2, v6, v34, v2 op_sel_hi:[0,1,0]
	s_waitcnt vmcnt(12)
	s_delay_alu instid0(VALU_DEP_1) | instskip(SKIP_4) | instid1(VALU_DEP_1)
	v_fma_mix_f32 v2, v7, v35, v2 op_sel_hi:[0,1,0]
	ds_load_b128 v[4:7], v44 offset:96
	s_waitcnt vmcnt(11) lgkmcnt(1)
	v_fma_mix_f32 v2, v8, v36, v2 op_sel_hi:[0,1,0]
	s_waitcnt vmcnt(10)
	v_fma_mix_f32 v2, v9, v37, v2 op_sel_hi:[0,1,0]
	s_waitcnt vmcnt(9)
	s_delay_alu instid0(VALU_DEP_1) | instskip(SKIP_1) | instid1(VALU_DEP_1)
	v_fma_mix_f32 v2, v10, v38, v2 op_sel_hi:[0,1,0]
	s_waitcnt vmcnt(8)
	v_fma_mix_f32 v2, v11, v39, v2 op_sel_hi:[0,1,0]
	ds_load_b128 v[8:11], v44 offset:112
	s_waitcnt vmcnt(7) lgkmcnt(1)
	v_fma_mix_f32 v2, v4, v40, v2 op_sel_hi:[0,1,0]
	s_waitcnt vmcnt(6)
	s_delay_alu instid0(VALU_DEP_1) | instskip(SKIP_1) | instid1(VALU_DEP_1)
	v_fma_mix_f32 v2, v5, v13, v2 op_sel_hi:[0,1,0]
	s_waitcnt vmcnt(5)
	v_fma_mix_f32 v2, v6, v14, v2 op_sel_hi:[0,1,0]
	s_waitcnt vmcnt(4)
	s_delay_alu instid0(VALU_DEP_1) | instskip(SKIP_1) | instid1(VALU_DEP_1)
	v_fma_mix_f32 v2, v7, v15, v2 op_sel_hi:[0,1,0]
	s_waitcnt vmcnt(3) lgkmcnt(0)
	v_fma_mix_f32 v2, v8, v16, v2 op_sel_hi:[0,1,0]
	s_waitcnt vmcnt(2)
	s_delay_alu instid0(VALU_DEP_1) | instskip(SKIP_1) | instid1(VALU_DEP_1)
	v_fma_mix_f32 v2, v9, v41, v2 op_sel_hi:[0,1,0]
	s_waitcnt vmcnt(1)
	v_fma_mix_f32 v2, v10, v42, v2 op_sel_hi:[0,1,0]
	s_waitcnt vmcnt(0)
	s_delay_alu instid0(VALU_DEP_1)
	v_fma_mix_f32 v4, v11, v43, v2 op_sel_hi:[0,1,0]
	s_branch .LBB86_14
.LBB86_17:
	v_mov_b32_e32 v1, 0
	s_and_b32 vcc_lo, exec_lo, s15
	ds_load_b32 v1, v1 offset:1152
	s_cbranch_vccz .LBB86_19
; %bb.18:
	s_add_u32 s2, s12, s16
	s_addc_u32 s3, s13, s17
	s_load_b32 s2, s[2:3], 0x0
	s_mov_b32 s3, 0
.LBB86_19:
	s_waitcnt lgkmcnt(0)
	v_add_f32_e32 v1, 0x358637bd, v1
	s_mul_i32 s3, s33, s3
	s_mul_hi_u32 s4, s33, s2
	s_mul_i32 s2, s33, s2
	s_add_i32 s3, s4, s3
	v_div_scale_f32 v2, null, v1, v1, 1.0
	s_lshl_b64 s[2:3], s[2:3], 7
	s_mov_b32 s15, 0
	s_add_u32 s2, s0, s2
	s_delay_alu instid0(VALU_DEP_1) | instskip(SKIP_2) | instid1(SALU_CYCLE_1)
	v_rcp_f32_e32 v3, v2
	s_addc_u32 s3, s1, s3
	s_lshl_b64 s[0:1], s[14:15], 7
	s_add_u32 s0, s2, s0
	s_addc_u32 s1, s3, s1
	s_waitcnt_depctr 0xfff
	v_fma_f32 v5, -v2, v3, 1.0
	s_delay_alu instid0(VALU_DEP_1) | instskip(SKIP_1) | instid1(VALU_DEP_1)
	v_fmac_f32_e32 v3, v5, v3
	v_div_scale_f32 v5, vcc_lo, 1.0, v1, 1.0
	v_mul_f32_e32 v6, v5, v3
	s_delay_alu instid0(VALU_DEP_1) | instskip(NEXT) | instid1(VALU_DEP_1)
	v_fma_f32 v7, -v2, v6, v5
	v_fmac_f32_e32 v6, v7, v3
	s_delay_alu instid0(VALU_DEP_1) | instskip(NEXT) | instid1(VALU_DEP_1)
	v_fma_f32 v2, -v2, v6, v5
	v_div_fmas_f32 v2, v2, v3, v6
	s_delay_alu instid0(VALU_DEP_1) | instskip(NEXT) | instid1(VALU_DEP_1)
	v_div_fixup_f32 v1, v2, v1, 1.0
	v_fma_mixlo_f16 v1, v4, v1, 0
	global_store_b16 v0, v1, s[0:1]
	s_nop 0
	s_sendmsg sendmsg(MSG_DEALLOC_VGPRS)
	s_endpgm
.LBB86_20:
	s_mov_b32 s4, 0
	s_branch .LBB86_2
	.section	.rodata,"a",@progbits
	.p2align	6, 0x0
	.amdhsa_kernel _Z35paged_attention_ll4mi_reduce_kernelIDF16_DF16_Li64ELi64ELi256ELi9EEvPT0_PKfS3_PKT_PKiS8_iS3_
		.amdhsa_group_segment_fixed_size 1156
		.amdhsa_private_segment_fixed_size 0
		.amdhsa_kernarg_size 320
		.amdhsa_user_sgpr_count 14
		.amdhsa_user_sgpr_dispatch_ptr 0
		.amdhsa_user_sgpr_queue_ptr 0
		.amdhsa_user_sgpr_kernarg_segment_ptr 1
		.amdhsa_user_sgpr_dispatch_id 0
		.amdhsa_user_sgpr_private_segment_size 0
		.amdhsa_wavefront_size32 1
		.amdhsa_uses_dynamic_stack 0
		.amdhsa_enable_private_segment 0
		.amdhsa_system_sgpr_workgroup_id_x 1
		.amdhsa_system_sgpr_workgroup_id_y 1
		.amdhsa_system_sgpr_workgroup_id_z 0
		.amdhsa_system_sgpr_workgroup_info 0
		.amdhsa_system_vgpr_workitem_id 0
		.amdhsa_next_free_vgpr 52
		.amdhsa_next_free_sgpr 47
		.amdhsa_reserve_vcc 1
		.amdhsa_float_round_mode_32 0
		.amdhsa_float_round_mode_16_64 0
		.amdhsa_float_denorm_mode_32 3
		.amdhsa_float_denorm_mode_16_64 3
		.amdhsa_dx10_clamp 1
		.amdhsa_ieee_mode 1
		.amdhsa_fp16_overflow 0
		.amdhsa_workgroup_processor_mode 1
		.amdhsa_memory_ordered 1
		.amdhsa_forward_progress 0
		.amdhsa_shared_vgpr_count 0
		.amdhsa_exception_fp_ieee_invalid_op 0
		.amdhsa_exception_fp_denorm_src 0
		.amdhsa_exception_fp_ieee_div_zero 0
		.amdhsa_exception_fp_ieee_overflow 0
		.amdhsa_exception_fp_ieee_underflow 0
		.amdhsa_exception_fp_ieee_inexact 0
		.amdhsa_exception_int_div_zero 0
	.end_amdhsa_kernel
	.section	.text._Z35paged_attention_ll4mi_reduce_kernelIDF16_DF16_Li64ELi64ELi256ELi9EEvPT0_PKfS3_PKT_PKiS8_iS3_,"axG",@progbits,_Z35paged_attention_ll4mi_reduce_kernelIDF16_DF16_Li64ELi64ELi256ELi9EEvPT0_PKfS3_PKT_PKiS8_iS3_,comdat
.Lfunc_end86:
	.size	_Z35paged_attention_ll4mi_reduce_kernelIDF16_DF16_Li64ELi64ELi256ELi9EEvPT0_PKfS3_PKT_PKiS8_iS3_, .Lfunc_end86-_Z35paged_attention_ll4mi_reduce_kernelIDF16_DF16_Li64ELi64ELi256ELi9EEvPT0_PKfS3_PKT_PKiS8_iS3_
                                        ; -- End function
	.section	.AMDGPU.csdata,"",@progbits
; Kernel info:
; codeLenInByte = 6708
; NumSgprs: 49
; NumVgprs: 52
; ScratchSize: 0
; MemoryBound: 0
; FloatMode: 240
; IeeeMode: 1
; LDSByteSize: 1156 bytes/workgroup (compile time only)
; SGPRBlocks: 6
; VGPRBlocks: 6
; NumSGPRsForWavesPerEU: 49
; NumVGPRsForWavesPerEU: 52
; Occupancy: 16
; WaveLimiterHint : 0
; COMPUTE_PGM_RSRC2:SCRATCH_EN: 0
; COMPUTE_PGM_RSRC2:USER_SGPR: 14
; COMPUTE_PGM_RSRC2:TRAP_HANDLER: 0
; COMPUTE_PGM_RSRC2:TGID_X_EN: 1
; COMPUTE_PGM_RSRC2:TGID_Y_EN: 1
; COMPUTE_PGM_RSRC2:TGID_Z_EN: 0
; COMPUTE_PGM_RSRC2:TIDIG_COMP_CNT: 0
	.section	.text._Z35paged_attention_ll4mi_reduce_kernelIDF16_DF16_Li64ELi64ELi256ELi10EEvPT0_PKfS3_PKT_PKiS8_iS3_,"axG",@progbits,_Z35paged_attention_ll4mi_reduce_kernelIDF16_DF16_Li64ELi64ELi256ELi10EEvPT0_PKfS3_PKT_PKiS8_iS3_,comdat
	.protected	_Z35paged_attention_ll4mi_reduce_kernelIDF16_DF16_Li64ELi64ELi256ELi10EEvPT0_PKfS3_PKT_PKiS8_iS3_ ; -- Begin function _Z35paged_attention_ll4mi_reduce_kernelIDF16_DF16_Li64ELi64ELi256ELi10EEvPT0_PKfS3_PKT_PKiS8_iS3_
	.globl	_Z35paged_attention_ll4mi_reduce_kernelIDF16_DF16_Li64ELi64ELi256ELi10EEvPT0_PKfS3_PKT_PKiS8_iS3_
	.p2align	8
	.type	_Z35paged_attention_ll4mi_reduce_kernelIDF16_DF16_Li64ELi64ELi256ELi10EEvPT0_PKfS3_PKT_PKiS8_iS3_,@function
_Z35paged_attention_ll4mi_reduce_kernelIDF16_DF16_Li64ELi64ELi256ELi10EEvPT0_PKfS3_PKT_PKiS8_iS3_: ; @_Z35paged_attention_ll4mi_reduce_kernelIDF16_DF16_Li64ELi64ELi256ELi10EEvPT0_PKfS3_PKT_PKiS8_iS3_
; %bb.0:
	s_load_b64 s[12:13], s[0:1], 0x28
	s_mov_b32 s2, s15
	s_waitcnt lgkmcnt(0)
	s_cmp_lg_u64 s[12:13], 0
	s_cselect_b32 s15, -1, 0
	s_delay_alu instid0(SALU_CYCLE_1)
	s_and_b32 vcc_lo, exec_lo, s15
	s_cbranch_vccz .LBB87_20
; %bb.1:
	s_add_i32 s4, s2, 1
	s_mov_b32 s5, 0
	s_delay_alu instid0(SALU_CYCLE_1) | instskip(SKIP_4) | instid1(SALU_CYCLE_1)
	s_lshl_b64 s[6:7], s[4:5], 2
	s_mov_b32 s3, s5
	s_add_u32 s6, s12, s6
	s_addc_u32 s7, s13, s7
	s_lshl_b64 s[8:9], s[2:3], 2
	s_add_u32 s8, s12, s8
	s_addc_u32 s9, s13, s9
	s_clause 0x1
	s_load_b32 s4, s[6:7], 0x0
	s_load_b32 s6, s[8:9], 0x0
	s_waitcnt lgkmcnt(0)
	s_sub_i32 s4, s4, s6
	s_delay_alu instid0(SALU_CYCLE_1)
	s_cmp_eq_u32 s4, 1
	s_cselect_b32 s4, -1, 0
	s_cbranch_execnz .LBB87_3
.LBB87_2:
	s_mov_b32 s3, 0
	s_mov_b32 s4, -1
.LBB87_3:
	s_delay_alu instid0(SALU_CYCLE_1)
	s_and_not1_b32 vcc_lo, exec_lo, s4
	s_cbranch_vccz .LBB87_5
; %bb.4:
	s_endpgm
.LBB87_5:
	s_clause 0x1
	s_load_b128 s[4:7], s[0:1], 0x18
	s_load_b32 s9, s[0:1], 0x30
	s_lshl_b64 s[16:17], s[2:3], 2
	s_waitcnt lgkmcnt(0)
	s_add_u32 s6, s6, s16
	s_addc_u32 s7, s7, s17
	s_load_b32 s23, s[6:7], 0x0
	s_load_b32 s33, s[0:1], 0x40
	s_mul_i32 s7, s2, s9
	s_waitcnt lgkmcnt(0)
	s_add_i32 s22, s23, 0xff
	s_delay_alu instid0(SALU_CYCLE_1) | instskip(NEXT) | instid1(SALU_CYCLE_1)
	s_ashr_i32 s6, s22, 31
	s_lshr_b32 s6, s6, 24
	s_delay_alu instid0(SALU_CYCLE_1) | instskip(SKIP_4) | instid1(SALU_CYCLE_1)
	s_add_i32 s8, s22, s6
	s_mul_i32 s6, s14, s9
	s_mov_b32 s9, exec_lo
	v_cmpx_lt_u32_e32 31, v0
	s_xor_b32 s9, exec_lo, s9
	s_or_saveexec_b32 s24, s9
	v_mov_b32_e32 v1, s6
	s_ashr_i32 s40, s8, 8
	s_mul_i32 s18, s7, s33
	s_xor_b32 exec_lo, exec_lo, s24
	s_cbranch_execz .LBB87_9
; %bb.6:
	v_or_b32_e32 v2, 32, v0
	v_cmp_gt_i32_e32 vcc_lo, s40, v0
	s_add_i32 s25, s40, -1
	v_or_b32_e32 v4, 64, v0
	v_or_b32_e32 v6, 0x60, v0
	s_load_b128 s[8:11], s[0:1], 0x8
	v_cndmask_b32_e32 v1, s25, v0, vcc_lo
	v_cmp_gt_i32_e32 vcc_lo, s40, v2
	s_mov_b32 s19, 0
	v_or_b32_e32 v10, 0x120, v0
	s_lshl_b64 s[20:21], s[18:19], 2
	s_mov_b32 s7, s19
	v_cndmask_b32_e32 v3, s25, v2, vcc_lo
	v_cmp_gt_i32_e32 vcc_lo, s40, v4
	v_or_b32_e32 v2, 0x80, v0
	v_cndmask_b32_e32 v5, s25, v4, vcc_lo
	v_cmp_gt_i32_e32 vcc_lo, s40, v6
	v_or_b32_e32 v4, 0xa0, v0
	;; [unrolled: 3-line block ×3, first 2 shown]
	s_waitcnt lgkmcnt(0)
	s_add_u32 s19, s10, s20
	s_addc_u32 s26, s11, s21
	s_lshl_b64 s[10:11], s[6:7], 2
	v_cndmask_b32_e32 v9, s25, v2, vcc_lo
	v_or_b32_e32 v2, 0xc0, v0
	v_cmp_gt_i32_e32 vcc_lo, s40, v4
	s_add_u32 s7, s19, s10
	s_addc_u32 s19, s26, s11
	v_ashrrev_i32_e32 v8, 31, v7
	v_cndmask_b32_e32 v11, s25, v4, vcc_lo
	v_cmp_gt_i32_e32 vcc_lo, s40, v2
	v_or_b32_e32 v4, 0x100, v0
	s_delay_alu instid0(VALU_DEP_4) | instskip(NEXT) | instid1(VALU_DEP_4)
	v_lshlrev_b64 v[7:8], 2, v[7:8]
	v_ashrrev_i32_e32 v12, 31, v11
	v_cndmask_b32_e32 v13, s25, v2, vcc_lo
	v_cmp_gt_i32_e32 vcc_lo, s40, v6
	v_ashrrev_i32_e32 v2, 31, v1
	s_delay_alu instid0(VALU_DEP_4) | instskip(NEXT) | instid1(VALU_DEP_4)
	v_lshlrev_b64 v[11:12], 2, v[11:12]
	v_ashrrev_i32_e32 v14, 31, v13
	v_cndmask_b32_e32 v15, s25, v6, vcc_lo
	v_cmp_gt_i32_e32 vcc_lo, s40, v4
	v_lshlrev_b64 v[1:2], 2, v[1:2]
	v_ashrrev_i32_e32 v6, 31, v5
	v_lshlrev_b64 v[13:14], 2, v[13:14]
	v_ashrrev_i32_e32 v16, 31, v15
	v_cndmask_b32_e32 v17, s25, v4, vcc_lo
	v_ashrrev_i32_e32 v4, 31, v3
	v_add_co_u32 v18, vcc_lo, s7, v1
	v_add_co_ci_u32_e32 v19, vcc_lo, s19, v2, vcc_lo
	s_delay_alu instid0(VALU_DEP_3) | instskip(SKIP_2) | instid1(VALU_DEP_3)
	v_lshlrev_b64 v[3:4], 2, v[3:4]
	v_lshlrev_b64 v[5:6], 2, v[5:6]
	;; [unrolled: 1-line block ×3, first 2 shown]
	v_add_co_u32 v20, vcc_lo, s7, v3
	s_delay_alu instid0(VALU_DEP_4)
	v_add_co_ci_u32_e32 v21, vcc_lo, s19, v4, vcc_lo
	v_cmp_gt_i32_e32 vcc_lo, s40, v10
	s_clause 0x1
	global_load_b32 v34, v[18:19], off
	global_load_b32 v35, v[20:21], off
	v_ashrrev_i32_e32 v18, 31, v17
	v_cndmask_b32_e32 v22, s25, v10, vcc_lo
	v_ashrrev_i32_e32 v10, 31, v9
	v_add_co_u32 v19, vcc_lo, s7, v5
	v_add_co_ci_u32_e32 v20, vcc_lo, s19, v6, vcc_lo
	s_delay_alu instid0(VALU_DEP_3) | instskip(SKIP_3) | instid1(VALU_DEP_4)
	v_lshlrev_b64 v[9:10], 2, v[9:10]
	v_add_co_u32 v24, vcc_lo, s7, v7
	v_add_co_ci_u32_e32 v25, vcc_lo, s19, v8, vcc_lo
	v_ashrrev_i32_e32 v23, 31, v22
	v_add_co_u32 v26, vcc_lo, s7, v9
	v_add_co_ci_u32_e32 v27, vcc_lo, s19, v10, vcc_lo
	v_add_co_u32 v28, vcc_lo, s7, v11
	v_add_co_ci_u32_e32 v29, vcc_lo, s19, v12, vcc_lo
	;; [unrolled: 2-line block ×3, first 2 shown]
	v_lshlrev_b64 v[17:18], 2, v[17:18]
	v_add_co_u32 v32, vcc_lo, s7, v15
	v_add_co_ci_u32_e32 v33, vcc_lo, s19, v16, vcc_lo
	s_clause 0x5
	global_load_b32 v36, v[19:20], off
	global_load_b32 v25, v[24:25], off
	global_load_b32 v26, v[26:27], off
	global_load_b32 v27, v[28:29], off
	global_load_b32 v28, v[30:31], off
	global_load_b32 v29, v[32:33], off
	v_lshlrev_b64 v[19:20], 2, v[22:23]
	v_add_co_u32 v21, vcc_lo, s7, v17
	v_add_co_ci_u32_e32 v22, vcc_lo, s19, v18, vcc_lo
	s_delay_alu instid0(VALU_DEP_3) | instskip(NEXT) | instid1(VALU_DEP_4)
	v_add_co_u32 v23, vcc_lo, s7, v19
	v_add_co_ci_u32_e32 v24, vcc_lo, s19, v20, vcc_lo
	s_clause 0x1
	global_load_b32 v21, v[21:22], off
	global_load_b32 v22, v[23:24], off
	s_add_u32 s7, s8, s20
	s_addc_u32 s8, s9, s21
	s_add_u32 s7, s7, s10
	s_addc_u32 s8, s8, s11
	v_add_co_u32 v1, vcc_lo, s7, v1
	v_add_co_ci_u32_e32 v2, vcc_lo, s8, v2, vcc_lo
	v_add_co_u32 v3, vcc_lo, s7, v3
	v_add_co_ci_u32_e32 v4, vcc_lo, s8, v4, vcc_lo
	;; [unrolled: 2-line block ×4, first 2 shown]
	s_clause 0x1
	global_load_b32 v30, v[1:2], off
	global_load_b32 v31, v[3:4], off
	v_add_co_u32 v9, vcc_lo, s7, v9
	v_mbcnt_lo_u32_b32 v23, -1, 0
	s_clause 0x1
	global_load_b32 v5, v[5:6], off
	global_load_b32 v7, v[7:8], off
	v_add_co_ci_u32_e32 v10, vcc_lo, s8, v10, vcc_lo
	v_add_co_u32 v1, vcc_lo, s7, v11
	v_add_co_ci_u32_e32 v2, vcc_lo, s8, v12, vcc_lo
	v_xor_b32_e32 v24, 16, v23
	s_waitcnt vmcnt(12)
	v_dual_max_f32 v4, v34, v34 :: v_dual_max_f32 v3, v35, v35
	s_delay_alu instid0(VALU_DEP_1)
	v_max_f32_e32 v6, v4, v3
	v_add_co_u32 v3, vcc_lo, s7, v13
	v_add_co_ci_u32_e32 v4, vcc_lo, s8, v14, vcc_lo
	v_cmp_gt_i32_e32 vcc_lo, 32, v24
	s_clause 0x2
	global_load_b32 v9, v[9:10], off
	global_load_b32 v10, v[1:2], off
	global_load_b32 v3, v[3:4], off
	v_xor_b32_e32 v13, 8, v23
	v_cndmask_b32_e32 v8, v23, v24, vcc_lo
	v_add_co_u32 v1, vcc_lo, s7, v15
	v_add_co_ci_u32_e32 v2, vcc_lo, s8, v16, vcc_lo
	v_xor_b32_e32 v15, 1, v23
	s_waitcnt vmcnt(13)
	v_max3_f32 v6, v6, v36, v25
	s_waitcnt vmcnt(11)
	s_delay_alu instid0(VALU_DEP_1)
	v_max3_f32 v4, v6, v26, v27
	v_lshlrev_b32_e32 v6, 2, v8
	global_load_b32 v8, v[1:2], off
	v_add_co_u32 v1, vcc_lo, s7, v17
	s_waitcnt vmcnt(10)
	v_max3_f32 v4, v4, v28, v29
	v_add_co_ci_u32_e32 v2, vcc_lo, s8, v18, vcc_lo
	global_load_b32 v12, v[1:2], off
	s_waitcnt vmcnt(9)
	v_max3_f32 v4, v4, v21, v22
	v_add_co_u32 v1, vcc_lo, s7, v19
	v_add_co_ci_u32_e32 v2, vcc_lo, s8, v20, vcc_lo
	ds_bpermute_b32 v11, v6, v4
	v_cmp_gt_i32_e32 vcc_lo, 32, v13
	s_mov_b32 s7, exec_lo
	global_load_b32 v14, v[1:2], off
	v_cndmask_b32_e32 v1, v23, v13, vcc_lo
	v_xor_b32_e32 v13, 2, v23
	s_waitcnt lgkmcnt(0)
	s_delay_alu instid0(VALU_DEP_2) | instskip(SKIP_1) | instid1(VALU_DEP_2)
	v_dual_max_f32 v2, v11, v11 :: v_dual_lshlrev_b32 v1, 2, v1
	v_xor_b32_e32 v11, 4, v23
	v_max_f32_e32 v2, v4, v2
	s_delay_alu instid0(VALU_DEP_2) | instskip(SKIP_3) | instid1(VALU_DEP_2)
	v_cmp_gt_i32_e32 vcc_lo, 32, v11
	ds_bpermute_b32 v4, v1, v2
	v_cndmask_b32_e32 v11, v23, v11, vcc_lo
	v_cmp_gt_i32_e32 vcc_lo, 32, v13
	v_lshlrev_b32_e32 v11, 2, v11
	v_cndmask_b32_e32 v13, v23, v13, vcc_lo
	v_cmp_gt_i32_e32 vcc_lo, 32, v15
	s_delay_alu instid0(VALU_DEP_2) | instskip(SKIP_2) | instid1(VALU_DEP_1)
	v_lshlrev_b32_e32 v13, 2, v13
	v_cndmask_b32_e32 v15, v23, v15, vcc_lo
	s_waitcnt lgkmcnt(0)
	v_dual_max_f32 v4, v4, v4 :: v_dual_lshlrev_b32 v15, 2, v15
	s_delay_alu instid0(VALU_DEP_1) | instskip(SKIP_3) | instid1(VALU_DEP_1)
	v_max_f32_e32 v2, v2, v4
	ds_bpermute_b32 v4, v11, v2
	s_waitcnt lgkmcnt(0)
	v_max_f32_e32 v4, v4, v4
	v_max_f32_e32 v2, v2, v4
	ds_bpermute_b32 v4, v13, v2
	s_waitcnt lgkmcnt(0)
	v_max_f32_e32 v4, v4, v4
	s_delay_alu instid0(VALU_DEP_1) | instskip(SKIP_3) | instid1(VALU_DEP_1)
	v_max_f32_e32 v2, v2, v4
	ds_bpermute_b32 v4, v15, v2
	s_waitcnt lgkmcnt(0)
	v_max_f32_e32 v4, v4, v4
	v_max_f32_e32 v2, v2, v4
	v_sub_nc_u32_e32 v4, s40, v0
	s_delay_alu instid0(VALU_DEP_2)
	v_sub_f32_e32 v20, v26, v2
	v_sub_f32_e32 v16, v34, v2
	;; [unrolled: 1-line block ×9, first 2 shown]
	v_dual_mul_f32 v29, 0x3fb8aa3b, v20 :: v_dual_sub_f32 v2, v22, v2
	s_delay_alu instid0(VALU_DEP_4)
	v_mul_f32_e32 v33, 0x3fb8aa3b, v24
	v_mul_f32_e32 v22, 0x3fb8aa3b, v16
	;; [unrolled: 1-line block ×4, first 2 shown]
	v_fma_f32 v45, 0x3fb8aa3b, v20, -v29
	v_rndne_f32_e32 v46, v29
	v_fma_f32 v37, 0x3fb8aa3b, v16, -v22
	v_rndne_f32_e32 v38, v22
	;; [unrolled: 2-line block ×3, first 2 shown]
	v_mul_f32_e32 v27, 0x3fb8aa3b, v18
	s_delay_alu instid0(VALU_DEP_4) | instskip(SKIP_1) | instid1(VALU_DEP_4)
	v_dual_fmac_f32 v37, 0x32a5705f, v16 :: v_dual_sub_f32 v22, v22, v38
	v_rndne_f32_e32 v44, v28
	v_dual_fmac_f32 v39, 0x32a5705f, v17 :: v_dual_sub_f32 v26, v26, v40
	s_delay_alu instid0(VALU_DEP_3) | instskip(SKIP_1) | instid1(VALU_DEP_4)
	v_dual_fmac_f32 v45, 0x32a5705f, v20 :: v_dual_add_f32 v22, v22, v37
	v_fma_f32 v43, 0x3fb8aa3b, v19, -v28
	v_dual_sub_f32 v28, v28, v44 :: v_dual_sub_f32 v29, v29, v46
	s_delay_alu instid0(VALU_DEP_4) | instskip(NEXT) | instid1(VALU_DEP_4)
	v_add_f32_e32 v26, v26, v39
	v_exp_f32_e32 v22, v22
	v_mul_f32_e32 v32, 0x3fb8aa3b, v23
	v_mul_f32_e32 v34, 0x3fb8aa3b, v25
	v_fma_f32 v41, 0x3fb8aa3b, v18, -v27
	v_rndne_f32_e32 v42, v27
	v_cvt_i32_f32_e32 v38, v38
	v_exp_f32_e32 v26, v26
	v_dual_mul_f32 v35, 0x3fb8aa3b, v21 :: v_dual_mul_f32 v36, 0x3fb8aa3b, v2
	v_fma_f32 v47, 0x3fb8aa3b, v23, -v32
	v_rndne_f32_e32 v48, v32
	v_rndne_f32_e32 v52, v34
	v_cvt_i32_f32_e32 v40, v40
	v_fmac_f32_e32 v41, 0x32a5705f, v18
	v_sub_f32_e32 v27, v27, v42
	v_ldexp_f32 v22, v22, v38
	v_cmp_ngt_f32_e32 vcc_lo, 0xc2ce8ed0, v16
	v_fma_f32 v49, 0x3fb8aa3b, v24, -v33
	v_fma_f32 v51, 0x3fb8aa3b, v25, -v34
	v_sub_f32_e32 v34, v34, v52
	v_rndne_f32_e32 v56, v36
	v_fmac_f32_e32 v43, 0x32a5705f, v19
	v_dual_fmac_f32 v47, 0x32a5705f, v23 :: v_dual_cndmask_b32 v22, 0, v22
	v_sub_f32_e32 v32, v32, v48
	v_ldexp_f32 v26, v26, v40
	v_cmp_ngt_f32_e32 vcc_lo, 0xc2ce8ed0, v17
	v_add_f32_e32 v27, v27, v41
	v_fma_f32 v55, 0x3fb8aa3b, v2, -v36
	v_sub_f32_e32 v36, v36, v56
	v_dual_fmac_f32 v49, 0x32a5705f, v24 :: v_dual_add_f32 v28, v28, v43
	v_cndmask_b32_e32 v26, 0, v26, vcc_lo
	v_exp_f32_e32 v27, v27
	v_rndne_f32_e32 v50, v33
	v_cvt_i32_f32_e32 v42, v42
	v_add_f32_e32 v29, v29, v45
	v_exp_f32_e32 v28, v28
	v_cvt_i32_f32_e32 v44, v44
	v_dual_sub_f32 v33, v33, v50 :: v_dual_add_f32 v32, v32, v47
	s_delay_alu instid0(VALU_DEP_3) | instskip(SKIP_1) | instid1(TRANS32_DEP_3)
	v_exp_f32_e32 v29, v29
	v_cmp_ngt_f32_e32 vcc_lo, 0xc2ce8ed0, v18
	v_ldexp_f32 v27, v27, v42
	v_rndne_f32_e32 v54, v35
	v_cvt_i32_f32_e32 v46, v46
	v_exp_f32_e32 v32, v32
	s_delay_alu instid0(TRANS32_DEP_3)
	v_ldexp_f32 v28, v28, v44
	v_cndmask_b32_e32 v27, 0, v27, vcc_lo
	v_cmp_ngt_f32_e32 vcc_lo, 0xc2ce8ed0, v19
	v_fma_f32 v53, 0x3fb8aa3b, v21, -v35
	v_cvt_i32_f32_e32 v48, v48
	v_sub_f32_e32 v35, v35, v54
	v_ldexp_f32 v29, v29, v46
	v_cndmask_b32_e32 v28, 0, v28, vcc_lo
	v_cmp_ngt_f32_e32 vcc_lo, 0xc2ce8ed0, v20
	v_ldexp_f32 v32, v32, v48
	v_add_f32_e32 v33, v33, v49
	v_cvt_i32_f32_e32 v50, v50
	v_cvt_i32_f32_e32 v52, v52
	v_cndmask_b32_e32 v29, 0, v29, vcc_lo
	v_cmp_ngt_f32_e32 vcc_lo, 0xc2ce8ed0, v23
	v_fmac_f32_e32 v55, 0x32a5705f, v2
	v_exp_f32_e32 v33, v33
	v_cvt_i32_f32_e32 v54, v54
	v_dual_cndmask_b32 v32, 0, v32 :: v_dual_fmac_f32 v51, 0x32a5705f, v25
	s_delay_alu instid0(VALU_DEP_3) | instskip(SKIP_1) | instid1(VALU_DEP_3)
	v_dual_add_f32 v36, v36, v55 :: v_dual_fmac_f32 v53, 0x32a5705f, v21
	v_cmp_ngt_f32_e32 vcc_lo, 0xc2ce8ed0, v24
	v_add_f32_e32 v34, v34, v51
	s_waitcnt_depctr 0xfff
	v_ldexp_f32 v33, v33, v50
	v_exp_f32_e32 v36, v36
	v_exp_f32_e32 v34, v34
	s_delay_alu instid0(VALU_DEP_1) | instskip(SKIP_3) | instid1(VALU_DEP_1)
	v_cndmask_b32_e32 v33, 0, v33, vcc_lo
	v_cmp_ngt_f32_e32 vcc_lo, 0xc2ce8ed0, v25
	s_waitcnt_depctr 0xfff
	v_ldexp_f32 v34, v34, v52
	v_cndmask_b32_e32 v34, 0, v34, vcc_lo
	v_cmp_nlt_f32_e32 vcc_lo, 0x42b17218, v16
	v_cndmask_b32_e32 v16, 0x7f800000, v22, vcc_lo
	v_cmp_nlt_f32_e32 vcc_lo, 0x42b17218, v17
	;; [unrolled: 2-line block ×3, first 2 shown]
	v_dual_add_f32 v35, v35, v53 :: v_dual_cndmask_b32 v18, 0x7f800000, v27
	v_cmp_nlt_f32_e32 vcc_lo, 0x42b17218, v19
	s_delay_alu instid0(VALU_DEP_2)
	v_exp_f32_e32 v35, v35
	v_cndmask_b32_e32 v19, 0x7f800000, v28, vcc_lo
	v_cmp_nlt_f32_e32 vcc_lo, 0x42b17218, v20
	v_cndmask_b32_e32 v20, 0x7f800000, v29, vcc_lo
	v_cmp_nlt_f32_e32 vcc_lo, 0x42b17218, v23
	s_waitcnt_depctr 0xfff
	v_ldexp_f32 v35, v35, v54
	v_cndmask_b32_e32 v22, 0x7f800000, v32, vcc_lo
	v_cmp_lt_i32_e32 vcc_lo, 0, v4
	v_cndmask_b32_e32 v16, 0, v16, vcc_lo
	v_cmp_lt_i32_e32 vcc_lo, 32, v4
	s_waitcnt vmcnt(9)
	s_delay_alu instid0(VALU_DEP_2) | instskip(SKIP_2) | instid1(VALU_DEP_2)
	v_dual_mul_f32 v16, v30, v16 :: v_dual_cndmask_b32 v17, 0, v17
	v_cmp_nlt_f32_e32 vcc_lo, 0x42b17218, v24
	s_waitcnt vmcnt(8)
	v_mul_f32_e32 v17, v31, v17
	v_cndmask_b32_e32 v23, 0x7f800000, v33, vcc_lo
	v_cmp_lt_i32_e32 vcc_lo, 64, v4
	v_cndmask_b32_e32 v18, 0, v18, vcc_lo
	v_cmp_lt_i32_e32 vcc_lo, 0x60, v4
	s_waitcnt vmcnt(7)
	s_delay_alu instid0(VALU_DEP_2) | instskip(SKIP_2) | instid1(VALU_DEP_3)
	v_dual_mul_f32 v5, v5, v18 :: v_dual_add_f32 v18, v16, v17
	v_cndmask_b32_e32 v19, 0, v19, vcc_lo
	v_cmp_lt_i32_e32 vcc_lo, 0x80, v4
	v_add_f32_e32 v18, v18, v5
	v_cndmask_b32_e32 v20, 0, v20, vcc_lo
	v_cmp_lt_i32_e32 vcc_lo, 0xa0, v4
	s_waitcnt vmcnt(6)
	v_dual_cndmask_b32 v22, 0, v22 :: v_dual_mul_f32 v7, v7, v19
	v_cmp_lt_i32_e32 vcc_lo, 0xc0, v4
	s_waitcnt vmcnt(4)
	s_delay_alu instid0(VALU_DEP_2) | instskip(NEXT) | instid1(VALU_DEP_3)
	v_dual_mul_f32 v9, v9, v20 :: v_dual_mul_f32 v10, v10, v22
	v_add_f32_e32 v18, v18, v7
	v_cndmask_b32_e32 v23, 0, v23, vcc_lo
	v_cmp_nlt_f32_e32 vcc_lo, 0x42b17218, v25
	v_cvt_i32_f32_e32 v22, v56
	s_waitcnt vmcnt(3)
	s_delay_alu instid0(VALU_DEP_3) | instskip(NEXT) | instid1(VALU_DEP_1)
	v_dual_add_f32 v18, v18, v9 :: v_dual_mul_f32 v3, v3, v23
	v_add_f32_e32 v18, v18, v10
	v_cndmask_b32_e32 v19, 0x7f800000, v34, vcc_lo
	v_cmp_ngt_f32_e32 vcc_lo, 0xc2ce8ed0, v21
	s_delay_alu instid0(VALU_DEP_3) | instskip(SKIP_4) | instid1(VALU_DEP_4)
	v_add_f32_e32 v18, v18, v3
	v_cndmask_b32_e32 v20, 0, v35, vcc_lo
	v_cmp_lt_i32_e32 vcc_lo, 0xe0, v4
	v_cndmask_b32_e32 v19, 0, v19, vcc_lo
	v_cmp_nlt_f32_e32 vcc_lo, 0x42b17218, v21
	v_cndmask_b32_e32 v20, 0x7f800000, v20, vcc_lo
	v_cmp_lt_i32_e32 vcc_lo, 0x100, v4
	s_delay_alu instid0(VALU_DEP_2)
	v_cndmask_b32_e32 v20, 0, v20, vcc_lo
	s_waitcnt vmcnt(2)
	v_mul_f32_e32 v8, v8, v19
	v_ldexp_f32 v19, v36, v22
	v_cmp_ngt_f32_e32 vcc_lo, 0xc2ce8ed0, v2
	s_waitcnt vmcnt(1)
	v_mul_f32_e32 v12, v12, v20
	s_delay_alu instid0(VALU_DEP_3) | instskip(SKIP_1) | instid1(VALU_DEP_2)
	v_dual_add_f32 v18, v18, v8 :: v_dual_cndmask_b32 v19, 0, v19
	v_cmp_nlt_f32_e32 vcc_lo, 0x42b17218, v2
	v_cndmask_b32_e32 v2, 0x7f800000, v19, vcc_lo
	v_cmp_lt_i32_e32 vcc_lo, 0x120, v4
	s_delay_alu instid0(VALU_DEP_2) | instskip(SKIP_2) | instid1(VALU_DEP_1)
	v_cndmask_b32_e32 v4, 0, v2, vcc_lo
	v_add_f32_e32 v2, v18, v12
	s_waitcnt vmcnt(0)
	v_fmac_f32_e32 v2, v14, v4
	v_mul_f32_e32 v4, v14, v4
	ds_bpermute_b32 v6, v6, v2
	s_waitcnt lgkmcnt(0)
	v_add_f32_e32 v2, v2, v6
	v_lshlrev_b32_e32 v6, 2, v0
	ds_bpermute_b32 v1, v1, v2
	ds_store_2addr_b32 v6, v16, v17 offset1:32
	s_waitcnt lgkmcnt(1)
	v_add_f32_e32 v1, v2, v1
	ds_bpermute_b32 v2, v11, v1
	v_add_nc_u32_e32 v11, 0x400, v6
	s_waitcnt lgkmcnt(0)
	v_add_f32_e32 v1, v1, v2
	ds_store_2addr_b32 v6, v5, v7 offset0:64 offset1:96
	ds_store_2addr_b32 v6, v9, v10 offset0:128 offset1:160
	;; [unrolled: 1-line block ×3, first 2 shown]
	ds_store_2addr_b32 v11, v12, v4 offset1:32
	ds_bpermute_b32 v2, v13, v1
	s_waitcnt lgkmcnt(0)
	v_add_f32_e32 v1, v1, v2
	ds_bpermute_b32 v2, v15, v1
	v_cmpx_eq_u32_e32 0, v0
	s_cbranch_execz .LBB87_8
; %bb.7:
	s_waitcnt lgkmcnt(0)
	v_dual_add_f32 v1, v1, v2 :: v_dual_mov_b32 v2, 0
	ds_store_b32 v2, v1 offset:1280
.LBB87_8:
	s_or_b32 exec_lo, exec_lo, s7
	v_mov_b32_e32 v1, s6
.LBB87_9:
	s_or_b32 exec_lo, exec_lo, s24
	s_lshl_b32 s6, s18, 6
	s_mov_b32 s7, 0
	s_waitcnt lgkmcnt(0)
	v_dual_mov_b32 v2, 0 :: v_dual_lshlrev_b32 v1, 6, v1
	s_lshl_b64 s[6:7], s[6:7], 1
	v_lshlrev_b32_e32 v0, 1, v0
	s_add_u32 s34, s4, s6
	s_addc_u32 s35, s5, s7
	s_lshl_b32 s41, s40, 6
	v_lshlrev_b64 v[3:4], 1, v[1:2]
	s_sub_i32 s42, s41, 64
	s_cmpk_lt_i32 s22, 0x100
	v_dual_mov_b32 v30, 0 :: v_dual_mov_b32 v33, 0
	s_cselect_b32 s4, s42, 0
	s_delay_alu instid0(VALU_DEP_2)
	v_add_co_u32 v1, vcc_lo, s34, v3
	s_ashr_i32 s5, s4, 31
	v_add_co_ci_u32_e32 v3, vcc_lo, s35, v4, vcc_lo
	s_lshl_b64 s[4:5], s[4:5], 1
	s_cmpk_lt_i32 s22, 0x200
	v_add_co_u32 v1, vcc_lo, v1, v0
	s_cselect_b32 s6, s42, 64
	v_add_co_ci_u32_e32 v3, vcc_lo, 0, v3, vcc_lo
	s_ashr_i32 s7, s6, 31
	s_delay_alu instid0(VALU_DEP_2)
	v_add_co_u32 v4, vcc_lo, v1, s4
	s_lshl_b64 s[6:7], s[6:7], 1
	s_cmpk_lt_i32 s22, 0x300
	v_add_co_ci_u32_e32 v5, vcc_lo, s5, v3, vcc_lo
	s_cselect_b32 s8, s42, 0x80
	v_add_co_u32 v8, vcc_lo, v1, s6
	s_ashr_i32 s9, s8, 31
	v_add_co_ci_u32_e32 v9, vcc_lo, s7, v3, vcc_lo
	s_lshl_b64 s[8:9], s[8:9], 1
	s_cmpk_lt_i32 s22, 0x400
	v_add_co_u32 v10, vcc_lo, v1, s8
	s_cselect_b32 s10, s42, 0xc0
	v_add_co_ci_u32_e32 v11, vcc_lo, s9, v3, vcc_lo
	s_ashr_i32 s11, s10, 31
	v_dual_mov_b32 v32, 0 :: v_dual_mov_b32 v35, 0
	s_lshl_b64 s[10:11], s[10:11], 1
	s_cmpk_lt_i32 s22, 0x500
	v_add_co_u32 v12, vcc_lo, v1, s10
	s_cselect_b32 s18, s42, 0x100
	v_add_co_ci_u32_e32 v13, vcc_lo, s11, v3, vcc_lo
	s_ashr_i32 s19, s18, 31
	v_mov_b32_e32 v34, 0
	s_lshl_b64 s[18:19], s[18:19], 1
	s_cmpk_lt_i32 s22, 0x600
	v_add_co_u32 v14, vcc_lo, v1, s18
	s_cselect_b32 s20, s42, 0x140
	v_add_co_ci_u32_e32 v15, vcc_lo, s19, v3, vcc_lo
	s_ashr_i32 s21, s20, 31
	v_mov_b32_e32 v29, 0
	;; [unrolled: 7-line block ×3, first 2 shown]
	s_lshl_b64 s[24:25], s[24:25], 1
	s_cmpk_lt_i32 s22, 0x800
	v_add_co_u32 v18, vcc_lo, v1, s24
	s_cselect_b32 s26, s42, 0x1c0
	v_add_co_ci_u32_e32 v19, vcc_lo, s25, v3, vcc_lo
	s_ashr_i32 s27, s26, 31
	s_delay_alu instid0(SALU_CYCLE_1)
	s_lshl_b64 s[26:27], s[26:27], 1
	s_cmpk_lt_i32 s22, 0x900
	v_add_co_u32 v20, vcc_lo, v1, s26
	s_cselect_b32 s28, s42, 0x200
	v_add_co_ci_u32_e32 v21, vcc_lo, s27, v3, vcc_lo
	s_ashr_i32 s29, s28, 31
	s_clause 0x7
	global_load_u16 v7, v[4:5], off
	global_load_u16 v8, v[8:9], off
	;; [unrolled: 1-line block ×8, first 2 shown]
	s_lshl_b64 s[28:29], s[28:29], 1
	s_cmpk_lt_i32 s22, 0xa00
	v_add_co_u32 v12, vcc_lo, v1, s28
	s_cselect_b32 s30, s42, 0x240
	v_add_co_ci_u32_e32 v13, vcc_lo, s29, v3, vcc_lo
	s_ashr_i32 s31, s30, 31
	s_delay_alu instid0(SALU_CYCLE_1)
	s_lshl_b64 s[30:31], s[30:31], 1
	s_cmpk_lt_i32 s22, 0xb00
	v_add_co_u32 v15, vcc_lo, v1, s30
	s_cselect_b32 s34, s42, 0x280
	v_add_co_ci_u32_e32 v16, vcc_lo, s31, v3, vcc_lo
	s_ashr_i32 s35, s34, 31
	s_delay_alu instid0(SALU_CYCLE_1)
	;; [unrolled: 7-line block ×7, first 2 shown]
	s_lshl_b64 s[4:5], s[6:7], 1
	s_cmpk_gt_i32 s23, 0x1000
	v_add_co_u32 v27, vcc_lo, v1, s4
	v_add_co_ci_u32_e32 v28, vcc_lo, s5, v3, vcc_lo
	s_clause 0x7
	global_load_u16 v14, v[12:13], off
	global_load_u16 v15, v[15:16], off
	global_load_u16 v16, v[17:18], off
	global_load_u16 v17, v[19:20], off
	global_load_u16 v18, v[21:22], off
	global_load_u16 v12, v[23:24], off
	global_load_u16 v13, v[25:26], off
	global_load_u16 v19, v[27:28], off
	v_dual_mov_b32 v20, 0 :: v_dual_mov_b32 v23, 0
	v_dual_mov_b32 v21, 0 :: v_dual_mov_b32 v22, 0
	;; [unrolled: 1-line block ×4, first 2 shown]
	v_mov_b32_e32 v28, 0
	s_cselect_b32 s8, -1, 0
	s_cmpk_lt_i32 s23, 0x1001
	s_waitcnt vmcnt(0)
	s_barrier
	buffer_gl0_inv
	s_cbranch_scc1 .LBB87_11
; %bb.10:
	s_cmpk_lt_i32 s22, 0x1100
	s_cselect_b32 s4, s42, 0x400
	s_delay_alu instid0(SALU_CYCLE_1) | instskip(NEXT) | instid1(SALU_CYCLE_1)
	s_ashr_i32 s5, s4, 31
	s_lshl_b64 s[4:5], s[4:5], 1
	s_cmpk_lt_i32 s22, 0x1200
	v_add_co_u32 v20, vcc_lo, v1, s4
	s_cselect_b32 s6, s42, 0x440
	v_add_co_ci_u32_e32 v21, vcc_lo, s5, v3, vcc_lo
	s_ashr_i32 s7, s6, 31
	s_delay_alu instid0(SALU_CYCLE_1)
	s_lshl_b64 s[6:7], s[6:7], 1
	s_cmpk_lt_i32 s22, 0x1300
	v_add_co_u32 v22, vcc_lo, v1, s6
	s_cselect_b32 s10, s42, 0x480
	v_add_co_ci_u32_e32 v23, vcc_lo, s7, v3, vcc_lo
	s_ashr_i32 s11, s10, 31
	s_delay_alu instid0(SALU_CYCLE_1)
	;; [unrolled: 7-line block ×7, first 2 shown]
	s_lshl_b64 s[28:29], s[28:29], 1
	s_cmpk_lt_i32 s22, 0x1900
	v_add_co_u32 v34, vcc_lo, v1, s28
	s_cselect_b32 s30, s42, 0x600
	v_add_co_ci_u32_e32 v35, vcc_lo, s29, v3, vcc_lo
	s_ashr_i32 s31, s30, 31
	s_clause 0x7
	global_load_u16 v36, v[20:21], off
	global_load_u16 v37, v[22:23], off
	;; [unrolled: 1-line block ×8, first 2 shown]
	s_lshl_b64 s[30:31], s[30:31], 1
	s_cmpk_lt_i32 s22, 0x1a00
	v_add_co_u32 v20, vcc_lo, v1, s30
	s_cselect_b32 s34, s42, 0x640
	v_add_co_ci_u32_e32 v21, vcc_lo, s31, v3, vcc_lo
	s_ashr_i32 s35, s34, 31
	s_delay_alu instid0(SALU_CYCLE_1)
	s_lshl_b64 s[34:35], s[34:35], 1
	s_cmpk_lt_i32 s22, 0x1b00
	v_add_co_u32 v22, vcc_lo, v1, s34
	s_cselect_b32 s36, s42, 0x680
	v_add_co_ci_u32_e32 v23, vcc_lo, s35, v3, vcc_lo
	s_ashr_i32 s37, s36, 31
	s_delay_alu instid0(SALU_CYCLE_1)
	;; [unrolled: 7-line block ×6, first 2 shown]
	s_lshl_b64 s[4:5], s[20:21], 1
	s_cmpk_lt_i32 s22, 0x2000
	v_add_co_u32 v32, vcc_lo, v1, s4
	s_cselect_b32 s6, s42, 0x7c0
	v_add_co_ci_u32_e32 v33, vcc_lo, s5, v3, vcc_lo
	s_ashr_i32 s7, s6, 31
	s_delay_alu instid0(SALU_CYCLE_1) | instskip(NEXT) | instid1(SALU_CYCLE_1)
	s_lshl_b64 s[4:5], s[6:7], 1
	v_add_co_u32 v34, vcc_lo, v1, s4
	v_add_co_ci_u32_e32 v35, vcc_lo, s5, v3, vcc_lo
	s_clause 0x7
	global_load_u16 v20, v[20:21], off
	global_load_u16 v21, v[22:23], off
	;; [unrolled: 1-line block ×8, first 2 shown]
	s_waitcnt vmcnt(15)
	v_cvt_f32_f16_e32 v35, v36
	s_waitcnt vmcnt(14)
	v_cvt_f32_f16_e32 v34, v37
	;; [unrolled: 2-line block ×16, first 2 shown]
.LBB87_11:
	ds_load_b128 v[36:39], v2
	ds_load_b128 v[40:43], v2 offset:16
	s_load_b64 s[0:1], s[0:1], 0x0
	s_and_b32 vcc_lo, exec_lo, s8
	s_waitcnt lgkmcnt(0)
	v_fma_mix_f32 v7, v36, v7, 0 op_sel_hi:[0,1,0]
	s_delay_alu instid0(VALU_DEP_1) | instskip(NEXT) | instid1(VALU_DEP_1)
	v_fma_mix_f32 v7, v37, v8, v7 op_sel_hi:[0,1,0]
	v_fma_mix_f32 v7, v38, v9, v7 op_sel_hi:[0,1,0]
	s_delay_alu instid0(VALU_DEP_1) | instskip(SKIP_4) | instid1(VALU_DEP_1)
	v_fma_mix_f32 v7, v39, v10, v7 op_sel_hi:[0,1,0]
	ds_load_b128 v[36:39], v2 offset:48
	v_fma_mix_f32 v11, v40, v11, v7 op_sel_hi:[0,1,0]
	ds_load_b128 v[7:10], v2 offset:32
	v_fma_mix_f32 v4, v41, v4, v11 op_sel_hi:[0,1,0]
	v_fma_mix_f32 v4, v42, v5, v4 op_sel_hi:[0,1,0]
	s_delay_alu instid0(VALU_DEP_1) | instskip(SKIP_1) | instid1(VALU_DEP_1)
	v_fma_mix_f32 v4, v43, v6, v4 op_sel_hi:[0,1,0]
	s_waitcnt lgkmcnt(0)
	v_fma_mix_f32 v4, v7, v14, v4 op_sel_hi:[0,1,0]
	s_delay_alu instid0(VALU_DEP_1) | instskip(NEXT) | instid1(VALU_DEP_1)
	v_fma_mix_f32 v4, v8, v15, v4 op_sel_hi:[0,1,0]
	v_fma_mix_f32 v4, v9, v16, v4 op_sel_hi:[0,1,0]
	s_delay_alu instid0(VALU_DEP_1) | instskip(NEXT) | instid1(VALU_DEP_1)
	v_fma_mix_f32 v4, v10, v17, v4 op_sel_hi:[0,1,0]
	;; [unrolled: 3-line block ×3, first 2 shown]
	v_fma_mix_f32 v4, v38, v13, v4 op_sel_hi:[0,1,0]
	s_delay_alu instid0(VALU_DEP_1)
	v_fma_mix_f32 v4, v39, v19, v4 op_sel_hi:[0,1,0]
	s_cbranch_vccz .LBB87_13
; %bb.12:
	ds_load_b128 v[5:8], v2 offset:64
	ds_load_b128 v[9:12], v2 offset:80
	s_waitcnt lgkmcnt(1)
	v_fmac_f32_e32 v4, v5, v35
	s_delay_alu instid0(VALU_DEP_1) | instskip(NEXT) | instid1(VALU_DEP_1)
	v_fmac_f32_e32 v4, v6, v34
	v_fmac_f32_e32 v4, v7, v33
	s_delay_alu instid0(VALU_DEP_1) | instskip(SKIP_3) | instid1(VALU_DEP_1)
	v_fmac_f32_e32 v4, v8, v32
	ds_load_b128 v[5:8], v2 offset:96
	s_waitcnt lgkmcnt(1)
	v_fmac_f32_e32 v4, v9, v31
	v_fmac_f32_e32 v4, v10, v30
	s_delay_alu instid0(VALU_DEP_1) | instskip(NEXT) | instid1(VALU_DEP_1)
	v_fmac_f32_e32 v4, v11, v29
	v_fmac_f32_e32 v4, v12, v28
	ds_load_b128 v[9:12], v2 offset:112
	s_waitcnt lgkmcnt(1)
	v_fmac_f32_e32 v4, v5, v27
	s_delay_alu instid0(VALU_DEP_1) | instskip(NEXT) | instid1(VALU_DEP_1)
	v_fmac_f32_e32 v4, v6, v26
	v_fmac_f32_e32 v4, v7, v25
	s_delay_alu instid0(VALU_DEP_1) | instskip(SKIP_1) | instid1(VALU_DEP_1)
	v_fmac_f32_e32 v4, v8, v24
	s_waitcnt lgkmcnt(0)
	v_fmac_f32_e32 v4, v9, v23
	s_delay_alu instid0(VALU_DEP_1) | instskip(NEXT) | instid1(VALU_DEP_1)
	v_fmac_f32_e32 v4, v10, v22
	v_fmac_f32_e32 v4, v11, v21
	s_delay_alu instid0(VALU_DEP_1)
	v_fmac_f32_e32 v4, v12, v20
.LBB87_13:
	s_movk_i32 s43, 0xfc0
	s_movk_i32 s44, 0x80
	s_mov_b32 s45, 32
	s_branch .LBB87_15
.LBB87_14:                              ;   in Loop: Header=BB87_15 Depth=1
	s_addk_i32 s43, 0x800
	s_addk_i32 s44, 0x80
	s_add_i32 s45, s45, 32
	s_cmpk_eq_i32 s43, 0x57c0
	s_cbranch_scc1 .LBB87_17
.LBB87_15:                              ; =>This Inner Loop Header: Depth=1
	s_cmp_le_i32 s40, s45
	s_cbranch_scc1 .LBB87_14
; %bb.16:                               ;   in Loop: Header=BB87_15 Depth=1
	s_add_i32 s4, s43, 0xfffff840
	v_mov_b32_e32 v44, s44
	s_cmp_lt_i32 s4, s41
	s_cselect_b32 s4, s4, s42
	s_add_i32 s6, s43, 0xfffff880
	s_ashr_i32 s5, s4, 31
	s_delay_alu instid0(SALU_CYCLE_1)
	s_lshl_b64 s[4:5], s[4:5], 1
	s_cmp_lt_i32 s6, s41
	v_add_co_u32 v5, vcc_lo, v1, s4
	s_cselect_b32 s6, s6, s42
	s_add_i32 s10, s43, 0xfffff8c0
	s_ashr_i32 s7, s6, 31
	v_add_co_ci_u32_e32 v6, vcc_lo, s5, v3, vcc_lo
	s_lshl_b64 s[8:9], s[6:7], 1
	s_cmp_lt_i32 s10, s41
	v_add_co_u32 v7, vcc_lo, v1, s8
	s_cselect_b32 s6, s10, s42
	s_add_i32 s10, s43, 0xfffff900
	s_ashr_i32 s7, s6, 31
	v_add_co_ci_u32_e32 v8, vcc_lo, s9, v3, vcc_lo
	;; [unrolled: 7-line block ×8, first 2 shown]
	s_lshl_b64 s[24:25], s[20:21], 1
	s_cmp_lt_i32 s28, s41
	s_clause 0x7
	global_load_u16 v2, v[5:6], off
	global_load_u16 v21, v[7:8], off
	;; [unrolled: 1-line block ×8, first 2 shown]
	s_cselect_b32 s20, s28, s42
	s_add_i32 s28, s43, 0xfffffac0
	s_ashr_i32 s21, s20, 31
	v_add_co_u32 v5, vcc_lo, v1, s24
	s_lshl_b64 s[20:21], s[20:21], 1
	s_cmp_lt_i32 s28, s41
	v_add_co_ci_u32_e32 v6, vcc_lo, s25, v3, vcc_lo
	s_cselect_b32 s28, s28, s42
	s_add_i32 s36, s43, 0xfffffb00
	s_ashr_i32 s29, s28, 31
	v_add_co_u32 v7, vcc_lo, v1, s20
	s_lshl_b64 s[30:31], s[28:29], 1
	s_cmp_lt_i32 s36, s41
	v_add_co_ci_u32_e32 v8, vcc_lo, s21, v3, vcc_lo
	;; [unrolled: 7-line block ×8, first 2 shown]
	s_cselect_b32 s10, s10, s42
	s_add_i32 s18, s43, 0xfffffcc0
	s_ashr_i32 s11, s10, 31
	s_clause 0x7
	global_load_u16 v28, v[5:6], off
	global_load_u16 v29, v[7:8], off
	;; [unrolled: 1-line block ×8, first 2 shown]
	s_lshl_b64 s[10:11], s[10:11], 1
	s_cmp_lt_i32 s18, s41
	v_add_co_u32 v5, vcc_lo, v1, s4
	s_cselect_b32 s18, s18, s42
	s_add_i32 s22, s43, 0xfffffd00
	s_ashr_i32 s19, s18, 31
	v_add_co_ci_u32_e32 v6, vcc_lo, s5, v3, vcc_lo
	s_lshl_b64 s[18:19], s[18:19], 1
	s_cmp_lt_i32 s22, s41
	v_add_co_u32 v7, vcc_lo, v1, s10
	s_cselect_b32 s20, s22, s42
	s_add_i32 s22, s43, 0xfffffd40
	s_ashr_i32 s21, s20, 31
	v_add_co_ci_u32_e32 v8, vcc_lo, s11, v3, vcc_lo
	;; [unrolled: 7-line block ×5, first 2 shown]
	s_lshl_b64 s[6:7], s[6:7], 1
	s_cmp_lt_i32 s24, s41
	s_clause 0x4
	global_load_u16 v19, v[5:6], off
	global_load_u16 v20, v[7:8], off
	;; [unrolled: 1-line block ×5, first 2 shown]
	s_cselect_b32 s4, s24, s42
	s_add_i32 s10, s43, 0xfffffe40
	s_ashr_i32 s5, s4, 31
	v_add_co_u32 v5, vcc_lo, v1, s8
	s_lshl_b64 s[4:5], s[4:5], 1
	s_cmp_lt_i32 s10, s41
	v_add_co_ci_u32_e32 v6, vcc_lo, s9, v3, vcc_lo
	s_cselect_b32 s10, s10, s42
	s_add_i32 s18, s43, 0xfffffe80
	s_ashr_i32 s11, s10, 31
	v_add_co_u32 v7, vcc_lo, v1, s6
	s_lshl_b64 s[10:11], s[10:11], 1
	s_cmp_lt_i32 s18, s41
	v_add_co_ci_u32_e32 v8, vcc_lo, s7, v3, vcc_lo
	s_cselect_b32 s18, s18, s42
	s_add_i32 s20, s43, 0xfffffec0
	s_ashr_i32 s19, s18, 31
	v_add_co_u32 v9, vcc_lo, v1, s4
	s_lshl_b64 s[18:19], s[18:19], 1
	s_cmp_lt_i32 s20, s41
	global_load_u16 v37, v[5:6], off
	s_cselect_b32 s8, s20, s42
	s_add_i32 s20, s43, 0xffffff00
	s_ashr_i32 s9, s8, 31
	v_add_co_ci_u32_e32 v10, vcc_lo, s5, v3, vcc_lo
	s_lshl_b64 s[6:7], s[8:9], 1
	s_cmp_lt_i32 s20, s41
	v_add_co_u32 v11, vcc_lo, v1, s10
	s_cselect_b32 s4, s20, s42
	s_clause 0x1
	global_load_u16 v38, v[7:8], off
	global_load_u16 v39, v[9:10], off
	v_add_co_ci_u32_e32 v12, vcc_lo, s11, v3, vcc_lo
	s_ashr_i32 s5, s4, 31
	s_add_i32 s8, s43, 0xffffff40
	v_add_co_u32 v13, vcc_lo, v1, s18
	s_lshl_b64 s[4:5], s[4:5], 1
	s_cmp_lt_i32 s8, s41
	v_add_co_ci_u32_e32 v14, vcc_lo, s19, v3, vcc_lo
	v_add_co_u32 v15, vcc_lo, v1, s6
	s_cselect_b32 s8, s8, s42
	v_add_co_ci_u32_e32 v16, vcc_lo, s7, v3, vcc_lo
	s_ashr_i32 s9, s8, 31
	s_add_i32 s10, s43, 0xffffff80
	s_lshl_b64 s[6:7], s[8:9], 1
	s_clause 0x2
	global_load_u16 v40, v[11:12], off
	global_load_u16 v13, v[13:14], off
	;; [unrolled: 1-line block ×3, first 2 shown]
	s_cmp_lt_i32 s10, s41
	v_add_co_u32 v5, vcc_lo, v1, s4
	s_cselect_b32 s8, s10, s42
	s_sub_i32 s10, s43, 64
	s_ashr_i32 s9, s8, 31
	v_add_co_ci_u32_e32 v6, vcc_lo, s5, v3, vcc_lo
	s_lshl_b64 s[8:9], s[8:9], 1
	s_cmp_lt_i32 s10, s41
	v_add_co_u32 v7, vcc_lo, v1, s6
	s_cselect_b32 s4, s10, s42
	v_add_co_ci_u32_e32 v8, vcc_lo, s7, v3, vcc_lo
	s_ashr_i32 s5, s4, 31
	v_add_co_u32 v9, vcc_lo, v1, s8
	global_load_u16 v15, v[5:6], off
	s_lshl_b64 s[4:5], s[4:5], 1
	v_add_co_ci_u32_e32 v10, vcc_lo, s9, v3, vcc_lo
	s_cmp_lt_i32 s43, s41
	s_clause 0x1
	global_load_u16 v16, v[7:8], off
	global_load_u16 v41, v[9:10], off
	s_cselect_b32 s6, s43, s42
	v_add_co_u32 v5, vcc_lo, v1, s4
	s_ashr_i32 s7, s6, 31
	v_add_co_ci_u32_e32 v6, vcc_lo, s5, v3, vcc_lo
	s_lshl_b64 s[4:5], s[6:7], 1
	s_delay_alu instid0(SALU_CYCLE_1)
	v_add_co_u32 v7, vcc_lo, v1, s4
	v_add_co_ci_u32_e32 v8, vcc_lo, s5, v3, vcc_lo
	s_clause 0x1
	global_load_u16 v42, v[5:6], off
	global_load_u16 v43, v[7:8], off
	ds_load_b128 v[5:8], v44
	ds_load_b128 v[9:12], v44 offset:16
	s_waitcnt vmcnt(31) lgkmcnt(1)
	v_fma_mix_f32 v2, v5, v2, v4 op_sel_hi:[0,1,0]
	s_waitcnt vmcnt(30)
	s_delay_alu instid0(VALU_DEP_1) | instskip(SKIP_1) | instid1(VALU_DEP_1)
	v_fma_mix_f32 v2, v6, v21, v2 op_sel_hi:[0,1,0]
	s_waitcnt vmcnt(29)
	v_fma_mix_f32 v2, v7, v22, v2 op_sel_hi:[0,1,0]
	ds_load_b128 v[4:7], v44 offset:32
	s_waitcnt vmcnt(28)
	v_fma_mix_f32 v2, v8, v23, v2 op_sel_hi:[0,1,0]
	s_waitcnt vmcnt(27) lgkmcnt(1)
	s_delay_alu instid0(VALU_DEP_1) | instskip(SKIP_1) | instid1(VALU_DEP_1)
	v_fma_mix_f32 v2, v9, v24, v2 op_sel_hi:[0,1,0]
	s_waitcnt vmcnt(26)
	v_fma_mix_f32 v2, v10, v25, v2 op_sel_hi:[0,1,0]
	s_waitcnt vmcnt(25)
	s_delay_alu instid0(VALU_DEP_1) | instskip(SKIP_4) | instid1(VALU_DEP_1)
	v_fma_mix_f32 v2, v11, v26, v2 op_sel_hi:[0,1,0]
	ds_load_b128 v[8:11], v44 offset:48
	s_waitcnt vmcnt(24)
	v_fma_mix_f32 v2, v12, v27, v2 op_sel_hi:[0,1,0]
	s_waitcnt vmcnt(23) lgkmcnt(1)
	v_fma_mix_f32 v2, v4, v28, v2 op_sel_hi:[0,1,0]
	s_waitcnt vmcnt(22)
	s_delay_alu instid0(VALU_DEP_1) | instskip(SKIP_1) | instid1(VALU_DEP_1)
	v_fma_mix_f32 v2, v5, v29, v2 op_sel_hi:[0,1,0]
	s_waitcnt vmcnt(21)
	v_fma_mix_f32 v2, v6, v30, v2 op_sel_hi:[0,1,0]
	s_waitcnt vmcnt(20)
	s_delay_alu instid0(VALU_DEP_1) | instskip(SKIP_4) | instid1(VALU_DEP_1)
	v_fma_mix_f32 v2, v7, v31, v2 op_sel_hi:[0,1,0]
	ds_load_b128 v[4:7], v44 offset:64
	s_waitcnt vmcnt(19) lgkmcnt(1)
	v_fma_mix_f32 v2, v8, v32, v2 op_sel_hi:[0,1,0]
	s_waitcnt vmcnt(18)
	v_fma_mix_f32 v2, v9, v33, v2 op_sel_hi:[0,1,0]
	s_waitcnt vmcnt(17)
	s_delay_alu instid0(VALU_DEP_1) | instskip(SKIP_1) | instid1(VALU_DEP_1)
	v_fma_mix_f32 v2, v10, v17, v2 op_sel_hi:[0,1,0]
	s_waitcnt vmcnt(16)
	v_fma_mix_f32 v2, v11, v18, v2 op_sel_hi:[0,1,0]
	ds_load_b128 v[8:11], v44 offset:80
	s_waitcnt vmcnt(15) lgkmcnt(1)
	v_fma_mix_f32 v2, v4, v19, v2 op_sel_hi:[0,1,0]
	s_waitcnt vmcnt(14)
	s_delay_alu instid0(VALU_DEP_1) | instskip(SKIP_1) | instid1(VALU_DEP_1)
	v_fma_mix_f32 v2, v5, v20, v2 op_sel_hi:[0,1,0]
	s_waitcnt vmcnt(13)
	v_fma_mix_f32 v2, v6, v34, v2 op_sel_hi:[0,1,0]
	s_waitcnt vmcnt(12)
	s_delay_alu instid0(VALU_DEP_1) | instskip(SKIP_4) | instid1(VALU_DEP_1)
	v_fma_mix_f32 v2, v7, v35, v2 op_sel_hi:[0,1,0]
	ds_load_b128 v[4:7], v44 offset:96
	s_waitcnt vmcnt(11) lgkmcnt(1)
	v_fma_mix_f32 v2, v8, v36, v2 op_sel_hi:[0,1,0]
	s_waitcnt vmcnt(10)
	v_fma_mix_f32 v2, v9, v37, v2 op_sel_hi:[0,1,0]
	s_waitcnt vmcnt(9)
	s_delay_alu instid0(VALU_DEP_1) | instskip(SKIP_1) | instid1(VALU_DEP_1)
	v_fma_mix_f32 v2, v10, v38, v2 op_sel_hi:[0,1,0]
	s_waitcnt vmcnt(8)
	v_fma_mix_f32 v2, v11, v39, v2 op_sel_hi:[0,1,0]
	ds_load_b128 v[8:11], v44 offset:112
	s_waitcnt vmcnt(7) lgkmcnt(1)
	v_fma_mix_f32 v2, v4, v40, v2 op_sel_hi:[0,1,0]
	s_waitcnt vmcnt(6)
	s_delay_alu instid0(VALU_DEP_1) | instskip(SKIP_1) | instid1(VALU_DEP_1)
	v_fma_mix_f32 v2, v5, v13, v2 op_sel_hi:[0,1,0]
	s_waitcnt vmcnt(5)
	v_fma_mix_f32 v2, v6, v14, v2 op_sel_hi:[0,1,0]
	s_waitcnt vmcnt(4)
	s_delay_alu instid0(VALU_DEP_1) | instskip(SKIP_1) | instid1(VALU_DEP_1)
	v_fma_mix_f32 v2, v7, v15, v2 op_sel_hi:[0,1,0]
	s_waitcnt vmcnt(3) lgkmcnt(0)
	v_fma_mix_f32 v2, v8, v16, v2 op_sel_hi:[0,1,0]
	s_waitcnt vmcnt(2)
	s_delay_alu instid0(VALU_DEP_1) | instskip(SKIP_1) | instid1(VALU_DEP_1)
	v_fma_mix_f32 v2, v9, v41, v2 op_sel_hi:[0,1,0]
	s_waitcnt vmcnt(1)
	v_fma_mix_f32 v2, v10, v42, v2 op_sel_hi:[0,1,0]
	s_waitcnt vmcnt(0)
	s_delay_alu instid0(VALU_DEP_1)
	v_fma_mix_f32 v4, v11, v43, v2 op_sel_hi:[0,1,0]
	s_branch .LBB87_14
.LBB87_17:
	v_mov_b32_e32 v1, 0
	s_and_b32 vcc_lo, exec_lo, s15
	ds_load_b32 v1, v1 offset:1280
	s_cbranch_vccz .LBB87_19
; %bb.18:
	s_add_u32 s2, s12, s16
	s_addc_u32 s3, s13, s17
	s_load_b32 s2, s[2:3], 0x0
	s_mov_b32 s3, 0
.LBB87_19:
	s_waitcnt lgkmcnt(0)
	v_add_f32_e32 v1, 0x358637bd, v1
	s_mul_i32 s3, s33, s3
	s_mul_hi_u32 s4, s33, s2
	s_mul_i32 s2, s33, s2
	s_add_i32 s3, s4, s3
	v_div_scale_f32 v2, null, v1, v1, 1.0
	s_lshl_b64 s[2:3], s[2:3], 7
	s_mov_b32 s15, 0
	s_add_u32 s2, s0, s2
	s_delay_alu instid0(VALU_DEP_1) | instskip(SKIP_2) | instid1(SALU_CYCLE_1)
	v_rcp_f32_e32 v3, v2
	s_addc_u32 s3, s1, s3
	s_lshl_b64 s[0:1], s[14:15], 7
	s_add_u32 s0, s2, s0
	s_addc_u32 s1, s3, s1
	s_waitcnt_depctr 0xfff
	v_fma_f32 v5, -v2, v3, 1.0
	s_delay_alu instid0(VALU_DEP_1) | instskip(SKIP_1) | instid1(VALU_DEP_1)
	v_fmac_f32_e32 v3, v5, v3
	v_div_scale_f32 v5, vcc_lo, 1.0, v1, 1.0
	v_mul_f32_e32 v6, v5, v3
	s_delay_alu instid0(VALU_DEP_1) | instskip(NEXT) | instid1(VALU_DEP_1)
	v_fma_f32 v7, -v2, v6, v5
	v_fmac_f32_e32 v6, v7, v3
	s_delay_alu instid0(VALU_DEP_1) | instskip(NEXT) | instid1(VALU_DEP_1)
	v_fma_f32 v2, -v2, v6, v5
	v_div_fmas_f32 v2, v2, v3, v6
	s_delay_alu instid0(VALU_DEP_1) | instskip(NEXT) | instid1(VALU_DEP_1)
	v_div_fixup_f32 v1, v2, v1, 1.0
	v_fma_mixlo_f16 v1, v4, v1, 0
	global_store_b16 v0, v1, s[0:1]
	s_nop 0
	s_sendmsg sendmsg(MSG_DEALLOC_VGPRS)
	s_endpgm
.LBB87_20:
	s_mov_b32 s4, 0
	s_branch .LBB87_2
	.section	.rodata,"a",@progbits
	.p2align	6, 0x0
	.amdhsa_kernel _Z35paged_attention_ll4mi_reduce_kernelIDF16_DF16_Li64ELi64ELi256ELi10EEvPT0_PKfS3_PKT_PKiS8_iS3_
		.amdhsa_group_segment_fixed_size 1284
		.amdhsa_private_segment_fixed_size 0
		.amdhsa_kernarg_size 320
		.amdhsa_user_sgpr_count 14
		.amdhsa_user_sgpr_dispatch_ptr 0
		.amdhsa_user_sgpr_queue_ptr 0
		.amdhsa_user_sgpr_kernarg_segment_ptr 1
		.amdhsa_user_sgpr_dispatch_id 0
		.amdhsa_user_sgpr_private_segment_size 0
		.amdhsa_wavefront_size32 1
		.amdhsa_uses_dynamic_stack 0
		.amdhsa_enable_private_segment 0
		.amdhsa_system_sgpr_workgroup_id_x 1
		.amdhsa_system_sgpr_workgroup_id_y 1
		.amdhsa_system_sgpr_workgroup_id_z 0
		.amdhsa_system_sgpr_workgroup_info 0
		.amdhsa_system_vgpr_workitem_id 0
		.amdhsa_next_free_vgpr 57
		.amdhsa_next_free_sgpr 47
		.amdhsa_reserve_vcc 1
		.amdhsa_float_round_mode_32 0
		.amdhsa_float_round_mode_16_64 0
		.amdhsa_float_denorm_mode_32 3
		.amdhsa_float_denorm_mode_16_64 3
		.amdhsa_dx10_clamp 1
		.amdhsa_ieee_mode 1
		.amdhsa_fp16_overflow 0
		.amdhsa_workgroup_processor_mode 1
		.amdhsa_memory_ordered 1
		.amdhsa_forward_progress 0
		.amdhsa_shared_vgpr_count 0
		.amdhsa_exception_fp_ieee_invalid_op 0
		.amdhsa_exception_fp_denorm_src 0
		.amdhsa_exception_fp_ieee_div_zero 0
		.amdhsa_exception_fp_ieee_overflow 0
		.amdhsa_exception_fp_ieee_underflow 0
		.amdhsa_exception_fp_ieee_inexact 0
		.amdhsa_exception_int_div_zero 0
	.end_amdhsa_kernel
	.section	.text._Z35paged_attention_ll4mi_reduce_kernelIDF16_DF16_Li64ELi64ELi256ELi10EEvPT0_PKfS3_PKT_PKiS8_iS3_,"axG",@progbits,_Z35paged_attention_ll4mi_reduce_kernelIDF16_DF16_Li64ELi64ELi256ELi10EEvPT0_PKfS3_PKT_PKiS8_iS3_,comdat
.Lfunc_end87:
	.size	_Z35paged_attention_ll4mi_reduce_kernelIDF16_DF16_Li64ELi64ELi256ELi10EEvPT0_PKfS3_PKT_PKiS8_iS3_, .Lfunc_end87-_Z35paged_attention_ll4mi_reduce_kernelIDF16_DF16_Li64ELi64ELi256ELi10EEvPT0_PKfS3_PKT_PKiS8_iS3_
                                        ; -- End function
	.section	.AMDGPU.csdata,"",@progbits
; Kernel info:
; codeLenInByte = 6932
; NumSgprs: 49
; NumVgprs: 57
; ScratchSize: 0
; MemoryBound: 0
; FloatMode: 240
; IeeeMode: 1
; LDSByteSize: 1284 bytes/workgroup (compile time only)
; SGPRBlocks: 6
; VGPRBlocks: 7
; NumSGPRsForWavesPerEU: 49
; NumVGPRsForWavesPerEU: 57
; Occupancy: 16
; WaveLimiterHint : 0
; COMPUTE_PGM_RSRC2:SCRATCH_EN: 0
; COMPUTE_PGM_RSRC2:USER_SGPR: 14
; COMPUTE_PGM_RSRC2:TRAP_HANDLER: 0
; COMPUTE_PGM_RSRC2:TGID_X_EN: 1
; COMPUTE_PGM_RSRC2:TGID_Y_EN: 1
; COMPUTE_PGM_RSRC2:TGID_Z_EN: 0
; COMPUTE_PGM_RSRC2:TIDIG_COMP_CNT: 0
	.section	.text._Z35paged_attention_ll4mi_reduce_kernelIDF16_DF16_Li64ELi64ELi256ELi11EEvPT0_PKfS3_PKT_PKiS8_iS3_,"axG",@progbits,_Z35paged_attention_ll4mi_reduce_kernelIDF16_DF16_Li64ELi64ELi256ELi11EEvPT0_PKfS3_PKT_PKiS8_iS3_,comdat
	.protected	_Z35paged_attention_ll4mi_reduce_kernelIDF16_DF16_Li64ELi64ELi256ELi11EEvPT0_PKfS3_PKT_PKiS8_iS3_ ; -- Begin function _Z35paged_attention_ll4mi_reduce_kernelIDF16_DF16_Li64ELi64ELi256ELi11EEvPT0_PKfS3_PKT_PKiS8_iS3_
	.globl	_Z35paged_attention_ll4mi_reduce_kernelIDF16_DF16_Li64ELi64ELi256ELi11EEvPT0_PKfS3_PKT_PKiS8_iS3_
	.p2align	8
	.type	_Z35paged_attention_ll4mi_reduce_kernelIDF16_DF16_Li64ELi64ELi256ELi11EEvPT0_PKfS3_PKT_PKiS8_iS3_,@function
_Z35paged_attention_ll4mi_reduce_kernelIDF16_DF16_Li64ELi64ELi256ELi11EEvPT0_PKfS3_PKT_PKiS8_iS3_: ; @_Z35paged_attention_ll4mi_reduce_kernelIDF16_DF16_Li64ELi64ELi256ELi11EEvPT0_PKfS3_PKT_PKiS8_iS3_
; %bb.0:
	s_load_b64 s[12:13], s[0:1], 0x28
	s_mov_b32 s2, s15
	s_waitcnt lgkmcnt(0)
	s_cmp_lg_u64 s[12:13], 0
	s_cselect_b32 s15, -1, 0
	s_delay_alu instid0(SALU_CYCLE_1)
	s_and_b32 vcc_lo, exec_lo, s15
	s_cbranch_vccz .LBB88_20
; %bb.1:
	s_add_i32 s4, s2, 1
	s_mov_b32 s5, 0
	s_delay_alu instid0(SALU_CYCLE_1) | instskip(SKIP_4) | instid1(SALU_CYCLE_1)
	s_lshl_b64 s[6:7], s[4:5], 2
	s_mov_b32 s3, s5
	s_add_u32 s6, s12, s6
	s_addc_u32 s7, s13, s7
	s_lshl_b64 s[8:9], s[2:3], 2
	s_add_u32 s8, s12, s8
	s_addc_u32 s9, s13, s9
	s_clause 0x1
	s_load_b32 s4, s[6:7], 0x0
	s_load_b32 s6, s[8:9], 0x0
	s_waitcnt lgkmcnt(0)
	s_sub_i32 s4, s4, s6
	s_delay_alu instid0(SALU_CYCLE_1)
	s_cmp_eq_u32 s4, 1
	s_cselect_b32 s4, -1, 0
	s_cbranch_execnz .LBB88_3
.LBB88_2:
	s_mov_b32 s3, 0
	s_mov_b32 s4, -1
.LBB88_3:
	s_delay_alu instid0(SALU_CYCLE_1)
	s_and_not1_b32 vcc_lo, exec_lo, s4
	s_cbranch_vccz .LBB88_5
; %bb.4:
	s_endpgm
.LBB88_5:
	s_clause 0x1
	s_load_b128 s[4:7], s[0:1], 0x18
	s_load_b32 s9, s[0:1], 0x30
	s_lshl_b64 s[16:17], s[2:3], 2
	s_waitcnt lgkmcnt(0)
	s_add_u32 s6, s6, s16
	s_addc_u32 s7, s7, s17
	s_load_b32 s23, s[6:7], 0x0
	s_load_b32 s33, s[0:1], 0x40
	s_mul_i32 s7, s2, s9
	s_waitcnt lgkmcnt(0)
	s_add_i32 s22, s23, 0xff
	s_delay_alu instid0(SALU_CYCLE_1) | instskip(NEXT) | instid1(SALU_CYCLE_1)
	s_ashr_i32 s6, s22, 31
	s_lshr_b32 s6, s6, 24
	s_delay_alu instid0(SALU_CYCLE_1) | instskip(SKIP_4) | instid1(SALU_CYCLE_1)
	s_add_i32 s8, s22, s6
	s_mul_i32 s6, s14, s9
	s_mov_b32 s9, exec_lo
	v_cmpx_lt_u32_e32 31, v0
	s_xor_b32 s9, exec_lo, s9
	s_or_saveexec_b32 s24, s9
	v_mov_b32_e32 v1, s6
	s_ashr_i32 s40, s8, 8
	s_mul_i32 s18, s7, s33
	s_xor_b32 exec_lo, exec_lo, s24
	s_cbranch_execz .LBB88_9
; %bb.6:
	v_or_b32_e32 v2, 32, v0
	v_cmp_gt_i32_e32 vcc_lo, s40, v0
	s_add_i32 s20, s40, -1
	v_or_b32_e32 v4, 64, v0
	v_or_b32_e32 v6, 0xa0, v0
	s_load_b128 s[8:11], s[0:1], 0x8
	v_cndmask_b32_e32 v1, s20, v0, vcc_lo
	v_cmp_gt_i32_e32 vcc_lo, s40, v2
	s_mov_b32 s19, 0
	s_delay_alu instid0(SALU_CYCLE_1)
	s_mov_b32 s7, s19
	v_cndmask_b32_e32 v3, s20, v2, vcc_lo
	v_or_b32_e32 v2, 0x60, v0
	v_cmp_gt_i32_e32 vcc_lo, s40, v4
	v_cndmask_b32_e32 v5, s20, v4, vcc_lo
	v_or_b32_e32 v4, 0x80, v0
	s_delay_alu instid0(VALU_DEP_4) | instskip(SKIP_1) | instid1(VALU_DEP_3)
	v_cmp_gt_i32_e32 vcc_lo, s40, v2
	v_cndmask_b32_e32 v7, s20, v2, vcc_lo
	v_cmp_gt_i32_e32 vcc_lo, s40, v4
	v_or_b32_e32 v2, 0xc0, v0
	s_delay_alu instid0(VALU_DEP_3) | instskip(SKIP_3) | instid1(VALU_DEP_4)
	v_ashrrev_i32_e32 v8, 31, v7
	v_cndmask_b32_e32 v9, s20, v4, vcc_lo
	v_cmp_gt_i32_e32 vcc_lo, s40, v6
	v_or_b32_e32 v4, 0xe0, v0
	v_lshlrev_b64 v[7:8], 2, v[7:8]
	s_delay_alu instid0(VALU_DEP_4) | instskip(SKIP_3) | instid1(VALU_DEP_4)
	v_ashrrev_i32_e32 v10, 31, v9
	v_cndmask_b32_e32 v11, s20, v6, vcc_lo
	v_cmp_gt_i32_e32 vcc_lo, s40, v2
	v_or_b32_e32 v6, 0x120, v0
	v_lshlrev_b64 v[9:10], 2, v[9:10]
	s_delay_alu instid0(VALU_DEP_4) | instskip(SKIP_3) | instid1(VALU_DEP_4)
	v_ashrrev_i32_e32 v12, 31, v11
	v_cndmask_b32_e32 v13, s20, v2, vcc_lo
	v_or_b32_e32 v2, 0x100, v0
	v_cmp_gt_i32_e32 vcc_lo, s40, v4
	v_lshlrev_b64 v[11:12], 2, v[11:12]
	s_delay_alu instid0(VALU_DEP_4) | instskip(SKIP_3) | instid1(VALU_DEP_4)
	v_ashrrev_i32_e32 v14, 31, v13
	v_cndmask_b32_e32 v15, s20, v4, vcc_lo
	v_cmp_gt_i32_e32 vcc_lo, s40, v2
	v_or_b32_e32 v4, 0x140, v0
	v_lshlrev_b64 v[13:14], 2, v[13:14]
	s_delay_alu instid0(VALU_DEP_4) | instskip(SKIP_3) | instid1(VALU_DEP_4)
	v_ashrrev_i32_e32 v16, 31, v15
	v_cndmask_b32_e32 v17, s20, v2, vcc_lo
	v_cmp_gt_i32_e32 vcc_lo, s40, v6
	v_ashrrev_i32_e32 v2, 31, v1
	v_lshlrev_b64 v[15:16], 2, v[15:16]
	s_delay_alu instid0(VALU_DEP_4)
	v_ashrrev_i32_e32 v18, 31, v17
	v_cndmask_b32_e32 v19, s20, v6, vcc_lo
	v_cmp_gt_i32_e32 vcc_lo, s40, v4
	v_lshlrev_b64 v[1:2], 2, v[1:2]
	v_ashrrev_i32_e32 v6, 31, v5
	v_lshlrev_b64 v[17:18], 2, v[17:18]
	v_ashrrev_i32_e32 v20, 31, v19
	v_cndmask_b32_e32 v21, s20, v4, vcc_lo
	v_ashrrev_i32_e32 v4, 31, v3
	s_lshl_b64 s[20:21], s[18:19], 2
	v_lshlrev_b64 v[5:6], 2, v[5:6]
	s_waitcnt lgkmcnt(0)
	s_add_u32 s19, s10, s20
	s_addc_u32 s25, s11, s21
	s_lshl_b64 s[10:11], s[6:7], 2
	v_lshlrev_b64 v[3:4], 2, v[3:4]
	s_add_u32 s7, s19, s10
	s_addc_u32 s19, s25, s11
	v_add_co_u32 v22, vcc_lo, s7, v1
	v_add_co_ci_u32_e32 v23, vcc_lo, s19, v2, vcc_lo
	s_delay_alu instid0(VALU_DEP_3)
	v_add_co_u32 v24, vcc_lo, s7, v3
	v_add_co_ci_u32_e32 v25, vcc_lo, s19, v4, vcc_lo
	v_add_co_u32 v26, vcc_lo, s7, v5
	v_add_co_ci_u32_e32 v27, vcc_lo, s19, v6, vcc_lo
	v_add_co_u32 v28, vcc_lo, s7, v7
	v_add_co_ci_u32_e32 v29, vcc_lo, s19, v8, vcc_lo
	v_add_co_u32 v30, vcc_lo, s7, v9
	v_add_co_ci_u32_e32 v31, vcc_lo, s19, v10, vcc_lo
	v_add_co_u32 v32, vcc_lo, s7, v11
	v_add_co_ci_u32_e32 v33, vcc_lo, s19, v12, vcc_lo
	v_add_co_u32 v34, vcc_lo, s7, v13
	s_clause 0x2
	global_load_b32 v38, v[22:23], off
	global_load_b32 v39, v[24:25], off
	global_load_b32 v40, v[26:27], off
	v_ashrrev_i32_e32 v22, 31, v21
	v_add_co_ci_u32_e32 v35, vcc_lo, s19, v14, vcc_lo
	v_add_co_u32 v36, vcc_lo, s7, v15
	v_lshlrev_b64 v[19:20], 2, v[19:20]
	v_add_co_ci_u32_e32 v37, vcc_lo, s19, v16, vcc_lo
	v_add_co_u32 v23, vcc_lo, s7, v17
	v_lshlrev_b64 v[21:22], 2, v[21:22]
	s_clause 0x4
	global_load_b32 v29, v[28:29], off
	global_load_b32 v30, v[30:31], off
	;; [unrolled: 1-line block ×5, first 2 shown]
	v_add_co_ci_u32_e32 v24, vcc_lo, s19, v18, vcc_lo
	v_add_co_u32 v25, vcc_lo, s7, v19
	v_add_co_ci_u32_e32 v26, vcc_lo, s19, v20, vcc_lo
	v_add_co_u32 v27, vcc_lo, s7, v21
	v_add_co_ci_u32_e32 v28, vcc_lo, s19, v22, vcc_lo
	s_clause 0x2
	global_load_b32 v23, v[23:24], off
	global_load_b32 v24, v[25:26], off
	;; [unrolled: 1-line block ×3, first 2 shown]
	s_add_u32 s7, s8, s20
	s_addc_u32 s8, s9, s21
	s_add_u32 s7, s7, s10
	s_addc_u32 s8, s8, s11
	v_add_co_u32 v1, vcc_lo, s7, v1
	v_add_co_ci_u32_e32 v2, vcc_lo, s8, v2, vcc_lo
	v_add_co_u32 v3, vcc_lo, s7, v3
	v_add_co_ci_u32_e32 v4, vcc_lo, s8, v4, vcc_lo
	;; [unrolled: 2-line block ×8, first 2 shown]
	s_clause 0x7
	global_load_b32 v34, v[1:2], off
	global_load_b32 v3, v[3:4], off
	;; [unrolled: 1-line block ×8, first 2 shown]
	v_mbcnt_lo_u32_b32 v26, -1, 0
	s_delay_alu instid0(VALU_DEP_1) | instskip(SKIP_2) | instid1(VALU_DEP_3)
	v_xor_b32_e32 v27, 16, v26
	v_xor_b32_e32 v14, 8, v26
	;; [unrolled: 1-line block ×3, first 2 shown]
	v_cmp_gt_i32_e32 vcc_lo, 32, v27
	v_cndmask_b32_e32 v1, v26, v27, vcc_lo
	s_delay_alu instid0(VALU_DEP_1)
	v_lshlrev_b32_e32 v10, 2, v1
	v_add_co_u32 v1, vcc_lo, s7, v17
	v_xor_b32_e32 v17, 1, v26
	s_waitcnt vmcnt(16)
	v_max3_f32 v28, v38, v39, v40
	s_waitcnt vmcnt(14)
	s_delay_alu instid0(VALU_DEP_1) | instskip(SKIP_1) | instid1(VALU_DEP_1)
	v_max3_f32 v28, v28, v29, v30
	s_waitcnt vmcnt(12)
	v_max3_f32 v28, v28, v31, v32
	s_waitcnt vmcnt(10)
	s_delay_alu instid0(VALU_DEP_1) | instskip(SKIP_1) | instid1(VALU_DEP_1)
	v_max3_f32 v2, v28, v33, v23
	s_waitcnt vmcnt(8)
	v_max3_f32 v11, v2, v24, v25
	v_add_co_ci_u32_e32 v2, vcc_lo, s8, v18, vcc_lo
	ds_bpermute_b32 v12, v10, v11
	global_load_b32 v13, v[1:2], off
	v_add_co_u32 v1, vcc_lo, s7, v19
	v_add_co_ci_u32_e32 v2, vcc_lo, s8, v20, vcc_lo
	v_cmp_gt_i32_e32 vcc_lo, 32, v14
	global_load_b32 v15, v[1:2], off
	s_waitcnt lgkmcnt(0)
	v_max_f32_e32 v12, v12, v12
	v_cndmask_b32_e32 v14, v26, v14, vcc_lo
	v_add_co_u32 v1, vcc_lo, s7, v21
	v_add_co_ci_u32_e32 v2, vcc_lo, s8, v22, vcc_lo
	s_delay_alu instid0(VALU_DEP_3)
	v_dual_max_f32 v11, v11, v12 :: v_dual_lshlrev_b32 v14, 2, v14
	v_xor_b32_e32 v12, 4, v26
	global_load_b32 v1, v[1:2], off
	s_mov_b32 s7, exec_lo
	ds_bpermute_b32 v2, v14, v11
	v_cmp_gt_i32_e32 vcc_lo, 32, v12
	v_cndmask_b32_e32 v12, v26, v12, vcc_lo
	v_cmp_gt_i32_e32 vcc_lo, 32, v16
	s_delay_alu instid0(VALU_DEP_2) | instskip(SKIP_2) | instid1(VALU_DEP_2)
	v_lshlrev_b32_e32 v12, 2, v12
	v_cndmask_b32_e32 v16, v26, v16, vcc_lo
	v_cmp_gt_i32_e32 vcc_lo, 32, v17
	v_dual_cndmask_b32 v17, v26, v17 :: v_dual_lshlrev_b32 v16, 2, v16
	s_waitcnt lgkmcnt(0)
	s_delay_alu instid0(VALU_DEP_1) | instskip(NEXT) | instid1(VALU_DEP_1)
	v_dual_max_f32 v2, v2, v2 :: v_dual_lshlrev_b32 v17, 2, v17
	v_max_f32_e32 v2, v11, v2
	ds_bpermute_b32 v11, v12, v2
	s_waitcnt lgkmcnt(0)
	v_max_f32_e32 v11, v11, v11
	s_delay_alu instid0(VALU_DEP_1) | instskip(SKIP_3) | instid1(VALU_DEP_1)
	v_max_f32_e32 v2, v2, v11
	ds_bpermute_b32 v11, v16, v2
	s_waitcnt lgkmcnt(0)
	v_max_f32_e32 v11, v11, v11
	v_max_f32_e32 v2, v2, v11
	ds_bpermute_b32 v11, v17, v2
	s_waitcnt lgkmcnt(0)
	v_max_f32_e32 v11, v11, v11
	s_delay_alu instid0(VALU_DEP_1) | instskip(SKIP_1) | instid1(VALU_DEP_2)
	v_max_f32_e32 v2, v2, v11
	v_sub_nc_u32_e32 v11, s40, v0
	v_sub_f32_e32 v28, v33, v2
	v_sub_f32_e32 v20, v40, v2
	;; [unrolled: 1-line block ×4, first 2 shown]
	s_delay_alu instid0(VALU_DEP_4)
	v_dual_sub_f32 v21, v29, v2 :: v_dual_mul_f32 v36, 0x3fb8aa3b, v28
	v_sub_f32_e32 v22, v30, v2
	v_mul_f32_e32 v30, 0x3fb8aa3b, v20
	v_dual_sub_f32 v24, v24, v2 :: v_dual_mul_f32 v29, 0x3fb8aa3b, v19
	v_sub_f32_e32 v26, v31, v2
	v_sub_f32_e32 v27, v32, v2
	s_delay_alu instid0(VALU_DEP_4) | instskip(NEXT) | instid1(VALU_DEP_4)
	v_fma_f32 v44, 0x3fb8aa3b, v20, -v30
	v_mul_f32_e32 v38, 0x3fb8aa3b, v24
	v_fma_f32 v42, 0x3fb8aa3b, v19, -v29
	v_sub_f32_e32 v23, v23, v2
	v_dual_sub_f32 v2, v25, v2 :: v_dual_mul_f32 v31, 0x3fb8aa3b, v21
	v_rndne_f32_e32 v43, v29
	v_rndne_f32_e32 v45, v30
	v_mul_f32_e32 v25, 0x3fb8aa3b, v18
	v_fmac_f32_e32 v42, 0x32a5705f, v19
	s_delay_alu instid0(VALU_DEP_4) | instskip(NEXT) | instid1(VALU_DEP_4)
	v_dual_fmac_f32 v44, 0x32a5705f, v20 :: v_dual_sub_f32 v29, v29, v43
	v_dual_sub_f32 v30, v30, v45 :: v_dual_mul_f32 v37, 0x3fb8aa3b, v23
	s_delay_alu instid0(VALU_DEP_4) | instskip(SKIP_2) | instid1(VALU_DEP_4)
	v_fma_f32 v40, 0x3fb8aa3b, v18, -v25
	v_rndne_f32_e32 v41, v25
	v_dual_mul_f32 v32, 0x3fb8aa3b, v22 :: v_dual_mul_f32 v35, 0x3fb8aa3b, v27
	v_add_f32_e32 v30, v30, v44
	v_fma_f32 v56, 0x3fb8aa3b, v23, -v37
	s_delay_alu instid0(VALU_DEP_4) | instskip(NEXT) | instid1(VALU_DEP_4)
	v_dual_fmac_f32 v40, 0x32a5705f, v18 :: v_dual_sub_f32 v25, v25, v41
	v_fma_f32 v48, 0x3fb8aa3b, v22, -v32
	v_rndne_f32_e32 v49, v32
	v_mul_f32_e32 v33, 0x3fb8aa3b, v26
	v_fma_f32 v54, 0x3fb8aa3b, v28, -v36
	v_dual_fmac_f32 v56, 0x32a5705f, v23 :: v_dual_add_f32 v25, v25, v40
	v_fma_f32 v46, 0x3fb8aa3b, v21, -v31
	v_rndne_f32_e32 v47, v31
	v_rndne_f32_e32 v53, v35
	v_sub_f32_e32 v32, v32, v49
	v_fma_f32 v50, 0x3fb8aa3b, v26, -v33
	v_rndne_f32_e32 v51, v33
	v_fmac_f32_e32 v48, 0x32a5705f, v22
	v_dual_fmac_f32 v54, 0x32a5705f, v28 :: v_dual_add_f32 v29, v29, v42
	v_exp_f32_e32 v25, v25
	v_fma_f32 v52, 0x3fb8aa3b, v27, -v35
	v_rndne_f32_e32 v55, v36
	v_fma_f32 v58, 0x3fb8aa3b, v24, -v38
	v_cvt_i32_f32_e32 v41, v41
	v_dual_fmac_f32 v46, 0x32a5705f, v21 :: v_dual_sub_f32 v31, v31, v47
	v_dual_fmac_f32 v50, 0x32a5705f, v26 :: v_dual_sub_f32 v35, v35, v53
	v_dual_sub_f32 v33, v33, v51 :: v_dual_add_f32 v32, v32, v48
	v_exp_f32_e32 v29, v29
	v_exp_f32_e32 v30, v30
	v_dual_mul_f32 v39, 0x3fb8aa3b, v2 :: v_dual_sub_f32 v36, v36, v55
	v_rndne_f32_e32 v57, v37
	v_cvt_i32_f32_e32 v43, v43
	v_cvt_i32_f32_e32 v45, v45
	v_fmac_f32_e32 v52, 0x32a5705f, v27
	v_dual_fmac_f32 v58, 0x32a5705f, v24 :: v_dual_add_f32 v31, v31, v46
	v_add_f32_e32 v33, v33, v50
	v_exp_f32_e32 v32, v32
	v_ldexp_f32 v25, v25, v41
	v_cmp_ngt_f32_e32 vcc_lo, 0xc2ce8ed0, v18
	v_cvt_i32_f32_e32 v49, v49
	v_sub_f32_e32 v37, v37, v57
	v_dual_add_f32 v35, v35, v52 :: v_dual_add_f32 v36, v36, v54
	v_exp_f32_e32 v31, v31
	v_ldexp_f32 v29, v29, v43
	v_ldexp_f32 v30, v30, v45
	v_cndmask_b32_e32 v25, 0, v25, vcc_lo
	v_cmp_ngt_f32_e32 vcc_lo, 0xc2ce8ed0, v19
	v_cvt_i32_f32_e32 v47, v47
	v_exp_f32_e32 v36, v36
	v_ldexp_f32 v32, v32, v49
	v_cvt_i32_f32_e32 v55, v55
	v_cndmask_b32_e32 v29, 0, v29, vcc_lo
	v_cmp_ngt_f32_e32 vcc_lo, 0xc2ce8ed0, v20
	v_exp_f32_e32 v33, v33
	v_ldexp_f32 v31, v31, v47
	v_cvt_i32_f32_e32 v51, v51
	v_exp_f32_e32 v35, v35
	v_cndmask_b32_e32 v30, 0, v30, vcc_lo
	v_cmp_ngt_f32_e32 vcc_lo, 0xc2ce8ed0, v21
	v_ldexp_f32 v36, v36, v55
	v_cvt_i32_f32_e32 v53, v53
	v_rndne_f32_e32 v59, v38
	v_add_f32_e32 v37, v37, v56
	v_cndmask_b32_e32 v31, 0, v31, vcc_lo
	v_cmp_ngt_f32_e32 vcc_lo, 0xc2ce8ed0, v22
	v_ldexp_f32 v33, v33, v51
	v_ldexp_f32 v35, v35, v53
	v_sub_f32_e32 v38, v38, v59
	v_fma_f32 v60, 0x3fb8aa3b, v2, -v39
	v_cndmask_b32_e32 v32, 0, v32, vcc_lo
	v_cmp_ngt_f32_e32 vcc_lo, 0xc2ce8ed0, v26
	v_exp_f32_e32 v37, v37
	v_rndne_f32_e32 v61, v39
	v_cvt_i32_f32_e32 v57, v57
	v_dual_fmac_f32 v60, 0x32a5705f, v2 :: v_dual_cndmask_b32 v33, 0, v33
	v_cmp_ngt_f32_e32 vcc_lo, 0xc2ce8ed0, v27
	v_cndmask_b32_e32 v35, 0, v35, vcc_lo
	v_cmp_ngt_f32_e32 vcc_lo, 0xc2ce8ed0, v28
	v_cndmask_b32_e32 v36, 0, v36, vcc_lo
	v_cmp_nlt_f32_e32 vcc_lo, 0x42b17218, v18
	v_cndmask_b32_e32 v18, 0x7f800000, v25, vcc_lo
	v_cmp_nlt_f32_e32 vcc_lo, 0x42b17218, v19
	;; [unrolled: 2-line block ×8, first 2 shown]
	v_cndmask_b32_e32 v27, 0x7f800000, v36, vcc_lo
	v_cmp_lt_i32_e32 vcc_lo, 0, v11
	v_cndmask_b32_e32 v18, 0, v18, vcc_lo
	v_cmp_lt_i32_e32 vcc_lo, 32, v11
	s_waitcnt vmcnt(10)
	s_delay_alu instid0(VALU_DEP_2) | instskip(SKIP_4) | instid1(VALU_DEP_2)
	v_dual_mul_f32 v18, v34, v18 :: v_dual_cndmask_b32 v19, 0, v19
	v_cmp_lt_i32_e32 vcc_lo, 64, v11
	v_cndmask_b32_e32 v20, 0, v20, vcc_lo
	v_cmp_lt_i32_e32 vcc_lo, 0x60, v11
	s_waitcnt vmcnt(8)
	v_dual_mul_f32 v4, v4, v20 :: v_dual_cndmask_b32 v21, 0, v21
	v_cmp_lt_i32_e32 vcc_lo, 0x80, v11
	v_ldexp_f32 v20, v37, v57
	v_cndmask_b32_e32 v22, 0, v22, vcc_lo
	v_cmp_lt_i32_e32 vcc_lo, 0xa0, v11
	v_mul_f32_e32 v3, v3, v19
	v_add_f32_e32 v19, v38, v58
	s_waitcnt vmcnt(6)
	v_dual_mul_f32 v6, v6, v22 :: v_dual_cndmask_b32 v25, 0, v25
	v_cmp_lt_i32_e32 vcc_lo, 0xc0, v11
	v_add_f32_e32 v22, v18, v3
	v_exp_f32_e32 v19, v19
	s_waitcnt vmcnt(5)
	v_dual_mul_f32 v7, v7, v25 :: v_dual_cndmask_b32 v26, 0, v26
	v_cmp_lt_i32_e32 vcc_lo, 0xe0, v11
	v_mul_f32_e32 v5, v5, v21
	v_dual_sub_f32 v21, v39, v61 :: v_dual_add_f32 v22, v22, v4
	s_waitcnt vmcnt(4)
	v_dual_mul_f32 v8, v8, v26 :: v_dual_cndmask_b32 v27, 0, v27
	v_cmp_ngt_f32_e32 vcc_lo, 0xc2ce8ed0, v23
	s_delay_alu instid0(VALU_DEP_3)
	v_dual_add_f32 v21, v21, v60 :: v_dual_add_f32 v22, v22, v5
	v_cvt_i32_f32_e32 v25, v59
	s_waitcnt vmcnt(3)
	v_dual_cndmask_b32 v20, 0, v20 :: v_dual_mul_f32 v9, v9, v27
	v_cmp_nlt_f32_e32 vcc_lo, 0x42b17218, v23
	v_exp_f32_e32 v21, v21
	v_add_f32_e32 v22, v22, v6
	v_ldexp_f32 v19, v19, v25
	v_cvt_i32_f32_e32 v23, v61
	v_cndmask_b32_e32 v20, 0x7f800000, v20, vcc_lo
	v_cmp_lt_i32_e32 vcc_lo, 0x100, v11
	s_delay_alu instid0(VALU_DEP_2) | instskip(SKIP_3) | instid1(VALU_DEP_3)
	v_cndmask_b32_e32 v20, 0, v20, vcc_lo
	v_cmp_ngt_f32_e32 vcc_lo, 0xc2ce8ed0, v24
	v_cndmask_b32_e32 v19, 0, v19, vcc_lo
	s_waitcnt vmcnt(2)
	v_mul_f32_e32 v13, v13, v20
	v_ldexp_f32 v20, v21, v23
	v_add_f32_e32 v21, v22, v7
	v_cmp_nlt_f32_e32 vcc_lo, 0x42b17218, v24
	s_delay_alu instid0(VALU_DEP_2) | instskip(SKIP_4) | instid1(VALU_DEP_4)
	v_add_f32_e32 v21, v21, v8
	v_cndmask_b32_e32 v19, 0x7f800000, v19, vcc_lo
	v_cmp_ngt_f32_e32 vcc_lo, 0xc2ce8ed0, v2
	v_cndmask_b32_e32 v20, 0, v20, vcc_lo
	v_cmp_lt_i32_e32 vcc_lo, 0x120, v11
	v_cndmask_b32_e32 v19, 0, v19, vcc_lo
	v_cmp_nlt_f32_e32 vcc_lo, 0x42b17218, v2
	s_waitcnt vmcnt(1)
	s_delay_alu instid0(VALU_DEP_2) | instskip(SKIP_1) | instid1(VALU_DEP_2)
	v_dual_mul_f32 v15, v15, v19 :: v_dual_cndmask_b32 v2, 0x7f800000, v20
	v_cmp_lt_i32_e32 vcc_lo, 0x140, v11
	v_cndmask_b32_e32 v2, 0, v2, vcc_lo
	v_add_f32_e32 v20, v21, v9
	s_waitcnt vmcnt(0)
	s_delay_alu instid0(VALU_DEP_2) | instskip(NEXT) | instid1(VALU_DEP_2)
	v_mul_f32_e32 v19, v1, v2
	v_add_f32_e32 v11, v20, v13
	s_delay_alu instid0(VALU_DEP_1) | instskip(NEXT) | instid1(VALU_DEP_1)
	v_add_f32_e32 v1, v11, v15
	v_add_f32_e32 v1, v1, v19
	ds_bpermute_b32 v2, v10, v1
	v_lshlrev_b32_e32 v10, 2, v0
	ds_store_2addr_b32 v10, v18, v3 offset1:32
	v_add_nc_u32_e32 v3, 0x400, v10
	ds_store_2addr_b32 v10, v4, v5 offset0:64 offset1:96
	ds_store_2addr_b32 v10, v6, v7 offset0:128 offset1:160
	;; [unrolled: 1-line block ×3, first 2 shown]
	ds_store_2addr_b32 v3, v13, v15 offset1:32
	ds_store_b32 v10, v19 offset:1280
	s_waitcnt lgkmcnt(6)
	v_add_f32_e32 v1, v1, v2
	ds_bpermute_b32 v2, v14, v1
	s_waitcnt lgkmcnt(0)
	v_add_f32_e32 v1, v1, v2
	ds_bpermute_b32 v2, v12, v1
	;; [unrolled: 3-line block ×4, first 2 shown]
	v_cmpx_eq_u32_e32 0, v0
	s_cbranch_execz .LBB88_8
; %bb.7:
	s_waitcnt lgkmcnt(0)
	v_dual_add_f32 v1, v1, v2 :: v_dual_mov_b32 v2, 0
	ds_store_b32 v2, v1 offset:1408
.LBB88_8:
	s_or_b32 exec_lo, exec_lo, s7
	v_mov_b32_e32 v1, s6
.LBB88_9:
	s_or_b32 exec_lo, exec_lo, s24
	s_lshl_b32 s6, s18, 6
	s_mov_b32 s7, 0
	s_waitcnt lgkmcnt(0)
	v_dual_mov_b32 v2, 0 :: v_dual_lshlrev_b32 v1, 6, v1
	s_lshl_b64 s[6:7], s[6:7], 1
	v_lshlrev_b32_e32 v0, 1, v0
	s_add_u32 s34, s4, s6
	s_addc_u32 s35, s5, s7
	s_lshl_b32 s41, s40, 6
	v_lshlrev_b64 v[3:4], 1, v[1:2]
	s_sub_i32 s42, s41, 64
	s_cmpk_lt_i32 s22, 0x100
	v_dual_mov_b32 v30, 0 :: v_dual_mov_b32 v33, 0
	s_cselect_b32 s4, s42, 0
	s_delay_alu instid0(VALU_DEP_2)
	v_add_co_u32 v1, vcc_lo, s34, v3
	s_ashr_i32 s5, s4, 31
	v_add_co_ci_u32_e32 v3, vcc_lo, s35, v4, vcc_lo
	s_lshl_b64 s[4:5], s[4:5], 1
	s_cmpk_lt_i32 s22, 0x200
	v_add_co_u32 v1, vcc_lo, v1, v0
	s_cselect_b32 s6, s42, 64
	v_add_co_ci_u32_e32 v3, vcc_lo, 0, v3, vcc_lo
	s_ashr_i32 s7, s6, 31
	s_delay_alu instid0(VALU_DEP_2)
	v_add_co_u32 v4, vcc_lo, v1, s4
	s_lshl_b64 s[6:7], s[6:7], 1
	s_cmpk_lt_i32 s22, 0x300
	v_add_co_ci_u32_e32 v5, vcc_lo, s5, v3, vcc_lo
	s_cselect_b32 s8, s42, 0x80
	v_add_co_u32 v8, vcc_lo, v1, s6
	s_ashr_i32 s9, s8, 31
	v_add_co_ci_u32_e32 v9, vcc_lo, s7, v3, vcc_lo
	s_lshl_b64 s[8:9], s[8:9], 1
	s_cmpk_lt_i32 s22, 0x400
	v_add_co_u32 v10, vcc_lo, v1, s8
	s_cselect_b32 s10, s42, 0xc0
	v_add_co_ci_u32_e32 v11, vcc_lo, s9, v3, vcc_lo
	s_ashr_i32 s11, s10, 31
	v_dual_mov_b32 v32, 0 :: v_dual_mov_b32 v35, 0
	s_lshl_b64 s[10:11], s[10:11], 1
	s_cmpk_lt_i32 s22, 0x500
	v_add_co_u32 v12, vcc_lo, v1, s10
	s_cselect_b32 s18, s42, 0x100
	v_add_co_ci_u32_e32 v13, vcc_lo, s11, v3, vcc_lo
	s_ashr_i32 s19, s18, 31
	v_mov_b32_e32 v34, 0
	s_lshl_b64 s[18:19], s[18:19], 1
	s_cmpk_lt_i32 s22, 0x600
	v_add_co_u32 v14, vcc_lo, v1, s18
	s_cselect_b32 s20, s42, 0x140
	v_add_co_ci_u32_e32 v15, vcc_lo, s19, v3, vcc_lo
	s_ashr_i32 s21, s20, 31
	v_mov_b32_e32 v29, 0
	;; [unrolled: 7-line block ×3, first 2 shown]
	s_lshl_b64 s[24:25], s[24:25], 1
	s_cmpk_lt_i32 s22, 0x800
	v_add_co_u32 v18, vcc_lo, v1, s24
	s_cselect_b32 s26, s42, 0x1c0
	v_add_co_ci_u32_e32 v19, vcc_lo, s25, v3, vcc_lo
	s_ashr_i32 s27, s26, 31
	s_delay_alu instid0(SALU_CYCLE_1)
	s_lshl_b64 s[26:27], s[26:27], 1
	s_cmpk_lt_i32 s22, 0x900
	v_add_co_u32 v20, vcc_lo, v1, s26
	s_cselect_b32 s28, s42, 0x200
	v_add_co_ci_u32_e32 v21, vcc_lo, s27, v3, vcc_lo
	s_ashr_i32 s29, s28, 31
	s_clause 0x7
	global_load_u16 v7, v[4:5], off
	global_load_u16 v8, v[8:9], off
	;; [unrolled: 1-line block ×8, first 2 shown]
	s_lshl_b64 s[28:29], s[28:29], 1
	s_cmpk_lt_i32 s22, 0xa00
	v_add_co_u32 v12, vcc_lo, v1, s28
	s_cselect_b32 s30, s42, 0x240
	v_add_co_ci_u32_e32 v13, vcc_lo, s29, v3, vcc_lo
	s_ashr_i32 s31, s30, 31
	s_delay_alu instid0(SALU_CYCLE_1)
	s_lshl_b64 s[30:31], s[30:31], 1
	s_cmpk_lt_i32 s22, 0xb00
	v_add_co_u32 v15, vcc_lo, v1, s30
	s_cselect_b32 s34, s42, 0x280
	v_add_co_ci_u32_e32 v16, vcc_lo, s31, v3, vcc_lo
	s_ashr_i32 s35, s34, 31
	s_delay_alu instid0(SALU_CYCLE_1)
	;; [unrolled: 7-line block ×7, first 2 shown]
	s_lshl_b64 s[4:5], s[6:7], 1
	s_cmpk_gt_i32 s23, 0x1000
	v_add_co_u32 v27, vcc_lo, v1, s4
	v_add_co_ci_u32_e32 v28, vcc_lo, s5, v3, vcc_lo
	s_clause 0x7
	global_load_u16 v14, v[12:13], off
	global_load_u16 v15, v[15:16], off
	;; [unrolled: 1-line block ×8, first 2 shown]
	v_dual_mov_b32 v20, 0 :: v_dual_mov_b32 v23, 0
	v_dual_mov_b32 v21, 0 :: v_dual_mov_b32 v22, 0
	;; [unrolled: 1-line block ×4, first 2 shown]
	v_mov_b32_e32 v28, 0
	s_cselect_b32 s8, -1, 0
	s_cmpk_lt_i32 s23, 0x1001
	s_waitcnt vmcnt(0)
	s_barrier
	buffer_gl0_inv
	s_cbranch_scc1 .LBB88_11
; %bb.10:
	s_cmpk_lt_i32 s22, 0x1100
	s_cselect_b32 s4, s42, 0x400
	s_delay_alu instid0(SALU_CYCLE_1) | instskip(NEXT) | instid1(SALU_CYCLE_1)
	s_ashr_i32 s5, s4, 31
	s_lshl_b64 s[4:5], s[4:5], 1
	s_cmpk_lt_i32 s22, 0x1200
	v_add_co_u32 v20, vcc_lo, v1, s4
	s_cselect_b32 s6, s42, 0x440
	v_add_co_ci_u32_e32 v21, vcc_lo, s5, v3, vcc_lo
	s_ashr_i32 s7, s6, 31
	s_delay_alu instid0(SALU_CYCLE_1)
	s_lshl_b64 s[6:7], s[6:7], 1
	s_cmpk_lt_i32 s22, 0x1300
	v_add_co_u32 v22, vcc_lo, v1, s6
	s_cselect_b32 s10, s42, 0x480
	v_add_co_ci_u32_e32 v23, vcc_lo, s7, v3, vcc_lo
	s_ashr_i32 s11, s10, 31
	s_delay_alu instid0(SALU_CYCLE_1)
	;; [unrolled: 7-line block ×7, first 2 shown]
	s_lshl_b64 s[28:29], s[28:29], 1
	s_cmpk_lt_i32 s22, 0x1900
	v_add_co_u32 v34, vcc_lo, v1, s28
	s_cselect_b32 s30, s42, 0x600
	v_add_co_ci_u32_e32 v35, vcc_lo, s29, v3, vcc_lo
	s_ashr_i32 s31, s30, 31
	s_clause 0x7
	global_load_u16 v36, v[20:21], off
	global_load_u16 v37, v[22:23], off
	;; [unrolled: 1-line block ×8, first 2 shown]
	s_lshl_b64 s[30:31], s[30:31], 1
	s_cmpk_lt_i32 s22, 0x1a00
	v_add_co_u32 v20, vcc_lo, v1, s30
	s_cselect_b32 s34, s42, 0x640
	v_add_co_ci_u32_e32 v21, vcc_lo, s31, v3, vcc_lo
	s_ashr_i32 s35, s34, 31
	s_delay_alu instid0(SALU_CYCLE_1)
	s_lshl_b64 s[34:35], s[34:35], 1
	s_cmpk_lt_i32 s22, 0x1b00
	v_add_co_u32 v22, vcc_lo, v1, s34
	s_cselect_b32 s36, s42, 0x680
	v_add_co_ci_u32_e32 v23, vcc_lo, s35, v3, vcc_lo
	s_ashr_i32 s37, s36, 31
	s_delay_alu instid0(SALU_CYCLE_1)
	;; [unrolled: 7-line block ×6, first 2 shown]
	s_lshl_b64 s[4:5], s[20:21], 1
	s_cmpk_lt_i32 s22, 0x2000
	v_add_co_u32 v32, vcc_lo, v1, s4
	s_cselect_b32 s6, s42, 0x7c0
	v_add_co_ci_u32_e32 v33, vcc_lo, s5, v3, vcc_lo
	s_ashr_i32 s7, s6, 31
	s_delay_alu instid0(SALU_CYCLE_1) | instskip(NEXT) | instid1(SALU_CYCLE_1)
	s_lshl_b64 s[4:5], s[6:7], 1
	v_add_co_u32 v34, vcc_lo, v1, s4
	v_add_co_ci_u32_e32 v35, vcc_lo, s5, v3, vcc_lo
	s_clause 0x7
	global_load_u16 v20, v[20:21], off
	global_load_u16 v21, v[22:23], off
	;; [unrolled: 1-line block ×8, first 2 shown]
	s_waitcnt vmcnt(15)
	v_cvt_f32_f16_e32 v35, v36
	s_waitcnt vmcnt(14)
	v_cvt_f32_f16_e32 v34, v37
	;; [unrolled: 2-line block ×16, first 2 shown]
.LBB88_11:
	ds_load_b128 v[36:39], v2
	ds_load_b128 v[40:43], v2 offset:16
	s_load_b64 s[0:1], s[0:1], 0x0
	s_and_b32 vcc_lo, exec_lo, s8
	s_waitcnt lgkmcnt(0)
	v_fma_mix_f32 v7, v36, v7, 0 op_sel_hi:[0,1,0]
	s_delay_alu instid0(VALU_DEP_1) | instskip(NEXT) | instid1(VALU_DEP_1)
	v_fma_mix_f32 v7, v37, v8, v7 op_sel_hi:[0,1,0]
	v_fma_mix_f32 v7, v38, v9, v7 op_sel_hi:[0,1,0]
	s_delay_alu instid0(VALU_DEP_1) | instskip(SKIP_4) | instid1(VALU_DEP_1)
	v_fma_mix_f32 v7, v39, v10, v7 op_sel_hi:[0,1,0]
	ds_load_b128 v[36:39], v2 offset:48
	v_fma_mix_f32 v11, v40, v11, v7 op_sel_hi:[0,1,0]
	ds_load_b128 v[7:10], v2 offset:32
	v_fma_mix_f32 v4, v41, v4, v11 op_sel_hi:[0,1,0]
	v_fma_mix_f32 v4, v42, v5, v4 op_sel_hi:[0,1,0]
	s_delay_alu instid0(VALU_DEP_1) | instskip(SKIP_1) | instid1(VALU_DEP_1)
	v_fma_mix_f32 v4, v43, v6, v4 op_sel_hi:[0,1,0]
	s_waitcnt lgkmcnt(0)
	v_fma_mix_f32 v4, v7, v14, v4 op_sel_hi:[0,1,0]
	s_delay_alu instid0(VALU_DEP_1) | instskip(NEXT) | instid1(VALU_DEP_1)
	v_fma_mix_f32 v4, v8, v15, v4 op_sel_hi:[0,1,0]
	v_fma_mix_f32 v4, v9, v16, v4 op_sel_hi:[0,1,0]
	s_delay_alu instid0(VALU_DEP_1) | instskip(NEXT) | instid1(VALU_DEP_1)
	v_fma_mix_f32 v4, v10, v17, v4 op_sel_hi:[0,1,0]
	v_fma_mix_f32 v4, v36, v18, v4 op_sel_hi:[0,1,0]
	s_delay_alu instid0(VALU_DEP_1) | instskip(NEXT) | instid1(VALU_DEP_1)
	v_fma_mix_f32 v4, v37, v12, v4 op_sel_hi:[0,1,0]
	v_fma_mix_f32 v4, v38, v13, v4 op_sel_hi:[0,1,0]
	s_delay_alu instid0(VALU_DEP_1)
	v_fma_mix_f32 v4, v39, v19, v4 op_sel_hi:[0,1,0]
	s_cbranch_vccz .LBB88_13
; %bb.12:
	ds_load_b128 v[5:8], v2 offset:64
	ds_load_b128 v[9:12], v2 offset:80
	s_waitcnt lgkmcnt(1)
	v_fmac_f32_e32 v4, v5, v35
	s_delay_alu instid0(VALU_DEP_1) | instskip(NEXT) | instid1(VALU_DEP_1)
	v_fmac_f32_e32 v4, v6, v34
	v_fmac_f32_e32 v4, v7, v33
	s_delay_alu instid0(VALU_DEP_1) | instskip(SKIP_3) | instid1(VALU_DEP_1)
	v_fmac_f32_e32 v4, v8, v32
	ds_load_b128 v[5:8], v2 offset:96
	s_waitcnt lgkmcnt(1)
	v_fmac_f32_e32 v4, v9, v31
	v_fmac_f32_e32 v4, v10, v30
	s_delay_alu instid0(VALU_DEP_1) | instskip(NEXT) | instid1(VALU_DEP_1)
	v_fmac_f32_e32 v4, v11, v29
	v_fmac_f32_e32 v4, v12, v28
	ds_load_b128 v[9:12], v2 offset:112
	s_waitcnt lgkmcnt(1)
	v_fmac_f32_e32 v4, v5, v27
	s_delay_alu instid0(VALU_DEP_1) | instskip(NEXT) | instid1(VALU_DEP_1)
	v_fmac_f32_e32 v4, v6, v26
	v_fmac_f32_e32 v4, v7, v25
	s_delay_alu instid0(VALU_DEP_1) | instskip(SKIP_1) | instid1(VALU_DEP_1)
	v_fmac_f32_e32 v4, v8, v24
	s_waitcnt lgkmcnt(0)
	v_fmac_f32_e32 v4, v9, v23
	s_delay_alu instid0(VALU_DEP_1) | instskip(NEXT) | instid1(VALU_DEP_1)
	v_fmac_f32_e32 v4, v10, v22
	v_fmac_f32_e32 v4, v11, v21
	s_delay_alu instid0(VALU_DEP_1)
	v_fmac_f32_e32 v4, v12, v20
.LBB88_13:
	s_movk_i32 s43, 0xfc0
	s_movk_i32 s44, 0x80
	s_mov_b32 s45, 32
	s_branch .LBB88_15
.LBB88_14:                              ;   in Loop: Header=BB88_15 Depth=1
	s_addk_i32 s43, 0x800
	s_addk_i32 s44, 0x80
	s_add_i32 s45, s45, 32
	s_cmpk_eq_i32 s43, 0x5fc0
	s_cbranch_scc1 .LBB88_17
.LBB88_15:                              ; =>This Inner Loop Header: Depth=1
	s_cmp_le_i32 s40, s45
	s_cbranch_scc1 .LBB88_14
; %bb.16:                               ;   in Loop: Header=BB88_15 Depth=1
	s_add_i32 s4, s43, 0xfffff840
	v_mov_b32_e32 v44, s44
	s_cmp_lt_i32 s4, s41
	s_cselect_b32 s4, s4, s42
	s_add_i32 s6, s43, 0xfffff880
	s_ashr_i32 s5, s4, 31
	s_delay_alu instid0(SALU_CYCLE_1)
	s_lshl_b64 s[4:5], s[4:5], 1
	s_cmp_lt_i32 s6, s41
	v_add_co_u32 v5, vcc_lo, v1, s4
	s_cselect_b32 s6, s6, s42
	s_add_i32 s10, s43, 0xfffff8c0
	s_ashr_i32 s7, s6, 31
	v_add_co_ci_u32_e32 v6, vcc_lo, s5, v3, vcc_lo
	s_lshl_b64 s[8:9], s[6:7], 1
	s_cmp_lt_i32 s10, s41
	v_add_co_u32 v7, vcc_lo, v1, s8
	s_cselect_b32 s6, s10, s42
	s_add_i32 s10, s43, 0xfffff900
	s_ashr_i32 s7, s6, 31
	v_add_co_ci_u32_e32 v8, vcc_lo, s9, v3, vcc_lo
	;; [unrolled: 7-line block ×8, first 2 shown]
	s_lshl_b64 s[24:25], s[20:21], 1
	s_cmp_lt_i32 s28, s41
	s_clause 0x7
	global_load_u16 v2, v[5:6], off
	global_load_u16 v21, v[7:8], off
	;; [unrolled: 1-line block ×8, first 2 shown]
	s_cselect_b32 s20, s28, s42
	s_add_i32 s28, s43, 0xfffffac0
	s_ashr_i32 s21, s20, 31
	v_add_co_u32 v5, vcc_lo, v1, s24
	s_lshl_b64 s[20:21], s[20:21], 1
	s_cmp_lt_i32 s28, s41
	v_add_co_ci_u32_e32 v6, vcc_lo, s25, v3, vcc_lo
	s_cselect_b32 s28, s28, s42
	s_add_i32 s36, s43, 0xfffffb00
	s_ashr_i32 s29, s28, 31
	v_add_co_u32 v7, vcc_lo, v1, s20
	s_lshl_b64 s[30:31], s[28:29], 1
	s_cmp_lt_i32 s36, s41
	v_add_co_ci_u32_e32 v8, vcc_lo, s21, v3, vcc_lo
	s_cselect_b32 s28, s36, s42
	s_add_i32 s36, s43, 0xfffffb40
	s_ashr_i32 s29, s28, 31
	v_add_co_u32 v9, vcc_lo, v1, s30
	s_lshl_b64 s[28:29], s[28:29], 1
	s_cmp_lt_i32 s36, s41
	v_add_co_ci_u32_e32 v10, vcc_lo, s31, v3, vcc_lo
	s_cselect_b32 s36, s36, s42
	s_add_i32 s46, s43, 0xfffffb80
	s_ashr_i32 s37, s36, 31
	v_add_co_u32 v11, vcc_lo, v1, s28
	s_lshl_b64 s[38:39], s[36:37], 1
	s_cmp_lt_i32 s46, s41
	v_add_co_ci_u32_e32 v12, vcc_lo, s29, v3, vcc_lo
	s_cselect_b32 s36, s46, s42
	s_add_i32 s46, s43, 0xfffffbc0
	s_ashr_i32 s37, s36, 31
	v_add_co_u32 v13, vcc_lo, v1, s38
	s_lshl_b64 s[36:37], s[36:37], 1
	s_cmp_lt_i32 s46, s41
	v_add_co_ci_u32_e32 v14, vcc_lo, s39, v3, vcc_lo
	s_cselect_b32 s4, s46, s42
	s_add_i32 s46, s43, 0xfffffc00
	s_ashr_i32 s5, s4, 31
	v_add_co_u32 v15, vcc_lo, v1, s36
	s_lshl_b64 s[8:9], s[4:5], 1
	s_cmp_lt_i32 s46, s41
	v_add_co_ci_u32_e32 v16, vcc_lo, s37, v3, vcc_lo
	s_cselect_b32 s4, s46, s42
	s_add_i32 s18, s43, 0xfffffc40
	s_ashr_i32 s5, s4, 31
	v_add_co_u32 v17, vcc_lo, v1, s8
	s_lshl_b64 s[6:7], s[4:5], 1
	s_cmp_lt_i32 s18, s41
	v_add_co_ci_u32_e32 v18, vcc_lo, s9, v3, vcc_lo
	s_cselect_b32 s4, s18, s42
	s_add_i32 s10, s43, 0xfffffc80
	s_ashr_i32 s5, s4, 31
	v_add_co_u32 v19, vcc_lo, v1, s6
	s_lshl_b64 s[4:5], s[4:5], 1
	s_cmp_lt_i32 s10, s41
	v_add_co_ci_u32_e32 v20, vcc_lo, s7, v3, vcc_lo
	s_cselect_b32 s10, s10, s42
	s_add_i32 s18, s43, 0xfffffcc0
	s_ashr_i32 s11, s10, 31
	s_clause 0x7
	global_load_u16 v28, v[5:6], off
	global_load_u16 v29, v[7:8], off
	;; [unrolled: 1-line block ×8, first 2 shown]
	s_lshl_b64 s[10:11], s[10:11], 1
	s_cmp_lt_i32 s18, s41
	v_add_co_u32 v5, vcc_lo, v1, s4
	s_cselect_b32 s18, s18, s42
	s_add_i32 s22, s43, 0xfffffd00
	s_ashr_i32 s19, s18, 31
	v_add_co_ci_u32_e32 v6, vcc_lo, s5, v3, vcc_lo
	s_lshl_b64 s[18:19], s[18:19], 1
	s_cmp_lt_i32 s22, s41
	v_add_co_u32 v7, vcc_lo, v1, s10
	s_cselect_b32 s20, s22, s42
	s_add_i32 s22, s43, 0xfffffd40
	s_ashr_i32 s21, s20, 31
	v_add_co_ci_u32_e32 v8, vcc_lo, s11, v3, vcc_lo
	;; [unrolled: 7-line block ×5, first 2 shown]
	s_lshl_b64 s[6:7], s[6:7], 1
	s_cmp_lt_i32 s24, s41
	s_clause 0x4
	global_load_u16 v19, v[5:6], off
	global_load_u16 v20, v[7:8], off
	;; [unrolled: 1-line block ×5, first 2 shown]
	s_cselect_b32 s4, s24, s42
	s_add_i32 s10, s43, 0xfffffe40
	s_ashr_i32 s5, s4, 31
	v_add_co_u32 v5, vcc_lo, v1, s8
	s_lshl_b64 s[4:5], s[4:5], 1
	s_cmp_lt_i32 s10, s41
	v_add_co_ci_u32_e32 v6, vcc_lo, s9, v3, vcc_lo
	s_cselect_b32 s10, s10, s42
	s_add_i32 s18, s43, 0xfffffe80
	s_ashr_i32 s11, s10, 31
	v_add_co_u32 v7, vcc_lo, v1, s6
	s_lshl_b64 s[10:11], s[10:11], 1
	s_cmp_lt_i32 s18, s41
	v_add_co_ci_u32_e32 v8, vcc_lo, s7, v3, vcc_lo
	s_cselect_b32 s18, s18, s42
	s_add_i32 s20, s43, 0xfffffec0
	s_ashr_i32 s19, s18, 31
	v_add_co_u32 v9, vcc_lo, v1, s4
	s_lshl_b64 s[18:19], s[18:19], 1
	s_cmp_lt_i32 s20, s41
	global_load_u16 v37, v[5:6], off
	s_cselect_b32 s8, s20, s42
	s_add_i32 s20, s43, 0xffffff00
	s_ashr_i32 s9, s8, 31
	v_add_co_ci_u32_e32 v10, vcc_lo, s5, v3, vcc_lo
	s_lshl_b64 s[6:7], s[8:9], 1
	s_cmp_lt_i32 s20, s41
	v_add_co_u32 v11, vcc_lo, v1, s10
	s_cselect_b32 s4, s20, s42
	s_clause 0x1
	global_load_u16 v38, v[7:8], off
	global_load_u16 v39, v[9:10], off
	v_add_co_ci_u32_e32 v12, vcc_lo, s11, v3, vcc_lo
	s_ashr_i32 s5, s4, 31
	s_add_i32 s8, s43, 0xffffff40
	v_add_co_u32 v13, vcc_lo, v1, s18
	s_lshl_b64 s[4:5], s[4:5], 1
	s_cmp_lt_i32 s8, s41
	v_add_co_ci_u32_e32 v14, vcc_lo, s19, v3, vcc_lo
	v_add_co_u32 v15, vcc_lo, v1, s6
	s_cselect_b32 s8, s8, s42
	v_add_co_ci_u32_e32 v16, vcc_lo, s7, v3, vcc_lo
	s_ashr_i32 s9, s8, 31
	s_add_i32 s10, s43, 0xffffff80
	s_lshl_b64 s[6:7], s[8:9], 1
	s_clause 0x2
	global_load_u16 v40, v[11:12], off
	global_load_u16 v13, v[13:14], off
	;; [unrolled: 1-line block ×3, first 2 shown]
	s_cmp_lt_i32 s10, s41
	v_add_co_u32 v5, vcc_lo, v1, s4
	s_cselect_b32 s8, s10, s42
	s_sub_i32 s10, s43, 64
	s_ashr_i32 s9, s8, 31
	v_add_co_ci_u32_e32 v6, vcc_lo, s5, v3, vcc_lo
	s_lshl_b64 s[8:9], s[8:9], 1
	s_cmp_lt_i32 s10, s41
	v_add_co_u32 v7, vcc_lo, v1, s6
	s_cselect_b32 s4, s10, s42
	v_add_co_ci_u32_e32 v8, vcc_lo, s7, v3, vcc_lo
	s_ashr_i32 s5, s4, 31
	v_add_co_u32 v9, vcc_lo, v1, s8
	global_load_u16 v15, v[5:6], off
	s_lshl_b64 s[4:5], s[4:5], 1
	v_add_co_ci_u32_e32 v10, vcc_lo, s9, v3, vcc_lo
	s_cmp_lt_i32 s43, s41
	s_clause 0x1
	global_load_u16 v16, v[7:8], off
	global_load_u16 v41, v[9:10], off
	s_cselect_b32 s6, s43, s42
	v_add_co_u32 v5, vcc_lo, v1, s4
	s_ashr_i32 s7, s6, 31
	v_add_co_ci_u32_e32 v6, vcc_lo, s5, v3, vcc_lo
	s_lshl_b64 s[4:5], s[6:7], 1
	s_delay_alu instid0(SALU_CYCLE_1)
	v_add_co_u32 v7, vcc_lo, v1, s4
	v_add_co_ci_u32_e32 v8, vcc_lo, s5, v3, vcc_lo
	s_clause 0x1
	global_load_u16 v42, v[5:6], off
	global_load_u16 v43, v[7:8], off
	ds_load_b128 v[5:8], v44
	ds_load_b128 v[9:12], v44 offset:16
	s_waitcnt vmcnt(31) lgkmcnt(1)
	v_fma_mix_f32 v2, v5, v2, v4 op_sel_hi:[0,1,0]
	s_waitcnt vmcnt(30)
	s_delay_alu instid0(VALU_DEP_1) | instskip(SKIP_1) | instid1(VALU_DEP_1)
	v_fma_mix_f32 v2, v6, v21, v2 op_sel_hi:[0,1,0]
	s_waitcnt vmcnt(29)
	v_fma_mix_f32 v2, v7, v22, v2 op_sel_hi:[0,1,0]
	ds_load_b128 v[4:7], v44 offset:32
	s_waitcnt vmcnt(28)
	v_fma_mix_f32 v2, v8, v23, v2 op_sel_hi:[0,1,0]
	s_waitcnt vmcnt(27) lgkmcnt(1)
	s_delay_alu instid0(VALU_DEP_1) | instskip(SKIP_1) | instid1(VALU_DEP_1)
	v_fma_mix_f32 v2, v9, v24, v2 op_sel_hi:[0,1,0]
	s_waitcnt vmcnt(26)
	v_fma_mix_f32 v2, v10, v25, v2 op_sel_hi:[0,1,0]
	s_waitcnt vmcnt(25)
	s_delay_alu instid0(VALU_DEP_1) | instskip(SKIP_4) | instid1(VALU_DEP_1)
	v_fma_mix_f32 v2, v11, v26, v2 op_sel_hi:[0,1,0]
	ds_load_b128 v[8:11], v44 offset:48
	s_waitcnt vmcnt(24)
	v_fma_mix_f32 v2, v12, v27, v2 op_sel_hi:[0,1,0]
	s_waitcnt vmcnt(23) lgkmcnt(1)
	v_fma_mix_f32 v2, v4, v28, v2 op_sel_hi:[0,1,0]
	s_waitcnt vmcnt(22)
	s_delay_alu instid0(VALU_DEP_1) | instskip(SKIP_1) | instid1(VALU_DEP_1)
	v_fma_mix_f32 v2, v5, v29, v2 op_sel_hi:[0,1,0]
	s_waitcnt vmcnt(21)
	v_fma_mix_f32 v2, v6, v30, v2 op_sel_hi:[0,1,0]
	s_waitcnt vmcnt(20)
	s_delay_alu instid0(VALU_DEP_1) | instskip(SKIP_4) | instid1(VALU_DEP_1)
	v_fma_mix_f32 v2, v7, v31, v2 op_sel_hi:[0,1,0]
	ds_load_b128 v[4:7], v44 offset:64
	s_waitcnt vmcnt(19) lgkmcnt(1)
	v_fma_mix_f32 v2, v8, v32, v2 op_sel_hi:[0,1,0]
	s_waitcnt vmcnt(18)
	v_fma_mix_f32 v2, v9, v33, v2 op_sel_hi:[0,1,0]
	s_waitcnt vmcnt(17)
	s_delay_alu instid0(VALU_DEP_1) | instskip(SKIP_1) | instid1(VALU_DEP_1)
	v_fma_mix_f32 v2, v10, v17, v2 op_sel_hi:[0,1,0]
	s_waitcnt vmcnt(16)
	v_fma_mix_f32 v2, v11, v18, v2 op_sel_hi:[0,1,0]
	ds_load_b128 v[8:11], v44 offset:80
	s_waitcnt vmcnt(15) lgkmcnt(1)
	v_fma_mix_f32 v2, v4, v19, v2 op_sel_hi:[0,1,0]
	s_waitcnt vmcnt(14)
	s_delay_alu instid0(VALU_DEP_1) | instskip(SKIP_1) | instid1(VALU_DEP_1)
	v_fma_mix_f32 v2, v5, v20, v2 op_sel_hi:[0,1,0]
	s_waitcnt vmcnt(13)
	v_fma_mix_f32 v2, v6, v34, v2 op_sel_hi:[0,1,0]
	s_waitcnt vmcnt(12)
	s_delay_alu instid0(VALU_DEP_1) | instskip(SKIP_4) | instid1(VALU_DEP_1)
	v_fma_mix_f32 v2, v7, v35, v2 op_sel_hi:[0,1,0]
	ds_load_b128 v[4:7], v44 offset:96
	s_waitcnt vmcnt(11) lgkmcnt(1)
	v_fma_mix_f32 v2, v8, v36, v2 op_sel_hi:[0,1,0]
	s_waitcnt vmcnt(10)
	v_fma_mix_f32 v2, v9, v37, v2 op_sel_hi:[0,1,0]
	s_waitcnt vmcnt(9)
	s_delay_alu instid0(VALU_DEP_1) | instskip(SKIP_1) | instid1(VALU_DEP_1)
	v_fma_mix_f32 v2, v10, v38, v2 op_sel_hi:[0,1,0]
	s_waitcnt vmcnt(8)
	v_fma_mix_f32 v2, v11, v39, v2 op_sel_hi:[0,1,0]
	ds_load_b128 v[8:11], v44 offset:112
	s_waitcnt vmcnt(7) lgkmcnt(1)
	v_fma_mix_f32 v2, v4, v40, v2 op_sel_hi:[0,1,0]
	s_waitcnt vmcnt(6)
	s_delay_alu instid0(VALU_DEP_1) | instskip(SKIP_1) | instid1(VALU_DEP_1)
	v_fma_mix_f32 v2, v5, v13, v2 op_sel_hi:[0,1,0]
	s_waitcnt vmcnt(5)
	v_fma_mix_f32 v2, v6, v14, v2 op_sel_hi:[0,1,0]
	s_waitcnt vmcnt(4)
	s_delay_alu instid0(VALU_DEP_1) | instskip(SKIP_1) | instid1(VALU_DEP_1)
	v_fma_mix_f32 v2, v7, v15, v2 op_sel_hi:[0,1,0]
	s_waitcnt vmcnt(3) lgkmcnt(0)
	v_fma_mix_f32 v2, v8, v16, v2 op_sel_hi:[0,1,0]
	s_waitcnt vmcnt(2)
	s_delay_alu instid0(VALU_DEP_1) | instskip(SKIP_1) | instid1(VALU_DEP_1)
	v_fma_mix_f32 v2, v9, v41, v2 op_sel_hi:[0,1,0]
	s_waitcnt vmcnt(1)
	v_fma_mix_f32 v2, v10, v42, v2 op_sel_hi:[0,1,0]
	s_waitcnt vmcnt(0)
	s_delay_alu instid0(VALU_DEP_1)
	v_fma_mix_f32 v4, v11, v43, v2 op_sel_hi:[0,1,0]
	s_branch .LBB88_14
.LBB88_17:
	v_mov_b32_e32 v1, 0
	s_and_b32 vcc_lo, exec_lo, s15
	ds_load_b32 v1, v1 offset:1408
	s_cbranch_vccz .LBB88_19
; %bb.18:
	s_add_u32 s2, s12, s16
	s_addc_u32 s3, s13, s17
	s_load_b32 s2, s[2:3], 0x0
	s_mov_b32 s3, 0
.LBB88_19:
	s_waitcnt lgkmcnt(0)
	v_add_f32_e32 v1, 0x358637bd, v1
	s_mul_i32 s3, s33, s3
	s_mul_hi_u32 s4, s33, s2
	s_mul_i32 s2, s33, s2
	s_add_i32 s3, s4, s3
	v_div_scale_f32 v2, null, v1, v1, 1.0
	s_lshl_b64 s[2:3], s[2:3], 7
	s_mov_b32 s15, 0
	s_add_u32 s2, s0, s2
	s_delay_alu instid0(VALU_DEP_1) | instskip(SKIP_2) | instid1(SALU_CYCLE_1)
	v_rcp_f32_e32 v3, v2
	s_addc_u32 s3, s1, s3
	s_lshl_b64 s[0:1], s[14:15], 7
	s_add_u32 s0, s2, s0
	s_addc_u32 s1, s3, s1
	s_waitcnt_depctr 0xfff
	v_fma_f32 v5, -v2, v3, 1.0
	s_delay_alu instid0(VALU_DEP_1) | instskip(SKIP_1) | instid1(VALU_DEP_1)
	v_fmac_f32_e32 v3, v5, v3
	v_div_scale_f32 v5, vcc_lo, 1.0, v1, 1.0
	v_mul_f32_e32 v6, v5, v3
	s_delay_alu instid0(VALU_DEP_1) | instskip(NEXT) | instid1(VALU_DEP_1)
	v_fma_f32 v7, -v2, v6, v5
	v_fmac_f32_e32 v6, v7, v3
	s_delay_alu instid0(VALU_DEP_1) | instskip(NEXT) | instid1(VALU_DEP_1)
	v_fma_f32 v2, -v2, v6, v5
	v_div_fmas_f32 v2, v2, v3, v6
	s_delay_alu instid0(VALU_DEP_1) | instskip(NEXT) | instid1(VALU_DEP_1)
	v_div_fixup_f32 v1, v2, v1, 1.0
	v_fma_mixlo_f16 v1, v4, v1, 0
	global_store_b16 v0, v1, s[0:1]
	s_nop 0
	s_sendmsg sendmsg(MSG_DEALLOC_VGPRS)
	s_endpgm
.LBB88_20:
	s_mov_b32 s4, 0
	s_branch .LBB88_2
	.section	.rodata,"a",@progbits
	.p2align	6, 0x0
	.amdhsa_kernel _Z35paged_attention_ll4mi_reduce_kernelIDF16_DF16_Li64ELi64ELi256ELi11EEvPT0_PKfS3_PKT_PKiS8_iS3_
		.amdhsa_group_segment_fixed_size 1412
		.amdhsa_private_segment_fixed_size 0
		.amdhsa_kernarg_size 320
		.amdhsa_user_sgpr_count 14
		.amdhsa_user_sgpr_dispatch_ptr 0
		.amdhsa_user_sgpr_queue_ptr 0
		.amdhsa_user_sgpr_kernarg_segment_ptr 1
		.amdhsa_user_sgpr_dispatch_id 0
		.amdhsa_user_sgpr_private_segment_size 0
		.amdhsa_wavefront_size32 1
		.amdhsa_uses_dynamic_stack 0
		.amdhsa_enable_private_segment 0
		.amdhsa_system_sgpr_workgroup_id_x 1
		.amdhsa_system_sgpr_workgroup_id_y 1
		.amdhsa_system_sgpr_workgroup_id_z 0
		.amdhsa_system_sgpr_workgroup_info 0
		.amdhsa_system_vgpr_workitem_id 0
		.amdhsa_next_free_vgpr 62
		.amdhsa_next_free_sgpr 47
		.amdhsa_reserve_vcc 1
		.amdhsa_float_round_mode_32 0
		.amdhsa_float_round_mode_16_64 0
		.amdhsa_float_denorm_mode_32 3
		.amdhsa_float_denorm_mode_16_64 3
		.amdhsa_dx10_clamp 1
		.amdhsa_ieee_mode 1
		.amdhsa_fp16_overflow 0
		.amdhsa_workgroup_processor_mode 1
		.amdhsa_memory_ordered 1
		.amdhsa_forward_progress 0
		.amdhsa_shared_vgpr_count 0
		.amdhsa_exception_fp_ieee_invalid_op 0
		.amdhsa_exception_fp_denorm_src 0
		.amdhsa_exception_fp_ieee_div_zero 0
		.amdhsa_exception_fp_ieee_overflow 0
		.amdhsa_exception_fp_ieee_underflow 0
		.amdhsa_exception_fp_ieee_inexact 0
		.amdhsa_exception_int_div_zero 0
	.end_amdhsa_kernel
	.section	.text._Z35paged_attention_ll4mi_reduce_kernelIDF16_DF16_Li64ELi64ELi256ELi11EEvPT0_PKfS3_PKT_PKiS8_iS3_,"axG",@progbits,_Z35paged_attention_ll4mi_reduce_kernelIDF16_DF16_Li64ELi64ELi256ELi11EEvPT0_PKfS3_PKT_PKiS8_iS3_,comdat
.Lfunc_end88:
	.size	_Z35paged_attention_ll4mi_reduce_kernelIDF16_DF16_Li64ELi64ELi256ELi11EEvPT0_PKfS3_PKT_PKiS8_iS3_, .Lfunc_end88-_Z35paged_attention_ll4mi_reduce_kernelIDF16_DF16_Li64ELi64ELi256ELi11EEvPT0_PKfS3_PKT_PKiS8_iS3_
                                        ; -- End function
	.section	.AMDGPU.csdata,"",@progbits
; Kernel info:
; codeLenInByte = 7088
; NumSgprs: 49
; NumVgprs: 62
; ScratchSize: 0
; MemoryBound: 0
; FloatMode: 240
; IeeeMode: 1
; LDSByteSize: 1412 bytes/workgroup (compile time only)
; SGPRBlocks: 6
; VGPRBlocks: 7
; NumSGPRsForWavesPerEU: 49
; NumVGPRsForWavesPerEU: 62
; Occupancy: 16
; WaveLimiterHint : 0
; COMPUTE_PGM_RSRC2:SCRATCH_EN: 0
; COMPUTE_PGM_RSRC2:USER_SGPR: 14
; COMPUTE_PGM_RSRC2:TRAP_HANDLER: 0
; COMPUTE_PGM_RSRC2:TGID_X_EN: 1
; COMPUTE_PGM_RSRC2:TGID_Y_EN: 1
; COMPUTE_PGM_RSRC2:TGID_Z_EN: 0
; COMPUTE_PGM_RSRC2:TIDIG_COMP_CNT: 0
	.section	.text._Z35paged_attention_ll4mi_reduce_kernelIDF16_DF16_Li64ELi64ELi256ELi12EEvPT0_PKfS3_PKT_PKiS8_iS3_,"axG",@progbits,_Z35paged_attention_ll4mi_reduce_kernelIDF16_DF16_Li64ELi64ELi256ELi12EEvPT0_PKfS3_PKT_PKiS8_iS3_,comdat
	.protected	_Z35paged_attention_ll4mi_reduce_kernelIDF16_DF16_Li64ELi64ELi256ELi12EEvPT0_PKfS3_PKT_PKiS8_iS3_ ; -- Begin function _Z35paged_attention_ll4mi_reduce_kernelIDF16_DF16_Li64ELi64ELi256ELi12EEvPT0_PKfS3_PKT_PKiS8_iS3_
	.globl	_Z35paged_attention_ll4mi_reduce_kernelIDF16_DF16_Li64ELi64ELi256ELi12EEvPT0_PKfS3_PKT_PKiS8_iS3_
	.p2align	8
	.type	_Z35paged_attention_ll4mi_reduce_kernelIDF16_DF16_Li64ELi64ELi256ELi12EEvPT0_PKfS3_PKT_PKiS8_iS3_,@function
_Z35paged_attention_ll4mi_reduce_kernelIDF16_DF16_Li64ELi64ELi256ELi12EEvPT0_PKfS3_PKT_PKiS8_iS3_: ; @_Z35paged_attention_ll4mi_reduce_kernelIDF16_DF16_Li64ELi64ELi256ELi12EEvPT0_PKfS3_PKT_PKiS8_iS3_
; %bb.0:
	s_load_b64 s[12:13], s[0:1], 0x28
	s_mov_b32 s2, s15
	s_waitcnt lgkmcnt(0)
	s_cmp_lg_u64 s[12:13], 0
	s_cselect_b32 s15, -1, 0
	s_delay_alu instid0(SALU_CYCLE_1)
	s_and_b32 vcc_lo, exec_lo, s15
	s_cbranch_vccz .LBB89_20
; %bb.1:
	s_add_i32 s4, s2, 1
	s_mov_b32 s5, 0
	s_delay_alu instid0(SALU_CYCLE_1) | instskip(SKIP_4) | instid1(SALU_CYCLE_1)
	s_lshl_b64 s[6:7], s[4:5], 2
	s_mov_b32 s3, s5
	s_add_u32 s6, s12, s6
	s_addc_u32 s7, s13, s7
	s_lshl_b64 s[8:9], s[2:3], 2
	s_add_u32 s8, s12, s8
	s_addc_u32 s9, s13, s9
	s_clause 0x1
	s_load_b32 s4, s[6:7], 0x0
	s_load_b32 s6, s[8:9], 0x0
	s_waitcnt lgkmcnt(0)
	s_sub_i32 s4, s4, s6
	s_delay_alu instid0(SALU_CYCLE_1)
	s_cmp_eq_u32 s4, 1
	s_cselect_b32 s4, -1, 0
	s_cbranch_execnz .LBB89_3
.LBB89_2:
	s_mov_b32 s3, 0
	s_mov_b32 s4, -1
.LBB89_3:
	s_delay_alu instid0(SALU_CYCLE_1)
	s_and_not1_b32 vcc_lo, exec_lo, s4
	s_cbranch_vccz .LBB89_5
; %bb.4:
	s_endpgm
.LBB89_5:
	s_clause 0x1
	s_load_b128 s[4:7], s[0:1], 0x18
	s_load_b32 s9, s[0:1], 0x30
	s_lshl_b64 s[16:17], s[2:3], 2
	s_waitcnt lgkmcnt(0)
	s_add_u32 s6, s6, s16
	s_addc_u32 s7, s7, s17
	s_load_b32 s23, s[6:7], 0x0
	s_load_b32 s33, s[0:1], 0x40
	s_mul_i32 s7, s2, s9
	s_waitcnt lgkmcnt(0)
	s_add_i32 s22, s23, 0xff
	s_delay_alu instid0(SALU_CYCLE_1) | instskip(NEXT) | instid1(SALU_CYCLE_1)
	s_ashr_i32 s6, s22, 31
	s_lshr_b32 s6, s6, 24
	s_delay_alu instid0(SALU_CYCLE_1) | instskip(SKIP_4) | instid1(SALU_CYCLE_1)
	s_add_i32 s8, s22, s6
	s_mul_i32 s6, s14, s9
	s_mov_b32 s9, exec_lo
	v_cmpx_lt_u32_e32 31, v0
	s_xor_b32 s9, exec_lo, s9
	s_or_saveexec_b32 s24, s9
	v_mov_b32_e32 v1, s6
	s_ashr_i32 s40, s8, 8
	s_mul_i32 s18, s7, s33
	s_xor_b32 exec_lo, exec_lo, s24
	s_cbranch_execz .LBB89_9
; %bb.6:
	v_or_b32_e32 v2, 32, v0
	v_cmp_gt_i32_e32 vcc_lo, s40, v0
	s_add_i32 s20, s40, -1
	v_or_b32_e32 v4, 64, v0
	v_or_b32_e32 v6, 0x60, v0
	s_load_b128 s[8:11], s[0:1], 0x8
	v_cndmask_b32_e32 v1, s20, v0, vcc_lo
	v_cmp_gt_i32_e32 vcc_lo, s40, v2
	s_mov_b32 s19, 0
	s_delay_alu instid0(SALU_CYCLE_1)
	s_mov_b32 s7, s19
	v_cndmask_b32_e32 v3, s20, v2, vcc_lo
	v_cmp_gt_i32_e32 vcc_lo, s40, v4
	v_or_b32_e32 v2, 0x80, v0
	v_cndmask_b32_e32 v5, s20, v4, vcc_lo
	v_cmp_gt_i32_e32 vcc_lo, s40, v6
	v_or_b32_e32 v4, 0xa0, v0
	;; [unrolled: 3-line block ×3, first 2 shown]
	s_delay_alu instid0(VALU_DEP_3) | instskip(SKIP_3) | instid1(VALU_DEP_3)
	v_ashrrev_i32_e32 v8, 31, v7
	v_cndmask_b32_e32 v9, s20, v2, vcc_lo
	v_cmp_gt_i32_e32 vcc_lo, s40, v4
	v_or_b32_e32 v2, 0xe0, v0
	v_ashrrev_i32_e32 v10, 31, v9
	v_cndmask_b32_e32 v11, s20, v4, vcc_lo
	v_cmp_gt_i32_e32 vcc_lo, s40, v6
	v_or_b32_e32 v4, 0x100, v0
	s_delay_alu instid0(VALU_DEP_3) | instskip(SKIP_3) | instid1(VALU_DEP_3)
	v_ashrrev_i32_e32 v12, 31, v11
	v_cndmask_b32_e32 v13, s20, v6, vcc_lo
	v_cmp_gt_i32_e32 vcc_lo, s40, v2
	v_or_b32_e32 v6, 0x140, v0
	v_ashrrev_i32_e32 v14, 31, v13
	v_cndmask_b32_e32 v15, s20, v2, vcc_lo
	v_or_b32_e32 v2, 0x120, v0
	v_cmp_gt_i32_e32 vcc_lo, s40, v4
	s_delay_alu instid0(VALU_DEP_3) | instskip(SKIP_1) | instid1(VALU_DEP_4)
	v_ashrrev_i32_e32 v16, 31, v15
	v_cndmask_b32_e32 v17, s20, v4, vcc_lo
	v_cmp_gt_i32_e32 vcc_lo, s40, v2
	v_or_b32_e32 v4, 0x160, v0
	s_delay_alu instid0(VALU_DEP_3) | instskip(SKIP_3) | instid1(VALU_DEP_3)
	v_ashrrev_i32_e32 v18, 31, v17
	v_cndmask_b32_e32 v19, s20, v2, vcc_lo
	v_cmp_gt_i32_e32 vcc_lo, s40, v6
	v_ashrrev_i32_e32 v2, 31, v1
	v_ashrrev_i32_e32 v20, 31, v19
	v_cndmask_b32_e32 v21, s20, v6, vcc_lo
	v_cmp_gt_i32_e32 vcc_lo, s40, v4
	s_delay_alu instid0(VALU_DEP_4) | instskip(SKIP_1) | instid1(VALU_DEP_4)
	v_lshlrev_b64 v[25:26], 2, v[1:2]
	v_ashrrev_i32_e32 v6, 31, v5
	v_ashrrev_i32_e32 v22, 31, v21
	v_cndmask_b32_e32 v23, s20, v4, vcc_lo
	v_ashrrev_i32_e32 v4, 31, v3
	s_lshl_b64 s[20:21], s[18:19], 2
	s_waitcnt lgkmcnt(0)
	s_add_u32 s19, s10, s20
	s_addc_u32 s25, s11, s21
	s_lshl_b64 s[10:11], s[6:7], 2
	v_lshlrev_b64 v[2:3], 2, v[3:4]
	s_add_u32 s7, s19, s10
	s_addc_u32 s19, s25, s11
	v_add_co_u32 v27, vcc_lo, s7, v25
	v_lshlrev_b64 v[4:5], 2, v[5:6]
	v_add_co_ci_u32_e32 v28, vcc_lo, s19, v26, vcc_lo
	v_add_co_u32 v29, vcc_lo, s7, v2
	v_lshlrev_b64 v[6:7], 2, v[7:8]
	v_add_co_ci_u32_e32 v30, vcc_lo, s19, v3, vcc_lo
	;; [unrolled: 3-line block ×4, first 2 shown]
	s_clause 0x3
	global_load_b32 v39, v[27:28], off
	global_load_b32 v40, v[29:30], off
	;; [unrolled: 1-line block ×4, first 2 shown]
	v_add_co_u32 v27, vcc_lo, s7, v8
	v_lshlrev_b64 v[12:13], 2, v[13:14]
	v_add_co_ci_u32_e32 v28, vcc_lo, s19, v9, vcc_lo
	v_add_co_u32 v29, vcc_lo, s7, v10
	v_lshlrev_b64 v[14:15], 2, v[15:16]
	v_add_co_ci_u32_e32 v30, vcc_lo, s19, v11, vcc_lo
	v_add_co_u32 v31, vcc_lo, s7, v12
	v_lshlrev_b64 v[16:17], 2, v[17:18]
	v_add_co_ci_u32_e32 v32, vcc_lo, s19, v13, vcc_lo
	v_add_co_u32 v33, vcc_lo, s7, v14
	v_lshlrev_b64 v[18:19], 2, v[19:20]
	v_add_co_ci_u32_e32 v34, vcc_lo, s19, v15, vcc_lo
	v_ashrrev_i32_e32 v24, 31, v23
	v_add_co_u32 v35, vcc_lo, s7, v16
	v_lshlrev_b64 v[20:21], 2, v[21:22]
	v_add_co_ci_u32_e32 v36, vcc_lo, s19, v17, vcc_lo
	v_add_co_u32 v37, vcc_lo, s7, v18
	v_lshlrev_b64 v[22:23], 2, v[23:24]
	v_add_co_ci_u32_e32 v38, vcc_lo, s19, v19, vcc_lo
	s_clause 0x5
	global_load_b32 v43, v[27:28], off
	global_load_b32 v44, v[29:30], off
	;; [unrolled: 1-line block ×6, first 2 shown]
	v_add_co_u32 v27, vcc_lo, s7, v20
	v_add_co_ci_u32_e32 v28, vcc_lo, s19, v21, vcc_lo
	v_add_co_u32 v29, vcc_lo, s7, v22
	v_add_co_ci_u32_e32 v30, vcc_lo, s19, v23, vcc_lo
	s_clause 0x1
	global_load_b32 v27, v[27:28], off
	global_load_b32 v28, v[29:30], off
	v_mbcnt_lo_u32_b32 v29, -1, 0
	s_add_u32 s7, s8, s20
	s_addc_u32 s8, s9, s21
	s_add_u32 s7, s7, s10
	s_addc_u32 s8, s8, s11
	v_xor_b32_e32 v1, 16, v29
	v_xor_b32_e32 v24, 8, v29
	s_delay_alu instid0(VALU_DEP_2) | instskip(SKIP_1) | instid1(VALU_DEP_3)
	v_cmp_gt_i32_e32 vcc_lo, 32, v1
	v_cndmask_b32_e32 v1, v29, v1, vcc_lo
	v_cmp_gt_i32_e32 vcc_lo, 32, v24
	s_delay_alu instid0(VALU_DEP_2) | instskip(SKIP_2) | instid1(VALU_DEP_1)
	v_dual_cndmask_b32 v30, v29, v24 :: v_dual_lshlrev_b32 v1, 2, v1
	s_waitcnt vmcnt(10)
	v_dual_max_f32 v35, v39, v39 :: v_dual_max_f32 v24, v40, v40
	v_max_f32_e32 v35, v35, v24
	v_add_co_u32 v24, vcc_lo, s7, v25
	v_add_co_ci_u32_e32 v25, vcc_lo, s8, v26, vcc_lo
	s_waitcnt vmcnt(8)
	s_delay_alu instid0(VALU_DEP_3)
	v_max3_f32 v26, v35, v41, v42
	v_add_co_u32 v2, vcc_lo, s7, v2
	v_add_co_ci_u32_e32 v3, vcc_lo, s8, v3, vcc_lo
	v_add_co_u32 v4, vcc_lo, s7, v4
	v_add_co_ci_u32_e32 v5, vcc_lo, s8, v5, vcc_lo
	;; [unrolled: 2-line block ×3, first 2 shown]
	s_clause 0x1
	global_load_b32 v24, v[24:25], off
	global_load_b32 v25, v[2:3], off
	v_add_co_u32 v2, vcc_lo, s7, v8
	v_add_co_ci_u32_e32 v3, vcc_lo, s8, v9, vcc_lo
	global_load_b32 v35, v[4:5], off
	v_add_co_u32 v4, vcc_lo, s7, v10
	s_waitcnt vmcnt(9)
	v_max3_f32 v26, v26, v43, v44
	v_add_co_ci_u32_e32 v5, vcc_lo, s8, v11, vcc_lo
	global_load_b32 v10, v[6:7], off
	v_add_co_u32 v6, vcc_lo, s7, v12
	s_waitcnt vmcnt(8)
	v_max3_f32 v26, v26, v31, v32
	v_add_co_ci_u32_e32 v7, vcc_lo, s8, v13, vcc_lo
	s_clause 0x1
	global_load_b32 v12, v[2:3], off
	global_load_b32 v4, v[4:5], off
	s_waitcnt vmcnt(8)
	v_max3_f32 v26, v26, v33, v34
	v_add_co_u32 v2, vcc_lo, s7, v14
	v_add_co_ci_u32_e32 v3, vcc_lo, s8, v15, vcc_lo
	s_waitcnt vmcnt(6)
	s_delay_alu instid0(VALU_DEP_3)
	v_max3_f32 v26, v26, v27, v28
	v_add_co_u32 v8, vcc_lo, s7, v16
	v_add_co_ci_u32_e32 v9, vcc_lo, s8, v17, vcc_lo
	ds_bpermute_b32 v11, v1, v26
	s_clause 0x2
	global_load_b32 v6, v[6:7], off
	global_load_b32 v7, v[2:3], off
	;; [unrolled: 1-line block ×3, first 2 shown]
	v_lshlrev_b32_e32 v5, 2, v30
	v_add_co_u32 v2, vcc_lo, s7, v18
	v_add_co_ci_u32_e32 v3, vcc_lo, s8, v19, vcc_lo
	v_xor_b32_e32 v15, 4, v29
	v_xor_b32_e32 v16, 1, v29
	s_waitcnt lgkmcnt(0)
	v_max_f32_e32 v9, v11, v11
	global_load_b32 v11, v[2:3], off
	v_add_co_u32 v2, vcc_lo, s7, v20
	v_add_co_ci_u32_e32 v3, vcc_lo, s8, v21, vcc_lo
	v_max_f32_e32 v9, v26, v9
	global_load_b32 v14, v[2:3], off
	v_add_co_u32 v2, vcc_lo, s7, v22
	ds_bpermute_b32 v13, v5, v9
	v_add_co_ci_u32_e32 v3, vcc_lo, s8, v23, vcc_lo
	v_cmp_gt_i32_e32 vcc_lo, 32, v15
	s_mov_b32 s7, exec_lo
	global_load_b32 v3, v[2:3], off
	v_cndmask_b32_e32 v15, v29, v15, vcc_lo
	s_waitcnt lgkmcnt(0)
	s_delay_alu instid0(VALU_DEP_1) | instskip(SKIP_1) | instid1(VALU_DEP_2)
	v_dual_max_f32 v2, v13, v13 :: v_dual_lshlrev_b32 v13, 2, v15
	v_xor_b32_e32 v15, 2, v29
	v_max_f32_e32 v2, v9, v2
	s_delay_alu instid0(VALU_DEP_2) | instskip(SKIP_3) | instid1(VALU_DEP_2)
	v_cmp_gt_i32_e32 vcc_lo, 32, v15
	ds_bpermute_b32 v9, v13, v2
	v_cndmask_b32_e32 v15, v29, v15, vcc_lo
	v_cmp_gt_i32_e32 vcc_lo, 32, v16
	v_dual_cndmask_b32 v16, v29, v16 :: v_dual_lshlrev_b32 v15, 2, v15
	s_waitcnt lgkmcnt(0)
	s_delay_alu instid0(VALU_DEP_1) | instskip(NEXT) | instid1(VALU_DEP_1)
	v_dual_max_f32 v9, v9, v9 :: v_dual_lshlrev_b32 v16, 2, v16
	v_max_f32_e32 v2, v2, v9
	ds_bpermute_b32 v9, v15, v2
	s_waitcnt lgkmcnt(0)
	v_max_f32_e32 v9, v9, v9
	s_delay_alu instid0(VALU_DEP_1) | instskip(SKIP_3) | instid1(VALU_DEP_1)
	v_max_f32_e32 v2, v2, v9
	ds_bpermute_b32 v9, v16, v2
	s_waitcnt lgkmcnt(0)
	v_max_f32_e32 v9, v9, v9
	v_max_f32_e32 v2, v2, v9
	v_sub_nc_u32_e32 v9, s40, v0
	s_delay_alu instid0(VALU_DEP_2)
	v_sub_f32_e32 v21, v43, v2
	v_sub_f32_e32 v30, v34, v2
	;; [unrolled: 1-line block ×5, first 2 shown]
	v_mul_f32_e32 v34, 0x3fb8aa3b, v21
	v_sub_f32_e32 v18, v40, v2
	v_mul_f32_e32 v36, 0x3fb8aa3b, v22
	v_mul_f32_e32 v32, 0x3fb8aa3b, v19
	;; [unrolled: 1-line block ×3, first 2 shown]
	v_fma_f32 v51, 0x3fb8aa3b, v21, -v34
	v_rndne_f32_e32 v52, v34
	v_mul_f32_e32 v40, 0x3fb8aa3b, v30
	v_fma_f32 v53, 0x3fb8aa3b, v22, -v36
	v_rndne_f32_e32 v54, v36
	s_delay_alu instid0(VALU_DEP_4)
	v_dual_fmac_f32 v51, 0x32a5705f, v21 :: v_dual_sub_f32 v34, v34, v52
	v_sub_f32_e32 v20, v42, v2
	v_fma_f32 v47, 0x3fb8aa3b, v19, -v32
	v_rndne_f32_e32 v48, v32
	v_fma_f32 v57, 0x3fb8aa3b, v26, -v38
	v_add_f32_e32 v34, v34, v51
	v_rndne_f32_e32 v58, v38
	v_fma_f32 v61, 0x3fb8aa3b, v30, -v40
	v_rndne_f32_e32 v62, v40
	v_cvt_i32_f32_e32 v52, v52
	v_exp_f32_e32 v34, v34
	v_fmac_f32_e32 v53, 0x32a5705f, v22
	v_sub_f32_e32 v36, v36, v54
	v_sub_f32_e32 v23, v31, v2
	v_dual_sub_f32 v17, v39, v2 :: v_dual_sub_f32 v32, v32, v48
	v_fmac_f32_e32 v57, 0x32a5705f, v26
	v_sub_f32_e32 v38, v38, v58
	v_sub_f32_e32 v29, v33, v2
	v_dual_mul_f32 v33, 0x3fb8aa3b, v20 :: v_dual_sub_f32 v40, v40, v62
	v_fmac_f32_e32 v61, 0x32a5705f, v30
	v_sub_f32_e32 v27, v27, v2
	v_sub_f32_e32 v2, v28, v2
	v_dual_add_f32 v36, v36, v53 :: v_dual_mul_f32 v37, 0x3fb8aa3b, v23
	v_ldexp_f32 v34, v34, v52
	v_fmac_f32_e32 v47, 0x32a5705f, v19
	s_delay_alu instid0(VALU_DEP_4)
	v_mul_f32_e32 v42, 0x3fb8aa3b, v2
	v_mul_f32_e32 v28, 0x3fb8aa3b, v17
	v_add_f32_e32 v40, v40, v61
	v_cvt_i32_f32_e32 v48, v48
	v_add_f32_e32 v32, v32, v47
	v_fma_f32 v65, 0x3fb8aa3b, v2, -v42
	v_rndne_f32_e32 v66, v42
	v_fma_f32 v43, 0x3fb8aa3b, v17, -v28
	v_rndne_f32_e32 v44, v28
	v_exp_f32_e32 v32, v32
	v_fmac_f32_e32 v65, 0x32a5705f, v2
	v_sub_f32_e32 v42, v42, v66
	v_dual_mul_f32 v31, 0x3fb8aa3b, v18 :: v_dual_add_f32 v38, v38, v57
	v_mul_f32_e32 v39, 0x3fb8aa3b, v29
	v_exp_f32_e32 v36, v36
	v_exp_f32_e32 v40, v40
	v_sub_f32_e32 v28, v28, v44
	v_cvt_i32_f32_e32 v54, v54
	v_cvt_i32_f32_e32 v62, v62
	v_add_f32_e32 v42, v42, v65
	v_fma_f32 v45, 0x3fb8aa3b, v18, -v31
	v_rndne_f32_e32 v46, v31
	v_ldexp_f32 v32, v32, v48
	v_fmac_f32_e32 v43, 0x32a5705f, v17
	v_ldexp_f32 v36, v36, v54
	v_fmac_f32_e32 v45, 0x32a5705f, v18
	v_ldexp_f32 v40, v40, v62
	s_delay_alu instid0(VALU_DEP_4) | instskip(SKIP_3) | instid1(VALU_DEP_3)
	v_dual_sub_f32 v31, v31, v46 :: v_dual_add_f32 v28, v28, v43
	v_cvt_i32_f32_e32 v44, v44
	v_cvt_i32_f32_e32 v46, v46
	v_exp_f32_e32 v38, v38
	v_add_f32_e32 v31, v31, v45
	v_exp_f32_e32 v28, v28
	v_cmp_ngt_f32_e32 vcc_lo, 0xc2ce8ed0, v17
	v_fma_f32 v49, 0x3fb8aa3b, v20, -v33
	v_rndne_f32_e32 v50, v33
	v_exp_f32_e32 v31, v31
	v_cvt_i32_f32_e32 v58, v58
	v_fma_f32 v55, 0x3fb8aa3b, v23, -v37
	v_rndne_f32_e32 v56, v37
	v_fma_f32 v59, 0x3fb8aa3b, v29, -v39
	v_rndne_f32_e32 v60, v39
	v_ldexp_f32 v28, v28, v44
	v_mul_f32_e32 v41, 0x3fb8aa3b, v27
	v_ldexp_f32 v38, v38, v58
	v_fmac_f32_e32 v49, 0x32a5705f, v20
	v_ldexp_f32 v31, v31, v46
	v_cndmask_b32_e32 v28, 0, v28, vcc_lo
	v_cmp_ngt_f32_e32 vcc_lo, 0xc2ce8ed0, v18
	v_fmac_f32_e32 v55, 0x32a5705f, v23
	v_fmac_f32_e32 v59, 0x32a5705f, v29
	v_rndne_f32_e32 v64, v41
	v_fma_f32 v63, 0x3fb8aa3b, v27, -v41
	v_cndmask_b32_e32 v31, 0, v31, vcc_lo
	v_sub_f32_e32 v33, v33, v50
	v_cvt_i32_f32_e32 v50, v50
	v_cmp_ngt_f32_e32 vcc_lo, 0xc2ce8ed0, v19
	v_exp_f32_e32 v42, v42
	s_delay_alu instid0(VALU_DEP_3) | instskip(SKIP_1) | instid1(VALU_DEP_2)
	v_dual_add_f32 v33, v33, v49 :: v_dual_cndmask_b32 v32, 0, v32
	v_cmp_ngt_f32_e32 vcc_lo, 0xc2ce8ed0, v20
	v_exp_f32_e32 v33, v33
	s_waitcnt_depctr 0xfff
	v_ldexp_f32 v33, v33, v50
	s_delay_alu instid0(VALU_DEP_1) | instskip(SKIP_3) | instid1(VALU_DEP_3)
	v_cndmask_b32_e32 v33, 0, v33, vcc_lo
	v_sub_f32_e32 v37, v37, v56
	v_cmp_ngt_f32_e32 vcc_lo, 0xc2ce8ed0, v21
	v_cvt_i32_f32_e32 v56, v56
	v_dual_add_f32 v37, v37, v55 :: v_dual_cndmask_b32 v34, 0, v34
	v_cmp_ngt_f32_e32 vcc_lo, 0xc2ce8ed0, v22
	s_delay_alu instid0(VALU_DEP_2) | instskip(SKIP_4) | instid1(VALU_DEP_1)
	v_exp_f32_e32 v37, v37
	v_cndmask_b32_e32 v36, 0, v36, vcc_lo
	v_cmp_ngt_f32_e32 vcc_lo, 0xc2ce8ed0, v23
	s_waitcnt_depctr 0xfff
	v_ldexp_f32 v37, v37, v56
	v_cndmask_b32_e32 v37, 0, v37, vcc_lo
	v_cmp_ngt_f32_e32 vcc_lo, 0xc2ce8ed0, v26
	v_dual_cndmask_b32 v38, 0, v38 :: v_dual_sub_f32 v39, v39, v60
	v_cvt_i32_f32_e32 v60, v60
	v_cmp_ngt_f32_e32 vcc_lo, 0xc2ce8ed0, v29
	s_delay_alu instid0(VALU_DEP_3) | instskip(NEXT) | instid1(VALU_DEP_1)
	v_add_f32_e32 v39, v39, v59
	v_exp_f32_e32 v39, v39
	s_waitcnt_depctr 0xfff
	v_ldexp_f32 v39, v39, v60
	s_delay_alu instid0(VALU_DEP_1)
	v_cndmask_b32_e32 v39, 0, v39, vcc_lo
	v_cmp_ngt_f32_e32 vcc_lo, 0xc2ce8ed0, v30
	v_cndmask_b32_e32 v40, 0, v40, vcc_lo
	v_cmp_nlt_f32_e32 vcc_lo, 0x42b17218, v17
	v_cndmask_b32_e32 v17, 0x7f800000, v28, vcc_lo
	v_cmp_nlt_f32_e32 vcc_lo, 0x42b17218, v18
	;; [unrolled: 2-line block ×6, first 2 shown]
	v_cndmask_b32_e32 v22, 0x7f800000, v36, vcc_lo
	v_cmp_lt_i32_e32 vcc_lo, 0, v9
	v_cndmask_b32_e32 v17, 0, v17, vcc_lo
	v_cmp_lt_i32_e32 vcc_lo, 32, v9
	s_waitcnt vmcnt(11)
	s_delay_alu instid0(VALU_DEP_2) | instskip(SKIP_2) | instid1(VALU_DEP_2)
	v_dual_mul_f32 v17, v24, v17 :: v_dual_cndmask_b32 v18, 0, v18
	v_cmp_nlt_f32_e32 vcc_lo, 0x42b17218, v23
	s_waitcnt vmcnt(10)
	v_dual_mul_f32 v18, v25, v18 :: v_dual_cndmask_b32 v23, 0x7f800000, v37
	v_cmp_lt_i32_e32 vcc_lo, 64, v9
	v_cndmask_b32_e32 v19, 0, v19, vcc_lo
	v_cmp_nlt_f32_e32 vcc_lo, 0x42b17218, v26
	v_cndmask_b32_e32 v24, 0x7f800000, v38, vcc_lo
	v_cmp_lt_i32_e32 vcc_lo, 0x60, v9
	v_cndmask_b32_e32 v20, 0, v20, vcc_lo
	v_cmp_nlt_f32_e32 vcc_lo, 0x42b17218, v29
	v_sub_f32_e32 v41, v41, v64
	v_cvt_i32_f32_e32 v64, v64
	s_waitcnt vmcnt(8)
	v_mul_f32_e32 v10, v10, v20
	v_cndmask_b32_e32 v26, 0x7f800000, v39, vcc_lo
	v_cmp_lt_i32_e32 vcc_lo, 0x80, v9
	v_cndmask_b32_e32 v21, 0, v21, vcc_lo
	v_cmp_lt_i32_e32 vcc_lo, 0xa0, v9
	s_waitcnt vmcnt(7)
	s_delay_alu instid0(VALU_DEP_2) | instskip(SKIP_3) | instid1(VALU_DEP_2)
	v_dual_fmac_f32 v63, 0x32a5705f, v27 :: v_dual_mul_f32 v12, v12, v21
	v_cndmask_b32_e32 v22, 0, v22, vcc_lo
	v_cmp_lt_i32_e32 vcc_lo, 0xc0, v9
	s_waitcnt vmcnt(6)
	v_dual_mul_f32 v4, v4, v22 :: v_dual_cndmask_b32 v23, 0, v23
	v_cmp_lt_i32_e32 vcc_lo, 0xe0, v9
	s_waitcnt vmcnt(5)
	s_delay_alu instid0(VALU_DEP_2) | instskip(SKIP_3) | instid1(VALU_DEP_3)
	v_dual_mul_f32 v6, v6, v23 :: v_dual_cndmask_b32 v21, 0, v24
	v_cmp_lt_i32_e32 vcc_lo, 0x100, v9
	v_cvt_i32_f32_e32 v23, v66
	s_waitcnt vmcnt(4)
	v_dual_mul_f32 v7, v7, v21 :: v_dual_cndmask_b32 v24, 0, v26
	v_cmp_nlt_f32_e32 vcc_lo, 0x42b17218, v30
	s_waitcnt vmcnt(3)
	s_delay_alu instid0(VALU_DEP_2) | instskip(SKIP_1) | instid1(VALU_DEP_2)
	v_dual_add_f32 v41, v41, v63 :: v_dual_mul_f32 v8, v8, v24
	v_cndmask_b32_e32 v22, 0x7f800000, v40, vcc_lo
	v_exp_f32_e32 v41, v41
	v_cmp_ngt_f32_e32 vcc_lo, 0xc2ce8ed0, v27
	s_waitcnt_depctr 0xfff
	v_ldexp_f32 v41, v41, v64
	s_delay_alu instid0(VALU_DEP_1) | instskip(SKIP_4) | instid1(VALU_DEP_2)
	v_cndmask_b32_e32 v21, 0, v41, vcc_lo
	v_cmp_lt_i32_e32 vcc_lo, 0x120, v9
	v_cndmask_b32_e32 v22, 0, v22, vcc_lo
	v_cmp_nlt_f32_e32 vcc_lo, 0x42b17218, v27
	s_waitcnt vmcnt(2)
	v_mul_f32_e32 v11, v11, v22
	v_cndmask_b32_e32 v21, 0x7f800000, v21, vcc_lo
	v_cmp_lt_i32_e32 vcc_lo, 0x140, v9
	v_ldexp_f32 v22, v42, v23
	s_delay_alu instid0(VALU_DEP_3) | instskip(SKIP_2) | instid1(VALU_DEP_2)
	v_cndmask_b32_e32 v21, 0, v21, vcc_lo
	v_cmp_ngt_f32_e32 vcc_lo, 0xc2ce8ed0, v2
	s_waitcnt vmcnt(1)
	v_mul_f32_e32 v14, v14, v21
	v_cndmask_b32_e32 v22, 0, v22, vcc_lo
	v_cmp_nlt_f32_e32 vcc_lo, 0x42b17218, v2
	s_delay_alu instid0(VALU_DEP_2) | instskip(SKIP_1) | instid1(VALU_DEP_2)
	v_dual_mul_f32 v19, v35, v19 :: v_dual_cndmask_b32 v2, 0x7f800000, v22
	v_cmp_lt_i32_e32 vcc_lo, 0x160, v9
	v_cndmask_b32_e32 v9, 0, v2, vcc_lo
	v_add_f32_e32 v25, v17, v18
	s_delay_alu instid0(VALU_DEP_1) | instskip(NEXT) | instid1(VALU_DEP_1)
	v_add_f32_e32 v20, v25, v19
	v_add_f32_e32 v20, v20, v10
	s_delay_alu instid0(VALU_DEP_1) | instskip(NEXT) | instid1(VALU_DEP_1)
	v_add_f32_e32 v20, v20, v12
	;; [unrolled: 3-line block ×4, first 2 shown]
	v_add_f32_e32 v20, v20, v11
	s_delay_alu instid0(VALU_DEP_1) | instskip(SKIP_1) | instid1(VALU_DEP_1)
	v_add_f32_e32 v2, v20, v14
	s_waitcnt vmcnt(0)
	v_fmac_f32_e32 v2, v3, v9
	v_mul_f32_e32 v3, v3, v9
	ds_bpermute_b32 v1, v1, v2
	s_waitcnt lgkmcnt(0)
	v_add_f32_e32 v1, v2, v1
	ds_bpermute_b32 v2, v5, v1
	v_lshlrev_b32_e32 v5, 2, v0
	s_delay_alu instid0(VALU_DEP_1)
	v_add_nc_u32_e32 v9, 0x400, v5
	ds_store_2addr_b32 v5, v17, v18 offset1:32
	ds_store_2addr_b32 v5, v19, v10 offset0:64 offset1:96
	ds_store_2addr_b32 v5, v12, v4 offset0:128 offset1:160
	;; [unrolled: 1-line block ×3, first 2 shown]
	ds_store_2addr_b32 v9, v8, v11 offset1:32
	ds_store_2addr_b32 v9, v14, v3 offset0:64 offset1:96
	s_waitcnt lgkmcnt(6)
	v_add_f32_e32 v1, v1, v2
	ds_bpermute_b32 v2, v13, v1
	s_waitcnt lgkmcnt(0)
	v_add_f32_e32 v1, v1, v2
	ds_bpermute_b32 v2, v15, v1
	;; [unrolled: 3-line block ×3, first 2 shown]
	v_cmpx_eq_u32_e32 0, v0
	s_cbranch_execz .LBB89_8
; %bb.7:
	s_waitcnt lgkmcnt(0)
	v_dual_add_f32 v1, v1, v2 :: v_dual_mov_b32 v2, 0
	ds_store_b32 v2, v1 offset:1536
.LBB89_8:
	s_or_b32 exec_lo, exec_lo, s7
	v_mov_b32_e32 v1, s6
.LBB89_9:
	s_or_b32 exec_lo, exec_lo, s24
	s_lshl_b32 s6, s18, 6
	s_mov_b32 s7, 0
	s_waitcnt lgkmcnt(0)
	v_dual_mov_b32 v2, 0 :: v_dual_lshlrev_b32 v1, 6, v1
	s_lshl_b64 s[6:7], s[6:7], 1
	v_lshlrev_b32_e32 v0, 1, v0
	s_add_u32 s34, s4, s6
	s_addc_u32 s35, s5, s7
	s_lshl_b32 s41, s40, 6
	v_lshlrev_b64 v[3:4], 1, v[1:2]
	s_sub_i32 s42, s41, 64
	s_cmpk_lt_i32 s22, 0x100
	v_dual_mov_b32 v30, 0 :: v_dual_mov_b32 v33, 0
	s_cselect_b32 s4, s42, 0
	s_delay_alu instid0(VALU_DEP_2)
	v_add_co_u32 v1, vcc_lo, s34, v3
	s_ashr_i32 s5, s4, 31
	v_add_co_ci_u32_e32 v3, vcc_lo, s35, v4, vcc_lo
	s_lshl_b64 s[4:5], s[4:5], 1
	s_cmpk_lt_i32 s22, 0x200
	v_add_co_u32 v1, vcc_lo, v1, v0
	s_cselect_b32 s6, s42, 64
	v_add_co_ci_u32_e32 v3, vcc_lo, 0, v3, vcc_lo
	s_ashr_i32 s7, s6, 31
	s_delay_alu instid0(VALU_DEP_2)
	v_add_co_u32 v4, vcc_lo, v1, s4
	s_lshl_b64 s[6:7], s[6:7], 1
	s_cmpk_lt_i32 s22, 0x300
	v_add_co_ci_u32_e32 v5, vcc_lo, s5, v3, vcc_lo
	s_cselect_b32 s8, s42, 0x80
	v_add_co_u32 v8, vcc_lo, v1, s6
	s_ashr_i32 s9, s8, 31
	v_add_co_ci_u32_e32 v9, vcc_lo, s7, v3, vcc_lo
	s_lshl_b64 s[8:9], s[8:9], 1
	s_cmpk_lt_i32 s22, 0x400
	v_add_co_u32 v10, vcc_lo, v1, s8
	s_cselect_b32 s10, s42, 0xc0
	v_add_co_ci_u32_e32 v11, vcc_lo, s9, v3, vcc_lo
	s_ashr_i32 s11, s10, 31
	v_dual_mov_b32 v32, 0 :: v_dual_mov_b32 v35, 0
	s_lshl_b64 s[10:11], s[10:11], 1
	s_cmpk_lt_i32 s22, 0x500
	v_add_co_u32 v12, vcc_lo, v1, s10
	s_cselect_b32 s18, s42, 0x100
	v_add_co_ci_u32_e32 v13, vcc_lo, s11, v3, vcc_lo
	s_ashr_i32 s19, s18, 31
	v_mov_b32_e32 v34, 0
	s_lshl_b64 s[18:19], s[18:19], 1
	s_cmpk_lt_i32 s22, 0x600
	v_add_co_u32 v14, vcc_lo, v1, s18
	s_cselect_b32 s20, s42, 0x140
	v_add_co_ci_u32_e32 v15, vcc_lo, s19, v3, vcc_lo
	s_ashr_i32 s21, s20, 31
	v_mov_b32_e32 v29, 0
	;; [unrolled: 7-line block ×3, first 2 shown]
	s_lshl_b64 s[24:25], s[24:25], 1
	s_cmpk_lt_i32 s22, 0x800
	v_add_co_u32 v18, vcc_lo, v1, s24
	s_cselect_b32 s26, s42, 0x1c0
	v_add_co_ci_u32_e32 v19, vcc_lo, s25, v3, vcc_lo
	s_ashr_i32 s27, s26, 31
	s_delay_alu instid0(SALU_CYCLE_1)
	s_lshl_b64 s[26:27], s[26:27], 1
	s_cmpk_lt_i32 s22, 0x900
	v_add_co_u32 v20, vcc_lo, v1, s26
	s_cselect_b32 s28, s42, 0x200
	v_add_co_ci_u32_e32 v21, vcc_lo, s27, v3, vcc_lo
	s_ashr_i32 s29, s28, 31
	s_clause 0x7
	global_load_u16 v7, v[4:5], off
	global_load_u16 v8, v[8:9], off
	;; [unrolled: 1-line block ×8, first 2 shown]
	s_lshl_b64 s[28:29], s[28:29], 1
	s_cmpk_lt_i32 s22, 0xa00
	v_add_co_u32 v12, vcc_lo, v1, s28
	s_cselect_b32 s30, s42, 0x240
	v_add_co_ci_u32_e32 v13, vcc_lo, s29, v3, vcc_lo
	s_ashr_i32 s31, s30, 31
	s_delay_alu instid0(SALU_CYCLE_1)
	s_lshl_b64 s[30:31], s[30:31], 1
	s_cmpk_lt_i32 s22, 0xb00
	v_add_co_u32 v15, vcc_lo, v1, s30
	s_cselect_b32 s34, s42, 0x280
	v_add_co_ci_u32_e32 v16, vcc_lo, s31, v3, vcc_lo
	s_ashr_i32 s35, s34, 31
	s_delay_alu instid0(SALU_CYCLE_1)
	;; [unrolled: 7-line block ×7, first 2 shown]
	s_lshl_b64 s[4:5], s[6:7], 1
	s_cmpk_gt_i32 s23, 0x1000
	v_add_co_u32 v27, vcc_lo, v1, s4
	v_add_co_ci_u32_e32 v28, vcc_lo, s5, v3, vcc_lo
	s_clause 0x7
	global_load_u16 v14, v[12:13], off
	global_load_u16 v15, v[15:16], off
	;; [unrolled: 1-line block ×8, first 2 shown]
	v_dual_mov_b32 v20, 0 :: v_dual_mov_b32 v23, 0
	v_dual_mov_b32 v21, 0 :: v_dual_mov_b32 v22, 0
	;; [unrolled: 1-line block ×4, first 2 shown]
	v_mov_b32_e32 v28, 0
	s_cselect_b32 s8, -1, 0
	s_cmpk_lt_i32 s23, 0x1001
	s_waitcnt vmcnt(0)
	s_barrier
	buffer_gl0_inv
	s_cbranch_scc1 .LBB89_11
; %bb.10:
	s_cmpk_lt_i32 s22, 0x1100
	s_cselect_b32 s4, s42, 0x400
	s_delay_alu instid0(SALU_CYCLE_1) | instskip(NEXT) | instid1(SALU_CYCLE_1)
	s_ashr_i32 s5, s4, 31
	s_lshl_b64 s[4:5], s[4:5], 1
	s_cmpk_lt_i32 s22, 0x1200
	v_add_co_u32 v20, vcc_lo, v1, s4
	s_cselect_b32 s6, s42, 0x440
	v_add_co_ci_u32_e32 v21, vcc_lo, s5, v3, vcc_lo
	s_ashr_i32 s7, s6, 31
	s_delay_alu instid0(SALU_CYCLE_1)
	s_lshl_b64 s[6:7], s[6:7], 1
	s_cmpk_lt_i32 s22, 0x1300
	v_add_co_u32 v22, vcc_lo, v1, s6
	s_cselect_b32 s10, s42, 0x480
	v_add_co_ci_u32_e32 v23, vcc_lo, s7, v3, vcc_lo
	s_ashr_i32 s11, s10, 31
	s_delay_alu instid0(SALU_CYCLE_1)
	;; [unrolled: 7-line block ×7, first 2 shown]
	s_lshl_b64 s[28:29], s[28:29], 1
	s_cmpk_lt_i32 s22, 0x1900
	v_add_co_u32 v34, vcc_lo, v1, s28
	s_cselect_b32 s30, s42, 0x600
	v_add_co_ci_u32_e32 v35, vcc_lo, s29, v3, vcc_lo
	s_ashr_i32 s31, s30, 31
	s_clause 0x7
	global_load_u16 v36, v[20:21], off
	global_load_u16 v37, v[22:23], off
	;; [unrolled: 1-line block ×8, first 2 shown]
	s_lshl_b64 s[30:31], s[30:31], 1
	s_cmpk_lt_i32 s22, 0x1a00
	v_add_co_u32 v20, vcc_lo, v1, s30
	s_cselect_b32 s34, s42, 0x640
	v_add_co_ci_u32_e32 v21, vcc_lo, s31, v3, vcc_lo
	s_ashr_i32 s35, s34, 31
	s_delay_alu instid0(SALU_CYCLE_1)
	s_lshl_b64 s[34:35], s[34:35], 1
	s_cmpk_lt_i32 s22, 0x1b00
	v_add_co_u32 v22, vcc_lo, v1, s34
	s_cselect_b32 s36, s42, 0x680
	v_add_co_ci_u32_e32 v23, vcc_lo, s35, v3, vcc_lo
	s_ashr_i32 s37, s36, 31
	s_delay_alu instid0(SALU_CYCLE_1)
	;; [unrolled: 7-line block ×6, first 2 shown]
	s_lshl_b64 s[4:5], s[20:21], 1
	s_cmpk_lt_i32 s22, 0x2000
	v_add_co_u32 v32, vcc_lo, v1, s4
	s_cselect_b32 s6, s42, 0x7c0
	v_add_co_ci_u32_e32 v33, vcc_lo, s5, v3, vcc_lo
	s_ashr_i32 s7, s6, 31
	s_delay_alu instid0(SALU_CYCLE_1) | instskip(NEXT) | instid1(SALU_CYCLE_1)
	s_lshl_b64 s[4:5], s[6:7], 1
	v_add_co_u32 v34, vcc_lo, v1, s4
	v_add_co_ci_u32_e32 v35, vcc_lo, s5, v3, vcc_lo
	s_clause 0x7
	global_load_u16 v20, v[20:21], off
	global_load_u16 v21, v[22:23], off
	;; [unrolled: 1-line block ×8, first 2 shown]
	s_waitcnt vmcnt(15)
	v_cvt_f32_f16_e32 v35, v36
	s_waitcnt vmcnt(14)
	v_cvt_f32_f16_e32 v34, v37
	;; [unrolled: 2-line block ×16, first 2 shown]
.LBB89_11:
	ds_load_b128 v[36:39], v2
	ds_load_b128 v[40:43], v2 offset:16
	s_load_b64 s[0:1], s[0:1], 0x0
	s_and_b32 vcc_lo, exec_lo, s8
	s_waitcnt lgkmcnt(0)
	v_fma_mix_f32 v7, v36, v7, 0 op_sel_hi:[0,1,0]
	s_delay_alu instid0(VALU_DEP_1) | instskip(NEXT) | instid1(VALU_DEP_1)
	v_fma_mix_f32 v7, v37, v8, v7 op_sel_hi:[0,1,0]
	v_fma_mix_f32 v7, v38, v9, v7 op_sel_hi:[0,1,0]
	s_delay_alu instid0(VALU_DEP_1) | instskip(SKIP_4) | instid1(VALU_DEP_1)
	v_fma_mix_f32 v7, v39, v10, v7 op_sel_hi:[0,1,0]
	ds_load_b128 v[36:39], v2 offset:48
	v_fma_mix_f32 v11, v40, v11, v7 op_sel_hi:[0,1,0]
	ds_load_b128 v[7:10], v2 offset:32
	v_fma_mix_f32 v4, v41, v4, v11 op_sel_hi:[0,1,0]
	v_fma_mix_f32 v4, v42, v5, v4 op_sel_hi:[0,1,0]
	s_delay_alu instid0(VALU_DEP_1) | instskip(SKIP_1) | instid1(VALU_DEP_1)
	v_fma_mix_f32 v4, v43, v6, v4 op_sel_hi:[0,1,0]
	s_waitcnt lgkmcnt(0)
	v_fma_mix_f32 v4, v7, v14, v4 op_sel_hi:[0,1,0]
	s_delay_alu instid0(VALU_DEP_1) | instskip(NEXT) | instid1(VALU_DEP_1)
	v_fma_mix_f32 v4, v8, v15, v4 op_sel_hi:[0,1,0]
	v_fma_mix_f32 v4, v9, v16, v4 op_sel_hi:[0,1,0]
	s_delay_alu instid0(VALU_DEP_1) | instskip(NEXT) | instid1(VALU_DEP_1)
	v_fma_mix_f32 v4, v10, v17, v4 op_sel_hi:[0,1,0]
	;; [unrolled: 3-line block ×3, first 2 shown]
	v_fma_mix_f32 v4, v38, v13, v4 op_sel_hi:[0,1,0]
	s_delay_alu instid0(VALU_DEP_1)
	v_fma_mix_f32 v4, v39, v19, v4 op_sel_hi:[0,1,0]
	s_cbranch_vccz .LBB89_13
; %bb.12:
	ds_load_b128 v[5:8], v2 offset:64
	ds_load_b128 v[9:12], v2 offset:80
	s_waitcnt lgkmcnt(1)
	v_fmac_f32_e32 v4, v5, v35
	s_delay_alu instid0(VALU_DEP_1) | instskip(NEXT) | instid1(VALU_DEP_1)
	v_fmac_f32_e32 v4, v6, v34
	v_fmac_f32_e32 v4, v7, v33
	s_delay_alu instid0(VALU_DEP_1) | instskip(SKIP_3) | instid1(VALU_DEP_1)
	v_fmac_f32_e32 v4, v8, v32
	ds_load_b128 v[5:8], v2 offset:96
	s_waitcnt lgkmcnt(1)
	v_fmac_f32_e32 v4, v9, v31
	v_fmac_f32_e32 v4, v10, v30
	s_delay_alu instid0(VALU_DEP_1) | instskip(NEXT) | instid1(VALU_DEP_1)
	v_fmac_f32_e32 v4, v11, v29
	v_fmac_f32_e32 v4, v12, v28
	ds_load_b128 v[9:12], v2 offset:112
	s_waitcnt lgkmcnt(1)
	v_fmac_f32_e32 v4, v5, v27
	s_delay_alu instid0(VALU_DEP_1) | instskip(NEXT) | instid1(VALU_DEP_1)
	v_fmac_f32_e32 v4, v6, v26
	v_fmac_f32_e32 v4, v7, v25
	s_delay_alu instid0(VALU_DEP_1) | instskip(SKIP_1) | instid1(VALU_DEP_1)
	v_fmac_f32_e32 v4, v8, v24
	s_waitcnt lgkmcnt(0)
	v_fmac_f32_e32 v4, v9, v23
	s_delay_alu instid0(VALU_DEP_1) | instskip(NEXT) | instid1(VALU_DEP_1)
	v_fmac_f32_e32 v4, v10, v22
	v_fmac_f32_e32 v4, v11, v21
	s_delay_alu instid0(VALU_DEP_1)
	v_fmac_f32_e32 v4, v12, v20
.LBB89_13:
	s_movk_i32 s43, 0xfc0
	s_movk_i32 s44, 0x80
	s_mov_b32 s45, 32
	s_branch .LBB89_15
.LBB89_14:                              ;   in Loop: Header=BB89_15 Depth=1
	s_addk_i32 s43, 0x800
	s_addk_i32 s44, 0x80
	s_add_i32 s45, s45, 32
	s_cmpk_eq_i32 s43, 0x67c0
	s_cbranch_scc1 .LBB89_17
.LBB89_15:                              ; =>This Inner Loop Header: Depth=1
	s_cmp_le_i32 s40, s45
	s_cbranch_scc1 .LBB89_14
; %bb.16:                               ;   in Loop: Header=BB89_15 Depth=1
	s_add_i32 s4, s43, 0xfffff840
	v_mov_b32_e32 v44, s44
	s_cmp_lt_i32 s4, s41
	s_cselect_b32 s4, s4, s42
	s_add_i32 s6, s43, 0xfffff880
	s_ashr_i32 s5, s4, 31
	s_delay_alu instid0(SALU_CYCLE_1)
	s_lshl_b64 s[4:5], s[4:5], 1
	s_cmp_lt_i32 s6, s41
	v_add_co_u32 v5, vcc_lo, v1, s4
	s_cselect_b32 s6, s6, s42
	s_add_i32 s10, s43, 0xfffff8c0
	s_ashr_i32 s7, s6, 31
	v_add_co_ci_u32_e32 v6, vcc_lo, s5, v3, vcc_lo
	s_lshl_b64 s[8:9], s[6:7], 1
	s_cmp_lt_i32 s10, s41
	v_add_co_u32 v7, vcc_lo, v1, s8
	s_cselect_b32 s6, s10, s42
	s_add_i32 s10, s43, 0xfffff900
	s_ashr_i32 s7, s6, 31
	v_add_co_ci_u32_e32 v8, vcc_lo, s9, v3, vcc_lo
	;; [unrolled: 7-line block ×8, first 2 shown]
	s_lshl_b64 s[24:25], s[20:21], 1
	s_cmp_lt_i32 s28, s41
	s_clause 0x7
	global_load_u16 v2, v[5:6], off
	global_load_u16 v21, v[7:8], off
	;; [unrolled: 1-line block ×8, first 2 shown]
	s_cselect_b32 s20, s28, s42
	s_add_i32 s28, s43, 0xfffffac0
	s_ashr_i32 s21, s20, 31
	v_add_co_u32 v5, vcc_lo, v1, s24
	s_lshl_b64 s[20:21], s[20:21], 1
	s_cmp_lt_i32 s28, s41
	v_add_co_ci_u32_e32 v6, vcc_lo, s25, v3, vcc_lo
	s_cselect_b32 s28, s28, s42
	s_add_i32 s36, s43, 0xfffffb00
	s_ashr_i32 s29, s28, 31
	v_add_co_u32 v7, vcc_lo, v1, s20
	s_lshl_b64 s[30:31], s[28:29], 1
	s_cmp_lt_i32 s36, s41
	v_add_co_ci_u32_e32 v8, vcc_lo, s21, v3, vcc_lo
	;; [unrolled: 7-line block ×8, first 2 shown]
	s_cselect_b32 s10, s10, s42
	s_add_i32 s18, s43, 0xfffffcc0
	s_ashr_i32 s11, s10, 31
	s_clause 0x7
	global_load_u16 v28, v[5:6], off
	global_load_u16 v29, v[7:8], off
	;; [unrolled: 1-line block ×8, first 2 shown]
	s_lshl_b64 s[10:11], s[10:11], 1
	s_cmp_lt_i32 s18, s41
	v_add_co_u32 v5, vcc_lo, v1, s4
	s_cselect_b32 s18, s18, s42
	s_add_i32 s22, s43, 0xfffffd00
	s_ashr_i32 s19, s18, 31
	v_add_co_ci_u32_e32 v6, vcc_lo, s5, v3, vcc_lo
	s_lshl_b64 s[18:19], s[18:19], 1
	s_cmp_lt_i32 s22, s41
	v_add_co_u32 v7, vcc_lo, v1, s10
	s_cselect_b32 s20, s22, s42
	s_add_i32 s22, s43, 0xfffffd40
	s_ashr_i32 s21, s20, 31
	v_add_co_ci_u32_e32 v8, vcc_lo, s11, v3, vcc_lo
	;; [unrolled: 7-line block ×5, first 2 shown]
	s_lshl_b64 s[6:7], s[6:7], 1
	s_cmp_lt_i32 s24, s41
	s_clause 0x4
	global_load_u16 v19, v[5:6], off
	global_load_u16 v20, v[7:8], off
	;; [unrolled: 1-line block ×5, first 2 shown]
	s_cselect_b32 s4, s24, s42
	s_add_i32 s10, s43, 0xfffffe40
	s_ashr_i32 s5, s4, 31
	v_add_co_u32 v5, vcc_lo, v1, s8
	s_lshl_b64 s[4:5], s[4:5], 1
	s_cmp_lt_i32 s10, s41
	v_add_co_ci_u32_e32 v6, vcc_lo, s9, v3, vcc_lo
	s_cselect_b32 s10, s10, s42
	s_add_i32 s18, s43, 0xfffffe80
	s_ashr_i32 s11, s10, 31
	v_add_co_u32 v7, vcc_lo, v1, s6
	s_lshl_b64 s[10:11], s[10:11], 1
	s_cmp_lt_i32 s18, s41
	v_add_co_ci_u32_e32 v8, vcc_lo, s7, v3, vcc_lo
	s_cselect_b32 s18, s18, s42
	s_add_i32 s20, s43, 0xfffffec0
	s_ashr_i32 s19, s18, 31
	v_add_co_u32 v9, vcc_lo, v1, s4
	s_lshl_b64 s[18:19], s[18:19], 1
	s_cmp_lt_i32 s20, s41
	global_load_u16 v37, v[5:6], off
	s_cselect_b32 s8, s20, s42
	s_add_i32 s20, s43, 0xffffff00
	s_ashr_i32 s9, s8, 31
	v_add_co_ci_u32_e32 v10, vcc_lo, s5, v3, vcc_lo
	s_lshl_b64 s[6:7], s[8:9], 1
	s_cmp_lt_i32 s20, s41
	v_add_co_u32 v11, vcc_lo, v1, s10
	s_cselect_b32 s4, s20, s42
	s_clause 0x1
	global_load_u16 v38, v[7:8], off
	global_load_u16 v39, v[9:10], off
	v_add_co_ci_u32_e32 v12, vcc_lo, s11, v3, vcc_lo
	s_ashr_i32 s5, s4, 31
	s_add_i32 s8, s43, 0xffffff40
	v_add_co_u32 v13, vcc_lo, v1, s18
	s_lshl_b64 s[4:5], s[4:5], 1
	s_cmp_lt_i32 s8, s41
	v_add_co_ci_u32_e32 v14, vcc_lo, s19, v3, vcc_lo
	v_add_co_u32 v15, vcc_lo, v1, s6
	s_cselect_b32 s8, s8, s42
	v_add_co_ci_u32_e32 v16, vcc_lo, s7, v3, vcc_lo
	s_ashr_i32 s9, s8, 31
	s_add_i32 s10, s43, 0xffffff80
	s_lshl_b64 s[6:7], s[8:9], 1
	s_clause 0x2
	global_load_u16 v40, v[11:12], off
	global_load_u16 v13, v[13:14], off
	;; [unrolled: 1-line block ×3, first 2 shown]
	s_cmp_lt_i32 s10, s41
	v_add_co_u32 v5, vcc_lo, v1, s4
	s_cselect_b32 s8, s10, s42
	s_sub_i32 s10, s43, 64
	s_ashr_i32 s9, s8, 31
	v_add_co_ci_u32_e32 v6, vcc_lo, s5, v3, vcc_lo
	s_lshl_b64 s[8:9], s[8:9], 1
	s_cmp_lt_i32 s10, s41
	v_add_co_u32 v7, vcc_lo, v1, s6
	s_cselect_b32 s4, s10, s42
	v_add_co_ci_u32_e32 v8, vcc_lo, s7, v3, vcc_lo
	s_ashr_i32 s5, s4, 31
	v_add_co_u32 v9, vcc_lo, v1, s8
	global_load_u16 v15, v[5:6], off
	s_lshl_b64 s[4:5], s[4:5], 1
	v_add_co_ci_u32_e32 v10, vcc_lo, s9, v3, vcc_lo
	s_cmp_lt_i32 s43, s41
	s_clause 0x1
	global_load_u16 v16, v[7:8], off
	global_load_u16 v41, v[9:10], off
	s_cselect_b32 s6, s43, s42
	v_add_co_u32 v5, vcc_lo, v1, s4
	s_ashr_i32 s7, s6, 31
	v_add_co_ci_u32_e32 v6, vcc_lo, s5, v3, vcc_lo
	s_lshl_b64 s[4:5], s[6:7], 1
	s_delay_alu instid0(SALU_CYCLE_1)
	v_add_co_u32 v7, vcc_lo, v1, s4
	v_add_co_ci_u32_e32 v8, vcc_lo, s5, v3, vcc_lo
	s_clause 0x1
	global_load_u16 v42, v[5:6], off
	global_load_u16 v43, v[7:8], off
	ds_load_b128 v[5:8], v44
	ds_load_b128 v[9:12], v44 offset:16
	s_waitcnt vmcnt(31) lgkmcnt(1)
	v_fma_mix_f32 v2, v5, v2, v4 op_sel_hi:[0,1,0]
	s_waitcnt vmcnt(30)
	s_delay_alu instid0(VALU_DEP_1) | instskip(SKIP_1) | instid1(VALU_DEP_1)
	v_fma_mix_f32 v2, v6, v21, v2 op_sel_hi:[0,1,0]
	s_waitcnt vmcnt(29)
	v_fma_mix_f32 v2, v7, v22, v2 op_sel_hi:[0,1,0]
	ds_load_b128 v[4:7], v44 offset:32
	s_waitcnt vmcnt(28)
	v_fma_mix_f32 v2, v8, v23, v2 op_sel_hi:[0,1,0]
	s_waitcnt vmcnt(27) lgkmcnt(1)
	s_delay_alu instid0(VALU_DEP_1) | instskip(SKIP_1) | instid1(VALU_DEP_1)
	v_fma_mix_f32 v2, v9, v24, v2 op_sel_hi:[0,1,0]
	s_waitcnt vmcnt(26)
	v_fma_mix_f32 v2, v10, v25, v2 op_sel_hi:[0,1,0]
	s_waitcnt vmcnt(25)
	s_delay_alu instid0(VALU_DEP_1) | instskip(SKIP_4) | instid1(VALU_DEP_1)
	v_fma_mix_f32 v2, v11, v26, v2 op_sel_hi:[0,1,0]
	ds_load_b128 v[8:11], v44 offset:48
	s_waitcnt vmcnt(24)
	v_fma_mix_f32 v2, v12, v27, v2 op_sel_hi:[0,1,0]
	s_waitcnt vmcnt(23) lgkmcnt(1)
	v_fma_mix_f32 v2, v4, v28, v2 op_sel_hi:[0,1,0]
	s_waitcnt vmcnt(22)
	s_delay_alu instid0(VALU_DEP_1) | instskip(SKIP_1) | instid1(VALU_DEP_1)
	v_fma_mix_f32 v2, v5, v29, v2 op_sel_hi:[0,1,0]
	s_waitcnt vmcnt(21)
	v_fma_mix_f32 v2, v6, v30, v2 op_sel_hi:[0,1,0]
	s_waitcnt vmcnt(20)
	s_delay_alu instid0(VALU_DEP_1) | instskip(SKIP_4) | instid1(VALU_DEP_1)
	v_fma_mix_f32 v2, v7, v31, v2 op_sel_hi:[0,1,0]
	ds_load_b128 v[4:7], v44 offset:64
	s_waitcnt vmcnt(19) lgkmcnt(1)
	v_fma_mix_f32 v2, v8, v32, v2 op_sel_hi:[0,1,0]
	s_waitcnt vmcnt(18)
	v_fma_mix_f32 v2, v9, v33, v2 op_sel_hi:[0,1,0]
	s_waitcnt vmcnt(17)
	s_delay_alu instid0(VALU_DEP_1) | instskip(SKIP_1) | instid1(VALU_DEP_1)
	v_fma_mix_f32 v2, v10, v17, v2 op_sel_hi:[0,1,0]
	s_waitcnt vmcnt(16)
	v_fma_mix_f32 v2, v11, v18, v2 op_sel_hi:[0,1,0]
	ds_load_b128 v[8:11], v44 offset:80
	s_waitcnt vmcnt(15) lgkmcnt(1)
	v_fma_mix_f32 v2, v4, v19, v2 op_sel_hi:[0,1,0]
	s_waitcnt vmcnt(14)
	s_delay_alu instid0(VALU_DEP_1) | instskip(SKIP_1) | instid1(VALU_DEP_1)
	v_fma_mix_f32 v2, v5, v20, v2 op_sel_hi:[0,1,0]
	s_waitcnt vmcnt(13)
	v_fma_mix_f32 v2, v6, v34, v2 op_sel_hi:[0,1,0]
	s_waitcnt vmcnt(12)
	s_delay_alu instid0(VALU_DEP_1) | instskip(SKIP_4) | instid1(VALU_DEP_1)
	v_fma_mix_f32 v2, v7, v35, v2 op_sel_hi:[0,1,0]
	ds_load_b128 v[4:7], v44 offset:96
	s_waitcnt vmcnt(11) lgkmcnt(1)
	v_fma_mix_f32 v2, v8, v36, v2 op_sel_hi:[0,1,0]
	s_waitcnt vmcnt(10)
	v_fma_mix_f32 v2, v9, v37, v2 op_sel_hi:[0,1,0]
	s_waitcnt vmcnt(9)
	s_delay_alu instid0(VALU_DEP_1) | instskip(SKIP_1) | instid1(VALU_DEP_1)
	v_fma_mix_f32 v2, v10, v38, v2 op_sel_hi:[0,1,0]
	s_waitcnt vmcnt(8)
	v_fma_mix_f32 v2, v11, v39, v2 op_sel_hi:[0,1,0]
	ds_load_b128 v[8:11], v44 offset:112
	s_waitcnt vmcnt(7) lgkmcnt(1)
	v_fma_mix_f32 v2, v4, v40, v2 op_sel_hi:[0,1,0]
	s_waitcnt vmcnt(6)
	s_delay_alu instid0(VALU_DEP_1) | instskip(SKIP_1) | instid1(VALU_DEP_1)
	v_fma_mix_f32 v2, v5, v13, v2 op_sel_hi:[0,1,0]
	s_waitcnt vmcnt(5)
	v_fma_mix_f32 v2, v6, v14, v2 op_sel_hi:[0,1,0]
	s_waitcnt vmcnt(4)
	s_delay_alu instid0(VALU_DEP_1) | instskip(SKIP_1) | instid1(VALU_DEP_1)
	v_fma_mix_f32 v2, v7, v15, v2 op_sel_hi:[0,1,0]
	s_waitcnt vmcnt(3) lgkmcnt(0)
	v_fma_mix_f32 v2, v8, v16, v2 op_sel_hi:[0,1,0]
	s_waitcnt vmcnt(2)
	s_delay_alu instid0(VALU_DEP_1) | instskip(SKIP_1) | instid1(VALU_DEP_1)
	v_fma_mix_f32 v2, v9, v41, v2 op_sel_hi:[0,1,0]
	s_waitcnt vmcnt(1)
	v_fma_mix_f32 v2, v10, v42, v2 op_sel_hi:[0,1,0]
	s_waitcnt vmcnt(0)
	s_delay_alu instid0(VALU_DEP_1)
	v_fma_mix_f32 v4, v11, v43, v2 op_sel_hi:[0,1,0]
	s_branch .LBB89_14
.LBB89_17:
	v_mov_b32_e32 v1, 0
	s_and_b32 vcc_lo, exec_lo, s15
	ds_load_b32 v1, v1 offset:1536
	s_cbranch_vccz .LBB89_19
; %bb.18:
	s_add_u32 s2, s12, s16
	s_addc_u32 s3, s13, s17
	s_load_b32 s2, s[2:3], 0x0
	s_mov_b32 s3, 0
.LBB89_19:
	s_waitcnt lgkmcnt(0)
	v_add_f32_e32 v1, 0x358637bd, v1
	s_mul_i32 s3, s33, s3
	s_mul_hi_u32 s4, s33, s2
	s_mul_i32 s2, s33, s2
	s_add_i32 s3, s4, s3
	v_div_scale_f32 v2, null, v1, v1, 1.0
	s_lshl_b64 s[2:3], s[2:3], 7
	s_mov_b32 s15, 0
	s_add_u32 s2, s0, s2
	s_delay_alu instid0(VALU_DEP_1) | instskip(SKIP_2) | instid1(SALU_CYCLE_1)
	v_rcp_f32_e32 v3, v2
	s_addc_u32 s3, s1, s3
	s_lshl_b64 s[0:1], s[14:15], 7
	s_add_u32 s0, s2, s0
	s_addc_u32 s1, s3, s1
	s_waitcnt_depctr 0xfff
	v_fma_f32 v5, -v2, v3, 1.0
	s_delay_alu instid0(VALU_DEP_1) | instskip(SKIP_1) | instid1(VALU_DEP_1)
	v_fmac_f32_e32 v3, v5, v3
	v_div_scale_f32 v5, vcc_lo, 1.0, v1, 1.0
	v_mul_f32_e32 v6, v5, v3
	s_delay_alu instid0(VALU_DEP_1) | instskip(NEXT) | instid1(VALU_DEP_1)
	v_fma_f32 v7, -v2, v6, v5
	v_fmac_f32_e32 v6, v7, v3
	s_delay_alu instid0(VALU_DEP_1) | instskip(NEXT) | instid1(VALU_DEP_1)
	v_fma_f32 v2, -v2, v6, v5
	v_div_fmas_f32 v2, v2, v3, v6
	s_delay_alu instid0(VALU_DEP_1) | instskip(NEXT) | instid1(VALU_DEP_1)
	v_div_fixup_f32 v1, v2, v1, 1.0
	v_fma_mixlo_f16 v1, v4, v1, 0
	global_store_b16 v0, v1, s[0:1]
	s_nop 0
	s_sendmsg sendmsg(MSG_DEALLOC_VGPRS)
	s_endpgm
.LBB89_20:
	s_mov_b32 s4, 0
	s_branch .LBB89_2
	.section	.rodata,"a",@progbits
	.p2align	6, 0x0
	.amdhsa_kernel _Z35paged_attention_ll4mi_reduce_kernelIDF16_DF16_Li64ELi64ELi256ELi12EEvPT0_PKfS3_PKT_PKiS8_iS3_
		.amdhsa_group_segment_fixed_size 1540
		.amdhsa_private_segment_fixed_size 0
		.amdhsa_kernarg_size 320
		.amdhsa_user_sgpr_count 14
		.amdhsa_user_sgpr_dispatch_ptr 0
		.amdhsa_user_sgpr_queue_ptr 0
		.amdhsa_user_sgpr_kernarg_segment_ptr 1
		.amdhsa_user_sgpr_dispatch_id 0
		.amdhsa_user_sgpr_private_segment_size 0
		.amdhsa_wavefront_size32 1
		.amdhsa_uses_dynamic_stack 0
		.amdhsa_enable_private_segment 0
		.amdhsa_system_sgpr_workgroup_id_x 1
		.amdhsa_system_sgpr_workgroup_id_y 1
		.amdhsa_system_sgpr_workgroup_id_z 0
		.amdhsa_system_sgpr_workgroup_info 0
		.amdhsa_system_vgpr_workitem_id 0
		.amdhsa_next_free_vgpr 67
		.amdhsa_next_free_sgpr 47
		.amdhsa_reserve_vcc 1
		.amdhsa_float_round_mode_32 0
		.amdhsa_float_round_mode_16_64 0
		.amdhsa_float_denorm_mode_32 3
		.amdhsa_float_denorm_mode_16_64 3
		.amdhsa_dx10_clamp 1
		.amdhsa_ieee_mode 1
		.amdhsa_fp16_overflow 0
		.amdhsa_workgroup_processor_mode 1
		.amdhsa_memory_ordered 1
		.amdhsa_forward_progress 0
		.amdhsa_shared_vgpr_count 0
		.amdhsa_exception_fp_ieee_invalid_op 0
		.amdhsa_exception_fp_denorm_src 0
		.amdhsa_exception_fp_ieee_div_zero 0
		.amdhsa_exception_fp_ieee_overflow 0
		.amdhsa_exception_fp_ieee_underflow 0
		.amdhsa_exception_fp_ieee_inexact 0
		.amdhsa_exception_int_div_zero 0
	.end_amdhsa_kernel
	.section	.text._Z35paged_attention_ll4mi_reduce_kernelIDF16_DF16_Li64ELi64ELi256ELi12EEvPT0_PKfS3_PKT_PKiS8_iS3_,"axG",@progbits,_Z35paged_attention_ll4mi_reduce_kernelIDF16_DF16_Li64ELi64ELi256ELi12EEvPT0_PKfS3_PKT_PKiS8_iS3_,comdat
.Lfunc_end89:
	.size	_Z35paged_attention_ll4mi_reduce_kernelIDF16_DF16_Li64ELi64ELi256ELi12EEvPT0_PKfS3_PKT_PKiS8_iS3_, .Lfunc_end89-_Z35paged_attention_ll4mi_reduce_kernelIDF16_DF16_Li64ELi64ELi256ELi12EEvPT0_PKfS3_PKT_PKiS8_iS3_
                                        ; -- End function
	.section	.AMDGPU.csdata,"",@progbits
; Kernel info:
; codeLenInByte = 7340
; NumSgprs: 49
; NumVgprs: 67
; ScratchSize: 0
; MemoryBound: 0
; FloatMode: 240
; IeeeMode: 1
; LDSByteSize: 1540 bytes/workgroup (compile time only)
; SGPRBlocks: 6
; VGPRBlocks: 8
; NumSGPRsForWavesPerEU: 49
; NumVGPRsForWavesPerEU: 67
; Occupancy: 16
; WaveLimiterHint : 0
; COMPUTE_PGM_RSRC2:SCRATCH_EN: 0
; COMPUTE_PGM_RSRC2:USER_SGPR: 14
; COMPUTE_PGM_RSRC2:TRAP_HANDLER: 0
; COMPUTE_PGM_RSRC2:TGID_X_EN: 1
; COMPUTE_PGM_RSRC2:TGID_Y_EN: 1
; COMPUTE_PGM_RSRC2:TGID_Z_EN: 0
; COMPUTE_PGM_RSRC2:TIDIG_COMP_CNT: 0
	.section	.text._Z35paged_attention_ll4mi_reduce_kernelIDF16_DF16_Li64ELi64ELi256ELi13EEvPT0_PKfS3_PKT_PKiS8_iS3_,"axG",@progbits,_Z35paged_attention_ll4mi_reduce_kernelIDF16_DF16_Li64ELi64ELi256ELi13EEvPT0_PKfS3_PKT_PKiS8_iS3_,comdat
	.protected	_Z35paged_attention_ll4mi_reduce_kernelIDF16_DF16_Li64ELi64ELi256ELi13EEvPT0_PKfS3_PKT_PKiS8_iS3_ ; -- Begin function _Z35paged_attention_ll4mi_reduce_kernelIDF16_DF16_Li64ELi64ELi256ELi13EEvPT0_PKfS3_PKT_PKiS8_iS3_
	.globl	_Z35paged_attention_ll4mi_reduce_kernelIDF16_DF16_Li64ELi64ELi256ELi13EEvPT0_PKfS3_PKT_PKiS8_iS3_
	.p2align	8
	.type	_Z35paged_attention_ll4mi_reduce_kernelIDF16_DF16_Li64ELi64ELi256ELi13EEvPT0_PKfS3_PKT_PKiS8_iS3_,@function
_Z35paged_attention_ll4mi_reduce_kernelIDF16_DF16_Li64ELi64ELi256ELi13EEvPT0_PKfS3_PKT_PKiS8_iS3_: ; @_Z35paged_attention_ll4mi_reduce_kernelIDF16_DF16_Li64ELi64ELi256ELi13EEvPT0_PKfS3_PKT_PKiS8_iS3_
; %bb.0:
	s_load_b64 s[12:13], s[0:1], 0x28
	s_mov_b32 s2, s15
	s_waitcnt lgkmcnt(0)
	s_cmp_lg_u64 s[12:13], 0
	s_cselect_b32 s15, -1, 0
	s_delay_alu instid0(SALU_CYCLE_1)
	s_and_b32 vcc_lo, exec_lo, s15
	s_cbranch_vccz .LBB90_20
; %bb.1:
	s_add_i32 s4, s2, 1
	s_mov_b32 s5, 0
	s_delay_alu instid0(SALU_CYCLE_1) | instskip(SKIP_4) | instid1(SALU_CYCLE_1)
	s_lshl_b64 s[6:7], s[4:5], 2
	s_mov_b32 s3, s5
	s_add_u32 s6, s12, s6
	s_addc_u32 s7, s13, s7
	s_lshl_b64 s[8:9], s[2:3], 2
	s_add_u32 s8, s12, s8
	s_addc_u32 s9, s13, s9
	s_clause 0x1
	s_load_b32 s4, s[6:7], 0x0
	s_load_b32 s6, s[8:9], 0x0
	s_waitcnt lgkmcnt(0)
	s_sub_i32 s4, s4, s6
	s_delay_alu instid0(SALU_CYCLE_1)
	s_cmp_eq_u32 s4, 1
	s_cselect_b32 s4, -1, 0
	s_cbranch_execnz .LBB90_3
.LBB90_2:
	s_mov_b32 s3, 0
	s_mov_b32 s4, -1
.LBB90_3:
	s_delay_alu instid0(SALU_CYCLE_1)
	s_and_not1_b32 vcc_lo, exec_lo, s4
	s_cbranch_vccz .LBB90_5
; %bb.4:
	s_endpgm
.LBB90_5:
	s_clause 0x1
	s_load_b128 s[4:7], s[0:1], 0x18
	s_load_b32 s9, s[0:1], 0x30
	s_lshl_b64 s[16:17], s[2:3], 2
	s_waitcnt lgkmcnt(0)
	s_add_u32 s6, s6, s16
	s_addc_u32 s7, s7, s17
	s_load_b32 s23, s[6:7], 0x0
	s_load_b32 s33, s[0:1], 0x40
	s_mul_i32 s7, s2, s9
	s_waitcnt lgkmcnt(0)
	s_add_i32 s22, s23, 0xff
	s_delay_alu instid0(SALU_CYCLE_1) | instskip(NEXT) | instid1(SALU_CYCLE_1)
	s_ashr_i32 s6, s22, 31
	s_lshr_b32 s6, s6, 24
	s_delay_alu instid0(SALU_CYCLE_1) | instskip(SKIP_4) | instid1(SALU_CYCLE_1)
	s_add_i32 s8, s22, s6
	s_mul_i32 s6, s14, s9
	s_mov_b32 s9, exec_lo
	v_cmpx_lt_u32_e32 31, v0
	s_xor_b32 s9, exec_lo, s9
	s_or_saveexec_b32 s24, s9
	v_mov_b32_e32 v1, s6
	s_ashr_i32 s40, s8, 8
	s_mul_i32 s18, s7, s33
	s_xor_b32 exec_lo, exec_lo, s24
	s_cbranch_execz .LBB90_9
; %bb.6:
	v_or_b32_e32 v2, 32, v0
	v_cmp_gt_i32_e32 vcc_lo, s40, v0
	s_add_i32 s20, s40, -1
	v_or_b32_e32 v4, 64, v0
	v_or_b32_e32 v6, 0x60, v0
	s_load_b128 s[8:11], s[0:1], 0x8
	v_cndmask_b32_e32 v1, s20, v0, vcc_lo
	v_cmp_gt_i32_e32 vcc_lo, s40, v2
	s_mov_b32 s19, 0
	s_delay_alu instid0(SALU_CYCLE_1)
	s_mov_b32 s7, s19
	v_cndmask_b32_e32 v3, s20, v2, vcc_lo
	v_cmp_gt_i32_e32 vcc_lo, s40, v4
	v_or_b32_e32 v2, 0x80, v0
	v_cndmask_b32_e32 v5, s20, v4, vcc_lo
	v_cmp_gt_i32_e32 vcc_lo, s40, v6
	v_or_b32_e32 v4, 0xa0, v0
	;; [unrolled: 3-line block ×3, first 2 shown]
	s_delay_alu instid0(VALU_DEP_3) | instskip(SKIP_3) | instid1(VALU_DEP_3)
	v_ashrrev_i32_e32 v8, 31, v7
	v_cndmask_b32_e32 v9, s20, v2, vcc_lo
	v_or_b32_e32 v2, 0xc0, v0
	v_cmp_gt_i32_e32 vcc_lo, s40, v4
	v_ashrrev_i32_e32 v10, 31, v9
	v_cndmask_b32_e32 v11, s20, v4, vcc_lo
	s_delay_alu instid0(VALU_DEP_4) | instskip(SKIP_1) | instid1(VALU_DEP_3)
	v_cmp_gt_i32_e32 vcc_lo, s40, v2
	v_or_b32_e32 v4, 0x100, v0
	v_ashrrev_i32_e32 v12, 31, v11
	v_cndmask_b32_e32 v13, s20, v2, vcc_lo
	v_cmp_gt_i32_e32 vcc_lo, s40, v6
	v_or_b32_e32 v2, 0x120, v0
	s_delay_alu instid0(VALU_DEP_3) | instskip(SKIP_3) | instid1(VALU_DEP_3)
	v_ashrrev_i32_e32 v14, 31, v13
	v_cndmask_b32_e32 v15, s20, v6, vcc_lo
	v_cmp_gt_i32_e32 vcc_lo, s40, v4
	v_or_b32_e32 v6, 0x160, v0
	v_ashrrev_i32_e32 v16, 31, v15
	v_cndmask_b32_e32 v17, s20, v4, vcc_lo
	v_or_b32_e32 v4, 0x140, v0
	v_cmp_gt_i32_e32 vcc_lo, s40, v2
	s_delay_alu instid0(VALU_DEP_3) | instskip(SKIP_1) | instid1(VALU_DEP_4)
	v_ashrrev_i32_e32 v18, 31, v17
	v_cndmask_b32_e32 v19, s20, v2, vcc_lo
	v_cmp_gt_i32_e32 vcc_lo, s40, v4
	v_or_b32_e32 v2, 0x180, v0
	s_delay_alu instid0(VALU_DEP_3) | instskip(SKIP_3) | instid1(VALU_DEP_3)
	v_ashrrev_i32_e32 v20, 31, v19
	v_cndmask_b32_e32 v21, s20, v4, vcc_lo
	v_cmp_gt_i32_e32 vcc_lo, s40, v6
	v_ashrrev_i32_e32 v4, 31, v3
	v_ashrrev_i32_e32 v22, 31, v21
	v_cndmask_b32_e32 v23, s20, v6, vcc_lo
	v_cmp_gt_i32_e32 vcc_lo, s40, v2
	v_ashrrev_i32_e32 v6, 31, v5
	s_delay_alu instid0(VALU_DEP_3)
	v_ashrrev_i32_e32 v24, 31, v23
	v_cndmask_b32_e32 v25, s20, v2, vcc_lo
	v_ashrrev_i32_e32 v2, 31, v1
	s_lshl_b64 s[20:21], s[18:19], 2
	s_waitcnt lgkmcnt(0)
	s_add_u32 s19, s10, s20
	s_addc_u32 s25, s11, s21
	v_lshlrev_b64 v[27:28], 2, v[1:2]
	s_lshl_b64 s[10:11], s[6:7], 2
	v_lshlrev_b64 v[2:3], 2, v[3:4]
	s_add_u32 s7, s19, s10
	s_addc_u32 s19, s25, s11
	v_lshlrev_b64 v[4:5], 2, v[5:6]
	v_add_co_u32 v29, vcc_lo, s7, v27
	v_add_co_ci_u32_e32 v30, vcc_lo, s19, v28, vcc_lo
	v_add_co_u32 v31, vcc_lo, s7, v2
	v_lshlrev_b64 v[6:7], 2, v[7:8]
	v_add_co_ci_u32_e32 v32, vcc_lo, s19, v3, vcc_lo
	v_add_co_u32 v33, vcc_lo, s7, v4
	v_lshlrev_b64 v[8:9], 2, v[9:10]
	;; [unrolled: 3-line block ×6, first 2 shown]
	v_add_co_ci_u32_e32 v42, vcc_lo, s19, v13, vcc_lo
	v_add_co_u32 v43, vcc_lo, s7, v14
	v_add_co_ci_u32_e32 v44, vcc_lo, s19, v15, vcc_lo
	v_lshlrev_b64 v[18:19], 2, v[19:20]
	v_add_co_u32 v45, vcc_lo, s7, v16
	v_add_co_ci_u32_e32 v46, vcc_lo, s19, v17, vcc_lo
	s_clause 0x8
	global_load_b32 v47, v[29:30], off
	global_load_b32 v48, v[31:32], off
	;; [unrolled: 1-line block ×9, first 2 shown]
	v_lshlrev_b64 v[20:21], 2, v[21:22]
	v_ashrrev_i32_e32 v26, 31, v25
	v_add_co_u32 v29, vcc_lo, s7, v18
	v_lshlrev_b64 v[22:23], 2, v[23:24]
	v_add_co_ci_u32_e32 v30, vcc_lo, s19, v19, vcc_lo
	v_add_co_u32 v31, vcc_lo, s7, v20
	v_lshlrev_b64 v[24:25], 2, v[25:26]
	v_add_co_ci_u32_e32 v32, vcc_lo, s19, v21, vcc_lo
	v_add_co_u32 v33, vcc_lo, s7, v22
	v_add_co_ci_u32_e32 v34, vcc_lo, s19, v23, vcc_lo
	s_delay_alu instid0(VALU_DEP_4)
	v_add_co_u32 v35, vcc_lo, s7, v24
	v_add_co_ci_u32_e32 v36, vcc_lo, s19, v25, vcc_lo
	s_clause 0x3
	global_load_b32 v29, v[29:30], off
	global_load_b32 v30, v[31:32], off
	;; [unrolled: 1-line block ×4, first 2 shown]
	v_mbcnt_lo_u32_b32 v33, -1, 0
	s_add_u32 s7, s8, s20
	s_addc_u32 s8, s9, s21
	s_add_u32 s7, s7, s10
	s_addc_u32 s8, s8, s11
	v_xor_b32_e32 v1, 16, v33
	s_delay_alu instid0(VALU_DEP_1)
	v_cmp_gt_i32_e32 vcc_lo, 32, v1
	v_cndmask_b32_e32 v1, v33, v1, vcc_lo
	v_add_co_u32 v26, vcc_lo, s7, v27
	v_add_co_ci_u32_e32 v27, vcc_lo, s8, v28, vcc_lo
	v_add_co_u32 v2, vcc_lo, s7, v2
	v_add_co_ci_u32_e32 v3, vcc_lo, s8, v3, vcc_lo
	v_add_co_u32 v4, vcc_lo, s7, v4
	v_add_co_ci_u32_e32 v5, vcc_lo, s8, v5, vcc_lo
	v_add_co_u32 v6, vcc_lo, s7, v6
	v_add_co_ci_u32_e32 v7, vcc_lo, s8, v7, vcc_lo
	v_add_co_u32 v8, vcc_lo, s7, v8
	v_add_co_ci_u32_e32 v9, vcc_lo, s8, v9, vcc_lo
	v_add_co_u32 v10, vcc_lo, s7, v10
	v_add_co_ci_u32_e32 v11, vcc_lo, s8, v11, vcc_lo
	v_add_co_u32 v12, vcc_lo, s7, v12
	v_add_co_ci_u32_e32 v13, vcc_lo, s8, v13, vcc_lo
	v_add_co_u32 v14, vcc_lo, s7, v14
	v_add_co_ci_u32_e32 v15, vcc_lo, s8, v15, vcc_lo
	v_add_co_u32 v16, vcc_lo, s7, v16
	v_add_co_ci_u32_e32 v17, vcc_lo, s8, v17, vcc_lo
	v_add_co_u32 v18, vcc_lo, s7, v18
	v_add_co_ci_u32_e32 v19, vcc_lo, s8, v19, vcc_lo
	s_clause 0x9
	global_load_b32 v26, v[26:27], off
	global_load_b32 v27, v[2:3], off
	;; [unrolled: 1-line block ×10, first 2 shown]
	v_xor_b32_e32 v14, 4, v33
	v_lshlrev_b32_e32 v1, 2, v1
	v_xor_b32_e32 v5, 8, v33
	v_xor_b32_e32 v16, 1, v33
	s_delay_alu instid0(VALU_DEP_2) | instskip(SKIP_1) | instid1(VALU_DEP_1)
	v_cmp_gt_i32_e32 vcc_lo, 32, v5
	v_cndmask_b32_e32 v5, v33, v5, vcc_lo
	v_lshlrev_b32_e32 v6, 2, v5
	s_waitcnt vmcnt(20)
	v_max3_f32 v28, v47, v48, v49
	s_waitcnt vmcnt(18)
	s_delay_alu instid0(VALU_DEP_1) | instskip(SKIP_1) | instid1(VALU_DEP_1)
	v_max3_f32 v28, v28, v50, v37
	s_waitcnt vmcnt(16)
	v_max3_f32 v28, v28, v38, v39
	s_waitcnt vmcnt(14)
	s_delay_alu instid0(VALU_DEP_1) | instskip(SKIP_1) | instid1(VALU_DEP_1)
	v_max3_f32 v28, v28, v40, v41
	s_waitcnt vmcnt(12)
	v_max3_f32 v28, v28, v29, v30
	s_waitcnt vmcnt(10)
	s_delay_alu instid0(VALU_DEP_1) | instskip(SKIP_3) | instid1(VALU_DEP_1)
	v_max3_f32 v28, v28, v31, v32
	ds_bpermute_b32 v34, v1, v28
	s_waitcnt lgkmcnt(0)
	v_max_f32_e32 v7, v34, v34
	v_max_f32_e32 v12, v28, v7
	v_add_co_u32 v7, vcc_lo, s7, v20
	v_add_co_ci_u32_e32 v8, vcc_lo, s8, v21, vcc_lo
	ds_bpermute_b32 v13, v6, v12
	v_cmp_gt_i32_e32 vcc_lo, 32, v14
	global_load_b32 v5, v[7:8], off
	v_cndmask_b32_e32 v14, v33, v14, vcc_lo
	v_add_co_u32 v7, vcc_lo, s7, v22
	v_add_co_ci_u32_e32 v8, vcc_lo, s8, v23, vcc_lo
	s_delay_alu instid0(VALU_DEP_3)
	v_lshlrev_b32_e32 v14, 2, v14
	global_load_b32 v15, v[7:8], off
	v_add_co_u32 v7, vcc_lo, s7, v24
	v_add_co_ci_u32_e32 v8, vcc_lo, s8, v25, vcc_lo
	s_mov_b32 s7, exec_lo
	s_waitcnt lgkmcnt(0)
	v_max_f32_e32 v13, v13, v13
	global_load_b32 v7, v[7:8], off
	v_xor_b32_e32 v8, 2, v33
	v_max_f32_e32 v12, v12, v13
	s_delay_alu instid0(VALU_DEP_2) | instskip(SKIP_3) | instid1(VALU_DEP_2)
	v_cmp_gt_i32_e32 vcc_lo, 32, v8
	ds_bpermute_b32 v13, v14, v12
	v_cndmask_b32_e32 v8, v33, v8, vcc_lo
	v_cmp_gt_i32_e32 vcc_lo, 32, v16
	v_lshlrev_b32_e32 v8, 2, v8
	v_cndmask_b32_e32 v16, v33, v16, vcc_lo
	s_waitcnt lgkmcnt(0)
	s_delay_alu instid0(VALU_DEP_1) | instskip(NEXT) | instid1(VALU_DEP_1)
	v_dual_max_f32 v13, v13, v13 :: v_dual_lshlrev_b32 v16, 2, v16
	v_max_f32_e32 v12, v12, v13
	ds_bpermute_b32 v13, v8, v12
	s_waitcnt lgkmcnt(0)
	v_max_f32_e32 v13, v13, v13
	s_delay_alu instid0(VALU_DEP_1) | instskip(SKIP_3) | instid1(VALU_DEP_1)
	v_max_f32_e32 v12, v12, v13
	ds_bpermute_b32 v13, v16, v12
	s_waitcnt lgkmcnt(0)
	v_max_f32_e32 v13, v13, v13
	v_max_f32_e32 v12, v12, v13
	v_sub_nc_u32_e32 v13, s40, v0
	s_delay_alu instid0(VALU_DEP_2) | instskip(SKIP_3) | instid1(VALU_DEP_4)
	v_sub_f32_e32 v20, v50, v12
	v_sub_f32_e32 v22, v38, v12
	;; [unrolled: 1-line block ×4, first 2 shown]
	v_mul_f32_e32 v34, 0x3fb8aa3b, v20
	s_delay_alu instid0(VALU_DEP_4) | instskip(NEXT) | instid1(VALU_DEP_4)
	v_mul_f32_e32 v38, 0x3fb8aa3b, v22
	v_mul_f32_e32 v40, 0x3fb8aa3b, v24
	s_delay_alu instid0(VALU_DEP_3) | instskip(SKIP_1) | instid1(VALU_DEP_4)
	v_fma_f32 v51, 0x3fb8aa3b, v20, -v34
	v_rndne_f32_e32 v52, v34
	v_fma_f32 v55, 0x3fb8aa3b, v22, -v38
	v_rndne_f32_e32 v56, v38
	v_fma_f32 v59, 0x3fb8aa3b, v24, -v40
	v_fmac_f32_e32 v51, 0x32a5705f, v20
	v_sub_f32_e32 v34, v34, v52
	v_sub_f32_e32 v19, v49, v12
	v_cvt_i32_f32_e32 v52, v52
	v_dual_fmac_f32 v55, 0x32a5705f, v22 :: v_dual_sub_f32 v38, v38, v56
	s_delay_alu instid0(VALU_DEP_4) | instskip(NEXT) | instid1(VALU_DEP_4)
	v_add_f32_e32 v34, v34, v51
	v_dual_sub_f32 v28, v29, v12 :: v_dual_mul_f32 v33, 0x3fb8aa3b, v19
	s_delay_alu instid0(VALU_DEP_3) | instskip(NEXT) | instid1(VALU_DEP_3)
	v_dual_sub_f32 v21, v37, v12 :: v_dual_add_f32 v38, v38, v55
	v_exp_f32_e32 v34, v34
	v_rndne_f32_e32 v60, v40
	v_fmac_f32_e32 v59, 0x32a5705f, v24
	s_delay_alu instid0(VALU_DEP_3)
	v_mul_f32_e32 v37, 0x3fb8aa3b, v21
	v_fma_f32 v49, 0x3fb8aa3b, v19, -v33
	v_rndne_f32_e32 v50, v33
	v_sub_f32_e32 v40, v40, v60
	v_sub_f32_e32 v23, v39, v12
	v_mul_f32_e32 v42, 0x3fb8aa3b, v28
	v_cvt_i32_f32_e32 v60, v60
	v_ldexp_f32 v34, v34, v52
	v_dual_add_f32 v40, v40, v59 :: v_dual_sub_f32 v29, v30, v12
	v_sub_f32_e32 v30, v31, v12
	v_sub_f32_e32 v17, v47, v12
	v_mul_f32_e32 v39, 0x3fb8aa3b, v23
	v_fma_f32 v63, 0x3fb8aa3b, v28, -v42
	v_rndne_f32_e32 v64, v42
	s_delay_alu instid0(VALU_DEP_4) | instskip(SKIP_1) | instid1(VALU_DEP_4)
	v_dual_mul_f32 v44, 0x3fb8aa3b, v30 :: v_dual_mul_f32 v31, 0x3fb8aa3b, v17
	v_fmac_f32_e32 v49, 0x32a5705f, v19
	v_fmac_f32_e32 v63, 0x32a5705f, v28
	s_delay_alu instid0(VALU_DEP_4)
	v_sub_f32_e32 v42, v42, v64
	v_sub_f32_e32 v25, v41, v12
	v_fma_f32 v45, 0x3fb8aa3b, v17, -v31
	v_rndne_f32_e32 v46, v31
	v_sub_f32_e32 v12, v32, v12
	v_add_f32_e32 v42, v42, v63
	v_mul_f32_e32 v32, 0x3fb8aa3b, v18
	v_fmac_f32_e32 v45, 0x32a5705f, v17
	v_sub_f32_e32 v31, v31, v46
	v_cvt_i32_f32_e32 v46, v46
	v_cmp_ngt_f32_e32 vcc_lo, 0xc2ce8ed0, v17
	v_fma_f32 v47, 0x3fb8aa3b, v18, -v32
	v_rndne_f32_e32 v48, v32
	v_add_f32_e32 v31, v31, v45
	v_mul_f32_e32 v41, 0x3fb8aa3b, v25
	v_exp_f32_e32 v40, v40
	v_fma_f32 v53, 0x3fb8aa3b, v21, -v37
	v_sub_f32_e32 v32, v32, v48
	v_exp_f32_e32 v31, v31
	v_cvt_i32_f32_e32 v48, v48
	v_rndne_f32_e32 v54, v37
	v_fmac_f32_e32 v53, 0x32a5705f, v21
	v_fma_f32 v57, 0x3fb8aa3b, v23, -v39
	v_rndne_f32_e32 v58, v39
	v_fma_f32 v61, 0x3fb8aa3b, v25, -v41
	v_ldexp_f32 v40, v40, v60
	v_sub_f32_e32 v33, v33, v50
	v_cvt_i32_f32_e32 v50, v50
	v_ldexp_f32 v31, v31, v46
	v_fmac_f32_e32 v57, 0x32a5705f, v23
	v_sub_f32_e32 v39, v39, v58
	v_add_f32_e32 v33, v33, v49
	v_rndne_f32_e32 v62, v41
	v_cndmask_b32_e32 v31, 0, v31, vcc_lo
	v_cmp_ngt_f32_e32 vcc_lo, 0xc2ce8ed0, v18
	v_fmac_f32_e32 v47, 0x32a5705f, v18
	v_exp_f32_e32 v33, v33
	v_add_f32_e32 v39, v39, v57
	v_exp_f32_e32 v38, v38
	v_cvt_i32_f32_e32 v56, v56
	v_dual_add_f32 v32, v32, v47 :: v_dual_fmac_f32 v61, 0x32a5705f, v25
	v_sub_f32_e32 v41, v41, v62
	v_exp_f32_e32 v39, v39
	v_cvt_i32_f32_e32 v58, v58
	s_delay_alu instid0(VALU_DEP_3) | instskip(SKIP_2) | instid1(TRANS32_DEP_3)
	v_exp_f32_e32 v32, v32
	v_ldexp_f32 v33, v33, v50
	v_add_f32_e32 v41, v41, v61
	v_ldexp_f32 v38, v38, v56
	v_cvt_i32_f32_e32 v62, v62
	v_exp_f32_e32 v42, v42
	v_cvt_i32_f32_e32 v64, v64
	v_exp_f32_e32 v41, v41
	v_ldexp_f32 v39, v39, v58
	v_fma_f32 v67, 0x3fb8aa3b, v30, -v44
	v_ldexp_f32 v32, v32, v48
	s_delay_alu instid0(VALU_DEP_1) | instskip(SKIP_3) | instid1(TRANS32_DEP_1)
	v_dual_fmac_f32 v67, 0x32a5705f, v30 :: v_dual_cndmask_b32 v32, 0, v32
	v_sub_f32_e32 v37, v37, v54
	v_cmp_ngt_f32_e32 vcc_lo, 0xc2ce8ed0, v19
	v_cvt_i32_f32_e32 v54, v54
	v_ldexp_f32 v41, v41, v62
	v_ldexp_f32 v42, v42, v64
	v_add_f32_e32 v37, v37, v53
	v_cndmask_b32_e32 v33, 0, v33, vcc_lo
	v_cmp_ngt_f32_e32 vcc_lo, 0xc2ce8ed0, v20
	s_delay_alu instid0(VALU_DEP_3) | instskip(SKIP_4) | instid1(VALU_DEP_1)
	v_exp_f32_e32 v37, v37
	v_cndmask_b32_e32 v34, 0, v34, vcc_lo
	v_cmp_ngt_f32_e32 vcc_lo, 0xc2ce8ed0, v21
	s_waitcnt_depctr 0xfff
	v_ldexp_f32 v37, v37, v54
	v_cndmask_b32_e32 v37, 0, v37, vcc_lo
	v_cmp_ngt_f32_e32 vcc_lo, 0xc2ce8ed0, v22
	v_dual_mul_f32 v43, 0x3fb8aa3b, v29 :: v_dual_cndmask_b32 v38, 0, v38
	v_cmp_ngt_f32_e32 vcc_lo, 0xc2ce8ed0, v23
	s_delay_alu instid0(VALU_DEP_2)
	v_fma_f32 v65, 0x3fb8aa3b, v29, -v43
	v_rndne_f32_e32 v66, v43
	v_cndmask_b32_e32 v39, 0, v39, vcc_lo
	v_cmp_ngt_f32_e32 vcc_lo, 0xc2ce8ed0, v24
	v_cndmask_b32_e32 v40, 0, v40, vcc_lo
	v_cmp_ngt_f32_e32 vcc_lo, 0xc2ce8ed0, v25
	;; [unrolled: 2-line block ×3, first 2 shown]
	v_cndmask_b32_e32 v42, 0, v42, vcc_lo
	v_cmp_nlt_f32_e32 vcc_lo, 0x42b17218, v17
	v_cndmask_b32_e32 v17, 0x7f800000, v31, vcc_lo
	v_cmp_nlt_f32_e32 vcc_lo, 0x42b17218, v18
	;; [unrolled: 2-line block ×10, first 2 shown]
	v_cndmask_b32_e32 v28, 0x7f800000, v42, vcc_lo
	v_cmp_lt_i32_e32 vcc_lo, 0, v13
	v_cndmask_b32_e32 v17, 0, v17, vcc_lo
	v_cmp_lt_i32_e32 vcc_lo, 32, v13
	s_waitcnt vmcnt(12)
	s_delay_alu instid0(VALU_DEP_2) | instskip(SKIP_3) | instid1(VALU_DEP_3)
	v_dual_mul_f32 v17, v26, v17 :: v_dual_cndmask_b32 v18, 0, v18
	v_cmp_lt_i32_e32 vcc_lo, 64, v13
	v_cvt_i32_f32_e32 v26, v66
	s_waitcnt vmcnt(11)
	v_dual_mul_f32 v18, v27, v18 :: v_dual_cndmask_b32 v19, 0, v19
	v_cmp_lt_i32_e32 vcc_lo, 0x60, v13
	v_cndmask_b32_e32 v20, 0, v20, vcc_lo
	v_cmp_lt_i32_e32 vcc_lo, 0x80, v13
	s_waitcnt vmcnt(9)
	s_delay_alu instid0(VALU_DEP_2) | instskip(SKIP_3) | instid1(VALU_DEP_2)
	v_dual_fmac_f32 v65, 0x32a5705f, v29 :: v_dual_mul_f32 v20, v36, v20
	v_cndmask_b32_e32 v21, 0, v21, vcc_lo
	v_cmp_lt_i32_e32 vcc_lo, 0xa0, v13
	s_waitcnt vmcnt(8)
	v_dual_mul_f32 v9, v9, v21 :: v_dual_cndmask_b32 v22, 0, v22
	v_cmp_lt_i32_e32 vcc_lo, 0xc0, v13
	v_rndne_f32_e32 v21, v44
	s_waitcnt vmcnt(7)
	s_delay_alu instid0(VALU_DEP_3) | instskip(SKIP_2) | instid1(VALU_DEP_2)
	v_dual_mul_f32 v10, v10, v22 :: v_dual_cndmask_b32 v23, 0, v23
	v_cmp_lt_i32_e32 vcc_lo, 0xe0, v13
	s_waitcnt vmcnt(6)
	v_dual_mul_f32 v11, v11, v23 :: v_dual_cndmask_b32 v24, 0, v24
	v_sub_f32_e32 v43, v43, v66
	v_cmp_lt_i32_e32 vcc_lo, 0x100, v13
	v_mul_f32_e32 v23, 0x3fb8aa3b, v12
	s_waitcnt vmcnt(5)
	s_delay_alu instid0(VALU_DEP_3) | instskip(SKIP_3) | instid1(VALU_DEP_4)
	v_dual_mul_f32 v2, v2, v24 :: v_dual_add_f32 v43, v43, v65
	v_dual_add_f32 v24, v17, v18 :: v_dual_cndmask_b32 v25, 0, v25
	v_cmp_lt_i32_e32 vcc_lo, 0x120, v13
	v_fma_f32 v27, 0x3fb8aa3b, v12, -v23
	v_exp_f32_e32 v22, v43
	s_waitcnt vmcnt(4)
	v_dual_mul_f32 v3, v3, v25 :: v_dual_cndmask_b32 v28, 0, v28
	v_sub_f32_e32 v25, v44, v21
	v_cmp_ngt_f32_e32 vcc_lo, 0xc2ce8ed0, v29
	v_fmac_f32_e32 v27, 0x32a5705f, v12
	v_cvt_i32_f32_e32 v21, v21
	s_waitcnt vmcnt(3)
	v_mul_f32_e32 v4, v4, v28
	v_rndne_f32_e32 v28, v23
	v_add_f32_e32 v25, v25, v67
	v_ldexp_f32 v22, v22, v26
	s_delay_alu instid0(VALU_DEP_3) | instskip(NEXT) | instid1(VALU_DEP_3)
	v_sub_f32_e32 v23, v23, v28
	v_exp_f32_e32 v25, v25
	s_delay_alu instid0(VALU_DEP_2) | instskip(SKIP_1) | instid1(VALU_DEP_2)
	v_cndmask_b32_e32 v22, 0, v22, vcc_lo
	v_cmp_nlt_f32_e32 vcc_lo, 0x42b17218, v29
	v_dual_add_f32 v23, v23, v27 :: v_dual_cndmask_b32 v22, 0x7f800000, v22
	v_cmp_lt_i32_e32 vcc_lo, 0x140, v13
	s_delay_alu instid0(VALU_DEP_2)
	v_exp_f32_e32 v23, v23
	s_waitcnt_depctr 0xfff
	v_ldexp_f32 v21, v25, v21
	v_cvt_i32_f32_e32 v25, v28
	v_cndmask_b32_e32 v22, 0, v22, vcc_lo
	v_cmp_ngt_f32_e32 vcc_lo, 0xc2ce8ed0, v30
	s_waitcnt vmcnt(2)
	s_delay_alu instid0(VALU_DEP_2) | instskip(SKIP_3) | instid1(VALU_DEP_3)
	v_mul_f32_e32 v5, v5, v22
	v_cndmask_b32_e32 v21, 0, v21, vcc_lo
	v_cmp_nlt_f32_e32 vcc_lo, 0x42b17218, v30
	v_ldexp_f32 v22, v23, v25
	v_cndmask_b32_e32 v21, 0x7f800000, v21, vcc_lo
	v_cmp_ngt_f32_e32 vcc_lo, 0xc2ce8ed0, v12
	s_delay_alu instid0(VALU_DEP_3) | instskip(SKIP_1) | instid1(VALU_DEP_4)
	v_cndmask_b32_e32 v22, 0, v22, vcc_lo
	v_cmp_lt_i32_e32 vcc_lo, 0x160, v13
	v_cndmask_b32_e32 v21, 0, v21, vcc_lo
	v_cmp_nlt_f32_e32 vcc_lo, 0x42b17218, v12
	v_mul_f32_e32 v19, v35, v19
	s_waitcnt vmcnt(1)
	s_delay_alu instid0(VALU_DEP_3) | instskip(NEXT) | instid1(VALU_DEP_2)
	v_dual_mul_f32 v15, v15, v21 :: v_dual_cndmask_b32 v12, 0x7f800000, v22
	v_add_f32_e32 v24, v24, v19
	v_cmp_lt_i32_e32 vcc_lo, 0x180, v13
	s_delay_alu instid0(VALU_DEP_2) | instskip(NEXT) | instid1(VALU_DEP_4)
	v_add_f32_e32 v24, v24, v20
	v_cndmask_b32_e32 v12, 0, v12, vcc_lo
	s_waitcnt vmcnt(0)
	s_delay_alu instid0(VALU_DEP_1) | instskip(NEXT) | instid1(VALU_DEP_1)
	v_dual_add_f32 v24, v24, v9 :: v_dual_mul_f32 v7, v7, v12
	v_add_f32_e32 v24, v24, v10
	s_delay_alu instid0(VALU_DEP_1) | instskip(NEXT) | instid1(VALU_DEP_1)
	v_add_f32_e32 v24, v24, v11
	v_add_f32_e32 v23, v24, v2
	s_delay_alu instid0(VALU_DEP_1) | instskip(NEXT) | instid1(VALU_DEP_1)
	v_add_f32_e32 v23, v23, v3
	;; [unrolled: 3-line block ×3, first 2 shown]
	v_add_f32_e32 v12, v13, v15
	s_delay_alu instid0(VALU_DEP_1)
	v_add_f32_e32 v12, v12, v7
	ds_bpermute_b32 v1, v1, v12
	s_waitcnt lgkmcnt(0)
	v_add_f32_e32 v1, v12, v1
	ds_bpermute_b32 v6, v6, v1
	s_waitcnt lgkmcnt(0)
	v_add_f32_e32 v1, v1, v6
	ds_bpermute_b32 v6, v14, v1
	s_waitcnt lgkmcnt(0)
	v_add_f32_e32 v1, v1, v6
	ds_bpermute_b32 v6, v8, v1
	v_lshlrev_b32_e32 v8, 2, v0
	s_delay_alu instid0(VALU_DEP_1)
	v_add_nc_u32_e32 v12, 0x400, v8
	ds_store_2addr_b32 v8, v17, v18 offset1:32
	ds_store_2addr_b32 v8, v19, v20 offset0:64 offset1:96
	ds_store_2addr_b32 v8, v9, v10 offset0:128 offset1:160
	;; [unrolled: 1-line block ×3, first 2 shown]
	ds_store_2addr_b32 v12, v3, v4 offset1:32
	ds_store_2addr_b32 v12, v5, v15 offset0:64 offset1:96
	ds_store_b32 v8, v7 offset:1536
	s_waitcnt lgkmcnt(7)
	v_add_f32_e32 v1, v1, v6
	ds_bpermute_b32 v6, v16, v1
	v_cmpx_eq_u32_e32 0, v0
	s_cbranch_execz .LBB90_8
; %bb.7:
	s_waitcnt lgkmcnt(0)
	v_dual_add_f32 v1, v1, v6 :: v_dual_mov_b32 v2, 0
	ds_store_b32 v2, v1 offset:1664
.LBB90_8:
	s_or_b32 exec_lo, exec_lo, s7
	v_mov_b32_e32 v1, s6
.LBB90_9:
	s_or_b32 exec_lo, exec_lo, s24
	s_lshl_b32 s6, s18, 6
	s_mov_b32 s7, 0
	s_delay_alu instid0(VALU_DEP_1)
	v_dual_mov_b32 v2, 0 :: v_dual_lshlrev_b32 v1, 6, v1
	s_lshl_b64 s[6:7], s[6:7], 1
	v_lshlrev_b32_e32 v0, 1, v0
	s_add_u32 s34, s4, s6
	s_addc_u32 s35, s5, s7
	s_lshl_b32 s41, s40, 6
	v_lshlrev_b64 v[3:4], 1, v[1:2]
	s_sub_i32 s42, s41, 64
	s_cmpk_lt_i32 s22, 0x100
	v_dual_mov_b32 v30, 0 :: v_dual_mov_b32 v33, 0
	s_cselect_b32 s4, s42, 0
	s_delay_alu instid0(VALU_DEP_2)
	v_add_co_u32 v1, vcc_lo, s34, v3
	s_ashr_i32 s5, s4, 31
	v_add_co_ci_u32_e32 v3, vcc_lo, s35, v4, vcc_lo
	s_lshl_b64 s[4:5], s[4:5], 1
	s_cmpk_lt_i32 s22, 0x200
	v_add_co_u32 v1, vcc_lo, v1, v0
	s_cselect_b32 s6, s42, 64
	v_add_co_ci_u32_e32 v3, vcc_lo, 0, v3, vcc_lo
	s_ashr_i32 s7, s6, 31
	s_delay_alu instid0(VALU_DEP_2)
	v_add_co_u32 v4, vcc_lo, v1, s4
	s_lshl_b64 s[6:7], s[6:7], 1
	s_cmpk_lt_i32 s22, 0x300
	v_add_co_ci_u32_e32 v5, vcc_lo, s5, v3, vcc_lo
	s_cselect_b32 s8, s42, 0x80
	v_add_co_u32 v8, vcc_lo, v1, s6
	s_ashr_i32 s9, s8, 31
	v_add_co_ci_u32_e32 v9, vcc_lo, s7, v3, vcc_lo
	s_lshl_b64 s[8:9], s[8:9], 1
	s_cmpk_lt_i32 s22, 0x400
	v_add_co_u32 v10, vcc_lo, v1, s8
	s_cselect_b32 s10, s42, 0xc0
	v_add_co_ci_u32_e32 v11, vcc_lo, s9, v3, vcc_lo
	s_ashr_i32 s11, s10, 31
	v_dual_mov_b32 v32, 0 :: v_dual_mov_b32 v35, 0
	s_lshl_b64 s[10:11], s[10:11], 1
	s_cmpk_lt_i32 s22, 0x500
	v_add_co_u32 v12, vcc_lo, v1, s10
	s_cselect_b32 s18, s42, 0x100
	v_add_co_ci_u32_e32 v13, vcc_lo, s11, v3, vcc_lo
	s_ashr_i32 s19, s18, 31
	v_mov_b32_e32 v34, 0
	s_lshl_b64 s[18:19], s[18:19], 1
	s_cmpk_lt_i32 s22, 0x600
	v_add_co_u32 v14, vcc_lo, v1, s18
	s_cselect_b32 s20, s42, 0x140
	v_add_co_ci_u32_e32 v15, vcc_lo, s19, v3, vcc_lo
	s_ashr_i32 s21, s20, 31
	v_mov_b32_e32 v29, 0
	;; [unrolled: 7-line block ×3, first 2 shown]
	s_lshl_b64 s[24:25], s[24:25], 1
	s_cmpk_lt_i32 s22, 0x800
	v_add_co_u32 v18, vcc_lo, v1, s24
	s_cselect_b32 s26, s42, 0x1c0
	v_add_co_ci_u32_e32 v19, vcc_lo, s25, v3, vcc_lo
	s_ashr_i32 s27, s26, 31
	s_delay_alu instid0(SALU_CYCLE_1)
	s_lshl_b64 s[26:27], s[26:27], 1
	s_cmpk_lt_i32 s22, 0x900
	v_add_co_u32 v20, vcc_lo, v1, s26
	s_cselect_b32 s28, s42, 0x200
	v_add_co_ci_u32_e32 v21, vcc_lo, s27, v3, vcc_lo
	s_ashr_i32 s29, s28, 31
	s_clause 0x6
	global_load_u16 v7, v[4:5], off
	global_load_u16 v8, v[8:9], off
	;; [unrolled: 1-line block ×7, first 2 shown]
	s_waitcnt lgkmcnt(0)
	global_load_u16 v6, v[20:21], off
	s_lshl_b64 s[28:29], s[28:29], 1
	s_cmpk_lt_i32 s22, 0xa00
	v_add_co_u32 v12, vcc_lo, v1, s28
	s_cselect_b32 s30, s42, 0x240
	v_add_co_ci_u32_e32 v13, vcc_lo, s29, v3, vcc_lo
	s_ashr_i32 s31, s30, 31
	s_delay_alu instid0(SALU_CYCLE_1)
	s_lshl_b64 s[30:31], s[30:31], 1
	s_cmpk_lt_i32 s22, 0xb00
	v_add_co_u32 v15, vcc_lo, v1, s30
	s_cselect_b32 s34, s42, 0x280
	v_add_co_ci_u32_e32 v16, vcc_lo, s31, v3, vcc_lo
	s_ashr_i32 s35, s34, 31
	s_delay_alu instid0(SALU_CYCLE_1)
	;; [unrolled: 7-line block ×7, first 2 shown]
	s_lshl_b64 s[4:5], s[6:7], 1
	s_cmpk_gt_i32 s23, 0x1000
	v_add_co_u32 v27, vcc_lo, v1, s4
	v_add_co_ci_u32_e32 v28, vcc_lo, s5, v3, vcc_lo
	s_clause 0x7
	global_load_u16 v14, v[12:13], off
	global_load_u16 v15, v[15:16], off
	global_load_u16 v16, v[17:18], off
	global_load_u16 v17, v[19:20], off
	global_load_u16 v18, v[21:22], off
	global_load_u16 v12, v[23:24], off
	global_load_u16 v13, v[25:26], off
	global_load_u16 v19, v[27:28], off
	v_dual_mov_b32 v20, 0 :: v_dual_mov_b32 v23, 0
	v_dual_mov_b32 v21, 0 :: v_dual_mov_b32 v22, 0
	v_dual_mov_b32 v25, 0 :: v_dual_mov_b32 v24, 0
	v_dual_mov_b32 v27, 0 :: v_dual_mov_b32 v26, 0
	v_mov_b32_e32 v28, 0
	s_cselect_b32 s8, -1, 0
	s_cmpk_lt_i32 s23, 0x1001
	s_waitcnt vmcnt(0)
	s_barrier
	buffer_gl0_inv
	s_cbranch_scc1 .LBB90_11
; %bb.10:
	s_cmpk_lt_i32 s22, 0x1100
	s_cselect_b32 s4, s42, 0x400
	s_delay_alu instid0(SALU_CYCLE_1) | instskip(NEXT) | instid1(SALU_CYCLE_1)
	s_ashr_i32 s5, s4, 31
	s_lshl_b64 s[4:5], s[4:5], 1
	s_cmpk_lt_i32 s22, 0x1200
	v_add_co_u32 v20, vcc_lo, v1, s4
	s_cselect_b32 s6, s42, 0x440
	v_add_co_ci_u32_e32 v21, vcc_lo, s5, v3, vcc_lo
	s_ashr_i32 s7, s6, 31
	s_delay_alu instid0(SALU_CYCLE_1)
	s_lshl_b64 s[6:7], s[6:7], 1
	s_cmpk_lt_i32 s22, 0x1300
	v_add_co_u32 v22, vcc_lo, v1, s6
	s_cselect_b32 s10, s42, 0x480
	v_add_co_ci_u32_e32 v23, vcc_lo, s7, v3, vcc_lo
	s_ashr_i32 s11, s10, 31
	s_delay_alu instid0(SALU_CYCLE_1)
	;; [unrolled: 7-line block ×7, first 2 shown]
	s_lshl_b64 s[28:29], s[28:29], 1
	s_cmpk_lt_i32 s22, 0x1900
	v_add_co_u32 v34, vcc_lo, v1, s28
	s_cselect_b32 s30, s42, 0x600
	v_add_co_ci_u32_e32 v35, vcc_lo, s29, v3, vcc_lo
	s_ashr_i32 s31, s30, 31
	s_clause 0x7
	global_load_u16 v36, v[20:21], off
	global_load_u16 v37, v[22:23], off
	global_load_u16 v38, v[24:25], off
	global_load_u16 v39, v[26:27], off
	global_load_u16 v40, v[28:29], off
	global_load_u16 v41, v[30:31], off
	global_load_u16 v42, v[32:33], off
	global_load_u16 v43, v[34:35], off
	s_lshl_b64 s[30:31], s[30:31], 1
	s_cmpk_lt_i32 s22, 0x1a00
	v_add_co_u32 v20, vcc_lo, v1, s30
	s_cselect_b32 s34, s42, 0x640
	v_add_co_ci_u32_e32 v21, vcc_lo, s31, v3, vcc_lo
	s_ashr_i32 s35, s34, 31
	s_delay_alu instid0(SALU_CYCLE_1)
	s_lshl_b64 s[34:35], s[34:35], 1
	s_cmpk_lt_i32 s22, 0x1b00
	v_add_co_u32 v22, vcc_lo, v1, s34
	s_cselect_b32 s36, s42, 0x680
	v_add_co_ci_u32_e32 v23, vcc_lo, s35, v3, vcc_lo
	s_ashr_i32 s37, s36, 31
	s_delay_alu instid0(SALU_CYCLE_1)
	;; [unrolled: 7-line block ×6, first 2 shown]
	s_lshl_b64 s[4:5], s[20:21], 1
	s_cmpk_lt_i32 s22, 0x2000
	v_add_co_u32 v32, vcc_lo, v1, s4
	s_cselect_b32 s6, s42, 0x7c0
	v_add_co_ci_u32_e32 v33, vcc_lo, s5, v3, vcc_lo
	s_ashr_i32 s7, s6, 31
	s_delay_alu instid0(SALU_CYCLE_1) | instskip(NEXT) | instid1(SALU_CYCLE_1)
	s_lshl_b64 s[4:5], s[6:7], 1
	v_add_co_u32 v34, vcc_lo, v1, s4
	v_add_co_ci_u32_e32 v35, vcc_lo, s5, v3, vcc_lo
	s_clause 0x7
	global_load_u16 v20, v[20:21], off
	global_load_u16 v21, v[22:23], off
	;; [unrolled: 1-line block ×8, first 2 shown]
	s_waitcnt vmcnt(15)
	v_cvt_f32_f16_e32 v35, v36
	s_waitcnt vmcnt(14)
	v_cvt_f32_f16_e32 v34, v37
	;; [unrolled: 2-line block ×16, first 2 shown]
.LBB90_11:
	ds_load_b128 v[36:39], v2
	ds_load_b128 v[40:43], v2 offset:16
	s_load_b64 s[0:1], s[0:1], 0x0
	s_and_b32 vcc_lo, exec_lo, s8
	s_waitcnt lgkmcnt(0)
	v_fma_mix_f32 v7, v36, v7, 0 op_sel_hi:[0,1,0]
	s_delay_alu instid0(VALU_DEP_1) | instskip(NEXT) | instid1(VALU_DEP_1)
	v_fma_mix_f32 v7, v37, v8, v7 op_sel_hi:[0,1,0]
	v_fma_mix_f32 v7, v38, v9, v7 op_sel_hi:[0,1,0]
	s_delay_alu instid0(VALU_DEP_1) | instskip(SKIP_4) | instid1(VALU_DEP_1)
	v_fma_mix_f32 v7, v39, v10, v7 op_sel_hi:[0,1,0]
	ds_load_b128 v[36:39], v2 offset:48
	v_fma_mix_f32 v11, v40, v11, v7 op_sel_hi:[0,1,0]
	ds_load_b128 v[7:10], v2 offset:32
	v_fma_mix_f32 v4, v41, v4, v11 op_sel_hi:[0,1,0]
	v_fma_mix_f32 v4, v42, v5, v4 op_sel_hi:[0,1,0]
	s_delay_alu instid0(VALU_DEP_1) | instskip(SKIP_1) | instid1(VALU_DEP_1)
	v_fma_mix_f32 v4, v43, v6, v4 op_sel_hi:[0,1,0]
	s_waitcnt lgkmcnt(0)
	v_fma_mix_f32 v4, v7, v14, v4 op_sel_hi:[0,1,0]
	s_delay_alu instid0(VALU_DEP_1) | instskip(NEXT) | instid1(VALU_DEP_1)
	v_fma_mix_f32 v4, v8, v15, v4 op_sel_hi:[0,1,0]
	v_fma_mix_f32 v4, v9, v16, v4 op_sel_hi:[0,1,0]
	s_delay_alu instid0(VALU_DEP_1) | instskip(NEXT) | instid1(VALU_DEP_1)
	v_fma_mix_f32 v4, v10, v17, v4 op_sel_hi:[0,1,0]
	;; [unrolled: 3-line block ×3, first 2 shown]
	v_fma_mix_f32 v4, v38, v13, v4 op_sel_hi:[0,1,0]
	s_delay_alu instid0(VALU_DEP_1)
	v_fma_mix_f32 v4, v39, v19, v4 op_sel_hi:[0,1,0]
	s_cbranch_vccz .LBB90_13
; %bb.12:
	ds_load_b128 v[5:8], v2 offset:64
	ds_load_b128 v[9:12], v2 offset:80
	s_waitcnt lgkmcnt(1)
	v_fmac_f32_e32 v4, v5, v35
	s_delay_alu instid0(VALU_DEP_1) | instskip(NEXT) | instid1(VALU_DEP_1)
	v_fmac_f32_e32 v4, v6, v34
	v_fmac_f32_e32 v4, v7, v33
	s_delay_alu instid0(VALU_DEP_1) | instskip(SKIP_3) | instid1(VALU_DEP_1)
	v_fmac_f32_e32 v4, v8, v32
	ds_load_b128 v[5:8], v2 offset:96
	s_waitcnt lgkmcnt(1)
	v_fmac_f32_e32 v4, v9, v31
	v_fmac_f32_e32 v4, v10, v30
	s_delay_alu instid0(VALU_DEP_1) | instskip(NEXT) | instid1(VALU_DEP_1)
	v_fmac_f32_e32 v4, v11, v29
	v_fmac_f32_e32 v4, v12, v28
	ds_load_b128 v[9:12], v2 offset:112
	s_waitcnt lgkmcnt(1)
	v_fmac_f32_e32 v4, v5, v27
	s_delay_alu instid0(VALU_DEP_1) | instskip(NEXT) | instid1(VALU_DEP_1)
	v_fmac_f32_e32 v4, v6, v26
	v_fmac_f32_e32 v4, v7, v25
	s_delay_alu instid0(VALU_DEP_1) | instskip(SKIP_1) | instid1(VALU_DEP_1)
	v_fmac_f32_e32 v4, v8, v24
	s_waitcnt lgkmcnt(0)
	v_fmac_f32_e32 v4, v9, v23
	s_delay_alu instid0(VALU_DEP_1) | instskip(NEXT) | instid1(VALU_DEP_1)
	v_fmac_f32_e32 v4, v10, v22
	v_fmac_f32_e32 v4, v11, v21
	s_delay_alu instid0(VALU_DEP_1)
	v_fmac_f32_e32 v4, v12, v20
.LBB90_13:
	s_movk_i32 s43, 0xfc0
	s_movk_i32 s44, 0x80
	s_mov_b32 s45, 32
	s_branch .LBB90_15
.LBB90_14:                              ;   in Loop: Header=BB90_15 Depth=1
	s_addk_i32 s43, 0x800
	s_addk_i32 s44, 0x80
	s_add_i32 s45, s45, 32
	s_cmpk_eq_i32 s43, 0x6fc0
	s_cbranch_scc1 .LBB90_17
.LBB90_15:                              ; =>This Inner Loop Header: Depth=1
	s_cmp_le_i32 s40, s45
	s_cbranch_scc1 .LBB90_14
; %bb.16:                               ;   in Loop: Header=BB90_15 Depth=1
	s_add_i32 s4, s43, 0xfffff840
	v_mov_b32_e32 v44, s44
	s_cmp_lt_i32 s4, s41
	s_cselect_b32 s4, s4, s42
	s_add_i32 s6, s43, 0xfffff880
	s_ashr_i32 s5, s4, 31
	s_delay_alu instid0(SALU_CYCLE_1)
	s_lshl_b64 s[4:5], s[4:5], 1
	s_cmp_lt_i32 s6, s41
	v_add_co_u32 v5, vcc_lo, v1, s4
	s_cselect_b32 s6, s6, s42
	s_add_i32 s10, s43, 0xfffff8c0
	s_ashr_i32 s7, s6, 31
	v_add_co_ci_u32_e32 v6, vcc_lo, s5, v3, vcc_lo
	s_lshl_b64 s[8:9], s[6:7], 1
	s_cmp_lt_i32 s10, s41
	v_add_co_u32 v7, vcc_lo, v1, s8
	s_cselect_b32 s6, s10, s42
	s_add_i32 s10, s43, 0xfffff900
	s_ashr_i32 s7, s6, 31
	v_add_co_ci_u32_e32 v8, vcc_lo, s9, v3, vcc_lo
	;; [unrolled: 7-line block ×8, first 2 shown]
	s_lshl_b64 s[24:25], s[20:21], 1
	s_cmp_lt_i32 s28, s41
	s_clause 0x7
	global_load_u16 v2, v[5:6], off
	global_load_u16 v21, v[7:8], off
	;; [unrolled: 1-line block ×8, first 2 shown]
	s_cselect_b32 s20, s28, s42
	s_add_i32 s28, s43, 0xfffffac0
	s_ashr_i32 s21, s20, 31
	v_add_co_u32 v5, vcc_lo, v1, s24
	s_lshl_b64 s[20:21], s[20:21], 1
	s_cmp_lt_i32 s28, s41
	v_add_co_ci_u32_e32 v6, vcc_lo, s25, v3, vcc_lo
	s_cselect_b32 s28, s28, s42
	s_add_i32 s36, s43, 0xfffffb00
	s_ashr_i32 s29, s28, 31
	v_add_co_u32 v7, vcc_lo, v1, s20
	s_lshl_b64 s[30:31], s[28:29], 1
	s_cmp_lt_i32 s36, s41
	v_add_co_ci_u32_e32 v8, vcc_lo, s21, v3, vcc_lo
	;; [unrolled: 7-line block ×8, first 2 shown]
	s_cselect_b32 s10, s10, s42
	s_add_i32 s18, s43, 0xfffffcc0
	s_ashr_i32 s11, s10, 31
	s_clause 0x7
	global_load_u16 v28, v[5:6], off
	global_load_u16 v29, v[7:8], off
	;; [unrolled: 1-line block ×8, first 2 shown]
	s_lshl_b64 s[10:11], s[10:11], 1
	s_cmp_lt_i32 s18, s41
	v_add_co_u32 v5, vcc_lo, v1, s4
	s_cselect_b32 s18, s18, s42
	s_add_i32 s22, s43, 0xfffffd00
	s_ashr_i32 s19, s18, 31
	v_add_co_ci_u32_e32 v6, vcc_lo, s5, v3, vcc_lo
	s_lshl_b64 s[18:19], s[18:19], 1
	s_cmp_lt_i32 s22, s41
	v_add_co_u32 v7, vcc_lo, v1, s10
	s_cselect_b32 s20, s22, s42
	s_add_i32 s22, s43, 0xfffffd40
	s_ashr_i32 s21, s20, 31
	v_add_co_ci_u32_e32 v8, vcc_lo, s11, v3, vcc_lo
	;; [unrolled: 7-line block ×5, first 2 shown]
	s_lshl_b64 s[6:7], s[6:7], 1
	s_cmp_lt_i32 s24, s41
	s_clause 0x4
	global_load_u16 v19, v[5:6], off
	global_load_u16 v20, v[7:8], off
	;; [unrolled: 1-line block ×5, first 2 shown]
	s_cselect_b32 s4, s24, s42
	s_add_i32 s10, s43, 0xfffffe40
	s_ashr_i32 s5, s4, 31
	v_add_co_u32 v5, vcc_lo, v1, s8
	s_lshl_b64 s[4:5], s[4:5], 1
	s_cmp_lt_i32 s10, s41
	v_add_co_ci_u32_e32 v6, vcc_lo, s9, v3, vcc_lo
	s_cselect_b32 s10, s10, s42
	s_add_i32 s18, s43, 0xfffffe80
	s_ashr_i32 s11, s10, 31
	v_add_co_u32 v7, vcc_lo, v1, s6
	s_lshl_b64 s[10:11], s[10:11], 1
	s_cmp_lt_i32 s18, s41
	v_add_co_ci_u32_e32 v8, vcc_lo, s7, v3, vcc_lo
	s_cselect_b32 s18, s18, s42
	s_add_i32 s20, s43, 0xfffffec0
	s_ashr_i32 s19, s18, 31
	v_add_co_u32 v9, vcc_lo, v1, s4
	s_lshl_b64 s[18:19], s[18:19], 1
	s_cmp_lt_i32 s20, s41
	global_load_u16 v37, v[5:6], off
	s_cselect_b32 s8, s20, s42
	s_add_i32 s20, s43, 0xffffff00
	s_ashr_i32 s9, s8, 31
	v_add_co_ci_u32_e32 v10, vcc_lo, s5, v3, vcc_lo
	s_lshl_b64 s[6:7], s[8:9], 1
	s_cmp_lt_i32 s20, s41
	v_add_co_u32 v11, vcc_lo, v1, s10
	s_cselect_b32 s4, s20, s42
	s_clause 0x1
	global_load_u16 v38, v[7:8], off
	global_load_u16 v39, v[9:10], off
	v_add_co_ci_u32_e32 v12, vcc_lo, s11, v3, vcc_lo
	s_ashr_i32 s5, s4, 31
	s_add_i32 s8, s43, 0xffffff40
	v_add_co_u32 v13, vcc_lo, v1, s18
	s_lshl_b64 s[4:5], s[4:5], 1
	s_cmp_lt_i32 s8, s41
	v_add_co_ci_u32_e32 v14, vcc_lo, s19, v3, vcc_lo
	v_add_co_u32 v15, vcc_lo, v1, s6
	s_cselect_b32 s8, s8, s42
	v_add_co_ci_u32_e32 v16, vcc_lo, s7, v3, vcc_lo
	s_ashr_i32 s9, s8, 31
	s_add_i32 s10, s43, 0xffffff80
	s_lshl_b64 s[6:7], s[8:9], 1
	s_clause 0x2
	global_load_u16 v40, v[11:12], off
	global_load_u16 v13, v[13:14], off
	;; [unrolled: 1-line block ×3, first 2 shown]
	s_cmp_lt_i32 s10, s41
	v_add_co_u32 v5, vcc_lo, v1, s4
	s_cselect_b32 s8, s10, s42
	s_sub_i32 s10, s43, 64
	s_ashr_i32 s9, s8, 31
	v_add_co_ci_u32_e32 v6, vcc_lo, s5, v3, vcc_lo
	s_lshl_b64 s[8:9], s[8:9], 1
	s_cmp_lt_i32 s10, s41
	v_add_co_u32 v7, vcc_lo, v1, s6
	s_cselect_b32 s4, s10, s42
	v_add_co_ci_u32_e32 v8, vcc_lo, s7, v3, vcc_lo
	s_ashr_i32 s5, s4, 31
	v_add_co_u32 v9, vcc_lo, v1, s8
	global_load_u16 v15, v[5:6], off
	s_lshl_b64 s[4:5], s[4:5], 1
	v_add_co_ci_u32_e32 v10, vcc_lo, s9, v3, vcc_lo
	s_cmp_lt_i32 s43, s41
	s_clause 0x1
	global_load_u16 v16, v[7:8], off
	global_load_u16 v41, v[9:10], off
	s_cselect_b32 s6, s43, s42
	v_add_co_u32 v5, vcc_lo, v1, s4
	s_ashr_i32 s7, s6, 31
	v_add_co_ci_u32_e32 v6, vcc_lo, s5, v3, vcc_lo
	s_lshl_b64 s[4:5], s[6:7], 1
	s_delay_alu instid0(SALU_CYCLE_1)
	v_add_co_u32 v7, vcc_lo, v1, s4
	v_add_co_ci_u32_e32 v8, vcc_lo, s5, v3, vcc_lo
	s_clause 0x1
	global_load_u16 v42, v[5:6], off
	global_load_u16 v43, v[7:8], off
	ds_load_b128 v[5:8], v44
	ds_load_b128 v[9:12], v44 offset:16
	s_waitcnt vmcnt(31) lgkmcnt(1)
	v_fma_mix_f32 v2, v5, v2, v4 op_sel_hi:[0,1,0]
	s_waitcnt vmcnt(30)
	s_delay_alu instid0(VALU_DEP_1) | instskip(SKIP_1) | instid1(VALU_DEP_1)
	v_fma_mix_f32 v2, v6, v21, v2 op_sel_hi:[0,1,0]
	s_waitcnt vmcnt(29)
	v_fma_mix_f32 v2, v7, v22, v2 op_sel_hi:[0,1,0]
	ds_load_b128 v[4:7], v44 offset:32
	s_waitcnt vmcnt(28)
	v_fma_mix_f32 v2, v8, v23, v2 op_sel_hi:[0,1,0]
	s_waitcnt vmcnt(27) lgkmcnt(1)
	s_delay_alu instid0(VALU_DEP_1) | instskip(SKIP_1) | instid1(VALU_DEP_1)
	v_fma_mix_f32 v2, v9, v24, v2 op_sel_hi:[0,1,0]
	s_waitcnt vmcnt(26)
	v_fma_mix_f32 v2, v10, v25, v2 op_sel_hi:[0,1,0]
	s_waitcnt vmcnt(25)
	s_delay_alu instid0(VALU_DEP_1) | instskip(SKIP_4) | instid1(VALU_DEP_1)
	v_fma_mix_f32 v2, v11, v26, v2 op_sel_hi:[0,1,0]
	ds_load_b128 v[8:11], v44 offset:48
	s_waitcnt vmcnt(24)
	v_fma_mix_f32 v2, v12, v27, v2 op_sel_hi:[0,1,0]
	s_waitcnt vmcnt(23) lgkmcnt(1)
	v_fma_mix_f32 v2, v4, v28, v2 op_sel_hi:[0,1,0]
	s_waitcnt vmcnt(22)
	s_delay_alu instid0(VALU_DEP_1) | instskip(SKIP_1) | instid1(VALU_DEP_1)
	v_fma_mix_f32 v2, v5, v29, v2 op_sel_hi:[0,1,0]
	s_waitcnt vmcnt(21)
	v_fma_mix_f32 v2, v6, v30, v2 op_sel_hi:[0,1,0]
	s_waitcnt vmcnt(20)
	s_delay_alu instid0(VALU_DEP_1) | instskip(SKIP_4) | instid1(VALU_DEP_1)
	v_fma_mix_f32 v2, v7, v31, v2 op_sel_hi:[0,1,0]
	ds_load_b128 v[4:7], v44 offset:64
	s_waitcnt vmcnt(19) lgkmcnt(1)
	v_fma_mix_f32 v2, v8, v32, v2 op_sel_hi:[0,1,0]
	s_waitcnt vmcnt(18)
	v_fma_mix_f32 v2, v9, v33, v2 op_sel_hi:[0,1,0]
	s_waitcnt vmcnt(17)
	s_delay_alu instid0(VALU_DEP_1) | instskip(SKIP_1) | instid1(VALU_DEP_1)
	v_fma_mix_f32 v2, v10, v17, v2 op_sel_hi:[0,1,0]
	s_waitcnt vmcnt(16)
	v_fma_mix_f32 v2, v11, v18, v2 op_sel_hi:[0,1,0]
	ds_load_b128 v[8:11], v44 offset:80
	s_waitcnt vmcnt(15) lgkmcnt(1)
	v_fma_mix_f32 v2, v4, v19, v2 op_sel_hi:[0,1,0]
	s_waitcnt vmcnt(14)
	s_delay_alu instid0(VALU_DEP_1) | instskip(SKIP_1) | instid1(VALU_DEP_1)
	v_fma_mix_f32 v2, v5, v20, v2 op_sel_hi:[0,1,0]
	s_waitcnt vmcnt(13)
	v_fma_mix_f32 v2, v6, v34, v2 op_sel_hi:[0,1,0]
	s_waitcnt vmcnt(12)
	s_delay_alu instid0(VALU_DEP_1) | instskip(SKIP_4) | instid1(VALU_DEP_1)
	v_fma_mix_f32 v2, v7, v35, v2 op_sel_hi:[0,1,0]
	ds_load_b128 v[4:7], v44 offset:96
	s_waitcnt vmcnt(11) lgkmcnt(1)
	v_fma_mix_f32 v2, v8, v36, v2 op_sel_hi:[0,1,0]
	s_waitcnt vmcnt(10)
	v_fma_mix_f32 v2, v9, v37, v2 op_sel_hi:[0,1,0]
	s_waitcnt vmcnt(9)
	s_delay_alu instid0(VALU_DEP_1) | instskip(SKIP_1) | instid1(VALU_DEP_1)
	v_fma_mix_f32 v2, v10, v38, v2 op_sel_hi:[0,1,0]
	s_waitcnt vmcnt(8)
	v_fma_mix_f32 v2, v11, v39, v2 op_sel_hi:[0,1,0]
	ds_load_b128 v[8:11], v44 offset:112
	s_waitcnt vmcnt(7) lgkmcnt(1)
	v_fma_mix_f32 v2, v4, v40, v2 op_sel_hi:[0,1,0]
	s_waitcnt vmcnt(6)
	s_delay_alu instid0(VALU_DEP_1) | instskip(SKIP_1) | instid1(VALU_DEP_1)
	v_fma_mix_f32 v2, v5, v13, v2 op_sel_hi:[0,1,0]
	s_waitcnt vmcnt(5)
	v_fma_mix_f32 v2, v6, v14, v2 op_sel_hi:[0,1,0]
	s_waitcnt vmcnt(4)
	s_delay_alu instid0(VALU_DEP_1) | instskip(SKIP_1) | instid1(VALU_DEP_1)
	v_fma_mix_f32 v2, v7, v15, v2 op_sel_hi:[0,1,0]
	s_waitcnt vmcnt(3) lgkmcnt(0)
	v_fma_mix_f32 v2, v8, v16, v2 op_sel_hi:[0,1,0]
	s_waitcnt vmcnt(2)
	s_delay_alu instid0(VALU_DEP_1) | instskip(SKIP_1) | instid1(VALU_DEP_1)
	v_fma_mix_f32 v2, v9, v41, v2 op_sel_hi:[0,1,0]
	s_waitcnt vmcnt(1)
	v_fma_mix_f32 v2, v10, v42, v2 op_sel_hi:[0,1,0]
	s_waitcnt vmcnt(0)
	s_delay_alu instid0(VALU_DEP_1)
	v_fma_mix_f32 v4, v11, v43, v2 op_sel_hi:[0,1,0]
	s_branch .LBB90_14
.LBB90_17:
	v_mov_b32_e32 v1, 0
	s_and_b32 vcc_lo, exec_lo, s15
	ds_load_b32 v1, v1 offset:1664
	s_cbranch_vccz .LBB90_19
; %bb.18:
	s_add_u32 s2, s12, s16
	s_addc_u32 s3, s13, s17
	s_load_b32 s2, s[2:3], 0x0
	s_mov_b32 s3, 0
.LBB90_19:
	s_waitcnt lgkmcnt(0)
	v_add_f32_e32 v1, 0x358637bd, v1
	s_mul_i32 s3, s33, s3
	s_mul_hi_u32 s4, s33, s2
	s_mul_i32 s2, s33, s2
	s_add_i32 s3, s4, s3
	v_div_scale_f32 v2, null, v1, v1, 1.0
	s_lshl_b64 s[2:3], s[2:3], 7
	s_mov_b32 s15, 0
	s_add_u32 s2, s0, s2
	s_delay_alu instid0(VALU_DEP_1) | instskip(SKIP_2) | instid1(SALU_CYCLE_1)
	v_rcp_f32_e32 v3, v2
	s_addc_u32 s3, s1, s3
	s_lshl_b64 s[0:1], s[14:15], 7
	s_add_u32 s0, s2, s0
	s_addc_u32 s1, s3, s1
	s_waitcnt_depctr 0xfff
	v_fma_f32 v5, -v2, v3, 1.0
	s_delay_alu instid0(VALU_DEP_1) | instskip(SKIP_1) | instid1(VALU_DEP_1)
	v_fmac_f32_e32 v3, v5, v3
	v_div_scale_f32 v5, vcc_lo, 1.0, v1, 1.0
	v_mul_f32_e32 v6, v5, v3
	s_delay_alu instid0(VALU_DEP_1) | instskip(NEXT) | instid1(VALU_DEP_1)
	v_fma_f32 v7, -v2, v6, v5
	v_fmac_f32_e32 v6, v7, v3
	s_delay_alu instid0(VALU_DEP_1) | instskip(NEXT) | instid1(VALU_DEP_1)
	v_fma_f32 v2, -v2, v6, v5
	v_div_fmas_f32 v2, v2, v3, v6
	s_delay_alu instid0(VALU_DEP_1) | instskip(NEXT) | instid1(VALU_DEP_1)
	v_div_fixup_f32 v1, v2, v1, 1.0
	v_fma_mixlo_f16 v1, v4, v1, 0
	global_store_b16 v0, v1, s[0:1]
	s_nop 0
	s_sendmsg sendmsg(MSG_DEALLOC_VGPRS)
	s_endpgm
.LBB90_20:
	s_mov_b32 s4, 0
	s_branch .LBB90_2
	.section	.rodata,"a",@progbits
	.p2align	6, 0x0
	.amdhsa_kernel _Z35paged_attention_ll4mi_reduce_kernelIDF16_DF16_Li64ELi64ELi256ELi13EEvPT0_PKfS3_PKT_PKiS8_iS3_
		.amdhsa_group_segment_fixed_size 1668
		.amdhsa_private_segment_fixed_size 0
		.amdhsa_kernarg_size 320
		.amdhsa_user_sgpr_count 14
		.amdhsa_user_sgpr_dispatch_ptr 0
		.amdhsa_user_sgpr_queue_ptr 0
		.amdhsa_user_sgpr_kernarg_segment_ptr 1
		.amdhsa_user_sgpr_dispatch_id 0
		.amdhsa_user_sgpr_private_segment_size 0
		.amdhsa_wavefront_size32 1
		.amdhsa_uses_dynamic_stack 0
		.amdhsa_enable_private_segment 0
		.amdhsa_system_sgpr_workgroup_id_x 1
		.amdhsa_system_sgpr_workgroup_id_y 1
		.amdhsa_system_sgpr_workgroup_id_z 0
		.amdhsa_system_sgpr_workgroup_info 0
		.amdhsa_system_vgpr_workitem_id 0
		.amdhsa_next_free_vgpr 68
		.amdhsa_next_free_sgpr 47
		.amdhsa_reserve_vcc 1
		.amdhsa_float_round_mode_32 0
		.amdhsa_float_round_mode_16_64 0
		.amdhsa_float_denorm_mode_32 3
		.amdhsa_float_denorm_mode_16_64 3
		.amdhsa_dx10_clamp 1
		.amdhsa_ieee_mode 1
		.amdhsa_fp16_overflow 0
		.amdhsa_workgroup_processor_mode 1
		.amdhsa_memory_ordered 1
		.amdhsa_forward_progress 0
		.amdhsa_shared_vgpr_count 0
		.amdhsa_exception_fp_ieee_invalid_op 0
		.amdhsa_exception_fp_denorm_src 0
		.amdhsa_exception_fp_ieee_div_zero 0
		.amdhsa_exception_fp_ieee_overflow 0
		.amdhsa_exception_fp_ieee_underflow 0
		.amdhsa_exception_fp_ieee_inexact 0
		.amdhsa_exception_int_div_zero 0
	.end_amdhsa_kernel
	.section	.text._Z35paged_attention_ll4mi_reduce_kernelIDF16_DF16_Li64ELi64ELi256ELi13EEvPT0_PKfS3_PKT_PKiS8_iS3_,"axG",@progbits,_Z35paged_attention_ll4mi_reduce_kernelIDF16_DF16_Li64ELi64ELi256ELi13EEvPT0_PKfS3_PKT_PKiS8_iS3_,comdat
.Lfunc_end90:
	.size	_Z35paged_attention_ll4mi_reduce_kernelIDF16_DF16_Li64ELi64ELi256ELi13EEvPT0_PKfS3_PKT_PKiS8_iS3_, .Lfunc_end90-_Z35paged_attention_ll4mi_reduce_kernelIDF16_DF16_Li64ELi64ELi256ELi13EEvPT0_PKfS3_PKT_PKiS8_iS3_
                                        ; -- End function
	.section	.AMDGPU.csdata,"",@progbits
; Kernel info:
; codeLenInByte = 7544
; NumSgprs: 49
; NumVgprs: 68
; ScratchSize: 0
; MemoryBound: 0
; FloatMode: 240
; IeeeMode: 1
; LDSByteSize: 1668 bytes/workgroup (compile time only)
; SGPRBlocks: 6
; VGPRBlocks: 8
; NumSGPRsForWavesPerEU: 49
; NumVGPRsForWavesPerEU: 68
; Occupancy: 16
; WaveLimiterHint : 0
; COMPUTE_PGM_RSRC2:SCRATCH_EN: 0
; COMPUTE_PGM_RSRC2:USER_SGPR: 14
; COMPUTE_PGM_RSRC2:TRAP_HANDLER: 0
; COMPUTE_PGM_RSRC2:TGID_X_EN: 1
; COMPUTE_PGM_RSRC2:TGID_Y_EN: 1
; COMPUTE_PGM_RSRC2:TGID_Z_EN: 0
; COMPUTE_PGM_RSRC2:TIDIG_COMP_CNT: 0
	.section	.text._Z35paged_attention_ll4mi_reduce_kernelIDF16_DF16_Li64ELi64ELi256ELi14EEvPT0_PKfS3_PKT_PKiS8_iS3_,"axG",@progbits,_Z35paged_attention_ll4mi_reduce_kernelIDF16_DF16_Li64ELi64ELi256ELi14EEvPT0_PKfS3_PKT_PKiS8_iS3_,comdat
	.protected	_Z35paged_attention_ll4mi_reduce_kernelIDF16_DF16_Li64ELi64ELi256ELi14EEvPT0_PKfS3_PKT_PKiS8_iS3_ ; -- Begin function _Z35paged_attention_ll4mi_reduce_kernelIDF16_DF16_Li64ELi64ELi256ELi14EEvPT0_PKfS3_PKT_PKiS8_iS3_
	.globl	_Z35paged_attention_ll4mi_reduce_kernelIDF16_DF16_Li64ELi64ELi256ELi14EEvPT0_PKfS3_PKT_PKiS8_iS3_
	.p2align	8
	.type	_Z35paged_attention_ll4mi_reduce_kernelIDF16_DF16_Li64ELi64ELi256ELi14EEvPT0_PKfS3_PKT_PKiS8_iS3_,@function
_Z35paged_attention_ll4mi_reduce_kernelIDF16_DF16_Li64ELi64ELi256ELi14EEvPT0_PKfS3_PKT_PKiS8_iS3_: ; @_Z35paged_attention_ll4mi_reduce_kernelIDF16_DF16_Li64ELi64ELi256ELi14EEvPT0_PKfS3_PKT_PKiS8_iS3_
; %bb.0:
	s_load_b64 s[12:13], s[0:1], 0x28
	s_mov_b32 s2, s15
	s_waitcnt lgkmcnt(0)
	s_cmp_lg_u64 s[12:13], 0
	s_cselect_b32 s15, -1, 0
	s_delay_alu instid0(SALU_CYCLE_1)
	s_and_b32 vcc_lo, exec_lo, s15
	s_cbranch_vccz .LBB91_20
; %bb.1:
	s_add_i32 s4, s2, 1
	s_mov_b32 s5, 0
	s_delay_alu instid0(SALU_CYCLE_1) | instskip(SKIP_4) | instid1(SALU_CYCLE_1)
	s_lshl_b64 s[6:7], s[4:5], 2
	s_mov_b32 s3, s5
	s_add_u32 s6, s12, s6
	s_addc_u32 s7, s13, s7
	s_lshl_b64 s[8:9], s[2:3], 2
	s_add_u32 s8, s12, s8
	s_addc_u32 s9, s13, s9
	s_clause 0x1
	s_load_b32 s4, s[6:7], 0x0
	s_load_b32 s6, s[8:9], 0x0
	s_waitcnt lgkmcnt(0)
	s_sub_i32 s4, s4, s6
	s_delay_alu instid0(SALU_CYCLE_1)
	s_cmp_eq_u32 s4, 1
	s_cselect_b32 s4, -1, 0
	s_cbranch_execnz .LBB91_3
.LBB91_2:
	s_mov_b32 s3, 0
	s_mov_b32 s4, -1
.LBB91_3:
	s_delay_alu instid0(SALU_CYCLE_1)
	s_and_not1_b32 vcc_lo, exec_lo, s4
	s_cbranch_vccz .LBB91_5
; %bb.4:
	s_endpgm
.LBB91_5:
	s_clause 0x1
	s_load_b128 s[4:7], s[0:1], 0x18
	s_load_b32 s9, s[0:1], 0x30
	s_lshl_b64 s[16:17], s[2:3], 2
	s_waitcnt lgkmcnt(0)
	s_add_u32 s6, s6, s16
	s_addc_u32 s7, s7, s17
	s_load_b32 s23, s[6:7], 0x0
	s_load_b32 s33, s[0:1], 0x40
	s_mul_i32 s7, s2, s9
	s_waitcnt lgkmcnt(0)
	s_add_i32 s22, s23, 0xff
	s_delay_alu instid0(SALU_CYCLE_1) | instskip(NEXT) | instid1(SALU_CYCLE_1)
	s_ashr_i32 s6, s22, 31
	s_lshr_b32 s6, s6, 24
	s_delay_alu instid0(SALU_CYCLE_1) | instskip(SKIP_4) | instid1(SALU_CYCLE_1)
	s_add_i32 s8, s22, s6
	s_mul_i32 s6, s14, s9
	s_mov_b32 s9, exec_lo
	v_cmpx_lt_u32_e32 31, v0
	s_xor_b32 s9, exec_lo, s9
	s_or_saveexec_b32 s24, s9
	v_mov_b32_e32 v1, s6
	s_ashr_i32 s40, s8, 8
	s_mul_i32 s18, s7, s33
	s_xor_b32 exec_lo, exec_lo, s24
	s_cbranch_execz .LBB91_9
; %bb.6:
	v_or_b32_e32 v2, 32, v0
	v_cmp_gt_i32_e32 vcc_lo, s40, v0
	s_add_i32 s20, s40, -1
	v_or_b32_e32 v4, 64, v0
	v_or_b32_e32 v6, 0x80, v0
	s_load_b128 s[8:11], s[0:1], 0x8
	v_cndmask_b32_e32 v1, s20, v0, vcc_lo
	v_cmp_gt_i32_e32 vcc_lo, s40, v2
	s_mov_b32 s19, 0
	s_delay_alu instid0(SALU_CYCLE_1) | instskip(SKIP_4) | instid1(VALU_DEP_3)
	s_mov_b32 s7, s19
	v_cndmask_b32_e32 v3, s20, v2, vcc_lo
	v_or_b32_e32 v2, 0x60, v0
	v_cmp_gt_i32_e32 vcc_lo, s40, v4
	v_cndmask_b32_e32 v5, s20, v4, vcc_lo
	v_cmp_gt_i32_e32 vcc_lo, s40, v2
	v_or_b32_e32 v4, 0xa0, v0
	v_cndmask_b32_e32 v7, s20, v2, vcc_lo
	v_cmp_gt_i32_e32 vcc_lo, s40, v6
	v_or_b32_e32 v2, 0xc0, v0
	s_delay_alu instid0(VALU_DEP_3) | instskip(SKIP_3) | instid1(VALU_DEP_3)
	v_ashrrev_i32_e32 v8, 31, v7
	v_cndmask_b32_e32 v9, s20, v6, vcc_lo
	v_cmp_gt_i32_e32 vcc_lo, s40, v4
	v_or_b32_e32 v6, 0x100, v0
	v_ashrrev_i32_e32 v10, 31, v9
	v_cndmask_b32_e32 v11, s20, v4, vcc_lo
	v_or_b32_e32 v4, 0xe0, v0
	v_cmp_gt_i32_e32 vcc_lo, s40, v2
	s_delay_alu instid0(VALU_DEP_3) | instskip(SKIP_1) | instid1(VALU_DEP_4)
	v_ashrrev_i32_e32 v12, 31, v11
	v_cndmask_b32_e32 v13, s20, v2, vcc_lo
	v_cmp_gt_i32_e32 vcc_lo, s40, v4
	v_or_b32_e32 v2, 0x120, v0
	s_delay_alu instid0(VALU_DEP_3) | instskip(SKIP_3) | instid1(VALU_DEP_3)
	v_ashrrev_i32_e32 v14, 31, v13
	v_cndmask_b32_e32 v15, s20, v4, vcc_lo
	v_cmp_gt_i32_e32 vcc_lo, s40, v6
	v_or_b32_e32 v4, 0x140, v0
	v_ashrrev_i32_e32 v16, 31, v15
	v_cndmask_b32_e32 v17, s20, v6, vcc_lo
	v_cmp_gt_i32_e32 vcc_lo, s40, v2
	v_or_b32_e32 v6, 0x180, v0
	s_delay_alu instid0(VALU_DEP_3) | instskip(SKIP_3) | instid1(VALU_DEP_3)
	v_ashrrev_i32_e32 v18, 31, v17
	v_cndmask_b32_e32 v19, s20, v2, vcc_lo
	v_or_b32_e32 v2, 0x160, v0
	v_cmp_gt_i32_e32 vcc_lo, s40, v4
	v_ashrrev_i32_e32 v20, 31, v19
	v_cndmask_b32_e32 v21, s20, v4, vcc_lo
	s_delay_alu instid0(VALU_DEP_4) | instskip(SKIP_1) | instid1(VALU_DEP_3)
	v_cmp_gt_i32_e32 vcc_lo, s40, v2
	v_or_b32_e32 v4, 0x1a0, v0
	v_ashrrev_i32_e32 v22, 31, v21
	v_cndmask_b32_e32 v23, s20, v2, vcc_lo
	v_cmp_gt_i32_e32 vcc_lo, s40, v6
	v_ashrrev_i32_e32 v2, 31, v1
	s_delay_alu instid0(VALU_DEP_3) | instskip(SKIP_2) | instid1(VALU_DEP_4)
	v_ashrrev_i32_e32 v24, 31, v23
	v_cndmask_b32_e32 v25, s20, v6, vcc_lo
	v_cmp_gt_i32_e32 vcc_lo, s40, v4
	v_lshlrev_b64 v[29:30], 2, v[1:2]
	v_ashrrev_i32_e32 v6, 31, v5
	s_delay_alu instid0(VALU_DEP_4)
	v_ashrrev_i32_e32 v26, 31, v25
	v_cndmask_b32_e32 v27, s20, v4, vcc_lo
	v_ashrrev_i32_e32 v4, 31, v3
	s_lshl_b64 s[20:21], s[18:19], 2
	s_waitcnt lgkmcnt(0)
	s_add_u32 s19, s10, s20
	s_addc_u32 s25, s11, s21
	s_lshl_b64 s[10:11], s[6:7], 2
	v_lshlrev_b64 v[31:32], 2, v[3:4]
	s_add_u32 s7, s19, s10
	s_addc_u32 s19, s25, s11
	v_add_co_u32 v1, vcc_lo, s7, v29
	v_lshlrev_b64 v[4:5], 2, v[5:6]
	v_add_co_ci_u32_e32 v2, vcc_lo, s19, v30, vcc_lo
	v_add_co_u32 v33, vcc_lo, s7, v31
	v_lshlrev_b64 v[6:7], 2, v[7:8]
	v_add_co_ci_u32_e32 v34, vcc_lo, s19, v32, vcc_lo
	;; [unrolled: 3-line block ×6, first 2 shown]
	v_add_co_u32 v43, vcc_lo, s7, v12
	v_add_co_ci_u32_e32 v44, vcc_lo, s19, v13, vcc_lo
	s_delay_alu instid0(VALU_DEP_4)
	v_add_co_u32 v45, vcc_lo, s7, v14
	v_add_co_ci_u32_e32 v46, vcc_lo, s19, v15, vcc_lo
	s_clause 0x7
	global_load_b32 v47, v[1:2], off
	global_load_b32 v48, v[33:34], off
	;; [unrolled: 1-line block ×8, first 2 shown]
	v_lshlrev_b64 v[16:17], 2, v[17:18]
	v_lshlrev_b64 v[18:19], 2, v[19:20]
	;; [unrolled: 1-line block ×4, first 2 shown]
	v_ashrrev_i32_e32 v28, 31, v27
	v_lshlrev_b64 v[24:25], 2, v[25:26]
	v_add_co_u32 v1, vcc_lo, s7, v16
	v_add_co_ci_u32_e32 v2, vcc_lo, s19, v17, vcc_lo
	v_add_co_u32 v33, vcc_lo, s7, v18
	v_add_co_ci_u32_e32 v34, vcc_lo, s19, v19, vcc_lo
	;; [unrolled: 2-line block ×3, first 2 shown]
	v_add_co_u32 v37, vcc_lo, s7, v22
	v_lshlrev_b64 v[26:27], 2, v[27:28]
	v_add_co_ci_u32_e32 v38, vcc_lo, s19, v23, vcc_lo
	s_clause 0x3
	global_load_b32 v43, v[1:2], off
	global_load_b32 v44, v[33:34], off
	;; [unrolled: 1-line block ×4, first 2 shown]
	v_add_co_u32 v1, vcc_lo, s7, v24
	v_add_co_ci_u32_e32 v2, vcc_lo, s19, v25, vcc_lo
	v_add_co_u32 v33, vcc_lo, s7, v26
	v_add_co_ci_u32_e32 v34, vcc_lo, s19, v27, vcc_lo
	s_clause 0x1
	global_load_b32 v37, v[1:2], off
	global_load_b32 v33, v[33:34], off
	v_mbcnt_lo_u32_b32 v34, -1, 0
	s_add_u32 s7, s8, s20
	s_addc_u32 s8, s9, s21
	s_add_u32 s7, s7, s10
	s_addc_u32 s8, s8, s11
	v_xor_b32_e32 v3, 8, v34
	v_xor_b32_e32 v28, 4, v34
	s_waitcnt vmcnt(12)
	v_dual_max_f32 v2, v47, v47 :: v_dual_max_f32 v1, v48, v48
	s_delay_alu instid0(VALU_DEP_1) | instskip(SKIP_2) | instid1(VALU_DEP_2)
	v_max_f32_e32 v1, v2, v1
	v_xor_b32_e32 v2, 16, v34
	s_waitcnt vmcnt(10)
	v_max3_f32 v1, v1, v49, v50
	s_delay_alu instid0(VALU_DEP_2) | instskip(SKIP_1) | instid1(VALU_DEP_2)
	v_cmp_gt_i32_e32 vcc_lo, 32, v2
	s_waitcnt vmcnt(8)
	v_max3_f32 v1, v1, v39, v40
	v_cndmask_b32_e32 v2, v34, v2, vcc_lo
	v_cmp_gt_i32_e32 vcc_lo, 32, v3
	s_waitcnt vmcnt(6)
	s_delay_alu instid0(VALU_DEP_3) | instskip(NEXT) | instid1(VALU_DEP_3)
	v_max3_f32 v1, v1, v41, v42
	v_dual_cndmask_b32 v38, v34, v3 :: v_dual_lshlrev_b32 v3, 2, v2
	v_cmp_gt_i32_e32 vcc_lo, 32, v28
	s_waitcnt vmcnt(4)
	s_delay_alu instid0(VALU_DEP_3) | instskip(SKIP_2) | instid1(VALU_DEP_2)
	v_max3_f32 v1, v1, v43, v44
	v_cndmask_b32_e32 v28, v34, v28, vcc_lo
	s_waitcnt vmcnt(2)
	v_max3_f32 v45, v1, v35, v36
	v_lshlrev_b32_e32 v1, 2, v38
	s_delay_alu instid0(VALU_DEP_3)
	v_lshlrev_b32_e32 v2, 2, v28
	v_add_co_u32 v28, vcc_lo, s7, v29
	v_add_co_ci_u32_e32 v29, vcc_lo, s8, v30, vcc_lo
	v_add_co_u32 v30, vcc_lo, s7, v31
	s_waitcnt vmcnt(0)
	v_max3_f32 v38, v45, v37, v33
	v_add_co_ci_u32_e32 v31, vcc_lo, s8, v32, vcc_lo
	s_clause 0x1
	global_load_b32 v28, v[28:29], off
	global_load_b32 v29, v[30:31], off
	ds_bpermute_b32 v45, v3, v38
	v_add_co_u32 v4, vcc_lo, s7, v4
	v_add_co_ci_u32_e32 v5, vcc_lo, s8, v5, vcc_lo
	v_add_co_u32 v6, vcc_lo, s7, v6
	v_add_co_ci_u32_e32 v7, vcc_lo, s8, v7, vcc_lo
	;; [unrolled: 2-line block ×3, first 2 shown]
	global_load_b32 v31, v[4:5], off
	v_add_co_u32 v4, vcc_lo, s7, v10
	v_add_co_ci_u32_e32 v5, vcc_lo, s8, v11, vcc_lo
	global_load_b32 v11, v[6:7], off
	v_add_co_u32 v6, vcc_lo, s7, v12
	s_waitcnt lgkmcnt(0)
	v_max_f32_e32 v30, v45, v45
	v_add_co_ci_u32_e32 v7, vcc_lo, s8, v13, vcc_lo
	global_load_b32 v12, v[8:9], off
	v_add_co_u32 v8, vcc_lo, s7, v14
	v_max_f32_e32 v30, v38, v30
	s_clause 0x1
	global_load_b32 v13, v[4:5], off
	global_load_b32 v14, v[6:7], off
	v_add_co_ci_u32_e32 v9, vcc_lo, s8, v15, vcc_lo
	ds_bpermute_b32 v10, v1, v30
	v_add_co_u32 v15, vcc_lo, s7, v16
	v_add_co_ci_u32_e32 v16, vcc_lo, s8, v17, vcc_lo
	v_add_co_u32 v6, vcc_lo, s7, v18
	v_add_co_ci_u32_e32 v7, vcc_lo, s8, v19, vcc_lo
	global_load_b32 v4, v[8:9], off
	v_add_co_u32 v8, vcc_lo, s7, v20
	v_add_co_ci_u32_e32 v9, vcc_lo, s8, v21, vcc_lo
	v_xor_b32_e32 v18, 2, v34
	s_waitcnt lgkmcnt(0)
	v_max_f32_e32 v5, v10, v10
	s_delay_alu instid0(VALU_DEP_1)
	v_max_f32_e32 v17, v30, v5
	s_clause 0x2
	global_load_b32 v5, v[15:16], off
	global_load_b32 v6, v[6:7], off
	;; [unrolled: 1-line block ×3, first 2 shown]
	v_add_co_u32 v8, vcc_lo, s7, v22
	v_add_co_ci_u32_e32 v9, vcc_lo, s8, v23, vcc_lo
	ds_bpermute_b32 v10, v2, v17
	global_load_b32 v16, v[8:9], off
	v_add_co_u32 v8, vcc_lo, s7, v24
	v_add_co_ci_u32_e32 v9, vcc_lo, s8, v25, vcc_lo
	v_cmp_gt_i32_e32 vcc_lo, 32, v18
	global_load_b32 v15, v[8:9], off
	v_cndmask_b32_e32 v8, v34, v18, vcc_lo
	v_add_co_u32 v9, vcc_lo, s7, v26
	s_mov_b32 s7, exec_lo
	s_delay_alu instid0(VALU_DEP_2) | instskip(SKIP_3) | instid1(VALU_DEP_2)
	v_lshlrev_b32_e32 v8, 2, v8
	s_waitcnt lgkmcnt(0)
	v_max_f32_e32 v18, v10, v10
	v_add_co_ci_u32_e32 v10, vcc_lo, s8, v27, vcc_lo
	v_max_f32_e32 v17, v17, v18
	global_load_b32 v9, v[9:10], off
	v_xor_b32_e32 v18, 1, v34
	ds_bpermute_b32 v10, v8, v17
	v_cmp_gt_i32_e32 vcc_lo, 32, v18
	v_cndmask_b32_e32 v18, v34, v18, vcc_lo
	s_waitcnt lgkmcnt(0)
	v_max_f32_e32 v19, v10, v10
	s_delay_alu instid0(VALU_DEP_1) | instskip(SKIP_3) | instid1(VALU_DEP_1)
	v_dual_max_f32 v17, v17, v19 :: v_dual_lshlrev_b32 v10, 2, v18
	ds_bpermute_b32 v18, v10, v17
	s_waitcnt lgkmcnt(0)
	v_max_f32_e32 v18, v18, v18
	v_max_f32_e32 v17, v17, v18
	v_sub_nc_u32_e32 v18, s40, v0
	s_delay_alu instid0(VALU_DEP_2) | instskip(NEXT) | instid1(VALU_DEP_1)
	v_sub_f32_e32 v22, v50, v17
	v_mul_f32_e32 v38, 0x3fb8aa3b, v22
	s_delay_alu instid0(VALU_DEP_1) | instskip(SKIP_1) | instid1(VALU_DEP_2)
	v_rndne_f32_e32 v56, v38
	v_fma_f32 v55, 0x3fb8aa3b, v22, -v38
	v_sub_f32_e32 v38, v38, v56
	v_sub_f32_e32 v26, v42, v17
	;; [unrolled: 1-line block ×6, first 2 shown]
	v_mul_f32_e32 v42, 0x3fb8aa3b, v26
	v_mul_f32_e32 v46, 0x3fb8aa3b, v34
	v_sub_f32_e32 v30, v44, v17
	v_sub_f32_e32 v23, v39, v17
	;; [unrolled: 1-line block ×3, first 2 shown]
	v_rndne_f32_e32 v64, v42
	v_sub_f32_e32 v35, v37, v17
	v_fma_f32 v71, 0x3fb8aa3b, v34, -v46
	v_rndne_f32_e32 v72, v46
	v_dual_mul_f32 v37, 0x3fb8aa3b, v21 :: v_dual_mul_f32 v44, 0x3fb8aa3b, v30
	v_sub_f32_e32 v19, v47, v17
	s_delay_alu instid0(VALU_DEP_3) | instskip(NEXT) | instid1(VALU_DEP_3)
	v_dual_fmac_f32 v71, 0x32a5705f, v34 :: v_dual_sub_f32 v46, v46, v72
	v_rndne_f32_e32 v54, v37
	v_fma_f32 v53, 0x3fb8aa3b, v21, -v37
	v_mul_f32_e32 v40, 0x3fb8aa3b, v24
	v_rndne_f32_e32 v68, v44
	s_delay_alu instid0(VALU_DEP_4) | instskip(SKIP_1) | instid1(VALU_DEP_4)
	v_dual_add_f32 v46, v46, v71 :: v_dual_sub_f32 v37, v37, v54
	v_sub_f32_e32 v20, v48, v17
	v_fma_f32 v59, 0x3fb8aa3b, v24, -v40
	v_rndne_f32_e32 v60, v40
	s_delay_alu instid0(VALU_DEP_4)
	v_exp_f32_e32 v46, v46
	v_sub_f32_e32 v27, v43, v17
	v_sub_f32_e32 v17, v33, v17
	v_fma_f32 v67, 0x3fb8aa3b, v30, -v44
	v_dual_sub_f32 v44, v44, v68 :: v_dual_mul_f32 v33, 0x3fb8aa3b, v19
	v_cvt_i32_f32_e32 v72, v72
	s_delay_alu instid0(VALU_DEP_4)
	v_mul_f32_e32 v48, 0x3fb8aa3b, v17
	v_sub_f32_e32 v40, v40, v60
	v_mul_f32_e32 v36, 0x3fb8aa3b, v20
	v_rndne_f32_e32 v50, v33
	v_ldexp_f32 v46, v46, v72
	v_fmac_f32_e32 v59, 0x32a5705f, v24
	v_fma_f32 v49, 0x3fb8aa3b, v19, -v33
	v_fma_f32 v63, 0x3fb8aa3b, v26, -v42
	v_sub_f32_e32 v33, v33, v50
	v_cvt_i32_f32_e32 v60, v60
	v_add_f32_e32 v40, v40, v59
	v_fma_f32 v51, 0x3fb8aa3b, v20, -v36
	v_rndne_f32_e32 v52, v36
	v_dual_fmac_f32 v63, 0x32a5705f, v26 :: v_dual_sub_f32 v42, v42, v64
	s_delay_alu instid0(VALU_DEP_4) | instskip(SKIP_4) | instid1(VALU_DEP_4)
	v_exp_f32_e32 v40, v40
	v_fmac_f32_e32 v67, 0x32a5705f, v30
	v_fmac_f32_e32 v51, 0x32a5705f, v20
	v_sub_f32_e32 v36, v36, v52
	v_dual_add_f32 v42, v42, v63 :: v_dual_fmac_f32 v53, 0x32a5705f, v21
	v_dual_add_f32 v44, v44, v67 :: v_dual_mul_f32 v41, 0x3fb8aa3b, v25
	s_delay_alu instid0(VALU_DEP_3) | instskip(SKIP_1) | instid1(TRANS32_DEP_1)
	v_add_f32_e32 v36, v36, v51
	v_fma_f32 v75, 0x3fb8aa3b, v17, -v48
	v_ldexp_f32 v40, v40, v60
	v_fmac_f32_e32 v49, 0x32a5705f, v19
	v_rndne_f32_e32 v76, v48
	v_mul_f32_e32 v39, 0x3fb8aa3b, v23
	v_exp_f32_e32 v42, v42
	v_exp_f32_e32 v44, v44
	v_add_f32_e32 v33, v33, v49
	v_cvt_i32_f32_e32 v50, v50
	v_cvt_i32_f32_e32 v64, v64
	;; [unrolled: 1-line block ×3, first 2 shown]
	v_fmac_f32_e32 v75, 0x32a5705f, v17
	v_exp_f32_e32 v33, v33
	v_sub_f32_e32 v48, v48, v76
	v_fma_f32 v57, 0x3fb8aa3b, v23, -v39
	v_rndne_f32_e32 v58, v39
	v_fmac_f32_e32 v55, 0x32a5705f, v22
	v_add_f32_e32 v37, v37, v53
	v_exp_f32_e32 v36, v36
	v_cvt_i32_f32_e32 v52, v52
	v_dual_add_f32 v48, v48, v75 :: v_dual_mul_f32 v45, 0x3fb8aa3b, v32
	v_add_f32_e32 v38, v38, v55
	v_exp_f32_e32 v37, v37
	v_ldexp_f32 v33, v33, v50
	v_ldexp_f32 v42, v42, v64
	v_fmac_f32_e32 v57, 0x32a5705f, v23
	v_ldexp_f32 v44, v44, v68
	v_sub_f32_e32 v39, v39, v58
	v_cmp_ngt_f32_e32 vcc_lo, 0xc2ce8ed0, v19
	v_cvt_i32_f32_e32 v54, v54
	v_exp_f32_e32 v38, v38
	v_ldexp_f32 v36, v36, v52
	v_add_f32_e32 v39, v39, v57
	v_cndmask_b32_e32 v33, 0, v33, vcc_lo
	v_cmp_ngt_f32_e32 vcc_lo, 0xc2ce8ed0, v20
	v_mul_f32_e32 v43, 0x3fb8aa3b, v27
	v_cvt_i32_f32_e32 v56, v56
	v_exp_f32_e32 v39, v39
	v_ldexp_f32 v37, v37, v54
	v_cndmask_b32_e32 v36, 0, v36, vcc_lo
	v_cmp_ngt_f32_e32 vcc_lo, 0xc2ce8ed0, v21
	v_fma_f32 v61, 0x3fb8aa3b, v25, -v41
	v_rndne_f32_e32 v62, v41
	v_cvt_i32_f32_e32 v58, v58
	v_ldexp_f32 v38, v38, v56
	v_cndmask_b32_e32 v37, 0, v37, vcc_lo
	v_cmp_ngt_f32_e32 vcc_lo, 0xc2ce8ed0, v22
	v_mul_f32_e32 v47, 0x3fb8aa3b, v35
	v_fmac_f32_e32 v61, 0x32a5705f, v25
	v_sub_f32_e32 v41, v41, v62
	v_ldexp_f32 v39, v39, v58
	v_cndmask_b32_e32 v38, 0, v38, vcc_lo
	v_cmp_ngt_f32_e32 vcc_lo, 0xc2ce8ed0, v23
	v_fma_f32 v65, 0x3fb8aa3b, v27, -v43
	v_rndne_f32_e32 v66, v43
	v_add_f32_e32 v41, v41, v61
	v_cvt_i32_f32_e32 v62, v62
	v_cndmask_b32_e32 v39, 0, v39, vcc_lo
	v_cmp_ngt_f32_e32 vcc_lo, 0xc2ce8ed0, v24
	v_fmac_f32_e32 v65, 0x32a5705f, v27
	v_exp_f32_e32 v41, v41
	v_fma_f32 v69, 0x3fb8aa3b, v32, -v45
	v_rndne_f32_e32 v70, v45
	v_dual_cndmask_b32 v40, 0, v40 :: v_dual_sub_f32 v43, v43, v66
	v_cmp_ngt_f32_e32 vcc_lo, 0xc2ce8ed0, v25
	v_cvt_i32_f32_e32 v66, v66
	v_fmac_f32_e32 v69, 0x32a5705f, v32
	v_rndne_f32_e32 v74, v47
	v_add_f32_e32 v43, v43, v65
	s_delay_alu instid0(TRANS32_DEP_1) | instskip(SKIP_2) | instid1(VALU_DEP_3)
	v_ldexp_f32 v41, v41, v62
	v_fma_f32 v73, 0x3fb8aa3b, v35, -v47
	v_exp_f32_e32 v48, v48
	v_exp_f32_e32 v43, v43
	s_delay_alu instid0(VALU_DEP_2)
	v_cndmask_b32_e32 v41, 0, v41, vcc_lo
	v_cmp_ngt_f32_e32 vcc_lo, 0xc2ce8ed0, v26
	v_cndmask_b32_e32 v42, 0, v42, vcc_lo
	v_cmp_ngt_f32_e32 vcc_lo, 0xc2ce8ed0, v27
	s_waitcnt_depctr 0xfff
	v_ldexp_f32 v43, v43, v66
	s_delay_alu instid0(VALU_DEP_1) | instskip(SKIP_4) | instid1(VALU_DEP_3)
	v_cndmask_b32_e32 v43, 0, v43, vcc_lo
	v_cmp_ngt_f32_e32 vcc_lo, 0xc2ce8ed0, v30
	v_dual_cndmask_b32 v44, 0, v44 :: v_dual_sub_f32 v45, v45, v70
	v_cvt_i32_f32_e32 v70, v70
	v_cmp_ngt_f32_e32 vcc_lo, 0xc2ce8ed0, v32
	v_add_f32_e32 v45, v45, v69
	s_delay_alu instid0(VALU_DEP_1) | instskip(SKIP_2) | instid1(VALU_DEP_1)
	v_exp_f32_e32 v45, v45
	s_waitcnt_depctr 0xfff
	v_ldexp_f32 v45, v45, v70
	v_cndmask_b32_e32 v45, 0, v45, vcc_lo
	v_cmp_ngt_f32_e32 vcc_lo, 0xc2ce8ed0, v34
	v_cndmask_b32_e32 v46, 0, v46, vcc_lo
	v_cmp_nlt_f32_e32 vcc_lo, 0x42b17218, v19
	v_cndmask_b32_e32 v19, 0x7f800000, v33, vcc_lo
	v_cmp_nlt_f32_e32 vcc_lo, 0x42b17218, v20
	;; [unrolled: 2-line block ×6, first 2 shown]
	v_cndmask_b32_e32 v24, 0x7f800000, v40, vcc_lo
	v_cmp_lt_i32_e32 vcc_lo, 0, v18
	v_cndmask_b32_e32 v19, 0, v19, vcc_lo
	v_cmp_lt_i32_e32 vcc_lo, 32, v18
	s_waitcnt vmcnt(13)
	s_delay_alu instid0(VALU_DEP_2) | instskip(SKIP_2) | instid1(VALU_DEP_2)
	v_dual_mul_f32 v19, v28, v19 :: v_dual_cndmask_b32 v20, 0, v20
	v_cmp_nlt_f32_e32 vcc_lo, 0x42b17218, v25
	s_waitcnt vmcnt(12)
	v_dual_mul_f32 v20, v29, v20 :: v_dual_cndmask_b32 v25, 0x7f800000, v41
	v_cmp_lt_i32_e32 vcc_lo, 64, v18
	s_delay_alu instid0(VALU_DEP_2) | instskip(SKIP_2) | instid1(VALU_DEP_2)
	v_dual_add_f32 v28, v19, v20 :: v_dual_cndmask_b32 v21, 0, v21
	v_cmp_nlt_f32_e32 vcc_lo, 0x42b17218, v26
	s_waitcnt vmcnt(11)
	v_dual_mul_f32 v21, v31, v21 :: v_dual_cndmask_b32 v26, 0x7f800000, v42
	v_cmp_lt_i32_e32 vcc_lo, 0x60, v18
	v_cndmask_b32_e32 v22, 0, v22, vcc_lo
	v_cmp_nlt_f32_e32 vcc_lo, 0x42b17218, v27
	s_waitcnt vmcnt(10)
	s_delay_alu instid0(VALU_DEP_2) | instskip(SKIP_4) | instid1(VALU_DEP_2)
	v_mul_f32_e32 v11, v11, v22
	v_cndmask_b32_e32 v27, 0x7f800000, v43, vcc_lo
	v_cmp_lt_i32_e32 vcc_lo, 0x80, v18
	v_dual_add_f32 v22, v28, v21 :: v_dual_cndmask_b32 v23, 0, v23
	v_cmp_nlt_f32_e32 vcc_lo, 0x42b17218, v30
	v_dual_sub_f32 v47, v47, v74 :: v_dual_add_f32 v22, v22, v11
	v_cvt_i32_f32_e32 v74, v74
	s_waitcnt vmcnt(9)
	v_mul_f32_e32 v12, v12, v23
	v_cndmask_b32_e32 v28, 0x7f800000, v44, vcc_lo
	v_cmp_lt_i32_e32 vcc_lo, 0xa0, v18
	s_delay_alu instid0(VALU_DEP_3) | instskip(SKIP_3) | instid1(VALU_DEP_2)
	v_dual_fmac_f32 v73, 0x32a5705f, v35 :: v_dual_add_f32 v22, v22, v12
	v_cndmask_b32_e32 v24, 0, v24, vcc_lo
	v_cmp_nlt_f32_e32 vcc_lo, 0x42b17218, v32
	s_waitcnt vmcnt(8)
	v_mul_f32_e32 v13, v13, v24
	v_cndmask_b32_e32 v23, 0x7f800000, v45, vcc_lo
	v_cmp_lt_i32_e32 vcc_lo, 0xc0, v18
	s_delay_alu instid0(VALU_DEP_3) | instskip(SKIP_3) | instid1(VALU_DEP_2)
	v_add_f32_e32 v22, v22, v13
	v_cndmask_b32_e32 v25, 0, v25, vcc_lo
	v_cmp_lt_i32_e32 vcc_lo, 0xe0, v18
	s_waitcnt vmcnt(7)
	v_mul_f32_e32 v14, v14, v25
	v_cndmask_b32_e32 v24, 0, v26, vcc_lo
	v_cmp_lt_i32_e32 vcc_lo, 0x100, v18
	s_delay_alu instid0(VALU_DEP_3) | instskip(SKIP_1) | instid1(VALU_DEP_3)
	v_add_f32_e32 v22, v22, v14
	s_waitcnt vmcnt(6)
	v_mul_f32_e32 v4, v4, v24
	v_cndmask_b32_e32 v26, 0, v27, vcc_lo
	v_cmp_lt_i32_e32 vcc_lo, 0x120, v18
	s_waitcnt vmcnt(5)
	s_delay_alu instid0(VALU_DEP_2) | instskip(SKIP_2) | instid1(VALU_DEP_3)
	v_dual_add_f32 v22, v22, v4 :: v_dual_mul_f32 v5, v5, v26
	v_cndmask_b32_e32 v25, 0, v28, vcc_lo
	v_cmp_lt_i32_e32 vcc_lo, 0x140, v18
	v_add_f32_e32 v22, v22, v5
	s_waitcnt vmcnt(4)
	s_delay_alu instid0(VALU_DEP_3)
	v_dual_mul_f32 v6, v6, v25 :: v_dual_cndmask_b32 v23, 0, v23
	v_cmp_nlt_f32_e32 vcc_lo, 0x42b17218, v34
	v_add_f32_e32 v47, v47, v73
	v_cvt_i32_f32_e32 v25, v76
	s_waitcnt vmcnt(3)
	v_dual_add_f32 v22, v22, v6 :: v_dual_mul_f32 v7, v7, v23
	v_cndmask_b32_e32 v24, 0x7f800000, v46, vcc_lo
	v_exp_f32_e32 v47, v47
	v_cmp_ngt_f32_e32 vcc_lo, 0xc2ce8ed0, v35
	s_delay_alu instid0(VALU_DEP_3) | instskip(SKIP_2) | instid1(VALU_DEP_1)
	v_add_f32_e32 v22, v22, v7
	s_waitcnt_depctr 0xfff
	v_ldexp_f32 v47, v47, v74
	v_cndmask_b32_e32 v23, 0, v47, vcc_lo
	v_cmp_lt_i32_e32 vcc_lo, 0x160, v18
	v_cndmask_b32_e32 v24, 0, v24, vcc_lo
	v_cmp_nlt_f32_e32 vcc_lo, 0x42b17218, v35
	s_waitcnt vmcnt(2)
	s_delay_alu instid0(VALU_DEP_2) | instskip(SKIP_2) | instid1(VALU_DEP_3)
	v_dual_mul_f32 v16, v16, v24 :: v_dual_cndmask_b32 v23, 0x7f800000, v23
	v_cmp_lt_i32_e32 vcc_lo, 0x180, v18
	v_ldexp_f32 v24, v48, v25
	v_dual_add_f32 v22, v22, v16 :: v_dual_cndmask_b32 v23, 0, v23
	v_cmp_ngt_f32_e32 vcc_lo, 0xc2ce8ed0, v17
	s_waitcnt vmcnt(1)
	s_delay_alu instid0(VALU_DEP_2) | instskip(SKIP_1) | instid1(VALU_DEP_2)
	v_dual_mul_f32 v15, v15, v23 :: v_dual_cndmask_b32 v24, 0, v24
	v_cmp_nlt_f32_e32 vcc_lo, 0x42b17218, v17
	v_cndmask_b32_e32 v17, 0x7f800000, v24, vcc_lo
	v_cmp_lt_i32_e32 vcc_lo, 0x1a0, v18
	s_delay_alu instid0(VALU_DEP_2) | instskip(SKIP_1) | instid1(VALU_DEP_1)
	v_dual_add_f32 v18, v22, v15 :: v_dual_cndmask_b32 v17, 0, v17
	s_waitcnt vmcnt(0)
	v_fmac_f32_e32 v18, v9, v17
	ds_bpermute_b32 v3, v3, v18
	s_waitcnt lgkmcnt(0)
	v_add_f32_e32 v3, v18, v3
	ds_bpermute_b32 v1, v1, v3
	s_waitcnt lgkmcnt(0)
	v_add_f32_e32 v1, v3, v1
	v_lshlrev_b32_e32 v3, 2, v0
	ds_bpermute_b32 v2, v2, v1
	ds_store_2addr_b32 v3, v19, v20 offset1:32
	s_waitcnt lgkmcnt(1)
	v_add_f32_e32 v1, v1, v2
	ds_bpermute_b32 v2, v8, v1
	v_dual_mul_f32 v8, v9, v17 :: v_dual_add_nc_u32 v9, 0x400, v3
	ds_store_2addr_b32 v3, v21, v11 offset0:64 offset1:96
	ds_store_2addr_b32 v3, v12, v13 offset0:128 offset1:160
	ds_store_2addr_b32 v3, v14, v4 offset0:192 offset1:224
	ds_store_2addr_b32 v9, v5, v6 offset1:32
	ds_store_2addr_b32 v9, v7, v16 offset0:64 offset1:96
	ds_store_2addr_b32 v9, v15, v8 offset0:128 offset1:160
	s_waitcnt lgkmcnt(6)
	v_add_f32_e32 v1, v1, v2
	ds_bpermute_b32 v2, v10, v1
	v_cmpx_eq_u32_e32 0, v0
	s_cbranch_execz .LBB91_8
; %bb.7:
	s_waitcnt lgkmcnt(0)
	v_dual_add_f32 v1, v1, v2 :: v_dual_mov_b32 v2, 0
	ds_store_b32 v2, v1 offset:1792
.LBB91_8:
	s_or_b32 exec_lo, exec_lo, s7
	v_mov_b32_e32 v1, s6
.LBB91_9:
	s_or_b32 exec_lo, exec_lo, s24
	s_lshl_b32 s6, s18, 6
	s_mov_b32 s7, 0
	s_waitcnt lgkmcnt(0)
	v_dual_mov_b32 v2, 0 :: v_dual_lshlrev_b32 v1, 6, v1
	s_lshl_b64 s[6:7], s[6:7], 1
	v_lshlrev_b32_e32 v0, 1, v0
	s_add_u32 s34, s4, s6
	s_addc_u32 s35, s5, s7
	s_lshl_b32 s41, s40, 6
	v_lshlrev_b64 v[3:4], 1, v[1:2]
	s_sub_i32 s42, s41, 64
	s_cmpk_lt_i32 s22, 0x100
	v_dual_mov_b32 v30, 0 :: v_dual_mov_b32 v33, 0
	s_cselect_b32 s4, s42, 0
	s_delay_alu instid0(VALU_DEP_2)
	v_add_co_u32 v1, vcc_lo, s34, v3
	s_ashr_i32 s5, s4, 31
	v_add_co_ci_u32_e32 v3, vcc_lo, s35, v4, vcc_lo
	s_lshl_b64 s[4:5], s[4:5], 1
	s_cmpk_lt_i32 s22, 0x200
	v_add_co_u32 v1, vcc_lo, v1, v0
	s_cselect_b32 s6, s42, 64
	v_add_co_ci_u32_e32 v3, vcc_lo, 0, v3, vcc_lo
	s_ashr_i32 s7, s6, 31
	s_delay_alu instid0(VALU_DEP_2)
	v_add_co_u32 v4, vcc_lo, v1, s4
	s_lshl_b64 s[6:7], s[6:7], 1
	s_cmpk_lt_i32 s22, 0x300
	v_add_co_ci_u32_e32 v5, vcc_lo, s5, v3, vcc_lo
	s_cselect_b32 s8, s42, 0x80
	v_add_co_u32 v8, vcc_lo, v1, s6
	s_ashr_i32 s9, s8, 31
	v_add_co_ci_u32_e32 v9, vcc_lo, s7, v3, vcc_lo
	s_lshl_b64 s[8:9], s[8:9], 1
	s_cmpk_lt_i32 s22, 0x400
	v_add_co_u32 v10, vcc_lo, v1, s8
	s_cselect_b32 s10, s42, 0xc0
	v_add_co_ci_u32_e32 v11, vcc_lo, s9, v3, vcc_lo
	s_ashr_i32 s11, s10, 31
	v_dual_mov_b32 v32, 0 :: v_dual_mov_b32 v35, 0
	s_lshl_b64 s[10:11], s[10:11], 1
	s_cmpk_lt_i32 s22, 0x500
	v_add_co_u32 v12, vcc_lo, v1, s10
	s_cselect_b32 s18, s42, 0x100
	v_add_co_ci_u32_e32 v13, vcc_lo, s11, v3, vcc_lo
	s_ashr_i32 s19, s18, 31
	v_mov_b32_e32 v34, 0
	s_lshl_b64 s[18:19], s[18:19], 1
	s_cmpk_lt_i32 s22, 0x600
	v_add_co_u32 v14, vcc_lo, v1, s18
	s_cselect_b32 s20, s42, 0x140
	v_add_co_ci_u32_e32 v15, vcc_lo, s19, v3, vcc_lo
	s_ashr_i32 s21, s20, 31
	v_mov_b32_e32 v29, 0
	;; [unrolled: 7-line block ×3, first 2 shown]
	s_lshl_b64 s[24:25], s[24:25], 1
	s_cmpk_lt_i32 s22, 0x800
	v_add_co_u32 v18, vcc_lo, v1, s24
	s_cselect_b32 s26, s42, 0x1c0
	v_add_co_ci_u32_e32 v19, vcc_lo, s25, v3, vcc_lo
	s_ashr_i32 s27, s26, 31
	s_delay_alu instid0(SALU_CYCLE_1)
	s_lshl_b64 s[26:27], s[26:27], 1
	s_cmpk_lt_i32 s22, 0x900
	v_add_co_u32 v20, vcc_lo, v1, s26
	s_cselect_b32 s28, s42, 0x200
	v_add_co_ci_u32_e32 v21, vcc_lo, s27, v3, vcc_lo
	s_ashr_i32 s29, s28, 31
	s_clause 0x7
	global_load_u16 v7, v[4:5], off
	global_load_u16 v8, v[8:9], off
	;; [unrolled: 1-line block ×8, first 2 shown]
	s_lshl_b64 s[28:29], s[28:29], 1
	s_cmpk_lt_i32 s22, 0xa00
	v_add_co_u32 v12, vcc_lo, v1, s28
	s_cselect_b32 s30, s42, 0x240
	v_add_co_ci_u32_e32 v13, vcc_lo, s29, v3, vcc_lo
	s_ashr_i32 s31, s30, 31
	s_delay_alu instid0(SALU_CYCLE_1)
	s_lshl_b64 s[30:31], s[30:31], 1
	s_cmpk_lt_i32 s22, 0xb00
	v_add_co_u32 v15, vcc_lo, v1, s30
	s_cselect_b32 s34, s42, 0x280
	v_add_co_ci_u32_e32 v16, vcc_lo, s31, v3, vcc_lo
	s_ashr_i32 s35, s34, 31
	s_delay_alu instid0(SALU_CYCLE_1)
	;; [unrolled: 7-line block ×7, first 2 shown]
	s_lshl_b64 s[4:5], s[6:7], 1
	s_cmpk_gt_i32 s23, 0x1000
	v_add_co_u32 v27, vcc_lo, v1, s4
	v_add_co_ci_u32_e32 v28, vcc_lo, s5, v3, vcc_lo
	s_clause 0x7
	global_load_u16 v14, v[12:13], off
	global_load_u16 v15, v[15:16], off
	;; [unrolled: 1-line block ×8, first 2 shown]
	v_dual_mov_b32 v20, 0 :: v_dual_mov_b32 v23, 0
	v_dual_mov_b32 v21, 0 :: v_dual_mov_b32 v22, 0
	;; [unrolled: 1-line block ×4, first 2 shown]
	v_mov_b32_e32 v28, 0
	s_cselect_b32 s8, -1, 0
	s_cmpk_lt_i32 s23, 0x1001
	s_waitcnt vmcnt(0)
	s_barrier
	buffer_gl0_inv
	s_cbranch_scc1 .LBB91_11
; %bb.10:
	s_cmpk_lt_i32 s22, 0x1100
	s_cselect_b32 s4, s42, 0x400
	s_delay_alu instid0(SALU_CYCLE_1) | instskip(NEXT) | instid1(SALU_CYCLE_1)
	s_ashr_i32 s5, s4, 31
	s_lshl_b64 s[4:5], s[4:5], 1
	s_cmpk_lt_i32 s22, 0x1200
	v_add_co_u32 v20, vcc_lo, v1, s4
	s_cselect_b32 s6, s42, 0x440
	v_add_co_ci_u32_e32 v21, vcc_lo, s5, v3, vcc_lo
	s_ashr_i32 s7, s6, 31
	s_delay_alu instid0(SALU_CYCLE_1)
	s_lshl_b64 s[6:7], s[6:7], 1
	s_cmpk_lt_i32 s22, 0x1300
	v_add_co_u32 v22, vcc_lo, v1, s6
	s_cselect_b32 s10, s42, 0x480
	v_add_co_ci_u32_e32 v23, vcc_lo, s7, v3, vcc_lo
	s_ashr_i32 s11, s10, 31
	s_delay_alu instid0(SALU_CYCLE_1)
	;; [unrolled: 7-line block ×7, first 2 shown]
	s_lshl_b64 s[28:29], s[28:29], 1
	s_cmpk_lt_i32 s22, 0x1900
	v_add_co_u32 v34, vcc_lo, v1, s28
	s_cselect_b32 s30, s42, 0x600
	v_add_co_ci_u32_e32 v35, vcc_lo, s29, v3, vcc_lo
	s_ashr_i32 s31, s30, 31
	s_clause 0x7
	global_load_u16 v36, v[20:21], off
	global_load_u16 v37, v[22:23], off
	;; [unrolled: 1-line block ×8, first 2 shown]
	s_lshl_b64 s[30:31], s[30:31], 1
	s_cmpk_lt_i32 s22, 0x1a00
	v_add_co_u32 v20, vcc_lo, v1, s30
	s_cselect_b32 s34, s42, 0x640
	v_add_co_ci_u32_e32 v21, vcc_lo, s31, v3, vcc_lo
	s_ashr_i32 s35, s34, 31
	s_delay_alu instid0(SALU_CYCLE_1)
	s_lshl_b64 s[34:35], s[34:35], 1
	s_cmpk_lt_i32 s22, 0x1b00
	v_add_co_u32 v22, vcc_lo, v1, s34
	s_cselect_b32 s36, s42, 0x680
	v_add_co_ci_u32_e32 v23, vcc_lo, s35, v3, vcc_lo
	s_ashr_i32 s37, s36, 31
	s_delay_alu instid0(SALU_CYCLE_1)
	;; [unrolled: 7-line block ×6, first 2 shown]
	s_lshl_b64 s[4:5], s[20:21], 1
	s_cmpk_lt_i32 s22, 0x2000
	v_add_co_u32 v32, vcc_lo, v1, s4
	s_cselect_b32 s6, s42, 0x7c0
	v_add_co_ci_u32_e32 v33, vcc_lo, s5, v3, vcc_lo
	s_ashr_i32 s7, s6, 31
	s_delay_alu instid0(SALU_CYCLE_1) | instskip(NEXT) | instid1(SALU_CYCLE_1)
	s_lshl_b64 s[4:5], s[6:7], 1
	v_add_co_u32 v34, vcc_lo, v1, s4
	v_add_co_ci_u32_e32 v35, vcc_lo, s5, v3, vcc_lo
	s_clause 0x7
	global_load_u16 v20, v[20:21], off
	global_load_u16 v21, v[22:23], off
	;; [unrolled: 1-line block ×8, first 2 shown]
	s_waitcnt vmcnt(15)
	v_cvt_f32_f16_e32 v35, v36
	s_waitcnt vmcnt(14)
	v_cvt_f32_f16_e32 v34, v37
	;; [unrolled: 2-line block ×16, first 2 shown]
.LBB91_11:
	ds_load_b128 v[36:39], v2
	ds_load_b128 v[40:43], v2 offset:16
	s_load_b64 s[0:1], s[0:1], 0x0
	s_and_b32 vcc_lo, exec_lo, s8
	s_waitcnt lgkmcnt(0)
	v_fma_mix_f32 v7, v36, v7, 0 op_sel_hi:[0,1,0]
	s_delay_alu instid0(VALU_DEP_1) | instskip(NEXT) | instid1(VALU_DEP_1)
	v_fma_mix_f32 v7, v37, v8, v7 op_sel_hi:[0,1,0]
	v_fma_mix_f32 v7, v38, v9, v7 op_sel_hi:[0,1,0]
	s_delay_alu instid0(VALU_DEP_1) | instskip(SKIP_4) | instid1(VALU_DEP_1)
	v_fma_mix_f32 v7, v39, v10, v7 op_sel_hi:[0,1,0]
	ds_load_b128 v[36:39], v2 offset:48
	v_fma_mix_f32 v11, v40, v11, v7 op_sel_hi:[0,1,0]
	ds_load_b128 v[7:10], v2 offset:32
	v_fma_mix_f32 v4, v41, v4, v11 op_sel_hi:[0,1,0]
	v_fma_mix_f32 v4, v42, v5, v4 op_sel_hi:[0,1,0]
	s_delay_alu instid0(VALU_DEP_1) | instskip(SKIP_1) | instid1(VALU_DEP_1)
	v_fma_mix_f32 v4, v43, v6, v4 op_sel_hi:[0,1,0]
	s_waitcnt lgkmcnt(0)
	v_fma_mix_f32 v4, v7, v14, v4 op_sel_hi:[0,1,0]
	s_delay_alu instid0(VALU_DEP_1) | instskip(NEXT) | instid1(VALU_DEP_1)
	v_fma_mix_f32 v4, v8, v15, v4 op_sel_hi:[0,1,0]
	v_fma_mix_f32 v4, v9, v16, v4 op_sel_hi:[0,1,0]
	s_delay_alu instid0(VALU_DEP_1) | instskip(NEXT) | instid1(VALU_DEP_1)
	v_fma_mix_f32 v4, v10, v17, v4 op_sel_hi:[0,1,0]
	v_fma_mix_f32 v4, v36, v18, v4 op_sel_hi:[0,1,0]
	s_delay_alu instid0(VALU_DEP_1) | instskip(NEXT) | instid1(VALU_DEP_1)
	v_fma_mix_f32 v4, v37, v12, v4 op_sel_hi:[0,1,0]
	v_fma_mix_f32 v4, v38, v13, v4 op_sel_hi:[0,1,0]
	s_delay_alu instid0(VALU_DEP_1)
	v_fma_mix_f32 v4, v39, v19, v4 op_sel_hi:[0,1,0]
	s_cbranch_vccz .LBB91_13
; %bb.12:
	ds_load_b128 v[5:8], v2 offset:64
	ds_load_b128 v[9:12], v2 offset:80
	s_waitcnt lgkmcnt(1)
	v_fmac_f32_e32 v4, v5, v35
	s_delay_alu instid0(VALU_DEP_1) | instskip(NEXT) | instid1(VALU_DEP_1)
	v_fmac_f32_e32 v4, v6, v34
	v_fmac_f32_e32 v4, v7, v33
	s_delay_alu instid0(VALU_DEP_1) | instskip(SKIP_3) | instid1(VALU_DEP_1)
	v_fmac_f32_e32 v4, v8, v32
	ds_load_b128 v[5:8], v2 offset:96
	s_waitcnt lgkmcnt(1)
	v_fmac_f32_e32 v4, v9, v31
	v_fmac_f32_e32 v4, v10, v30
	s_delay_alu instid0(VALU_DEP_1) | instskip(NEXT) | instid1(VALU_DEP_1)
	v_fmac_f32_e32 v4, v11, v29
	v_fmac_f32_e32 v4, v12, v28
	ds_load_b128 v[9:12], v2 offset:112
	s_waitcnt lgkmcnt(1)
	v_fmac_f32_e32 v4, v5, v27
	s_delay_alu instid0(VALU_DEP_1) | instskip(NEXT) | instid1(VALU_DEP_1)
	v_fmac_f32_e32 v4, v6, v26
	v_fmac_f32_e32 v4, v7, v25
	s_delay_alu instid0(VALU_DEP_1) | instskip(SKIP_1) | instid1(VALU_DEP_1)
	v_fmac_f32_e32 v4, v8, v24
	s_waitcnt lgkmcnt(0)
	v_fmac_f32_e32 v4, v9, v23
	s_delay_alu instid0(VALU_DEP_1) | instskip(NEXT) | instid1(VALU_DEP_1)
	v_fmac_f32_e32 v4, v10, v22
	v_fmac_f32_e32 v4, v11, v21
	s_delay_alu instid0(VALU_DEP_1)
	v_fmac_f32_e32 v4, v12, v20
.LBB91_13:
	s_movk_i32 s43, 0xfc0
	s_movk_i32 s44, 0x80
	s_mov_b32 s45, 32
	s_branch .LBB91_15
.LBB91_14:                              ;   in Loop: Header=BB91_15 Depth=1
	s_addk_i32 s43, 0x800
	s_addk_i32 s44, 0x80
	s_add_i32 s45, s45, 32
	s_cmpk_eq_i32 s43, 0x77c0
	s_cbranch_scc1 .LBB91_17
.LBB91_15:                              ; =>This Inner Loop Header: Depth=1
	s_cmp_le_i32 s40, s45
	s_cbranch_scc1 .LBB91_14
; %bb.16:                               ;   in Loop: Header=BB91_15 Depth=1
	s_add_i32 s4, s43, 0xfffff840
	v_mov_b32_e32 v44, s44
	s_cmp_lt_i32 s4, s41
	s_cselect_b32 s4, s4, s42
	s_add_i32 s6, s43, 0xfffff880
	s_ashr_i32 s5, s4, 31
	s_delay_alu instid0(SALU_CYCLE_1)
	s_lshl_b64 s[4:5], s[4:5], 1
	s_cmp_lt_i32 s6, s41
	v_add_co_u32 v5, vcc_lo, v1, s4
	s_cselect_b32 s6, s6, s42
	s_add_i32 s10, s43, 0xfffff8c0
	s_ashr_i32 s7, s6, 31
	v_add_co_ci_u32_e32 v6, vcc_lo, s5, v3, vcc_lo
	s_lshl_b64 s[8:9], s[6:7], 1
	s_cmp_lt_i32 s10, s41
	v_add_co_u32 v7, vcc_lo, v1, s8
	s_cselect_b32 s6, s10, s42
	s_add_i32 s10, s43, 0xfffff900
	s_ashr_i32 s7, s6, 31
	v_add_co_ci_u32_e32 v8, vcc_lo, s9, v3, vcc_lo
	;; [unrolled: 7-line block ×8, first 2 shown]
	s_lshl_b64 s[24:25], s[20:21], 1
	s_cmp_lt_i32 s28, s41
	s_clause 0x7
	global_load_u16 v2, v[5:6], off
	global_load_u16 v21, v[7:8], off
	;; [unrolled: 1-line block ×8, first 2 shown]
	s_cselect_b32 s20, s28, s42
	s_add_i32 s28, s43, 0xfffffac0
	s_ashr_i32 s21, s20, 31
	v_add_co_u32 v5, vcc_lo, v1, s24
	s_lshl_b64 s[20:21], s[20:21], 1
	s_cmp_lt_i32 s28, s41
	v_add_co_ci_u32_e32 v6, vcc_lo, s25, v3, vcc_lo
	s_cselect_b32 s28, s28, s42
	s_add_i32 s36, s43, 0xfffffb00
	s_ashr_i32 s29, s28, 31
	v_add_co_u32 v7, vcc_lo, v1, s20
	s_lshl_b64 s[30:31], s[28:29], 1
	s_cmp_lt_i32 s36, s41
	v_add_co_ci_u32_e32 v8, vcc_lo, s21, v3, vcc_lo
	s_cselect_b32 s28, s36, s42
	s_add_i32 s36, s43, 0xfffffb40
	s_ashr_i32 s29, s28, 31
	v_add_co_u32 v9, vcc_lo, v1, s30
	s_lshl_b64 s[28:29], s[28:29], 1
	s_cmp_lt_i32 s36, s41
	v_add_co_ci_u32_e32 v10, vcc_lo, s31, v3, vcc_lo
	s_cselect_b32 s36, s36, s42
	s_add_i32 s46, s43, 0xfffffb80
	s_ashr_i32 s37, s36, 31
	v_add_co_u32 v11, vcc_lo, v1, s28
	s_lshl_b64 s[38:39], s[36:37], 1
	s_cmp_lt_i32 s46, s41
	v_add_co_ci_u32_e32 v12, vcc_lo, s29, v3, vcc_lo
	s_cselect_b32 s36, s46, s42
	s_add_i32 s46, s43, 0xfffffbc0
	s_ashr_i32 s37, s36, 31
	v_add_co_u32 v13, vcc_lo, v1, s38
	s_lshl_b64 s[36:37], s[36:37], 1
	s_cmp_lt_i32 s46, s41
	v_add_co_ci_u32_e32 v14, vcc_lo, s39, v3, vcc_lo
	s_cselect_b32 s4, s46, s42
	s_add_i32 s46, s43, 0xfffffc00
	s_ashr_i32 s5, s4, 31
	v_add_co_u32 v15, vcc_lo, v1, s36
	s_lshl_b64 s[8:9], s[4:5], 1
	s_cmp_lt_i32 s46, s41
	v_add_co_ci_u32_e32 v16, vcc_lo, s37, v3, vcc_lo
	s_cselect_b32 s4, s46, s42
	s_add_i32 s18, s43, 0xfffffc40
	s_ashr_i32 s5, s4, 31
	v_add_co_u32 v17, vcc_lo, v1, s8
	s_lshl_b64 s[6:7], s[4:5], 1
	s_cmp_lt_i32 s18, s41
	v_add_co_ci_u32_e32 v18, vcc_lo, s9, v3, vcc_lo
	s_cselect_b32 s4, s18, s42
	s_add_i32 s10, s43, 0xfffffc80
	s_ashr_i32 s5, s4, 31
	v_add_co_u32 v19, vcc_lo, v1, s6
	s_lshl_b64 s[4:5], s[4:5], 1
	s_cmp_lt_i32 s10, s41
	v_add_co_ci_u32_e32 v20, vcc_lo, s7, v3, vcc_lo
	s_cselect_b32 s10, s10, s42
	s_add_i32 s18, s43, 0xfffffcc0
	s_ashr_i32 s11, s10, 31
	s_clause 0x7
	global_load_u16 v28, v[5:6], off
	global_load_u16 v29, v[7:8], off
	;; [unrolled: 1-line block ×8, first 2 shown]
	s_lshl_b64 s[10:11], s[10:11], 1
	s_cmp_lt_i32 s18, s41
	v_add_co_u32 v5, vcc_lo, v1, s4
	s_cselect_b32 s18, s18, s42
	s_add_i32 s22, s43, 0xfffffd00
	s_ashr_i32 s19, s18, 31
	v_add_co_ci_u32_e32 v6, vcc_lo, s5, v3, vcc_lo
	s_lshl_b64 s[18:19], s[18:19], 1
	s_cmp_lt_i32 s22, s41
	v_add_co_u32 v7, vcc_lo, v1, s10
	s_cselect_b32 s20, s22, s42
	s_add_i32 s22, s43, 0xfffffd40
	s_ashr_i32 s21, s20, 31
	v_add_co_ci_u32_e32 v8, vcc_lo, s11, v3, vcc_lo
	;; [unrolled: 7-line block ×5, first 2 shown]
	s_lshl_b64 s[6:7], s[6:7], 1
	s_cmp_lt_i32 s24, s41
	s_clause 0x4
	global_load_u16 v19, v[5:6], off
	global_load_u16 v20, v[7:8], off
	;; [unrolled: 1-line block ×5, first 2 shown]
	s_cselect_b32 s4, s24, s42
	s_add_i32 s10, s43, 0xfffffe40
	s_ashr_i32 s5, s4, 31
	v_add_co_u32 v5, vcc_lo, v1, s8
	s_lshl_b64 s[4:5], s[4:5], 1
	s_cmp_lt_i32 s10, s41
	v_add_co_ci_u32_e32 v6, vcc_lo, s9, v3, vcc_lo
	s_cselect_b32 s10, s10, s42
	s_add_i32 s18, s43, 0xfffffe80
	s_ashr_i32 s11, s10, 31
	v_add_co_u32 v7, vcc_lo, v1, s6
	s_lshl_b64 s[10:11], s[10:11], 1
	s_cmp_lt_i32 s18, s41
	v_add_co_ci_u32_e32 v8, vcc_lo, s7, v3, vcc_lo
	s_cselect_b32 s18, s18, s42
	s_add_i32 s20, s43, 0xfffffec0
	s_ashr_i32 s19, s18, 31
	v_add_co_u32 v9, vcc_lo, v1, s4
	s_lshl_b64 s[18:19], s[18:19], 1
	s_cmp_lt_i32 s20, s41
	global_load_u16 v37, v[5:6], off
	s_cselect_b32 s8, s20, s42
	s_add_i32 s20, s43, 0xffffff00
	s_ashr_i32 s9, s8, 31
	v_add_co_ci_u32_e32 v10, vcc_lo, s5, v3, vcc_lo
	s_lshl_b64 s[6:7], s[8:9], 1
	s_cmp_lt_i32 s20, s41
	v_add_co_u32 v11, vcc_lo, v1, s10
	s_cselect_b32 s4, s20, s42
	s_clause 0x1
	global_load_u16 v38, v[7:8], off
	global_load_u16 v39, v[9:10], off
	v_add_co_ci_u32_e32 v12, vcc_lo, s11, v3, vcc_lo
	s_ashr_i32 s5, s4, 31
	s_add_i32 s8, s43, 0xffffff40
	v_add_co_u32 v13, vcc_lo, v1, s18
	s_lshl_b64 s[4:5], s[4:5], 1
	s_cmp_lt_i32 s8, s41
	v_add_co_ci_u32_e32 v14, vcc_lo, s19, v3, vcc_lo
	v_add_co_u32 v15, vcc_lo, v1, s6
	s_cselect_b32 s8, s8, s42
	v_add_co_ci_u32_e32 v16, vcc_lo, s7, v3, vcc_lo
	s_ashr_i32 s9, s8, 31
	s_add_i32 s10, s43, 0xffffff80
	s_lshl_b64 s[6:7], s[8:9], 1
	s_clause 0x2
	global_load_u16 v40, v[11:12], off
	global_load_u16 v13, v[13:14], off
	global_load_u16 v14, v[15:16], off
	s_cmp_lt_i32 s10, s41
	v_add_co_u32 v5, vcc_lo, v1, s4
	s_cselect_b32 s8, s10, s42
	s_sub_i32 s10, s43, 64
	s_ashr_i32 s9, s8, 31
	v_add_co_ci_u32_e32 v6, vcc_lo, s5, v3, vcc_lo
	s_lshl_b64 s[8:9], s[8:9], 1
	s_cmp_lt_i32 s10, s41
	v_add_co_u32 v7, vcc_lo, v1, s6
	s_cselect_b32 s4, s10, s42
	v_add_co_ci_u32_e32 v8, vcc_lo, s7, v3, vcc_lo
	s_ashr_i32 s5, s4, 31
	v_add_co_u32 v9, vcc_lo, v1, s8
	global_load_u16 v15, v[5:6], off
	s_lshl_b64 s[4:5], s[4:5], 1
	v_add_co_ci_u32_e32 v10, vcc_lo, s9, v3, vcc_lo
	s_cmp_lt_i32 s43, s41
	s_clause 0x1
	global_load_u16 v16, v[7:8], off
	global_load_u16 v41, v[9:10], off
	s_cselect_b32 s6, s43, s42
	v_add_co_u32 v5, vcc_lo, v1, s4
	s_ashr_i32 s7, s6, 31
	v_add_co_ci_u32_e32 v6, vcc_lo, s5, v3, vcc_lo
	s_lshl_b64 s[4:5], s[6:7], 1
	s_delay_alu instid0(SALU_CYCLE_1)
	v_add_co_u32 v7, vcc_lo, v1, s4
	v_add_co_ci_u32_e32 v8, vcc_lo, s5, v3, vcc_lo
	s_clause 0x1
	global_load_u16 v42, v[5:6], off
	global_load_u16 v43, v[7:8], off
	ds_load_b128 v[5:8], v44
	ds_load_b128 v[9:12], v44 offset:16
	s_waitcnt vmcnt(31) lgkmcnt(1)
	v_fma_mix_f32 v2, v5, v2, v4 op_sel_hi:[0,1,0]
	s_waitcnt vmcnt(30)
	s_delay_alu instid0(VALU_DEP_1) | instskip(SKIP_1) | instid1(VALU_DEP_1)
	v_fma_mix_f32 v2, v6, v21, v2 op_sel_hi:[0,1,0]
	s_waitcnt vmcnt(29)
	v_fma_mix_f32 v2, v7, v22, v2 op_sel_hi:[0,1,0]
	ds_load_b128 v[4:7], v44 offset:32
	s_waitcnt vmcnt(28)
	v_fma_mix_f32 v2, v8, v23, v2 op_sel_hi:[0,1,0]
	s_waitcnt vmcnt(27) lgkmcnt(1)
	s_delay_alu instid0(VALU_DEP_1) | instskip(SKIP_1) | instid1(VALU_DEP_1)
	v_fma_mix_f32 v2, v9, v24, v2 op_sel_hi:[0,1,0]
	s_waitcnt vmcnt(26)
	v_fma_mix_f32 v2, v10, v25, v2 op_sel_hi:[0,1,0]
	s_waitcnt vmcnt(25)
	s_delay_alu instid0(VALU_DEP_1) | instskip(SKIP_4) | instid1(VALU_DEP_1)
	v_fma_mix_f32 v2, v11, v26, v2 op_sel_hi:[0,1,0]
	ds_load_b128 v[8:11], v44 offset:48
	s_waitcnt vmcnt(24)
	v_fma_mix_f32 v2, v12, v27, v2 op_sel_hi:[0,1,0]
	s_waitcnt vmcnt(23) lgkmcnt(1)
	v_fma_mix_f32 v2, v4, v28, v2 op_sel_hi:[0,1,0]
	s_waitcnt vmcnt(22)
	s_delay_alu instid0(VALU_DEP_1) | instskip(SKIP_1) | instid1(VALU_DEP_1)
	v_fma_mix_f32 v2, v5, v29, v2 op_sel_hi:[0,1,0]
	s_waitcnt vmcnt(21)
	v_fma_mix_f32 v2, v6, v30, v2 op_sel_hi:[0,1,0]
	s_waitcnt vmcnt(20)
	s_delay_alu instid0(VALU_DEP_1) | instskip(SKIP_4) | instid1(VALU_DEP_1)
	v_fma_mix_f32 v2, v7, v31, v2 op_sel_hi:[0,1,0]
	ds_load_b128 v[4:7], v44 offset:64
	s_waitcnt vmcnt(19) lgkmcnt(1)
	v_fma_mix_f32 v2, v8, v32, v2 op_sel_hi:[0,1,0]
	s_waitcnt vmcnt(18)
	v_fma_mix_f32 v2, v9, v33, v2 op_sel_hi:[0,1,0]
	s_waitcnt vmcnt(17)
	s_delay_alu instid0(VALU_DEP_1) | instskip(SKIP_1) | instid1(VALU_DEP_1)
	v_fma_mix_f32 v2, v10, v17, v2 op_sel_hi:[0,1,0]
	s_waitcnt vmcnt(16)
	v_fma_mix_f32 v2, v11, v18, v2 op_sel_hi:[0,1,0]
	ds_load_b128 v[8:11], v44 offset:80
	s_waitcnt vmcnt(15) lgkmcnt(1)
	v_fma_mix_f32 v2, v4, v19, v2 op_sel_hi:[0,1,0]
	s_waitcnt vmcnt(14)
	s_delay_alu instid0(VALU_DEP_1) | instskip(SKIP_1) | instid1(VALU_DEP_1)
	v_fma_mix_f32 v2, v5, v20, v2 op_sel_hi:[0,1,0]
	s_waitcnt vmcnt(13)
	v_fma_mix_f32 v2, v6, v34, v2 op_sel_hi:[0,1,0]
	s_waitcnt vmcnt(12)
	s_delay_alu instid0(VALU_DEP_1) | instskip(SKIP_4) | instid1(VALU_DEP_1)
	v_fma_mix_f32 v2, v7, v35, v2 op_sel_hi:[0,1,0]
	ds_load_b128 v[4:7], v44 offset:96
	s_waitcnt vmcnt(11) lgkmcnt(1)
	v_fma_mix_f32 v2, v8, v36, v2 op_sel_hi:[0,1,0]
	s_waitcnt vmcnt(10)
	v_fma_mix_f32 v2, v9, v37, v2 op_sel_hi:[0,1,0]
	s_waitcnt vmcnt(9)
	s_delay_alu instid0(VALU_DEP_1) | instskip(SKIP_1) | instid1(VALU_DEP_1)
	v_fma_mix_f32 v2, v10, v38, v2 op_sel_hi:[0,1,0]
	s_waitcnt vmcnt(8)
	v_fma_mix_f32 v2, v11, v39, v2 op_sel_hi:[0,1,0]
	ds_load_b128 v[8:11], v44 offset:112
	s_waitcnt vmcnt(7) lgkmcnt(1)
	v_fma_mix_f32 v2, v4, v40, v2 op_sel_hi:[0,1,0]
	s_waitcnt vmcnt(6)
	s_delay_alu instid0(VALU_DEP_1) | instskip(SKIP_1) | instid1(VALU_DEP_1)
	v_fma_mix_f32 v2, v5, v13, v2 op_sel_hi:[0,1,0]
	s_waitcnt vmcnt(5)
	v_fma_mix_f32 v2, v6, v14, v2 op_sel_hi:[0,1,0]
	s_waitcnt vmcnt(4)
	s_delay_alu instid0(VALU_DEP_1) | instskip(SKIP_1) | instid1(VALU_DEP_1)
	v_fma_mix_f32 v2, v7, v15, v2 op_sel_hi:[0,1,0]
	s_waitcnt vmcnt(3) lgkmcnt(0)
	v_fma_mix_f32 v2, v8, v16, v2 op_sel_hi:[0,1,0]
	s_waitcnt vmcnt(2)
	s_delay_alu instid0(VALU_DEP_1) | instskip(SKIP_1) | instid1(VALU_DEP_1)
	v_fma_mix_f32 v2, v9, v41, v2 op_sel_hi:[0,1,0]
	s_waitcnt vmcnt(1)
	v_fma_mix_f32 v2, v10, v42, v2 op_sel_hi:[0,1,0]
	s_waitcnt vmcnt(0)
	s_delay_alu instid0(VALU_DEP_1)
	v_fma_mix_f32 v4, v11, v43, v2 op_sel_hi:[0,1,0]
	s_branch .LBB91_14
.LBB91_17:
	v_mov_b32_e32 v1, 0
	s_and_b32 vcc_lo, exec_lo, s15
	ds_load_b32 v1, v1 offset:1792
	s_cbranch_vccz .LBB91_19
; %bb.18:
	s_add_u32 s2, s12, s16
	s_addc_u32 s3, s13, s17
	s_load_b32 s2, s[2:3], 0x0
	s_mov_b32 s3, 0
.LBB91_19:
	s_waitcnt lgkmcnt(0)
	v_add_f32_e32 v1, 0x358637bd, v1
	s_mul_i32 s3, s33, s3
	s_mul_hi_u32 s4, s33, s2
	s_mul_i32 s2, s33, s2
	s_add_i32 s3, s4, s3
	v_div_scale_f32 v2, null, v1, v1, 1.0
	s_lshl_b64 s[2:3], s[2:3], 7
	s_mov_b32 s15, 0
	s_add_u32 s2, s0, s2
	s_delay_alu instid0(VALU_DEP_1) | instskip(SKIP_2) | instid1(SALU_CYCLE_1)
	v_rcp_f32_e32 v3, v2
	s_addc_u32 s3, s1, s3
	s_lshl_b64 s[0:1], s[14:15], 7
	s_add_u32 s0, s2, s0
	s_addc_u32 s1, s3, s1
	s_waitcnt_depctr 0xfff
	v_fma_f32 v5, -v2, v3, 1.0
	s_delay_alu instid0(VALU_DEP_1) | instskip(SKIP_1) | instid1(VALU_DEP_1)
	v_fmac_f32_e32 v3, v5, v3
	v_div_scale_f32 v5, vcc_lo, 1.0, v1, 1.0
	v_mul_f32_e32 v6, v5, v3
	s_delay_alu instid0(VALU_DEP_1) | instskip(NEXT) | instid1(VALU_DEP_1)
	v_fma_f32 v7, -v2, v6, v5
	v_fmac_f32_e32 v6, v7, v3
	s_delay_alu instid0(VALU_DEP_1) | instskip(NEXT) | instid1(VALU_DEP_1)
	v_fma_f32 v2, -v2, v6, v5
	v_div_fmas_f32 v2, v2, v3, v6
	s_delay_alu instid0(VALU_DEP_1) | instskip(NEXT) | instid1(VALU_DEP_1)
	v_div_fixup_f32 v1, v2, v1, 1.0
	v_fma_mixlo_f16 v1, v4, v1, 0
	global_store_b16 v0, v1, s[0:1]
	s_nop 0
	s_sendmsg sendmsg(MSG_DEALLOC_VGPRS)
	s_endpgm
.LBB91_20:
	s_mov_b32 s4, 0
	s_branch .LBB91_2
	.section	.rodata,"a",@progbits
	.p2align	6, 0x0
	.amdhsa_kernel _Z35paged_attention_ll4mi_reduce_kernelIDF16_DF16_Li64ELi64ELi256ELi14EEvPT0_PKfS3_PKT_PKiS8_iS3_
		.amdhsa_group_segment_fixed_size 1796
		.amdhsa_private_segment_fixed_size 0
		.amdhsa_kernarg_size 320
		.amdhsa_user_sgpr_count 14
		.amdhsa_user_sgpr_dispatch_ptr 0
		.amdhsa_user_sgpr_queue_ptr 0
		.amdhsa_user_sgpr_kernarg_segment_ptr 1
		.amdhsa_user_sgpr_dispatch_id 0
		.amdhsa_user_sgpr_private_segment_size 0
		.amdhsa_wavefront_size32 1
		.amdhsa_uses_dynamic_stack 0
		.amdhsa_enable_private_segment 0
		.amdhsa_system_sgpr_workgroup_id_x 1
		.amdhsa_system_sgpr_workgroup_id_y 1
		.amdhsa_system_sgpr_workgroup_id_z 0
		.amdhsa_system_sgpr_workgroup_info 0
		.amdhsa_system_vgpr_workitem_id 0
		.amdhsa_next_free_vgpr 77
		.amdhsa_next_free_sgpr 47
		.amdhsa_reserve_vcc 1
		.amdhsa_float_round_mode_32 0
		.amdhsa_float_round_mode_16_64 0
		.amdhsa_float_denorm_mode_32 3
		.amdhsa_float_denorm_mode_16_64 3
		.amdhsa_dx10_clamp 1
		.amdhsa_ieee_mode 1
		.amdhsa_fp16_overflow 0
		.amdhsa_workgroup_processor_mode 1
		.amdhsa_memory_ordered 1
		.amdhsa_forward_progress 0
		.amdhsa_shared_vgpr_count 0
		.amdhsa_exception_fp_ieee_invalid_op 0
		.amdhsa_exception_fp_denorm_src 0
		.amdhsa_exception_fp_ieee_div_zero 0
		.amdhsa_exception_fp_ieee_overflow 0
		.amdhsa_exception_fp_ieee_underflow 0
		.amdhsa_exception_fp_ieee_inexact 0
		.amdhsa_exception_int_div_zero 0
	.end_amdhsa_kernel
	.section	.text._Z35paged_attention_ll4mi_reduce_kernelIDF16_DF16_Li64ELi64ELi256ELi14EEvPT0_PKfS3_PKT_PKiS8_iS3_,"axG",@progbits,_Z35paged_attention_ll4mi_reduce_kernelIDF16_DF16_Li64ELi64ELi256ELi14EEvPT0_PKfS3_PKT_PKiS8_iS3_,comdat
.Lfunc_end91:
	.size	_Z35paged_attention_ll4mi_reduce_kernelIDF16_DF16_Li64ELi64ELi256ELi14EEvPT0_PKfS3_PKT_PKiS8_iS3_, .Lfunc_end91-_Z35paged_attention_ll4mi_reduce_kernelIDF16_DF16_Li64ELi64ELi256ELi14EEvPT0_PKfS3_PKT_PKiS8_iS3_
                                        ; -- End function
	.section	.AMDGPU.csdata,"",@progbits
; Kernel info:
; codeLenInByte = 7736
; NumSgprs: 49
; NumVgprs: 77
; ScratchSize: 0
; MemoryBound: 0
; FloatMode: 240
; IeeeMode: 1
; LDSByteSize: 1796 bytes/workgroup (compile time only)
; SGPRBlocks: 6
; VGPRBlocks: 9
; NumSGPRsForWavesPerEU: 49
; NumVGPRsForWavesPerEU: 77
; Occupancy: 16
; WaveLimiterHint : 0
; COMPUTE_PGM_RSRC2:SCRATCH_EN: 0
; COMPUTE_PGM_RSRC2:USER_SGPR: 14
; COMPUTE_PGM_RSRC2:TRAP_HANDLER: 0
; COMPUTE_PGM_RSRC2:TGID_X_EN: 1
; COMPUTE_PGM_RSRC2:TGID_Y_EN: 1
; COMPUTE_PGM_RSRC2:TGID_Z_EN: 0
; COMPUTE_PGM_RSRC2:TIDIG_COMP_CNT: 0
	.section	.text._Z35paged_attention_ll4mi_reduce_kernelIDF16_DF16_Li64ELi64ELi256ELi15EEvPT0_PKfS3_PKT_PKiS8_iS3_,"axG",@progbits,_Z35paged_attention_ll4mi_reduce_kernelIDF16_DF16_Li64ELi64ELi256ELi15EEvPT0_PKfS3_PKT_PKiS8_iS3_,comdat
	.protected	_Z35paged_attention_ll4mi_reduce_kernelIDF16_DF16_Li64ELi64ELi256ELi15EEvPT0_PKfS3_PKT_PKiS8_iS3_ ; -- Begin function _Z35paged_attention_ll4mi_reduce_kernelIDF16_DF16_Li64ELi64ELi256ELi15EEvPT0_PKfS3_PKT_PKiS8_iS3_
	.globl	_Z35paged_attention_ll4mi_reduce_kernelIDF16_DF16_Li64ELi64ELi256ELi15EEvPT0_PKfS3_PKT_PKiS8_iS3_
	.p2align	8
	.type	_Z35paged_attention_ll4mi_reduce_kernelIDF16_DF16_Li64ELi64ELi256ELi15EEvPT0_PKfS3_PKT_PKiS8_iS3_,@function
_Z35paged_attention_ll4mi_reduce_kernelIDF16_DF16_Li64ELi64ELi256ELi15EEvPT0_PKfS3_PKT_PKiS8_iS3_: ; @_Z35paged_attention_ll4mi_reduce_kernelIDF16_DF16_Li64ELi64ELi256ELi15EEvPT0_PKfS3_PKT_PKiS8_iS3_
; %bb.0:
	s_load_b64 s[12:13], s[0:1], 0x28
	s_mov_b32 s2, s15
	s_waitcnt lgkmcnt(0)
	s_cmp_lg_u64 s[12:13], 0
	s_cselect_b32 s15, -1, 0
	s_delay_alu instid0(SALU_CYCLE_1)
	s_and_b32 vcc_lo, exec_lo, s15
	s_cbranch_vccz .LBB92_20
; %bb.1:
	s_add_i32 s4, s2, 1
	s_mov_b32 s5, 0
	s_delay_alu instid0(SALU_CYCLE_1) | instskip(SKIP_4) | instid1(SALU_CYCLE_1)
	s_lshl_b64 s[6:7], s[4:5], 2
	s_mov_b32 s3, s5
	s_add_u32 s6, s12, s6
	s_addc_u32 s7, s13, s7
	s_lshl_b64 s[8:9], s[2:3], 2
	s_add_u32 s8, s12, s8
	s_addc_u32 s9, s13, s9
	s_clause 0x1
	s_load_b32 s4, s[6:7], 0x0
	s_load_b32 s6, s[8:9], 0x0
	s_waitcnt lgkmcnt(0)
	s_sub_i32 s4, s4, s6
	s_delay_alu instid0(SALU_CYCLE_1)
	s_cmp_eq_u32 s4, 1
	s_cselect_b32 s4, -1, 0
	s_cbranch_execnz .LBB92_3
.LBB92_2:
	s_mov_b32 s3, 0
	s_mov_b32 s4, -1
.LBB92_3:
	s_delay_alu instid0(SALU_CYCLE_1)
	s_and_not1_b32 vcc_lo, exec_lo, s4
	s_cbranch_vccz .LBB92_5
; %bb.4:
	s_endpgm
.LBB92_5:
	s_clause 0x1
	s_load_b128 s[4:7], s[0:1], 0x18
	s_load_b32 s9, s[0:1], 0x30
	s_lshl_b64 s[16:17], s[2:3], 2
	s_waitcnt lgkmcnt(0)
	s_add_u32 s6, s6, s16
	s_addc_u32 s7, s7, s17
	s_load_b32 s23, s[6:7], 0x0
	s_load_b32 s33, s[0:1], 0x40
	s_mul_i32 s7, s2, s9
	s_waitcnt lgkmcnt(0)
	s_add_i32 s22, s23, 0xff
	s_delay_alu instid0(SALU_CYCLE_1) | instskip(NEXT) | instid1(SALU_CYCLE_1)
	s_ashr_i32 s6, s22, 31
	s_lshr_b32 s6, s6, 24
	s_delay_alu instid0(SALU_CYCLE_1) | instskip(SKIP_4) | instid1(SALU_CYCLE_1)
	s_add_i32 s8, s22, s6
	s_mul_i32 s6, s14, s9
	s_mov_b32 s9, exec_lo
	v_cmpx_lt_u32_e32 31, v0
	s_xor_b32 s9, exec_lo, s9
	s_or_saveexec_b32 s24, s9
	v_mov_b32_e32 v1, s6
	s_ashr_i32 s40, s8, 8
	s_mul_i32 s18, s7, s33
	s_xor_b32 exec_lo, exec_lo, s24
	s_cbranch_execz .LBB92_9
; %bb.6:
	v_or_b32_e32 v2, 32, v0
	v_cmp_gt_i32_e32 vcc_lo, s40, v0
	s_add_i32 s20, s40, -1
	v_or_b32_e32 v4, 64, v0
	v_or_b32_e32 v6, 0xa0, v0
	s_load_b128 s[8:11], s[0:1], 0x8
	v_cndmask_b32_e32 v1, s20, v0, vcc_lo
	v_cmp_gt_i32_e32 vcc_lo, s40, v2
	s_mov_b32 s19, 0
	s_delay_alu instid0(SALU_CYCLE_1)
	s_mov_b32 s7, s19
	v_cndmask_b32_e32 v3, s20, v2, vcc_lo
	v_or_b32_e32 v2, 0x60, v0
	v_cmp_gt_i32_e32 vcc_lo, s40, v4
	v_cndmask_b32_e32 v5, s20, v4, vcc_lo
	v_or_b32_e32 v4, 0x80, v0
	s_delay_alu instid0(VALU_DEP_4) | instskip(SKIP_1) | instid1(VALU_DEP_3)
	v_cmp_gt_i32_e32 vcc_lo, s40, v2
	v_cndmask_b32_e32 v7, s20, v2, vcc_lo
	v_cmp_gt_i32_e32 vcc_lo, s40, v4
	v_or_b32_e32 v2, 0xc0, v0
	s_delay_alu instid0(VALU_DEP_3) | instskip(SKIP_3) | instid1(VALU_DEP_3)
	v_ashrrev_i32_e32 v8, 31, v7
	v_cndmask_b32_e32 v9, s20, v4, vcc_lo
	v_cmp_gt_i32_e32 vcc_lo, s40, v6
	v_or_b32_e32 v4, 0xe0, v0
	v_ashrrev_i32_e32 v10, 31, v9
	v_cndmask_b32_e32 v11, s20, v6, vcc_lo
	v_cmp_gt_i32_e32 vcc_lo, s40, v2
	v_or_b32_e32 v6, 0x120, v0
	s_delay_alu instid0(VALU_DEP_3) | instskip(SKIP_3) | instid1(VALU_DEP_3)
	v_ashrrev_i32_e32 v12, 31, v11
	v_cndmask_b32_e32 v13, s20, v2, vcc_lo
	v_or_b32_e32 v2, 0x100, v0
	v_cmp_gt_i32_e32 vcc_lo, s40, v4
	v_ashrrev_i32_e32 v14, 31, v13
	v_cndmask_b32_e32 v15, s20, v4, vcc_lo
	s_delay_alu instid0(VALU_DEP_4) | instskip(SKIP_1) | instid1(VALU_DEP_3)
	v_cmp_gt_i32_e32 vcc_lo, s40, v2
	v_or_b32_e32 v4, 0x140, v0
	v_ashrrev_i32_e32 v16, 31, v15
	v_cndmask_b32_e32 v17, s20, v2, vcc_lo
	v_cmp_gt_i32_e32 vcc_lo, s40, v6
	v_or_b32_e32 v2, 0x160, v0
	s_delay_alu instid0(VALU_DEP_3) | instskip(SKIP_3) | instid1(VALU_DEP_3)
	v_ashrrev_i32_e32 v18, 31, v17
	v_cndmask_b32_e32 v19, s20, v6, vcc_lo
	v_cmp_gt_i32_e32 vcc_lo, s40, v4
	v_or_b32_e32 v6, 0x1a0, v0
	v_ashrrev_i32_e32 v20, 31, v19
	v_cndmask_b32_e32 v21, s20, v4, vcc_lo
	v_or_b32_e32 v4, 0x180, v0
	v_cmp_gt_i32_e32 vcc_lo, s40, v2
	s_delay_alu instid0(VALU_DEP_3) | instskip(SKIP_1) | instid1(VALU_DEP_4)
	v_ashrrev_i32_e32 v22, 31, v21
	v_cndmask_b32_e32 v23, s20, v2, vcc_lo
	v_cmp_gt_i32_e32 vcc_lo, s40, v4
	v_or_b32_e32 v2, 0x1c0, v0
	s_delay_alu instid0(VALU_DEP_3) | instskip(SKIP_3) | instid1(VALU_DEP_3)
	v_ashrrev_i32_e32 v24, 31, v23
	v_cndmask_b32_e32 v25, s20, v4, vcc_lo
	v_cmp_gt_i32_e32 vcc_lo, s40, v6
	v_ashrrev_i32_e32 v4, 31, v3
	v_ashrrev_i32_e32 v26, 31, v25
	v_cndmask_b32_e32 v27, s20, v6, vcc_lo
	v_cmp_gt_i32_e32 vcc_lo, s40, v2
	v_ashrrev_i32_e32 v6, 31, v5
	v_lshlrev_b64 v[33:34], 2, v[3:4]
	s_delay_alu instid0(VALU_DEP_4)
	v_ashrrev_i32_e32 v28, 31, v27
	v_cndmask_b32_e32 v29, s20, v2, vcc_lo
	v_ashrrev_i32_e32 v2, 31, v1
	s_lshl_b64 s[20:21], s[18:19], 2
	v_lshlrev_b64 v[4:5], 2, v[5:6]
	s_waitcnt lgkmcnt(0)
	s_add_u32 s19, s10, s20
	s_addc_u32 s25, s11, s21
	v_lshlrev_b64 v[31:32], 2, v[1:2]
	s_lshl_b64 s[10:11], s[6:7], 2
	v_lshlrev_b64 v[6:7], 2, v[7:8]
	s_add_u32 s7, s19, s10
	s_addc_u32 s19, s25, s11
	v_lshlrev_b64 v[8:9], 2, v[9:10]
	v_add_co_u32 v1, vcc_lo, s7, v31
	v_add_co_ci_u32_e32 v2, vcc_lo, s19, v32, vcc_lo
	v_add_co_u32 v35, vcc_lo, s7, v33
	v_add_co_ci_u32_e32 v36, vcc_lo, s19, v34, vcc_lo
	;; [unrolled: 2-line block ×3, first 2 shown]
	v_add_co_u32 v39, vcc_lo, s7, v6
	v_lshlrev_b64 v[10:11], 2, v[11:12]
	v_add_co_ci_u32_e32 v40, vcc_lo, s19, v7, vcc_lo
	v_add_co_u32 v41, vcc_lo, s7, v8
	v_lshlrev_b64 v[12:13], 2, v[13:14]
	v_add_co_ci_u32_e32 v42, vcc_lo, s19, v9, vcc_lo
	;; [unrolled: 3-line block ×5, first 2 shown]
	s_clause 0x7
	global_load_b32 v49, v[1:2], off
	global_load_b32 v50, v[35:36], off
	;; [unrolled: 1-line block ×8, first 2 shown]
	v_add_co_u32 v1, vcc_lo, s7, v16
	v_lshlrev_b64 v[20:21], 2, v[21:22]
	v_add_co_ci_u32_e32 v2, vcc_lo, s19, v17, vcc_lo
	v_add_co_u32 v35, vcc_lo, s7, v18
	v_add_co_ci_u32_e32 v36, vcc_lo, s19, v19, vcc_lo
	v_lshlrev_b64 v[22:23], 2, v[23:24]
	v_add_co_u32 v37, vcc_lo, s7, v20
	v_add_co_ci_u32_e32 v38, vcc_lo, s19, v21, vcc_lo
	v_lshlrev_b64 v[24:25], 2, v[25:26]
	v_ashrrev_i32_e32 v30, 31, v29
	s_clause 0x2
	global_load_b32 v45, v[1:2], off
	global_load_b32 v46, v[35:36], off
	;; [unrolled: 1-line block ×3, first 2 shown]
	v_add_co_u32 v1, vcc_lo, s7, v22
	v_lshlrev_b64 v[26:27], 2, v[27:28]
	v_add_co_ci_u32_e32 v2, vcc_lo, s19, v23, vcc_lo
	v_add_co_u32 v35, vcc_lo, s7, v24
	v_lshlrev_b64 v[28:29], 2, v[29:30]
	v_add_co_ci_u32_e32 v36, vcc_lo, s19, v25, vcc_lo
	v_add_co_u32 v37, vcc_lo, s7, v26
	v_add_co_ci_u32_e32 v38, vcc_lo, s19, v27, vcc_lo
	s_delay_alu instid0(VALU_DEP_4)
	v_add_co_u32 v39, vcc_lo, s7, v28
	v_add_co_ci_u32_e32 v40, vcc_lo, s19, v29, vcc_lo
	s_clause 0x3
	global_load_b32 v48, v[1:2], off
	global_load_b32 v35, v[35:36], off
	;; [unrolled: 1-line block ×4, first 2 shown]
	v_mbcnt_lo_u32_b32 v37, -1, 0
	s_add_u32 s7, s8, s20
	s_addc_u32 s8, s9, s21
	s_add_u32 s7, s7, s10
	s_addc_u32 s8, s8, s11
	v_xor_b32_e32 v1, 16, v37
	v_xor_b32_e32 v2, 8, v37
	s_delay_alu instid0(VALU_DEP_2) | instskip(SKIP_1) | instid1(VALU_DEP_3)
	v_cmp_gt_i32_e32 vcc_lo, 32, v1
	v_cndmask_b32_e32 v1, v37, v1, vcc_lo
	v_cmp_gt_i32_e32 vcc_lo, 32, v2
	v_cndmask_b32_e32 v38, v37, v2, vcc_lo
	s_delay_alu instid0(VALU_DEP_3) | instskip(NEXT) | instid1(VALU_DEP_2)
	v_lshlrev_b32_e32 v2, 2, v1
	v_lshlrev_b32_e32 v1, 2, v38
	s_waitcnt vmcnt(12)
	v_max3_f32 v30, v49, v50, v51
	s_waitcnt vmcnt(10)
	s_delay_alu instid0(VALU_DEP_1) | instskip(SKIP_1) | instid1(VALU_DEP_1)
	v_max3_f32 v30, v30, v52, v41
	s_waitcnt vmcnt(8)
	v_max3_f32 v30, v30, v42, v43
	s_waitcnt vmcnt(6)
	s_delay_alu instid0(VALU_DEP_1) | instskip(SKIP_3) | instid1(VALU_DEP_3)
	v_max3_f32 v38, v30, v44, v45
	v_add_co_u32 v30, vcc_lo, s7, v31
	v_add_co_ci_u32_e32 v31, vcc_lo, s8, v32, vcc_lo
	s_waitcnt vmcnt(4)
	v_max3_f32 v38, v38, v46, v47
	v_add_co_u32 v32, vcc_lo, s7, v33
	v_add_co_ci_u32_e32 v33, vcc_lo, s8, v34, vcc_lo
	v_add_co_u32 v4, vcc_lo, s7, v4
	v_add_co_ci_u32_e32 v5, vcc_lo, s8, v5, vcc_lo
	;; [unrolled: 2-line block ×3, first 2 shown]
	v_add_co_u32 v8, vcc_lo, s7, v8
	s_waitcnt vmcnt(2)
	v_max3_f32 v34, v38, v48, v35
	v_add_co_ci_u32_e32 v9, vcc_lo, s8, v9, vcc_lo
	v_add_co_u32 v10, vcc_lo, s7, v10
	s_waitcnt vmcnt(0)
	s_delay_alu instid0(VALU_DEP_3)
	v_max3_f32 v34, v34, v36, v3
	v_add_co_ci_u32_e32 v11, vcc_lo, s8, v11, vcc_lo
	v_add_co_u32 v12, vcc_lo, s7, v12
	ds_bpermute_b32 v38, v2, v34
	v_add_co_ci_u32_e32 v13, vcc_lo, s8, v13, vcc_lo
	v_add_co_u32 v14, vcc_lo, s7, v14
	v_add_co_ci_u32_e32 v15, vcc_lo, s8, v15, vcc_lo
	v_add_co_u32 v16, vcc_lo, s7, v16
	v_add_co_ci_u32_e32 v17, vcc_lo, s8, v17, vcc_lo
	v_add_co_u32 v18, vcc_lo, s7, v18
	v_add_co_ci_u32_e32 v19, vcc_lo, s8, v19, vcc_lo
	v_add_co_u32 v20, vcc_lo, s7, v20
	s_clause 0x9
	global_load_b32 v30, v[30:31], off
	global_load_b32 v31, v[32:33], off
	;; [unrolled: 1-line block ×10, first 2 shown]
	v_xor_b32_e32 v10, 4, v37
	v_add_co_ci_u32_e32 v21, vcc_lo, s8, v21, vcc_lo
	s_waitcnt lgkmcnt(0)
	v_max_f32_e32 v38, v38, v38
	v_add_co_u32 v8, vcc_lo, s7, v22
	v_add_co_ci_u32_e32 v9, vcc_lo, s8, v23, vcc_lo
	s_delay_alu instid0(VALU_DEP_3)
	v_max_f32_e32 v34, v34, v38
	v_cmp_gt_i32_e32 vcc_lo, 32, v10
	s_clause 0x1
	global_load_b32 v7, v[20:21], off
	global_load_b32 v8, v[8:9], off
	v_xor_b32_e32 v14, 2, v37
	ds_bpermute_b32 v38, v1, v34
	v_cndmask_b32_e32 v9, v37, v10, vcc_lo
	s_waitcnt lgkmcnt(0)
	s_delay_alu instid0(VALU_DEP_1) | instskip(NEXT) | instid1(VALU_DEP_1)
	v_dual_max_f32 v11, v38, v38 :: v_dual_lshlrev_b32 v10, 2, v9
	v_max_f32_e32 v13, v34, v11
	v_add_co_u32 v11, vcc_lo, s7, v24
	v_add_co_ci_u32_e32 v12, vcc_lo, s8, v25, vcc_lo
	ds_bpermute_b32 v9, v10, v13
	v_cmp_gt_i32_e32 vcc_lo, 32, v14
	s_waitcnt lgkmcnt(0)
	v_max_f32_e32 v15, v9, v9
	global_load_b32 v9, v[11:12], off
	v_max_f32_e32 v16, v13, v15
	v_cndmask_b32_e32 v14, v37, v14, vcc_lo
	v_add_co_u32 v12, vcc_lo, s7, v26
	v_add_co_ci_u32_e32 v13, vcc_lo, s8, v27, vcc_lo
	s_delay_alu instid0(VALU_DEP_3)
	v_lshlrev_b32_e32 v11, 2, v14
	v_add_co_u32 v14, vcc_lo, s7, v28
	v_add_co_ci_u32_e32 v15, vcc_lo, s8, v29, vcc_lo
	ds_bpermute_b32 v17, v11, v16
	global_load_b32 v13, v[12:13], off
	s_mov_b32 s7, exec_lo
	global_load_b32 v14, v[14:15], off
	v_xor_b32_e32 v12, 1, v37
	s_delay_alu instid0(VALU_DEP_1) | instskip(SKIP_2) | instid1(VALU_DEP_1)
	v_cmp_gt_i32_e32 vcc_lo, 32, v12
	v_cndmask_b32_e32 v12, v37, v12, vcc_lo
	s_waitcnt lgkmcnt(0)
	v_dual_max_f32 v15, v17, v17 :: v_dual_lshlrev_b32 v12, 2, v12
	s_delay_alu instid0(VALU_DEP_1) | instskip(SKIP_3) | instid1(VALU_DEP_1)
	v_max_f32_e32 v15, v16, v15
	ds_bpermute_b32 v16, v12, v15
	s_waitcnt lgkmcnt(0)
	v_max_f32_e32 v16, v16, v16
	v_max_f32_e32 v16, v15, v16
	v_sub_nc_u32_e32 v15, s40, v0
	s_delay_alu instid0(VALU_DEP_2)
	v_sub_f32_e32 v20, v52, v16
	v_sub_f32_e32 v26, v46, v16
	;; [unrolled: 1-line block ×5, first 2 shown]
	v_mul_f32_e32 v38, 0x3fb8aa3b, v20
	v_mul_f32_e32 v46, 0x3fb8aa3b, v26
	v_sub_f32_e32 v28, v48, v16
	v_mul_f32_e32 v44, 0x3fb8aa3b, v24
	v_sub_f32_e32 v22, v42, v16
	v_fma_f32 v57, 0x3fb8aa3b, v20, -v38
	v_rndne_f32_e32 v58, v38
	v_mul_f32_e32 v48, 0x3fb8aa3b, v28
	v_rndne_f32_e32 v66, v44
	v_mul_f32_e32 v42, 0x3fb8aa3b, v22
	s_delay_alu instid0(VALU_DEP_4)
	v_dual_fmac_f32 v57, 0x32a5705f, v20 :: v_dual_sub_f32 v38, v38, v58
	v_sub_f32_e32 v29, v35, v16
	v_mul_f32_e32 v35, 0x3fb8aa3b, v17
	v_fma_f32 v73, 0x3fb8aa3b, v28, -v48
	v_rndne_f32_e32 v74, v48
	v_sub_f32_e32 v27, v47, v16
	v_fma_f32 v61, 0x3fb8aa3b, v22, -v42
	v_fma_f32 v50, 0x3fb8aa3b, v17, -v35
	v_sub_f32_e32 v19, v51, v16
	v_dual_fmac_f32 v73, 0x32a5705f, v28 :: v_dual_sub_f32 v48, v48, v74
	v_rndne_f32_e32 v62, v42
	s_delay_alu instid0(VALU_DEP_4) | instskip(NEXT) | instid1(VALU_DEP_4)
	v_fmac_f32_e32 v50, 0x32a5705f, v17
	v_mul_f32_e32 v37, 0x3fb8aa3b, v19
	v_cvt_i32_f32_e32 v74, v74
	v_dual_add_f32 v48, v48, v73 :: v_dual_sub_f32 v23, v43, v16
	v_sub_f32_e32 v42, v42, v62
	s_delay_alu instid0(VALU_DEP_4) | instskip(SKIP_1) | instid1(VALU_DEP_4)
	v_fma_f32 v55, 0x3fb8aa3b, v19, -v37
	v_sub_f32_e32 v34, v36, v16
	v_exp_f32_e32 v48, v48
	v_mul_f32_e32 v36, 0x3fb8aa3b, v18
	v_rndne_f32_e32 v51, v35
	v_fmac_f32_e32 v55, 0x32a5705f, v19
	v_fma_f32 v65, 0x3fb8aa3b, v24, -v44
	v_fma_f32 v69, 0x3fb8aa3b, v26, -v46
	v_rndne_f32_e32 v70, v46
	v_dual_sub_f32 v44, v44, v66 :: v_dual_sub_f32 v25, v45, v16
	v_fma_f32 v52, 0x3fb8aa3b, v18, -v36
	s_delay_alu instid0(TRANS32_DEP_1) | instskip(NEXT) | instid1(VALU_DEP_4)
	v_ldexp_f32 v48, v48, v74
	v_sub_f32_e32 v46, v46, v70
	v_fmac_f32_e32 v61, 0x32a5705f, v22
	v_mul_f32_e32 v43, 0x3fb8aa3b, v23
	v_rndne_f32_e32 v54, v36
	v_fmac_f32_e32 v69, 0x32a5705f, v26
	s_delay_alu instid0(VALU_DEP_4) | instskip(SKIP_3) | instid1(VALU_DEP_4)
	v_dual_sub_f32 v35, v35, v51 :: v_dual_add_f32 v42, v42, v61
	v_dual_sub_f32 v21, v41, v16 :: v_dual_fmac_f32 v52, 0x32a5705f, v18
	v_rndne_f32_e32 v56, v37
	v_sub_f32_e32 v36, v36, v54
	v_exp_f32_e32 v42, v42
	v_cvt_i32_f32_e32 v62, v62
	v_dual_add_f32 v46, v46, v69 :: v_dual_add_f32 v35, v35, v50
	s_delay_alu instid0(VALU_DEP_3) | instskip(SKIP_2) | instid1(VALU_DEP_4)
	v_dual_mul_f32 v41, 0x3fb8aa3b, v21 :: v_dual_add_f32 v36, v36, v52
	v_cvt_i32_f32_e32 v51, v51
	v_cvt_i32_f32_e32 v54, v54
	v_exp_f32_e32 v35, v35
	v_fmac_f32_e32 v65, 0x32a5705f, v24
	s_delay_alu instid0(TRANS32_DEP_2)
	v_ldexp_f32 v42, v42, v62
	v_sub_f32_e32 v37, v37, v56
	v_exp_f32_e32 v36, v36
	v_add_f32_e32 v38, v38, v57
	v_cmp_ngt_f32_e32 vcc_lo, 0xc2ce8ed0, v17
	v_dual_mul_f32 v47, 0x3fb8aa3b, v27 :: v_dual_add_f32 v44, v44, v65
	v_add_f32_e32 v37, v37, v55
	s_delay_alu instid0(TRANS32_DEP_2)
	v_ldexp_f32 v35, v35, v51
	v_cvt_i32_f32_e32 v56, v56
	v_exp_f32_e32 v38, v38
	v_cvt_i32_f32_e32 v58, v58
	v_exp_f32_e32 v37, v37
	v_ldexp_f32 v36, v36, v54
	v_cndmask_b32_e32 v35, 0, v35, vcc_lo
	v_cmp_ngt_f32_e32 vcc_lo, 0xc2ce8ed0, v18
	v_mul_f32_e32 v45, 0x3fb8aa3b, v25
	v_exp_f32_e32 v44, v44
	v_fma_f32 v59, 0x3fb8aa3b, v21, -v41
	v_rndne_f32_e32 v60, v41
	v_cndmask_b32_e32 v36, 0, v36, vcc_lo
	v_cmp_ngt_f32_e32 vcc_lo, 0xc2ce8ed0, v19
	v_ldexp_f32 v37, v37, v56
	v_cvt_i32_f32_e32 v66, v66
	v_ldexp_f32 v38, v38, v58
	v_fma_f32 v63, 0x3fb8aa3b, v23, -v43
	v_rndne_f32_e32 v64, v43
	v_cndmask_b32_e32 v37, 0, v37, vcc_lo
	v_cmp_ngt_f32_e32 vcc_lo, 0xc2ce8ed0, v20
	v_mul_f32_e32 v49, 0x3fb8aa3b, v29
	v_ldexp_f32 v44, v44, v66
	v_fmac_f32_e32 v59, 0x32a5705f, v21
	v_dual_fmac_f32 v63, 0x32a5705f, v23 :: v_dual_cndmask_b32 v38, 0, v38
	v_sub_f32_e32 v41, v41, v60
	v_cvt_i32_f32_e32 v60, v60
	v_cmp_ngt_f32_e32 vcc_lo, 0xc2ce8ed0, v21
	v_fma_f32 v67, 0x3fb8aa3b, v25, -v45
	v_rndne_f32_e32 v68, v45
	v_add_f32_e32 v41, v41, v59
	v_fma_f32 v71, 0x3fb8aa3b, v27, -v47
	v_rndne_f32_e32 v72, v47
	v_fmac_f32_e32 v67, 0x32a5705f, v25
	v_sub_f32_e32 v45, v45, v68
	v_exp_f32_e32 v41, v41
	v_fmac_f32_e32 v71, 0x32a5705f, v27
	v_sub_f32_e32 v47, v47, v72
	v_cvt_i32_f32_e32 v68, v68
	v_add_f32_e32 v45, v45, v67
	v_exp_f32_e32 v46, v46
	v_fma_f32 v75, 0x3fb8aa3b, v29, -v49
	v_add_f32_e32 v47, v47, v71
	v_cvt_i32_f32_e32 v70, v70
	v_exp_f32_e32 v45, v45
	v_ldexp_f32 v41, v41, v60
	v_cvt_i32_f32_e32 v72, v72
	v_exp_f32_e32 v47, v47
	v_fmac_f32_e32 v75, 0x32a5705f, v29
	v_sub_f32_e32 v3, v3, v16
	v_cndmask_b32_e32 v41, 0, v41, vcc_lo
	v_cmp_ngt_f32_e32 vcc_lo, 0xc2ce8ed0, v22
	v_ldexp_f32 v46, v46, v70
	v_rndne_f32_e32 v76, v49
	v_ldexp_f32 v45, v45, v68
	v_dual_cndmask_b32 v42, 0, v42 :: v_dual_sub_f32 v43, v43, v64
	v_cvt_i32_f32_e32 v64, v64
	v_cmp_ngt_f32_e32 vcc_lo, 0xc2ce8ed0, v23
	v_ldexp_f32 v47, v47, v72
	s_delay_alu instid0(VALU_DEP_4) | instskip(NEXT) | instid1(VALU_DEP_1)
	v_add_f32_e32 v43, v43, v63
	v_exp_f32_e32 v43, v43
	s_waitcnt_depctr 0xfff
	v_ldexp_f32 v43, v43, v64
	s_delay_alu instid0(VALU_DEP_1)
	v_cndmask_b32_e32 v43, 0, v43, vcc_lo
	v_cmp_ngt_f32_e32 vcc_lo, 0xc2ce8ed0, v24
	v_cndmask_b32_e32 v44, 0, v44, vcc_lo
	v_cmp_ngt_f32_e32 vcc_lo, 0xc2ce8ed0, v25
	;; [unrolled: 2-line block ×5, first 2 shown]
	v_cndmask_b32_e32 v48, 0, v48, vcc_lo
	v_cmp_nlt_f32_e32 vcc_lo, 0x42b17218, v17
	v_cndmask_b32_e32 v17, 0x7f800000, v35, vcc_lo
	v_cmp_nlt_f32_e32 vcc_lo, 0x42b17218, v18
	;; [unrolled: 2-line block ×12, first 2 shown]
	v_cndmask_b32_e32 v28, 0x7f800000, v48, vcc_lo
	v_cmp_lt_i32_e32 vcc_lo, 0, v15
	v_cndmask_b32_e32 v17, 0, v17, vcc_lo
	v_cmp_lt_i32_e32 vcc_lo, 32, v15
	;; [unrolled: 2-line block ×3, first 2 shown]
	s_waitcnt vmcnt(13)
	s_delay_alu instid0(VALU_DEP_2) | instskip(SKIP_4) | instid1(VALU_DEP_2)
	v_dual_mul_f32 v18, v31, v18 :: v_dual_cndmask_b32 v19, 0, v19
	v_cmp_lt_i32_e32 vcc_lo, 0x60, v15
	v_cndmask_b32_e32 v20, 0, v20, vcc_lo
	v_cmp_lt_i32_e32 vcc_lo, 0x80, v15
	s_waitcnt vmcnt(11)
	v_dual_mul_f32 v20, v33, v20 :: v_dual_cndmask_b32 v21, 0, v21
	v_cmp_lt_i32_e32 vcc_lo, 0xa0, v15
	v_cndmask_b32_e32 v22, 0, v22, vcc_lo
	v_cmp_lt_i32_e32 vcc_lo, 0xc0, v15
	s_waitcnt vmcnt(9)
	s_delay_alu instid0(VALU_DEP_2) | instskip(SKIP_4) | instid1(VALU_DEP_2)
	v_dual_mul_f32 v22, v40, v22 :: v_dual_cndmask_b32 v23, 0, v23
	v_cmp_lt_i32_e32 vcc_lo, 0xe0, v15
	v_cndmask_b32_e32 v24, 0, v24, vcc_lo
	v_cmp_lt_i32_e32 vcc_lo, 0x100, v15
	s_waitcnt vmcnt(7)
	v_mul_f32_e32 v5, v5, v24
	v_cndmask_b32_e32 v25, 0, v25, vcc_lo
	v_cmp_lt_i32_e32 vcc_lo, 0x120, v15
	s_waitcnt vmcnt(6)
	s_delay_alu instid0(VALU_DEP_2) | instskip(SKIP_3) | instid1(VALU_DEP_2)
	v_mul_f32_e32 v4, v4, v25
	v_cndmask_b32_e32 v26, 0, v26, vcc_lo
	v_cmp_lt_i32_e32 vcc_lo, 0x140, v15
	s_waitcnt vmcnt(5)
	v_dual_sub_f32 v25, v49, v76 :: v_dual_mul_f32 v6, v6, v26
	v_cndmask_b32_e32 v27, 0, v27, vcc_lo
	v_cmp_lt_i32_e32 vcc_lo, 0x160, v15
	s_waitcnt vmcnt(4)
	s_delay_alu instid0(VALU_DEP_2)
	v_dual_mul_f32 v26, 0x3fb8aa3b, v34 :: v_dual_mul_f32 v7, v7, v27
	v_cndmask_b32_e32 v24, 0, v28, vcc_lo
	v_dual_mul_f32 v28, 0x3fb8aa3b, v3 :: v_dual_mul_f32 v17, v30, v17
	v_cvt_i32_f32_e32 v30, v76
	v_cmp_ngt_f32_e32 vcc_lo, 0xc2ce8ed0, v29
	s_waitcnt vmcnt(3)
	v_mul_f32_e32 v8, v8, v24
	v_add_f32_e32 v24, v25, v75
	v_fma_f32 v16, 0x3fb8aa3b, v34, -v26
	v_fma_f32 v31, 0x3fb8aa3b, v3, -v28
	s_delay_alu instid0(VALU_DEP_3) | instskip(NEXT) | instid1(VALU_DEP_1)
	v_exp_f32_e32 v24, v24
	v_dual_fmac_f32 v16, 0x32a5705f, v34 :: v_dual_fmac_f32 v31, 0x32a5705f, v3
	s_waitcnt_depctr 0xfff
	v_ldexp_f32 v24, v24, v30
	s_delay_alu instid0(VALU_DEP_1) | instskip(SKIP_3) | instid1(VALU_DEP_4)
	v_cndmask_b32_e32 v24, 0, v24, vcc_lo
	v_cmp_nlt_f32_e32 vcc_lo, 0x42b17218, v29
	v_mul_f32_e32 v19, v32, v19
	v_rndne_f32_e32 v32, v28
	v_dual_cndmask_b32 v24, 0x7f800000, v24 :: v_dual_add_f32 v27, v17, v18
	v_cmp_lt_i32_e32 vcc_lo, 0x180, v15
	s_delay_alu instid0(VALU_DEP_2) | instskip(SKIP_1) | instid1(VALU_DEP_4)
	v_add_f32_e32 v25, v27, v19
	v_rndne_f32_e32 v27, v26
	v_dual_cndmask_b32 v24, 0, v24 :: v_dual_mul_f32 v21, v39, v21
	v_cmp_ngt_f32_e32 vcc_lo, 0xc2ce8ed0, v34
	s_delay_alu instid0(VALU_DEP_3) | instskip(SKIP_3) | instid1(VALU_DEP_3)
	v_dual_add_f32 v25, v25, v20 :: v_dual_sub_f32 v26, v26, v27
	v_cvt_i32_f32_e32 v27, v27
	s_waitcnt vmcnt(2)
	v_mul_f32_e32 v9, v9, v24
	v_dual_add_f32 v25, v25, v21 :: v_dual_add_f32 v16, v26, v16
	s_delay_alu instid0(VALU_DEP_1) | instskip(NEXT) | instid1(VALU_DEP_2)
	v_dual_sub_f32 v26, v28, v32 :: v_dual_add_f32 v25, v25, v22
	v_exp_f32_e32 v16, v16
	s_delay_alu instid0(VALU_DEP_1) | instskip(NEXT) | instid1(VALU_DEP_1)
	v_add_f32_e32 v26, v26, v31
	v_exp_f32_e32 v26, v26
	s_waitcnt_depctr 0xfff
	v_ldexp_f32 v16, v16, v27
	v_cvt_i32_f32_e32 v27, v32
	s_delay_alu instid0(VALU_DEP_2) | instskip(SKIP_1) | instid1(VALU_DEP_3)
	v_dual_cndmask_b32 v16, 0, v16 :: v_dual_mul_f32 v23, v53, v23
	v_cmp_nlt_f32_e32 vcc_lo, 0x42b17218, v34
	v_ldexp_f32 v24, v26, v27
	s_delay_alu instid0(VALU_DEP_3) | instskip(SKIP_1) | instid1(VALU_DEP_2)
	v_dual_add_f32 v25, v25, v23 :: v_dual_cndmask_b32 v16, 0x7f800000, v16
	v_cmp_ngt_f32_e32 vcc_lo, 0xc2ce8ed0, v3
	v_dual_add_f32 v25, v25, v5 :: v_dual_cndmask_b32 v24, 0, v24
	v_cmp_lt_i32_e32 vcc_lo, 0x1a0, v15
	s_delay_alu instid0(VALU_DEP_2) | instskip(SKIP_2) | instid1(VALU_DEP_3)
	v_add_f32_e32 v25, v25, v4
	v_cndmask_b32_e32 v16, 0, v16, vcc_lo
	v_cmp_nlt_f32_e32 vcc_lo, 0x42b17218, v3
	v_add_f32_e32 v25, v25, v6
	s_waitcnt vmcnt(1)
	s_delay_alu instid0(VALU_DEP_3) | instskip(SKIP_1) | instid1(VALU_DEP_3)
	v_mul_f32_e32 v13, v13, v16
	v_cndmask_b32_e32 v3, 0x7f800000, v24, vcc_lo
	v_add_f32_e32 v25, v25, v7
	v_cmp_lt_i32_e32 vcc_lo, 0x1c0, v15
	s_delay_alu instid0(VALU_DEP_2) | instskip(NEXT) | instid1(VALU_DEP_1)
	v_dual_add_f32 v24, v25, v8 :: v_dual_cndmask_b32 v3, 0, v3
	v_add_f32_e32 v15, v24, v9
	s_waitcnt vmcnt(0)
	s_delay_alu instid0(VALU_DEP_1) | instskip(NEXT) | instid1(VALU_DEP_1)
	v_dual_mul_f32 v3, v14, v3 :: v_dual_add_f32 v14, v15, v13
	v_add_f32_e32 v14, v14, v3
	ds_bpermute_b32 v2, v2, v14
	s_waitcnt lgkmcnt(0)
	v_add_f32_e32 v2, v14, v2
	ds_bpermute_b32 v1, v1, v2
	s_waitcnt lgkmcnt(0)
	v_add_f32_e32 v1, v2, v1
	ds_bpermute_b32 v2, v10, v1
	v_lshlrev_b32_e32 v10, 2, v0
	ds_store_2addr_b32 v10, v17, v18 offset1:32
	s_waitcnt lgkmcnt(1)
	v_add_f32_e32 v1, v1, v2
	ds_bpermute_b32 v2, v11, v1
	v_add_nc_u32_e32 v11, 0x400, v10
	ds_store_2addr_b32 v10, v19, v20 offset0:64 offset1:96
	ds_store_2addr_b32 v10, v21, v22 offset0:128 offset1:160
	;; [unrolled: 1-line block ×3, first 2 shown]
	ds_store_2addr_b32 v11, v4, v6 offset1:32
	ds_store_2addr_b32 v11, v7, v8 offset0:64 offset1:96
	ds_store_2addr_b32 v11, v9, v13 offset0:128 offset1:160
	ds_store_b32 v10, v3 offset:1792
	s_waitcnt lgkmcnt(7)
	v_add_f32_e32 v1, v1, v2
	ds_bpermute_b32 v2, v12, v1
	v_cmpx_eq_u32_e32 0, v0
	s_cbranch_execz .LBB92_8
; %bb.7:
	s_waitcnt lgkmcnt(0)
	v_dual_add_f32 v1, v1, v2 :: v_dual_mov_b32 v2, 0
	ds_store_b32 v2, v1 offset:1920
.LBB92_8:
	s_or_b32 exec_lo, exec_lo, s7
	v_mov_b32_e32 v1, s6
.LBB92_9:
	s_or_b32 exec_lo, exec_lo, s24
	s_lshl_b32 s6, s18, 6
	s_mov_b32 s7, 0
	s_waitcnt lgkmcnt(0)
	v_dual_mov_b32 v2, 0 :: v_dual_lshlrev_b32 v1, 6, v1
	s_lshl_b64 s[6:7], s[6:7], 1
	v_lshlrev_b32_e32 v0, 1, v0
	s_add_u32 s34, s4, s6
	s_addc_u32 s35, s5, s7
	s_lshl_b32 s41, s40, 6
	v_lshlrev_b64 v[3:4], 1, v[1:2]
	s_sub_i32 s42, s41, 64
	s_cmpk_lt_i32 s22, 0x100
	v_dual_mov_b32 v30, 0 :: v_dual_mov_b32 v33, 0
	s_cselect_b32 s4, s42, 0
	s_delay_alu instid0(VALU_DEP_2)
	v_add_co_u32 v1, vcc_lo, s34, v3
	s_ashr_i32 s5, s4, 31
	v_add_co_ci_u32_e32 v3, vcc_lo, s35, v4, vcc_lo
	s_lshl_b64 s[4:5], s[4:5], 1
	s_cmpk_lt_i32 s22, 0x200
	v_add_co_u32 v1, vcc_lo, v1, v0
	s_cselect_b32 s6, s42, 64
	v_add_co_ci_u32_e32 v3, vcc_lo, 0, v3, vcc_lo
	s_ashr_i32 s7, s6, 31
	s_delay_alu instid0(VALU_DEP_2)
	v_add_co_u32 v4, vcc_lo, v1, s4
	s_lshl_b64 s[6:7], s[6:7], 1
	s_cmpk_lt_i32 s22, 0x300
	v_add_co_ci_u32_e32 v5, vcc_lo, s5, v3, vcc_lo
	s_cselect_b32 s8, s42, 0x80
	v_add_co_u32 v8, vcc_lo, v1, s6
	s_ashr_i32 s9, s8, 31
	v_add_co_ci_u32_e32 v9, vcc_lo, s7, v3, vcc_lo
	s_lshl_b64 s[8:9], s[8:9], 1
	s_cmpk_lt_i32 s22, 0x400
	v_add_co_u32 v10, vcc_lo, v1, s8
	s_cselect_b32 s10, s42, 0xc0
	v_add_co_ci_u32_e32 v11, vcc_lo, s9, v3, vcc_lo
	s_ashr_i32 s11, s10, 31
	v_dual_mov_b32 v32, 0 :: v_dual_mov_b32 v35, 0
	s_lshl_b64 s[10:11], s[10:11], 1
	s_cmpk_lt_i32 s22, 0x500
	v_add_co_u32 v12, vcc_lo, v1, s10
	s_cselect_b32 s18, s42, 0x100
	v_add_co_ci_u32_e32 v13, vcc_lo, s11, v3, vcc_lo
	s_ashr_i32 s19, s18, 31
	v_mov_b32_e32 v34, 0
	s_lshl_b64 s[18:19], s[18:19], 1
	s_cmpk_lt_i32 s22, 0x600
	v_add_co_u32 v14, vcc_lo, v1, s18
	s_cselect_b32 s20, s42, 0x140
	v_add_co_ci_u32_e32 v15, vcc_lo, s19, v3, vcc_lo
	s_ashr_i32 s21, s20, 31
	v_mov_b32_e32 v29, 0
	;; [unrolled: 7-line block ×3, first 2 shown]
	s_lshl_b64 s[24:25], s[24:25], 1
	s_cmpk_lt_i32 s22, 0x800
	v_add_co_u32 v18, vcc_lo, v1, s24
	s_cselect_b32 s26, s42, 0x1c0
	v_add_co_ci_u32_e32 v19, vcc_lo, s25, v3, vcc_lo
	s_ashr_i32 s27, s26, 31
	s_delay_alu instid0(SALU_CYCLE_1)
	s_lshl_b64 s[26:27], s[26:27], 1
	s_cmpk_lt_i32 s22, 0x900
	v_add_co_u32 v20, vcc_lo, v1, s26
	s_cselect_b32 s28, s42, 0x200
	v_add_co_ci_u32_e32 v21, vcc_lo, s27, v3, vcc_lo
	s_ashr_i32 s29, s28, 31
	s_clause 0x7
	global_load_u16 v7, v[4:5], off
	global_load_u16 v8, v[8:9], off
	;; [unrolled: 1-line block ×8, first 2 shown]
	s_lshl_b64 s[28:29], s[28:29], 1
	s_cmpk_lt_i32 s22, 0xa00
	v_add_co_u32 v12, vcc_lo, v1, s28
	s_cselect_b32 s30, s42, 0x240
	v_add_co_ci_u32_e32 v13, vcc_lo, s29, v3, vcc_lo
	s_ashr_i32 s31, s30, 31
	s_delay_alu instid0(SALU_CYCLE_1)
	s_lshl_b64 s[30:31], s[30:31], 1
	s_cmpk_lt_i32 s22, 0xb00
	v_add_co_u32 v15, vcc_lo, v1, s30
	s_cselect_b32 s34, s42, 0x280
	v_add_co_ci_u32_e32 v16, vcc_lo, s31, v3, vcc_lo
	s_ashr_i32 s35, s34, 31
	s_delay_alu instid0(SALU_CYCLE_1)
	;; [unrolled: 7-line block ×7, first 2 shown]
	s_lshl_b64 s[4:5], s[6:7], 1
	s_cmpk_gt_i32 s23, 0x1000
	v_add_co_u32 v27, vcc_lo, v1, s4
	v_add_co_ci_u32_e32 v28, vcc_lo, s5, v3, vcc_lo
	s_clause 0x7
	global_load_u16 v14, v[12:13], off
	global_load_u16 v15, v[15:16], off
	global_load_u16 v16, v[17:18], off
	global_load_u16 v17, v[19:20], off
	global_load_u16 v18, v[21:22], off
	global_load_u16 v12, v[23:24], off
	global_load_u16 v13, v[25:26], off
	global_load_u16 v19, v[27:28], off
	v_dual_mov_b32 v20, 0 :: v_dual_mov_b32 v23, 0
	v_dual_mov_b32 v21, 0 :: v_dual_mov_b32 v22, 0
	;; [unrolled: 1-line block ×4, first 2 shown]
	v_mov_b32_e32 v28, 0
	s_cselect_b32 s8, -1, 0
	s_cmpk_lt_i32 s23, 0x1001
	s_waitcnt vmcnt(0)
	s_barrier
	buffer_gl0_inv
	s_cbranch_scc1 .LBB92_11
; %bb.10:
	s_cmpk_lt_i32 s22, 0x1100
	s_cselect_b32 s4, s42, 0x400
	s_delay_alu instid0(SALU_CYCLE_1) | instskip(NEXT) | instid1(SALU_CYCLE_1)
	s_ashr_i32 s5, s4, 31
	s_lshl_b64 s[4:5], s[4:5], 1
	s_cmpk_lt_i32 s22, 0x1200
	v_add_co_u32 v20, vcc_lo, v1, s4
	s_cselect_b32 s6, s42, 0x440
	v_add_co_ci_u32_e32 v21, vcc_lo, s5, v3, vcc_lo
	s_ashr_i32 s7, s6, 31
	s_delay_alu instid0(SALU_CYCLE_1)
	s_lshl_b64 s[6:7], s[6:7], 1
	s_cmpk_lt_i32 s22, 0x1300
	v_add_co_u32 v22, vcc_lo, v1, s6
	s_cselect_b32 s10, s42, 0x480
	v_add_co_ci_u32_e32 v23, vcc_lo, s7, v3, vcc_lo
	s_ashr_i32 s11, s10, 31
	s_delay_alu instid0(SALU_CYCLE_1)
	;; [unrolled: 7-line block ×7, first 2 shown]
	s_lshl_b64 s[28:29], s[28:29], 1
	s_cmpk_lt_i32 s22, 0x1900
	v_add_co_u32 v34, vcc_lo, v1, s28
	s_cselect_b32 s30, s42, 0x600
	v_add_co_ci_u32_e32 v35, vcc_lo, s29, v3, vcc_lo
	s_ashr_i32 s31, s30, 31
	s_clause 0x7
	global_load_u16 v36, v[20:21], off
	global_load_u16 v37, v[22:23], off
	;; [unrolled: 1-line block ×8, first 2 shown]
	s_lshl_b64 s[30:31], s[30:31], 1
	s_cmpk_lt_i32 s22, 0x1a00
	v_add_co_u32 v20, vcc_lo, v1, s30
	s_cselect_b32 s34, s42, 0x640
	v_add_co_ci_u32_e32 v21, vcc_lo, s31, v3, vcc_lo
	s_ashr_i32 s35, s34, 31
	s_delay_alu instid0(SALU_CYCLE_1)
	s_lshl_b64 s[34:35], s[34:35], 1
	s_cmpk_lt_i32 s22, 0x1b00
	v_add_co_u32 v22, vcc_lo, v1, s34
	s_cselect_b32 s36, s42, 0x680
	v_add_co_ci_u32_e32 v23, vcc_lo, s35, v3, vcc_lo
	s_ashr_i32 s37, s36, 31
	s_delay_alu instid0(SALU_CYCLE_1)
	;; [unrolled: 7-line block ×6, first 2 shown]
	s_lshl_b64 s[4:5], s[20:21], 1
	s_cmpk_lt_i32 s22, 0x2000
	v_add_co_u32 v32, vcc_lo, v1, s4
	s_cselect_b32 s6, s42, 0x7c0
	v_add_co_ci_u32_e32 v33, vcc_lo, s5, v3, vcc_lo
	s_ashr_i32 s7, s6, 31
	s_delay_alu instid0(SALU_CYCLE_1) | instskip(NEXT) | instid1(SALU_CYCLE_1)
	s_lshl_b64 s[4:5], s[6:7], 1
	v_add_co_u32 v34, vcc_lo, v1, s4
	v_add_co_ci_u32_e32 v35, vcc_lo, s5, v3, vcc_lo
	s_clause 0x7
	global_load_u16 v20, v[20:21], off
	global_load_u16 v21, v[22:23], off
	;; [unrolled: 1-line block ×8, first 2 shown]
	s_waitcnt vmcnt(15)
	v_cvt_f32_f16_e32 v35, v36
	s_waitcnt vmcnt(14)
	v_cvt_f32_f16_e32 v34, v37
	;; [unrolled: 2-line block ×16, first 2 shown]
.LBB92_11:
	ds_load_b128 v[36:39], v2
	ds_load_b128 v[40:43], v2 offset:16
	s_load_b64 s[0:1], s[0:1], 0x0
	s_and_b32 vcc_lo, exec_lo, s8
	s_waitcnt lgkmcnt(0)
	v_fma_mix_f32 v7, v36, v7, 0 op_sel_hi:[0,1,0]
	s_delay_alu instid0(VALU_DEP_1) | instskip(NEXT) | instid1(VALU_DEP_1)
	v_fma_mix_f32 v7, v37, v8, v7 op_sel_hi:[0,1,0]
	v_fma_mix_f32 v7, v38, v9, v7 op_sel_hi:[0,1,0]
	s_delay_alu instid0(VALU_DEP_1) | instskip(SKIP_4) | instid1(VALU_DEP_1)
	v_fma_mix_f32 v7, v39, v10, v7 op_sel_hi:[0,1,0]
	ds_load_b128 v[36:39], v2 offset:48
	v_fma_mix_f32 v11, v40, v11, v7 op_sel_hi:[0,1,0]
	ds_load_b128 v[7:10], v2 offset:32
	v_fma_mix_f32 v4, v41, v4, v11 op_sel_hi:[0,1,0]
	v_fma_mix_f32 v4, v42, v5, v4 op_sel_hi:[0,1,0]
	s_delay_alu instid0(VALU_DEP_1) | instskip(SKIP_1) | instid1(VALU_DEP_1)
	v_fma_mix_f32 v4, v43, v6, v4 op_sel_hi:[0,1,0]
	s_waitcnt lgkmcnt(0)
	v_fma_mix_f32 v4, v7, v14, v4 op_sel_hi:[0,1,0]
	s_delay_alu instid0(VALU_DEP_1) | instskip(NEXT) | instid1(VALU_DEP_1)
	v_fma_mix_f32 v4, v8, v15, v4 op_sel_hi:[0,1,0]
	v_fma_mix_f32 v4, v9, v16, v4 op_sel_hi:[0,1,0]
	s_delay_alu instid0(VALU_DEP_1) | instskip(NEXT) | instid1(VALU_DEP_1)
	v_fma_mix_f32 v4, v10, v17, v4 op_sel_hi:[0,1,0]
	;; [unrolled: 3-line block ×3, first 2 shown]
	v_fma_mix_f32 v4, v38, v13, v4 op_sel_hi:[0,1,0]
	s_delay_alu instid0(VALU_DEP_1)
	v_fma_mix_f32 v4, v39, v19, v4 op_sel_hi:[0,1,0]
	s_cbranch_vccz .LBB92_13
; %bb.12:
	ds_load_b128 v[5:8], v2 offset:64
	ds_load_b128 v[9:12], v2 offset:80
	s_waitcnt lgkmcnt(1)
	v_fmac_f32_e32 v4, v5, v35
	s_delay_alu instid0(VALU_DEP_1) | instskip(NEXT) | instid1(VALU_DEP_1)
	v_fmac_f32_e32 v4, v6, v34
	v_fmac_f32_e32 v4, v7, v33
	s_delay_alu instid0(VALU_DEP_1) | instskip(SKIP_3) | instid1(VALU_DEP_1)
	v_fmac_f32_e32 v4, v8, v32
	ds_load_b128 v[5:8], v2 offset:96
	s_waitcnt lgkmcnt(1)
	v_fmac_f32_e32 v4, v9, v31
	v_fmac_f32_e32 v4, v10, v30
	s_delay_alu instid0(VALU_DEP_1) | instskip(NEXT) | instid1(VALU_DEP_1)
	v_fmac_f32_e32 v4, v11, v29
	v_fmac_f32_e32 v4, v12, v28
	ds_load_b128 v[9:12], v2 offset:112
	s_waitcnt lgkmcnt(1)
	v_fmac_f32_e32 v4, v5, v27
	s_delay_alu instid0(VALU_DEP_1) | instskip(NEXT) | instid1(VALU_DEP_1)
	v_fmac_f32_e32 v4, v6, v26
	v_fmac_f32_e32 v4, v7, v25
	s_delay_alu instid0(VALU_DEP_1) | instskip(SKIP_1) | instid1(VALU_DEP_1)
	v_fmac_f32_e32 v4, v8, v24
	s_waitcnt lgkmcnt(0)
	v_fmac_f32_e32 v4, v9, v23
	s_delay_alu instid0(VALU_DEP_1) | instskip(NEXT) | instid1(VALU_DEP_1)
	v_fmac_f32_e32 v4, v10, v22
	v_fmac_f32_e32 v4, v11, v21
	s_delay_alu instid0(VALU_DEP_1)
	v_fmac_f32_e32 v4, v12, v20
.LBB92_13:
	s_movk_i32 s43, 0xfc0
	s_movk_i32 s44, 0x80
	s_mov_b32 s45, 32
	s_branch .LBB92_15
.LBB92_14:                              ;   in Loop: Header=BB92_15 Depth=1
	s_addk_i32 s43, 0x800
	s_addk_i32 s44, 0x80
	s_add_i32 s45, s45, 32
	s_cmpk_eq_i32 s43, 0x7fc0
	s_cbranch_scc1 .LBB92_17
.LBB92_15:                              ; =>This Inner Loop Header: Depth=1
	s_cmp_le_i32 s40, s45
	s_cbranch_scc1 .LBB92_14
; %bb.16:                               ;   in Loop: Header=BB92_15 Depth=1
	s_add_i32 s4, s43, 0xfffff840
	v_mov_b32_e32 v44, s44
	s_cmp_lt_i32 s4, s41
	s_cselect_b32 s4, s4, s42
	s_add_i32 s6, s43, 0xfffff880
	s_ashr_i32 s5, s4, 31
	s_delay_alu instid0(SALU_CYCLE_1)
	s_lshl_b64 s[4:5], s[4:5], 1
	s_cmp_lt_i32 s6, s41
	v_add_co_u32 v5, vcc_lo, v1, s4
	s_cselect_b32 s6, s6, s42
	s_add_i32 s10, s43, 0xfffff8c0
	s_ashr_i32 s7, s6, 31
	v_add_co_ci_u32_e32 v6, vcc_lo, s5, v3, vcc_lo
	s_lshl_b64 s[8:9], s[6:7], 1
	s_cmp_lt_i32 s10, s41
	v_add_co_u32 v7, vcc_lo, v1, s8
	s_cselect_b32 s6, s10, s42
	s_add_i32 s10, s43, 0xfffff900
	s_ashr_i32 s7, s6, 31
	v_add_co_ci_u32_e32 v8, vcc_lo, s9, v3, vcc_lo
	;; [unrolled: 7-line block ×8, first 2 shown]
	s_lshl_b64 s[24:25], s[20:21], 1
	s_cmp_lt_i32 s28, s41
	s_clause 0x7
	global_load_u16 v2, v[5:6], off
	global_load_u16 v21, v[7:8], off
	;; [unrolled: 1-line block ×8, first 2 shown]
	s_cselect_b32 s20, s28, s42
	s_add_i32 s28, s43, 0xfffffac0
	s_ashr_i32 s21, s20, 31
	v_add_co_u32 v5, vcc_lo, v1, s24
	s_lshl_b64 s[20:21], s[20:21], 1
	s_cmp_lt_i32 s28, s41
	v_add_co_ci_u32_e32 v6, vcc_lo, s25, v3, vcc_lo
	s_cselect_b32 s28, s28, s42
	s_add_i32 s36, s43, 0xfffffb00
	s_ashr_i32 s29, s28, 31
	v_add_co_u32 v7, vcc_lo, v1, s20
	s_lshl_b64 s[30:31], s[28:29], 1
	s_cmp_lt_i32 s36, s41
	v_add_co_ci_u32_e32 v8, vcc_lo, s21, v3, vcc_lo
	;; [unrolled: 7-line block ×8, first 2 shown]
	s_cselect_b32 s10, s10, s42
	s_add_i32 s18, s43, 0xfffffcc0
	s_ashr_i32 s11, s10, 31
	s_clause 0x7
	global_load_u16 v28, v[5:6], off
	global_load_u16 v29, v[7:8], off
	;; [unrolled: 1-line block ×8, first 2 shown]
	s_lshl_b64 s[10:11], s[10:11], 1
	s_cmp_lt_i32 s18, s41
	v_add_co_u32 v5, vcc_lo, v1, s4
	s_cselect_b32 s18, s18, s42
	s_add_i32 s22, s43, 0xfffffd00
	s_ashr_i32 s19, s18, 31
	v_add_co_ci_u32_e32 v6, vcc_lo, s5, v3, vcc_lo
	s_lshl_b64 s[18:19], s[18:19], 1
	s_cmp_lt_i32 s22, s41
	v_add_co_u32 v7, vcc_lo, v1, s10
	s_cselect_b32 s20, s22, s42
	s_add_i32 s22, s43, 0xfffffd40
	s_ashr_i32 s21, s20, 31
	v_add_co_ci_u32_e32 v8, vcc_lo, s11, v3, vcc_lo
	;; [unrolled: 7-line block ×5, first 2 shown]
	s_lshl_b64 s[6:7], s[6:7], 1
	s_cmp_lt_i32 s24, s41
	s_clause 0x4
	global_load_u16 v19, v[5:6], off
	global_load_u16 v20, v[7:8], off
	;; [unrolled: 1-line block ×5, first 2 shown]
	s_cselect_b32 s4, s24, s42
	s_add_i32 s10, s43, 0xfffffe40
	s_ashr_i32 s5, s4, 31
	v_add_co_u32 v5, vcc_lo, v1, s8
	s_lshl_b64 s[4:5], s[4:5], 1
	s_cmp_lt_i32 s10, s41
	v_add_co_ci_u32_e32 v6, vcc_lo, s9, v3, vcc_lo
	s_cselect_b32 s10, s10, s42
	s_add_i32 s18, s43, 0xfffffe80
	s_ashr_i32 s11, s10, 31
	v_add_co_u32 v7, vcc_lo, v1, s6
	s_lshl_b64 s[10:11], s[10:11], 1
	s_cmp_lt_i32 s18, s41
	v_add_co_ci_u32_e32 v8, vcc_lo, s7, v3, vcc_lo
	s_cselect_b32 s18, s18, s42
	s_add_i32 s20, s43, 0xfffffec0
	s_ashr_i32 s19, s18, 31
	v_add_co_u32 v9, vcc_lo, v1, s4
	s_lshl_b64 s[18:19], s[18:19], 1
	s_cmp_lt_i32 s20, s41
	global_load_u16 v37, v[5:6], off
	s_cselect_b32 s8, s20, s42
	s_add_i32 s20, s43, 0xffffff00
	s_ashr_i32 s9, s8, 31
	v_add_co_ci_u32_e32 v10, vcc_lo, s5, v3, vcc_lo
	s_lshl_b64 s[6:7], s[8:9], 1
	s_cmp_lt_i32 s20, s41
	v_add_co_u32 v11, vcc_lo, v1, s10
	s_cselect_b32 s4, s20, s42
	s_clause 0x1
	global_load_u16 v38, v[7:8], off
	global_load_u16 v39, v[9:10], off
	v_add_co_ci_u32_e32 v12, vcc_lo, s11, v3, vcc_lo
	s_ashr_i32 s5, s4, 31
	s_add_i32 s8, s43, 0xffffff40
	v_add_co_u32 v13, vcc_lo, v1, s18
	s_lshl_b64 s[4:5], s[4:5], 1
	s_cmp_lt_i32 s8, s41
	v_add_co_ci_u32_e32 v14, vcc_lo, s19, v3, vcc_lo
	v_add_co_u32 v15, vcc_lo, v1, s6
	s_cselect_b32 s8, s8, s42
	v_add_co_ci_u32_e32 v16, vcc_lo, s7, v3, vcc_lo
	s_ashr_i32 s9, s8, 31
	s_add_i32 s10, s43, 0xffffff80
	s_lshl_b64 s[6:7], s[8:9], 1
	s_clause 0x2
	global_load_u16 v40, v[11:12], off
	global_load_u16 v13, v[13:14], off
	;; [unrolled: 1-line block ×3, first 2 shown]
	s_cmp_lt_i32 s10, s41
	v_add_co_u32 v5, vcc_lo, v1, s4
	s_cselect_b32 s8, s10, s42
	s_sub_i32 s10, s43, 64
	s_ashr_i32 s9, s8, 31
	v_add_co_ci_u32_e32 v6, vcc_lo, s5, v3, vcc_lo
	s_lshl_b64 s[8:9], s[8:9], 1
	s_cmp_lt_i32 s10, s41
	v_add_co_u32 v7, vcc_lo, v1, s6
	s_cselect_b32 s4, s10, s42
	v_add_co_ci_u32_e32 v8, vcc_lo, s7, v3, vcc_lo
	s_ashr_i32 s5, s4, 31
	v_add_co_u32 v9, vcc_lo, v1, s8
	global_load_u16 v15, v[5:6], off
	s_lshl_b64 s[4:5], s[4:5], 1
	v_add_co_ci_u32_e32 v10, vcc_lo, s9, v3, vcc_lo
	s_cmp_lt_i32 s43, s41
	s_clause 0x1
	global_load_u16 v16, v[7:8], off
	global_load_u16 v41, v[9:10], off
	s_cselect_b32 s6, s43, s42
	v_add_co_u32 v5, vcc_lo, v1, s4
	s_ashr_i32 s7, s6, 31
	v_add_co_ci_u32_e32 v6, vcc_lo, s5, v3, vcc_lo
	s_lshl_b64 s[4:5], s[6:7], 1
	s_delay_alu instid0(SALU_CYCLE_1)
	v_add_co_u32 v7, vcc_lo, v1, s4
	v_add_co_ci_u32_e32 v8, vcc_lo, s5, v3, vcc_lo
	s_clause 0x1
	global_load_u16 v42, v[5:6], off
	global_load_u16 v43, v[7:8], off
	ds_load_b128 v[5:8], v44
	ds_load_b128 v[9:12], v44 offset:16
	s_waitcnt vmcnt(31) lgkmcnt(1)
	v_fma_mix_f32 v2, v5, v2, v4 op_sel_hi:[0,1,0]
	s_waitcnt vmcnt(30)
	s_delay_alu instid0(VALU_DEP_1) | instskip(SKIP_1) | instid1(VALU_DEP_1)
	v_fma_mix_f32 v2, v6, v21, v2 op_sel_hi:[0,1,0]
	s_waitcnt vmcnt(29)
	v_fma_mix_f32 v2, v7, v22, v2 op_sel_hi:[0,1,0]
	ds_load_b128 v[4:7], v44 offset:32
	s_waitcnt vmcnt(28)
	v_fma_mix_f32 v2, v8, v23, v2 op_sel_hi:[0,1,0]
	s_waitcnt vmcnt(27) lgkmcnt(1)
	s_delay_alu instid0(VALU_DEP_1) | instskip(SKIP_1) | instid1(VALU_DEP_1)
	v_fma_mix_f32 v2, v9, v24, v2 op_sel_hi:[0,1,0]
	s_waitcnt vmcnt(26)
	v_fma_mix_f32 v2, v10, v25, v2 op_sel_hi:[0,1,0]
	s_waitcnt vmcnt(25)
	s_delay_alu instid0(VALU_DEP_1) | instskip(SKIP_4) | instid1(VALU_DEP_1)
	v_fma_mix_f32 v2, v11, v26, v2 op_sel_hi:[0,1,0]
	ds_load_b128 v[8:11], v44 offset:48
	s_waitcnt vmcnt(24)
	v_fma_mix_f32 v2, v12, v27, v2 op_sel_hi:[0,1,0]
	s_waitcnt vmcnt(23) lgkmcnt(1)
	v_fma_mix_f32 v2, v4, v28, v2 op_sel_hi:[0,1,0]
	s_waitcnt vmcnt(22)
	s_delay_alu instid0(VALU_DEP_1) | instskip(SKIP_1) | instid1(VALU_DEP_1)
	v_fma_mix_f32 v2, v5, v29, v2 op_sel_hi:[0,1,0]
	s_waitcnt vmcnt(21)
	v_fma_mix_f32 v2, v6, v30, v2 op_sel_hi:[0,1,0]
	s_waitcnt vmcnt(20)
	s_delay_alu instid0(VALU_DEP_1) | instskip(SKIP_4) | instid1(VALU_DEP_1)
	v_fma_mix_f32 v2, v7, v31, v2 op_sel_hi:[0,1,0]
	ds_load_b128 v[4:7], v44 offset:64
	s_waitcnt vmcnt(19) lgkmcnt(1)
	v_fma_mix_f32 v2, v8, v32, v2 op_sel_hi:[0,1,0]
	s_waitcnt vmcnt(18)
	v_fma_mix_f32 v2, v9, v33, v2 op_sel_hi:[0,1,0]
	s_waitcnt vmcnt(17)
	s_delay_alu instid0(VALU_DEP_1) | instskip(SKIP_1) | instid1(VALU_DEP_1)
	v_fma_mix_f32 v2, v10, v17, v2 op_sel_hi:[0,1,0]
	s_waitcnt vmcnt(16)
	v_fma_mix_f32 v2, v11, v18, v2 op_sel_hi:[0,1,0]
	ds_load_b128 v[8:11], v44 offset:80
	s_waitcnt vmcnt(15) lgkmcnt(1)
	v_fma_mix_f32 v2, v4, v19, v2 op_sel_hi:[0,1,0]
	s_waitcnt vmcnt(14)
	s_delay_alu instid0(VALU_DEP_1) | instskip(SKIP_1) | instid1(VALU_DEP_1)
	v_fma_mix_f32 v2, v5, v20, v2 op_sel_hi:[0,1,0]
	s_waitcnt vmcnt(13)
	v_fma_mix_f32 v2, v6, v34, v2 op_sel_hi:[0,1,0]
	s_waitcnt vmcnt(12)
	s_delay_alu instid0(VALU_DEP_1) | instskip(SKIP_4) | instid1(VALU_DEP_1)
	v_fma_mix_f32 v2, v7, v35, v2 op_sel_hi:[0,1,0]
	ds_load_b128 v[4:7], v44 offset:96
	s_waitcnt vmcnt(11) lgkmcnt(1)
	v_fma_mix_f32 v2, v8, v36, v2 op_sel_hi:[0,1,0]
	s_waitcnt vmcnt(10)
	v_fma_mix_f32 v2, v9, v37, v2 op_sel_hi:[0,1,0]
	s_waitcnt vmcnt(9)
	s_delay_alu instid0(VALU_DEP_1) | instskip(SKIP_1) | instid1(VALU_DEP_1)
	v_fma_mix_f32 v2, v10, v38, v2 op_sel_hi:[0,1,0]
	s_waitcnt vmcnt(8)
	v_fma_mix_f32 v2, v11, v39, v2 op_sel_hi:[0,1,0]
	ds_load_b128 v[8:11], v44 offset:112
	s_waitcnt vmcnt(7) lgkmcnt(1)
	v_fma_mix_f32 v2, v4, v40, v2 op_sel_hi:[0,1,0]
	s_waitcnt vmcnt(6)
	s_delay_alu instid0(VALU_DEP_1) | instskip(SKIP_1) | instid1(VALU_DEP_1)
	v_fma_mix_f32 v2, v5, v13, v2 op_sel_hi:[0,1,0]
	s_waitcnt vmcnt(5)
	v_fma_mix_f32 v2, v6, v14, v2 op_sel_hi:[0,1,0]
	s_waitcnt vmcnt(4)
	s_delay_alu instid0(VALU_DEP_1) | instskip(SKIP_1) | instid1(VALU_DEP_1)
	v_fma_mix_f32 v2, v7, v15, v2 op_sel_hi:[0,1,0]
	s_waitcnt vmcnt(3) lgkmcnt(0)
	v_fma_mix_f32 v2, v8, v16, v2 op_sel_hi:[0,1,0]
	s_waitcnt vmcnt(2)
	s_delay_alu instid0(VALU_DEP_1) | instskip(SKIP_1) | instid1(VALU_DEP_1)
	v_fma_mix_f32 v2, v9, v41, v2 op_sel_hi:[0,1,0]
	s_waitcnt vmcnt(1)
	v_fma_mix_f32 v2, v10, v42, v2 op_sel_hi:[0,1,0]
	s_waitcnt vmcnt(0)
	s_delay_alu instid0(VALU_DEP_1)
	v_fma_mix_f32 v4, v11, v43, v2 op_sel_hi:[0,1,0]
	s_branch .LBB92_14
.LBB92_17:
	v_mov_b32_e32 v1, 0
	s_and_b32 vcc_lo, exec_lo, s15
	ds_load_b32 v1, v1 offset:1920
	s_cbranch_vccz .LBB92_19
; %bb.18:
	s_add_u32 s2, s12, s16
	s_addc_u32 s3, s13, s17
	s_load_b32 s2, s[2:3], 0x0
	s_mov_b32 s3, 0
.LBB92_19:
	s_waitcnt lgkmcnt(0)
	v_add_f32_e32 v1, 0x358637bd, v1
	s_mul_i32 s3, s33, s3
	s_mul_hi_u32 s4, s33, s2
	s_mul_i32 s2, s33, s2
	s_add_i32 s3, s4, s3
	v_div_scale_f32 v2, null, v1, v1, 1.0
	s_lshl_b64 s[2:3], s[2:3], 7
	s_mov_b32 s15, 0
	s_add_u32 s2, s0, s2
	s_delay_alu instid0(VALU_DEP_1) | instskip(SKIP_2) | instid1(SALU_CYCLE_1)
	v_rcp_f32_e32 v3, v2
	s_addc_u32 s3, s1, s3
	s_lshl_b64 s[0:1], s[14:15], 7
	s_add_u32 s0, s2, s0
	s_addc_u32 s1, s3, s1
	s_waitcnt_depctr 0xfff
	v_fma_f32 v5, -v2, v3, 1.0
	s_delay_alu instid0(VALU_DEP_1) | instskip(SKIP_1) | instid1(VALU_DEP_1)
	v_fmac_f32_e32 v3, v5, v3
	v_div_scale_f32 v5, vcc_lo, 1.0, v1, 1.0
	v_mul_f32_e32 v6, v5, v3
	s_delay_alu instid0(VALU_DEP_1) | instskip(NEXT) | instid1(VALU_DEP_1)
	v_fma_f32 v7, -v2, v6, v5
	v_fmac_f32_e32 v6, v7, v3
	s_delay_alu instid0(VALU_DEP_1) | instskip(NEXT) | instid1(VALU_DEP_1)
	v_fma_f32 v2, -v2, v6, v5
	v_div_fmas_f32 v2, v2, v3, v6
	s_delay_alu instid0(VALU_DEP_1) | instskip(NEXT) | instid1(VALU_DEP_1)
	v_div_fixup_f32 v1, v2, v1, 1.0
	v_fma_mixlo_f16 v1, v4, v1, 0
	global_store_b16 v0, v1, s[0:1]
	s_nop 0
	s_sendmsg sendmsg(MSG_DEALLOC_VGPRS)
	s_endpgm
.LBB92_20:
	s_mov_b32 s4, 0
	s_branch .LBB92_2
	.section	.rodata,"a",@progbits
	.p2align	6, 0x0
	.amdhsa_kernel _Z35paged_attention_ll4mi_reduce_kernelIDF16_DF16_Li64ELi64ELi256ELi15EEvPT0_PKfS3_PKT_PKiS8_iS3_
		.amdhsa_group_segment_fixed_size 1924
		.amdhsa_private_segment_fixed_size 0
		.amdhsa_kernarg_size 320
		.amdhsa_user_sgpr_count 14
		.amdhsa_user_sgpr_dispatch_ptr 0
		.amdhsa_user_sgpr_queue_ptr 0
		.amdhsa_user_sgpr_kernarg_segment_ptr 1
		.amdhsa_user_sgpr_dispatch_id 0
		.amdhsa_user_sgpr_private_segment_size 0
		.amdhsa_wavefront_size32 1
		.amdhsa_uses_dynamic_stack 0
		.amdhsa_enable_private_segment 0
		.amdhsa_system_sgpr_workgroup_id_x 1
		.amdhsa_system_sgpr_workgroup_id_y 1
		.amdhsa_system_sgpr_workgroup_id_z 0
		.amdhsa_system_sgpr_workgroup_info 0
		.amdhsa_system_vgpr_workitem_id 0
		.amdhsa_next_free_vgpr 77
		.amdhsa_next_free_sgpr 47
		.amdhsa_reserve_vcc 1
		.amdhsa_float_round_mode_32 0
		.amdhsa_float_round_mode_16_64 0
		.amdhsa_float_denorm_mode_32 3
		.amdhsa_float_denorm_mode_16_64 3
		.amdhsa_dx10_clamp 1
		.amdhsa_ieee_mode 1
		.amdhsa_fp16_overflow 0
		.amdhsa_workgroup_processor_mode 1
		.amdhsa_memory_ordered 1
		.amdhsa_forward_progress 0
		.amdhsa_shared_vgpr_count 0
		.amdhsa_exception_fp_ieee_invalid_op 0
		.amdhsa_exception_fp_denorm_src 0
		.amdhsa_exception_fp_ieee_div_zero 0
		.amdhsa_exception_fp_ieee_overflow 0
		.amdhsa_exception_fp_ieee_underflow 0
		.amdhsa_exception_fp_ieee_inexact 0
		.amdhsa_exception_int_div_zero 0
	.end_amdhsa_kernel
	.section	.text._Z35paged_attention_ll4mi_reduce_kernelIDF16_DF16_Li64ELi64ELi256ELi15EEvPT0_PKfS3_PKT_PKiS8_iS3_,"axG",@progbits,_Z35paged_attention_ll4mi_reduce_kernelIDF16_DF16_Li64ELi64ELi256ELi15EEvPT0_PKfS3_PKT_PKiS8_iS3_,comdat
.Lfunc_end92:
	.size	_Z35paged_attention_ll4mi_reduce_kernelIDF16_DF16_Li64ELi64ELi256ELi15EEvPT0_PKfS3_PKT_PKiS8_iS3_, .Lfunc_end92-_Z35paged_attention_ll4mi_reduce_kernelIDF16_DF16_Li64ELi64ELi256ELi15EEvPT0_PKfS3_PKT_PKiS8_iS3_
                                        ; -- End function
	.section	.AMDGPU.csdata,"",@progbits
; Kernel info:
; codeLenInByte = 7924
; NumSgprs: 49
; NumVgprs: 77
; ScratchSize: 0
; MemoryBound: 0
; FloatMode: 240
; IeeeMode: 1
; LDSByteSize: 1924 bytes/workgroup (compile time only)
; SGPRBlocks: 6
; VGPRBlocks: 9
; NumSGPRsForWavesPerEU: 49
; NumVGPRsForWavesPerEU: 77
; Occupancy: 16
; WaveLimiterHint : 0
; COMPUTE_PGM_RSRC2:SCRATCH_EN: 0
; COMPUTE_PGM_RSRC2:USER_SGPR: 14
; COMPUTE_PGM_RSRC2:TRAP_HANDLER: 0
; COMPUTE_PGM_RSRC2:TGID_X_EN: 1
; COMPUTE_PGM_RSRC2:TGID_Y_EN: 1
; COMPUTE_PGM_RSRC2:TGID_Z_EN: 0
; COMPUTE_PGM_RSRC2:TIDIG_COMP_CNT: 0
	.section	.text._Z35paged_attention_ll4mi_reduce_kernelIDF16_DF16_Li64ELi64ELi256ELi16EEvPT0_PKfS3_PKT_PKiS8_iS3_,"axG",@progbits,_Z35paged_attention_ll4mi_reduce_kernelIDF16_DF16_Li64ELi64ELi256ELi16EEvPT0_PKfS3_PKT_PKiS8_iS3_,comdat
	.protected	_Z35paged_attention_ll4mi_reduce_kernelIDF16_DF16_Li64ELi64ELi256ELi16EEvPT0_PKfS3_PKT_PKiS8_iS3_ ; -- Begin function _Z35paged_attention_ll4mi_reduce_kernelIDF16_DF16_Li64ELi64ELi256ELi16EEvPT0_PKfS3_PKT_PKiS8_iS3_
	.globl	_Z35paged_attention_ll4mi_reduce_kernelIDF16_DF16_Li64ELi64ELi256ELi16EEvPT0_PKfS3_PKT_PKiS8_iS3_
	.p2align	8
	.type	_Z35paged_attention_ll4mi_reduce_kernelIDF16_DF16_Li64ELi64ELi256ELi16EEvPT0_PKfS3_PKT_PKiS8_iS3_,@function
_Z35paged_attention_ll4mi_reduce_kernelIDF16_DF16_Li64ELi64ELi256ELi16EEvPT0_PKfS3_PKT_PKiS8_iS3_: ; @_Z35paged_attention_ll4mi_reduce_kernelIDF16_DF16_Li64ELi64ELi256ELi16EEvPT0_PKfS3_PKT_PKiS8_iS3_
; %bb.0:
	s_load_b64 s[12:13], s[0:1], 0x28
	s_mov_b32 s2, s15
	s_waitcnt lgkmcnt(0)
	s_cmp_lg_u64 s[12:13], 0
	s_cselect_b32 s15, -1, 0
	s_delay_alu instid0(SALU_CYCLE_1)
	s_and_b32 vcc_lo, exec_lo, s15
	s_cbranch_vccz .LBB93_20
; %bb.1:
	s_add_i32 s4, s2, 1
	s_mov_b32 s5, 0
	s_delay_alu instid0(SALU_CYCLE_1) | instskip(SKIP_4) | instid1(SALU_CYCLE_1)
	s_lshl_b64 s[6:7], s[4:5], 2
	s_mov_b32 s3, s5
	s_add_u32 s6, s12, s6
	s_addc_u32 s7, s13, s7
	s_lshl_b64 s[8:9], s[2:3], 2
	s_add_u32 s8, s12, s8
	s_addc_u32 s9, s13, s9
	s_clause 0x1
	s_load_b32 s4, s[6:7], 0x0
	s_load_b32 s6, s[8:9], 0x0
	s_waitcnt lgkmcnt(0)
	s_sub_i32 s4, s4, s6
	s_delay_alu instid0(SALU_CYCLE_1)
	s_cmp_eq_u32 s4, 1
	s_cselect_b32 s4, -1, 0
	s_cbranch_execnz .LBB93_3
.LBB93_2:
	s_mov_b32 s3, 0
	s_mov_b32 s4, -1
.LBB93_3:
	s_delay_alu instid0(SALU_CYCLE_1)
	s_and_not1_b32 vcc_lo, exec_lo, s4
	s_cbranch_vccz .LBB93_5
; %bb.4:
	s_endpgm
.LBB93_5:
	s_clause 0x1
	s_load_b128 s[4:7], s[0:1], 0x18
	s_load_b32 s9, s[0:1], 0x30
	s_lshl_b64 s[16:17], s[2:3], 2
	s_waitcnt lgkmcnt(0)
	s_add_u32 s6, s6, s16
	s_addc_u32 s7, s7, s17
	s_load_b32 s23, s[6:7], 0x0
	s_load_b32 s33, s[0:1], 0x40
	s_mul_i32 s7, s2, s9
	s_waitcnt lgkmcnt(0)
	s_add_i32 s22, s23, 0xff
	s_delay_alu instid0(SALU_CYCLE_1) | instskip(NEXT) | instid1(SALU_CYCLE_1)
	s_ashr_i32 s6, s22, 31
	s_lshr_b32 s6, s6, 24
	s_delay_alu instid0(SALU_CYCLE_1) | instskip(SKIP_4) | instid1(SALU_CYCLE_1)
	s_add_i32 s8, s22, s6
	s_mul_i32 s6, s14, s9
	s_mov_b32 s9, exec_lo
	v_cmpx_lt_u32_e32 31, v0
	s_xor_b32 s9, exec_lo, s9
	s_or_saveexec_b32 s24, s9
	v_mov_b32_e32 v1, s6
	s_ashr_i32 s40, s8, 8
	s_mul_i32 s18, s7, s33
	s_xor_b32 exec_lo, exec_lo, s24
	s_cbranch_execz .LBB93_9
; %bb.6:
	v_or_b32_e32 v2, 32, v0
	v_cmp_gt_i32_e32 vcc_lo, s40, v0
	s_add_i32 s20, s40, -1
	v_or_b32_e32 v4, 64, v0
	v_or_b32_e32 v6, 0x60, v0
	s_load_b128 s[8:11], s[0:1], 0x8
	v_cndmask_b32_e32 v1, s20, v0, vcc_lo
	v_cmp_gt_i32_e32 vcc_lo, s40, v2
	s_mov_b32 s19, 0
	s_delay_alu instid0(SALU_CYCLE_1)
	s_mov_b32 s7, s19
	v_cndmask_b32_e32 v3, s20, v2, vcc_lo
	v_cmp_gt_i32_e32 vcc_lo, s40, v4
	v_or_b32_e32 v2, 0x80, v0
	v_cndmask_b32_e32 v5, s20, v4, vcc_lo
	v_cmp_gt_i32_e32 vcc_lo, s40, v6
	v_or_b32_e32 v4, 0xa0, v0
	;; [unrolled: 3-line block ×3, first 2 shown]
	s_delay_alu instid0(VALU_DEP_3) | instskip(SKIP_3) | instid1(VALU_DEP_4)
	v_ashrrev_i32_e32 v8, 31, v7
	v_cndmask_b32_e32 v9, s20, v2, vcc_lo
	v_cmp_gt_i32_e32 vcc_lo, s40, v4
	v_or_b32_e32 v2, 0xe0, v0
	v_lshlrev_b64 v[7:8], 2, v[7:8]
	s_delay_alu instid0(VALU_DEP_4) | instskip(SKIP_3) | instid1(VALU_DEP_4)
	v_ashrrev_i32_e32 v10, 31, v9
	v_cndmask_b32_e32 v11, s20, v4, vcc_lo
	v_cmp_gt_i32_e32 vcc_lo, s40, v6
	v_or_b32_e32 v4, 0x100, v0
	v_lshlrev_b64 v[9:10], 2, v[9:10]
	s_delay_alu instid0(VALU_DEP_4) | instskip(SKIP_3) | instid1(VALU_DEP_4)
	;; [unrolled: 6-line block ×3, first 2 shown]
	v_ashrrev_i32_e32 v14, 31, v13
	v_cndmask_b32_e32 v15, s20, v2, vcc_lo
	v_or_b32_e32 v2, 0x120, v0
	v_cmp_gt_i32_e32 vcc_lo, s40, v4
	v_lshlrev_b64 v[13:14], 2, v[13:14]
	s_delay_alu instid0(VALU_DEP_4) | instskip(SKIP_3) | instid1(VALU_DEP_4)
	v_ashrrev_i32_e32 v16, 31, v15
	v_cndmask_b32_e32 v17, s20, v4, vcc_lo
	v_cmp_gt_i32_e32 vcc_lo, s40, v2
	v_or_b32_e32 v4, 0x160, v0
	v_lshlrev_b64 v[45:46], 2, v[15:16]
	s_delay_alu instid0(VALU_DEP_4) | instskip(SKIP_3) | instid1(VALU_DEP_4)
	v_ashrrev_i32_e32 v18, 31, v17
	v_cndmask_b32_e32 v19, s20, v2, vcc_lo
	v_cmp_gt_i32_e32 vcc_lo, s40, v6
	v_or_b32_e32 v2, 0x180, v0
	v_lshlrev_b64 v[17:18], 2, v[17:18]
	s_delay_alu instid0(VALU_DEP_4) | instskip(SKIP_3) | instid1(VALU_DEP_3)
	v_ashrrev_i32_e32 v20, 31, v19
	v_cndmask_b32_e32 v21, s20, v6, vcc_lo
	v_cmp_gt_i32_e32 vcc_lo, s40, v4
	v_or_b32_e32 v6, 0x1c0, v0
	v_ashrrev_i32_e32 v22, 31, v21
	v_cndmask_b32_e32 v23, s20, v4, vcc_lo
	v_or_b32_e32 v4, 0x1a0, v0
	v_cmp_gt_i32_e32 vcc_lo, s40, v2
	s_delay_alu instid0(VALU_DEP_3) | instskip(SKIP_1) | instid1(VALU_DEP_4)
	v_ashrrev_i32_e32 v24, 31, v23
	v_cndmask_b32_e32 v25, s20, v2, vcc_lo
	v_cmp_gt_i32_e32 vcc_lo, s40, v4
	v_or_b32_e32 v2, 0x1e0, v0
	s_delay_alu instid0(VALU_DEP_4) | instskip(NEXT) | instid1(VALU_DEP_4)
	v_lshlrev_b64 v[23:24], 2, v[23:24]
	v_ashrrev_i32_e32 v26, 31, v25
	v_cndmask_b32_e32 v27, s20, v4, vcc_lo
	v_cmp_gt_i32_e32 vcc_lo, s40, v6
	v_ashrrev_i32_e32 v4, 31, v3
	s_delay_alu instid0(VALU_DEP_4) | instskip(NEXT) | instid1(VALU_DEP_4)
	v_lshlrev_b64 v[25:26], 2, v[25:26]
	v_ashrrev_i32_e32 v28, 31, v27
	v_cndmask_b32_e32 v29, s20, v6, vcc_lo
	v_cmp_gt_i32_e32 vcc_lo, s40, v2
	v_ashrrev_i32_e32 v6, 31, v5
	v_lshlrev_b64 v[35:36], 2, v[3:4]
	v_lshlrev_b64 v[27:28], 2, v[27:28]
	v_ashrrev_i32_e32 v30, 31, v29
	v_cndmask_b32_e32 v31, s20, v2, vcc_lo
	v_ashrrev_i32_e32 v2, 31, v1
	s_lshl_b64 s[20:21], s[18:19], 2
	v_lshlrev_b64 v[5:6], 2, v[5:6]
	s_waitcnt lgkmcnt(0)
	s_add_u32 s19, s10, s20
	s_addc_u32 s25, s11, s21
	v_lshlrev_b64 v[33:34], 2, v[1:2]
	s_lshl_b64 s[10:11], s[6:7], 2
	v_ashrrev_i32_e32 v32, 31, v31
	s_add_u32 s7, s19, s10
	s_addc_u32 s19, s25, s11
	v_lshlrev_b64 v[29:30], 2, v[29:30]
	v_add_co_u32 v1, vcc_lo, s7, v33
	v_add_co_ci_u32_e32 v2, vcc_lo, s19, v34, vcc_lo
	v_add_co_u32 v3, vcc_lo, s7, v35
	v_add_co_ci_u32_e32 v4, vcc_lo, s19, v36, vcc_lo
	;; [unrolled: 2-line block ×8, first 2 shown]
	s_clause 0x7
	global_load_b32 v49, v[1:2], off
	global_load_b32 v50, v[3:4], off
	;; [unrolled: 1-line block ×8, first 2 shown]
	v_lshlrev_b64 v[37:38], 2, v[19:20]
	v_add_co_u32 v1, vcc_lo, s7, v17
	v_lshlrev_b64 v[39:40], 2, v[21:22]
	v_add_co_ci_u32_e32 v2, vcc_lo, s19, v18, vcc_lo
	s_delay_alu instid0(VALU_DEP_4) | instskip(SKIP_1) | instid1(VALU_DEP_4)
	v_add_co_u32 v3, vcc_lo, s7, v37
	v_add_co_ci_u32_e32 v4, vcc_lo, s19, v38, vcc_lo
	v_add_co_u32 v15, vcc_lo, s7, v39
	v_add_co_ci_u32_e32 v16, vcc_lo, s19, v40, vcc_lo
	;; [unrolled: 2-line block ×3, first 2 shown]
	s_clause 0x3
	global_load_b32 v47, v[1:2], off
	global_load_b32 v48, v[3:4], off
	;; [unrolled: 1-line block ×4, first 2 shown]
	v_add_co_u32 v1, vcc_lo, s7, v25
	v_add_co_ci_u32_e32 v2, vcc_lo, s19, v26, vcc_lo
	v_add_co_u32 v3, vcc_lo, s7, v27
	v_lshlrev_b64 v[31:32], 2, v[31:32]
	v_add_co_ci_u32_e32 v4, vcc_lo, s19, v28, vcc_lo
	v_add_co_u32 v15, vcc_lo, s7, v29
	v_add_co_ci_u32_e32 v16, vcc_lo, s19, v30, vcc_lo
	s_delay_alu instid0(VALU_DEP_4)
	v_add_co_u32 v19, vcc_lo, s7, v31
	v_add_co_ci_u32_e32 v20, vcc_lo, s19, v32, vcc_lo
	s_clause 0x3
	global_load_b32 v55, v[1:2], off
	global_load_b32 v56, v[3:4], off
	;; [unrolled: 1-line block ×4, first 2 shown]
	v_mbcnt_lo_u32_b32 v19, -1, 0
	s_add_u32 s7, s8, s20
	s_addc_u32 s8, s9, s21
	s_add_u32 s7, s7, s10
	s_addc_u32 s8, s8, s11
	v_xor_b32_e32 v4, 2, v19
	s_waitcnt vmcnt(14)
	v_dual_max_f32 v2, v49, v49 :: v_dual_max_f32 v1, v50, v50
	s_delay_alu instid0(VALU_DEP_1) | instskip(SKIP_1) | instid1(VALU_DEP_1)
	v_max_f32_e32 v1, v2, v1
	v_xor_b32_e32 v2, 16, v19
	v_cmp_gt_i32_e32 vcc_lo, 32, v2
	v_cndmask_b32_e32 v2, v19, v2, vcc_lo
	s_waitcnt vmcnt(12)
	v_max3_f32 v1, v1, v51, v52
	s_waitcnt vmcnt(10)
	s_delay_alu instid0(VALU_DEP_1) | instskip(SKIP_1) | instid1(VALU_DEP_1)
	v_max3_f32 v1, v1, v41, v42
	s_waitcnt vmcnt(8)
	v_max3_f32 v1, v1, v43, v44
	s_waitcnt vmcnt(6)
	s_delay_alu instid0(VALU_DEP_1) | instskip(SKIP_1) | instid1(VALU_DEP_1)
	v_max3_f32 v1, v1, v47, v48
	s_waitcnt vmcnt(4)
	v_max3_f32 v1, v1, v53, v54
	s_waitcnt vmcnt(2)
	s_delay_alu instid0(VALU_DEP_1) | instskip(SKIP_3) | instid1(VALU_DEP_3)
	v_max3_f32 v3, v1, v55, v56
	v_lshlrev_b32_e32 v1, 2, v2
	v_xor_b32_e32 v2, 8, v19
	s_waitcnt vmcnt(0)
	v_max3_f32 v15, v3, v57, v58
	v_xor_b32_e32 v3, 4, v19
	s_delay_alu instid0(VALU_DEP_3)
	v_cmp_gt_i32_e32 vcc_lo, 32, v2
	ds_bpermute_b32 v16, v1, v15
	v_cndmask_b32_e32 v2, v19, v2, vcc_lo
	v_cmp_gt_i32_e32 vcc_lo, 32, v3
	v_cndmask_b32_e32 v3, v19, v3, vcc_lo
	v_cmp_gt_i32_e32 vcc_lo, 32, v4
	s_delay_alu instid0(VALU_DEP_2) | instskip(SKIP_1) | instid1(VALU_DEP_2)
	v_dual_cndmask_b32 v20, v19, v4 :: v_dual_lshlrev_b32 v3, 2, v3
	v_lshlrev_b32_e32 v4, 2, v2
	v_lshlrev_b32_e32 v2, 2, v20
	s_waitcnt lgkmcnt(0)
	v_max_f32_e32 v16, v16, v16
	s_delay_alu instid0(VALU_DEP_1)
	v_max_f32_e32 v59, v15, v16
	v_add_co_u32 v15, vcc_lo, s7, v33
	v_add_co_ci_u32_e32 v16, vcc_lo, s8, v34, vcc_lo
	ds_bpermute_b32 v33, v4, v59
	v_add_co_u32 v21, vcc_lo, s7, v35
	v_add_co_ci_u32_e32 v22, vcc_lo, s8, v36, vcc_lo
	s_clause 0x1
	global_load_b32 v20, v[15:16], off
	global_load_b32 v21, v[21:22], off
	v_add_co_u32 v5, vcc_lo, s7, v5
	v_add_co_ci_u32_e32 v6, vcc_lo, s8, v6, vcc_lo
	v_add_co_u32 v7, vcc_lo, s7, v7
	v_add_co_ci_u32_e32 v8, vcc_lo, s8, v8, vcc_lo
	;; [unrolled: 2-line block ×3, first 2 shown]
	s_waitcnt lgkmcnt(0)
	v_max_f32_e32 v16, v33, v33
	s_clause 0x1
	global_load_b32 v22, v[5:6], off
	global_load_b32 v15, v[7:8], off
	v_add_co_u32 v5, vcc_lo, s7, v11
	v_max_f32_e32 v33, v59, v16
	v_add_co_ci_u32_e32 v6, vcc_lo, s8, v12, vcc_lo
	v_add_co_u32 v7, vcc_lo, s7, v13
	ds_bpermute_b32 v34, v3, v33
	v_add_co_ci_u32_e32 v8, vcc_lo, s8, v14, vcc_lo
	s_clause 0x1
	global_load_b32 v16, v[9:10], off
	global_load_b32 v5, v[5:6], off
	v_add_co_u32 v9, vcc_lo, s7, v45
	v_add_co_ci_u32_e32 v10, vcc_lo, s8, v46, vcc_lo
	v_add_co_u32 v11, vcc_lo, s7, v17
	v_add_co_ci_u32_e32 v12, vcc_lo, s8, v18, vcc_lo
	v_add_co_u32 v13, vcc_lo, s7, v37
	s_clause 0x2
	global_load_b32 v6, v[7:8], off
	global_load_b32 v7, v[9:10], off
	;; [unrolled: 1-line block ×3, first 2 shown]
	v_add_co_ci_u32_e32 v14, vcc_lo, s8, v38, vcc_lo
	s_waitcnt lgkmcnt(0)
	v_max_f32_e32 v10, v34, v34
	v_add_co_u32 v17, vcc_lo, s7, v39
	v_add_co_ci_u32_e32 v18, vcc_lo, s8, v40, vcc_lo
	v_add_co_u32 v11, vcc_lo, s7, v23
	s_delay_alu instid0(VALU_DEP_4)
	v_max_f32_e32 v23, v33, v10
	v_add_co_ci_u32_e32 v12, vcc_lo, s8, v24, vcc_lo
	global_load_b32 v9, v[13:14], off
	v_add_co_u32 v13, vcc_lo, s7, v25
	ds_bpermute_b32 v24, v2, v23
	v_add_co_ci_u32_e32 v14, vcc_lo, s8, v26, vcc_lo
	s_clause 0x2
	global_load_b32 v10, v[17:18], off
	global_load_b32 v11, v[11:12], off
	;; [unrolled: 1-line block ×3, first 2 shown]
	v_add_co_u32 v13, vcc_lo, s7, v27
	v_add_co_ci_u32_e32 v14, vcc_lo, s8, v28, vcc_lo
	v_xor_b32_e32 v18, 1, v19
	global_load_b32 v17, v[13:14], off
	v_add_co_u32 v13, vcc_lo, s7, v29
	v_add_co_ci_u32_e32 v14, vcc_lo, s8, v30, vcc_lo
	v_cmp_gt_i32_e32 vcc_lo, 32, v18
	s_waitcnt lgkmcnt(0)
	v_dual_max_f32 v24, v24, v24 :: v_dual_cndmask_b32 v19, v19, v18
	global_load_b32 v18, v[13:14], off
	v_lshlrev_b32_e32 v13, 2, v19
	v_max_f32_e32 v19, v23, v24
	v_add_co_u32 v23, vcc_lo, s7, v31
	v_add_co_ci_u32_e32 v24, vcc_lo, s8, v32, vcc_lo
	ds_bpermute_b32 v25, v13, v19
	s_mov_b32 s7, exec_lo
	global_load_b32 v14, v[23:24], off
	s_waitcnt lgkmcnt(0)
	v_max_f32_e32 v23, v25, v25
	s_delay_alu instid0(VALU_DEP_1) | instskip(SKIP_1) | instid1(VALU_DEP_2)
	v_max_f32_e32 v23, v19, v23
	v_sub_nc_u32_e32 v19, s40, v0
	v_sub_f32_e32 v29, v42, v23
	s_delay_alu instid0(VALU_DEP_1) | instskip(NEXT) | instid1(VALU_DEP_1)
	v_dual_sub_f32 v31, v44, v23 :: v_dual_mul_f32 v44, 0x3fb8aa3b, v29
	v_rndne_f32_e32 v66, v44
	v_fma_f32 v65, 0x3fb8aa3b, v29, -v44
	s_delay_alu instid0(VALU_DEP_2)
	v_sub_f32_e32 v44, v44, v66
	v_sub_f32_e32 v33, v48, v23
	;; [unrolled: 1-line block ×6, first 2 shown]
	v_mul_f32_e32 v48, 0x3fb8aa3b, v33
	v_sub_f32_e32 v30, v43, v23
	v_sub_f32_e32 v32, v47, v23
	;; [unrolled: 1-line block ×4, first 2 shown]
	v_rndne_f32_e32 v74, v48
	v_sub_f32_e32 v25, v50, v23
	v_mul_f32_e32 v50, 0x3fb8aa3b, v35
	v_sub_f32_e32 v38, v57, v23
	v_cmp_ngt_f32_e32 vcc_lo, 0xc2ce8ed0, v24
	v_cvt_i32_f32_e32 v66, v66
	s_delay_alu instid0(VALU_DEP_4) | instskip(SKIP_1) | instid1(VALU_DEP_2)
	v_rndne_f32_e32 v78, v50
	v_fma_f32 v77, 0x3fb8aa3b, v35, -v50
	v_sub_f32_e32 v50, v50, v78
	v_mul_f32_e32 v46, 0x3fb8aa3b, v31
	v_cvt_i32_f32_e32 v78, v78
	s_delay_alu instid0(VALU_DEP_2) | instskip(SKIP_2) | instid1(VALU_DEP_3)
	v_rndne_f32_e32 v70, v46
	v_sub_f32_e32 v27, v52, v23
	v_fma_f32 v69, 0x3fb8aa3b, v31, -v46
	v_sub_f32_e32 v46, v46, v70
	s_delay_alu instid0(VALU_DEP_3) | instskip(NEXT) | instid1(VALU_DEP_3)
	v_mul_f32_e32 v42, 0x3fb8aa3b, v27
	v_fmac_f32_e32 v69, 0x32a5705f, v31
	v_mul_f32_e32 v39, 0x3fb8aa3b, v24
	v_cvt_i32_f32_e32 v70, v70
	s_delay_alu instid0(VALU_DEP_4) | instskip(NEXT) | instid1(VALU_DEP_4)
	v_fma_f32 v61, 0x3fb8aa3b, v27, -v42
	v_add_f32_e32 v46, v46, v69
	v_rndne_f32_e32 v62, v42
	v_fma_f32 v55, 0x3fb8aa3b, v24, -v39
	s_delay_alu instid0(VALU_DEP_4) | instskip(NEXT) | instid1(VALU_DEP_4)
	v_fmac_f32_e32 v61, 0x32a5705f, v27
	v_exp_f32_e32 v46, v46
	s_delay_alu instid0(VALU_DEP_3) | instskip(SKIP_2) | instid1(VALU_DEP_3)
	v_dual_sub_f32 v42, v42, v62 :: v_dual_sub_f32 v37, v56, v23
	v_rndne_f32_e32 v56, v39
	v_cvt_i32_f32_e32 v62, v62
	v_add_f32_e32 v42, v42, v61
	s_delay_alu instid0(VALU_DEP_4)
	v_mul_f32_e32 v52, 0x3fb8aa3b, v37
	s_waitcnt_depctr 0xfff
	v_ldexp_f32 v46, v46, v70
	v_fmac_f32_e32 v55, 0x32a5705f, v24
	v_rndne_f32_e32 v82, v52
	v_fma_f32 v81, 0x3fb8aa3b, v37, -v52
	v_exp_f32_e32 v42, v42
	s_delay_alu instid0(VALU_DEP_2) | instskip(SKIP_1) | instid1(VALU_DEP_3)
	v_dual_sub_f32 v52, v52, v82 :: v_dual_fmac_f32 v65, 0x32a5705f, v29
	v_sub_f32_e32 v23, v58, v23
	v_fmac_f32_e32 v81, 0x32a5705f, v37
	v_mul_f32_e32 v45, 0x3fb8aa3b, v30
	v_cvt_i32_f32_e32 v82, v82
	v_add_f32_e32 v44, v44, v65
	v_mul_f32_e32 v54, 0x3fb8aa3b, v23
	v_add_f32_e32 v52, v52, v81
	s_delay_alu instid0(TRANS32_DEP_1)
	v_ldexp_f32 v42, v42, v62
	v_fma_f32 v67, 0x3fb8aa3b, v30, -v45
	v_rndne_f32_e32 v68, v45
	v_rndne_f32_e32 v86, v54
	v_fma_f32 v85, 0x3fb8aa3b, v23, -v54
	v_exp_f32_e32 v52, v52
	v_fmac_f32_e32 v67, 0x32a5705f, v30
	v_exp_f32_e32 v44, v44
	v_sub_f32_e32 v54, v54, v86
	v_fma_f32 v73, 0x3fb8aa3b, v33, -v48
	v_sub_f32_e32 v48, v48, v74
	v_mul_f32_e32 v40, 0x3fb8aa3b, v25
	v_cvt_i32_f32_e32 v74, v74
	v_fmac_f32_e32 v85, 0x32a5705f, v23
	v_fmac_f32_e32 v73, 0x32a5705f, v33
	v_mul_f32_e32 v41, 0x3fb8aa3b, v26
	v_fma_f32 v57, 0x3fb8aa3b, v25, -v40
	v_rndne_f32_e32 v58, v40
	v_ldexp_f32 v52, v52, v82
	v_add_f32_e32 v48, v48, v73
	v_fma_f32 v59, 0x3fb8aa3b, v26, -v41
	v_rndne_f32_e32 v60, v41
	v_sub_f32_e32 v40, v40, v58
	v_cvt_i32_f32_e32 v58, v58
	v_exp_f32_e32 v48, v48
	v_fmac_f32_e32 v59, 0x32a5705f, v26
	v_dual_mul_f32 v47, 0x3fb8aa3b, v32 :: v_dual_add_f32 v54, v54, v85
	v_ldexp_f32 v44, v44, v66
	s_delay_alu instid0(VALU_DEP_2) | instskip(SKIP_1) | instid1(VALU_DEP_4)
	v_fma_f32 v71, 0x3fb8aa3b, v32, -v47
	v_rndne_f32_e32 v72, v47
	v_exp_f32_e32 v54, v54
	s_delay_alu instid0(TRANS32_DEP_2) | instskip(SKIP_1) | instid1(VALU_DEP_1)
	v_ldexp_f32 v48, v48, v74
	v_fmac_f32_e32 v57, 0x32a5705f, v25
	v_dual_fmac_f32 v71, 0x32a5705f, v32 :: v_dual_add_f32 v40, v40, v57
	v_fmac_f32_e32 v77, 0x32a5705f, v35
	v_mul_f32_e32 v43, 0x3fb8aa3b, v28
	s_delay_alu instid0(VALU_DEP_3) | instskip(NEXT) | instid1(VALU_DEP_2)
	v_exp_f32_e32 v40, v40
	v_add_f32_e32 v50, v50, v77
	s_delay_alu instid0(VALU_DEP_2) | instskip(SKIP_1) | instid1(VALU_DEP_3)
	v_fma_f32 v63, 0x3fb8aa3b, v28, -v43
	v_rndne_f32_e32 v64, v43
	v_exp_f32_e32 v50, v50
	s_delay_alu instid0(VALU_DEP_2)
	v_fmac_f32_e32 v63, 0x32a5705f, v28
	s_waitcnt_depctr 0xfff
	v_ldexp_f32 v40, v40, v58
	v_ldexp_f32 v50, v50, v78
	v_sub_f32_e32 v39, v39, v56
	v_cvt_i32_f32_e32 v56, v56
	s_delay_alu instid0(VALU_DEP_2) | instskip(NEXT) | instid1(VALU_DEP_1)
	v_add_f32_e32 v39, v39, v55
	v_exp_f32_e32 v39, v39
	s_waitcnt_depctr 0xfff
	v_ldexp_f32 v39, v39, v56
	s_delay_alu instid0(VALU_DEP_1) | instskip(SKIP_4) | instid1(VALU_DEP_4)
	v_cndmask_b32_e32 v39, 0, v39, vcc_lo
	v_sub_f32_e32 v41, v41, v60
	v_cvt_i32_f32_e32 v60, v60
	v_cmp_ngt_f32_e32 vcc_lo, 0xc2ce8ed0, v25
	v_mul_f32_e32 v49, 0x3fb8aa3b, v34
	v_dual_add_f32 v41, v41, v59 :: v_dual_cndmask_b32 v40, 0, v40
	v_cmp_ngt_f32_e32 vcc_lo, 0xc2ce8ed0, v26
	s_delay_alu instid0(VALU_DEP_3) | instskip(NEXT) | instid1(VALU_DEP_3)
	v_fma_f32 v75, 0x3fb8aa3b, v34, -v49
	v_exp_f32_e32 v41, v41
	v_rndne_f32_e32 v76, v49
	s_delay_alu instid0(VALU_DEP_2) | instskip(SKIP_2) | instid1(VALU_DEP_1)
	v_fmac_f32_e32 v75, 0x32a5705f, v34
	s_waitcnt_depctr 0xfff
	v_ldexp_f32 v41, v41, v60
	v_cndmask_b32_e32 v41, 0, v41, vcc_lo
	v_sub_f32_e32 v43, v43, v64
	v_cvt_i32_f32_e32 v64, v64
	v_cmp_ngt_f32_e32 vcc_lo, 0xc2ce8ed0, v27
	v_mul_f32_e32 v51, 0x3fb8aa3b, v36
	s_delay_alu instid0(VALU_DEP_4) | instskip(SKIP_1) | instid1(VALU_DEP_3)
	v_dual_add_f32 v43, v43, v63 :: v_dual_cndmask_b32 v42, 0, v42
	v_cmp_ngt_f32_e32 vcc_lo, 0xc2ce8ed0, v28
	v_fma_f32 v79, 0x3fb8aa3b, v36, -v51
	s_delay_alu instid0(VALU_DEP_3) | instskip(SKIP_1) | instid1(VALU_DEP_2)
	v_exp_f32_e32 v43, v43
	v_rndne_f32_e32 v80, v51
	v_fmac_f32_e32 v79, 0x32a5705f, v36
	s_waitcnt_depctr 0xfff
	v_ldexp_f32 v43, v43, v64
	s_delay_alu instid0(VALU_DEP_1) | instskip(SKIP_4) | instid1(VALU_DEP_4)
	v_cndmask_b32_e32 v43, 0, v43, vcc_lo
	v_sub_f32_e32 v45, v45, v68
	v_cvt_i32_f32_e32 v68, v68
	v_cmp_ngt_f32_e32 vcc_lo, 0xc2ce8ed0, v29
	v_mul_f32_e32 v53, 0x3fb8aa3b, v38
	v_dual_add_f32 v45, v45, v67 :: v_dual_cndmask_b32 v44, 0, v44
	v_cmp_ngt_f32_e32 vcc_lo, 0xc2ce8ed0, v30
	s_delay_alu instid0(VALU_DEP_3) | instskip(NEXT) | instid1(VALU_DEP_3)
	v_rndne_f32_e32 v84, v53
	v_exp_f32_e32 v45, v45
	v_fma_f32 v83, 0x3fb8aa3b, v38, -v53
	s_waitcnt_depctr 0xfff
	v_ldexp_f32 v45, v45, v68
	s_delay_alu instid0(VALU_DEP_1) | instskip(SKIP_3) | instid1(VALU_DEP_3)
	v_cndmask_b32_e32 v45, 0, v45, vcc_lo
	v_sub_f32_e32 v47, v47, v72
	v_cmp_ngt_f32_e32 vcc_lo, 0xc2ce8ed0, v31
	v_cvt_i32_f32_e32 v72, v72
	v_dual_add_f32 v47, v47, v71 :: v_dual_cndmask_b32 v46, 0, v46
	v_sub_f32_e32 v49, v49, v76
	v_cmp_ngt_f32_e32 vcc_lo, 0xc2ce8ed0, v32
	v_cvt_i32_f32_e32 v76, v76
	s_delay_alu instid0(VALU_DEP_4) | instskip(NEXT) | instid1(VALU_DEP_3)
	v_exp_f32_e32 v47, v47
	v_add_f32_e32 v49, v49, v75
	s_delay_alu instid0(VALU_DEP_1) | instskip(SKIP_2) | instid1(VALU_DEP_1)
	v_exp_f32_e32 v49, v49
	s_waitcnt_depctr 0xfff
	v_ldexp_f32 v47, v47, v72
	v_cndmask_b32_e32 v47, 0, v47, vcc_lo
	v_cmp_ngt_f32_e32 vcc_lo, 0xc2ce8ed0, v33
	v_ldexp_f32 v49, v49, v76
	v_cndmask_b32_e32 v48, 0, v48, vcc_lo
	v_cmp_ngt_f32_e32 vcc_lo, 0xc2ce8ed0, v34
	s_delay_alu instid0(VALU_DEP_3) | instskip(SKIP_3) | instid1(VALU_DEP_3)
	v_cndmask_b32_e32 v49, 0, v49, vcc_lo
	v_sub_f32_e32 v51, v51, v80
	v_cvt_i32_f32_e32 v80, v80
	v_cmp_ngt_f32_e32 vcc_lo, 0xc2ce8ed0, v35
	v_dual_add_f32 v51, v51, v79 :: v_dual_cndmask_b32 v50, 0, v50
	v_cmp_ngt_f32_e32 vcc_lo, 0xc2ce8ed0, v36
	s_delay_alu instid0(VALU_DEP_2) | instskip(SKIP_2) | instid1(VALU_DEP_1)
	v_exp_f32_e32 v51, v51
	s_waitcnt_depctr 0xfff
	v_ldexp_f32 v51, v51, v80
	v_cndmask_b32_e32 v51, 0, v51, vcc_lo
	v_cmp_ngt_f32_e32 vcc_lo, 0xc2ce8ed0, v37
	v_cndmask_b32_e32 v52, 0, v52, vcc_lo
	v_cmp_nlt_f32_e32 vcc_lo, 0x42b17218, v24
	v_cndmask_b32_e32 v24, 0x7f800000, v39, vcc_lo
	v_cmp_nlt_f32_e32 vcc_lo, 0x42b17218, v25
	;; [unrolled: 2-line block ×6, first 2 shown]
	v_cndmask_b32_e32 v29, 0x7f800000, v44, vcc_lo
	v_cmp_lt_i32_e32 vcc_lo, 0, v19
	v_cndmask_b32_e32 v24, 0, v24, vcc_lo
	v_cmp_lt_i32_e32 vcc_lo, 32, v19
	s_waitcnt vmcnt(15)
	s_delay_alu instid0(VALU_DEP_2) | instskip(SKIP_2) | instid1(VALU_DEP_2)
	v_dual_mul_f32 v20, v20, v24 :: v_dual_cndmask_b32 v25, 0, v25
	v_cmp_nlt_f32_e32 vcc_lo, 0x42b17218, v30
	s_waitcnt vmcnt(14)
	v_mul_f32_e32 v21, v21, v25
	v_cndmask_b32_e32 v30, 0x7f800000, v45, vcc_lo
	v_cmp_lt_i32_e32 vcc_lo, 64, v19
	v_cndmask_b32_e32 v26, 0, v26, vcc_lo
	v_cmp_nlt_f32_e32 vcc_lo, 0x42b17218, v31
	s_waitcnt vmcnt(13)
	s_delay_alu instid0(VALU_DEP_2)
	v_mul_f32_e32 v22, v22, v26
	v_cndmask_b32_e32 v24, 0x7f800000, v46, vcc_lo
	v_cmp_lt_i32_e32 vcc_lo, 0x60, v19
	v_dual_add_f32 v26, v20, v21 :: v_dual_cndmask_b32 v25, 0, v27
	v_cmp_nlt_f32_e32 vcc_lo, 0x42b17218, v32
	s_waitcnt vmcnt(12)
	s_delay_alu instid0(VALU_DEP_2)
	v_mul_f32_e32 v15, v15, v25
	v_cndmask_b32_e32 v27, 0x7f800000, v47, vcc_lo
	v_cmp_lt_i32_e32 vcc_lo, 0x80, v19
	v_dual_add_f32 v25, v26, v22 :: v_dual_cndmask_b32 v28, 0, v28
	v_cmp_nlt_f32_e32 vcc_lo, 0x42b17218, v33
	s_waitcnt vmcnt(11)
	s_delay_alu instid0(VALU_DEP_2) | instskip(SKIP_2) | instid1(VALU_DEP_3)
	v_dual_add_f32 v25, v25, v15 :: v_dual_mul_f32 v16, v16, v28
	v_cndmask_b32_e32 v26, 0x7f800000, v48, vcc_lo
	v_cmp_lt_i32_e32 vcc_lo, 0xa0, v19
	v_add_f32_e32 v25, v25, v16
	v_cndmask_b32_e32 v29, 0, v29, vcc_lo
	v_cmp_nlt_f32_e32 vcc_lo, 0x42b17218, v34
	s_waitcnt vmcnt(10)
	s_delay_alu instid0(VALU_DEP_2) | instskip(SKIP_2) | instid1(VALU_DEP_3)
	v_mul_f32_e32 v5, v5, v29
	v_cndmask_b32_e32 v28, 0x7f800000, v49, vcc_lo
	v_cmp_lt_i32_e32 vcc_lo, 0xc0, v19
	v_dual_add_f32 v25, v25, v5 :: v_dual_cndmask_b32 v30, 0, v30
	v_cmp_nlt_f32_e32 vcc_lo, 0x42b17218, v35
	s_waitcnt vmcnt(9)
	s_delay_alu instid0(VALU_DEP_2)
	v_mul_f32_e32 v6, v6, v30
	v_cndmask_b32_e32 v29, 0x7f800000, v50, vcc_lo
	v_cmp_lt_i32_e32 vcc_lo, 0xe0, v19
	v_cndmask_b32_e32 v24, 0, v24, vcc_lo
	v_cmp_nlt_f32_e32 vcc_lo, 0x42b17218, v36
	v_sub_f32_e32 v53, v53, v84
	v_cvt_i32_f32_e32 v84, v84
	s_waitcnt vmcnt(8)
	v_dual_mul_f32 v7, v7, v24 :: v_dual_cndmask_b32 v30, 0x7f800000, v51
	v_cmp_lt_i32_e32 vcc_lo, 0x100, v19
	v_dual_add_f32 v24, v25, v6 :: v_dual_cndmask_b32 v27, 0, v27
	v_cmp_lt_i32_e32 vcc_lo, 0x120, v19
	s_delay_alu instid0(VALU_DEP_2) | instskip(SKIP_1) | instid1(VALU_DEP_3)
	v_add_f32_e32 v24, v24, v7
	s_waitcnt vmcnt(7)
	v_dual_mul_f32 v8, v8, v27 :: v_dual_cndmask_b32 v25, 0, v26
	v_cmp_lt_i32_e32 vcc_lo, 0x140, v19
	s_delay_alu instid0(VALU_DEP_2) | instskip(SKIP_1) | instid1(VALU_DEP_3)
	v_dual_fmac_f32 v83, 0x32a5705f, v38 :: v_dual_add_f32 v24, v24, v8
	s_waitcnt vmcnt(6)
	v_dual_mul_f32 v9, v9, v25 :: v_dual_cndmask_b32 v26, 0, v28
	s_delay_alu instid0(VALU_DEP_2) | instskip(SKIP_1) | instid1(VALU_DEP_3)
	v_add_f32_e32 v53, v53, v83
	v_cmp_lt_i32_e32 vcc_lo, 0x160, v19
	v_add_f32_e32 v24, v24, v9
	s_waitcnt vmcnt(5)
	v_mul_f32_e32 v10, v10, v26
	v_exp_f32_e32 v53, v53
	v_cndmask_b32_e32 v27, 0, v29, vcc_lo
	v_cmp_lt_i32_e32 vcc_lo, 0x180, v19
	s_waitcnt vmcnt(4)
	s_delay_alu instid0(VALU_DEP_2) | instskip(SKIP_3) | instid1(TRANS32_DEP_1)
	v_dual_add_f32 v24, v24, v10 :: v_dual_mul_f32 v11, v11, v27
	v_cndmask_b32_e32 v28, 0, v30, vcc_lo
	v_cmp_nlt_f32_e32 vcc_lo, 0x42b17218, v37
	v_cvt_i32_f32_e32 v27, v86
	v_ldexp_f32 v53, v53, v84
	v_add_f32_e32 v24, v24, v11
	s_waitcnt vmcnt(3)
	v_mul_f32_e32 v12, v12, v28
	v_cndmask_b32_e32 v25, 0x7f800000, v52, vcc_lo
	v_cmp_ngt_f32_e32 vcc_lo, 0xc2ce8ed0, v38
	s_delay_alu instid0(VALU_DEP_3)
	v_add_f32_e32 v24, v24, v12
	v_cndmask_b32_e32 v26, 0, v53, vcc_lo
	v_cmp_lt_i32_e32 vcc_lo, 0x1a0, v19
	v_cndmask_b32_e32 v25, 0, v25, vcc_lo
	v_cmp_nlt_f32_e32 vcc_lo, 0x42b17218, v38
	s_waitcnt vmcnt(2)
	s_delay_alu instid0(VALU_DEP_2) | instskip(SKIP_2) | instid1(VALU_DEP_3)
	v_dual_mul_f32 v17, v17, v25 :: v_dual_cndmask_b32 v26, 0x7f800000, v26
	v_cmp_lt_i32_e32 vcc_lo, 0x1c0, v19
	v_ldexp_f32 v25, v54, v27
	v_add_f32_e32 v24, v24, v17
	s_delay_alu instid0(VALU_DEP_4) | instskip(SKIP_2) | instid1(VALU_DEP_2)
	v_cndmask_b32_e32 v26, 0, v26, vcc_lo
	v_cmp_ngt_f32_e32 vcc_lo, 0xc2ce8ed0, v23
	s_waitcnt vmcnt(1)
	v_dual_mul_f32 v18, v18, v26 :: v_dual_cndmask_b32 v25, 0, v25
	v_cmp_nlt_f32_e32 vcc_lo, 0x42b17218, v23
	s_delay_alu instid0(VALU_DEP_2) | instskip(SKIP_1) | instid1(VALU_DEP_2)
	v_cndmask_b32_e32 v23, 0x7f800000, v25, vcc_lo
	v_cmp_lt_i32_e32 vcc_lo, 0x1e0, v19
	v_cndmask_b32_e32 v19, 0, v23, vcc_lo
	v_add_f32_e32 v23, v24, v18
	s_waitcnt vmcnt(0)
	s_delay_alu instid0(VALU_DEP_1)
	v_fmac_f32_e32 v23, v14, v19
	ds_bpermute_b32 v1, v1, v23
	s_waitcnt lgkmcnt(0)
	v_add_f32_e32 v1, v23, v1
	ds_bpermute_b32 v4, v4, v1
	s_waitcnt lgkmcnt(0)
	v_dual_add_f32 v1, v1, v4 :: v_dual_mul_f32 v4, v14, v19
	ds_bpermute_b32 v3, v3, v1
	s_waitcnt lgkmcnt(0)
	v_add_f32_e32 v1, v1, v3
	v_lshlrev_b32_e32 v3, 2, v0
	ds_bpermute_b32 v2, v2, v1
	ds_store_2addr_b32 v3, v20, v21 offset1:32
	s_waitcnt lgkmcnt(1)
	v_add_f32_e32 v1, v1, v2
	ds_bpermute_b32 v2, v13, v1
	v_add_nc_u32_e32 v13, 0x400, v3
	ds_store_2addr_b32 v3, v22, v15 offset0:64 offset1:96
	ds_store_2addr_b32 v3, v16, v5 offset0:128 offset1:160
	;; [unrolled: 1-line block ×3, first 2 shown]
	ds_store_2addr_b32 v13, v8, v9 offset1:32
	ds_store_2addr_b32 v13, v10, v11 offset0:64 offset1:96
	ds_store_2addr_b32 v13, v12, v17 offset0:128 offset1:160
	;; [unrolled: 1-line block ×3, first 2 shown]
	v_cmpx_eq_u32_e32 0, v0
	s_cbranch_execz .LBB93_8
; %bb.7:
	s_waitcnt lgkmcnt(7)
	v_dual_add_f32 v1, v1, v2 :: v_dual_mov_b32 v2, 0
	ds_store_b32 v2, v1 offset:2048
.LBB93_8:
	s_or_b32 exec_lo, exec_lo, s7
	v_mov_b32_e32 v1, s6
.LBB93_9:
	s_or_b32 exec_lo, exec_lo, s24
	s_lshl_b32 s6, s18, 6
	s_mov_b32 s7, 0
	s_waitcnt lgkmcnt(7)
	v_dual_mov_b32 v2, 0 :: v_dual_lshlrev_b32 v1, 6, v1
	s_lshl_b64 s[6:7], s[6:7], 1
	v_lshlrev_b32_e32 v0, 1, v0
	s_add_u32 s34, s4, s6
	s_addc_u32 s35, s5, s7
	s_lshl_b32 s41, s40, 6
	v_lshlrev_b64 v[3:4], 1, v[1:2]
	s_sub_i32 s42, s41, 64
	s_cmpk_lt_i32 s22, 0x100
	v_dual_mov_b32 v30, 0 :: v_dual_mov_b32 v33, 0
	s_cselect_b32 s4, s42, 0
	s_delay_alu instid0(VALU_DEP_2)
	v_add_co_u32 v1, vcc_lo, s34, v3
	s_ashr_i32 s5, s4, 31
	v_add_co_ci_u32_e32 v3, vcc_lo, s35, v4, vcc_lo
	s_lshl_b64 s[4:5], s[4:5], 1
	s_cmpk_lt_i32 s22, 0x200
	v_add_co_u32 v1, vcc_lo, v1, v0
	s_cselect_b32 s6, s42, 64
	v_add_co_ci_u32_e32 v3, vcc_lo, 0, v3, vcc_lo
	s_ashr_i32 s7, s6, 31
	s_delay_alu instid0(VALU_DEP_2)
	v_add_co_u32 v4, vcc_lo, v1, s4
	s_lshl_b64 s[6:7], s[6:7], 1
	s_cmpk_lt_i32 s22, 0x300
	v_add_co_ci_u32_e32 v5, vcc_lo, s5, v3, vcc_lo
	s_cselect_b32 s8, s42, 0x80
	v_add_co_u32 v8, vcc_lo, v1, s6
	s_ashr_i32 s9, s8, 31
	v_add_co_ci_u32_e32 v9, vcc_lo, s7, v3, vcc_lo
	s_lshl_b64 s[8:9], s[8:9], 1
	s_cmpk_lt_i32 s22, 0x400
	v_add_co_u32 v10, vcc_lo, v1, s8
	s_cselect_b32 s10, s42, 0xc0
	v_add_co_ci_u32_e32 v11, vcc_lo, s9, v3, vcc_lo
	s_ashr_i32 s11, s10, 31
	v_dual_mov_b32 v32, 0 :: v_dual_mov_b32 v35, 0
	s_lshl_b64 s[10:11], s[10:11], 1
	s_cmpk_lt_i32 s22, 0x500
	v_add_co_u32 v12, vcc_lo, v1, s10
	s_cselect_b32 s18, s42, 0x100
	v_add_co_ci_u32_e32 v13, vcc_lo, s11, v3, vcc_lo
	s_ashr_i32 s19, s18, 31
	v_mov_b32_e32 v34, 0
	s_lshl_b64 s[18:19], s[18:19], 1
	s_cmpk_lt_i32 s22, 0x600
	v_add_co_u32 v14, vcc_lo, v1, s18
	s_cselect_b32 s20, s42, 0x140
	v_add_co_ci_u32_e32 v15, vcc_lo, s19, v3, vcc_lo
	s_ashr_i32 s21, s20, 31
	v_mov_b32_e32 v29, 0
	;; [unrolled: 7-line block ×3, first 2 shown]
	s_lshl_b64 s[24:25], s[24:25], 1
	s_cmpk_lt_i32 s22, 0x800
	v_add_co_u32 v18, vcc_lo, v1, s24
	s_cselect_b32 s26, s42, 0x1c0
	v_add_co_ci_u32_e32 v19, vcc_lo, s25, v3, vcc_lo
	s_ashr_i32 s27, s26, 31
	s_delay_alu instid0(SALU_CYCLE_1)
	s_lshl_b64 s[26:27], s[26:27], 1
	s_cmpk_lt_i32 s22, 0x900
	v_add_co_u32 v20, vcc_lo, v1, s26
	s_cselect_b32 s28, s42, 0x200
	v_add_co_ci_u32_e32 v21, vcc_lo, s27, v3, vcc_lo
	s_ashr_i32 s29, s28, 31
	s_clause 0x7
	global_load_u16 v7, v[4:5], off
	global_load_u16 v8, v[8:9], off
	;; [unrolled: 1-line block ×8, first 2 shown]
	s_lshl_b64 s[28:29], s[28:29], 1
	s_cmpk_lt_i32 s22, 0xa00
	v_add_co_u32 v12, vcc_lo, v1, s28
	s_cselect_b32 s30, s42, 0x240
	v_add_co_ci_u32_e32 v13, vcc_lo, s29, v3, vcc_lo
	s_ashr_i32 s31, s30, 31
	s_delay_alu instid0(SALU_CYCLE_1)
	s_lshl_b64 s[30:31], s[30:31], 1
	s_cmpk_lt_i32 s22, 0xb00
	v_add_co_u32 v15, vcc_lo, v1, s30
	s_cselect_b32 s34, s42, 0x280
	v_add_co_ci_u32_e32 v16, vcc_lo, s31, v3, vcc_lo
	s_ashr_i32 s35, s34, 31
	s_delay_alu instid0(SALU_CYCLE_1)
	;; [unrolled: 7-line block ×7, first 2 shown]
	s_lshl_b64 s[4:5], s[6:7], 1
	s_cmpk_gt_i32 s23, 0x1000
	v_add_co_u32 v27, vcc_lo, v1, s4
	v_add_co_ci_u32_e32 v28, vcc_lo, s5, v3, vcc_lo
	s_clause 0x7
	global_load_u16 v14, v[12:13], off
	global_load_u16 v15, v[15:16], off
	;; [unrolled: 1-line block ×8, first 2 shown]
	v_dual_mov_b32 v20, 0 :: v_dual_mov_b32 v23, 0
	v_dual_mov_b32 v21, 0 :: v_dual_mov_b32 v22, 0
	;; [unrolled: 1-line block ×4, first 2 shown]
	v_mov_b32_e32 v28, 0
	s_cselect_b32 s8, -1, 0
	s_cmpk_lt_i32 s23, 0x1001
	s_waitcnt vmcnt(0) lgkmcnt(0)
	s_barrier
	buffer_gl0_inv
	s_cbranch_scc1 .LBB93_11
; %bb.10:
	s_cmpk_lt_i32 s22, 0x1100
	s_cselect_b32 s4, s42, 0x400
	s_delay_alu instid0(SALU_CYCLE_1) | instskip(NEXT) | instid1(SALU_CYCLE_1)
	s_ashr_i32 s5, s4, 31
	s_lshl_b64 s[4:5], s[4:5], 1
	s_cmpk_lt_i32 s22, 0x1200
	v_add_co_u32 v20, vcc_lo, v1, s4
	s_cselect_b32 s6, s42, 0x440
	v_add_co_ci_u32_e32 v21, vcc_lo, s5, v3, vcc_lo
	s_ashr_i32 s7, s6, 31
	s_delay_alu instid0(SALU_CYCLE_1)
	s_lshl_b64 s[6:7], s[6:7], 1
	s_cmpk_lt_i32 s22, 0x1300
	v_add_co_u32 v22, vcc_lo, v1, s6
	s_cselect_b32 s10, s42, 0x480
	v_add_co_ci_u32_e32 v23, vcc_lo, s7, v3, vcc_lo
	s_ashr_i32 s11, s10, 31
	s_delay_alu instid0(SALU_CYCLE_1)
	;; [unrolled: 7-line block ×7, first 2 shown]
	s_lshl_b64 s[28:29], s[28:29], 1
	s_cmpk_lt_i32 s22, 0x1900
	v_add_co_u32 v34, vcc_lo, v1, s28
	s_cselect_b32 s30, s42, 0x600
	v_add_co_ci_u32_e32 v35, vcc_lo, s29, v3, vcc_lo
	s_ashr_i32 s31, s30, 31
	s_clause 0x7
	global_load_u16 v36, v[20:21], off
	global_load_u16 v37, v[22:23], off
	;; [unrolled: 1-line block ×8, first 2 shown]
	s_lshl_b64 s[30:31], s[30:31], 1
	s_cmpk_lt_i32 s22, 0x1a00
	v_add_co_u32 v20, vcc_lo, v1, s30
	s_cselect_b32 s34, s42, 0x640
	v_add_co_ci_u32_e32 v21, vcc_lo, s31, v3, vcc_lo
	s_ashr_i32 s35, s34, 31
	s_delay_alu instid0(SALU_CYCLE_1)
	s_lshl_b64 s[34:35], s[34:35], 1
	s_cmpk_lt_i32 s22, 0x1b00
	v_add_co_u32 v22, vcc_lo, v1, s34
	s_cselect_b32 s36, s42, 0x680
	v_add_co_ci_u32_e32 v23, vcc_lo, s35, v3, vcc_lo
	s_ashr_i32 s37, s36, 31
	s_delay_alu instid0(SALU_CYCLE_1)
	;; [unrolled: 7-line block ×6, first 2 shown]
	s_lshl_b64 s[4:5], s[20:21], 1
	s_cmpk_lt_i32 s22, 0x2000
	v_add_co_u32 v32, vcc_lo, v1, s4
	s_cselect_b32 s6, s42, 0x7c0
	v_add_co_ci_u32_e32 v33, vcc_lo, s5, v3, vcc_lo
	s_ashr_i32 s7, s6, 31
	s_delay_alu instid0(SALU_CYCLE_1) | instskip(NEXT) | instid1(SALU_CYCLE_1)
	s_lshl_b64 s[4:5], s[6:7], 1
	v_add_co_u32 v34, vcc_lo, v1, s4
	v_add_co_ci_u32_e32 v35, vcc_lo, s5, v3, vcc_lo
	s_clause 0x7
	global_load_u16 v20, v[20:21], off
	global_load_u16 v21, v[22:23], off
	;; [unrolled: 1-line block ×8, first 2 shown]
	s_waitcnt vmcnt(15)
	v_cvt_f32_f16_e32 v35, v36
	s_waitcnt vmcnt(14)
	v_cvt_f32_f16_e32 v34, v37
	s_waitcnt vmcnt(13)
	v_cvt_f32_f16_e32 v33, v38
	s_waitcnt vmcnt(12)
	v_cvt_f32_f16_e32 v32, v39
	s_waitcnt vmcnt(11)
	v_cvt_f32_f16_e32 v31, v40
	s_waitcnt vmcnt(10)
	v_cvt_f32_f16_e32 v30, v41
	s_waitcnt vmcnt(9)
	v_cvt_f32_f16_e32 v29, v42
	s_waitcnt vmcnt(8)
	v_cvt_f32_f16_e32 v28, v43
	s_waitcnt vmcnt(7)
	v_cvt_f32_f16_e32 v27, v20
	s_waitcnt vmcnt(6)
	v_cvt_f32_f16_e32 v26, v21
	s_waitcnt vmcnt(5)
	v_cvt_f32_f16_e32 v25, v22
	s_waitcnt vmcnt(4)
	v_cvt_f32_f16_e32 v24, v23
	s_waitcnt vmcnt(3)
	v_cvt_f32_f16_e32 v23, v44
	s_waitcnt vmcnt(2)
	v_cvt_f32_f16_e32 v22, v45
	s_waitcnt vmcnt(1)
	v_cvt_f32_f16_e32 v21, v46
	s_waitcnt vmcnt(0)
	v_cvt_f32_f16_e32 v20, v47
.LBB93_11:
	ds_load_b128 v[36:39], v2
	ds_load_b128 v[40:43], v2 offset:16
	s_load_b64 s[0:1], s[0:1], 0x0
	s_and_b32 vcc_lo, exec_lo, s8
	s_waitcnt lgkmcnt(0)
	v_fma_mix_f32 v7, v36, v7, 0 op_sel_hi:[0,1,0]
	s_delay_alu instid0(VALU_DEP_1) | instskip(NEXT) | instid1(VALU_DEP_1)
	v_fma_mix_f32 v7, v37, v8, v7 op_sel_hi:[0,1,0]
	v_fma_mix_f32 v7, v38, v9, v7 op_sel_hi:[0,1,0]
	s_delay_alu instid0(VALU_DEP_1) | instskip(SKIP_4) | instid1(VALU_DEP_1)
	v_fma_mix_f32 v7, v39, v10, v7 op_sel_hi:[0,1,0]
	ds_load_b128 v[36:39], v2 offset:48
	v_fma_mix_f32 v11, v40, v11, v7 op_sel_hi:[0,1,0]
	ds_load_b128 v[7:10], v2 offset:32
	v_fma_mix_f32 v4, v41, v4, v11 op_sel_hi:[0,1,0]
	v_fma_mix_f32 v4, v42, v5, v4 op_sel_hi:[0,1,0]
	s_delay_alu instid0(VALU_DEP_1) | instskip(SKIP_1) | instid1(VALU_DEP_1)
	v_fma_mix_f32 v4, v43, v6, v4 op_sel_hi:[0,1,0]
	s_waitcnt lgkmcnt(0)
	v_fma_mix_f32 v4, v7, v14, v4 op_sel_hi:[0,1,0]
	s_delay_alu instid0(VALU_DEP_1) | instskip(NEXT) | instid1(VALU_DEP_1)
	v_fma_mix_f32 v4, v8, v15, v4 op_sel_hi:[0,1,0]
	v_fma_mix_f32 v4, v9, v16, v4 op_sel_hi:[0,1,0]
	s_delay_alu instid0(VALU_DEP_1) | instskip(NEXT) | instid1(VALU_DEP_1)
	v_fma_mix_f32 v4, v10, v17, v4 op_sel_hi:[0,1,0]
	;; [unrolled: 3-line block ×3, first 2 shown]
	v_fma_mix_f32 v4, v38, v13, v4 op_sel_hi:[0,1,0]
	s_delay_alu instid0(VALU_DEP_1)
	v_fma_mix_f32 v4, v39, v19, v4 op_sel_hi:[0,1,0]
	s_cbranch_vccz .LBB93_13
; %bb.12:
	ds_load_b128 v[5:8], v2 offset:64
	ds_load_b128 v[9:12], v2 offset:80
	s_waitcnt lgkmcnt(1)
	v_fmac_f32_e32 v4, v5, v35
	s_delay_alu instid0(VALU_DEP_1) | instskip(NEXT) | instid1(VALU_DEP_1)
	v_fmac_f32_e32 v4, v6, v34
	v_fmac_f32_e32 v4, v7, v33
	s_delay_alu instid0(VALU_DEP_1) | instskip(SKIP_3) | instid1(VALU_DEP_1)
	v_fmac_f32_e32 v4, v8, v32
	ds_load_b128 v[5:8], v2 offset:96
	s_waitcnt lgkmcnt(1)
	v_fmac_f32_e32 v4, v9, v31
	v_fmac_f32_e32 v4, v10, v30
	s_delay_alu instid0(VALU_DEP_1) | instskip(NEXT) | instid1(VALU_DEP_1)
	v_fmac_f32_e32 v4, v11, v29
	v_fmac_f32_e32 v4, v12, v28
	ds_load_b128 v[9:12], v2 offset:112
	s_waitcnt lgkmcnt(1)
	v_fmac_f32_e32 v4, v5, v27
	s_delay_alu instid0(VALU_DEP_1) | instskip(NEXT) | instid1(VALU_DEP_1)
	v_fmac_f32_e32 v4, v6, v26
	v_fmac_f32_e32 v4, v7, v25
	s_delay_alu instid0(VALU_DEP_1) | instskip(SKIP_1) | instid1(VALU_DEP_1)
	v_fmac_f32_e32 v4, v8, v24
	s_waitcnt lgkmcnt(0)
	v_fmac_f32_e32 v4, v9, v23
	s_delay_alu instid0(VALU_DEP_1) | instskip(NEXT) | instid1(VALU_DEP_1)
	v_fmac_f32_e32 v4, v10, v22
	v_fmac_f32_e32 v4, v11, v21
	s_delay_alu instid0(VALU_DEP_1)
	v_fmac_f32_e32 v4, v12, v20
.LBB93_13:
	s_movk_i32 s43, 0xfc0
	s_movk_i32 s44, 0x80
	s_mov_b32 s45, 32
	s_branch .LBB93_15
.LBB93_14:                              ;   in Loop: Header=BB93_15 Depth=1
	s_addk_i32 s43, 0x800
	s_addk_i32 s44, 0x80
	s_add_i32 s45, s45, 32
	s_cmpk_eq_u32 s43, 0x87c0
	s_cbranch_scc1 .LBB93_17
.LBB93_15:                              ; =>This Inner Loop Header: Depth=1
	s_cmp_le_i32 s40, s45
	s_cbranch_scc1 .LBB93_14
; %bb.16:                               ;   in Loop: Header=BB93_15 Depth=1
	s_add_i32 s4, s43, 0xfffff840
	v_mov_b32_e32 v44, s44
	s_cmp_lt_i32 s4, s41
	s_cselect_b32 s4, s4, s42
	s_add_i32 s6, s43, 0xfffff880
	s_ashr_i32 s5, s4, 31
	s_delay_alu instid0(SALU_CYCLE_1)
	s_lshl_b64 s[4:5], s[4:5], 1
	s_cmp_lt_i32 s6, s41
	v_add_co_u32 v5, vcc_lo, v1, s4
	s_cselect_b32 s6, s6, s42
	s_add_i32 s10, s43, 0xfffff8c0
	s_ashr_i32 s7, s6, 31
	v_add_co_ci_u32_e32 v6, vcc_lo, s5, v3, vcc_lo
	s_lshl_b64 s[8:9], s[6:7], 1
	s_cmp_lt_i32 s10, s41
	v_add_co_u32 v7, vcc_lo, v1, s8
	s_cselect_b32 s6, s10, s42
	s_add_i32 s10, s43, 0xfffff900
	s_ashr_i32 s7, s6, 31
	v_add_co_ci_u32_e32 v8, vcc_lo, s9, v3, vcc_lo
	;; [unrolled: 7-line block ×8, first 2 shown]
	s_lshl_b64 s[24:25], s[20:21], 1
	s_cmp_lt_i32 s28, s41
	s_clause 0x7
	global_load_u16 v2, v[5:6], off
	global_load_u16 v21, v[7:8], off
	;; [unrolled: 1-line block ×8, first 2 shown]
	s_cselect_b32 s20, s28, s42
	s_add_i32 s28, s43, 0xfffffac0
	s_ashr_i32 s21, s20, 31
	v_add_co_u32 v5, vcc_lo, v1, s24
	s_lshl_b64 s[20:21], s[20:21], 1
	s_cmp_lt_i32 s28, s41
	v_add_co_ci_u32_e32 v6, vcc_lo, s25, v3, vcc_lo
	s_cselect_b32 s28, s28, s42
	s_add_i32 s36, s43, 0xfffffb00
	s_ashr_i32 s29, s28, 31
	v_add_co_u32 v7, vcc_lo, v1, s20
	s_lshl_b64 s[30:31], s[28:29], 1
	s_cmp_lt_i32 s36, s41
	v_add_co_ci_u32_e32 v8, vcc_lo, s21, v3, vcc_lo
	;; [unrolled: 7-line block ×8, first 2 shown]
	s_cselect_b32 s10, s10, s42
	s_add_i32 s18, s43, 0xfffffcc0
	s_ashr_i32 s11, s10, 31
	s_clause 0x7
	global_load_u16 v28, v[5:6], off
	global_load_u16 v29, v[7:8], off
	;; [unrolled: 1-line block ×8, first 2 shown]
	s_lshl_b64 s[10:11], s[10:11], 1
	s_cmp_lt_i32 s18, s41
	v_add_co_u32 v5, vcc_lo, v1, s4
	s_cselect_b32 s18, s18, s42
	s_add_i32 s22, s43, 0xfffffd00
	s_ashr_i32 s19, s18, 31
	v_add_co_ci_u32_e32 v6, vcc_lo, s5, v3, vcc_lo
	s_lshl_b64 s[18:19], s[18:19], 1
	s_cmp_lt_i32 s22, s41
	v_add_co_u32 v7, vcc_lo, v1, s10
	s_cselect_b32 s20, s22, s42
	s_add_i32 s22, s43, 0xfffffd40
	s_ashr_i32 s21, s20, 31
	v_add_co_ci_u32_e32 v8, vcc_lo, s11, v3, vcc_lo
	s_lshl_b64 s[20:21], s[20:21], 1
	s_cmp_lt_i32 s22, s41
	v_add_co_u32 v9, vcc_lo, v1, s18
	s_cselect_b32 s22, s22, s42
	s_add_i32 s24, s43, 0xfffffd80
	s_ashr_i32 s23, s22, 31
	v_add_co_ci_u32_e32 v10, vcc_lo, s19, v3, vcc_lo
	s_lshl_b64 s[22:23], s[22:23], 1
	s_cmp_lt_i32 s24, s41
	v_add_co_u32 v11, vcc_lo, v1, s20
	s_cselect_b32 s24, s24, s42
	s_add_i32 s26, s43, 0xfffffdc0
	s_ashr_i32 s25, s24, 31
	v_add_co_ci_u32_e32 v12, vcc_lo, s21, v3, vcc_lo
	s_lshl_b64 s[8:9], s[24:25], 1
	s_cmp_lt_i32 s26, s41
	v_add_co_u32 v13, vcc_lo, v1, s22
	s_cselect_b32 s6, s26, s42
	s_add_i32 s24, s43, 0xfffffe00
	s_ashr_i32 s7, s6, 31
	v_add_co_ci_u32_e32 v14, vcc_lo, s23, v3, vcc_lo
	s_lshl_b64 s[6:7], s[6:7], 1
	s_cmp_lt_i32 s24, s41
	s_clause 0x4
	global_load_u16 v19, v[5:6], off
	global_load_u16 v20, v[7:8], off
	;; [unrolled: 1-line block ×5, first 2 shown]
	s_cselect_b32 s4, s24, s42
	s_add_i32 s10, s43, 0xfffffe40
	s_ashr_i32 s5, s4, 31
	v_add_co_u32 v5, vcc_lo, v1, s8
	s_lshl_b64 s[4:5], s[4:5], 1
	s_cmp_lt_i32 s10, s41
	v_add_co_ci_u32_e32 v6, vcc_lo, s9, v3, vcc_lo
	s_cselect_b32 s10, s10, s42
	s_add_i32 s18, s43, 0xfffffe80
	s_ashr_i32 s11, s10, 31
	v_add_co_u32 v7, vcc_lo, v1, s6
	s_lshl_b64 s[10:11], s[10:11], 1
	s_cmp_lt_i32 s18, s41
	v_add_co_ci_u32_e32 v8, vcc_lo, s7, v3, vcc_lo
	s_cselect_b32 s18, s18, s42
	s_add_i32 s20, s43, 0xfffffec0
	s_ashr_i32 s19, s18, 31
	v_add_co_u32 v9, vcc_lo, v1, s4
	s_lshl_b64 s[18:19], s[18:19], 1
	s_cmp_lt_i32 s20, s41
	global_load_u16 v37, v[5:6], off
	s_cselect_b32 s8, s20, s42
	s_add_i32 s20, s43, 0xffffff00
	s_ashr_i32 s9, s8, 31
	v_add_co_ci_u32_e32 v10, vcc_lo, s5, v3, vcc_lo
	s_lshl_b64 s[6:7], s[8:9], 1
	s_cmp_lt_i32 s20, s41
	v_add_co_u32 v11, vcc_lo, v1, s10
	s_cselect_b32 s4, s20, s42
	s_clause 0x1
	global_load_u16 v38, v[7:8], off
	global_load_u16 v39, v[9:10], off
	v_add_co_ci_u32_e32 v12, vcc_lo, s11, v3, vcc_lo
	s_ashr_i32 s5, s4, 31
	s_add_i32 s8, s43, 0xffffff40
	v_add_co_u32 v13, vcc_lo, v1, s18
	s_lshl_b64 s[4:5], s[4:5], 1
	s_cmp_lt_i32 s8, s41
	v_add_co_ci_u32_e32 v14, vcc_lo, s19, v3, vcc_lo
	v_add_co_u32 v15, vcc_lo, v1, s6
	s_cselect_b32 s8, s8, s42
	v_add_co_ci_u32_e32 v16, vcc_lo, s7, v3, vcc_lo
	s_ashr_i32 s9, s8, 31
	s_add_i32 s10, s43, 0xffffff80
	s_lshl_b64 s[6:7], s[8:9], 1
	s_clause 0x2
	global_load_u16 v40, v[11:12], off
	global_load_u16 v13, v[13:14], off
	;; [unrolled: 1-line block ×3, first 2 shown]
	s_cmp_lt_i32 s10, s41
	v_add_co_u32 v5, vcc_lo, v1, s4
	s_cselect_b32 s8, s10, s42
	s_sub_i32 s10, s43, 64
	s_ashr_i32 s9, s8, 31
	v_add_co_ci_u32_e32 v6, vcc_lo, s5, v3, vcc_lo
	s_lshl_b64 s[8:9], s[8:9], 1
	s_cmp_lt_i32 s10, s41
	v_add_co_u32 v7, vcc_lo, v1, s6
	s_cselect_b32 s4, s10, s42
	v_add_co_ci_u32_e32 v8, vcc_lo, s7, v3, vcc_lo
	s_ashr_i32 s5, s4, 31
	v_add_co_u32 v9, vcc_lo, v1, s8
	global_load_u16 v15, v[5:6], off
	s_lshl_b64 s[4:5], s[4:5], 1
	v_add_co_ci_u32_e32 v10, vcc_lo, s9, v3, vcc_lo
	s_cmp_lt_i32 s43, s41
	s_clause 0x1
	global_load_u16 v16, v[7:8], off
	global_load_u16 v41, v[9:10], off
	s_cselect_b32 s6, s43, s42
	v_add_co_u32 v5, vcc_lo, v1, s4
	s_ashr_i32 s7, s6, 31
	v_add_co_ci_u32_e32 v6, vcc_lo, s5, v3, vcc_lo
	s_lshl_b64 s[4:5], s[6:7], 1
	s_delay_alu instid0(SALU_CYCLE_1)
	v_add_co_u32 v7, vcc_lo, v1, s4
	v_add_co_ci_u32_e32 v8, vcc_lo, s5, v3, vcc_lo
	s_clause 0x1
	global_load_u16 v42, v[5:6], off
	global_load_u16 v43, v[7:8], off
	ds_load_b128 v[5:8], v44
	ds_load_b128 v[9:12], v44 offset:16
	s_waitcnt vmcnt(31) lgkmcnt(1)
	v_fma_mix_f32 v2, v5, v2, v4 op_sel_hi:[0,1,0]
	s_waitcnt vmcnt(30)
	s_delay_alu instid0(VALU_DEP_1) | instskip(SKIP_1) | instid1(VALU_DEP_1)
	v_fma_mix_f32 v2, v6, v21, v2 op_sel_hi:[0,1,0]
	s_waitcnt vmcnt(29)
	v_fma_mix_f32 v2, v7, v22, v2 op_sel_hi:[0,1,0]
	ds_load_b128 v[4:7], v44 offset:32
	s_waitcnt vmcnt(28)
	v_fma_mix_f32 v2, v8, v23, v2 op_sel_hi:[0,1,0]
	s_waitcnt vmcnt(27) lgkmcnt(1)
	s_delay_alu instid0(VALU_DEP_1) | instskip(SKIP_1) | instid1(VALU_DEP_1)
	v_fma_mix_f32 v2, v9, v24, v2 op_sel_hi:[0,1,0]
	s_waitcnt vmcnt(26)
	v_fma_mix_f32 v2, v10, v25, v2 op_sel_hi:[0,1,0]
	s_waitcnt vmcnt(25)
	s_delay_alu instid0(VALU_DEP_1) | instskip(SKIP_4) | instid1(VALU_DEP_1)
	v_fma_mix_f32 v2, v11, v26, v2 op_sel_hi:[0,1,0]
	ds_load_b128 v[8:11], v44 offset:48
	s_waitcnt vmcnt(24)
	v_fma_mix_f32 v2, v12, v27, v2 op_sel_hi:[0,1,0]
	s_waitcnt vmcnt(23) lgkmcnt(1)
	v_fma_mix_f32 v2, v4, v28, v2 op_sel_hi:[0,1,0]
	s_waitcnt vmcnt(22)
	s_delay_alu instid0(VALU_DEP_1) | instskip(SKIP_1) | instid1(VALU_DEP_1)
	v_fma_mix_f32 v2, v5, v29, v2 op_sel_hi:[0,1,0]
	s_waitcnt vmcnt(21)
	v_fma_mix_f32 v2, v6, v30, v2 op_sel_hi:[0,1,0]
	s_waitcnt vmcnt(20)
	s_delay_alu instid0(VALU_DEP_1) | instskip(SKIP_4) | instid1(VALU_DEP_1)
	v_fma_mix_f32 v2, v7, v31, v2 op_sel_hi:[0,1,0]
	ds_load_b128 v[4:7], v44 offset:64
	s_waitcnt vmcnt(19) lgkmcnt(1)
	v_fma_mix_f32 v2, v8, v32, v2 op_sel_hi:[0,1,0]
	s_waitcnt vmcnt(18)
	v_fma_mix_f32 v2, v9, v33, v2 op_sel_hi:[0,1,0]
	s_waitcnt vmcnt(17)
	s_delay_alu instid0(VALU_DEP_1) | instskip(SKIP_1) | instid1(VALU_DEP_1)
	v_fma_mix_f32 v2, v10, v17, v2 op_sel_hi:[0,1,0]
	s_waitcnt vmcnt(16)
	v_fma_mix_f32 v2, v11, v18, v2 op_sel_hi:[0,1,0]
	ds_load_b128 v[8:11], v44 offset:80
	s_waitcnt vmcnt(15) lgkmcnt(1)
	v_fma_mix_f32 v2, v4, v19, v2 op_sel_hi:[0,1,0]
	s_waitcnt vmcnt(14)
	s_delay_alu instid0(VALU_DEP_1) | instskip(SKIP_1) | instid1(VALU_DEP_1)
	v_fma_mix_f32 v2, v5, v20, v2 op_sel_hi:[0,1,0]
	s_waitcnt vmcnt(13)
	v_fma_mix_f32 v2, v6, v34, v2 op_sel_hi:[0,1,0]
	s_waitcnt vmcnt(12)
	s_delay_alu instid0(VALU_DEP_1) | instskip(SKIP_4) | instid1(VALU_DEP_1)
	v_fma_mix_f32 v2, v7, v35, v2 op_sel_hi:[0,1,0]
	ds_load_b128 v[4:7], v44 offset:96
	s_waitcnt vmcnt(11) lgkmcnt(1)
	v_fma_mix_f32 v2, v8, v36, v2 op_sel_hi:[0,1,0]
	s_waitcnt vmcnt(10)
	v_fma_mix_f32 v2, v9, v37, v2 op_sel_hi:[0,1,0]
	s_waitcnt vmcnt(9)
	s_delay_alu instid0(VALU_DEP_1) | instskip(SKIP_1) | instid1(VALU_DEP_1)
	v_fma_mix_f32 v2, v10, v38, v2 op_sel_hi:[0,1,0]
	s_waitcnt vmcnt(8)
	v_fma_mix_f32 v2, v11, v39, v2 op_sel_hi:[0,1,0]
	ds_load_b128 v[8:11], v44 offset:112
	s_waitcnt vmcnt(7) lgkmcnt(1)
	v_fma_mix_f32 v2, v4, v40, v2 op_sel_hi:[0,1,0]
	s_waitcnt vmcnt(6)
	s_delay_alu instid0(VALU_DEP_1) | instskip(SKIP_1) | instid1(VALU_DEP_1)
	v_fma_mix_f32 v2, v5, v13, v2 op_sel_hi:[0,1,0]
	s_waitcnt vmcnt(5)
	v_fma_mix_f32 v2, v6, v14, v2 op_sel_hi:[0,1,0]
	s_waitcnt vmcnt(4)
	s_delay_alu instid0(VALU_DEP_1) | instskip(SKIP_1) | instid1(VALU_DEP_1)
	v_fma_mix_f32 v2, v7, v15, v2 op_sel_hi:[0,1,0]
	s_waitcnt vmcnt(3) lgkmcnt(0)
	v_fma_mix_f32 v2, v8, v16, v2 op_sel_hi:[0,1,0]
	s_waitcnt vmcnt(2)
	s_delay_alu instid0(VALU_DEP_1) | instskip(SKIP_1) | instid1(VALU_DEP_1)
	v_fma_mix_f32 v2, v9, v41, v2 op_sel_hi:[0,1,0]
	s_waitcnt vmcnt(1)
	v_fma_mix_f32 v2, v10, v42, v2 op_sel_hi:[0,1,0]
	s_waitcnt vmcnt(0)
	s_delay_alu instid0(VALU_DEP_1)
	v_fma_mix_f32 v4, v11, v43, v2 op_sel_hi:[0,1,0]
	s_branch .LBB93_14
.LBB93_17:
	v_mov_b32_e32 v1, 0
	s_and_b32 vcc_lo, exec_lo, s15
	ds_load_b32 v1, v1 offset:2048
	s_cbranch_vccz .LBB93_19
; %bb.18:
	s_add_u32 s2, s12, s16
	s_addc_u32 s3, s13, s17
	s_load_b32 s2, s[2:3], 0x0
	s_mov_b32 s3, 0
.LBB93_19:
	s_waitcnt lgkmcnt(0)
	v_add_f32_e32 v1, 0x358637bd, v1
	s_mul_i32 s3, s33, s3
	s_mul_hi_u32 s4, s33, s2
	s_mul_i32 s2, s33, s2
	s_add_i32 s3, s4, s3
	v_div_scale_f32 v2, null, v1, v1, 1.0
	s_lshl_b64 s[2:3], s[2:3], 7
	s_mov_b32 s15, 0
	s_add_u32 s2, s0, s2
	s_delay_alu instid0(VALU_DEP_1) | instskip(SKIP_2) | instid1(SALU_CYCLE_1)
	v_rcp_f32_e32 v3, v2
	s_addc_u32 s3, s1, s3
	s_lshl_b64 s[0:1], s[14:15], 7
	s_add_u32 s0, s2, s0
	s_addc_u32 s1, s3, s1
	s_waitcnt_depctr 0xfff
	v_fma_f32 v5, -v2, v3, 1.0
	s_delay_alu instid0(VALU_DEP_1) | instskip(SKIP_1) | instid1(VALU_DEP_1)
	v_fmac_f32_e32 v3, v5, v3
	v_div_scale_f32 v5, vcc_lo, 1.0, v1, 1.0
	v_mul_f32_e32 v6, v5, v3
	s_delay_alu instid0(VALU_DEP_1) | instskip(NEXT) | instid1(VALU_DEP_1)
	v_fma_f32 v7, -v2, v6, v5
	v_fmac_f32_e32 v6, v7, v3
	s_delay_alu instid0(VALU_DEP_1) | instskip(NEXT) | instid1(VALU_DEP_1)
	v_fma_f32 v2, -v2, v6, v5
	v_div_fmas_f32 v2, v2, v3, v6
	s_delay_alu instid0(VALU_DEP_1) | instskip(NEXT) | instid1(VALU_DEP_1)
	v_div_fixup_f32 v1, v2, v1, 1.0
	v_fma_mixlo_f16 v1, v4, v1, 0
	global_store_b16 v0, v1, s[0:1]
	s_nop 0
	s_sendmsg sendmsg(MSG_DEALLOC_VGPRS)
	s_endpgm
.LBB93_20:
	s_mov_b32 s4, 0
	s_branch .LBB93_2
	.section	.rodata,"a",@progbits
	.p2align	6, 0x0
	.amdhsa_kernel _Z35paged_attention_ll4mi_reduce_kernelIDF16_DF16_Li64ELi64ELi256ELi16EEvPT0_PKfS3_PKT_PKiS8_iS3_
		.amdhsa_group_segment_fixed_size 2052
		.amdhsa_private_segment_fixed_size 0
		.amdhsa_kernarg_size 320
		.amdhsa_user_sgpr_count 14
		.amdhsa_user_sgpr_dispatch_ptr 0
		.amdhsa_user_sgpr_queue_ptr 0
		.amdhsa_user_sgpr_kernarg_segment_ptr 1
		.amdhsa_user_sgpr_dispatch_id 0
		.amdhsa_user_sgpr_private_segment_size 0
		.amdhsa_wavefront_size32 1
		.amdhsa_uses_dynamic_stack 0
		.amdhsa_enable_private_segment 0
		.amdhsa_system_sgpr_workgroup_id_x 1
		.amdhsa_system_sgpr_workgroup_id_y 1
		.amdhsa_system_sgpr_workgroup_id_z 0
		.amdhsa_system_sgpr_workgroup_info 0
		.amdhsa_system_vgpr_workitem_id 0
		.amdhsa_next_free_vgpr 87
		.amdhsa_next_free_sgpr 47
		.amdhsa_reserve_vcc 1
		.amdhsa_float_round_mode_32 0
		.amdhsa_float_round_mode_16_64 0
		.amdhsa_float_denorm_mode_32 3
		.amdhsa_float_denorm_mode_16_64 3
		.amdhsa_dx10_clamp 1
		.amdhsa_ieee_mode 1
		.amdhsa_fp16_overflow 0
		.amdhsa_workgroup_processor_mode 1
		.amdhsa_memory_ordered 1
		.amdhsa_forward_progress 0
		.amdhsa_shared_vgpr_count 0
		.amdhsa_exception_fp_ieee_invalid_op 0
		.amdhsa_exception_fp_denorm_src 0
		.amdhsa_exception_fp_ieee_div_zero 0
		.amdhsa_exception_fp_ieee_overflow 0
		.amdhsa_exception_fp_ieee_underflow 0
		.amdhsa_exception_fp_ieee_inexact 0
		.amdhsa_exception_int_div_zero 0
	.end_amdhsa_kernel
	.section	.text._Z35paged_attention_ll4mi_reduce_kernelIDF16_DF16_Li64ELi64ELi256ELi16EEvPT0_PKfS3_PKT_PKiS8_iS3_,"axG",@progbits,_Z35paged_attention_ll4mi_reduce_kernelIDF16_DF16_Li64ELi64ELi256ELi16EEvPT0_PKfS3_PKT_PKiS8_iS3_,comdat
.Lfunc_end93:
	.size	_Z35paged_attention_ll4mi_reduce_kernelIDF16_DF16_Li64ELi64ELi256ELi16EEvPT0_PKfS3_PKT_PKiS8_iS3_, .Lfunc_end93-_Z35paged_attention_ll4mi_reduce_kernelIDF16_DF16_Li64ELi64ELi256ELi16EEvPT0_PKfS3_PKT_PKiS8_iS3_
                                        ; -- End function
	.section	.AMDGPU.csdata,"",@progbits
; Kernel info:
; codeLenInByte = 8248
; NumSgprs: 49
; NumVgprs: 87
; ScratchSize: 0
; MemoryBound: 0
; FloatMode: 240
; IeeeMode: 1
; LDSByteSize: 2052 bytes/workgroup (compile time only)
; SGPRBlocks: 6
; VGPRBlocks: 10
; NumSGPRsForWavesPerEU: 49
; NumVGPRsForWavesPerEU: 87
; Occupancy: 16
; WaveLimiterHint : 0
; COMPUTE_PGM_RSRC2:SCRATCH_EN: 0
; COMPUTE_PGM_RSRC2:USER_SGPR: 14
; COMPUTE_PGM_RSRC2:TRAP_HANDLER: 0
; COMPUTE_PGM_RSRC2:TGID_X_EN: 1
; COMPUTE_PGM_RSRC2:TGID_Y_EN: 1
; COMPUTE_PGM_RSRC2:TGID_Z_EN: 0
; COMPUTE_PGM_RSRC2:TIDIG_COMP_CNT: 0
	.section	.text._Z38paged_attention_ll4mi_QKV_mfma4_kernelIDF16_DF16_LN4vllm18Fp8KVCacheDataTypeE0EDF16_Li16ELi64ELi256ELb0ELi1EEvPKT_PKT0_S7_ifPKiS9_S9_iPKfiiiPfSC_PS2_PT2_iSB_SB_,"axG",@progbits,_Z38paged_attention_ll4mi_QKV_mfma4_kernelIDF16_DF16_LN4vllm18Fp8KVCacheDataTypeE0EDF16_Li16ELi64ELi256ELb0ELi1EEvPKT_PKT0_S7_ifPKiS9_S9_iPKfiiiPfSC_PS2_PT2_iSB_SB_,comdat
	.protected	_Z38paged_attention_ll4mi_QKV_mfma4_kernelIDF16_DF16_LN4vllm18Fp8KVCacheDataTypeE0EDF16_Li16ELi64ELi256ELb0ELi1EEvPKT_PKT0_S7_ifPKiS9_S9_iPKfiiiPfSC_PS2_PT2_iSB_SB_ ; -- Begin function _Z38paged_attention_ll4mi_QKV_mfma4_kernelIDF16_DF16_LN4vllm18Fp8KVCacheDataTypeE0EDF16_Li16ELi64ELi256ELb0ELi1EEvPKT_PKT0_S7_ifPKiS9_S9_iPKfiiiPfSC_PS2_PT2_iSB_SB_
	.globl	_Z38paged_attention_ll4mi_QKV_mfma4_kernelIDF16_DF16_LN4vllm18Fp8KVCacheDataTypeE0EDF16_Li16ELi64ELi256ELb0ELi1EEvPKT_PKT0_S7_ifPKiS9_S9_iPKfiiiPfSC_PS2_PT2_iSB_SB_
	.p2align	8
	.type	_Z38paged_attention_ll4mi_QKV_mfma4_kernelIDF16_DF16_LN4vllm18Fp8KVCacheDataTypeE0EDF16_Li16ELi64ELi256ELb0ELi1EEvPKT_PKT0_S7_ifPKiS9_S9_iPKfiiiPfSC_PS2_PT2_iSB_SB_,@function
_Z38paged_attention_ll4mi_QKV_mfma4_kernelIDF16_DF16_LN4vllm18Fp8KVCacheDataTypeE0EDF16_Li16ELi64ELi256ELb0ELi1EEvPKT_PKT0_S7_ifPKiS9_S9_iPKfiiiPfSC_PS2_PT2_iSB_SB_: ; @_Z38paged_attention_ll4mi_QKV_mfma4_kernelIDF16_DF16_LN4vllm18Fp8KVCacheDataTypeE0EDF16_Li16ELi64ELi256ELb0ELi1EEvPKT_PKT0_S7_ifPKiS9_S9_iPKfiiiPfSC_PS2_PT2_iSB_SB_
; %bb.0:
	s_add_u32 s8, s0, 0x90
	s_addc_u32 s9, s1, 0
	s_getpc_b64 s[0:1]
	s_add_u32 s0, s0, __PRETTY_FUNCTION__._Z38paged_attention_ll4mi_QKV_mfma4_kernelIDF16_DF16_LN4vllm18Fp8KVCacheDataTypeE0EDF16_Li16ELi64ELi256ELb0ELi1EEvPKT_PKT0_S7_ifPKiS9_S9_iPKfiiiPfSC_PS2_PT2_iSB_SB_@rel32@lo+4
	s_addc_u32 s1, s1, __PRETTY_FUNCTION__._Z38paged_attention_ll4mi_QKV_mfma4_kernelIDF16_DF16_LN4vllm18Fp8KVCacheDataTypeE0EDF16_Li16ELi64ELi256ELb0ELi1EEvPKT_PKT0_S7_ifPKiS9_S9_iPKfiiiPfSC_PS2_PT2_iSB_SB_@rel32@hi+12
	s_delay_alu instid0(SALU_CYCLE_1) | instskip(SKIP_4) | instid1(SALU_CYCLE_1)
	v_dual_mov_b32 v0, s0 :: v_dual_mov_b32 v1, s1
	s_mov_b32 s32, 0
	s_getpc_b64 s[2:3]
	s_add_u32 s2, s2, __assert_fail@rel32@lo+4
	s_addc_u32 s3, s3, __assert_fail@rel32@hi+12
	s_swappc_b64 s[30:31], s[2:3]
	.section	.rodata,"a",@progbits
	.p2align	6, 0x0
	.amdhsa_kernel _Z38paged_attention_ll4mi_QKV_mfma4_kernelIDF16_DF16_LN4vllm18Fp8KVCacheDataTypeE0EDF16_Li16ELi64ELi256ELb0ELi1EEvPKT_PKT0_S7_ifPKiS9_S9_iPKfiiiPfSC_PS2_PT2_iSB_SB_
		.amdhsa_group_segment_fixed_size 0
		.amdhsa_private_segment_fixed_size 64
		.amdhsa_kernarg_size 400
		.amdhsa_user_sgpr_count 15
		.amdhsa_user_sgpr_dispatch_ptr 0
		.amdhsa_user_sgpr_queue_ptr 0
		.amdhsa_user_sgpr_kernarg_segment_ptr 1
		.amdhsa_user_sgpr_dispatch_id 0
		.amdhsa_user_sgpr_private_segment_size 0
		.amdhsa_wavefront_size32 1
		.amdhsa_uses_dynamic_stack 0
		.amdhsa_enable_private_segment 1
		.amdhsa_system_sgpr_workgroup_id_x 1
		.amdhsa_system_sgpr_workgroup_id_y 0
		.amdhsa_system_sgpr_workgroup_id_z 0
		.amdhsa_system_sgpr_workgroup_info 0
		.amdhsa_system_vgpr_workitem_id 0
		.amdhsa_next_free_vgpr 41
		.amdhsa_next_free_sgpr 34
		.amdhsa_reserve_vcc 1
		.amdhsa_float_round_mode_32 0
		.amdhsa_float_round_mode_16_64 0
		.amdhsa_float_denorm_mode_32 3
		.amdhsa_float_denorm_mode_16_64 3
		.amdhsa_dx10_clamp 1
		.amdhsa_ieee_mode 1
		.amdhsa_fp16_overflow 0
		.amdhsa_workgroup_processor_mode 1
		.amdhsa_memory_ordered 1
		.amdhsa_forward_progress 0
		.amdhsa_shared_vgpr_count 0
		.amdhsa_exception_fp_ieee_invalid_op 0
		.amdhsa_exception_fp_denorm_src 0
		.amdhsa_exception_fp_ieee_div_zero 0
		.amdhsa_exception_fp_ieee_overflow 0
		.amdhsa_exception_fp_ieee_underflow 0
		.amdhsa_exception_fp_ieee_inexact 0
		.amdhsa_exception_int_div_zero 0
	.end_amdhsa_kernel
	.section	.text._Z38paged_attention_ll4mi_QKV_mfma4_kernelIDF16_DF16_LN4vllm18Fp8KVCacheDataTypeE0EDF16_Li16ELi64ELi256ELb0ELi1EEvPKT_PKT0_S7_ifPKiS9_S9_iPKfiiiPfSC_PS2_PT2_iSB_SB_,"axG",@progbits,_Z38paged_attention_ll4mi_QKV_mfma4_kernelIDF16_DF16_LN4vllm18Fp8KVCacheDataTypeE0EDF16_Li16ELi64ELi256ELb0ELi1EEvPKT_PKT0_S7_ifPKiS9_S9_iPKfiiiPfSC_PS2_PT2_iSB_SB_,comdat
.Lfunc_end94:
	.size	_Z38paged_attention_ll4mi_QKV_mfma4_kernelIDF16_DF16_LN4vllm18Fp8KVCacheDataTypeE0EDF16_Li16ELi64ELi256ELb0ELi1EEvPKT_PKT0_S7_ifPKiS9_S9_iPKfiiiPfSC_PS2_PT2_iSB_SB_, .Lfunc_end94-_Z38paged_attention_ll4mi_QKV_mfma4_kernelIDF16_DF16_LN4vllm18Fp8KVCacheDataTypeE0EDF16_Li16ELi64ELi256ELb0ELi1EEvPKT_PKT0_S7_ifPKiS9_S9_iPKfiiiPfSC_PS2_PT2_iSB_SB_
                                        ; -- End function
	.section	.AMDGPU.csdata,"",@progbits
; Kernel info:
; codeLenInByte = 72
; NumSgprs: 36
; NumVgprs: 41
; ScratchSize: 64
; MemoryBound: 0
; FloatMode: 240
; IeeeMode: 1
; LDSByteSize: 0 bytes/workgroup (compile time only)
; SGPRBlocks: 4
; VGPRBlocks: 5
; NumSGPRsForWavesPerEU: 36
; NumVGPRsForWavesPerEU: 41
; Occupancy: 16
; WaveLimiterHint : 1
; COMPUTE_PGM_RSRC2:SCRATCH_EN: 1
; COMPUTE_PGM_RSRC2:USER_SGPR: 15
; COMPUTE_PGM_RSRC2:TRAP_HANDLER: 0
; COMPUTE_PGM_RSRC2:TGID_X_EN: 1
; COMPUTE_PGM_RSRC2:TGID_Y_EN: 0
; COMPUTE_PGM_RSRC2:TGID_Z_EN: 0
; COMPUTE_PGM_RSRC2:TIDIG_COMP_CNT: 0
	.section	.text._Z38paged_attention_ll4mi_QKV_mfma4_kernelIDF16_DF16_LN4vllm18Fp8KVCacheDataTypeE0EDF16_Li16ELi64ELi256ELb0ELi2EEvPKT_PKT0_S7_ifPKiS9_S9_iPKfiiiPfSC_PS2_PT2_iSB_SB_,"axG",@progbits,_Z38paged_attention_ll4mi_QKV_mfma4_kernelIDF16_DF16_LN4vllm18Fp8KVCacheDataTypeE0EDF16_Li16ELi64ELi256ELb0ELi2EEvPKT_PKT0_S7_ifPKiS9_S9_iPKfiiiPfSC_PS2_PT2_iSB_SB_,comdat
	.protected	_Z38paged_attention_ll4mi_QKV_mfma4_kernelIDF16_DF16_LN4vllm18Fp8KVCacheDataTypeE0EDF16_Li16ELi64ELi256ELb0ELi2EEvPKT_PKT0_S7_ifPKiS9_S9_iPKfiiiPfSC_PS2_PT2_iSB_SB_ ; -- Begin function _Z38paged_attention_ll4mi_QKV_mfma4_kernelIDF16_DF16_LN4vllm18Fp8KVCacheDataTypeE0EDF16_Li16ELi64ELi256ELb0ELi2EEvPKT_PKT0_S7_ifPKiS9_S9_iPKfiiiPfSC_PS2_PT2_iSB_SB_
	.globl	_Z38paged_attention_ll4mi_QKV_mfma4_kernelIDF16_DF16_LN4vllm18Fp8KVCacheDataTypeE0EDF16_Li16ELi64ELi256ELb0ELi2EEvPKT_PKT0_S7_ifPKiS9_S9_iPKfiiiPfSC_PS2_PT2_iSB_SB_
	.p2align	8
	.type	_Z38paged_attention_ll4mi_QKV_mfma4_kernelIDF16_DF16_LN4vllm18Fp8KVCacheDataTypeE0EDF16_Li16ELi64ELi256ELb0ELi2EEvPKT_PKT0_S7_ifPKiS9_S9_iPKfiiiPfSC_PS2_PT2_iSB_SB_,@function
_Z38paged_attention_ll4mi_QKV_mfma4_kernelIDF16_DF16_LN4vllm18Fp8KVCacheDataTypeE0EDF16_Li16ELi64ELi256ELb0ELi2EEvPKT_PKT0_S7_ifPKiS9_S9_iPKfiiiPfSC_PS2_PT2_iSB_SB_: ; @_Z38paged_attention_ll4mi_QKV_mfma4_kernelIDF16_DF16_LN4vllm18Fp8KVCacheDataTypeE0EDF16_Li16ELi64ELi256ELb0ELi2EEvPKT_PKT0_S7_ifPKiS9_S9_iPKfiiiPfSC_PS2_PT2_iSB_SB_
; %bb.0:
	s_add_u32 s8, s0, 0x90
	s_addc_u32 s9, s1, 0
	s_getpc_b64 s[0:1]
	s_add_u32 s0, s0, __PRETTY_FUNCTION__._Z38paged_attention_ll4mi_QKV_mfma4_kernelIDF16_DF16_LN4vllm18Fp8KVCacheDataTypeE0EDF16_Li16ELi64ELi256ELb0ELi2EEvPKT_PKT0_S7_ifPKiS9_S9_iPKfiiiPfSC_PS2_PT2_iSB_SB_@rel32@lo+4
	s_addc_u32 s1, s1, __PRETTY_FUNCTION__._Z38paged_attention_ll4mi_QKV_mfma4_kernelIDF16_DF16_LN4vllm18Fp8KVCacheDataTypeE0EDF16_Li16ELi64ELi256ELb0ELi2EEvPKT_PKT0_S7_ifPKiS9_S9_iPKfiiiPfSC_PS2_PT2_iSB_SB_@rel32@hi+12
	s_delay_alu instid0(SALU_CYCLE_1) | instskip(SKIP_4) | instid1(SALU_CYCLE_1)
	v_dual_mov_b32 v0, s0 :: v_dual_mov_b32 v1, s1
	s_mov_b32 s32, 0
	s_getpc_b64 s[2:3]
	s_add_u32 s2, s2, __assert_fail@rel32@lo+4
	s_addc_u32 s3, s3, __assert_fail@rel32@hi+12
	s_swappc_b64 s[30:31], s[2:3]
	.section	.rodata,"a",@progbits
	.p2align	6, 0x0
	.amdhsa_kernel _Z38paged_attention_ll4mi_QKV_mfma4_kernelIDF16_DF16_LN4vllm18Fp8KVCacheDataTypeE0EDF16_Li16ELi64ELi256ELb0ELi2EEvPKT_PKT0_S7_ifPKiS9_S9_iPKfiiiPfSC_PS2_PT2_iSB_SB_
		.amdhsa_group_segment_fixed_size 0
		.amdhsa_private_segment_fixed_size 64
		.amdhsa_kernarg_size 400
		.amdhsa_user_sgpr_count 15
		.amdhsa_user_sgpr_dispatch_ptr 0
		.amdhsa_user_sgpr_queue_ptr 0
		.amdhsa_user_sgpr_kernarg_segment_ptr 1
		.amdhsa_user_sgpr_dispatch_id 0
		.amdhsa_user_sgpr_private_segment_size 0
		.amdhsa_wavefront_size32 1
		.amdhsa_uses_dynamic_stack 0
		.amdhsa_enable_private_segment 1
		.amdhsa_system_sgpr_workgroup_id_x 1
		.amdhsa_system_sgpr_workgroup_id_y 0
		.amdhsa_system_sgpr_workgroup_id_z 0
		.amdhsa_system_sgpr_workgroup_info 0
		.amdhsa_system_vgpr_workitem_id 0
		.amdhsa_next_free_vgpr 41
		.amdhsa_next_free_sgpr 34
		.amdhsa_reserve_vcc 1
		.amdhsa_float_round_mode_32 0
		.amdhsa_float_round_mode_16_64 0
		.amdhsa_float_denorm_mode_32 3
		.amdhsa_float_denorm_mode_16_64 3
		.amdhsa_dx10_clamp 1
		.amdhsa_ieee_mode 1
		.amdhsa_fp16_overflow 0
		.amdhsa_workgroup_processor_mode 1
		.amdhsa_memory_ordered 1
		.amdhsa_forward_progress 0
		.amdhsa_shared_vgpr_count 0
		.amdhsa_exception_fp_ieee_invalid_op 0
		.amdhsa_exception_fp_denorm_src 0
		.amdhsa_exception_fp_ieee_div_zero 0
		.amdhsa_exception_fp_ieee_overflow 0
		.amdhsa_exception_fp_ieee_underflow 0
		.amdhsa_exception_fp_ieee_inexact 0
		.amdhsa_exception_int_div_zero 0
	.end_amdhsa_kernel
	.section	.text._Z38paged_attention_ll4mi_QKV_mfma4_kernelIDF16_DF16_LN4vllm18Fp8KVCacheDataTypeE0EDF16_Li16ELi64ELi256ELb0ELi2EEvPKT_PKT0_S7_ifPKiS9_S9_iPKfiiiPfSC_PS2_PT2_iSB_SB_,"axG",@progbits,_Z38paged_attention_ll4mi_QKV_mfma4_kernelIDF16_DF16_LN4vllm18Fp8KVCacheDataTypeE0EDF16_Li16ELi64ELi256ELb0ELi2EEvPKT_PKT0_S7_ifPKiS9_S9_iPKfiiiPfSC_PS2_PT2_iSB_SB_,comdat
.Lfunc_end95:
	.size	_Z38paged_attention_ll4mi_QKV_mfma4_kernelIDF16_DF16_LN4vllm18Fp8KVCacheDataTypeE0EDF16_Li16ELi64ELi256ELb0ELi2EEvPKT_PKT0_S7_ifPKiS9_S9_iPKfiiiPfSC_PS2_PT2_iSB_SB_, .Lfunc_end95-_Z38paged_attention_ll4mi_QKV_mfma4_kernelIDF16_DF16_LN4vllm18Fp8KVCacheDataTypeE0EDF16_Li16ELi64ELi256ELb0ELi2EEvPKT_PKT0_S7_ifPKiS9_S9_iPKfiiiPfSC_PS2_PT2_iSB_SB_
                                        ; -- End function
	.section	.AMDGPU.csdata,"",@progbits
; Kernel info:
; codeLenInByte = 72
; NumSgprs: 36
; NumVgprs: 41
; ScratchSize: 64
; MemoryBound: 0
; FloatMode: 240
; IeeeMode: 1
; LDSByteSize: 0 bytes/workgroup (compile time only)
; SGPRBlocks: 4
; VGPRBlocks: 5
; NumSGPRsForWavesPerEU: 36
; NumVGPRsForWavesPerEU: 41
; Occupancy: 16
; WaveLimiterHint : 1
; COMPUTE_PGM_RSRC2:SCRATCH_EN: 1
; COMPUTE_PGM_RSRC2:USER_SGPR: 15
; COMPUTE_PGM_RSRC2:TRAP_HANDLER: 0
; COMPUTE_PGM_RSRC2:TGID_X_EN: 1
; COMPUTE_PGM_RSRC2:TGID_Y_EN: 0
; COMPUTE_PGM_RSRC2:TGID_Z_EN: 0
; COMPUTE_PGM_RSRC2:TIDIG_COMP_CNT: 0
	.section	.text._Z38paged_attention_ll4mi_QKV_mfma4_kernelIDF16_DF16_LN4vllm18Fp8KVCacheDataTypeE0EDF16_Li16ELi64ELi256ELb0ELi3EEvPKT_PKT0_S7_ifPKiS9_S9_iPKfiiiPfSC_PS2_PT2_iSB_SB_,"axG",@progbits,_Z38paged_attention_ll4mi_QKV_mfma4_kernelIDF16_DF16_LN4vllm18Fp8KVCacheDataTypeE0EDF16_Li16ELi64ELi256ELb0ELi3EEvPKT_PKT0_S7_ifPKiS9_S9_iPKfiiiPfSC_PS2_PT2_iSB_SB_,comdat
	.protected	_Z38paged_attention_ll4mi_QKV_mfma4_kernelIDF16_DF16_LN4vllm18Fp8KVCacheDataTypeE0EDF16_Li16ELi64ELi256ELb0ELi3EEvPKT_PKT0_S7_ifPKiS9_S9_iPKfiiiPfSC_PS2_PT2_iSB_SB_ ; -- Begin function _Z38paged_attention_ll4mi_QKV_mfma4_kernelIDF16_DF16_LN4vllm18Fp8KVCacheDataTypeE0EDF16_Li16ELi64ELi256ELb0ELi3EEvPKT_PKT0_S7_ifPKiS9_S9_iPKfiiiPfSC_PS2_PT2_iSB_SB_
	.globl	_Z38paged_attention_ll4mi_QKV_mfma4_kernelIDF16_DF16_LN4vllm18Fp8KVCacheDataTypeE0EDF16_Li16ELi64ELi256ELb0ELi3EEvPKT_PKT0_S7_ifPKiS9_S9_iPKfiiiPfSC_PS2_PT2_iSB_SB_
	.p2align	8
	.type	_Z38paged_attention_ll4mi_QKV_mfma4_kernelIDF16_DF16_LN4vllm18Fp8KVCacheDataTypeE0EDF16_Li16ELi64ELi256ELb0ELi3EEvPKT_PKT0_S7_ifPKiS9_S9_iPKfiiiPfSC_PS2_PT2_iSB_SB_,@function
_Z38paged_attention_ll4mi_QKV_mfma4_kernelIDF16_DF16_LN4vllm18Fp8KVCacheDataTypeE0EDF16_Li16ELi64ELi256ELb0ELi3EEvPKT_PKT0_S7_ifPKiS9_S9_iPKfiiiPfSC_PS2_PT2_iSB_SB_: ; @_Z38paged_attention_ll4mi_QKV_mfma4_kernelIDF16_DF16_LN4vllm18Fp8KVCacheDataTypeE0EDF16_Li16ELi64ELi256ELb0ELi3EEvPKT_PKT0_S7_ifPKiS9_S9_iPKfiiiPfSC_PS2_PT2_iSB_SB_
; %bb.0:
	s_add_u32 s8, s0, 0x90
	s_addc_u32 s9, s1, 0
	s_getpc_b64 s[0:1]
	s_add_u32 s0, s0, __PRETTY_FUNCTION__._Z38paged_attention_ll4mi_QKV_mfma4_kernelIDF16_DF16_LN4vllm18Fp8KVCacheDataTypeE0EDF16_Li16ELi64ELi256ELb0ELi3EEvPKT_PKT0_S7_ifPKiS9_S9_iPKfiiiPfSC_PS2_PT2_iSB_SB_@rel32@lo+4
	s_addc_u32 s1, s1, __PRETTY_FUNCTION__._Z38paged_attention_ll4mi_QKV_mfma4_kernelIDF16_DF16_LN4vllm18Fp8KVCacheDataTypeE0EDF16_Li16ELi64ELi256ELb0ELi3EEvPKT_PKT0_S7_ifPKiS9_S9_iPKfiiiPfSC_PS2_PT2_iSB_SB_@rel32@hi+12
	s_delay_alu instid0(SALU_CYCLE_1) | instskip(SKIP_4) | instid1(SALU_CYCLE_1)
	v_dual_mov_b32 v0, s0 :: v_dual_mov_b32 v1, s1
	s_mov_b32 s32, 0
	s_getpc_b64 s[2:3]
	s_add_u32 s2, s2, __assert_fail@rel32@lo+4
	s_addc_u32 s3, s3, __assert_fail@rel32@hi+12
	s_swappc_b64 s[30:31], s[2:3]
	.section	.rodata,"a",@progbits
	.p2align	6, 0x0
	.amdhsa_kernel _Z38paged_attention_ll4mi_QKV_mfma4_kernelIDF16_DF16_LN4vllm18Fp8KVCacheDataTypeE0EDF16_Li16ELi64ELi256ELb0ELi3EEvPKT_PKT0_S7_ifPKiS9_S9_iPKfiiiPfSC_PS2_PT2_iSB_SB_
		.amdhsa_group_segment_fixed_size 0
		.amdhsa_private_segment_fixed_size 64
		.amdhsa_kernarg_size 400
		.amdhsa_user_sgpr_count 15
		.amdhsa_user_sgpr_dispatch_ptr 0
		.amdhsa_user_sgpr_queue_ptr 0
		.amdhsa_user_sgpr_kernarg_segment_ptr 1
		.amdhsa_user_sgpr_dispatch_id 0
		.amdhsa_user_sgpr_private_segment_size 0
		.amdhsa_wavefront_size32 1
		.amdhsa_uses_dynamic_stack 0
		.amdhsa_enable_private_segment 1
		.amdhsa_system_sgpr_workgroup_id_x 1
		.amdhsa_system_sgpr_workgroup_id_y 0
		.amdhsa_system_sgpr_workgroup_id_z 0
		.amdhsa_system_sgpr_workgroup_info 0
		.amdhsa_system_vgpr_workitem_id 0
		.amdhsa_next_free_vgpr 41
		.amdhsa_next_free_sgpr 34
		.amdhsa_reserve_vcc 1
		.amdhsa_float_round_mode_32 0
		.amdhsa_float_round_mode_16_64 0
		.amdhsa_float_denorm_mode_32 3
		.amdhsa_float_denorm_mode_16_64 3
		.amdhsa_dx10_clamp 1
		.amdhsa_ieee_mode 1
		.amdhsa_fp16_overflow 0
		.amdhsa_workgroup_processor_mode 1
		.amdhsa_memory_ordered 1
		.amdhsa_forward_progress 0
		.amdhsa_shared_vgpr_count 0
		.amdhsa_exception_fp_ieee_invalid_op 0
		.amdhsa_exception_fp_denorm_src 0
		.amdhsa_exception_fp_ieee_div_zero 0
		.amdhsa_exception_fp_ieee_overflow 0
		.amdhsa_exception_fp_ieee_underflow 0
		.amdhsa_exception_fp_ieee_inexact 0
		.amdhsa_exception_int_div_zero 0
	.end_amdhsa_kernel
	.section	.text._Z38paged_attention_ll4mi_QKV_mfma4_kernelIDF16_DF16_LN4vllm18Fp8KVCacheDataTypeE0EDF16_Li16ELi64ELi256ELb0ELi3EEvPKT_PKT0_S7_ifPKiS9_S9_iPKfiiiPfSC_PS2_PT2_iSB_SB_,"axG",@progbits,_Z38paged_attention_ll4mi_QKV_mfma4_kernelIDF16_DF16_LN4vllm18Fp8KVCacheDataTypeE0EDF16_Li16ELi64ELi256ELb0ELi3EEvPKT_PKT0_S7_ifPKiS9_S9_iPKfiiiPfSC_PS2_PT2_iSB_SB_,comdat
.Lfunc_end96:
	.size	_Z38paged_attention_ll4mi_QKV_mfma4_kernelIDF16_DF16_LN4vllm18Fp8KVCacheDataTypeE0EDF16_Li16ELi64ELi256ELb0ELi3EEvPKT_PKT0_S7_ifPKiS9_S9_iPKfiiiPfSC_PS2_PT2_iSB_SB_, .Lfunc_end96-_Z38paged_attention_ll4mi_QKV_mfma4_kernelIDF16_DF16_LN4vllm18Fp8KVCacheDataTypeE0EDF16_Li16ELi64ELi256ELb0ELi3EEvPKT_PKT0_S7_ifPKiS9_S9_iPKfiiiPfSC_PS2_PT2_iSB_SB_
                                        ; -- End function
	.section	.AMDGPU.csdata,"",@progbits
; Kernel info:
; codeLenInByte = 72
; NumSgprs: 36
; NumVgprs: 41
; ScratchSize: 64
; MemoryBound: 0
; FloatMode: 240
; IeeeMode: 1
; LDSByteSize: 0 bytes/workgroup (compile time only)
; SGPRBlocks: 4
; VGPRBlocks: 5
; NumSGPRsForWavesPerEU: 36
; NumVGPRsForWavesPerEU: 41
; Occupancy: 16
; WaveLimiterHint : 1
; COMPUTE_PGM_RSRC2:SCRATCH_EN: 1
; COMPUTE_PGM_RSRC2:USER_SGPR: 15
; COMPUTE_PGM_RSRC2:TRAP_HANDLER: 0
; COMPUTE_PGM_RSRC2:TGID_X_EN: 1
; COMPUTE_PGM_RSRC2:TGID_Y_EN: 0
; COMPUTE_PGM_RSRC2:TGID_Z_EN: 0
; COMPUTE_PGM_RSRC2:TIDIG_COMP_CNT: 0
	.section	.text._Z38paged_attention_ll4mi_QKV_mfma4_kernelIDF16_DF16_LN4vllm18Fp8KVCacheDataTypeE0EDF16_Li16ELi64ELi256ELb0ELi4EEvPKT_PKT0_S7_ifPKiS9_S9_iPKfiiiPfSC_PS2_PT2_iSB_SB_,"axG",@progbits,_Z38paged_attention_ll4mi_QKV_mfma4_kernelIDF16_DF16_LN4vllm18Fp8KVCacheDataTypeE0EDF16_Li16ELi64ELi256ELb0ELi4EEvPKT_PKT0_S7_ifPKiS9_S9_iPKfiiiPfSC_PS2_PT2_iSB_SB_,comdat
	.protected	_Z38paged_attention_ll4mi_QKV_mfma4_kernelIDF16_DF16_LN4vllm18Fp8KVCacheDataTypeE0EDF16_Li16ELi64ELi256ELb0ELi4EEvPKT_PKT0_S7_ifPKiS9_S9_iPKfiiiPfSC_PS2_PT2_iSB_SB_ ; -- Begin function _Z38paged_attention_ll4mi_QKV_mfma4_kernelIDF16_DF16_LN4vllm18Fp8KVCacheDataTypeE0EDF16_Li16ELi64ELi256ELb0ELi4EEvPKT_PKT0_S7_ifPKiS9_S9_iPKfiiiPfSC_PS2_PT2_iSB_SB_
	.globl	_Z38paged_attention_ll4mi_QKV_mfma4_kernelIDF16_DF16_LN4vllm18Fp8KVCacheDataTypeE0EDF16_Li16ELi64ELi256ELb0ELi4EEvPKT_PKT0_S7_ifPKiS9_S9_iPKfiiiPfSC_PS2_PT2_iSB_SB_
	.p2align	8
	.type	_Z38paged_attention_ll4mi_QKV_mfma4_kernelIDF16_DF16_LN4vllm18Fp8KVCacheDataTypeE0EDF16_Li16ELi64ELi256ELb0ELi4EEvPKT_PKT0_S7_ifPKiS9_S9_iPKfiiiPfSC_PS2_PT2_iSB_SB_,@function
_Z38paged_attention_ll4mi_QKV_mfma4_kernelIDF16_DF16_LN4vllm18Fp8KVCacheDataTypeE0EDF16_Li16ELi64ELi256ELb0ELi4EEvPKT_PKT0_S7_ifPKiS9_S9_iPKfiiiPfSC_PS2_PT2_iSB_SB_: ; @_Z38paged_attention_ll4mi_QKV_mfma4_kernelIDF16_DF16_LN4vllm18Fp8KVCacheDataTypeE0EDF16_Li16ELi64ELi256ELb0ELi4EEvPKT_PKT0_S7_ifPKiS9_S9_iPKfiiiPfSC_PS2_PT2_iSB_SB_
; %bb.0:
	s_add_u32 s8, s0, 0x90
	s_addc_u32 s9, s1, 0
	s_getpc_b64 s[0:1]
	s_add_u32 s0, s0, __PRETTY_FUNCTION__._Z38paged_attention_ll4mi_QKV_mfma4_kernelIDF16_DF16_LN4vllm18Fp8KVCacheDataTypeE0EDF16_Li16ELi64ELi256ELb0ELi4EEvPKT_PKT0_S7_ifPKiS9_S9_iPKfiiiPfSC_PS2_PT2_iSB_SB_@rel32@lo+4
	s_addc_u32 s1, s1, __PRETTY_FUNCTION__._Z38paged_attention_ll4mi_QKV_mfma4_kernelIDF16_DF16_LN4vllm18Fp8KVCacheDataTypeE0EDF16_Li16ELi64ELi256ELb0ELi4EEvPKT_PKT0_S7_ifPKiS9_S9_iPKfiiiPfSC_PS2_PT2_iSB_SB_@rel32@hi+12
	s_delay_alu instid0(SALU_CYCLE_1) | instskip(SKIP_4) | instid1(SALU_CYCLE_1)
	v_dual_mov_b32 v0, s0 :: v_dual_mov_b32 v1, s1
	s_mov_b32 s32, 0
	s_getpc_b64 s[2:3]
	s_add_u32 s2, s2, __assert_fail@rel32@lo+4
	s_addc_u32 s3, s3, __assert_fail@rel32@hi+12
	s_swappc_b64 s[30:31], s[2:3]
	.section	.rodata,"a",@progbits
	.p2align	6, 0x0
	.amdhsa_kernel _Z38paged_attention_ll4mi_QKV_mfma4_kernelIDF16_DF16_LN4vllm18Fp8KVCacheDataTypeE0EDF16_Li16ELi64ELi256ELb0ELi4EEvPKT_PKT0_S7_ifPKiS9_S9_iPKfiiiPfSC_PS2_PT2_iSB_SB_
		.amdhsa_group_segment_fixed_size 0
		.amdhsa_private_segment_fixed_size 64
		.amdhsa_kernarg_size 400
		.amdhsa_user_sgpr_count 15
		.amdhsa_user_sgpr_dispatch_ptr 0
		.amdhsa_user_sgpr_queue_ptr 0
		.amdhsa_user_sgpr_kernarg_segment_ptr 1
		.amdhsa_user_sgpr_dispatch_id 0
		.amdhsa_user_sgpr_private_segment_size 0
		.amdhsa_wavefront_size32 1
		.amdhsa_uses_dynamic_stack 0
		.amdhsa_enable_private_segment 1
		.amdhsa_system_sgpr_workgroup_id_x 1
		.amdhsa_system_sgpr_workgroup_id_y 0
		.amdhsa_system_sgpr_workgroup_id_z 0
		.amdhsa_system_sgpr_workgroup_info 0
		.amdhsa_system_vgpr_workitem_id 0
		.amdhsa_next_free_vgpr 41
		.amdhsa_next_free_sgpr 34
		.amdhsa_reserve_vcc 1
		.amdhsa_float_round_mode_32 0
		.amdhsa_float_round_mode_16_64 0
		.amdhsa_float_denorm_mode_32 3
		.amdhsa_float_denorm_mode_16_64 3
		.amdhsa_dx10_clamp 1
		.amdhsa_ieee_mode 1
		.amdhsa_fp16_overflow 0
		.amdhsa_workgroup_processor_mode 1
		.amdhsa_memory_ordered 1
		.amdhsa_forward_progress 0
		.amdhsa_shared_vgpr_count 0
		.amdhsa_exception_fp_ieee_invalid_op 0
		.amdhsa_exception_fp_denorm_src 0
		.amdhsa_exception_fp_ieee_div_zero 0
		.amdhsa_exception_fp_ieee_overflow 0
		.amdhsa_exception_fp_ieee_underflow 0
		.amdhsa_exception_fp_ieee_inexact 0
		.amdhsa_exception_int_div_zero 0
	.end_amdhsa_kernel
	.section	.text._Z38paged_attention_ll4mi_QKV_mfma4_kernelIDF16_DF16_LN4vllm18Fp8KVCacheDataTypeE0EDF16_Li16ELi64ELi256ELb0ELi4EEvPKT_PKT0_S7_ifPKiS9_S9_iPKfiiiPfSC_PS2_PT2_iSB_SB_,"axG",@progbits,_Z38paged_attention_ll4mi_QKV_mfma4_kernelIDF16_DF16_LN4vllm18Fp8KVCacheDataTypeE0EDF16_Li16ELi64ELi256ELb0ELi4EEvPKT_PKT0_S7_ifPKiS9_S9_iPKfiiiPfSC_PS2_PT2_iSB_SB_,comdat
.Lfunc_end97:
	.size	_Z38paged_attention_ll4mi_QKV_mfma4_kernelIDF16_DF16_LN4vllm18Fp8KVCacheDataTypeE0EDF16_Li16ELi64ELi256ELb0ELi4EEvPKT_PKT0_S7_ifPKiS9_S9_iPKfiiiPfSC_PS2_PT2_iSB_SB_, .Lfunc_end97-_Z38paged_attention_ll4mi_QKV_mfma4_kernelIDF16_DF16_LN4vllm18Fp8KVCacheDataTypeE0EDF16_Li16ELi64ELi256ELb0ELi4EEvPKT_PKT0_S7_ifPKiS9_S9_iPKfiiiPfSC_PS2_PT2_iSB_SB_
                                        ; -- End function
	.section	.AMDGPU.csdata,"",@progbits
; Kernel info:
; codeLenInByte = 72
; NumSgprs: 36
; NumVgprs: 41
; ScratchSize: 64
; MemoryBound: 0
; FloatMode: 240
; IeeeMode: 1
; LDSByteSize: 0 bytes/workgroup (compile time only)
; SGPRBlocks: 4
; VGPRBlocks: 5
; NumSGPRsForWavesPerEU: 36
; NumVGPRsForWavesPerEU: 41
; Occupancy: 16
; WaveLimiterHint : 1
; COMPUTE_PGM_RSRC2:SCRATCH_EN: 1
; COMPUTE_PGM_RSRC2:USER_SGPR: 15
; COMPUTE_PGM_RSRC2:TRAP_HANDLER: 0
; COMPUTE_PGM_RSRC2:TGID_X_EN: 1
; COMPUTE_PGM_RSRC2:TGID_Y_EN: 0
; COMPUTE_PGM_RSRC2:TGID_Z_EN: 0
; COMPUTE_PGM_RSRC2:TIDIG_COMP_CNT: 0
	.section	.text._Z39paged_attention_ll4mi_QKV_mfma16_kernelIDF16_DF16_LN4vllm18Fp8KVCacheDataTypeE0EDF16_Li16ELi64ELi256ELb0ELi5EL8MFMAType0EEvPKT_PKT0_S8_ifPKiSA_SA_iPKfiiiPfSD_PS3_PT2_iSC_SC_,"axG",@progbits,_Z39paged_attention_ll4mi_QKV_mfma16_kernelIDF16_DF16_LN4vllm18Fp8KVCacheDataTypeE0EDF16_Li16ELi64ELi256ELb0ELi5EL8MFMAType0EEvPKT_PKT0_S8_ifPKiSA_SA_iPKfiiiPfSD_PS3_PT2_iSC_SC_,comdat
	.protected	_Z39paged_attention_ll4mi_QKV_mfma16_kernelIDF16_DF16_LN4vllm18Fp8KVCacheDataTypeE0EDF16_Li16ELi64ELi256ELb0ELi5EL8MFMAType0EEvPKT_PKT0_S8_ifPKiSA_SA_iPKfiiiPfSD_PS3_PT2_iSC_SC_ ; -- Begin function _Z39paged_attention_ll4mi_QKV_mfma16_kernelIDF16_DF16_LN4vllm18Fp8KVCacheDataTypeE0EDF16_Li16ELi64ELi256ELb0ELi5EL8MFMAType0EEvPKT_PKT0_S8_ifPKiSA_SA_iPKfiiiPfSD_PS3_PT2_iSC_SC_
	.globl	_Z39paged_attention_ll4mi_QKV_mfma16_kernelIDF16_DF16_LN4vllm18Fp8KVCacheDataTypeE0EDF16_Li16ELi64ELi256ELb0ELi5EL8MFMAType0EEvPKT_PKT0_S8_ifPKiSA_SA_iPKfiiiPfSD_PS3_PT2_iSC_SC_
	.p2align	8
	.type	_Z39paged_attention_ll4mi_QKV_mfma16_kernelIDF16_DF16_LN4vllm18Fp8KVCacheDataTypeE0EDF16_Li16ELi64ELi256ELb0ELi5EL8MFMAType0EEvPKT_PKT0_S8_ifPKiSA_SA_iPKfiiiPfSD_PS3_PT2_iSC_SC_,@function
_Z39paged_attention_ll4mi_QKV_mfma16_kernelIDF16_DF16_LN4vllm18Fp8KVCacheDataTypeE0EDF16_Li16ELi64ELi256ELb0ELi5EL8MFMAType0EEvPKT_PKT0_S8_ifPKiSA_SA_iPKfiiiPfSD_PS3_PT2_iSC_SC_: ; @_Z39paged_attention_ll4mi_QKV_mfma16_kernelIDF16_DF16_LN4vllm18Fp8KVCacheDataTypeE0EDF16_Li16ELi64ELi256ELb0ELi5EL8MFMAType0EEvPKT_PKT0_S8_ifPKiSA_SA_iPKfiiiPfSD_PS3_PT2_iSC_SC_
; %bb.0:
	s_load_b64 s[2:3], s[0:1], 0x30
	s_mov_b32 s34, s13
	s_waitcnt lgkmcnt(0)
	s_cmp_lg_u64 s[2:3], 0
	s_cselect_b32 s8, -1, 0
	s_ashr_i32 s35, s13, 31
	s_cmp_eq_u64 s[2:3], 0
	s_cbranch_scc1 .LBB98_3
; %bb.1:
	s_lshl_b64 s[4:5], s[34:35], 2
	s_delay_alu instid0(SALU_CYCLE_1) | instskip(SKIP_4) | instid1(SALU_CYCLE_1)
	s_add_u32 s4, s2, s4
	s_addc_u32 s5, s3, s5
	s_load_b64 s[4:5], s[4:5], 0x0
	s_waitcnt lgkmcnt(0)
	s_sub_i32 s4, s5, s4
	s_cmp_eq_u32 s4, 1
	s_cselect_b32 s4, -1, 0
	s_delay_alu instid0(SALU_CYCLE_1)
	s_and_not1_b32 vcc_lo, exec_lo, s4
	s_cbranch_vccz .LBB98_4
.LBB98_2:
	s_nop 0
	s_sendmsg sendmsg(MSG_DEALLOC_VGPRS)
	s_endpgm
.LBB98_3:
.LBB98_4:
	s_load_b64 s[4:5], s[0:1], 0x28
	s_lshl_b64 s[6:7], s[34:35], 2
	s_waitcnt lgkmcnt(0)
	s_add_u32 s4, s4, s6
	s_addc_u32 s5, s5, s7
	s_lshl_b32 s31, s14, 8
	s_load_b32 s30, s[4:5], 0x0
	s_waitcnt lgkmcnt(0)
	s_cmp_ge_i32 s31, s30
	s_cbranch_scc1 .LBB98_2
; %bb.5:
	s_clause 0x1
	s_load_b128 s[20:23], s[0:1], 0x8
	s_load_b64 s[4:5], s[0:1], 0x20
	s_and_not1_b32 vcc_lo, exec_lo, s8
	s_cbranch_vccnz .LBB98_7
; %bb.6:
	s_add_u32 s2, s2, s6
	s_addc_u32 s3, s3, s7
	s_load_b32 s3, s[2:3], 0x0
	s_branch .LBB98_8
.LBB98_7:
	s_mov_b32 s3, s34
.LBB98_8:
	s_load_b128 s[16:19], s[0:1], 0x48
	v_lshrrev_b32_e32 v149, 5, v0
	v_bfe_u32 v146, v0, 4, 1
	v_and_b32_e32 v148, 15, v0
	v_and_b32_e32 v150, 31, v0
	v_and_b32_e32 v147, 1, v0
	s_mul_i32 s33, s15, 5
	v_lshl_or_b32 v1, v149, 1, v146
	v_lshlrev_b32_e32 v2, 3, v148
	v_cmp_gt_u32_e64 s2, 8, v148
	s_delay_alu instid0(VALU_DEP_3) | instskip(NEXT) | instid1(VALU_DEP_3)
	v_cmp_gt_u32_e32 vcc_lo, 5, v1
	v_lshlrev_b32_e32 v145, 1, v2
	s_delay_alu instid0(VALU_DEP_3) | instskip(NEXT) | instid1(SALU_CYCLE_1)
	s_and_b32 s7, s2, vcc_lo
	s_and_saveexec_b32 s6, s7
	s_cbranch_execz .LBB98_10
; %bb.9:
	s_load_b64 s[8:9], s[0:1], 0x0
	v_add_lshl_u32 v2, v1, s33, 6
	s_waitcnt lgkmcnt(0)
	s_mul_hi_i32 s11, s3, s16
	s_mul_i32 s10, s3, s16
	v_lshlrev_b32_e32 v6, 10, v148
	s_lshl_b64 s[10:11], s[10:11], 1
	v_ashrrev_i32_e32 v3, 31, v2
	v_lshlrev_b32_e32 v1, 6, v1
	v_lshlrev_b32_e32 v7, 10, v147
	v_and_b32_e32 v6, 0x3800, v6
	s_delay_alu instid0(VALU_DEP_4) | instskip(NEXT) | instid1(VALU_DEP_2)
	v_lshlrev_b64 v[2:3], 1, v[2:3]
	v_or3_b32 v1, v6, v7, v1
	s_add_u32 s3, s8, s10
	s_addc_u32 s7, s9, s11
	s_delay_alu instid0(VALU_DEP_2) | instskip(NEXT) | instid1(VALU_DEP_3)
	v_add_co_u32 v2, vcc_lo, s3, v2
	v_add_co_ci_u32_e32 v3, vcc_lo, s7, v3, vcc_lo
	s_delay_alu instid0(VALU_DEP_2) | instskip(NEXT) | instid1(VALU_DEP_2)
	v_add_co_u32 v2, vcc_lo, v2, v145
	v_add_co_ci_u32_e32 v3, vcc_lo, 0, v3, vcc_lo
	global_load_b128 v[2:5], v[2:3], off
	s_waitcnt vmcnt(0)
	ds_store_b128 v1, v[2:5]
.LBB98_10:
	s_or_b32 exec_lo, exec_lo, s6
	v_and_b32_e32 v1, 0xef, v0
	s_waitcnt lgkmcnt(0)
	s_add_i32 s3, s30, 15
	s_clause 0x1
	s_load_b32 s6, s[0:1], 0x38
	s_load_b32 s35, s[0:1], 0x98
	s_ashr_i32 s7, s3, 31
	v_add_nc_u32_e32 v1, s31, v1
	s_lshr_b32 s7, s7, 28
	s_load_b32 s36, s[0:1], 0x1c
	s_add_i32 s3, s3, s7
	s_waitcnt lgkmcnt(0)
	v_ashrrev_i32_e32 v2, 31, v1
	v_or_b32_e32 v3, 16, v1
	s_ashr_i32 s3, s3, 4
	v_cmp_gt_i32_e32 vcc_lo, s30, v1
	s_add_i32 s3, s3, -1
	v_lshrrev_b32_e32 v2, 28, v2
	s_barrier
	buffer_gl0_inv
	v_add_nc_u32_e32 v4, v1, v2
	s_mul_i32 s6, s34, s6
	s_delay_alu instid0(SALU_CYCLE_1) | instskip(NEXT) | instid1(VALU_DEP_1)
	s_ashr_i32 s7, s6, 31
	v_ashrrev_i32_e32 v4, 4, v4
	v_add_nc_u32_e32 v2, v3, v2
	s_lshl_b64 s[6:7], s[6:7], 2
	s_delay_alu instid0(SALU_CYCLE_1) | instskip(NEXT) | instid1(VALU_DEP_2)
	s_add_u32 s16, s4, s6
	v_cndmask_b32_e32 v1, s3, v4, vcc_lo
	s_delay_alu instid0(VALU_DEP_2) | instskip(SKIP_3) | instid1(SALU_CYCLE_1)
	v_ashrrev_i32_e32 v2, 4, v2
	v_cmp_gt_i32_e32 vcc_lo, s30, v3
	s_addc_u32 s37, s5, s7
	s_mul_i32 s4, s15, s18
	s_ashr_i32 s5, s4, 31
	v_cndmask_b32_e32 v3, s3, v2, vcc_lo
	v_ashrrev_i32_e32 v2, 31, v1
	s_lshl_b64 s[12:13], s[4:5], 1
	s_delay_alu instid0(SALU_CYCLE_1) | instskip(NEXT) | instid1(VALU_DEP_2)
	s_add_u32 s26, s20, s12
	v_ashrrev_i32_e32 v4, 31, v3
	s_delay_alu instid0(VALU_DEP_2) | instskip(SKIP_2) | instid1(VALU_DEP_2)
	v_lshlrev_b64 v[1:2], 2, v[1:2]
	s_addc_u32 s27, s21, s13
	s_lshl_b32 s4, s14, 4
	v_lshlrev_b64 v[3:4], 2, v[3:4]
	s_ashr_i32 s5, s4, 31
	s_delay_alu instid0(VALU_DEP_2) | instskip(SKIP_1) | instid1(VALU_DEP_3)
	v_add_co_u32 v1, vcc_lo, s16, v1
	v_add_co_ci_u32_e32 v2, vcc_lo, s37, v2, vcc_lo
	v_add_co_u32 v3, vcc_lo, s16, v3
	s_delay_alu instid0(VALU_DEP_4)
	v_add_co_ci_u32_e32 v4, vcc_lo, s37, v4, vcc_lo
	s_clause 0x1
	global_load_b32 v5, v[1:2], off
	global_load_b32 v6, v[3:4], off
	s_lshl_b64 s[4:5], s[4:5], 2
	v_lshlrev_b32_e32 v3, 4, v0
	s_add_u32 s4, s16, s4
	s_addc_u32 s5, s37, s5
	s_or_b32 s6, s31, 16
	s_delay_alu instid0(SALU_CYCLE_1) | instskip(SKIP_2) | instid1(SALU_CYCLE_1)
	s_ashr_i32 s7, s6, 4
	s_cmp_lt_i32 s6, s30
	s_cselect_b32 s6, s7, s3
	s_ashr_i32 s7, s6, 31
	s_delay_alu instid0(SALU_CYCLE_1) | instskip(NEXT) | instid1(SALU_CYCLE_1)
	s_lshl_b64 s[6:7], s[6:7], 2
	s_add_u32 s6, s16, s6
	s_addc_u32 s7, s37, s7
	s_or_b32 s8, s31, 32
	s_delay_alu instid0(SALU_CYCLE_1) | instskip(SKIP_2) | instid1(SALU_CYCLE_1)
	s_ashr_i32 s9, s8, 4
	s_cmp_lt_i32 s8, s30
	s_cselect_b32 s8, s9, s3
	s_ashr_i32 s9, s8, 31
	s_delay_alu instid0(SALU_CYCLE_1) | instskip(NEXT) | instid1(SALU_CYCLE_1)
	s_lshl_b64 s[8:9], s[8:9], 2
	;; [unrolled: 10-line block ×5, first 2 shown]
	s_add_u32 s24, s16, s18
	s_addc_u32 s25, s37, s19
	s_clause 0x5
	s_load_b32 s38, s[4:5], 0x0
	s_load_b32 s29, s[6:7], 0x0
	;; [unrolled: 1-line block ×6, first 2 shown]
	s_waitcnt vmcnt(1)
	v_mad_i64_i32 v[1:2], null, v5, s17, 0
	v_and_b32_e32 v5, 0xf0, v3
	s_waitcnt vmcnt(0)
	v_mad_i64_i32 v[3:4], null, v6, s17, 0
	s_delay_alu instid0(VALU_DEP_2) | instskip(NEXT) | instid1(VALU_DEP_4)
	v_add_co_u32 v7, s4, s26, v5
	v_lshlrev_b64 v[1:2], 1, v[1:2]
	v_add_co_ci_u32_e64 v8, null, s27, 0, s4
	s_delay_alu instid0(VALU_DEP_4) | instskip(SKIP_1) | instid1(VALU_DEP_3)
	v_lshlrev_b64 v[5:6], 1, v[3:4]
	s_or_b32 s4, s31, 0x60
	v_add_co_u32 v3, vcc_lo, v7, v1
	s_delay_alu instid0(VALU_DEP_3) | instskip(NEXT) | instid1(VALU_DEP_3)
	v_add_co_ci_u32_e32 v4, vcc_lo, v8, v2, vcc_lo
	v_add_co_u32 v1, vcc_lo, v7, v5
	s_delay_alu instid0(VALU_DEP_4)
	v_add_co_ci_u32_e32 v2, vcc_lo, v8, v6, vcc_lo
	s_clause 0x9
	global_load_b128 v[9:12], v[3:4], off
	global_load_b128 v[13:16], v[3:4], off offset:256
	global_load_b128 v[129:132], v[1:2], off
	global_load_b128 v[133:136], v[1:2], off offset:256
	global_load_b128 v[41:44], v[3:4], off offset:512
	;; [unrolled: 1-line block ×7, first 2 shown]
	v_mul_lo_u16 v5, v148, 52
	s_clause 0x1
	global_load_b128 v[151:154], v[1:2], off offset:1024
	global_load_b128 v[155:158], v[1:2], off offset:1280
	s_ashr_i32 s5, s4, 4
	s_cmp_lt_i32 s4, s30
	v_lshlrev_b32_e32 v6, 5, v148
	v_lshrrev_b16 v5, 8, v5
	s_cselect_b32 s4, s5, s3
	s_delay_alu instid0(SALU_CYCLE_1) | instskip(NEXT) | instid1(VALU_DEP_2)
	s_ashr_i32 s5, s4, 31
	v_lshl_or_b32 v6, v149, 9, v6
	s_delay_alu instid0(VALU_DEP_2) | instskip(SKIP_1) | instid1(SALU_CYCLE_1)
	v_mul_lo_u16 v5, v5, 5
	s_lshl_b64 s[4:5], s[4:5], 2
	s_add_u32 s20, s16, s4
	s_addc_u32 s21, s37, s5
	s_delay_alu instid0(VALU_DEP_1) | instskip(SKIP_1) | instid1(SALU_CYCLE_1)
	v_sub_nc_u16 v5, v148, v5
	s_or_b32 s4, s31, 0x70
	s_ashr_i32 s5, s4, 4
	s_cmp_lt_i32 s4, s30
	s_delay_alu instid0(VALU_DEP_1) | instskip(SKIP_1) | instid1(SALU_CYCLE_1)
	v_and_b32_e32 v5, 0xff, v5
	s_cselect_b32 s4, s5, s3
	s_ashr_i32 s5, s4, 31
	s_delay_alu instid0(VALU_DEP_1)
	v_lshlrev_b32_e32 v197, 6, v5
	ds_load_b128 v[159:162], v197
	ds_load_b128 v[163:166], v197 offset:1024
	s_clause 0x3
	global_load_b128 v[167:170], v[3:4], off offset:1536
	global_load_b128 v[171:174], v[3:4], off offset:1792
	;; [unrolled: 1-line block ×4, first 2 shown]
	s_lshl_b64 s[6:7], s[4:5], 2
	s_mov_b32 s4, 0
	s_add_u32 s24, s16, s6
	s_addc_u32 s25, s37, s7
	s_or_b32 s5, s31, 0x80
	s_mov_b32 s11, s4
	s_ashr_i32 s6, s5, 4
	s_cmp_lt_i32 s5, s30
	s_mov_b32 s5, s4
	s_cselect_b32 s8, s6, s3
	s_mov_b32 s6, s4
	s_ashr_i32 s9, s8, 31
	s_mov_b32 s7, s4
	s_lshl_b64 s[8:9], s[8:9], 2
	s_clause 0x1
	s_load_b32 s45, s[20:21], 0x0
	s_load_b32 s46, s[24:25], 0x0
	s_add_u32 s26, s16, s8
	s_addc_u32 s27, s37, s9
	s_or_b32 s9, s31, 0x90
	s_mov_b32 s8, s4
	s_ashr_i32 s10, s9, 4
	s_cmp_lt_i32 s9, s30
	s_mov_b32 s9, s4
	s_cselect_b32 s40, s10, s3
	s_mov_b32 s10, s4
	s_ashr_i32 s41, s40, 31
	v_mov_b32_e32 v144, s11
	s_lshl_b64 s[40:41], s[40:41], 2
	v_mov_b32_e32 v143, s10
	s_add_u32 s40, s16, s40
	s_addc_u32 s41, s37, s41
	s_or_b32 s39, s31, 0xa0
	s_load_b32 s41, s[40:41], 0x0
	s_ashr_i32 s42, s39, 4
	s_cmp_lt_i32 s39, s30
	v_mov_b32_e32 v142, s9
	s_cselect_b32 s42, s42, s3
	v_mov_b32_e32 v141, s8
	s_ashr_i32 s43, s42, 31
	v_dual_mov_b32 v140, s7 :: v_dual_mov_b32 v139, s6
	v_dual_mov_b32 v138, s5 :: v_dual_mov_b32 v137, s4
	s_lshl_b64 s[4:5], s[42:43], 2
	s_waitcnt lgkmcnt(0)
	s_mul_hi_i32 s7, s29, s17
	s_add_u32 s42, s16, s4
	s_addc_u32 s43, s37, s5
	s_or_b32 s4, s31, 0xb0
	s_mul_hi_i32 s5, s38, s17
	s_ashr_i32 s6, s4, 4
	s_cmp_lt_i32 s4, s30
	s_mul_i32 s4, s38, s17
	s_cselect_b32 s8, s6, s3
	s_mul_i32 s6, s29, s17
	s_ashr_i32 s9, s8, 31
	s_load_b32 s40, s[42:43], 0x0
	s_lshl_b64 s[8:9], s[8:9], 2
	s_mul_hi_i32 s21, s15, s17
	s_add_u32 s38, s16, s8
	s_addc_u32 s39, s37, s9
	s_or_b32 s8, s31, 0xc0
	s_mul_hi_i32 s9, s28, s17
	s_ashr_i32 s10, s8, 4
	s_cmp_lt_i32 s8, s30
	s_mul_i32 s8, s28, s17
	s_cselect_b32 s28, s10, s3
	s_mul_hi_i32 s11, s19, s17
	s_ashr_i32 s29, s28, 31
	s_mul_i32 s10, s19, s17
	s_lshl_b64 s[28:29], s[28:29], 2
	s_mul_hi_i32 s19, s18, s17
	s_add_u32 s28, s16, s28
	s_addc_u32 s29, s37, s29
	s_or_b32 s44, s31, 0xd0
	s_mul_i32 s18, s18, s17
	s_ashr_i32 s20, s44, 4
	s_cmp_lt_i32 s44, s30
	s_load_b32 s44, s[26:27], 0x0
	s_cselect_b32 s24, s20, s3
	s_mul_i32 s20, s15, s17
	s_ashr_i32 s25, s24, 31
	s_mul_hi_i32 s27, s46, s17
	s_lshl_b64 s[24:25], s[24:25], 2
	s_mul_i32 s26, s46, s17
	s_add_u32 s24, s16, s24
	s_addc_u32 s25, s37, s25
	s_or_b32 s42, s31, 0xe0
	s_clause 0x2
	s_load_b32 s39, s[38:39], 0x0
	s_load_b32 s38, s[28:29], 0x0
	;; [unrolled: 1-line block ×3, first 2 shown]
	s_ashr_i32 s47, s42, 4
	s_cmp_lt_i32 s42, s30
	s_mul_hi_i32 s25, s45, s17
	s_mul_i32 s24, s45, s17
	s_mul_hi_i32 s43, s41, s17
	s_mul_i32 s42, s41, s17
	s_waitcnt lgkmcnt(0)
	s_mul_hi_i32 s41, s40, s17
	s_mul_i32 s40, s40, s17
	s_mul_hi_i32 s29, s44, s17
	s_mul_i32 s28, s44, s17
	s_cselect_b32 s44, s47, s3
	s_delay_alu instid0(SALU_CYCLE_1) | instskip(NEXT) | instid1(SALU_CYCLE_1)
	s_ashr_i32 s45, s44, 31
	s_lshl_b64 s[44:45], s[44:45], 2
	s_delay_alu instid0(SALU_CYCLE_1)
	s_add_u32 s44, s16, s44
	s_addc_u32 s45, s37, s45
	s_or_b32 s46, s31, 0xf0
	s_mul_hi_i32 s51, s15, s17
	s_ashr_i32 s48, s46, 4
	s_cmp_lt_i32 s46, s30
	s_mul_i32 s50, s15, s17
	s_cselect_b32 s48, s48, s3
	s_mul_hi_i32 s47, s39, s17
	s_ashr_i32 s49, s48, 31
	s_mul_i32 s46, s39, s17
	s_lshl_b64 s[48:49], s[48:49], 2
	s_mul_hi_i32 s39, s38, s17
	s_add_u32 s48, s16, s48
	s_addc_u32 s49, s37, s49
	s_add_u32 s3, s22, s12
	s_addc_u32 s15, s23, s13
	v_add_co_u32 v195, s3, s3, v6
	s_delay_alu instid0(VALU_DEP_1) | instskip(SKIP_2) | instid1(VALU_DEP_2)
	v_add_co_ci_u32_e64 v196, null, s15, 0, s3
	s_lshl_b64 s[4:5], s[4:5], 1
	s_lshl_b64 s[6:7], s[6:7], 1
	v_add_co_u32 v1, vcc_lo, v195, s4
	s_delay_alu instid0(VALU_DEP_2)
	v_add_co_ci_u32_e32 v2, vcc_lo, s5, v196, vcc_lo
	v_add_co_u32 v3, vcc_lo, v195, s6
	s_lshl_b64 s[8:9], s[8:9], 1
	v_add_co_ci_u32_e32 v4, vcc_lo, s7, v196, vcc_lo
	v_add_co_u32 v5, vcc_lo, v195, s8
	s_lshl_b64 s[10:11], s[10:11], 1
	;; [unrolled: 3-line block ×10, first 2 shown]
	s_mul_i32 s38, s38, s17
	v_add_co_ci_u32_e32 v184, vcc_lo, s29, v196, vcc_lo
	v_add_co_u32 v185, vcc_lo, v195, s40
	s_lshl_b64 s[38:39], s[38:39], 1
	s_clause 0x1
	s_load_b32 s3, s[44:45], 0x0
	s_load_b32 s15, s[48:49], 0x0
	v_add_co_ci_u32_e32 v186, vcc_lo, s41, v196, vcc_lo
	v_add_co_u32 v191, vcc_lo, v195, s38
	v_add_co_ci_u32_e32 v192, vcc_lo, s39, v196, vcc_lo
	s_clause 0x17
	global_load_b128 v[121:124], v[1:2], off
	global_load_b128 v[125:128], v[1:2], off offset:16
	global_load_b128 v[113:116], v[3:4], off
	global_load_b128 v[117:120], v[3:4], off offset:16
	;; [unrolled: 2-line block ×12, first 2 shown]
	s_lshl_b64 s[42:43], s[50:51], 1
	s_delay_alu instid0(SALU_CYCLE_1)
	v_add_co_u32 v193, vcc_lo, v195, s42
	v_add_co_ci_u32_e32 v194, vcc_lo, s43, v196, vcc_lo
	s_waitcnt lgkmcnt(0)
	s_mul_hi_i32 s5, s3, s17
	s_mul_i32 s4, s3, s17
	s_mul_hi_i32 s7, s15, s17
	s_lshl_b64 s[4:5], s[4:5], 1
	s_mul_i32 s6, s15, s17
	s_waitcnt vmcnt(38)
	v_wmma_f32_16x16x16_f16 v[183:190], v[9:16], v[159:166], v[137:144]
	s_waitcnt vmcnt(36)
	v_wmma_f32_16x16x16_f16 v[137:144], v[129:136], v[159:166], v[137:144]
	s_clause 0x1
	global_load_b128 v[9:12], v[191:192], off
	global_load_b128 v[13:16], v[191:192], off offset:16
	ds_load_b128 v[129:132], v197 offset:2048
	ds_load_b128 v[133:136], v197 offset:3072
	ds_load_b128 v[159:162], v197 offset:4096
	ds_load_b128 v[163:166], v197 offset:5120
	v_add_co_u32 v191, vcc_lo, v195, s4
	v_add_co_ci_u32_e32 v192, vcc_lo, s5, v196, vcc_lo
	s_lshl_b64 s[4:5], s[6:7], 1
	s_delay_alu instid0(SALU_CYCLE_1)
	v_add_co_u32 v195, vcc_lo, v195, s4
	v_add_co_ci_u32_e32 v196, vcc_lo, s5, v196, vcc_lo
	s_waitcnt vmcnt(36) lgkmcnt(2)
	v_wmma_f32_16x16x16_f16 v[183:190], v[41:48], v[129:136], v[183:190]
	s_waitcnt vmcnt(34)
	v_wmma_f32_16x16x16_f16 v[137:144], v[33:40], v[129:136], v[137:144]
	s_clause 0x3
	global_load_b128 v[33:36], v[193:194], off
	global_load_b128 v[37:40], v[193:194], off offset:16
	global_load_b128 v[41:44], v[191:192], off
	global_load_b128 v[45:48], v[191:192], off offset:16
	v_and_b32_e32 v129, 0xe0, v0
	v_mbcnt_lo_u32_b32 v191, -1, 0
	s_waitcnt vmcnt(36) lgkmcnt(0)
	v_wmma_f32_16x16x16_f16 v[183:190], v[17:24], v[159:166], v[183:190]
	s_clause 0x1
	global_load_b128 v[17:20], v[195:196], off
	global_load_b128 v[21:24], v[195:196], off offset:16
	s_waitcnt vmcnt(36)
	v_wmma_f32_16x16x16_f16 v[137:144], v[151:158], v[159:166], v[137:144]
	v_add_nc_u32_e32 v192, s31, v129
	ds_load_b128 v[129:132], v197 offset:6144
	ds_load_b128 v[133:136], v197 offset:7168
	v_xor_b32_e32 v151, 16, v191
	s_waitcnt vmcnt(0) lgkmcnt(0)
	s_barrier
	v_or_b32_e32 v152, v192, v146
	buffer_gl0_inv
	v_cmp_gt_i32_e32 vcc_lo, 32, v151
	v_or_b32_e32 v153, 2, v152
	v_or_b32_e32 v154, 4, v152
	;; [unrolled: 1-line block ×5, first 2 shown]
	v_cmp_gt_i32_e64 s3, s30, v153
	v_cmp_gt_i32_e64 s4, s30, v154
	;; [unrolled: 1-line block ×3, first 2 shown]
	v_or_b32_e32 v158, 12, v152
	v_or_b32_e32 v159, 14, v152
	v_cmp_gt_i32_e64 s6, s30, v156
	v_wmma_f32_16x16x16_f16 v[183:190], v[167:174], v[129:136], v[183:190]
	v_wmma_f32_16x16x16_f16 v[137:144], v[175:182], v[129:136], v[137:144]
	v_cndmask_b32_e32 v151, v191, v151, vcc_lo
	v_cmp_gt_i32_e32 vcc_lo, s30, v152
	v_cmp_gt_i32_e64 s7, s30, v157
	v_dual_mul_f32 v135, s36, v184 :: v_dual_mul_f32 v136, s36, v183
	v_mul_f32_e32 v134, s36, v185
	v_dual_mul_f32 v168, s36, v144 :: v_dual_mul_f32 v133, s36, v186
	s_delay_alu instid0(VALU_DEP_3) | instskip(NEXT) | instid1(VALU_DEP_4)
	v_cndmask_b32_e64 v135, 0xff7fffff, v135, s3
	v_cndmask_b32_e32 v136, 0xff7fffff, v136, vcc_lo
	v_dual_mul_f32 v131, s36, v188 :: v_dual_mul_f32 v174, s36, v138
	v_mul_f32_e32 v132, s36, v187
	v_cndmask_b32_e64 v134, 0xff7fffff, v134, s4
	v_cndmask_b32_e64 v133, 0xff7fffff, v133, s5
	v_max3_f32 v135, v136, 0xff7fffff, v135
	v_or_b32_e32 v160, 16, v152
	v_or_b32_e32 v161, 18, v152
	v_dual_mul_f32 v129, s36, v190 :: v_dual_mul_f32 v172, s36, v140
	v_mul_f32_e32 v130, s36, v189
	v_cndmask_b32_e64 v132, 0xff7fffff, v132, s6
	v_cndmask_b32_e64 v131, 0xff7fffff, v131, s7
	v_max3_f32 v133, v135, v134, v133
	v_cmp_gt_i32_e64 s8, s30, v158
	v_cmp_gt_i32_e64 s9, s30, v159
	v_or_b32_e32 v162, 20, v152
	v_or_b32_e32 v163, 22, v152
	v_mul_f32_e32 v175, s36, v137
	v_cndmask_b32_e64 v130, 0xff7fffff, v130, s8
	v_cndmask_b32_e64 v129, 0xff7fffff, v129, s9
	v_max3_f32 v131, v133, v132, v131
	v_cmp_gt_i32_e64 s10, s30, v160
	v_cmp_gt_i32_e64 s11, s30, v161
	v_or_b32_e32 v164, 24, v152
	v_or_b32_e32 v165, 26, v152
	;; [unrolled: 8-line block ×3, first 2 shown]
	v_dual_mul_f32 v170, s36, v142 :: v_dual_mul_f32 v171, s36, v141
	v_cndmask_b32_e64 v130, 0xff7fffff, v173, s12
	v_cndmask_b32_e64 v131, 0xff7fffff, v172, s13
	v_max3_f32 v129, v129, v132, v133
	v_cmp_gt_i32_e64 s15, s30, v164
	v_cmp_gt_i32_e64 s16, s30, v165
	v_mul_f32_e32 v169, s36, v143
	v_cmp_gt_i32_e64 s17, s30, v166
	v_max3_f32 v129, v129, v130, v131
	v_cndmask_b32_e64 v132, 0xff7fffff, v171, s15
	v_cndmask_b32_e64 v133, 0xff7fffff, v170, s16
	v_cmp_gt_i32_e64 s18, s30, v167
	v_cndmask_b32_e64 v130, 0xff7fffff, v169, s17
	s_delay_alu instid0(VALU_DEP_3) | instskip(NEXT) | instid1(VALU_DEP_3)
	v_max3_f32 v129, v129, v132, v133
	v_cndmask_b32_e64 v131, 0xff7fffff, v168, s18
	v_lshlrev_b32_e32 v132, 2, v151
	s_delay_alu instid0(VALU_DEP_2) | instskip(SKIP_3) | instid1(VALU_DEP_1)
	v_max3_f32 v129, v129, v130, v131
	ds_bpermute_b32 v130, v132, v129
	s_waitcnt lgkmcnt(0)
	v_max_f32_e32 v130, v130, v130
	v_max_f32_e32 v129, v129, v130
	s_delay_alu instid0(VALU_DEP_1)
	v_fma_f32 v134, s36, v186, -v129
	v_fma_f32 v130, s36, v183, -v129
	;; [unrolled: 1-line block ×5, first 2 shown]
	v_mul_f32_e32 v134, 0x3fb8aa3b, v134
	s_delay_alu instid0(VALU_DEP_4) | instskip(SKIP_1) | instid1(VALU_DEP_4)
	v_dual_mul_f32 v130, 0x3fb8aa3b, v130 :: v_dual_mul_f32 v131, 0x3fb8aa3b, v131
	v_fma_f32 v135, s36, v187, -v129
	v_mul_f32_e32 v136, 0x3fb8aa3b, v136
	s_delay_alu instid0(VALU_DEP_4) | instskip(NEXT) | instid1(VALU_DEP_3)
	v_exp_f32_e32 v134, v134
	v_exp_f32_e32 v130, v130
	;; [unrolled: 1-line block ×3, first 2 shown]
	v_mul_f32_e32 v135, 0x3fb8aa3b, v135
	v_exp_f32_e32 v136, v136
	s_delay_alu instid0(VALU_DEP_1) | instskip(SKIP_4) | instid1(TRANS32_DEP_3)
	v_exp_f32_e32 v135, v135
	v_cndmask_b32_e64 v153, 0, v134, s5
	v_fma_f32 v134, s36, v137, -v129
	v_dual_mul_f32 v133, 0x3fb8aa3b, v133 :: v_dual_cndmask_b32 v152, 0, v130
	v_fma_f32 v130, s36, v188, -v129
	v_cndmask_b32_e64 v151, 0, v131, s3
	s_delay_alu instid0(VALU_DEP_4) | instskip(NEXT) | instid1(VALU_DEP_4)
	v_mul_f32_e32 v134, 0x3fb8aa3b, v134
	v_exp_f32_e32 v133, v133
	s_delay_alu instid0(VALU_DEP_3) | instskip(SKIP_3) | instid1(VALU_DEP_4)
	v_dual_add_f32 v131, 0, v152 :: v_dual_mul_f32 v130, 0x3fb8aa3b, v130
	v_cndmask_b32_e64 v156, 0, v136, s8
	v_fma_f32 v136, s36, v140, -v129
	v_cndmask_b32_e64 v155, 0, v135, s6
	v_add_f32_e32 v131, v131, v151
	v_exp_f32_e32 v130, v130
	v_fma_f32 v135, s36, v138, -v129
	v_mul_f32_e32 v136, 0x3fb8aa3b, v136
	s_delay_alu instid0(TRANS32_DEP_2)
	v_cndmask_b32_e64 v154, 0, v133, s4
	v_fma_f32 v133, s36, v190, -v129
	v_exp_f32_e32 v134, v134
	v_cmp_gt_u32_e64 s3, 16, v150
	v_exp_f32_e32 v136, v136
	v_add_f32_e32 v131, v131, v154
	s_delay_alu instid0(TRANS32_DEP_3) | instskip(NEXT) | instid1(VALU_DEP_2)
	v_cndmask_b32_e64 v138, 0, v130, s7
	v_add_f32_e32 v131, v131, v153
	s_delay_alu instid0(VALU_DEP_1) | instskip(NEXT) | instid1(VALU_DEP_1)
	v_dual_mul_f32 v133, 0x3fb8aa3b, v133 :: v_dual_add_f32 v130, v131, v155
	v_exp_f32_e32 v133, v133
	v_fma_f32 v131, s36, v139, -v129
	s_delay_alu instid0(VALU_DEP_2) | instskip(NEXT) | instid1(VALU_DEP_1)
	v_add_f32_e32 v130, v130, v138
	v_add_f32_e32 v130, v130, v156
	s_waitcnt_depctr 0xfff
	v_cndmask_b32_e64 v139, 0, v133, s9
	v_fma_f32 v133, s36, v141, -v129
	v_cndmask_b32_e64 v141, 0, v134, s10
	v_fma_f32 v134, s36, v142, -v129
	v_cndmask_b32_e64 v142, 0, v136, s13
	v_add_f32_e32 v130, v130, v139
	s_delay_alu instid0(VALU_DEP_3) | instskip(NEXT) | instid1(VALU_DEP_2)
	v_dual_mul_f32 v135, 0x3fb8aa3b, v135 :: v_dual_mul_f32 v134, 0x3fb8aa3b, v134
	v_add_f32_e32 v130, v130, v141
	s_delay_alu instid0(VALU_DEP_2) | instskip(NEXT) | instid1(VALU_DEP_2)
	v_exp_f32_e32 v135, v135
	v_exp_f32_e32 v134, v134
	s_waitcnt_depctr 0xfff
	v_cndmask_b32_e64 v140, 0, v135, s11
	v_mul_f32_e32 v131, 0x3fb8aa3b, v131
	v_fma_f32 v135, s36, v143, -v129
	s_delay_alu instid0(VALU_DEP_3) | instskip(NEXT) | instid1(VALU_DEP_3)
	v_add_f32_e32 v130, v130, v140
	v_exp_f32_e32 v131, v131
	s_waitcnt_depctr 0xfff
	v_cndmask_b32_e64 v143, 0, v131, s12
	s_delay_alu instid0(VALU_DEP_1) | instskip(NEXT) | instid1(VALU_DEP_1)
	v_dual_mul_f32 v133, 0x3fb8aa3b, v133 :: v_dual_add_f32 v130, v130, v143
	v_exp_f32_e32 v133, v133
	v_mul_f32_e32 v131, 0x3fb8aa3b, v135
	v_fma_f32 v135, s36, v144, -v129
	v_cndmask_b32_e64 v144, 0, v134, s16
	v_add_f32_e32 v130, v130, v142
	s_delay_alu instid0(VALU_DEP_4) | instskip(SKIP_2) | instid1(VALU_DEP_1)
	v_exp_f32_e32 v131, v131
	s_waitcnt_depctr 0xfff
	v_cndmask_b32_e64 v157, 0, v133, s15
	v_dual_mul_f32 v133, 0x3fb8aa3b, v135 :: v_dual_add_f32 v130, v130, v157
	s_delay_alu instid0(VALU_DEP_1) | instskip(SKIP_1) | instid1(VALU_DEP_2)
	v_exp_f32_e32 v133, v133
	v_cndmask_b32_e64 v159, 0, v131, s17
	v_add_f32_e32 v130, v130, v144
	s_delay_alu instid0(VALU_DEP_1) | instskip(SKIP_2) | instid1(VALU_DEP_1)
	v_add_f32_e32 v130, v130, v159
	s_waitcnt_depctr 0xfff
	v_cndmask_b32_e64 v158, 0, v133, s18
	v_add_f32_e32 v130, v130, v158
	ds_bpermute_b32 v131, v132, v130
	s_and_saveexec_b32 s4, s3
	s_cbranch_execz .LBB98_12
; %bb.11:
	v_mul_u32_u24_e32 v132, 0x44, v149
	s_delay_alu instid0(VALU_DEP_1) | instskip(SKIP_1) | instid1(VALU_DEP_1)
	v_lshl_add_u32 v132, v148, 2, v132
	s_waitcnt lgkmcnt(0)
	v_dual_add_f32 v130, v130, v131 :: v_dual_add_nc_u32 v131, 0x4000, v132
	ds_store_2addr_b32 v131, v129, v130 offset1:136
.LBB98_12:
	s_or_b32 exec_lo, exec_lo, s4
	v_lshlrev_b32_e32 v129, 2, v148
	s_load_b32 s36, s[0:1], 0x94
	s_waitcnt lgkmcnt(0)
	s_barrier
	buffer_gl0_inv
	v_add_nc_u32_e32 v135, 0x4000, v129
	v_cmp_eq_u32_e32 vcc_lo, 1, v149
	v_cmp_eq_u32_e64 s4, 2, v149
	v_cmp_eq_u32_e64 s5, 3, v149
	;; [unrolled: 1-line block ×3, first 2 shown]
	ds_load_2addr_b32 v[129:130], v135 offset1:17
	ds_load_2addr_b32 v[131:132], v135 offset0:34 offset1:51
	ds_load_2addr_b32 v[133:134], v135 offset0:68 offset1:85
	ds_load_2addr_b32 v[160:161], v135 offset0:102 offset1:119
	v_cmp_eq_u32_e64 s7, 5, v149
	v_cmp_eq_u32_e64 s8, 7, v149
	s_waitcnt lgkmcnt(3)
	v_max3_f32 v136, v129, 0xff7fffff, v130
	s_waitcnt lgkmcnt(2)
	s_delay_alu instid0(VALU_DEP_1) | instskip(SKIP_1) | instid1(VALU_DEP_1)
	v_max3_f32 v136, v136, v131, v132
	s_waitcnt lgkmcnt(1)
	v_max3_f32 v136, v136, v133, v134
	s_waitcnt lgkmcnt(0)
	s_delay_alu instid0(VALU_DEP_1) | instskip(NEXT) | instid1(VALU_DEP_1)
	v_max3_f32 v136, v136, v160, v161
	v_sub_f32_e32 v164, v132, v136
	ds_load_2addr_b32 v[162:163], v135 offset0:136 offset1:153
	v_sub_f32_e32 v129, v129, v136
	v_sub_f32_e32 v137, v130, v136
	;; [unrolled: 1-line block ×3, first 2 shown]
	v_mul_f32_e32 v164, 0x3fb8aa3b, v164
	s_delay_alu instid0(VALU_DEP_4) | instskip(NEXT) | instid1(VALU_DEP_4)
	v_mul_f32_e32 v150, 0x3fb8aa3b, v129
	v_mul_f32_e32 v137, 0x3fb8aa3b, v137
	ds_load_2addr_b32 v[129:130], v135 offset0:170 offset1:187
	v_mul_f32_e32 v167, 0x3fb8aa3b, v133
	v_exp_f32_e32 v164, v164
	v_exp_f32_e32 v150, v150
	;; [unrolled: 1-line block ×3, first 2 shown]
	v_sub_f32_e32 v131, v131, v136
	s_delay_alu instid0(VALU_DEP_1)
	v_mul_f32_e32 v165, 0x3fb8aa3b, v131
	ds_load_2addr_b32 v[131:132], v135 offset0:204 offset1:221
	s_waitcnt lgkmcnt(2)
	v_fma_f32 v137, v150, v162, 0
	v_sub_f32_e32 v162, v134, v136
	v_exp_f32_e32 v165, v165
	ds_load_2addr_b32 v[133:134], v135 offset0:238 offset1:255
	v_sub_f32_e32 v135, v160, v136
	v_dual_fmac_f32 v137, v166, v163 :: v_dual_mul_f32 v160, 0x3fb8aa3b, v162
	v_exp_f32_e32 v162, v167
	s_waitcnt lgkmcnt(0)
	s_delay_alu instid0(VALU_DEP_2)
	v_mul_f32_e32 v135, 0x3fb8aa3b, v135
	s_barrier
	v_exp_f32_e32 v160, v160
	v_fmac_f32_e32 v137, v165, v129
	v_sub_f32_e32 v129, v161, v136
	v_exp_f32_e32 v161, v135
	buffer_gl0_inv
	v_fmac_f32_e32 v137, v164, v130
	v_dual_mul_f32 v129, 0x3fb8aa3b, v129 :: v_dual_cndmask_b32 v130, v150, v166
	s_delay_alu instid0(VALU_DEP_2) | instskip(NEXT) | instid1(VALU_DEP_2)
	v_fmac_f32_e32 v137, v162, v131
	v_exp_f32_e32 v163, v129
	s_delay_alu instid0(VALU_DEP_1) | instskip(NEXT) | instid1(VALU_DEP_1)
	v_fmac_f32_e32 v137, v160, v132
	v_fmac_f32_e32 v137, v161, v133
	v_lshlrev_b32_e32 v133, 6, v148
	s_waitcnt_depctr 0xfff
	v_fmac_f32_e32 v137, v163, v134
	v_lshl_or_b32 v135, v149, 11, v133
	s_delay_alu instid0(VALU_DEP_2) | instskip(NEXT) | instid1(VALU_DEP_1)
	v_add_f32_e32 v134, 0x358637bd, v137
	v_div_scale_f32 v167, null, v134, v134, 1.0
	v_div_scale_f32 v150, vcc_lo, 1.0, v134, 1.0
	s_delay_alu instid0(VALU_DEP_2) | instskip(SKIP_2) | instid1(VALU_DEP_1)
	v_rcp_f32_e32 v168, v167
	s_waitcnt_depctr 0xfff
	v_fma_f32 v129, -v167, v168, 1.0
	v_fmac_f32_e32 v168, v129, v168
	v_cndmask_b32_e64 v129, v130, v165, s4
	v_cmp_eq_u32_e64 s4, 6, v149
	s_delay_alu instid0(VALU_DEP_3) | instskip(NEXT) | instid1(VALU_DEP_3)
	v_mul_f32_e32 v165, v150, v168
	v_cndmask_b32_e64 v130, v129, v164, s5
	v_lshlrev_b32_e32 v129, 2, v146
	s_delay_alu instid0(VALU_DEP_3) | instskip(NEXT) | instid1(VALU_DEP_3)
	v_fma_f32 v131, -v167, v165, v150
	v_cndmask_b32_e64 v162, v130, v162, s6
	s_delay_alu instid0(VALU_DEP_3)
	v_or_b32_e32 v130, 1, v129
	v_or_b32_e32 v132, 2, v129
	v_cmp_eq_u32_e64 s5, 1, v129
	v_fmac_f32_e32 v165, v131, v168
	v_cndmask_b32_e64 v149, v162, v160, s7
	v_or_b32_e32 v131, 3, v129
	v_cmp_eq_u32_e64 s10, 1, v130
	v_cmp_eq_u32_e64 s11, 1, v132
	v_fma_f32 v150, -v167, v165, v150
	v_cndmask_b32_e64 v149, v149, v161, s4
	v_cmp_eq_u32_e64 s12, 1, v131
	v_cmp_eq_u32_e64 s6, 2, v129
	;; [unrolled: 1-line block ×3, first 2 shown]
	v_div_fmas_f32 v150, v150, v168, v165
	v_cndmask_b32_e64 v149, v149, v163, s8
	v_cmp_eq_u32_e64 s16, 2, v132
	v_cmp_eq_u32_e64 s17, 2, v131
	v_cmp_eq_u32_e32 vcc_lo, 3, v129
	v_div_fixup_f32 v150, v150, v134, 1.0
	v_lshl_or_b32 v134, v146, 4, v135
	v_cmp_eq_u32_e64 s15, 3, v130
	v_cmp_eq_u32_e64 s19, 3, v131
	;; [unrolled: 1-line block ×3, first 2 shown]
	v_mul_f32_e32 v149, v149, v150
	v_cmp_eq_u32_e64 s18, 3, v132
	v_cmp_eq_u32_e64 s20, 4, v130
	;; [unrolled: 1-line block ×4, first 2 shown]
	v_fma_mixlo_f16 v160, v149, v152, 0
	v_fma_mixlo_f16 v161, v149, v154, 0
	;; [unrolled: 1-line block ×8, first 2 shown]
	v_fma_mixhi_f16 v160, v149, v151, 0
	v_fma_mixhi_f16 v161, v149, v153, 0
	v_fma_mixhi_f16 v162, v149, v138, 0
	v_fma_mixhi_f16 v163, v149, v139, 0
	v_fma_mixhi_f16 v154, v149, v140, 0
	v_fma_mixhi_f16 v155, v149, v142, 0
	v_fma_mixhi_f16 v156, v149, v144, 0
	v_fma_mixhi_f16 v157, v149, v158, 0
	ds_store_b128 v134, v[160:163]
	ds_store_b128 v134, v[154:157] offset:1024
	s_waitcnt lgkmcnt(0)
	s_barrier
	buffer_gl0_inv
	ds_load_b128 v[138:141], v135
	ds_load_b128 v[149:152], v135 offset:16
	ds_load_b128 v[153:156], v135 offset:1024
	;; [unrolled: 1-line block ×3, first 2 shown]
	v_cmp_eq_u32_e64 s21, 5, v130
	v_cmp_eq_u32_e64 s22, 4, v132
	v_cmp_eq_u32_e64 s25, 5, v131
	v_cmp_eq_u32_e64 s8, 6, v129
	v_cmp_eq_u32_e64 s24, 5, v132
	v_cmp_eq_u32_e64 s26, 6, v130
	v_cmp_eq_u32_e64 s28, 6, v131
	v_cmp_eq_u32_e64 s9, 7, v129
	v_cmp_eq_u32_e64 s27, 6, v132
	v_cmp_eq_u32_e64 s30, 7, v131
	v_cmp_eq_u32_e64 s31, 7, v130
	v_cmp_eq_u32_e64 s29, 7, v132
	s_waitcnt lgkmcnt(3)
	v_lshrrev_b32_e32 v142, 16, v138
	s_waitcnt lgkmcnt(2)
	v_lshrrev_b32_e32 v162, 16, v149
	;; [unrolled: 2-line block ×4, first 2 shown]
	v_lshrrev_b32_e32 v143, 16, v139
	v_cndmask_b32_e64 v174, v138, v142, s5
	v_cndmask_b32_e64 v175, v149, v162, s5
	;; [unrolled: 1-line block ×7, first 2 shown]
	v_lshrrev_b32_e32 v163, 16, v150
	v_cndmask_b32_e64 v179, v149, v162, s11
	v_cndmask_b32_e64 v149, v153, v166, s5
	;; [unrolled: 1-line block ×16, first 2 shown]
	v_lshrrev_b32_e32 v167, 16, v154
	v_lshrrev_b32_e32 v171, 16, v158
	v_cndmask_b32_e64 v177, v179, v150, s16
	v_cndmask_b32_e64 v142, v149, v154, s6
	;; [unrolled: 1-line block ×7, first 2 shown]
	v_cndmask_b32_e32 v157, v166, v143, vcc_lo
	v_cndmask_b32_e32 v166, v170, v163, vcc_lo
	v_cndmask_b32_e64 v170, v174, v143, s15
	v_cndmask_b32_e64 v174, v175, v163, s15
	;; [unrolled: 1-line block ×4, first 2 shown]
	v_lshrrev_b32_e32 v144, 16, v140
	v_lshrrev_b32_e32 v164, 16, v151
	v_cndmask_b32_e64 v175, v176, v143, s18
	v_cndmask_b32_e64 v176, v177, v163, s18
	v_cndmask_b32_e32 v142, v142, v167, vcc_lo
	v_cndmask_b32_e32 v143, v149, v171, vcc_lo
	v_cndmask_b32_e64 v149, v150, v167, s15
	v_cndmask_b32_e64 v150, v157, v140, s4
	;; [unrolled: 1-line block ×7, first 2 shown]
	v_lshrrev_b32_e32 v168, 16, v155
	v_cndmask_b32_e64 v170, v175, v140, s22
	v_cndmask_b32_e64 v174, v176, v151, s22
	;; [unrolled: 1-line block ×11, first 2 shown]
	v_lshrrev_b32_e32 v161, 16, v141
	v_lshrrev_b32_e32 v165, 16, v152
	v_cndmask_b32_e64 v163, v170, v144, s24
	v_cndmask_b32_e64 v166, v174, v164, s24
	;; [unrolled: 1-line block ×9, first 2 shown]
	v_lshrrev_b32_e32 v169, 16, v156
	v_cndmask_b32_e64 v140, v140, v168, s7
	v_cndmask_b32_e64 v157, v163, v141, s27
	;; [unrolled: 1-line block ×14, first 2 shown]
	v_perm_b32 v141, v139, v138, 0x5040100
	v_perm_b32 v139, v151, v149, 0x5040100
	v_cndmask_b32_e64 v138, v183, v158, s16
	v_cndmask_b32_e64 v149, v181, v158, s13
	;; [unrolled: 1-line block ×3, first 2 shown]
	v_perm_b32 v140, v152, v150, 0x5040100
	v_cndmask_b32_e64 v150, v162, v167, s18
	v_cndmask_b32_e64 v151, v153, v167, s19
	;; [unrolled: 1-line block ×5, first 2 shown]
	v_lshrrev_b32_e32 v172, 16, v159
	v_cndmask_b32_e64 v150, v150, v155, s22
	v_cndmask_b32_e64 v151, v151, v155, s23
	;; [unrolled: 1-line block ×11, first 2 shown]
	v_lshrrev_b32_e32 v173, 16, v160
	v_cndmask_b32_e64 v142, v142, v160, s8
	v_cndmask_b32_e64 v150, v150, v156, s27
	;; [unrolled: 1-line block ×12, first 2 shown]
	v_perm_b32 v138, v144, v143, 0x5040100
	v_perm_b32 v152, v152, v151, 0x5040100
	;; [unrolled: 1-line block ×5, first 2 shown]
	s_mul_i32 s8, s35, 5
	s_mov_b32 s4, exec_lo
	ds_store_b128 v134, v[138:141]
	ds_store_b128 v134, v[149:152] offset:1024
	v_cmpx_gt_u32_e32 5, v0
	s_cbranch_execz .LBB98_14
; %bb.13:
	s_mul_i32 s5, s8, s34
	s_load_b128 s[16:19], s[0:1], 0x58
	v_add3_u32 v140, s5, s33, v148
	s_delay_alu instid0(VALU_DEP_1) | instskip(NEXT) | instid1(VALU_DEP_1)
	v_mad_u64_u32 v[138:139], null, v140, s36, s[14:15]
	v_ashrrev_i32_e32 v139, 31, v138
	s_delay_alu instid0(VALU_DEP_1) | instskip(SKIP_1) | instid1(VALU_DEP_1)
	v_lshlrev_b64 v[138:139], 2, v[138:139]
	s_waitcnt lgkmcnt(0)
	v_add_co_u32 v140, vcc_lo, s18, v138
	s_delay_alu instid0(VALU_DEP_2)
	v_add_co_ci_u32_e32 v141, vcc_lo, s19, v139, vcc_lo
	v_add_co_u32 v138, vcc_lo, s16, v138
	v_add_co_ci_u32_e32 v139, vcc_lo, s17, v139, vcc_lo
	global_store_b32 v[140:141], v136, off
	global_store_b32 v[138:139], v137, off
.LBB98_14:
	s_or_b32 exec_lo, exec_lo, s4
	s_waitcnt lgkmcnt(0)
	s_waitcnt_vscnt null, 0x0
	s_barrier
	buffer_gl0_inv
	ds_load_b128 v[148:151], v133
	ds_load_b128 v[152:155], v133 offset:16
	ds_load_b128 v[160:163], v133 offset:1040
	ds_load_b128 v[156:159], v133 offset:1024
	ds_load_b128 v[168:171], v133 offset:2064
	ds_load_b128 v[164:167], v133 offset:2048
	v_cmp_eq_u32_e32 vcc_lo, 1, v132
	v_mov_b32_e32 v136, 0
	ds_load_b128 v[176:179], v133 offset:3088
	ds_load_b128 v[172:175], v133 offset:3072
	;; [unrolled: 1-line block ×4, first 2 shown]
	v_cmp_eq_u32_e64 s4, 1, v129
	v_cmp_eq_u32_e64 s5, 1, v131
	;; [unrolled: 1-line block ×3, first 2 shown]
	v_mov_b32_e32 v137, v136
	v_mov_b32_e32 v138, v136
	v_mov_b32_e32 v139, v136
	v_mov_b32_e32 v140, v136
	v_mov_b32_e32 v141, v136
	v_mov_b32_e32 v142, v136
	v_mov_b32_e32 v143, v136
	v_cmp_eq_u32_e64 s7, 2, v129
	s_waitcnt lgkmcnt(8)
	s_delay_alu instid0(VALU_DEP_2)
	v_wmma_f32_16x16x16_f16 v[136:143], v[121:128], v[148:155], v[136:143]
	ds_load_b128 v[125:128], v133 offset:5136
	ds_load_b128 v[121:124], v133 offset:5120
	s_waitcnt lgkmcnt(8)
	v_wmma_f32_16x16x16_f16 v[136:143], v[113:120], v[156:163], v[136:143]
	ds_load_b128 v[117:120], v133 offset:6160
	ds_load_b128 v[113:116], v133 offset:6144
	s_waitcnt lgkmcnt(8)
	;; [unrolled: 4-line block ×11, first 2 shown]
	s_barrier
	buffer_gl0_inv
	v_wmma_f32_16x16x16_f16 v[136:143], v[1:8], v[73:80], v[136:143]
	s_delay_alu instid0(VALU_DEP_1) | instskip(NEXT) | instid1(VALU_DEP_1)
	v_wmma_f32_16x16x16_f16 v[136:143], v[9:16], v[65:72], v[136:143]
	v_wmma_f32_16x16x16_f16 v[136:143], v[33:40], v[57:64], v[136:143]
	s_delay_alu instid0(VALU_DEP_1) | instskip(NEXT) | instid1(VALU_DEP_1)
	v_wmma_f32_16x16x16_f16 v[136:143], v[41:48], v[49:56], v[136:143]
	v_wmma_f32_16x16x16_f16 v[136:143], v[17:24], v[25:32], v[136:143]
	s_delay_alu instid0(VALU_DEP_1) | instskip(NEXT) | instid1(VALU_DEP_2)
	v_cvt_f16_f32_e64 v1, v136
	v_cvt_f16_f32_e64 v2, v137
	s_delay_alu instid0(VALU_DEP_3) | instskip(NEXT) | instid1(VALU_DEP_4)
	v_cvt_f16_f32_e64 v3, v138
	v_cvt_f16_f32_e64 v4, v139
	;; [unrolled: 1-line block ×6, first 2 shown]
	v_pack_b32_f16 v1, v1, v2
	v_pack_b32_f16 v2, v3, v4
	v_pack_b32_f16 v3, v5, v6
	s_delay_alu instid0(VALU_DEP_4)
	v_pack_b32_f16 v4, v7, v8
	ds_store_b128 v134, v[1:4]
	s_waitcnt lgkmcnt(0)
	s_barrier
	buffer_gl0_inv
	ds_load_b128 v[1:4], v135
	ds_load_b128 v[5:8], v135 offset:16
	s_waitcnt lgkmcnt(1)
	v_lshrrev_b32_e32 v9, 16, v1
	s_waitcnt lgkmcnt(0)
	v_lshrrev_b32_e32 v13, 16, v5
	v_lshrrev_b32_e32 v10, 16, v2
	;; [unrolled: 1-line block ×4, first 2 shown]
	v_cndmask_b32_e64 v17, v1, v9, s4
	v_cndmask_b32_e64 v18, v5, v13, s4
	;; [unrolled: 1-line block ×3, first 2 shown]
	v_cmp_eq_u32_e64 s4, 2, v130
	v_cndmask_b32_e64 v20, v5, v13, s6
	v_cndmask_b32_e32 v21, v1, v9, vcc_lo
	v_cndmask_b32_e32 v22, v5, v13, vcc_lo
	v_cndmask_b32_e64 v1, v1, v9, s5
	v_cndmask_b32_e64 v5, v5, v13, s5
	v_cmp_eq_u32_e32 vcc_lo, 2, v132
	v_cmp_eq_u32_e64 s5, 2, v131
	v_cndmask_b32_e64 v9, v17, v2, s7
	v_cndmask_b32_e64 v13, v18, v6, s7
	;; [unrolled: 1-line block ×4, first 2 shown]
	v_cndmask_b32_e32 v19, v21, v2, vcc_lo
	v_cmp_eq_u32_e64 s4, 3, v132
	v_cndmask_b32_e32 v20, v22, v6, vcc_lo
	v_cndmask_b32_e64 v1, v1, v2, s5
	v_cmp_eq_u32_e32 vcc_lo, 3, v131
	v_cmp_eq_u32_e64 s6, 3, v129
	v_cndmask_b32_e64 v2, v5, v6, s5
	v_cmp_eq_u32_e64 s5, 3, v130
	v_cmp_eq_u32_e64 s7, 4, v129
	v_cndmask_b32_e32 v1, v1, v10, vcc_lo
	v_cndmask_b32_e64 v5, v9, v10, s6
	v_cndmask_b32_e64 v6, v13, v14, s6
	;; [unrolled: 1-line block ×3, first 2 shown]
	v_cmp_eq_u32_e64 s6, 4, v130
	v_cndmask_b32_e64 v13, v18, v14, s5
	v_cndmask_b32_e64 v17, v19, v10, s4
	;; [unrolled: 1-line block ×3, first 2 shown]
	v_cndmask_b32_e32 v2, v2, v14, vcc_lo
	v_cmp_eq_u32_e32 vcc_lo, 4, v132
	v_cmp_eq_u32_e64 s5, 4, v131
	v_lshrrev_b32_e32 v15, 16, v7
	v_cndmask_b32_e64 v5, v5, v3, s7
	v_cndmask_b32_e64 v6, v6, v7, s7
	v_cndmask_b32_e32 v14, v18, v7, vcc_lo
	v_cndmask_b32_e64 v9, v9, v3, s6
	v_cndmask_b32_e64 v10, v13, v7, s6
	v_cndmask_b32_e32 v13, v17, v3, vcc_lo
	v_cmp_eq_u32_e64 s4, 5, v132
	v_cndmask_b32_e64 v1, v1, v3, s5
	v_cmp_eq_u32_e32 vcc_lo, 5, v131
	v_cmp_eq_u32_e64 s6, 5, v129
	v_cndmask_b32_e64 v2, v2, v7, s5
	v_cmp_eq_u32_e64 s5, 5, v130
	v_cmp_eq_u32_e64 s7, 6, v129
	v_lshrrev_b32_e32 v12, 16, v4
	v_cndmask_b32_e64 v3, v5, v11, s6
	v_cndmask_b32_e64 v5, v6, v15, s6
	;; [unrolled: 1-line block ×3, first 2 shown]
	v_cmp_eq_u32_e64 s6, 6, v130
	v_cndmask_b32_e64 v7, v10, v15, s5
	v_cndmask_b32_e64 v9, v13, v11, s4
	;; [unrolled: 1-line block ×3, first 2 shown]
	v_cndmask_b32_e32 v1, v1, v11, vcc_lo
	v_cndmask_b32_e32 v2, v2, v15, vcc_lo
	v_cmp_eq_u32_e32 vcc_lo, 6, v132
	v_cmp_eq_u32_e64 s4, 6, v131
	v_lshrrev_b32_e32 v16, 16, v8
	v_cndmask_b32_e64 v3, v3, v4, s7
	v_cndmask_b32_e64 v5, v5, v8, s7
	v_cndmask_b32_e32 v9, v9, v4, vcc_lo
	v_cndmask_b32_e64 v6, v6, v4, s6
	v_cndmask_b32_e64 v7, v7, v8, s6
	v_cmp_eq_u32_e64 s5, 7, v132
	v_cndmask_b32_e32 v10, v10, v8, vcc_lo
	v_cndmask_b32_e64 v1, v1, v4, s4
	v_cmp_eq_u32_e32 vcc_lo, 7, v131
	v_cndmask_b32_e64 v2, v2, v8, s4
	v_cmp_eq_u32_e64 s4, 7, v129
	v_cmp_eq_u32_e64 s6, 7, v130
	v_cndmask_b32_e32 v1, v1, v12, vcc_lo
	s_delay_alu instid0(VALU_DEP_4) | instskip(NEXT) | instid1(VALU_DEP_4)
	v_cndmask_b32_e32 v2, v2, v16, vcc_lo
	v_cndmask_b32_e64 v8, v3, v12, s4
	s_delay_alu instid0(VALU_DEP_4)
	v_cndmask_b32_e64 v6, v6, v12, s6
	v_cndmask_b32_e64 v3, v9, v12, s5
	;; [unrolled: 1-line block ×5, first 2 shown]
	v_cmp_gt_u32_e32 vcc_lo, 32, v0
	v_perm_b32 v4, v2, v1, 0x5040100
	v_perm_b32 v3, v9, v3, 0x5040100
	;; [unrolled: 1-line block ×4, first 2 shown]
	s_and_b32 s2, vcc_lo, s2
	ds_store_b128 v134, v[1:4]
	s_waitcnt lgkmcnt(0)
	s_barrier
	buffer_gl0_inv
	s_and_saveexec_b32 s4, s2
	s_cbranch_execz .LBB98_2
; %bb.15:
	s_load_b64 s[4:5], s[0:1], 0x68
	v_lshlrev_b32_e32 v0, 10, v0
	v_add_nc_u32_e32 v2, s33, v146
	v_lshlrev_b32_e32 v3, 4, v147
	s_lshl_b32 s0, s36, 6
	s_delay_alu instid0(SALU_CYCLE_1) | instskip(NEXT) | instid1(VALU_DEP_2)
	s_mul_i32 s1, s0, s34
	v_mul_lo_u32 v1, v2, s0
	s_delay_alu instid0(VALU_DEP_2) | instskip(SKIP_2) | instid1(SALU_CYCLE_1)
	v_and_or_b32 v0, 0x3800, v0, v3
	v_add_nc_u32_e32 v2, 2, v2
	s_mul_i32 s6, s1, s8
	s_ashr_i32 s7, s6, 31
	s_delay_alu instid0(VALU_DEP_2)
	v_lshl_or_b32 v7, v146, 6, v0
	s_lshl_b64 s[6:7], s[6:7], 1
	v_mul_lo_u32 v11, v2, s0
	v_ashrrev_i32_e32 v2, 31, v1
	ds_load_b128 v[3:6], v7
	ds_load_b128 v[7:10], v7 offset:128
	s_waitcnt lgkmcnt(0)
	s_add_u32 s1, s4, s6
	s_addc_u32 s2, s5, s7
	s_lshl_b32 s4, s14, 6
	v_ashrrev_i32_e32 v12, 31, v11
	s_ashr_i32 s5, s4, 31
	v_lshlrev_b64 v[13:14], 1, v[1:2]
	s_lshl_b64 s[4:5], s[4:5], 1
	s_delay_alu instid0(SALU_CYCLE_1) | instskip(SKIP_2) | instid1(VALU_DEP_1)
	s_add_u32 s1, s1, s4
	s_addc_u32 s2, s2, s5
	v_add_co_u32 v1, s1, s1, v145
	v_add_co_ci_u32_e64 v2, null, s2, 0, s1
	v_lshlrev_b64 v[11:12], 1, v[11:12]
	s_delay_alu instid0(VALU_DEP_3) | instskip(NEXT) | instid1(VALU_DEP_3)
	v_add_co_u32 v13, vcc_lo, v1, v13
	v_add_co_ci_u32_e32 v14, vcc_lo, v2, v14, vcc_lo
	s_delay_alu instid0(VALU_DEP_3) | instskip(NEXT) | instid1(VALU_DEP_4)
	v_add_co_u32 v11, vcc_lo, v1, v11
	v_add_co_ci_u32_e32 v12, vcc_lo, v2, v12, vcc_lo
	s_clause 0x1
	global_store_b128 v[13:14], v[3:6], off
	global_store_b128 v[11:12], v[7:10], off
	s_and_b32 exec_lo, exec_lo, s3
	s_cbranch_execz .LBB98_2
; %bb.16:
	ds_load_b128 v[3:6], v0 offset:256
	s_add_i32 s1, s33, 4
	s_delay_alu instid0(SALU_CYCLE_1) | instskip(NEXT) | instid1(SALU_CYCLE_1)
	s_mul_i32 s0, s1, s0
	s_ashr_i32 s1, s0, 31
	s_delay_alu instid0(SALU_CYCLE_1) | instskip(NEXT) | instid1(SALU_CYCLE_1)
	s_lshl_b64 s[0:1], s[0:1], 1
	v_add_co_u32 v0, vcc_lo, v1, s0
	v_add_co_ci_u32_e32 v1, vcc_lo, s1, v2, vcc_lo
	s_waitcnt lgkmcnt(0)
	global_store_b128 v[0:1], v[3:6], off
	s_nop 0
	s_sendmsg sendmsg(MSG_DEALLOC_VGPRS)
	s_endpgm
	.section	.rodata,"a",@progbits
	.p2align	6, 0x0
	.amdhsa_kernel _Z39paged_attention_ll4mi_QKV_mfma16_kernelIDF16_DF16_LN4vllm18Fp8KVCacheDataTypeE0EDF16_Li16ELi64ELi256ELb0ELi5EL8MFMAType0EEvPKT_PKT0_S8_ifPKiSA_SA_iPKfiiiPfSD_PS3_PT2_iSC_SC_
		.amdhsa_group_segment_fixed_size 17472
		.amdhsa_private_segment_fixed_size 0
		.amdhsa_kernarg_size 400
		.amdhsa_user_sgpr_count 13
		.amdhsa_user_sgpr_dispatch_ptr 0
		.amdhsa_user_sgpr_queue_ptr 0
		.amdhsa_user_sgpr_kernarg_segment_ptr 1
		.amdhsa_user_sgpr_dispatch_id 0
		.amdhsa_user_sgpr_private_segment_size 0
		.amdhsa_wavefront_size32 1
		.amdhsa_uses_dynamic_stack 0
		.amdhsa_enable_private_segment 0
		.amdhsa_system_sgpr_workgroup_id_x 1
		.amdhsa_system_sgpr_workgroup_id_y 1
		.amdhsa_system_sgpr_workgroup_id_z 1
		.amdhsa_system_sgpr_workgroup_info 0
		.amdhsa_system_vgpr_workitem_id 0
		.amdhsa_next_free_vgpr 198
		.amdhsa_next_free_sgpr 52
		.amdhsa_reserve_vcc 1
		.amdhsa_float_round_mode_32 0
		.amdhsa_float_round_mode_16_64 0
		.amdhsa_float_denorm_mode_32 3
		.amdhsa_float_denorm_mode_16_64 3
		.amdhsa_dx10_clamp 1
		.amdhsa_ieee_mode 1
		.amdhsa_fp16_overflow 0
		.amdhsa_workgroup_processor_mode 1
		.amdhsa_memory_ordered 1
		.amdhsa_forward_progress 0
		.amdhsa_shared_vgpr_count 0
		.amdhsa_exception_fp_ieee_invalid_op 0
		.amdhsa_exception_fp_denorm_src 0
		.amdhsa_exception_fp_ieee_div_zero 0
		.amdhsa_exception_fp_ieee_overflow 0
		.amdhsa_exception_fp_ieee_underflow 0
		.amdhsa_exception_fp_ieee_inexact 0
		.amdhsa_exception_int_div_zero 0
	.end_amdhsa_kernel
	.section	.text._Z39paged_attention_ll4mi_QKV_mfma16_kernelIDF16_DF16_LN4vllm18Fp8KVCacheDataTypeE0EDF16_Li16ELi64ELi256ELb0ELi5EL8MFMAType0EEvPKT_PKT0_S8_ifPKiSA_SA_iPKfiiiPfSD_PS3_PT2_iSC_SC_,"axG",@progbits,_Z39paged_attention_ll4mi_QKV_mfma16_kernelIDF16_DF16_LN4vllm18Fp8KVCacheDataTypeE0EDF16_Li16ELi64ELi256ELb0ELi5EL8MFMAType0EEvPKT_PKT0_S8_ifPKiSA_SA_iPKfiiiPfSD_PS3_PT2_iSC_SC_,comdat
.Lfunc_end98:
	.size	_Z39paged_attention_ll4mi_QKV_mfma16_kernelIDF16_DF16_LN4vllm18Fp8KVCacheDataTypeE0EDF16_Li16ELi64ELi256ELb0ELi5EL8MFMAType0EEvPKT_PKT0_S8_ifPKiSA_SA_iPKfiiiPfSD_PS3_PT2_iSC_SC_, .Lfunc_end98-_Z39paged_attention_ll4mi_QKV_mfma16_kernelIDF16_DF16_LN4vllm18Fp8KVCacheDataTypeE0EDF16_Li16ELi64ELi256ELb0ELi5EL8MFMAType0EEvPKT_PKT0_S8_ifPKiSA_SA_iPKfiiiPfSD_PS3_PT2_iSC_SC_
                                        ; -- End function
	.section	.AMDGPU.csdata,"",@progbits
; Kernel info:
; codeLenInByte = 7832
; NumSgprs: 54
; NumVgprs: 198
; ScratchSize: 0
; MemoryBound: 0
; FloatMode: 240
; IeeeMode: 1
; LDSByteSize: 17472 bytes/workgroup (compile time only)
; SGPRBlocks: 6
; VGPRBlocks: 24
; NumSGPRsForWavesPerEU: 54
; NumVGPRsForWavesPerEU: 198
; Occupancy: 7
; WaveLimiterHint : 1
; COMPUTE_PGM_RSRC2:SCRATCH_EN: 0
; COMPUTE_PGM_RSRC2:USER_SGPR: 13
; COMPUTE_PGM_RSRC2:TRAP_HANDLER: 0
; COMPUTE_PGM_RSRC2:TGID_X_EN: 1
; COMPUTE_PGM_RSRC2:TGID_Y_EN: 1
; COMPUTE_PGM_RSRC2:TGID_Z_EN: 1
; COMPUTE_PGM_RSRC2:TIDIG_COMP_CNT: 0
	.section	.text._Z39paged_attention_ll4mi_QKV_mfma16_kernelIDF16_DF16_LN4vllm18Fp8KVCacheDataTypeE0EDF16_Li16ELi64ELi256ELb0ELi6EL8MFMAType0EEvPKT_PKT0_S8_ifPKiSA_SA_iPKfiiiPfSD_PS3_PT2_iSC_SC_,"axG",@progbits,_Z39paged_attention_ll4mi_QKV_mfma16_kernelIDF16_DF16_LN4vllm18Fp8KVCacheDataTypeE0EDF16_Li16ELi64ELi256ELb0ELi6EL8MFMAType0EEvPKT_PKT0_S8_ifPKiSA_SA_iPKfiiiPfSD_PS3_PT2_iSC_SC_,comdat
	.protected	_Z39paged_attention_ll4mi_QKV_mfma16_kernelIDF16_DF16_LN4vllm18Fp8KVCacheDataTypeE0EDF16_Li16ELi64ELi256ELb0ELi6EL8MFMAType0EEvPKT_PKT0_S8_ifPKiSA_SA_iPKfiiiPfSD_PS3_PT2_iSC_SC_ ; -- Begin function _Z39paged_attention_ll4mi_QKV_mfma16_kernelIDF16_DF16_LN4vllm18Fp8KVCacheDataTypeE0EDF16_Li16ELi64ELi256ELb0ELi6EL8MFMAType0EEvPKT_PKT0_S8_ifPKiSA_SA_iPKfiiiPfSD_PS3_PT2_iSC_SC_
	.globl	_Z39paged_attention_ll4mi_QKV_mfma16_kernelIDF16_DF16_LN4vllm18Fp8KVCacheDataTypeE0EDF16_Li16ELi64ELi256ELb0ELi6EL8MFMAType0EEvPKT_PKT0_S8_ifPKiSA_SA_iPKfiiiPfSD_PS3_PT2_iSC_SC_
	.p2align	8
	.type	_Z39paged_attention_ll4mi_QKV_mfma16_kernelIDF16_DF16_LN4vllm18Fp8KVCacheDataTypeE0EDF16_Li16ELi64ELi256ELb0ELi6EL8MFMAType0EEvPKT_PKT0_S8_ifPKiSA_SA_iPKfiiiPfSD_PS3_PT2_iSC_SC_,@function
_Z39paged_attention_ll4mi_QKV_mfma16_kernelIDF16_DF16_LN4vllm18Fp8KVCacheDataTypeE0EDF16_Li16ELi64ELi256ELb0ELi6EL8MFMAType0EEvPKT_PKT0_S8_ifPKiSA_SA_iPKfiiiPfSD_PS3_PT2_iSC_SC_: ; @_Z39paged_attention_ll4mi_QKV_mfma16_kernelIDF16_DF16_LN4vllm18Fp8KVCacheDataTypeE0EDF16_Li16ELi64ELi256ELb0ELi6EL8MFMAType0EEvPKT_PKT0_S8_ifPKiSA_SA_iPKfiiiPfSD_PS3_PT2_iSC_SC_
; %bb.0:
	s_load_b64 s[2:3], s[0:1], 0x30
	s_mov_b32 s34, s13
	s_waitcnt lgkmcnt(0)
	s_cmp_lg_u64 s[2:3], 0
	s_cselect_b32 s8, -1, 0
	s_ashr_i32 s35, s13, 31
	s_cmp_eq_u64 s[2:3], 0
	s_cbranch_scc1 .LBB99_3
; %bb.1:
	s_lshl_b64 s[4:5], s[34:35], 2
	s_delay_alu instid0(SALU_CYCLE_1) | instskip(SKIP_4) | instid1(SALU_CYCLE_1)
	s_add_u32 s4, s2, s4
	s_addc_u32 s5, s3, s5
	s_load_b64 s[4:5], s[4:5], 0x0
	s_waitcnt lgkmcnt(0)
	s_sub_i32 s4, s5, s4
	s_cmp_eq_u32 s4, 1
	s_cselect_b32 s4, -1, 0
	s_delay_alu instid0(SALU_CYCLE_1)
	s_and_not1_b32 vcc_lo, exec_lo, s4
	s_cbranch_vccz .LBB99_4
.LBB99_2:
	s_endpgm
.LBB99_3:
.LBB99_4:
	s_load_b64 s[4:5], s[0:1], 0x28
	s_lshl_b64 s[6:7], s[34:35], 2
	s_waitcnt lgkmcnt(0)
	s_add_u32 s4, s4, s6
	s_addc_u32 s5, s5, s7
	s_lshl_b32 s35, s14, 8
	s_load_b32 s30, s[4:5], 0x0
	s_waitcnt lgkmcnt(0)
	s_cmp_ge_i32 s35, s30
	s_cbranch_scc1 .LBB99_2
; %bb.5:
	s_clause 0x1
	s_load_b128 s[20:23], s[0:1], 0x8
	s_load_b64 s[4:5], s[0:1], 0x20
	s_and_not1_b32 vcc_lo, exec_lo, s8
	s_cbranch_vccnz .LBB99_7
; %bb.6:
	s_add_u32 s2, s2, s6
	s_addc_u32 s3, s3, s7
	s_load_b32 s3, s[2:3], 0x0
	s_branch .LBB99_8
.LBB99_7:
	s_mov_b32 s3, s34
.LBB99_8:
	s_load_b128 s[16:19], s[0:1], 0x48
	v_and_b32_e32 v148, 15, v0
	v_cmp_gt_u32_e32 vcc_lo, 0x60, v0
	v_lshrrev_b32_e32 v149, 5, v0
	v_and_b32_e32 v150, 31, v0
	v_and_b32_e32 v147, 1, v0
	v_lshlrev_b32_e32 v1, 3, v148
	v_cmp_gt_u32_e64 s2, 8, v148
	v_bfe_u32 v146, v0, 4, 1
	s_mul_i32 s31, s15, 6
	s_delay_alu instid0(VALU_DEP_3) | instskip(NEXT) | instid1(VALU_DEP_3)
	v_lshlrev_b32_e32 v145, 1, v1
	s_and_b32 s7, vcc_lo, s2
	s_delay_alu instid0(SALU_CYCLE_1)
	s_and_saveexec_b32 s6, s7
	s_cbranch_execz .LBB99_10
; %bb.9:
	s_load_b64 s[8:9], s[0:1], 0x0
	v_lshl_or_b32 v5, v149, 1, v146
	s_waitcnt lgkmcnt(0)
	s_mul_hi_i32 s11, s3, s16
	s_mul_i32 s10, s3, s16
	v_lshlrev_b32_e32 v6, 10, v148
	s_lshl_b64 s[10:11], s[10:11], 1
	v_add_lshl_u32 v1, v5, s31, 6
	v_lshlrev_b32_e32 v5, 6, v5
	v_lshlrev_b32_e32 v7, 10, v147
	v_and_b32_e32 v6, 0x3800, v6
	s_delay_alu instid0(VALU_DEP_4) | instskip(NEXT) | instid1(VALU_DEP_2)
	v_ashrrev_i32_e32 v2, 31, v1
	v_or3_b32 v5, v6, v7, v5
	s_delay_alu instid0(VALU_DEP_2) | instskip(SKIP_2) | instid1(VALU_DEP_1)
	v_lshlrev_b64 v[1:2], 1, v[1:2]
	s_add_u32 s3, s8, s10
	s_addc_u32 s7, s9, s11
	v_add_co_u32 v1, vcc_lo, s3, v1
	s_delay_alu instid0(VALU_DEP_2) | instskip(NEXT) | instid1(VALU_DEP_2)
	v_add_co_ci_u32_e32 v2, vcc_lo, s7, v2, vcc_lo
	v_add_co_u32 v1, vcc_lo, v1, v145
	s_delay_alu instid0(VALU_DEP_2)
	v_add_co_ci_u32_e32 v2, vcc_lo, 0, v2, vcc_lo
	global_load_b128 v[1:4], v[1:2], off
	s_waitcnt vmcnt(0)
	ds_store_b128 v5, v[1:4]
.LBB99_10:
	s_or_b32 exec_lo, exec_lo, s6
	v_and_b32_e32 v1, 0xef, v0
	s_waitcnt lgkmcnt(0)
	s_add_i32 s3, s30, 15
	s_clause 0x1
	s_load_b32 s6, s[0:1], 0x38
	s_load_b32 s33, s[0:1], 0x98
	s_ashr_i32 s7, s3, 31
	v_add_nc_u32_e32 v1, s35, v1
	s_lshr_b32 s7, s7, 28
	s_load_b32 s36, s[0:1], 0x1c
	s_add_i32 s3, s3, s7
	s_waitcnt lgkmcnt(0)
	v_ashrrev_i32_e32 v2, 31, v1
	v_or_b32_e32 v3, 16, v1
	s_ashr_i32 s3, s3, 4
	v_cmp_gt_i32_e32 vcc_lo, s30, v1
	s_add_i32 s3, s3, -1
	v_lshrrev_b32_e32 v2, 28, v2
	s_barrier
	buffer_gl0_inv
	v_add_nc_u32_e32 v4, v1, v2
	s_mul_i32 s6, s34, s6
	s_delay_alu instid0(SALU_CYCLE_1) | instskip(NEXT) | instid1(VALU_DEP_1)
	s_ashr_i32 s7, s6, 31
	v_ashrrev_i32_e32 v4, 4, v4
	v_add_nc_u32_e32 v2, v3, v2
	s_lshl_b64 s[6:7], s[6:7], 2
	s_delay_alu instid0(SALU_CYCLE_1) | instskip(NEXT) | instid1(VALU_DEP_2)
	s_add_u32 s16, s4, s6
	v_cndmask_b32_e32 v1, s3, v4, vcc_lo
	s_delay_alu instid0(VALU_DEP_2) | instskip(SKIP_3) | instid1(SALU_CYCLE_1)
	v_ashrrev_i32_e32 v2, 4, v2
	v_cmp_gt_i32_e32 vcc_lo, s30, v3
	s_addc_u32 s37, s5, s7
	s_mul_i32 s4, s15, s18
	s_ashr_i32 s5, s4, 31
	v_cndmask_b32_e32 v3, s3, v2, vcc_lo
	v_ashrrev_i32_e32 v2, 31, v1
	s_lshl_b64 s[12:13], s[4:5], 1
	s_delay_alu instid0(SALU_CYCLE_1) | instskip(NEXT) | instid1(VALU_DEP_2)
	s_add_u32 s26, s20, s12
	v_ashrrev_i32_e32 v4, 31, v3
	s_delay_alu instid0(VALU_DEP_2) | instskip(SKIP_2) | instid1(VALU_DEP_2)
	v_lshlrev_b64 v[1:2], 2, v[1:2]
	s_addc_u32 s27, s21, s13
	s_lshl_b32 s4, s14, 4
	v_lshlrev_b64 v[3:4], 2, v[3:4]
	s_ashr_i32 s5, s4, 31
	s_delay_alu instid0(VALU_DEP_2) | instskip(SKIP_1) | instid1(VALU_DEP_3)
	v_add_co_u32 v1, vcc_lo, s16, v1
	v_add_co_ci_u32_e32 v2, vcc_lo, s37, v2, vcc_lo
	v_add_co_u32 v3, vcc_lo, s16, v3
	s_delay_alu instid0(VALU_DEP_4)
	v_add_co_ci_u32_e32 v4, vcc_lo, s37, v4, vcc_lo
	s_clause 0x1
	global_load_b32 v5, v[1:2], off
	global_load_b32 v6, v[3:4], off
	s_lshl_b64 s[4:5], s[4:5], 2
	v_lshlrev_b32_e32 v3, 4, v0
	s_add_u32 s4, s16, s4
	s_addc_u32 s5, s37, s5
	s_or_b32 s6, s35, 16
	s_delay_alu instid0(SALU_CYCLE_1) | instskip(SKIP_2) | instid1(SALU_CYCLE_1)
	s_ashr_i32 s7, s6, 4
	s_cmp_lt_i32 s6, s30
	s_cselect_b32 s6, s7, s3
	s_ashr_i32 s7, s6, 31
	s_delay_alu instid0(SALU_CYCLE_1) | instskip(NEXT) | instid1(SALU_CYCLE_1)
	s_lshl_b64 s[6:7], s[6:7], 2
	s_add_u32 s6, s16, s6
	s_addc_u32 s7, s37, s7
	s_or_b32 s8, s35, 32
	s_delay_alu instid0(SALU_CYCLE_1) | instskip(SKIP_2) | instid1(SALU_CYCLE_1)
	s_ashr_i32 s9, s8, 4
	s_cmp_lt_i32 s8, s30
	s_cselect_b32 s8, s9, s3
	s_ashr_i32 s9, s8, 31
	s_delay_alu instid0(SALU_CYCLE_1) | instskip(NEXT) | instid1(SALU_CYCLE_1)
	s_lshl_b64 s[8:9], s[8:9], 2
	;; [unrolled: 10-line block ×5, first 2 shown]
	s_add_u32 s24, s16, s18
	s_addc_u32 s25, s37, s19
	s_clause 0x5
	s_load_b32 s38, s[4:5], 0x0
	s_load_b32 s29, s[6:7], 0x0
	s_load_b32 s28, s[8:9], 0x0
	s_load_b32 s19, s[10:11], 0x0
	s_load_b32 s18, s[20:21], 0x0
	s_load_b32 s15, s[24:25], 0x0
	s_waitcnt vmcnt(1)
	v_mad_i64_i32 v[1:2], null, v5, s17, 0
	v_and_b32_e32 v5, 0xf0, v3
	s_waitcnt vmcnt(0)
	v_mad_i64_i32 v[3:4], null, v6, s17, 0
	s_delay_alu instid0(VALU_DEP_2) | instskip(NEXT) | instid1(VALU_DEP_4)
	v_add_co_u32 v7, s4, s26, v5
	v_lshlrev_b64 v[1:2], 1, v[1:2]
	v_add_co_ci_u32_e64 v8, null, s27, 0, s4
	s_delay_alu instid0(VALU_DEP_4) | instskip(SKIP_1) | instid1(VALU_DEP_3)
	v_lshlrev_b64 v[5:6], 1, v[3:4]
	s_or_b32 s4, s35, 0x60
	v_add_co_u32 v3, vcc_lo, v7, v1
	s_delay_alu instid0(VALU_DEP_3) | instskip(NEXT) | instid1(VALU_DEP_3)
	v_add_co_ci_u32_e32 v4, vcc_lo, v8, v2, vcc_lo
	v_add_co_u32 v1, vcc_lo, v7, v5
	s_delay_alu instid0(VALU_DEP_4)
	v_add_co_ci_u32_e32 v2, vcc_lo, v8, v6, vcc_lo
	s_clause 0x9
	global_load_b128 v[9:12], v[3:4], off
	global_load_b128 v[13:16], v[3:4], off offset:256
	global_load_b128 v[129:132], v[1:2], off
	global_load_b128 v[133:136], v[1:2], off offset:256
	global_load_b128 v[41:44], v[3:4], off offset:512
	;; [unrolled: 1-line block ×7, first 2 shown]
	v_mul_lo_u16 v5, v148, 43
	s_clause 0x1
	global_load_b128 v[151:154], v[1:2], off offset:1024
	global_load_b128 v[155:158], v[1:2], off offset:1280
	s_ashr_i32 s5, s4, 4
	s_cmp_lt_i32 s4, s30
	v_lshlrev_b32_e32 v6, 5, v148
	v_lshrrev_b16 v5, 8, v5
	s_cselect_b32 s4, s5, s3
	s_delay_alu instid0(SALU_CYCLE_1) | instskip(NEXT) | instid1(VALU_DEP_2)
	s_ashr_i32 s5, s4, 31
	v_lshl_or_b32 v6, v149, 9, v6
	s_delay_alu instid0(VALU_DEP_2) | instskip(SKIP_1) | instid1(SALU_CYCLE_1)
	v_mul_lo_u16 v5, v5, 6
	s_lshl_b64 s[4:5], s[4:5], 2
	s_add_u32 s20, s16, s4
	s_addc_u32 s21, s37, s5
	s_delay_alu instid0(VALU_DEP_1) | instskip(SKIP_1) | instid1(SALU_CYCLE_1)
	v_sub_nc_u16 v5, v148, v5
	s_or_b32 s4, s35, 0x70
	s_ashr_i32 s5, s4, 4
	s_cmp_lt_i32 s4, s30
	s_delay_alu instid0(VALU_DEP_1) | instskip(SKIP_1) | instid1(SALU_CYCLE_1)
	v_and_b32_e32 v5, 0xff, v5
	s_cselect_b32 s4, s5, s3
	s_ashr_i32 s5, s4, 31
	s_delay_alu instid0(VALU_DEP_1)
	v_lshlrev_b32_e32 v197, 6, v5
	ds_load_b128 v[159:162], v197
	ds_load_b128 v[163:166], v197 offset:1024
	s_clause 0x3
	global_load_b128 v[167:170], v[3:4], off offset:1536
	global_load_b128 v[171:174], v[3:4], off offset:1792
	global_load_b128 v[175:178], v[1:2], off offset:1536
	global_load_b128 v[179:182], v[1:2], off offset:1792
	s_lshl_b64 s[6:7], s[4:5], 2
	s_mov_b32 s4, 0
	s_add_u32 s24, s16, s6
	s_addc_u32 s25, s37, s7
	s_or_b32 s5, s35, 0x80
	s_mov_b32 s11, s4
	s_ashr_i32 s6, s5, 4
	s_cmp_lt_i32 s5, s30
	s_mov_b32 s5, s4
	s_cselect_b32 s8, s6, s3
	s_mov_b32 s6, s4
	s_ashr_i32 s9, s8, 31
	s_mov_b32 s7, s4
	s_lshl_b64 s[8:9], s[8:9], 2
	s_clause 0x1
	s_load_b32 s45, s[20:21], 0x0
	s_load_b32 s46, s[24:25], 0x0
	s_add_u32 s26, s16, s8
	s_addc_u32 s27, s37, s9
	s_or_b32 s9, s35, 0x90
	s_mov_b32 s8, s4
	s_ashr_i32 s10, s9, 4
	s_cmp_lt_i32 s9, s30
	s_mov_b32 s9, s4
	s_cselect_b32 s40, s10, s3
	s_mov_b32 s10, s4
	s_ashr_i32 s41, s40, 31
	v_mov_b32_e32 v144, s11
	s_lshl_b64 s[40:41], s[40:41], 2
	v_mov_b32_e32 v143, s10
	s_add_u32 s40, s16, s40
	s_addc_u32 s41, s37, s41
	s_or_b32 s39, s35, 0xa0
	s_load_b32 s41, s[40:41], 0x0
	s_ashr_i32 s42, s39, 4
	s_cmp_lt_i32 s39, s30
	v_mov_b32_e32 v142, s9
	s_cselect_b32 s42, s42, s3
	v_mov_b32_e32 v141, s8
	s_ashr_i32 s43, s42, 31
	v_dual_mov_b32 v140, s7 :: v_dual_mov_b32 v139, s6
	v_dual_mov_b32 v138, s5 :: v_dual_mov_b32 v137, s4
	s_lshl_b64 s[4:5], s[42:43], 2
	s_waitcnt lgkmcnt(0)
	s_mul_hi_i32 s7, s29, s17
	s_add_u32 s42, s16, s4
	s_addc_u32 s43, s37, s5
	s_or_b32 s4, s35, 0xb0
	s_mul_hi_i32 s5, s38, s17
	s_ashr_i32 s6, s4, 4
	s_cmp_lt_i32 s4, s30
	s_mul_i32 s4, s38, s17
	s_cselect_b32 s8, s6, s3
	s_mul_i32 s6, s29, s17
	s_ashr_i32 s9, s8, 31
	s_load_b32 s40, s[42:43], 0x0
	s_lshl_b64 s[8:9], s[8:9], 2
	s_mul_hi_i32 s21, s15, s17
	s_add_u32 s38, s16, s8
	s_addc_u32 s39, s37, s9
	s_or_b32 s8, s35, 0xc0
	s_mul_hi_i32 s9, s28, s17
	s_ashr_i32 s10, s8, 4
	s_cmp_lt_i32 s8, s30
	s_mul_i32 s8, s28, s17
	s_cselect_b32 s28, s10, s3
	s_mul_hi_i32 s11, s19, s17
	s_ashr_i32 s29, s28, 31
	s_mul_i32 s10, s19, s17
	s_lshl_b64 s[28:29], s[28:29], 2
	s_mul_hi_i32 s19, s18, s17
	s_add_u32 s28, s16, s28
	s_addc_u32 s29, s37, s29
	s_or_b32 s44, s35, 0xd0
	s_mul_i32 s18, s18, s17
	s_ashr_i32 s20, s44, 4
	s_cmp_lt_i32 s44, s30
	s_load_b32 s44, s[26:27], 0x0
	s_cselect_b32 s24, s20, s3
	s_mul_i32 s20, s15, s17
	s_ashr_i32 s25, s24, 31
	s_mul_hi_i32 s27, s46, s17
	s_lshl_b64 s[24:25], s[24:25], 2
	s_mul_i32 s26, s46, s17
	s_add_u32 s24, s16, s24
	s_addc_u32 s25, s37, s25
	s_or_b32 s42, s35, 0xe0
	s_clause 0x2
	s_load_b32 s39, s[38:39], 0x0
	s_load_b32 s38, s[28:29], 0x0
	;; [unrolled: 1-line block ×3, first 2 shown]
	s_ashr_i32 s47, s42, 4
	s_cmp_lt_i32 s42, s30
	s_mul_hi_i32 s25, s45, s17
	s_mul_i32 s24, s45, s17
	s_mul_hi_i32 s43, s41, s17
	s_mul_i32 s42, s41, s17
	s_waitcnt lgkmcnt(0)
	s_mul_hi_i32 s41, s40, s17
	s_mul_i32 s40, s40, s17
	s_mul_hi_i32 s29, s44, s17
	s_mul_i32 s28, s44, s17
	s_cselect_b32 s44, s47, s3
	s_delay_alu instid0(SALU_CYCLE_1) | instskip(NEXT) | instid1(SALU_CYCLE_1)
	s_ashr_i32 s45, s44, 31
	s_lshl_b64 s[44:45], s[44:45], 2
	s_delay_alu instid0(SALU_CYCLE_1)
	s_add_u32 s44, s16, s44
	s_addc_u32 s45, s37, s45
	s_or_b32 s46, s35, 0xf0
	s_mul_hi_i32 s51, s15, s17
	s_ashr_i32 s48, s46, 4
	s_cmp_lt_i32 s46, s30
	s_mul_i32 s50, s15, s17
	s_cselect_b32 s48, s48, s3
	s_mul_hi_i32 s47, s39, s17
	s_ashr_i32 s49, s48, 31
	s_mul_i32 s46, s39, s17
	s_lshl_b64 s[48:49], s[48:49], 2
	s_mul_hi_i32 s39, s38, s17
	s_add_u32 s48, s16, s48
	s_addc_u32 s49, s37, s49
	s_add_u32 s3, s22, s12
	s_addc_u32 s15, s23, s13
	v_add_co_u32 v195, s3, s3, v6
	s_delay_alu instid0(VALU_DEP_1) | instskip(SKIP_2) | instid1(VALU_DEP_2)
	v_add_co_ci_u32_e64 v196, null, s15, 0, s3
	s_lshl_b64 s[4:5], s[4:5], 1
	s_lshl_b64 s[6:7], s[6:7], 1
	v_add_co_u32 v1, vcc_lo, v195, s4
	s_delay_alu instid0(VALU_DEP_2)
	v_add_co_ci_u32_e32 v2, vcc_lo, s5, v196, vcc_lo
	v_add_co_u32 v3, vcc_lo, v195, s6
	s_lshl_b64 s[8:9], s[8:9], 1
	v_add_co_ci_u32_e32 v4, vcc_lo, s7, v196, vcc_lo
	v_add_co_u32 v5, vcc_lo, v195, s8
	s_lshl_b64 s[10:11], s[10:11], 1
	;; [unrolled: 3-line block ×10, first 2 shown]
	s_mul_i32 s38, s38, s17
	v_add_co_ci_u32_e32 v184, vcc_lo, s29, v196, vcc_lo
	v_add_co_u32 v185, vcc_lo, v195, s40
	s_lshl_b64 s[38:39], s[38:39], 1
	s_clause 0x1
	s_load_b32 s3, s[44:45], 0x0
	s_load_b32 s15, s[48:49], 0x0
	v_add_co_ci_u32_e32 v186, vcc_lo, s41, v196, vcc_lo
	v_add_co_u32 v191, vcc_lo, v195, s38
	v_add_co_ci_u32_e32 v192, vcc_lo, s39, v196, vcc_lo
	s_clause 0x17
	global_load_b128 v[121:124], v[1:2], off
	global_load_b128 v[125:128], v[1:2], off offset:16
	global_load_b128 v[113:116], v[3:4], off
	global_load_b128 v[117:120], v[3:4], off offset:16
	;; [unrolled: 2-line block ×12, first 2 shown]
	s_lshl_b64 s[42:43], s[50:51], 1
	s_delay_alu instid0(SALU_CYCLE_1)
	v_add_co_u32 v193, vcc_lo, v195, s42
	v_add_co_ci_u32_e32 v194, vcc_lo, s43, v196, vcc_lo
	s_waitcnt lgkmcnt(0)
	s_mul_hi_i32 s5, s3, s17
	s_mul_i32 s4, s3, s17
	s_mul_hi_i32 s7, s15, s17
	s_lshl_b64 s[4:5], s[4:5], 1
	s_mul_i32 s6, s15, s17
	s_waitcnt vmcnt(38)
	v_wmma_f32_16x16x16_f16 v[183:190], v[9:16], v[159:166], v[137:144]
	s_waitcnt vmcnt(36)
	v_wmma_f32_16x16x16_f16 v[137:144], v[129:136], v[159:166], v[137:144]
	s_clause 0x1
	global_load_b128 v[9:12], v[191:192], off
	global_load_b128 v[13:16], v[191:192], off offset:16
	ds_load_b128 v[129:132], v197 offset:2048
	ds_load_b128 v[133:136], v197 offset:3072
	;; [unrolled: 1-line block ×4, first 2 shown]
	v_add_co_u32 v191, vcc_lo, v195, s4
	v_add_co_ci_u32_e32 v192, vcc_lo, s5, v196, vcc_lo
	s_lshl_b64 s[4:5], s[6:7], 1
	s_delay_alu instid0(SALU_CYCLE_1)
	v_add_co_u32 v195, vcc_lo, v195, s4
	v_add_co_ci_u32_e32 v196, vcc_lo, s5, v196, vcc_lo
	s_waitcnt vmcnt(36) lgkmcnt(2)
	v_wmma_f32_16x16x16_f16 v[183:190], v[41:48], v[129:136], v[183:190]
	s_waitcnt vmcnt(34)
	v_wmma_f32_16x16x16_f16 v[137:144], v[33:40], v[129:136], v[137:144]
	s_clause 0x3
	global_load_b128 v[33:36], v[193:194], off
	global_load_b128 v[37:40], v[193:194], off offset:16
	global_load_b128 v[41:44], v[191:192], off
	global_load_b128 v[45:48], v[191:192], off offset:16
	v_and_b32_e32 v129, 0xe0, v0
	v_mbcnt_lo_u32_b32 v191, -1, 0
	s_waitcnt vmcnt(36) lgkmcnt(0)
	v_wmma_f32_16x16x16_f16 v[183:190], v[17:24], v[159:166], v[183:190]
	s_clause 0x1
	global_load_b128 v[17:20], v[195:196], off
	global_load_b128 v[21:24], v[195:196], off offset:16
	s_waitcnt vmcnt(36)
	v_wmma_f32_16x16x16_f16 v[137:144], v[151:158], v[159:166], v[137:144]
	v_add_nc_u32_e32 v192, s35, v129
	ds_load_b128 v[129:132], v197 offset:6144
	ds_load_b128 v[133:136], v197 offset:7168
	v_xor_b32_e32 v151, 16, v191
	s_waitcnt vmcnt(0) lgkmcnt(0)
	s_barrier
	v_or_b32_e32 v152, v192, v146
	buffer_gl0_inv
	v_cmp_gt_i32_e32 vcc_lo, 32, v151
	v_or_b32_e32 v153, 2, v152
	v_or_b32_e32 v154, 4, v152
	v_or_b32_e32 v155, 6, v152
	v_or_b32_e32 v156, 8, v152
	v_or_b32_e32 v157, 10, v152
	v_cmp_gt_i32_e64 s3, s30, v153
	v_cmp_gt_i32_e64 s4, s30, v154
	;; [unrolled: 1-line block ×3, first 2 shown]
	v_or_b32_e32 v158, 12, v152
	v_or_b32_e32 v159, 14, v152
	v_cmp_gt_i32_e64 s6, s30, v156
	v_wmma_f32_16x16x16_f16 v[183:190], v[167:174], v[129:136], v[183:190]
	v_wmma_f32_16x16x16_f16 v[137:144], v[175:182], v[129:136], v[137:144]
	v_cndmask_b32_e32 v151, v191, v151, vcc_lo
	v_cmp_gt_i32_e32 vcc_lo, s30, v152
	v_cmp_gt_i32_e64 s7, s30, v157
	v_dual_mul_f32 v135, s36, v184 :: v_dual_mul_f32 v136, s36, v183
	v_mul_f32_e32 v134, s36, v185
	v_dual_mul_f32 v168, s36, v144 :: v_dual_mul_f32 v133, s36, v186
	s_delay_alu instid0(VALU_DEP_3) | instskip(NEXT) | instid1(VALU_DEP_4)
	v_cndmask_b32_e64 v135, 0xff7fffff, v135, s3
	v_cndmask_b32_e32 v136, 0xff7fffff, v136, vcc_lo
	v_dual_mul_f32 v131, s36, v188 :: v_dual_mul_f32 v174, s36, v138
	v_mul_f32_e32 v132, s36, v187
	v_cndmask_b32_e64 v134, 0xff7fffff, v134, s4
	v_cndmask_b32_e64 v133, 0xff7fffff, v133, s5
	v_max3_f32 v135, v136, 0xff7fffff, v135
	v_or_b32_e32 v160, 16, v152
	v_or_b32_e32 v161, 18, v152
	v_dual_mul_f32 v129, s36, v190 :: v_dual_mul_f32 v172, s36, v140
	v_mul_f32_e32 v130, s36, v189
	v_cndmask_b32_e64 v132, 0xff7fffff, v132, s6
	v_cndmask_b32_e64 v131, 0xff7fffff, v131, s7
	v_max3_f32 v133, v135, v134, v133
	v_cmp_gt_i32_e64 s8, s30, v158
	v_cmp_gt_i32_e64 s9, s30, v159
	v_or_b32_e32 v162, 20, v152
	v_or_b32_e32 v163, 22, v152
	v_mul_f32_e32 v175, s36, v137
	v_cndmask_b32_e64 v130, 0xff7fffff, v130, s8
	v_cndmask_b32_e64 v129, 0xff7fffff, v129, s9
	v_max3_f32 v131, v133, v132, v131
	v_cmp_gt_i32_e64 s10, s30, v160
	v_cmp_gt_i32_e64 s11, s30, v161
	v_or_b32_e32 v164, 24, v152
	v_or_b32_e32 v165, 26, v152
	;; [unrolled: 8-line block ×3, first 2 shown]
	v_dual_mul_f32 v170, s36, v142 :: v_dual_mul_f32 v171, s36, v141
	v_cndmask_b32_e64 v130, 0xff7fffff, v173, s12
	v_cndmask_b32_e64 v131, 0xff7fffff, v172, s13
	v_max3_f32 v129, v129, v132, v133
	v_cmp_gt_i32_e64 s15, s30, v164
	v_cmp_gt_i32_e64 s16, s30, v165
	v_mul_f32_e32 v169, s36, v143
	v_cmp_gt_i32_e64 s17, s30, v166
	v_max3_f32 v129, v129, v130, v131
	v_cndmask_b32_e64 v132, 0xff7fffff, v171, s15
	v_cndmask_b32_e64 v133, 0xff7fffff, v170, s16
	v_cmp_gt_i32_e64 s18, s30, v167
	v_cndmask_b32_e64 v130, 0xff7fffff, v169, s17
	s_delay_alu instid0(VALU_DEP_3) | instskip(NEXT) | instid1(VALU_DEP_3)
	v_max3_f32 v129, v129, v132, v133
	v_cndmask_b32_e64 v131, 0xff7fffff, v168, s18
	v_lshlrev_b32_e32 v132, 2, v151
	s_delay_alu instid0(VALU_DEP_2) | instskip(SKIP_3) | instid1(VALU_DEP_1)
	v_max3_f32 v129, v129, v130, v131
	ds_bpermute_b32 v130, v132, v129
	s_waitcnt lgkmcnt(0)
	v_max_f32_e32 v130, v130, v130
	v_max_f32_e32 v129, v129, v130
	s_delay_alu instid0(VALU_DEP_1)
	v_fma_f32 v134, s36, v186, -v129
	v_fma_f32 v130, s36, v183, -v129
	;; [unrolled: 1-line block ×5, first 2 shown]
	v_mul_f32_e32 v134, 0x3fb8aa3b, v134
	s_delay_alu instid0(VALU_DEP_4) | instskip(SKIP_1) | instid1(VALU_DEP_4)
	v_dual_mul_f32 v130, 0x3fb8aa3b, v130 :: v_dual_mul_f32 v131, 0x3fb8aa3b, v131
	v_fma_f32 v135, s36, v187, -v129
	v_mul_f32_e32 v136, 0x3fb8aa3b, v136
	s_delay_alu instid0(VALU_DEP_4) | instskip(NEXT) | instid1(VALU_DEP_3)
	v_exp_f32_e32 v134, v134
	v_exp_f32_e32 v130, v130
	;; [unrolled: 1-line block ×3, first 2 shown]
	v_mul_f32_e32 v135, 0x3fb8aa3b, v135
	v_exp_f32_e32 v136, v136
	s_delay_alu instid0(VALU_DEP_1) | instskip(SKIP_4) | instid1(TRANS32_DEP_3)
	v_exp_f32_e32 v135, v135
	v_cndmask_b32_e64 v153, 0, v134, s5
	v_fma_f32 v134, s36, v137, -v129
	v_dual_mul_f32 v133, 0x3fb8aa3b, v133 :: v_dual_cndmask_b32 v152, 0, v130
	v_fma_f32 v130, s36, v188, -v129
	v_cndmask_b32_e64 v151, 0, v131, s3
	s_delay_alu instid0(VALU_DEP_4) | instskip(NEXT) | instid1(VALU_DEP_4)
	v_mul_f32_e32 v134, 0x3fb8aa3b, v134
	v_exp_f32_e32 v133, v133
	s_delay_alu instid0(VALU_DEP_3) | instskip(SKIP_3) | instid1(VALU_DEP_4)
	v_dual_add_f32 v131, 0, v152 :: v_dual_mul_f32 v130, 0x3fb8aa3b, v130
	v_cndmask_b32_e64 v156, 0, v136, s8
	v_fma_f32 v136, s36, v140, -v129
	v_cndmask_b32_e64 v155, 0, v135, s6
	v_add_f32_e32 v131, v131, v151
	v_exp_f32_e32 v130, v130
	v_fma_f32 v135, s36, v138, -v129
	v_mul_f32_e32 v136, 0x3fb8aa3b, v136
	s_delay_alu instid0(TRANS32_DEP_2)
	v_cndmask_b32_e64 v154, 0, v133, s4
	v_fma_f32 v133, s36, v190, -v129
	v_exp_f32_e32 v134, v134
	s_mov_b32 s3, exec_lo
	v_exp_f32_e32 v136, v136
	v_add_f32_e32 v131, v131, v154
	s_delay_alu instid0(TRANS32_DEP_3) | instskip(NEXT) | instid1(VALU_DEP_2)
	v_cndmask_b32_e64 v138, 0, v130, s7
	v_add_f32_e32 v131, v131, v153
	s_delay_alu instid0(VALU_DEP_1) | instskip(NEXT) | instid1(VALU_DEP_1)
	v_dual_mul_f32 v133, 0x3fb8aa3b, v133 :: v_dual_add_f32 v130, v131, v155
	v_exp_f32_e32 v133, v133
	v_fma_f32 v131, s36, v139, -v129
	s_delay_alu instid0(VALU_DEP_2) | instskip(NEXT) | instid1(VALU_DEP_1)
	v_add_f32_e32 v130, v130, v138
	v_add_f32_e32 v130, v130, v156
	s_waitcnt_depctr 0xfff
	v_cndmask_b32_e64 v139, 0, v133, s9
	v_fma_f32 v133, s36, v141, -v129
	v_cndmask_b32_e64 v141, 0, v134, s10
	v_fma_f32 v134, s36, v142, -v129
	v_cndmask_b32_e64 v142, 0, v136, s13
	v_add_f32_e32 v130, v130, v139
	s_delay_alu instid0(VALU_DEP_3) | instskip(NEXT) | instid1(VALU_DEP_2)
	v_dual_mul_f32 v135, 0x3fb8aa3b, v135 :: v_dual_mul_f32 v134, 0x3fb8aa3b, v134
	v_add_f32_e32 v130, v130, v141
	s_delay_alu instid0(VALU_DEP_2) | instskip(NEXT) | instid1(VALU_DEP_2)
	v_exp_f32_e32 v135, v135
	v_exp_f32_e32 v134, v134
	s_waitcnt_depctr 0xfff
	v_cndmask_b32_e64 v140, 0, v135, s11
	v_mul_f32_e32 v131, 0x3fb8aa3b, v131
	v_fma_f32 v135, s36, v143, -v129
	s_delay_alu instid0(VALU_DEP_3) | instskip(NEXT) | instid1(VALU_DEP_3)
	v_add_f32_e32 v130, v130, v140
	v_exp_f32_e32 v131, v131
	s_waitcnt_depctr 0xfff
	v_cndmask_b32_e64 v143, 0, v131, s12
	s_delay_alu instid0(VALU_DEP_1) | instskip(NEXT) | instid1(VALU_DEP_1)
	v_dual_mul_f32 v133, 0x3fb8aa3b, v133 :: v_dual_add_f32 v130, v130, v143
	v_exp_f32_e32 v133, v133
	v_mul_f32_e32 v131, 0x3fb8aa3b, v135
	v_fma_f32 v135, s36, v144, -v129
	v_cndmask_b32_e64 v144, 0, v134, s16
	v_add_f32_e32 v130, v130, v142
	s_delay_alu instid0(VALU_DEP_4) | instskip(SKIP_2) | instid1(VALU_DEP_1)
	v_exp_f32_e32 v131, v131
	s_waitcnt_depctr 0xfff
	v_cndmask_b32_e64 v157, 0, v133, s15
	v_dual_mul_f32 v133, 0x3fb8aa3b, v135 :: v_dual_add_f32 v130, v130, v157
	s_delay_alu instid0(VALU_DEP_1) | instskip(SKIP_1) | instid1(VALU_DEP_2)
	v_exp_f32_e32 v133, v133
	v_cndmask_b32_e64 v159, 0, v131, s17
	v_add_f32_e32 v130, v130, v144
	s_delay_alu instid0(VALU_DEP_1) | instskip(SKIP_2) | instid1(VALU_DEP_1)
	v_add_f32_e32 v130, v130, v159
	s_waitcnt_depctr 0xfff
	v_cndmask_b32_e64 v158, 0, v133, s18
	v_add_f32_e32 v130, v130, v158
	ds_bpermute_b32 v131, v132, v130
	v_cmpx_gt_u32_e32 16, v150
	s_cbranch_execz .LBB99_12
; %bb.11:
	v_mul_u32_u24_e32 v132, 0x44, v149
	s_delay_alu instid0(VALU_DEP_1) | instskip(SKIP_1) | instid1(VALU_DEP_1)
	v_lshl_add_u32 v132, v148, 2, v132
	s_waitcnt lgkmcnt(0)
	v_dual_add_f32 v130, v130, v131 :: v_dual_add_nc_u32 v131, 0x4000, v132
	ds_store_2addr_b32 v131, v129, v130 offset1:136
.LBB99_12:
	s_or_b32 exec_lo, exec_lo, s3
	v_lshlrev_b32_e32 v129, 2, v148
	s_load_b32 s35, s[0:1], 0x94
	s_waitcnt lgkmcnt(0)
	s_barrier
	buffer_gl0_inv
	v_add_nc_u32_e32 v135, 0x4000, v129
	v_cmp_eq_u32_e32 vcc_lo, 1, v149
	v_cmp_eq_u32_e64 s3, 2, v149
	v_cmp_eq_u32_e64 s4, 3, v149
	;; [unrolled: 1-line block ×3, first 2 shown]
	ds_load_2addr_b32 v[129:130], v135 offset1:17
	ds_load_2addr_b32 v[131:132], v135 offset0:34 offset1:51
	ds_load_2addr_b32 v[133:134], v135 offset0:68 offset1:85
	;; [unrolled: 1-line block ×3, first 2 shown]
	v_cmp_eq_u32_e64 s6, 5, v149
	v_cmp_eq_u32_e64 s7, 7, v149
	s_waitcnt lgkmcnt(3)
	v_max3_f32 v136, v129, 0xff7fffff, v130
	s_waitcnt lgkmcnt(2)
	s_delay_alu instid0(VALU_DEP_1) | instskip(SKIP_1) | instid1(VALU_DEP_1)
	v_max3_f32 v136, v136, v131, v132
	s_waitcnt lgkmcnt(1)
	v_max3_f32 v136, v136, v133, v134
	s_waitcnt lgkmcnt(0)
	s_delay_alu instid0(VALU_DEP_1) | instskip(NEXT) | instid1(VALU_DEP_1)
	v_max3_f32 v136, v136, v160, v161
	v_sub_f32_e32 v164, v132, v136
	ds_load_2addr_b32 v[162:163], v135 offset0:136 offset1:153
	v_sub_f32_e32 v129, v129, v136
	v_sub_f32_e32 v137, v130, v136
	;; [unrolled: 1-line block ×3, first 2 shown]
	v_mul_f32_e32 v164, 0x3fb8aa3b, v164
	s_delay_alu instid0(VALU_DEP_4) | instskip(NEXT) | instid1(VALU_DEP_4)
	v_mul_f32_e32 v150, 0x3fb8aa3b, v129
	v_mul_f32_e32 v137, 0x3fb8aa3b, v137
	ds_load_2addr_b32 v[129:130], v135 offset0:170 offset1:187
	v_mul_f32_e32 v167, 0x3fb8aa3b, v133
	v_exp_f32_e32 v164, v164
	v_exp_f32_e32 v150, v150
	;; [unrolled: 1-line block ×3, first 2 shown]
	v_sub_f32_e32 v131, v131, v136
	s_delay_alu instid0(VALU_DEP_1)
	v_mul_f32_e32 v165, 0x3fb8aa3b, v131
	ds_load_2addr_b32 v[131:132], v135 offset0:204 offset1:221
	s_waitcnt lgkmcnt(2)
	v_fma_f32 v137, v150, v162, 0
	v_sub_f32_e32 v162, v134, v136
	v_exp_f32_e32 v165, v165
	ds_load_2addr_b32 v[133:134], v135 offset0:238 offset1:255
	v_sub_f32_e32 v135, v160, v136
	v_dual_fmac_f32 v137, v166, v163 :: v_dual_mul_f32 v160, 0x3fb8aa3b, v162
	v_exp_f32_e32 v162, v167
	s_waitcnt lgkmcnt(0)
	s_delay_alu instid0(VALU_DEP_2)
	v_mul_f32_e32 v135, 0x3fb8aa3b, v135
	s_barrier
	v_exp_f32_e32 v160, v160
	v_fmac_f32_e32 v137, v165, v129
	v_sub_f32_e32 v129, v161, v136
	v_exp_f32_e32 v161, v135
	buffer_gl0_inv
	v_fmac_f32_e32 v137, v164, v130
	v_dual_mul_f32 v129, 0x3fb8aa3b, v129 :: v_dual_cndmask_b32 v130, v150, v166
	s_delay_alu instid0(VALU_DEP_2) | instskip(NEXT) | instid1(VALU_DEP_2)
	v_fmac_f32_e32 v137, v162, v131
	v_exp_f32_e32 v163, v129
	s_delay_alu instid0(VALU_DEP_1) | instskip(NEXT) | instid1(VALU_DEP_1)
	v_fmac_f32_e32 v137, v160, v132
	v_fmac_f32_e32 v137, v161, v133
	v_lshlrev_b32_e32 v133, 6, v148
	s_waitcnt_depctr 0xfff
	v_fmac_f32_e32 v137, v163, v134
	v_lshl_or_b32 v135, v149, 11, v133
	s_delay_alu instid0(VALU_DEP_2) | instskip(NEXT) | instid1(VALU_DEP_1)
	v_add_f32_e32 v134, 0x358637bd, v137
	v_div_scale_f32 v167, null, v134, v134, 1.0
	v_div_scale_f32 v150, vcc_lo, 1.0, v134, 1.0
	s_delay_alu instid0(VALU_DEP_2) | instskip(SKIP_2) | instid1(VALU_DEP_1)
	v_rcp_f32_e32 v168, v167
	s_waitcnt_depctr 0xfff
	v_fma_f32 v129, -v167, v168, 1.0
	v_fmac_f32_e32 v168, v129, v168
	v_cndmask_b32_e64 v129, v130, v165, s3
	v_cmp_eq_u32_e64 s3, 6, v149
	s_delay_alu instid0(VALU_DEP_3) | instskip(NEXT) | instid1(VALU_DEP_3)
	v_mul_f32_e32 v165, v150, v168
	v_cndmask_b32_e64 v130, v129, v164, s4
	v_lshlrev_b32_e32 v129, 2, v146
	s_delay_alu instid0(VALU_DEP_3) | instskip(NEXT) | instid1(VALU_DEP_3)
	v_fma_f32 v131, -v167, v165, v150
	v_cndmask_b32_e64 v162, v130, v162, s5
	s_delay_alu instid0(VALU_DEP_3)
	v_or_b32_e32 v130, 1, v129
	v_or_b32_e32 v132, 2, v129
	v_cmp_eq_u32_e64 s4, 1, v129
	v_fmac_f32_e32 v165, v131, v168
	v_cndmask_b32_e64 v149, v162, v160, s6
	v_or_b32_e32 v131, 3, v129
	v_cmp_eq_u32_e64 s9, 1, v130
	v_cmp_eq_u32_e64 s10, 1, v132
	v_fma_f32 v150, -v167, v165, v150
	v_cndmask_b32_e64 v149, v149, v161, s3
	v_cmp_eq_u32_e64 s11, 1, v131
	v_cmp_eq_u32_e64 s5, 2, v129
	;; [unrolled: 1-line block ×3, first 2 shown]
	v_div_fmas_f32 v150, v150, v168, v165
	v_cndmask_b32_e64 v149, v149, v163, s7
	v_cmp_eq_u32_e64 s15, 2, v132
	v_cmp_eq_u32_e64 s16, 2, v131
	v_cmp_eq_u32_e32 vcc_lo, 3, v129
	v_div_fixup_f32 v150, v150, v134, 1.0
	v_lshl_or_b32 v134, v146, 4, v135
	v_cmp_eq_u32_e64 s13, 3, v130
	v_cmp_eq_u32_e64 s18, 3, v131
	;; [unrolled: 1-line block ×3, first 2 shown]
	v_mul_f32_e32 v149, v149, v150
	v_cmp_eq_u32_e64 s17, 3, v132
	v_cmp_eq_u32_e64 s19, 4, v130
	v_cmp_eq_u32_e64 s22, 4, v131
	v_cmp_eq_u32_e64 s6, 5, v129
	v_fma_mixlo_f16 v160, v149, v152, 0
	v_fma_mixlo_f16 v161, v149, v154, 0
	;; [unrolled: 1-line block ×8, first 2 shown]
	v_fma_mixhi_f16 v160, v149, v151, 0
	v_fma_mixhi_f16 v161, v149, v153, 0
	;; [unrolled: 1-line block ×8, first 2 shown]
	ds_store_b128 v134, v[160:163]
	ds_store_b128 v134, v[154:157] offset:1024
	s_waitcnt lgkmcnt(0)
	s_barrier
	buffer_gl0_inv
	ds_load_b128 v[138:141], v135
	ds_load_b128 v[149:152], v135 offset:16
	ds_load_b128 v[153:156], v135 offset:1024
	;; [unrolled: 1-line block ×3, first 2 shown]
	v_cmp_eq_u32_e64 s20, 5, v130
	v_cmp_eq_u32_e64 s21, 4, v132
	v_cmp_eq_u32_e64 s24, 5, v131
	v_cmp_eq_u32_e64 s7, 6, v129
	v_cmp_eq_u32_e64 s23, 5, v132
	v_cmp_eq_u32_e64 s25, 6, v130
	v_cmp_eq_u32_e64 s27, 6, v131
	v_cmp_eq_u32_e64 s8, 7, v129
	v_cmp_eq_u32_e64 s26, 6, v132
	v_cmp_eq_u32_e64 s29, 7, v131
	v_cmp_eq_u32_e64 s30, 7, v130
	v_cmp_eq_u32_e64 s28, 7, v132
	s_waitcnt lgkmcnt(3)
	v_lshrrev_b32_e32 v142, 16, v138
	s_waitcnt lgkmcnt(2)
	v_lshrrev_b32_e32 v162, 16, v149
	;; [unrolled: 2-line block ×4, first 2 shown]
	v_lshrrev_b32_e32 v143, 16, v139
	v_cndmask_b32_e64 v174, v138, v142, s4
	v_cndmask_b32_e64 v175, v149, v162, s4
	;; [unrolled: 1-line block ×7, first 2 shown]
	v_lshrrev_b32_e32 v163, 16, v150
	v_cndmask_b32_e64 v179, v149, v162, s10
	v_cndmask_b32_e64 v149, v153, v166, s4
	;; [unrolled: 1-line block ×16, first 2 shown]
	v_lshrrev_b32_e32 v167, 16, v154
	v_lshrrev_b32_e32 v171, 16, v158
	v_cndmask_b32_e64 v177, v179, v150, s15
	v_cndmask_b32_e64 v142, v149, v154, s5
	;; [unrolled: 1-line block ×7, first 2 shown]
	v_cndmask_b32_e32 v157, v166, v143, vcc_lo
	v_cndmask_b32_e32 v166, v170, v163, vcc_lo
	v_cndmask_b32_e64 v170, v174, v143, s13
	v_cndmask_b32_e64 v174, v175, v163, s13
	;; [unrolled: 1-line block ×4, first 2 shown]
	v_lshrrev_b32_e32 v144, 16, v140
	v_lshrrev_b32_e32 v164, 16, v151
	v_cndmask_b32_e64 v175, v176, v143, s17
	v_cndmask_b32_e64 v176, v177, v163, s17
	v_cndmask_b32_e32 v142, v142, v167, vcc_lo
	v_cndmask_b32_e32 v143, v149, v171, vcc_lo
	v_cndmask_b32_e64 v149, v150, v167, s13
	v_cndmask_b32_e64 v150, v157, v140, s3
	;; [unrolled: 1-line block ×7, first 2 shown]
	v_lshrrev_b32_e32 v168, 16, v155
	v_cndmask_b32_e64 v170, v175, v140, s21
	v_cndmask_b32_e64 v174, v176, v151, s21
	;; [unrolled: 1-line block ×11, first 2 shown]
	v_lshrrev_b32_e32 v161, 16, v141
	v_lshrrev_b32_e32 v165, 16, v152
	v_cndmask_b32_e64 v163, v170, v144, s23
	v_cndmask_b32_e64 v166, v174, v164, s23
	;; [unrolled: 1-line block ×9, first 2 shown]
	v_lshrrev_b32_e32 v169, 16, v156
	v_cndmask_b32_e64 v140, v140, v168, s6
	v_cndmask_b32_e64 v157, v163, v141, s26
	;; [unrolled: 1-line block ×14, first 2 shown]
	v_perm_b32 v141, v139, v138, 0x5040100
	v_perm_b32 v139, v151, v149, 0x5040100
	v_cndmask_b32_e64 v138, v183, v158, s15
	v_cndmask_b32_e64 v149, v181, v158, s12
	;; [unrolled: 1-line block ×3, first 2 shown]
	v_perm_b32 v140, v152, v150, 0x5040100
	v_cndmask_b32_e64 v150, v162, v167, s17
	v_cndmask_b32_e64 v151, v153, v167, s18
	;; [unrolled: 1-line block ×5, first 2 shown]
	v_lshrrev_b32_e32 v172, 16, v159
	v_cndmask_b32_e64 v150, v150, v155, s21
	v_cndmask_b32_e64 v151, v151, v155, s22
	;; [unrolled: 1-line block ×11, first 2 shown]
	v_lshrrev_b32_e32 v173, 16, v160
	v_cndmask_b32_e64 v142, v142, v160, s7
	v_cndmask_b32_e64 v150, v150, v156, s26
	;; [unrolled: 1-line block ×12, first 2 shown]
	v_perm_b32 v138, v144, v143, 0x5040100
	v_perm_b32 v152, v152, v151, 0x5040100
	;; [unrolled: 1-line block ×5, first 2 shown]
	s_mul_i32 s7, s33, 6
	s_mov_b32 s3, exec_lo
	ds_store_b128 v134, v[138:141]
	ds_store_b128 v134, v[149:152] offset:1024
	v_cmpx_gt_u32_e32 6, v0
	s_cbranch_execz .LBB99_14
; %bb.13:
	s_mul_i32 s4, s7, s34
	s_load_b128 s[8:11], s[0:1], 0x58
	v_add3_u32 v140, s4, s31, v148
	s_delay_alu instid0(VALU_DEP_1) | instskip(NEXT) | instid1(VALU_DEP_1)
	v_mad_u64_u32 v[138:139], null, v140, s35, s[14:15]
	v_ashrrev_i32_e32 v139, 31, v138
	s_delay_alu instid0(VALU_DEP_1) | instskip(SKIP_1) | instid1(VALU_DEP_1)
	v_lshlrev_b64 v[138:139], 2, v[138:139]
	s_waitcnt lgkmcnt(0)
	v_add_co_u32 v140, vcc_lo, s10, v138
	s_delay_alu instid0(VALU_DEP_2)
	v_add_co_ci_u32_e32 v141, vcc_lo, s11, v139, vcc_lo
	v_add_co_u32 v138, vcc_lo, s8, v138
	v_add_co_ci_u32_e32 v139, vcc_lo, s9, v139, vcc_lo
	global_store_b32 v[140:141], v136, off
	global_store_b32 v[138:139], v137, off
.LBB99_14:
	s_or_b32 exec_lo, exec_lo, s3
	s_waitcnt lgkmcnt(0)
	s_waitcnt_vscnt null, 0x0
	s_barrier
	buffer_gl0_inv
	ds_load_b128 v[148:151], v133
	ds_load_b128 v[152:155], v133 offset:16
	ds_load_b128 v[160:163], v133 offset:1040
	;; [unrolled: 1-line block ×5, first 2 shown]
	v_cmp_eq_u32_e32 vcc_lo, 1, v132
	v_mov_b32_e32 v136, 0
	ds_load_b128 v[176:179], v133 offset:3088
	ds_load_b128 v[172:175], v133 offset:3072
	;; [unrolled: 1-line block ×4, first 2 shown]
	v_cmp_eq_u32_e64 s3, 1, v129
	v_cmp_eq_u32_e64 s4, 1, v131
	;; [unrolled: 1-line block ×3, first 2 shown]
	v_mov_b32_e32 v137, v136
	v_mov_b32_e32 v138, v136
	;; [unrolled: 1-line block ×7, first 2 shown]
	v_cmp_eq_u32_e64 s6, 2, v129
	s_waitcnt lgkmcnt(8)
	s_delay_alu instid0(VALU_DEP_2)
	v_wmma_f32_16x16x16_f16 v[136:143], v[121:128], v[148:155], v[136:143]
	ds_load_b128 v[125:128], v133 offset:5136
	ds_load_b128 v[121:124], v133 offset:5120
	s_waitcnt lgkmcnt(8)
	v_wmma_f32_16x16x16_f16 v[136:143], v[113:120], v[156:163], v[136:143]
	ds_load_b128 v[117:120], v133 offset:6160
	ds_load_b128 v[113:116], v133 offset:6144
	s_waitcnt lgkmcnt(8)
	;; [unrolled: 4-line block ×11, first 2 shown]
	s_barrier
	buffer_gl0_inv
	v_wmma_f32_16x16x16_f16 v[136:143], v[1:8], v[73:80], v[136:143]
	s_delay_alu instid0(VALU_DEP_1) | instskip(NEXT) | instid1(VALU_DEP_1)
	v_wmma_f32_16x16x16_f16 v[136:143], v[9:16], v[65:72], v[136:143]
	v_wmma_f32_16x16x16_f16 v[136:143], v[33:40], v[57:64], v[136:143]
	s_delay_alu instid0(VALU_DEP_1) | instskip(NEXT) | instid1(VALU_DEP_1)
	v_wmma_f32_16x16x16_f16 v[136:143], v[41:48], v[49:56], v[136:143]
	v_wmma_f32_16x16x16_f16 v[136:143], v[17:24], v[25:32], v[136:143]
	s_delay_alu instid0(VALU_DEP_1) | instskip(NEXT) | instid1(VALU_DEP_2)
	v_cvt_f16_f32_e64 v1, v136
	v_cvt_f16_f32_e64 v2, v137
	s_delay_alu instid0(VALU_DEP_3) | instskip(NEXT) | instid1(VALU_DEP_4)
	v_cvt_f16_f32_e64 v3, v138
	v_cvt_f16_f32_e64 v4, v139
	v_cvt_f16_f32_e64 v5, v140
	v_cvt_f16_f32_e64 v6, v141
	v_cvt_f16_f32_e64 v7, v142
	v_cvt_f16_f32_e64 v8, v143
	v_pack_b32_f16 v1, v1, v2
	v_pack_b32_f16 v2, v3, v4
	;; [unrolled: 1-line block ×3, first 2 shown]
	s_delay_alu instid0(VALU_DEP_4)
	v_pack_b32_f16 v4, v7, v8
	ds_store_b128 v134, v[1:4]
	s_waitcnt lgkmcnt(0)
	s_barrier
	buffer_gl0_inv
	ds_load_b128 v[1:4], v135
	ds_load_b128 v[5:8], v135 offset:16
	s_waitcnt lgkmcnt(1)
	v_lshrrev_b32_e32 v9, 16, v1
	s_waitcnt lgkmcnt(0)
	v_lshrrev_b32_e32 v13, 16, v5
	v_lshrrev_b32_e32 v10, 16, v2
	;; [unrolled: 1-line block ×4, first 2 shown]
	v_cndmask_b32_e64 v17, v1, v9, s3
	v_cndmask_b32_e64 v18, v5, v13, s3
	;; [unrolled: 1-line block ×3, first 2 shown]
	v_cmp_eq_u32_e64 s3, 2, v130
	v_cndmask_b32_e64 v20, v5, v13, s5
	v_cndmask_b32_e32 v21, v1, v9, vcc_lo
	v_cndmask_b32_e32 v22, v5, v13, vcc_lo
	v_cndmask_b32_e64 v1, v1, v9, s4
	v_cndmask_b32_e64 v5, v5, v13, s4
	v_cmp_eq_u32_e32 vcc_lo, 2, v132
	v_cmp_eq_u32_e64 s4, 2, v131
	v_cndmask_b32_e64 v9, v17, v2, s6
	v_cndmask_b32_e64 v13, v18, v6, s6
	;; [unrolled: 1-line block ×4, first 2 shown]
	v_cndmask_b32_e32 v19, v21, v2, vcc_lo
	v_cmp_eq_u32_e64 s3, 3, v132
	v_cndmask_b32_e32 v20, v22, v6, vcc_lo
	v_cndmask_b32_e64 v1, v1, v2, s4
	v_cmp_eq_u32_e32 vcc_lo, 3, v131
	v_cmp_eq_u32_e64 s5, 3, v129
	v_cndmask_b32_e64 v2, v5, v6, s4
	v_cmp_eq_u32_e64 s4, 3, v130
	v_cmp_eq_u32_e64 s6, 4, v129
	v_cndmask_b32_e32 v1, v1, v10, vcc_lo
	v_cndmask_b32_e64 v5, v9, v10, s5
	v_cndmask_b32_e64 v6, v13, v14, s5
	;; [unrolled: 1-line block ×3, first 2 shown]
	v_cmp_eq_u32_e64 s5, 4, v130
	v_cndmask_b32_e64 v13, v18, v14, s4
	v_cndmask_b32_e64 v17, v19, v10, s3
	;; [unrolled: 1-line block ×3, first 2 shown]
	v_cndmask_b32_e32 v2, v2, v14, vcc_lo
	v_cmp_eq_u32_e32 vcc_lo, 4, v132
	v_cmp_eq_u32_e64 s4, 4, v131
	v_lshrrev_b32_e32 v15, 16, v7
	v_cndmask_b32_e64 v5, v5, v3, s6
	v_cndmask_b32_e64 v6, v6, v7, s6
	v_cndmask_b32_e32 v14, v18, v7, vcc_lo
	v_cndmask_b32_e64 v9, v9, v3, s5
	v_cndmask_b32_e64 v10, v13, v7, s5
	v_cndmask_b32_e32 v13, v17, v3, vcc_lo
	v_cmp_eq_u32_e64 s3, 5, v132
	v_cndmask_b32_e64 v1, v1, v3, s4
	v_cmp_eq_u32_e32 vcc_lo, 5, v131
	v_cmp_eq_u32_e64 s5, 5, v129
	v_cndmask_b32_e64 v2, v2, v7, s4
	v_cmp_eq_u32_e64 s4, 5, v130
	v_cmp_eq_u32_e64 s6, 6, v129
	v_lshrrev_b32_e32 v12, 16, v4
	v_cndmask_b32_e64 v3, v5, v11, s5
	v_cndmask_b32_e64 v5, v6, v15, s5
	;; [unrolled: 1-line block ×3, first 2 shown]
	v_cmp_eq_u32_e64 s5, 6, v130
	v_cndmask_b32_e64 v7, v10, v15, s4
	v_cndmask_b32_e64 v9, v13, v11, s3
	;; [unrolled: 1-line block ×3, first 2 shown]
	v_cndmask_b32_e32 v1, v1, v11, vcc_lo
	v_cndmask_b32_e32 v2, v2, v15, vcc_lo
	v_cmp_eq_u32_e32 vcc_lo, 6, v132
	v_cmp_eq_u32_e64 s3, 6, v131
	v_lshrrev_b32_e32 v16, 16, v8
	v_cndmask_b32_e64 v3, v3, v4, s6
	v_cndmask_b32_e64 v5, v5, v8, s6
	v_cndmask_b32_e32 v9, v9, v4, vcc_lo
	v_cndmask_b32_e64 v6, v6, v4, s5
	v_cndmask_b32_e64 v7, v7, v8, s5
	v_cmp_eq_u32_e64 s4, 7, v132
	v_cndmask_b32_e32 v10, v10, v8, vcc_lo
	v_cndmask_b32_e64 v1, v1, v4, s3
	v_cmp_eq_u32_e32 vcc_lo, 7, v131
	v_cndmask_b32_e64 v2, v2, v8, s3
	v_cmp_eq_u32_e64 s3, 7, v129
	v_cmp_eq_u32_e64 s5, 7, v130
	v_cndmask_b32_e32 v1, v1, v12, vcc_lo
	s_delay_alu instid0(VALU_DEP_4) | instskip(NEXT) | instid1(VALU_DEP_4)
	v_cndmask_b32_e32 v2, v2, v16, vcc_lo
	v_cndmask_b32_e64 v8, v3, v12, s3
	s_delay_alu instid0(VALU_DEP_4)
	v_cndmask_b32_e64 v6, v6, v12, s5
	v_cndmask_b32_e64 v3, v9, v12, s4
	;; [unrolled: 1-line block ×5, first 2 shown]
	v_cmp_gt_u32_e32 vcc_lo, 32, v0
	v_perm_b32 v4, v2, v1, 0x5040100
	v_perm_b32 v3, v9, v3, 0x5040100
	v_perm_b32 v2, v7, v6, 0x5040100
	v_perm_b32 v1, v5, v8, 0x5040100
	s_and_b32 s2, vcc_lo, s2
	ds_store_b128 v134, v[1:4]
	s_waitcnt lgkmcnt(0)
	s_barrier
	buffer_gl0_inv
	s_and_saveexec_b32 s3, s2
	s_cbranch_execz .LBB99_2
; %bb.15:
	s_load_b64 s[0:1], s[0:1], 0x68
	s_lshl_b32 s4, s35, 6
	v_or_b32_e32 v3, s31, v146
	s_mul_i32 s2, s4, s34
	v_lshlrev_b32_e32 v0, 10, v0
	s_mul_i32 s2, s2, s7
	v_lshlrev_b32_e32 v1, 4, v147
	s_ashr_i32 s3, s2, 31
	v_mul_lo_u32 v12, v3, s4
	s_lshl_b64 s[2:3], s[2:3], 1
	v_lshlrev_b32_e32 v2, 6, v146
	v_and_b32_e32 v0, 0x3800, v0
	s_delay_alu instid0(VALU_DEP_1) | instskip(NEXT) | instid1(VALU_DEP_4)
	v_or3_b32 v8, v0, v1, v2
	v_ashrrev_i32_e32 v13, 31, v12
	ds_load_b128 v[0:3], v8
	ds_load_b128 v[4:7], v8 offset:128
	ds_load_b128 v[8:11], v8 offset:256
	s_waitcnt lgkmcnt(0)
	s_add_u32 s2, s0, s2
	s_addc_u32 s3, s1, s3
	s_lshl_b32 s0, s14, 6
	s_delay_alu instid0(SALU_CYCLE_1) | instskip(NEXT) | instid1(SALU_CYCLE_1)
	s_ashr_i32 s1, s0, 31
	s_lshl_b64 s[0:1], s[0:1], 1
	s_delay_alu instid0(SALU_CYCLE_1)
	s_add_u32 s0, s2, s0
	s_addc_u32 s1, s3, s1
	s_lshl_b32 s2, s35, 7
	v_add_co_u32 v18, s0, s0, v145
	v_add_nc_u32_e32 v14, s2, v12
	v_lshlrev_b64 v[12:13], 1, v[12:13]
	v_add_co_ci_u32_e64 v19, null, s1, 0, s0
	s_delay_alu instid0(VALU_DEP_3) | instskip(SKIP_1) | instid1(VALU_DEP_4)
	v_add_nc_u32_e32 v16, s2, v14
	v_ashrrev_i32_e32 v15, 31, v14
	v_add_co_u32 v12, vcc_lo, v18, v12
	s_delay_alu instid0(VALU_DEP_4) | instskip(NEXT) | instid1(VALU_DEP_4)
	v_add_co_ci_u32_e32 v13, vcc_lo, v19, v13, vcc_lo
	v_ashrrev_i32_e32 v17, 31, v16
	s_delay_alu instid0(VALU_DEP_4) | instskip(NEXT) | instid1(VALU_DEP_2)
	v_lshlrev_b64 v[14:15], 1, v[14:15]
	v_lshlrev_b64 v[16:17], 1, v[16:17]
	s_delay_alu instid0(VALU_DEP_2) | instskip(NEXT) | instid1(VALU_DEP_3)
	v_add_co_u32 v14, vcc_lo, v18, v14
	v_add_co_ci_u32_e32 v15, vcc_lo, v19, v15, vcc_lo
	s_delay_alu instid0(VALU_DEP_3) | instskip(NEXT) | instid1(VALU_DEP_4)
	v_add_co_u32 v16, vcc_lo, v18, v16
	v_add_co_ci_u32_e32 v17, vcc_lo, v19, v17, vcc_lo
	s_clause 0x2
	global_store_b128 v[12:13], v[0:3], off
	global_store_b128 v[14:15], v[4:7], off
	;; [unrolled: 1-line block ×3, first 2 shown]
	s_nop 0
	s_sendmsg sendmsg(MSG_DEALLOC_VGPRS)
	s_endpgm
	.section	.rodata,"a",@progbits
	.p2align	6, 0x0
	.amdhsa_kernel _Z39paged_attention_ll4mi_QKV_mfma16_kernelIDF16_DF16_LN4vllm18Fp8KVCacheDataTypeE0EDF16_Li16ELi64ELi256ELb0ELi6EL8MFMAType0EEvPKT_PKT0_S8_ifPKiSA_SA_iPKfiiiPfSD_PS3_PT2_iSC_SC_
		.amdhsa_group_segment_fixed_size 17472
		.amdhsa_private_segment_fixed_size 0
		.amdhsa_kernarg_size 400
		.amdhsa_user_sgpr_count 13
		.amdhsa_user_sgpr_dispatch_ptr 0
		.amdhsa_user_sgpr_queue_ptr 0
		.amdhsa_user_sgpr_kernarg_segment_ptr 1
		.amdhsa_user_sgpr_dispatch_id 0
		.amdhsa_user_sgpr_private_segment_size 0
		.amdhsa_wavefront_size32 1
		.amdhsa_uses_dynamic_stack 0
		.amdhsa_enable_private_segment 0
		.amdhsa_system_sgpr_workgroup_id_x 1
		.amdhsa_system_sgpr_workgroup_id_y 1
		.amdhsa_system_sgpr_workgroup_id_z 1
		.amdhsa_system_sgpr_workgroup_info 0
		.amdhsa_system_vgpr_workitem_id 0
		.amdhsa_next_free_vgpr 198
		.amdhsa_next_free_sgpr 52
		.amdhsa_reserve_vcc 1
		.amdhsa_float_round_mode_32 0
		.amdhsa_float_round_mode_16_64 0
		.amdhsa_float_denorm_mode_32 3
		.amdhsa_float_denorm_mode_16_64 3
		.amdhsa_dx10_clamp 1
		.amdhsa_ieee_mode 1
		.amdhsa_fp16_overflow 0
		.amdhsa_workgroup_processor_mode 1
		.amdhsa_memory_ordered 1
		.amdhsa_forward_progress 0
		.amdhsa_shared_vgpr_count 0
		.amdhsa_exception_fp_ieee_invalid_op 0
		.amdhsa_exception_fp_denorm_src 0
		.amdhsa_exception_fp_ieee_div_zero 0
		.amdhsa_exception_fp_ieee_overflow 0
		.amdhsa_exception_fp_ieee_underflow 0
		.amdhsa_exception_fp_ieee_inexact 0
		.amdhsa_exception_int_div_zero 0
	.end_amdhsa_kernel
	.section	.text._Z39paged_attention_ll4mi_QKV_mfma16_kernelIDF16_DF16_LN4vllm18Fp8KVCacheDataTypeE0EDF16_Li16ELi64ELi256ELb0ELi6EL8MFMAType0EEvPKT_PKT0_S8_ifPKiSA_SA_iPKfiiiPfSD_PS3_PT2_iSC_SC_,"axG",@progbits,_Z39paged_attention_ll4mi_QKV_mfma16_kernelIDF16_DF16_LN4vllm18Fp8KVCacheDataTypeE0EDF16_Li16ELi64ELi256ELb0ELi6EL8MFMAType0EEvPKT_PKT0_S8_ifPKiSA_SA_iPKfiiiPfSD_PS3_PT2_iSC_SC_,comdat
.Lfunc_end99:
	.size	_Z39paged_attention_ll4mi_QKV_mfma16_kernelIDF16_DF16_LN4vllm18Fp8KVCacheDataTypeE0EDF16_Li16ELi64ELi256ELb0ELi6EL8MFMAType0EEvPKT_PKT0_S8_ifPKiSA_SA_iPKfiiiPfSD_PS3_PT2_iSC_SC_, .Lfunc_end99-_Z39paged_attention_ll4mi_QKV_mfma16_kernelIDF16_DF16_LN4vllm18Fp8KVCacheDataTypeE0EDF16_Li16ELi64ELi256ELb0ELi6EL8MFMAType0EEvPKT_PKT0_S8_ifPKiSA_SA_iPKfiiiPfSD_PS3_PT2_iSC_SC_
                                        ; -- End function
	.section	.AMDGPU.csdata,"",@progbits
; Kernel info:
; codeLenInByte = 7812
; NumSgprs: 54
; NumVgprs: 198
; ScratchSize: 0
; MemoryBound: 0
; FloatMode: 240
; IeeeMode: 1
; LDSByteSize: 17472 bytes/workgroup (compile time only)
; SGPRBlocks: 6
; VGPRBlocks: 24
; NumSGPRsForWavesPerEU: 54
; NumVGPRsForWavesPerEU: 198
; Occupancy: 7
; WaveLimiterHint : 1
; COMPUTE_PGM_RSRC2:SCRATCH_EN: 0
; COMPUTE_PGM_RSRC2:USER_SGPR: 13
; COMPUTE_PGM_RSRC2:TRAP_HANDLER: 0
; COMPUTE_PGM_RSRC2:TGID_X_EN: 1
; COMPUTE_PGM_RSRC2:TGID_Y_EN: 1
; COMPUTE_PGM_RSRC2:TGID_Z_EN: 1
; COMPUTE_PGM_RSRC2:TIDIG_COMP_CNT: 0
	.section	.text._Z39paged_attention_ll4mi_QKV_mfma16_kernelIDF16_DF16_LN4vllm18Fp8KVCacheDataTypeE0EDF16_Li16ELi64ELi256ELb0ELi7EL8MFMAType0EEvPKT_PKT0_S8_ifPKiSA_SA_iPKfiiiPfSD_PS3_PT2_iSC_SC_,"axG",@progbits,_Z39paged_attention_ll4mi_QKV_mfma16_kernelIDF16_DF16_LN4vllm18Fp8KVCacheDataTypeE0EDF16_Li16ELi64ELi256ELb0ELi7EL8MFMAType0EEvPKT_PKT0_S8_ifPKiSA_SA_iPKfiiiPfSD_PS3_PT2_iSC_SC_,comdat
	.protected	_Z39paged_attention_ll4mi_QKV_mfma16_kernelIDF16_DF16_LN4vllm18Fp8KVCacheDataTypeE0EDF16_Li16ELi64ELi256ELb0ELi7EL8MFMAType0EEvPKT_PKT0_S8_ifPKiSA_SA_iPKfiiiPfSD_PS3_PT2_iSC_SC_ ; -- Begin function _Z39paged_attention_ll4mi_QKV_mfma16_kernelIDF16_DF16_LN4vllm18Fp8KVCacheDataTypeE0EDF16_Li16ELi64ELi256ELb0ELi7EL8MFMAType0EEvPKT_PKT0_S8_ifPKiSA_SA_iPKfiiiPfSD_PS3_PT2_iSC_SC_
	.globl	_Z39paged_attention_ll4mi_QKV_mfma16_kernelIDF16_DF16_LN4vllm18Fp8KVCacheDataTypeE0EDF16_Li16ELi64ELi256ELb0ELi7EL8MFMAType0EEvPKT_PKT0_S8_ifPKiSA_SA_iPKfiiiPfSD_PS3_PT2_iSC_SC_
	.p2align	8
	.type	_Z39paged_attention_ll4mi_QKV_mfma16_kernelIDF16_DF16_LN4vllm18Fp8KVCacheDataTypeE0EDF16_Li16ELi64ELi256ELb0ELi7EL8MFMAType0EEvPKT_PKT0_S8_ifPKiSA_SA_iPKfiiiPfSD_PS3_PT2_iSC_SC_,@function
_Z39paged_attention_ll4mi_QKV_mfma16_kernelIDF16_DF16_LN4vllm18Fp8KVCacheDataTypeE0EDF16_Li16ELi64ELi256ELb0ELi7EL8MFMAType0EEvPKT_PKT0_S8_ifPKiSA_SA_iPKfiiiPfSD_PS3_PT2_iSC_SC_: ; @_Z39paged_attention_ll4mi_QKV_mfma16_kernelIDF16_DF16_LN4vllm18Fp8KVCacheDataTypeE0EDF16_Li16ELi64ELi256ELb0ELi7EL8MFMAType0EEvPKT_PKT0_S8_ifPKiSA_SA_iPKfiiiPfSD_PS3_PT2_iSC_SC_
; %bb.0:
	s_load_b64 s[2:3], s[0:1], 0x30
	s_mov_b32 s34, s13
	s_waitcnt lgkmcnt(0)
	s_cmp_lg_u64 s[2:3], 0
	s_cselect_b32 s8, -1, 0
	s_ashr_i32 s35, s13, 31
	s_cmp_eq_u64 s[2:3], 0
	s_cbranch_scc1 .LBB100_3
; %bb.1:
	s_lshl_b64 s[4:5], s[34:35], 2
	s_delay_alu instid0(SALU_CYCLE_1) | instskip(SKIP_4) | instid1(SALU_CYCLE_1)
	s_add_u32 s4, s2, s4
	s_addc_u32 s5, s3, s5
	s_load_b64 s[4:5], s[4:5], 0x0
	s_waitcnt lgkmcnt(0)
	s_sub_i32 s4, s5, s4
	s_cmp_eq_u32 s4, 1
	s_cselect_b32 s4, -1, 0
	s_delay_alu instid0(SALU_CYCLE_1)
	s_and_not1_b32 vcc_lo, exec_lo, s4
	s_cbranch_vccz .LBB100_4
.LBB100_2:
	s_nop 0
	s_sendmsg sendmsg(MSG_DEALLOC_VGPRS)
	s_endpgm
.LBB100_3:
.LBB100_4:
	s_load_b64 s[4:5], s[0:1], 0x28
	s_lshl_b64 s[6:7], s[34:35], 2
	s_waitcnt lgkmcnt(0)
	s_add_u32 s4, s4, s6
	s_addc_u32 s5, s5, s7
	s_lshl_b32 s31, s14, 8
	s_load_b32 s30, s[4:5], 0x0
	s_waitcnt lgkmcnt(0)
	s_cmp_ge_i32 s31, s30
	s_cbranch_scc1 .LBB100_2
; %bb.5:
	s_clause 0x1
	s_load_b128 s[20:23], s[0:1], 0x8
	s_load_b64 s[4:5], s[0:1], 0x20
	s_and_not1_b32 vcc_lo, exec_lo, s8
	s_cbranch_vccnz .LBB100_7
; %bb.6:
	s_add_u32 s2, s2, s6
	s_addc_u32 s3, s3, s7
	s_load_b32 s3, s[2:3], 0x0
	s_branch .LBB100_8
.LBB100_7:
	s_mov_b32 s3, s34
.LBB100_8:
	s_load_b128 s[16:19], s[0:1], 0x48
	v_lshrrev_b32_e32 v149, 5, v0
	v_bfe_u32 v146, v0, 4, 1
	v_and_b32_e32 v148, 15, v0
	v_and_b32_e32 v150, 31, v0
	;; [unrolled: 1-line block ×3, first 2 shown]
	s_mul_i32 s33, s15, 7
	v_lshl_or_b32 v1, v149, 1, v146
	v_lshlrev_b32_e32 v2, 3, v148
	v_cmp_gt_u32_e64 s2, 8, v148
	s_delay_alu instid0(VALU_DEP_3) | instskip(NEXT) | instid1(VALU_DEP_3)
	v_cmp_gt_u32_e32 vcc_lo, 7, v1
	v_lshlrev_b32_e32 v145, 1, v2
	s_delay_alu instid0(VALU_DEP_3) | instskip(NEXT) | instid1(SALU_CYCLE_1)
	s_and_b32 s7, s2, vcc_lo
	s_and_saveexec_b32 s6, s7
	s_cbranch_execz .LBB100_10
; %bb.9:
	s_load_b64 s[8:9], s[0:1], 0x0
	v_add_lshl_u32 v2, v1, s33, 6
	s_waitcnt lgkmcnt(0)
	s_mul_hi_i32 s11, s3, s16
	s_mul_i32 s10, s3, s16
	v_lshlrev_b32_e32 v6, 10, v148
	s_lshl_b64 s[10:11], s[10:11], 1
	v_ashrrev_i32_e32 v3, 31, v2
	v_lshlrev_b32_e32 v1, 6, v1
	v_lshlrev_b32_e32 v7, 10, v147
	v_and_b32_e32 v6, 0x3800, v6
	s_delay_alu instid0(VALU_DEP_4) | instskip(NEXT) | instid1(VALU_DEP_2)
	v_lshlrev_b64 v[2:3], 1, v[2:3]
	v_or3_b32 v1, v6, v7, v1
	s_add_u32 s3, s8, s10
	s_addc_u32 s7, s9, s11
	s_delay_alu instid0(VALU_DEP_2) | instskip(NEXT) | instid1(VALU_DEP_3)
	v_add_co_u32 v2, vcc_lo, s3, v2
	v_add_co_ci_u32_e32 v3, vcc_lo, s7, v3, vcc_lo
	s_delay_alu instid0(VALU_DEP_2) | instskip(NEXT) | instid1(VALU_DEP_2)
	v_add_co_u32 v2, vcc_lo, v2, v145
	v_add_co_ci_u32_e32 v3, vcc_lo, 0, v3, vcc_lo
	global_load_b128 v[2:5], v[2:3], off
	s_waitcnt vmcnt(0)
	ds_store_b128 v1, v[2:5]
.LBB100_10:
	s_or_b32 exec_lo, exec_lo, s6
	v_and_b32_e32 v1, 0xef, v0
	s_waitcnt lgkmcnt(0)
	s_add_i32 s3, s30, 15
	s_clause 0x1
	s_load_b32 s6, s[0:1], 0x38
	s_load_b32 s35, s[0:1], 0x98
	s_ashr_i32 s7, s3, 31
	v_add_nc_u32_e32 v1, s31, v1
	s_lshr_b32 s7, s7, 28
	s_load_b32 s36, s[0:1], 0x1c
	s_add_i32 s3, s3, s7
	s_waitcnt lgkmcnt(0)
	v_ashrrev_i32_e32 v2, 31, v1
	v_or_b32_e32 v3, 16, v1
	s_ashr_i32 s3, s3, 4
	v_cmp_gt_i32_e32 vcc_lo, s30, v1
	s_add_i32 s3, s3, -1
	v_lshrrev_b32_e32 v2, 28, v2
	s_barrier
	buffer_gl0_inv
	v_add_nc_u32_e32 v4, v1, v2
	s_mul_i32 s6, s34, s6
	s_delay_alu instid0(SALU_CYCLE_1) | instskip(NEXT) | instid1(VALU_DEP_1)
	s_ashr_i32 s7, s6, 31
	v_ashrrev_i32_e32 v4, 4, v4
	v_add_nc_u32_e32 v2, v3, v2
	s_lshl_b64 s[6:7], s[6:7], 2
	s_delay_alu instid0(SALU_CYCLE_1) | instskip(NEXT) | instid1(VALU_DEP_2)
	s_add_u32 s16, s4, s6
	v_cndmask_b32_e32 v1, s3, v4, vcc_lo
	s_delay_alu instid0(VALU_DEP_2) | instskip(SKIP_3) | instid1(SALU_CYCLE_1)
	v_ashrrev_i32_e32 v2, 4, v2
	v_cmp_gt_i32_e32 vcc_lo, s30, v3
	s_addc_u32 s37, s5, s7
	s_mul_i32 s4, s15, s18
	s_ashr_i32 s5, s4, 31
	v_cndmask_b32_e32 v3, s3, v2, vcc_lo
	v_ashrrev_i32_e32 v2, 31, v1
	s_lshl_b64 s[12:13], s[4:5], 1
	s_delay_alu instid0(SALU_CYCLE_1) | instskip(NEXT) | instid1(VALU_DEP_2)
	s_add_u32 s26, s20, s12
	v_ashrrev_i32_e32 v4, 31, v3
	s_delay_alu instid0(VALU_DEP_2) | instskip(SKIP_2) | instid1(VALU_DEP_2)
	v_lshlrev_b64 v[1:2], 2, v[1:2]
	s_addc_u32 s27, s21, s13
	s_lshl_b32 s4, s14, 4
	v_lshlrev_b64 v[3:4], 2, v[3:4]
	s_ashr_i32 s5, s4, 31
	s_delay_alu instid0(VALU_DEP_2) | instskip(SKIP_1) | instid1(VALU_DEP_3)
	v_add_co_u32 v1, vcc_lo, s16, v1
	v_add_co_ci_u32_e32 v2, vcc_lo, s37, v2, vcc_lo
	v_add_co_u32 v3, vcc_lo, s16, v3
	s_delay_alu instid0(VALU_DEP_4)
	v_add_co_ci_u32_e32 v4, vcc_lo, s37, v4, vcc_lo
	s_clause 0x1
	global_load_b32 v5, v[1:2], off
	global_load_b32 v6, v[3:4], off
	s_lshl_b64 s[4:5], s[4:5], 2
	v_lshlrev_b32_e32 v3, 4, v0
	s_add_u32 s4, s16, s4
	s_addc_u32 s5, s37, s5
	s_or_b32 s6, s31, 16
	s_delay_alu instid0(SALU_CYCLE_1) | instskip(SKIP_2) | instid1(SALU_CYCLE_1)
	s_ashr_i32 s7, s6, 4
	s_cmp_lt_i32 s6, s30
	s_cselect_b32 s6, s7, s3
	s_ashr_i32 s7, s6, 31
	s_delay_alu instid0(SALU_CYCLE_1) | instskip(NEXT) | instid1(SALU_CYCLE_1)
	s_lshl_b64 s[6:7], s[6:7], 2
	s_add_u32 s6, s16, s6
	s_addc_u32 s7, s37, s7
	s_or_b32 s8, s31, 32
	s_delay_alu instid0(SALU_CYCLE_1) | instskip(SKIP_2) | instid1(SALU_CYCLE_1)
	s_ashr_i32 s9, s8, 4
	s_cmp_lt_i32 s8, s30
	s_cselect_b32 s8, s9, s3
	s_ashr_i32 s9, s8, 31
	s_delay_alu instid0(SALU_CYCLE_1) | instskip(NEXT) | instid1(SALU_CYCLE_1)
	s_lshl_b64 s[8:9], s[8:9], 2
	;; [unrolled: 10-line block ×5, first 2 shown]
	s_add_u32 s24, s16, s18
	s_addc_u32 s25, s37, s19
	s_clause 0x5
	s_load_b32 s38, s[4:5], 0x0
	s_load_b32 s29, s[6:7], 0x0
	;; [unrolled: 1-line block ×6, first 2 shown]
	s_waitcnt vmcnt(1)
	v_mad_i64_i32 v[1:2], null, v5, s17, 0
	v_and_b32_e32 v5, 0xf0, v3
	s_waitcnt vmcnt(0)
	v_mad_i64_i32 v[3:4], null, v6, s17, 0
	s_delay_alu instid0(VALU_DEP_2) | instskip(NEXT) | instid1(VALU_DEP_4)
	v_add_co_u32 v7, s4, s26, v5
	v_lshlrev_b64 v[1:2], 1, v[1:2]
	v_add_co_ci_u32_e64 v8, null, s27, 0, s4
	s_delay_alu instid0(VALU_DEP_4) | instskip(SKIP_1) | instid1(VALU_DEP_3)
	v_lshlrev_b64 v[5:6], 1, v[3:4]
	s_or_b32 s4, s31, 0x60
	v_add_co_u32 v3, vcc_lo, v7, v1
	s_delay_alu instid0(VALU_DEP_3) | instskip(NEXT) | instid1(VALU_DEP_3)
	v_add_co_ci_u32_e32 v4, vcc_lo, v8, v2, vcc_lo
	v_add_co_u32 v1, vcc_lo, v7, v5
	s_delay_alu instid0(VALU_DEP_4)
	v_add_co_ci_u32_e32 v2, vcc_lo, v8, v6, vcc_lo
	s_clause 0x9
	global_load_b128 v[9:12], v[3:4], off
	global_load_b128 v[13:16], v[3:4], off offset:256
	global_load_b128 v[129:132], v[1:2], off
	global_load_b128 v[133:136], v[1:2], off offset:256
	global_load_b128 v[41:44], v[3:4], off offset:512
	global_load_b128 v[45:48], v[3:4], off offset:768
	global_load_b128 v[33:36], v[1:2], off offset:512
	global_load_b128 v[37:40], v[1:2], off offset:768
	global_load_b128 v[17:20], v[3:4], off offset:1024
	global_load_b128 v[21:24], v[3:4], off offset:1280
	v_mul_lo_u16 v5, v148, 37
	s_clause 0x1
	global_load_b128 v[151:154], v[1:2], off offset:1024
	global_load_b128 v[155:158], v[1:2], off offset:1280
	s_ashr_i32 s5, s4, 4
	s_cmp_lt_i32 s4, s30
	v_lshlrev_b32_e32 v6, 5, v148
	v_lshrrev_b16 v5, 8, v5
	s_cselect_b32 s4, s5, s3
	s_delay_alu instid0(SALU_CYCLE_1) | instskip(NEXT) | instid1(VALU_DEP_2)
	s_ashr_i32 s5, s4, 31
	v_lshl_or_b32 v6, v149, 9, v6
	s_delay_alu instid0(VALU_DEP_2) | instskip(SKIP_1) | instid1(SALU_CYCLE_1)
	v_mul_lo_u16 v5, v5, 7
	s_lshl_b64 s[4:5], s[4:5], 2
	s_add_u32 s20, s16, s4
	s_addc_u32 s21, s37, s5
	s_delay_alu instid0(VALU_DEP_1) | instskip(SKIP_1) | instid1(SALU_CYCLE_1)
	v_sub_nc_u16 v5, v148, v5
	s_or_b32 s4, s31, 0x70
	s_ashr_i32 s5, s4, 4
	s_cmp_lt_i32 s4, s30
	s_delay_alu instid0(VALU_DEP_1) | instskip(SKIP_1) | instid1(SALU_CYCLE_1)
	v_and_b32_e32 v5, 0xff, v5
	s_cselect_b32 s4, s5, s3
	s_ashr_i32 s5, s4, 31
	s_delay_alu instid0(VALU_DEP_1)
	v_lshlrev_b32_e32 v197, 6, v5
	ds_load_b128 v[159:162], v197
	ds_load_b128 v[163:166], v197 offset:1024
	s_clause 0x3
	global_load_b128 v[167:170], v[3:4], off offset:1536
	global_load_b128 v[171:174], v[3:4], off offset:1792
	;; [unrolled: 1-line block ×4, first 2 shown]
	s_lshl_b64 s[6:7], s[4:5], 2
	s_mov_b32 s4, 0
	s_add_u32 s24, s16, s6
	s_addc_u32 s25, s37, s7
	s_or_b32 s5, s31, 0x80
	s_mov_b32 s11, s4
	s_ashr_i32 s6, s5, 4
	s_cmp_lt_i32 s5, s30
	s_mov_b32 s5, s4
	s_cselect_b32 s8, s6, s3
	s_mov_b32 s6, s4
	s_ashr_i32 s9, s8, 31
	s_mov_b32 s7, s4
	s_lshl_b64 s[8:9], s[8:9], 2
	s_clause 0x1
	s_load_b32 s45, s[20:21], 0x0
	s_load_b32 s46, s[24:25], 0x0
	s_add_u32 s26, s16, s8
	s_addc_u32 s27, s37, s9
	s_or_b32 s9, s31, 0x90
	s_mov_b32 s8, s4
	s_ashr_i32 s10, s9, 4
	s_cmp_lt_i32 s9, s30
	s_mov_b32 s9, s4
	s_cselect_b32 s40, s10, s3
	s_mov_b32 s10, s4
	s_ashr_i32 s41, s40, 31
	v_mov_b32_e32 v144, s11
	s_lshl_b64 s[40:41], s[40:41], 2
	v_mov_b32_e32 v143, s10
	s_add_u32 s40, s16, s40
	s_addc_u32 s41, s37, s41
	s_or_b32 s39, s31, 0xa0
	s_load_b32 s41, s[40:41], 0x0
	s_ashr_i32 s42, s39, 4
	s_cmp_lt_i32 s39, s30
	v_mov_b32_e32 v142, s9
	s_cselect_b32 s42, s42, s3
	v_mov_b32_e32 v141, s8
	s_ashr_i32 s43, s42, 31
	v_dual_mov_b32 v140, s7 :: v_dual_mov_b32 v139, s6
	v_dual_mov_b32 v138, s5 :: v_dual_mov_b32 v137, s4
	s_lshl_b64 s[4:5], s[42:43], 2
	s_waitcnt lgkmcnt(0)
	s_mul_hi_i32 s7, s29, s17
	s_add_u32 s42, s16, s4
	s_addc_u32 s43, s37, s5
	s_or_b32 s4, s31, 0xb0
	s_mul_hi_i32 s5, s38, s17
	s_ashr_i32 s6, s4, 4
	s_cmp_lt_i32 s4, s30
	s_mul_i32 s4, s38, s17
	s_cselect_b32 s8, s6, s3
	s_mul_i32 s6, s29, s17
	s_ashr_i32 s9, s8, 31
	s_load_b32 s40, s[42:43], 0x0
	s_lshl_b64 s[8:9], s[8:9], 2
	s_mul_hi_i32 s21, s15, s17
	s_add_u32 s38, s16, s8
	s_addc_u32 s39, s37, s9
	s_or_b32 s8, s31, 0xc0
	s_mul_hi_i32 s9, s28, s17
	s_ashr_i32 s10, s8, 4
	s_cmp_lt_i32 s8, s30
	s_mul_i32 s8, s28, s17
	s_cselect_b32 s28, s10, s3
	s_mul_hi_i32 s11, s19, s17
	s_ashr_i32 s29, s28, 31
	s_mul_i32 s10, s19, s17
	s_lshl_b64 s[28:29], s[28:29], 2
	s_mul_hi_i32 s19, s18, s17
	s_add_u32 s28, s16, s28
	s_addc_u32 s29, s37, s29
	s_or_b32 s44, s31, 0xd0
	s_mul_i32 s18, s18, s17
	s_ashr_i32 s20, s44, 4
	s_cmp_lt_i32 s44, s30
	s_load_b32 s44, s[26:27], 0x0
	s_cselect_b32 s24, s20, s3
	s_mul_i32 s20, s15, s17
	s_ashr_i32 s25, s24, 31
	s_mul_hi_i32 s27, s46, s17
	s_lshl_b64 s[24:25], s[24:25], 2
	s_mul_i32 s26, s46, s17
	s_add_u32 s24, s16, s24
	s_addc_u32 s25, s37, s25
	s_or_b32 s42, s31, 0xe0
	s_clause 0x2
	s_load_b32 s39, s[38:39], 0x0
	s_load_b32 s38, s[28:29], 0x0
	;; [unrolled: 1-line block ×3, first 2 shown]
	s_ashr_i32 s47, s42, 4
	s_cmp_lt_i32 s42, s30
	s_mul_hi_i32 s25, s45, s17
	s_mul_i32 s24, s45, s17
	s_mul_hi_i32 s43, s41, s17
	s_mul_i32 s42, s41, s17
	s_waitcnt lgkmcnt(0)
	s_mul_hi_i32 s41, s40, s17
	s_mul_i32 s40, s40, s17
	s_mul_hi_i32 s29, s44, s17
	s_mul_i32 s28, s44, s17
	s_cselect_b32 s44, s47, s3
	s_delay_alu instid0(SALU_CYCLE_1) | instskip(NEXT) | instid1(SALU_CYCLE_1)
	s_ashr_i32 s45, s44, 31
	s_lshl_b64 s[44:45], s[44:45], 2
	s_delay_alu instid0(SALU_CYCLE_1)
	s_add_u32 s44, s16, s44
	s_addc_u32 s45, s37, s45
	s_or_b32 s46, s31, 0xf0
	s_mul_hi_i32 s51, s15, s17
	s_ashr_i32 s48, s46, 4
	s_cmp_lt_i32 s46, s30
	s_mul_i32 s50, s15, s17
	s_cselect_b32 s48, s48, s3
	s_mul_hi_i32 s47, s39, s17
	s_ashr_i32 s49, s48, 31
	s_mul_i32 s46, s39, s17
	s_lshl_b64 s[48:49], s[48:49], 2
	s_mul_hi_i32 s39, s38, s17
	s_add_u32 s48, s16, s48
	s_addc_u32 s49, s37, s49
	s_add_u32 s3, s22, s12
	s_addc_u32 s15, s23, s13
	v_add_co_u32 v195, s3, s3, v6
	s_delay_alu instid0(VALU_DEP_1) | instskip(SKIP_2) | instid1(VALU_DEP_2)
	v_add_co_ci_u32_e64 v196, null, s15, 0, s3
	s_lshl_b64 s[4:5], s[4:5], 1
	s_lshl_b64 s[6:7], s[6:7], 1
	v_add_co_u32 v1, vcc_lo, v195, s4
	s_delay_alu instid0(VALU_DEP_2)
	v_add_co_ci_u32_e32 v2, vcc_lo, s5, v196, vcc_lo
	v_add_co_u32 v3, vcc_lo, v195, s6
	s_lshl_b64 s[8:9], s[8:9], 1
	v_add_co_ci_u32_e32 v4, vcc_lo, s7, v196, vcc_lo
	v_add_co_u32 v5, vcc_lo, v195, s8
	s_lshl_b64 s[10:11], s[10:11], 1
	v_add_co_ci_u32_e32 v6, vcc_lo, s9, v196, vcc_lo
	v_add_co_u32 v7, vcc_lo, v195, s10
	s_lshl_b64 s[12:13], s[18:19], 1
	v_add_co_ci_u32_e32 v8, vcc_lo, s11, v196, vcc_lo
	v_add_co_u32 v25, vcc_lo, v195, s12
	s_lshl_b64 s[18:19], s[20:21], 1
	v_add_co_ci_u32_e32 v26, vcc_lo, s13, v196, vcc_lo
	v_add_co_u32 v27, vcc_lo, v195, s18
	s_lshl_b64 s[20:21], s[24:25], 1
	v_add_co_ci_u32_e32 v28, vcc_lo, s19, v196, vcc_lo
	v_add_co_u32 v29, vcc_lo, v195, s20
	s_lshl_b64 s[22:23], s[26:27], 1
	v_add_co_ci_u32_e32 v30, vcc_lo, s21, v196, vcc_lo
	v_add_co_u32 v31, vcc_lo, v195, s22
	s_lshl_b64 s[24:25], s[28:29], 1
	v_add_co_ci_u32_e32 v32, vcc_lo, s23, v196, vcc_lo
	v_add_co_u32 v49, vcc_lo, v195, s24
	s_lshl_b64 s[26:27], s[42:43], 1
	v_add_co_ci_u32_e32 v50, vcc_lo, s25, v196, vcc_lo
	v_add_co_u32 v53, vcc_lo, v195, s26
	s_lshl_b64 s[28:29], s[40:41], 1
	v_add_co_ci_u32_e32 v54, vcc_lo, s27, v196, vcc_lo
	v_add_co_u32 v183, vcc_lo, v195, s28
	s_lshl_b64 s[40:41], s[46:47], 1
	s_mul_i32 s38, s38, s17
	v_add_co_ci_u32_e32 v184, vcc_lo, s29, v196, vcc_lo
	v_add_co_u32 v185, vcc_lo, v195, s40
	s_lshl_b64 s[38:39], s[38:39], 1
	s_clause 0x1
	s_load_b32 s3, s[44:45], 0x0
	s_load_b32 s15, s[48:49], 0x0
	v_add_co_ci_u32_e32 v186, vcc_lo, s41, v196, vcc_lo
	v_add_co_u32 v191, vcc_lo, v195, s38
	v_add_co_ci_u32_e32 v192, vcc_lo, s39, v196, vcc_lo
	s_clause 0x17
	global_load_b128 v[121:124], v[1:2], off
	global_load_b128 v[125:128], v[1:2], off offset:16
	global_load_b128 v[113:116], v[3:4], off
	global_load_b128 v[117:120], v[3:4], off offset:16
	;; [unrolled: 2-line block ×12, first 2 shown]
	s_lshl_b64 s[42:43], s[50:51], 1
	s_delay_alu instid0(SALU_CYCLE_1)
	v_add_co_u32 v193, vcc_lo, v195, s42
	v_add_co_ci_u32_e32 v194, vcc_lo, s43, v196, vcc_lo
	s_waitcnt lgkmcnt(0)
	s_mul_hi_i32 s5, s3, s17
	s_mul_i32 s4, s3, s17
	s_mul_hi_i32 s7, s15, s17
	s_lshl_b64 s[4:5], s[4:5], 1
	s_mul_i32 s6, s15, s17
	s_waitcnt vmcnt(38)
	v_wmma_f32_16x16x16_f16 v[183:190], v[9:16], v[159:166], v[137:144]
	s_waitcnt vmcnt(36)
	v_wmma_f32_16x16x16_f16 v[137:144], v[129:136], v[159:166], v[137:144]
	s_clause 0x1
	global_load_b128 v[9:12], v[191:192], off
	global_load_b128 v[13:16], v[191:192], off offset:16
	ds_load_b128 v[129:132], v197 offset:2048
	ds_load_b128 v[133:136], v197 offset:3072
	;; [unrolled: 1-line block ×4, first 2 shown]
	v_add_co_u32 v191, vcc_lo, v195, s4
	v_add_co_ci_u32_e32 v192, vcc_lo, s5, v196, vcc_lo
	s_lshl_b64 s[4:5], s[6:7], 1
	s_delay_alu instid0(SALU_CYCLE_1)
	v_add_co_u32 v195, vcc_lo, v195, s4
	v_add_co_ci_u32_e32 v196, vcc_lo, s5, v196, vcc_lo
	s_waitcnt vmcnt(36) lgkmcnt(2)
	v_wmma_f32_16x16x16_f16 v[183:190], v[41:48], v[129:136], v[183:190]
	s_waitcnt vmcnt(34)
	v_wmma_f32_16x16x16_f16 v[137:144], v[33:40], v[129:136], v[137:144]
	s_clause 0x3
	global_load_b128 v[33:36], v[193:194], off
	global_load_b128 v[37:40], v[193:194], off offset:16
	global_load_b128 v[41:44], v[191:192], off
	global_load_b128 v[45:48], v[191:192], off offset:16
	v_and_b32_e32 v129, 0xe0, v0
	v_mbcnt_lo_u32_b32 v191, -1, 0
	s_waitcnt vmcnt(36) lgkmcnt(0)
	v_wmma_f32_16x16x16_f16 v[183:190], v[17:24], v[159:166], v[183:190]
	s_clause 0x1
	global_load_b128 v[17:20], v[195:196], off
	global_load_b128 v[21:24], v[195:196], off offset:16
	s_waitcnt vmcnt(36)
	v_wmma_f32_16x16x16_f16 v[137:144], v[151:158], v[159:166], v[137:144]
	v_add_nc_u32_e32 v192, s31, v129
	ds_load_b128 v[129:132], v197 offset:6144
	ds_load_b128 v[133:136], v197 offset:7168
	v_xor_b32_e32 v151, 16, v191
	s_waitcnt vmcnt(0) lgkmcnt(0)
	s_barrier
	v_or_b32_e32 v152, v192, v146
	buffer_gl0_inv
	v_cmp_gt_i32_e32 vcc_lo, 32, v151
	v_or_b32_e32 v153, 2, v152
	v_or_b32_e32 v154, 4, v152
	;; [unrolled: 1-line block ×5, first 2 shown]
	v_cmp_gt_i32_e64 s3, s30, v153
	v_cmp_gt_i32_e64 s4, s30, v154
	;; [unrolled: 1-line block ×3, first 2 shown]
	v_or_b32_e32 v158, 12, v152
	v_or_b32_e32 v159, 14, v152
	v_cmp_gt_i32_e64 s6, s30, v156
	v_wmma_f32_16x16x16_f16 v[183:190], v[167:174], v[129:136], v[183:190]
	v_wmma_f32_16x16x16_f16 v[137:144], v[175:182], v[129:136], v[137:144]
	v_cndmask_b32_e32 v151, v191, v151, vcc_lo
	v_cmp_gt_i32_e32 vcc_lo, s30, v152
	v_cmp_gt_i32_e64 s7, s30, v157
	v_dual_mul_f32 v135, s36, v184 :: v_dual_mul_f32 v136, s36, v183
	v_mul_f32_e32 v134, s36, v185
	v_dual_mul_f32 v168, s36, v144 :: v_dual_mul_f32 v133, s36, v186
	s_delay_alu instid0(VALU_DEP_3) | instskip(NEXT) | instid1(VALU_DEP_4)
	v_cndmask_b32_e64 v135, 0xff7fffff, v135, s3
	v_cndmask_b32_e32 v136, 0xff7fffff, v136, vcc_lo
	v_dual_mul_f32 v131, s36, v188 :: v_dual_mul_f32 v174, s36, v138
	v_mul_f32_e32 v132, s36, v187
	v_cndmask_b32_e64 v134, 0xff7fffff, v134, s4
	v_cndmask_b32_e64 v133, 0xff7fffff, v133, s5
	v_max3_f32 v135, v136, 0xff7fffff, v135
	v_or_b32_e32 v160, 16, v152
	v_or_b32_e32 v161, 18, v152
	v_dual_mul_f32 v129, s36, v190 :: v_dual_mul_f32 v172, s36, v140
	v_mul_f32_e32 v130, s36, v189
	v_cndmask_b32_e64 v132, 0xff7fffff, v132, s6
	v_cndmask_b32_e64 v131, 0xff7fffff, v131, s7
	v_max3_f32 v133, v135, v134, v133
	v_cmp_gt_i32_e64 s8, s30, v158
	v_cmp_gt_i32_e64 s9, s30, v159
	v_or_b32_e32 v162, 20, v152
	v_or_b32_e32 v163, 22, v152
	v_mul_f32_e32 v175, s36, v137
	v_cndmask_b32_e64 v130, 0xff7fffff, v130, s8
	v_cndmask_b32_e64 v129, 0xff7fffff, v129, s9
	v_max3_f32 v131, v133, v132, v131
	v_cmp_gt_i32_e64 s10, s30, v160
	v_cmp_gt_i32_e64 s11, s30, v161
	v_or_b32_e32 v164, 24, v152
	v_or_b32_e32 v165, 26, v152
	;; [unrolled: 8-line block ×3, first 2 shown]
	v_dual_mul_f32 v170, s36, v142 :: v_dual_mul_f32 v171, s36, v141
	v_cndmask_b32_e64 v130, 0xff7fffff, v173, s12
	v_cndmask_b32_e64 v131, 0xff7fffff, v172, s13
	v_max3_f32 v129, v129, v132, v133
	v_cmp_gt_i32_e64 s15, s30, v164
	v_cmp_gt_i32_e64 s16, s30, v165
	v_mul_f32_e32 v169, s36, v143
	v_cmp_gt_i32_e64 s17, s30, v166
	v_max3_f32 v129, v129, v130, v131
	v_cndmask_b32_e64 v132, 0xff7fffff, v171, s15
	v_cndmask_b32_e64 v133, 0xff7fffff, v170, s16
	v_cmp_gt_i32_e64 s18, s30, v167
	v_cndmask_b32_e64 v130, 0xff7fffff, v169, s17
	s_delay_alu instid0(VALU_DEP_3) | instskip(NEXT) | instid1(VALU_DEP_3)
	v_max3_f32 v129, v129, v132, v133
	v_cndmask_b32_e64 v131, 0xff7fffff, v168, s18
	v_lshlrev_b32_e32 v132, 2, v151
	s_delay_alu instid0(VALU_DEP_2) | instskip(SKIP_3) | instid1(VALU_DEP_1)
	v_max3_f32 v129, v129, v130, v131
	ds_bpermute_b32 v130, v132, v129
	s_waitcnt lgkmcnt(0)
	v_max_f32_e32 v130, v130, v130
	v_max_f32_e32 v129, v129, v130
	s_delay_alu instid0(VALU_DEP_1)
	v_fma_f32 v134, s36, v186, -v129
	v_fma_f32 v130, s36, v183, -v129
	;; [unrolled: 1-line block ×5, first 2 shown]
	v_mul_f32_e32 v134, 0x3fb8aa3b, v134
	s_delay_alu instid0(VALU_DEP_4) | instskip(SKIP_1) | instid1(VALU_DEP_4)
	v_dual_mul_f32 v130, 0x3fb8aa3b, v130 :: v_dual_mul_f32 v131, 0x3fb8aa3b, v131
	v_fma_f32 v135, s36, v187, -v129
	v_mul_f32_e32 v136, 0x3fb8aa3b, v136
	s_delay_alu instid0(VALU_DEP_4) | instskip(NEXT) | instid1(VALU_DEP_3)
	v_exp_f32_e32 v134, v134
	v_exp_f32_e32 v130, v130
	v_exp_f32_e32 v131, v131
	v_mul_f32_e32 v135, 0x3fb8aa3b, v135
	v_exp_f32_e32 v136, v136
	s_delay_alu instid0(VALU_DEP_1) | instskip(SKIP_4) | instid1(TRANS32_DEP_3)
	v_exp_f32_e32 v135, v135
	v_cndmask_b32_e64 v153, 0, v134, s5
	v_fma_f32 v134, s36, v137, -v129
	v_dual_mul_f32 v133, 0x3fb8aa3b, v133 :: v_dual_cndmask_b32 v152, 0, v130
	v_fma_f32 v130, s36, v188, -v129
	v_cndmask_b32_e64 v151, 0, v131, s3
	s_delay_alu instid0(VALU_DEP_4) | instskip(NEXT) | instid1(VALU_DEP_4)
	v_mul_f32_e32 v134, 0x3fb8aa3b, v134
	v_exp_f32_e32 v133, v133
	s_delay_alu instid0(VALU_DEP_3) | instskip(SKIP_3) | instid1(VALU_DEP_4)
	v_dual_add_f32 v131, 0, v152 :: v_dual_mul_f32 v130, 0x3fb8aa3b, v130
	v_cndmask_b32_e64 v156, 0, v136, s8
	v_fma_f32 v136, s36, v140, -v129
	v_cndmask_b32_e64 v155, 0, v135, s6
	v_add_f32_e32 v131, v131, v151
	v_exp_f32_e32 v130, v130
	v_fma_f32 v135, s36, v138, -v129
	v_mul_f32_e32 v136, 0x3fb8aa3b, v136
	s_delay_alu instid0(TRANS32_DEP_2)
	v_cndmask_b32_e64 v154, 0, v133, s4
	v_fma_f32 v133, s36, v190, -v129
	v_exp_f32_e32 v134, v134
	v_cmp_gt_u32_e64 s3, 16, v150
	v_exp_f32_e32 v136, v136
	v_add_f32_e32 v131, v131, v154
	s_delay_alu instid0(TRANS32_DEP_3) | instskip(NEXT) | instid1(VALU_DEP_2)
	v_cndmask_b32_e64 v138, 0, v130, s7
	v_add_f32_e32 v131, v131, v153
	s_delay_alu instid0(VALU_DEP_1) | instskip(NEXT) | instid1(VALU_DEP_1)
	v_dual_mul_f32 v133, 0x3fb8aa3b, v133 :: v_dual_add_f32 v130, v131, v155
	v_exp_f32_e32 v133, v133
	v_fma_f32 v131, s36, v139, -v129
	s_delay_alu instid0(VALU_DEP_2) | instskip(NEXT) | instid1(VALU_DEP_1)
	v_add_f32_e32 v130, v130, v138
	v_add_f32_e32 v130, v130, v156
	s_waitcnt_depctr 0xfff
	v_cndmask_b32_e64 v139, 0, v133, s9
	v_fma_f32 v133, s36, v141, -v129
	v_cndmask_b32_e64 v141, 0, v134, s10
	v_fma_f32 v134, s36, v142, -v129
	v_cndmask_b32_e64 v142, 0, v136, s13
	v_add_f32_e32 v130, v130, v139
	s_delay_alu instid0(VALU_DEP_3) | instskip(NEXT) | instid1(VALU_DEP_2)
	v_dual_mul_f32 v135, 0x3fb8aa3b, v135 :: v_dual_mul_f32 v134, 0x3fb8aa3b, v134
	v_add_f32_e32 v130, v130, v141
	s_delay_alu instid0(VALU_DEP_2) | instskip(NEXT) | instid1(VALU_DEP_2)
	v_exp_f32_e32 v135, v135
	v_exp_f32_e32 v134, v134
	s_waitcnt_depctr 0xfff
	v_cndmask_b32_e64 v140, 0, v135, s11
	v_mul_f32_e32 v131, 0x3fb8aa3b, v131
	v_fma_f32 v135, s36, v143, -v129
	s_delay_alu instid0(VALU_DEP_3) | instskip(NEXT) | instid1(VALU_DEP_3)
	v_add_f32_e32 v130, v130, v140
	v_exp_f32_e32 v131, v131
	s_waitcnt_depctr 0xfff
	v_cndmask_b32_e64 v143, 0, v131, s12
	s_delay_alu instid0(VALU_DEP_1) | instskip(NEXT) | instid1(VALU_DEP_1)
	v_dual_mul_f32 v133, 0x3fb8aa3b, v133 :: v_dual_add_f32 v130, v130, v143
	v_exp_f32_e32 v133, v133
	v_mul_f32_e32 v131, 0x3fb8aa3b, v135
	v_fma_f32 v135, s36, v144, -v129
	v_cndmask_b32_e64 v144, 0, v134, s16
	v_add_f32_e32 v130, v130, v142
	s_delay_alu instid0(VALU_DEP_4) | instskip(SKIP_2) | instid1(VALU_DEP_1)
	v_exp_f32_e32 v131, v131
	s_waitcnt_depctr 0xfff
	v_cndmask_b32_e64 v157, 0, v133, s15
	v_dual_mul_f32 v133, 0x3fb8aa3b, v135 :: v_dual_add_f32 v130, v130, v157
	s_delay_alu instid0(VALU_DEP_1) | instskip(SKIP_1) | instid1(VALU_DEP_2)
	v_exp_f32_e32 v133, v133
	v_cndmask_b32_e64 v159, 0, v131, s17
	v_add_f32_e32 v130, v130, v144
	s_delay_alu instid0(VALU_DEP_1) | instskip(SKIP_2) | instid1(VALU_DEP_1)
	v_add_f32_e32 v130, v130, v159
	s_waitcnt_depctr 0xfff
	v_cndmask_b32_e64 v158, 0, v133, s18
	v_add_f32_e32 v130, v130, v158
	ds_bpermute_b32 v131, v132, v130
	s_and_saveexec_b32 s4, s3
	s_cbranch_execz .LBB100_12
; %bb.11:
	v_mul_u32_u24_e32 v132, 0x44, v149
	s_delay_alu instid0(VALU_DEP_1) | instskip(SKIP_1) | instid1(VALU_DEP_1)
	v_lshl_add_u32 v132, v148, 2, v132
	s_waitcnt lgkmcnt(0)
	v_dual_add_f32 v130, v130, v131 :: v_dual_add_nc_u32 v131, 0x4000, v132
	ds_store_2addr_b32 v131, v129, v130 offset1:136
.LBB100_12:
	s_or_b32 exec_lo, exec_lo, s4
	v_lshlrev_b32_e32 v129, 2, v148
	s_load_b32 s36, s[0:1], 0x94
	s_waitcnt lgkmcnt(0)
	s_barrier
	buffer_gl0_inv
	v_add_nc_u32_e32 v135, 0x4000, v129
	v_cmp_eq_u32_e32 vcc_lo, 1, v149
	v_cmp_eq_u32_e64 s4, 2, v149
	v_cmp_eq_u32_e64 s5, 3, v149
	;; [unrolled: 1-line block ×3, first 2 shown]
	ds_load_2addr_b32 v[129:130], v135 offset1:17
	ds_load_2addr_b32 v[131:132], v135 offset0:34 offset1:51
	ds_load_2addr_b32 v[133:134], v135 offset0:68 offset1:85
	;; [unrolled: 1-line block ×3, first 2 shown]
	v_cmp_eq_u32_e64 s7, 5, v149
	v_cmp_eq_u32_e64 s8, 7, v149
	s_waitcnt lgkmcnt(3)
	v_max3_f32 v136, v129, 0xff7fffff, v130
	s_waitcnt lgkmcnt(2)
	s_delay_alu instid0(VALU_DEP_1) | instskip(SKIP_1) | instid1(VALU_DEP_1)
	v_max3_f32 v136, v136, v131, v132
	s_waitcnt lgkmcnt(1)
	v_max3_f32 v136, v136, v133, v134
	s_waitcnt lgkmcnt(0)
	s_delay_alu instid0(VALU_DEP_1) | instskip(NEXT) | instid1(VALU_DEP_1)
	v_max3_f32 v136, v136, v160, v161
	v_sub_f32_e32 v164, v132, v136
	ds_load_2addr_b32 v[162:163], v135 offset0:136 offset1:153
	v_sub_f32_e32 v129, v129, v136
	v_sub_f32_e32 v137, v130, v136
	;; [unrolled: 1-line block ×3, first 2 shown]
	v_mul_f32_e32 v164, 0x3fb8aa3b, v164
	s_delay_alu instid0(VALU_DEP_4) | instskip(NEXT) | instid1(VALU_DEP_4)
	v_mul_f32_e32 v150, 0x3fb8aa3b, v129
	v_mul_f32_e32 v137, 0x3fb8aa3b, v137
	ds_load_2addr_b32 v[129:130], v135 offset0:170 offset1:187
	v_mul_f32_e32 v167, 0x3fb8aa3b, v133
	v_exp_f32_e32 v164, v164
	v_exp_f32_e32 v150, v150
	;; [unrolled: 1-line block ×3, first 2 shown]
	v_sub_f32_e32 v131, v131, v136
	s_delay_alu instid0(VALU_DEP_1)
	v_mul_f32_e32 v165, 0x3fb8aa3b, v131
	ds_load_2addr_b32 v[131:132], v135 offset0:204 offset1:221
	s_waitcnt lgkmcnt(2)
	v_fma_f32 v137, v150, v162, 0
	v_sub_f32_e32 v162, v134, v136
	v_exp_f32_e32 v165, v165
	ds_load_2addr_b32 v[133:134], v135 offset0:238 offset1:255
	v_sub_f32_e32 v135, v160, v136
	v_dual_fmac_f32 v137, v166, v163 :: v_dual_mul_f32 v160, 0x3fb8aa3b, v162
	v_exp_f32_e32 v162, v167
	s_waitcnt lgkmcnt(0)
	s_delay_alu instid0(VALU_DEP_2)
	v_mul_f32_e32 v135, 0x3fb8aa3b, v135
	s_barrier
	v_exp_f32_e32 v160, v160
	v_fmac_f32_e32 v137, v165, v129
	v_sub_f32_e32 v129, v161, v136
	v_exp_f32_e32 v161, v135
	buffer_gl0_inv
	v_fmac_f32_e32 v137, v164, v130
	v_dual_mul_f32 v129, 0x3fb8aa3b, v129 :: v_dual_cndmask_b32 v130, v150, v166
	s_delay_alu instid0(VALU_DEP_2) | instskip(NEXT) | instid1(VALU_DEP_2)
	v_fmac_f32_e32 v137, v162, v131
	v_exp_f32_e32 v163, v129
	s_delay_alu instid0(VALU_DEP_1) | instskip(NEXT) | instid1(VALU_DEP_1)
	v_fmac_f32_e32 v137, v160, v132
	v_fmac_f32_e32 v137, v161, v133
	v_lshlrev_b32_e32 v133, 6, v148
	s_waitcnt_depctr 0xfff
	v_fmac_f32_e32 v137, v163, v134
	v_lshl_or_b32 v135, v149, 11, v133
	s_delay_alu instid0(VALU_DEP_2) | instskip(NEXT) | instid1(VALU_DEP_1)
	v_add_f32_e32 v134, 0x358637bd, v137
	v_div_scale_f32 v167, null, v134, v134, 1.0
	v_div_scale_f32 v150, vcc_lo, 1.0, v134, 1.0
	s_delay_alu instid0(VALU_DEP_2) | instskip(SKIP_2) | instid1(VALU_DEP_1)
	v_rcp_f32_e32 v168, v167
	s_waitcnt_depctr 0xfff
	v_fma_f32 v129, -v167, v168, 1.0
	v_fmac_f32_e32 v168, v129, v168
	v_cndmask_b32_e64 v129, v130, v165, s4
	v_cmp_eq_u32_e64 s4, 6, v149
	s_delay_alu instid0(VALU_DEP_3) | instskip(NEXT) | instid1(VALU_DEP_3)
	v_mul_f32_e32 v165, v150, v168
	v_cndmask_b32_e64 v130, v129, v164, s5
	v_lshlrev_b32_e32 v129, 2, v146
	s_delay_alu instid0(VALU_DEP_3) | instskip(NEXT) | instid1(VALU_DEP_3)
	v_fma_f32 v131, -v167, v165, v150
	v_cndmask_b32_e64 v162, v130, v162, s6
	s_delay_alu instid0(VALU_DEP_3)
	v_or_b32_e32 v130, 1, v129
	v_or_b32_e32 v132, 2, v129
	v_cmp_eq_u32_e64 s5, 1, v129
	v_fmac_f32_e32 v165, v131, v168
	v_cndmask_b32_e64 v149, v162, v160, s7
	v_or_b32_e32 v131, 3, v129
	v_cmp_eq_u32_e64 s10, 1, v130
	v_cmp_eq_u32_e64 s11, 1, v132
	v_fma_f32 v150, -v167, v165, v150
	v_cndmask_b32_e64 v149, v149, v161, s4
	v_cmp_eq_u32_e64 s12, 1, v131
	v_cmp_eq_u32_e64 s6, 2, v129
	;; [unrolled: 1-line block ×3, first 2 shown]
	v_div_fmas_f32 v150, v150, v168, v165
	v_cndmask_b32_e64 v149, v149, v163, s8
	v_cmp_eq_u32_e64 s16, 2, v132
	v_cmp_eq_u32_e64 s17, 2, v131
	v_cmp_eq_u32_e32 vcc_lo, 3, v129
	v_div_fixup_f32 v150, v150, v134, 1.0
	v_lshl_or_b32 v134, v146, 4, v135
	v_cmp_eq_u32_e64 s15, 3, v130
	v_cmp_eq_u32_e64 s19, 3, v131
	v_cmp_eq_u32_e64 s4, 4, v129
	v_mul_f32_e32 v149, v149, v150
	v_cmp_eq_u32_e64 s18, 3, v132
	v_cmp_eq_u32_e64 s20, 4, v130
	;; [unrolled: 1-line block ×4, first 2 shown]
	v_fma_mixlo_f16 v160, v149, v152, 0
	v_fma_mixlo_f16 v161, v149, v154, 0
	;; [unrolled: 1-line block ×8, first 2 shown]
	v_fma_mixhi_f16 v160, v149, v151, 0
	v_fma_mixhi_f16 v161, v149, v153, 0
	;; [unrolled: 1-line block ×8, first 2 shown]
	ds_store_b128 v134, v[160:163]
	ds_store_b128 v134, v[154:157] offset:1024
	s_waitcnt lgkmcnt(0)
	s_barrier
	buffer_gl0_inv
	ds_load_b128 v[138:141], v135
	ds_load_b128 v[149:152], v135 offset:16
	ds_load_b128 v[153:156], v135 offset:1024
	;; [unrolled: 1-line block ×3, first 2 shown]
	v_cmp_eq_u32_e64 s21, 5, v130
	v_cmp_eq_u32_e64 s22, 4, v132
	;; [unrolled: 1-line block ×12, first 2 shown]
	s_waitcnt lgkmcnt(3)
	v_lshrrev_b32_e32 v142, 16, v138
	s_waitcnt lgkmcnt(2)
	v_lshrrev_b32_e32 v162, 16, v149
	;; [unrolled: 2-line block ×4, first 2 shown]
	v_lshrrev_b32_e32 v143, 16, v139
	v_cndmask_b32_e64 v174, v138, v142, s5
	v_cndmask_b32_e64 v175, v149, v162, s5
	;; [unrolled: 1-line block ×7, first 2 shown]
	v_lshrrev_b32_e32 v163, 16, v150
	v_cndmask_b32_e64 v179, v149, v162, s11
	v_cndmask_b32_e64 v149, v153, v166, s5
	;; [unrolled: 1-line block ×16, first 2 shown]
	v_lshrrev_b32_e32 v167, 16, v154
	v_lshrrev_b32_e32 v171, 16, v158
	v_cndmask_b32_e64 v177, v179, v150, s16
	v_cndmask_b32_e64 v142, v149, v154, s6
	v_cndmask_b32_e64 v149, v162, v158, s6
	v_cndmask_b32_e64 v150, v180, v154, s13
	v_cndmask_b32_e64 v162, v182, v154, s16
	v_cndmask_b32_e64 v153, v153, v154, s17
	v_cndmask_b32_e64 v154, v157, v158, s17
	v_cndmask_b32_e32 v157, v166, v143, vcc_lo
	v_cndmask_b32_e32 v166, v170, v163, vcc_lo
	v_cndmask_b32_e64 v170, v174, v143, s15
	v_cndmask_b32_e64 v174, v175, v163, s15
	;; [unrolled: 1-line block ×4, first 2 shown]
	v_lshrrev_b32_e32 v144, 16, v140
	v_lshrrev_b32_e32 v164, 16, v151
	v_cndmask_b32_e64 v175, v176, v143, s18
	v_cndmask_b32_e64 v176, v177, v163, s18
	v_cndmask_b32_e32 v142, v142, v167, vcc_lo
	v_cndmask_b32_e32 v143, v149, v171, vcc_lo
	v_cndmask_b32_e64 v149, v150, v167, s15
	v_cndmask_b32_e64 v150, v157, v140, s4
	v_cndmask_b32_e64 v157, v166, v151, s4
	v_cndmask_b32_e64 v163, v170, v140, s20
	v_cndmask_b32_e64 v166, v174, v151, s20
	v_cndmask_b32_e64 v138, v138, v140, s23
	v_cndmask_b32_e64 v139, v139, v151, s23
	v_lshrrev_b32_e32 v168, 16, v155
	v_cndmask_b32_e64 v170, v175, v140, s22
	v_cndmask_b32_e64 v174, v176, v151, s22
	;; [unrolled: 1-line block ×11, first 2 shown]
	v_lshrrev_b32_e32 v161, 16, v141
	v_lshrrev_b32_e32 v165, 16, v152
	v_cndmask_b32_e64 v163, v170, v144, s24
	v_cndmask_b32_e64 v166, v174, v164, s24
	;; [unrolled: 1-line block ×9, first 2 shown]
	v_lshrrev_b32_e32 v169, 16, v156
	v_cndmask_b32_e64 v140, v140, v168, s7
	v_cndmask_b32_e64 v157, v163, v141, s27
	;; [unrolled: 1-line block ×14, first 2 shown]
	v_perm_b32 v141, v139, v138, 0x5040100
	v_perm_b32 v139, v151, v149, 0x5040100
	v_cndmask_b32_e64 v138, v183, v158, s16
	v_cndmask_b32_e64 v149, v181, v158, s13
	;; [unrolled: 1-line block ×3, first 2 shown]
	v_perm_b32 v140, v152, v150, 0x5040100
	v_cndmask_b32_e64 v150, v162, v167, s18
	v_cndmask_b32_e64 v151, v153, v167, s19
	;; [unrolled: 1-line block ×5, first 2 shown]
	v_lshrrev_b32_e32 v172, 16, v159
	v_cndmask_b32_e64 v150, v150, v155, s22
	v_cndmask_b32_e64 v151, v151, v155, s23
	;; [unrolled: 1-line block ×11, first 2 shown]
	v_lshrrev_b32_e32 v173, 16, v160
	v_cndmask_b32_e64 v142, v142, v160, s8
	v_cndmask_b32_e64 v150, v150, v156, s27
	;; [unrolled: 1-line block ×12, first 2 shown]
	v_perm_b32 v138, v144, v143, 0x5040100
	v_perm_b32 v152, v152, v151, 0x5040100
	;; [unrolled: 1-line block ×5, first 2 shown]
	s_mul_i32 s8, s35, 7
	s_mov_b32 s4, exec_lo
	ds_store_b128 v134, v[138:141]
	ds_store_b128 v134, v[149:152] offset:1024
	v_cmpx_gt_u32_e32 7, v0
	s_cbranch_execz .LBB100_14
; %bb.13:
	s_mul_i32 s5, s8, s34
	s_load_b128 s[16:19], s[0:1], 0x58
	v_add3_u32 v140, s5, s33, v148
	s_delay_alu instid0(VALU_DEP_1) | instskip(NEXT) | instid1(VALU_DEP_1)
	v_mad_u64_u32 v[138:139], null, v140, s36, s[14:15]
	v_ashrrev_i32_e32 v139, 31, v138
	s_delay_alu instid0(VALU_DEP_1) | instskip(SKIP_1) | instid1(VALU_DEP_1)
	v_lshlrev_b64 v[138:139], 2, v[138:139]
	s_waitcnt lgkmcnt(0)
	v_add_co_u32 v140, vcc_lo, s18, v138
	s_delay_alu instid0(VALU_DEP_2)
	v_add_co_ci_u32_e32 v141, vcc_lo, s19, v139, vcc_lo
	v_add_co_u32 v138, vcc_lo, s16, v138
	v_add_co_ci_u32_e32 v139, vcc_lo, s17, v139, vcc_lo
	global_store_b32 v[140:141], v136, off
	global_store_b32 v[138:139], v137, off
.LBB100_14:
	s_or_b32 exec_lo, exec_lo, s4
	s_waitcnt lgkmcnt(0)
	s_waitcnt_vscnt null, 0x0
	s_barrier
	buffer_gl0_inv
	ds_load_b128 v[148:151], v133
	ds_load_b128 v[152:155], v133 offset:16
	ds_load_b128 v[160:163], v133 offset:1040
	;; [unrolled: 1-line block ×5, first 2 shown]
	v_cmp_eq_u32_e32 vcc_lo, 1, v132
	v_mov_b32_e32 v136, 0
	ds_load_b128 v[176:179], v133 offset:3088
	ds_load_b128 v[172:175], v133 offset:3072
	;; [unrolled: 1-line block ×4, first 2 shown]
	v_cmp_eq_u32_e64 s4, 1, v129
	v_cmp_eq_u32_e64 s5, 1, v131
	;; [unrolled: 1-line block ×3, first 2 shown]
	v_mov_b32_e32 v137, v136
	v_mov_b32_e32 v138, v136
	;; [unrolled: 1-line block ×7, first 2 shown]
	v_cmp_eq_u32_e64 s7, 2, v129
	s_waitcnt lgkmcnt(8)
	s_delay_alu instid0(VALU_DEP_2)
	v_wmma_f32_16x16x16_f16 v[136:143], v[121:128], v[148:155], v[136:143]
	ds_load_b128 v[125:128], v133 offset:5136
	ds_load_b128 v[121:124], v133 offset:5120
	s_waitcnt lgkmcnt(8)
	v_wmma_f32_16x16x16_f16 v[136:143], v[113:120], v[156:163], v[136:143]
	ds_load_b128 v[117:120], v133 offset:6160
	ds_load_b128 v[113:116], v133 offset:6144
	s_waitcnt lgkmcnt(8)
	;; [unrolled: 4-line block ×11, first 2 shown]
	s_barrier
	buffer_gl0_inv
	v_wmma_f32_16x16x16_f16 v[136:143], v[1:8], v[73:80], v[136:143]
	s_delay_alu instid0(VALU_DEP_1) | instskip(NEXT) | instid1(VALU_DEP_1)
	v_wmma_f32_16x16x16_f16 v[136:143], v[9:16], v[65:72], v[136:143]
	v_wmma_f32_16x16x16_f16 v[136:143], v[33:40], v[57:64], v[136:143]
	s_delay_alu instid0(VALU_DEP_1) | instskip(NEXT) | instid1(VALU_DEP_1)
	v_wmma_f32_16x16x16_f16 v[136:143], v[41:48], v[49:56], v[136:143]
	v_wmma_f32_16x16x16_f16 v[136:143], v[17:24], v[25:32], v[136:143]
	s_delay_alu instid0(VALU_DEP_1) | instskip(NEXT) | instid1(VALU_DEP_2)
	v_cvt_f16_f32_e64 v1, v136
	v_cvt_f16_f32_e64 v2, v137
	s_delay_alu instid0(VALU_DEP_3) | instskip(NEXT) | instid1(VALU_DEP_4)
	v_cvt_f16_f32_e64 v3, v138
	v_cvt_f16_f32_e64 v4, v139
	;; [unrolled: 1-line block ×6, first 2 shown]
	v_pack_b32_f16 v1, v1, v2
	v_pack_b32_f16 v2, v3, v4
	;; [unrolled: 1-line block ×3, first 2 shown]
	s_delay_alu instid0(VALU_DEP_4)
	v_pack_b32_f16 v4, v7, v8
	ds_store_b128 v134, v[1:4]
	s_waitcnt lgkmcnt(0)
	s_barrier
	buffer_gl0_inv
	ds_load_b128 v[1:4], v135
	ds_load_b128 v[5:8], v135 offset:16
	s_waitcnt lgkmcnt(1)
	v_lshrrev_b32_e32 v9, 16, v1
	s_waitcnt lgkmcnt(0)
	v_lshrrev_b32_e32 v13, 16, v5
	v_lshrrev_b32_e32 v10, 16, v2
	;; [unrolled: 1-line block ×4, first 2 shown]
	v_cndmask_b32_e64 v17, v1, v9, s4
	v_cndmask_b32_e64 v18, v5, v13, s4
	;; [unrolled: 1-line block ×3, first 2 shown]
	v_cmp_eq_u32_e64 s4, 2, v130
	v_cndmask_b32_e64 v20, v5, v13, s6
	v_cndmask_b32_e32 v21, v1, v9, vcc_lo
	v_cndmask_b32_e32 v22, v5, v13, vcc_lo
	v_cndmask_b32_e64 v1, v1, v9, s5
	v_cndmask_b32_e64 v5, v5, v13, s5
	v_cmp_eq_u32_e32 vcc_lo, 2, v132
	v_cmp_eq_u32_e64 s5, 2, v131
	v_cndmask_b32_e64 v9, v17, v2, s7
	v_cndmask_b32_e64 v13, v18, v6, s7
	;; [unrolled: 1-line block ×4, first 2 shown]
	v_cndmask_b32_e32 v19, v21, v2, vcc_lo
	v_cmp_eq_u32_e64 s4, 3, v132
	v_cndmask_b32_e32 v20, v22, v6, vcc_lo
	v_cndmask_b32_e64 v1, v1, v2, s5
	v_cmp_eq_u32_e32 vcc_lo, 3, v131
	v_cmp_eq_u32_e64 s6, 3, v129
	v_cndmask_b32_e64 v2, v5, v6, s5
	v_cmp_eq_u32_e64 s5, 3, v130
	v_cmp_eq_u32_e64 s7, 4, v129
	v_cndmask_b32_e32 v1, v1, v10, vcc_lo
	v_cndmask_b32_e64 v5, v9, v10, s6
	v_cndmask_b32_e64 v6, v13, v14, s6
	;; [unrolled: 1-line block ×3, first 2 shown]
	v_cmp_eq_u32_e64 s6, 4, v130
	v_cndmask_b32_e64 v13, v18, v14, s5
	v_cndmask_b32_e64 v17, v19, v10, s4
	;; [unrolled: 1-line block ×3, first 2 shown]
	v_cndmask_b32_e32 v2, v2, v14, vcc_lo
	v_cmp_eq_u32_e32 vcc_lo, 4, v132
	v_cmp_eq_u32_e64 s5, 4, v131
	v_lshrrev_b32_e32 v15, 16, v7
	v_cndmask_b32_e64 v5, v5, v3, s7
	v_cndmask_b32_e64 v6, v6, v7, s7
	v_cndmask_b32_e32 v14, v18, v7, vcc_lo
	v_cndmask_b32_e64 v9, v9, v3, s6
	v_cndmask_b32_e64 v10, v13, v7, s6
	v_cndmask_b32_e32 v13, v17, v3, vcc_lo
	v_cmp_eq_u32_e64 s4, 5, v132
	v_cndmask_b32_e64 v1, v1, v3, s5
	v_cmp_eq_u32_e32 vcc_lo, 5, v131
	v_cmp_eq_u32_e64 s6, 5, v129
	v_cndmask_b32_e64 v2, v2, v7, s5
	v_cmp_eq_u32_e64 s5, 5, v130
	v_cmp_eq_u32_e64 s7, 6, v129
	v_lshrrev_b32_e32 v12, 16, v4
	v_cndmask_b32_e64 v3, v5, v11, s6
	v_cndmask_b32_e64 v5, v6, v15, s6
	;; [unrolled: 1-line block ×3, first 2 shown]
	v_cmp_eq_u32_e64 s6, 6, v130
	v_cndmask_b32_e64 v7, v10, v15, s5
	v_cndmask_b32_e64 v9, v13, v11, s4
	;; [unrolled: 1-line block ×3, first 2 shown]
	v_cndmask_b32_e32 v1, v1, v11, vcc_lo
	v_cndmask_b32_e32 v2, v2, v15, vcc_lo
	v_cmp_eq_u32_e32 vcc_lo, 6, v132
	v_cmp_eq_u32_e64 s4, 6, v131
	v_lshrrev_b32_e32 v16, 16, v8
	v_cndmask_b32_e64 v3, v3, v4, s7
	v_cndmask_b32_e64 v5, v5, v8, s7
	v_cndmask_b32_e32 v9, v9, v4, vcc_lo
	v_cndmask_b32_e64 v6, v6, v4, s6
	v_cndmask_b32_e64 v7, v7, v8, s6
	v_cmp_eq_u32_e64 s5, 7, v132
	v_cndmask_b32_e32 v10, v10, v8, vcc_lo
	v_cndmask_b32_e64 v1, v1, v4, s4
	v_cmp_eq_u32_e32 vcc_lo, 7, v131
	v_cndmask_b32_e64 v2, v2, v8, s4
	v_cmp_eq_u32_e64 s4, 7, v129
	v_cmp_eq_u32_e64 s6, 7, v130
	v_cndmask_b32_e32 v1, v1, v12, vcc_lo
	s_delay_alu instid0(VALU_DEP_4) | instskip(NEXT) | instid1(VALU_DEP_4)
	v_cndmask_b32_e32 v2, v2, v16, vcc_lo
	v_cndmask_b32_e64 v8, v3, v12, s4
	s_delay_alu instid0(VALU_DEP_4)
	v_cndmask_b32_e64 v6, v6, v12, s6
	v_cndmask_b32_e64 v3, v9, v12, s5
	;; [unrolled: 1-line block ×5, first 2 shown]
	v_cmp_gt_u32_e32 vcc_lo, 32, v0
	v_perm_b32 v4, v2, v1, 0x5040100
	v_perm_b32 v3, v9, v3, 0x5040100
	;; [unrolled: 1-line block ×4, first 2 shown]
	s_and_b32 s2, vcc_lo, s2
	ds_store_b128 v134, v[1:4]
	s_waitcnt lgkmcnt(0)
	s_barrier
	buffer_gl0_inv
	s_and_saveexec_b32 s4, s2
	s_cbranch_execz .LBB100_2
; %bb.15:
	s_load_b64 s[4:5], s[0:1], 0x68
	v_lshlrev_b32_e32 v0, 10, v0
	v_add_nc_u32_e32 v2, s33, v146
	v_lshlrev_b32_e32 v3, 4, v147
	s_lshl_b32 s0, s36, 6
	s_delay_alu instid0(SALU_CYCLE_1) | instskip(NEXT) | instid1(VALU_DEP_2)
	s_mul_i32 s1, s0, s34
	v_mul_lo_u32 v1, v2, s0
	s_delay_alu instid0(VALU_DEP_2)
	v_and_or_b32 v0, 0x3800, v0, v3
	v_add_nc_u32_e32 v3, 2, v2
	s_mul_i32 s6, s1, s8
	v_add_nc_u32_e32 v4, 4, v2
	s_ashr_i32 s7, s6, 31
	v_lshl_or_b32 v11, v146, 6, v0
	s_lshl_b64 s[6:7], s[6:7], 1
	v_mul_lo_u32 v15, v3, s0
	v_mul_lo_u32 v17, v4, s0
	v_ashrrev_i32_e32 v2, 31, v1
	ds_load_b128 v[3:6], v11
	ds_load_b128 v[7:10], v11 offset:128
	ds_load_b128 v[11:14], v11 offset:256
	s_waitcnt lgkmcnt(0)
	s_add_u32 s1, s4, s6
	s_addc_u32 s2, s5, s7
	s_lshl_b32 s4, s14, 6
	v_ashrrev_i32_e32 v16, 31, v15
	s_ashr_i32 s5, s4, 31
	v_lshlrev_b64 v[19:20], 1, v[1:2]
	s_lshl_b64 s[4:5], s[4:5], 1
	v_ashrrev_i32_e32 v18, 31, v17
	s_add_u32 s1, s1, s4
	s_addc_u32 s2, s2, s5
	v_add_co_u32 v1, s1, s1, v145
	s_delay_alu instid0(VALU_DEP_1) | instskip(SKIP_1) | instid1(VALU_DEP_3)
	v_add_co_ci_u32_e64 v2, null, s2, 0, s1
	v_lshlrev_b64 v[15:16], 1, v[15:16]
	v_add_co_u32 v19, vcc_lo, v1, v19
	v_lshlrev_b64 v[17:18], 1, v[17:18]
	s_delay_alu instid0(VALU_DEP_4) | instskip(NEXT) | instid1(VALU_DEP_4)
	v_add_co_ci_u32_e32 v20, vcc_lo, v2, v20, vcc_lo
	v_add_co_u32 v15, vcc_lo, v1, v15
	v_add_co_ci_u32_e32 v16, vcc_lo, v2, v16, vcc_lo
	s_delay_alu instid0(VALU_DEP_4)
	v_add_co_u32 v17, vcc_lo, v1, v17
	v_add_co_ci_u32_e32 v18, vcc_lo, v2, v18, vcc_lo
	s_clause 0x2
	global_store_b128 v[19:20], v[3:6], off
	global_store_b128 v[15:16], v[7:10], off
	;; [unrolled: 1-line block ×3, first 2 shown]
	s_and_b32 exec_lo, exec_lo, s3
	s_cbranch_execz .LBB100_2
; %bb.16:
	ds_load_b128 v[3:6], v0 offset:384
	s_add_i32 s1, s33, 6
	s_delay_alu instid0(SALU_CYCLE_1) | instskip(NEXT) | instid1(SALU_CYCLE_1)
	s_mul_i32 s0, s1, s0
	s_ashr_i32 s1, s0, 31
	s_delay_alu instid0(SALU_CYCLE_1) | instskip(NEXT) | instid1(SALU_CYCLE_1)
	s_lshl_b64 s[0:1], s[0:1], 1
	v_add_co_u32 v0, vcc_lo, v1, s0
	v_add_co_ci_u32_e32 v1, vcc_lo, s1, v2, vcc_lo
	s_waitcnt lgkmcnt(0)
	global_store_b128 v[0:1], v[3:6], off
	s_nop 0
	s_sendmsg sendmsg(MSG_DEALLOC_VGPRS)
	s_endpgm
	.section	.rodata,"a",@progbits
	.p2align	6, 0x0
	.amdhsa_kernel _Z39paged_attention_ll4mi_QKV_mfma16_kernelIDF16_DF16_LN4vllm18Fp8KVCacheDataTypeE0EDF16_Li16ELi64ELi256ELb0ELi7EL8MFMAType0EEvPKT_PKT0_S8_ifPKiSA_SA_iPKfiiiPfSD_PS3_PT2_iSC_SC_
		.amdhsa_group_segment_fixed_size 17472
		.amdhsa_private_segment_fixed_size 0
		.amdhsa_kernarg_size 400
		.amdhsa_user_sgpr_count 13
		.amdhsa_user_sgpr_dispatch_ptr 0
		.amdhsa_user_sgpr_queue_ptr 0
		.amdhsa_user_sgpr_kernarg_segment_ptr 1
		.amdhsa_user_sgpr_dispatch_id 0
		.amdhsa_user_sgpr_private_segment_size 0
		.amdhsa_wavefront_size32 1
		.amdhsa_uses_dynamic_stack 0
		.amdhsa_enable_private_segment 0
		.amdhsa_system_sgpr_workgroup_id_x 1
		.amdhsa_system_sgpr_workgroup_id_y 1
		.amdhsa_system_sgpr_workgroup_id_z 1
		.amdhsa_system_sgpr_workgroup_info 0
		.amdhsa_system_vgpr_workitem_id 0
		.amdhsa_next_free_vgpr 198
		.amdhsa_next_free_sgpr 52
		.amdhsa_reserve_vcc 1
		.amdhsa_float_round_mode_32 0
		.amdhsa_float_round_mode_16_64 0
		.amdhsa_float_denorm_mode_32 3
		.amdhsa_float_denorm_mode_16_64 3
		.amdhsa_dx10_clamp 1
		.amdhsa_ieee_mode 1
		.amdhsa_fp16_overflow 0
		.amdhsa_workgroup_processor_mode 1
		.amdhsa_memory_ordered 1
		.amdhsa_forward_progress 0
		.amdhsa_shared_vgpr_count 0
		.amdhsa_exception_fp_ieee_invalid_op 0
		.amdhsa_exception_fp_denorm_src 0
		.amdhsa_exception_fp_ieee_div_zero 0
		.amdhsa_exception_fp_ieee_overflow 0
		.amdhsa_exception_fp_ieee_underflow 0
		.amdhsa_exception_fp_ieee_inexact 0
		.amdhsa_exception_int_div_zero 0
	.end_amdhsa_kernel
	.section	.text._Z39paged_attention_ll4mi_QKV_mfma16_kernelIDF16_DF16_LN4vllm18Fp8KVCacheDataTypeE0EDF16_Li16ELi64ELi256ELb0ELi7EL8MFMAType0EEvPKT_PKT0_S8_ifPKiSA_SA_iPKfiiiPfSD_PS3_PT2_iSC_SC_,"axG",@progbits,_Z39paged_attention_ll4mi_QKV_mfma16_kernelIDF16_DF16_LN4vllm18Fp8KVCacheDataTypeE0EDF16_Li16ELi64ELi256ELb0ELi7EL8MFMAType0EEvPKT_PKT0_S8_ifPKiSA_SA_iPKfiiiPfSD_PS3_PT2_iSC_SC_,comdat
.Lfunc_end100:
	.size	_Z39paged_attention_ll4mi_QKV_mfma16_kernelIDF16_DF16_LN4vllm18Fp8KVCacheDataTypeE0EDF16_Li16ELi64ELi256ELb0ELi7EL8MFMAType0EEvPKT_PKT0_S8_ifPKiSA_SA_iPKfiiiPfSD_PS3_PT2_iSC_SC_, .Lfunc_end100-_Z39paged_attention_ll4mi_QKV_mfma16_kernelIDF16_DF16_LN4vllm18Fp8KVCacheDataTypeE0EDF16_Li16ELi64ELi256ELb0ELi7EL8MFMAType0EEvPKT_PKT0_S8_ifPKiSA_SA_iPKfiiiPfSD_PS3_PT2_iSC_SC_
                                        ; -- End function
	.section	.AMDGPU.csdata,"",@progbits
; Kernel info:
; codeLenInByte = 7880
; NumSgprs: 54
; NumVgprs: 198
; ScratchSize: 0
; MemoryBound: 0
; FloatMode: 240
; IeeeMode: 1
; LDSByteSize: 17472 bytes/workgroup (compile time only)
; SGPRBlocks: 6
; VGPRBlocks: 24
; NumSGPRsForWavesPerEU: 54
; NumVGPRsForWavesPerEU: 198
; Occupancy: 7
; WaveLimiterHint : 1
; COMPUTE_PGM_RSRC2:SCRATCH_EN: 0
; COMPUTE_PGM_RSRC2:USER_SGPR: 13
; COMPUTE_PGM_RSRC2:TRAP_HANDLER: 0
; COMPUTE_PGM_RSRC2:TGID_X_EN: 1
; COMPUTE_PGM_RSRC2:TGID_Y_EN: 1
; COMPUTE_PGM_RSRC2:TGID_Z_EN: 1
; COMPUTE_PGM_RSRC2:TIDIG_COMP_CNT: 0
	.section	.text._Z39paged_attention_ll4mi_QKV_mfma16_kernelIDF16_DF16_LN4vllm18Fp8KVCacheDataTypeE0EDF16_Li16ELi64ELi256ELb0ELi8EL8MFMAType0EEvPKT_PKT0_S8_ifPKiSA_SA_iPKfiiiPfSD_PS3_PT2_iSC_SC_,"axG",@progbits,_Z39paged_attention_ll4mi_QKV_mfma16_kernelIDF16_DF16_LN4vllm18Fp8KVCacheDataTypeE0EDF16_Li16ELi64ELi256ELb0ELi8EL8MFMAType0EEvPKT_PKT0_S8_ifPKiSA_SA_iPKfiiiPfSD_PS3_PT2_iSC_SC_,comdat
	.protected	_Z39paged_attention_ll4mi_QKV_mfma16_kernelIDF16_DF16_LN4vllm18Fp8KVCacheDataTypeE0EDF16_Li16ELi64ELi256ELb0ELi8EL8MFMAType0EEvPKT_PKT0_S8_ifPKiSA_SA_iPKfiiiPfSD_PS3_PT2_iSC_SC_ ; -- Begin function _Z39paged_attention_ll4mi_QKV_mfma16_kernelIDF16_DF16_LN4vllm18Fp8KVCacheDataTypeE0EDF16_Li16ELi64ELi256ELb0ELi8EL8MFMAType0EEvPKT_PKT0_S8_ifPKiSA_SA_iPKfiiiPfSD_PS3_PT2_iSC_SC_
	.globl	_Z39paged_attention_ll4mi_QKV_mfma16_kernelIDF16_DF16_LN4vllm18Fp8KVCacheDataTypeE0EDF16_Li16ELi64ELi256ELb0ELi8EL8MFMAType0EEvPKT_PKT0_S8_ifPKiSA_SA_iPKfiiiPfSD_PS3_PT2_iSC_SC_
	.p2align	8
	.type	_Z39paged_attention_ll4mi_QKV_mfma16_kernelIDF16_DF16_LN4vllm18Fp8KVCacheDataTypeE0EDF16_Li16ELi64ELi256ELb0ELi8EL8MFMAType0EEvPKT_PKT0_S8_ifPKiSA_SA_iPKfiiiPfSD_PS3_PT2_iSC_SC_,@function
_Z39paged_attention_ll4mi_QKV_mfma16_kernelIDF16_DF16_LN4vllm18Fp8KVCacheDataTypeE0EDF16_Li16ELi64ELi256ELb0ELi8EL8MFMAType0EEvPKT_PKT0_S8_ifPKiSA_SA_iPKfiiiPfSD_PS3_PT2_iSC_SC_: ; @_Z39paged_attention_ll4mi_QKV_mfma16_kernelIDF16_DF16_LN4vllm18Fp8KVCacheDataTypeE0EDF16_Li16ELi64ELi256ELb0ELi8EL8MFMAType0EEvPKT_PKT0_S8_ifPKiSA_SA_iPKfiiiPfSD_PS3_PT2_iSC_SC_
; %bb.0:
	s_load_b64 s[2:3], s[0:1], 0x30
	s_mov_b32 s34, s13
	s_waitcnt lgkmcnt(0)
	s_cmp_lg_u64 s[2:3], 0
	s_cselect_b32 s6, -1, 0
	s_ashr_i32 s35, s13, 31
	s_cmp_eq_u64 s[2:3], 0
	s_cbranch_scc1 .LBB101_3
; %bb.1:
	s_lshl_b64 s[4:5], s[34:35], 2
	s_delay_alu instid0(SALU_CYCLE_1) | instskip(SKIP_4) | instid1(SALU_CYCLE_1)
	s_add_u32 s4, s2, s4
	s_addc_u32 s5, s3, s5
	s_load_b64 s[4:5], s[4:5], 0x0
	s_waitcnt lgkmcnt(0)
	s_sub_i32 s4, s5, s4
	s_cmp_eq_u32 s4, 1
	s_cselect_b32 s4, -1, 0
	s_delay_alu instid0(SALU_CYCLE_1)
	s_and_not1_b32 vcc_lo, exec_lo, s4
	s_cbranch_vccz .LBB101_4
.LBB101_2:
	s_endpgm
.LBB101_3:
.LBB101_4:
	s_load_b64 s[8:9], s[0:1], 0x28
	s_lshl_b64 s[4:5], s[34:35], 2
	s_waitcnt lgkmcnt(0)
	s_add_u32 s8, s8, s4
	s_addc_u32 s9, s9, s5
	s_lshl_b32 s35, s14, 8
	s_load_b32 s30, s[8:9], 0x0
	s_waitcnt lgkmcnt(0)
	s_cmp_ge_i32 s35, s30
	s_cbranch_scc1 .LBB101_2
; %bb.5:
	s_clause 0x1
	s_load_b128 s[8:11], s[0:1], 0x8
	s_load_b64 s[12:13], s[0:1], 0x20
	s_and_not1_b32 vcc_lo, exec_lo, s6
	s_cbranch_vccnz .LBB101_7
; %bb.6:
	s_add_u32 s2, s2, s4
	s_addc_u32 s3, s3, s5
	s_load_b32 s3, s[2:3], 0x0
	s_branch .LBB101_8
.LBB101_7:
	s_mov_b32 s3, s34
.LBB101_8:
	s_load_b128 s[4:7], s[0:1], 0x48
	v_and_b32_e32 v149, 15, v0
	v_cmp_gt_u32_e32 vcc_lo, 0x80, v0
	v_lshrrev_b32_e32 v148, 5, v0
	v_and_b32_e32 v150, 31, v0
	v_and_b32_e32 v146, 1, v0
	v_lshlrev_b32_e32 v1, 3, v149
	v_cmp_gt_u32_e64 s2, 8, v149
	v_bfe_u32 v147, v0, 4, 1
	s_lshl_b32 s31, s15, 3
	s_delay_alu instid0(VALU_DEP_3) | instskip(NEXT) | instid1(VALU_DEP_3)
	v_lshlrev_b32_e32 v145, 1, v1
	s_and_b32 s16, vcc_lo, s2
	s_waitcnt lgkmcnt(0)
	s_and_saveexec_b32 s7, s16
	s_cbranch_execz .LBB101_10
; %bb.9:
	v_lshl_or_b32 v5, v148, 1, v147
	s_load_b64 s[16:17], s[0:1], 0x0
	s_mul_hi_i32 s19, s3, s4
	s_mul_i32 s18, s3, s4
	v_lshlrev_b32_e32 v6, 10, v149
	v_or_b32_e32 v1, s31, v5
	s_lshl_b64 s[18:19], s[18:19], 1
	v_lshlrev_b32_e32 v5, 6, v5
	v_lshlrev_b32_e32 v7, 10, v146
	v_and_b32_e32 v6, 0x3800, v6
	v_lshlrev_b32_e32 v1, 6, v1
	s_delay_alu instid0(VALU_DEP_2) | instskip(NEXT) | instid1(VALU_DEP_2)
	v_or3_b32 v5, v6, v7, v5
	v_ashrrev_i32_e32 v2, 31, v1
	s_delay_alu instid0(VALU_DEP_1) | instskip(SKIP_3) | instid1(VALU_DEP_1)
	v_lshlrev_b64 v[1:2], 1, v[1:2]
	s_waitcnt lgkmcnt(0)
	s_add_u32 s3, s16, s18
	s_addc_u32 s4, s17, s19
	v_add_co_u32 v1, vcc_lo, s3, v1
	s_delay_alu instid0(VALU_DEP_2) | instskip(NEXT) | instid1(VALU_DEP_2)
	v_add_co_ci_u32_e32 v2, vcc_lo, s4, v2, vcc_lo
	v_add_co_u32 v1, vcc_lo, v1, v145
	s_delay_alu instid0(VALU_DEP_2)
	v_add_co_ci_u32_e32 v2, vcc_lo, 0, v2, vcc_lo
	global_load_b128 v[1:4], v[1:2], off
	s_waitcnt vmcnt(0)
	ds_store_b128 v5, v[1:4]
.LBB101_10:
	s_or_b32 exec_lo, exec_lo, s7
	s_mov_b32 s40, 0
	s_add_i32 s3, s30, 15
	s_mov_b32 s41, s40
	s_mov_b32 s42, s40
	;; [unrolled: 1-line block ×7, first 2 shown]
	s_delay_alu instid0(SALU_CYCLE_1)
	v_dual_mov_b32 v136, s47 :: v_dual_and_b32 v1, 0xef, v0
	v_mov_b32_e32 v134, s45
	s_clause 0x1
	s_load_b32 s4, s[0:1], 0x38
	s_load_b32 s33, s[0:1], 0x98
	v_add_nc_u32_e32 v1, s35, v1
	s_ashr_i32 s7, s3, 31
	s_load_b32 s36, s[0:1], 0x1c
	s_lshr_b32 s7, s7, 28
	s_waitcnt lgkmcnt(0)
	v_ashrrev_i32_e32 v2, 31, v1
	s_add_i32 s3, s3, s7
	v_cmp_gt_i32_e32 vcc_lo, s30, v1
	v_mov_b32_e32 v135, s46
	s_ashr_i32 s3, s3, 4
	v_lshrrev_b32_e32 v3, 28, v2
	v_or_b32_e32 v2, 16, v1
	s_add_i32 s3, s3, -1
	v_mov_b32_e32 v132, s43
	s_barrier
	v_add_nc_u32_e32 v4, v1, v3
	v_add_nc_u32_e32 v3, v2, v3
	buffer_gl0_inv
	s_mul_i32 s16, s34, s4
	s_mul_i32 s6, s15, s6
	v_ashrrev_i32_e32 v4, 4, v4
	v_ashrrev_i32_e32 v3, 4, v3
	s_ashr_i32 s17, s16, 31
	v_mov_b32_e32 v133, s44
	s_lshl_b64 s[16:17], s[16:17], 2
	v_cndmask_b32_e32 v1, s3, v4, vcc_lo
	v_cmp_gt_i32_e32 vcc_lo, s30, v2
	s_add_u32 s4, s12, s16
	s_addc_u32 s37, s13, s17
	s_ashr_i32 s7, s6, 31
	v_ashrrev_i32_e32 v2, 31, v1
	v_cndmask_b32_e32 v3, s3, v3, vcc_lo
	s_lshl_b64 s[6:7], s[6:7], 1
	v_mov_b32_e32 v131, s42
	s_add_u32 s24, s8, s6
	v_lshlrev_b64 v[1:2], 2, v[1:2]
	v_ashrrev_i32_e32 v4, 31, v3
	s_addc_u32 s25, s9, s7
	s_lshl_b32 s8, s14, 4
	v_mov_b32_e32 v129, s40
	s_ashr_i32 s9, s8, 31
	v_lshlrev_b64 v[3:4], 2, v[3:4]
	v_add_co_u32 v1, vcc_lo, s4, v1
	v_add_co_ci_u32_e32 v2, vcc_lo, s37, v2, vcc_lo
	s_lshl_b64 s[8:9], s[8:9], 2
	s_delay_alu instid0(VALU_DEP_3) | instskip(NEXT) | instid1(VALU_DEP_4)
	v_add_co_u32 v3, vcc_lo, s4, v3
	v_add_co_ci_u32_e32 v4, vcc_lo, s37, v4, vcc_lo
	s_clause 0x1
	global_load_b32 v5, v[1:2], off
	global_load_b32 v6, v[3:4], off
	s_add_u32 s8, s4, s8
	s_addc_u32 s9, s37, s9
	s_or_b32 s12, s35, 16
	v_dual_mov_b32 v130, s41 :: v_dual_lshlrev_b32 v3, 4, v0
	s_ashr_i32 s13, s12, 4
	s_cmp_lt_i32 s12, s30
	s_cselect_b32 s12, s13, s3
	s_delay_alu instid0(SALU_CYCLE_1) | instskip(NEXT) | instid1(SALU_CYCLE_1)
	s_ashr_i32 s13, s12, 31
	s_lshl_b64 s[12:13], s[12:13], 2
	s_delay_alu instid0(SALU_CYCLE_1) | instskip(SKIP_2) | instid1(SALU_CYCLE_1)
	s_add_u32 s12, s4, s12
	s_addc_u32 s13, s37, s13
	s_or_b32 s15, s35, 32
	s_ashr_i32 s16, s15, 4
	s_cmp_lt_i32 s15, s30
	s_cselect_b32 s16, s16, s3
	s_delay_alu instid0(SALU_CYCLE_1) | instskip(NEXT) | instid1(SALU_CYCLE_1)
	s_ashr_i32 s17, s16, 31
	s_lshl_b64 s[16:17], s[16:17], 2
	s_delay_alu instid0(SALU_CYCLE_1) | instskip(SKIP_2) | instid1(SALU_CYCLE_1)
	s_add_u32 s16, s4, s16
	s_addc_u32 s17, s37, s17
	s_or_b32 s15, s35, 48
	;; [unrolled: 10-line block ×4, first 2 shown]
	s_ashr_i32 s22, s15, 4
	s_cmp_lt_i32 s15, s30
	s_cselect_b32 s22, s22, s3
	s_delay_alu instid0(SALU_CYCLE_1) | instskip(NEXT) | instid1(SALU_CYCLE_1)
	s_ashr_i32 s23, s22, 31
	s_lshl_b64 s[22:23], s[22:23], 2
	s_delay_alu instid0(SALU_CYCLE_1)
	s_add_u32 s22, s4, s22
	s_addc_u32 s23, s37, s23
	s_clause 0x5
	s_load_b32 s8, s[8:9], 0x0
	s_load_b32 s12, s[12:13], 0x0
	;; [unrolled: 1-line block ×6, first 2 shown]
	s_waitcnt lgkmcnt(0)
	s_mul_hi_i32 s17, s16, s5
	s_mul_i32 s16, s16, s5
	s_waitcnt vmcnt(1)
	v_mad_i64_i32 v[1:2], null, v5, s5, 0
	v_and_b32_e32 v5, 0xf0, v3
	s_waitcnt vmcnt(0)
	v_mad_i64_i32 v[3:4], null, v6, s5, 0
	s_delay_alu instid0(VALU_DEP_2) | instskip(NEXT) | instid1(VALU_DEP_4)
	v_add_co_u32 v5, s9, s24, v5
	v_lshlrev_b64 v[1:2], 1, v[1:2]
	v_add_co_ci_u32_e64 v6, null, s25, 0, s9
	s_delay_alu instid0(VALU_DEP_4) | instskip(SKIP_1) | instid1(VALU_DEP_3)
	v_lshlrev_b64 v[3:4], 1, v[3:4]
	s_or_b32 s9, s35, 0x60
	v_add_co_u32 v1, vcc_lo, v5, v1
	s_delay_alu instid0(VALU_DEP_3) | instskip(NEXT) | instid1(VALU_DEP_3)
	v_add_co_ci_u32_e32 v2, vcc_lo, v6, v2, vcc_lo
	v_add_co_u32 v3, vcc_lo, v5, v3
	s_delay_alu instid0(VALU_DEP_4)
	v_add_co_ci_u32_e32 v4, vcc_lo, v6, v4, vcc_lo
	s_clause 0x9
	global_load_b128 v[9:12], v[1:2], off
	global_load_b128 v[13:16], v[1:2], off offset:256
	global_load_b128 v[137:140], v[3:4], off
	global_load_b128 v[141:144], v[3:4], off offset:256
	global_load_b128 v[41:44], v[1:2], off offset:512
	;; [unrolled: 1-line block ×7, first 2 shown]
	v_and_b32_e32 v5, 7, v0
	s_clause 0x1
	global_load_b128 v[151:154], v[3:4], off offset:1024
	global_load_b128 v[155:158], v[3:4], off offset:1280
	s_ashr_i32 s13, s9, 4
	s_cmp_lt_i32 s9, s30
	v_lshlrev_b32_e32 v6, 5, v149
	v_lshlrev_b32_e32 v197, 6, v5
	ds_load_b128 v[159:162], v197
	ds_load_b128 v[163:166], v197 offset:1024
	s_clause 0x3
	global_load_b128 v[167:170], v[1:2], off offset:1536
	global_load_b128 v[171:174], v[1:2], off offset:1792
	;; [unrolled: 1-line block ×4, first 2 shown]
	s_cselect_b32 s22, s13, s3
	v_lshl_or_b32 v5, v148, 9, v6
	s_ashr_i32 s23, s22, 31
	s_delay_alu instid0(SALU_CYCLE_1) | instskip(NEXT) | instid1(SALU_CYCLE_1)
	s_lshl_b64 s[22:23], s[22:23], 2
	s_add_u32 s22, s4, s22
	s_addc_u32 s23, s37, s23
	s_or_b32 s9, s35, 0x70
	s_load_b32 s46, s[22:23], 0x0
	s_ashr_i32 s13, s9, 4
	s_cmp_lt_i32 s9, s30
	s_cselect_b32 s24, s13, s3
	s_delay_alu instid0(SALU_CYCLE_1) | instskip(NEXT) | instid1(SALU_CYCLE_1)
	s_ashr_i32 s25, s24, 31
	s_lshl_b64 s[24:25], s[24:25], 2
	s_delay_alu instid0(SALU_CYCLE_1)
	s_add_u32 s24, s4, s24
	s_addc_u32 s25, s37, s25
	s_or_b32 s9, s35, 0x80
	s_load_b32 s47, s[24:25], 0x0
	s_ashr_i32 s13, s9, 4
	s_cmp_lt_i32 s9, s30
	s_cselect_b32 s26, s13, s3
	s_delay_alu instid0(SALU_CYCLE_1) | instskip(NEXT) | instid1(SALU_CYCLE_1)
	s_ashr_i32 s27, s26, 31
	s_lshl_b64 s[26:27], s[26:27], 2
	s_delay_alu instid0(SALU_CYCLE_1)
	s_add_u32 s26, s4, s26
	s_addc_u32 s27, s37, s27
	s_or_b32 s9, s35, 0x90
	s_load_b32 s48, s[26:27], 0x0
	s_ashr_i32 s13, s9, 4
	s_cmp_lt_i32 s9, s30
	s_cselect_b32 s28, s13, s3
	s_delay_alu instid0(SALU_CYCLE_1) | instskip(NEXT) | instid1(SALU_CYCLE_1)
	s_ashr_i32 s29, s28, 31
	s_lshl_b64 s[28:29], s[28:29], 2
	s_delay_alu instid0(SALU_CYCLE_1) | instskip(SKIP_2) | instid1(SALU_CYCLE_1)
	s_add_u32 s28, s4, s28
	s_addc_u32 s29, s37, s29
	s_or_b32 s9, s35, 0xa0
	s_ashr_i32 s13, s9, 4
	s_cmp_lt_i32 s9, s30
	s_cselect_b32 s38, s13, s3
	s_delay_alu instid0(SALU_CYCLE_1) | instskip(NEXT) | instid1(SALU_CYCLE_1)
	s_ashr_i32 s39, s38, 31
	s_lshl_b64 s[38:39], s[38:39], 2
	s_delay_alu instid0(SALU_CYCLE_1) | instskip(SKIP_2) | instid1(SALU_CYCLE_1)
	s_add_u32 s38, s4, s38
	s_addc_u32 s39, s37, s39
	s_or_b32 s9, s35, 0xb0
	s_ashr_i32 s13, s9, 4
	s_cmp_lt_i32 s9, s30
	s_mul_hi_i32 s9, s8, s5
	s_cselect_b32 s40, s13, s3
	s_mul_i32 s8, s8, s5
	s_ashr_i32 s41, s40, 31
	s_mul_hi_i32 s13, s12, s5
	s_lshl_b64 s[40:41], s[40:41], 2
	s_mul_i32 s12, s12, s5
	s_add_u32 s42, s4, s40
	s_addc_u32 s43, s37, s41
	s_or_b32 s19, s35, 0xc0
	s_delay_alu instid0(SALU_CYCLE_1)
	s_ashr_i32 s21, s19, 4
	s_cmp_lt_i32 s19, s30
	s_mul_hi_i32 s19, s18, s5
	s_cselect_b32 s40, s21, s3
	s_mul_i32 s18, s18, s5
	s_ashr_i32 s41, s40, 31
	s_mul_hi_i32 s21, s20, s5
	s_lshl_b64 s[40:41], s[40:41], 2
	s_mul_i32 s20, s20, s5
	s_add_u32 s44, s4, s40
	s_addc_u32 s45, s37, s41
	s_load_b32 s41, s[28:29], 0x0
	s_or_b32 s40, s35, 0xd0
	s_mul_hi_i32 s23, s15, s5
	s_ashr_i32 s22, s40, 4
	s_cmp_lt_i32 s40, s30
	s_load_b32 s40, s[38:39], 0x0
	s_cselect_b32 s24, s22, s3
	s_mul_i32 s22, s15, s5
	s_ashr_i32 s25, s24, 31
	s_waitcnt lgkmcnt(0)
	s_mul_hi_i32 s29, s48, s5
	s_lshl_b64 s[24:25], s[24:25], 2
	s_mul_i32 s28, s48, s5
	s_add_u32 s24, s4, s24
	s_addc_u32 s25, s37, s25
	s_or_b32 s49, s35, 0xe0
	s_clause 0x2
	s_load_b32 s39, s[42:43], 0x0
	s_load_b32 s38, s[44:45], 0x0
	;; [unrolled: 1-line block ×3, first 2 shown]
	s_ashr_i32 s50, s49, 4
	s_cmp_lt_i32 s49, s30
	s_mul_hi_i32 s25, s46, s5
	s_cselect_b32 s44, s50, s3
	s_mul_i32 s24, s46, s5
	s_ashr_i32 s45, s44, 31
	s_mul_hi_i32 s27, s47, s5
	s_lshl_b64 s[44:45], s[44:45], 2
	s_mul_i32 s26, s47, s5
	s_add_u32 s44, s4, s44
	s_addc_u32 s45, s37, s45
	s_or_b32 s46, s35, 0xf0
	s_mul_hi_i32 s43, s41, s5
	s_ashr_i32 s48, s46, 4
	s_cmp_lt_i32 s46, s30
	s_mul_i32 s42, s41, s5
	s_cselect_b32 s48, s48, s3
	s_mul_hi_i32 s41, s40, s5
	s_ashr_i32 s49, s48, 31
	s_mul_i32 s40, s40, s5
	s_lshl_b64 s[48:49], s[48:49], 2
	s_waitcnt lgkmcnt(0)
	s_mul_hi_i32 s47, s39, s5
	s_add_u32 s48, s4, s48
	s_addc_u32 s49, s37, s49
	s_add_u32 s3, s10, s6
	s_addc_u32 s4, s11, s7
	v_add_co_u32 v195, s3, s3, v5
	s_delay_alu instid0(VALU_DEP_1) | instskip(SKIP_2) | instid1(VALU_DEP_2)
	v_add_co_ci_u32_e64 v196, null, s4, 0, s3
	s_lshl_b64 s[6:7], s[8:9], 1
	s_lshl_b64 s[8:9], s[12:13], 1
	v_add_co_u32 v1, vcc_lo, v195, s6
	s_delay_alu instid0(VALU_DEP_2)
	v_add_co_ci_u32_e32 v2, vcc_lo, s7, v196, vcc_lo
	v_add_co_u32 v3, vcc_lo, v195, s8
	s_lshl_b64 s[10:11], s[16:17], 1
	v_add_co_ci_u32_e32 v4, vcc_lo, s9, v196, vcc_lo
	v_add_co_u32 v5, vcc_lo, v195, s10
	s_lshl_b64 s[12:13], s[18:19], 1
	;; [unrolled: 3-line block ×9, first 2 shown]
	s_mul_i32 s46, s39, s5
	v_add_co_ci_u32_e32 v54, vcc_lo, s27, v196, vcc_lo
	v_add_co_u32 v183, vcc_lo, v195, s28
	s_lshl_b64 s[40:41], s[46:47], 1
	s_mul_hi_i32 s39, s38, s5
	s_mul_i32 s38, s38, s5
	v_add_co_ci_u32_e32 v184, vcc_lo, s29, v196, vcc_lo
	v_add_co_u32 v185, vcc_lo, v195, s40
	s_lshl_b64 s[38:39], s[38:39], 1
	s_clause 0x1
	s_load_b32 s3, s[44:45], 0x0
	s_load_b32 s4, s[48:49], 0x0
	v_add_co_ci_u32_e32 v186, vcc_lo, s41, v196, vcc_lo
	v_add_co_u32 v191, vcc_lo, v195, s38
	v_add_co_ci_u32_e32 v192, vcc_lo, s39, v196, vcc_lo
	s_clause 0x17
	global_load_b128 v[121:124], v[1:2], off
	global_load_b128 v[125:128], v[1:2], off offset:16
	global_load_b128 v[113:116], v[3:4], off
	global_load_b128 v[117:120], v[3:4], off offset:16
	;; [unrolled: 2-line block ×12, first 2 shown]
	s_mul_hi_i32 s51, s15, s5
	s_mul_i32 s50, s15, s5
	s_delay_alu instid0(SALU_CYCLE_1) | instskip(NEXT) | instid1(SALU_CYCLE_1)
	s_lshl_b64 s[42:43], s[50:51], 1
	v_add_co_u32 v193, vcc_lo, v195, s42
	v_add_co_ci_u32_e32 v194, vcc_lo, s43, v196, vcc_lo
	s_waitcnt lgkmcnt(0)
	s_mul_hi_i32 s7, s3, s5
	s_mul_i32 s6, s3, s5
	s_mul_hi_i32 s9, s4, s5
	s_lshl_b64 s[6:7], s[6:7], 1
	s_mul_i32 s8, s4, s5
	s_delay_alu instid0(SALU_CYCLE_1)
	s_lshl_b64 s[4:5], s[8:9], 1
	s_waitcnt vmcnt(38)
	v_wmma_f32_16x16x16_f16 v[183:190], v[9:16], v[159:166], v[129:136]
	s_waitcnt vmcnt(36)
	v_wmma_f32_16x16x16_f16 v[129:136], v[137:144], v[159:166], v[129:136]
	s_clause 0x1
	global_load_b128 v[9:12], v[191:192], off
	global_load_b128 v[13:16], v[191:192], off offset:16
	ds_load_b128 v[137:140], v197 offset:2048
	ds_load_b128 v[141:144], v197 offset:3072
	;; [unrolled: 1-line block ×4, first 2 shown]
	v_add_co_u32 v191, vcc_lo, v195, s6
	v_add_co_ci_u32_e32 v192, vcc_lo, s7, v196, vcc_lo
	v_add_co_u32 v195, vcc_lo, v195, s4
	v_add_co_ci_u32_e32 v196, vcc_lo, s5, v196, vcc_lo
	s_waitcnt vmcnt(36) lgkmcnt(2)
	v_wmma_f32_16x16x16_f16 v[183:190], v[41:48], v[137:144], v[183:190]
	s_waitcnt vmcnt(34)
	v_wmma_f32_16x16x16_f16 v[129:136], v[33:40], v[137:144], v[129:136]
	s_clause 0x3
	global_load_b128 v[33:36], v[193:194], off
	global_load_b128 v[37:40], v[193:194], off offset:16
	global_load_b128 v[41:44], v[191:192], off
	global_load_b128 v[45:48], v[191:192], off offset:16
	v_and_b32_e32 v137, 0xe0, v0
	v_mbcnt_lo_u32_b32 v191, -1, 0
	s_waitcnt vmcnt(36) lgkmcnt(0)
	v_wmma_f32_16x16x16_f16 v[183:190], v[17:24], v[159:166], v[183:190]
	s_clause 0x1
	global_load_b128 v[17:20], v[195:196], off
	global_load_b128 v[21:24], v[195:196], off offset:16
	s_waitcnt vmcnt(36)
	v_wmma_f32_16x16x16_f16 v[129:136], v[151:158], v[159:166], v[129:136]
	v_add_nc_u32_e32 v192, s35, v137
	ds_load_b128 v[137:140], v197 offset:6144
	ds_load_b128 v[141:144], v197 offset:7168
	v_xor_b32_e32 v151, 16, v191
	s_waitcnt vmcnt(0) lgkmcnt(0)
	s_barrier
	v_or_b32_e32 v152, v192, v147
	buffer_gl0_inv
	v_cmp_gt_i32_e32 vcc_lo, 32, v151
	v_or_b32_e32 v153, 2, v152
	v_or_b32_e32 v154, 4, v152
	;; [unrolled: 1-line block ×5, first 2 shown]
	v_cmp_gt_i32_e64 s3, s30, v153
	v_cmp_gt_i32_e64 s4, s30, v154
	;; [unrolled: 1-line block ×3, first 2 shown]
	v_or_b32_e32 v158, 12, v152
	v_or_b32_e32 v159, 14, v152
	v_cmp_gt_i32_e64 s6, s30, v156
	v_wmma_f32_16x16x16_f16 v[183:190], v[167:174], v[137:144], v[183:190]
	v_wmma_f32_16x16x16_f16 v[129:136], v[175:182], v[137:144], v[129:136]
	v_cndmask_b32_e32 v151, v191, v151, vcc_lo
	v_cmp_gt_i32_e32 vcc_lo, s30, v152
	v_cmp_gt_i32_e64 s7, s30, v157
	v_dual_mul_f32 v143, s36, v184 :: v_dual_mul_f32 v144, s36, v183
	v_dual_mul_f32 v141, s36, v186 :: v_dual_mul_f32 v142, s36, v185
	v_dual_mul_f32 v139, s36, v188 :: v_dual_mul_f32 v174, s36, v130
	s_delay_alu instid0(VALU_DEP_3) | instskip(NEXT) | instid1(VALU_DEP_4)
	v_cndmask_b32_e32 v144, 0xff7fffff, v144, vcc_lo
	v_cndmask_b32_e64 v143, 0xff7fffff, v143, s3
	v_mul_f32_e32 v140, s36, v187
	v_cndmask_b32_e64 v142, 0xff7fffff, v142, s4
	v_cndmask_b32_e64 v141, 0xff7fffff, v141, s5
	v_or_b32_e32 v160, 16, v152
	v_max3_f32 v143, v144, 0xff7fffff, v143
	v_or_b32_e32 v161, 18, v152
	v_mul_f32_e32 v138, s36, v189
	v_dual_mul_f32 v172, s36, v132 :: v_dual_mul_f32 v137, s36, v190
	v_cndmask_b32_e64 v140, 0xff7fffff, v140, s6
	v_cndmask_b32_e64 v139, 0xff7fffff, v139, s7
	v_max3_f32 v141, v143, v142, v141
	v_cmp_gt_i32_e64 s8, s30, v158
	v_cmp_gt_i32_e64 s9, s30, v159
	v_or_b32_e32 v162, 20, v152
	v_or_b32_e32 v163, 22, v152
	v_mul_f32_e32 v175, s36, v129
	v_cndmask_b32_e64 v138, 0xff7fffff, v138, s8
	v_max3_f32 v139, v141, v140, v139
	v_cmp_gt_i32_e64 s10, s30, v160
	v_cmp_gt_i32_e64 s11, s30, v161
	v_lshlrev_b32_e32 v160, 2, v151
	v_cndmask_b32_e64 v137, 0xff7fffff, v137, s9
	v_or_b32_e32 v164, 24, v152
	v_or_b32_e32 v165, 26, v152
	v_mul_f32_e32 v173, s36, v131
	v_cndmask_b32_e64 v140, 0xff7fffff, v175, s10
	v_cndmask_b32_e64 v141, 0xff7fffff, v174, s11
	v_max3_f32 v137, v139, v138, v137
	v_cmp_gt_i32_e64 s12, s30, v162
	v_cmp_gt_i32_e64 s13, s30, v163
	v_or_b32_e32 v166, 28, v152
	v_or_b32_e32 v167, 30, v152
	v_dual_mul_f32 v170, s36, v134 :: v_dual_mul_f32 v171, s36, v133
	v_cndmask_b32_e64 v138, 0xff7fffff, v173, s12
	v_cndmask_b32_e64 v139, 0xff7fffff, v172, s13
	v_max3_f32 v137, v137, v140, v141
	v_cmp_gt_i32_e64 s15, s30, v164
	v_cmp_gt_i32_e64 s16, s30, v165
	v_dual_mul_f32 v168, s36, v136 :: v_dual_mul_f32 v169, s36, v135
	s_delay_alu instid0(VALU_DEP_4) | instskip(NEXT) | instid1(VALU_DEP_4)
	v_max3_f32 v137, v137, v138, v139
	v_cndmask_b32_e64 v140, 0xff7fffff, v171, s15
	s_delay_alu instid0(VALU_DEP_4) | instskip(SKIP_2) | instid1(VALU_DEP_3)
	v_cndmask_b32_e64 v141, 0xff7fffff, v170, s16
	v_cmp_gt_i32_e64 s17, s30, v166
	v_cmp_gt_i32_e64 s18, s30, v167
	v_max3_f32 v137, v137, v140, v141
	s_delay_alu instid0(VALU_DEP_3) | instskip(NEXT) | instid1(VALU_DEP_3)
	v_cndmask_b32_e64 v138, 0xff7fffff, v169, s17
	v_cndmask_b32_e64 v139, 0xff7fffff, v168, s18
	s_delay_alu instid0(VALU_DEP_1) | instskip(SKIP_3) | instid1(VALU_DEP_1)
	v_max3_f32 v137, v137, v138, v139
	ds_bpermute_b32 v138, v160, v137
	s_waitcnt lgkmcnt(0)
	v_max_f32_e32 v138, v138, v138
	v_max_f32_e32 v137, v137, v138
	s_delay_alu instid0(VALU_DEP_1) | instskip(SKIP_4) | instid1(VALU_DEP_4)
	v_fma_f32 v143, s36, v187, -v137
	v_fma_f32 v130, s36, v130, -v137
	;; [unrolled: 1-line block ×5, first 2 shown]
	v_dual_mul_f32 v143, 0x3fb8aa3b, v143 :: v_dual_mul_f32 v130, 0x3fb8aa3b, v130
	s_delay_alu instid0(VALU_DEP_4) | instskip(SKIP_2) | instid1(VALU_DEP_4)
	v_mul_f32_e32 v140, 0x3fb8aa3b, v140
	v_fma_f32 v152, s36, v189, -v137
	v_fma_f32 v139, s36, v184, -v137
	v_exp_f32_e32 v143, v143
	v_mul_f32_e32 v138, 0x3fb8aa3b, v138
	v_exp_f32_e32 v140, v140
	v_mul_f32_e32 v152, 0x3fb8aa3b, v152
	v_fma_f32 v153, s36, v190, -v137
	v_fma_f32 v144, s36, v188, -v137
	v_exp_f32_e32 v138, v138
	v_fma_f32 v129, s36, v129, -v137
	v_exp_f32_e32 v152, v152
	v_fma_f32 v134, s36, v134, -v137
	v_cndmask_b32_e64 v143, 0, v143, s6
	v_dual_mul_f32 v141, 0x3fb8aa3b, v141 :: v_dual_mul_f32 v144, 0x3fb8aa3b, v144
	v_fma_f32 v132, s36, v132, -v137
	s_delay_alu instid0(VALU_DEP_4) | instskip(NEXT) | instid1(VALU_DEP_3)
	v_dual_mul_f32 v129, 0x3fb8aa3b, v129 :: v_dual_mul_f32 v134, 0x3fb8aa3b, v134
	v_exp_f32_e32 v151, v141
	v_cndmask_b32_e64 v141, 0, v140, s4
	s_delay_alu instid0(VALU_DEP_3)
	v_dual_mul_f32 v132, 0x3fb8aa3b, v132 :: v_dual_mul_f32 v139, 0x3fb8aa3b, v139
	v_exp_f32_e32 v144, v144
	v_exp_f32_e32 v129, v129
	;; [unrolled: 1-line block ×3, first 2 shown]
	v_fma_f32 v131, s36, v131, -v137
	v_exp_f32_e32 v142, v139
	v_exp_f32_e32 v132, v132
	v_cndmask_b32_e64 v140, 0, v151, s5
	v_mul_f32_e32 v151, 0x3fb8aa3b, v153
	v_fma_f32 v133, s36, v133, -v137
	s_delay_alu instid0(VALU_DEP_2) | instskip(SKIP_2) | instid1(TRANS32_DEP_3)
	v_exp_f32_e32 v154, v151
	v_cndmask_b32_e64 v151, 0, v152, s8
	v_cndmask_b32_e32 v139, 0, v138, vcc_lo
	v_cndmask_b32_e64 v138, 0, v142, s3
	s_mov_b32 s3, exec_lo
	s_delay_alu instid0(VALU_DEP_2) | instskip(NEXT) | instid1(VALU_DEP_1)
	v_add_f32_e32 v142, 0, v139
	v_add_f32_e32 v142, v142, v138
	s_delay_alu instid0(VALU_DEP_1) | instskip(NEXT) | instid1(VALU_DEP_1)
	v_add_f32_e32 v142, v142, v141
	v_add_f32_e32 v153, v142, v140
	v_cndmask_b32_e64 v142, 0, v144, s7
	s_delay_alu instid0(VALU_DEP_2) | instskip(SKIP_1) | instid1(VALU_DEP_2)
	v_add_f32_e32 v144, v153, v143
	v_cndmask_b32_e64 v153, 0, v129, s10
	v_add_f32_e32 v152, v144, v142
	v_cndmask_b32_e64 v144, 0, v154, s9
	v_cndmask_b32_e64 v154, 0, v132, s13
	v_fma_f32 v132, s36, v136, -v137
	s_delay_alu instid0(VALU_DEP_4) | instskip(NEXT) | instid1(VALU_DEP_2)
	v_dual_mul_f32 v133, 0x3fb8aa3b, v133 :: v_dual_add_f32 v152, v152, v151
	v_mul_f32_e32 v132, 0x3fb8aa3b, v132
	s_delay_alu instid0(VALU_DEP_2) | instskip(NEXT) | instid1(VALU_DEP_2)
	v_exp_f32_e32 v133, v133
	v_add_f32_e32 v129, v152, v144
	v_cndmask_b32_e64 v152, 0, v130, s11
	v_fma_f32 v130, s36, v135, -v137
	v_mul_f32_e32 v131, 0x3fb8aa3b, v131
	s_delay_alu instid0(VALU_DEP_2) | instskip(NEXT) | instid1(VALU_DEP_2)
	v_dual_add_f32 v129, v129, v153 :: v_dual_mul_f32 v130, 0x3fb8aa3b, v130
	v_exp_f32_e32 v131, v131
	s_delay_alu instid0(TRANS32_DEP_2) | instskip(NEXT) | instid1(VALU_DEP_2)
	v_cndmask_b32_e64 v157, 0, v133, s15
	v_add_f32_e32 v129, v129, v152
	s_delay_alu instid0(VALU_DEP_3) | instskip(SKIP_4) | instid1(VALU_DEP_2)
	v_exp_f32_e32 v130, v130
	s_waitcnt_depctr 0xfff
	v_cndmask_b32_e64 v155, 0, v131, s12
	v_exp_f32_e32 v131, v134
	v_cndmask_b32_e64 v159, 0, v130, s17
	v_add_f32_e32 v129, v129, v155
	s_delay_alu instid0(VALU_DEP_1) | instskip(SKIP_4) | instid1(VALU_DEP_1)
	v_add_f32_e32 v129, v129, v154
	s_waitcnt_depctr 0xfff
	v_cndmask_b32_e64 v156, 0, v131, s16
	v_exp_f32_e32 v131, v132
	v_add_f32_e32 v129, v129, v157
	v_add_f32_e32 v129, v129, v156
	s_waitcnt_depctr 0xfff
	v_cndmask_b32_e64 v158, 0, v131, s18
	v_add_f32_e32 v129, v129, v159
	s_delay_alu instid0(VALU_DEP_1)
	v_add_f32_e32 v129, v129, v158
	ds_bpermute_b32 v130, v160, v129
	v_cmpx_gt_u32_e32 16, v150
	s_cbranch_execz .LBB101_12
; %bb.11:
	v_mul_u32_u24_e32 v131, 0x44, v148
	s_delay_alu instid0(VALU_DEP_1) | instskip(SKIP_1) | instid1(VALU_DEP_1)
	v_lshl_add_u32 v131, v149, 2, v131
	s_waitcnt lgkmcnt(0)
	v_dual_add_f32 v129, v129, v130 :: v_dual_add_nc_u32 v130, 0x4000, v131
	ds_store_2addr_b32 v130, v137, v129 offset1:136
.LBB101_12:
	s_or_b32 exec_lo, exec_lo, s3
	v_lshlrev_b32_e32 v129, 2, v149
	s_load_b32 s35, s[0:1], 0x94
	s_waitcnt lgkmcnt(0)
	s_barrier
	buffer_gl0_inv
	v_add_nc_u32_e32 v135, 0x4000, v129
	v_cmp_eq_u32_e32 vcc_lo, 1, v148
	v_cmp_eq_u32_e64 s3, 2, v148
	v_cmp_eq_u32_e64 s4, 3, v148
	;; [unrolled: 1-line block ×3, first 2 shown]
	ds_load_2addr_b32 v[129:130], v135 offset1:17
	ds_load_2addr_b32 v[131:132], v135 offset0:34 offset1:51
	ds_load_2addr_b32 v[133:134], v135 offset0:68 offset1:85
	;; [unrolled: 1-line block ×4, first 2 shown]
	v_cmp_eq_u32_e64 s6, 5, v148
	v_cmp_eq_u32_e64 s7, 7, v148
	s_waitcnt lgkmcnt(4)
	v_max3_f32 v136, v129, 0xff7fffff, v130
	s_waitcnt lgkmcnt(3)
	s_delay_alu instid0(VALU_DEP_1) | instskip(SKIP_1) | instid1(VALU_DEP_1)
	v_max3_f32 v136, v136, v131, v132
	s_waitcnt lgkmcnt(2)
	v_max3_f32 v136, v136, v133, v134
	s_waitcnt lgkmcnt(1)
	s_delay_alu instid0(VALU_DEP_1) | instskip(NEXT) | instid1(VALU_DEP_1)
	v_max3_f32 v136, v136, v160, v161
	v_sub_f32_e32 v129, v129, v136
	v_sub_f32_e32 v137, v130, v136
	;; [unrolled: 1-line block ×4, first 2 shown]
	s_delay_alu instid0(VALU_DEP_4) | instskip(NEXT) | instid1(VALU_DEP_3)
	v_dual_sub_f32 v133, v133, v136 :: v_dual_mul_f32 v150, 0x3fb8aa3b, v129
	v_dual_mul_f32 v137, 0x3fb8aa3b, v137 :: v_dual_mul_f32 v164, 0x3fb8aa3b, v164
	s_delay_alu instid0(VALU_DEP_2) | instskip(NEXT) | instid1(VALU_DEP_3)
	v_mul_f32_e32 v167, 0x3fb8aa3b, v133
	v_exp_f32_e32 v150, v150
	s_delay_alu instid0(VALU_DEP_2) | instskip(SKIP_2) | instid1(VALU_DEP_1)
	v_exp_f32_e32 v166, v137
	v_mul_f32_e32 v165, 0x3fb8aa3b, v131
	v_exp_f32_e32 v164, v164
	v_exp_f32_e32 v165, v165
	s_waitcnt lgkmcnt(0)
	v_fma_f32 v137, v150, v162, 0
	v_sub_f32_e32 v162, v134, v136
	ds_load_2addr_b32 v[129:130], v135 offset0:170 offset1:187
	ds_load_2addr_b32 v[131:132], v135 offset0:204 offset1:221
	;; [unrolled: 1-line block ×3, first 2 shown]
	v_fmac_f32_e32 v137, v166, v163
	v_dual_sub_f32 v135, v160, v136 :: v_dual_mul_f32 v160, 0x3fb8aa3b, v162
	v_exp_f32_e32 v162, v167
	s_waitcnt lgkmcnt(0)
	s_barrier
	s_delay_alu instid0(VALU_DEP_1)
	v_mul_f32_e32 v135, 0x3fb8aa3b, v135
	v_exp_f32_e32 v160, v160
	buffer_gl0_inv
	v_fmac_f32_e32 v137, v165, v129
	v_sub_f32_e32 v129, v161, v136
	v_exp_f32_e32 v161, v135
	s_delay_alu instid0(VALU_DEP_2) | instskip(NEXT) | instid1(VALU_DEP_2)
	v_fmac_f32_e32 v137, v164, v130
	v_dual_mul_f32 v129, 0x3fb8aa3b, v129 :: v_dual_cndmask_b32 v130, v150, v166
	s_delay_alu instid0(VALU_DEP_2) | instskip(NEXT) | instid1(VALU_DEP_2)
	v_fmac_f32_e32 v137, v162, v131
	v_exp_f32_e32 v163, v129
	s_delay_alu instid0(VALU_DEP_1) | instskip(SKIP_3) | instid1(VALU_DEP_2)
	v_fmac_f32_e32 v137, v160, v132
	s_waitcnt_depctr 0xfff
	v_fmac_f32_e32 v137, v161, v133
	v_lshlrev_b32_e32 v133, 6, v149
	v_fmac_f32_e32 v137, v163, v134
	s_delay_alu instid0(VALU_DEP_2) | instskip(NEXT) | instid1(VALU_DEP_2)
	v_lshl_or_b32 v135, v148, 11, v133
	v_add_f32_e32 v134, 0x358637bd, v137
	s_delay_alu instid0(VALU_DEP_1) | instskip(SKIP_1) | instid1(VALU_DEP_2)
	v_div_scale_f32 v167, null, v134, v134, 1.0
	v_div_scale_f32 v150, vcc_lo, 1.0, v134, 1.0
	v_rcp_f32_e32 v168, v167
	s_waitcnt_depctr 0xfff
	v_fma_f32 v129, -v167, v168, 1.0
	s_delay_alu instid0(VALU_DEP_1) | instskip(SKIP_2) | instid1(VALU_DEP_3)
	v_fmac_f32_e32 v168, v129, v168
	v_cndmask_b32_e64 v129, v130, v165, s3
	v_cmp_eq_u32_e64 s3, 6, v148
	v_mul_f32_e32 v165, v150, v168
	s_delay_alu instid0(VALU_DEP_3) | instskip(SKIP_1) | instid1(VALU_DEP_3)
	v_cndmask_b32_e64 v130, v129, v164, s4
	v_lshlrev_b32_e32 v129, 2, v147
	v_fma_f32 v131, -v167, v165, v150
	s_delay_alu instid0(VALU_DEP_3) | instskip(NEXT) | instid1(VALU_DEP_3)
	v_cndmask_b32_e64 v149, v130, v162, s5
	v_or_b32_e32 v130, 1, v129
	v_or_b32_e32 v132, 2, v129
	v_cmp_eq_u32_e64 s4, 1, v129
	v_fmac_f32_e32 v165, v131, v168
	v_cndmask_b32_e64 v148, v149, v160, s6
	v_or_b32_e32 v131, 3, v129
	v_cmp_eq_u32_e64 s9, 1, v130
	v_cmp_eq_u32_e64 s10, 1, v132
	v_fma_f32 v149, -v167, v165, v150
	v_cndmask_b32_e64 v148, v148, v161, s3
	v_cmp_eq_u32_e64 s11, 1, v131
	v_cmp_eq_u32_e64 s5, 2, v129
	;; [unrolled: 1-line block ×3, first 2 shown]
	v_div_fmas_f32 v149, v149, v168, v165
	v_cndmask_b32_e64 v148, v148, v163, s7
	v_cmp_eq_u32_e64 s15, 2, v132
	v_cmp_eq_u32_e64 s16, 2, v131
	v_cmp_eq_u32_e32 vcc_lo, 3, v129
	v_div_fixup_f32 v149, v149, v134, 1.0
	v_lshl_or_b32 v134, v147, 4, v135
	v_cmp_eq_u32_e64 s13, 3, v130
	v_cmp_eq_u32_e64 s18, 3, v131
	;; [unrolled: 1-line block ×3, first 2 shown]
	v_mul_f32_e32 v164, v148, v149
	v_cmp_eq_u32_e64 s17, 3, v132
	v_cmp_eq_u32_e64 s19, 4, v130
	;; [unrolled: 1-line block ×4, first 2 shown]
	v_fma_mixlo_f16 v148, v164, v139, 0
	v_fma_mixlo_f16 v149, v164, v141, 0
	;; [unrolled: 1-line block ×8, first 2 shown]
	v_fma_mixhi_f16 v148, v164, v138, 0
	v_fma_mixhi_f16 v149, v164, v140, 0
	;; [unrolled: 1-line block ×8, first 2 shown]
	ds_store_b128 v134, v[148:151]
	ds_store_b128 v134, v[160:163] offset:1024
	s_waitcnt lgkmcnt(0)
	s_barrier
	buffer_gl0_inv
	ds_load_b128 v[138:141], v135
	ds_load_b128 v[148:151], v135 offset:16
	ds_load_b128 v[152:155], v135 offset:1024
	;; [unrolled: 1-line block ×3, first 2 shown]
	v_cmp_eq_u32_e64 s20, 5, v130
	v_cmp_eq_u32_e64 s21, 4, v132
	;; [unrolled: 1-line block ×12, first 2 shown]
	s_waitcnt lgkmcnt(3)
	v_lshrrev_b32_e32 v142, 16, v138
	s_waitcnt lgkmcnt(2)
	v_lshrrev_b32_e32 v161, 16, v148
	;; [unrolled: 2-line block ×4, first 2 shown]
	v_lshrrev_b32_e32 v143, 16, v139
	v_cndmask_b32_e64 v173, v138, v142, s4
	v_cndmask_b32_e64 v174, v148, v161, s4
	;; [unrolled: 1-line block ×7, first 2 shown]
	v_lshrrev_b32_e32 v162, 16, v149
	v_cndmask_b32_e64 v178, v148, v161, s10
	v_cndmask_b32_e64 v148, v152, v165, s4
	;; [unrolled: 1-line block ×16, first 2 shown]
	v_lshrrev_b32_e32 v166, 16, v153
	v_lshrrev_b32_e32 v170, 16, v157
	v_cndmask_b32_e64 v176, v178, v149, s15
	v_cndmask_b32_e64 v142, v148, v153, s5
	;; [unrolled: 1-line block ×7, first 2 shown]
	v_cndmask_b32_e32 v156, v165, v143, vcc_lo
	v_cndmask_b32_e32 v165, v169, v162, vcc_lo
	v_cndmask_b32_e64 v169, v173, v143, s13
	v_cndmask_b32_e64 v173, v174, v162, s13
	;; [unrolled: 1-line block ×4, first 2 shown]
	v_lshrrev_b32_e32 v144, 16, v140
	v_lshrrev_b32_e32 v163, 16, v150
	v_cndmask_b32_e64 v174, v175, v143, s17
	v_cndmask_b32_e64 v175, v176, v162, s17
	v_cndmask_b32_e32 v142, v142, v166, vcc_lo
	v_cndmask_b32_e32 v143, v148, v170, vcc_lo
	v_cndmask_b32_e64 v148, v149, v166, s13
	v_cndmask_b32_e64 v149, v156, v140, s3
	;; [unrolled: 1-line block ×7, first 2 shown]
	v_lshrrev_b32_e32 v167, 16, v154
	v_cndmask_b32_e64 v169, v174, v140, s21
	v_cndmask_b32_e64 v173, v175, v150, s21
	;; [unrolled: 1-line block ×11, first 2 shown]
	v_lshrrev_b32_e32 v160, 16, v141
	v_lshrrev_b32_e32 v164, 16, v151
	v_cndmask_b32_e64 v162, v169, v144, s23
	v_cndmask_b32_e64 v165, v173, v163, s23
	;; [unrolled: 1-line block ×9, first 2 shown]
	v_lshrrev_b32_e32 v168, 16, v155
	v_cndmask_b32_e64 v140, v140, v167, s6
	v_cndmask_b32_e64 v156, v162, v141, s26
	;; [unrolled: 1-line block ×14, first 2 shown]
	v_perm_b32 v141, v139, v138, 0x5040100
	v_perm_b32 v139, v150, v148, 0x5040100
	v_cndmask_b32_e64 v138, v182, v157, s15
	v_cndmask_b32_e64 v148, v180, v157, s12
	;; [unrolled: 1-line block ×3, first 2 shown]
	v_perm_b32 v140, v151, v149, 0x5040100
	v_cndmask_b32_e64 v149, v161, v166, s17
	v_cndmask_b32_e64 v150, v152, v166, s18
	;; [unrolled: 1-line block ×5, first 2 shown]
	v_lshrrev_b32_e32 v171, 16, v158
	v_cndmask_b32_e64 v149, v149, v154, s21
	v_cndmask_b32_e64 v150, v150, v154, s22
	v_cndmask_b32_e64 v151, v151, v158, s22
	v_cndmask_b32_e64 v138, v138, v158, s21
	v_cndmask_b32_e64 v148, v148, v158, s19
	v_cndmask_b32_e64 v142, v142, v171, s6
	v_cndmask_b32_e64 v149, v149, v167, s23
	v_cndmask_b32_e64 v150, v150, v167, s24
	v_cndmask_b32_e64 v151, v151, v171, s24
	v_cndmask_b32_e64 v138, v138, v171, s23
	v_cndmask_b32_e64 v148, v148, v171, s20
	v_lshrrev_b32_e32 v172, 16, v159
	v_cndmask_b32_e64 v142, v142, v159, s7
	v_cndmask_b32_e64 v149, v149, v155, s26
	;; [unrolled: 1-line block ×12, first 2 shown]
	v_perm_b32 v138, v144, v143, 0x5040100
	v_perm_b32 v151, v151, v150, 0x5040100
	;; [unrolled: 1-line block ×5, first 2 shown]
	s_lshl_b32 s7, s33, 3
	s_mov_b32 s3, exec_lo
	ds_store_b128 v134, v[138:141]
	ds_store_b128 v134, v[148:151] offset:1024
	v_cmpx_gt_u32_e32 8, v0
	s_cbranch_execz .LBB101_14
; %bb.13:
	v_or_b32_e32 v138, s31, v0
	s_load_b128 s[8:11], s[0:1], 0x58
	s_delay_alu instid0(VALU_DEP_1) | instskip(NEXT) | instid1(VALU_DEP_1)
	v_mad_u64_u32 v[139:140], null, s7, s34, v[138:139]
	v_mad_u64_u32 v[140:141], null, v139, s35, s[14:15]
	s_delay_alu instid0(VALU_DEP_1) | instskip(NEXT) | instid1(VALU_DEP_1)
	v_ashrrev_i32_e32 v141, 31, v140
	v_lshlrev_b64 v[138:139], 2, v[140:141]
	s_waitcnt lgkmcnt(0)
	s_delay_alu instid0(VALU_DEP_1) | instskip(NEXT) | instid1(VALU_DEP_2)
	v_add_co_u32 v140, vcc_lo, s10, v138
	v_add_co_ci_u32_e32 v141, vcc_lo, s11, v139, vcc_lo
	v_add_co_u32 v138, vcc_lo, s8, v138
	v_add_co_ci_u32_e32 v139, vcc_lo, s9, v139, vcc_lo
	global_store_b32 v[140:141], v136, off
	global_store_b32 v[138:139], v137, off
.LBB101_14:
	s_or_b32 exec_lo, exec_lo, s3
	s_waitcnt lgkmcnt(0)
	s_waitcnt_vscnt null, 0x0
	s_barrier
	buffer_gl0_inv
	ds_load_b128 v[148:151], v133
	ds_load_b128 v[152:155], v133 offset:16
	ds_load_b128 v[160:163], v133 offset:1040
	;; [unrolled: 1-line block ×5, first 2 shown]
	v_cmp_eq_u32_e32 vcc_lo, 1, v132
	v_mov_b32_e32 v136, 0
	ds_load_b128 v[176:179], v133 offset:3088
	ds_load_b128 v[172:175], v133 offset:3072
	ds_load_b128 v[184:187], v133 offset:4112
	ds_load_b128 v[180:183], v133 offset:4096
	v_cmp_eq_u32_e64 s3, 1, v129
	v_cmp_eq_u32_e64 s4, 1, v131
	;; [unrolled: 1-line block ×3, first 2 shown]
	v_mov_b32_e32 v137, v136
	v_mov_b32_e32 v138, v136
	;; [unrolled: 1-line block ×7, first 2 shown]
	v_cmp_eq_u32_e64 s6, 2, v129
	s_waitcnt lgkmcnt(8)
	s_delay_alu instid0(VALU_DEP_2)
	v_wmma_f32_16x16x16_f16 v[136:143], v[121:128], v[148:155], v[136:143]
	ds_load_b128 v[125:128], v133 offset:5136
	ds_load_b128 v[121:124], v133 offset:5120
	s_waitcnt lgkmcnt(8)
	v_wmma_f32_16x16x16_f16 v[136:143], v[113:120], v[156:163], v[136:143]
	ds_load_b128 v[117:120], v133 offset:6160
	ds_load_b128 v[113:116], v133 offset:6144
	s_waitcnt lgkmcnt(8)
	;; [unrolled: 4-line block ×11, first 2 shown]
	s_barrier
	buffer_gl0_inv
	v_wmma_f32_16x16x16_f16 v[136:143], v[1:8], v[73:80], v[136:143]
	s_delay_alu instid0(VALU_DEP_1) | instskip(NEXT) | instid1(VALU_DEP_1)
	v_wmma_f32_16x16x16_f16 v[136:143], v[9:16], v[65:72], v[136:143]
	v_wmma_f32_16x16x16_f16 v[136:143], v[33:40], v[57:64], v[136:143]
	s_delay_alu instid0(VALU_DEP_1) | instskip(NEXT) | instid1(VALU_DEP_1)
	v_wmma_f32_16x16x16_f16 v[136:143], v[41:48], v[49:56], v[136:143]
	v_wmma_f32_16x16x16_f16 v[136:143], v[17:24], v[25:32], v[136:143]
	s_delay_alu instid0(VALU_DEP_1) | instskip(NEXT) | instid1(VALU_DEP_2)
	v_cvt_f16_f32_e64 v1, v136
	v_cvt_f16_f32_e64 v2, v137
	s_delay_alu instid0(VALU_DEP_3) | instskip(NEXT) | instid1(VALU_DEP_4)
	v_cvt_f16_f32_e64 v3, v138
	v_cvt_f16_f32_e64 v4, v139
	;; [unrolled: 1-line block ×6, first 2 shown]
	v_pack_b32_f16 v1, v1, v2
	v_pack_b32_f16 v2, v3, v4
	;; [unrolled: 1-line block ×3, first 2 shown]
	s_delay_alu instid0(VALU_DEP_4)
	v_pack_b32_f16 v4, v7, v8
	ds_store_b128 v134, v[1:4]
	s_waitcnt lgkmcnt(0)
	s_barrier
	buffer_gl0_inv
	ds_load_b128 v[1:4], v135
	ds_load_b128 v[5:8], v135 offset:16
	s_waitcnt lgkmcnt(1)
	v_lshrrev_b32_e32 v9, 16, v1
	s_waitcnt lgkmcnt(0)
	v_lshrrev_b32_e32 v13, 16, v5
	v_lshrrev_b32_e32 v10, 16, v2
	;; [unrolled: 1-line block ×4, first 2 shown]
	v_cndmask_b32_e64 v17, v1, v9, s3
	v_cndmask_b32_e64 v18, v5, v13, s3
	;; [unrolled: 1-line block ×3, first 2 shown]
	v_cmp_eq_u32_e64 s3, 2, v130
	v_cndmask_b32_e64 v20, v5, v13, s5
	v_cndmask_b32_e32 v21, v1, v9, vcc_lo
	v_cndmask_b32_e32 v22, v5, v13, vcc_lo
	v_cndmask_b32_e64 v1, v1, v9, s4
	v_cndmask_b32_e64 v5, v5, v13, s4
	v_cmp_eq_u32_e32 vcc_lo, 2, v132
	v_cmp_eq_u32_e64 s4, 2, v131
	v_cndmask_b32_e64 v9, v17, v2, s6
	v_cndmask_b32_e64 v13, v18, v6, s6
	v_cndmask_b32_e64 v17, v19, v2, s3
	v_cndmask_b32_e64 v18, v20, v6, s3
	v_cndmask_b32_e32 v19, v21, v2, vcc_lo
	v_cmp_eq_u32_e64 s3, 3, v132
	v_cndmask_b32_e32 v20, v22, v6, vcc_lo
	v_cndmask_b32_e64 v1, v1, v2, s4
	v_cmp_eq_u32_e32 vcc_lo, 3, v131
	v_cmp_eq_u32_e64 s5, 3, v129
	v_cndmask_b32_e64 v2, v5, v6, s4
	v_cmp_eq_u32_e64 s4, 3, v130
	v_cmp_eq_u32_e64 s6, 4, v129
	v_cndmask_b32_e32 v1, v1, v10, vcc_lo
	v_cndmask_b32_e64 v5, v9, v10, s5
	v_cndmask_b32_e64 v6, v13, v14, s5
	;; [unrolled: 1-line block ×3, first 2 shown]
	v_cmp_eq_u32_e64 s5, 4, v130
	v_cndmask_b32_e64 v13, v18, v14, s4
	v_cndmask_b32_e64 v17, v19, v10, s3
	;; [unrolled: 1-line block ×3, first 2 shown]
	v_cndmask_b32_e32 v2, v2, v14, vcc_lo
	v_cmp_eq_u32_e32 vcc_lo, 4, v132
	v_cmp_eq_u32_e64 s4, 4, v131
	v_lshrrev_b32_e32 v15, 16, v7
	v_cndmask_b32_e64 v5, v5, v3, s6
	v_cndmask_b32_e64 v6, v6, v7, s6
	v_cndmask_b32_e32 v14, v18, v7, vcc_lo
	v_cndmask_b32_e64 v9, v9, v3, s5
	v_cndmask_b32_e64 v10, v13, v7, s5
	v_cndmask_b32_e32 v13, v17, v3, vcc_lo
	v_cmp_eq_u32_e64 s3, 5, v132
	v_cndmask_b32_e64 v1, v1, v3, s4
	v_cmp_eq_u32_e32 vcc_lo, 5, v131
	v_cmp_eq_u32_e64 s5, 5, v129
	v_cndmask_b32_e64 v2, v2, v7, s4
	v_cmp_eq_u32_e64 s4, 5, v130
	v_cmp_eq_u32_e64 s6, 6, v129
	v_lshrrev_b32_e32 v12, 16, v4
	v_cndmask_b32_e64 v3, v5, v11, s5
	v_cndmask_b32_e64 v5, v6, v15, s5
	;; [unrolled: 1-line block ×3, first 2 shown]
	v_cmp_eq_u32_e64 s5, 6, v130
	v_cndmask_b32_e64 v7, v10, v15, s4
	v_cndmask_b32_e64 v9, v13, v11, s3
	;; [unrolled: 1-line block ×3, first 2 shown]
	v_cndmask_b32_e32 v1, v1, v11, vcc_lo
	v_cndmask_b32_e32 v2, v2, v15, vcc_lo
	v_cmp_eq_u32_e32 vcc_lo, 6, v132
	v_cmp_eq_u32_e64 s3, 6, v131
	v_lshrrev_b32_e32 v16, 16, v8
	v_cndmask_b32_e64 v3, v3, v4, s6
	v_cndmask_b32_e64 v5, v5, v8, s6
	v_cndmask_b32_e32 v9, v9, v4, vcc_lo
	v_cndmask_b32_e64 v6, v6, v4, s5
	v_cndmask_b32_e64 v7, v7, v8, s5
	v_cmp_eq_u32_e64 s4, 7, v132
	v_cndmask_b32_e32 v10, v10, v8, vcc_lo
	v_cndmask_b32_e64 v1, v1, v4, s3
	v_cmp_eq_u32_e32 vcc_lo, 7, v131
	v_cndmask_b32_e64 v2, v2, v8, s3
	v_cmp_eq_u32_e64 s3, 7, v129
	v_cmp_eq_u32_e64 s5, 7, v130
	v_cndmask_b32_e32 v1, v1, v12, vcc_lo
	s_delay_alu instid0(VALU_DEP_4) | instskip(NEXT) | instid1(VALU_DEP_4)
	v_cndmask_b32_e32 v2, v2, v16, vcc_lo
	v_cndmask_b32_e64 v8, v3, v12, s3
	s_delay_alu instid0(VALU_DEP_4)
	v_cndmask_b32_e64 v6, v6, v12, s5
	v_cndmask_b32_e64 v3, v9, v12, s4
	;; [unrolled: 1-line block ×5, first 2 shown]
	v_cmp_gt_u32_e32 vcc_lo, 32, v0
	v_perm_b32 v4, v2, v1, 0x5040100
	v_perm_b32 v3, v9, v3, 0x5040100
	v_perm_b32 v2, v7, v6, 0x5040100
	v_perm_b32 v1, v5, v8, 0x5040100
	s_and_b32 s2, vcc_lo, s2
	ds_store_b128 v134, v[1:4]
	s_waitcnt lgkmcnt(0)
	s_barrier
	buffer_gl0_inv
	s_and_saveexec_b32 s3, s2
	s_cbranch_execz .LBB101_2
; %bb.15:
	s_load_b64 s[0:1], s[0:1], 0x68
	s_lshl_b32 s4, s35, 6
	v_or_b32_e32 v2, s31, v147
	s_mul_i32 s2, s4, s34
	v_lshlrev_b32_e32 v1, 10, v0
	s_mul_i32 s2, s2, s7
	v_lshlrev_b32_e32 v3, 4, v146
	v_mul_lo_u32 v0, v2, s4
	s_ashr_i32 s3, s2, 31
	v_lshlrev_b32_e32 v4, 6, v147
	v_and_b32_e32 v1, 0x3800, v1
	v_or_b32_e32 v5, 2, v2
	s_lshl_b64 s[2:3], s[2:3], 1
	v_or_b32_e32 v6, 4, v2
	v_or_b32_e32 v7, 6, v2
	v_or3_b32 v12, v1, v3, v4
	v_ashrrev_i32_e32 v1, 31, v0
	v_mul_lo_u32 v2, v5, s4
	v_mul_lo_u32 v16, v6, s4
	;; [unrolled: 1-line block ×3, first 2 shown]
	s_waitcnt lgkmcnt(0)
	s_add_u32 s2, s0, s2
	s_addc_u32 s3, s1, s3
	s_lshl_b32 s0, s14, 6
	v_lshlrev_b64 v[0:1], 1, v[0:1]
	s_ashr_i32 s1, s0, 31
	v_ashrrev_i32_e32 v3, 31, v2
	s_lshl_b64 s[0:1], s[0:1], 1
	v_ashrrev_i32_e32 v17, 31, v16
	s_add_u32 s0, s2, s0
	s_addc_u32 s1, s3, s1
	v_add_co_u32 v24, s0, s0, v145
	s_delay_alu instid0(VALU_DEP_1) | instskip(SKIP_1) | instid1(VALU_DEP_3)
	v_add_co_ci_u32_e64 v25, null, s1, 0, s0
	v_lshlrev_b64 v[22:23], 1, v[2:3]
	v_add_co_u32 v18, vcc_lo, v24, v0
	s_delay_alu instid0(VALU_DEP_3)
	v_add_co_ci_u32_e32 v19, vcc_lo, v25, v1, vcc_lo
	ds_load_b128 v[0:3], v12
	ds_load_b128 v[4:7], v12 offset:128
	ds_load_b128 v[8:11], v12 offset:256
	ds_load_b128 v[12:15], v12 offset:384
	v_ashrrev_i32_e32 v21, 31, v20
	v_lshlrev_b64 v[16:17], 1, v[16:17]
	v_add_co_u32 v22, vcc_lo, v24, v22
	v_add_co_ci_u32_e32 v23, vcc_lo, v25, v23, vcc_lo
	s_delay_alu instid0(VALU_DEP_4) | instskip(NEXT) | instid1(VALU_DEP_4)
	v_lshlrev_b64 v[20:21], 1, v[20:21]
	v_add_co_u32 v16, vcc_lo, v24, v16
	v_add_co_ci_u32_e32 v17, vcc_lo, v25, v17, vcc_lo
	s_delay_alu instid0(VALU_DEP_3) | instskip(NEXT) | instid1(VALU_DEP_4)
	v_add_co_u32 v20, vcc_lo, v24, v20
	v_add_co_ci_u32_e32 v21, vcc_lo, v25, v21, vcc_lo
	s_waitcnt lgkmcnt(3)
	global_store_b128 v[18:19], v[0:3], off
	s_waitcnt lgkmcnt(2)
	global_store_b128 v[22:23], v[4:7], off
	s_waitcnt lgkmcnt(1)
	global_store_b128 v[16:17], v[8:11], off
	s_waitcnt lgkmcnt(0)
	global_store_b128 v[20:21], v[12:15], off
	s_nop 0
	s_sendmsg sendmsg(MSG_DEALLOC_VGPRS)
	s_endpgm
	.section	.rodata,"a",@progbits
	.p2align	6, 0x0
	.amdhsa_kernel _Z39paged_attention_ll4mi_QKV_mfma16_kernelIDF16_DF16_LN4vllm18Fp8KVCacheDataTypeE0EDF16_Li16ELi64ELi256ELb0ELi8EL8MFMAType0EEvPKT_PKT0_S8_ifPKiSA_SA_iPKfiiiPfSD_PS3_PT2_iSC_SC_
		.amdhsa_group_segment_fixed_size 17472
		.amdhsa_private_segment_fixed_size 0
		.amdhsa_kernarg_size 400
		.amdhsa_user_sgpr_count 13
		.amdhsa_user_sgpr_dispatch_ptr 0
		.amdhsa_user_sgpr_queue_ptr 0
		.amdhsa_user_sgpr_kernarg_segment_ptr 1
		.amdhsa_user_sgpr_dispatch_id 0
		.amdhsa_user_sgpr_private_segment_size 0
		.amdhsa_wavefront_size32 1
		.amdhsa_uses_dynamic_stack 0
		.amdhsa_enable_private_segment 0
		.amdhsa_system_sgpr_workgroup_id_x 1
		.amdhsa_system_sgpr_workgroup_id_y 1
		.amdhsa_system_sgpr_workgroup_id_z 1
		.amdhsa_system_sgpr_workgroup_info 0
		.amdhsa_system_vgpr_workitem_id 0
		.amdhsa_next_free_vgpr 198
		.amdhsa_next_free_sgpr 52
		.amdhsa_reserve_vcc 1
		.amdhsa_float_round_mode_32 0
		.amdhsa_float_round_mode_16_64 0
		.amdhsa_float_denorm_mode_32 3
		.amdhsa_float_denorm_mode_16_64 3
		.amdhsa_dx10_clamp 1
		.amdhsa_ieee_mode 1
		.amdhsa_fp16_overflow 0
		.amdhsa_workgroup_processor_mode 1
		.amdhsa_memory_ordered 1
		.amdhsa_forward_progress 0
		.amdhsa_shared_vgpr_count 0
		.amdhsa_exception_fp_ieee_invalid_op 0
		.amdhsa_exception_fp_denorm_src 0
		.amdhsa_exception_fp_ieee_div_zero 0
		.amdhsa_exception_fp_ieee_overflow 0
		.amdhsa_exception_fp_ieee_underflow 0
		.amdhsa_exception_fp_ieee_inexact 0
		.amdhsa_exception_int_div_zero 0
	.end_amdhsa_kernel
	.section	.text._Z39paged_attention_ll4mi_QKV_mfma16_kernelIDF16_DF16_LN4vllm18Fp8KVCacheDataTypeE0EDF16_Li16ELi64ELi256ELb0ELi8EL8MFMAType0EEvPKT_PKT0_S8_ifPKiSA_SA_iPKfiiiPfSD_PS3_PT2_iSC_SC_,"axG",@progbits,_Z39paged_attention_ll4mi_QKV_mfma16_kernelIDF16_DF16_LN4vllm18Fp8KVCacheDataTypeE0EDF16_Li16ELi64ELi256ELb0ELi8EL8MFMAType0EEvPKT_PKT0_S8_ifPKiSA_SA_iPKfiiiPfSD_PS3_PT2_iSC_SC_,comdat
.Lfunc_end101:
	.size	_Z39paged_attention_ll4mi_QKV_mfma16_kernelIDF16_DF16_LN4vllm18Fp8KVCacheDataTypeE0EDF16_Li16ELi64ELi256ELb0ELi8EL8MFMAType0EEvPKT_PKT0_S8_ifPKiSA_SA_iPKfiiiPfSD_PS3_PT2_iSC_SC_, .Lfunc_end101-_Z39paged_attention_ll4mi_QKV_mfma16_kernelIDF16_DF16_LN4vllm18Fp8KVCacheDataTypeE0EDF16_Li16ELi64ELi256ELb0ELi8EL8MFMAType0EEvPKT_PKT0_S8_ifPKiSA_SA_iPKfiiiPfSD_PS3_PT2_iSC_SC_
                                        ; -- End function
	.section	.AMDGPU.csdata,"",@progbits
; Kernel info:
; codeLenInByte = 7812
; NumSgprs: 54
; NumVgprs: 198
; ScratchSize: 0
; MemoryBound: 0
; FloatMode: 240
; IeeeMode: 1
; LDSByteSize: 17472 bytes/workgroup (compile time only)
; SGPRBlocks: 6
; VGPRBlocks: 24
; NumSGPRsForWavesPerEU: 54
; NumVGPRsForWavesPerEU: 198
; Occupancy: 7
; WaveLimiterHint : 1
; COMPUTE_PGM_RSRC2:SCRATCH_EN: 0
; COMPUTE_PGM_RSRC2:USER_SGPR: 13
; COMPUTE_PGM_RSRC2:TRAP_HANDLER: 0
; COMPUTE_PGM_RSRC2:TGID_X_EN: 1
; COMPUTE_PGM_RSRC2:TGID_Y_EN: 1
; COMPUTE_PGM_RSRC2:TGID_Z_EN: 1
; COMPUTE_PGM_RSRC2:TIDIG_COMP_CNT: 0
	.section	.text._Z39paged_attention_ll4mi_QKV_mfma16_kernelIDF16_DF16_LN4vllm18Fp8KVCacheDataTypeE0EDF16_Li16ELi64ELi256ELb0ELi9EL8MFMAType0EEvPKT_PKT0_S8_ifPKiSA_SA_iPKfiiiPfSD_PS3_PT2_iSC_SC_,"axG",@progbits,_Z39paged_attention_ll4mi_QKV_mfma16_kernelIDF16_DF16_LN4vllm18Fp8KVCacheDataTypeE0EDF16_Li16ELi64ELi256ELb0ELi9EL8MFMAType0EEvPKT_PKT0_S8_ifPKiSA_SA_iPKfiiiPfSD_PS3_PT2_iSC_SC_,comdat
	.protected	_Z39paged_attention_ll4mi_QKV_mfma16_kernelIDF16_DF16_LN4vllm18Fp8KVCacheDataTypeE0EDF16_Li16ELi64ELi256ELb0ELi9EL8MFMAType0EEvPKT_PKT0_S8_ifPKiSA_SA_iPKfiiiPfSD_PS3_PT2_iSC_SC_ ; -- Begin function _Z39paged_attention_ll4mi_QKV_mfma16_kernelIDF16_DF16_LN4vllm18Fp8KVCacheDataTypeE0EDF16_Li16ELi64ELi256ELb0ELi9EL8MFMAType0EEvPKT_PKT0_S8_ifPKiSA_SA_iPKfiiiPfSD_PS3_PT2_iSC_SC_
	.globl	_Z39paged_attention_ll4mi_QKV_mfma16_kernelIDF16_DF16_LN4vllm18Fp8KVCacheDataTypeE0EDF16_Li16ELi64ELi256ELb0ELi9EL8MFMAType0EEvPKT_PKT0_S8_ifPKiSA_SA_iPKfiiiPfSD_PS3_PT2_iSC_SC_
	.p2align	8
	.type	_Z39paged_attention_ll4mi_QKV_mfma16_kernelIDF16_DF16_LN4vllm18Fp8KVCacheDataTypeE0EDF16_Li16ELi64ELi256ELb0ELi9EL8MFMAType0EEvPKT_PKT0_S8_ifPKiSA_SA_iPKfiiiPfSD_PS3_PT2_iSC_SC_,@function
_Z39paged_attention_ll4mi_QKV_mfma16_kernelIDF16_DF16_LN4vllm18Fp8KVCacheDataTypeE0EDF16_Li16ELi64ELi256ELb0ELi9EL8MFMAType0EEvPKT_PKT0_S8_ifPKiSA_SA_iPKfiiiPfSD_PS3_PT2_iSC_SC_: ; @_Z39paged_attention_ll4mi_QKV_mfma16_kernelIDF16_DF16_LN4vllm18Fp8KVCacheDataTypeE0EDF16_Li16ELi64ELi256ELb0ELi9EL8MFMAType0EEvPKT_PKT0_S8_ifPKiSA_SA_iPKfiiiPfSD_PS3_PT2_iSC_SC_
; %bb.0:
	s_load_b64 s[2:3], s[0:1], 0x30
	s_mov_b32 s34, s13
	s_waitcnt lgkmcnt(0)
	s_cmp_lg_u64 s[2:3], 0
	s_cselect_b32 s6, -1, 0
	s_ashr_i32 s35, s13, 31
	s_cmp_eq_u64 s[2:3], 0
	s_cbranch_scc1 .LBB102_3
; %bb.1:
	s_lshl_b64 s[4:5], s[34:35], 2
	s_delay_alu instid0(SALU_CYCLE_1) | instskip(SKIP_4) | instid1(SALU_CYCLE_1)
	s_add_u32 s4, s2, s4
	s_addc_u32 s5, s3, s5
	s_load_b64 s[4:5], s[4:5], 0x0
	s_waitcnt lgkmcnt(0)
	s_sub_i32 s4, s5, s4
	s_cmp_eq_u32 s4, 1
	s_cselect_b32 s4, -1, 0
	s_delay_alu instid0(SALU_CYCLE_1)
	s_and_not1_b32 vcc_lo, exec_lo, s4
	s_cbranch_vccz .LBB102_4
.LBB102_2:
	s_nop 0
	s_sendmsg sendmsg(MSG_DEALLOC_VGPRS)
	s_endpgm
.LBB102_3:
.LBB102_4:
	s_load_b64 s[8:9], s[0:1], 0x28
	s_lshl_b64 s[4:5], s[34:35], 2
	s_waitcnt lgkmcnt(0)
	s_add_u32 s8, s8, s4
	s_addc_u32 s9, s9, s5
	s_lshl_b32 s31, s14, 8
	s_load_b32 s30, s[8:9], 0x0
	s_waitcnt lgkmcnt(0)
	s_cmp_ge_i32 s31, s30
	s_cbranch_scc1 .LBB102_2
; %bb.5:
	s_clause 0x1
	s_load_b128 s[8:11], s[0:1], 0x8
	s_load_b64 s[12:13], s[0:1], 0x20
	s_and_not1_b32 vcc_lo, exec_lo, s6
	s_cbranch_vccnz .LBB102_7
; %bb.6:
	s_add_u32 s2, s2, s4
	s_addc_u32 s3, s3, s5
	s_load_b32 s3, s[2:3], 0x0
	s_branch .LBB102_8
.LBB102_7:
	s_mov_b32 s3, s34
.LBB102_8:
	s_load_b128 s[4:7], s[0:1], 0x48
	v_lshrrev_b32_e32 v149, 5, v0
	v_bfe_u32 v146, v0, 4, 1
	v_and_b32_e32 v148, 15, v0
	v_and_b32_e32 v150, 31, v0
	;; [unrolled: 1-line block ×3, first 2 shown]
	s_mul_i32 s33, s15, 9
	v_lshl_or_b32 v1, v149, 1, v146
	v_lshlrev_b32_e32 v2, 3, v148
	v_cmp_gt_u32_e64 s2, 8, v148
	s_delay_alu instid0(VALU_DEP_3) | instskip(NEXT) | instid1(VALU_DEP_3)
	v_cmp_gt_u32_e32 vcc_lo, 9, v1
	v_lshlrev_b32_e32 v145, 1, v2
	s_delay_alu instid0(VALU_DEP_3)
	s_and_b32 s16, s2, vcc_lo
	s_waitcnt lgkmcnt(0)
	s_and_saveexec_b32 s7, s16
	s_cbranch_execz .LBB102_10
; %bb.9:
	s_load_b64 s[16:17], s[0:1], 0x0
	v_add_lshl_u32 v2, v1, s33, 6
	s_mul_hi_i32 s19, s3, s4
	s_mul_i32 s18, s3, s4
	v_lshlrev_b32_e32 v6, 10, v148
	s_lshl_b64 s[18:19], s[18:19], 1
	v_ashrrev_i32_e32 v3, 31, v2
	v_lshlrev_b32_e32 v1, 6, v1
	v_lshlrev_b32_e32 v7, 10, v147
	v_and_b32_e32 v6, 0x3800, v6
	s_delay_alu instid0(VALU_DEP_4) | instskip(NEXT) | instid1(VALU_DEP_2)
	v_lshlrev_b64 v[2:3], 1, v[2:3]
	v_or3_b32 v1, v6, v7, v1
	s_waitcnt lgkmcnt(0)
	s_add_u32 s3, s16, s18
	s_addc_u32 s4, s17, s19
	s_delay_alu instid0(VALU_DEP_2) | instskip(SKIP_1) | instid1(VALU_DEP_2)
	v_add_co_u32 v2, vcc_lo, s3, v2
	v_add_co_ci_u32_e32 v3, vcc_lo, s4, v3, vcc_lo
	v_add_co_u32 v2, vcc_lo, v2, v145
	s_delay_alu instid0(VALU_DEP_2)
	v_add_co_ci_u32_e32 v3, vcc_lo, 0, v3, vcc_lo
	global_load_b128 v[2:5], v[2:3], off
	s_waitcnt vmcnt(0)
	ds_store_b128 v1, v[2:5]
.LBB102_10:
	s_or_b32 exec_lo, exec_lo, s7
	s_mov_b32 s40, 0
	s_add_i32 s3, s30, 15
	s_mov_b32 s41, s40
	s_mov_b32 s42, s40
	;; [unrolled: 1-line block ×7, first 2 shown]
	s_delay_alu instid0(SALU_CYCLE_1)
	v_dual_mov_b32 v144, s47 :: v_dual_and_b32 v1, 0xef, v0
	v_mov_b32_e32 v142, s45
	s_ashr_i32 s7, s3, 31
	s_clause 0x1
	s_load_b32 s4, s[0:1], 0x38
	s_load_b32 s35, s[0:1], 0x98
	v_add_nc_u32_e32 v1, s31, v1
	s_lshr_b32 s7, s7, 28
	s_load_b32 s36, s[0:1], 0x1c
	s_add_i32 s3, s3, s7
	s_waitcnt lgkmcnt(0)
	v_ashrrev_i32_e32 v2, 31, v1
	v_or_b32_e32 v3, 16, v1
	s_ashr_i32 s3, s3, 4
	v_cmp_gt_i32_e32 vcc_lo, s30, v1
	s_add_i32 s3, s3, -1
	v_lshrrev_b32_e32 v2, 28, v2
	v_mov_b32_e32 v143, s46
	s_barrier
	buffer_gl0_inv
	s_mul_i32 s6, s15, s6
	v_dual_mov_b32 v141, s44 :: v_dual_add_nc_u32 v4, v1, v2
	v_mov_b32_e32 v139, s42
	s_mul_i32 s16, s34, s4
	v_mov_b32_e32 v137, s40
	s_delay_alu instid0(VALU_DEP_3)
	v_ashrrev_i32_e32 v4, 4, v4
	v_add_nc_u32_e32 v2, v3, v2
	s_ashr_i32 s17, s16, 31
	v_mov_b32_e32 v140, s43
	s_lshl_b64 s[16:17], s[16:17], 2
	v_cndmask_b32_e32 v1, s3, v4, vcc_lo
	v_ashrrev_i32_e32 v2, 4, v2
	v_cmp_gt_i32_e32 vcc_lo, s30, v3
	s_add_u32 s4, s12, s16
	s_addc_u32 s37, s13, s17
	s_ashr_i32 s7, s6, 31
	v_mov_b32_e32 v138, s41
	v_cndmask_b32_e32 v3, s3, v2, vcc_lo
	v_ashrrev_i32_e32 v2, 31, v1
	s_lshl_b64 s[6:7], s[6:7], 1
	s_delay_alu instid0(SALU_CYCLE_1) | instskip(NEXT) | instid1(VALU_DEP_2)
	s_add_u32 s24, s8, s6
	v_ashrrev_i32_e32 v4, 31, v3
	s_delay_alu instid0(VALU_DEP_2) | instskip(SKIP_2) | instid1(VALU_DEP_2)
	v_lshlrev_b64 v[1:2], 2, v[1:2]
	s_addc_u32 s25, s9, s7
	s_lshl_b32 s8, s14, 4
	v_lshlrev_b64 v[3:4], 2, v[3:4]
	s_ashr_i32 s9, s8, 31
	s_delay_alu instid0(VALU_DEP_2) | instskip(SKIP_1) | instid1(VALU_DEP_3)
	v_add_co_u32 v1, vcc_lo, s4, v1
	v_add_co_ci_u32_e32 v2, vcc_lo, s37, v2, vcc_lo
	v_add_co_u32 v3, vcc_lo, s4, v3
	s_delay_alu instid0(VALU_DEP_4)
	v_add_co_ci_u32_e32 v4, vcc_lo, s37, v4, vcc_lo
	s_clause 0x1
	global_load_b32 v5, v[1:2], off
	global_load_b32 v6, v[3:4], off
	s_lshl_b64 s[8:9], s[8:9], 2
	v_lshlrev_b32_e32 v3, 4, v0
	s_add_u32 s8, s4, s8
	s_addc_u32 s9, s37, s9
	s_or_b32 s12, s31, 16
	s_delay_alu instid0(SALU_CYCLE_1) | instskip(SKIP_2) | instid1(SALU_CYCLE_1)
	s_ashr_i32 s13, s12, 4
	s_cmp_lt_i32 s12, s30
	s_cselect_b32 s12, s13, s3
	s_ashr_i32 s13, s12, 31
	s_delay_alu instid0(SALU_CYCLE_1) | instskip(NEXT) | instid1(SALU_CYCLE_1)
	s_lshl_b64 s[12:13], s[12:13], 2
	s_add_u32 s12, s4, s12
	s_addc_u32 s13, s37, s13
	s_or_b32 s15, s31, 32
	s_delay_alu instid0(SALU_CYCLE_1) | instskip(SKIP_2) | instid1(SALU_CYCLE_1)
	s_ashr_i32 s16, s15, 4
	s_cmp_lt_i32 s15, s30
	s_cselect_b32 s16, s16, s3
	s_ashr_i32 s17, s16, 31
	s_delay_alu instid0(SALU_CYCLE_1) | instskip(NEXT) | instid1(SALU_CYCLE_1)
	s_lshl_b64 s[16:17], s[16:17], 2
	;; [unrolled: 10-line block ×5, first 2 shown]
	s_add_u32 s22, s4, s22
	s_addc_u32 s23, s37, s23
	s_clause 0x5
	s_load_b32 s8, s[8:9], 0x0
	s_load_b32 s12, s[12:13], 0x0
	;; [unrolled: 1-line block ×6, first 2 shown]
	s_waitcnt lgkmcnt(0)
	s_mul_hi_i32 s17, s16, s5
	s_mul_i32 s16, s16, s5
	s_waitcnt vmcnt(1)
	v_mad_i64_i32 v[1:2], null, v5, s5, 0
	v_and_b32_e32 v5, 0xf0, v3
	s_waitcnt vmcnt(0)
	v_mad_i64_i32 v[3:4], null, v6, s5, 0
	s_delay_alu instid0(VALU_DEP_2) | instskip(NEXT) | instid1(VALU_DEP_4)
	v_add_co_u32 v7, s9, s24, v5
	v_lshlrev_b64 v[1:2], 1, v[1:2]
	v_add_co_ci_u32_e64 v8, null, s25, 0, s9
	s_delay_alu instid0(VALU_DEP_4) | instskip(SKIP_1) | instid1(VALU_DEP_3)
	v_lshlrev_b64 v[5:6], 1, v[3:4]
	s_or_b32 s9, s31, 0x60
	v_add_co_u32 v3, vcc_lo, v7, v1
	s_delay_alu instid0(VALU_DEP_3) | instskip(NEXT) | instid1(VALU_DEP_3)
	v_add_co_ci_u32_e32 v4, vcc_lo, v8, v2, vcc_lo
	v_add_co_u32 v1, vcc_lo, v7, v5
	s_delay_alu instid0(VALU_DEP_4)
	v_add_co_ci_u32_e32 v2, vcc_lo, v8, v6, vcc_lo
	s_clause 0x9
	global_load_b128 v[9:12], v[3:4], off
	global_load_b128 v[13:16], v[3:4], off offset:256
	global_load_b128 v[129:132], v[1:2], off
	global_load_b128 v[133:136], v[1:2], off offset:256
	global_load_b128 v[41:44], v[3:4], off offset:512
	;; [unrolled: 1-line block ×7, first 2 shown]
	v_add_nc_u32_e32 v5, -9, v148
	v_cmp_gt_u32_e32 vcc_lo, 9, v148
	s_clause 0x1
	global_load_b128 v[151:154], v[1:2], off offset:1024
	global_load_b128 v[155:158], v[1:2], off offset:1280
	s_ashr_i32 s13, s9, 4
	s_cmp_lt_i32 s9, s30
	v_lshlrev_b32_e32 v6, 5, v148
	v_cndmask_b32_e32 v5, v5, v148, vcc_lo
	s_cselect_b32 s22, s13, s3
	s_delay_alu instid0(SALU_CYCLE_1) | instskip(NEXT) | instid1(VALU_DEP_2)
	s_ashr_i32 s23, s22, 31
	v_lshl_or_b32 v6, v149, 9, v6
	s_delay_alu instid0(VALU_DEP_2)
	v_lshlrev_b32_e32 v197, 6, v5
	ds_load_b128 v[159:162], v197
	ds_load_b128 v[163:166], v197 offset:1024
	s_clause 0x3
	global_load_b128 v[167:170], v[3:4], off offset:1536
	global_load_b128 v[171:174], v[3:4], off offset:1792
	;; [unrolled: 1-line block ×4, first 2 shown]
	s_lshl_b64 s[22:23], s[22:23], 2
	s_delay_alu instid0(SALU_CYCLE_1)
	s_add_u32 s22, s4, s22
	s_addc_u32 s23, s37, s23
	s_or_b32 s9, s31, 0x70
	s_load_b32 s46, s[22:23], 0x0
	s_ashr_i32 s13, s9, 4
	s_cmp_lt_i32 s9, s30
	s_cselect_b32 s24, s13, s3
	s_delay_alu instid0(SALU_CYCLE_1) | instskip(NEXT) | instid1(SALU_CYCLE_1)
	s_ashr_i32 s25, s24, 31
	s_lshl_b64 s[24:25], s[24:25], 2
	s_delay_alu instid0(SALU_CYCLE_1)
	s_add_u32 s24, s4, s24
	s_addc_u32 s25, s37, s25
	s_or_b32 s9, s31, 0x80
	s_load_b32 s47, s[24:25], 0x0
	s_ashr_i32 s13, s9, 4
	s_cmp_lt_i32 s9, s30
	s_cselect_b32 s26, s13, s3
	s_delay_alu instid0(SALU_CYCLE_1) | instskip(NEXT) | instid1(SALU_CYCLE_1)
	s_ashr_i32 s27, s26, 31
	;; [unrolled: 11-line block ×3, first 2 shown]
	s_lshl_b64 s[28:29], s[28:29], 2
	s_delay_alu instid0(SALU_CYCLE_1) | instskip(SKIP_2) | instid1(SALU_CYCLE_1)
	s_add_u32 s28, s4, s28
	s_addc_u32 s29, s37, s29
	s_or_b32 s9, s31, 0xa0
	s_ashr_i32 s13, s9, 4
	s_cmp_lt_i32 s9, s30
	s_cselect_b32 s38, s13, s3
	s_delay_alu instid0(SALU_CYCLE_1) | instskip(NEXT) | instid1(SALU_CYCLE_1)
	s_ashr_i32 s39, s38, 31
	s_lshl_b64 s[38:39], s[38:39], 2
	s_delay_alu instid0(SALU_CYCLE_1) | instskip(SKIP_2) | instid1(SALU_CYCLE_1)
	s_add_u32 s38, s4, s38
	s_addc_u32 s39, s37, s39
	s_or_b32 s9, s31, 0xb0
	s_ashr_i32 s13, s9, 4
	s_cmp_lt_i32 s9, s30
	s_mul_hi_i32 s9, s8, s5
	s_cselect_b32 s40, s13, s3
	s_mul_i32 s8, s8, s5
	s_ashr_i32 s41, s40, 31
	s_mul_hi_i32 s13, s12, s5
	s_lshl_b64 s[40:41], s[40:41], 2
	s_mul_i32 s12, s12, s5
	s_add_u32 s42, s4, s40
	s_addc_u32 s43, s37, s41
	s_or_b32 s19, s31, 0xc0
	s_delay_alu instid0(SALU_CYCLE_1)
	s_ashr_i32 s21, s19, 4
	s_cmp_lt_i32 s19, s30
	s_mul_hi_i32 s19, s18, s5
	s_cselect_b32 s40, s21, s3
	s_mul_i32 s18, s18, s5
	s_ashr_i32 s41, s40, 31
	s_mul_hi_i32 s21, s20, s5
	s_lshl_b64 s[40:41], s[40:41], 2
	s_mul_i32 s20, s20, s5
	s_add_u32 s44, s4, s40
	s_addc_u32 s45, s37, s41
	s_load_b32 s41, s[28:29], 0x0
	s_or_b32 s40, s31, 0xd0
	s_mul_hi_i32 s23, s15, s5
	s_ashr_i32 s22, s40, 4
	s_cmp_lt_i32 s40, s30
	s_load_b32 s40, s[38:39], 0x0
	s_cselect_b32 s24, s22, s3
	s_mul_i32 s22, s15, s5
	s_ashr_i32 s25, s24, 31
	s_waitcnt lgkmcnt(0)
	s_mul_hi_i32 s29, s48, s5
	s_lshl_b64 s[24:25], s[24:25], 2
	s_mul_i32 s28, s48, s5
	s_add_u32 s24, s4, s24
	s_addc_u32 s25, s37, s25
	s_or_b32 s49, s31, 0xe0
	s_clause 0x2
	s_load_b32 s39, s[42:43], 0x0
	s_load_b32 s38, s[44:45], 0x0
	;; [unrolled: 1-line block ×3, first 2 shown]
	s_ashr_i32 s50, s49, 4
	s_cmp_lt_i32 s49, s30
	s_mul_hi_i32 s25, s46, s5
	s_cselect_b32 s44, s50, s3
	s_mul_i32 s24, s46, s5
	s_ashr_i32 s45, s44, 31
	s_mul_hi_i32 s27, s47, s5
	s_lshl_b64 s[44:45], s[44:45], 2
	s_mul_i32 s26, s47, s5
	s_add_u32 s44, s4, s44
	s_addc_u32 s45, s37, s45
	s_or_b32 s46, s31, 0xf0
	s_mul_hi_i32 s43, s41, s5
	s_ashr_i32 s48, s46, 4
	s_cmp_lt_i32 s46, s30
	s_mul_i32 s42, s41, s5
	s_cselect_b32 s48, s48, s3
	s_mul_hi_i32 s41, s40, s5
	s_ashr_i32 s49, s48, 31
	s_mul_i32 s40, s40, s5
	s_lshl_b64 s[48:49], s[48:49], 2
	s_waitcnt lgkmcnt(0)
	s_mul_hi_i32 s47, s39, s5
	s_add_u32 s48, s4, s48
	s_addc_u32 s49, s37, s49
	s_add_u32 s3, s10, s6
	s_addc_u32 s4, s11, s7
	v_add_co_u32 v195, s3, s3, v6
	s_delay_alu instid0(VALU_DEP_1) | instskip(SKIP_2) | instid1(VALU_DEP_2)
	v_add_co_ci_u32_e64 v196, null, s4, 0, s3
	s_lshl_b64 s[6:7], s[8:9], 1
	s_lshl_b64 s[8:9], s[12:13], 1
	v_add_co_u32 v1, vcc_lo, v195, s6
	s_delay_alu instid0(VALU_DEP_2)
	v_add_co_ci_u32_e32 v2, vcc_lo, s7, v196, vcc_lo
	v_add_co_u32 v3, vcc_lo, v195, s8
	s_lshl_b64 s[10:11], s[16:17], 1
	v_add_co_ci_u32_e32 v4, vcc_lo, s9, v196, vcc_lo
	v_add_co_u32 v5, vcc_lo, v195, s10
	s_lshl_b64 s[12:13], s[18:19], 1
	;; [unrolled: 3-line block ×9, first 2 shown]
	s_mul_i32 s46, s39, s5
	v_add_co_ci_u32_e32 v54, vcc_lo, s27, v196, vcc_lo
	v_add_co_u32 v183, vcc_lo, v195, s28
	s_lshl_b64 s[40:41], s[46:47], 1
	s_mul_hi_i32 s39, s38, s5
	s_mul_i32 s38, s38, s5
	v_add_co_ci_u32_e32 v184, vcc_lo, s29, v196, vcc_lo
	v_add_co_u32 v185, vcc_lo, v195, s40
	s_lshl_b64 s[38:39], s[38:39], 1
	s_clause 0x1
	s_load_b32 s3, s[44:45], 0x0
	s_load_b32 s4, s[48:49], 0x0
	v_add_co_ci_u32_e32 v186, vcc_lo, s41, v196, vcc_lo
	v_add_co_u32 v191, vcc_lo, v195, s38
	v_add_co_ci_u32_e32 v192, vcc_lo, s39, v196, vcc_lo
	s_clause 0x17
	global_load_b128 v[121:124], v[1:2], off
	global_load_b128 v[125:128], v[1:2], off offset:16
	global_load_b128 v[113:116], v[3:4], off
	global_load_b128 v[117:120], v[3:4], off offset:16
	;; [unrolled: 2-line block ×12, first 2 shown]
	s_mul_hi_i32 s51, s15, s5
	s_mul_i32 s50, s15, s5
	s_delay_alu instid0(SALU_CYCLE_1) | instskip(NEXT) | instid1(SALU_CYCLE_1)
	s_lshl_b64 s[42:43], s[50:51], 1
	v_add_co_u32 v193, vcc_lo, v195, s42
	v_add_co_ci_u32_e32 v194, vcc_lo, s43, v196, vcc_lo
	s_waitcnt lgkmcnt(0)
	s_mul_hi_i32 s7, s3, s5
	s_mul_i32 s6, s3, s5
	s_mul_hi_i32 s9, s4, s5
	s_lshl_b64 s[6:7], s[6:7], 1
	s_mul_i32 s8, s4, s5
	s_delay_alu instid0(SALU_CYCLE_1)
	s_lshl_b64 s[4:5], s[8:9], 1
	s_waitcnt vmcnt(38)
	v_wmma_f32_16x16x16_f16 v[183:190], v[9:16], v[159:166], v[137:144]
	s_waitcnt vmcnt(36)
	v_wmma_f32_16x16x16_f16 v[137:144], v[129:136], v[159:166], v[137:144]
	s_clause 0x1
	global_load_b128 v[9:12], v[191:192], off
	global_load_b128 v[13:16], v[191:192], off offset:16
	ds_load_b128 v[129:132], v197 offset:2048
	ds_load_b128 v[133:136], v197 offset:3072
	;; [unrolled: 1-line block ×4, first 2 shown]
	v_add_co_u32 v191, vcc_lo, v195, s6
	v_add_co_ci_u32_e32 v192, vcc_lo, s7, v196, vcc_lo
	v_add_co_u32 v195, vcc_lo, v195, s4
	v_add_co_ci_u32_e32 v196, vcc_lo, s5, v196, vcc_lo
	s_waitcnt vmcnt(36) lgkmcnt(2)
	v_wmma_f32_16x16x16_f16 v[183:190], v[41:48], v[129:136], v[183:190]
	s_waitcnt vmcnt(34)
	v_wmma_f32_16x16x16_f16 v[137:144], v[33:40], v[129:136], v[137:144]
	s_clause 0x3
	global_load_b128 v[33:36], v[193:194], off
	global_load_b128 v[37:40], v[193:194], off offset:16
	global_load_b128 v[41:44], v[191:192], off
	global_load_b128 v[45:48], v[191:192], off offset:16
	v_and_b32_e32 v129, 0xe0, v0
	v_mbcnt_lo_u32_b32 v191, -1, 0
	s_waitcnt vmcnt(36) lgkmcnt(0)
	v_wmma_f32_16x16x16_f16 v[183:190], v[17:24], v[159:166], v[183:190]
	s_clause 0x1
	global_load_b128 v[17:20], v[195:196], off
	global_load_b128 v[21:24], v[195:196], off offset:16
	s_waitcnt vmcnt(36)
	v_wmma_f32_16x16x16_f16 v[137:144], v[151:158], v[159:166], v[137:144]
	v_add_nc_u32_e32 v192, s31, v129
	ds_load_b128 v[129:132], v197 offset:6144
	ds_load_b128 v[133:136], v197 offset:7168
	v_xor_b32_e32 v151, 16, v191
	s_waitcnt vmcnt(0) lgkmcnt(0)
	s_barrier
	v_or_b32_e32 v152, v192, v146
	buffer_gl0_inv
	v_cmp_gt_i32_e32 vcc_lo, 32, v151
	v_or_b32_e32 v153, 2, v152
	v_or_b32_e32 v154, 4, v152
	;; [unrolled: 1-line block ×5, first 2 shown]
	v_cmp_gt_i32_e64 s3, s30, v153
	v_cmp_gt_i32_e64 s4, s30, v154
	;; [unrolled: 1-line block ×3, first 2 shown]
	v_or_b32_e32 v158, 12, v152
	v_or_b32_e32 v159, 14, v152
	v_cmp_gt_i32_e64 s6, s30, v156
	v_wmma_f32_16x16x16_f16 v[183:190], v[167:174], v[129:136], v[183:190]
	v_wmma_f32_16x16x16_f16 v[137:144], v[175:182], v[129:136], v[137:144]
	v_cndmask_b32_e32 v151, v191, v151, vcc_lo
	v_cmp_gt_i32_e32 vcc_lo, s30, v152
	v_cmp_gt_i32_e64 s7, s30, v157
	v_dual_mul_f32 v135, s36, v184 :: v_dual_mul_f32 v136, s36, v183
	v_dual_mul_f32 v133, s36, v186 :: v_dual_mul_f32 v134, s36, v185
	;; [unrolled: 1-line block ×3, first 2 shown]
	s_delay_alu instid0(VALU_DEP_3) | instskip(NEXT) | instid1(VALU_DEP_4)
	v_cndmask_b32_e32 v136, 0xff7fffff, v136, vcc_lo
	v_cndmask_b32_e64 v135, 0xff7fffff, v135, s3
	v_mul_f32_e32 v132, s36, v187
	v_cndmask_b32_e64 v134, 0xff7fffff, v134, s4
	v_cndmask_b32_e64 v133, 0xff7fffff, v133, s5
	v_or_b32_e32 v160, 16, v152
	v_max3_f32 v135, v136, 0xff7fffff, v135
	v_or_b32_e32 v161, 18, v152
	v_mul_f32_e32 v130, s36, v189
	v_dual_mul_f32 v172, s36, v140 :: v_dual_mul_f32 v129, s36, v190
	v_cndmask_b32_e64 v132, 0xff7fffff, v132, s6
	v_cndmask_b32_e64 v131, 0xff7fffff, v131, s7
	v_max3_f32 v133, v135, v134, v133
	v_cmp_gt_i32_e64 s8, s30, v158
	v_cmp_gt_i32_e64 s9, s30, v159
	v_or_b32_e32 v162, 20, v152
	v_or_b32_e32 v163, 22, v152
	v_mul_f32_e32 v175, s36, v137
	v_cndmask_b32_e64 v130, 0xff7fffff, v130, s8
	v_cndmask_b32_e64 v129, 0xff7fffff, v129, s9
	v_max3_f32 v131, v133, v132, v131
	v_cmp_gt_i32_e64 s10, s30, v160
	v_cmp_gt_i32_e64 s11, s30, v161
	v_or_b32_e32 v164, 24, v152
	v_or_b32_e32 v165, 26, v152
	v_mul_f32_e32 v173, s36, v139
	v_cndmask_b32_e64 v132, 0xff7fffff, v175, s10
	v_cndmask_b32_e64 v133, 0xff7fffff, v174, s11
	v_max3_f32 v129, v131, v130, v129
	v_cmp_gt_i32_e64 s12, s30, v162
	v_cmp_gt_i32_e64 s13, s30, v163
	v_or_b32_e32 v166, 28, v152
	v_or_b32_e32 v167, 30, v152
	v_dual_mul_f32 v170, s36, v142 :: v_dual_mul_f32 v171, s36, v141
	v_cndmask_b32_e64 v130, 0xff7fffff, v173, s12
	v_cndmask_b32_e64 v131, 0xff7fffff, v172, s13
	v_max3_f32 v129, v129, v132, v133
	v_cmp_gt_i32_e64 s15, s30, v164
	v_cmp_gt_i32_e64 s16, s30, v165
	v_dual_mul_f32 v168, s36, v144 :: v_dual_mul_f32 v169, s36, v143
	s_delay_alu instid0(VALU_DEP_4) | instskip(NEXT) | instid1(VALU_DEP_4)
	v_max3_f32 v129, v129, v130, v131
	v_cndmask_b32_e64 v132, 0xff7fffff, v171, s15
	s_delay_alu instid0(VALU_DEP_4) | instskip(SKIP_2) | instid1(VALU_DEP_3)
	v_cndmask_b32_e64 v133, 0xff7fffff, v170, s16
	v_cmp_gt_i32_e64 s17, s30, v166
	v_cmp_gt_i32_e64 s18, s30, v167
	v_max3_f32 v129, v129, v132, v133
	s_delay_alu instid0(VALU_DEP_3) | instskip(NEXT) | instid1(VALU_DEP_3)
	v_cndmask_b32_e64 v130, 0xff7fffff, v169, s17
	v_cndmask_b32_e64 v131, 0xff7fffff, v168, s18
	v_lshlrev_b32_e32 v132, 2, v151
	s_delay_alu instid0(VALU_DEP_2) | instskip(SKIP_3) | instid1(VALU_DEP_1)
	v_max3_f32 v129, v129, v130, v131
	ds_bpermute_b32 v130, v132, v129
	s_waitcnt lgkmcnt(0)
	v_max_f32_e32 v130, v130, v130
	v_max_f32_e32 v129, v129, v130
	s_delay_alu instid0(VALU_DEP_1) | instskip(SKIP_4) | instid1(VALU_DEP_4)
	v_fma_f32 v134, s36, v186, -v129
	v_fma_f32 v135, s36, v187, -v129
	;; [unrolled: 1-line block ×5, first 2 shown]
	v_dual_mul_f32 v134, 0x3fb8aa3b, v134 :: v_dual_mul_f32 v135, 0x3fb8aa3b, v135
	s_delay_alu instid0(VALU_DEP_4) | instskip(SKIP_1) | instid1(VALU_DEP_3)
	v_mul_f32_e32 v130, 0x3fb8aa3b, v130
	v_fma_f32 v136, s36, v189, -v129
	v_exp_f32_e32 v134, v134
	s_delay_alu instid0(VALU_DEP_3) | instskip(NEXT) | instid1(VALU_DEP_2)
	v_exp_f32_e32 v135, v135
	v_exp_f32_e32 v130, v130
	s_delay_alu instid0(VALU_DEP_1) | instskip(NEXT) | instid1(VALU_DEP_1)
	v_mul_f32_e32 v136, 0x3fb8aa3b, v136
	v_exp_f32_e32 v136, v136
	v_cndmask_b32_e64 v153, 0, v134, s5
	v_fma_f32 v134, s36, v137, -v129
	v_mul_f32_e32 v131, 0x3fb8aa3b, v131
	s_delay_alu instid0(TRANS32_DEP_3) | instskip(NEXT) | instid1(TRANS32_DEP_2)
	v_cndmask_b32_e64 v155, 0, v135, s6
	v_dual_mul_f32 v133, 0x3fb8aa3b, v133 :: v_dual_cndmask_b32 v152, 0, v130
	s_delay_alu instid0(VALU_DEP_4) | instskip(NEXT) | instid1(VALU_DEP_4)
	v_mul_f32_e32 v134, 0x3fb8aa3b, v134
	v_exp_f32_e32 v131, v131
	v_fma_f32 v135, s36, v138, -v129
	s_delay_alu instid0(VALU_DEP_3)
	v_exp_f32_e32 v133, v133
	v_fma_f32 v130, s36, v188, -v129
	v_cndmask_b32_e64 v156, 0, v136, s8
	v_fma_f32 v136, s36, v140, -v129
	v_mul_f32_e32 v135, 0x3fb8aa3b, v135
	v_exp_f32_e32 v134, v134
	v_mul_f32_e32 v130, 0x3fb8aa3b, v130
	s_delay_alu instid0(TRANS32_DEP_3) | instskip(SKIP_1) | instid1(TRANS32_DEP_2)
	v_cndmask_b32_e64 v151, 0, v131, s3
	v_add_f32_e32 v131, 0, v152
	v_cndmask_b32_e64 v154, 0, v133, s4
	v_exp_f32_e32 v135, v135
	v_fma_f32 v133, s36, v190, -v129
	v_exp_f32_e32 v130, v130
	v_dual_add_f32 v131, v131, v151 :: v_dual_mul_f32 v136, 0x3fb8aa3b, v136
	v_cmp_gt_u32_e64 s3, 16, v150
	s_delay_alu instid0(VALU_DEP_3) | instskip(NEXT) | instid1(VALU_DEP_3)
	v_mul_f32_e32 v133, 0x3fb8aa3b, v133
	v_add_f32_e32 v131, v131, v154
	s_delay_alu instid0(VALU_DEP_4) | instskip(NEXT) | instid1(TRANS32_DEP_3)
	v_exp_f32_e32 v136, v136
	v_cndmask_b32_e64 v140, 0, v135, s11
	s_delay_alu instid0(VALU_DEP_3) | instskip(NEXT) | instid1(TRANS32_DEP_3)
	v_exp_f32_e32 v133, v133
	v_cndmask_b32_e64 v138, 0, v130, s7
	v_add_f32_e32 v131, v131, v153
	v_fma_f32 v135, s36, v143, -v129
	s_delay_alu instid0(VALU_DEP_2)
	v_add_f32_e32 v130, v131, v155
	v_fma_f32 v131, s36, v139, -v129
	s_waitcnt_depctr 0xfff
	v_cndmask_b32_e64 v139, 0, v133, s9
	v_fma_f32 v133, s36, v141, -v129
	v_add_f32_e32 v130, v130, v138
	v_cndmask_b32_e64 v141, 0, v134, s10
	v_fma_f32 v134, s36, v142, -v129
	v_cndmask_b32_e64 v142, 0, v136, s13
	s_delay_alu instid0(VALU_DEP_4) | instskip(NEXT) | instid1(VALU_DEP_3)
	v_dual_mul_f32 v131, 0x3fb8aa3b, v131 :: v_dual_add_f32 v130, v130, v156
	v_mul_f32_e32 v134, 0x3fb8aa3b, v134
	s_delay_alu instid0(VALU_DEP_2) | instskip(NEXT) | instid1(VALU_DEP_2)
	v_exp_f32_e32 v131, v131
	v_add_f32_e32 v130, v130, v139
	s_delay_alu instid0(VALU_DEP_2) | instskip(NEXT) | instid1(VALU_DEP_1)
	v_exp_f32_e32 v134, v134
	v_add_f32_e32 v130, v130, v141
	s_waitcnt_depctr 0xfff
	v_cndmask_b32_e64 v143, 0, v131, s12
	v_dual_add_f32 v130, v130, v140 :: v_dual_mul_f32 v133, 0x3fb8aa3b, v133
	s_delay_alu instid0(VALU_DEP_1) | instskip(NEXT) | instid1(VALU_DEP_2)
	v_add_f32_e32 v130, v130, v143
	v_exp_f32_e32 v133, v133
	s_delay_alu instid0(VALU_DEP_1)
	v_add_f32_e32 v130, v130, v142
	s_waitcnt_depctr 0xfff
	v_cndmask_b32_e64 v157, 0, v133, s15
	v_mul_f32_e32 v131, 0x3fb8aa3b, v135
	v_fma_f32 v135, s36, v144, -v129
	v_cndmask_b32_e64 v144, 0, v134, s16
	s_delay_alu instid0(VALU_DEP_4) | instskip(NEXT) | instid1(VALU_DEP_4)
	v_add_f32_e32 v130, v130, v157
	v_exp_f32_e32 v131, v131
	s_delay_alu instid0(VALU_DEP_1) | instskip(NEXT) | instid1(VALU_DEP_1)
	v_dual_mul_f32 v133, 0x3fb8aa3b, v135 :: v_dual_add_f32 v130, v130, v144
	v_exp_f32_e32 v133, v133
	s_waitcnt_depctr 0xfff
	v_cndmask_b32_e64 v159, 0, v131, s17
	s_delay_alu instid0(VALU_DEP_1) | instskip(SKIP_1) | instid1(VALU_DEP_1)
	v_add_f32_e32 v130, v130, v159
	v_cndmask_b32_e64 v158, 0, v133, s18
	v_add_f32_e32 v130, v130, v158
	ds_bpermute_b32 v131, v132, v130
	s_and_saveexec_b32 s4, s3
	s_cbranch_execz .LBB102_12
; %bb.11:
	v_mul_u32_u24_e32 v132, 0x44, v149
	s_delay_alu instid0(VALU_DEP_1) | instskip(SKIP_1) | instid1(VALU_DEP_1)
	v_lshl_add_u32 v132, v148, 2, v132
	s_waitcnt lgkmcnt(0)
	v_dual_add_f32 v130, v130, v131 :: v_dual_add_nc_u32 v131, 0x4000, v132
	ds_store_2addr_b32 v131, v129, v130 offset1:136
.LBB102_12:
	s_or_b32 exec_lo, exec_lo, s4
	v_lshlrev_b32_e32 v129, 2, v148
	s_load_b32 s36, s[0:1], 0x94
	s_waitcnt lgkmcnt(0)
	s_barrier
	buffer_gl0_inv
	v_add_nc_u32_e32 v135, 0x4000, v129
	v_cmp_eq_u32_e32 vcc_lo, 1, v149
	v_cmp_eq_u32_e64 s4, 2, v149
	v_cmp_eq_u32_e64 s5, 3, v149
	;; [unrolled: 1-line block ×3, first 2 shown]
	ds_load_2addr_b32 v[129:130], v135 offset1:17
	ds_load_2addr_b32 v[131:132], v135 offset0:34 offset1:51
	ds_load_2addr_b32 v[133:134], v135 offset0:68 offset1:85
	;; [unrolled: 1-line block ×3, first 2 shown]
	v_cmp_eq_u32_e64 s7, 5, v149
	v_cmp_eq_u32_e64 s8, 7, v149
	s_waitcnt lgkmcnt(3)
	v_max3_f32 v136, v129, 0xff7fffff, v130
	s_waitcnt lgkmcnt(2)
	s_delay_alu instid0(VALU_DEP_1) | instskip(SKIP_1) | instid1(VALU_DEP_1)
	v_max3_f32 v136, v136, v131, v132
	s_waitcnt lgkmcnt(1)
	v_max3_f32 v136, v136, v133, v134
	s_waitcnt lgkmcnt(0)
	s_delay_alu instid0(VALU_DEP_1) | instskip(NEXT) | instid1(VALU_DEP_1)
	v_max3_f32 v136, v136, v160, v161
	v_sub_f32_e32 v164, v132, v136
	ds_load_2addr_b32 v[162:163], v135 offset0:136 offset1:153
	v_sub_f32_e32 v129, v129, v136
	v_sub_f32_e32 v137, v130, v136
	v_sub_f32_e32 v133, v133, v136
	v_mul_f32_e32 v164, 0x3fb8aa3b, v164
	s_delay_alu instid0(VALU_DEP_4) | instskip(NEXT) | instid1(VALU_DEP_4)
	v_mul_f32_e32 v150, 0x3fb8aa3b, v129
	v_mul_f32_e32 v137, 0x3fb8aa3b, v137
	ds_load_2addr_b32 v[129:130], v135 offset0:170 offset1:187
	v_mul_f32_e32 v167, 0x3fb8aa3b, v133
	v_exp_f32_e32 v164, v164
	v_exp_f32_e32 v150, v150
	;; [unrolled: 1-line block ×3, first 2 shown]
	v_sub_f32_e32 v131, v131, v136
	s_delay_alu instid0(VALU_DEP_1)
	v_mul_f32_e32 v165, 0x3fb8aa3b, v131
	ds_load_2addr_b32 v[131:132], v135 offset0:204 offset1:221
	s_waitcnt lgkmcnt(2)
	v_fma_f32 v137, v150, v162, 0
	v_sub_f32_e32 v162, v134, v136
	v_exp_f32_e32 v165, v165
	ds_load_2addr_b32 v[133:134], v135 offset0:238 offset1:255
	v_sub_f32_e32 v135, v160, v136
	v_dual_fmac_f32 v137, v166, v163 :: v_dual_mul_f32 v160, 0x3fb8aa3b, v162
	v_exp_f32_e32 v162, v167
	s_waitcnt lgkmcnt(0)
	s_delay_alu instid0(VALU_DEP_2)
	v_mul_f32_e32 v135, 0x3fb8aa3b, v135
	s_barrier
	v_exp_f32_e32 v160, v160
	v_fmac_f32_e32 v137, v165, v129
	v_sub_f32_e32 v129, v161, v136
	v_exp_f32_e32 v161, v135
	buffer_gl0_inv
	v_fmac_f32_e32 v137, v164, v130
	v_dual_mul_f32 v129, 0x3fb8aa3b, v129 :: v_dual_cndmask_b32 v130, v150, v166
	s_delay_alu instid0(VALU_DEP_2) | instskip(NEXT) | instid1(VALU_DEP_2)
	v_fmac_f32_e32 v137, v162, v131
	v_exp_f32_e32 v163, v129
	s_delay_alu instid0(VALU_DEP_1) | instskip(NEXT) | instid1(VALU_DEP_1)
	v_fmac_f32_e32 v137, v160, v132
	v_fmac_f32_e32 v137, v161, v133
	v_lshlrev_b32_e32 v133, 6, v148
	s_waitcnt_depctr 0xfff
	v_fmac_f32_e32 v137, v163, v134
	v_lshl_or_b32 v135, v149, 11, v133
	s_delay_alu instid0(VALU_DEP_2) | instskip(NEXT) | instid1(VALU_DEP_1)
	v_add_f32_e32 v134, 0x358637bd, v137
	v_div_scale_f32 v167, null, v134, v134, 1.0
	v_div_scale_f32 v150, vcc_lo, 1.0, v134, 1.0
	s_delay_alu instid0(VALU_DEP_2) | instskip(SKIP_2) | instid1(VALU_DEP_1)
	v_rcp_f32_e32 v168, v167
	s_waitcnt_depctr 0xfff
	v_fma_f32 v129, -v167, v168, 1.0
	v_fmac_f32_e32 v168, v129, v168
	v_cndmask_b32_e64 v129, v130, v165, s4
	v_cmp_eq_u32_e64 s4, 6, v149
	s_delay_alu instid0(VALU_DEP_3) | instskip(NEXT) | instid1(VALU_DEP_3)
	v_mul_f32_e32 v165, v150, v168
	v_cndmask_b32_e64 v130, v129, v164, s5
	v_lshlrev_b32_e32 v129, 2, v146
	s_delay_alu instid0(VALU_DEP_3) | instskip(NEXT) | instid1(VALU_DEP_3)
	v_fma_f32 v131, -v167, v165, v150
	v_cndmask_b32_e64 v162, v130, v162, s6
	s_delay_alu instid0(VALU_DEP_3)
	v_or_b32_e32 v130, 1, v129
	v_or_b32_e32 v132, 2, v129
	v_cmp_eq_u32_e64 s5, 1, v129
	v_fmac_f32_e32 v165, v131, v168
	v_cndmask_b32_e64 v149, v162, v160, s7
	v_or_b32_e32 v131, 3, v129
	v_cmp_eq_u32_e64 s10, 1, v130
	v_cmp_eq_u32_e64 s11, 1, v132
	v_fma_f32 v150, -v167, v165, v150
	v_cndmask_b32_e64 v149, v149, v161, s4
	v_cmp_eq_u32_e64 s12, 1, v131
	v_cmp_eq_u32_e64 s6, 2, v129
	v_cmp_eq_u32_e64 s13, 2, v130
	v_div_fmas_f32 v150, v150, v168, v165
	v_cndmask_b32_e64 v149, v149, v163, s8
	v_cmp_eq_u32_e64 s16, 2, v132
	v_cmp_eq_u32_e64 s17, 2, v131
	v_cmp_eq_u32_e32 vcc_lo, 3, v129
	v_div_fixup_f32 v150, v150, v134, 1.0
	v_lshl_or_b32 v134, v146, 4, v135
	v_cmp_eq_u32_e64 s15, 3, v130
	v_cmp_eq_u32_e64 s19, 3, v131
	;; [unrolled: 1-line block ×3, first 2 shown]
	v_mul_f32_e32 v149, v149, v150
	v_cmp_eq_u32_e64 s18, 3, v132
	v_cmp_eq_u32_e64 s20, 4, v130
	;; [unrolled: 1-line block ×4, first 2 shown]
	v_fma_mixlo_f16 v160, v149, v152, 0
	v_fma_mixlo_f16 v161, v149, v154, 0
	;; [unrolled: 1-line block ×8, first 2 shown]
	v_fma_mixhi_f16 v160, v149, v151, 0
	v_fma_mixhi_f16 v161, v149, v153, 0
	;; [unrolled: 1-line block ×8, first 2 shown]
	ds_store_b128 v134, v[160:163]
	ds_store_b128 v134, v[154:157] offset:1024
	s_waitcnt lgkmcnt(0)
	s_barrier
	buffer_gl0_inv
	ds_load_b128 v[138:141], v135
	ds_load_b128 v[149:152], v135 offset:16
	ds_load_b128 v[153:156], v135 offset:1024
	;; [unrolled: 1-line block ×3, first 2 shown]
	v_cmp_eq_u32_e64 s21, 5, v130
	v_cmp_eq_u32_e64 s22, 4, v132
	;; [unrolled: 1-line block ×12, first 2 shown]
	s_waitcnt lgkmcnt(3)
	v_lshrrev_b32_e32 v142, 16, v138
	s_waitcnt lgkmcnt(2)
	v_lshrrev_b32_e32 v162, 16, v149
	s_waitcnt lgkmcnt(1)
	v_lshrrev_b32_e32 v166, 16, v153
	s_waitcnt lgkmcnt(0)
	v_lshrrev_b32_e32 v170, 16, v157
	v_lshrrev_b32_e32 v143, 16, v139
	v_cndmask_b32_e64 v174, v138, v142, s5
	v_cndmask_b32_e64 v175, v149, v162, s5
	;; [unrolled: 1-line block ×7, first 2 shown]
	v_lshrrev_b32_e32 v163, 16, v150
	v_cndmask_b32_e64 v179, v149, v162, s11
	v_cndmask_b32_e64 v149, v153, v166, s5
	;; [unrolled: 1-line block ×16, first 2 shown]
	v_lshrrev_b32_e32 v167, 16, v154
	v_lshrrev_b32_e32 v171, 16, v158
	v_cndmask_b32_e64 v177, v179, v150, s16
	v_cndmask_b32_e64 v142, v149, v154, s6
	;; [unrolled: 1-line block ×7, first 2 shown]
	v_cndmask_b32_e32 v157, v166, v143, vcc_lo
	v_cndmask_b32_e32 v166, v170, v163, vcc_lo
	v_cndmask_b32_e64 v170, v174, v143, s15
	v_cndmask_b32_e64 v174, v175, v163, s15
	;; [unrolled: 1-line block ×4, first 2 shown]
	v_lshrrev_b32_e32 v144, 16, v140
	v_lshrrev_b32_e32 v164, 16, v151
	v_cndmask_b32_e64 v175, v176, v143, s18
	v_cndmask_b32_e64 v176, v177, v163, s18
	v_cndmask_b32_e32 v142, v142, v167, vcc_lo
	v_cndmask_b32_e32 v143, v149, v171, vcc_lo
	v_cndmask_b32_e64 v149, v150, v167, s15
	v_cndmask_b32_e64 v150, v157, v140, s4
	;; [unrolled: 1-line block ×7, first 2 shown]
	v_lshrrev_b32_e32 v168, 16, v155
	v_cndmask_b32_e64 v170, v175, v140, s22
	v_cndmask_b32_e64 v174, v176, v151, s22
	;; [unrolled: 1-line block ×11, first 2 shown]
	v_lshrrev_b32_e32 v161, 16, v141
	v_lshrrev_b32_e32 v165, 16, v152
	v_cndmask_b32_e64 v163, v170, v144, s24
	v_cndmask_b32_e64 v166, v174, v164, s24
	v_cndmask_b32_e64 v143, v143, v168, s21
	v_cndmask_b32_e64 v144, v149, v141, s8
	v_cndmask_b32_e64 v149, v150, v152, s8
	v_cndmask_b32_e64 v150, v151, v141, s26
	v_cndmask_b32_e64 v151, v157, v152, s26
	v_cndmask_b32_e64 v138, v138, v141, s28
	v_cndmask_b32_e64 v139, v139, v152, s28
	v_lshrrev_b32_e32 v169, 16, v156
	v_cndmask_b32_e64 v140, v140, v168, s7
	v_cndmask_b32_e64 v157, v163, v141, s27
	;; [unrolled: 1-line block ×14, first 2 shown]
	v_perm_b32 v141, v139, v138, 0x5040100
	v_perm_b32 v139, v151, v149, 0x5040100
	v_cndmask_b32_e64 v138, v183, v158, s16
	v_cndmask_b32_e64 v149, v181, v158, s13
	;; [unrolled: 1-line block ×3, first 2 shown]
	v_perm_b32 v140, v152, v150, 0x5040100
	v_cndmask_b32_e64 v150, v162, v167, s18
	v_cndmask_b32_e64 v151, v153, v167, s19
	;; [unrolled: 1-line block ×5, first 2 shown]
	v_lshrrev_b32_e32 v172, 16, v159
	v_cndmask_b32_e64 v150, v150, v155, s22
	v_cndmask_b32_e64 v151, v151, v155, s23
	;; [unrolled: 1-line block ×11, first 2 shown]
	v_lshrrev_b32_e32 v173, 16, v160
	v_cndmask_b32_e64 v142, v142, v160, s8
	v_cndmask_b32_e64 v150, v150, v156, s27
	;; [unrolled: 1-line block ×12, first 2 shown]
	v_perm_b32 v138, v144, v143, 0x5040100
	v_perm_b32 v152, v152, v151, 0x5040100
	v_perm_b32 v151, v153, v150, 0x5040100
	v_perm_b32 v150, v149, v161, 0x5040100
	v_perm_b32 v149, v142, v157, 0x5040100
	s_mul_i32 s8, s35, 9
	s_mov_b32 s4, exec_lo
	ds_store_b128 v134, v[138:141]
	ds_store_b128 v134, v[149:152] offset:1024
	v_cmpx_gt_u32_e32 9, v0
	s_cbranch_execz .LBB102_14
; %bb.13:
	s_mul_i32 s5, s8, s34
	s_load_b128 s[16:19], s[0:1], 0x58
	v_add3_u32 v140, s5, s33, v148
	s_delay_alu instid0(VALU_DEP_1) | instskip(NEXT) | instid1(VALU_DEP_1)
	v_mad_u64_u32 v[138:139], null, v140, s36, s[14:15]
	v_ashrrev_i32_e32 v139, 31, v138
	s_delay_alu instid0(VALU_DEP_1) | instskip(SKIP_1) | instid1(VALU_DEP_1)
	v_lshlrev_b64 v[138:139], 2, v[138:139]
	s_waitcnt lgkmcnt(0)
	v_add_co_u32 v140, vcc_lo, s18, v138
	s_delay_alu instid0(VALU_DEP_2)
	v_add_co_ci_u32_e32 v141, vcc_lo, s19, v139, vcc_lo
	v_add_co_u32 v138, vcc_lo, s16, v138
	v_add_co_ci_u32_e32 v139, vcc_lo, s17, v139, vcc_lo
	global_store_b32 v[140:141], v136, off
	global_store_b32 v[138:139], v137, off
.LBB102_14:
	s_or_b32 exec_lo, exec_lo, s4
	s_waitcnt lgkmcnt(0)
	s_waitcnt_vscnt null, 0x0
	s_barrier
	buffer_gl0_inv
	ds_load_b128 v[148:151], v133
	ds_load_b128 v[152:155], v133 offset:16
	ds_load_b128 v[160:163], v133 offset:1040
	;; [unrolled: 1-line block ×5, first 2 shown]
	v_cmp_eq_u32_e32 vcc_lo, 1, v132
	v_mov_b32_e32 v136, 0
	ds_load_b128 v[176:179], v133 offset:3088
	ds_load_b128 v[172:175], v133 offset:3072
	;; [unrolled: 1-line block ×4, first 2 shown]
	v_cmp_eq_u32_e64 s4, 1, v129
	v_cmp_eq_u32_e64 s5, 1, v131
	;; [unrolled: 1-line block ×3, first 2 shown]
	v_mov_b32_e32 v137, v136
	v_mov_b32_e32 v138, v136
	v_mov_b32_e32 v139, v136
	v_mov_b32_e32 v140, v136
	v_mov_b32_e32 v141, v136
	v_mov_b32_e32 v142, v136
	v_mov_b32_e32 v143, v136
	v_cmp_eq_u32_e64 s7, 2, v129
	s_waitcnt lgkmcnt(8)
	s_delay_alu instid0(VALU_DEP_2)
	v_wmma_f32_16x16x16_f16 v[136:143], v[121:128], v[148:155], v[136:143]
	ds_load_b128 v[125:128], v133 offset:5136
	ds_load_b128 v[121:124], v133 offset:5120
	s_waitcnt lgkmcnt(8)
	v_wmma_f32_16x16x16_f16 v[136:143], v[113:120], v[156:163], v[136:143]
	ds_load_b128 v[117:120], v133 offset:6160
	ds_load_b128 v[113:116], v133 offset:6144
	s_waitcnt lgkmcnt(8)
	v_wmma_f32_16x16x16_f16 v[136:143], v[105:112], v[164:171], v[136:143]
	ds_load_b128 v[109:112], v133 offset:7184
	ds_load_b128 v[105:108], v133 offset:7168
	s_waitcnt lgkmcnt(8)
	v_wmma_f32_16x16x16_f16 v[136:143], v[97:104], v[172:179], v[136:143]
	ds_load_b128 v[101:104], v133 offset:8208
	ds_load_b128 v[97:100], v133 offset:8192
	s_waitcnt lgkmcnt(8)
	v_wmma_f32_16x16x16_f16 v[136:143], v[89:96], v[180:187], v[136:143]
	ds_load_b128 v[93:96], v133 offset:9232
	ds_load_b128 v[89:92], v133 offset:9216
	s_waitcnt lgkmcnt(8)
	v_wmma_f32_16x16x16_f16 v[136:143], v[81:88], v[121:128], v[136:143]
	ds_load_b128 v[85:88], v133 offset:10256
	ds_load_b128 v[81:84], v133 offset:10240
	s_waitcnt lgkmcnt(8)
	v_wmma_f32_16x16x16_f16 v[136:143], v[73:80], v[113:120], v[136:143]
	ds_load_b128 v[77:80], v133 offset:11280
	ds_load_b128 v[73:76], v133 offset:11264
	s_waitcnt lgkmcnt(8)
	v_wmma_f32_16x16x16_f16 v[136:143], v[65:72], v[105:112], v[136:143]
	ds_load_b128 v[69:72], v133 offset:12304
	ds_load_b128 v[65:68], v133 offset:12288
	s_waitcnt lgkmcnt(8)
	v_wmma_f32_16x16x16_f16 v[136:143], v[57:64], v[97:104], v[136:143]
	ds_load_b128 v[61:64], v133 offset:13328
	ds_load_b128 v[57:60], v133 offset:13312
	s_waitcnt lgkmcnt(8)
	v_wmma_f32_16x16x16_f16 v[136:143], v[49:56], v[89:96], v[136:143]
	ds_load_b128 v[53:56], v133 offset:14352
	ds_load_b128 v[49:52], v133 offset:14336
	s_waitcnt lgkmcnt(8)
	v_wmma_f32_16x16x16_f16 v[136:143], v[25:32], v[81:88], v[136:143]
	ds_load_b128 v[29:32], v133 offset:15376
	ds_load_b128 v[25:28], v133 offset:15360
	s_waitcnt lgkmcnt(0)
	s_barrier
	buffer_gl0_inv
	v_wmma_f32_16x16x16_f16 v[136:143], v[1:8], v[73:80], v[136:143]
	s_delay_alu instid0(VALU_DEP_1) | instskip(NEXT) | instid1(VALU_DEP_1)
	v_wmma_f32_16x16x16_f16 v[136:143], v[9:16], v[65:72], v[136:143]
	v_wmma_f32_16x16x16_f16 v[136:143], v[33:40], v[57:64], v[136:143]
	s_delay_alu instid0(VALU_DEP_1) | instskip(NEXT) | instid1(VALU_DEP_1)
	v_wmma_f32_16x16x16_f16 v[136:143], v[41:48], v[49:56], v[136:143]
	v_wmma_f32_16x16x16_f16 v[136:143], v[17:24], v[25:32], v[136:143]
	s_delay_alu instid0(VALU_DEP_1) | instskip(NEXT) | instid1(VALU_DEP_2)
	v_cvt_f16_f32_e64 v1, v136
	v_cvt_f16_f32_e64 v2, v137
	s_delay_alu instid0(VALU_DEP_3) | instskip(NEXT) | instid1(VALU_DEP_4)
	v_cvt_f16_f32_e64 v3, v138
	v_cvt_f16_f32_e64 v4, v139
	;; [unrolled: 1-line block ×6, first 2 shown]
	v_pack_b32_f16 v1, v1, v2
	v_pack_b32_f16 v2, v3, v4
	;; [unrolled: 1-line block ×3, first 2 shown]
	s_delay_alu instid0(VALU_DEP_4)
	v_pack_b32_f16 v4, v7, v8
	ds_store_b128 v134, v[1:4]
	s_waitcnt lgkmcnt(0)
	s_barrier
	buffer_gl0_inv
	ds_load_b128 v[1:4], v135
	ds_load_b128 v[5:8], v135 offset:16
	s_waitcnt lgkmcnt(1)
	v_lshrrev_b32_e32 v9, 16, v1
	s_waitcnt lgkmcnt(0)
	v_lshrrev_b32_e32 v13, 16, v5
	v_lshrrev_b32_e32 v10, 16, v2
	;; [unrolled: 1-line block ×4, first 2 shown]
	v_cndmask_b32_e64 v17, v1, v9, s4
	v_cndmask_b32_e64 v18, v5, v13, s4
	;; [unrolled: 1-line block ×3, first 2 shown]
	v_cmp_eq_u32_e64 s4, 2, v130
	v_cndmask_b32_e64 v20, v5, v13, s6
	v_cndmask_b32_e32 v21, v1, v9, vcc_lo
	v_cndmask_b32_e32 v22, v5, v13, vcc_lo
	v_cndmask_b32_e64 v1, v1, v9, s5
	v_cndmask_b32_e64 v5, v5, v13, s5
	v_cmp_eq_u32_e32 vcc_lo, 2, v132
	v_cmp_eq_u32_e64 s5, 2, v131
	v_cndmask_b32_e64 v9, v17, v2, s7
	v_cndmask_b32_e64 v13, v18, v6, s7
	;; [unrolled: 1-line block ×4, first 2 shown]
	v_cndmask_b32_e32 v19, v21, v2, vcc_lo
	v_cmp_eq_u32_e64 s4, 3, v132
	v_cndmask_b32_e32 v20, v22, v6, vcc_lo
	v_cndmask_b32_e64 v1, v1, v2, s5
	v_cmp_eq_u32_e32 vcc_lo, 3, v131
	v_cmp_eq_u32_e64 s6, 3, v129
	v_cndmask_b32_e64 v2, v5, v6, s5
	v_cmp_eq_u32_e64 s5, 3, v130
	v_cmp_eq_u32_e64 s7, 4, v129
	v_cndmask_b32_e32 v1, v1, v10, vcc_lo
	v_cndmask_b32_e64 v5, v9, v10, s6
	v_cndmask_b32_e64 v6, v13, v14, s6
	;; [unrolled: 1-line block ×3, first 2 shown]
	v_cmp_eq_u32_e64 s6, 4, v130
	v_cndmask_b32_e64 v13, v18, v14, s5
	v_cndmask_b32_e64 v17, v19, v10, s4
	v_cndmask_b32_e64 v18, v20, v14, s4
	v_cndmask_b32_e32 v2, v2, v14, vcc_lo
	v_cmp_eq_u32_e32 vcc_lo, 4, v132
	v_cmp_eq_u32_e64 s5, 4, v131
	v_lshrrev_b32_e32 v15, 16, v7
	v_cndmask_b32_e64 v5, v5, v3, s7
	v_cndmask_b32_e64 v6, v6, v7, s7
	v_cndmask_b32_e32 v14, v18, v7, vcc_lo
	v_cndmask_b32_e64 v9, v9, v3, s6
	v_cndmask_b32_e64 v10, v13, v7, s6
	v_cndmask_b32_e32 v13, v17, v3, vcc_lo
	v_cmp_eq_u32_e64 s4, 5, v132
	v_cndmask_b32_e64 v1, v1, v3, s5
	v_cmp_eq_u32_e32 vcc_lo, 5, v131
	v_cmp_eq_u32_e64 s6, 5, v129
	v_cndmask_b32_e64 v2, v2, v7, s5
	v_cmp_eq_u32_e64 s5, 5, v130
	v_cmp_eq_u32_e64 s7, 6, v129
	v_lshrrev_b32_e32 v12, 16, v4
	v_cndmask_b32_e64 v3, v5, v11, s6
	v_cndmask_b32_e64 v5, v6, v15, s6
	;; [unrolled: 1-line block ×3, first 2 shown]
	v_cmp_eq_u32_e64 s6, 6, v130
	v_cndmask_b32_e64 v7, v10, v15, s5
	v_cndmask_b32_e64 v9, v13, v11, s4
	;; [unrolled: 1-line block ×3, first 2 shown]
	v_cndmask_b32_e32 v1, v1, v11, vcc_lo
	v_cndmask_b32_e32 v2, v2, v15, vcc_lo
	v_cmp_eq_u32_e32 vcc_lo, 6, v132
	v_cmp_eq_u32_e64 s4, 6, v131
	v_lshrrev_b32_e32 v16, 16, v8
	v_cndmask_b32_e64 v3, v3, v4, s7
	v_cndmask_b32_e64 v5, v5, v8, s7
	v_cndmask_b32_e32 v9, v9, v4, vcc_lo
	v_cndmask_b32_e64 v6, v6, v4, s6
	v_cndmask_b32_e64 v7, v7, v8, s6
	v_cmp_eq_u32_e64 s5, 7, v132
	v_cndmask_b32_e32 v10, v10, v8, vcc_lo
	v_cndmask_b32_e64 v1, v1, v4, s4
	v_cmp_eq_u32_e32 vcc_lo, 7, v131
	v_cndmask_b32_e64 v2, v2, v8, s4
	v_cmp_eq_u32_e64 s4, 7, v129
	v_cmp_eq_u32_e64 s6, 7, v130
	v_cndmask_b32_e32 v1, v1, v12, vcc_lo
	s_delay_alu instid0(VALU_DEP_4) | instskip(NEXT) | instid1(VALU_DEP_4)
	v_cndmask_b32_e32 v2, v2, v16, vcc_lo
	v_cndmask_b32_e64 v8, v3, v12, s4
	s_delay_alu instid0(VALU_DEP_4)
	v_cndmask_b32_e64 v6, v6, v12, s6
	v_cndmask_b32_e64 v3, v9, v12, s5
	;; [unrolled: 1-line block ×5, first 2 shown]
	v_cmp_gt_u32_e32 vcc_lo, 32, v0
	v_perm_b32 v4, v2, v1, 0x5040100
	v_perm_b32 v3, v9, v3, 0x5040100
	;; [unrolled: 1-line block ×4, first 2 shown]
	s_and_b32 s2, vcc_lo, s2
	ds_store_b128 v134, v[1:4]
	s_waitcnt lgkmcnt(0)
	s_barrier
	buffer_gl0_inv
	s_and_saveexec_b32 s4, s2
	s_cbranch_execz .LBB102_2
; %bb.15:
	s_load_b64 s[4:5], s[0:1], 0x68
	v_lshlrev_b32_e32 v0, 10, v0
	v_lshlrev_b32_e32 v1, 4, v147
	s_lshl_b32 s0, s36, 6
	v_add_nc_u32_e32 v2, s33, v146
	s_mul_i32 s1, s0, s34
	s_delay_alu instid0(SALU_CYCLE_1) | instskip(SKIP_1) | instid1(VALU_DEP_2)
	s_mul_i32 s6, s1, s8
	v_and_or_b32 v0, 0x3800, v0, v1
	v_mul_lo_u32 v1, v2, s0
	s_ashr_i32 s7, s6, 31
	v_add_nc_u32_e32 v3, 2, v2
	s_lshl_b64 s[6:7], s[6:7], 1
	v_add_nc_u32_e32 v4, 4, v2
	v_add_nc_u32_e32 v5, 6, v2
	v_lshl_or_b32 v15, v146, 6, v0
	v_mul_lo_u32 v3, v3, s0
	v_ashrrev_i32_e32 v2, 31, v1
	v_mul_lo_u32 v19, v4, s0
	v_mul_lo_u32 v21, v5, s0
	s_waitcnt lgkmcnt(0)
	s_add_u32 s1, s4, s6
	s_addc_u32 s2, s5, s7
	s_lshl_b32 s4, s14, 6
	v_lshlrev_b64 v[5:6], 1, v[1:2]
	s_ashr_i32 s5, s4, 31
	v_ashrrev_i32_e32 v4, 31, v3
	s_lshl_b64 s[4:5], s[4:5], 1
	v_ashrrev_i32_e32 v20, 31, v19
	s_add_u32 s1, s1, s4
	s_addc_u32 s2, s2, s5
	v_add_co_u32 v1, s1, s1, v145
	s_delay_alu instid0(VALU_DEP_1) | instskip(SKIP_1) | instid1(VALU_DEP_3)
	v_add_co_ci_u32_e64 v2, null, s2, 0, s1
	v_lshlrev_b64 v[25:26], 1, v[3:4]
	v_add_co_u32 v23, vcc_lo, v1, v5
	s_delay_alu instid0(VALU_DEP_3)
	v_add_co_ci_u32_e32 v24, vcc_lo, v2, v6, vcc_lo
	ds_load_b128 v[3:6], v15
	ds_load_b128 v[7:10], v15 offset:128
	ds_load_b128 v[11:14], v15 offset:256
	;; [unrolled: 1-line block ×3, first 2 shown]
	v_ashrrev_i32_e32 v22, 31, v21
	v_lshlrev_b64 v[19:20], 1, v[19:20]
	v_add_co_u32 v25, vcc_lo, v1, v25
	v_add_co_ci_u32_e32 v26, vcc_lo, v2, v26, vcc_lo
	s_delay_alu instid0(VALU_DEP_4) | instskip(NEXT) | instid1(VALU_DEP_4)
	v_lshlrev_b64 v[21:22], 1, v[21:22]
	v_add_co_u32 v19, vcc_lo, v1, v19
	v_add_co_ci_u32_e32 v20, vcc_lo, v2, v20, vcc_lo
	s_delay_alu instid0(VALU_DEP_3) | instskip(NEXT) | instid1(VALU_DEP_4)
	v_add_co_u32 v21, vcc_lo, v1, v21
	v_add_co_ci_u32_e32 v22, vcc_lo, v2, v22, vcc_lo
	s_waitcnt lgkmcnt(3)
	global_store_b128 v[23:24], v[3:6], off
	s_waitcnt lgkmcnt(2)
	global_store_b128 v[25:26], v[7:10], off
	;; [unrolled: 2-line block ×4, first 2 shown]
	s_and_b32 exec_lo, exec_lo, s3
	s_cbranch_execz .LBB102_2
; %bb.16:
	ds_load_b128 v[3:6], v0 offset:512
	s_add_i32 s1, s33, 8
	s_delay_alu instid0(SALU_CYCLE_1) | instskip(NEXT) | instid1(SALU_CYCLE_1)
	s_mul_i32 s0, s1, s0
	s_ashr_i32 s1, s0, 31
	s_delay_alu instid0(SALU_CYCLE_1) | instskip(NEXT) | instid1(SALU_CYCLE_1)
	s_lshl_b64 s[0:1], s[0:1], 1
	v_add_co_u32 v0, vcc_lo, v1, s0
	v_add_co_ci_u32_e32 v1, vcc_lo, s1, v2, vcc_lo
	s_waitcnt lgkmcnt(0)
	global_store_b128 v[0:1], v[3:6], off
	s_nop 0
	s_sendmsg sendmsg(MSG_DEALLOC_VGPRS)
	s_endpgm
	.section	.rodata,"a",@progbits
	.p2align	6, 0x0
	.amdhsa_kernel _Z39paged_attention_ll4mi_QKV_mfma16_kernelIDF16_DF16_LN4vllm18Fp8KVCacheDataTypeE0EDF16_Li16ELi64ELi256ELb0ELi9EL8MFMAType0EEvPKT_PKT0_S8_ifPKiSA_SA_iPKfiiiPfSD_PS3_PT2_iSC_SC_
		.amdhsa_group_segment_fixed_size 17472
		.amdhsa_private_segment_fixed_size 0
		.amdhsa_kernarg_size 400
		.amdhsa_user_sgpr_count 13
		.amdhsa_user_sgpr_dispatch_ptr 0
		.amdhsa_user_sgpr_queue_ptr 0
		.amdhsa_user_sgpr_kernarg_segment_ptr 1
		.amdhsa_user_sgpr_dispatch_id 0
		.amdhsa_user_sgpr_private_segment_size 0
		.amdhsa_wavefront_size32 1
		.amdhsa_uses_dynamic_stack 0
		.amdhsa_enable_private_segment 0
		.amdhsa_system_sgpr_workgroup_id_x 1
		.amdhsa_system_sgpr_workgroup_id_y 1
		.amdhsa_system_sgpr_workgroup_id_z 1
		.amdhsa_system_sgpr_workgroup_info 0
		.amdhsa_system_vgpr_workitem_id 0
		.amdhsa_next_free_vgpr 198
		.amdhsa_next_free_sgpr 52
		.amdhsa_reserve_vcc 1
		.amdhsa_float_round_mode_32 0
		.amdhsa_float_round_mode_16_64 0
		.amdhsa_float_denorm_mode_32 3
		.amdhsa_float_denorm_mode_16_64 3
		.amdhsa_dx10_clamp 1
		.amdhsa_ieee_mode 1
		.amdhsa_fp16_overflow 0
		.amdhsa_workgroup_processor_mode 1
		.amdhsa_memory_ordered 1
		.amdhsa_forward_progress 0
		.amdhsa_shared_vgpr_count 0
		.amdhsa_exception_fp_ieee_invalid_op 0
		.amdhsa_exception_fp_denorm_src 0
		.amdhsa_exception_fp_ieee_div_zero 0
		.amdhsa_exception_fp_ieee_overflow 0
		.amdhsa_exception_fp_ieee_underflow 0
		.amdhsa_exception_fp_ieee_inexact 0
		.amdhsa_exception_int_div_zero 0
	.end_amdhsa_kernel
	.section	.text._Z39paged_attention_ll4mi_QKV_mfma16_kernelIDF16_DF16_LN4vllm18Fp8KVCacheDataTypeE0EDF16_Li16ELi64ELi256ELb0ELi9EL8MFMAType0EEvPKT_PKT0_S8_ifPKiSA_SA_iPKfiiiPfSD_PS3_PT2_iSC_SC_,"axG",@progbits,_Z39paged_attention_ll4mi_QKV_mfma16_kernelIDF16_DF16_LN4vllm18Fp8KVCacheDataTypeE0EDF16_Li16ELi64ELi256ELb0ELi9EL8MFMAType0EEvPKT_PKT0_S8_ifPKiSA_SA_iPKfiiiPfSD_PS3_PT2_iSC_SC_,comdat
.Lfunc_end102:
	.size	_Z39paged_attention_ll4mi_QKV_mfma16_kernelIDF16_DF16_LN4vllm18Fp8KVCacheDataTypeE0EDF16_Li16ELi64ELi256ELb0ELi9EL8MFMAType0EEvPKT_PKT0_S8_ifPKiSA_SA_iPKfiiiPfSD_PS3_PT2_iSC_SC_, .Lfunc_end102-_Z39paged_attention_ll4mi_QKV_mfma16_kernelIDF16_DF16_LN4vllm18Fp8KVCacheDataTypeE0EDF16_Li16ELi64ELi256ELb0ELi9EL8MFMAType0EEvPKT_PKT0_S8_ifPKiSA_SA_iPKfiiiPfSD_PS3_PT2_iSC_SC_
                                        ; -- End function
	.section	.AMDGPU.csdata,"",@progbits
; Kernel info:
; codeLenInByte = 7952
; NumSgprs: 54
; NumVgprs: 198
; ScratchSize: 0
; MemoryBound: 0
; FloatMode: 240
; IeeeMode: 1
; LDSByteSize: 17472 bytes/workgroup (compile time only)
; SGPRBlocks: 6
; VGPRBlocks: 24
; NumSGPRsForWavesPerEU: 54
; NumVGPRsForWavesPerEU: 198
; Occupancy: 7
; WaveLimiterHint : 1
; COMPUTE_PGM_RSRC2:SCRATCH_EN: 0
; COMPUTE_PGM_RSRC2:USER_SGPR: 13
; COMPUTE_PGM_RSRC2:TRAP_HANDLER: 0
; COMPUTE_PGM_RSRC2:TGID_X_EN: 1
; COMPUTE_PGM_RSRC2:TGID_Y_EN: 1
; COMPUTE_PGM_RSRC2:TGID_Z_EN: 1
; COMPUTE_PGM_RSRC2:TIDIG_COMP_CNT: 0
	.section	.text._Z39paged_attention_ll4mi_QKV_mfma16_kernelIDF16_DF16_LN4vllm18Fp8KVCacheDataTypeE0EDF16_Li16ELi64ELi256ELb0ELi10EL8MFMAType0EEvPKT_PKT0_S8_ifPKiSA_SA_iPKfiiiPfSD_PS3_PT2_iSC_SC_,"axG",@progbits,_Z39paged_attention_ll4mi_QKV_mfma16_kernelIDF16_DF16_LN4vllm18Fp8KVCacheDataTypeE0EDF16_Li16ELi64ELi256ELb0ELi10EL8MFMAType0EEvPKT_PKT0_S8_ifPKiSA_SA_iPKfiiiPfSD_PS3_PT2_iSC_SC_,comdat
	.protected	_Z39paged_attention_ll4mi_QKV_mfma16_kernelIDF16_DF16_LN4vllm18Fp8KVCacheDataTypeE0EDF16_Li16ELi64ELi256ELb0ELi10EL8MFMAType0EEvPKT_PKT0_S8_ifPKiSA_SA_iPKfiiiPfSD_PS3_PT2_iSC_SC_ ; -- Begin function _Z39paged_attention_ll4mi_QKV_mfma16_kernelIDF16_DF16_LN4vllm18Fp8KVCacheDataTypeE0EDF16_Li16ELi64ELi256ELb0ELi10EL8MFMAType0EEvPKT_PKT0_S8_ifPKiSA_SA_iPKfiiiPfSD_PS3_PT2_iSC_SC_
	.globl	_Z39paged_attention_ll4mi_QKV_mfma16_kernelIDF16_DF16_LN4vllm18Fp8KVCacheDataTypeE0EDF16_Li16ELi64ELi256ELb0ELi10EL8MFMAType0EEvPKT_PKT0_S8_ifPKiSA_SA_iPKfiiiPfSD_PS3_PT2_iSC_SC_
	.p2align	8
	.type	_Z39paged_attention_ll4mi_QKV_mfma16_kernelIDF16_DF16_LN4vllm18Fp8KVCacheDataTypeE0EDF16_Li16ELi64ELi256ELb0ELi10EL8MFMAType0EEvPKT_PKT0_S8_ifPKiSA_SA_iPKfiiiPfSD_PS3_PT2_iSC_SC_,@function
_Z39paged_attention_ll4mi_QKV_mfma16_kernelIDF16_DF16_LN4vllm18Fp8KVCacheDataTypeE0EDF16_Li16ELi64ELi256ELb0ELi10EL8MFMAType0EEvPKT_PKT0_S8_ifPKiSA_SA_iPKfiiiPfSD_PS3_PT2_iSC_SC_: ; @_Z39paged_attention_ll4mi_QKV_mfma16_kernelIDF16_DF16_LN4vllm18Fp8KVCacheDataTypeE0EDF16_Li16ELi64ELi256ELb0ELi10EL8MFMAType0EEvPKT_PKT0_S8_ifPKiSA_SA_iPKfiiiPfSD_PS3_PT2_iSC_SC_
; %bb.0:
	s_load_b64 s[2:3], s[0:1], 0x30
	s_mov_b32 s34, s13
	s_waitcnt lgkmcnt(0)
	s_cmp_lg_u64 s[2:3], 0
	s_cselect_b32 s6, -1, 0
	s_ashr_i32 s35, s13, 31
	s_cmp_eq_u64 s[2:3], 0
	s_cbranch_scc1 .LBB103_3
; %bb.1:
	s_lshl_b64 s[4:5], s[34:35], 2
	s_delay_alu instid0(SALU_CYCLE_1) | instskip(SKIP_4) | instid1(SALU_CYCLE_1)
	s_add_u32 s4, s2, s4
	s_addc_u32 s5, s3, s5
	s_load_b64 s[4:5], s[4:5], 0x0
	s_waitcnt lgkmcnt(0)
	s_sub_i32 s4, s5, s4
	s_cmp_eq_u32 s4, 1
	s_cselect_b32 s4, -1, 0
	s_delay_alu instid0(SALU_CYCLE_1)
	s_and_not1_b32 vcc_lo, exec_lo, s4
	s_cbranch_vccz .LBB103_4
.LBB103_2:
	s_endpgm
.LBB103_3:
.LBB103_4:
	s_load_b64 s[8:9], s[0:1], 0x28
	s_lshl_b64 s[4:5], s[34:35], 2
	s_waitcnt lgkmcnt(0)
	s_add_u32 s8, s8, s4
	s_addc_u32 s9, s9, s5
	s_lshl_b32 s35, s14, 8
	s_load_b32 s30, s[8:9], 0x0
	s_waitcnt lgkmcnt(0)
	s_cmp_ge_i32 s35, s30
	s_cbranch_scc1 .LBB103_2
; %bb.5:
	s_clause 0x1
	s_load_b128 s[8:11], s[0:1], 0x8
	s_load_b64 s[12:13], s[0:1], 0x20
	s_and_not1_b32 vcc_lo, exec_lo, s6
	s_cbranch_vccnz .LBB103_7
; %bb.6:
	s_add_u32 s2, s2, s4
	s_addc_u32 s3, s3, s5
	s_load_b32 s3, s[2:3], 0x0
	s_branch .LBB103_8
.LBB103_7:
	s_mov_b32 s3, s34
.LBB103_8:
	s_load_b128 s[4:7], s[0:1], 0x48
	v_and_b32_e32 v148, 15, v0
	v_cmp_gt_u32_e32 vcc_lo, 0xa0, v0
	v_lshrrev_b32_e32 v149, 5, v0
	v_and_b32_e32 v150, 31, v0
	v_and_b32_e32 v147, 1, v0
	v_lshlrev_b32_e32 v1, 3, v148
	v_cmp_gt_u32_e64 s2, 8, v148
	v_bfe_u32 v146, v0, 4, 1
	s_mul_i32 s31, s15, 10
	s_delay_alu instid0(VALU_DEP_3) | instskip(NEXT) | instid1(VALU_DEP_3)
	v_lshlrev_b32_e32 v145, 1, v1
	s_and_b32 s16, vcc_lo, s2
	s_waitcnt lgkmcnt(0)
	s_and_saveexec_b32 s7, s16
	s_cbranch_execz .LBB103_10
; %bb.9:
	s_load_b64 s[16:17], s[0:1], 0x0
	v_lshl_or_b32 v5, v149, 1, v146
	s_mul_hi_i32 s19, s3, s4
	s_mul_i32 s18, s3, s4
	v_lshlrev_b32_e32 v6, 10, v148
	s_lshl_b64 s[18:19], s[18:19], 1
	v_add_lshl_u32 v1, v5, s31, 6
	v_lshlrev_b32_e32 v5, 6, v5
	v_lshlrev_b32_e32 v7, 10, v147
	v_and_b32_e32 v6, 0x3800, v6
	s_delay_alu instid0(VALU_DEP_4) | instskip(NEXT) | instid1(VALU_DEP_2)
	v_ashrrev_i32_e32 v2, 31, v1
	v_or3_b32 v5, v6, v7, v5
	s_delay_alu instid0(VALU_DEP_2) | instskip(SKIP_3) | instid1(VALU_DEP_1)
	v_lshlrev_b64 v[1:2], 1, v[1:2]
	s_waitcnt lgkmcnt(0)
	s_add_u32 s3, s16, s18
	s_addc_u32 s4, s17, s19
	v_add_co_u32 v1, vcc_lo, s3, v1
	s_delay_alu instid0(VALU_DEP_2) | instskip(NEXT) | instid1(VALU_DEP_2)
	v_add_co_ci_u32_e32 v2, vcc_lo, s4, v2, vcc_lo
	v_add_co_u32 v1, vcc_lo, v1, v145
	s_delay_alu instid0(VALU_DEP_2)
	v_add_co_ci_u32_e32 v2, vcc_lo, 0, v2, vcc_lo
	global_load_b128 v[1:4], v[1:2], off
	s_waitcnt vmcnt(0)
	ds_store_b128 v5, v[1:4]
.LBB103_10:
	s_or_b32 exec_lo, exec_lo, s7
	s_mov_b32 s40, 0
	s_add_i32 s3, s30, 15
	s_mov_b32 s41, s40
	s_mov_b32 s42, s40
	;; [unrolled: 1-line block ×7, first 2 shown]
	s_delay_alu instid0(SALU_CYCLE_1)
	v_dual_mov_b32 v144, s47 :: v_dual_and_b32 v1, 0xef, v0
	v_mov_b32_e32 v142, s45
	s_ashr_i32 s7, s3, 31
	s_clause 0x1
	s_load_b32 s4, s[0:1], 0x38
	s_load_b32 s33, s[0:1], 0x98
	v_add_nc_u32_e32 v1, s35, v1
	s_lshr_b32 s7, s7, 28
	s_load_b32 s36, s[0:1], 0x1c
	s_add_i32 s3, s3, s7
	s_waitcnt lgkmcnt(0)
	v_ashrrev_i32_e32 v2, 31, v1
	v_or_b32_e32 v3, 16, v1
	s_ashr_i32 s3, s3, 4
	v_cmp_gt_i32_e32 vcc_lo, s30, v1
	s_add_i32 s3, s3, -1
	v_lshrrev_b32_e32 v2, 28, v2
	v_mov_b32_e32 v143, s46
	s_barrier
	buffer_gl0_inv
	s_mul_i32 s6, s15, s6
	v_dual_mov_b32 v141, s44 :: v_dual_add_nc_u32 v4, v1, v2
	v_mov_b32_e32 v139, s42
	s_mul_i32 s16, s34, s4
	v_mov_b32_e32 v137, s40
	s_delay_alu instid0(VALU_DEP_3)
	v_ashrrev_i32_e32 v4, 4, v4
	v_add_nc_u32_e32 v2, v3, v2
	s_ashr_i32 s17, s16, 31
	v_mov_b32_e32 v140, s43
	s_lshl_b64 s[16:17], s[16:17], 2
	v_cndmask_b32_e32 v1, s3, v4, vcc_lo
	v_ashrrev_i32_e32 v2, 4, v2
	v_cmp_gt_i32_e32 vcc_lo, s30, v3
	s_add_u32 s4, s12, s16
	s_addc_u32 s37, s13, s17
	s_ashr_i32 s7, s6, 31
	v_mov_b32_e32 v138, s41
	v_cndmask_b32_e32 v3, s3, v2, vcc_lo
	v_ashrrev_i32_e32 v2, 31, v1
	s_lshl_b64 s[6:7], s[6:7], 1
	s_delay_alu instid0(SALU_CYCLE_1) | instskip(NEXT) | instid1(VALU_DEP_2)
	s_add_u32 s24, s8, s6
	v_ashrrev_i32_e32 v4, 31, v3
	s_delay_alu instid0(VALU_DEP_2) | instskip(SKIP_2) | instid1(VALU_DEP_2)
	v_lshlrev_b64 v[1:2], 2, v[1:2]
	s_addc_u32 s25, s9, s7
	s_lshl_b32 s8, s14, 4
	v_lshlrev_b64 v[3:4], 2, v[3:4]
	s_ashr_i32 s9, s8, 31
	s_delay_alu instid0(VALU_DEP_2) | instskip(SKIP_1) | instid1(VALU_DEP_3)
	v_add_co_u32 v1, vcc_lo, s4, v1
	v_add_co_ci_u32_e32 v2, vcc_lo, s37, v2, vcc_lo
	v_add_co_u32 v3, vcc_lo, s4, v3
	s_delay_alu instid0(VALU_DEP_4)
	v_add_co_ci_u32_e32 v4, vcc_lo, s37, v4, vcc_lo
	s_clause 0x1
	global_load_b32 v5, v[1:2], off
	global_load_b32 v6, v[3:4], off
	s_lshl_b64 s[8:9], s[8:9], 2
	v_lshlrev_b32_e32 v3, 4, v0
	s_add_u32 s8, s4, s8
	s_addc_u32 s9, s37, s9
	s_or_b32 s12, s35, 16
	s_delay_alu instid0(SALU_CYCLE_1) | instskip(SKIP_2) | instid1(SALU_CYCLE_1)
	s_ashr_i32 s13, s12, 4
	s_cmp_lt_i32 s12, s30
	s_cselect_b32 s12, s13, s3
	s_ashr_i32 s13, s12, 31
	s_delay_alu instid0(SALU_CYCLE_1) | instskip(NEXT) | instid1(SALU_CYCLE_1)
	s_lshl_b64 s[12:13], s[12:13], 2
	s_add_u32 s12, s4, s12
	s_addc_u32 s13, s37, s13
	s_or_b32 s15, s35, 32
	s_delay_alu instid0(SALU_CYCLE_1) | instskip(SKIP_2) | instid1(SALU_CYCLE_1)
	s_ashr_i32 s16, s15, 4
	s_cmp_lt_i32 s15, s30
	s_cselect_b32 s16, s16, s3
	s_ashr_i32 s17, s16, 31
	s_delay_alu instid0(SALU_CYCLE_1) | instskip(NEXT) | instid1(SALU_CYCLE_1)
	s_lshl_b64 s[16:17], s[16:17], 2
	;; [unrolled: 10-line block ×5, first 2 shown]
	s_add_u32 s22, s4, s22
	s_addc_u32 s23, s37, s23
	s_clause 0x5
	s_load_b32 s8, s[8:9], 0x0
	s_load_b32 s12, s[12:13], 0x0
	;; [unrolled: 1-line block ×6, first 2 shown]
	s_waitcnt lgkmcnt(0)
	s_mul_hi_i32 s17, s16, s5
	s_mul_i32 s16, s16, s5
	s_waitcnt vmcnt(1)
	v_mad_i64_i32 v[1:2], null, v5, s5, 0
	v_and_b32_e32 v5, 0xf0, v3
	s_waitcnt vmcnt(0)
	v_mad_i64_i32 v[3:4], null, v6, s5, 0
	s_delay_alu instid0(VALU_DEP_2) | instskip(NEXT) | instid1(VALU_DEP_4)
	v_add_co_u32 v7, s9, s24, v5
	v_lshlrev_b64 v[1:2], 1, v[1:2]
	v_add_co_ci_u32_e64 v8, null, s25, 0, s9
	s_delay_alu instid0(VALU_DEP_4) | instskip(SKIP_1) | instid1(VALU_DEP_3)
	v_lshlrev_b64 v[5:6], 1, v[3:4]
	s_or_b32 s9, s35, 0x60
	v_add_co_u32 v3, vcc_lo, v7, v1
	s_delay_alu instid0(VALU_DEP_3) | instskip(NEXT) | instid1(VALU_DEP_3)
	v_add_co_ci_u32_e32 v4, vcc_lo, v8, v2, vcc_lo
	v_add_co_u32 v1, vcc_lo, v7, v5
	s_delay_alu instid0(VALU_DEP_4)
	v_add_co_ci_u32_e32 v2, vcc_lo, v8, v6, vcc_lo
	s_clause 0x9
	global_load_b128 v[9:12], v[3:4], off
	global_load_b128 v[13:16], v[3:4], off offset:256
	global_load_b128 v[129:132], v[1:2], off
	global_load_b128 v[133:136], v[1:2], off offset:256
	global_load_b128 v[41:44], v[3:4], off offset:512
	;; [unrolled: 1-line block ×7, first 2 shown]
	v_add_nc_u32_e32 v5, -10, v148
	v_cmp_gt_u32_e32 vcc_lo, 10, v148
	s_clause 0x1
	global_load_b128 v[151:154], v[1:2], off offset:1024
	global_load_b128 v[155:158], v[1:2], off offset:1280
	s_ashr_i32 s13, s9, 4
	s_cmp_lt_i32 s9, s30
	v_lshlrev_b32_e32 v6, 5, v148
	v_cndmask_b32_e32 v5, v5, v148, vcc_lo
	s_cselect_b32 s22, s13, s3
	s_delay_alu instid0(SALU_CYCLE_1) | instskip(NEXT) | instid1(VALU_DEP_2)
	s_ashr_i32 s23, s22, 31
	v_lshl_or_b32 v6, v149, 9, v6
	s_delay_alu instid0(VALU_DEP_2)
	v_lshlrev_b32_e32 v197, 6, v5
	ds_load_b128 v[159:162], v197
	ds_load_b128 v[163:166], v197 offset:1024
	s_clause 0x3
	global_load_b128 v[167:170], v[3:4], off offset:1536
	global_load_b128 v[171:174], v[3:4], off offset:1792
	;; [unrolled: 1-line block ×4, first 2 shown]
	s_lshl_b64 s[22:23], s[22:23], 2
	s_delay_alu instid0(SALU_CYCLE_1)
	s_add_u32 s22, s4, s22
	s_addc_u32 s23, s37, s23
	s_or_b32 s9, s35, 0x70
	s_load_b32 s46, s[22:23], 0x0
	s_ashr_i32 s13, s9, 4
	s_cmp_lt_i32 s9, s30
	s_cselect_b32 s24, s13, s3
	s_delay_alu instid0(SALU_CYCLE_1) | instskip(NEXT) | instid1(SALU_CYCLE_1)
	s_ashr_i32 s25, s24, 31
	s_lshl_b64 s[24:25], s[24:25], 2
	s_delay_alu instid0(SALU_CYCLE_1)
	s_add_u32 s24, s4, s24
	s_addc_u32 s25, s37, s25
	s_or_b32 s9, s35, 0x80
	s_load_b32 s47, s[24:25], 0x0
	s_ashr_i32 s13, s9, 4
	s_cmp_lt_i32 s9, s30
	s_cselect_b32 s26, s13, s3
	s_delay_alu instid0(SALU_CYCLE_1) | instskip(NEXT) | instid1(SALU_CYCLE_1)
	s_ashr_i32 s27, s26, 31
	;; [unrolled: 11-line block ×3, first 2 shown]
	s_lshl_b64 s[28:29], s[28:29], 2
	s_delay_alu instid0(SALU_CYCLE_1) | instskip(SKIP_2) | instid1(SALU_CYCLE_1)
	s_add_u32 s28, s4, s28
	s_addc_u32 s29, s37, s29
	s_or_b32 s9, s35, 0xa0
	s_ashr_i32 s13, s9, 4
	s_cmp_lt_i32 s9, s30
	s_cselect_b32 s38, s13, s3
	s_delay_alu instid0(SALU_CYCLE_1) | instskip(NEXT) | instid1(SALU_CYCLE_1)
	s_ashr_i32 s39, s38, 31
	s_lshl_b64 s[38:39], s[38:39], 2
	s_delay_alu instid0(SALU_CYCLE_1) | instskip(SKIP_2) | instid1(SALU_CYCLE_1)
	s_add_u32 s38, s4, s38
	s_addc_u32 s39, s37, s39
	s_or_b32 s9, s35, 0xb0
	s_ashr_i32 s13, s9, 4
	s_cmp_lt_i32 s9, s30
	s_mul_hi_i32 s9, s8, s5
	s_cselect_b32 s40, s13, s3
	s_mul_i32 s8, s8, s5
	s_ashr_i32 s41, s40, 31
	s_mul_hi_i32 s13, s12, s5
	s_lshl_b64 s[40:41], s[40:41], 2
	s_mul_i32 s12, s12, s5
	s_add_u32 s42, s4, s40
	s_addc_u32 s43, s37, s41
	s_or_b32 s19, s35, 0xc0
	s_delay_alu instid0(SALU_CYCLE_1)
	s_ashr_i32 s21, s19, 4
	s_cmp_lt_i32 s19, s30
	s_mul_hi_i32 s19, s18, s5
	s_cselect_b32 s40, s21, s3
	s_mul_i32 s18, s18, s5
	s_ashr_i32 s41, s40, 31
	s_mul_hi_i32 s21, s20, s5
	s_lshl_b64 s[40:41], s[40:41], 2
	s_mul_i32 s20, s20, s5
	s_add_u32 s44, s4, s40
	s_addc_u32 s45, s37, s41
	s_load_b32 s41, s[28:29], 0x0
	s_or_b32 s40, s35, 0xd0
	s_mul_hi_i32 s23, s15, s5
	s_ashr_i32 s22, s40, 4
	s_cmp_lt_i32 s40, s30
	s_load_b32 s40, s[38:39], 0x0
	s_cselect_b32 s24, s22, s3
	s_mul_i32 s22, s15, s5
	s_ashr_i32 s25, s24, 31
	s_waitcnt lgkmcnt(0)
	s_mul_hi_i32 s29, s48, s5
	s_lshl_b64 s[24:25], s[24:25], 2
	s_mul_i32 s28, s48, s5
	s_add_u32 s24, s4, s24
	s_addc_u32 s25, s37, s25
	s_or_b32 s49, s35, 0xe0
	s_clause 0x2
	s_load_b32 s39, s[42:43], 0x0
	s_load_b32 s38, s[44:45], 0x0
	;; [unrolled: 1-line block ×3, first 2 shown]
	s_ashr_i32 s50, s49, 4
	s_cmp_lt_i32 s49, s30
	s_mul_hi_i32 s25, s46, s5
	s_cselect_b32 s44, s50, s3
	s_mul_i32 s24, s46, s5
	s_ashr_i32 s45, s44, 31
	s_mul_hi_i32 s27, s47, s5
	s_lshl_b64 s[44:45], s[44:45], 2
	s_mul_i32 s26, s47, s5
	s_add_u32 s44, s4, s44
	s_addc_u32 s45, s37, s45
	s_or_b32 s46, s35, 0xf0
	s_mul_hi_i32 s43, s41, s5
	s_ashr_i32 s48, s46, 4
	s_cmp_lt_i32 s46, s30
	s_mul_i32 s42, s41, s5
	s_cselect_b32 s48, s48, s3
	s_mul_hi_i32 s41, s40, s5
	s_ashr_i32 s49, s48, 31
	s_mul_i32 s40, s40, s5
	s_lshl_b64 s[48:49], s[48:49], 2
	s_waitcnt lgkmcnt(0)
	s_mul_hi_i32 s47, s39, s5
	s_add_u32 s48, s4, s48
	s_addc_u32 s49, s37, s49
	s_add_u32 s3, s10, s6
	s_addc_u32 s4, s11, s7
	v_add_co_u32 v195, s3, s3, v6
	s_delay_alu instid0(VALU_DEP_1) | instskip(SKIP_2) | instid1(VALU_DEP_2)
	v_add_co_ci_u32_e64 v196, null, s4, 0, s3
	s_lshl_b64 s[6:7], s[8:9], 1
	s_lshl_b64 s[8:9], s[12:13], 1
	v_add_co_u32 v1, vcc_lo, v195, s6
	s_delay_alu instid0(VALU_DEP_2)
	v_add_co_ci_u32_e32 v2, vcc_lo, s7, v196, vcc_lo
	v_add_co_u32 v3, vcc_lo, v195, s8
	s_lshl_b64 s[10:11], s[16:17], 1
	v_add_co_ci_u32_e32 v4, vcc_lo, s9, v196, vcc_lo
	v_add_co_u32 v5, vcc_lo, v195, s10
	s_lshl_b64 s[12:13], s[18:19], 1
	;; [unrolled: 3-line block ×9, first 2 shown]
	s_mul_i32 s46, s39, s5
	v_add_co_ci_u32_e32 v54, vcc_lo, s27, v196, vcc_lo
	v_add_co_u32 v183, vcc_lo, v195, s28
	s_lshl_b64 s[40:41], s[46:47], 1
	s_mul_hi_i32 s39, s38, s5
	s_mul_i32 s38, s38, s5
	v_add_co_ci_u32_e32 v184, vcc_lo, s29, v196, vcc_lo
	v_add_co_u32 v185, vcc_lo, v195, s40
	s_lshl_b64 s[38:39], s[38:39], 1
	s_clause 0x1
	s_load_b32 s3, s[44:45], 0x0
	s_load_b32 s4, s[48:49], 0x0
	v_add_co_ci_u32_e32 v186, vcc_lo, s41, v196, vcc_lo
	v_add_co_u32 v191, vcc_lo, v195, s38
	v_add_co_ci_u32_e32 v192, vcc_lo, s39, v196, vcc_lo
	s_clause 0x17
	global_load_b128 v[121:124], v[1:2], off
	global_load_b128 v[125:128], v[1:2], off offset:16
	global_load_b128 v[113:116], v[3:4], off
	global_load_b128 v[117:120], v[3:4], off offset:16
	;; [unrolled: 2-line block ×12, first 2 shown]
	s_mul_hi_i32 s51, s15, s5
	s_mul_i32 s50, s15, s5
	s_delay_alu instid0(SALU_CYCLE_1) | instskip(NEXT) | instid1(SALU_CYCLE_1)
	s_lshl_b64 s[42:43], s[50:51], 1
	v_add_co_u32 v193, vcc_lo, v195, s42
	v_add_co_ci_u32_e32 v194, vcc_lo, s43, v196, vcc_lo
	s_waitcnt lgkmcnt(0)
	s_mul_hi_i32 s7, s3, s5
	s_mul_i32 s6, s3, s5
	s_mul_hi_i32 s9, s4, s5
	s_lshl_b64 s[6:7], s[6:7], 1
	s_mul_i32 s8, s4, s5
	s_delay_alu instid0(SALU_CYCLE_1)
	s_lshl_b64 s[4:5], s[8:9], 1
	s_waitcnt vmcnt(38)
	v_wmma_f32_16x16x16_f16 v[183:190], v[9:16], v[159:166], v[137:144]
	s_waitcnt vmcnt(36)
	v_wmma_f32_16x16x16_f16 v[137:144], v[129:136], v[159:166], v[137:144]
	s_clause 0x1
	global_load_b128 v[9:12], v[191:192], off
	global_load_b128 v[13:16], v[191:192], off offset:16
	ds_load_b128 v[129:132], v197 offset:2048
	ds_load_b128 v[133:136], v197 offset:3072
	;; [unrolled: 1-line block ×4, first 2 shown]
	v_add_co_u32 v191, vcc_lo, v195, s6
	v_add_co_ci_u32_e32 v192, vcc_lo, s7, v196, vcc_lo
	v_add_co_u32 v195, vcc_lo, v195, s4
	v_add_co_ci_u32_e32 v196, vcc_lo, s5, v196, vcc_lo
	s_waitcnt vmcnt(36) lgkmcnt(2)
	v_wmma_f32_16x16x16_f16 v[183:190], v[41:48], v[129:136], v[183:190]
	s_waitcnt vmcnt(34)
	v_wmma_f32_16x16x16_f16 v[137:144], v[33:40], v[129:136], v[137:144]
	s_clause 0x3
	global_load_b128 v[33:36], v[193:194], off
	global_load_b128 v[37:40], v[193:194], off offset:16
	global_load_b128 v[41:44], v[191:192], off
	global_load_b128 v[45:48], v[191:192], off offset:16
	v_and_b32_e32 v129, 0xe0, v0
	v_mbcnt_lo_u32_b32 v191, -1, 0
	s_waitcnt vmcnt(36) lgkmcnt(0)
	v_wmma_f32_16x16x16_f16 v[183:190], v[17:24], v[159:166], v[183:190]
	s_clause 0x1
	global_load_b128 v[17:20], v[195:196], off
	global_load_b128 v[21:24], v[195:196], off offset:16
	s_waitcnt vmcnt(36)
	v_wmma_f32_16x16x16_f16 v[137:144], v[151:158], v[159:166], v[137:144]
	v_add_nc_u32_e32 v192, s35, v129
	ds_load_b128 v[129:132], v197 offset:6144
	ds_load_b128 v[133:136], v197 offset:7168
	v_xor_b32_e32 v151, 16, v191
	s_waitcnt vmcnt(0) lgkmcnt(0)
	s_barrier
	v_or_b32_e32 v152, v192, v146
	buffer_gl0_inv
	v_cmp_gt_i32_e32 vcc_lo, 32, v151
	v_or_b32_e32 v153, 2, v152
	v_or_b32_e32 v154, 4, v152
	;; [unrolled: 1-line block ×5, first 2 shown]
	v_cmp_gt_i32_e64 s3, s30, v153
	v_cmp_gt_i32_e64 s4, s30, v154
	;; [unrolled: 1-line block ×3, first 2 shown]
	v_or_b32_e32 v158, 12, v152
	v_or_b32_e32 v159, 14, v152
	v_cmp_gt_i32_e64 s6, s30, v156
	v_wmma_f32_16x16x16_f16 v[183:190], v[167:174], v[129:136], v[183:190]
	v_wmma_f32_16x16x16_f16 v[137:144], v[175:182], v[129:136], v[137:144]
	v_cndmask_b32_e32 v151, v191, v151, vcc_lo
	v_cmp_gt_i32_e32 vcc_lo, s30, v152
	v_cmp_gt_i32_e64 s7, s30, v157
	v_dual_mul_f32 v135, s36, v184 :: v_dual_mul_f32 v136, s36, v183
	v_dual_mul_f32 v133, s36, v186 :: v_dual_mul_f32 v134, s36, v185
	;; [unrolled: 1-line block ×3, first 2 shown]
	s_delay_alu instid0(VALU_DEP_3) | instskip(NEXT) | instid1(VALU_DEP_4)
	v_cndmask_b32_e32 v136, 0xff7fffff, v136, vcc_lo
	v_cndmask_b32_e64 v135, 0xff7fffff, v135, s3
	v_mul_f32_e32 v132, s36, v187
	v_cndmask_b32_e64 v134, 0xff7fffff, v134, s4
	v_cndmask_b32_e64 v133, 0xff7fffff, v133, s5
	v_or_b32_e32 v160, 16, v152
	v_max3_f32 v135, v136, 0xff7fffff, v135
	v_or_b32_e32 v161, 18, v152
	v_mul_f32_e32 v130, s36, v189
	v_dual_mul_f32 v172, s36, v140 :: v_dual_mul_f32 v129, s36, v190
	v_cndmask_b32_e64 v132, 0xff7fffff, v132, s6
	v_cndmask_b32_e64 v131, 0xff7fffff, v131, s7
	v_max3_f32 v133, v135, v134, v133
	v_cmp_gt_i32_e64 s8, s30, v158
	v_cmp_gt_i32_e64 s9, s30, v159
	v_or_b32_e32 v162, 20, v152
	v_or_b32_e32 v163, 22, v152
	v_mul_f32_e32 v175, s36, v137
	v_cndmask_b32_e64 v130, 0xff7fffff, v130, s8
	v_cndmask_b32_e64 v129, 0xff7fffff, v129, s9
	v_max3_f32 v131, v133, v132, v131
	v_cmp_gt_i32_e64 s10, s30, v160
	v_cmp_gt_i32_e64 s11, s30, v161
	v_or_b32_e32 v164, 24, v152
	v_or_b32_e32 v165, 26, v152
	v_mul_f32_e32 v173, s36, v139
	v_cndmask_b32_e64 v132, 0xff7fffff, v175, s10
	v_cndmask_b32_e64 v133, 0xff7fffff, v174, s11
	v_max3_f32 v129, v131, v130, v129
	v_cmp_gt_i32_e64 s12, s30, v162
	v_cmp_gt_i32_e64 s13, s30, v163
	v_or_b32_e32 v166, 28, v152
	v_or_b32_e32 v167, 30, v152
	v_dual_mul_f32 v170, s36, v142 :: v_dual_mul_f32 v171, s36, v141
	v_cndmask_b32_e64 v130, 0xff7fffff, v173, s12
	v_cndmask_b32_e64 v131, 0xff7fffff, v172, s13
	v_max3_f32 v129, v129, v132, v133
	v_cmp_gt_i32_e64 s15, s30, v164
	v_cmp_gt_i32_e64 s16, s30, v165
	v_dual_mul_f32 v168, s36, v144 :: v_dual_mul_f32 v169, s36, v143
	s_delay_alu instid0(VALU_DEP_4) | instskip(NEXT) | instid1(VALU_DEP_4)
	v_max3_f32 v129, v129, v130, v131
	v_cndmask_b32_e64 v132, 0xff7fffff, v171, s15
	s_delay_alu instid0(VALU_DEP_4) | instskip(SKIP_2) | instid1(VALU_DEP_3)
	v_cndmask_b32_e64 v133, 0xff7fffff, v170, s16
	v_cmp_gt_i32_e64 s17, s30, v166
	v_cmp_gt_i32_e64 s18, s30, v167
	v_max3_f32 v129, v129, v132, v133
	s_delay_alu instid0(VALU_DEP_3) | instskip(NEXT) | instid1(VALU_DEP_3)
	v_cndmask_b32_e64 v130, 0xff7fffff, v169, s17
	v_cndmask_b32_e64 v131, 0xff7fffff, v168, s18
	v_lshlrev_b32_e32 v132, 2, v151
	s_delay_alu instid0(VALU_DEP_2) | instskip(SKIP_3) | instid1(VALU_DEP_1)
	v_max3_f32 v129, v129, v130, v131
	ds_bpermute_b32 v130, v132, v129
	s_waitcnt lgkmcnt(0)
	v_max_f32_e32 v130, v130, v130
	v_max_f32_e32 v129, v129, v130
	s_delay_alu instid0(VALU_DEP_1) | instskip(SKIP_4) | instid1(VALU_DEP_4)
	v_fma_f32 v134, s36, v186, -v129
	v_fma_f32 v135, s36, v187, -v129
	;; [unrolled: 1-line block ×5, first 2 shown]
	v_dual_mul_f32 v134, 0x3fb8aa3b, v134 :: v_dual_mul_f32 v135, 0x3fb8aa3b, v135
	s_delay_alu instid0(VALU_DEP_4) | instskip(SKIP_1) | instid1(VALU_DEP_3)
	v_mul_f32_e32 v130, 0x3fb8aa3b, v130
	v_fma_f32 v136, s36, v189, -v129
	v_exp_f32_e32 v134, v134
	s_delay_alu instid0(VALU_DEP_3) | instskip(NEXT) | instid1(VALU_DEP_2)
	v_exp_f32_e32 v135, v135
	v_exp_f32_e32 v130, v130
	s_delay_alu instid0(VALU_DEP_1) | instskip(NEXT) | instid1(VALU_DEP_1)
	v_mul_f32_e32 v136, 0x3fb8aa3b, v136
	v_exp_f32_e32 v136, v136
	v_cndmask_b32_e64 v153, 0, v134, s5
	v_fma_f32 v134, s36, v137, -v129
	v_mul_f32_e32 v131, 0x3fb8aa3b, v131
	s_delay_alu instid0(TRANS32_DEP_3) | instskip(NEXT) | instid1(TRANS32_DEP_2)
	v_cndmask_b32_e64 v155, 0, v135, s6
	v_dual_mul_f32 v133, 0x3fb8aa3b, v133 :: v_dual_cndmask_b32 v152, 0, v130
	s_delay_alu instid0(VALU_DEP_4) | instskip(NEXT) | instid1(VALU_DEP_4)
	v_mul_f32_e32 v134, 0x3fb8aa3b, v134
	v_exp_f32_e32 v131, v131
	v_fma_f32 v135, s36, v138, -v129
	s_delay_alu instid0(VALU_DEP_3)
	v_exp_f32_e32 v133, v133
	v_fma_f32 v130, s36, v188, -v129
	v_cndmask_b32_e64 v156, 0, v136, s8
	v_fma_f32 v136, s36, v140, -v129
	v_mul_f32_e32 v135, 0x3fb8aa3b, v135
	v_exp_f32_e32 v134, v134
	v_mul_f32_e32 v130, 0x3fb8aa3b, v130
	s_delay_alu instid0(TRANS32_DEP_3) | instskip(SKIP_1) | instid1(TRANS32_DEP_2)
	v_cndmask_b32_e64 v151, 0, v131, s3
	v_add_f32_e32 v131, 0, v152
	v_cndmask_b32_e64 v154, 0, v133, s4
	v_exp_f32_e32 v135, v135
	v_fma_f32 v133, s36, v190, -v129
	v_exp_f32_e32 v130, v130
	v_dual_add_f32 v131, v131, v151 :: v_dual_mul_f32 v136, 0x3fb8aa3b, v136
	s_mov_b32 s3, exec_lo
	s_delay_alu instid0(VALU_DEP_2) | instskip(NEXT) | instid1(VALU_DEP_2)
	v_mul_f32_e32 v133, 0x3fb8aa3b, v133
	v_add_f32_e32 v131, v131, v154
	s_delay_alu instid0(VALU_DEP_3) | instskip(NEXT) | instid1(TRANS32_DEP_3)
	v_exp_f32_e32 v136, v136
	v_cndmask_b32_e64 v140, 0, v135, s11
	s_delay_alu instid0(VALU_DEP_3) | instskip(NEXT) | instid1(TRANS32_DEP_3)
	v_exp_f32_e32 v133, v133
	v_cndmask_b32_e64 v138, 0, v130, s7
	v_add_f32_e32 v131, v131, v153
	v_fma_f32 v135, s36, v143, -v129
	s_delay_alu instid0(VALU_DEP_2)
	v_add_f32_e32 v130, v131, v155
	v_fma_f32 v131, s36, v139, -v129
	s_waitcnt_depctr 0xfff
	v_cndmask_b32_e64 v139, 0, v133, s9
	v_fma_f32 v133, s36, v141, -v129
	v_add_f32_e32 v130, v130, v138
	v_cndmask_b32_e64 v141, 0, v134, s10
	v_fma_f32 v134, s36, v142, -v129
	v_cndmask_b32_e64 v142, 0, v136, s13
	s_delay_alu instid0(VALU_DEP_4) | instskip(NEXT) | instid1(VALU_DEP_3)
	v_dual_mul_f32 v131, 0x3fb8aa3b, v131 :: v_dual_add_f32 v130, v130, v156
	v_mul_f32_e32 v134, 0x3fb8aa3b, v134
	s_delay_alu instid0(VALU_DEP_2) | instskip(NEXT) | instid1(VALU_DEP_2)
	v_exp_f32_e32 v131, v131
	v_add_f32_e32 v130, v130, v139
	s_delay_alu instid0(VALU_DEP_2) | instskip(NEXT) | instid1(VALU_DEP_1)
	v_exp_f32_e32 v134, v134
	v_add_f32_e32 v130, v130, v141
	s_waitcnt_depctr 0xfff
	v_cndmask_b32_e64 v143, 0, v131, s12
	v_dual_add_f32 v130, v130, v140 :: v_dual_mul_f32 v133, 0x3fb8aa3b, v133
	s_delay_alu instid0(VALU_DEP_1) | instskip(NEXT) | instid1(VALU_DEP_2)
	v_add_f32_e32 v130, v130, v143
	v_exp_f32_e32 v133, v133
	s_delay_alu instid0(VALU_DEP_1)
	v_add_f32_e32 v130, v130, v142
	s_waitcnt_depctr 0xfff
	v_cndmask_b32_e64 v157, 0, v133, s15
	v_mul_f32_e32 v131, 0x3fb8aa3b, v135
	v_fma_f32 v135, s36, v144, -v129
	v_cndmask_b32_e64 v144, 0, v134, s16
	s_delay_alu instid0(VALU_DEP_4) | instskip(NEXT) | instid1(VALU_DEP_4)
	v_add_f32_e32 v130, v130, v157
	v_exp_f32_e32 v131, v131
	s_delay_alu instid0(VALU_DEP_1) | instskip(NEXT) | instid1(VALU_DEP_1)
	v_dual_mul_f32 v133, 0x3fb8aa3b, v135 :: v_dual_add_f32 v130, v130, v144
	v_exp_f32_e32 v133, v133
	s_waitcnt_depctr 0xfff
	v_cndmask_b32_e64 v159, 0, v131, s17
	s_delay_alu instid0(VALU_DEP_1) | instskip(SKIP_1) | instid1(VALU_DEP_1)
	v_add_f32_e32 v130, v130, v159
	v_cndmask_b32_e64 v158, 0, v133, s18
	v_add_f32_e32 v130, v130, v158
	ds_bpermute_b32 v131, v132, v130
	v_cmpx_gt_u32_e32 16, v150
	s_cbranch_execz .LBB103_12
; %bb.11:
	v_mul_u32_u24_e32 v132, 0x44, v149
	s_delay_alu instid0(VALU_DEP_1) | instskip(SKIP_1) | instid1(VALU_DEP_1)
	v_lshl_add_u32 v132, v148, 2, v132
	s_waitcnt lgkmcnt(0)
	v_dual_add_f32 v130, v130, v131 :: v_dual_add_nc_u32 v131, 0x4000, v132
	ds_store_2addr_b32 v131, v129, v130 offset1:136
.LBB103_12:
	s_or_b32 exec_lo, exec_lo, s3
	v_lshlrev_b32_e32 v129, 2, v148
	s_load_b32 s35, s[0:1], 0x94
	s_waitcnt lgkmcnt(0)
	s_barrier
	buffer_gl0_inv
	v_add_nc_u32_e32 v135, 0x4000, v129
	v_cmp_eq_u32_e32 vcc_lo, 1, v149
	v_cmp_eq_u32_e64 s3, 2, v149
	v_cmp_eq_u32_e64 s4, 3, v149
	;; [unrolled: 1-line block ×3, first 2 shown]
	ds_load_2addr_b32 v[129:130], v135 offset1:17
	ds_load_2addr_b32 v[131:132], v135 offset0:34 offset1:51
	ds_load_2addr_b32 v[133:134], v135 offset0:68 offset1:85
	;; [unrolled: 1-line block ×3, first 2 shown]
	v_cmp_eq_u32_e64 s6, 5, v149
	v_cmp_eq_u32_e64 s7, 7, v149
	s_waitcnt lgkmcnt(3)
	v_max3_f32 v136, v129, 0xff7fffff, v130
	s_waitcnt lgkmcnt(2)
	s_delay_alu instid0(VALU_DEP_1) | instskip(SKIP_1) | instid1(VALU_DEP_1)
	v_max3_f32 v136, v136, v131, v132
	s_waitcnt lgkmcnt(1)
	v_max3_f32 v136, v136, v133, v134
	s_waitcnt lgkmcnt(0)
	s_delay_alu instid0(VALU_DEP_1) | instskip(NEXT) | instid1(VALU_DEP_1)
	v_max3_f32 v136, v136, v160, v161
	v_sub_f32_e32 v164, v132, v136
	ds_load_2addr_b32 v[162:163], v135 offset0:136 offset1:153
	v_sub_f32_e32 v129, v129, v136
	v_sub_f32_e32 v137, v130, v136
	;; [unrolled: 1-line block ×3, first 2 shown]
	v_mul_f32_e32 v164, 0x3fb8aa3b, v164
	s_delay_alu instid0(VALU_DEP_4) | instskip(NEXT) | instid1(VALU_DEP_4)
	v_mul_f32_e32 v150, 0x3fb8aa3b, v129
	v_mul_f32_e32 v137, 0x3fb8aa3b, v137
	ds_load_2addr_b32 v[129:130], v135 offset0:170 offset1:187
	v_mul_f32_e32 v167, 0x3fb8aa3b, v133
	v_exp_f32_e32 v164, v164
	v_exp_f32_e32 v150, v150
	;; [unrolled: 1-line block ×3, first 2 shown]
	v_sub_f32_e32 v131, v131, v136
	s_delay_alu instid0(VALU_DEP_1)
	v_mul_f32_e32 v165, 0x3fb8aa3b, v131
	ds_load_2addr_b32 v[131:132], v135 offset0:204 offset1:221
	s_waitcnt lgkmcnt(2)
	v_fma_f32 v137, v150, v162, 0
	v_sub_f32_e32 v162, v134, v136
	v_exp_f32_e32 v165, v165
	ds_load_2addr_b32 v[133:134], v135 offset0:238 offset1:255
	v_sub_f32_e32 v135, v160, v136
	v_dual_fmac_f32 v137, v166, v163 :: v_dual_mul_f32 v160, 0x3fb8aa3b, v162
	v_exp_f32_e32 v162, v167
	s_waitcnt lgkmcnt(0)
	s_delay_alu instid0(VALU_DEP_2)
	v_mul_f32_e32 v135, 0x3fb8aa3b, v135
	s_barrier
	v_exp_f32_e32 v160, v160
	v_fmac_f32_e32 v137, v165, v129
	v_sub_f32_e32 v129, v161, v136
	v_exp_f32_e32 v161, v135
	buffer_gl0_inv
	v_fmac_f32_e32 v137, v164, v130
	v_dual_mul_f32 v129, 0x3fb8aa3b, v129 :: v_dual_cndmask_b32 v130, v150, v166
	s_delay_alu instid0(VALU_DEP_2) | instskip(NEXT) | instid1(VALU_DEP_2)
	v_fmac_f32_e32 v137, v162, v131
	v_exp_f32_e32 v163, v129
	s_delay_alu instid0(VALU_DEP_1) | instskip(NEXT) | instid1(VALU_DEP_1)
	v_fmac_f32_e32 v137, v160, v132
	v_fmac_f32_e32 v137, v161, v133
	v_lshlrev_b32_e32 v133, 6, v148
	s_waitcnt_depctr 0xfff
	v_fmac_f32_e32 v137, v163, v134
	v_lshl_or_b32 v135, v149, 11, v133
	s_delay_alu instid0(VALU_DEP_2) | instskip(NEXT) | instid1(VALU_DEP_1)
	v_add_f32_e32 v134, 0x358637bd, v137
	v_div_scale_f32 v167, null, v134, v134, 1.0
	v_div_scale_f32 v150, vcc_lo, 1.0, v134, 1.0
	s_delay_alu instid0(VALU_DEP_2) | instskip(SKIP_2) | instid1(VALU_DEP_1)
	v_rcp_f32_e32 v168, v167
	s_waitcnt_depctr 0xfff
	v_fma_f32 v129, -v167, v168, 1.0
	v_fmac_f32_e32 v168, v129, v168
	v_cndmask_b32_e64 v129, v130, v165, s3
	v_cmp_eq_u32_e64 s3, 6, v149
	s_delay_alu instid0(VALU_DEP_3) | instskip(NEXT) | instid1(VALU_DEP_3)
	v_mul_f32_e32 v165, v150, v168
	v_cndmask_b32_e64 v130, v129, v164, s4
	v_lshlrev_b32_e32 v129, 2, v146
	s_delay_alu instid0(VALU_DEP_3) | instskip(NEXT) | instid1(VALU_DEP_3)
	v_fma_f32 v131, -v167, v165, v150
	v_cndmask_b32_e64 v162, v130, v162, s5
	s_delay_alu instid0(VALU_DEP_3)
	v_or_b32_e32 v130, 1, v129
	v_or_b32_e32 v132, 2, v129
	v_cmp_eq_u32_e64 s4, 1, v129
	v_fmac_f32_e32 v165, v131, v168
	v_cndmask_b32_e64 v149, v162, v160, s6
	v_or_b32_e32 v131, 3, v129
	v_cmp_eq_u32_e64 s9, 1, v130
	v_cmp_eq_u32_e64 s10, 1, v132
	v_fma_f32 v150, -v167, v165, v150
	v_cndmask_b32_e64 v149, v149, v161, s3
	v_cmp_eq_u32_e64 s11, 1, v131
	v_cmp_eq_u32_e64 s5, 2, v129
	;; [unrolled: 1-line block ×3, first 2 shown]
	v_div_fmas_f32 v150, v150, v168, v165
	v_cndmask_b32_e64 v149, v149, v163, s7
	v_cmp_eq_u32_e64 s15, 2, v132
	v_cmp_eq_u32_e64 s16, 2, v131
	v_cmp_eq_u32_e32 vcc_lo, 3, v129
	v_div_fixup_f32 v150, v150, v134, 1.0
	v_lshl_or_b32 v134, v146, 4, v135
	v_cmp_eq_u32_e64 s13, 3, v130
	v_cmp_eq_u32_e64 s18, 3, v131
	;; [unrolled: 1-line block ×3, first 2 shown]
	v_mul_f32_e32 v149, v149, v150
	v_cmp_eq_u32_e64 s17, 3, v132
	v_cmp_eq_u32_e64 s19, 4, v130
	v_cmp_eq_u32_e64 s22, 4, v131
	v_cmp_eq_u32_e64 s6, 5, v129
	v_fma_mixlo_f16 v160, v149, v152, 0
	v_fma_mixlo_f16 v161, v149, v154, 0
	;; [unrolled: 1-line block ×8, first 2 shown]
	v_fma_mixhi_f16 v160, v149, v151, 0
	v_fma_mixhi_f16 v161, v149, v153, 0
	;; [unrolled: 1-line block ×8, first 2 shown]
	ds_store_b128 v134, v[160:163]
	ds_store_b128 v134, v[154:157] offset:1024
	s_waitcnt lgkmcnt(0)
	s_barrier
	buffer_gl0_inv
	ds_load_b128 v[138:141], v135
	ds_load_b128 v[149:152], v135 offset:16
	ds_load_b128 v[153:156], v135 offset:1024
	;; [unrolled: 1-line block ×3, first 2 shown]
	v_cmp_eq_u32_e64 s20, 5, v130
	v_cmp_eq_u32_e64 s21, 4, v132
	;; [unrolled: 1-line block ×12, first 2 shown]
	s_waitcnt lgkmcnt(3)
	v_lshrrev_b32_e32 v142, 16, v138
	s_waitcnt lgkmcnt(2)
	v_lshrrev_b32_e32 v162, 16, v149
	;; [unrolled: 2-line block ×4, first 2 shown]
	v_lshrrev_b32_e32 v143, 16, v139
	v_cndmask_b32_e64 v174, v138, v142, s4
	v_cndmask_b32_e64 v175, v149, v162, s4
	;; [unrolled: 1-line block ×7, first 2 shown]
	v_lshrrev_b32_e32 v163, 16, v150
	v_cndmask_b32_e64 v179, v149, v162, s10
	v_cndmask_b32_e64 v149, v153, v166, s4
	;; [unrolled: 1-line block ×16, first 2 shown]
	v_lshrrev_b32_e32 v167, 16, v154
	v_lshrrev_b32_e32 v171, 16, v158
	v_cndmask_b32_e64 v177, v179, v150, s15
	v_cndmask_b32_e64 v142, v149, v154, s5
	;; [unrolled: 1-line block ×7, first 2 shown]
	v_cndmask_b32_e32 v157, v166, v143, vcc_lo
	v_cndmask_b32_e32 v166, v170, v163, vcc_lo
	v_cndmask_b32_e64 v170, v174, v143, s13
	v_cndmask_b32_e64 v174, v175, v163, s13
	;; [unrolled: 1-line block ×4, first 2 shown]
	v_lshrrev_b32_e32 v144, 16, v140
	v_lshrrev_b32_e32 v164, 16, v151
	v_cndmask_b32_e64 v175, v176, v143, s17
	v_cndmask_b32_e64 v176, v177, v163, s17
	v_cndmask_b32_e32 v142, v142, v167, vcc_lo
	v_cndmask_b32_e32 v143, v149, v171, vcc_lo
	v_cndmask_b32_e64 v149, v150, v167, s13
	v_cndmask_b32_e64 v150, v157, v140, s3
	;; [unrolled: 1-line block ×7, first 2 shown]
	v_lshrrev_b32_e32 v168, 16, v155
	v_cndmask_b32_e64 v170, v175, v140, s21
	v_cndmask_b32_e64 v174, v176, v151, s21
	;; [unrolled: 1-line block ×11, first 2 shown]
	v_lshrrev_b32_e32 v161, 16, v141
	v_lshrrev_b32_e32 v165, 16, v152
	v_cndmask_b32_e64 v163, v170, v144, s23
	v_cndmask_b32_e64 v166, v174, v164, s23
	;; [unrolled: 1-line block ×9, first 2 shown]
	v_lshrrev_b32_e32 v169, 16, v156
	v_cndmask_b32_e64 v140, v140, v168, s6
	v_cndmask_b32_e64 v157, v163, v141, s26
	;; [unrolled: 1-line block ×14, first 2 shown]
	v_perm_b32 v141, v139, v138, 0x5040100
	v_perm_b32 v139, v151, v149, 0x5040100
	v_cndmask_b32_e64 v138, v183, v158, s15
	v_cndmask_b32_e64 v149, v181, v158, s12
	;; [unrolled: 1-line block ×3, first 2 shown]
	v_perm_b32 v140, v152, v150, 0x5040100
	v_cndmask_b32_e64 v150, v162, v167, s17
	v_cndmask_b32_e64 v151, v153, v167, s18
	;; [unrolled: 1-line block ×5, first 2 shown]
	v_lshrrev_b32_e32 v172, 16, v159
	v_cndmask_b32_e64 v150, v150, v155, s21
	v_cndmask_b32_e64 v151, v151, v155, s22
	;; [unrolled: 1-line block ×11, first 2 shown]
	v_lshrrev_b32_e32 v173, 16, v160
	v_cndmask_b32_e64 v142, v142, v160, s7
	v_cndmask_b32_e64 v150, v150, v156, s26
	;; [unrolled: 1-line block ×12, first 2 shown]
	v_perm_b32 v138, v144, v143, 0x5040100
	v_perm_b32 v152, v152, v151, 0x5040100
	;; [unrolled: 1-line block ×5, first 2 shown]
	s_mul_i32 s7, s33, 10
	s_mov_b32 s3, exec_lo
	ds_store_b128 v134, v[138:141]
	ds_store_b128 v134, v[149:152] offset:1024
	v_cmpx_gt_u32_e32 10, v0
	s_cbranch_execz .LBB103_14
; %bb.13:
	s_mul_i32 s4, s7, s34
	s_load_b128 s[8:11], s[0:1], 0x58
	v_add3_u32 v140, s4, s31, v148
	s_delay_alu instid0(VALU_DEP_1) | instskip(NEXT) | instid1(VALU_DEP_1)
	v_mad_u64_u32 v[138:139], null, v140, s35, s[14:15]
	v_ashrrev_i32_e32 v139, 31, v138
	s_delay_alu instid0(VALU_DEP_1) | instskip(SKIP_1) | instid1(VALU_DEP_1)
	v_lshlrev_b64 v[138:139], 2, v[138:139]
	s_waitcnt lgkmcnt(0)
	v_add_co_u32 v140, vcc_lo, s10, v138
	s_delay_alu instid0(VALU_DEP_2)
	v_add_co_ci_u32_e32 v141, vcc_lo, s11, v139, vcc_lo
	v_add_co_u32 v138, vcc_lo, s8, v138
	v_add_co_ci_u32_e32 v139, vcc_lo, s9, v139, vcc_lo
	global_store_b32 v[140:141], v136, off
	global_store_b32 v[138:139], v137, off
.LBB103_14:
	s_or_b32 exec_lo, exec_lo, s3
	s_waitcnt lgkmcnt(0)
	s_waitcnt_vscnt null, 0x0
	s_barrier
	buffer_gl0_inv
	ds_load_b128 v[148:151], v133
	ds_load_b128 v[152:155], v133 offset:16
	ds_load_b128 v[160:163], v133 offset:1040
	;; [unrolled: 1-line block ×5, first 2 shown]
	v_cmp_eq_u32_e32 vcc_lo, 1, v132
	v_mov_b32_e32 v136, 0
	ds_load_b128 v[176:179], v133 offset:3088
	ds_load_b128 v[172:175], v133 offset:3072
	;; [unrolled: 1-line block ×4, first 2 shown]
	v_cmp_eq_u32_e64 s3, 1, v129
	v_cmp_eq_u32_e64 s4, 1, v131
	;; [unrolled: 1-line block ×3, first 2 shown]
	v_mov_b32_e32 v137, v136
	v_mov_b32_e32 v138, v136
	;; [unrolled: 1-line block ×7, first 2 shown]
	v_cmp_eq_u32_e64 s6, 2, v129
	s_waitcnt lgkmcnt(8)
	s_delay_alu instid0(VALU_DEP_2)
	v_wmma_f32_16x16x16_f16 v[136:143], v[121:128], v[148:155], v[136:143]
	ds_load_b128 v[125:128], v133 offset:5136
	ds_load_b128 v[121:124], v133 offset:5120
	s_waitcnt lgkmcnt(8)
	v_wmma_f32_16x16x16_f16 v[136:143], v[113:120], v[156:163], v[136:143]
	ds_load_b128 v[117:120], v133 offset:6160
	ds_load_b128 v[113:116], v133 offset:6144
	s_waitcnt lgkmcnt(8)
	;; [unrolled: 4-line block ×11, first 2 shown]
	s_barrier
	buffer_gl0_inv
	v_wmma_f32_16x16x16_f16 v[136:143], v[1:8], v[73:80], v[136:143]
	s_delay_alu instid0(VALU_DEP_1) | instskip(NEXT) | instid1(VALU_DEP_1)
	v_wmma_f32_16x16x16_f16 v[136:143], v[9:16], v[65:72], v[136:143]
	v_wmma_f32_16x16x16_f16 v[136:143], v[33:40], v[57:64], v[136:143]
	s_delay_alu instid0(VALU_DEP_1) | instskip(NEXT) | instid1(VALU_DEP_1)
	v_wmma_f32_16x16x16_f16 v[136:143], v[41:48], v[49:56], v[136:143]
	v_wmma_f32_16x16x16_f16 v[136:143], v[17:24], v[25:32], v[136:143]
	s_delay_alu instid0(VALU_DEP_1) | instskip(NEXT) | instid1(VALU_DEP_2)
	v_cvt_f16_f32_e64 v1, v136
	v_cvt_f16_f32_e64 v2, v137
	s_delay_alu instid0(VALU_DEP_3) | instskip(NEXT) | instid1(VALU_DEP_4)
	v_cvt_f16_f32_e64 v3, v138
	v_cvt_f16_f32_e64 v4, v139
	;; [unrolled: 1-line block ×6, first 2 shown]
	v_pack_b32_f16 v1, v1, v2
	v_pack_b32_f16 v2, v3, v4
	;; [unrolled: 1-line block ×3, first 2 shown]
	s_delay_alu instid0(VALU_DEP_4)
	v_pack_b32_f16 v4, v7, v8
	ds_store_b128 v134, v[1:4]
	s_waitcnt lgkmcnt(0)
	s_barrier
	buffer_gl0_inv
	ds_load_b128 v[1:4], v135
	ds_load_b128 v[5:8], v135 offset:16
	s_waitcnt lgkmcnt(1)
	v_lshrrev_b32_e32 v9, 16, v1
	s_waitcnt lgkmcnt(0)
	v_lshrrev_b32_e32 v13, 16, v5
	v_lshrrev_b32_e32 v10, 16, v2
	v_lshrrev_b32_e32 v14, 16, v6
	v_lshrrev_b32_e32 v11, 16, v3
	v_cndmask_b32_e64 v17, v1, v9, s3
	v_cndmask_b32_e64 v18, v5, v13, s3
	v_cndmask_b32_e64 v19, v1, v9, s5
	v_cmp_eq_u32_e64 s3, 2, v130
	v_cndmask_b32_e64 v20, v5, v13, s5
	v_cndmask_b32_e32 v21, v1, v9, vcc_lo
	v_cndmask_b32_e32 v22, v5, v13, vcc_lo
	v_cndmask_b32_e64 v1, v1, v9, s4
	v_cndmask_b32_e64 v5, v5, v13, s4
	v_cmp_eq_u32_e32 vcc_lo, 2, v132
	v_cmp_eq_u32_e64 s4, 2, v131
	v_cndmask_b32_e64 v9, v17, v2, s6
	v_cndmask_b32_e64 v13, v18, v6, s6
	;; [unrolled: 1-line block ×4, first 2 shown]
	v_cndmask_b32_e32 v19, v21, v2, vcc_lo
	v_cmp_eq_u32_e64 s3, 3, v132
	v_cndmask_b32_e32 v20, v22, v6, vcc_lo
	v_cndmask_b32_e64 v1, v1, v2, s4
	v_cmp_eq_u32_e32 vcc_lo, 3, v131
	v_cmp_eq_u32_e64 s5, 3, v129
	v_cndmask_b32_e64 v2, v5, v6, s4
	v_cmp_eq_u32_e64 s4, 3, v130
	v_cmp_eq_u32_e64 s6, 4, v129
	v_cndmask_b32_e32 v1, v1, v10, vcc_lo
	v_cndmask_b32_e64 v5, v9, v10, s5
	v_cndmask_b32_e64 v6, v13, v14, s5
	;; [unrolled: 1-line block ×3, first 2 shown]
	v_cmp_eq_u32_e64 s5, 4, v130
	v_cndmask_b32_e64 v13, v18, v14, s4
	v_cndmask_b32_e64 v17, v19, v10, s3
	;; [unrolled: 1-line block ×3, first 2 shown]
	v_cndmask_b32_e32 v2, v2, v14, vcc_lo
	v_cmp_eq_u32_e32 vcc_lo, 4, v132
	v_cmp_eq_u32_e64 s4, 4, v131
	v_lshrrev_b32_e32 v15, 16, v7
	v_cndmask_b32_e64 v5, v5, v3, s6
	v_cndmask_b32_e64 v6, v6, v7, s6
	v_cndmask_b32_e32 v14, v18, v7, vcc_lo
	v_cndmask_b32_e64 v9, v9, v3, s5
	v_cndmask_b32_e64 v10, v13, v7, s5
	v_cndmask_b32_e32 v13, v17, v3, vcc_lo
	v_cmp_eq_u32_e64 s3, 5, v132
	v_cndmask_b32_e64 v1, v1, v3, s4
	v_cmp_eq_u32_e32 vcc_lo, 5, v131
	v_cmp_eq_u32_e64 s5, 5, v129
	v_cndmask_b32_e64 v2, v2, v7, s4
	v_cmp_eq_u32_e64 s4, 5, v130
	v_cmp_eq_u32_e64 s6, 6, v129
	v_lshrrev_b32_e32 v12, 16, v4
	v_cndmask_b32_e64 v3, v5, v11, s5
	v_cndmask_b32_e64 v5, v6, v15, s5
	v_cndmask_b32_e64 v6, v9, v11, s4
	v_cmp_eq_u32_e64 s5, 6, v130
	v_cndmask_b32_e64 v7, v10, v15, s4
	v_cndmask_b32_e64 v9, v13, v11, s3
	;; [unrolled: 1-line block ×3, first 2 shown]
	v_cndmask_b32_e32 v1, v1, v11, vcc_lo
	v_cndmask_b32_e32 v2, v2, v15, vcc_lo
	v_cmp_eq_u32_e32 vcc_lo, 6, v132
	v_cmp_eq_u32_e64 s3, 6, v131
	v_lshrrev_b32_e32 v16, 16, v8
	v_cndmask_b32_e64 v3, v3, v4, s6
	v_cndmask_b32_e64 v5, v5, v8, s6
	v_cndmask_b32_e32 v9, v9, v4, vcc_lo
	v_cndmask_b32_e64 v6, v6, v4, s5
	v_cndmask_b32_e64 v7, v7, v8, s5
	v_cmp_eq_u32_e64 s4, 7, v132
	v_cndmask_b32_e32 v10, v10, v8, vcc_lo
	v_cndmask_b32_e64 v1, v1, v4, s3
	v_cmp_eq_u32_e32 vcc_lo, 7, v131
	v_cndmask_b32_e64 v2, v2, v8, s3
	v_cmp_eq_u32_e64 s3, 7, v129
	v_cmp_eq_u32_e64 s5, 7, v130
	v_cndmask_b32_e32 v1, v1, v12, vcc_lo
	s_delay_alu instid0(VALU_DEP_4) | instskip(NEXT) | instid1(VALU_DEP_4)
	v_cndmask_b32_e32 v2, v2, v16, vcc_lo
	v_cndmask_b32_e64 v8, v3, v12, s3
	s_delay_alu instid0(VALU_DEP_4)
	v_cndmask_b32_e64 v6, v6, v12, s5
	v_cndmask_b32_e64 v3, v9, v12, s4
	;; [unrolled: 1-line block ×5, first 2 shown]
	v_cmp_gt_u32_e32 vcc_lo, 32, v0
	v_perm_b32 v4, v2, v1, 0x5040100
	v_perm_b32 v3, v9, v3, 0x5040100
	;; [unrolled: 1-line block ×4, first 2 shown]
	s_and_b32 s2, vcc_lo, s2
	ds_store_b128 v134, v[1:4]
	s_waitcnt lgkmcnt(0)
	s_barrier
	buffer_gl0_inv
	s_and_saveexec_b32 s3, s2
	s_cbranch_execz .LBB103_2
; %bb.15:
	s_load_b64 s[0:1], s[0:1], 0x68
	s_lshl_b32 s4, s35, 6
	v_or_b32_e32 v2, s31, v146
	s_mul_i32 s2, s4, s34
	v_lshlrev_b32_e32 v0, 10, v0
	s_mul_i32 s2, s2, s7
	v_lshlrev_b32_e32 v1, 4, v147
	s_ashr_i32 s3, s2, 31
	v_mul_lo_u32 v20, v2, s4
	s_lshl_b64 s[2:3], s[2:3], 1
	v_lshlrev_b32_e32 v3, 6, v146
	v_and_b32_e32 v0, 0x3800, v0
	s_delay_alu instid0(VALU_DEP_1) | instskip(NEXT) | instid1(VALU_DEP_4)
	v_or3_b32 v16, v0, v1, v3
	v_ashrrev_i32_e32 v21, 31, v20
	ds_load_b128 v[0:3], v16
	ds_load_b128 v[4:7], v16 offset:128
	s_waitcnt lgkmcnt(0)
	s_add_u32 s2, s0, s2
	s_addc_u32 s3, s1, s3
	s_lshl_b32 s0, s14, 6
	ds_load_b128 v[8:11], v16 offset:256
	ds_load_b128 v[12:15], v16 offset:384
	;; [unrolled: 1-line block ×3, first 2 shown]
	s_ashr_i32 s1, s0, 31
	s_delay_alu instid0(SALU_CYCLE_1) | instskip(NEXT) | instid1(SALU_CYCLE_1)
	s_lshl_b64 s[0:1], s[0:1], 1
	s_add_u32 s0, s2, s0
	s_addc_u32 s1, s3, s1
	s_lshl_b32 s2, s35, 7
	v_add_co_u32 v30, s0, s0, v145
	v_add_nc_u32_e32 v22, s2, v20
	v_lshlrev_b64 v[20:21], 1, v[20:21]
	v_add_co_ci_u32_e64 v31, null, s1, 0, s0
	s_delay_alu instid0(VALU_DEP_3) | instskip(SKIP_1) | instid1(VALU_DEP_4)
	v_add_nc_u32_e32 v24, s2, v22
	v_ashrrev_i32_e32 v23, 31, v22
	v_add_co_u32 v20, vcc_lo, v30, v20
	s_delay_alu instid0(VALU_DEP_4) | instskip(NEXT) | instid1(VALU_DEP_4)
	v_add_co_ci_u32_e32 v21, vcc_lo, v31, v21, vcc_lo
	v_add_nc_u32_e32 v26, s2, v24
	v_ashrrev_i32_e32 v25, 31, v24
	v_lshlrev_b64 v[22:23], 1, v[22:23]
	s_delay_alu instid0(VALU_DEP_3) | instskip(SKIP_1) | instid1(VALU_DEP_4)
	v_add_nc_u32_e32 v28, s2, v26
	v_ashrrev_i32_e32 v27, 31, v26
	v_lshlrev_b64 v[24:25], 1, v[24:25]
	s_delay_alu instid0(VALU_DEP_4) | instskip(NEXT) | instid1(VALU_DEP_4)
	v_add_co_u32 v22, vcc_lo, v30, v22
	v_ashrrev_i32_e32 v29, 31, v28
	s_delay_alu instid0(VALU_DEP_4) | instskip(SKIP_2) | instid1(VALU_DEP_4)
	v_lshlrev_b64 v[26:27], 1, v[26:27]
	v_add_co_ci_u32_e32 v23, vcc_lo, v31, v23, vcc_lo
	v_add_co_u32 v24, vcc_lo, v30, v24
	v_lshlrev_b64 v[28:29], 1, v[28:29]
	v_add_co_ci_u32_e32 v25, vcc_lo, v31, v25, vcc_lo
	v_add_co_u32 v26, vcc_lo, v30, v26
	v_add_co_ci_u32_e32 v27, vcc_lo, v31, v27, vcc_lo
	s_delay_alu instid0(VALU_DEP_4)
	v_add_co_u32 v28, vcc_lo, v30, v28
	v_add_co_ci_u32_e32 v29, vcc_lo, v31, v29, vcc_lo
	s_clause 0x1
	global_store_b128 v[20:21], v[0:3], off
	global_store_b128 v[22:23], v[4:7], off
	s_waitcnt lgkmcnt(2)
	global_store_b128 v[24:25], v[8:11], off
	s_waitcnt lgkmcnt(1)
	global_store_b128 v[26:27], v[12:15], off
	s_waitcnt lgkmcnt(0)
	global_store_b128 v[28:29], v[16:19], off
	s_nop 0
	s_sendmsg sendmsg(MSG_DEALLOC_VGPRS)
	s_endpgm
	.section	.rodata,"a",@progbits
	.p2align	6, 0x0
	.amdhsa_kernel _Z39paged_attention_ll4mi_QKV_mfma16_kernelIDF16_DF16_LN4vllm18Fp8KVCacheDataTypeE0EDF16_Li16ELi64ELi256ELb0ELi10EL8MFMAType0EEvPKT_PKT0_S8_ifPKiSA_SA_iPKfiiiPfSD_PS3_PT2_iSC_SC_
		.amdhsa_group_segment_fixed_size 17472
		.amdhsa_private_segment_fixed_size 0
		.amdhsa_kernarg_size 400
		.amdhsa_user_sgpr_count 13
		.amdhsa_user_sgpr_dispatch_ptr 0
		.amdhsa_user_sgpr_queue_ptr 0
		.amdhsa_user_sgpr_kernarg_segment_ptr 1
		.amdhsa_user_sgpr_dispatch_id 0
		.amdhsa_user_sgpr_private_segment_size 0
		.amdhsa_wavefront_size32 1
		.amdhsa_uses_dynamic_stack 0
		.amdhsa_enable_private_segment 0
		.amdhsa_system_sgpr_workgroup_id_x 1
		.amdhsa_system_sgpr_workgroup_id_y 1
		.amdhsa_system_sgpr_workgroup_id_z 1
		.amdhsa_system_sgpr_workgroup_info 0
		.amdhsa_system_vgpr_workitem_id 0
		.amdhsa_next_free_vgpr 198
		.amdhsa_next_free_sgpr 52
		.amdhsa_reserve_vcc 1
		.amdhsa_float_round_mode_32 0
		.amdhsa_float_round_mode_16_64 0
		.amdhsa_float_denorm_mode_32 3
		.amdhsa_float_denorm_mode_16_64 3
		.amdhsa_dx10_clamp 1
		.amdhsa_ieee_mode 1
		.amdhsa_fp16_overflow 0
		.amdhsa_workgroup_processor_mode 1
		.amdhsa_memory_ordered 1
		.amdhsa_forward_progress 0
		.amdhsa_shared_vgpr_count 0
		.amdhsa_exception_fp_ieee_invalid_op 0
		.amdhsa_exception_fp_denorm_src 0
		.amdhsa_exception_fp_ieee_div_zero 0
		.amdhsa_exception_fp_ieee_overflow 0
		.amdhsa_exception_fp_ieee_underflow 0
		.amdhsa_exception_fp_ieee_inexact 0
		.amdhsa_exception_int_div_zero 0
	.end_amdhsa_kernel
	.section	.text._Z39paged_attention_ll4mi_QKV_mfma16_kernelIDF16_DF16_LN4vllm18Fp8KVCacheDataTypeE0EDF16_Li16ELi64ELi256ELb0ELi10EL8MFMAType0EEvPKT_PKT0_S8_ifPKiSA_SA_iPKfiiiPfSD_PS3_PT2_iSC_SC_,"axG",@progbits,_Z39paged_attention_ll4mi_QKV_mfma16_kernelIDF16_DF16_LN4vllm18Fp8KVCacheDataTypeE0EDF16_Li16ELi64ELi256ELb0ELi10EL8MFMAType0EEvPKT_PKT0_S8_ifPKiSA_SA_iPKfiiiPfSD_PS3_PT2_iSC_SC_,comdat
.Lfunc_end103:
	.size	_Z39paged_attention_ll4mi_QKV_mfma16_kernelIDF16_DF16_LN4vllm18Fp8KVCacheDataTypeE0EDF16_Li16ELi64ELi256ELb0ELi10EL8MFMAType0EEvPKT_PKT0_S8_ifPKiSA_SA_iPKfiiiPfSD_PS3_PT2_iSC_SC_, .Lfunc_end103-_Z39paged_attention_ll4mi_QKV_mfma16_kernelIDF16_DF16_LN4vllm18Fp8KVCacheDataTypeE0EDF16_Li16ELi64ELi256ELb0ELi10EL8MFMAType0EEvPKT_PKT0_S8_ifPKiSA_SA_iPKfiiiPfSD_PS3_PT2_iSC_SC_
                                        ; -- End function
	.section	.AMDGPU.csdata,"",@progbits
; Kernel info:
; codeLenInByte = 7916
; NumSgprs: 54
; NumVgprs: 198
; ScratchSize: 0
; MemoryBound: 0
; FloatMode: 240
; IeeeMode: 1
; LDSByteSize: 17472 bytes/workgroup (compile time only)
; SGPRBlocks: 6
; VGPRBlocks: 24
; NumSGPRsForWavesPerEU: 54
; NumVGPRsForWavesPerEU: 198
; Occupancy: 7
; WaveLimiterHint : 1
; COMPUTE_PGM_RSRC2:SCRATCH_EN: 0
; COMPUTE_PGM_RSRC2:USER_SGPR: 13
; COMPUTE_PGM_RSRC2:TRAP_HANDLER: 0
; COMPUTE_PGM_RSRC2:TGID_X_EN: 1
; COMPUTE_PGM_RSRC2:TGID_Y_EN: 1
; COMPUTE_PGM_RSRC2:TGID_Z_EN: 1
; COMPUTE_PGM_RSRC2:TIDIG_COMP_CNT: 0
	.section	.text._Z39paged_attention_ll4mi_QKV_mfma16_kernelIDF16_DF16_LN4vllm18Fp8KVCacheDataTypeE0EDF16_Li16ELi64ELi256ELb0ELi11EL8MFMAType0EEvPKT_PKT0_S8_ifPKiSA_SA_iPKfiiiPfSD_PS3_PT2_iSC_SC_,"axG",@progbits,_Z39paged_attention_ll4mi_QKV_mfma16_kernelIDF16_DF16_LN4vllm18Fp8KVCacheDataTypeE0EDF16_Li16ELi64ELi256ELb0ELi11EL8MFMAType0EEvPKT_PKT0_S8_ifPKiSA_SA_iPKfiiiPfSD_PS3_PT2_iSC_SC_,comdat
	.protected	_Z39paged_attention_ll4mi_QKV_mfma16_kernelIDF16_DF16_LN4vllm18Fp8KVCacheDataTypeE0EDF16_Li16ELi64ELi256ELb0ELi11EL8MFMAType0EEvPKT_PKT0_S8_ifPKiSA_SA_iPKfiiiPfSD_PS3_PT2_iSC_SC_ ; -- Begin function _Z39paged_attention_ll4mi_QKV_mfma16_kernelIDF16_DF16_LN4vllm18Fp8KVCacheDataTypeE0EDF16_Li16ELi64ELi256ELb0ELi11EL8MFMAType0EEvPKT_PKT0_S8_ifPKiSA_SA_iPKfiiiPfSD_PS3_PT2_iSC_SC_
	.globl	_Z39paged_attention_ll4mi_QKV_mfma16_kernelIDF16_DF16_LN4vllm18Fp8KVCacheDataTypeE0EDF16_Li16ELi64ELi256ELb0ELi11EL8MFMAType0EEvPKT_PKT0_S8_ifPKiSA_SA_iPKfiiiPfSD_PS3_PT2_iSC_SC_
	.p2align	8
	.type	_Z39paged_attention_ll4mi_QKV_mfma16_kernelIDF16_DF16_LN4vllm18Fp8KVCacheDataTypeE0EDF16_Li16ELi64ELi256ELb0ELi11EL8MFMAType0EEvPKT_PKT0_S8_ifPKiSA_SA_iPKfiiiPfSD_PS3_PT2_iSC_SC_,@function
_Z39paged_attention_ll4mi_QKV_mfma16_kernelIDF16_DF16_LN4vllm18Fp8KVCacheDataTypeE0EDF16_Li16ELi64ELi256ELb0ELi11EL8MFMAType0EEvPKT_PKT0_S8_ifPKiSA_SA_iPKfiiiPfSD_PS3_PT2_iSC_SC_: ; @_Z39paged_attention_ll4mi_QKV_mfma16_kernelIDF16_DF16_LN4vllm18Fp8KVCacheDataTypeE0EDF16_Li16ELi64ELi256ELb0ELi11EL8MFMAType0EEvPKT_PKT0_S8_ifPKiSA_SA_iPKfiiiPfSD_PS3_PT2_iSC_SC_
; %bb.0:
	s_load_b64 s[2:3], s[0:1], 0x30
	s_mov_b32 s34, s13
	s_waitcnt lgkmcnt(0)
	s_cmp_lg_u64 s[2:3], 0
	s_cselect_b32 s6, -1, 0
	s_ashr_i32 s35, s13, 31
	s_cmp_eq_u64 s[2:3], 0
	s_cbranch_scc1 .LBB104_3
; %bb.1:
	s_lshl_b64 s[4:5], s[34:35], 2
	s_delay_alu instid0(SALU_CYCLE_1) | instskip(SKIP_4) | instid1(SALU_CYCLE_1)
	s_add_u32 s4, s2, s4
	s_addc_u32 s5, s3, s5
	s_load_b64 s[4:5], s[4:5], 0x0
	s_waitcnt lgkmcnt(0)
	s_sub_i32 s4, s5, s4
	s_cmp_eq_u32 s4, 1
	s_cselect_b32 s4, -1, 0
	s_delay_alu instid0(SALU_CYCLE_1)
	s_and_not1_b32 vcc_lo, exec_lo, s4
	s_cbranch_vccz .LBB104_4
.LBB104_2:
	s_nop 0
	s_sendmsg sendmsg(MSG_DEALLOC_VGPRS)
	s_endpgm
.LBB104_3:
.LBB104_4:
	s_load_b64 s[8:9], s[0:1], 0x28
	s_lshl_b64 s[4:5], s[34:35], 2
	s_waitcnt lgkmcnt(0)
	s_add_u32 s8, s8, s4
	s_addc_u32 s9, s9, s5
	s_lshl_b32 s31, s14, 8
	s_load_b32 s30, s[8:9], 0x0
	s_waitcnt lgkmcnt(0)
	s_cmp_ge_i32 s31, s30
	s_cbranch_scc1 .LBB104_2
; %bb.5:
	s_clause 0x1
	s_load_b128 s[8:11], s[0:1], 0x8
	s_load_b64 s[12:13], s[0:1], 0x20
	s_and_not1_b32 vcc_lo, exec_lo, s6
	s_cbranch_vccnz .LBB104_7
; %bb.6:
	s_add_u32 s2, s2, s4
	s_addc_u32 s3, s3, s5
	s_load_b32 s3, s[2:3], 0x0
	s_branch .LBB104_8
.LBB104_7:
	s_mov_b32 s3, s34
.LBB104_8:
	s_load_b128 s[4:7], s[0:1], 0x48
	v_lshrrev_b32_e32 v149, 5, v0
	v_bfe_u32 v146, v0, 4, 1
	v_and_b32_e32 v148, 15, v0
	v_and_b32_e32 v150, 31, v0
	;; [unrolled: 1-line block ×3, first 2 shown]
	s_mul_i32 s33, s15, 11
	v_lshl_or_b32 v1, v149, 1, v146
	v_lshlrev_b32_e32 v2, 3, v148
	v_cmp_gt_u32_e64 s2, 8, v148
	s_delay_alu instid0(VALU_DEP_3) | instskip(NEXT) | instid1(VALU_DEP_3)
	v_cmp_gt_u32_e32 vcc_lo, 11, v1
	v_lshlrev_b32_e32 v145, 1, v2
	s_delay_alu instid0(VALU_DEP_3)
	s_and_b32 s16, s2, vcc_lo
	s_waitcnt lgkmcnt(0)
	s_and_saveexec_b32 s7, s16
	s_cbranch_execz .LBB104_10
; %bb.9:
	s_load_b64 s[16:17], s[0:1], 0x0
	v_add_lshl_u32 v2, v1, s33, 6
	s_mul_hi_i32 s19, s3, s4
	s_mul_i32 s18, s3, s4
	v_lshlrev_b32_e32 v6, 10, v148
	s_lshl_b64 s[18:19], s[18:19], 1
	v_ashrrev_i32_e32 v3, 31, v2
	v_lshlrev_b32_e32 v1, 6, v1
	v_lshlrev_b32_e32 v7, 10, v147
	v_and_b32_e32 v6, 0x3800, v6
	s_delay_alu instid0(VALU_DEP_4) | instskip(NEXT) | instid1(VALU_DEP_2)
	v_lshlrev_b64 v[2:3], 1, v[2:3]
	v_or3_b32 v1, v6, v7, v1
	s_waitcnt lgkmcnt(0)
	s_add_u32 s3, s16, s18
	s_addc_u32 s4, s17, s19
	s_delay_alu instid0(VALU_DEP_2) | instskip(SKIP_1) | instid1(VALU_DEP_2)
	v_add_co_u32 v2, vcc_lo, s3, v2
	v_add_co_ci_u32_e32 v3, vcc_lo, s4, v3, vcc_lo
	v_add_co_u32 v2, vcc_lo, v2, v145
	s_delay_alu instid0(VALU_DEP_2)
	v_add_co_ci_u32_e32 v3, vcc_lo, 0, v3, vcc_lo
	global_load_b128 v[2:5], v[2:3], off
	s_waitcnt vmcnt(0)
	ds_store_b128 v1, v[2:5]
.LBB104_10:
	s_or_b32 exec_lo, exec_lo, s7
	s_mov_b32 s40, 0
	s_add_i32 s3, s30, 15
	s_mov_b32 s41, s40
	s_mov_b32 s42, s40
	;; [unrolled: 1-line block ×7, first 2 shown]
	s_delay_alu instid0(SALU_CYCLE_1)
	v_dual_mov_b32 v144, s47 :: v_dual_and_b32 v1, 0xef, v0
	v_mov_b32_e32 v142, s45
	s_ashr_i32 s7, s3, 31
	s_clause 0x1
	s_load_b32 s4, s[0:1], 0x38
	s_load_b32 s35, s[0:1], 0x98
	v_add_nc_u32_e32 v1, s31, v1
	s_lshr_b32 s7, s7, 28
	s_load_b32 s36, s[0:1], 0x1c
	s_add_i32 s3, s3, s7
	s_waitcnt lgkmcnt(0)
	v_ashrrev_i32_e32 v2, 31, v1
	v_or_b32_e32 v3, 16, v1
	s_ashr_i32 s3, s3, 4
	v_cmp_gt_i32_e32 vcc_lo, s30, v1
	s_add_i32 s3, s3, -1
	v_lshrrev_b32_e32 v2, 28, v2
	v_mov_b32_e32 v143, s46
	s_barrier
	buffer_gl0_inv
	s_mul_i32 s6, s15, s6
	v_dual_mov_b32 v141, s44 :: v_dual_add_nc_u32 v4, v1, v2
	v_mov_b32_e32 v139, s42
	s_mul_i32 s16, s34, s4
	v_mov_b32_e32 v137, s40
	s_delay_alu instid0(VALU_DEP_3)
	v_ashrrev_i32_e32 v4, 4, v4
	v_add_nc_u32_e32 v2, v3, v2
	s_ashr_i32 s17, s16, 31
	v_mov_b32_e32 v140, s43
	s_lshl_b64 s[16:17], s[16:17], 2
	v_cndmask_b32_e32 v1, s3, v4, vcc_lo
	v_ashrrev_i32_e32 v2, 4, v2
	v_cmp_gt_i32_e32 vcc_lo, s30, v3
	s_add_u32 s4, s12, s16
	s_addc_u32 s37, s13, s17
	s_ashr_i32 s7, s6, 31
	v_mov_b32_e32 v138, s41
	v_cndmask_b32_e32 v3, s3, v2, vcc_lo
	v_ashrrev_i32_e32 v2, 31, v1
	s_lshl_b64 s[6:7], s[6:7], 1
	s_delay_alu instid0(SALU_CYCLE_1) | instskip(NEXT) | instid1(VALU_DEP_2)
	s_add_u32 s24, s8, s6
	v_ashrrev_i32_e32 v4, 31, v3
	s_delay_alu instid0(VALU_DEP_2) | instskip(SKIP_2) | instid1(VALU_DEP_2)
	v_lshlrev_b64 v[1:2], 2, v[1:2]
	s_addc_u32 s25, s9, s7
	s_lshl_b32 s8, s14, 4
	v_lshlrev_b64 v[3:4], 2, v[3:4]
	s_ashr_i32 s9, s8, 31
	s_delay_alu instid0(VALU_DEP_2) | instskip(SKIP_1) | instid1(VALU_DEP_3)
	v_add_co_u32 v1, vcc_lo, s4, v1
	v_add_co_ci_u32_e32 v2, vcc_lo, s37, v2, vcc_lo
	v_add_co_u32 v3, vcc_lo, s4, v3
	s_delay_alu instid0(VALU_DEP_4)
	v_add_co_ci_u32_e32 v4, vcc_lo, s37, v4, vcc_lo
	s_clause 0x1
	global_load_b32 v5, v[1:2], off
	global_load_b32 v6, v[3:4], off
	s_lshl_b64 s[8:9], s[8:9], 2
	v_lshlrev_b32_e32 v3, 4, v0
	s_add_u32 s8, s4, s8
	s_addc_u32 s9, s37, s9
	s_or_b32 s12, s31, 16
	s_delay_alu instid0(SALU_CYCLE_1) | instskip(SKIP_2) | instid1(SALU_CYCLE_1)
	s_ashr_i32 s13, s12, 4
	s_cmp_lt_i32 s12, s30
	s_cselect_b32 s12, s13, s3
	s_ashr_i32 s13, s12, 31
	s_delay_alu instid0(SALU_CYCLE_1) | instskip(NEXT) | instid1(SALU_CYCLE_1)
	s_lshl_b64 s[12:13], s[12:13], 2
	s_add_u32 s12, s4, s12
	s_addc_u32 s13, s37, s13
	s_or_b32 s15, s31, 32
	s_delay_alu instid0(SALU_CYCLE_1) | instskip(SKIP_2) | instid1(SALU_CYCLE_1)
	s_ashr_i32 s16, s15, 4
	s_cmp_lt_i32 s15, s30
	s_cselect_b32 s16, s16, s3
	s_ashr_i32 s17, s16, 31
	s_delay_alu instid0(SALU_CYCLE_1) | instskip(NEXT) | instid1(SALU_CYCLE_1)
	s_lshl_b64 s[16:17], s[16:17], 2
	;; [unrolled: 10-line block ×5, first 2 shown]
	s_add_u32 s22, s4, s22
	s_addc_u32 s23, s37, s23
	s_clause 0x5
	s_load_b32 s8, s[8:9], 0x0
	s_load_b32 s12, s[12:13], 0x0
	;; [unrolled: 1-line block ×6, first 2 shown]
	s_waitcnt lgkmcnt(0)
	s_mul_hi_i32 s17, s16, s5
	s_mul_i32 s16, s16, s5
	s_waitcnt vmcnt(1)
	v_mad_i64_i32 v[1:2], null, v5, s5, 0
	v_and_b32_e32 v5, 0xf0, v3
	s_waitcnt vmcnt(0)
	v_mad_i64_i32 v[3:4], null, v6, s5, 0
	s_delay_alu instid0(VALU_DEP_2) | instskip(NEXT) | instid1(VALU_DEP_4)
	v_add_co_u32 v7, s9, s24, v5
	v_lshlrev_b64 v[1:2], 1, v[1:2]
	v_add_co_ci_u32_e64 v8, null, s25, 0, s9
	s_delay_alu instid0(VALU_DEP_4) | instskip(SKIP_1) | instid1(VALU_DEP_3)
	v_lshlrev_b64 v[5:6], 1, v[3:4]
	s_or_b32 s9, s31, 0x60
	v_add_co_u32 v3, vcc_lo, v7, v1
	s_delay_alu instid0(VALU_DEP_3) | instskip(NEXT) | instid1(VALU_DEP_3)
	v_add_co_ci_u32_e32 v4, vcc_lo, v8, v2, vcc_lo
	v_add_co_u32 v1, vcc_lo, v7, v5
	s_delay_alu instid0(VALU_DEP_4)
	v_add_co_ci_u32_e32 v2, vcc_lo, v8, v6, vcc_lo
	s_clause 0x9
	global_load_b128 v[9:12], v[3:4], off
	global_load_b128 v[13:16], v[3:4], off offset:256
	global_load_b128 v[129:132], v[1:2], off
	global_load_b128 v[133:136], v[1:2], off offset:256
	global_load_b128 v[41:44], v[3:4], off offset:512
	;; [unrolled: 1-line block ×7, first 2 shown]
	v_add_nc_u32_e32 v5, -11, v148
	v_cmp_gt_u32_e32 vcc_lo, 11, v148
	s_clause 0x1
	global_load_b128 v[151:154], v[1:2], off offset:1024
	global_load_b128 v[155:158], v[1:2], off offset:1280
	s_ashr_i32 s13, s9, 4
	s_cmp_lt_i32 s9, s30
	v_lshlrev_b32_e32 v6, 5, v148
	v_cndmask_b32_e32 v5, v5, v148, vcc_lo
	s_cselect_b32 s22, s13, s3
	s_delay_alu instid0(SALU_CYCLE_1) | instskip(NEXT) | instid1(VALU_DEP_2)
	s_ashr_i32 s23, s22, 31
	v_lshl_or_b32 v6, v149, 9, v6
	s_delay_alu instid0(VALU_DEP_2)
	v_lshlrev_b32_e32 v197, 6, v5
	ds_load_b128 v[159:162], v197
	ds_load_b128 v[163:166], v197 offset:1024
	s_clause 0x3
	global_load_b128 v[167:170], v[3:4], off offset:1536
	global_load_b128 v[171:174], v[3:4], off offset:1792
	;; [unrolled: 1-line block ×4, first 2 shown]
	s_lshl_b64 s[22:23], s[22:23], 2
	s_delay_alu instid0(SALU_CYCLE_1)
	s_add_u32 s22, s4, s22
	s_addc_u32 s23, s37, s23
	s_or_b32 s9, s31, 0x70
	s_load_b32 s46, s[22:23], 0x0
	s_ashr_i32 s13, s9, 4
	s_cmp_lt_i32 s9, s30
	s_cselect_b32 s24, s13, s3
	s_delay_alu instid0(SALU_CYCLE_1) | instskip(NEXT) | instid1(SALU_CYCLE_1)
	s_ashr_i32 s25, s24, 31
	s_lshl_b64 s[24:25], s[24:25], 2
	s_delay_alu instid0(SALU_CYCLE_1)
	s_add_u32 s24, s4, s24
	s_addc_u32 s25, s37, s25
	s_or_b32 s9, s31, 0x80
	s_load_b32 s47, s[24:25], 0x0
	s_ashr_i32 s13, s9, 4
	s_cmp_lt_i32 s9, s30
	s_cselect_b32 s26, s13, s3
	s_delay_alu instid0(SALU_CYCLE_1) | instskip(NEXT) | instid1(SALU_CYCLE_1)
	s_ashr_i32 s27, s26, 31
	;; [unrolled: 11-line block ×3, first 2 shown]
	s_lshl_b64 s[28:29], s[28:29], 2
	s_delay_alu instid0(SALU_CYCLE_1) | instskip(SKIP_2) | instid1(SALU_CYCLE_1)
	s_add_u32 s28, s4, s28
	s_addc_u32 s29, s37, s29
	s_or_b32 s9, s31, 0xa0
	s_ashr_i32 s13, s9, 4
	s_cmp_lt_i32 s9, s30
	s_cselect_b32 s38, s13, s3
	s_delay_alu instid0(SALU_CYCLE_1) | instskip(NEXT) | instid1(SALU_CYCLE_1)
	s_ashr_i32 s39, s38, 31
	s_lshl_b64 s[38:39], s[38:39], 2
	s_delay_alu instid0(SALU_CYCLE_1) | instskip(SKIP_2) | instid1(SALU_CYCLE_1)
	s_add_u32 s38, s4, s38
	s_addc_u32 s39, s37, s39
	s_or_b32 s9, s31, 0xb0
	s_ashr_i32 s13, s9, 4
	s_cmp_lt_i32 s9, s30
	s_mul_hi_i32 s9, s8, s5
	s_cselect_b32 s40, s13, s3
	s_mul_i32 s8, s8, s5
	s_ashr_i32 s41, s40, 31
	s_mul_hi_i32 s13, s12, s5
	s_lshl_b64 s[40:41], s[40:41], 2
	s_mul_i32 s12, s12, s5
	s_add_u32 s42, s4, s40
	s_addc_u32 s43, s37, s41
	s_or_b32 s19, s31, 0xc0
	s_delay_alu instid0(SALU_CYCLE_1)
	s_ashr_i32 s21, s19, 4
	s_cmp_lt_i32 s19, s30
	s_mul_hi_i32 s19, s18, s5
	s_cselect_b32 s40, s21, s3
	s_mul_i32 s18, s18, s5
	s_ashr_i32 s41, s40, 31
	s_mul_hi_i32 s21, s20, s5
	s_lshl_b64 s[40:41], s[40:41], 2
	s_mul_i32 s20, s20, s5
	s_add_u32 s44, s4, s40
	s_addc_u32 s45, s37, s41
	s_load_b32 s41, s[28:29], 0x0
	s_or_b32 s40, s31, 0xd0
	s_mul_hi_i32 s23, s15, s5
	s_ashr_i32 s22, s40, 4
	s_cmp_lt_i32 s40, s30
	s_load_b32 s40, s[38:39], 0x0
	s_cselect_b32 s24, s22, s3
	s_mul_i32 s22, s15, s5
	s_ashr_i32 s25, s24, 31
	s_waitcnt lgkmcnt(0)
	s_mul_hi_i32 s29, s48, s5
	s_lshl_b64 s[24:25], s[24:25], 2
	s_mul_i32 s28, s48, s5
	s_add_u32 s24, s4, s24
	s_addc_u32 s25, s37, s25
	s_or_b32 s49, s31, 0xe0
	s_clause 0x2
	s_load_b32 s39, s[42:43], 0x0
	s_load_b32 s38, s[44:45], 0x0
	;; [unrolled: 1-line block ×3, first 2 shown]
	s_ashr_i32 s50, s49, 4
	s_cmp_lt_i32 s49, s30
	s_mul_hi_i32 s25, s46, s5
	s_cselect_b32 s44, s50, s3
	s_mul_i32 s24, s46, s5
	s_ashr_i32 s45, s44, 31
	s_mul_hi_i32 s27, s47, s5
	s_lshl_b64 s[44:45], s[44:45], 2
	s_mul_i32 s26, s47, s5
	s_add_u32 s44, s4, s44
	s_addc_u32 s45, s37, s45
	s_or_b32 s46, s31, 0xf0
	s_mul_hi_i32 s43, s41, s5
	s_ashr_i32 s48, s46, 4
	s_cmp_lt_i32 s46, s30
	s_mul_i32 s42, s41, s5
	s_cselect_b32 s48, s48, s3
	s_mul_hi_i32 s41, s40, s5
	s_ashr_i32 s49, s48, 31
	s_mul_i32 s40, s40, s5
	s_lshl_b64 s[48:49], s[48:49], 2
	s_waitcnt lgkmcnt(0)
	s_mul_hi_i32 s47, s39, s5
	s_add_u32 s48, s4, s48
	s_addc_u32 s49, s37, s49
	s_add_u32 s3, s10, s6
	s_addc_u32 s4, s11, s7
	v_add_co_u32 v195, s3, s3, v6
	s_delay_alu instid0(VALU_DEP_1) | instskip(SKIP_2) | instid1(VALU_DEP_2)
	v_add_co_ci_u32_e64 v196, null, s4, 0, s3
	s_lshl_b64 s[6:7], s[8:9], 1
	s_lshl_b64 s[8:9], s[12:13], 1
	v_add_co_u32 v1, vcc_lo, v195, s6
	s_delay_alu instid0(VALU_DEP_2)
	v_add_co_ci_u32_e32 v2, vcc_lo, s7, v196, vcc_lo
	v_add_co_u32 v3, vcc_lo, v195, s8
	s_lshl_b64 s[10:11], s[16:17], 1
	v_add_co_ci_u32_e32 v4, vcc_lo, s9, v196, vcc_lo
	v_add_co_u32 v5, vcc_lo, v195, s10
	s_lshl_b64 s[12:13], s[18:19], 1
	v_add_co_ci_u32_e32 v6, vcc_lo, s11, v196, vcc_lo
	v_add_co_u32 v7, vcc_lo, v195, s12
	s_lshl_b64 s[16:17], s[20:21], 1
	v_add_co_ci_u32_e32 v8, vcc_lo, s13, v196, vcc_lo
	v_add_co_u32 v25, vcc_lo, v195, s16
	s_lshl_b64 s[18:19], s[22:23], 1
	v_add_co_ci_u32_e32 v26, vcc_lo, s17, v196, vcc_lo
	v_add_co_u32 v27, vcc_lo, v195, s18
	s_lshl_b64 s[20:21], s[24:25], 1
	v_add_co_ci_u32_e32 v28, vcc_lo, s19, v196, vcc_lo
	v_add_co_u32 v29, vcc_lo, v195, s20
	s_lshl_b64 s[22:23], s[26:27], 1
	v_add_co_ci_u32_e32 v30, vcc_lo, s21, v196, vcc_lo
	v_add_co_u32 v31, vcc_lo, v195, s22
	s_lshl_b64 s[24:25], s[28:29], 1
	v_add_co_ci_u32_e32 v32, vcc_lo, s23, v196, vcc_lo
	v_add_co_u32 v49, vcc_lo, v195, s24
	s_lshl_b64 s[26:27], s[42:43], 1
	v_add_co_ci_u32_e32 v50, vcc_lo, s25, v196, vcc_lo
	v_add_co_u32 v53, vcc_lo, v195, s26
	s_lshl_b64 s[28:29], s[40:41], 1
	s_mul_i32 s46, s39, s5
	v_add_co_ci_u32_e32 v54, vcc_lo, s27, v196, vcc_lo
	v_add_co_u32 v183, vcc_lo, v195, s28
	s_lshl_b64 s[40:41], s[46:47], 1
	s_mul_hi_i32 s39, s38, s5
	s_mul_i32 s38, s38, s5
	v_add_co_ci_u32_e32 v184, vcc_lo, s29, v196, vcc_lo
	v_add_co_u32 v185, vcc_lo, v195, s40
	s_lshl_b64 s[38:39], s[38:39], 1
	s_clause 0x1
	s_load_b32 s3, s[44:45], 0x0
	s_load_b32 s4, s[48:49], 0x0
	v_add_co_ci_u32_e32 v186, vcc_lo, s41, v196, vcc_lo
	v_add_co_u32 v191, vcc_lo, v195, s38
	v_add_co_ci_u32_e32 v192, vcc_lo, s39, v196, vcc_lo
	s_clause 0x17
	global_load_b128 v[121:124], v[1:2], off
	global_load_b128 v[125:128], v[1:2], off offset:16
	global_load_b128 v[113:116], v[3:4], off
	global_load_b128 v[117:120], v[3:4], off offset:16
	;; [unrolled: 2-line block ×12, first 2 shown]
	s_mul_hi_i32 s51, s15, s5
	s_mul_i32 s50, s15, s5
	s_delay_alu instid0(SALU_CYCLE_1) | instskip(NEXT) | instid1(SALU_CYCLE_1)
	s_lshl_b64 s[42:43], s[50:51], 1
	v_add_co_u32 v193, vcc_lo, v195, s42
	v_add_co_ci_u32_e32 v194, vcc_lo, s43, v196, vcc_lo
	s_waitcnt lgkmcnt(0)
	s_mul_hi_i32 s7, s3, s5
	s_mul_i32 s6, s3, s5
	s_mul_hi_i32 s9, s4, s5
	s_lshl_b64 s[6:7], s[6:7], 1
	s_mul_i32 s8, s4, s5
	s_delay_alu instid0(SALU_CYCLE_1)
	s_lshl_b64 s[4:5], s[8:9], 1
	s_waitcnt vmcnt(38)
	v_wmma_f32_16x16x16_f16 v[183:190], v[9:16], v[159:166], v[137:144]
	s_waitcnt vmcnt(36)
	v_wmma_f32_16x16x16_f16 v[137:144], v[129:136], v[159:166], v[137:144]
	s_clause 0x1
	global_load_b128 v[9:12], v[191:192], off
	global_load_b128 v[13:16], v[191:192], off offset:16
	ds_load_b128 v[129:132], v197 offset:2048
	ds_load_b128 v[133:136], v197 offset:3072
	;; [unrolled: 1-line block ×4, first 2 shown]
	v_add_co_u32 v191, vcc_lo, v195, s6
	v_add_co_ci_u32_e32 v192, vcc_lo, s7, v196, vcc_lo
	v_add_co_u32 v195, vcc_lo, v195, s4
	v_add_co_ci_u32_e32 v196, vcc_lo, s5, v196, vcc_lo
	s_waitcnt vmcnt(36) lgkmcnt(2)
	v_wmma_f32_16x16x16_f16 v[183:190], v[41:48], v[129:136], v[183:190]
	s_waitcnt vmcnt(34)
	v_wmma_f32_16x16x16_f16 v[137:144], v[33:40], v[129:136], v[137:144]
	s_clause 0x3
	global_load_b128 v[33:36], v[193:194], off
	global_load_b128 v[37:40], v[193:194], off offset:16
	global_load_b128 v[41:44], v[191:192], off
	global_load_b128 v[45:48], v[191:192], off offset:16
	v_and_b32_e32 v129, 0xe0, v0
	v_mbcnt_lo_u32_b32 v191, -1, 0
	s_waitcnt vmcnt(36) lgkmcnt(0)
	v_wmma_f32_16x16x16_f16 v[183:190], v[17:24], v[159:166], v[183:190]
	s_clause 0x1
	global_load_b128 v[17:20], v[195:196], off
	global_load_b128 v[21:24], v[195:196], off offset:16
	s_waitcnt vmcnt(36)
	v_wmma_f32_16x16x16_f16 v[137:144], v[151:158], v[159:166], v[137:144]
	v_add_nc_u32_e32 v192, s31, v129
	ds_load_b128 v[129:132], v197 offset:6144
	ds_load_b128 v[133:136], v197 offset:7168
	v_xor_b32_e32 v151, 16, v191
	s_waitcnt vmcnt(0) lgkmcnt(0)
	s_barrier
	v_or_b32_e32 v152, v192, v146
	buffer_gl0_inv
	v_cmp_gt_i32_e32 vcc_lo, 32, v151
	v_or_b32_e32 v153, 2, v152
	v_or_b32_e32 v154, 4, v152
	;; [unrolled: 1-line block ×5, first 2 shown]
	v_cmp_gt_i32_e64 s3, s30, v153
	v_cmp_gt_i32_e64 s4, s30, v154
	;; [unrolled: 1-line block ×3, first 2 shown]
	v_or_b32_e32 v158, 12, v152
	v_or_b32_e32 v159, 14, v152
	v_cmp_gt_i32_e64 s6, s30, v156
	v_wmma_f32_16x16x16_f16 v[183:190], v[167:174], v[129:136], v[183:190]
	v_wmma_f32_16x16x16_f16 v[137:144], v[175:182], v[129:136], v[137:144]
	v_cndmask_b32_e32 v151, v191, v151, vcc_lo
	v_cmp_gt_i32_e32 vcc_lo, s30, v152
	v_cmp_gt_i32_e64 s7, s30, v157
	v_dual_mul_f32 v135, s36, v184 :: v_dual_mul_f32 v136, s36, v183
	v_dual_mul_f32 v133, s36, v186 :: v_dual_mul_f32 v134, s36, v185
	;; [unrolled: 1-line block ×3, first 2 shown]
	s_delay_alu instid0(VALU_DEP_3) | instskip(NEXT) | instid1(VALU_DEP_4)
	v_cndmask_b32_e32 v136, 0xff7fffff, v136, vcc_lo
	v_cndmask_b32_e64 v135, 0xff7fffff, v135, s3
	v_mul_f32_e32 v132, s36, v187
	v_cndmask_b32_e64 v134, 0xff7fffff, v134, s4
	v_cndmask_b32_e64 v133, 0xff7fffff, v133, s5
	v_or_b32_e32 v160, 16, v152
	v_max3_f32 v135, v136, 0xff7fffff, v135
	v_or_b32_e32 v161, 18, v152
	v_mul_f32_e32 v130, s36, v189
	v_dual_mul_f32 v172, s36, v140 :: v_dual_mul_f32 v129, s36, v190
	v_cndmask_b32_e64 v132, 0xff7fffff, v132, s6
	v_cndmask_b32_e64 v131, 0xff7fffff, v131, s7
	v_max3_f32 v133, v135, v134, v133
	v_cmp_gt_i32_e64 s8, s30, v158
	v_cmp_gt_i32_e64 s9, s30, v159
	v_or_b32_e32 v162, 20, v152
	v_or_b32_e32 v163, 22, v152
	v_mul_f32_e32 v175, s36, v137
	v_cndmask_b32_e64 v130, 0xff7fffff, v130, s8
	v_cndmask_b32_e64 v129, 0xff7fffff, v129, s9
	v_max3_f32 v131, v133, v132, v131
	v_cmp_gt_i32_e64 s10, s30, v160
	v_cmp_gt_i32_e64 s11, s30, v161
	v_or_b32_e32 v164, 24, v152
	v_or_b32_e32 v165, 26, v152
	v_mul_f32_e32 v173, s36, v139
	v_cndmask_b32_e64 v132, 0xff7fffff, v175, s10
	v_cndmask_b32_e64 v133, 0xff7fffff, v174, s11
	v_max3_f32 v129, v131, v130, v129
	v_cmp_gt_i32_e64 s12, s30, v162
	v_cmp_gt_i32_e64 s13, s30, v163
	v_or_b32_e32 v166, 28, v152
	v_or_b32_e32 v167, 30, v152
	v_dual_mul_f32 v170, s36, v142 :: v_dual_mul_f32 v171, s36, v141
	v_cndmask_b32_e64 v130, 0xff7fffff, v173, s12
	v_cndmask_b32_e64 v131, 0xff7fffff, v172, s13
	v_max3_f32 v129, v129, v132, v133
	v_cmp_gt_i32_e64 s15, s30, v164
	v_cmp_gt_i32_e64 s16, s30, v165
	v_dual_mul_f32 v168, s36, v144 :: v_dual_mul_f32 v169, s36, v143
	s_delay_alu instid0(VALU_DEP_4) | instskip(NEXT) | instid1(VALU_DEP_4)
	v_max3_f32 v129, v129, v130, v131
	v_cndmask_b32_e64 v132, 0xff7fffff, v171, s15
	s_delay_alu instid0(VALU_DEP_4) | instskip(SKIP_2) | instid1(VALU_DEP_3)
	v_cndmask_b32_e64 v133, 0xff7fffff, v170, s16
	v_cmp_gt_i32_e64 s17, s30, v166
	v_cmp_gt_i32_e64 s18, s30, v167
	v_max3_f32 v129, v129, v132, v133
	s_delay_alu instid0(VALU_DEP_3) | instskip(NEXT) | instid1(VALU_DEP_3)
	v_cndmask_b32_e64 v130, 0xff7fffff, v169, s17
	v_cndmask_b32_e64 v131, 0xff7fffff, v168, s18
	v_lshlrev_b32_e32 v132, 2, v151
	s_delay_alu instid0(VALU_DEP_2) | instskip(SKIP_3) | instid1(VALU_DEP_1)
	v_max3_f32 v129, v129, v130, v131
	ds_bpermute_b32 v130, v132, v129
	s_waitcnt lgkmcnt(0)
	v_max_f32_e32 v130, v130, v130
	v_max_f32_e32 v129, v129, v130
	s_delay_alu instid0(VALU_DEP_1) | instskip(SKIP_4) | instid1(VALU_DEP_4)
	v_fma_f32 v134, s36, v186, -v129
	v_fma_f32 v135, s36, v187, -v129
	;; [unrolled: 1-line block ×5, first 2 shown]
	v_dual_mul_f32 v134, 0x3fb8aa3b, v134 :: v_dual_mul_f32 v135, 0x3fb8aa3b, v135
	s_delay_alu instid0(VALU_DEP_4) | instskip(SKIP_1) | instid1(VALU_DEP_3)
	v_mul_f32_e32 v130, 0x3fb8aa3b, v130
	v_fma_f32 v136, s36, v189, -v129
	v_exp_f32_e32 v134, v134
	s_delay_alu instid0(VALU_DEP_3) | instskip(NEXT) | instid1(VALU_DEP_2)
	v_exp_f32_e32 v135, v135
	v_exp_f32_e32 v130, v130
	s_delay_alu instid0(VALU_DEP_1) | instskip(NEXT) | instid1(VALU_DEP_1)
	v_mul_f32_e32 v136, 0x3fb8aa3b, v136
	v_exp_f32_e32 v136, v136
	v_cndmask_b32_e64 v153, 0, v134, s5
	v_fma_f32 v134, s36, v137, -v129
	v_mul_f32_e32 v131, 0x3fb8aa3b, v131
	s_delay_alu instid0(TRANS32_DEP_3) | instskip(NEXT) | instid1(TRANS32_DEP_2)
	v_cndmask_b32_e64 v155, 0, v135, s6
	v_dual_mul_f32 v133, 0x3fb8aa3b, v133 :: v_dual_cndmask_b32 v152, 0, v130
	s_delay_alu instid0(VALU_DEP_4) | instskip(NEXT) | instid1(VALU_DEP_4)
	v_mul_f32_e32 v134, 0x3fb8aa3b, v134
	v_exp_f32_e32 v131, v131
	v_fma_f32 v135, s36, v138, -v129
	s_delay_alu instid0(VALU_DEP_3)
	v_exp_f32_e32 v133, v133
	v_fma_f32 v130, s36, v188, -v129
	v_cndmask_b32_e64 v156, 0, v136, s8
	v_fma_f32 v136, s36, v140, -v129
	v_mul_f32_e32 v135, 0x3fb8aa3b, v135
	v_exp_f32_e32 v134, v134
	v_mul_f32_e32 v130, 0x3fb8aa3b, v130
	s_delay_alu instid0(TRANS32_DEP_3) | instskip(SKIP_1) | instid1(TRANS32_DEP_2)
	v_cndmask_b32_e64 v151, 0, v131, s3
	v_add_f32_e32 v131, 0, v152
	v_cndmask_b32_e64 v154, 0, v133, s4
	v_exp_f32_e32 v135, v135
	v_fma_f32 v133, s36, v190, -v129
	v_exp_f32_e32 v130, v130
	v_dual_add_f32 v131, v131, v151 :: v_dual_mul_f32 v136, 0x3fb8aa3b, v136
	v_cmp_gt_u32_e64 s3, 16, v150
	s_delay_alu instid0(VALU_DEP_3) | instskip(NEXT) | instid1(VALU_DEP_3)
	v_mul_f32_e32 v133, 0x3fb8aa3b, v133
	v_add_f32_e32 v131, v131, v154
	s_delay_alu instid0(VALU_DEP_4) | instskip(NEXT) | instid1(TRANS32_DEP_3)
	v_exp_f32_e32 v136, v136
	v_cndmask_b32_e64 v140, 0, v135, s11
	s_delay_alu instid0(VALU_DEP_3) | instskip(NEXT) | instid1(TRANS32_DEP_3)
	v_exp_f32_e32 v133, v133
	v_cndmask_b32_e64 v138, 0, v130, s7
	v_add_f32_e32 v131, v131, v153
	v_fma_f32 v135, s36, v143, -v129
	s_delay_alu instid0(VALU_DEP_2)
	v_add_f32_e32 v130, v131, v155
	v_fma_f32 v131, s36, v139, -v129
	s_waitcnt_depctr 0xfff
	v_cndmask_b32_e64 v139, 0, v133, s9
	v_fma_f32 v133, s36, v141, -v129
	v_add_f32_e32 v130, v130, v138
	v_cndmask_b32_e64 v141, 0, v134, s10
	v_fma_f32 v134, s36, v142, -v129
	v_cndmask_b32_e64 v142, 0, v136, s13
	s_delay_alu instid0(VALU_DEP_4) | instskip(NEXT) | instid1(VALU_DEP_3)
	v_dual_mul_f32 v131, 0x3fb8aa3b, v131 :: v_dual_add_f32 v130, v130, v156
	v_mul_f32_e32 v134, 0x3fb8aa3b, v134
	s_delay_alu instid0(VALU_DEP_2) | instskip(NEXT) | instid1(VALU_DEP_2)
	v_exp_f32_e32 v131, v131
	v_add_f32_e32 v130, v130, v139
	s_delay_alu instid0(VALU_DEP_2) | instskip(NEXT) | instid1(VALU_DEP_1)
	v_exp_f32_e32 v134, v134
	v_add_f32_e32 v130, v130, v141
	s_waitcnt_depctr 0xfff
	v_cndmask_b32_e64 v143, 0, v131, s12
	v_dual_add_f32 v130, v130, v140 :: v_dual_mul_f32 v133, 0x3fb8aa3b, v133
	s_delay_alu instid0(VALU_DEP_1) | instskip(NEXT) | instid1(VALU_DEP_2)
	v_add_f32_e32 v130, v130, v143
	v_exp_f32_e32 v133, v133
	s_delay_alu instid0(VALU_DEP_1)
	v_add_f32_e32 v130, v130, v142
	s_waitcnt_depctr 0xfff
	v_cndmask_b32_e64 v157, 0, v133, s15
	v_mul_f32_e32 v131, 0x3fb8aa3b, v135
	v_fma_f32 v135, s36, v144, -v129
	v_cndmask_b32_e64 v144, 0, v134, s16
	s_delay_alu instid0(VALU_DEP_4) | instskip(NEXT) | instid1(VALU_DEP_4)
	v_add_f32_e32 v130, v130, v157
	v_exp_f32_e32 v131, v131
	s_delay_alu instid0(VALU_DEP_1) | instskip(NEXT) | instid1(VALU_DEP_1)
	v_dual_mul_f32 v133, 0x3fb8aa3b, v135 :: v_dual_add_f32 v130, v130, v144
	v_exp_f32_e32 v133, v133
	s_waitcnt_depctr 0xfff
	v_cndmask_b32_e64 v159, 0, v131, s17
	s_delay_alu instid0(VALU_DEP_1) | instskip(SKIP_1) | instid1(VALU_DEP_1)
	v_add_f32_e32 v130, v130, v159
	v_cndmask_b32_e64 v158, 0, v133, s18
	v_add_f32_e32 v130, v130, v158
	ds_bpermute_b32 v131, v132, v130
	s_and_saveexec_b32 s4, s3
	s_cbranch_execz .LBB104_12
; %bb.11:
	v_mul_u32_u24_e32 v132, 0x44, v149
	s_delay_alu instid0(VALU_DEP_1) | instskip(SKIP_1) | instid1(VALU_DEP_1)
	v_lshl_add_u32 v132, v148, 2, v132
	s_waitcnt lgkmcnt(0)
	v_dual_add_f32 v130, v130, v131 :: v_dual_add_nc_u32 v131, 0x4000, v132
	ds_store_2addr_b32 v131, v129, v130 offset1:136
.LBB104_12:
	s_or_b32 exec_lo, exec_lo, s4
	v_lshlrev_b32_e32 v129, 2, v148
	s_load_b32 s36, s[0:1], 0x94
	s_waitcnt lgkmcnt(0)
	s_barrier
	buffer_gl0_inv
	v_add_nc_u32_e32 v135, 0x4000, v129
	v_cmp_eq_u32_e32 vcc_lo, 1, v149
	v_cmp_eq_u32_e64 s4, 2, v149
	v_cmp_eq_u32_e64 s5, 3, v149
	;; [unrolled: 1-line block ×3, first 2 shown]
	ds_load_2addr_b32 v[129:130], v135 offset1:17
	ds_load_2addr_b32 v[131:132], v135 offset0:34 offset1:51
	ds_load_2addr_b32 v[133:134], v135 offset0:68 offset1:85
	;; [unrolled: 1-line block ×3, first 2 shown]
	v_cmp_eq_u32_e64 s7, 5, v149
	v_cmp_eq_u32_e64 s8, 7, v149
	s_waitcnt lgkmcnt(3)
	v_max3_f32 v136, v129, 0xff7fffff, v130
	s_waitcnt lgkmcnt(2)
	s_delay_alu instid0(VALU_DEP_1) | instskip(SKIP_1) | instid1(VALU_DEP_1)
	v_max3_f32 v136, v136, v131, v132
	s_waitcnt lgkmcnt(1)
	v_max3_f32 v136, v136, v133, v134
	s_waitcnt lgkmcnt(0)
	s_delay_alu instid0(VALU_DEP_1) | instskip(NEXT) | instid1(VALU_DEP_1)
	v_max3_f32 v136, v136, v160, v161
	v_sub_f32_e32 v164, v132, v136
	ds_load_2addr_b32 v[162:163], v135 offset0:136 offset1:153
	v_sub_f32_e32 v129, v129, v136
	v_sub_f32_e32 v137, v130, v136
	;; [unrolled: 1-line block ×3, first 2 shown]
	v_mul_f32_e32 v164, 0x3fb8aa3b, v164
	s_delay_alu instid0(VALU_DEP_4) | instskip(NEXT) | instid1(VALU_DEP_4)
	v_mul_f32_e32 v150, 0x3fb8aa3b, v129
	v_mul_f32_e32 v137, 0x3fb8aa3b, v137
	ds_load_2addr_b32 v[129:130], v135 offset0:170 offset1:187
	v_mul_f32_e32 v167, 0x3fb8aa3b, v133
	v_exp_f32_e32 v164, v164
	v_exp_f32_e32 v150, v150
	v_exp_f32_e32 v166, v137
	v_sub_f32_e32 v131, v131, v136
	s_delay_alu instid0(VALU_DEP_1)
	v_mul_f32_e32 v165, 0x3fb8aa3b, v131
	ds_load_2addr_b32 v[131:132], v135 offset0:204 offset1:221
	s_waitcnt lgkmcnt(2)
	v_fma_f32 v137, v150, v162, 0
	v_sub_f32_e32 v162, v134, v136
	v_exp_f32_e32 v165, v165
	ds_load_2addr_b32 v[133:134], v135 offset0:238 offset1:255
	v_sub_f32_e32 v135, v160, v136
	v_dual_fmac_f32 v137, v166, v163 :: v_dual_mul_f32 v160, 0x3fb8aa3b, v162
	v_exp_f32_e32 v162, v167
	s_waitcnt lgkmcnt(0)
	s_delay_alu instid0(VALU_DEP_2)
	v_mul_f32_e32 v135, 0x3fb8aa3b, v135
	s_barrier
	v_exp_f32_e32 v160, v160
	v_fmac_f32_e32 v137, v165, v129
	v_sub_f32_e32 v129, v161, v136
	v_exp_f32_e32 v161, v135
	buffer_gl0_inv
	v_fmac_f32_e32 v137, v164, v130
	v_dual_mul_f32 v129, 0x3fb8aa3b, v129 :: v_dual_cndmask_b32 v130, v150, v166
	s_delay_alu instid0(VALU_DEP_2) | instskip(NEXT) | instid1(VALU_DEP_2)
	v_fmac_f32_e32 v137, v162, v131
	v_exp_f32_e32 v163, v129
	s_delay_alu instid0(VALU_DEP_1) | instskip(NEXT) | instid1(VALU_DEP_1)
	v_fmac_f32_e32 v137, v160, v132
	v_fmac_f32_e32 v137, v161, v133
	v_lshlrev_b32_e32 v133, 6, v148
	s_waitcnt_depctr 0xfff
	v_fmac_f32_e32 v137, v163, v134
	v_lshl_or_b32 v135, v149, 11, v133
	s_delay_alu instid0(VALU_DEP_2) | instskip(NEXT) | instid1(VALU_DEP_1)
	v_add_f32_e32 v134, 0x358637bd, v137
	v_div_scale_f32 v167, null, v134, v134, 1.0
	v_div_scale_f32 v150, vcc_lo, 1.0, v134, 1.0
	s_delay_alu instid0(VALU_DEP_2) | instskip(SKIP_2) | instid1(VALU_DEP_1)
	v_rcp_f32_e32 v168, v167
	s_waitcnt_depctr 0xfff
	v_fma_f32 v129, -v167, v168, 1.0
	v_fmac_f32_e32 v168, v129, v168
	v_cndmask_b32_e64 v129, v130, v165, s4
	v_cmp_eq_u32_e64 s4, 6, v149
	s_delay_alu instid0(VALU_DEP_3) | instskip(NEXT) | instid1(VALU_DEP_3)
	v_mul_f32_e32 v165, v150, v168
	v_cndmask_b32_e64 v130, v129, v164, s5
	v_lshlrev_b32_e32 v129, 2, v146
	s_delay_alu instid0(VALU_DEP_3) | instskip(NEXT) | instid1(VALU_DEP_3)
	v_fma_f32 v131, -v167, v165, v150
	v_cndmask_b32_e64 v162, v130, v162, s6
	s_delay_alu instid0(VALU_DEP_3)
	v_or_b32_e32 v130, 1, v129
	v_or_b32_e32 v132, 2, v129
	v_cmp_eq_u32_e64 s5, 1, v129
	v_fmac_f32_e32 v165, v131, v168
	v_cndmask_b32_e64 v149, v162, v160, s7
	v_or_b32_e32 v131, 3, v129
	v_cmp_eq_u32_e64 s10, 1, v130
	v_cmp_eq_u32_e64 s11, 1, v132
	v_fma_f32 v150, -v167, v165, v150
	v_cndmask_b32_e64 v149, v149, v161, s4
	v_cmp_eq_u32_e64 s12, 1, v131
	v_cmp_eq_u32_e64 s6, 2, v129
	;; [unrolled: 1-line block ×3, first 2 shown]
	v_div_fmas_f32 v150, v150, v168, v165
	v_cndmask_b32_e64 v149, v149, v163, s8
	v_cmp_eq_u32_e64 s16, 2, v132
	v_cmp_eq_u32_e64 s17, 2, v131
	v_cmp_eq_u32_e32 vcc_lo, 3, v129
	v_div_fixup_f32 v150, v150, v134, 1.0
	v_lshl_or_b32 v134, v146, 4, v135
	v_cmp_eq_u32_e64 s15, 3, v130
	v_cmp_eq_u32_e64 s19, 3, v131
	;; [unrolled: 1-line block ×3, first 2 shown]
	v_mul_f32_e32 v149, v149, v150
	v_cmp_eq_u32_e64 s18, 3, v132
	v_cmp_eq_u32_e64 s20, 4, v130
	;; [unrolled: 1-line block ×4, first 2 shown]
	v_fma_mixlo_f16 v160, v149, v152, 0
	v_fma_mixlo_f16 v161, v149, v154, 0
	;; [unrolled: 1-line block ×8, first 2 shown]
	v_fma_mixhi_f16 v160, v149, v151, 0
	v_fma_mixhi_f16 v161, v149, v153, 0
	;; [unrolled: 1-line block ×8, first 2 shown]
	ds_store_b128 v134, v[160:163]
	ds_store_b128 v134, v[154:157] offset:1024
	s_waitcnt lgkmcnt(0)
	s_barrier
	buffer_gl0_inv
	ds_load_b128 v[138:141], v135
	ds_load_b128 v[149:152], v135 offset:16
	ds_load_b128 v[153:156], v135 offset:1024
	;; [unrolled: 1-line block ×3, first 2 shown]
	v_cmp_eq_u32_e64 s21, 5, v130
	v_cmp_eq_u32_e64 s22, 4, v132
	;; [unrolled: 1-line block ×12, first 2 shown]
	s_waitcnt lgkmcnt(3)
	v_lshrrev_b32_e32 v142, 16, v138
	s_waitcnt lgkmcnt(2)
	v_lshrrev_b32_e32 v162, 16, v149
	;; [unrolled: 2-line block ×4, first 2 shown]
	v_lshrrev_b32_e32 v143, 16, v139
	v_cndmask_b32_e64 v174, v138, v142, s5
	v_cndmask_b32_e64 v175, v149, v162, s5
	v_cndmask_b32_e64 v176, v138, v142, s10
	v_cndmask_b32_e64 v177, v149, v162, s10
	v_cndmask_b32_e64 v178, v138, v142, s11
	v_cndmask_b32_e64 v138, v138, v142, s12
	v_cndmask_b32_e64 v142, v149, v162, s12
	v_lshrrev_b32_e32 v163, 16, v150
	v_cndmask_b32_e64 v179, v149, v162, s11
	v_cndmask_b32_e64 v149, v153, v166, s5
	;; [unrolled: 1-line block ×16, first 2 shown]
	v_lshrrev_b32_e32 v167, 16, v154
	v_lshrrev_b32_e32 v171, 16, v158
	v_cndmask_b32_e64 v177, v179, v150, s16
	v_cndmask_b32_e64 v142, v149, v154, s6
	;; [unrolled: 1-line block ×7, first 2 shown]
	v_cndmask_b32_e32 v157, v166, v143, vcc_lo
	v_cndmask_b32_e32 v166, v170, v163, vcc_lo
	v_cndmask_b32_e64 v170, v174, v143, s15
	v_cndmask_b32_e64 v174, v175, v163, s15
	;; [unrolled: 1-line block ×4, first 2 shown]
	v_lshrrev_b32_e32 v144, 16, v140
	v_lshrrev_b32_e32 v164, 16, v151
	v_cndmask_b32_e64 v175, v176, v143, s18
	v_cndmask_b32_e64 v176, v177, v163, s18
	v_cndmask_b32_e32 v142, v142, v167, vcc_lo
	v_cndmask_b32_e32 v143, v149, v171, vcc_lo
	v_cndmask_b32_e64 v149, v150, v167, s15
	v_cndmask_b32_e64 v150, v157, v140, s4
	;; [unrolled: 1-line block ×7, first 2 shown]
	v_lshrrev_b32_e32 v168, 16, v155
	v_cndmask_b32_e64 v170, v175, v140, s22
	v_cndmask_b32_e64 v174, v176, v151, s22
	;; [unrolled: 1-line block ×11, first 2 shown]
	v_lshrrev_b32_e32 v161, 16, v141
	v_lshrrev_b32_e32 v165, 16, v152
	v_cndmask_b32_e64 v163, v170, v144, s24
	v_cndmask_b32_e64 v166, v174, v164, s24
	;; [unrolled: 1-line block ×9, first 2 shown]
	v_lshrrev_b32_e32 v169, 16, v156
	v_cndmask_b32_e64 v140, v140, v168, s7
	v_cndmask_b32_e64 v157, v163, v141, s27
	;; [unrolled: 1-line block ×14, first 2 shown]
	v_perm_b32 v141, v139, v138, 0x5040100
	v_perm_b32 v139, v151, v149, 0x5040100
	v_cndmask_b32_e64 v138, v183, v158, s16
	v_cndmask_b32_e64 v149, v181, v158, s13
	;; [unrolled: 1-line block ×3, first 2 shown]
	v_perm_b32 v140, v152, v150, 0x5040100
	v_cndmask_b32_e64 v150, v162, v167, s18
	v_cndmask_b32_e64 v151, v153, v167, s19
	v_cndmask_b32_e64 v152, v154, v171, s19
	v_cndmask_b32_e64 v138, v138, v171, s18
	v_cndmask_b32_e64 v149, v149, v171, s15
	v_lshrrev_b32_e32 v172, 16, v159
	v_cndmask_b32_e64 v150, v150, v155, s22
	v_cndmask_b32_e64 v151, v151, v155, s23
	;; [unrolled: 1-line block ×11, first 2 shown]
	v_lshrrev_b32_e32 v173, 16, v160
	v_cndmask_b32_e64 v142, v142, v160, s8
	v_cndmask_b32_e64 v150, v150, v156, s27
	;; [unrolled: 1-line block ×12, first 2 shown]
	v_perm_b32 v138, v144, v143, 0x5040100
	v_perm_b32 v152, v152, v151, 0x5040100
	;; [unrolled: 1-line block ×5, first 2 shown]
	s_mul_i32 s8, s35, 11
	s_mov_b32 s4, exec_lo
	ds_store_b128 v134, v[138:141]
	ds_store_b128 v134, v[149:152] offset:1024
	v_cmpx_gt_u32_e32 11, v0
	s_cbranch_execz .LBB104_14
; %bb.13:
	s_mul_i32 s5, s8, s34
	s_load_b128 s[16:19], s[0:1], 0x58
	v_add3_u32 v140, s5, s33, v148
	s_delay_alu instid0(VALU_DEP_1) | instskip(NEXT) | instid1(VALU_DEP_1)
	v_mad_u64_u32 v[138:139], null, v140, s36, s[14:15]
	v_ashrrev_i32_e32 v139, 31, v138
	s_delay_alu instid0(VALU_DEP_1) | instskip(SKIP_1) | instid1(VALU_DEP_1)
	v_lshlrev_b64 v[138:139], 2, v[138:139]
	s_waitcnt lgkmcnt(0)
	v_add_co_u32 v140, vcc_lo, s18, v138
	s_delay_alu instid0(VALU_DEP_2)
	v_add_co_ci_u32_e32 v141, vcc_lo, s19, v139, vcc_lo
	v_add_co_u32 v138, vcc_lo, s16, v138
	v_add_co_ci_u32_e32 v139, vcc_lo, s17, v139, vcc_lo
	global_store_b32 v[140:141], v136, off
	global_store_b32 v[138:139], v137, off
.LBB104_14:
	s_or_b32 exec_lo, exec_lo, s4
	s_waitcnt lgkmcnt(0)
	s_waitcnt_vscnt null, 0x0
	s_barrier
	buffer_gl0_inv
	ds_load_b128 v[148:151], v133
	ds_load_b128 v[152:155], v133 offset:16
	ds_load_b128 v[160:163], v133 offset:1040
	;; [unrolled: 1-line block ×5, first 2 shown]
	v_cmp_eq_u32_e32 vcc_lo, 1, v132
	v_mov_b32_e32 v136, 0
	ds_load_b128 v[176:179], v133 offset:3088
	ds_load_b128 v[172:175], v133 offset:3072
	;; [unrolled: 1-line block ×4, first 2 shown]
	v_cmp_eq_u32_e64 s4, 1, v129
	v_cmp_eq_u32_e64 s5, 1, v131
	;; [unrolled: 1-line block ×3, first 2 shown]
	v_mov_b32_e32 v137, v136
	v_mov_b32_e32 v138, v136
	;; [unrolled: 1-line block ×7, first 2 shown]
	v_cmp_eq_u32_e64 s7, 2, v129
	s_waitcnt lgkmcnt(8)
	s_delay_alu instid0(VALU_DEP_2)
	v_wmma_f32_16x16x16_f16 v[136:143], v[121:128], v[148:155], v[136:143]
	ds_load_b128 v[125:128], v133 offset:5136
	ds_load_b128 v[121:124], v133 offset:5120
	s_waitcnt lgkmcnt(8)
	v_wmma_f32_16x16x16_f16 v[136:143], v[113:120], v[156:163], v[136:143]
	ds_load_b128 v[117:120], v133 offset:6160
	ds_load_b128 v[113:116], v133 offset:6144
	s_waitcnt lgkmcnt(8)
	v_wmma_f32_16x16x16_f16 v[136:143], v[105:112], v[164:171], v[136:143]
	ds_load_b128 v[109:112], v133 offset:7184
	ds_load_b128 v[105:108], v133 offset:7168
	s_waitcnt lgkmcnt(8)
	v_wmma_f32_16x16x16_f16 v[136:143], v[97:104], v[172:179], v[136:143]
	ds_load_b128 v[101:104], v133 offset:8208
	ds_load_b128 v[97:100], v133 offset:8192
	s_waitcnt lgkmcnt(8)
	v_wmma_f32_16x16x16_f16 v[136:143], v[89:96], v[180:187], v[136:143]
	ds_load_b128 v[93:96], v133 offset:9232
	ds_load_b128 v[89:92], v133 offset:9216
	s_waitcnt lgkmcnt(8)
	v_wmma_f32_16x16x16_f16 v[136:143], v[81:88], v[121:128], v[136:143]
	ds_load_b128 v[85:88], v133 offset:10256
	ds_load_b128 v[81:84], v133 offset:10240
	s_waitcnt lgkmcnt(8)
	v_wmma_f32_16x16x16_f16 v[136:143], v[73:80], v[113:120], v[136:143]
	ds_load_b128 v[77:80], v133 offset:11280
	ds_load_b128 v[73:76], v133 offset:11264
	s_waitcnt lgkmcnt(8)
	v_wmma_f32_16x16x16_f16 v[136:143], v[65:72], v[105:112], v[136:143]
	ds_load_b128 v[69:72], v133 offset:12304
	ds_load_b128 v[65:68], v133 offset:12288
	s_waitcnt lgkmcnt(8)
	v_wmma_f32_16x16x16_f16 v[136:143], v[57:64], v[97:104], v[136:143]
	ds_load_b128 v[61:64], v133 offset:13328
	ds_load_b128 v[57:60], v133 offset:13312
	s_waitcnt lgkmcnt(8)
	v_wmma_f32_16x16x16_f16 v[136:143], v[49:56], v[89:96], v[136:143]
	ds_load_b128 v[53:56], v133 offset:14352
	ds_load_b128 v[49:52], v133 offset:14336
	s_waitcnt lgkmcnt(8)
	v_wmma_f32_16x16x16_f16 v[136:143], v[25:32], v[81:88], v[136:143]
	ds_load_b128 v[29:32], v133 offset:15376
	ds_load_b128 v[25:28], v133 offset:15360
	s_waitcnt lgkmcnt(0)
	s_barrier
	buffer_gl0_inv
	v_wmma_f32_16x16x16_f16 v[136:143], v[1:8], v[73:80], v[136:143]
	s_delay_alu instid0(VALU_DEP_1) | instskip(NEXT) | instid1(VALU_DEP_1)
	v_wmma_f32_16x16x16_f16 v[136:143], v[9:16], v[65:72], v[136:143]
	v_wmma_f32_16x16x16_f16 v[136:143], v[33:40], v[57:64], v[136:143]
	s_delay_alu instid0(VALU_DEP_1) | instskip(NEXT) | instid1(VALU_DEP_1)
	v_wmma_f32_16x16x16_f16 v[136:143], v[41:48], v[49:56], v[136:143]
	v_wmma_f32_16x16x16_f16 v[136:143], v[17:24], v[25:32], v[136:143]
	s_delay_alu instid0(VALU_DEP_1) | instskip(NEXT) | instid1(VALU_DEP_2)
	v_cvt_f16_f32_e64 v1, v136
	v_cvt_f16_f32_e64 v2, v137
	s_delay_alu instid0(VALU_DEP_3) | instskip(NEXT) | instid1(VALU_DEP_4)
	v_cvt_f16_f32_e64 v3, v138
	v_cvt_f16_f32_e64 v4, v139
	;; [unrolled: 1-line block ×6, first 2 shown]
	v_pack_b32_f16 v1, v1, v2
	v_pack_b32_f16 v2, v3, v4
	;; [unrolled: 1-line block ×3, first 2 shown]
	s_delay_alu instid0(VALU_DEP_4)
	v_pack_b32_f16 v4, v7, v8
	ds_store_b128 v134, v[1:4]
	s_waitcnt lgkmcnt(0)
	s_barrier
	buffer_gl0_inv
	ds_load_b128 v[1:4], v135
	ds_load_b128 v[5:8], v135 offset:16
	s_waitcnt lgkmcnt(1)
	v_lshrrev_b32_e32 v9, 16, v1
	s_waitcnt lgkmcnt(0)
	v_lshrrev_b32_e32 v13, 16, v5
	v_lshrrev_b32_e32 v10, 16, v2
	;; [unrolled: 1-line block ×4, first 2 shown]
	v_cndmask_b32_e64 v17, v1, v9, s4
	v_cndmask_b32_e64 v18, v5, v13, s4
	;; [unrolled: 1-line block ×3, first 2 shown]
	v_cmp_eq_u32_e64 s4, 2, v130
	v_cndmask_b32_e64 v20, v5, v13, s6
	v_cndmask_b32_e32 v21, v1, v9, vcc_lo
	v_cndmask_b32_e32 v22, v5, v13, vcc_lo
	v_cndmask_b32_e64 v1, v1, v9, s5
	v_cndmask_b32_e64 v5, v5, v13, s5
	v_cmp_eq_u32_e32 vcc_lo, 2, v132
	v_cmp_eq_u32_e64 s5, 2, v131
	v_cndmask_b32_e64 v9, v17, v2, s7
	v_cndmask_b32_e64 v13, v18, v6, s7
	;; [unrolled: 1-line block ×4, first 2 shown]
	v_cndmask_b32_e32 v19, v21, v2, vcc_lo
	v_cmp_eq_u32_e64 s4, 3, v132
	v_cndmask_b32_e32 v20, v22, v6, vcc_lo
	v_cndmask_b32_e64 v1, v1, v2, s5
	v_cmp_eq_u32_e32 vcc_lo, 3, v131
	v_cmp_eq_u32_e64 s6, 3, v129
	v_cndmask_b32_e64 v2, v5, v6, s5
	v_cmp_eq_u32_e64 s5, 3, v130
	v_cmp_eq_u32_e64 s7, 4, v129
	v_cndmask_b32_e32 v1, v1, v10, vcc_lo
	v_cndmask_b32_e64 v5, v9, v10, s6
	v_cndmask_b32_e64 v6, v13, v14, s6
	;; [unrolled: 1-line block ×3, first 2 shown]
	v_cmp_eq_u32_e64 s6, 4, v130
	v_cndmask_b32_e64 v13, v18, v14, s5
	v_cndmask_b32_e64 v17, v19, v10, s4
	;; [unrolled: 1-line block ×3, first 2 shown]
	v_cndmask_b32_e32 v2, v2, v14, vcc_lo
	v_cmp_eq_u32_e32 vcc_lo, 4, v132
	v_cmp_eq_u32_e64 s5, 4, v131
	v_lshrrev_b32_e32 v15, 16, v7
	v_cndmask_b32_e64 v5, v5, v3, s7
	v_cndmask_b32_e64 v6, v6, v7, s7
	v_cndmask_b32_e32 v14, v18, v7, vcc_lo
	v_cndmask_b32_e64 v9, v9, v3, s6
	v_cndmask_b32_e64 v10, v13, v7, s6
	v_cndmask_b32_e32 v13, v17, v3, vcc_lo
	v_cmp_eq_u32_e64 s4, 5, v132
	v_cndmask_b32_e64 v1, v1, v3, s5
	v_cmp_eq_u32_e32 vcc_lo, 5, v131
	v_cmp_eq_u32_e64 s6, 5, v129
	v_cndmask_b32_e64 v2, v2, v7, s5
	v_cmp_eq_u32_e64 s5, 5, v130
	v_cmp_eq_u32_e64 s7, 6, v129
	v_lshrrev_b32_e32 v12, 16, v4
	v_cndmask_b32_e64 v3, v5, v11, s6
	v_cndmask_b32_e64 v5, v6, v15, s6
	;; [unrolled: 1-line block ×3, first 2 shown]
	v_cmp_eq_u32_e64 s6, 6, v130
	v_cndmask_b32_e64 v7, v10, v15, s5
	v_cndmask_b32_e64 v9, v13, v11, s4
	v_cndmask_b32_e64 v10, v14, v15, s4
	v_cndmask_b32_e32 v1, v1, v11, vcc_lo
	v_cndmask_b32_e32 v2, v2, v15, vcc_lo
	v_cmp_eq_u32_e32 vcc_lo, 6, v132
	v_cmp_eq_u32_e64 s4, 6, v131
	v_lshrrev_b32_e32 v16, 16, v8
	v_cndmask_b32_e64 v3, v3, v4, s7
	v_cndmask_b32_e64 v5, v5, v8, s7
	v_cndmask_b32_e32 v9, v9, v4, vcc_lo
	v_cndmask_b32_e64 v6, v6, v4, s6
	v_cndmask_b32_e64 v7, v7, v8, s6
	v_cmp_eq_u32_e64 s5, 7, v132
	v_cndmask_b32_e32 v10, v10, v8, vcc_lo
	v_cndmask_b32_e64 v1, v1, v4, s4
	v_cmp_eq_u32_e32 vcc_lo, 7, v131
	v_cndmask_b32_e64 v2, v2, v8, s4
	v_cmp_eq_u32_e64 s4, 7, v129
	v_cmp_eq_u32_e64 s6, 7, v130
	v_cndmask_b32_e32 v1, v1, v12, vcc_lo
	s_delay_alu instid0(VALU_DEP_4) | instskip(NEXT) | instid1(VALU_DEP_4)
	v_cndmask_b32_e32 v2, v2, v16, vcc_lo
	v_cndmask_b32_e64 v8, v3, v12, s4
	s_delay_alu instid0(VALU_DEP_4)
	v_cndmask_b32_e64 v6, v6, v12, s6
	v_cndmask_b32_e64 v3, v9, v12, s5
	;; [unrolled: 1-line block ×5, first 2 shown]
	v_cmp_gt_u32_e32 vcc_lo, 32, v0
	v_perm_b32 v4, v2, v1, 0x5040100
	v_perm_b32 v3, v9, v3, 0x5040100
	;; [unrolled: 1-line block ×4, first 2 shown]
	s_and_b32 s2, vcc_lo, s2
	ds_store_b128 v134, v[1:4]
	s_waitcnt lgkmcnt(0)
	s_barrier
	buffer_gl0_inv
	s_and_saveexec_b32 s4, s2
	s_cbranch_execz .LBB104_2
; %bb.15:
	s_load_b64 s[4:5], s[0:1], 0x68
	v_lshlrev_b32_e32 v0, 10, v0
	v_lshlrev_b32_e32 v1, 4, v147
	s_lshl_b32 s0, s36, 6
	v_add_nc_u32_e32 v7, s33, v146
	s_mul_i32 s1, s0, s34
	s_delay_alu instid0(SALU_CYCLE_1) | instskip(SKIP_1) | instid1(VALU_DEP_2)
	s_mul_i32 s6, s1, s8
	v_and_or_b32 v0, 0x3800, v0, v1
	v_mul_lo_u32 v1, v7, s0
	v_add_nc_u32_e32 v2, 2, v7
	s_ashr_i32 s7, s6, 31
	v_add_nc_u32_e32 v4, 4, v7
	s_lshl_b64 s[6:7], s[6:7], 1
	v_add_nc_u32_e32 v8, 6, v7
	v_mul_lo_u32 v3, v2, s0
	v_lshl_or_b32 v19, v146, 6, v0
	v_ashrrev_i32_e32 v2, 31, v1
	v_mul_lo_u32 v11, v4, s0
	v_mul_lo_u32 v25, v8, s0
	s_waitcnt lgkmcnt(0)
	s_add_u32 s1, s4, s6
	s_addc_u32 s2, s5, s7
	s_lshl_b32 s4, s14, 6
	v_lshlrev_b64 v[5:6], 1, v[1:2]
	s_ashr_i32 s5, s4, 31
	v_ashrrev_i32_e32 v4, 31, v3
	s_lshl_b64 s[4:5], s[4:5], 1
	v_ashrrev_i32_e32 v12, 31, v11
	s_add_u32 s1, s1, s4
	s_addc_u32 s2, s2, s5
	v_add_co_u32 v1, s1, s1, v145
	s_delay_alu instid0(VALU_DEP_1) | instskip(SKIP_1) | instid1(VALU_DEP_3)
	v_add_co_ci_u32_e64 v2, null, s2, 0, s1
	v_lshlrev_b64 v[3:4], 1, v[3:4]
	v_add_co_u32 v23, vcc_lo, v1, v5
	v_add_nc_u32_e32 v5, 8, v7
	s_delay_alu instid0(VALU_DEP_4) | instskip(NEXT) | instid1(VALU_DEP_4)
	v_add_co_ci_u32_e32 v24, vcc_lo, v2, v6, vcc_lo
	v_add_co_u32 v27, vcc_lo, v1, v3
	s_delay_alu instid0(VALU_DEP_3)
	v_mul_lo_u32 v29, v5, s0
	v_add_co_ci_u32_e32 v28, vcc_lo, v2, v4, vcc_lo
	ds_load_b128 v[3:6], v19
	ds_load_b128 v[7:10], v19 offset:128
	v_lshlrev_b64 v[31:32], 1, v[11:12]
	ds_load_b128 v[11:14], v19 offset:256
	ds_load_b128 v[15:18], v19 offset:384
	;; [unrolled: 1-line block ×3, first 2 shown]
	v_ashrrev_i32_e32 v26, 31, v25
	v_ashrrev_i32_e32 v30, 31, v29
	v_add_co_u32 v31, vcc_lo, v1, v31
	s_delay_alu instid0(VALU_DEP_3) | instskip(NEXT) | instid1(VALU_DEP_3)
	v_lshlrev_b64 v[25:26], 1, v[25:26]
	v_lshlrev_b64 v[29:30], 1, v[29:30]
	v_add_co_ci_u32_e32 v32, vcc_lo, v2, v32, vcc_lo
	s_delay_alu instid0(VALU_DEP_3) | instskip(NEXT) | instid1(VALU_DEP_4)
	v_add_co_u32 v25, vcc_lo, v1, v25
	v_add_co_ci_u32_e32 v26, vcc_lo, v2, v26, vcc_lo
	s_delay_alu instid0(VALU_DEP_4)
	v_add_co_u32 v29, vcc_lo, v1, v29
	v_add_co_ci_u32_e32 v30, vcc_lo, v2, v30, vcc_lo
	s_waitcnt lgkmcnt(4)
	global_store_b128 v[23:24], v[3:6], off
	s_waitcnt lgkmcnt(3)
	global_store_b128 v[27:28], v[7:10], off
	;; [unrolled: 2-line block ×5, first 2 shown]
	s_and_b32 exec_lo, exec_lo, s3
	s_cbranch_execz .LBB104_2
; %bb.16:
	ds_load_b128 v[3:6], v0 offset:640
	s_add_i32 s1, s33, 10
	s_delay_alu instid0(SALU_CYCLE_1) | instskip(NEXT) | instid1(SALU_CYCLE_1)
	s_mul_i32 s0, s1, s0
	s_ashr_i32 s1, s0, 31
	s_delay_alu instid0(SALU_CYCLE_1) | instskip(NEXT) | instid1(SALU_CYCLE_1)
	s_lshl_b64 s[0:1], s[0:1], 1
	v_add_co_u32 v0, vcc_lo, v1, s0
	v_add_co_ci_u32_e32 v1, vcc_lo, s1, v2, vcc_lo
	s_waitcnt lgkmcnt(0)
	global_store_b128 v[0:1], v[3:6], off
	s_nop 0
	s_sendmsg sendmsg(MSG_DEALLOC_VGPRS)
	s_endpgm
	.section	.rodata,"a",@progbits
	.p2align	6, 0x0
	.amdhsa_kernel _Z39paged_attention_ll4mi_QKV_mfma16_kernelIDF16_DF16_LN4vllm18Fp8KVCacheDataTypeE0EDF16_Li16ELi64ELi256ELb0ELi11EL8MFMAType0EEvPKT_PKT0_S8_ifPKiSA_SA_iPKfiiiPfSD_PS3_PT2_iSC_SC_
		.amdhsa_group_segment_fixed_size 17472
		.amdhsa_private_segment_fixed_size 0
		.amdhsa_kernarg_size 400
		.amdhsa_user_sgpr_count 13
		.amdhsa_user_sgpr_dispatch_ptr 0
		.amdhsa_user_sgpr_queue_ptr 0
		.amdhsa_user_sgpr_kernarg_segment_ptr 1
		.amdhsa_user_sgpr_dispatch_id 0
		.amdhsa_user_sgpr_private_segment_size 0
		.amdhsa_wavefront_size32 1
		.amdhsa_uses_dynamic_stack 0
		.amdhsa_enable_private_segment 0
		.amdhsa_system_sgpr_workgroup_id_x 1
		.amdhsa_system_sgpr_workgroup_id_y 1
		.amdhsa_system_sgpr_workgroup_id_z 1
		.amdhsa_system_sgpr_workgroup_info 0
		.amdhsa_system_vgpr_workitem_id 0
		.amdhsa_next_free_vgpr 198
		.amdhsa_next_free_sgpr 52
		.amdhsa_reserve_vcc 1
		.amdhsa_float_round_mode_32 0
		.amdhsa_float_round_mode_16_64 0
		.amdhsa_float_denorm_mode_32 3
		.amdhsa_float_denorm_mode_16_64 3
		.amdhsa_dx10_clamp 1
		.amdhsa_ieee_mode 1
		.amdhsa_fp16_overflow 0
		.amdhsa_workgroup_processor_mode 1
		.amdhsa_memory_ordered 1
		.amdhsa_forward_progress 0
		.amdhsa_shared_vgpr_count 0
		.amdhsa_exception_fp_ieee_invalid_op 0
		.amdhsa_exception_fp_denorm_src 0
		.amdhsa_exception_fp_ieee_div_zero 0
		.amdhsa_exception_fp_ieee_overflow 0
		.amdhsa_exception_fp_ieee_underflow 0
		.amdhsa_exception_fp_ieee_inexact 0
		.amdhsa_exception_int_div_zero 0
	.end_amdhsa_kernel
	.section	.text._Z39paged_attention_ll4mi_QKV_mfma16_kernelIDF16_DF16_LN4vllm18Fp8KVCacheDataTypeE0EDF16_Li16ELi64ELi256ELb0ELi11EL8MFMAType0EEvPKT_PKT0_S8_ifPKiSA_SA_iPKfiiiPfSD_PS3_PT2_iSC_SC_,"axG",@progbits,_Z39paged_attention_ll4mi_QKV_mfma16_kernelIDF16_DF16_LN4vllm18Fp8KVCacheDataTypeE0EDF16_Li16ELi64ELi256ELb0ELi11EL8MFMAType0EEvPKT_PKT0_S8_ifPKiSA_SA_iPKfiiiPfSD_PS3_PT2_iSC_SC_,comdat
.Lfunc_end104:
	.size	_Z39paged_attention_ll4mi_QKV_mfma16_kernelIDF16_DF16_LN4vllm18Fp8KVCacheDataTypeE0EDF16_Li16ELi64ELi256ELb0ELi11EL8MFMAType0EEvPKT_PKT0_S8_ifPKiSA_SA_iPKfiiiPfSD_PS3_PT2_iSC_SC_, .Lfunc_end104-_Z39paged_attention_ll4mi_QKV_mfma16_kernelIDF16_DF16_LN4vllm18Fp8KVCacheDataTypeE0EDF16_Li16ELi64ELi256ELb0ELi11EL8MFMAType0EEvPKT_PKT0_S8_ifPKiSA_SA_iPKfiiiPfSD_PS3_PT2_iSC_SC_
                                        ; -- End function
	.section	.AMDGPU.csdata,"",@progbits
; Kernel info:
; codeLenInByte = 8016
; NumSgprs: 54
; NumVgprs: 198
; ScratchSize: 0
; MemoryBound: 0
; FloatMode: 240
; IeeeMode: 1
; LDSByteSize: 17472 bytes/workgroup (compile time only)
; SGPRBlocks: 6
; VGPRBlocks: 24
; NumSGPRsForWavesPerEU: 54
; NumVGPRsForWavesPerEU: 198
; Occupancy: 7
; WaveLimiterHint : 1
; COMPUTE_PGM_RSRC2:SCRATCH_EN: 0
; COMPUTE_PGM_RSRC2:USER_SGPR: 13
; COMPUTE_PGM_RSRC2:TRAP_HANDLER: 0
; COMPUTE_PGM_RSRC2:TGID_X_EN: 1
; COMPUTE_PGM_RSRC2:TGID_Y_EN: 1
; COMPUTE_PGM_RSRC2:TGID_Z_EN: 1
; COMPUTE_PGM_RSRC2:TIDIG_COMP_CNT: 0
	.section	.text._Z39paged_attention_ll4mi_QKV_mfma16_kernelIDF16_DF16_LN4vllm18Fp8KVCacheDataTypeE0EDF16_Li16ELi64ELi256ELb0ELi12EL8MFMAType0EEvPKT_PKT0_S8_ifPKiSA_SA_iPKfiiiPfSD_PS3_PT2_iSC_SC_,"axG",@progbits,_Z39paged_attention_ll4mi_QKV_mfma16_kernelIDF16_DF16_LN4vllm18Fp8KVCacheDataTypeE0EDF16_Li16ELi64ELi256ELb0ELi12EL8MFMAType0EEvPKT_PKT0_S8_ifPKiSA_SA_iPKfiiiPfSD_PS3_PT2_iSC_SC_,comdat
	.protected	_Z39paged_attention_ll4mi_QKV_mfma16_kernelIDF16_DF16_LN4vllm18Fp8KVCacheDataTypeE0EDF16_Li16ELi64ELi256ELb0ELi12EL8MFMAType0EEvPKT_PKT0_S8_ifPKiSA_SA_iPKfiiiPfSD_PS3_PT2_iSC_SC_ ; -- Begin function _Z39paged_attention_ll4mi_QKV_mfma16_kernelIDF16_DF16_LN4vllm18Fp8KVCacheDataTypeE0EDF16_Li16ELi64ELi256ELb0ELi12EL8MFMAType0EEvPKT_PKT0_S8_ifPKiSA_SA_iPKfiiiPfSD_PS3_PT2_iSC_SC_
	.globl	_Z39paged_attention_ll4mi_QKV_mfma16_kernelIDF16_DF16_LN4vllm18Fp8KVCacheDataTypeE0EDF16_Li16ELi64ELi256ELb0ELi12EL8MFMAType0EEvPKT_PKT0_S8_ifPKiSA_SA_iPKfiiiPfSD_PS3_PT2_iSC_SC_
	.p2align	8
	.type	_Z39paged_attention_ll4mi_QKV_mfma16_kernelIDF16_DF16_LN4vllm18Fp8KVCacheDataTypeE0EDF16_Li16ELi64ELi256ELb0ELi12EL8MFMAType0EEvPKT_PKT0_S8_ifPKiSA_SA_iPKfiiiPfSD_PS3_PT2_iSC_SC_,@function
_Z39paged_attention_ll4mi_QKV_mfma16_kernelIDF16_DF16_LN4vllm18Fp8KVCacheDataTypeE0EDF16_Li16ELi64ELi256ELb0ELi12EL8MFMAType0EEvPKT_PKT0_S8_ifPKiSA_SA_iPKfiiiPfSD_PS3_PT2_iSC_SC_: ; @_Z39paged_attention_ll4mi_QKV_mfma16_kernelIDF16_DF16_LN4vllm18Fp8KVCacheDataTypeE0EDF16_Li16ELi64ELi256ELb0ELi12EL8MFMAType0EEvPKT_PKT0_S8_ifPKiSA_SA_iPKfiiiPfSD_PS3_PT2_iSC_SC_
; %bb.0:
	s_load_b64 s[2:3], s[0:1], 0x30
	s_mov_b32 s34, s13
	s_waitcnt lgkmcnt(0)
	s_cmp_lg_u64 s[2:3], 0
	s_cselect_b32 s6, -1, 0
	s_ashr_i32 s35, s13, 31
	s_cmp_eq_u64 s[2:3], 0
	s_cbranch_scc1 .LBB105_3
; %bb.1:
	s_lshl_b64 s[4:5], s[34:35], 2
	s_delay_alu instid0(SALU_CYCLE_1) | instskip(SKIP_4) | instid1(SALU_CYCLE_1)
	s_add_u32 s4, s2, s4
	s_addc_u32 s5, s3, s5
	s_load_b64 s[4:5], s[4:5], 0x0
	s_waitcnt lgkmcnt(0)
	s_sub_i32 s4, s5, s4
	s_cmp_eq_u32 s4, 1
	s_cselect_b32 s4, -1, 0
	s_delay_alu instid0(SALU_CYCLE_1)
	s_and_not1_b32 vcc_lo, exec_lo, s4
	s_cbranch_vccz .LBB105_4
.LBB105_2:
	s_endpgm
.LBB105_3:
.LBB105_4:
	s_load_b64 s[8:9], s[0:1], 0x28
	s_lshl_b64 s[4:5], s[34:35], 2
	s_waitcnt lgkmcnt(0)
	s_add_u32 s8, s8, s4
	s_addc_u32 s9, s9, s5
	s_lshl_b32 s35, s14, 8
	s_load_b32 s30, s[8:9], 0x0
	s_waitcnt lgkmcnt(0)
	s_cmp_ge_i32 s35, s30
	s_cbranch_scc1 .LBB105_2
; %bb.5:
	s_clause 0x1
	s_load_b128 s[8:11], s[0:1], 0x8
	s_load_b64 s[12:13], s[0:1], 0x20
	s_and_not1_b32 vcc_lo, exec_lo, s6
	s_cbranch_vccnz .LBB105_7
; %bb.6:
	s_add_u32 s2, s2, s4
	s_addc_u32 s3, s3, s5
	s_load_b32 s3, s[2:3], 0x0
	s_branch .LBB105_8
.LBB105_7:
	s_mov_b32 s3, s34
.LBB105_8:
	s_load_b128 s[4:7], s[0:1], 0x48
	v_and_b32_e32 v148, 15, v0
	v_cmp_gt_u32_e32 vcc_lo, 0xc0, v0
	v_lshrrev_b32_e32 v149, 5, v0
	v_and_b32_e32 v150, 31, v0
	v_and_b32_e32 v147, 1, v0
	v_lshlrev_b32_e32 v1, 3, v148
	v_cmp_gt_u32_e64 s2, 8, v148
	v_bfe_u32 v146, v0, 4, 1
	s_mul_i32 s31, s15, 12
	s_delay_alu instid0(VALU_DEP_3) | instskip(NEXT) | instid1(VALU_DEP_3)
	v_lshlrev_b32_e32 v145, 1, v1
	s_and_b32 s16, vcc_lo, s2
	s_waitcnt lgkmcnt(0)
	s_and_saveexec_b32 s7, s16
	s_cbranch_execz .LBB105_10
; %bb.9:
	s_load_b64 s[16:17], s[0:1], 0x0
	v_lshl_or_b32 v5, v149, 1, v146
	s_mul_hi_i32 s19, s3, s4
	s_mul_i32 s18, s3, s4
	v_lshlrev_b32_e32 v6, 10, v148
	s_lshl_b64 s[18:19], s[18:19], 1
	v_add_lshl_u32 v1, v5, s31, 6
	v_lshlrev_b32_e32 v5, 6, v5
	v_lshlrev_b32_e32 v7, 10, v147
	v_and_b32_e32 v6, 0x3800, v6
	s_delay_alu instid0(VALU_DEP_4) | instskip(NEXT) | instid1(VALU_DEP_2)
	v_ashrrev_i32_e32 v2, 31, v1
	v_or3_b32 v5, v6, v7, v5
	s_delay_alu instid0(VALU_DEP_2) | instskip(SKIP_3) | instid1(VALU_DEP_1)
	v_lshlrev_b64 v[1:2], 1, v[1:2]
	s_waitcnt lgkmcnt(0)
	s_add_u32 s3, s16, s18
	s_addc_u32 s4, s17, s19
	v_add_co_u32 v1, vcc_lo, s3, v1
	s_delay_alu instid0(VALU_DEP_2) | instskip(NEXT) | instid1(VALU_DEP_2)
	v_add_co_ci_u32_e32 v2, vcc_lo, s4, v2, vcc_lo
	v_add_co_u32 v1, vcc_lo, v1, v145
	s_delay_alu instid0(VALU_DEP_2)
	v_add_co_ci_u32_e32 v2, vcc_lo, 0, v2, vcc_lo
	global_load_b128 v[1:4], v[1:2], off
	s_waitcnt vmcnt(0)
	ds_store_b128 v5, v[1:4]
.LBB105_10:
	s_or_b32 exec_lo, exec_lo, s7
	s_mov_b32 s40, 0
	s_add_i32 s3, s30, 15
	s_mov_b32 s41, s40
	s_mov_b32 s42, s40
	;; [unrolled: 1-line block ×7, first 2 shown]
	s_delay_alu instid0(SALU_CYCLE_1)
	v_dual_mov_b32 v144, s47 :: v_dual_and_b32 v1, 0xef, v0
	v_mov_b32_e32 v142, s45
	s_ashr_i32 s7, s3, 31
	s_clause 0x1
	s_load_b32 s4, s[0:1], 0x38
	s_load_b32 s33, s[0:1], 0x98
	v_add_nc_u32_e32 v1, s35, v1
	s_lshr_b32 s7, s7, 28
	s_load_b32 s36, s[0:1], 0x1c
	s_add_i32 s3, s3, s7
	s_waitcnt lgkmcnt(0)
	v_ashrrev_i32_e32 v2, 31, v1
	v_or_b32_e32 v3, 16, v1
	s_ashr_i32 s3, s3, 4
	v_cmp_gt_i32_e32 vcc_lo, s30, v1
	s_add_i32 s3, s3, -1
	v_lshrrev_b32_e32 v2, 28, v2
	v_mov_b32_e32 v143, s46
	s_barrier
	buffer_gl0_inv
	s_mul_i32 s6, s15, s6
	v_dual_mov_b32 v141, s44 :: v_dual_add_nc_u32 v4, v1, v2
	v_mov_b32_e32 v139, s42
	s_mul_i32 s16, s34, s4
	v_mov_b32_e32 v137, s40
	s_delay_alu instid0(VALU_DEP_3)
	v_ashrrev_i32_e32 v4, 4, v4
	v_add_nc_u32_e32 v2, v3, v2
	s_ashr_i32 s17, s16, 31
	v_mov_b32_e32 v140, s43
	s_lshl_b64 s[16:17], s[16:17], 2
	v_cndmask_b32_e32 v1, s3, v4, vcc_lo
	v_ashrrev_i32_e32 v2, 4, v2
	v_cmp_gt_i32_e32 vcc_lo, s30, v3
	s_add_u32 s4, s12, s16
	s_addc_u32 s37, s13, s17
	s_ashr_i32 s7, s6, 31
	v_mov_b32_e32 v138, s41
	v_cndmask_b32_e32 v3, s3, v2, vcc_lo
	v_ashrrev_i32_e32 v2, 31, v1
	s_lshl_b64 s[6:7], s[6:7], 1
	s_delay_alu instid0(SALU_CYCLE_1) | instskip(NEXT) | instid1(VALU_DEP_2)
	s_add_u32 s24, s8, s6
	v_ashrrev_i32_e32 v4, 31, v3
	s_delay_alu instid0(VALU_DEP_2) | instskip(SKIP_2) | instid1(VALU_DEP_2)
	v_lshlrev_b64 v[1:2], 2, v[1:2]
	s_addc_u32 s25, s9, s7
	s_lshl_b32 s8, s14, 4
	v_lshlrev_b64 v[3:4], 2, v[3:4]
	s_ashr_i32 s9, s8, 31
	s_delay_alu instid0(VALU_DEP_2) | instskip(SKIP_1) | instid1(VALU_DEP_3)
	v_add_co_u32 v1, vcc_lo, s4, v1
	v_add_co_ci_u32_e32 v2, vcc_lo, s37, v2, vcc_lo
	v_add_co_u32 v3, vcc_lo, s4, v3
	s_delay_alu instid0(VALU_DEP_4)
	v_add_co_ci_u32_e32 v4, vcc_lo, s37, v4, vcc_lo
	s_clause 0x1
	global_load_b32 v5, v[1:2], off
	global_load_b32 v6, v[3:4], off
	s_lshl_b64 s[8:9], s[8:9], 2
	v_lshlrev_b32_e32 v3, 4, v0
	s_add_u32 s8, s4, s8
	s_addc_u32 s9, s37, s9
	s_or_b32 s12, s35, 16
	s_delay_alu instid0(SALU_CYCLE_1) | instskip(SKIP_2) | instid1(SALU_CYCLE_1)
	s_ashr_i32 s13, s12, 4
	s_cmp_lt_i32 s12, s30
	s_cselect_b32 s12, s13, s3
	s_ashr_i32 s13, s12, 31
	s_delay_alu instid0(SALU_CYCLE_1) | instskip(NEXT) | instid1(SALU_CYCLE_1)
	s_lshl_b64 s[12:13], s[12:13], 2
	s_add_u32 s12, s4, s12
	s_addc_u32 s13, s37, s13
	s_or_b32 s15, s35, 32
	s_delay_alu instid0(SALU_CYCLE_1) | instskip(SKIP_2) | instid1(SALU_CYCLE_1)
	s_ashr_i32 s16, s15, 4
	s_cmp_lt_i32 s15, s30
	s_cselect_b32 s16, s16, s3
	s_ashr_i32 s17, s16, 31
	s_delay_alu instid0(SALU_CYCLE_1) | instskip(NEXT) | instid1(SALU_CYCLE_1)
	s_lshl_b64 s[16:17], s[16:17], 2
	;; [unrolled: 10-line block ×5, first 2 shown]
	s_add_u32 s22, s4, s22
	s_addc_u32 s23, s37, s23
	s_clause 0x5
	s_load_b32 s8, s[8:9], 0x0
	s_load_b32 s12, s[12:13], 0x0
	;; [unrolled: 1-line block ×6, first 2 shown]
	s_waitcnt lgkmcnt(0)
	s_mul_hi_i32 s17, s16, s5
	s_mul_i32 s16, s16, s5
	s_waitcnt vmcnt(1)
	v_mad_i64_i32 v[1:2], null, v5, s5, 0
	v_and_b32_e32 v5, 0xf0, v3
	s_waitcnt vmcnt(0)
	v_mad_i64_i32 v[3:4], null, v6, s5, 0
	s_delay_alu instid0(VALU_DEP_2) | instskip(NEXT) | instid1(VALU_DEP_4)
	v_add_co_u32 v7, s9, s24, v5
	v_lshlrev_b64 v[1:2], 1, v[1:2]
	v_add_co_ci_u32_e64 v8, null, s25, 0, s9
	s_delay_alu instid0(VALU_DEP_4) | instskip(SKIP_1) | instid1(VALU_DEP_3)
	v_lshlrev_b64 v[5:6], 1, v[3:4]
	s_or_b32 s9, s35, 0x60
	v_add_co_u32 v3, vcc_lo, v7, v1
	s_delay_alu instid0(VALU_DEP_3) | instskip(NEXT) | instid1(VALU_DEP_3)
	v_add_co_ci_u32_e32 v4, vcc_lo, v8, v2, vcc_lo
	v_add_co_u32 v1, vcc_lo, v7, v5
	s_delay_alu instid0(VALU_DEP_4)
	v_add_co_ci_u32_e32 v2, vcc_lo, v8, v6, vcc_lo
	s_clause 0x9
	global_load_b128 v[9:12], v[3:4], off
	global_load_b128 v[13:16], v[3:4], off offset:256
	global_load_b128 v[129:132], v[1:2], off
	global_load_b128 v[133:136], v[1:2], off offset:256
	global_load_b128 v[41:44], v[3:4], off offset:512
	global_load_b128 v[45:48], v[3:4], off offset:768
	global_load_b128 v[33:36], v[1:2], off offset:512
	global_load_b128 v[37:40], v[1:2], off offset:768
	global_load_b128 v[17:20], v[3:4], off offset:1024
	global_load_b128 v[21:24], v[3:4], off offset:1280
	v_add_nc_u32_e32 v5, -12, v148
	v_cmp_gt_u32_e32 vcc_lo, 12, v148
	s_clause 0x1
	global_load_b128 v[151:154], v[1:2], off offset:1024
	global_load_b128 v[155:158], v[1:2], off offset:1280
	s_ashr_i32 s13, s9, 4
	s_cmp_lt_i32 s9, s30
	v_lshlrev_b32_e32 v6, 5, v148
	v_cndmask_b32_e32 v5, v5, v148, vcc_lo
	s_cselect_b32 s22, s13, s3
	s_delay_alu instid0(SALU_CYCLE_1) | instskip(NEXT) | instid1(VALU_DEP_2)
	s_ashr_i32 s23, s22, 31
	v_lshl_or_b32 v6, v149, 9, v6
	s_delay_alu instid0(VALU_DEP_2)
	v_lshlrev_b32_e32 v197, 6, v5
	ds_load_b128 v[159:162], v197
	ds_load_b128 v[163:166], v197 offset:1024
	s_clause 0x3
	global_load_b128 v[167:170], v[3:4], off offset:1536
	global_load_b128 v[171:174], v[3:4], off offset:1792
	;; [unrolled: 1-line block ×4, first 2 shown]
	s_lshl_b64 s[22:23], s[22:23], 2
	s_delay_alu instid0(SALU_CYCLE_1)
	s_add_u32 s22, s4, s22
	s_addc_u32 s23, s37, s23
	s_or_b32 s9, s35, 0x70
	s_load_b32 s46, s[22:23], 0x0
	s_ashr_i32 s13, s9, 4
	s_cmp_lt_i32 s9, s30
	s_cselect_b32 s24, s13, s3
	s_delay_alu instid0(SALU_CYCLE_1) | instskip(NEXT) | instid1(SALU_CYCLE_1)
	s_ashr_i32 s25, s24, 31
	s_lshl_b64 s[24:25], s[24:25], 2
	s_delay_alu instid0(SALU_CYCLE_1)
	s_add_u32 s24, s4, s24
	s_addc_u32 s25, s37, s25
	s_or_b32 s9, s35, 0x80
	s_load_b32 s47, s[24:25], 0x0
	s_ashr_i32 s13, s9, 4
	s_cmp_lt_i32 s9, s30
	s_cselect_b32 s26, s13, s3
	s_delay_alu instid0(SALU_CYCLE_1) | instskip(NEXT) | instid1(SALU_CYCLE_1)
	s_ashr_i32 s27, s26, 31
	;; [unrolled: 11-line block ×3, first 2 shown]
	s_lshl_b64 s[28:29], s[28:29], 2
	s_delay_alu instid0(SALU_CYCLE_1) | instskip(SKIP_2) | instid1(SALU_CYCLE_1)
	s_add_u32 s28, s4, s28
	s_addc_u32 s29, s37, s29
	s_or_b32 s9, s35, 0xa0
	s_ashr_i32 s13, s9, 4
	s_cmp_lt_i32 s9, s30
	s_cselect_b32 s38, s13, s3
	s_delay_alu instid0(SALU_CYCLE_1) | instskip(NEXT) | instid1(SALU_CYCLE_1)
	s_ashr_i32 s39, s38, 31
	s_lshl_b64 s[38:39], s[38:39], 2
	s_delay_alu instid0(SALU_CYCLE_1) | instskip(SKIP_2) | instid1(SALU_CYCLE_1)
	s_add_u32 s38, s4, s38
	s_addc_u32 s39, s37, s39
	s_or_b32 s9, s35, 0xb0
	s_ashr_i32 s13, s9, 4
	s_cmp_lt_i32 s9, s30
	s_mul_hi_i32 s9, s8, s5
	s_cselect_b32 s40, s13, s3
	s_mul_i32 s8, s8, s5
	s_ashr_i32 s41, s40, 31
	s_mul_hi_i32 s13, s12, s5
	s_lshl_b64 s[40:41], s[40:41], 2
	s_mul_i32 s12, s12, s5
	s_add_u32 s42, s4, s40
	s_addc_u32 s43, s37, s41
	s_or_b32 s19, s35, 0xc0
	s_delay_alu instid0(SALU_CYCLE_1)
	s_ashr_i32 s21, s19, 4
	s_cmp_lt_i32 s19, s30
	s_mul_hi_i32 s19, s18, s5
	s_cselect_b32 s40, s21, s3
	s_mul_i32 s18, s18, s5
	s_ashr_i32 s41, s40, 31
	s_mul_hi_i32 s21, s20, s5
	s_lshl_b64 s[40:41], s[40:41], 2
	s_mul_i32 s20, s20, s5
	s_add_u32 s44, s4, s40
	s_addc_u32 s45, s37, s41
	s_load_b32 s41, s[28:29], 0x0
	s_or_b32 s40, s35, 0xd0
	s_mul_hi_i32 s23, s15, s5
	s_ashr_i32 s22, s40, 4
	s_cmp_lt_i32 s40, s30
	s_load_b32 s40, s[38:39], 0x0
	s_cselect_b32 s24, s22, s3
	s_mul_i32 s22, s15, s5
	s_ashr_i32 s25, s24, 31
	s_waitcnt lgkmcnt(0)
	s_mul_hi_i32 s29, s48, s5
	s_lshl_b64 s[24:25], s[24:25], 2
	s_mul_i32 s28, s48, s5
	s_add_u32 s24, s4, s24
	s_addc_u32 s25, s37, s25
	s_or_b32 s49, s35, 0xe0
	s_clause 0x2
	s_load_b32 s39, s[42:43], 0x0
	s_load_b32 s38, s[44:45], 0x0
	;; [unrolled: 1-line block ×3, first 2 shown]
	s_ashr_i32 s50, s49, 4
	s_cmp_lt_i32 s49, s30
	s_mul_hi_i32 s25, s46, s5
	s_cselect_b32 s44, s50, s3
	s_mul_i32 s24, s46, s5
	s_ashr_i32 s45, s44, 31
	s_mul_hi_i32 s27, s47, s5
	s_lshl_b64 s[44:45], s[44:45], 2
	s_mul_i32 s26, s47, s5
	s_add_u32 s44, s4, s44
	s_addc_u32 s45, s37, s45
	s_or_b32 s46, s35, 0xf0
	s_mul_hi_i32 s43, s41, s5
	s_ashr_i32 s48, s46, 4
	s_cmp_lt_i32 s46, s30
	s_mul_i32 s42, s41, s5
	s_cselect_b32 s48, s48, s3
	s_mul_hi_i32 s41, s40, s5
	s_ashr_i32 s49, s48, 31
	s_mul_i32 s40, s40, s5
	s_lshl_b64 s[48:49], s[48:49], 2
	s_waitcnt lgkmcnt(0)
	s_mul_hi_i32 s47, s39, s5
	s_add_u32 s48, s4, s48
	s_addc_u32 s49, s37, s49
	s_add_u32 s3, s10, s6
	s_addc_u32 s4, s11, s7
	v_add_co_u32 v195, s3, s3, v6
	s_delay_alu instid0(VALU_DEP_1) | instskip(SKIP_2) | instid1(VALU_DEP_2)
	v_add_co_ci_u32_e64 v196, null, s4, 0, s3
	s_lshl_b64 s[6:7], s[8:9], 1
	s_lshl_b64 s[8:9], s[12:13], 1
	v_add_co_u32 v1, vcc_lo, v195, s6
	s_delay_alu instid0(VALU_DEP_2)
	v_add_co_ci_u32_e32 v2, vcc_lo, s7, v196, vcc_lo
	v_add_co_u32 v3, vcc_lo, v195, s8
	s_lshl_b64 s[10:11], s[16:17], 1
	v_add_co_ci_u32_e32 v4, vcc_lo, s9, v196, vcc_lo
	v_add_co_u32 v5, vcc_lo, v195, s10
	s_lshl_b64 s[12:13], s[18:19], 1
	;; [unrolled: 3-line block ×9, first 2 shown]
	s_mul_i32 s46, s39, s5
	v_add_co_ci_u32_e32 v54, vcc_lo, s27, v196, vcc_lo
	v_add_co_u32 v183, vcc_lo, v195, s28
	s_lshl_b64 s[40:41], s[46:47], 1
	s_mul_hi_i32 s39, s38, s5
	s_mul_i32 s38, s38, s5
	v_add_co_ci_u32_e32 v184, vcc_lo, s29, v196, vcc_lo
	v_add_co_u32 v185, vcc_lo, v195, s40
	s_lshl_b64 s[38:39], s[38:39], 1
	s_clause 0x1
	s_load_b32 s3, s[44:45], 0x0
	s_load_b32 s4, s[48:49], 0x0
	v_add_co_ci_u32_e32 v186, vcc_lo, s41, v196, vcc_lo
	v_add_co_u32 v191, vcc_lo, v195, s38
	v_add_co_ci_u32_e32 v192, vcc_lo, s39, v196, vcc_lo
	s_clause 0x17
	global_load_b128 v[121:124], v[1:2], off
	global_load_b128 v[125:128], v[1:2], off offset:16
	global_load_b128 v[113:116], v[3:4], off
	global_load_b128 v[117:120], v[3:4], off offset:16
	;; [unrolled: 2-line block ×12, first 2 shown]
	s_mul_hi_i32 s51, s15, s5
	s_mul_i32 s50, s15, s5
	s_delay_alu instid0(SALU_CYCLE_1) | instskip(NEXT) | instid1(SALU_CYCLE_1)
	s_lshl_b64 s[42:43], s[50:51], 1
	v_add_co_u32 v193, vcc_lo, v195, s42
	v_add_co_ci_u32_e32 v194, vcc_lo, s43, v196, vcc_lo
	s_waitcnt lgkmcnt(0)
	s_mul_hi_i32 s7, s3, s5
	s_mul_i32 s6, s3, s5
	s_mul_hi_i32 s9, s4, s5
	s_lshl_b64 s[6:7], s[6:7], 1
	s_mul_i32 s8, s4, s5
	s_delay_alu instid0(SALU_CYCLE_1)
	s_lshl_b64 s[4:5], s[8:9], 1
	s_waitcnt vmcnt(38)
	v_wmma_f32_16x16x16_f16 v[183:190], v[9:16], v[159:166], v[137:144]
	s_waitcnt vmcnt(36)
	v_wmma_f32_16x16x16_f16 v[137:144], v[129:136], v[159:166], v[137:144]
	s_clause 0x1
	global_load_b128 v[9:12], v[191:192], off
	global_load_b128 v[13:16], v[191:192], off offset:16
	ds_load_b128 v[129:132], v197 offset:2048
	ds_load_b128 v[133:136], v197 offset:3072
	;; [unrolled: 1-line block ×4, first 2 shown]
	v_add_co_u32 v191, vcc_lo, v195, s6
	v_add_co_ci_u32_e32 v192, vcc_lo, s7, v196, vcc_lo
	v_add_co_u32 v195, vcc_lo, v195, s4
	v_add_co_ci_u32_e32 v196, vcc_lo, s5, v196, vcc_lo
	s_waitcnt vmcnt(36) lgkmcnt(2)
	v_wmma_f32_16x16x16_f16 v[183:190], v[41:48], v[129:136], v[183:190]
	s_waitcnt vmcnt(34)
	v_wmma_f32_16x16x16_f16 v[137:144], v[33:40], v[129:136], v[137:144]
	s_clause 0x3
	global_load_b128 v[33:36], v[193:194], off
	global_load_b128 v[37:40], v[193:194], off offset:16
	global_load_b128 v[41:44], v[191:192], off
	global_load_b128 v[45:48], v[191:192], off offset:16
	v_and_b32_e32 v129, 0xe0, v0
	v_mbcnt_lo_u32_b32 v191, -1, 0
	s_waitcnt vmcnt(36) lgkmcnt(0)
	v_wmma_f32_16x16x16_f16 v[183:190], v[17:24], v[159:166], v[183:190]
	s_clause 0x1
	global_load_b128 v[17:20], v[195:196], off
	global_load_b128 v[21:24], v[195:196], off offset:16
	s_waitcnt vmcnt(36)
	v_wmma_f32_16x16x16_f16 v[137:144], v[151:158], v[159:166], v[137:144]
	v_add_nc_u32_e32 v192, s35, v129
	ds_load_b128 v[129:132], v197 offset:6144
	ds_load_b128 v[133:136], v197 offset:7168
	v_xor_b32_e32 v151, 16, v191
	s_waitcnt vmcnt(0) lgkmcnt(0)
	s_barrier
	v_or_b32_e32 v152, v192, v146
	buffer_gl0_inv
	v_cmp_gt_i32_e32 vcc_lo, 32, v151
	v_or_b32_e32 v153, 2, v152
	v_or_b32_e32 v154, 4, v152
	;; [unrolled: 1-line block ×5, first 2 shown]
	v_cmp_gt_i32_e64 s3, s30, v153
	v_cmp_gt_i32_e64 s4, s30, v154
	;; [unrolled: 1-line block ×3, first 2 shown]
	v_or_b32_e32 v158, 12, v152
	v_or_b32_e32 v159, 14, v152
	v_cmp_gt_i32_e64 s6, s30, v156
	v_wmma_f32_16x16x16_f16 v[183:190], v[167:174], v[129:136], v[183:190]
	v_wmma_f32_16x16x16_f16 v[137:144], v[175:182], v[129:136], v[137:144]
	v_cndmask_b32_e32 v151, v191, v151, vcc_lo
	v_cmp_gt_i32_e32 vcc_lo, s30, v152
	v_cmp_gt_i32_e64 s7, s30, v157
	v_dual_mul_f32 v135, s36, v184 :: v_dual_mul_f32 v136, s36, v183
	v_dual_mul_f32 v133, s36, v186 :: v_dual_mul_f32 v134, s36, v185
	;; [unrolled: 1-line block ×3, first 2 shown]
	s_delay_alu instid0(VALU_DEP_3) | instskip(NEXT) | instid1(VALU_DEP_4)
	v_cndmask_b32_e32 v136, 0xff7fffff, v136, vcc_lo
	v_cndmask_b32_e64 v135, 0xff7fffff, v135, s3
	v_mul_f32_e32 v132, s36, v187
	v_cndmask_b32_e64 v134, 0xff7fffff, v134, s4
	v_cndmask_b32_e64 v133, 0xff7fffff, v133, s5
	v_or_b32_e32 v160, 16, v152
	v_max3_f32 v135, v136, 0xff7fffff, v135
	v_or_b32_e32 v161, 18, v152
	v_mul_f32_e32 v130, s36, v189
	v_dual_mul_f32 v172, s36, v140 :: v_dual_mul_f32 v129, s36, v190
	v_cndmask_b32_e64 v132, 0xff7fffff, v132, s6
	v_cndmask_b32_e64 v131, 0xff7fffff, v131, s7
	v_max3_f32 v133, v135, v134, v133
	v_cmp_gt_i32_e64 s8, s30, v158
	v_cmp_gt_i32_e64 s9, s30, v159
	v_or_b32_e32 v162, 20, v152
	v_or_b32_e32 v163, 22, v152
	v_mul_f32_e32 v175, s36, v137
	v_cndmask_b32_e64 v130, 0xff7fffff, v130, s8
	v_cndmask_b32_e64 v129, 0xff7fffff, v129, s9
	v_max3_f32 v131, v133, v132, v131
	v_cmp_gt_i32_e64 s10, s30, v160
	v_cmp_gt_i32_e64 s11, s30, v161
	v_or_b32_e32 v164, 24, v152
	v_or_b32_e32 v165, 26, v152
	v_mul_f32_e32 v173, s36, v139
	v_cndmask_b32_e64 v132, 0xff7fffff, v175, s10
	v_cndmask_b32_e64 v133, 0xff7fffff, v174, s11
	v_max3_f32 v129, v131, v130, v129
	v_cmp_gt_i32_e64 s12, s30, v162
	v_cmp_gt_i32_e64 s13, s30, v163
	v_or_b32_e32 v166, 28, v152
	v_or_b32_e32 v167, 30, v152
	v_dual_mul_f32 v170, s36, v142 :: v_dual_mul_f32 v171, s36, v141
	v_cndmask_b32_e64 v130, 0xff7fffff, v173, s12
	v_cndmask_b32_e64 v131, 0xff7fffff, v172, s13
	v_max3_f32 v129, v129, v132, v133
	v_cmp_gt_i32_e64 s15, s30, v164
	v_cmp_gt_i32_e64 s16, s30, v165
	v_dual_mul_f32 v168, s36, v144 :: v_dual_mul_f32 v169, s36, v143
	s_delay_alu instid0(VALU_DEP_4) | instskip(NEXT) | instid1(VALU_DEP_4)
	v_max3_f32 v129, v129, v130, v131
	v_cndmask_b32_e64 v132, 0xff7fffff, v171, s15
	s_delay_alu instid0(VALU_DEP_4) | instskip(SKIP_2) | instid1(VALU_DEP_3)
	v_cndmask_b32_e64 v133, 0xff7fffff, v170, s16
	v_cmp_gt_i32_e64 s17, s30, v166
	v_cmp_gt_i32_e64 s18, s30, v167
	v_max3_f32 v129, v129, v132, v133
	s_delay_alu instid0(VALU_DEP_3) | instskip(NEXT) | instid1(VALU_DEP_3)
	v_cndmask_b32_e64 v130, 0xff7fffff, v169, s17
	v_cndmask_b32_e64 v131, 0xff7fffff, v168, s18
	v_lshlrev_b32_e32 v132, 2, v151
	s_delay_alu instid0(VALU_DEP_2) | instskip(SKIP_3) | instid1(VALU_DEP_1)
	v_max3_f32 v129, v129, v130, v131
	ds_bpermute_b32 v130, v132, v129
	s_waitcnt lgkmcnt(0)
	v_max_f32_e32 v130, v130, v130
	v_max_f32_e32 v129, v129, v130
	s_delay_alu instid0(VALU_DEP_1) | instskip(SKIP_4) | instid1(VALU_DEP_4)
	v_fma_f32 v134, s36, v186, -v129
	v_fma_f32 v135, s36, v187, -v129
	;; [unrolled: 1-line block ×5, first 2 shown]
	v_dual_mul_f32 v134, 0x3fb8aa3b, v134 :: v_dual_mul_f32 v135, 0x3fb8aa3b, v135
	s_delay_alu instid0(VALU_DEP_4) | instskip(SKIP_1) | instid1(VALU_DEP_3)
	v_mul_f32_e32 v130, 0x3fb8aa3b, v130
	v_fma_f32 v136, s36, v189, -v129
	v_exp_f32_e32 v134, v134
	s_delay_alu instid0(VALU_DEP_3) | instskip(NEXT) | instid1(VALU_DEP_2)
	v_exp_f32_e32 v135, v135
	v_exp_f32_e32 v130, v130
	s_delay_alu instid0(VALU_DEP_1) | instskip(NEXT) | instid1(VALU_DEP_1)
	v_mul_f32_e32 v136, 0x3fb8aa3b, v136
	v_exp_f32_e32 v136, v136
	v_cndmask_b32_e64 v153, 0, v134, s5
	v_fma_f32 v134, s36, v137, -v129
	v_mul_f32_e32 v131, 0x3fb8aa3b, v131
	s_delay_alu instid0(TRANS32_DEP_3) | instskip(NEXT) | instid1(TRANS32_DEP_2)
	v_cndmask_b32_e64 v155, 0, v135, s6
	v_dual_mul_f32 v133, 0x3fb8aa3b, v133 :: v_dual_cndmask_b32 v152, 0, v130
	s_delay_alu instid0(VALU_DEP_4) | instskip(NEXT) | instid1(VALU_DEP_4)
	v_mul_f32_e32 v134, 0x3fb8aa3b, v134
	v_exp_f32_e32 v131, v131
	v_fma_f32 v135, s36, v138, -v129
	s_delay_alu instid0(VALU_DEP_3)
	v_exp_f32_e32 v133, v133
	v_fma_f32 v130, s36, v188, -v129
	v_cndmask_b32_e64 v156, 0, v136, s8
	v_fma_f32 v136, s36, v140, -v129
	v_mul_f32_e32 v135, 0x3fb8aa3b, v135
	v_exp_f32_e32 v134, v134
	v_mul_f32_e32 v130, 0x3fb8aa3b, v130
	s_delay_alu instid0(TRANS32_DEP_3) | instskip(SKIP_1) | instid1(TRANS32_DEP_2)
	v_cndmask_b32_e64 v151, 0, v131, s3
	v_add_f32_e32 v131, 0, v152
	v_cndmask_b32_e64 v154, 0, v133, s4
	v_exp_f32_e32 v135, v135
	v_fma_f32 v133, s36, v190, -v129
	v_exp_f32_e32 v130, v130
	v_dual_add_f32 v131, v131, v151 :: v_dual_mul_f32 v136, 0x3fb8aa3b, v136
	s_mov_b32 s3, exec_lo
	s_delay_alu instid0(VALU_DEP_2) | instskip(NEXT) | instid1(VALU_DEP_2)
	v_mul_f32_e32 v133, 0x3fb8aa3b, v133
	v_add_f32_e32 v131, v131, v154
	s_delay_alu instid0(VALU_DEP_3) | instskip(NEXT) | instid1(TRANS32_DEP_3)
	v_exp_f32_e32 v136, v136
	v_cndmask_b32_e64 v140, 0, v135, s11
	s_delay_alu instid0(VALU_DEP_3) | instskip(NEXT) | instid1(TRANS32_DEP_3)
	v_exp_f32_e32 v133, v133
	v_cndmask_b32_e64 v138, 0, v130, s7
	v_add_f32_e32 v131, v131, v153
	v_fma_f32 v135, s36, v143, -v129
	s_delay_alu instid0(VALU_DEP_2)
	v_add_f32_e32 v130, v131, v155
	v_fma_f32 v131, s36, v139, -v129
	s_waitcnt_depctr 0xfff
	v_cndmask_b32_e64 v139, 0, v133, s9
	v_fma_f32 v133, s36, v141, -v129
	v_add_f32_e32 v130, v130, v138
	v_cndmask_b32_e64 v141, 0, v134, s10
	v_fma_f32 v134, s36, v142, -v129
	v_cndmask_b32_e64 v142, 0, v136, s13
	s_delay_alu instid0(VALU_DEP_4) | instskip(NEXT) | instid1(VALU_DEP_3)
	v_dual_mul_f32 v131, 0x3fb8aa3b, v131 :: v_dual_add_f32 v130, v130, v156
	v_mul_f32_e32 v134, 0x3fb8aa3b, v134
	s_delay_alu instid0(VALU_DEP_2) | instskip(NEXT) | instid1(VALU_DEP_2)
	v_exp_f32_e32 v131, v131
	v_add_f32_e32 v130, v130, v139
	s_delay_alu instid0(VALU_DEP_2) | instskip(NEXT) | instid1(VALU_DEP_1)
	v_exp_f32_e32 v134, v134
	v_add_f32_e32 v130, v130, v141
	s_waitcnt_depctr 0xfff
	v_cndmask_b32_e64 v143, 0, v131, s12
	v_dual_add_f32 v130, v130, v140 :: v_dual_mul_f32 v133, 0x3fb8aa3b, v133
	s_delay_alu instid0(VALU_DEP_1) | instskip(NEXT) | instid1(VALU_DEP_2)
	v_add_f32_e32 v130, v130, v143
	v_exp_f32_e32 v133, v133
	s_delay_alu instid0(VALU_DEP_1)
	v_add_f32_e32 v130, v130, v142
	s_waitcnt_depctr 0xfff
	v_cndmask_b32_e64 v157, 0, v133, s15
	v_mul_f32_e32 v131, 0x3fb8aa3b, v135
	v_fma_f32 v135, s36, v144, -v129
	v_cndmask_b32_e64 v144, 0, v134, s16
	s_delay_alu instid0(VALU_DEP_4) | instskip(NEXT) | instid1(VALU_DEP_4)
	v_add_f32_e32 v130, v130, v157
	v_exp_f32_e32 v131, v131
	s_delay_alu instid0(VALU_DEP_1) | instskip(NEXT) | instid1(VALU_DEP_1)
	v_dual_mul_f32 v133, 0x3fb8aa3b, v135 :: v_dual_add_f32 v130, v130, v144
	v_exp_f32_e32 v133, v133
	s_waitcnt_depctr 0xfff
	v_cndmask_b32_e64 v159, 0, v131, s17
	s_delay_alu instid0(VALU_DEP_1) | instskip(SKIP_1) | instid1(VALU_DEP_1)
	v_add_f32_e32 v130, v130, v159
	v_cndmask_b32_e64 v158, 0, v133, s18
	v_add_f32_e32 v130, v130, v158
	ds_bpermute_b32 v131, v132, v130
	v_cmpx_gt_u32_e32 16, v150
	s_cbranch_execz .LBB105_12
; %bb.11:
	v_mul_u32_u24_e32 v132, 0x44, v149
	s_delay_alu instid0(VALU_DEP_1) | instskip(SKIP_1) | instid1(VALU_DEP_1)
	v_lshl_add_u32 v132, v148, 2, v132
	s_waitcnt lgkmcnt(0)
	v_dual_add_f32 v130, v130, v131 :: v_dual_add_nc_u32 v131, 0x4000, v132
	ds_store_2addr_b32 v131, v129, v130 offset1:136
.LBB105_12:
	s_or_b32 exec_lo, exec_lo, s3
	v_lshlrev_b32_e32 v129, 2, v148
	s_load_b32 s35, s[0:1], 0x94
	s_waitcnt lgkmcnt(0)
	s_barrier
	buffer_gl0_inv
	v_add_nc_u32_e32 v135, 0x4000, v129
	v_cmp_eq_u32_e32 vcc_lo, 1, v149
	v_cmp_eq_u32_e64 s3, 2, v149
	v_cmp_eq_u32_e64 s4, 3, v149
	;; [unrolled: 1-line block ×3, first 2 shown]
	ds_load_2addr_b32 v[129:130], v135 offset1:17
	ds_load_2addr_b32 v[131:132], v135 offset0:34 offset1:51
	ds_load_2addr_b32 v[133:134], v135 offset0:68 offset1:85
	;; [unrolled: 1-line block ×3, first 2 shown]
	v_cmp_eq_u32_e64 s6, 5, v149
	v_cmp_eq_u32_e64 s7, 7, v149
	s_waitcnt lgkmcnt(3)
	v_max3_f32 v136, v129, 0xff7fffff, v130
	s_waitcnt lgkmcnt(2)
	s_delay_alu instid0(VALU_DEP_1) | instskip(SKIP_1) | instid1(VALU_DEP_1)
	v_max3_f32 v136, v136, v131, v132
	s_waitcnt lgkmcnt(1)
	v_max3_f32 v136, v136, v133, v134
	s_waitcnt lgkmcnt(0)
	s_delay_alu instid0(VALU_DEP_1) | instskip(NEXT) | instid1(VALU_DEP_1)
	v_max3_f32 v136, v136, v160, v161
	v_sub_f32_e32 v164, v132, v136
	ds_load_2addr_b32 v[162:163], v135 offset0:136 offset1:153
	v_sub_f32_e32 v129, v129, v136
	v_sub_f32_e32 v137, v130, v136
	;; [unrolled: 1-line block ×3, first 2 shown]
	v_mul_f32_e32 v164, 0x3fb8aa3b, v164
	s_delay_alu instid0(VALU_DEP_4) | instskip(NEXT) | instid1(VALU_DEP_4)
	v_mul_f32_e32 v150, 0x3fb8aa3b, v129
	v_mul_f32_e32 v137, 0x3fb8aa3b, v137
	ds_load_2addr_b32 v[129:130], v135 offset0:170 offset1:187
	v_mul_f32_e32 v167, 0x3fb8aa3b, v133
	v_exp_f32_e32 v164, v164
	v_exp_f32_e32 v150, v150
	;; [unrolled: 1-line block ×3, first 2 shown]
	v_sub_f32_e32 v131, v131, v136
	s_delay_alu instid0(VALU_DEP_1)
	v_mul_f32_e32 v165, 0x3fb8aa3b, v131
	ds_load_2addr_b32 v[131:132], v135 offset0:204 offset1:221
	s_waitcnt lgkmcnt(2)
	v_fma_f32 v137, v150, v162, 0
	v_sub_f32_e32 v162, v134, v136
	v_exp_f32_e32 v165, v165
	ds_load_2addr_b32 v[133:134], v135 offset0:238 offset1:255
	v_sub_f32_e32 v135, v160, v136
	v_dual_fmac_f32 v137, v166, v163 :: v_dual_mul_f32 v160, 0x3fb8aa3b, v162
	v_exp_f32_e32 v162, v167
	s_waitcnt lgkmcnt(0)
	s_delay_alu instid0(VALU_DEP_2)
	v_mul_f32_e32 v135, 0x3fb8aa3b, v135
	s_barrier
	v_exp_f32_e32 v160, v160
	v_fmac_f32_e32 v137, v165, v129
	v_sub_f32_e32 v129, v161, v136
	v_exp_f32_e32 v161, v135
	buffer_gl0_inv
	v_fmac_f32_e32 v137, v164, v130
	v_dual_mul_f32 v129, 0x3fb8aa3b, v129 :: v_dual_cndmask_b32 v130, v150, v166
	s_delay_alu instid0(VALU_DEP_2) | instskip(NEXT) | instid1(VALU_DEP_2)
	v_fmac_f32_e32 v137, v162, v131
	v_exp_f32_e32 v163, v129
	s_delay_alu instid0(VALU_DEP_1) | instskip(NEXT) | instid1(VALU_DEP_1)
	v_fmac_f32_e32 v137, v160, v132
	v_fmac_f32_e32 v137, v161, v133
	v_lshlrev_b32_e32 v133, 6, v148
	s_waitcnt_depctr 0xfff
	v_fmac_f32_e32 v137, v163, v134
	v_lshl_or_b32 v135, v149, 11, v133
	s_delay_alu instid0(VALU_DEP_2) | instskip(NEXT) | instid1(VALU_DEP_1)
	v_add_f32_e32 v134, 0x358637bd, v137
	v_div_scale_f32 v167, null, v134, v134, 1.0
	v_div_scale_f32 v150, vcc_lo, 1.0, v134, 1.0
	s_delay_alu instid0(VALU_DEP_2) | instskip(SKIP_2) | instid1(VALU_DEP_1)
	v_rcp_f32_e32 v168, v167
	s_waitcnt_depctr 0xfff
	v_fma_f32 v129, -v167, v168, 1.0
	v_fmac_f32_e32 v168, v129, v168
	v_cndmask_b32_e64 v129, v130, v165, s3
	v_cmp_eq_u32_e64 s3, 6, v149
	s_delay_alu instid0(VALU_DEP_3) | instskip(NEXT) | instid1(VALU_DEP_3)
	v_mul_f32_e32 v165, v150, v168
	v_cndmask_b32_e64 v130, v129, v164, s4
	v_lshlrev_b32_e32 v129, 2, v146
	s_delay_alu instid0(VALU_DEP_3) | instskip(NEXT) | instid1(VALU_DEP_3)
	v_fma_f32 v131, -v167, v165, v150
	v_cndmask_b32_e64 v162, v130, v162, s5
	s_delay_alu instid0(VALU_DEP_3)
	v_or_b32_e32 v130, 1, v129
	v_or_b32_e32 v132, 2, v129
	v_cmp_eq_u32_e64 s4, 1, v129
	v_fmac_f32_e32 v165, v131, v168
	v_cndmask_b32_e64 v149, v162, v160, s6
	v_or_b32_e32 v131, 3, v129
	v_cmp_eq_u32_e64 s9, 1, v130
	v_cmp_eq_u32_e64 s10, 1, v132
	v_fma_f32 v150, -v167, v165, v150
	v_cndmask_b32_e64 v149, v149, v161, s3
	v_cmp_eq_u32_e64 s11, 1, v131
	v_cmp_eq_u32_e64 s5, 2, v129
	;; [unrolled: 1-line block ×3, first 2 shown]
	v_div_fmas_f32 v150, v150, v168, v165
	v_cndmask_b32_e64 v149, v149, v163, s7
	v_cmp_eq_u32_e64 s15, 2, v132
	v_cmp_eq_u32_e64 s16, 2, v131
	v_cmp_eq_u32_e32 vcc_lo, 3, v129
	v_div_fixup_f32 v150, v150, v134, 1.0
	v_lshl_or_b32 v134, v146, 4, v135
	v_cmp_eq_u32_e64 s13, 3, v130
	v_cmp_eq_u32_e64 s18, 3, v131
	;; [unrolled: 1-line block ×3, first 2 shown]
	v_mul_f32_e32 v149, v149, v150
	v_cmp_eq_u32_e64 s17, 3, v132
	v_cmp_eq_u32_e64 s19, 4, v130
	;; [unrolled: 1-line block ×4, first 2 shown]
	v_fma_mixlo_f16 v160, v149, v152, 0
	v_fma_mixlo_f16 v161, v149, v154, 0
	;; [unrolled: 1-line block ×8, first 2 shown]
	v_fma_mixhi_f16 v160, v149, v151, 0
	v_fma_mixhi_f16 v161, v149, v153, 0
	;; [unrolled: 1-line block ×8, first 2 shown]
	ds_store_b128 v134, v[160:163]
	ds_store_b128 v134, v[154:157] offset:1024
	s_waitcnt lgkmcnt(0)
	s_barrier
	buffer_gl0_inv
	ds_load_b128 v[138:141], v135
	ds_load_b128 v[149:152], v135 offset:16
	ds_load_b128 v[153:156], v135 offset:1024
	;; [unrolled: 1-line block ×3, first 2 shown]
	v_cmp_eq_u32_e64 s20, 5, v130
	v_cmp_eq_u32_e64 s21, 4, v132
	v_cmp_eq_u32_e64 s24, 5, v131
	v_cmp_eq_u32_e64 s7, 6, v129
	v_cmp_eq_u32_e64 s23, 5, v132
	v_cmp_eq_u32_e64 s25, 6, v130
	v_cmp_eq_u32_e64 s27, 6, v131
	v_cmp_eq_u32_e64 s8, 7, v129
	v_cmp_eq_u32_e64 s26, 6, v132
	v_cmp_eq_u32_e64 s29, 7, v131
	v_cmp_eq_u32_e64 s30, 7, v130
	v_cmp_eq_u32_e64 s28, 7, v132
	s_waitcnt lgkmcnt(3)
	v_lshrrev_b32_e32 v142, 16, v138
	s_waitcnt lgkmcnt(2)
	v_lshrrev_b32_e32 v162, 16, v149
	;; [unrolled: 2-line block ×4, first 2 shown]
	v_lshrrev_b32_e32 v143, 16, v139
	v_cndmask_b32_e64 v174, v138, v142, s4
	v_cndmask_b32_e64 v175, v149, v162, s4
	;; [unrolled: 1-line block ×7, first 2 shown]
	v_lshrrev_b32_e32 v163, 16, v150
	v_cndmask_b32_e64 v179, v149, v162, s10
	v_cndmask_b32_e64 v149, v153, v166, s4
	v_cndmask_b32_e64 v162, v157, v170, s4
	v_cndmask_b32_e64 v180, v153, v166, s9
	v_cndmask_b32_e64 v181, v157, v170, s9
	v_cndmask_b32_e64 v182, v153, v166, s10
	v_cndmask_b32_e64 v183, v157, v170, s10
	v_cndmask_b32_e64 v153, v153, v166, s11
	v_cndmask_b32_e64 v157, v157, v170, s11
	v_cndmask_b32_e64 v166, v174, v139, s5
	v_cndmask_b32_e64 v170, v175, v150, s5
	v_cndmask_b32_e64 v174, v176, v139, s12
	v_cndmask_b32_e64 v175, v177, v150, s12
	v_cndmask_b32_e64 v176, v178, v139, s15
	v_cndmask_b32_e64 v138, v138, v139, s16
	v_cndmask_b32_e64 v139, v142, v150, s16
	v_lshrrev_b32_e32 v167, 16, v154
	v_lshrrev_b32_e32 v171, 16, v158
	v_cndmask_b32_e64 v177, v179, v150, s15
	v_cndmask_b32_e64 v142, v149, v154, s5
	;; [unrolled: 1-line block ×7, first 2 shown]
	v_cndmask_b32_e32 v157, v166, v143, vcc_lo
	v_cndmask_b32_e32 v166, v170, v163, vcc_lo
	v_cndmask_b32_e64 v170, v174, v143, s13
	v_cndmask_b32_e64 v174, v175, v163, s13
	;; [unrolled: 1-line block ×4, first 2 shown]
	v_lshrrev_b32_e32 v144, 16, v140
	v_lshrrev_b32_e32 v164, 16, v151
	v_cndmask_b32_e64 v175, v176, v143, s17
	v_cndmask_b32_e64 v176, v177, v163, s17
	v_cndmask_b32_e32 v142, v142, v167, vcc_lo
	v_cndmask_b32_e32 v143, v149, v171, vcc_lo
	v_cndmask_b32_e64 v149, v150, v167, s13
	v_cndmask_b32_e64 v150, v157, v140, s3
	;; [unrolled: 1-line block ×7, first 2 shown]
	v_lshrrev_b32_e32 v168, 16, v155
	v_cndmask_b32_e64 v170, v175, v140, s21
	v_cndmask_b32_e64 v174, v176, v151, s21
	;; [unrolled: 1-line block ×11, first 2 shown]
	v_lshrrev_b32_e32 v161, 16, v141
	v_lshrrev_b32_e32 v165, 16, v152
	v_cndmask_b32_e64 v163, v170, v144, s23
	v_cndmask_b32_e64 v166, v174, v164, s23
	;; [unrolled: 1-line block ×9, first 2 shown]
	v_lshrrev_b32_e32 v169, 16, v156
	v_cndmask_b32_e64 v140, v140, v168, s6
	v_cndmask_b32_e64 v157, v163, v141, s26
	;; [unrolled: 1-line block ×14, first 2 shown]
	v_perm_b32 v141, v139, v138, 0x5040100
	v_perm_b32 v139, v151, v149, 0x5040100
	v_cndmask_b32_e64 v138, v183, v158, s15
	v_cndmask_b32_e64 v149, v181, v158, s12
	;; [unrolled: 1-line block ×3, first 2 shown]
	v_perm_b32 v140, v152, v150, 0x5040100
	v_cndmask_b32_e64 v150, v162, v167, s17
	v_cndmask_b32_e64 v151, v153, v167, s18
	;; [unrolled: 1-line block ×5, first 2 shown]
	v_lshrrev_b32_e32 v172, 16, v159
	v_cndmask_b32_e64 v150, v150, v155, s21
	v_cndmask_b32_e64 v151, v151, v155, s22
	;; [unrolled: 1-line block ×11, first 2 shown]
	v_lshrrev_b32_e32 v173, 16, v160
	v_cndmask_b32_e64 v142, v142, v160, s7
	v_cndmask_b32_e64 v150, v150, v156, s26
	;; [unrolled: 1-line block ×12, first 2 shown]
	v_perm_b32 v138, v144, v143, 0x5040100
	v_perm_b32 v152, v152, v151, 0x5040100
	;; [unrolled: 1-line block ×5, first 2 shown]
	s_mul_i32 s7, s33, 12
	s_mov_b32 s3, exec_lo
	ds_store_b128 v134, v[138:141]
	ds_store_b128 v134, v[149:152] offset:1024
	v_cmpx_gt_u32_e32 12, v0
	s_cbranch_execz .LBB105_14
; %bb.13:
	s_mul_i32 s4, s7, s34
	s_load_b128 s[8:11], s[0:1], 0x58
	v_add3_u32 v140, s4, s31, v148
	s_delay_alu instid0(VALU_DEP_1) | instskip(NEXT) | instid1(VALU_DEP_1)
	v_mad_u64_u32 v[138:139], null, v140, s35, s[14:15]
	v_ashrrev_i32_e32 v139, 31, v138
	s_delay_alu instid0(VALU_DEP_1) | instskip(SKIP_1) | instid1(VALU_DEP_1)
	v_lshlrev_b64 v[138:139], 2, v[138:139]
	s_waitcnt lgkmcnt(0)
	v_add_co_u32 v140, vcc_lo, s10, v138
	s_delay_alu instid0(VALU_DEP_2)
	v_add_co_ci_u32_e32 v141, vcc_lo, s11, v139, vcc_lo
	v_add_co_u32 v138, vcc_lo, s8, v138
	v_add_co_ci_u32_e32 v139, vcc_lo, s9, v139, vcc_lo
	global_store_b32 v[140:141], v136, off
	global_store_b32 v[138:139], v137, off
.LBB105_14:
	s_or_b32 exec_lo, exec_lo, s3
	s_waitcnt lgkmcnt(0)
	s_waitcnt_vscnt null, 0x0
	s_barrier
	buffer_gl0_inv
	ds_load_b128 v[148:151], v133
	ds_load_b128 v[152:155], v133 offset:16
	ds_load_b128 v[160:163], v133 offset:1040
	;; [unrolled: 1-line block ×5, first 2 shown]
	v_cmp_eq_u32_e32 vcc_lo, 1, v132
	v_mov_b32_e32 v136, 0
	ds_load_b128 v[176:179], v133 offset:3088
	ds_load_b128 v[172:175], v133 offset:3072
	ds_load_b128 v[184:187], v133 offset:4112
	ds_load_b128 v[180:183], v133 offset:4096
	v_cmp_eq_u32_e64 s3, 1, v129
	v_cmp_eq_u32_e64 s4, 1, v131
	v_cmp_eq_u32_e64 s5, 1, v130
	v_mov_b32_e32 v137, v136
	v_mov_b32_e32 v138, v136
	;; [unrolled: 1-line block ×7, first 2 shown]
	v_cmp_eq_u32_e64 s6, 2, v129
	s_waitcnt lgkmcnt(8)
	s_delay_alu instid0(VALU_DEP_2)
	v_wmma_f32_16x16x16_f16 v[136:143], v[121:128], v[148:155], v[136:143]
	ds_load_b128 v[125:128], v133 offset:5136
	ds_load_b128 v[121:124], v133 offset:5120
	s_waitcnt lgkmcnt(8)
	v_wmma_f32_16x16x16_f16 v[136:143], v[113:120], v[156:163], v[136:143]
	ds_load_b128 v[117:120], v133 offset:6160
	ds_load_b128 v[113:116], v133 offset:6144
	s_waitcnt lgkmcnt(8)
	;; [unrolled: 4-line block ×11, first 2 shown]
	s_barrier
	buffer_gl0_inv
	v_wmma_f32_16x16x16_f16 v[136:143], v[1:8], v[73:80], v[136:143]
	s_delay_alu instid0(VALU_DEP_1) | instskip(NEXT) | instid1(VALU_DEP_1)
	v_wmma_f32_16x16x16_f16 v[136:143], v[9:16], v[65:72], v[136:143]
	v_wmma_f32_16x16x16_f16 v[136:143], v[33:40], v[57:64], v[136:143]
	s_delay_alu instid0(VALU_DEP_1) | instskip(NEXT) | instid1(VALU_DEP_1)
	v_wmma_f32_16x16x16_f16 v[136:143], v[41:48], v[49:56], v[136:143]
	v_wmma_f32_16x16x16_f16 v[136:143], v[17:24], v[25:32], v[136:143]
	s_delay_alu instid0(VALU_DEP_1) | instskip(NEXT) | instid1(VALU_DEP_2)
	v_cvt_f16_f32_e64 v1, v136
	v_cvt_f16_f32_e64 v2, v137
	s_delay_alu instid0(VALU_DEP_3) | instskip(NEXT) | instid1(VALU_DEP_4)
	v_cvt_f16_f32_e64 v3, v138
	v_cvt_f16_f32_e64 v4, v139
	;; [unrolled: 1-line block ×6, first 2 shown]
	v_pack_b32_f16 v1, v1, v2
	v_pack_b32_f16 v2, v3, v4
	;; [unrolled: 1-line block ×3, first 2 shown]
	s_delay_alu instid0(VALU_DEP_4)
	v_pack_b32_f16 v4, v7, v8
	ds_store_b128 v134, v[1:4]
	s_waitcnt lgkmcnt(0)
	s_barrier
	buffer_gl0_inv
	ds_load_b128 v[1:4], v135
	ds_load_b128 v[5:8], v135 offset:16
	s_waitcnt lgkmcnt(1)
	v_lshrrev_b32_e32 v9, 16, v1
	s_waitcnt lgkmcnt(0)
	v_lshrrev_b32_e32 v13, 16, v5
	v_lshrrev_b32_e32 v10, 16, v2
	;; [unrolled: 1-line block ×4, first 2 shown]
	v_cndmask_b32_e64 v17, v1, v9, s3
	v_cndmask_b32_e64 v18, v5, v13, s3
	;; [unrolled: 1-line block ×3, first 2 shown]
	v_cmp_eq_u32_e64 s3, 2, v130
	v_cndmask_b32_e64 v20, v5, v13, s5
	v_cndmask_b32_e32 v21, v1, v9, vcc_lo
	v_cndmask_b32_e32 v22, v5, v13, vcc_lo
	v_cndmask_b32_e64 v1, v1, v9, s4
	v_cndmask_b32_e64 v5, v5, v13, s4
	v_cmp_eq_u32_e32 vcc_lo, 2, v132
	v_cmp_eq_u32_e64 s4, 2, v131
	v_cndmask_b32_e64 v9, v17, v2, s6
	v_cndmask_b32_e64 v13, v18, v6, s6
	;; [unrolled: 1-line block ×4, first 2 shown]
	v_cndmask_b32_e32 v19, v21, v2, vcc_lo
	v_cmp_eq_u32_e64 s3, 3, v132
	v_cndmask_b32_e32 v20, v22, v6, vcc_lo
	v_cndmask_b32_e64 v1, v1, v2, s4
	v_cmp_eq_u32_e32 vcc_lo, 3, v131
	v_cmp_eq_u32_e64 s5, 3, v129
	v_cndmask_b32_e64 v2, v5, v6, s4
	v_cmp_eq_u32_e64 s4, 3, v130
	v_cmp_eq_u32_e64 s6, 4, v129
	v_cndmask_b32_e32 v1, v1, v10, vcc_lo
	v_cndmask_b32_e64 v5, v9, v10, s5
	v_cndmask_b32_e64 v6, v13, v14, s5
	;; [unrolled: 1-line block ×3, first 2 shown]
	v_cmp_eq_u32_e64 s5, 4, v130
	v_cndmask_b32_e64 v13, v18, v14, s4
	v_cndmask_b32_e64 v17, v19, v10, s3
	;; [unrolled: 1-line block ×3, first 2 shown]
	v_cndmask_b32_e32 v2, v2, v14, vcc_lo
	v_cmp_eq_u32_e32 vcc_lo, 4, v132
	v_cmp_eq_u32_e64 s4, 4, v131
	v_lshrrev_b32_e32 v15, 16, v7
	v_cndmask_b32_e64 v5, v5, v3, s6
	v_cndmask_b32_e64 v6, v6, v7, s6
	v_cndmask_b32_e32 v14, v18, v7, vcc_lo
	v_cndmask_b32_e64 v9, v9, v3, s5
	v_cndmask_b32_e64 v10, v13, v7, s5
	v_cndmask_b32_e32 v13, v17, v3, vcc_lo
	v_cmp_eq_u32_e64 s3, 5, v132
	v_cndmask_b32_e64 v1, v1, v3, s4
	v_cmp_eq_u32_e32 vcc_lo, 5, v131
	v_cmp_eq_u32_e64 s5, 5, v129
	v_cndmask_b32_e64 v2, v2, v7, s4
	v_cmp_eq_u32_e64 s4, 5, v130
	v_cmp_eq_u32_e64 s6, 6, v129
	v_lshrrev_b32_e32 v12, 16, v4
	v_cndmask_b32_e64 v3, v5, v11, s5
	v_cndmask_b32_e64 v5, v6, v15, s5
	;; [unrolled: 1-line block ×3, first 2 shown]
	v_cmp_eq_u32_e64 s5, 6, v130
	v_cndmask_b32_e64 v7, v10, v15, s4
	v_cndmask_b32_e64 v9, v13, v11, s3
	;; [unrolled: 1-line block ×3, first 2 shown]
	v_cndmask_b32_e32 v1, v1, v11, vcc_lo
	v_cndmask_b32_e32 v2, v2, v15, vcc_lo
	v_cmp_eq_u32_e32 vcc_lo, 6, v132
	v_cmp_eq_u32_e64 s3, 6, v131
	v_lshrrev_b32_e32 v16, 16, v8
	v_cndmask_b32_e64 v3, v3, v4, s6
	v_cndmask_b32_e64 v5, v5, v8, s6
	v_cndmask_b32_e32 v9, v9, v4, vcc_lo
	v_cndmask_b32_e64 v6, v6, v4, s5
	v_cndmask_b32_e64 v7, v7, v8, s5
	v_cmp_eq_u32_e64 s4, 7, v132
	v_cndmask_b32_e32 v10, v10, v8, vcc_lo
	v_cndmask_b32_e64 v1, v1, v4, s3
	v_cmp_eq_u32_e32 vcc_lo, 7, v131
	v_cndmask_b32_e64 v2, v2, v8, s3
	v_cmp_eq_u32_e64 s3, 7, v129
	v_cmp_eq_u32_e64 s5, 7, v130
	v_cndmask_b32_e32 v1, v1, v12, vcc_lo
	s_delay_alu instid0(VALU_DEP_4) | instskip(NEXT) | instid1(VALU_DEP_4)
	v_cndmask_b32_e32 v2, v2, v16, vcc_lo
	v_cndmask_b32_e64 v8, v3, v12, s3
	s_delay_alu instid0(VALU_DEP_4)
	v_cndmask_b32_e64 v6, v6, v12, s5
	v_cndmask_b32_e64 v3, v9, v12, s4
	;; [unrolled: 1-line block ×5, first 2 shown]
	v_cmp_gt_u32_e32 vcc_lo, 32, v0
	v_perm_b32 v4, v2, v1, 0x5040100
	v_perm_b32 v3, v9, v3, 0x5040100
	;; [unrolled: 1-line block ×4, first 2 shown]
	s_and_b32 s2, vcc_lo, s2
	ds_store_b128 v134, v[1:4]
	s_waitcnt lgkmcnt(0)
	s_barrier
	buffer_gl0_inv
	s_and_saveexec_b32 s3, s2
	s_cbranch_execz .LBB105_2
; %bb.15:
	s_load_b64 s[0:1], s[0:1], 0x68
	v_lshlrev_b32_e32 v0, 10, v0
	s_lshl_b32 s4, s35, 6
	v_or_b32_e32 v3, s31, v146
	s_mul_i32 s2, s4, s34
	v_lshlrev_b32_e32 v1, 4, v147
	s_mul_i32 s2, s2, s7
	v_lshlrev_b32_e32 v2, 6, v146
	v_and_b32_e32 v0, 0x3800, v0
	s_ashr_i32 s3, s2, 31
	v_mul_lo_u32 v4, v3, s4
	s_lshl_b64 s[2:3], s[2:3], 1
	s_delay_alu instid0(VALU_DEP_2) | instskip(NEXT) | instid1(VALU_DEP_2)
	v_or3_b32 v16, v0, v1, v2
	v_ashrrev_i32_e32 v5, 31, v4
	ds_load_b128 v[0:3], v16
	s_waitcnt lgkmcnt(0)
	s_add_u32 s2, s0, s2
	s_addc_u32 s3, s1, s3
	s_lshl_b32 s0, s14, 6
	v_lshlrev_b64 v[5:6], 1, v[4:5]
	s_ashr_i32 s1, s0, 31
	s_delay_alu instid0(SALU_CYCLE_1) | instskip(NEXT) | instid1(SALU_CYCLE_1)
	s_lshl_b64 s[0:1], s[0:1], 1
	s_add_u32 s0, s2, s0
	s_addc_u32 s1, s3, s1
	s_lshl_b32 s2, s35, 7
	v_add_co_u32 v30, s0, s0, v145
	v_add_nc_u32_e32 v8, s2, v4
	v_add_co_ci_u32_e64 v31, null, s1, 0, s0
	s_delay_alu instid0(VALU_DEP_3) | instskip(NEXT) | instid1(VALU_DEP_3)
	v_add_co_u32 v12, vcc_lo, v30, v5
	v_add_nc_u32_e32 v10, s2, v8
	v_ashrrev_i32_e32 v9, 31, v8
	s_delay_alu instid0(VALU_DEP_4)
	v_add_co_ci_u32_e32 v13, vcc_lo, v31, v6, vcc_lo
	ds_load_b128 v[4:7], v16 offset:128
	v_ashrrev_i32_e32 v11, 31, v10
	v_lshlrev_b64 v[8:9], 1, v[8:9]
	v_add_nc_u32_e32 v14, s2, v10
	global_store_b128 v[12:13], v[0:3], off
	v_lshlrev_b64 v[0:1], 1, v[10:11]
	v_ashrrev_i32_e32 v15, 31, v14
	v_add_co_u32 v22, vcc_lo, v30, v8
	v_add_nc_u32_e32 v20, s2, v14
	v_add_co_ci_u32_e32 v23, vcc_lo, v31, v9, vcc_lo
	v_add_co_u32 v26, vcc_lo, v30, v0
	v_lshlrev_b64 v[24:25], 1, v[14:15]
	v_add_co_ci_u32_e32 v27, vcc_lo, v31, v1, vcc_lo
	ds_load_b128 v[0:3], v16 offset:256
	ds_load_b128 v[8:11], v16 offset:384
	;; [unrolled: 1-line block ×4, first 2 shown]
	v_add_nc_u32_e32 v28, s2, v20
	v_ashrrev_i32_e32 v21, 31, v20
	v_add_co_u32 v24, vcc_lo, v30, v24
	v_add_co_ci_u32_e32 v25, vcc_lo, v31, v25, vcc_lo
	s_delay_alu instid0(VALU_DEP_4) | instskip(NEXT) | instid1(VALU_DEP_4)
	v_ashrrev_i32_e32 v29, 31, v28
	v_lshlrev_b64 v[20:21], 1, v[20:21]
	s_delay_alu instid0(VALU_DEP_2) | instskip(NEXT) | instid1(VALU_DEP_2)
	v_lshlrev_b64 v[28:29], 1, v[28:29]
	v_add_co_u32 v20, vcc_lo, v30, v20
	s_delay_alu instid0(VALU_DEP_3) | instskip(NEXT) | instid1(VALU_DEP_3)
	v_add_co_ci_u32_e32 v21, vcc_lo, v31, v21, vcc_lo
	v_add_co_u32 v28, vcc_lo, v30, v28
	s_delay_alu instid0(VALU_DEP_4)
	v_add_co_ci_u32_e32 v29, vcc_lo, v31, v29, vcc_lo
	s_waitcnt lgkmcnt(4)
	global_store_b128 v[22:23], v[4:7], off
	s_waitcnt lgkmcnt(3)
	global_store_b128 v[26:27], v[0:3], off
	;; [unrolled: 2-line block ×5, first 2 shown]
	s_nop 0
	s_sendmsg sendmsg(MSG_DEALLOC_VGPRS)
	s_endpgm
	.section	.rodata,"a",@progbits
	.p2align	6, 0x0
	.amdhsa_kernel _Z39paged_attention_ll4mi_QKV_mfma16_kernelIDF16_DF16_LN4vllm18Fp8KVCacheDataTypeE0EDF16_Li16ELi64ELi256ELb0ELi12EL8MFMAType0EEvPKT_PKT0_S8_ifPKiSA_SA_iPKfiiiPfSD_PS3_PT2_iSC_SC_
		.amdhsa_group_segment_fixed_size 17472
		.amdhsa_private_segment_fixed_size 0
		.amdhsa_kernarg_size 400
		.amdhsa_user_sgpr_count 13
		.amdhsa_user_sgpr_dispatch_ptr 0
		.amdhsa_user_sgpr_queue_ptr 0
		.amdhsa_user_sgpr_kernarg_segment_ptr 1
		.amdhsa_user_sgpr_dispatch_id 0
		.amdhsa_user_sgpr_private_segment_size 0
		.amdhsa_wavefront_size32 1
		.amdhsa_uses_dynamic_stack 0
		.amdhsa_enable_private_segment 0
		.amdhsa_system_sgpr_workgroup_id_x 1
		.amdhsa_system_sgpr_workgroup_id_y 1
		.amdhsa_system_sgpr_workgroup_id_z 1
		.amdhsa_system_sgpr_workgroup_info 0
		.amdhsa_system_vgpr_workitem_id 0
		.amdhsa_next_free_vgpr 198
		.amdhsa_next_free_sgpr 52
		.amdhsa_reserve_vcc 1
		.amdhsa_float_round_mode_32 0
		.amdhsa_float_round_mode_16_64 0
		.amdhsa_float_denorm_mode_32 3
		.amdhsa_float_denorm_mode_16_64 3
		.amdhsa_dx10_clamp 1
		.amdhsa_ieee_mode 1
		.amdhsa_fp16_overflow 0
		.amdhsa_workgroup_processor_mode 1
		.amdhsa_memory_ordered 1
		.amdhsa_forward_progress 0
		.amdhsa_shared_vgpr_count 0
		.amdhsa_exception_fp_ieee_invalid_op 0
		.amdhsa_exception_fp_denorm_src 0
		.amdhsa_exception_fp_ieee_div_zero 0
		.amdhsa_exception_fp_ieee_overflow 0
		.amdhsa_exception_fp_ieee_underflow 0
		.amdhsa_exception_fp_ieee_inexact 0
		.amdhsa_exception_int_div_zero 0
	.end_amdhsa_kernel
	.section	.text._Z39paged_attention_ll4mi_QKV_mfma16_kernelIDF16_DF16_LN4vllm18Fp8KVCacheDataTypeE0EDF16_Li16ELi64ELi256ELb0ELi12EL8MFMAType0EEvPKT_PKT0_S8_ifPKiSA_SA_iPKfiiiPfSD_PS3_PT2_iSC_SC_,"axG",@progbits,_Z39paged_attention_ll4mi_QKV_mfma16_kernelIDF16_DF16_LN4vllm18Fp8KVCacheDataTypeE0EDF16_Li16ELi64ELi256ELb0ELi12EL8MFMAType0EEvPKT_PKT0_S8_ifPKiSA_SA_iPKfiiiPfSD_PS3_PT2_iSC_SC_,comdat
.Lfunc_end105:
	.size	_Z39paged_attention_ll4mi_QKV_mfma16_kernelIDF16_DF16_LN4vllm18Fp8KVCacheDataTypeE0EDF16_Li16ELi64ELi256ELb0ELi12EL8MFMAType0EEvPKT_PKT0_S8_ifPKiSA_SA_iPKfiiiPfSD_PS3_PT2_iSC_SC_, .Lfunc_end105-_Z39paged_attention_ll4mi_QKV_mfma16_kernelIDF16_DF16_LN4vllm18Fp8KVCacheDataTypeE0EDF16_Li16ELi64ELi256ELb0ELi12EL8MFMAType0EEvPKT_PKT0_S8_ifPKiSA_SA_iPKfiiiPfSD_PS3_PT2_iSC_SC_
                                        ; -- End function
	.section	.AMDGPU.csdata,"",@progbits
; Kernel info:
; codeLenInByte = 7964
; NumSgprs: 54
; NumVgprs: 198
; ScratchSize: 0
; MemoryBound: 0
; FloatMode: 240
; IeeeMode: 1
; LDSByteSize: 17472 bytes/workgroup (compile time only)
; SGPRBlocks: 6
; VGPRBlocks: 24
; NumSGPRsForWavesPerEU: 54
; NumVGPRsForWavesPerEU: 198
; Occupancy: 7
; WaveLimiterHint : 1
; COMPUTE_PGM_RSRC2:SCRATCH_EN: 0
; COMPUTE_PGM_RSRC2:USER_SGPR: 13
; COMPUTE_PGM_RSRC2:TRAP_HANDLER: 0
; COMPUTE_PGM_RSRC2:TGID_X_EN: 1
; COMPUTE_PGM_RSRC2:TGID_Y_EN: 1
; COMPUTE_PGM_RSRC2:TGID_Z_EN: 1
; COMPUTE_PGM_RSRC2:TIDIG_COMP_CNT: 0
	.section	.text._Z39paged_attention_ll4mi_QKV_mfma16_kernelIDF16_DF16_LN4vllm18Fp8KVCacheDataTypeE0EDF16_Li16ELi64ELi256ELb0ELi13EL8MFMAType0EEvPKT_PKT0_S8_ifPKiSA_SA_iPKfiiiPfSD_PS3_PT2_iSC_SC_,"axG",@progbits,_Z39paged_attention_ll4mi_QKV_mfma16_kernelIDF16_DF16_LN4vllm18Fp8KVCacheDataTypeE0EDF16_Li16ELi64ELi256ELb0ELi13EL8MFMAType0EEvPKT_PKT0_S8_ifPKiSA_SA_iPKfiiiPfSD_PS3_PT2_iSC_SC_,comdat
	.protected	_Z39paged_attention_ll4mi_QKV_mfma16_kernelIDF16_DF16_LN4vllm18Fp8KVCacheDataTypeE0EDF16_Li16ELi64ELi256ELb0ELi13EL8MFMAType0EEvPKT_PKT0_S8_ifPKiSA_SA_iPKfiiiPfSD_PS3_PT2_iSC_SC_ ; -- Begin function _Z39paged_attention_ll4mi_QKV_mfma16_kernelIDF16_DF16_LN4vllm18Fp8KVCacheDataTypeE0EDF16_Li16ELi64ELi256ELb0ELi13EL8MFMAType0EEvPKT_PKT0_S8_ifPKiSA_SA_iPKfiiiPfSD_PS3_PT2_iSC_SC_
	.globl	_Z39paged_attention_ll4mi_QKV_mfma16_kernelIDF16_DF16_LN4vllm18Fp8KVCacheDataTypeE0EDF16_Li16ELi64ELi256ELb0ELi13EL8MFMAType0EEvPKT_PKT0_S8_ifPKiSA_SA_iPKfiiiPfSD_PS3_PT2_iSC_SC_
	.p2align	8
	.type	_Z39paged_attention_ll4mi_QKV_mfma16_kernelIDF16_DF16_LN4vllm18Fp8KVCacheDataTypeE0EDF16_Li16ELi64ELi256ELb0ELi13EL8MFMAType0EEvPKT_PKT0_S8_ifPKiSA_SA_iPKfiiiPfSD_PS3_PT2_iSC_SC_,@function
_Z39paged_attention_ll4mi_QKV_mfma16_kernelIDF16_DF16_LN4vllm18Fp8KVCacheDataTypeE0EDF16_Li16ELi64ELi256ELb0ELi13EL8MFMAType0EEvPKT_PKT0_S8_ifPKiSA_SA_iPKfiiiPfSD_PS3_PT2_iSC_SC_: ; @_Z39paged_attention_ll4mi_QKV_mfma16_kernelIDF16_DF16_LN4vllm18Fp8KVCacheDataTypeE0EDF16_Li16ELi64ELi256ELb0ELi13EL8MFMAType0EEvPKT_PKT0_S8_ifPKiSA_SA_iPKfiiiPfSD_PS3_PT2_iSC_SC_
; %bb.0:
	s_load_b64 s[2:3], s[0:1], 0x30
	s_mov_b32 s34, s13
	s_waitcnt lgkmcnt(0)
	s_cmp_lg_u64 s[2:3], 0
	s_cselect_b32 s6, -1, 0
	s_ashr_i32 s35, s13, 31
	s_cmp_eq_u64 s[2:3], 0
	s_cbranch_scc1 .LBB106_3
; %bb.1:
	s_lshl_b64 s[4:5], s[34:35], 2
	s_delay_alu instid0(SALU_CYCLE_1) | instskip(SKIP_4) | instid1(SALU_CYCLE_1)
	s_add_u32 s4, s2, s4
	s_addc_u32 s5, s3, s5
	s_load_b64 s[4:5], s[4:5], 0x0
	s_waitcnt lgkmcnt(0)
	s_sub_i32 s4, s5, s4
	s_cmp_eq_u32 s4, 1
	s_cselect_b32 s4, -1, 0
	s_delay_alu instid0(SALU_CYCLE_1)
	s_and_not1_b32 vcc_lo, exec_lo, s4
	s_cbranch_vccz .LBB106_4
.LBB106_2:
	s_nop 0
	s_sendmsg sendmsg(MSG_DEALLOC_VGPRS)
	s_endpgm
.LBB106_3:
.LBB106_4:
	s_load_b64 s[8:9], s[0:1], 0x28
	s_lshl_b64 s[4:5], s[34:35], 2
	s_waitcnt lgkmcnt(0)
	s_add_u32 s8, s8, s4
	s_addc_u32 s9, s9, s5
	s_lshl_b32 s31, s14, 8
	s_load_b32 s30, s[8:9], 0x0
	s_waitcnt lgkmcnt(0)
	s_cmp_ge_i32 s31, s30
	s_cbranch_scc1 .LBB106_2
; %bb.5:
	s_clause 0x1
	s_load_b128 s[8:11], s[0:1], 0x8
	s_load_b64 s[12:13], s[0:1], 0x20
	s_and_not1_b32 vcc_lo, exec_lo, s6
	s_cbranch_vccnz .LBB106_7
; %bb.6:
	s_add_u32 s2, s2, s4
	s_addc_u32 s3, s3, s5
	s_load_b32 s3, s[2:3], 0x0
	s_branch .LBB106_8
.LBB106_7:
	s_mov_b32 s3, s34
.LBB106_8:
	s_load_b128 s[4:7], s[0:1], 0x48
	v_lshrrev_b32_e32 v149, 5, v0
	v_bfe_u32 v146, v0, 4, 1
	v_and_b32_e32 v148, 15, v0
	v_and_b32_e32 v150, 31, v0
	v_and_b32_e32 v147, 1, v0
	s_mul_i32 s33, s15, 13
	v_lshl_or_b32 v1, v149, 1, v146
	v_lshlrev_b32_e32 v2, 3, v148
	v_cmp_gt_u32_e64 s2, 8, v148
	s_delay_alu instid0(VALU_DEP_3) | instskip(NEXT) | instid1(VALU_DEP_3)
	v_cmp_gt_u32_e32 vcc_lo, 13, v1
	v_lshlrev_b32_e32 v145, 1, v2
	s_delay_alu instid0(VALU_DEP_3)
	s_and_b32 s16, s2, vcc_lo
	s_waitcnt lgkmcnt(0)
	s_and_saveexec_b32 s7, s16
	s_cbranch_execz .LBB106_10
; %bb.9:
	s_load_b64 s[16:17], s[0:1], 0x0
	v_add_lshl_u32 v2, v1, s33, 6
	s_mul_hi_i32 s19, s3, s4
	s_mul_i32 s18, s3, s4
	v_lshlrev_b32_e32 v6, 10, v148
	s_lshl_b64 s[18:19], s[18:19], 1
	v_ashrrev_i32_e32 v3, 31, v2
	v_lshlrev_b32_e32 v1, 6, v1
	v_lshlrev_b32_e32 v7, 10, v147
	v_and_b32_e32 v6, 0x3800, v6
	s_delay_alu instid0(VALU_DEP_4) | instskip(NEXT) | instid1(VALU_DEP_2)
	v_lshlrev_b64 v[2:3], 1, v[2:3]
	v_or3_b32 v1, v6, v7, v1
	s_waitcnt lgkmcnt(0)
	s_add_u32 s3, s16, s18
	s_addc_u32 s4, s17, s19
	s_delay_alu instid0(VALU_DEP_2) | instskip(SKIP_1) | instid1(VALU_DEP_2)
	v_add_co_u32 v2, vcc_lo, s3, v2
	v_add_co_ci_u32_e32 v3, vcc_lo, s4, v3, vcc_lo
	v_add_co_u32 v2, vcc_lo, v2, v145
	s_delay_alu instid0(VALU_DEP_2)
	v_add_co_ci_u32_e32 v3, vcc_lo, 0, v3, vcc_lo
	global_load_b128 v[2:5], v[2:3], off
	s_waitcnt vmcnt(0)
	ds_store_b128 v1, v[2:5]
.LBB106_10:
	s_or_b32 exec_lo, exec_lo, s7
	s_mov_b32 s40, 0
	s_add_i32 s3, s30, 15
	s_mov_b32 s41, s40
	s_mov_b32 s42, s40
	;; [unrolled: 1-line block ×7, first 2 shown]
	s_delay_alu instid0(SALU_CYCLE_1)
	v_dual_mov_b32 v144, s47 :: v_dual_and_b32 v1, 0xef, v0
	v_mov_b32_e32 v142, s45
	s_ashr_i32 s7, s3, 31
	s_clause 0x1
	s_load_b32 s4, s[0:1], 0x38
	s_load_b32 s35, s[0:1], 0x98
	v_add_nc_u32_e32 v1, s31, v1
	s_lshr_b32 s7, s7, 28
	s_load_b32 s36, s[0:1], 0x1c
	s_add_i32 s3, s3, s7
	s_waitcnt lgkmcnt(0)
	v_ashrrev_i32_e32 v2, 31, v1
	v_or_b32_e32 v3, 16, v1
	s_ashr_i32 s3, s3, 4
	v_cmp_gt_i32_e32 vcc_lo, s30, v1
	s_add_i32 s3, s3, -1
	v_lshrrev_b32_e32 v2, 28, v2
	v_mov_b32_e32 v143, s46
	s_barrier
	buffer_gl0_inv
	s_mul_i32 s6, s15, s6
	v_dual_mov_b32 v141, s44 :: v_dual_add_nc_u32 v4, v1, v2
	v_mov_b32_e32 v139, s42
	s_mul_i32 s16, s34, s4
	v_mov_b32_e32 v137, s40
	s_delay_alu instid0(VALU_DEP_3)
	v_ashrrev_i32_e32 v4, 4, v4
	v_add_nc_u32_e32 v2, v3, v2
	s_ashr_i32 s17, s16, 31
	v_mov_b32_e32 v140, s43
	s_lshl_b64 s[16:17], s[16:17], 2
	v_cndmask_b32_e32 v1, s3, v4, vcc_lo
	v_ashrrev_i32_e32 v2, 4, v2
	v_cmp_gt_i32_e32 vcc_lo, s30, v3
	s_add_u32 s4, s12, s16
	s_addc_u32 s37, s13, s17
	s_ashr_i32 s7, s6, 31
	v_mov_b32_e32 v138, s41
	v_cndmask_b32_e32 v3, s3, v2, vcc_lo
	v_ashrrev_i32_e32 v2, 31, v1
	s_lshl_b64 s[6:7], s[6:7], 1
	s_delay_alu instid0(SALU_CYCLE_1) | instskip(NEXT) | instid1(VALU_DEP_2)
	s_add_u32 s24, s8, s6
	v_ashrrev_i32_e32 v4, 31, v3
	s_delay_alu instid0(VALU_DEP_2) | instskip(SKIP_2) | instid1(VALU_DEP_2)
	v_lshlrev_b64 v[1:2], 2, v[1:2]
	s_addc_u32 s25, s9, s7
	s_lshl_b32 s8, s14, 4
	v_lshlrev_b64 v[3:4], 2, v[3:4]
	s_ashr_i32 s9, s8, 31
	s_delay_alu instid0(VALU_DEP_2) | instskip(SKIP_1) | instid1(VALU_DEP_3)
	v_add_co_u32 v1, vcc_lo, s4, v1
	v_add_co_ci_u32_e32 v2, vcc_lo, s37, v2, vcc_lo
	v_add_co_u32 v3, vcc_lo, s4, v3
	s_delay_alu instid0(VALU_DEP_4)
	v_add_co_ci_u32_e32 v4, vcc_lo, s37, v4, vcc_lo
	s_clause 0x1
	global_load_b32 v5, v[1:2], off
	global_load_b32 v6, v[3:4], off
	s_lshl_b64 s[8:9], s[8:9], 2
	v_lshlrev_b32_e32 v3, 4, v0
	s_add_u32 s8, s4, s8
	s_addc_u32 s9, s37, s9
	s_or_b32 s12, s31, 16
	s_delay_alu instid0(SALU_CYCLE_1) | instskip(SKIP_2) | instid1(SALU_CYCLE_1)
	s_ashr_i32 s13, s12, 4
	s_cmp_lt_i32 s12, s30
	s_cselect_b32 s12, s13, s3
	s_ashr_i32 s13, s12, 31
	s_delay_alu instid0(SALU_CYCLE_1) | instskip(NEXT) | instid1(SALU_CYCLE_1)
	s_lshl_b64 s[12:13], s[12:13], 2
	s_add_u32 s12, s4, s12
	s_addc_u32 s13, s37, s13
	s_or_b32 s15, s31, 32
	s_delay_alu instid0(SALU_CYCLE_1) | instskip(SKIP_2) | instid1(SALU_CYCLE_1)
	s_ashr_i32 s16, s15, 4
	s_cmp_lt_i32 s15, s30
	s_cselect_b32 s16, s16, s3
	s_ashr_i32 s17, s16, 31
	s_delay_alu instid0(SALU_CYCLE_1) | instskip(NEXT) | instid1(SALU_CYCLE_1)
	s_lshl_b64 s[16:17], s[16:17], 2
	;; [unrolled: 10-line block ×5, first 2 shown]
	s_add_u32 s22, s4, s22
	s_addc_u32 s23, s37, s23
	s_clause 0x5
	s_load_b32 s8, s[8:9], 0x0
	s_load_b32 s12, s[12:13], 0x0
	;; [unrolled: 1-line block ×6, first 2 shown]
	s_waitcnt lgkmcnt(0)
	s_mul_hi_i32 s17, s16, s5
	s_mul_i32 s16, s16, s5
	s_waitcnt vmcnt(1)
	v_mad_i64_i32 v[1:2], null, v5, s5, 0
	v_and_b32_e32 v5, 0xf0, v3
	s_waitcnt vmcnt(0)
	v_mad_i64_i32 v[3:4], null, v6, s5, 0
	s_delay_alu instid0(VALU_DEP_2) | instskip(NEXT) | instid1(VALU_DEP_4)
	v_add_co_u32 v7, s9, s24, v5
	v_lshlrev_b64 v[1:2], 1, v[1:2]
	v_add_co_ci_u32_e64 v8, null, s25, 0, s9
	s_delay_alu instid0(VALU_DEP_4) | instskip(SKIP_1) | instid1(VALU_DEP_3)
	v_lshlrev_b64 v[5:6], 1, v[3:4]
	s_or_b32 s9, s31, 0x60
	v_add_co_u32 v3, vcc_lo, v7, v1
	s_delay_alu instid0(VALU_DEP_3) | instskip(NEXT) | instid1(VALU_DEP_3)
	v_add_co_ci_u32_e32 v4, vcc_lo, v8, v2, vcc_lo
	v_add_co_u32 v1, vcc_lo, v7, v5
	s_delay_alu instid0(VALU_DEP_4)
	v_add_co_ci_u32_e32 v2, vcc_lo, v8, v6, vcc_lo
	s_clause 0x9
	global_load_b128 v[9:12], v[3:4], off
	global_load_b128 v[13:16], v[3:4], off offset:256
	global_load_b128 v[129:132], v[1:2], off
	global_load_b128 v[133:136], v[1:2], off offset:256
	global_load_b128 v[41:44], v[3:4], off offset:512
	global_load_b128 v[45:48], v[3:4], off offset:768
	global_load_b128 v[33:36], v[1:2], off offset:512
	global_load_b128 v[37:40], v[1:2], off offset:768
	global_load_b128 v[17:20], v[3:4], off offset:1024
	global_load_b128 v[21:24], v[3:4], off offset:1280
	v_add_nc_u32_e32 v5, -13, v148
	v_cmp_gt_u32_e32 vcc_lo, 13, v148
	s_clause 0x1
	global_load_b128 v[151:154], v[1:2], off offset:1024
	global_load_b128 v[155:158], v[1:2], off offset:1280
	s_ashr_i32 s13, s9, 4
	s_cmp_lt_i32 s9, s30
	v_lshlrev_b32_e32 v6, 5, v148
	v_cndmask_b32_e32 v5, v5, v148, vcc_lo
	s_cselect_b32 s22, s13, s3
	s_delay_alu instid0(SALU_CYCLE_1) | instskip(NEXT) | instid1(VALU_DEP_2)
	s_ashr_i32 s23, s22, 31
	v_lshl_or_b32 v6, v149, 9, v6
	s_delay_alu instid0(VALU_DEP_2)
	v_lshlrev_b32_e32 v197, 6, v5
	ds_load_b128 v[159:162], v197
	ds_load_b128 v[163:166], v197 offset:1024
	s_clause 0x3
	global_load_b128 v[167:170], v[3:4], off offset:1536
	global_load_b128 v[171:174], v[3:4], off offset:1792
	;; [unrolled: 1-line block ×4, first 2 shown]
	s_lshl_b64 s[22:23], s[22:23], 2
	s_delay_alu instid0(SALU_CYCLE_1)
	s_add_u32 s22, s4, s22
	s_addc_u32 s23, s37, s23
	s_or_b32 s9, s31, 0x70
	s_load_b32 s46, s[22:23], 0x0
	s_ashr_i32 s13, s9, 4
	s_cmp_lt_i32 s9, s30
	s_cselect_b32 s24, s13, s3
	s_delay_alu instid0(SALU_CYCLE_1) | instskip(NEXT) | instid1(SALU_CYCLE_1)
	s_ashr_i32 s25, s24, 31
	s_lshl_b64 s[24:25], s[24:25], 2
	s_delay_alu instid0(SALU_CYCLE_1)
	s_add_u32 s24, s4, s24
	s_addc_u32 s25, s37, s25
	s_or_b32 s9, s31, 0x80
	s_load_b32 s47, s[24:25], 0x0
	s_ashr_i32 s13, s9, 4
	s_cmp_lt_i32 s9, s30
	s_cselect_b32 s26, s13, s3
	s_delay_alu instid0(SALU_CYCLE_1) | instskip(NEXT) | instid1(SALU_CYCLE_1)
	s_ashr_i32 s27, s26, 31
	s_lshl_b64 s[26:27], s[26:27], 2
	s_delay_alu instid0(SALU_CYCLE_1)
	s_add_u32 s26, s4, s26
	s_addc_u32 s27, s37, s27
	s_or_b32 s9, s31, 0x90
	s_load_b32 s48, s[26:27], 0x0
	s_ashr_i32 s13, s9, 4
	s_cmp_lt_i32 s9, s30
	s_cselect_b32 s28, s13, s3
	s_delay_alu instid0(SALU_CYCLE_1) | instskip(NEXT) | instid1(SALU_CYCLE_1)
	s_ashr_i32 s29, s28, 31
	s_lshl_b64 s[28:29], s[28:29], 2
	s_delay_alu instid0(SALU_CYCLE_1) | instskip(SKIP_2) | instid1(SALU_CYCLE_1)
	s_add_u32 s28, s4, s28
	s_addc_u32 s29, s37, s29
	s_or_b32 s9, s31, 0xa0
	s_ashr_i32 s13, s9, 4
	s_cmp_lt_i32 s9, s30
	s_cselect_b32 s38, s13, s3
	s_delay_alu instid0(SALU_CYCLE_1) | instskip(NEXT) | instid1(SALU_CYCLE_1)
	s_ashr_i32 s39, s38, 31
	s_lshl_b64 s[38:39], s[38:39], 2
	s_delay_alu instid0(SALU_CYCLE_1) | instskip(SKIP_2) | instid1(SALU_CYCLE_1)
	s_add_u32 s38, s4, s38
	s_addc_u32 s39, s37, s39
	s_or_b32 s9, s31, 0xb0
	s_ashr_i32 s13, s9, 4
	s_cmp_lt_i32 s9, s30
	s_mul_hi_i32 s9, s8, s5
	s_cselect_b32 s40, s13, s3
	s_mul_i32 s8, s8, s5
	s_ashr_i32 s41, s40, 31
	s_mul_hi_i32 s13, s12, s5
	s_lshl_b64 s[40:41], s[40:41], 2
	s_mul_i32 s12, s12, s5
	s_add_u32 s42, s4, s40
	s_addc_u32 s43, s37, s41
	s_or_b32 s19, s31, 0xc0
	s_delay_alu instid0(SALU_CYCLE_1)
	s_ashr_i32 s21, s19, 4
	s_cmp_lt_i32 s19, s30
	s_mul_hi_i32 s19, s18, s5
	s_cselect_b32 s40, s21, s3
	s_mul_i32 s18, s18, s5
	s_ashr_i32 s41, s40, 31
	s_mul_hi_i32 s21, s20, s5
	s_lshl_b64 s[40:41], s[40:41], 2
	s_mul_i32 s20, s20, s5
	s_add_u32 s44, s4, s40
	s_addc_u32 s45, s37, s41
	s_load_b32 s41, s[28:29], 0x0
	s_or_b32 s40, s31, 0xd0
	s_mul_hi_i32 s23, s15, s5
	s_ashr_i32 s22, s40, 4
	s_cmp_lt_i32 s40, s30
	s_load_b32 s40, s[38:39], 0x0
	s_cselect_b32 s24, s22, s3
	s_mul_i32 s22, s15, s5
	s_ashr_i32 s25, s24, 31
	s_waitcnt lgkmcnt(0)
	s_mul_hi_i32 s29, s48, s5
	s_lshl_b64 s[24:25], s[24:25], 2
	s_mul_i32 s28, s48, s5
	s_add_u32 s24, s4, s24
	s_addc_u32 s25, s37, s25
	s_or_b32 s49, s31, 0xe0
	s_clause 0x2
	s_load_b32 s39, s[42:43], 0x0
	s_load_b32 s38, s[44:45], 0x0
	;; [unrolled: 1-line block ×3, first 2 shown]
	s_ashr_i32 s50, s49, 4
	s_cmp_lt_i32 s49, s30
	s_mul_hi_i32 s25, s46, s5
	s_cselect_b32 s44, s50, s3
	s_mul_i32 s24, s46, s5
	s_ashr_i32 s45, s44, 31
	s_mul_hi_i32 s27, s47, s5
	s_lshl_b64 s[44:45], s[44:45], 2
	s_mul_i32 s26, s47, s5
	s_add_u32 s44, s4, s44
	s_addc_u32 s45, s37, s45
	s_or_b32 s46, s31, 0xf0
	s_mul_hi_i32 s43, s41, s5
	s_ashr_i32 s48, s46, 4
	s_cmp_lt_i32 s46, s30
	s_mul_i32 s42, s41, s5
	s_cselect_b32 s48, s48, s3
	s_mul_hi_i32 s41, s40, s5
	s_ashr_i32 s49, s48, 31
	s_mul_i32 s40, s40, s5
	s_lshl_b64 s[48:49], s[48:49], 2
	s_waitcnt lgkmcnt(0)
	s_mul_hi_i32 s47, s39, s5
	s_add_u32 s48, s4, s48
	s_addc_u32 s49, s37, s49
	s_add_u32 s3, s10, s6
	s_addc_u32 s4, s11, s7
	v_add_co_u32 v195, s3, s3, v6
	s_delay_alu instid0(VALU_DEP_1) | instskip(SKIP_2) | instid1(VALU_DEP_2)
	v_add_co_ci_u32_e64 v196, null, s4, 0, s3
	s_lshl_b64 s[6:7], s[8:9], 1
	s_lshl_b64 s[8:9], s[12:13], 1
	v_add_co_u32 v1, vcc_lo, v195, s6
	s_delay_alu instid0(VALU_DEP_2)
	v_add_co_ci_u32_e32 v2, vcc_lo, s7, v196, vcc_lo
	v_add_co_u32 v3, vcc_lo, v195, s8
	s_lshl_b64 s[10:11], s[16:17], 1
	v_add_co_ci_u32_e32 v4, vcc_lo, s9, v196, vcc_lo
	v_add_co_u32 v5, vcc_lo, v195, s10
	s_lshl_b64 s[12:13], s[18:19], 1
	;; [unrolled: 3-line block ×9, first 2 shown]
	s_mul_i32 s46, s39, s5
	v_add_co_ci_u32_e32 v54, vcc_lo, s27, v196, vcc_lo
	v_add_co_u32 v183, vcc_lo, v195, s28
	s_lshl_b64 s[40:41], s[46:47], 1
	s_mul_hi_i32 s39, s38, s5
	s_mul_i32 s38, s38, s5
	v_add_co_ci_u32_e32 v184, vcc_lo, s29, v196, vcc_lo
	v_add_co_u32 v185, vcc_lo, v195, s40
	s_lshl_b64 s[38:39], s[38:39], 1
	s_clause 0x1
	s_load_b32 s3, s[44:45], 0x0
	s_load_b32 s4, s[48:49], 0x0
	v_add_co_ci_u32_e32 v186, vcc_lo, s41, v196, vcc_lo
	v_add_co_u32 v191, vcc_lo, v195, s38
	v_add_co_ci_u32_e32 v192, vcc_lo, s39, v196, vcc_lo
	s_clause 0x17
	global_load_b128 v[121:124], v[1:2], off
	global_load_b128 v[125:128], v[1:2], off offset:16
	global_load_b128 v[113:116], v[3:4], off
	global_load_b128 v[117:120], v[3:4], off offset:16
	;; [unrolled: 2-line block ×12, first 2 shown]
	s_mul_hi_i32 s51, s15, s5
	s_mul_i32 s50, s15, s5
	s_delay_alu instid0(SALU_CYCLE_1) | instskip(NEXT) | instid1(SALU_CYCLE_1)
	s_lshl_b64 s[42:43], s[50:51], 1
	v_add_co_u32 v193, vcc_lo, v195, s42
	v_add_co_ci_u32_e32 v194, vcc_lo, s43, v196, vcc_lo
	s_waitcnt lgkmcnt(0)
	s_mul_hi_i32 s7, s3, s5
	s_mul_i32 s6, s3, s5
	s_mul_hi_i32 s9, s4, s5
	s_lshl_b64 s[6:7], s[6:7], 1
	s_mul_i32 s8, s4, s5
	s_delay_alu instid0(SALU_CYCLE_1)
	s_lshl_b64 s[4:5], s[8:9], 1
	s_waitcnt vmcnt(38)
	v_wmma_f32_16x16x16_f16 v[183:190], v[9:16], v[159:166], v[137:144]
	s_waitcnt vmcnt(36)
	v_wmma_f32_16x16x16_f16 v[137:144], v[129:136], v[159:166], v[137:144]
	s_clause 0x1
	global_load_b128 v[9:12], v[191:192], off
	global_load_b128 v[13:16], v[191:192], off offset:16
	ds_load_b128 v[129:132], v197 offset:2048
	ds_load_b128 v[133:136], v197 offset:3072
	;; [unrolled: 1-line block ×4, first 2 shown]
	v_add_co_u32 v191, vcc_lo, v195, s6
	v_add_co_ci_u32_e32 v192, vcc_lo, s7, v196, vcc_lo
	v_add_co_u32 v195, vcc_lo, v195, s4
	v_add_co_ci_u32_e32 v196, vcc_lo, s5, v196, vcc_lo
	s_waitcnt vmcnt(36) lgkmcnt(2)
	v_wmma_f32_16x16x16_f16 v[183:190], v[41:48], v[129:136], v[183:190]
	s_waitcnt vmcnt(34)
	v_wmma_f32_16x16x16_f16 v[137:144], v[33:40], v[129:136], v[137:144]
	s_clause 0x3
	global_load_b128 v[33:36], v[193:194], off
	global_load_b128 v[37:40], v[193:194], off offset:16
	global_load_b128 v[41:44], v[191:192], off
	global_load_b128 v[45:48], v[191:192], off offset:16
	v_and_b32_e32 v129, 0xe0, v0
	v_mbcnt_lo_u32_b32 v191, -1, 0
	s_waitcnt vmcnt(36) lgkmcnt(0)
	v_wmma_f32_16x16x16_f16 v[183:190], v[17:24], v[159:166], v[183:190]
	s_clause 0x1
	global_load_b128 v[17:20], v[195:196], off
	global_load_b128 v[21:24], v[195:196], off offset:16
	s_waitcnt vmcnt(36)
	v_wmma_f32_16x16x16_f16 v[137:144], v[151:158], v[159:166], v[137:144]
	v_add_nc_u32_e32 v192, s31, v129
	ds_load_b128 v[129:132], v197 offset:6144
	ds_load_b128 v[133:136], v197 offset:7168
	v_xor_b32_e32 v151, 16, v191
	s_waitcnt vmcnt(0) lgkmcnt(0)
	s_barrier
	v_or_b32_e32 v152, v192, v146
	buffer_gl0_inv
	v_cmp_gt_i32_e32 vcc_lo, 32, v151
	v_or_b32_e32 v153, 2, v152
	v_or_b32_e32 v154, 4, v152
	;; [unrolled: 1-line block ×5, first 2 shown]
	v_cmp_gt_i32_e64 s3, s30, v153
	v_cmp_gt_i32_e64 s4, s30, v154
	;; [unrolled: 1-line block ×3, first 2 shown]
	v_or_b32_e32 v158, 12, v152
	v_or_b32_e32 v159, 14, v152
	v_cmp_gt_i32_e64 s6, s30, v156
	v_wmma_f32_16x16x16_f16 v[183:190], v[167:174], v[129:136], v[183:190]
	v_wmma_f32_16x16x16_f16 v[137:144], v[175:182], v[129:136], v[137:144]
	v_cndmask_b32_e32 v151, v191, v151, vcc_lo
	v_cmp_gt_i32_e32 vcc_lo, s30, v152
	v_cmp_gt_i32_e64 s7, s30, v157
	v_dual_mul_f32 v135, s36, v184 :: v_dual_mul_f32 v136, s36, v183
	v_dual_mul_f32 v133, s36, v186 :: v_dual_mul_f32 v134, s36, v185
	;; [unrolled: 1-line block ×3, first 2 shown]
	s_delay_alu instid0(VALU_DEP_3) | instskip(NEXT) | instid1(VALU_DEP_4)
	v_cndmask_b32_e32 v136, 0xff7fffff, v136, vcc_lo
	v_cndmask_b32_e64 v135, 0xff7fffff, v135, s3
	v_mul_f32_e32 v132, s36, v187
	v_cndmask_b32_e64 v134, 0xff7fffff, v134, s4
	v_cndmask_b32_e64 v133, 0xff7fffff, v133, s5
	v_or_b32_e32 v160, 16, v152
	v_max3_f32 v135, v136, 0xff7fffff, v135
	v_or_b32_e32 v161, 18, v152
	v_mul_f32_e32 v130, s36, v189
	v_dual_mul_f32 v172, s36, v140 :: v_dual_mul_f32 v129, s36, v190
	v_cndmask_b32_e64 v132, 0xff7fffff, v132, s6
	v_cndmask_b32_e64 v131, 0xff7fffff, v131, s7
	v_max3_f32 v133, v135, v134, v133
	v_cmp_gt_i32_e64 s8, s30, v158
	v_cmp_gt_i32_e64 s9, s30, v159
	v_or_b32_e32 v162, 20, v152
	v_or_b32_e32 v163, 22, v152
	v_mul_f32_e32 v175, s36, v137
	v_cndmask_b32_e64 v130, 0xff7fffff, v130, s8
	v_cndmask_b32_e64 v129, 0xff7fffff, v129, s9
	v_max3_f32 v131, v133, v132, v131
	v_cmp_gt_i32_e64 s10, s30, v160
	v_cmp_gt_i32_e64 s11, s30, v161
	v_or_b32_e32 v164, 24, v152
	v_or_b32_e32 v165, 26, v152
	v_mul_f32_e32 v173, s36, v139
	v_cndmask_b32_e64 v132, 0xff7fffff, v175, s10
	v_cndmask_b32_e64 v133, 0xff7fffff, v174, s11
	v_max3_f32 v129, v131, v130, v129
	v_cmp_gt_i32_e64 s12, s30, v162
	v_cmp_gt_i32_e64 s13, s30, v163
	v_or_b32_e32 v166, 28, v152
	v_or_b32_e32 v167, 30, v152
	v_dual_mul_f32 v170, s36, v142 :: v_dual_mul_f32 v171, s36, v141
	v_cndmask_b32_e64 v130, 0xff7fffff, v173, s12
	v_cndmask_b32_e64 v131, 0xff7fffff, v172, s13
	v_max3_f32 v129, v129, v132, v133
	v_cmp_gt_i32_e64 s15, s30, v164
	v_cmp_gt_i32_e64 s16, s30, v165
	v_dual_mul_f32 v168, s36, v144 :: v_dual_mul_f32 v169, s36, v143
	s_delay_alu instid0(VALU_DEP_4) | instskip(NEXT) | instid1(VALU_DEP_4)
	v_max3_f32 v129, v129, v130, v131
	v_cndmask_b32_e64 v132, 0xff7fffff, v171, s15
	s_delay_alu instid0(VALU_DEP_4) | instskip(SKIP_2) | instid1(VALU_DEP_3)
	v_cndmask_b32_e64 v133, 0xff7fffff, v170, s16
	v_cmp_gt_i32_e64 s17, s30, v166
	v_cmp_gt_i32_e64 s18, s30, v167
	v_max3_f32 v129, v129, v132, v133
	s_delay_alu instid0(VALU_DEP_3) | instskip(NEXT) | instid1(VALU_DEP_3)
	v_cndmask_b32_e64 v130, 0xff7fffff, v169, s17
	v_cndmask_b32_e64 v131, 0xff7fffff, v168, s18
	v_lshlrev_b32_e32 v132, 2, v151
	s_delay_alu instid0(VALU_DEP_2) | instskip(SKIP_3) | instid1(VALU_DEP_1)
	v_max3_f32 v129, v129, v130, v131
	ds_bpermute_b32 v130, v132, v129
	s_waitcnt lgkmcnt(0)
	v_max_f32_e32 v130, v130, v130
	v_max_f32_e32 v129, v129, v130
	s_delay_alu instid0(VALU_DEP_1) | instskip(SKIP_4) | instid1(VALU_DEP_4)
	v_fma_f32 v134, s36, v186, -v129
	v_fma_f32 v135, s36, v187, -v129
	;; [unrolled: 1-line block ×5, first 2 shown]
	v_dual_mul_f32 v134, 0x3fb8aa3b, v134 :: v_dual_mul_f32 v135, 0x3fb8aa3b, v135
	s_delay_alu instid0(VALU_DEP_4) | instskip(SKIP_1) | instid1(VALU_DEP_3)
	v_mul_f32_e32 v130, 0x3fb8aa3b, v130
	v_fma_f32 v136, s36, v189, -v129
	v_exp_f32_e32 v134, v134
	s_delay_alu instid0(VALU_DEP_3) | instskip(NEXT) | instid1(VALU_DEP_2)
	v_exp_f32_e32 v135, v135
	v_exp_f32_e32 v130, v130
	s_delay_alu instid0(VALU_DEP_1) | instskip(NEXT) | instid1(VALU_DEP_1)
	v_mul_f32_e32 v136, 0x3fb8aa3b, v136
	v_exp_f32_e32 v136, v136
	v_cndmask_b32_e64 v153, 0, v134, s5
	v_fma_f32 v134, s36, v137, -v129
	v_mul_f32_e32 v131, 0x3fb8aa3b, v131
	s_delay_alu instid0(TRANS32_DEP_3) | instskip(NEXT) | instid1(TRANS32_DEP_2)
	v_cndmask_b32_e64 v155, 0, v135, s6
	v_dual_mul_f32 v133, 0x3fb8aa3b, v133 :: v_dual_cndmask_b32 v152, 0, v130
	s_delay_alu instid0(VALU_DEP_4) | instskip(NEXT) | instid1(VALU_DEP_4)
	v_mul_f32_e32 v134, 0x3fb8aa3b, v134
	v_exp_f32_e32 v131, v131
	v_fma_f32 v135, s36, v138, -v129
	s_delay_alu instid0(VALU_DEP_3)
	v_exp_f32_e32 v133, v133
	v_fma_f32 v130, s36, v188, -v129
	v_cndmask_b32_e64 v156, 0, v136, s8
	v_fma_f32 v136, s36, v140, -v129
	v_mul_f32_e32 v135, 0x3fb8aa3b, v135
	v_exp_f32_e32 v134, v134
	v_mul_f32_e32 v130, 0x3fb8aa3b, v130
	s_delay_alu instid0(TRANS32_DEP_3) | instskip(SKIP_1) | instid1(TRANS32_DEP_2)
	v_cndmask_b32_e64 v151, 0, v131, s3
	v_add_f32_e32 v131, 0, v152
	v_cndmask_b32_e64 v154, 0, v133, s4
	v_exp_f32_e32 v135, v135
	v_fma_f32 v133, s36, v190, -v129
	v_exp_f32_e32 v130, v130
	v_dual_add_f32 v131, v131, v151 :: v_dual_mul_f32 v136, 0x3fb8aa3b, v136
	v_cmp_gt_u32_e64 s3, 16, v150
	s_delay_alu instid0(VALU_DEP_3) | instskip(NEXT) | instid1(VALU_DEP_3)
	v_mul_f32_e32 v133, 0x3fb8aa3b, v133
	v_add_f32_e32 v131, v131, v154
	s_delay_alu instid0(VALU_DEP_4) | instskip(NEXT) | instid1(TRANS32_DEP_3)
	v_exp_f32_e32 v136, v136
	v_cndmask_b32_e64 v140, 0, v135, s11
	s_delay_alu instid0(VALU_DEP_3) | instskip(NEXT) | instid1(TRANS32_DEP_3)
	v_exp_f32_e32 v133, v133
	v_cndmask_b32_e64 v138, 0, v130, s7
	v_add_f32_e32 v131, v131, v153
	v_fma_f32 v135, s36, v143, -v129
	s_delay_alu instid0(VALU_DEP_2)
	v_add_f32_e32 v130, v131, v155
	v_fma_f32 v131, s36, v139, -v129
	s_waitcnt_depctr 0xfff
	v_cndmask_b32_e64 v139, 0, v133, s9
	v_fma_f32 v133, s36, v141, -v129
	v_add_f32_e32 v130, v130, v138
	v_cndmask_b32_e64 v141, 0, v134, s10
	v_fma_f32 v134, s36, v142, -v129
	v_cndmask_b32_e64 v142, 0, v136, s13
	s_delay_alu instid0(VALU_DEP_4) | instskip(NEXT) | instid1(VALU_DEP_3)
	v_dual_mul_f32 v131, 0x3fb8aa3b, v131 :: v_dual_add_f32 v130, v130, v156
	v_mul_f32_e32 v134, 0x3fb8aa3b, v134
	s_delay_alu instid0(VALU_DEP_2) | instskip(NEXT) | instid1(VALU_DEP_2)
	v_exp_f32_e32 v131, v131
	v_add_f32_e32 v130, v130, v139
	s_delay_alu instid0(VALU_DEP_2) | instskip(NEXT) | instid1(VALU_DEP_1)
	v_exp_f32_e32 v134, v134
	v_add_f32_e32 v130, v130, v141
	s_waitcnt_depctr 0xfff
	v_cndmask_b32_e64 v143, 0, v131, s12
	v_dual_add_f32 v130, v130, v140 :: v_dual_mul_f32 v133, 0x3fb8aa3b, v133
	s_delay_alu instid0(VALU_DEP_1) | instskip(NEXT) | instid1(VALU_DEP_2)
	v_add_f32_e32 v130, v130, v143
	v_exp_f32_e32 v133, v133
	s_delay_alu instid0(VALU_DEP_1)
	v_add_f32_e32 v130, v130, v142
	s_waitcnt_depctr 0xfff
	v_cndmask_b32_e64 v157, 0, v133, s15
	v_mul_f32_e32 v131, 0x3fb8aa3b, v135
	v_fma_f32 v135, s36, v144, -v129
	v_cndmask_b32_e64 v144, 0, v134, s16
	s_delay_alu instid0(VALU_DEP_4) | instskip(NEXT) | instid1(VALU_DEP_4)
	v_add_f32_e32 v130, v130, v157
	v_exp_f32_e32 v131, v131
	s_delay_alu instid0(VALU_DEP_1) | instskip(NEXT) | instid1(VALU_DEP_1)
	v_dual_mul_f32 v133, 0x3fb8aa3b, v135 :: v_dual_add_f32 v130, v130, v144
	v_exp_f32_e32 v133, v133
	s_waitcnt_depctr 0xfff
	v_cndmask_b32_e64 v159, 0, v131, s17
	s_delay_alu instid0(VALU_DEP_1) | instskip(SKIP_1) | instid1(VALU_DEP_1)
	v_add_f32_e32 v130, v130, v159
	v_cndmask_b32_e64 v158, 0, v133, s18
	v_add_f32_e32 v130, v130, v158
	ds_bpermute_b32 v131, v132, v130
	s_and_saveexec_b32 s4, s3
	s_cbranch_execz .LBB106_12
; %bb.11:
	v_mul_u32_u24_e32 v132, 0x44, v149
	s_delay_alu instid0(VALU_DEP_1) | instskip(SKIP_1) | instid1(VALU_DEP_1)
	v_lshl_add_u32 v132, v148, 2, v132
	s_waitcnt lgkmcnt(0)
	v_dual_add_f32 v130, v130, v131 :: v_dual_add_nc_u32 v131, 0x4000, v132
	ds_store_2addr_b32 v131, v129, v130 offset1:136
.LBB106_12:
	s_or_b32 exec_lo, exec_lo, s4
	v_lshlrev_b32_e32 v129, 2, v148
	s_load_b32 s36, s[0:1], 0x94
	s_waitcnt lgkmcnt(0)
	s_barrier
	buffer_gl0_inv
	v_add_nc_u32_e32 v135, 0x4000, v129
	v_cmp_eq_u32_e32 vcc_lo, 1, v149
	v_cmp_eq_u32_e64 s4, 2, v149
	v_cmp_eq_u32_e64 s5, 3, v149
	;; [unrolled: 1-line block ×3, first 2 shown]
	ds_load_2addr_b32 v[129:130], v135 offset1:17
	ds_load_2addr_b32 v[131:132], v135 offset0:34 offset1:51
	ds_load_2addr_b32 v[133:134], v135 offset0:68 offset1:85
	;; [unrolled: 1-line block ×3, first 2 shown]
	v_cmp_eq_u32_e64 s7, 5, v149
	v_cmp_eq_u32_e64 s8, 7, v149
	s_waitcnt lgkmcnt(3)
	v_max3_f32 v136, v129, 0xff7fffff, v130
	s_waitcnt lgkmcnt(2)
	s_delay_alu instid0(VALU_DEP_1) | instskip(SKIP_1) | instid1(VALU_DEP_1)
	v_max3_f32 v136, v136, v131, v132
	s_waitcnt lgkmcnt(1)
	v_max3_f32 v136, v136, v133, v134
	s_waitcnt lgkmcnt(0)
	s_delay_alu instid0(VALU_DEP_1) | instskip(NEXT) | instid1(VALU_DEP_1)
	v_max3_f32 v136, v136, v160, v161
	v_sub_f32_e32 v164, v132, v136
	ds_load_2addr_b32 v[162:163], v135 offset0:136 offset1:153
	v_sub_f32_e32 v129, v129, v136
	v_sub_f32_e32 v137, v130, v136
	;; [unrolled: 1-line block ×3, first 2 shown]
	v_mul_f32_e32 v164, 0x3fb8aa3b, v164
	s_delay_alu instid0(VALU_DEP_4) | instskip(NEXT) | instid1(VALU_DEP_4)
	v_mul_f32_e32 v150, 0x3fb8aa3b, v129
	v_mul_f32_e32 v137, 0x3fb8aa3b, v137
	ds_load_2addr_b32 v[129:130], v135 offset0:170 offset1:187
	v_mul_f32_e32 v167, 0x3fb8aa3b, v133
	v_exp_f32_e32 v164, v164
	v_exp_f32_e32 v150, v150
	;; [unrolled: 1-line block ×3, first 2 shown]
	v_sub_f32_e32 v131, v131, v136
	s_delay_alu instid0(VALU_DEP_1)
	v_mul_f32_e32 v165, 0x3fb8aa3b, v131
	ds_load_2addr_b32 v[131:132], v135 offset0:204 offset1:221
	s_waitcnt lgkmcnt(2)
	v_fma_f32 v137, v150, v162, 0
	v_sub_f32_e32 v162, v134, v136
	v_exp_f32_e32 v165, v165
	ds_load_2addr_b32 v[133:134], v135 offset0:238 offset1:255
	v_sub_f32_e32 v135, v160, v136
	v_dual_fmac_f32 v137, v166, v163 :: v_dual_mul_f32 v160, 0x3fb8aa3b, v162
	v_exp_f32_e32 v162, v167
	s_waitcnt lgkmcnt(0)
	s_delay_alu instid0(VALU_DEP_2)
	v_mul_f32_e32 v135, 0x3fb8aa3b, v135
	s_barrier
	v_exp_f32_e32 v160, v160
	v_fmac_f32_e32 v137, v165, v129
	v_sub_f32_e32 v129, v161, v136
	v_exp_f32_e32 v161, v135
	buffer_gl0_inv
	v_fmac_f32_e32 v137, v164, v130
	v_dual_mul_f32 v129, 0x3fb8aa3b, v129 :: v_dual_cndmask_b32 v130, v150, v166
	s_delay_alu instid0(VALU_DEP_2) | instskip(NEXT) | instid1(VALU_DEP_2)
	v_fmac_f32_e32 v137, v162, v131
	v_exp_f32_e32 v163, v129
	s_delay_alu instid0(VALU_DEP_1) | instskip(NEXT) | instid1(VALU_DEP_1)
	v_fmac_f32_e32 v137, v160, v132
	v_fmac_f32_e32 v137, v161, v133
	v_lshlrev_b32_e32 v133, 6, v148
	s_waitcnt_depctr 0xfff
	v_fmac_f32_e32 v137, v163, v134
	v_lshl_or_b32 v135, v149, 11, v133
	s_delay_alu instid0(VALU_DEP_2) | instskip(NEXT) | instid1(VALU_DEP_1)
	v_add_f32_e32 v134, 0x358637bd, v137
	v_div_scale_f32 v167, null, v134, v134, 1.0
	v_div_scale_f32 v150, vcc_lo, 1.0, v134, 1.0
	s_delay_alu instid0(VALU_DEP_2) | instskip(SKIP_2) | instid1(VALU_DEP_1)
	v_rcp_f32_e32 v168, v167
	s_waitcnt_depctr 0xfff
	v_fma_f32 v129, -v167, v168, 1.0
	v_fmac_f32_e32 v168, v129, v168
	v_cndmask_b32_e64 v129, v130, v165, s4
	v_cmp_eq_u32_e64 s4, 6, v149
	s_delay_alu instid0(VALU_DEP_3) | instskip(NEXT) | instid1(VALU_DEP_3)
	v_mul_f32_e32 v165, v150, v168
	v_cndmask_b32_e64 v130, v129, v164, s5
	v_lshlrev_b32_e32 v129, 2, v146
	s_delay_alu instid0(VALU_DEP_3) | instskip(NEXT) | instid1(VALU_DEP_3)
	v_fma_f32 v131, -v167, v165, v150
	v_cndmask_b32_e64 v162, v130, v162, s6
	s_delay_alu instid0(VALU_DEP_3)
	v_or_b32_e32 v130, 1, v129
	v_or_b32_e32 v132, 2, v129
	v_cmp_eq_u32_e64 s5, 1, v129
	v_fmac_f32_e32 v165, v131, v168
	v_cndmask_b32_e64 v149, v162, v160, s7
	v_or_b32_e32 v131, 3, v129
	v_cmp_eq_u32_e64 s10, 1, v130
	v_cmp_eq_u32_e64 s11, 1, v132
	v_fma_f32 v150, -v167, v165, v150
	v_cndmask_b32_e64 v149, v149, v161, s4
	v_cmp_eq_u32_e64 s12, 1, v131
	v_cmp_eq_u32_e64 s6, 2, v129
	;; [unrolled: 1-line block ×3, first 2 shown]
	v_div_fmas_f32 v150, v150, v168, v165
	v_cndmask_b32_e64 v149, v149, v163, s8
	v_cmp_eq_u32_e64 s16, 2, v132
	v_cmp_eq_u32_e64 s17, 2, v131
	v_cmp_eq_u32_e32 vcc_lo, 3, v129
	v_div_fixup_f32 v150, v150, v134, 1.0
	v_lshl_or_b32 v134, v146, 4, v135
	v_cmp_eq_u32_e64 s15, 3, v130
	v_cmp_eq_u32_e64 s19, 3, v131
	;; [unrolled: 1-line block ×3, first 2 shown]
	v_mul_f32_e32 v149, v149, v150
	v_cmp_eq_u32_e64 s18, 3, v132
	v_cmp_eq_u32_e64 s20, 4, v130
	;; [unrolled: 1-line block ×4, first 2 shown]
	v_fma_mixlo_f16 v160, v149, v152, 0
	v_fma_mixlo_f16 v161, v149, v154, 0
	;; [unrolled: 1-line block ×8, first 2 shown]
	v_fma_mixhi_f16 v160, v149, v151, 0
	v_fma_mixhi_f16 v161, v149, v153, 0
	;; [unrolled: 1-line block ×8, first 2 shown]
	ds_store_b128 v134, v[160:163]
	ds_store_b128 v134, v[154:157] offset:1024
	s_waitcnt lgkmcnt(0)
	s_barrier
	buffer_gl0_inv
	ds_load_b128 v[138:141], v135
	ds_load_b128 v[149:152], v135 offset:16
	ds_load_b128 v[153:156], v135 offset:1024
	ds_load_b128 v[157:160], v135 offset:1040
	v_cmp_eq_u32_e64 s21, 5, v130
	v_cmp_eq_u32_e64 s22, 4, v132
	;; [unrolled: 1-line block ×12, first 2 shown]
	s_waitcnt lgkmcnt(3)
	v_lshrrev_b32_e32 v142, 16, v138
	s_waitcnt lgkmcnt(2)
	v_lshrrev_b32_e32 v162, 16, v149
	;; [unrolled: 2-line block ×4, first 2 shown]
	v_lshrrev_b32_e32 v143, 16, v139
	v_cndmask_b32_e64 v174, v138, v142, s5
	v_cndmask_b32_e64 v175, v149, v162, s5
	;; [unrolled: 1-line block ×7, first 2 shown]
	v_lshrrev_b32_e32 v163, 16, v150
	v_cndmask_b32_e64 v179, v149, v162, s11
	v_cndmask_b32_e64 v149, v153, v166, s5
	;; [unrolled: 1-line block ×16, first 2 shown]
	v_lshrrev_b32_e32 v167, 16, v154
	v_lshrrev_b32_e32 v171, 16, v158
	v_cndmask_b32_e64 v177, v179, v150, s16
	v_cndmask_b32_e64 v142, v149, v154, s6
	;; [unrolled: 1-line block ×7, first 2 shown]
	v_cndmask_b32_e32 v157, v166, v143, vcc_lo
	v_cndmask_b32_e32 v166, v170, v163, vcc_lo
	v_cndmask_b32_e64 v170, v174, v143, s15
	v_cndmask_b32_e64 v174, v175, v163, s15
	;; [unrolled: 1-line block ×4, first 2 shown]
	v_lshrrev_b32_e32 v144, 16, v140
	v_lshrrev_b32_e32 v164, 16, v151
	v_cndmask_b32_e64 v175, v176, v143, s18
	v_cndmask_b32_e64 v176, v177, v163, s18
	v_cndmask_b32_e32 v142, v142, v167, vcc_lo
	v_cndmask_b32_e32 v143, v149, v171, vcc_lo
	v_cndmask_b32_e64 v149, v150, v167, s15
	v_cndmask_b32_e64 v150, v157, v140, s4
	;; [unrolled: 1-line block ×7, first 2 shown]
	v_lshrrev_b32_e32 v168, 16, v155
	v_cndmask_b32_e64 v170, v175, v140, s22
	v_cndmask_b32_e64 v174, v176, v151, s22
	;; [unrolled: 1-line block ×11, first 2 shown]
	v_lshrrev_b32_e32 v161, 16, v141
	v_lshrrev_b32_e32 v165, 16, v152
	v_cndmask_b32_e64 v163, v170, v144, s24
	v_cndmask_b32_e64 v166, v174, v164, s24
	;; [unrolled: 1-line block ×9, first 2 shown]
	v_lshrrev_b32_e32 v169, 16, v156
	v_cndmask_b32_e64 v140, v140, v168, s7
	v_cndmask_b32_e64 v157, v163, v141, s27
	;; [unrolled: 1-line block ×14, first 2 shown]
	v_perm_b32 v141, v139, v138, 0x5040100
	v_perm_b32 v139, v151, v149, 0x5040100
	v_cndmask_b32_e64 v138, v183, v158, s16
	v_cndmask_b32_e64 v149, v181, v158, s13
	;; [unrolled: 1-line block ×3, first 2 shown]
	v_perm_b32 v140, v152, v150, 0x5040100
	v_cndmask_b32_e64 v150, v162, v167, s18
	v_cndmask_b32_e64 v151, v153, v167, s19
	v_cndmask_b32_e64 v152, v154, v171, s19
	v_cndmask_b32_e64 v138, v138, v171, s18
	v_cndmask_b32_e64 v149, v149, v171, s15
	v_lshrrev_b32_e32 v172, 16, v159
	v_cndmask_b32_e64 v150, v150, v155, s22
	v_cndmask_b32_e64 v151, v151, v155, s23
	;; [unrolled: 1-line block ×11, first 2 shown]
	v_lshrrev_b32_e32 v173, 16, v160
	v_cndmask_b32_e64 v142, v142, v160, s8
	v_cndmask_b32_e64 v150, v150, v156, s27
	;; [unrolled: 1-line block ×12, first 2 shown]
	v_perm_b32 v138, v144, v143, 0x5040100
	v_perm_b32 v152, v152, v151, 0x5040100
	;; [unrolled: 1-line block ×5, first 2 shown]
	s_mul_i32 s8, s35, 13
	s_mov_b32 s4, exec_lo
	ds_store_b128 v134, v[138:141]
	ds_store_b128 v134, v[149:152] offset:1024
	v_cmpx_gt_u32_e32 13, v0
	s_cbranch_execz .LBB106_14
; %bb.13:
	s_mul_i32 s5, s8, s34
	s_load_b128 s[16:19], s[0:1], 0x58
	v_add3_u32 v140, s5, s33, v148
	s_delay_alu instid0(VALU_DEP_1) | instskip(NEXT) | instid1(VALU_DEP_1)
	v_mad_u64_u32 v[138:139], null, v140, s36, s[14:15]
	v_ashrrev_i32_e32 v139, 31, v138
	s_delay_alu instid0(VALU_DEP_1) | instskip(SKIP_1) | instid1(VALU_DEP_1)
	v_lshlrev_b64 v[138:139], 2, v[138:139]
	s_waitcnt lgkmcnt(0)
	v_add_co_u32 v140, vcc_lo, s18, v138
	s_delay_alu instid0(VALU_DEP_2)
	v_add_co_ci_u32_e32 v141, vcc_lo, s19, v139, vcc_lo
	v_add_co_u32 v138, vcc_lo, s16, v138
	v_add_co_ci_u32_e32 v139, vcc_lo, s17, v139, vcc_lo
	global_store_b32 v[140:141], v136, off
	global_store_b32 v[138:139], v137, off
.LBB106_14:
	s_or_b32 exec_lo, exec_lo, s4
	s_waitcnt lgkmcnt(0)
	s_waitcnt_vscnt null, 0x0
	s_barrier
	buffer_gl0_inv
	ds_load_b128 v[148:151], v133
	ds_load_b128 v[152:155], v133 offset:16
	ds_load_b128 v[160:163], v133 offset:1040
	;; [unrolled: 1-line block ×5, first 2 shown]
	v_cmp_eq_u32_e32 vcc_lo, 1, v132
	v_mov_b32_e32 v136, 0
	ds_load_b128 v[176:179], v133 offset:3088
	ds_load_b128 v[172:175], v133 offset:3072
	;; [unrolled: 1-line block ×4, first 2 shown]
	v_cmp_eq_u32_e64 s4, 1, v129
	v_cmp_eq_u32_e64 s5, 1, v131
	;; [unrolled: 1-line block ×3, first 2 shown]
	v_mov_b32_e32 v137, v136
	v_mov_b32_e32 v138, v136
	;; [unrolled: 1-line block ×7, first 2 shown]
	v_cmp_eq_u32_e64 s7, 2, v129
	s_waitcnt lgkmcnt(8)
	s_delay_alu instid0(VALU_DEP_2)
	v_wmma_f32_16x16x16_f16 v[136:143], v[121:128], v[148:155], v[136:143]
	ds_load_b128 v[125:128], v133 offset:5136
	ds_load_b128 v[121:124], v133 offset:5120
	s_waitcnt lgkmcnt(8)
	v_wmma_f32_16x16x16_f16 v[136:143], v[113:120], v[156:163], v[136:143]
	ds_load_b128 v[117:120], v133 offset:6160
	ds_load_b128 v[113:116], v133 offset:6144
	s_waitcnt lgkmcnt(8)
	;; [unrolled: 4-line block ×11, first 2 shown]
	s_barrier
	buffer_gl0_inv
	v_wmma_f32_16x16x16_f16 v[136:143], v[1:8], v[73:80], v[136:143]
	s_delay_alu instid0(VALU_DEP_1) | instskip(NEXT) | instid1(VALU_DEP_1)
	v_wmma_f32_16x16x16_f16 v[136:143], v[9:16], v[65:72], v[136:143]
	v_wmma_f32_16x16x16_f16 v[136:143], v[33:40], v[57:64], v[136:143]
	s_delay_alu instid0(VALU_DEP_1) | instskip(NEXT) | instid1(VALU_DEP_1)
	v_wmma_f32_16x16x16_f16 v[136:143], v[41:48], v[49:56], v[136:143]
	v_wmma_f32_16x16x16_f16 v[136:143], v[17:24], v[25:32], v[136:143]
	s_delay_alu instid0(VALU_DEP_1) | instskip(NEXT) | instid1(VALU_DEP_2)
	v_cvt_f16_f32_e64 v1, v136
	v_cvt_f16_f32_e64 v2, v137
	s_delay_alu instid0(VALU_DEP_3) | instskip(NEXT) | instid1(VALU_DEP_4)
	v_cvt_f16_f32_e64 v3, v138
	v_cvt_f16_f32_e64 v4, v139
	;; [unrolled: 1-line block ×6, first 2 shown]
	v_pack_b32_f16 v1, v1, v2
	v_pack_b32_f16 v2, v3, v4
	v_pack_b32_f16 v3, v5, v6
	s_delay_alu instid0(VALU_DEP_4)
	v_pack_b32_f16 v4, v7, v8
	ds_store_b128 v134, v[1:4]
	s_waitcnt lgkmcnt(0)
	s_barrier
	buffer_gl0_inv
	ds_load_b128 v[1:4], v135
	ds_load_b128 v[5:8], v135 offset:16
	s_waitcnt lgkmcnt(1)
	v_lshrrev_b32_e32 v9, 16, v1
	s_waitcnt lgkmcnt(0)
	v_lshrrev_b32_e32 v13, 16, v5
	v_lshrrev_b32_e32 v10, 16, v2
	;; [unrolled: 1-line block ×4, first 2 shown]
	v_cndmask_b32_e64 v17, v1, v9, s4
	v_cndmask_b32_e64 v18, v5, v13, s4
	;; [unrolled: 1-line block ×3, first 2 shown]
	v_cmp_eq_u32_e64 s4, 2, v130
	v_cndmask_b32_e64 v20, v5, v13, s6
	v_cndmask_b32_e32 v21, v1, v9, vcc_lo
	v_cndmask_b32_e32 v22, v5, v13, vcc_lo
	v_cndmask_b32_e64 v1, v1, v9, s5
	v_cndmask_b32_e64 v5, v5, v13, s5
	v_cmp_eq_u32_e32 vcc_lo, 2, v132
	v_cmp_eq_u32_e64 s5, 2, v131
	v_cndmask_b32_e64 v9, v17, v2, s7
	v_cndmask_b32_e64 v13, v18, v6, s7
	;; [unrolled: 1-line block ×4, first 2 shown]
	v_cndmask_b32_e32 v19, v21, v2, vcc_lo
	v_cmp_eq_u32_e64 s4, 3, v132
	v_cndmask_b32_e32 v20, v22, v6, vcc_lo
	v_cndmask_b32_e64 v1, v1, v2, s5
	v_cmp_eq_u32_e32 vcc_lo, 3, v131
	v_cmp_eq_u32_e64 s6, 3, v129
	v_cndmask_b32_e64 v2, v5, v6, s5
	v_cmp_eq_u32_e64 s5, 3, v130
	v_cmp_eq_u32_e64 s7, 4, v129
	v_cndmask_b32_e32 v1, v1, v10, vcc_lo
	v_cndmask_b32_e64 v5, v9, v10, s6
	v_cndmask_b32_e64 v6, v13, v14, s6
	;; [unrolled: 1-line block ×3, first 2 shown]
	v_cmp_eq_u32_e64 s6, 4, v130
	v_cndmask_b32_e64 v13, v18, v14, s5
	v_cndmask_b32_e64 v17, v19, v10, s4
	v_cndmask_b32_e64 v18, v20, v14, s4
	v_cndmask_b32_e32 v2, v2, v14, vcc_lo
	v_cmp_eq_u32_e32 vcc_lo, 4, v132
	v_cmp_eq_u32_e64 s5, 4, v131
	v_lshrrev_b32_e32 v15, 16, v7
	v_cndmask_b32_e64 v5, v5, v3, s7
	v_cndmask_b32_e64 v6, v6, v7, s7
	v_cndmask_b32_e32 v14, v18, v7, vcc_lo
	v_cndmask_b32_e64 v9, v9, v3, s6
	v_cndmask_b32_e64 v10, v13, v7, s6
	v_cndmask_b32_e32 v13, v17, v3, vcc_lo
	v_cmp_eq_u32_e64 s4, 5, v132
	v_cndmask_b32_e64 v1, v1, v3, s5
	v_cmp_eq_u32_e32 vcc_lo, 5, v131
	v_cmp_eq_u32_e64 s6, 5, v129
	v_cndmask_b32_e64 v2, v2, v7, s5
	v_cmp_eq_u32_e64 s5, 5, v130
	v_cmp_eq_u32_e64 s7, 6, v129
	v_lshrrev_b32_e32 v12, 16, v4
	v_cndmask_b32_e64 v3, v5, v11, s6
	v_cndmask_b32_e64 v5, v6, v15, s6
	;; [unrolled: 1-line block ×3, first 2 shown]
	v_cmp_eq_u32_e64 s6, 6, v130
	v_cndmask_b32_e64 v7, v10, v15, s5
	v_cndmask_b32_e64 v9, v13, v11, s4
	;; [unrolled: 1-line block ×3, first 2 shown]
	v_cndmask_b32_e32 v1, v1, v11, vcc_lo
	v_cndmask_b32_e32 v2, v2, v15, vcc_lo
	v_cmp_eq_u32_e32 vcc_lo, 6, v132
	v_cmp_eq_u32_e64 s4, 6, v131
	v_lshrrev_b32_e32 v16, 16, v8
	v_cndmask_b32_e64 v3, v3, v4, s7
	v_cndmask_b32_e64 v5, v5, v8, s7
	v_cndmask_b32_e32 v9, v9, v4, vcc_lo
	v_cndmask_b32_e64 v6, v6, v4, s6
	v_cndmask_b32_e64 v7, v7, v8, s6
	v_cmp_eq_u32_e64 s5, 7, v132
	v_cndmask_b32_e32 v10, v10, v8, vcc_lo
	v_cndmask_b32_e64 v1, v1, v4, s4
	v_cmp_eq_u32_e32 vcc_lo, 7, v131
	v_cndmask_b32_e64 v2, v2, v8, s4
	v_cmp_eq_u32_e64 s4, 7, v129
	v_cmp_eq_u32_e64 s6, 7, v130
	v_cndmask_b32_e32 v1, v1, v12, vcc_lo
	s_delay_alu instid0(VALU_DEP_4) | instskip(NEXT) | instid1(VALU_DEP_4)
	v_cndmask_b32_e32 v2, v2, v16, vcc_lo
	v_cndmask_b32_e64 v8, v3, v12, s4
	s_delay_alu instid0(VALU_DEP_4)
	v_cndmask_b32_e64 v6, v6, v12, s6
	v_cndmask_b32_e64 v3, v9, v12, s5
	;; [unrolled: 1-line block ×5, first 2 shown]
	v_cmp_gt_u32_e32 vcc_lo, 32, v0
	v_perm_b32 v4, v2, v1, 0x5040100
	v_perm_b32 v3, v9, v3, 0x5040100
	;; [unrolled: 1-line block ×4, first 2 shown]
	s_and_b32 s2, vcc_lo, s2
	ds_store_b128 v134, v[1:4]
	s_waitcnt lgkmcnt(0)
	s_barrier
	buffer_gl0_inv
	s_and_saveexec_b32 s4, s2
	s_cbranch_execz .LBB106_2
; %bb.15:
	s_load_b64 s[4:5], s[0:1], 0x68
	v_lshlrev_b32_e32 v0, 10, v0
	v_lshlrev_b32_e32 v1, 4, v147
	s_lshl_b32 s0, s36, 6
	v_add_nc_u32_e32 v18, s33, v146
	s_mul_i32 s1, s0, s34
	s_delay_alu instid0(VALU_DEP_2) | instskip(SKIP_1) | instid1(VALU_DEP_2)
	v_and_or_b32 v0, 0x3800, v0, v1
	s_mul_i32 s6, s1, s8
	v_mul_lo_u32 v1, v18, s0
	s_ashr_i32 s7, s6, 31
	v_add_nc_u32_e32 v2, 2, v18
	v_lshl_or_b32 v19, v146, 6, v0
	s_lshl_b64 s[6:7], s[6:7], 1
	v_add_nc_u32_e32 v8, 4, v18
	v_add_nc_u32_e32 v15, 6, v18
	v_mul_lo_u32 v7, v2, s0
	ds_load_b128 v[3:6], v19
	v_ashrrev_i32_e32 v2, 31, v1
	v_mul_lo_u32 v11, v8, s0
	s_waitcnt lgkmcnt(0)
	s_add_u32 s1, s4, s6
	s_addc_u32 s2, s5, s7
	s_lshl_b32 s4, s14, 6
	v_lshlrev_b64 v[9:10], 1, v[1:2]
	s_ashr_i32 s5, s4, 31
	v_ashrrev_i32_e32 v8, 31, v7
	s_lshl_b64 s[4:5], s[4:5], 1
	v_ashrrev_i32_e32 v12, 31, v11
	s_add_u32 s1, s1, s4
	s_addc_u32 s2, s2, s5
	v_add_co_u32 v1, s1, s1, v145
	s_delay_alu instid0(VALU_DEP_1) | instskip(SKIP_1) | instid1(VALU_DEP_3)
	v_add_co_ci_u32_e64 v2, null, s2, 0, s1
	v_mul_lo_u32 v15, v15, s0
	v_add_co_u32 v13, vcc_lo, v1, v9
	s_delay_alu instid0(VALU_DEP_3)
	v_add_co_ci_u32_e32 v14, vcc_lo, v2, v10, vcc_lo
	v_lshlrev_b64 v[16:17], 1, v[7:8]
	ds_load_b128 v[7:10], v19 offset:128
	global_store_b128 v[13:14], v[3:6], off
	v_add_nc_u32_e32 v5, 8, v18
	v_lshlrev_b64 v[3:4], 1, v[11:12]
	v_add_co_u32 v23, vcc_lo, v1, v16
	v_ashrrev_i32_e32 v16, 31, v15
	s_delay_alu instid0(VALU_DEP_4) | instskip(SKIP_3) | instid1(VALU_DEP_3)
	v_mul_lo_u32 v25, v5, s0
	v_add_nc_u32_e32 v5, 10, v18
	v_add_co_ci_u32_e32 v24, vcc_lo, v2, v17, vcc_lo
	v_add_co_u32 v27, vcc_lo, v1, v3
	v_mul_lo_u32 v29, v5, s0
	v_add_co_ci_u32_e32 v28, vcc_lo, v2, v4, vcc_lo
	v_lshlrev_b64 v[31:32], 1, v[15:16]
	ds_load_b128 v[3:6], v19 offset:256
	ds_load_b128 v[11:14], v19 offset:384
	ds_load_b128 v[15:18], v19 offset:512
	ds_load_b128 v[19:22], v19 offset:640
	v_ashrrev_i32_e32 v26, 31, v25
	v_ashrrev_i32_e32 v30, 31, v29
	v_add_co_u32 v31, vcc_lo, v1, v31
	s_delay_alu instid0(VALU_DEP_3) | instskip(SKIP_1) | instid1(VALU_DEP_4)
	v_lshlrev_b64 v[25:26], 1, v[25:26]
	v_add_co_ci_u32_e32 v32, vcc_lo, v2, v32, vcc_lo
	v_lshlrev_b64 v[29:30], 1, v[29:30]
	s_delay_alu instid0(VALU_DEP_3) | instskip(NEXT) | instid1(VALU_DEP_4)
	v_add_co_u32 v25, vcc_lo, v1, v25
	v_add_co_ci_u32_e32 v26, vcc_lo, v2, v26, vcc_lo
	s_delay_alu instid0(VALU_DEP_3) | instskip(NEXT) | instid1(VALU_DEP_4)
	v_add_co_u32 v29, vcc_lo, v1, v29
	v_add_co_ci_u32_e32 v30, vcc_lo, v2, v30, vcc_lo
	s_waitcnt lgkmcnt(4)
	global_store_b128 v[23:24], v[7:10], off
	s_waitcnt lgkmcnt(3)
	global_store_b128 v[27:28], v[3:6], off
	;; [unrolled: 2-line block ×5, first 2 shown]
	s_and_b32 exec_lo, exec_lo, s3
	s_cbranch_execz .LBB106_2
; %bb.16:
	ds_load_b128 v[3:6], v0 offset:768
	s_add_i32 s1, s33, 12
	s_delay_alu instid0(SALU_CYCLE_1) | instskip(NEXT) | instid1(SALU_CYCLE_1)
	s_mul_i32 s0, s1, s0
	s_ashr_i32 s1, s0, 31
	s_delay_alu instid0(SALU_CYCLE_1) | instskip(NEXT) | instid1(SALU_CYCLE_1)
	s_lshl_b64 s[0:1], s[0:1], 1
	v_add_co_u32 v0, vcc_lo, v1, s0
	v_add_co_ci_u32_e32 v1, vcc_lo, s1, v2, vcc_lo
	s_waitcnt lgkmcnt(0)
	global_store_b128 v[0:1], v[3:6], off
	s_nop 0
	s_sendmsg sendmsg(MSG_DEALLOC_VGPRS)
	s_endpgm
	.section	.rodata,"a",@progbits
	.p2align	6, 0x0
	.amdhsa_kernel _Z39paged_attention_ll4mi_QKV_mfma16_kernelIDF16_DF16_LN4vllm18Fp8KVCacheDataTypeE0EDF16_Li16ELi64ELi256ELb0ELi13EL8MFMAType0EEvPKT_PKT0_S8_ifPKiSA_SA_iPKfiiiPfSD_PS3_PT2_iSC_SC_
		.amdhsa_group_segment_fixed_size 17472
		.amdhsa_private_segment_fixed_size 0
		.amdhsa_kernarg_size 400
		.amdhsa_user_sgpr_count 13
		.amdhsa_user_sgpr_dispatch_ptr 0
		.amdhsa_user_sgpr_queue_ptr 0
		.amdhsa_user_sgpr_kernarg_segment_ptr 1
		.amdhsa_user_sgpr_dispatch_id 0
		.amdhsa_user_sgpr_private_segment_size 0
		.amdhsa_wavefront_size32 1
		.amdhsa_uses_dynamic_stack 0
		.amdhsa_enable_private_segment 0
		.amdhsa_system_sgpr_workgroup_id_x 1
		.amdhsa_system_sgpr_workgroup_id_y 1
		.amdhsa_system_sgpr_workgroup_id_z 1
		.amdhsa_system_sgpr_workgroup_info 0
		.amdhsa_system_vgpr_workitem_id 0
		.amdhsa_next_free_vgpr 198
		.amdhsa_next_free_sgpr 52
		.amdhsa_reserve_vcc 1
		.amdhsa_float_round_mode_32 0
		.amdhsa_float_round_mode_16_64 0
		.amdhsa_float_denorm_mode_32 3
		.amdhsa_float_denorm_mode_16_64 3
		.amdhsa_dx10_clamp 1
		.amdhsa_ieee_mode 1
		.amdhsa_fp16_overflow 0
		.amdhsa_workgroup_processor_mode 1
		.amdhsa_memory_ordered 1
		.amdhsa_forward_progress 0
		.amdhsa_shared_vgpr_count 0
		.amdhsa_exception_fp_ieee_invalid_op 0
		.amdhsa_exception_fp_denorm_src 0
		.amdhsa_exception_fp_ieee_div_zero 0
		.amdhsa_exception_fp_ieee_overflow 0
		.amdhsa_exception_fp_ieee_underflow 0
		.amdhsa_exception_fp_ieee_inexact 0
		.amdhsa_exception_int_div_zero 0
	.end_amdhsa_kernel
	.section	.text._Z39paged_attention_ll4mi_QKV_mfma16_kernelIDF16_DF16_LN4vllm18Fp8KVCacheDataTypeE0EDF16_Li16ELi64ELi256ELb0ELi13EL8MFMAType0EEvPKT_PKT0_S8_ifPKiSA_SA_iPKfiiiPfSD_PS3_PT2_iSC_SC_,"axG",@progbits,_Z39paged_attention_ll4mi_QKV_mfma16_kernelIDF16_DF16_LN4vllm18Fp8KVCacheDataTypeE0EDF16_Li16ELi64ELi256ELb0ELi13EL8MFMAType0EEvPKT_PKT0_S8_ifPKiSA_SA_iPKfiiiPfSD_PS3_PT2_iSC_SC_,comdat
.Lfunc_end106:
	.size	_Z39paged_attention_ll4mi_QKV_mfma16_kernelIDF16_DF16_LN4vllm18Fp8KVCacheDataTypeE0EDF16_Li16ELi64ELi256ELb0ELi13EL8MFMAType0EEvPKT_PKT0_S8_ifPKiSA_SA_iPKfiiiPfSD_PS3_PT2_iSC_SC_, .Lfunc_end106-_Z39paged_attention_ll4mi_QKV_mfma16_kernelIDF16_DF16_LN4vllm18Fp8KVCacheDataTypeE0EDF16_Li16ELi64ELi256ELb0ELi13EL8MFMAType0EEvPKT_PKT0_S8_ifPKiSA_SA_iPKfiiiPfSD_PS3_PT2_iSC_SC_
                                        ; -- End function
	.section	.AMDGPU.csdata,"",@progbits
; Kernel info:
; codeLenInByte = 8068
; NumSgprs: 54
; NumVgprs: 198
; ScratchSize: 0
; MemoryBound: 0
; FloatMode: 240
; IeeeMode: 1
; LDSByteSize: 17472 bytes/workgroup (compile time only)
; SGPRBlocks: 6
; VGPRBlocks: 24
; NumSGPRsForWavesPerEU: 54
; NumVGPRsForWavesPerEU: 198
; Occupancy: 7
; WaveLimiterHint : 1
; COMPUTE_PGM_RSRC2:SCRATCH_EN: 0
; COMPUTE_PGM_RSRC2:USER_SGPR: 13
; COMPUTE_PGM_RSRC2:TRAP_HANDLER: 0
; COMPUTE_PGM_RSRC2:TGID_X_EN: 1
; COMPUTE_PGM_RSRC2:TGID_Y_EN: 1
; COMPUTE_PGM_RSRC2:TGID_Z_EN: 1
; COMPUTE_PGM_RSRC2:TIDIG_COMP_CNT: 0
	.section	.text._Z39paged_attention_ll4mi_QKV_mfma16_kernelIDF16_DF16_LN4vllm18Fp8KVCacheDataTypeE0EDF16_Li16ELi64ELi256ELb0ELi14EL8MFMAType0EEvPKT_PKT0_S8_ifPKiSA_SA_iPKfiiiPfSD_PS3_PT2_iSC_SC_,"axG",@progbits,_Z39paged_attention_ll4mi_QKV_mfma16_kernelIDF16_DF16_LN4vllm18Fp8KVCacheDataTypeE0EDF16_Li16ELi64ELi256ELb0ELi14EL8MFMAType0EEvPKT_PKT0_S8_ifPKiSA_SA_iPKfiiiPfSD_PS3_PT2_iSC_SC_,comdat
	.protected	_Z39paged_attention_ll4mi_QKV_mfma16_kernelIDF16_DF16_LN4vllm18Fp8KVCacheDataTypeE0EDF16_Li16ELi64ELi256ELb0ELi14EL8MFMAType0EEvPKT_PKT0_S8_ifPKiSA_SA_iPKfiiiPfSD_PS3_PT2_iSC_SC_ ; -- Begin function _Z39paged_attention_ll4mi_QKV_mfma16_kernelIDF16_DF16_LN4vllm18Fp8KVCacheDataTypeE0EDF16_Li16ELi64ELi256ELb0ELi14EL8MFMAType0EEvPKT_PKT0_S8_ifPKiSA_SA_iPKfiiiPfSD_PS3_PT2_iSC_SC_
	.globl	_Z39paged_attention_ll4mi_QKV_mfma16_kernelIDF16_DF16_LN4vllm18Fp8KVCacheDataTypeE0EDF16_Li16ELi64ELi256ELb0ELi14EL8MFMAType0EEvPKT_PKT0_S8_ifPKiSA_SA_iPKfiiiPfSD_PS3_PT2_iSC_SC_
	.p2align	8
	.type	_Z39paged_attention_ll4mi_QKV_mfma16_kernelIDF16_DF16_LN4vllm18Fp8KVCacheDataTypeE0EDF16_Li16ELi64ELi256ELb0ELi14EL8MFMAType0EEvPKT_PKT0_S8_ifPKiSA_SA_iPKfiiiPfSD_PS3_PT2_iSC_SC_,@function
_Z39paged_attention_ll4mi_QKV_mfma16_kernelIDF16_DF16_LN4vllm18Fp8KVCacheDataTypeE0EDF16_Li16ELi64ELi256ELb0ELi14EL8MFMAType0EEvPKT_PKT0_S8_ifPKiSA_SA_iPKfiiiPfSD_PS3_PT2_iSC_SC_: ; @_Z39paged_attention_ll4mi_QKV_mfma16_kernelIDF16_DF16_LN4vllm18Fp8KVCacheDataTypeE0EDF16_Li16ELi64ELi256ELb0ELi14EL8MFMAType0EEvPKT_PKT0_S8_ifPKiSA_SA_iPKfiiiPfSD_PS3_PT2_iSC_SC_
; %bb.0:
	s_load_b64 s[2:3], s[0:1], 0x30
	s_mov_b32 s34, s13
	s_waitcnt lgkmcnt(0)
	s_cmp_lg_u64 s[2:3], 0
	s_cselect_b32 s6, -1, 0
	s_ashr_i32 s35, s13, 31
	s_cmp_eq_u64 s[2:3], 0
	s_cbranch_scc1 .LBB107_3
; %bb.1:
	s_lshl_b64 s[4:5], s[34:35], 2
	s_delay_alu instid0(SALU_CYCLE_1) | instskip(SKIP_4) | instid1(SALU_CYCLE_1)
	s_add_u32 s4, s2, s4
	s_addc_u32 s5, s3, s5
	s_load_b64 s[4:5], s[4:5], 0x0
	s_waitcnt lgkmcnt(0)
	s_sub_i32 s4, s5, s4
	s_cmp_eq_u32 s4, 1
	s_cselect_b32 s4, -1, 0
	s_delay_alu instid0(SALU_CYCLE_1)
	s_and_not1_b32 vcc_lo, exec_lo, s4
	s_cbranch_vccz .LBB107_4
.LBB107_2:
	s_endpgm
.LBB107_3:
.LBB107_4:
	s_load_b64 s[8:9], s[0:1], 0x28
	s_lshl_b64 s[4:5], s[34:35], 2
	s_waitcnt lgkmcnt(0)
	s_add_u32 s8, s8, s4
	s_addc_u32 s9, s9, s5
	s_lshl_b32 s35, s14, 8
	s_load_b32 s30, s[8:9], 0x0
	s_waitcnt lgkmcnt(0)
	s_cmp_ge_i32 s35, s30
	s_cbranch_scc1 .LBB107_2
; %bb.5:
	s_clause 0x1
	s_load_b128 s[8:11], s[0:1], 0x8
	s_load_b64 s[12:13], s[0:1], 0x20
	s_and_not1_b32 vcc_lo, exec_lo, s6
	s_cbranch_vccnz .LBB107_7
; %bb.6:
	s_add_u32 s2, s2, s4
	s_addc_u32 s3, s3, s5
	s_load_b32 s3, s[2:3], 0x0
	s_branch .LBB107_8
.LBB107_7:
	s_mov_b32 s3, s34
.LBB107_8:
	s_load_b128 s[4:7], s[0:1], 0x48
	v_and_b32_e32 v148, 15, v0
	v_cmp_gt_u32_e32 vcc_lo, 0xe0, v0
	v_lshrrev_b32_e32 v149, 5, v0
	v_and_b32_e32 v150, 31, v0
	v_and_b32_e32 v147, 1, v0
	v_lshlrev_b32_e32 v1, 3, v148
	v_cmp_gt_u32_e64 s2, 8, v148
	v_bfe_u32 v146, v0, 4, 1
	s_mul_i32 s31, s15, 14
	s_delay_alu instid0(VALU_DEP_3) | instskip(NEXT) | instid1(VALU_DEP_3)
	v_lshlrev_b32_e32 v145, 1, v1
	s_and_b32 s16, vcc_lo, s2
	s_waitcnt lgkmcnt(0)
	s_and_saveexec_b32 s7, s16
	s_cbranch_execz .LBB107_10
; %bb.9:
	s_load_b64 s[16:17], s[0:1], 0x0
	v_lshl_or_b32 v5, v149, 1, v146
	s_mul_hi_i32 s19, s3, s4
	s_mul_i32 s18, s3, s4
	v_lshlrev_b32_e32 v6, 10, v148
	s_lshl_b64 s[18:19], s[18:19], 1
	v_add_lshl_u32 v1, v5, s31, 6
	v_lshlrev_b32_e32 v5, 6, v5
	v_lshlrev_b32_e32 v7, 10, v147
	v_and_b32_e32 v6, 0x3800, v6
	s_delay_alu instid0(VALU_DEP_4) | instskip(NEXT) | instid1(VALU_DEP_2)
	v_ashrrev_i32_e32 v2, 31, v1
	v_or3_b32 v5, v6, v7, v5
	s_delay_alu instid0(VALU_DEP_2) | instskip(SKIP_3) | instid1(VALU_DEP_1)
	v_lshlrev_b64 v[1:2], 1, v[1:2]
	s_waitcnt lgkmcnt(0)
	s_add_u32 s3, s16, s18
	s_addc_u32 s4, s17, s19
	v_add_co_u32 v1, vcc_lo, s3, v1
	s_delay_alu instid0(VALU_DEP_2) | instskip(NEXT) | instid1(VALU_DEP_2)
	v_add_co_ci_u32_e32 v2, vcc_lo, s4, v2, vcc_lo
	v_add_co_u32 v1, vcc_lo, v1, v145
	s_delay_alu instid0(VALU_DEP_2)
	v_add_co_ci_u32_e32 v2, vcc_lo, 0, v2, vcc_lo
	global_load_b128 v[1:4], v[1:2], off
	s_waitcnt vmcnt(0)
	ds_store_b128 v5, v[1:4]
.LBB107_10:
	s_or_b32 exec_lo, exec_lo, s7
	s_mov_b32 s40, 0
	s_add_i32 s3, s30, 15
	s_mov_b32 s41, s40
	s_mov_b32 s42, s40
	;; [unrolled: 1-line block ×7, first 2 shown]
	s_delay_alu instid0(SALU_CYCLE_1)
	v_dual_mov_b32 v144, s47 :: v_dual_and_b32 v1, 0xef, v0
	v_mov_b32_e32 v142, s45
	s_ashr_i32 s7, s3, 31
	s_clause 0x1
	s_load_b32 s4, s[0:1], 0x38
	s_load_b32 s33, s[0:1], 0x98
	v_add_nc_u32_e32 v1, s35, v1
	s_lshr_b32 s7, s7, 28
	s_load_b32 s36, s[0:1], 0x1c
	s_add_i32 s3, s3, s7
	s_waitcnt lgkmcnt(0)
	v_ashrrev_i32_e32 v2, 31, v1
	v_or_b32_e32 v3, 16, v1
	s_ashr_i32 s3, s3, 4
	v_cmp_gt_i32_e32 vcc_lo, s30, v1
	s_add_i32 s3, s3, -1
	v_lshrrev_b32_e32 v2, 28, v2
	v_mov_b32_e32 v143, s46
	s_barrier
	buffer_gl0_inv
	s_mul_i32 s6, s15, s6
	v_dual_mov_b32 v141, s44 :: v_dual_add_nc_u32 v4, v1, v2
	v_mov_b32_e32 v139, s42
	s_mul_i32 s16, s34, s4
	v_mov_b32_e32 v137, s40
	s_delay_alu instid0(VALU_DEP_3)
	v_ashrrev_i32_e32 v4, 4, v4
	v_add_nc_u32_e32 v2, v3, v2
	s_ashr_i32 s17, s16, 31
	v_mov_b32_e32 v140, s43
	s_lshl_b64 s[16:17], s[16:17], 2
	v_cndmask_b32_e32 v1, s3, v4, vcc_lo
	v_ashrrev_i32_e32 v2, 4, v2
	v_cmp_gt_i32_e32 vcc_lo, s30, v3
	s_add_u32 s4, s12, s16
	s_addc_u32 s37, s13, s17
	s_ashr_i32 s7, s6, 31
	v_mov_b32_e32 v138, s41
	v_cndmask_b32_e32 v3, s3, v2, vcc_lo
	v_ashrrev_i32_e32 v2, 31, v1
	s_lshl_b64 s[6:7], s[6:7], 1
	s_delay_alu instid0(SALU_CYCLE_1) | instskip(NEXT) | instid1(VALU_DEP_2)
	s_add_u32 s24, s8, s6
	v_ashrrev_i32_e32 v4, 31, v3
	s_delay_alu instid0(VALU_DEP_2) | instskip(SKIP_2) | instid1(VALU_DEP_2)
	v_lshlrev_b64 v[1:2], 2, v[1:2]
	s_addc_u32 s25, s9, s7
	s_lshl_b32 s8, s14, 4
	v_lshlrev_b64 v[3:4], 2, v[3:4]
	s_ashr_i32 s9, s8, 31
	s_delay_alu instid0(VALU_DEP_2) | instskip(SKIP_1) | instid1(VALU_DEP_3)
	v_add_co_u32 v1, vcc_lo, s4, v1
	v_add_co_ci_u32_e32 v2, vcc_lo, s37, v2, vcc_lo
	v_add_co_u32 v3, vcc_lo, s4, v3
	s_delay_alu instid0(VALU_DEP_4)
	v_add_co_ci_u32_e32 v4, vcc_lo, s37, v4, vcc_lo
	s_clause 0x1
	global_load_b32 v5, v[1:2], off
	global_load_b32 v6, v[3:4], off
	s_lshl_b64 s[8:9], s[8:9], 2
	v_lshlrev_b32_e32 v3, 4, v0
	s_add_u32 s8, s4, s8
	s_addc_u32 s9, s37, s9
	s_or_b32 s12, s35, 16
	s_delay_alu instid0(SALU_CYCLE_1) | instskip(SKIP_2) | instid1(SALU_CYCLE_1)
	s_ashr_i32 s13, s12, 4
	s_cmp_lt_i32 s12, s30
	s_cselect_b32 s12, s13, s3
	s_ashr_i32 s13, s12, 31
	s_delay_alu instid0(SALU_CYCLE_1) | instskip(NEXT) | instid1(SALU_CYCLE_1)
	s_lshl_b64 s[12:13], s[12:13], 2
	s_add_u32 s12, s4, s12
	s_addc_u32 s13, s37, s13
	s_or_b32 s15, s35, 32
	s_delay_alu instid0(SALU_CYCLE_1) | instskip(SKIP_2) | instid1(SALU_CYCLE_1)
	s_ashr_i32 s16, s15, 4
	s_cmp_lt_i32 s15, s30
	s_cselect_b32 s16, s16, s3
	s_ashr_i32 s17, s16, 31
	s_delay_alu instid0(SALU_CYCLE_1) | instskip(NEXT) | instid1(SALU_CYCLE_1)
	s_lshl_b64 s[16:17], s[16:17], 2
	;; [unrolled: 10-line block ×5, first 2 shown]
	s_add_u32 s22, s4, s22
	s_addc_u32 s23, s37, s23
	s_clause 0x5
	s_load_b32 s8, s[8:9], 0x0
	s_load_b32 s12, s[12:13], 0x0
	;; [unrolled: 1-line block ×6, first 2 shown]
	s_waitcnt lgkmcnt(0)
	s_mul_hi_i32 s17, s16, s5
	s_mul_i32 s16, s16, s5
	s_waitcnt vmcnt(1)
	v_mad_i64_i32 v[1:2], null, v5, s5, 0
	v_and_b32_e32 v5, 0xf0, v3
	s_waitcnt vmcnt(0)
	v_mad_i64_i32 v[3:4], null, v6, s5, 0
	s_delay_alu instid0(VALU_DEP_2) | instskip(NEXT) | instid1(VALU_DEP_4)
	v_add_co_u32 v7, s9, s24, v5
	v_lshlrev_b64 v[1:2], 1, v[1:2]
	v_add_co_ci_u32_e64 v8, null, s25, 0, s9
	s_delay_alu instid0(VALU_DEP_4) | instskip(SKIP_1) | instid1(VALU_DEP_3)
	v_lshlrev_b64 v[5:6], 1, v[3:4]
	s_or_b32 s9, s35, 0x60
	v_add_co_u32 v3, vcc_lo, v7, v1
	s_delay_alu instid0(VALU_DEP_3) | instskip(NEXT) | instid1(VALU_DEP_3)
	v_add_co_ci_u32_e32 v4, vcc_lo, v8, v2, vcc_lo
	v_add_co_u32 v1, vcc_lo, v7, v5
	s_delay_alu instid0(VALU_DEP_4)
	v_add_co_ci_u32_e32 v2, vcc_lo, v8, v6, vcc_lo
	s_clause 0x9
	global_load_b128 v[9:12], v[3:4], off
	global_load_b128 v[13:16], v[3:4], off offset:256
	global_load_b128 v[129:132], v[1:2], off
	global_load_b128 v[133:136], v[1:2], off offset:256
	global_load_b128 v[41:44], v[3:4], off offset:512
	;; [unrolled: 1-line block ×7, first 2 shown]
	v_add_nc_u32_e32 v5, -14, v148
	v_cmp_gt_u32_e32 vcc_lo, 14, v148
	s_clause 0x1
	global_load_b128 v[151:154], v[1:2], off offset:1024
	global_load_b128 v[155:158], v[1:2], off offset:1280
	s_ashr_i32 s13, s9, 4
	s_cmp_lt_i32 s9, s30
	v_lshlrev_b32_e32 v6, 5, v148
	v_cndmask_b32_e32 v5, v5, v148, vcc_lo
	s_cselect_b32 s22, s13, s3
	s_delay_alu instid0(SALU_CYCLE_1) | instskip(NEXT) | instid1(VALU_DEP_2)
	s_ashr_i32 s23, s22, 31
	v_lshl_or_b32 v6, v149, 9, v6
	s_delay_alu instid0(VALU_DEP_2)
	v_lshlrev_b32_e32 v197, 6, v5
	ds_load_b128 v[159:162], v197
	ds_load_b128 v[163:166], v197 offset:1024
	s_clause 0x3
	global_load_b128 v[167:170], v[3:4], off offset:1536
	global_load_b128 v[171:174], v[3:4], off offset:1792
	global_load_b128 v[175:178], v[1:2], off offset:1536
	global_load_b128 v[179:182], v[1:2], off offset:1792
	s_lshl_b64 s[22:23], s[22:23], 2
	s_delay_alu instid0(SALU_CYCLE_1)
	s_add_u32 s22, s4, s22
	s_addc_u32 s23, s37, s23
	s_or_b32 s9, s35, 0x70
	s_load_b32 s46, s[22:23], 0x0
	s_ashr_i32 s13, s9, 4
	s_cmp_lt_i32 s9, s30
	s_cselect_b32 s24, s13, s3
	s_delay_alu instid0(SALU_CYCLE_1) | instskip(NEXT) | instid1(SALU_CYCLE_1)
	s_ashr_i32 s25, s24, 31
	s_lshl_b64 s[24:25], s[24:25], 2
	s_delay_alu instid0(SALU_CYCLE_1)
	s_add_u32 s24, s4, s24
	s_addc_u32 s25, s37, s25
	s_or_b32 s9, s35, 0x80
	s_load_b32 s47, s[24:25], 0x0
	s_ashr_i32 s13, s9, 4
	s_cmp_lt_i32 s9, s30
	s_cselect_b32 s26, s13, s3
	s_delay_alu instid0(SALU_CYCLE_1) | instskip(NEXT) | instid1(SALU_CYCLE_1)
	s_ashr_i32 s27, s26, 31
	;; [unrolled: 11-line block ×3, first 2 shown]
	s_lshl_b64 s[28:29], s[28:29], 2
	s_delay_alu instid0(SALU_CYCLE_1) | instskip(SKIP_2) | instid1(SALU_CYCLE_1)
	s_add_u32 s28, s4, s28
	s_addc_u32 s29, s37, s29
	s_or_b32 s9, s35, 0xa0
	s_ashr_i32 s13, s9, 4
	s_cmp_lt_i32 s9, s30
	s_cselect_b32 s38, s13, s3
	s_delay_alu instid0(SALU_CYCLE_1) | instskip(NEXT) | instid1(SALU_CYCLE_1)
	s_ashr_i32 s39, s38, 31
	s_lshl_b64 s[38:39], s[38:39], 2
	s_delay_alu instid0(SALU_CYCLE_1) | instskip(SKIP_2) | instid1(SALU_CYCLE_1)
	s_add_u32 s38, s4, s38
	s_addc_u32 s39, s37, s39
	s_or_b32 s9, s35, 0xb0
	s_ashr_i32 s13, s9, 4
	s_cmp_lt_i32 s9, s30
	s_mul_hi_i32 s9, s8, s5
	s_cselect_b32 s40, s13, s3
	s_mul_i32 s8, s8, s5
	s_ashr_i32 s41, s40, 31
	s_mul_hi_i32 s13, s12, s5
	s_lshl_b64 s[40:41], s[40:41], 2
	s_mul_i32 s12, s12, s5
	s_add_u32 s42, s4, s40
	s_addc_u32 s43, s37, s41
	s_or_b32 s19, s35, 0xc0
	s_delay_alu instid0(SALU_CYCLE_1)
	s_ashr_i32 s21, s19, 4
	s_cmp_lt_i32 s19, s30
	s_mul_hi_i32 s19, s18, s5
	s_cselect_b32 s40, s21, s3
	s_mul_i32 s18, s18, s5
	s_ashr_i32 s41, s40, 31
	s_mul_hi_i32 s21, s20, s5
	s_lshl_b64 s[40:41], s[40:41], 2
	s_mul_i32 s20, s20, s5
	s_add_u32 s44, s4, s40
	s_addc_u32 s45, s37, s41
	s_load_b32 s41, s[28:29], 0x0
	s_or_b32 s40, s35, 0xd0
	s_mul_hi_i32 s23, s15, s5
	s_ashr_i32 s22, s40, 4
	s_cmp_lt_i32 s40, s30
	s_load_b32 s40, s[38:39], 0x0
	s_cselect_b32 s24, s22, s3
	s_mul_i32 s22, s15, s5
	s_ashr_i32 s25, s24, 31
	s_waitcnt lgkmcnt(0)
	s_mul_hi_i32 s29, s48, s5
	s_lshl_b64 s[24:25], s[24:25], 2
	s_mul_i32 s28, s48, s5
	s_add_u32 s24, s4, s24
	s_addc_u32 s25, s37, s25
	s_or_b32 s49, s35, 0xe0
	s_clause 0x2
	s_load_b32 s39, s[42:43], 0x0
	s_load_b32 s38, s[44:45], 0x0
	;; [unrolled: 1-line block ×3, first 2 shown]
	s_ashr_i32 s50, s49, 4
	s_cmp_lt_i32 s49, s30
	s_mul_hi_i32 s25, s46, s5
	s_cselect_b32 s44, s50, s3
	s_mul_i32 s24, s46, s5
	s_ashr_i32 s45, s44, 31
	s_mul_hi_i32 s27, s47, s5
	s_lshl_b64 s[44:45], s[44:45], 2
	s_mul_i32 s26, s47, s5
	s_add_u32 s44, s4, s44
	s_addc_u32 s45, s37, s45
	s_or_b32 s46, s35, 0xf0
	s_mul_hi_i32 s43, s41, s5
	s_ashr_i32 s48, s46, 4
	s_cmp_lt_i32 s46, s30
	s_mul_i32 s42, s41, s5
	s_cselect_b32 s48, s48, s3
	s_mul_hi_i32 s41, s40, s5
	s_ashr_i32 s49, s48, 31
	s_mul_i32 s40, s40, s5
	s_lshl_b64 s[48:49], s[48:49], 2
	s_waitcnt lgkmcnt(0)
	s_mul_hi_i32 s47, s39, s5
	s_add_u32 s48, s4, s48
	s_addc_u32 s49, s37, s49
	s_add_u32 s3, s10, s6
	s_addc_u32 s4, s11, s7
	v_add_co_u32 v195, s3, s3, v6
	s_delay_alu instid0(VALU_DEP_1) | instskip(SKIP_2) | instid1(VALU_DEP_2)
	v_add_co_ci_u32_e64 v196, null, s4, 0, s3
	s_lshl_b64 s[6:7], s[8:9], 1
	s_lshl_b64 s[8:9], s[12:13], 1
	v_add_co_u32 v1, vcc_lo, v195, s6
	s_delay_alu instid0(VALU_DEP_2)
	v_add_co_ci_u32_e32 v2, vcc_lo, s7, v196, vcc_lo
	v_add_co_u32 v3, vcc_lo, v195, s8
	s_lshl_b64 s[10:11], s[16:17], 1
	v_add_co_ci_u32_e32 v4, vcc_lo, s9, v196, vcc_lo
	v_add_co_u32 v5, vcc_lo, v195, s10
	s_lshl_b64 s[12:13], s[18:19], 1
	;; [unrolled: 3-line block ×9, first 2 shown]
	s_mul_i32 s46, s39, s5
	v_add_co_ci_u32_e32 v54, vcc_lo, s27, v196, vcc_lo
	v_add_co_u32 v183, vcc_lo, v195, s28
	s_lshl_b64 s[40:41], s[46:47], 1
	s_mul_hi_i32 s39, s38, s5
	s_mul_i32 s38, s38, s5
	v_add_co_ci_u32_e32 v184, vcc_lo, s29, v196, vcc_lo
	v_add_co_u32 v185, vcc_lo, v195, s40
	s_lshl_b64 s[38:39], s[38:39], 1
	s_clause 0x1
	s_load_b32 s3, s[44:45], 0x0
	s_load_b32 s4, s[48:49], 0x0
	v_add_co_ci_u32_e32 v186, vcc_lo, s41, v196, vcc_lo
	v_add_co_u32 v191, vcc_lo, v195, s38
	v_add_co_ci_u32_e32 v192, vcc_lo, s39, v196, vcc_lo
	s_clause 0x17
	global_load_b128 v[121:124], v[1:2], off
	global_load_b128 v[125:128], v[1:2], off offset:16
	global_load_b128 v[113:116], v[3:4], off
	global_load_b128 v[117:120], v[3:4], off offset:16
	;; [unrolled: 2-line block ×12, first 2 shown]
	s_mul_hi_i32 s51, s15, s5
	s_mul_i32 s50, s15, s5
	s_delay_alu instid0(SALU_CYCLE_1) | instskip(NEXT) | instid1(SALU_CYCLE_1)
	s_lshl_b64 s[42:43], s[50:51], 1
	v_add_co_u32 v193, vcc_lo, v195, s42
	v_add_co_ci_u32_e32 v194, vcc_lo, s43, v196, vcc_lo
	s_waitcnt lgkmcnt(0)
	s_mul_hi_i32 s7, s3, s5
	s_mul_i32 s6, s3, s5
	s_mul_hi_i32 s9, s4, s5
	s_lshl_b64 s[6:7], s[6:7], 1
	s_mul_i32 s8, s4, s5
	s_delay_alu instid0(SALU_CYCLE_1)
	s_lshl_b64 s[4:5], s[8:9], 1
	s_waitcnt vmcnt(38)
	v_wmma_f32_16x16x16_f16 v[183:190], v[9:16], v[159:166], v[137:144]
	s_waitcnt vmcnt(36)
	v_wmma_f32_16x16x16_f16 v[137:144], v[129:136], v[159:166], v[137:144]
	s_clause 0x1
	global_load_b128 v[9:12], v[191:192], off
	global_load_b128 v[13:16], v[191:192], off offset:16
	ds_load_b128 v[129:132], v197 offset:2048
	ds_load_b128 v[133:136], v197 offset:3072
	;; [unrolled: 1-line block ×4, first 2 shown]
	v_add_co_u32 v191, vcc_lo, v195, s6
	v_add_co_ci_u32_e32 v192, vcc_lo, s7, v196, vcc_lo
	v_add_co_u32 v195, vcc_lo, v195, s4
	v_add_co_ci_u32_e32 v196, vcc_lo, s5, v196, vcc_lo
	s_waitcnt vmcnt(36) lgkmcnt(2)
	v_wmma_f32_16x16x16_f16 v[183:190], v[41:48], v[129:136], v[183:190]
	s_waitcnt vmcnt(34)
	v_wmma_f32_16x16x16_f16 v[137:144], v[33:40], v[129:136], v[137:144]
	s_clause 0x3
	global_load_b128 v[33:36], v[193:194], off
	global_load_b128 v[37:40], v[193:194], off offset:16
	global_load_b128 v[41:44], v[191:192], off
	global_load_b128 v[45:48], v[191:192], off offset:16
	v_and_b32_e32 v129, 0xe0, v0
	v_mbcnt_lo_u32_b32 v191, -1, 0
	s_waitcnt vmcnt(36) lgkmcnt(0)
	v_wmma_f32_16x16x16_f16 v[183:190], v[17:24], v[159:166], v[183:190]
	s_clause 0x1
	global_load_b128 v[17:20], v[195:196], off
	global_load_b128 v[21:24], v[195:196], off offset:16
	s_waitcnt vmcnt(36)
	v_wmma_f32_16x16x16_f16 v[137:144], v[151:158], v[159:166], v[137:144]
	v_add_nc_u32_e32 v192, s35, v129
	ds_load_b128 v[129:132], v197 offset:6144
	ds_load_b128 v[133:136], v197 offset:7168
	v_xor_b32_e32 v151, 16, v191
	s_waitcnt vmcnt(0) lgkmcnt(0)
	s_barrier
	v_or_b32_e32 v152, v192, v146
	buffer_gl0_inv
	v_cmp_gt_i32_e32 vcc_lo, 32, v151
	v_or_b32_e32 v153, 2, v152
	v_or_b32_e32 v154, 4, v152
	;; [unrolled: 1-line block ×5, first 2 shown]
	v_cmp_gt_i32_e64 s3, s30, v153
	v_cmp_gt_i32_e64 s4, s30, v154
	v_cmp_gt_i32_e64 s5, s30, v155
	v_or_b32_e32 v158, 12, v152
	v_or_b32_e32 v159, 14, v152
	v_cmp_gt_i32_e64 s6, s30, v156
	v_wmma_f32_16x16x16_f16 v[183:190], v[167:174], v[129:136], v[183:190]
	v_wmma_f32_16x16x16_f16 v[137:144], v[175:182], v[129:136], v[137:144]
	v_cndmask_b32_e32 v151, v191, v151, vcc_lo
	v_cmp_gt_i32_e32 vcc_lo, s30, v152
	v_cmp_gt_i32_e64 s7, s30, v157
	v_dual_mul_f32 v135, s36, v184 :: v_dual_mul_f32 v136, s36, v183
	v_dual_mul_f32 v133, s36, v186 :: v_dual_mul_f32 v134, s36, v185
	;; [unrolled: 1-line block ×3, first 2 shown]
	s_delay_alu instid0(VALU_DEP_3) | instskip(NEXT) | instid1(VALU_DEP_4)
	v_cndmask_b32_e32 v136, 0xff7fffff, v136, vcc_lo
	v_cndmask_b32_e64 v135, 0xff7fffff, v135, s3
	v_mul_f32_e32 v132, s36, v187
	v_cndmask_b32_e64 v134, 0xff7fffff, v134, s4
	v_cndmask_b32_e64 v133, 0xff7fffff, v133, s5
	v_or_b32_e32 v160, 16, v152
	v_max3_f32 v135, v136, 0xff7fffff, v135
	v_or_b32_e32 v161, 18, v152
	v_mul_f32_e32 v130, s36, v189
	v_dual_mul_f32 v172, s36, v140 :: v_dual_mul_f32 v129, s36, v190
	v_cndmask_b32_e64 v132, 0xff7fffff, v132, s6
	v_cndmask_b32_e64 v131, 0xff7fffff, v131, s7
	v_max3_f32 v133, v135, v134, v133
	v_cmp_gt_i32_e64 s8, s30, v158
	v_cmp_gt_i32_e64 s9, s30, v159
	v_or_b32_e32 v162, 20, v152
	v_or_b32_e32 v163, 22, v152
	v_mul_f32_e32 v175, s36, v137
	v_cndmask_b32_e64 v130, 0xff7fffff, v130, s8
	v_cndmask_b32_e64 v129, 0xff7fffff, v129, s9
	v_max3_f32 v131, v133, v132, v131
	v_cmp_gt_i32_e64 s10, s30, v160
	v_cmp_gt_i32_e64 s11, s30, v161
	v_or_b32_e32 v164, 24, v152
	v_or_b32_e32 v165, 26, v152
	v_mul_f32_e32 v173, s36, v139
	v_cndmask_b32_e64 v132, 0xff7fffff, v175, s10
	v_cndmask_b32_e64 v133, 0xff7fffff, v174, s11
	v_max3_f32 v129, v131, v130, v129
	v_cmp_gt_i32_e64 s12, s30, v162
	v_cmp_gt_i32_e64 s13, s30, v163
	v_or_b32_e32 v166, 28, v152
	v_or_b32_e32 v167, 30, v152
	v_dual_mul_f32 v170, s36, v142 :: v_dual_mul_f32 v171, s36, v141
	v_cndmask_b32_e64 v130, 0xff7fffff, v173, s12
	v_cndmask_b32_e64 v131, 0xff7fffff, v172, s13
	v_max3_f32 v129, v129, v132, v133
	v_cmp_gt_i32_e64 s15, s30, v164
	v_cmp_gt_i32_e64 s16, s30, v165
	v_dual_mul_f32 v168, s36, v144 :: v_dual_mul_f32 v169, s36, v143
	s_delay_alu instid0(VALU_DEP_4) | instskip(NEXT) | instid1(VALU_DEP_4)
	v_max3_f32 v129, v129, v130, v131
	v_cndmask_b32_e64 v132, 0xff7fffff, v171, s15
	s_delay_alu instid0(VALU_DEP_4) | instskip(SKIP_2) | instid1(VALU_DEP_3)
	v_cndmask_b32_e64 v133, 0xff7fffff, v170, s16
	v_cmp_gt_i32_e64 s17, s30, v166
	v_cmp_gt_i32_e64 s18, s30, v167
	v_max3_f32 v129, v129, v132, v133
	s_delay_alu instid0(VALU_DEP_3) | instskip(NEXT) | instid1(VALU_DEP_3)
	v_cndmask_b32_e64 v130, 0xff7fffff, v169, s17
	v_cndmask_b32_e64 v131, 0xff7fffff, v168, s18
	v_lshlrev_b32_e32 v132, 2, v151
	s_delay_alu instid0(VALU_DEP_2) | instskip(SKIP_3) | instid1(VALU_DEP_1)
	v_max3_f32 v129, v129, v130, v131
	ds_bpermute_b32 v130, v132, v129
	s_waitcnt lgkmcnt(0)
	v_max_f32_e32 v130, v130, v130
	v_max_f32_e32 v129, v129, v130
	s_delay_alu instid0(VALU_DEP_1) | instskip(SKIP_4) | instid1(VALU_DEP_4)
	v_fma_f32 v134, s36, v186, -v129
	v_fma_f32 v135, s36, v187, -v129
	v_fma_f32 v130, s36, v183, -v129
	v_fma_f32 v131, s36, v184, -v129
	v_fma_f32 v133, s36, v185, -v129
	v_dual_mul_f32 v134, 0x3fb8aa3b, v134 :: v_dual_mul_f32 v135, 0x3fb8aa3b, v135
	s_delay_alu instid0(VALU_DEP_4) | instskip(SKIP_1) | instid1(VALU_DEP_3)
	v_mul_f32_e32 v130, 0x3fb8aa3b, v130
	v_fma_f32 v136, s36, v189, -v129
	v_exp_f32_e32 v134, v134
	s_delay_alu instid0(VALU_DEP_3) | instskip(NEXT) | instid1(VALU_DEP_2)
	v_exp_f32_e32 v135, v135
	v_exp_f32_e32 v130, v130
	s_delay_alu instid0(VALU_DEP_1) | instskip(NEXT) | instid1(VALU_DEP_1)
	v_mul_f32_e32 v136, 0x3fb8aa3b, v136
	v_exp_f32_e32 v136, v136
	v_cndmask_b32_e64 v153, 0, v134, s5
	v_fma_f32 v134, s36, v137, -v129
	v_mul_f32_e32 v131, 0x3fb8aa3b, v131
	s_delay_alu instid0(TRANS32_DEP_3) | instskip(NEXT) | instid1(TRANS32_DEP_2)
	v_cndmask_b32_e64 v155, 0, v135, s6
	v_dual_mul_f32 v133, 0x3fb8aa3b, v133 :: v_dual_cndmask_b32 v152, 0, v130
	s_delay_alu instid0(VALU_DEP_4) | instskip(NEXT) | instid1(VALU_DEP_4)
	v_mul_f32_e32 v134, 0x3fb8aa3b, v134
	v_exp_f32_e32 v131, v131
	v_fma_f32 v135, s36, v138, -v129
	s_delay_alu instid0(VALU_DEP_3)
	v_exp_f32_e32 v133, v133
	v_fma_f32 v130, s36, v188, -v129
	v_cndmask_b32_e64 v156, 0, v136, s8
	v_fma_f32 v136, s36, v140, -v129
	v_mul_f32_e32 v135, 0x3fb8aa3b, v135
	v_exp_f32_e32 v134, v134
	v_mul_f32_e32 v130, 0x3fb8aa3b, v130
	s_delay_alu instid0(TRANS32_DEP_3) | instskip(SKIP_1) | instid1(TRANS32_DEP_2)
	v_cndmask_b32_e64 v151, 0, v131, s3
	v_add_f32_e32 v131, 0, v152
	v_cndmask_b32_e64 v154, 0, v133, s4
	v_exp_f32_e32 v135, v135
	v_fma_f32 v133, s36, v190, -v129
	v_exp_f32_e32 v130, v130
	v_dual_add_f32 v131, v131, v151 :: v_dual_mul_f32 v136, 0x3fb8aa3b, v136
	s_mov_b32 s3, exec_lo
	s_delay_alu instid0(VALU_DEP_2) | instskip(NEXT) | instid1(VALU_DEP_2)
	v_mul_f32_e32 v133, 0x3fb8aa3b, v133
	v_add_f32_e32 v131, v131, v154
	s_delay_alu instid0(VALU_DEP_3) | instskip(NEXT) | instid1(TRANS32_DEP_3)
	v_exp_f32_e32 v136, v136
	v_cndmask_b32_e64 v140, 0, v135, s11
	s_delay_alu instid0(VALU_DEP_3) | instskip(NEXT) | instid1(TRANS32_DEP_3)
	v_exp_f32_e32 v133, v133
	v_cndmask_b32_e64 v138, 0, v130, s7
	v_add_f32_e32 v131, v131, v153
	v_fma_f32 v135, s36, v143, -v129
	s_delay_alu instid0(VALU_DEP_2)
	v_add_f32_e32 v130, v131, v155
	v_fma_f32 v131, s36, v139, -v129
	s_waitcnt_depctr 0xfff
	v_cndmask_b32_e64 v139, 0, v133, s9
	v_fma_f32 v133, s36, v141, -v129
	v_add_f32_e32 v130, v130, v138
	v_cndmask_b32_e64 v141, 0, v134, s10
	v_fma_f32 v134, s36, v142, -v129
	v_cndmask_b32_e64 v142, 0, v136, s13
	s_delay_alu instid0(VALU_DEP_4) | instskip(NEXT) | instid1(VALU_DEP_3)
	v_dual_mul_f32 v131, 0x3fb8aa3b, v131 :: v_dual_add_f32 v130, v130, v156
	v_mul_f32_e32 v134, 0x3fb8aa3b, v134
	s_delay_alu instid0(VALU_DEP_2) | instskip(NEXT) | instid1(VALU_DEP_2)
	v_exp_f32_e32 v131, v131
	v_add_f32_e32 v130, v130, v139
	s_delay_alu instid0(VALU_DEP_2) | instskip(NEXT) | instid1(VALU_DEP_1)
	v_exp_f32_e32 v134, v134
	v_add_f32_e32 v130, v130, v141
	s_waitcnt_depctr 0xfff
	v_cndmask_b32_e64 v143, 0, v131, s12
	v_dual_add_f32 v130, v130, v140 :: v_dual_mul_f32 v133, 0x3fb8aa3b, v133
	s_delay_alu instid0(VALU_DEP_1) | instskip(NEXT) | instid1(VALU_DEP_2)
	v_add_f32_e32 v130, v130, v143
	v_exp_f32_e32 v133, v133
	s_delay_alu instid0(VALU_DEP_1)
	v_add_f32_e32 v130, v130, v142
	s_waitcnt_depctr 0xfff
	v_cndmask_b32_e64 v157, 0, v133, s15
	v_mul_f32_e32 v131, 0x3fb8aa3b, v135
	v_fma_f32 v135, s36, v144, -v129
	v_cndmask_b32_e64 v144, 0, v134, s16
	s_delay_alu instid0(VALU_DEP_4) | instskip(NEXT) | instid1(VALU_DEP_4)
	v_add_f32_e32 v130, v130, v157
	v_exp_f32_e32 v131, v131
	s_delay_alu instid0(VALU_DEP_1) | instskip(NEXT) | instid1(VALU_DEP_1)
	v_dual_mul_f32 v133, 0x3fb8aa3b, v135 :: v_dual_add_f32 v130, v130, v144
	v_exp_f32_e32 v133, v133
	s_waitcnt_depctr 0xfff
	v_cndmask_b32_e64 v159, 0, v131, s17
	s_delay_alu instid0(VALU_DEP_1) | instskip(SKIP_1) | instid1(VALU_DEP_1)
	v_add_f32_e32 v130, v130, v159
	v_cndmask_b32_e64 v158, 0, v133, s18
	v_add_f32_e32 v130, v130, v158
	ds_bpermute_b32 v131, v132, v130
	v_cmpx_gt_u32_e32 16, v150
	s_cbranch_execz .LBB107_12
; %bb.11:
	v_mul_u32_u24_e32 v132, 0x44, v149
	s_delay_alu instid0(VALU_DEP_1) | instskip(SKIP_1) | instid1(VALU_DEP_1)
	v_lshl_add_u32 v132, v148, 2, v132
	s_waitcnt lgkmcnt(0)
	v_dual_add_f32 v130, v130, v131 :: v_dual_add_nc_u32 v131, 0x4000, v132
	ds_store_2addr_b32 v131, v129, v130 offset1:136
.LBB107_12:
	s_or_b32 exec_lo, exec_lo, s3
	v_lshlrev_b32_e32 v129, 2, v148
	s_load_b32 s35, s[0:1], 0x94
	s_waitcnt lgkmcnt(0)
	s_barrier
	buffer_gl0_inv
	v_add_nc_u32_e32 v135, 0x4000, v129
	v_cmp_eq_u32_e32 vcc_lo, 1, v149
	v_cmp_eq_u32_e64 s3, 2, v149
	v_cmp_eq_u32_e64 s4, 3, v149
	v_cmp_eq_u32_e64 s5, 4, v149
	ds_load_2addr_b32 v[129:130], v135 offset1:17
	ds_load_2addr_b32 v[131:132], v135 offset0:34 offset1:51
	ds_load_2addr_b32 v[133:134], v135 offset0:68 offset1:85
	;; [unrolled: 1-line block ×3, first 2 shown]
	v_cmp_eq_u32_e64 s6, 5, v149
	v_cmp_eq_u32_e64 s7, 7, v149
	s_waitcnt lgkmcnt(3)
	v_max3_f32 v136, v129, 0xff7fffff, v130
	s_waitcnt lgkmcnt(2)
	s_delay_alu instid0(VALU_DEP_1) | instskip(SKIP_1) | instid1(VALU_DEP_1)
	v_max3_f32 v136, v136, v131, v132
	s_waitcnt lgkmcnt(1)
	v_max3_f32 v136, v136, v133, v134
	s_waitcnt lgkmcnt(0)
	s_delay_alu instid0(VALU_DEP_1) | instskip(NEXT) | instid1(VALU_DEP_1)
	v_max3_f32 v136, v136, v160, v161
	v_sub_f32_e32 v164, v132, v136
	ds_load_2addr_b32 v[162:163], v135 offset0:136 offset1:153
	v_sub_f32_e32 v129, v129, v136
	v_sub_f32_e32 v137, v130, v136
	;; [unrolled: 1-line block ×3, first 2 shown]
	v_mul_f32_e32 v164, 0x3fb8aa3b, v164
	s_delay_alu instid0(VALU_DEP_4) | instskip(NEXT) | instid1(VALU_DEP_4)
	v_mul_f32_e32 v150, 0x3fb8aa3b, v129
	v_mul_f32_e32 v137, 0x3fb8aa3b, v137
	ds_load_2addr_b32 v[129:130], v135 offset0:170 offset1:187
	v_mul_f32_e32 v167, 0x3fb8aa3b, v133
	v_exp_f32_e32 v164, v164
	v_exp_f32_e32 v150, v150
	;; [unrolled: 1-line block ×3, first 2 shown]
	v_sub_f32_e32 v131, v131, v136
	s_delay_alu instid0(VALU_DEP_1)
	v_mul_f32_e32 v165, 0x3fb8aa3b, v131
	ds_load_2addr_b32 v[131:132], v135 offset0:204 offset1:221
	s_waitcnt lgkmcnt(2)
	v_fma_f32 v137, v150, v162, 0
	v_sub_f32_e32 v162, v134, v136
	v_exp_f32_e32 v165, v165
	ds_load_2addr_b32 v[133:134], v135 offset0:238 offset1:255
	v_sub_f32_e32 v135, v160, v136
	v_dual_fmac_f32 v137, v166, v163 :: v_dual_mul_f32 v160, 0x3fb8aa3b, v162
	v_exp_f32_e32 v162, v167
	s_waitcnt lgkmcnt(0)
	s_delay_alu instid0(VALU_DEP_2)
	v_mul_f32_e32 v135, 0x3fb8aa3b, v135
	s_barrier
	v_exp_f32_e32 v160, v160
	v_fmac_f32_e32 v137, v165, v129
	v_sub_f32_e32 v129, v161, v136
	v_exp_f32_e32 v161, v135
	buffer_gl0_inv
	v_fmac_f32_e32 v137, v164, v130
	v_dual_mul_f32 v129, 0x3fb8aa3b, v129 :: v_dual_cndmask_b32 v130, v150, v166
	s_delay_alu instid0(VALU_DEP_2) | instskip(NEXT) | instid1(VALU_DEP_2)
	v_fmac_f32_e32 v137, v162, v131
	v_exp_f32_e32 v163, v129
	s_delay_alu instid0(VALU_DEP_1) | instskip(NEXT) | instid1(VALU_DEP_1)
	v_fmac_f32_e32 v137, v160, v132
	v_fmac_f32_e32 v137, v161, v133
	v_lshlrev_b32_e32 v133, 6, v148
	s_waitcnt_depctr 0xfff
	v_fmac_f32_e32 v137, v163, v134
	v_lshl_or_b32 v135, v149, 11, v133
	s_delay_alu instid0(VALU_DEP_2) | instskip(NEXT) | instid1(VALU_DEP_1)
	v_add_f32_e32 v134, 0x358637bd, v137
	v_div_scale_f32 v167, null, v134, v134, 1.0
	v_div_scale_f32 v150, vcc_lo, 1.0, v134, 1.0
	s_delay_alu instid0(VALU_DEP_2) | instskip(SKIP_2) | instid1(VALU_DEP_1)
	v_rcp_f32_e32 v168, v167
	s_waitcnt_depctr 0xfff
	v_fma_f32 v129, -v167, v168, 1.0
	v_fmac_f32_e32 v168, v129, v168
	v_cndmask_b32_e64 v129, v130, v165, s3
	v_cmp_eq_u32_e64 s3, 6, v149
	s_delay_alu instid0(VALU_DEP_3) | instskip(NEXT) | instid1(VALU_DEP_3)
	v_mul_f32_e32 v165, v150, v168
	v_cndmask_b32_e64 v130, v129, v164, s4
	v_lshlrev_b32_e32 v129, 2, v146
	s_delay_alu instid0(VALU_DEP_3) | instskip(NEXT) | instid1(VALU_DEP_3)
	v_fma_f32 v131, -v167, v165, v150
	v_cndmask_b32_e64 v162, v130, v162, s5
	s_delay_alu instid0(VALU_DEP_3)
	v_or_b32_e32 v130, 1, v129
	v_or_b32_e32 v132, 2, v129
	v_cmp_eq_u32_e64 s4, 1, v129
	v_fmac_f32_e32 v165, v131, v168
	v_cndmask_b32_e64 v149, v162, v160, s6
	v_or_b32_e32 v131, 3, v129
	v_cmp_eq_u32_e64 s9, 1, v130
	v_cmp_eq_u32_e64 s10, 1, v132
	v_fma_f32 v150, -v167, v165, v150
	v_cndmask_b32_e64 v149, v149, v161, s3
	v_cmp_eq_u32_e64 s11, 1, v131
	v_cmp_eq_u32_e64 s5, 2, v129
	;; [unrolled: 1-line block ×3, first 2 shown]
	v_div_fmas_f32 v150, v150, v168, v165
	v_cndmask_b32_e64 v149, v149, v163, s7
	v_cmp_eq_u32_e64 s15, 2, v132
	v_cmp_eq_u32_e64 s16, 2, v131
	v_cmp_eq_u32_e32 vcc_lo, 3, v129
	v_div_fixup_f32 v150, v150, v134, 1.0
	v_lshl_or_b32 v134, v146, 4, v135
	v_cmp_eq_u32_e64 s13, 3, v130
	v_cmp_eq_u32_e64 s18, 3, v131
	;; [unrolled: 1-line block ×3, first 2 shown]
	v_mul_f32_e32 v149, v149, v150
	v_cmp_eq_u32_e64 s17, 3, v132
	v_cmp_eq_u32_e64 s19, 4, v130
	;; [unrolled: 1-line block ×4, first 2 shown]
	v_fma_mixlo_f16 v160, v149, v152, 0
	v_fma_mixlo_f16 v161, v149, v154, 0
	;; [unrolled: 1-line block ×8, first 2 shown]
	v_fma_mixhi_f16 v160, v149, v151, 0
	v_fma_mixhi_f16 v161, v149, v153, 0
	;; [unrolled: 1-line block ×8, first 2 shown]
	ds_store_b128 v134, v[160:163]
	ds_store_b128 v134, v[154:157] offset:1024
	s_waitcnt lgkmcnt(0)
	s_barrier
	buffer_gl0_inv
	ds_load_b128 v[138:141], v135
	ds_load_b128 v[149:152], v135 offset:16
	ds_load_b128 v[153:156], v135 offset:1024
	;; [unrolled: 1-line block ×3, first 2 shown]
	v_cmp_eq_u32_e64 s20, 5, v130
	v_cmp_eq_u32_e64 s21, 4, v132
	;; [unrolled: 1-line block ×12, first 2 shown]
	s_waitcnt lgkmcnt(3)
	v_lshrrev_b32_e32 v142, 16, v138
	s_waitcnt lgkmcnt(2)
	v_lshrrev_b32_e32 v162, 16, v149
	;; [unrolled: 2-line block ×4, first 2 shown]
	v_lshrrev_b32_e32 v143, 16, v139
	v_cndmask_b32_e64 v174, v138, v142, s4
	v_cndmask_b32_e64 v175, v149, v162, s4
	;; [unrolled: 1-line block ×7, first 2 shown]
	v_lshrrev_b32_e32 v163, 16, v150
	v_cndmask_b32_e64 v179, v149, v162, s10
	v_cndmask_b32_e64 v149, v153, v166, s4
	;; [unrolled: 1-line block ×16, first 2 shown]
	v_lshrrev_b32_e32 v167, 16, v154
	v_lshrrev_b32_e32 v171, 16, v158
	v_cndmask_b32_e64 v177, v179, v150, s15
	v_cndmask_b32_e64 v142, v149, v154, s5
	;; [unrolled: 1-line block ×7, first 2 shown]
	v_cndmask_b32_e32 v157, v166, v143, vcc_lo
	v_cndmask_b32_e32 v166, v170, v163, vcc_lo
	v_cndmask_b32_e64 v170, v174, v143, s13
	v_cndmask_b32_e64 v174, v175, v163, s13
	;; [unrolled: 1-line block ×4, first 2 shown]
	v_lshrrev_b32_e32 v144, 16, v140
	v_lshrrev_b32_e32 v164, 16, v151
	v_cndmask_b32_e64 v175, v176, v143, s17
	v_cndmask_b32_e64 v176, v177, v163, s17
	v_cndmask_b32_e32 v142, v142, v167, vcc_lo
	v_cndmask_b32_e32 v143, v149, v171, vcc_lo
	v_cndmask_b32_e64 v149, v150, v167, s13
	v_cndmask_b32_e64 v150, v157, v140, s3
	;; [unrolled: 1-line block ×7, first 2 shown]
	v_lshrrev_b32_e32 v168, 16, v155
	v_cndmask_b32_e64 v170, v175, v140, s21
	v_cndmask_b32_e64 v174, v176, v151, s21
	;; [unrolled: 1-line block ×11, first 2 shown]
	v_lshrrev_b32_e32 v161, 16, v141
	v_lshrrev_b32_e32 v165, 16, v152
	v_cndmask_b32_e64 v163, v170, v144, s23
	v_cndmask_b32_e64 v166, v174, v164, s23
	;; [unrolled: 1-line block ×9, first 2 shown]
	v_lshrrev_b32_e32 v169, 16, v156
	v_cndmask_b32_e64 v140, v140, v168, s6
	v_cndmask_b32_e64 v157, v163, v141, s26
	;; [unrolled: 1-line block ×14, first 2 shown]
	v_perm_b32 v141, v139, v138, 0x5040100
	v_perm_b32 v139, v151, v149, 0x5040100
	v_cndmask_b32_e64 v138, v183, v158, s15
	v_cndmask_b32_e64 v149, v181, v158, s12
	;; [unrolled: 1-line block ×3, first 2 shown]
	v_perm_b32 v140, v152, v150, 0x5040100
	v_cndmask_b32_e64 v150, v162, v167, s17
	v_cndmask_b32_e64 v151, v153, v167, s18
	;; [unrolled: 1-line block ×5, first 2 shown]
	v_lshrrev_b32_e32 v172, 16, v159
	v_cndmask_b32_e64 v150, v150, v155, s21
	v_cndmask_b32_e64 v151, v151, v155, s22
	;; [unrolled: 1-line block ×11, first 2 shown]
	v_lshrrev_b32_e32 v173, 16, v160
	v_cndmask_b32_e64 v142, v142, v160, s7
	v_cndmask_b32_e64 v150, v150, v156, s26
	v_cndmask_b32_e64 v151, v151, v156, s27
	v_cndmask_b32_e64 v152, v152, v160, s27
	v_cndmask_b32_e64 v138, v138, v160, s26
	v_cndmask_b32_e64 v149, v149, v160, s25
	v_cndmask_b32_e64 v150, v150, v169, s28
	v_cndmask_b32_e64 v151, v151, v169, s29
	v_cndmask_b32_e64 v152, v152, v173, s29
	v_cndmask_b32_e64 v153, v138, v173, s28
	v_cndmask_b32_e64 v149, v149, v173, s30
	v_cndmask_b32_e64 v142, v142, v173, s8
	v_perm_b32 v138, v144, v143, 0x5040100
	v_perm_b32 v152, v152, v151, 0x5040100
	;; [unrolled: 1-line block ×5, first 2 shown]
	s_mul_i32 s7, s33, 14
	s_mov_b32 s3, exec_lo
	ds_store_b128 v134, v[138:141]
	ds_store_b128 v134, v[149:152] offset:1024
	v_cmpx_gt_u32_e32 14, v0
	s_cbranch_execz .LBB107_14
; %bb.13:
	s_mul_i32 s4, s7, s34
	s_load_b128 s[8:11], s[0:1], 0x58
	v_add3_u32 v140, s4, s31, v148
	s_delay_alu instid0(VALU_DEP_1) | instskip(NEXT) | instid1(VALU_DEP_1)
	v_mad_u64_u32 v[138:139], null, v140, s35, s[14:15]
	v_ashrrev_i32_e32 v139, 31, v138
	s_delay_alu instid0(VALU_DEP_1) | instskip(SKIP_1) | instid1(VALU_DEP_1)
	v_lshlrev_b64 v[138:139], 2, v[138:139]
	s_waitcnt lgkmcnt(0)
	v_add_co_u32 v140, vcc_lo, s10, v138
	s_delay_alu instid0(VALU_DEP_2)
	v_add_co_ci_u32_e32 v141, vcc_lo, s11, v139, vcc_lo
	v_add_co_u32 v138, vcc_lo, s8, v138
	v_add_co_ci_u32_e32 v139, vcc_lo, s9, v139, vcc_lo
	global_store_b32 v[140:141], v136, off
	global_store_b32 v[138:139], v137, off
.LBB107_14:
	s_or_b32 exec_lo, exec_lo, s3
	s_waitcnt lgkmcnt(0)
	s_waitcnt_vscnt null, 0x0
	s_barrier
	buffer_gl0_inv
	ds_load_b128 v[148:151], v133
	ds_load_b128 v[152:155], v133 offset:16
	ds_load_b128 v[160:163], v133 offset:1040
	;; [unrolled: 1-line block ×5, first 2 shown]
	v_cmp_eq_u32_e32 vcc_lo, 1, v132
	v_mov_b32_e32 v136, 0
	ds_load_b128 v[176:179], v133 offset:3088
	ds_load_b128 v[172:175], v133 offset:3072
	;; [unrolled: 1-line block ×4, first 2 shown]
	v_cmp_eq_u32_e64 s3, 1, v129
	v_cmp_eq_u32_e64 s4, 1, v131
	;; [unrolled: 1-line block ×3, first 2 shown]
	v_mov_b32_e32 v137, v136
	v_mov_b32_e32 v138, v136
	;; [unrolled: 1-line block ×7, first 2 shown]
	v_cmp_eq_u32_e64 s6, 2, v129
	s_waitcnt lgkmcnt(8)
	s_delay_alu instid0(VALU_DEP_2)
	v_wmma_f32_16x16x16_f16 v[136:143], v[121:128], v[148:155], v[136:143]
	ds_load_b128 v[125:128], v133 offset:5136
	ds_load_b128 v[121:124], v133 offset:5120
	s_waitcnt lgkmcnt(8)
	v_wmma_f32_16x16x16_f16 v[136:143], v[113:120], v[156:163], v[136:143]
	ds_load_b128 v[117:120], v133 offset:6160
	ds_load_b128 v[113:116], v133 offset:6144
	s_waitcnt lgkmcnt(8)
	;; [unrolled: 4-line block ×11, first 2 shown]
	s_barrier
	buffer_gl0_inv
	v_wmma_f32_16x16x16_f16 v[136:143], v[1:8], v[73:80], v[136:143]
	s_delay_alu instid0(VALU_DEP_1) | instskip(NEXT) | instid1(VALU_DEP_1)
	v_wmma_f32_16x16x16_f16 v[136:143], v[9:16], v[65:72], v[136:143]
	v_wmma_f32_16x16x16_f16 v[136:143], v[33:40], v[57:64], v[136:143]
	s_delay_alu instid0(VALU_DEP_1) | instskip(NEXT) | instid1(VALU_DEP_1)
	v_wmma_f32_16x16x16_f16 v[136:143], v[41:48], v[49:56], v[136:143]
	v_wmma_f32_16x16x16_f16 v[136:143], v[17:24], v[25:32], v[136:143]
	s_delay_alu instid0(VALU_DEP_1) | instskip(NEXT) | instid1(VALU_DEP_2)
	v_cvt_f16_f32_e64 v1, v136
	v_cvt_f16_f32_e64 v2, v137
	s_delay_alu instid0(VALU_DEP_3) | instskip(NEXT) | instid1(VALU_DEP_4)
	v_cvt_f16_f32_e64 v3, v138
	v_cvt_f16_f32_e64 v4, v139
	;; [unrolled: 1-line block ×6, first 2 shown]
	v_pack_b32_f16 v1, v1, v2
	v_pack_b32_f16 v2, v3, v4
	;; [unrolled: 1-line block ×3, first 2 shown]
	s_delay_alu instid0(VALU_DEP_4)
	v_pack_b32_f16 v4, v7, v8
	ds_store_b128 v134, v[1:4]
	s_waitcnt lgkmcnt(0)
	s_barrier
	buffer_gl0_inv
	ds_load_b128 v[1:4], v135
	ds_load_b128 v[5:8], v135 offset:16
	s_waitcnt lgkmcnt(1)
	v_lshrrev_b32_e32 v9, 16, v1
	s_waitcnt lgkmcnt(0)
	v_lshrrev_b32_e32 v13, 16, v5
	v_lshrrev_b32_e32 v10, 16, v2
	;; [unrolled: 1-line block ×4, first 2 shown]
	v_cndmask_b32_e64 v17, v1, v9, s3
	v_cndmask_b32_e64 v18, v5, v13, s3
	;; [unrolled: 1-line block ×3, first 2 shown]
	v_cmp_eq_u32_e64 s3, 2, v130
	v_cndmask_b32_e64 v20, v5, v13, s5
	v_cndmask_b32_e32 v21, v1, v9, vcc_lo
	v_cndmask_b32_e32 v22, v5, v13, vcc_lo
	v_cndmask_b32_e64 v1, v1, v9, s4
	v_cndmask_b32_e64 v5, v5, v13, s4
	v_cmp_eq_u32_e32 vcc_lo, 2, v132
	v_cmp_eq_u32_e64 s4, 2, v131
	v_cndmask_b32_e64 v9, v17, v2, s6
	v_cndmask_b32_e64 v13, v18, v6, s6
	;; [unrolled: 1-line block ×4, first 2 shown]
	v_cndmask_b32_e32 v19, v21, v2, vcc_lo
	v_cmp_eq_u32_e64 s3, 3, v132
	v_cndmask_b32_e32 v20, v22, v6, vcc_lo
	v_cndmask_b32_e64 v1, v1, v2, s4
	v_cmp_eq_u32_e32 vcc_lo, 3, v131
	v_cmp_eq_u32_e64 s5, 3, v129
	v_cndmask_b32_e64 v2, v5, v6, s4
	v_cmp_eq_u32_e64 s4, 3, v130
	v_cmp_eq_u32_e64 s6, 4, v129
	v_cndmask_b32_e32 v1, v1, v10, vcc_lo
	v_cndmask_b32_e64 v5, v9, v10, s5
	v_cndmask_b32_e64 v6, v13, v14, s5
	;; [unrolled: 1-line block ×3, first 2 shown]
	v_cmp_eq_u32_e64 s5, 4, v130
	v_cndmask_b32_e64 v13, v18, v14, s4
	v_cndmask_b32_e64 v17, v19, v10, s3
	;; [unrolled: 1-line block ×3, first 2 shown]
	v_cndmask_b32_e32 v2, v2, v14, vcc_lo
	v_cmp_eq_u32_e32 vcc_lo, 4, v132
	v_cmp_eq_u32_e64 s4, 4, v131
	v_lshrrev_b32_e32 v15, 16, v7
	v_cndmask_b32_e64 v5, v5, v3, s6
	v_cndmask_b32_e64 v6, v6, v7, s6
	v_cndmask_b32_e32 v14, v18, v7, vcc_lo
	v_cndmask_b32_e64 v9, v9, v3, s5
	v_cndmask_b32_e64 v10, v13, v7, s5
	v_cndmask_b32_e32 v13, v17, v3, vcc_lo
	v_cmp_eq_u32_e64 s3, 5, v132
	v_cndmask_b32_e64 v1, v1, v3, s4
	v_cmp_eq_u32_e32 vcc_lo, 5, v131
	v_cmp_eq_u32_e64 s5, 5, v129
	v_cndmask_b32_e64 v2, v2, v7, s4
	v_cmp_eq_u32_e64 s4, 5, v130
	v_cmp_eq_u32_e64 s6, 6, v129
	v_lshrrev_b32_e32 v12, 16, v4
	v_cndmask_b32_e64 v3, v5, v11, s5
	v_cndmask_b32_e64 v5, v6, v15, s5
	;; [unrolled: 1-line block ×3, first 2 shown]
	v_cmp_eq_u32_e64 s5, 6, v130
	v_cndmask_b32_e64 v7, v10, v15, s4
	v_cndmask_b32_e64 v9, v13, v11, s3
	;; [unrolled: 1-line block ×3, first 2 shown]
	v_cndmask_b32_e32 v1, v1, v11, vcc_lo
	v_cndmask_b32_e32 v2, v2, v15, vcc_lo
	v_cmp_eq_u32_e32 vcc_lo, 6, v132
	v_cmp_eq_u32_e64 s3, 6, v131
	v_lshrrev_b32_e32 v16, 16, v8
	v_cndmask_b32_e64 v3, v3, v4, s6
	v_cndmask_b32_e64 v5, v5, v8, s6
	v_cndmask_b32_e32 v9, v9, v4, vcc_lo
	v_cndmask_b32_e64 v6, v6, v4, s5
	v_cndmask_b32_e64 v7, v7, v8, s5
	v_cmp_eq_u32_e64 s4, 7, v132
	v_cndmask_b32_e32 v10, v10, v8, vcc_lo
	v_cndmask_b32_e64 v1, v1, v4, s3
	v_cmp_eq_u32_e32 vcc_lo, 7, v131
	v_cndmask_b32_e64 v2, v2, v8, s3
	v_cmp_eq_u32_e64 s3, 7, v129
	v_cmp_eq_u32_e64 s5, 7, v130
	v_cndmask_b32_e32 v1, v1, v12, vcc_lo
	s_delay_alu instid0(VALU_DEP_4) | instskip(NEXT) | instid1(VALU_DEP_4)
	v_cndmask_b32_e32 v2, v2, v16, vcc_lo
	v_cndmask_b32_e64 v8, v3, v12, s3
	s_delay_alu instid0(VALU_DEP_4)
	v_cndmask_b32_e64 v6, v6, v12, s5
	v_cndmask_b32_e64 v3, v9, v12, s4
	;; [unrolled: 1-line block ×5, first 2 shown]
	v_cmp_gt_u32_e32 vcc_lo, 32, v0
	v_perm_b32 v4, v2, v1, 0x5040100
	v_perm_b32 v3, v9, v3, 0x5040100
	;; [unrolled: 1-line block ×4, first 2 shown]
	s_and_b32 s2, vcc_lo, s2
	ds_store_b128 v134, v[1:4]
	s_waitcnt lgkmcnt(0)
	s_barrier
	buffer_gl0_inv
	s_and_saveexec_b32 s3, s2
	s_cbranch_execz .LBB107_2
; %bb.15:
	s_load_b64 s[0:1], s[0:1], 0x68
	v_lshlrev_b32_e32 v0, 10, v0
	s_lshl_b32 s4, s35, 6
	v_or_b32_e32 v3, s31, v146
	s_mul_i32 s2, s4, s34
	v_lshlrev_b32_e32 v1, 4, v147
	v_lshlrev_b32_e32 v2, 6, v146
	v_and_b32_e32 v0, 0x3800, v0
	s_mul_i32 s2, s2, s7
	v_mul_lo_u32 v8, v3, s4
	s_ashr_i32 s3, s2, 31
	s_delay_alu instid0(SALU_CYCLE_1)
	s_lshl_b64 s[2:3], s[2:3], 1
	v_or3_b32 v16, v0, v1, v2
	ds_load_b128 v[0:3], v16
	ds_load_b128 v[4:7], v16 offset:128
	v_ashrrev_i32_e32 v9, 31, v8
	s_waitcnt lgkmcnt(0)
	s_add_u32 s2, s0, s2
	s_addc_u32 s3, s1, s3
	s_lshl_b32 s0, s14, 6
	s_delay_alu instid0(SALU_CYCLE_1) | instskip(SKIP_2) | instid1(SALU_CYCLE_1)
	s_ashr_i32 s1, s0, 31
	v_lshlrev_b64 v[9:10], 1, v[8:9]
	s_lshl_b64 s[0:1], s[0:1], 1
	s_add_u32 s0, s2, s0
	s_addc_u32 s1, s3, s1
	s_lshl_b32 s2, s35, 7
	v_add_co_u32 v30, s0, s0, v145
	v_add_nc_u32_e32 v11, s2, v8
	v_add_co_ci_u32_e64 v31, null, s1, 0, s0
	s_delay_alu instid0(VALU_DEP_3) | instskip(NEXT) | instid1(VALU_DEP_3)
	v_add_co_u32 v9, vcc_lo, v30, v9
	v_add_nc_u32_e32 v8, s2, v11
	s_delay_alu instid0(VALU_DEP_3) | instskip(SKIP_1) | instid1(VALU_DEP_3)
	v_add_co_ci_u32_e32 v10, vcc_lo, v31, v10, vcc_lo
	v_ashrrev_i32_e32 v12, 31, v11
	v_add_nc_u32_e32 v13, s2, v8
	global_store_b128 v[9:10], v[0:3], off
	v_ashrrev_i32_e32 v9, 31, v8
	v_lshlrev_b64 v[11:12], 1, v[11:12]
	v_ashrrev_i32_e32 v14, 31, v13
	v_add_nc_u32_e32 v10, s2, v13
	s_delay_alu instid0(VALU_DEP_4) | instskip(NEXT) | instid1(VALU_DEP_4)
	v_lshlrev_b64 v[2:3], 1, v[8:9]
	v_add_co_u32 v0, vcc_lo, v30, v11
	s_delay_alu instid0(VALU_DEP_4)
	v_lshlrev_b64 v[8:9], 1, v[13:14]
	v_add_co_ci_u32_e32 v1, vcc_lo, v31, v12, vcc_lo
	v_ashrrev_i32_e32 v11, 31, v10
	v_add_co_u32 v22, vcc_lo, v30, v2
	v_add_nc_u32_e32 v20, s2, v10
	v_add_co_ci_u32_e32 v23, vcc_lo, v31, v3, vcc_lo
	v_add_co_u32 v24, vcc_lo, v30, v8
	global_store_b128 v[0:1], v[4:7], off
	v_add_co_ci_u32_e32 v25, vcc_lo, v31, v9, vcc_lo
	ds_load_b128 v[0:3], v16 offset:256
	ds_load_b128 v[4:7], v16 offset:384
	v_lshlrev_b64 v[26:27], 1, v[10:11]
	ds_load_b128 v[8:11], v16 offset:512
	ds_load_b128 v[12:15], v16 offset:640
	;; [unrolled: 1-line block ×3, first 2 shown]
	v_add_nc_u32_e32 v28, s2, v20
	v_ashrrev_i32_e32 v21, 31, v20
	v_add_co_u32 v26, vcc_lo, v30, v26
	s_delay_alu instid0(VALU_DEP_3) | instskip(NEXT) | instid1(VALU_DEP_3)
	v_ashrrev_i32_e32 v29, 31, v28
	v_lshlrev_b64 v[20:21], 1, v[20:21]
	v_add_co_ci_u32_e32 v27, vcc_lo, v31, v27, vcc_lo
	s_delay_alu instid0(VALU_DEP_3) | instskip(NEXT) | instid1(VALU_DEP_3)
	v_lshlrev_b64 v[28:29], 1, v[28:29]
	v_add_co_u32 v20, vcc_lo, v30, v20
	s_delay_alu instid0(VALU_DEP_4) | instskip(NEXT) | instid1(VALU_DEP_3)
	v_add_co_ci_u32_e32 v21, vcc_lo, v31, v21, vcc_lo
	v_add_co_u32 v28, vcc_lo, v30, v28
	s_delay_alu instid0(VALU_DEP_4)
	v_add_co_ci_u32_e32 v29, vcc_lo, v31, v29, vcc_lo
	s_waitcnt lgkmcnt(4)
	global_store_b128 v[22:23], v[0:3], off
	s_waitcnt lgkmcnt(3)
	global_store_b128 v[24:25], v[4:7], off
	s_waitcnt lgkmcnt(2)
	global_store_b128 v[26:27], v[8:11], off
	s_waitcnt lgkmcnt(1)
	global_store_b128 v[20:21], v[12:15], off
	s_waitcnt lgkmcnt(0)
	global_store_b128 v[28:29], v[16:19], off
	s_nop 0
	s_sendmsg sendmsg(MSG_DEALLOC_VGPRS)
	s_endpgm
	.section	.rodata,"a",@progbits
	.p2align	6, 0x0
	.amdhsa_kernel _Z39paged_attention_ll4mi_QKV_mfma16_kernelIDF16_DF16_LN4vllm18Fp8KVCacheDataTypeE0EDF16_Li16ELi64ELi256ELb0ELi14EL8MFMAType0EEvPKT_PKT0_S8_ifPKiSA_SA_iPKfiiiPfSD_PS3_PT2_iSC_SC_
		.amdhsa_group_segment_fixed_size 17472
		.amdhsa_private_segment_fixed_size 0
		.amdhsa_kernarg_size 400
		.amdhsa_user_sgpr_count 13
		.amdhsa_user_sgpr_dispatch_ptr 0
		.amdhsa_user_sgpr_queue_ptr 0
		.amdhsa_user_sgpr_kernarg_segment_ptr 1
		.amdhsa_user_sgpr_dispatch_id 0
		.amdhsa_user_sgpr_private_segment_size 0
		.amdhsa_wavefront_size32 1
		.amdhsa_uses_dynamic_stack 0
		.amdhsa_enable_private_segment 0
		.amdhsa_system_sgpr_workgroup_id_x 1
		.amdhsa_system_sgpr_workgroup_id_y 1
		.amdhsa_system_sgpr_workgroup_id_z 1
		.amdhsa_system_sgpr_workgroup_info 0
		.amdhsa_system_vgpr_workitem_id 0
		.amdhsa_next_free_vgpr 198
		.amdhsa_next_free_sgpr 52
		.amdhsa_reserve_vcc 1
		.amdhsa_float_round_mode_32 0
		.amdhsa_float_round_mode_16_64 0
		.amdhsa_float_denorm_mode_32 3
		.amdhsa_float_denorm_mode_16_64 3
		.amdhsa_dx10_clamp 1
		.amdhsa_ieee_mode 1
		.amdhsa_fp16_overflow 0
		.amdhsa_workgroup_processor_mode 1
		.amdhsa_memory_ordered 1
		.amdhsa_forward_progress 0
		.amdhsa_shared_vgpr_count 0
		.amdhsa_exception_fp_ieee_invalid_op 0
		.amdhsa_exception_fp_denorm_src 0
		.amdhsa_exception_fp_ieee_div_zero 0
		.amdhsa_exception_fp_ieee_overflow 0
		.amdhsa_exception_fp_ieee_underflow 0
		.amdhsa_exception_fp_ieee_inexact 0
		.amdhsa_exception_int_div_zero 0
	.end_amdhsa_kernel
	.section	.text._Z39paged_attention_ll4mi_QKV_mfma16_kernelIDF16_DF16_LN4vllm18Fp8KVCacheDataTypeE0EDF16_Li16ELi64ELi256ELb0ELi14EL8MFMAType0EEvPKT_PKT0_S8_ifPKiSA_SA_iPKfiiiPfSD_PS3_PT2_iSC_SC_,"axG",@progbits,_Z39paged_attention_ll4mi_QKV_mfma16_kernelIDF16_DF16_LN4vllm18Fp8KVCacheDataTypeE0EDF16_Li16ELi64ELi256ELb0ELi14EL8MFMAType0EEvPKT_PKT0_S8_ifPKiSA_SA_iPKfiiiPfSD_PS3_PT2_iSC_SC_,comdat
.Lfunc_end107:
	.size	_Z39paged_attention_ll4mi_QKV_mfma16_kernelIDF16_DF16_LN4vllm18Fp8KVCacheDataTypeE0EDF16_Li16ELi64ELi256ELb0ELi14EL8MFMAType0EEvPKT_PKT0_S8_ifPKiSA_SA_iPKfiiiPfSD_PS3_PT2_iSC_SC_, .Lfunc_end107-_Z39paged_attention_ll4mi_QKV_mfma16_kernelIDF16_DF16_LN4vllm18Fp8KVCacheDataTypeE0EDF16_Li16ELi64ELi256ELb0ELi14EL8MFMAType0EEvPKT_PKT0_S8_ifPKiSA_SA_iPKfiiiPfSD_PS3_PT2_iSC_SC_
                                        ; -- End function
	.section	.AMDGPU.csdata,"",@progbits
; Kernel info:
; codeLenInByte = 8016
; NumSgprs: 54
; NumVgprs: 198
; ScratchSize: 0
; MemoryBound: 0
; FloatMode: 240
; IeeeMode: 1
; LDSByteSize: 17472 bytes/workgroup (compile time only)
; SGPRBlocks: 6
; VGPRBlocks: 24
; NumSGPRsForWavesPerEU: 54
; NumVGPRsForWavesPerEU: 198
; Occupancy: 7
; WaveLimiterHint : 1
; COMPUTE_PGM_RSRC2:SCRATCH_EN: 0
; COMPUTE_PGM_RSRC2:USER_SGPR: 13
; COMPUTE_PGM_RSRC2:TRAP_HANDLER: 0
; COMPUTE_PGM_RSRC2:TGID_X_EN: 1
; COMPUTE_PGM_RSRC2:TGID_Y_EN: 1
; COMPUTE_PGM_RSRC2:TGID_Z_EN: 1
; COMPUTE_PGM_RSRC2:TIDIG_COMP_CNT: 0
	.section	.text._Z39paged_attention_ll4mi_QKV_mfma16_kernelIDF16_DF16_LN4vllm18Fp8KVCacheDataTypeE0EDF16_Li16ELi64ELi256ELb0ELi15EL8MFMAType0EEvPKT_PKT0_S8_ifPKiSA_SA_iPKfiiiPfSD_PS3_PT2_iSC_SC_,"axG",@progbits,_Z39paged_attention_ll4mi_QKV_mfma16_kernelIDF16_DF16_LN4vllm18Fp8KVCacheDataTypeE0EDF16_Li16ELi64ELi256ELb0ELi15EL8MFMAType0EEvPKT_PKT0_S8_ifPKiSA_SA_iPKfiiiPfSD_PS3_PT2_iSC_SC_,comdat
	.protected	_Z39paged_attention_ll4mi_QKV_mfma16_kernelIDF16_DF16_LN4vllm18Fp8KVCacheDataTypeE0EDF16_Li16ELi64ELi256ELb0ELi15EL8MFMAType0EEvPKT_PKT0_S8_ifPKiSA_SA_iPKfiiiPfSD_PS3_PT2_iSC_SC_ ; -- Begin function _Z39paged_attention_ll4mi_QKV_mfma16_kernelIDF16_DF16_LN4vllm18Fp8KVCacheDataTypeE0EDF16_Li16ELi64ELi256ELb0ELi15EL8MFMAType0EEvPKT_PKT0_S8_ifPKiSA_SA_iPKfiiiPfSD_PS3_PT2_iSC_SC_
	.globl	_Z39paged_attention_ll4mi_QKV_mfma16_kernelIDF16_DF16_LN4vllm18Fp8KVCacheDataTypeE0EDF16_Li16ELi64ELi256ELb0ELi15EL8MFMAType0EEvPKT_PKT0_S8_ifPKiSA_SA_iPKfiiiPfSD_PS3_PT2_iSC_SC_
	.p2align	8
	.type	_Z39paged_attention_ll4mi_QKV_mfma16_kernelIDF16_DF16_LN4vllm18Fp8KVCacheDataTypeE0EDF16_Li16ELi64ELi256ELb0ELi15EL8MFMAType0EEvPKT_PKT0_S8_ifPKiSA_SA_iPKfiiiPfSD_PS3_PT2_iSC_SC_,@function
_Z39paged_attention_ll4mi_QKV_mfma16_kernelIDF16_DF16_LN4vllm18Fp8KVCacheDataTypeE0EDF16_Li16ELi64ELi256ELb0ELi15EL8MFMAType0EEvPKT_PKT0_S8_ifPKiSA_SA_iPKfiiiPfSD_PS3_PT2_iSC_SC_: ; @_Z39paged_attention_ll4mi_QKV_mfma16_kernelIDF16_DF16_LN4vllm18Fp8KVCacheDataTypeE0EDF16_Li16ELi64ELi256ELb0ELi15EL8MFMAType0EEvPKT_PKT0_S8_ifPKiSA_SA_iPKfiiiPfSD_PS3_PT2_iSC_SC_
; %bb.0:
	s_load_b64 s[2:3], s[0:1], 0x30
	s_mov_b32 s34, s13
	s_waitcnt lgkmcnt(0)
	s_cmp_lg_u64 s[2:3], 0
	s_cselect_b32 s6, -1, 0
	s_ashr_i32 s35, s13, 31
	s_cmp_eq_u64 s[2:3], 0
	s_cbranch_scc1 .LBB108_3
; %bb.1:
	s_lshl_b64 s[4:5], s[34:35], 2
	s_delay_alu instid0(SALU_CYCLE_1) | instskip(SKIP_4) | instid1(SALU_CYCLE_1)
	s_add_u32 s4, s2, s4
	s_addc_u32 s5, s3, s5
	s_load_b64 s[4:5], s[4:5], 0x0
	s_waitcnt lgkmcnt(0)
	s_sub_i32 s4, s5, s4
	s_cmp_eq_u32 s4, 1
	s_cselect_b32 s4, -1, 0
	s_delay_alu instid0(SALU_CYCLE_1)
	s_and_not1_b32 vcc_lo, exec_lo, s4
	s_cbranch_vccz .LBB108_4
.LBB108_2:
	s_nop 0
	s_sendmsg sendmsg(MSG_DEALLOC_VGPRS)
	s_endpgm
.LBB108_3:
.LBB108_4:
	s_load_b64 s[8:9], s[0:1], 0x28
	s_lshl_b64 s[4:5], s[34:35], 2
	s_waitcnt lgkmcnt(0)
	s_add_u32 s8, s8, s4
	s_addc_u32 s9, s9, s5
	s_lshl_b32 s31, s14, 8
	s_load_b32 s30, s[8:9], 0x0
	s_waitcnt lgkmcnt(0)
	s_cmp_ge_i32 s31, s30
	s_cbranch_scc1 .LBB108_2
; %bb.5:
	s_clause 0x1
	s_load_b128 s[8:11], s[0:1], 0x8
	s_load_b64 s[12:13], s[0:1], 0x20
	s_and_not1_b32 vcc_lo, exec_lo, s6
	s_cbranch_vccnz .LBB108_7
; %bb.6:
	s_add_u32 s2, s2, s4
	s_addc_u32 s3, s3, s5
	s_load_b32 s3, s[2:3], 0x0
	s_branch .LBB108_8
.LBB108_7:
	s_mov_b32 s3, s34
.LBB108_8:
	s_load_b128 s[4:7], s[0:1], 0x48
	v_lshrrev_b32_e32 v149, 5, v0
	v_bfe_u32 v146, v0, 4, 1
	v_and_b32_e32 v148, 15, v0
	v_and_b32_e32 v150, 31, v0
	;; [unrolled: 1-line block ×3, first 2 shown]
	s_mul_i32 s33, s15, 15
	v_lshl_or_b32 v1, v149, 1, v146
	v_lshlrev_b32_e32 v2, 3, v148
	v_cmp_gt_u32_e64 s2, 8, v148
	s_delay_alu instid0(VALU_DEP_3) | instskip(NEXT) | instid1(VALU_DEP_3)
	v_cmp_gt_u32_e32 vcc_lo, 15, v1
	v_lshlrev_b32_e32 v145, 1, v2
	s_delay_alu instid0(VALU_DEP_3)
	s_and_b32 s16, s2, vcc_lo
	s_waitcnt lgkmcnt(0)
	s_and_saveexec_b32 s7, s16
	s_cbranch_execz .LBB108_10
; %bb.9:
	s_load_b64 s[16:17], s[0:1], 0x0
	v_add_lshl_u32 v2, v1, s33, 6
	s_mul_hi_i32 s19, s3, s4
	s_mul_i32 s18, s3, s4
	v_lshlrev_b32_e32 v6, 10, v148
	s_lshl_b64 s[18:19], s[18:19], 1
	v_ashrrev_i32_e32 v3, 31, v2
	v_lshlrev_b32_e32 v1, 6, v1
	v_lshlrev_b32_e32 v7, 10, v147
	v_and_b32_e32 v6, 0x3800, v6
	s_delay_alu instid0(VALU_DEP_4) | instskip(NEXT) | instid1(VALU_DEP_2)
	v_lshlrev_b64 v[2:3], 1, v[2:3]
	v_or3_b32 v1, v6, v7, v1
	s_waitcnt lgkmcnt(0)
	s_add_u32 s3, s16, s18
	s_addc_u32 s4, s17, s19
	s_delay_alu instid0(VALU_DEP_2) | instskip(SKIP_1) | instid1(VALU_DEP_2)
	v_add_co_u32 v2, vcc_lo, s3, v2
	v_add_co_ci_u32_e32 v3, vcc_lo, s4, v3, vcc_lo
	v_add_co_u32 v2, vcc_lo, v2, v145
	s_delay_alu instid0(VALU_DEP_2)
	v_add_co_ci_u32_e32 v3, vcc_lo, 0, v3, vcc_lo
	global_load_b128 v[2:5], v[2:3], off
	s_waitcnt vmcnt(0)
	ds_store_b128 v1, v[2:5]
.LBB108_10:
	s_or_b32 exec_lo, exec_lo, s7
	s_mov_b32 s40, 0
	s_add_i32 s3, s30, 15
	s_mov_b32 s41, s40
	s_mov_b32 s42, s40
	;; [unrolled: 1-line block ×7, first 2 shown]
	s_delay_alu instid0(SALU_CYCLE_1)
	v_dual_mov_b32 v136, s47 :: v_dual_and_b32 v1, 0xef, v0
	v_mov_b32_e32 v134, s45
	s_clause 0x1
	s_load_b32 s4, s[0:1], 0x38
	s_load_b32 s35, s[0:1], 0x98
	v_add_nc_u32_e32 v1, s31, v1
	s_ashr_i32 s7, s3, 31
	s_load_b32 s36, s[0:1], 0x1c
	s_lshr_b32 s7, s7, 28
	s_waitcnt lgkmcnt(0)
	v_ashrrev_i32_e32 v2, 31, v1
	s_add_i32 s3, s3, s7
	v_cmp_gt_i32_e32 vcc_lo, s30, v1
	s_ashr_i32 s3, s3, 4
	v_mov_b32_e32 v132, s43
	v_lshrrev_b32_e32 v3, 28, v2
	v_or_b32_e32 v2, 16, v1
	s_add_i32 s3, s3, -1
	s_barrier
	buffer_gl0_inv
	v_add_nc_u32_e32 v4, v1, v3
	v_add_nc_u32_e32 v3, v2, v3
	s_mul_i32 s6, s15, s6
	s_mul_i32 s16, s34, s4
	v_mov_b32_e32 v135, s46
	v_ashrrev_i32_e32 v4, 4, v4
	v_ashrrev_i32_e32 v3, 4, v3
	s_ashr_i32 s17, s16, 31
	v_mov_b32_e32 v133, s44
	s_lshl_b64 s[16:17], s[16:17], 2
	v_cndmask_b32_e32 v1, s3, v4, vcc_lo
	v_cmp_gt_i32_e32 vcc_lo, s30, v2
	s_add_u32 s4, s12, s16
	s_addc_u32 s37, s13, s17
	s_ashr_i32 s7, s6, 31
	v_ashrrev_i32_e32 v2, 31, v1
	v_cndmask_b32_e32 v3, s3, v3, vcc_lo
	s_lshl_b64 s[6:7], s[6:7], 1
	v_mov_b32_e32 v131, s42
	s_add_u32 s24, s8, s6
	v_lshlrev_b64 v[1:2], 2, v[1:2]
	v_ashrrev_i32_e32 v4, 31, v3
	s_addc_u32 s25, s9, s7
	s_lshl_b32 s8, s14, 4
	v_mov_b32_e32 v129, s40
	s_ashr_i32 s9, s8, 31
	v_lshlrev_b64 v[3:4], 2, v[3:4]
	v_add_co_u32 v1, vcc_lo, s4, v1
	v_add_co_ci_u32_e32 v2, vcc_lo, s37, v2, vcc_lo
	s_lshl_b64 s[8:9], s[8:9], 2
	s_delay_alu instid0(VALU_DEP_3) | instskip(NEXT) | instid1(VALU_DEP_4)
	v_add_co_u32 v3, vcc_lo, s4, v3
	v_add_co_ci_u32_e32 v4, vcc_lo, s37, v4, vcc_lo
	s_clause 0x1
	global_load_b32 v5, v[1:2], off
	global_load_b32 v6, v[3:4], off
	s_add_u32 s8, s4, s8
	s_addc_u32 s9, s37, s9
	s_or_b32 s12, s31, 16
	v_dual_mov_b32 v130, s41 :: v_dual_lshlrev_b32 v3, 4, v0
	s_ashr_i32 s13, s12, 4
	s_cmp_lt_i32 s12, s30
	s_cselect_b32 s12, s13, s3
	s_delay_alu instid0(SALU_CYCLE_1) | instskip(NEXT) | instid1(SALU_CYCLE_1)
	s_ashr_i32 s13, s12, 31
	s_lshl_b64 s[12:13], s[12:13], 2
	s_delay_alu instid0(SALU_CYCLE_1) | instskip(SKIP_2) | instid1(SALU_CYCLE_1)
	s_add_u32 s12, s4, s12
	s_addc_u32 s13, s37, s13
	s_or_b32 s15, s31, 32
	s_ashr_i32 s16, s15, 4
	s_cmp_lt_i32 s15, s30
	s_cselect_b32 s16, s16, s3
	s_delay_alu instid0(SALU_CYCLE_1) | instskip(NEXT) | instid1(SALU_CYCLE_1)
	s_ashr_i32 s17, s16, 31
	s_lshl_b64 s[16:17], s[16:17], 2
	s_delay_alu instid0(SALU_CYCLE_1) | instskip(SKIP_2) | instid1(SALU_CYCLE_1)
	s_add_u32 s16, s4, s16
	s_addc_u32 s17, s37, s17
	s_or_b32 s15, s31, 48
	;; [unrolled: 10-line block ×4, first 2 shown]
	s_ashr_i32 s22, s15, 4
	s_cmp_lt_i32 s15, s30
	s_cselect_b32 s22, s22, s3
	s_delay_alu instid0(SALU_CYCLE_1) | instskip(NEXT) | instid1(SALU_CYCLE_1)
	s_ashr_i32 s23, s22, 31
	s_lshl_b64 s[22:23], s[22:23], 2
	s_delay_alu instid0(SALU_CYCLE_1)
	s_add_u32 s22, s4, s22
	s_addc_u32 s23, s37, s23
	s_clause 0x5
	s_load_b32 s8, s[8:9], 0x0
	s_load_b32 s12, s[12:13], 0x0
	;; [unrolled: 1-line block ×6, first 2 shown]
	s_waitcnt lgkmcnt(0)
	s_mul_hi_i32 s17, s16, s5
	s_mul_i32 s16, s16, s5
	s_waitcnt vmcnt(1)
	v_mad_i64_i32 v[1:2], null, v5, s5, 0
	v_and_b32_e32 v5, 0xf0, v3
	s_waitcnt vmcnt(0)
	v_mad_i64_i32 v[3:4], null, v6, s5, 0
	s_delay_alu instid0(VALU_DEP_2) | instskip(NEXT) | instid1(VALU_DEP_4)
	v_add_co_u32 v5, s9, s24, v5
	v_lshlrev_b64 v[1:2], 1, v[1:2]
	v_add_co_ci_u32_e64 v6, null, s25, 0, s9
	s_delay_alu instid0(VALU_DEP_4) | instskip(SKIP_1) | instid1(VALU_DEP_3)
	v_lshlrev_b64 v[3:4], 1, v[3:4]
	s_or_b32 s9, s31, 0x60
	v_add_co_u32 v1, vcc_lo, v5, v1
	s_delay_alu instid0(VALU_DEP_3) | instskip(NEXT) | instid1(VALU_DEP_3)
	v_add_co_ci_u32_e32 v2, vcc_lo, v6, v2, vcc_lo
	v_add_co_u32 v3, vcc_lo, v5, v3
	s_delay_alu instid0(VALU_DEP_4)
	v_add_co_ci_u32_e32 v4, vcc_lo, v6, v4, vcc_lo
	s_clause 0x9
	global_load_b128 v[9:12], v[1:2], off
	global_load_b128 v[13:16], v[1:2], off offset:256
	global_load_b128 v[137:140], v[3:4], off
	global_load_b128 v[141:144], v[3:4], off offset:256
	global_load_b128 v[41:44], v[1:2], off offset:512
	;; [unrolled: 1-line block ×7, first 2 shown]
	v_cmp_ne_u32_e32 vcc_lo, 15, v148
	s_clause 0x1
	global_load_b128 v[151:154], v[3:4], off offset:1024
	global_load_b128 v[155:158], v[3:4], off offset:1280
	s_ashr_i32 s13, s9, 4
	s_cmp_lt_i32 s9, s30
	v_lshlrev_b32_e32 v6, 5, v148
	v_cndmask_b32_e32 v5, 0, v148, vcc_lo
	s_cselect_b32 s22, s13, s3
	s_delay_alu instid0(SALU_CYCLE_1) | instskip(NEXT) | instid1(VALU_DEP_1)
	s_ashr_i32 s23, s22, 31
	v_lshlrev_b32_e32 v197, 6, v5
	ds_load_b128 v[159:162], v197
	ds_load_b128 v[163:166], v197 offset:1024
	s_clause 0x3
	global_load_b128 v[167:170], v[1:2], off offset:1536
	global_load_b128 v[171:174], v[1:2], off offset:1792
	;; [unrolled: 1-line block ×4, first 2 shown]
	s_lshl_b64 s[22:23], s[22:23], 2
	v_lshl_or_b32 v5, v149, 9, v6
	s_add_u32 s22, s4, s22
	s_addc_u32 s23, s37, s23
	s_or_b32 s9, s31, 0x70
	s_load_b32 s46, s[22:23], 0x0
	s_ashr_i32 s13, s9, 4
	s_cmp_lt_i32 s9, s30
	s_cselect_b32 s24, s13, s3
	s_delay_alu instid0(SALU_CYCLE_1) | instskip(NEXT) | instid1(SALU_CYCLE_1)
	s_ashr_i32 s25, s24, 31
	s_lshl_b64 s[24:25], s[24:25], 2
	s_delay_alu instid0(SALU_CYCLE_1)
	s_add_u32 s24, s4, s24
	s_addc_u32 s25, s37, s25
	s_or_b32 s9, s31, 0x80
	s_load_b32 s47, s[24:25], 0x0
	s_ashr_i32 s13, s9, 4
	s_cmp_lt_i32 s9, s30
	s_cselect_b32 s26, s13, s3
	s_delay_alu instid0(SALU_CYCLE_1) | instskip(NEXT) | instid1(SALU_CYCLE_1)
	s_ashr_i32 s27, s26, 31
	s_lshl_b64 s[26:27], s[26:27], 2
	s_delay_alu instid0(SALU_CYCLE_1)
	s_add_u32 s26, s4, s26
	s_addc_u32 s27, s37, s27
	s_or_b32 s9, s31, 0x90
	s_load_b32 s48, s[26:27], 0x0
	s_ashr_i32 s13, s9, 4
	s_cmp_lt_i32 s9, s30
	s_cselect_b32 s28, s13, s3
	s_delay_alu instid0(SALU_CYCLE_1) | instskip(NEXT) | instid1(SALU_CYCLE_1)
	s_ashr_i32 s29, s28, 31
	s_lshl_b64 s[28:29], s[28:29], 2
	s_delay_alu instid0(SALU_CYCLE_1) | instskip(SKIP_2) | instid1(SALU_CYCLE_1)
	s_add_u32 s28, s4, s28
	s_addc_u32 s29, s37, s29
	s_or_b32 s9, s31, 0xa0
	s_ashr_i32 s13, s9, 4
	s_cmp_lt_i32 s9, s30
	s_cselect_b32 s38, s13, s3
	s_delay_alu instid0(SALU_CYCLE_1) | instskip(NEXT) | instid1(SALU_CYCLE_1)
	s_ashr_i32 s39, s38, 31
	s_lshl_b64 s[38:39], s[38:39], 2
	s_delay_alu instid0(SALU_CYCLE_1) | instskip(SKIP_2) | instid1(SALU_CYCLE_1)
	s_add_u32 s38, s4, s38
	s_addc_u32 s39, s37, s39
	s_or_b32 s9, s31, 0xb0
	s_ashr_i32 s13, s9, 4
	s_cmp_lt_i32 s9, s30
	s_mul_hi_i32 s9, s8, s5
	s_cselect_b32 s40, s13, s3
	s_mul_i32 s8, s8, s5
	s_ashr_i32 s41, s40, 31
	s_mul_hi_i32 s13, s12, s5
	s_lshl_b64 s[40:41], s[40:41], 2
	s_mul_i32 s12, s12, s5
	s_add_u32 s42, s4, s40
	s_addc_u32 s43, s37, s41
	s_or_b32 s19, s31, 0xc0
	s_delay_alu instid0(SALU_CYCLE_1)
	s_ashr_i32 s21, s19, 4
	s_cmp_lt_i32 s19, s30
	s_mul_hi_i32 s19, s18, s5
	s_cselect_b32 s40, s21, s3
	s_mul_i32 s18, s18, s5
	s_ashr_i32 s41, s40, 31
	s_mul_hi_i32 s21, s20, s5
	s_lshl_b64 s[40:41], s[40:41], 2
	s_mul_i32 s20, s20, s5
	s_add_u32 s44, s4, s40
	s_addc_u32 s45, s37, s41
	s_load_b32 s41, s[28:29], 0x0
	s_or_b32 s40, s31, 0xd0
	s_mul_hi_i32 s23, s15, s5
	s_ashr_i32 s22, s40, 4
	s_cmp_lt_i32 s40, s30
	s_load_b32 s40, s[38:39], 0x0
	s_cselect_b32 s24, s22, s3
	s_mul_i32 s22, s15, s5
	s_ashr_i32 s25, s24, 31
	s_waitcnt lgkmcnt(0)
	s_mul_hi_i32 s29, s48, s5
	s_lshl_b64 s[24:25], s[24:25], 2
	s_mul_i32 s28, s48, s5
	s_add_u32 s24, s4, s24
	s_addc_u32 s25, s37, s25
	s_or_b32 s49, s31, 0xe0
	s_clause 0x2
	s_load_b32 s39, s[42:43], 0x0
	s_load_b32 s38, s[44:45], 0x0
	;; [unrolled: 1-line block ×3, first 2 shown]
	s_ashr_i32 s50, s49, 4
	s_cmp_lt_i32 s49, s30
	s_mul_hi_i32 s25, s46, s5
	s_cselect_b32 s44, s50, s3
	s_mul_i32 s24, s46, s5
	s_ashr_i32 s45, s44, 31
	s_mul_hi_i32 s27, s47, s5
	s_lshl_b64 s[44:45], s[44:45], 2
	s_mul_i32 s26, s47, s5
	s_add_u32 s44, s4, s44
	s_addc_u32 s45, s37, s45
	s_or_b32 s46, s31, 0xf0
	s_mul_hi_i32 s43, s41, s5
	s_ashr_i32 s48, s46, 4
	s_cmp_lt_i32 s46, s30
	s_mul_i32 s42, s41, s5
	s_cselect_b32 s48, s48, s3
	s_mul_hi_i32 s41, s40, s5
	s_ashr_i32 s49, s48, 31
	s_mul_i32 s40, s40, s5
	s_lshl_b64 s[48:49], s[48:49], 2
	s_waitcnt lgkmcnt(0)
	s_mul_hi_i32 s47, s39, s5
	s_add_u32 s48, s4, s48
	s_addc_u32 s49, s37, s49
	s_add_u32 s3, s10, s6
	s_addc_u32 s4, s11, s7
	v_add_co_u32 v195, s3, s3, v5
	s_delay_alu instid0(VALU_DEP_1) | instskip(SKIP_2) | instid1(VALU_DEP_2)
	v_add_co_ci_u32_e64 v196, null, s4, 0, s3
	s_lshl_b64 s[6:7], s[8:9], 1
	s_lshl_b64 s[8:9], s[12:13], 1
	v_add_co_u32 v1, vcc_lo, v195, s6
	s_delay_alu instid0(VALU_DEP_2)
	v_add_co_ci_u32_e32 v2, vcc_lo, s7, v196, vcc_lo
	v_add_co_u32 v3, vcc_lo, v195, s8
	s_lshl_b64 s[10:11], s[16:17], 1
	v_add_co_ci_u32_e32 v4, vcc_lo, s9, v196, vcc_lo
	v_add_co_u32 v5, vcc_lo, v195, s10
	s_lshl_b64 s[12:13], s[18:19], 1
	;; [unrolled: 3-line block ×9, first 2 shown]
	s_mul_i32 s46, s39, s5
	v_add_co_ci_u32_e32 v54, vcc_lo, s27, v196, vcc_lo
	v_add_co_u32 v183, vcc_lo, v195, s28
	s_lshl_b64 s[40:41], s[46:47], 1
	s_mul_hi_i32 s39, s38, s5
	s_mul_i32 s38, s38, s5
	v_add_co_ci_u32_e32 v184, vcc_lo, s29, v196, vcc_lo
	v_add_co_u32 v185, vcc_lo, v195, s40
	s_lshl_b64 s[38:39], s[38:39], 1
	s_clause 0x1
	s_load_b32 s3, s[44:45], 0x0
	s_load_b32 s4, s[48:49], 0x0
	v_add_co_ci_u32_e32 v186, vcc_lo, s41, v196, vcc_lo
	v_add_co_u32 v191, vcc_lo, v195, s38
	v_add_co_ci_u32_e32 v192, vcc_lo, s39, v196, vcc_lo
	s_clause 0x17
	global_load_b128 v[121:124], v[1:2], off
	global_load_b128 v[125:128], v[1:2], off offset:16
	global_load_b128 v[113:116], v[3:4], off
	global_load_b128 v[117:120], v[3:4], off offset:16
	;; [unrolled: 2-line block ×12, first 2 shown]
	s_mul_hi_i32 s51, s15, s5
	s_mul_i32 s50, s15, s5
	s_delay_alu instid0(SALU_CYCLE_1) | instskip(NEXT) | instid1(SALU_CYCLE_1)
	s_lshl_b64 s[42:43], s[50:51], 1
	v_add_co_u32 v193, vcc_lo, v195, s42
	v_add_co_ci_u32_e32 v194, vcc_lo, s43, v196, vcc_lo
	s_waitcnt lgkmcnt(0)
	s_mul_hi_i32 s7, s3, s5
	s_mul_i32 s6, s3, s5
	s_mul_hi_i32 s9, s4, s5
	s_lshl_b64 s[6:7], s[6:7], 1
	s_mul_i32 s8, s4, s5
	s_delay_alu instid0(SALU_CYCLE_1)
	s_lshl_b64 s[4:5], s[8:9], 1
	s_waitcnt vmcnt(38)
	v_wmma_f32_16x16x16_f16 v[183:190], v[9:16], v[159:166], v[129:136]
	s_waitcnt vmcnt(36)
	v_wmma_f32_16x16x16_f16 v[129:136], v[137:144], v[159:166], v[129:136]
	s_clause 0x1
	global_load_b128 v[9:12], v[191:192], off
	global_load_b128 v[13:16], v[191:192], off offset:16
	ds_load_b128 v[137:140], v197 offset:2048
	ds_load_b128 v[141:144], v197 offset:3072
	;; [unrolled: 1-line block ×4, first 2 shown]
	v_add_co_u32 v191, vcc_lo, v195, s6
	v_add_co_ci_u32_e32 v192, vcc_lo, s7, v196, vcc_lo
	v_add_co_u32 v195, vcc_lo, v195, s4
	v_add_co_ci_u32_e32 v196, vcc_lo, s5, v196, vcc_lo
	s_waitcnt vmcnt(36) lgkmcnt(2)
	v_wmma_f32_16x16x16_f16 v[183:190], v[41:48], v[137:144], v[183:190]
	s_waitcnt vmcnt(34)
	v_wmma_f32_16x16x16_f16 v[129:136], v[33:40], v[137:144], v[129:136]
	s_clause 0x3
	global_load_b128 v[33:36], v[193:194], off
	global_load_b128 v[37:40], v[193:194], off offset:16
	global_load_b128 v[41:44], v[191:192], off
	global_load_b128 v[45:48], v[191:192], off offset:16
	v_and_b32_e32 v137, 0xe0, v0
	v_mbcnt_lo_u32_b32 v191, -1, 0
	s_waitcnt vmcnt(36) lgkmcnt(0)
	v_wmma_f32_16x16x16_f16 v[183:190], v[17:24], v[159:166], v[183:190]
	s_clause 0x1
	global_load_b128 v[17:20], v[195:196], off
	global_load_b128 v[21:24], v[195:196], off offset:16
	s_waitcnt vmcnt(36)
	v_wmma_f32_16x16x16_f16 v[129:136], v[151:158], v[159:166], v[129:136]
	v_add_nc_u32_e32 v192, s31, v137
	ds_load_b128 v[137:140], v197 offset:6144
	ds_load_b128 v[141:144], v197 offset:7168
	v_xor_b32_e32 v151, 16, v191
	s_waitcnt vmcnt(0) lgkmcnt(0)
	s_barrier
	v_or_b32_e32 v152, v192, v146
	buffer_gl0_inv
	v_cmp_gt_i32_e32 vcc_lo, 32, v151
	v_or_b32_e32 v153, 2, v152
	v_or_b32_e32 v154, 4, v152
	;; [unrolled: 1-line block ×5, first 2 shown]
	v_cmp_gt_i32_e64 s3, s30, v153
	v_cmp_gt_i32_e64 s4, s30, v154
	;; [unrolled: 1-line block ×3, first 2 shown]
	v_or_b32_e32 v158, 12, v152
	v_or_b32_e32 v159, 14, v152
	v_cmp_gt_i32_e64 s6, s30, v156
	v_wmma_f32_16x16x16_f16 v[183:190], v[167:174], v[137:144], v[183:190]
	v_wmma_f32_16x16x16_f16 v[129:136], v[175:182], v[137:144], v[129:136]
	v_cndmask_b32_e32 v151, v191, v151, vcc_lo
	v_cmp_gt_i32_e32 vcc_lo, s30, v152
	v_cmp_gt_i32_e64 s7, s30, v157
	v_dual_mul_f32 v143, s36, v184 :: v_dual_mul_f32 v144, s36, v183
	v_dual_mul_f32 v141, s36, v186 :: v_dual_mul_f32 v142, s36, v185
	;; [unrolled: 1-line block ×3, first 2 shown]
	s_delay_alu instid0(VALU_DEP_3) | instskip(NEXT) | instid1(VALU_DEP_4)
	v_cndmask_b32_e32 v144, 0xff7fffff, v144, vcc_lo
	v_cndmask_b32_e64 v143, 0xff7fffff, v143, s3
	v_mul_f32_e32 v140, s36, v187
	v_cndmask_b32_e64 v142, 0xff7fffff, v142, s4
	v_cndmask_b32_e64 v141, 0xff7fffff, v141, s5
	v_or_b32_e32 v160, 16, v152
	v_max3_f32 v143, v144, 0xff7fffff, v143
	v_or_b32_e32 v161, 18, v152
	v_dual_mul_f32 v137, s36, v190 :: v_dual_mul_f32 v138, s36, v189
	v_cndmask_b32_e64 v140, 0xff7fffff, v140, s6
	v_cndmask_b32_e64 v139, 0xff7fffff, v139, s7
	v_max3_f32 v141, v143, v142, v141
	v_cmp_gt_i32_e64 s8, s30, v158
	v_cmp_gt_i32_e64 s9, s30, v159
	v_or_b32_e32 v162, 20, v152
	v_or_b32_e32 v163, 22, v152
	v_mul_f32_e32 v175, s36, v129
	v_cndmask_b32_e64 v138, 0xff7fffff, v138, s8
	v_cndmask_b32_e64 v137, 0xff7fffff, v137, s9
	v_max3_f32 v139, v141, v140, v139
	v_cmp_gt_i32_e64 s10, s30, v160
	v_cmp_gt_i32_e64 s11, s30, v161
	v_or_b32_e32 v164, 24, v152
	v_or_b32_e32 v165, 26, v152
	v_dual_mul_f32 v172, s36, v132 :: v_dual_mul_f32 v173, s36, v131
	v_cndmask_b32_e64 v140, 0xff7fffff, v175, s10
	v_cndmask_b32_e64 v141, 0xff7fffff, v174, s11
	v_max3_f32 v137, v139, v138, v137
	v_cmp_gt_i32_e64 s12, s30, v162
	v_cmp_gt_i32_e64 s13, s30, v163
	v_or_b32_e32 v166, 28, v152
	v_or_b32_e32 v167, 30, v152
	v_dual_mul_f32 v170, s36, v134 :: v_dual_mul_f32 v171, s36, v133
	v_cndmask_b32_e64 v138, 0xff7fffff, v173, s12
	v_cndmask_b32_e64 v139, 0xff7fffff, v172, s13
	v_max3_f32 v137, v137, v140, v141
	v_cmp_gt_i32_e64 s15, s30, v164
	v_cmp_gt_i32_e64 s16, s30, v165
	v_dual_mul_f32 v168, s36, v136 :: v_dual_mul_f32 v169, s36, v135
	s_delay_alu instid0(VALU_DEP_4) | instskip(NEXT) | instid1(VALU_DEP_4)
	v_max3_f32 v137, v137, v138, v139
	v_cndmask_b32_e64 v140, 0xff7fffff, v171, s15
	s_delay_alu instid0(VALU_DEP_4) | instskip(SKIP_3) | instid1(VALU_DEP_4)
	v_cndmask_b32_e64 v141, 0xff7fffff, v170, s16
	v_cmp_gt_i32_e64 s17, s30, v166
	v_cmp_gt_i32_e64 s18, s30, v167
	v_lshlrev_b32_e32 v160, 2, v151
	v_max3_f32 v137, v137, v140, v141
	s_delay_alu instid0(VALU_DEP_4) | instskip(NEXT) | instid1(VALU_DEP_4)
	v_cndmask_b32_e64 v138, 0xff7fffff, v169, s17
	v_cndmask_b32_e64 v139, 0xff7fffff, v168, s18
	s_delay_alu instid0(VALU_DEP_1) | instskip(SKIP_3) | instid1(VALU_DEP_1)
	v_max3_f32 v137, v137, v138, v139
	ds_bpermute_b32 v138, v160, v137
	s_waitcnt lgkmcnt(0)
	v_max_f32_e32 v138, v138, v138
	v_max_f32_e32 v137, v137, v138
	s_delay_alu instid0(VALU_DEP_1) | instskip(SKIP_4) | instid1(VALU_DEP_4)
	v_fma_f32 v143, s36, v187, -v137
	v_fma_f32 v130, s36, v130, -v137
	;; [unrolled: 1-line block ×5, first 2 shown]
	v_dual_mul_f32 v143, 0x3fb8aa3b, v143 :: v_dual_mul_f32 v130, 0x3fb8aa3b, v130
	s_delay_alu instid0(VALU_DEP_4) | instskip(SKIP_2) | instid1(VALU_DEP_4)
	v_mul_f32_e32 v140, 0x3fb8aa3b, v140
	v_fma_f32 v152, s36, v189, -v137
	v_fma_f32 v139, s36, v184, -v137
	v_exp_f32_e32 v143, v143
	v_mul_f32_e32 v138, 0x3fb8aa3b, v138
	v_exp_f32_e32 v140, v140
	v_mul_f32_e32 v152, 0x3fb8aa3b, v152
	v_fma_f32 v153, s36, v190, -v137
	v_fma_f32 v144, s36, v188, -v137
	v_exp_f32_e32 v138, v138
	v_fma_f32 v129, s36, v129, -v137
	v_exp_f32_e32 v152, v152
	v_fma_f32 v134, s36, v134, -v137
	v_cndmask_b32_e64 v143, 0, v143, s6
	v_dual_mul_f32 v141, 0x3fb8aa3b, v141 :: v_dual_mul_f32 v144, 0x3fb8aa3b, v144
	v_fma_f32 v132, s36, v132, -v137
	v_mul_f32_e32 v129, 0x3fb8aa3b, v129
	v_exp_f32_e32 v130, v130
	s_delay_alu instid0(VALU_DEP_3)
	v_exp_f32_e32 v151, v141
	v_cndmask_b32_e64 v141, 0, v140, s4
	v_dual_mul_f32 v132, 0x3fb8aa3b, v132 :: v_dual_mul_f32 v139, 0x3fb8aa3b, v139
	v_exp_f32_e32 v144, v144
	v_mul_f32_e32 v134, 0x3fb8aa3b, v134
	v_exp_f32_e32 v129, v129
	v_fma_f32 v131, s36, v131, -v137
	v_exp_f32_e32 v142, v139
	v_exp_f32_e32 v132, v132
	v_cndmask_b32_e64 v140, 0, v151, s5
	v_mul_f32_e32 v151, 0x3fb8aa3b, v153
	v_fma_f32 v133, s36, v133, -v137
	s_delay_alu instid0(VALU_DEP_2) | instskip(SKIP_2) | instid1(TRANS32_DEP_3)
	v_exp_f32_e32 v154, v151
	v_cndmask_b32_e64 v151, 0, v152, s8
	v_cndmask_b32_e32 v139, 0, v138, vcc_lo
	v_cndmask_b32_e64 v138, 0, v142, s3
	v_cmp_gt_u32_e64 s3, 16, v150
	s_delay_alu instid0(VALU_DEP_3) | instskip(NEXT) | instid1(VALU_DEP_1)
	v_add_f32_e32 v142, 0, v139
	v_add_f32_e32 v142, v142, v138
	s_delay_alu instid0(VALU_DEP_1) | instskip(NEXT) | instid1(VALU_DEP_1)
	v_add_f32_e32 v142, v142, v141
	v_add_f32_e32 v153, v142, v140
	v_cndmask_b32_e64 v142, 0, v144, s7
	s_delay_alu instid0(VALU_DEP_2) | instskip(SKIP_1) | instid1(VALU_DEP_2)
	v_add_f32_e32 v144, v153, v143
	v_cndmask_b32_e64 v153, 0, v129, s10
	v_add_f32_e32 v152, v144, v142
	v_cndmask_b32_e64 v144, 0, v154, s9
	v_cndmask_b32_e64 v154, 0, v132, s13
	v_fma_f32 v132, s36, v136, -v137
	s_delay_alu instid0(VALU_DEP_4) | instskip(NEXT) | instid1(VALU_DEP_2)
	v_dual_mul_f32 v133, 0x3fb8aa3b, v133 :: v_dual_add_f32 v152, v152, v151
	v_mul_f32_e32 v132, 0x3fb8aa3b, v132
	s_delay_alu instid0(VALU_DEP_2) | instskip(NEXT) | instid1(VALU_DEP_2)
	v_exp_f32_e32 v133, v133
	v_add_f32_e32 v129, v152, v144
	v_cndmask_b32_e64 v152, 0, v130, s11
	v_fma_f32 v130, s36, v135, -v137
	v_mul_f32_e32 v131, 0x3fb8aa3b, v131
	s_delay_alu instid0(VALU_DEP_2) | instskip(NEXT) | instid1(VALU_DEP_2)
	v_dual_add_f32 v129, v129, v153 :: v_dual_mul_f32 v130, 0x3fb8aa3b, v130
	v_exp_f32_e32 v131, v131
	s_delay_alu instid0(TRANS32_DEP_2) | instskip(NEXT) | instid1(VALU_DEP_2)
	v_cndmask_b32_e64 v157, 0, v133, s15
	v_add_f32_e32 v129, v129, v152
	s_delay_alu instid0(VALU_DEP_3) | instskip(SKIP_4) | instid1(VALU_DEP_2)
	v_exp_f32_e32 v130, v130
	s_waitcnt_depctr 0xfff
	v_cndmask_b32_e64 v155, 0, v131, s12
	v_exp_f32_e32 v131, v134
	v_cndmask_b32_e64 v159, 0, v130, s17
	v_add_f32_e32 v129, v129, v155
	s_delay_alu instid0(VALU_DEP_1) | instskip(SKIP_4) | instid1(VALU_DEP_1)
	v_add_f32_e32 v129, v129, v154
	s_waitcnt_depctr 0xfff
	v_cndmask_b32_e64 v156, 0, v131, s16
	v_exp_f32_e32 v131, v132
	v_add_f32_e32 v129, v129, v157
	v_add_f32_e32 v129, v129, v156
	s_waitcnt_depctr 0xfff
	v_cndmask_b32_e64 v158, 0, v131, s18
	v_add_f32_e32 v129, v129, v159
	s_delay_alu instid0(VALU_DEP_1)
	v_add_f32_e32 v129, v129, v158
	ds_bpermute_b32 v130, v160, v129
	s_and_saveexec_b32 s4, s3
	s_cbranch_execz .LBB108_12
; %bb.11:
	v_mul_u32_u24_e32 v131, 0x44, v149
	s_delay_alu instid0(VALU_DEP_1) | instskip(SKIP_1) | instid1(VALU_DEP_1)
	v_lshl_add_u32 v131, v148, 2, v131
	s_waitcnt lgkmcnt(0)
	v_dual_add_f32 v129, v129, v130 :: v_dual_add_nc_u32 v130, 0x4000, v131
	ds_store_2addr_b32 v130, v137, v129 offset1:136
.LBB108_12:
	s_or_b32 exec_lo, exec_lo, s4
	v_lshlrev_b32_e32 v129, 2, v148
	s_load_b32 s36, s[0:1], 0x94
	s_waitcnt lgkmcnt(0)
	s_barrier
	buffer_gl0_inv
	v_add_nc_u32_e32 v135, 0x4000, v129
	v_cmp_eq_u32_e32 vcc_lo, 1, v149
	v_cmp_eq_u32_e64 s4, 2, v149
	v_cmp_eq_u32_e64 s5, 3, v149
	;; [unrolled: 1-line block ×3, first 2 shown]
	ds_load_2addr_b32 v[129:130], v135 offset1:17
	ds_load_2addr_b32 v[131:132], v135 offset0:34 offset1:51
	ds_load_2addr_b32 v[133:134], v135 offset0:68 offset1:85
	;; [unrolled: 1-line block ×3, first 2 shown]
	v_cmp_eq_u32_e64 s7, 5, v149
	v_cmp_eq_u32_e64 s8, 7, v149
	s_waitcnt lgkmcnt(3)
	v_max3_f32 v136, v129, 0xff7fffff, v130
	s_waitcnt lgkmcnt(2)
	s_delay_alu instid0(VALU_DEP_1) | instskip(SKIP_1) | instid1(VALU_DEP_1)
	v_max3_f32 v136, v136, v131, v132
	s_waitcnt lgkmcnt(1)
	v_max3_f32 v136, v136, v133, v134
	s_waitcnt lgkmcnt(0)
	s_delay_alu instid0(VALU_DEP_1) | instskip(NEXT) | instid1(VALU_DEP_1)
	v_max3_f32 v136, v136, v160, v161
	v_sub_f32_e32 v164, v132, v136
	ds_load_2addr_b32 v[162:163], v135 offset0:136 offset1:153
	v_sub_f32_e32 v129, v129, v136
	v_sub_f32_e32 v137, v130, v136
	;; [unrolled: 1-line block ×3, first 2 shown]
	v_mul_f32_e32 v164, 0x3fb8aa3b, v164
	s_delay_alu instid0(VALU_DEP_4) | instskip(NEXT) | instid1(VALU_DEP_4)
	v_mul_f32_e32 v150, 0x3fb8aa3b, v129
	v_mul_f32_e32 v137, 0x3fb8aa3b, v137
	ds_load_2addr_b32 v[129:130], v135 offset0:170 offset1:187
	v_mul_f32_e32 v167, 0x3fb8aa3b, v133
	v_exp_f32_e32 v164, v164
	v_exp_f32_e32 v150, v150
	;; [unrolled: 1-line block ×3, first 2 shown]
	v_sub_f32_e32 v131, v131, v136
	s_delay_alu instid0(VALU_DEP_1)
	v_mul_f32_e32 v165, 0x3fb8aa3b, v131
	ds_load_2addr_b32 v[131:132], v135 offset0:204 offset1:221
	s_waitcnt lgkmcnt(2)
	v_fma_f32 v137, v150, v162, 0
	v_sub_f32_e32 v162, v134, v136
	v_exp_f32_e32 v165, v165
	ds_load_2addr_b32 v[133:134], v135 offset0:238 offset1:255
	v_sub_f32_e32 v135, v160, v136
	v_dual_fmac_f32 v137, v166, v163 :: v_dual_mul_f32 v160, 0x3fb8aa3b, v162
	v_exp_f32_e32 v162, v167
	s_waitcnt lgkmcnt(0)
	s_delay_alu instid0(VALU_DEP_2)
	v_mul_f32_e32 v135, 0x3fb8aa3b, v135
	s_barrier
	v_exp_f32_e32 v160, v160
	v_fmac_f32_e32 v137, v165, v129
	v_sub_f32_e32 v129, v161, v136
	v_exp_f32_e32 v161, v135
	buffer_gl0_inv
	v_fmac_f32_e32 v137, v164, v130
	v_dual_mul_f32 v129, 0x3fb8aa3b, v129 :: v_dual_cndmask_b32 v130, v150, v166
	s_delay_alu instid0(VALU_DEP_2) | instskip(NEXT) | instid1(VALU_DEP_2)
	v_fmac_f32_e32 v137, v162, v131
	v_exp_f32_e32 v163, v129
	s_delay_alu instid0(VALU_DEP_1) | instskip(NEXT) | instid1(VALU_DEP_1)
	v_fmac_f32_e32 v137, v160, v132
	v_fmac_f32_e32 v137, v161, v133
	v_lshlrev_b32_e32 v133, 6, v148
	s_waitcnt_depctr 0xfff
	v_fmac_f32_e32 v137, v163, v134
	v_lshl_or_b32 v135, v149, 11, v133
	s_delay_alu instid0(VALU_DEP_2) | instskip(NEXT) | instid1(VALU_DEP_1)
	v_add_f32_e32 v134, 0x358637bd, v137
	v_div_scale_f32 v167, null, v134, v134, 1.0
	v_div_scale_f32 v150, vcc_lo, 1.0, v134, 1.0
	s_delay_alu instid0(VALU_DEP_2) | instskip(SKIP_2) | instid1(VALU_DEP_1)
	v_rcp_f32_e32 v168, v167
	s_waitcnt_depctr 0xfff
	v_fma_f32 v129, -v167, v168, 1.0
	v_fmac_f32_e32 v168, v129, v168
	v_cndmask_b32_e64 v129, v130, v165, s4
	v_cmp_eq_u32_e64 s4, 6, v149
	s_delay_alu instid0(VALU_DEP_3) | instskip(NEXT) | instid1(VALU_DEP_3)
	v_mul_f32_e32 v165, v150, v168
	v_cndmask_b32_e64 v130, v129, v164, s5
	v_lshlrev_b32_e32 v129, 2, v146
	s_delay_alu instid0(VALU_DEP_3) | instskip(NEXT) | instid1(VALU_DEP_3)
	v_fma_f32 v131, -v167, v165, v150
	v_cndmask_b32_e64 v162, v130, v162, s6
	s_delay_alu instid0(VALU_DEP_3)
	v_or_b32_e32 v130, 1, v129
	v_or_b32_e32 v132, 2, v129
	v_cmp_eq_u32_e64 s5, 1, v129
	v_fmac_f32_e32 v165, v131, v168
	v_cndmask_b32_e64 v149, v162, v160, s7
	v_or_b32_e32 v131, 3, v129
	v_cmp_eq_u32_e64 s10, 1, v130
	v_cmp_eq_u32_e64 s11, 1, v132
	v_fma_f32 v150, -v167, v165, v150
	v_cndmask_b32_e64 v149, v149, v161, s4
	v_cmp_eq_u32_e64 s12, 1, v131
	v_cmp_eq_u32_e64 s6, 2, v129
	;; [unrolled: 1-line block ×3, first 2 shown]
	v_div_fmas_f32 v150, v150, v168, v165
	v_cndmask_b32_e64 v149, v149, v163, s8
	v_cmp_eq_u32_e64 s16, 2, v132
	v_cmp_eq_u32_e64 s17, 2, v131
	v_cmp_eq_u32_e32 vcc_lo, 3, v129
	v_div_fixup_f32 v150, v150, v134, 1.0
	v_lshl_or_b32 v134, v146, 4, v135
	v_cmp_eq_u32_e64 s15, 3, v130
	v_cmp_eq_u32_e64 s19, 3, v131
	;; [unrolled: 1-line block ×3, first 2 shown]
	v_mul_f32_e32 v149, v149, v150
	v_cmp_eq_u32_e64 s18, 3, v132
	v_cmp_eq_u32_e64 s20, 4, v130
	;; [unrolled: 1-line block ×4, first 2 shown]
	v_fma_mixlo_f16 v160, v149, v139, 0
	v_fma_mixlo_f16 v161, v149, v141, 0
	;; [unrolled: 1-line block ×8, first 2 shown]
	v_fma_mixhi_f16 v160, v149, v138, 0
	v_fma_mixhi_f16 v161, v149, v140, 0
	;; [unrolled: 1-line block ×8, first 2 shown]
	ds_store_b128 v134, v[160:163]
	ds_store_b128 v134, v[164:167] offset:1024
	s_waitcnt lgkmcnt(0)
	s_barrier
	buffer_gl0_inv
	ds_load_b128 v[138:141], v135
	ds_load_b128 v[149:152], v135 offset:16
	ds_load_b128 v[153:156], v135 offset:1024
	;; [unrolled: 1-line block ×3, first 2 shown]
	v_cmp_eq_u32_e64 s21, 5, v130
	v_cmp_eq_u32_e64 s22, 4, v132
	;; [unrolled: 1-line block ×12, first 2 shown]
	s_waitcnt lgkmcnt(3)
	v_lshrrev_b32_e32 v142, 16, v138
	s_waitcnt lgkmcnt(2)
	v_lshrrev_b32_e32 v162, 16, v149
	;; [unrolled: 2-line block ×4, first 2 shown]
	v_lshrrev_b32_e32 v143, 16, v139
	v_cndmask_b32_e64 v174, v138, v142, s5
	v_cndmask_b32_e64 v175, v149, v162, s5
	;; [unrolled: 1-line block ×7, first 2 shown]
	v_lshrrev_b32_e32 v163, 16, v150
	v_cndmask_b32_e64 v179, v149, v162, s11
	v_cndmask_b32_e64 v149, v153, v166, s5
	;; [unrolled: 1-line block ×16, first 2 shown]
	v_lshrrev_b32_e32 v167, 16, v154
	v_lshrrev_b32_e32 v171, 16, v158
	v_cndmask_b32_e64 v177, v179, v150, s16
	v_cndmask_b32_e64 v142, v149, v154, s6
	v_cndmask_b32_e64 v149, v162, v158, s6
	v_cndmask_b32_e64 v150, v180, v154, s13
	v_cndmask_b32_e64 v162, v182, v154, s16
	v_cndmask_b32_e64 v153, v153, v154, s17
	v_cndmask_b32_e64 v154, v157, v158, s17
	v_cndmask_b32_e32 v157, v166, v143, vcc_lo
	v_cndmask_b32_e32 v166, v170, v163, vcc_lo
	v_cndmask_b32_e64 v170, v174, v143, s15
	v_cndmask_b32_e64 v174, v175, v163, s15
	;; [unrolled: 1-line block ×4, first 2 shown]
	v_lshrrev_b32_e32 v144, 16, v140
	v_lshrrev_b32_e32 v164, 16, v151
	v_cndmask_b32_e64 v175, v176, v143, s18
	v_cndmask_b32_e64 v176, v177, v163, s18
	v_cndmask_b32_e32 v142, v142, v167, vcc_lo
	v_cndmask_b32_e32 v143, v149, v171, vcc_lo
	v_cndmask_b32_e64 v149, v150, v167, s15
	v_cndmask_b32_e64 v150, v157, v140, s4
	;; [unrolled: 1-line block ×7, first 2 shown]
	v_lshrrev_b32_e32 v168, 16, v155
	v_cndmask_b32_e64 v170, v175, v140, s22
	v_cndmask_b32_e64 v174, v176, v151, s22
	;; [unrolled: 1-line block ×11, first 2 shown]
	v_lshrrev_b32_e32 v161, 16, v141
	v_lshrrev_b32_e32 v165, 16, v152
	v_cndmask_b32_e64 v163, v170, v144, s24
	v_cndmask_b32_e64 v166, v174, v164, s24
	;; [unrolled: 1-line block ×9, first 2 shown]
	v_lshrrev_b32_e32 v169, 16, v156
	v_cndmask_b32_e64 v140, v140, v168, s7
	v_cndmask_b32_e64 v157, v163, v141, s27
	v_cndmask_b32_e64 v163, v166, v152, s27
	v_cndmask_b32_e64 v141, v143, v156, s26
	v_cndmask_b32_e64 v143, v144, v161, s9
	v_cndmask_b32_e64 v144, v149, v165, s9
	v_cndmask_b32_e64 v149, v150, v161, s31
	v_cndmask_b32_e64 v138, v138, v161, s30
	v_cndmask_b32_e64 v139, v139, v165, s30
	v_cndmask_b32_e64 v151, v151, v165, s31
	v_cndmask_b32_e64 v140, v140, v156, s8
	v_cndmask_b32_e64 v150, v157, v161, s29
	v_cndmask_b32_e64 v152, v163, v165, s29
	v_cndmask_b32_e64 v161, v141, v169, s31
	v_perm_b32 v141, v139, v138, 0x5040100
	v_perm_b32 v139, v151, v149, 0x5040100
	v_cndmask_b32_e64 v138, v183, v158, s16
	v_cndmask_b32_e64 v149, v181, v158, s13
	;; [unrolled: 1-line block ×3, first 2 shown]
	v_perm_b32 v140, v152, v150, 0x5040100
	v_cndmask_b32_e64 v150, v162, v167, s18
	v_cndmask_b32_e64 v151, v153, v167, s19
	;; [unrolled: 1-line block ×5, first 2 shown]
	v_lshrrev_b32_e32 v172, 16, v159
	v_cndmask_b32_e64 v150, v150, v155, s22
	v_cndmask_b32_e64 v151, v151, v155, s23
	;; [unrolled: 1-line block ×11, first 2 shown]
	v_lshrrev_b32_e32 v173, 16, v160
	v_cndmask_b32_e64 v142, v142, v160, s8
	v_cndmask_b32_e64 v150, v150, v156, s27
	;; [unrolled: 1-line block ×12, first 2 shown]
	v_perm_b32 v138, v144, v143, 0x5040100
	v_perm_b32 v152, v152, v151, 0x5040100
	;; [unrolled: 1-line block ×5, first 2 shown]
	s_mul_i32 s8, s35, 15
	s_mov_b32 s4, exec_lo
	ds_store_b128 v134, v[138:141]
	ds_store_b128 v134, v[149:152] offset:1024
	v_cmpx_gt_u32_e32 15, v0
	s_cbranch_execz .LBB108_14
; %bb.13:
	s_mul_i32 s5, s8, s34
	s_load_b128 s[16:19], s[0:1], 0x58
	v_add3_u32 v140, s5, s33, v148
	s_delay_alu instid0(VALU_DEP_1) | instskip(NEXT) | instid1(VALU_DEP_1)
	v_mad_u64_u32 v[138:139], null, v140, s36, s[14:15]
	v_ashrrev_i32_e32 v139, 31, v138
	s_delay_alu instid0(VALU_DEP_1) | instskip(SKIP_1) | instid1(VALU_DEP_1)
	v_lshlrev_b64 v[138:139], 2, v[138:139]
	s_waitcnt lgkmcnt(0)
	v_add_co_u32 v140, vcc_lo, s18, v138
	s_delay_alu instid0(VALU_DEP_2)
	v_add_co_ci_u32_e32 v141, vcc_lo, s19, v139, vcc_lo
	v_add_co_u32 v138, vcc_lo, s16, v138
	v_add_co_ci_u32_e32 v139, vcc_lo, s17, v139, vcc_lo
	global_store_b32 v[140:141], v136, off
	global_store_b32 v[138:139], v137, off
.LBB108_14:
	s_or_b32 exec_lo, exec_lo, s4
	s_waitcnt lgkmcnt(0)
	s_waitcnt_vscnt null, 0x0
	s_barrier
	buffer_gl0_inv
	ds_load_b128 v[148:151], v133
	ds_load_b128 v[152:155], v133 offset:16
	ds_load_b128 v[160:163], v133 offset:1040
	;; [unrolled: 1-line block ×5, first 2 shown]
	v_cmp_eq_u32_e32 vcc_lo, 1, v132
	v_mov_b32_e32 v136, 0
	ds_load_b128 v[176:179], v133 offset:3088
	ds_load_b128 v[172:175], v133 offset:3072
	;; [unrolled: 1-line block ×4, first 2 shown]
	v_cmp_eq_u32_e64 s4, 1, v129
	v_cmp_eq_u32_e64 s5, 1, v131
	;; [unrolled: 1-line block ×3, first 2 shown]
	v_mov_b32_e32 v137, v136
	v_mov_b32_e32 v138, v136
	;; [unrolled: 1-line block ×7, first 2 shown]
	v_cmp_eq_u32_e64 s7, 2, v129
	s_waitcnt lgkmcnt(8)
	s_delay_alu instid0(VALU_DEP_2)
	v_wmma_f32_16x16x16_f16 v[136:143], v[121:128], v[148:155], v[136:143]
	ds_load_b128 v[125:128], v133 offset:5136
	ds_load_b128 v[121:124], v133 offset:5120
	s_waitcnt lgkmcnt(8)
	v_wmma_f32_16x16x16_f16 v[136:143], v[113:120], v[156:163], v[136:143]
	ds_load_b128 v[117:120], v133 offset:6160
	ds_load_b128 v[113:116], v133 offset:6144
	s_waitcnt lgkmcnt(8)
	;; [unrolled: 4-line block ×11, first 2 shown]
	s_barrier
	buffer_gl0_inv
	v_wmma_f32_16x16x16_f16 v[136:143], v[1:8], v[73:80], v[136:143]
	s_delay_alu instid0(VALU_DEP_1) | instskip(NEXT) | instid1(VALU_DEP_1)
	v_wmma_f32_16x16x16_f16 v[136:143], v[9:16], v[65:72], v[136:143]
	v_wmma_f32_16x16x16_f16 v[136:143], v[33:40], v[57:64], v[136:143]
	s_delay_alu instid0(VALU_DEP_1) | instskip(NEXT) | instid1(VALU_DEP_1)
	v_wmma_f32_16x16x16_f16 v[136:143], v[41:48], v[49:56], v[136:143]
	v_wmma_f32_16x16x16_f16 v[136:143], v[17:24], v[25:32], v[136:143]
	s_delay_alu instid0(VALU_DEP_1) | instskip(NEXT) | instid1(VALU_DEP_2)
	v_cvt_f16_f32_e64 v1, v136
	v_cvt_f16_f32_e64 v2, v137
	s_delay_alu instid0(VALU_DEP_3) | instskip(NEXT) | instid1(VALU_DEP_4)
	v_cvt_f16_f32_e64 v3, v138
	v_cvt_f16_f32_e64 v4, v139
	;; [unrolled: 1-line block ×6, first 2 shown]
	v_pack_b32_f16 v1, v1, v2
	v_pack_b32_f16 v2, v3, v4
	;; [unrolled: 1-line block ×3, first 2 shown]
	s_delay_alu instid0(VALU_DEP_4)
	v_pack_b32_f16 v4, v7, v8
	ds_store_b128 v134, v[1:4]
	s_waitcnt lgkmcnt(0)
	s_barrier
	buffer_gl0_inv
	ds_load_b128 v[1:4], v135
	ds_load_b128 v[5:8], v135 offset:16
	s_waitcnt lgkmcnt(1)
	v_lshrrev_b32_e32 v9, 16, v1
	s_waitcnt lgkmcnt(0)
	v_lshrrev_b32_e32 v13, 16, v5
	v_lshrrev_b32_e32 v10, 16, v2
	;; [unrolled: 1-line block ×4, first 2 shown]
	v_cndmask_b32_e64 v17, v1, v9, s4
	v_cndmask_b32_e64 v18, v5, v13, s4
	;; [unrolled: 1-line block ×3, first 2 shown]
	v_cmp_eq_u32_e64 s4, 2, v130
	v_cndmask_b32_e64 v20, v5, v13, s6
	v_cndmask_b32_e32 v21, v1, v9, vcc_lo
	v_cndmask_b32_e32 v22, v5, v13, vcc_lo
	v_cndmask_b32_e64 v1, v1, v9, s5
	v_cndmask_b32_e64 v5, v5, v13, s5
	v_cmp_eq_u32_e32 vcc_lo, 2, v132
	v_cmp_eq_u32_e64 s5, 2, v131
	v_cndmask_b32_e64 v9, v17, v2, s7
	v_cndmask_b32_e64 v13, v18, v6, s7
	;; [unrolled: 1-line block ×4, first 2 shown]
	v_cndmask_b32_e32 v19, v21, v2, vcc_lo
	v_cmp_eq_u32_e64 s4, 3, v132
	v_cndmask_b32_e32 v20, v22, v6, vcc_lo
	v_cndmask_b32_e64 v1, v1, v2, s5
	v_cmp_eq_u32_e32 vcc_lo, 3, v131
	v_cmp_eq_u32_e64 s6, 3, v129
	v_cndmask_b32_e64 v2, v5, v6, s5
	v_cmp_eq_u32_e64 s5, 3, v130
	v_cmp_eq_u32_e64 s7, 4, v129
	v_cndmask_b32_e32 v1, v1, v10, vcc_lo
	v_cndmask_b32_e64 v5, v9, v10, s6
	v_cndmask_b32_e64 v6, v13, v14, s6
	;; [unrolled: 1-line block ×3, first 2 shown]
	v_cmp_eq_u32_e64 s6, 4, v130
	v_cndmask_b32_e64 v13, v18, v14, s5
	v_cndmask_b32_e64 v17, v19, v10, s4
	;; [unrolled: 1-line block ×3, first 2 shown]
	v_cndmask_b32_e32 v2, v2, v14, vcc_lo
	v_cmp_eq_u32_e32 vcc_lo, 4, v132
	v_cmp_eq_u32_e64 s5, 4, v131
	v_lshrrev_b32_e32 v15, 16, v7
	v_cndmask_b32_e64 v5, v5, v3, s7
	v_cndmask_b32_e64 v6, v6, v7, s7
	v_cndmask_b32_e32 v14, v18, v7, vcc_lo
	v_cndmask_b32_e64 v9, v9, v3, s6
	v_cndmask_b32_e64 v10, v13, v7, s6
	v_cndmask_b32_e32 v13, v17, v3, vcc_lo
	v_cmp_eq_u32_e64 s4, 5, v132
	v_cndmask_b32_e64 v1, v1, v3, s5
	v_cmp_eq_u32_e32 vcc_lo, 5, v131
	v_cmp_eq_u32_e64 s6, 5, v129
	v_cndmask_b32_e64 v2, v2, v7, s5
	v_cmp_eq_u32_e64 s5, 5, v130
	v_cmp_eq_u32_e64 s7, 6, v129
	v_lshrrev_b32_e32 v12, 16, v4
	v_cndmask_b32_e64 v3, v5, v11, s6
	v_cndmask_b32_e64 v5, v6, v15, s6
	;; [unrolled: 1-line block ×3, first 2 shown]
	v_cmp_eq_u32_e64 s6, 6, v130
	v_cndmask_b32_e64 v7, v10, v15, s5
	v_cndmask_b32_e64 v9, v13, v11, s4
	;; [unrolled: 1-line block ×3, first 2 shown]
	v_cndmask_b32_e32 v1, v1, v11, vcc_lo
	v_cndmask_b32_e32 v2, v2, v15, vcc_lo
	v_cmp_eq_u32_e32 vcc_lo, 6, v132
	v_cmp_eq_u32_e64 s4, 6, v131
	v_lshrrev_b32_e32 v16, 16, v8
	v_cndmask_b32_e64 v3, v3, v4, s7
	v_cndmask_b32_e64 v5, v5, v8, s7
	v_cndmask_b32_e32 v9, v9, v4, vcc_lo
	v_cndmask_b32_e64 v6, v6, v4, s6
	v_cndmask_b32_e64 v7, v7, v8, s6
	v_cmp_eq_u32_e64 s5, 7, v132
	v_cndmask_b32_e32 v10, v10, v8, vcc_lo
	v_cndmask_b32_e64 v1, v1, v4, s4
	v_cmp_eq_u32_e32 vcc_lo, 7, v131
	v_cndmask_b32_e64 v2, v2, v8, s4
	v_cmp_eq_u32_e64 s4, 7, v129
	v_cmp_eq_u32_e64 s6, 7, v130
	v_cndmask_b32_e32 v1, v1, v12, vcc_lo
	s_delay_alu instid0(VALU_DEP_4) | instskip(NEXT) | instid1(VALU_DEP_4)
	v_cndmask_b32_e32 v2, v2, v16, vcc_lo
	v_cndmask_b32_e64 v8, v3, v12, s4
	s_delay_alu instid0(VALU_DEP_4)
	v_cndmask_b32_e64 v6, v6, v12, s6
	v_cndmask_b32_e64 v3, v9, v12, s5
	;; [unrolled: 1-line block ×5, first 2 shown]
	v_cmp_gt_u32_e32 vcc_lo, 32, v0
	v_perm_b32 v4, v2, v1, 0x5040100
	v_perm_b32 v3, v9, v3, 0x5040100
	;; [unrolled: 1-line block ×4, first 2 shown]
	s_and_b32 s2, vcc_lo, s2
	ds_store_b128 v134, v[1:4]
	s_waitcnt lgkmcnt(0)
	s_barrier
	buffer_gl0_inv
	s_and_saveexec_b32 s4, s2
	s_cbranch_execz .LBB108_2
; %bb.15:
	s_load_b64 s[4:5], s[0:1], 0x68
	v_add_nc_u32_e32 v20, s33, v146
	v_lshlrev_b32_e32 v0, 10, v0
	v_lshlrev_b32_e32 v1, 4, v147
	s_lshl_b32 s0, s36, 6
	s_delay_alu instid0(SALU_CYCLE_1)
	s_mul_i32 s1, s0, s34
	v_add_nc_u32_e32 v2, 2, v20
	s_mul_i32 s6, s1, s8
	v_and_or_b32 v0, 0x3800, v0, v1
	v_mul_lo_u32 v1, v20, s0
	s_ashr_i32 s7, s6, 31
	v_mul_lo_u32 v11, v2, s0
	s_lshl_b64 s[6:7], s[6:7], 1
	v_add_nc_u32_e32 v3, 4, v20
	v_lshl_or_b32 v21, v146, 6, v0
	v_add_nc_u32_e32 v16, 6, v20
	v_ashrrev_i32_e32 v2, 31, v1
	s_delay_alu instid0(VALU_DEP_4)
	v_mul_lo_u32 v13, v3, s0
	s_waitcnt lgkmcnt(0)
	s_add_u32 s1, s4, s6
	s_addc_u32 s2, s5, s7
	s_lshl_b32 s4, s14, 6
	ds_load_b128 v[3:6], v21
	ds_load_b128 v[7:10], v21 offset:128
	s_ashr_i32 s5, s4, 31
	v_ashrrev_i32_e32 v12, 31, v11
	s_lshl_b64 s[4:5], s[4:5], 1
	v_lshlrev_b64 v[14:15], 1, v[1:2]
	s_add_u32 s1, s1, s4
	s_addc_u32 s2, s2, s5
	v_add_co_u32 v1, s1, s1, v145
	s_delay_alu instid0(VALU_DEP_1) | instskip(SKIP_1) | instid1(VALU_DEP_3)
	v_add_co_ci_u32_e64 v2, null, s2, 0, s1
	v_lshlrev_b64 v[11:12], 1, v[11:12]
	v_add_co_u32 v18, vcc_lo, v1, v14
	v_mul_lo_u32 v16, v16, s0
	s_delay_alu instid0(VALU_DEP_4) | instskip(NEXT) | instid1(VALU_DEP_4)
	v_add_co_ci_u32_e32 v19, vcc_lo, v2, v15, vcc_lo
	v_add_co_u32 v11, vcc_lo, v1, v11
	v_ashrrev_i32_e32 v14, 31, v13
	v_add_co_ci_u32_e32 v12, vcc_lo, v2, v12, vcc_lo
	v_add_nc_u32_e32 v15, 8, v20
	v_ashrrev_i32_e32 v17, 31, v16
	s_waitcnt lgkmcnt(1)
	global_store_b128 v[18:19], v[3:6], off
	v_lshlrev_b64 v[3:4], 1, v[13:14]
	s_waitcnt lgkmcnt(0)
	global_store_b128 v[11:12], v[7:10], off
	v_mul_lo_u32 v11, v15, s0
	v_add_nc_u32_e32 v7, 10, v20
	v_lshlrev_b64 v[5:6], 1, v[16:17]
	v_add_co_u32 v23, vcc_lo, v1, v3
	v_add_nc_u32_e32 v3, 12, v20
	s_delay_alu instid0(VALU_DEP_4)
	v_mul_lo_u32 v25, v7, s0
	v_ashrrev_i32_e32 v12, 31, v11
	v_add_co_ci_u32_e32 v24, vcc_lo, v2, v4, vcc_lo
	v_add_co_u32 v27, vcc_lo, v1, v5
	v_mul_lo_u32 v29, v3, s0
	v_add_co_ci_u32_e32 v28, vcc_lo, v2, v6, vcc_lo
	ds_load_b128 v[3:6], v21 offset:256
	ds_load_b128 v[7:10], v21 offset:384
	v_lshlrev_b64 v[31:32], 1, v[11:12]
	ds_load_b128 v[11:14], v21 offset:512
	ds_load_b128 v[15:18], v21 offset:640
	;; [unrolled: 1-line block ×3, first 2 shown]
	v_ashrrev_i32_e32 v26, 31, v25
	v_ashrrev_i32_e32 v30, 31, v29
	v_add_co_u32 v31, vcc_lo, v1, v31
	s_delay_alu instid0(VALU_DEP_3) | instskip(NEXT) | instid1(VALU_DEP_3)
	v_lshlrev_b64 v[25:26], 1, v[25:26]
	v_lshlrev_b64 v[29:30], 1, v[29:30]
	v_add_co_ci_u32_e32 v32, vcc_lo, v2, v32, vcc_lo
	s_delay_alu instid0(VALU_DEP_3) | instskip(NEXT) | instid1(VALU_DEP_4)
	v_add_co_u32 v25, vcc_lo, v1, v25
	v_add_co_ci_u32_e32 v26, vcc_lo, v2, v26, vcc_lo
	s_delay_alu instid0(VALU_DEP_4)
	v_add_co_u32 v29, vcc_lo, v1, v29
	v_add_co_ci_u32_e32 v30, vcc_lo, v2, v30, vcc_lo
	s_waitcnt lgkmcnt(4)
	global_store_b128 v[23:24], v[3:6], off
	s_waitcnt lgkmcnt(3)
	global_store_b128 v[27:28], v[7:10], off
	;; [unrolled: 2-line block ×5, first 2 shown]
	s_and_b32 exec_lo, exec_lo, s3
	s_cbranch_execz .LBB108_2
; %bb.16:
	ds_load_b128 v[3:6], v0 offset:896
	s_add_i32 s1, s33, 14
	s_delay_alu instid0(SALU_CYCLE_1) | instskip(NEXT) | instid1(SALU_CYCLE_1)
	s_mul_i32 s0, s1, s0
	s_ashr_i32 s1, s0, 31
	s_delay_alu instid0(SALU_CYCLE_1) | instskip(NEXT) | instid1(SALU_CYCLE_1)
	s_lshl_b64 s[0:1], s[0:1], 1
	v_add_co_u32 v0, vcc_lo, v1, s0
	v_add_co_ci_u32_e32 v1, vcc_lo, s1, v2, vcc_lo
	s_waitcnt lgkmcnt(0)
	global_store_b128 v[0:1], v[3:6], off
	s_nop 0
	s_sendmsg sendmsg(MSG_DEALLOC_VGPRS)
	s_endpgm
	.section	.rodata,"a",@progbits
	.p2align	6, 0x0
	.amdhsa_kernel _Z39paged_attention_ll4mi_QKV_mfma16_kernelIDF16_DF16_LN4vllm18Fp8KVCacheDataTypeE0EDF16_Li16ELi64ELi256ELb0ELi15EL8MFMAType0EEvPKT_PKT0_S8_ifPKiSA_SA_iPKfiiiPfSD_PS3_PT2_iSC_SC_
		.amdhsa_group_segment_fixed_size 17472
		.amdhsa_private_segment_fixed_size 0
		.amdhsa_kernarg_size 400
		.amdhsa_user_sgpr_count 13
		.amdhsa_user_sgpr_dispatch_ptr 0
		.amdhsa_user_sgpr_queue_ptr 0
		.amdhsa_user_sgpr_kernarg_segment_ptr 1
		.amdhsa_user_sgpr_dispatch_id 0
		.amdhsa_user_sgpr_private_segment_size 0
		.amdhsa_wavefront_size32 1
		.amdhsa_uses_dynamic_stack 0
		.amdhsa_enable_private_segment 0
		.amdhsa_system_sgpr_workgroup_id_x 1
		.amdhsa_system_sgpr_workgroup_id_y 1
		.amdhsa_system_sgpr_workgroup_id_z 1
		.amdhsa_system_sgpr_workgroup_info 0
		.amdhsa_system_vgpr_workitem_id 0
		.amdhsa_next_free_vgpr 198
		.amdhsa_next_free_sgpr 52
		.amdhsa_reserve_vcc 1
		.amdhsa_float_round_mode_32 0
		.amdhsa_float_round_mode_16_64 0
		.amdhsa_float_denorm_mode_32 3
		.amdhsa_float_denorm_mode_16_64 3
		.amdhsa_dx10_clamp 1
		.amdhsa_ieee_mode 1
		.amdhsa_fp16_overflow 0
		.amdhsa_workgroup_processor_mode 1
		.amdhsa_memory_ordered 1
		.amdhsa_forward_progress 0
		.amdhsa_shared_vgpr_count 0
		.amdhsa_exception_fp_ieee_invalid_op 0
		.amdhsa_exception_fp_denorm_src 0
		.amdhsa_exception_fp_ieee_div_zero 0
		.amdhsa_exception_fp_ieee_overflow 0
		.amdhsa_exception_fp_ieee_underflow 0
		.amdhsa_exception_fp_ieee_inexact 0
		.amdhsa_exception_int_div_zero 0
	.end_amdhsa_kernel
	.section	.text._Z39paged_attention_ll4mi_QKV_mfma16_kernelIDF16_DF16_LN4vllm18Fp8KVCacheDataTypeE0EDF16_Li16ELi64ELi256ELb0ELi15EL8MFMAType0EEvPKT_PKT0_S8_ifPKiSA_SA_iPKfiiiPfSD_PS3_PT2_iSC_SC_,"axG",@progbits,_Z39paged_attention_ll4mi_QKV_mfma16_kernelIDF16_DF16_LN4vllm18Fp8KVCacheDataTypeE0EDF16_Li16ELi64ELi256ELb0ELi15EL8MFMAType0EEvPKT_PKT0_S8_ifPKiSA_SA_iPKfiiiPfSD_PS3_PT2_iSC_SC_,comdat
.Lfunc_end108:
	.size	_Z39paged_attention_ll4mi_QKV_mfma16_kernelIDF16_DF16_LN4vllm18Fp8KVCacheDataTypeE0EDF16_Li16ELi64ELi256ELb0ELi15EL8MFMAType0EEvPKT_PKT0_S8_ifPKiSA_SA_iPKfiiiPfSD_PS3_PT2_iSC_SC_, .Lfunc_end108-_Z39paged_attention_ll4mi_QKV_mfma16_kernelIDF16_DF16_LN4vllm18Fp8KVCacheDataTypeE0EDF16_Li16ELi64ELi256ELb0ELi15EL8MFMAType0EEvPKT_PKT0_S8_ifPKiSA_SA_iPKfiiiPfSD_PS3_PT2_iSC_SC_
                                        ; -- End function
	.section	.AMDGPU.csdata,"",@progbits
; Kernel info:
; codeLenInByte = 8068
; NumSgprs: 54
; NumVgprs: 198
; ScratchSize: 0
; MemoryBound: 0
; FloatMode: 240
; IeeeMode: 1
; LDSByteSize: 17472 bytes/workgroup (compile time only)
; SGPRBlocks: 6
; VGPRBlocks: 24
; NumSGPRsForWavesPerEU: 54
; NumVGPRsForWavesPerEU: 198
; Occupancy: 7
; WaveLimiterHint : 1
; COMPUTE_PGM_RSRC2:SCRATCH_EN: 0
; COMPUTE_PGM_RSRC2:USER_SGPR: 13
; COMPUTE_PGM_RSRC2:TRAP_HANDLER: 0
; COMPUTE_PGM_RSRC2:TGID_X_EN: 1
; COMPUTE_PGM_RSRC2:TGID_Y_EN: 1
; COMPUTE_PGM_RSRC2:TGID_Z_EN: 1
; COMPUTE_PGM_RSRC2:TIDIG_COMP_CNT: 0
	.section	.text._Z39paged_attention_ll4mi_QKV_mfma16_kernelIDF16_DF16_LN4vllm18Fp8KVCacheDataTypeE0EDF16_Li16ELi64ELi256ELb0ELi16EL8MFMAType0EEvPKT_PKT0_S8_ifPKiSA_SA_iPKfiiiPfSD_PS3_PT2_iSC_SC_,"axG",@progbits,_Z39paged_attention_ll4mi_QKV_mfma16_kernelIDF16_DF16_LN4vllm18Fp8KVCacheDataTypeE0EDF16_Li16ELi64ELi256ELb0ELi16EL8MFMAType0EEvPKT_PKT0_S8_ifPKiSA_SA_iPKfiiiPfSD_PS3_PT2_iSC_SC_,comdat
	.protected	_Z39paged_attention_ll4mi_QKV_mfma16_kernelIDF16_DF16_LN4vllm18Fp8KVCacheDataTypeE0EDF16_Li16ELi64ELi256ELb0ELi16EL8MFMAType0EEvPKT_PKT0_S8_ifPKiSA_SA_iPKfiiiPfSD_PS3_PT2_iSC_SC_ ; -- Begin function _Z39paged_attention_ll4mi_QKV_mfma16_kernelIDF16_DF16_LN4vllm18Fp8KVCacheDataTypeE0EDF16_Li16ELi64ELi256ELb0ELi16EL8MFMAType0EEvPKT_PKT0_S8_ifPKiSA_SA_iPKfiiiPfSD_PS3_PT2_iSC_SC_
	.globl	_Z39paged_attention_ll4mi_QKV_mfma16_kernelIDF16_DF16_LN4vllm18Fp8KVCacheDataTypeE0EDF16_Li16ELi64ELi256ELb0ELi16EL8MFMAType0EEvPKT_PKT0_S8_ifPKiSA_SA_iPKfiiiPfSD_PS3_PT2_iSC_SC_
	.p2align	8
	.type	_Z39paged_attention_ll4mi_QKV_mfma16_kernelIDF16_DF16_LN4vllm18Fp8KVCacheDataTypeE0EDF16_Li16ELi64ELi256ELb0ELi16EL8MFMAType0EEvPKT_PKT0_S8_ifPKiSA_SA_iPKfiiiPfSD_PS3_PT2_iSC_SC_,@function
_Z39paged_attention_ll4mi_QKV_mfma16_kernelIDF16_DF16_LN4vllm18Fp8KVCacheDataTypeE0EDF16_Li16ELi64ELi256ELb0ELi16EL8MFMAType0EEvPKT_PKT0_S8_ifPKiSA_SA_iPKfiiiPfSD_PS3_PT2_iSC_SC_: ; @_Z39paged_attention_ll4mi_QKV_mfma16_kernelIDF16_DF16_LN4vllm18Fp8KVCacheDataTypeE0EDF16_Li16ELi64ELi256ELb0ELi16EL8MFMAType0EEvPKT_PKT0_S8_ifPKiSA_SA_iPKfiiiPfSD_PS3_PT2_iSC_SC_
; %bb.0:
	s_load_b64 s[2:3], s[0:1], 0x30
	s_mov_b32 s34, s13
	s_waitcnt lgkmcnt(0)
	s_cmp_lg_u64 s[2:3], 0
	s_cselect_b32 s6, -1, 0
	s_ashr_i32 s35, s13, 31
	s_cmp_eq_u64 s[2:3], 0
	s_cbranch_scc1 .LBB109_3
; %bb.1:
	s_lshl_b64 s[4:5], s[34:35], 2
	s_delay_alu instid0(SALU_CYCLE_1) | instskip(SKIP_4) | instid1(SALU_CYCLE_1)
	s_add_u32 s4, s2, s4
	s_addc_u32 s5, s3, s5
	s_load_b64 s[4:5], s[4:5], 0x0
	s_waitcnt lgkmcnt(0)
	s_sub_i32 s4, s5, s4
	s_cmp_eq_u32 s4, 1
	s_cselect_b32 s4, -1, 0
	s_delay_alu instid0(SALU_CYCLE_1)
	s_and_not1_b32 vcc_lo, exec_lo, s4
	s_cbranch_vccz .LBB109_4
.LBB109_2:
	s_endpgm
.LBB109_3:
.LBB109_4:
	s_load_b64 s[8:9], s[0:1], 0x28
	s_lshl_b64 s[4:5], s[34:35], 2
	s_waitcnt lgkmcnt(0)
	s_add_u32 s8, s8, s4
	s_addc_u32 s9, s9, s5
	s_lshl_b32 s35, s14, 8
	s_load_b32 s30, s[8:9], 0x0
	s_waitcnt lgkmcnt(0)
	s_cmp_ge_i32 s35, s30
	s_cbranch_scc1 .LBB109_2
; %bb.5:
	s_clause 0x1
	s_load_b128 s[8:11], s[0:1], 0x8
	s_load_b64 s[12:13], s[0:1], 0x20
	s_and_not1_b32 vcc_lo, exec_lo, s6
	s_cbranch_vccnz .LBB109_7
; %bb.6:
	s_add_u32 s2, s2, s4
	s_addc_u32 s3, s3, s5
	s_load_b32 s3, s[2:3], 0x0
	s_branch .LBB109_8
.LBB109_7:
	s_mov_b32 s3, s34
.LBB109_8:
	s_load_b128 s[4:7], s[0:1], 0x48
	v_and_b32_e32 v150, 15, v0
	v_cmp_gt_u32_e32 vcc_lo, 0x100, v0
	v_lshrrev_b32_e32 v148, 5, v0
	v_and_b32_e32 v151, 31, v0
	v_and_b32_e32 v147, 1, v0
	v_lshlrev_b32_e32 v1, 3, v150
	v_cmp_gt_u32_e64 s2, 8, v150
	v_bfe_u32 v146, v0, 4, 1
	s_lshl_b32 s31, s15, 4
	s_delay_alu instid0(VALU_DEP_3) | instskip(NEXT) | instid1(VALU_DEP_3)
	v_lshlrev_b32_e32 v145, 1, v1
	s_and_b32 s16, vcc_lo, s2
	s_waitcnt lgkmcnt(0)
	s_and_saveexec_b32 s7, s16
	s_cbranch_execz .LBB109_10
; %bb.9:
	v_lshl_or_b32 v5, v148, 1, v146
	s_load_b64 s[16:17], s[0:1], 0x0
	s_mul_hi_i32 s19, s3, s4
	s_mul_i32 s18, s3, s4
	v_lshlrev_b32_e32 v6, 10, v150
	v_or_b32_e32 v1, s31, v5
	s_lshl_b64 s[18:19], s[18:19], 1
	v_lshlrev_b32_e32 v5, 6, v5
	v_lshlrev_b32_e32 v7, 10, v147
	v_and_b32_e32 v6, 0x3800, v6
	v_lshlrev_b32_e32 v1, 6, v1
	s_delay_alu instid0(VALU_DEP_2) | instskip(NEXT) | instid1(VALU_DEP_2)
	v_or3_b32 v5, v6, v7, v5
	v_ashrrev_i32_e32 v2, 31, v1
	s_delay_alu instid0(VALU_DEP_1) | instskip(SKIP_3) | instid1(VALU_DEP_1)
	v_lshlrev_b64 v[1:2], 1, v[1:2]
	s_waitcnt lgkmcnt(0)
	s_add_u32 s3, s16, s18
	s_addc_u32 s4, s17, s19
	v_add_co_u32 v1, vcc_lo, s3, v1
	s_delay_alu instid0(VALU_DEP_2) | instskip(NEXT) | instid1(VALU_DEP_2)
	v_add_co_ci_u32_e32 v2, vcc_lo, s4, v2, vcc_lo
	v_add_co_u32 v1, vcc_lo, v1, v145
	s_delay_alu instid0(VALU_DEP_2)
	v_add_co_ci_u32_e32 v2, vcc_lo, 0, v2, vcc_lo
	global_load_b128 v[1:4], v[1:2], off
	s_waitcnt vmcnt(0)
	ds_store_b128 v5, v[1:4]
.LBB109_10:
	s_or_b32 exec_lo, exec_lo, s7
	s_mov_b32 s40, 0
	s_add_i32 s3, s30, 15
	s_mov_b32 s41, s40
	s_mov_b32 s42, s40
	;; [unrolled: 1-line block ×7, first 2 shown]
	s_delay_alu instid0(SALU_CYCLE_1)
	v_dual_mov_b32 v136, s47 :: v_dual_and_b32 v1, 0xef, v0
	v_mov_b32_e32 v134, s45
	s_clause 0x1
	s_load_b32 s4, s[0:1], 0x38
	s_load_b32 s33, s[0:1], 0x98
	v_add_nc_u32_e32 v1, s35, v1
	s_ashr_i32 s7, s3, 31
	s_load_b32 s36, s[0:1], 0x1c
	s_lshr_b32 s7, s7, 28
	s_waitcnt lgkmcnt(0)
	v_ashrrev_i32_e32 v2, 31, v1
	s_add_i32 s3, s3, s7
	v_cmp_gt_i32_e32 vcc_lo, s30, v1
	v_mov_b32_e32 v135, s46
	s_ashr_i32 s3, s3, 4
	v_lshrrev_b32_e32 v3, 28, v2
	v_or_b32_e32 v2, 16, v1
	s_add_i32 s3, s3, -1
	v_mov_b32_e32 v132, s43
	s_barrier
	v_add_nc_u32_e32 v4, v1, v3
	v_add_nc_u32_e32 v3, v2, v3
	buffer_gl0_inv
	s_mul_i32 s16, s34, s4
	s_mul_i32 s6, s15, s6
	v_ashrrev_i32_e32 v4, 4, v4
	v_ashrrev_i32_e32 v3, 4, v3
	s_ashr_i32 s17, s16, 31
	v_lshlrev_b32_e32 v149, 6, v150
	s_lshl_b64 s[16:17], s[16:17], 2
	v_cndmask_b32_e32 v1, s3, v4, vcc_lo
	v_cmp_gt_i32_e32 vcc_lo, s30, v2
	s_add_u32 s4, s12, s16
	s_addc_u32 s37, s13, s17
	s_ashr_i32 s7, s6, 31
	v_ashrrev_i32_e32 v2, 31, v1
	v_cndmask_b32_e32 v3, s3, v3, vcc_lo
	s_lshl_b64 s[6:7], s[6:7], 1
	v_mov_b32_e32 v133, s44
	s_add_u32 s24, s8, s6
	v_lshlrev_b64 v[1:2], 2, v[1:2]
	v_ashrrev_i32_e32 v4, 31, v3
	s_addc_u32 s25, s9, s7
	s_lshl_b32 s8, s14, 4
	v_mov_b32_e32 v131, s42
	s_ashr_i32 s9, s8, 31
	v_lshlrev_b64 v[3:4], 2, v[3:4]
	v_add_co_u32 v1, vcc_lo, s4, v1
	v_add_co_ci_u32_e32 v2, vcc_lo, s37, v2, vcc_lo
	s_lshl_b64 s[8:9], s[8:9], 2
	s_delay_alu instid0(VALU_DEP_3) | instskip(NEXT) | instid1(VALU_DEP_4)
	v_add_co_u32 v3, vcc_lo, s4, v3
	v_add_co_ci_u32_e32 v4, vcc_lo, s37, v4, vcc_lo
	s_clause 0x1
	global_load_b32 v5, v[1:2], off
	global_load_b32 v6, v[3:4], off
	s_add_u32 s8, s4, s8
	s_addc_u32 s9, s37, s9
	s_or_b32 s12, s35, 16
	v_dual_mov_b32 v130, s41 :: v_dual_lshlrev_b32 v3, 4, v0
	s_ashr_i32 s13, s12, 4
	s_cmp_lt_i32 s12, s30
	v_mov_b32_e32 v129, s40
	s_cselect_b32 s12, s13, s3
	s_delay_alu instid0(SALU_CYCLE_1) | instskip(NEXT) | instid1(SALU_CYCLE_1)
	s_ashr_i32 s13, s12, 31
	s_lshl_b64 s[12:13], s[12:13], 2
	s_delay_alu instid0(SALU_CYCLE_1) | instskip(SKIP_2) | instid1(SALU_CYCLE_1)
	s_add_u32 s12, s4, s12
	s_addc_u32 s13, s37, s13
	s_or_b32 s15, s35, 32
	s_ashr_i32 s16, s15, 4
	s_cmp_lt_i32 s15, s30
	s_cselect_b32 s16, s16, s3
	s_delay_alu instid0(SALU_CYCLE_1) | instskip(NEXT) | instid1(SALU_CYCLE_1)
	s_ashr_i32 s17, s16, 31
	s_lshl_b64 s[16:17], s[16:17], 2
	s_delay_alu instid0(SALU_CYCLE_1) | instskip(SKIP_2) | instid1(SALU_CYCLE_1)
	s_add_u32 s16, s4, s16
	s_addc_u32 s17, s37, s17
	s_or_b32 s15, s35, 48
	s_ashr_i32 s18, s15, 4
	s_cmp_lt_i32 s15, s30
	;; [unrolled: 10-line block ×4, first 2 shown]
	s_cselect_b32 s22, s22, s3
	s_delay_alu instid0(SALU_CYCLE_1) | instskip(NEXT) | instid1(SALU_CYCLE_1)
	s_ashr_i32 s23, s22, 31
	s_lshl_b64 s[22:23], s[22:23], 2
	s_delay_alu instid0(SALU_CYCLE_1)
	s_add_u32 s22, s4, s22
	s_addc_u32 s23, s37, s23
	s_clause 0x5
	s_load_b32 s48, s[8:9], 0x0
	s_load_b32 s12, s[12:13], 0x0
	;; [unrolled: 1-line block ×6, first 2 shown]
	s_waitcnt lgkmcnt(0)
	s_mul_hi_i32 s17, s16, s5
	s_mul_i32 s16, s16, s5
	s_waitcnt vmcnt(1)
	v_mad_i64_i32 v[1:2], null, v5, s5, 0
	v_and_b32_e32 v5, 0xf0, v3
	s_waitcnt vmcnt(0)
	v_mad_i64_i32 v[3:4], null, v6, s5, 0
	s_delay_alu instid0(VALU_DEP_2) | instskip(NEXT) | instid1(VALU_DEP_4)
	v_add_co_u32 v5, s8, s24, v5
	v_lshlrev_b64 v[1:2], 1, v[1:2]
	v_add_co_ci_u32_e64 v6, null, s25, 0, s8
	s_delay_alu instid0(VALU_DEP_4) | instskip(SKIP_1) | instid1(VALU_DEP_3)
	v_lshlrev_b64 v[3:4], 1, v[3:4]
	s_or_b32 s8, s35, 0x60
	v_add_co_u32 v1, vcc_lo, v5, v1
	s_delay_alu instid0(VALU_DEP_3) | instskip(NEXT) | instid1(VALU_DEP_3)
	v_add_co_ci_u32_e32 v2, vcc_lo, v6, v2, vcc_lo
	v_add_co_u32 v3, vcc_lo, v5, v3
	s_delay_alu instid0(VALU_DEP_4)
	v_add_co_ci_u32_e32 v4, vcc_lo, v6, v4, vcc_lo
	s_clause 0x9
	global_load_b128 v[9:12], v[1:2], off
	global_load_b128 v[13:16], v[1:2], off offset:256
	global_load_b128 v[137:140], v[3:4], off
	global_load_b128 v[141:144], v[3:4], off offset:256
	global_load_b128 v[41:44], v[1:2], off offset:512
	;; [unrolled: 1-line block ×7, first 2 shown]
	ds_load_b128 v[152:155], v149
	ds_load_b128 v[156:159], v149 offset:1024
	s_clause 0x5
	global_load_b128 v[160:163], v[3:4], off offset:1024
	global_load_b128 v[164:167], v[3:4], off offset:1280
	;; [unrolled: 1-line block ×6, first 2 shown]
	s_ashr_i32 s9, s8, 4
	s_cmp_lt_i32 s8, s30
	v_lshlrev_b32_e32 v5, 5, v150
	s_cselect_b32 s8, s9, s3
	s_delay_alu instid0(SALU_CYCLE_1) | instskip(NEXT) | instid1(SALU_CYCLE_1)
	s_ashr_i32 s9, s8, 31
	s_lshl_b64 s[8:9], s[8:9], 2
	s_delay_alu instid0(VALU_DEP_1)
	v_lshl_or_b32 v5, v148, 9, v5
	s_add_u32 s22, s4, s8
	s_addc_u32 s23, s37, s9
	s_or_b32 s8, s35, 0x70
	s_load_b32 s46, s[22:23], 0x0
	s_ashr_i32 s9, s8, 4
	s_cmp_lt_i32 s8, s30
	s_cselect_b32 s8, s9, s3
	s_delay_alu instid0(SALU_CYCLE_1) | instskip(NEXT) | instid1(SALU_CYCLE_1)
	s_ashr_i32 s9, s8, 31
	s_lshl_b64 s[8:9], s[8:9], 2
	s_delay_alu instid0(SALU_CYCLE_1)
	s_add_u32 s24, s4, s8
	s_addc_u32 s25, s37, s9
	s_or_b32 s8, s35, 0x80
	s_load_b32 s47, s[24:25], 0x0
	s_ashr_i32 s9, s8, 4
	s_cmp_lt_i32 s8, s30
	s_cselect_b32 s8, s9, s3
	s_delay_alu instid0(SALU_CYCLE_1) | instskip(NEXT) | instid1(SALU_CYCLE_1)
	s_ashr_i32 s9, s8, 31
	s_lshl_b64 s[8:9], s[8:9], 2
	s_delay_alu instid0(SALU_CYCLE_1) | instskip(SKIP_2) | instid1(SALU_CYCLE_1)
	s_add_u32 s26, s4, s8
	s_addc_u32 s27, s37, s9
	s_or_b32 s8, s35, 0x90
	s_ashr_i32 s9, s8, 4
	s_cmp_lt_i32 s8, s30
	s_cselect_b32 s8, s9, s3
	s_delay_alu instid0(SALU_CYCLE_1) | instskip(NEXT) | instid1(SALU_CYCLE_1)
	s_ashr_i32 s9, s8, 31
	s_lshl_b64 s[8:9], s[8:9], 2
	s_delay_alu instid0(SALU_CYCLE_1) | instskip(SKIP_2) | instid1(SALU_CYCLE_1)
	s_add_u32 s28, s4, s8
	s_addc_u32 s29, s37, s9
	s_or_b32 s8, s35, 0xa0
	s_ashr_i32 s9, s8, 4
	s_cmp_lt_i32 s8, s30
	s_cselect_b32 s8, s9, s3
	s_delay_alu instid0(SALU_CYCLE_1) | instskip(NEXT) | instid1(SALU_CYCLE_1)
	s_ashr_i32 s9, s8, 31
	s_lshl_b64 s[8:9], s[8:9], 2
	s_delay_alu instid0(SALU_CYCLE_1)
	s_add_u32 s38, s4, s8
	s_addc_u32 s39, s37, s9
	s_or_b32 s8, s35, 0xb0
	s_mul_hi_i32 s9, s48, s5
	s_ashr_i32 s13, s8, 4
	s_cmp_lt_i32 s8, s30
	s_mul_i32 s8, s48, s5
	s_load_b32 s48, s[26:27], 0x0
	s_cselect_b32 s40, s13, s3
	s_mul_hi_i32 s13, s12, s5
	s_ashr_i32 s41, s40, 31
	s_mul_i32 s12, s12, s5
	s_lshl_b64 s[40:41], s[40:41], 2
	s_delay_alu instid0(SALU_CYCLE_1) | instskip(SKIP_2) | instid1(SALU_CYCLE_1)
	s_add_u32 s42, s4, s40
	s_addc_u32 s43, s37, s41
	s_or_b32 s19, s35, 0xc0
	s_ashr_i32 s21, s19, 4
	s_cmp_lt_i32 s19, s30
	s_mul_hi_i32 s19, s18, s5
	s_cselect_b32 s40, s21, s3
	s_mul_i32 s18, s18, s5
	s_ashr_i32 s41, s40, 31
	s_mul_hi_i32 s21, s20, s5
	s_lshl_b64 s[40:41], s[40:41], 2
	s_mul_i32 s20, s20, s5
	s_add_u32 s44, s4, s40
	s_addc_u32 s45, s37, s41
	s_load_b32 s41, s[28:29], 0x0
	s_or_b32 s40, s35, 0xd0
	s_mul_hi_i32 s23, s15, s5
	s_ashr_i32 s22, s40, 4
	s_cmp_lt_i32 s40, s30
	s_load_b32 s40, s[38:39], 0x0
	s_cselect_b32 s24, s22, s3
	s_mul_i32 s22, s15, s5
	s_ashr_i32 s25, s24, 31
	s_waitcnt lgkmcnt(0)
	s_mul_hi_i32 s29, s48, s5
	s_lshl_b64 s[24:25], s[24:25], 2
	s_mul_i32 s28, s48, s5
	s_add_u32 s24, s4, s24
	s_addc_u32 s25, s37, s25
	s_or_b32 s49, s35, 0xe0
	s_clause 0x2
	s_load_b32 s39, s[42:43], 0x0
	s_load_b32 s38, s[44:45], 0x0
	;; [unrolled: 1-line block ×3, first 2 shown]
	s_ashr_i32 s50, s49, 4
	s_cmp_lt_i32 s49, s30
	s_mul_hi_i32 s25, s46, s5
	s_cselect_b32 s44, s50, s3
	s_mul_i32 s24, s46, s5
	s_ashr_i32 s45, s44, 31
	s_mul_hi_i32 s27, s47, s5
	s_lshl_b64 s[44:45], s[44:45], 2
	s_mul_i32 s26, s47, s5
	s_add_u32 s44, s4, s44
	s_addc_u32 s45, s37, s45
	s_or_b32 s46, s35, 0xf0
	s_mul_hi_i32 s43, s41, s5
	s_ashr_i32 s48, s46, 4
	s_cmp_lt_i32 s46, s30
	s_mul_i32 s42, s41, s5
	s_cselect_b32 s48, s48, s3
	s_mul_hi_i32 s41, s40, s5
	s_ashr_i32 s49, s48, 31
	s_mul_i32 s40, s40, s5
	s_lshl_b64 s[48:49], s[48:49], 2
	s_waitcnt lgkmcnt(0)
	s_mul_hi_i32 s47, s39, s5
	s_add_u32 s48, s4, s48
	s_addc_u32 s49, s37, s49
	s_add_u32 s3, s10, s6
	s_addc_u32 s4, s11, s7
	v_add_co_u32 v196, s3, s3, v5
	s_delay_alu instid0(VALU_DEP_1) | instskip(SKIP_2) | instid1(VALU_DEP_2)
	v_add_co_ci_u32_e64 v197, null, s4, 0, s3
	s_lshl_b64 s[6:7], s[8:9], 1
	s_lshl_b64 s[8:9], s[12:13], 1
	v_add_co_u32 v1, vcc_lo, v196, s6
	s_delay_alu instid0(VALU_DEP_2)
	v_add_co_ci_u32_e32 v2, vcc_lo, s7, v197, vcc_lo
	v_add_co_u32 v3, vcc_lo, v196, s8
	s_lshl_b64 s[10:11], s[16:17], 1
	v_add_co_ci_u32_e32 v4, vcc_lo, s9, v197, vcc_lo
	v_add_co_u32 v5, vcc_lo, v196, s10
	s_lshl_b64 s[12:13], s[18:19], 1
	;; [unrolled: 3-line block ×9, first 2 shown]
	s_mul_i32 s46, s39, s5
	v_add_co_ci_u32_e32 v54, vcc_lo, s27, v197, vcc_lo
	v_add_co_u32 v184, vcc_lo, v196, s28
	s_lshl_b64 s[40:41], s[46:47], 1
	s_mul_hi_i32 s39, s38, s5
	s_mul_i32 s38, s38, s5
	v_add_co_ci_u32_e32 v185, vcc_lo, s29, v197, vcc_lo
	v_add_co_u32 v186, vcc_lo, v196, s40
	s_lshl_b64 s[38:39], s[38:39], 1
	s_clause 0x1
	s_load_b32 s3, s[44:45], 0x0
	s_load_b32 s4, s[48:49], 0x0
	v_add_co_ci_u32_e32 v187, vcc_lo, s41, v197, vcc_lo
	v_add_co_u32 v192, vcc_lo, v196, s38
	v_add_co_ci_u32_e32 v193, vcc_lo, s39, v197, vcc_lo
	s_clause 0x17
	global_load_b128 v[121:124], v[1:2], off
	global_load_b128 v[125:128], v[1:2], off offset:16
	global_load_b128 v[113:116], v[3:4], off
	global_load_b128 v[117:120], v[3:4], off offset:16
	;; [unrolled: 2-line block ×12, first 2 shown]
	s_mul_hi_i32 s51, s15, s5
	s_mul_i32 s50, s15, s5
	s_delay_alu instid0(SALU_CYCLE_1) | instskip(NEXT) | instid1(SALU_CYCLE_1)
	s_lshl_b64 s[42:43], s[50:51], 1
	v_add_co_u32 v194, vcc_lo, v196, s42
	v_add_co_ci_u32_e32 v195, vcc_lo, s43, v197, vcc_lo
	s_waitcnt lgkmcnt(0)
	s_mul_hi_i32 s7, s3, s5
	s_mul_i32 s6, s3, s5
	s_mul_hi_i32 s9, s4, s5
	s_lshl_b64 s[6:7], s[6:7], 1
	s_mul_i32 s8, s4, s5
	s_delay_alu instid0(SALU_CYCLE_1)
	s_lshl_b64 s[4:5], s[8:9], 1
	s_waitcnt vmcnt(38)
	v_wmma_f32_16x16x16_f16 v[184:191], v[9:16], v[152:159], v[129:136]
	s_waitcnt vmcnt(36)
	v_wmma_f32_16x16x16_f16 v[129:136], v[137:144], v[152:159], v[129:136]
	s_clause 0x1
	global_load_b128 v[9:12], v[192:193], off
	global_load_b128 v[13:16], v[192:193], off offset:16
	ds_load_b128 v[137:140], v149 offset:2048
	ds_load_b128 v[141:144], v149 offset:3072
	;; [unrolled: 1-line block ×4, first 2 shown]
	v_add_co_u32 v192, vcc_lo, v196, s6
	v_add_co_ci_u32_e32 v193, vcc_lo, s7, v197, vcc_lo
	v_add_co_u32 v196, vcc_lo, v196, s4
	v_add_co_ci_u32_e32 v197, vcc_lo, s5, v197, vcc_lo
	s_waitcnt vmcnt(36) lgkmcnt(2)
	v_wmma_f32_16x16x16_f16 v[184:191], v[41:48], v[137:144], v[184:191]
	s_waitcnt vmcnt(34)
	v_wmma_f32_16x16x16_f16 v[129:136], v[33:40], v[137:144], v[129:136]
	s_clause 0x3
	global_load_b128 v[33:36], v[194:195], off
	global_load_b128 v[37:40], v[194:195], off offset:16
	global_load_b128 v[41:44], v[192:193], off
	global_load_b128 v[45:48], v[192:193], off offset:16
	v_and_b32_e32 v137, 0xe0, v0
	v_mbcnt_lo_u32_b32 v192, -1, 0
	s_waitcnt vmcnt(36) lgkmcnt(0)
	v_wmma_f32_16x16x16_f16 v[184:191], v[17:24], v[152:159], v[184:191]
	s_clause 0x1
	global_load_b128 v[17:20], v[196:197], off
	global_load_b128 v[21:24], v[196:197], off offset:16
	s_waitcnt vmcnt(36)
	v_wmma_f32_16x16x16_f16 v[129:136], v[160:167], v[152:159], v[129:136]
	v_add_nc_u32_e32 v193, s35, v137
	ds_load_b128 v[137:140], v149 offset:6144
	ds_load_b128 v[141:144], v149 offset:7168
	v_xor_b32_e32 v152, 16, v192
	s_waitcnt vmcnt(0) lgkmcnt(0)
	s_barrier
	buffer_gl0_inv
	v_cmp_gt_i32_e32 vcc_lo, 32, v152
	v_cndmask_b32_e32 v152, v192, v152, vcc_lo
	v_wmma_f32_16x16x16_f16 v[129:136], v[176:183], v[137:144], v[129:136]
	v_wmma_f32_16x16x16_f16 v[184:191], v[168:175], v[137:144], v[184:191]
	s_delay_alu instid0(VALU_DEP_2) | instskip(SKIP_1) | instid1(VALU_DEP_3)
	v_mul_f32_e32 v174, s36, v131
	v_or_b32_e32 v153, v193, v146
	v_dual_mul_f32 v143, s36, v185 :: v_dual_mul_f32 v144, s36, v184
	s_delay_alu instid0(VALU_DEP_4) | instskip(NEXT) | instid1(VALU_DEP_3)
	v_dual_mul_f32 v141, s36, v187 :: v_dual_mul_f32 v142, s36, v186
	v_or_b32_e32 v154, 2, v153
	v_or_b32_e32 v155, 4, v153
	;; [unrolled: 1-line block ×3, first 2 shown]
	v_cmp_gt_i32_e32 vcc_lo, s30, v153
	v_or_b32_e32 v157, 8, v153
	v_cmp_gt_i32_e64 s3, s30, v154
	v_or_b32_e32 v158, 10, v153
	v_cmp_gt_i32_e64 s4, s30, v155
	v_cndmask_b32_e32 v144, 0xff7fffff, v144, vcc_lo
	v_cmp_gt_i32_e64 s5, s30, v156
	v_cndmask_b32_e64 v143, 0xff7fffff, v143, s3
	v_or_b32_e32 v159, 12, v153
	v_or_b32_e32 v160, 14, v153
	v_dual_mul_f32 v139, s36, v189 :: v_dual_mul_f32 v140, s36, v188
	v_cndmask_b32_e64 v142, 0xff7fffff, v142, s4
	v_cndmask_b32_e64 v141, 0xff7fffff, v141, s5
	v_max3_f32 v143, v144, 0xff7fffff, v143
	v_cmp_gt_i32_e64 s6, s30, v157
	v_cmp_gt_i32_e64 s7, s30, v158
	v_or_b32_e32 v161, 16, v153
	v_or_b32_e32 v162, 18, v153
	v_dual_mul_f32 v137, s36, v191 :: v_dual_mul_f32 v176, s36, v129
	v_mul_f32_e32 v138, s36, v190
	v_cndmask_b32_e64 v140, 0xff7fffff, v140, s6
	v_cndmask_b32_e64 v139, 0xff7fffff, v139, s7
	v_max3_f32 v141, v143, v142, v141
	v_cmp_gt_i32_e64 s8, s30, v159
	v_cmp_gt_i32_e64 s9, s30, v160
	v_or_b32_e32 v163, 20, v153
	v_or_b32_e32 v164, 22, v153
	v_mul_f32_e32 v175, s36, v130
	v_cndmask_b32_e64 v138, 0xff7fffff, v138, s8
	v_cndmask_b32_e64 v137, 0xff7fffff, v137, s9
	v_max3_f32 v139, v141, v140, v139
	v_cmp_gt_i32_e64 s10, s30, v161
	v_cmp_gt_i32_e64 s11, s30, v162
	v_or_b32_e32 v165, 24, v153
	v_or_b32_e32 v166, 26, v153
	;; [unrolled: 8-line block ×3, first 2 shown]
	v_dual_mul_f32 v171, s36, v134 :: v_dual_mul_f32 v172, s36, v133
	v_cndmask_b32_e64 v138, 0xff7fffff, v174, s12
	v_cndmask_b32_e64 v139, 0xff7fffff, v173, s13
	v_max3_f32 v137, v137, v140, v141
	v_cmp_gt_i32_e64 s15, s30, v165
	v_cmp_gt_i32_e64 s16, s30, v166
	v_dual_mul_f32 v169, s36, v136 :: v_dual_mul_f32 v170, s36, v135
	s_delay_alu instid0(VALU_DEP_4) | instskip(NEXT) | instid1(VALU_DEP_4)
	v_max3_f32 v137, v137, v138, v139
	v_cndmask_b32_e64 v140, 0xff7fffff, v172, s15
	s_delay_alu instid0(VALU_DEP_4) | instskip(SKIP_3) | instid1(VALU_DEP_4)
	v_cndmask_b32_e64 v141, 0xff7fffff, v171, s16
	v_cmp_gt_i32_e64 s17, s30, v167
	v_cmp_gt_i32_e64 s18, s30, v168
	v_lshlrev_b32_e32 v161, 2, v152
	v_max3_f32 v137, v137, v140, v141
	s_delay_alu instid0(VALU_DEP_4) | instskip(NEXT) | instid1(VALU_DEP_4)
	v_cndmask_b32_e64 v138, 0xff7fffff, v170, s17
	v_cndmask_b32_e64 v139, 0xff7fffff, v169, s18
	s_delay_alu instid0(VALU_DEP_1) | instskip(SKIP_3) | instid1(VALU_DEP_1)
	v_max3_f32 v137, v137, v138, v139
	ds_bpermute_b32 v138, v161, v137
	s_waitcnt lgkmcnt(0)
	v_max_f32_e32 v138, v138, v138
	v_max_f32_e32 v160, v137, v138
	s_delay_alu instid0(VALU_DEP_1) | instskip(SKIP_4) | instid1(VALU_DEP_4)
	v_fma_f32 v139, s36, v186, -v160
	v_fma_f32 v140, s36, v187, -v160
	;; [unrolled: 1-line block ×5, first 2 shown]
	v_dual_mul_f32 v139, 0x3fb8aa3b, v139 :: v_dual_mul_f32 v140, 0x3fb8aa3b, v140
	s_delay_alu instid0(VALU_DEP_4) | instskip(NEXT) | instid1(VALU_DEP_4)
	v_mul_f32_e32 v152, 0x3fb8aa3b, v152
	v_mul_f32_e32 v132, 0x3fb8aa3b, v132
	v_fma_f32 v137, s36, v184, -v160
	s_delay_alu instid0(VALU_DEP_4)
	v_exp_f32_e32 v139, v139
	v_exp_f32_e32 v144, v140
	;; [unrolled: 1-line block ×3, first 2 shown]
	v_fma_f32 v138, s36, v185, -v160
	v_fma_f32 v142, s36, v188, -v160
	;; [unrolled: 1-line block ×5, first 2 shown]
	v_mul_f32_e32 v138, 0x3fb8aa3b, v138
	v_mul_f32_e32 v142, 0x3fb8aa3b, v142
	v_cndmask_b32_e64 v140, 0, v139, s4
	v_cndmask_b32_e64 v139, 0, v144, s5
	v_mul_f32_e32 v144, 0x3fb8aa3b, v153
	v_exp_f32_e32 v141, v138
	v_dual_mul_f32 v143, 0x3fb8aa3b, v143 :: v_dual_mul_f32 v134, 0x3fb8aa3b, v134
	v_exp_f32_e32 v142, v142
	s_delay_alu instid0(VALU_DEP_2)
	v_exp_f32_e32 v154, v144
	v_cndmask_b32_e64 v144, 0, v152, s8
	v_mul_f32_e32 v137, 0x3fb8aa3b, v137
	v_exp_f32_e32 v143, v143
	v_fma_f32 v130, s36, v130, -v160
	v_mul_f32_e32 v129, 0x3fb8aa3b, v129
	v_fma_f32 v131, s36, v131, -v160
	v_exp_f32_e32 v137, v137
	v_fma_f32 v133, s36, v133, -v160
	v_cndmask_b32_e64 v142, 0, v142, s6
	v_mul_f32_e32 v130, 0x3fb8aa3b, v130
	v_exp_f32_e32 v129, v129
	v_mul_f32_e32 v131, 0x3fb8aa3b, v131
	v_mul_f32_e32 v133, 0x3fb8aa3b, v133
	v_exp_f32_e32 v132, v132
	v_exp_f32_e32 v130, v130
	v_cndmask_b32_e32 v138, 0, v137, vcc_lo
	v_cndmask_b32_e64 v137, 0, v141, s3
	v_exp_f32_e32 v131, v131
	v_exp_f32_e32 v133, v133
	s_mov_b32 s3, exec_lo
	v_add_f32_e32 v141, 0, v138
	s_delay_alu instid0(VALU_DEP_1)
	v_add_f32_e32 v141, v141, v137
	s_waitcnt_depctr 0xfff
	v_cndmask_b32_e64 v155, 0, v131, s12
	v_exp_f32_e32 v131, v134
	v_cndmask_b32_e64 v157, 0, v133, s15
	v_add_f32_e32 v141, v141, v140
	s_delay_alu instid0(VALU_DEP_1)
	v_add_f32_e32 v153, v141, v139
	v_cndmask_b32_e64 v141, 0, v143, s7
	s_waitcnt_depctr 0xfff
	v_cndmask_b32_e64 v156, 0, v131, s16
	v_add_f32_e32 v143, v153, v142
	v_cndmask_b32_e64 v153, 0, v129, s10
	s_delay_alu instid0(VALU_DEP_2) | instskip(SKIP_3) | instid1(VALU_DEP_4)
	v_add_f32_e32 v152, v143, v141
	v_cndmask_b32_e64 v143, 0, v154, s9
	v_cndmask_b32_e64 v154, 0, v132, s13
	v_fma_f32 v132, s36, v136, -v160
	v_add_f32_e32 v152, v152, v144
	s_delay_alu instid0(VALU_DEP_1) | instskip(SKIP_2) | instid1(VALU_DEP_3)
	v_dual_mul_f32 v132, 0x3fb8aa3b, v132 :: v_dual_add_f32 v129, v152, v143
	v_cndmask_b32_e64 v152, 0, v130, s11
	v_fma_f32 v130, s36, v135, -v160
	v_exp_f32_e32 v131, v132
	s_delay_alu instid0(VALU_DEP_1) | instskip(NEXT) | instid1(VALU_DEP_1)
	v_dual_add_f32 v129, v129, v153 :: v_dual_mul_f32 v130, 0x3fb8aa3b, v130
	v_add_f32_e32 v129, v129, v152
	s_delay_alu instid0(VALU_DEP_2) | instskip(SKIP_3) | instid1(VALU_DEP_1)
	v_exp_f32_e32 v130, v130
	s_waitcnt_depctr 0xfff
	v_cndmask_b32_e64 v158, 0, v131, s18
	v_add_f32_e32 v129, v129, v155
	v_add_f32_e32 v129, v129, v154
	v_cndmask_b32_e64 v159, 0, v130, s17
	s_delay_alu instid0(VALU_DEP_2) | instskip(NEXT) | instid1(VALU_DEP_1)
	v_add_f32_e32 v129, v129, v157
	v_add_f32_e32 v129, v129, v156
	s_delay_alu instid0(VALU_DEP_1) | instskip(NEXT) | instid1(VALU_DEP_1)
	v_add_f32_e32 v129, v129, v159
	v_add_f32_e32 v129, v129, v158
	ds_bpermute_b32 v130, v161, v129
	v_cmpx_gt_u32_e32 16, v151
	s_cbranch_execz .LBB109_12
; %bb.11:
	v_mul_u32_u24_e32 v131, 0x44, v148
	s_delay_alu instid0(VALU_DEP_1) | instskip(SKIP_1) | instid1(VALU_DEP_1)
	v_lshl_add_u32 v131, v150, 2, v131
	s_waitcnt lgkmcnt(0)
	v_dual_add_f32 v129, v129, v130 :: v_dual_add_nc_u32 v130, 0x4000, v131
	ds_store_2addr_b32 v130, v160, v129 offset1:136
.LBB109_12:
	s_or_b32 exec_lo, exec_lo, s3
	v_lshlrev_b32_e32 v129, 2, v150
	s_load_b32 s35, s[0:1], 0x94
	s_waitcnt lgkmcnt(0)
	s_barrier
	buffer_gl0_inv
	v_add_nc_u32_e32 v162, 0x4000, v129
	v_cmp_eq_u32_e32 vcc_lo, 1, v148
	v_cmp_eq_u32_e64 s3, 2, v148
	v_cmp_eq_u32_e64 s4, 3, v148
	v_cmp_eq_u32_e64 s5, 5, v148
	ds_load_2addr_b32 v[129:130], v162 offset1:17
	ds_load_2addr_b32 v[131:132], v162 offset0:34 offset1:51
	ds_load_2addr_b32 v[133:134], v162 offset0:68 offset1:85
	;; [unrolled: 1-line block ×3, first 2 shown]
	v_cmp_eq_u32_e64 s6, 7, v148
	s_waitcnt lgkmcnt(3)
	v_max3_f32 v135, v129, 0xff7fffff, v130
	s_waitcnt lgkmcnt(2)
	s_delay_alu instid0(VALU_DEP_1) | instskip(SKIP_1) | instid1(VALU_DEP_1)
	v_max3_f32 v135, v135, v131, v132
	s_waitcnt lgkmcnt(1)
	v_max3_f32 v135, v135, v133, v134
	s_waitcnt lgkmcnt(0)
	s_delay_alu instid0(VALU_DEP_1) | instskip(NEXT) | instid1(VALU_DEP_1)
	v_max3_f32 v135, v135, v150, v151
	v_sub_f32_e32 v129, v129, v135
	ds_load_2addr_b32 v[160:161], v162 offset0:136 offset1:153
	v_sub_f32_e32 v136, v130, v135
	v_dual_sub_f32 v150, v150, v135 :: v_dual_mul_f32 v163, 0x3fb8aa3b, v129
	ds_load_2addr_b32 v[129:130], v162 offset0:170 offset1:187
	v_mul_f32_e32 v136, 0x3fb8aa3b, v136
	v_mul_f32_e32 v150, 0x3fb8aa3b, v150
	v_exp_f32_e32 v163, v163
	s_delay_alu instid0(VALU_DEP_2) | instskip(NEXT) | instid1(VALU_DEP_1)
	v_exp_f32_e32 v166, v136
	v_exp_f32_e32 v150, v150
	s_waitcnt lgkmcnt(1)
	s_delay_alu instid0(TRANS32_DEP_3) | instskip(SKIP_4) | instid1(VALU_DEP_2)
	v_fma_f32 v136, v163, v160, 0
	v_sub_f32_e32 v160, v134, v135
	s_waitcnt_depctr 0xfff
	v_dual_sub_f32 v133, v133, v135 :: v_dual_fmac_f32 v136, v166, v161
	v_mul_f32_e32 v160, 0x3fb8aa3b, v160
	v_dual_sub_f32 v164, v132, v135 :: v_dual_mul_f32 v167, 0x3fb8aa3b, v133
	v_sub_f32_e32 v131, v131, v135
	ds_load_2addr_b32 v[133:134], v162 offset0:238 offset1:255
	v_mul_f32_e32 v164, 0x3fb8aa3b, v164
	v_exp_f32_e32 v161, v167
	v_mul_f32_e32 v165, 0x3fb8aa3b, v131
	ds_load_2addr_b32 v[131:132], v162 offset0:204 offset1:221
	s_waitcnt lgkmcnt(0)
	v_exp_f32_e32 v164, v164
	s_barrier
	v_exp_f32_e32 v165, v165
	buffer_gl0_inv
	v_dual_fmac_f32 v136, v165, v129 :: v_dual_sub_f32 v129, v151, v135
	v_exp_f32_e32 v151, v160
	s_delay_alu instid0(VALU_DEP_1) | instskip(SKIP_1) | instid1(VALU_DEP_2)
	v_dual_fmac_f32 v136, v164, v130 :: v_dual_mul_f32 v129, 0x3fb8aa3b, v129
	v_cndmask_b32_e32 v130, v163, v166, vcc_lo
	v_fmac_f32_e32 v136, v161, v131
	s_delay_alu instid0(VALU_DEP_3) | instskip(SKIP_3) | instid1(VALU_DEP_1)
	v_exp_f32_e32 v160, v129
	v_lshl_or_b32 v131, v148, 11, v149
	s_waitcnt_depctr 0xfff
	v_fmac_f32_e32 v136, v151, v132
	v_fmac_f32_e32 v136, v150, v133
	s_delay_alu instid0(VALU_DEP_1) | instskip(NEXT) | instid1(VALU_DEP_1)
	v_fmac_f32_e32 v136, v160, v134
	v_add_f32_e32 v162, 0x358637bd, v136
	s_delay_alu instid0(VALU_DEP_1) | instskip(SKIP_1) | instid1(VALU_DEP_2)
	v_div_scale_f32 v167, null, v162, v162, 1.0
	v_div_scale_f32 v163, vcc_lo, 1.0, v162, 1.0
	v_rcp_f32_e32 v168, v167
	s_waitcnt_depctr 0xfff
	v_fma_f32 v129, -v167, v168, 1.0
	s_delay_alu instid0(VALU_DEP_1) | instskip(SKIP_2) | instid1(VALU_DEP_3)
	v_fmac_f32_e32 v168, v129, v168
	v_cndmask_b32_e64 v129, v130, v165, s3
	v_cmp_eq_u32_e64 s3, 4, v148
	v_dual_mul_f32 v165, v163, v168 :: v_dual_lshlrev_b32 v130, 2, v146
	s_delay_alu instid0(VALU_DEP_3) | instskip(SKIP_1) | instid1(VALU_DEP_3)
	v_cndmask_b32_e64 v129, v129, v164, s4
	v_cmp_eq_u32_e64 s4, 6, v148
	v_or_b32_e32 v134, 2, v130
	v_cmp_eq_u32_e64 s7, 6, v130
	v_fma_f32 v132, -v167, v165, v163
	v_cndmask_b32_e64 v133, v129, v161, s3
	v_lshl_or_b32 v129, v146, 4, v131
	v_cmp_eq_u32_e64 s3, 1, v130
	v_cmp_eq_u32_e64 s10, 1, v134
	v_fmac_f32_e32 v165, v132, v168
	v_cndmask_b32_e64 v148, v133, v151, s5
	v_or_b32_e32 v132, 1, v130
	v_or_b32_e32 v133, 3, v130
	v_cmp_eq_u32_e64 s15, 2, v134
	v_fma_f32 v151, -v167, v165, v163
	v_cndmask_b32_e64 v148, v148, v150, s4
	v_cmp_eq_u32_e64 s9, 1, v132
	v_cmp_eq_u32_e64 s11, 1, v133
	;; [unrolled: 1-line block ×3, first 2 shown]
	v_div_fmas_f32 v150, v151, v168, v165
	v_cndmask_b32_e64 v148, v148, v160, s6
	v_cmp_eq_u32_e32 vcc_lo, 2, v130
	v_cmp_eq_u32_e64 s16, 2, v133
	v_cmp_eq_u32_e64 s18, 3, v133
	v_div_fixup_f32 v150, v150, v162, 1.0
	v_cmp_eq_u32_e64 s4, 3, v130
	v_cmp_eq_u32_e64 s13, 3, v132
	;; [unrolled: 1-line block ×4, first 2 shown]
	v_mul_f32_e32 v148, v148, v150
	v_cmp_eq_u32_e64 s5, 4, v130
	v_cmp_eq_u32_e64 s19, 4, v132
	v_cmp_eq_u32_e64 s21, 4, v134
	v_cmp_eq_u32_e64 s24, 5, v133
	v_fma_mixlo_f16 v160, v148, v138, 0
	v_fma_mixlo_f16 v161, v148, v140, 0
	;; [unrolled: 1-line block ×8, first 2 shown]
	v_fma_mixhi_f16 v160, v148, v137, 0
	v_fma_mixhi_f16 v161, v148, v139, 0
	;; [unrolled: 1-line block ×8, first 2 shown]
	ds_store_b128 v129, v[160:163]
	ds_store_b128 v129, v[164:167] offset:1024
	s_waitcnt lgkmcnt(0)
	s_barrier
	buffer_gl0_inv
	ds_load_b128 v[137:140], v131
	ds_load_b128 v[141:144], v131 offset:16
	ds_load_b128 v[150:153], v131 offset:1024
	;; [unrolled: 1-line block ×3, first 2 shown]
	v_cmp_eq_u32_e64 s6, 5, v130
	v_cmp_eq_u32_e64 s20, 5, v132
	;; [unrolled: 1-line block ×10, first 2 shown]
	s_waitcnt lgkmcnt(3)
	v_lshrrev_b32_e32 v148, 16, v137
	s_waitcnt lgkmcnt(2)
	v_lshrrev_b32_e32 v161, 16, v141
	s_waitcnt lgkmcnt(1)
	v_lshrrev_b32_e32 v165, 16, v150
	s_waitcnt lgkmcnt(0)
	v_lshrrev_b32_e32 v169, 16, v154
	v_lshrrev_b32_e32 v158, 16, v138
	v_cndmask_b32_e64 v173, v137, v148, s3
	v_cndmask_b32_e64 v174, v141, v161, s3
	;; [unrolled: 1-line block ×8, first 2 shown]
	v_lshrrev_b32_e32 v162, 16, v142
	v_cndmask_b32_e64 v148, v150, v165, s3
	v_cndmask_b32_e64 v161, v154, v169, s3
	;; [unrolled: 1-line block ×5, first 2 shown]
	v_cndmask_b32_e32 v165, v173, v138, vcc_lo
	v_cndmask_b32_e64 v173, v175, v138, s12
	v_cndmask_b32_e64 v175, v177, v138, s15
	;; [unrolled: 1-line block ×4, first 2 shown]
	v_lshrrev_b32_e32 v166, 16, v151
	v_lshrrev_b32_e32 v170, 16, v155
	v_cndmask_b32_e64 v180, v154, v169, s9
	v_cndmask_b32_e64 v182, v154, v169, s10
	;; [unrolled: 1-line block ×3, first 2 shown]
	v_cndmask_b32_e32 v169, v174, v142, vcc_lo
	v_cndmask_b32_e64 v174, v176, v142, s12
	v_cndmask_b32_e64 v176, v178, v142, s15
	v_cndmask_b32_e32 v141, v148, v151, vcc_lo
	v_cndmask_b32_e32 v142, v161, v155, vcc_lo
	v_cndmask_b32_e64 v148, v179, v151, s12
	v_cndmask_b32_e64 v137, v137, v158, s18
	;; [unrolled: 1-line block ×3, first 2 shown]
	v_lshrrev_b32_e32 v159, 16, v139
	v_lshrrev_b32_e32 v163, 16, v143
	v_cndmask_b32_e64 v161, v181, v151, s15
	v_cndmask_b32_e64 v150, v150, v151, s16
	v_cndmask_b32_e64 v151, v154, v155, s16
	v_cndmask_b32_e64 v154, v165, v158, s4
	v_cndmask_b32_e64 v165, v169, v162, s4
	v_cndmask_b32_e64 v169, v173, v158, s13
	v_cndmask_b32_e64 v173, v174, v162, s13
	v_cndmask_b32_e64 v174, v175, v158, s17
	v_cndmask_b32_e64 v175, v176, v162, s17
	v_cndmask_b32_e64 v141, v141, v166, s4
	v_cndmask_b32_e64 v142, v142, v170, s4
	v_cndmask_b32_e64 v148, v148, v166, s13
	v_cndmask_b32_e64 v137, v137, v139, s22
	v_cndmask_b32_e64 v138, v138, v143, s22
	v_lshrrev_b32_e32 v167, 16, v152
	v_cndmask_b32_e64 v154, v154, v139, s5
	v_cndmask_b32_e64 v158, v165, v143, s5
	;; [unrolled: 1-line block ×11, first 2 shown]
	v_lshrrev_b32_e32 v160, 16, v140
	v_lshrrev_b32_e32 v164, 16, v144
	v_cndmask_b32_e64 v143, v154, v159, s6
	v_cndmask_b32_e64 v148, v158, v163, s6
	;; [unrolled: 1-line block ×9, first 2 shown]
	v_lshrrev_b32_e32 v168, 16, v153
	v_cndmask_b32_e64 v139, v139, v167, s6
	v_cndmask_b32_e64 v143, v143, v140, s7
	;; [unrolled: 1-line block ×19, first 2 shown]
	v_perm_b32 v140, v138, v137, 0x5040100
	v_cndmask_b32_e64 v137, v180, v155, s12
	v_cndmask_b32_e64 v159, v139, v168, s8
	v_perm_b32 v139, v154, v148, 0x5040100
	v_perm_b32 v138, v158, v144, 0x5040100
	v_cndmask_b32_e64 v144, v161, v166, s17
	v_cndmask_b32_e64 v148, v150, v166, s18
	;; [unrolled: 1-line block ×5, first 2 shown]
	v_lshrrev_b32_e32 v171, 16, v156
	v_cndmask_b32_e64 v144, v144, v152, s21
	v_cndmask_b32_e64 v148, v148, v152, s22
	;; [unrolled: 1-line block ×11, first 2 shown]
	v_lshrrev_b32_e32 v172, 16, v157
	v_cndmask_b32_e64 v141, v141, v157, s7
	v_cndmask_b32_e64 v144, v144, v153, s26
	;; [unrolled: 1-line block ×12, first 2 shown]
	v_perm_b32 v137, v143, v142, 0x5040100
	v_perm_b32 v144, v148, v144, 0x5040100
	;; [unrolled: 1-line block ×5, first 2 shown]
	s_lshl_b32 s7, s33, 4
	s_mov_b32 s3, exec_lo
	ds_store_b128 v129, v[137:140]
	ds_store_b128 v129, v[141:144] offset:1024
	v_cmpx_gt_u32_e32 16, v0
	s_cbranch_execz .LBB109_14
; %bb.13:
	v_or_b32_e32 v137, s31, v0
	s_load_b128 s[8:11], s[0:1], 0x58
	s_delay_alu instid0(VALU_DEP_1) | instskip(NEXT) | instid1(VALU_DEP_1)
	v_mad_u64_u32 v[138:139], null, s7, s34, v[137:138]
	v_mad_u64_u32 v[139:140], null, v138, s35, s[14:15]
	s_delay_alu instid0(VALU_DEP_1) | instskip(NEXT) | instid1(VALU_DEP_1)
	v_ashrrev_i32_e32 v140, 31, v139
	v_lshlrev_b64 v[137:138], 2, v[139:140]
	s_waitcnt lgkmcnt(0)
	s_delay_alu instid0(VALU_DEP_1) | instskip(NEXT) | instid1(VALU_DEP_2)
	v_add_co_u32 v139, vcc_lo, s10, v137
	v_add_co_ci_u32_e32 v140, vcc_lo, s11, v138, vcc_lo
	v_add_co_u32 v137, vcc_lo, s8, v137
	v_add_co_ci_u32_e32 v138, vcc_lo, s9, v138, vcc_lo
	global_store_b32 v[139:140], v135, off
	global_store_b32 v[137:138], v136, off
.LBB109_14:
	s_or_b32 exec_lo, exec_lo, s3
	s_waitcnt lgkmcnt(0)
	s_waitcnt_vscnt null, 0x0
	s_barrier
	buffer_gl0_inv
	ds_load_b128 v[150:153], v149
	ds_load_b128 v[154:157], v149 offset:16
	ds_load_b128 v[162:165], v149 offset:1040
	;; [unrolled: 1-line block ×5, first 2 shown]
	v_cmp_eq_u32_e32 vcc_lo, 1, v134
	v_mov_b32_e32 v135, 0
	ds_load_b128 v[178:181], v149 offset:3088
	ds_load_b128 v[174:177], v149 offset:3072
	;; [unrolled: 1-line block ×4, first 2 shown]
	v_cmp_eq_u32_e64 s3, 1, v130
	v_cmp_eq_u32_e64 s4, 1, v133
	;; [unrolled: 1-line block ×3, first 2 shown]
	v_mov_b32_e32 v136, v135
	v_mov_b32_e32 v137, v135
	;; [unrolled: 1-line block ×7, first 2 shown]
	v_cmp_eq_u32_e64 s6, 2, v130
	s_waitcnt lgkmcnt(8)
	s_delay_alu instid0(VALU_DEP_2)
	v_wmma_f32_16x16x16_f16 v[135:142], v[121:128], v[150:157], v[135:142]
	ds_load_b128 v[125:128], v149 offset:5136
	ds_load_b128 v[121:124], v149 offset:5120
	s_waitcnt lgkmcnt(8)
	v_wmma_f32_16x16x16_f16 v[135:142], v[113:120], v[158:165], v[135:142]
	ds_load_b128 v[117:120], v149 offset:6160
	ds_load_b128 v[113:116], v149 offset:6144
	s_waitcnt lgkmcnt(8)
	;; [unrolled: 4-line block ×11, first 2 shown]
	s_barrier
	buffer_gl0_inv
	v_wmma_f32_16x16x16_f16 v[135:142], v[1:8], v[73:80], v[135:142]
	s_delay_alu instid0(VALU_DEP_1) | instskip(NEXT) | instid1(VALU_DEP_1)
	v_wmma_f32_16x16x16_f16 v[135:142], v[9:16], v[65:72], v[135:142]
	v_wmma_f32_16x16x16_f16 v[135:142], v[33:40], v[57:64], v[135:142]
	s_delay_alu instid0(VALU_DEP_1) | instskip(NEXT) | instid1(VALU_DEP_1)
	v_wmma_f32_16x16x16_f16 v[135:142], v[41:48], v[49:56], v[135:142]
	v_wmma_f32_16x16x16_f16 v[135:142], v[17:24], v[25:32], v[135:142]
	s_delay_alu instid0(VALU_DEP_1) | instskip(NEXT) | instid1(VALU_DEP_2)
	v_cvt_f16_f32_e64 v1, v135
	v_cvt_f16_f32_e64 v2, v136
	s_delay_alu instid0(VALU_DEP_3) | instskip(NEXT) | instid1(VALU_DEP_4)
	v_cvt_f16_f32_e64 v3, v137
	v_cvt_f16_f32_e64 v4, v138
	;; [unrolled: 1-line block ×6, first 2 shown]
	v_pack_b32_f16 v1, v1, v2
	v_pack_b32_f16 v2, v3, v4
	;; [unrolled: 1-line block ×3, first 2 shown]
	s_delay_alu instid0(VALU_DEP_4)
	v_pack_b32_f16 v4, v7, v8
	ds_store_b128 v129, v[1:4]
	s_waitcnt lgkmcnt(0)
	s_barrier
	buffer_gl0_inv
	ds_load_b128 v[1:4], v131
	ds_load_b128 v[5:8], v131 offset:16
	s_waitcnt lgkmcnt(1)
	v_lshrrev_b32_e32 v9, 16, v1
	s_waitcnt lgkmcnt(0)
	v_lshrrev_b32_e32 v13, 16, v5
	v_lshrrev_b32_e32 v10, 16, v2
	;; [unrolled: 1-line block ×4, first 2 shown]
	v_cndmask_b32_e64 v17, v1, v9, s3
	v_cndmask_b32_e64 v18, v5, v13, s3
	v_cndmask_b32_e64 v19, v1, v9, s5
	v_cmp_eq_u32_e64 s3, 2, v132
	v_cndmask_b32_e64 v20, v5, v13, s5
	v_cndmask_b32_e32 v21, v1, v9, vcc_lo
	v_cndmask_b32_e32 v22, v5, v13, vcc_lo
	v_cndmask_b32_e64 v1, v1, v9, s4
	v_cndmask_b32_e64 v5, v5, v13, s4
	v_cmp_eq_u32_e32 vcc_lo, 2, v134
	v_cmp_eq_u32_e64 s4, 2, v133
	v_cndmask_b32_e64 v9, v17, v2, s6
	v_cndmask_b32_e64 v13, v18, v6, s6
	;; [unrolled: 1-line block ×4, first 2 shown]
	v_cndmask_b32_e32 v19, v21, v2, vcc_lo
	v_cmp_eq_u32_e64 s3, 3, v134
	v_cndmask_b32_e32 v20, v22, v6, vcc_lo
	v_cndmask_b32_e64 v1, v1, v2, s4
	v_cmp_eq_u32_e32 vcc_lo, 3, v133
	v_cmp_eq_u32_e64 s5, 3, v130
	v_cndmask_b32_e64 v2, v5, v6, s4
	v_cmp_eq_u32_e64 s4, 3, v132
	v_cmp_eq_u32_e64 s6, 4, v130
	v_cndmask_b32_e32 v1, v1, v10, vcc_lo
	v_cndmask_b32_e64 v5, v9, v10, s5
	v_cndmask_b32_e64 v6, v13, v14, s5
	v_cndmask_b32_e64 v9, v17, v10, s4
	v_cmp_eq_u32_e64 s5, 4, v132
	v_cndmask_b32_e64 v13, v18, v14, s4
	v_cndmask_b32_e64 v17, v19, v10, s3
	;; [unrolled: 1-line block ×3, first 2 shown]
	v_cndmask_b32_e32 v2, v2, v14, vcc_lo
	v_cmp_eq_u32_e32 vcc_lo, 4, v134
	v_cmp_eq_u32_e64 s4, 4, v133
	v_lshrrev_b32_e32 v15, 16, v7
	v_cndmask_b32_e64 v5, v5, v3, s6
	v_cndmask_b32_e64 v6, v6, v7, s6
	;; [unrolled: 1-line block ×4, first 2 shown]
	v_cndmask_b32_e32 v13, v17, v3, vcc_lo
	v_cmp_eq_u32_e64 s3, 5, v134
	v_cndmask_b32_e32 v14, v18, v7, vcc_lo
	v_cndmask_b32_e64 v1, v1, v3, s4
	v_cmp_eq_u32_e32 vcc_lo, 5, v133
	v_cmp_eq_u32_e64 s5, 5, v130
	v_cndmask_b32_e64 v2, v2, v7, s4
	v_cmp_eq_u32_e64 s4, 5, v132
	v_cmp_eq_u32_e64 s6, 6, v130
	v_lshrrev_b32_e32 v12, 16, v4
	v_cndmask_b32_e64 v3, v5, v11, s5
	v_cndmask_b32_e64 v5, v6, v15, s5
	;; [unrolled: 1-line block ×3, first 2 shown]
	v_cmp_eq_u32_e64 s5, 6, v132
	v_cndmask_b32_e64 v7, v10, v15, s4
	v_cndmask_b32_e64 v9, v13, v11, s3
	;; [unrolled: 1-line block ×3, first 2 shown]
	v_cndmask_b32_e32 v1, v1, v11, vcc_lo
	v_cndmask_b32_e32 v2, v2, v15, vcc_lo
	v_cmp_eq_u32_e32 vcc_lo, 6, v134
	v_cmp_eq_u32_e64 s3, 6, v133
	v_lshrrev_b32_e32 v16, 16, v8
	v_cndmask_b32_e64 v3, v3, v4, s6
	v_cndmask_b32_e64 v5, v5, v8, s6
	v_cndmask_b32_e32 v9, v9, v4, vcc_lo
	v_cndmask_b32_e64 v6, v6, v4, s5
	v_cndmask_b32_e64 v7, v7, v8, s5
	v_cmp_eq_u32_e64 s4, 7, v134
	v_cndmask_b32_e32 v10, v10, v8, vcc_lo
	v_cndmask_b32_e64 v1, v1, v4, s3
	v_cmp_eq_u32_e32 vcc_lo, 7, v133
	v_cndmask_b32_e64 v2, v2, v8, s3
	v_cmp_eq_u32_e64 s3, 7, v130
	v_cmp_eq_u32_e64 s5, 7, v132
	v_cndmask_b32_e32 v1, v1, v12, vcc_lo
	s_delay_alu instid0(VALU_DEP_4) | instskip(NEXT) | instid1(VALU_DEP_4)
	v_cndmask_b32_e32 v2, v2, v16, vcc_lo
	v_cndmask_b32_e64 v8, v3, v12, s3
	s_delay_alu instid0(VALU_DEP_4)
	v_cndmask_b32_e64 v6, v6, v12, s5
	v_cndmask_b32_e64 v3, v9, v12, s4
	;; [unrolled: 1-line block ×5, first 2 shown]
	v_cmp_gt_u32_e32 vcc_lo, 32, v0
	v_perm_b32 v4, v2, v1, 0x5040100
	v_perm_b32 v3, v9, v3, 0x5040100
	v_perm_b32 v2, v7, v6, 0x5040100
	v_perm_b32 v1, v5, v8, 0x5040100
	s_and_b32 s2, vcc_lo, s2
	ds_store_b128 v129, v[1:4]
	s_waitcnt lgkmcnt(0)
	s_barrier
	buffer_gl0_inv
	s_and_saveexec_b32 s3, s2
	s_cbranch_execz .LBB109_2
; %bb.15:
	s_load_b64 s[0:1], s[0:1], 0x68
	v_lshlrev_b32_e32 v0, 10, v0
	s_lshl_b32 s4, s35, 6
	v_or_b32_e32 v23, s31, v146
	s_mul_i32 s2, s4, s34
	v_lshlrev_b32_e32 v1, 4, v147
	v_lshlrev_b32_e32 v2, 6, v146
	s_mul_i32 s2, s2, s7
	v_and_b32_e32 v0, 0x3800, v0
	v_mul_lo_u32 v8, v23, s4
	s_ashr_i32 s3, s2, 31
	v_or_b32_e32 v3, 2, v23
	s_lshl_b64 s[2:3], s[2:3], 1
	v_or3_b32 v27, v0, v1, v2
	v_or_b32_e32 v11, 4, v23
	v_or_b32_e32 v18, 6, v23
	v_mul_lo_u32 v10, v3, s4
	v_ashrrev_i32_e32 v9, 31, v8
	ds_load_b128 v[0:3], v27
	ds_load_b128 v[4:7], v27 offset:128
	v_mul_lo_u32 v12, v11, s4
	s_waitcnt lgkmcnt(0)
	s_add_u32 s2, s0, s2
	s_addc_u32 s3, s1, s3
	s_lshl_b32 s0, s14, 6
	v_lshlrev_b64 v[8:9], 1, v[8:9]
	s_ashr_i32 s1, s0, 31
	v_ashrrev_i32_e32 v11, 31, v10
	s_lshl_b64 s[0:1], s[0:1], 1
	v_ashrrev_i32_e32 v13, 31, v12
	s_add_u32 s0, s2, s0
	s_addc_u32 s1, s3, s1
	v_add_co_u32 v30, s0, s0, v145
	s_delay_alu instid0(VALU_DEP_1) | instskip(SKIP_1) | instid1(VALU_DEP_3)
	v_add_co_ci_u32_e64 v31, null, s1, 0, s0
	v_lshlrev_b64 v[16:17], 1, v[10:11]
	v_add_co_u32 v14, vcc_lo, v30, v8
	s_delay_alu instid0(VALU_DEP_3)
	v_add_co_ci_u32_e32 v15, vcc_lo, v31, v9, vcc_lo
	ds_load_b128 v[8:11], v27 offset:256
	v_mul_lo_u32 v18, v18, s4
	v_or_b32_e32 v19, 8, v23
	v_add_co_u32 v16, vcc_lo, v30, v16
	global_store_b128 v[14:15], v[0:3], off
	v_lshlrev_b64 v[0:1], 1, v[12:13]
	v_add_co_ci_u32_e32 v17, vcc_lo, v31, v17, vcc_lo
	v_mul_lo_u32 v12, v19, s4
	v_ashrrev_i32_e32 v19, 31, v18
	v_or_b32_e32 v14, 10, v23
	global_store_b128 v[16:17], v[4:7], off
	v_add_co_u32 v4, vcc_lo, v30, v0
	v_add_co_ci_u32_e32 v5, vcc_lo, v31, v1, vcc_lo
	ds_load_b128 v[0:3], v27 offset:384
	v_ashrrev_i32_e32 v13, 31, v12
	v_lshlrev_b64 v[6:7], 1, v[18:19]
	v_mul_lo_u32 v14, v14, s4
	s_waitcnt lgkmcnt(1)
	global_store_b128 v[4:5], v[8:11], off
	v_or_b32_e32 v8, 12, v23
	v_lshlrev_b64 v[4:5], 1, v[12:13]
	v_add_co_u32 v20, vcc_lo, v30, v6
	v_or_b32_e32 v6, 14, v23
	v_ashrrev_i32_e32 v15, 31, v14
	v_mul_lo_u32 v22, v8, s4
	v_add_co_ci_u32_e32 v21, vcc_lo, v31, v7, vcc_lo
	v_add_co_u32 v24, vcc_lo, v30, v4
	v_mul_lo_u32 v26, v6, s4
	v_add_co_ci_u32_e32 v25, vcc_lo, v31, v5, vcc_lo
	v_lshlrev_b64 v[28:29], 1, v[14:15]
	ds_load_b128 v[4:7], v27 offset:512
	ds_load_b128 v[8:11], v27 offset:640
	;; [unrolled: 1-line block ×4, first 2 shown]
	v_ashrrev_i32_e32 v23, 31, v22
	v_ashrrev_i32_e32 v27, 31, v26
	v_add_co_u32 v28, vcc_lo, v30, v28
	s_delay_alu instid0(VALU_DEP_3) | instskip(SKIP_1) | instid1(VALU_DEP_4)
	v_lshlrev_b64 v[22:23], 1, v[22:23]
	v_add_co_ci_u32_e32 v29, vcc_lo, v31, v29, vcc_lo
	v_lshlrev_b64 v[26:27], 1, v[26:27]
	s_delay_alu instid0(VALU_DEP_3) | instskip(NEXT) | instid1(VALU_DEP_4)
	v_add_co_u32 v22, vcc_lo, v30, v22
	v_add_co_ci_u32_e32 v23, vcc_lo, v31, v23, vcc_lo
	s_delay_alu instid0(VALU_DEP_3) | instskip(NEXT) | instid1(VALU_DEP_4)
	v_add_co_u32 v26, vcc_lo, v30, v26
	v_add_co_ci_u32_e32 v27, vcc_lo, v31, v27, vcc_lo
	s_waitcnt lgkmcnt(4)
	global_store_b128 v[20:21], v[0:3], off
	s_waitcnt lgkmcnt(3)
	global_store_b128 v[24:25], v[4:7], off
	;; [unrolled: 2-line block ×5, first 2 shown]
	s_nop 0
	s_sendmsg sendmsg(MSG_DEALLOC_VGPRS)
	s_endpgm
	.section	.rodata,"a",@progbits
	.p2align	6, 0x0
	.amdhsa_kernel _Z39paged_attention_ll4mi_QKV_mfma16_kernelIDF16_DF16_LN4vllm18Fp8KVCacheDataTypeE0EDF16_Li16ELi64ELi256ELb0ELi16EL8MFMAType0EEvPKT_PKT0_S8_ifPKiSA_SA_iPKfiiiPfSD_PS3_PT2_iSC_SC_
		.amdhsa_group_segment_fixed_size 17472
		.amdhsa_private_segment_fixed_size 0
		.amdhsa_kernarg_size 400
		.amdhsa_user_sgpr_count 13
		.amdhsa_user_sgpr_dispatch_ptr 0
		.amdhsa_user_sgpr_queue_ptr 0
		.amdhsa_user_sgpr_kernarg_segment_ptr 1
		.amdhsa_user_sgpr_dispatch_id 0
		.amdhsa_user_sgpr_private_segment_size 0
		.amdhsa_wavefront_size32 1
		.amdhsa_uses_dynamic_stack 0
		.amdhsa_enable_private_segment 0
		.amdhsa_system_sgpr_workgroup_id_x 1
		.amdhsa_system_sgpr_workgroup_id_y 1
		.amdhsa_system_sgpr_workgroup_id_z 1
		.amdhsa_system_sgpr_workgroup_info 0
		.amdhsa_system_vgpr_workitem_id 0
		.amdhsa_next_free_vgpr 198
		.amdhsa_next_free_sgpr 52
		.amdhsa_reserve_vcc 1
		.amdhsa_float_round_mode_32 0
		.amdhsa_float_round_mode_16_64 0
		.amdhsa_float_denorm_mode_32 3
		.amdhsa_float_denorm_mode_16_64 3
		.amdhsa_dx10_clamp 1
		.amdhsa_ieee_mode 1
		.amdhsa_fp16_overflow 0
		.amdhsa_workgroup_processor_mode 1
		.amdhsa_memory_ordered 1
		.amdhsa_forward_progress 0
		.amdhsa_shared_vgpr_count 0
		.amdhsa_exception_fp_ieee_invalid_op 0
		.amdhsa_exception_fp_denorm_src 0
		.amdhsa_exception_fp_ieee_div_zero 0
		.amdhsa_exception_fp_ieee_overflow 0
		.amdhsa_exception_fp_ieee_underflow 0
		.amdhsa_exception_fp_ieee_inexact 0
		.amdhsa_exception_int_div_zero 0
	.end_amdhsa_kernel
	.section	.text._Z39paged_attention_ll4mi_QKV_mfma16_kernelIDF16_DF16_LN4vllm18Fp8KVCacheDataTypeE0EDF16_Li16ELi64ELi256ELb0ELi16EL8MFMAType0EEvPKT_PKT0_S8_ifPKiSA_SA_iPKfiiiPfSD_PS3_PT2_iSC_SC_,"axG",@progbits,_Z39paged_attention_ll4mi_QKV_mfma16_kernelIDF16_DF16_LN4vllm18Fp8KVCacheDataTypeE0EDF16_Li16ELi64ELi256ELb0ELi16EL8MFMAType0EEvPKT_PKT0_S8_ifPKiSA_SA_iPKfiiiPfSD_PS3_PT2_iSC_SC_,comdat
.Lfunc_end109:
	.size	_Z39paged_attention_ll4mi_QKV_mfma16_kernelIDF16_DF16_LN4vllm18Fp8KVCacheDataTypeE0EDF16_Li16ELi64ELi256ELb0ELi16EL8MFMAType0EEvPKT_PKT0_S8_ifPKiSA_SA_iPKfiiiPfSD_PS3_PT2_iSC_SC_, .Lfunc_end109-_Z39paged_attention_ll4mi_QKV_mfma16_kernelIDF16_DF16_LN4vllm18Fp8KVCacheDataTypeE0EDF16_Li16ELi64ELi256ELb0ELi16EL8MFMAType0EEvPKT_PKT0_S8_ifPKiSA_SA_iPKfiiiPfSD_PS3_PT2_iSC_SC_
                                        ; -- End function
	.section	.AMDGPU.csdata,"",@progbits
; Kernel info:
; codeLenInByte = 8016
; NumSgprs: 54
; NumVgprs: 198
; ScratchSize: 0
; MemoryBound: 0
; FloatMode: 240
; IeeeMode: 1
; LDSByteSize: 17472 bytes/workgroup (compile time only)
; SGPRBlocks: 6
; VGPRBlocks: 24
; NumSGPRsForWavesPerEU: 54
; NumVGPRsForWavesPerEU: 198
; Occupancy: 7
; WaveLimiterHint : 1
; COMPUTE_PGM_RSRC2:SCRATCH_EN: 0
; COMPUTE_PGM_RSRC2:USER_SGPR: 13
; COMPUTE_PGM_RSRC2:TRAP_HANDLER: 0
; COMPUTE_PGM_RSRC2:TGID_X_EN: 1
; COMPUTE_PGM_RSRC2:TGID_Y_EN: 1
; COMPUTE_PGM_RSRC2:TGID_Z_EN: 1
; COMPUTE_PGM_RSRC2:TIDIG_COMP_CNT: 0
	.section	.text._Z39paged_attention_ll4mi_QKV_mfma16_kernelIDF16_DF16_LN4vllm18Fp8KVCacheDataTypeE0EDF16_Li16ELi64ELi256ELb0ELi1EL8MFMAType0EEvPKT_PKT0_S8_ifPKiSA_SA_iPKfiiiPfSD_PS3_PT2_iSC_SC_,"axG",@progbits,_Z39paged_attention_ll4mi_QKV_mfma16_kernelIDF16_DF16_LN4vllm18Fp8KVCacheDataTypeE0EDF16_Li16ELi64ELi256ELb0ELi1EL8MFMAType0EEvPKT_PKT0_S8_ifPKiSA_SA_iPKfiiiPfSD_PS3_PT2_iSC_SC_,comdat
	.protected	_Z39paged_attention_ll4mi_QKV_mfma16_kernelIDF16_DF16_LN4vllm18Fp8KVCacheDataTypeE0EDF16_Li16ELi64ELi256ELb0ELi1EL8MFMAType0EEvPKT_PKT0_S8_ifPKiSA_SA_iPKfiiiPfSD_PS3_PT2_iSC_SC_ ; -- Begin function _Z39paged_attention_ll4mi_QKV_mfma16_kernelIDF16_DF16_LN4vllm18Fp8KVCacheDataTypeE0EDF16_Li16ELi64ELi256ELb0ELi1EL8MFMAType0EEvPKT_PKT0_S8_ifPKiSA_SA_iPKfiiiPfSD_PS3_PT2_iSC_SC_
	.globl	_Z39paged_attention_ll4mi_QKV_mfma16_kernelIDF16_DF16_LN4vllm18Fp8KVCacheDataTypeE0EDF16_Li16ELi64ELi256ELb0ELi1EL8MFMAType0EEvPKT_PKT0_S8_ifPKiSA_SA_iPKfiiiPfSD_PS3_PT2_iSC_SC_
	.p2align	8
	.type	_Z39paged_attention_ll4mi_QKV_mfma16_kernelIDF16_DF16_LN4vllm18Fp8KVCacheDataTypeE0EDF16_Li16ELi64ELi256ELb0ELi1EL8MFMAType0EEvPKT_PKT0_S8_ifPKiSA_SA_iPKfiiiPfSD_PS3_PT2_iSC_SC_,@function
_Z39paged_attention_ll4mi_QKV_mfma16_kernelIDF16_DF16_LN4vllm18Fp8KVCacheDataTypeE0EDF16_Li16ELi64ELi256ELb0ELi1EL8MFMAType0EEvPKT_PKT0_S8_ifPKiSA_SA_iPKfiiiPfSD_PS3_PT2_iSC_SC_: ; @_Z39paged_attention_ll4mi_QKV_mfma16_kernelIDF16_DF16_LN4vllm18Fp8KVCacheDataTypeE0EDF16_Li16ELi64ELi256ELb0ELi1EL8MFMAType0EEvPKT_PKT0_S8_ifPKiSA_SA_iPKfiiiPfSD_PS3_PT2_iSC_SC_
; %bb.0:
	s_load_b64 s[4:5], s[0:1], 0x30
	s_mov_b32 s34, s13
	s_waitcnt lgkmcnt(0)
	s_cmp_lg_u64 s[4:5], 0
	s_cselect_b32 s6, -1, 0
	s_ashr_i32 s35, s13, 31
	s_cmp_eq_u64 s[4:5], 0
	s_cbranch_scc1 .LBB110_3
; %bb.1:
	s_lshl_b64 s[2:3], s[34:35], 2
	s_delay_alu instid0(SALU_CYCLE_1) | instskip(SKIP_4) | instid1(SALU_CYCLE_1)
	s_add_u32 s2, s4, s2
	s_addc_u32 s3, s5, s3
	s_load_b64 s[2:3], s[2:3], 0x0
	s_waitcnt lgkmcnt(0)
	s_sub_i32 s2, s3, s2
	s_cmp_eq_u32 s2, 1
	s_cselect_b32 s2, -1, 0
	s_delay_alu instid0(SALU_CYCLE_1)
	s_and_not1_b32 vcc_lo, exec_lo, s2
	s_cbranch_vccz .LBB110_4
.LBB110_2:
	s_endpgm
.LBB110_3:
.LBB110_4:
	s_load_b64 s[2:3], s[0:1], 0x28
	s_lshl_b64 s[8:9], s[34:35], 2
	s_waitcnt lgkmcnt(0)
	s_add_u32 s2, s2, s8
	s_addc_u32 s3, s3, s9
	s_lshl_b32 s62, s14, 8
	s_load_b32 s33, s[2:3], 0x0
	s_waitcnt lgkmcnt(0)
	s_cmp_ge_i32 s62, s33
	s_cbranch_scc1 .LBB110_2
; %bb.5:
	s_clause 0x1
	s_load_b128 s[56:59], s[0:1], 0x8
	s_load_b64 s[2:3], s[0:1], 0x20
	s_and_not1_b32 vcc_lo, exec_lo, s6
	s_mov_b64 s[6:7], s[34:35]
	s_cbranch_vccnz .LBB110_7
; %bb.6:
	s_add_u32 s4, s4, s8
	s_addc_u32 s5, s5, s9
	s_load_b32 s6, s[4:5], 0x0
.LBB110_7:
	s_load_b128 s[52:55], s[0:1], 0x48
	v_and_b32_e32 v145, 15, v0
	s_mov_b32 s12, exec_lo
                                        ; implicit-def: $sgpr24
                                        ; implicit-def: $sgpr36
                                        ; implicit-def: $sgpr16
                                        ; implicit-def: $sgpr4
	s_delay_alu instid0(VALU_DEP_1)
	v_cmpx_eq_u32_e32 0, v145
	s_cbranch_execz .LBB110_9
; %bb.8:
	s_load_b64 s[4:5], s[0:1], 0x0
	s_waitcnt lgkmcnt(0)
	s_mul_hi_i32 s7, s6, s52
	s_mul_i32 s6, s6, s52
	s_delay_alu instid0(SALU_CYCLE_1) | instskip(NEXT) | instid1(SALU_CYCLE_1)
	s_lshl_b64 s[6:7], s[6:7], 1
	s_add_u32 s6, s4, s6
	s_addc_u32 s7, s5, s7
	s_lshl_b32 s4, s15, 6
	s_delay_alu instid0(SALU_CYCLE_1) | instskip(NEXT) | instid1(SALU_CYCLE_1)
	s_ashr_i32 s5, s4, 31
	s_lshl_b64 s[4:5], s[4:5], 1
	s_delay_alu instid0(SALU_CYCLE_1)
	s_add_u32 s4, s6, s4
	s_addc_u32 s5, s7, s5
	s_clause 0x3
	s_load_b256 s[24:31], s[4:5], 0x0
	s_load_b256 s[36:43], s[4:5], 0x20
	;; [unrolled: 1-line block ×4, first 2 shown]
.LBB110_9:
	s_or_b32 exec_lo, exec_lo, s12
	s_waitcnt lgkmcnt(0)
	v_dual_mov_b32 v48, s31 :: v_dual_and_b32 v1, 0xef, v0
	s_add_i32 s13, s33, 15
	s_clause 0x1
	s_load_b32 s12, s[0:1], 0x38
	s_load_b32 s52, s[0:1], 0x1c
	v_dual_mov_b32 v46, s29 :: v_dual_add_nc_u32 v1, s62, v1
	s_ashr_i32 s35, s13, 31
	v_mov_b32_e32 v45, s28
	s_lshr_b32 s35, s35, 28
	s_delay_alu instid0(VALU_DEP_2)
	v_ashrrev_i32_e32 v2, 31, v1
	v_or_b32_e32 v3, 16, v1
	s_add_i32 s13, s13, s35
	v_cmp_gt_i32_e32 vcc_lo, s33, v1
	s_ashr_i32 s35, s13, 4
	v_lshrrev_b32_e32 v2, 28, v2
	s_add_i32 s35, s35, -1
	v_mov_b32_e32 v43, s26
	v_mov_b32_e32 v41, s24
	v_dual_mov_b32 v162, s43 :: v_dual_lshlrev_b32 v37, 5, v145
	v_dual_mov_b32 v47, s30 :: v_dual_add_nc_u32 v4, v1, v2
	s_waitcnt lgkmcnt(0)
	s_mul_i32 s12, s34, s12
	v_mov_b32_e32 v160, s41
	s_ashr_i32 s13, s12, 31
	v_ashrrev_i32_e32 v4, 4, v4
	v_add_nc_u32_e32 v2, v3, v2
	s_lshl_b64 s[12:13], s[12:13], 2
	v_mov_b32_e32 v158, s39
	s_add_u32 s63, s2, s12
	v_cndmask_b32_e32 v1, s35, v4, vcc_lo
	v_ashrrev_i32_e32 v2, 4, v2
	v_cmp_gt_i32_e32 vcc_lo, s33, v3
	s_addc_u32 s64, s3, s13
	s_mul_i32 s2, s15, s54
	v_mov_b32_e32 v156, s37
	s_ashr_i32 s3, s2, 31
	v_cndmask_b32_e32 v3, s35, v2, vcc_lo
	v_ashrrev_i32_e32 v2, 31, v1
	s_lshl_b64 s[2:3], s[2:3], 1
	v_lshrrev_b32_e32 v146, 5, v0
	s_add_u32 s56, s56, s2
	v_ashrrev_i32_e32 v4, 31, v3
	v_lshlrev_b64 v[1:2], 2, v[1:2]
	s_addc_u32 s57, s57, s3
	s_lshl_b32 s12, s14, 4
	v_mov_b32_e32 v44, s27
	v_lshlrev_b64 v[3:4], 2, v[3:4]
	s_ashr_i32 s13, s12, 31
	v_add_co_u32 v1, vcc_lo, s63, v1
	v_add_co_ci_u32_e32 v2, vcc_lo, s64, v2, vcc_lo
	s_delay_alu instid0(VALU_DEP_3) | instskip(NEXT) | instid1(VALU_DEP_4)
	v_add_co_u32 v3, vcc_lo, s63, v3
	v_add_co_ci_u32_e32 v4, vcc_lo, s64, v4, vcc_lo
	s_clause 0x1
	global_load_b32 v5, v[1:2], off
	global_load_b32 v6, v[3:4], off
	s_lshl_b64 s[12:13], s[12:13], 2
	v_lshlrev_b32_e32 v3, 4, v0
	s_add_u32 s12, s63, s12
	s_addc_u32 s13, s64, s13
	s_or_b32 s44, s62, 16
	v_mov_b32_e32 v42, s25
	s_ashr_i32 s45, s44, 4
	s_cmp_lt_i32 s44, s33
	s_cselect_b32 s44, s45, s35
	s_delay_alu instid0(SALU_CYCLE_1) | instskip(NEXT) | instid1(SALU_CYCLE_1)
	s_ashr_i32 s45, s44, 31
	s_lshl_b64 s[44:45], s[44:45], 2
	s_delay_alu instid0(SALU_CYCLE_1) | instskip(SKIP_2) | instid1(SALU_CYCLE_1)
	s_add_u32 s44, s63, s44
	s_addc_u32 s45, s64, s45
	s_or_b32 s46, s62, 32
	s_ashr_i32 s47, s46, 4
	s_cmp_lt_i32 s46, s33
	s_cselect_b32 s46, s47, s35
	s_delay_alu instid0(SALU_CYCLE_1) | instskip(NEXT) | instid1(SALU_CYCLE_1)
	s_ashr_i32 s47, s46, 31
	s_lshl_b64 s[46:47], s[46:47], 2
	s_delay_alu instid0(SALU_CYCLE_1) | instskip(SKIP_2) | instid1(SALU_CYCLE_1)
	s_add_u32 s46, s63, s46
	s_addc_u32 s47, s64, s47
	s_or_b32 s48, s62, 48
	;; [unrolled: 10-line block ×4, first 2 shown]
	s_ashr_i32 s55, s54, 4
	s_cmp_lt_i32 s54, s33
	s_cselect_b32 s54, s55, s35
	s_delay_alu instid0(SALU_CYCLE_1) | instskip(NEXT) | instid1(SALU_CYCLE_1)
	s_ashr_i32 s55, s54, 31
	s_lshl_b64 s[54:55], s[54:55], 2
	s_delay_alu instid0(SALU_CYCLE_1)
	s_add_u32 s54, s63, s54
	s_addc_u32 s55, s64, s55
	s_clause 0x5
	s_load_b32 s12, s[12:13], 0x0
	s_load_b32 s69, s[44:45], 0x0
	;; [unrolled: 1-line block ×6, first 2 shown]
	s_waitcnt lgkmcnt(0)
	s_mul_hi_i32 s29, s67, s53
	s_waitcnt vmcnt(1)
	v_mad_i64_i32 v[1:2], null, v5, s53, 0
	v_and_b32_e32 v5, 0xf0, v3
	s_waitcnt vmcnt(0)
	v_mad_i64_i32 v[3:4], null, v6, s53, 0
	s_delay_alu instid0(VALU_DEP_2) | instskip(NEXT) | instid1(VALU_DEP_4)
	v_add_co_u32 v5, s13, s56, v5
	v_lshlrev_b64 v[1:2], 1, v[1:2]
	v_add_co_ci_u32_e64 v6, null, s57, 0, s13
	s_delay_alu instid0(VALU_DEP_4) | instskip(SKIP_1) | instid1(VALU_DEP_3)
	v_lshlrev_b64 v[3:4], 1, v[3:4]
	s_or_b32 s13, s62, 0x60
	v_add_co_u32 v33, vcc_lo, v5, v1
	s_delay_alu instid0(VALU_DEP_3) | instskip(NEXT) | instid1(VALU_DEP_3)
	v_add_co_ci_u32_e32 v34, vcc_lo, v6, v2, vcc_lo
	v_add_co_u32 v35, vcc_lo, v5, v3
	s_delay_alu instid0(VALU_DEP_4)
	v_add_co_ci_u32_e32 v36, vcc_lo, v6, v4, vcc_lo
	s_clause 0xf
	global_load_b128 v[1:4], v[33:34], off
	global_load_b128 v[5:8], v[33:34], off offset:256
	global_load_b128 v[9:12], v[35:36], off
	global_load_b128 v[13:16], v[35:36], off offset:256
	global_load_b128 v[25:28], v[33:34], off offset:512
	global_load_b128 v[29:32], v[33:34], off offset:768
	global_load_b128 v[17:20], v[35:36], off offset:512
	global_load_b128 v[21:24], v[35:36], off offset:768
	global_load_b128 v[137:140], v[33:34], off offset:1024
	global_load_b128 v[141:144], v[33:34], off offset:1280
	global_load_b128 v[147:150], v[35:36], off offset:1024
	global_load_b128 v[151:154], v[35:36], off offset:1280
	global_load_b128 v[163:166], v[33:34], off offset:1536
	global_load_b128 v[167:170], v[33:34], off offset:1792
	global_load_b128 v[171:174], v[35:36], off offset:1536
	global_load_b128 v[175:178], v[35:36], off offset:1792
	s_ashr_i32 s44, s13, 4
	s_cmp_lt_i32 s13, s33
	v_lshl_or_b32 v33, v146, 9, v37
	s_cselect_b32 s44, s44, s35
	s_delay_alu instid0(SALU_CYCLE_1) | instskip(NEXT) | instid1(SALU_CYCLE_1)
	s_ashr_i32 s45, s44, 31
	s_lshl_b64 s[44:45], s[44:45], 2
	s_delay_alu instid0(SALU_CYCLE_1) | instskip(SKIP_2) | instid1(SALU_CYCLE_1)
	s_add_u32 s54, s63, s44
	s_addc_u32 s55, s64, s45
	s_or_b32 s13, s62, 0x70
	s_ashr_i32 s44, s13, 4
	s_cmp_lt_i32 s13, s33
	s_cselect_b32 s44, s44, s35
	s_delay_alu instid0(SALU_CYCLE_1) | instskip(NEXT) | instid1(SALU_CYCLE_1)
	s_ashr_i32 s45, s44, 31
	s_lshl_b64 s[44:45], s[44:45], 2
	s_delay_alu instid0(SALU_CYCLE_1)
	s_add_u32 s56, s63, s44
	s_addc_u32 s57, s64, s45
	s_or_b32 s13, s62, 0x80
	s_mov_b32 s44, 0
	s_ashr_i32 s45, s13, 4
	s_cmp_lt_i32 s13, s33
	s_mov_b32 s48, s44
	s_cselect_b32 s46, s45, s35
	s_mov_b32 s45, s44
	s_ashr_i32 s47, s46, 31
	s_mov_b32 s49, s44
	s_lshl_b64 s[46:47], s[46:47], 2
	s_mov_b32 s50, s44
	s_add_u32 s60, s63, s46
	s_addc_u32 s61, s64, s47
	s_or_b32 s13, s62, 0x90
	s_mov_b32 s46, s44
	s_ashr_i32 s24, s13, 4
	s_cmp_lt_i32 s13, s33
	s_mov_b32 s47, s44
	s_cselect_b32 s24, s24, s35
	s_mov_b32 s51, s44
	s_ashr_i32 s25, s24, 31
	v_dual_mov_b32 v161, s42 :: v_dual_mov_b32 v136, s51
	s_lshl_b64 s[24:25], s[24:25], 2
	v_dual_mov_b32 v159, s40 :: v_dual_mov_b32 v134, s49
	v_dual_mov_b32 v157, s38 :: v_dual_mov_b32 v132, s47
	;; [unrolled: 1-line block ×3, first 2 shown]
	s_add_u32 s36, s63, s24
	s_addc_u32 s37, s64, s25
	s_or_b32 s13, s62, 0xa0
	v_mov_b32_e32 v135, s50
	s_ashr_i32 s24, s13, 4
	s_cmp_lt_i32 s13, s33
	v_mov_b32_e32 v133, s48
	s_cselect_b32 s24, s24, s35
	v_mov_b32_e32 v131, s46
	s_ashr_i32 s25, s24, 31
	v_mov_b32_e32 v129, s44
	s_lshl_b64 s[24:25], s[24:25], 2
	s_clause 0x2
	s_load_b32 s49, s[54:55], 0x0
	s_load_b32 s50, s[56:57], 0x0
	;; [unrolled: 1-line block ×3, first 2 shown]
	s_add_u32 s38, s63, s24
	s_addc_u32 s39, s64, s25
	s_or_b32 s13, s62, 0xb0
	s_clause 0x1
	s_load_b32 s48, s[36:37], 0x0
	s_load_b32 s47, s[38:39], 0x0
	s_ashr_i32 s24, s13, 4
	s_cmp_lt_i32 s13, s33
	s_mul_hi_i32 s13, s12, s53
	s_cselect_b32 s26, s24, s35
	s_mul_i32 s12, s12, s53
	s_ashr_i32 s27, s26, 31
	s_mul_hi_i32 s25, s69, s53
	s_lshl_b64 s[26:27], s[26:27], 2
	s_mul_i32 s24, s69, s53
	s_add_u32 s40, s63, s26
	s_addc_u32 s41, s64, s27
	s_or_b32 s26, s62, 0xc0
	s_mul_hi_i32 s27, s68, s53
	s_ashr_i32 s28, s26, 4
	s_cmp_lt_i32 s26, s33
	s_mul_i32 s26, s68, s53
	s_cselect_b32 s30, s28, s35
	s_mul_i32 s28, s67, s53
	s_ashr_i32 s31, s30, 31
	s_mul_hi_i32 s37, s65, s53
	s_lshl_b64 s[42:43], s[30:31], 2
	s_mul_hi_i32 s31, s66, s53
	s_add_u32 s42, s63, s42
	s_addc_u32 s43, s64, s43
	s_or_b32 s30, s62, 0xd0
	s_mul_i32 s36, s65, s53
	s_ashr_i32 s44, s30, 4
	s_cmp_lt_i32 s30, s33
	s_mul_i32 s30, s66, s53
	s_cselect_b32 s44, s44, s35
	s_delay_alu instid0(SALU_CYCLE_1) | instskip(NEXT) | instid1(SALU_CYCLE_1)
	s_ashr_i32 s45, s44, 31
	s_lshl_b64 s[44:45], s[44:45], 2
	s_delay_alu instid0(SALU_CYCLE_1)
	s_add_u32 s38, s63, s44
	s_addc_u32 s39, s64, s45
	s_or_b32 s54, s62, 0xe0
	s_clause 0x2
	s_load_b32 s46, s[40:41], 0x0
	s_load_b32 s45, s[42:43], 0x0
	;; [unrolled: 1-line block ×3, first 2 shown]
	s_ashr_i32 s55, s54, 4
	s_cmp_lt_i32 s54, s33
	s_waitcnt lgkmcnt(0)
	s_mul_hi_i32 s41, s50, s53
	s_mul_i32 s40, s50, s53
	s_cselect_b32 s50, s55, s35
	s_mul_hi_i32 s43, s51, s53
	s_mul_i32 s42, s51, s53
	s_ashr_i32 s51, s50, 31
	s_mul_hi_i32 s39, s49, s53
	s_lshl_b64 s[50:51], s[50:51], 2
	s_mul_i32 s38, s49, s53
	s_add_u32 s50, s63, s50
	s_addc_u32 s51, s64, s51
	s_or_b32 s56, s62, 0xf0
	s_mul_hi_i32 s49, s48, s53
	s_ashr_i32 s57, s56, 4
	s_cmp_lt_i32 s56, s33
	s_mul_i32 s48, s48, s53
	s_cselect_b32 s56, s57, s35
	s_mul_hi_i32 s55, s47, s53
	s_ashr_i32 s57, s56, 31
	s_mul_i32 s54, s47, s53
	s_lshl_b64 s[56:57], s[56:57], 2
	s_mul_hi_i32 s47, s46, s53
	s_add_u32 s56, s63, s56
	s_addc_u32 s57, s64, s57
	s_add_u32 s35, s58, s2
	s_addc_u32 s58, s59, s3
	v_add_co_u32 v193, s35, s35, v33
	s_delay_alu instid0(VALU_DEP_1) | instskip(SKIP_2) | instid1(VALU_DEP_2)
	v_add_co_ci_u32_e64 v194, null, s58, 0, s35
	s_lshl_b64 s[2:3], s[12:13], 1
	s_lshl_b64 s[12:13], s[24:25], 1
	v_add_co_u32 v33, vcc_lo, v193, s2
	s_delay_alu instid0(VALU_DEP_2)
	v_add_co_ci_u32_e32 v34, vcc_lo, s3, v194, vcc_lo
	v_add_co_u32 v35, vcc_lo, v193, s12
	s_lshl_b64 s[24:25], s[26:27], 1
	v_add_co_ci_u32_e32 v36, vcc_lo, s13, v194, vcc_lo
	v_add_co_u32 v37, vcc_lo, v193, s24
	s_lshl_b64 s[26:27], s[28:29], 1
	;; [unrolled: 3-line block ×6, first 2 shown]
	s_clause 0x1
	s_load_b32 s35, s[50:51], 0x0
	s_load_b32 s50, s[56:57], 0x0
	v_add_co_ci_u32_e32 v54, vcc_lo, s37, v194, vcc_lo
	v_add_co_u32 v55, vcc_lo, v193, s38
	s_lshl_b64 s[40:41], s[42:43], 1
	v_add_co_ci_u32_e32 v56, vcc_lo, s39, v194, vcc_lo
	v_add_co_u32 v61, vcc_lo, v193, s40
	s_lshl_b64 s[42:43], s[48:49], 1
	;; [unrolled: 3-line block ×3, first 2 shown]
	s_mul_i32 s46, s46, s53
	v_add_co_ci_u32_e32 v180, vcc_lo, s43, v194, vcc_lo
	v_add_co_u32 v181, vcc_lo, v193, s48
	s_lshl_b64 s[46:47], s[46:47], 1
	s_mul_hi_i32 s61, s45, s53
	s_mul_i32 s60, s45, s53
	v_add_co_ci_u32_e32 v182, vcc_lo, s49, v194, vcc_lo
	v_add_co_u32 v187, vcc_lo, v193, s46
	s_clause 0x15
	global_load_b128 v[121:124], v[33:34], off
	global_load_b128 v[125:128], v[33:34], off offset:16
	global_load_b128 v[113:116], v[35:36], off
	global_load_b128 v[117:120], v[35:36], off offset:16
	global_load_b128 v[105:108], v[37:38], off
	global_load_b128 v[109:112], v[37:38], off offset:16
	global_load_b128 v[97:100], v[39:40], off
	global_load_b128 v[101:104], v[39:40], off offset:16
	global_load_b128 v[89:92], v[49:50], off
	global_load_b128 v[93:96], v[49:50], off offset:16
	global_load_b128 v[81:84], v[51:52], off
	global_load_b128 v[85:88], v[51:52], off offset:16
	global_load_b128 v[73:76], v[53:54], off
	global_load_b128 v[77:80], v[53:54], off offset:16
	global_load_b128 v[65:68], v[55:56], off
	global_load_b128 v[69:72], v[55:56], off offset:16
	global_load_b128 v[57:60], v[61:62], off
	global_load_b128 v[61:64], v[61:62], off offset:16
	global_load_b128 v[49:52], v[179:180], off
	global_load_b128 v[53:56], v[179:180], off offset:16
	global_load_b128 v[33:36], v[181:182], off
	global_load_b128 v[37:40], v[181:182], off offset:16
	s_lshl_b64 s[54:55], s[60:61], 1
	s_mul_hi_i32 s45, s44, s53
	s_mul_i32 s44, s44, s53
	v_add_co_ci_u32_e32 v188, vcc_lo, s47, v194, vcc_lo
	v_add_co_u32 v189, vcc_lo, v193, s54
	s_lshl_b64 s[44:45], s[44:45], 1
	v_add_co_ci_u32_e32 v190, vcc_lo, s55, v194, vcc_lo
	s_waitcnt lgkmcnt(0)
	s_mul_hi_i32 s3, s35, s53
	s_mul_i32 s2, s35, s53
	v_add_co_u32 v191, vcc_lo, v193, s44
	s_lshl_b64 s[2:3], s[2:3], 1
	v_add_co_ci_u32_e32 v192, vcc_lo, s45, v194, vcc_lo
	s_mul_hi_i32 s13, s50, s53
	s_mul_i32 s12, s50, s53
	s_waitcnt vmcnt(36)
	v_wmma_f32_16x16x16_f16 v[179:186], v[1:8], v[41:48], v[129:136]
	s_waitcnt vmcnt(34)
	v_wmma_f32_16x16x16_f16 v[129:136], v[9:16], v[41:48], v[129:136]
	v_add_co_u32 v45, vcc_lo, v193, s2
	v_add_co_ci_u32_e32 v46, vcc_lo, s3, v194, vcc_lo
	s_lshl_b64 s[2:3], s[12:13], 1
	s_clause 0x3
	global_load_b128 v[1:4], v[187:188], off
	global_load_b128 v[5:8], v[187:188], off offset:16
	global_load_b128 v[9:12], v[189:190], off
	global_load_b128 v[13:16], v[189:190], off offset:16
	v_add_co_u32 v187, vcc_lo, v193, s2
	v_add_co_ci_u32_e32 v188, vcc_lo, s3, v194, vcc_lo
	s_waitcnt vmcnt(36)
	v_wmma_f32_16x16x16_f16 v[179:186], v[25:32], v[155:162], v[179:186]
	s_clause 0x1
	global_load_b128 v[25:28], v[191:192], off
	global_load_b128 v[29:32], v[191:192], off offset:16
	s_waitcnt vmcnt(36)
	v_wmma_f32_16x16x16_f16 v[129:136], v[17:24], v[155:162], v[129:136]
	s_clause 0x3
	global_load_b128 v[41:44], v[45:46], off
	global_load_b128 v[45:48], v[45:46], off offset:16
	global_load_b128 v[17:20], v[187:188], off
	global_load_b128 v[21:24], v[187:188], off offset:16
	v_dual_mov_b32 v162, s23 :: v_dual_mov_b32 v161, s22
	v_dual_mov_b32 v160, s21 :: v_dual_mov_b32 v159, s20
	;; [unrolled: 1-line block ×4, first 2 shown]
	s_waitcnt vmcnt(0)
	s_barrier
	buffer_gl0_inv
	v_wmma_f32_16x16x16_f16 v[129:136], v[147:154], v[155:162], v[129:136]
	v_mov_b32_e32 v154, s11
	v_dual_mov_b32 v148, s5 :: v_dual_mov_b32 v153, s10
	v_dual_mov_b32 v152, s9 :: v_dual_mov_b32 v151, s8
	v_mov_b32_e32 v150, s7
	v_wmma_f32_16x16x16_f16 v[179:186], v[137:144], v[155:162], v[179:186]
	v_mbcnt_lo_u32_b32 v138, -1, 0
	v_mov_b32_e32 v149, s6
	v_mov_b32_e32 v147, s4
	v_bfe_u32 v137, v0, 4, 1
	s_delay_alu instid0(VALU_DEP_4) | instskip(NEXT) | instid1(VALU_DEP_3)
	v_xor_b32_e32 v140, 16, v138
	v_wmma_f32_16x16x16_f16 v[179:186], v[163:170], v[147:154], v[179:186]
	v_and_b32_e32 v187, 0xe0, v0
	v_wmma_f32_16x16x16_f16 v[129:136], v[171:178], v[147:154], v[129:136]
	s_delay_alu instid0(VALU_DEP_4) | instskip(NEXT) | instid1(VALU_DEP_3)
	v_cmp_gt_i32_e32 vcc_lo, 32, v140
	v_dual_mul_f32 v148, s52, v185 :: v_dual_add_nc_u32 v139, s62, v187
	v_mul_f32_e32 v154, s52, v179
	v_cndmask_b32_e32 v138, v138, v140, vcc_lo
	v_mul_f32_e32 v153, s52, v180
	v_dual_mul_f32 v151, s52, v182 :: v_dual_mul_f32 v172, s52, v129
	v_or_b32_e32 v139, v139, v137
	v_dual_mul_f32 v152, s52, v181 :: v_dual_mul_f32 v149, s52, v184
	v_mul_f32_e32 v170, s52, v131
	v_mul_f32_e32 v150, s52, v183
	s_delay_alu instid0(VALU_DEP_4)
	v_or_b32_e32 v140, 2, v139
	v_or_b32_e32 v141, 4, v139
	;; [unrolled: 1-line block ×3, first 2 shown]
	v_cmp_gt_i32_e32 vcc_lo, s33, v139
	v_or_b32_e32 v143, 8, v139
	v_cmp_gt_i32_e64 s2, s33, v140
	v_or_b32_e32 v144, 10, v139
	v_or_b32_e32 v155, 12, v139
	;; [unrolled: 1-line block ×11, first 2 shown]
	v_cndmask_b32_e32 v139, 0xff7fffff, v154, vcc_lo
	v_cndmask_b32_e64 v140, 0xff7fffff, v153, s2
	v_cmp_gt_i32_e64 s3, s33, v141
	v_cmp_gt_i32_e64 s4, s33, v142
	;; [unrolled: 1-line block ×4, first 2 shown]
	v_max3_f32 v139, v139, 0xff7fffff, v140
	v_cndmask_b32_e64 v141, 0xff7fffff, v152, s3
	v_cndmask_b32_e64 v142, 0xff7fffff, v151, s4
	v_dual_mul_f32 v147, s52, v186 :: v_dual_mul_f32 v168, s52, v133
	v_cndmask_b32_e64 v140, 0xff7fffff, v150, s5
	v_cndmask_b32_e64 v143, 0xff7fffff, v149, s6
	s_delay_alu instid0(VALU_DEP_4)
	v_max3_f32 v139, v139, v141, v142
	v_cmp_gt_i32_e64 s7, s33, v155
	v_cmp_gt_i32_e64 s8, s33, v156
	v_mul_f32_e32 v171, s52, v130
	v_cmp_gt_i32_e64 s9, s33, v157
	v_max3_f32 v139, v139, v140, v143
	v_cndmask_b32_e64 v141, 0xff7fffff, v148, s7
	v_cndmask_b32_e64 v142, 0xff7fffff, v147, s8
	v_cmp_gt_i32_e64 s10, s33, v158
	v_mul_f32_e32 v169, s52, v132
	v_cndmask_b32_e64 v140, 0xff7fffff, v172, s9
	v_cmp_gt_i32_e64 s11, s33, v159
	v_max3_f32 v139, v139, v141, v142
	v_cndmask_b32_e64 v143, 0xff7fffff, v171, s10
	v_cmp_gt_i32_e64 s12, s33, v160
	v_mul_f32_e32 v167, s52, v134
	v_cndmask_b32_e64 v141, 0xff7fffff, v170, s11
	v_cmp_gt_i32_e64 s13, s33, v161
	v_max3_f32 v139, v139, v140, v143
	v_cndmask_b32_e64 v142, 0xff7fffff, v169, s12
	v_cmp_gt_i32_e64 s16, s33, v162
	v_dual_mul_f32 v165, s52, v136 :: v_dual_mul_f32 v166, s52, v135
	v_cndmask_b32_e64 v140, 0xff7fffff, v168, s13
	s_delay_alu instid0(VALU_DEP_4) | instskip(NEXT) | instid1(VALU_DEP_4)
	v_max3_f32 v139, v139, v141, v142
	v_cndmask_b32_e64 v143, 0xff7fffff, v167, s16
	v_cmp_gt_i32_e64 s17, s33, v163
	v_cmp_gt_i32_e64 s18, s33, v164
	s_delay_alu instid0(VALU_DEP_3) | instskip(NEXT) | instid1(VALU_DEP_3)
	v_max3_f32 v139, v139, v140, v143
	v_cndmask_b32_e64 v141, 0xff7fffff, v166, s17
	s_delay_alu instid0(VALU_DEP_3) | instskip(SKIP_1) | instid1(VALU_DEP_2)
	v_cndmask_b32_e64 v142, 0xff7fffff, v165, s18
	v_lshlrev_b32_e32 v140, 2, v138
	v_max3_f32 v138, v139, v141, v142
	ds_bpermute_b32 v139, v140, v138
	s_waitcnt lgkmcnt(0)
	v_max_f32_e32 v139, v139, v139
	s_delay_alu instid0(VALU_DEP_1) | instskip(NEXT) | instid1(VALU_DEP_1)
	v_max_f32_e32 v138, v138, v139
	v_fma_f32 v139, s52, v179, -v138
	v_fma_f32 v141, s52, v180, -v138
	;; [unrolled: 1-line block ×5, first 2 shown]
	v_mul_f32_e32 v139, 0x3fb8aa3b, v139
	s_delay_alu instid0(VALU_DEP_4) | instskip(NEXT) | instid1(VALU_DEP_4)
	v_dual_mul_f32 v141, 0x3fb8aa3b, v141 :: v_dual_mul_f32 v134, 0x3fb8aa3b, v134
	v_mul_f32_e32 v142, 0x3fb8aa3b, v142
	v_fma_f32 v144, s52, v183, -v138
	s_delay_alu instid0(VALU_DEP_4) | instskip(NEXT) | instid1(VALU_DEP_3)
	v_exp_f32_e32 v139, v139
	v_exp_f32_e32 v141, v141
	v_mul_f32_e32 v143, 0x3fb8aa3b, v143
	v_exp_f32_e32 v142, v142
	v_mul_f32_e32 v144, 0x3fb8aa3b, v144
	v_fma_f32 v149, s52, v185, -v138
	v_fma_f32 v129, s52, v129, -v138
	v_exp_f32_e32 v143, v143
	v_fma_f32 v130, s52, v130, -v138
	v_exp_f32_e32 v144, v144
	v_cndmask_b32_e32 v148, 0, v139, vcc_lo
	v_fma_f32 v139, s52, v184, -v138
	v_cndmask_b32_e64 v147, 0, v141, s2
	v_cndmask_b32_e64 v150, 0, v142, s3
	v_fma_f32 v142, s52, v186, -v138
	v_add_f32_e32 v141, 0, v148
	v_mul_f32_e32 v139, 0x3fb8aa3b, v139
	v_mul_f32_e32 v151, 0x3fb8aa3b, v149
	v_cndmask_b32_e64 v149, 0, v143, s4
	s_delay_alu instid0(VALU_DEP_4) | instskip(NEXT) | instid1(VALU_DEP_4)
	v_dual_mul_f32 v142, 0x3fb8aa3b, v142 :: v_dual_add_f32 v141, v141, v147
	v_exp_f32_e32 v139, v139
	s_delay_alu instid0(VALU_DEP_3)
	v_exp_f32_e32 v143, v151
	v_cndmask_b32_e64 v152, 0, v144, s5
	v_mul_f32_e32 v129, 0x3fb8aa3b, v129
	v_add_f32_e32 v141, v141, v150
	v_exp_f32_e32 v142, v142
	v_fma_f32 v131, s52, v131, -v138
	v_mul_f32_e32 v130, 0x3fb8aa3b, v130
	v_exp_f32_e32 v129, v129
	v_add_f32_e32 v141, v141, v149
	v_cndmask_b32_e64 v151, 0, v139, s6
	v_cndmask_b32_e64 v153, 0, v143, s7
	v_mul_f32_e32 v131, 0x3fb8aa3b, v131
	v_exp_f32_e32 v130, v130
	v_add_f32_e32 v139, v141, v152
	v_fma_f32 v141, s52, v132, -v138
	v_cndmask_b32_e64 v132, 0, v142, s8
	v_fma_f32 v133, s52, v133, -v138
	v_exp_f32_e32 v131, v131
	v_add_f32_e32 v139, v139, v151
	v_mul_f32_e32 v141, 0x3fb8aa3b, v141
	v_cndmask_b32_e64 v154, 0, v129, s9
	v_fma_f32 v136, s52, v136, -v138
	s_mov_b32 s3, exec_lo
	v_add_f32_e32 v139, v139, v153
	v_exp_f32_e32 v141, v141
	s_delay_alu instid0(VALU_DEP_1)
	v_add_f32_e32 v129, v139, v132
	v_mul_f32_e32 v139, 0x3fb8aa3b, v133
	v_cndmask_b32_e64 v133, 0, v130, s10
	v_fma_f32 v130, s52, v135, -v138
	v_cndmask_b32_e64 v135, 0, v131, s11
	v_add_f32_e32 v129, v129, v154
	v_exp_f32_e32 v139, v139
	v_exp_f32_e32 v131, v134
	v_mul_f32_e32 v130, 0x3fb8aa3b, v130
	v_cndmask_b32_e64 v134, 0, v141, s12
	v_add_f32_e32 v129, v129, v133
	s_delay_alu instid0(VALU_DEP_3) | instskip(NEXT) | instid1(VALU_DEP_1)
	v_exp_f32_e32 v130, v130
	v_add_f32_e32 v129, v129, v135
	s_delay_alu instid0(TRANS32_DEP_3) | instskip(SKIP_1) | instid1(TRANS32_DEP_2)
	v_cndmask_b32_e64 v155, 0, v139, s13
	v_mul_f32_e32 v139, 0x3fb8aa3b, v136
	v_cndmask_b32_e64 v136, 0, v131, s16
	s_delay_alu instid0(VALU_DEP_4) | instskip(NEXT) | instid1(VALU_DEP_3)
	v_add_f32_e32 v129, v129, v134
	v_exp_f32_e32 v131, v139
	s_delay_alu instid0(TRANS32_DEP_2) | instskip(NEXT) | instid1(VALU_DEP_2)
	v_cndmask_b32_e64 v157, 0, v130, s17
	v_add_f32_e32 v129, v129, v155
	s_delay_alu instid0(VALU_DEP_1) | instskip(SKIP_4) | instid1(VALU_DEP_2)
	v_add_f32_e32 v129, v129, v136
	s_waitcnt_depctr 0xfff
	v_cndmask_b32_e64 v156, 0, v131, s18
	v_and_b32_e32 v131, 31, v0
	v_add_f32_e32 v129, v129, v157
	v_cmp_lt_u32_e64 s2, 15, v131
	s_delay_alu instid0(VALU_DEP_2)
	v_add_f32_e32 v129, v129, v156
	ds_bpermute_b32 v130, v140, v129
	v_cmpx_gt_u32_e32 16, v131
	s_cbranch_execz .LBB110_11
; %bb.10:
	v_mul_u32_u24_e32 v131, 0x44, v146
	s_delay_alu instid0(VALU_DEP_1) | instskip(SKIP_1) | instid1(VALU_DEP_1)
	v_lshl_add_u32 v131, v145, 2, v131
	s_waitcnt lgkmcnt(0)
	v_dual_add_f32 v129, v129, v130 :: v_dual_add_nc_u32 v130, 0x4000, v131
	ds_store_2addr_b32 v130, v138, v129 offset1:136
.LBB110_11:
	s_or_b32 exec_lo, exec_lo, s3
	v_lshlrev_b32_e32 v129, 2, v145
	s_load_b64 s[36:37], s[0:1], 0x94
	s_waitcnt lgkmcnt(0)
	s_barrier
	buffer_gl0_inv
	v_add_nc_u32_e32 v129, 0x4000, v129
	v_cmp_eq_u32_e32 vcc_lo, 1, v146
	v_cmp_eq_u32_e64 s3, 2, v146
	v_cmp_eq_u32_e64 s5, 3, v146
	;; [unrolled: 1-line block ×3, first 2 shown]
	ds_load_2addr_b32 v[138:139], v129 offset1:17
	ds_load_2addr_b32 v[140:141], v129 offset0:34 offset1:51
	ds_load_2addr_b32 v[142:143], v129 offset0:68 offset1:85
	;; [unrolled: 1-line block ×3, first 2 shown]
	v_cmp_eq_u32_e64 s7, 5, v146
	v_cmp_eq_u32_e64 s4, 6, v146
	s_waitcnt lgkmcnt(3)
	v_max3_f32 v130, v138, 0xff7fffff, v139
	s_waitcnt lgkmcnt(2)
	s_delay_alu instid0(VALU_DEP_1) | instskip(SKIP_1) | instid1(VALU_DEP_1)
	v_max3_f32 v130, v130, v140, v141
	s_waitcnt lgkmcnt(1)
	v_max3_f32 v130, v130, v142, v143
	s_waitcnt lgkmcnt(0)
	s_delay_alu instid0(VALU_DEP_1) | instskip(NEXT) | instid1(VALU_DEP_1)
	v_max3_f32 v130, v130, v158, v159
	v_sub_f32_e32 v140, v140, v130
	ds_load_2addr_b32 v[160:161], v129 offset0:136 offset1:153
	v_sub_f32_e32 v144, v139, v130
	v_sub_f32_e32 v131, v138, v130
	ds_load_2addr_b32 v[138:139], v129 offset0:170 offset1:187
	v_sub_f32_e32 v142, v142, v130
	v_dual_mul_f32 v144, 0x3fb8aa3b, v144 :: v_dual_mul_f32 v131, 0x3fb8aa3b, v131
	s_delay_alu instid0(VALU_DEP_1) | instskip(NEXT) | instid1(VALU_DEP_1)
	v_exp_f32_e32 v144, v144
	v_exp_f32_e32 v162, v131
	v_sub_f32_e32 v131, v141, v130
	v_mul_f32_e32 v163, 0x3fb8aa3b, v140
	ds_load_2addr_b32 v[140:141], v129 offset0:204 offset1:221
	v_dual_mul_f32 v165, 0x3fb8aa3b, v142 :: v_dual_mul_f32 v164, 0x3fb8aa3b, v131
	v_exp_f32_e32 v163, v163
	s_waitcnt lgkmcnt(2)
	v_fma_f32 v131, v162, v160, 0
	v_sub_f32_e32 v160, v143, v130
	v_exp_f32_e32 v164, v164
	ds_load_2addr_b32 v[142:143], v129 offset0:238 offset1:255
	v_sub_f32_e32 v129, v158, v130
	v_dual_fmac_f32 v131, v144, v161 :: v_dual_mul_f32 v158, 0x3fb8aa3b, v160
	s_waitcnt lgkmcnt(0)
	s_barrier
	s_delay_alu instid0(VALU_DEP_2) | instskip(NEXT) | instid1(VALU_DEP_2)
	v_mul_f32_e32 v129, 0x3fb8aa3b, v129
	v_fmac_f32_e32 v131, v163, v138
	v_sub_f32_e32 v138, v159, v130
	v_exp_f32_e32 v158, v158
	buffer_gl0_inv
	v_exp_f32_e32 v159, v129
	v_dual_fmac_f32 v131, v164, v139 :: v_dual_mul_f32 v138, 0x3fb8aa3b, v138
	s_delay_alu instid0(VALU_DEP_1) | instskip(SKIP_4) | instid1(VALU_DEP_1)
	v_exp_f32_e32 v161, v138
	v_cndmask_b32_e32 v138, v162, v144, vcc_lo
	v_exp_f32_e32 v160, v165
	s_waitcnt_depctr 0xfff
	v_fmac_f32_e32 v131, v160, v140
	v_fmac_f32_e32 v131, v158, v141
	s_delay_alu instid0(VALU_DEP_1) | instskip(NEXT) | instid1(VALU_DEP_1)
	v_dual_fmac_f32 v131, v159, v142 :: v_dual_lshlrev_b32 v142, 6, v145
	v_fmac_f32_e32 v131, v161, v143
	s_delay_alu instid0(VALU_DEP_2) | instskip(NEXT) | instid1(VALU_DEP_2)
	v_lshl_or_b32 v144, v146, 11, v142
	v_add_f32_e32 v143, 0x358637bd, v131
	s_delay_alu instid0(VALU_DEP_1) | instskip(SKIP_1) | instid1(VALU_DEP_2)
	v_div_scale_f32 v165, null, v143, v143, 1.0
	v_div_scale_f32 v162, vcc_lo, 1.0, v143, 1.0
	v_rcp_f32_e32 v166, v165
	s_waitcnt_depctr 0xfff
	v_fma_f32 v129, -v165, v166, 1.0
	s_delay_alu instid0(VALU_DEP_1) | instskip(SKIP_2) | instid1(VALU_DEP_3)
	v_fmac_f32_e32 v166, v129, v166
	v_cndmask_b32_e64 v129, v138, v163, s3
	v_cmp_eq_u32_e64 s3, 7, v146
	v_dual_mul_f32 v163, v162, v166 :: v_dual_lshlrev_b32 v138, 2, v137
	s_delay_alu instid0(VALU_DEP_3) | instskip(SKIP_1) | instid1(VALU_DEP_3)
	v_cndmask_b32_e64 v139, v129, v164, s5
	v_mov_b32_e32 v129, 0
	v_or_b32_e32 v141, 2, v138
	v_cmp_eq_u32_e64 s5, 1, v138
	v_fma_f32 v140, -v165, v163, v162
	v_cndmask_b32_e64 v160, v139, v160, s6
	v_or_b32_e32 v139, 1, v138
	v_cmp_eq_u32_e64 s10, 1, v141
	v_cmp_eq_u32_e64 s6, 2, v138
	v_fmac_f32_e32 v163, v140, v166
	v_cndmask_b32_e64 v146, v160, v158, s7
	v_or_b32_e32 v140, 3, v138
	v_cmp_eq_u32_e64 s9, 1, v139
	v_cmp_eq_u32_e64 s12, 2, v139
	v_fma_f32 v158, -v165, v163, v162
	v_cndmask_b32_e64 v146, v146, v159, s4
	v_cmp_eq_u32_e64 s11, 1, v140
	v_cmp_eq_u32_e64 s16, 2, v141
	;; [unrolled: 1-line block ×3, first 2 shown]
	v_div_fmas_f32 v158, v158, v166, v163
	v_cndmask_b32_e64 v146, v146, v161, s3
	v_cmp_eq_u32_e32 vcc_lo, 3, v138
	v_cmp_eq_u32_e64 s13, 3, v139
	v_cmp_eq_u32_e64 s18, 3, v141
	v_div_fixup_f32 v158, v158, v143, 1.0
	v_lshl_or_b32 v143, v137, 4, v144
	v_cmp_eq_u32_e64 s19, 3, v140
	v_cmp_eq_u32_e64 s4, 4, v138
	;; [unrolled: 1-line block ×3, first 2 shown]
	v_mul_f32_e32 v146, v146, v158
	v_cmp_eq_u32_e64 s22, 4, v141
	v_cmp_eq_u32_e64 s23, 4, v140
	;; [unrolled: 1-line block ×4, first 2 shown]
	v_fma_mixlo_f16 v158, v146, v148, 0
	v_fma_mixlo_f16 v159, v146, v150, 0
	;; [unrolled: 1-line block ×8, first 2 shown]
	v_fma_mixhi_f16 v158, v146, v147, 0
	v_fma_mixhi_f16 v159, v146, v149, 0
	;; [unrolled: 1-line block ×8, first 2 shown]
	ds_store_b128 v143, v[158:161]
	ds_store_b128 v143, v[152:155] offset:1024
	s_waitcnt lgkmcnt(0)
	s_barrier
	buffer_gl0_inv
	ds_load_b128 v[132:135], v144
	ds_load_b128 v[146:149], v144 offset:16
	ds_load_b128 v[150:153], v144 offset:1024
	;; [unrolled: 1-line block ×3, first 2 shown]
	v_cmp_eq_u32_e64 s24, 5, v141
	v_cmp_eq_u32_e64 s25, 5, v140
	;; [unrolled: 1-line block ×10, first 2 shown]
	s_waitcnt lgkmcnt(3)
	v_lshrrev_b32_e32 v136, 16, v132
	s_waitcnt lgkmcnt(2)
	v_lshrrev_b32_e32 v161, 16, v146
	;; [unrolled: 2-line block ×4, first 2 shown]
	v_lshrrev_b32_e32 v158, 16, v133
	v_cndmask_b32_e64 v173, v132, v136, s5
	v_cndmask_b32_e64 v174, v146, v161, s5
	;; [unrolled: 1-line block ×8, first 2 shown]
	v_lshrrev_b32_e32 v162, 16, v147
	v_cndmask_b32_e64 v146, v150, v165, s5
	v_cndmask_b32_e64 v161, v154, v169, s5
	;; [unrolled: 1-line block ×16, first 2 shown]
	v_lshrrev_b32_e32 v166, 16, v151
	v_lshrrev_b32_e32 v170, 16, v155
	v_cndmask_b32_e64 v136, v146, v151, s6
	v_cndmask_b32_e64 v146, v161, v155, s6
	;; [unrolled: 1-line block ×5, first 2 shown]
	v_cndmask_b32_e32 v151, v165, v158, vcc_lo
	v_cndmask_b32_e32 v165, v169, v162, vcc_lo
	v_cndmask_b32_e64 v169, v173, v158, s13
	v_cndmask_b32_e64 v173, v174, v162, s13
	;; [unrolled: 1-line block ×6, first 2 shown]
	v_lshrrev_b32_e32 v159, 16, v134
	v_lshrrev_b32_e32 v163, 16, v148
	v_cndmask_b32_e32 v136, v136, v166, vcc_lo
	v_cndmask_b32_e32 v146, v146, v170, vcc_lo
	v_cndmask_b32_e64 v147, v147, v166, s13
	v_cndmask_b32_e64 v151, v151, v134, s4
	;; [unrolled: 1-line block ×9, first 2 shown]
	v_lshrrev_b32_e32 v167, 16, v152
	v_cndmask_b32_e64 v134, v136, v152, s4
	v_cndmask_b32_e64 v136, v146, v156, s4
	;; [unrolled: 1-line block ×11, first 2 shown]
	v_lshrrev_b32_e32 v160, 16, v135
	v_lshrrev_b32_e32 v164, 16, v149
	v_cndmask_b32_e64 v134, v134, v167, s7
	v_cndmask_b32_e64 v146, v146, v167, s21
	v_cndmask_b32_e64 v147, v147, v135, s3
	v_cndmask_b32_e64 v148, v148, v149, s3
	v_cndmask_b32_e64 v151, v151, v135, s26
	v_cndmask_b32_e64 v158, v158, v149, s26
	v_cndmask_b32_e64 v159, v162, v135, s27
	v_cndmask_b32_e64 v162, v165, v149, s27
	v_cndmask_b32_e64 v132, v132, v135, s28
	v_cndmask_b32_e64 v133, v133, v149, s28
	v_lshrrev_b32_e32 v168, 16, v153
	v_cndmask_b32_e64 v134, v134, v153, s3
	v_cndmask_b32_e64 v135, v146, v153, s26
	;; [unrolled: 1-line block ×12, first 2 shown]
	v_perm_b32 v135, v133, v132, 0x5040100
	v_perm_b32 v134, v151, v149, 0x5040100
	;; [unrolled: 1-line block ×3, first 2 shown]
	v_cndmask_b32_e64 v132, v154, v155, s17
	v_cndmask_b32_e64 v148, v182, v155, s16
	;; [unrolled: 1-line block ×8, first 2 shown]
	v_lshrrev_b32_e32 v171, 16, v156
	v_cndmask_b32_e64 v151, v151, v152, s22
	v_cndmask_b32_e64 v150, v150, v152, s23
	;; [unrolled: 1-line block ×11, first 2 shown]
	v_lshrrev_b32_e32 v172, 16, v157
	v_cndmask_b32_e64 v136, v136, v157, s3
	v_cndmask_b32_e64 v151, v151, v153, s27
	;; [unrolled: 1-line block ×12, first 2 shown]
	v_perm_b32 v132, v147, v146, 0x5040100
	v_perm_b32 v149, v152, v150, 0x5040100
	;; [unrolled: 1-line block ×5, first 2 shown]
	s_mov_b32 s3, exec_lo
	ds_store_b128 v143, v[132:135]
	ds_store_b128 v143, v[146:149] offset:1024
	v_cmpx_eq_u32_e32 0, v0
	s_cbranch_execz .LBB110_13
; %bb.12:
	s_load_b128 s[4:7], s[0:1], 0x58
	s_mul_i32 s8, s37, s34
	s_delay_alu instid0(SALU_CYCLE_1) | instskip(NEXT) | instid1(SALU_CYCLE_1)
	s_add_i32 s8, s8, s15
	s_mul_i32 s8, s8, s36
	s_delay_alu instid0(SALU_CYCLE_1) | instskip(NEXT) | instid1(SALU_CYCLE_1)
	s_add_i32 s8, s8, s14
	s_ashr_i32 s9, s8, 31
	s_delay_alu instid0(SALU_CYCLE_1)
	s_lshl_b64 s[8:9], s[8:9], 2
	s_waitcnt lgkmcnt(0)
	s_add_u32 s6, s6, s8
	s_addc_u32 s7, s7, s9
	s_add_u32 s4, s4, s8
	s_addc_u32 s5, s5, s9
	s_clause 0x1
	global_store_b32 v129, v130, s[6:7]
	global_store_b32 v129, v131, s[4:5]
.LBB110_13:
	s_or_b32 exec_lo, exec_lo, s3
	s_waitcnt lgkmcnt(0)
	s_waitcnt_vscnt null, 0x0
	s_barrier
	buffer_gl0_inv
	ds_load_b128 v[146:149], v142
	ds_load_b128 v[150:153], v142 offset:16
	ds_load_b128 v[158:161], v142 offset:1040
	;; [unrolled: 1-line block ×5, first 2 shown]
	v_mov_b32_e32 v130, v129
	v_mov_b32_e32 v131, v129
	;; [unrolled: 1-line block ×7, first 2 shown]
	ds_load_b128 v[174:177], v142 offset:3088
	ds_load_b128 v[170:173], v142 offset:3072
	;; [unrolled: 1-line block ×4, first 2 shown]
	v_cmp_eq_u32_e32 vcc_lo, 1, v141
	v_cmp_eq_u32_e64 s3, 1, v138
	v_cmp_eq_u32_e64 s4, 1, v140
	;; [unrolled: 1-line block ×4, first 2 shown]
	s_waitcnt lgkmcnt(8)
	v_wmma_f32_16x16x16_f16 v[129:136], v[121:128], v[146:153], v[129:136]
	ds_load_b128 v[125:128], v142 offset:5136
	ds_load_b128 v[121:124], v142 offset:5120
	s_waitcnt lgkmcnt(8)
	v_wmma_f32_16x16x16_f16 v[129:136], v[113:120], v[154:161], v[129:136]
	ds_load_b128 v[117:120], v142 offset:6160
	ds_load_b128 v[113:116], v142 offset:6144
	;; [unrolled: 4-line block ×11, first 2 shown]
	s_waitcnt lgkmcnt(0)
	s_barrier
	buffer_gl0_inv
	v_wmma_f32_16x16x16_f16 v[129:136], v[1:8], v[73:80], v[129:136]
	s_delay_alu instid0(VALU_DEP_1) | instskip(NEXT) | instid1(VALU_DEP_1)
	v_wmma_f32_16x16x16_f16 v[129:136], v[9:16], v[65:72], v[129:136]
	v_wmma_f32_16x16x16_f16 v[129:136], v[25:32], v[57:64], v[129:136]
	s_delay_alu instid0(VALU_DEP_1) | instskip(NEXT) | instid1(VALU_DEP_1)
	v_wmma_f32_16x16x16_f16 v[129:136], v[41:48], v[49:56], v[129:136]
	v_wmma_f32_16x16x16_f16 v[129:136], v[17:24], v[33:40], v[129:136]
	s_delay_alu instid0(VALU_DEP_1) | instskip(NEXT) | instid1(VALU_DEP_2)
	v_cvt_f16_f32_e64 v1, v129
	v_cvt_f16_f32_e64 v2, v130
	s_delay_alu instid0(VALU_DEP_3) | instskip(NEXT) | instid1(VALU_DEP_4)
	v_cvt_f16_f32_e64 v3, v131
	v_cvt_f16_f32_e64 v4, v132
	;; [unrolled: 1-line block ×6, first 2 shown]
	v_pack_b32_f16 v1, v1, v2
	v_pack_b32_f16 v2, v3, v4
	;; [unrolled: 1-line block ×3, first 2 shown]
	s_delay_alu instid0(VALU_DEP_4)
	v_pack_b32_f16 v4, v7, v8
	ds_store_b128 v143, v[1:4]
	s_waitcnt lgkmcnt(0)
	s_barrier
	buffer_gl0_inv
	ds_load_b128 v[1:4], v144
	ds_load_b128 v[5:8], v144 offset:16
	s_waitcnt lgkmcnt(1)
	v_lshrrev_b32_e32 v9, 16, v1
	s_waitcnt lgkmcnt(0)
	v_lshrrev_b32_e32 v13, 16, v5
	v_lshrrev_b32_e32 v15, 16, v7
	;; [unrolled: 1-line block ×4, first 2 shown]
	v_cndmask_b32_e64 v17, v1, v9, s3
	v_cndmask_b32_e64 v18, v5, v13, s3
	v_cndmask_b32_e64 v19, v1, v9, s5
	v_cmp_eq_u32_e64 s3, 2, v139
	v_cndmask_b32_e64 v20, v5, v13, s5
	v_cndmask_b32_e32 v21, v1, v9, vcc_lo
	v_cndmask_b32_e32 v22, v5, v13, vcc_lo
	v_cndmask_b32_e64 v1, v1, v9, s4
	v_cndmask_b32_e64 v5, v5, v13, s4
	v_cmp_eq_u32_e32 vcc_lo, 2, v141
	v_cmp_eq_u32_e64 s4, 2, v140
	v_cndmask_b32_e64 v9, v17, v2, s6
	v_cndmask_b32_e64 v13, v18, v6, s6
	v_cndmask_b32_e64 v17, v19, v2, s3
	v_cndmask_b32_e64 v18, v20, v6, s3
	v_cndmask_b32_e32 v19, v21, v2, vcc_lo
	v_cmp_eq_u32_e64 s3, 3, v141
	v_cndmask_b32_e32 v20, v22, v6, vcc_lo
	v_cndmask_b32_e64 v1, v1, v2, s4
	v_cmp_eq_u32_e32 vcc_lo, 3, v140
	v_cmp_eq_u32_e64 s5, 3, v138
	v_cndmask_b32_e64 v2, v5, v6, s4
	v_cmp_eq_u32_e64 s4, 3, v139
	v_lshrrev_b32_e32 v16, 16, v8
	v_cmp_eq_u32_e64 s6, 4, v138
	v_cndmask_b32_e64 v5, v9, v10, s5
	v_cndmask_b32_e64 v6, v13, v14, s5
	v_cndmask_b32_e64 v9, v17, v10, s4
	v_cmp_eq_u32_e64 s5, 4, v139
	v_cndmask_b32_e64 v13, v18, v14, s4
	v_cndmask_b32_e64 v17, v19, v10, s3
	;; [unrolled: 1-line block ×3, first 2 shown]
	v_cndmask_b32_e32 v1, v1, v10, vcc_lo
	v_cndmask_b32_e32 v2, v2, v14, vcc_lo
	v_cmp_eq_u32_e32 vcc_lo, 4, v141
	v_cmp_eq_u32_e64 s4, 4, v140
	v_lshrrev_b32_e32 v11, 16, v3
	v_cndmask_b32_e64 v5, v5, v3, s6
	v_cndmask_b32_e64 v6, v6, v7, s6
	;; [unrolled: 1-line block ×4, first 2 shown]
	v_cndmask_b32_e32 v13, v17, v3, vcc_lo
	v_cmp_eq_u32_e64 s3, 5, v141
	v_cndmask_b32_e32 v14, v18, v7, vcc_lo
	v_cndmask_b32_e64 v1, v1, v3, s4
	v_cmp_eq_u32_e32 vcc_lo, 5, v140
	v_cmp_eq_u32_e64 s5, 5, v138
	v_cndmask_b32_e64 v2, v2, v7, s4
	v_cmp_eq_u32_e64 s4, 5, v139
	v_cmp_eq_u32_e64 s6, 6, v138
	v_cndmask_b32_e32 v1, v1, v11, vcc_lo
	v_cndmask_b32_e64 v3, v5, v11, s5
	v_cndmask_b32_e64 v5, v6, v15, s5
	;; [unrolled: 1-line block ×6, first 2 shown]
	v_cndmask_b32_e32 v2, v2, v15, vcc_lo
	v_cmp_eq_u32_e32 vcc_lo, 6, v141
	v_cmp_eq_u32_e64 s3, 6, v140
	v_cmp_eq_u32_e64 s5, 6, v139
	v_lshrrev_b32_e32 v12, 16, v4
	v_cndmask_b32_e64 v3, v3, v4, s6
	v_cndmask_b32_e64 v5, v5, v8, s6
	v_cndmask_b32_e32 v9, v9, v4, vcc_lo
	v_cndmask_b32_e32 v10, v10, v8, vcc_lo
	v_cndmask_b32_e64 v1, v1, v4, s3
	v_cmp_eq_u32_e32 vcc_lo, 7, v140
	v_cndmask_b32_e64 v2, v2, v8, s3
	v_cmp_eq_u32_e64 s3, 7, v138
	v_cndmask_b32_e64 v6, v6, v4, s5
	v_cndmask_b32_e64 v7, v7, v8, s5
	v_cmp_eq_u32_e64 s4, 7, v141
	v_cndmask_b32_e32 v2, v2, v16, vcc_lo
	v_cmp_eq_u32_e64 s5, 7, v139
	v_cndmask_b32_e64 v8, v3, v12, s3
	v_cndmask_b32_e32 v1, v1, v12, vcc_lo
	v_cndmask_b32_e64 v5, v5, v16, s3
	v_cmp_lt_u32_e32 vcc_lo, 31, v0
	v_cmp_lt_u32_e64 s3, 7, v145
	v_cndmask_b32_e64 v6, v6, v12, s5
	v_cndmask_b32_e64 v3, v9, v12, s4
	;; [unrolled: 1-line block ×4, first 2 shown]
	s_or_b32 s3, vcc_lo, s3
	v_perm_b32 v4, v2, v1, 0x5040100
	v_perm_b32 v1, v5, v8, 0x5040100
	v_perm_b32 v3, v9, v3, 0x5040100
	v_perm_b32 v2, v7, v6, 0x5040100
	s_or_b32 s2, s2, s3
	s_delay_alu instid0(SALU_CYCLE_1)
	s_xor_b32 s2, s2, -1
	ds_store_b128 v143, v[1:4]
	s_waitcnt lgkmcnt(0)
	s_barrier
	buffer_gl0_inv
	s_and_saveexec_b32 s3, s2
	s_cbranch_execz .LBB110_2
; %bb.14:
	s_load_b64 s[0:1], s[0:1], 0x68
	v_lshlrev_b32_e32 v1, 10, v0
	v_and_b32_e32 v0, 1, v0
	v_lshlrev_b32_e32 v2, 6, v137
	s_lshl_b32 s4, s36, 6
	v_lshlrev_b32_e32 v4, 4, v145
	v_and_b32_e32 v1, 0x3800, v1
	v_lshlrev_b32_e32 v0, 4, v0
	s_mul_i32 s2, s4, s34
	s_delay_alu instid0(SALU_CYCLE_1) | instskip(NEXT) | instid1(VALU_DEP_1)
	s_mul_i32 s2, s2, s37
	v_or3_b32 v0, v1, v2, v0
	s_ashr_i32 s3, s2, 31
	s_delay_alu instid0(SALU_CYCLE_1)
	s_lshl_b64 s[2:3], s[2:3], 1
	ds_load_b128 v[0:3], v0
	s_waitcnt lgkmcnt(0)
	s_add_u32 s5, s0, s2
	s_addc_u32 s3, s1, s3
	s_lshl_b32 s0, s14, 6
	s_mul_i32 s2, s4, s15
	s_ashr_i32 s1, s0, 31
	s_delay_alu instid0(SALU_CYCLE_1) | instskip(NEXT) | instid1(SALU_CYCLE_1)
	s_lshl_b64 s[0:1], s[0:1], 1
	s_add_u32 s4, s5, s0
	s_addc_u32 s5, s3, s1
	s_ashr_i32 s3, s2, 31
	s_delay_alu instid0(SALU_CYCLE_1) | instskip(NEXT) | instid1(SALU_CYCLE_1)
	s_lshl_b64 s[0:1], s[2:3], 1
	s_add_u32 s0, s4, s0
	s_addc_u32 s1, s5, s1
	global_store_b128 v4, v[0:3], s[0:1]
	s_nop 0
	s_sendmsg sendmsg(MSG_DEALLOC_VGPRS)
	s_endpgm
	.section	.rodata,"a",@progbits
	.p2align	6, 0x0
	.amdhsa_kernel _Z39paged_attention_ll4mi_QKV_mfma16_kernelIDF16_DF16_LN4vllm18Fp8KVCacheDataTypeE0EDF16_Li16ELi64ELi256ELb0ELi1EL8MFMAType0EEvPKT_PKT0_S8_ifPKiSA_SA_iPKfiiiPfSD_PS3_PT2_iSC_SC_
		.amdhsa_group_segment_fixed_size 17472
		.amdhsa_private_segment_fixed_size 0
		.amdhsa_kernarg_size 400
		.amdhsa_user_sgpr_count 13
		.amdhsa_user_sgpr_dispatch_ptr 0
		.amdhsa_user_sgpr_queue_ptr 0
		.amdhsa_user_sgpr_kernarg_segment_ptr 1
		.amdhsa_user_sgpr_dispatch_id 0
		.amdhsa_user_sgpr_private_segment_size 0
		.amdhsa_wavefront_size32 1
		.amdhsa_uses_dynamic_stack 0
		.amdhsa_enable_private_segment 0
		.amdhsa_system_sgpr_workgroup_id_x 1
		.amdhsa_system_sgpr_workgroup_id_y 1
		.amdhsa_system_sgpr_workgroup_id_z 1
		.amdhsa_system_sgpr_workgroup_info 0
		.amdhsa_system_vgpr_workitem_id 0
		.amdhsa_next_free_vgpr 195
		.amdhsa_next_free_sgpr 70
		.amdhsa_reserve_vcc 1
		.amdhsa_float_round_mode_32 0
		.amdhsa_float_round_mode_16_64 0
		.amdhsa_float_denorm_mode_32 3
		.amdhsa_float_denorm_mode_16_64 3
		.amdhsa_dx10_clamp 1
		.amdhsa_ieee_mode 1
		.amdhsa_fp16_overflow 0
		.amdhsa_workgroup_processor_mode 1
		.amdhsa_memory_ordered 1
		.amdhsa_forward_progress 0
		.amdhsa_shared_vgpr_count 0
		.amdhsa_exception_fp_ieee_invalid_op 0
		.amdhsa_exception_fp_denorm_src 0
		.amdhsa_exception_fp_ieee_div_zero 0
		.amdhsa_exception_fp_ieee_overflow 0
		.amdhsa_exception_fp_ieee_underflow 0
		.amdhsa_exception_fp_ieee_inexact 0
		.amdhsa_exception_int_div_zero 0
	.end_amdhsa_kernel
	.section	.text._Z39paged_attention_ll4mi_QKV_mfma16_kernelIDF16_DF16_LN4vllm18Fp8KVCacheDataTypeE0EDF16_Li16ELi64ELi256ELb0ELi1EL8MFMAType0EEvPKT_PKT0_S8_ifPKiSA_SA_iPKfiiiPfSD_PS3_PT2_iSC_SC_,"axG",@progbits,_Z39paged_attention_ll4mi_QKV_mfma16_kernelIDF16_DF16_LN4vllm18Fp8KVCacheDataTypeE0EDF16_Li16ELi64ELi256ELb0ELi1EL8MFMAType0EEvPKT_PKT0_S8_ifPKiSA_SA_iPKfiiiPfSD_PS3_PT2_iSC_SC_,comdat
.Lfunc_end110:
	.size	_Z39paged_attention_ll4mi_QKV_mfma16_kernelIDF16_DF16_LN4vllm18Fp8KVCacheDataTypeE0EDF16_Li16ELi64ELi256ELb0ELi1EL8MFMAType0EEvPKT_PKT0_S8_ifPKiSA_SA_iPKfiiiPfSD_PS3_PT2_iSC_SC_, .Lfunc_end110-_Z39paged_attention_ll4mi_QKV_mfma16_kernelIDF16_DF16_LN4vllm18Fp8KVCacheDataTypeE0EDF16_Li16ELi64ELi256ELb0ELi1EL8MFMAType0EEvPKT_PKT0_S8_ifPKiSA_SA_iPKfiiiPfSD_PS3_PT2_iSC_SC_
                                        ; -- End function
	.section	.AMDGPU.csdata,"",@progbits
; Kernel info:
; codeLenInByte = 7512
; NumSgprs: 72
; NumVgprs: 195
; ScratchSize: 0
; MemoryBound: 1
; FloatMode: 240
; IeeeMode: 1
; LDSByteSize: 17472 bytes/workgroup (compile time only)
; SGPRBlocks: 8
; VGPRBlocks: 24
; NumSGPRsForWavesPerEU: 72
; NumVGPRsForWavesPerEU: 195
; Occupancy: 7
; WaveLimiterHint : 1
; COMPUTE_PGM_RSRC2:SCRATCH_EN: 0
; COMPUTE_PGM_RSRC2:USER_SGPR: 13
; COMPUTE_PGM_RSRC2:TRAP_HANDLER: 0
; COMPUTE_PGM_RSRC2:TGID_X_EN: 1
; COMPUTE_PGM_RSRC2:TGID_Y_EN: 1
; COMPUTE_PGM_RSRC2:TGID_Z_EN: 1
; COMPUTE_PGM_RSRC2:TIDIG_COMP_CNT: 0
	.section	.text._Z39paged_attention_ll4mi_QKV_mfma16_kernelIDF16_DF16_LN4vllm18Fp8KVCacheDataTypeE0EDF16_Li16ELi64ELi256ELb0ELi2EL8MFMAType0EEvPKT_PKT0_S8_ifPKiSA_SA_iPKfiiiPfSD_PS3_PT2_iSC_SC_,"axG",@progbits,_Z39paged_attention_ll4mi_QKV_mfma16_kernelIDF16_DF16_LN4vllm18Fp8KVCacheDataTypeE0EDF16_Li16ELi64ELi256ELb0ELi2EL8MFMAType0EEvPKT_PKT0_S8_ifPKiSA_SA_iPKfiiiPfSD_PS3_PT2_iSC_SC_,comdat
	.protected	_Z39paged_attention_ll4mi_QKV_mfma16_kernelIDF16_DF16_LN4vllm18Fp8KVCacheDataTypeE0EDF16_Li16ELi64ELi256ELb0ELi2EL8MFMAType0EEvPKT_PKT0_S8_ifPKiSA_SA_iPKfiiiPfSD_PS3_PT2_iSC_SC_ ; -- Begin function _Z39paged_attention_ll4mi_QKV_mfma16_kernelIDF16_DF16_LN4vllm18Fp8KVCacheDataTypeE0EDF16_Li16ELi64ELi256ELb0ELi2EL8MFMAType0EEvPKT_PKT0_S8_ifPKiSA_SA_iPKfiiiPfSD_PS3_PT2_iSC_SC_
	.globl	_Z39paged_attention_ll4mi_QKV_mfma16_kernelIDF16_DF16_LN4vllm18Fp8KVCacheDataTypeE0EDF16_Li16ELi64ELi256ELb0ELi2EL8MFMAType0EEvPKT_PKT0_S8_ifPKiSA_SA_iPKfiiiPfSD_PS3_PT2_iSC_SC_
	.p2align	8
	.type	_Z39paged_attention_ll4mi_QKV_mfma16_kernelIDF16_DF16_LN4vllm18Fp8KVCacheDataTypeE0EDF16_Li16ELi64ELi256ELb0ELi2EL8MFMAType0EEvPKT_PKT0_S8_ifPKiSA_SA_iPKfiiiPfSD_PS3_PT2_iSC_SC_,@function
_Z39paged_attention_ll4mi_QKV_mfma16_kernelIDF16_DF16_LN4vllm18Fp8KVCacheDataTypeE0EDF16_Li16ELi64ELi256ELb0ELi2EL8MFMAType0EEvPKT_PKT0_S8_ifPKiSA_SA_iPKfiiiPfSD_PS3_PT2_iSC_SC_: ; @_Z39paged_attention_ll4mi_QKV_mfma16_kernelIDF16_DF16_LN4vllm18Fp8KVCacheDataTypeE0EDF16_Li16ELi64ELi256ELb0ELi2EL8MFMAType0EEvPKT_PKT0_S8_ifPKiSA_SA_iPKfiiiPfSD_PS3_PT2_iSC_SC_
; %bb.0:
	s_load_b64 s[2:3], s[0:1], 0x30
	s_mov_b32 s30, s13
	s_waitcnt lgkmcnt(0)
	s_cmp_lg_u64 s[2:3], 0
	s_cselect_b32 s8, -1, 0
	s_ashr_i32 s31, s13, 31
	s_cmp_eq_u64 s[2:3], 0
	s_cbranch_scc1 .LBB111_3
; %bb.1:
	s_lshl_b64 s[4:5], s[30:31], 2
	s_delay_alu instid0(SALU_CYCLE_1) | instskip(SKIP_4) | instid1(SALU_CYCLE_1)
	s_add_u32 s4, s2, s4
	s_addc_u32 s5, s3, s5
	s_load_b64 s[4:5], s[4:5], 0x0
	s_waitcnt lgkmcnt(0)
	s_sub_i32 s4, s5, s4
	s_cmp_eq_u32 s4, 1
	s_cselect_b32 s4, -1, 0
	s_delay_alu instid0(SALU_CYCLE_1)
	s_and_not1_b32 vcc_lo, exec_lo, s4
	s_cbranch_vccz .LBB111_4
.LBB111_2:
	s_endpgm
.LBB111_3:
.LBB111_4:
	s_load_b64 s[4:5], s[0:1], 0x28
	s_lshl_b64 s[6:7], s[30:31], 2
	s_waitcnt lgkmcnt(0)
	s_add_u32 s4, s4, s6
	s_addc_u32 s5, s5, s7
	s_lshl_b32 s29, s14, 8
	s_load_b32 s28, s[4:5], 0x0
	s_waitcnt lgkmcnt(0)
	s_cmp_ge_i32 s29, s28
	s_cbranch_scc1 .LBB111_2
; %bb.5:
	s_clause 0x1
	s_load_b128 s[20:23], s[0:1], 0x8
	s_load_b64 s[4:5], s[0:1], 0x20
	s_and_not1_b32 vcc_lo, exec_lo, s8
	s_cbranch_vccnz .LBB111_7
; %bb.6:
	s_add_u32 s2, s2, s6
	s_addc_u32 s3, s3, s7
	s_load_b32 s3, s[2:3], 0x0
	s_branch .LBB111_8
.LBB111_7:
	s_mov_b32 s3, s30
.LBB111_8:
	s_load_b128 s[16:19], s[0:1], 0x48
	v_and_b32_e32 v142, 15, v0
	v_bfe_u32 v141, v0, 4, 1
	s_lshl_b32 s33, s15, 1
	v_cmp_gt_u32_e32 vcc_lo, 32, v0
	v_and_b32_e32 v143, 31, v0
	v_lshlrev_b32_e32 v1, 3, v142
	v_cmp_gt_u32_e64 s2, 8, v142
	v_and_b32_e32 v140, 1, v0
	v_or_b32_e32 v139, s33, v141
	v_lshlrev_b32_e32 v138, 6, v141
	v_lshlrev_b32_e32 v137, 1, v1
	s_and_b32 s31, vcc_lo, s2
	s_delay_alu instid0(SALU_CYCLE_1)
	s_and_saveexec_b32 s2, s31
	s_cbranch_execz .LBB111_10
; %bb.9:
	s_load_b64 s[6:7], s[0:1], 0x0
	v_lshlrev_b32_e32 v1, 6, v139
	s_waitcnt lgkmcnt(0)
	s_mul_hi_i32 s9, s3, s16
	s_mul_i32 s8, s3, s16
	v_lshlrev_b32_e32 v5, 10, v142
	s_lshl_b64 s[8:9], s[8:9], 1
	v_ashrrev_i32_e32 v2, 31, v1
	v_lshlrev_b32_e32 v6, 10, v140
	s_delay_alu instid0(VALU_DEP_3) | instskip(NEXT) | instid1(VALU_DEP_3)
	v_and_b32_e32 v5, 0x3800, v5
	v_lshlrev_b64 v[1:2], 1, v[1:2]
	s_delay_alu instid0(VALU_DEP_2) | instskip(SKIP_2) | instid1(VALU_DEP_2)
	v_or3_b32 v5, v5, v6, v138
	s_add_u32 s3, s6, s8
	s_addc_u32 s6, s7, s9
	v_add_co_u32 v1, vcc_lo, s3, v1
	s_delay_alu instid0(VALU_DEP_3) | instskip(NEXT) | instid1(VALU_DEP_2)
	v_add_co_ci_u32_e32 v2, vcc_lo, s6, v2, vcc_lo
	v_add_co_u32 v1, vcc_lo, v1, v137
	s_delay_alu instid0(VALU_DEP_2)
	v_add_co_ci_u32_e32 v2, vcc_lo, 0, v2, vcc_lo
	global_load_b128 v[1:4], v[1:2], off
	s_waitcnt vmcnt(0)
	ds_store_b128 v5, v[1:4]
.LBB111_10:
	s_or_b32 exec_lo, exec_lo, s2
	v_and_b32_e32 v1, 0xef, v0
	s_waitcnt lgkmcnt(0)
	s_add_i32 s3, s28, 15
	s_clause 0x1
	s_load_b32 s2, s[0:1], 0x38
	s_load_b32 s34, s[0:1], 0x98
	s_ashr_i32 s6, s3, 31
	v_add_nc_u32_e32 v1, s29, v1
	s_lshr_b32 s6, s6, 28
	s_load_b32 s35, s[0:1], 0x1c
	s_add_i32 s3, s3, s6
	s_waitcnt lgkmcnt(0)
	v_ashrrev_i32_e32 v2, 31, v1
	v_cmp_gt_i32_e32 vcc_lo, s28, v1
	s_ashr_i32 s16, s3, 4
	s_barrier
	s_add_i32 s16, s16, -1
	v_lshrrev_b32_e32 v3, 28, v2
	v_or_b32_e32 v2, 16, v1
	buffer_gl0_inv
	v_lshlrev_b32_e32 v145, 6, v140
	v_lshrrev_b32_e32 v144, 5, v0
	v_add_nc_u32_e32 v4, v1, v3
	v_add_nc_u32_e32 v3, v2, v3
	s_mul_i32 s2, s30, s2
	v_lshlrev_b32_e32 v49, 5, v142
	s_ashr_i32 s3, s2, 31
	v_ashrrev_i32_e32 v4, 4, v4
	v_ashrrev_i32_e32 v3, 4, v3
	s_lshl_b64 s[2:3], s[2:3], 2
	v_lshl_or_b32 v49, v144, 9, v49
	s_add_u32 s36, s4, s2
	v_cndmask_b32_e32 v1, s16, v4, vcc_lo
	v_cmp_gt_i32_e32 vcc_lo, s28, v2
	s_addc_u32 s37, s5, s3
	s_mul_i32 s2, s15, s18
	s_delay_alu instid0(SALU_CYCLE_1) | instskip(SKIP_3) | instid1(SALU_CYCLE_1)
	s_ashr_i32 s3, s2, 31
	v_cndmask_b32_e32 v3, s16, v3, vcc_lo
	v_ashrrev_i32_e32 v2, 31, v1
	s_lshl_b64 s[2:3], s[2:3], 1
	s_add_u32 s24, s20, s2
	s_delay_alu instid0(VALU_DEP_2) | instskip(NEXT) | instid1(VALU_DEP_2)
	v_ashrrev_i32_e32 v4, 31, v3
	v_lshlrev_b64 v[1:2], 2, v[1:2]
	s_addc_u32 s25, s21, s3
	s_lshl_b32 s4, s14, 4
	s_delay_alu instid0(VALU_DEP_2) | instskip(SKIP_1) | instid1(VALU_DEP_2)
	v_lshlrev_b64 v[3:4], 2, v[3:4]
	s_ashr_i32 s5, s4, 31
	v_add_co_u32 v1, vcc_lo, s36, v1
	v_add_co_ci_u32_e32 v2, vcc_lo, s37, v2, vcc_lo
	s_delay_alu instid0(VALU_DEP_3) | instskip(NEXT) | instid1(VALU_DEP_4)
	v_add_co_u32 v3, vcc_lo, s36, v3
	v_add_co_ci_u32_e32 v4, vcc_lo, s37, v4, vcc_lo
	s_lshl_b64 s[4:5], s[4:5], 2
	s_clause 0x1
	global_load_b32 v5, v[1:2], off
	global_load_b32 v6, v[3:4], off
	s_add_u32 s4, s36, s4
	s_addc_u32 s5, s37, s5
	s_or_b32 s6, s29, 16
	v_lshlrev_b32_e32 v3, 4, v0
	s_ashr_i32 s7, s6, 4
	s_cmp_lt_i32 s6, s28
	s_cselect_b32 s6, s7, s16
	s_delay_alu instid0(SALU_CYCLE_1) | instskip(NEXT) | instid1(SALU_CYCLE_1)
	s_ashr_i32 s7, s6, 31
	s_lshl_b64 s[6:7], s[6:7], 2
	s_delay_alu instid0(SALU_CYCLE_1) | instskip(SKIP_2) | instid1(SALU_CYCLE_1)
	s_add_u32 s6, s36, s6
	s_addc_u32 s7, s37, s7
	s_or_b32 s8, s29, 32
	s_ashr_i32 s9, s8, 4
	s_cmp_lt_i32 s8, s28
	s_cselect_b32 s8, s9, s16
	s_delay_alu instid0(SALU_CYCLE_1) | instskip(NEXT) | instid1(SALU_CYCLE_1)
	s_ashr_i32 s9, s8, 31
	s_lshl_b64 s[8:9], s[8:9], 2
	s_delay_alu instid0(SALU_CYCLE_1) | instskip(SKIP_2) | instid1(SALU_CYCLE_1)
	s_add_u32 s8, s36, s8
	s_addc_u32 s9, s37, s9
	s_or_b32 s10, s29, 48
	;; [unrolled: 10-line block ×4, first 2 shown]
	s_ashr_i32 s13, s12, 4
	s_cmp_lt_i32 s12, s28
	s_cselect_b32 s12, s13, s16
	s_delay_alu instid0(SALU_CYCLE_1) | instskip(NEXT) | instid1(SALU_CYCLE_1)
	s_ashr_i32 s13, s12, 31
	s_lshl_b64 s[12:13], s[12:13], 2
	s_delay_alu instid0(SALU_CYCLE_1)
	s_add_u32 s20, s36, s12
	s_addc_u32 s21, s37, s13
	s_clause 0x5
	s_load_b32 s40, s[4:5], 0x0
	s_load_b32 s27, s[6:7], 0x0
	;; [unrolled: 1-line block ×6, first 2 shown]
	s_waitcnt vmcnt(1)
	v_mad_i64_i32 v[1:2], null, v5, s17, 0
	v_and_b32_e32 v5, 0xf0, v3
	s_waitcnt vmcnt(0)
	v_mad_i64_i32 v[3:4], null, v6, s17, 0
	s_delay_alu instid0(VALU_DEP_2) | instskip(NEXT) | instid1(VALU_DEP_4)
	v_add_co_u32 v5, s4, s24, v5
	v_lshlrev_b64 v[1:2], 1, v[1:2]
	v_add_co_ci_u32_e64 v6, null, s25, 0, s4
	s_delay_alu instid0(VALU_DEP_4) | instskip(SKIP_1) | instid1(VALU_DEP_3)
	v_lshlrev_b64 v[3:4], 1, v[3:4]
	s_or_b32 s4, s29, 0x60
	v_add_co_u32 v41, vcc_lo, v5, v1
	s_delay_alu instid0(VALU_DEP_3) | instskip(NEXT) | instid1(VALU_DEP_3)
	v_add_co_ci_u32_e32 v42, vcc_lo, v6, v2, vcc_lo
	v_add_co_u32 v43, vcc_lo, v5, v3
	s_delay_alu instid0(VALU_DEP_4)
	v_add_co_ci_u32_e32 v44, vcc_lo, v6, v4, vcc_lo
	s_clause 0xf
	global_load_b128 v[1:4], v[41:42], off
	global_load_b128 v[5:8], v[41:42], off offset:256
	global_load_b128 v[25:28], v[43:44], off
	global_load_b128 v[29:32], v[43:44], off offset:256
	global_load_b128 v[9:12], v[41:42], off offset:512
	;; [unrolled: 1-line block ×13, first 2 shown]
	s_ashr_i32 s5, s4, 4
	s_cmp_lt_i32 s4, s28
	ds_load_b128 v[41:44], v145
	ds_load_b128 v[45:48], v145 offset:1024
	s_cselect_b32 s4, s5, s16
	ds_load_b128 v[170:173], v145 offset:2048
	ds_load_b128 v[174:177], v145 offset:3072
	s_ashr_i32 s5, s4, 31
	ds_load_b128 v[178:181], v145 offset:4096
	ds_load_b128 v[182:185], v145 offset:5120
	s_lshl_b64 s[4:5], s[4:5], 2
	s_delay_alu instid0(SALU_CYCLE_1)
	s_add_u32 s18, s36, s4
	s_addc_u32 s19, s37, s5
	s_or_b32 s4, s29, 0x70
	s_load_b32 s46, s[18:19], 0x0
	s_ashr_i32 s5, s4, 4
	s_cmp_lt_i32 s4, s28
	s_cselect_b32 s4, s5, s16
	s_delay_alu instid0(SALU_CYCLE_1) | instskip(NEXT) | instid1(SALU_CYCLE_1)
	s_ashr_i32 s5, s4, 31
	s_lshl_b64 s[6:7], s[4:5], 2
	s_mov_b32 s4, 0
	s_add_u32 s20, s36, s6
	s_addc_u32 s21, s37, s7
	s_or_b32 s5, s29, 0x80
	s_load_b32 s47, s[20:21], 0x0
	s_ashr_i32 s6, s5, 4
	s_cmp_lt_i32 s5, s28
	s_mov_b32 s11, s4
	s_cselect_b32 s6, s6, s16
	s_mov_b32 s5, s4
	s_ashr_i32 s7, s6, 31
	s_mov_b32 s10, s4
	s_lshl_b64 s[8:9], s[6:7], 2
	s_mov_b32 s6, s4
	s_add_u32 s24, s36, s8
	s_addc_u32 s25, s37, s9
	s_or_b32 s8, s29, 0x90
	s_load_b32 s48, s[24:25], 0x0
	s_ashr_i32 s9, s8, 4
	s_cmp_lt_i32 s8, s28
	s_mov_b32 s7, s4
	s_cselect_b32 s38, s9, s16
	s_mov_b32 s8, s4
	s_ashr_i32 s39, s38, 31
	s_mov_b32 s9, s4
	s_lshl_b64 s[38:39], s[38:39], 2
	v_mov_b32_e32 v136, s11
	s_add_u32 s38, s36, s38
	s_addc_u32 s39, s37, s39
	s_or_b32 s41, s29, 0xa0
	v_mov_b32_e32 v135, s10
	s_ashr_i32 s42, s41, 4
	s_cmp_lt_i32 s41, s28
	s_load_b32 s41, s[38:39], 0x0
	v_dual_mov_b32 v134, s9 :: v_dual_mov_b32 v133, s8
	v_dual_mov_b32 v132, s7 :: v_dual_mov_b32 v131, s6
	;; [unrolled: 1-line block ×3, first 2 shown]
	s_cselect_b32 s4, s42, s16
	s_waitcnt lgkmcnt(0)
	s_mul_hi_i32 s7, s27, s17
	s_ashr_i32 s5, s4, 31
	s_mul_hi_i32 s19, s15, s17
	s_lshl_b64 s[4:5], s[4:5], 2
	s_mul_hi_i32 s11, s13, s17
	s_add_u32 s42, s36, s4
	s_addc_u32 s43, s37, s5
	s_or_b32 s4, s29, 0xb0
	s_mul_hi_i32 s5, s40, s17
	s_ashr_i32 s6, s4, 4
	s_cmp_lt_i32 s4, s28
	s_mul_i32 s4, s40, s17
	s_cselect_b32 s8, s6, s16
	s_mul_i32 s6, s27, s17
	s_ashr_i32 s9, s8, 31
	s_mul_hi_i32 s25, s47, s17
	s_lshl_b64 s[8:9], s[8:9], 2
	s_mul_i32 s24, s47, s17
	s_add_u32 s44, s36, s8
	s_addc_u32 s45, s37, s9
	s_or_b32 s8, s29, 0xc0
	s_mul_hi_i32 s9, s26, s17
	s_ashr_i32 s10, s8, 4
	s_cmp_lt_i32 s8, s28
	s_mul_i32 s8, s26, s17
	s_cselect_b32 s26, s10, s16
	s_mul_i32 s10, s13, s17
	s_ashr_i32 s27, s26, 31
	s_mul_hi_i32 s13, s12, s17
	s_lshl_b64 s[26:27], s[26:27], 2
	s_mul_i32 s12, s12, s17
	s_add_u32 s26, s36, s26
	s_addc_u32 s27, s37, s27
	s_or_b32 s40, s29, 0xd0
	s_delay_alu instid0(SALU_CYCLE_1)
	s_ashr_i32 s18, s40, 4
	s_cmp_lt_i32 s40, s28
	s_load_b32 s40, s[42:43], 0x0
	s_cselect_b32 s20, s18, s16
	s_mul_i32 s18, s15, s17
	s_ashr_i32 s21, s20, 31
	s_mul_hi_i32 s43, s41, s17
	s_lshl_b64 s[20:21], s[20:21], 2
	s_delay_alu instid0(SALU_CYCLE_1)
	s_add_u32 s20, s36, s20
	s_addc_u32 s21, s37, s21
	s_or_b32 s42, s29, 0xe0
	s_clause 0x2
	s_load_b32 s39, s[44:45], 0x0
	s_load_b32 s38, s[26:27], 0x0
	;; [unrolled: 1-line block ×3, first 2 shown]
	s_ashr_i32 s49, s42, 4
	s_cmp_lt_i32 s42, s28
	s_mul_hi_i32 s21, s46, s17
	s_cselect_b32 s44, s49, s16
	s_mul_i32 s20, s46, s17
	s_ashr_i32 s45, s44, 31
	s_mul_hi_i32 s27, s48, s17
	s_lshl_b64 s[44:45], s[44:45], 2
	s_mul_i32 s26, s48, s17
	s_add_u32 s44, s36, s44
	s_addc_u32 s45, s37, s45
	s_or_b32 s46, s29, 0xf0
	s_mul_i32 s42, s41, s17
	s_ashr_i32 s48, s46, 4
	s_cmp_lt_i32 s46, s28
	s_waitcnt lgkmcnt(0)
	s_mul_hi_i32 s41, s40, s17
	s_cselect_b32 s48, s48, s16
	s_mul_i32 s40, s40, s17
	s_ashr_i32 s49, s48, 31
	s_mul_hi_i32 s51, s15, s17
	s_lshl_b64 s[48:49], s[48:49], 2
	s_mul_i32 s50, s15, s17
	s_add_u32 s36, s36, s48
	s_addc_u32 s37, s37, s49
	s_add_u32 s15, s22, s2
	s_addc_u32 s16, s23, s3
	v_add_co_u32 v200, s15, s15, v49
	s_delay_alu instid0(VALU_DEP_1) | instskip(SKIP_2) | instid1(VALU_DEP_2)
	v_add_co_ci_u32_e64 v201, null, s16, 0, s15
	s_lshl_b64 s[2:3], s[4:5], 1
	s_lshl_b64 s[4:5], s[6:7], 1
	v_add_co_u32 v49, vcc_lo, v200, s2
	s_delay_alu instid0(VALU_DEP_2)
	v_add_co_ci_u32_e32 v50, vcc_lo, s3, v201, vcc_lo
	v_add_co_u32 v51, vcc_lo, v200, s4
	s_lshl_b64 s[6:7], s[8:9], 1
	v_add_co_ci_u32_e32 v52, vcc_lo, s5, v201, vcc_lo
	v_add_co_u32 v53, vcc_lo, v200, s6
	s_lshl_b64 s[8:9], s[10:11], 1
	;; [unrolled: 3-line block ×7, first 2 shown]
	v_add_co_ci_u32_e32 v64, vcc_lo, s21, v201, vcc_lo
	s_clause 0x1
	s_load_b32 s15, s[44:45], 0x0
	s_load_b32 s16, s[36:37], 0x0
	v_add_co_u32 v186, vcc_lo, v200, s22
	s_lshl_b64 s[24:25], s[42:43], 1
	v_add_co_ci_u32_e32 v187, vcc_lo, s23, v201, vcc_lo
	v_add_co_u32 v194, vcc_lo, v200, s24
	s_lshl_b64 s[26:27], s[40:41], 1
	s_mul_hi_i32 s47, s39, s17
	s_mul_i32 s46, s39, s17
	v_add_co_ci_u32_e32 v195, vcc_lo, s25, v201, vcc_lo
	v_add_co_u32 v196, vcc_lo, v200, s26
	s_lshl_b64 s[40:41], s[46:47], 1
	s_mul_hi_i32 s39, s38, s17
	s_mul_i32 s38, s38, s17
	v_add_co_ci_u32_e32 v197, vcc_lo, s27, v201, vcc_lo
	v_add_co_u32 v198, vcc_lo, v200, s40
	s_lshl_b64 s[38:39], s[38:39], 1
	v_add_co_ci_u32_e32 v199, vcc_lo, s41, v201, vcc_lo
	s_clause 0x11
	global_load_b128 v[121:124], v[49:50], off
	global_load_b128 v[125:128], v[49:50], off offset:16
	global_load_b128 v[113:116], v[51:52], off
	global_load_b128 v[117:120], v[51:52], off offset:16
	;; [unrolled: 2-line block ×9, first 2 shown]
	s_lshl_b64 s[2:3], s[50:51], 1
	s_waitcnt lgkmcnt(0)
	s_mul_hi_i32 s5, s15, s17
	s_mul_i32 s4, s15, s17
	s_waitcnt vmcnt(32)
	v_wmma_f32_16x16x16_f16 v[186:193], v[1:8], v[41:48], v[129:136]
	s_waitcnt vmcnt(30)
	v_wmma_f32_16x16x16_f16 v[129:136], v[25:32], v[41:48], v[129:136]
	v_add_co_u32 v41, vcc_lo, v200, s38
	v_add_co_ci_u32_e32 v42, vcc_lo, s39, v201, vcc_lo
	s_clause 0x5
	global_load_b128 v[49:52], v[194:195], off
	global_load_b128 v[53:56], v[194:195], off offset:16
	global_load_b128 v[25:28], v[196:197], off
	global_load_b128 v[29:32], v[196:197], off offset:16
	;; [unrolled: 2-line block ×3, first 2 shown]
	s_waitcnt vmcnt(34)
	v_wmma_f32_16x16x16_f16 v[186:193], v[9:16], v[170:177], v[186:193]
	s_clause 0x1
	global_load_b128 v[9:12], v[41:42], off
	global_load_b128 v[13:16], v[41:42], off offset:16
	v_add_co_u32 v41, vcc_lo, v200, s2
	v_add_co_ci_u32_e32 v42, vcc_lo, s3, v201, vcc_lo
	s_lshl_b64 s[2:3], s[4:5], 1
	s_mul_hi_i32 s5, s16, s17
	s_mul_i32 s4, s16, s17
	v_add_co_u32 v45, vcc_lo, v200, s2
	v_add_co_ci_u32_e32 v46, vcc_lo, s3, v201, vcc_lo
	s_lshl_b64 s[2:3], s[4:5], 1
	s_waitcnt vmcnt(34)
	v_wmma_f32_16x16x16_f16 v[129:136], v[33:40], v[170:177], v[129:136]
	v_add_co_u32 v170, vcc_lo, v200, s2
	v_add_co_ci_u32_e32 v171, vcc_lo, s3, v201, vcc_lo
	s_clause 0x3
	global_load_b128 v[33:36], v[41:42], off
	global_load_b128 v[37:40], v[41:42], off offset:16
	global_load_b128 v[41:44], v[45:46], off
	global_load_b128 v[45:48], v[45:46], off offset:16
	s_waitcnt vmcnt(36)
	v_wmma_f32_16x16x16_f16 v[186:193], v[17:24], v[178:185], v[186:193]
	s_clause 0x1
	global_load_b128 v[17:20], v[170:171], off
	global_load_b128 v[21:24], v[170:171], off offset:16
	s_waitcnt vmcnt(36)
	v_wmma_f32_16x16x16_f16 v[129:136], v[146:153], v[178:185], v[129:136]
	ds_load_b128 v[146:149], v145 offset:6144
	ds_load_b128 v[150:153], v145 offset:7168
	v_and_b32_e32 v170, 0xe0, v0
	v_mbcnt_lo_u32_b32 v171, -1, 0
	s_waitcnt vmcnt(0) lgkmcnt(0)
	s_barrier
	buffer_gl0_inv
	v_add_nc_u32_e32 v170, s29, v170
	v_xor_b32_e32 v145, 16, v171
	s_delay_alu instid0(VALU_DEP_2) | instskip(NEXT) | instid1(VALU_DEP_2)
	v_or_b32_e32 v170, v170, v141
	v_cmp_gt_i32_e32 vcc_lo, 32, v145
	s_delay_alu instid0(VALU_DEP_2)
	v_or_b32_e32 v172, 4, v170
	v_or_b32_e32 v173, 6, v170
	v_or_b32_e32 v174, 8, v170
	v_or_b32_e32 v175, 10, v170
	v_wmma_f32_16x16x16_f16 v[186:193], v[154:161], v[146:153], v[186:193]
	v_wmma_f32_16x16x16_f16 v[129:136], v[162:169], v[146:153], v[129:136]
	v_cndmask_b32_e32 v145, v171, v145, vcc_lo
	v_or_b32_e32 v171, 2, v170
	v_cmp_gt_i32_e32 vcc_lo, s28, v170
	v_mul_f32_e32 v152, s35, v187
	v_dual_mul_f32 v158, s35, v135 :: v_dual_mul_f32 v153, s35, v186
	s_delay_alu instid0(VALU_DEP_4) | instskip(SKIP_2) | instid1(VALU_DEP_4)
	v_cmp_gt_i32_e64 s2, s28, v171
	v_dual_mul_f32 v150, s35, v189 :: v_dual_mul_f32 v151, s35, v188
	v_mul_f32_e32 v164, s35, v129
	v_cndmask_b32_e32 v153, 0xff7fffff, v153, vcc_lo
	s_delay_alu instid0(VALU_DEP_4)
	v_cndmask_b32_e64 v152, 0xff7fffff, v152, s2
	v_cmp_gt_i32_e64 s3, s28, v172
	v_cmp_gt_i32_e64 s4, s28, v173
	v_or_b32_e32 v176, 12, v170
	v_or_b32_e32 v177, 14, v170
	v_dual_mul_f32 v148, s35, v191 :: v_dual_mul_f32 v149, s35, v190
	v_mul_f32_e32 v162, s35, v131
	v_cndmask_b32_e64 v151, 0xff7fffff, v151, s3
	v_cndmask_b32_e64 v150, 0xff7fffff, v150, s4
	v_max3_f32 v152, v153, 0xff7fffff, v152
	v_cmp_gt_i32_e64 s5, s28, v174
	v_cmp_gt_i32_e64 s6, s28, v175
	v_or_b32_e32 v178, 16, v170
	v_or_b32_e32 v179, 18, v170
	v_dual_mul_f32 v146, s35, v193 :: v_dual_mul_f32 v147, s35, v192
	v_mul_f32_e32 v160, s35, v133
	v_cndmask_b32_e64 v149, 0xff7fffff, v149, s5
	v_cndmask_b32_e64 v148, 0xff7fffff, v148, s6
	v_max3_f32 v150, v152, v151, v150
	v_cmp_gt_i32_e64 s7, s28, v176
	v_cmp_gt_i32_e64 s8, s28, v177
	v_or_b32_e32 v180, 20, v170
	v_or_b32_e32 v181, 22, v170
	v_mul_f32_e32 v163, s35, v130
	v_cndmask_b32_e64 v147, 0xff7fffff, v147, s7
	v_cndmask_b32_e64 v146, 0xff7fffff, v146, s8
	v_max3_f32 v148, v150, v149, v148
	v_cmp_gt_i32_e64 s9, s28, v178
	v_cmp_gt_i32_e64 s10, s28, v179
	v_or_b32_e32 v182, 24, v170
	v_or_b32_e32 v154, 26, v170
	;; [unrolled: 8-line block ×3, first 2 shown]
	v_mul_f32_e32 v159, s35, v134
	v_cndmask_b32_e64 v147, 0xff7fffff, v162, s11
	v_cndmask_b32_e64 v148, 0xff7fffff, v161, s12
	v_max3_f32 v146, v146, v149, v150
	v_cmp_gt_i32_e64 s13, s28, v182
	v_cmp_gt_i32_e64 s15, s28, v154
	v_mul_f32_e32 v157, s35, v136
	v_cmp_gt_i32_e64 s16, s28, v155
	v_max3_f32 v146, v146, v147, v148
	v_cndmask_b32_e64 v149, 0xff7fffff, v160, s13
	v_cndmask_b32_e64 v150, 0xff7fffff, v159, s15
	v_cmp_gt_i32_e64 s17, s28, v156
	v_cndmask_b32_e64 v147, 0xff7fffff, v158, s16
	v_lshlrev_b32_e32 v162, 2, v145
	s_delay_alu instid0(VALU_DEP_4) | instskip(NEXT) | instid1(VALU_DEP_4)
	v_max3_f32 v146, v146, v149, v150
	v_cndmask_b32_e64 v148, 0xff7fffff, v157, s17
	s_delay_alu instid0(VALU_DEP_1) | instskip(SKIP_3) | instid1(VALU_DEP_1)
	v_max3_f32 v145, v146, v147, v148
	ds_bpermute_b32 v146, v162, v145
	s_waitcnt lgkmcnt(0)
	v_max_f32_e32 v146, v146, v146
	v_max_f32_e32 v161, v145, v146
	s_delay_alu instid0(VALU_DEP_1) | instskip(NEXT) | instid1(VALU_DEP_1)
	v_fma_f32 v132, s35, v132, -v161
	v_mul_f32_e32 v132, 0x3fb8aa3b, v132
	v_fma_f32 v147, s35, v188, -v161
	v_fma_f32 v148, s35, v189, -v161
	;; [unrolled: 1-line block ×5, first 2 shown]
	s_delay_alu instid0(VALU_DEP_4) | instskip(NEXT) | instid1(VALU_DEP_4)
	v_dual_mul_f32 v147, 0x3fb8aa3b, v147 :: v_dual_mul_f32 v148, 0x3fb8aa3b, v148
	v_mul_f32_e32 v130, 0x3fb8aa3b, v130
	v_fma_f32 v154, s35, v193, -v161
	v_mul_f32_e32 v145, 0x3fb8aa3b, v145
	s_delay_alu instid0(VALU_DEP_4)
	v_exp_f32_e32 v147, v147
	v_exp_f32_e32 v152, v148
	v_mul_f32_e32 v146, 0x3fb8aa3b, v146
	v_fma_f32 v150, s35, v190, -v161
	v_fma_f32 v151, s35, v191, -v161
	;; [unrolled: 1-line block ×4, first 2 shown]
	v_exp_f32_e32 v149, v146
	s_delay_alu instid0(VALU_DEP_3) | instskip(NEXT) | instid1(TRANS32_DEP_3)
	v_dual_mul_f32 v150, 0x3fb8aa3b, v150 :: v_dual_mul_f32 v151, 0x3fb8aa3b, v151
	v_cndmask_b32_e64 v148, 0, v147, s3
	s_delay_alu instid0(VALU_DEP_3)
	v_mul_f32_e32 v134, 0x3fb8aa3b, v134
	v_cndmask_b32_e64 v147, 0, v152, s4
	v_mul_f32_e32 v152, 0x3fb8aa3b, v154
	v_exp_f32_e32 v145, v145
	v_exp_f32_e32 v150, v150
	v_mul_f32_e32 v153, 0x3fb8aa3b, v153
	v_exp_f32_e32 v151, v151
	v_fma_f32 v129, s35, v129, -v161
	v_exp_f32_e32 v155, v152
	v_fma_f32 v131, s35, v131, -v161
	v_exp_f32_e32 v153, v153
	v_exp_f32_e32 v130, v130
	v_mul_f32_e32 v129, 0x3fb8aa3b, v129
	v_cndmask_b32_e32 v146, 0, v145, vcc_lo
	v_cndmask_b32_e64 v145, 0, v149, s2
	v_cndmask_b32_e64 v150, 0, v150, s5
	v_mul_f32_e32 v131, 0x3fb8aa3b, v131
	v_exp_f32_e32 v129, v129
	v_add_f32_e32 v149, 0, v146
	v_fma_f32 v133, s35, v133, -v161
	v_cndmask_b32_e64 v152, 0, v153, s7
	v_exp_f32_e32 v131, v131
	v_exp_f32_e32 v132, v132
	v_add_f32_e32 v149, v149, v145
	v_mul_f32_e32 v133, 0x3fb8aa3b, v133
	s_mov_b32 s2, exec_lo
	s_delay_alu instid0(VALU_DEP_2) | instskip(NEXT) | instid1(VALU_DEP_2)
	v_add_f32_e32 v149, v149, v148
	v_exp_f32_e32 v133, v133
	s_delay_alu instid0(TRANS32_DEP_3) | instskip(SKIP_1) | instid1(VALU_DEP_2)
	v_cndmask_b32_e64 v156, 0, v131, s11
	v_exp_f32_e32 v131, v134
	v_add_f32_e32 v154, v149, v147
	v_cndmask_b32_e64 v149, 0, v151, s6
	s_delay_alu instid0(VALU_DEP_2) | instskip(SKIP_1) | instid1(TRANS32_DEP_2)
	v_add_f32_e32 v151, v154, v150
	v_cndmask_b32_e64 v154, 0, v129, s9
	v_cndmask_b32_e64 v158, 0, v133, s13
	s_waitcnt_depctr 0xfff
	v_cndmask_b32_e64 v157, 0, v131, s15
	v_add_f32_e32 v153, v151, v149
	v_cndmask_b32_e64 v151, 0, v155, s8
	v_cndmask_b32_e64 v155, 0, v132, s12
	v_fma_f32 v132, s35, v136, -v161
	s_delay_alu instid0(VALU_DEP_4) | instskip(NEXT) | instid1(VALU_DEP_1)
	v_add_f32_e32 v153, v153, v152
	v_dual_mul_f32 v132, 0x3fb8aa3b, v132 :: v_dual_add_f32 v129, v153, v151
	v_cndmask_b32_e64 v153, 0, v130, s10
	v_fma_f32 v130, s35, v135, -v161
	s_delay_alu instid0(VALU_DEP_3) | instskip(NEXT) | instid1(VALU_DEP_3)
	v_exp_f32_e32 v131, v132
	v_add_f32_e32 v129, v129, v154
	s_delay_alu instid0(VALU_DEP_1) | instskip(NEXT) | instid1(VALU_DEP_1)
	v_dual_mul_f32 v130, 0x3fb8aa3b, v130 :: v_dual_add_f32 v129, v129, v153
	v_exp_f32_e32 v130, v130
	s_waitcnt_depctr 0xfff
	v_cndmask_b32_e64 v159, 0, v131, s17
	v_add_f32_e32 v129, v129, v156
	s_delay_alu instid0(VALU_DEP_1) | instskip(SKIP_1) | instid1(VALU_DEP_2)
	v_add_f32_e32 v129, v129, v155
	v_cndmask_b32_e64 v160, 0, v130, s16
	v_add_f32_e32 v129, v129, v158
	s_delay_alu instid0(VALU_DEP_1) | instskip(NEXT) | instid1(VALU_DEP_1)
	v_add_f32_e32 v129, v129, v157
	v_add_f32_e32 v129, v129, v160
	s_delay_alu instid0(VALU_DEP_1)
	v_add_f32_e32 v129, v129, v159
	ds_bpermute_b32 v130, v162, v129
	v_cmpx_gt_u32_e32 16, v143
	s_cbranch_execz .LBB111_12
; %bb.11:
	v_mul_u32_u24_e32 v131, 0x44, v144
	s_delay_alu instid0(VALU_DEP_1) | instskip(SKIP_1) | instid1(VALU_DEP_1)
	v_lshl_add_u32 v131, v142, 2, v131
	s_waitcnt lgkmcnt(0)
	v_dual_add_f32 v129, v129, v130 :: v_dual_add_nc_u32 v130, 0x4000, v131
	ds_store_2addr_b32 v130, v161, v129 offset1:136
.LBB111_12:
	s_or_b32 exec_lo, exec_lo, s2
	v_lshlrev_b32_e32 v129, 2, v142
	v_cmp_eq_u32_e32 vcc_lo, 1, v144
	s_load_b32 s35, s[0:1], 0x94
	s_waitcnt lgkmcnt(0)
	s_barrier
	v_add_nc_u32_e32 v135, 0x4000, v129
	buffer_gl0_inv
	v_cmp_eq_u32_e64 s2, 2, v144
	v_cmp_eq_u32_e64 s3, 3, v144
	;; [unrolled: 1-line block ×3, first 2 shown]
	ds_load_2addr_b32 v[129:130], v135 offset1:17
	ds_load_2addr_b32 v[131:132], v135 offset0:34 offset1:51
	ds_load_2addr_b32 v[133:134], v135 offset0:68 offset1:85
	ds_load_2addr_b32 v[161:162], v135 offset0:102 offset1:119
	ds_load_2addr_b32 v[163:164], v135 offset0:136 offset1:153
	v_cmp_eq_u32_e64 s5, 5, v144
	v_cmp_eq_u32_e64 s6, 7, v144
	s_waitcnt lgkmcnt(4)
	v_max3_f32 v136, v129, 0xff7fffff, v130
	s_waitcnt lgkmcnt(3)
	s_delay_alu instid0(VALU_DEP_1) | instskip(SKIP_1) | instid1(VALU_DEP_1)
	v_max3_f32 v136, v136, v131, v132
	s_waitcnt lgkmcnt(2)
	v_max3_f32 v136, v136, v133, v134
	s_waitcnt lgkmcnt(1)
	s_delay_alu instid0(VALU_DEP_1) | instskip(NEXT) | instid1(VALU_DEP_1)
	v_max3_f32 v136, v136, v161, v162
	v_sub_f32_e32 v166, v132, v136
	v_sub_f32_e32 v129, v129, v136
	;; [unrolled: 1-line block ×4, first 2 shown]
	s_delay_alu instid0(VALU_DEP_4) | instskip(NEXT) | instid1(VALU_DEP_4)
	v_dual_sub_f32 v133, v133, v136 :: v_dual_mul_f32 v166, 0x3fb8aa3b, v166
	v_mul_f32_e32 v165, 0x3fb8aa3b, v129
	ds_load_2addr_b32 v[129:130], v135 offset0:170 offset1:187
	v_mul_f32_e32 v143, 0x3fb8aa3b, v143
	v_mul_f32_e32 v167, 0x3fb8aa3b, v131
	v_exp_f32_e32 v166, v166
	v_exp_f32_e32 v165, v165
	v_mul_f32_e32 v169, 0x3fb8aa3b, v133
	v_exp_f32_e32 v168, v143
	v_exp_f32_e32 v167, v167
	s_waitcnt lgkmcnt(1)
	s_delay_alu instid0(TRANS32_DEP_3) | instskip(SKIP_4) | instid1(VALU_DEP_1)
	v_fma_f32 v143, v165, v163, 0
	v_sub_f32_e32 v163, v134, v136
	s_waitcnt_depctr 0xfff
	v_fmac_f32_e32 v143, v168, v164
	s_waitcnt lgkmcnt(0)
	v_fmac_f32_e32 v143, v167, v129
	v_sub_f32_e32 v129, v162, v136
	s_delay_alu instid0(VALU_DEP_2)
	v_dual_fmac_f32 v143, v166, v130 :: v_dual_cndmask_b32 v130, v165, v168
	ds_load_2addr_b32 v[131:132], v135 offset0:204 offset1:221
	ds_load_2addr_b32 v[133:134], v135 offset0:238 offset1:255
	v_sub_f32_e32 v135, v161, v136
	v_mul_f32_e32 v161, 0x3fb8aa3b, v163
	v_exp_f32_e32 v163, v169
	v_mul_f32_e32 v129, 0x3fb8aa3b, v129
	s_waitcnt lgkmcnt(0)
	v_mul_f32_e32 v135, 0x3fb8aa3b, v135
	v_exp_f32_e32 v161, v161
	s_barrier
	v_exp_f32_e32 v162, v129
	buffer_gl0_inv
	v_exp_f32_e32 v135, v135
	v_fmac_f32_e32 v143, v163, v131
	s_delay_alu instid0(VALU_DEP_1) | instskip(SKIP_3) | instid1(VALU_DEP_2)
	v_fmac_f32_e32 v143, v161, v132
	s_waitcnt_depctr 0xfff
	v_fmac_f32_e32 v143, v135, v133
	v_lshlrev_b32_e32 v133, 6, v142
	v_fmac_f32_e32 v143, v162, v134
	s_delay_alu instid0(VALU_DEP_2) | instskip(NEXT) | instid1(VALU_DEP_2)
	v_lshl_or_b32 v134, v144, 11, v133
	v_add_f32_e32 v164, 0x358637bd, v143
	s_delay_alu instid0(VALU_DEP_1) | instskip(SKIP_1) | instid1(VALU_DEP_2)
	v_div_scale_f32 v169, null, v164, v164, 1.0
	v_div_scale_f32 v165, vcc_lo, 1.0, v164, 1.0
	v_rcp_f32_e32 v170, v169
	s_waitcnt_depctr 0xfff
	v_fma_f32 v129, -v169, v170, 1.0
	s_delay_alu instid0(VALU_DEP_1) | instskip(SKIP_2) | instid1(VALU_DEP_3)
	v_fmac_f32_e32 v170, v129, v170
	v_cndmask_b32_e64 v129, v130, v167, s2
	v_cmp_eq_u32_e64 s2, 6, v144
	v_mul_f32_e32 v167, v165, v170
	s_delay_alu instid0(VALU_DEP_3) | instskip(SKIP_1) | instid1(VALU_DEP_3)
	v_cndmask_b32_e64 v130, v129, v166, s3
	v_lshlrev_b32_e32 v129, 2, v141
	v_fma_f32 v131, -v169, v167, v165
	s_delay_alu instid0(VALU_DEP_3) | instskip(NEXT) | instid1(VALU_DEP_3)
	v_cndmask_b32_e64 v142, v130, v163, s4
	v_or_b32_e32 v130, 1, v129
	v_or_b32_e32 v132, 2, v129
	v_cmp_eq_u32_e64 s3, 1, v129
	v_fmac_f32_e32 v167, v131, v170
	v_cndmask_b32_e64 v142, v142, v161, s5
	v_or_b32_e32 v131, 3, v129
	v_cmp_eq_u32_e64 s8, 1, v130
	v_cmp_eq_u32_e64 s9, 1, v132
	v_fma_f32 v144, -v169, v167, v165
	v_cndmask_b32_e64 v135, v142, v135, s2
	v_cmp_eq_u32_e64 s10, 1, v131
	v_cmp_eq_u32_e64 s4, 2, v129
	v_cmp_eq_u32_e64 s11, 2, v130
	v_div_fmas_f32 v142, v144, v170, v167
	v_cndmask_b32_e64 v144, v135, v162, s6
	v_lshl_or_b32 v135, v141, 4, v134
	v_cmp_eq_u32_e64 s13, 2, v132
	v_cmp_eq_u32_e64 s15, 2, v131
	v_div_fixup_f32 v142, v142, v164, 1.0
	v_cmp_eq_u32_e32 vcc_lo, 3, v129
	v_cmp_eq_u32_e64 s12, 3, v130
	v_cmp_eq_u32_e64 s16, 3, v132
	;; [unrolled: 1-line block ×3, first 2 shown]
	v_mul_f32_e32 v141, v144, v142
	v_cmp_eq_u32_e64 s21, 4, v131
	v_cmp_eq_u32_e64 s2, 4, v129
	;; [unrolled: 1-line block ×4, first 2 shown]
	v_fma_mixlo_f16 v161, v141, v146, 0
	v_fma_mixlo_f16 v162, v141, v148, 0
	;; [unrolled: 1-line block ×8, first 2 shown]
	v_fma_mixhi_f16 v161, v141, v145, 0
	v_fma_mixhi_f16 v162, v141, v147, 0
	;; [unrolled: 1-line block ×8, first 2 shown]
	ds_store_b128 v135, v[161:164]
	ds_store_b128 v135, v[165:168] offset:1024
	s_waitcnt lgkmcnt(0)
	s_barrier
	buffer_gl0_inv
	ds_load_b128 v[144:147], v134
	ds_load_b128 v[148:151], v134 offset:16
	ds_load_b128 v[152:155], v134 offset:1024
	;; [unrolled: 1-line block ×3, first 2 shown]
	v_cmp_eq_u32_e64 s5, 5, v129
	v_cmp_eq_u32_e64 s19, 5, v130
	;; [unrolled: 1-line block ×12, first 2 shown]
	s_waitcnt lgkmcnt(3)
	v_lshrrev_b32_e32 v141, 16, v144
	s_waitcnt lgkmcnt(2)
	v_lshrrev_b32_e32 v162, 16, v148
	;; [unrolled: 2-line block ×4, first 2 shown]
	v_lshrrev_b32_e32 v142, 16, v145
	v_cndmask_b32_e64 v174, v144, v141, s3
	v_cndmask_b32_e64 v175, v148, v162, s3
	;; [unrolled: 1-line block ×7, first 2 shown]
	v_lshrrev_b32_e32 v163, 16, v149
	v_cndmask_b32_e64 v179, v148, v162, s9
	v_cndmask_b32_e64 v148, v152, v166, s3
	;; [unrolled: 1-line block ×16, first 2 shown]
	v_lshrrev_b32_e32 v167, 16, v153
	v_cndmask_b32_e64 v177, v179, v149, s13
	v_cndmask_b32_e64 v145, v148, v153, s4
	;; [unrolled: 1-line block ×7, first 2 shown]
	v_cndmask_b32_e32 v156, v166, v142, vcc_lo
	v_cndmask_b32_e32 v166, v170, v163, vcc_lo
	v_cndmask_b32_e64 v170, v174, v142, s12
	v_cndmask_b32_e64 v174, v175, v163, s12
	;; [unrolled: 1-line block ×5, first 2 shown]
	v_lshrrev_b32_e32 v160, 16, v146
	v_lshrrev_b32_e32 v164, 16, v150
	;; [unrolled: 1-line block ×3, first 2 shown]
	v_cndmask_b32_e64 v141, v141, v146, s21
	v_cndmask_b32_e64 v142, v142, v150, s21
	;; [unrolled: 1-line block ×3, first 2 shown]
	v_cndmask_b32_e32 v144, v145, v167, vcc_lo
	v_cndmask_b32_e32 v145, v148, v171, vcc_lo
	v_cndmask_b32_e64 v148, v149, v167, s12
	v_cndmask_b32_e64 v149, v156, v146, s2
	v_cndmask_b32_e64 v156, v166, v150, s2
	v_cndmask_b32_e64 v163, v170, v146, s18
	v_cndmask_b32_e64 v166, v174, v150, s18
	v_cndmask_b32_e64 v141, v141, v160, s23
	v_cndmask_b32_e64 v142, v142, v164, s23
	v_lshrrev_b32_e32 v161, 16, v147
	v_lshrrev_b32_e32 v165, 16, v151
	;; [unrolled: 1-line block ×4, first 2 shown]
	v_cndmask_b32_e64 v170, v175, v146, s20
	v_cndmask_b32_e64 v174, v176, v150, s20
	;; [unrolled: 1-line block ×20, first 2 shown]
	v_lshrrev_b32_e32 v169, 16, v155
	v_cndmask_b32_e64 v148, v148, v147, s6
	v_cndmask_b32_e64 v149, v149, v151, s6
	;; [unrolled: 1-line block ×9, first 2 shown]
	v_perm_b32 v147, v142, v141, 0x5040100
	v_cndmask_b32_e64 v141, v183, v157, s13
	v_cndmask_b32_e64 v142, v181, v157, s11
	;; [unrolled: 1-line block ×7, first 2 shown]
	v_perm_b32 v145, v156, v150, 0x5040100
	v_cndmask_b32_e64 v144, v162, v167, s16
	v_cndmask_b32_e64 v150, v152, v167, s17
	;; [unrolled: 1-line block ×15, first 2 shown]
	v_lshrrev_b32_e32 v173, 16, v159
	v_cndmask_b32_e64 v144, v144, v155, s25
	v_cndmask_b32_e64 v150, v150, v155, s26
	;; [unrolled: 1-line block ×12, first 2 shown]
	v_perm_b32 v146, v160, v146, 0x5040100
	v_perm_b32 v144, v149, v148, 0x5040100
	;; [unrolled: 1-line block ×6, first 2 shown]
	s_lshl_b32 s6, s34, 1
	s_mov_b32 s2, exec_lo
	ds_store_b128 v135, v[144:147]
	ds_store_b128 v135, v[148:151] offset:1024
	v_cmpx_gt_u32_e32 2, v0
	s_cbranch_execz .LBB111_14
; %bb.13:
	v_or_b32_e32 v141, s33, v0
	s_load_b128 s[8:11], s[0:1], 0x58
	s_delay_alu instid0(VALU_DEP_1) | instskip(NEXT) | instid1(VALU_DEP_1)
	v_mad_u64_u32 v[144:145], null, s6, s30, v[141:142]
	v_mad_u64_u32 v[141:142], null, v144, s35, s[14:15]
	s_delay_alu instid0(VALU_DEP_1) | instskip(NEXT) | instid1(VALU_DEP_1)
	v_ashrrev_i32_e32 v142, 31, v141
	v_lshlrev_b64 v[141:142], 2, v[141:142]
	s_waitcnt lgkmcnt(0)
	s_delay_alu instid0(VALU_DEP_1) | instskip(NEXT) | instid1(VALU_DEP_2)
	v_add_co_u32 v144, vcc_lo, s10, v141
	v_add_co_ci_u32_e32 v145, vcc_lo, s11, v142, vcc_lo
	v_add_co_u32 v141, vcc_lo, s8, v141
	v_add_co_ci_u32_e32 v142, vcc_lo, s9, v142, vcc_lo
	global_store_b32 v[144:145], v136, off
	global_store_b32 v[141:142], v143, off
.LBB111_14:
	s_or_b32 exec_lo, exec_lo, s2
	s_waitcnt lgkmcnt(0)
	s_waitcnt_vscnt null, 0x0
	s_barrier
	buffer_gl0_inv
	ds_load_b128 v[149:152], v133
	ds_load_b128 v[153:156], v133 offset:16
	ds_load_b128 v[161:164], v133 offset:1040
	;; [unrolled: 1-line block ×5, first 2 shown]
	v_cmp_eq_u32_e32 vcc_lo, 1, v132
	v_mov_b32_e32 v141, 0
	ds_load_b128 v[177:180], v133 offset:3088
	ds_load_b128 v[173:176], v133 offset:3072
	;; [unrolled: 1-line block ×4, first 2 shown]
	v_cmp_eq_u32_e64 s2, 1, v129
	v_cmp_eq_u32_e64 s3, 1, v131
	;; [unrolled: 1-line block ×3, first 2 shown]
	v_mov_b32_e32 v142, v141
	v_mov_b32_e32 v143, v141
	;; [unrolled: 1-line block ×7, first 2 shown]
	v_cmp_eq_u32_e64 s5, 2, v129
	s_waitcnt lgkmcnt(8)
	s_delay_alu instid0(VALU_DEP_2)
	v_wmma_f32_16x16x16_f16 v[141:148], v[121:128], v[149:156], v[141:148]
	ds_load_b128 v[125:128], v133 offset:5136
	ds_load_b128 v[121:124], v133 offset:5120
	s_waitcnt lgkmcnt(8)
	v_wmma_f32_16x16x16_f16 v[141:148], v[113:120], v[157:164], v[141:148]
	ds_load_b128 v[117:120], v133 offset:6160
	ds_load_b128 v[113:116], v133 offset:6144
	s_waitcnt lgkmcnt(8)
	;; [unrolled: 4-line block ×11, first 2 shown]
	s_barrier
	buffer_gl0_inv
	v_wmma_f32_16x16x16_f16 v[141:148], v[1:8], v[73:80], v[141:148]
	s_delay_alu instid0(VALU_DEP_1) | instskip(NEXT) | instid1(VALU_DEP_1)
	v_wmma_f32_16x16x16_f16 v[141:148], v[9:16], v[65:72], v[141:148]
	v_wmma_f32_16x16x16_f16 v[141:148], v[33:40], v[57:64], v[141:148]
	s_delay_alu instid0(VALU_DEP_1) | instskip(NEXT) | instid1(VALU_DEP_1)
	v_wmma_f32_16x16x16_f16 v[141:148], v[41:48], v[49:56], v[141:148]
	v_wmma_f32_16x16x16_f16 v[141:148], v[17:24], v[25:32], v[141:148]
	s_delay_alu instid0(VALU_DEP_1) | instskip(NEXT) | instid1(VALU_DEP_2)
	v_cvt_f16_f32_e64 v1, v141
	v_cvt_f16_f32_e64 v2, v142
	s_delay_alu instid0(VALU_DEP_3) | instskip(NEXT) | instid1(VALU_DEP_4)
	v_cvt_f16_f32_e64 v3, v143
	v_cvt_f16_f32_e64 v4, v144
	v_cvt_f16_f32_e64 v5, v145
	v_cvt_f16_f32_e64 v6, v146
	v_cvt_f16_f32_e64 v7, v147
	v_cvt_f16_f32_e64 v8, v148
	v_pack_b32_f16 v1, v1, v2
	v_pack_b32_f16 v2, v3, v4
	v_pack_b32_f16 v3, v5, v6
	s_delay_alu instid0(VALU_DEP_4)
	v_pack_b32_f16 v4, v7, v8
	ds_store_b128 v135, v[1:4]
	s_waitcnt lgkmcnt(0)
	s_barrier
	buffer_gl0_inv
	ds_load_b128 v[1:4], v134
	ds_load_b128 v[5:8], v134 offset:16
	s_waitcnt lgkmcnt(1)
	v_lshrrev_b32_e32 v9, 16, v1
	s_waitcnt lgkmcnt(0)
	v_lshrrev_b32_e32 v13, 16, v5
	v_lshrrev_b32_e32 v15, 16, v7
	;; [unrolled: 1-line block ×4, first 2 shown]
	v_cndmask_b32_e64 v17, v1, v9, s2
	v_cndmask_b32_e64 v18, v5, v13, s2
	;; [unrolled: 1-line block ×3, first 2 shown]
	v_cmp_eq_u32_e64 s2, 2, v130
	v_cndmask_b32_e64 v20, v5, v13, s4
	v_cndmask_b32_e32 v21, v1, v9, vcc_lo
	v_cndmask_b32_e32 v22, v5, v13, vcc_lo
	v_cndmask_b32_e64 v1, v1, v9, s3
	v_cndmask_b32_e64 v5, v5, v13, s3
	v_cmp_eq_u32_e32 vcc_lo, 2, v132
	v_cmp_eq_u32_e64 s3, 2, v131
	v_cndmask_b32_e64 v9, v17, v2, s5
	v_cndmask_b32_e64 v13, v18, v6, s5
	;; [unrolled: 1-line block ×4, first 2 shown]
	v_cndmask_b32_e32 v19, v21, v2, vcc_lo
	v_cmp_eq_u32_e64 s2, 3, v132
	v_cndmask_b32_e32 v20, v22, v6, vcc_lo
	v_cndmask_b32_e64 v1, v1, v2, s3
	v_cmp_eq_u32_e32 vcc_lo, 3, v131
	v_cmp_eq_u32_e64 s4, 3, v129
	v_cndmask_b32_e64 v2, v5, v6, s3
	v_cmp_eq_u32_e64 s3, 3, v130
	v_lshrrev_b32_e32 v16, 16, v8
	v_cmp_eq_u32_e64 s5, 4, v129
	v_cndmask_b32_e64 v5, v9, v10, s4
	v_cndmask_b32_e64 v6, v13, v14, s4
	;; [unrolled: 1-line block ×3, first 2 shown]
	v_cmp_eq_u32_e64 s4, 4, v130
	v_cndmask_b32_e64 v13, v18, v14, s3
	v_cndmask_b32_e64 v17, v19, v10, s2
	;; [unrolled: 1-line block ×3, first 2 shown]
	v_cndmask_b32_e32 v1, v1, v10, vcc_lo
	v_cndmask_b32_e32 v2, v2, v14, vcc_lo
	v_cmp_eq_u32_e32 vcc_lo, 4, v132
	v_cmp_eq_u32_e64 s3, 4, v131
	v_lshrrev_b32_e32 v11, 16, v3
	v_cndmask_b32_e64 v5, v5, v3, s5
	v_cndmask_b32_e64 v6, v6, v7, s5
	;; [unrolled: 1-line block ×4, first 2 shown]
	v_cndmask_b32_e32 v13, v17, v3, vcc_lo
	v_cmp_eq_u32_e64 s2, 5, v132
	v_cndmask_b32_e32 v14, v18, v7, vcc_lo
	v_cndmask_b32_e64 v1, v1, v3, s3
	v_cmp_eq_u32_e32 vcc_lo, 5, v131
	v_cmp_eq_u32_e64 s4, 5, v129
	v_cndmask_b32_e64 v2, v2, v7, s3
	v_cmp_eq_u32_e64 s3, 5, v130
	v_cmp_eq_u32_e64 s5, 6, v129
	v_cndmask_b32_e32 v1, v1, v11, vcc_lo
	v_cndmask_b32_e64 v3, v5, v11, s4
	v_cndmask_b32_e64 v5, v6, v15, s4
	v_cndmask_b32_e64 v6, v9, v11, s3
	v_cmp_eq_u32_e64 s4, 6, v130
	v_cndmask_b32_e64 v7, v10, v15, s3
	v_cndmask_b32_e64 v9, v13, v11, s2
	;; [unrolled: 1-line block ×3, first 2 shown]
	v_cndmask_b32_e32 v2, v2, v15, vcc_lo
	v_cmp_eq_u32_e32 vcc_lo, 6, v132
	v_cmp_eq_u32_e64 s2, 6, v131
	v_lshrrev_b32_e32 v12, 16, v4
	v_cndmask_b32_e64 v3, v3, v4, s5
	v_cndmask_b32_e64 v5, v5, v8, s5
	;; [unrolled: 1-line block ×4, first 2 shown]
	v_cndmask_b32_e32 v9, v9, v4, vcc_lo
	v_cmp_eq_u32_e64 s3, 7, v132
	v_cndmask_b32_e32 v10, v10, v8, vcc_lo
	v_cndmask_b32_e64 v1, v1, v4, s2
	v_cmp_eq_u32_e32 vcc_lo, 7, v131
	v_cndmask_b32_e64 v2, v2, v8, s2
	v_cmp_eq_u32_e64 s2, 7, v129
	v_cmp_eq_u32_e64 s4, 7, v130
	v_cndmask_b32_e32 v1, v1, v12, vcc_lo
	s_delay_alu instid0(VALU_DEP_4) | instskip(NEXT) | instid1(VALU_DEP_4)
	v_cndmask_b32_e32 v2, v2, v16, vcc_lo
	v_cndmask_b32_e64 v8, v3, v12, s2
	s_delay_alu instid0(VALU_DEP_4)
	v_cndmask_b32_e64 v6, v6, v12, s4
	v_cndmask_b32_e64 v3, v9, v12, s3
	;; [unrolled: 1-line block ×5, first 2 shown]
	v_perm_b32 v4, v2, v1, 0x5040100
	s_delay_alu instid0(VALU_DEP_4) | instskip(NEXT) | instid1(VALU_DEP_4)
	v_perm_b32 v3, v9, v3, 0x5040100
	v_perm_b32 v2, v7, v6, 0x5040100
	s_delay_alu instid0(VALU_DEP_4)
	v_perm_b32 v1, v5, v8, 0x5040100
	ds_store_b128 v135, v[1:4]
	s_waitcnt lgkmcnt(0)
	s_barrier
	buffer_gl0_inv
	s_and_saveexec_b32 s2, s31
	s_cbranch_execz .LBB111_2
; %bb.15:
	s_load_b64 s[0:1], s[0:1], 0x68
	v_lshlrev_b32_e32 v0, 10, v0
	s_lshl_b32 s2, s35, 6
	v_lshlrev_b32_e32 v1, 4, v140
	v_mul_lo_u32 v4, s2, v139
	s_mul_i32 s3, s2, s30
	v_and_b32_e32 v0, 0x3800, v0
	s_mul_i32 s2, s3, s6
	s_delay_alu instid0(SALU_CYCLE_1) | instskip(NEXT) | instid1(VALU_DEP_1)
	s_ashr_i32 s3, s2, 31
	v_or3_b32 v0, v0, v138, v1
	s_lshl_b64 s[2:3], s[2:3], 1
	s_delay_alu instid0(VALU_DEP_3)
	v_ashrrev_i32_e32 v5, 31, v4
	ds_load_b128 v[0:3], v0
	v_lshlrev_b64 v[4:5], 1, v[4:5]
	s_waitcnt lgkmcnt(0)
	s_add_u32 s2, s0, s2
	s_addc_u32 s3, s1, s3
	s_lshl_b32 s0, s14, 6
	s_delay_alu instid0(SALU_CYCLE_1) | instskip(NEXT) | instid1(SALU_CYCLE_1)
	s_ashr_i32 s1, s0, 31
	s_lshl_b64 s[0:1], s[0:1], 1
	s_delay_alu instid0(SALU_CYCLE_1) | instskip(SKIP_3) | instid1(VALU_DEP_2)
	s_add_u32 s0, s2, s0
	s_addc_u32 s1, s3, s1
	v_add_co_u32 v4, vcc_lo, s0, v4
	v_add_co_ci_u32_e32 v5, vcc_lo, s1, v5, vcc_lo
	v_add_co_u32 v4, vcc_lo, v4, v137
	s_delay_alu instid0(VALU_DEP_2)
	v_add_co_ci_u32_e32 v5, vcc_lo, 0, v5, vcc_lo
	global_store_b128 v[4:5], v[0:3], off
	s_nop 0
	s_sendmsg sendmsg(MSG_DEALLOC_VGPRS)
	s_endpgm
	.section	.rodata,"a",@progbits
	.p2align	6, 0x0
	.amdhsa_kernel _Z39paged_attention_ll4mi_QKV_mfma16_kernelIDF16_DF16_LN4vllm18Fp8KVCacheDataTypeE0EDF16_Li16ELi64ELi256ELb0ELi2EL8MFMAType0EEvPKT_PKT0_S8_ifPKiSA_SA_iPKfiiiPfSD_PS3_PT2_iSC_SC_
		.amdhsa_group_segment_fixed_size 17472
		.amdhsa_private_segment_fixed_size 0
		.amdhsa_kernarg_size 400
		.amdhsa_user_sgpr_count 13
		.amdhsa_user_sgpr_dispatch_ptr 0
		.amdhsa_user_sgpr_queue_ptr 0
		.amdhsa_user_sgpr_kernarg_segment_ptr 1
		.amdhsa_user_sgpr_dispatch_id 0
		.amdhsa_user_sgpr_private_segment_size 0
		.amdhsa_wavefront_size32 1
		.amdhsa_uses_dynamic_stack 0
		.amdhsa_enable_private_segment 0
		.amdhsa_system_sgpr_workgroup_id_x 1
		.amdhsa_system_sgpr_workgroup_id_y 1
		.amdhsa_system_sgpr_workgroup_id_z 1
		.amdhsa_system_sgpr_workgroup_info 0
		.amdhsa_system_vgpr_workitem_id 0
		.amdhsa_next_free_vgpr 202
		.amdhsa_next_free_sgpr 52
		.amdhsa_reserve_vcc 1
		.amdhsa_float_round_mode_32 0
		.amdhsa_float_round_mode_16_64 0
		.amdhsa_float_denorm_mode_32 3
		.amdhsa_float_denorm_mode_16_64 3
		.amdhsa_dx10_clamp 1
		.amdhsa_ieee_mode 1
		.amdhsa_fp16_overflow 0
		.amdhsa_workgroup_processor_mode 1
		.amdhsa_memory_ordered 1
		.amdhsa_forward_progress 0
		.amdhsa_shared_vgpr_count 0
		.amdhsa_exception_fp_ieee_invalid_op 0
		.amdhsa_exception_fp_denorm_src 0
		.amdhsa_exception_fp_ieee_div_zero 0
		.amdhsa_exception_fp_ieee_overflow 0
		.amdhsa_exception_fp_ieee_underflow 0
		.amdhsa_exception_fp_ieee_inexact 0
		.amdhsa_exception_int_div_zero 0
	.end_amdhsa_kernel
	.section	.text._Z39paged_attention_ll4mi_QKV_mfma16_kernelIDF16_DF16_LN4vllm18Fp8KVCacheDataTypeE0EDF16_Li16ELi64ELi256ELb0ELi2EL8MFMAType0EEvPKT_PKT0_S8_ifPKiSA_SA_iPKfiiiPfSD_PS3_PT2_iSC_SC_,"axG",@progbits,_Z39paged_attention_ll4mi_QKV_mfma16_kernelIDF16_DF16_LN4vllm18Fp8KVCacheDataTypeE0EDF16_Li16ELi64ELi256ELb0ELi2EL8MFMAType0EEvPKT_PKT0_S8_ifPKiSA_SA_iPKfiiiPfSD_PS3_PT2_iSC_SC_,comdat
.Lfunc_end111:
	.size	_Z39paged_attention_ll4mi_QKV_mfma16_kernelIDF16_DF16_LN4vllm18Fp8KVCacheDataTypeE0EDF16_Li16ELi64ELi256ELb0ELi2EL8MFMAType0EEvPKT_PKT0_S8_ifPKiSA_SA_iPKfiiiPfSD_PS3_PT2_iSC_SC_, .Lfunc_end111-_Z39paged_attention_ll4mi_QKV_mfma16_kernelIDF16_DF16_LN4vllm18Fp8KVCacheDataTypeE0EDF16_Li16ELi64ELi256ELb0ELi2EL8MFMAType0EEvPKT_PKT0_S8_ifPKiSA_SA_iPKfiiiPfSD_PS3_PT2_iSC_SC_
                                        ; -- End function
	.section	.AMDGPU.csdata,"",@progbits
; Kernel info:
; codeLenInByte = 7588
; NumSgprs: 54
; NumVgprs: 202
; ScratchSize: 0
; MemoryBound: 0
; FloatMode: 240
; IeeeMode: 1
; LDSByteSize: 17472 bytes/workgroup (compile time only)
; SGPRBlocks: 6
; VGPRBlocks: 25
; NumSGPRsForWavesPerEU: 54
; NumVGPRsForWavesPerEU: 202
; Occupancy: 7
; WaveLimiterHint : 1
; COMPUTE_PGM_RSRC2:SCRATCH_EN: 0
; COMPUTE_PGM_RSRC2:USER_SGPR: 13
; COMPUTE_PGM_RSRC2:TRAP_HANDLER: 0
; COMPUTE_PGM_RSRC2:TGID_X_EN: 1
; COMPUTE_PGM_RSRC2:TGID_Y_EN: 1
; COMPUTE_PGM_RSRC2:TGID_Z_EN: 1
; COMPUTE_PGM_RSRC2:TIDIG_COMP_CNT: 0
	.section	.text._Z39paged_attention_ll4mi_QKV_mfma16_kernelIDF16_DF16_LN4vllm18Fp8KVCacheDataTypeE0EDF16_Li16ELi64ELi256ELb0ELi3EL8MFMAType0EEvPKT_PKT0_S8_ifPKiSA_SA_iPKfiiiPfSD_PS3_PT2_iSC_SC_,"axG",@progbits,_Z39paged_attention_ll4mi_QKV_mfma16_kernelIDF16_DF16_LN4vllm18Fp8KVCacheDataTypeE0EDF16_Li16ELi64ELi256ELb0ELi3EL8MFMAType0EEvPKT_PKT0_S8_ifPKiSA_SA_iPKfiiiPfSD_PS3_PT2_iSC_SC_,comdat
	.protected	_Z39paged_attention_ll4mi_QKV_mfma16_kernelIDF16_DF16_LN4vllm18Fp8KVCacheDataTypeE0EDF16_Li16ELi64ELi256ELb0ELi3EL8MFMAType0EEvPKT_PKT0_S8_ifPKiSA_SA_iPKfiiiPfSD_PS3_PT2_iSC_SC_ ; -- Begin function _Z39paged_attention_ll4mi_QKV_mfma16_kernelIDF16_DF16_LN4vllm18Fp8KVCacheDataTypeE0EDF16_Li16ELi64ELi256ELb0ELi3EL8MFMAType0EEvPKT_PKT0_S8_ifPKiSA_SA_iPKfiiiPfSD_PS3_PT2_iSC_SC_
	.globl	_Z39paged_attention_ll4mi_QKV_mfma16_kernelIDF16_DF16_LN4vllm18Fp8KVCacheDataTypeE0EDF16_Li16ELi64ELi256ELb0ELi3EL8MFMAType0EEvPKT_PKT0_S8_ifPKiSA_SA_iPKfiiiPfSD_PS3_PT2_iSC_SC_
	.p2align	8
	.type	_Z39paged_attention_ll4mi_QKV_mfma16_kernelIDF16_DF16_LN4vllm18Fp8KVCacheDataTypeE0EDF16_Li16ELi64ELi256ELb0ELi3EL8MFMAType0EEvPKT_PKT0_S8_ifPKiSA_SA_iPKfiiiPfSD_PS3_PT2_iSC_SC_,@function
_Z39paged_attention_ll4mi_QKV_mfma16_kernelIDF16_DF16_LN4vllm18Fp8KVCacheDataTypeE0EDF16_Li16ELi64ELi256ELb0ELi3EL8MFMAType0EEvPKT_PKT0_S8_ifPKiSA_SA_iPKfiiiPfSD_PS3_PT2_iSC_SC_: ; @_Z39paged_attention_ll4mi_QKV_mfma16_kernelIDF16_DF16_LN4vllm18Fp8KVCacheDataTypeE0EDF16_Li16ELi64ELi256ELb0ELi3EL8MFMAType0EEvPKT_PKT0_S8_ifPKiSA_SA_iPKfiiiPfSD_PS3_PT2_iSC_SC_
; %bb.0:
	s_load_b64 s[2:3], s[0:1], 0x30
	s_mov_b32 s34, s13
	s_waitcnt lgkmcnt(0)
	s_cmp_lg_u64 s[2:3], 0
	s_cselect_b32 s8, -1, 0
	s_ashr_i32 s35, s13, 31
	s_cmp_eq_u64 s[2:3], 0
	s_cbranch_scc1 .LBB112_3
; %bb.1:
	s_lshl_b64 s[4:5], s[34:35], 2
	s_delay_alu instid0(SALU_CYCLE_1) | instskip(SKIP_4) | instid1(SALU_CYCLE_1)
	s_add_u32 s4, s2, s4
	s_addc_u32 s5, s3, s5
	s_load_b64 s[4:5], s[4:5], 0x0
	s_waitcnt lgkmcnt(0)
	s_sub_i32 s4, s5, s4
	s_cmp_eq_u32 s4, 1
	s_cselect_b32 s4, -1, 0
	s_delay_alu instid0(SALU_CYCLE_1)
	s_and_not1_b32 vcc_lo, exec_lo, s4
	s_cbranch_vccz .LBB112_4
.LBB112_2:
	s_nop 0
	s_sendmsg sendmsg(MSG_DEALLOC_VGPRS)
	s_endpgm
.LBB112_3:
.LBB112_4:
	s_load_b64 s[4:5], s[0:1], 0x28
	s_lshl_b64 s[6:7], s[34:35], 2
	s_waitcnt lgkmcnt(0)
	s_add_u32 s4, s4, s6
	s_addc_u32 s5, s5, s7
	s_lshl_b32 s31, s14, 8
	s_load_b32 s30, s[4:5], 0x0
	s_waitcnt lgkmcnt(0)
	s_cmp_ge_i32 s31, s30
	s_cbranch_scc1 .LBB112_2
; %bb.5:
	s_clause 0x1
	s_load_b128 s[20:23], s[0:1], 0x8
	s_load_b64 s[4:5], s[0:1], 0x20
	s_and_not1_b32 vcc_lo, exec_lo, s8
	s_cbranch_vccnz .LBB112_7
; %bb.6:
	s_add_u32 s2, s2, s6
	s_addc_u32 s3, s3, s7
	s_load_b32 s3, s[2:3], 0x0
	s_branch .LBB112_8
.LBB112_7:
	s_mov_b32 s3, s34
.LBB112_8:
	s_load_b128 s[16:19], s[0:1], 0x48
	v_lshrrev_b32_e32 v149, 5, v0
	v_bfe_u32 v146, v0, 4, 1
	v_and_b32_e32 v148, 15, v0
	v_and_b32_e32 v150, 31, v0
	;; [unrolled: 1-line block ×3, first 2 shown]
	s_mul_i32 s33, s15, 3
	v_lshl_or_b32 v1, v149, 1, v146
	v_lshlrev_b32_e32 v2, 3, v148
	v_cmp_gt_u32_e64 s2, 8, v148
	s_delay_alu instid0(VALU_DEP_3) | instskip(NEXT) | instid1(VALU_DEP_3)
	v_cmp_gt_u32_e32 vcc_lo, 3, v1
	v_lshlrev_b32_e32 v145, 1, v2
	s_delay_alu instid0(VALU_DEP_3) | instskip(NEXT) | instid1(SALU_CYCLE_1)
	s_and_b32 s7, s2, vcc_lo
	s_and_saveexec_b32 s6, s7
	s_cbranch_execz .LBB112_10
; %bb.9:
	s_load_b64 s[8:9], s[0:1], 0x0
	v_add_lshl_u32 v2, v1, s33, 6
	s_waitcnt lgkmcnt(0)
	s_mul_hi_i32 s11, s3, s16
	s_mul_i32 s10, s3, s16
	v_lshlrev_b32_e32 v6, 10, v148
	s_lshl_b64 s[10:11], s[10:11], 1
	v_ashrrev_i32_e32 v3, 31, v2
	v_lshlrev_b32_e32 v1, 6, v1
	v_lshlrev_b32_e32 v7, 10, v147
	v_and_b32_e32 v6, 0x3800, v6
	s_delay_alu instid0(VALU_DEP_4) | instskip(NEXT) | instid1(VALU_DEP_2)
	v_lshlrev_b64 v[2:3], 1, v[2:3]
	v_or3_b32 v1, v6, v7, v1
	s_add_u32 s3, s8, s10
	s_addc_u32 s7, s9, s11
	s_delay_alu instid0(VALU_DEP_2) | instskip(NEXT) | instid1(VALU_DEP_3)
	v_add_co_u32 v2, vcc_lo, s3, v2
	v_add_co_ci_u32_e32 v3, vcc_lo, s7, v3, vcc_lo
	s_delay_alu instid0(VALU_DEP_2) | instskip(NEXT) | instid1(VALU_DEP_2)
	v_add_co_u32 v2, vcc_lo, v2, v145
	v_add_co_ci_u32_e32 v3, vcc_lo, 0, v3, vcc_lo
	global_load_b128 v[2:5], v[2:3], off
	s_waitcnt vmcnt(0)
	ds_store_b128 v1, v[2:5]
.LBB112_10:
	s_or_b32 exec_lo, exec_lo, s6
	v_and_b32_e32 v1, 0xef, v0
	s_waitcnt lgkmcnt(0)
	s_add_i32 s3, s30, 15
	s_clause 0x1
	s_load_b32 s6, s[0:1], 0x38
	s_load_b32 s35, s[0:1], 0x98
	s_ashr_i32 s7, s3, 31
	v_add_nc_u32_e32 v1, s31, v1
	s_lshr_b32 s7, s7, 28
	s_load_b32 s36, s[0:1], 0x1c
	s_add_i32 s3, s3, s7
	s_waitcnt lgkmcnt(0)
	v_ashrrev_i32_e32 v2, 31, v1
	v_or_b32_e32 v3, 16, v1
	s_ashr_i32 s3, s3, 4
	v_cmp_gt_i32_e32 vcc_lo, s30, v1
	s_add_i32 s3, s3, -1
	v_lshrrev_b32_e32 v2, 28, v2
	s_barrier
	buffer_gl0_inv
	v_add_nc_u32_e32 v4, v1, v2
	s_mul_i32 s6, s34, s6
	s_delay_alu instid0(SALU_CYCLE_1) | instskip(NEXT) | instid1(VALU_DEP_1)
	s_ashr_i32 s7, s6, 31
	v_ashrrev_i32_e32 v4, 4, v4
	v_add_nc_u32_e32 v2, v3, v2
	s_lshl_b64 s[6:7], s[6:7], 2
	s_delay_alu instid0(SALU_CYCLE_1) | instskip(NEXT) | instid1(VALU_DEP_2)
	s_add_u32 s16, s4, s6
	v_cndmask_b32_e32 v1, s3, v4, vcc_lo
	s_delay_alu instid0(VALU_DEP_2) | instskip(SKIP_3) | instid1(SALU_CYCLE_1)
	v_ashrrev_i32_e32 v2, 4, v2
	v_cmp_gt_i32_e32 vcc_lo, s30, v3
	s_addc_u32 s37, s5, s7
	s_mul_i32 s4, s15, s18
	s_ashr_i32 s5, s4, 31
	v_cndmask_b32_e32 v3, s3, v2, vcc_lo
	v_ashrrev_i32_e32 v2, 31, v1
	s_lshl_b64 s[12:13], s[4:5], 1
	s_delay_alu instid0(SALU_CYCLE_1) | instskip(NEXT) | instid1(VALU_DEP_2)
	s_add_u32 s26, s20, s12
	v_ashrrev_i32_e32 v4, 31, v3
	s_delay_alu instid0(VALU_DEP_2) | instskip(SKIP_2) | instid1(VALU_DEP_2)
	v_lshlrev_b64 v[1:2], 2, v[1:2]
	s_addc_u32 s27, s21, s13
	s_lshl_b32 s4, s14, 4
	v_lshlrev_b64 v[3:4], 2, v[3:4]
	s_ashr_i32 s5, s4, 31
	s_delay_alu instid0(VALU_DEP_2) | instskip(SKIP_1) | instid1(VALU_DEP_3)
	v_add_co_u32 v1, vcc_lo, s16, v1
	v_add_co_ci_u32_e32 v2, vcc_lo, s37, v2, vcc_lo
	v_add_co_u32 v3, vcc_lo, s16, v3
	s_delay_alu instid0(VALU_DEP_4)
	v_add_co_ci_u32_e32 v4, vcc_lo, s37, v4, vcc_lo
	s_clause 0x1
	global_load_b32 v5, v[1:2], off
	global_load_b32 v6, v[3:4], off
	s_lshl_b64 s[4:5], s[4:5], 2
	v_lshlrev_b32_e32 v3, 4, v0
	s_add_u32 s4, s16, s4
	s_addc_u32 s5, s37, s5
	s_or_b32 s6, s31, 16
	s_delay_alu instid0(SALU_CYCLE_1) | instskip(SKIP_2) | instid1(SALU_CYCLE_1)
	s_ashr_i32 s7, s6, 4
	s_cmp_lt_i32 s6, s30
	s_cselect_b32 s6, s7, s3
	s_ashr_i32 s7, s6, 31
	s_delay_alu instid0(SALU_CYCLE_1) | instskip(NEXT) | instid1(SALU_CYCLE_1)
	s_lshl_b64 s[6:7], s[6:7], 2
	s_add_u32 s6, s16, s6
	s_addc_u32 s7, s37, s7
	s_or_b32 s8, s31, 32
	s_delay_alu instid0(SALU_CYCLE_1) | instskip(SKIP_2) | instid1(SALU_CYCLE_1)
	s_ashr_i32 s9, s8, 4
	s_cmp_lt_i32 s8, s30
	s_cselect_b32 s8, s9, s3
	s_ashr_i32 s9, s8, 31
	s_delay_alu instid0(SALU_CYCLE_1) | instskip(NEXT) | instid1(SALU_CYCLE_1)
	s_lshl_b64 s[8:9], s[8:9], 2
	s_add_u32 s8, s16, s8
	s_addc_u32 s9, s37, s9
	s_or_b32 s10, s31, 48
	s_delay_alu instid0(SALU_CYCLE_1) | instskip(SKIP_2) | instid1(SALU_CYCLE_1)
	s_ashr_i32 s11, s10, 4
	s_cmp_lt_i32 s10, s30
	s_cselect_b32 s10, s11, s3
	s_ashr_i32 s11, s10, 31
	s_delay_alu instid0(SALU_CYCLE_1) | instskip(NEXT) | instid1(SALU_CYCLE_1)
	s_lshl_b64 s[10:11], s[10:11], 2
	s_add_u32 s10, s16, s10
	s_addc_u32 s11, s37, s11
	s_or_b32 s15, s31, 64
	s_delay_alu instid0(SALU_CYCLE_1) | instskip(SKIP_2) | instid1(SALU_CYCLE_1)
	s_ashr_i32 s18, s15, 4
	s_cmp_lt_i32 s15, s30
	s_cselect_b32 s18, s18, s3
	s_ashr_i32 s19, s18, 31
	s_delay_alu instid0(SALU_CYCLE_1) | instskip(NEXT) | instid1(SALU_CYCLE_1)
	s_lshl_b64 s[18:19], s[18:19], 2
	s_add_u32 s20, s16, s18
	s_addc_u32 s21, s37, s19
	s_or_b32 s15, s31, 0x50
	s_delay_alu instid0(SALU_CYCLE_1) | instskip(SKIP_2) | instid1(SALU_CYCLE_1)
	s_ashr_i32 s18, s15, 4
	s_cmp_lt_i32 s15, s30
	s_cselect_b32 s18, s18, s3
	s_ashr_i32 s19, s18, 31
	s_delay_alu instid0(SALU_CYCLE_1) | instskip(NEXT) | instid1(SALU_CYCLE_1)
	s_lshl_b64 s[18:19], s[18:19], 2
	s_add_u32 s24, s16, s18
	s_addc_u32 s25, s37, s19
	s_clause 0x5
	s_load_b32 s38, s[4:5], 0x0
	s_load_b32 s29, s[6:7], 0x0
	;; [unrolled: 1-line block ×6, first 2 shown]
	s_waitcnt vmcnt(1)
	v_mad_i64_i32 v[1:2], null, v5, s17, 0
	v_and_b32_e32 v5, 0xf0, v3
	s_waitcnt vmcnt(0)
	v_mad_i64_i32 v[3:4], null, v6, s17, 0
	s_delay_alu instid0(VALU_DEP_2) | instskip(NEXT) | instid1(VALU_DEP_4)
	v_add_co_u32 v7, s4, s26, v5
	v_lshlrev_b64 v[1:2], 1, v[1:2]
	v_add_co_ci_u32_e64 v8, null, s27, 0, s4
	s_delay_alu instid0(VALU_DEP_4) | instskip(SKIP_1) | instid1(VALU_DEP_3)
	v_lshlrev_b64 v[5:6], 1, v[3:4]
	s_or_b32 s4, s31, 0x60
	v_add_co_u32 v3, vcc_lo, v7, v1
	s_delay_alu instid0(VALU_DEP_3) | instskip(NEXT) | instid1(VALU_DEP_3)
	v_add_co_ci_u32_e32 v4, vcc_lo, v8, v2, vcc_lo
	v_add_co_u32 v1, vcc_lo, v7, v5
	s_delay_alu instid0(VALU_DEP_4)
	v_add_co_ci_u32_e32 v2, vcc_lo, v8, v6, vcc_lo
	s_clause 0x9
	global_load_b128 v[9:12], v[3:4], off
	global_load_b128 v[13:16], v[3:4], off offset:256
	global_load_b128 v[129:132], v[1:2], off
	global_load_b128 v[133:136], v[1:2], off offset:256
	global_load_b128 v[41:44], v[3:4], off offset:512
	;; [unrolled: 1-line block ×7, first 2 shown]
	v_mul_lo_u16 v5, 0x56, v148
	s_clause 0x1
	global_load_b128 v[151:154], v[1:2], off offset:1024
	global_load_b128 v[155:158], v[1:2], off offset:1280
	s_ashr_i32 s5, s4, 4
	s_cmp_lt_i32 s4, s30
	v_lshlrev_b32_e32 v6, 5, v148
	v_lshrrev_b16 v5, 8, v5
	s_cselect_b32 s4, s5, s3
	s_delay_alu instid0(SALU_CYCLE_1) | instskip(NEXT) | instid1(VALU_DEP_2)
	s_ashr_i32 s5, s4, 31
	v_lshl_or_b32 v6, v149, 9, v6
	s_delay_alu instid0(VALU_DEP_2) | instskip(SKIP_1) | instid1(SALU_CYCLE_1)
	v_mul_lo_u16 v5, v5, 3
	s_lshl_b64 s[4:5], s[4:5], 2
	s_add_u32 s20, s16, s4
	s_addc_u32 s21, s37, s5
	s_delay_alu instid0(VALU_DEP_1) | instskip(SKIP_1) | instid1(SALU_CYCLE_1)
	v_sub_nc_u16 v5, v148, v5
	s_or_b32 s4, s31, 0x70
	s_ashr_i32 s5, s4, 4
	s_cmp_lt_i32 s4, s30
	s_delay_alu instid0(VALU_DEP_1) | instskip(SKIP_1) | instid1(SALU_CYCLE_1)
	v_and_b32_e32 v5, 0xff, v5
	s_cselect_b32 s4, s5, s3
	s_ashr_i32 s5, s4, 31
	s_delay_alu instid0(VALU_DEP_1)
	v_lshlrev_b32_e32 v197, 6, v5
	ds_load_b128 v[159:162], v197
	ds_load_b128 v[163:166], v197 offset:1024
	s_clause 0x3
	global_load_b128 v[167:170], v[3:4], off offset:1536
	global_load_b128 v[171:174], v[3:4], off offset:1792
	;; [unrolled: 1-line block ×4, first 2 shown]
	s_lshl_b64 s[6:7], s[4:5], 2
	s_mov_b32 s4, 0
	s_add_u32 s24, s16, s6
	s_addc_u32 s25, s37, s7
	s_or_b32 s5, s31, 0x80
	s_mov_b32 s11, s4
	s_ashr_i32 s6, s5, 4
	s_cmp_lt_i32 s5, s30
	s_mov_b32 s5, s4
	s_cselect_b32 s8, s6, s3
	s_mov_b32 s6, s4
	s_ashr_i32 s9, s8, 31
	s_mov_b32 s7, s4
	s_lshl_b64 s[8:9], s[8:9], 2
	s_clause 0x1
	s_load_b32 s45, s[20:21], 0x0
	s_load_b32 s46, s[24:25], 0x0
	s_add_u32 s26, s16, s8
	s_addc_u32 s27, s37, s9
	s_or_b32 s9, s31, 0x90
	s_mov_b32 s8, s4
	s_ashr_i32 s10, s9, 4
	s_cmp_lt_i32 s9, s30
	s_mov_b32 s9, s4
	s_cselect_b32 s40, s10, s3
	s_mov_b32 s10, s4
	s_ashr_i32 s41, s40, 31
	v_mov_b32_e32 v144, s11
	s_lshl_b64 s[40:41], s[40:41], 2
	v_mov_b32_e32 v143, s10
	s_add_u32 s40, s16, s40
	s_addc_u32 s41, s37, s41
	s_or_b32 s39, s31, 0xa0
	s_load_b32 s41, s[40:41], 0x0
	s_ashr_i32 s42, s39, 4
	s_cmp_lt_i32 s39, s30
	v_mov_b32_e32 v142, s9
	s_cselect_b32 s42, s42, s3
	v_mov_b32_e32 v141, s8
	s_ashr_i32 s43, s42, 31
	v_dual_mov_b32 v140, s7 :: v_dual_mov_b32 v139, s6
	v_dual_mov_b32 v138, s5 :: v_dual_mov_b32 v137, s4
	s_lshl_b64 s[4:5], s[42:43], 2
	s_waitcnt lgkmcnt(0)
	s_mul_hi_i32 s7, s29, s17
	s_add_u32 s42, s16, s4
	s_addc_u32 s43, s37, s5
	s_or_b32 s4, s31, 0xb0
	s_mul_hi_i32 s5, s38, s17
	s_ashr_i32 s6, s4, 4
	s_cmp_lt_i32 s4, s30
	s_mul_i32 s4, s38, s17
	s_cselect_b32 s8, s6, s3
	s_mul_i32 s6, s29, s17
	s_ashr_i32 s9, s8, 31
	s_load_b32 s40, s[42:43], 0x0
	s_lshl_b64 s[8:9], s[8:9], 2
	s_mul_hi_i32 s21, s15, s17
	s_add_u32 s38, s16, s8
	s_addc_u32 s39, s37, s9
	s_or_b32 s8, s31, 0xc0
	s_mul_hi_i32 s9, s28, s17
	s_ashr_i32 s10, s8, 4
	s_cmp_lt_i32 s8, s30
	s_mul_i32 s8, s28, s17
	s_cselect_b32 s28, s10, s3
	s_mul_hi_i32 s11, s19, s17
	s_ashr_i32 s29, s28, 31
	s_mul_i32 s10, s19, s17
	s_lshl_b64 s[28:29], s[28:29], 2
	s_mul_hi_i32 s19, s18, s17
	s_add_u32 s28, s16, s28
	s_addc_u32 s29, s37, s29
	s_or_b32 s44, s31, 0xd0
	s_mul_i32 s18, s18, s17
	s_ashr_i32 s20, s44, 4
	s_cmp_lt_i32 s44, s30
	s_load_b32 s44, s[26:27], 0x0
	s_cselect_b32 s24, s20, s3
	s_mul_i32 s20, s15, s17
	s_ashr_i32 s25, s24, 31
	s_mul_hi_i32 s27, s46, s17
	s_lshl_b64 s[24:25], s[24:25], 2
	s_mul_i32 s26, s46, s17
	s_add_u32 s24, s16, s24
	s_addc_u32 s25, s37, s25
	s_or_b32 s42, s31, 0xe0
	s_clause 0x2
	s_load_b32 s39, s[38:39], 0x0
	s_load_b32 s38, s[28:29], 0x0
	;; [unrolled: 1-line block ×3, first 2 shown]
	s_ashr_i32 s47, s42, 4
	s_cmp_lt_i32 s42, s30
	s_mul_hi_i32 s25, s45, s17
	s_mul_i32 s24, s45, s17
	s_mul_hi_i32 s43, s41, s17
	s_mul_i32 s42, s41, s17
	s_waitcnt lgkmcnt(0)
	s_mul_hi_i32 s41, s40, s17
	s_mul_i32 s40, s40, s17
	s_mul_hi_i32 s29, s44, s17
	s_mul_i32 s28, s44, s17
	s_cselect_b32 s44, s47, s3
	s_delay_alu instid0(SALU_CYCLE_1) | instskip(NEXT) | instid1(SALU_CYCLE_1)
	s_ashr_i32 s45, s44, 31
	s_lshl_b64 s[44:45], s[44:45], 2
	s_delay_alu instid0(SALU_CYCLE_1)
	s_add_u32 s44, s16, s44
	s_addc_u32 s45, s37, s45
	s_or_b32 s46, s31, 0xf0
	s_mul_hi_i32 s51, s15, s17
	s_ashr_i32 s48, s46, 4
	s_cmp_lt_i32 s46, s30
	s_mul_i32 s50, s15, s17
	s_cselect_b32 s48, s48, s3
	s_mul_hi_i32 s47, s39, s17
	s_ashr_i32 s49, s48, 31
	s_mul_i32 s46, s39, s17
	s_lshl_b64 s[48:49], s[48:49], 2
	s_mul_hi_i32 s39, s38, s17
	s_add_u32 s48, s16, s48
	s_addc_u32 s49, s37, s49
	s_add_u32 s3, s22, s12
	s_addc_u32 s15, s23, s13
	v_add_co_u32 v195, s3, s3, v6
	s_delay_alu instid0(VALU_DEP_1) | instskip(SKIP_2) | instid1(VALU_DEP_2)
	v_add_co_ci_u32_e64 v196, null, s15, 0, s3
	s_lshl_b64 s[4:5], s[4:5], 1
	s_lshl_b64 s[6:7], s[6:7], 1
	v_add_co_u32 v1, vcc_lo, v195, s4
	s_delay_alu instid0(VALU_DEP_2)
	v_add_co_ci_u32_e32 v2, vcc_lo, s5, v196, vcc_lo
	v_add_co_u32 v3, vcc_lo, v195, s6
	s_lshl_b64 s[8:9], s[8:9], 1
	v_add_co_ci_u32_e32 v4, vcc_lo, s7, v196, vcc_lo
	v_add_co_u32 v5, vcc_lo, v195, s8
	s_lshl_b64 s[10:11], s[10:11], 1
	;; [unrolled: 3-line block ×10, first 2 shown]
	s_mul_i32 s38, s38, s17
	v_add_co_ci_u32_e32 v184, vcc_lo, s29, v196, vcc_lo
	v_add_co_u32 v185, vcc_lo, v195, s40
	s_lshl_b64 s[38:39], s[38:39], 1
	s_clause 0x1
	s_load_b32 s3, s[44:45], 0x0
	s_load_b32 s15, s[48:49], 0x0
	v_add_co_ci_u32_e32 v186, vcc_lo, s41, v196, vcc_lo
	v_add_co_u32 v191, vcc_lo, v195, s38
	v_add_co_ci_u32_e32 v192, vcc_lo, s39, v196, vcc_lo
	s_clause 0x17
	global_load_b128 v[121:124], v[1:2], off
	global_load_b128 v[125:128], v[1:2], off offset:16
	global_load_b128 v[113:116], v[3:4], off
	global_load_b128 v[117:120], v[3:4], off offset:16
	;; [unrolled: 2-line block ×12, first 2 shown]
	s_lshl_b64 s[42:43], s[50:51], 1
	s_delay_alu instid0(SALU_CYCLE_1)
	v_add_co_u32 v193, vcc_lo, v195, s42
	v_add_co_ci_u32_e32 v194, vcc_lo, s43, v196, vcc_lo
	s_waitcnt lgkmcnt(0)
	s_mul_hi_i32 s5, s3, s17
	s_mul_i32 s4, s3, s17
	s_mul_hi_i32 s7, s15, s17
	s_lshl_b64 s[4:5], s[4:5], 1
	s_mul_i32 s6, s15, s17
	s_waitcnt vmcnt(38)
	v_wmma_f32_16x16x16_f16 v[183:190], v[9:16], v[159:166], v[137:144]
	s_waitcnt vmcnt(36)
	v_wmma_f32_16x16x16_f16 v[137:144], v[129:136], v[159:166], v[137:144]
	s_clause 0x1
	global_load_b128 v[9:12], v[191:192], off
	global_load_b128 v[13:16], v[191:192], off offset:16
	ds_load_b128 v[129:132], v197 offset:2048
	ds_load_b128 v[133:136], v197 offset:3072
	;; [unrolled: 1-line block ×4, first 2 shown]
	v_add_co_u32 v191, vcc_lo, v195, s4
	v_add_co_ci_u32_e32 v192, vcc_lo, s5, v196, vcc_lo
	s_lshl_b64 s[4:5], s[6:7], 1
	s_delay_alu instid0(SALU_CYCLE_1)
	v_add_co_u32 v195, vcc_lo, v195, s4
	v_add_co_ci_u32_e32 v196, vcc_lo, s5, v196, vcc_lo
	s_waitcnt vmcnt(36) lgkmcnt(2)
	v_wmma_f32_16x16x16_f16 v[183:190], v[41:48], v[129:136], v[183:190]
	s_waitcnt vmcnt(34)
	v_wmma_f32_16x16x16_f16 v[137:144], v[33:40], v[129:136], v[137:144]
	s_clause 0x3
	global_load_b128 v[33:36], v[193:194], off
	global_load_b128 v[37:40], v[193:194], off offset:16
	global_load_b128 v[41:44], v[191:192], off
	global_load_b128 v[45:48], v[191:192], off offset:16
	v_and_b32_e32 v129, 0xe0, v0
	v_mbcnt_lo_u32_b32 v191, -1, 0
	s_waitcnt vmcnt(36) lgkmcnt(0)
	v_wmma_f32_16x16x16_f16 v[183:190], v[17:24], v[159:166], v[183:190]
	s_clause 0x1
	global_load_b128 v[17:20], v[195:196], off
	global_load_b128 v[21:24], v[195:196], off offset:16
	s_waitcnt vmcnt(36)
	v_wmma_f32_16x16x16_f16 v[137:144], v[151:158], v[159:166], v[137:144]
	v_add_nc_u32_e32 v192, s31, v129
	ds_load_b128 v[129:132], v197 offset:6144
	ds_load_b128 v[133:136], v197 offset:7168
	v_xor_b32_e32 v151, 16, v191
	s_waitcnt vmcnt(0) lgkmcnt(0)
	s_barrier
	v_or_b32_e32 v152, v192, v146
	buffer_gl0_inv
	v_cmp_gt_i32_e32 vcc_lo, 32, v151
	v_or_b32_e32 v153, 2, v152
	v_or_b32_e32 v154, 4, v152
	;; [unrolled: 1-line block ×5, first 2 shown]
	v_cmp_gt_i32_e64 s3, s30, v153
	v_cmp_gt_i32_e64 s4, s30, v154
	;; [unrolled: 1-line block ×3, first 2 shown]
	v_or_b32_e32 v158, 12, v152
	v_or_b32_e32 v159, 14, v152
	v_cmp_gt_i32_e64 s6, s30, v156
	v_wmma_f32_16x16x16_f16 v[183:190], v[167:174], v[129:136], v[183:190]
	v_wmma_f32_16x16x16_f16 v[137:144], v[175:182], v[129:136], v[137:144]
	v_cndmask_b32_e32 v151, v191, v151, vcc_lo
	v_cmp_gt_i32_e32 vcc_lo, s30, v152
	v_cmp_gt_i32_e64 s7, s30, v157
	v_dual_mul_f32 v135, s36, v184 :: v_dual_mul_f32 v136, s36, v183
	v_mul_f32_e32 v134, s36, v185
	v_dual_mul_f32 v168, s36, v144 :: v_dual_mul_f32 v133, s36, v186
	s_delay_alu instid0(VALU_DEP_3) | instskip(NEXT) | instid1(VALU_DEP_4)
	v_cndmask_b32_e64 v135, 0xff7fffff, v135, s3
	v_cndmask_b32_e32 v136, 0xff7fffff, v136, vcc_lo
	v_dual_mul_f32 v131, s36, v188 :: v_dual_mul_f32 v174, s36, v138
	v_mul_f32_e32 v132, s36, v187
	v_cndmask_b32_e64 v134, 0xff7fffff, v134, s4
	v_cndmask_b32_e64 v133, 0xff7fffff, v133, s5
	v_max3_f32 v135, v136, 0xff7fffff, v135
	v_or_b32_e32 v160, 16, v152
	v_or_b32_e32 v161, 18, v152
	v_dual_mul_f32 v129, s36, v190 :: v_dual_mul_f32 v172, s36, v140
	v_mul_f32_e32 v130, s36, v189
	v_cndmask_b32_e64 v132, 0xff7fffff, v132, s6
	v_cndmask_b32_e64 v131, 0xff7fffff, v131, s7
	v_max3_f32 v133, v135, v134, v133
	v_cmp_gt_i32_e64 s8, s30, v158
	v_cmp_gt_i32_e64 s9, s30, v159
	v_or_b32_e32 v162, 20, v152
	v_or_b32_e32 v163, 22, v152
	v_mul_f32_e32 v175, s36, v137
	v_cndmask_b32_e64 v130, 0xff7fffff, v130, s8
	v_cndmask_b32_e64 v129, 0xff7fffff, v129, s9
	v_max3_f32 v131, v133, v132, v131
	v_cmp_gt_i32_e64 s10, s30, v160
	v_cmp_gt_i32_e64 s11, s30, v161
	v_or_b32_e32 v164, 24, v152
	v_or_b32_e32 v165, 26, v152
	;; [unrolled: 8-line block ×3, first 2 shown]
	v_dual_mul_f32 v170, s36, v142 :: v_dual_mul_f32 v171, s36, v141
	v_cndmask_b32_e64 v130, 0xff7fffff, v173, s12
	v_cndmask_b32_e64 v131, 0xff7fffff, v172, s13
	v_max3_f32 v129, v129, v132, v133
	v_cmp_gt_i32_e64 s15, s30, v164
	v_cmp_gt_i32_e64 s16, s30, v165
	v_mul_f32_e32 v169, s36, v143
	v_cmp_gt_i32_e64 s17, s30, v166
	v_max3_f32 v129, v129, v130, v131
	v_cndmask_b32_e64 v132, 0xff7fffff, v171, s15
	v_cndmask_b32_e64 v133, 0xff7fffff, v170, s16
	v_cmp_gt_i32_e64 s18, s30, v167
	v_cndmask_b32_e64 v130, 0xff7fffff, v169, s17
	s_delay_alu instid0(VALU_DEP_3) | instskip(NEXT) | instid1(VALU_DEP_3)
	v_max3_f32 v129, v129, v132, v133
	v_cndmask_b32_e64 v131, 0xff7fffff, v168, s18
	v_lshlrev_b32_e32 v132, 2, v151
	s_delay_alu instid0(VALU_DEP_2) | instskip(SKIP_3) | instid1(VALU_DEP_1)
	v_max3_f32 v129, v129, v130, v131
	ds_bpermute_b32 v130, v132, v129
	s_waitcnt lgkmcnt(0)
	v_max_f32_e32 v130, v130, v130
	v_max_f32_e32 v129, v129, v130
	s_delay_alu instid0(VALU_DEP_1)
	v_fma_f32 v134, s36, v186, -v129
	v_fma_f32 v130, s36, v183, -v129
	;; [unrolled: 1-line block ×5, first 2 shown]
	v_mul_f32_e32 v134, 0x3fb8aa3b, v134
	s_delay_alu instid0(VALU_DEP_4) | instskip(SKIP_1) | instid1(VALU_DEP_4)
	v_dual_mul_f32 v130, 0x3fb8aa3b, v130 :: v_dual_mul_f32 v131, 0x3fb8aa3b, v131
	v_fma_f32 v135, s36, v187, -v129
	v_mul_f32_e32 v136, 0x3fb8aa3b, v136
	s_delay_alu instid0(VALU_DEP_4) | instskip(NEXT) | instid1(VALU_DEP_3)
	v_exp_f32_e32 v134, v134
	v_exp_f32_e32 v130, v130
	;; [unrolled: 1-line block ×3, first 2 shown]
	v_mul_f32_e32 v135, 0x3fb8aa3b, v135
	v_exp_f32_e32 v136, v136
	s_delay_alu instid0(VALU_DEP_1) | instskip(SKIP_4) | instid1(TRANS32_DEP_3)
	v_exp_f32_e32 v135, v135
	v_cndmask_b32_e64 v153, 0, v134, s5
	v_fma_f32 v134, s36, v137, -v129
	v_dual_mul_f32 v133, 0x3fb8aa3b, v133 :: v_dual_cndmask_b32 v152, 0, v130
	v_fma_f32 v130, s36, v188, -v129
	v_cndmask_b32_e64 v151, 0, v131, s3
	s_delay_alu instid0(VALU_DEP_4) | instskip(NEXT) | instid1(VALU_DEP_4)
	v_mul_f32_e32 v134, 0x3fb8aa3b, v134
	v_exp_f32_e32 v133, v133
	s_delay_alu instid0(VALU_DEP_3) | instskip(SKIP_3) | instid1(VALU_DEP_4)
	v_dual_add_f32 v131, 0, v152 :: v_dual_mul_f32 v130, 0x3fb8aa3b, v130
	v_cndmask_b32_e64 v156, 0, v136, s8
	v_fma_f32 v136, s36, v140, -v129
	v_cndmask_b32_e64 v155, 0, v135, s6
	v_add_f32_e32 v131, v131, v151
	v_exp_f32_e32 v130, v130
	v_fma_f32 v135, s36, v138, -v129
	v_mul_f32_e32 v136, 0x3fb8aa3b, v136
	s_delay_alu instid0(TRANS32_DEP_2)
	v_cndmask_b32_e64 v154, 0, v133, s4
	v_fma_f32 v133, s36, v190, -v129
	v_exp_f32_e32 v134, v134
	v_cmp_gt_u32_e64 s3, 16, v150
	v_exp_f32_e32 v136, v136
	v_add_f32_e32 v131, v131, v154
	s_delay_alu instid0(TRANS32_DEP_3) | instskip(NEXT) | instid1(VALU_DEP_2)
	v_cndmask_b32_e64 v138, 0, v130, s7
	v_add_f32_e32 v131, v131, v153
	s_delay_alu instid0(VALU_DEP_1) | instskip(NEXT) | instid1(VALU_DEP_1)
	v_dual_mul_f32 v133, 0x3fb8aa3b, v133 :: v_dual_add_f32 v130, v131, v155
	v_exp_f32_e32 v133, v133
	v_fma_f32 v131, s36, v139, -v129
	s_delay_alu instid0(VALU_DEP_2) | instskip(NEXT) | instid1(VALU_DEP_1)
	v_add_f32_e32 v130, v130, v138
	v_add_f32_e32 v130, v130, v156
	s_waitcnt_depctr 0xfff
	v_cndmask_b32_e64 v139, 0, v133, s9
	v_fma_f32 v133, s36, v141, -v129
	v_cndmask_b32_e64 v141, 0, v134, s10
	v_fma_f32 v134, s36, v142, -v129
	v_cndmask_b32_e64 v142, 0, v136, s13
	v_add_f32_e32 v130, v130, v139
	s_delay_alu instid0(VALU_DEP_3) | instskip(NEXT) | instid1(VALU_DEP_2)
	v_dual_mul_f32 v135, 0x3fb8aa3b, v135 :: v_dual_mul_f32 v134, 0x3fb8aa3b, v134
	v_add_f32_e32 v130, v130, v141
	s_delay_alu instid0(VALU_DEP_2) | instskip(NEXT) | instid1(VALU_DEP_2)
	v_exp_f32_e32 v135, v135
	v_exp_f32_e32 v134, v134
	s_waitcnt_depctr 0xfff
	v_cndmask_b32_e64 v140, 0, v135, s11
	v_mul_f32_e32 v131, 0x3fb8aa3b, v131
	v_fma_f32 v135, s36, v143, -v129
	s_delay_alu instid0(VALU_DEP_3) | instskip(NEXT) | instid1(VALU_DEP_3)
	v_add_f32_e32 v130, v130, v140
	v_exp_f32_e32 v131, v131
	s_waitcnt_depctr 0xfff
	v_cndmask_b32_e64 v143, 0, v131, s12
	s_delay_alu instid0(VALU_DEP_1) | instskip(NEXT) | instid1(VALU_DEP_1)
	v_dual_mul_f32 v133, 0x3fb8aa3b, v133 :: v_dual_add_f32 v130, v130, v143
	v_exp_f32_e32 v133, v133
	v_mul_f32_e32 v131, 0x3fb8aa3b, v135
	v_fma_f32 v135, s36, v144, -v129
	v_cndmask_b32_e64 v144, 0, v134, s16
	v_add_f32_e32 v130, v130, v142
	s_delay_alu instid0(VALU_DEP_4) | instskip(SKIP_2) | instid1(VALU_DEP_1)
	v_exp_f32_e32 v131, v131
	s_waitcnt_depctr 0xfff
	v_cndmask_b32_e64 v157, 0, v133, s15
	v_dual_mul_f32 v133, 0x3fb8aa3b, v135 :: v_dual_add_f32 v130, v130, v157
	s_delay_alu instid0(VALU_DEP_1) | instskip(SKIP_1) | instid1(VALU_DEP_2)
	v_exp_f32_e32 v133, v133
	v_cndmask_b32_e64 v159, 0, v131, s17
	v_add_f32_e32 v130, v130, v144
	s_delay_alu instid0(VALU_DEP_1) | instskip(SKIP_2) | instid1(VALU_DEP_1)
	v_add_f32_e32 v130, v130, v159
	s_waitcnt_depctr 0xfff
	v_cndmask_b32_e64 v158, 0, v133, s18
	v_add_f32_e32 v130, v130, v158
	ds_bpermute_b32 v131, v132, v130
	s_and_saveexec_b32 s4, s3
	s_cbranch_execz .LBB112_12
; %bb.11:
	v_mul_u32_u24_e32 v132, 0x44, v149
	s_delay_alu instid0(VALU_DEP_1) | instskip(SKIP_1) | instid1(VALU_DEP_1)
	v_lshl_add_u32 v132, v148, 2, v132
	s_waitcnt lgkmcnt(0)
	v_dual_add_f32 v130, v130, v131 :: v_dual_add_nc_u32 v131, 0x4000, v132
	ds_store_2addr_b32 v131, v129, v130 offset1:136
.LBB112_12:
	s_or_b32 exec_lo, exec_lo, s4
	v_lshlrev_b32_e32 v129, 2, v148
	s_load_b32 s36, s[0:1], 0x94
	s_waitcnt lgkmcnt(0)
	s_barrier
	buffer_gl0_inv
	v_add_nc_u32_e32 v135, 0x4000, v129
	v_cmp_eq_u32_e32 vcc_lo, 1, v149
	v_cmp_eq_u32_e64 s4, 2, v149
	v_cmp_eq_u32_e64 s5, 3, v149
	;; [unrolled: 1-line block ×3, first 2 shown]
	ds_load_2addr_b32 v[129:130], v135 offset1:17
	ds_load_2addr_b32 v[131:132], v135 offset0:34 offset1:51
	ds_load_2addr_b32 v[133:134], v135 offset0:68 offset1:85
	;; [unrolled: 1-line block ×3, first 2 shown]
	v_cmp_eq_u32_e64 s7, 5, v149
	v_cmp_eq_u32_e64 s8, 7, v149
	s_waitcnt lgkmcnt(3)
	v_max3_f32 v136, v129, 0xff7fffff, v130
	s_waitcnt lgkmcnt(2)
	s_delay_alu instid0(VALU_DEP_1) | instskip(SKIP_1) | instid1(VALU_DEP_1)
	v_max3_f32 v136, v136, v131, v132
	s_waitcnt lgkmcnt(1)
	v_max3_f32 v136, v136, v133, v134
	s_waitcnt lgkmcnt(0)
	s_delay_alu instid0(VALU_DEP_1) | instskip(NEXT) | instid1(VALU_DEP_1)
	v_max3_f32 v136, v136, v160, v161
	v_sub_f32_e32 v164, v132, v136
	ds_load_2addr_b32 v[162:163], v135 offset0:136 offset1:153
	v_sub_f32_e32 v129, v129, v136
	v_sub_f32_e32 v137, v130, v136
	;; [unrolled: 1-line block ×3, first 2 shown]
	v_mul_f32_e32 v164, 0x3fb8aa3b, v164
	s_delay_alu instid0(VALU_DEP_4) | instskip(NEXT) | instid1(VALU_DEP_4)
	v_mul_f32_e32 v150, 0x3fb8aa3b, v129
	v_mul_f32_e32 v137, 0x3fb8aa3b, v137
	ds_load_2addr_b32 v[129:130], v135 offset0:170 offset1:187
	v_mul_f32_e32 v167, 0x3fb8aa3b, v133
	v_exp_f32_e32 v164, v164
	v_exp_f32_e32 v150, v150
	;; [unrolled: 1-line block ×3, first 2 shown]
	v_sub_f32_e32 v131, v131, v136
	s_delay_alu instid0(VALU_DEP_1)
	v_mul_f32_e32 v165, 0x3fb8aa3b, v131
	ds_load_2addr_b32 v[131:132], v135 offset0:204 offset1:221
	s_waitcnt lgkmcnt(2)
	v_fma_f32 v137, v150, v162, 0
	v_sub_f32_e32 v162, v134, v136
	v_exp_f32_e32 v165, v165
	ds_load_2addr_b32 v[133:134], v135 offset0:238 offset1:255
	v_sub_f32_e32 v135, v160, v136
	v_dual_fmac_f32 v137, v166, v163 :: v_dual_mul_f32 v160, 0x3fb8aa3b, v162
	v_exp_f32_e32 v162, v167
	s_waitcnt lgkmcnt(0)
	s_delay_alu instid0(VALU_DEP_2)
	v_mul_f32_e32 v135, 0x3fb8aa3b, v135
	s_barrier
	v_exp_f32_e32 v160, v160
	v_fmac_f32_e32 v137, v165, v129
	v_sub_f32_e32 v129, v161, v136
	v_exp_f32_e32 v161, v135
	buffer_gl0_inv
	v_fmac_f32_e32 v137, v164, v130
	v_dual_mul_f32 v129, 0x3fb8aa3b, v129 :: v_dual_cndmask_b32 v130, v150, v166
	s_delay_alu instid0(VALU_DEP_2) | instskip(NEXT) | instid1(VALU_DEP_2)
	v_fmac_f32_e32 v137, v162, v131
	v_exp_f32_e32 v163, v129
	s_delay_alu instid0(VALU_DEP_1) | instskip(NEXT) | instid1(VALU_DEP_1)
	v_fmac_f32_e32 v137, v160, v132
	v_fmac_f32_e32 v137, v161, v133
	v_lshlrev_b32_e32 v133, 6, v148
	s_waitcnt_depctr 0xfff
	v_fmac_f32_e32 v137, v163, v134
	v_lshl_or_b32 v135, v149, 11, v133
	s_delay_alu instid0(VALU_DEP_2) | instskip(NEXT) | instid1(VALU_DEP_1)
	v_add_f32_e32 v134, 0x358637bd, v137
	v_div_scale_f32 v167, null, v134, v134, 1.0
	v_div_scale_f32 v150, vcc_lo, 1.0, v134, 1.0
	s_delay_alu instid0(VALU_DEP_2) | instskip(SKIP_2) | instid1(VALU_DEP_1)
	v_rcp_f32_e32 v168, v167
	s_waitcnt_depctr 0xfff
	v_fma_f32 v129, -v167, v168, 1.0
	v_fmac_f32_e32 v168, v129, v168
	v_cndmask_b32_e64 v129, v130, v165, s4
	v_cmp_eq_u32_e64 s4, 6, v149
	s_delay_alu instid0(VALU_DEP_3) | instskip(NEXT) | instid1(VALU_DEP_3)
	v_mul_f32_e32 v165, v150, v168
	v_cndmask_b32_e64 v130, v129, v164, s5
	v_lshlrev_b32_e32 v129, 2, v146
	s_delay_alu instid0(VALU_DEP_3) | instskip(NEXT) | instid1(VALU_DEP_3)
	v_fma_f32 v131, -v167, v165, v150
	v_cndmask_b32_e64 v162, v130, v162, s6
	s_delay_alu instid0(VALU_DEP_3)
	v_or_b32_e32 v130, 1, v129
	v_or_b32_e32 v132, 2, v129
	v_cmp_eq_u32_e64 s5, 1, v129
	v_fmac_f32_e32 v165, v131, v168
	v_cndmask_b32_e64 v149, v162, v160, s7
	v_or_b32_e32 v131, 3, v129
	v_cmp_eq_u32_e64 s10, 1, v130
	v_cmp_eq_u32_e64 s11, 1, v132
	v_fma_f32 v150, -v167, v165, v150
	v_cndmask_b32_e64 v149, v149, v161, s4
	v_cmp_eq_u32_e64 s12, 1, v131
	v_cmp_eq_u32_e64 s6, 2, v129
	;; [unrolled: 1-line block ×3, first 2 shown]
	v_div_fmas_f32 v150, v150, v168, v165
	v_cndmask_b32_e64 v149, v149, v163, s8
	v_cmp_eq_u32_e64 s16, 2, v132
	v_cmp_eq_u32_e64 s17, 2, v131
	v_cmp_eq_u32_e32 vcc_lo, 3, v129
	v_div_fixup_f32 v150, v150, v134, 1.0
	v_lshl_or_b32 v134, v146, 4, v135
	v_cmp_eq_u32_e64 s15, 3, v130
	v_cmp_eq_u32_e64 s19, 3, v131
	;; [unrolled: 1-line block ×3, first 2 shown]
	v_mul_f32_e32 v149, v149, v150
	v_cmp_eq_u32_e64 s18, 3, v132
	v_cmp_eq_u32_e64 s20, 4, v130
	;; [unrolled: 1-line block ×4, first 2 shown]
	v_fma_mixlo_f16 v160, v149, v152, 0
	v_fma_mixlo_f16 v161, v149, v154, 0
	;; [unrolled: 1-line block ×8, first 2 shown]
	v_fma_mixhi_f16 v160, v149, v151, 0
	v_fma_mixhi_f16 v161, v149, v153, 0
	;; [unrolled: 1-line block ×8, first 2 shown]
	ds_store_b128 v134, v[160:163]
	ds_store_b128 v134, v[154:157] offset:1024
	s_waitcnt lgkmcnt(0)
	s_barrier
	buffer_gl0_inv
	ds_load_b128 v[138:141], v135
	ds_load_b128 v[149:152], v135 offset:16
	ds_load_b128 v[153:156], v135 offset:1024
	;; [unrolled: 1-line block ×3, first 2 shown]
	v_cmp_eq_u32_e64 s21, 5, v130
	v_cmp_eq_u32_e64 s22, 4, v132
	;; [unrolled: 1-line block ×12, first 2 shown]
	s_waitcnt lgkmcnt(3)
	v_lshrrev_b32_e32 v142, 16, v138
	s_waitcnt lgkmcnt(2)
	v_lshrrev_b32_e32 v162, 16, v149
	;; [unrolled: 2-line block ×4, first 2 shown]
	v_lshrrev_b32_e32 v143, 16, v139
	v_cndmask_b32_e64 v174, v138, v142, s5
	v_cndmask_b32_e64 v175, v149, v162, s5
	;; [unrolled: 1-line block ×7, first 2 shown]
	v_lshrrev_b32_e32 v163, 16, v150
	v_cndmask_b32_e64 v179, v149, v162, s11
	v_cndmask_b32_e64 v149, v153, v166, s5
	;; [unrolled: 1-line block ×16, first 2 shown]
	v_lshrrev_b32_e32 v167, 16, v154
	v_lshrrev_b32_e32 v171, 16, v158
	v_cndmask_b32_e64 v177, v179, v150, s16
	v_cndmask_b32_e64 v142, v149, v154, s6
	;; [unrolled: 1-line block ×7, first 2 shown]
	v_cndmask_b32_e32 v157, v166, v143, vcc_lo
	v_cndmask_b32_e32 v166, v170, v163, vcc_lo
	v_cndmask_b32_e64 v170, v174, v143, s15
	v_cndmask_b32_e64 v174, v175, v163, s15
	;; [unrolled: 1-line block ×4, first 2 shown]
	v_lshrrev_b32_e32 v144, 16, v140
	v_lshrrev_b32_e32 v164, 16, v151
	v_cndmask_b32_e64 v175, v176, v143, s18
	v_cndmask_b32_e64 v176, v177, v163, s18
	v_cndmask_b32_e32 v142, v142, v167, vcc_lo
	v_cndmask_b32_e32 v143, v149, v171, vcc_lo
	v_cndmask_b32_e64 v149, v150, v167, s15
	v_cndmask_b32_e64 v150, v157, v140, s4
	;; [unrolled: 1-line block ×7, first 2 shown]
	v_lshrrev_b32_e32 v168, 16, v155
	v_cndmask_b32_e64 v170, v175, v140, s22
	v_cndmask_b32_e64 v174, v176, v151, s22
	;; [unrolled: 1-line block ×11, first 2 shown]
	v_lshrrev_b32_e32 v161, 16, v141
	v_lshrrev_b32_e32 v165, 16, v152
	v_cndmask_b32_e64 v163, v170, v144, s24
	v_cndmask_b32_e64 v166, v174, v164, s24
	;; [unrolled: 1-line block ×9, first 2 shown]
	v_lshrrev_b32_e32 v169, 16, v156
	v_cndmask_b32_e64 v140, v140, v168, s7
	v_cndmask_b32_e64 v157, v163, v141, s27
	v_cndmask_b32_e64 v163, v166, v152, s27
	v_cndmask_b32_e64 v141, v143, v156, s26
	v_cndmask_b32_e64 v143, v144, v161, s9
	v_cndmask_b32_e64 v144, v149, v165, s9
	v_cndmask_b32_e64 v149, v150, v161, s31
	v_cndmask_b32_e64 v138, v138, v161, s30
	v_cndmask_b32_e64 v139, v139, v165, s30
	v_cndmask_b32_e64 v151, v151, v165, s31
	v_cndmask_b32_e64 v140, v140, v156, s8
	v_cndmask_b32_e64 v150, v157, v161, s29
	v_cndmask_b32_e64 v152, v163, v165, s29
	v_cndmask_b32_e64 v161, v141, v169, s31
	v_perm_b32 v141, v139, v138, 0x5040100
	v_perm_b32 v139, v151, v149, 0x5040100
	v_cndmask_b32_e64 v138, v183, v158, s16
	v_cndmask_b32_e64 v149, v181, v158, s13
	;; [unrolled: 1-line block ×3, first 2 shown]
	v_perm_b32 v140, v152, v150, 0x5040100
	v_cndmask_b32_e64 v150, v162, v167, s18
	v_cndmask_b32_e64 v151, v153, v167, s19
	;; [unrolled: 1-line block ×5, first 2 shown]
	v_lshrrev_b32_e32 v172, 16, v159
	v_cndmask_b32_e64 v150, v150, v155, s22
	v_cndmask_b32_e64 v151, v151, v155, s23
	;; [unrolled: 1-line block ×11, first 2 shown]
	v_lshrrev_b32_e32 v173, 16, v160
	v_cndmask_b32_e64 v142, v142, v160, s8
	v_cndmask_b32_e64 v150, v150, v156, s27
	;; [unrolled: 1-line block ×12, first 2 shown]
	v_perm_b32 v138, v144, v143, 0x5040100
	v_perm_b32 v152, v152, v151, 0x5040100
	;; [unrolled: 1-line block ×5, first 2 shown]
	s_mul_i32 s8, s35, 3
	s_mov_b32 s4, exec_lo
	ds_store_b128 v134, v[138:141]
	ds_store_b128 v134, v[149:152] offset:1024
	v_cmpx_gt_u32_e32 3, v0
	s_cbranch_execz .LBB112_14
; %bb.13:
	s_mul_i32 s5, s8, s34
	s_load_b128 s[16:19], s[0:1], 0x58
	v_add3_u32 v140, s5, s33, v148
	s_delay_alu instid0(VALU_DEP_1) | instskip(NEXT) | instid1(VALU_DEP_1)
	v_mad_u64_u32 v[138:139], null, v140, s36, s[14:15]
	v_ashrrev_i32_e32 v139, 31, v138
	s_delay_alu instid0(VALU_DEP_1) | instskip(SKIP_1) | instid1(VALU_DEP_1)
	v_lshlrev_b64 v[138:139], 2, v[138:139]
	s_waitcnt lgkmcnt(0)
	v_add_co_u32 v140, vcc_lo, s18, v138
	s_delay_alu instid0(VALU_DEP_2)
	v_add_co_ci_u32_e32 v141, vcc_lo, s19, v139, vcc_lo
	v_add_co_u32 v138, vcc_lo, s16, v138
	v_add_co_ci_u32_e32 v139, vcc_lo, s17, v139, vcc_lo
	global_store_b32 v[140:141], v136, off
	global_store_b32 v[138:139], v137, off
.LBB112_14:
	s_or_b32 exec_lo, exec_lo, s4
	s_waitcnt lgkmcnt(0)
	s_waitcnt_vscnt null, 0x0
	s_barrier
	buffer_gl0_inv
	ds_load_b128 v[148:151], v133
	ds_load_b128 v[152:155], v133 offset:16
	ds_load_b128 v[160:163], v133 offset:1040
	ds_load_b128 v[156:159], v133 offset:1024
	ds_load_b128 v[168:171], v133 offset:2064
	ds_load_b128 v[164:167], v133 offset:2048
	v_cmp_eq_u32_e32 vcc_lo, 1, v132
	v_mov_b32_e32 v136, 0
	ds_load_b128 v[176:179], v133 offset:3088
	ds_load_b128 v[172:175], v133 offset:3072
	;; [unrolled: 1-line block ×4, first 2 shown]
	v_cmp_eq_u32_e64 s4, 1, v129
	v_cmp_eq_u32_e64 s5, 1, v131
	v_cmp_eq_u32_e64 s6, 1, v130
	v_mov_b32_e32 v137, v136
	v_mov_b32_e32 v138, v136
	;; [unrolled: 1-line block ×7, first 2 shown]
	v_cmp_eq_u32_e64 s7, 2, v129
	s_waitcnt lgkmcnt(8)
	s_delay_alu instid0(VALU_DEP_2)
	v_wmma_f32_16x16x16_f16 v[136:143], v[121:128], v[148:155], v[136:143]
	ds_load_b128 v[125:128], v133 offset:5136
	ds_load_b128 v[121:124], v133 offset:5120
	s_waitcnt lgkmcnt(8)
	v_wmma_f32_16x16x16_f16 v[136:143], v[113:120], v[156:163], v[136:143]
	ds_load_b128 v[117:120], v133 offset:6160
	ds_load_b128 v[113:116], v133 offset:6144
	s_waitcnt lgkmcnt(8)
	;; [unrolled: 4-line block ×11, first 2 shown]
	s_barrier
	buffer_gl0_inv
	v_wmma_f32_16x16x16_f16 v[136:143], v[1:8], v[73:80], v[136:143]
	s_delay_alu instid0(VALU_DEP_1) | instskip(NEXT) | instid1(VALU_DEP_1)
	v_wmma_f32_16x16x16_f16 v[136:143], v[9:16], v[65:72], v[136:143]
	v_wmma_f32_16x16x16_f16 v[136:143], v[33:40], v[57:64], v[136:143]
	s_delay_alu instid0(VALU_DEP_1) | instskip(NEXT) | instid1(VALU_DEP_1)
	v_wmma_f32_16x16x16_f16 v[136:143], v[41:48], v[49:56], v[136:143]
	v_wmma_f32_16x16x16_f16 v[136:143], v[17:24], v[25:32], v[136:143]
	s_delay_alu instid0(VALU_DEP_1) | instskip(NEXT) | instid1(VALU_DEP_2)
	v_cvt_f16_f32_e64 v1, v136
	v_cvt_f16_f32_e64 v2, v137
	s_delay_alu instid0(VALU_DEP_3) | instskip(NEXT) | instid1(VALU_DEP_4)
	v_cvt_f16_f32_e64 v3, v138
	v_cvt_f16_f32_e64 v4, v139
	;; [unrolled: 1-line block ×6, first 2 shown]
	v_pack_b32_f16 v1, v1, v2
	v_pack_b32_f16 v2, v3, v4
	;; [unrolled: 1-line block ×3, first 2 shown]
	s_delay_alu instid0(VALU_DEP_4)
	v_pack_b32_f16 v4, v7, v8
	ds_store_b128 v134, v[1:4]
	s_waitcnt lgkmcnt(0)
	s_barrier
	buffer_gl0_inv
	ds_load_b128 v[1:4], v135
	ds_load_b128 v[5:8], v135 offset:16
	s_waitcnt lgkmcnt(1)
	v_lshrrev_b32_e32 v9, 16, v1
	s_waitcnt lgkmcnt(0)
	v_lshrrev_b32_e32 v13, 16, v5
	v_lshrrev_b32_e32 v10, 16, v2
	;; [unrolled: 1-line block ×4, first 2 shown]
	v_cndmask_b32_e64 v17, v1, v9, s4
	v_cndmask_b32_e64 v18, v5, v13, s4
	;; [unrolled: 1-line block ×3, first 2 shown]
	v_cmp_eq_u32_e64 s4, 2, v130
	v_cndmask_b32_e64 v20, v5, v13, s6
	v_cndmask_b32_e32 v21, v1, v9, vcc_lo
	v_cndmask_b32_e32 v22, v5, v13, vcc_lo
	v_cndmask_b32_e64 v1, v1, v9, s5
	v_cndmask_b32_e64 v5, v5, v13, s5
	v_cmp_eq_u32_e32 vcc_lo, 2, v132
	v_cmp_eq_u32_e64 s5, 2, v131
	v_cndmask_b32_e64 v9, v17, v2, s7
	v_cndmask_b32_e64 v13, v18, v6, s7
	;; [unrolled: 1-line block ×4, first 2 shown]
	v_cndmask_b32_e32 v19, v21, v2, vcc_lo
	v_cmp_eq_u32_e64 s4, 3, v132
	v_cndmask_b32_e32 v20, v22, v6, vcc_lo
	v_cndmask_b32_e64 v1, v1, v2, s5
	v_cmp_eq_u32_e32 vcc_lo, 3, v131
	v_cmp_eq_u32_e64 s6, 3, v129
	v_cndmask_b32_e64 v2, v5, v6, s5
	v_cmp_eq_u32_e64 s5, 3, v130
	v_cmp_eq_u32_e64 s7, 4, v129
	v_cndmask_b32_e32 v1, v1, v10, vcc_lo
	v_cndmask_b32_e64 v5, v9, v10, s6
	v_cndmask_b32_e64 v6, v13, v14, s6
	;; [unrolled: 1-line block ×3, first 2 shown]
	v_cmp_eq_u32_e64 s6, 4, v130
	v_cndmask_b32_e64 v13, v18, v14, s5
	v_cndmask_b32_e64 v17, v19, v10, s4
	;; [unrolled: 1-line block ×3, first 2 shown]
	v_cndmask_b32_e32 v2, v2, v14, vcc_lo
	v_cmp_eq_u32_e32 vcc_lo, 4, v132
	v_cmp_eq_u32_e64 s5, 4, v131
	v_lshrrev_b32_e32 v15, 16, v7
	v_cndmask_b32_e64 v5, v5, v3, s7
	v_cndmask_b32_e64 v6, v6, v7, s7
	v_cndmask_b32_e32 v14, v18, v7, vcc_lo
	v_cndmask_b32_e64 v9, v9, v3, s6
	v_cndmask_b32_e64 v10, v13, v7, s6
	v_cndmask_b32_e32 v13, v17, v3, vcc_lo
	v_cmp_eq_u32_e64 s4, 5, v132
	v_cndmask_b32_e64 v1, v1, v3, s5
	v_cmp_eq_u32_e32 vcc_lo, 5, v131
	v_cmp_eq_u32_e64 s6, 5, v129
	v_cndmask_b32_e64 v2, v2, v7, s5
	v_cmp_eq_u32_e64 s5, 5, v130
	v_cmp_eq_u32_e64 s7, 6, v129
	v_lshrrev_b32_e32 v12, 16, v4
	v_cndmask_b32_e64 v3, v5, v11, s6
	v_cndmask_b32_e64 v5, v6, v15, s6
	;; [unrolled: 1-line block ×3, first 2 shown]
	v_cmp_eq_u32_e64 s6, 6, v130
	v_cndmask_b32_e64 v7, v10, v15, s5
	v_cndmask_b32_e64 v9, v13, v11, s4
	;; [unrolled: 1-line block ×3, first 2 shown]
	v_cndmask_b32_e32 v1, v1, v11, vcc_lo
	v_cndmask_b32_e32 v2, v2, v15, vcc_lo
	v_cmp_eq_u32_e32 vcc_lo, 6, v132
	v_cmp_eq_u32_e64 s4, 6, v131
	v_lshrrev_b32_e32 v16, 16, v8
	v_cndmask_b32_e64 v3, v3, v4, s7
	v_cndmask_b32_e64 v5, v5, v8, s7
	v_cndmask_b32_e32 v9, v9, v4, vcc_lo
	v_cndmask_b32_e64 v6, v6, v4, s6
	v_cndmask_b32_e64 v7, v7, v8, s6
	v_cmp_eq_u32_e64 s5, 7, v132
	v_cndmask_b32_e32 v10, v10, v8, vcc_lo
	v_cndmask_b32_e64 v1, v1, v4, s4
	v_cmp_eq_u32_e32 vcc_lo, 7, v131
	v_cndmask_b32_e64 v2, v2, v8, s4
	v_cmp_eq_u32_e64 s4, 7, v129
	v_cmp_eq_u32_e64 s6, 7, v130
	v_cndmask_b32_e32 v1, v1, v12, vcc_lo
	s_delay_alu instid0(VALU_DEP_4) | instskip(NEXT) | instid1(VALU_DEP_4)
	v_cndmask_b32_e32 v2, v2, v16, vcc_lo
	v_cndmask_b32_e64 v8, v3, v12, s4
	s_delay_alu instid0(VALU_DEP_4)
	v_cndmask_b32_e64 v6, v6, v12, s6
	v_cndmask_b32_e64 v3, v9, v12, s5
	;; [unrolled: 1-line block ×5, first 2 shown]
	v_cmp_gt_u32_e32 vcc_lo, 32, v0
	v_perm_b32 v4, v2, v1, 0x5040100
	v_perm_b32 v3, v9, v3, 0x5040100
	;; [unrolled: 1-line block ×4, first 2 shown]
	s_and_b32 s2, vcc_lo, s2
	ds_store_b128 v134, v[1:4]
	s_waitcnt lgkmcnt(0)
	s_barrier
	buffer_gl0_inv
	s_and_saveexec_b32 s4, s2
	s_cbranch_execz .LBB112_2
; %bb.15:
	s_load_b64 s[4:5], s[0:1], 0x68
	v_lshlrev_b32_e32 v0, 10, v0
	v_lshlrev_b32_e32 v2, 4, v147
	v_add_nc_u32_e32 v1, s33, v146
	s_lshl_b32 s0, s36, 6
	s_delay_alu instid0(SALU_CYCLE_1) | instskip(NEXT) | instid1(VALU_DEP_2)
	s_mul_i32 s1, s0, s34
	v_and_or_b32 v0, 0x3800, v0, v2
	s_mul_i32 s6, s1, s8
	v_mul_lo_u32 v1, v1, s0
	s_ashr_i32 s7, s6, 31
	s_delay_alu instid0(VALU_DEP_2) | instskip(SKIP_1) | instid1(VALU_DEP_2)
	v_lshl_or_b32 v3, v146, 6, v0
	s_lshl_b64 s[6:7], s[6:7], 1
	v_ashrrev_i32_e32 v2, 31, v1
	ds_load_b128 v[3:6], v3
	s_waitcnt lgkmcnt(0)
	s_add_u32 s1, s4, s6
	s_addc_u32 s2, s5, s7
	s_lshl_b32 s4, s14, 6
	v_lshlrev_b64 v[7:8], 1, v[1:2]
	s_ashr_i32 s5, s4, 31
	s_delay_alu instid0(SALU_CYCLE_1) | instskip(NEXT) | instid1(SALU_CYCLE_1)
	s_lshl_b64 s[4:5], s[4:5], 1
	s_add_u32 s1, s1, s4
	s_addc_u32 s2, s2, s5
	v_add_co_u32 v1, s1, s1, v145
	s_delay_alu instid0(VALU_DEP_1) | instskip(NEXT) | instid1(VALU_DEP_2)
	v_add_co_ci_u32_e64 v2, null, s2, 0, s1
	v_add_co_u32 v7, vcc_lo, v1, v7
	s_delay_alu instid0(VALU_DEP_2)
	v_add_co_ci_u32_e32 v8, vcc_lo, v2, v8, vcc_lo
	global_store_b128 v[7:8], v[3:6], off
	s_and_b32 exec_lo, exec_lo, s3
	s_cbranch_execz .LBB112_2
; %bb.16:
	ds_load_b128 v[3:6], v0 offset:128
	s_add_i32 s1, s33, 2
	s_delay_alu instid0(SALU_CYCLE_1) | instskip(NEXT) | instid1(SALU_CYCLE_1)
	s_mul_i32 s0, s1, s0
	s_ashr_i32 s1, s0, 31
	s_delay_alu instid0(SALU_CYCLE_1) | instskip(NEXT) | instid1(SALU_CYCLE_1)
	s_lshl_b64 s[0:1], s[0:1], 1
	v_add_co_u32 v0, vcc_lo, v1, s0
	v_add_co_ci_u32_e32 v1, vcc_lo, s1, v2, vcc_lo
	s_waitcnt lgkmcnt(0)
	global_store_b128 v[0:1], v[3:6], off
	s_nop 0
	s_sendmsg sendmsg(MSG_DEALLOC_VGPRS)
	s_endpgm
	.section	.rodata,"a",@progbits
	.p2align	6, 0x0
	.amdhsa_kernel _Z39paged_attention_ll4mi_QKV_mfma16_kernelIDF16_DF16_LN4vllm18Fp8KVCacheDataTypeE0EDF16_Li16ELi64ELi256ELb0ELi3EL8MFMAType0EEvPKT_PKT0_S8_ifPKiSA_SA_iPKfiiiPfSD_PS3_PT2_iSC_SC_
		.amdhsa_group_segment_fixed_size 17472
		.amdhsa_private_segment_fixed_size 0
		.amdhsa_kernarg_size 400
		.amdhsa_user_sgpr_count 13
		.amdhsa_user_sgpr_dispatch_ptr 0
		.amdhsa_user_sgpr_queue_ptr 0
		.amdhsa_user_sgpr_kernarg_segment_ptr 1
		.amdhsa_user_sgpr_dispatch_id 0
		.amdhsa_user_sgpr_private_segment_size 0
		.amdhsa_wavefront_size32 1
		.amdhsa_uses_dynamic_stack 0
		.amdhsa_enable_private_segment 0
		.amdhsa_system_sgpr_workgroup_id_x 1
		.amdhsa_system_sgpr_workgroup_id_y 1
		.amdhsa_system_sgpr_workgroup_id_z 1
		.amdhsa_system_sgpr_workgroup_info 0
		.amdhsa_system_vgpr_workitem_id 0
		.amdhsa_next_free_vgpr 198
		.amdhsa_next_free_sgpr 52
		.amdhsa_reserve_vcc 1
		.amdhsa_float_round_mode_32 0
		.amdhsa_float_round_mode_16_64 0
		.amdhsa_float_denorm_mode_32 3
		.amdhsa_float_denorm_mode_16_64 3
		.amdhsa_dx10_clamp 1
		.amdhsa_ieee_mode 1
		.amdhsa_fp16_overflow 0
		.amdhsa_workgroup_processor_mode 1
		.amdhsa_memory_ordered 1
		.amdhsa_forward_progress 0
		.amdhsa_shared_vgpr_count 0
		.amdhsa_exception_fp_ieee_invalid_op 0
		.amdhsa_exception_fp_denorm_src 0
		.amdhsa_exception_fp_ieee_div_zero 0
		.amdhsa_exception_fp_ieee_overflow 0
		.amdhsa_exception_fp_ieee_underflow 0
		.amdhsa_exception_fp_ieee_inexact 0
		.amdhsa_exception_int_div_zero 0
	.end_amdhsa_kernel
	.section	.text._Z39paged_attention_ll4mi_QKV_mfma16_kernelIDF16_DF16_LN4vllm18Fp8KVCacheDataTypeE0EDF16_Li16ELi64ELi256ELb0ELi3EL8MFMAType0EEvPKT_PKT0_S8_ifPKiSA_SA_iPKfiiiPfSD_PS3_PT2_iSC_SC_,"axG",@progbits,_Z39paged_attention_ll4mi_QKV_mfma16_kernelIDF16_DF16_LN4vllm18Fp8KVCacheDataTypeE0EDF16_Li16ELi64ELi256ELb0ELi3EL8MFMAType0EEvPKT_PKT0_S8_ifPKiSA_SA_iPKfiiiPfSD_PS3_PT2_iSC_SC_,comdat
.Lfunc_end112:
	.size	_Z39paged_attention_ll4mi_QKV_mfma16_kernelIDF16_DF16_LN4vllm18Fp8KVCacheDataTypeE0EDF16_Li16ELi64ELi256ELb0ELi3EL8MFMAType0EEvPKT_PKT0_S8_ifPKiSA_SA_iPKfiiiPfSD_PS3_PT2_iSC_SC_, .Lfunc_end112-_Z39paged_attention_ll4mi_QKV_mfma16_kernelIDF16_DF16_LN4vllm18Fp8KVCacheDataTypeE0EDF16_Li16ELi64ELi256ELb0ELi3EL8MFMAType0EEvPKT_PKT0_S8_ifPKiSA_SA_iPKfiiiPfSD_PS3_PT2_iSC_SC_
                                        ; -- End function
	.section	.AMDGPU.csdata,"",@progbits
; Kernel info:
; codeLenInByte = 7776
; NumSgprs: 54
; NumVgprs: 198
; ScratchSize: 0
; MemoryBound: 0
; FloatMode: 240
; IeeeMode: 1
; LDSByteSize: 17472 bytes/workgroup (compile time only)
; SGPRBlocks: 6
; VGPRBlocks: 24
; NumSGPRsForWavesPerEU: 54
; NumVGPRsForWavesPerEU: 198
; Occupancy: 7
; WaveLimiterHint : 1
; COMPUTE_PGM_RSRC2:SCRATCH_EN: 0
; COMPUTE_PGM_RSRC2:USER_SGPR: 13
; COMPUTE_PGM_RSRC2:TRAP_HANDLER: 0
; COMPUTE_PGM_RSRC2:TGID_X_EN: 1
; COMPUTE_PGM_RSRC2:TGID_Y_EN: 1
; COMPUTE_PGM_RSRC2:TGID_Z_EN: 1
; COMPUTE_PGM_RSRC2:TIDIG_COMP_CNT: 0
	.section	.text._Z39paged_attention_ll4mi_QKV_mfma16_kernelIDF16_DF16_LN4vllm18Fp8KVCacheDataTypeE0EDF16_Li16ELi64ELi256ELb0ELi4EL8MFMAType0EEvPKT_PKT0_S8_ifPKiSA_SA_iPKfiiiPfSD_PS3_PT2_iSC_SC_,"axG",@progbits,_Z39paged_attention_ll4mi_QKV_mfma16_kernelIDF16_DF16_LN4vllm18Fp8KVCacheDataTypeE0EDF16_Li16ELi64ELi256ELb0ELi4EL8MFMAType0EEvPKT_PKT0_S8_ifPKiSA_SA_iPKfiiiPfSD_PS3_PT2_iSC_SC_,comdat
	.protected	_Z39paged_attention_ll4mi_QKV_mfma16_kernelIDF16_DF16_LN4vllm18Fp8KVCacheDataTypeE0EDF16_Li16ELi64ELi256ELb0ELi4EL8MFMAType0EEvPKT_PKT0_S8_ifPKiSA_SA_iPKfiiiPfSD_PS3_PT2_iSC_SC_ ; -- Begin function _Z39paged_attention_ll4mi_QKV_mfma16_kernelIDF16_DF16_LN4vllm18Fp8KVCacheDataTypeE0EDF16_Li16ELi64ELi256ELb0ELi4EL8MFMAType0EEvPKT_PKT0_S8_ifPKiSA_SA_iPKfiiiPfSD_PS3_PT2_iSC_SC_
	.globl	_Z39paged_attention_ll4mi_QKV_mfma16_kernelIDF16_DF16_LN4vllm18Fp8KVCacheDataTypeE0EDF16_Li16ELi64ELi256ELb0ELi4EL8MFMAType0EEvPKT_PKT0_S8_ifPKiSA_SA_iPKfiiiPfSD_PS3_PT2_iSC_SC_
	.p2align	8
	.type	_Z39paged_attention_ll4mi_QKV_mfma16_kernelIDF16_DF16_LN4vllm18Fp8KVCacheDataTypeE0EDF16_Li16ELi64ELi256ELb0ELi4EL8MFMAType0EEvPKT_PKT0_S8_ifPKiSA_SA_iPKfiiiPfSD_PS3_PT2_iSC_SC_,@function
_Z39paged_attention_ll4mi_QKV_mfma16_kernelIDF16_DF16_LN4vllm18Fp8KVCacheDataTypeE0EDF16_Li16ELi64ELi256ELb0ELi4EL8MFMAType0EEvPKT_PKT0_S8_ifPKiSA_SA_iPKfiiiPfSD_PS3_PT2_iSC_SC_: ; @_Z39paged_attention_ll4mi_QKV_mfma16_kernelIDF16_DF16_LN4vllm18Fp8KVCacheDataTypeE0EDF16_Li16ELi64ELi256ELb0ELi4EL8MFMAType0EEvPKT_PKT0_S8_ifPKiSA_SA_iPKfiiiPfSD_PS3_PT2_iSC_SC_
; %bb.0:
	s_load_b64 s[2:3], s[0:1], 0x30
	s_mov_b32 s34, s13
	s_waitcnt lgkmcnt(0)
	s_cmp_lg_u64 s[2:3], 0
	s_cselect_b32 s6, -1, 0
	s_ashr_i32 s35, s13, 31
	s_cmp_eq_u64 s[2:3], 0
	s_cbranch_scc1 .LBB113_3
; %bb.1:
	s_lshl_b64 s[4:5], s[34:35], 2
	s_delay_alu instid0(SALU_CYCLE_1) | instskip(SKIP_4) | instid1(SALU_CYCLE_1)
	s_add_u32 s4, s2, s4
	s_addc_u32 s5, s3, s5
	s_load_b64 s[4:5], s[4:5], 0x0
	s_waitcnt lgkmcnt(0)
	s_sub_i32 s4, s5, s4
	s_cmp_eq_u32 s4, 1
	s_cselect_b32 s4, -1, 0
	s_delay_alu instid0(SALU_CYCLE_1)
	s_and_not1_b32 vcc_lo, exec_lo, s4
	s_cbranch_vccz .LBB113_4
.LBB113_2:
	s_endpgm
.LBB113_3:
.LBB113_4:
	s_load_b64 s[8:9], s[0:1], 0x28
	s_lshl_b64 s[4:5], s[34:35], 2
	s_waitcnt lgkmcnt(0)
	s_add_u32 s8, s8, s4
	s_addc_u32 s9, s9, s5
	s_lshl_b32 s35, s14, 8
	s_load_b32 s30, s[8:9], 0x0
	s_waitcnt lgkmcnt(0)
	s_cmp_ge_i32 s35, s30
	s_cbranch_scc1 .LBB113_2
; %bb.5:
	s_clause 0x1
	s_load_b128 s[8:11], s[0:1], 0x8
	s_load_b64 s[12:13], s[0:1], 0x20
	s_and_not1_b32 vcc_lo, exec_lo, s6
	s_cbranch_vccnz .LBB113_7
; %bb.6:
	s_add_u32 s2, s2, s4
	s_addc_u32 s3, s3, s5
	s_load_b32 s3, s[2:3], 0x0
	s_branch .LBB113_8
.LBB113_7:
	s_mov_b32 s3, s34
.LBB113_8:
	s_load_b128 s[4:7], s[0:1], 0x48
	v_and_b32_e32 v149, 15, v0
	v_cmp_gt_u32_e32 vcc_lo, 64, v0
	v_lshrrev_b32_e32 v148, 5, v0
	v_and_b32_e32 v150, 31, v0
	v_and_b32_e32 v146, 1, v0
	v_lshlrev_b32_e32 v1, 3, v149
	v_cmp_gt_u32_e64 s2, 8, v149
	v_bfe_u32 v147, v0, 4, 1
	s_lshl_b32 s31, s15, 2
	s_delay_alu instid0(VALU_DEP_3) | instskip(NEXT) | instid1(VALU_DEP_3)
	v_lshlrev_b32_e32 v145, 1, v1
	s_and_b32 s16, vcc_lo, s2
	s_waitcnt lgkmcnt(0)
	s_and_saveexec_b32 s7, s16
	s_cbranch_execz .LBB113_10
; %bb.9:
	v_lshl_or_b32 v5, v148, 1, v147
	s_load_b64 s[16:17], s[0:1], 0x0
	s_mul_hi_i32 s19, s3, s4
	s_mul_i32 s18, s3, s4
	v_lshlrev_b32_e32 v6, 10, v149
	v_or_b32_e32 v1, s31, v5
	s_lshl_b64 s[18:19], s[18:19], 1
	v_lshlrev_b32_e32 v5, 6, v5
	v_lshlrev_b32_e32 v7, 10, v146
	v_and_b32_e32 v6, 0x3800, v6
	v_lshlrev_b32_e32 v1, 6, v1
	s_delay_alu instid0(VALU_DEP_2) | instskip(NEXT) | instid1(VALU_DEP_2)
	v_or3_b32 v5, v6, v7, v5
	v_ashrrev_i32_e32 v2, 31, v1
	s_delay_alu instid0(VALU_DEP_1) | instskip(SKIP_3) | instid1(VALU_DEP_1)
	v_lshlrev_b64 v[1:2], 1, v[1:2]
	s_waitcnt lgkmcnt(0)
	s_add_u32 s3, s16, s18
	s_addc_u32 s4, s17, s19
	v_add_co_u32 v1, vcc_lo, s3, v1
	s_delay_alu instid0(VALU_DEP_2) | instskip(NEXT) | instid1(VALU_DEP_2)
	v_add_co_ci_u32_e32 v2, vcc_lo, s4, v2, vcc_lo
	v_add_co_u32 v1, vcc_lo, v1, v145
	s_delay_alu instid0(VALU_DEP_2)
	v_add_co_ci_u32_e32 v2, vcc_lo, 0, v2, vcc_lo
	global_load_b128 v[1:4], v[1:2], off
	s_waitcnt vmcnt(0)
	ds_store_b128 v5, v[1:4]
.LBB113_10:
	s_or_b32 exec_lo, exec_lo, s7
	s_mov_b32 s40, 0
	s_add_i32 s3, s30, 15
	s_mov_b32 s41, s40
	s_mov_b32 s42, s40
	;; [unrolled: 1-line block ×7, first 2 shown]
	s_delay_alu instid0(SALU_CYCLE_1)
	v_dual_mov_b32 v136, s47 :: v_dual_and_b32 v1, 0xef, v0
	v_mov_b32_e32 v134, s45
	s_clause 0x1
	s_load_b32 s4, s[0:1], 0x38
	s_load_b32 s33, s[0:1], 0x98
	v_add_nc_u32_e32 v1, s35, v1
	s_ashr_i32 s7, s3, 31
	s_load_b32 s36, s[0:1], 0x1c
	s_lshr_b32 s7, s7, 28
	s_waitcnt lgkmcnt(0)
	v_ashrrev_i32_e32 v2, 31, v1
	s_add_i32 s3, s3, s7
	v_cmp_gt_i32_e32 vcc_lo, s30, v1
	v_mov_b32_e32 v135, s46
	s_ashr_i32 s3, s3, 4
	v_lshrrev_b32_e32 v3, 28, v2
	v_or_b32_e32 v2, 16, v1
	s_add_i32 s3, s3, -1
	v_mov_b32_e32 v132, s43
	s_barrier
	v_add_nc_u32_e32 v4, v1, v3
	v_add_nc_u32_e32 v3, v2, v3
	buffer_gl0_inv
	s_mul_i32 s16, s34, s4
	s_mul_i32 s6, s15, s6
	v_ashrrev_i32_e32 v4, 4, v4
	v_ashrrev_i32_e32 v3, 4, v3
	s_ashr_i32 s17, s16, 31
	v_mov_b32_e32 v133, s44
	s_lshl_b64 s[16:17], s[16:17], 2
	v_cndmask_b32_e32 v1, s3, v4, vcc_lo
	v_cmp_gt_i32_e32 vcc_lo, s30, v2
	s_add_u32 s4, s12, s16
	s_addc_u32 s37, s13, s17
	s_ashr_i32 s7, s6, 31
	v_ashrrev_i32_e32 v2, 31, v1
	v_cndmask_b32_e32 v3, s3, v3, vcc_lo
	s_lshl_b64 s[6:7], s[6:7], 1
	v_mov_b32_e32 v131, s42
	s_add_u32 s24, s8, s6
	v_lshlrev_b64 v[1:2], 2, v[1:2]
	v_ashrrev_i32_e32 v4, 31, v3
	s_addc_u32 s25, s9, s7
	s_lshl_b32 s8, s14, 4
	v_mov_b32_e32 v129, s40
	s_ashr_i32 s9, s8, 31
	v_lshlrev_b64 v[3:4], 2, v[3:4]
	v_add_co_u32 v1, vcc_lo, s4, v1
	v_add_co_ci_u32_e32 v2, vcc_lo, s37, v2, vcc_lo
	s_lshl_b64 s[8:9], s[8:9], 2
	s_delay_alu instid0(VALU_DEP_3) | instskip(NEXT) | instid1(VALU_DEP_4)
	v_add_co_u32 v3, vcc_lo, s4, v3
	v_add_co_ci_u32_e32 v4, vcc_lo, s37, v4, vcc_lo
	s_clause 0x1
	global_load_b32 v5, v[1:2], off
	global_load_b32 v6, v[3:4], off
	s_add_u32 s8, s4, s8
	s_addc_u32 s9, s37, s9
	s_or_b32 s12, s35, 16
	v_dual_mov_b32 v130, s41 :: v_dual_lshlrev_b32 v3, 4, v0
	s_ashr_i32 s13, s12, 4
	s_cmp_lt_i32 s12, s30
	s_cselect_b32 s12, s13, s3
	s_delay_alu instid0(SALU_CYCLE_1) | instskip(NEXT) | instid1(SALU_CYCLE_1)
	s_ashr_i32 s13, s12, 31
	s_lshl_b64 s[12:13], s[12:13], 2
	s_delay_alu instid0(SALU_CYCLE_1) | instskip(SKIP_2) | instid1(SALU_CYCLE_1)
	s_add_u32 s12, s4, s12
	s_addc_u32 s13, s37, s13
	s_or_b32 s15, s35, 32
	s_ashr_i32 s16, s15, 4
	s_cmp_lt_i32 s15, s30
	s_cselect_b32 s16, s16, s3
	s_delay_alu instid0(SALU_CYCLE_1) | instskip(NEXT) | instid1(SALU_CYCLE_1)
	s_ashr_i32 s17, s16, 31
	s_lshl_b64 s[16:17], s[16:17], 2
	s_delay_alu instid0(SALU_CYCLE_1) | instskip(SKIP_2) | instid1(SALU_CYCLE_1)
	s_add_u32 s16, s4, s16
	s_addc_u32 s17, s37, s17
	s_or_b32 s15, s35, 48
	;; [unrolled: 10-line block ×4, first 2 shown]
	s_ashr_i32 s22, s15, 4
	s_cmp_lt_i32 s15, s30
	s_cselect_b32 s22, s22, s3
	s_delay_alu instid0(SALU_CYCLE_1) | instskip(NEXT) | instid1(SALU_CYCLE_1)
	s_ashr_i32 s23, s22, 31
	s_lshl_b64 s[22:23], s[22:23], 2
	s_delay_alu instid0(SALU_CYCLE_1)
	s_add_u32 s22, s4, s22
	s_addc_u32 s23, s37, s23
	s_clause 0x5
	s_load_b32 s8, s[8:9], 0x0
	s_load_b32 s12, s[12:13], 0x0
	;; [unrolled: 1-line block ×6, first 2 shown]
	s_waitcnt lgkmcnt(0)
	s_mul_hi_i32 s17, s16, s5
	s_mul_i32 s16, s16, s5
	s_waitcnt vmcnt(1)
	v_mad_i64_i32 v[1:2], null, v5, s5, 0
	v_and_b32_e32 v5, 0xf0, v3
	s_waitcnt vmcnt(0)
	v_mad_i64_i32 v[3:4], null, v6, s5, 0
	s_delay_alu instid0(VALU_DEP_2) | instskip(NEXT) | instid1(VALU_DEP_4)
	v_add_co_u32 v5, s9, s24, v5
	v_lshlrev_b64 v[1:2], 1, v[1:2]
	v_add_co_ci_u32_e64 v6, null, s25, 0, s9
	s_delay_alu instid0(VALU_DEP_4) | instskip(SKIP_1) | instid1(VALU_DEP_3)
	v_lshlrev_b64 v[3:4], 1, v[3:4]
	s_or_b32 s9, s35, 0x60
	v_add_co_u32 v1, vcc_lo, v5, v1
	s_delay_alu instid0(VALU_DEP_3) | instskip(NEXT) | instid1(VALU_DEP_3)
	v_add_co_ci_u32_e32 v2, vcc_lo, v6, v2, vcc_lo
	v_add_co_u32 v3, vcc_lo, v5, v3
	s_delay_alu instid0(VALU_DEP_4)
	v_add_co_ci_u32_e32 v4, vcc_lo, v6, v4, vcc_lo
	s_clause 0x9
	global_load_b128 v[9:12], v[1:2], off
	global_load_b128 v[13:16], v[1:2], off offset:256
	global_load_b128 v[137:140], v[3:4], off
	global_load_b128 v[141:144], v[3:4], off offset:256
	global_load_b128 v[41:44], v[1:2], off offset:512
	;; [unrolled: 1-line block ×7, first 2 shown]
	v_and_b32_e32 v5, 3, v0
	s_clause 0x1
	global_load_b128 v[151:154], v[3:4], off offset:1024
	global_load_b128 v[155:158], v[3:4], off offset:1280
	s_ashr_i32 s13, s9, 4
	s_cmp_lt_i32 s9, s30
	v_lshlrev_b32_e32 v6, 5, v149
	v_lshlrev_b32_e32 v197, 6, v5
	ds_load_b128 v[159:162], v197
	ds_load_b128 v[163:166], v197 offset:1024
	s_clause 0x3
	global_load_b128 v[167:170], v[1:2], off offset:1536
	global_load_b128 v[171:174], v[1:2], off offset:1792
	global_load_b128 v[175:178], v[3:4], off offset:1536
	global_load_b128 v[179:182], v[3:4], off offset:1792
	s_cselect_b32 s22, s13, s3
	v_lshl_or_b32 v5, v148, 9, v6
	s_ashr_i32 s23, s22, 31
	s_delay_alu instid0(SALU_CYCLE_1) | instskip(NEXT) | instid1(SALU_CYCLE_1)
	s_lshl_b64 s[22:23], s[22:23], 2
	s_add_u32 s22, s4, s22
	s_addc_u32 s23, s37, s23
	s_or_b32 s9, s35, 0x70
	s_load_b32 s46, s[22:23], 0x0
	s_ashr_i32 s13, s9, 4
	s_cmp_lt_i32 s9, s30
	s_cselect_b32 s24, s13, s3
	s_delay_alu instid0(SALU_CYCLE_1) | instskip(NEXT) | instid1(SALU_CYCLE_1)
	s_ashr_i32 s25, s24, 31
	s_lshl_b64 s[24:25], s[24:25], 2
	s_delay_alu instid0(SALU_CYCLE_1)
	s_add_u32 s24, s4, s24
	s_addc_u32 s25, s37, s25
	s_or_b32 s9, s35, 0x80
	s_load_b32 s47, s[24:25], 0x0
	s_ashr_i32 s13, s9, 4
	s_cmp_lt_i32 s9, s30
	s_cselect_b32 s26, s13, s3
	s_delay_alu instid0(SALU_CYCLE_1) | instskip(NEXT) | instid1(SALU_CYCLE_1)
	s_ashr_i32 s27, s26, 31
	s_lshl_b64 s[26:27], s[26:27], 2
	s_delay_alu instid0(SALU_CYCLE_1)
	s_add_u32 s26, s4, s26
	s_addc_u32 s27, s37, s27
	s_or_b32 s9, s35, 0x90
	s_load_b32 s48, s[26:27], 0x0
	s_ashr_i32 s13, s9, 4
	s_cmp_lt_i32 s9, s30
	s_cselect_b32 s28, s13, s3
	s_delay_alu instid0(SALU_CYCLE_1) | instskip(NEXT) | instid1(SALU_CYCLE_1)
	s_ashr_i32 s29, s28, 31
	s_lshl_b64 s[28:29], s[28:29], 2
	s_delay_alu instid0(SALU_CYCLE_1) | instskip(SKIP_2) | instid1(SALU_CYCLE_1)
	s_add_u32 s28, s4, s28
	s_addc_u32 s29, s37, s29
	s_or_b32 s9, s35, 0xa0
	s_ashr_i32 s13, s9, 4
	s_cmp_lt_i32 s9, s30
	s_cselect_b32 s38, s13, s3
	s_delay_alu instid0(SALU_CYCLE_1) | instskip(NEXT) | instid1(SALU_CYCLE_1)
	s_ashr_i32 s39, s38, 31
	s_lshl_b64 s[38:39], s[38:39], 2
	s_delay_alu instid0(SALU_CYCLE_1) | instskip(SKIP_2) | instid1(SALU_CYCLE_1)
	s_add_u32 s38, s4, s38
	s_addc_u32 s39, s37, s39
	s_or_b32 s9, s35, 0xb0
	s_ashr_i32 s13, s9, 4
	s_cmp_lt_i32 s9, s30
	s_mul_hi_i32 s9, s8, s5
	s_cselect_b32 s40, s13, s3
	s_mul_i32 s8, s8, s5
	s_ashr_i32 s41, s40, 31
	s_mul_hi_i32 s13, s12, s5
	s_lshl_b64 s[40:41], s[40:41], 2
	s_mul_i32 s12, s12, s5
	s_add_u32 s42, s4, s40
	s_addc_u32 s43, s37, s41
	s_or_b32 s19, s35, 0xc0
	s_delay_alu instid0(SALU_CYCLE_1)
	s_ashr_i32 s21, s19, 4
	s_cmp_lt_i32 s19, s30
	s_mul_hi_i32 s19, s18, s5
	s_cselect_b32 s40, s21, s3
	s_mul_i32 s18, s18, s5
	s_ashr_i32 s41, s40, 31
	s_mul_hi_i32 s21, s20, s5
	s_lshl_b64 s[40:41], s[40:41], 2
	s_mul_i32 s20, s20, s5
	s_add_u32 s44, s4, s40
	s_addc_u32 s45, s37, s41
	s_load_b32 s41, s[28:29], 0x0
	s_or_b32 s40, s35, 0xd0
	s_mul_hi_i32 s23, s15, s5
	s_ashr_i32 s22, s40, 4
	s_cmp_lt_i32 s40, s30
	s_load_b32 s40, s[38:39], 0x0
	s_cselect_b32 s24, s22, s3
	s_mul_i32 s22, s15, s5
	s_ashr_i32 s25, s24, 31
	s_waitcnt lgkmcnt(0)
	s_mul_hi_i32 s29, s48, s5
	s_lshl_b64 s[24:25], s[24:25], 2
	s_mul_i32 s28, s48, s5
	s_add_u32 s24, s4, s24
	s_addc_u32 s25, s37, s25
	s_or_b32 s49, s35, 0xe0
	s_clause 0x2
	s_load_b32 s39, s[42:43], 0x0
	s_load_b32 s38, s[44:45], 0x0
	;; [unrolled: 1-line block ×3, first 2 shown]
	s_ashr_i32 s50, s49, 4
	s_cmp_lt_i32 s49, s30
	s_mul_hi_i32 s25, s46, s5
	s_cselect_b32 s44, s50, s3
	s_mul_i32 s24, s46, s5
	s_ashr_i32 s45, s44, 31
	s_mul_hi_i32 s27, s47, s5
	s_lshl_b64 s[44:45], s[44:45], 2
	s_mul_i32 s26, s47, s5
	s_add_u32 s44, s4, s44
	s_addc_u32 s45, s37, s45
	s_or_b32 s46, s35, 0xf0
	s_mul_hi_i32 s43, s41, s5
	s_ashr_i32 s48, s46, 4
	s_cmp_lt_i32 s46, s30
	s_mul_i32 s42, s41, s5
	s_cselect_b32 s48, s48, s3
	s_mul_hi_i32 s41, s40, s5
	s_ashr_i32 s49, s48, 31
	s_mul_i32 s40, s40, s5
	s_lshl_b64 s[48:49], s[48:49], 2
	s_waitcnt lgkmcnt(0)
	s_mul_hi_i32 s47, s39, s5
	s_add_u32 s48, s4, s48
	s_addc_u32 s49, s37, s49
	s_add_u32 s3, s10, s6
	s_addc_u32 s4, s11, s7
	v_add_co_u32 v195, s3, s3, v5
	s_delay_alu instid0(VALU_DEP_1) | instskip(SKIP_2) | instid1(VALU_DEP_2)
	v_add_co_ci_u32_e64 v196, null, s4, 0, s3
	s_lshl_b64 s[6:7], s[8:9], 1
	s_lshl_b64 s[8:9], s[12:13], 1
	v_add_co_u32 v1, vcc_lo, v195, s6
	s_delay_alu instid0(VALU_DEP_2)
	v_add_co_ci_u32_e32 v2, vcc_lo, s7, v196, vcc_lo
	v_add_co_u32 v3, vcc_lo, v195, s8
	s_lshl_b64 s[10:11], s[16:17], 1
	v_add_co_ci_u32_e32 v4, vcc_lo, s9, v196, vcc_lo
	v_add_co_u32 v5, vcc_lo, v195, s10
	s_lshl_b64 s[12:13], s[18:19], 1
	;; [unrolled: 3-line block ×9, first 2 shown]
	s_mul_i32 s46, s39, s5
	v_add_co_ci_u32_e32 v54, vcc_lo, s27, v196, vcc_lo
	v_add_co_u32 v183, vcc_lo, v195, s28
	s_lshl_b64 s[40:41], s[46:47], 1
	s_mul_hi_i32 s39, s38, s5
	s_mul_i32 s38, s38, s5
	v_add_co_ci_u32_e32 v184, vcc_lo, s29, v196, vcc_lo
	v_add_co_u32 v185, vcc_lo, v195, s40
	s_lshl_b64 s[38:39], s[38:39], 1
	s_clause 0x1
	s_load_b32 s3, s[44:45], 0x0
	s_load_b32 s4, s[48:49], 0x0
	v_add_co_ci_u32_e32 v186, vcc_lo, s41, v196, vcc_lo
	v_add_co_u32 v191, vcc_lo, v195, s38
	v_add_co_ci_u32_e32 v192, vcc_lo, s39, v196, vcc_lo
	s_clause 0x17
	global_load_b128 v[121:124], v[1:2], off
	global_load_b128 v[125:128], v[1:2], off offset:16
	global_load_b128 v[113:116], v[3:4], off
	global_load_b128 v[117:120], v[3:4], off offset:16
	global_load_b128 v[105:108], v[5:6], off
	global_load_b128 v[109:112], v[5:6], off offset:16
	global_load_b128 v[97:100], v[7:8], off
	global_load_b128 v[101:104], v[7:8], off offset:16
	global_load_b128 v[89:92], v[25:26], off
	global_load_b128 v[93:96], v[25:26], off offset:16
	global_load_b128 v[81:84], v[27:28], off
	global_load_b128 v[85:88], v[27:28], off offset:16
	global_load_b128 v[73:76], v[29:30], off
	global_load_b128 v[77:80], v[29:30], off offset:16
	global_load_b128 v[65:68], v[31:32], off
	global_load_b128 v[69:72], v[31:32], off offset:16
	global_load_b128 v[57:60], v[49:50], off
	global_load_b128 v[61:64], v[49:50], off offset:16
	global_load_b128 v[49:52], v[53:54], off
	global_load_b128 v[53:56], v[53:54], off offset:16
	global_load_b128 v[25:28], v[183:184], off
	global_load_b128 v[29:32], v[183:184], off offset:16
	global_load_b128 v[1:4], v[185:186], off
	global_load_b128 v[5:8], v[185:186], off offset:16
	s_mul_hi_i32 s51, s15, s5
	s_mul_i32 s50, s15, s5
	s_delay_alu instid0(SALU_CYCLE_1) | instskip(NEXT) | instid1(SALU_CYCLE_1)
	s_lshl_b64 s[42:43], s[50:51], 1
	v_add_co_u32 v193, vcc_lo, v195, s42
	v_add_co_ci_u32_e32 v194, vcc_lo, s43, v196, vcc_lo
	s_waitcnt lgkmcnt(0)
	s_mul_hi_i32 s7, s3, s5
	s_mul_i32 s6, s3, s5
	s_mul_hi_i32 s9, s4, s5
	s_lshl_b64 s[6:7], s[6:7], 1
	s_mul_i32 s8, s4, s5
	s_delay_alu instid0(SALU_CYCLE_1)
	s_lshl_b64 s[4:5], s[8:9], 1
	s_waitcnt vmcnt(38)
	v_wmma_f32_16x16x16_f16 v[183:190], v[9:16], v[159:166], v[129:136]
	s_waitcnt vmcnt(36)
	v_wmma_f32_16x16x16_f16 v[129:136], v[137:144], v[159:166], v[129:136]
	s_clause 0x1
	global_load_b128 v[9:12], v[191:192], off
	global_load_b128 v[13:16], v[191:192], off offset:16
	ds_load_b128 v[137:140], v197 offset:2048
	ds_load_b128 v[141:144], v197 offset:3072
	;; [unrolled: 1-line block ×4, first 2 shown]
	v_add_co_u32 v191, vcc_lo, v195, s6
	v_add_co_ci_u32_e32 v192, vcc_lo, s7, v196, vcc_lo
	v_add_co_u32 v195, vcc_lo, v195, s4
	v_add_co_ci_u32_e32 v196, vcc_lo, s5, v196, vcc_lo
	s_waitcnt vmcnt(36) lgkmcnt(2)
	v_wmma_f32_16x16x16_f16 v[183:190], v[41:48], v[137:144], v[183:190]
	s_waitcnt vmcnt(34)
	v_wmma_f32_16x16x16_f16 v[129:136], v[33:40], v[137:144], v[129:136]
	s_clause 0x3
	global_load_b128 v[33:36], v[193:194], off
	global_load_b128 v[37:40], v[193:194], off offset:16
	global_load_b128 v[41:44], v[191:192], off
	global_load_b128 v[45:48], v[191:192], off offset:16
	v_and_b32_e32 v137, 0xe0, v0
	v_mbcnt_lo_u32_b32 v191, -1, 0
	s_waitcnt vmcnt(36) lgkmcnt(0)
	v_wmma_f32_16x16x16_f16 v[183:190], v[17:24], v[159:166], v[183:190]
	s_clause 0x1
	global_load_b128 v[17:20], v[195:196], off
	global_load_b128 v[21:24], v[195:196], off offset:16
	s_waitcnt vmcnt(36)
	v_wmma_f32_16x16x16_f16 v[129:136], v[151:158], v[159:166], v[129:136]
	v_add_nc_u32_e32 v192, s35, v137
	ds_load_b128 v[137:140], v197 offset:6144
	ds_load_b128 v[141:144], v197 offset:7168
	v_xor_b32_e32 v151, 16, v191
	s_waitcnt vmcnt(0) lgkmcnt(0)
	s_barrier
	v_or_b32_e32 v152, v192, v147
	buffer_gl0_inv
	v_cmp_gt_i32_e32 vcc_lo, 32, v151
	v_or_b32_e32 v153, 2, v152
	v_or_b32_e32 v154, 4, v152
	;; [unrolled: 1-line block ×5, first 2 shown]
	v_cmp_gt_i32_e64 s3, s30, v153
	v_cmp_gt_i32_e64 s4, s30, v154
	;; [unrolled: 1-line block ×3, first 2 shown]
	v_or_b32_e32 v158, 12, v152
	v_or_b32_e32 v159, 14, v152
	v_cmp_gt_i32_e64 s6, s30, v156
	v_wmma_f32_16x16x16_f16 v[183:190], v[167:174], v[137:144], v[183:190]
	v_wmma_f32_16x16x16_f16 v[129:136], v[175:182], v[137:144], v[129:136]
	v_cndmask_b32_e32 v151, v191, v151, vcc_lo
	v_cmp_gt_i32_e32 vcc_lo, s30, v152
	v_cmp_gt_i32_e64 s7, s30, v157
	v_dual_mul_f32 v143, s36, v184 :: v_dual_mul_f32 v144, s36, v183
	v_dual_mul_f32 v141, s36, v186 :: v_dual_mul_f32 v142, s36, v185
	;; [unrolled: 1-line block ×3, first 2 shown]
	s_delay_alu instid0(VALU_DEP_3) | instskip(NEXT) | instid1(VALU_DEP_4)
	v_cndmask_b32_e32 v144, 0xff7fffff, v144, vcc_lo
	v_cndmask_b32_e64 v143, 0xff7fffff, v143, s3
	v_mul_f32_e32 v140, s36, v187
	v_cndmask_b32_e64 v142, 0xff7fffff, v142, s4
	v_cndmask_b32_e64 v141, 0xff7fffff, v141, s5
	v_or_b32_e32 v160, 16, v152
	v_max3_f32 v143, v144, 0xff7fffff, v143
	v_or_b32_e32 v161, 18, v152
	v_mul_f32_e32 v138, s36, v189
	v_dual_mul_f32 v172, s36, v132 :: v_dual_mul_f32 v137, s36, v190
	v_cndmask_b32_e64 v140, 0xff7fffff, v140, s6
	v_cndmask_b32_e64 v139, 0xff7fffff, v139, s7
	v_max3_f32 v141, v143, v142, v141
	v_cmp_gt_i32_e64 s8, s30, v158
	v_cmp_gt_i32_e64 s9, s30, v159
	v_or_b32_e32 v162, 20, v152
	v_or_b32_e32 v163, 22, v152
	v_mul_f32_e32 v175, s36, v129
	v_cndmask_b32_e64 v138, 0xff7fffff, v138, s8
	v_max3_f32 v139, v141, v140, v139
	v_cmp_gt_i32_e64 s10, s30, v160
	v_cmp_gt_i32_e64 s11, s30, v161
	v_lshlrev_b32_e32 v160, 2, v151
	v_cndmask_b32_e64 v137, 0xff7fffff, v137, s9
	v_or_b32_e32 v164, 24, v152
	v_or_b32_e32 v165, 26, v152
	v_mul_f32_e32 v173, s36, v131
	v_cndmask_b32_e64 v140, 0xff7fffff, v175, s10
	v_cndmask_b32_e64 v141, 0xff7fffff, v174, s11
	v_max3_f32 v137, v139, v138, v137
	v_cmp_gt_i32_e64 s12, s30, v162
	v_cmp_gt_i32_e64 s13, s30, v163
	v_or_b32_e32 v166, 28, v152
	v_or_b32_e32 v167, 30, v152
	v_dual_mul_f32 v170, s36, v134 :: v_dual_mul_f32 v171, s36, v133
	v_cndmask_b32_e64 v138, 0xff7fffff, v173, s12
	v_cndmask_b32_e64 v139, 0xff7fffff, v172, s13
	v_max3_f32 v137, v137, v140, v141
	v_cmp_gt_i32_e64 s15, s30, v164
	v_cmp_gt_i32_e64 s16, s30, v165
	v_dual_mul_f32 v168, s36, v136 :: v_dual_mul_f32 v169, s36, v135
	s_delay_alu instid0(VALU_DEP_4) | instskip(NEXT) | instid1(VALU_DEP_4)
	v_max3_f32 v137, v137, v138, v139
	v_cndmask_b32_e64 v140, 0xff7fffff, v171, s15
	s_delay_alu instid0(VALU_DEP_4) | instskip(SKIP_2) | instid1(VALU_DEP_3)
	v_cndmask_b32_e64 v141, 0xff7fffff, v170, s16
	v_cmp_gt_i32_e64 s17, s30, v166
	v_cmp_gt_i32_e64 s18, s30, v167
	v_max3_f32 v137, v137, v140, v141
	s_delay_alu instid0(VALU_DEP_3) | instskip(NEXT) | instid1(VALU_DEP_3)
	v_cndmask_b32_e64 v138, 0xff7fffff, v169, s17
	v_cndmask_b32_e64 v139, 0xff7fffff, v168, s18
	s_delay_alu instid0(VALU_DEP_1) | instskip(SKIP_3) | instid1(VALU_DEP_1)
	v_max3_f32 v137, v137, v138, v139
	ds_bpermute_b32 v138, v160, v137
	s_waitcnt lgkmcnt(0)
	v_max_f32_e32 v138, v138, v138
	v_max_f32_e32 v137, v137, v138
	s_delay_alu instid0(VALU_DEP_1) | instskip(SKIP_4) | instid1(VALU_DEP_4)
	v_fma_f32 v143, s36, v187, -v137
	v_fma_f32 v130, s36, v130, -v137
	;; [unrolled: 1-line block ×5, first 2 shown]
	v_dual_mul_f32 v143, 0x3fb8aa3b, v143 :: v_dual_mul_f32 v130, 0x3fb8aa3b, v130
	s_delay_alu instid0(VALU_DEP_4) | instskip(SKIP_2) | instid1(VALU_DEP_4)
	v_mul_f32_e32 v140, 0x3fb8aa3b, v140
	v_fma_f32 v152, s36, v189, -v137
	v_fma_f32 v139, s36, v184, -v137
	v_exp_f32_e32 v143, v143
	v_mul_f32_e32 v138, 0x3fb8aa3b, v138
	v_exp_f32_e32 v140, v140
	v_mul_f32_e32 v152, 0x3fb8aa3b, v152
	v_fma_f32 v153, s36, v190, -v137
	v_fma_f32 v144, s36, v188, -v137
	v_exp_f32_e32 v138, v138
	v_fma_f32 v129, s36, v129, -v137
	v_exp_f32_e32 v152, v152
	v_fma_f32 v134, s36, v134, -v137
	v_cndmask_b32_e64 v143, 0, v143, s6
	v_dual_mul_f32 v141, 0x3fb8aa3b, v141 :: v_dual_mul_f32 v144, 0x3fb8aa3b, v144
	v_fma_f32 v132, s36, v132, -v137
	s_delay_alu instid0(VALU_DEP_4) | instskip(NEXT) | instid1(VALU_DEP_3)
	v_dual_mul_f32 v129, 0x3fb8aa3b, v129 :: v_dual_mul_f32 v134, 0x3fb8aa3b, v134
	v_exp_f32_e32 v151, v141
	v_cndmask_b32_e64 v141, 0, v140, s4
	s_delay_alu instid0(VALU_DEP_3)
	v_dual_mul_f32 v132, 0x3fb8aa3b, v132 :: v_dual_mul_f32 v139, 0x3fb8aa3b, v139
	v_exp_f32_e32 v144, v144
	v_exp_f32_e32 v129, v129
	;; [unrolled: 1-line block ×3, first 2 shown]
	v_fma_f32 v131, s36, v131, -v137
	v_exp_f32_e32 v142, v139
	v_exp_f32_e32 v132, v132
	v_cndmask_b32_e64 v140, 0, v151, s5
	v_mul_f32_e32 v151, 0x3fb8aa3b, v153
	v_fma_f32 v133, s36, v133, -v137
	s_delay_alu instid0(VALU_DEP_2) | instskip(SKIP_2) | instid1(TRANS32_DEP_3)
	v_exp_f32_e32 v154, v151
	v_cndmask_b32_e64 v151, 0, v152, s8
	v_cndmask_b32_e32 v139, 0, v138, vcc_lo
	v_cndmask_b32_e64 v138, 0, v142, s3
	s_mov_b32 s3, exec_lo
	s_delay_alu instid0(VALU_DEP_2) | instskip(NEXT) | instid1(VALU_DEP_1)
	v_add_f32_e32 v142, 0, v139
	v_add_f32_e32 v142, v142, v138
	s_delay_alu instid0(VALU_DEP_1) | instskip(NEXT) | instid1(VALU_DEP_1)
	v_add_f32_e32 v142, v142, v141
	v_add_f32_e32 v153, v142, v140
	v_cndmask_b32_e64 v142, 0, v144, s7
	s_delay_alu instid0(VALU_DEP_2) | instskip(SKIP_1) | instid1(VALU_DEP_2)
	v_add_f32_e32 v144, v153, v143
	v_cndmask_b32_e64 v153, 0, v129, s10
	v_add_f32_e32 v152, v144, v142
	v_cndmask_b32_e64 v144, 0, v154, s9
	v_cndmask_b32_e64 v154, 0, v132, s13
	v_fma_f32 v132, s36, v136, -v137
	s_delay_alu instid0(VALU_DEP_4) | instskip(NEXT) | instid1(VALU_DEP_2)
	v_dual_mul_f32 v133, 0x3fb8aa3b, v133 :: v_dual_add_f32 v152, v152, v151
	v_mul_f32_e32 v132, 0x3fb8aa3b, v132
	s_delay_alu instid0(VALU_DEP_2) | instskip(NEXT) | instid1(VALU_DEP_2)
	v_exp_f32_e32 v133, v133
	v_add_f32_e32 v129, v152, v144
	v_cndmask_b32_e64 v152, 0, v130, s11
	v_fma_f32 v130, s36, v135, -v137
	v_mul_f32_e32 v131, 0x3fb8aa3b, v131
	s_delay_alu instid0(VALU_DEP_2) | instskip(NEXT) | instid1(VALU_DEP_2)
	v_dual_add_f32 v129, v129, v153 :: v_dual_mul_f32 v130, 0x3fb8aa3b, v130
	v_exp_f32_e32 v131, v131
	s_delay_alu instid0(TRANS32_DEP_2) | instskip(NEXT) | instid1(VALU_DEP_2)
	v_cndmask_b32_e64 v157, 0, v133, s15
	v_add_f32_e32 v129, v129, v152
	s_delay_alu instid0(VALU_DEP_3) | instskip(SKIP_4) | instid1(VALU_DEP_2)
	v_exp_f32_e32 v130, v130
	s_waitcnt_depctr 0xfff
	v_cndmask_b32_e64 v155, 0, v131, s12
	v_exp_f32_e32 v131, v134
	v_cndmask_b32_e64 v159, 0, v130, s17
	v_add_f32_e32 v129, v129, v155
	s_delay_alu instid0(VALU_DEP_1) | instskip(SKIP_4) | instid1(VALU_DEP_1)
	v_add_f32_e32 v129, v129, v154
	s_waitcnt_depctr 0xfff
	v_cndmask_b32_e64 v156, 0, v131, s16
	v_exp_f32_e32 v131, v132
	v_add_f32_e32 v129, v129, v157
	v_add_f32_e32 v129, v129, v156
	s_waitcnt_depctr 0xfff
	v_cndmask_b32_e64 v158, 0, v131, s18
	v_add_f32_e32 v129, v129, v159
	s_delay_alu instid0(VALU_DEP_1)
	v_add_f32_e32 v129, v129, v158
	ds_bpermute_b32 v130, v160, v129
	v_cmpx_gt_u32_e32 16, v150
	s_cbranch_execz .LBB113_12
; %bb.11:
	v_mul_u32_u24_e32 v131, 0x44, v148
	s_delay_alu instid0(VALU_DEP_1) | instskip(SKIP_1) | instid1(VALU_DEP_1)
	v_lshl_add_u32 v131, v149, 2, v131
	s_waitcnt lgkmcnt(0)
	v_dual_add_f32 v129, v129, v130 :: v_dual_add_nc_u32 v130, 0x4000, v131
	ds_store_2addr_b32 v130, v137, v129 offset1:136
.LBB113_12:
	s_or_b32 exec_lo, exec_lo, s3
	v_lshlrev_b32_e32 v129, 2, v149
	s_load_b32 s35, s[0:1], 0x94
	s_waitcnt lgkmcnt(0)
	s_barrier
	buffer_gl0_inv
	v_add_nc_u32_e32 v135, 0x4000, v129
	v_cmp_eq_u32_e32 vcc_lo, 1, v148
	v_cmp_eq_u32_e64 s3, 2, v148
	v_cmp_eq_u32_e64 s4, 3, v148
	;; [unrolled: 1-line block ×3, first 2 shown]
	ds_load_2addr_b32 v[129:130], v135 offset1:17
	ds_load_2addr_b32 v[131:132], v135 offset0:34 offset1:51
	ds_load_2addr_b32 v[133:134], v135 offset0:68 offset1:85
	;; [unrolled: 1-line block ×4, first 2 shown]
	v_cmp_eq_u32_e64 s6, 5, v148
	v_cmp_eq_u32_e64 s7, 7, v148
	s_waitcnt lgkmcnt(4)
	v_max3_f32 v136, v129, 0xff7fffff, v130
	s_waitcnt lgkmcnt(3)
	s_delay_alu instid0(VALU_DEP_1) | instskip(SKIP_1) | instid1(VALU_DEP_1)
	v_max3_f32 v136, v136, v131, v132
	s_waitcnt lgkmcnt(2)
	v_max3_f32 v136, v136, v133, v134
	s_waitcnt lgkmcnt(1)
	s_delay_alu instid0(VALU_DEP_1) | instskip(NEXT) | instid1(VALU_DEP_1)
	v_max3_f32 v136, v136, v160, v161
	v_sub_f32_e32 v129, v129, v136
	v_sub_f32_e32 v137, v130, v136
	;; [unrolled: 1-line block ×4, first 2 shown]
	s_delay_alu instid0(VALU_DEP_4) | instskip(NEXT) | instid1(VALU_DEP_3)
	v_dual_sub_f32 v133, v133, v136 :: v_dual_mul_f32 v150, 0x3fb8aa3b, v129
	v_dual_mul_f32 v137, 0x3fb8aa3b, v137 :: v_dual_mul_f32 v164, 0x3fb8aa3b, v164
	s_delay_alu instid0(VALU_DEP_2) | instskip(NEXT) | instid1(VALU_DEP_3)
	v_mul_f32_e32 v167, 0x3fb8aa3b, v133
	v_exp_f32_e32 v150, v150
	s_delay_alu instid0(VALU_DEP_2) | instskip(SKIP_2) | instid1(VALU_DEP_1)
	v_exp_f32_e32 v166, v137
	v_mul_f32_e32 v165, 0x3fb8aa3b, v131
	v_exp_f32_e32 v164, v164
	v_exp_f32_e32 v165, v165
	s_waitcnt lgkmcnt(0)
	v_fma_f32 v137, v150, v162, 0
	v_sub_f32_e32 v162, v134, v136
	ds_load_2addr_b32 v[129:130], v135 offset0:170 offset1:187
	ds_load_2addr_b32 v[131:132], v135 offset0:204 offset1:221
	ds_load_2addr_b32 v[133:134], v135 offset0:238 offset1:255
	v_fmac_f32_e32 v137, v166, v163
	v_dual_sub_f32 v135, v160, v136 :: v_dual_mul_f32 v160, 0x3fb8aa3b, v162
	v_exp_f32_e32 v162, v167
	s_waitcnt lgkmcnt(0)
	s_barrier
	s_delay_alu instid0(VALU_DEP_1)
	v_mul_f32_e32 v135, 0x3fb8aa3b, v135
	v_exp_f32_e32 v160, v160
	buffer_gl0_inv
	v_fmac_f32_e32 v137, v165, v129
	v_sub_f32_e32 v129, v161, v136
	v_exp_f32_e32 v161, v135
	s_delay_alu instid0(VALU_DEP_2) | instskip(NEXT) | instid1(VALU_DEP_2)
	v_fmac_f32_e32 v137, v164, v130
	v_dual_mul_f32 v129, 0x3fb8aa3b, v129 :: v_dual_cndmask_b32 v130, v150, v166
	s_delay_alu instid0(VALU_DEP_2) | instskip(NEXT) | instid1(VALU_DEP_2)
	v_fmac_f32_e32 v137, v162, v131
	v_exp_f32_e32 v163, v129
	s_delay_alu instid0(VALU_DEP_1) | instskip(SKIP_3) | instid1(VALU_DEP_2)
	v_fmac_f32_e32 v137, v160, v132
	s_waitcnt_depctr 0xfff
	v_fmac_f32_e32 v137, v161, v133
	v_lshlrev_b32_e32 v133, 6, v149
	v_fmac_f32_e32 v137, v163, v134
	s_delay_alu instid0(VALU_DEP_2) | instskip(NEXT) | instid1(VALU_DEP_2)
	v_lshl_or_b32 v135, v148, 11, v133
	v_add_f32_e32 v134, 0x358637bd, v137
	s_delay_alu instid0(VALU_DEP_1) | instskip(SKIP_1) | instid1(VALU_DEP_2)
	v_div_scale_f32 v167, null, v134, v134, 1.0
	v_div_scale_f32 v150, vcc_lo, 1.0, v134, 1.0
	v_rcp_f32_e32 v168, v167
	s_waitcnt_depctr 0xfff
	v_fma_f32 v129, -v167, v168, 1.0
	s_delay_alu instid0(VALU_DEP_1) | instskip(SKIP_2) | instid1(VALU_DEP_3)
	v_fmac_f32_e32 v168, v129, v168
	v_cndmask_b32_e64 v129, v130, v165, s3
	v_cmp_eq_u32_e64 s3, 6, v148
	v_mul_f32_e32 v165, v150, v168
	s_delay_alu instid0(VALU_DEP_3) | instskip(SKIP_1) | instid1(VALU_DEP_3)
	v_cndmask_b32_e64 v130, v129, v164, s4
	v_lshlrev_b32_e32 v129, 2, v147
	v_fma_f32 v131, -v167, v165, v150
	s_delay_alu instid0(VALU_DEP_3) | instskip(NEXT) | instid1(VALU_DEP_3)
	v_cndmask_b32_e64 v149, v130, v162, s5
	v_or_b32_e32 v130, 1, v129
	v_or_b32_e32 v132, 2, v129
	v_cmp_eq_u32_e64 s4, 1, v129
	v_fmac_f32_e32 v165, v131, v168
	v_cndmask_b32_e64 v148, v149, v160, s6
	v_or_b32_e32 v131, 3, v129
	v_cmp_eq_u32_e64 s9, 1, v130
	v_cmp_eq_u32_e64 s10, 1, v132
	v_fma_f32 v149, -v167, v165, v150
	v_cndmask_b32_e64 v148, v148, v161, s3
	v_cmp_eq_u32_e64 s11, 1, v131
	v_cmp_eq_u32_e64 s5, 2, v129
	;; [unrolled: 1-line block ×3, first 2 shown]
	v_div_fmas_f32 v149, v149, v168, v165
	v_cndmask_b32_e64 v148, v148, v163, s7
	v_cmp_eq_u32_e64 s15, 2, v132
	v_cmp_eq_u32_e64 s16, 2, v131
	v_cmp_eq_u32_e32 vcc_lo, 3, v129
	v_div_fixup_f32 v149, v149, v134, 1.0
	v_lshl_or_b32 v134, v147, 4, v135
	v_cmp_eq_u32_e64 s13, 3, v130
	v_cmp_eq_u32_e64 s18, 3, v131
	;; [unrolled: 1-line block ×3, first 2 shown]
	v_mul_f32_e32 v164, v148, v149
	v_cmp_eq_u32_e64 s17, 3, v132
	v_cmp_eq_u32_e64 s19, 4, v130
	;; [unrolled: 1-line block ×4, first 2 shown]
	v_fma_mixlo_f16 v148, v164, v139, 0
	v_fma_mixlo_f16 v149, v164, v141, 0
	;; [unrolled: 1-line block ×8, first 2 shown]
	v_fma_mixhi_f16 v148, v164, v138, 0
	v_fma_mixhi_f16 v149, v164, v140, 0
	;; [unrolled: 1-line block ×8, first 2 shown]
	ds_store_b128 v134, v[148:151]
	ds_store_b128 v134, v[160:163] offset:1024
	s_waitcnt lgkmcnt(0)
	s_barrier
	buffer_gl0_inv
	ds_load_b128 v[138:141], v135
	ds_load_b128 v[148:151], v135 offset:16
	ds_load_b128 v[152:155], v135 offset:1024
	;; [unrolled: 1-line block ×3, first 2 shown]
	v_cmp_eq_u32_e64 s20, 5, v130
	v_cmp_eq_u32_e64 s21, 4, v132
	;; [unrolled: 1-line block ×12, first 2 shown]
	s_waitcnt lgkmcnt(3)
	v_lshrrev_b32_e32 v142, 16, v138
	s_waitcnt lgkmcnt(2)
	v_lshrrev_b32_e32 v161, 16, v148
	;; [unrolled: 2-line block ×4, first 2 shown]
	v_lshrrev_b32_e32 v143, 16, v139
	v_cndmask_b32_e64 v173, v138, v142, s4
	v_cndmask_b32_e64 v174, v148, v161, s4
	;; [unrolled: 1-line block ×7, first 2 shown]
	v_lshrrev_b32_e32 v162, 16, v149
	v_cndmask_b32_e64 v178, v148, v161, s10
	v_cndmask_b32_e64 v148, v152, v165, s4
	;; [unrolled: 1-line block ×16, first 2 shown]
	v_lshrrev_b32_e32 v166, 16, v153
	v_lshrrev_b32_e32 v170, 16, v157
	v_cndmask_b32_e64 v176, v178, v149, s15
	v_cndmask_b32_e64 v142, v148, v153, s5
	;; [unrolled: 1-line block ×7, first 2 shown]
	v_cndmask_b32_e32 v156, v165, v143, vcc_lo
	v_cndmask_b32_e32 v165, v169, v162, vcc_lo
	v_cndmask_b32_e64 v169, v173, v143, s13
	v_cndmask_b32_e64 v173, v174, v162, s13
	;; [unrolled: 1-line block ×4, first 2 shown]
	v_lshrrev_b32_e32 v144, 16, v140
	v_lshrrev_b32_e32 v163, 16, v150
	v_cndmask_b32_e64 v174, v175, v143, s17
	v_cndmask_b32_e64 v175, v176, v162, s17
	v_cndmask_b32_e32 v142, v142, v166, vcc_lo
	v_cndmask_b32_e32 v143, v148, v170, vcc_lo
	v_cndmask_b32_e64 v148, v149, v166, s13
	v_cndmask_b32_e64 v149, v156, v140, s3
	v_cndmask_b32_e64 v156, v165, v150, s3
	v_cndmask_b32_e64 v162, v169, v140, s19
	v_cndmask_b32_e64 v165, v173, v150, s19
	v_cndmask_b32_e64 v138, v138, v140, s22
	v_cndmask_b32_e64 v139, v139, v150, s22
	v_lshrrev_b32_e32 v167, 16, v154
	v_cndmask_b32_e64 v169, v174, v140, s21
	v_cndmask_b32_e64 v173, v175, v150, s21
	;; [unrolled: 1-line block ×11, first 2 shown]
	v_lshrrev_b32_e32 v160, 16, v141
	v_lshrrev_b32_e32 v164, 16, v151
	v_cndmask_b32_e64 v162, v169, v144, s23
	v_cndmask_b32_e64 v165, v173, v163, s23
	;; [unrolled: 1-line block ×9, first 2 shown]
	v_lshrrev_b32_e32 v168, 16, v155
	v_cndmask_b32_e64 v140, v140, v167, s6
	v_cndmask_b32_e64 v156, v162, v141, s26
	;; [unrolled: 1-line block ×14, first 2 shown]
	v_perm_b32 v141, v139, v138, 0x5040100
	v_perm_b32 v139, v150, v148, 0x5040100
	v_cndmask_b32_e64 v138, v182, v157, s15
	v_cndmask_b32_e64 v148, v180, v157, s12
	;; [unrolled: 1-line block ×3, first 2 shown]
	v_perm_b32 v140, v151, v149, 0x5040100
	v_cndmask_b32_e64 v149, v161, v166, s17
	v_cndmask_b32_e64 v150, v152, v166, s18
	;; [unrolled: 1-line block ×5, first 2 shown]
	v_lshrrev_b32_e32 v171, 16, v158
	v_cndmask_b32_e64 v149, v149, v154, s21
	v_cndmask_b32_e64 v150, v150, v154, s22
	;; [unrolled: 1-line block ×11, first 2 shown]
	v_lshrrev_b32_e32 v172, 16, v159
	v_cndmask_b32_e64 v142, v142, v159, s7
	v_cndmask_b32_e64 v149, v149, v155, s26
	;; [unrolled: 1-line block ×12, first 2 shown]
	v_perm_b32 v138, v144, v143, 0x5040100
	v_perm_b32 v151, v151, v150, 0x5040100
	;; [unrolled: 1-line block ×5, first 2 shown]
	s_lshl_b32 s7, s33, 2
	s_mov_b32 s3, exec_lo
	ds_store_b128 v134, v[138:141]
	ds_store_b128 v134, v[148:151] offset:1024
	v_cmpx_gt_u32_e32 4, v0
	s_cbranch_execz .LBB113_14
; %bb.13:
	v_or_b32_e32 v138, s31, v0
	s_load_b128 s[8:11], s[0:1], 0x58
	s_delay_alu instid0(VALU_DEP_1) | instskip(NEXT) | instid1(VALU_DEP_1)
	v_mad_u64_u32 v[139:140], null, s7, s34, v[138:139]
	v_mad_u64_u32 v[140:141], null, v139, s35, s[14:15]
	s_delay_alu instid0(VALU_DEP_1) | instskip(NEXT) | instid1(VALU_DEP_1)
	v_ashrrev_i32_e32 v141, 31, v140
	v_lshlrev_b64 v[138:139], 2, v[140:141]
	s_waitcnt lgkmcnt(0)
	s_delay_alu instid0(VALU_DEP_1) | instskip(NEXT) | instid1(VALU_DEP_2)
	v_add_co_u32 v140, vcc_lo, s10, v138
	v_add_co_ci_u32_e32 v141, vcc_lo, s11, v139, vcc_lo
	v_add_co_u32 v138, vcc_lo, s8, v138
	v_add_co_ci_u32_e32 v139, vcc_lo, s9, v139, vcc_lo
	global_store_b32 v[140:141], v136, off
	global_store_b32 v[138:139], v137, off
.LBB113_14:
	s_or_b32 exec_lo, exec_lo, s3
	s_waitcnt lgkmcnt(0)
	s_waitcnt_vscnt null, 0x0
	s_barrier
	buffer_gl0_inv
	ds_load_b128 v[148:151], v133
	ds_load_b128 v[152:155], v133 offset:16
	ds_load_b128 v[160:163], v133 offset:1040
	;; [unrolled: 1-line block ×5, first 2 shown]
	v_cmp_eq_u32_e32 vcc_lo, 1, v132
	v_mov_b32_e32 v136, 0
	ds_load_b128 v[176:179], v133 offset:3088
	ds_load_b128 v[172:175], v133 offset:3072
	;; [unrolled: 1-line block ×4, first 2 shown]
	v_cmp_eq_u32_e64 s3, 1, v129
	v_cmp_eq_u32_e64 s4, 1, v131
	v_cmp_eq_u32_e64 s5, 1, v130
	v_mov_b32_e32 v137, v136
	v_mov_b32_e32 v138, v136
	;; [unrolled: 1-line block ×7, first 2 shown]
	v_cmp_eq_u32_e64 s6, 2, v129
	s_waitcnt lgkmcnt(8)
	s_delay_alu instid0(VALU_DEP_2)
	v_wmma_f32_16x16x16_f16 v[136:143], v[121:128], v[148:155], v[136:143]
	ds_load_b128 v[125:128], v133 offset:5136
	ds_load_b128 v[121:124], v133 offset:5120
	s_waitcnt lgkmcnt(8)
	v_wmma_f32_16x16x16_f16 v[136:143], v[113:120], v[156:163], v[136:143]
	ds_load_b128 v[117:120], v133 offset:6160
	ds_load_b128 v[113:116], v133 offset:6144
	s_waitcnt lgkmcnt(8)
	;; [unrolled: 4-line block ×11, first 2 shown]
	s_barrier
	buffer_gl0_inv
	v_wmma_f32_16x16x16_f16 v[136:143], v[1:8], v[73:80], v[136:143]
	s_delay_alu instid0(VALU_DEP_1) | instskip(NEXT) | instid1(VALU_DEP_1)
	v_wmma_f32_16x16x16_f16 v[136:143], v[9:16], v[65:72], v[136:143]
	v_wmma_f32_16x16x16_f16 v[136:143], v[33:40], v[57:64], v[136:143]
	s_delay_alu instid0(VALU_DEP_1) | instskip(NEXT) | instid1(VALU_DEP_1)
	v_wmma_f32_16x16x16_f16 v[136:143], v[41:48], v[49:56], v[136:143]
	v_wmma_f32_16x16x16_f16 v[136:143], v[17:24], v[25:32], v[136:143]
	s_delay_alu instid0(VALU_DEP_1) | instskip(NEXT) | instid1(VALU_DEP_2)
	v_cvt_f16_f32_e64 v1, v136
	v_cvt_f16_f32_e64 v2, v137
	s_delay_alu instid0(VALU_DEP_3) | instskip(NEXT) | instid1(VALU_DEP_4)
	v_cvt_f16_f32_e64 v3, v138
	v_cvt_f16_f32_e64 v4, v139
	;; [unrolled: 1-line block ×6, first 2 shown]
	v_pack_b32_f16 v1, v1, v2
	v_pack_b32_f16 v2, v3, v4
	;; [unrolled: 1-line block ×3, first 2 shown]
	s_delay_alu instid0(VALU_DEP_4)
	v_pack_b32_f16 v4, v7, v8
	ds_store_b128 v134, v[1:4]
	s_waitcnt lgkmcnt(0)
	s_barrier
	buffer_gl0_inv
	ds_load_b128 v[1:4], v135
	ds_load_b128 v[5:8], v135 offset:16
	s_waitcnt lgkmcnt(1)
	v_lshrrev_b32_e32 v9, 16, v1
	s_waitcnt lgkmcnt(0)
	v_lshrrev_b32_e32 v13, 16, v5
	v_lshrrev_b32_e32 v10, 16, v2
	;; [unrolled: 1-line block ×4, first 2 shown]
	v_cndmask_b32_e64 v17, v1, v9, s3
	v_cndmask_b32_e64 v18, v5, v13, s3
	;; [unrolled: 1-line block ×3, first 2 shown]
	v_cmp_eq_u32_e64 s3, 2, v130
	v_cndmask_b32_e64 v20, v5, v13, s5
	v_cndmask_b32_e32 v21, v1, v9, vcc_lo
	v_cndmask_b32_e32 v22, v5, v13, vcc_lo
	v_cndmask_b32_e64 v1, v1, v9, s4
	v_cndmask_b32_e64 v5, v5, v13, s4
	v_cmp_eq_u32_e32 vcc_lo, 2, v132
	v_cmp_eq_u32_e64 s4, 2, v131
	v_cndmask_b32_e64 v9, v17, v2, s6
	v_cndmask_b32_e64 v13, v18, v6, s6
	;; [unrolled: 1-line block ×4, first 2 shown]
	v_cndmask_b32_e32 v19, v21, v2, vcc_lo
	v_cmp_eq_u32_e64 s3, 3, v132
	v_cndmask_b32_e32 v20, v22, v6, vcc_lo
	v_cndmask_b32_e64 v1, v1, v2, s4
	v_cmp_eq_u32_e32 vcc_lo, 3, v131
	v_cmp_eq_u32_e64 s5, 3, v129
	v_cndmask_b32_e64 v2, v5, v6, s4
	v_cmp_eq_u32_e64 s4, 3, v130
	v_cmp_eq_u32_e64 s6, 4, v129
	v_cndmask_b32_e32 v1, v1, v10, vcc_lo
	v_cndmask_b32_e64 v5, v9, v10, s5
	v_cndmask_b32_e64 v6, v13, v14, s5
	;; [unrolled: 1-line block ×3, first 2 shown]
	v_cmp_eq_u32_e64 s5, 4, v130
	v_cndmask_b32_e64 v13, v18, v14, s4
	v_cndmask_b32_e64 v17, v19, v10, s3
	;; [unrolled: 1-line block ×3, first 2 shown]
	v_cndmask_b32_e32 v2, v2, v14, vcc_lo
	v_cmp_eq_u32_e32 vcc_lo, 4, v132
	v_cmp_eq_u32_e64 s4, 4, v131
	v_lshrrev_b32_e32 v15, 16, v7
	v_cndmask_b32_e64 v5, v5, v3, s6
	v_cndmask_b32_e64 v6, v6, v7, s6
	v_cndmask_b32_e32 v14, v18, v7, vcc_lo
	v_cndmask_b32_e64 v9, v9, v3, s5
	v_cndmask_b32_e64 v10, v13, v7, s5
	v_cndmask_b32_e32 v13, v17, v3, vcc_lo
	v_cmp_eq_u32_e64 s3, 5, v132
	v_cndmask_b32_e64 v1, v1, v3, s4
	v_cmp_eq_u32_e32 vcc_lo, 5, v131
	v_cmp_eq_u32_e64 s5, 5, v129
	v_cndmask_b32_e64 v2, v2, v7, s4
	v_cmp_eq_u32_e64 s4, 5, v130
	v_cmp_eq_u32_e64 s6, 6, v129
	v_lshrrev_b32_e32 v12, 16, v4
	v_cndmask_b32_e64 v3, v5, v11, s5
	v_cndmask_b32_e64 v5, v6, v15, s5
	;; [unrolled: 1-line block ×3, first 2 shown]
	v_cmp_eq_u32_e64 s5, 6, v130
	v_cndmask_b32_e64 v7, v10, v15, s4
	v_cndmask_b32_e64 v9, v13, v11, s3
	;; [unrolled: 1-line block ×3, first 2 shown]
	v_cndmask_b32_e32 v1, v1, v11, vcc_lo
	v_cndmask_b32_e32 v2, v2, v15, vcc_lo
	v_cmp_eq_u32_e32 vcc_lo, 6, v132
	v_cmp_eq_u32_e64 s3, 6, v131
	v_lshrrev_b32_e32 v16, 16, v8
	v_cndmask_b32_e64 v3, v3, v4, s6
	v_cndmask_b32_e64 v5, v5, v8, s6
	v_cndmask_b32_e32 v9, v9, v4, vcc_lo
	v_cndmask_b32_e64 v6, v6, v4, s5
	v_cndmask_b32_e64 v7, v7, v8, s5
	v_cmp_eq_u32_e64 s4, 7, v132
	v_cndmask_b32_e32 v10, v10, v8, vcc_lo
	v_cndmask_b32_e64 v1, v1, v4, s3
	v_cmp_eq_u32_e32 vcc_lo, 7, v131
	v_cndmask_b32_e64 v2, v2, v8, s3
	v_cmp_eq_u32_e64 s3, 7, v129
	v_cmp_eq_u32_e64 s5, 7, v130
	v_cndmask_b32_e32 v1, v1, v12, vcc_lo
	s_delay_alu instid0(VALU_DEP_4) | instskip(NEXT) | instid1(VALU_DEP_4)
	v_cndmask_b32_e32 v2, v2, v16, vcc_lo
	v_cndmask_b32_e64 v8, v3, v12, s3
	s_delay_alu instid0(VALU_DEP_4)
	v_cndmask_b32_e64 v6, v6, v12, s5
	v_cndmask_b32_e64 v3, v9, v12, s4
	;; [unrolled: 1-line block ×5, first 2 shown]
	v_cmp_gt_u32_e32 vcc_lo, 32, v0
	v_perm_b32 v4, v2, v1, 0x5040100
	v_perm_b32 v3, v9, v3, 0x5040100
	;; [unrolled: 1-line block ×4, first 2 shown]
	s_and_b32 s2, vcc_lo, s2
	ds_store_b128 v134, v[1:4]
	s_waitcnt lgkmcnt(0)
	s_barrier
	buffer_gl0_inv
	s_and_saveexec_b32 s3, s2
	s_cbranch_execz .LBB113_2
; %bb.15:
	s_load_b64 s[0:1], s[0:1], 0x68
	v_lshlrev_b32_e32 v0, 10, v0
	v_or_b32_e32 v1, s31, v147
	s_lshl_b32 s4, s35, 6
	v_lshlrev_b32_e32 v2, 4, v146
	s_mul_i32 s2, s4, s34
	v_lshlrev_b32_e32 v3, 6, v147
	v_mul_lo_u32 v8, v1, s4
	v_and_b32_e32 v0, 0x3800, v0
	v_or_b32_e32 v1, 2, v1
	s_mul_i32 s2, s2, s7
	s_delay_alu instid0(SALU_CYCLE_1) | instskip(NEXT) | instid1(VALU_DEP_2)
	s_ashr_i32 s3, s2, 31
	v_or3_b32 v4, v0, v2, v3
	s_lshl_b64 s[2:3], s[2:3], 1
	v_mul_lo_u32 v10, v1, s4
	v_ashrrev_i32_e32 v9, 31, v8
	ds_load_b128 v[0:3], v4
	ds_load_b128 v[4:7], v4 offset:128
	s_waitcnt lgkmcnt(0)
	s_add_u32 s2, s0, s2
	s_addc_u32 s3, s1, s3
	s_lshl_b32 s0, s14, 6
	v_ashrrev_i32_e32 v11, 31, v10
	s_ashr_i32 s1, s0, 31
	v_lshlrev_b64 v[8:9], 1, v[8:9]
	s_lshl_b64 s[0:1], s[0:1], 1
	s_delay_alu instid0(SALU_CYCLE_1) | instskip(SKIP_2) | instid1(VALU_DEP_1)
	s_add_u32 s0, s2, s0
	s_addc_u32 s1, s3, s1
	v_add_co_u32 v12, s0, s0, v145
	v_add_co_ci_u32_e64 v13, null, s1, 0, s0
	v_lshlrev_b64 v[10:11], 1, v[10:11]
	s_delay_alu instid0(VALU_DEP_3) | instskip(NEXT) | instid1(VALU_DEP_3)
	v_add_co_u32 v8, vcc_lo, v12, v8
	v_add_co_ci_u32_e32 v9, vcc_lo, v13, v9, vcc_lo
	s_delay_alu instid0(VALU_DEP_3) | instskip(NEXT) | instid1(VALU_DEP_4)
	v_add_co_u32 v10, vcc_lo, v12, v10
	v_add_co_ci_u32_e32 v11, vcc_lo, v13, v11, vcc_lo
	s_clause 0x1
	global_store_b128 v[8:9], v[0:3], off
	global_store_b128 v[10:11], v[4:7], off
	s_nop 0
	s_sendmsg sendmsg(MSG_DEALLOC_VGPRS)
	s_endpgm
	.section	.rodata,"a",@progbits
	.p2align	6, 0x0
	.amdhsa_kernel _Z39paged_attention_ll4mi_QKV_mfma16_kernelIDF16_DF16_LN4vllm18Fp8KVCacheDataTypeE0EDF16_Li16ELi64ELi256ELb0ELi4EL8MFMAType0EEvPKT_PKT0_S8_ifPKiSA_SA_iPKfiiiPfSD_PS3_PT2_iSC_SC_
		.amdhsa_group_segment_fixed_size 17472
		.amdhsa_private_segment_fixed_size 0
		.amdhsa_kernarg_size 400
		.amdhsa_user_sgpr_count 13
		.amdhsa_user_sgpr_dispatch_ptr 0
		.amdhsa_user_sgpr_queue_ptr 0
		.amdhsa_user_sgpr_kernarg_segment_ptr 1
		.amdhsa_user_sgpr_dispatch_id 0
		.amdhsa_user_sgpr_private_segment_size 0
		.amdhsa_wavefront_size32 1
		.amdhsa_uses_dynamic_stack 0
		.amdhsa_enable_private_segment 0
		.amdhsa_system_sgpr_workgroup_id_x 1
		.amdhsa_system_sgpr_workgroup_id_y 1
		.amdhsa_system_sgpr_workgroup_id_z 1
		.amdhsa_system_sgpr_workgroup_info 0
		.amdhsa_system_vgpr_workitem_id 0
		.amdhsa_next_free_vgpr 198
		.amdhsa_next_free_sgpr 52
		.amdhsa_reserve_vcc 1
		.amdhsa_float_round_mode_32 0
		.amdhsa_float_round_mode_16_64 0
		.amdhsa_float_denorm_mode_32 3
		.amdhsa_float_denorm_mode_16_64 3
		.amdhsa_dx10_clamp 1
		.amdhsa_ieee_mode 1
		.amdhsa_fp16_overflow 0
		.amdhsa_workgroup_processor_mode 1
		.amdhsa_memory_ordered 1
		.amdhsa_forward_progress 0
		.amdhsa_shared_vgpr_count 0
		.amdhsa_exception_fp_ieee_invalid_op 0
		.amdhsa_exception_fp_denorm_src 0
		.amdhsa_exception_fp_ieee_div_zero 0
		.amdhsa_exception_fp_ieee_overflow 0
		.amdhsa_exception_fp_ieee_underflow 0
		.amdhsa_exception_fp_ieee_inexact 0
		.amdhsa_exception_int_div_zero 0
	.end_amdhsa_kernel
	.section	.text._Z39paged_attention_ll4mi_QKV_mfma16_kernelIDF16_DF16_LN4vllm18Fp8KVCacheDataTypeE0EDF16_Li16ELi64ELi256ELb0ELi4EL8MFMAType0EEvPKT_PKT0_S8_ifPKiSA_SA_iPKfiiiPfSD_PS3_PT2_iSC_SC_,"axG",@progbits,_Z39paged_attention_ll4mi_QKV_mfma16_kernelIDF16_DF16_LN4vllm18Fp8KVCacheDataTypeE0EDF16_Li16ELi64ELi256ELb0ELi4EL8MFMAType0EEvPKT_PKT0_S8_ifPKiSA_SA_iPKfiiiPfSD_PS3_PT2_iSC_SC_,comdat
.Lfunc_end113:
	.size	_Z39paged_attention_ll4mi_QKV_mfma16_kernelIDF16_DF16_LN4vllm18Fp8KVCacheDataTypeE0EDF16_Li16ELi64ELi256ELb0ELi4EL8MFMAType0EEvPKT_PKT0_S8_ifPKiSA_SA_iPKfiiiPfSD_PS3_PT2_iSC_SC_, .Lfunc_end113-_Z39paged_attention_ll4mi_QKV_mfma16_kernelIDF16_DF16_LN4vllm18Fp8KVCacheDataTypeE0EDF16_Li16ELi64ELi256ELb0ELi4EL8MFMAType0EEvPKT_PKT0_S8_ifPKiSA_SA_iPKfiiiPfSD_PS3_PT2_iSC_SC_
                                        ; -- End function
	.section	.AMDGPU.csdata,"",@progbits
; Kernel info:
; codeLenInByte = 7692
; NumSgprs: 54
; NumVgprs: 198
; ScratchSize: 0
; MemoryBound: 0
; FloatMode: 240
; IeeeMode: 1
; LDSByteSize: 17472 bytes/workgroup (compile time only)
; SGPRBlocks: 6
; VGPRBlocks: 24
; NumSGPRsForWavesPerEU: 54
; NumVGPRsForWavesPerEU: 198
; Occupancy: 7
; WaveLimiterHint : 1
; COMPUTE_PGM_RSRC2:SCRATCH_EN: 0
; COMPUTE_PGM_RSRC2:USER_SGPR: 13
; COMPUTE_PGM_RSRC2:TRAP_HANDLER: 0
; COMPUTE_PGM_RSRC2:TGID_X_EN: 1
; COMPUTE_PGM_RSRC2:TGID_Y_EN: 1
; COMPUTE_PGM_RSRC2:TGID_Z_EN: 1
; COMPUTE_PGM_RSRC2:TIDIG_COMP_CNT: 0
	.section	.text._Z38paged_attention_ll4mi_QKV_mfma4_kernelIDF16_DF16_LN4vllm18Fp8KVCacheDataTypeE0EhLi32ELi64ELi256ELb1ELi1EEvPKT_PKT0_S7_ifPKiS9_S9_iPKfiiiPfSC_PS2_PT2_iSB_SB_,"axG",@progbits,_Z38paged_attention_ll4mi_QKV_mfma4_kernelIDF16_DF16_LN4vllm18Fp8KVCacheDataTypeE0EhLi32ELi64ELi256ELb1ELi1EEvPKT_PKT0_S7_ifPKiS9_S9_iPKfiiiPfSC_PS2_PT2_iSB_SB_,comdat
	.protected	_Z38paged_attention_ll4mi_QKV_mfma4_kernelIDF16_DF16_LN4vllm18Fp8KVCacheDataTypeE0EhLi32ELi64ELi256ELb1ELi1EEvPKT_PKT0_S7_ifPKiS9_S9_iPKfiiiPfSC_PS2_PT2_iSB_SB_ ; -- Begin function _Z38paged_attention_ll4mi_QKV_mfma4_kernelIDF16_DF16_LN4vllm18Fp8KVCacheDataTypeE0EhLi32ELi64ELi256ELb1ELi1EEvPKT_PKT0_S7_ifPKiS9_S9_iPKfiiiPfSC_PS2_PT2_iSB_SB_
	.globl	_Z38paged_attention_ll4mi_QKV_mfma4_kernelIDF16_DF16_LN4vllm18Fp8KVCacheDataTypeE0EhLi32ELi64ELi256ELb1ELi1EEvPKT_PKT0_S7_ifPKiS9_S9_iPKfiiiPfSC_PS2_PT2_iSB_SB_
	.p2align	8
	.type	_Z38paged_attention_ll4mi_QKV_mfma4_kernelIDF16_DF16_LN4vllm18Fp8KVCacheDataTypeE0EhLi32ELi64ELi256ELb1ELi1EEvPKT_PKT0_S7_ifPKiS9_S9_iPKfiiiPfSC_PS2_PT2_iSB_SB_,@function
_Z38paged_attention_ll4mi_QKV_mfma4_kernelIDF16_DF16_LN4vllm18Fp8KVCacheDataTypeE0EhLi32ELi64ELi256ELb1ELi1EEvPKT_PKT0_S7_ifPKiS9_S9_iPKfiiiPfSC_PS2_PT2_iSB_SB_: ; @_Z38paged_attention_ll4mi_QKV_mfma4_kernelIDF16_DF16_LN4vllm18Fp8KVCacheDataTypeE0EhLi32ELi64ELi256ELb1ELi1EEvPKT_PKT0_S7_ifPKiS9_S9_iPKfiiiPfSC_PS2_PT2_iSB_SB_
; %bb.0:
	s_add_u32 s8, s0, 0x90
	s_addc_u32 s9, s1, 0
	s_getpc_b64 s[0:1]
	s_add_u32 s0, s0, __PRETTY_FUNCTION__._Z38paged_attention_ll4mi_QKV_mfma4_kernelIDF16_DF16_LN4vllm18Fp8KVCacheDataTypeE0EhLi32ELi64ELi256ELb1ELi1EEvPKT_PKT0_S7_ifPKiS9_S9_iPKfiiiPfSC_PS2_PT2_iSB_SB_@rel32@lo+4
	s_addc_u32 s1, s1, __PRETTY_FUNCTION__._Z38paged_attention_ll4mi_QKV_mfma4_kernelIDF16_DF16_LN4vllm18Fp8KVCacheDataTypeE0EhLi32ELi64ELi256ELb1ELi1EEvPKT_PKT0_S7_ifPKiS9_S9_iPKfiiiPfSC_PS2_PT2_iSB_SB_@rel32@hi+12
	s_delay_alu instid0(SALU_CYCLE_1) | instskip(SKIP_4) | instid1(SALU_CYCLE_1)
	v_dual_mov_b32 v0, s0 :: v_dual_mov_b32 v1, s1
	s_mov_b32 s32, 0
	s_getpc_b64 s[2:3]
	s_add_u32 s2, s2, __assert_fail@rel32@lo+4
	s_addc_u32 s3, s3, __assert_fail@rel32@hi+12
	s_swappc_b64 s[30:31], s[2:3]
	.section	.rodata,"a",@progbits
	.p2align	6, 0x0
	.amdhsa_kernel _Z38paged_attention_ll4mi_QKV_mfma4_kernelIDF16_DF16_LN4vllm18Fp8KVCacheDataTypeE0EhLi32ELi64ELi256ELb1ELi1EEvPKT_PKT0_S7_ifPKiS9_S9_iPKfiiiPfSC_PS2_PT2_iSB_SB_
		.amdhsa_group_segment_fixed_size 0
		.amdhsa_private_segment_fixed_size 64
		.amdhsa_kernarg_size 400
		.amdhsa_user_sgpr_count 15
		.amdhsa_user_sgpr_dispatch_ptr 0
		.amdhsa_user_sgpr_queue_ptr 0
		.amdhsa_user_sgpr_kernarg_segment_ptr 1
		.amdhsa_user_sgpr_dispatch_id 0
		.amdhsa_user_sgpr_private_segment_size 0
		.amdhsa_wavefront_size32 1
		.amdhsa_uses_dynamic_stack 0
		.amdhsa_enable_private_segment 1
		.amdhsa_system_sgpr_workgroup_id_x 1
		.amdhsa_system_sgpr_workgroup_id_y 0
		.amdhsa_system_sgpr_workgroup_id_z 0
		.amdhsa_system_sgpr_workgroup_info 0
		.amdhsa_system_vgpr_workitem_id 0
		.amdhsa_next_free_vgpr 41
		.amdhsa_next_free_sgpr 34
		.amdhsa_reserve_vcc 1
		.amdhsa_float_round_mode_32 0
		.amdhsa_float_round_mode_16_64 0
		.amdhsa_float_denorm_mode_32 3
		.amdhsa_float_denorm_mode_16_64 3
		.amdhsa_dx10_clamp 1
		.amdhsa_ieee_mode 1
		.amdhsa_fp16_overflow 0
		.amdhsa_workgroup_processor_mode 1
		.amdhsa_memory_ordered 1
		.amdhsa_forward_progress 0
		.amdhsa_shared_vgpr_count 0
		.amdhsa_exception_fp_ieee_invalid_op 0
		.amdhsa_exception_fp_denorm_src 0
		.amdhsa_exception_fp_ieee_div_zero 0
		.amdhsa_exception_fp_ieee_overflow 0
		.amdhsa_exception_fp_ieee_underflow 0
		.amdhsa_exception_fp_ieee_inexact 0
		.amdhsa_exception_int_div_zero 0
	.end_amdhsa_kernel
	.section	.text._Z38paged_attention_ll4mi_QKV_mfma4_kernelIDF16_DF16_LN4vllm18Fp8KVCacheDataTypeE0EhLi32ELi64ELi256ELb1ELi1EEvPKT_PKT0_S7_ifPKiS9_S9_iPKfiiiPfSC_PS2_PT2_iSB_SB_,"axG",@progbits,_Z38paged_attention_ll4mi_QKV_mfma4_kernelIDF16_DF16_LN4vllm18Fp8KVCacheDataTypeE0EhLi32ELi64ELi256ELb1ELi1EEvPKT_PKT0_S7_ifPKiS9_S9_iPKfiiiPfSC_PS2_PT2_iSB_SB_,comdat
.Lfunc_end114:
	.size	_Z38paged_attention_ll4mi_QKV_mfma4_kernelIDF16_DF16_LN4vllm18Fp8KVCacheDataTypeE0EhLi32ELi64ELi256ELb1ELi1EEvPKT_PKT0_S7_ifPKiS9_S9_iPKfiiiPfSC_PS2_PT2_iSB_SB_, .Lfunc_end114-_Z38paged_attention_ll4mi_QKV_mfma4_kernelIDF16_DF16_LN4vllm18Fp8KVCacheDataTypeE0EhLi32ELi64ELi256ELb1ELi1EEvPKT_PKT0_S7_ifPKiS9_S9_iPKfiiiPfSC_PS2_PT2_iSB_SB_
                                        ; -- End function
	.section	.AMDGPU.csdata,"",@progbits
; Kernel info:
; codeLenInByte = 72
; NumSgprs: 36
; NumVgprs: 41
; ScratchSize: 64
; MemoryBound: 0
; FloatMode: 240
; IeeeMode: 1
; LDSByteSize: 0 bytes/workgroup (compile time only)
; SGPRBlocks: 4
; VGPRBlocks: 5
; NumSGPRsForWavesPerEU: 36
; NumVGPRsForWavesPerEU: 41
; Occupancy: 16
; WaveLimiterHint : 1
; COMPUTE_PGM_RSRC2:SCRATCH_EN: 1
; COMPUTE_PGM_RSRC2:USER_SGPR: 15
; COMPUTE_PGM_RSRC2:TRAP_HANDLER: 0
; COMPUTE_PGM_RSRC2:TGID_X_EN: 1
; COMPUTE_PGM_RSRC2:TGID_Y_EN: 0
; COMPUTE_PGM_RSRC2:TGID_Z_EN: 0
; COMPUTE_PGM_RSRC2:TIDIG_COMP_CNT: 0
	.section	.text._Z38paged_attention_ll4mi_QKV_mfma4_kernelIDF16_DF16_LN4vllm18Fp8KVCacheDataTypeE0EhLi32ELi64ELi256ELb1ELi2EEvPKT_PKT0_S7_ifPKiS9_S9_iPKfiiiPfSC_PS2_PT2_iSB_SB_,"axG",@progbits,_Z38paged_attention_ll4mi_QKV_mfma4_kernelIDF16_DF16_LN4vllm18Fp8KVCacheDataTypeE0EhLi32ELi64ELi256ELb1ELi2EEvPKT_PKT0_S7_ifPKiS9_S9_iPKfiiiPfSC_PS2_PT2_iSB_SB_,comdat
	.protected	_Z38paged_attention_ll4mi_QKV_mfma4_kernelIDF16_DF16_LN4vllm18Fp8KVCacheDataTypeE0EhLi32ELi64ELi256ELb1ELi2EEvPKT_PKT0_S7_ifPKiS9_S9_iPKfiiiPfSC_PS2_PT2_iSB_SB_ ; -- Begin function _Z38paged_attention_ll4mi_QKV_mfma4_kernelIDF16_DF16_LN4vllm18Fp8KVCacheDataTypeE0EhLi32ELi64ELi256ELb1ELi2EEvPKT_PKT0_S7_ifPKiS9_S9_iPKfiiiPfSC_PS2_PT2_iSB_SB_
	.globl	_Z38paged_attention_ll4mi_QKV_mfma4_kernelIDF16_DF16_LN4vllm18Fp8KVCacheDataTypeE0EhLi32ELi64ELi256ELb1ELi2EEvPKT_PKT0_S7_ifPKiS9_S9_iPKfiiiPfSC_PS2_PT2_iSB_SB_
	.p2align	8
	.type	_Z38paged_attention_ll4mi_QKV_mfma4_kernelIDF16_DF16_LN4vllm18Fp8KVCacheDataTypeE0EhLi32ELi64ELi256ELb1ELi2EEvPKT_PKT0_S7_ifPKiS9_S9_iPKfiiiPfSC_PS2_PT2_iSB_SB_,@function
_Z38paged_attention_ll4mi_QKV_mfma4_kernelIDF16_DF16_LN4vllm18Fp8KVCacheDataTypeE0EhLi32ELi64ELi256ELb1ELi2EEvPKT_PKT0_S7_ifPKiS9_S9_iPKfiiiPfSC_PS2_PT2_iSB_SB_: ; @_Z38paged_attention_ll4mi_QKV_mfma4_kernelIDF16_DF16_LN4vllm18Fp8KVCacheDataTypeE0EhLi32ELi64ELi256ELb1ELi2EEvPKT_PKT0_S7_ifPKiS9_S9_iPKfiiiPfSC_PS2_PT2_iSB_SB_
; %bb.0:
	s_add_u32 s8, s0, 0x90
	s_addc_u32 s9, s1, 0
	s_getpc_b64 s[0:1]
	s_add_u32 s0, s0, __PRETTY_FUNCTION__._Z38paged_attention_ll4mi_QKV_mfma4_kernelIDF16_DF16_LN4vllm18Fp8KVCacheDataTypeE0EhLi32ELi64ELi256ELb1ELi2EEvPKT_PKT0_S7_ifPKiS9_S9_iPKfiiiPfSC_PS2_PT2_iSB_SB_@rel32@lo+4
	s_addc_u32 s1, s1, __PRETTY_FUNCTION__._Z38paged_attention_ll4mi_QKV_mfma4_kernelIDF16_DF16_LN4vllm18Fp8KVCacheDataTypeE0EhLi32ELi64ELi256ELb1ELi2EEvPKT_PKT0_S7_ifPKiS9_S9_iPKfiiiPfSC_PS2_PT2_iSB_SB_@rel32@hi+12
	s_delay_alu instid0(SALU_CYCLE_1) | instskip(SKIP_4) | instid1(SALU_CYCLE_1)
	v_dual_mov_b32 v0, s0 :: v_dual_mov_b32 v1, s1
	s_mov_b32 s32, 0
	s_getpc_b64 s[2:3]
	s_add_u32 s2, s2, __assert_fail@rel32@lo+4
	s_addc_u32 s3, s3, __assert_fail@rel32@hi+12
	s_swappc_b64 s[30:31], s[2:3]
	.section	.rodata,"a",@progbits
	.p2align	6, 0x0
	.amdhsa_kernel _Z38paged_attention_ll4mi_QKV_mfma4_kernelIDF16_DF16_LN4vllm18Fp8KVCacheDataTypeE0EhLi32ELi64ELi256ELb1ELi2EEvPKT_PKT0_S7_ifPKiS9_S9_iPKfiiiPfSC_PS2_PT2_iSB_SB_
		.amdhsa_group_segment_fixed_size 0
		.amdhsa_private_segment_fixed_size 64
		.amdhsa_kernarg_size 400
		.amdhsa_user_sgpr_count 15
		.amdhsa_user_sgpr_dispatch_ptr 0
		.amdhsa_user_sgpr_queue_ptr 0
		.amdhsa_user_sgpr_kernarg_segment_ptr 1
		.amdhsa_user_sgpr_dispatch_id 0
		.amdhsa_user_sgpr_private_segment_size 0
		.amdhsa_wavefront_size32 1
		.amdhsa_uses_dynamic_stack 0
		.amdhsa_enable_private_segment 1
		.amdhsa_system_sgpr_workgroup_id_x 1
		.amdhsa_system_sgpr_workgroup_id_y 0
		.amdhsa_system_sgpr_workgroup_id_z 0
		.amdhsa_system_sgpr_workgroup_info 0
		.amdhsa_system_vgpr_workitem_id 0
		.amdhsa_next_free_vgpr 41
		.amdhsa_next_free_sgpr 34
		.amdhsa_reserve_vcc 1
		.amdhsa_float_round_mode_32 0
		.amdhsa_float_round_mode_16_64 0
		.amdhsa_float_denorm_mode_32 3
		.amdhsa_float_denorm_mode_16_64 3
		.amdhsa_dx10_clamp 1
		.amdhsa_ieee_mode 1
		.amdhsa_fp16_overflow 0
		.amdhsa_workgroup_processor_mode 1
		.amdhsa_memory_ordered 1
		.amdhsa_forward_progress 0
		.amdhsa_shared_vgpr_count 0
		.amdhsa_exception_fp_ieee_invalid_op 0
		.amdhsa_exception_fp_denorm_src 0
		.amdhsa_exception_fp_ieee_div_zero 0
		.amdhsa_exception_fp_ieee_overflow 0
		.amdhsa_exception_fp_ieee_underflow 0
		.amdhsa_exception_fp_ieee_inexact 0
		.amdhsa_exception_int_div_zero 0
	.end_amdhsa_kernel
	.section	.text._Z38paged_attention_ll4mi_QKV_mfma4_kernelIDF16_DF16_LN4vllm18Fp8KVCacheDataTypeE0EhLi32ELi64ELi256ELb1ELi2EEvPKT_PKT0_S7_ifPKiS9_S9_iPKfiiiPfSC_PS2_PT2_iSB_SB_,"axG",@progbits,_Z38paged_attention_ll4mi_QKV_mfma4_kernelIDF16_DF16_LN4vllm18Fp8KVCacheDataTypeE0EhLi32ELi64ELi256ELb1ELi2EEvPKT_PKT0_S7_ifPKiS9_S9_iPKfiiiPfSC_PS2_PT2_iSB_SB_,comdat
.Lfunc_end115:
	.size	_Z38paged_attention_ll4mi_QKV_mfma4_kernelIDF16_DF16_LN4vllm18Fp8KVCacheDataTypeE0EhLi32ELi64ELi256ELb1ELi2EEvPKT_PKT0_S7_ifPKiS9_S9_iPKfiiiPfSC_PS2_PT2_iSB_SB_, .Lfunc_end115-_Z38paged_attention_ll4mi_QKV_mfma4_kernelIDF16_DF16_LN4vllm18Fp8KVCacheDataTypeE0EhLi32ELi64ELi256ELb1ELi2EEvPKT_PKT0_S7_ifPKiS9_S9_iPKfiiiPfSC_PS2_PT2_iSB_SB_
                                        ; -- End function
	.section	.AMDGPU.csdata,"",@progbits
; Kernel info:
; codeLenInByte = 72
; NumSgprs: 36
; NumVgprs: 41
; ScratchSize: 64
; MemoryBound: 0
; FloatMode: 240
; IeeeMode: 1
; LDSByteSize: 0 bytes/workgroup (compile time only)
; SGPRBlocks: 4
; VGPRBlocks: 5
; NumSGPRsForWavesPerEU: 36
; NumVGPRsForWavesPerEU: 41
; Occupancy: 16
; WaveLimiterHint : 1
; COMPUTE_PGM_RSRC2:SCRATCH_EN: 1
; COMPUTE_PGM_RSRC2:USER_SGPR: 15
; COMPUTE_PGM_RSRC2:TRAP_HANDLER: 0
; COMPUTE_PGM_RSRC2:TGID_X_EN: 1
; COMPUTE_PGM_RSRC2:TGID_Y_EN: 0
; COMPUTE_PGM_RSRC2:TGID_Z_EN: 0
; COMPUTE_PGM_RSRC2:TIDIG_COMP_CNT: 0
	.section	.text._Z38paged_attention_ll4mi_QKV_mfma4_kernelIDF16_DF16_LN4vllm18Fp8KVCacheDataTypeE0EhLi32ELi64ELi256ELb1ELi3EEvPKT_PKT0_S7_ifPKiS9_S9_iPKfiiiPfSC_PS2_PT2_iSB_SB_,"axG",@progbits,_Z38paged_attention_ll4mi_QKV_mfma4_kernelIDF16_DF16_LN4vllm18Fp8KVCacheDataTypeE0EhLi32ELi64ELi256ELb1ELi3EEvPKT_PKT0_S7_ifPKiS9_S9_iPKfiiiPfSC_PS2_PT2_iSB_SB_,comdat
	.protected	_Z38paged_attention_ll4mi_QKV_mfma4_kernelIDF16_DF16_LN4vllm18Fp8KVCacheDataTypeE0EhLi32ELi64ELi256ELb1ELi3EEvPKT_PKT0_S7_ifPKiS9_S9_iPKfiiiPfSC_PS2_PT2_iSB_SB_ ; -- Begin function _Z38paged_attention_ll4mi_QKV_mfma4_kernelIDF16_DF16_LN4vllm18Fp8KVCacheDataTypeE0EhLi32ELi64ELi256ELb1ELi3EEvPKT_PKT0_S7_ifPKiS9_S9_iPKfiiiPfSC_PS2_PT2_iSB_SB_
	.globl	_Z38paged_attention_ll4mi_QKV_mfma4_kernelIDF16_DF16_LN4vllm18Fp8KVCacheDataTypeE0EhLi32ELi64ELi256ELb1ELi3EEvPKT_PKT0_S7_ifPKiS9_S9_iPKfiiiPfSC_PS2_PT2_iSB_SB_
	.p2align	8
	.type	_Z38paged_attention_ll4mi_QKV_mfma4_kernelIDF16_DF16_LN4vllm18Fp8KVCacheDataTypeE0EhLi32ELi64ELi256ELb1ELi3EEvPKT_PKT0_S7_ifPKiS9_S9_iPKfiiiPfSC_PS2_PT2_iSB_SB_,@function
_Z38paged_attention_ll4mi_QKV_mfma4_kernelIDF16_DF16_LN4vllm18Fp8KVCacheDataTypeE0EhLi32ELi64ELi256ELb1ELi3EEvPKT_PKT0_S7_ifPKiS9_S9_iPKfiiiPfSC_PS2_PT2_iSB_SB_: ; @_Z38paged_attention_ll4mi_QKV_mfma4_kernelIDF16_DF16_LN4vllm18Fp8KVCacheDataTypeE0EhLi32ELi64ELi256ELb1ELi3EEvPKT_PKT0_S7_ifPKiS9_S9_iPKfiiiPfSC_PS2_PT2_iSB_SB_
; %bb.0:
	s_add_u32 s8, s0, 0x90
	s_addc_u32 s9, s1, 0
	s_getpc_b64 s[0:1]
	s_add_u32 s0, s0, __PRETTY_FUNCTION__._Z38paged_attention_ll4mi_QKV_mfma4_kernelIDF16_DF16_LN4vllm18Fp8KVCacheDataTypeE0EhLi32ELi64ELi256ELb1ELi3EEvPKT_PKT0_S7_ifPKiS9_S9_iPKfiiiPfSC_PS2_PT2_iSB_SB_@rel32@lo+4
	s_addc_u32 s1, s1, __PRETTY_FUNCTION__._Z38paged_attention_ll4mi_QKV_mfma4_kernelIDF16_DF16_LN4vllm18Fp8KVCacheDataTypeE0EhLi32ELi64ELi256ELb1ELi3EEvPKT_PKT0_S7_ifPKiS9_S9_iPKfiiiPfSC_PS2_PT2_iSB_SB_@rel32@hi+12
	s_delay_alu instid0(SALU_CYCLE_1) | instskip(SKIP_4) | instid1(SALU_CYCLE_1)
	v_dual_mov_b32 v0, s0 :: v_dual_mov_b32 v1, s1
	s_mov_b32 s32, 0
	s_getpc_b64 s[2:3]
	s_add_u32 s2, s2, __assert_fail@rel32@lo+4
	s_addc_u32 s3, s3, __assert_fail@rel32@hi+12
	s_swappc_b64 s[30:31], s[2:3]
	.section	.rodata,"a",@progbits
	.p2align	6, 0x0
	.amdhsa_kernel _Z38paged_attention_ll4mi_QKV_mfma4_kernelIDF16_DF16_LN4vllm18Fp8KVCacheDataTypeE0EhLi32ELi64ELi256ELb1ELi3EEvPKT_PKT0_S7_ifPKiS9_S9_iPKfiiiPfSC_PS2_PT2_iSB_SB_
		.amdhsa_group_segment_fixed_size 0
		.amdhsa_private_segment_fixed_size 64
		.amdhsa_kernarg_size 400
		.amdhsa_user_sgpr_count 15
		.amdhsa_user_sgpr_dispatch_ptr 0
		.amdhsa_user_sgpr_queue_ptr 0
		.amdhsa_user_sgpr_kernarg_segment_ptr 1
		.amdhsa_user_sgpr_dispatch_id 0
		.amdhsa_user_sgpr_private_segment_size 0
		.amdhsa_wavefront_size32 1
		.amdhsa_uses_dynamic_stack 0
		.amdhsa_enable_private_segment 1
		.amdhsa_system_sgpr_workgroup_id_x 1
		.amdhsa_system_sgpr_workgroup_id_y 0
		.amdhsa_system_sgpr_workgroup_id_z 0
		.amdhsa_system_sgpr_workgroup_info 0
		.amdhsa_system_vgpr_workitem_id 0
		.amdhsa_next_free_vgpr 41
		.amdhsa_next_free_sgpr 34
		.amdhsa_reserve_vcc 1
		.amdhsa_float_round_mode_32 0
		.amdhsa_float_round_mode_16_64 0
		.amdhsa_float_denorm_mode_32 3
		.amdhsa_float_denorm_mode_16_64 3
		.amdhsa_dx10_clamp 1
		.amdhsa_ieee_mode 1
		.amdhsa_fp16_overflow 0
		.amdhsa_workgroup_processor_mode 1
		.amdhsa_memory_ordered 1
		.amdhsa_forward_progress 0
		.amdhsa_shared_vgpr_count 0
		.amdhsa_exception_fp_ieee_invalid_op 0
		.amdhsa_exception_fp_denorm_src 0
		.amdhsa_exception_fp_ieee_div_zero 0
		.amdhsa_exception_fp_ieee_overflow 0
		.amdhsa_exception_fp_ieee_underflow 0
		.amdhsa_exception_fp_ieee_inexact 0
		.amdhsa_exception_int_div_zero 0
	.end_amdhsa_kernel
	.section	.text._Z38paged_attention_ll4mi_QKV_mfma4_kernelIDF16_DF16_LN4vllm18Fp8KVCacheDataTypeE0EhLi32ELi64ELi256ELb1ELi3EEvPKT_PKT0_S7_ifPKiS9_S9_iPKfiiiPfSC_PS2_PT2_iSB_SB_,"axG",@progbits,_Z38paged_attention_ll4mi_QKV_mfma4_kernelIDF16_DF16_LN4vllm18Fp8KVCacheDataTypeE0EhLi32ELi64ELi256ELb1ELi3EEvPKT_PKT0_S7_ifPKiS9_S9_iPKfiiiPfSC_PS2_PT2_iSB_SB_,comdat
.Lfunc_end116:
	.size	_Z38paged_attention_ll4mi_QKV_mfma4_kernelIDF16_DF16_LN4vllm18Fp8KVCacheDataTypeE0EhLi32ELi64ELi256ELb1ELi3EEvPKT_PKT0_S7_ifPKiS9_S9_iPKfiiiPfSC_PS2_PT2_iSB_SB_, .Lfunc_end116-_Z38paged_attention_ll4mi_QKV_mfma4_kernelIDF16_DF16_LN4vllm18Fp8KVCacheDataTypeE0EhLi32ELi64ELi256ELb1ELi3EEvPKT_PKT0_S7_ifPKiS9_S9_iPKfiiiPfSC_PS2_PT2_iSB_SB_
                                        ; -- End function
	.section	.AMDGPU.csdata,"",@progbits
; Kernel info:
; codeLenInByte = 72
; NumSgprs: 36
; NumVgprs: 41
; ScratchSize: 64
; MemoryBound: 0
; FloatMode: 240
; IeeeMode: 1
; LDSByteSize: 0 bytes/workgroup (compile time only)
; SGPRBlocks: 4
; VGPRBlocks: 5
; NumSGPRsForWavesPerEU: 36
; NumVGPRsForWavesPerEU: 41
; Occupancy: 16
; WaveLimiterHint : 1
; COMPUTE_PGM_RSRC2:SCRATCH_EN: 1
; COMPUTE_PGM_RSRC2:USER_SGPR: 15
; COMPUTE_PGM_RSRC2:TRAP_HANDLER: 0
; COMPUTE_PGM_RSRC2:TGID_X_EN: 1
; COMPUTE_PGM_RSRC2:TGID_Y_EN: 0
; COMPUTE_PGM_RSRC2:TGID_Z_EN: 0
; COMPUTE_PGM_RSRC2:TIDIG_COMP_CNT: 0
	.section	.text._Z38paged_attention_ll4mi_QKV_mfma4_kernelIDF16_DF16_LN4vllm18Fp8KVCacheDataTypeE0EhLi32ELi64ELi256ELb1ELi4EEvPKT_PKT0_S7_ifPKiS9_S9_iPKfiiiPfSC_PS2_PT2_iSB_SB_,"axG",@progbits,_Z38paged_attention_ll4mi_QKV_mfma4_kernelIDF16_DF16_LN4vllm18Fp8KVCacheDataTypeE0EhLi32ELi64ELi256ELb1ELi4EEvPKT_PKT0_S7_ifPKiS9_S9_iPKfiiiPfSC_PS2_PT2_iSB_SB_,comdat
	.protected	_Z38paged_attention_ll4mi_QKV_mfma4_kernelIDF16_DF16_LN4vllm18Fp8KVCacheDataTypeE0EhLi32ELi64ELi256ELb1ELi4EEvPKT_PKT0_S7_ifPKiS9_S9_iPKfiiiPfSC_PS2_PT2_iSB_SB_ ; -- Begin function _Z38paged_attention_ll4mi_QKV_mfma4_kernelIDF16_DF16_LN4vllm18Fp8KVCacheDataTypeE0EhLi32ELi64ELi256ELb1ELi4EEvPKT_PKT0_S7_ifPKiS9_S9_iPKfiiiPfSC_PS2_PT2_iSB_SB_
	.globl	_Z38paged_attention_ll4mi_QKV_mfma4_kernelIDF16_DF16_LN4vllm18Fp8KVCacheDataTypeE0EhLi32ELi64ELi256ELb1ELi4EEvPKT_PKT0_S7_ifPKiS9_S9_iPKfiiiPfSC_PS2_PT2_iSB_SB_
	.p2align	8
	.type	_Z38paged_attention_ll4mi_QKV_mfma4_kernelIDF16_DF16_LN4vllm18Fp8KVCacheDataTypeE0EhLi32ELi64ELi256ELb1ELi4EEvPKT_PKT0_S7_ifPKiS9_S9_iPKfiiiPfSC_PS2_PT2_iSB_SB_,@function
_Z38paged_attention_ll4mi_QKV_mfma4_kernelIDF16_DF16_LN4vllm18Fp8KVCacheDataTypeE0EhLi32ELi64ELi256ELb1ELi4EEvPKT_PKT0_S7_ifPKiS9_S9_iPKfiiiPfSC_PS2_PT2_iSB_SB_: ; @_Z38paged_attention_ll4mi_QKV_mfma4_kernelIDF16_DF16_LN4vllm18Fp8KVCacheDataTypeE0EhLi32ELi64ELi256ELb1ELi4EEvPKT_PKT0_S7_ifPKiS9_S9_iPKfiiiPfSC_PS2_PT2_iSB_SB_
; %bb.0:
	s_add_u32 s8, s0, 0x90
	s_addc_u32 s9, s1, 0
	s_getpc_b64 s[0:1]
	s_add_u32 s0, s0, __PRETTY_FUNCTION__._Z38paged_attention_ll4mi_QKV_mfma4_kernelIDF16_DF16_LN4vllm18Fp8KVCacheDataTypeE0EhLi32ELi64ELi256ELb1ELi4EEvPKT_PKT0_S7_ifPKiS9_S9_iPKfiiiPfSC_PS2_PT2_iSB_SB_@rel32@lo+4
	s_addc_u32 s1, s1, __PRETTY_FUNCTION__._Z38paged_attention_ll4mi_QKV_mfma4_kernelIDF16_DF16_LN4vllm18Fp8KVCacheDataTypeE0EhLi32ELi64ELi256ELb1ELi4EEvPKT_PKT0_S7_ifPKiS9_S9_iPKfiiiPfSC_PS2_PT2_iSB_SB_@rel32@hi+12
	s_delay_alu instid0(SALU_CYCLE_1) | instskip(SKIP_4) | instid1(SALU_CYCLE_1)
	v_dual_mov_b32 v0, s0 :: v_dual_mov_b32 v1, s1
	s_mov_b32 s32, 0
	s_getpc_b64 s[2:3]
	s_add_u32 s2, s2, __assert_fail@rel32@lo+4
	s_addc_u32 s3, s3, __assert_fail@rel32@hi+12
	s_swappc_b64 s[30:31], s[2:3]
	.section	.rodata,"a",@progbits
	.p2align	6, 0x0
	.amdhsa_kernel _Z38paged_attention_ll4mi_QKV_mfma4_kernelIDF16_DF16_LN4vllm18Fp8KVCacheDataTypeE0EhLi32ELi64ELi256ELb1ELi4EEvPKT_PKT0_S7_ifPKiS9_S9_iPKfiiiPfSC_PS2_PT2_iSB_SB_
		.amdhsa_group_segment_fixed_size 0
		.amdhsa_private_segment_fixed_size 64
		.amdhsa_kernarg_size 400
		.amdhsa_user_sgpr_count 15
		.amdhsa_user_sgpr_dispatch_ptr 0
		.amdhsa_user_sgpr_queue_ptr 0
		.amdhsa_user_sgpr_kernarg_segment_ptr 1
		.amdhsa_user_sgpr_dispatch_id 0
		.amdhsa_user_sgpr_private_segment_size 0
		.amdhsa_wavefront_size32 1
		.amdhsa_uses_dynamic_stack 0
		.amdhsa_enable_private_segment 1
		.amdhsa_system_sgpr_workgroup_id_x 1
		.amdhsa_system_sgpr_workgroup_id_y 0
		.amdhsa_system_sgpr_workgroup_id_z 0
		.amdhsa_system_sgpr_workgroup_info 0
		.amdhsa_system_vgpr_workitem_id 0
		.amdhsa_next_free_vgpr 41
		.amdhsa_next_free_sgpr 34
		.amdhsa_reserve_vcc 1
		.amdhsa_float_round_mode_32 0
		.amdhsa_float_round_mode_16_64 0
		.amdhsa_float_denorm_mode_32 3
		.amdhsa_float_denorm_mode_16_64 3
		.amdhsa_dx10_clamp 1
		.amdhsa_ieee_mode 1
		.amdhsa_fp16_overflow 0
		.amdhsa_workgroup_processor_mode 1
		.amdhsa_memory_ordered 1
		.amdhsa_forward_progress 0
		.amdhsa_shared_vgpr_count 0
		.amdhsa_exception_fp_ieee_invalid_op 0
		.amdhsa_exception_fp_denorm_src 0
		.amdhsa_exception_fp_ieee_div_zero 0
		.amdhsa_exception_fp_ieee_overflow 0
		.amdhsa_exception_fp_ieee_underflow 0
		.amdhsa_exception_fp_ieee_inexact 0
		.amdhsa_exception_int_div_zero 0
	.end_amdhsa_kernel
	.section	.text._Z38paged_attention_ll4mi_QKV_mfma4_kernelIDF16_DF16_LN4vllm18Fp8KVCacheDataTypeE0EhLi32ELi64ELi256ELb1ELi4EEvPKT_PKT0_S7_ifPKiS9_S9_iPKfiiiPfSC_PS2_PT2_iSB_SB_,"axG",@progbits,_Z38paged_attention_ll4mi_QKV_mfma4_kernelIDF16_DF16_LN4vllm18Fp8KVCacheDataTypeE0EhLi32ELi64ELi256ELb1ELi4EEvPKT_PKT0_S7_ifPKiS9_S9_iPKfiiiPfSC_PS2_PT2_iSB_SB_,comdat
.Lfunc_end117:
	.size	_Z38paged_attention_ll4mi_QKV_mfma4_kernelIDF16_DF16_LN4vllm18Fp8KVCacheDataTypeE0EhLi32ELi64ELi256ELb1ELi4EEvPKT_PKT0_S7_ifPKiS9_S9_iPKfiiiPfSC_PS2_PT2_iSB_SB_, .Lfunc_end117-_Z38paged_attention_ll4mi_QKV_mfma4_kernelIDF16_DF16_LN4vllm18Fp8KVCacheDataTypeE0EhLi32ELi64ELi256ELb1ELi4EEvPKT_PKT0_S7_ifPKiS9_S9_iPKfiiiPfSC_PS2_PT2_iSB_SB_
                                        ; -- End function
	.section	.AMDGPU.csdata,"",@progbits
; Kernel info:
; codeLenInByte = 72
; NumSgprs: 36
; NumVgprs: 41
; ScratchSize: 64
; MemoryBound: 0
; FloatMode: 240
; IeeeMode: 1
; LDSByteSize: 0 bytes/workgroup (compile time only)
; SGPRBlocks: 4
; VGPRBlocks: 5
; NumSGPRsForWavesPerEU: 36
; NumVGPRsForWavesPerEU: 41
; Occupancy: 16
; WaveLimiterHint : 1
; COMPUTE_PGM_RSRC2:SCRATCH_EN: 1
; COMPUTE_PGM_RSRC2:USER_SGPR: 15
; COMPUTE_PGM_RSRC2:TRAP_HANDLER: 0
; COMPUTE_PGM_RSRC2:TGID_X_EN: 1
; COMPUTE_PGM_RSRC2:TGID_Y_EN: 0
; COMPUTE_PGM_RSRC2:TGID_Z_EN: 0
; COMPUTE_PGM_RSRC2:TIDIG_COMP_CNT: 0
	.section	.text._Z39paged_attention_ll4mi_QKV_mfma16_kernelIDF16_DF16_LN4vllm18Fp8KVCacheDataTypeE0EhLi32ELi64ELi256ELb1ELi5EL8MFMAType0EEvPKT_PKT0_S8_ifPKiSA_SA_iPKfiiiPfSD_PS3_PT2_iSC_SC_,"axG",@progbits,_Z39paged_attention_ll4mi_QKV_mfma16_kernelIDF16_DF16_LN4vllm18Fp8KVCacheDataTypeE0EhLi32ELi64ELi256ELb1ELi5EL8MFMAType0EEvPKT_PKT0_S8_ifPKiSA_SA_iPKfiiiPfSD_PS3_PT2_iSC_SC_,comdat
	.protected	_Z39paged_attention_ll4mi_QKV_mfma16_kernelIDF16_DF16_LN4vllm18Fp8KVCacheDataTypeE0EhLi32ELi64ELi256ELb1ELi5EL8MFMAType0EEvPKT_PKT0_S8_ifPKiSA_SA_iPKfiiiPfSD_PS3_PT2_iSC_SC_ ; -- Begin function _Z39paged_attention_ll4mi_QKV_mfma16_kernelIDF16_DF16_LN4vllm18Fp8KVCacheDataTypeE0EhLi32ELi64ELi256ELb1ELi5EL8MFMAType0EEvPKT_PKT0_S8_ifPKiSA_SA_iPKfiiiPfSD_PS3_PT2_iSC_SC_
	.globl	_Z39paged_attention_ll4mi_QKV_mfma16_kernelIDF16_DF16_LN4vllm18Fp8KVCacheDataTypeE0EhLi32ELi64ELi256ELb1ELi5EL8MFMAType0EEvPKT_PKT0_S8_ifPKiSA_SA_iPKfiiiPfSD_PS3_PT2_iSC_SC_
	.p2align	8
	.type	_Z39paged_attention_ll4mi_QKV_mfma16_kernelIDF16_DF16_LN4vllm18Fp8KVCacheDataTypeE0EhLi32ELi64ELi256ELb1ELi5EL8MFMAType0EEvPKT_PKT0_S8_ifPKiSA_SA_iPKfiiiPfSD_PS3_PT2_iSC_SC_,@function
_Z39paged_attention_ll4mi_QKV_mfma16_kernelIDF16_DF16_LN4vllm18Fp8KVCacheDataTypeE0EhLi32ELi64ELi256ELb1ELi5EL8MFMAType0EEvPKT_PKT0_S8_ifPKiSA_SA_iPKfiiiPfSD_PS3_PT2_iSC_SC_: ; @_Z39paged_attention_ll4mi_QKV_mfma16_kernelIDF16_DF16_LN4vllm18Fp8KVCacheDataTypeE0EhLi32ELi64ELi256ELb1ELi5EL8MFMAType0EEvPKT_PKT0_S8_ifPKiSA_SA_iPKfiiiPfSD_PS3_PT2_iSC_SC_
; %bb.0:
	s_load_b64 s[2:3], s[0:1], 0x30
	s_mov_b32 s34, s13
	s_waitcnt lgkmcnt(0)
	s_cmp_lg_u64 s[2:3], 0
	s_cselect_b32 s6, -1, 0
	s_ashr_i32 s35, s13, 31
	s_cmp_eq_u64 s[2:3], 0
	s_cbranch_scc1 .LBB118_3
; %bb.1:
	s_lshl_b64 s[4:5], s[34:35], 2
	s_delay_alu instid0(SALU_CYCLE_1) | instskip(SKIP_4) | instid1(SALU_CYCLE_1)
	s_add_u32 s4, s2, s4
	s_addc_u32 s5, s3, s5
	s_load_b64 s[4:5], s[4:5], 0x0
	s_waitcnt lgkmcnt(0)
	s_sub_i32 s4, s5, s4
	s_cmp_eq_u32 s4, 1
	s_cselect_b32 s4, -1, 0
	s_delay_alu instid0(SALU_CYCLE_1)
	s_and_not1_b32 vcc_lo, exec_lo, s4
	s_cbranch_vccz .LBB118_4
.LBB118_2:
	s_nop 0
	s_sendmsg sendmsg(MSG_DEALLOC_VGPRS)
	s_endpgm
.LBB118_3:
.LBB118_4:
	s_load_b64 s[8:9], s[0:1], 0x28
	s_lshl_b64 s[4:5], s[34:35], 2
	s_waitcnt lgkmcnt(0)
	s_add_u32 s8, s8, s4
	s_addc_u32 s9, s9, s5
	s_lshl_b32 s16, s14, 8
	s_load_b32 s18, s[8:9], 0x0
	s_waitcnt lgkmcnt(0)
	s_cmp_ge_i32 s16, s18
	s_cbranch_scc1 .LBB118_2
; %bb.5:
	s_and_not1_b32 vcc_lo, exec_lo, s6
	s_cbranch_vccnz .LBB118_7
; %bb.6:
	s_add_u32 s2, s2, s4
	s_addc_u32 s3, s3, s5
	s_load_b32 s17, s[2:3], 0x0
	s_branch .LBB118_8
.LBB118_7:
	s_mov_b32 s17, s34
.LBB118_8:
	s_clause 0x2
	s_load_b128 s[8:11], s[0:1], 0x8
	s_load_b64 s[12:13], s[0:1], 0x20
	s_load_b128 s[4:7], s[0:1], 0x48
	v_lshrrev_b32_e32 v78, 5, v0
	v_bfe_u32 v75, v0, 4, 1
	v_and_b32_e32 v77, 15, v0
	s_delay_alu instid0(VALU_DEP_2) | instskip(NEXT) | instid1(VALU_DEP_2)
	v_lshl_or_b32 v3, v78, 1, v75
	v_cmp_lt_u32_e64 s3, 7, v77
	v_lshlrev_b32_e32 v1, 3, v77
	v_cmp_gt_u32_e64 s2, 8, v77
	s_delay_alu instid0(VALU_DEP_4) | instskip(NEXT) | instid1(VALU_DEP_4)
	v_cmp_lt_u32_e32 vcc_lo, 4, v3
	s_or_b32 s3, s3, vcc_lo
	s_waitcnt lgkmcnt(0)
	s_and_saveexec_b32 s7, s3
	s_delay_alu instid0(SALU_CYCLE_1)
	s_xor_b32 s3, exec_lo, s7
; %bb.9:
	v_mov_b32_e32 v2, 0
                                        ; implicit-def: $vgpr3
; %bb.10:
	s_or_saveexec_b32 s3, s3
	v_and_b32_e32 v80, 31, v0
	v_and_b32_e32 v76, 1, v0
	s_mul_i32 s33, s15, 5
	s_xor_b32 exec_lo, exec_lo, s3
	s_cbranch_execz .LBB118_12
; %bb.11:
	s_load_b64 s[20:21], s[0:1], 0x0
	v_add_lshl_u32 v4, v3, s33, 6
	s_mul_hi_i32 s23, s17, s4
	s_mul_i32 s22, s17, s4
	v_lshlrev_b32_e32 v2, 1, v1
	s_lshl_b64 s[22:23], s[22:23], 1
	v_ashrrev_i32_e32 v5, 31, v4
	v_lshlrev_b32_e32 v3, 6, v3
	v_lshlrev_b32_e32 v8, 10, v76
	s_delay_alu instid0(VALU_DEP_3) | instskip(SKIP_3) | instid1(VALU_DEP_1)
	v_lshlrev_b64 v[4:5], 1, v[4:5]
	s_waitcnt lgkmcnt(0)
	s_add_u32 s4, s20, s22
	s_addc_u32 s7, s21, s23
	v_add_co_u32 v4, vcc_lo, s4, v4
	s_delay_alu instid0(VALU_DEP_2) | instskip(NEXT) | instid1(VALU_DEP_2)
	v_add_co_ci_u32_e32 v5, vcc_lo, s7, v5, vcc_lo
	v_add_co_u32 v4, vcc_lo, v4, v2
	s_delay_alu instid0(VALU_DEP_2) | instskip(SKIP_3) | instid1(VALU_DEP_1)
	v_add_co_ci_u32_e32 v5, vcc_lo, 0, v5, vcc_lo
	v_lshlrev_b32_e32 v2, 10, v77
	global_load_b128 v[4:7], v[4:5], off
	v_and_b32_e32 v2, 0x3800, v2
	v_or3_b32 v3, v2, v8, v3
	v_mov_b32_e32 v2, 0
	s_waitcnt vmcnt(0)
	ds_store_b128 v3, v[4:7]
.LBB118_12:
	s_or_b32 exec_lo, exec_lo, s3
	v_and_b32_e32 v3, 0xef, v0
	s_add_i32 s3, s18, 31
	s_clause 0x1
	s_load_b32 s4, s[0:1], 0x38
	s_load_b32 s35, s[0:1], 0x98
	s_ashr_i32 s7, s3, 31
	v_add_nc_u32_e32 v3, s16, v3
	s_lshr_b32 s7, s7, 27
	s_load_b32 s19, s[0:1], 0x1c
	s_add_i32 s3, s3, s7
	s_waitcnt lgkmcnt(0)
	v_ashrrev_i32_e32 v4, 31, v3
	v_cmp_gt_i32_e32 vcc_lo, s18, v3
	s_ashr_i32 s3, s3, 5
	s_barrier
	s_add_i32 s3, s3, -1
	v_lshrrev_b32_e32 v5, 27, v4
	v_or_b32_e32 v4, 16, v3
	buffer_gl0_inv
	s_mul_i32 s6, s15, s6
	v_lshlrev_b64 v[73:74], 1, v[1:2]
	v_add_nc_u32_e32 v6, v3, v5
	v_add_nc_u32_e32 v5, v4, v5
	s_mul_i32 s20, s34, s4
	s_delay_alu instid0(SALU_CYCLE_1) | instskip(NEXT) | instid1(VALU_DEP_2)
	s_ashr_i32 s21, s20, 31
	v_ashrrev_i32_e32 v6, 5, v6
	s_delay_alu instid0(VALU_DEP_2) | instskip(SKIP_1) | instid1(SALU_CYCLE_1)
	v_ashrrev_i32_e32 v5, 5, v5
	s_lshl_b64 s[20:21], s[20:21], 2
	s_add_u32 s4, s12, s20
	s_delay_alu instid0(VALU_DEP_2) | instskip(SKIP_3) | instid1(SALU_CYCLE_1)
	v_cndmask_b32_e32 v3, s3, v6, vcc_lo
	v_cmp_gt_i32_e32 vcc_lo, s18, v4
	s_addc_u32 s17, s13, s21
	s_ashr_i32 s7, s6, 31
	s_lshl_b64 s[6:7], s[6:7], 1
	v_cndmask_b32_e32 v5, s3, v5, vcc_lo
	v_ashrrev_i32_e32 v4, 31, v3
	s_add_u32 s15, s8, s6
	s_addc_u32 s28, s9, s7
	s_lshl_b32 s8, s14, 3
	v_ashrrev_i32_e32 v6, 31, v5
	v_lshlrev_b64 v[3:4], 2, v[3:4]
	s_ashr_i32 s9, s8, 31
	s_delay_alu instid0(SALU_CYCLE_1) | instskip(NEXT) | instid1(VALU_DEP_2)
	s_lshl_b64 s[8:9], s[8:9], 2
	v_lshlrev_b64 v[5:6], 2, v[5:6]
	s_add_u32 s8, s4, s8
	s_delay_alu instid0(VALU_DEP_2) | instskip(SKIP_1) | instid1(VALU_DEP_3)
	v_add_co_u32 v3, vcc_lo, s4, v3
	v_add_co_ci_u32_e32 v4, vcc_lo, s17, v4, vcc_lo
	v_add_co_u32 v5, vcc_lo, s4, v5
	s_delay_alu instid0(VALU_DEP_4)
	v_add_co_ci_u32_e32 v6, vcc_lo, s17, v6, vcc_lo
	s_addc_u32 s9, s17, s9
	s_clause 0x1
	global_load_b32 v7, v[3:4], off
	global_load_b32 v8, v[5:6], off
	s_or_b32 s12, s16, 32
	s_delay_alu instid0(SALU_CYCLE_1) | instskip(SKIP_2) | instid1(SALU_CYCLE_1)
	s_ashr_i32 s13, s12, 5
	s_cmp_lt_i32 s12, s18
	s_cselect_b32 s12, s13, s3
	s_ashr_i32 s13, s12, 31
	s_delay_alu instid0(SALU_CYCLE_1) | instskip(NEXT) | instid1(SALU_CYCLE_1)
	s_lshl_b64 s[12:13], s[12:13], 2
	s_add_u32 s12, s4, s12
	s_addc_u32 s13, s17, s13
	s_or_b32 s20, s16, 64
	s_delay_alu instid0(SALU_CYCLE_1) | instskip(SKIP_2) | instid1(SALU_CYCLE_1)
	s_ashr_i32 s21, s20, 5
	s_cmp_lt_i32 s20, s18
	s_cselect_b32 s20, s21, s3
	s_ashr_i32 s21, s20, 31
	s_delay_alu instid0(SALU_CYCLE_1) | instskip(NEXT) | instid1(SALU_CYCLE_1)
	s_lshl_b64 s[20:21], s[20:21], 2
	s_add_u32 s20, s4, s20
	s_addc_u32 s21, s17, s21
	;; [unrolled: 10-line block ×5, first 2 shown]
	s_clause 0x5
	s_load_b32 s29, s[8:9], 0x0
	s_load_b32 s30, s[12:13], 0x0
	;; [unrolled: 1-line block ×6, first 2 shown]
	s_or_b32 s8, s16, 0xc0
	s_mov_b32 s20, 0
	s_ashr_i32 s9, s8, 5
	s_cmp_lt_i32 s8, s18
	s_mov_b32 s27, s20
	s_cselect_b32 s8, s9, s3
	s_mov_b32 s21, s20
	s_ashr_i32 s9, s8, 31
	s_mov_b32 s22, s20
	s_lshl_b64 s[8:9], s[8:9], 2
	s_mov_b32 s23, s20
	s_add_u32 s8, s4, s8
	s_mov_b32 s24, s20
	s_mov_b32 s25, s20
	;; [unrolled: 1-line block ×3, first 2 shown]
	s_addc_u32 s9, s17, s9
	v_dual_mov_b32 v128, s27 :: v_dual_lshlrev_b32 v79, 6, v77
	v_dual_mov_b32 v122, s21 :: v_dual_mov_b32 v127, s26
	v_dual_mov_b32 v126, s25 :: v_dual_mov_b32 v125, s24
	v_dual_mov_b32 v124, s23 :: v_dual_mov_b32 v123, s22
	v_mov_b32_e32 v121, s20
	s_waitcnt lgkmcnt(0)
	s_mul_hi_i32 s13, s29, s5
	s_mul_i32 s12, s29, s5
	v_lshl_or_b32 v33, v78, 10, v79
	s_mul_hi_i32 s21, s30, s5
	s_mul_i32 s20, s30, s5
	s_mul_hi_i32 s25, s31, s5
	s_mul_i32 s24, s31, s5
	;; [unrolled: 2-line block ×4, first 2 shown]
	s_waitcnt vmcnt(1)
	v_mad_i64_i32 v[3:4], null, v7, s5, 0
	s_waitcnt vmcnt(0)
	v_mad_i64_i32 v[5:6], null, v8, s5, 0
	s_delay_alu instid0(VALU_DEP_2) | instskip(NEXT) | instid1(VALU_DEP_2)
	v_lshlrev_b64 v[3:4], 1, v[3:4]
	v_lshlrev_b64 v[1:2], 1, v[5:6]
	s_delay_alu instid0(VALU_DEP_2) | instskip(NEXT) | instid1(VALU_DEP_3)
	v_add_co_u32 v3, vcc_lo, s15, v3
	v_add_co_ci_u32_e32 v4, vcc_lo, s28, v4, vcc_lo
	s_delay_alu instid0(VALU_DEP_3) | instskip(NEXT) | instid1(VALU_DEP_4)
	v_add_co_u32 v1, vcc_lo, s15, v1
	v_add_co_ci_u32_e32 v2, vcc_lo, s28, v2, vcc_lo
	s_delay_alu instid0(VALU_DEP_4) | instskip(NEXT) | instid1(VALU_DEP_4)
	v_add_co_u32 v25, vcc_lo, v3, v73
	v_add_co_ci_u32_e32 v26, vcc_lo, v4, v74, vcc_lo
	s_delay_alu instid0(VALU_DEP_4) | instskip(NEXT) | instid1(VALU_DEP_4)
	v_add_co_u32 v27, vcc_lo, v1, v73
	v_add_co_ci_u32_e32 v28, vcc_lo, v2, v74, vcc_lo
	s_clause 0xf
	global_load_b128 v[1:4], v[25:26], off
	global_load_b128 v[5:8], v[25:26], off offset:512
	global_load_b128 v[9:12], v[27:28], off offset:256
	;; [unrolled: 1-line block ×15, first 2 shown]
	v_mul_lo_u16 v25, v77, 52
	s_or_b32 s15, s16, 0xe0
	s_delay_alu instid0(SALU_CYCLE_1) | instskip(SKIP_1) | instid1(VALU_DEP_1)
	s_ashr_i32 s22, s15, 5
	s_cmp_lt_i32 s15, s18
	v_lshrrev_b16 v25, 8, v25
	s_cselect_b32 s22, s22, s3
	s_delay_alu instid0(SALU_CYCLE_1) | instskip(NEXT) | instid1(VALU_DEP_1)
	s_ashr_i32 s23, s22, 31
	v_mul_lo_u16 v25, v25, 5
	s_lshl_b64 s[22:23], s[22:23], 2
	s_delay_alu instid0(SALU_CYCLE_1) | instskip(SKIP_1) | instid1(VALU_DEP_1)
	s_add_u32 s22, s4, s22
	s_addc_u32 s23, s17, s23
	v_sub_nc_u16 v25, v77, v25
	s_add_i32 s15, s16, 0x100
	s_delay_alu instid0(SALU_CYCLE_1) | instskip(SKIP_1) | instid1(VALU_DEP_1)
	s_ashr_i32 s28, s15, 5
	s_cmp_lt_i32 s15, s18
	v_and_b32_e32 v25, 0xff, v25
	s_cselect_b32 s28, s28, s3
	s_delay_alu instid0(SALU_CYCLE_1) | instskip(NEXT) | instid1(VALU_DEP_1)
	s_ashr_i32 s29, s28, 31
	v_lshlrev_b32_e32 v151, 6, v25
	s_lshl_b64 s[28:29], s[28:29], 2
	ds_load_b128 v[25:28], v151
	ds_load_b128 v[29:32], v151 offset:1024
	s_add_u32 s28, s4, s28
	s_addc_u32 s29, s17, s29
	s_add_u32 s3, s10, s6
	ds_load_b128 v[129:132], v151 offset:2048
	ds_load_b128 v[133:136], v151 offset:3072
	s_clause 0x2
	s_load_b32 s15, s[8:9], 0x0
	s_load_b32 s4, s[22:23], 0x0
	;; [unrolled: 1-line block ×3, first 2 shown]
	s_addc_u32 s28, s11, s7
	v_add_co_u32 v152, s3, s3, v33
	s_delay_alu instid0(VALU_DEP_1) | instskip(SKIP_2) | instid1(VALU_DEP_2)
	v_add_co_ci_u32_e64 v153, null, s28, 0, s3
	s_lshl_b64 s[6:7], s[12:13], 1
	s_lshl_b64 s[10:11], s[20:21], 1
	v_add_co_u32 v33, vcc_lo, v152, s6
	s_delay_alu instid0(VALU_DEP_2)
	v_add_co_ci_u32_e32 v34, vcc_lo, s7, v153, vcc_lo
	v_add_co_u32 v35, vcc_lo, v152, s10
	s_lshl_b64 s[12:13], s[24:25], 1
	v_add_co_ci_u32_e32 v36, vcc_lo, s11, v153, vcc_lo
	v_add_co_u32 v37, vcc_lo, v152, s12
	s_lshl_b64 s[20:21], s[26:27], 1
	s_mul_hi_i32 s9, s37, s5
	s_mul_i32 s8, s37, s5
	v_add_co_ci_u32_e32 v38, vcc_lo, s13, v153, vcc_lo
	v_add_co_u32 v39, vcc_lo, v152, s20
	s_lshl_b64 s[8:9], s[8:9], 1
	v_add_co_ci_u32_e32 v40, vcc_lo, s21, v153, vcc_lo
	v_add_co_u32 v145, vcc_lo, v152, s8
	s_lshl_b64 s[22:23], s[30:31], 1
	s_waitcnt lgkmcnt(0)
	s_mul_hi_i32 s25, s15, s5
	s_mul_i32 s24, s15, s5
	v_add_co_ci_u32_e32 v146, vcc_lo, s9, v153, vcc_lo
	v_add_co_u32 v147, vcc_lo, v152, s22
	s_lshl_b64 s[24:25], s[24:25], 1
	v_add_co_ci_u32_e32 v148, vcc_lo, s23, v153, vcc_lo
	s_mul_hi_i32 s7, s4, s5
	s_mul_i32 s6, s4, s5
	v_add_co_u32 v149, vcc_lo, v152, s24
	s_lshl_b64 s[6:7], s[6:7], 1
	v_add_co_ci_u32_e32 v150, vcc_lo, s25, v153, vcc_lo
	s_clause 0x7
	global_load_b128 v[65:68], v[33:34], off
	global_load_b128 v[69:72], v[33:34], off offset:16
	global_load_b128 v[57:60], v[35:36], off
	global_load_b128 v[61:64], v[35:36], off offset:16
	;; [unrolled: 2-line block ×4, first 2 shown]
	s_waitcnt vmcnt(22)
	v_wmma_f32_16x16x16_f16 v[137:144], v[1:8], v[25:32], v[121:128]
	s_waitcnt vmcnt(20)
	v_wmma_f32_16x16x16_f16 v[121:128], v[9:16], v[25:32], v[121:128]
	v_add_co_u32 v29, vcc_lo, v152, s6
	v_add_co_ci_u32_e32 v30, vcc_lo, s7, v153, vcc_lo
	s_mul_hi_i32 s7, s17, s5
	s_mul_i32 s6, s17, s5
	s_waitcnt vmcnt(18)
	v_wmma_f32_16x16x16_f16 v[137:144], v[17:24], v[129:136], v[137:144]
	s_lshl_b64 s[4:5], s[6:7], 1
	s_clause 0x1
	global_load_b128 v[9:12], v[145:146], off
	global_load_b128 v[13:16], v[145:146], off offset:16
	v_add_co_u32 v21, vcc_lo, v152, s4
	v_add_co_ci_u32_e32 v22, vcc_lo, s5, v153, vcc_lo
	s_clause 0x7
	global_load_b128 v[1:4], v[147:148], off
	global_load_b128 v[5:8], v[147:148], off offset:16
	global_load_b128 v[33:36], v[149:150], off
	global_load_b128 v[37:40], v[149:150], off offset:16
	;; [unrolled: 2-line block ×4, first 2 shown]
	s_waitcnt vmcnt(26)
	v_wmma_f32_16x16x16_f16 v[121:128], v[81:88], v[129:136], v[121:128]
	ds_load_b128 v[81:84], v151 offset:4096
	ds_load_b128 v[85:88], v151 offset:5120
	v_mbcnt_lo_u32_b32 v130, -1, 0
	s_delay_alu instid0(VALU_DEP_1) | instskip(NEXT) | instid1(VALU_DEP_1)
	v_xor_b32_e32 v131, 16, v130
	v_cmp_gt_i32_e32 vcc_lo, 32, v131
	v_cndmask_b32_e32 v130, v130, v131, vcc_lo
	s_waitcnt vmcnt(24) lgkmcnt(0)
	v_wmma_f32_16x16x16_f16 v[137:144], v[89:96], v[81:88], v[137:144]
	ds_load_b128 v[89:92], v151 offset:6144
	ds_load_b128 v[93:96], v151 offset:7168
	s_waitcnt vmcnt(22)
	v_wmma_f32_16x16x16_f16 v[121:128], v[97:104], v[81:88], v[121:128]
	s_waitcnt vmcnt(0) lgkmcnt(0)
	s_barrier
	buffer_gl0_inv
	v_wmma_f32_16x16x16_f16 v[137:144], v[105:112], v[89:96], v[137:144]
	v_and_b32_e32 v129, 0xe0, v0
	v_wmma_f32_16x16x16_f16 v[121:128], v[113:120], v[89:96], v[121:128]
	s_delay_alu instid0(VALU_DEP_3) | instskip(NEXT) | instid1(VALU_DEP_2)
	v_mul_f32_e32 v96, s19, v137
	v_dual_mul_f32 v104, s19, v126 :: v_dual_add_nc_u32 v129, s16, v129
	v_mul_f32_e32 v95, s19, v138
	v_dual_mul_f32 v93, s19, v140 :: v_dual_mul_f32 v94, s19, v139
	s_delay_alu instid0(VALU_DEP_3) | instskip(SKIP_3) | instid1(VALU_DEP_4)
	v_or_b32_e32 v129, v129, v75
	v_dual_mul_f32 v91, s19, v142 :: v_dual_mul_f32 v106, s19, v124
	v_dual_mul_f32 v92, s19, v141 :: v_dual_mul_f32 v89, s19, v144
	v_mul_f32_e32 v108, s19, v122
	v_or_b32_e32 v131, 2, v129
	v_or_b32_e32 v132, 4, v129
	;; [unrolled: 1-line block ×3, first 2 shown]
	v_cmp_gt_i32_e32 vcc_lo, s18, v129
	v_or_b32_e32 v82, 8, v129
	v_cmp_gt_i32_e64 s3, s18, v131
	v_or_b32_e32 v83, 10, v129
	v_cmp_gt_i32_e64 s4, s18, v132
	v_cndmask_b32_e32 v96, 0xff7fffff, v96, vcc_lo
	v_cmp_gt_i32_e64 s5, s18, v81
	v_cndmask_b32_e64 v95, 0xff7fffff, v95, s3
	v_or_b32_e32 v84, 12, v129
	v_or_b32_e32 v85, 14, v129
	v_cndmask_b32_e64 v94, 0xff7fffff, v94, s4
	v_cndmask_b32_e64 v81, 0xff7fffff, v93, s5
	v_max3_f32 v93, v96, 0xff7fffff, v95
	v_cmp_gt_i32_e64 s6, s18, v82
	v_cmp_gt_i32_e64 s7, s18, v83
	v_or_b32_e32 v86, 16, v129
	v_or_b32_e32 v87, 18, v129
	v_mul_f32_e32 v90, s19, v143
	v_cndmask_b32_e64 v82, 0xff7fffff, v92, s6
	v_cndmask_b32_e64 v83, 0xff7fffff, v91, s7
	v_max3_f32 v81, v93, v94, v81
	v_cmp_gt_i32_e64 s8, s18, v84
	v_cmp_gt_i32_e64 s9, s18, v85
	v_or_b32_e32 v88, 20, v129
	v_or_b32_e32 v97, 22, v129
	v_mul_f32_e32 v109, s19, v121
	;; [unrolled: 8-line block ×4, first 2 shown]
	v_cndmask_b32_e64 v84, 0xff7fffff, v107, s12
	v_cndmask_b32_e64 v85, 0xff7fffff, v106, s13
	v_max3_f32 v81, v81, v82, v83
	v_cmp_gt_i32_e64 s15, s18, v98
	v_cmp_gt_i32_e64 s16, s18, v99
	v_dual_mul_f32 v102, s19, v128 :: v_dual_mul_f32 v103, s19, v127
	s_delay_alu instid0(VALU_DEP_4) | instskip(NEXT) | instid1(VALU_DEP_4)
	v_max3_f32 v81, v81, v84, v85
	v_cndmask_b32_e64 v82, 0xff7fffff, v105, s15
	s_delay_alu instid0(VALU_DEP_4) | instskip(SKIP_2) | instid1(VALU_DEP_3)
	v_cndmask_b32_e64 v83, 0xff7fffff, v104, s16
	v_cmp_gt_i32_e64 s17, s18, v100
	v_cmp_gt_i32_e64 s18, s18, v101
	v_max3_f32 v81, v81, v82, v83
	s_delay_alu instid0(VALU_DEP_3) | instskip(NEXT) | instid1(VALU_DEP_3)
	v_cndmask_b32_e64 v84, 0xff7fffff, v103, s17
	v_cndmask_b32_e64 v85, 0xff7fffff, v102, s18
	v_lshlrev_b32_e32 v83, 2, v130
	s_delay_alu instid0(VALU_DEP_2) | instskip(SKIP_3) | instid1(VALU_DEP_1)
	v_max3_f32 v81, v81, v84, v85
	ds_bpermute_b32 v82, v83, v81
	s_waitcnt lgkmcnt(0)
	v_max_f32_e32 v82, v82, v82
	v_max_f32_e32 v81, v81, v82
	s_delay_alu instid0(VALU_DEP_1)
	v_fma_f32 v82, s19, v137, -v81
	v_fma_f32 v84, s19, v138, -v81
	;; [unrolled: 1-line block ×5, first 2 shown]
	v_mul_f32_e32 v82, 0x3fb8aa3b, v82
	s_delay_alu instid0(VALU_DEP_4) | instskip(NEXT) | instid1(VALU_DEP_3)
	v_dual_mul_f32 v84, 0x3fb8aa3b, v84 :: v_dual_mul_f32 v89, 0x3fb8aa3b, v87
	v_mul_f32_e32 v86, 0x3fb8aa3b, v86
	s_delay_alu instid0(VALU_DEP_3) | instskip(NEXT) | instid1(VALU_DEP_2)
	v_exp_f32_e32 v82, v82
	v_exp_f32_e32 v84, v84
	s_delay_alu instid0(VALU_DEP_2) | instskip(NEXT) | instid1(VALU_DEP_1)
	v_exp_f32_e32 v92, v89
	v_exp_f32_e32 v86, v86
	v_cndmask_b32_e32 v88, 0, v82, vcc_lo
	s_delay_alu instid0(TRANS32_DEP_3)
	v_cndmask_b32_e64 v87, 0, v84, s3
	s_waitcnt_depctr 0xfff
	v_cndmask_b32_e64 v92, 0, v92, s6
	v_cmp_gt_u32_e64 s3, 16, v80
	v_cndmask_b32_e64 v89, 0, v86, s5
	v_add_f32_e32 v84, 0, v88
	s_delay_alu instid0(VALU_DEP_1) | instskip(NEXT) | instid1(VALU_DEP_1)
	v_dual_add_f32 v84, v84, v87 :: v_dual_mul_f32 v85, 0x3fb8aa3b, v85
	v_exp_f32_e32 v85, v85
	s_waitcnt_depctr 0xfff
	v_cndmask_b32_e64 v90, 0, v85, s4
	s_delay_alu instid0(VALU_DEP_1) | instskip(NEXT) | instid1(VALU_DEP_1)
	v_add_f32_e32 v84, v84, v90
	v_add_f32_e32 v84, v84, v89
	v_fma_f32 v82, s19, v142, -v81
	v_fma_f32 v91, s19, v143, -v81
	;; [unrolled: 1-line block ×5, first 2 shown]
	s_delay_alu instid0(VALU_DEP_4) | instskip(SKIP_1) | instid1(VALU_DEP_4)
	v_dual_mul_f32 v82, 0x3fb8aa3b, v82 :: v_dual_mul_f32 v91, 0x3fb8aa3b, v91
	v_fma_f32 v96, s19, v124, -v81
	v_mul_f32_e32 v86, 0x3fb8aa3b, v86
	v_fma_f32 v99, s19, v127, -v81
	s_delay_alu instid0(VALU_DEP_4) | instskip(SKIP_3) | instid1(VALU_DEP_1)
	v_exp_f32_e32 v82, v82
	v_exp_f32_e32 v93, v91
	v_mul_f32_e32 v97, 0x3fb8aa3b, v96
	v_exp_f32_e32 v86, v86
	v_exp_f32_e32 v97, v97
	v_cndmask_b32_e64 v91, 0, v82, s7
	v_dual_add_f32 v82, v84, v92 :: v_dual_mul_f32 v85, 0x3fb8aa3b, v85
	v_fma_f32 v84, s19, v123, -v81
	v_mul_f32_e32 v95, 0x3fb8aa3b, v94
	s_delay_alu instid0(TRANS32_DEP_3) | instskip(NEXT) | instid1(VALU_DEP_4)
	v_cndmask_b32_e64 v94, 0, v93, s8
	v_add_f32_e32 v82, v82, v91
	v_exp_f32_e32 v85, v85
	v_mul_f32_e32 v84, 0x3fb8aa3b, v84
	v_cndmask_b32_e64 v96, 0, v86, s10
	v_exp_f32_e32 v95, v95
	v_add_f32_e32 v82, v82, v94
	v_fma_f32 v86, s19, v126, -v81
	v_exp_f32_e32 v84, v84
	v_cndmask_b32_e64 v97, 0, v97, s13
	s_delay_alu instid0(TRANS32_DEP_3) | instskip(SKIP_2) | instid1(TRANS32_DEP_2)
	v_cndmask_b32_e64 v93, 0, v85, s9
	v_fma_f32 v85, s19, v125, -v81
	v_mul_f32_e32 v86, 0x3fb8aa3b, v86
	v_cndmask_b32_e64 v95, 0, v95, s11
	s_waitcnt_depctr 0xfff
	v_cndmask_b32_e64 v98, 0, v84, s12
	v_mul_f32_e32 v84, 0x3fb8aa3b, v99
	v_fma_f32 v99, s19, v128, -v81
	v_add_f32_e32 v82, v82, v93
	v_mul_f32_e32 v85, 0x3fb8aa3b, v85
	v_exp_f32_e32 v86, v86
	v_exp_f32_e32 v84, v84
	s_delay_alu instid0(VALU_DEP_1)
	v_exp_f32_e32 v85, v85
	s_waitcnt_depctr 0xfff
	v_cndmask_b32_e64 v102, 0, v84, s17
	v_cndmask_b32_e64 v100, 0, v85, s15
	v_dual_mul_f32 v85, 0x3fb8aa3b, v99 :: v_dual_add_f32 v82, v82, v96
	v_cndmask_b32_e64 v99, 0, v86, s16
	s_delay_alu instid0(VALU_DEP_2) | instskip(NEXT) | instid1(VALU_DEP_2)
	v_exp_f32_e32 v85, v85
	v_add_f32_e32 v82, v82, v95
	s_delay_alu instid0(VALU_DEP_1) | instskip(SKIP_3) | instid1(VALU_DEP_1)
	v_add_f32_e32 v82, v82, v98
	s_waitcnt_depctr 0xfff
	v_cndmask_b32_e64 v101, 0, v85, s18
	v_add_f32_e32 v82, v82, v97
	v_add_f32_e32 v82, v82, v100
	s_delay_alu instid0(VALU_DEP_1) | instskip(NEXT) | instid1(VALU_DEP_1)
	v_add_f32_e32 v82, v82, v99
	v_add_f32_e32 v82, v82, v102
	s_delay_alu instid0(VALU_DEP_1)
	v_add_f32_e32 v82, v82, v101
	ds_bpermute_b32 v83, v83, v82
	s_and_saveexec_b32 s4, s3
	s_cbranch_execz .LBB118_14
; %bb.13:
	v_mul_u32_u24_e32 v80, 0x44, v78
	s_waitcnt lgkmcnt(0)
	v_add_f32_e32 v82, v82, v83
	s_delay_alu instid0(VALU_DEP_2) | instskip(NEXT) | instid1(VALU_DEP_1)
	v_lshl_add_u32 v80, v77, 2, v80
	v_add_nc_u32_e32 v80, 0x4000, v80
	ds_store_2addr_b32 v80, v81, v82 offset1:136
.LBB118_14:
	s_or_b32 exec_lo, exec_lo, s4
	v_lshlrev_b32_e32 v80, 2, v77
	s_load_b32 s36, s[0:1], 0x94
	s_waitcnt lgkmcnt(0)
	s_barrier
	buffer_gl0_inv
	v_add_nc_u32_e32 v84, 0x4000, v80
	v_cmp_eq_u32_e32 vcc_lo, 1, v78
	v_cmp_eq_u32_e64 s4, 2, v78
	v_cmp_eq_u32_e64 s5, 3, v78
	;; [unrolled: 1-line block ×3, first 2 shown]
	ds_load_2addr_b32 v[80:81], v84 offset1:17
	ds_load_2addr_b32 v[82:83], v84 offset0:34 offset1:51
	ds_load_2addr_b32 v[103:104], v84 offset0:68 offset1:85
	;; [unrolled: 1-line block ×3, first 2 shown]
	v_cmp_eq_u32_e64 s7, 7, v78
	s_waitcnt lgkmcnt(3)
	v_max3_f32 v85, v80, 0xff7fffff, v81
	s_waitcnt lgkmcnt(2)
	s_delay_alu instid0(VALU_DEP_1) | instskip(SKIP_1) | instid1(VALU_DEP_1)
	v_max3_f32 v85, v85, v82, v83
	s_waitcnt lgkmcnt(1)
	v_max3_f32 v85, v85, v103, v104
	s_waitcnt lgkmcnt(0)
	s_delay_alu instid0(VALU_DEP_1) | instskip(NEXT) | instid1(VALU_DEP_1)
	v_max3_f32 v85, v85, v105, v106
	v_sub_f32_e32 v103, v103, v85
	ds_load_2addr_b32 v[107:108], v84 offset0:136 offset1:153
	v_sub_f32_e32 v80, v80, v85
	v_dual_sub_f32 v110, v83, v85 :: v_dual_mul_f32 v113, 0x3fb8aa3b, v103
	s_delay_alu instid0(VALU_DEP_2) | instskip(SKIP_3) | instid1(VALU_DEP_1)
	v_dual_sub_f32 v86, v81, v85 :: v_dual_mul_f32 v109, 0x3fb8aa3b, v80
	ds_load_2addr_b32 v[80:81], v84 offset0:170 offset1:187
	v_mul_f32_e32 v86, 0x3fb8aa3b, v86
	v_exp_f32_e32 v109, v109
	v_exp_f32_e32 v112, v86
	v_mul_f32_e32 v110, 0x3fb8aa3b, v110
	s_waitcnt lgkmcnt(1)
	s_waitcnt_depctr 0xfff
	v_fma_f32 v86, v109, v107, 0
	v_sub_f32_e32 v107, v104, v85
	v_sub_f32_e32 v82, v82, v85
	v_exp_f32_e32 v110, v110
	ds_load_2addr_b32 v[103:104], v84 offset0:238 offset1:255
	v_dual_fmac_f32 v86, v112, v108 :: v_dual_mul_f32 v111, 0x3fb8aa3b, v82
	ds_load_2addr_b32 v[82:83], v84 offset0:204 offset1:221
	v_dual_sub_f32 v84, v105, v85 :: v_dual_mul_f32 v105, 0x3fb8aa3b, v107
	v_exp_f32_e32 v107, v113
	v_exp_f32_e32 v111, v111
	s_waitcnt lgkmcnt(0)
	s_delay_alu instid0(VALU_DEP_1)
	v_mul_f32_e32 v84, 0x3fb8aa3b, v84
	v_exp_f32_e32 v105, v105
	s_barrier
	buffer_gl0_inv
	v_fmac_f32_e32 v86, v111, v80
	v_sub_f32_e32 v80, v106, v85
	v_exp_f32_e32 v106, v84
	s_delay_alu instid0(VALU_DEP_2) | instskip(NEXT) | instid1(VALU_DEP_2)
	v_fmac_f32_e32 v86, v110, v81
	v_mul_f32_e32 v80, 0x3fb8aa3b, v80
	s_delay_alu instid0(VALU_DEP_2) | instskip(NEXT) | instid1(VALU_DEP_2)
	v_dual_cndmask_b32 v81, v109, v112 :: v_dual_fmac_f32 v86, v107, v82
	v_exp_f32_e32 v108, v80
	s_delay_alu instid0(VALU_DEP_1) | instskip(SKIP_2) | instid1(VALU_DEP_1)
	v_fmac_f32_e32 v86, v105, v83
	s_waitcnt_depctr 0xfff
	v_fmac_f32_e32 v86, v106, v103
	v_fmac_f32_e32 v86, v108, v104
	s_delay_alu instid0(VALU_DEP_1) | instskip(NEXT) | instid1(VALU_DEP_1)
	v_add_f32_e32 v103, 0x358637bd, v86
	v_div_scale_f32 v104, null, v103, v103, 1.0
	v_div_scale_f32 v109, vcc_lo, 1.0, v103, 1.0
	s_delay_alu instid0(VALU_DEP_2) | instskip(SKIP_2) | instid1(VALU_DEP_1)
	v_rcp_f32_e32 v113, v104
	s_waitcnt_depctr 0xfff
	v_fma_f32 v80, -v104, v113, 1.0
	v_fmac_f32_e32 v113, v80, v113
	v_cndmask_b32_e64 v80, v81, v111, s4
	v_cmp_eq_u32_e64 s4, 4, v78
	v_lshl_or_b32 v81, v78, 11, v79
	s_delay_alu instid0(VALU_DEP_4) | instskip(NEXT) | instid1(VALU_DEP_4)
	v_mul_f32_e32 v111, v109, v113
	v_cndmask_b32_e64 v82, v80, v110, s5
	v_cmp_eq_u32_e64 s5, 6, v78
	s_delay_alu instid0(VALU_DEP_4) | instskip(SKIP_3) | instid1(VALU_DEP_3)
	v_lshl_or_b32 v78, v75, 4, v81
	v_lshlrev_b32_e32 v80, 2, v75
	v_fma_f32 v83, -v104, v111, v109
	v_cndmask_b32_e64 v84, v82, v107, s4
	v_or_b32_e32 v82, 1, v80
	s_delay_alu instid0(VALU_DEP_3) | instskip(NEXT) | instid1(VALU_DEP_3)
	v_fmac_f32_e32 v111, v83, v113
	v_cndmask_b32_e64 v105, v84, v105, s6
	v_or_b32_e32 v84, 2, v80
	v_or_b32_e32 v83, 3, v80
	v_cmp_eq_u32_e64 s4, 1, v80
	v_fma_f32 v104, -v104, v111, v109
	v_cndmask_b32_e64 v105, v105, v106, s5
	v_cmp_eq_u32_e64 s10, 1, v82
	v_cmp_eq_u32_e64 s11, 1, v84
	;; [unrolled: 1-line block ×3, first 2 shown]
	v_div_fmas_f32 v104, v104, v113, v111
	v_cndmask_b32_e64 v105, v105, v108, s7
	v_cmp_eq_u32_e32 vcc_lo, 2, v80
	v_cmp_eq_u32_e64 s13, 2, v82
	v_cmp_eq_u32_e64 s16, 2, v84
	v_div_fixup_f32 v103, v104, v103, 1.0
	v_cmp_eq_u32_e64 s17, 2, v83
	v_cmp_eq_u32_e64 s19, 3, v83
	;; [unrolled: 1-line block ×4, first 2 shown]
	v_mul_f32_e32 v111, v105, v103
	v_cmp_eq_u32_e64 s18, 3, v84
	v_cmp_eq_u32_e64 s23, 4, v83
	;; [unrolled: 1-line block ×4, first 2 shown]
	v_fma_mixlo_f16 v103, v111, v88, 0
	v_fma_mixlo_f16 v104, v111, v90, 0
	;; [unrolled: 1-line block ×8, first 2 shown]
	v_fma_mixhi_f16 v103, v111, v87, 0
	v_fma_mixhi_f16 v104, v111, v89, 0
	;; [unrolled: 1-line block ×8, first 2 shown]
	ds_store_b128 v78, v[103:106]
	ds_store_b128 v78, v[107:110] offset:1024
	s_waitcnt lgkmcnt(0)
	s_barrier
	buffer_gl0_inv
	ds_load_b128 v[87:90], v81
	ds_load_b128 v[91:94], v81 offset:16
	ds_load_b128 v[95:98], v81 offset:1024
	;; [unrolled: 1-line block ×3, first 2 shown]
	v_cmp_eq_u32_e64 s22, 4, v84
	v_cmp_eq_u32_e64 s25, 5, v83
	;; [unrolled: 1-line block ×13, first 2 shown]
	s_waitcnt lgkmcnt(3)
	v_lshrrev_b32_e32 v103, 16, v87
	s_waitcnt lgkmcnt(2)
	v_lshrrev_b32_e32 v107, 16, v91
	;; [unrolled: 2-line block ×4, first 2 shown]
	v_lshrrev_b32_e32 v104, 16, v88
	v_cndmask_b32_e64 v119, v87, v103, s4
	v_cndmask_b32_e64 v120, v91, v107, s4
	;; [unrolled: 1-line block ×8, first 2 shown]
	v_lshrrev_b32_e32 v108, 16, v92
	v_cndmask_b32_e64 v103, v95, v111, s4
	v_cndmask_b32_e64 v107, v99, v115, s4
	;; [unrolled: 1-line block ×5, first 2 shown]
	v_cndmask_b32_e32 v111, v119, v88, vcc_lo
	v_cndmask_b32_e64 v119, v121, v88, s13
	v_cndmask_b32_e64 v121, v123, v88, s16
	;; [unrolled: 1-line block ×4, first 2 shown]
	v_lshrrev_b32_e32 v112, 16, v96
	v_lshrrev_b32_e32 v116, 16, v100
	v_cndmask_b32_e64 v126, v99, v115, s10
	v_cndmask_b32_e64 v128, v99, v115, s11
	;; [unrolled: 1-line block ×3, first 2 shown]
	v_cndmask_b32_e32 v115, v120, v92, vcc_lo
	v_cndmask_b32_e64 v120, v122, v92, s13
	v_cndmask_b32_e64 v122, v124, v92, s16
	v_cndmask_b32_e32 v91, v103, v96, vcc_lo
	v_cndmask_b32_e32 v92, v107, v100, vcc_lo
	v_cndmask_b32_e64 v103, v125, v96, s13
	v_cndmask_b32_e64 v87, v87, v104, s19
	;; [unrolled: 1-line block ×3, first 2 shown]
	v_lshrrev_b32_e32 v105, 16, v89
	v_lshrrev_b32_e32 v109, 16, v93
	v_cndmask_b32_e64 v107, v127, v96, s16
	v_cndmask_b32_e64 v95, v95, v96, s17
	v_cndmask_b32_e64 v96, v99, v100, s17
	v_cndmask_b32_e64 v99, v111, v104, s5
	v_cndmask_b32_e64 v111, v115, v108, s5
	v_cndmask_b32_e64 v115, v119, v104, s15
	v_cndmask_b32_e64 v119, v120, v108, s15
	v_cndmask_b32_e64 v120, v121, v104, s18
	v_cndmask_b32_e64 v121, v122, v108, s18
	v_cndmask_b32_e64 v91, v91, v112, s5
	v_cndmask_b32_e64 v92, v92, v116, s5
	v_cndmask_b32_e64 v103, v103, v112, s15
	v_cndmask_b32_e64 v87, v87, v89, s23
	v_cndmask_b32_e64 v88, v88, v93, s23
	v_lshrrev_b32_e32 v113, 16, v97
	v_cndmask_b32_e64 v99, v99, v89, s6
	v_cndmask_b32_e64 v104, v111, v93, s6
	;; [unrolled: 1-line block ×11, first 2 shown]
	v_lshrrev_b32_e32 v106, 16, v90
	v_lshrrev_b32_e32 v110, 16, v94
	v_cndmask_b32_e64 v93, v99, v105, s7
	v_cndmask_b32_e64 v99, v104, v109, s7
	;; [unrolled: 1-line block ×9, first 2 shown]
	v_lshrrev_b32_e32 v114, 16, v98
	v_cndmask_b32_e64 v89, v89, v113, s7
	v_cndmask_b32_e64 v93, v93, v90, s8
	;; [unrolled: 1-line block ×19, first 2 shown]
	v_perm_b32 v90, v88, v87, 0x5040100
	v_cndmask_b32_e64 v87, v126, v100, s13
	v_cndmask_b32_e64 v105, v89, v114, s9
	v_perm_b32 v89, v103, v99, 0x5040100
	v_perm_b32 v88, v104, v94, 0x5040100
	v_cndmask_b32_e64 v94, v107, v112, s18
	v_cndmask_b32_e64 v95, v95, v112, s19
	;; [unrolled: 1-line block ×5, first 2 shown]
	v_lshrrev_b32_e32 v117, 16, v101
	v_cndmask_b32_e64 v94, v94, v97, s22
	v_cndmask_b32_e64 v95, v95, v97, s23
	;; [unrolled: 1-line block ×11, first 2 shown]
	v_lshrrev_b32_e32 v118, 16, v102
	v_cndmask_b32_e64 v91, v91, v102, s8
	v_cndmask_b32_e64 v94, v94, v98, s27
	;; [unrolled: 1-line block ×12, first 2 shown]
	v_perm_b32 v87, v93, v92, 0x5040100
	v_perm_b32 v94, v95, v94, 0x5040100
	;; [unrolled: 1-line block ×5, first 2 shown]
	s_mul_i32 s8, s35, 5
	s_mov_b32 s4, exec_lo
	ds_store_b128 v78, v[87:90]
	ds_store_b128 v78, v[91:94] offset:1024
	v_cmpx_gt_u32_e32 5, v0
	s_cbranch_execz .LBB118_16
; %bb.15:
	s_mul_i32 s5, s8, s34
	s_load_b128 s[16:19], s[0:1], 0x58
	v_add3_u32 v77, s5, s33, v77
	s_delay_alu instid0(VALU_DEP_1) | instskip(NEXT) | instid1(VALU_DEP_1)
	v_mad_u64_u32 v[87:88], null, v77, s36, s[14:15]
	v_ashrrev_i32_e32 v88, 31, v87
	s_delay_alu instid0(VALU_DEP_1) | instskip(SKIP_1) | instid1(VALU_DEP_1)
	v_lshlrev_b64 v[87:88], 2, v[87:88]
	s_waitcnt lgkmcnt(0)
	v_add_co_u32 v89, vcc_lo, s18, v87
	s_delay_alu instid0(VALU_DEP_2)
	v_add_co_ci_u32_e32 v90, vcc_lo, s19, v88, vcc_lo
	v_add_co_u32 v87, vcc_lo, s16, v87
	v_add_co_ci_u32_e32 v88, vcc_lo, s17, v88, vcc_lo
	global_store_b32 v[89:90], v85, off
	global_store_b32 v[87:88], v86, off
.LBB118_16:
	s_or_b32 exec_lo, exec_lo, s4
	s_waitcnt lgkmcnt(0)
	s_waitcnt_vscnt null, 0x0
	s_barrier
	buffer_gl0_inv
	ds_load_b128 v[93:96], v79
	ds_load_b128 v[97:100], v79 offset:16
	ds_load_b128 v[105:108], v79 offset:1040
	;; [unrolled: 1-line block ×5, first 2 shown]
	v_cmp_eq_u32_e32 vcc_lo, 1, v84
	v_mov_b32_e32 v85, 0
	ds_load_b128 v[121:124], v79 offset:3088
	ds_load_b128 v[117:120], v79 offset:3072
	;; [unrolled: 1-line block ×4, first 2 shown]
	v_cmp_eq_u32_e64 s4, 1, v80
	v_cmp_eq_u32_e64 s5, 1, v83
	;; [unrolled: 1-line block ×3, first 2 shown]
	v_mov_b32_e32 v86, v85
	v_mov_b32_e32 v87, v85
	v_mov_b32_e32 v88, v85
	v_mov_b32_e32 v89, v85
	v_mov_b32_e32 v90, v85
	v_mov_b32_e32 v91, v85
	v_mov_b32_e32 v92, v85
	v_cmp_eq_u32_e64 s7, 2, v80
	s_waitcnt lgkmcnt(8)
	s_delay_alu instid0(VALU_DEP_2)
	v_wmma_f32_16x16x16_f16 v[85:92], v[65:72], v[93:100], v[85:92]
	ds_load_b128 v[69:72], v79 offset:5136
	ds_load_b128 v[65:68], v79 offset:5120
	;; [unrolled: 1-line block ×4, first 2 shown]
	s_waitcnt lgkmcnt(10)
	v_wmma_f32_16x16x16_f16 v[85:92], v[57:64], v[101:108], v[85:92]
	s_waitcnt lgkmcnt(8)
	s_delay_alu instid0(VALU_DEP_1)
	v_wmma_f32_16x16x16_f16 v[85:92], v[57:64], v[109:116], v[85:92]
	ds_load_b128 v[61:64], v79 offset:7184
	ds_load_b128 v[57:60], v79 offset:7168
	;; [unrolled: 1-line block ×4, first 2 shown]
	s_waitcnt lgkmcnt(10)
	v_wmma_f32_16x16x16_f16 v[85:92], v[49:56], v[117:124], v[85:92]
	s_waitcnt lgkmcnt(8)
	s_delay_alu instid0(VALU_DEP_1)
	v_wmma_f32_16x16x16_f16 v[85:92], v[49:56], v[125:132], v[85:92]
	ds_load_b128 v[53:56], v79 offset:9232
	ds_load_b128 v[49:52], v79 offset:9216
	s_waitcnt lgkmcnt(8)
	v_wmma_f32_16x16x16_f16 v[85:92], v[41:48], v[65:72], v[85:92]
	ds_load_b128 v[69:72], v79 offset:10256
	ds_load_b128 v[65:68], v79 offset:10240
	s_waitcnt lgkmcnt(8)
	;; [unrolled: 4-line block ×7, first 2 shown]
	s_barrier
	buffer_gl0_inv
	v_wmma_f32_16x16x16_f16 v[85:92], v[33:40], v[41:48], v[85:92]
	s_delay_alu instid0(VALU_DEP_1) | instskip(NEXT) | instid1(VALU_DEP_1)
	v_wmma_f32_16x16x16_f16 v[85:92], v[33:40], v[57:64], v[85:92]
	v_wmma_f32_16x16x16_f16 v[85:92], v[25:32], v[9:16], v[85:92]
	s_delay_alu instid0(VALU_DEP_1) | instskip(NEXT) | instid1(VALU_DEP_1)
	v_wmma_f32_16x16x16_f16 v[85:92], v[25:32], v[49:56], v[85:92]
	v_wmma_f32_16x16x16_f16 v[85:92], v[17:24], v[1:8], v[85:92]
	s_delay_alu instid0(VALU_DEP_1) | instskip(NEXT) | instid1(VALU_DEP_2)
	v_cvt_f16_f32_e32 v1, v85
	v_cvt_f16_f32_e32 v2, v86
	s_delay_alu instid0(VALU_DEP_3) | instskip(NEXT) | instid1(VALU_DEP_4)
	v_cvt_f16_f32_e32 v3, v87
	v_cvt_f16_f32_e32 v4, v88
	;; [unrolled: 1-line block ×6, first 2 shown]
	v_pack_b32_f16 v1, v1, v2
	v_pack_b32_f16 v2, v3, v4
	;; [unrolled: 1-line block ×3, first 2 shown]
	s_delay_alu instid0(VALU_DEP_4)
	v_pack_b32_f16 v4, v7, v8
	ds_store_b128 v78, v[1:4]
	s_waitcnt lgkmcnt(0)
	s_barrier
	buffer_gl0_inv
	ds_load_b128 v[1:4], v81
	ds_load_b128 v[5:8], v81 offset:16
	s_waitcnt lgkmcnt(1)
	v_lshrrev_b32_e32 v9, 16, v1
	s_waitcnt lgkmcnt(0)
	v_lshrrev_b32_e32 v13, 16, v5
	v_lshrrev_b32_e32 v15, 16, v7
	;; [unrolled: 1-line block ×4, first 2 shown]
	v_cndmask_b32_e64 v17, v1, v9, s4
	v_cndmask_b32_e64 v18, v5, v13, s4
	;; [unrolled: 1-line block ×3, first 2 shown]
	v_cmp_eq_u32_e64 s4, 2, v82
	v_cndmask_b32_e64 v20, v5, v13, s6
	v_cndmask_b32_e32 v21, v1, v9, vcc_lo
	v_cndmask_b32_e32 v22, v5, v13, vcc_lo
	v_cndmask_b32_e64 v1, v1, v9, s5
	v_cndmask_b32_e64 v5, v5, v13, s5
	v_cmp_eq_u32_e32 vcc_lo, 2, v84
	v_cmp_eq_u32_e64 s5, 2, v83
	v_cndmask_b32_e64 v9, v17, v2, s7
	v_cndmask_b32_e64 v13, v18, v6, s7
	;; [unrolled: 1-line block ×4, first 2 shown]
	v_cndmask_b32_e32 v19, v21, v2, vcc_lo
	v_cmp_eq_u32_e64 s4, 3, v84
	v_cndmask_b32_e32 v20, v22, v6, vcc_lo
	v_cndmask_b32_e64 v1, v1, v2, s5
	v_cmp_eq_u32_e32 vcc_lo, 3, v83
	v_cmp_eq_u32_e64 s6, 3, v80
	v_cndmask_b32_e64 v2, v5, v6, s5
	v_cmp_eq_u32_e64 s5, 3, v82
	v_lshrrev_b32_e32 v16, 16, v8
	v_cmp_eq_u32_e64 s7, 4, v80
	v_cndmask_b32_e64 v5, v9, v10, s6
	v_cndmask_b32_e64 v6, v13, v14, s6
	;; [unrolled: 1-line block ×3, first 2 shown]
	v_cmp_eq_u32_e64 s6, 4, v82
	v_cndmask_b32_e64 v13, v18, v14, s5
	v_cndmask_b32_e64 v17, v19, v10, s4
	;; [unrolled: 1-line block ×3, first 2 shown]
	v_cndmask_b32_e32 v1, v1, v10, vcc_lo
	v_cndmask_b32_e32 v2, v2, v14, vcc_lo
	v_cmp_eq_u32_e32 vcc_lo, 4, v84
	v_cmp_eq_u32_e64 s5, 4, v83
	v_lshrrev_b32_e32 v11, 16, v3
	v_cndmask_b32_e64 v5, v5, v3, s7
	v_cndmask_b32_e64 v6, v6, v7, s7
	;; [unrolled: 1-line block ×4, first 2 shown]
	v_cndmask_b32_e32 v13, v17, v3, vcc_lo
	v_cmp_eq_u32_e64 s4, 5, v84
	v_cndmask_b32_e32 v14, v18, v7, vcc_lo
	v_cndmask_b32_e64 v1, v1, v3, s5
	v_cmp_eq_u32_e32 vcc_lo, 5, v83
	v_cmp_eq_u32_e64 s6, 5, v80
	v_cndmask_b32_e64 v2, v2, v7, s5
	v_cmp_eq_u32_e64 s5, 5, v82
	v_cmp_eq_u32_e64 s7, 6, v80
	v_cndmask_b32_e32 v1, v1, v11, vcc_lo
	v_cndmask_b32_e64 v3, v5, v11, s6
	v_cndmask_b32_e64 v5, v6, v15, s6
	;; [unrolled: 1-line block ×3, first 2 shown]
	v_cmp_eq_u32_e64 s6, 6, v82
	v_cndmask_b32_e64 v7, v10, v15, s5
	v_cndmask_b32_e64 v9, v13, v11, s4
	;; [unrolled: 1-line block ×3, first 2 shown]
	v_cndmask_b32_e32 v2, v2, v15, vcc_lo
	v_cmp_eq_u32_e32 vcc_lo, 6, v84
	v_cmp_eq_u32_e64 s4, 6, v83
	v_lshrrev_b32_e32 v12, 16, v4
	v_cndmask_b32_e64 v3, v3, v4, s7
	v_cndmask_b32_e64 v5, v5, v8, s7
	;; [unrolled: 1-line block ×4, first 2 shown]
	v_cndmask_b32_e32 v9, v9, v4, vcc_lo
	v_cmp_eq_u32_e64 s5, 7, v84
	v_cndmask_b32_e32 v10, v10, v8, vcc_lo
	v_cndmask_b32_e64 v1, v1, v4, s4
	v_cmp_eq_u32_e32 vcc_lo, 7, v83
	v_cndmask_b32_e64 v2, v2, v8, s4
	v_cmp_eq_u32_e64 s4, 7, v80
	v_cmp_eq_u32_e64 s6, 7, v82
	v_cndmask_b32_e32 v1, v1, v12, vcc_lo
	s_delay_alu instid0(VALU_DEP_4) | instskip(NEXT) | instid1(VALU_DEP_4)
	v_cndmask_b32_e32 v2, v2, v16, vcc_lo
	v_cndmask_b32_e64 v8, v3, v12, s4
	s_delay_alu instid0(VALU_DEP_4)
	v_cndmask_b32_e64 v6, v6, v12, s6
	v_cndmask_b32_e64 v3, v9, v12, s5
	;; [unrolled: 1-line block ×5, first 2 shown]
	v_cmp_gt_u32_e32 vcc_lo, 32, v0
	v_perm_b32 v4, v2, v1, 0x5040100
	v_perm_b32 v3, v9, v3, 0x5040100
	;; [unrolled: 1-line block ×4, first 2 shown]
	s_and_b32 s2, vcc_lo, s2
	ds_store_b128 v78, v[1:4]
	s_waitcnt lgkmcnt(0)
	s_barrier
	buffer_gl0_inv
	s_and_saveexec_b32 s4, s2
	s_cbranch_execz .LBB118_2
; %bb.17:
	s_load_b64 s[4:5], s[0:1], 0x68
	v_lshlrev_b32_e32 v0, 10, v0
	v_add_nc_u32_e32 v2, s33, v75
	v_lshlrev_b32_e32 v3, 4, v76
	s_lshl_b32 s0, s36, 6
	s_delay_alu instid0(SALU_CYCLE_1) | instskip(NEXT) | instid1(VALU_DEP_2)
	s_mul_i32 s1, s0, s34
	v_mul_lo_u32 v1, v2, s0
	s_delay_alu instid0(VALU_DEP_2) | instskip(SKIP_2) | instid1(SALU_CYCLE_1)
	v_and_or_b32 v0, 0x3800, v0, v3
	v_add_nc_u32_e32 v2, 2, v2
	s_mul_i32 s6, s1, s8
	s_ashr_i32 s7, s6, 31
	s_delay_alu instid0(VALU_DEP_2)
	v_lshl_or_b32 v7, v75, 6, v0
	s_lshl_b64 s[6:7], s[6:7], 1
	v_mul_lo_u32 v11, v2, s0
	v_ashrrev_i32_e32 v2, 31, v1
	ds_load_b128 v[3:6], v7
	ds_load_b128 v[7:10], v7 offset:128
	s_waitcnt lgkmcnt(0)
	s_add_u32 s1, s4, s6
	s_addc_u32 s2, s5, s7
	s_lshl_b32 s4, s14, 6
	v_ashrrev_i32_e32 v12, 31, v11
	s_ashr_i32 s5, s4, 31
	v_lshlrev_b64 v[13:14], 1, v[1:2]
	s_lshl_b64 s[4:5], s[4:5], 1
	s_delay_alu instid0(SALU_CYCLE_1) | instskip(SKIP_4) | instid1(VALU_DEP_3)
	s_add_u32 s1, s1, s4
	s_addc_u32 s2, s2, s5
	v_add_co_u32 v1, vcc_lo, s1, v73
	v_add_co_ci_u32_e32 v2, vcc_lo, s2, v74, vcc_lo
	v_lshlrev_b64 v[11:12], 1, v[11:12]
	v_add_co_u32 v13, vcc_lo, v1, v13
	s_delay_alu instid0(VALU_DEP_3) | instskip(NEXT) | instid1(VALU_DEP_3)
	v_add_co_ci_u32_e32 v14, vcc_lo, v2, v14, vcc_lo
	v_add_co_u32 v11, vcc_lo, v1, v11
	s_delay_alu instid0(VALU_DEP_4)
	v_add_co_ci_u32_e32 v12, vcc_lo, v2, v12, vcc_lo
	s_clause 0x1
	global_store_b128 v[13:14], v[3:6], off
	global_store_b128 v[11:12], v[7:10], off
	s_and_b32 exec_lo, exec_lo, s3
	s_cbranch_execz .LBB118_2
; %bb.18:
	ds_load_b128 v[3:6], v0 offset:256
	s_add_i32 s1, s33, 4
	s_delay_alu instid0(SALU_CYCLE_1) | instskip(NEXT) | instid1(SALU_CYCLE_1)
	s_mul_i32 s0, s1, s0
	s_ashr_i32 s1, s0, 31
	s_delay_alu instid0(SALU_CYCLE_1) | instskip(NEXT) | instid1(SALU_CYCLE_1)
	s_lshl_b64 s[0:1], s[0:1], 1
	v_add_co_u32 v0, vcc_lo, v1, s0
	v_add_co_ci_u32_e32 v1, vcc_lo, s1, v2, vcc_lo
	s_waitcnt lgkmcnt(0)
	global_store_b128 v[0:1], v[3:6], off
	s_nop 0
	s_sendmsg sendmsg(MSG_DEALLOC_VGPRS)
	s_endpgm
	.section	.rodata,"a",@progbits
	.p2align	6, 0x0
	.amdhsa_kernel _Z39paged_attention_ll4mi_QKV_mfma16_kernelIDF16_DF16_LN4vllm18Fp8KVCacheDataTypeE0EhLi32ELi64ELi256ELb1ELi5EL8MFMAType0EEvPKT_PKT0_S8_ifPKiSA_SA_iPKfiiiPfSD_PS3_PT2_iSC_SC_
		.amdhsa_group_segment_fixed_size 17472
		.amdhsa_private_segment_fixed_size 0
		.amdhsa_kernarg_size 400
		.amdhsa_user_sgpr_count 13
		.amdhsa_user_sgpr_dispatch_ptr 0
		.amdhsa_user_sgpr_queue_ptr 0
		.amdhsa_user_sgpr_kernarg_segment_ptr 1
		.amdhsa_user_sgpr_dispatch_id 0
		.amdhsa_user_sgpr_private_segment_size 0
		.amdhsa_wavefront_size32 1
		.amdhsa_uses_dynamic_stack 0
		.amdhsa_enable_private_segment 0
		.amdhsa_system_sgpr_workgroup_id_x 1
		.amdhsa_system_sgpr_workgroup_id_y 1
		.amdhsa_system_sgpr_workgroup_id_z 1
		.amdhsa_system_sgpr_workgroup_info 0
		.amdhsa_system_vgpr_workitem_id 0
		.amdhsa_next_free_vgpr 154
		.amdhsa_next_free_sgpr 39
		.amdhsa_reserve_vcc 1
		.amdhsa_float_round_mode_32 0
		.amdhsa_float_round_mode_16_64 0
		.amdhsa_float_denorm_mode_32 3
		.amdhsa_float_denorm_mode_16_64 3
		.amdhsa_dx10_clamp 1
		.amdhsa_ieee_mode 1
		.amdhsa_fp16_overflow 0
		.amdhsa_workgroup_processor_mode 1
		.amdhsa_memory_ordered 1
		.amdhsa_forward_progress 0
		.amdhsa_shared_vgpr_count 0
		.amdhsa_exception_fp_ieee_invalid_op 0
		.amdhsa_exception_fp_denorm_src 0
		.amdhsa_exception_fp_ieee_div_zero 0
		.amdhsa_exception_fp_ieee_overflow 0
		.amdhsa_exception_fp_ieee_underflow 0
		.amdhsa_exception_fp_ieee_inexact 0
		.amdhsa_exception_int_div_zero 0
	.end_amdhsa_kernel
	.section	.text._Z39paged_attention_ll4mi_QKV_mfma16_kernelIDF16_DF16_LN4vllm18Fp8KVCacheDataTypeE0EhLi32ELi64ELi256ELb1ELi5EL8MFMAType0EEvPKT_PKT0_S8_ifPKiSA_SA_iPKfiiiPfSD_PS3_PT2_iSC_SC_,"axG",@progbits,_Z39paged_attention_ll4mi_QKV_mfma16_kernelIDF16_DF16_LN4vllm18Fp8KVCacheDataTypeE0EhLi32ELi64ELi256ELb1ELi5EL8MFMAType0EEvPKT_PKT0_S8_ifPKiSA_SA_iPKfiiiPfSD_PS3_PT2_iSC_SC_,comdat
.Lfunc_end118:
	.size	_Z39paged_attention_ll4mi_QKV_mfma16_kernelIDF16_DF16_LN4vllm18Fp8KVCacheDataTypeE0EhLi32ELi64ELi256ELb1ELi5EL8MFMAType0EEvPKT_PKT0_S8_ifPKiSA_SA_iPKfiiiPfSD_PS3_PT2_iSC_SC_, .Lfunc_end118-_Z39paged_attention_ll4mi_QKV_mfma16_kernelIDF16_DF16_LN4vllm18Fp8KVCacheDataTypeE0EhLi32ELi64ELi256ELb1ELi5EL8MFMAType0EEvPKT_PKT0_S8_ifPKiSA_SA_iPKfiiiPfSD_PS3_PT2_iSC_SC_
                                        ; -- End function
	.section	.AMDGPU.csdata,"",@progbits
; Kernel info:
; codeLenInByte = 7232
; NumSgprs: 41
; NumVgprs: 154
; ScratchSize: 0
; MemoryBound: 0
; FloatMode: 240
; IeeeMode: 1
; LDSByteSize: 17472 bytes/workgroup (compile time only)
; SGPRBlocks: 5
; VGPRBlocks: 19
; NumSGPRsForWavesPerEU: 41
; NumVGPRsForWavesPerEU: 154
; Occupancy: 9
; WaveLimiterHint : 1
; COMPUTE_PGM_RSRC2:SCRATCH_EN: 0
; COMPUTE_PGM_RSRC2:USER_SGPR: 13
; COMPUTE_PGM_RSRC2:TRAP_HANDLER: 0
; COMPUTE_PGM_RSRC2:TGID_X_EN: 1
; COMPUTE_PGM_RSRC2:TGID_Y_EN: 1
; COMPUTE_PGM_RSRC2:TGID_Z_EN: 1
; COMPUTE_PGM_RSRC2:TIDIG_COMP_CNT: 0
	.section	.text._Z39paged_attention_ll4mi_QKV_mfma16_kernelIDF16_DF16_LN4vllm18Fp8KVCacheDataTypeE0EhLi32ELi64ELi256ELb1ELi6EL8MFMAType0EEvPKT_PKT0_S8_ifPKiSA_SA_iPKfiiiPfSD_PS3_PT2_iSC_SC_,"axG",@progbits,_Z39paged_attention_ll4mi_QKV_mfma16_kernelIDF16_DF16_LN4vllm18Fp8KVCacheDataTypeE0EhLi32ELi64ELi256ELb1ELi6EL8MFMAType0EEvPKT_PKT0_S8_ifPKiSA_SA_iPKfiiiPfSD_PS3_PT2_iSC_SC_,comdat
	.protected	_Z39paged_attention_ll4mi_QKV_mfma16_kernelIDF16_DF16_LN4vllm18Fp8KVCacheDataTypeE0EhLi32ELi64ELi256ELb1ELi6EL8MFMAType0EEvPKT_PKT0_S8_ifPKiSA_SA_iPKfiiiPfSD_PS3_PT2_iSC_SC_ ; -- Begin function _Z39paged_attention_ll4mi_QKV_mfma16_kernelIDF16_DF16_LN4vllm18Fp8KVCacheDataTypeE0EhLi32ELi64ELi256ELb1ELi6EL8MFMAType0EEvPKT_PKT0_S8_ifPKiSA_SA_iPKfiiiPfSD_PS3_PT2_iSC_SC_
	.globl	_Z39paged_attention_ll4mi_QKV_mfma16_kernelIDF16_DF16_LN4vllm18Fp8KVCacheDataTypeE0EhLi32ELi64ELi256ELb1ELi6EL8MFMAType0EEvPKT_PKT0_S8_ifPKiSA_SA_iPKfiiiPfSD_PS3_PT2_iSC_SC_
	.p2align	8
	.type	_Z39paged_attention_ll4mi_QKV_mfma16_kernelIDF16_DF16_LN4vllm18Fp8KVCacheDataTypeE0EhLi32ELi64ELi256ELb1ELi6EL8MFMAType0EEvPKT_PKT0_S8_ifPKiSA_SA_iPKfiiiPfSD_PS3_PT2_iSC_SC_,@function
_Z39paged_attention_ll4mi_QKV_mfma16_kernelIDF16_DF16_LN4vllm18Fp8KVCacheDataTypeE0EhLi32ELi64ELi256ELb1ELi6EL8MFMAType0EEvPKT_PKT0_S8_ifPKiSA_SA_iPKfiiiPfSD_PS3_PT2_iSC_SC_: ; @_Z39paged_attention_ll4mi_QKV_mfma16_kernelIDF16_DF16_LN4vllm18Fp8KVCacheDataTypeE0EhLi32ELi64ELi256ELb1ELi6EL8MFMAType0EEvPKT_PKT0_S8_ifPKiSA_SA_iPKfiiiPfSD_PS3_PT2_iSC_SC_
; %bb.0:
	s_load_b64 s[2:3], s[0:1], 0x30
	s_mov_b32 s34, s13
	s_waitcnt lgkmcnt(0)
	s_cmp_lg_u64 s[2:3], 0
	s_cselect_b32 s6, -1, 0
	s_ashr_i32 s35, s13, 31
	s_cmp_eq_u64 s[2:3], 0
	s_cbranch_scc1 .LBB119_3
; %bb.1:
	s_lshl_b64 s[4:5], s[34:35], 2
	s_delay_alu instid0(SALU_CYCLE_1) | instskip(SKIP_4) | instid1(SALU_CYCLE_1)
	s_add_u32 s4, s2, s4
	s_addc_u32 s5, s3, s5
	s_load_b64 s[4:5], s[4:5], 0x0
	s_waitcnt lgkmcnt(0)
	s_sub_i32 s4, s5, s4
	s_cmp_eq_u32 s4, 1
	s_cselect_b32 s4, -1, 0
	s_delay_alu instid0(SALU_CYCLE_1)
	s_and_not1_b32 vcc_lo, exec_lo, s4
	s_cbranch_vccz .LBB119_4
.LBB119_2:
	s_endpgm
.LBB119_3:
.LBB119_4:
	s_load_b64 s[8:9], s[0:1], 0x28
	s_lshl_b64 s[4:5], s[34:35], 2
	s_waitcnt lgkmcnt(0)
	s_add_u32 s8, s8, s4
	s_addc_u32 s9, s9, s5
	s_lshl_b32 s16, s14, 8
	s_load_b32 s18, s[8:9], 0x0
	s_waitcnt lgkmcnt(0)
	s_cmp_ge_i32 s16, s18
	s_cbranch_scc1 .LBB119_2
; %bb.5:
	s_and_not1_b32 vcc_lo, exec_lo, s6
	s_cbranch_vccnz .LBB119_7
; %bb.6:
	s_add_u32 s2, s2, s4
	s_addc_u32 s3, s3, s5
	s_load_b32 s17, s[2:3], 0x0
	s_branch .LBB119_8
.LBB119_7:
	s_mov_b32 s17, s34
.LBB119_8:
	s_clause 0x2
	s_load_b128 s[8:11], s[0:1], 0x8
	s_load_b64 s[12:13], s[0:1], 0x20
	s_load_b128 s[4:7], s[0:1], 0x48
	v_and_b32_e32 v77, 15, v0
	v_cmp_lt_u32_e32 vcc_lo, 0x5f, v0
	s_delay_alu instid0(VALU_DEP_2) | instskip(SKIP_2) | instid1(VALU_DEP_3)
	v_cmp_lt_u32_e64 s3, 7, v77
	v_lshlrev_b32_e32 v1, 3, v77
	v_cmp_gt_u32_e64 s2, 8, v77
	s_or_b32 s3, vcc_lo, s3
	s_waitcnt lgkmcnt(0)
	s_and_saveexec_b32 s7, s3
	s_delay_alu instid0(SALU_CYCLE_1)
	s_xor_b32 s3, exec_lo, s7
; %bb.9:
	v_mov_b32_e32 v2, 0
; %bb.10:
	s_or_saveexec_b32 s3, s3
	v_lshrrev_b32_e32 v79, 5, v0
	v_and_b32_e32 v80, 31, v0
	v_and_b32_e32 v76, 1, v0
	v_bfe_u32 v75, v0, 4, 1
	s_mul_i32 s31, s15, 6
	s_xor_b32 exec_lo, exec_lo, s3
	s_cbranch_execz .LBB119_12
; %bb.11:
	s_load_b64 s[20:21], s[0:1], 0x0
	v_lshl_or_b32 v7, v79, 1, v75
	s_mul_hi_i32 s23, s17, s4
	s_mul_i32 s22, s17, s4
	v_lshlrev_b32_e32 v4, 1, v1
	s_lshl_b64 s[22:23], s[22:23], 1
	v_add_lshl_u32 v2, v7, s31, 6
	v_lshlrev_b32_e32 v7, 6, v7
	v_lshlrev_b32_e32 v8, 10, v76
	s_delay_alu instid0(VALU_DEP_3) | instskip(NEXT) | instid1(VALU_DEP_1)
	v_ashrrev_i32_e32 v3, 31, v2
	v_lshlrev_b64 v[2:3], 1, v[2:3]
	s_waitcnt lgkmcnt(0)
	s_add_u32 s4, s20, s22
	s_addc_u32 s7, s21, s23
	s_delay_alu instid0(VALU_DEP_1) | instskip(NEXT) | instid1(VALU_DEP_2)
	v_add_co_u32 v2, vcc_lo, s4, v2
	v_add_co_ci_u32_e32 v3, vcc_lo, s7, v3, vcc_lo
	s_delay_alu instid0(VALU_DEP_2) | instskip(NEXT) | instid1(VALU_DEP_2)
	v_add_co_u32 v2, vcc_lo, v2, v4
	v_add_co_ci_u32_e32 v3, vcc_lo, 0, v3, vcc_lo
	global_load_b128 v[3:6], v[2:3], off
	v_lshlrev_b32_e32 v2, 10, v77
	s_delay_alu instid0(VALU_DEP_1) | instskip(NEXT) | instid1(VALU_DEP_1)
	v_and_b32_e32 v2, 0x3800, v2
	v_or3_b32 v7, v2, v8, v7
	v_mov_b32_e32 v2, 0
	s_waitcnt vmcnt(0)
	ds_store_b128 v7, v[3:6]
.LBB119_12:
	s_or_b32 exec_lo, exec_lo, s3
	v_and_b32_e32 v3, 0xef, v0
	s_add_i32 s3, s18, 31
	s_clause 0x1
	s_load_b32 s4, s[0:1], 0x38
	s_load_b32 s33, s[0:1], 0x98
	s_ashr_i32 s7, s3, 31
	v_add_nc_u32_e32 v3, s16, v3
	s_lshr_b32 s7, s7, 27
	s_load_b32 s19, s[0:1], 0x1c
	s_add_i32 s3, s3, s7
	s_waitcnt lgkmcnt(0)
	v_ashrrev_i32_e32 v4, 31, v3
	v_cmp_gt_i32_e32 vcc_lo, s18, v3
	s_ashr_i32 s3, s3, 5
	s_barrier
	s_add_i32 s3, s3, -1
	v_lshrrev_b32_e32 v5, 27, v4
	v_or_b32_e32 v4, 16, v3
	buffer_gl0_inv
	s_mul_i32 s6, s15, s6
	v_lshlrev_b64 v[73:74], 1, v[1:2]
	v_add_nc_u32_e32 v6, v3, v5
	v_add_nc_u32_e32 v5, v4, v5
	s_mul_i32 s20, s34, s4
	v_lshlrev_b32_e32 v78, 6, v77
	s_ashr_i32 s21, s20, 31
	v_ashrrev_i32_e32 v6, 5, v6
	v_ashrrev_i32_e32 v5, 5, v5
	s_lshl_b64 s[20:21], s[20:21], 2
	v_lshl_or_b32 v33, v79, 10, v78
	s_add_u32 s4, s12, s20
	v_cndmask_b32_e32 v3, s3, v6, vcc_lo
	v_cmp_gt_i32_e32 vcc_lo, s18, v4
	s_addc_u32 s17, s13, s21
	s_ashr_i32 s7, s6, 31
	s_delay_alu instid0(VALU_DEP_2) | instskip(SKIP_2) | instid1(SALU_CYCLE_1)
	v_ashrrev_i32_e32 v4, 31, v3
	v_cndmask_b32_e32 v5, s3, v5, vcc_lo
	s_lshl_b64 s[6:7], s[6:7], 1
	s_add_u32 s15, s8, s6
	s_delay_alu instid0(VALU_DEP_2) | instskip(NEXT) | instid1(VALU_DEP_2)
	v_lshlrev_b64 v[3:4], 2, v[3:4]
	v_ashrrev_i32_e32 v6, 31, v5
	s_addc_u32 s28, s9, s7
	s_lshl_b32 s8, s14, 3
	s_delay_alu instid0(SALU_CYCLE_1) | instskip(NEXT) | instid1(VALU_DEP_1)
	s_ashr_i32 s9, s8, 31
	v_lshlrev_b64 v[5:6], 2, v[5:6]
	v_add_co_u32 v3, vcc_lo, s4, v3
	v_add_co_ci_u32_e32 v4, vcc_lo, s17, v4, vcc_lo
	s_lshl_b64 s[8:9], s[8:9], 2
	s_delay_alu instid0(VALU_DEP_3) | instskip(NEXT) | instid1(VALU_DEP_4)
	v_add_co_u32 v5, vcc_lo, s4, v5
	v_add_co_ci_u32_e32 v6, vcc_lo, s17, v6, vcc_lo
	s_add_u32 s8, s4, s8
	s_clause 0x1
	global_load_b32 v7, v[3:4], off
	global_load_b32 v8, v[5:6], off
	s_addc_u32 s9, s17, s9
	s_or_b32 s12, s16, 32
	s_delay_alu instid0(SALU_CYCLE_1) | instskip(SKIP_2) | instid1(SALU_CYCLE_1)
	s_ashr_i32 s13, s12, 5
	s_cmp_lt_i32 s12, s18
	s_cselect_b32 s12, s13, s3
	s_ashr_i32 s13, s12, 31
	s_delay_alu instid0(SALU_CYCLE_1) | instskip(NEXT) | instid1(SALU_CYCLE_1)
	s_lshl_b64 s[12:13], s[12:13], 2
	s_add_u32 s12, s4, s12
	s_addc_u32 s13, s17, s13
	s_or_b32 s20, s16, 64
	s_delay_alu instid0(SALU_CYCLE_1) | instskip(SKIP_2) | instid1(SALU_CYCLE_1)
	s_ashr_i32 s21, s20, 5
	s_cmp_lt_i32 s20, s18
	s_cselect_b32 s20, s21, s3
	s_ashr_i32 s21, s20, 31
	s_delay_alu instid0(SALU_CYCLE_1) | instskip(NEXT) | instid1(SALU_CYCLE_1)
	s_lshl_b64 s[20:21], s[20:21], 2
	s_add_u32 s20, s4, s20
	;; [unrolled: 10-line block ×5, first 2 shown]
	s_addc_u32 s27, s17, s27
	s_clause 0x5
	s_load_b32 s29, s[8:9], 0x0
	s_load_b32 s30, s[12:13], 0x0
	;; [unrolled: 1-line block ×6, first 2 shown]
	s_or_b32 s8, s16, 0xc0
	s_mov_b32 s20, 0
	s_ashr_i32 s9, s8, 5
	s_cmp_lt_i32 s8, s18
	s_mov_b32 s27, s20
	s_cselect_b32 s8, s9, s3
	s_mov_b32 s21, s20
	s_ashr_i32 s9, s8, 31
	s_mov_b32 s22, s20
	s_lshl_b64 s[8:9], s[8:9], 2
	s_mov_b32 s23, s20
	s_add_u32 s8, s4, s8
	s_mov_b32 s24, s20
	s_mov_b32 s25, s20
	;; [unrolled: 1-line block ×3, first 2 shown]
	s_addc_u32 s9, s17, s9
	v_dual_mov_b32 v128, s27 :: v_dual_mov_b32 v127, s26
	v_dual_mov_b32 v126, s25 :: v_dual_mov_b32 v125, s24
	;; [unrolled: 1-line block ×3, first 2 shown]
	v_mov_b32_e32 v121, s20
	s_waitcnt lgkmcnt(0)
	s_mul_hi_i32 s13, s29, s5
	s_mul_i32 s12, s29, s5
	v_mov_b32_e32 v122, s21
	s_mul_hi_i32 s21, s30, s5
	s_mul_i32 s20, s30, s5
	s_mul_hi_i32 s25, s35, s5
	s_mul_i32 s24, s35, s5
	;; [unrolled: 2-line block ×3, first 2 shown]
	s_mul_i32 s36, s38, s5
	s_waitcnt vmcnt(1)
	v_mad_i64_i32 v[3:4], null, v7, s5, 0
	s_waitcnt vmcnt(0)
	v_mad_i64_i32 v[5:6], null, v8, s5, 0
	s_delay_alu instid0(VALU_DEP_2) | instskip(NEXT) | instid1(VALU_DEP_2)
	v_lshlrev_b64 v[3:4], 1, v[3:4]
	v_lshlrev_b64 v[1:2], 1, v[5:6]
	s_delay_alu instid0(VALU_DEP_2) | instskip(NEXT) | instid1(VALU_DEP_3)
	v_add_co_u32 v3, vcc_lo, s15, v3
	v_add_co_ci_u32_e32 v4, vcc_lo, s28, v4, vcc_lo
	s_delay_alu instid0(VALU_DEP_3) | instskip(NEXT) | instid1(VALU_DEP_4)
	v_add_co_u32 v1, vcc_lo, s15, v1
	v_add_co_ci_u32_e32 v2, vcc_lo, s28, v2, vcc_lo
	s_delay_alu instid0(VALU_DEP_4) | instskip(NEXT) | instid1(VALU_DEP_4)
	v_add_co_u32 v25, vcc_lo, v3, v73
	v_add_co_ci_u32_e32 v26, vcc_lo, v4, v74, vcc_lo
	s_delay_alu instid0(VALU_DEP_4) | instskip(NEXT) | instid1(VALU_DEP_4)
	v_add_co_u32 v27, vcc_lo, v1, v73
	v_add_co_ci_u32_e32 v28, vcc_lo, v2, v74, vcc_lo
	s_clause 0xf
	global_load_b128 v[1:4], v[25:26], off
	global_load_b128 v[5:8], v[25:26], off offset:512
	global_load_b128 v[9:12], v[27:28], off offset:256
	;; [unrolled: 1-line block ×15, first 2 shown]
	v_mul_lo_u16 v25, v77, 43
	s_or_b32 s15, s16, 0xe0
	s_delay_alu instid0(SALU_CYCLE_1) | instskip(SKIP_1) | instid1(VALU_DEP_1)
	s_ashr_i32 s22, s15, 5
	s_cmp_lt_i32 s15, s18
	v_lshrrev_b16 v25, 8, v25
	s_cselect_b32 s22, s22, s3
	s_delay_alu instid0(SALU_CYCLE_1) | instskip(NEXT) | instid1(VALU_DEP_1)
	s_ashr_i32 s23, s22, 31
	v_mul_lo_u16 v25, v25, 6
	s_lshl_b64 s[22:23], s[22:23], 2
	s_delay_alu instid0(SALU_CYCLE_1) | instskip(SKIP_1) | instid1(VALU_DEP_1)
	s_add_u32 s22, s4, s22
	s_addc_u32 s23, s17, s23
	v_sub_nc_u16 v25, v77, v25
	s_add_i32 s15, s16, 0x100
	s_delay_alu instid0(SALU_CYCLE_1) | instskip(SKIP_1) | instid1(VALU_DEP_1)
	s_ashr_i32 s28, s15, 5
	s_cmp_lt_i32 s15, s18
	v_and_b32_e32 v25, 0xff, v25
	s_cselect_b32 s28, s28, s3
	s_delay_alu instid0(SALU_CYCLE_1) | instskip(NEXT) | instid1(VALU_DEP_1)
	s_ashr_i32 s29, s28, 31
	v_lshlrev_b32_e32 v151, 6, v25
	ds_load_b128 v[25:28], v151
	ds_load_b128 v[29:32], v151 offset:1024
	ds_load_b128 v[129:132], v151 offset:2048
	;; [unrolled: 1-line block ×3, first 2 shown]
	s_load_b32 s15, s[8:9], 0x0
	s_mul_hi_i32 s9, s37, s5
	s_lshl_b64 s[28:29], s[28:29], 2
	s_mul_i32 s8, s37, s5
	s_add_u32 s28, s4, s28
	s_addc_u32 s29, s17, s29
	s_add_u32 s3, s10, s6
	s_clause 0x1
	s_load_b32 s4, s[22:23], 0x0
	s_load_b32 s17, s[28:29], 0x0
	s_addc_u32 s28, s11, s7
	v_add_co_u32 v152, s3, s3, v33
	s_delay_alu instid0(VALU_DEP_1) | instskip(SKIP_2) | instid1(VALU_DEP_2)
	v_add_co_ci_u32_e64 v153, null, s28, 0, s3
	s_lshl_b64 s[6:7], s[12:13], 1
	s_lshl_b64 s[10:11], s[20:21], 1
	v_add_co_u32 v33, vcc_lo, v152, s6
	s_delay_alu instid0(VALU_DEP_2)
	v_add_co_ci_u32_e32 v34, vcc_lo, s7, v153, vcc_lo
	v_add_co_u32 v35, vcc_lo, v152, s10
	s_lshl_b64 s[12:13], s[24:25], 1
	v_add_co_ci_u32_e32 v36, vcc_lo, s11, v153, vcc_lo
	v_add_co_u32 v37, vcc_lo, v152, s12
	s_lshl_b64 s[20:21], s[26:27], 1
	;; [unrolled: 3-line block ×3, first 2 shown]
	s_mul_hi_i32 s37, s38, s5
	v_add_co_ci_u32_e32 v40, vcc_lo, s21, v153, vcc_lo
	v_add_co_u32 v145, vcc_lo, v152, s8
	s_lshl_b64 s[22:23], s[36:37], 1
	s_waitcnt lgkmcnt(0)
	s_mul_hi_i32 s25, s15, s5
	s_mul_i32 s24, s15, s5
	v_add_co_ci_u32_e32 v146, vcc_lo, s9, v153, vcc_lo
	v_add_co_u32 v147, vcc_lo, v152, s22
	s_lshl_b64 s[24:25], s[24:25], 1
	v_add_co_ci_u32_e32 v148, vcc_lo, s23, v153, vcc_lo
	s_mul_hi_i32 s7, s4, s5
	s_mul_i32 s6, s4, s5
	v_add_co_u32 v149, vcc_lo, v152, s24
	s_lshl_b64 s[6:7], s[6:7], 1
	v_add_co_ci_u32_e32 v150, vcc_lo, s25, v153, vcc_lo
	s_clause 0x7
	global_load_b128 v[65:68], v[33:34], off
	global_load_b128 v[69:72], v[33:34], off offset:16
	global_load_b128 v[57:60], v[35:36], off
	global_load_b128 v[61:64], v[35:36], off offset:16
	;; [unrolled: 2-line block ×4, first 2 shown]
	s_waitcnt vmcnt(22)
	v_wmma_f32_16x16x16_f16 v[137:144], v[1:8], v[25:32], v[121:128]
	s_waitcnt vmcnt(20)
	v_wmma_f32_16x16x16_f16 v[121:128], v[9:16], v[25:32], v[121:128]
	v_add_co_u32 v29, vcc_lo, v152, s6
	v_add_co_ci_u32_e32 v30, vcc_lo, s7, v153, vcc_lo
	s_mul_hi_i32 s7, s17, s5
	s_mul_i32 s6, s17, s5
	s_waitcnt vmcnt(18)
	v_wmma_f32_16x16x16_f16 v[137:144], v[17:24], v[129:136], v[137:144]
	s_lshl_b64 s[4:5], s[6:7], 1
	s_clause 0x1
	global_load_b128 v[9:12], v[145:146], off
	global_load_b128 v[13:16], v[145:146], off offset:16
	v_add_co_u32 v21, vcc_lo, v152, s4
	v_add_co_ci_u32_e32 v22, vcc_lo, s5, v153, vcc_lo
	s_clause 0x7
	global_load_b128 v[1:4], v[147:148], off
	global_load_b128 v[5:8], v[147:148], off offset:16
	global_load_b128 v[33:36], v[149:150], off
	global_load_b128 v[37:40], v[149:150], off offset:16
	;; [unrolled: 2-line block ×4, first 2 shown]
	s_waitcnt vmcnt(26)
	v_wmma_f32_16x16x16_f16 v[121:128], v[81:88], v[129:136], v[121:128]
	ds_load_b128 v[81:84], v151 offset:4096
	ds_load_b128 v[85:88], v151 offset:5120
	v_mbcnt_lo_u32_b32 v130, -1, 0
	s_delay_alu instid0(VALU_DEP_1) | instskip(NEXT) | instid1(VALU_DEP_1)
	v_xor_b32_e32 v131, 16, v130
	v_cmp_gt_i32_e32 vcc_lo, 32, v131
	v_cndmask_b32_e32 v130, v130, v131, vcc_lo
	s_waitcnt vmcnt(24) lgkmcnt(0)
	v_wmma_f32_16x16x16_f16 v[137:144], v[89:96], v[81:88], v[137:144]
	ds_load_b128 v[89:92], v151 offset:6144
	ds_load_b128 v[93:96], v151 offset:7168
	s_waitcnt vmcnt(22)
	v_wmma_f32_16x16x16_f16 v[121:128], v[97:104], v[81:88], v[121:128]
	s_waitcnt vmcnt(0) lgkmcnt(0)
	s_barrier
	buffer_gl0_inv
	v_wmma_f32_16x16x16_f16 v[137:144], v[105:112], v[89:96], v[137:144]
	v_and_b32_e32 v129, 0xe0, v0
	v_wmma_f32_16x16x16_f16 v[121:128], v[113:120], v[89:96], v[121:128]
	s_delay_alu instid0(VALU_DEP_3) | instskip(NEXT) | instid1(VALU_DEP_2)
	v_mul_f32_e32 v96, s19, v137
	v_dual_mul_f32 v102, s19, v128 :: v_dual_add_nc_u32 v129, s16, v129
	v_mul_f32_e32 v95, s19, v138
	s_delay_alu instid0(VALU_DEP_4) | instskip(NEXT) | instid1(VALU_DEP_3)
	v_dual_mul_f32 v93, s19, v140 :: v_dual_mul_f32 v108, s19, v122
	v_or_b32_e32 v129, v129, v75
	v_dual_mul_f32 v94, s19, v139 :: v_dual_mul_f32 v91, s19, v142
	v_mul_f32_e32 v106, s19, v124
	v_mul_f32_e32 v92, s19, v141
	s_delay_alu instid0(VALU_DEP_4)
	v_or_b32_e32 v131, 2, v129
	v_or_b32_e32 v132, 4, v129
	;; [unrolled: 1-line block ×3, first 2 shown]
	v_cmp_gt_i32_e32 vcc_lo, s18, v129
	v_or_b32_e32 v82, 8, v129
	v_cmp_gt_i32_e64 s3, s18, v131
	v_or_b32_e32 v83, 10, v129
	v_cmp_gt_i32_e64 s4, s18, v132
	v_cndmask_b32_e32 v96, 0xff7fffff, v96, vcc_lo
	v_cmp_gt_i32_e64 s5, s18, v81
	v_cndmask_b32_e64 v95, 0xff7fffff, v95, s3
	v_or_b32_e32 v84, 12, v129
	v_or_b32_e32 v85, 14, v129
	v_cndmask_b32_e64 v94, 0xff7fffff, v94, s4
	v_cndmask_b32_e64 v81, 0xff7fffff, v93, s5
	v_max3_f32 v93, v96, 0xff7fffff, v95
	v_cmp_gt_i32_e64 s6, s18, v82
	v_cmp_gt_i32_e64 s7, s18, v83
	v_or_b32_e32 v86, 16, v129
	v_or_b32_e32 v87, 18, v129
	v_dual_mul_f32 v89, s19, v144 :: v_dual_mul_f32 v104, s19, v126
	v_mul_f32_e32 v90, s19, v143
	v_cndmask_b32_e64 v82, 0xff7fffff, v92, s6
	v_cndmask_b32_e64 v83, 0xff7fffff, v91, s7
	v_max3_f32 v81, v93, v94, v81
	v_cmp_gt_i32_e64 s8, s18, v84
	v_cmp_gt_i32_e64 s9, s18, v85
	v_or_b32_e32 v88, 20, v129
	v_or_b32_e32 v97, 22, v129
	v_mul_f32_e32 v109, s19, v121
	v_cndmask_b32_e64 v84, 0xff7fffff, v90, s8
	v_cndmask_b32_e64 v85, 0xff7fffff, v89, s9
	v_max3_f32 v81, v81, v82, v83
	v_cmp_gt_i32_e64 s10, s18, v86
	v_cmp_gt_i32_e64 s11, s18, v87
	v_or_b32_e32 v98, 24, v129
	v_or_b32_e32 v99, 26, v129
	;; [unrolled: 8-line block ×3, first 2 shown]
	v_mul_f32_e32 v105, s19, v125
	v_cndmask_b32_e64 v84, 0xff7fffff, v107, s12
	v_cndmask_b32_e64 v85, 0xff7fffff, v106, s13
	v_max3_f32 v81, v81, v82, v83
	v_cmp_gt_i32_e64 s15, s18, v98
	v_cmp_gt_i32_e64 s16, s18, v99
	v_mul_f32_e32 v103, s19, v127
	v_cmp_gt_i32_e64 s17, s18, v100
	v_max3_f32 v81, v81, v84, v85
	v_cndmask_b32_e64 v82, 0xff7fffff, v105, s15
	v_cndmask_b32_e64 v83, 0xff7fffff, v104, s16
	v_cmp_gt_i32_e64 s18, s18, v101
	v_cndmask_b32_e64 v84, 0xff7fffff, v103, s17
	s_delay_alu instid0(VALU_DEP_3) | instskip(NEXT) | instid1(VALU_DEP_3)
	v_max3_f32 v81, v81, v82, v83
	v_cndmask_b32_e64 v85, 0xff7fffff, v102, s18
	v_lshlrev_b32_e32 v83, 2, v130
	s_delay_alu instid0(VALU_DEP_2) | instskip(SKIP_3) | instid1(VALU_DEP_1)
	v_max3_f32 v81, v81, v84, v85
	ds_bpermute_b32 v82, v83, v81
	s_waitcnt lgkmcnt(0)
	v_max_f32_e32 v82, v82, v82
	v_max_f32_e32 v81, v81, v82
	s_delay_alu instid0(VALU_DEP_1) | instskip(SKIP_2) | instid1(VALU_DEP_3)
	v_fma_f32 v82, s19, v137, -v81
	v_fma_f32 v84, s19, v138, -v81
	;; [unrolled: 1-line block ×3, first 2 shown]
	v_mul_f32_e32 v82, 0x3fb8aa3b, v82
	s_delay_alu instid0(VALU_DEP_2) | instskip(NEXT) | instid1(VALU_DEP_2)
	v_dual_mul_f32 v84, 0x3fb8aa3b, v84 :: v_dual_mul_f32 v89, 0x3fb8aa3b, v87
	v_exp_f32_e32 v82, v82
	s_delay_alu instid0(VALU_DEP_1) | instskip(SKIP_4) | instid1(VALU_DEP_2)
	v_exp_f32_e32 v84, v84
	s_waitcnt_depctr 0xfff
	v_cndmask_b32_e32 v88, 0, v82, vcc_lo
	v_cndmask_b32_e64 v87, 0, v84, s3
	s_mov_b32 s3, exec_lo
	v_add_f32_e32 v84, 0, v88
	s_delay_alu instid0(VALU_DEP_1)
	v_add_f32_e32 v84, v84, v87
	v_fma_f32 v85, s19, v139, -v81
	v_fma_f32 v82, s19, v142, -v81
	;; [unrolled: 1-line block ×5, first 2 shown]
	s_delay_alu instid0(VALU_DEP_4) | instskip(NEXT) | instid1(VALU_DEP_4)
	v_dual_mul_f32 v85, 0x3fb8aa3b, v85 :: v_dual_mul_f32 v82, 0x3fb8aa3b, v82
	v_mul_f32_e32 v86, 0x3fb8aa3b, v86
	v_fma_f32 v96, s19, v124, -v81
	v_fma_f32 v99, s19, v127, -v81
	s_delay_alu instid0(VALU_DEP_4) | instskip(SKIP_4) | instid1(VALU_DEP_2)
	v_exp_f32_e32 v85, v85
	v_exp_f32_e32 v82, v82
	;; [unrolled: 1-line block ×3, first 2 shown]
	v_mul_f32_e32 v95, 0x3fb8aa3b, v94
	v_mul_f32_e32 v97, 0x3fb8aa3b, v96
	v_exp_f32_e32 v95, v95
	s_delay_alu instid0(VALU_DEP_1) | instskip(SKIP_2) | instid1(VALU_DEP_2)
	v_exp_f32_e32 v97, v97
	v_cndmask_b32_e64 v90, 0, v85, s4
	v_fma_f32 v85, s19, v144, -v81
	v_add_f32_e32 v84, v84, v90
	v_exp_f32_e32 v92, v89
	v_cndmask_b32_e64 v89, 0, v86, s5
	v_mul_f32_e32 v91, 0x3fb8aa3b, v91
	v_fma_f32 v86, s19, v121, -v81
	v_mul_f32_e32 v85, 0x3fb8aa3b, v85
	v_cndmask_b32_e64 v95, 0, v95, s11
	v_add_f32_e32 v84, v84, v89
	v_exp_f32_e32 v93, v91
	v_mul_f32_e32 v86, 0x3fb8aa3b, v86
	v_exp_f32_e32 v85, v85
	v_cndmask_b32_e64 v92, 0, v92, s6
	v_cndmask_b32_e64 v91, 0, v82, s7
	;; [unrolled: 1-line block ×3, first 2 shown]
	v_exp_f32_e32 v86, v86
	s_delay_alu instid0(VALU_DEP_3) | instskip(SKIP_1) | instid1(TRANS32_DEP_3)
	v_add_f32_e32 v82, v84, v92
	v_fma_f32 v84, s19, v123, -v81
	v_cndmask_b32_e64 v94, 0, v93, s8
	s_delay_alu instid0(TRANS32_DEP_2) | instskip(SKIP_1) | instid1(VALU_DEP_4)
	v_cndmask_b32_e64 v93, 0, v85, s9
	v_fma_f32 v85, s19, v125, -v81
	v_mul_f32_e32 v84, 0x3fb8aa3b, v84
	v_add_f32_e32 v82, v82, v91
	s_delay_alu instid0(TRANS32_DEP_1) | instskip(SKIP_3) | instid1(VALU_DEP_2)
	v_cndmask_b32_e64 v96, 0, v86, s10
	v_fma_f32 v86, s19, v126, -v81
	v_mul_f32_e32 v85, 0x3fb8aa3b, v85
	v_exp_f32_e32 v84, v84
	v_mul_f32_e32 v86, 0x3fb8aa3b, v86
	s_delay_alu instid0(VALU_DEP_2) | instskip(NEXT) | instid1(VALU_DEP_1)
	v_exp_f32_e32 v85, v85
	v_exp_f32_e32 v86, v86
	s_delay_alu instid0(TRANS32_DEP_3)
	v_cndmask_b32_e64 v98, 0, v84, s12
	v_mul_f32_e32 v84, 0x3fb8aa3b, v99
	v_fma_f32 v99, s19, v128, -v81
	v_add_f32_e32 v82, v82, v94
	s_waitcnt_depctr 0xfff
	v_cndmask_b32_e64 v100, 0, v85, s15
	v_exp_f32_e32 v84, v84
	v_dual_mul_f32 v85, 0x3fb8aa3b, v99 :: v_dual_add_f32 v82, v82, v93
	v_cndmask_b32_e64 v99, 0, v86, s16
	s_delay_alu instid0(VALU_DEP_2) | instskip(NEXT) | instid1(VALU_DEP_2)
	v_exp_f32_e32 v85, v85
	v_add_f32_e32 v82, v82, v96
	s_waitcnt_depctr 0xfff
	v_cndmask_b32_e64 v102, 0, v84, s17
	v_add_f32_e32 v82, v82, v95
	v_cndmask_b32_e64 v101, 0, v85, s18
	s_delay_alu instid0(VALU_DEP_2) | instskip(NEXT) | instid1(VALU_DEP_1)
	v_add_f32_e32 v82, v82, v98
	v_add_f32_e32 v82, v82, v97
	s_delay_alu instid0(VALU_DEP_1) | instskip(NEXT) | instid1(VALU_DEP_1)
	v_add_f32_e32 v82, v82, v100
	v_add_f32_e32 v82, v82, v99
	s_delay_alu instid0(VALU_DEP_1) | instskip(NEXT) | instid1(VALU_DEP_1)
	v_add_f32_e32 v82, v82, v102
	v_add_f32_e32 v82, v82, v101
	ds_bpermute_b32 v83, v83, v82
	v_cmpx_gt_u32_e32 16, v80
	s_cbranch_execz .LBB119_14
; %bb.13:
	v_mul_u32_u24_e32 v80, 0x44, v79
	s_waitcnt lgkmcnt(0)
	v_add_f32_e32 v82, v82, v83
	s_delay_alu instid0(VALU_DEP_2) | instskip(NEXT) | instid1(VALU_DEP_1)
	v_lshl_add_u32 v80, v77, 2, v80
	v_add_nc_u32_e32 v80, 0x4000, v80
	ds_store_2addr_b32 v80, v81, v82 offset1:136
.LBB119_14:
	s_or_b32 exec_lo, exec_lo, s3
	v_lshlrev_b32_e32 v80, 2, v77
	s_load_b32 s35, s[0:1], 0x94
	s_waitcnt lgkmcnt(0)
	s_barrier
	buffer_gl0_inv
	v_add_nc_u32_e32 v84, 0x4000, v80
	v_cmp_eq_u32_e32 vcc_lo, 1, v79
	v_cmp_eq_u32_e64 s3, 2, v79
	v_cmp_eq_u32_e64 s4, 3, v79
	;; [unrolled: 1-line block ×3, first 2 shown]
	ds_load_2addr_b32 v[80:81], v84 offset1:17
	ds_load_2addr_b32 v[82:83], v84 offset0:34 offset1:51
	ds_load_2addr_b32 v[103:104], v84 offset0:68 offset1:85
	;; [unrolled: 1-line block ×3, first 2 shown]
	v_cmp_eq_u32_e64 s6, 7, v79
	s_waitcnt lgkmcnt(3)
	v_max3_f32 v85, v80, 0xff7fffff, v81
	s_waitcnt lgkmcnt(2)
	s_delay_alu instid0(VALU_DEP_1) | instskip(SKIP_1) | instid1(VALU_DEP_1)
	v_max3_f32 v85, v85, v82, v83
	s_waitcnt lgkmcnt(1)
	v_max3_f32 v85, v85, v103, v104
	s_waitcnt lgkmcnt(0)
	s_delay_alu instid0(VALU_DEP_1) | instskip(NEXT) | instid1(VALU_DEP_1)
	v_max3_f32 v85, v85, v105, v106
	v_sub_f32_e32 v103, v103, v85
	ds_load_2addr_b32 v[107:108], v84 offset0:136 offset1:153
	v_sub_f32_e32 v80, v80, v85
	v_dual_sub_f32 v110, v83, v85 :: v_dual_mul_f32 v113, 0x3fb8aa3b, v103
	s_delay_alu instid0(VALU_DEP_2) | instskip(SKIP_3) | instid1(VALU_DEP_1)
	v_dual_sub_f32 v86, v81, v85 :: v_dual_mul_f32 v109, 0x3fb8aa3b, v80
	ds_load_2addr_b32 v[80:81], v84 offset0:170 offset1:187
	v_mul_f32_e32 v86, 0x3fb8aa3b, v86
	v_exp_f32_e32 v109, v109
	v_exp_f32_e32 v112, v86
	v_mul_f32_e32 v110, 0x3fb8aa3b, v110
	s_waitcnt lgkmcnt(1)
	s_waitcnt_depctr 0xfff
	v_fma_f32 v86, v109, v107, 0
	v_sub_f32_e32 v107, v104, v85
	v_sub_f32_e32 v82, v82, v85
	v_exp_f32_e32 v110, v110
	ds_load_2addr_b32 v[103:104], v84 offset0:238 offset1:255
	v_dual_fmac_f32 v86, v112, v108 :: v_dual_mul_f32 v111, 0x3fb8aa3b, v82
	ds_load_2addr_b32 v[82:83], v84 offset0:204 offset1:221
	v_dual_sub_f32 v84, v105, v85 :: v_dual_mul_f32 v105, 0x3fb8aa3b, v107
	v_exp_f32_e32 v107, v113
	v_exp_f32_e32 v111, v111
	s_waitcnt lgkmcnt(0)
	s_delay_alu instid0(VALU_DEP_1)
	v_mul_f32_e32 v84, 0x3fb8aa3b, v84
	v_exp_f32_e32 v105, v105
	s_barrier
	buffer_gl0_inv
	v_fmac_f32_e32 v86, v111, v80
	v_sub_f32_e32 v80, v106, v85
	v_exp_f32_e32 v106, v84
	s_delay_alu instid0(VALU_DEP_2) | instskip(NEXT) | instid1(VALU_DEP_2)
	v_fmac_f32_e32 v86, v110, v81
	v_mul_f32_e32 v80, 0x3fb8aa3b, v80
	s_delay_alu instid0(VALU_DEP_2) | instskip(NEXT) | instid1(VALU_DEP_2)
	v_dual_cndmask_b32 v81, v109, v112 :: v_dual_fmac_f32 v86, v107, v82
	v_exp_f32_e32 v108, v80
	s_delay_alu instid0(VALU_DEP_1) | instskip(SKIP_2) | instid1(VALU_DEP_1)
	v_fmac_f32_e32 v86, v105, v83
	s_waitcnt_depctr 0xfff
	v_fmac_f32_e32 v86, v106, v103
	v_fmac_f32_e32 v86, v108, v104
	s_delay_alu instid0(VALU_DEP_1) | instskip(NEXT) | instid1(VALU_DEP_1)
	v_add_f32_e32 v103, 0x358637bd, v86
	v_div_scale_f32 v104, null, v103, v103, 1.0
	v_div_scale_f32 v109, vcc_lo, 1.0, v103, 1.0
	s_delay_alu instid0(VALU_DEP_2) | instskip(SKIP_2) | instid1(VALU_DEP_1)
	v_rcp_f32_e32 v113, v104
	s_waitcnt_depctr 0xfff
	v_fma_f32 v80, -v104, v113, 1.0
	v_fmac_f32_e32 v113, v80, v113
	v_cndmask_b32_e64 v80, v81, v111, s3
	v_cmp_eq_u32_e64 s3, 4, v79
	v_lshl_or_b32 v81, v79, 11, v78
	s_delay_alu instid0(VALU_DEP_4) | instskip(NEXT) | instid1(VALU_DEP_4)
	v_mul_f32_e32 v111, v109, v113
	v_cndmask_b32_e64 v82, v80, v110, s4
	v_cmp_eq_u32_e64 s4, 6, v79
	s_delay_alu instid0(VALU_DEP_4) | instskip(SKIP_3) | instid1(VALU_DEP_3)
	v_lshl_or_b32 v79, v75, 4, v81
	v_lshlrev_b32_e32 v80, 2, v75
	v_fma_f32 v83, -v104, v111, v109
	v_cndmask_b32_e64 v84, v82, v107, s3
	v_or_b32_e32 v82, 1, v80
	s_delay_alu instid0(VALU_DEP_3) | instskip(NEXT) | instid1(VALU_DEP_3)
	v_fmac_f32_e32 v111, v83, v113
	v_cndmask_b32_e64 v105, v84, v105, s5
	v_or_b32_e32 v84, 2, v80
	v_or_b32_e32 v83, 3, v80
	v_cmp_eq_u32_e64 s3, 1, v80
	v_fma_f32 v104, -v104, v111, v109
	v_cndmask_b32_e64 v105, v105, v106, s4
	v_cmp_eq_u32_e64 s9, 1, v82
	v_cmp_eq_u32_e64 s10, 1, v84
	v_cmp_eq_u32_e64 s11, 1, v83
	v_div_fmas_f32 v104, v104, v113, v111
	v_cndmask_b32_e64 v105, v105, v108, s6
	v_cmp_eq_u32_e32 vcc_lo, 2, v80
	v_cmp_eq_u32_e64 s12, 2, v82
	v_cmp_eq_u32_e64 s15, 2, v84
	v_div_fixup_f32 v103, v104, v103, 1.0
	v_cmp_eq_u32_e64 s16, 2, v83
	v_cmp_eq_u32_e64 s18, 3, v83
	;; [unrolled: 1-line block ×4, first 2 shown]
	v_mul_f32_e32 v111, v105, v103
	v_cmp_eq_u32_e64 s17, 3, v84
	v_cmp_eq_u32_e64 s22, 4, v83
	;; [unrolled: 1-line block ×4, first 2 shown]
	v_fma_mixlo_f16 v103, v111, v88, 0
	v_fma_mixlo_f16 v104, v111, v90, 0
	;; [unrolled: 1-line block ×8, first 2 shown]
	v_fma_mixhi_f16 v103, v111, v87, 0
	v_fma_mixhi_f16 v104, v111, v89, 0
	v_fma_mixhi_f16 v105, v111, v91, 0
	v_fma_mixhi_f16 v106, v111, v93, 0
	v_fma_mixhi_f16 v107, v111, v95, 0
	v_fma_mixhi_f16 v108, v111, v97, 0
	v_fma_mixhi_f16 v109, v111, v99, 0
	v_fma_mixhi_f16 v110, v111, v101, 0
	ds_store_b128 v79, v[103:106]
	ds_store_b128 v79, v[107:110] offset:1024
	s_waitcnt lgkmcnt(0)
	s_barrier
	buffer_gl0_inv
	ds_load_b128 v[87:90], v81
	ds_load_b128 v[91:94], v81 offset:16
	ds_load_b128 v[95:98], v81 offset:1024
	;; [unrolled: 1-line block ×3, first 2 shown]
	v_cmp_eq_u32_e64 s21, 4, v84
	v_cmp_eq_u32_e64 s24, 5, v83
	;; [unrolled: 1-line block ×13, first 2 shown]
	s_waitcnt lgkmcnt(3)
	v_lshrrev_b32_e32 v103, 16, v87
	s_waitcnt lgkmcnt(2)
	v_lshrrev_b32_e32 v107, 16, v91
	;; [unrolled: 2-line block ×4, first 2 shown]
	v_lshrrev_b32_e32 v104, 16, v88
	v_cndmask_b32_e64 v119, v87, v103, s3
	v_cndmask_b32_e64 v120, v91, v107, s3
	;; [unrolled: 1-line block ×8, first 2 shown]
	v_lshrrev_b32_e32 v108, 16, v92
	v_cndmask_b32_e64 v103, v95, v111, s3
	v_cndmask_b32_e64 v107, v99, v115, s3
	;; [unrolled: 1-line block ×5, first 2 shown]
	v_cndmask_b32_e32 v111, v119, v88, vcc_lo
	v_cndmask_b32_e64 v119, v121, v88, s12
	v_cndmask_b32_e64 v121, v123, v88, s15
	;; [unrolled: 1-line block ×4, first 2 shown]
	v_lshrrev_b32_e32 v112, 16, v96
	v_lshrrev_b32_e32 v116, 16, v100
	v_cndmask_b32_e64 v126, v99, v115, s9
	v_cndmask_b32_e64 v128, v99, v115, s10
	v_cndmask_b32_e64 v99, v99, v115, s11
	v_cndmask_b32_e32 v115, v120, v92, vcc_lo
	v_cndmask_b32_e64 v120, v122, v92, s12
	v_cndmask_b32_e64 v122, v124, v92, s15
	v_cndmask_b32_e32 v91, v103, v96, vcc_lo
	v_cndmask_b32_e32 v92, v107, v100, vcc_lo
	v_cndmask_b32_e64 v103, v125, v96, s12
	v_cndmask_b32_e64 v87, v87, v104, s18
	;; [unrolled: 1-line block ×3, first 2 shown]
	v_lshrrev_b32_e32 v105, 16, v89
	v_lshrrev_b32_e32 v109, 16, v93
	v_cndmask_b32_e64 v107, v127, v96, s15
	v_cndmask_b32_e64 v95, v95, v96, s16
	;; [unrolled: 1-line block ×14, first 2 shown]
	v_lshrrev_b32_e32 v113, 16, v97
	v_cndmask_b32_e64 v99, v99, v89, s5
	v_cndmask_b32_e64 v104, v111, v93, s5
	;; [unrolled: 1-line block ×11, first 2 shown]
	v_lshrrev_b32_e32 v106, 16, v90
	v_lshrrev_b32_e32 v110, 16, v94
	v_cndmask_b32_e64 v93, v99, v105, s6
	v_cndmask_b32_e64 v99, v104, v109, s6
	;; [unrolled: 1-line block ×9, first 2 shown]
	v_lshrrev_b32_e32 v114, 16, v98
	v_cndmask_b32_e64 v89, v89, v113, s6
	v_cndmask_b32_e64 v93, v93, v90, s7
	;; [unrolled: 1-line block ×19, first 2 shown]
	v_perm_b32 v90, v88, v87, 0x5040100
	v_cndmask_b32_e64 v87, v126, v100, s12
	v_cndmask_b32_e64 v105, v89, v114, s8
	v_perm_b32 v89, v103, v99, 0x5040100
	v_perm_b32 v88, v104, v94, 0x5040100
	v_cndmask_b32_e64 v94, v107, v112, s17
	v_cndmask_b32_e64 v95, v95, v112, s18
	v_cndmask_b32_e64 v96, v96, v116, s18
	v_cndmask_b32_e64 v99, v123, v116, s17
	v_cndmask_b32_e64 v87, v87, v116, s13
	v_lshrrev_b32_e32 v117, 16, v101
	v_cndmask_b32_e64 v94, v94, v97, s21
	v_cndmask_b32_e64 v95, v95, v97, s22
	;; [unrolled: 1-line block ×11, first 2 shown]
	v_lshrrev_b32_e32 v118, 16, v102
	v_cndmask_b32_e64 v91, v91, v102, s7
	v_cndmask_b32_e64 v94, v94, v98, s26
	;; [unrolled: 1-line block ×12, first 2 shown]
	v_perm_b32 v87, v93, v92, 0x5040100
	v_perm_b32 v94, v95, v94, 0x5040100
	;; [unrolled: 1-line block ×5, first 2 shown]
	s_mul_i32 s7, s33, 6
	s_mov_b32 s3, exec_lo
	ds_store_b128 v79, v[87:90]
	ds_store_b128 v79, v[91:94] offset:1024
	v_cmpx_gt_u32_e32 6, v0
	s_cbranch_execz .LBB119_16
; %bb.15:
	s_mul_i32 s4, s7, s34
	s_load_b128 s[8:11], s[0:1], 0x58
	v_add3_u32 v77, s4, s31, v77
	s_delay_alu instid0(VALU_DEP_1) | instskip(NEXT) | instid1(VALU_DEP_1)
	v_mad_u64_u32 v[87:88], null, v77, s35, s[14:15]
	v_ashrrev_i32_e32 v88, 31, v87
	s_delay_alu instid0(VALU_DEP_1) | instskip(SKIP_1) | instid1(VALU_DEP_1)
	v_lshlrev_b64 v[87:88], 2, v[87:88]
	s_waitcnt lgkmcnt(0)
	v_add_co_u32 v89, vcc_lo, s10, v87
	s_delay_alu instid0(VALU_DEP_2)
	v_add_co_ci_u32_e32 v90, vcc_lo, s11, v88, vcc_lo
	v_add_co_u32 v87, vcc_lo, s8, v87
	v_add_co_ci_u32_e32 v88, vcc_lo, s9, v88, vcc_lo
	global_store_b32 v[89:90], v85, off
	global_store_b32 v[87:88], v86, off
.LBB119_16:
	s_or_b32 exec_lo, exec_lo, s3
	s_waitcnt lgkmcnt(0)
	s_waitcnt_vscnt null, 0x0
	s_barrier
	buffer_gl0_inv
	ds_load_b128 v[93:96], v78
	ds_load_b128 v[97:100], v78 offset:16
	ds_load_b128 v[105:108], v78 offset:1040
	;; [unrolled: 1-line block ×5, first 2 shown]
	v_cmp_eq_u32_e32 vcc_lo, 1, v84
	v_mov_b32_e32 v85, 0
	ds_load_b128 v[121:124], v78 offset:3088
	ds_load_b128 v[117:120], v78 offset:3072
	;; [unrolled: 1-line block ×4, first 2 shown]
	v_cmp_eq_u32_e64 s3, 1, v80
	v_cmp_eq_u32_e64 s4, 1, v83
	;; [unrolled: 1-line block ×3, first 2 shown]
	v_mov_b32_e32 v86, v85
	v_mov_b32_e32 v87, v85
	v_mov_b32_e32 v88, v85
	v_mov_b32_e32 v89, v85
	v_mov_b32_e32 v90, v85
	v_mov_b32_e32 v91, v85
	v_mov_b32_e32 v92, v85
	v_cmp_eq_u32_e64 s6, 2, v80
	s_waitcnt lgkmcnt(8)
	s_delay_alu instid0(VALU_DEP_2)
	v_wmma_f32_16x16x16_f16 v[85:92], v[65:72], v[93:100], v[85:92]
	ds_load_b128 v[69:72], v78 offset:5136
	ds_load_b128 v[65:68], v78 offset:5120
	;; [unrolled: 1-line block ×4, first 2 shown]
	s_waitcnt lgkmcnt(10)
	v_wmma_f32_16x16x16_f16 v[85:92], v[57:64], v[101:108], v[85:92]
	s_waitcnt lgkmcnt(8)
	s_delay_alu instid0(VALU_DEP_1)
	v_wmma_f32_16x16x16_f16 v[85:92], v[57:64], v[109:116], v[85:92]
	ds_load_b128 v[61:64], v78 offset:7184
	ds_load_b128 v[57:60], v78 offset:7168
	ds_load_b128 v[105:108], v78 offset:8208
	ds_load_b128 v[101:104], v78 offset:8192
	s_waitcnt lgkmcnt(10)
	v_wmma_f32_16x16x16_f16 v[85:92], v[49:56], v[117:124], v[85:92]
	s_waitcnt lgkmcnt(8)
	s_delay_alu instid0(VALU_DEP_1)
	v_wmma_f32_16x16x16_f16 v[85:92], v[49:56], v[125:132], v[85:92]
	ds_load_b128 v[53:56], v78 offset:9232
	ds_load_b128 v[49:52], v78 offset:9216
	s_waitcnt lgkmcnt(8)
	v_wmma_f32_16x16x16_f16 v[85:92], v[41:48], v[65:72], v[85:92]
	ds_load_b128 v[69:72], v78 offset:10256
	ds_load_b128 v[65:68], v78 offset:10240
	s_waitcnt lgkmcnt(8)
	;; [unrolled: 4-line block ×7, first 2 shown]
	s_barrier
	buffer_gl0_inv
	v_wmma_f32_16x16x16_f16 v[85:92], v[33:40], v[41:48], v[85:92]
	s_delay_alu instid0(VALU_DEP_1) | instskip(NEXT) | instid1(VALU_DEP_1)
	v_wmma_f32_16x16x16_f16 v[85:92], v[33:40], v[57:64], v[85:92]
	v_wmma_f32_16x16x16_f16 v[85:92], v[25:32], v[9:16], v[85:92]
	s_delay_alu instid0(VALU_DEP_1) | instskip(NEXT) | instid1(VALU_DEP_1)
	v_wmma_f32_16x16x16_f16 v[85:92], v[25:32], v[49:56], v[85:92]
	v_wmma_f32_16x16x16_f16 v[85:92], v[17:24], v[1:8], v[85:92]
	s_delay_alu instid0(VALU_DEP_1) | instskip(NEXT) | instid1(VALU_DEP_2)
	v_cvt_f16_f32_e32 v1, v85
	v_cvt_f16_f32_e32 v2, v86
	s_delay_alu instid0(VALU_DEP_3) | instskip(NEXT) | instid1(VALU_DEP_4)
	v_cvt_f16_f32_e32 v3, v87
	v_cvt_f16_f32_e32 v4, v88
	;; [unrolled: 1-line block ×6, first 2 shown]
	v_pack_b32_f16 v1, v1, v2
	v_pack_b32_f16 v2, v3, v4
	;; [unrolled: 1-line block ×3, first 2 shown]
	s_delay_alu instid0(VALU_DEP_4)
	v_pack_b32_f16 v4, v7, v8
	ds_store_b128 v79, v[1:4]
	s_waitcnt lgkmcnt(0)
	s_barrier
	buffer_gl0_inv
	ds_load_b128 v[1:4], v81
	ds_load_b128 v[5:8], v81 offset:16
	s_waitcnt lgkmcnt(1)
	v_lshrrev_b32_e32 v9, 16, v1
	s_waitcnt lgkmcnt(0)
	v_lshrrev_b32_e32 v13, 16, v5
	v_lshrrev_b32_e32 v15, 16, v7
	;; [unrolled: 1-line block ×4, first 2 shown]
	v_cndmask_b32_e64 v17, v1, v9, s3
	v_cndmask_b32_e64 v18, v5, v13, s3
	;; [unrolled: 1-line block ×3, first 2 shown]
	v_cmp_eq_u32_e64 s3, 2, v82
	v_cndmask_b32_e64 v20, v5, v13, s5
	v_cndmask_b32_e32 v21, v1, v9, vcc_lo
	v_cndmask_b32_e32 v22, v5, v13, vcc_lo
	v_cndmask_b32_e64 v1, v1, v9, s4
	v_cndmask_b32_e64 v5, v5, v13, s4
	v_cmp_eq_u32_e32 vcc_lo, 2, v84
	v_cmp_eq_u32_e64 s4, 2, v83
	v_cndmask_b32_e64 v9, v17, v2, s6
	v_cndmask_b32_e64 v13, v18, v6, s6
	;; [unrolled: 1-line block ×4, first 2 shown]
	v_cndmask_b32_e32 v19, v21, v2, vcc_lo
	v_cmp_eq_u32_e64 s3, 3, v84
	v_cndmask_b32_e32 v20, v22, v6, vcc_lo
	v_cndmask_b32_e64 v1, v1, v2, s4
	v_cmp_eq_u32_e32 vcc_lo, 3, v83
	v_cmp_eq_u32_e64 s5, 3, v80
	v_cndmask_b32_e64 v2, v5, v6, s4
	v_cmp_eq_u32_e64 s4, 3, v82
	v_lshrrev_b32_e32 v16, 16, v8
	v_cmp_eq_u32_e64 s6, 4, v80
	v_cndmask_b32_e64 v5, v9, v10, s5
	v_cndmask_b32_e64 v6, v13, v14, s5
	;; [unrolled: 1-line block ×3, first 2 shown]
	v_cmp_eq_u32_e64 s5, 4, v82
	v_cndmask_b32_e64 v13, v18, v14, s4
	v_cndmask_b32_e64 v17, v19, v10, s3
	;; [unrolled: 1-line block ×3, first 2 shown]
	v_cndmask_b32_e32 v1, v1, v10, vcc_lo
	v_cndmask_b32_e32 v2, v2, v14, vcc_lo
	v_cmp_eq_u32_e32 vcc_lo, 4, v84
	v_cmp_eq_u32_e64 s4, 4, v83
	v_lshrrev_b32_e32 v11, 16, v3
	v_cndmask_b32_e64 v5, v5, v3, s6
	v_cndmask_b32_e64 v6, v6, v7, s6
	v_cndmask_b32_e64 v9, v9, v3, s5
	v_cndmask_b32_e64 v10, v13, v7, s5
	v_cndmask_b32_e32 v13, v17, v3, vcc_lo
	v_cmp_eq_u32_e64 s3, 5, v84
	v_cndmask_b32_e32 v14, v18, v7, vcc_lo
	v_cndmask_b32_e64 v1, v1, v3, s4
	v_cmp_eq_u32_e32 vcc_lo, 5, v83
	v_cmp_eq_u32_e64 s5, 5, v80
	v_cndmask_b32_e64 v2, v2, v7, s4
	v_cmp_eq_u32_e64 s4, 5, v82
	v_cmp_eq_u32_e64 s6, 6, v80
	v_cndmask_b32_e32 v1, v1, v11, vcc_lo
	v_cndmask_b32_e64 v3, v5, v11, s5
	v_cndmask_b32_e64 v5, v6, v15, s5
	v_cndmask_b32_e64 v6, v9, v11, s4
	v_cmp_eq_u32_e64 s5, 6, v82
	v_cndmask_b32_e64 v7, v10, v15, s4
	v_cndmask_b32_e64 v9, v13, v11, s3
	;; [unrolled: 1-line block ×3, first 2 shown]
	v_cndmask_b32_e32 v2, v2, v15, vcc_lo
	v_cmp_eq_u32_e32 vcc_lo, 6, v84
	v_cmp_eq_u32_e64 s3, 6, v83
	v_lshrrev_b32_e32 v12, 16, v4
	v_cndmask_b32_e64 v3, v3, v4, s6
	v_cndmask_b32_e64 v5, v5, v8, s6
	;; [unrolled: 1-line block ×4, first 2 shown]
	v_cndmask_b32_e32 v9, v9, v4, vcc_lo
	v_cmp_eq_u32_e64 s4, 7, v84
	v_cndmask_b32_e32 v10, v10, v8, vcc_lo
	v_cndmask_b32_e64 v1, v1, v4, s3
	v_cmp_eq_u32_e32 vcc_lo, 7, v83
	v_cndmask_b32_e64 v2, v2, v8, s3
	v_cmp_eq_u32_e64 s3, 7, v80
	v_cmp_eq_u32_e64 s5, 7, v82
	v_cndmask_b32_e32 v1, v1, v12, vcc_lo
	s_delay_alu instid0(VALU_DEP_4) | instskip(NEXT) | instid1(VALU_DEP_4)
	v_cndmask_b32_e32 v2, v2, v16, vcc_lo
	v_cndmask_b32_e64 v8, v3, v12, s3
	s_delay_alu instid0(VALU_DEP_4)
	v_cndmask_b32_e64 v6, v6, v12, s5
	v_cndmask_b32_e64 v3, v9, v12, s4
	v_cndmask_b32_e64 v9, v10, v16, s4
	v_cndmask_b32_e64 v7, v7, v16, s5
	v_cndmask_b32_e64 v5, v5, v16, s3
	v_cmp_gt_u32_e32 vcc_lo, 32, v0
	v_perm_b32 v4, v2, v1, 0x5040100
	v_perm_b32 v3, v9, v3, 0x5040100
	;; [unrolled: 1-line block ×4, first 2 shown]
	s_and_b32 s2, vcc_lo, s2
	ds_store_b128 v79, v[1:4]
	s_waitcnt lgkmcnt(0)
	s_barrier
	buffer_gl0_inv
	s_and_saveexec_b32 s3, s2
	s_cbranch_execz .LBB119_2
; %bb.17:
	s_load_b64 s[0:1], s[0:1], 0x68
	s_lshl_b32 s4, s35, 6
	v_or_b32_e32 v3, s31, v75
	s_mul_i32 s2, s4, s34
	v_lshlrev_b32_e32 v0, 10, v0
	s_mul_i32 s2, s2, s7
	v_lshlrev_b32_e32 v1, 4, v76
	s_ashr_i32 s3, s2, 31
	v_mul_lo_u32 v12, v3, s4
	s_lshl_b64 s[2:3], s[2:3], 1
	v_lshlrev_b32_e32 v2, 6, v75
	v_and_b32_e32 v0, 0x3800, v0
	s_delay_alu instid0(VALU_DEP_1) | instskip(NEXT) | instid1(VALU_DEP_4)
	v_or3_b32 v8, v0, v1, v2
	v_ashrrev_i32_e32 v13, 31, v12
	ds_load_b128 v[0:3], v8
	ds_load_b128 v[4:7], v8 offset:128
	ds_load_b128 v[8:11], v8 offset:256
	s_waitcnt lgkmcnt(0)
	s_add_u32 s2, s0, s2
	s_addc_u32 s3, s1, s3
	s_lshl_b32 s0, s14, 6
	s_delay_alu instid0(SALU_CYCLE_1) | instskip(NEXT) | instid1(SALU_CYCLE_1)
	s_ashr_i32 s1, s0, 31
	s_lshl_b64 s[0:1], s[0:1], 1
	s_delay_alu instid0(SALU_CYCLE_1)
	s_add_u32 s0, s2, s0
	s_addc_u32 s1, s3, s1
	s_lshl_b32 s2, s35, 7
	v_add_co_u32 v18, vcc_lo, s0, v73
	v_add_nc_u32_e32 v14, s2, v12
	v_lshlrev_b64 v[12:13], 1, v[12:13]
	v_add_co_ci_u32_e32 v19, vcc_lo, s1, v74, vcc_lo
	s_delay_alu instid0(VALU_DEP_3) | instskip(SKIP_1) | instid1(VALU_DEP_4)
	v_add_nc_u32_e32 v16, s2, v14
	v_ashrrev_i32_e32 v15, 31, v14
	v_add_co_u32 v12, vcc_lo, v18, v12
	s_delay_alu instid0(VALU_DEP_4) | instskip(NEXT) | instid1(VALU_DEP_4)
	v_add_co_ci_u32_e32 v13, vcc_lo, v19, v13, vcc_lo
	v_ashrrev_i32_e32 v17, 31, v16
	s_delay_alu instid0(VALU_DEP_4) | instskip(NEXT) | instid1(VALU_DEP_2)
	v_lshlrev_b64 v[14:15], 1, v[14:15]
	v_lshlrev_b64 v[16:17], 1, v[16:17]
	s_delay_alu instid0(VALU_DEP_2) | instskip(NEXT) | instid1(VALU_DEP_3)
	v_add_co_u32 v14, vcc_lo, v18, v14
	v_add_co_ci_u32_e32 v15, vcc_lo, v19, v15, vcc_lo
	s_delay_alu instid0(VALU_DEP_3) | instskip(NEXT) | instid1(VALU_DEP_4)
	v_add_co_u32 v16, vcc_lo, v18, v16
	v_add_co_ci_u32_e32 v17, vcc_lo, v19, v17, vcc_lo
	s_clause 0x2
	global_store_b128 v[12:13], v[0:3], off
	global_store_b128 v[14:15], v[4:7], off
	;; [unrolled: 1-line block ×3, first 2 shown]
	s_nop 0
	s_sendmsg sendmsg(MSG_DEALLOC_VGPRS)
	s_endpgm
	.section	.rodata,"a",@progbits
	.p2align	6, 0x0
	.amdhsa_kernel _Z39paged_attention_ll4mi_QKV_mfma16_kernelIDF16_DF16_LN4vllm18Fp8KVCacheDataTypeE0EhLi32ELi64ELi256ELb1ELi6EL8MFMAType0EEvPKT_PKT0_S8_ifPKiSA_SA_iPKfiiiPfSD_PS3_PT2_iSC_SC_
		.amdhsa_group_segment_fixed_size 17472
		.amdhsa_private_segment_fixed_size 0
		.amdhsa_kernarg_size 400
		.amdhsa_user_sgpr_count 13
		.amdhsa_user_sgpr_dispatch_ptr 0
		.amdhsa_user_sgpr_queue_ptr 0
		.amdhsa_user_sgpr_kernarg_segment_ptr 1
		.amdhsa_user_sgpr_dispatch_id 0
		.amdhsa_user_sgpr_private_segment_size 0
		.amdhsa_wavefront_size32 1
		.amdhsa_uses_dynamic_stack 0
		.amdhsa_enable_private_segment 0
		.amdhsa_system_sgpr_workgroup_id_x 1
		.amdhsa_system_sgpr_workgroup_id_y 1
		.amdhsa_system_sgpr_workgroup_id_z 1
		.amdhsa_system_sgpr_workgroup_info 0
		.amdhsa_system_vgpr_workitem_id 0
		.amdhsa_next_free_vgpr 154
		.amdhsa_next_free_sgpr 39
		.amdhsa_reserve_vcc 1
		.amdhsa_float_round_mode_32 0
		.amdhsa_float_round_mode_16_64 0
		.amdhsa_float_denorm_mode_32 3
		.amdhsa_float_denorm_mode_16_64 3
		.amdhsa_dx10_clamp 1
		.amdhsa_ieee_mode 1
		.amdhsa_fp16_overflow 0
		.amdhsa_workgroup_processor_mode 1
		.amdhsa_memory_ordered 1
		.amdhsa_forward_progress 0
		.amdhsa_shared_vgpr_count 0
		.amdhsa_exception_fp_ieee_invalid_op 0
		.amdhsa_exception_fp_denorm_src 0
		.amdhsa_exception_fp_ieee_div_zero 0
		.amdhsa_exception_fp_ieee_overflow 0
		.amdhsa_exception_fp_ieee_underflow 0
		.amdhsa_exception_fp_ieee_inexact 0
		.amdhsa_exception_int_div_zero 0
	.end_amdhsa_kernel
	.section	.text._Z39paged_attention_ll4mi_QKV_mfma16_kernelIDF16_DF16_LN4vllm18Fp8KVCacheDataTypeE0EhLi32ELi64ELi256ELb1ELi6EL8MFMAType0EEvPKT_PKT0_S8_ifPKiSA_SA_iPKfiiiPfSD_PS3_PT2_iSC_SC_,"axG",@progbits,_Z39paged_attention_ll4mi_QKV_mfma16_kernelIDF16_DF16_LN4vllm18Fp8KVCacheDataTypeE0EhLi32ELi64ELi256ELb1ELi6EL8MFMAType0EEvPKT_PKT0_S8_ifPKiSA_SA_iPKfiiiPfSD_PS3_PT2_iSC_SC_,comdat
.Lfunc_end119:
	.size	_Z39paged_attention_ll4mi_QKV_mfma16_kernelIDF16_DF16_LN4vllm18Fp8KVCacheDataTypeE0EhLi32ELi64ELi256ELb1ELi6EL8MFMAType0EEvPKT_PKT0_S8_ifPKiSA_SA_iPKfiiiPfSD_PS3_PT2_iSC_SC_, .Lfunc_end119-_Z39paged_attention_ll4mi_QKV_mfma16_kernelIDF16_DF16_LN4vllm18Fp8KVCacheDataTypeE0EhLi32ELi64ELi256ELb1ELi6EL8MFMAType0EEvPKT_PKT0_S8_ifPKiSA_SA_iPKfiiiPfSD_PS3_PT2_iSC_SC_
                                        ; -- End function
	.section	.AMDGPU.csdata,"",@progbits
; Kernel info:
; codeLenInByte = 7188
; NumSgprs: 41
; NumVgprs: 154
; ScratchSize: 0
; MemoryBound: 0
; FloatMode: 240
; IeeeMode: 1
; LDSByteSize: 17472 bytes/workgroup (compile time only)
; SGPRBlocks: 5
; VGPRBlocks: 19
; NumSGPRsForWavesPerEU: 41
; NumVGPRsForWavesPerEU: 154
; Occupancy: 9
; WaveLimiterHint : 1
; COMPUTE_PGM_RSRC2:SCRATCH_EN: 0
; COMPUTE_PGM_RSRC2:USER_SGPR: 13
; COMPUTE_PGM_RSRC2:TRAP_HANDLER: 0
; COMPUTE_PGM_RSRC2:TGID_X_EN: 1
; COMPUTE_PGM_RSRC2:TGID_Y_EN: 1
; COMPUTE_PGM_RSRC2:TGID_Z_EN: 1
; COMPUTE_PGM_RSRC2:TIDIG_COMP_CNT: 0
	.section	.text._Z39paged_attention_ll4mi_QKV_mfma16_kernelIDF16_DF16_LN4vllm18Fp8KVCacheDataTypeE0EhLi32ELi64ELi256ELb1ELi7EL8MFMAType0EEvPKT_PKT0_S8_ifPKiSA_SA_iPKfiiiPfSD_PS3_PT2_iSC_SC_,"axG",@progbits,_Z39paged_attention_ll4mi_QKV_mfma16_kernelIDF16_DF16_LN4vllm18Fp8KVCacheDataTypeE0EhLi32ELi64ELi256ELb1ELi7EL8MFMAType0EEvPKT_PKT0_S8_ifPKiSA_SA_iPKfiiiPfSD_PS3_PT2_iSC_SC_,comdat
	.protected	_Z39paged_attention_ll4mi_QKV_mfma16_kernelIDF16_DF16_LN4vllm18Fp8KVCacheDataTypeE0EhLi32ELi64ELi256ELb1ELi7EL8MFMAType0EEvPKT_PKT0_S8_ifPKiSA_SA_iPKfiiiPfSD_PS3_PT2_iSC_SC_ ; -- Begin function _Z39paged_attention_ll4mi_QKV_mfma16_kernelIDF16_DF16_LN4vllm18Fp8KVCacheDataTypeE0EhLi32ELi64ELi256ELb1ELi7EL8MFMAType0EEvPKT_PKT0_S8_ifPKiSA_SA_iPKfiiiPfSD_PS3_PT2_iSC_SC_
	.globl	_Z39paged_attention_ll4mi_QKV_mfma16_kernelIDF16_DF16_LN4vllm18Fp8KVCacheDataTypeE0EhLi32ELi64ELi256ELb1ELi7EL8MFMAType0EEvPKT_PKT0_S8_ifPKiSA_SA_iPKfiiiPfSD_PS3_PT2_iSC_SC_
	.p2align	8
	.type	_Z39paged_attention_ll4mi_QKV_mfma16_kernelIDF16_DF16_LN4vllm18Fp8KVCacheDataTypeE0EhLi32ELi64ELi256ELb1ELi7EL8MFMAType0EEvPKT_PKT0_S8_ifPKiSA_SA_iPKfiiiPfSD_PS3_PT2_iSC_SC_,@function
_Z39paged_attention_ll4mi_QKV_mfma16_kernelIDF16_DF16_LN4vllm18Fp8KVCacheDataTypeE0EhLi32ELi64ELi256ELb1ELi7EL8MFMAType0EEvPKT_PKT0_S8_ifPKiSA_SA_iPKfiiiPfSD_PS3_PT2_iSC_SC_: ; @_Z39paged_attention_ll4mi_QKV_mfma16_kernelIDF16_DF16_LN4vllm18Fp8KVCacheDataTypeE0EhLi32ELi64ELi256ELb1ELi7EL8MFMAType0EEvPKT_PKT0_S8_ifPKiSA_SA_iPKfiiiPfSD_PS3_PT2_iSC_SC_
; %bb.0:
	s_load_b64 s[2:3], s[0:1], 0x30
	s_mov_b32 s34, s13
	s_waitcnt lgkmcnt(0)
	s_cmp_lg_u64 s[2:3], 0
	s_cselect_b32 s6, -1, 0
	s_ashr_i32 s35, s13, 31
	s_cmp_eq_u64 s[2:3], 0
	s_cbranch_scc1 .LBB120_3
; %bb.1:
	s_lshl_b64 s[4:5], s[34:35], 2
	s_delay_alu instid0(SALU_CYCLE_1) | instskip(SKIP_4) | instid1(SALU_CYCLE_1)
	s_add_u32 s4, s2, s4
	s_addc_u32 s5, s3, s5
	s_load_b64 s[4:5], s[4:5], 0x0
	s_waitcnt lgkmcnt(0)
	s_sub_i32 s4, s5, s4
	s_cmp_eq_u32 s4, 1
	s_cselect_b32 s4, -1, 0
	s_delay_alu instid0(SALU_CYCLE_1)
	s_and_not1_b32 vcc_lo, exec_lo, s4
	s_cbranch_vccz .LBB120_4
.LBB120_2:
	s_nop 0
	s_sendmsg sendmsg(MSG_DEALLOC_VGPRS)
	s_endpgm
.LBB120_3:
.LBB120_4:
	s_load_b64 s[8:9], s[0:1], 0x28
	s_lshl_b64 s[4:5], s[34:35], 2
	s_waitcnt lgkmcnt(0)
	s_add_u32 s8, s8, s4
	s_addc_u32 s9, s9, s5
	s_lshl_b32 s16, s14, 8
	s_load_b32 s18, s[8:9], 0x0
	s_waitcnt lgkmcnt(0)
	s_cmp_ge_i32 s16, s18
	s_cbranch_scc1 .LBB120_2
; %bb.5:
	s_and_not1_b32 vcc_lo, exec_lo, s6
	s_cbranch_vccnz .LBB120_7
; %bb.6:
	s_add_u32 s2, s2, s4
	s_addc_u32 s3, s3, s5
	s_load_b32 s17, s[2:3], 0x0
	s_branch .LBB120_8
.LBB120_7:
	s_mov_b32 s17, s34
.LBB120_8:
	s_clause 0x2
	s_load_b128 s[8:11], s[0:1], 0x8
	s_load_b64 s[12:13], s[0:1], 0x20
	s_load_b128 s[4:7], s[0:1], 0x48
	v_lshrrev_b32_e32 v78, 5, v0
	v_bfe_u32 v75, v0, 4, 1
	v_and_b32_e32 v77, 15, v0
	s_delay_alu instid0(VALU_DEP_2) | instskip(NEXT) | instid1(VALU_DEP_2)
	v_lshl_or_b32 v3, v78, 1, v75
	v_cmp_lt_u32_e64 s3, 7, v77
	v_lshlrev_b32_e32 v1, 3, v77
	v_cmp_gt_u32_e64 s2, 8, v77
	s_delay_alu instid0(VALU_DEP_4) | instskip(NEXT) | instid1(VALU_DEP_4)
	v_cmp_lt_u32_e32 vcc_lo, 6, v3
	s_or_b32 s3, s3, vcc_lo
	s_waitcnt lgkmcnt(0)
	s_and_saveexec_b32 s7, s3
	s_delay_alu instid0(SALU_CYCLE_1)
	s_xor_b32 s3, exec_lo, s7
; %bb.9:
	v_mov_b32_e32 v2, 0
                                        ; implicit-def: $vgpr3
; %bb.10:
	s_or_saveexec_b32 s3, s3
	v_and_b32_e32 v80, 31, v0
	v_and_b32_e32 v76, 1, v0
	s_mul_i32 s33, s15, 7
	s_xor_b32 exec_lo, exec_lo, s3
	s_cbranch_execz .LBB120_12
; %bb.11:
	s_load_b64 s[20:21], s[0:1], 0x0
	v_add_lshl_u32 v4, v3, s33, 6
	s_mul_hi_i32 s23, s17, s4
	s_mul_i32 s22, s17, s4
	v_lshlrev_b32_e32 v2, 1, v1
	s_lshl_b64 s[22:23], s[22:23], 1
	v_ashrrev_i32_e32 v5, 31, v4
	v_lshlrev_b32_e32 v3, 6, v3
	v_lshlrev_b32_e32 v8, 10, v76
	s_delay_alu instid0(VALU_DEP_3) | instskip(SKIP_3) | instid1(VALU_DEP_1)
	v_lshlrev_b64 v[4:5], 1, v[4:5]
	s_waitcnt lgkmcnt(0)
	s_add_u32 s4, s20, s22
	s_addc_u32 s7, s21, s23
	v_add_co_u32 v4, vcc_lo, s4, v4
	s_delay_alu instid0(VALU_DEP_2) | instskip(NEXT) | instid1(VALU_DEP_2)
	v_add_co_ci_u32_e32 v5, vcc_lo, s7, v5, vcc_lo
	v_add_co_u32 v4, vcc_lo, v4, v2
	s_delay_alu instid0(VALU_DEP_2) | instskip(SKIP_3) | instid1(VALU_DEP_1)
	v_add_co_ci_u32_e32 v5, vcc_lo, 0, v5, vcc_lo
	v_lshlrev_b32_e32 v2, 10, v77
	global_load_b128 v[4:7], v[4:5], off
	v_and_b32_e32 v2, 0x3800, v2
	v_or3_b32 v3, v2, v8, v3
	v_mov_b32_e32 v2, 0
	s_waitcnt vmcnt(0)
	ds_store_b128 v3, v[4:7]
.LBB120_12:
	s_or_b32 exec_lo, exec_lo, s3
	v_and_b32_e32 v3, 0xef, v0
	s_add_i32 s3, s18, 31
	s_clause 0x1
	s_load_b32 s4, s[0:1], 0x38
	s_load_b32 s35, s[0:1], 0x98
	s_ashr_i32 s7, s3, 31
	v_add_nc_u32_e32 v3, s16, v3
	s_lshr_b32 s7, s7, 27
	s_load_b32 s19, s[0:1], 0x1c
	s_add_i32 s3, s3, s7
	s_waitcnt lgkmcnt(0)
	v_ashrrev_i32_e32 v4, 31, v3
	v_cmp_gt_i32_e32 vcc_lo, s18, v3
	s_ashr_i32 s3, s3, 5
	s_barrier
	s_add_i32 s3, s3, -1
	v_lshrrev_b32_e32 v5, 27, v4
	v_or_b32_e32 v4, 16, v3
	buffer_gl0_inv
	s_mul_i32 s6, s15, s6
	v_lshlrev_b64 v[73:74], 1, v[1:2]
	v_add_nc_u32_e32 v6, v3, v5
	v_add_nc_u32_e32 v5, v4, v5
	s_mul_i32 s20, s34, s4
	s_delay_alu instid0(SALU_CYCLE_1) | instskip(NEXT) | instid1(VALU_DEP_2)
	s_ashr_i32 s21, s20, 31
	v_ashrrev_i32_e32 v6, 5, v6
	s_delay_alu instid0(VALU_DEP_2) | instskip(SKIP_1) | instid1(SALU_CYCLE_1)
	v_ashrrev_i32_e32 v5, 5, v5
	s_lshl_b64 s[20:21], s[20:21], 2
	s_add_u32 s4, s12, s20
	s_delay_alu instid0(VALU_DEP_2) | instskip(SKIP_3) | instid1(SALU_CYCLE_1)
	v_cndmask_b32_e32 v3, s3, v6, vcc_lo
	v_cmp_gt_i32_e32 vcc_lo, s18, v4
	s_addc_u32 s17, s13, s21
	s_ashr_i32 s7, s6, 31
	s_lshl_b64 s[6:7], s[6:7], 1
	v_cndmask_b32_e32 v5, s3, v5, vcc_lo
	v_ashrrev_i32_e32 v4, 31, v3
	s_add_u32 s15, s8, s6
	s_addc_u32 s28, s9, s7
	s_lshl_b32 s8, s14, 3
	v_ashrrev_i32_e32 v6, 31, v5
	v_lshlrev_b64 v[3:4], 2, v[3:4]
	s_ashr_i32 s9, s8, 31
	s_delay_alu instid0(SALU_CYCLE_1) | instskip(NEXT) | instid1(VALU_DEP_2)
	s_lshl_b64 s[8:9], s[8:9], 2
	v_lshlrev_b64 v[5:6], 2, v[5:6]
	s_add_u32 s8, s4, s8
	s_delay_alu instid0(VALU_DEP_2) | instskip(SKIP_1) | instid1(VALU_DEP_3)
	v_add_co_u32 v3, vcc_lo, s4, v3
	v_add_co_ci_u32_e32 v4, vcc_lo, s17, v4, vcc_lo
	v_add_co_u32 v5, vcc_lo, s4, v5
	s_delay_alu instid0(VALU_DEP_4)
	v_add_co_ci_u32_e32 v6, vcc_lo, s17, v6, vcc_lo
	s_addc_u32 s9, s17, s9
	s_clause 0x1
	global_load_b32 v7, v[3:4], off
	global_load_b32 v8, v[5:6], off
	s_or_b32 s12, s16, 32
	s_delay_alu instid0(SALU_CYCLE_1) | instskip(SKIP_2) | instid1(SALU_CYCLE_1)
	s_ashr_i32 s13, s12, 5
	s_cmp_lt_i32 s12, s18
	s_cselect_b32 s12, s13, s3
	s_ashr_i32 s13, s12, 31
	s_delay_alu instid0(SALU_CYCLE_1) | instskip(NEXT) | instid1(SALU_CYCLE_1)
	s_lshl_b64 s[12:13], s[12:13], 2
	s_add_u32 s12, s4, s12
	s_addc_u32 s13, s17, s13
	s_or_b32 s20, s16, 64
	s_delay_alu instid0(SALU_CYCLE_1) | instskip(SKIP_2) | instid1(SALU_CYCLE_1)
	s_ashr_i32 s21, s20, 5
	s_cmp_lt_i32 s20, s18
	s_cselect_b32 s20, s21, s3
	s_ashr_i32 s21, s20, 31
	s_delay_alu instid0(SALU_CYCLE_1) | instskip(NEXT) | instid1(SALU_CYCLE_1)
	s_lshl_b64 s[20:21], s[20:21], 2
	s_add_u32 s20, s4, s20
	s_addc_u32 s21, s17, s21
	;; [unrolled: 10-line block ×5, first 2 shown]
	s_clause 0x5
	s_load_b32 s29, s[8:9], 0x0
	s_load_b32 s30, s[12:13], 0x0
	;; [unrolled: 1-line block ×6, first 2 shown]
	s_or_b32 s8, s16, 0xc0
	s_mov_b32 s20, 0
	s_ashr_i32 s9, s8, 5
	s_cmp_lt_i32 s8, s18
	s_mov_b32 s27, s20
	s_cselect_b32 s8, s9, s3
	s_mov_b32 s21, s20
	s_ashr_i32 s9, s8, 31
	s_mov_b32 s22, s20
	s_lshl_b64 s[8:9], s[8:9], 2
	s_mov_b32 s23, s20
	s_add_u32 s8, s4, s8
	s_mov_b32 s24, s20
	s_mov_b32 s25, s20
	;; [unrolled: 1-line block ×3, first 2 shown]
	s_addc_u32 s9, s17, s9
	v_dual_mov_b32 v128, s27 :: v_dual_lshlrev_b32 v79, 6, v77
	v_dual_mov_b32 v122, s21 :: v_dual_mov_b32 v127, s26
	v_dual_mov_b32 v126, s25 :: v_dual_mov_b32 v125, s24
	;; [unrolled: 1-line block ×3, first 2 shown]
	v_mov_b32_e32 v121, s20
	s_waitcnt lgkmcnt(0)
	s_mul_hi_i32 s13, s29, s5
	s_mul_i32 s12, s29, s5
	v_lshl_or_b32 v33, v78, 10, v79
	s_mul_hi_i32 s21, s30, s5
	s_mul_i32 s20, s30, s5
	s_mul_hi_i32 s25, s31, s5
	s_mul_i32 s24, s31, s5
	;; [unrolled: 2-line block ×4, first 2 shown]
	s_waitcnt vmcnt(1)
	v_mad_i64_i32 v[3:4], null, v7, s5, 0
	s_waitcnt vmcnt(0)
	v_mad_i64_i32 v[5:6], null, v8, s5, 0
	s_delay_alu instid0(VALU_DEP_2) | instskip(NEXT) | instid1(VALU_DEP_2)
	v_lshlrev_b64 v[3:4], 1, v[3:4]
	v_lshlrev_b64 v[1:2], 1, v[5:6]
	s_delay_alu instid0(VALU_DEP_2) | instskip(NEXT) | instid1(VALU_DEP_3)
	v_add_co_u32 v3, vcc_lo, s15, v3
	v_add_co_ci_u32_e32 v4, vcc_lo, s28, v4, vcc_lo
	s_delay_alu instid0(VALU_DEP_3) | instskip(NEXT) | instid1(VALU_DEP_4)
	v_add_co_u32 v1, vcc_lo, s15, v1
	v_add_co_ci_u32_e32 v2, vcc_lo, s28, v2, vcc_lo
	s_delay_alu instid0(VALU_DEP_4) | instskip(NEXT) | instid1(VALU_DEP_4)
	v_add_co_u32 v25, vcc_lo, v3, v73
	v_add_co_ci_u32_e32 v26, vcc_lo, v4, v74, vcc_lo
	s_delay_alu instid0(VALU_DEP_4) | instskip(NEXT) | instid1(VALU_DEP_4)
	v_add_co_u32 v27, vcc_lo, v1, v73
	v_add_co_ci_u32_e32 v28, vcc_lo, v2, v74, vcc_lo
	s_clause 0xf
	global_load_b128 v[1:4], v[25:26], off
	global_load_b128 v[5:8], v[25:26], off offset:512
	global_load_b128 v[9:12], v[27:28], off offset:256
	;; [unrolled: 1-line block ×15, first 2 shown]
	v_mul_lo_u16 v25, v77, 37
	s_or_b32 s15, s16, 0xe0
	s_delay_alu instid0(SALU_CYCLE_1) | instskip(SKIP_1) | instid1(VALU_DEP_1)
	s_ashr_i32 s22, s15, 5
	s_cmp_lt_i32 s15, s18
	v_lshrrev_b16 v25, 8, v25
	s_cselect_b32 s22, s22, s3
	s_delay_alu instid0(SALU_CYCLE_1) | instskip(NEXT) | instid1(VALU_DEP_1)
	s_ashr_i32 s23, s22, 31
	v_mul_lo_u16 v25, v25, 7
	s_lshl_b64 s[22:23], s[22:23], 2
	s_delay_alu instid0(SALU_CYCLE_1) | instskip(SKIP_1) | instid1(VALU_DEP_1)
	s_add_u32 s22, s4, s22
	s_addc_u32 s23, s17, s23
	v_sub_nc_u16 v25, v77, v25
	s_add_i32 s15, s16, 0x100
	s_delay_alu instid0(SALU_CYCLE_1) | instskip(SKIP_1) | instid1(VALU_DEP_1)
	s_ashr_i32 s28, s15, 5
	s_cmp_lt_i32 s15, s18
	v_and_b32_e32 v25, 0xff, v25
	s_cselect_b32 s28, s28, s3
	s_delay_alu instid0(SALU_CYCLE_1) | instskip(NEXT) | instid1(VALU_DEP_1)
	s_ashr_i32 s29, s28, 31
	v_lshlrev_b32_e32 v151, 6, v25
	s_lshl_b64 s[28:29], s[28:29], 2
	ds_load_b128 v[25:28], v151
	ds_load_b128 v[29:32], v151 offset:1024
	s_add_u32 s28, s4, s28
	s_addc_u32 s29, s17, s29
	s_add_u32 s3, s10, s6
	ds_load_b128 v[129:132], v151 offset:2048
	ds_load_b128 v[133:136], v151 offset:3072
	s_clause 0x2
	s_load_b32 s15, s[8:9], 0x0
	s_load_b32 s4, s[22:23], 0x0
	;; [unrolled: 1-line block ×3, first 2 shown]
	s_addc_u32 s28, s11, s7
	v_add_co_u32 v152, s3, s3, v33
	s_delay_alu instid0(VALU_DEP_1) | instskip(SKIP_2) | instid1(VALU_DEP_2)
	v_add_co_ci_u32_e64 v153, null, s28, 0, s3
	s_lshl_b64 s[6:7], s[12:13], 1
	s_lshl_b64 s[10:11], s[20:21], 1
	v_add_co_u32 v33, vcc_lo, v152, s6
	s_delay_alu instid0(VALU_DEP_2)
	v_add_co_ci_u32_e32 v34, vcc_lo, s7, v153, vcc_lo
	v_add_co_u32 v35, vcc_lo, v152, s10
	s_lshl_b64 s[12:13], s[24:25], 1
	v_add_co_ci_u32_e32 v36, vcc_lo, s11, v153, vcc_lo
	v_add_co_u32 v37, vcc_lo, v152, s12
	s_lshl_b64 s[20:21], s[26:27], 1
	s_mul_hi_i32 s9, s37, s5
	s_mul_i32 s8, s37, s5
	v_add_co_ci_u32_e32 v38, vcc_lo, s13, v153, vcc_lo
	v_add_co_u32 v39, vcc_lo, v152, s20
	s_lshl_b64 s[8:9], s[8:9], 1
	v_add_co_ci_u32_e32 v40, vcc_lo, s21, v153, vcc_lo
	v_add_co_u32 v145, vcc_lo, v152, s8
	s_lshl_b64 s[22:23], s[30:31], 1
	s_waitcnt lgkmcnt(0)
	s_mul_hi_i32 s25, s15, s5
	s_mul_i32 s24, s15, s5
	v_add_co_ci_u32_e32 v146, vcc_lo, s9, v153, vcc_lo
	v_add_co_u32 v147, vcc_lo, v152, s22
	s_lshl_b64 s[24:25], s[24:25], 1
	v_add_co_ci_u32_e32 v148, vcc_lo, s23, v153, vcc_lo
	s_mul_hi_i32 s7, s4, s5
	s_mul_i32 s6, s4, s5
	v_add_co_u32 v149, vcc_lo, v152, s24
	s_lshl_b64 s[6:7], s[6:7], 1
	v_add_co_ci_u32_e32 v150, vcc_lo, s25, v153, vcc_lo
	s_clause 0x7
	global_load_b128 v[65:68], v[33:34], off
	global_load_b128 v[69:72], v[33:34], off offset:16
	global_load_b128 v[57:60], v[35:36], off
	global_load_b128 v[61:64], v[35:36], off offset:16
	;; [unrolled: 2-line block ×4, first 2 shown]
	s_waitcnt vmcnt(22)
	v_wmma_f32_16x16x16_f16 v[137:144], v[1:8], v[25:32], v[121:128]
	s_waitcnt vmcnt(20)
	v_wmma_f32_16x16x16_f16 v[121:128], v[9:16], v[25:32], v[121:128]
	v_add_co_u32 v29, vcc_lo, v152, s6
	v_add_co_ci_u32_e32 v30, vcc_lo, s7, v153, vcc_lo
	s_mul_hi_i32 s7, s17, s5
	s_mul_i32 s6, s17, s5
	s_waitcnt vmcnt(18)
	v_wmma_f32_16x16x16_f16 v[137:144], v[17:24], v[129:136], v[137:144]
	s_lshl_b64 s[4:5], s[6:7], 1
	s_clause 0x1
	global_load_b128 v[9:12], v[145:146], off
	global_load_b128 v[13:16], v[145:146], off offset:16
	v_add_co_u32 v21, vcc_lo, v152, s4
	v_add_co_ci_u32_e32 v22, vcc_lo, s5, v153, vcc_lo
	s_clause 0x7
	global_load_b128 v[1:4], v[147:148], off
	global_load_b128 v[5:8], v[147:148], off offset:16
	global_load_b128 v[33:36], v[149:150], off
	global_load_b128 v[37:40], v[149:150], off offset:16
	;; [unrolled: 2-line block ×4, first 2 shown]
	s_waitcnt vmcnt(26)
	v_wmma_f32_16x16x16_f16 v[121:128], v[81:88], v[129:136], v[121:128]
	ds_load_b128 v[81:84], v151 offset:4096
	ds_load_b128 v[85:88], v151 offset:5120
	v_mbcnt_lo_u32_b32 v130, -1, 0
	s_delay_alu instid0(VALU_DEP_1) | instskip(NEXT) | instid1(VALU_DEP_1)
	v_xor_b32_e32 v131, 16, v130
	v_cmp_gt_i32_e32 vcc_lo, 32, v131
	v_cndmask_b32_e32 v130, v130, v131, vcc_lo
	s_waitcnt vmcnt(24) lgkmcnt(0)
	v_wmma_f32_16x16x16_f16 v[137:144], v[89:96], v[81:88], v[137:144]
	ds_load_b128 v[89:92], v151 offset:6144
	ds_load_b128 v[93:96], v151 offset:7168
	s_waitcnt vmcnt(22)
	v_wmma_f32_16x16x16_f16 v[121:128], v[97:104], v[81:88], v[121:128]
	s_waitcnt vmcnt(0) lgkmcnt(0)
	s_barrier
	buffer_gl0_inv
	v_wmma_f32_16x16x16_f16 v[137:144], v[105:112], v[89:96], v[137:144]
	v_and_b32_e32 v129, 0xe0, v0
	v_wmma_f32_16x16x16_f16 v[121:128], v[113:120], v[89:96], v[121:128]
	s_delay_alu instid0(VALU_DEP_3) | instskip(NEXT) | instid1(VALU_DEP_2)
	v_mul_f32_e32 v96, s19, v137
	v_dual_mul_f32 v104, s19, v126 :: v_dual_add_nc_u32 v129, s16, v129
	v_mul_f32_e32 v95, s19, v138
	v_dual_mul_f32 v93, s19, v140 :: v_dual_mul_f32 v94, s19, v139
	s_delay_alu instid0(VALU_DEP_3) | instskip(SKIP_3) | instid1(VALU_DEP_4)
	v_or_b32_e32 v129, v129, v75
	v_dual_mul_f32 v91, s19, v142 :: v_dual_mul_f32 v106, s19, v124
	v_dual_mul_f32 v92, s19, v141 :: v_dual_mul_f32 v89, s19, v144
	v_mul_f32_e32 v108, s19, v122
	v_or_b32_e32 v131, 2, v129
	v_or_b32_e32 v132, 4, v129
	;; [unrolled: 1-line block ×3, first 2 shown]
	v_cmp_gt_i32_e32 vcc_lo, s18, v129
	v_or_b32_e32 v82, 8, v129
	v_cmp_gt_i32_e64 s3, s18, v131
	v_or_b32_e32 v83, 10, v129
	v_cmp_gt_i32_e64 s4, s18, v132
	v_cndmask_b32_e32 v96, 0xff7fffff, v96, vcc_lo
	v_cmp_gt_i32_e64 s5, s18, v81
	v_cndmask_b32_e64 v95, 0xff7fffff, v95, s3
	v_or_b32_e32 v84, 12, v129
	v_or_b32_e32 v85, 14, v129
	v_cndmask_b32_e64 v94, 0xff7fffff, v94, s4
	v_cndmask_b32_e64 v81, 0xff7fffff, v93, s5
	v_max3_f32 v93, v96, 0xff7fffff, v95
	v_cmp_gt_i32_e64 s6, s18, v82
	v_cmp_gt_i32_e64 s7, s18, v83
	v_or_b32_e32 v86, 16, v129
	v_or_b32_e32 v87, 18, v129
	v_mul_f32_e32 v90, s19, v143
	v_cndmask_b32_e64 v82, 0xff7fffff, v92, s6
	v_cndmask_b32_e64 v83, 0xff7fffff, v91, s7
	v_max3_f32 v81, v93, v94, v81
	v_cmp_gt_i32_e64 s8, s18, v84
	v_cmp_gt_i32_e64 s9, s18, v85
	v_or_b32_e32 v88, 20, v129
	v_or_b32_e32 v97, 22, v129
	v_mul_f32_e32 v109, s19, v121
	v_cndmask_b32_e64 v84, 0xff7fffff, v90, s8
	v_cndmask_b32_e64 v85, 0xff7fffff, v89, s9
	v_max3_f32 v81, v81, v82, v83
	v_cmp_gt_i32_e64 s10, s18, v86
	v_cmp_gt_i32_e64 s11, s18, v87
	v_or_b32_e32 v98, 24, v129
	v_or_b32_e32 v99, 26, v129
	v_mul_f32_e32 v107, s19, v123
	v_cndmask_b32_e64 v82, 0xff7fffff, v109, s10
	v_cndmask_b32_e64 v83, 0xff7fffff, v108, s11
	v_max3_f32 v81, v81, v84, v85
	v_cmp_gt_i32_e64 s12, s18, v88
	v_cmp_gt_i32_e64 s13, s18, v97
	v_or_b32_e32 v100, 28, v129
	v_or_b32_e32 v101, 30, v129
	v_mul_f32_e32 v105, s19, v125
	v_cndmask_b32_e64 v84, 0xff7fffff, v107, s12
	v_cndmask_b32_e64 v85, 0xff7fffff, v106, s13
	v_max3_f32 v81, v81, v82, v83
	v_cmp_gt_i32_e64 s15, s18, v98
	v_cmp_gt_i32_e64 s16, s18, v99
	v_dual_mul_f32 v102, s19, v128 :: v_dual_mul_f32 v103, s19, v127
	s_delay_alu instid0(VALU_DEP_4) | instskip(NEXT) | instid1(VALU_DEP_4)
	v_max3_f32 v81, v81, v84, v85
	v_cndmask_b32_e64 v82, 0xff7fffff, v105, s15
	s_delay_alu instid0(VALU_DEP_4) | instskip(SKIP_2) | instid1(VALU_DEP_3)
	v_cndmask_b32_e64 v83, 0xff7fffff, v104, s16
	v_cmp_gt_i32_e64 s17, s18, v100
	v_cmp_gt_i32_e64 s18, s18, v101
	v_max3_f32 v81, v81, v82, v83
	s_delay_alu instid0(VALU_DEP_3) | instskip(NEXT) | instid1(VALU_DEP_3)
	v_cndmask_b32_e64 v84, 0xff7fffff, v103, s17
	v_cndmask_b32_e64 v85, 0xff7fffff, v102, s18
	v_lshlrev_b32_e32 v83, 2, v130
	s_delay_alu instid0(VALU_DEP_2) | instskip(SKIP_3) | instid1(VALU_DEP_1)
	v_max3_f32 v81, v81, v84, v85
	ds_bpermute_b32 v82, v83, v81
	s_waitcnt lgkmcnt(0)
	v_max_f32_e32 v82, v82, v82
	v_max_f32_e32 v81, v81, v82
	s_delay_alu instid0(VALU_DEP_1)
	v_fma_f32 v82, s19, v137, -v81
	v_fma_f32 v84, s19, v138, -v81
	v_fma_f32 v87, s19, v141, -v81
	v_fma_f32 v85, s19, v139, -v81
	v_fma_f32 v86, s19, v140, -v81
	v_mul_f32_e32 v82, 0x3fb8aa3b, v82
	s_delay_alu instid0(VALU_DEP_4) | instskip(NEXT) | instid1(VALU_DEP_3)
	v_dual_mul_f32 v84, 0x3fb8aa3b, v84 :: v_dual_mul_f32 v89, 0x3fb8aa3b, v87
	v_mul_f32_e32 v86, 0x3fb8aa3b, v86
	s_delay_alu instid0(VALU_DEP_3) | instskip(NEXT) | instid1(VALU_DEP_2)
	v_exp_f32_e32 v82, v82
	v_exp_f32_e32 v84, v84
	s_delay_alu instid0(VALU_DEP_2) | instskip(NEXT) | instid1(VALU_DEP_1)
	v_exp_f32_e32 v92, v89
	v_exp_f32_e32 v86, v86
	v_cndmask_b32_e32 v88, 0, v82, vcc_lo
	s_delay_alu instid0(TRANS32_DEP_3)
	v_cndmask_b32_e64 v87, 0, v84, s3
	s_waitcnt_depctr 0xfff
	v_cndmask_b32_e64 v92, 0, v92, s6
	v_cmp_gt_u32_e64 s3, 16, v80
	v_cndmask_b32_e64 v89, 0, v86, s5
	v_add_f32_e32 v84, 0, v88
	s_delay_alu instid0(VALU_DEP_1) | instskip(NEXT) | instid1(VALU_DEP_1)
	v_dual_add_f32 v84, v84, v87 :: v_dual_mul_f32 v85, 0x3fb8aa3b, v85
	v_exp_f32_e32 v85, v85
	s_waitcnt_depctr 0xfff
	v_cndmask_b32_e64 v90, 0, v85, s4
	s_delay_alu instid0(VALU_DEP_1) | instskip(NEXT) | instid1(VALU_DEP_1)
	v_add_f32_e32 v84, v84, v90
	v_add_f32_e32 v84, v84, v89
	v_fma_f32 v82, s19, v142, -v81
	v_fma_f32 v91, s19, v143, -v81
	;; [unrolled: 1-line block ×5, first 2 shown]
	s_delay_alu instid0(VALU_DEP_4) | instskip(SKIP_1) | instid1(VALU_DEP_4)
	v_dual_mul_f32 v82, 0x3fb8aa3b, v82 :: v_dual_mul_f32 v91, 0x3fb8aa3b, v91
	v_fma_f32 v96, s19, v124, -v81
	v_mul_f32_e32 v86, 0x3fb8aa3b, v86
	v_fma_f32 v99, s19, v127, -v81
	s_delay_alu instid0(VALU_DEP_4) | instskip(SKIP_3) | instid1(VALU_DEP_1)
	v_exp_f32_e32 v82, v82
	v_exp_f32_e32 v93, v91
	v_mul_f32_e32 v97, 0x3fb8aa3b, v96
	v_exp_f32_e32 v86, v86
	v_exp_f32_e32 v97, v97
	v_cndmask_b32_e64 v91, 0, v82, s7
	v_dual_add_f32 v82, v84, v92 :: v_dual_mul_f32 v85, 0x3fb8aa3b, v85
	v_fma_f32 v84, s19, v123, -v81
	v_mul_f32_e32 v95, 0x3fb8aa3b, v94
	s_delay_alu instid0(TRANS32_DEP_3) | instskip(NEXT) | instid1(VALU_DEP_4)
	v_cndmask_b32_e64 v94, 0, v93, s8
	v_add_f32_e32 v82, v82, v91
	v_exp_f32_e32 v85, v85
	v_mul_f32_e32 v84, 0x3fb8aa3b, v84
	v_cndmask_b32_e64 v96, 0, v86, s10
	v_exp_f32_e32 v95, v95
	v_add_f32_e32 v82, v82, v94
	v_fma_f32 v86, s19, v126, -v81
	v_exp_f32_e32 v84, v84
	v_cndmask_b32_e64 v97, 0, v97, s13
	s_delay_alu instid0(TRANS32_DEP_3) | instskip(SKIP_2) | instid1(TRANS32_DEP_2)
	v_cndmask_b32_e64 v93, 0, v85, s9
	v_fma_f32 v85, s19, v125, -v81
	v_mul_f32_e32 v86, 0x3fb8aa3b, v86
	v_cndmask_b32_e64 v95, 0, v95, s11
	s_waitcnt_depctr 0xfff
	v_cndmask_b32_e64 v98, 0, v84, s12
	v_mul_f32_e32 v84, 0x3fb8aa3b, v99
	v_fma_f32 v99, s19, v128, -v81
	v_add_f32_e32 v82, v82, v93
	v_mul_f32_e32 v85, 0x3fb8aa3b, v85
	v_exp_f32_e32 v86, v86
	v_exp_f32_e32 v84, v84
	s_delay_alu instid0(VALU_DEP_1)
	v_exp_f32_e32 v85, v85
	s_waitcnt_depctr 0xfff
	v_cndmask_b32_e64 v102, 0, v84, s17
	v_cndmask_b32_e64 v100, 0, v85, s15
	v_dual_mul_f32 v85, 0x3fb8aa3b, v99 :: v_dual_add_f32 v82, v82, v96
	v_cndmask_b32_e64 v99, 0, v86, s16
	s_delay_alu instid0(VALU_DEP_2) | instskip(NEXT) | instid1(VALU_DEP_2)
	v_exp_f32_e32 v85, v85
	v_add_f32_e32 v82, v82, v95
	s_delay_alu instid0(VALU_DEP_1) | instskip(SKIP_3) | instid1(VALU_DEP_1)
	v_add_f32_e32 v82, v82, v98
	s_waitcnt_depctr 0xfff
	v_cndmask_b32_e64 v101, 0, v85, s18
	v_add_f32_e32 v82, v82, v97
	v_add_f32_e32 v82, v82, v100
	s_delay_alu instid0(VALU_DEP_1) | instskip(NEXT) | instid1(VALU_DEP_1)
	v_add_f32_e32 v82, v82, v99
	v_add_f32_e32 v82, v82, v102
	s_delay_alu instid0(VALU_DEP_1)
	v_add_f32_e32 v82, v82, v101
	ds_bpermute_b32 v83, v83, v82
	s_and_saveexec_b32 s4, s3
	s_cbranch_execz .LBB120_14
; %bb.13:
	v_mul_u32_u24_e32 v80, 0x44, v78
	s_waitcnt lgkmcnt(0)
	v_add_f32_e32 v82, v82, v83
	s_delay_alu instid0(VALU_DEP_2) | instskip(NEXT) | instid1(VALU_DEP_1)
	v_lshl_add_u32 v80, v77, 2, v80
	v_add_nc_u32_e32 v80, 0x4000, v80
	ds_store_2addr_b32 v80, v81, v82 offset1:136
.LBB120_14:
	s_or_b32 exec_lo, exec_lo, s4
	v_lshlrev_b32_e32 v80, 2, v77
	s_load_b32 s36, s[0:1], 0x94
	s_waitcnt lgkmcnt(0)
	s_barrier
	buffer_gl0_inv
	v_add_nc_u32_e32 v84, 0x4000, v80
	v_cmp_eq_u32_e32 vcc_lo, 1, v78
	v_cmp_eq_u32_e64 s4, 2, v78
	v_cmp_eq_u32_e64 s5, 3, v78
	;; [unrolled: 1-line block ×3, first 2 shown]
	ds_load_2addr_b32 v[80:81], v84 offset1:17
	ds_load_2addr_b32 v[82:83], v84 offset0:34 offset1:51
	ds_load_2addr_b32 v[103:104], v84 offset0:68 offset1:85
	ds_load_2addr_b32 v[105:106], v84 offset0:102 offset1:119
	v_cmp_eq_u32_e64 s7, 7, v78
	s_waitcnt lgkmcnt(3)
	v_max3_f32 v85, v80, 0xff7fffff, v81
	s_waitcnt lgkmcnt(2)
	s_delay_alu instid0(VALU_DEP_1) | instskip(SKIP_1) | instid1(VALU_DEP_1)
	v_max3_f32 v85, v85, v82, v83
	s_waitcnt lgkmcnt(1)
	v_max3_f32 v85, v85, v103, v104
	s_waitcnt lgkmcnt(0)
	s_delay_alu instid0(VALU_DEP_1) | instskip(NEXT) | instid1(VALU_DEP_1)
	v_max3_f32 v85, v85, v105, v106
	v_sub_f32_e32 v103, v103, v85
	ds_load_2addr_b32 v[107:108], v84 offset0:136 offset1:153
	v_sub_f32_e32 v80, v80, v85
	v_dual_sub_f32 v110, v83, v85 :: v_dual_mul_f32 v113, 0x3fb8aa3b, v103
	s_delay_alu instid0(VALU_DEP_2) | instskip(SKIP_3) | instid1(VALU_DEP_1)
	v_dual_sub_f32 v86, v81, v85 :: v_dual_mul_f32 v109, 0x3fb8aa3b, v80
	ds_load_2addr_b32 v[80:81], v84 offset0:170 offset1:187
	v_mul_f32_e32 v86, 0x3fb8aa3b, v86
	v_exp_f32_e32 v109, v109
	v_exp_f32_e32 v112, v86
	v_mul_f32_e32 v110, 0x3fb8aa3b, v110
	s_waitcnt lgkmcnt(1)
	s_waitcnt_depctr 0xfff
	v_fma_f32 v86, v109, v107, 0
	v_sub_f32_e32 v107, v104, v85
	v_sub_f32_e32 v82, v82, v85
	v_exp_f32_e32 v110, v110
	ds_load_2addr_b32 v[103:104], v84 offset0:238 offset1:255
	v_dual_fmac_f32 v86, v112, v108 :: v_dual_mul_f32 v111, 0x3fb8aa3b, v82
	ds_load_2addr_b32 v[82:83], v84 offset0:204 offset1:221
	v_dual_sub_f32 v84, v105, v85 :: v_dual_mul_f32 v105, 0x3fb8aa3b, v107
	v_exp_f32_e32 v107, v113
	v_exp_f32_e32 v111, v111
	s_waitcnt lgkmcnt(0)
	s_delay_alu instid0(VALU_DEP_1)
	v_mul_f32_e32 v84, 0x3fb8aa3b, v84
	v_exp_f32_e32 v105, v105
	s_barrier
	buffer_gl0_inv
	v_fmac_f32_e32 v86, v111, v80
	v_sub_f32_e32 v80, v106, v85
	v_exp_f32_e32 v106, v84
	s_delay_alu instid0(VALU_DEP_2) | instskip(NEXT) | instid1(VALU_DEP_2)
	v_fmac_f32_e32 v86, v110, v81
	v_mul_f32_e32 v80, 0x3fb8aa3b, v80
	s_delay_alu instid0(VALU_DEP_2) | instskip(NEXT) | instid1(VALU_DEP_2)
	v_dual_cndmask_b32 v81, v109, v112 :: v_dual_fmac_f32 v86, v107, v82
	v_exp_f32_e32 v108, v80
	s_delay_alu instid0(VALU_DEP_1) | instskip(SKIP_2) | instid1(VALU_DEP_1)
	v_fmac_f32_e32 v86, v105, v83
	s_waitcnt_depctr 0xfff
	v_fmac_f32_e32 v86, v106, v103
	v_fmac_f32_e32 v86, v108, v104
	s_delay_alu instid0(VALU_DEP_1) | instskip(NEXT) | instid1(VALU_DEP_1)
	v_add_f32_e32 v103, 0x358637bd, v86
	v_div_scale_f32 v104, null, v103, v103, 1.0
	v_div_scale_f32 v109, vcc_lo, 1.0, v103, 1.0
	s_delay_alu instid0(VALU_DEP_2) | instskip(SKIP_2) | instid1(VALU_DEP_1)
	v_rcp_f32_e32 v113, v104
	s_waitcnt_depctr 0xfff
	v_fma_f32 v80, -v104, v113, 1.0
	v_fmac_f32_e32 v113, v80, v113
	v_cndmask_b32_e64 v80, v81, v111, s4
	v_cmp_eq_u32_e64 s4, 4, v78
	v_lshl_or_b32 v81, v78, 11, v79
	s_delay_alu instid0(VALU_DEP_4) | instskip(NEXT) | instid1(VALU_DEP_4)
	v_mul_f32_e32 v111, v109, v113
	v_cndmask_b32_e64 v82, v80, v110, s5
	v_cmp_eq_u32_e64 s5, 6, v78
	s_delay_alu instid0(VALU_DEP_4) | instskip(SKIP_3) | instid1(VALU_DEP_3)
	v_lshl_or_b32 v78, v75, 4, v81
	v_lshlrev_b32_e32 v80, 2, v75
	v_fma_f32 v83, -v104, v111, v109
	v_cndmask_b32_e64 v84, v82, v107, s4
	v_or_b32_e32 v82, 1, v80
	s_delay_alu instid0(VALU_DEP_3) | instskip(NEXT) | instid1(VALU_DEP_3)
	v_fmac_f32_e32 v111, v83, v113
	v_cndmask_b32_e64 v105, v84, v105, s6
	v_or_b32_e32 v84, 2, v80
	v_or_b32_e32 v83, 3, v80
	v_cmp_eq_u32_e64 s4, 1, v80
	v_fma_f32 v104, -v104, v111, v109
	v_cndmask_b32_e64 v105, v105, v106, s5
	v_cmp_eq_u32_e64 s10, 1, v82
	v_cmp_eq_u32_e64 s11, 1, v84
	;; [unrolled: 1-line block ×3, first 2 shown]
	v_div_fmas_f32 v104, v104, v113, v111
	v_cndmask_b32_e64 v105, v105, v108, s7
	v_cmp_eq_u32_e32 vcc_lo, 2, v80
	v_cmp_eq_u32_e64 s13, 2, v82
	v_cmp_eq_u32_e64 s16, 2, v84
	v_div_fixup_f32 v103, v104, v103, 1.0
	v_cmp_eq_u32_e64 s17, 2, v83
	v_cmp_eq_u32_e64 s19, 3, v83
	;; [unrolled: 1-line block ×4, first 2 shown]
	v_mul_f32_e32 v111, v105, v103
	v_cmp_eq_u32_e64 s18, 3, v84
	v_cmp_eq_u32_e64 s23, 4, v83
	;; [unrolled: 1-line block ×4, first 2 shown]
	v_fma_mixlo_f16 v103, v111, v88, 0
	v_fma_mixlo_f16 v104, v111, v90, 0
	;; [unrolled: 1-line block ×8, first 2 shown]
	v_fma_mixhi_f16 v103, v111, v87, 0
	v_fma_mixhi_f16 v104, v111, v89, 0
	;; [unrolled: 1-line block ×8, first 2 shown]
	ds_store_b128 v78, v[103:106]
	ds_store_b128 v78, v[107:110] offset:1024
	s_waitcnt lgkmcnt(0)
	s_barrier
	buffer_gl0_inv
	ds_load_b128 v[87:90], v81
	ds_load_b128 v[91:94], v81 offset:16
	ds_load_b128 v[95:98], v81 offset:1024
	;; [unrolled: 1-line block ×3, first 2 shown]
	v_cmp_eq_u32_e64 s22, 4, v84
	v_cmp_eq_u32_e64 s25, 5, v83
	;; [unrolled: 1-line block ×13, first 2 shown]
	s_waitcnt lgkmcnt(3)
	v_lshrrev_b32_e32 v103, 16, v87
	s_waitcnt lgkmcnt(2)
	v_lshrrev_b32_e32 v107, 16, v91
	;; [unrolled: 2-line block ×4, first 2 shown]
	v_lshrrev_b32_e32 v104, 16, v88
	v_cndmask_b32_e64 v119, v87, v103, s4
	v_cndmask_b32_e64 v120, v91, v107, s4
	;; [unrolled: 1-line block ×8, first 2 shown]
	v_lshrrev_b32_e32 v108, 16, v92
	v_cndmask_b32_e64 v103, v95, v111, s4
	v_cndmask_b32_e64 v107, v99, v115, s4
	;; [unrolled: 1-line block ×5, first 2 shown]
	v_cndmask_b32_e32 v111, v119, v88, vcc_lo
	v_cndmask_b32_e64 v119, v121, v88, s13
	v_cndmask_b32_e64 v121, v123, v88, s16
	;; [unrolled: 1-line block ×4, first 2 shown]
	v_lshrrev_b32_e32 v112, 16, v96
	v_lshrrev_b32_e32 v116, 16, v100
	v_cndmask_b32_e64 v126, v99, v115, s10
	v_cndmask_b32_e64 v128, v99, v115, s11
	;; [unrolled: 1-line block ×3, first 2 shown]
	v_cndmask_b32_e32 v115, v120, v92, vcc_lo
	v_cndmask_b32_e64 v120, v122, v92, s13
	v_cndmask_b32_e64 v122, v124, v92, s16
	v_cndmask_b32_e32 v91, v103, v96, vcc_lo
	v_cndmask_b32_e32 v92, v107, v100, vcc_lo
	v_cndmask_b32_e64 v103, v125, v96, s13
	v_cndmask_b32_e64 v87, v87, v104, s19
	;; [unrolled: 1-line block ×3, first 2 shown]
	v_lshrrev_b32_e32 v105, 16, v89
	v_lshrrev_b32_e32 v109, 16, v93
	v_cndmask_b32_e64 v107, v127, v96, s16
	v_cndmask_b32_e64 v95, v95, v96, s17
	;; [unrolled: 1-line block ×14, first 2 shown]
	v_lshrrev_b32_e32 v113, 16, v97
	v_cndmask_b32_e64 v99, v99, v89, s6
	v_cndmask_b32_e64 v104, v111, v93, s6
	;; [unrolled: 1-line block ×11, first 2 shown]
	v_lshrrev_b32_e32 v106, 16, v90
	v_lshrrev_b32_e32 v110, 16, v94
	v_cndmask_b32_e64 v93, v99, v105, s7
	v_cndmask_b32_e64 v99, v104, v109, s7
	;; [unrolled: 1-line block ×9, first 2 shown]
	v_lshrrev_b32_e32 v114, 16, v98
	v_cndmask_b32_e64 v89, v89, v113, s7
	v_cndmask_b32_e64 v93, v93, v90, s8
	;; [unrolled: 1-line block ×19, first 2 shown]
	v_perm_b32 v90, v88, v87, 0x5040100
	v_cndmask_b32_e64 v87, v126, v100, s13
	v_cndmask_b32_e64 v105, v89, v114, s9
	v_perm_b32 v89, v103, v99, 0x5040100
	v_perm_b32 v88, v104, v94, 0x5040100
	v_cndmask_b32_e64 v94, v107, v112, s18
	v_cndmask_b32_e64 v95, v95, v112, s19
	;; [unrolled: 1-line block ×5, first 2 shown]
	v_lshrrev_b32_e32 v117, 16, v101
	v_cndmask_b32_e64 v94, v94, v97, s22
	v_cndmask_b32_e64 v95, v95, v97, s23
	;; [unrolled: 1-line block ×11, first 2 shown]
	v_lshrrev_b32_e32 v118, 16, v102
	v_cndmask_b32_e64 v91, v91, v102, s8
	v_cndmask_b32_e64 v94, v94, v98, s27
	;; [unrolled: 1-line block ×12, first 2 shown]
	v_perm_b32 v87, v93, v92, 0x5040100
	v_perm_b32 v94, v95, v94, 0x5040100
	;; [unrolled: 1-line block ×5, first 2 shown]
	s_mul_i32 s8, s35, 7
	s_mov_b32 s4, exec_lo
	ds_store_b128 v78, v[87:90]
	ds_store_b128 v78, v[91:94] offset:1024
	v_cmpx_gt_u32_e32 7, v0
	s_cbranch_execz .LBB120_16
; %bb.15:
	s_mul_i32 s5, s8, s34
	s_load_b128 s[16:19], s[0:1], 0x58
	v_add3_u32 v77, s5, s33, v77
	s_delay_alu instid0(VALU_DEP_1) | instskip(NEXT) | instid1(VALU_DEP_1)
	v_mad_u64_u32 v[87:88], null, v77, s36, s[14:15]
	v_ashrrev_i32_e32 v88, 31, v87
	s_delay_alu instid0(VALU_DEP_1) | instskip(SKIP_1) | instid1(VALU_DEP_1)
	v_lshlrev_b64 v[87:88], 2, v[87:88]
	s_waitcnt lgkmcnt(0)
	v_add_co_u32 v89, vcc_lo, s18, v87
	s_delay_alu instid0(VALU_DEP_2)
	v_add_co_ci_u32_e32 v90, vcc_lo, s19, v88, vcc_lo
	v_add_co_u32 v87, vcc_lo, s16, v87
	v_add_co_ci_u32_e32 v88, vcc_lo, s17, v88, vcc_lo
	global_store_b32 v[89:90], v85, off
	global_store_b32 v[87:88], v86, off
.LBB120_16:
	s_or_b32 exec_lo, exec_lo, s4
	s_waitcnt lgkmcnt(0)
	s_waitcnt_vscnt null, 0x0
	s_barrier
	buffer_gl0_inv
	ds_load_b128 v[93:96], v79
	ds_load_b128 v[97:100], v79 offset:16
	ds_load_b128 v[105:108], v79 offset:1040
	;; [unrolled: 1-line block ×5, first 2 shown]
	v_cmp_eq_u32_e32 vcc_lo, 1, v84
	v_mov_b32_e32 v85, 0
	ds_load_b128 v[121:124], v79 offset:3088
	ds_load_b128 v[117:120], v79 offset:3072
	;; [unrolled: 1-line block ×4, first 2 shown]
	v_cmp_eq_u32_e64 s4, 1, v80
	v_cmp_eq_u32_e64 s5, 1, v83
	;; [unrolled: 1-line block ×3, first 2 shown]
	v_mov_b32_e32 v86, v85
	v_mov_b32_e32 v87, v85
	;; [unrolled: 1-line block ×7, first 2 shown]
	v_cmp_eq_u32_e64 s7, 2, v80
	s_waitcnt lgkmcnt(8)
	s_delay_alu instid0(VALU_DEP_2)
	v_wmma_f32_16x16x16_f16 v[85:92], v[65:72], v[93:100], v[85:92]
	ds_load_b128 v[69:72], v79 offset:5136
	ds_load_b128 v[65:68], v79 offset:5120
	;; [unrolled: 1-line block ×4, first 2 shown]
	s_waitcnt lgkmcnt(10)
	v_wmma_f32_16x16x16_f16 v[85:92], v[57:64], v[101:108], v[85:92]
	s_waitcnt lgkmcnt(8)
	s_delay_alu instid0(VALU_DEP_1)
	v_wmma_f32_16x16x16_f16 v[85:92], v[57:64], v[109:116], v[85:92]
	ds_load_b128 v[61:64], v79 offset:7184
	ds_load_b128 v[57:60], v79 offset:7168
	;; [unrolled: 1-line block ×4, first 2 shown]
	s_waitcnt lgkmcnt(10)
	v_wmma_f32_16x16x16_f16 v[85:92], v[49:56], v[117:124], v[85:92]
	s_waitcnt lgkmcnt(8)
	s_delay_alu instid0(VALU_DEP_1)
	v_wmma_f32_16x16x16_f16 v[85:92], v[49:56], v[125:132], v[85:92]
	ds_load_b128 v[53:56], v79 offset:9232
	ds_load_b128 v[49:52], v79 offset:9216
	s_waitcnt lgkmcnt(8)
	v_wmma_f32_16x16x16_f16 v[85:92], v[41:48], v[65:72], v[85:92]
	ds_load_b128 v[69:72], v79 offset:10256
	ds_load_b128 v[65:68], v79 offset:10240
	s_waitcnt lgkmcnt(8)
	;; [unrolled: 4-line block ×7, first 2 shown]
	s_barrier
	buffer_gl0_inv
	v_wmma_f32_16x16x16_f16 v[85:92], v[33:40], v[41:48], v[85:92]
	s_delay_alu instid0(VALU_DEP_1) | instskip(NEXT) | instid1(VALU_DEP_1)
	v_wmma_f32_16x16x16_f16 v[85:92], v[33:40], v[57:64], v[85:92]
	v_wmma_f32_16x16x16_f16 v[85:92], v[25:32], v[9:16], v[85:92]
	s_delay_alu instid0(VALU_DEP_1) | instskip(NEXT) | instid1(VALU_DEP_1)
	v_wmma_f32_16x16x16_f16 v[85:92], v[25:32], v[49:56], v[85:92]
	v_wmma_f32_16x16x16_f16 v[85:92], v[17:24], v[1:8], v[85:92]
	s_delay_alu instid0(VALU_DEP_1) | instskip(NEXT) | instid1(VALU_DEP_2)
	v_cvt_f16_f32_e32 v1, v85
	v_cvt_f16_f32_e32 v2, v86
	s_delay_alu instid0(VALU_DEP_3) | instskip(NEXT) | instid1(VALU_DEP_4)
	v_cvt_f16_f32_e32 v3, v87
	v_cvt_f16_f32_e32 v4, v88
	;; [unrolled: 1-line block ×6, first 2 shown]
	v_pack_b32_f16 v1, v1, v2
	v_pack_b32_f16 v2, v3, v4
	;; [unrolled: 1-line block ×3, first 2 shown]
	s_delay_alu instid0(VALU_DEP_4)
	v_pack_b32_f16 v4, v7, v8
	ds_store_b128 v78, v[1:4]
	s_waitcnt lgkmcnt(0)
	s_barrier
	buffer_gl0_inv
	ds_load_b128 v[1:4], v81
	ds_load_b128 v[5:8], v81 offset:16
	s_waitcnt lgkmcnt(1)
	v_lshrrev_b32_e32 v9, 16, v1
	s_waitcnt lgkmcnt(0)
	v_lshrrev_b32_e32 v13, 16, v5
	v_lshrrev_b32_e32 v15, 16, v7
	v_lshrrev_b32_e32 v10, 16, v2
	v_lshrrev_b32_e32 v14, 16, v6
	v_cndmask_b32_e64 v17, v1, v9, s4
	v_cndmask_b32_e64 v18, v5, v13, s4
	;; [unrolled: 1-line block ×3, first 2 shown]
	v_cmp_eq_u32_e64 s4, 2, v82
	v_cndmask_b32_e64 v20, v5, v13, s6
	v_cndmask_b32_e32 v21, v1, v9, vcc_lo
	v_cndmask_b32_e32 v22, v5, v13, vcc_lo
	v_cndmask_b32_e64 v1, v1, v9, s5
	v_cndmask_b32_e64 v5, v5, v13, s5
	v_cmp_eq_u32_e32 vcc_lo, 2, v84
	v_cmp_eq_u32_e64 s5, 2, v83
	v_cndmask_b32_e64 v9, v17, v2, s7
	v_cndmask_b32_e64 v13, v18, v6, s7
	;; [unrolled: 1-line block ×4, first 2 shown]
	v_cndmask_b32_e32 v19, v21, v2, vcc_lo
	v_cmp_eq_u32_e64 s4, 3, v84
	v_cndmask_b32_e32 v20, v22, v6, vcc_lo
	v_cndmask_b32_e64 v1, v1, v2, s5
	v_cmp_eq_u32_e32 vcc_lo, 3, v83
	v_cmp_eq_u32_e64 s6, 3, v80
	v_cndmask_b32_e64 v2, v5, v6, s5
	v_cmp_eq_u32_e64 s5, 3, v82
	v_lshrrev_b32_e32 v16, 16, v8
	v_cmp_eq_u32_e64 s7, 4, v80
	v_cndmask_b32_e64 v5, v9, v10, s6
	v_cndmask_b32_e64 v6, v13, v14, s6
	;; [unrolled: 1-line block ×3, first 2 shown]
	v_cmp_eq_u32_e64 s6, 4, v82
	v_cndmask_b32_e64 v13, v18, v14, s5
	v_cndmask_b32_e64 v17, v19, v10, s4
	;; [unrolled: 1-line block ×3, first 2 shown]
	v_cndmask_b32_e32 v1, v1, v10, vcc_lo
	v_cndmask_b32_e32 v2, v2, v14, vcc_lo
	v_cmp_eq_u32_e32 vcc_lo, 4, v84
	v_cmp_eq_u32_e64 s5, 4, v83
	v_lshrrev_b32_e32 v11, 16, v3
	v_cndmask_b32_e64 v5, v5, v3, s7
	v_cndmask_b32_e64 v6, v6, v7, s7
	;; [unrolled: 1-line block ×4, first 2 shown]
	v_cndmask_b32_e32 v13, v17, v3, vcc_lo
	v_cmp_eq_u32_e64 s4, 5, v84
	v_cndmask_b32_e32 v14, v18, v7, vcc_lo
	v_cndmask_b32_e64 v1, v1, v3, s5
	v_cmp_eq_u32_e32 vcc_lo, 5, v83
	v_cmp_eq_u32_e64 s6, 5, v80
	v_cndmask_b32_e64 v2, v2, v7, s5
	v_cmp_eq_u32_e64 s5, 5, v82
	v_cmp_eq_u32_e64 s7, 6, v80
	v_cndmask_b32_e32 v1, v1, v11, vcc_lo
	v_cndmask_b32_e64 v3, v5, v11, s6
	v_cndmask_b32_e64 v5, v6, v15, s6
	;; [unrolled: 1-line block ×3, first 2 shown]
	v_cmp_eq_u32_e64 s6, 6, v82
	v_cndmask_b32_e64 v7, v10, v15, s5
	v_cndmask_b32_e64 v9, v13, v11, s4
	;; [unrolled: 1-line block ×3, first 2 shown]
	v_cndmask_b32_e32 v2, v2, v15, vcc_lo
	v_cmp_eq_u32_e32 vcc_lo, 6, v84
	v_cmp_eq_u32_e64 s4, 6, v83
	v_lshrrev_b32_e32 v12, 16, v4
	v_cndmask_b32_e64 v3, v3, v4, s7
	v_cndmask_b32_e64 v5, v5, v8, s7
	;; [unrolled: 1-line block ×4, first 2 shown]
	v_cndmask_b32_e32 v9, v9, v4, vcc_lo
	v_cmp_eq_u32_e64 s5, 7, v84
	v_cndmask_b32_e32 v10, v10, v8, vcc_lo
	v_cndmask_b32_e64 v1, v1, v4, s4
	v_cmp_eq_u32_e32 vcc_lo, 7, v83
	v_cndmask_b32_e64 v2, v2, v8, s4
	v_cmp_eq_u32_e64 s4, 7, v80
	v_cmp_eq_u32_e64 s6, 7, v82
	v_cndmask_b32_e32 v1, v1, v12, vcc_lo
	s_delay_alu instid0(VALU_DEP_4) | instskip(NEXT) | instid1(VALU_DEP_4)
	v_cndmask_b32_e32 v2, v2, v16, vcc_lo
	v_cndmask_b32_e64 v8, v3, v12, s4
	s_delay_alu instid0(VALU_DEP_4)
	v_cndmask_b32_e64 v6, v6, v12, s6
	v_cndmask_b32_e64 v3, v9, v12, s5
	;; [unrolled: 1-line block ×5, first 2 shown]
	v_cmp_gt_u32_e32 vcc_lo, 32, v0
	v_perm_b32 v4, v2, v1, 0x5040100
	v_perm_b32 v3, v9, v3, 0x5040100
	;; [unrolled: 1-line block ×4, first 2 shown]
	s_and_b32 s2, vcc_lo, s2
	ds_store_b128 v78, v[1:4]
	s_waitcnt lgkmcnt(0)
	s_barrier
	buffer_gl0_inv
	s_and_saveexec_b32 s4, s2
	s_cbranch_execz .LBB120_2
; %bb.17:
	s_load_b64 s[4:5], s[0:1], 0x68
	v_lshlrev_b32_e32 v0, 10, v0
	v_add_nc_u32_e32 v2, s33, v75
	v_lshlrev_b32_e32 v3, 4, v76
	s_lshl_b32 s0, s36, 6
	s_delay_alu instid0(SALU_CYCLE_1) | instskip(NEXT) | instid1(VALU_DEP_2)
	s_mul_i32 s1, s0, s34
	v_mul_lo_u32 v1, v2, s0
	s_delay_alu instid0(VALU_DEP_2)
	v_and_or_b32 v0, 0x3800, v0, v3
	v_add_nc_u32_e32 v3, 2, v2
	s_mul_i32 s6, s1, s8
	v_add_nc_u32_e32 v4, 4, v2
	s_ashr_i32 s7, s6, 31
	v_lshl_or_b32 v11, v75, 6, v0
	s_lshl_b64 s[6:7], s[6:7], 1
	v_mul_lo_u32 v15, v3, s0
	v_mul_lo_u32 v17, v4, s0
	v_ashrrev_i32_e32 v2, 31, v1
	ds_load_b128 v[3:6], v11
	ds_load_b128 v[7:10], v11 offset:128
	ds_load_b128 v[11:14], v11 offset:256
	s_waitcnt lgkmcnt(0)
	s_add_u32 s1, s4, s6
	s_addc_u32 s2, s5, s7
	s_lshl_b32 s4, s14, 6
	v_ashrrev_i32_e32 v16, 31, v15
	s_ashr_i32 s5, s4, 31
	v_lshlrev_b64 v[19:20], 1, v[1:2]
	s_lshl_b64 s[4:5], s[4:5], 1
	v_ashrrev_i32_e32 v18, 31, v17
	s_add_u32 s1, s1, s4
	s_addc_u32 s2, s2, s5
	v_add_co_u32 v1, vcc_lo, s1, v73
	v_add_co_ci_u32_e32 v2, vcc_lo, s2, v74, vcc_lo
	v_lshlrev_b64 v[15:16], 1, v[15:16]
	s_delay_alu instid0(VALU_DEP_3) | instskip(SKIP_1) | instid1(VALU_DEP_4)
	v_add_co_u32 v19, vcc_lo, v1, v19
	v_lshlrev_b64 v[17:18], 1, v[17:18]
	v_add_co_ci_u32_e32 v20, vcc_lo, v2, v20, vcc_lo
	s_delay_alu instid0(VALU_DEP_4) | instskip(SKIP_1) | instid1(VALU_DEP_4)
	v_add_co_u32 v15, vcc_lo, v1, v15
	v_add_co_ci_u32_e32 v16, vcc_lo, v2, v16, vcc_lo
	v_add_co_u32 v17, vcc_lo, v1, v17
	v_add_co_ci_u32_e32 v18, vcc_lo, v2, v18, vcc_lo
	s_clause 0x2
	global_store_b128 v[19:20], v[3:6], off
	global_store_b128 v[15:16], v[7:10], off
	;; [unrolled: 1-line block ×3, first 2 shown]
	s_and_b32 exec_lo, exec_lo, s3
	s_cbranch_execz .LBB120_2
; %bb.18:
	ds_load_b128 v[3:6], v0 offset:384
	s_add_i32 s1, s33, 6
	s_delay_alu instid0(SALU_CYCLE_1) | instskip(NEXT) | instid1(SALU_CYCLE_1)
	s_mul_i32 s0, s1, s0
	s_ashr_i32 s1, s0, 31
	s_delay_alu instid0(SALU_CYCLE_1) | instskip(NEXT) | instid1(SALU_CYCLE_1)
	s_lshl_b64 s[0:1], s[0:1], 1
	v_add_co_u32 v0, vcc_lo, v1, s0
	v_add_co_ci_u32_e32 v1, vcc_lo, s1, v2, vcc_lo
	s_waitcnt lgkmcnt(0)
	global_store_b128 v[0:1], v[3:6], off
	s_nop 0
	s_sendmsg sendmsg(MSG_DEALLOC_VGPRS)
	s_endpgm
	.section	.rodata,"a",@progbits
	.p2align	6, 0x0
	.amdhsa_kernel _Z39paged_attention_ll4mi_QKV_mfma16_kernelIDF16_DF16_LN4vllm18Fp8KVCacheDataTypeE0EhLi32ELi64ELi256ELb1ELi7EL8MFMAType0EEvPKT_PKT0_S8_ifPKiSA_SA_iPKfiiiPfSD_PS3_PT2_iSC_SC_
		.amdhsa_group_segment_fixed_size 17472
		.amdhsa_private_segment_fixed_size 0
		.amdhsa_kernarg_size 400
		.amdhsa_user_sgpr_count 13
		.amdhsa_user_sgpr_dispatch_ptr 0
		.amdhsa_user_sgpr_queue_ptr 0
		.amdhsa_user_sgpr_kernarg_segment_ptr 1
		.amdhsa_user_sgpr_dispatch_id 0
		.amdhsa_user_sgpr_private_segment_size 0
		.amdhsa_wavefront_size32 1
		.amdhsa_uses_dynamic_stack 0
		.amdhsa_enable_private_segment 0
		.amdhsa_system_sgpr_workgroup_id_x 1
		.amdhsa_system_sgpr_workgroup_id_y 1
		.amdhsa_system_sgpr_workgroup_id_z 1
		.amdhsa_system_sgpr_workgroup_info 0
		.amdhsa_system_vgpr_workitem_id 0
		.amdhsa_next_free_vgpr 154
		.amdhsa_next_free_sgpr 39
		.amdhsa_reserve_vcc 1
		.amdhsa_float_round_mode_32 0
		.amdhsa_float_round_mode_16_64 0
		.amdhsa_float_denorm_mode_32 3
		.amdhsa_float_denorm_mode_16_64 3
		.amdhsa_dx10_clamp 1
		.amdhsa_ieee_mode 1
		.amdhsa_fp16_overflow 0
		.amdhsa_workgroup_processor_mode 1
		.amdhsa_memory_ordered 1
		.amdhsa_forward_progress 0
		.amdhsa_shared_vgpr_count 0
		.amdhsa_exception_fp_ieee_invalid_op 0
		.amdhsa_exception_fp_denorm_src 0
		.amdhsa_exception_fp_ieee_div_zero 0
		.amdhsa_exception_fp_ieee_overflow 0
		.amdhsa_exception_fp_ieee_underflow 0
		.amdhsa_exception_fp_ieee_inexact 0
		.amdhsa_exception_int_div_zero 0
	.end_amdhsa_kernel
	.section	.text._Z39paged_attention_ll4mi_QKV_mfma16_kernelIDF16_DF16_LN4vllm18Fp8KVCacheDataTypeE0EhLi32ELi64ELi256ELb1ELi7EL8MFMAType0EEvPKT_PKT0_S8_ifPKiSA_SA_iPKfiiiPfSD_PS3_PT2_iSC_SC_,"axG",@progbits,_Z39paged_attention_ll4mi_QKV_mfma16_kernelIDF16_DF16_LN4vllm18Fp8KVCacheDataTypeE0EhLi32ELi64ELi256ELb1ELi7EL8MFMAType0EEvPKT_PKT0_S8_ifPKiSA_SA_iPKfiiiPfSD_PS3_PT2_iSC_SC_,comdat
.Lfunc_end120:
	.size	_Z39paged_attention_ll4mi_QKV_mfma16_kernelIDF16_DF16_LN4vllm18Fp8KVCacheDataTypeE0EhLi32ELi64ELi256ELb1ELi7EL8MFMAType0EEvPKT_PKT0_S8_ifPKiSA_SA_iPKfiiiPfSD_PS3_PT2_iSC_SC_, .Lfunc_end120-_Z39paged_attention_ll4mi_QKV_mfma16_kernelIDF16_DF16_LN4vllm18Fp8KVCacheDataTypeE0EhLi32ELi64ELi256ELb1ELi7EL8MFMAType0EEvPKT_PKT0_S8_ifPKiSA_SA_iPKfiiiPfSD_PS3_PT2_iSC_SC_
                                        ; -- End function
	.section	.AMDGPU.csdata,"",@progbits
; Kernel info:
; codeLenInByte = 7276
; NumSgprs: 41
; NumVgprs: 154
; ScratchSize: 0
; MemoryBound: 0
; FloatMode: 240
; IeeeMode: 1
; LDSByteSize: 17472 bytes/workgroup (compile time only)
; SGPRBlocks: 5
; VGPRBlocks: 19
; NumSGPRsForWavesPerEU: 41
; NumVGPRsForWavesPerEU: 154
; Occupancy: 9
; WaveLimiterHint : 1
; COMPUTE_PGM_RSRC2:SCRATCH_EN: 0
; COMPUTE_PGM_RSRC2:USER_SGPR: 13
; COMPUTE_PGM_RSRC2:TRAP_HANDLER: 0
; COMPUTE_PGM_RSRC2:TGID_X_EN: 1
; COMPUTE_PGM_RSRC2:TGID_Y_EN: 1
; COMPUTE_PGM_RSRC2:TGID_Z_EN: 1
; COMPUTE_PGM_RSRC2:TIDIG_COMP_CNT: 0
	.section	.text._Z39paged_attention_ll4mi_QKV_mfma16_kernelIDF16_DF16_LN4vllm18Fp8KVCacheDataTypeE0EhLi32ELi64ELi256ELb1ELi8EL8MFMAType0EEvPKT_PKT0_S8_ifPKiSA_SA_iPKfiiiPfSD_PS3_PT2_iSC_SC_,"axG",@progbits,_Z39paged_attention_ll4mi_QKV_mfma16_kernelIDF16_DF16_LN4vllm18Fp8KVCacheDataTypeE0EhLi32ELi64ELi256ELb1ELi8EL8MFMAType0EEvPKT_PKT0_S8_ifPKiSA_SA_iPKfiiiPfSD_PS3_PT2_iSC_SC_,comdat
	.protected	_Z39paged_attention_ll4mi_QKV_mfma16_kernelIDF16_DF16_LN4vllm18Fp8KVCacheDataTypeE0EhLi32ELi64ELi256ELb1ELi8EL8MFMAType0EEvPKT_PKT0_S8_ifPKiSA_SA_iPKfiiiPfSD_PS3_PT2_iSC_SC_ ; -- Begin function _Z39paged_attention_ll4mi_QKV_mfma16_kernelIDF16_DF16_LN4vllm18Fp8KVCacheDataTypeE0EhLi32ELi64ELi256ELb1ELi8EL8MFMAType0EEvPKT_PKT0_S8_ifPKiSA_SA_iPKfiiiPfSD_PS3_PT2_iSC_SC_
	.globl	_Z39paged_attention_ll4mi_QKV_mfma16_kernelIDF16_DF16_LN4vllm18Fp8KVCacheDataTypeE0EhLi32ELi64ELi256ELb1ELi8EL8MFMAType0EEvPKT_PKT0_S8_ifPKiSA_SA_iPKfiiiPfSD_PS3_PT2_iSC_SC_
	.p2align	8
	.type	_Z39paged_attention_ll4mi_QKV_mfma16_kernelIDF16_DF16_LN4vllm18Fp8KVCacheDataTypeE0EhLi32ELi64ELi256ELb1ELi8EL8MFMAType0EEvPKT_PKT0_S8_ifPKiSA_SA_iPKfiiiPfSD_PS3_PT2_iSC_SC_,@function
_Z39paged_attention_ll4mi_QKV_mfma16_kernelIDF16_DF16_LN4vllm18Fp8KVCacheDataTypeE0EhLi32ELi64ELi256ELb1ELi8EL8MFMAType0EEvPKT_PKT0_S8_ifPKiSA_SA_iPKfiiiPfSD_PS3_PT2_iSC_SC_: ; @_Z39paged_attention_ll4mi_QKV_mfma16_kernelIDF16_DF16_LN4vllm18Fp8KVCacheDataTypeE0EhLi32ELi64ELi256ELb1ELi8EL8MFMAType0EEvPKT_PKT0_S8_ifPKiSA_SA_iPKfiiiPfSD_PS3_PT2_iSC_SC_
; %bb.0:
	s_load_b64 s[2:3], s[0:1], 0x30
	s_mov_b32 s34, s13
	s_waitcnt lgkmcnt(0)
	s_cmp_lg_u64 s[2:3], 0
	s_cselect_b32 s6, -1, 0
	s_ashr_i32 s35, s13, 31
	s_cmp_eq_u64 s[2:3], 0
	s_cbranch_scc1 .LBB121_3
; %bb.1:
	s_lshl_b64 s[4:5], s[34:35], 2
	s_delay_alu instid0(SALU_CYCLE_1) | instskip(SKIP_4) | instid1(SALU_CYCLE_1)
	s_add_u32 s4, s2, s4
	s_addc_u32 s5, s3, s5
	s_load_b64 s[4:5], s[4:5], 0x0
	s_waitcnt lgkmcnt(0)
	s_sub_i32 s4, s5, s4
	s_cmp_eq_u32 s4, 1
	s_cselect_b32 s4, -1, 0
	s_delay_alu instid0(SALU_CYCLE_1)
	s_and_not1_b32 vcc_lo, exec_lo, s4
	s_cbranch_vccz .LBB121_4
.LBB121_2:
	s_endpgm
.LBB121_3:
.LBB121_4:
	s_load_b64 s[8:9], s[0:1], 0x28
	s_lshl_b64 s[4:5], s[34:35], 2
	s_waitcnt lgkmcnt(0)
	s_add_u32 s8, s8, s4
	s_addc_u32 s9, s9, s5
	s_lshl_b32 s16, s14, 8
	s_load_b32 s18, s[8:9], 0x0
	s_waitcnt lgkmcnt(0)
	s_cmp_ge_i32 s16, s18
	s_cbranch_scc1 .LBB121_2
; %bb.5:
	s_and_not1_b32 vcc_lo, exec_lo, s6
	s_cbranch_vccnz .LBB121_7
; %bb.6:
	s_add_u32 s2, s2, s4
	s_addc_u32 s3, s3, s5
	s_load_b32 s17, s[2:3], 0x0
	s_branch .LBB121_8
.LBB121_7:
	s_mov_b32 s17, s34
.LBB121_8:
	s_clause 0x2
	s_load_b128 s[8:11], s[0:1], 0x8
	s_load_b64 s[12:13], s[0:1], 0x20
	s_load_b128 s[4:7], s[0:1], 0x48
	v_and_b32_e32 v79, 15, v0
	v_cmp_lt_u32_e32 vcc_lo, 0x7f, v0
	s_delay_alu instid0(VALU_DEP_2) | instskip(SKIP_2) | instid1(VALU_DEP_3)
	v_cmp_lt_u32_e64 s3, 7, v79
	v_lshlrev_b32_e32 v1, 3, v79
	v_cmp_gt_u32_e64 s2, 8, v79
	s_or_b32 s3, vcc_lo, s3
	s_waitcnt lgkmcnt(0)
	s_and_saveexec_b32 s7, s3
	s_delay_alu instid0(SALU_CYCLE_1)
	s_xor_b32 s3, exec_lo, s7
; %bb.9:
	v_mov_b32_e32 v2, 0
; %bb.10:
	s_or_saveexec_b32 s3, s3
	v_lshrrev_b32_e32 v78, 5, v0
	v_and_b32_e32 v80, 31, v0
	v_and_b32_e32 v76, 1, v0
	v_bfe_u32 v75, v0, 4, 1
	s_lshl_b32 s31, s15, 3
	s_xor_b32 exec_lo, exec_lo, s3
	s_cbranch_execz .LBB121_12
; %bb.11:
	s_delay_alu instid0(VALU_DEP_1)
	v_lshl_or_b32 v7, v78, 1, v75
	s_load_b64 s[20:21], s[0:1], 0x0
	s_mul_hi_i32 s23, s17, s4
	s_mul_i32 s22, s17, s4
	v_lshlrev_b32_e32 v4, 1, v1
	v_or_b32_e32 v2, s31, v7
	s_lshl_b64 s[22:23], s[22:23], 1
	v_lshlrev_b32_e32 v7, 6, v7
	v_lshlrev_b32_e32 v8, 10, v76
	s_delay_alu instid0(VALU_DEP_3) | instskip(NEXT) | instid1(VALU_DEP_1)
	v_lshlrev_b32_e32 v2, 6, v2
	v_ashrrev_i32_e32 v3, 31, v2
	s_delay_alu instid0(VALU_DEP_1) | instskip(SKIP_3) | instid1(VALU_DEP_1)
	v_lshlrev_b64 v[2:3], 1, v[2:3]
	s_waitcnt lgkmcnt(0)
	s_add_u32 s4, s20, s22
	s_addc_u32 s7, s21, s23
	v_add_co_u32 v2, vcc_lo, s4, v2
	s_delay_alu instid0(VALU_DEP_2) | instskip(NEXT) | instid1(VALU_DEP_2)
	v_add_co_ci_u32_e32 v3, vcc_lo, s7, v3, vcc_lo
	v_add_co_u32 v2, vcc_lo, v2, v4
	s_delay_alu instid0(VALU_DEP_2) | instskip(SKIP_2) | instid1(VALU_DEP_1)
	v_add_co_ci_u32_e32 v3, vcc_lo, 0, v3, vcc_lo
	global_load_b128 v[3:6], v[2:3], off
	v_lshlrev_b32_e32 v2, 10, v79
	v_and_b32_e32 v2, 0x3800, v2
	s_delay_alu instid0(VALU_DEP_1)
	v_or3_b32 v7, v2, v8, v7
	v_mov_b32_e32 v2, 0
	s_waitcnt vmcnt(0)
	ds_store_b128 v7, v[3:6]
.LBB121_12:
	s_or_b32 exec_lo, exec_lo, s3
	v_and_b32_e32 v3, 0xef, v0
	s_add_i32 s3, s18, 31
	s_clause 0x1
	s_load_b32 s4, s[0:1], 0x38
	s_load_b32 s33, s[0:1], 0x98
	s_ashr_i32 s7, s3, 31
	v_add_nc_u32_e32 v3, s16, v3
	s_lshr_b32 s7, s7, 27
	s_load_b32 s19, s[0:1], 0x1c
	s_add_i32 s3, s3, s7
	s_waitcnt lgkmcnt(0)
	v_ashrrev_i32_e32 v4, 31, v3
	v_cmp_gt_i32_e32 vcc_lo, s18, v3
	s_ashr_i32 s3, s3, 5
	s_barrier
	s_add_i32 s3, s3, -1
	v_lshrrev_b32_e32 v5, 27, v4
	v_or_b32_e32 v4, 16, v3
	buffer_gl0_inv
	s_mul_i32 s6, s15, s6
	v_lshlrev_b64 v[73:74], 1, v[1:2]
	v_add_nc_u32_e32 v6, v3, v5
	v_add_nc_u32_e32 v5, v4, v5
	s_mul_i32 s20, s34, s4
	v_lshlrev_b32_e32 v77, 6, v79
	s_ashr_i32 s21, s20, 31
	v_ashrrev_i32_e32 v6, 5, v6
	v_ashrrev_i32_e32 v5, 5, v5
	s_lshl_b64 s[20:21], s[20:21], 2
	v_lshl_or_b32 v33, v78, 10, v77
	s_add_u32 s4, s12, s20
	v_cndmask_b32_e32 v3, s3, v6, vcc_lo
	v_cmp_gt_i32_e32 vcc_lo, s18, v4
	s_addc_u32 s17, s13, s21
	s_ashr_i32 s7, s6, 31
	s_delay_alu instid0(SALU_CYCLE_1)
	s_lshl_b64 s[6:7], s[6:7], 1
	v_cndmask_b32_e32 v5, s3, v5, vcc_lo
	v_ashrrev_i32_e32 v4, 31, v3
	s_add_u32 s15, s8, s6
	s_addc_u32 s28, s9, s7
	s_lshl_b32 s8, s14, 3
	v_ashrrev_i32_e32 v6, 31, v5
	v_lshlrev_b64 v[3:4], 2, v[3:4]
	s_ashr_i32 s9, s8, 31
	s_delay_alu instid0(SALU_CYCLE_1) | instskip(NEXT) | instid1(VALU_DEP_2)
	s_lshl_b64 s[8:9], s[8:9], 2
	v_lshlrev_b64 v[5:6], 2, v[5:6]
	s_add_u32 s8, s4, s8
	s_delay_alu instid0(VALU_DEP_2) | instskip(SKIP_1) | instid1(VALU_DEP_3)
	v_add_co_u32 v3, vcc_lo, s4, v3
	v_add_co_ci_u32_e32 v4, vcc_lo, s17, v4, vcc_lo
	v_add_co_u32 v5, vcc_lo, s4, v5
	s_delay_alu instid0(VALU_DEP_4)
	v_add_co_ci_u32_e32 v6, vcc_lo, s17, v6, vcc_lo
	s_addc_u32 s9, s17, s9
	s_clause 0x1
	global_load_b32 v7, v[3:4], off
	global_load_b32 v8, v[5:6], off
	s_or_b32 s12, s16, 32
	s_delay_alu instid0(SALU_CYCLE_1) | instskip(SKIP_2) | instid1(SALU_CYCLE_1)
	s_ashr_i32 s13, s12, 5
	s_cmp_lt_i32 s12, s18
	s_cselect_b32 s12, s13, s3
	s_ashr_i32 s13, s12, 31
	s_delay_alu instid0(SALU_CYCLE_1) | instskip(NEXT) | instid1(SALU_CYCLE_1)
	s_lshl_b64 s[12:13], s[12:13], 2
	s_add_u32 s12, s4, s12
	s_addc_u32 s13, s17, s13
	s_or_b32 s20, s16, 64
	s_delay_alu instid0(SALU_CYCLE_1) | instskip(SKIP_2) | instid1(SALU_CYCLE_1)
	s_ashr_i32 s21, s20, 5
	s_cmp_lt_i32 s20, s18
	s_cselect_b32 s20, s21, s3
	s_ashr_i32 s21, s20, 31
	s_delay_alu instid0(SALU_CYCLE_1) | instskip(NEXT) | instid1(SALU_CYCLE_1)
	s_lshl_b64 s[20:21], s[20:21], 2
	s_add_u32 s20, s4, s20
	s_addc_u32 s21, s17, s21
	;; [unrolled: 10-line block ×5, first 2 shown]
	s_clause 0x5
	s_load_b32 s29, s[8:9], 0x0
	s_load_b32 s30, s[12:13], 0x0
	;; [unrolled: 1-line block ×6, first 2 shown]
	s_or_b32 s8, s16, 0xc0
	s_mov_b32 s20, 0
	s_ashr_i32 s9, s8, 5
	s_cmp_lt_i32 s8, s18
	s_mov_b32 s27, s20
	s_cselect_b32 s8, s9, s3
	s_mov_b32 s21, s20
	s_ashr_i32 s9, s8, 31
	s_mov_b32 s22, s20
	s_lshl_b64 s[8:9], s[8:9], 2
	s_mov_b32 s23, s20
	s_add_u32 s8, s4, s8
	s_mov_b32 s24, s20
	s_mov_b32 s25, s20
	;; [unrolled: 1-line block ×3, first 2 shown]
	s_addc_u32 s9, s17, s9
	v_dual_mov_b32 v128, s27 :: v_dual_mov_b32 v127, s26
	v_dual_mov_b32 v126, s25 :: v_dual_mov_b32 v125, s24
	;; [unrolled: 1-line block ×3, first 2 shown]
	v_mov_b32_e32 v121, s20
	s_waitcnt lgkmcnt(0)
	s_mul_hi_i32 s13, s29, s5
	s_mul_i32 s12, s29, s5
	v_mov_b32_e32 v122, s21
	s_mul_hi_i32 s21, s30, s5
	s_mul_i32 s20, s30, s5
	s_mul_hi_i32 s25, s35, s5
	s_mul_i32 s24, s35, s5
	;; [unrolled: 2-line block ×3, first 2 shown]
	s_mul_i32 s36, s38, s5
	s_waitcnt vmcnt(1)
	v_mad_i64_i32 v[3:4], null, v7, s5, 0
	s_waitcnt vmcnt(0)
	v_mad_i64_i32 v[5:6], null, v8, s5, 0
	s_delay_alu instid0(VALU_DEP_2) | instskip(NEXT) | instid1(VALU_DEP_2)
	v_lshlrev_b64 v[3:4], 1, v[3:4]
	v_lshlrev_b64 v[1:2], 1, v[5:6]
	s_delay_alu instid0(VALU_DEP_2) | instskip(NEXT) | instid1(VALU_DEP_3)
	v_add_co_u32 v3, vcc_lo, s15, v3
	v_add_co_ci_u32_e32 v4, vcc_lo, s28, v4, vcc_lo
	s_delay_alu instid0(VALU_DEP_3) | instskip(NEXT) | instid1(VALU_DEP_4)
	v_add_co_u32 v1, vcc_lo, s15, v1
	v_add_co_ci_u32_e32 v2, vcc_lo, s28, v2, vcc_lo
	s_delay_alu instid0(VALU_DEP_4) | instskip(NEXT) | instid1(VALU_DEP_4)
	v_add_co_u32 v25, vcc_lo, v3, v73
	v_add_co_ci_u32_e32 v26, vcc_lo, v4, v74, vcc_lo
	s_delay_alu instid0(VALU_DEP_4) | instskip(NEXT) | instid1(VALU_DEP_4)
	v_add_co_u32 v27, vcc_lo, v1, v73
	v_add_co_ci_u32_e32 v28, vcc_lo, v2, v74, vcc_lo
	s_clause 0xf
	global_load_b128 v[1:4], v[25:26], off
	global_load_b128 v[5:8], v[25:26], off offset:512
	global_load_b128 v[9:12], v[27:28], off offset:256
	global_load_b128 v[13:16], v[27:28], off offset:768
	global_load_b128 v[17:20], v[25:26], off offset:1024
	global_load_b128 v[21:24], v[25:26], off offset:1536
	global_load_b128 v[81:84], v[27:28], off offset:1280
	global_load_b128 v[85:88], v[27:28], off offset:1792
	global_load_b128 v[89:92], v[25:26], off offset:2048
	global_load_b128 v[93:96], v[25:26], off offset:2560
	global_load_b128 v[97:100], v[27:28], off offset:2304
	global_load_b128 v[101:104], v[27:28], off offset:2816
	global_load_b128 v[105:108], v[25:26], off offset:3072
	global_load_b128 v[109:112], v[25:26], off offset:3584
	global_load_b128 v[113:116], v[27:28], off offset:3328
	global_load_b128 v[117:120], v[27:28], off offset:3840
	s_or_b32 s15, s16, 0xe0
	v_and_b32_e32 v25, 7, v0
	s_ashr_i32 s22, s15, 5
	s_cmp_lt_i32 s15, s18
	s_cselect_b32 s22, s22, s3
	s_delay_alu instid0(VALU_DEP_1)
	v_lshlrev_b32_e32 v151, 6, v25
	s_ashr_i32 s23, s22, 31
	ds_load_b128 v[25:28], v151
	ds_load_b128 v[29:32], v151 offset:1024
	s_lshl_b64 s[22:23], s[22:23], 2
	ds_load_b128 v[129:132], v151 offset:2048
	ds_load_b128 v[133:136], v151 offset:3072
	s_add_u32 s22, s4, s22
	s_addc_u32 s23, s17, s23
	s_add_i32 s15, s16, 0x100
	s_delay_alu instid0(SALU_CYCLE_1)
	s_ashr_i32 s28, s15, 5
	s_cmp_lt_i32 s15, s18
	s_load_b32 s15, s[8:9], 0x0
	s_cselect_b32 s28, s28, s3
	s_mul_hi_i32 s9, s37, s5
	s_ashr_i32 s29, s28, 31
	s_mul_i32 s8, s37, s5
	s_lshl_b64 s[28:29], s[28:29], 2
	s_mul_hi_i32 s37, s38, s5
	s_add_u32 s28, s4, s28
	s_addc_u32 s29, s17, s29
	s_add_u32 s3, s10, s6
	s_clause 0x1
	s_load_b32 s4, s[22:23], 0x0
	s_load_b32 s17, s[28:29], 0x0
	s_addc_u32 s28, s11, s7
	v_add_co_u32 v152, s3, s3, v33
	s_delay_alu instid0(VALU_DEP_1) | instskip(SKIP_2) | instid1(VALU_DEP_2)
	v_add_co_ci_u32_e64 v153, null, s28, 0, s3
	s_lshl_b64 s[6:7], s[12:13], 1
	s_lshl_b64 s[10:11], s[20:21], 1
	v_add_co_u32 v33, vcc_lo, v152, s6
	s_delay_alu instid0(VALU_DEP_2)
	v_add_co_ci_u32_e32 v34, vcc_lo, s7, v153, vcc_lo
	v_add_co_u32 v35, vcc_lo, v152, s10
	s_lshl_b64 s[12:13], s[24:25], 1
	v_add_co_ci_u32_e32 v36, vcc_lo, s11, v153, vcc_lo
	v_add_co_u32 v37, vcc_lo, v152, s12
	s_lshl_b64 s[20:21], s[26:27], 1
	v_add_co_ci_u32_e32 v38, vcc_lo, s13, v153, vcc_lo
	v_add_co_u32 v39, vcc_lo, v152, s20
	s_lshl_b64 s[8:9], s[8:9], 1
	v_add_co_ci_u32_e32 v40, vcc_lo, s21, v153, vcc_lo
	v_add_co_u32 v145, vcc_lo, v152, s8
	s_lshl_b64 s[22:23], s[36:37], 1
	s_waitcnt lgkmcnt(0)
	s_mul_hi_i32 s25, s15, s5
	s_mul_i32 s24, s15, s5
	v_add_co_ci_u32_e32 v146, vcc_lo, s9, v153, vcc_lo
	v_add_co_u32 v147, vcc_lo, v152, s22
	s_lshl_b64 s[24:25], s[24:25], 1
	v_add_co_ci_u32_e32 v148, vcc_lo, s23, v153, vcc_lo
	s_mul_hi_i32 s7, s4, s5
	s_mul_i32 s6, s4, s5
	v_add_co_u32 v149, vcc_lo, v152, s24
	s_lshl_b64 s[6:7], s[6:7], 1
	v_add_co_ci_u32_e32 v150, vcc_lo, s25, v153, vcc_lo
	s_clause 0x7
	global_load_b128 v[65:68], v[33:34], off
	global_load_b128 v[69:72], v[33:34], off offset:16
	global_load_b128 v[57:60], v[35:36], off
	global_load_b128 v[61:64], v[35:36], off offset:16
	;; [unrolled: 2-line block ×4, first 2 shown]
	s_waitcnt vmcnt(22)
	v_wmma_f32_16x16x16_f16 v[137:144], v[1:8], v[25:32], v[121:128]
	s_waitcnt vmcnt(20)
	v_wmma_f32_16x16x16_f16 v[121:128], v[9:16], v[25:32], v[121:128]
	v_add_co_u32 v29, vcc_lo, v152, s6
	v_add_co_ci_u32_e32 v30, vcc_lo, s7, v153, vcc_lo
	s_mul_hi_i32 s7, s17, s5
	s_mul_i32 s6, s17, s5
	s_waitcnt vmcnt(18)
	v_wmma_f32_16x16x16_f16 v[137:144], v[17:24], v[129:136], v[137:144]
	s_lshl_b64 s[4:5], s[6:7], 1
	s_clause 0x1
	global_load_b128 v[9:12], v[145:146], off
	global_load_b128 v[13:16], v[145:146], off offset:16
	v_add_co_u32 v21, vcc_lo, v152, s4
	v_add_co_ci_u32_e32 v22, vcc_lo, s5, v153, vcc_lo
	s_clause 0x7
	global_load_b128 v[1:4], v[147:148], off
	global_load_b128 v[5:8], v[147:148], off offset:16
	global_load_b128 v[33:36], v[149:150], off
	global_load_b128 v[37:40], v[149:150], off offset:16
	;; [unrolled: 2-line block ×4, first 2 shown]
	s_waitcnt vmcnt(26)
	v_wmma_f32_16x16x16_f16 v[121:128], v[81:88], v[129:136], v[121:128]
	ds_load_b128 v[81:84], v151 offset:4096
	ds_load_b128 v[85:88], v151 offset:5120
	v_mbcnt_lo_u32_b32 v130, -1, 0
	s_delay_alu instid0(VALU_DEP_1) | instskip(NEXT) | instid1(VALU_DEP_1)
	v_xor_b32_e32 v131, 16, v130
	v_cmp_gt_i32_e32 vcc_lo, 32, v131
	v_cndmask_b32_e32 v130, v130, v131, vcc_lo
	s_waitcnt vmcnt(24) lgkmcnt(0)
	v_wmma_f32_16x16x16_f16 v[137:144], v[89:96], v[81:88], v[137:144]
	ds_load_b128 v[89:92], v151 offset:6144
	ds_load_b128 v[93:96], v151 offset:7168
	s_waitcnt vmcnt(22)
	v_wmma_f32_16x16x16_f16 v[121:128], v[97:104], v[81:88], v[121:128]
	s_waitcnt vmcnt(0) lgkmcnt(0)
	s_barrier
	buffer_gl0_inv
	v_wmma_f32_16x16x16_f16 v[137:144], v[105:112], v[89:96], v[137:144]
	v_and_b32_e32 v129, 0xe0, v0
	v_wmma_f32_16x16x16_f16 v[121:128], v[113:120], v[89:96], v[121:128]
	s_delay_alu instid0(VALU_DEP_3) | instskip(NEXT) | instid1(VALU_DEP_2)
	v_mul_f32_e32 v96, s19, v137
	v_dual_mul_f32 v104, s19, v126 :: v_dual_add_nc_u32 v129, s16, v129
	v_mul_f32_e32 v95, s19, v138
	v_dual_mul_f32 v93, s19, v140 :: v_dual_mul_f32 v94, s19, v139
	s_delay_alu instid0(VALU_DEP_3) | instskip(SKIP_3) | instid1(VALU_DEP_4)
	v_or_b32_e32 v129, v129, v75
	v_dual_mul_f32 v91, s19, v142 :: v_dual_mul_f32 v106, s19, v124
	v_dual_mul_f32 v92, s19, v141 :: v_dual_mul_f32 v89, s19, v144
	v_mul_f32_e32 v108, s19, v122
	v_or_b32_e32 v131, 2, v129
	v_or_b32_e32 v132, 4, v129
	;; [unrolled: 1-line block ×3, first 2 shown]
	v_cmp_gt_i32_e32 vcc_lo, s18, v129
	v_or_b32_e32 v82, 8, v129
	v_cmp_gt_i32_e64 s3, s18, v131
	v_or_b32_e32 v83, 10, v129
	v_cmp_gt_i32_e64 s4, s18, v132
	v_cndmask_b32_e32 v96, 0xff7fffff, v96, vcc_lo
	v_cmp_gt_i32_e64 s5, s18, v81
	v_cndmask_b32_e64 v95, 0xff7fffff, v95, s3
	v_or_b32_e32 v84, 12, v129
	v_or_b32_e32 v85, 14, v129
	v_cndmask_b32_e64 v94, 0xff7fffff, v94, s4
	v_cndmask_b32_e64 v81, 0xff7fffff, v93, s5
	v_max3_f32 v93, v96, 0xff7fffff, v95
	v_cmp_gt_i32_e64 s6, s18, v82
	v_cmp_gt_i32_e64 s7, s18, v83
	v_or_b32_e32 v86, 16, v129
	v_or_b32_e32 v87, 18, v129
	v_mul_f32_e32 v90, s19, v143
	v_cndmask_b32_e64 v82, 0xff7fffff, v92, s6
	v_cndmask_b32_e64 v83, 0xff7fffff, v91, s7
	v_max3_f32 v81, v93, v94, v81
	v_cmp_gt_i32_e64 s8, s18, v84
	v_cmp_gt_i32_e64 s9, s18, v85
	v_or_b32_e32 v88, 20, v129
	v_or_b32_e32 v97, 22, v129
	v_mul_f32_e32 v109, s19, v121
	;; [unrolled: 8-line block ×4, first 2 shown]
	v_cndmask_b32_e64 v84, 0xff7fffff, v107, s12
	v_cndmask_b32_e64 v85, 0xff7fffff, v106, s13
	v_max3_f32 v81, v81, v82, v83
	v_cmp_gt_i32_e64 s15, s18, v98
	v_cmp_gt_i32_e64 s16, s18, v99
	v_dual_mul_f32 v102, s19, v128 :: v_dual_mul_f32 v103, s19, v127
	s_delay_alu instid0(VALU_DEP_4) | instskip(NEXT) | instid1(VALU_DEP_4)
	v_max3_f32 v81, v81, v84, v85
	v_cndmask_b32_e64 v82, 0xff7fffff, v105, s15
	s_delay_alu instid0(VALU_DEP_4) | instskip(SKIP_2) | instid1(VALU_DEP_3)
	v_cndmask_b32_e64 v83, 0xff7fffff, v104, s16
	v_cmp_gt_i32_e64 s17, s18, v100
	v_cmp_gt_i32_e64 s18, s18, v101
	v_max3_f32 v81, v81, v82, v83
	s_delay_alu instid0(VALU_DEP_3) | instskip(NEXT) | instid1(VALU_DEP_3)
	v_cndmask_b32_e64 v84, 0xff7fffff, v103, s17
	v_cndmask_b32_e64 v85, 0xff7fffff, v102, s18
	v_lshlrev_b32_e32 v83, 2, v130
	s_delay_alu instid0(VALU_DEP_2) | instskip(SKIP_3) | instid1(VALU_DEP_1)
	v_max3_f32 v81, v81, v84, v85
	ds_bpermute_b32 v82, v83, v81
	s_waitcnt lgkmcnt(0)
	v_max_f32_e32 v82, v82, v82
	v_max_f32_e32 v81, v81, v82
	s_delay_alu instid0(VALU_DEP_1) | instskip(SKIP_3) | instid1(VALU_DEP_4)
	v_fma_f32 v82, s19, v137, -v81
	v_fma_f32 v84, s19, v138, -v81
	;; [unrolled: 1-line block ×4, first 2 shown]
	v_mul_f32_e32 v82, 0x3fb8aa3b, v82
	s_delay_alu instid0(VALU_DEP_3) | instskip(NEXT) | instid1(VALU_DEP_3)
	v_dual_mul_f32 v84, 0x3fb8aa3b, v84 :: v_dual_mul_f32 v85, 0x3fb8aa3b, v85
	v_mul_f32_e32 v86, 0x3fb8aa3b, v86
	s_delay_alu instid0(VALU_DEP_3) | instskip(NEXT) | instid1(VALU_DEP_2)
	v_exp_f32_e32 v82, v82
	v_exp_f32_e32 v84, v84
	s_delay_alu instid0(VALU_DEP_2) | instskip(NEXT) | instid1(VALU_DEP_1)
	v_exp_f32_e32 v85, v85
	v_exp_f32_e32 v90, v86
	v_cndmask_b32_e32 v87, 0, v82, vcc_lo
	s_delay_alu instid0(TRANS32_DEP_3) | instskip(SKIP_4) | instid1(VALU_DEP_1)
	v_cndmask_b32_e64 v86, 0, v84, s3
	s_waitcnt_depctr 0xfff
	v_cndmask_b32_e64 v89, 0, v85, s4
	s_mov_b32 s3, exec_lo
	v_add_f32_e32 v84, 0, v87
	v_add_f32_e32 v84, v84, v86
	s_delay_alu instid0(VALU_DEP_1)
	v_add_f32_e32 v84, v84, v89
	v_fma_f32 v88, s19, v141, -v81
	v_fma_f32 v91, s19, v143, -v81
	;; [unrolled: 1-line block ×5, first 2 shown]
	v_mul_f32_e32 v88, 0x3fb8aa3b, v88
	v_fma_f32 v100, s19, v128, -v81
	v_mul_f32_e32 v82, 0x3fb8aa3b, v82
	v_fma_f32 v98, s19, v126, -v81
	v_mul_f32_e32 v97, 0x3fb8aa3b, v95
	v_exp_f32_e32 v92, v88
	v_cndmask_b32_e64 v88, 0, v90, s5
	v_fma_f32 v90, s19, v121, -v81
	v_mul_f32_e32 v91, 0x3fb8aa3b, v91
	v_exp_f32_e32 v82, v82
	v_exp_f32_e32 v99, v97
	v_add_f32_e32 v84, v84, v88
	v_mul_f32_e32 v94, 0x3fb8aa3b, v90
	v_exp_f32_e32 v93, v91
	v_mul_f32_e32 v98, 0x3fb8aa3b, v98
	v_cndmask_b32_e64 v91, 0, v92, s6
	v_fma_f32 v92, s19, v122, -v81
	v_mul_f32_e32 v85, 0x3fb8aa3b, v85
	v_exp_f32_e32 v94, v94
	v_cndmask_b32_e64 v90, 0, v82, s7
	v_add_f32_e32 v82, v84, v91
	v_mul_f32_e32 v92, 0x3fb8aa3b, v92
	v_exp_f32_e32 v85, v85
	v_fma_f32 v84, s19, v123, -v81
	v_cndmask_b32_e64 v93, 0, v93, s8
	v_add_f32_e32 v82, v82, v90
	v_exp_f32_e32 v96, v92
	v_exp_f32_e32 v98, v98
	v_cndmask_b32_e64 v95, 0, v94, s10
	s_delay_alu instid0(VALU_DEP_2) | instskip(NEXT) | instid1(TRANS32_DEP_3)
	v_add_f32_e32 v82, v82, v93
	v_cndmask_b32_e64 v92, 0, v85, s9
	v_fma_f32 v85, s19, v125, -v81
	v_mul_f32_e32 v84, 0x3fb8aa3b, v84
	s_delay_alu instid0(TRANS32_DEP_2) | instskip(SKIP_1) | instid1(VALU_DEP_4)
	v_cndmask_b32_e64 v94, 0, v96, s11
	v_fma_f32 v96, s19, v127, -v81
	v_mul_f32_e32 v85, 0x3fb8aa3b, v85
	s_delay_alu instid0(VALU_DEP_4) | instskip(SKIP_1) | instid1(VALU_DEP_2)
	v_exp_f32_e32 v84, v84
	v_cndmask_b32_e64 v98, 0, v98, s16
	v_exp_f32_e32 v85, v85
	s_waitcnt_depctr 0xfff
	v_cndmask_b32_e64 v97, 0, v84, s12
	v_mul_f32_e32 v84, 0x3fb8aa3b, v96
	v_cndmask_b32_e64 v96, 0, v99, s13
	v_cndmask_b32_e64 v99, 0, v85, s15
	v_mul_f32_e32 v85, 0x3fb8aa3b, v100
	v_add_f32_e32 v82, v82, v92
	v_exp_f32_e32 v84, v84
	s_delay_alu instid0(VALU_DEP_2) | instskip(NEXT) | instid1(VALU_DEP_1)
	v_exp_f32_e32 v85, v85
	v_add_f32_e32 v82, v82, v95
	s_delay_alu instid0(VALU_DEP_1) | instskip(SKIP_4) | instid1(VALU_DEP_1)
	v_add_f32_e32 v82, v82, v94
	s_waitcnt_depctr 0xfff
	v_cndmask_b32_e64 v101, 0, v84, s17
	v_cndmask_b32_e64 v100, 0, v85, s18
	v_add_f32_e32 v82, v82, v97
	v_add_f32_e32 v82, v82, v96
	s_delay_alu instid0(VALU_DEP_1) | instskip(NEXT) | instid1(VALU_DEP_1)
	v_add_f32_e32 v82, v82, v99
	v_add_f32_e32 v82, v82, v98
	s_delay_alu instid0(VALU_DEP_1) | instskip(NEXT) | instid1(VALU_DEP_1)
	v_add_f32_e32 v82, v82, v101
	v_add_f32_e32 v82, v82, v100
	ds_bpermute_b32 v83, v83, v82
	v_cmpx_gt_u32_e32 16, v80
	s_cbranch_execz .LBB121_14
; %bb.13:
	v_mul_u32_u24_e32 v80, 0x44, v78
	s_waitcnt lgkmcnt(0)
	v_add_f32_e32 v82, v82, v83
	s_delay_alu instid0(VALU_DEP_2) | instskip(NEXT) | instid1(VALU_DEP_1)
	v_lshl_add_u32 v80, v79, 2, v80
	v_add_nc_u32_e32 v80, 0x4000, v80
	ds_store_2addr_b32 v80, v81, v82 offset1:136
.LBB121_14:
	s_or_b32 exec_lo, exec_lo, s3
	v_lshlrev_b32_e32 v79, 2, v79
	s_load_b32 s35, s[0:1], 0x94
	s_waitcnt lgkmcnt(0)
	s_barrier
	buffer_gl0_inv
	v_add_nc_u32_e32 v83, 0x4000, v79
	v_cmp_eq_u32_e32 vcc_lo, 1, v78
	v_cmp_eq_u32_e64 s3, 2, v78
	v_cmp_eq_u32_e64 s4, 3, v78
	;; [unrolled: 1-line block ×3, first 2 shown]
	ds_load_2addr_b32 v[79:80], v83 offset1:17
	ds_load_2addr_b32 v[81:82], v83 offset0:34 offset1:51
	ds_load_2addr_b32 v[102:103], v83 offset0:68 offset1:85
	;; [unrolled: 1-line block ×3, first 2 shown]
	v_cmp_eq_u32_e64 s6, 7, v78
	s_waitcnt lgkmcnt(3)
	v_max3_f32 v84, v79, 0xff7fffff, v80
	s_waitcnt lgkmcnt(2)
	s_delay_alu instid0(VALU_DEP_1) | instskip(SKIP_1) | instid1(VALU_DEP_1)
	v_max3_f32 v84, v84, v81, v82
	s_waitcnt lgkmcnt(1)
	v_max3_f32 v84, v84, v102, v103
	s_waitcnt lgkmcnt(0)
	s_delay_alu instid0(VALU_DEP_1) | instskip(NEXT) | instid1(VALU_DEP_1)
	v_max3_f32 v84, v84, v104, v105
	v_sub_f32_e32 v102, v102, v84
	ds_load_2addr_b32 v[106:107], v83 offset0:136 offset1:153
	v_sub_f32_e32 v79, v79, v84
	v_dual_sub_f32 v109, v82, v84 :: v_dual_mul_f32 v112, 0x3fb8aa3b, v102
	s_delay_alu instid0(VALU_DEP_2) | instskip(SKIP_3) | instid1(VALU_DEP_1)
	v_dual_sub_f32 v85, v80, v84 :: v_dual_mul_f32 v108, 0x3fb8aa3b, v79
	ds_load_2addr_b32 v[79:80], v83 offset0:170 offset1:187
	v_mul_f32_e32 v85, 0x3fb8aa3b, v85
	v_exp_f32_e32 v108, v108
	v_exp_f32_e32 v111, v85
	v_mul_f32_e32 v109, 0x3fb8aa3b, v109
	s_waitcnt lgkmcnt(1)
	s_waitcnt_depctr 0xfff
	v_fma_f32 v85, v108, v106, 0
	v_sub_f32_e32 v106, v103, v84
	v_sub_f32_e32 v81, v81, v84
	v_exp_f32_e32 v109, v109
	ds_load_2addr_b32 v[102:103], v83 offset0:238 offset1:255
	v_dual_fmac_f32 v85, v111, v107 :: v_dual_mul_f32 v110, 0x3fb8aa3b, v81
	ds_load_2addr_b32 v[81:82], v83 offset0:204 offset1:221
	v_dual_sub_f32 v83, v104, v84 :: v_dual_mul_f32 v104, 0x3fb8aa3b, v106
	v_exp_f32_e32 v106, v112
	v_exp_f32_e32 v110, v110
	s_waitcnt lgkmcnt(0)
	s_delay_alu instid0(VALU_DEP_1)
	v_mul_f32_e32 v83, 0x3fb8aa3b, v83
	v_exp_f32_e32 v104, v104
	s_barrier
	buffer_gl0_inv
	v_fmac_f32_e32 v85, v110, v79
	v_sub_f32_e32 v79, v105, v84
	v_exp_f32_e32 v105, v83
	s_delay_alu instid0(VALU_DEP_2) | instskip(NEXT) | instid1(VALU_DEP_2)
	v_fmac_f32_e32 v85, v109, v80
	v_mul_f32_e32 v79, 0x3fb8aa3b, v79
	s_delay_alu instid0(VALU_DEP_2) | instskip(NEXT) | instid1(VALU_DEP_2)
	v_dual_cndmask_b32 v80, v108, v111 :: v_dual_fmac_f32 v85, v106, v81
	v_exp_f32_e32 v107, v79
	s_delay_alu instid0(VALU_DEP_1) | instskip(SKIP_2) | instid1(VALU_DEP_1)
	v_fmac_f32_e32 v85, v104, v82
	s_waitcnt_depctr 0xfff
	v_fmac_f32_e32 v85, v105, v102
	v_fmac_f32_e32 v85, v107, v103
	s_delay_alu instid0(VALU_DEP_1) | instskip(NEXT) | instid1(VALU_DEP_1)
	v_add_f32_e32 v102, 0x358637bd, v85
	v_div_scale_f32 v103, null, v102, v102, 1.0
	v_div_scale_f32 v108, vcc_lo, 1.0, v102, 1.0
	s_delay_alu instid0(VALU_DEP_2) | instskip(SKIP_2) | instid1(VALU_DEP_1)
	v_rcp_f32_e32 v112, v103
	s_waitcnt_depctr 0xfff
	v_fma_f32 v79, -v103, v112, 1.0
	v_fmac_f32_e32 v112, v79, v112
	v_cndmask_b32_e64 v79, v80, v110, s3
	v_cmp_eq_u32_e64 s3, 4, v78
	v_lshl_or_b32 v80, v78, 11, v77
	s_delay_alu instid0(VALU_DEP_4) | instskip(NEXT) | instid1(VALU_DEP_4)
	v_mul_f32_e32 v110, v108, v112
	v_cndmask_b32_e64 v81, v79, v109, s4
	v_cmp_eq_u32_e64 s4, 6, v78
	s_delay_alu instid0(VALU_DEP_4) | instskip(SKIP_3) | instid1(VALU_DEP_3)
	v_lshl_or_b32 v78, v75, 4, v80
	v_lshlrev_b32_e32 v79, 2, v75
	v_fma_f32 v82, -v103, v110, v108
	v_cndmask_b32_e64 v83, v81, v106, s3
	v_or_b32_e32 v81, 1, v79
	s_delay_alu instid0(VALU_DEP_3) | instskip(NEXT) | instid1(VALU_DEP_3)
	v_fmac_f32_e32 v110, v82, v112
	v_cndmask_b32_e64 v104, v83, v104, s5
	v_or_b32_e32 v83, 2, v79
	v_or_b32_e32 v82, 3, v79
	v_cmp_eq_u32_e64 s3, 1, v79
	v_fma_f32 v103, -v103, v110, v108
	v_cndmask_b32_e64 v104, v104, v105, s4
	v_cmp_eq_u32_e64 s9, 1, v81
	v_cmp_eq_u32_e64 s10, 1, v83
	;; [unrolled: 1-line block ×3, first 2 shown]
	v_div_fmas_f32 v103, v103, v112, v110
	v_cndmask_b32_e64 v104, v104, v107, s6
	v_cmp_eq_u32_e32 vcc_lo, 2, v79
	v_cmp_eq_u32_e64 s12, 2, v81
	v_cmp_eq_u32_e64 s15, 2, v83
	v_div_fixup_f32 v102, v103, v102, 1.0
	v_cmp_eq_u32_e64 s16, 2, v82
	v_cmp_eq_u32_e64 s18, 3, v82
	;; [unrolled: 1-line block ×4, first 2 shown]
	v_mul_f32_e32 v110, v104, v102
	v_cmp_eq_u32_e64 s17, 3, v83
	v_cmp_eq_u32_e64 s22, 4, v82
	v_cmp_eq_u32_e64 s5, 4, v79
	v_cmp_eq_u32_e64 s19, 4, v81
	v_fma_mixlo_f16 v102, v110, v87, 0
	v_fma_mixlo_f16 v103, v110, v89, 0
	;; [unrolled: 1-line block ×8, first 2 shown]
	v_fma_mixhi_f16 v102, v110, v86, 0
	v_fma_mixhi_f16 v103, v110, v88, 0
	;; [unrolled: 1-line block ×8, first 2 shown]
	ds_store_b128 v78, v[102:105]
	ds_store_b128 v78, v[106:109] offset:1024
	s_waitcnt lgkmcnt(0)
	s_barrier
	buffer_gl0_inv
	ds_load_b128 v[86:89], v80
	ds_load_b128 v[90:93], v80 offset:16
	ds_load_b128 v[94:97], v80 offset:1024
	;; [unrolled: 1-line block ×3, first 2 shown]
	v_cmp_eq_u32_e64 s21, 4, v83
	v_cmp_eq_u32_e64 s24, 5, v82
	;; [unrolled: 1-line block ×13, first 2 shown]
	s_waitcnt lgkmcnt(3)
	v_lshrrev_b32_e32 v102, 16, v86
	s_waitcnt lgkmcnt(2)
	v_lshrrev_b32_e32 v106, 16, v90
	;; [unrolled: 2-line block ×4, first 2 shown]
	v_lshrrev_b32_e32 v103, 16, v87
	v_cndmask_b32_e64 v118, v86, v102, s3
	v_cndmask_b32_e64 v119, v90, v106, s3
	;; [unrolled: 1-line block ×8, first 2 shown]
	v_lshrrev_b32_e32 v107, 16, v91
	v_cndmask_b32_e64 v102, v94, v110, s3
	v_cndmask_b32_e64 v106, v98, v114, s3
	;; [unrolled: 1-line block ×5, first 2 shown]
	v_cndmask_b32_e32 v110, v118, v87, vcc_lo
	v_cndmask_b32_e64 v118, v120, v87, s12
	v_cndmask_b32_e64 v120, v122, v87, s15
	;; [unrolled: 1-line block ×4, first 2 shown]
	v_lshrrev_b32_e32 v111, 16, v95
	v_lshrrev_b32_e32 v115, 16, v99
	v_cndmask_b32_e64 v125, v98, v114, s9
	v_cndmask_b32_e64 v127, v98, v114, s10
	;; [unrolled: 1-line block ×3, first 2 shown]
	v_cndmask_b32_e32 v114, v119, v91, vcc_lo
	v_cndmask_b32_e64 v119, v121, v91, s12
	v_cndmask_b32_e64 v121, v123, v91, s15
	v_cndmask_b32_e32 v90, v102, v95, vcc_lo
	v_cndmask_b32_e32 v91, v106, v99, vcc_lo
	v_cndmask_b32_e64 v102, v124, v95, s12
	v_cndmask_b32_e64 v86, v86, v103, s18
	;; [unrolled: 1-line block ×3, first 2 shown]
	v_lshrrev_b32_e32 v104, 16, v88
	v_lshrrev_b32_e32 v108, 16, v92
	v_cndmask_b32_e64 v106, v126, v95, s15
	v_cndmask_b32_e64 v94, v94, v95, s16
	;; [unrolled: 1-line block ×14, first 2 shown]
	v_lshrrev_b32_e32 v112, 16, v96
	v_cndmask_b32_e64 v98, v98, v88, s5
	v_cndmask_b32_e64 v103, v110, v92, s5
	;; [unrolled: 1-line block ×11, first 2 shown]
	v_lshrrev_b32_e32 v105, 16, v89
	v_lshrrev_b32_e32 v109, 16, v93
	v_cndmask_b32_e64 v92, v98, v104, s6
	v_cndmask_b32_e64 v98, v103, v108, s6
	;; [unrolled: 1-line block ×9, first 2 shown]
	v_lshrrev_b32_e32 v113, 16, v97
	v_cndmask_b32_e64 v88, v88, v112, s6
	v_cndmask_b32_e64 v92, v92, v89, s7
	v_cndmask_b32_e64 v98, v98, v93, s7
	v_cndmask_b32_e64 v102, v102, v89, s25
	v_cndmask_b32_e64 v103, v103, v93, s25
	v_cndmask_b32_e64 v104, v107, v89, s26
	v_cndmask_b32_e64 v107, v110, v93, s26
	v_cndmask_b32_e64 v89, v91, v97, s25
	v_cndmask_b32_e64 v86, v86, v105, s29
	v_cndmask_b32_e64 v87, v87, v109, s29
	v_cndmask_b32_e64 v122, v127, v99, s15
	v_cndmask_b32_e64 v88, v88, v97, s7
	v_cndmask_b32_e64 v91, v92, v105, s8
	v_cndmask_b32_e64 v92, v98, v109, s8
	v_cndmask_b32_e64 v93, v102, v105, s30
	v_cndmask_b32_e64 v98, v104, v105, s28
	v_cndmask_b32_e64 v102, v107, v109, s28
	v_cndmask_b32_e64 v103, v103, v109, s30
	v_cndmask_b32_e64 v105, v89, v113, s30
	v_perm_b32 v89, v87, v86, 0x5040100
	v_cndmask_b32_e64 v86, v125, v99, s12
	v_cndmask_b32_e64 v104, v88, v113, s8
	v_perm_b32 v88, v102, v98, 0x5040100
	v_perm_b32 v87, v103, v93, 0x5040100
	v_cndmask_b32_e64 v93, v106, v111, s17
	v_cndmask_b32_e64 v94, v94, v111, s18
	;; [unrolled: 1-line block ×5, first 2 shown]
	v_lshrrev_b32_e32 v116, 16, v100
	v_cndmask_b32_e64 v93, v93, v96, s21
	v_cndmask_b32_e64 v94, v94, v96, s22
	;; [unrolled: 1-line block ×11, first 2 shown]
	v_lshrrev_b32_e32 v117, 16, v101
	v_cndmask_b32_e64 v90, v90, v101, s7
	v_cndmask_b32_e64 v93, v93, v97, s26
	;; [unrolled: 1-line block ×12, first 2 shown]
	v_perm_b32 v86, v92, v91, 0x5040100
	v_perm_b32 v93, v94, v93, 0x5040100
	;; [unrolled: 1-line block ×5, first 2 shown]
	s_lshl_b32 s7, s33, 3
	s_mov_b32 s3, exec_lo
	ds_store_b128 v78, v[86:89]
	ds_store_b128 v78, v[90:93] offset:1024
	v_cmpx_gt_u32_e32 8, v0
	s_cbranch_execz .LBB121_16
; %bb.15:
	v_or_b32_e32 v86, s31, v0
	s_load_b128 s[8:11], s[0:1], 0x58
	s_delay_alu instid0(VALU_DEP_1) | instskip(NEXT) | instid1(VALU_DEP_1)
	v_mad_u64_u32 v[87:88], null, s7, s34, v[86:87]
	v_mad_u64_u32 v[88:89], null, v87, s35, s[14:15]
	s_delay_alu instid0(VALU_DEP_1) | instskip(NEXT) | instid1(VALU_DEP_1)
	v_ashrrev_i32_e32 v89, 31, v88
	v_lshlrev_b64 v[86:87], 2, v[88:89]
	s_waitcnt lgkmcnt(0)
	s_delay_alu instid0(VALU_DEP_1) | instskip(NEXT) | instid1(VALU_DEP_2)
	v_add_co_u32 v88, vcc_lo, s10, v86
	v_add_co_ci_u32_e32 v89, vcc_lo, s11, v87, vcc_lo
	v_add_co_u32 v86, vcc_lo, s8, v86
	v_add_co_ci_u32_e32 v87, vcc_lo, s9, v87, vcc_lo
	global_store_b32 v[88:89], v84, off
	global_store_b32 v[86:87], v85, off
.LBB121_16:
	s_or_b32 exec_lo, exec_lo, s3
	s_waitcnt lgkmcnt(0)
	s_waitcnt_vscnt null, 0x0
	s_barrier
	buffer_gl0_inv
	ds_load_b128 v[92:95], v77
	ds_load_b128 v[96:99], v77 offset:16
	ds_load_b128 v[104:107], v77 offset:1040
	;; [unrolled: 1-line block ×5, first 2 shown]
	v_cmp_eq_u32_e32 vcc_lo, 1, v83
	v_mov_b32_e32 v84, 0
	ds_load_b128 v[120:123], v77 offset:3088
	ds_load_b128 v[116:119], v77 offset:3072
	;; [unrolled: 1-line block ×4, first 2 shown]
	v_cmp_eq_u32_e64 s3, 1, v79
	v_cmp_eq_u32_e64 s4, 1, v82
	;; [unrolled: 1-line block ×3, first 2 shown]
	v_mov_b32_e32 v85, v84
	v_mov_b32_e32 v86, v84
	;; [unrolled: 1-line block ×7, first 2 shown]
	v_cmp_eq_u32_e64 s6, 2, v79
	s_waitcnt lgkmcnt(8)
	s_delay_alu instid0(VALU_DEP_2)
	v_wmma_f32_16x16x16_f16 v[84:91], v[65:72], v[92:99], v[84:91]
	ds_load_b128 v[69:72], v77 offset:5136
	ds_load_b128 v[65:68], v77 offset:5120
	;; [unrolled: 1-line block ×4, first 2 shown]
	s_waitcnt lgkmcnt(10)
	v_wmma_f32_16x16x16_f16 v[84:91], v[57:64], v[100:107], v[84:91]
	s_waitcnt lgkmcnt(8)
	s_delay_alu instid0(VALU_DEP_1)
	v_wmma_f32_16x16x16_f16 v[84:91], v[57:64], v[108:115], v[84:91]
	ds_load_b128 v[61:64], v77 offset:7184
	ds_load_b128 v[57:60], v77 offset:7168
	ds_load_b128 v[104:107], v77 offset:8208
	ds_load_b128 v[100:103], v77 offset:8192
	s_waitcnt lgkmcnt(10)
	v_wmma_f32_16x16x16_f16 v[84:91], v[49:56], v[116:123], v[84:91]
	s_waitcnt lgkmcnt(8)
	s_delay_alu instid0(VALU_DEP_1)
	v_wmma_f32_16x16x16_f16 v[84:91], v[49:56], v[124:131], v[84:91]
	ds_load_b128 v[53:56], v77 offset:9232
	ds_load_b128 v[49:52], v77 offset:9216
	s_waitcnt lgkmcnt(8)
	v_wmma_f32_16x16x16_f16 v[84:91], v[41:48], v[65:72], v[84:91]
	ds_load_b128 v[69:72], v77 offset:10256
	ds_load_b128 v[65:68], v77 offset:10240
	s_waitcnt lgkmcnt(8)
	;; [unrolled: 4-line block ×7, first 2 shown]
	s_barrier
	buffer_gl0_inv
	v_wmma_f32_16x16x16_f16 v[84:91], v[33:40], v[41:48], v[84:91]
	s_delay_alu instid0(VALU_DEP_1) | instskip(NEXT) | instid1(VALU_DEP_1)
	v_wmma_f32_16x16x16_f16 v[84:91], v[33:40], v[57:64], v[84:91]
	v_wmma_f32_16x16x16_f16 v[84:91], v[25:32], v[9:16], v[84:91]
	s_delay_alu instid0(VALU_DEP_1) | instskip(NEXT) | instid1(VALU_DEP_1)
	v_wmma_f32_16x16x16_f16 v[84:91], v[25:32], v[49:56], v[84:91]
	v_wmma_f32_16x16x16_f16 v[84:91], v[17:24], v[1:8], v[84:91]
	s_delay_alu instid0(VALU_DEP_1) | instskip(NEXT) | instid1(VALU_DEP_2)
	v_cvt_f16_f32_e32 v1, v84
	v_cvt_f16_f32_e32 v2, v85
	s_delay_alu instid0(VALU_DEP_3) | instskip(NEXT) | instid1(VALU_DEP_4)
	v_cvt_f16_f32_e32 v3, v86
	v_cvt_f16_f32_e32 v4, v87
	;; [unrolled: 1-line block ×6, first 2 shown]
	v_pack_b32_f16 v1, v1, v2
	v_pack_b32_f16 v2, v3, v4
	;; [unrolled: 1-line block ×3, first 2 shown]
	s_delay_alu instid0(VALU_DEP_4)
	v_pack_b32_f16 v4, v7, v8
	ds_store_b128 v78, v[1:4]
	s_waitcnt lgkmcnt(0)
	s_barrier
	buffer_gl0_inv
	ds_load_b128 v[1:4], v80
	ds_load_b128 v[5:8], v80 offset:16
	s_waitcnt lgkmcnt(1)
	v_lshrrev_b32_e32 v9, 16, v1
	s_waitcnt lgkmcnt(0)
	v_lshrrev_b32_e32 v13, 16, v5
	v_lshrrev_b32_e32 v10, 16, v2
	;; [unrolled: 1-line block ×4, first 2 shown]
	v_cndmask_b32_e64 v17, v1, v9, s3
	v_cndmask_b32_e64 v18, v5, v13, s3
	;; [unrolled: 1-line block ×3, first 2 shown]
	v_cmp_eq_u32_e64 s3, 2, v81
	v_cndmask_b32_e64 v20, v5, v13, s5
	v_cndmask_b32_e32 v21, v1, v9, vcc_lo
	v_cndmask_b32_e32 v22, v5, v13, vcc_lo
	v_cndmask_b32_e64 v1, v1, v9, s4
	v_cndmask_b32_e64 v5, v5, v13, s4
	v_cmp_eq_u32_e32 vcc_lo, 2, v83
	v_cmp_eq_u32_e64 s4, 2, v82
	v_cndmask_b32_e64 v9, v17, v2, s6
	v_cndmask_b32_e64 v13, v18, v6, s6
	;; [unrolled: 1-line block ×4, first 2 shown]
	v_cndmask_b32_e32 v19, v21, v2, vcc_lo
	v_cmp_eq_u32_e64 s3, 3, v83
	v_cndmask_b32_e32 v20, v22, v6, vcc_lo
	v_cndmask_b32_e64 v1, v1, v2, s4
	v_cmp_eq_u32_e32 vcc_lo, 3, v82
	v_cmp_eq_u32_e64 s5, 3, v79
	v_cndmask_b32_e64 v2, v5, v6, s4
	v_cmp_eq_u32_e64 s4, 3, v81
	v_cmp_eq_u32_e64 s6, 4, v79
	v_cndmask_b32_e32 v1, v1, v10, vcc_lo
	v_cndmask_b32_e64 v5, v9, v10, s5
	v_cndmask_b32_e64 v6, v13, v14, s5
	;; [unrolled: 1-line block ×3, first 2 shown]
	v_cmp_eq_u32_e64 s5, 4, v81
	v_cndmask_b32_e64 v13, v18, v14, s4
	v_cndmask_b32_e64 v17, v19, v10, s3
	;; [unrolled: 1-line block ×3, first 2 shown]
	v_cndmask_b32_e32 v2, v2, v14, vcc_lo
	v_cmp_eq_u32_e32 vcc_lo, 4, v83
	v_cmp_eq_u32_e64 s4, 4, v82
	v_lshrrev_b32_e32 v15, 16, v7
	v_cndmask_b32_e64 v5, v5, v3, s6
	v_cndmask_b32_e64 v6, v6, v7, s6
	v_cndmask_b32_e32 v14, v18, v7, vcc_lo
	v_cndmask_b32_e64 v9, v9, v3, s5
	v_cndmask_b32_e64 v10, v13, v7, s5
	v_cndmask_b32_e32 v13, v17, v3, vcc_lo
	v_cmp_eq_u32_e64 s3, 5, v83
	v_cndmask_b32_e64 v1, v1, v3, s4
	v_cmp_eq_u32_e32 vcc_lo, 5, v82
	v_cmp_eq_u32_e64 s5, 5, v79
	v_cndmask_b32_e64 v2, v2, v7, s4
	v_cmp_eq_u32_e64 s4, 5, v81
	v_cmp_eq_u32_e64 s6, 6, v79
	v_lshrrev_b32_e32 v12, 16, v4
	v_cndmask_b32_e64 v3, v5, v11, s5
	v_cndmask_b32_e64 v5, v6, v15, s5
	;; [unrolled: 1-line block ×3, first 2 shown]
	v_cmp_eq_u32_e64 s5, 6, v81
	v_cndmask_b32_e64 v7, v10, v15, s4
	v_cndmask_b32_e64 v9, v13, v11, s3
	;; [unrolled: 1-line block ×3, first 2 shown]
	v_cndmask_b32_e32 v1, v1, v11, vcc_lo
	v_cndmask_b32_e32 v2, v2, v15, vcc_lo
	v_cmp_eq_u32_e32 vcc_lo, 6, v83
	v_cmp_eq_u32_e64 s3, 6, v82
	v_lshrrev_b32_e32 v16, 16, v8
	v_cndmask_b32_e64 v3, v3, v4, s6
	v_cndmask_b32_e64 v5, v5, v8, s6
	v_cndmask_b32_e32 v9, v9, v4, vcc_lo
	v_cndmask_b32_e64 v6, v6, v4, s5
	v_cndmask_b32_e64 v7, v7, v8, s5
	v_cmp_eq_u32_e64 s4, 7, v83
	v_cndmask_b32_e32 v10, v10, v8, vcc_lo
	v_cndmask_b32_e64 v1, v1, v4, s3
	v_cmp_eq_u32_e32 vcc_lo, 7, v82
	v_cndmask_b32_e64 v2, v2, v8, s3
	v_cmp_eq_u32_e64 s3, 7, v79
	v_cmp_eq_u32_e64 s5, 7, v81
	v_cndmask_b32_e32 v1, v1, v12, vcc_lo
	s_delay_alu instid0(VALU_DEP_4) | instskip(NEXT) | instid1(VALU_DEP_4)
	v_cndmask_b32_e32 v2, v2, v16, vcc_lo
	v_cndmask_b32_e64 v8, v3, v12, s3
	s_delay_alu instid0(VALU_DEP_4)
	v_cndmask_b32_e64 v6, v6, v12, s5
	v_cndmask_b32_e64 v3, v9, v12, s4
	;; [unrolled: 1-line block ×5, first 2 shown]
	v_cmp_gt_u32_e32 vcc_lo, 32, v0
	v_perm_b32 v4, v2, v1, 0x5040100
	v_perm_b32 v3, v9, v3, 0x5040100
	;; [unrolled: 1-line block ×4, first 2 shown]
	s_and_b32 s2, vcc_lo, s2
	ds_store_b128 v78, v[1:4]
	s_waitcnt lgkmcnt(0)
	s_barrier
	buffer_gl0_inv
	s_and_saveexec_b32 s3, s2
	s_cbranch_execz .LBB121_2
; %bb.17:
	s_load_b64 s[0:1], s[0:1], 0x68
	s_lshl_b32 s4, s35, 6
	v_or_b32_e32 v2, s31, v75
	s_mul_i32 s2, s4, s34
	v_lshlrev_b32_e32 v1, 10, v0
	s_mul_i32 s2, s2, s7
	v_lshlrev_b32_e32 v3, 4, v76
	v_mul_lo_u32 v0, v2, s4
	s_ashr_i32 s3, s2, 31
	v_lshlrev_b32_e32 v4, 6, v75
	v_and_b32_e32 v1, 0x3800, v1
	v_or_b32_e32 v5, 2, v2
	s_lshl_b64 s[2:3], s[2:3], 1
	v_or_b32_e32 v6, 4, v2
	v_or_b32_e32 v7, 6, v2
	v_or3_b32 v12, v1, v3, v4
	v_ashrrev_i32_e32 v1, 31, v0
	v_mul_lo_u32 v2, v5, s4
	v_mul_lo_u32 v16, v6, s4
	;; [unrolled: 1-line block ×3, first 2 shown]
	s_waitcnt lgkmcnt(0)
	s_add_u32 s2, s0, s2
	s_addc_u32 s3, s1, s3
	s_lshl_b32 s0, s14, 6
	v_lshlrev_b64 v[0:1], 1, v[0:1]
	s_ashr_i32 s1, s0, 31
	v_ashrrev_i32_e32 v3, 31, v2
	s_lshl_b64 s[0:1], s[0:1], 1
	v_ashrrev_i32_e32 v17, 31, v16
	s_add_u32 s0, s2, s0
	s_addc_u32 s1, s3, s1
	v_add_co_u32 v24, vcc_lo, s0, v73
	v_add_co_ci_u32_e32 v25, vcc_lo, s1, v74, vcc_lo
	v_lshlrev_b64 v[22:23], 1, v[2:3]
	s_delay_alu instid0(VALU_DEP_3) | instskip(NEXT) | instid1(VALU_DEP_3)
	v_add_co_u32 v18, vcc_lo, v24, v0
	v_add_co_ci_u32_e32 v19, vcc_lo, v25, v1, vcc_lo
	ds_load_b128 v[0:3], v12
	ds_load_b128 v[4:7], v12 offset:128
	ds_load_b128 v[8:11], v12 offset:256
	;; [unrolled: 1-line block ×3, first 2 shown]
	v_ashrrev_i32_e32 v21, 31, v20
	v_lshlrev_b64 v[16:17], 1, v[16:17]
	v_add_co_u32 v22, vcc_lo, v24, v22
	v_add_co_ci_u32_e32 v23, vcc_lo, v25, v23, vcc_lo
	s_delay_alu instid0(VALU_DEP_4) | instskip(NEXT) | instid1(VALU_DEP_4)
	v_lshlrev_b64 v[20:21], 1, v[20:21]
	v_add_co_u32 v16, vcc_lo, v24, v16
	v_add_co_ci_u32_e32 v17, vcc_lo, v25, v17, vcc_lo
	s_delay_alu instid0(VALU_DEP_3) | instskip(NEXT) | instid1(VALU_DEP_4)
	v_add_co_u32 v20, vcc_lo, v24, v20
	v_add_co_ci_u32_e32 v21, vcc_lo, v25, v21, vcc_lo
	s_waitcnt lgkmcnt(3)
	global_store_b128 v[18:19], v[0:3], off
	s_waitcnt lgkmcnt(2)
	global_store_b128 v[22:23], v[4:7], off
	;; [unrolled: 2-line block ×4, first 2 shown]
	s_nop 0
	s_sendmsg sendmsg(MSG_DEALLOC_VGPRS)
	s_endpgm
	.section	.rodata,"a",@progbits
	.p2align	6, 0x0
	.amdhsa_kernel _Z39paged_attention_ll4mi_QKV_mfma16_kernelIDF16_DF16_LN4vllm18Fp8KVCacheDataTypeE0EhLi32ELi64ELi256ELb1ELi8EL8MFMAType0EEvPKT_PKT0_S8_ifPKiSA_SA_iPKfiiiPfSD_PS3_PT2_iSC_SC_
		.amdhsa_group_segment_fixed_size 17472
		.amdhsa_private_segment_fixed_size 0
		.amdhsa_kernarg_size 400
		.amdhsa_user_sgpr_count 13
		.amdhsa_user_sgpr_dispatch_ptr 0
		.amdhsa_user_sgpr_queue_ptr 0
		.amdhsa_user_sgpr_kernarg_segment_ptr 1
		.amdhsa_user_sgpr_dispatch_id 0
		.amdhsa_user_sgpr_private_segment_size 0
		.amdhsa_wavefront_size32 1
		.amdhsa_uses_dynamic_stack 0
		.amdhsa_enable_private_segment 0
		.amdhsa_system_sgpr_workgroup_id_x 1
		.amdhsa_system_sgpr_workgroup_id_y 1
		.amdhsa_system_sgpr_workgroup_id_z 1
		.amdhsa_system_sgpr_workgroup_info 0
		.amdhsa_system_vgpr_workitem_id 0
		.amdhsa_next_free_vgpr 154
		.amdhsa_next_free_sgpr 39
		.amdhsa_reserve_vcc 1
		.amdhsa_float_round_mode_32 0
		.amdhsa_float_round_mode_16_64 0
		.amdhsa_float_denorm_mode_32 3
		.amdhsa_float_denorm_mode_16_64 3
		.amdhsa_dx10_clamp 1
		.amdhsa_ieee_mode 1
		.amdhsa_fp16_overflow 0
		.amdhsa_workgroup_processor_mode 1
		.amdhsa_memory_ordered 1
		.amdhsa_forward_progress 0
		.amdhsa_shared_vgpr_count 0
		.amdhsa_exception_fp_ieee_invalid_op 0
		.amdhsa_exception_fp_denorm_src 0
		.amdhsa_exception_fp_ieee_div_zero 0
		.amdhsa_exception_fp_ieee_overflow 0
		.amdhsa_exception_fp_ieee_underflow 0
		.amdhsa_exception_fp_ieee_inexact 0
		.amdhsa_exception_int_div_zero 0
	.end_amdhsa_kernel
	.section	.text._Z39paged_attention_ll4mi_QKV_mfma16_kernelIDF16_DF16_LN4vllm18Fp8KVCacheDataTypeE0EhLi32ELi64ELi256ELb1ELi8EL8MFMAType0EEvPKT_PKT0_S8_ifPKiSA_SA_iPKfiiiPfSD_PS3_PT2_iSC_SC_,"axG",@progbits,_Z39paged_attention_ll4mi_QKV_mfma16_kernelIDF16_DF16_LN4vllm18Fp8KVCacheDataTypeE0EhLi32ELi64ELi256ELb1ELi8EL8MFMAType0EEvPKT_PKT0_S8_ifPKiSA_SA_iPKfiiiPfSD_PS3_PT2_iSC_SC_,comdat
.Lfunc_end121:
	.size	_Z39paged_attention_ll4mi_QKV_mfma16_kernelIDF16_DF16_LN4vllm18Fp8KVCacheDataTypeE0EhLi32ELi64ELi256ELb1ELi8EL8MFMAType0EEvPKT_PKT0_S8_ifPKiSA_SA_iPKfiiiPfSD_PS3_PT2_iSC_SC_, .Lfunc_end121-_Z39paged_attention_ll4mi_QKV_mfma16_kernelIDF16_DF16_LN4vllm18Fp8KVCacheDataTypeE0EhLi32ELi64ELi256ELb1ELi8EL8MFMAType0EEvPKT_PKT0_S8_ifPKiSA_SA_iPKfiiiPfSD_PS3_PT2_iSC_SC_
                                        ; -- End function
	.section	.AMDGPU.csdata,"",@progbits
; Kernel info:
; codeLenInByte = 7200
; NumSgprs: 41
; NumVgprs: 154
; ScratchSize: 0
; MemoryBound: 0
; FloatMode: 240
; IeeeMode: 1
; LDSByteSize: 17472 bytes/workgroup (compile time only)
; SGPRBlocks: 5
; VGPRBlocks: 19
; NumSGPRsForWavesPerEU: 41
; NumVGPRsForWavesPerEU: 154
; Occupancy: 9
; WaveLimiterHint : 1
; COMPUTE_PGM_RSRC2:SCRATCH_EN: 0
; COMPUTE_PGM_RSRC2:USER_SGPR: 13
; COMPUTE_PGM_RSRC2:TRAP_HANDLER: 0
; COMPUTE_PGM_RSRC2:TGID_X_EN: 1
; COMPUTE_PGM_RSRC2:TGID_Y_EN: 1
; COMPUTE_PGM_RSRC2:TGID_Z_EN: 1
; COMPUTE_PGM_RSRC2:TIDIG_COMP_CNT: 0
	.section	.text._Z39paged_attention_ll4mi_QKV_mfma16_kernelIDF16_DF16_LN4vllm18Fp8KVCacheDataTypeE0EhLi32ELi64ELi256ELb1ELi9EL8MFMAType0EEvPKT_PKT0_S8_ifPKiSA_SA_iPKfiiiPfSD_PS3_PT2_iSC_SC_,"axG",@progbits,_Z39paged_attention_ll4mi_QKV_mfma16_kernelIDF16_DF16_LN4vllm18Fp8KVCacheDataTypeE0EhLi32ELi64ELi256ELb1ELi9EL8MFMAType0EEvPKT_PKT0_S8_ifPKiSA_SA_iPKfiiiPfSD_PS3_PT2_iSC_SC_,comdat
	.protected	_Z39paged_attention_ll4mi_QKV_mfma16_kernelIDF16_DF16_LN4vllm18Fp8KVCacheDataTypeE0EhLi32ELi64ELi256ELb1ELi9EL8MFMAType0EEvPKT_PKT0_S8_ifPKiSA_SA_iPKfiiiPfSD_PS3_PT2_iSC_SC_ ; -- Begin function _Z39paged_attention_ll4mi_QKV_mfma16_kernelIDF16_DF16_LN4vllm18Fp8KVCacheDataTypeE0EhLi32ELi64ELi256ELb1ELi9EL8MFMAType0EEvPKT_PKT0_S8_ifPKiSA_SA_iPKfiiiPfSD_PS3_PT2_iSC_SC_
	.globl	_Z39paged_attention_ll4mi_QKV_mfma16_kernelIDF16_DF16_LN4vllm18Fp8KVCacheDataTypeE0EhLi32ELi64ELi256ELb1ELi9EL8MFMAType0EEvPKT_PKT0_S8_ifPKiSA_SA_iPKfiiiPfSD_PS3_PT2_iSC_SC_
	.p2align	8
	.type	_Z39paged_attention_ll4mi_QKV_mfma16_kernelIDF16_DF16_LN4vllm18Fp8KVCacheDataTypeE0EhLi32ELi64ELi256ELb1ELi9EL8MFMAType0EEvPKT_PKT0_S8_ifPKiSA_SA_iPKfiiiPfSD_PS3_PT2_iSC_SC_,@function
_Z39paged_attention_ll4mi_QKV_mfma16_kernelIDF16_DF16_LN4vllm18Fp8KVCacheDataTypeE0EhLi32ELi64ELi256ELb1ELi9EL8MFMAType0EEvPKT_PKT0_S8_ifPKiSA_SA_iPKfiiiPfSD_PS3_PT2_iSC_SC_: ; @_Z39paged_attention_ll4mi_QKV_mfma16_kernelIDF16_DF16_LN4vllm18Fp8KVCacheDataTypeE0EhLi32ELi64ELi256ELb1ELi9EL8MFMAType0EEvPKT_PKT0_S8_ifPKiSA_SA_iPKfiiiPfSD_PS3_PT2_iSC_SC_
; %bb.0:
	s_load_b64 s[2:3], s[0:1], 0x30
	s_mov_b32 s34, s13
	s_waitcnt lgkmcnt(0)
	s_cmp_lg_u64 s[2:3], 0
	s_cselect_b32 s6, -1, 0
	s_ashr_i32 s35, s13, 31
	s_cmp_eq_u64 s[2:3], 0
	s_cbranch_scc1 .LBB122_3
; %bb.1:
	s_lshl_b64 s[4:5], s[34:35], 2
	s_delay_alu instid0(SALU_CYCLE_1) | instskip(SKIP_4) | instid1(SALU_CYCLE_1)
	s_add_u32 s4, s2, s4
	s_addc_u32 s5, s3, s5
	s_load_b64 s[4:5], s[4:5], 0x0
	s_waitcnt lgkmcnt(0)
	s_sub_i32 s4, s5, s4
	s_cmp_eq_u32 s4, 1
	s_cselect_b32 s4, -1, 0
	s_delay_alu instid0(SALU_CYCLE_1)
	s_and_not1_b32 vcc_lo, exec_lo, s4
	s_cbranch_vccz .LBB122_4
.LBB122_2:
	s_nop 0
	s_sendmsg sendmsg(MSG_DEALLOC_VGPRS)
	s_endpgm
.LBB122_3:
.LBB122_4:
	s_load_b64 s[8:9], s[0:1], 0x28
	s_lshl_b64 s[4:5], s[34:35], 2
	s_waitcnt lgkmcnt(0)
	s_add_u32 s8, s8, s4
	s_addc_u32 s9, s9, s5
	s_lshl_b32 s16, s14, 8
	s_load_b32 s18, s[8:9], 0x0
	s_waitcnt lgkmcnt(0)
	s_cmp_ge_i32 s16, s18
	s_cbranch_scc1 .LBB122_2
; %bb.5:
	s_and_not1_b32 vcc_lo, exec_lo, s6
	s_cbranch_vccnz .LBB122_7
; %bb.6:
	s_add_u32 s2, s2, s4
	s_addc_u32 s3, s3, s5
	s_load_b32 s17, s[2:3], 0x0
	s_branch .LBB122_8
.LBB122_7:
	s_mov_b32 s17, s34
.LBB122_8:
	s_clause 0x2
	s_load_b128 s[8:11], s[0:1], 0x8
	s_load_b64 s[12:13], s[0:1], 0x20
	s_load_b128 s[4:7], s[0:1], 0x48
	v_lshrrev_b32_e32 v78, 5, v0
	v_bfe_u32 v75, v0, 4, 1
	v_and_b32_e32 v77, 15, v0
	s_delay_alu instid0(VALU_DEP_2) | instskip(NEXT) | instid1(VALU_DEP_2)
	v_lshl_or_b32 v3, v78, 1, v75
	v_cmp_lt_u32_e64 s3, 7, v77
	v_lshlrev_b32_e32 v1, 3, v77
	v_cmp_gt_u32_e64 s2, 8, v77
	s_delay_alu instid0(VALU_DEP_4) | instskip(NEXT) | instid1(VALU_DEP_4)
	v_cmp_lt_u32_e32 vcc_lo, 8, v3
	s_or_b32 s3, s3, vcc_lo
	s_waitcnt lgkmcnt(0)
	s_and_saveexec_b32 s7, s3
	s_delay_alu instid0(SALU_CYCLE_1)
	s_xor_b32 s3, exec_lo, s7
; %bb.9:
	v_mov_b32_e32 v2, 0
                                        ; implicit-def: $vgpr3
; %bb.10:
	s_or_saveexec_b32 s3, s3
	v_and_b32_e32 v80, 31, v0
	v_and_b32_e32 v76, 1, v0
	s_mul_i32 s33, s15, 9
	s_xor_b32 exec_lo, exec_lo, s3
	s_cbranch_execz .LBB122_12
; %bb.11:
	s_load_b64 s[20:21], s[0:1], 0x0
	v_add_lshl_u32 v4, v3, s33, 6
	s_mul_hi_i32 s23, s17, s4
	s_mul_i32 s22, s17, s4
	v_lshlrev_b32_e32 v2, 1, v1
	s_lshl_b64 s[22:23], s[22:23], 1
	v_ashrrev_i32_e32 v5, 31, v4
	v_lshlrev_b32_e32 v3, 6, v3
	v_lshlrev_b32_e32 v8, 10, v76
	s_delay_alu instid0(VALU_DEP_3) | instskip(SKIP_3) | instid1(VALU_DEP_1)
	v_lshlrev_b64 v[4:5], 1, v[4:5]
	s_waitcnt lgkmcnt(0)
	s_add_u32 s4, s20, s22
	s_addc_u32 s7, s21, s23
	v_add_co_u32 v4, vcc_lo, s4, v4
	s_delay_alu instid0(VALU_DEP_2) | instskip(NEXT) | instid1(VALU_DEP_2)
	v_add_co_ci_u32_e32 v5, vcc_lo, s7, v5, vcc_lo
	v_add_co_u32 v4, vcc_lo, v4, v2
	s_delay_alu instid0(VALU_DEP_2) | instskip(SKIP_3) | instid1(VALU_DEP_1)
	v_add_co_ci_u32_e32 v5, vcc_lo, 0, v5, vcc_lo
	v_lshlrev_b32_e32 v2, 10, v77
	global_load_b128 v[4:7], v[4:5], off
	v_and_b32_e32 v2, 0x3800, v2
	v_or3_b32 v3, v2, v8, v3
	v_mov_b32_e32 v2, 0
	s_waitcnt vmcnt(0)
	ds_store_b128 v3, v[4:7]
.LBB122_12:
	s_or_b32 exec_lo, exec_lo, s3
	v_and_b32_e32 v3, 0xef, v0
	s_add_i32 s3, s18, 31
	s_clause 0x1
	s_load_b32 s4, s[0:1], 0x38
	s_load_b32 s35, s[0:1], 0x98
	s_ashr_i32 s7, s3, 31
	v_add_nc_u32_e32 v3, s16, v3
	s_lshr_b32 s7, s7, 27
	s_load_b32 s19, s[0:1], 0x1c
	s_add_i32 s3, s3, s7
	s_waitcnt lgkmcnt(0)
	v_ashrrev_i32_e32 v4, 31, v3
	v_cmp_gt_i32_e32 vcc_lo, s18, v3
	s_ashr_i32 s3, s3, 5
	s_barrier
	s_add_i32 s3, s3, -1
	v_lshrrev_b32_e32 v5, 27, v4
	v_or_b32_e32 v4, 16, v3
	buffer_gl0_inv
	s_mul_i32 s6, s15, s6
	v_lshlrev_b64 v[73:74], 1, v[1:2]
	v_add_nc_u32_e32 v6, v3, v5
	v_add_nc_u32_e32 v5, v4, v5
	s_mul_i32 s20, s34, s4
	s_delay_alu instid0(SALU_CYCLE_1) | instskip(NEXT) | instid1(VALU_DEP_2)
	s_ashr_i32 s21, s20, 31
	v_ashrrev_i32_e32 v6, 5, v6
	s_delay_alu instid0(VALU_DEP_2) | instskip(SKIP_1) | instid1(SALU_CYCLE_1)
	v_ashrrev_i32_e32 v5, 5, v5
	s_lshl_b64 s[20:21], s[20:21], 2
	s_add_u32 s4, s12, s20
	s_delay_alu instid0(VALU_DEP_2) | instskip(SKIP_3) | instid1(SALU_CYCLE_1)
	v_cndmask_b32_e32 v3, s3, v6, vcc_lo
	v_cmp_gt_i32_e32 vcc_lo, s18, v4
	s_addc_u32 s17, s13, s21
	s_ashr_i32 s7, s6, 31
	s_lshl_b64 s[6:7], s[6:7], 1
	v_cndmask_b32_e32 v5, s3, v5, vcc_lo
	v_ashrrev_i32_e32 v4, 31, v3
	s_add_u32 s15, s8, s6
	s_addc_u32 s28, s9, s7
	s_lshl_b32 s8, s14, 3
	v_ashrrev_i32_e32 v6, 31, v5
	v_lshlrev_b64 v[3:4], 2, v[3:4]
	s_ashr_i32 s9, s8, 31
	s_delay_alu instid0(SALU_CYCLE_1) | instskip(NEXT) | instid1(VALU_DEP_2)
	s_lshl_b64 s[8:9], s[8:9], 2
	v_lshlrev_b64 v[5:6], 2, v[5:6]
	s_add_u32 s8, s4, s8
	s_delay_alu instid0(VALU_DEP_2) | instskip(SKIP_1) | instid1(VALU_DEP_3)
	v_add_co_u32 v3, vcc_lo, s4, v3
	v_add_co_ci_u32_e32 v4, vcc_lo, s17, v4, vcc_lo
	v_add_co_u32 v5, vcc_lo, s4, v5
	s_delay_alu instid0(VALU_DEP_4)
	v_add_co_ci_u32_e32 v6, vcc_lo, s17, v6, vcc_lo
	s_addc_u32 s9, s17, s9
	s_clause 0x1
	global_load_b32 v7, v[3:4], off
	global_load_b32 v8, v[5:6], off
	s_or_b32 s12, s16, 32
	s_delay_alu instid0(SALU_CYCLE_1) | instskip(SKIP_2) | instid1(SALU_CYCLE_1)
	s_ashr_i32 s13, s12, 5
	s_cmp_lt_i32 s12, s18
	s_cselect_b32 s12, s13, s3
	s_ashr_i32 s13, s12, 31
	s_delay_alu instid0(SALU_CYCLE_1) | instskip(NEXT) | instid1(SALU_CYCLE_1)
	s_lshl_b64 s[12:13], s[12:13], 2
	s_add_u32 s12, s4, s12
	s_addc_u32 s13, s17, s13
	s_or_b32 s20, s16, 64
	s_delay_alu instid0(SALU_CYCLE_1) | instskip(SKIP_2) | instid1(SALU_CYCLE_1)
	s_ashr_i32 s21, s20, 5
	s_cmp_lt_i32 s20, s18
	s_cselect_b32 s20, s21, s3
	s_ashr_i32 s21, s20, 31
	s_delay_alu instid0(SALU_CYCLE_1) | instskip(NEXT) | instid1(SALU_CYCLE_1)
	s_lshl_b64 s[20:21], s[20:21], 2
	s_add_u32 s20, s4, s20
	s_addc_u32 s21, s17, s21
	;; [unrolled: 10-line block ×5, first 2 shown]
	s_clause 0x5
	s_load_b32 s29, s[8:9], 0x0
	s_load_b32 s30, s[12:13], 0x0
	;; [unrolled: 1-line block ×6, first 2 shown]
	s_mov_b32 s20, 0
	s_or_b32 s8, s16, 0xc0
	s_mov_b32 s21, s20
	s_mov_b32 s22, s20
	;; [unrolled: 1-line block ×7, first 2 shown]
	s_ashr_i32 s9, s8, 5
	v_mov_b32_e32 v128, s27
	s_cmp_lt_i32 s8, s18
	v_mov_b32_e32 v127, s26
	s_cselect_b32 s8, s9, s3
	v_mov_b32_e32 v126, s25
	s_ashr_i32 s9, s8, 31
	v_mov_b32_e32 v125, s24
	s_lshl_b64 s[8:9], s[8:9], 2
	v_mov_b32_e32 v124, s23
	s_add_u32 s8, s4, s8
	s_addc_u32 s9, s17, s9
	v_mov_b32_e32 v123, s22
	v_mov_b32_e32 v121, s20
	s_waitcnt lgkmcnt(0)
	s_mul_hi_i32 s13, s29, s5
	s_mul_i32 s12, s29, s5
	v_mov_b32_e32 v122, s21
	s_mul_hi_i32 s21, s30, s5
	s_mul_i32 s20, s30, s5
	s_mul_hi_i32 s25, s31, s5
	s_mul_i32 s24, s31, s5
	;; [unrolled: 2-line block ×4, first 2 shown]
	s_waitcnt vmcnt(1)
	v_mad_i64_i32 v[3:4], null, v7, s5, 0
	s_waitcnt vmcnt(0)
	v_mad_i64_i32 v[5:6], null, v8, s5, 0
	s_delay_alu instid0(VALU_DEP_2) | instskip(NEXT) | instid1(VALU_DEP_2)
	v_lshlrev_b64 v[3:4], 1, v[3:4]
	v_lshlrev_b64 v[1:2], 1, v[5:6]
	s_delay_alu instid0(VALU_DEP_2) | instskip(NEXT) | instid1(VALU_DEP_3)
	v_add_co_u32 v3, vcc_lo, s15, v3
	v_add_co_ci_u32_e32 v4, vcc_lo, s28, v4, vcc_lo
	s_delay_alu instid0(VALU_DEP_3) | instskip(NEXT) | instid1(VALU_DEP_4)
	v_add_co_u32 v1, vcc_lo, s15, v1
	v_add_co_ci_u32_e32 v2, vcc_lo, s28, v2, vcc_lo
	s_delay_alu instid0(VALU_DEP_4) | instskip(NEXT) | instid1(VALU_DEP_4)
	v_add_co_u32 v25, vcc_lo, v3, v73
	v_add_co_ci_u32_e32 v26, vcc_lo, v4, v74, vcc_lo
	s_delay_alu instid0(VALU_DEP_4) | instskip(NEXT) | instid1(VALU_DEP_4)
	v_add_co_u32 v27, vcc_lo, v1, v73
	v_add_co_ci_u32_e32 v28, vcc_lo, v2, v74, vcc_lo
	s_clause 0xf
	global_load_b128 v[1:4], v[25:26], off
	global_load_b128 v[5:8], v[25:26], off offset:512
	global_load_b128 v[9:12], v[27:28], off offset:256
	;; [unrolled: 1-line block ×15, first 2 shown]
	v_add_nc_u32_e32 v25, -9, v77
	v_cmp_gt_u32_e32 vcc_lo, 9, v77
	s_or_b32 s15, s16, 0xe0
	s_delay_alu instid0(SALU_CYCLE_1) | instskip(SKIP_3) | instid1(SALU_CYCLE_1)
	s_ashr_i32 s22, s15, 5
	s_cmp_lt_i32 s15, s18
	v_cndmask_b32_e32 v25, v25, v77, vcc_lo
	s_cselect_b32 s22, s22, s3
	s_ashr_i32 s23, s22, 31
	s_delay_alu instid0(VALU_DEP_1)
	v_lshlrev_b32_e32 v151, 6, v25
	ds_load_b128 v[25:28], v151
	ds_load_b128 v[29:32], v151 offset:1024
	ds_load_b128 v[129:132], v151 offset:2048
	;; [unrolled: 1-line block ×3, first 2 shown]
	s_lshl_b64 s[22:23], s[22:23], 2
	s_delay_alu instid0(SALU_CYCLE_1) | instskip(SKIP_2) | instid1(SALU_CYCLE_1)
	s_add_u32 s22, s4, s22
	s_addc_u32 s23, s17, s23
	s_add_i32 s15, s16, 0x100
	s_ashr_i32 s28, s15, 5
	s_cmp_lt_i32 s15, s18
	s_load_b32 s15, s[8:9], 0x0
	s_cselect_b32 s28, s28, s3
	s_mul_hi_i32 s9, s37, s5
	s_ashr_i32 s29, s28, 31
	s_mul_i32 s8, s37, s5
	s_lshl_b64 s[28:29], s[28:29], 2
	s_delay_alu instid0(SALU_CYCLE_1)
	s_add_u32 s28, s4, s28
	s_addc_u32 s29, s17, s29
	s_add_u32 s3, s10, s6
	s_clause 0x1
	s_load_b32 s4, s[22:23], 0x0
	s_load_b32 s17, s[28:29], 0x0
	s_addc_u32 s28, s11, s7
	s_lshl_b64 s[6:7], s[12:13], 1
	s_lshl_b64 s[10:11], s[20:21], 1
	;; [unrolled: 1-line block ×6, first 2 shown]
	s_waitcnt lgkmcnt(0)
	s_mul_hi_i32 s25, s15, s5
	s_mul_i32 s24, s15, s5
	s_delay_alu instid0(SALU_CYCLE_1)
	s_lshl_b64 s[24:25], s[24:25], 1
	s_waitcnt vmcnt(14)
	v_wmma_f32_16x16x16_f16 v[137:144], v[1:8], v[25:32], v[121:128]
	s_waitcnt vmcnt(12)
	v_wmma_f32_16x16x16_f16 v[121:128], v[9:16], v[25:32], v[121:128]
	s_waitcnt vmcnt(10)
	s_delay_alu instid0(VALU_DEP_2) | instskip(SKIP_1) | instid1(VALU_DEP_2)
	v_wmma_f32_16x16x16_f16 v[137:144], v[17:24], v[129:136], v[137:144]
	s_waitcnt vmcnt(8)
	v_wmma_f32_16x16x16_f16 v[121:128], v[81:88], v[129:136], v[121:128]
	v_mbcnt_lo_u32_b32 v130, -1, 0
	s_delay_alu instid0(VALU_DEP_1) | instskip(SKIP_1) | instid1(VALU_DEP_1)
	v_xor_b32_e32 v131, 16, v130
	v_lshlrev_b32_e32 v79, 6, v77
	v_lshl_or_b32 v33, v78, 10, v79
	s_delay_alu instid0(VALU_DEP_1) | instskip(NEXT) | instid1(VALU_DEP_1)
	v_add_co_u32 v152, s3, s3, v33
	v_add_co_ci_u32_e64 v153, null, s28, 0, s3
	s_delay_alu instid0(VALU_DEP_2) | instskip(NEXT) | instid1(VALU_DEP_2)
	v_add_co_u32 v33, vcc_lo, v152, s6
	v_add_co_ci_u32_e32 v34, vcc_lo, s7, v153, vcc_lo
	v_add_co_u32 v35, vcc_lo, v152, s10
	v_add_co_ci_u32_e32 v36, vcc_lo, s11, v153, vcc_lo
	;; [unrolled: 2-line block ×6, first 2 shown]
	s_mul_hi_i32 s7, s4, s5
	s_mul_i32 s6, s4, s5
	v_add_co_u32 v149, vcc_lo, v152, s24
	s_lshl_b64 s[6:7], s[6:7], 1
	v_add_co_ci_u32_e32 v150, vcc_lo, s25, v153, vcc_lo
	v_add_co_u32 v29, vcc_lo, v152, s6
	v_add_co_ci_u32_e32 v30, vcc_lo, s7, v153, vcc_lo
	s_mul_hi_i32 s7, s17, s5
	s_mul_i32 s6, s17, s5
	s_clause 0x7
	global_load_b128 v[65:68], v[33:34], off
	global_load_b128 v[69:72], v[33:34], off offset:16
	global_load_b128 v[57:60], v[35:36], off
	global_load_b128 v[61:64], v[35:36], off offset:16
	;; [unrolled: 2-line block ×4, first 2 shown]
	s_lshl_b64 s[4:5], s[6:7], 1
	s_clause 0x1
	global_load_b128 v[9:12], v[145:146], off
	global_load_b128 v[13:16], v[145:146], off offset:16
	v_add_co_u32 v21, vcc_lo, v152, s4
	v_add_co_ci_u32_e32 v22, vcc_lo, s5, v153, vcc_lo
	s_clause 0x7
	global_load_b128 v[1:4], v[147:148], off
	global_load_b128 v[5:8], v[147:148], off offset:16
	global_load_b128 v[33:36], v[149:150], off
	global_load_b128 v[37:40], v[149:150], off offset:16
	;; [unrolled: 2-line block ×4, first 2 shown]
	ds_load_b128 v[81:84], v151 offset:4096
	ds_load_b128 v[85:88], v151 offset:5120
	v_cmp_gt_i32_e32 vcc_lo, 32, v131
	v_cndmask_b32_e32 v130, v130, v131, vcc_lo
	s_waitcnt vmcnt(24) lgkmcnt(0)
	v_wmma_f32_16x16x16_f16 v[137:144], v[89:96], v[81:88], v[137:144]
	ds_load_b128 v[89:92], v151 offset:6144
	ds_load_b128 v[93:96], v151 offset:7168
	s_waitcnt vmcnt(22)
	v_wmma_f32_16x16x16_f16 v[121:128], v[97:104], v[81:88], v[121:128]
	s_waitcnt vmcnt(0) lgkmcnt(0)
	s_barrier
	buffer_gl0_inv
	v_wmma_f32_16x16x16_f16 v[121:128], v[113:120], v[89:96], v[121:128]
	v_and_b32_e32 v129, 0xe0, v0
	v_wmma_f32_16x16x16_f16 v[137:144], v[105:112], v[89:96], v[137:144]
	s_delay_alu instid0(VALU_DEP_2) | instskip(NEXT) | instid1(VALU_DEP_2)
	v_dual_mul_f32 v104, s19, v126 :: v_dual_add_nc_u32 v129, s16, v129
	v_dual_mul_f32 v106, s19, v124 :: v_dual_mul_f32 v95, s19, v138
	s_delay_alu instid0(VALU_DEP_3) | instskip(NEXT) | instid1(VALU_DEP_3)
	v_dual_mul_f32 v96, s19, v137 :: v_dual_mul_f32 v93, s19, v140
	v_or_b32_e32 v129, v129, v75
	v_dual_mul_f32 v94, s19, v139 :: v_dual_mul_f32 v91, s19, v142
	v_dual_mul_f32 v92, s19, v141 :: v_dual_mul_f32 v89, s19, v144
	v_mul_f32_e32 v108, s19, v122
	s_delay_alu instid0(VALU_DEP_4)
	v_or_b32_e32 v131, 2, v129
	v_or_b32_e32 v132, 4, v129
	;; [unrolled: 1-line block ×3, first 2 shown]
	v_cmp_gt_i32_e32 vcc_lo, s18, v129
	v_or_b32_e32 v82, 8, v129
	v_cmp_gt_i32_e64 s3, s18, v131
	v_or_b32_e32 v83, 10, v129
	v_cmp_gt_i32_e64 s4, s18, v132
	v_cndmask_b32_e32 v96, 0xff7fffff, v96, vcc_lo
	v_cmp_gt_i32_e64 s5, s18, v81
	v_cndmask_b32_e64 v95, 0xff7fffff, v95, s3
	v_or_b32_e32 v84, 12, v129
	v_or_b32_e32 v85, 14, v129
	v_cndmask_b32_e64 v94, 0xff7fffff, v94, s4
	v_cndmask_b32_e64 v81, 0xff7fffff, v93, s5
	v_max3_f32 v93, v96, 0xff7fffff, v95
	v_cmp_gt_i32_e64 s6, s18, v82
	v_cmp_gt_i32_e64 s7, s18, v83
	v_or_b32_e32 v86, 16, v129
	v_or_b32_e32 v87, 18, v129
	v_mul_f32_e32 v90, s19, v143
	v_cndmask_b32_e64 v82, 0xff7fffff, v92, s6
	v_cndmask_b32_e64 v83, 0xff7fffff, v91, s7
	v_max3_f32 v81, v93, v94, v81
	v_cmp_gt_i32_e64 s8, s18, v84
	v_cmp_gt_i32_e64 s9, s18, v85
	v_or_b32_e32 v88, 20, v129
	v_or_b32_e32 v97, 22, v129
	v_mul_f32_e32 v109, s19, v121
	;; [unrolled: 8-line block ×4, first 2 shown]
	v_cndmask_b32_e64 v84, 0xff7fffff, v107, s12
	v_cndmask_b32_e64 v85, 0xff7fffff, v106, s13
	v_max3_f32 v81, v81, v82, v83
	v_cmp_gt_i32_e64 s15, s18, v98
	v_cmp_gt_i32_e64 s16, s18, v99
	v_dual_mul_f32 v102, s19, v128 :: v_dual_mul_f32 v103, s19, v127
	s_delay_alu instid0(VALU_DEP_4) | instskip(NEXT) | instid1(VALU_DEP_4)
	v_max3_f32 v81, v81, v84, v85
	v_cndmask_b32_e64 v82, 0xff7fffff, v105, s15
	s_delay_alu instid0(VALU_DEP_4) | instskip(SKIP_2) | instid1(VALU_DEP_3)
	v_cndmask_b32_e64 v83, 0xff7fffff, v104, s16
	v_cmp_gt_i32_e64 s17, s18, v100
	v_cmp_gt_i32_e64 s18, s18, v101
	v_max3_f32 v81, v81, v82, v83
	s_delay_alu instid0(VALU_DEP_3) | instskip(NEXT) | instid1(VALU_DEP_3)
	v_cndmask_b32_e64 v84, 0xff7fffff, v103, s17
	v_cndmask_b32_e64 v85, 0xff7fffff, v102, s18
	v_lshlrev_b32_e32 v83, 2, v130
	s_delay_alu instid0(VALU_DEP_2) | instskip(SKIP_3) | instid1(VALU_DEP_1)
	v_max3_f32 v81, v81, v84, v85
	ds_bpermute_b32 v82, v83, v81
	s_waitcnt lgkmcnt(0)
	v_max_f32_e32 v82, v82, v82
	v_max_f32_e32 v81, v81, v82
	s_delay_alu instid0(VALU_DEP_1)
	v_fma_f32 v82, s19, v137, -v81
	v_fma_f32 v84, s19, v138, -v81
	;; [unrolled: 1-line block ×5, first 2 shown]
	v_mul_f32_e32 v82, 0x3fb8aa3b, v82
	s_delay_alu instid0(VALU_DEP_4) | instskip(NEXT) | instid1(VALU_DEP_3)
	v_dual_mul_f32 v84, 0x3fb8aa3b, v84 :: v_dual_mul_f32 v85, 0x3fb8aa3b, v85
	v_dual_mul_f32 v86, 0x3fb8aa3b, v86 :: v_dual_mul_f32 v89, 0x3fb8aa3b, v87
	s_delay_alu instid0(VALU_DEP_3) | instskip(NEXT) | instid1(VALU_DEP_2)
	v_exp_f32_e32 v82, v82
	v_exp_f32_e32 v84, v84
	s_delay_alu instid0(VALU_DEP_2) | instskip(NEXT) | instid1(VALU_DEP_1)
	v_exp_f32_e32 v85, v85
	v_exp_f32_e32 v86, v86
	;; [unrolled: 1-line block ×3, first 2 shown]
	v_cndmask_b32_e32 v88, 0, v82, vcc_lo
	v_cndmask_b32_e64 v87, 0, v84, s3
	s_delay_alu instid0(TRANS32_DEP_3)
	v_cndmask_b32_e64 v90, 0, v85, s4
	s_waitcnt_depctr 0xfff
	v_cndmask_b32_e64 v89, 0, v86, s5
	v_cndmask_b32_e64 v92, 0, v92, s6
	v_add_f32_e32 v84, 0, v88
	v_cmp_gt_u32_e64 s3, 16, v80
	s_delay_alu instid0(VALU_DEP_2) | instskip(NEXT) | instid1(VALU_DEP_1)
	v_add_f32_e32 v84, v84, v87
	v_add_f32_e32 v84, v84, v90
	s_delay_alu instid0(VALU_DEP_1)
	v_add_f32_e32 v84, v84, v89
	v_fma_f32 v82, s19, v142, -v81
	v_fma_f32 v91, s19, v143, -v81
	;; [unrolled: 1-line block ×5, first 2 shown]
	s_delay_alu instid0(VALU_DEP_4) | instskip(SKIP_1) | instid1(VALU_DEP_4)
	v_dual_mul_f32 v82, 0x3fb8aa3b, v82 :: v_dual_mul_f32 v91, 0x3fb8aa3b, v91
	v_fma_f32 v96, s19, v124, -v81
	v_mul_f32_e32 v86, 0x3fb8aa3b, v86
	s_delay_alu instid0(VALU_DEP_4) | instskip(NEXT) | instid1(VALU_DEP_4)
	v_mul_f32_e32 v95, 0x3fb8aa3b, v94
	v_exp_f32_e32 v82, v82
	v_exp_f32_e32 v93, v91
	v_mul_f32_e32 v97, 0x3fb8aa3b, v96
	v_exp_f32_e32 v86, v86
	v_fma_f32 v99, s19, v127, -v81
	s_delay_alu instid0(VALU_DEP_2) | instskip(SKIP_2) | instid1(TRANS32_DEP_3)
	v_exp_f32_e32 v97, v97
	v_cndmask_b32_e64 v91, 0, v82, s7
	v_dual_add_f32 v82, v84, v92 :: v_dual_mul_f32 v85, 0x3fb8aa3b, v85
	v_cndmask_b32_e64 v94, 0, v93, s8
	v_fma_f32 v84, s19, v123, -v81
	s_delay_alu instid0(TRANS32_DEP_2) | instskip(NEXT) | instid1(VALU_DEP_4)
	v_cndmask_b32_e64 v96, 0, v86, s10
	v_add_f32_e32 v82, v82, v91
	v_exp_f32_e32 v85, v85
	v_fma_f32 v86, s19, v126, -v81
	v_mul_f32_e32 v84, 0x3fb8aa3b, v84
	v_cndmask_b32_e64 v97, 0, v97, s13
	v_add_f32_e32 v82, v82, v94
	s_delay_alu instid0(VALU_DEP_3) | instskip(SKIP_3) | instid1(VALU_DEP_2)
	v_exp_f32_e32 v84, v84
	s_waitcnt_depctr 0xfff
	v_cndmask_b32_e64 v93, 0, v85, s9
	v_fma_f32 v85, s19, v125, -v81
	v_add_f32_e32 v82, v82, v93
	v_exp_f32_e32 v95, v95
	s_delay_alu instid0(VALU_DEP_2)
	v_mul_f32_e32 v85, 0x3fb8aa3b, v85
	v_cndmask_b32_e64 v98, 0, v84, s12
	v_mul_f32_e32 v84, 0x3fb8aa3b, v99
	v_add_f32_e32 v82, v82, v96
	v_fma_f32 v99, s19, v128, -v81
	v_exp_f32_e32 v85, v85
	v_mul_f32_e32 v86, 0x3fb8aa3b, v86
	v_exp_f32_e32 v84, v84
	s_delay_alu instid0(TRANS32_DEP_3) | instskip(NEXT) | instid1(VALU_DEP_1)
	v_cndmask_b32_e64 v95, 0, v95, s11
	v_add_f32_e32 v82, v82, v95
	s_waitcnt_depctr 0xfff
	v_cndmask_b32_e64 v100, 0, v85, s15
	v_mul_f32_e32 v85, 0x3fb8aa3b, v99
	v_exp_f32_e32 v86, v86
	v_cndmask_b32_e64 v102, 0, v84, s17
	v_add_f32_e32 v82, v82, v98
	s_delay_alu instid0(VALU_DEP_3) | instskip(NEXT) | instid1(VALU_DEP_1)
	v_exp_f32_e32 v85, v85
	v_add_f32_e32 v82, v82, v97
	s_waitcnt_depctr 0xfff
	v_cndmask_b32_e64 v99, 0, v86, s16
	v_add_f32_e32 v82, v82, v100
	v_cndmask_b32_e64 v101, 0, v85, s18
	s_delay_alu instid0(VALU_DEP_2) | instskip(NEXT) | instid1(VALU_DEP_1)
	v_add_f32_e32 v82, v82, v99
	v_add_f32_e32 v82, v82, v102
	s_delay_alu instid0(VALU_DEP_1)
	v_add_f32_e32 v82, v82, v101
	ds_bpermute_b32 v83, v83, v82
	s_and_saveexec_b32 s4, s3
	s_cbranch_execz .LBB122_14
; %bb.13:
	v_mul_u32_u24_e32 v80, 0x44, v78
	s_waitcnt lgkmcnt(0)
	v_add_f32_e32 v82, v82, v83
	s_delay_alu instid0(VALU_DEP_2) | instskip(NEXT) | instid1(VALU_DEP_1)
	v_lshl_add_u32 v80, v77, 2, v80
	v_add_nc_u32_e32 v80, 0x4000, v80
	ds_store_2addr_b32 v80, v81, v82 offset1:136
.LBB122_14:
	s_or_b32 exec_lo, exec_lo, s4
	v_lshlrev_b32_e32 v80, 2, v77
	s_load_b32 s36, s[0:1], 0x94
	s_waitcnt lgkmcnt(0)
	s_barrier
	buffer_gl0_inv
	v_add_nc_u32_e32 v84, 0x4000, v80
	v_cmp_eq_u32_e32 vcc_lo, 1, v78
	v_cmp_eq_u32_e64 s4, 2, v78
	v_cmp_eq_u32_e64 s5, 3, v78
	;; [unrolled: 1-line block ×3, first 2 shown]
	ds_load_2addr_b32 v[80:81], v84 offset1:17
	ds_load_2addr_b32 v[82:83], v84 offset0:34 offset1:51
	ds_load_2addr_b32 v[103:104], v84 offset0:68 offset1:85
	;; [unrolled: 1-line block ×3, first 2 shown]
	v_cmp_eq_u32_e64 s7, 7, v78
	s_waitcnt lgkmcnt(3)
	v_max3_f32 v85, v80, 0xff7fffff, v81
	s_waitcnt lgkmcnt(2)
	s_delay_alu instid0(VALU_DEP_1) | instskip(SKIP_1) | instid1(VALU_DEP_1)
	v_max3_f32 v85, v85, v82, v83
	s_waitcnt lgkmcnt(1)
	v_max3_f32 v85, v85, v103, v104
	s_waitcnt lgkmcnt(0)
	s_delay_alu instid0(VALU_DEP_1) | instskip(NEXT) | instid1(VALU_DEP_1)
	v_max3_f32 v85, v85, v105, v106
	v_sub_f32_e32 v103, v103, v85
	ds_load_2addr_b32 v[107:108], v84 offset0:136 offset1:153
	v_sub_f32_e32 v80, v80, v85
	v_dual_sub_f32 v110, v83, v85 :: v_dual_mul_f32 v113, 0x3fb8aa3b, v103
	s_delay_alu instid0(VALU_DEP_2) | instskip(SKIP_3) | instid1(VALU_DEP_1)
	v_dual_sub_f32 v86, v81, v85 :: v_dual_mul_f32 v109, 0x3fb8aa3b, v80
	ds_load_2addr_b32 v[80:81], v84 offset0:170 offset1:187
	v_mul_f32_e32 v86, 0x3fb8aa3b, v86
	v_exp_f32_e32 v109, v109
	v_exp_f32_e32 v112, v86
	v_mul_f32_e32 v110, 0x3fb8aa3b, v110
	s_waitcnt lgkmcnt(1)
	s_waitcnt_depctr 0xfff
	v_fma_f32 v86, v109, v107, 0
	v_sub_f32_e32 v107, v104, v85
	v_sub_f32_e32 v82, v82, v85
	v_exp_f32_e32 v110, v110
	ds_load_2addr_b32 v[103:104], v84 offset0:238 offset1:255
	v_dual_fmac_f32 v86, v112, v108 :: v_dual_mul_f32 v111, 0x3fb8aa3b, v82
	ds_load_2addr_b32 v[82:83], v84 offset0:204 offset1:221
	v_dual_sub_f32 v84, v105, v85 :: v_dual_mul_f32 v105, 0x3fb8aa3b, v107
	v_exp_f32_e32 v107, v113
	v_exp_f32_e32 v111, v111
	s_waitcnt lgkmcnt(0)
	s_delay_alu instid0(VALU_DEP_1)
	v_mul_f32_e32 v84, 0x3fb8aa3b, v84
	v_exp_f32_e32 v105, v105
	s_barrier
	buffer_gl0_inv
	v_fmac_f32_e32 v86, v111, v80
	v_sub_f32_e32 v80, v106, v85
	v_exp_f32_e32 v106, v84
	s_delay_alu instid0(VALU_DEP_2) | instskip(NEXT) | instid1(VALU_DEP_2)
	v_fmac_f32_e32 v86, v110, v81
	v_mul_f32_e32 v80, 0x3fb8aa3b, v80
	s_delay_alu instid0(VALU_DEP_2) | instskip(NEXT) | instid1(VALU_DEP_2)
	v_dual_cndmask_b32 v81, v109, v112 :: v_dual_fmac_f32 v86, v107, v82
	v_exp_f32_e32 v108, v80
	s_delay_alu instid0(VALU_DEP_1) | instskip(SKIP_2) | instid1(VALU_DEP_1)
	v_fmac_f32_e32 v86, v105, v83
	s_waitcnt_depctr 0xfff
	v_fmac_f32_e32 v86, v106, v103
	v_fmac_f32_e32 v86, v108, v104
	s_delay_alu instid0(VALU_DEP_1) | instskip(NEXT) | instid1(VALU_DEP_1)
	v_add_f32_e32 v103, 0x358637bd, v86
	v_div_scale_f32 v104, null, v103, v103, 1.0
	v_div_scale_f32 v109, vcc_lo, 1.0, v103, 1.0
	s_delay_alu instid0(VALU_DEP_2) | instskip(SKIP_2) | instid1(VALU_DEP_1)
	v_rcp_f32_e32 v113, v104
	s_waitcnt_depctr 0xfff
	v_fma_f32 v80, -v104, v113, 1.0
	v_fmac_f32_e32 v113, v80, v113
	v_cndmask_b32_e64 v80, v81, v111, s4
	v_cmp_eq_u32_e64 s4, 4, v78
	v_lshl_or_b32 v81, v78, 11, v79
	s_delay_alu instid0(VALU_DEP_4) | instskip(NEXT) | instid1(VALU_DEP_4)
	v_mul_f32_e32 v111, v109, v113
	v_cndmask_b32_e64 v82, v80, v110, s5
	v_cmp_eq_u32_e64 s5, 6, v78
	s_delay_alu instid0(VALU_DEP_4) | instskip(SKIP_3) | instid1(VALU_DEP_3)
	v_lshl_or_b32 v78, v75, 4, v81
	v_lshlrev_b32_e32 v80, 2, v75
	v_fma_f32 v83, -v104, v111, v109
	v_cndmask_b32_e64 v84, v82, v107, s4
	v_or_b32_e32 v82, 1, v80
	s_delay_alu instid0(VALU_DEP_3) | instskip(NEXT) | instid1(VALU_DEP_3)
	v_fmac_f32_e32 v111, v83, v113
	v_cndmask_b32_e64 v105, v84, v105, s6
	v_or_b32_e32 v84, 2, v80
	v_or_b32_e32 v83, 3, v80
	v_cmp_eq_u32_e64 s4, 1, v80
	v_fma_f32 v104, -v104, v111, v109
	v_cndmask_b32_e64 v105, v105, v106, s5
	v_cmp_eq_u32_e64 s10, 1, v82
	v_cmp_eq_u32_e64 s11, 1, v84
	;; [unrolled: 1-line block ×3, first 2 shown]
	v_div_fmas_f32 v104, v104, v113, v111
	v_cndmask_b32_e64 v105, v105, v108, s7
	v_cmp_eq_u32_e32 vcc_lo, 2, v80
	v_cmp_eq_u32_e64 s13, 2, v82
	v_cmp_eq_u32_e64 s16, 2, v84
	v_div_fixup_f32 v103, v104, v103, 1.0
	v_cmp_eq_u32_e64 s17, 2, v83
	v_cmp_eq_u32_e64 s19, 3, v83
	;; [unrolled: 1-line block ×4, first 2 shown]
	v_mul_f32_e32 v111, v105, v103
	v_cmp_eq_u32_e64 s18, 3, v84
	v_cmp_eq_u32_e64 s23, 4, v83
	;; [unrolled: 1-line block ×4, first 2 shown]
	v_fma_mixlo_f16 v103, v111, v88, 0
	v_fma_mixlo_f16 v104, v111, v90, 0
	;; [unrolled: 1-line block ×8, first 2 shown]
	v_fma_mixhi_f16 v103, v111, v87, 0
	v_fma_mixhi_f16 v104, v111, v89, 0
	;; [unrolled: 1-line block ×8, first 2 shown]
	ds_store_b128 v78, v[103:106]
	ds_store_b128 v78, v[107:110] offset:1024
	s_waitcnt lgkmcnt(0)
	s_barrier
	buffer_gl0_inv
	ds_load_b128 v[87:90], v81
	ds_load_b128 v[91:94], v81 offset:16
	ds_load_b128 v[95:98], v81 offset:1024
	;; [unrolled: 1-line block ×3, first 2 shown]
	v_cmp_eq_u32_e64 s22, 4, v84
	v_cmp_eq_u32_e64 s25, 5, v83
	;; [unrolled: 1-line block ×13, first 2 shown]
	s_waitcnt lgkmcnt(3)
	v_lshrrev_b32_e32 v103, 16, v87
	s_waitcnt lgkmcnt(2)
	v_lshrrev_b32_e32 v107, 16, v91
	;; [unrolled: 2-line block ×4, first 2 shown]
	v_lshrrev_b32_e32 v104, 16, v88
	v_cndmask_b32_e64 v119, v87, v103, s4
	v_cndmask_b32_e64 v120, v91, v107, s4
	;; [unrolled: 1-line block ×8, first 2 shown]
	v_lshrrev_b32_e32 v108, 16, v92
	v_cndmask_b32_e64 v103, v95, v111, s4
	v_cndmask_b32_e64 v107, v99, v115, s4
	v_cndmask_b32_e64 v125, v95, v111, s10
	v_cndmask_b32_e64 v127, v95, v111, s11
	v_cndmask_b32_e64 v95, v95, v111, s12
	v_cndmask_b32_e32 v111, v119, v88, vcc_lo
	v_cndmask_b32_e64 v119, v121, v88, s13
	v_cndmask_b32_e64 v121, v123, v88, s16
	;; [unrolled: 1-line block ×4, first 2 shown]
	v_lshrrev_b32_e32 v112, 16, v96
	v_lshrrev_b32_e32 v116, 16, v100
	v_cndmask_b32_e64 v126, v99, v115, s10
	v_cndmask_b32_e64 v128, v99, v115, s11
	;; [unrolled: 1-line block ×3, first 2 shown]
	v_cndmask_b32_e32 v115, v120, v92, vcc_lo
	v_cndmask_b32_e64 v120, v122, v92, s13
	v_cndmask_b32_e64 v122, v124, v92, s16
	v_cndmask_b32_e32 v91, v103, v96, vcc_lo
	v_cndmask_b32_e32 v92, v107, v100, vcc_lo
	v_cndmask_b32_e64 v103, v125, v96, s13
	v_cndmask_b32_e64 v87, v87, v104, s19
	;; [unrolled: 1-line block ×3, first 2 shown]
	v_lshrrev_b32_e32 v105, 16, v89
	v_lshrrev_b32_e32 v109, 16, v93
	v_cndmask_b32_e64 v107, v127, v96, s16
	v_cndmask_b32_e64 v95, v95, v96, s17
	;; [unrolled: 1-line block ×14, first 2 shown]
	v_lshrrev_b32_e32 v113, 16, v97
	v_cndmask_b32_e64 v99, v99, v89, s6
	v_cndmask_b32_e64 v104, v111, v93, s6
	v_cndmask_b32_e64 v108, v115, v89, s20
	v_cndmask_b32_e64 v111, v119, v93, s20
	v_cndmask_b32_e64 v115, v120, v89, s22
	v_cndmask_b32_e64 v119, v121, v93, s22
	v_cndmask_b32_e64 v89, v91, v97, s6
	v_cndmask_b32_e64 v91, v92, v101, s6
	v_cndmask_b32_e64 v92, v103, v97, s20
	v_cndmask_b32_e64 v87, v87, v105, s25
	v_cndmask_b32_e64 v88, v88, v109, s25
	v_lshrrev_b32_e32 v106, 16, v90
	v_lshrrev_b32_e32 v110, 16, v94
	v_cndmask_b32_e64 v93, v99, v105, s7
	v_cndmask_b32_e64 v99, v104, v109, s7
	;; [unrolled: 1-line block ×9, first 2 shown]
	v_lshrrev_b32_e32 v114, 16, v98
	v_cndmask_b32_e64 v89, v89, v113, s7
	v_cndmask_b32_e64 v93, v93, v90, s8
	;; [unrolled: 1-line block ×19, first 2 shown]
	v_perm_b32 v90, v88, v87, 0x5040100
	v_cndmask_b32_e64 v87, v126, v100, s13
	v_cndmask_b32_e64 v105, v89, v114, s9
	v_perm_b32 v89, v103, v99, 0x5040100
	v_perm_b32 v88, v104, v94, 0x5040100
	v_cndmask_b32_e64 v94, v107, v112, s18
	v_cndmask_b32_e64 v95, v95, v112, s19
	;; [unrolled: 1-line block ×5, first 2 shown]
	v_lshrrev_b32_e32 v117, 16, v101
	v_cndmask_b32_e64 v94, v94, v97, s22
	v_cndmask_b32_e64 v95, v95, v97, s23
	v_cndmask_b32_e64 v96, v96, v101, s23
	v_cndmask_b32_e64 v97, v99, v101, s22
	v_cndmask_b32_e64 v87, v87, v101, s20
	v_cndmask_b32_e64 v91, v91, v117, s7
	v_cndmask_b32_e64 v94, v94, v113, s24
	v_cndmask_b32_e64 v95, v95, v113, s25
	v_cndmask_b32_e64 v96, v96, v117, s25
	v_cndmask_b32_e64 v97, v97, v117, s24
	v_cndmask_b32_e64 v87, v87, v117, s21
	v_lshrrev_b32_e32 v118, 16, v102
	v_cndmask_b32_e64 v91, v91, v102, s8
	v_cndmask_b32_e64 v94, v94, v98, s27
	;; [unrolled: 1-line block ×12, first 2 shown]
	v_perm_b32 v87, v93, v92, 0x5040100
	v_perm_b32 v94, v95, v94, 0x5040100
	;; [unrolled: 1-line block ×5, first 2 shown]
	s_mul_i32 s8, s35, 9
	s_mov_b32 s4, exec_lo
	ds_store_b128 v78, v[87:90]
	ds_store_b128 v78, v[91:94] offset:1024
	v_cmpx_gt_u32_e32 9, v0
	s_cbranch_execz .LBB122_16
; %bb.15:
	s_mul_i32 s5, s8, s34
	s_load_b128 s[16:19], s[0:1], 0x58
	v_add3_u32 v77, s5, s33, v77
	s_delay_alu instid0(VALU_DEP_1) | instskip(NEXT) | instid1(VALU_DEP_1)
	v_mad_u64_u32 v[87:88], null, v77, s36, s[14:15]
	v_ashrrev_i32_e32 v88, 31, v87
	s_delay_alu instid0(VALU_DEP_1) | instskip(SKIP_1) | instid1(VALU_DEP_1)
	v_lshlrev_b64 v[87:88], 2, v[87:88]
	s_waitcnt lgkmcnt(0)
	v_add_co_u32 v89, vcc_lo, s18, v87
	s_delay_alu instid0(VALU_DEP_2)
	v_add_co_ci_u32_e32 v90, vcc_lo, s19, v88, vcc_lo
	v_add_co_u32 v87, vcc_lo, s16, v87
	v_add_co_ci_u32_e32 v88, vcc_lo, s17, v88, vcc_lo
	global_store_b32 v[89:90], v85, off
	global_store_b32 v[87:88], v86, off
.LBB122_16:
	s_or_b32 exec_lo, exec_lo, s4
	s_waitcnt lgkmcnt(0)
	s_waitcnt_vscnt null, 0x0
	s_barrier
	buffer_gl0_inv
	ds_load_b128 v[93:96], v79
	ds_load_b128 v[97:100], v79 offset:16
	ds_load_b128 v[105:108], v79 offset:1040
	;; [unrolled: 1-line block ×5, first 2 shown]
	v_cmp_eq_u32_e32 vcc_lo, 1, v84
	v_mov_b32_e32 v85, 0
	ds_load_b128 v[121:124], v79 offset:3088
	ds_load_b128 v[117:120], v79 offset:3072
	;; [unrolled: 1-line block ×4, first 2 shown]
	v_cmp_eq_u32_e64 s4, 1, v80
	v_cmp_eq_u32_e64 s5, 1, v83
	v_cmp_eq_u32_e64 s6, 1, v82
	v_mov_b32_e32 v86, v85
	v_mov_b32_e32 v87, v85
	;; [unrolled: 1-line block ×7, first 2 shown]
	v_cmp_eq_u32_e64 s7, 2, v80
	s_waitcnt lgkmcnt(8)
	s_delay_alu instid0(VALU_DEP_2)
	v_wmma_f32_16x16x16_f16 v[85:92], v[65:72], v[93:100], v[85:92]
	ds_load_b128 v[69:72], v79 offset:5136
	ds_load_b128 v[65:68], v79 offset:5120
	;; [unrolled: 1-line block ×4, first 2 shown]
	s_waitcnt lgkmcnt(10)
	v_wmma_f32_16x16x16_f16 v[85:92], v[57:64], v[101:108], v[85:92]
	s_waitcnt lgkmcnt(8)
	s_delay_alu instid0(VALU_DEP_1)
	v_wmma_f32_16x16x16_f16 v[85:92], v[57:64], v[109:116], v[85:92]
	ds_load_b128 v[61:64], v79 offset:7184
	ds_load_b128 v[57:60], v79 offset:7168
	;; [unrolled: 1-line block ×4, first 2 shown]
	s_waitcnt lgkmcnt(10)
	v_wmma_f32_16x16x16_f16 v[85:92], v[49:56], v[117:124], v[85:92]
	s_waitcnt lgkmcnt(8)
	s_delay_alu instid0(VALU_DEP_1)
	v_wmma_f32_16x16x16_f16 v[85:92], v[49:56], v[125:132], v[85:92]
	ds_load_b128 v[53:56], v79 offset:9232
	ds_load_b128 v[49:52], v79 offset:9216
	s_waitcnt lgkmcnt(8)
	v_wmma_f32_16x16x16_f16 v[85:92], v[41:48], v[65:72], v[85:92]
	ds_load_b128 v[69:72], v79 offset:10256
	ds_load_b128 v[65:68], v79 offset:10240
	s_waitcnt lgkmcnt(8)
	;; [unrolled: 4-line block ×7, first 2 shown]
	s_barrier
	buffer_gl0_inv
	v_wmma_f32_16x16x16_f16 v[85:92], v[33:40], v[41:48], v[85:92]
	s_delay_alu instid0(VALU_DEP_1) | instskip(NEXT) | instid1(VALU_DEP_1)
	v_wmma_f32_16x16x16_f16 v[85:92], v[33:40], v[57:64], v[85:92]
	v_wmma_f32_16x16x16_f16 v[85:92], v[25:32], v[9:16], v[85:92]
	s_delay_alu instid0(VALU_DEP_1) | instskip(NEXT) | instid1(VALU_DEP_1)
	v_wmma_f32_16x16x16_f16 v[85:92], v[25:32], v[49:56], v[85:92]
	v_wmma_f32_16x16x16_f16 v[85:92], v[17:24], v[1:8], v[85:92]
	s_delay_alu instid0(VALU_DEP_1) | instskip(NEXT) | instid1(VALU_DEP_2)
	v_cvt_f16_f32_e32 v1, v85
	v_cvt_f16_f32_e32 v2, v86
	s_delay_alu instid0(VALU_DEP_3) | instskip(NEXT) | instid1(VALU_DEP_4)
	v_cvt_f16_f32_e32 v3, v87
	v_cvt_f16_f32_e32 v4, v88
	;; [unrolled: 1-line block ×6, first 2 shown]
	v_pack_b32_f16 v1, v1, v2
	v_pack_b32_f16 v2, v3, v4
	;; [unrolled: 1-line block ×3, first 2 shown]
	s_delay_alu instid0(VALU_DEP_4)
	v_pack_b32_f16 v4, v7, v8
	ds_store_b128 v78, v[1:4]
	s_waitcnt lgkmcnt(0)
	s_barrier
	buffer_gl0_inv
	ds_load_b128 v[1:4], v81
	ds_load_b128 v[5:8], v81 offset:16
	s_waitcnt lgkmcnt(1)
	v_lshrrev_b32_e32 v9, 16, v1
	s_waitcnt lgkmcnt(0)
	v_lshrrev_b32_e32 v13, 16, v5
	v_lshrrev_b32_e32 v15, 16, v7
	;; [unrolled: 1-line block ×4, first 2 shown]
	v_cndmask_b32_e64 v17, v1, v9, s4
	v_cndmask_b32_e64 v18, v5, v13, s4
	;; [unrolled: 1-line block ×3, first 2 shown]
	v_cmp_eq_u32_e64 s4, 2, v82
	v_cndmask_b32_e64 v20, v5, v13, s6
	v_cndmask_b32_e32 v21, v1, v9, vcc_lo
	v_cndmask_b32_e32 v22, v5, v13, vcc_lo
	v_cndmask_b32_e64 v1, v1, v9, s5
	v_cndmask_b32_e64 v5, v5, v13, s5
	v_cmp_eq_u32_e32 vcc_lo, 2, v84
	v_cmp_eq_u32_e64 s5, 2, v83
	v_cndmask_b32_e64 v9, v17, v2, s7
	v_cndmask_b32_e64 v13, v18, v6, s7
	;; [unrolled: 1-line block ×4, first 2 shown]
	v_cndmask_b32_e32 v19, v21, v2, vcc_lo
	v_cmp_eq_u32_e64 s4, 3, v84
	v_cndmask_b32_e32 v20, v22, v6, vcc_lo
	v_cndmask_b32_e64 v1, v1, v2, s5
	v_cmp_eq_u32_e32 vcc_lo, 3, v83
	v_cmp_eq_u32_e64 s6, 3, v80
	v_cndmask_b32_e64 v2, v5, v6, s5
	v_cmp_eq_u32_e64 s5, 3, v82
	v_lshrrev_b32_e32 v16, 16, v8
	v_cmp_eq_u32_e64 s7, 4, v80
	v_cndmask_b32_e64 v5, v9, v10, s6
	v_cndmask_b32_e64 v6, v13, v14, s6
	;; [unrolled: 1-line block ×3, first 2 shown]
	v_cmp_eq_u32_e64 s6, 4, v82
	v_cndmask_b32_e64 v13, v18, v14, s5
	v_cndmask_b32_e64 v17, v19, v10, s4
	v_cndmask_b32_e64 v18, v20, v14, s4
	v_cndmask_b32_e32 v1, v1, v10, vcc_lo
	v_cndmask_b32_e32 v2, v2, v14, vcc_lo
	v_cmp_eq_u32_e32 vcc_lo, 4, v84
	v_cmp_eq_u32_e64 s5, 4, v83
	v_lshrrev_b32_e32 v11, 16, v3
	v_cndmask_b32_e64 v5, v5, v3, s7
	v_cndmask_b32_e64 v6, v6, v7, s7
	;; [unrolled: 1-line block ×4, first 2 shown]
	v_cndmask_b32_e32 v13, v17, v3, vcc_lo
	v_cmp_eq_u32_e64 s4, 5, v84
	v_cndmask_b32_e32 v14, v18, v7, vcc_lo
	v_cndmask_b32_e64 v1, v1, v3, s5
	v_cmp_eq_u32_e32 vcc_lo, 5, v83
	v_cmp_eq_u32_e64 s6, 5, v80
	v_cndmask_b32_e64 v2, v2, v7, s5
	v_cmp_eq_u32_e64 s5, 5, v82
	v_cmp_eq_u32_e64 s7, 6, v80
	v_cndmask_b32_e32 v1, v1, v11, vcc_lo
	v_cndmask_b32_e64 v3, v5, v11, s6
	v_cndmask_b32_e64 v5, v6, v15, s6
	;; [unrolled: 1-line block ×3, first 2 shown]
	v_cmp_eq_u32_e64 s6, 6, v82
	v_cndmask_b32_e64 v7, v10, v15, s5
	v_cndmask_b32_e64 v9, v13, v11, s4
	;; [unrolled: 1-line block ×3, first 2 shown]
	v_cndmask_b32_e32 v2, v2, v15, vcc_lo
	v_cmp_eq_u32_e32 vcc_lo, 6, v84
	v_cmp_eq_u32_e64 s4, 6, v83
	v_lshrrev_b32_e32 v12, 16, v4
	v_cndmask_b32_e64 v3, v3, v4, s7
	v_cndmask_b32_e64 v5, v5, v8, s7
	;; [unrolled: 1-line block ×4, first 2 shown]
	v_cndmask_b32_e32 v9, v9, v4, vcc_lo
	v_cmp_eq_u32_e64 s5, 7, v84
	v_cndmask_b32_e32 v10, v10, v8, vcc_lo
	v_cndmask_b32_e64 v1, v1, v4, s4
	v_cmp_eq_u32_e32 vcc_lo, 7, v83
	v_cndmask_b32_e64 v2, v2, v8, s4
	v_cmp_eq_u32_e64 s4, 7, v80
	v_cmp_eq_u32_e64 s6, 7, v82
	v_cndmask_b32_e32 v1, v1, v12, vcc_lo
	s_delay_alu instid0(VALU_DEP_4) | instskip(NEXT) | instid1(VALU_DEP_4)
	v_cndmask_b32_e32 v2, v2, v16, vcc_lo
	v_cndmask_b32_e64 v8, v3, v12, s4
	s_delay_alu instid0(VALU_DEP_4)
	v_cndmask_b32_e64 v6, v6, v12, s6
	v_cndmask_b32_e64 v3, v9, v12, s5
	;; [unrolled: 1-line block ×5, first 2 shown]
	v_cmp_gt_u32_e32 vcc_lo, 32, v0
	v_perm_b32 v4, v2, v1, 0x5040100
	v_perm_b32 v3, v9, v3, 0x5040100
	v_perm_b32 v2, v7, v6, 0x5040100
	v_perm_b32 v1, v5, v8, 0x5040100
	s_and_b32 s2, vcc_lo, s2
	ds_store_b128 v78, v[1:4]
	s_waitcnt lgkmcnt(0)
	s_barrier
	buffer_gl0_inv
	s_and_saveexec_b32 s4, s2
	s_cbranch_execz .LBB122_2
; %bb.17:
	s_load_b64 s[4:5], s[0:1], 0x68
	v_lshlrev_b32_e32 v0, 10, v0
	v_lshlrev_b32_e32 v1, 4, v76
	s_lshl_b32 s0, s36, 6
	v_add_nc_u32_e32 v2, s33, v75
	s_mul_i32 s1, s0, s34
	s_delay_alu instid0(SALU_CYCLE_1) | instskip(SKIP_1) | instid1(VALU_DEP_2)
	s_mul_i32 s6, s1, s8
	v_and_or_b32 v0, 0x3800, v0, v1
	v_mul_lo_u32 v1, v2, s0
	s_ashr_i32 s7, s6, 31
	v_add_nc_u32_e32 v3, 2, v2
	s_lshl_b64 s[6:7], s[6:7], 1
	v_add_nc_u32_e32 v4, 4, v2
	v_add_nc_u32_e32 v5, 6, v2
	v_lshl_or_b32 v15, v75, 6, v0
	v_mul_lo_u32 v3, v3, s0
	v_ashrrev_i32_e32 v2, 31, v1
	v_mul_lo_u32 v19, v4, s0
	v_mul_lo_u32 v21, v5, s0
	s_waitcnt lgkmcnt(0)
	s_add_u32 s1, s4, s6
	s_addc_u32 s2, s5, s7
	s_lshl_b32 s4, s14, 6
	v_lshlrev_b64 v[5:6], 1, v[1:2]
	s_ashr_i32 s5, s4, 31
	v_ashrrev_i32_e32 v4, 31, v3
	s_lshl_b64 s[4:5], s[4:5], 1
	v_ashrrev_i32_e32 v20, 31, v19
	s_add_u32 s1, s1, s4
	s_addc_u32 s2, s2, s5
	v_add_co_u32 v1, vcc_lo, s1, v73
	v_add_co_ci_u32_e32 v2, vcc_lo, s2, v74, vcc_lo
	v_lshlrev_b64 v[25:26], 1, v[3:4]
	s_delay_alu instid0(VALU_DEP_3) | instskip(NEXT) | instid1(VALU_DEP_3)
	v_add_co_u32 v23, vcc_lo, v1, v5
	v_add_co_ci_u32_e32 v24, vcc_lo, v2, v6, vcc_lo
	ds_load_b128 v[3:6], v15
	ds_load_b128 v[7:10], v15 offset:128
	ds_load_b128 v[11:14], v15 offset:256
	;; [unrolled: 1-line block ×3, first 2 shown]
	v_ashrrev_i32_e32 v22, 31, v21
	v_lshlrev_b64 v[19:20], 1, v[19:20]
	v_add_co_u32 v25, vcc_lo, v1, v25
	v_add_co_ci_u32_e32 v26, vcc_lo, v2, v26, vcc_lo
	s_delay_alu instid0(VALU_DEP_4) | instskip(NEXT) | instid1(VALU_DEP_4)
	v_lshlrev_b64 v[21:22], 1, v[21:22]
	v_add_co_u32 v19, vcc_lo, v1, v19
	v_add_co_ci_u32_e32 v20, vcc_lo, v2, v20, vcc_lo
	s_delay_alu instid0(VALU_DEP_3) | instskip(NEXT) | instid1(VALU_DEP_4)
	v_add_co_u32 v21, vcc_lo, v1, v21
	v_add_co_ci_u32_e32 v22, vcc_lo, v2, v22, vcc_lo
	s_waitcnt lgkmcnt(3)
	global_store_b128 v[23:24], v[3:6], off
	s_waitcnt lgkmcnt(2)
	global_store_b128 v[25:26], v[7:10], off
	;; [unrolled: 2-line block ×4, first 2 shown]
	s_and_b32 exec_lo, exec_lo, s3
	s_cbranch_execz .LBB122_2
; %bb.18:
	ds_load_b128 v[3:6], v0 offset:512
	s_add_i32 s1, s33, 8
	s_delay_alu instid0(SALU_CYCLE_1) | instskip(NEXT) | instid1(SALU_CYCLE_1)
	s_mul_i32 s0, s1, s0
	s_ashr_i32 s1, s0, 31
	s_delay_alu instid0(SALU_CYCLE_1) | instskip(NEXT) | instid1(SALU_CYCLE_1)
	s_lshl_b64 s[0:1], s[0:1], 1
	v_add_co_u32 v0, vcc_lo, v1, s0
	v_add_co_ci_u32_e32 v1, vcc_lo, s1, v2, vcc_lo
	s_waitcnt lgkmcnt(0)
	global_store_b128 v[0:1], v[3:6], off
	s_nop 0
	s_sendmsg sendmsg(MSG_DEALLOC_VGPRS)
	s_endpgm
	.section	.rodata,"a",@progbits
	.p2align	6, 0x0
	.amdhsa_kernel _Z39paged_attention_ll4mi_QKV_mfma16_kernelIDF16_DF16_LN4vllm18Fp8KVCacheDataTypeE0EhLi32ELi64ELi256ELb1ELi9EL8MFMAType0EEvPKT_PKT0_S8_ifPKiSA_SA_iPKfiiiPfSD_PS3_PT2_iSC_SC_
		.amdhsa_group_segment_fixed_size 17472
		.amdhsa_private_segment_fixed_size 0
		.amdhsa_kernarg_size 400
		.amdhsa_user_sgpr_count 13
		.amdhsa_user_sgpr_dispatch_ptr 0
		.amdhsa_user_sgpr_queue_ptr 0
		.amdhsa_user_sgpr_kernarg_segment_ptr 1
		.amdhsa_user_sgpr_dispatch_id 0
		.amdhsa_user_sgpr_private_segment_size 0
		.amdhsa_wavefront_size32 1
		.amdhsa_uses_dynamic_stack 0
		.amdhsa_enable_private_segment 0
		.amdhsa_system_sgpr_workgroup_id_x 1
		.amdhsa_system_sgpr_workgroup_id_y 1
		.amdhsa_system_sgpr_workgroup_id_z 1
		.amdhsa_system_sgpr_workgroup_info 0
		.amdhsa_system_vgpr_workitem_id 0
		.amdhsa_next_free_vgpr 154
		.amdhsa_next_free_sgpr 39
		.amdhsa_reserve_vcc 1
		.amdhsa_float_round_mode_32 0
		.amdhsa_float_round_mode_16_64 0
		.amdhsa_float_denorm_mode_32 3
		.amdhsa_float_denorm_mode_16_64 3
		.amdhsa_dx10_clamp 1
		.amdhsa_ieee_mode 1
		.amdhsa_fp16_overflow 0
		.amdhsa_workgroup_processor_mode 1
		.amdhsa_memory_ordered 1
		.amdhsa_forward_progress 0
		.amdhsa_shared_vgpr_count 0
		.amdhsa_exception_fp_ieee_invalid_op 0
		.amdhsa_exception_fp_denorm_src 0
		.amdhsa_exception_fp_ieee_div_zero 0
		.amdhsa_exception_fp_ieee_overflow 0
		.amdhsa_exception_fp_ieee_underflow 0
		.amdhsa_exception_fp_ieee_inexact 0
		.amdhsa_exception_int_div_zero 0
	.end_amdhsa_kernel
	.section	.text._Z39paged_attention_ll4mi_QKV_mfma16_kernelIDF16_DF16_LN4vllm18Fp8KVCacheDataTypeE0EhLi32ELi64ELi256ELb1ELi9EL8MFMAType0EEvPKT_PKT0_S8_ifPKiSA_SA_iPKfiiiPfSD_PS3_PT2_iSC_SC_,"axG",@progbits,_Z39paged_attention_ll4mi_QKV_mfma16_kernelIDF16_DF16_LN4vllm18Fp8KVCacheDataTypeE0EhLi32ELi64ELi256ELb1ELi9EL8MFMAType0EEvPKT_PKT0_S8_ifPKiSA_SA_iPKfiiiPfSD_PS3_PT2_iSC_SC_,comdat
.Lfunc_end122:
	.size	_Z39paged_attention_ll4mi_QKV_mfma16_kernelIDF16_DF16_LN4vllm18Fp8KVCacheDataTypeE0EhLi32ELi64ELi256ELb1ELi9EL8MFMAType0EEvPKT_PKT0_S8_ifPKiSA_SA_iPKfiiiPfSD_PS3_PT2_iSC_SC_, .Lfunc_end122-_Z39paged_attention_ll4mi_QKV_mfma16_kernelIDF16_DF16_LN4vllm18Fp8KVCacheDataTypeE0EhLi32ELi64ELi256ELb1ELi9EL8MFMAType0EEvPKT_PKT0_S8_ifPKiSA_SA_iPKfiiiPfSD_PS3_PT2_iSC_SC_
                                        ; -- End function
	.section	.AMDGPU.csdata,"",@progbits
; Kernel info:
; codeLenInByte = 7316
; NumSgprs: 41
; NumVgprs: 154
; ScratchSize: 0
; MemoryBound: 0
; FloatMode: 240
; IeeeMode: 1
; LDSByteSize: 17472 bytes/workgroup (compile time only)
; SGPRBlocks: 5
; VGPRBlocks: 19
; NumSGPRsForWavesPerEU: 41
; NumVGPRsForWavesPerEU: 154
; Occupancy: 9
; WaveLimiterHint : 1
; COMPUTE_PGM_RSRC2:SCRATCH_EN: 0
; COMPUTE_PGM_RSRC2:USER_SGPR: 13
; COMPUTE_PGM_RSRC2:TRAP_HANDLER: 0
; COMPUTE_PGM_RSRC2:TGID_X_EN: 1
; COMPUTE_PGM_RSRC2:TGID_Y_EN: 1
; COMPUTE_PGM_RSRC2:TGID_Z_EN: 1
; COMPUTE_PGM_RSRC2:TIDIG_COMP_CNT: 0
	.section	.text._Z39paged_attention_ll4mi_QKV_mfma16_kernelIDF16_DF16_LN4vllm18Fp8KVCacheDataTypeE0EhLi32ELi64ELi256ELb1ELi10EL8MFMAType0EEvPKT_PKT0_S8_ifPKiSA_SA_iPKfiiiPfSD_PS3_PT2_iSC_SC_,"axG",@progbits,_Z39paged_attention_ll4mi_QKV_mfma16_kernelIDF16_DF16_LN4vllm18Fp8KVCacheDataTypeE0EhLi32ELi64ELi256ELb1ELi10EL8MFMAType0EEvPKT_PKT0_S8_ifPKiSA_SA_iPKfiiiPfSD_PS3_PT2_iSC_SC_,comdat
	.protected	_Z39paged_attention_ll4mi_QKV_mfma16_kernelIDF16_DF16_LN4vllm18Fp8KVCacheDataTypeE0EhLi32ELi64ELi256ELb1ELi10EL8MFMAType0EEvPKT_PKT0_S8_ifPKiSA_SA_iPKfiiiPfSD_PS3_PT2_iSC_SC_ ; -- Begin function _Z39paged_attention_ll4mi_QKV_mfma16_kernelIDF16_DF16_LN4vllm18Fp8KVCacheDataTypeE0EhLi32ELi64ELi256ELb1ELi10EL8MFMAType0EEvPKT_PKT0_S8_ifPKiSA_SA_iPKfiiiPfSD_PS3_PT2_iSC_SC_
	.globl	_Z39paged_attention_ll4mi_QKV_mfma16_kernelIDF16_DF16_LN4vllm18Fp8KVCacheDataTypeE0EhLi32ELi64ELi256ELb1ELi10EL8MFMAType0EEvPKT_PKT0_S8_ifPKiSA_SA_iPKfiiiPfSD_PS3_PT2_iSC_SC_
	.p2align	8
	.type	_Z39paged_attention_ll4mi_QKV_mfma16_kernelIDF16_DF16_LN4vllm18Fp8KVCacheDataTypeE0EhLi32ELi64ELi256ELb1ELi10EL8MFMAType0EEvPKT_PKT0_S8_ifPKiSA_SA_iPKfiiiPfSD_PS3_PT2_iSC_SC_,@function
_Z39paged_attention_ll4mi_QKV_mfma16_kernelIDF16_DF16_LN4vllm18Fp8KVCacheDataTypeE0EhLi32ELi64ELi256ELb1ELi10EL8MFMAType0EEvPKT_PKT0_S8_ifPKiSA_SA_iPKfiiiPfSD_PS3_PT2_iSC_SC_: ; @_Z39paged_attention_ll4mi_QKV_mfma16_kernelIDF16_DF16_LN4vllm18Fp8KVCacheDataTypeE0EhLi32ELi64ELi256ELb1ELi10EL8MFMAType0EEvPKT_PKT0_S8_ifPKiSA_SA_iPKfiiiPfSD_PS3_PT2_iSC_SC_
; %bb.0:
	s_load_b64 s[2:3], s[0:1], 0x30
	s_mov_b32 s34, s13
	s_waitcnt lgkmcnt(0)
	s_cmp_lg_u64 s[2:3], 0
	s_cselect_b32 s6, -1, 0
	s_ashr_i32 s35, s13, 31
	s_cmp_eq_u64 s[2:3], 0
	s_cbranch_scc1 .LBB123_3
; %bb.1:
	s_lshl_b64 s[4:5], s[34:35], 2
	s_delay_alu instid0(SALU_CYCLE_1) | instskip(SKIP_4) | instid1(SALU_CYCLE_1)
	s_add_u32 s4, s2, s4
	s_addc_u32 s5, s3, s5
	s_load_b64 s[4:5], s[4:5], 0x0
	s_waitcnt lgkmcnt(0)
	s_sub_i32 s4, s5, s4
	s_cmp_eq_u32 s4, 1
	s_cselect_b32 s4, -1, 0
	s_delay_alu instid0(SALU_CYCLE_1)
	s_and_not1_b32 vcc_lo, exec_lo, s4
	s_cbranch_vccz .LBB123_4
.LBB123_2:
	s_endpgm
.LBB123_3:
.LBB123_4:
	s_load_b64 s[8:9], s[0:1], 0x28
	s_lshl_b64 s[4:5], s[34:35], 2
	s_waitcnt lgkmcnt(0)
	s_add_u32 s8, s8, s4
	s_addc_u32 s9, s9, s5
	s_lshl_b32 s16, s14, 8
	s_load_b32 s18, s[8:9], 0x0
	s_waitcnt lgkmcnt(0)
	s_cmp_ge_i32 s16, s18
	s_cbranch_scc1 .LBB123_2
; %bb.5:
	s_and_not1_b32 vcc_lo, exec_lo, s6
	s_cbranch_vccnz .LBB123_7
; %bb.6:
	s_add_u32 s2, s2, s4
	s_addc_u32 s3, s3, s5
	s_load_b32 s17, s[2:3], 0x0
	s_branch .LBB123_8
.LBB123_7:
	s_mov_b32 s17, s34
.LBB123_8:
	s_clause 0x2
	s_load_b128 s[8:11], s[0:1], 0x8
	s_load_b64 s[12:13], s[0:1], 0x20
	s_load_b128 s[4:7], s[0:1], 0x48
	v_and_b32_e32 v77, 15, v0
	v_cmp_lt_u32_e32 vcc_lo, 0x9f, v0
	s_delay_alu instid0(VALU_DEP_2) | instskip(SKIP_2) | instid1(VALU_DEP_3)
	v_cmp_lt_u32_e64 s3, 7, v77
	v_lshlrev_b32_e32 v1, 3, v77
	v_cmp_gt_u32_e64 s2, 8, v77
	s_or_b32 s3, vcc_lo, s3
	s_waitcnt lgkmcnt(0)
	s_and_saveexec_b32 s7, s3
	s_delay_alu instid0(SALU_CYCLE_1)
	s_xor_b32 s3, exec_lo, s7
; %bb.9:
	v_mov_b32_e32 v2, 0
; %bb.10:
	s_or_saveexec_b32 s3, s3
	v_lshrrev_b32_e32 v79, 5, v0
	v_and_b32_e32 v80, 31, v0
	v_and_b32_e32 v76, 1, v0
	v_bfe_u32 v75, v0, 4, 1
	s_mul_i32 s31, s15, 10
	s_xor_b32 exec_lo, exec_lo, s3
	s_cbranch_execz .LBB123_12
; %bb.11:
	s_load_b64 s[20:21], s[0:1], 0x0
	v_lshl_or_b32 v7, v79, 1, v75
	s_mul_hi_i32 s23, s17, s4
	s_mul_i32 s22, s17, s4
	v_lshlrev_b32_e32 v4, 1, v1
	s_lshl_b64 s[22:23], s[22:23], 1
	v_add_lshl_u32 v2, v7, s31, 6
	v_lshlrev_b32_e32 v7, 6, v7
	v_lshlrev_b32_e32 v8, 10, v76
	s_delay_alu instid0(VALU_DEP_3) | instskip(NEXT) | instid1(VALU_DEP_1)
	v_ashrrev_i32_e32 v3, 31, v2
	v_lshlrev_b64 v[2:3], 1, v[2:3]
	s_waitcnt lgkmcnt(0)
	s_add_u32 s4, s20, s22
	s_addc_u32 s7, s21, s23
	s_delay_alu instid0(VALU_DEP_1) | instskip(NEXT) | instid1(VALU_DEP_2)
	v_add_co_u32 v2, vcc_lo, s4, v2
	v_add_co_ci_u32_e32 v3, vcc_lo, s7, v3, vcc_lo
	s_delay_alu instid0(VALU_DEP_2) | instskip(NEXT) | instid1(VALU_DEP_2)
	v_add_co_u32 v2, vcc_lo, v2, v4
	v_add_co_ci_u32_e32 v3, vcc_lo, 0, v3, vcc_lo
	global_load_b128 v[3:6], v[2:3], off
	v_lshlrev_b32_e32 v2, 10, v77
	s_delay_alu instid0(VALU_DEP_1) | instskip(NEXT) | instid1(VALU_DEP_1)
	v_and_b32_e32 v2, 0x3800, v2
	v_or3_b32 v7, v2, v8, v7
	v_mov_b32_e32 v2, 0
	s_waitcnt vmcnt(0)
	ds_store_b128 v7, v[3:6]
.LBB123_12:
	s_or_b32 exec_lo, exec_lo, s3
	v_and_b32_e32 v3, 0xef, v0
	s_add_i32 s3, s18, 31
	s_clause 0x1
	s_load_b32 s4, s[0:1], 0x38
	s_load_b32 s33, s[0:1], 0x98
	s_ashr_i32 s7, s3, 31
	v_add_nc_u32_e32 v3, s16, v3
	s_lshr_b32 s7, s7, 27
	s_load_b32 s19, s[0:1], 0x1c
	s_add_i32 s3, s3, s7
	s_waitcnt lgkmcnt(0)
	v_ashrrev_i32_e32 v4, 31, v3
	v_cmp_gt_i32_e32 vcc_lo, s18, v3
	s_ashr_i32 s3, s3, 5
	s_barrier
	s_add_i32 s3, s3, -1
	v_lshrrev_b32_e32 v5, 27, v4
	v_or_b32_e32 v4, 16, v3
	buffer_gl0_inv
	s_mul_i32 s6, s15, s6
	v_lshlrev_b64 v[73:74], 1, v[1:2]
	v_add_nc_u32_e32 v6, v3, v5
	v_add_nc_u32_e32 v5, v4, v5
	s_mul_i32 s20, s34, s4
	v_lshlrev_b32_e32 v78, 6, v77
	s_ashr_i32 s21, s20, 31
	v_ashrrev_i32_e32 v6, 5, v6
	v_ashrrev_i32_e32 v5, 5, v5
	s_lshl_b64 s[20:21], s[20:21], 2
	v_lshl_or_b32 v33, v79, 10, v78
	s_add_u32 s4, s12, s20
	v_cndmask_b32_e32 v3, s3, v6, vcc_lo
	v_cmp_gt_i32_e32 vcc_lo, s18, v4
	s_addc_u32 s17, s13, s21
	s_ashr_i32 s7, s6, 31
	s_delay_alu instid0(VALU_DEP_2) | instskip(SKIP_2) | instid1(SALU_CYCLE_1)
	v_ashrrev_i32_e32 v4, 31, v3
	v_cndmask_b32_e32 v5, s3, v5, vcc_lo
	s_lshl_b64 s[6:7], s[6:7], 1
	s_add_u32 s15, s8, s6
	s_delay_alu instid0(VALU_DEP_2) | instskip(NEXT) | instid1(VALU_DEP_2)
	v_lshlrev_b64 v[3:4], 2, v[3:4]
	v_ashrrev_i32_e32 v6, 31, v5
	s_addc_u32 s28, s9, s7
	s_lshl_b32 s8, s14, 3
	s_delay_alu instid0(SALU_CYCLE_1) | instskip(NEXT) | instid1(VALU_DEP_1)
	s_ashr_i32 s9, s8, 31
	v_lshlrev_b64 v[5:6], 2, v[5:6]
	v_add_co_u32 v3, vcc_lo, s4, v3
	v_add_co_ci_u32_e32 v4, vcc_lo, s17, v4, vcc_lo
	s_lshl_b64 s[8:9], s[8:9], 2
	s_delay_alu instid0(VALU_DEP_3) | instskip(NEXT) | instid1(VALU_DEP_4)
	v_add_co_u32 v5, vcc_lo, s4, v5
	v_add_co_ci_u32_e32 v6, vcc_lo, s17, v6, vcc_lo
	s_add_u32 s8, s4, s8
	s_clause 0x1
	global_load_b32 v7, v[3:4], off
	global_load_b32 v8, v[5:6], off
	s_addc_u32 s9, s17, s9
	s_or_b32 s12, s16, 32
	s_delay_alu instid0(SALU_CYCLE_1) | instskip(SKIP_2) | instid1(SALU_CYCLE_1)
	s_ashr_i32 s13, s12, 5
	s_cmp_lt_i32 s12, s18
	s_cselect_b32 s12, s13, s3
	s_ashr_i32 s13, s12, 31
	s_delay_alu instid0(SALU_CYCLE_1) | instskip(NEXT) | instid1(SALU_CYCLE_1)
	s_lshl_b64 s[12:13], s[12:13], 2
	s_add_u32 s12, s4, s12
	s_addc_u32 s13, s17, s13
	s_or_b32 s20, s16, 64
	s_delay_alu instid0(SALU_CYCLE_1) | instskip(SKIP_2) | instid1(SALU_CYCLE_1)
	s_ashr_i32 s21, s20, 5
	s_cmp_lt_i32 s20, s18
	s_cselect_b32 s20, s21, s3
	s_ashr_i32 s21, s20, 31
	s_delay_alu instid0(SALU_CYCLE_1) | instskip(NEXT) | instid1(SALU_CYCLE_1)
	s_lshl_b64 s[20:21], s[20:21], 2
	s_add_u32 s20, s4, s20
	;; [unrolled: 10-line block ×5, first 2 shown]
	s_addc_u32 s27, s17, s27
	s_clause 0x5
	s_load_b32 s29, s[8:9], 0x0
	s_load_b32 s30, s[12:13], 0x0
	s_load_b32 s35, s[20:21], 0x0
	s_load_b32 s36, s[22:23], 0x0
	s_load_b32 s37, s[24:25], 0x0
	s_load_b32 s38, s[26:27], 0x0
	s_or_b32 s8, s16, 0xc0
	s_mov_b32 s20, 0
	s_ashr_i32 s9, s8, 5
	s_cmp_lt_i32 s8, s18
	s_mov_b32 s27, s20
	s_cselect_b32 s8, s9, s3
	s_mov_b32 s21, s20
	s_ashr_i32 s9, s8, 31
	s_mov_b32 s22, s20
	s_lshl_b64 s[8:9], s[8:9], 2
	s_mov_b32 s23, s20
	s_add_u32 s8, s4, s8
	s_mov_b32 s24, s20
	s_mov_b32 s25, s20
	;; [unrolled: 1-line block ×3, first 2 shown]
	s_addc_u32 s9, s17, s9
	v_dual_mov_b32 v128, s27 :: v_dual_mov_b32 v127, s26
	v_dual_mov_b32 v126, s25 :: v_dual_mov_b32 v125, s24
	;; [unrolled: 1-line block ×3, first 2 shown]
	v_mov_b32_e32 v121, s20
	s_waitcnt lgkmcnt(0)
	s_mul_hi_i32 s13, s29, s5
	s_mul_i32 s12, s29, s5
	v_mov_b32_e32 v122, s21
	s_mul_hi_i32 s21, s30, s5
	s_mul_i32 s20, s30, s5
	s_mul_hi_i32 s25, s35, s5
	s_mul_i32 s24, s35, s5
	;; [unrolled: 2-line block ×3, first 2 shown]
	s_mul_i32 s36, s38, s5
	s_waitcnt vmcnt(1)
	v_mad_i64_i32 v[3:4], null, v7, s5, 0
	s_waitcnt vmcnt(0)
	v_mad_i64_i32 v[5:6], null, v8, s5, 0
	s_delay_alu instid0(VALU_DEP_2) | instskip(NEXT) | instid1(VALU_DEP_2)
	v_lshlrev_b64 v[3:4], 1, v[3:4]
	v_lshlrev_b64 v[1:2], 1, v[5:6]
	s_delay_alu instid0(VALU_DEP_2) | instskip(NEXT) | instid1(VALU_DEP_3)
	v_add_co_u32 v3, vcc_lo, s15, v3
	v_add_co_ci_u32_e32 v4, vcc_lo, s28, v4, vcc_lo
	s_delay_alu instid0(VALU_DEP_3) | instskip(NEXT) | instid1(VALU_DEP_4)
	v_add_co_u32 v1, vcc_lo, s15, v1
	v_add_co_ci_u32_e32 v2, vcc_lo, s28, v2, vcc_lo
	s_delay_alu instid0(VALU_DEP_4) | instskip(NEXT) | instid1(VALU_DEP_4)
	v_add_co_u32 v25, vcc_lo, v3, v73
	v_add_co_ci_u32_e32 v26, vcc_lo, v4, v74, vcc_lo
	s_delay_alu instid0(VALU_DEP_4) | instskip(NEXT) | instid1(VALU_DEP_4)
	v_add_co_u32 v27, vcc_lo, v1, v73
	v_add_co_ci_u32_e32 v28, vcc_lo, v2, v74, vcc_lo
	s_clause 0xf
	global_load_b128 v[1:4], v[25:26], off
	global_load_b128 v[5:8], v[25:26], off offset:512
	global_load_b128 v[9:12], v[27:28], off offset:256
	;; [unrolled: 1-line block ×15, first 2 shown]
	s_or_b32 s15, s16, 0xe0
	v_add_nc_u32_e32 v25, -10, v77
	s_ashr_i32 s22, s15, 5
	s_cmp_lt_i32 s15, s18
	v_cmp_gt_u32_e32 vcc_lo, 10, v77
	s_cselect_b32 s22, s22, s3
	s_delay_alu instid0(SALU_CYCLE_1) | instskip(NEXT) | instid1(SALU_CYCLE_1)
	s_ashr_i32 s23, s22, 31
	s_lshl_b64 s[22:23], s[22:23], 2
	v_cndmask_b32_e32 v25, v25, v77, vcc_lo
	s_add_u32 s22, s4, s22
	s_addc_u32 s23, s17, s23
	s_add_i32 s15, s16, 0x100
	s_delay_alu instid0(SALU_CYCLE_1)
	s_ashr_i32 s28, s15, 5
	s_cmp_lt_i32 s15, s18
	v_lshlrev_b32_e32 v151, 6, v25
	s_cselect_b32 s28, s28, s3
	ds_load_b128 v[25:28], v151
	ds_load_b128 v[29:32], v151 offset:1024
	s_ashr_i32 s29, s28, 31
	ds_load_b128 v[129:132], v151 offset:2048
	ds_load_b128 v[133:136], v151 offset:3072
	s_lshl_b64 s[28:29], s[28:29], 2
	s_load_b32 s15, s[8:9], 0x0
	s_add_u32 s28, s4, s28
	s_addc_u32 s29, s17, s29
	s_add_u32 s3, s10, s6
	s_clause 0x1
	s_load_b32 s4, s[22:23], 0x0
	s_load_b32 s17, s[28:29], 0x0
	s_addc_u32 s28, s11, s7
	v_add_co_u32 v152, s3, s3, v33
	s_delay_alu instid0(VALU_DEP_1) | instskip(SKIP_2) | instid1(VALU_DEP_2)
	v_add_co_ci_u32_e64 v153, null, s28, 0, s3
	s_lshl_b64 s[6:7], s[12:13], 1
	s_lshl_b64 s[10:11], s[20:21], 1
	v_add_co_u32 v33, vcc_lo, v152, s6
	s_delay_alu instid0(VALU_DEP_2)
	v_add_co_ci_u32_e32 v34, vcc_lo, s7, v153, vcc_lo
	v_add_co_u32 v35, vcc_lo, v152, s10
	s_lshl_b64 s[12:13], s[24:25], 1
	v_add_co_ci_u32_e32 v36, vcc_lo, s11, v153, vcc_lo
	v_add_co_u32 v37, vcc_lo, v152, s12
	s_lshl_b64 s[20:21], s[26:27], 1
	s_mul_hi_i32 s9, s37, s5
	s_mul_i32 s8, s37, s5
	v_add_co_ci_u32_e32 v38, vcc_lo, s13, v153, vcc_lo
	v_add_co_u32 v39, vcc_lo, v152, s20
	s_lshl_b64 s[8:9], s[8:9], 1
	s_mul_hi_i32 s37, s38, s5
	v_add_co_ci_u32_e32 v40, vcc_lo, s21, v153, vcc_lo
	v_add_co_u32 v145, vcc_lo, v152, s8
	s_lshl_b64 s[22:23], s[36:37], 1
	s_waitcnt lgkmcnt(0)
	s_mul_hi_i32 s25, s15, s5
	s_mul_i32 s24, s15, s5
	v_add_co_ci_u32_e32 v146, vcc_lo, s9, v153, vcc_lo
	v_add_co_u32 v147, vcc_lo, v152, s22
	s_lshl_b64 s[24:25], s[24:25], 1
	v_add_co_ci_u32_e32 v148, vcc_lo, s23, v153, vcc_lo
	s_mul_hi_i32 s7, s4, s5
	s_mul_i32 s6, s4, s5
	v_add_co_u32 v149, vcc_lo, v152, s24
	s_lshl_b64 s[6:7], s[6:7], 1
	v_add_co_ci_u32_e32 v150, vcc_lo, s25, v153, vcc_lo
	s_clause 0x7
	global_load_b128 v[65:68], v[33:34], off
	global_load_b128 v[69:72], v[33:34], off offset:16
	global_load_b128 v[57:60], v[35:36], off
	global_load_b128 v[61:64], v[35:36], off offset:16
	global_load_b128 v[49:52], v[37:38], off
	global_load_b128 v[53:56], v[37:38], off offset:16
	global_load_b128 v[41:44], v[39:40], off
	global_load_b128 v[45:48], v[39:40], off offset:16
	s_waitcnt vmcnt(22)
	v_wmma_f32_16x16x16_f16 v[137:144], v[1:8], v[25:32], v[121:128]
	s_waitcnt vmcnt(20)
	v_wmma_f32_16x16x16_f16 v[121:128], v[9:16], v[25:32], v[121:128]
	v_add_co_u32 v29, vcc_lo, v152, s6
	v_add_co_ci_u32_e32 v30, vcc_lo, s7, v153, vcc_lo
	s_mul_hi_i32 s7, s17, s5
	s_mul_i32 s6, s17, s5
	s_waitcnt vmcnt(18)
	v_wmma_f32_16x16x16_f16 v[137:144], v[17:24], v[129:136], v[137:144]
	s_lshl_b64 s[4:5], s[6:7], 1
	s_clause 0x1
	global_load_b128 v[9:12], v[145:146], off
	global_load_b128 v[13:16], v[145:146], off offset:16
	v_add_co_u32 v21, vcc_lo, v152, s4
	v_add_co_ci_u32_e32 v22, vcc_lo, s5, v153, vcc_lo
	s_clause 0x7
	global_load_b128 v[1:4], v[147:148], off
	global_load_b128 v[5:8], v[147:148], off offset:16
	global_load_b128 v[33:36], v[149:150], off
	global_load_b128 v[37:40], v[149:150], off offset:16
	;; [unrolled: 2-line block ×4, first 2 shown]
	s_waitcnt vmcnt(26)
	v_wmma_f32_16x16x16_f16 v[121:128], v[81:88], v[129:136], v[121:128]
	ds_load_b128 v[81:84], v151 offset:4096
	ds_load_b128 v[85:88], v151 offset:5120
	v_mbcnt_lo_u32_b32 v130, -1, 0
	s_delay_alu instid0(VALU_DEP_1) | instskip(NEXT) | instid1(VALU_DEP_1)
	v_xor_b32_e32 v131, 16, v130
	v_cmp_gt_i32_e32 vcc_lo, 32, v131
	v_cndmask_b32_e32 v130, v130, v131, vcc_lo
	s_waitcnt vmcnt(24) lgkmcnt(0)
	v_wmma_f32_16x16x16_f16 v[137:144], v[89:96], v[81:88], v[137:144]
	ds_load_b128 v[89:92], v151 offset:6144
	ds_load_b128 v[93:96], v151 offset:7168
	s_waitcnt vmcnt(22)
	v_wmma_f32_16x16x16_f16 v[121:128], v[97:104], v[81:88], v[121:128]
	s_waitcnt vmcnt(0) lgkmcnt(0)
	s_barrier
	buffer_gl0_inv
	v_wmma_f32_16x16x16_f16 v[137:144], v[105:112], v[89:96], v[137:144]
	v_and_b32_e32 v129, 0xe0, v0
	v_wmma_f32_16x16x16_f16 v[121:128], v[113:120], v[89:96], v[121:128]
	s_delay_alu instid0(VALU_DEP_3) | instskip(NEXT) | instid1(VALU_DEP_2)
	v_mul_f32_e32 v96, s19, v137
	v_dual_mul_f32 v104, s19, v126 :: v_dual_add_nc_u32 v129, s16, v129
	v_mul_f32_e32 v95, s19, v138
	v_dual_mul_f32 v93, s19, v140 :: v_dual_mul_f32 v94, s19, v139
	s_delay_alu instid0(VALU_DEP_3) | instskip(SKIP_3) | instid1(VALU_DEP_4)
	v_or_b32_e32 v129, v129, v75
	v_dual_mul_f32 v91, s19, v142 :: v_dual_mul_f32 v106, s19, v124
	v_dual_mul_f32 v92, s19, v141 :: v_dual_mul_f32 v89, s19, v144
	v_mul_f32_e32 v108, s19, v122
	v_or_b32_e32 v131, 2, v129
	v_or_b32_e32 v132, 4, v129
	;; [unrolled: 1-line block ×3, first 2 shown]
	v_cmp_gt_i32_e32 vcc_lo, s18, v129
	v_or_b32_e32 v82, 8, v129
	v_cmp_gt_i32_e64 s3, s18, v131
	v_or_b32_e32 v83, 10, v129
	v_cmp_gt_i32_e64 s4, s18, v132
	v_cndmask_b32_e32 v96, 0xff7fffff, v96, vcc_lo
	v_cmp_gt_i32_e64 s5, s18, v81
	v_cndmask_b32_e64 v95, 0xff7fffff, v95, s3
	v_or_b32_e32 v84, 12, v129
	v_or_b32_e32 v85, 14, v129
	v_cndmask_b32_e64 v94, 0xff7fffff, v94, s4
	v_cndmask_b32_e64 v81, 0xff7fffff, v93, s5
	v_max3_f32 v93, v96, 0xff7fffff, v95
	v_cmp_gt_i32_e64 s6, s18, v82
	v_cmp_gt_i32_e64 s7, s18, v83
	v_or_b32_e32 v86, 16, v129
	v_or_b32_e32 v87, 18, v129
	v_mul_f32_e32 v90, s19, v143
	v_cndmask_b32_e64 v82, 0xff7fffff, v92, s6
	v_cndmask_b32_e64 v83, 0xff7fffff, v91, s7
	v_max3_f32 v81, v93, v94, v81
	v_cmp_gt_i32_e64 s8, s18, v84
	v_cmp_gt_i32_e64 s9, s18, v85
	v_or_b32_e32 v88, 20, v129
	v_or_b32_e32 v97, 22, v129
	v_mul_f32_e32 v109, s19, v121
	;; [unrolled: 8-line block ×4, first 2 shown]
	v_cndmask_b32_e64 v84, 0xff7fffff, v107, s12
	v_cndmask_b32_e64 v85, 0xff7fffff, v106, s13
	v_max3_f32 v81, v81, v82, v83
	v_cmp_gt_i32_e64 s15, s18, v98
	v_cmp_gt_i32_e64 s16, s18, v99
	v_dual_mul_f32 v102, s19, v128 :: v_dual_mul_f32 v103, s19, v127
	s_delay_alu instid0(VALU_DEP_4) | instskip(NEXT) | instid1(VALU_DEP_4)
	v_max3_f32 v81, v81, v84, v85
	v_cndmask_b32_e64 v82, 0xff7fffff, v105, s15
	s_delay_alu instid0(VALU_DEP_4) | instskip(SKIP_2) | instid1(VALU_DEP_3)
	v_cndmask_b32_e64 v83, 0xff7fffff, v104, s16
	v_cmp_gt_i32_e64 s17, s18, v100
	v_cmp_gt_i32_e64 s18, s18, v101
	v_max3_f32 v81, v81, v82, v83
	s_delay_alu instid0(VALU_DEP_3) | instskip(NEXT) | instid1(VALU_DEP_3)
	v_cndmask_b32_e64 v84, 0xff7fffff, v103, s17
	v_cndmask_b32_e64 v85, 0xff7fffff, v102, s18
	v_lshlrev_b32_e32 v83, 2, v130
	s_delay_alu instid0(VALU_DEP_2) | instskip(SKIP_3) | instid1(VALU_DEP_1)
	v_max3_f32 v81, v81, v84, v85
	ds_bpermute_b32 v82, v83, v81
	s_waitcnt lgkmcnt(0)
	v_max_f32_e32 v82, v82, v82
	v_max_f32_e32 v81, v81, v82
	s_delay_alu instid0(VALU_DEP_1) | instskip(SKIP_2) | instid1(VALU_DEP_3)
	v_fma_f32 v82, s19, v137, -v81
	v_fma_f32 v84, s19, v138, -v81
	;; [unrolled: 1-line block ×3, first 2 shown]
	v_mul_f32_e32 v82, 0x3fb8aa3b, v82
	s_delay_alu instid0(VALU_DEP_2) | instskip(NEXT) | instid1(VALU_DEP_2)
	v_dual_mul_f32 v84, 0x3fb8aa3b, v84 :: v_dual_mul_f32 v89, 0x3fb8aa3b, v87
	v_exp_f32_e32 v82, v82
	s_delay_alu instid0(VALU_DEP_1) | instskip(NEXT) | instid1(VALU_DEP_1)
	v_exp_f32_e32 v84, v84
	v_exp_f32_e32 v92, v89
	s_delay_alu instid0(TRANS32_DEP_3)
	v_cndmask_b32_e32 v88, 0, v82, vcc_lo
	s_waitcnt_depctr 0xfff
	v_cndmask_b32_e64 v87, 0, v84, s3
	v_cndmask_b32_e64 v92, 0, v92, s6
	s_mov_b32 s3, exec_lo
	v_add_f32_e32 v84, 0, v88
	s_delay_alu instid0(VALU_DEP_1)
	v_add_f32_e32 v84, v84, v87
	v_fma_f32 v85, s19, v139, -v81
	v_fma_f32 v86, s19, v140, -v81
	;; [unrolled: 1-line block ×5, first 2 shown]
	s_delay_alu instid0(VALU_DEP_4) | instskip(NEXT) | instid1(VALU_DEP_4)
	v_dual_mul_f32 v85, 0x3fb8aa3b, v85 :: v_dual_mul_f32 v86, 0x3fb8aa3b, v86
	v_mul_f32_e32 v82, 0x3fb8aa3b, v82
	v_fma_f32 v96, s19, v124, -v81
	v_fma_f32 v99, s19, v127, -v81
	s_delay_alu instid0(VALU_DEP_4) | instskip(SKIP_3) | instid1(VALU_DEP_1)
	v_exp_f32_e32 v85, v85
	v_exp_f32_e32 v86, v86
	;; [unrolled: 1-line block ×3, first 2 shown]
	v_mul_f32_e32 v97, 0x3fb8aa3b, v96
	v_exp_f32_e32 v97, v97
	v_cndmask_b32_e64 v90, 0, v85, s4
	v_fma_f32 v85, s19, v144, -v81
	s_delay_alu instid0(TRANS32_DEP_3) | instskip(SKIP_1) | instid1(VALU_DEP_4)
	v_cndmask_b32_e64 v89, 0, v86, s5
	v_fma_f32 v86, s19, v121, -v81
	v_dual_add_f32 v84, v84, v90 :: v_dual_mul_f32 v91, 0x3fb8aa3b, v91
	s_delay_alu instid0(VALU_DEP_2) | instskip(NEXT) | instid1(TRANS32_DEP_1)
	v_mul_f32_e32 v86, 0x3fb8aa3b, v86
	v_cndmask_b32_e64 v97, 0, v97, s13
	s_delay_alu instid0(VALU_DEP_3)
	v_add_f32_e32 v84, v84, v89
	v_mul_f32_e32 v85, 0x3fb8aa3b, v85
	v_exp_f32_e32 v93, v91
	v_cndmask_b32_e64 v91, 0, v82, s7
	v_exp_f32_e32 v86, v86
	v_add_f32_e32 v82, v84, v92
	v_exp_f32_e32 v85, v85
	v_fma_f32 v84, s19, v123, -v81
	s_delay_alu instid0(VALU_DEP_2) | instskip(NEXT) | instid1(TRANS32_DEP_3)
	v_dual_mul_f32 v95, 0x3fb8aa3b, v94 :: v_dual_add_f32 v82, v82, v91
	v_cndmask_b32_e64 v94, 0, v93, s8
	s_delay_alu instid0(VALU_DEP_2) | instskip(NEXT) | instid1(TRANS32_DEP_3)
	v_exp_f32_e32 v95, v95
	v_cndmask_b32_e64 v96, 0, v86, s10
	v_fma_f32 v86, s19, v126, -v81
	s_delay_alu instid0(TRANS32_DEP_2) | instskip(SKIP_3) | instid1(VALU_DEP_3)
	v_cndmask_b32_e64 v93, 0, v85, s9
	v_fma_f32 v85, s19, v125, -v81
	v_mul_f32_e32 v84, 0x3fb8aa3b, v84
	v_add_f32_e32 v82, v82, v94
	v_dual_mul_f32 v86, 0x3fb8aa3b, v86 :: v_dual_mul_f32 v85, 0x3fb8aa3b, v85
	s_delay_alu instid0(VALU_DEP_3) | instskip(NEXT) | instid1(TRANS32_DEP_2)
	v_exp_f32_e32 v84, v84
	v_cndmask_b32_e64 v95, 0, v95, s11
	s_delay_alu instid0(VALU_DEP_2) | instskip(NEXT) | instid1(VALU_DEP_2)
	v_exp_f32_e32 v86, v86
	v_exp_f32_e32 v85, v85
	s_delay_alu instid0(TRANS32_DEP_3)
	v_cndmask_b32_e64 v98, 0, v84, s12
	v_mul_f32_e32 v84, 0x3fb8aa3b, v99
	v_fma_f32 v99, s19, v128, -v81
	v_add_f32_e32 v82, v82, v93
	s_waitcnt_depctr 0xfff
	v_cndmask_b32_e64 v100, 0, v85, s15
	v_exp_f32_e32 v84, v84
	v_dual_mul_f32 v85, 0x3fb8aa3b, v99 :: v_dual_add_f32 v82, v82, v96
	v_cndmask_b32_e64 v99, 0, v86, s16
	s_delay_alu instid0(VALU_DEP_2) | instskip(NEXT) | instid1(VALU_DEP_2)
	v_exp_f32_e32 v85, v85
	v_add_f32_e32 v82, v82, v95
	s_waitcnt_depctr 0xfff
	v_cndmask_b32_e64 v102, 0, v84, s17
	v_add_f32_e32 v82, v82, v98
	v_cndmask_b32_e64 v101, 0, v85, s18
	s_delay_alu instid0(VALU_DEP_2) | instskip(NEXT) | instid1(VALU_DEP_1)
	v_add_f32_e32 v82, v82, v97
	v_add_f32_e32 v82, v82, v100
	s_delay_alu instid0(VALU_DEP_1) | instskip(NEXT) | instid1(VALU_DEP_1)
	v_add_f32_e32 v82, v82, v99
	v_add_f32_e32 v82, v82, v102
	s_delay_alu instid0(VALU_DEP_1)
	v_add_f32_e32 v82, v82, v101
	ds_bpermute_b32 v83, v83, v82
	v_cmpx_gt_u32_e32 16, v80
	s_cbranch_execz .LBB123_14
; %bb.13:
	v_mul_u32_u24_e32 v80, 0x44, v79
	s_waitcnt lgkmcnt(0)
	v_add_f32_e32 v82, v82, v83
	s_delay_alu instid0(VALU_DEP_2) | instskip(NEXT) | instid1(VALU_DEP_1)
	v_lshl_add_u32 v80, v77, 2, v80
	v_add_nc_u32_e32 v80, 0x4000, v80
	ds_store_2addr_b32 v80, v81, v82 offset1:136
.LBB123_14:
	s_or_b32 exec_lo, exec_lo, s3
	v_lshlrev_b32_e32 v80, 2, v77
	s_load_b32 s35, s[0:1], 0x94
	s_waitcnt lgkmcnt(0)
	s_barrier
	buffer_gl0_inv
	v_add_nc_u32_e32 v84, 0x4000, v80
	v_cmp_eq_u32_e32 vcc_lo, 1, v79
	v_cmp_eq_u32_e64 s3, 2, v79
	v_cmp_eq_u32_e64 s4, 3, v79
	;; [unrolled: 1-line block ×3, first 2 shown]
	ds_load_2addr_b32 v[80:81], v84 offset1:17
	ds_load_2addr_b32 v[82:83], v84 offset0:34 offset1:51
	ds_load_2addr_b32 v[103:104], v84 offset0:68 offset1:85
	;; [unrolled: 1-line block ×3, first 2 shown]
	v_cmp_eq_u32_e64 s6, 7, v79
	s_waitcnt lgkmcnt(3)
	v_max3_f32 v85, v80, 0xff7fffff, v81
	s_waitcnt lgkmcnt(2)
	s_delay_alu instid0(VALU_DEP_1) | instskip(SKIP_1) | instid1(VALU_DEP_1)
	v_max3_f32 v85, v85, v82, v83
	s_waitcnt lgkmcnt(1)
	v_max3_f32 v85, v85, v103, v104
	s_waitcnt lgkmcnt(0)
	s_delay_alu instid0(VALU_DEP_1) | instskip(NEXT) | instid1(VALU_DEP_1)
	v_max3_f32 v85, v85, v105, v106
	v_sub_f32_e32 v103, v103, v85
	ds_load_2addr_b32 v[107:108], v84 offset0:136 offset1:153
	v_sub_f32_e32 v80, v80, v85
	v_dual_sub_f32 v110, v83, v85 :: v_dual_mul_f32 v113, 0x3fb8aa3b, v103
	s_delay_alu instid0(VALU_DEP_2) | instskip(SKIP_3) | instid1(VALU_DEP_1)
	v_dual_sub_f32 v86, v81, v85 :: v_dual_mul_f32 v109, 0x3fb8aa3b, v80
	ds_load_2addr_b32 v[80:81], v84 offset0:170 offset1:187
	v_mul_f32_e32 v86, 0x3fb8aa3b, v86
	v_exp_f32_e32 v109, v109
	v_exp_f32_e32 v112, v86
	v_mul_f32_e32 v110, 0x3fb8aa3b, v110
	s_waitcnt lgkmcnt(1)
	s_waitcnt_depctr 0xfff
	v_fma_f32 v86, v109, v107, 0
	v_sub_f32_e32 v107, v104, v85
	v_sub_f32_e32 v82, v82, v85
	v_exp_f32_e32 v110, v110
	ds_load_2addr_b32 v[103:104], v84 offset0:238 offset1:255
	v_dual_fmac_f32 v86, v112, v108 :: v_dual_mul_f32 v111, 0x3fb8aa3b, v82
	ds_load_2addr_b32 v[82:83], v84 offset0:204 offset1:221
	v_dual_sub_f32 v84, v105, v85 :: v_dual_mul_f32 v105, 0x3fb8aa3b, v107
	v_exp_f32_e32 v107, v113
	v_exp_f32_e32 v111, v111
	s_waitcnt lgkmcnt(0)
	s_delay_alu instid0(VALU_DEP_1)
	v_mul_f32_e32 v84, 0x3fb8aa3b, v84
	v_exp_f32_e32 v105, v105
	s_barrier
	buffer_gl0_inv
	v_fmac_f32_e32 v86, v111, v80
	v_sub_f32_e32 v80, v106, v85
	v_exp_f32_e32 v106, v84
	s_delay_alu instid0(VALU_DEP_2) | instskip(NEXT) | instid1(VALU_DEP_2)
	v_fmac_f32_e32 v86, v110, v81
	v_mul_f32_e32 v80, 0x3fb8aa3b, v80
	s_delay_alu instid0(VALU_DEP_2) | instskip(NEXT) | instid1(VALU_DEP_2)
	v_dual_cndmask_b32 v81, v109, v112 :: v_dual_fmac_f32 v86, v107, v82
	v_exp_f32_e32 v108, v80
	s_delay_alu instid0(VALU_DEP_1) | instskip(SKIP_2) | instid1(VALU_DEP_1)
	v_fmac_f32_e32 v86, v105, v83
	s_waitcnt_depctr 0xfff
	v_fmac_f32_e32 v86, v106, v103
	v_fmac_f32_e32 v86, v108, v104
	s_delay_alu instid0(VALU_DEP_1) | instskip(NEXT) | instid1(VALU_DEP_1)
	v_add_f32_e32 v103, 0x358637bd, v86
	v_div_scale_f32 v104, null, v103, v103, 1.0
	v_div_scale_f32 v109, vcc_lo, 1.0, v103, 1.0
	s_delay_alu instid0(VALU_DEP_2) | instskip(SKIP_2) | instid1(VALU_DEP_1)
	v_rcp_f32_e32 v113, v104
	s_waitcnt_depctr 0xfff
	v_fma_f32 v80, -v104, v113, 1.0
	v_fmac_f32_e32 v113, v80, v113
	v_cndmask_b32_e64 v80, v81, v111, s3
	v_cmp_eq_u32_e64 s3, 4, v79
	v_lshl_or_b32 v81, v79, 11, v78
	s_delay_alu instid0(VALU_DEP_4) | instskip(NEXT) | instid1(VALU_DEP_4)
	v_mul_f32_e32 v111, v109, v113
	v_cndmask_b32_e64 v82, v80, v110, s4
	v_cmp_eq_u32_e64 s4, 6, v79
	s_delay_alu instid0(VALU_DEP_4) | instskip(SKIP_3) | instid1(VALU_DEP_3)
	v_lshl_or_b32 v79, v75, 4, v81
	v_lshlrev_b32_e32 v80, 2, v75
	v_fma_f32 v83, -v104, v111, v109
	v_cndmask_b32_e64 v84, v82, v107, s3
	v_or_b32_e32 v82, 1, v80
	s_delay_alu instid0(VALU_DEP_3) | instskip(NEXT) | instid1(VALU_DEP_3)
	v_fmac_f32_e32 v111, v83, v113
	v_cndmask_b32_e64 v105, v84, v105, s5
	v_or_b32_e32 v84, 2, v80
	v_or_b32_e32 v83, 3, v80
	v_cmp_eq_u32_e64 s3, 1, v80
	v_fma_f32 v104, -v104, v111, v109
	v_cndmask_b32_e64 v105, v105, v106, s4
	v_cmp_eq_u32_e64 s9, 1, v82
	v_cmp_eq_u32_e64 s10, 1, v84
	;; [unrolled: 1-line block ×3, first 2 shown]
	v_div_fmas_f32 v104, v104, v113, v111
	v_cndmask_b32_e64 v105, v105, v108, s6
	v_cmp_eq_u32_e32 vcc_lo, 2, v80
	v_cmp_eq_u32_e64 s12, 2, v82
	v_cmp_eq_u32_e64 s15, 2, v84
	v_div_fixup_f32 v103, v104, v103, 1.0
	v_cmp_eq_u32_e64 s16, 2, v83
	v_cmp_eq_u32_e64 s18, 3, v83
	;; [unrolled: 1-line block ×4, first 2 shown]
	v_mul_f32_e32 v111, v105, v103
	v_cmp_eq_u32_e64 s17, 3, v84
	v_cmp_eq_u32_e64 s22, 4, v83
	;; [unrolled: 1-line block ×4, first 2 shown]
	v_fma_mixlo_f16 v103, v111, v88, 0
	v_fma_mixlo_f16 v104, v111, v90, 0
	;; [unrolled: 1-line block ×8, first 2 shown]
	v_fma_mixhi_f16 v103, v111, v87, 0
	v_fma_mixhi_f16 v104, v111, v89, 0
	;; [unrolled: 1-line block ×8, first 2 shown]
	ds_store_b128 v79, v[103:106]
	ds_store_b128 v79, v[107:110] offset:1024
	s_waitcnt lgkmcnt(0)
	s_barrier
	buffer_gl0_inv
	ds_load_b128 v[87:90], v81
	ds_load_b128 v[91:94], v81 offset:16
	ds_load_b128 v[95:98], v81 offset:1024
	;; [unrolled: 1-line block ×3, first 2 shown]
	v_cmp_eq_u32_e64 s21, 4, v84
	v_cmp_eq_u32_e64 s24, 5, v83
	;; [unrolled: 1-line block ×13, first 2 shown]
	s_waitcnt lgkmcnt(3)
	v_lshrrev_b32_e32 v103, 16, v87
	s_waitcnt lgkmcnt(2)
	v_lshrrev_b32_e32 v107, 16, v91
	;; [unrolled: 2-line block ×4, first 2 shown]
	v_lshrrev_b32_e32 v104, 16, v88
	v_cndmask_b32_e64 v119, v87, v103, s3
	v_cndmask_b32_e64 v120, v91, v107, s3
	;; [unrolled: 1-line block ×8, first 2 shown]
	v_lshrrev_b32_e32 v108, 16, v92
	v_cndmask_b32_e64 v103, v95, v111, s3
	v_cndmask_b32_e64 v107, v99, v115, s3
	;; [unrolled: 1-line block ×5, first 2 shown]
	v_cndmask_b32_e32 v111, v119, v88, vcc_lo
	v_cndmask_b32_e64 v119, v121, v88, s12
	v_cndmask_b32_e64 v121, v123, v88, s15
	;; [unrolled: 1-line block ×4, first 2 shown]
	v_lshrrev_b32_e32 v112, 16, v96
	v_lshrrev_b32_e32 v116, 16, v100
	v_cndmask_b32_e64 v126, v99, v115, s9
	v_cndmask_b32_e64 v128, v99, v115, s10
	;; [unrolled: 1-line block ×3, first 2 shown]
	v_cndmask_b32_e32 v115, v120, v92, vcc_lo
	v_cndmask_b32_e64 v120, v122, v92, s12
	v_cndmask_b32_e64 v122, v124, v92, s15
	v_cndmask_b32_e32 v91, v103, v96, vcc_lo
	v_cndmask_b32_e32 v92, v107, v100, vcc_lo
	v_cndmask_b32_e64 v103, v125, v96, s12
	v_cndmask_b32_e64 v87, v87, v104, s18
	;; [unrolled: 1-line block ×3, first 2 shown]
	v_lshrrev_b32_e32 v105, 16, v89
	v_lshrrev_b32_e32 v109, 16, v93
	v_cndmask_b32_e64 v107, v127, v96, s15
	v_cndmask_b32_e64 v95, v95, v96, s16
	;; [unrolled: 1-line block ×14, first 2 shown]
	v_lshrrev_b32_e32 v113, 16, v97
	v_cndmask_b32_e64 v99, v99, v89, s5
	v_cndmask_b32_e64 v104, v111, v93, s5
	;; [unrolled: 1-line block ×11, first 2 shown]
	v_lshrrev_b32_e32 v106, 16, v90
	v_lshrrev_b32_e32 v110, 16, v94
	v_cndmask_b32_e64 v93, v99, v105, s6
	v_cndmask_b32_e64 v99, v104, v109, s6
	v_cndmask_b32_e64 v103, v108, v105, s20
	v_cndmask_b32_e64 v104, v111, v109, s20
	v_cndmask_b32_e64 v108, v115, v105, s23
	v_cndmask_b32_e64 v111, v119, v109, s23
	v_cndmask_b32_e64 v92, v92, v113, s20
	v_cndmask_b32_e64 v87, v87, v90, s27
	v_cndmask_b32_e64 v88, v88, v94, s27
	v_lshrrev_b32_e32 v114, 16, v98
	v_cndmask_b32_e64 v89, v89, v113, s6
	v_cndmask_b32_e64 v93, v93, v90, s7
	;; [unrolled: 1-line block ×19, first 2 shown]
	v_perm_b32 v90, v88, v87, 0x5040100
	v_cndmask_b32_e64 v87, v126, v100, s12
	v_cndmask_b32_e64 v105, v89, v114, s8
	v_perm_b32 v89, v103, v99, 0x5040100
	v_perm_b32 v88, v104, v94, 0x5040100
	v_cndmask_b32_e64 v94, v107, v112, s17
	v_cndmask_b32_e64 v95, v95, v112, s18
	;; [unrolled: 1-line block ×5, first 2 shown]
	v_lshrrev_b32_e32 v117, 16, v101
	v_cndmask_b32_e64 v94, v94, v97, s21
	v_cndmask_b32_e64 v95, v95, v97, s22
	;; [unrolled: 1-line block ×11, first 2 shown]
	v_lshrrev_b32_e32 v118, 16, v102
	v_cndmask_b32_e64 v91, v91, v102, s7
	v_cndmask_b32_e64 v94, v94, v98, s26
	v_cndmask_b32_e64 v95, v95, v98, s27
	v_cndmask_b32_e64 v96, v96, v102, s27
	v_cndmask_b32_e64 v97, v97, v102, s26
	v_cndmask_b32_e64 v87, v87, v102, s25
	v_cndmask_b32_e64 v98, v94, v114, s28
	v_cndmask_b32_e64 v94, v95, v114, s29
	v_cndmask_b32_e64 v95, v96, v118, s29
	v_cndmask_b32_e64 v96, v97, v118, s28
	v_cndmask_b32_e64 v97, v87, v118, s30
	v_cndmask_b32_e64 v91, v91, v118, s8
	v_perm_b32 v87, v93, v92, 0x5040100
	v_perm_b32 v94, v95, v94, 0x5040100
	;; [unrolled: 1-line block ×5, first 2 shown]
	s_mul_i32 s7, s33, 10
	s_mov_b32 s3, exec_lo
	ds_store_b128 v79, v[87:90]
	ds_store_b128 v79, v[91:94] offset:1024
	v_cmpx_gt_u32_e32 10, v0
	s_cbranch_execz .LBB123_16
; %bb.15:
	s_mul_i32 s4, s7, s34
	s_load_b128 s[8:11], s[0:1], 0x58
	v_add3_u32 v77, s4, s31, v77
	s_delay_alu instid0(VALU_DEP_1) | instskip(NEXT) | instid1(VALU_DEP_1)
	v_mad_u64_u32 v[87:88], null, v77, s35, s[14:15]
	v_ashrrev_i32_e32 v88, 31, v87
	s_delay_alu instid0(VALU_DEP_1) | instskip(SKIP_1) | instid1(VALU_DEP_1)
	v_lshlrev_b64 v[87:88], 2, v[87:88]
	s_waitcnt lgkmcnt(0)
	v_add_co_u32 v89, vcc_lo, s10, v87
	s_delay_alu instid0(VALU_DEP_2)
	v_add_co_ci_u32_e32 v90, vcc_lo, s11, v88, vcc_lo
	v_add_co_u32 v87, vcc_lo, s8, v87
	v_add_co_ci_u32_e32 v88, vcc_lo, s9, v88, vcc_lo
	global_store_b32 v[89:90], v85, off
	global_store_b32 v[87:88], v86, off
.LBB123_16:
	s_or_b32 exec_lo, exec_lo, s3
	s_waitcnt lgkmcnt(0)
	s_waitcnt_vscnt null, 0x0
	s_barrier
	buffer_gl0_inv
	ds_load_b128 v[93:96], v78
	ds_load_b128 v[97:100], v78 offset:16
	ds_load_b128 v[105:108], v78 offset:1040
	;; [unrolled: 1-line block ×5, first 2 shown]
	v_cmp_eq_u32_e32 vcc_lo, 1, v84
	v_mov_b32_e32 v85, 0
	ds_load_b128 v[121:124], v78 offset:3088
	ds_load_b128 v[117:120], v78 offset:3072
	;; [unrolled: 1-line block ×4, first 2 shown]
	v_cmp_eq_u32_e64 s3, 1, v80
	v_cmp_eq_u32_e64 s4, 1, v83
	;; [unrolled: 1-line block ×3, first 2 shown]
	v_mov_b32_e32 v86, v85
	v_mov_b32_e32 v87, v85
	v_mov_b32_e32 v88, v85
	v_mov_b32_e32 v89, v85
	v_mov_b32_e32 v90, v85
	v_mov_b32_e32 v91, v85
	v_mov_b32_e32 v92, v85
	v_cmp_eq_u32_e64 s6, 2, v80
	s_waitcnt lgkmcnt(8)
	s_delay_alu instid0(VALU_DEP_2)
	v_wmma_f32_16x16x16_f16 v[85:92], v[65:72], v[93:100], v[85:92]
	ds_load_b128 v[69:72], v78 offset:5136
	ds_load_b128 v[65:68], v78 offset:5120
	;; [unrolled: 1-line block ×4, first 2 shown]
	s_waitcnt lgkmcnt(10)
	v_wmma_f32_16x16x16_f16 v[85:92], v[57:64], v[101:108], v[85:92]
	s_waitcnt lgkmcnt(8)
	s_delay_alu instid0(VALU_DEP_1)
	v_wmma_f32_16x16x16_f16 v[85:92], v[57:64], v[109:116], v[85:92]
	ds_load_b128 v[61:64], v78 offset:7184
	ds_load_b128 v[57:60], v78 offset:7168
	;; [unrolled: 1-line block ×4, first 2 shown]
	s_waitcnt lgkmcnt(10)
	v_wmma_f32_16x16x16_f16 v[85:92], v[49:56], v[117:124], v[85:92]
	s_waitcnt lgkmcnt(8)
	s_delay_alu instid0(VALU_DEP_1)
	v_wmma_f32_16x16x16_f16 v[85:92], v[49:56], v[125:132], v[85:92]
	ds_load_b128 v[53:56], v78 offset:9232
	ds_load_b128 v[49:52], v78 offset:9216
	s_waitcnt lgkmcnt(8)
	v_wmma_f32_16x16x16_f16 v[85:92], v[41:48], v[65:72], v[85:92]
	ds_load_b128 v[69:72], v78 offset:10256
	ds_load_b128 v[65:68], v78 offset:10240
	s_waitcnt lgkmcnt(8)
	;; [unrolled: 4-line block ×7, first 2 shown]
	s_barrier
	buffer_gl0_inv
	v_wmma_f32_16x16x16_f16 v[85:92], v[33:40], v[41:48], v[85:92]
	s_delay_alu instid0(VALU_DEP_1) | instskip(NEXT) | instid1(VALU_DEP_1)
	v_wmma_f32_16x16x16_f16 v[85:92], v[33:40], v[57:64], v[85:92]
	v_wmma_f32_16x16x16_f16 v[85:92], v[25:32], v[9:16], v[85:92]
	s_delay_alu instid0(VALU_DEP_1) | instskip(NEXT) | instid1(VALU_DEP_1)
	v_wmma_f32_16x16x16_f16 v[85:92], v[25:32], v[49:56], v[85:92]
	v_wmma_f32_16x16x16_f16 v[85:92], v[17:24], v[1:8], v[85:92]
	s_delay_alu instid0(VALU_DEP_1) | instskip(NEXT) | instid1(VALU_DEP_2)
	v_cvt_f16_f32_e32 v1, v85
	v_cvt_f16_f32_e32 v2, v86
	s_delay_alu instid0(VALU_DEP_3) | instskip(NEXT) | instid1(VALU_DEP_4)
	v_cvt_f16_f32_e32 v3, v87
	v_cvt_f16_f32_e32 v4, v88
	;; [unrolled: 1-line block ×6, first 2 shown]
	v_pack_b32_f16 v1, v1, v2
	v_pack_b32_f16 v2, v3, v4
	;; [unrolled: 1-line block ×3, first 2 shown]
	s_delay_alu instid0(VALU_DEP_4)
	v_pack_b32_f16 v4, v7, v8
	ds_store_b128 v79, v[1:4]
	s_waitcnt lgkmcnt(0)
	s_barrier
	buffer_gl0_inv
	ds_load_b128 v[1:4], v81
	ds_load_b128 v[5:8], v81 offset:16
	s_waitcnt lgkmcnt(1)
	v_lshrrev_b32_e32 v9, 16, v1
	s_waitcnt lgkmcnt(0)
	v_lshrrev_b32_e32 v13, 16, v5
	v_lshrrev_b32_e32 v15, 16, v7
	;; [unrolled: 1-line block ×4, first 2 shown]
	v_cndmask_b32_e64 v17, v1, v9, s3
	v_cndmask_b32_e64 v18, v5, v13, s3
	;; [unrolled: 1-line block ×3, first 2 shown]
	v_cmp_eq_u32_e64 s3, 2, v82
	v_cndmask_b32_e64 v20, v5, v13, s5
	v_cndmask_b32_e32 v21, v1, v9, vcc_lo
	v_cndmask_b32_e32 v22, v5, v13, vcc_lo
	v_cndmask_b32_e64 v1, v1, v9, s4
	v_cndmask_b32_e64 v5, v5, v13, s4
	v_cmp_eq_u32_e32 vcc_lo, 2, v84
	v_cmp_eq_u32_e64 s4, 2, v83
	v_cndmask_b32_e64 v9, v17, v2, s6
	v_cndmask_b32_e64 v13, v18, v6, s6
	;; [unrolled: 1-line block ×4, first 2 shown]
	v_cndmask_b32_e32 v19, v21, v2, vcc_lo
	v_cmp_eq_u32_e64 s3, 3, v84
	v_cndmask_b32_e32 v20, v22, v6, vcc_lo
	v_cndmask_b32_e64 v1, v1, v2, s4
	v_cmp_eq_u32_e32 vcc_lo, 3, v83
	v_cmp_eq_u32_e64 s5, 3, v80
	v_cndmask_b32_e64 v2, v5, v6, s4
	v_cmp_eq_u32_e64 s4, 3, v82
	v_lshrrev_b32_e32 v16, 16, v8
	v_cmp_eq_u32_e64 s6, 4, v80
	v_cndmask_b32_e64 v5, v9, v10, s5
	v_cndmask_b32_e64 v6, v13, v14, s5
	v_cndmask_b32_e64 v9, v17, v10, s4
	v_cmp_eq_u32_e64 s5, 4, v82
	v_cndmask_b32_e64 v13, v18, v14, s4
	v_cndmask_b32_e64 v17, v19, v10, s3
	;; [unrolled: 1-line block ×3, first 2 shown]
	v_cndmask_b32_e32 v1, v1, v10, vcc_lo
	v_cndmask_b32_e32 v2, v2, v14, vcc_lo
	v_cmp_eq_u32_e32 vcc_lo, 4, v84
	v_cmp_eq_u32_e64 s4, 4, v83
	v_lshrrev_b32_e32 v11, 16, v3
	v_cndmask_b32_e64 v5, v5, v3, s6
	v_cndmask_b32_e64 v6, v6, v7, s6
	;; [unrolled: 1-line block ×4, first 2 shown]
	v_cndmask_b32_e32 v13, v17, v3, vcc_lo
	v_cmp_eq_u32_e64 s3, 5, v84
	v_cndmask_b32_e32 v14, v18, v7, vcc_lo
	v_cndmask_b32_e64 v1, v1, v3, s4
	v_cmp_eq_u32_e32 vcc_lo, 5, v83
	v_cmp_eq_u32_e64 s5, 5, v80
	v_cndmask_b32_e64 v2, v2, v7, s4
	v_cmp_eq_u32_e64 s4, 5, v82
	v_cmp_eq_u32_e64 s6, 6, v80
	v_cndmask_b32_e32 v1, v1, v11, vcc_lo
	v_cndmask_b32_e64 v3, v5, v11, s5
	v_cndmask_b32_e64 v5, v6, v15, s5
	;; [unrolled: 1-line block ×3, first 2 shown]
	v_cmp_eq_u32_e64 s5, 6, v82
	v_cndmask_b32_e64 v7, v10, v15, s4
	v_cndmask_b32_e64 v9, v13, v11, s3
	;; [unrolled: 1-line block ×3, first 2 shown]
	v_cndmask_b32_e32 v2, v2, v15, vcc_lo
	v_cmp_eq_u32_e32 vcc_lo, 6, v84
	v_cmp_eq_u32_e64 s3, 6, v83
	v_lshrrev_b32_e32 v12, 16, v4
	v_cndmask_b32_e64 v3, v3, v4, s6
	v_cndmask_b32_e64 v5, v5, v8, s6
	;; [unrolled: 1-line block ×4, first 2 shown]
	v_cndmask_b32_e32 v9, v9, v4, vcc_lo
	v_cmp_eq_u32_e64 s4, 7, v84
	v_cndmask_b32_e32 v10, v10, v8, vcc_lo
	v_cndmask_b32_e64 v1, v1, v4, s3
	v_cmp_eq_u32_e32 vcc_lo, 7, v83
	v_cndmask_b32_e64 v2, v2, v8, s3
	v_cmp_eq_u32_e64 s3, 7, v80
	v_cmp_eq_u32_e64 s5, 7, v82
	v_cndmask_b32_e32 v1, v1, v12, vcc_lo
	s_delay_alu instid0(VALU_DEP_4) | instskip(NEXT) | instid1(VALU_DEP_4)
	v_cndmask_b32_e32 v2, v2, v16, vcc_lo
	v_cndmask_b32_e64 v8, v3, v12, s3
	s_delay_alu instid0(VALU_DEP_4)
	v_cndmask_b32_e64 v6, v6, v12, s5
	v_cndmask_b32_e64 v3, v9, v12, s4
	v_cndmask_b32_e64 v9, v10, v16, s4
	v_cndmask_b32_e64 v7, v7, v16, s5
	v_cndmask_b32_e64 v5, v5, v16, s3
	v_cmp_gt_u32_e32 vcc_lo, 32, v0
	v_perm_b32 v4, v2, v1, 0x5040100
	v_perm_b32 v3, v9, v3, 0x5040100
	;; [unrolled: 1-line block ×4, first 2 shown]
	s_and_b32 s2, vcc_lo, s2
	ds_store_b128 v79, v[1:4]
	s_waitcnt lgkmcnt(0)
	s_barrier
	buffer_gl0_inv
	s_and_saveexec_b32 s3, s2
	s_cbranch_execz .LBB123_2
; %bb.17:
	s_load_b64 s[0:1], s[0:1], 0x68
	s_lshl_b32 s4, s35, 6
	v_or_b32_e32 v2, s31, v75
	s_mul_i32 s2, s4, s34
	v_lshlrev_b32_e32 v0, 10, v0
	s_mul_i32 s2, s2, s7
	v_lshlrev_b32_e32 v1, 4, v76
	s_ashr_i32 s3, s2, 31
	v_mul_lo_u32 v20, v2, s4
	s_lshl_b64 s[2:3], s[2:3], 1
	v_lshlrev_b32_e32 v3, 6, v75
	v_and_b32_e32 v0, 0x3800, v0
	s_delay_alu instid0(VALU_DEP_1) | instskip(NEXT) | instid1(VALU_DEP_4)
	v_or3_b32 v16, v0, v1, v3
	v_ashrrev_i32_e32 v21, 31, v20
	ds_load_b128 v[0:3], v16
	ds_load_b128 v[4:7], v16 offset:128
	s_waitcnt lgkmcnt(0)
	s_add_u32 s2, s0, s2
	s_addc_u32 s3, s1, s3
	s_lshl_b32 s0, s14, 6
	ds_load_b128 v[8:11], v16 offset:256
	ds_load_b128 v[12:15], v16 offset:384
	;; [unrolled: 1-line block ×3, first 2 shown]
	s_ashr_i32 s1, s0, 31
	s_delay_alu instid0(SALU_CYCLE_1) | instskip(NEXT) | instid1(SALU_CYCLE_1)
	s_lshl_b64 s[0:1], s[0:1], 1
	s_add_u32 s0, s2, s0
	s_addc_u32 s1, s3, s1
	s_lshl_b32 s2, s35, 7
	v_add_co_u32 v30, vcc_lo, s0, v73
	v_add_nc_u32_e32 v22, s2, v20
	v_lshlrev_b64 v[20:21], 1, v[20:21]
	v_add_co_ci_u32_e32 v31, vcc_lo, s1, v74, vcc_lo
	s_delay_alu instid0(VALU_DEP_3) | instskip(SKIP_1) | instid1(VALU_DEP_4)
	v_add_nc_u32_e32 v24, s2, v22
	v_ashrrev_i32_e32 v23, 31, v22
	v_add_co_u32 v20, vcc_lo, v30, v20
	s_delay_alu instid0(VALU_DEP_4) | instskip(NEXT) | instid1(VALU_DEP_4)
	v_add_co_ci_u32_e32 v21, vcc_lo, v31, v21, vcc_lo
	v_add_nc_u32_e32 v26, s2, v24
	v_ashrrev_i32_e32 v25, 31, v24
	v_lshlrev_b64 v[22:23], 1, v[22:23]
	s_delay_alu instid0(VALU_DEP_3) | instskip(SKIP_1) | instid1(VALU_DEP_4)
	v_add_nc_u32_e32 v28, s2, v26
	v_ashrrev_i32_e32 v27, 31, v26
	v_lshlrev_b64 v[24:25], 1, v[24:25]
	s_delay_alu instid0(VALU_DEP_4) | instskip(NEXT) | instid1(VALU_DEP_4)
	v_add_co_u32 v22, vcc_lo, v30, v22
	v_ashrrev_i32_e32 v29, 31, v28
	s_delay_alu instid0(VALU_DEP_4) | instskip(SKIP_2) | instid1(VALU_DEP_4)
	v_lshlrev_b64 v[26:27], 1, v[26:27]
	v_add_co_ci_u32_e32 v23, vcc_lo, v31, v23, vcc_lo
	v_add_co_u32 v24, vcc_lo, v30, v24
	v_lshlrev_b64 v[28:29], 1, v[28:29]
	v_add_co_ci_u32_e32 v25, vcc_lo, v31, v25, vcc_lo
	v_add_co_u32 v26, vcc_lo, v30, v26
	v_add_co_ci_u32_e32 v27, vcc_lo, v31, v27, vcc_lo
	s_delay_alu instid0(VALU_DEP_4)
	v_add_co_u32 v28, vcc_lo, v30, v28
	v_add_co_ci_u32_e32 v29, vcc_lo, v31, v29, vcc_lo
	s_clause 0x1
	global_store_b128 v[20:21], v[0:3], off
	global_store_b128 v[22:23], v[4:7], off
	s_waitcnt lgkmcnt(2)
	global_store_b128 v[24:25], v[8:11], off
	s_waitcnt lgkmcnt(1)
	;; [unrolled: 2-line block ×3, first 2 shown]
	global_store_b128 v[28:29], v[16:19], off
	s_nop 0
	s_sendmsg sendmsg(MSG_DEALLOC_VGPRS)
	s_endpgm
	.section	.rodata,"a",@progbits
	.p2align	6, 0x0
	.amdhsa_kernel _Z39paged_attention_ll4mi_QKV_mfma16_kernelIDF16_DF16_LN4vllm18Fp8KVCacheDataTypeE0EhLi32ELi64ELi256ELb1ELi10EL8MFMAType0EEvPKT_PKT0_S8_ifPKiSA_SA_iPKfiiiPfSD_PS3_PT2_iSC_SC_
		.amdhsa_group_segment_fixed_size 17472
		.amdhsa_private_segment_fixed_size 0
		.amdhsa_kernarg_size 400
		.amdhsa_user_sgpr_count 13
		.amdhsa_user_sgpr_dispatch_ptr 0
		.amdhsa_user_sgpr_queue_ptr 0
		.amdhsa_user_sgpr_kernarg_segment_ptr 1
		.amdhsa_user_sgpr_dispatch_id 0
		.amdhsa_user_sgpr_private_segment_size 0
		.amdhsa_wavefront_size32 1
		.amdhsa_uses_dynamic_stack 0
		.amdhsa_enable_private_segment 0
		.amdhsa_system_sgpr_workgroup_id_x 1
		.amdhsa_system_sgpr_workgroup_id_y 1
		.amdhsa_system_sgpr_workgroup_id_z 1
		.amdhsa_system_sgpr_workgroup_info 0
		.amdhsa_system_vgpr_workitem_id 0
		.amdhsa_next_free_vgpr 154
		.amdhsa_next_free_sgpr 39
		.amdhsa_reserve_vcc 1
		.amdhsa_float_round_mode_32 0
		.amdhsa_float_round_mode_16_64 0
		.amdhsa_float_denorm_mode_32 3
		.amdhsa_float_denorm_mode_16_64 3
		.amdhsa_dx10_clamp 1
		.amdhsa_ieee_mode 1
		.amdhsa_fp16_overflow 0
		.amdhsa_workgroup_processor_mode 1
		.amdhsa_memory_ordered 1
		.amdhsa_forward_progress 0
		.amdhsa_shared_vgpr_count 0
		.amdhsa_exception_fp_ieee_invalid_op 0
		.amdhsa_exception_fp_denorm_src 0
		.amdhsa_exception_fp_ieee_div_zero 0
		.amdhsa_exception_fp_ieee_overflow 0
		.amdhsa_exception_fp_ieee_underflow 0
		.amdhsa_exception_fp_ieee_inexact 0
		.amdhsa_exception_int_div_zero 0
	.end_amdhsa_kernel
	.section	.text._Z39paged_attention_ll4mi_QKV_mfma16_kernelIDF16_DF16_LN4vllm18Fp8KVCacheDataTypeE0EhLi32ELi64ELi256ELb1ELi10EL8MFMAType0EEvPKT_PKT0_S8_ifPKiSA_SA_iPKfiiiPfSD_PS3_PT2_iSC_SC_,"axG",@progbits,_Z39paged_attention_ll4mi_QKV_mfma16_kernelIDF16_DF16_LN4vllm18Fp8KVCacheDataTypeE0EhLi32ELi64ELi256ELb1ELi10EL8MFMAType0EEvPKT_PKT0_S8_ifPKiSA_SA_iPKfiiiPfSD_PS3_PT2_iSC_SC_,comdat
.Lfunc_end123:
	.size	_Z39paged_attention_ll4mi_QKV_mfma16_kernelIDF16_DF16_LN4vllm18Fp8KVCacheDataTypeE0EhLi32ELi64ELi256ELb1ELi10EL8MFMAType0EEvPKT_PKT0_S8_ifPKiSA_SA_iPKfiiiPfSD_PS3_PT2_iSC_SC_, .Lfunc_end123-_Z39paged_attention_ll4mi_QKV_mfma16_kernelIDF16_DF16_LN4vllm18Fp8KVCacheDataTypeE0EhLi32ELi64ELi256ELb1ELi10EL8MFMAType0EEvPKT_PKT0_S8_ifPKiSA_SA_iPKfiiiPfSD_PS3_PT2_iSC_SC_
                                        ; -- End function
	.section	.AMDGPU.csdata,"",@progbits
; Kernel info:
; codeLenInByte = 7264
; NumSgprs: 41
; NumVgprs: 154
; ScratchSize: 0
; MemoryBound: 0
; FloatMode: 240
; IeeeMode: 1
; LDSByteSize: 17472 bytes/workgroup (compile time only)
; SGPRBlocks: 5
; VGPRBlocks: 19
; NumSGPRsForWavesPerEU: 41
; NumVGPRsForWavesPerEU: 154
; Occupancy: 9
; WaveLimiterHint : 1
; COMPUTE_PGM_RSRC2:SCRATCH_EN: 0
; COMPUTE_PGM_RSRC2:USER_SGPR: 13
; COMPUTE_PGM_RSRC2:TRAP_HANDLER: 0
; COMPUTE_PGM_RSRC2:TGID_X_EN: 1
; COMPUTE_PGM_RSRC2:TGID_Y_EN: 1
; COMPUTE_PGM_RSRC2:TGID_Z_EN: 1
; COMPUTE_PGM_RSRC2:TIDIG_COMP_CNT: 0
	.section	.text._Z39paged_attention_ll4mi_QKV_mfma16_kernelIDF16_DF16_LN4vllm18Fp8KVCacheDataTypeE0EhLi32ELi64ELi256ELb1ELi11EL8MFMAType0EEvPKT_PKT0_S8_ifPKiSA_SA_iPKfiiiPfSD_PS3_PT2_iSC_SC_,"axG",@progbits,_Z39paged_attention_ll4mi_QKV_mfma16_kernelIDF16_DF16_LN4vllm18Fp8KVCacheDataTypeE0EhLi32ELi64ELi256ELb1ELi11EL8MFMAType0EEvPKT_PKT0_S8_ifPKiSA_SA_iPKfiiiPfSD_PS3_PT2_iSC_SC_,comdat
	.protected	_Z39paged_attention_ll4mi_QKV_mfma16_kernelIDF16_DF16_LN4vllm18Fp8KVCacheDataTypeE0EhLi32ELi64ELi256ELb1ELi11EL8MFMAType0EEvPKT_PKT0_S8_ifPKiSA_SA_iPKfiiiPfSD_PS3_PT2_iSC_SC_ ; -- Begin function _Z39paged_attention_ll4mi_QKV_mfma16_kernelIDF16_DF16_LN4vllm18Fp8KVCacheDataTypeE0EhLi32ELi64ELi256ELb1ELi11EL8MFMAType0EEvPKT_PKT0_S8_ifPKiSA_SA_iPKfiiiPfSD_PS3_PT2_iSC_SC_
	.globl	_Z39paged_attention_ll4mi_QKV_mfma16_kernelIDF16_DF16_LN4vllm18Fp8KVCacheDataTypeE0EhLi32ELi64ELi256ELb1ELi11EL8MFMAType0EEvPKT_PKT0_S8_ifPKiSA_SA_iPKfiiiPfSD_PS3_PT2_iSC_SC_
	.p2align	8
	.type	_Z39paged_attention_ll4mi_QKV_mfma16_kernelIDF16_DF16_LN4vllm18Fp8KVCacheDataTypeE0EhLi32ELi64ELi256ELb1ELi11EL8MFMAType0EEvPKT_PKT0_S8_ifPKiSA_SA_iPKfiiiPfSD_PS3_PT2_iSC_SC_,@function
_Z39paged_attention_ll4mi_QKV_mfma16_kernelIDF16_DF16_LN4vllm18Fp8KVCacheDataTypeE0EhLi32ELi64ELi256ELb1ELi11EL8MFMAType0EEvPKT_PKT0_S8_ifPKiSA_SA_iPKfiiiPfSD_PS3_PT2_iSC_SC_: ; @_Z39paged_attention_ll4mi_QKV_mfma16_kernelIDF16_DF16_LN4vllm18Fp8KVCacheDataTypeE0EhLi32ELi64ELi256ELb1ELi11EL8MFMAType0EEvPKT_PKT0_S8_ifPKiSA_SA_iPKfiiiPfSD_PS3_PT2_iSC_SC_
; %bb.0:
	s_load_b64 s[2:3], s[0:1], 0x30
	s_mov_b32 s34, s13
	s_waitcnt lgkmcnt(0)
	s_cmp_lg_u64 s[2:3], 0
	s_cselect_b32 s6, -1, 0
	s_ashr_i32 s35, s13, 31
	s_cmp_eq_u64 s[2:3], 0
	s_cbranch_scc1 .LBB124_3
; %bb.1:
	s_lshl_b64 s[4:5], s[34:35], 2
	s_delay_alu instid0(SALU_CYCLE_1) | instskip(SKIP_4) | instid1(SALU_CYCLE_1)
	s_add_u32 s4, s2, s4
	s_addc_u32 s5, s3, s5
	s_load_b64 s[4:5], s[4:5], 0x0
	s_waitcnt lgkmcnt(0)
	s_sub_i32 s4, s5, s4
	s_cmp_eq_u32 s4, 1
	s_cselect_b32 s4, -1, 0
	s_delay_alu instid0(SALU_CYCLE_1)
	s_and_not1_b32 vcc_lo, exec_lo, s4
	s_cbranch_vccz .LBB124_4
.LBB124_2:
	s_nop 0
	s_sendmsg sendmsg(MSG_DEALLOC_VGPRS)
	s_endpgm
.LBB124_3:
.LBB124_4:
	s_load_b64 s[8:9], s[0:1], 0x28
	s_lshl_b64 s[4:5], s[34:35], 2
	s_waitcnt lgkmcnt(0)
	s_add_u32 s8, s8, s4
	s_addc_u32 s9, s9, s5
	s_lshl_b32 s16, s14, 8
	s_load_b32 s18, s[8:9], 0x0
	s_waitcnt lgkmcnt(0)
	s_cmp_ge_i32 s16, s18
	s_cbranch_scc1 .LBB124_2
; %bb.5:
	s_and_not1_b32 vcc_lo, exec_lo, s6
	s_cbranch_vccnz .LBB124_7
; %bb.6:
	s_add_u32 s2, s2, s4
	s_addc_u32 s3, s3, s5
	s_load_b32 s17, s[2:3], 0x0
	s_branch .LBB124_8
.LBB124_7:
	s_mov_b32 s17, s34
.LBB124_8:
	s_clause 0x2
	s_load_b128 s[8:11], s[0:1], 0x8
	s_load_b64 s[12:13], s[0:1], 0x20
	s_load_b128 s[4:7], s[0:1], 0x48
	v_lshrrev_b32_e32 v78, 5, v0
	v_bfe_u32 v75, v0, 4, 1
	v_and_b32_e32 v77, 15, v0
	s_delay_alu instid0(VALU_DEP_2) | instskip(NEXT) | instid1(VALU_DEP_2)
	v_lshl_or_b32 v3, v78, 1, v75
	v_cmp_lt_u32_e64 s3, 7, v77
	v_lshlrev_b32_e32 v1, 3, v77
	v_cmp_gt_u32_e64 s2, 8, v77
	s_delay_alu instid0(VALU_DEP_4) | instskip(NEXT) | instid1(VALU_DEP_4)
	v_cmp_lt_u32_e32 vcc_lo, 10, v3
	s_or_b32 s3, s3, vcc_lo
	s_waitcnt lgkmcnt(0)
	s_and_saveexec_b32 s7, s3
	s_delay_alu instid0(SALU_CYCLE_1)
	s_xor_b32 s3, exec_lo, s7
; %bb.9:
	v_mov_b32_e32 v2, 0
                                        ; implicit-def: $vgpr3
; %bb.10:
	s_or_saveexec_b32 s3, s3
	v_and_b32_e32 v80, 31, v0
	v_and_b32_e32 v76, 1, v0
	s_mul_i32 s33, s15, 11
	s_xor_b32 exec_lo, exec_lo, s3
	s_cbranch_execz .LBB124_12
; %bb.11:
	s_load_b64 s[20:21], s[0:1], 0x0
	v_add_lshl_u32 v4, v3, s33, 6
	s_mul_hi_i32 s23, s17, s4
	s_mul_i32 s22, s17, s4
	v_lshlrev_b32_e32 v2, 1, v1
	s_lshl_b64 s[22:23], s[22:23], 1
	v_ashrrev_i32_e32 v5, 31, v4
	v_lshlrev_b32_e32 v3, 6, v3
	v_lshlrev_b32_e32 v8, 10, v76
	s_delay_alu instid0(VALU_DEP_3) | instskip(SKIP_3) | instid1(VALU_DEP_1)
	v_lshlrev_b64 v[4:5], 1, v[4:5]
	s_waitcnt lgkmcnt(0)
	s_add_u32 s4, s20, s22
	s_addc_u32 s7, s21, s23
	v_add_co_u32 v4, vcc_lo, s4, v4
	s_delay_alu instid0(VALU_DEP_2) | instskip(NEXT) | instid1(VALU_DEP_2)
	v_add_co_ci_u32_e32 v5, vcc_lo, s7, v5, vcc_lo
	v_add_co_u32 v4, vcc_lo, v4, v2
	s_delay_alu instid0(VALU_DEP_2) | instskip(SKIP_3) | instid1(VALU_DEP_1)
	v_add_co_ci_u32_e32 v5, vcc_lo, 0, v5, vcc_lo
	v_lshlrev_b32_e32 v2, 10, v77
	global_load_b128 v[4:7], v[4:5], off
	v_and_b32_e32 v2, 0x3800, v2
	v_or3_b32 v3, v2, v8, v3
	v_mov_b32_e32 v2, 0
	s_waitcnt vmcnt(0)
	ds_store_b128 v3, v[4:7]
.LBB124_12:
	s_or_b32 exec_lo, exec_lo, s3
	v_and_b32_e32 v3, 0xef, v0
	s_add_i32 s3, s18, 31
	s_clause 0x1
	s_load_b32 s4, s[0:1], 0x38
	s_load_b32 s35, s[0:1], 0x98
	s_ashr_i32 s7, s3, 31
	v_add_nc_u32_e32 v3, s16, v3
	s_lshr_b32 s7, s7, 27
	s_load_b32 s19, s[0:1], 0x1c
	s_add_i32 s3, s3, s7
	s_waitcnt lgkmcnt(0)
	v_ashrrev_i32_e32 v4, 31, v3
	v_cmp_gt_i32_e32 vcc_lo, s18, v3
	s_ashr_i32 s3, s3, 5
	s_barrier
	s_add_i32 s3, s3, -1
	v_lshrrev_b32_e32 v5, 27, v4
	v_or_b32_e32 v4, 16, v3
	buffer_gl0_inv
	s_mul_i32 s6, s15, s6
	v_lshlrev_b64 v[73:74], 1, v[1:2]
	v_add_nc_u32_e32 v6, v3, v5
	v_add_nc_u32_e32 v5, v4, v5
	s_mul_i32 s20, s34, s4
	s_delay_alu instid0(SALU_CYCLE_1) | instskip(NEXT) | instid1(VALU_DEP_2)
	s_ashr_i32 s21, s20, 31
	v_ashrrev_i32_e32 v6, 5, v6
	s_delay_alu instid0(VALU_DEP_2) | instskip(SKIP_1) | instid1(SALU_CYCLE_1)
	v_ashrrev_i32_e32 v5, 5, v5
	s_lshl_b64 s[20:21], s[20:21], 2
	s_add_u32 s4, s12, s20
	s_delay_alu instid0(VALU_DEP_2) | instskip(SKIP_3) | instid1(SALU_CYCLE_1)
	v_cndmask_b32_e32 v3, s3, v6, vcc_lo
	v_cmp_gt_i32_e32 vcc_lo, s18, v4
	s_addc_u32 s17, s13, s21
	s_ashr_i32 s7, s6, 31
	s_lshl_b64 s[6:7], s[6:7], 1
	v_cndmask_b32_e32 v5, s3, v5, vcc_lo
	v_ashrrev_i32_e32 v4, 31, v3
	s_add_u32 s15, s8, s6
	s_addc_u32 s28, s9, s7
	s_lshl_b32 s8, s14, 3
	v_ashrrev_i32_e32 v6, 31, v5
	v_lshlrev_b64 v[3:4], 2, v[3:4]
	s_ashr_i32 s9, s8, 31
	s_delay_alu instid0(SALU_CYCLE_1) | instskip(NEXT) | instid1(VALU_DEP_2)
	s_lshl_b64 s[8:9], s[8:9], 2
	v_lshlrev_b64 v[5:6], 2, v[5:6]
	s_add_u32 s8, s4, s8
	s_delay_alu instid0(VALU_DEP_2) | instskip(SKIP_1) | instid1(VALU_DEP_3)
	v_add_co_u32 v3, vcc_lo, s4, v3
	v_add_co_ci_u32_e32 v4, vcc_lo, s17, v4, vcc_lo
	v_add_co_u32 v5, vcc_lo, s4, v5
	s_delay_alu instid0(VALU_DEP_4)
	v_add_co_ci_u32_e32 v6, vcc_lo, s17, v6, vcc_lo
	s_addc_u32 s9, s17, s9
	s_clause 0x1
	global_load_b32 v7, v[3:4], off
	global_load_b32 v8, v[5:6], off
	s_or_b32 s12, s16, 32
	s_delay_alu instid0(SALU_CYCLE_1) | instskip(SKIP_2) | instid1(SALU_CYCLE_1)
	s_ashr_i32 s13, s12, 5
	s_cmp_lt_i32 s12, s18
	s_cselect_b32 s12, s13, s3
	s_ashr_i32 s13, s12, 31
	s_delay_alu instid0(SALU_CYCLE_1) | instskip(NEXT) | instid1(SALU_CYCLE_1)
	s_lshl_b64 s[12:13], s[12:13], 2
	s_add_u32 s12, s4, s12
	s_addc_u32 s13, s17, s13
	s_or_b32 s20, s16, 64
	s_delay_alu instid0(SALU_CYCLE_1) | instskip(SKIP_2) | instid1(SALU_CYCLE_1)
	s_ashr_i32 s21, s20, 5
	s_cmp_lt_i32 s20, s18
	s_cselect_b32 s20, s21, s3
	s_ashr_i32 s21, s20, 31
	s_delay_alu instid0(SALU_CYCLE_1) | instskip(NEXT) | instid1(SALU_CYCLE_1)
	s_lshl_b64 s[20:21], s[20:21], 2
	s_add_u32 s20, s4, s20
	s_addc_u32 s21, s17, s21
	;; [unrolled: 10-line block ×5, first 2 shown]
	s_clause 0x5
	s_load_b32 s29, s[8:9], 0x0
	s_load_b32 s30, s[12:13], 0x0
	;; [unrolled: 1-line block ×6, first 2 shown]
	s_mov_b32 s20, 0
	s_or_b32 s8, s16, 0xc0
	s_mov_b32 s21, s20
	s_mov_b32 s22, s20
	;; [unrolled: 1-line block ×7, first 2 shown]
	s_ashr_i32 s9, s8, 5
	v_mov_b32_e32 v128, s27
	s_cmp_lt_i32 s8, s18
	v_mov_b32_e32 v127, s26
	s_cselect_b32 s8, s9, s3
	v_mov_b32_e32 v126, s25
	s_ashr_i32 s9, s8, 31
	v_mov_b32_e32 v125, s24
	s_lshl_b64 s[8:9], s[8:9], 2
	v_mov_b32_e32 v124, s23
	s_add_u32 s8, s4, s8
	s_addc_u32 s9, s17, s9
	v_mov_b32_e32 v123, s22
	v_mov_b32_e32 v121, s20
	s_waitcnt lgkmcnt(0)
	s_mul_hi_i32 s13, s29, s5
	s_mul_i32 s12, s29, s5
	v_mov_b32_e32 v122, s21
	s_mul_hi_i32 s21, s30, s5
	s_mul_i32 s20, s30, s5
	s_mul_hi_i32 s25, s31, s5
	s_mul_i32 s24, s31, s5
	;; [unrolled: 2-line block ×4, first 2 shown]
	s_waitcnt vmcnt(1)
	v_mad_i64_i32 v[3:4], null, v7, s5, 0
	s_waitcnt vmcnt(0)
	v_mad_i64_i32 v[5:6], null, v8, s5, 0
	s_delay_alu instid0(VALU_DEP_2) | instskip(NEXT) | instid1(VALU_DEP_2)
	v_lshlrev_b64 v[3:4], 1, v[3:4]
	v_lshlrev_b64 v[1:2], 1, v[5:6]
	s_delay_alu instid0(VALU_DEP_2) | instskip(NEXT) | instid1(VALU_DEP_3)
	v_add_co_u32 v3, vcc_lo, s15, v3
	v_add_co_ci_u32_e32 v4, vcc_lo, s28, v4, vcc_lo
	s_delay_alu instid0(VALU_DEP_3) | instskip(NEXT) | instid1(VALU_DEP_4)
	v_add_co_u32 v1, vcc_lo, s15, v1
	v_add_co_ci_u32_e32 v2, vcc_lo, s28, v2, vcc_lo
	s_delay_alu instid0(VALU_DEP_4) | instskip(NEXT) | instid1(VALU_DEP_4)
	v_add_co_u32 v25, vcc_lo, v3, v73
	v_add_co_ci_u32_e32 v26, vcc_lo, v4, v74, vcc_lo
	s_delay_alu instid0(VALU_DEP_4) | instskip(NEXT) | instid1(VALU_DEP_4)
	v_add_co_u32 v27, vcc_lo, v1, v73
	v_add_co_ci_u32_e32 v28, vcc_lo, v2, v74, vcc_lo
	s_clause 0xf
	global_load_b128 v[1:4], v[25:26], off
	global_load_b128 v[5:8], v[25:26], off offset:512
	global_load_b128 v[9:12], v[27:28], off offset:256
	;; [unrolled: 1-line block ×15, first 2 shown]
	v_add_nc_u32_e32 v25, -11, v77
	v_cmp_gt_u32_e32 vcc_lo, 11, v77
	s_or_b32 s15, s16, 0xe0
	s_delay_alu instid0(SALU_CYCLE_1) | instskip(SKIP_3) | instid1(SALU_CYCLE_1)
	s_ashr_i32 s22, s15, 5
	s_cmp_lt_i32 s15, s18
	v_cndmask_b32_e32 v25, v25, v77, vcc_lo
	s_cselect_b32 s22, s22, s3
	s_ashr_i32 s23, s22, 31
	s_delay_alu instid0(VALU_DEP_1)
	v_lshlrev_b32_e32 v151, 6, v25
	ds_load_b128 v[25:28], v151
	ds_load_b128 v[29:32], v151 offset:1024
	ds_load_b128 v[129:132], v151 offset:2048
	;; [unrolled: 1-line block ×3, first 2 shown]
	s_lshl_b64 s[22:23], s[22:23], 2
	s_delay_alu instid0(SALU_CYCLE_1) | instskip(SKIP_2) | instid1(SALU_CYCLE_1)
	s_add_u32 s22, s4, s22
	s_addc_u32 s23, s17, s23
	s_add_i32 s15, s16, 0x100
	s_ashr_i32 s28, s15, 5
	s_cmp_lt_i32 s15, s18
	s_load_b32 s15, s[8:9], 0x0
	s_cselect_b32 s28, s28, s3
	s_mul_hi_i32 s9, s37, s5
	s_ashr_i32 s29, s28, 31
	s_mul_i32 s8, s37, s5
	s_lshl_b64 s[28:29], s[28:29], 2
	s_delay_alu instid0(SALU_CYCLE_1)
	s_add_u32 s28, s4, s28
	s_addc_u32 s29, s17, s29
	s_add_u32 s3, s10, s6
	s_clause 0x1
	s_load_b32 s4, s[22:23], 0x0
	s_load_b32 s17, s[28:29], 0x0
	s_addc_u32 s28, s11, s7
	s_lshl_b64 s[6:7], s[12:13], 1
	s_lshl_b64 s[10:11], s[20:21], 1
	;; [unrolled: 1-line block ×6, first 2 shown]
	s_waitcnt lgkmcnt(0)
	s_mul_hi_i32 s25, s15, s5
	s_mul_i32 s24, s15, s5
	s_delay_alu instid0(SALU_CYCLE_1)
	s_lshl_b64 s[24:25], s[24:25], 1
	s_waitcnt vmcnt(14)
	v_wmma_f32_16x16x16_f16 v[137:144], v[1:8], v[25:32], v[121:128]
	s_waitcnt vmcnt(12)
	v_wmma_f32_16x16x16_f16 v[121:128], v[9:16], v[25:32], v[121:128]
	s_waitcnt vmcnt(10)
	s_delay_alu instid0(VALU_DEP_2) | instskip(SKIP_1) | instid1(VALU_DEP_2)
	v_wmma_f32_16x16x16_f16 v[137:144], v[17:24], v[129:136], v[137:144]
	s_waitcnt vmcnt(8)
	v_wmma_f32_16x16x16_f16 v[121:128], v[81:88], v[129:136], v[121:128]
	v_mbcnt_lo_u32_b32 v130, -1, 0
	s_delay_alu instid0(VALU_DEP_1) | instskip(SKIP_1) | instid1(VALU_DEP_1)
	v_xor_b32_e32 v131, 16, v130
	v_lshlrev_b32_e32 v79, 6, v77
	v_lshl_or_b32 v33, v78, 10, v79
	s_delay_alu instid0(VALU_DEP_1) | instskip(NEXT) | instid1(VALU_DEP_1)
	v_add_co_u32 v152, s3, s3, v33
	v_add_co_ci_u32_e64 v153, null, s28, 0, s3
	s_delay_alu instid0(VALU_DEP_2) | instskip(NEXT) | instid1(VALU_DEP_2)
	v_add_co_u32 v33, vcc_lo, v152, s6
	v_add_co_ci_u32_e32 v34, vcc_lo, s7, v153, vcc_lo
	v_add_co_u32 v35, vcc_lo, v152, s10
	v_add_co_ci_u32_e32 v36, vcc_lo, s11, v153, vcc_lo
	;; [unrolled: 2-line block ×6, first 2 shown]
	s_mul_hi_i32 s7, s4, s5
	s_mul_i32 s6, s4, s5
	v_add_co_u32 v149, vcc_lo, v152, s24
	s_lshl_b64 s[6:7], s[6:7], 1
	v_add_co_ci_u32_e32 v150, vcc_lo, s25, v153, vcc_lo
	v_add_co_u32 v29, vcc_lo, v152, s6
	v_add_co_ci_u32_e32 v30, vcc_lo, s7, v153, vcc_lo
	s_mul_hi_i32 s7, s17, s5
	s_mul_i32 s6, s17, s5
	s_clause 0x7
	global_load_b128 v[65:68], v[33:34], off
	global_load_b128 v[69:72], v[33:34], off offset:16
	global_load_b128 v[57:60], v[35:36], off
	global_load_b128 v[61:64], v[35:36], off offset:16
	;; [unrolled: 2-line block ×4, first 2 shown]
	s_lshl_b64 s[4:5], s[6:7], 1
	s_clause 0x1
	global_load_b128 v[9:12], v[145:146], off
	global_load_b128 v[13:16], v[145:146], off offset:16
	v_add_co_u32 v21, vcc_lo, v152, s4
	v_add_co_ci_u32_e32 v22, vcc_lo, s5, v153, vcc_lo
	s_clause 0x7
	global_load_b128 v[1:4], v[147:148], off
	global_load_b128 v[5:8], v[147:148], off offset:16
	global_load_b128 v[33:36], v[149:150], off
	global_load_b128 v[37:40], v[149:150], off offset:16
	global_load_b128 v[25:28], v[29:30], off
	global_load_b128 v[29:32], v[29:30], off offset:16
	global_load_b128 v[17:20], v[21:22], off
	global_load_b128 v[21:24], v[21:22], off offset:16
	ds_load_b128 v[81:84], v151 offset:4096
	ds_load_b128 v[85:88], v151 offset:5120
	v_cmp_gt_i32_e32 vcc_lo, 32, v131
	v_cndmask_b32_e32 v130, v130, v131, vcc_lo
	s_waitcnt vmcnt(24) lgkmcnt(0)
	v_wmma_f32_16x16x16_f16 v[137:144], v[89:96], v[81:88], v[137:144]
	ds_load_b128 v[89:92], v151 offset:6144
	ds_load_b128 v[93:96], v151 offset:7168
	s_waitcnt vmcnt(22)
	v_wmma_f32_16x16x16_f16 v[121:128], v[97:104], v[81:88], v[121:128]
	s_waitcnt vmcnt(0) lgkmcnt(0)
	s_barrier
	buffer_gl0_inv
	v_wmma_f32_16x16x16_f16 v[121:128], v[113:120], v[89:96], v[121:128]
	v_and_b32_e32 v129, 0xe0, v0
	v_wmma_f32_16x16x16_f16 v[137:144], v[105:112], v[89:96], v[137:144]
	s_delay_alu instid0(VALU_DEP_2) | instskip(NEXT) | instid1(VALU_DEP_2)
	v_dual_mul_f32 v104, s19, v126 :: v_dual_add_nc_u32 v129, s16, v129
	v_dual_mul_f32 v106, s19, v124 :: v_dual_mul_f32 v95, s19, v138
	s_delay_alu instid0(VALU_DEP_3) | instskip(NEXT) | instid1(VALU_DEP_3)
	v_dual_mul_f32 v96, s19, v137 :: v_dual_mul_f32 v93, s19, v140
	v_or_b32_e32 v129, v129, v75
	v_dual_mul_f32 v94, s19, v139 :: v_dual_mul_f32 v91, s19, v142
	v_dual_mul_f32 v92, s19, v141 :: v_dual_mul_f32 v89, s19, v144
	v_mul_f32_e32 v108, s19, v122
	s_delay_alu instid0(VALU_DEP_4)
	v_or_b32_e32 v131, 2, v129
	v_or_b32_e32 v132, 4, v129
	;; [unrolled: 1-line block ×3, first 2 shown]
	v_cmp_gt_i32_e32 vcc_lo, s18, v129
	v_or_b32_e32 v82, 8, v129
	v_cmp_gt_i32_e64 s3, s18, v131
	v_or_b32_e32 v83, 10, v129
	v_cmp_gt_i32_e64 s4, s18, v132
	v_cndmask_b32_e32 v96, 0xff7fffff, v96, vcc_lo
	v_cmp_gt_i32_e64 s5, s18, v81
	v_cndmask_b32_e64 v95, 0xff7fffff, v95, s3
	v_or_b32_e32 v84, 12, v129
	v_or_b32_e32 v85, 14, v129
	v_cndmask_b32_e64 v94, 0xff7fffff, v94, s4
	v_cndmask_b32_e64 v81, 0xff7fffff, v93, s5
	v_max3_f32 v93, v96, 0xff7fffff, v95
	v_cmp_gt_i32_e64 s6, s18, v82
	v_cmp_gt_i32_e64 s7, s18, v83
	v_or_b32_e32 v86, 16, v129
	v_or_b32_e32 v87, 18, v129
	v_mul_f32_e32 v90, s19, v143
	v_cndmask_b32_e64 v82, 0xff7fffff, v92, s6
	v_cndmask_b32_e64 v83, 0xff7fffff, v91, s7
	v_max3_f32 v81, v93, v94, v81
	v_cmp_gt_i32_e64 s8, s18, v84
	v_cmp_gt_i32_e64 s9, s18, v85
	v_or_b32_e32 v88, 20, v129
	v_or_b32_e32 v97, 22, v129
	v_mul_f32_e32 v109, s19, v121
	;; [unrolled: 8-line block ×4, first 2 shown]
	v_cndmask_b32_e64 v84, 0xff7fffff, v107, s12
	v_cndmask_b32_e64 v85, 0xff7fffff, v106, s13
	v_max3_f32 v81, v81, v82, v83
	v_cmp_gt_i32_e64 s15, s18, v98
	v_cmp_gt_i32_e64 s16, s18, v99
	v_dual_mul_f32 v102, s19, v128 :: v_dual_mul_f32 v103, s19, v127
	s_delay_alu instid0(VALU_DEP_4) | instskip(NEXT) | instid1(VALU_DEP_4)
	v_max3_f32 v81, v81, v84, v85
	v_cndmask_b32_e64 v82, 0xff7fffff, v105, s15
	s_delay_alu instid0(VALU_DEP_4) | instskip(SKIP_2) | instid1(VALU_DEP_3)
	v_cndmask_b32_e64 v83, 0xff7fffff, v104, s16
	v_cmp_gt_i32_e64 s17, s18, v100
	v_cmp_gt_i32_e64 s18, s18, v101
	v_max3_f32 v81, v81, v82, v83
	s_delay_alu instid0(VALU_DEP_3) | instskip(NEXT) | instid1(VALU_DEP_3)
	v_cndmask_b32_e64 v84, 0xff7fffff, v103, s17
	v_cndmask_b32_e64 v85, 0xff7fffff, v102, s18
	v_lshlrev_b32_e32 v83, 2, v130
	s_delay_alu instid0(VALU_DEP_2) | instskip(SKIP_3) | instid1(VALU_DEP_1)
	v_max3_f32 v81, v81, v84, v85
	ds_bpermute_b32 v82, v83, v81
	s_waitcnt lgkmcnt(0)
	v_max_f32_e32 v82, v82, v82
	v_max_f32_e32 v81, v81, v82
	s_delay_alu instid0(VALU_DEP_1)
	v_fma_f32 v82, s19, v137, -v81
	v_fma_f32 v84, s19, v138, -v81
	v_fma_f32 v85, s19, v139, -v81
	v_fma_f32 v86, s19, v140, -v81
	v_fma_f32 v87, s19, v141, -v81
	v_mul_f32_e32 v82, 0x3fb8aa3b, v82
	s_delay_alu instid0(VALU_DEP_4) | instskip(NEXT) | instid1(VALU_DEP_3)
	v_dual_mul_f32 v84, 0x3fb8aa3b, v84 :: v_dual_mul_f32 v85, 0x3fb8aa3b, v85
	v_dual_mul_f32 v86, 0x3fb8aa3b, v86 :: v_dual_mul_f32 v89, 0x3fb8aa3b, v87
	s_delay_alu instid0(VALU_DEP_3) | instskip(NEXT) | instid1(VALU_DEP_2)
	v_exp_f32_e32 v82, v82
	v_exp_f32_e32 v84, v84
	s_delay_alu instid0(VALU_DEP_2) | instskip(NEXT) | instid1(VALU_DEP_1)
	v_exp_f32_e32 v85, v85
	v_exp_f32_e32 v86, v86
	;; [unrolled: 1-line block ×3, first 2 shown]
	v_cndmask_b32_e32 v88, 0, v82, vcc_lo
	v_cndmask_b32_e64 v87, 0, v84, s3
	s_delay_alu instid0(TRANS32_DEP_3)
	v_cndmask_b32_e64 v90, 0, v85, s4
	s_waitcnt_depctr 0xfff
	v_cndmask_b32_e64 v89, 0, v86, s5
	v_cndmask_b32_e64 v92, 0, v92, s6
	v_add_f32_e32 v84, 0, v88
	v_cmp_gt_u32_e64 s3, 16, v80
	s_delay_alu instid0(VALU_DEP_2) | instskip(NEXT) | instid1(VALU_DEP_1)
	v_add_f32_e32 v84, v84, v87
	v_add_f32_e32 v84, v84, v90
	s_delay_alu instid0(VALU_DEP_1)
	v_add_f32_e32 v84, v84, v89
	v_fma_f32 v82, s19, v142, -v81
	v_fma_f32 v91, s19, v143, -v81
	;; [unrolled: 1-line block ×5, first 2 shown]
	s_delay_alu instid0(VALU_DEP_4) | instskip(SKIP_1) | instid1(VALU_DEP_4)
	v_dual_mul_f32 v82, 0x3fb8aa3b, v82 :: v_dual_mul_f32 v91, 0x3fb8aa3b, v91
	v_fma_f32 v96, s19, v124, -v81
	v_mul_f32_e32 v86, 0x3fb8aa3b, v86
	s_delay_alu instid0(VALU_DEP_4) | instskip(NEXT) | instid1(VALU_DEP_4)
	v_mul_f32_e32 v95, 0x3fb8aa3b, v94
	v_exp_f32_e32 v82, v82
	v_exp_f32_e32 v93, v91
	v_mul_f32_e32 v97, 0x3fb8aa3b, v96
	v_exp_f32_e32 v86, v86
	v_fma_f32 v99, s19, v127, -v81
	s_delay_alu instid0(VALU_DEP_2) | instskip(SKIP_2) | instid1(TRANS32_DEP_3)
	v_exp_f32_e32 v97, v97
	v_cndmask_b32_e64 v91, 0, v82, s7
	v_dual_add_f32 v82, v84, v92 :: v_dual_mul_f32 v85, 0x3fb8aa3b, v85
	v_cndmask_b32_e64 v94, 0, v93, s8
	v_fma_f32 v84, s19, v123, -v81
	s_delay_alu instid0(TRANS32_DEP_2) | instskip(NEXT) | instid1(VALU_DEP_4)
	v_cndmask_b32_e64 v96, 0, v86, s10
	v_add_f32_e32 v82, v82, v91
	v_exp_f32_e32 v85, v85
	v_fma_f32 v86, s19, v126, -v81
	v_mul_f32_e32 v84, 0x3fb8aa3b, v84
	v_cndmask_b32_e64 v97, 0, v97, s13
	v_add_f32_e32 v82, v82, v94
	s_delay_alu instid0(VALU_DEP_3) | instskip(SKIP_3) | instid1(VALU_DEP_2)
	v_exp_f32_e32 v84, v84
	s_waitcnt_depctr 0xfff
	v_cndmask_b32_e64 v93, 0, v85, s9
	v_fma_f32 v85, s19, v125, -v81
	v_add_f32_e32 v82, v82, v93
	v_exp_f32_e32 v95, v95
	s_delay_alu instid0(VALU_DEP_2)
	v_mul_f32_e32 v85, 0x3fb8aa3b, v85
	v_cndmask_b32_e64 v98, 0, v84, s12
	v_mul_f32_e32 v84, 0x3fb8aa3b, v99
	v_add_f32_e32 v82, v82, v96
	v_fma_f32 v99, s19, v128, -v81
	v_exp_f32_e32 v85, v85
	v_mul_f32_e32 v86, 0x3fb8aa3b, v86
	v_exp_f32_e32 v84, v84
	s_delay_alu instid0(TRANS32_DEP_3) | instskip(NEXT) | instid1(VALU_DEP_1)
	v_cndmask_b32_e64 v95, 0, v95, s11
	v_add_f32_e32 v82, v82, v95
	s_waitcnt_depctr 0xfff
	v_cndmask_b32_e64 v100, 0, v85, s15
	v_mul_f32_e32 v85, 0x3fb8aa3b, v99
	v_exp_f32_e32 v86, v86
	v_cndmask_b32_e64 v102, 0, v84, s17
	v_add_f32_e32 v82, v82, v98
	s_delay_alu instid0(VALU_DEP_3) | instskip(NEXT) | instid1(VALU_DEP_1)
	v_exp_f32_e32 v85, v85
	v_add_f32_e32 v82, v82, v97
	s_waitcnt_depctr 0xfff
	v_cndmask_b32_e64 v99, 0, v86, s16
	v_add_f32_e32 v82, v82, v100
	v_cndmask_b32_e64 v101, 0, v85, s18
	s_delay_alu instid0(VALU_DEP_2) | instskip(NEXT) | instid1(VALU_DEP_1)
	v_add_f32_e32 v82, v82, v99
	v_add_f32_e32 v82, v82, v102
	s_delay_alu instid0(VALU_DEP_1)
	v_add_f32_e32 v82, v82, v101
	ds_bpermute_b32 v83, v83, v82
	s_and_saveexec_b32 s4, s3
	s_cbranch_execz .LBB124_14
; %bb.13:
	v_mul_u32_u24_e32 v80, 0x44, v78
	s_waitcnt lgkmcnt(0)
	v_add_f32_e32 v82, v82, v83
	s_delay_alu instid0(VALU_DEP_2) | instskip(NEXT) | instid1(VALU_DEP_1)
	v_lshl_add_u32 v80, v77, 2, v80
	v_add_nc_u32_e32 v80, 0x4000, v80
	ds_store_2addr_b32 v80, v81, v82 offset1:136
.LBB124_14:
	s_or_b32 exec_lo, exec_lo, s4
	v_lshlrev_b32_e32 v80, 2, v77
	s_load_b32 s36, s[0:1], 0x94
	s_waitcnt lgkmcnt(0)
	s_barrier
	buffer_gl0_inv
	v_add_nc_u32_e32 v84, 0x4000, v80
	v_cmp_eq_u32_e32 vcc_lo, 1, v78
	v_cmp_eq_u32_e64 s4, 2, v78
	v_cmp_eq_u32_e64 s5, 3, v78
	;; [unrolled: 1-line block ×3, first 2 shown]
	ds_load_2addr_b32 v[80:81], v84 offset1:17
	ds_load_2addr_b32 v[82:83], v84 offset0:34 offset1:51
	ds_load_2addr_b32 v[103:104], v84 offset0:68 offset1:85
	;; [unrolled: 1-line block ×3, first 2 shown]
	v_cmp_eq_u32_e64 s7, 7, v78
	s_waitcnt lgkmcnt(3)
	v_max3_f32 v85, v80, 0xff7fffff, v81
	s_waitcnt lgkmcnt(2)
	s_delay_alu instid0(VALU_DEP_1) | instskip(SKIP_1) | instid1(VALU_DEP_1)
	v_max3_f32 v85, v85, v82, v83
	s_waitcnt lgkmcnt(1)
	v_max3_f32 v85, v85, v103, v104
	s_waitcnt lgkmcnt(0)
	s_delay_alu instid0(VALU_DEP_1) | instskip(NEXT) | instid1(VALU_DEP_1)
	v_max3_f32 v85, v85, v105, v106
	v_sub_f32_e32 v103, v103, v85
	ds_load_2addr_b32 v[107:108], v84 offset0:136 offset1:153
	v_sub_f32_e32 v80, v80, v85
	v_dual_sub_f32 v110, v83, v85 :: v_dual_mul_f32 v113, 0x3fb8aa3b, v103
	s_delay_alu instid0(VALU_DEP_2) | instskip(SKIP_3) | instid1(VALU_DEP_1)
	v_dual_sub_f32 v86, v81, v85 :: v_dual_mul_f32 v109, 0x3fb8aa3b, v80
	ds_load_2addr_b32 v[80:81], v84 offset0:170 offset1:187
	v_mul_f32_e32 v86, 0x3fb8aa3b, v86
	v_exp_f32_e32 v109, v109
	v_exp_f32_e32 v112, v86
	v_mul_f32_e32 v110, 0x3fb8aa3b, v110
	s_waitcnt lgkmcnt(1)
	s_waitcnt_depctr 0xfff
	v_fma_f32 v86, v109, v107, 0
	v_sub_f32_e32 v107, v104, v85
	v_sub_f32_e32 v82, v82, v85
	v_exp_f32_e32 v110, v110
	ds_load_2addr_b32 v[103:104], v84 offset0:238 offset1:255
	v_dual_fmac_f32 v86, v112, v108 :: v_dual_mul_f32 v111, 0x3fb8aa3b, v82
	ds_load_2addr_b32 v[82:83], v84 offset0:204 offset1:221
	v_dual_sub_f32 v84, v105, v85 :: v_dual_mul_f32 v105, 0x3fb8aa3b, v107
	v_exp_f32_e32 v107, v113
	v_exp_f32_e32 v111, v111
	s_waitcnt lgkmcnt(0)
	s_delay_alu instid0(VALU_DEP_1)
	v_mul_f32_e32 v84, 0x3fb8aa3b, v84
	v_exp_f32_e32 v105, v105
	s_barrier
	buffer_gl0_inv
	v_fmac_f32_e32 v86, v111, v80
	v_sub_f32_e32 v80, v106, v85
	v_exp_f32_e32 v106, v84
	s_delay_alu instid0(VALU_DEP_2) | instskip(NEXT) | instid1(VALU_DEP_2)
	v_fmac_f32_e32 v86, v110, v81
	v_mul_f32_e32 v80, 0x3fb8aa3b, v80
	s_delay_alu instid0(VALU_DEP_2) | instskip(NEXT) | instid1(VALU_DEP_2)
	v_dual_cndmask_b32 v81, v109, v112 :: v_dual_fmac_f32 v86, v107, v82
	v_exp_f32_e32 v108, v80
	s_delay_alu instid0(VALU_DEP_1) | instskip(SKIP_2) | instid1(VALU_DEP_1)
	v_fmac_f32_e32 v86, v105, v83
	s_waitcnt_depctr 0xfff
	v_fmac_f32_e32 v86, v106, v103
	v_fmac_f32_e32 v86, v108, v104
	s_delay_alu instid0(VALU_DEP_1) | instskip(NEXT) | instid1(VALU_DEP_1)
	v_add_f32_e32 v103, 0x358637bd, v86
	v_div_scale_f32 v104, null, v103, v103, 1.0
	v_div_scale_f32 v109, vcc_lo, 1.0, v103, 1.0
	s_delay_alu instid0(VALU_DEP_2) | instskip(SKIP_2) | instid1(VALU_DEP_1)
	v_rcp_f32_e32 v113, v104
	s_waitcnt_depctr 0xfff
	v_fma_f32 v80, -v104, v113, 1.0
	v_fmac_f32_e32 v113, v80, v113
	v_cndmask_b32_e64 v80, v81, v111, s4
	v_cmp_eq_u32_e64 s4, 4, v78
	v_lshl_or_b32 v81, v78, 11, v79
	s_delay_alu instid0(VALU_DEP_4) | instskip(NEXT) | instid1(VALU_DEP_4)
	v_mul_f32_e32 v111, v109, v113
	v_cndmask_b32_e64 v82, v80, v110, s5
	v_cmp_eq_u32_e64 s5, 6, v78
	s_delay_alu instid0(VALU_DEP_4) | instskip(SKIP_3) | instid1(VALU_DEP_3)
	v_lshl_or_b32 v78, v75, 4, v81
	v_lshlrev_b32_e32 v80, 2, v75
	v_fma_f32 v83, -v104, v111, v109
	v_cndmask_b32_e64 v84, v82, v107, s4
	v_or_b32_e32 v82, 1, v80
	s_delay_alu instid0(VALU_DEP_3) | instskip(NEXT) | instid1(VALU_DEP_3)
	v_fmac_f32_e32 v111, v83, v113
	v_cndmask_b32_e64 v105, v84, v105, s6
	v_or_b32_e32 v84, 2, v80
	v_or_b32_e32 v83, 3, v80
	v_cmp_eq_u32_e64 s4, 1, v80
	v_fma_f32 v104, -v104, v111, v109
	v_cndmask_b32_e64 v105, v105, v106, s5
	v_cmp_eq_u32_e64 s10, 1, v82
	v_cmp_eq_u32_e64 s11, 1, v84
	;; [unrolled: 1-line block ×3, first 2 shown]
	v_div_fmas_f32 v104, v104, v113, v111
	v_cndmask_b32_e64 v105, v105, v108, s7
	v_cmp_eq_u32_e32 vcc_lo, 2, v80
	v_cmp_eq_u32_e64 s13, 2, v82
	v_cmp_eq_u32_e64 s16, 2, v84
	v_div_fixup_f32 v103, v104, v103, 1.0
	v_cmp_eq_u32_e64 s17, 2, v83
	v_cmp_eq_u32_e64 s19, 3, v83
	;; [unrolled: 1-line block ×4, first 2 shown]
	v_mul_f32_e32 v111, v105, v103
	v_cmp_eq_u32_e64 s18, 3, v84
	v_cmp_eq_u32_e64 s23, 4, v83
	v_cmp_eq_u32_e64 s6, 4, v80
	v_cmp_eq_u32_e64 s20, 4, v82
	v_fma_mixlo_f16 v103, v111, v88, 0
	v_fma_mixlo_f16 v104, v111, v90, 0
	;; [unrolled: 1-line block ×8, first 2 shown]
	v_fma_mixhi_f16 v103, v111, v87, 0
	v_fma_mixhi_f16 v104, v111, v89, 0
	;; [unrolled: 1-line block ×8, first 2 shown]
	ds_store_b128 v78, v[103:106]
	ds_store_b128 v78, v[107:110] offset:1024
	s_waitcnt lgkmcnt(0)
	s_barrier
	buffer_gl0_inv
	ds_load_b128 v[87:90], v81
	ds_load_b128 v[91:94], v81 offset:16
	ds_load_b128 v[95:98], v81 offset:1024
	;; [unrolled: 1-line block ×3, first 2 shown]
	v_cmp_eq_u32_e64 s22, 4, v84
	v_cmp_eq_u32_e64 s25, 5, v83
	;; [unrolled: 1-line block ×13, first 2 shown]
	s_waitcnt lgkmcnt(3)
	v_lshrrev_b32_e32 v103, 16, v87
	s_waitcnt lgkmcnt(2)
	v_lshrrev_b32_e32 v107, 16, v91
	;; [unrolled: 2-line block ×4, first 2 shown]
	v_lshrrev_b32_e32 v104, 16, v88
	v_cndmask_b32_e64 v119, v87, v103, s4
	v_cndmask_b32_e64 v120, v91, v107, s4
	;; [unrolled: 1-line block ×8, first 2 shown]
	v_lshrrev_b32_e32 v108, 16, v92
	v_cndmask_b32_e64 v103, v95, v111, s4
	v_cndmask_b32_e64 v107, v99, v115, s4
	;; [unrolled: 1-line block ×5, first 2 shown]
	v_cndmask_b32_e32 v111, v119, v88, vcc_lo
	v_cndmask_b32_e64 v119, v121, v88, s13
	v_cndmask_b32_e64 v121, v123, v88, s16
	;; [unrolled: 1-line block ×4, first 2 shown]
	v_lshrrev_b32_e32 v112, 16, v96
	v_lshrrev_b32_e32 v116, 16, v100
	v_cndmask_b32_e64 v126, v99, v115, s10
	v_cndmask_b32_e64 v128, v99, v115, s11
	;; [unrolled: 1-line block ×3, first 2 shown]
	v_cndmask_b32_e32 v115, v120, v92, vcc_lo
	v_cndmask_b32_e64 v120, v122, v92, s13
	v_cndmask_b32_e64 v122, v124, v92, s16
	v_cndmask_b32_e32 v91, v103, v96, vcc_lo
	v_cndmask_b32_e32 v92, v107, v100, vcc_lo
	v_cndmask_b32_e64 v103, v125, v96, s13
	v_cndmask_b32_e64 v87, v87, v104, s19
	;; [unrolled: 1-line block ×3, first 2 shown]
	v_lshrrev_b32_e32 v105, 16, v89
	v_lshrrev_b32_e32 v109, 16, v93
	v_cndmask_b32_e64 v107, v127, v96, s16
	v_cndmask_b32_e64 v95, v95, v96, s17
	;; [unrolled: 1-line block ×14, first 2 shown]
	v_lshrrev_b32_e32 v113, 16, v97
	v_cndmask_b32_e64 v99, v99, v89, s6
	v_cndmask_b32_e64 v104, v111, v93, s6
	;; [unrolled: 1-line block ×11, first 2 shown]
	v_lshrrev_b32_e32 v106, 16, v90
	v_lshrrev_b32_e32 v110, 16, v94
	v_cndmask_b32_e64 v93, v99, v105, s7
	v_cndmask_b32_e64 v99, v104, v109, s7
	;; [unrolled: 1-line block ×9, first 2 shown]
	v_lshrrev_b32_e32 v114, 16, v98
	v_cndmask_b32_e64 v89, v89, v113, s7
	v_cndmask_b32_e64 v93, v93, v90, s8
	;; [unrolled: 1-line block ×19, first 2 shown]
	v_perm_b32 v90, v88, v87, 0x5040100
	v_cndmask_b32_e64 v87, v126, v100, s13
	v_cndmask_b32_e64 v105, v89, v114, s9
	v_perm_b32 v89, v103, v99, 0x5040100
	v_perm_b32 v88, v104, v94, 0x5040100
	v_cndmask_b32_e64 v94, v107, v112, s18
	v_cndmask_b32_e64 v95, v95, v112, s19
	;; [unrolled: 1-line block ×5, first 2 shown]
	v_lshrrev_b32_e32 v117, 16, v101
	v_cndmask_b32_e64 v94, v94, v97, s22
	v_cndmask_b32_e64 v95, v95, v97, s23
	;; [unrolled: 1-line block ×11, first 2 shown]
	v_lshrrev_b32_e32 v118, 16, v102
	v_cndmask_b32_e64 v91, v91, v102, s8
	v_cndmask_b32_e64 v94, v94, v98, s27
	;; [unrolled: 1-line block ×12, first 2 shown]
	v_perm_b32 v87, v93, v92, 0x5040100
	v_perm_b32 v94, v95, v94, 0x5040100
	;; [unrolled: 1-line block ×5, first 2 shown]
	s_mul_i32 s8, s35, 11
	s_mov_b32 s4, exec_lo
	ds_store_b128 v78, v[87:90]
	ds_store_b128 v78, v[91:94] offset:1024
	v_cmpx_gt_u32_e32 11, v0
	s_cbranch_execz .LBB124_16
; %bb.15:
	s_mul_i32 s5, s8, s34
	s_load_b128 s[16:19], s[0:1], 0x58
	v_add3_u32 v77, s5, s33, v77
	s_delay_alu instid0(VALU_DEP_1) | instskip(NEXT) | instid1(VALU_DEP_1)
	v_mad_u64_u32 v[87:88], null, v77, s36, s[14:15]
	v_ashrrev_i32_e32 v88, 31, v87
	s_delay_alu instid0(VALU_DEP_1) | instskip(SKIP_1) | instid1(VALU_DEP_1)
	v_lshlrev_b64 v[87:88], 2, v[87:88]
	s_waitcnt lgkmcnt(0)
	v_add_co_u32 v89, vcc_lo, s18, v87
	s_delay_alu instid0(VALU_DEP_2)
	v_add_co_ci_u32_e32 v90, vcc_lo, s19, v88, vcc_lo
	v_add_co_u32 v87, vcc_lo, s16, v87
	v_add_co_ci_u32_e32 v88, vcc_lo, s17, v88, vcc_lo
	global_store_b32 v[89:90], v85, off
	global_store_b32 v[87:88], v86, off
.LBB124_16:
	s_or_b32 exec_lo, exec_lo, s4
	s_waitcnt lgkmcnt(0)
	s_waitcnt_vscnt null, 0x0
	s_barrier
	buffer_gl0_inv
	ds_load_b128 v[93:96], v79
	ds_load_b128 v[97:100], v79 offset:16
	ds_load_b128 v[105:108], v79 offset:1040
	;; [unrolled: 1-line block ×5, first 2 shown]
	v_cmp_eq_u32_e32 vcc_lo, 1, v84
	v_mov_b32_e32 v85, 0
	ds_load_b128 v[121:124], v79 offset:3088
	ds_load_b128 v[117:120], v79 offset:3072
	;; [unrolled: 1-line block ×4, first 2 shown]
	v_cmp_eq_u32_e64 s4, 1, v80
	v_cmp_eq_u32_e64 s5, 1, v83
	v_cmp_eq_u32_e64 s6, 1, v82
	v_mov_b32_e32 v86, v85
	v_mov_b32_e32 v87, v85
	;; [unrolled: 1-line block ×7, first 2 shown]
	v_cmp_eq_u32_e64 s7, 2, v80
	s_waitcnt lgkmcnt(8)
	s_delay_alu instid0(VALU_DEP_2)
	v_wmma_f32_16x16x16_f16 v[85:92], v[65:72], v[93:100], v[85:92]
	ds_load_b128 v[69:72], v79 offset:5136
	ds_load_b128 v[65:68], v79 offset:5120
	;; [unrolled: 1-line block ×4, first 2 shown]
	s_waitcnt lgkmcnt(10)
	v_wmma_f32_16x16x16_f16 v[85:92], v[57:64], v[101:108], v[85:92]
	s_waitcnt lgkmcnt(8)
	s_delay_alu instid0(VALU_DEP_1)
	v_wmma_f32_16x16x16_f16 v[85:92], v[57:64], v[109:116], v[85:92]
	ds_load_b128 v[61:64], v79 offset:7184
	ds_load_b128 v[57:60], v79 offset:7168
	;; [unrolled: 1-line block ×4, first 2 shown]
	s_waitcnt lgkmcnt(10)
	v_wmma_f32_16x16x16_f16 v[85:92], v[49:56], v[117:124], v[85:92]
	s_waitcnt lgkmcnt(8)
	s_delay_alu instid0(VALU_DEP_1)
	v_wmma_f32_16x16x16_f16 v[85:92], v[49:56], v[125:132], v[85:92]
	ds_load_b128 v[53:56], v79 offset:9232
	ds_load_b128 v[49:52], v79 offset:9216
	s_waitcnt lgkmcnt(8)
	v_wmma_f32_16x16x16_f16 v[85:92], v[41:48], v[65:72], v[85:92]
	ds_load_b128 v[69:72], v79 offset:10256
	ds_load_b128 v[65:68], v79 offset:10240
	s_waitcnt lgkmcnt(8)
	;; [unrolled: 4-line block ×7, first 2 shown]
	s_barrier
	buffer_gl0_inv
	v_wmma_f32_16x16x16_f16 v[85:92], v[33:40], v[41:48], v[85:92]
	s_delay_alu instid0(VALU_DEP_1) | instskip(NEXT) | instid1(VALU_DEP_1)
	v_wmma_f32_16x16x16_f16 v[85:92], v[33:40], v[57:64], v[85:92]
	v_wmma_f32_16x16x16_f16 v[85:92], v[25:32], v[9:16], v[85:92]
	s_delay_alu instid0(VALU_DEP_1) | instskip(NEXT) | instid1(VALU_DEP_1)
	v_wmma_f32_16x16x16_f16 v[85:92], v[25:32], v[49:56], v[85:92]
	v_wmma_f32_16x16x16_f16 v[85:92], v[17:24], v[1:8], v[85:92]
	s_delay_alu instid0(VALU_DEP_1) | instskip(NEXT) | instid1(VALU_DEP_2)
	v_cvt_f16_f32_e32 v1, v85
	v_cvt_f16_f32_e32 v2, v86
	s_delay_alu instid0(VALU_DEP_3) | instskip(NEXT) | instid1(VALU_DEP_4)
	v_cvt_f16_f32_e32 v3, v87
	v_cvt_f16_f32_e32 v4, v88
	;; [unrolled: 1-line block ×6, first 2 shown]
	v_pack_b32_f16 v1, v1, v2
	v_pack_b32_f16 v2, v3, v4
	;; [unrolled: 1-line block ×3, first 2 shown]
	s_delay_alu instid0(VALU_DEP_4)
	v_pack_b32_f16 v4, v7, v8
	ds_store_b128 v78, v[1:4]
	s_waitcnt lgkmcnt(0)
	s_barrier
	buffer_gl0_inv
	ds_load_b128 v[1:4], v81
	ds_load_b128 v[5:8], v81 offset:16
	s_waitcnt lgkmcnt(1)
	v_lshrrev_b32_e32 v9, 16, v1
	s_waitcnt lgkmcnt(0)
	v_lshrrev_b32_e32 v13, 16, v5
	v_lshrrev_b32_e32 v15, 16, v7
	;; [unrolled: 1-line block ×4, first 2 shown]
	v_cndmask_b32_e64 v17, v1, v9, s4
	v_cndmask_b32_e64 v18, v5, v13, s4
	;; [unrolled: 1-line block ×3, first 2 shown]
	v_cmp_eq_u32_e64 s4, 2, v82
	v_cndmask_b32_e64 v20, v5, v13, s6
	v_cndmask_b32_e32 v21, v1, v9, vcc_lo
	v_cndmask_b32_e32 v22, v5, v13, vcc_lo
	v_cndmask_b32_e64 v1, v1, v9, s5
	v_cndmask_b32_e64 v5, v5, v13, s5
	v_cmp_eq_u32_e32 vcc_lo, 2, v84
	v_cmp_eq_u32_e64 s5, 2, v83
	v_cndmask_b32_e64 v9, v17, v2, s7
	v_cndmask_b32_e64 v13, v18, v6, s7
	;; [unrolled: 1-line block ×4, first 2 shown]
	v_cndmask_b32_e32 v19, v21, v2, vcc_lo
	v_cmp_eq_u32_e64 s4, 3, v84
	v_cndmask_b32_e32 v20, v22, v6, vcc_lo
	v_cndmask_b32_e64 v1, v1, v2, s5
	v_cmp_eq_u32_e32 vcc_lo, 3, v83
	v_cmp_eq_u32_e64 s6, 3, v80
	v_cndmask_b32_e64 v2, v5, v6, s5
	v_cmp_eq_u32_e64 s5, 3, v82
	v_lshrrev_b32_e32 v16, 16, v8
	v_cmp_eq_u32_e64 s7, 4, v80
	v_cndmask_b32_e64 v5, v9, v10, s6
	v_cndmask_b32_e64 v6, v13, v14, s6
	;; [unrolled: 1-line block ×3, first 2 shown]
	v_cmp_eq_u32_e64 s6, 4, v82
	v_cndmask_b32_e64 v13, v18, v14, s5
	v_cndmask_b32_e64 v17, v19, v10, s4
	;; [unrolled: 1-line block ×3, first 2 shown]
	v_cndmask_b32_e32 v1, v1, v10, vcc_lo
	v_cndmask_b32_e32 v2, v2, v14, vcc_lo
	v_cmp_eq_u32_e32 vcc_lo, 4, v84
	v_cmp_eq_u32_e64 s5, 4, v83
	v_lshrrev_b32_e32 v11, 16, v3
	v_cndmask_b32_e64 v5, v5, v3, s7
	v_cndmask_b32_e64 v6, v6, v7, s7
	v_cndmask_b32_e64 v9, v9, v3, s6
	v_cndmask_b32_e64 v10, v13, v7, s6
	v_cndmask_b32_e32 v13, v17, v3, vcc_lo
	v_cmp_eq_u32_e64 s4, 5, v84
	v_cndmask_b32_e32 v14, v18, v7, vcc_lo
	v_cndmask_b32_e64 v1, v1, v3, s5
	v_cmp_eq_u32_e32 vcc_lo, 5, v83
	v_cmp_eq_u32_e64 s6, 5, v80
	v_cndmask_b32_e64 v2, v2, v7, s5
	v_cmp_eq_u32_e64 s5, 5, v82
	v_cmp_eq_u32_e64 s7, 6, v80
	v_cndmask_b32_e32 v1, v1, v11, vcc_lo
	v_cndmask_b32_e64 v3, v5, v11, s6
	v_cndmask_b32_e64 v5, v6, v15, s6
	;; [unrolled: 1-line block ×3, first 2 shown]
	v_cmp_eq_u32_e64 s6, 6, v82
	v_cndmask_b32_e64 v7, v10, v15, s5
	v_cndmask_b32_e64 v9, v13, v11, s4
	;; [unrolled: 1-line block ×3, first 2 shown]
	v_cndmask_b32_e32 v2, v2, v15, vcc_lo
	v_cmp_eq_u32_e32 vcc_lo, 6, v84
	v_cmp_eq_u32_e64 s4, 6, v83
	v_lshrrev_b32_e32 v12, 16, v4
	v_cndmask_b32_e64 v3, v3, v4, s7
	v_cndmask_b32_e64 v5, v5, v8, s7
	;; [unrolled: 1-line block ×4, first 2 shown]
	v_cndmask_b32_e32 v9, v9, v4, vcc_lo
	v_cmp_eq_u32_e64 s5, 7, v84
	v_cndmask_b32_e32 v10, v10, v8, vcc_lo
	v_cndmask_b32_e64 v1, v1, v4, s4
	v_cmp_eq_u32_e32 vcc_lo, 7, v83
	v_cndmask_b32_e64 v2, v2, v8, s4
	v_cmp_eq_u32_e64 s4, 7, v80
	v_cmp_eq_u32_e64 s6, 7, v82
	v_cndmask_b32_e32 v1, v1, v12, vcc_lo
	s_delay_alu instid0(VALU_DEP_4) | instskip(NEXT) | instid1(VALU_DEP_4)
	v_cndmask_b32_e32 v2, v2, v16, vcc_lo
	v_cndmask_b32_e64 v8, v3, v12, s4
	s_delay_alu instid0(VALU_DEP_4)
	v_cndmask_b32_e64 v6, v6, v12, s6
	v_cndmask_b32_e64 v3, v9, v12, s5
	;; [unrolled: 1-line block ×5, first 2 shown]
	v_cmp_gt_u32_e32 vcc_lo, 32, v0
	v_perm_b32 v4, v2, v1, 0x5040100
	v_perm_b32 v3, v9, v3, 0x5040100
	;; [unrolled: 1-line block ×4, first 2 shown]
	s_and_b32 s2, vcc_lo, s2
	ds_store_b128 v78, v[1:4]
	s_waitcnt lgkmcnt(0)
	s_barrier
	buffer_gl0_inv
	s_and_saveexec_b32 s4, s2
	s_cbranch_execz .LBB124_2
; %bb.17:
	s_load_b64 s[4:5], s[0:1], 0x68
	v_lshlrev_b32_e32 v0, 10, v0
	v_lshlrev_b32_e32 v1, 4, v76
	s_lshl_b32 s0, s36, 6
	v_add_nc_u32_e32 v7, s33, v75
	s_mul_i32 s1, s0, s34
	s_delay_alu instid0(SALU_CYCLE_1) | instskip(SKIP_1) | instid1(VALU_DEP_2)
	s_mul_i32 s6, s1, s8
	v_and_or_b32 v0, 0x3800, v0, v1
	v_mul_lo_u32 v1, v7, s0
	v_add_nc_u32_e32 v2, 2, v7
	s_ashr_i32 s7, s6, 31
	v_add_nc_u32_e32 v4, 4, v7
	s_lshl_b64 s[6:7], s[6:7], 1
	v_add_nc_u32_e32 v8, 6, v7
	v_mul_lo_u32 v3, v2, s0
	v_lshl_or_b32 v19, v75, 6, v0
	v_ashrrev_i32_e32 v2, 31, v1
	v_mul_lo_u32 v11, v4, s0
	v_mul_lo_u32 v25, v8, s0
	s_waitcnt lgkmcnt(0)
	s_add_u32 s1, s4, s6
	s_addc_u32 s2, s5, s7
	s_lshl_b32 s4, s14, 6
	v_lshlrev_b64 v[5:6], 1, v[1:2]
	s_ashr_i32 s5, s4, 31
	v_ashrrev_i32_e32 v4, 31, v3
	s_lshl_b64 s[4:5], s[4:5], 1
	v_ashrrev_i32_e32 v12, 31, v11
	s_add_u32 s1, s1, s4
	s_addc_u32 s2, s2, s5
	v_add_co_u32 v1, vcc_lo, s1, v73
	v_add_co_ci_u32_e32 v2, vcc_lo, s2, v74, vcc_lo
	v_lshlrev_b64 v[3:4], 1, v[3:4]
	s_delay_alu instid0(VALU_DEP_3) | instskip(SKIP_1) | instid1(VALU_DEP_4)
	v_add_co_u32 v23, vcc_lo, v1, v5
	v_add_nc_u32_e32 v5, 8, v7
	v_add_co_ci_u32_e32 v24, vcc_lo, v2, v6, vcc_lo
	s_delay_alu instid0(VALU_DEP_4) | instskip(NEXT) | instid1(VALU_DEP_3)
	v_add_co_u32 v27, vcc_lo, v1, v3
	v_mul_lo_u32 v29, v5, s0
	v_add_co_ci_u32_e32 v28, vcc_lo, v2, v4, vcc_lo
	ds_load_b128 v[3:6], v19
	ds_load_b128 v[7:10], v19 offset:128
	v_lshlrev_b64 v[31:32], 1, v[11:12]
	ds_load_b128 v[11:14], v19 offset:256
	ds_load_b128 v[15:18], v19 offset:384
	;; [unrolled: 1-line block ×3, first 2 shown]
	v_ashrrev_i32_e32 v26, 31, v25
	v_ashrrev_i32_e32 v30, 31, v29
	v_add_co_u32 v31, vcc_lo, v1, v31
	s_delay_alu instid0(VALU_DEP_3) | instskip(NEXT) | instid1(VALU_DEP_3)
	v_lshlrev_b64 v[25:26], 1, v[25:26]
	v_lshlrev_b64 v[29:30], 1, v[29:30]
	v_add_co_ci_u32_e32 v32, vcc_lo, v2, v32, vcc_lo
	s_delay_alu instid0(VALU_DEP_3) | instskip(NEXT) | instid1(VALU_DEP_4)
	v_add_co_u32 v25, vcc_lo, v1, v25
	v_add_co_ci_u32_e32 v26, vcc_lo, v2, v26, vcc_lo
	s_delay_alu instid0(VALU_DEP_4)
	v_add_co_u32 v29, vcc_lo, v1, v29
	v_add_co_ci_u32_e32 v30, vcc_lo, v2, v30, vcc_lo
	s_waitcnt lgkmcnt(4)
	global_store_b128 v[23:24], v[3:6], off
	s_waitcnt lgkmcnt(3)
	global_store_b128 v[27:28], v[7:10], off
	;; [unrolled: 2-line block ×5, first 2 shown]
	s_and_b32 exec_lo, exec_lo, s3
	s_cbranch_execz .LBB124_2
; %bb.18:
	ds_load_b128 v[3:6], v0 offset:640
	s_add_i32 s1, s33, 10
	s_delay_alu instid0(SALU_CYCLE_1) | instskip(NEXT) | instid1(SALU_CYCLE_1)
	s_mul_i32 s0, s1, s0
	s_ashr_i32 s1, s0, 31
	s_delay_alu instid0(SALU_CYCLE_1) | instskip(NEXT) | instid1(SALU_CYCLE_1)
	s_lshl_b64 s[0:1], s[0:1], 1
	v_add_co_u32 v0, vcc_lo, v1, s0
	v_add_co_ci_u32_e32 v1, vcc_lo, s1, v2, vcc_lo
	s_waitcnt lgkmcnt(0)
	global_store_b128 v[0:1], v[3:6], off
	s_nop 0
	s_sendmsg sendmsg(MSG_DEALLOC_VGPRS)
	s_endpgm
	.section	.rodata,"a",@progbits
	.p2align	6, 0x0
	.amdhsa_kernel _Z39paged_attention_ll4mi_QKV_mfma16_kernelIDF16_DF16_LN4vllm18Fp8KVCacheDataTypeE0EhLi32ELi64ELi256ELb1ELi11EL8MFMAType0EEvPKT_PKT0_S8_ifPKiSA_SA_iPKfiiiPfSD_PS3_PT2_iSC_SC_
		.amdhsa_group_segment_fixed_size 17472
		.amdhsa_private_segment_fixed_size 0
		.amdhsa_kernarg_size 400
		.amdhsa_user_sgpr_count 13
		.amdhsa_user_sgpr_dispatch_ptr 0
		.amdhsa_user_sgpr_queue_ptr 0
		.amdhsa_user_sgpr_kernarg_segment_ptr 1
		.amdhsa_user_sgpr_dispatch_id 0
		.amdhsa_user_sgpr_private_segment_size 0
		.amdhsa_wavefront_size32 1
		.amdhsa_uses_dynamic_stack 0
		.amdhsa_enable_private_segment 0
		.amdhsa_system_sgpr_workgroup_id_x 1
		.amdhsa_system_sgpr_workgroup_id_y 1
		.amdhsa_system_sgpr_workgroup_id_z 1
		.amdhsa_system_sgpr_workgroup_info 0
		.amdhsa_system_vgpr_workitem_id 0
		.amdhsa_next_free_vgpr 154
		.amdhsa_next_free_sgpr 39
		.amdhsa_reserve_vcc 1
		.amdhsa_float_round_mode_32 0
		.amdhsa_float_round_mode_16_64 0
		.amdhsa_float_denorm_mode_32 3
		.amdhsa_float_denorm_mode_16_64 3
		.amdhsa_dx10_clamp 1
		.amdhsa_ieee_mode 1
		.amdhsa_fp16_overflow 0
		.amdhsa_workgroup_processor_mode 1
		.amdhsa_memory_ordered 1
		.amdhsa_forward_progress 0
		.amdhsa_shared_vgpr_count 0
		.amdhsa_exception_fp_ieee_invalid_op 0
		.amdhsa_exception_fp_denorm_src 0
		.amdhsa_exception_fp_ieee_div_zero 0
		.amdhsa_exception_fp_ieee_overflow 0
		.amdhsa_exception_fp_ieee_underflow 0
		.amdhsa_exception_fp_ieee_inexact 0
		.amdhsa_exception_int_div_zero 0
	.end_amdhsa_kernel
	.section	.text._Z39paged_attention_ll4mi_QKV_mfma16_kernelIDF16_DF16_LN4vllm18Fp8KVCacheDataTypeE0EhLi32ELi64ELi256ELb1ELi11EL8MFMAType0EEvPKT_PKT0_S8_ifPKiSA_SA_iPKfiiiPfSD_PS3_PT2_iSC_SC_,"axG",@progbits,_Z39paged_attention_ll4mi_QKV_mfma16_kernelIDF16_DF16_LN4vllm18Fp8KVCacheDataTypeE0EhLi32ELi64ELi256ELb1ELi11EL8MFMAType0EEvPKT_PKT0_S8_ifPKiSA_SA_iPKfiiiPfSD_PS3_PT2_iSC_SC_,comdat
.Lfunc_end124:
	.size	_Z39paged_attention_ll4mi_QKV_mfma16_kernelIDF16_DF16_LN4vllm18Fp8KVCacheDataTypeE0EhLi32ELi64ELi256ELb1ELi11EL8MFMAType0EEvPKT_PKT0_S8_ifPKiSA_SA_iPKfiiiPfSD_PS3_PT2_iSC_SC_, .Lfunc_end124-_Z39paged_attention_ll4mi_QKV_mfma16_kernelIDF16_DF16_LN4vllm18Fp8KVCacheDataTypeE0EhLi32ELi64ELi256ELb1ELi11EL8MFMAType0EEvPKT_PKT0_S8_ifPKiSA_SA_iPKfiiiPfSD_PS3_PT2_iSC_SC_
                                        ; -- End function
	.section	.AMDGPU.csdata,"",@progbits
; Kernel info:
; codeLenInByte = 7380
; NumSgprs: 41
; NumVgprs: 154
; ScratchSize: 0
; MemoryBound: 0
; FloatMode: 240
; IeeeMode: 1
; LDSByteSize: 17472 bytes/workgroup (compile time only)
; SGPRBlocks: 5
; VGPRBlocks: 19
; NumSGPRsForWavesPerEU: 41
; NumVGPRsForWavesPerEU: 154
; Occupancy: 9
; WaveLimiterHint : 1
; COMPUTE_PGM_RSRC2:SCRATCH_EN: 0
; COMPUTE_PGM_RSRC2:USER_SGPR: 13
; COMPUTE_PGM_RSRC2:TRAP_HANDLER: 0
; COMPUTE_PGM_RSRC2:TGID_X_EN: 1
; COMPUTE_PGM_RSRC2:TGID_Y_EN: 1
; COMPUTE_PGM_RSRC2:TGID_Z_EN: 1
; COMPUTE_PGM_RSRC2:TIDIG_COMP_CNT: 0
	.section	.text._Z39paged_attention_ll4mi_QKV_mfma16_kernelIDF16_DF16_LN4vllm18Fp8KVCacheDataTypeE0EhLi32ELi64ELi256ELb1ELi12EL8MFMAType0EEvPKT_PKT0_S8_ifPKiSA_SA_iPKfiiiPfSD_PS3_PT2_iSC_SC_,"axG",@progbits,_Z39paged_attention_ll4mi_QKV_mfma16_kernelIDF16_DF16_LN4vllm18Fp8KVCacheDataTypeE0EhLi32ELi64ELi256ELb1ELi12EL8MFMAType0EEvPKT_PKT0_S8_ifPKiSA_SA_iPKfiiiPfSD_PS3_PT2_iSC_SC_,comdat
	.protected	_Z39paged_attention_ll4mi_QKV_mfma16_kernelIDF16_DF16_LN4vllm18Fp8KVCacheDataTypeE0EhLi32ELi64ELi256ELb1ELi12EL8MFMAType0EEvPKT_PKT0_S8_ifPKiSA_SA_iPKfiiiPfSD_PS3_PT2_iSC_SC_ ; -- Begin function _Z39paged_attention_ll4mi_QKV_mfma16_kernelIDF16_DF16_LN4vllm18Fp8KVCacheDataTypeE0EhLi32ELi64ELi256ELb1ELi12EL8MFMAType0EEvPKT_PKT0_S8_ifPKiSA_SA_iPKfiiiPfSD_PS3_PT2_iSC_SC_
	.globl	_Z39paged_attention_ll4mi_QKV_mfma16_kernelIDF16_DF16_LN4vllm18Fp8KVCacheDataTypeE0EhLi32ELi64ELi256ELb1ELi12EL8MFMAType0EEvPKT_PKT0_S8_ifPKiSA_SA_iPKfiiiPfSD_PS3_PT2_iSC_SC_
	.p2align	8
	.type	_Z39paged_attention_ll4mi_QKV_mfma16_kernelIDF16_DF16_LN4vllm18Fp8KVCacheDataTypeE0EhLi32ELi64ELi256ELb1ELi12EL8MFMAType0EEvPKT_PKT0_S8_ifPKiSA_SA_iPKfiiiPfSD_PS3_PT2_iSC_SC_,@function
_Z39paged_attention_ll4mi_QKV_mfma16_kernelIDF16_DF16_LN4vllm18Fp8KVCacheDataTypeE0EhLi32ELi64ELi256ELb1ELi12EL8MFMAType0EEvPKT_PKT0_S8_ifPKiSA_SA_iPKfiiiPfSD_PS3_PT2_iSC_SC_: ; @_Z39paged_attention_ll4mi_QKV_mfma16_kernelIDF16_DF16_LN4vllm18Fp8KVCacheDataTypeE0EhLi32ELi64ELi256ELb1ELi12EL8MFMAType0EEvPKT_PKT0_S8_ifPKiSA_SA_iPKfiiiPfSD_PS3_PT2_iSC_SC_
; %bb.0:
	s_load_b64 s[2:3], s[0:1], 0x30
	s_mov_b32 s34, s13
	s_waitcnt lgkmcnt(0)
	s_cmp_lg_u64 s[2:3], 0
	s_cselect_b32 s6, -1, 0
	s_ashr_i32 s35, s13, 31
	s_cmp_eq_u64 s[2:3], 0
	s_cbranch_scc1 .LBB125_3
; %bb.1:
	s_lshl_b64 s[4:5], s[34:35], 2
	s_delay_alu instid0(SALU_CYCLE_1) | instskip(SKIP_4) | instid1(SALU_CYCLE_1)
	s_add_u32 s4, s2, s4
	s_addc_u32 s5, s3, s5
	s_load_b64 s[4:5], s[4:5], 0x0
	s_waitcnt lgkmcnt(0)
	s_sub_i32 s4, s5, s4
	s_cmp_eq_u32 s4, 1
	s_cselect_b32 s4, -1, 0
	s_delay_alu instid0(SALU_CYCLE_1)
	s_and_not1_b32 vcc_lo, exec_lo, s4
	s_cbranch_vccz .LBB125_4
.LBB125_2:
	s_endpgm
.LBB125_3:
.LBB125_4:
	s_load_b64 s[8:9], s[0:1], 0x28
	s_lshl_b64 s[4:5], s[34:35], 2
	s_waitcnt lgkmcnt(0)
	s_add_u32 s8, s8, s4
	s_addc_u32 s9, s9, s5
	s_lshl_b32 s16, s14, 8
	s_load_b32 s18, s[8:9], 0x0
	s_waitcnt lgkmcnt(0)
	s_cmp_ge_i32 s16, s18
	s_cbranch_scc1 .LBB125_2
; %bb.5:
	s_and_not1_b32 vcc_lo, exec_lo, s6
	s_cbranch_vccnz .LBB125_7
; %bb.6:
	s_add_u32 s2, s2, s4
	s_addc_u32 s3, s3, s5
	s_load_b32 s17, s[2:3], 0x0
	s_branch .LBB125_8
.LBB125_7:
	s_mov_b32 s17, s34
.LBB125_8:
	s_clause 0x2
	s_load_b128 s[8:11], s[0:1], 0x8
	s_load_b64 s[12:13], s[0:1], 0x20
	s_load_b128 s[4:7], s[0:1], 0x48
	v_and_b32_e32 v77, 15, v0
	v_cmp_lt_u32_e32 vcc_lo, 0xbf, v0
	s_delay_alu instid0(VALU_DEP_2) | instskip(SKIP_2) | instid1(VALU_DEP_3)
	v_cmp_lt_u32_e64 s3, 7, v77
	v_lshlrev_b32_e32 v1, 3, v77
	v_cmp_gt_u32_e64 s2, 8, v77
	s_or_b32 s3, vcc_lo, s3
	s_waitcnt lgkmcnt(0)
	s_and_saveexec_b32 s7, s3
	s_delay_alu instid0(SALU_CYCLE_1)
	s_xor_b32 s3, exec_lo, s7
; %bb.9:
	v_mov_b32_e32 v2, 0
; %bb.10:
	s_or_saveexec_b32 s3, s3
	v_lshrrev_b32_e32 v79, 5, v0
	v_and_b32_e32 v80, 31, v0
	v_and_b32_e32 v76, 1, v0
	v_bfe_u32 v75, v0, 4, 1
	s_mul_i32 s31, s15, 12
	s_xor_b32 exec_lo, exec_lo, s3
	s_cbranch_execz .LBB125_12
; %bb.11:
	s_load_b64 s[20:21], s[0:1], 0x0
	v_lshl_or_b32 v7, v79, 1, v75
	s_mul_hi_i32 s23, s17, s4
	s_mul_i32 s22, s17, s4
	v_lshlrev_b32_e32 v4, 1, v1
	s_lshl_b64 s[22:23], s[22:23], 1
	v_add_lshl_u32 v2, v7, s31, 6
	v_lshlrev_b32_e32 v7, 6, v7
	v_lshlrev_b32_e32 v8, 10, v76
	s_delay_alu instid0(VALU_DEP_3) | instskip(NEXT) | instid1(VALU_DEP_1)
	v_ashrrev_i32_e32 v3, 31, v2
	v_lshlrev_b64 v[2:3], 1, v[2:3]
	s_waitcnt lgkmcnt(0)
	s_add_u32 s4, s20, s22
	s_addc_u32 s7, s21, s23
	s_delay_alu instid0(VALU_DEP_1) | instskip(NEXT) | instid1(VALU_DEP_2)
	v_add_co_u32 v2, vcc_lo, s4, v2
	v_add_co_ci_u32_e32 v3, vcc_lo, s7, v3, vcc_lo
	s_delay_alu instid0(VALU_DEP_2) | instskip(NEXT) | instid1(VALU_DEP_2)
	v_add_co_u32 v2, vcc_lo, v2, v4
	v_add_co_ci_u32_e32 v3, vcc_lo, 0, v3, vcc_lo
	global_load_b128 v[3:6], v[2:3], off
	v_lshlrev_b32_e32 v2, 10, v77
	s_delay_alu instid0(VALU_DEP_1) | instskip(NEXT) | instid1(VALU_DEP_1)
	v_and_b32_e32 v2, 0x3800, v2
	v_or3_b32 v7, v2, v8, v7
	v_mov_b32_e32 v2, 0
	s_waitcnt vmcnt(0)
	ds_store_b128 v7, v[3:6]
.LBB125_12:
	s_or_b32 exec_lo, exec_lo, s3
	v_and_b32_e32 v3, 0xef, v0
	s_add_i32 s3, s18, 31
	s_clause 0x1
	s_load_b32 s4, s[0:1], 0x38
	s_load_b32 s33, s[0:1], 0x98
	s_ashr_i32 s7, s3, 31
	v_add_nc_u32_e32 v3, s16, v3
	s_lshr_b32 s7, s7, 27
	s_load_b32 s19, s[0:1], 0x1c
	s_add_i32 s3, s3, s7
	s_waitcnt lgkmcnt(0)
	v_ashrrev_i32_e32 v4, 31, v3
	v_cmp_gt_i32_e32 vcc_lo, s18, v3
	s_ashr_i32 s3, s3, 5
	s_barrier
	s_add_i32 s3, s3, -1
	v_lshrrev_b32_e32 v5, 27, v4
	v_or_b32_e32 v4, 16, v3
	buffer_gl0_inv
	s_mul_i32 s6, s15, s6
	v_lshlrev_b64 v[73:74], 1, v[1:2]
	v_add_nc_u32_e32 v6, v3, v5
	v_add_nc_u32_e32 v5, v4, v5
	s_mul_i32 s20, s34, s4
	v_lshlrev_b32_e32 v78, 6, v77
	s_ashr_i32 s21, s20, 31
	v_ashrrev_i32_e32 v6, 5, v6
	v_ashrrev_i32_e32 v5, 5, v5
	s_lshl_b64 s[20:21], s[20:21], 2
	v_lshl_or_b32 v33, v79, 10, v78
	s_add_u32 s4, s12, s20
	v_cndmask_b32_e32 v3, s3, v6, vcc_lo
	v_cmp_gt_i32_e32 vcc_lo, s18, v4
	s_addc_u32 s17, s13, s21
	s_ashr_i32 s7, s6, 31
	s_delay_alu instid0(VALU_DEP_2) | instskip(SKIP_2) | instid1(SALU_CYCLE_1)
	v_ashrrev_i32_e32 v4, 31, v3
	v_cndmask_b32_e32 v5, s3, v5, vcc_lo
	s_lshl_b64 s[6:7], s[6:7], 1
	s_add_u32 s15, s8, s6
	s_delay_alu instid0(VALU_DEP_2) | instskip(NEXT) | instid1(VALU_DEP_2)
	v_lshlrev_b64 v[3:4], 2, v[3:4]
	v_ashrrev_i32_e32 v6, 31, v5
	s_addc_u32 s28, s9, s7
	s_lshl_b32 s8, s14, 3
	s_delay_alu instid0(SALU_CYCLE_1) | instskip(NEXT) | instid1(VALU_DEP_1)
	s_ashr_i32 s9, s8, 31
	v_lshlrev_b64 v[5:6], 2, v[5:6]
	v_add_co_u32 v3, vcc_lo, s4, v3
	v_add_co_ci_u32_e32 v4, vcc_lo, s17, v4, vcc_lo
	s_lshl_b64 s[8:9], s[8:9], 2
	s_delay_alu instid0(VALU_DEP_3) | instskip(NEXT) | instid1(VALU_DEP_4)
	v_add_co_u32 v5, vcc_lo, s4, v5
	v_add_co_ci_u32_e32 v6, vcc_lo, s17, v6, vcc_lo
	s_add_u32 s8, s4, s8
	s_clause 0x1
	global_load_b32 v7, v[3:4], off
	global_load_b32 v8, v[5:6], off
	s_addc_u32 s9, s17, s9
	s_or_b32 s12, s16, 32
	s_delay_alu instid0(SALU_CYCLE_1) | instskip(SKIP_2) | instid1(SALU_CYCLE_1)
	s_ashr_i32 s13, s12, 5
	s_cmp_lt_i32 s12, s18
	s_cselect_b32 s12, s13, s3
	s_ashr_i32 s13, s12, 31
	s_delay_alu instid0(SALU_CYCLE_1) | instskip(NEXT) | instid1(SALU_CYCLE_1)
	s_lshl_b64 s[12:13], s[12:13], 2
	s_add_u32 s12, s4, s12
	s_addc_u32 s13, s17, s13
	s_or_b32 s20, s16, 64
	s_delay_alu instid0(SALU_CYCLE_1) | instskip(SKIP_2) | instid1(SALU_CYCLE_1)
	s_ashr_i32 s21, s20, 5
	s_cmp_lt_i32 s20, s18
	s_cselect_b32 s20, s21, s3
	s_ashr_i32 s21, s20, 31
	s_delay_alu instid0(SALU_CYCLE_1) | instskip(NEXT) | instid1(SALU_CYCLE_1)
	s_lshl_b64 s[20:21], s[20:21], 2
	s_add_u32 s20, s4, s20
	s_addc_u32 s21, s17, s21
	s_or_b32 s22, s16, 0x60
	s_delay_alu instid0(SALU_CYCLE_1) | instskip(SKIP_2) | instid1(SALU_CYCLE_1)
	s_ashr_i32 s23, s22, 5
	s_cmp_lt_i32 s22, s18
	s_cselect_b32 s22, s23, s3
	s_ashr_i32 s23, s22, 31
	s_delay_alu instid0(SALU_CYCLE_1) | instskip(NEXT) | instid1(SALU_CYCLE_1)
	s_lshl_b64 s[22:23], s[22:23], 2
	s_add_u32 s22, s4, s22
	s_addc_u32 s23, s17, s23
	s_or_b32 s24, s16, 0x80
	s_delay_alu instid0(SALU_CYCLE_1) | instskip(SKIP_2) | instid1(SALU_CYCLE_1)
	s_ashr_i32 s25, s24, 5
	s_cmp_lt_i32 s24, s18
	s_cselect_b32 s24, s25, s3
	s_ashr_i32 s25, s24, 31
	s_delay_alu instid0(SALU_CYCLE_1) | instskip(NEXT) | instid1(SALU_CYCLE_1)
	s_lshl_b64 s[24:25], s[24:25], 2
	s_add_u32 s24, s4, s24
	s_addc_u32 s25, s17, s25
	s_or_b32 s26, s16, 0xa0
	s_delay_alu instid0(SALU_CYCLE_1) | instskip(SKIP_2) | instid1(SALU_CYCLE_1)
	s_ashr_i32 s27, s26, 5
	s_cmp_lt_i32 s26, s18
	s_cselect_b32 s26, s27, s3
	s_ashr_i32 s27, s26, 31
	s_delay_alu instid0(SALU_CYCLE_1) | instskip(NEXT) | instid1(SALU_CYCLE_1)
	s_lshl_b64 s[26:27], s[26:27], 2
	s_add_u32 s26, s4, s26
	s_addc_u32 s27, s17, s27
	s_clause 0x5
	s_load_b32 s29, s[8:9], 0x0
	s_load_b32 s30, s[12:13], 0x0
	;; [unrolled: 1-line block ×6, first 2 shown]
	s_or_b32 s8, s16, 0xc0
	s_mov_b32 s20, 0
	s_ashr_i32 s9, s8, 5
	s_cmp_lt_i32 s8, s18
	s_mov_b32 s27, s20
	s_cselect_b32 s8, s9, s3
	s_mov_b32 s21, s20
	s_ashr_i32 s9, s8, 31
	s_mov_b32 s22, s20
	s_lshl_b64 s[8:9], s[8:9], 2
	s_mov_b32 s23, s20
	s_add_u32 s8, s4, s8
	s_mov_b32 s24, s20
	s_mov_b32 s25, s20
	;; [unrolled: 1-line block ×3, first 2 shown]
	s_addc_u32 s9, s17, s9
	v_dual_mov_b32 v128, s27 :: v_dual_mov_b32 v127, s26
	v_dual_mov_b32 v126, s25 :: v_dual_mov_b32 v125, s24
	;; [unrolled: 1-line block ×3, first 2 shown]
	v_mov_b32_e32 v121, s20
	s_waitcnt lgkmcnt(0)
	s_mul_hi_i32 s13, s29, s5
	s_mul_i32 s12, s29, s5
	v_mov_b32_e32 v122, s21
	s_mul_hi_i32 s21, s30, s5
	s_mul_i32 s20, s30, s5
	s_mul_hi_i32 s25, s35, s5
	s_mul_i32 s24, s35, s5
	;; [unrolled: 2-line block ×3, first 2 shown]
	s_mul_i32 s36, s38, s5
	s_waitcnt vmcnt(1)
	v_mad_i64_i32 v[3:4], null, v7, s5, 0
	s_waitcnt vmcnt(0)
	v_mad_i64_i32 v[5:6], null, v8, s5, 0
	s_delay_alu instid0(VALU_DEP_2) | instskip(NEXT) | instid1(VALU_DEP_2)
	v_lshlrev_b64 v[3:4], 1, v[3:4]
	v_lshlrev_b64 v[1:2], 1, v[5:6]
	s_delay_alu instid0(VALU_DEP_2) | instskip(NEXT) | instid1(VALU_DEP_3)
	v_add_co_u32 v3, vcc_lo, s15, v3
	v_add_co_ci_u32_e32 v4, vcc_lo, s28, v4, vcc_lo
	s_delay_alu instid0(VALU_DEP_3) | instskip(NEXT) | instid1(VALU_DEP_4)
	v_add_co_u32 v1, vcc_lo, s15, v1
	v_add_co_ci_u32_e32 v2, vcc_lo, s28, v2, vcc_lo
	s_delay_alu instid0(VALU_DEP_4) | instskip(NEXT) | instid1(VALU_DEP_4)
	v_add_co_u32 v25, vcc_lo, v3, v73
	v_add_co_ci_u32_e32 v26, vcc_lo, v4, v74, vcc_lo
	s_delay_alu instid0(VALU_DEP_4) | instskip(NEXT) | instid1(VALU_DEP_4)
	v_add_co_u32 v27, vcc_lo, v1, v73
	v_add_co_ci_u32_e32 v28, vcc_lo, v2, v74, vcc_lo
	s_clause 0xf
	global_load_b128 v[1:4], v[25:26], off
	global_load_b128 v[5:8], v[25:26], off offset:512
	global_load_b128 v[9:12], v[27:28], off offset:256
	global_load_b128 v[13:16], v[27:28], off offset:768
	global_load_b128 v[17:20], v[25:26], off offset:1024
	global_load_b128 v[21:24], v[25:26], off offset:1536
	global_load_b128 v[81:84], v[27:28], off offset:1280
	global_load_b128 v[85:88], v[27:28], off offset:1792
	global_load_b128 v[89:92], v[25:26], off offset:2048
	global_load_b128 v[93:96], v[25:26], off offset:2560
	global_load_b128 v[97:100], v[27:28], off offset:2304
	global_load_b128 v[101:104], v[27:28], off offset:2816
	global_load_b128 v[105:108], v[25:26], off offset:3072
	global_load_b128 v[109:112], v[25:26], off offset:3584
	global_load_b128 v[113:116], v[27:28], off offset:3328
	global_load_b128 v[117:120], v[27:28], off offset:3840
	s_or_b32 s15, s16, 0xe0
	v_add_nc_u32_e32 v25, -12, v77
	s_ashr_i32 s22, s15, 5
	s_cmp_lt_i32 s15, s18
	v_cmp_gt_u32_e32 vcc_lo, 12, v77
	s_cselect_b32 s22, s22, s3
	s_delay_alu instid0(SALU_CYCLE_1) | instskip(NEXT) | instid1(SALU_CYCLE_1)
	s_ashr_i32 s23, s22, 31
	s_lshl_b64 s[22:23], s[22:23], 2
	v_cndmask_b32_e32 v25, v25, v77, vcc_lo
	s_add_u32 s22, s4, s22
	s_addc_u32 s23, s17, s23
	s_add_i32 s15, s16, 0x100
	s_delay_alu instid0(SALU_CYCLE_1)
	s_ashr_i32 s28, s15, 5
	s_cmp_lt_i32 s15, s18
	v_lshlrev_b32_e32 v151, 6, v25
	s_cselect_b32 s28, s28, s3
	ds_load_b128 v[25:28], v151
	ds_load_b128 v[29:32], v151 offset:1024
	s_ashr_i32 s29, s28, 31
	ds_load_b128 v[129:132], v151 offset:2048
	ds_load_b128 v[133:136], v151 offset:3072
	s_lshl_b64 s[28:29], s[28:29], 2
	s_load_b32 s15, s[8:9], 0x0
	s_add_u32 s28, s4, s28
	s_addc_u32 s29, s17, s29
	s_add_u32 s3, s10, s6
	s_clause 0x1
	s_load_b32 s4, s[22:23], 0x0
	s_load_b32 s17, s[28:29], 0x0
	s_addc_u32 s28, s11, s7
	v_add_co_u32 v152, s3, s3, v33
	s_delay_alu instid0(VALU_DEP_1) | instskip(SKIP_2) | instid1(VALU_DEP_2)
	v_add_co_ci_u32_e64 v153, null, s28, 0, s3
	s_lshl_b64 s[6:7], s[12:13], 1
	s_lshl_b64 s[10:11], s[20:21], 1
	v_add_co_u32 v33, vcc_lo, v152, s6
	s_delay_alu instid0(VALU_DEP_2)
	v_add_co_ci_u32_e32 v34, vcc_lo, s7, v153, vcc_lo
	v_add_co_u32 v35, vcc_lo, v152, s10
	s_lshl_b64 s[12:13], s[24:25], 1
	v_add_co_ci_u32_e32 v36, vcc_lo, s11, v153, vcc_lo
	v_add_co_u32 v37, vcc_lo, v152, s12
	s_lshl_b64 s[20:21], s[26:27], 1
	s_mul_hi_i32 s9, s37, s5
	s_mul_i32 s8, s37, s5
	v_add_co_ci_u32_e32 v38, vcc_lo, s13, v153, vcc_lo
	v_add_co_u32 v39, vcc_lo, v152, s20
	s_lshl_b64 s[8:9], s[8:9], 1
	s_mul_hi_i32 s37, s38, s5
	v_add_co_ci_u32_e32 v40, vcc_lo, s21, v153, vcc_lo
	v_add_co_u32 v145, vcc_lo, v152, s8
	s_lshl_b64 s[22:23], s[36:37], 1
	s_waitcnt lgkmcnt(0)
	s_mul_hi_i32 s25, s15, s5
	s_mul_i32 s24, s15, s5
	v_add_co_ci_u32_e32 v146, vcc_lo, s9, v153, vcc_lo
	v_add_co_u32 v147, vcc_lo, v152, s22
	s_lshl_b64 s[24:25], s[24:25], 1
	v_add_co_ci_u32_e32 v148, vcc_lo, s23, v153, vcc_lo
	s_mul_hi_i32 s7, s4, s5
	s_mul_i32 s6, s4, s5
	v_add_co_u32 v149, vcc_lo, v152, s24
	s_lshl_b64 s[6:7], s[6:7], 1
	v_add_co_ci_u32_e32 v150, vcc_lo, s25, v153, vcc_lo
	s_clause 0x7
	global_load_b128 v[65:68], v[33:34], off
	global_load_b128 v[69:72], v[33:34], off offset:16
	global_load_b128 v[57:60], v[35:36], off
	global_load_b128 v[61:64], v[35:36], off offset:16
	;; [unrolled: 2-line block ×4, first 2 shown]
	s_waitcnt vmcnt(22)
	v_wmma_f32_16x16x16_f16 v[137:144], v[1:8], v[25:32], v[121:128]
	s_waitcnt vmcnt(20)
	v_wmma_f32_16x16x16_f16 v[121:128], v[9:16], v[25:32], v[121:128]
	v_add_co_u32 v29, vcc_lo, v152, s6
	v_add_co_ci_u32_e32 v30, vcc_lo, s7, v153, vcc_lo
	s_mul_hi_i32 s7, s17, s5
	s_mul_i32 s6, s17, s5
	s_waitcnt vmcnt(18)
	v_wmma_f32_16x16x16_f16 v[137:144], v[17:24], v[129:136], v[137:144]
	s_lshl_b64 s[4:5], s[6:7], 1
	s_clause 0x1
	global_load_b128 v[9:12], v[145:146], off
	global_load_b128 v[13:16], v[145:146], off offset:16
	v_add_co_u32 v21, vcc_lo, v152, s4
	v_add_co_ci_u32_e32 v22, vcc_lo, s5, v153, vcc_lo
	s_clause 0x7
	global_load_b128 v[1:4], v[147:148], off
	global_load_b128 v[5:8], v[147:148], off offset:16
	global_load_b128 v[33:36], v[149:150], off
	global_load_b128 v[37:40], v[149:150], off offset:16
	;; [unrolled: 2-line block ×4, first 2 shown]
	s_waitcnt vmcnt(26)
	v_wmma_f32_16x16x16_f16 v[121:128], v[81:88], v[129:136], v[121:128]
	ds_load_b128 v[81:84], v151 offset:4096
	ds_load_b128 v[85:88], v151 offset:5120
	v_mbcnt_lo_u32_b32 v130, -1, 0
	s_delay_alu instid0(VALU_DEP_1) | instskip(NEXT) | instid1(VALU_DEP_1)
	v_xor_b32_e32 v131, 16, v130
	v_cmp_gt_i32_e32 vcc_lo, 32, v131
	v_cndmask_b32_e32 v130, v130, v131, vcc_lo
	s_waitcnt vmcnt(24) lgkmcnt(0)
	v_wmma_f32_16x16x16_f16 v[137:144], v[89:96], v[81:88], v[137:144]
	ds_load_b128 v[89:92], v151 offset:6144
	ds_load_b128 v[93:96], v151 offset:7168
	s_waitcnt vmcnt(22)
	v_wmma_f32_16x16x16_f16 v[121:128], v[97:104], v[81:88], v[121:128]
	s_waitcnt vmcnt(0) lgkmcnt(0)
	s_barrier
	buffer_gl0_inv
	v_wmma_f32_16x16x16_f16 v[137:144], v[105:112], v[89:96], v[137:144]
	v_and_b32_e32 v129, 0xe0, v0
	v_wmma_f32_16x16x16_f16 v[121:128], v[113:120], v[89:96], v[121:128]
	s_delay_alu instid0(VALU_DEP_3) | instskip(NEXT) | instid1(VALU_DEP_2)
	v_mul_f32_e32 v96, s19, v137
	v_dual_mul_f32 v104, s19, v126 :: v_dual_add_nc_u32 v129, s16, v129
	v_mul_f32_e32 v95, s19, v138
	v_dual_mul_f32 v93, s19, v140 :: v_dual_mul_f32 v94, s19, v139
	s_delay_alu instid0(VALU_DEP_3) | instskip(SKIP_3) | instid1(VALU_DEP_4)
	v_or_b32_e32 v129, v129, v75
	v_dual_mul_f32 v91, s19, v142 :: v_dual_mul_f32 v106, s19, v124
	v_dual_mul_f32 v92, s19, v141 :: v_dual_mul_f32 v89, s19, v144
	v_mul_f32_e32 v108, s19, v122
	v_or_b32_e32 v131, 2, v129
	v_or_b32_e32 v132, 4, v129
	;; [unrolled: 1-line block ×3, first 2 shown]
	v_cmp_gt_i32_e32 vcc_lo, s18, v129
	v_or_b32_e32 v82, 8, v129
	v_cmp_gt_i32_e64 s3, s18, v131
	v_or_b32_e32 v83, 10, v129
	v_cmp_gt_i32_e64 s4, s18, v132
	v_cndmask_b32_e32 v96, 0xff7fffff, v96, vcc_lo
	v_cmp_gt_i32_e64 s5, s18, v81
	v_cndmask_b32_e64 v95, 0xff7fffff, v95, s3
	v_or_b32_e32 v84, 12, v129
	v_or_b32_e32 v85, 14, v129
	v_cndmask_b32_e64 v94, 0xff7fffff, v94, s4
	v_cndmask_b32_e64 v81, 0xff7fffff, v93, s5
	v_max3_f32 v93, v96, 0xff7fffff, v95
	v_cmp_gt_i32_e64 s6, s18, v82
	v_cmp_gt_i32_e64 s7, s18, v83
	v_or_b32_e32 v86, 16, v129
	v_or_b32_e32 v87, 18, v129
	v_mul_f32_e32 v90, s19, v143
	v_cndmask_b32_e64 v82, 0xff7fffff, v92, s6
	v_cndmask_b32_e64 v83, 0xff7fffff, v91, s7
	v_max3_f32 v81, v93, v94, v81
	v_cmp_gt_i32_e64 s8, s18, v84
	v_cmp_gt_i32_e64 s9, s18, v85
	v_or_b32_e32 v88, 20, v129
	v_or_b32_e32 v97, 22, v129
	v_mul_f32_e32 v109, s19, v121
	;; [unrolled: 8-line block ×4, first 2 shown]
	v_cndmask_b32_e64 v84, 0xff7fffff, v107, s12
	v_cndmask_b32_e64 v85, 0xff7fffff, v106, s13
	v_max3_f32 v81, v81, v82, v83
	v_cmp_gt_i32_e64 s15, s18, v98
	v_cmp_gt_i32_e64 s16, s18, v99
	v_dual_mul_f32 v102, s19, v128 :: v_dual_mul_f32 v103, s19, v127
	s_delay_alu instid0(VALU_DEP_4) | instskip(NEXT) | instid1(VALU_DEP_4)
	v_max3_f32 v81, v81, v84, v85
	v_cndmask_b32_e64 v82, 0xff7fffff, v105, s15
	s_delay_alu instid0(VALU_DEP_4) | instskip(SKIP_2) | instid1(VALU_DEP_3)
	v_cndmask_b32_e64 v83, 0xff7fffff, v104, s16
	v_cmp_gt_i32_e64 s17, s18, v100
	v_cmp_gt_i32_e64 s18, s18, v101
	v_max3_f32 v81, v81, v82, v83
	s_delay_alu instid0(VALU_DEP_3) | instskip(NEXT) | instid1(VALU_DEP_3)
	v_cndmask_b32_e64 v84, 0xff7fffff, v103, s17
	v_cndmask_b32_e64 v85, 0xff7fffff, v102, s18
	v_lshlrev_b32_e32 v83, 2, v130
	s_delay_alu instid0(VALU_DEP_2) | instskip(SKIP_3) | instid1(VALU_DEP_1)
	v_max3_f32 v81, v81, v84, v85
	ds_bpermute_b32 v82, v83, v81
	s_waitcnt lgkmcnt(0)
	v_max_f32_e32 v82, v82, v82
	v_max_f32_e32 v81, v81, v82
	s_delay_alu instid0(VALU_DEP_1) | instskip(SKIP_2) | instid1(VALU_DEP_3)
	v_fma_f32 v82, s19, v137, -v81
	v_fma_f32 v84, s19, v138, -v81
	;; [unrolled: 1-line block ×3, first 2 shown]
	v_mul_f32_e32 v82, 0x3fb8aa3b, v82
	s_delay_alu instid0(VALU_DEP_2) | instskip(NEXT) | instid1(VALU_DEP_2)
	v_dual_mul_f32 v84, 0x3fb8aa3b, v84 :: v_dual_mul_f32 v89, 0x3fb8aa3b, v87
	v_exp_f32_e32 v82, v82
	s_delay_alu instid0(VALU_DEP_1) | instskip(NEXT) | instid1(VALU_DEP_1)
	v_exp_f32_e32 v84, v84
	v_exp_f32_e32 v92, v89
	s_delay_alu instid0(TRANS32_DEP_3)
	v_cndmask_b32_e32 v88, 0, v82, vcc_lo
	s_waitcnt_depctr 0xfff
	v_cndmask_b32_e64 v87, 0, v84, s3
	v_cndmask_b32_e64 v92, 0, v92, s6
	s_mov_b32 s3, exec_lo
	v_add_f32_e32 v84, 0, v88
	s_delay_alu instid0(VALU_DEP_1)
	v_add_f32_e32 v84, v84, v87
	v_fma_f32 v85, s19, v139, -v81
	v_fma_f32 v86, s19, v140, -v81
	;; [unrolled: 1-line block ×5, first 2 shown]
	s_delay_alu instid0(VALU_DEP_4) | instskip(NEXT) | instid1(VALU_DEP_4)
	v_dual_mul_f32 v85, 0x3fb8aa3b, v85 :: v_dual_mul_f32 v86, 0x3fb8aa3b, v86
	v_mul_f32_e32 v82, 0x3fb8aa3b, v82
	v_fma_f32 v96, s19, v124, -v81
	v_fma_f32 v99, s19, v127, -v81
	s_delay_alu instid0(VALU_DEP_4) | instskip(SKIP_3) | instid1(VALU_DEP_1)
	v_exp_f32_e32 v85, v85
	v_exp_f32_e32 v86, v86
	;; [unrolled: 1-line block ×3, first 2 shown]
	v_mul_f32_e32 v97, 0x3fb8aa3b, v96
	v_exp_f32_e32 v97, v97
	v_cndmask_b32_e64 v90, 0, v85, s4
	v_fma_f32 v85, s19, v144, -v81
	s_delay_alu instid0(TRANS32_DEP_3) | instskip(SKIP_1) | instid1(VALU_DEP_4)
	v_cndmask_b32_e64 v89, 0, v86, s5
	v_fma_f32 v86, s19, v121, -v81
	v_dual_add_f32 v84, v84, v90 :: v_dual_mul_f32 v91, 0x3fb8aa3b, v91
	s_delay_alu instid0(VALU_DEP_2) | instskip(NEXT) | instid1(TRANS32_DEP_1)
	v_mul_f32_e32 v86, 0x3fb8aa3b, v86
	v_cndmask_b32_e64 v97, 0, v97, s13
	s_delay_alu instid0(VALU_DEP_3)
	v_add_f32_e32 v84, v84, v89
	v_mul_f32_e32 v85, 0x3fb8aa3b, v85
	v_exp_f32_e32 v93, v91
	v_cndmask_b32_e64 v91, 0, v82, s7
	v_exp_f32_e32 v86, v86
	v_add_f32_e32 v82, v84, v92
	v_exp_f32_e32 v85, v85
	v_fma_f32 v84, s19, v123, -v81
	s_delay_alu instid0(VALU_DEP_2) | instskip(NEXT) | instid1(TRANS32_DEP_3)
	v_dual_mul_f32 v95, 0x3fb8aa3b, v94 :: v_dual_add_f32 v82, v82, v91
	v_cndmask_b32_e64 v94, 0, v93, s8
	s_delay_alu instid0(VALU_DEP_2) | instskip(NEXT) | instid1(TRANS32_DEP_3)
	v_exp_f32_e32 v95, v95
	v_cndmask_b32_e64 v96, 0, v86, s10
	v_fma_f32 v86, s19, v126, -v81
	s_delay_alu instid0(TRANS32_DEP_2) | instskip(SKIP_3) | instid1(VALU_DEP_3)
	v_cndmask_b32_e64 v93, 0, v85, s9
	v_fma_f32 v85, s19, v125, -v81
	v_mul_f32_e32 v84, 0x3fb8aa3b, v84
	v_add_f32_e32 v82, v82, v94
	v_dual_mul_f32 v86, 0x3fb8aa3b, v86 :: v_dual_mul_f32 v85, 0x3fb8aa3b, v85
	s_delay_alu instid0(VALU_DEP_3) | instskip(NEXT) | instid1(TRANS32_DEP_2)
	v_exp_f32_e32 v84, v84
	v_cndmask_b32_e64 v95, 0, v95, s11
	s_delay_alu instid0(VALU_DEP_2) | instskip(NEXT) | instid1(VALU_DEP_2)
	v_exp_f32_e32 v86, v86
	v_exp_f32_e32 v85, v85
	s_delay_alu instid0(TRANS32_DEP_3)
	v_cndmask_b32_e64 v98, 0, v84, s12
	v_mul_f32_e32 v84, 0x3fb8aa3b, v99
	v_fma_f32 v99, s19, v128, -v81
	v_add_f32_e32 v82, v82, v93
	s_waitcnt_depctr 0xfff
	v_cndmask_b32_e64 v100, 0, v85, s15
	v_exp_f32_e32 v84, v84
	v_dual_mul_f32 v85, 0x3fb8aa3b, v99 :: v_dual_add_f32 v82, v82, v96
	v_cndmask_b32_e64 v99, 0, v86, s16
	s_delay_alu instid0(VALU_DEP_2) | instskip(NEXT) | instid1(VALU_DEP_2)
	v_exp_f32_e32 v85, v85
	v_add_f32_e32 v82, v82, v95
	s_waitcnt_depctr 0xfff
	v_cndmask_b32_e64 v102, 0, v84, s17
	v_add_f32_e32 v82, v82, v98
	v_cndmask_b32_e64 v101, 0, v85, s18
	s_delay_alu instid0(VALU_DEP_2) | instskip(NEXT) | instid1(VALU_DEP_1)
	v_add_f32_e32 v82, v82, v97
	v_add_f32_e32 v82, v82, v100
	s_delay_alu instid0(VALU_DEP_1) | instskip(NEXT) | instid1(VALU_DEP_1)
	v_add_f32_e32 v82, v82, v99
	v_add_f32_e32 v82, v82, v102
	s_delay_alu instid0(VALU_DEP_1)
	v_add_f32_e32 v82, v82, v101
	ds_bpermute_b32 v83, v83, v82
	v_cmpx_gt_u32_e32 16, v80
	s_cbranch_execz .LBB125_14
; %bb.13:
	v_mul_u32_u24_e32 v80, 0x44, v79
	s_waitcnt lgkmcnt(0)
	v_add_f32_e32 v82, v82, v83
	s_delay_alu instid0(VALU_DEP_2) | instskip(NEXT) | instid1(VALU_DEP_1)
	v_lshl_add_u32 v80, v77, 2, v80
	v_add_nc_u32_e32 v80, 0x4000, v80
	ds_store_2addr_b32 v80, v81, v82 offset1:136
.LBB125_14:
	s_or_b32 exec_lo, exec_lo, s3
	v_lshlrev_b32_e32 v80, 2, v77
	s_load_b32 s35, s[0:1], 0x94
	s_waitcnt lgkmcnt(0)
	s_barrier
	buffer_gl0_inv
	v_add_nc_u32_e32 v84, 0x4000, v80
	v_cmp_eq_u32_e32 vcc_lo, 1, v79
	v_cmp_eq_u32_e64 s3, 2, v79
	v_cmp_eq_u32_e64 s4, 3, v79
	;; [unrolled: 1-line block ×3, first 2 shown]
	ds_load_2addr_b32 v[80:81], v84 offset1:17
	ds_load_2addr_b32 v[82:83], v84 offset0:34 offset1:51
	ds_load_2addr_b32 v[103:104], v84 offset0:68 offset1:85
	;; [unrolled: 1-line block ×3, first 2 shown]
	v_cmp_eq_u32_e64 s6, 7, v79
	s_waitcnt lgkmcnt(3)
	v_max3_f32 v85, v80, 0xff7fffff, v81
	s_waitcnt lgkmcnt(2)
	s_delay_alu instid0(VALU_DEP_1) | instskip(SKIP_1) | instid1(VALU_DEP_1)
	v_max3_f32 v85, v85, v82, v83
	s_waitcnt lgkmcnt(1)
	v_max3_f32 v85, v85, v103, v104
	s_waitcnt lgkmcnt(0)
	s_delay_alu instid0(VALU_DEP_1) | instskip(NEXT) | instid1(VALU_DEP_1)
	v_max3_f32 v85, v85, v105, v106
	v_sub_f32_e32 v103, v103, v85
	ds_load_2addr_b32 v[107:108], v84 offset0:136 offset1:153
	v_sub_f32_e32 v80, v80, v85
	v_dual_sub_f32 v110, v83, v85 :: v_dual_mul_f32 v113, 0x3fb8aa3b, v103
	s_delay_alu instid0(VALU_DEP_2) | instskip(SKIP_3) | instid1(VALU_DEP_1)
	v_dual_sub_f32 v86, v81, v85 :: v_dual_mul_f32 v109, 0x3fb8aa3b, v80
	ds_load_2addr_b32 v[80:81], v84 offset0:170 offset1:187
	v_mul_f32_e32 v86, 0x3fb8aa3b, v86
	v_exp_f32_e32 v109, v109
	v_exp_f32_e32 v112, v86
	v_mul_f32_e32 v110, 0x3fb8aa3b, v110
	s_waitcnt lgkmcnt(1)
	s_waitcnt_depctr 0xfff
	v_fma_f32 v86, v109, v107, 0
	v_sub_f32_e32 v107, v104, v85
	v_sub_f32_e32 v82, v82, v85
	v_exp_f32_e32 v110, v110
	ds_load_2addr_b32 v[103:104], v84 offset0:238 offset1:255
	v_dual_fmac_f32 v86, v112, v108 :: v_dual_mul_f32 v111, 0x3fb8aa3b, v82
	ds_load_2addr_b32 v[82:83], v84 offset0:204 offset1:221
	v_dual_sub_f32 v84, v105, v85 :: v_dual_mul_f32 v105, 0x3fb8aa3b, v107
	v_exp_f32_e32 v107, v113
	v_exp_f32_e32 v111, v111
	s_waitcnt lgkmcnt(0)
	s_delay_alu instid0(VALU_DEP_1)
	v_mul_f32_e32 v84, 0x3fb8aa3b, v84
	v_exp_f32_e32 v105, v105
	s_barrier
	buffer_gl0_inv
	v_fmac_f32_e32 v86, v111, v80
	v_sub_f32_e32 v80, v106, v85
	v_exp_f32_e32 v106, v84
	s_delay_alu instid0(VALU_DEP_2) | instskip(NEXT) | instid1(VALU_DEP_2)
	v_fmac_f32_e32 v86, v110, v81
	v_mul_f32_e32 v80, 0x3fb8aa3b, v80
	s_delay_alu instid0(VALU_DEP_2) | instskip(NEXT) | instid1(VALU_DEP_2)
	v_dual_cndmask_b32 v81, v109, v112 :: v_dual_fmac_f32 v86, v107, v82
	v_exp_f32_e32 v108, v80
	s_delay_alu instid0(VALU_DEP_1) | instskip(SKIP_2) | instid1(VALU_DEP_1)
	v_fmac_f32_e32 v86, v105, v83
	s_waitcnt_depctr 0xfff
	v_fmac_f32_e32 v86, v106, v103
	v_fmac_f32_e32 v86, v108, v104
	s_delay_alu instid0(VALU_DEP_1) | instskip(NEXT) | instid1(VALU_DEP_1)
	v_add_f32_e32 v103, 0x358637bd, v86
	v_div_scale_f32 v104, null, v103, v103, 1.0
	v_div_scale_f32 v109, vcc_lo, 1.0, v103, 1.0
	s_delay_alu instid0(VALU_DEP_2) | instskip(SKIP_2) | instid1(VALU_DEP_1)
	v_rcp_f32_e32 v113, v104
	s_waitcnt_depctr 0xfff
	v_fma_f32 v80, -v104, v113, 1.0
	v_fmac_f32_e32 v113, v80, v113
	v_cndmask_b32_e64 v80, v81, v111, s3
	v_cmp_eq_u32_e64 s3, 4, v79
	v_lshl_or_b32 v81, v79, 11, v78
	s_delay_alu instid0(VALU_DEP_4) | instskip(NEXT) | instid1(VALU_DEP_4)
	v_mul_f32_e32 v111, v109, v113
	v_cndmask_b32_e64 v82, v80, v110, s4
	v_cmp_eq_u32_e64 s4, 6, v79
	s_delay_alu instid0(VALU_DEP_4) | instskip(SKIP_3) | instid1(VALU_DEP_3)
	v_lshl_or_b32 v79, v75, 4, v81
	v_lshlrev_b32_e32 v80, 2, v75
	v_fma_f32 v83, -v104, v111, v109
	v_cndmask_b32_e64 v84, v82, v107, s3
	v_or_b32_e32 v82, 1, v80
	s_delay_alu instid0(VALU_DEP_3) | instskip(NEXT) | instid1(VALU_DEP_3)
	v_fmac_f32_e32 v111, v83, v113
	v_cndmask_b32_e64 v105, v84, v105, s5
	v_or_b32_e32 v84, 2, v80
	v_or_b32_e32 v83, 3, v80
	v_cmp_eq_u32_e64 s3, 1, v80
	v_fma_f32 v104, -v104, v111, v109
	v_cndmask_b32_e64 v105, v105, v106, s4
	v_cmp_eq_u32_e64 s9, 1, v82
	v_cmp_eq_u32_e64 s10, 1, v84
	;; [unrolled: 1-line block ×3, first 2 shown]
	v_div_fmas_f32 v104, v104, v113, v111
	v_cndmask_b32_e64 v105, v105, v108, s6
	v_cmp_eq_u32_e32 vcc_lo, 2, v80
	v_cmp_eq_u32_e64 s12, 2, v82
	v_cmp_eq_u32_e64 s15, 2, v84
	v_div_fixup_f32 v103, v104, v103, 1.0
	v_cmp_eq_u32_e64 s16, 2, v83
	v_cmp_eq_u32_e64 s18, 3, v83
	;; [unrolled: 1-line block ×4, first 2 shown]
	v_mul_f32_e32 v111, v105, v103
	v_cmp_eq_u32_e64 s17, 3, v84
	v_cmp_eq_u32_e64 s22, 4, v83
	;; [unrolled: 1-line block ×4, first 2 shown]
	v_fma_mixlo_f16 v103, v111, v88, 0
	v_fma_mixlo_f16 v104, v111, v90, 0
	;; [unrolled: 1-line block ×8, first 2 shown]
	v_fma_mixhi_f16 v103, v111, v87, 0
	v_fma_mixhi_f16 v104, v111, v89, 0
	;; [unrolled: 1-line block ×8, first 2 shown]
	ds_store_b128 v79, v[103:106]
	ds_store_b128 v79, v[107:110] offset:1024
	s_waitcnt lgkmcnt(0)
	s_barrier
	buffer_gl0_inv
	ds_load_b128 v[87:90], v81
	ds_load_b128 v[91:94], v81 offset:16
	ds_load_b128 v[95:98], v81 offset:1024
	;; [unrolled: 1-line block ×3, first 2 shown]
	v_cmp_eq_u32_e64 s21, 4, v84
	v_cmp_eq_u32_e64 s24, 5, v83
	v_cmp_eq_u32_e64 s6, 5, v80
	v_cmp_eq_u32_e64 s20, 5, v82
	v_cmp_eq_u32_e64 s23, 5, v84
	v_cmp_eq_u32_e64 s27, 6, v83
	v_cmp_eq_u32_e64 s7, 6, v80
	v_cmp_eq_u32_e64 s25, 6, v82
	v_cmp_eq_u32_e64 s26, 6, v84
	v_cmp_eq_u32_e64 s29, 7, v83
	v_cmp_eq_u32_e64 s8, 7, v80
	v_cmp_eq_u32_e64 s28, 7, v84
	v_cmp_eq_u32_e64 s30, 7, v82
	s_waitcnt lgkmcnt(3)
	v_lshrrev_b32_e32 v103, 16, v87
	s_waitcnt lgkmcnt(2)
	v_lshrrev_b32_e32 v107, 16, v91
	;; [unrolled: 2-line block ×4, first 2 shown]
	v_lshrrev_b32_e32 v104, 16, v88
	v_cndmask_b32_e64 v119, v87, v103, s3
	v_cndmask_b32_e64 v120, v91, v107, s3
	;; [unrolled: 1-line block ×8, first 2 shown]
	v_lshrrev_b32_e32 v108, 16, v92
	v_cndmask_b32_e64 v103, v95, v111, s3
	v_cndmask_b32_e64 v107, v99, v115, s3
	;; [unrolled: 1-line block ×5, first 2 shown]
	v_cndmask_b32_e32 v111, v119, v88, vcc_lo
	v_cndmask_b32_e64 v119, v121, v88, s12
	v_cndmask_b32_e64 v121, v123, v88, s15
	;; [unrolled: 1-line block ×4, first 2 shown]
	v_lshrrev_b32_e32 v112, 16, v96
	v_lshrrev_b32_e32 v116, 16, v100
	v_cndmask_b32_e64 v126, v99, v115, s9
	v_cndmask_b32_e64 v128, v99, v115, s10
	;; [unrolled: 1-line block ×3, first 2 shown]
	v_cndmask_b32_e32 v115, v120, v92, vcc_lo
	v_cndmask_b32_e64 v120, v122, v92, s12
	v_cndmask_b32_e64 v122, v124, v92, s15
	v_cndmask_b32_e32 v91, v103, v96, vcc_lo
	v_cndmask_b32_e32 v92, v107, v100, vcc_lo
	v_cndmask_b32_e64 v103, v125, v96, s12
	v_cndmask_b32_e64 v87, v87, v104, s18
	;; [unrolled: 1-line block ×3, first 2 shown]
	v_lshrrev_b32_e32 v105, 16, v89
	v_lshrrev_b32_e32 v109, 16, v93
	v_cndmask_b32_e64 v107, v127, v96, s15
	v_cndmask_b32_e64 v95, v95, v96, s16
	;; [unrolled: 1-line block ×14, first 2 shown]
	v_lshrrev_b32_e32 v113, 16, v97
	v_cndmask_b32_e64 v99, v99, v89, s5
	v_cndmask_b32_e64 v104, v111, v93, s5
	;; [unrolled: 1-line block ×11, first 2 shown]
	v_lshrrev_b32_e32 v106, 16, v90
	v_lshrrev_b32_e32 v110, 16, v94
	v_cndmask_b32_e64 v93, v99, v105, s6
	v_cndmask_b32_e64 v99, v104, v109, s6
	;; [unrolled: 1-line block ×9, first 2 shown]
	v_lshrrev_b32_e32 v114, 16, v98
	v_cndmask_b32_e64 v89, v89, v113, s6
	v_cndmask_b32_e64 v93, v93, v90, s7
	;; [unrolled: 1-line block ×19, first 2 shown]
	v_perm_b32 v90, v88, v87, 0x5040100
	v_cndmask_b32_e64 v87, v126, v100, s12
	v_cndmask_b32_e64 v105, v89, v114, s8
	v_perm_b32 v89, v103, v99, 0x5040100
	v_perm_b32 v88, v104, v94, 0x5040100
	v_cndmask_b32_e64 v94, v107, v112, s17
	v_cndmask_b32_e64 v95, v95, v112, s18
	;; [unrolled: 1-line block ×5, first 2 shown]
	v_lshrrev_b32_e32 v117, 16, v101
	v_cndmask_b32_e64 v94, v94, v97, s21
	v_cndmask_b32_e64 v95, v95, v97, s22
	;; [unrolled: 1-line block ×11, first 2 shown]
	v_lshrrev_b32_e32 v118, 16, v102
	v_cndmask_b32_e64 v91, v91, v102, s7
	v_cndmask_b32_e64 v94, v94, v98, s26
	v_cndmask_b32_e64 v95, v95, v98, s27
	v_cndmask_b32_e64 v96, v96, v102, s27
	v_cndmask_b32_e64 v97, v97, v102, s26
	v_cndmask_b32_e64 v87, v87, v102, s25
	v_cndmask_b32_e64 v98, v94, v114, s28
	v_cndmask_b32_e64 v94, v95, v114, s29
	v_cndmask_b32_e64 v95, v96, v118, s29
	v_cndmask_b32_e64 v96, v97, v118, s28
	v_cndmask_b32_e64 v97, v87, v118, s30
	v_cndmask_b32_e64 v91, v91, v118, s8
	v_perm_b32 v87, v93, v92, 0x5040100
	v_perm_b32 v94, v95, v94, 0x5040100
	;; [unrolled: 1-line block ×5, first 2 shown]
	s_mul_i32 s7, s33, 12
	s_mov_b32 s3, exec_lo
	ds_store_b128 v79, v[87:90]
	ds_store_b128 v79, v[91:94] offset:1024
	v_cmpx_gt_u32_e32 12, v0
	s_cbranch_execz .LBB125_16
; %bb.15:
	s_mul_i32 s4, s7, s34
	s_load_b128 s[8:11], s[0:1], 0x58
	v_add3_u32 v77, s4, s31, v77
	s_delay_alu instid0(VALU_DEP_1) | instskip(NEXT) | instid1(VALU_DEP_1)
	v_mad_u64_u32 v[87:88], null, v77, s35, s[14:15]
	v_ashrrev_i32_e32 v88, 31, v87
	s_delay_alu instid0(VALU_DEP_1) | instskip(SKIP_1) | instid1(VALU_DEP_1)
	v_lshlrev_b64 v[87:88], 2, v[87:88]
	s_waitcnt lgkmcnt(0)
	v_add_co_u32 v89, vcc_lo, s10, v87
	s_delay_alu instid0(VALU_DEP_2)
	v_add_co_ci_u32_e32 v90, vcc_lo, s11, v88, vcc_lo
	v_add_co_u32 v87, vcc_lo, s8, v87
	v_add_co_ci_u32_e32 v88, vcc_lo, s9, v88, vcc_lo
	global_store_b32 v[89:90], v85, off
	global_store_b32 v[87:88], v86, off
.LBB125_16:
	s_or_b32 exec_lo, exec_lo, s3
	s_waitcnt lgkmcnt(0)
	s_waitcnt_vscnt null, 0x0
	s_barrier
	buffer_gl0_inv
	ds_load_b128 v[93:96], v78
	ds_load_b128 v[97:100], v78 offset:16
	ds_load_b128 v[105:108], v78 offset:1040
	;; [unrolled: 1-line block ×5, first 2 shown]
	v_cmp_eq_u32_e32 vcc_lo, 1, v84
	v_mov_b32_e32 v85, 0
	ds_load_b128 v[121:124], v78 offset:3088
	ds_load_b128 v[117:120], v78 offset:3072
	;; [unrolled: 1-line block ×4, first 2 shown]
	v_cmp_eq_u32_e64 s3, 1, v80
	v_cmp_eq_u32_e64 s4, 1, v83
	;; [unrolled: 1-line block ×3, first 2 shown]
	v_mov_b32_e32 v86, v85
	v_mov_b32_e32 v87, v85
	;; [unrolled: 1-line block ×7, first 2 shown]
	v_cmp_eq_u32_e64 s6, 2, v80
	s_waitcnt lgkmcnt(8)
	s_delay_alu instid0(VALU_DEP_2)
	v_wmma_f32_16x16x16_f16 v[85:92], v[65:72], v[93:100], v[85:92]
	ds_load_b128 v[69:72], v78 offset:5136
	ds_load_b128 v[65:68], v78 offset:5120
	;; [unrolled: 1-line block ×4, first 2 shown]
	s_waitcnt lgkmcnt(10)
	v_wmma_f32_16x16x16_f16 v[85:92], v[57:64], v[101:108], v[85:92]
	s_waitcnt lgkmcnt(8)
	s_delay_alu instid0(VALU_DEP_1)
	v_wmma_f32_16x16x16_f16 v[85:92], v[57:64], v[109:116], v[85:92]
	ds_load_b128 v[61:64], v78 offset:7184
	ds_load_b128 v[57:60], v78 offset:7168
	;; [unrolled: 1-line block ×4, first 2 shown]
	s_waitcnt lgkmcnt(10)
	v_wmma_f32_16x16x16_f16 v[85:92], v[49:56], v[117:124], v[85:92]
	s_waitcnt lgkmcnt(8)
	s_delay_alu instid0(VALU_DEP_1)
	v_wmma_f32_16x16x16_f16 v[85:92], v[49:56], v[125:132], v[85:92]
	ds_load_b128 v[53:56], v78 offset:9232
	ds_load_b128 v[49:52], v78 offset:9216
	s_waitcnt lgkmcnt(8)
	v_wmma_f32_16x16x16_f16 v[85:92], v[41:48], v[65:72], v[85:92]
	ds_load_b128 v[69:72], v78 offset:10256
	ds_load_b128 v[65:68], v78 offset:10240
	s_waitcnt lgkmcnt(8)
	v_wmma_f32_16x16x16_f16 v[85:92], v[41:48], v[93:100], v[85:92]
	ds_load_b128 v[45:48], v78 offset:11280
	ds_load_b128 v[41:44], v78 offset:11264
	s_waitcnt lgkmcnt(8)
	v_wmma_f32_16x16x16_f16 v[85:92], v[9:16], v[57:64], v[85:92]
	ds_load_b128 v[61:64], v78 offset:12304
	ds_load_b128 v[57:60], v78 offset:12288
	s_waitcnt lgkmcnt(8)
	v_wmma_f32_16x16x16_f16 v[85:92], v[9:16], v[101:108], v[85:92]
	ds_load_b128 v[13:16], v78 offset:13328
	ds_load_b128 v[9:12], v78 offset:13312
	s_waitcnt lgkmcnt(8)
	v_wmma_f32_16x16x16_f16 v[85:92], v[1:8], v[49:56], v[85:92]
	ds_load_b128 v[53:56], v78 offset:14352
	ds_load_b128 v[49:52], v78 offset:14336
	s_waitcnt lgkmcnt(8)
	v_wmma_f32_16x16x16_f16 v[85:92], v[1:8], v[65:72], v[85:92]
	ds_load_b128 v[5:8], v78 offset:15376
	ds_load_b128 v[1:4], v78 offset:15360
	s_waitcnt lgkmcnt(0)
	s_barrier
	buffer_gl0_inv
	v_wmma_f32_16x16x16_f16 v[85:92], v[33:40], v[41:48], v[85:92]
	s_delay_alu instid0(VALU_DEP_1) | instskip(NEXT) | instid1(VALU_DEP_1)
	v_wmma_f32_16x16x16_f16 v[85:92], v[33:40], v[57:64], v[85:92]
	v_wmma_f32_16x16x16_f16 v[85:92], v[25:32], v[9:16], v[85:92]
	s_delay_alu instid0(VALU_DEP_1) | instskip(NEXT) | instid1(VALU_DEP_1)
	v_wmma_f32_16x16x16_f16 v[85:92], v[25:32], v[49:56], v[85:92]
	v_wmma_f32_16x16x16_f16 v[85:92], v[17:24], v[1:8], v[85:92]
	s_delay_alu instid0(VALU_DEP_1) | instskip(NEXT) | instid1(VALU_DEP_2)
	v_cvt_f16_f32_e32 v1, v85
	v_cvt_f16_f32_e32 v2, v86
	s_delay_alu instid0(VALU_DEP_3) | instskip(NEXT) | instid1(VALU_DEP_4)
	v_cvt_f16_f32_e32 v3, v87
	v_cvt_f16_f32_e32 v4, v88
	;; [unrolled: 1-line block ×6, first 2 shown]
	v_pack_b32_f16 v1, v1, v2
	v_pack_b32_f16 v2, v3, v4
	;; [unrolled: 1-line block ×3, first 2 shown]
	s_delay_alu instid0(VALU_DEP_4)
	v_pack_b32_f16 v4, v7, v8
	ds_store_b128 v79, v[1:4]
	s_waitcnt lgkmcnt(0)
	s_barrier
	buffer_gl0_inv
	ds_load_b128 v[1:4], v81
	ds_load_b128 v[5:8], v81 offset:16
	s_waitcnt lgkmcnt(1)
	v_lshrrev_b32_e32 v9, 16, v1
	s_waitcnt lgkmcnt(0)
	v_lshrrev_b32_e32 v13, 16, v5
	v_lshrrev_b32_e32 v15, 16, v7
	;; [unrolled: 1-line block ×4, first 2 shown]
	v_cndmask_b32_e64 v17, v1, v9, s3
	v_cndmask_b32_e64 v18, v5, v13, s3
	v_cndmask_b32_e64 v19, v1, v9, s5
	v_cmp_eq_u32_e64 s3, 2, v82
	v_cndmask_b32_e64 v20, v5, v13, s5
	v_cndmask_b32_e32 v21, v1, v9, vcc_lo
	v_cndmask_b32_e32 v22, v5, v13, vcc_lo
	v_cndmask_b32_e64 v1, v1, v9, s4
	v_cndmask_b32_e64 v5, v5, v13, s4
	v_cmp_eq_u32_e32 vcc_lo, 2, v84
	v_cmp_eq_u32_e64 s4, 2, v83
	v_cndmask_b32_e64 v9, v17, v2, s6
	v_cndmask_b32_e64 v13, v18, v6, s6
	;; [unrolled: 1-line block ×4, first 2 shown]
	v_cndmask_b32_e32 v19, v21, v2, vcc_lo
	v_cmp_eq_u32_e64 s3, 3, v84
	v_cndmask_b32_e32 v20, v22, v6, vcc_lo
	v_cndmask_b32_e64 v1, v1, v2, s4
	v_cmp_eq_u32_e32 vcc_lo, 3, v83
	v_cmp_eq_u32_e64 s5, 3, v80
	v_cndmask_b32_e64 v2, v5, v6, s4
	v_cmp_eq_u32_e64 s4, 3, v82
	v_lshrrev_b32_e32 v16, 16, v8
	v_cmp_eq_u32_e64 s6, 4, v80
	v_cndmask_b32_e64 v5, v9, v10, s5
	v_cndmask_b32_e64 v6, v13, v14, s5
	;; [unrolled: 1-line block ×3, first 2 shown]
	v_cmp_eq_u32_e64 s5, 4, v82
	v_cndmask_b32_e64 v13, v18, v14, s4
	v_cndmask_b32_e64 v17, v19, v10, s3
	;; [unrolled: 1-line block ×3, first 2 shown]
	v_cndmask_b32_e32 v1, v1, v10, vcc_lo
	v_cndmask_b32_e32 v2, v2, v14, vcc_lo
	v_cmp_eq_u32_e32 vcc_lo, 4, v84
	v_cmp_eq_u32_e64 s4, 4, v83
	v_lshrrev_b32_e32 v11, 16, v3
	v_cndmask_b32_e64 v5, v5, v3, s6
	v_cndmask_b32_e64 v6, v6, v7, s6
	;; [unrolled: 1-line block ×4, first 2 shown]
	v_cndmask_b32_e32 v13, v17, v3, vcc_lo
	v_cmp_eq_u32_e64 s3, 5, v84
	v_cndmask_b32_e32 v14, v18, v7, vcc_lo
	v_cndmask_b32_e64 v1, v1, v3, s4
	v_cmp_eq_u32_e32 vcc_lo, 5, v83
	v_cmp_eq_u32_e64 s5, 5, v80
	v_cndmask_b32_e64 v2, v2, v7, s4
	v_cmp_eq_u32_e64 s4, 5, v82
	v_cmp_eq_u32_e64 s6, 6, v80
	v_cndmask_b32_e32 v1, v1, v11, vcc_lo
	v_cndmask_b32_e64 v3, v5, v11, s5
	v_cndmask_b32_e64 v5, v6, v15, s5
	;; [unrolled: 1-line block ×3, first 2 shown]
	v_cmp_eq_u32_e64 s5, 6, v82
	v_cndmask_b32_e64 v7, v10, v15, s4
	v_cndmask_b32_e64 v9, v13, v11, s3
	;; [unrolled: 1-line block ×3, first 2 shown]
	v_cndmask_b32_e32 v2, v2, v15, vcc_lo
	v_cmp_eq_u32_e32 vcc_lo, 6, v84
	v_cmp_eq_u32_e64 s3, 6, v83
	v_lshrrev_b32_e32 v12, 16, v4
	v_cndmask_b32_e64 v3, v3, v4, s6
	v_cndmask_b32_e64 v5, v5, v8, s6
	;; [unrolled: 1-line block ×4, first 2 shown]
	v_cndmask_b32_e32 v9, v9, v4, vcc_lo
	v_cmp_eq_u32_e64 s4, 7, v84
	v_cndmask_b32_e32 v10, v10, v8, vcc_lo
	v_cndmask_b32_e64 v1, v1, v4, s3
	v_cmp_eq_u32_e32 vcc_lo, 7, v83
	v_cndmask_b32_e64 v2, v2, v8, s3
	v_cmp_eq_u32_e64 s3, 7, v80
	v_cmp_eq_u32_e64 s5, 7, v82
	v_cndmask_b32_e32 v1, v1, v12, vcc_lo
	s_delay_alu instid0(VALU_DEP_4) | instskip(NEXT) | instid1(VALU_DEP_4)
	v_cndmask_b32_e32 v2, v2, v16, vcc_lo
	v_cndmask_b32_e64 v8, v3, v12, s3
	s_delay_alu instid0(VALU_DEP_4)
	v_cndmask_b32_e64 v6, v6, v12, s5
	v_cndmask_b32_e64 v3, v9, v12, s4
	;; [unrolled: 1-line block ×5, first 2 shown]
	v_cmp_gt_u32_e32 vcc_lo, 32, v0
	v_perm_b32 v4, v2, v1, 0x5040100
	v_perm_b32 v3, v9, v3, 0x5040100
	;; [unrolled: 1-line block ×4, first 2 shown]
	s_and_b32 s2, vcc_lo, s2
	ds_store_b128 v79, v[1:4]
	s_waitcnt lgkmcnt(0)
	s_barrier
	buffer_gl0_inv
	s_and_saveexec_b32 s3, s2
	s_cbranch_execz .LBB125_2
; %bb.17:
	s_load_b64 s[0:1], s[0:1], 0x68
	v_lshlrev_b32_e32 v0, 10, v0
	s_lshl_b32 s4, s35, 6
	v_or_b32_e32 v3, s31, v75
	s_mul_i32 s2, s4, s34
	v_lshlrev_b32_e32 v1, 4, v76
	s_mul_i32 s2, s2, s7
	v_lshlrev_b32_e32 v2, 6, v75
	v_and_b32_e32 v0, 0x3800, v0
	s_ashr_i32 s3, s2, 31
	v_mul_lo_u32 v4, v3, s4
	s_lshl_b64 s[2:3], s[2:3], 1
	s_delay_alu instid0(VALU_DEP_2) | instskip(NEXT) | instid1(VALU_DEP_2)
	v_or3_b32 v16, v0, v1, v2
	v_ashrrev_i32_e32 v5, 31, v4
	ds_load_b128 v[0:3], v16
	s_waitcnt lgkmcnt(0)
	s_add_u32 s2, s0, s2
	s_addc_u32 s3, s1, s3
	s_lshl_b32 s0, s14, 6
	v_lshlrev_b64 v[5:6], 1, v[4:5]
	s_ashr_i32 s1, s0, 31
	s_delay_alu instid0(SALU_CYCLE_1) | instskip(NEXT) | instid1(SALU_CYCLE_1)
	s_lshl_b64 s[0:1], s[0:1], 1
	s_add_u32 s0, s2, s0
	s_addc_u32 s1, s3, s1
	s_lshl_b32 s2, s35, 7
	v_add_co_u32 v30, vcc_lo, s0, v73
	v_add_nc_u32_e32 v8, s2, v4
	v_add_co_ci_u32_e32 v31, vcc_lo, s1, v74, vcc_lo
	s_delay_alu instid0(VALU_DEP_3) | instskip(NEXT) | instid1(VALU_DEP_3)
	v_add_co_u32 v12, vcc_lo, v30, v5
	v_add_nc_u32_e32 v10, s2, v8
	v_ashrrev_i32_e32 v9, 31, v8
	s_delay_alu instid0(VALU_DEP_4)
	v_add_co_ci_u32_e32 v13, vcc_lo, v31, v6, vcc_lo
	ds_load_b128 v[4:7], v16 offset:128
	v_ashrrev_i32_e32 v11, 31, v10
	v_lshlrev_b64 v[8:9], 1, v[8:9]
	v_add_nc_u32_e32 v14, s2, v10
	global_store_b128 v[12:13], v[0:3], off
	v_lshlrev_b64 v[0:1], 1, v[10:11]
	v_ashrrev_i32_e32 v15, 31, v14
	v_add_co_u32 v22, vcc_lo, v30, v8
	v_add_nc_u32_e32 v20, s2, v14
	v_add_co_ci_u32_e32 v23, vcc_lo, v31, v9, vcc_lo
	v_add_co_u32 v26, vcc_lo, v30, v0
	v_lshlrev_b64 v[24:25], 1, v[14:15]
	v_add_co_ci_u32_e32 v27, vcc_lo, v31, v1, vcc_lo
	ds_load_b128 v[0:3], v16 offset:256
	ds_load_b128 v[8:11], v16 offset:384
	;; [unrolled: 1-line block ×4, first 2 shown]
	v_add_nc_u32_e32 v28, s2, v20
	v_ashrrev_i32_e32 v21, 31, v20
	v_add_co_u32 v24, vcc_lo, v30, v24
	v_add_co_ci_u32_e32 v25, vcc_lo, v31, v25, vcc_lo
	s_delay_alu instid0(VALU_DEP_4) | instskip(NEXT) | instid1(VALU_DEP_4)
	v_ashrrev_i32_e32 v29, 31, v28
	v_lshlrev_b64 v[20:21], 1, v[20:21]
	s_delay_alu instid0(VALU_DEP_2) | instskip(NEXT) | instid1(VALU_DEP_2)
	v_lshlrev_b64 v[28:29], 1, v[28:29]
	v_add_co_u32 v20, vcc_lo, v30, v20
	s_delay_alu instid0(VALU_DEP_3) | instskip(NEXT) | instid1(VALU_DEP_3)
	v_add_co_ci_u32_e32 v21, vcc_lo, v31, v21, vcc_lo
	v_add_co_u32 v28, vcc_lo, v30, v28
	s_delay_alu instid0(VALU_DEP_4)
	v_add_co_ci_u32_e32 v29, vcc_lo, v31, v29, vcc_lo
	s_waitcnt lgkmcnt(4)
	global_store_b128 v[22:23], v[4:7], off
	s_waitcnt lgkmcnt(3)
	global_store_b128 v[26:27], v[0:3], off
	;; [unrolled: 2-line block ×5, first 2 shown]
	s_nop 0
	s_sendmsg sendmsg(MSG_DEALLOC_VGPRS)
	s_endpgm
	.section	.rodata,"a",@progbits
	.p2align	6, 0x0
	.amdhsa_kernel _Z39paged_attention_ll4mi_QKV_mfma16_kernelIDF16_DF16_LN4vllm18Fp8KVCacheDataTypeE0EhLi32ELi64ELi256ELb1ELi12EL8MFMAType0EEvPKT_PKT0_S8_ifPKiSA_SA_iPKfiiiPfSD_PS3_PT2_iSC_SC_
		.amdhsa_group_segment_fixed_size 17472
		.amdhsa_private_segment_fixed_size 0
		.amdhsa_kernarg_size 400
		.amdhsa_user_sgpr_count 13
		.amdhsa_user_sgpr_dispatch_ptr 0
		.amdhsa_user_sgpr_queue_ptr 0
		.amdhsa_user_sgpr_kernarg_segment_ptr 1
		.amdhsa_user_sgpr_dispatch_id 0
		.amdhsa_user_sgpr_private_segment_size 0
		.amdhsa_wavefront_size32 1
		.amdhsa_uses_dynamic_stack 0
		.amdhsa_enable_private_segment 0
		.amdhsa_system_sgpr_workgroup_id_x 1
		.amdhsa_system_sgpr_workgroup_id_y 1
		.amdhsa_system_sgpr_workgroup_id_z 1
		.amdhsa_system_sgpr_workgroup_info 0
		.amdhsa_system_vgpr_workitem_id 0
		.amdhsa_next_free_vgpr 154
		.amdhsa_next_free_sgpr 39
		.amdhsa_reserve_vcc 1
		.amdhsa_float_round_mode_32 0
		.amdhsa_float_round_mode_16_64 0
		.amdhsa_float_denorm_mode_32 3
		.amdhsa_float_denorm_mode_16_64 3
		.amdhsa_dx10_clamp 1
		.amdhsa_ieee_mode 1
		.amdhsa_fp16_overflow 0
		.amdhsa_workgroup_processor_mode 1
		.amdhsa_memory_ordered 1
		.amdhsa_forward_progress 0
		.amdhsa_shared_vgpr_count 0
		.amdhsa_exception_fp_ieee_invalid_op 0
		.amdhsa_exception_fp_denorm_src 0
		.amdhsa_exception_fp_ieee_div_zero 0
		.amdhsa_exception_fp_ieee_overflow 0
		.amdhsa_exception_fp_ieee_underflow 0
		.amdhsa_exception_fp_ieee_inexact 0
		.amdhsa_exception_int_div_zero 0
	.end_amdhsa_kernel
	.section	.text._Z39paged_attention_ll4mi_QKV_mfma16_kernelIDF16_DF16_LN4vllm18Fp8KVCacheDataTypeE0EhLi32ELi64ELi256ELb1ELi12EL8MFMAType0EEvPKT_PKT0_S8_ifPKiSA_SA_iPKfiiiPfSD_PS3_PT2_iSC_SC_,"axG",@progbits,_Z39paged_attention_ll4mi_QKV_mfma16_kernelIDF16_DF16_LN4vllm18Fp8KVCacheDataTypeE0EhLi32ELi64ELi256ELb1ELi12EL8MFMAType0EEvPKT_PKT0_S8_ifPKiSA_SA_iPKfiiiPfSD_PS3_PT2_iSC_SC_,comdat
.Lfunc_end125:
	.size	_Z39paged_attention_ll4mi_QKV_mfma16_kernelIDF16_DF16_LN4vllm18Fp8KVCacheDataTypeE0EhLi32ELi64ELi256ELb1ELi12EL8MFMAType0EEvPKT_PKT0_S8_ifPKiSA_SA_iPKfiiiPfSD_PS3_PT2_iSC_SC_, .Lfunc_end125-_Z39paged_attention_ll4mi_QKV_mfma16_kernelIDF16_DF16_LN4vllm18Fp8KVCacheDataTypeE0EhLi32ELi64ELi256ELb1ELi12EL8MFMAType0EEvPKT_PKT0_S8_ifPKiSA_SA_iPKfiiiPfSD_PS3_PT2_iSC_SC_
                                        ; -- End function
	.section	.AMDGPU.csdata,"",@progbits
; Kernel info:
; codeLenInByte = 7312
; NumSgprs: 41
; NumVgprs: 154
; ScratchSize: 0
; MemoryBound: 0
; FloatMode: 240
; IeeeMode: 1
; LDSByteSize: 17472 bytes/workgroup (compile time only)
; SGPRBlocks: 5
; VGPRBlocks: 19
; NumSGPRsForWavesPerEU: 41
; NumVGPRsForWavesPerEU: 154
; Occupancy: 9
; WaveLimiterHint : 1
; COMPUTE_PGM_RSRC2:SCRATCH_EN: 0
; COMPUTE_PGM_RSRC2:USER_SGPR: 13
; COMPUTE_PGM_RSRC2:TRAP_HANDLER: 0
; COMPUTE_PGM_RSRC2:TGID_X_EN: 1
; COMPUTE_PGM_RSRC2:TGID_Y_EN: 1
; COMPUTE_PGM_RSRC2:TGID_Z_EN: 1
; COMPUTE_PGM_RSRC2:TIDIG_COMP_CNT: 0
	.section	.text._Z39paged_attention_ll4mi_QKV_mfma16_kernelIDF16_DF16_LN4vllm18Fp8KVCacheDataTypeE0EhLi32ELi64ELi256ELb1ELi13EL8MFMAType0EEvPKT_PKT0_S8_ifPKiSA_SA_iPKfiiiPfSD_PS3_PT2_iSC_SC_,"axG",@progbits,_Z39paged_attention_ll4mi_QKV_mfma16_kernelIDF16_DF16_LN4vllm18Fp8KVCacheDataTypeE0EhLi32ELi64ELi256ELb1ELi13EL8MFMAType0EEvPKT_PKT0_S8_ifPKiSA_SA_iPKfiiiPfSD_PS3_PT2_iSC_SC_,comdat
	.protected	_Z39paged_attention_ll4mi_QKV_mfma16_kernelIDF16_DF16_LN4vllm18Fp8KVCacheDataTypeE0EhLi32ELi64ELi256ELb1ELi13EL8MFMAType0EEvPKT_PKT0_S8_ifPKiSA_SA_iPKfiiiPfSD_PS3_PT2_iSC_SC_ ; -- Begin function _Z39paged_attention_ll4mi_QKV_mfma16_kernelIDF16_DF16_LN4vllm18Fp8KVCacheDataTypeE0EhLi32ELi64ELi256ELb1ELi13EL8MFMAType0EEvPKT_PKT0_S8_ifPKiSA_SA_iPKfiiiPfSD_PS3_PT2_iSC_SC_
	.globl	_Z39paged_attention_ll4mi_QKV_mfma16_kernelIDF16_DF16_LN4vllm18Fp8KVCacheDataTypeE0EhLi32ELi64ELi256ELb1ELi13EL8MFMAType0EEvPKT_PKT0_S8_ifPKiSA_SA_iPKfiiiPfSD_PS3_PT2_iSC_SC_
	.p2align	8
	.type	_Z39paged_attention_ll4mi_QKV_mfma16_kernelIDF16_DF16_LN4vllm18Fp8KVCacheDataTypeE0EhLi32ELi64ELi256ELb1ELi13EL8MFMAType0EEvPKT_PKT0_S8_ifPKiSA_SA_iPKfiiiPfSD_PS3_PT2_iSC_SC_,@function
_Z39paged_attention_ll4mi_QKV_mfma16_kernelIDF16_DF16_LN4vllm18Fp8KVCacheDataTypeE0EhLi32ELi64ELi256ELb1ELi13EL8MFMAType0EEvPKT_PKT0_S8_ifPKiSA_SA_iPKfiiiPfSD_PS3_PT2_iSC_SC_: ; @_Z39paged_attention_ll4mi_QKV_mfma16_kernelIDF16_DF16_LN4vllm18Fp8KVCacheDataTypeE0EhLi32ELi64ELi256ELb1ELi13EL8MFMAType0EEvPKT_PKT0_S8_ifPKiSA_SA_iPKfiiiPfSD_PS3_PT2_iSC_SC_
; %bb.0:
	s_load_b64 s[2:3], s[0:1], 0x30
	s_mov_b32 s34, s13
	s_waitcnt lgkmcnt(0)
	s_cmp_lg_u64 s[2:3], 0
	s_cselect_b32 s6, -1, 0
	s_ashr_i32 s35, s13, 31
	s_cmp_eq_u64 s[2:3], 0
	s_cbranch_scc1 .LBB126_3
; %bb.1:
	s_lshl_b64 s[4:5], s[34:35], 2
	s_delay_alu instid0(SALU_CYCLE_1) | instskip(SKIP_4) | instid1(SALU_CYCLE_1)
	s_add_u32 s4, s2, s4
	s_addc_u32 s5, s3, s5
	s_load_b64 s[4:5], s[4:5], 0x0
	s_waitcnt lgkmcnt(0)
	s_sub_i32 s4, s5, s4
	s_cmp_eq_u32 s4, 1
	s_cselect_b32 s4, -1, 0
	s_delay_alu instid0(SALU_CYCLE_1)
	s_and_not1_b32 vcc_lo, exec_lo, s4
	s_cbranch_vccz .LBB126_4
.LBB126_2:
	s_nop 0
	s_sendmsg sendmsg(MSG_DEALLOC_VGPRS)
	s_endpgm
.LBB126_3:
.LBB126_4:
	s_load_b64 s[8:9], s[0:1], 0x28
	s_lshl_b64 s[4:5], s[34:35], 2
	s_waitcnt lgkmcnt(0)
	s_add_u32 s8, s8, s4
	s_addc_u32 s9, s9, s5
	s_lshl_b32 s16, s14, 8
	s_load_b32 s18, s[8:9], 0x0
	s_waitcnt lgkmcnt(0)
	s_cmp_ge_i32 s16, s18
	s_cbranch_scc1 .LBB126_2
; %bb.5:
	s_and_not1_b32 vcc_lo, exec_lo, s6
	s_cbranch_vccnz .LBB126_7
; %bb.6:
	s_add_u32 s2, s2, s4
	s_addc_u32 s3, s3, s5
	s_load_b32 s17, s[2:3], 0x0
	s_branch .LBB126_8
.LBB126_7:
	s_mov_b32 s17, s34
.LBB126_8:
	s_clause 0x2
	s_load_b128 s[8:11], s[0:1], 0x8
	s_load_b64 s[12:13], s[0:1], 0x20
	s_load_b128 s[4:7], s[0:1], 0x48
	v_lshrrev_b32_e32 v78, 5, v0
	v_bfe_u32 v75, v0, 4, 1
	v_and_b32_e32 v77, 15, v0
	s_delay_alu instid0(VALU_DEP_2) | instskip(NEXT) | instid1(VALU_DEP_2)
	v_lshl_or_b32 v3, v78, 1, v75
	v_cmp_lt_u32_e64 s3, 7, v77
	v_lshlrev_b32_e32 v1, 3, v77
	v_cmp_gt_u32_e64 s2, 8, v77
	s_delay_alu instid0(VALU_DEP_4) | instskip(NEXT) | instid1(VALU_DEP_4)
	v_cmp_lt_u32_e32 vcc_lo, 12, v3
	s_or_b32 s3, s3, vcc_lo
	s_waitcnt lgkmcnt(0)
	s_and_saveexec_b32 s7, s3
	s_delay_alu instid0(SALU_CYCLE_1)
	s_xor_b32 s3, exec_lo, s7
; %bb.9:
	v_mov_b32_e32 v2, 0
                                        ; implicit-def: $vgpr3
; %bb.10:
	s_or_saveexec_b32 s3, s3
	v_and_b32_e32 v80, 31, v0
	v_and_b32_e32 v76, 1, v0
	s_mul_i32 s33, s15, 13
	s_xor_b32 exec_lo, exec_lo, s3
	s_cbranch_execz .LBB126_12
; %bb.11:
	s_load_b64 s[20:21], s[0:1], 0x0
	v_add_lshl_u32 v4, v3, s33, 6
	s_mul_hi_i32 s23, s17, s4
	s_mul_i32 s22, s17, s4
	v_lshlrev_b32_e32 v2, 1, v1
	s_lshl_b64 s[22:23], s[22:23], 1
	v_ashrrev_i32_e32 v5, 31, v4
	v_lshlrev_b32_e32 v3, 6, v3
	v_lshlrev_b32_e32 v8, 10, v76
	s_delay_alu instid0(VALU_DEP_3) | instskip(SKIP_3) | instid1(VALU_DEP_1)
	v_lshlrev_b64 v[4:5], 1, v[4:5]
	s_waitcnt lgkmcnt(0)
	s_add_u32 s4, s20, s22
	s_addc_u32 s7, s21, s23
	v_add_co_u32 v4, vcc_lo, s4, v4
	s_delay_alu instid0(VALU_DEP_2) | instskip(NEXT) | instid1(VALU_DEP_2)
	v_add_co_ci_u32_e32 v5, vcc_lo, s7, v5, vcc_lo
	v_add_co_u32 v4, vcc_lo, v4, v2
	s_delay_alu instid0(VALU_DEP_2) | instskip(SKIP_3) | instid1(VALU_DEP_1)
	v_add_co_ci_u32_e32 v5, vcc_lo, 0, v5, vcc_lo
	v_lshlrev_b32_e32 v2, 10, v77
	global_load_b128 v[4:7], v[4:5], off
	v_and_b32_e32 v2, 0x3800, v2
	v_or3_b32 v3, v2, v8, v3
	v_mov_b32_e32 v2, 0
	s_waitcnt vmcnt(0)
	ds_store_b128 v3, v[4:7]
.LBB126_12:
	s_or_b32 exec_lo, exec_lo, s3
	v_and_b32_e32 v3, 0xef, v0
	s_add_i32 s3, s18, 31
	s_clause 0x1
	s_load_b32 s4, s[0:1], 0x38
	s_load_b32 s35, s[0:1], 0x98
	s_ashr_i32 s7, s3, 31
	v_add_nc_u32_e32 v3, s16, v3
	s_lshr_b32 s7, s7, 27
	s_load_b32 s19, s[0:1], 0x1c
	s_add_i32 s3, s3, s7
	s_waitcnt lgkmcnt(0)
	v_ashrrev_i32_e32 v4, 31, v3
	v_cmp_gt_i32_e32 vcc_lo, s18, v3
	s_ashr_i32 s3, s3, 5
	s_barrier
	s_add_i32 s3, s3, -1
	v_lshrrev_b32_e32 v5, 27, v4
	v_or_b32_e32 v4, 16, v3
	buffer_gl0_inv
	s_mul_i32 s6, s15, s6
	v_lshlrev_b64 v[73:74], 1, v[1:2]
	v_add_nc_u32_e32 v6, v3, v5
	v_add_nc_u32_e32 v5, v4, v5
	s_mul_i32 s20, s34, s4
	s_delay_alu instid0(SALU_CYCLE_1) | instskip(NEXT) | instid1(VALU_DEP_2)
	s_ashr_i32 s21, s20, 31
	v_ashrrev_i32_e32 v6, 5, v6
	s_delay_alu instid0(VALU_DEP_2) | instskip(SKIP_1) | instid1(SALU_CYCLE_1)
	v_ashrrev_i32_e32 v5, 5, v5
	s_lshl_b64 s[20:21], s[20:21], 2
	s_add_u32 s4, s12, s20
	s_delay_alu instid0(VALU_DEP_2) | instskip(SKIP_3) | instid1(SALU_CYCLE_1)
	v_cndmask_b32_e32 v3, s3, v6, vcc_lo
	v_cmp_gt_i32_e32 vcc_lo, s18, v4
	s_addc_u32 s17, s13, s21
	s_ashr_i32 s7, s6, 31
	s_lshl_b64 s[6:7], s[6:7], 1
	v_cndmask_b32_e32 v5, s3, v5, vcc_lo
	v_ashrrev_i32_e32 v4, 31, v3
	s_add_u32 s15, s8, s6
	s_addc_u32 s28, s9, s7
	s_lshl_b32 s8, s14, 3
	v_ashrrev_i32_e32 v6, 31, v5
	v_lshlrev_b64 v[3:4], 2, v[3:4]
	s_ashr_i32 s9, s8, 31
	s_delay_alu instid0(SALU_CYCLE_1) | instskip(NEXT) | instid1(VALU_DEP_2)
	s_lshl_b64 s[8:9], s[8:9], 2
	v_lshlrev_b64 v[5:6], 2, v[5:6]
	s_add_u32 s8, s4, s8
	s_delay_alu instid0(VALU_DEP_2) | instskip(SKIP_1) | instid1(VALU_DEP_3)
	v_add_co_u32 v3, vcc_lo, s4, v3
	v_add_co_ci_u32_e32 v4, vcc_lo, s17, v4, vcc_lo
	v_add_co_u32 v5, vcc_lo, s4, v5
	s_delay_alu instid0(VALU_DEP_4)
	v_add_co_ci_u32_e32 v6, vcc_lo, s17, v6, vcc_lo
	s_addc_u32 s9, s17, s9
	s_clause 0x1
	global_load_b32 v7, v[3:4], off
	global_load_b32 v8, v[5:6], off
	s_or_b32 s12, s16, 32
	s_delay_alu instid0(SALU_CYCLE_1) | instskip(SKIP_2) | instid1(SALU_CYCLE_1)
	s_ashr_i32 s13, s12, 5
	s_cmp_lt_i32 s12, s18
	s_cselect_b32 s12, s13, s3
	s_ashr_i32 s13, s12, 31
	s_delay_alu instid0(SALU_CYCLE_1) | instskip(NEXT) | instid1(SALU_CYCLE_1)
	s_lshl_b64 s[12:13], s[12:13], 2
	s_add_u32 s12, s4, s12
	s_addc_u32 s13, s17, s13
	s_or_b32 s20, s16, 64
	s_delay_alu instid0(SALU_CYCLE_1) | instskip(SKIP_2) | instid1(SALU_CYCLE_1)
	s_ashr_i32 s21, s20, 5
	s_cmp_lt_i32 s20, s18
	s_cselect_b32 s20, s21, s3
	s_ashr_i32 s21, s20, 31
	s_delay_alu instid0(SALU_CYCLE_1) | instskip(NEXT) | instid1(SALU_CYCLE_1)
	s_lshl_b64 s[20:21], s[20:21], 2
	s_add_u32 s20, s4, s20
	s_addc_u32 s21, s17, s21
	s_or_b32 s22, s16, 0x60
	s_delay_alu instid0(SALU_CYCLE_1) | instskip(SKIP_2) | instid1(SALU_CYCLE_1)
	s_ashr_i32 s23, s22, 5
	s_cmp_lt_i32 s22, s18
	s_cselect_b32 s22, s23, s3
	s_ashr_i32 s23, s22, 31
	s_delay_alu instid0(SALU_CYCLE_1) | instskip(NEXT) | instid1(SALU_CYCLE_1)
	s_lshl_b64 s[22:23], s[22:23], 2
	s_add_u32 s22, s4, s22
	s_addc_u32 s23, s17, s23
	s_or_b32 s24, s16, 0x80
	s_delay_alu instid0(SALU_CYCLE_1) | instskip(SKIP_2) | instid1(SALU_CYCLE_1)
	s_ashr_i32 s25, s24, 5
	s_cmp_lt_i32 s24, s18
	s_cselect_b32 s24, s25, s3
	s_ashr_i32 s25, s24, 31
	s_delay_alu instid0(SALU_CYCLE_1) | instskip(NEXT) | instid1(SALU_CYCLE_1)
	s_lshl_b64 s[24:25], s[24:25], 2
	s_add_u32 s24, s4, s24
	s_addc_u32 s25, s17, s25
	s_or_b32 s26, s16, 0xa0
	s_delay_alu instid0(SALU_CYCLE_1) | instskip(SKIP_2) | instid1(SALU_CYCLE_1)
	s_ashr_i32 s27, s26, 5
	s_cmp_lt_i32 s26, s18
	s_cselect_b32 s26, s27, s3
	s_ashr_i32 s27, s26, 31
	s_delay_alu instid0(SALU_CYCLE_1) | instskip(NEXT) | instid1(SALU_CYCLE_1)
	s_lshl_b64 s[26:27], s[26:27], 2
	s_add_u32 s26, s4, s26
	s_addc_u32 s27, s17, s27
	s_clause 0x5
	s_load_b32 s29, s[8:9], 0x0
	s_load_b32 s30, s[12:13], 0x0
	s_load_b32 s31, s[20:21], 0x0
	s_load_b32 s36, s[22:23], 0x0
	s_load_b32 s37, s[24:25], 0x0
	s_load_b32 s38, s[26:27], 0x0
	s_mov_b32 s20, 0
	s_or_b32 s8, s16, 0xc0
	s_mov_b32 s21, s20
	s_mov_b32 s22, s20
	;; [unrolled: 1-line block ×7, first 2 shown]
	s_ashr_i32 s9, s8, 5
	v_mov_b32_e32 v128, s27
	s_cmp_lt_i32 s8, s18
	v_mov_b32_e32 v127, s26
	s_cselect_b32 s8, s9, s3
	v_mov_b32_e32 v126, s25
	s_ashr_i32 s9, s8, 31
	v_mov_b32_e32 v125, s24
	s_lshl_b64 s[8:9], s[8:9], 2
	v_mov_b32_e32 v124, s23
	s_add_u32 s8, s4, s8
	s_addc_u32 s9, s17, s9
	v_mov_b32_e32 v123, s22
	v_mov_b32_e32 v121, s20
	s_waitcnt lgkmcnt(0)
	s_mul_hi_i32 s13, s29, s5
	s_mul_i32 s12, s29, s5
	v_mov_b32_e32 v122, s21
	s_mul_hi_i32 s21, s30, s5
	s_mul_i32 s20, s30, s5
	s_mul_hi_i32 s25, s31, s5
	s_mul_i32 s24, s31, s5
	;; [unrolled: 2-line block ×4, first 2 shown]
	s_waitcnt vmcnt(1)
	v_mad_i64_i32 v[3:4], null, v7, s5, 0
	s_waitcnt vmcnt(0)
	v_mad_i64_i32 v[5:6], null, v8, s5, 0
	s_delay_alu instid0(VALU_DEP_2) | instskip(NEXT) | instid1(VALU_DEP_2)
	v_lshlrev_b64 v[3:4], 1, v[3:4]
	v_lshlrev_b64 v[1:2], 1, v[5:6]
	s_delay_alu instid0(VALU_DEP_2) | instskip(NEXT) | instid1(VALU_DEP_3)
	v_add_co_u32 v3, vcc_lo, s15, v3
	v_add_co_ci_u32_e32 v4, vcc_lo, s28, v4, vcc_lo
	s_delay_alu instid0(VALU_DEP_3) | instskip(NEXT) | instid1(VALU_DEP_4)
	v_add_co_u32 v1, vcc_lo, s15, v1
	v_add_co_ci_u32_e32 v2, vcc_lo, s28, v2, vcc_lo
	s_delay_alu instid0(VALU_DEP_4) | instskip(NEXT) | instid1(VALU_DEP_4)
	v_add_co_u32 v25, vcc_lo, v3, v73
	v_add_co_ci_u32_e32 v26, vcc_lo, v4, v74, vcc_lo
	s_delay_alu instid0(VALU_DEP_4) | instskip(NEXT) | instid1(VALU_DEP_4)
	v_add_co_u32 v27, vcc_lo, v1, v73
	v_add_co_ci_u32_e32 v28, vcc_lo, v2, v74, vcc_lo
	s_clause 0xf
	global_load_b128 v[1:4], v[25:26], off
	global_load_b128 v[5:8], v[25:26], off offset:512
	global_load_b128 v[9:12], v[27:28], off offset:256
	;; [unrolled: 1-line block ×15, first 2 shown]
	v_add_nc_u32_e32 v25, -13, v77
	v_cmp_gt_u32_e32 vcc_lo, 13, v77
	s_or_b32 s15, s16, 0xe0
	s_delay_alu instid0(SALU_CYCLE_1) | instskip(SKIP_3) | instid1(SALU_CYCLE_1)
	s_ashr_i32 s22, s15, 5
	s_cmp_lt_i32 s15, s18
	v_cndmask_b32_e32 v25, v25, v77, vcc_lo
	s_cselect_b32 s22, s22, s3
	s_ashr_i32 s23, s22, 31
	s_delay_alu instid0(VALU_DEP_1)
	v_lshlrev_b32_e32 v151, 6, v25
	ds_load_b128 v[25:28], v151
	ds_load_b128 v[29:32], v151 offset:1024
	ds_load_b128 v[129:132], v151 offset:2048
	ds_load_b128 v[133:136], v151 offset:3072
	s_lshl_b64 s[22:23], s[22:23], 2
	s_delay_alu instid0(SALU_CYCLE_1) | instskip(SKIP_2) | instid1(SALU_CYCLE_1)
	s_add_u32 s22, s4, s22
	s_addc_u32 s23, s17, s23
	s_add_i32 s15, s16, 0x100
	s_ashr_i32 s28, s15, 5
	s_cmp_lt_i32 s15, s18
	s_load_b32 s15, s[8:9], 0x0
	s_cselect_b32 s28, s28, s3
	s_mul_hi_i32 s9, s37, s5
	s_ashr_i32 s29, s28, 31
	s_mul_i32 s8, s37, s5
	s_lshl_b64 s[28:29], s[28:29], 2
	s_delay_alu instid0(SALU_CYCLE_1)
	s_add_u32 s28, s4, s28
	s_addc_u32 s29, s17, s29
	s_add_u32 s3, s10, s6
	s_clause 0x1
	s_load_b32 s4, s[22:23], 0x0
	s_load_b32 s17, s[28:29], 0x0
	s_addc_u32 s28, s11, s7
	s_lshl_b64 s[6:7], s[12:13], 1
	s_lshl_b64 s[10:11], s[20:21], 1
	;; [unrolled: 1-line block ×6, first 2 shown]
	s_waitcnt lgkmcnt(0)
	s_mul_hi_i32 s25, s15, s5
	s_mul_i32 s24, s15, s5
	s_delay_alu instid0(SALU_CYCLE_1)
	s_lshl_b64 s[24:25], s[24:25], 1
	s_waitcnt vmcnt(14)
	v_wmma_f32_16x16x16_f16 v[137:144], v[1:8], v[25:32], v[121:128]
	s_waitcnt vmcnt(12)
	v_wmma_f32_16x16x16_f16 v[121:128], v[9:16], v[25:32], v[121:128]
	s_waitcnt vmcnt(10)
	s_delay_alu instid0(VALU_DEP_2) | instskip(SKIP_1) | instid1(VALU_DEP_2)
	v_wmma_f32_16x16x16_f16 v[137:144], v[17:24], v[129:136], v[137:144]
	s_waitcnt vmcnt(8)
	v_wmma_f32_16x16x16_f16 v[121:128], v[81:88], v[129:136], v[121:128]
	v_mbcnt_lo_u32_b32 v130, -1, 0
	s_delay_alu instid0(VALU_DEP_1) | instskip(SKIP_1) | instid1(VALU_DEP_1)
	v_xor_b32_e32 v131, 16, v130
	v_lshlrev_b32_e32 v79, 6, v77
	v_lshl_or_b32 v33, v78, 10, v79
	s_delay_alu instid0(VALU_DEP_1) | instskip(NEXT) | instid1(VALU_DEP_1)
	v_add_co_u32 v152, s3, s3, v33
	v_add_co_ci_u32_e64 v153, null, s28, 0, s3
	s_delay_alu instid0(VALU_DEP_2) | instskip(NEXT) | instid1(VALU_DEP_2)
	v_add_co_u32 v33, vcc_lo, v152, s6
	v_add_co_ci_u32_e32 v34, vcc_lo, s7, v153, vcc_lo
	v_add_co_u32 v35, vcc_lo, v152, s10
	v_add_co_ci_u32_e32 v36, vcc_lo, s11, v153, vcc_lo
	;; [unrolled: 2-line block ×6, first 2 shown]
	s_mul_hi_i32 s7, s4, s5
	s_mul_i32 s6, s4, s5
	v_add_co_u32 v149, vcc_lo, v152, s24
	s_lshl_b64 s[6:7], s[6:7], 1
	v_add_co_ci_u32_e32 v150, vcc_lo, s25, v153, vcc_lo
	v_add_co_u32 v29, vcc_lo, v152, s6
	v_add_co_ci_u32_e32 v30, vcc_lo, s7, v153, vcc_lo
	s_mul_hi_i32 s7, s17, s5
	s_mul_i32 s6, s17, s5
	s_clause 0x7
	global_load_b128 v[65:68], v[33:34], off
	global_load_b128 v[69:72], v[33:34], off offset:16
	global_load_b128 v[57:60], v[35:36], off
	global_load_b128 v[61:64], v[35:36], off offset:16
	;; [unrolled: 2-line block ×4, first 2 shown]
	s_lshl_b64 s[4:5], s[6:7], 1
	s_clause 0x1
	global_load_b128 v[9:12], v[145:146], off
	global_load_b128 v[13:16], v[145:146], off offset:16
	v_add_co_u32 v21, vcc_lo, v152, s4
	v_add_co_ci_u32_e32 v22, vcc_lo, s5, v153, vcc_lo
	s_clause 0x7
	global_load_b128 v[1:4], v[147:148], off
	global_load_b128 v[5:8], v[147:148], off offset:16
	global_load_b128 v[33:36], v[149:150], off
	global_load_b128 v[37:40], v[149:150], off offset:16
	;; [unrolled: 2-line block ×4, first 2 shown]
	ds_load_b128 v[81:84], v151 offset:4096
	ds_load_b128 v[85:88], v151 offset:5120
	v_cmp_gt_i32_e32 vcc_lo, 32, v131
	v_cndmask_b32_e32 v130, v130, v131, vcc_lo
	s_waitcnt vmcnt(24) lgkmcnt(0)
	v_wmma_f32_16x16x16_f16 v[137:144], v[89:96], v[81:88], v[137:144]
	ds_load_b128 v[89:92], v151 offset:6144
	ds_load_b128 v[93:96], v151 offset:7168
	s_waitcnt vmcnt(22)
	v_wmma_f32_16x16x16_f16 v[121:128], v[97:104], v[81:88], v[121:128]
	s_waitcnt vmcnt(0) lgkmcnt(0)
	s_barrier
	buffer_gl0_inv
	v_wmma_f32_16x16x16_f16 v[121:128], v[113:120], v[89:96], v[121:128]
	v_and_b32_e32 v129, 0xe0, v0
	v_wmma_f32_16x16x16_f16 v[137:144], v[105:112], v[89:96], v[137:144]
	s_delay_alu instid0(VALU_DEP_2) | instskip(NEXT) | instid1(VALU_DEP_2)
	v_dual_mul_f32 v104, s19, v126 :: v_dual_add_nc_u32 v129, s16, v129
	v_dual_mul_f32 v106, s19, v124 :: v_dual_mul_f32 v95, s19, v138
	s_delay_alu instid0(VALU_DEP_3) | instskip(NEXT) | instid1(VALU_DEP_3)
	v_dual_mul_f32 v96, s19, v137 :: v_dual_mul_f32 v93, s19, v140
	v_or_b32_e32 v129, v129, v75
	v_dual_mul_f32 v94, s19, v139 :: v_dual_mul_f32 v91, s19, v142
	v_dual_mul_f32 v92, s19, v141 :: v_dual_mul_f32 v89, s19, v144
	v_mul_f32_e32 v108, s19, v122
	s_delay_alu instid0(VALU_DEP_4)
	v_or_b32_e32 v131, 2, v129
	v_or_b32_e32 v132, 4, v129
	;; [unrolled: 1-line block ×3, first 2 shown]
	v_cmp_gt_i32_e32 vcc_lo, s18, v129
	v_or_b32_e32 v82, 8, v129
	v_cmp_gt_i32_e64 s3, s18, v131
	v_or_b32_e32 v83, 10, v129
	v_cmp_gt_i32_e64 s4, s18, v132
	v_cndmask_b32_e32 v96, 0xff7fffff, v96, vcc_lo
	v_cmp_gt_i32_e64 s5, s18, v81
	v_cndmask_b32_e64 v95, 0xff7fffff, v95, s3
	v_or_b32_e32 v84, 12, v129
	v_or_b32_e32 v85, 14, v129
	v_cndmask_b32_e64 v94, 0xff7fffff, v94, s4
	v_cndmask_b32_e64 v81, 0xff7fffff, v93, s5
	v_max3_f32 v93, v96, 0xff7fffff, v95
	v_cmp_gt_i32_e64 s6, s18, v82
	v_cmp_gt_i32_e64 s7, s18, v83
	v_or_b32_e32 v86, 16, v129
	v_or_b32_e32 v87, 18, v129
	v_mul_f32_e32 v90, s19, v143
	v_cndmask_b32_e64 v82, 0xff7fffff, v92, s6
	v_cndmask_b32_e64 v83, 0xff7fffff, v91, s7
	v_max3_f32 v81, v93, v94, v81
	v_cmp_gt_i32_e64 s8, s18, v84
	v_cmp_gt_i32_e64 s9, s18, v85
	v_or_b32_e32 v88, 20, v129
	v_or_b32_e32 v97, 22, v129
	v_mul_f32_e32 v109, s19, v121
	;; [unrolled: 8-line block ×4, first 2 shown]
	v_cndmask_b32_e64 v84, 0xff7fffff, v107, s12
	v_cndmask_b32_e64 v85, 0xff7fffff, v106, s13
	v_max3_f32 v81, v81, v82, v83
	v_cmp_gt_i32_e64 s15, s18, v98
	v_cmp_gt_i32_e64 s16, s18, v99
	v_dual_mul_f32 v102, s19, v128 :: v_dual_mul_f32 v103, s19, v127
	s_delay_alu instid0(VALU_DEP_4) | instskip(NEXT) | instid1(VALU_DEP_4)
	v_max3_f32 v81, v81, v84, v85
	v_cndmask_b32_e64 v82, 0xff7fffff, v105, s15
	s_delay_alu instid0(VALU_DEP_4) | instskip(SKIP_2) | instid1(VALU_DEP_3)
	v_cndmask_b32_e64 v83, 0xff7fffff, v104, s16
	v_cmp_gt_i32_e64 s17, s18, v100
	v_cmp_gt_i32_e64 s18, s18, v101
	v_max3_f32 v81, v81, v82, v83
	s_delay_alu instid0(VALU_DEP_3) | instskip(NEXT) | instid1(VALU_DEP_3)
	v_cndmask_b32_e64 v84, 0xff7fffff, v103, s17
	v_cndmask_b32_e64 v85, 0xff7fffff, v102, s18
	v_lshlrev_b32_e32 v83, 2, v130
	s_delay_alu instid0(VALU_DEP_2) | instskip(SKIP_3) | instid1(VALU_DEP_1)
	v_max3_f32 v81, v81, v84, v85
	ds_bpermute_b32 v82, v83, v81
	s_waitcnt lgkmcnt(0)
	v_max_f32_e32 v82, v82, v82
	v_max_f32_e32 v81, v81, v82
	s_delay_alu instid0(VALU_DEP_1)
	v_fma_f32 v82, s19, v137, -v81
	v_fma_f32 v84, s19, v138, -v81
	;; [unrolled: 1-line block ×5, first 2 shown]
	v_mul_f32_e32 v82, 0x3fb8aa3b, v82
	s_delay_alu instid0(VALU_DEP_4) | instskip(NEXT) | instid1(VALU_DEP_3)
	v_dual_mul_f32 v84, 0x3fb8aa3b, v84 :: v_dual_mul_f32 v85, 0x3fb8aa3b, v85
	v_dual_mul_f32 v86, 0x3fb8aa3b, v86 :: v_dual_mul_f32 v89, 0x3fb8aa3b, v87
	s_delay_alu instid0(VALU_DEP_3) | instskip(NEXT) | instid1(VALU_DEP_2)
	v_exp_f32_e32 v82, v82
	v_exp_f32_e32 v84, v84
	s_delay_alu instid0(VALU_DEP_2) | instskip(NEXT) | instid1(VALU_DEP_1)
	v_exp_f32_e32 v85, v85
	v_exp_f32_e32 v86, v86
	;; [unrolled: 1-line block ×3, first 2 shown]
	v_cndmask_b32_e32 v88, 0, v82, vcc_lo
	v_cndmask_b32_e64 v87, 0, v84, s3
	s_delay_alu instid0(TRANS32_DEP_3)
	v_cndmask_b32_e64 v90, 0, v85, s4
	s_waitcnt_depctr 0xfff
	v_cndmask_b32_e64 v89, 0, v86, s5
	v_cndmask_b32_e64 v92, 0, v92, s6
	v_add_f32_e32 v84, 0, v88
	v_cmp_gt_u32_e64 s3, 16, v80
	s_delay_alu instid0(VALU_DEP_2) | instskip(NEXT) | instid1(VALU_DEP_1)
	v_add_f32_e32 v84, v84, v87
	v_add_f32_e32 v84, v84, v90
	s_delay_alu instid0(VALU_DEP_1)
	v_add_f32_e32 v84, v84, v89
	v_fma_f32 v82, s19, v142, -v81
	v_fma_f32 v91, s19, v143, -v81
	v_fma_f32 v85, s19, v144, -v81
	v_fma_f32 v86, s19, v121, -v81
	v_fma_f32 v94, s19, v122, -v81
	s_delay_alu instid0(VALU_DEP_4) | instskip(SKIP_1) | instid1(VALU_DEP_4)
	v_dual_mul_f32 v82, 0x3fb8aa3b, v82 :: v_dual_mul_f32 v91, 0x3fb8aa3b, v91
	v_fma_f32 v96, s19, v124, -v81
	v_mul_f32_e32 v86, 0x3fb8aa3b, v86
	s_delay_alu instid0(VALU_DEP_4) | instskip(NEXT) | instid1(VALU_DEP_4)
	v_mul_f32_e32 v95, 0x3fb8aa3b, v94
	v_exp_f32_e32 v82, v82
	v_exp_f32_e32 v93, v91
	v_mul_f32_e32 v97, 0x3fb8aa3b, v96
	v_exp_f32_e32 v86, v86
	v_fma_f32 v99, s19, v127, -v81
	s_delay_alu instid0(VALU_DEP_2) | instskip(SKIP_2) | instid1(TRANS32_DEP_3)
	v_exp_f32_e32 v97, v97
	v_cndmask_b32_e64 v91, 0, v82, s7
	v_dual_add_f32 v82, v84, v92 :: v_dual_mul_f32 v85, 0x3fb8aa3b, v85
	v_cndmask_b32_e64 v94, 0, v93, s8
	v_fma_f32 v84, s19, v123, -v81
	s_delay_alu instid0(TRANS32_DEP_2) | instskip(NEXT) | instid1(VALU_DEP_4)
	v_cndmask_b32_e64 v96, 0, v86, s10
	v_add_f32_e32 v82, v82, v91
	v_exp_f32_e32 v85, v85
	v_fma_f32 v86, s19, v126, -v81
	v_mul_f32_e32 v84, 0x3fb8aa3b, v84
	v_cndmask_b32_e64 v97, 0, v97, s13
	v_add_f32_e32 v82, v82, v94
	s_delay_alu instid0(VALU_DEP_3) | instskip(SKIP_3) | instid1(VALU_DEP_2)
	v_exp_f32_e32 v84, v84
	s_waitcnt_depctr 0xfff
	v_cndmask_b32_e64 v93, 0, v85, s9
	v_fma_f32 v85, s19, v125, -v81
	v_add_f32_e32 v82, v82, v93
	v_exp_f32_e32 v95, v95
	s_delay_alu instid0(VALU_DEP_2)
	v_mul_f32_e32 v85, 0x3fb8aa3b, v85
	v_cndmask_b32_e64 v98, 0, v84, s12
	v_mul_f32_e32 v84, 0x3fb8aa3b, v99
	v_add_f32_e32 v82, v82, v96
	v_fma_f32 v99, s19, v128, -v81
	v_exp_f32_e32 v85, v85
	v_mul_f32_e32 v86, 0x3fb8aa3b, v86
	v_exp_f32_e32 v84, v84
	s_delay_alu instid0(TRANS32_DEP_3) | instskip(NEXT) | instid1(VALU_DEP_1)
	v_cndmask_b32_e64 v95, 0, v95, s11
	v_add_f32_e32 v82, v82, v95
	s_waitcnt_depctr 0xfff
	v_cndmask_b32_e64 v100, 0, v85, s15
	v_mul_f32_e32 v85, 0x3fb8aa3b, v99
	v_exp_f32_e32 v86, v86
	v_cndmask_b32_e64 v102, 0, v84, s17
	v_add_f32_e32 v82, v82, v98
	s_delay_alu instid0(VALU_DEP_3) | instskip(NEXT) | instid1(VALU_DEP_1)
	v_exp_f32_e32 v85, v85
	v_add_f32_e32 v82, v82, v97
	s_waitcnt_depctr 0xfff
	v_cndmask_b32_e64 v99, 0, v86, s16
	v_add_f32_e32 v82, v82, v100
	v_cndmask_b32_e64 v101, 0, v85, s18
	s_delay_alu instid0(VALU_DEP_2) | instskip(NEXT) | instid1(VALU_DEP_1)
	v_add_f32_e32 v82, v82, v99
	v_add_f32_e32 v82, v82, v102
	s_delay_alu instid0(VALU_DEP_1)
	v_add_f32_e32 v82, v82, v101
	ds_bpermute_b32 v83, v83, v82
	s_and_saveexec_b32 s4, s3
	s_cbranch_execz .LBB126_14
; %bb.13:
	v_mul_u32_u24_e32 v80, 0x44, v78
	s_waitcnt lgkmcnt(0)
	v_add_f32_e32 v82, v82, v83
	s_delay_alu instid0(VALU_DEP_2) | instskip(NEXT) | instid1(VALU_DEP_1)
	v_lshl_add_u32 v80, v77, 2, v80
	v_add_nc_u32_e32 v80, 0x4000, v80
	ds_store_2addr_b32 v80, v81, v82 offset1:136
.LBB126_14:
	s_or_b32 exec_lo, exec_lo, s4
	v_lshlrev_b32_e32 v80, 2, v77
	s_load_b32 s36, s[0:1], 0x94
	s_waitcnt lgkmcnt(0)
	s_barrier
	buffer_gl0_inv
	v_add_nc_u32_e32 v84, 0x4000, v80
	v_cmp_eq_u32_e32 vcc_lo, 1, v78
	v_cmp_eq_u32_e64 s4, 2, v78
	v_cmp_eq_u32_e64 s5, 3, v78
	;; [unrolled: 1-line block ×3, first 2 shown]
	ds_load_2addr_b32 v[80:81], v84 offset1:17
	ds_load_2addr_b32 v[82:83], v84 offset0:34 offset1:51
	ds_load_2addr_b32 v[103:104], v84 offset0:68 offset1:85
	;; [unrolled: 1-line block ×3, first 2 shown]
	v_cmp_eq_u32_e64 s7, 7, v78
	s_waitcnt lgkmcnt(3)
	v_max3_f32 v85, v80, 0xff7fffff, v81
	s_waitcnt lgkmcnt(2)
	s_delay_alu instid0(VALU_DEP_1) | instskip(SKIP_1) | instid1(VALU_DEP_1)
	v_max3_f32 v85, v85, v82, v83
	s_waitcnt lgkmcnt(1)
	v_max3_f32 v85, v85, v103, v104
	s_waitcnt lgkmcnt(0)
	s_delay_alu instid0(VALU_DEP_1) | instskip(NEXT) | instid1(VALU_DEP_1)
	v_max3_f32 v85, v85, v105, v106
	v_sub_f32_e32 v103, v103, v85
	ds_load_2addr_b32 v[107:108], v84 offset0:136 offset1:153
	v_sub_f32_e32 v80, v80, v85
	v_dual_sub_f32 v110, v83, v85 :: v_dual_mul_f32 v113, 0x3fb8aa3b, v103
	s_delay_alu instid0(VALU_DEP_2) | instskip(SKIP_3) | instid1(VALU_DEP_1)
	v_dual_sub_f32 v86, v81, v85 :: v_dual_mul_f32 v109, 0x3fb8aa3b, v80
	ds_load_2addr_b32 v[80:81], v84 offset0:170 offset1:187
	v_mul_f32_e32 v86, 0x3fb8aa3b, v86
	v_exp_f32_e32 v109, v109
	v_exp_f32_e32 v112, v86
	v_mul_f32_e32 v110, 0x3fb8aa3b, v110
	s_waitcnt lgkmcnt(1)
	s_waitcnt_depctr 0xfff
	v_fma_f32 v86, v109, v107, 0
	v_sub_f32_e32 v107, v104, v85
	v_sub_f32_e32 v82, v82, v85
	v_exp_f32_e32 v110, v110
	ds_load_2addr_b32 v[103:104], v84 offset0:238 offset1:255
	v_dual_fmac_f32 v86, v112, v108 :: v_dual_mul_f32 v111, 0x3fb8aa3b, v82
	ds_load_2addr_b32 v[82:83], v84 offset0:204 offset1:221
	v_dual_sub_f32 v84, v105, v85 :: v_dual_mul_f32 v105, 0x3fb8aa3b, v107
	v_exp_f32_e32 v107, v113
	v_exp_f32_e32 v111, v111
	s_waitcnt lgkmcnt(0)
	s_delay_alu instid0(VALU_DEP_1)
	v_mul_f32_e32 v84, 0x3fb8aa3b, v84
	v_exp_f32_e32 v105, v105
	s_barrier
	buffer_gl0_inv
	v_fmac_f32_e32 v86, v111, v80
	v_sub_f32_e32 v80, v106, v85
	v_exp_f32_e32 v106, v84
	s_delay_alu instid0(VALU_DEP_2) | instskip(NEXT) | instid1(VALU_DEP_2)
	v_fmac_f32_e32 v86, v110, v81
	v_mul_f32_e32 v80, 0x3fb8aa3b, v80
	s_delay_alu instid0(VALU_DEP_2) | instskip(NEXT) | instid1(VALU_DEP_2)
	v_dual_cndmask_b32 v81, v109, v112 :: v_dual_fmac_f32 v86, v107, v82
	v_exp_f32_e32 v108, v80
	s_delay_alu instid0(VALU_DEP_1) | instskip(SKIP_2) | instid1(VALU_DEP_1)
	v_fmac_f32_e32 v86, v105, v83
	s_waitcnt_depctr 0xfff
	v_fmac_f32_e32 v86, v106, v103
	v_fmac_f32_e32 v86, v108, v104
	s_delay_alu instid0(VALU_DEP_1) | instskip(NEXT) | instid1(VALU_DEP_1)
	v_add_f32_e32 v103, 0x358637bd, v86
	v_div_scale_f32 v104, null, v103, v103, 1.0
	v_div_scale_f32 v109, vcc_lo, 1.0, v103, 1.0
	s_delay_alu instid0(VALU_DEP_2) | instskip(SKIP_2) | instid1(VALU_DEP_1)
	v_rcp_f32_e32 v113, v104
	s_waitcnt_depctr 0xfff
	v_fma_f32 v80, -v104, v113, 1.0
	v_fmac_f32_e32 v113, v80, v113
	v_cndmask_b32_e64 v80, v81, v111, s4
	v_cmp_eq_u32_e64 s4, 4, v78
	v_lshl_or_b32 v81, v78, 11, v79
	s_delay_alu instid0(VALU_DEP_4) | instskip(NEXT) | instid1(VALU_DEP_4)
	v_mul_f32_e32 v111, v109, v113
	v_cndmask_b32_e64 v82, v80, v110, s5
	v_cmp_eq_u32_e64 s5, 6, v78
	s_delay_alu instid0(VALU_DEP_4) | instskip(SKIP_3) | instid1(VALU_DEP_3)
	v_lshl_or_b32 v78, v75, 4, v81
	v_lshlrev_b32_e32 v80, 2, v75
	v_fma_f32 v83, -v104, v111, v109
	v_cndmask_b32_e64 v84, v82, v107, s4
	v_or_b32_e32 v82, 1, v80
	s_delay_alu instid0(VALU_DEP_3) | instskip(NEXT) | instid1(VALU_DEP_3)
	v_fmac_f32_e32 v111, v83, v113
	v_cndmask_b32_e64 v105, v84, v105, s6
	v_or_b32_e32 v84, 2, v80
	v_or_b32_e32 v83, 3, v80
	v_cmp_eq_u32_e64 s4, 1, v80
	v_fma_f32 v104, -v104, v111, v109
	v_cndmask_b32_e64 v105, v105, v106, s5
	v_cmp_eq_u32_e64 s10, 1, v82
	v_cmp_eq_u32_e64 s11, 1, v84
	;; [unrolled: 1-line block ×3, first 2 shown]
	v_div_fmas_f32 v104, v104, v113, v111
	v_cndmask_b32_e64 v105, v105, v108, s7
	v_cmp_eq_u32_e32 vcc_lo, 2, v80
	v_cmp_eq_u32_e64 s13, 2, v82
	v_cmp_eq_u32_e64 s16, 2, v84
	v_div_fixup_f32 v103, v104, v103, 1.0
	v_cmp_eq_u32_e64 s17, 2, v83
	v_cmp_eq_u32_e64 s19, 3, v83
	;; [unrolled: 1-line block ×4, first 2 shown]
	v_mul_f32_e32 v111, v105, v103
	v_cmp_eq_u32_e64 s18, 3, v84
	v_cmp_eq_u32_e64 s23, 4, v83
	;; [unrolled: 1-line block ×4, first 2 shown]
	v_fma_mixlo_f16 v103, v111, v88, 0
	v_fma_mixlo_f16 v104, v111, v90, 0
	;; [unrolled: 1-line block ×8, first 2 shown]
	v_fma_mixhi_f16 v103, v111, v87, 0
	v_fma_mixhi_f16 v104, v111, v89, 0
	;; [unrolled: 1-line block ×8, first 2 shown]
	ds_store_b128 v78, v[103:106]
	ds_store_b128 v78, v[107:110] offset:1024
	s_waitcnt lgkmcnt(0)
	s_barrier
	buffer_gl0_inv
	ds_load_b128 v[87:90], v81
	ds_load_b128 v[91:94], v81 offset:16
	ds_load_b128 v[95:98], v81 offset:1024
	;; [unrolled: 1-line block ×3, first 2 shown]
	v_cmp_eq_u32_e64 s22, 4, v84
	v_cmp_eq_u32_e64 s25, 5, v83
	;; [unrolled: 1-line block ×13, first 2 shown]
	s_waitcnt lgkmcnt(3)
	v_lshrrev_b32_e32 v103, 16, v87
	s_waitcnt lgkmcnt(2)
	v_lshrrev_b32_e32 v107, 16, v91
	;; [unrolled: 2-line block ×4, first 2 shown]
	v_lshrrev_b32_e32 v104, 16, v88
	v_cndmask_b32_e64 v119, v87, v103, s4
	v_cndmask_b32_e64 v120, v91, v107, s4
	;; [unrolled: 1-line block ×8, first 2 shown]
	v_lshrrev_b32_e32 v108, 16, v92
	v_cndmask_b32_e64 v103, v95, v111, s4
	v_cndmask_b32_e64 v107, v99, v115, s4
	;; [unrolled: 1-line block ×5, first 2 shown]
	v_cndmask_b32_e32 v111, v119, v88, vcc_lo
	v_cndmask_b32_e64 v119, v121, v88, s13
	v_cndmask_b32_e64 v121, v123, v88, s16
	v_cndmask_b32_e64 v87, v87, v88, s17
	v_cndmask_b32_e64 v88, v91, v92, s17
	v_lshrrev_b32_e32 v112, 16, v96
	v_lshrrev_b32_e32 v116, 16, v100
	v_cndmask_b32_e64 v126, v99, v115, s10
	v_cndmask_b32_e64 v128, v99, v115, s11
	;; [unrolled: 1-line block ×3, first 2 shown]
	v_cndmask_b32_e32 v115, v120, v92, vcc_lo
	v_cndmask_b32_e64 v120, v122, v92, s13
	v_cndmask_b32_e64 v122, v124, v92, s16
	v_cndmask_b32_e32 v91, v103, v96, vcc_lo
	v_cndmask_b32_e32 v92, v107, v100, vcc_lo
	v_cndmask_b32_e64 v103, v125, v96, s13
	v_cndmask_b32_e64 v87, v87, v104, s19
	;; [unrolled: 1-line block ×3, first 2 shown]
	v_lshrrev_b32_e32 v105, 16, v89
	v_lshrrev_b32_e32 v109, 16, v93
	v_cndmask_b32_e64 v107, v127, v96, s16
	v_cndmask_b32_e64 v95, v95, v96, s17
	;; [unrolled: 1-line block ×14, first 2 shown]
	v_lshrrev_b32_e32 v113, 16, v97
	v_cndmask_b32_e64 v99, v99, v89, s6
	v_cndmask_b32_e64 v104, v111, v93, s6
	;; [unrolled: 1-line block ×11, first 2 shown]
	v_lshrrev_b32_e32 v106, 16, v90
	v_lshrrev_b32_e32 v110, 16, v94
	v_cndmask_b32_e64 v93, v99, v105, s7
	v_cndmask_b32_e64 v99, v104, v109, s7
	;; [unrolled: 1-line block ×9, first 2 shown]
	v_lshrrev_b32_e32 v114, 16, v98
	v_cndmask_b32_e64 v89, v89, v113, s7
	v_cndmask_b32_e64 v93, v93, v90, s8
	;; [unrolled: 1-line block ×19, first 2 shown]
	v_perm_b32 v90, v88, v87, 0x5040100
	v_cndmask_b32_e64 v87, v126, v100, s13
	v_cndmask_b32_e64 v105, v89, v114, s9
	v_perm_b32 v89, v103, v99, 0x5040100
	v_perm_b32 v88, v104, v94, 0x5040100
	v_cndmask_b32_e64 v94, v107, v112, s18
	v_cndmask_b32_e64 v95, v95, v112, s19
	;; [unrolled: 1-line block ×5, first 2 shown]
	v_lshrrev_b32_e32 v117, 16, v101
	v_cndmask_b32_e64 v94, v94, v97, s22
	v_cndmask_b32_e64 v95, v95, v97, s23
	;; [unrolled: 1-line block ×11, first 2 shown]
	v_lshrrev_b32_e32 v118, 16, v102
	v_cndmask_b32_e64 v91, v91, v102, s8
	v_cndmask_b32_e64 v94, v94, v98, s27
	;; [unrolled: 1-line block ×12, first 2 shown]
	v_perm_b32 v87, v93, v92, 0x5040100
	v_perm_b32 v94, v95, v94, 0x5040100
	;; [unrolled: 1-line block ×5, first 2 shown]
	s_mul_i32 s8, s35, 13
	s_mov_b32 s4, exec_lo
	ds_store_b128 v78, v[87:90]
	ds_store_b128 v78, v[91:94] offset:1024
	v_cmpx_gt_u32_e32 13, v0
	s_cbranch_execz .LBB126_16
; %bb.15:
	s_mul_i32 s5, s8, s34
	s_load_b128 s[16:19], s[0:1], 0x58
	v_add3_u32 v77, s5, s33, v77
	s_delay_alu instid0(VALU_DEP_1) | instskip(NEXT) | instid1(VALU_DEP_1)
	v_mad_u64_u32 v[87:88], null, v77, s36, s[14:15]
	v_ashrrev_i32_e32 v88, 31, v87
	s_delay_alu instid0(VALU_DEP_1) | instskip(SKIP_1) | instid1(VALU_DEP_1)
	v_lshlrev_b64 v[87:88], 2, v[87:88]
	s_waitcnt lgkmcnt(0)
	v_add_co_u32 v89, vcc_lo, s18, v87
	s_delay_alu instid0(VALU_DEP_2)
	v_add_co_ci_u32_e32 v90, vcc_lo, s19, v88, vcc_lo
	v_add_co_u32 v87, vcc_lo, s16, v87
	v_add_co_ci_u32_e32 v88, vcc_lo, s17, v88, vcc_lo
	global_store_b32 v[89:90], v85, off
	global_store_b32 v[87:88], v86, off
.LBB126_16:
	s_or_b32 exec_lo, exec_lo, s4
	s_waitcnt lgkmcnt(0)
	s_waitcnt_vscnt null, 0x0
	s_barrier
	buffer_gl0_inv
	ds_load_b128 v[93:96], v79
	ds_load_b128 v[97:100], v79 offset:16
	ds_load_b128 v[105:108], v79 offset:1040
	;; [unrolled: 1-line block ×5, first 2 shown]
	v_cmp_eq_u32_e32 vcc_lo, 1, v84
	v_mov_b32_e32 v85, 0
	ds_load_b128 v[121:124], v79 offset:3088
	ds_load_b128 v[117:120], v79 offset:3072
	;; [unrolled: 1-line block ×4, first 2 shown]
	v_cmp_eq_u32_e64 s4, 1, v80
	v_cmp_eq_u32_e64 s5, 1, v83
	v_cmp_eq_u32_e64 s6, 1, v82
	v_mov_b32_e32 v86, v85
	v_mov_b32_e32 v87, v85
	;; [unrolled: 1-line block ×7, first 2 shown]
	v_cmp_eq_u32_e64 s7, 2, v80
	s_waitcnt lgkmcnt(8)
	s_delay_alu instid0(VALU_DEP_2)
	v_wmma_f32_16x16x16_f16 v[85:92], v[65:72], v[93:100], v[85:92]
	ds_load_b128 v[69:72], v79 offset:5136
	ds_load_b128 v[65:68], v79 offset:5120
	;; [unrolled: 1-line block ×4, first 2 shown]
	s_waitcnt lgkmcnt(10)
	v_wmma_f32_16x16x16_f16 v[85:92], v[57:64], v[101:108], v[85:92]
	s_waitcnt lgkmcnt(8)
	s_delay_alu instid0(VALU_DEP_1)
	v_wmma_f32_16x16x16_f16 v[85:92], v[57:64], v[109:116], v[85:92]
	ds_load_b128 v[61:64], v79 offset:7184
	ds_load_b128 v[57:60], v79 offset:7168
	;; [unrolled: 1-line block ×4, first 2 shown]
	s_waitcnt lgkmcnt(10)
	v_wmma_f32_16x16x16_f16 v[85:92], v[49:56], v[117:124], v[85:92]
	s_waitcnt lgkmcnt(8)
	s_delay_alu instid0(VALU_DEP_1)
	v_wmma_f32_16x16x16_f16 v[85:92], v[49:56], v[125:132], v[85:92]
	ds_load_b128 v[53:56], v79 offset:9232
	ds_load_b128 v[49:52], v79 offset:9216
	s_waitcnt lgkmcnt(8)
	v_wmma_f32_16x16x16_f16 v[85:92], v[41:48], v[65:72], v[85:92]
	ds_load_b128 v[69:72], v79 offset:10256
	ds_load_b128 v[65:68], v79 offset:10240
	s_waitcnt lgkmcnt(8)
	;; [unrolled: 4-line block ×7, first 2 shown]
	s_barrier
	buffer_gl0_inv
	v_wmma_f32_16x16x16_f16 v[85:92], v[33:40], v[41:48], v[85:92]
	s_delay_alu instid0(VALU_DEP_1) | instskip(NEXT) | instid1(VALU_DEP_1)
	v_wmma_f32_16x16x16_f16 v[85:92], v[33:40], v[57:64], v[85:92]
	v_wmma_f32_16x16x16_f16 v[85:92], v[25:32], v[9:16], v[85:92]
	s_delay_alu instid0(VALU_DEP_1) | instskip(NEXT) | instid1(VALU_DEP_1)
	v_wmma_f32_16x16x16_f16 v[85:92], v[25:32], v[49:56], v[85:92]
	v_wmma_f32_16x16x16_f16 v[85:92], v[17:24], v[1:8], v[85:92]
	s_delay_alu instid0(VALU_DEP_1) | instskip(NEXT) | instid1(VALU_DEP_2)
	v_cvt_f16_f32_e32 v1, v85
	v_cvt_f16_f32_e32 v2, v86
	s_delay_alu instid0(VALU_DEP_3) | instskip(NEXT) | instid1(VALU_DEP_4)
	v_cvt_f16_f32_e32 v3, v87
	v_cvt_f16_f32_e32 v4, v88
	;; [unrolled: 1-line block ×6, first 2 shown]
	v_pack_b32_f16 v1, v1, v2
	v_pack_b32_f16 v2, v3, v4
	;; [unrolled: 1-line block ×3, first 2 shown]
	s_delay_alu instid0(VALU_DEP_4)
	v_pack_b32_f16 v4, v7, v8
	ds_store_b128 v78, v[1:4]
	s_waitcnt lgkmcnt(0)
	s_barrier
	buffer_gl0_inv
	ds_load_b128 v[1:4], v81
	ds_load_b128 v[5:8], v81 offset:16
	s_waitcnt lgkmcnt(1)
	v_lshrrev_b32_e32 v9, 16, v1
	s_waitcnt lgkmcnt(0)
	v_lshrrev_b32_e32 v13, 16, v5
	v_lshrrev_b32_e32 v15, 16, v7
	;; [unrolled: 1-line block ×4, first 2 shown]
	v_cndmask_b32_e64 v17, v1, v9, s4
	v_cndmask_b32_e64 v18, v5, v13, s4
	;; [unrolled: 1-line block ×3, first 2 shown]
	v_cmp_eq_u32_e64 s4, 2, v82
	v_cndmask_b32_e64 v20, v5, v13, s6
	v_cndmask_b32_e32 v21, v1, v9, vcc_lo
	v_cndmask_b32_e32 v22, v5, v13, vcc_lo
	v_cndmask_b32_e64 v1, v1, v9, s5
	v_cndmask_b32_e64 v5, v5, v13, s5
	v_cmp_eq_u32_e32 vcc_lo, 2, v84
	v_cmp_eq_u32_e64 s5, 2, v83
	v_cndmask_b32_e64 v9, v17, v2, s7
	v_cndmask_b32_e64 v13, v18, v6, s7
	;; [unrolled: 1-line block ×4, first 2 shown]
	v_cndmask_b32_e32 v19, v21, v2, vcc_lo
	v_cmp_eq_u32_e64 s4, 3, v84
	v_cndmask_b32_e32 v20, v22, v6, vcc_lo
	v_cndmask_b32_e64 v1, v1, v2, s5
	v_cmp_eq_u32_e32 vcc_lo, 3, v83
	v_cmp_eq_u32_e64 s6, 3, v80
	v_cndmask_b32_e64 v2, v5, v6, s5
	v_cmp_eq_u32_e64 s5, 3, v82
	v_lshrrev_b32_e32 v16, 16, v8
	v_cmp_eq_u32_e64 s7, 4, v80
	v_cndmask_b32_e64 v5, v9, v10, s6
	v_cndmask_b32_e64 v6, v13, v14, s6
	;; [unrolled: 1-line block ×3, first 2 shown]
	v_cmp_eq_u32_e64 s6, 4, v82
	v_cndmask_b32_e64 v13, v18, v14, s5
	v_cndmask_b32_e64 v17, v19, v10, s4
	;; [unrolled: 1-line block ×3, first 2 shown]
	v_cndmask_b32_e32 v1, v1, v10, vcc_lo
	v_cndmask_b32_e32 v2, v2, v14, vcc_lo
	v_cmp_eq_u32_e32 vcc_lo, 4, v84
	v_cmp_eq_u32_e64 s5, 4, v83
	v_lshrrev_b32_e32 v11, 16, v3
	v_cndmask_b32_e64 v5, v5, v3, s7
	v_cndmask_b32_e64 v6, v6, v7, s7
	;; [unrolled: 1-line block ×4, first 2 shown]
	v_cndmask_b32_e32 v13, v17, v3, vcc_lo
	v_cmp_eq_u32_e64 s4, 5, v84
	v_cndmask_b32_e32 v14, v18, v7, vcc_lo
	v_cndmask_b32_e64 v1, v1, v3, s5
	v_cmp_eq_u32_e32 vcc_lo, 5, v83
	v_cmp_eq_u32_e64 s6, 5, v80
	v_cndmask_b32_e64 v2, v2, v7, s5
	v_cmp_eq_u32_e64 s5, 5, v82
	v_cmp_eq_u32_e64 s7, 6, v80
	v_cndmask_b32_e32 v1, v1, v11, vcc_lo
	v_cndmask_b32_e64 v3, v5, v11, s6
	v_cndmask_b32_e64 v5, v6, v15, s6
	;; [unrolled: 1-line block ×3, first 2 shown]
	v_cmp_eq_u32_e64 s6, 6, v82
	v_cndmask_b32_e64 v7, v10, v15, s5
	v_cndmask_b32_e64 v9, v13, v11, s4
	;; [unrolled: 1-line block ×3, first 2 shown]
	v_cndmask_b32_e32 v2, v2, v15, vcc_lo
	v_cmp_eq_u32_e32 vcc_lo, 6, v84
	v_cmp_eq_u32_e64 s4, 6, v83
	v_lshrrev_b32_e32 v12, 16, v4
	v_cndmask_b32_e64 v3, v3, v4, s7
	v_cndmask_b32_e64 v5, v5, v8, s7
	v_cndmask_b32_e64 v6, v6, v4, s6
	v_cndmask_b32_e64 v7, v7, v8, s6
	v_cndmask_b32_e32 v9, v9, v4, vcc_lo
	v_cmp_eq_u32_e64 s5, 7, v84
	v_cndmask_b32_e32 v10, v10, v8, vcc_lo
	v_cndmask_b32_e64 v1, v1, v4, s4
	v_cmp_eq_u32_e32 vcc_lo, 7, v83
	v_cndmask_b32_e64 v2, v2, v8, s4
	v_cmp_eq_u32_e64 s4, 7, v80
	v_cmp_eq_u32_e64 s6, 7, v82
	v_cndmask_b32_e32 v1, v1, v12, vcc_lo
	s_delay_alu instid0(VALU_DEP_4) | instskip(NEXT) | instid1(VALU_DEP_4)
	v_cndmask_b32_e32 v2, v2, v16, vcc_lo
	v_cndmask_b32_e64 v8, v3, v12, s4
	s_delay_alu instid0(VALU_DEP_4)
	v_cndmask_b32_e64 v6, v6, v12, s6
	v_cndmask_b32_e64 v3, v9, v12, s5
	;; [unrolled: 1-line block ×5, first 2 shown]
	v_cmp_gt_u32_e32 vcc_lo, 32, v0
	v_perm_b32 v4, v2, v1, 0x5040100
	v_perm_b32 v3, v9, v3, 0x5040100
	;; [unrolled: 1-line block ×4, first 2 shown]
	s_and_b32 s2, vcc_lo, s2
	ds_store_b128 v78, v[1:4]
	s_waitcnt lgkmcnt(0)
	s_barrier
	buffer_gl0_inv
	s_and_saveexec_b32 s4, s2
	s_cbranch_execz .LBB126_2
; %bb.17:
	s_load_b64 s[4:5], s[0:1], 0x68
	v_lshlrev_b32_e32 v0, 10, v0
	v_lshlrev_b32_e32 v1, 4, v76
	s_lshl_b32 s0, s36, 6
	v_add_nc_u32_e32 v18, s33, v75
	s_mul_i32 s1, s0, s34
	s_delay_alu instid0(VALU_DEP_2) | instskip(SKIP_1) | instid1(VALU_DEP_2)
	v_and_or_b32 v0, 0x3800, v0, v1
	s_mul_i32 s6, s1, s8
	v_mul_lo_u32 v1, v18, s0
	s_ashr_i32 s7, s6, 31
	v_add_nc_u32_e32 v2, 2, v18
	v_lshl_or_b32 v19, v75, 6, v0
	s_lshl_b64 s[6:7], s[6:7], 1
	v_add_nc_u32_e32 v8, 4, v18
	v_add_nc_u32_e32 v15, 6, v18
	v_mul_lo_u32 v7, v2, s0
	ds_load_b128 v[3:6], v19
	v_ashrrev_i32_e32 v2, 31, v1
	v_mul_lo_u32 v11, v8, s0
	s_waitcnt lgkmcnt(0)
	s_add_u32 s1, s4, s6
	s_addc_u32 s2, s5, s7
	s_lshl_b32 s4, s14, 6
	v_lshlrev_b64 v[9:10], 1, v[1:2]
	s_ashr_i32 s5, s4, 31
	v_ashrrev_i32_e32 v8, 31, v7
	s_lshl_b64 s[4:5], s[4:5], 1
	v_ashrrev_i32_e32 v12, 31, v11
	s_add_u32 s1, s1, s4
	s_addc_u32 s2, s2, s5
	v_add_co_u32 v1, vcc_lo, s1, v73
	v_add_co_ci_u32_e32 v2, vcc_lo, s2, v74, vcc_lo
	v_mul_lo_u32 v15, v15, s0
	s_delay_alu instid0(VALU_DEP_3) | instskip(NEXT) | instid1(VALU_DEP_3)
	v_add_co_u32 v13, vcc_lo, v1, v9
	v_add_co_ci_u32_e32 v14, vcc_lo, v2, v10, vcc_lo
	v_lshlrev_b64 v[16:17], 1, v[7:8]
	ds_load_b128 v[7:10], v19 offset:128
	global_store_b128 v[13:14], v[3:6], off
	v_add_nc_u32_e32 v5, 8, v18
	v_lshlrev_b64 v[3:4], 1, v[11:12]
	v_add_co_u32 v23, vcc_lo, v1, v16
	v_ashrrev_i32_e32 v16, 31, v15
	s_delay_alu instid0(VALU_DEP_4) | instskip(SKIP_3) | instid1(VALU_DEP_3)
	v_mul_lo_u32 v25, v5, s0
	v_add_nc_u32_e32 v5, 10, v18
	v_add_co_ci_u32_e32 v24, vcc_lo, v2, v17, vcc_lo
	v_add_co_u32 v27, vcc_lo, v1, v3
	v_mul_lo_u32 v29, v5, s0
	v_add_co_ci_u32_e32 v28, vcc_lo, v2, v4, vcc_lo
	v_lshlrev_b64 v[31:32], 1, v[15:16]
	ds_load_b128 v[3:6], v19 offset:256
	ds_load_b128 v[11:14], v19 offset:384
	;; [unrolled: 1-line block ×4, first 2 shown]
	v_ashrrev_i32_e32 v26, 31, v25
	v_ashrrev_i32_e32 v30, 31, v29
	v_add_co_u32 v31, vcc_lo, v1, v31
	s_delay_alu instid0(VALU_DEP_3) | instskip(SKIP_1) | instid1(VALU_DEP_4)
	v_lshlrev_b64 v[25:26], 1, v[25:26]
	v_add_co_ci_u32_e32 v32, vcc_lo, v2, v32, vcc_lo
	v_lshlrev_b64 v[29:30], 1, v[29:30]
	s_delay_alu instid0(VALU_DEP_3) | instskip(NEXT) | instid1(VALU_DEP_4)
	v_add_co_u32 v25, vcc_lo, v1, v25
	v_add_co_ci_u32_e32 v26, vcc_lo, v2, v26, vcc_lo
	s_delay_alu instid0(VALU_DEP_3) | instskip(NEXT) | instid1(VALU_DEP_4)
	v_add_co_u32 v29, vcc_lo, v1, v29
	v_add_co_ci_u32_e32 v30, vcc_lo, v2, v30, vcc_lo
	s_waitcnt lgkmcnt(4)
	global_store_b128 v[23:24], v[7:10], off
	s_waitcnt lgkmcnt(3)
	global_store_b128 v[27:28], v[3:6], off
	;; [unrolled: 2-line block ×5, first 2 shown]
	s_and_b32 exec_lo, exec_lo, s3
	s_cbranch_execz .LBB126_2
; %bb.18:
	ds_load_b128 v[3:6], v0 offset:768
	s_add_i32 s1, s33, 12
	s_delay_alu instid0(SALU_CYCLE_1) | instskip(NEXT) | instid1(SALU_CYCLE_1)
	s_mul_i32 s0, s1, s0
	s_ashr_i32 s1, s0, 31
	s_delay_alu instid0(SALU_CYCLE_1) | instskip(NEXT) | instid1(SALU_CYCLE_1)
	s_lshl_b64 s[0:1], s[0:1], 1
	v_add_co_u32 v0, vcc_lo, v1, s0
	v_add_co_ci_u32_e32 v1, vcc_lo, s1, v2, vcc_lo
	s_waitcnt lgkmcnt(0)
	global_store_b128 v[0:1], v[3:6], off
	s_nop 0
	s_sendmsg sendmsg(MSG_DEALLOC_VGPRS)
	s_endpgm
	.section	.rodata,"a",@progbits
	.p2align	6, 0x0
	.amdhsa_kernel _Z39paged_attention_ll4mi_QKV_mfma16_kernelIDF16_DF16_LN4vllm18Fp8KVCacheDataTypeE0EhLi32ELi64ELi256ELb1ELi13EL8MFMAType0EEvPKT_PKT0_S8_ifPKiSA_SA_iPKfiiiPfSD_PS3_PT2_iSC_SC_
		.amdhsa_group_segment_fixed_size 17472
		.amdhsa_private_segment_fixed_size 0
		.amdhsa_kernarg_size 400
		.amdhsa_user_sgpr_count 13
		.amdhsa_user_sgpr_dispatch_ptr 0
		.amdhsa_user_sgpr_queue_ptr 0
		.amdhsa_user_sgpr_kernarg_segment_ptr 1
		.amdhsa_user_sgpr_dispatch_id 0
		.amdhsa_user_sgpr_private_segment_size 0
		.amdhsa_wavefront_size32 1
		.amdhsa_uses_dynamic_stack 0
		.amdhsa_enable_private_segment 0
		.amdhsa_system_sgpr_workgroup_id_x 1
		.amdhsa_system_sgpr_workgroup_id_y 1
		.amdhsa_system_sgpr_workgroup_id_z 1
		.amdhsa_system_sgpr_workgroup_info 0
		.amdhsa_system_vgpr_workitem_id 0
		.amdhsa_next_free_vgpr 154
		.amdhsa_next_free_sgpr 39
		.amdhsa_reserve_vcc 1
		.amdhsa_float_round_mode_32 0
		.amdhsa_float_round_mode_16_64 0
		.amdhsa_float_denorm_mode_32 3
		.amdhsa_float_denorm_mode_16_64 3
		.amdhsa_dx10_clamp 1
		.amdhsa_ieee_mode 1
		.amdhsa_fp16_overflow 0
		.amdhsa_workgroup_processor_mode 1
		.amdhsa_memory_ordered 1
		.amdhsa_forward_progress 0
		.amdhsa_shared_vgpr_count 0
		.amdhsa_exception_fp_ieee_invalid_op 0
		.amdhsa_exception_fp_denorm_src 0
		.amdhsa_exception_fp_ieee_div_zero 0
		.amdhsa_exception_fp_ieee_overflow 0
		.amdhsa_exception_fp_ieee_underflow 0
		.amdhsa_exception_fp_ieee_inexact 0
		.amdhsa_exception_int_div_zero 0
	.end_amdhsa_kernel
	.section	.text._Z39paged_attention_ll4mi_QKV_mfma16_kernelIDF16_DF16_LN4vllm18Fp8KVCacheDataTypeE0EhLi32ELi64ELi256ELb1ELi13EL8MFMAType0EEvPKT_PKT0_S8_ifPKiSA_SA_iPKfiiiPfSD_PS3_PT2_iSC_SC_,"axG",@progbits,_Z39paged_attention_ll4mi_QKV_mfma16_kernelIDF16_DF16_LN4vllm18Fp8KVCacheDataTypeE0EhLi32ELi64ELi256ELb1ELi13EL8MFMAType0EEvPKT_PKT0_S8_ifPKiSA_SA_iPKfiiiPfSD_PS3_PT2_iSC_SC_,comdat
.Lfunc_end126:
	.size	_Z39paged_attention_ll4mi_QKV_mfma16_kernelIDF16_DF16_LN4vllm18Fp8KVCacheDataTypeE0EhLi32ELi64ELi256ELb1ELi13EL8MFMAType0EEvPKT_PKT0_S8_ifPKiSA_SA_iPKfiiiPfSD_PS3_PT2_iSC_SC_, .Lfunc_end126-_Z39paged_attention_ll4mi_QKV_mfma16_kernelIDF16_DF16_LN4vllm18Fp8KVCacheDataTypeE0EhLi32ELi64ELi256ELb1ELi13EL8MFMAType0EEvPKT_PKT0_S8_ifPKiSA_SA_iPKfiiiPfSD_PS3_PT2_iSC_SC_
                                        ; -- End function
	.section	.AMDGPU.csdata,"",@progbits
; Kernel info:
; codeLenInByte = 7432
; NumSgprs: 41
; NumVgprs: 154
; ScratchSize: 0
; MemoryBound: 0
; FloatMode: 240
; IeeeMode: 1
; LDSByteSize: 17472 bytes/workgroup (compile time only)
; SGPRBlocks: 5
; VGPRBlocks: 19
; NumSGPRsForWavesPerEU: 41
; NumVGPRsForWavesPerEU: 154
; Occupancy: 9
; WaveLimiterHint : 1
; COMPUTE_PGM_RSRC2:SCRATCH_EN: 0
; COMPUTE_PGM_RSRC2:USER_SGPR: 13
; COMPUTE_PGM_RSRC2:TRAP_HANDLER: 0
; COMPUTE_PGM_RSRC2:TGID_X_EN: 1
; COMPUTE_PGM_RSRC2:TGID_Y_EN: 1
; COMPUTE_PGM_RSRC2:TGID_Z_EN: 1
; COMPUTE_PGM_RSRC2:TIDIG_COMP_CNT: 0
	.section	.text._Z39paged_attention_ll4mi_QKV_mfma16_kernelIDF16_DF16_LN4vllm18Fp8KVCacheDataTypeE0EhLi32ELi64ELi256ELb1ELi14EL8MFMAType0EEvPKT_PKT0_S8_ifPKiSA_SA_iPKfiiiPfSD_PS3_PT2_iSC_SC_,"axG",@progbits,_Z39paged_attention_ll4mi_QKV_mfma16_kernelIDF16_DF16_LN4vllm18Fp8KVCacheDataTypeE0EhLi32ELi64ELi256ELb1ELi14EL8MFMAType0EEvPKT_PKT0_S8_ifPKiSA_SA_iPKfiiiPfSD_PS3_PT2_iSC_SC_,comdat
	.protected	_Z39paged_attention_ll4mi_QKV_mfma16_kernelIDF16_DF16_LN4vllm18Fp8KVCacheDataTypeE0EhLi32ELi64ELi256ELb1ELi14EL8MFMAType0EEvPKT_PKT0_S8_ifPKiSA_SA_iPKfiiiPfSD_PS3_PT2_iSC_SC_ ; -- Begin function _Z39paged_attention_ll4mi_QKV_mfma16_kernelIDF16_DF16_LN4vllm18Fp8KVCacheDataTypeE0EhLi32ELi64ELi256ELb1ELi14EL8MFMAType0EEvPKT_PKT0_S8_ifPKiSA_SA_iPKfiiiPfSD_PS3_PT2_iSC_SC_
	.globl	_Z39paged_attention_ll4mi_QKV_mfma16_kernelIDF16_DF16_LN4vllm18Fp8KVCacheDataTypeE0EhLi32ELi64ELi256ELb1ELi14EL8MFMAType0EEvPKT_PKT0_S8_ifPKiSA_SA_iPKfiiiPfSD_PS3_PT2_iSC_SC_
	.p2align	8
	.type	_Z39paged_attention_ll4mi_QKV_mfma16_kernelIDF16_DF16_LN4vllm18Fp8KVCacheDataTypeE0EhLi32ELi64ELi256ELb1ELi14EL8MFMAType0EEvPKT_PKT0_S8_ifPKiSA_SA_iPKfiiiPfSD_PS3_PT2_iSC_SC_,@function
_Z39paged_attention_ll4mi_QKV_mfma16_kernelIDF16_DF16_LN4vllm18Fp8KVCacheDataTypeE0EhLi32ELi64ELi256ELb1ELi14EL8MFMAType0EEvPKT_PKT0_S8_ifPKiSA_SA_iPKfiiiPfSD_PS3_PT2_iSC_SC_: ; @_Z39paged_attention_ll4mi_QKV_mfma16_kernelIDF16_DF16_LN4vllm18Fp8KVCacheDataTypeE0EhLi32ELi64ELi256ELb1ELi14EL8MFMAType0EEvPKT_PKT0_S8_ifPKiSA_SA_iPKfiiiPfSD_PS3_PT2_iSC_SC_
; %bb.0:
	s_load_b64 s[2:3], s[0:1], 0x30
	s_mov_b32 s34, s13
	s_waitcnt lgkmcnt(0)
	s_cmp_lg_u64 s[2:3], 0
	s_cselect_b32 s6, -1, 0
	s_ashr_i32 s35, s13, 31
	s_cmp_eq_u64 s[2:3], 0
	s_cbranch_scc1 .LBB127_3
; %bb.1:
	s_lshl_b64 s[4:5], s[34:35], 2
	s_delay_alu instid0(SALU_CYCLE_1) | instskip(SKIP_4) | instid1(SALU_CYCLE_1)
	s_add_u32 s4, s2, s4
	s_addc_u32 s5, s3, s5
	s_load_b64 s[4:5], s[4:5], 0x0
	s_waitcnt lgkmcnt(0)
	s_sub_i32 s4, s5, s4
	s_cmp_eq_u32 s4, 1
	s_cselect_b32 s4, -1, 0
	s_delay_alu instid0(SALU_CYCLE_1)
	s_and_not1_b32 vcc_lo, exec_lo, s4
	s_cbranch_vccz .LBB127_4
.LBB127_2:
	s_endpgm
.LBB127_3:
.LBB127_4:
	s_load_b64 s[8:9], s[0:1], 0x28
	s_lshl_b64 s[4:5], s[34:35], 2
	s_waitcnt lgkmcnt(0)
	s_add_u32 s8, s8, s4
	s_addc_u32 s9, s9, s5
	s_lshl_b32 s16, s14, 8
	s_load_b32 s18, s[8:9], 0x0
	s_waitcnt lgkmcnt(0)
	s_cmp_ge_i32 s16, s18
	s_cbranch_scc1 .LBB127_2
; %bb.5:
	s_and_not1_b32 vcc_lo, exec_lo, s6
	s_cbranch_vccnz .LBB127_7
; %bb.6:
	s_add_u32 s2, s2, s4
	s_addc_u32 s3, s3, s5
	s_load_b32 s17, s[2:3], 0x0
	s_branch .LBB127_8
.LBB127_7:
	s_mov_b32 s17, s34
.LBB127_8:
	s_clause 0x2
	s_load_b128 s[8:11], s[0:1], 0x8
	s_load_b64 s[12:13], s[0:1], 0x20
	s_load_b128 s[4:7], s[0:1], 0x48
	v_and_b32_e32 v77, 15, v0
	v_cmp_lt_u32_e32 vcc_lo, 0xdf, v0
	s_delay_alu instid0(VALU_DEP_2) | instskip(SKIP_2) | instid1(VALU_DEP_3)
	v_cmp_lt_u32_e64 s3, 7, v77
	v_lshlrev_b32_e32 v1, 3, v77
	v_cmp_gt_u32_e64 s2, 8, v77
	s_or_b32 s3, vcc_lo, s3
	s_waitcnt lgkmcnt(0)
	s_and_saveexec_b32 s7, s3
	s_delay_alu instid0(SALU_CYCLE_1)
	s_xor_b32 s3, exec_lo, s7
; %bb.9:
	v_mov_b32_e32 v2, 0
; %bb.10:
	s_or_saveexec_b32 s3, s3
	v_lshrrev_b32_e32 v79, 5, v0
	v_and_b32_e32 v80, 31, v0
	v_and_b32_e32 v76, 1, v0
	v_bfe_u32 v75, v0, 4, 1
	s_mul_i32 s31, s15, 14
	s_xor_b32 exec_lo, exec_lo, s3
	s_cbranch_execz .LBB127_12
; %bb.11:
	s_load_b64 s[20:21], s[0:1], 0x0
	v_lshl_or_b32 v7, v79, 1, v75
	s_mul_hi_i32 s23, s17, s4
	s_mul_i32 s22, s17, s4
	v_lshlrev_b32_e32 v4, 1, v1
	s_lshl_b64 s[22:23], s[22:23], 1
	v_add_lshl_u32 v2, v7, s31, 6
	v_lshlrev_b32_e32 v7, 6, v7
	v_lshlrev_b32_e32 v8, 10, v76
	s_delay_alu instid0(VALU_DEP_3) | instskip(NEXT) | instid1(VALU_DEP_1)
	v_ashrrev_i32_e32 v3, 31, v2
	v_lshlrev_b64 v[2:3], 1, v[2:3]
	s_waitcnt lgkmcnt(0)
	s_add_u32 s4, s20, s22
	s_addc_u32 s7, s21, s23
	s_delay_alu instid0(VALU_DEP_1) | instskip(NEXT) | instid1(VALU_DEP_2)
	v_add_co_u32 v2, vcc_lo, s4, v2
	v_add_co_ci_u32_e32 v3, vcc_lo, s7, v3, vcc_lo
	s_delay_alu instid0(VALU_DEP_2) | instskip(NEXT) | instid1(VALU_DEP_2)
	v_add_co_u32 v2, vcc_lo, v2, v4
	v_add_co_ci_u32_e32 v3, vcc_lo, 0, v3, vcc_lo
	global_load_b128 v[3:6], v[2:3], off
	v_lshlrev_b32_e32 v2, 10, v77
	s_delay_alu instid0(VALU_DEP_1) | instskip(NEXT) | instid1(VALU_DEP_1)
	v_and_b32_e32 v2, 0x3800, v2
	v_or3_b32 v7, v2, v8, v7
	v_mov_b32_e32 v2, 0
	s_waitcnt vmcnt(0)
	ds_store_b128 v7, v[3:6]
.LBB127_12:
	s_or_b32 exec_lo, exec_lo, s3
	v_and_b32_e32 v3, 0xef, v0
	s_add_i32 s3, s18, 31
	s_clause 0x1
	s_load_b32 s4, s[0:1], 0x38
	s_load_b32 s33, s[0:1], 0x98
	s_ashr_i32 s7, s3, 31
	v_add_nc_u32_e32 v3, s16, v3
	s_lshr_b32 s7, s7, 27
	s_load_b32 s19, s[0:1], 0x1c
	s_add_i32 s3, s3, s7
	s_waitcnt lgkmcnt(0)
	v_ashrrev_i32_e32 v4, 31, v3
	v_cmp_gt_i32_e32 vcc_lo, s18, v3
	s_ashr_i32 s3, s3, 5
	s_barrier
	s_add_i32 s3, s3, -1
	v_lshrrev_b32_e32 v5, 27, v4
	v_or_b32_e32 v4, 16, v3
	buffer_gl0_inv
	s_mul_i32 s6, s15, s6
	v_lshlrev_b64 v[73:74], 1, v[1:2]
	v_add_nc_u32_e32 v6, v3, v5
	v_add_nc_u32_e32 v5, v4, v5
	s_mul_i32 s20, s34, s4
	v_lshlrev_b32_e32 v78, 6, v77
	s_ashr_i32 s21, s20, 31
	v_ashrrev_i32_e32 v6, 5, v6
	v_ashrrev_i32_e32 v5, 5, v5
	s_lshl_b64 s[20:21], s[20:21], 2
	v_lshl_or_b32 v33, v79, 10, v78
	s_add_u32 s4, s12, s20
	v_cndmask_b32_e32 v3, s3, v6, vcc_lo
	v_cmp_gt_i32_e32 vcc_lo, s18, v4
	s_addc_u32 s17, s13, s21
	s_ashr_i32 s7, s6, 31
	s_delay_alu instid0(VALU_DEP_2) | instskip(SKIP_2) | instid1(SALU_CYCLE_1)
	v_ashrrev_i32_e32 v4, 31, v3
	v_cndmask_b32_e32 v5, s3, v5, vcc_lo
	s_lshl_b64 s[6:7], s[6:7], 1
	s_add_u32 s15, s8, s6
	s_delay_alu instid0(VALU_DEP_2) | instskip(NEXT) | instid1(VALU_DEP_2)
	v_lshlrev_b64 v[3:4], 2, v[3:4]
	v_ashrrev_i32_e32 v6, 31, v5
	s_addc_u32 s28, s9, s7
	s_lshl_b32 s8, s14, 3
	s_delay_alu instid0(SALU_CYCLE_1) | instskip(NEXT) | instid1(VALU_DEP_1)
	s_ashr_i32 s9, s8, 31
	v_lshlrev_b64 v[5:6], 2, v[5:6]
	v_add_co_u32 v3, vcc_lo, s4, v3
	v_add_co_ci_u32_e32 v4, vcc_lo, s17, v4, vcc_lo
	s_lshl_b64 s[8:9], s[8:9], 2
	s_delay_alu instid0(VALU_DEP_3) | instskip(NEXT) | instid1(VALU_DEP_4)
	v_add_co_u32 v5, vcc_lo, s4, v5
	v_add_co_ci_u32_e32 v6, vcc_lo, s17, v6, vcc_lo
	s_add_u32 s8, s4, s8
	s_clause 0x1
	global_load_b32 v7, v[3:4], off
	global_load_b32 v8, v[5:6], off
	s_addc_u32 s9, s17, s9
	s_or_b32 s12, s16, 32
	s_delay_alu instid0(SALU_CYCLE_1) | instskip(SKIP_2) | instid1(SALU_CYCLE_1)
	s_ashr_i32 s13, s12, 5
	s_cmp_lt_i32 s12, s18
	s_cselect_b32 s12, s13, s3
	s_ashr_i32 s13, s12, 31
	s_delay_alu instid0(SALU_CYCLE_1) | instskip(NEXT) | instid1(SALU_CYCLE_1)
	s_lshl_b64 s[12:13], s[12:13], 2
	s_add_u32 s12, s4, s12
	s_addc_u32 s13, s17, s13
	s_or_b32 s20, s16, 64
	s_delay_alu instid0(SALU_CYCLE_1) | instskip(SKIP_2) | instid1(SALU_CYCLE_1)
	s_ashr_i32 s21, s20, 5
	s_cmp_lt_i32 s20, s18
	s_cselect_b32 s20, s21, s3
	s_ashr_i32 s21, s20, 31
	s_delay_alu instid0(SALU_CYCLE_1) | instskip(NEXT) | instid1(SALU_CYCLE_1)
	s_lshl_b64 s[20:21], s[20:21], 2
	s_add_u32 s20, s4, s20
	s_addc_u32 s21, s17, s21
	s_or_b32 s22, s16, 0x60
	s_delay_alu instid0(SALU_CYCLE_1) | instskip(SKIP_2) | instid1(SALU_CYCLE_1)
	s_ashr_i32 s23, s22, 5
	s_cmp_lt_i32 s22, s18
	s_cselect_b32 s22, s23, s3
	s_ashr_i32 s23, s22, 31
	s_delay_alu instid0(SALU_CYCLE_1) | instskip(NEXT) | instid1(SALU_CYCLE_1)
	s_lshl_b64 s[22:23], s[22:23], 2
	s_add_u32 s22, s4, s22
	s_addc_u32 s23, s17, s23
	s_or_b32 s24, s16, 0x80
	s_delay_alu instid0(SALU_CYCLE_1) | instskip(SKIP_2) | instid1(SALU_CYCLE_1)
	s_ashr_i32 s25, s24, 5
	s_cmp_lt_i32 s24, s18
	s_cselect_b32 s24, s25, s3
	s_ashr_i32 s25, s24, 31
	s_delay_alu instid0(SALU_CYCLE_1) | instskip(NEXT) | instid1(SALU_CYCLE_1)
	s_lshl_b64 s[24:25], s[24:25], 2
	s_add_u32 s24, s4, s24
	s_addc_u32 s25, s17, s25
	s_or_b32 s26, s16, 0xa0
	s_delay_alu instid0(SALU_CYCLE_1) | instskip(SKIP_2) | instid1(SALU_CYCLE_1)
	s_ashr_i32 s27, s26, 5
	s_cmp_lt_i32 s26, s18
	s_cselect_b32 s26, s27, s3
	s_ashr_i32 s27, s26, 31
	s_delay_alu instid0(SALU_CYCLE_1) | instskip(NEXT) | instid1(SALU_CYCLE_1)
	s_lshl_b64 s[26:27], s[26:27], 2
	s_add_u32 s26, s4, s26
	s_addc_u32 s27, s17, s27
	s_clause 0x5
	s_load_b32 s29, s[8:9], 0x0
	s_load_b32 s30, s[12:13], 0x0
	;; [unrolled: 1-line block ×6, first 2 shown]
	s_or_b32 s8, s16, 0xc0
	s_mov_b32 s20, 0
	s_ashr_i32 s9, s8, 5
	s_cmp_lt_i32 s8, s18
	s_mov_b32 s27, s20
	s_cselect_b32 s8, s9, s3
	s_mov_b32 s21, s20
	s_ashr_i32 s9, s8, 31
	s_mov_b32 s22, s20
	s_lshl_b64 s[8:9], s[8:9], 2
	s_mov_b32 s23, s20
	s_add_u32 s8, s4, s8
	s_mov_b32 s24, s20
	s_mov_b32 s25, s20
	;; [unrolled: 1-line block ×3, first 2 shown]
	s_addc_u32 s9, s17, s9
	v_dual_mov_b32 v128, s27 :: v_dual_mov_b32 v127, s26
	v_dual_mov_b32 v126, s25 :: v_dual_mov_b32 v125, s24
	;; [unrolled: 1-line block ×3, first 2 shown]
	v_mov_b32_e32 v121, s20
	s_waitcnt lgkmcnt(0)
	s_mul_hi_i32 s13, s29, s5
	s_mul_i32 s12, s29, s5
	v_mov_b32_e32 v122, s21
	s_mul_hi_i32 s21, s30, s5
	s_mul_i32 s20, s30, s5
	s_mul_hi_i32 s25, s35, s5
	s_mul_i32 s24, s35, s5
	;; [unrolled: 2-line block ×3, first 2 shown]
	s_mul_i32 s36, s38, s5
	s_waitcnt vmcnt(1)
	v_mad_i64_i32 v[3:4], null, v7, s5, 0
	s_waitcnt vmcnt(0)
	v_mad_i64_i32 v[5:6], null, v8, s5, 0
	s_delay_alu instid0(VALU_DEP_2) | instskip(NEXT) | instid1(VALU_DEP_2)
	v_lshlrev_b64 v[3:4], 1, v[3:4]
	v_lshlrev_b64 v[1:2], 1, v[5:6]
	s_delay_alu instid0(VALU_DEP_2) | instskip(NEXT) | instid1(VALU_DEP_3)
	v_add_co_u32 v3, vcc_lo, s15, v3
	v_add_co_ci_u32_e32 v4, vcc_lo, s28, v4, vcc_lo
	s_delay_alu instid0(VALU_DEP_3) | instskip(NEXT) | instid1(VALU_DEP_4)
	v_add_co_u32 v1, vcc_lo, s15, v1
	v_add_co_ci_u32_e32 v2, vcc_lo, s28, v2, vcc_lo
	s_delay_alu instid0(VALU_DEP_4) | instskip(NEXT) | instid1(VALU_DEP_4)
	v_add_co_u32 v25, vcc_lo, v3, v73
	v_add_co_ci_u32_e32 v26, vcc_lo, v4, v74, vcc_lo
	s_delay_alu instid0(VALU_DEP_4) | instskip(NEXT) | instid1(VALU_DEP_4)
	v_add_co_u32 v27, vcc_lo, v1, v73
	v_add_co_ci_u32_e32 v28, vcc_lo, v2, v74, vcc_lo
	s_clause 0xf
	global_load_b128 v[1:4], v[25:26], off
	global_load_b128 v[5:8], v[25:26], off offset:512
	global_load_b128 v[9:12], v[27:28], off offset:256
	;; [unrolled: 1-line block ×15, first 2 shown]
	s_or_b32 s15, s16, 0xe0
	v_add_nc_u32_e32 v25, -14, v77
	s_ashr_i32 s22, s15, 5
	s_cmp_lt_i32 s15, s18
	v_cmp_gt_u32_e32 vcc_lo, 14, v77
	s_cselect_b32 s22, s22, s3
	s_delay_alu instid0(SALU_CYCLE_1) | instskip(NEXT) | instid1(SALU_CYCLE_1)
	s_ashr_i32 s23, s22, 31
	s_lshl_b64 s[22:23], s[22:23], 2
	v_cndmask_b32_e32 v25, v25, v77, vcc_lo
	s_add_u32 s22, s4, s22
	s_addc_u32 s23, s17, s23
	s_add_i32 s15, s16, 0x100
	s_delay_alu instid0(SALU_CYCLE_1)
	s_ashr_i32 s28, s15, 5
	s_cmp_lt_i32 s15, s18
	v_lshlrev_b32_e32 v151, 6, v25
	s_cselect_b32 s28, s28, s3
	ds_load_b128 v[25:28], v151
	ds_load_b128 v[29:32], v151 offset:1024
	s_ashr_i32 s29, s28, 31
	ds_load_b128 v[129:132], v151 offset:2048
	ds_load_b128 v[133:136], v151 offset:3072
	s_lshl_b64 s[28:29], s[28:29], 2
	s_load_b32 s15, s[8:9], 0x0
	s_add_u32 s28, s4, s28
	s_addc_u32 s29, s17, s29
	s_add_u32 s3, s10, s6
	s_clause 0x1
	s_load_b32 s4, s[22:23], 0x0
	s_load_b32 s17, s[28:29], 0x0
	s_addc_u32 s28, s11, s7
	v_add_co_u32 v152, s3, s3, v33
	s_delay_alu instid0(VALU_DEP_1) | instskip(SKIP_2) | instid1(VALU_DEP_2)
	v_add_co_ci_u32_e64 v153, null, s28, 0, s3
	s_lshl_b64 s[6:7], s[12:13], 1
	s_lshl_b64 s[10:11], s[20:21], 1
	v_add_co_u32 v33, vcc_lo, v152, s6
	s_delay_alu instid0(VALU_DEP_2)
	v_add_co_ci_u32_e32 v34, vcc_lo, s7, v153, vcc_lo
	v_add_co_u32 v35, vcc_lo, v152, s10
	s_lshl_b64 s[12:13], s[24:25], 1
	v_add_co_ci_u32_e32 v36, vcc_lo, s11, v153, vcc_lo
	v_add_co_u32 v37, vcc_lo, v152, s12
	s_lshl_b64 s[20:21], s[26:27], 1
	s_mul_hi_i32 s9, s37, s5
	s_mul_i32 s8, s37, s5
	v_add_co_ci_u32_e32 v38, vcc_lo, s13, v153, vcc_lo
	v_add_co_u32 v39, vcc_lo, v152, s20
	s_lshl_b64 s[8:9], s[8:9], 1
	s_mul_hi_i32 s37, s38, s5
	v_add_co_ci_u32_e32 v40, vcc_lo, s21, v153, vcc_lo
	v_add_co_u32 v145, vcc_lo, v152, s8
	s_lshl_b64 s[22:23], s[36:37], 1
	s_waitcnt lgkmcnt(0)
	s_mul_hi_i32 s25, s15, s5
	s_mul_i32 s24, s15, s5
	v_add_co_ci_u32_e32 v146, vcc_lo, s9, v153, vcc_lo
	v_add_co_u32 v147, vcc_lo, v152, s22
	s_lshl_b64 s[24:25], s[24:25], 1
	v_add_co_ci_u32_e32 v148, vcc_lo, s23, v153, vcc_lo
	s_mul_hi_i32 s7, s4, s5
	s_mul_i32 s6, s4, s5
	v_add_co_u32 v149, vcc_lo, v152, s24
	s_lshl_b64 s[6:7], s[6:7], 1
	v_add_co_ci_u32_e32 v150, vcc_lo, s25, v153, vcc_lo
	s_clause 0x7
	global_load_b128 v[65:68], v[33:34], off
	global_load_b128 v[69:72], v[33:34], off offset:16
	global_load_b128 v[57:60], v[35:36], off
	global_load_b128 v[61:64], v[35:36], off offset:16
	;; [unrolled: 2-line block ×4, first 2 shown]
	s_waitcnt vmcnt(22)
	v_wmma_f32_16x16x16_f16 v[137:144], v[1:8], v[25:32], v[121:128]
	s_waitcnt vmcnt(20)
	v_wmma_f32_16x16x16_f16 v[121:128], v[9:16], v[25:32], v[121:128]
	v_add_co_u32 v29, vcc_lo, v152, s6
	v_add_co_ci_u32_e32 v30, vcc_lo, s7, v153, vcc_lo
	s_mul_hi_i32 s7, s17, s5
	s_mul_i32 s6, s17, s5
	s_waitcnt vmcnt(18)
	v_wmma_f32_16x16x16_f16 v[137:144], v[17:24], v[129:136], v[137:144]
	s_lshl_b64 s[4:5], s[6:7], 1
	s_clause 0x1
	global_load_b128 v[9:12], v[145:146], off
	global_load_b128 v[13:16], v[145:146], off offset:16
	v_add_co_u32 v21, vcc_lo, v152, s4
	v_add_co_ci_u32_e32 v22, vcc_lo, s5, v153, vcc_lo
	s_clause 0x7
	global_load_b128 v[1:4], v[147:148], off
	global_load_b128 v[5:8], v[147:148], off offset:16
	global_load_b128 v[33:36], v[149:150], off
	global_load_b128 v[37:40], v[149:150], off offset:16
	;; [unrolled: 2-line block ×4, first 2 shown]
	s_waitcnt vmcnt(26)
	v_wmma_f32_16x16x16_f16 v[121:128], v[81:88], v[129:136], v[121:128]
	ds_load_b128 v[81:84], v151 offset:4096
	ds_load_b128 v[85:88], v151 offset:5120
	v_mbcnt_lo_u32_b32 v130, -1, 0
	s_delay_alu instid0(VALU_DEP_1) | instskip(NEXT) | instid1(VALU_DEP_1)
	v_xor_b32_e32 v131, 16, v130
	v_cmp_gt_i32_e32 vcc_lo, 32, v131
	v_cndmask_b32_e32 v130, v130, v131, vcc_lo
	s_waitcnt vmcnt(24) lgkmcnt(0)
	v_wmma_f32_16x16x16_f16 v[137:144], v[89:96], v[81:88], v[137:144]
	ds_load_b128 v[89:92], v151 offset:6144
	ds_load_b128 v[93:96], v151 offset:7168
	s_waitcnt vmcnt(22)
	v_wmma_f32_16x16x16_f16 v[121:128], v[97:104], v[81:88], v[121:128]
	s_waitcnt vmcnt(0) lgkmcnt(0)
	s_barrier
	buffer_gl0_inv
	v_wmma_f32_16x16x16_f16 v[137:144], v[105:112], v[89:96], v[137:144]
	v_and_b32_e32 v129, 0xe0, v0
	v_wmma_f32_16x16x16_f16 v[121:128], v[113:120], v[89:96], v[121:128]
	s_delay_alu instid0(VALU_DEP_3) | instskip(NEXT) | instid1(VALU_DEP_2)
	v_mul_f32_e32 v96, s19, v137
	v_dual_mul_f32 v104, s19, v126 :: v_dual_add_nc_u32 v129, s16, v129
	v_mul_f32_e32 v95, s19, v138
	v_dual_mul_f32 v93, s19, v140 :: v_dual_mul_f32 v94, s19, v139
	s_delay_alu instid0(VALU_DEP_3) | instskip(SKIP_3) | instid1(VALU_DEP_4)
	v_or_b32_e32 v129, v129, v75
	v_dual_mul_f32 v91, s19, v142 :: v_dual_mul_f32 v106, s19, v124
	v_dual_mul_f32 v92, s19, v141 :: v_dual_mul_f32 v89, s19, v144
	v_mul_f32_e32 v108, s19, v122
	v_or_b32_e32 v131, 2, v129
	v_or_b32_e32 v132, 4, v129
	;; [unrolled: 1-line block ×3, first 2 shown]
	v_cmp_gt_i32_e32 vcc_lo, s18, v129
	v_or_b32_e32 v82, 8, v129
	v_cmp_gt_i32_e64 s3, s18, v131
	v_or_b32_e32 v83, 10, v129
	v_cmp_gt_i32_e64 s4, s18, v132
	v_cndmask_b32_e32 v96, 0xff7fffff, v96, vcc_lo
	v_cmp_gt_i32_e64 s5, s18, v81
	v_cndmask_b32_e64 v95, 0xff7fffff, v95, s3
	v_or_b32_e32 v84, 12, v129
	v_or_b32_e32 v85, 14, v129
	v_cndmask_b32_e64 v94, 0xff7fffff, v94, s4
	v_cndmask_b32_e64 v81, 0xff7fffff, v93, s5
	v_max3_f32 v93, v96, 0xff7fffff, v95
	v_cmp_gt_i32_e64 s6, s18, v82
	v_cmp_gt_i32_e64 s7, s18, v83
	v_or_b32_e32 v86, 16, v129
	v_or_b32_e32 v87, 18, v129
	v_mul_f32_e32 v90, s19, v143
	v_cndmask_b32_e64 v82, 0xff7fffff, v92, s6
	v_cndmask_b32_e64 v83, 0xff7fffff, v91, s7
	v_max3_f32 v81, v93, v94, v81
	v_cmp_gt_i32_e64 s8, s18, v84
	v_cmp_gt_i32_e64 s9, s18, v85
	v_or_b32_e32 v88, 20, v129
	v_or_b32_e32 v97, 22, v129
	v_mul_f32_e32 v109, s19, v121
	v_cndmask_b32_e64 v84, 0xff7fffff, v90, s8
	v_cndmask_b32_e64 v85, 0xff7fffff, v89, s9
	v_max3_f32 v81, v81, v82, v83
	v_cmp_gt_i32_e64 s10, s18, v86
	v_cmp_gt_i32_e64 s11, s18, v87
	v_or_b32_e32 v98, 24, v129
	v_or_b32_e32 v99, 26, v129
	v_mul_f32_e32 v107, s19, v123
	v_cndmask_b32_e64 v82, 0xff7fffff, v109, s10
	v_cndmask_b32_e64 v83, 0xff7fffff, v108, s11
	v_max3_f32 v81, v81, v84, v85
	v_cmp_gt_i32_e64 s12, s18, v88
	v_cmp_gt_i32_e64 s13, s18, v97
	v_or_b32_e32 v100, 28, v129
	v_or_b32_e32 v101, 30, v129
	v_mul_f32_e32 v105, s19, v125
	v_cndmask_b32_e64 v84, 0xff7fffff, v107, s12
	v_cndmask_b32_e64 v85, 0xff7fffff, v106, s13
	v_max3_f32 v81, v81, v82, v83
	v_cmp_gt_i32_e64 s15, s18, v98
	v_cmp_gt_i32_e64 s16, s18, v99
	v_dual_mul_f32 v102, s19, v128 :: v_dual_mul_f32 v103, s19, v127
	s_delay_alu instid0(VALU_DEP_4) | instskip(NEXT) | instid1(VALU_DEP_4)
	v_max3_f32 v81, v81, v84, v85
	v_cndmask_b32_e64 v82, 0xff7fffff, v105, s15
	s_delay_alu instid0(VALU_DEP_4) | instskip(SKIP_2) | instid1(VALU_DEP_3)
	v_cndmask_b32_e64 v83, 0xff7fffff, v104, s16
	v_cmp_gt_i32_e64 s17, s18, v100
	v_cmp_gt_i32_e64 s18, s18, v101
	v_max3_f32 v81, v81, v82, v83
	s_delay_alu instid0(VALU_DEP_3) | instskip(NEXT) | instid1(VALU_DEP_3)
	v_cndmask_b32_e64 v84, 0xff7fffff, v103, s17
	v_cndmask_b32_e64 v85, 0xff7fffff, v102, s18
	v_lshlrev_b32_e32 v83, 2, v130
	s_delay_alu instid0(VALU_DEP_2) | instskip(SKIP_3) | instid1(VALU_DEP_1)
	v_max3_f32 v81, v81, v84, v85
	ds_bpermute_b32 v82, v83, v81
	s_waitcnt lgkmcnt(0)
	v_max_f32_e32 v82, v82, v82
	v_max_f32_e32 v81, v81, v82
	s_delay_alu instid0(VALU_DEP_1) | instskip(SKIP_2) | instid1(VALU_DEP_3)
	v_fma_f32 v82, s19, v137, -v81
	v_fma_f32 v84, s19, v138, -v81
	;; [unrolled: 1-line block ×3, first 2 shown]
	v_mul_f32_e32 v82, 0x3fb8aa3b, v82
	s_delay_alu instid0(VALU_DEP_2) | instskip(NEXT) | instid1(VALU_DEP_2)
	v_dual_mul_f32 v84, 0x3fb8aa3b, v84 :: v_dual_mul_f32 v89, 0x3fb8aa3b, v87
	v_exp_f32_e32 v82, v82
	s_delay_alu instid0(VALU_DEP_1) | instskip(NEXT) | instid1(VALU_DEP_1)
	v_exp_f32_e32 v84, v84
	v_exp_f32_e32 v92, v89
	s_delay_alu instid0(TRANS32_DEP_3)
	v_cndmask_b32_e32 v88, 0, v82, vcc_lo
	s_waitcnt_depctr 0xfff
	v_cndmask_b32_e64 v87, 0, v84, s3
	v_cndmask_b32_e64 v92, 0, v92, s6
	s_mov_b32 s3, exec_lo
	v_add_f32_e32 v84, 0, v88
	s_delay_alu instid0(VALU_DEP_1)
	v_add_f32_e32 v84, v84, v87
	v_fma_f32 v85, s19, v139, -v81
	v_fma_f32 v86, s19, v140, -v81
	;; [unrolled: 1-line block ×5, first 2 shown]
	s_delay_alu instid0(VALU_DEP_4) | instskip(NEXT) | instid1(VALU_DEP_4)
	v_dual_mul_f32 v85, 0x3fb8aa3b, v85 :: v_dual_mul_f32 v86, 0x3fb8aa3b, v86
	v_mul_f32_e32 v82, 0x3fb8aa3b, v82
	v_fma_f32 v96, s19, v124, -v81
	v_fma_f32 v99, s19, v127, -v81
	s_delay_alu instid0(VALU_DEP_4) | instskip(SKIP_3) | instid1(VALU_DEP_1)
	v_exp_f32_e32 v85, v85
	v_exp_f32_e32 v86, v86
	v_exp_f32_e32 v82, v82
	v_mul_f32_e32 v97, 0x3fb8aa3b, v96
	v_exp_f32_e32 v97, v97
	v_cndmask_b32_e64 v90, 0, v85, s4
	v_fma_f32 v85, s19, v144, -v81
	s_delay_alu instid0(TRANS32_DEP_3) | instskip(SKIP_1) | instid1(VALU_DEP_4)
	v_cndmask_b32_e64 v89, 0, v86, s5
	v_fma_f32 v86, s19, v121, -v81
	v_dual_add_f32 v84, v84, v90 :: v_dual_mul_f32 v91, 0x3fb8aa3b, v91
	s_delay_alu instid0(VALU_DEP_2) | instskip(NEXT) | instid1(TRANS32_DEP_1)
	v_mul_f32_e32 v86, 0x3fb8aa3b, v86
	v_cndmask_b32_e64 v97, 0, v97, s13
	s_delay_alu instid0(VALU_DEP_3)
	v_add_f32_e32 v84, v84, v89
	v_mul_f32_e32 v85, 0x3fb8aa3b, v85
	v_exp_f32_e32 v93, v91
	v_cndmask_b32_e64 v91, 0, v82, s7
	v_exp_f32_e32 v86, v86
	v_add_f32_e32 v82, v84, v92
	v_exp_f32_e32 v85, v85
	v_fma_f32 v84, s19, v123, -v81
	s_delay_alu instid0(VALU_DEP_2) | instskip(NEXT) | instid1(TRANS32_DEP_3)
	v_dual_mul_f32 v95, 0x3fb8aa3b, v94 :: v_dual_add_f32 v82, v82, v91
	v_cndmask_b32_e64 v94, 0, v93, s8
	s_delay_alu instid0(VALU_DEP_2) | instskip(NEXT) | instid1(TRANS32_DEP_3)
	v_exp_f32_e32 v95, v95
	v_cndmask_b32_e64 v96, 0, v86, s10
	v_fma_f32 v86, s19, v126, -v81
	s_delay_alu instid0(TRANS32_DEP_2) | instskip(SKIP_3) | instid1(VALU_DEP_3)
	v_cndmask_b32_e64 v93, 0, v85, s9
	v_fma_f32 v85, s19, v125, -v81
	v_mul_f32_e32 v84, 0x3fb8aa3b, v84
	v_add_f32_e32 v82, v82, v94
	v_dual_mul_f32 v86, 0x3fb8aa3b, v86 :: v_dual_mul_f32 v85, 0x3fb8aa3b, v85
	s_delay_alu instid0(VALU_DEP_3) | instskip(NEXT) | instid1(TRANS32_DEP_2)
	v_exp_f32_e32 v84, v84
	v_cndmask_b32_e64 v95, 0, v95, s11
	s_delay_alu instid0(VALU_DEP_2) | instskip(NEXT) | instid1(VALU_DEP_2)
	v_exp_f32_e32 v86, v86
	v_exp_f32_e32 v85, v85
	s_delay_alu instid0(TRANS32_DEP_3)
	v_cndmask_b32_e64 v98, 0, v84, s12
	v_mul_f32_e32 v84, 0x3fb8aa3b, v99
	v_fma_f32 v99, s19, v128, -v81
	v_add_f32_e32 v82, v82, v93
	s_waitcnt_depctr 0xfff
	v_cndmask_b32_e64 v100, 0, v85, s15
	v_exp_f32_e32 v84, v84
	v_dual_mul_f32 v85, 0x3fb8aa3b, v99 :: v_dual_add_f32 v82, v82, v96
	v_cndmask_b32_e64 v99, 0, v86, s16
	s_delay_alu instid0(VALU_DEP_2) | instskip(NEXT) | instid1(VALU_DEP_2)
	v_exp_f32_e32 v85, v85
	v_add_f32_e32 v82, v82, v95
	s_waitcnt_depctr 0xfff
	v_cndmask_b32_e64 v102, 0, v84, s17
	v_add_f32_e32 v82, v82, v98
	v_cndmask_b32_e64 v101, 0, v85, s18
	s_delay_alu instid0(VALU_DEP_2) | instskip(NEXT) | instid1(VALU_DEP_1)
	v_add_f32_e32 v82, v82, v97
	v_add_f32_e32 v82, v82, v100
	s_delay_alu instid0(VALU_DEP_1) | instskip(NEXT) | instid1(VALU_DEP_1)
	v_add_f32_e32 v82, v82, v99
	v_add_f32_e32 v82, v82, v102
	s_delay_alu instid0(VALU_DEP_1)
	v_add_f32_e32 v82, v82, v101
	ds_bpermute_b32 v83, v83, v82
	v_cmpx_gt_u32_e32 16, v80
	s_cbranch_execz .LBB127_14
; %bb.13:
	v_mul_u32_u24_e32 v80, 0x44, v79
	s_waitcnt lgkmcnt(0)
	v_add_f32_e32 v82, v82, v83
	s_delay_alu instid0(VALU_DEP_2) | instskip(NEXT) | instid1(VALU_DEP_1)
	v_lshl_add_u32 v80, v77, 2, v80
	v_add_nc_u32_e32 v80, 0x4000, v80
	ds_store_2addr_b32 v80, v81, v82 offset1:136
.LBB127_14:
	s_or_b32 exec_lo, exec_lo, s3
	v_lshlrev_b32_e32 v80, 2, v77
	s_load_b32 s35, s[0:1], 0x94
	s_waitcnt lgkmcnt(0)
	s_barrier
	buffer_gl0_inv
	v_add_nc_u32_e32 v84, 0x4000, v80
	v_cmp_eq_u32_e32 vcc_lo, 1, v79
	v_cmp_eq_u32_e64 s3, 2, v79
	v_cmp_eq_u32_e64 s4, 3, v79
	;; [unrolled: 1-line block ×3, first 2 shown]
	ds_load_2addr_b32 v[80:81], v84 offset1:17
	ds_load_2addr_b32 v[82:83], v84 offset0:34 offset1:51
	ds_load_2addr_b32 v[103:104], v84 offset0:68 offset1:85
	ds_load_2addr_b32 v[105:106], v84 offset0:102 offset1:119
	v_cmp_eq_u32_e64 s6, 7, v79
	s_waitcnt lgkmcnt(3)
	v_max3_f32 v85, v80, 0xff7fffff, v81
	s_waitcnt lgkmcnt(2)
	s_delay_alu instid0(VALU_DEP_1) | instskip(SKIP_1) | instid1(VALU_DEP_1)
	v_max3_f32 v85, v85, v82, v83
	s_waitcnt lgkmcnt(1)
	v_max3_f32 v85, v85, v103, v104
	s_waitcnt lgkmcnt(0)
	s_delay_alu instid0(VALU_DEP_1) | instskip(NEXT) | instid1(VALU_DEP_1)
	v_max3_f32 v85, v85, v105, v106
	v_sub_f32_e32 v103, v103, v85
	ds_load_2addr_b32 v[107:108], v84 offset0:136 offset1:153
	v_sub_f32_e32 v80, v80, v85
	v_dual_sub_f32 v110, v83, v85 :: v_dual_mul_f32 v113, 0x3fb8aa3b, v103
	s_delay_alu instid0(VALU_DEP_2) | instskip(SKIP_3) | instid1(VALU_DEP_1)
	v_dual_sub_f32 v86, v81, v85 :: v_dual_mul_f32 v109, 0x3fb8aa3b, v80
	ds_load_2addr_b32 v[80:81], v84 offset0:170 offset1:187
	v_mul_f32_e32 v86, 0x3fb8aa3b, v86
	v_exp_f32_e32 v109, v109
	v_exp_f32_e32 v112, v86
	v_mul_f32_e32 v110, 0x3fb8aa3b, v110
	s_waitcnt lgkmcnt(1)
	s_waitcnt_depctr 0xfff
	v_fma_f32 v86, v109, v107, 0
	v_sub_f32_e32 v107, v104, v85
	v_sub_f32_e32 v82, v82, v85
	v_exp_f32_e32 v110, v110
	ds_load_2addr_b32 v[103:104], v84 offset0:238 offset1:255
	v_dual_fmac_f32 v86, v112, v108 :: v_dual_mul_f32 v111, 0x3fb8aa3b, v82
	ds_load_2addr_b32 v[82:83], v84 offset0:204 offset1:221
	v_dual_sub_f32 v84, v105, v85 :: v_dual_mul_f32 v105, 0x3fb8aa3b, v107
	v_exp_f32_e32 v107, v113
	v_exp_f32_e32 v111, v111
	s_waitcnt lgkmcnt(0)
	s_delay_alu instid0(VALU_DEP_1)
	v_mul_f32_e32 v84, 0x3fb8aa3b, v84
	v_exp_f32_e32 v105, v105
	s_barrier
	buffer_gl0_inv
	v_fmac_f32_e32 v86, v111, v80
	v_sub_f32_e32 v80, v106, v85
	v_exp_f32_e32 v106, v84
	s_delay_alu instid0(VALU_DEP_2) | instskip(NEXT) | instid1(VALU_DEP_2)
	v_fmac_f32_e32 v86, v110, v81
	v_mul_f32_e32 v80, 0x3fb8aa3b, v80
	s_delay_alu instid0(VALU_DEP_2) | instskip(NEXT) | instid1(VALU_DEP_2)
	v_dual_cndmask_b32 v81, v109, v112 :: v_dual_fmac_f32 v86, v107, v82
	v_exp_f32_e32 v108, v80
	s_delay_alu instid0(VALU_DEP_1) | instskip(SKIP_2) | instid1(VALU_DEP_1)
	v_fmac_f32_e32 v86, v105, v83
	s_waitcnt_depctr 0xfff
	v_fmac_f32_e32 v86, v106, v103
	v_fmac_f32_e32 v86, v108, v104
	s_delay_alu instid0(VALU_DEP_1) | instskip(NEXT) | instid1(VALU_DEP_1)
	v_add_f32_e32 v103, 0x358637bd, v86
	v_div_scale_f32 v104, null, v103, v103, 1.0
	v_div_scale_f32 v109, vcc_lo, 1.0, v103, 1.0
	s_delay_alu instid0(VALU_DEP_2) | instskip(SKIP_2) | instid1(VALU_DEP_1)
	v_rcp_f32_e32 v113, v104
	s_waitcnt_depctr 0xfff
	v_fma_f32 v80, -v104, v113, 1.0
	v_fmac_f32_e32 v113, v80, v113
	v_cndmask_b32_e64 v80, v81, v111, s3
	v_cmp_eq_u32_e64 s3, 4, v79
	v_lshl_or_b32 v81, v79, 11, v78
	s_delay_alu instid0(VALU_DEP_4) | instskip(NEXT) | instid1(VALU_DEP_4)
	v_mul_f32_e32 v111, v109, v113
	v_cndmask_b32_e64 v82, v80, v110, s4
	v_cmp_eq_u32_e64 s4, 6, v79
	s_delay_alu instid0(VALU_DEP_4) | instskip(SKIP_3) | instid1(VALU_DEP_3)
	v_lshl_or_b32 v79, v75, 4, v81
	v_lshlrev_b32_e32 v80, 2, v75
	v_fma_f32 v83, -v104, v111, v109
	v_cndmask_b32_e64 v84, v82, v107, s3
	v_or_b32_e32 v82, 1, v80
	s_delay_alu instid0(VALU_DEP_3) | instskip(NEXT) | instid1(VALU_DEP_3)
	v_fmac_f32_e32 v111, v83, v113
	v_cndmask_b32_e64 v105, v84, v105, s5
	v_or_b32_e32 v84, 2, v80
	v_or_b32_e32 v83, 3, v80
	v_cmp_eq_u32_e64 s3, 1, v80
	v_fma_f32 v104, -v104, v111, v109
	v_cndmask_b32_e64 v105, v105, v106, s4
	v_cmp_eq_u32_e64 s9, 1, v82
	v_cmp_eq_u32_e64 s10, 1, v84
	v_cmp_eq_u32_e64 s11, 1, v83
	v_div_fmas_f32 v104, v104, v113, v111
	v_cndmask_b32_e64 v105, v105, v108, s6
	v_cmp_eq_u32_e32 vcc_lo, 2, v80
	v_cmp_eq_u32_e64 s12, 2, v82
	v_cmp_eq_u32_e64 s15, 2, v84
	v_div_fixup_f32 v103, v104, v103, 1.0
	v_cmp_eq_u32_e64 s16, 2, v83
	v_cmp_eq_u32_e64 s18, 3, v83
	v_cmp_eq_u32_e64 s4, 3, v80
	v_cmp_eq_u32_e64 s13, 3, v82
	v_mul_f32_e32 v111, v105, v103
	v_cmp_eq_u32_e64 s17, 3, v84
	v_cmp_eq_u32_e64 s22, 4, v83
	;; [unrolled: 1-line block ×4, first 2 shown]
	v_fma_mixlo_f16 v103, v111, v88, 0
	v_fma_mixlo_f16 v104, v111, v90, 0
	;; [unrolled: 1-line block ×8, first 2 shown]
	v_fma_mixhi_f16 v103, v111, v87, 0
	v_fma_mixhi_f16 v104, v111, v89, 0
	;; [unrolled: 1-line block ×8, first 2 shown]
	ds_store_b128 v79, v[103:106]
	ds_store_b128 v79, v[107:110] offset:1024
	s_waitcnt lgkmcnt(0)
	s_barrier
	buffer_gl0_inv
	ds_load_b128 v[87:90], v81
	ds_load_b128 v[91:94], v81 offset:16
	ds_load_b128 v[95:98], v81 offset:1024
	;; [unrolled: 1-line block ×3, first 2 shown]
	v_cmp_eq_u32_e64 s21, 4, v84
	v_cmp_eq_u32_e64 s24, 5, v83
	;; [unrolled: 1-line block ×13, first 2 shown]
	s_waitcnt lgkmcnt(3)
	v_lshrrev_b32_e32 v103, 16, v87
	s_waitcnt lgkmcnt(2)
	v_lshrrev_b32_e32 v107, 16, v91
	;; [unrolled: 2-line block ×4, first 2 shown]
	v_lshrrev_b32_e32 v104, 16, v88
	v_cndmask_b32_e64 v119, v87, v103, s3
	v_cndmask_b32_e64 v120, v91, v107, s3
	;; [unrolled: 1-line block ×8, first 2 shown]
	v_lshrrev_b32_e32 v108, 16, v92
	v_cndmask_b32_e64 v103, v95, v111, s3
	v_cndmask_b32_e64 v107, v99, v115, s3
	;; [unrolled: 1-line block ×5, first 2 shown]
	v_cndmask_b32_e32 v111, v119, v88, vcc_lo
	v_cndmask_b32_e64 v119, v121, v88, s12
	v_cndmask_b32_e64 v121, v123, v88, s15
	;; [unrolled: 1-line block ×4, first 2 shown]
	v_lshrrev_b32_e32 v112, 16, v96
	v_lshrrev_b32_e32 v116, 16, v100
	v_cndmask_b32_e64 v126, v99, v115, s9
	v_cndmask_b32_e64 v128, v99, v115, s10
	v_cndmask_b32_e64 v99, v99, v115, s11
	v_cndmask_b32_e32 v115, v120, v92, vcc_lo
	v_cndmask_b32_e64 v120, v122, v92, s12
	v_cndmask_b32_e64 v122, v124, v92, s15
	v_cndmask_b32_e32 v91, v103, v96, vcc_lo
	v_cndmask_b32_e32 v92, v107, v100, vcc_lo
	v_cndmask_b32_e64 v103, v125, v96, s12
	v_cndmask_b32_e64 v87, v87, v104, s18
	;; [unrolled: 1-line block ×3, first 2 shown]
	v_lshrrev_b32_e32 v105, 16, v89
	v_lshrrev_b32_e32 v109, 16, v93
	v_cndmask_b32_e64 v107, v127, v96, s15
	v_cndmask_b32_e64 v95, v95, v96, s16
	;; [unrolled: 1-line block ×14, first 2 shown]
	v_lshrrev_b32_e32 v113, 16, v97
	v_cndmask_b32_e64 v99, v99, v89, s5
	v_cndmask_b32_e64 v104, v111, v93, s5
	;; [unrolled: 1-line block ×11, first 2 shown]
	v_lshrrev_b32_e32 v106, 16, v90
	v_lshrrev_b32_e32 v110, 16, v94
	v_cndmask_b32_e64 v93, v99, v105, s6
	v_cndmask_b32_e64 v99, v104, v109, s6
	;; [unrolled: 1-line block ×9, first 2 shown]
	v_lshrrev_b32_e32 v114, 16, v98
	v_cndmask_b32_e64 v89, v89, v113, s6
	v_cndmask_b32_e64 v93, v93, v90, s7
	;; [unrolled: 1-line block ×19, first 2 shown]
	v_perm_b32 v90, v88, v87, 0x5040100
	v_cndmask_b32_e64 v87, v126, v100, s12
	v_cndmask_b32_e64 v105, v89, v114, s8
	v_perm_b32 v89, v103, v99, 0x5040100
	v_perm_b32 v88, v104, v94, 0x5040100
	v_cndmask_b32_e64 v94, v107, v112, s17
	v_cndmask_b32_e64 v95, v95, v112, s18
	;; [unrolled: 1-line block ×5, first 2 shown]
	v_lshrrev_b32_e32 v117, 16, v101
	v_cndmask_b32_e64 v94, v94, v97, s21
	v_cndmask_b32_e64 v95, v95, v97, s22
	;; [unrolled: 1-line block ×11, first 2 shown]
	v_lshrrev_b32_e32 v118, 16, v102
	v_cndmask_b32_e64 v91, v91, v102, s7
	v_cndmask_b32_e64 v94, v94, v98, s26
	;; [unrolled: 1-line block ×12, first 2 shown]
	v_perm_b32 v87, v93, v92, 0x5040100
	v_perm_b32 v94, v95, v94, 0x5040100
	;; [unrolled: 1-line block ×5, first 2 shown]
	s_mul_i32 s7, s33, 14
	s_mov_b32 s3, exec_lo
	ds_store_b128 v79, v[87:90]
	ds_store_b128 v79, v[91:94] offset:1024
	v_cmpx_gt_u32_e32 14, v0
	s_cbranch_execz .LBB127_16
; %bb.15:
	s_mul_i32 s4, s7, s34
	s_load_b128 s[8:11], s[0:1], 0x58
	v_add3_u32 v77, s4, s31, v77
	s_delay_alu instid0(VALU_DEP_1) | instskip(NEXT) | instid1(VALU_DEP_1)
	v_mad_u64_u32 v[87:88], null, v77, s35, s[14:15]
	v_ashrrev_i32_e32 v88, 31, v87
	s_delay_alu instid0(VALU_DEP_1) | instskip(SKIP_1) | instid1(VALU_DEP_1)
	v_lshlrev_b64 v[87:88], 2, v[87:88]
	s_waitcnt lgkmcnt(0)
	v_add_co_u32 v89, vcc_lo, s10, v87
	s_delay_alu instid0(VALU_DEP_2)
	v_add_co_ci_u32_e32 v90, vcc_lo, s11, v88, vcc_lo
	v_add_co_u32 v87, vcc_lo, s8, v87
	v_add_co_ci_u32_e32 v88, vcc_lo, s9, v88, vcc_lo
	global_store_b32 v[89:90], v85, off
	global_store_b32 v[87:88], v86, off
.LBB127_16:
	s_or_b32 exec_lo, exec_lo, s3
	s_waitcnt lgkmcnt(0)
	s_waitcnt_vscnt null, 0x0
	s_barrier
	buffer_gl0_inv
	ds_load_b128 v[93:96], v78
	ds_load_b128 v[97:100], v78 offset:16
	ds_load_b128 v[105:108], v78 offset:1040
	;; [unrolled: 1-line block ×5, first 2 shown]
	v_cmp_eq_u32_e32 vcc_lo, 1, v84
	v_mov_b32_e32 v85, 0
	ds_load_b128 v[121:124], v78 offset:3088
	ds_load_b128 v[117:120], v78 offset:3072
	;; [unrolled: 1-line block ×4, first 2 shown]
	v_cmp_eq_u32_e64 s3, 1, v80
	v_cmp_eq_u32_e64 s4, 1, v83
	;; [unrolled: 1-line block ×3, first 2 shown]
	v_mov_b32_e32 v86, v85
	v_mov_b32_e32 v87, v85
	;; [unrolled: 1-line block ×7, first 2 shown]
	v_cmp_eq_u32_e64 s6, 2, v80
	s_waitcnt lgkmcnt(8)
	s_delay_alu instid0(VALU_DEP_2)
	v_wmma_f32_16x16x16_f16 v[85:92], v[65:72], v[93:100], v[85:92]
	ds_load_b128 v[69:72], v78 offset:5136
	ds_load_b128 v[65:68], v78 offset:5120
	;; [unrolled: 1-line block ×4, first 2 shown]
	s_waitcnt lgkmcnt(10)
	v_wmma_f32_16x16x16_f16 v[85:92], v[57:64], v[101:108], v[85:92]
	s_waitcnt lgkmcnt(8)
	s_delay_alu instid0(VALU_DEP_1)
	v_wmma_f32_16x16x16_f16 v[85:92], v[57:64], v[109:116], v[85:92]
	ds_load_b128 v[61:64], v78 offset:7184
	ds_load_b128 v[57:60], v78 offset:7168
	ds_load_b128 v[105:108], v78 offset:8208
	ds_load_b128 v[101:104], v78 offset:8192
	s_waitcnt lgkmcnt(10)
	v_wmma_f32_16x16x16_f16 v[85:92], v[49:56], v[117:124], v[85:92]
	s_waitcnt lgkmcnt(8)
	s_delay_alu instid0(VALU_DEP_1)
	v_wmma_f32_16x16x16_f16 v[85:92], v[49:56], v[125:132], v[85:92]
	ds_load_b128 v[53:56], v78 offset:9232
	ds_load_b128 v[49:52], v78 offset:9216
	s_waitcnt lgkmcnt(8)
	v_wmma_f32_16x16x16_f16 v[85:92], v[41:48], v[65:72], v[85:92]
	ds_load_b128 v[69:72], v78 offset:10256
	ds_load_b128 v[65:68], v78 offset:10240
	s_waitcnt lgkmcnt(8)
	;; [unrolled: 4-line block ×7, first 2 shown]
	s_barrier
	buffer_gl0_inv
	v_wmma_f32_16x16x16_f16 v[85:92], v[33:40], v[41:48], v[85:92]
	s_delay_alu instid0(VALU_DEP_1) | instskip(NEXT) | instid1(VALU_DEP_1)
	v_wmma_f32_16x16x16_f16 v[85:92], v[33:40], v[57:64], v[85:92]
	v_wmma_f32_16x16x16_f16 v[85:92], v[25:32], v[9:16], v[85:92]
	s_delay_alu instid0(VALU_DEP_1) | instskip(NEXT) | instid1(VALU_DEP_1)
	v_wmma_f32_16x16x16_f16 v[85:92], v[25:32], v[49:56], v[85:92]
	v_wmma_f32_16x16x16_f16 v[85:92], v[17:24], v[1:8], v[85:92]
	s_delay_alu instid0(VALU_DEP_1) | instskip(NEXT) | instid1(VALU_DEP_2)
	v_cvt_f16_f32_e32 v1, v85
	v_cvt_f16_f32_e32 v2, v86
	s_delay_alu instid0(VALU_DEP_3) | instskip(NEXT) | instid1(VALU_DEP_4)
	v_cvt_f16_f32_e32 v3, v87
	v_cvt_f16_f32_e32 v4, v88
	;; [unrolled: 1-line block ×6, first 2 shown]
	v_pack_b32_f16 v1, v1, v2
	v_pack_b32_f16 v2, v3, v4
	;; [unrolled: 1-line block ×3, first 2 shown]
	s_delay_alu instid0(VALU_DEP_4)
	v_pack_b32_f16 v4, v7, v8
	ds_store_b128 v79, v[1:4]
	s_waitcnt lgkmcnt(0)
	s_barrier
	buffer_gl0_inv
	ds_load_b128 v[1:4], v81
	ds_load_b128 v[5:8], v81 offset:16
	s_waitcnt lgkmcnt(1)
	v_lshrrev_b32_e32 v9, 16, v1
	s_waitcnt lgkmcnt(0)
	v_lshrrev_b32_e32 v13, 16, v5
	v_lshrrev_b32_e32 v15, 16, v7
	;; [unrolled: 1-line block ×4, first 2 shown]
	v_cndmask_b32_e64 v17, v1, v9, s3
	v_cndmask_b32_e64 v18, v5, v13, s3
	v_cndmask_b32_e64 v19, v1, v9, s5
	v_cmp_eq_u32_e64 s3, 2, v82
	v_cndmask_b32_e64 v20, v5, v13, s5
	v_cndmask_b32_e32 v21, v1, v9, vcc_lo
	v_cndmask_b32_e32 v22, v5, v13, vcc_lo
	v_cndmask_b32_e64 v1, v1, v9, s4
	v_cndmask_b32_e64 v5, v5, v13, s4
	v_cmp_eq_u32_e32 vcc_lo, 2, v84
	v_cmp_eq_u32_e64 s4, 2, v83
	v_cndmask_b32_e64 v9, v17, v2, s6
	v_cndmask_b32_e64 v13, v18, v6, s6
	;; [unrolled: 1-line block ×4, first 2 shown]
	v_cndmask_b32_e32 v19, v21, v2, vcc_lo
	v_cmp_eq_u32_e64 s3, 3, v84
	v_cndmask_b32_e32 v20, v22, v6, vcc_lo
	v_cndmask_b32_e64 v1, v1, v2, s4
	v_cmp_eq_u32_e32 vcc_lo, 3, v83
	v_cmp_eq_u32_e64 s5, 3, v80
	v_cndmask_b32_e64 v2, v5, v6, s4
	v_cmp_eq_u32_e64 s4, 3, v82
	v_lshrrev_b32_e32 v16, 16, v8
	v_cmp_eq_u32_e64 s6, 4, v80
	v_cndmask_b32_e64 v5, v9, v10, s5
	v_cndmask_b32_e64 v6, v13, v14, s5
	;; [unrolled: 1-line block ×3, first 2 shown]
	v_cmp_eq_u32_e64 s5, 4, v82
	v_cndmask_b32_e64 v13, v18, v14, s4
	v_cndmask_b32_e64 v17, v19, v10, s3
	;; [unrolled: 1-line block ×3, first 2 shown]
	v_cndmask_b32_e32 v1, v1, v10, vcc_lo
	v_cndmask_b32_e32 v2, v2, v14, vcc_lo
	v_cmp_eq_u32_e32 vcc_lo, 4, v84
	v_cmp_eq_u32_e64 s4, 4, v83
	v_lshrrev_b32_e32 v11, 16, v3
	v_cndmask_b32_e64 v5, v5, v3, s6
	v_cndmask_b32_e64 v6, v6, v7, s6
	;; [unrolled: 1-line block ×4, first 2 shown]
	v_cndmask_b32_e32 v13, v17, v3, vcc_lo
	v_cmp_eq_u32_e64 s3, 5, v84
	v_cndmask_b32_e32 v14, v18, v7, vcc_lo
	v_cndmask_b32_e64 v1, v1, v3, s4
	v_cmp_eq_u32_e32 vcc_lo, 5, v83
	v_cmp_eq_u32_e64 s5, 5, v80
	v_cndmask_b32_e64 v2, v2, v7, s4
	v_cmp_eq_u32_e64 s4, 5, v82
	v_cmp_eq_u32_e64 s6, 6, v80
	v_cndmask_b32_e32 v1, v1, v11, vcc_lo
	v_cndmask_b32_e64 v3, v5, v11, s5
	v_cndmask_b32_e64 v5, v6, v15, s5
	;; [unrolled: 1-line block ×3, first 2 shown]
	v_cmp_eq_u32_e64 s5, 6, v82
	v_cndmask_b32_e64 v7, v10, v15, s4
	v_cndmask_b32_e64 v9, v13, v11, s3
	;; [unrolled: 1-line block ×3, first 2 shown]
	v_cndmask_b32_e32 v2, v2, v15, vcc_lo
	v_cmp_eq_u32_e32 vcc_lo, 6, v84
	v_cmp_eq_u32_e64 s3, 6, v83
	v_lshrrev_b32_e32 v12, 16, v4
	v_cndmask_b32_e64 v3, v3, v4, s6
	v_cndmask_b32_e64 v5, v5, v8, s6
	;; [unrolled: 1-line block ×4, first 2 shown]
	v_cndmask_b32_e32 v9, v9, v4, vcc_lo
	v_cmp_eq_u32_e64 s4, 7, v84
	v_cndmask_b32_e32 v10, v10, v8, vcc_lo
	v_cndmask_b32_e64 v1, v1, v4, s3
	v_cmp_eq_u32_e32 vcc_lo, 7, v83
	v_cndmask_b32_e64 v2, v2, v8, s3
	v_cmp_eq_u32_e64 s3, 7, v80
	v_cmp_eq_u32_e64 s5, 7, v82
	v_cndmask_b32_e32 v1, v1, v12, vcc_lo
	s_delay_alu instid0(VALU_DEP_4) | instskip(NEXT) | instid1(VALU_DEP_4)
	v_cndmask_b32_e32 v2, v2, v16, vcc_lo
	v_cndmask_b32_e64 v8, v3, v12, s3
	s_delay_alu instid0(VALU_DEP_4)
	v_cndmask_b32_e64 v6, v6, v12, s5
	v_cndmask_b32_e64 v3, v9, v12, s4
	;; [unrolled: 1-line block ×5, first 2 shown]
	v_cmp_gt_u32_e32 vcc_lo, 32, v0
	v_perm_b32 v4, v2, v1, 0x5040100
	v_perm_b32 v3, v9, v3, 0x5040100
	;; [unrolled: 1-line block ×4, first 2 shown]
	s_and_b32 s2, vcc_lo, s2
	ds_store_b128 v79, v[1:4]
	s_waitcnt lgkmcnt(0)
	s_barrier
	buffer_gl0_inv
	s_and_saveexec_b32 s3, s2
	s_cbranch_execz .LBB127_2
; %bb.17:
	s_load_b64 s[0:1], s[0:1], 0x68
	v_lshlrev_b32_e32 v0, 10, v0
	s_lshl_b32 s4, s35, 6
	v_or_b32_e32 v3, s31, v75
	s_mul_i32 s2, s4, s34
	v_lshlrev_b32_e32 v1, 4, v76
	v_lshlrev_b32_e32 v2, 6, v75
	v_and_b32_e32 v0, 0x3800, v0
	s_mul_i32 s2, s2, s7
	v_mul_lo_u32 v8, v3, s4
	s_ashr_i32 s3, s2, 31
	s_delay_alu instid0(SALU_CYCLE_1)
	s_lshl_b64 s[2:3], s[2:3], 1
	v_or3_b32 v16, v0, v1, v2
	ds_load_b128 v[0:3], v16
	ds_load_b128 v[4:7], v16 offset:128
	v_ashrrev_i32_e32 v9, 31, v8
	s_waitcnt lgkmcnt(0)
	s_add_u32 s2, s0, s2
	s_addc_u32 s3, s1, s3
	s_lshl_b32 s0, s14, 6
	s_delay_alu instid0(SALU_CYCLE_1) | instskip(SKIP_2) | instid1(SALU_CYCLE_1)
	s_ashr_i32 s1, s0, 31
	v_lshlrev_b64 v[9:10], 1, v[8:9]
	s_lshl_b64 s[0:1], s[0:1], 1
	s_add_u32 s0, s2, s0
	s_addc_u32 s1, s3, s1
	s_lshl_b32 s2, s35, 7
	v_add_co_u32 v30, vcc_lo, s0, v73
	v_add_nc_u32_e32 v11, s2, v8
	v_add_co_ci_u32_e32 v31, vcc_lo, s1, v74, vcc_lo
	s_delay_alu instid0(VALU_DEP_3) | instskip(NEXT) | instid1(VALU_DEP_3)
	v_add_co_u32 v9, vcc_lo, v30, v9
	v_add_nc_u32_e32 v8, s2, v11
	s_delay_alu instid0(VALU_DEP_3) | instskip(SKIP_1) | instid1(VALU_DEP_3)
	v_add_co_ci_u32_e32 v10, vcc_lo, v31, v10, vcc_lo
	v_ashrrev_i32_e32 v12, 31, v11
	v_add_nc_u32_e32 v13, s2, v8
	global_store_b128 v[9:10], v[0:3], off
	v_ashrrev_i32_e32 v9, 31, v8
	v_lshlrev_b64 v[11:12], 1, v[11:12]
	v_ashrrev_i32_e32 v14, 31, v13
	v_add_nc_u32_e32 v10, s2, v13
	s_delay_alu instid0(VALU_DEP_4) | instskip(NEXT) | instid1(VALU_DEP_4)
	v_lshlrev_b64 v[2:3], 1, v[8:9]
	v_add_co_u32 v0, vcc_lo, v30, v11
	s_delay_alu instid0(VALU_DEP_4)
	v_lshlrev_b64 v[8:9], 1, v[13:14]
	v_add_co_ci_u32_e32 v1, vcc_lo, v31, v12, vcc_lo
	v_ashrrev_i32_e32 v11, 31, v10
	v_add_co_u32 v22, vcc_lo, v30, v2
	v_add_nc_u32_e32 v20, s2, v10
	v_add_co_ci_u32_e32 v23, vcc_lo, v31, v3, vcc_lo
	v_add_co_u32 v24, vcc_lo, v30, v8
	global_store_b128 v[0:1], v[4:7], off
	v_add_co_ci_u32_e32 v25, vcc_lo, v31, v9, vcc_lo
	ds_load_b128 v[0:3], v16 offset:256
	ds_load_b128 v[4:7], v16 offset:384
	v_lshlrev_b64 v[26:27], 1, v[10:11]
	ds_load_b128 v[8:11], v16 offset:512
	ds_load_b128 v[12:15], v16 offset:640
	;; [unrolled: 1-line block ×3, first 2 shown]
	v_add_nc_u32_e32 v28, s2, v20
	v_ashrrev_i32_e32 v21, 31, v20
	v_add_co_u32 v26, vcc_lo, v30, v26
	s_delay_alu instid0(VALU_DEP_3) | instskip(NEXT) | instid1(VALU_DEP_3)
	v_ashrrev_i32_e32 v29, 31, v28
	v_lshlrev_b64 v[20:21], 1, v[20:21]
	v_add_co_ci_u32_e32 v27, vcc_lo, v31, v27, vcc_lo
	s_delay_alu instid0(VALU_DEP_3) | instskip(NEXT) | instid1(VALU_DEP_3)
	v_lshlrev_b64 v[28:29], 1, v[28:29]
	v_add_co_u32 v20, vcc_lo, v30, v20
	s_delay_alu instid0(VALU_DEP_4) | instskip(NEXT) | instid1(VALU_DEP_3)
	v_add_co_ci_u32_e32 v21, vcc_lo, v31, v21, vcc_lo
	v_add_co_u32 v28, vcc_lo, v30, v28
	s_delay_alu instid0(VALU_DEP_4)
	v_add_co_ci_u32_e32 v29, vcc_lo, v31, v29, vcc_lo
	s_waitcnt lgkmcnt(4)
	global_store_b128 v[22:23], v[0:3], off
	s_waitcnt lgkmcnt(3)
	global_store_b128 v[24:25], v[4:7], off
	s_waitcnt lgkmcnt(2)
	global_store_b128 v[26:27], v[8:11], off
	s_waitcnt lgkmcnt(1)
	global_store_b128 v[20:21], v[12:15], off
	s_waitcnt lgkmcnt(0)
	global_store_b128 v[28:29], v[16:19], off
	s_nop 0
	s_sendmsg sendmsg(MSG_DEALLOC_VGPRS)
	s_endpgm
	.section	.rodata,"a",@progbits
	.p2align	6, 0x0
	.amdhsa_kernel _Z39paged_attention_ll4mi_QKV_mfma16_kernelIDF16_DF16_LN4vllm18Fp8KVCacheDataTypeE0EhLi32ELi64ELi256ELb1ELi14EL8MFMAType0EEvPKT_PKT0_S8_ifPKiSA_SA_iPKfiiiPfSD_PS3_PT2_iSC_SC_
		.amdhsa_group_segment_fixed_size 17472
		.amdhsa_private_segment_fixed_size 0
		.amdhsa_kernarg_size 400
		.amdhsa_user_sgpr_count 13
		.amdhsa_user_sgpr_dispatch_ptr 0
		.amdhsa_user_sgpr_queue_ptr 0
		.amdhsa_user_sgpr_kernarg_segment_ptr 1
		.amdhsa_user_sgpr_dispatch_id 0
		.amdhsa_user_sgpr_private_segment_size 0
		.amdhsa_wavefront_size32 1
		.amdhsa_uses_dynamic_stack 0
		.amdhsa_enable_private_segment 0
		.amdhsa_system_sgpr_workgroup_id_x 1
		.amdhsa_system_sgpr_workgroup_id_y 1
		.amdhsa_system_sgpr_workgroup_id_z 1
		.amdhsa_system_sgpr_workgroup_info 0
		.amdhsa_system_vgpr_workitem_id 0
		.amdhsa_next_free_vgpr 154
		.amdhsa_next_free_sgpr 39
		.amdhsa_reserve_vcc 1
		.amdhsa_float_round_mode_32 0
		.amdhsa_float_round_mode_16_64 0
		.amdhsa_float_denorm_mode_32 3
		.amdhsa_float_denorm_mode_16_64 3
		.amdhsa_dx10_clamp 1
		.amdhsa_ieee_mode 1
		.amdhsa_fp16_overflow 0
		.amdhsa_workgroup_processor_mode 1
		.amdhsa_memory_ordered 1
		.amdhsa_forward_progress 0
		.amdhsa_shared_vgpr_count 0
		.amdhsa_exception_fp_ieee_invalid_op 0
		.amdhsa_exception_fp_denorm_src 0
		.amdhsa_exception_fp_ieee_div_zero 0
		.amdhsa_exception_fp_ieee_overflow 0
		.amdhsa_exception_fp_ieee_underflow 0
		.amdhsa_exception_fp_ieee_inexact 0
		.amdhsa_exception_int_div_zero 0
	.end_amdhsa_kernel
	.section	.text._Z39paged_attention_ll4mi_QKV_mfma16_kernelIDF16_DF16_LN4vllm18Fp8KVCacheDataTypeE0EhLi32ELi64ELi256ELb1ELi14EL8MFMAType0EEvPKT_PKT0_S8_ifPKiSA_SA_iPKfiiiPfSD_PS3_PT2_iSC_SC_,"axG",@progbits,_Z39paged_attention_ll4mi_QKV_mfma16_kernelIDF16_DF16_LN4vllm18Fp8KVCacheDataTypeE0EhLi32ELi64ELi256ELb1ELi14EL8MFMAType0EEvPKT_PKT0_S8_ifPKiSA_SA_iPKfiiiPfSD_PS3_PT2_iSC_SC_,comdat
.Lfunc_end127:
	.size	_Z39paged_attention_ll4mi_QKV_mfma16_kernelIDF16_DF16_LN4vllm18Fp8KVCacheDataTypeE0EhLi32ELi64ELi256ELb1ELi14EL8MFMAType0EEvPKT_PKT0_S8_ifPKiSA_SA_iPKfiiiPfSD_PS3_PT2_iSC_SC_, .Lfunc_end127-_Z39paged_attention_ll4mi_QKV_mfma16_kernelIDF16_DF16_LN4vllm18Fp8KVCacheDataTypeE0EhLi32ELi64ELi256ELb1ELi14EL8MFMAType0EEvPKT_PKT0_S8_ifPKiSA_SA_iPKfiiiPfSD_PS3_PT2_iSC_SC_
                                        ; -- End function
	.section	.AMDGPU.csdata,"",@progbits
; Kernel info:
; codeLenInByte = 7364
; NumSgprs: 41
; NumVgprs: 154
; ScratchSize: 0
; MemoryBound: 0
; FloatMode: 240
; IeeeMode: 1
; LDSByteSize: 17472 bytes/workgroup (compile time only)
; SGPRBlocks: 5
; VGPRBlocks: 19
; NumSGPRsForWavesPerEU: 41
; NumVGPRsForWavesPerEU: 154
; Occupancy: 9
; WaveLimiterHint : 1
; COMPUTE_PGM_RSRC2:SCRATCH_EN: 0
; COMPUTE_PGM_RSRC2:USER_SGPR: 13
; COMPUTE_PGM_RSRC2:TRAP_HANDLER: 0
; COMPUTE_PGM_RSRC2:TGID_X_EN: 1
; COMPUTE_PGM_RSRC2:TGID_Y_EN: 1
; COMPUTE_PGM_RSRC2:TGID_Z_EN: 1
; COMPUTE_PGM_RSRC2:TIDIG_COMP_CNT: 0
	.section	.text._Z39paged_attention_ll4mi_QKV_mfma16_kernelIDF16_DF16_LN4vllm18Fp8KVCacheDataTypeE0EhLi32ELi64ELi256ELb1ELi15EL8MFMAType0EEvPKT_PKT0_S8_ifPKiSA_SA_iPKfiiiPfSD_PS3_PT2_iSC_SC_,"axG",@progbits,_Z39paged_attention_ll4mi_QKV_mfma16_kernelIDF16_DF16_LN4vllm18Fp8KVCacheDataTypeE0EhLi32ELi64ELi256ELb1ELi15EL8MFMAType0EEvPKT_PKT0_S8_ifPKiSA_SA_iPKfiiiPfSD_PS3_PT2_iSC_SC_,comdat
	.protected	_Z39paged_attention_ll4mi_QKV_mfma16_kernelIDF16_DF16_LN4vllm18Fp8KVCacheDataTypeE0EhLi32ELi64ELi256ELb1ELi15EL8MFMAType0EEvPKT_PKT0_S8_ifPKiSA_SA_iPKfiiiPfSD_PS3_PT2_iSC_SC_ ; -- Begin function _Z39paged_attention_ll4mi_QKV_mfma16_kernelIDF16_DF16_LN4vllm18Fp8KVCacheDataTypeE0EhLi32ELi64ELi256ELb1ELi15EL8MFMAType0EEvPKT_PKT0_S8_ifPKiSA_SA_iPKfiiiPfSD_PS3_PT2_iSC_SC_
	.globl	_Z39paged_attention_ll4mi_QKV_mfma16_kernelIDF16_DF16_LN4vllm18Fp8KVCacheDataTypeE0EhLi32ELi64ELi256ELb1ELi15EL8MFMAType0EEvPKT_PKT0_S8_ifPKiSA_SA_iPKfiiiPfSD_PS3_PT2_iSC_SC_
	.p2align	8
	.type	_Z39paged_attention_ll4mi_QKV_mfma16_kernelIDF16_DF16_LN4vllm18Fp8KVCacheDataTypeE0EhLi32ELi64ELi256ELb1ELi15EL8MFMAType0EEvPKT_PKT0_S8_ifPKiSA_SA_iPKfiiiPfSD_PS3_PT2_iSC_SC_,@function
_Z39paged_attention_ll4mi_QKV_mfma16_kernelIDF16_DF16_LN4vllm18Fp8KVCacheDataTypeE0EhLi32ELi64ELi256ELb1ELi15EL8MFMAType0EEvPKT_PKT0_S8_ifPKiSA_SA_iPKfiiiPfSD_PS3_PT2_iSC_SC_: ; @_Z39paged_attention_ll4mi_QKV_mfma16_kernelIDF16_DF16_LN4vllm18Fp8KVCacheDataTypeE0EhLi32ELi64ELi256ELb1ELi15EL8MFMAType0EEvPKT_PKT0_S8_ifPKiSA_SA_iPKfiiiPfSD_PS3_PT2_iSC_SC_
; %bb.0:
	s_load_b64 s[2:3], s[0:1], 0x30
	s_mov_b32 s34, s13
	s_waitcnt lgkmcnt(0)
	s_cmp_lg_u64 s[2:3], 0
	s_cselect_b32 s6, -1, 0
	s_ashr_i32 s35, s13, 31
	s_cmp_eq_u64 s[2:3], 0
	s_cbranch_scc1 .LBB128_3
; %bb.1:
	s_lshl_b64 s[4:5], s[34:35], 2
	s_delay_alu instid0(SALU_CYCLE_1) | instskip(SKIP_4) | instid1(SALU_CYCLE_1)
	s_add_u32 s4, s2, s4
	s_addc_u32 s5, s3, s5
	s_load_b64 s[4:5], s[4:5], 0x0
	s_waitcnt lgkmcnt(0)
	s_sub_i32 s4, s5, s4
	s_cmp_eq_u32 s4, 1
	s_cselect_b32 s4, -1, 0
	s_delay_alu instid0(SALU_CYCLE_1)
	s_and_not1_b32 vcc_lo, exec_lo, s4
	s_cbranch_vccz .LBB128_4
.LBB128_2:
	s_nop 0
	s_sendmsg sendmsg(MSG_DEALLOC_VGPRS)
	s_endpgm
.LBB128_3:
.LBB128_4:
	s_load_b64 s[8:9], s[0:1], 0x28
	s_lshl_b64 s[4:5], s[34:35], 2
	s_waitcnt lgkmcnt(0)
	s_add_u32 s8, s8, s4
	s_addc_u32 s9, s9, s5
	s_lshl_b32 s16, s14, 8
	s_load_b32 s18, s[8:9], 0x0
	s_waitcnt lgkmcnt(0)
	s_cmp_ge_i32 s16, s18
	s_cbranch_scc1 .LBB128_2
; %bb.5:
	s_and_not1_b32 vcc_lo, exec_lo, s6
	s_cbranch_vccnz .LBB128_7
; %bb.6:
	s_add_u32 s2, s2, s4
	s_addc_u32 s3, s3, s5
	s_load_b32 s17, s[2:3], 0x0
	s_branch .LBB128_8
.LBB128_7:
	s_mov_b32 s17, s34
.LBB128_8:
	s_clause 0x2
	s_load_b128 s[8:11], s[0:1], 0x8
	s_load_b64 s[12:13], s[0:1], 0x20
	s_load_b128 s[4:7], s[0:1], 0x48
	v_lshrrev_b32_e32 v78, 5, v0
	v_bfe_u32 v75, v0, 4, 1
	v_and_b32_e32 v77, 15, v0
	s_delay_alu instid0(VALU_DEP_2) | instskip(NEXT) | instid1(VALU_DEP_2)
	v_lshl_or_b32 v3, v78, 1, v75
	v_cmp_lt_u32_e64 s3, 7, v77
	v_lshlrev_b32_e32 v1, 3, v77
	v_cmp_gt_u32_e64 s2, 8, v77
	s_delay_alu instid0(VALU_DEP_4) | instskip(NEXT) | instid1(VALU_DEP_4)
	v_cmp_lt_u32_e32 vcc_lo, 14, v3
	s_or_b32 s3, s3, vcc_lo
	s_waitcnt lgkmcnt(0)
	s_and_saveexec_b32 s7, s3
	s_delay_alu instid0(SALU_CYCLE_1)
	s_xor_b32 s3, exec_lo, s7
; %bb.9:
	v_mov_b32_e32 v2, 0
                                        ; implicit-def: $vgpr3
; %bb.10:
	s_or_saveexec_b32 s3, s3
	v_and_b32_e32 v80, 31, v0
	v_and_b32_e32 v76, 1, v0
	s_mul_i32 s33, s15, 15
	s_xor_b32 exec_lo, exec_lo, s3
	s_cbranch_execz .LBB128_12
; %bb.11:
	s_load_b64 s[20:21], s[0:1], 0x0
	v_add_lshl_u32 v4, v3, s33, 6
	s_mul_hi_i32 s23, s17, s4
	s_mul_i32 s22, s17, s4
	v_lshlrev_b32_e32 v2, 1, v1
	s_lshl_b64 s[22:23], s[22:23], 1
	v_ashrrev_i32_e32 v5, 31, v4
	v_lshlrev_b32_e32 v3, 6, v3
	v_lshlrev_b32_e32 v8, 10, v76
	s_delay_alu instid0(VALU_DEP_3) | instskip(SKIP_3) | instid1(VALU_DEP_1)
	v_lshlrev_b64 v[4:5], 1, v[4:5]
	s_waitcnt lgkmcnt(0)
	s_add_u32 s4, s20, s22
	s_addc_u32 s7, s21, s23
	v_add_co_u32 v4, vcc_lo, s4, v4
	s_delay_alu instid0(VALU_DEP_2) | instskip(NEXT) | instid1(VALU_DEP_2)
	v_add_co_ci_u32_e32 v5, vcc_lo, s7, v5, vcc_lo
	v_add_co_u32 v4, vcc_lo, v4, v2
	s_delay_alu instid0(VALU_DEP_2) | instskip(SKIP_3) | instid1(VALU_DEP_1)
	v_add_co_ci_u32_e32 v5, vcc_lo, 0, v5, vcc_lo
	v_lshlrev_b32_e32 v2, 10, v77
	global_load_b128 v[4:7], v[4:5], off
	v_and_b32_e32 v2, 0x3800, v2
	v_or3_b32 v3, v2, v8, v3
	v_mov_b32_e32 v2, 0
	s_waitcnt vmcnt(0)
	ds_store_b128 v3, v[4:7]
.LBB128_12:
	s_or_b32 exec_lo, exec_lo, s3
	v_and_b32_e32 v3, 0xef, v0
	s_add_i32 s3, s18, 31
	s_clause 0x1
	s_load_b32 s4, s[0:1], 0x38
	s_load_b32 s35, s[0:1], 0x98
	s_ashr_i32 s7, s3, 31
	v_add_nc_u32_e32 v3, s16, v3
	s_lshr_b32 s7, s7, 27
	s_load_b32 s19, s[0:1], 0x1c
	s_add_i32 s3, s3, s7
	s_waitcnt lgkmcnt(0)
	v_ashrrev_i32_e32 v4, 31, v3
	v_cmp_gt_i32_e32 vcc_lo, s18, v3
	s_ashr_i32 s3, s3, 5
	s_barrier
	s_add_i32 s3, s3, -1
	v_lshrrev_b32_e32 v5, 27, v4
	v_or_b32_e32 v4, 16, v3
	buffer_gl0_inv
	s_mul_i32 s6, s15, s6
	v_lshlrev_b64 v[73:74], 1, v[1:2]
	v_add_nc_u32_e32 v6, v3, v5
	v_add_nc_u32_e32 v5, v4, v5
	s_mul_i32 s20, s34, s4
	s_delay_alu instid0(SALU_CYCLE_1) | instskip(NEXT) | instid1(VALU_DEP_2)
	s_ashr_i32 s21, s20, 31
	v_ashrrev_i32_e32 v6, 5, v6
	s_delay_alu instid0(VALU_DEP_2) | instskip(SKIP_1) | instid1(SALU_CYCLE_1)
	v_ashrrev_i32_e32 v5, 5, v5
	s_lshl_b64 s[20:21], s[20:21], 2
	s_add_u32 s4, s12, s20
	s_delay_alu instid0(VALU_DEP_2) | instskip(SKIP_3) | instid1(SALU_CYCLE_1)
	v_cndmask_b32_e32 v3, s3, v6, vcc_lo
	v_cmp_gt_i32_e32 vcc_lo, s18, v4
	s_addc_u32 s17, s13, s21
	s_ashr_i32 s7, s6, 31
	s_lshl_b64 s[6:7], s[6:7], 1
	v_cndmask_b32_e32 v5, s3, v5, vcc_lo
	v_ashrrev_i32_e32 v4, 31, v3
	s_add_u32 s15, s8, s6
	s_addc_u32 s28, s9, s7
	s_lshl_b32 s8, s14, 3
	v_ashrrev_i32_e32 v6, 31, v5
	v_lshlrev_b64 v[3:4], 2, v[3:4]
	s_ashr_i32 s9, s8, 31
	s_delay_alu instid0(SALU_CYCLE_1) | instskip(NEXT) | instid1(VALU_DEP_2)
	s_lshl_b64 s[8:9], s[8:9], 2
	v_lshlrev_b64 v[5:6], 2, v[5:6]
	s_add_u32 s8, s4, s8
	s_delay_alu instid0(VALU_DEP_2) | instskip(SKIP_1) | instid1(VALU_DEP_3)
	v_add_co_u32 v3, vcc_lo, s4, v3
	v_add_co_ci_u32_e32 v4, vcc_lo, s17, v4, vcc_lo
	v_add_co_u32 v5, vcc_lo, s4, v5
	s_delay_alu instid0(VALU_DEP_4)
	v_add_co_ci_u32_e32 v6, vcc_lo, s17, v6, vcc_lo
	s_addc_u32 s9, s17, s9
	s_clause 0x1
	global_load_b32 v7, v[3:4], off
	global_load_b32 v8, v[5:6], off
	s_or_b32 s12, s16, 32
	s_delay_alu instid0(SALU_CYCLE_1) | instskip(SKIP_2) | instid1(SALU_CYCLE_1)
	s_ashr_i32 s13, s12, 5
	s_cmp_lt_i32 s12, s18
	s_cselect_b32 s12, s13, s3
	s_ashr_i32 s13, s12, 31
	s_delay_alu instid0(SALU_CYCLE_1) | instskip(NEXT) | instid1(SALU_CYCLE_1)
	s_lshl_b64 s[12:13], s[12:13], 2
	s_add_u32 s12, s4, s12
	s_addc_u32 s13, s17, s13
	s_or_b32 s20, s16, 64
	s_delay_alu instid0(SALU_CYCLE_1) | instskip(SKIP_2) | instid1(SALU_CYCLE_1)
	s_ashr_i32 s21, s20, 5
	s_cmp_lt_i32 s20, s18
	s_cselect_b32 s20, s21, s3
	s_ashr_i32 s21, s20, 31
	s_delay_alu instid0(SALU_CYCLE_1) | instskip(NEXT) | instid1(SALU_CYCLE_1)
	s_lshl_b64 s[20:21], s[20:21], 2
	s_add_u32 s20, s4, s20
	s_addc_u32 s21, s17, s21
	;; [unrolled: 10-line block ×5, first 2 shown]
	s_clause 0x5
	s_load_b32 s29, s[8:9], 0x0
	s_load_b32 s30, s[12:13], 0x0
	;; [unrolled: 1-line block ×6, first 2 shown]
	s_mov_b32 s20, 0
	s_or_b32 s8, s16, 0xc0
	s_mov_b32 s21, s20
	s_mov_b32 s22, s20
	;; [unrolled: 1-line block ×7, first 2 shown]
	s_ashr_i32 s9, s8, 5
	v_mov_b32_e32 v128, s27
	s_cmp_lt_i32 s8, s18
	v_mov_b32_e32 v127, s26
	s_cselect_b32 s8, s9, s3
	v_mov_b32_e32 v126, s25
	s_ashr_i32 s9, s8, 31
	v_mov_b32_e32 v125, s24
	s_lshl_b64 s[8:9], s[8:9], 2
	v_mov_b32_e32 v124, s23
	s_add_u32 s8, s4, s8
	s_addc_u32 s9, s17, s9
	v_mov_b32_e32 v123, s22
	v_mov_b32_e32 v121, s20
	s_waitcnt lgkmcnt(0)
	s_mul_hi_i32 s13, s29, s5
	s_mul_i32 s12, s29, s5
	v_mov_b32_e32 v122, s21
	s_mul_hi_i32 s21, s30, s5
	s_mul_i32 s20, s30, s5
	s_mul_hi_i32 s25, s31, s5
	s_mul_i32 s24, s31, s5
	s_mul_hi_i32 s27, s36, s5
	s_mul_i32 s26, s36, s5
	s_mul_hi_i32 s31, s38, s5
	s_mul_i32 s30, s38, s5
	s_waitcnt vmcnt(1)
	v_mad_i64_i32 v[3:4], null, v7, s5, 0
	s_waitcnt vmcnt(0)
	v_mad_i64_i32 v[5:6], null, v8, s5, 0
	s_delay_alu instid0(VALU_DEP_2) | instskip(NEXT) | instid1(VALU_DEP_2)
	v_lshlrev_b64 v[3:4], 1, v[3:4]
	v_lshlrev_b64 v[1:2], 1, v[5:6]
	s_delay_alu instid0(VALU_DEP_2) | instskip(NEXT) | instid1(VALU_DEP_3)
	v_add_co_u32 v3, vcc_lo, s15, v3
	v_add_co_ci_u32_e32 v4, vcc_lo, s28, v4, vcc_lo
	s_delay_alu instid0(VALU_DEP_3) | instskip(NEXT) | instid1(VALU_DEP_4)
	v_add_co_u32 v1, vcc_lo, s15, v1
	v_add_co_ci_u32_e32 v2, vcc_lo, s28, v2, vcc_lo
	s_delay_alu instid0(VALU_DEP_4) | instskip(NEXT) | instid1(VALU_DEP_4)
	v_add_co_u32 v25, vcc_lo, v3, v73
	v_add_co_ci_u32_e32 v26, vcc_lo, v4, v74, vcc_lo
	s_delay_alu instid0(VALU_DEP_4) | instskip(NEXT) | instid1(VALU_DEP_4)
	v_add_co_u32 v27, vcc_lo, v1, v73
	v_add_co_ci_u32_e32 v28, vcc_lo, v2, v74, vcc_lo
	s_clause 0xf
	global_load_b128 v[1:4], v[25:26], off
	global_load_b128 v[5:8], v[25:26], off offset:512
	global_load_b128 v[9:12], v[27:28], off offset:256
	;; [unrolled: 1-line block ×15, first 2 shown]
	v_cmp_ne_u32_e32 vcc_lo, 15, v77
	s_or_b32 s15, s16, 0xe0
	s_delay_alu instid0(SALU_CYCLE_1) | instskip(SKIP_3) | instid1(SALU_CYCLE_1)
	s_ashr_i32 s22, s15, 5
	s_cmp_lt_i32 s15, s18
	v_cndmask_b32_e32 v25, 0, v77, vcc_lo
	s_cselect_b32 s22, s22, s3
	s_ashr_i32 s23, s22, 31
	s_delay_alu instid0(VALU_DEP_1)
	v_lshlrev_b32_e32 v151, 6, v25
	ds_load_b128 v[25:28], v151
	ds_load_b128 v[29:32], v151 offset:1024
	ds_load_b128 v[129:132], v151 offset:2048
	;; [unrolled: 1-line block ×3, first 2 shown]
	s_lshl_b64 s[22:23], s[22:23], 2
	s_delay_alu instid0(SALU_CYCLE_1) | instskip(SKIP_2) | instid1(SALU_CYCLE_1)
	s_add_u32 s22, s4, s22
	s_addc_u32 s23, s17, s23
	s_add_i32 s15, s16, 0x100
	s_ashr_i32 s28, s15, 5
	s_cmp_lt_i32 s15, s18
	s_load_b32 s15, s[8:9], 0x0
	s_cselect_b32 s28, s28, s3
	s_mul_hi_i32 s9, s37, s5
	s_ashr_i32 s29, s28, 31
	s_mul_i32 s8, s37, s5
	s_lshl_b64 s[28:29], s[28:29], 2
	s_delay_alu instid0(SALU_CYCLE_1)
	s_add_u32 s28, s4, s28
	s_addc_u32 s29, s17, s29
	s_add_u32 s3, s10, s6
	s_clause 0x1
	s_load_b32 s4, s[22:23], 0x0
	s_load_b32 s17, s[28:29], 0x0
	s_addc_u32 s28, s11, s7
	s_lshl_b64 s[6:7], s[12:13], 1
	s_lshl_b64 s[10:11], s[20:21], 1
	;; [unrolled: 1-line block ×6, first 2 shown]
	s_waitcnt lgkmcnt(0)
	s_mul_hi_i32 s25, s15, s5
	s_mul_i32 s24, s15, s5
	s_delay_alu instid0(SALU_CYCLE_1)
	s_lshl_b64 s[24:25], s[24:25], 1
	s_waitcnt vmcnt(14)
	v_wmma_f32_16x16x16_f16 v[137:144], v[1:8], v[25:32], v[121:128]
	s_waitcnt vmcnt(12)
	v_wmma_f32_16x16x16_f16 v[121:128], v[9:16], v[25:32], v[121:128]
	s_waitcnt vmcnt(10)
	s_delay_alu instid0(VALU_DEP_2) | instskip(SKIP_1) | instid1(VALU_DEP_2)
	v_wmma_f32_16x16x16_f16 v[137:144], v[17:24], v[129:136], v[137:144]
	s_waitcnt vmcnt(8)
	v_wmma_f32_16x16x16_f16 v[121:128], v[81:88], v[129:136], v[121:128]
	v_mbcnt_lo_u32_b32 v130, -1, 0
	s_delay_alu instid0(VALU_DEP_1) | instskip(SKIP_1) | instid1(VALU_DEP_1)
	v_xor_b32_e32 v131, 16, v130
	v_lshlrev_b32_e32 v79, 6, v77
	v_lshl_or_b32 v33, v78, 10, v79
	s_delay_alu instid0(VALU_DEP_1) | instskip(NEXT) | instid1(VALU_DEP_1)
	v_add_co_u32 v152, s3, s3, v33
	v_add_co_ci_u32_e64 v153, null, s28, 0, s3
	s_delay_alu instid0(VALU_DEP_2) | instskip(NEXT) | instid1(VALU_DEP_2)
	v_add_co_u32 v33, vcc_lo, v152, s6
	v_add_co_ci_u32_e32 v34, vcc_lo, s7, v153, vcc_lo
	v_add_co_u32 v35, vcc_lo, v152, s10
	v_add_co_ci_u32_e32 v36, vcc_lo, s11, v153, vcc_lo
	;; [unrolled: 2-line block ×6, first 2 shown]
	s_mul_hi_i32 s7, s4, s5
	s_mul_i32 s6, s4, s5
	v_add_co_u32 v149, vcc_lo, v152, s24
	s_lshl_b64 s[6:7], s[6:7], 1
	v_add_co_ci_u32_e32 v150, vcc_lo, s25, v153, vcc_lo
	v_add_co_u32 v29, vcc_lo, v152, s6
	v_add_co_ci_u32_e32 v30, vcc_lo, s7, v153, vcc_lo
	s_mul_hi_i32 s7, s17, s5
	s_mul_i32 s6, s17, s5
	s_clause 0x7
	global_load_b128 v[65:68], v[33:34], off
	global_load_b128 v[69:72], v[33:34], off offset:16
	global_load_b128 v[57:60], v[35:36], off
	global_load_b128 v[61:64], v[35:36], off offset:16
	;; [unrolled: 2-line block ×4, first 2 shown]
	s_lshl_b64 s[4:5], s[6:7], 1
	s_clause 0x1
	global_load_b128 v[9:12], v[145:146], off
	global_load_b128 v[13:16], v[145:146], off offset:16
	v_add_co_u32 v21, vcc_lo, v152, s4
	v_add_co_ci_u32_e32 v22, vcc_lo, s5, v153, vcc_lo
	s_clause 0x7
	global_load_b128 v[1:4], v[147:148], off
	global_load_b128 v[5:8], v[147:148], off offset:16
	global_load_b128 v[33:36], v[149:150], off
	global_load_b128 v[37:40], v[149:150], off offset:16
	;; [unrolled: 2-line block ×4, first 2 shown]
	ds_load_b128 v[81:84], v151 offset:4096
	ds_load_b128 v[85:88], v151 offset:5120
	v_cmp_gt_i32_e32 vcc_lo, 32, v131
	v_cndmask_b32_e32 v130, v130, v131, vcc_lo
	s_waitcnt vmcnt(24) lgkmcnt(0)
	v_wmma_f32_16x16x16_f16 v[137:144], v[89:96], v[81:88], v[137:144]
	ds_load_b128 v[89:92], v151 offset:6144
	ds_load_b128 v[93:96], v151 offset:7168
	s_waitcnt vmcnt(22)
	v_wmma_f32_16x16x16_f16 v[121:128], v[97:104], v[81:88], v[121:128]
	s_waitcnt vmcnt(0) lgkmcnt(0)
	s_barrier
	buffer_gl0_inv
	v_wmma_f32_16x16x16_f16 v[137:144], v[105:112], v[89:96], v[137:144]
	v_and_b32_e32 v129, 0xe0, v0
	v_wmma_f32_16x16x16_f16 v[121:128], v[113:120], v[89:96], v[121:128]
	s_delay_alu instid0(VALU_DEP_3) | instskip(NEXT) | instid1(VALU_DEP_2)
	v_mul_f32_e32 v96, s19, v137
	v_dual_mul_f32 v104, s19, v126 :: v_dual_add_nc_u32 v129, s16, v129
	v_mul_f32_e32 v95, s19, v138
	v_dual_mul_f32 v93, s19, v140 :: v_dual_mul_f32 v94, s19, v139
	s_delay_alu instid0(VALU_DEP_3) | instskip(SKIP_3) | instid1(VALU_DEP_4)
	v_or_b32_e32 v129, v129, v75
	v_dual_mul_f32 v91, s19, v142 :: v_dual_mul_f32 v106, s19, v124
	v_dual_mul_f32 v92, s19, v141 :: v_dual_mul_f32 v89, s19, v144
	v_mul_f32_e32 v108, s19, v122
	v_or_b32_e32 v131, 2, v129
	v_or_b32_e32 v132, 4, v129
	;; [unrolled: 1-line block ×3, first 2 shown]
	v_cmp_gt_i32_e32 vcc_lo, s18, v129
	v_or_b32_e32 v82, 8, v129
	v_cmp_gt_i32_e64 s3, s18, v131
	v_or_b32_e32 v83, 10, v129
	v_cmp_gt_i32_e64 s4, s18, v132
	v_cndmask_b32_e32 v96, 0xff7fffff, v96, vcc_lo
	v_cmp_gt_i32_e64 s5, s18, v81
	v_cndmask_b32_e64 v95, 0xff7fffff, v95, s3
	v_or_b32_e32 v84, 12, v129
	v_or_b32_e32 v85, 14, v129
	v_cndmask_b32_e64 v94, 0xff7fffff, v94, s4
	v_cndmask_b32_e64 v81, 0xff7fffff, v93, s5
	v_max3_f32 v93, v96, 0xff7fffff, v95
	v_cmp_gt_i32_e64 s6, s18, v82
	v_cmp_gt_i32_e64 s7, s18, v83
	v_or_b32_e32 v86, 16, v129
	v_or_b32_e32 v87, 18, v129
	v_mul_f32_e32 v90, s19, v143
	v_cndmask_b32_e64 v82, 0xff7fffff, v92, s6
	v_cndmask_b32_e64 v83, 0xff7fffff, v91, s7
	v_max3_f32 v81, v93, v94, v81
	v_cmp_gt_i32_e64 s8, s18, v84
	v_cmp_gt_i32_e64 s9, s18, v85
	v_or_b32_e32 v88, 20, v129
	v_or_b32_e32 v97, 22, v129
	v_mul_f32_e32 v109, s19, v121
	;; [unrolled: 8-line block ×4, first 2 shown]
	v_cndmask_b32_e64 v84, 0xff7fffff, v107, s12
	v_cndmask_b32_e64 v85, 0xff7fffff, v106, s13
	v_max3_f32 v81, v81, v82, v83
	v_cmp_gt_i32_e64 s15, s18, v98
	v_cmp_gt_i32_e64 s16, s18, v99
	v_dual_mul_f32 v102, s19, v128 :: v_dual_mul_f32 v103, s19, v127
	s_delay_alu instid0(VALU_DEP_4) | instskip(NEXT) | instid1(VALU_DEP_4)
	v_max3_f32 v81, v81, v84, v85
	v_cndmask_b32_e64 v82, 0xff7fffff, v105, s15
	s_delay_alu instid0(VALU_DEP_4) | instskip(SKIP_2) | instid1(VALU_DEP_3)
	v_cndmask_b32_e64 v83, 0xff7fffff, v104, s16
	v_cmp_gt_i32_e64 s17, s18, v100
	v_cmp_gt_i32_e64 s18, s18, v101
	v_max3_f32 v81, v81, v82, v83
	s_delay_alu instid0(VALU_DEP_3) | instskip(NEXT) | instid1(VALU_DEP_3)
	v_cndmask_b32_e64 v84, 0xff7fffff, v103, s17
	v_cndmask_b32_e64 v85, 0xff7fffff, v102, s18
	v_lshlrev_b32_e32 v83, 2, v130
	s_delay_alu instid0(VALU_DEP_2) | instskip(SKIP_3) | instid1(VALU_DEP_1)
	v_max3_f32 v81, v81, v84, v85
	ds_bpermute_b32 v82, v83, v81
	s_waitcnt lgkmcnt(0)
	v_max_f32_e32 v82, v82, v82
	v_max_f32_e32 v81, v81, v82
	s_delay_alu instid0(VALU_DEP_1)
	v_fma_f32 v82, s19, v137, -v81
	v_fma_f32 v84, s19, v138, -v81
	;; [unrolled: 1-line block ×5, first 2 shown]
	v_mul_f32_e32 v82, 0x3fb8aa3b, v82
	s_delay_alu instid0(VALU_DEP_4) | instskip(NEXT) | instid1(VALU_DEP_3)
	v_dual_mul_f32 v84, 0x3fb8aa3b, v84 :: v_dual_mul_f32 v89, 0x3fb8aa3b, v87
	v_mul_f32_e32 v86, 0x3fb8aa3b, v86
	s_delay_alu instid0(VALU_DEP_3) | instskip(NEXT) | instid1(VALU_DEP_2)
	v_exp_f32_e32 v82, v82
	v_exp_f32_e32 v84, v84
	s_delay_alu instid0(VALU_DEP_2) | instskip(NEXT) | instid1(VALU_DEP_1)
	v_exp_f32_e32 v92, v89
	v_exp_f32_e32 v86, v86
	v_cndmask_b32_e32 v88, 0, v82, vcc_lo
	s_delay_alu instid0(TRANS32_DEP_3)
	v_cndmask_b32_e64 v87, 0, v84, s3
	s_waitcnt_depctr 0xfff
	v_cndmask_b32_e64 v92, 0, v92, s6
	v_cmp_gt_u32_e64 s3, 16, v80
	v_cndmask_b32_e64 v89, 0, v86, s5
	v_add_f32_e32 v84, 0, v88
	s_delay_alu instid0(VALU_DEP_1) | instskip(NEXT) | instid1(VALU_DEP_1)
	v_dual_add_f32 v84, v84, v87 :: v_dual_mul_f32 v85, 0x3fb8aa3b, v85
	v_exp_f32_e32 v85, v85
	s_waitcnt_depctr 0xfff
	v_cndmask_b32_e64 v90, 0, v85, s4
	s_delay_alu instid0(VALU_DEP_1) | instskip(NEXT) | instid1(VALU_DEP_1)
	v_add_f32_e32 v84, v84, v90
	v_add_f32_e32 v84, v84, v89
	v_fma_f32 v82, s19, v142, -v81
	v_fma_f32 v91, s19, v143, -v81
	;; [unrolled: 1-line block ×5, first 2 shown]
	s_delay_alu instid0(VALU_DEP_4) | instskip(SKIP_1) | instid1(VALU_DEP_4)
	v_dual_mul_f32 v82, 0x3fb8aa3b, v82 :: v_dual_mul_f32 v91, 0x3fb8aa3b, v91
	v_fma_f32 v96, s19, v124, -v81
	v_mul_f32_e32 v86, 0x3fb8aa3b, v86
	v_fma_f32 v99, s19, v127, -v81
	s_delay_alu instid0(VALU_DEP_4) | instskip(SKIP_3) | instid1(VALU_DEP_1)
	v_exp_f32_e32 v82, v82
	v_exp_f32_e32 v93, v91
	v_mul_f32_e32 v97, 0x3fb8aa3b, v96
	v_exp_f32_e32 v86, v86
	v_exp_f32_e32 v97, v97
	v_cndmask_b32_e64 v91, 0, v82, s7
	v_dual_add_f32 v82, v84, v92 :: v_dual_mul_f32 v85, 0x3fb8aa3b, v85
	v_fma_f32 v84, s19, v123, -v81
	v_mul_f32_e32 v95, 0x3fb8aa3b, v94
	s_delay_alu instid0(TRANS32_DEP_3) | instskip(NEXT) | instid1(VALU_DEP_4)
	v_cndmask_b32_e64 v94, 0, v93, s8
	v_add_f32_e32 v82, v82, v91
	v_exp_f32_e32 v85, v85
	v_mul_f32_e32 v84, 0x3fb8aa3b, v84
	v_cndmask_b32_e64 v96, 0, v86, s10
	v_exp_f32_e32 v95, v95
	v_add_f32_e32 v82, v82, v94
	v_fma_f32 v86, s19, v126, -v81
	v_exp_f32_e32 v84, v84
	v_cndmask_b32_e64 v97, 0, v97, s13
	s_delay_alu instid0(TRANS32_DEP_3) | instskip(SKIP_2) | instid1(TRANS32_DEP_2)
	v_cndmask_b32_e64 v93, 0, v85, s9
	v_fma_f32 v85, s19, v125, -v81
	v_mul_f32_e32 v86, 0x3fb8aa3b, v86
	v_cndmask_b32_e64 v95, 0, v95, s11
	s_waitcnt_depctr 0xfff
	v_cndmask_b32_e64 v98, 0, v84, s12
	v_mul_f32_e32 v84, 0x3fb8aa3b, v99
	v_fma_f32 v99, s19, v128, -v81
	v_add_f32_e32 v82, v82, v93
	v_mul_f32_e32 v85, 0x3fb8aa3b, v85
	v_exp_f32_e32 v86, v86
	v_exp_f32_e32 v84, v84
	s_delay_alu instid0(VALU_DEP_1)
	v_exp_f32_e32 v85, v85
	s_waitcnt_depctr 0xfff
	v_cndmask_b32_e64 v102, 0, v84, s17
	v_cndmask_b32_e64 v100, 0, v85, s15
	v_dual_mul_f32 v85, 0x3fb8aa3b, v99 :: v_dual_add_f32 v82, v82, v96
	v_cndmask_b32_e64 v99, 0, v86, s16
	s_delay_alu instid0(VALU_DEP_2) | instskip(NEXT) | instid1(VALU_DEP_2)
	v_exp_f32_e32 v85, v85
	v_add_f32_e32 v82, v82, v95
	s_delay_alu instid0(VALU_DEP_1) | instskip(SKIP_3) | instid1(VALU_DEP_1)
	v_add_f32_e32 v82, v82, v98
	s_waitcnt_depctr 0xfff
	v_cndmask_b32_e64 v101, 0, v85, s18
	v_add_f32_e32 v82, v82, v97
	v_add_f32_e32 v82, v82, v100
	s_delay_alu instid0(VALU_DEP_1) | instskip(NEXT) | instid1(VALU_DEP_1)
	v_add_f32_e32 v82, v82, v99
	v_add_f32_e32 v82, v82, v102
	s_delay_alu instid0(VALU_DEP_1)
	v_add_f32_e32 v82, v82, v101
	ds_bpermute_b32 v83, v83, v82
	s_and_saveexec_b32 s4, s3
	s_cbranch_execz .LBB128_14
; %bb.13:
	v_mul_u32_u24_e32 v80, 0x44, v78
	s_waitcnt lgkmcnt(0)
	v_add_f32_e32 v82, v82, v83
	s_delay_alu instid0(VALU_DEP_2) | instskip(NEXT) | instid1(VALU_DEP_1)
	v_lshl_add_u32 v80, v77, 2, v80
	v_add_nc_u32_e32 v80, 0x4000, v80
	ds_store_2addr_b32 v80, v81, v82 offset1:136
.LBB128_14:
	s_or_b32 exec_lo, exec_lo, s4
	v_lshlrev_b32_e32 v80, 2, v77
	s_load_b32 s36, s[0:1], 0x94
	s_waitcnt lgkmcnt(0)
	s_barrier
	buffer_gl0_inv
	v_add_nc_u32_e32 v84, 0x4000, v80
	v_cmp_eq_u32_e32 vcc_lo, 1, v78
	v_cmp_eq_u32_e64 s4, 2, v78
	v_cmp_eq_u32_e64 s5, 3, v78
	;; [unrolled: 1-line block ×3, first 2 shown]
	ds_load_2addr_b32 v[80:81], v84 offset1:17
	ds_load_2addr_b32 v[82:83], v84 offset0:34 offset1:51
	ds_load_2addr_b32 v[103:104], v84 offset0:68 offset1:85
	;; [unrolled: 1-line block ×3, first 2 shown]
	v_cmp_eq_u32_e64 s7, 7, v78
	s_waitcnt lgkmcnt(3)
	v_max3_f32 v85, v80, 0xff7fffff, v81
	s_waitcnt lgkmcnt(2)
	s_delay_alu instid0(VALU_DEP_1) | instskip(SKIP_1) | instid1(VALU_DEP_1)
	v_max3_f32 v85, v85, v82, v83
	s_waitcnt lgkmcnt(1)
	v_max3_f32 v85, v85, v103, v104
	s_waitcnt lgkmcnt(0)
	s_delay_alu instid0(VALU_DEP_1) | instskip(NEXT) | instid1(VALU_DEP_1)
	v_max3_f32 v85, v85, v105, v106
	v_sub_f32_e32 v103, v103, v85
	ds_load_2addr_b32 v[107:108], v84 offset0:136 offset1:153
	v_sub_f32_e32 v80, v80, v85
	v_dual_sub_f32 v110, v83, v85 :: v_dual_mul_f32 v113, 0x3fb8aa3b, v103
	s_delay_alu instid0(VALU_DEP_2) | instskip(SKIP_3) | instid1(VALU_DEP_1)
	v_dual_sub_f32 v86, v81, v85 :: v_dual_mul_f32 v109, 0x3fb8aa3b, v80
	ds_load_2addr_b32 v[80:81], v84 offset0:170 offset1:187
	v_mul_f32_e32 v86, 0x3fb8aa3b, v86
	v_exp_f32_e32 v109, v109
	v_exp_f32_e32 v112, v86
	v_mul_f32_e32 v110, 0x3fb8aa3b, v110
	s_waitcnt lgkmcnt(1)
	s_waitcnt_depctr 0xfff
	v_fma_f32 v86, v109, v107, 0
	v_sub_f32_e32 v107, v104, v85
	v_sub_f32_e32 v82, v82, v85
	v_exp_f32_e32 v110, v110
	ds_load_2addr_b32 v[103:104], v84 offset0:238 offset1:255
	v_dual_fmac_f32 v86, v112, v108 :: v_dual_mul_f32 v111, 0x3fb8aa3b, v82
	ds_load_2addr_b32 v[82:83], v84 offset0:204 offset1:221
	v_dual_sub_f32 v84, v105, v85 :: v_dual_mul_f32 v105, 0x3fb8aa3b, v107
	v_exp_f32_e32 v107, v113
	v_exp_f32_e32 v111, v111
	s_waitcnt lgkmcnt(0)
	s_delay_alu instid0(VALU_DEP_1)
	v_mul_f32_e32 v84, 0x3fb8aa3b, v84
	v_exp_f32_e32 v105, v105
	s_barrier
	buffer_gl0_inv
	v_fmac_f32_e32 v86, v111, v80
	v_sub_f32_e32 v80, v106, v85
	v_exp_f32_e32 v106, v84
	s_delay_alu instid0(VALU_DEP_2) | instskip(NEXT) | instid1(VALU_DEP_2)
	v_fmac_f32_e32 v86, v110, v81
	v_mul_f32_e32 v80, 0x3fb8aa3b, v80
	s_delay_alu instid0(VALU_DEP_2) | instskip(NEXT) | instid1(VALU_DEP_2)
	v_dual_cndmask_b32 v81, v109, v112 :: v_dual_fmac_f32 v86, v107, v82
	v_exp_f32_e32 v108, v80
	s_delay_alu instid0(VALU_DEP_1) | instskip(SKIP_2) | instid1(VALU_DEP_1)
	v_fmac_f32_e32 v86, v105, v83
	s_waitcnt_depctr 0xfff
	v_fmac_f32_e32 v86, v106, v103
	v_fmac_f32_e32 v86, v108, v104
	s_delay_alu instid0(VALU_DEP_1) | instskip(NEXT) | instid1(VALU_DEP_1)
	v_add_f32_e32 v103, 0x358637bd, v86
	v_div_scale_f32 v104, null, v103, v103, 1.0
	v_div_scale_f32 v109, vcc_lo, 1.0, v103, 1.0
	s_delay_alu instid0(VALU_DEP_2) | instskip(SKIP_2) | instid1(VALU_DEP_1)
	v_rcp_f32_e32 v113, v104
	s_waitcnt_depctr 0xfff
	v_fma_f32 v80, -v104, v113, 1.0
	v_fmac_f32_e32 v113, v80, v113
	v_cndmask_b32_e64 v80, v81, v111, s4
	v_cmp_eq_u32_e64 s4, 4, v78
	v_lshl_or_b32 v81, v78, 11, v79
	s_delay_alu instid0(VALU_DEP_4) | instskip(NEXT) | instid1(VALU_DEP_4)
	v_mul_f32_e32 v111, v109, v113
	v_cndmask_b32_e64 v82, v80, v110, s5
	v_cmp_eq_u32_e64 s5, 6, v78
	s_delay_alu instid0(VALU_DEP_4) | instskip(SKIP_3) | instid1(VALU_DEP_3)
	v_lshl_or_b32 v78, v75, 4, v81
	v_lshlrev_b32_e32 v80, 2, v75
	v_fma_f32 v83, -v104, v111, v109
	v_cndmask_b32_e64 v84, v82, v107, s4
	v_or_b32_e32 v82, 1, v80
	s_delay_alu instid0(VALU_DEP_3) | instskip(NEXT) | instid1(VALU_DEP_3)
	v_fmac_f32_e32 v111, v83, v113
	v_cndmask_b32_e64 v105, v84, v105, s6
	v_or_b32_e32 v84, 2, v80
	v_or_b32_e32 v83, 3, v80
	v_cmp_eq_u32_e64 s4, 1, v80
	v_fma_f32 v104, -v104, v111, v109
	v_cndmask_b32_e64 v105, v105, v106, s5
	v_cmp_eq_u32_e64 s10, 1, v82
	v_cmp_eq_u32_e64 s11, 1, v84
	;; [unrolled: 1-line block ×3, first 2 shown]
	v_div_fmas_f32 v104, v104, v113, v111
	v_cndmask_b32_e64 v105, v105, v108, s7
	v_cmp_eq_u32_e32 vcc_lo, 2, v80
	v_cmp_eq_u32_e64 s13, 2, v82
	v_cmp_eq_u32_e64 s16, 2, v84
	v_div_fixup_f32 v103, v104, v103, 1.0
	v_cmp_eq_u32_e64 s17, 2, v83
	v_cmp_eq_u32_e64 s19, 3, v83
	v_cmp_eq_u32_e64 s5, 3, v80
	v_cmp_eq_u32_e64 s15, 3, v82
	v_mul_f32_e32 v111, v105, v103
	v_cmp_eq_u32_e64 s18, 3, v84
	v_cmp_eq_u32_e64 s23, 4, v83
	;; [unrolled: 1-line block ×4, first 2 shown]
	v_fma_mixlo_f16 v103, v111, v88, 0
	v_fma_mixlo_f16 v104, v111, v90, 0
	;; [unrolled: 1-line block ×8, first 2 shown]
	v_fma_mixhi_f16 v103, v111, v87, 0
	v_fma_mixhi_f16 v104, v111, v89, 0
	;; [unrolled: 1-line block ×8, first 2 shown]
	ds_store_b128 v78, v[103:106]
	ds_store_b128 v78, v[107:110] offset:1024
	s_waitcnt lgkmcnt(0)
	s_barrier
	buffer_gl0_inv
	ds_load_b128 v[87:90], v81
	ds_load_b128 v[91:94], v81 offset:16
	ds_load_b128 v[95:98], v81 offset:1024
	;; [unrolled: 1-line block ×3, first 2 shown]
	v_cmp_eq_u32_e64 s22, 4, v84
	v_cmp_eq_u32_e64 s25, 5, v83
	v_cmp_eq_u32_e64 s7, 5, v80
	v_cmp_eq_u32_e64 s21, 5, v82
	v_cmp_eq_u32_e64 s24, 5, v84
	v_cmp_eq_u32_e64 s28, 6, v83
	v_cmp_eq_u32_e64 s8, 6, v80
	v_cmp_eq_u32_e64 s26, 6, v82
	v_cmp_eq_u32_e64 s27, 6, v84
	v_cmp_eq_u32_e64 s30, 7, v83
	v_cmp_eq_u32_e64 s9, 7, v80
	v_cmp_eq_u32_e64 s29, 7, v84
	v_cmp_eq_u32_e64 s31, 7, v82
	s_waitcnt lgkmcnt(3)
	v_lshrrev_b32_e32 v103, 16, v87
	s_waitcnt lgkmcnt(2)
	v_lshrrev_b32_e32 v107, 16, v91
	;; [unrolled: 2-line block ×4, first 2 shown]
	v_lshrrev_b32_e32 v104, 16, v88
	v_cndmask_b32_e64 v119, v87, v103, s4
	v_cndmask_b32_e64 v120, v91, v107, s4
	;; [unrolled: 1-line block ×8, first 2 shown]
	v_lshrrev_b32_e32 v108, 16, v92
	v_cndmask_b32_e64 v103, v95, v111, s4
	v_cndmask_b32_e64 v107, v99, v115, s4
	;; [unrolled: 1-line block ×5, first 2 shown]
	v_cndmask_b32_e32 v111, v119, v88, vcc_lo
	v_cndmask_b32_e64 v119, v121, v88, s13
	v_cndmask_b32_e64 v121, v123, v88, s16
	;; [unrolled: 1-line block ×4, first 2 shown]
	v_lshrrev_b32_e32 v112, 16, v96
	v_lshrrev_b32_e32 v116, 16, v100
	v_cndmask_b32_e64 v126, v99, v115, s10
	v_cndmask_b32_e64 v128, v99, v115, s11
	;; [unrolled: 1-line block ×3, first 2 shown]
	v_cndmask_b32_e32 v115, v120, v92, vcc_lo
	v_cndmask_b32_e64 v120, v122, v92, s13
	v_cndmask_b32_e64 v122, v124, v92, s16
	v_cndmask_b32_e32 v91, v103, v96, vcc_lo
	v_cndmask_b32_e32 v92, v107, v100, vcc_lo
	v_cndmask_b32_e64 v103, v125, v96, s13
	v_cndmask_b32_e64 v87, v87, v104, s19
	;; [unrolled: 1-line block ×3, first 2 shown]
	v_lshrrev_b32_e32 v105, 16, v89
	v_lshrrev_b32_e32 v109, 16, v93
	v_cndmask_b32_e64 v107, v127, v96, s16
	v_cndmask_b32_e64 v95, v95, v96, s17
	;; [unrolled: 1-line block ×14, first 2 shown]
	v_lshrrev_b32_e32 v113, 16, v97
	v_cndmask_b32_e64 v99, v99, v89, s6
	v_cndmask_b32_e64 v104, v111, v93, s6
	;; [unrolled: 1-line block ×11, first 2 shown]
	v_lshrrev_b32_e32 v106, 16, v90
	v_lshrrev_b32_e32 v110, 16, v94
	v_cndmask_b32_e64 v93, v99, v105, s7
	v_cndmask_b32_e64 v99, v104, v109, s7
	;; [unrolled: 1-line block ×9, first 2 shown]
	v_lshrrev_b32_e32 v114, 16, v98
	v_cndmask_b32_e64 v89, v89, v113, s7
	v_cndmask_b32_e64 v93, v93, v90, s8
	;; [unrolled: 1-line block ×19, first 2 shown]
	v_perm_b32 v90, v88, v87, 0x5040100
	v_cndmask_b32_e64 v87, v126, v100, s13
	v_cndmask_b32_e64 v105, v89, v114, s9
	v_perm_b32 v89, v103, v99, 0x5040100
	v_perm_b32 v88, v104, v94, 0x5040100
	v_cndmask_b32_e64 v94, v107, v112, s18
	v_cndmask_b32_e64 v95, v95, v112, s19
	;; [unrolled: 1-line block ×5, first 2 shown]
	v_lshrrev_b32_e32 v117, 16, v101
	v_cndmask_b32_e64 v94, v94, v97, s22
	v_cndmask_b32_e64 v95, v95, v97, s23
	;; [unrolled: 1-line block ×11, first 2 shown]
	v_lshrrev_b32_e32 v118, 16, v102
	v_cndmask_b32_e64 v91, v91, v102, s8
	v_cndmask_b32_e64 v94, v94, v98, s27
	v_cndmask_b32_e64 v95, v95, v98, s28
	v_cndmask_b32_e64 v96, v96, v102, s28
	v_cndmask_b32_e64 v97, v97, v102, s27
	v_cndmask_b32_e64 v87, v87, v102, s26
	v_cndmask_b32_e64 v98, v94, v114, s29
	v_cndmask_b32_e64 v94, v95, v114, s30
	v_cndmask_b32_e64 v95, v96, v118, s30
	v_cndmask_b32_e64 v96, v97, v118, s29
	v_cndmask_b32_e64 v97, v87, v118, s31
	v_cndmask_b32_e64 v91, v91, v118, s9
	v_perm_b32 v87, v93, v92, 0x5040100
	v_perm_b32 v94, v95, v94, 0x5040100
	;; [unrolled: 1-line block ×5, first 2 shown]
	s_mul_i32 s8, s35, 15
	s_mov_b32 s4, exec_lo
	ds_store_b128 v78, v[87:90]
	ds_store_b128 v78, v[91:94] offset:1024
	v_cmpx_gt_u32_e32 15, v0
	s_cbranch_execz .LBB128_16
; %bb.15:
	s_mul_i32 s5, s8, s34
	s_load_b128 s[16:19], s[0:1], 0x58
	v_add3_u32 v77, s5, s33, v77
	s_delay_alu instid0(VALU_DEP_1) | instskip(NEXT) | instid1(VALU_DEP_1)
	v_mad_u64_u32 v[87:88], null, v77, s36, s[14:15]
	v_ashrrev_i32_e32 v88, 31, v87
	s_delay_alu instid0(VALU_DEP_1) | instskip(SKIP_1) | instid1(VALU_DEP_1)
	v_lshlrev_b64 v[87:88], 2, v[87:88]
	s_waitcnt lgkmcnt(0)
	v_add_co_u32 v89, vcc_lo, s18, v87
	s_delay_alu instid0(VALU_DEP_2)
	v_add_co_ci_u32_e32 v90, vcc_lo, s19, v88, vcc_lo
	v_add_co_u32 v87, vcc_lo, s16, v87
	v_add_co_ci_u32_e32 v88, vcc_lo, s17, v88, vcc_lo
	global_store_b32 v[89:90], v85, off
	global_store_b32 v[87:88], v86, off
.LBB128_16:
	s_or_b32 exec_lo, exec_lo, s4
	s_waitcnt lgkmcnt(0)
	s_waitcnt_vscnt null, 0x0
	s_barrier
	buffer_gl0_inv
	ds_load_b128 v[93:96], v79
	ds_load_b128 v[97:100], v79 offset:16
	ds_load_b128 v[105:108], v79 offset:1040
	;; [unrolled: 1-line block ×5, first 2 shown]
	v_cmp_eq_u32_e32 vcc_lo, 1, v84
	v_mov_b32_e32 v85, 0
	ds_load_b128 v[121:124], v79 offset:3088
	ds_load_b128 v[117:120], v79 offset:3072
	;; [unrolled: 1-line block ×4, first 2 shown]
	v_cmp_eq_u32_e64 s4, 1, v80
	v_cmp_eq_u32_e64 s5, 1, v83
	;; [unrolled: 1-line block ×3, first 2 shown]
	v_mov_b32_e32 v86, v85
	v_mov_b32_e32 v87, v85
	;; [unrolled: 1-line block ×7, first 2 shown]
	v_cmp_eq_u32_e64 s7, 2, v80
	s_waitcnt lgkmcnt(8)
	s_delay_alu instid0(VALU_DEP_2)
	v_wmma_f32_16x16x16_f16 v[85:92], v[65:72], v[93:100], v[85:92]
	ds_load_b128 v[69:72], v79 offset:5136
	ds_load_b128 v[65:68], v79 offset:5120
	;; [unrolled: 1-line block ×4, first 2 shown]
	s_waitcnt lgkmcnt(10)
	v_wmma_f32_16x16x16_f16 v[85:92], v[57:64], v[101:108], v[85:92]
	s_waitcnt lgkmcnt(8)
	s_delay_alu instid0(VALU_DEP_1)
	v_wmma_f32_16x16x16_f16 v[85:92], v[57:64], v[109:116], v[85:92]
	ds_load_b128 v[61:64], v79 offset:7184
	ds_load_b128 v[57:60], v79 offset:7168
	;; [unrolled: 1-line block ×4, first 2 shown]
	s_waitcnt lgkmcnt(10)
	v_wmma_f32_16x16x16_f16 v[85:92], v[49:56], v[117:124], v[85:92]
	s_waitcnt lgkmcnt(8)
	s_delay_alu instid0(VALU_DEP_1)
	v_wmma_f32_16x16x16_f16 v[85:92], v[49:56], v[125:132], v[85:92]
	ds_load_b128 v[53:56], v79 offset:9232
	ds_load_b128 v[49:52], v79 offset:9216
	s_waitcnt lgkmcnt(8)
	v_wmma_f32_16x16x16_f16 v[85:92], v[41:48], v[65:72], v[85:92]
	ds_load_b128 v[69:72], v79 offset:10256
	ds_load_b128 v[65:68], v79 offset:10240
	s_waitcnt lgkmcnt(8)
	;; [unrolled: 4-line block ×7, first 2 shown]
	s_barrier
	buffer_gl0_inv
	v_wmma_f32_16x16x16_f16 v[85:92], v[33:40], v[41:48], v[85:92]
	s_delay_alu instid0(VALU_DEP_1) | instskip(NEXT) | instid1(VALU_DEP_1)
	v_wmma_f32_16x16x16_f16 v[85:92], v[33:40], v[57:64], v[85:92]
	v_wmma_f32_16x16x16_f16 v[85:92], v[25:32], v[9:16], v[85:92]
	s_delay_alu instid0(VALU_DEP_1) | instskip(NEXT) | instid1(VALU_DEP_1)
	v_wmma_f32_16x16x16_f16 v[85:92], v[25:32], v[49:56], v[85:92]
	v_wmma_f32_16x16x16_f16 v[85:92], v[17:24], v[1:8], v[85:92]
	s_delay_alu instid0(VALU_DEP_1) | instskip(NEXT) | instid1(VALU_DEP_2)
	v_cvt_f16_f32_e32 v1, v85
	v_cvt_f16_f32_e32 v2, v86
	s_delay_alu instid0(VALU_DEP_3) | instskip(NEXT) | instid1(VALU_DEP_4)
	v_cvt_f16_f32_e32 v3, v87
	v_cvt_f16_f32_e32 v4, v88
	;; [unrolled: 1-line block ×6, first 2 shown]
	v_pack_b32_f16 v1, v1, v2
	v_pack_b32_f16 v2, v3, v4
	;; [unrolled: 1-line block ×3, first 2 shown]
	s_delay_alu instid0(VALU_DEP_4)
	v_pack_b32_f16 v4, v7, v8
	ds_store_b128 v78, v[1:4]
	s_waitcnt lgkmcnt(0)
	s_barrier
	buffer_gl0_inv
	ds_load_b128 v[1:4], v81
	ds_load_b128 v[5:8], v81 offset:16
	s_waitcnt lgkmcnt(1)
	v_lshrrev_b32_e32 v9, 16, v1
	s_waitcnt lgkmcnt(0)
	v_lshrrev_b32_e32 v13, 16, v5
	v_lshrrev_b32_e32 v15, 16, v7
	;; [unrolled: 1-line block ×4, first 2 shown]
	v_cndmask_b32_e64 v17, v1, v9, s4
	v_cndmask_b32_e64 v18, v5, v13, s4
	;; [unrolled: 1-line block ×3, first 2 shown]
	v_cmp_eq_u32_e64 s4, 2, v82
	v_cndmask_b32_e64 v20, v5, v13, s6
	v_cndmask_b32_e32 v21, v1, v9, vcc_lo
	v_cndmask_b32_e32 v22, v5, v13, vcc_lo
	v_cndmask_b32_e64 v1, v1, v9, s5
	v_cndmask_b32_e64 v5, v5, v13, s5
	v_cmp_eq_u32_e32 vcc_lo, 2, v84
	v_cmp_eq_u32_e64 s5, 2, v83
	v_cndmask_b32_e64 v9, v17, v2, s7
	v_cndmask_b32_e64 v13, v18, v6, s7
	;; [unrolled: 1-line block ×4, first 2 shown]
	v_cndmask_b32_e32 v19, v21, v2, vcc_lo
	v_cmp_eq_u32_e64 s4, 3, v84
	v_cndmask_b32_e32 v20, v22, v6, vcc_lo
	v_cndmask_b32_e64 v1, v1, v2, s5
	v_cmp_eq_u32_e32 vcc_lo, 3, v83
	v_cmp_eq_u32_e64 s6, 3, v80
	v_cndmask_b32_e64 v2, v5, v6, s5
	v_cmp_eq_u32_e64 s5, 3, v82
	v_lshrrev_b32_e32 v16, 16, v8
	v_cmp_eq_u32_e64 s7, 4, v80
	v_cndmask_b32_e64 v5, v9, v10, s6
	v_cndmask_b32_e64 v6, v13, v14, s6
	;; [unrolled: 1-line block ×3, first 2 shown]
	v_cmp_eq_u32_e64 s6, 4, v82
	v_cndmask_b32_e64 v13, v18, v14, s5
	v_cndmask_b32_e64 v17, v19, v10, s4
	;; [unrolled: 1-line block ×3, first 2 shown]
	v_cndmask_b32_e32 v1, v1, v10, vcc_lo
	v_cndmask_b32_e32 v2, v2, v14, vcc_lo
	v_cmp_eq_u32_e32 vcc_lo, 4, v84
	v_cmp_eq_u32_e64 s5, 4, v83
	v_lshrrev_b32_e32 v11, 16, v3
	v_cndmask_b32_e64 v5, v5, v3, s7
	v_cndmask_b32_e64 v6, v6, v7, s7
	v_cndmask_b32_e64 v9, v9, v3, s6
	v_cndmask_b32_e64 v10, v13, v7, s6
	v_cndmask_b32_e32 v13, v17, v3, vcc_lo
	v_cmp_eq_u32_e64 s4, 5, v84
	v_cndmask_b32_e32 v14, v18, v7, vcc_lo
	v_cndmask_b32_e64 v1, v1, v3, s5
	v_cmp_eq_u32_e32 vcc_lo, 5, v83
	v_cmp_eq_u32_e64 s6, 5, v80
	v_cndmask_b32_e64 v2, v2, v7, s5
	v_cmp_eq_u32_e64 s5, 5, v82
	v_cmp_eq_u32_e64 s7, 6, v80
	v_cndmask_b32_e32 v1, v1, v11, vcc_lo
	v_cndmask_b32_e64 v3, v5, v11, s6
	v_cndmask_b32_e64 v5, v6, v15, s6
	;; [unrolled: 1-line block ×3, first 2 shown]
	v_cmp_eq_u32_e64 s6, 6, v82
	v_cndmask_b32_e64 v7, v10, v15, s5
	v_cndmask_b32_e64 v9, v13, v11, s4
	;; [unrolled: 1-line block ×3, first 2 shown]
	v_cndmask_b32_e32 v2, v2, v15, vcc_lo
	v_cmp_eq_u32_e32 vcc_lo, 6, v84
	v_cmp_eq_u32_e64 s4, 6, v83
	v_lshrrev_b32_e32 v12, 16, v4
	v_cndmask_b32_e64 v3, v3, v4, s7
	v_cndmask_b32_e64 v5, v5, v8, s7
	;; [unrolled: 1-line block ×4, first 2 shown]
	v_cndmask_b32_e32 v9, v9, v4, vcc_lo
	v_cmp_eq_u32_e64 s5, 7, v84
	v_cndmask_b32_e32 v10, v10, v8, vcc_lo
	v_cndmask_b32_e64 v1, v1, v4, s4
	v_cmp_eq_u32_e32 vcc_lo, 7, v83
	v_cndmask_b32_e64 v2, v2, v8, s4
	v_cmp_eq_u32_e64 s4, 7, v80
	v_cmp_eq_u32_e64 s6, 7, v82
	v_cndmask_b32_e32 v1, v1, v12, vcc_lo
	s_delay_alu instid0(VALU_DEP_4) | instskip(NEXT) | instid1(VALU_DEP_4)
	v_cndmask_b32_e32 v2, v2, v16, vcc_lo
	v_cndmask_b32_e64 v8, v3, v12, s4
	s_delay_alu instid0(VALU_DEP_4)
	v_cndmask_b32_e64 v6, v6, v12, s6
	v_cndmask_b32_e64 v3, v9, v12, s5
	;; [unrolled: 1-line block ×5, first 2 shown]
	v_cmp_gt_u32_e32 vcc_lo, 32, v0
	v_perm_b32 v4, v2, v1, 0x5040100
	v_perm_b32 v3, v9, v3, 0x5040100
	;; [unrolled: 1-line block ×4, first 2 shown]
	s_and_b32 s2, vcc_lo, s2
	ds_store_b128 v78, v[1:4]
	s_waitcnt lgkmcnt(0)
	s_barrier
	buffer_gl0_inv
	s_and_saveexec_b32 s4, s2
	s_cbranch_execz .LBB128_2
; %bb.17:
	s_load_b64 s[4:5], s[0:1], 0x68
	v_add_nc_u32_e32 v20, s33, v75
	v_lshlrev_b32_e32 v0, 10, v0
	v_lshlrev_b32_e32 v1, 4, v76
	s_lshl_b32 s0, s36, 6
	s_delay_alu instid0(SALU_CYCLE_1)
	s_mul_i32 s1, s0, s34
	v_add_nc_u32_e32 v2, 2, v20
	s_mul_i32 s6, s1, s8
	v_and_or_b32 v0, 0x3800, v0, v1
	v_mul_lo_u32 v1, v20, s0
	s_ashr_i32 s7, s6, 31
	v_mul_lo_u32 v11, v2, s0
	s_lshl_b64 s[6:7], s[6:7], 1
	v_add_nc_u32_e32 v3, 4, v20
	v_lshl_or_b32 v21, v75, 6, v0
	v_add_nc_u32_e32 v16, 6, v20
	v_ashrrev_i32_e32 v2, 31, v1
	s_delay_alu instid0(VALU_DEP_4)
	v_mul_lo_u32 v13, v3, s0
	s_waitcnt lgkmcnt(0)
	s_add_u32 s1, s4, s6
	s_addc_u32 s2, s5, s7
	s_lshl_b32 s4, s14, 6
	ds_load_b128 v[3:6], v21
	ds_load_b128 v[7:10], v21 offset:128
	s_ashr_i32 s5, s4, 31
	v_ashrrev_i32_e32 v12, 31, v11
	s_lshl_b64 s[4:5], s[4:5], 1
	v_lshlrev_b64 v[14:15], 1, v[1:2]
	s_add_u32 s1, s1, s4
	s_addc_u32 s2, s2, s5
	v_add_co_u32 v1, vcc_lo, s1, v73
	v_add_co_ci_u32_e32 v2, vcc_lo, s2, v74, vcc_lo
	v_lshlrev_b64 v[11:12], 1, v[11:12]
	s_delay_alu instid0(VALU_DEP_3) | instskip(SKIP_1) | instid1(VALU_DEP_4)
	v_add_co_u32 v18, vcc_lo, v1, v14
	v_mul_lo_u32 v16, v16, s0
	v_add_co_ci_u32_e32 v19, vcc_lo, v2, v15, vcc_lo
	s_delay_alu instid0(VALU_DEP_4)
	v_add_co_u32 v11, vcc_lo, v1, v11
	v_ashrrev_i32_e32 v14, 31, v13
	v_add_co_ci_u32_e32 v12, vcc_lo, v2, v12, vcc_lo
	v_add_nc_u32_e32 v15, 8, v20
	v_ashrrev_i32_e32 v17, 31, v16
	s_waitcnt lgkmcnt(1)
	global_store_b128 v[18:19], v[3:6], off
	v_lshlrev_b64 v[3:4], 1, v[13:14]
	s_waitcnt lgkmcnt(0)
	global_store_b128 v[11:12], v[7:10], off
	v_mul_lo_u32 v11, v15, s0
	v_add_nc_u32_e32 v7, 10, v20
	v_lshlrev_b64 v[5:6], 1, v[16:17]
	v_add_co_u32 v23, vcc_lo, v1, v3
	v_add_nc_u32_e32 v3, 12, v20
	s_delay_alu instid0(VALU_DEP_4)
	v_mul_lo_u32 v25, v7, s0
	v_ashrrev_i32_e32 v12, 31, v11
	v_add_co_ci_u32_e32 v24, vcc_lo, v2, v4, vcc_lo
	v_add_co_u32 v27, vcc_lo, v1, v5
	v_mul_lo_u32 v29, v3, s0
	v_add_co_ci_u32_e32 v28, vcc_lo, v2, v6, vcc_lo
	ds_load_b128 v[3:6], v21 offset:256
	ds_load_b128 v[7:10], v21 offset:384
	v_lshlrev_b64 v[31:32], 1, v[11:12]
	ds_load_b128 v[11:14], v21 offset:512
	ds_load_b128 v[15:18], v21 offset:640
	;; [unrolled: 1-line block ×3, first 2 shown]
	v_ashrrev_i32_e32 v26, 31, v25
	v_ashrrev_i32_e32 v30, 31, v29
	v_add_co_u32 v31, vcc_lo, v1, v31
	s_delay_alu instid0(VALU_DEP_3) | instskip(NEXT) | instid1(VALU_DEP_3)
	v_lshlrev_b64 v[25:26], 1, v[25:26]
	v_lshlrev_b64 v[29:30], 1, v[29:30]
	v_add_co_ci_u32_e32 v32, vcc_lo, v2, v32, vcc_lo
	s_delay_alu instid0(VALU_DEP_3) | instskip(NEXT) | instid1(VALU_DEP_4)
	v_add_co_u32 v25, vcc_lo, v1, v25
	v_add_co_ci_u32_e32 v26, vcc_lo, v2, v26, vcc_lo
	s_delay_alu instid0(VALU_DEP_4)
	v_add_co_u32 v29, vcc_lo, v1, v29
	v_add_co_ci_u32_e32 v30, vcc_lo, v2, v30, vcc_lo
	s_waitcnt lgkmcnt(4)
	global_store_b128 v[23:24], v[3:6], off
	s_waitcnt lgkmcnt(3)
	global_store_b128 v[27:28], v[7:10], off
	;; [unrolled: 2-line block ×5, first 2 shown]
	s_and_b32 exec_lo, exec_lo, s3
	s_cbranch_execz .LBB128_2
; %bb.18:
	ds_load_b128 v[3:6], v0 offset:896
	s_add_i32 s1, s33, 14
	s_delay_alu instid0(SALU_CYCLE_1) | instskip(NEXT) | instid1(SALU_CYCLE_1)
	s_mul_i32 s0, s1, s0
	s_ashr_i32 s1, s0, 31
	s_delay_alu instid0(SALU_CYCLE_1) | instskip(NEXT) | instid1(SALU_CYCLE_1)
	s_lshl_b64 s[0:1], s[0:1], 1
	v_add_co_u32 v0, vcc_lo, v1, s0
	v_add_co_ci_u32_e32 v1, vcc_lo, s1, v2, vcc_lo
	s_waitcnt lgkmcnt(0)
	global_store_b128 v[0:1], v[3:6], off
	s_nop 0
	s_sendmsg sendmsg(MSG_DEALLOC_VGPRS)
	s_endpgm
	.section	.rodata,"a",@progbits
	.p2align	6, 0x0
	.amdhsa_kernel _Z39paged_attention_ll4mi_QKV_mfma16_kernelIDF16_DF16_LN4vllm18Fp8KVCacheDataTypeE0EhLi32ELi64ELi256ELb1ELi15EL8MFMAType0EEvPKT_PKT0_S8_ifPKiSA_SA_iPKfiiiPfSD_PS3_PT2_iSC_SC_
		.amdhsa_group_segment_fixed_size 17472
		.amdhsa_private_segment_fixed_size 0
		.amdhsa_kernarg_size 400
		.amdhsa_user_sgpr_count 13
		.amdhsa_user_sgpr_dispatch_ptr 0
		.amdhsa_user_sgpr_queue_ptr 0
		.amdhsa_user_sgpr_kernarg_segment_ptr 1
		.amdhsa_user_sgpr_dispatch_id 0
		.amdhsa_user_sgpr_private_segment_size 0
		.amdhsa_wavefront_size32 1
		.amdhsa_uses_dynamic_stack 0
		.amdhsa_enable_private_segment 0
		.amdhsa_system_sgpr_workgroup_id_x 1
		.amdhsa_system_sgpr_workgroup_id_y 1
		.amdhsa_system_sgpr_workgroup_id_z 1
		.amdhsa_system_sgpr_workgroup_info 0
		.amdhsa_system_vgpr_workitem_id 0
		.amdhsa_next_free_vgpr 154
		.amdhsa_next_free_sgpr 39
		.amdhsa_reserve_vcc 1
		.amdhsa_float_round_mode_32 0
		.amdhsa_float_round_mode_16_64 0
		.amdhsa_float_denorm_mode_32 3
		.amdhsa_float_denorm_mode_16_64 3
		.amdhsa_dx10_clamp 1
		.amdhsa_ieee_mode 1
		.amdhsa_fp16_overflow 0
		.amdhsa_workgroup_processor_mode 1
		.amdhsa_memory_ordered 1
		.amdhsa_forward_progress 0
		.amdhsa_shared_vgpr_count 0
		.amdhsa_exception_fp_ieee_invalid_op 0
		.amdhsa_exception_fp_denorm_src 0
		.amdhsa_exception_fp_ieee_div_zero 0
		.amdhsa_exception_fp_ieee_overflow 0
		.amdhsa_exception_fp_ieee_underflow 0
		.amdhsa_exception_fp_ieee_inexact 0
		.amdhsa_exception_int_div_zero 0
	.end_amdhsa_kernel
	.section	.text._Z39paged_attention_ll4mi_QKV_mfma16_kernelIDF16_DF16_LN4vllm18Fp8KVCacheDataTypeE0EhLi32ELi64ELi256ELb1ELi15EL8MFMAType0EEvPKT_PKT0_S8_ifPKiSA_SA_iPKfiiiPfSD_PS3_PT2_iSC_SC_,"axG",@progbits,_Z39paged_attention_ll4mi_QKV_mfma16_kernelIDF16_DF16_LN4vllm18Fp8KVCacheDataTypeE0EhLi32ELi64ELi256ELb1ELi15EL8MFMAType0EEvPKT_PKT0_S8_ifPKiSA_SA_iPKfiiiPfSD_PS3_PT2_iSC_SC_,comdat
.Lfunc_end128:
	.size	_Z39paged_attention_ll4mi_QKV_mfma16_kernelIDF16_DF16_LN4vllm18Fp8KVCacheDataTypeE0EhLi32ELi64ELi256ELb1ELi15EL8MFMAType0EEvPKT_PKT0_S8_ifPKiSA_SA_iPKfiiiPfSD_PS3_PT2_iSC_SC_, .Lfunc_end128-_Z39paged_attention_ll4mi_QKV_mfma16_kernelIDF16_DF16_LN4vllm18Fp8KVCacheDataTypeE0EhLi32ELi64ELi256ELb1ELi15EL8MFMAType0EEvPKT_PKT0_S8_ifPKiSA_SA_iPKfiiiPfSD_PS3_PT2_iSC_SC_
                                        ; -- End function
	.section	.AMDGPU.csdata,"",@progbits
; Kernel info:
; codeLenInByte = 7496
; NumSgprs: 41
; NumVgprs: 154
; ScratchSize: 0
; MemoryBound: 0
; FloatMode: 240
; IeeeMode: 1
; LDSByteSize: 17472 bytes/workgroup (compile time only)
; SGPRBlocks: 5
; VGPRBlocks: 19
; NumSGPRsForWavesPerEU: 41
; NumVGPRsForWavesPerEU: 154
; Occupancy: 9
; WaveLimiterHint : 1
; COMPUTE_PGM_RSRC2:SCRATCH_EN: 0
; COMPUTE_PGM_RSRC2:USER_SGPR: 13
; COMPUTE_PGM_RSRC2:TRAP_HANDLER: 0
; COMPUTE_PGM_RSRC2:TGID_X_EN: 1
; COMPUTE_PGM_RSRC2:TGID_Y_EN: 1
; COMPUTE_PGM_RSRC2:TGID_Z_EN: 1
; COMPUTE_PGM_RSRC2:TIDIG_COMP_CNT: 0
	.section	.text._Z39paged_attention_ll4mi_QKV_mfma16_kernelIDF16_DF16_LN4vllm18Fp8KVCacheDataTypeE0EhLi32ELi64ELi256ELb1ELi16EL8MFMAType0EEvPKT_PKT0_S8_ifPKiSA_SA_iPKfiiiPfSD_PS3_PT2_iSC_SC_,"axG",@progbits,_Z39paged_attention_ll4mi_QKV_mfma16_kernelIDF16_DF16_LN4vllm18Fp8KVCacheDataTypeE0EhLi32ELi64ELi256ELb1ELi16EL8MFMAType0EEvPKT_PKT0_S8_ifPKiSA_SA_iPKfiiiPfSD_PS3_PT2_iSC_SC_,comdat
	.protected	_Z39paged_attention_ll4mi_QKV_mfma16_kernelIDF16_DF16_LN4vllm18Fp8KVCacheDataTypeE0EhLi32ELi64ELi256ELb1ELi16EL8MFMAType0EEvPKT_PKT0_S8_ifPKiSA_SA_iPKfiiiPfSD_PS3_PT2_iSC_SC_ ; -- Begin function _Z39paged_attention_ll4mi_QKV_mfma16_kernelIDF16_DF16_LN4vllm18Fp8KVCacheDataTypeE0EhLi32ELi64ELi256ELb1ELi16EL8MFMAType0EEvPKT_PKT0_S8_ifPKiSA_SA_iPKfiiiPfSD_PS3_PT2_iSC_SC_
	.globl	_Z39paged_attention_ll4mi_QKV_mfma16_kernelIDF16_DF16_LN4vllm18Fp8KVCacheDataTypeE0EhLi32ELi64ELi256ELb1ELi16EL8MFMAType0EEvPKT_PKT0_S8_ifPKiSA_SA_iPKfiiiPfSD_PS3_PT2_iSC_SC_
	.p2align	8
	.type	_Z39paged_attention_ll4mi_QKV_mfma16_kernelIDF16_DF16_LN4vllm18Fp8KVCacheDataTypeE0EhLi32ELi64ELi256ELb1ELi16EL8MFMAType0EEvPKT_PKT0_S8_ifPKiSA_SA_iPKfiiiPfSD_PS3_PT2_iSC_SC_,@function
_Z39paged_attention_ll4mi_QKV_mfma16_kernelIDF16_DF16_LN4vllm18Fp8KVCacheDataTypeE0EhLi32ELi64ELi256ELb1ELi16EL8MFMAType0EEvPKT_PKT0_S8_ifPKiSA_SA_iPKfiiiPfSD_PS3_PT2_iSC_SC_: ; @_Z39paged_attention_ll4mi_QKV_mfma16_kernelIDF16_DF16_LN4vllm18Fp8KVCacheDataTypeE0EhLi32ELi64ELi256ELb1ELi16EL8MFMAType0EEvPKT_PKT0_S8_ifPKiSA_SA_iPKfiiiPfSD_PS3_PT2_iSC_SC_
; %bb.0:
	s_load_b64 s[2:3], s[0:1], 0x30
	s_mov_b32 s34, s13
	s_waitcnt lgkmcnt(0)
	s_cmp_lg_u64 s[2:3], 0
	s_cselect_b32 s6, -1, 0
	s_ashr_i32 s35, s13, 31
	s_cmp_eq_u64 s[2:3], 0
	s_cbranch_scc1 .LBB129_3
; %bb.1:
	s_lshl_b64 s[4:5], s[34:35], 2
	s_delay_alu instid0(SALU_CYCLE_1) | instskip(SKIP_4) | instid1(SALU_CYCLE_1)
	s_add_u32 s4, s2, s4
	s_addc_u32 s5, s3, s5
	s_load_b64 s[4:5], s[4:5], 0x0
	s_waitcnt lgkmcnt(0)
	s_sub_i32 s4, s5, s4
	s_cmp_eq_u32 s4, 1
	s_cselect_b32 s4, -1, 0
	s_delay_alu instid0(SALU_CYCLE_1)
	s_and_not1_b32 vcc_lo, exec_lo, s4
	s_cbranch_vccz .LBB129_4
.LBB129_2:
	s_endpgm
.LBB129_3:
.LBB129_4:
	s_load_b64 s[8:9], s[0:1], 0x28
	s_lshl_b64 s[4:5], s[34:35], 2
	s_waitcnt lgkmcnt(0)
	s_add_u32 s8, s8, s4
	s_addc_u32 s9, s9, s5
	s_lshl_b32 s16, s14, 8
	s_load_b32 s18, s[8:9], 0x0
	s_waitcnt lgkmcnt(0)
	s_cmp_ge_i32 s16, s18
	s_cbranch_scc1 .LBB129_2
; %bb.5:
	s_and_not1_b32 vcc_lo, exec_lo, s6
	s_cbranch_vccnz .LBB129_7
; %bb.6:
	s_add_u32 s2, s2, s4
	s_addc_u32 s3, s3, s5
	s_load_b32 s17, s[2:3], 0x0
	s_branch .LBB129_8
.LBB129_7:
	s_mov_b32 s17, s34
.LBB129_8:
	s_clause 0x2
	s_load_b128 s[8:11], s[0:1], 0x8
	s_load_b64 s[12:13], s[0:1], 0x20
	s_load_b128 s[4:7], s[0:1], 0x48
	v_and_b32_e32 v79, 15, v0
	v_cmp_lt_u32_e32 vcc_lo, 0xff, v0
	s_delay_alu instid0(VALU_DEP_2) | instskip(SKIP_2) | instid1(VALU_DEP_3)
	v_cmp_lt_u32_e64 s3, 7, v79
	v_lshlrev_b32_e32 v1, 3, v79
	v_cmp_gt_u32_e64 s2, 8, v79
	s_or_b32 s3, vcc_lo, s3
	s_waitcnt lgkmcnt(0)
	s_and_saveexec_b32 s7, s3
	s_delay_alu instid0(SALU_CYCLE_1)
	s_xor_b32 s3, exec_lo, s7
; %bb.9:
	v_mov_b32_e32 v2, 0
; %bb.10:
	s_or_saveexec_b32 s3, s3
	v_lshrrev_b32_e32 v78, 5, v0
	v_and_b32_e32 v80, 31, v0
	v_and_b32_e32 v76, 1, v0
	v_bfe_u32 v75, v0, 4, 1
	s_lshl_b32 s31, s15, 4
	s_xor_b32 exec_lo, exec_lo, s3
	s_cbranch_execz .LBB129_12
; %bb.11:
	s_delay_alu instid0(VALU_DEP_1)
	v_lshl_or_b32 v7, v78, 1, v75
	s_load_b64 s[20:21], s[0:1], 0x0
	s_mul_hi_i32 s23, s17, s4
	s_mul_i32 s22, s17, s4
	v_lshlrev_b32_e32 v4, 1, v1
	v_or_b32_e32 v2, s31, v7
	s_lshl_b64 s[22:23], s[22:23], 1
	v_lshlrev_b32_e32 v7, 6, v7
	v_lshlrev_b32_e32 v8, 10, v76
	s_delay_alu instid0(VALU_DEP_3) | instskip(NEXT) | instid1(VALU_DEP_1)
	v_lshlrev_b32_e32 v2, 6, v2
	v_ashrrev_i32_e32 v3, 31, v2
	s_delay_alu instid0(VALU_DEP_1) | instskip(SKIP_3) | instid1(VALU_DEP_1)
	v_lshlrev_b64 v[2:3], 1, v[2:3]
	s_waitcnt lgkmcnt(0)
	s_add_u32 s4, s20, s22
	s_addc_u32 s7, s21, s23
	v_add_co_u32 v2, vcc_lo, s4, v2
	s_delay_alu instid0(VALU_DEP_2) | instskip(NEXT) | instid1(VALU_DEP_2)
	v_add_co_ci_u32_e32 v3, vcc_lo, s7, v3, vcc_lo
	v_add_co_u32 v2, vcc_lo, v2, v4
	s_delay_alu instid0(VALU_DEP_2) | instskip(SKIP_2) | instid1(VALU_DEP_1)
	v_add_co_ci_u32_e32 v3, vcc_lo, 0, v3, vcc_lo
	global_load_b128 v[3:6], v[2:3], off
	v_lshlrev_b32_e32 v2, 10, v79
	v_and_b32_e32 v2, 0x3800, v2
	s_delay_alu instid0(VALU_DEP_1)
	v_or3_b32 v7, v2, v8, v7
	v_mov_b32_e32 v2, 0
	s_waitcnt vmcnt(0)
	ds_store_b128 v7, v[3:6]
.LBB129_12:
	s_or_b32 exec_lo, exec_lo, s3
	v_and_b32_e32 v3, 0xef, v0
	s_add_i32 s3, s18, 31
	s_clause 0x1
	s_load_b32 s4, s[0:1], 0x38
	s_load_b32 s33, s[0:1], 0x98
	s_ashr_i32 s7, s3, 31
	v_add_nc_u32_e32 v3, s16, v3
	s_lshr_b32 s7, s7, 27
	s_load_b32 s19, s[0:1], 0x1c
	s_add_i32 s3, s3, s7
	s_waitcnt lgkmcnt(0)
	v_ashrrev_i32_e32 v4, 31, v3
	v_cmp_gt_i32_e32 vcc_lo, s18, v3
	s_ashr_i32 s3, s3, 5
	s_barrier
	s_add_i32 s3, s3, -1
	v_lshrrev_b32_e32 v5, 27, v4
	v_or_b32_e32 v4, 16, v3
	buffer_gl0_inv
	s_mul_i32 s6, s15, s6
	v_lshlrev_b64 v[73:74], 1, v[1:2]
	v_add_nc_u32_e32 v6, v3, v5
	v_add_nc_u32_e32 v5, v4, v5
	s_mul_i32 s20, s34, s4
	s_delay_alu instid0(SALU_CYCLE_1) | instskip(NEXT) | instid1(VALU_DEP_2)
	s_ashr_i32 s21, s20, 31
	v_ashrrev_i32_e32 v6, 5, v6
	s_delay_alu instid0(VALU_DEP_2) | instskip(SKIP_1) | instid1(SALU_CYCLE_1)
	v_ashrrev_i32_e32 v5, 5, v5
	s_lshl_b64 s[20:21], s[20:21], 2
	s_add_u32 s4, s12, s20
	s_delay_alu instid0(VALU_DEP_2) | instskip(SKIP_3) | instid1(SALU_CYCLE_1)
	v_cndmask_b32_e32 v3, s3, v6, vcc_lo
	v_cmp_gt_i32_e32 vcc_lo, s18, v4
	s_addc_u32 s17, s13, s21
	s_ashr_i32 s7, s6, 31
	s_lshl_b64 s[6:7], s[6:7], 1
	v_cndmask_b32_e32 v5, s3, v5, vcc_lo
	v_ashrrev_i32_e32 v4, 31, v3
	s_add_u32 s15, s8, s6
	s_addc_u32 s28, s9, s7
	s_lshl_b32 s8, s14, 3
	v_ashrrev_i32_e32 v6, 31, v5
	v_lshlrev_b64 v[3:4], 2, v[3:4]
	s_ashr_i32 s9, s8, 31
	s_delay_alu instid0(SALU_CYCLE_1) | instskip(NEXT) | instid1(VALU_DEP_2)
	s_lshl_b64 s[8:9], s[8:9], 2
	v_lshlrev_b64 v[5:6], 2, v[5:6]
	s_add_u32 s8, s4, s8
	s_delay_alu instid0(VALU_DEP_2) | instskip(SKIP_1) | instid1(VALU_DEP_3)
	v_add_co_u32 v3, vcc_lo, s4, v3
	v_add_co_ci_u32_e32 v4, vcc_lo, s17, v4, vcc_lo
	v_add_co_u32 v5, vcc_lo, s4, v5
	s_delay_alu instid0(VALU_DEP_4)
	v_add_co_ci_u32_e32 v6, vcc_lo, s17, v6, vcc_lo
	s_addc_u32 s9, s17, s9
	s_clause 0x1
	global_load_b32 v7, v[3:4], off
	global_load_b32 v8, v[5:6], off
	s_or_b32 s12, s16, 32
	s_delay_alu instid0(SALU_CYCLE_1) | instskip(SKIP_2) | instid1(SALU_CYCLE_1)
	s_ashr_i32 s13, s12, 5
	s_cmp_lt_i32 s12, s18
	s_cselect_b32 s12, s13, s3
	s_ashr_i32 s13, s12, 31
	s_delay_alu instid0(SALU_CYCLE_1) | instskip(NEXT) | instid1(SALU_CYCLE_1)
	s_lshl_b64 s[12:13], s[12:13], 2
	s_add_u32 s12, s4, s12
	s_addc_u32 s13, s17, s13
	s_or_b32 s20, s16, 64
	s_delay_alu instid0(SALU_CYCLE_1) | instskip(SKIP_2) | instid1(SALU_CYCLE_1)
	s_ashr_i32 s21, s20, 5
	s_cmp_lt_i32 s20, s18
	s_cselect_b32 s20, s21, s3
	s_ashr_i32 s21, s20, 31
	s_delay_alu instid0(SALU_CYCLE_1) | instskip(NEXT) | instid1(SALU_CYCLE_1)
	s_lshl_b64 s[20:21], s[20:21], 2
	s_add_u32 s20, s4, s20
	s_addc_u32 s21, s17, s21
	;; [unrolled: 10-line block ×5, first 2 shown]
	s_clause 0x5
	s_load_b32 s29, s[8:9], 0x0
	s_load_b32 s30, s[12:13], 0x0
	;; [unrolled: 1-line block ×6, first 2 shown]
	s_or_b32 s8, s16, 0xc0
	s_mov_b32 s20, 0
	s_ashr_i32 s9, s8, 5
	s_cmp_lt_i32 s8, s18
	s_mov_b32 s27, s20
	s_cselect_b32 s8, s9, s3
	s_mov_b32 s21, s20
	s_ashr_i32 s9, s8, 31
	s_mov_b32 s22, s20
	s_lshl_b64 s[8:9], s[8:9], 2
	s_mov_b32 s23, s20
	s_add_u32 s8, s4, s8
	s_mov_b32 s24, s20
	s_mov_b32 s25, s20
	s_mov_b32 s26, s20
	s_addc_u32 s9, s17, s9
	v_dual_mov_b32 v128, s27 :: v_dual_lshlrev_b32 v77, 6, v79
	v_dual_mov_b32 v122, s21 :: v_dual_mov_b32 v127, s26
	v_dual_mov_b32 v126, s25 :: v_dual_mov_b32 v125, s24
	;; [unrolled: 1-line block ×3, first 2 shown]
	v_mov_b32_e32 v121, s20
	s_waitcnt lgkmcnt(0)
	s_mul_hi_i32 s13, s29, s5
	s_mul_i32 s12, s29, s5
	s_mul_hi_i32 s21, s30, s5
	s_mul_i32 s20, s30, s5
	;; [unrolled: 2-line block ×4, first 2 shown]
	s_mul_i32 s36, s38, s5
	s_waitcnt vmcnt(1)
	v_mad_i64_i32 v[3:4], null, v7, s5, 0
	s_waitcnt vmcnt(0)
	v_mad_i64_i32 v[5:6], null, v8, s5, 0
	s_delay_alu instid0(VALU_DEP_2) | instskip(NEXT) | instid1(VALU_DEP_2)
	v_lshlrev_b64 v[3:4], 1, v[3:4]
	v_lshlrev_b64 v[1:2], 1, v[5:6]
	s_delay_alu instid0(VALU_DEP_2) | instskip(NEXT) | instid1(VALU_DEP_3)
	v_add_co_u32 v3, vcc_lo, s15, v3
	v_add_co_ci_u32_e32 v4, vcc_lo, s28, v4, vcc_lo
	s_delay_alu instid0(VALU_DEP_3) | instskip(NEXT) | instid1(VALU_DEP_4)
	v_add_co_u32 v5, vcc_lo, s15, v1
	v_add_co_ci_u32_e32 v6, vcc_lo, s28, v2, vcc_lo
	s_delay_alu instid0(VALU_DEP_4) | instskip(NEXT) | instid1(VALU_DEP_4)
	v_add_co_u32 v1, vcc_lo, v3, v73
	v_add_co_ci_u32_e32 v2, vcc_lo, v4, v74, vcc_lo
	s_delay_alu instid0(VALU_DEP_4) | instskip(NEXT) | instid1(VALU_DEP_4)
	v_add_co_u32 v3, vcc_lo, v5, v73
	v_add_co_ci_u32_e32 v4, vcc_lo, v6, v74, vcc_lo
	s_clause 0xf
	global_load_b128 v[17:20], v[1:2], off
	global_load_b128 v[21:24], v[1:2], off offset:512
	global_load_b128 v[25:28], v[3:4], off offset:256
	;; [unrolled: 1-line block ×15, first 2 shown]
	s_or_b32 s15, s16, 0xe0
	v_lshl_or_b32 v1, v78, 10, v77
	s_ashr_i32 s22, s15, 5
	s_cmp_lt_i32 s15, s18
	ds_load_b128 v[129:132], v77
	ds_load_b128 v[133:136], v77 offset:1024
	s_cselect_b32 s22, s22, s3
	s_delay_alu instid0(SALU_CYCLE_1) | instskip(NEXT) | instid1(SALU_CYCLE_1)
	s_ashr_i32 s23, s22, 31
	s_lshl_b64 s[22:23], s[22:23], 2
	s_delay_alu instid0(SALU_CYCLE_1) | instskip(SKIP_2) | instid1(SALU_CYCLE_1)
	s_add_u32 s22, s4, s22
	s_addc_u32 s23, s17, s23
	s_add_i32 s15, s16, 0x100
	s_ashr_i32 s28, s15, 5
	s_cmp_lt_i32 s15, s18
	s_load_b32 s15, s[8:9], 0x0
	s_cselect_b32 s28, s28, s3
	s_mul_hi_i32 s9, s37, s5
	s_ashr_i32 s29, s28, 31
	s_mul_i32 s8, s37, s5
	s_lshl_b64 s[28:29], s[28:29], 2
	s_mul_hi_i32 s37, s38, s5
	s_add_u32 s28, s4, s28
	s_addc_u32 s29, s17, s29
	s_add_u32 s3, s10, s6
	s_clause 0x1
	s_load_b32 s4, s[22:23], 0x0
	s_load_b32 s17, s[28:29], 0x0
	s_addc_u32 s28, s11, s7
	v_add_co_u32 v147, s3, s3, v1
	s_delay_alu instid0(VALU_DEP_1) | instskip(SKIP_2) | instid1(VALU_DEP_2)
	v_add_co_ci_u32_e64 v148, null, s28, 0, s3
	s_lshl_b64 s[6:7], s[12:13], 1
	s_lshl_b64 s[10:11], s[20:21], 1
	v_add_co_u32 v1, vcc_lo, v147, s6
	s_delay_alu instid0(VALU_DEP_2)
	v_add_co_ci_u32_e32 v2, vcc_lo, s7, v148, vcc_lo
	v_add_co_u32 v3, vcc_lo, v147, s10
	s_lshl_b64 s[12:13], s[24:25], 1
	v_add_co_ci_u32_e32 v4, vcc_lo, s11, v148, vcc_lo
	v_add_co_u32 v5, vcc_lo, v147, s12
	s_lshl_b64 s[20:21], s[26:27], 1
	;; [unrolled: 3-line block ×4, first 2 shown]
	s_waitcnt lgkmcnt(0)
	s_mul_hi_i32 s25, s15, s5
	s_mul_i32 s24, s15, s5
	v_add_co_ci_u32_e32 v14, vcc_lo, s9, v148, vcc_lo
	v_add_co_u32 v137, vcc_lo, v147, s22
	s_lshl_b64 s[24:25], s[24:25], 1
	v_add_co_ci_u32_e32 v138, vcc_lo, s23, v148, vcc_lo
	v_add_co_u32 v145, vcc_lo, v147, s24
	v_add_co_ci_u32_e32 v146, vcc_lo, s25, v148, vcc_lo
	s_clause 0xb
	global_load_b128 v[65:68], v[1:2], off
	global_load_b128 v[69:72], v[1:2], off offset:16
	global_load_b128 v[57:60], v[3:4], off
	global_load_b128 v[61:64], v[3:4], off offset:16
	;; [unrolled: 2-line block ×6, first 2 shown]
	s_mul_hi_i32 s7, s4, s5
	s_mul_i32 s6, s4, s5
	s_delay_alu instid0(SALU_CYCLE_1)
	s_lshl_b64 s[6:7], s[6:7], 1
	s_waitcnt vmcnt(26)
	v_wmma_f32_16x16x16_f16 v[137:144], v[17:24], v[129:136], v[121:128]
	s_waitcnt vmcnt(24)
	v_wmma_f32_16x16x16_f16 v[121:128], v[25:32], v[129:136], v[121:128]
	s_clause 0x1
	global_load_b128 v[25:28], v[145:146], off
	global_load_b128 v[29:32], v[145:146], off offset:16
	ds_load_b128 v[17:20], v77 offset:2048
	ds_load_b128 v[21:24], v77 offset:3072
	v_add_co_u32 v129, vcc_lo, v147, s6
	v_add_co_ci_u32_e32 v130, vcc_lo, s7, v148, vcc_lo
	s_mul_hi_i32 s7, s17, s5
	s_mul_i32 s6, s17, s5
	s_delay_alu instid0(SALU_CYCLE_1) | instskip(NEXT) | instid1(SALU_CYCLE_1)
	s_lshl_b64 s[4:5], s[6:7], 1
	v_add_co_u32 v131, vcc_lo, v147, s4
	v_add_co_ci_u32_e32 v132, vcc_lo, s5, v148, vcc_lo
	s_waitcnt vmcnt(24) lgkmcnt(0)
	v_wmma_f32_16x16x16_f16 v[137:144], v[33:40], v[17:24], v[137:144]
	s_clause 0x1
	global_load_b128 v[33:36], v[129:130], off
	global_load_b128 v[37:40], v[129:130], off offset:16
	s_waitcnt vmcnt(24)
	v_wmma_f32_16x16x16_f16 v[121:128], v[81:88], v[17:24], v[121:128]
	s_clause 0x1
	global_load_b128 v[17:20], v[131:132], off
	global_load_b128 v[21:24], v[131:132], off offset:16
	ds_load_b128 v[81:84], v77 offset:4096
	ds_load_b128 v[85:88], v77 offset:5120
	v_mbcnt_lo_u32_b32 v130, -1, 0
	s_delay_alu instid0(VALU_DEP_1) | instskip(NEXT) | instid1(VALU_DEP_1)
	v_xor_b32_e32 v131, 16, v130
	v_cmp_gt_i32_e32 vcc_lo, 32, v131
	v_cndmask_b32_e32 v130, v130, v131, vcc_lo
	s_waitcnt vmcnt(24) lgkmcnt(0)
	v_wmma_f32_16x16x16_f16 v[137:144], v[89:96], v[81:88], v[137:144]
	ds_load_b128 v[89:92], v77 offset:6144
	ds_load_b128 v[93:96], v77 offset:7168
	s_waitcnt vmcnt(22)
	v_wmma_f32_16x16x16_f16 v[121:128], v[97:104], v[81:88], v[121:128]
	s_waitcnt vmcnt(0) lgkmcnt(0)
	s_barrier
	buffer_gl0_inv
	v_wmma_f32_16x16x16_f16 v[137:144], v[105:112], v[89:96], v[137:144]
	v_and_b32_e32 v129, 0xe0, v0
	v_wmma_f32_16x16x16_f16 v[121:128], v[113:120], v[89:96], v[121:128]
	s_delay_alu instid0(VALU_DEP_2) | instskip(NEXT) | instid1(VALU_DEP_2)
	v_dual_mul_f32 v94, s19, v139 :: v_dual_add_nc_u32 v129, s16, v129
	v_mul_f32_e32 v102, s19, v128
	v_dual_mul_f32 v89, s19, v144 :: v_dual_mul_f32 v96, s19, v137
	v_mul_f32_e32 v95, s19, v138
	s_delay_alu instid0(VALU_DEP_4) | instskip(SKIP_2) | instid1(VALU_DEP_3)
	v_or_b32_e32 v129, v129, v75
	v_dual_mul_f32 v93, s19, v140 :: v_dual_mul_f32 v104, s19, v126
	v_dual_mul_f32 v91, s19, v142 :: v_dual_mul_f32 v106, s19, v124
	v_or_b32_e32 v131, 2, v129
	v_or_b32_e32 v132, 4, v129
	v_or_b32_e32 v81, 6, v129
	v_cmp_gt_i32_e32 vcc_lo, s18, v129
	v_or_b32_e32 v82, 8, v129
	v_cmp_gt_i32_e64 s3, s18, v131
	v_or_b32_e32 v83, 10, v129
	v_cmp_gt_i32_e64 s4, s18, v132
	v_cndmask_b32_e32 v96, 0xff7fffff, v96, vcc_lo
	v_cmp_gt_i32_e64 s5, s18, v81
	v_cndmask_b32_e64 v95, 0xff7fffff, v95, s3
	v_or_b32_e32 v84, 12, v129
	v_or_b32_e32 v85, 14, v129
	v_mul_f32_e32 v92, s19, v141
	v_cndmask_b32_e64 v94, 0xff7fffff, v94, s4
	v_cndmask_b32_e64 v81, 0xff7fffff, v93, s5
	v_max3_f32 v93, v96, 0xff7fffff, v95
	v_cmp_gt_i32_e64 s6, s18, v82
	v_cmp_gt_i32_e64 s7, s18, v83
	v_or_b32_e32 v86, 16, v129
	v_or_b32_e32 v87, 18, v129
	v_mul_f32_e32 v90, s19, v143
	v_cndmask_b32_e64 v82, 0xff7fffff, v92, s6
	v_cndmask_b32_e64 v83, 0xff7fffff, v91, s7
	v_max3_f32 v81, v93, v94, v81
	v_cmp_gt_i32_e64 s8, s18, v84
	v_cmp_gt_i32_e64 s9, s18, v85
	v_or_b32_e32 v88, 20, v129
	v_or_b32_e32 v97, 22, v129
	v_dual_mul_f32 v103, s19, v127 :: v_dual_mul_f32 v108, s19, v122
	v_mul_f32_e32 v109, s19, v121
	v_cndmask_b32_e64 v84, 0xff7fffff, v90, s8
	v_cndmask_b32_e64 v85, 0xff7fffff, v89, s9
	v_max3_f32 v81, v81, v82, v83
	v_cmp_gt_i32_e64 s10, s18, v86
	v_cmp_gt_i32_e64 s11, s18, v87
	v_or_b32_e32 v98, 24, v129
	v_or_b32_e32 v99, 26, v129
	v_mul_f32_e32 v107, s19, v123
	v_cndmask_b32_e64 v82, 0xff7fffff, v109, s10
	v_cndmask_b32_e64 v83, 0xff7fffff, v108, s11
	v_max3_f32 v81, v81, v84, v85
	v_cmp_gt_i32_e64 s12, s18, v88
	v_cmp_gt_i32_e64 s13, s18, v97
	v_or_b32_e32 v100, 28, v129
	v_or_b32_e32 v101, 30, v129
	v_mul_f32_e32 v105, s19, v125
	v_cndmask_b32_e64 v84, 0xff7fffff, v107, s12
	v_cndmask_b32_e64 v85, 0xff7fffff, v106, s13
	v_max3_f32 v81, v81, v82, v83
	v_cmp_gt_i32_e64 s15, s18, v98
	v_cmp_gt_i32_e64 s16, s18, v99
	;; [unrolled: 1-line block ×4, first 2 shown]
	v_max3_f32 v81, v81, v84, v85
	v_cndmask_b32_e64 v82, 0xff7fffff, v105, s15
	v_cndmask_b32_e64 v83, 0xff7fffff, v104, s16
	;; [unrolled: 1-line block ×4, first 2 shown]
	s_delay_alu instid0(VALU_DEP_3) | instskip(SKIP_1) | instid1(VALU_DEP_2)
	v_max3_f32 v81, v81, v82, v83
	v_lshlrev_b32_e32 v83, 2, v130
	v_max3_f32 v81, v81, v84, v85
	ds_bpermute_b32 v82, v83, v81
	s_waitcnt lgkmcnt(0)
	v_max_f32_e32 v82, v82, v82
	s_delay_alu instid0(VALU_DEP_1) | instskip(NEXT) | instid1(VALU_DEP_1)
	v_max_f32_e32 v81, v81, v82
	v_fma_f32 v82, s19, v137, -v81
	v_fma_f32 v84, s19, v138, -v81
	;; [unrolled: 1-line block ×4, first 2 shown]
	s_delay_alu instid0(VALU_DEP_4) | instskip(NEXT) | instid1(VALU_DEP_3)
	v_mul_f32_e32 v82, 0x3fb8aa3b, v82
	v_dual_mul_f32 v84, 0x3fb8aa3b, v84 :: v_dual_mul_f32 v85, 0x3fb8aa3b, v85
	s_delay_alu instid0(VALU_DEP_3) | instskip(NEXT) | instid1(VALU_DEP_3)
	v_mul_f32_e32 v86, 0x3fb8aa3b, v86
	v_exp_f32_e32 v82, v82
	s_delay_alu instid0(VALU_DEP_2) | instskip(NEXT) | instid1(VALU_DEP_2)
	v_exp_f32_e32 v84, v84
	v_exp_f32_e32 v85, v85
	s_delay_alu instid0(VALU_DEP_1) | instskip(SKIP_1) | instid1(TRANS32_DEP_3)
	v_exp_f32_e32 v90, v86
	v_cndmask_b32_e32 v87, 0, v82, vcc_lo
	v_cndmask_b32_e64 v86, 0, v84, s3
	s_waitcnt_depctr 0xfff
	v_cndmask_b32_e64 v89, 0, v85, s4
	s_mov_b32 s3, exec_lo
	v_add_f32_e32 v84, 0, v87
	s_delay_alu instid0(VALU_DEP_1) | instskip(NEXT) | instid1(VALU_DEP_1)
	v_add_f32_e32 v84, v84, v86
	v_add_f32_e32 v84, v84, v89
	v_fma_f32 v88, s19, v141, -v81
	v_fma_f32 v82, s19, v142, -v81
	;; [unrolled: 1-line block ×5, first 2 shown]
	v_mul_f32_e32 v88, 0x3fb8aa3b, v88
	s_delay_alu instid0(VALU_DEP_4) | instskip(SKIP_1) | instid1(VALU_DEP_4)
	v_dual_mul_f32 v82, 0x3fb8aa3b, v82 :: v_dual_mul_f32 v91, 0x3fb8aa3b, v91
	v_fma_f32 v100, s19, v128, -v81
	v_mul_f32_e32 v97, 0x3fb8aa3b, v95
	s_delay_alu instid0(VALU_DEP_4)
	v_exp_f32_e32 v92, v88
	v_cndmask_b32_e64 v88, 0, v90, s5
	v_fma_f32 v90, s19, v121, -v81
	v_mul_f32_e32 v85, 0x3fb8aa3b, v85
	v_exp_f32_e32 v82, v82
	v_exp_f32_e32 v93, v91
	v_add_f32_e32 v84, v84, v88
	v_mul_f32_e32 v94, 0x3fb8aa3b, v90
	v_exp_f32_e32 v85, v85
	v_exp_f32_e32 v99, v97
	v_cndmask_b32_e64 v91, 0, v92, s6
	v_fma_f32 v92, s19, v122, -v81
	v_exp_f32_e32 v94, v94
	v_fma_f32 v98, s19, v126, -v81
	v_cndmask_b32_e64 v90, 0, v82, s7
	v_cndmask_b32_e64 v93, 0, v93, s8
	v_mul_f32_e32 v92, 0x3fb8aa3b, v92
	s_delay_alu instid0(VALU_DEP_4) | instskip(NEXT) | instid1(VALU_DEP_2)
	v_mul_f32_e32 v98, 0x3fb8aa3b, v98
	v_exp_f32_e32 v96, v92
	v_cndmask_b32_e64 v92, 0, v85, s9
	v_fma_f32 v85, s19, v125, -v81
	v_add_f32_e32 v82, v84, v91
	v_fma_f32 v84, s19, v123, -v81
	v_cndmask_b32_e64 v95, 0, v94, s10
	v_exp_f32_e32 v98, v98
	s_delay_alu instid0(VALU_DEP_3) | instskip(NEXT) | instid1(VALU_DEP_3)
	v_dual_mul_f32 v85, 0x3fb8aa3b, v85 :: v_dual_add_f32 v82, v82, v90
	v_mul_f32_e32 v84, 0x3fb8aa3b, v84
	s_delay_alu instid0(TRANS32_DEP_2) | instskip(SKIP_1) | instid1(VALU_DEP_4)
	v_cndmask_b32_e64 v94, 0, v96, s11
	v_fma_f32 v96, s19, v127, -v81
	v_exp_f32_e32 v85, v85
	s_delay_alu instid0(VALU_DEP_3) | instskip(NEXT) | instid1(TRANS32_DEP_3)
	v_exp_f32_e32 v84, v84
	v_cndmask_b32_e64 v98, 0, v98, s16
	s_waitcnt_depctr 0xfff
	v_cndmask_b32_e64 v97, 0, v84, s12
	v_mul_f32_e32 v84, 0x3fb8aa3b, v96
	v_cndmask_b32_e64 v96, 0, v99, s13
	v_cndmask_b32_e64 v99, 0, v85, s15
	v_dual_mul_f32 v85, 0x3fb8aa3b, v100 :: v_dual_add_f32 v82, v82, v93
	s_delay_alu instid0(VALU_DEP_4) | instskip(NEXT) | instid1(VALU_DEP_1)
	v_exp_f32_e32 v84, v84
	v_exp_f32_e32 v85, v85
	s_delay_alu instid0(VALU_DEP_1) | instskip(NEXT) | instid1(VALU_DEP_1)
	v_add_f32_e32 v82, v82, v92
	v_add_f32_e32 v82, v82, v95
	s_waitcnt_depctr 0xfff
	v_cndmask_b32_e64 v101, 0, v84, s17
	v_cndmask_b32_e64 v100, 0, v85, s18
	v_add_f32_e32 v82, v82, v94
	s_delay_alu instid0(VALU_DEP_1) | instskip(NEXT) | instid1(VALU_DEP_1)
	v_add_f32_e32 v82, v82, v97
	v_add_f32_e32 v82, v82, v96
	s_delay_alu instid0(VALU_DEP_1) | instskip(NEXT) | instid1(VALU_DEP_1)
	v_add_f32_e32 v82, v82, v99
	;; [unrolled: 3-line block ×3, first 2 shown]
	v_add_f32_e32 v82, v82, v100
	ds_bpermute_b32 v83, v83, v82
	v_cmpx_gt_u32_e32 16, v80
	s_cbranch_execz .LBB129_14
; %bb.13:
	v_mul_u32_u24_e32 v80, 0x44, v78
	s_waitcnt lgkmcnt(0)
	v_add_f32_e32 v82, v82, v83
	s_delay_alu instid0(VALU_DEP_2) | instskip(NEXT) | instid1(VALU_DEP_1)
	v_lshl_add_u32 v80, v79, 2, v80
	v_add_nc_u32_e32 v80, 0x4000, v80
	ds_store_2addr_b32 v80, v81, v82 offset1:136
.LBB129_14:
	s_or_b32 exec_lo, exec_lo, s3
	v_lshlrev_b32_e32 v79, 2, v79
	s_load_b32 s35, s[0:1], 0x94
	s_waitcnt lgkmcnt(0)
	s_barrier
	buffer_gl0_inv
	v_add_nc_u32_e32 v83, 0x4000, v79
	v_cmp_eq_u32_e32 vcc_lo, 1, v78
	v_cmp_eq_u32_e64 s3, 2, v78
	v_cmp_eq_u32_e64 s4, 3, v78
	;; [unrolled: 1-line block ×3, first 2 shown]
	ds_load_2addr_b32 v[79:80], v83 offset1:17
	ds_load_2addr_b32 v[81:82], v83 offset0:34 offset1:51
	ds_load_2addr_b32 v[102:103], v83 offset0:68 offset1:85
	ds_load_2addr_b32 v[104:105], v83 offset0:102 offset1:119
	v_cmp_eq_u32_e64 s6, 7, v78
	s_waitcnt lgkmcnt(3)
	v_max3_f32 v84, v79, 0xff7fffff, v80
	s_waitcnt lgkmcnt(2)
	s_delay_alu instid0(VALU_DEP_1) | instskip(SKIP_1) | instid1(VALU_DEP_1)
	v_max3_f32 v84, v84, v81, v82
	s_waitcnt lgkmcnt(1)
	v_max3_f32 v84, v84, v102, v103
	s_waitcnt lgkmcnt(0)
	s_delay_alu instid0(VALU_DEP_1) | instskip(NEXT) | instid1(VALU_DEP_1)
	v_max3_f32 v84, v84, v104, v105
	v_sub_f32_e32 v102, v102, v84
	ds_load_2addr_b32 v[106:107], v83 offset0:136 offset1:153
	v_sub_f32_e32 v79, v79, v84
	v_dual_sub_f32 v109, v82, v84 :: v_dual_mul_f32 v112, 0x3fb8aa3b, v102
	s_delay_alu instid0(VALU_DEP_2) | instskip(SKIP_3) | instid1(VALU_DEP_1)
	v_dual_sub_f32 v85, v80, v84 :: v_dual_mul_f32 v108, 0x3fb8aa3b, v79
	ds_load_2addr_b32 v[79:80], v83 offset0:170 offset1:187
	v_mul_f32_e32 v85, 0x3fb8aa3b, v85
	v_exp_f32_e32 v108, v108
	v_exp_f32_e32 v111, v85
	v_mul_f32_e32 v109, 0x3fb8aa3b, v109
	s_waitcnt lgkmcnt(1)
	s_waitcnt_depctr 0xfff
	v_fma_f32 v85, v108, v106, 0
	v_sub_f32_e32 v106, v103, v84
	v_sub_f32_e32 v81, v81, v84
	v_exp_f32_e32 v109, v109
	ds_load_2addr_b32 v[102:103], v83 offset0:238 offset1:255
	v_dual_fmac_f32 v85, v111, v107 :: v_dual_mul_f32 v110, 0x3fb8aa3b, v81
	ds_load_2addr_b32 v[81:82], v83 offset0:204 offset1:221
	v_dual_sub_f32 v83, v104, v84 :: v_dual_mul_f32 v104, 0x3fb8aa3b, v106
	v_exp_f32_e32 v106, v112
	v_exp_f32_e32 v110, v110
	s_waitcnt lgkmcnt(0)
	s_delay_alu instid0(VALU_DEP_1)
	v_mul_f32_e32 v83, 0x3fb8aa3b, v83
	v_exp_f32_e32 v104, v104
	s_barrier
	buffer_gl0_inv
	v_fmac_f32_e32 v85, v110, v79
	v_sub_f32_e32 v79, v105, v84
	v_exp_f32_e32 v105, v83
	s_delay_alu instid0(VALU_DEP_2) | instskip(NEXT) | instid1(VALU_DEP_2)
	v_fmac_f32_e32 v85, v109, v80
	v_mul_f32_e32 v79, 0x3fb8aa3b, v79
	s_delay_alu instid0(VALU_DEP_2) | instskip(NEXT) | instid1(VALU_DEP_2)
	v_dual_cndmask_b32 v80, v108, v111 :: v_dual_fmac_f32 v85, v106, v81
	v_exp_f32_e32 v107, v79
	s_delay_alu instid0(VALU_DEP_1) | instskip(SKIP_2) | instid1(VALU_DEP_1)
	v_fmac_f32_e32 v85, v104, v82
	s_waitcnt_depctr 0xfff
	v_fmac_f32_e32 v85, v105, v102
	v_fmac_f32_e32 v85, v107, v103
	s_delay_alu instid0(VALU_DEP_1) | instskip(NEXT) | instid1(VALU_DEP_1)
	v_add_f32_e32 v102, 0x358637bd, v85
	v_div_scale_f32 v103, null, v102, v102, 1.0
	v_div_scale_f32 v108, vcc_lo, 1.0, v102, 1.0
	s_delay_alu instid0(VALU_DEP_2) | instskip(SKIP_2) | instid1(VALU_DEP_1)
	v_rcp_f32_e32 v112, v103
	s_waitcnt_depctr 0xfff
	v_fma_f32 v79, -v103, v112, 1.0
	v_fmac_f32_e32 v112, v79, v112
	v_cndmask_b32_e64 v79, v80, v110, s3
	v_cmp_eq_u32_e64 s3, 4, v78
	v_lshl_or_b32 v80, v78, 11, v77
	s_delay_alu instid0(VALU_DEP_4) | instskip(NEXT) | instid1(VALU_DEP_4)
	v_mul_f32_e32 v110, v108, v112
	v_cndmask_b32_e64 v81, v79, v109, s4
	v_cmp_eq_u32_e64 s4, 6, v78
	s_delay_alu instid0(VALU_DEP_4) | instskip(SKIP_3) | instid1(VALU_DEP_3)
	v_lshl_or_b32 v78, v75, 4, v80
	v_lshlrev_b32_e32 v79, 2, v75
	v_fma_f32 v82, -v103, v110, v108
	v_cndmask_b32_e64 v83, v81, v106, s3
	v_or_b32_e32 v81, 1, v79
	s_delay_alu instid0(VALU_DEP_3) | instskip(NEXT) | instid1(VALU_DEP_3)
	v_fmac_f32_e32 v110, v82, v112
	v_cndmask_b32_e64 v104, v83, v104, s5
	v_or_b32_e32 v83, 2, v79
	v_or_b32_e32 v82, 3, v79
	v_cmp_eq_u32_e64 s3, 1, v79
	v_fma_f32 v103, -v103, v110, v108
	v_cndmask_b32_e64 v104, v104, v105, s4
	v_cmp_eq_u32_e64 s9, 1, v81
	v_cmp_eq_u32_e64 s10, 1, v83
	;; [unrolled: 1-line block ×3, first 2 shown]
	v_div_fmas_f32 v103, v103, v112, v110
	v_cndmask_b32_e64 v104, v104, v107, s6
	v_cmp_eq_u32_e32 vcc_lo, 2, v79
	v_cmp_eq_u32_e64 s12, 2, v81
	v_cmp_eq_u32_e64 s15, 2, v83
	v_div_fixup_f32 v102, v103, v102, 1.0
	v_cmp_eq_u32_e64 s16, 2, v82
	v_cmp_eq_u32_e64 s18, 3, v82
	;; [unrolled: 1-line block ×4, first 2 shown]
	v_mul_f32_e32 v110, v104, v102
	v_cmp_eq_u32_e64 s17, 3, v83
	v_cmp_eq_u32_e64 s22, 4, v82
	;; [unrolled: 1-line block ×4, first 2 shown]
	v_fma_mixlo_f16 v102, v110, v87, 0
	v_fma_mixlo_f16 v103, v110, v89, 0
	;; [unrolled: 1-line block ×8, first 2 shown]
	v_fma_mixhi_f16 v102, v110, v86, 0
	v_fma_mixhi_f16 v103, v110, v88, 0
	;; [unrolled: 1-line block ×8, first 2 shown]
	ds_store_b128 v78, v[102:105]
	ds_store_b128 v78, v[106:109] offset:1024
	s_waitcnt lgkmcnt(0)
	s_barrier
	buffer_gl0_inv
	ds_load_b128 v[86:89], v80
	ds_load_b128 v[90:93], v80 offset:16
	ds_load_b128 v[94:97], v80 offset:1024
	;; [unrolled: 1-line block ×3, first 2 shown]
	v_cmp_eq_u32_e64 s21, 4, v83
	v_cmp_eq_u32_e64 s24, 5, v82
	;; [unrolled: 1-line block ×13, first 2 shown]
	s_waitcnt lgkmcnt(3)
	v_lshrrev_b32_e32 v102, 16, v86
	s_waitcnt lgkmcnt(2)
	v_lshrrev_b32_e32 v106, 16, v90
	;; [unrolled: 2-line block ×4, first 2 shown]
	v_lshrrev_b32_e32 v103, 16, v87
	v_cndmask_b32_e64 v118, v86, v102, s3
	v_cndmask_b32_e64 v119, v90, v106, s3
	;; [unrolled: 1-line block ×8, first 2 shown]
	v_lshrrev_b32_e32 v107, 16, v91
	v_cndmask_b32_e64 v102, v94, v110, s3
	v_cndmask_b32_e64 v106, v98, v114, s3
	;; [unrolled: 1-line block ×5, first 2 shown]
	v_cndmask_b32_e32 v110, v118, v87, vcc_lo
	v_cndmask_b32_e64 v118, v120, v87, s12
	v_cndmask_b32_e64 v120, v122, v87, s15
	;; [unrolled: 1-line block ×4, first 2 shown]
	v_lshrrev_b32_e32 v111, 16, v95
	v_lshrrev_b32_e32 v115, 16, v99
	v_cndmask_b32_e64 v125, v98, v114, s9
	v_cndmask_b32_e64 v127, v98, v114, s10
	;; [unrolled: 1-line block ×3, first 2 shown]
	v_cndmask_b32_e32 v114, v119, v91, vcc_lo
	v_cndmask_b32_e64 v119, v121, v91, s12
	v_cndmask_b32_e64 v121, v123, v91, s15
	v_cndmask_b32_e32 v90, v102, v95, vcc_lo
	v_cndmask_b32_e32 v91, v106, v99, vcc_lo
	v_cndmask_b32_e64 v102, v124, v95, s12
	v_cndmask_b32_e64 v86, v86, v103, s18
	;; [unrolled: 1-line block ×3, first 2 shown]
	v_lshrrev_b32_e32 v104, 16, v88
	v_lshrrev_b32_e32 v108, 16, v92
	v_cndmask_b32_e64 v106, v126, v95, s15
	v_cndmask_b32_e64 v94, v94, v95, s16
	v_cndmask_b32_e64 v95, v98, v99, s16
	v_cndmask_b32_e64 v98, v110, v103, s4
	v_cndmask_b32_e64 v110, v114, v107, s4
	v_cndmask_b32_e64 v114, v118, v103, s13
	v_cndmask_b32_e64 v118, v119, v107, s13
	v_cndmask_b32_e64 v119, v120, v103, s17
	v_cndmask_b32_e64 v120, v121, v107, s17
	v_cndmask_b32_e64 v90, v90, v111, s4
	v_cndmask_b32_e64 v91, v91, v115, s4
	v_cndmask_b32_e64 v102, v102, v111, s13
	v_cndmask_b32_e64 v86, v86, v88, s22
	v_cndmask_b32_e64 v87, v87, v92, s22
	v_lshrrev_b32_e32 v112, 16, v96
	v_cndmask_b32_e64 v98, v98, v88, s5
	v_cndmask_b32_e64 v103, v110, v92, s5
	;; [unrolled: 1-line block ×11, first 2 shown]
	v_lshrrev_b32_e32 v105, 16, v89
	v_lshrrev_b32_e32 v109, 16, v93
	v_cndmask_b32_e64 v92, v98, v104, s6
	v_cndmask_b32_e64 v98, v103, v108, s6
	;; [unrolled: 1-line block ×9, first 2 shown]
	v_lshrrev_b32_e32 v113, 16, v97
	v_cndmask_b32_e64 v88, v88, v112, s6
	v_cndmask_b32_e64 v92, v92, v89, s7
	;; [unrolled: 1-line block ×19, first 2 shown]
	v_perm_b32 v89, v87, v86, 0x5040100
	v_cndmask_b32_e64 v86, v125, v99, s12
	v_cndmask_b32_e64 v104, v88, v113, s8
	v_perm_b32 v88, v102, v98, 0x5040100
	v_perm_b32 v87, v103, v93, 0x5040100
	v_cndmask_b32_e64 v93, v106, v111, s17
	v_cndmask_b32_e64 v94, v94, v111, s18
	v_cndmask_b32_e64 v95, v95, v115, s18
	v_cndmask_b32_e64 v98, v122, v115, s17
	v_cndmask_b32_e64 v86, v86, v115, s13
	v_lshrrev_b32_e32 v116, 16, v100
	v_cndmask_b32_e64 v93, v93, v96, s21
	v_cndmask_b32_e64 v94, v94, v96, s22
	;; [unrolled: 1-line block ×11, first 2 shown]
	v_lshrrev_b32_e32 v117, 16, v101
	v_cndmask_b32_e64 v90, v90, v101, s7
	v_cndmask_b32_e64 v93, v93, v97, s26
	;; [unrolled: 1-line block ×12, first 2 shown]
	v_perm_b32 v86, v92, v91, 0x5040100
	v_perm_b32 v93, v94, v93, 0x5040100
	;; [unrolled: 1-line block ×5, first 2 shown]
	s_lshl_b32 s7, s33, 4
	s_mov_b32 s3, exec_lo
	ds_store_b128 v78, v[86:89]
	ds_store_b128 v78, v[90:93] offset:1024
	v_cmpx_gt_u32_e32 16, v0
	s_cbranch_execz .LBB129_16
; %bb.15:
	v_or_b32_e32 v86, s31, v0
	s_load_b128 s[8:11], s[0:1], 0x58
	s_delay_alu instid0(VALU_DEP_1) | instskip(NEXT) | instid1(VALU_DEP_1)
	v_mad_u64_u32 v[87:88], null, s7, s34, v[86:87]
	v_mad_u64_u32 v[88:89], null, v87, s35, s[14:15]
	s_delay_alu instid0(VALU_DEP_1) | instskip(NEXT) | instid1(VALU_DEP_1)
	v_ashrrev_i32_e32 v89, 31, v88
	v_lshlrev_b64 v[86:87], 2, v[88:89]
	s_waitcnt lgkmcnt(0)
	s_delay_alu instid0(VALU_DEP_1) | instskip(NEXT) | instid1(VALU_DEP_2)
	v_add_co_u32 v88, vcc_lo, s10, v86
	v_add_co_ci_u32_e32 v89, vcc_lo, s11, v87, vcc_lo
	v_add_co_u32 v86, vcc_lo, s8, v86
	v_add_co_ci_u32_e32 v87, vcc_lo, s9, v87, vcc_lo
	global_store_b32 v[88:89], v84, off
	global_store_b32 v[86:87], v85, off
.LBB129_16:
	s_or_b32 exec_lo, exec_lo, s3
	s_waitcnt lgkmcnt(0)
	s_waitcnt_vscnt null, 0x0
	s_barrier
	buffer_gl0_inv
	ds_load_b128 v[92:95], v77
	ds_load_b128 v[96:99], v77 offset:16
	ds_load_b128 v[104:107], v77 offset:1040
	;; [unrolled: 1-line block ×5, first 2 shown]
	v_cmp_eq_u32_e32 vcc_lo, 1, v83
	v_mov_b32_e32 v84, 0
	ds_load_b128 v[120:123], v77 offset:3088
	ds_load_b128 v[116:119], v77 offset:3072
	;; [unrolled: 1-line block ×4, first 2 shown]
	v_cmp_eq_u32_e64 s3, 1, v79
	v_cmp_eq_u32_e64 s4, 1, v82
	;; [unrolled: 1-line block ×3, first 2 shown]
	v_mov_b32_e32 v85, v84
	v_mov_b32_e32 v86, v84
	v_mov_b32_e32 v87, v84
	v_mov_b32_e32 v88, v84
	v_mov_b32_e32 v89, v84
	v_mov_b32_e32 v90, v84
	v_mov_b32_e32 v91, v84
	v_cmp_eq_u32_e64 s6, 2, v79
	s_waitcnt lgkmcnt(8)
	s_delay_alu instid0(VALU_DEP_2)
	v_wmma_f32_16x16x16_f16 v[84:91], v[65:72], v[92:99], v[84:91]
	ds_load_b128 v[69:72], v77 offset:5136
	ds_load_b128 v[65:68], v77 offset:5120
	;; [unrolled: 1-line block ×4, first 2 shown]
	s_waitcnt lgkmcnt(10)
	v_wmma_f32_16x16x16_f16 v[84:91], v[57:64], v[100:107], v[84:91]
	s_waitcnt lgkmcnt(8)
	s_delay_alu instid0(VALU_DEP_1)
	v_wmma_f32_16x16x16_f16 v[84:91], v[57:64], v[108:115], v[84:91]
	ds_load_b128 v[61:64], v77 offset:7184
	ds_load_b128 v[57:60], v77 offset:7168
	;; [unrolled: 1-line block ×4, first 2 shown]
	s_waitcnt lgkmcnt(10)
	v_wmma_f32_16x16x16_f16 v[84:91], v[49:56], v[116:123], v[84:91]
	s_waitcnt lgkmcnt(8)
	s_delay_alu instid0(VALU_DEP_1)
	v_wmma_f32_16x16x16_f16 v[84:91], v[49:56], v[124:131], v[84:91]
	ds_load_b128 v[53:56], v77 offset:9232
	ds_load_b128 v[49:52], v77 offset:9216
	s_waitcnt lgkmcnt(8)
	v_wmma_f32_16x16x16_f16 v[84:91], v[41:48], v[65:72], v[84:91]
	ds_load_b128 v[69:72], v77 offset:10256
	ds_load_b128 v[65:68], v77 offset:10240
	s_waitcnt lgkmcnt(8)
	;; [unrolled: 4-line block ×7, first 2 shown]
	s_barrier
	buffer_gl0_inv
	v_wmma_f32_16x16x16_f16 v[84:91], v[25:32], v[41:48], v[84:91]
	s_delay_alu instid0(VALU_DEP_1) | instskip(NEXT) | instid1(VALU_DEP_1)
	v_wmma_f32_16x16x16_f16 v[84:91], v[25:32], v[57:64], v[84:91]
	v_wmma_f32_16x16x16_f16 v[84:91], v[33:40], v[9:16], v[84:91]
	s_delay_alu instid0(VALU_DEP_1) | instskip(NEXT) | instid1(VALU_DEP_1)
	v_wmma_f32_16x16x16_f16 v[84:91], v[33:40], v[49:56], v[84:91]
	v_wmma_f32_16x16x16_f16 v[84:91], v[17:24], v[1:8], v[84:91]
	s_delay_alu instid0(VALU_DEP_1) | instskip(NEXT) | instid1(VALU_DEP_2)
	v_cvt_f16_f32_e32 v1, v84
	v_cvt_f16_f32_e32 v2, v85
	s_delay_alu instid0(VALU_DEP_3) | instskip(NEXT) | instid1(VALU_DEP_4)
	v_cvt_f16_f32_e32 v3, v86
	v_cvt_f16_f32_e32 v4, v87
	;; [unrolled: 1-line block ×6, first 2 shown]
	v_pack_b32_f16 v1, v1, v2
	v_pack_b32_f16 v2, v3, v4
	;; [unrolled: 1-line block ×3, first 2 shown]
	s_delay_alu instid0(VALU_DEP_4)
	v_pack_b32_f16 v4, v7, v8
	ds_store_b128 v78, v[1:4]
	s_waitcnt lgkmcnt(0)
	s_barrier
	buffer_gl0_inv
	ds_load_b128 v[1:4], v80
	ds_load_b128 v[5:8], v80 offset:16
	s_waitcnt lgkmcnt(1)
	v_lshrrev_b32_e32 v9, 16, v1
	s_waitcnt lgkmcnt(0)
	v_lshrrev_b32_e32 v13, 16, v5
	v_lshrrev_b32_e32 v10, 16, v2
	;; [unrolled: 1-line block ×4, first 2 shown]
	v_cndmask_b32_e64 v17, v1, v9, s3
	v_cndmask_b32_e64 v18, v5, v13, s3
	;; [unrolled: 1-line block ×3, first 2 shown]
	v_cmp_eq_u32_e64 s3, 2, v81
	v_cndmask_b32_e64 v20, v5, v13, s5
	v_cndmask_b32_e32 v21, v1, v9, vcc_lo
	v_cndmask_b32_e32 v22, v5, v13, vcc_lo
	v_cndmask_b32_e64 v1, v1, v9, s4
	v_cndmask_b32_e64 v5, v5, v13, s4
	v_cmp_eq_u32_e32 vcc_lo, 2, v83
	v_cmp_eq_u32_e64 s4, 2, v82
	v_cndmask_b32_e64 v9, v17, v2, s6
	v_cndmask_b32_e64 v13, v18, v6, s6
	;; [unrolled: 1-line block ×4, first 2 shown]
	v_cndmask_b32_e32 v19, v21, v2, vcc_lo
	v_cmp_eq_u32_e64 s3, 3, v83
	v_cndmask_b32_e32 v20, v22, v6, vcc_lo
	v_cndmask_b32_e64 v1, v1, v2, s4
	v_cmp_eq_u32_e32 vcc_lo, 3, v82
	v_cmp_eq_u32_e64 s5, 3, v79
	v_cndmask_b32_e64 v2, v5, v6, s4
	v_cmp_eq_u32_e64 s4, 3, v81
	v_cmp_eq_u32_e64 s6, 4, v79
	v_cndmask_b32_e32 v1, v1, v10, vcc_lo
	v_cndmask_b32_e64 v5, v9, v10, s5
	v_cndmask_b32_e64 v6, v13, v14, s5
	;; [unrolled: 1-line block ×3, first 2 shown]
	v_cmp_eq_u32_e64 s5, 4, v81
	v_cndmask_b32_e64 v13, v18, v14, s4
	v_cndmask_b32_e64 v17, v19, v10, s3
	;; [unrolled: 1-line block ×3, first 2 shown]
	v_cndmask_b32_e32 v2, v2, v14, vcc_lo
	v_cmp_eq_u32_e32 vcc_lo, 4, v83
	v_cmp_eq_u32_e64 s4, 4, v82
	v_lshrrev_b32_e32 v15, 16, v7
	v_cndmask_b32_e64 v5, v5, v3, s6
	v_cndmask_b32_e64 v6, v6, v7, s6
	v_cndmask_b32_e32 v14, v18, v7, vcc_lo
	v_cndmask_b32_e64 v9, v9, v3, s5
	v_cndmask_b32_e64 v10, v13, v7, s5
	v_cndmask_b32_e32 v13, v17, v3, vcc_lo
	v_cmp_eq_u32_e64 s3, 5, v83
	v_cndmask_b32_e64 v1, v1, v3, s4
	v_cmp_eq_u32_e32 vcc_lo, 5, v82
	v_cmp_eq_u32_e64 s5, 5, v79
	v_cndmask_b32_e64 v2, v2, v7, s4
	v_cmp_eq_u32_e64 s4, 5, v81
	v_cmp_eq_u32_e64 s6, 6, v79
	v_lshrrev_b32_e32 v12, 16, v4
	v_cndmask_b32_e64 v3, v5, v11, s5
	v_cndmask_b32_e64 v5, v6, v15, s5
	v_cndmask_b32_e64 v6, v9, v11, s4
	v_cmp_eq_u32_e64 s5, 6, v81
	v_cndmask_b32_e64 v7, v10, v15, s4
	v_cndmask_b32_e64 v9, v13, v11, s3
	;; [unrolled: 1-line block ×3, first 2 shown]
	v_cndmask_b32_e32 v1, v1, v11, vcc_lo
	v_cndmask_b32_e32 v2, v2, v15, vcc_lo
	v_cmp_eq_u32_e32 vcc_lo, 6, v83
	v_cmp_eq_u32_e64 s3, 6, v82
	v_lshrrev_b32_e32 v16, 16, v8
	v_cndmask_b32_e64 v3, v3, v4, s6
	v_cndmask_b32_e64 v5, v5, v8, s6
	v_cndmask_b32_e32 v9, v9, v4, vcc_lo
	v_cndmask_b32_e64 v6, v6, v4, s5
	v_cndmask_b32_e64 v7, v7, v8, s5
	v_cmp_eq_u32_e64 s4, 7, v83
	v_cndmask_b32_e32 v10, v10, v8, vcc_lo
	v_cndmask_b32_e64 v1, v1, v4, s3
	v_cmp_eq_u32_e32 vcc_lo, 7, v82
	v_cndmask_b32_e64 v2, v2, v8, s3
	v_cmp_eq_u32_e64 s3, 7, v79
	v_cmp_eq_u32_e64 s5, 7, v81
	v_cndmask_b32_e32 v1, v1, v12, vcc_lo
	s_delay_alu instid0(VALU_DEP_4) | instskip(NEXT) | instid1(VALU_DEP_4)
	v_cndmask_b32_e32 v2, v2, v16, vcc_lo
	v_cndmask_b32_e64 v8, v3, v12, s3
	s_delay_alu instid0(VALU_DEP_4)
	v_cndmask_b32_e64 v6, v6, v12, s5
	v_cndmask_b32_e64 v3, v9, v12, s4
	v_cndmask_b32_e64 v9, v10, v16, s4
	v_cndmask_b32_e64 v7, v7, v16, s5
	v_cndmask_b32_e64 v5, v5, v16, s3
	v_cmp_gt_u32_e32 vcc_lo, 32, v0
	v_perm_b32 v4, v2, v1, 0x5040100
	v_perm_b32 v3, v9, v3, 0x5040100
	;; [unrolled: 1-line block ×4, first 2 shown]
	s_and_b32 s2, vcc_lo, s2
	ds_store_b128 v78, v[1:4]
	s_waitcnt lgkmcnt(0)
	s_barrier
	buffer_gl0_inv
	s_and_saveexec_b32 s3, s2
	s_cbranch_execz .LBB129_2
; %bb.17:
	s_load_b64 s[0:1], s[0:1], 0x68
	v_lshlrev_b32_e32 v0, 10, v0
	s_lshl_b32 s4, s35, 6
	v_or_b32_e32 v23, s31, v75
	s_mul_i32 s2, s4, s34
	v_lshlrev_b32_e32 v1, 4, v76
	v_lshlrev_b32_e32 v2, 6, v75
	s_mul_i32 s2, s2, s7
	v_and_b32_e32 v0, 0x3800, v0
	v_mul_lo_u32 v8, v23, s4
	s_ashr_i32 s3, s2, 31
	v_or_b32_e32 v3, 2, v23
	s_lshl_b64 s[2:3], s[2:3], 1
	v_or3_b32 v27, v0, v1, v2
	v_or_b32_e32 v11, 4, v23
	v_or_b32_e32 v18, 6, v23
	v_mul_lo_u32 v10, v3, s4
	v_ashrrev_i32_e32 v9, 31, v8
	ds_load_b128 v[0:3], v27
	ds_load_b128 v[4:7], v27 offset:128
	v_mul_lo_u32 v12, v11, s4
	s_waitcnt lgkmcnt(0)
	s_add_u32 s2, s0, s2
	s_addc_u32 s3, s1, s3
	s_lshl_b32 s0, s14, 6
	v_lshlrev_b64 v[8:9], 1, v[8:9]
	s_ashr_i32 s1, s0, 31
	v_ashrrev_i32_e32 v11, 31, v10
	s_lshl_b64 s[0:1], s[0:1], 1
	v_ashrrev_i32_e32 v13, 31, v12
	s_add_u32 s0, s2, s0
	s_addc_u32 s1, s3, s1
	v_add_co_u32 v30, vcc_lo, s0, v73
	v_add_co_ci_u32_e32 v31, vcc_lo, s1, v74, vcc_lo
	v_lshlrev_b64 v[16:17], 1, v[10:11]
	s_delay_alu instid0(VALU_DEP_3) | instskip(NEXT) | instid1(VALU_DEP_3)
	v_add_co_u32 v14, vcc_lo, v30, v8
	v_add_co_ci_u32_e32 v15, vcc_lo, v31, v9, vcc_lo
	ds_load_b128 v[8:11], v27 offset:256
	v_mul_lo_u32 v18, v18, s4
	v_or_b32_e32 v19, 8, v23
	v_add_co_u32 v16, vcc_lo, v30, v16
	global_store_b128 v[14:15], v[0:3], off
	v_lshlrev_b64 v[0:1], 1, v[12:13]
	v_add_co_ci_u32_e32 v17, vcc_lo, v31, v17, vcc_lo
	v_mul_lo_u32 v12, v19, s4
	v_ashrrev_i32_e32 v19, 31, v18
	v_or_b32_e32 v14, 10, v23
	global_store_b128 v[16:17], v[4:7], off
	v_add_co_u32 v4, vcc_lo, v30, v0
	v_add_co_ci_u32_e32 v5, vcc_lo, v31, v1, vcc_lo
	ds_load_b128 v[0:3], v27 offset:384
	v_ashrrev_i32_e32 v13, 31, v12
	v_lshlrev_b64 v[6:7], 1, v[18:19]
	v_mul_lo_u32 v14, v14, s4
	s_waitcnt lgkmcnt(1)
	global_store_b128 v[4:5], v[8:11], off
	v_or_b32_e32 v8, 12, v23
	v_lshlrev_b64 v[4:5], 1, v[12:13]
	v_add_co_u32 v20, vcc_lo, v30, v6
	v_or_b32_e32 v6, 14, v23
	v_ashrrev_i32_e32 v15, 31, v14
	v_mul_lo_u32 v22, v8, s4
	v_add_co_ci_u32_e32 v21, vcc_lo, v31, v7, vcc_lo
	v_add_co_u32 v24, vcc_lo, v30, v4
	v_mul_lo_u32 v26, v6, s4
	v_add_co_ci_u32_e32 v25, vcc_lo, v31, v5, vcc_lo
	v_lshlrev_b64 v[28:29], 1, v[14:15]
	ds_load_b128 v[4:7], v27 offset:512
	ds_load_b128 v[8:11], v27 offset:640
	;; [unrolled: 1-line block ×4, first 2 shown]
	v_ashrrev_i32_e32 v23, 31, v22
	v_ashrrev_i32_e32 v27, 31, v26
	v_add_co_u32 v28, vcc_lo, v30, v28
	s_delay_alu instid0(VALU_DEP_3) | instskip(SKIP_1) | instid1(VALU_DEP_4)
	v_lshlrev_b64 v[22:23], 1, v[22:23]
	v_add_co_ci_u32_e32 v29, vcc_lo, v31, v29, vcc_lo
	v_lshlrev_b64 v[26:27], 1, v[26:27]
	s_delay_alu instid0(VALU_DEP_3) | instskip(NEXT) | instid1(VALU_DEP_4)
	v_add_co_u32 v22, vcc_lo, v30, v22
	v_add_co_ci_u32_e32 v23, vcc_lo, v31, v23, vcc_lo
	s_delay_alu instid0(VALU_DEP_3) | instskip(NEXT) | instid1(VALU_DEP_4)
	v_add_co_u32 v26, vcc_lo, v30, v26
	v_add_co_ci_u32_e32 v27, vcc_lo, v31, v27, vcc_lo
	s_waitcnt lgkmcnt(4)
	global_store_b128 v[20:21], v[0:3], off
	s_waitcnt lgkmcnt(3)
	global_store_b128 v[24:25], v[4:7], off
	;; [unrolled: 2-line block ×5, first 2 shown]
	s_nop 0
	s_sendmsg sendmsg(MSG_DEALLOC_VGPRS)
	s_endpgm
	.section	.rodata,"a",@progbits
	.p2align	6, 0x0
	.amdhsa_kernel _Z39paged_attention_ll4mi_QKV_mfma16_kernelIDF16_DF16_LN4vllm18Fp8KVCacheDataTypeE0EhLi32ELi64ELi256ELb1ELi16EL8MFMAType0EEvPKT_PKT0_S8_ifPKiSA_SA_iPKfiiiPfSD_PS3_PT2_iSC_SC_
		.amdhsa_group_segment_fixed_size 17472
		.amdhsa_private_segment_fixed_size 0
		.amdhsa_kernarg_size 400
		.amdhsa_user_sgpr_count 13
		.amdhsa_user_sgpr_dispatch_ptr 0
		.amdhsa_user_sgpr_queue_ptr 0
		.amdhsa_user_sgpr_kernarg_segment_ptr 1
		.amdhsa_user_sgpr_dispatch_id 0
		.amdhsa_user_sgpr_private_segment_size 0
		.amdhsa_wavefront_size32 1
		.amdhsa_uses_dynamic_stack 0
		.amdhsa_enable_private_segment 0
		.amdhsa_system_sgpr_workgroup_id_x 1
		.amdhsa_system_sgpr_workgroup_id_y 1
		.amdhsa_system_sgpr_workgroup_id_z 1
		.amdhsa_system_sgpr_workgroup_info 0
		.amdhsa_system_vgpr_workitem_id 0
		.amdhsa_next_free_vgpr 149
		.amdhsa_next_free_sgpr 39
		.amdhsa_reserve_vcc 1
		.amdhsa_float_round_mode_32 0
		.amdhsa_float_round_mode_16_64 0
		.amdhsa_float_denorm_mode_32 3
		.amdhsa_float_denorm_mode_16_64 3
		.amdhsa_dx10_clamp 1
		.amdhsa_ieee_mode 1
		.amdhsa_fp16_overflow 0
		.amdhsa_workgroup_processor_mode 1
		.amdhsa_memory_ordered 1
		.amdhsa_forward_progress 0
		.amdhsa_shared_vgpr_count 0
		.amdhsa_exception_fp_ieee_invalid_op 0
		.amdhsa_exception_fp_denorm_src 0
		.amdhsa_exception_fp_ieee_div_zero 0
		.amdhsa_exception_fp_ieee_overflow 0
		.amdhsa_exception_fp_ieee_underflow 0
		.amdhsa_exception_fp_ieee_inexact 0
		.amdhsa_exception_int_div_zero 0
	.end_amdhsa_kernel
	.section	.text._Z39paged_attention_ll4mi_QKV_mfma16_kernelIDF16_DF16_LN4vllm18Fp8KVCacheDataTypeE0EhLi32ELi64ELi256ELb1ELi16EL8MFMAType0EEvPKT_PKT0_S8_ifPKiSA_SA_iPKfiiiPfSD_PS3_PT2_iSC_SC_,"axG",@progbits,_Z39paged_attention_ll4mi_QKV_mfma16_kernelIDF16_DF16_LN4vllm18Fp8KVCacheDataTypeE0EhLi32ELi64ELi256ELb1ELi16EL8MFMAType0EEvPKT_PKT0_S8_ifPKiSA_SA_iPKfiiiPfSD_PS3_PT2_iSC_SC_,comdat
.Lfunc_end129:
	.size	_Z39paged_attention_ll4mi_QKV_mfma16_kernelIDF16_DF16_LN4vllm18Fp8KVCacheDataTypeE0EhLi32ELi64ELi256ELb1ELi16EL8MFMAType0EEvPKT_PKT0_S8_ifPKiSA_SA_iPKfiiiPfSD_PS3_PT2_iSC_SC_, .Lfunc_end129-_Z39paged_attention_ll4mi_QKV_mfma16_kernelIDF16_DF16_LN4vllm18Fp8KVCacheDataTypeE0EhLi32ELi64ELi256ELb1ELi16EL8MFMAType0EEvPKT_PKT0_S8_ifPKiSA_SA_iPKfiiiPfSD_PS3_PT2_iSC_SC_
                                        ; -- End function
	.section	.AMDGPU.csdata,"",@progbits
; Kernel info:
; codeLenInByte = 7432
; NumSgprs: 41
; NumVgprs: 149
; ScratchSize: 0
; MemoryBound: 0
; FloatMode: 240
; IeeeMode: 1
; LDSByteSize: 17472 bytes/workgroup (compile time only)
; SGPRBlocks: 5
; VGPRBlocks: 18
; NumSGPRsForWavesPerEU: 41
; NumVGPRsForWavesPerEU: 149
; Occupancy: 9
; WaveLimiterHint : 1
; COMPUTE_PGM_RSRC2:SCRATCH_EN: 0
; COMPUTE_PGM_RSRC2:USER_SGPR: 13
; COMPUTE_PGM_RSRC2:TRAP_HANDLER: 0
; COMPUTE_PGM_RSRC2:TGID_X_EN: 1
; COMPUTE_PGM_RSRC2:TGID_Y_EN: 1
; COMPUTE_PGM_RSRC2:TGID_Z_EN: 1
; COMPUTE_PGM_RSRC2:TIDIG_COMP_CNT: 0
	.section	.text._Z39paged_attention_ll4mi_QKV_mfma16_kernelIDF16_DF16_LN4vllm18Fp8KVCacheDataTypeE0EhLi32ELi64ELi256ELb1ELi1EL8MFMAType0EEvPKT_PKT0_S8_ifPKiSA_SA_iPKfiiiPfSD_PS3_PT2_iSC_SC_,"axG",@progbits,_Z39paged_attention_ll4mi_QKV_mfma16_kernelIDF16_DF16_LN4vllm18Fp8KVCacheDataTypeE0EhLi32ELi64ELi256ELb1ELi1EL8MFMAType0EEvPKT_PKT0_S8_ifPKiSA_SA_iPKfiiiPfSD_PS3_PT2_iSC_SC_,comdat
	.protected	_Z39paged_attention_ll4mi_QKV_mfma16_kernelIDF16_DF16_LN4vllm18Fp8KVCacheDataTypeE0EhLi32ELi64ELi256ELb1ELi1EL8MFMAType0EEvPKT_PKT0_S8_ifPKiSA_SA_iPKfiiiPfSD_PS3_PT2_iSC_SC_ ; -- Begin function _Z39paged_attention_ll4mi_QKV_mfma16_kernelIDF16_DF16_LN4vllm18Fp8KVCacheDataTypeE0EhLi32ELi64ELi256ELb1ELi1EL8MFMAType0EEvPKT_PKT0_S8_ifPKiSA_SA_iPKfiiiPfSD_PS3_PT2_iSC_SC_
	.globl	_Z39paged_attention_ll4mi_QKV_mfma16_kernelIDF16_DF16_LN4vllm18Fp8KVCacheDataTypeE0EhLi32ELi64ELi256ELb1ELi1EL8MFMAType0EEvPKT_PKT0_S8_ifPKiSA_SA_iPKfiiiPfSD_PS3_PT2_iSC_SC_
	.p2align	8
	.type	_Z39paged_attention_ll4mi_QKV_mfma16_kernelIDF16_DF16_LN4vllm18Fp8KVCacheDataTypeE0EhLi32ELi64ELi256ELb1ELi1EL8MFMAType0EEvPKT_PKT0_S8_ifPKiSA_SA_iPKfiiiPfSD_PS3_PT2_iSC_SC_,@function
_Z39paged_attention_ll4mi_QKV_mfma16_kernelIDF16_DF16_LN4vllm18Fp8KVCacheDataTypeE0EhLi32ELi64ELi256ELb1ELi1EL8MFMAType0EEvPKT_PKT0_S8_ifPKiSA_SA_iPKfiiiPfSD_PS3_PT2_iSC_SC_: ; @_Z39paged_attention_ll4mi_QKV_mfma16_kernelIDF16_DF16_LN4vllm18Fp8KVCacheDataTypeE0EhLi32ELi64ELi256ELb1ELi1EL8MFMAType0EEvPKT_PKT0_S8_ifPKiSA_SA_iPKfiiiPfSD_PS3_PT2_iSC_SC_
; %bb.0:
	s_load_b64 s[4:5], s[0:1], 0x30
	s_mov_b32 s34, s13
	s_waitcnt lgkmcnt(0)
	s_cmp_lg_u64 s[4:5], 0
	s_cselect_b32 s6, -1, 0
	s_ashr_i32 s35, s13, 31
	s_cmp_eq_u64 s[4:5], 0
	s_cbranch_scc1 .LBB130_3
; %bb.1:
	s_lshl_b64 s[2:3], s[34:35], 2
	s_delay_alu instid0(SALU_CYCLE_1) | instskip(SKIP_4) | instid1(SALU_CYCLE_1)
	s_add_u32 s2, s4, s2
	s_addc_u32 s3, s5, s3
	s_load_b64 s[2:3], s[2:3], 0x0
	s_waitcnt lgkmcnt(0)
	s_sub_i32 s2, s3, s2
	s_cmp_eq_u32 s2, 1
	s_cselect_b32 s2, -1, 0
	s_delay_alu instid0(SALU_CYCLE_1)
	s_and_not1_b32 vcc_lo, exec_lo, s2
	s_cbranch_vccz .LBB130_4
.LBB130_2:
	s_endpgm
.LBB130_3:
.LBB130_4:
	s_load_b64 s[2:3], s[0:1], 0x28
	s_lshl_b64 s[8:9], s[34:35], 2
	s_waitcnt lgkmcnt(0)
	s_add_u32 s2, s2, s8
	s_addc_u32 s3, s3, s9
	s_lshl_b32 s12, s14, 8
	s_load_b32 s33, s[2:3], 0x0
	s_waitcnt lgkmcnt(0)
	s_cmp_ge_i32 s12, s33
	s_cbranch_scc1 .LBB130_2
; %bb.5:
	s_clause 0x1
	s_load_b128 s[56:59], s[0:1], 0x8
	s_load_b64 s[2:3], s[0:1], 0x20
	s_and_not1_b32 vcc_lo, exec_lo, s6
	s_mov_b64 s[6:7], s[34:35]
	s_cbranch_vccnz .LBB130_7
; %bb.6:
	s_add_u32 s4, s4, s8
	s_addc_u32 s5, s5, s9
	s_load_b32 s6, s[4:5], 0x0
.LBB130_7:
	s_load_b128 s[52:55], s[0:1], 0x48
	v_and_b32_e32 v113, 15, v0
	s_mov_b32 s13, exec_lo
                                        ; implicit-def: $sgpr36
                                        ; implicit-def: $sgpr24
                                        ; implicit-def: $sgpr4
                                        ; implicit-def: $sgpr16
	s_delay_alu instid0(VALU_DEP_1)
	v_cmpx_eq_u32_e32 0, v113
	s_cbranch_execz .LBB130_9
; %bb.8:
	s_load_b64 s[4:5], s[0:1], 0x0
	s_waitcnt lgkmcnt(0)
	s_mul_hi_i32 s7, s6, s52
	s_mul_i32 s6, s6, s52
	s_delay_alu instid0(SALU_CYCLE_1) | instskip(NEXT) | instid1(SALU_CYCLE_1)
	s_lshl_b64 s[6:7], s[6:7], 1
	s_add_u32 s6, s4, s6
	s_addc_u32 s7, s5, s7
	s_lshl_b32 s4, s15, 6
	s_delay_alu instid0(SALU_CYCLE_1) | instskip(NEXT) | instid1(SALU_CYCLE_1)
	s_ashr_i32 s5, s4, 31
	s_lshl_b64 s[4:5], s[4:5], 1
	s_delay_alu instid0(SALU_CYCLE_1)
	s_add_u32 s16, s6, s4
	s_addc_u32 s17, s7, s5
	s_clause 0x3
	s_load_b256 s[36:43], s[16:17], 0x0
	s_load_b256 s[24:31], s[16:17], 0x20
	;; [unrolled: 1-line block ×4, first 2 shown]
.LBB130_9:
	s_or_b32 exec_lo, exec_lo, s13
	v_and_b32_e32 v1, 0xef, v0
	s_waitcnt lgkmcnt(0)
	v_dual_mov_b32 v33, s36 :: v_dual_mov_b32 v40, s43
	v_mov_b32_e32 v34, s37
	s_add_i32 s13, s33, 31
	v_dual_mov_b32 v36, s39 :: v_dual_add_nc_u32 v1, s12, v1
	s_ashr_i32 s35, s13, 31
	s_load_b32 s44, s[0:1], 0x38
	s_lshr_b32 s35, s35, 27
	s_delay_alu instid0(VALU_DEP_1)
	v_ashrrev_i32_e32 v2, 31, v1
	v_or_b32_e32 v3, 16, v1
	s_add_i32 s13, s13, s35
	s_load_b32 s35, s[0:1], 0x1c
	s_ashr_i32 s13, s13, 5
	v_lshrrev_b32_e32 v2, 27, v2
	s_add_i32 s13, s13, -1
	v_cmp_gt_i32_e32 vcc_lo, s33, v1
	v_dual_mov_b32 v123, s31 :: v_dual_mov_b32 v118, s26
	s_delay_alu instid0(VALU_DEP_3) | instskip(SKIP_2) | instid1(VALU_DEP_3)
	v_dual_mov_b32 v35, s38 :: v_dual_add_nc_u32 v4, v1, v2
	v_dual_mov_b32 v37, s40 :: v_dual_mov_b32 v122, s30
	v_dual_mov_b32 v39, s42 :: v_dual_mov_b32 v120, s28
	v_ashrrev_i32_e32 v4, 5, v4
	v_add_nc_u32_e32 v2, v3, v2
	s_waitcnt lgkmcnt(0)
	s_mul_i32 s44, s34, s44
	v_dual_mov_b32 v121, s29 :: v_dual_mov_b32 v116, s24
	v_cndmask_b32_e32 v1, s13, v4, vcc_lo
	v_ashrrev_i32_e32 v2, 5, v2
	v_cmp_gt_i32_e32 vcc_lo, s33, v3
	s_ashr_i32 s45, s44, 31
	v_lshlrev_b32_e32 v114, 6, v113
	s_lshl_b64 s[44:45], s[44:45], 2
	v_lshrrev_b32_e32 v115, 5, v0
	v_cndmask_b32_e32 v3, s13, v2, vcc_lo
	v_ashrrev_i32_e32 v2, 31, v1
	s_add_u32 s52, s2, s44
	s_addc_u32 s55, s3, s45
	s_mul_i32 s2, s15, s54
	v_ashrrev_i32_e32 v4, 31, v3
	v_lshlrev_b64 v[1:2], 2, v[1:2]
	s_ashr_i32 s3, s2, 31
	v_mov_b32_e32 v38, s41
	s_lshl_b64 s[2:3], s[2:3], 1
	v_lshlrev_b64 v[3:4], 2, v[3:4]
	s_add_u32 s63, s56, s2
	v_add_co_u32 v1, vcc_lo, s52, v1
	v_add_co_ci_u32_e32 v2, vcc_lo, s55, v2, vcc_lo
	s_delay_alu instid0(VALU_DEP_3) | instskip(NEXT) | instid1(VALU_DEP_4)
	v_add_co_u32 v3, vcc_lo, s52, v3
	v_add_co_ci_u32_e32 v4, vcc_lo, s55, v4, vcc_lo
	s_clause 0x1
	global_load_b32 v5, v[1:2], off
	global_load_b32 v6, v[3:4], off
	s_addc_u32 s68, s57, s3
	s_lshl_b32 s44, s14, 3
	s_delay_alu instid0(SALU_CYCLE_1) | instskip(NEXT) | instid1(SALU_CYCLE_1)
	s_ashr_i32 s45, s44, 31
	s_lshl_b64 s[44:45], s[44:45], 2
	s_delay_alu instid0(SALU_CYCLE_1) | instskip(SKIP_2) | instid1(SALU_CYCLE_1)
	s_add_u32 s44, s52, s44
	s_addc_u32 s45, s55, s45
	s_or_b32 s46, s12, 32
	s_ashr_i32 s47, s46, 5
	s_cmp_lt_i32 s46, s33
	s_cselect_b32 s46, s47, s13
	s_delay_alu instid0(SALU_CYCLE_1) | instskip(NEXT) | instid1(SALU_CYCLE_1)
	s_ashr_i32 s47, s46, 31
	s_lshl_b64 s[46:47], s[46:47], 2
	s_delay_alu instid0(SALU_CYCLE_1) | instskip(SKIP_2) | instid1(SALU_CYCLE_1)
	s_add_u32 s46, s52, s46
	s_addc_u32 s47, s55, s47
	s_or_b32 s48, s12, 64
	s_ashr_i32 s49, s48, 5
	s_cmp_lt_i32 s48, s33
	s_cselect_b32 s48, s49, s13
	;; [unrolled: 10-line block ×5, first 2 shown]
	s_delay_alu instid0(SALU_CYCLE_1) | instskip(NEXT) | instid1(SALU_CYCLE_1)
	s_ashr_i32 s57, s56, 31
	s_lshl_b64 s[56:57], s[56:57], 2
	s_delay_alu instid0(SALU_CYCLE_1)
	s_add_u32 s66, s52, s56
	s_addc_u32 s67, s55, s57
	s_clause 0x5
	s_load_b32 s62, s[44:45], 0x0
	s_load_b32 s61, s[46:47], 0x0
	;; [unrolled: 1-line block ×6, first 2 shown]
	s_mov_b32 s44, 0
	s_delay_alu instid0(SALU_CYCLE_1)
	s_mov_b32 s45, s44
	s_mov_b32 s46, s44
	;; [unrolled: 1-line block ×7, first 2 shown]
	v_mov_b32_e32 v119, s27
	v_mov_b32_e32 v117, s25
	s_or_b32 s24, s12, 0xc0
	v_dual_mov_b32 v131, s51 :: v_dual_mov_b32 v126, s46
	s_ashr_i32 s25, s24, 5
	s_cmp_lt_i32 s24, s33
	v_mov_b32_e32 v130, s50
	s_cselect_b32 s24, s25, s13
	v_dual_mov_b32 v129, s49 :: v_dual_mov_b32 v124, s44
	s_ashr_i32 s25, s24, 31
	v_mov_b32_e32 v128, s48
	s_lshl_b64 s[24:25], s[24:25], 2
	v_mov_b32_e32 v127, s47
	s_add_u32 s24, s52, s24
	s_addc_u32 s25, s55, s25
	s_or_b32 s28, s12, 0xe0
	v_mov_b32_e32 v125, s45
	s_ashr_i32 s30, s28, 5
	s_cmp_lt_i32 s28, s33
	s_waitcnt lgkmcnt(0)
	s_mul_hi_i32 s27, s62, s53
	s_cselect_b32 s30, s30, s13
	s_mul_i32 s26, s62, s53
	s_ashr_i32 s31, s30, 31
	s_mul_hi_i32 s29, s61, s53
	s_lshl_b64 s[30:31], s[30:31], 2
	s_mul_i32 s28, s61, s53
	s_add_u32 s30, s52, s30
	s_addc_u32 s31, s55, s31
	s_add_i32 s40, s12, 0x100
	s_mul_hi_i32 s37, s60, s53
	s_mul_i32 s36, s60, s53
	s_mul_hi_i32 s39, s57, s53
	s_mul_i32 s38, s57, s53
	;; [unrolled: 2-line block ×3, first 2 shown]
	s_ashr_i32 s41, s40, 5
	s_cmp_lt_i32 s40, s33
	s_cselect_b32 s40, s41, s13
	s_delay_alu instid0(SALU_CYCLE_1) | instskip(NEXT) | instid1(SALU_CYCLE_1)
	s_ashr_i32 s41, s40, 31
	s_lshl_b64 s[40:41], s[40:41], 2
	s_delay_alu instid0(SALU_CYCLE_1)
	s_add_u32 s40, s52, s40
	s_addc_u32 s41, s55, s41
	s_add_u32 s13, s58, s2
	s_waitcnt vmcnt(1)
	v_mad_i64_i32 v[1:2], null, v5, s53, 0
	s_waitcnt vmcnt(0)
	v_mad_i64_i32 v[3:4], null, v6, s53, 0
	v_lshlrev_b32_e32 v5, 4, v113
	s_delay_alu instid0(VALU_DEP_3) | instskip(NEXT) | instid1(VALU_DEP_3)
	v_lshlrev_b64 v[1:2], 1, v[1:2]
	v_lshlrev_b64 v[3:4], 1, v[3:4]
	s_delay_alu instid0(VALU_DEP_2) | instskip(NEXT) | instid1(VALU_DEP_3)
	v_add_co_u32 v1, vcc_lo, s63, v1
	v_add_co_ci_u32_e32 v2, vcc_lo, s68, v2, vcc_lo
	s_delay_alu instid0(VALU_DEP_3) | instskip(NEXT) | instid1(VALU_DEP_4)
	v_add_co_u32 v3, vcc_lo, s63, v3
	v_add_co_ci_u32_e32 v4, vcc_lo, s68, v4, vcc_lo
	s_delay_alu instid0(VALU_DEP_4) | instskip(NEXT) | instid1(VALU_DEP_4)
	v_add_co_u32 v17, vcc_lo, v1, v5
	v_add_co_ci_u32_e32 v18, vcc_lo, 0, v2, vcc_lo
	s_delay_alu instid0(VALU_DEP_4) | instskip(NEXT) | instid1(VALU_DEP_4)
	v_add_co_u32 v19, vcc_lo, v3, v5
	v_add_co_ci_u32_e32 v20, vcc_lo, 0, v4, vcc_lo
	s_clause 0xf
	global_load_b128 v[1:4], v[17:18], off
	global_load_b128 v[5:8], v[17:18], off offset:512
	global_load_b128 v[9:12], v[19:20], off offset:256
	;; [unrolled: 1-line block ×15, first 2 shown]
	v_lshl_or_b32 v17, v115, 10, v114
	s_clause 0x2
	s_load_b32 s44, s[24:25], 0x0
	s_load_b32 s45, s[30:31], 0x0
	;; [unrolled: 1-line block ×3, first 2 shown]
	s_addc_u32 s41, s59, s3
	s_lshl_b64 s[2:3], s[26:27], 1
	v_add_co_u32 v144, s13, s13, v17
	s_delay_alu instid0(VALU_DEP_1) | instskip(SKIP_1) | instid1(VALU_DEP_2)
	v_add_co_ci_u32_e64 v145, null, s41, 0, s13
	s_lshl_b64 s[26:27], s[28:29], 1
	v_add_co_u32 v17, vcc_lo, v144, s2
	s_delay_alu instid0(VALU_DEP_2)
	v_add_co_ci_u32_e32 v18, vcc_lo, s3, v145, vcc_lo
	v_add_co_u32 v19, vcc_lo, v144, s26
	s_lshl_b64 s[28:29], s[36:37], 1
	v_add_co_ci_u32_e32 v20, vcc_lo, s27, v145, vcc_lo
	v_add_co_u32 v21, vcc_lo, v144, s28
	s_lshl_b64 s[30:31], s[38:39], 1
	s_mul_hi_i32 s25, s56, s53
	s_mul_i32 s24, s56, s53
	v_add_co_ci_u32_e32 v22, vcc_lo, s29, v145, vcc_lo
	v_add_co_u32 v23, vcc_lo, v144, s30
	s_lshl_b64 s[24:25], s[24:25], 1
	v_add_co_ci_u32_e32 v24, vcc_lo, s31, v145, vcc_lo
	v_add_co_u32 v132, vcc_lo, v144, s24
	s_lshl_b64 s[36:37], s[42:43], 1
	s_waitcnt lgkmcnt(0)
	s_mul_hi_i32 s39, s44, s53
	s_mul_i32 s38, s44, s53
	v_add_co_ci_u32_e32 v133, vcc_lo, s25, v145, vcc_lo
	v_add_co_u32 v140, vcc_lo, v144, s36
	s_lshl_b64 s[38:39], s[38:39], 1
	v_add_co_ci_u32_e32 v141, vcc_lo, s37, v145, vcc_lo
	s_mul_hi_i32 s3, s45, s53
	s_mul_i32 s2, s45, s53
	v_add_co_u32 v142, vcc_lo, v144, s38
	s_lshl_b64 s[2:3], s[2:3], 1
	v_add_co_ci_u32_e32 v143, vcc_lo, s39, v145, vcc_lo
	s_clause 0x9
	global_load_b128 v[65:68], v[17:18], off
	global_load_b128 v[69:72], v[17:18], off offset:16
	global_load_b128 v[57:60], v[19:20], off
	global_load_b128 v[61:64], v[19:20], off offset:16
	;; [unrolled: 2-line block ×5, first 2 shown]
	s_mul_hi_i32 s25, s40, s53
	s_mul_i32 s24, s40, s53
	s_waitcnt vmcnt(24)
	v_wmma_f32_16x16x16_f16 v[132:139], v[1:8], v[33:40], v[124:131]
	s_waitcnt vmcnt(22)
	v_wmma_f32_16x16x16_f16 v[124:131], v[9:16], v[33:40], v[124:131]
	v_add_co_u32 v37, vcc_lo, v144, s2
	v_add_co_ci_u32_e32 v38, vcc_lo, s3, v145, vcc_lo
	s_lshl_b64 s[2:3], s[24:25], 1
	s_clause 0x1
	global_load_b128 v[9:12], v[140:141], off
	global_load_b128 v[13:16], v[140:141], off offset:16
	v_add_co_u32 v140, vcc_lo, v144, s2
	v_add_co_ci_u32_e32 v141, vcc_lo, s3, v145, vcc_lo
	s_clause 0x1
	global_load_b128 v[1:4], v[142:143], off
	global_load_b128 v[5:8], v[142:143], off offset:16
	s_waitcnt vmcnt(24)
	v_wmma_f32_16x16x16_f16 v[132:139], v[25:32], v[116:123], v[132:139]
	s_clause 0x3
	global_load_b128 v[33:36], v[37:38], off
	global_load_b128 v[37:40], v[37:38], off offset:16
	global_load_b128 v[25:28], v[140:141], off
	global_load_b128 v[29:32], v[140:141], off offset:16
	s_waitcnt vmcnt(26)
	v_wmma_f32_16x16x16_f16 v[124:131], v[105:112], v[116:123], v[124:131]
	v_and_b32_e32 v106, 0xe0, v0
	v_mbcnt_lo_u32_b32 v107, -1, 0
	v_dual_mov_b32 v123, s11 :: v_dual_mov_b32 v122, s10
	v_dual_mov_b32 v121, s9 :: v_dual_mov_b32 v120, s8
	;; [unrolled: 1-line block ×4, first 2 shown]
	v_bfe_u32 v105, v0, 4, 1
	v_add_nc_u32_e32 v106, s12, v106
	v_xor_b32_e32 v108, 16, v107
	s_waitcnt vmcnt(0)
	v_wmma_f32_16x16x16_f16 v[132:139], v[97:104], v[116:123], v[132:139]
	v_dual_mov_b32 v104, s23 :: v_dual_mov_b32 v103, s22
	v_or_b32_e32 v106, v106, v105
	v_dual_mov_b32 v102, s21 :: v_dual_mov_b32 v101, s20
	v_dual_mov_b32 v100, s19 :: v_dual_mov_b32 v99, s18
	;; [unrolled: 1-line block ×3, first 2 shown]
	v_cmp_gt_i32_e32 vcc_lo, 32, v108
	v_wmma_f32_16x16x16_f16 v[124:131], v[89:96], v[116:123], v[124:131]
	v_or_b32_e32 v109, 4, v106
	v_or_b32_e32 v110, 6, v106
	v_wmma_f32_16x16x16_f16 v[132:139], v[81:88], v[97:104], v[132:139]
	v_cndmask_b32_e32 v107, v107, v108, vcc_lo
	v_or_b32_e32 v108, 2, v106
	v_wmma_f32_16x16x16_f16 v[124:131], v[73:80], v[97:104], v[124:131]
	v_cmp_gt_i32_e32 vcc_lo, s33, v106
	v_dual_mul_f32 v74, s35, v138 :: v_dual_mul_f32 v77, s35, v135
	v_dual_mul_f32 v80, s35, v132 :: v_dual_mul_f32 v79, s35, v133
	s_delay_alu instid0(VALU_DEP_4)
	v_mul_f32_e32 v84, s35, v131
	v_cmp_gt_i32_e64 s2, s33, v108
	v_or_b32_e32 v111, 8, v106
	v_or_b32_e32 v112, 10, v106
	v_dual_mul_f32 v75, s35, v137 :: v_dual_mul_f32 v78, s35, v134
	v_cndmask_b32_e32 v80, 0xff7fffff, v80, vcc_lo
	v_cndmask_b32_e64 v79, 0xff7fffff, v79, s2
	v_cmp_gt_i32_e64 s3, s33, v109
	v_cmp_gt_i32_e64 s4, s33, v110
	v_or_b32_e32 v89, 12, v106
	v_or_b32_e32 v90, 14, v106
	v_dual_mul_f32 v73, s35, v139 :: v_dual_mul_f32 v76, s35, v136
	v_cndmask_b32_e64 v78, 0xff7fffff, v78, s3
	v_cndmask_b32_e64 v77, 0xff7fffff, v77, s4
	v_max3_f32 v79, v80, 0xff7fffff, v79
	v_cmp_gt_i32_e64 s5, s33, v111
	v_cmp_gt_i32_e64 s6, s33, v112
	v_or_b32_e32 v91, 16, v106
	v_or_b32_e32 v92, 18, v106
	v_max3_f32 v77, v79, v78, v77
	v_cndmask_b32_e64 v76, 0xff7fffff, v76, s5
	v_cndmask_b32_e64 v75, 0xff7fffff, v75, s6
	v_cmp_gt_i32_e64 s7, s33, v89
	v_cmp_gt_i32_e64 s8, s33, v90
	v_or_b32_e32 v93, 20, v106
	v_or_b32_e32 v94, 22, v106
	;; [unrolled: 1-line block ×3, first 2 shown]
	v_dual_mul_f32 v96, s35, v126 :: v_dual_mul_f32 v97, s35, v125
	v_mul_f32_e32 v98, s35, v124
	v_cndmask_b32_e64 v74, 0xff7fffff, v74, s7
	v_cndmask_b32_e64 v73, 0xff7fffff, v73, s8
	v_max3_f32 v75, v77, v76, v75
	v_cmp_gt_i32_e64 s9, s33, v91
	v_cmp_gt_i32_e64 s10, s33, v92
	v_or_b32_e32 v95, 24, v106
	v_dual_mul_f32 v87, s35, v128 :: v_dual_mul_f32 v88, s35, v127
	v_max3_f32 v73, v75, v74, v73
	s_delay_alu instid0(VALU_DEP_4)
	v_cndmask_b32_e64 v77, 0xff7fffff, v97, s10
	v_cmp_gt_i32_e64 s11, s33, v93
	v_cmp_gt_i32_e64 s12, s33, v94
	;; [unrolled: 1-line block ×3, first 2 shown]
	v_lshlrev_b32_e32 v81, 2, v107
	v_cndmask_b32_e64 v76, 0xff7fffff, v98, s9
	v_or_b32_e32 v82, 28, v106
	v_or_b32_e32 v83, 30, v106
	v_dual_mul_f32 v85, s35, v130 :: v_dual_mul_f32 v86, s35, v129
	v_cndmask_b32_e64 v74, 0xff7fffff, v96, s11
	v_cndmask_b32_e64 v75, 0xff7fffff, v88, s12
	v_max3_f32 v73, v73, v76, v77
	v_cmp_gt_i32_e64 s13, s33, v95
	v_cndmask_b32_e64 v77, 0xff7fffff, v86, s16
	v_cmp_gt_i32_e64 s17, s33, v82
	v_cmp_gt_i32_e64 s18, s33, v83
	v_max3_f32 v73, v73, v74, v75
	v_cndmask_b32_e64 v76, 0xff7fffff, v87, s13
	s_barrier
	v_cndmask_b32_e64 v74, 0xff7fffff, v85, s17
	v_cndmask_b32_e64 v75, 0xff7fffff, v84, s18
	buffer_gl0_inv
	v_max3_f32 v73, v73, v76, v77
	s_delay_alu instid0(VALU_DEP_1) | instskip(SKIP_3) | instid1(VALU_DEP_1)
	v_max3_f32 v73, v73, v74, v75
	ds_bpermute_b32 v74, v81, v73
	s_waitcnt lgkmcnt(0)
	v_max_f32_e32 v74, v74, v74
	v_max_f32_e32 v73, v73, v74
	s_delay_alu instid0(VALU_DEP_1) | instskip(SKIP_4) | instid1(VALU_DEP_4)
	v_fma_f32 v74, s35, v132, -v73
	v_fma_f32 v77, s35, v135, -v73
	;; [unrolled: 1-line block ×5, first 2 shown]
	v_dual_mul_f32 v74, 0x3fb8aa3b, v74 :: v_dual_mul_f32 v79, 0x3fb8aa3b, v77
	s_delay_alu instid0(VALU_DEP_4) | instskip(SKIP_1) | instid1(VALU_DEP_3)
	v_mul_f32_e32 v75, 0x3fb8aa3b, v75
	v_fma_f32 v83, s35, v138, -v73
	v_exp_f32_e32 v74, v74
	v_mul_f32_e32 v76, 0x3fb8aa3b, v76
	s_delay_alu instid0(VALU_DEP_3) | instskip(SKIP_1) | instid1(TRANS32_DEP_3)
	v_exp_f32_e32 v75, v75
	v_exp_f32_e32 v82, v79
	v_cndmask_b32_e32 v77, 0, v74, vcc_lo
	s_delay_alu instid0(VALU_DEP_2) | instskip(SKIP_2) | instid1(TRANS32_DEP_3)
	v_exp_f32_e32 v80, v76
	v_fma_f32 v74, s35, v137, -v73
	v_mul_f32_e32 v78, 0x3fb8aa3b, v78
	v_cndmask_b32_e64 v76, 0, v75, s2
	s_delay_alu instid0(VALU_DEP_3) | instskip(NEXT) | instid1(VALU_DEP_3)
	v_dual_add_f32 v75, 0, v77 :: v_dual_mul_f32 v74, 0x3fb8aa3b, v74
	v_exp_f32_e32 v84, v78
	s_delay_alu instid0(TRANS32_DEP_3) | instskip(NEXT) | instid1(VALU_DEP_2)
	v_cndmask_b32_e64 v78, 0, v82, s4
	v_add_f32_e32 v75, v75, v76
	s_delay_alu instid0(TRANS32_DEP_2) | instskip(SKIP_4) | instid1(VALU_DEP_3)
	v_cndmask_b32_e64 v79, 0, v80, s3
	v_fma_f32 v80, s35, v139, -v73
	v_mul_f32_e32 v83, 0x3fb8aa3b, v83
	v_exp_f32_e32 v74, v74
	v_fma_f32 v82, s35, v124, -v73
	v_dual_add_f32 v75, v75, v79 :: v_dual_mul_f32 v80, 0x3fb8aa3b, v80
	s_delay_alu instid0(VALU_DEP_3) | instskip(SKIP_1) | instid1(VALU_DEP_3)
	v_exp_f32_e32 v83, v83
	v_cndmask_b32_e64 v87, 0, v84, s5
	v_mul_f32_e32 v82, 0x3fb8aa3b, v82
	v_fma_f32 v84, s35, v125, -v73
	v_exp_f32_e32 v85, v80
	v_add_f32_e32 v75, v75, v78
	s_delay_alu instid0(TRANS32_DEP_3)
	v_cndmask_b32_e64 v80, 0, v74, s6
	v_exp_f32_e32 v82, v82
	v_mul_f32_e32 v84, 0x3fb8aa3b, v84
	s_mov_b32 s3, exec_lo
	v_cndmask_b32_e64 v89, 0, v83, s7
	v_fma_f32 v83, s35, v127, -v73
	s_delay_alu instid0(VALU_DEP_3) | instskip(NEXT) | instid1(TRANS32_DEP_3)
	v_exp_f32_e32 v84, v84
	v_cndmask_b32_e64 v88, 0, v85, s8
	v_fma_f32 v85, s35, v128, -v73
	v_add_f32_e32 v74, v75, v87
	v_fma_f32 v75, s35, v126, -v73
	v_mul_f32_e32 v83, 0x3fb8aa3b, v83
	v_cndmask_b32_e64 v91, 0, v82, s9
	s_delay_alu instid0(VALU_DEP_4) | instskip(NEXT) | instid1(VALU_DEP_4)
	v_dual_mul_f32 v85, 0x3fb8aa3b, v85 :: v_dual_add_f32 v74, v74, v80
	v_mul_f32_e32 v75, 0x3fb8aa3b, v75
	s_delay_alu instid0(VALU_DEP_4)
	v_exp_f32_e32 v83, v83
	v_fma_f32 v82, s35, v129, -v73
	v_cndmask_b32_e64 v90, 0, v84, s10
	v_add_f32_e32 v74, v74, v89
	v_exp_f32_e32 v75, v75
	v_fma_f32 v84, s35, v130, -v73
	v_mul_f32_e32 v82, 0x3fb8aa3b, v82
	v_exp_f32_e32 v85, v85
	s_delay_alu instid0(TRANS32_DEP_3) | instskip(SKIP_3) | instid1(TRANS32_DEP_3)
	v_cndmask_b32_e64 v92, 0, v83, s12
	v_fma_f32 v83, s35, v131, -v73
	v_add_f32_e32 v74, v74, v88
	v_exp_f32_e32 v82, v82
	v_cndmask_b32_e64 v93, 0, v75, s11
	v_mul_f32_e32 v75, 0x3fb8aa3b, v84
	v_mul_f32_e32 v83, 0x3fb8aa3b, v83
	v_add_f32_e32 v74, v74, v91
	s_delay_alu instid0(TRANS32_DEP_2) | instskip(NEXT) | instid1(VALU_DEP_4)
	v_cndmask_b32_e64 v95, 0, v85, s13
	v_exp_f32_e32 v75, v75
	s_delay_alu instid0(VALU_DEP_2) | instskip(NEXT) | instid1(TRANS32_DEP_2)
	v_add_f32_e32 v74, v74, v90
	v_cndmask_b32_e64 v94, 0, v82, s16
	v_exp_f32_e32 v82, v83
	s_delay_alu instid0(VALU_DEP_2) | instskip(SKIP_4) | instid1(VALU_DEP_2)
	v_add_f32_e32 v74, v74, v93
	s_waitcnt_depctr 0xfff
	v_cndmask_b32_e64 v97, 0, v75, s17
	v_add_f32_e32 v74, v74, v92
	v_cndmask_b32_e64 v96, 0, v82, s18
	v_add_f32_e32 v74, v74, v95
	s_delay_alu instid0(VALU_DEP_1) | instskip(NEXT) | instid1(VALU_DEP_1)
	v_add_f32_e32 v74, v74, v94
	v_add_f32_e32 v74, v74, v97
	s_delay_alu instid0(VALU_DEP_1) | instskip(SKIP_2) | instid1(VALU_DEP_1)
	v_add_f32_e32 v74, v74, v96
	ds_bpermute_b32 v75, v81, v74
	v_and_b32_e32 v81, 31, v0
	v_cmp_lt_u32_e64 s2, 15, v81
	v_cmpx_gt_u32_e32 16, v81
	s_cbranch_execz .LBB130_11
; %bb.10:
	v_mul_u32_u24_e32 v81, 0x44, v115
	s_delay_alu instid0(VALU_DEP_1) | instskip(SKIP_1) | instid1(VALU_DEP_1)
	v_lshl_add_u32 v81, v113, 2, v81
	s_waitcnt lgkmcnt(0)
	v_dual_add_f32 v74, v74, v75 :: v_dual_add_nc_u32 v75, 0x4000, v81
	ds_store_2addr_b32 v75, v73, v74 offset1:136
.LBB130_11:
	s_or_b32 exec_lo, exec_lo, s3
	v_lshlrev_b32_e32 v73, 2, v113
	s_load_b64 s[36:37], s[0:1], 0x94
	s_waitcnt lgkmcnt(0)
	s_barrier
	buffer_gl0_inv
	v_add_nc_u32_e32 v73, 0x4000, v73
	v_cmp_eq_u32_e32 vcc_lo, 1, v115
	v_cmp_eq_u32_e64 s3, 2, v115
	v_cmp_eq_u32_e64 s4, 3, v115
	;; [unrolled: 1-line block ×3, first 2 shown]
	ds_load_2addr_b32 v[81:82], v73 offset1:17
	ds_load_2addr_b32 v[83:84], v73 offset0:34 offset1:51
	ds_load_2addr_b32 v[85:86], v73 offset0:68 offset1:85
	;; [unrolled: 1-line block ×4, first 2 shown]
	v_cmp_eq_u32_e64 s7, 5, v115
	v_cmp_eq_u32_e64 s5, 6, v115
	s_waitcnt lgkmcnt(4)
	v_max3_f32 v74, v81, 0xff7fffff, v82
	s_waitcnt lgkmcnt(3)
	s_delay_alu instid0(VALU_DEP_1) | instskip(SKIP_1) | instid1(VALU_DEP_1)
	v_max3_f32 v74, v74, v83, v84
	s_waitcnt lgkmcnt(2)
	v_max3_f32 v74, v74, v85, v86
	s_waitcnt lgkmcnt(1)
	s_delay_alu instid0(VALU_DEP_1) | instskip(NEXT) | instid1(VALU_DEP_1)
	v_max3_f32 v74, v74, v98, v99
	v_sub_f32_e32 v83, v83, v74
	v_sub_f32_e32 v75, v81, v74
	;; [unrolled: 1-line block ×3, first 2 shown]
	s_delay_alu instid0(VALU_DEP_3) | instskip(NEXT) | instid1(VALU_DEP_2)
	v_dual_sub_f32 v85, v85, v74 :: v_dual_mul_f32 v104, 0x3fb8aa3b, v83
	v_dual_mul_f32 v75, 0x3fb8aa3b, v75 :: v_dual_mul_f32 v102, 0x3fb8aa3b, v102
	s_delay_alu instid0(VALU_DEP_2) | instskip(NEXT) | instid1(VALU_DEP_1)
	v_exp_f32_e32 v104, v104
	v_exp_f32_e32 v103, v75
	v_sub_f32_e32 v75, v84, v74
	s_delay_alu instid0(VALU_DEP_2) | instskip(NEXT) | instid1(VALU_DEP_1)
	v_exp_f32_e32 v102, v102
	v_mul_f32_e32 v106, 0x3fb8aa3b, v75
	s_waitcnt lgkmcnt(0)
	s_waitcnt_depctr 0xfff
	v_fma_f32 v75, v103, v100, 0
	v_sub_f32_e32 v100, v86, v74
	ds_load_2addr_b32 v[81:82], v73 offset0:170 offset1:187
	v_exp_f32_e32 v106, v106
	ds_load_2addr_b32 v[83:84], v73 offset0:204 offset1:221
	v_fmac_f32_e32 v75, v102, v101
	s_waitcnt lgkmcnt(1)
	s_delay_alu instid0(VALU_DEP_1) | instskip(SKIP_1) | instid1(VALU_DEP_2)
	v_fmac_f32_e32 v75, v104, v81
	v_sub_f32_e32 v81, v99, v74
	v_dual_fmac_f32 v75, v106, v82 :: v_dual_lshlrev_b32 v82, 2, v105
	v_mul_f32_e32 v107, 0x3fb8aa3b, v85
	ds_load_2addr_b32 v[85:86], v73 offset0:238 offset1:255
	v_dual_sub_f32 v73, v98, v74 :: v_dual_mul_f32 v98, 0x3fb8aa3b, v100
	v_mul_f32_e32 v81, 0x3fb8aa3b, v81
	v_exp_f32_e32 v100, v107
	s_waitcnt lgkmcnt(0)
	s_delay_alu instid0(VALU_DEP_2)
	v_mul_f32_e32 v73, 0x3fb8aa3b, v73
	v_exp_f32_e32 v98, v98
	v_exp_f32_e32 v101, v81
	v_cndmask_b32_e32 v81, v103, v102, vcc_lo
	s_barrier
	v_exp_f32_e32 v99, v73
	buffer_gl0_inv
	v_cmp_eq_u32_e64 s8, 7, v82
	v_fmac_f32_e32 v75, v100, v83
	v_lshl_or_b32 v83, v115, 11, v114
	s_delay_alu instid0(VALU_DEP_2) | instskip(NEXT) | instid1(VALU_DEP_1)
	v_fmac_f32_e32 v75, v98, v84
	v_fmac_f32_e32 v75, v99, v85
	s_delay_alu instid0(VALU_DEP_1) | instskip(SKIP_1) | instid1(VALU_DEP_2)
	v_fmac_f32_e32 v75, v101, v86
	v_or_b32_e32 v86, 2, v82
	v_add_f32_e32 v107, 0x358637bd, v75
	s_delay_alu instid0(VALU_DEP_2)
	v_cmp_eq_u32_e64 s10, 1, v86
	v_cmp_eq_u32_e64 s16, 2, v86
	;; [unrolled: 1-line block ×4, first 2 shown]
	v_div_scale_f32 v108, null, v107, v107, 1.0
	v_div_scale_f32 v102, vcc_lo, 1.0, v107, 1.0
	v_cmp_eq_u32_e64 s24, 5, v86
	s_delay_alu instid0(VALU_DEP_3) | instskip(SKIP_4) | instid1(VALU_DEP_1)
	v_rcp_f32_e32 v109, v108
	v_cmp_eq_u32_e64 s27, 6, v86
	v_cmp_eq_u32_e64 s29, 7, v86
	s_waitcnt_depctr 0xfff
	v_fma_f32 v73, -v108, v109, 1.0
	v_fmac_f32_e32 v109, v73, v109
	v_cndmask_b32_e64 v73, v81, v104, s3
	v_cmp_eq_u32_e64 s3, 7, v115
	v_lshl_or_b32 v81, v105, 4, v83
	s_delay_alu instid0(VALU_DEP_4) | instskip(NEXT) | instid1(VALU_DEP_4)
	v_mul_f32_e32 v103, v102, v109
	v_cndmask_b32_e64 v73, v73, v106, s4
	v_cmp_eq_u32_e64 s4, 1, v82
	s_delay_alu instid0(VALU_DEP_3) | instskip(NEXT) | instid1(VALU_DEP_3)
	v_fma_f32 v84, -v108, v103, v102
	v_cndmask_b32_e64 v85, v73, v100, s6
	v_cmp_eq_u32_e64 s6, 4, v82
	v_mov_b32_e32 v73, 0
	s_delay_alu instid0(VALU_DEP_4) | instskip(NEXT) | instid1(VALU_DEP_4)
	v_fmac_f32_e32 v103, v84, v109
	v_cndmask_b32_e64 v98, v85, v98, s7
	v_or_b32_e32 v84, 1, v82
	v_or_b32_e32 v85, 3, v82
	v_cmp_eq_u32_e64 s7, 6, v82
	v_fma_f32 v100, -v108, v103, v102
	v_cndmask_b32_e64 v98, v98, v99, s5
	v_cmp_eq_u32_e64 s9, 1, v84
	v_cmp_eq_u32_e64 s11, 1, v85
	;; [unrolled: 1-line block ×3, first 2 shown]
	v_div_fmas_f32 v99, v100, v109, v103
	v_cndmask_b32_e64 v98, v98, v101, s3
	v_cmp_eq_u32_e32 vcc_lo, 2, v82
	v_cmp_eq_u32_e64 s17, 2, v85
	v_cmp_eq_u32_e64 s5, 3, v82
	v_div_fixup_f32 v99, v99, v107, 1.0
	v_cmp_eq_u32_e64 s13, 3, v84
	v_cmp_eq_u32_e64 s19, 3, v85
	v_cmp_eq_u32_e64 s20, 4, v84
	v_cmp_eq_u32_e64 s23, 4, v85
	v_mul_f32_e32 v102, v98, v99
	v_cmp_eq_u32_e64 s3, 5, v82
	v_cmp_eq_u32_e64 s21, 5, v84
	;; [unrolled: 1-line block ×4, first 2 shown]
	v_fma_mixlo_f16 v98, v102, v77, 0
	v_fma_mixlo_f16 v99, v102, v79, 0
	;; [unrolled: 1-line block ×8, first 2 shown]
	v_fma_mixhi_f16 v98, v102, v76, 0
	v_fma_mixhi_f16 v99, v102, v78, 0
	;; [unrolled: 1-line block ×8, first 2 shown]
	ds_store_b128 v81, v[98:101]
	ds_store_b128 v81, v[106:109] offset:1024
	s_waitcnt lgkmcnt(0)
	s_barrier
	buffer_gl0_inv
	ds_load_b128 v[76:79], v83
	ds_load_b128 v[87:90], v83 offset:16
	ds_load_b128 v[91:94], v83 offset:1024
	;; [unrolled: 1-line block ×3, first 2 shown]
	v_cmp_eq_u32_e64 s28, 6, v85
	v_cmp_eq_u32_e64 s30, 7, v85
	;; [unrolled: 1-line block ×3, first 2 shown]
	s_waitcnt lgkmcnt(3)
	v_lshrrev_b32_e32 v80, 16, v76
	s_waitcnt lgkmcnt(2)
	v_lshrrev_b32_e32 v102, 16, v87
	;; [unrolled: 2-line block ×4, first 2 shown]
	v_lshrrev_b32_e32 v99, 16, v77
	v_cndmask_b32_e64 v117, v76, v80, s4
	v_cndmask_b32_e64 v118, v87, v102, s4
	;; [unrolled: 1-line block ×7, first 2 shown]
	v_lshrrev_b32_e32 v103, 16, v88
	v_cndmask_b32_e64 v122, v87, v102, s10
	v_cndmask_b32_e64 v87, v91, v107, s4
	;; [unrolled: 1-line block ×9, first 2 shown]
	v_cndmask_b32_e32 v107, v117, v77, vcc_lo
	v_cndmask_b32_e32 v111, v118, v88, vcc_lo
	v_cndmask_b32_e64 v117, v119, v77, s12
	v_cndmask_b32_e64 v118, v120, v88, s12
	;; [unrolled: 1-line block ×5, first 2 shown]
	v_lshrrev_b32_e32 v108, 16, v92
	v_lshrrev_b32_e32 v112, 16, v96
	v_cndmask_b32_e64 v120, v122, v88, s16
	v_cndmask_b32_e32 v80, v87, v92, vcc_lo
	v_cndmask_b32_e32 v87, v102, v96, vcc_lo
	v_cndmask_b32_e64 v88, v123, v92, s12
	v_cndmask_b32_e64 v102, v125, v92, s16
	;; [unrolled: 1-line block ×10, first 2 shown]
	v_lshrrev_b32_e32 v100, 16, v78
	v_lshrrev_b32_e32 v104, 16, v89
	v_cndmask_b32_e64 v118, v119, v99, s18
	v_cndmask_b32_e64 v119, v120, v103, s18
	;; [unrolled: 1-line block ×11, first 2 shown]
	v_lshrrev_b32_e32 v109, 16, v93
	v_cndmask_b32_e64 v111, v118, v78, s22
	v_cndmask_b32_e64 v117, v119, v89, s22
	v_cndmask_b32_e64 v78, v80, v93, s6
	v_cndmask_b32_e64 v80, v87, v97, s6
	v_cndmask_b32_e64 v87, v88, v93, s20
	v_cndmask_b32_e64 v88, v95, v100, s3
	v_cndmask_b32_e64 v89, v99, v104, s3
	v_cndmask_b32_e64 v95, v103, v100, s21
	v_cndmask_b32_e64 v99, v107, v104, s21
	v_cndmask_b32_e64 v76, v76, v100, s25
	v_cndmask_b32_e64 v77, v77, v104, s25
	v_lshrrev_b32_e32 v101, 16, v79
	v_lshrrev_b32_e32 v106, 16, v90
	v_cndmask_b32_e64 v103, v111, v100, s24
	v_cndmask_b32_e64 v107, v117, v104, s24
	v_cndmask_b32_e64 v87, v87, v109, s21
	v_cndmask_b32_e64 v88, v88, v79, s7
	v_cndmask_b32_e64 v89, v89, v90, s7
	v_cndmask_b32_e64 v95, v95, v79, s26
	v_cndmask_b32_e64 v99, v99, v90, s26
	v_cndmask_b32_e64 v76, v76, v79, s28
	v_cndmask_b32_e64 v77, v77, v90, s28
	v_lshrrev_b32_e32 v110, 16, v94
	v_cndmask_b32_e64 v78, v78, v109, s3
	v_cndmask_b32_e64 v100, v103, v79, s27
	;; [unrolled: 1-line block ×14, first 2 shown]
	v_perm_b32 v79, v77, v76, 0x5040100
	v_perm_b32 v77, v99, v89, 0x5040100
	v_cndmask_b32_e64 v76, v126, v96, s16
	v_cndmask_b32_e64 v89, v124, v96, s12
	;; [unrolled: 1-line block ×3, first 2 shown]
	v_perm_b32 v78, v95, v90, 0x5040100
	v_cndmask_b32_e64 v90, v102, v108, s18
	v_cndmask_b32_e64 v91, v91, v108, s19
	;; [unrolled: 1-line block ×5, first 2 shown]
	v_lshrrev_b32_e32 v115, 16, v97
	v_cndmask_b32_e64 v90, v90, v93, s22
	v_cndmask_b32_e64 v91, v91, v93, s23
	;; [unrolled: 1-line block ×11, first 2 shown]
	v_lshrrev_b32_e32 v116, 16, v98
	v_cndmask_b32_e64 v80, v80, v98, s7
	v_cndmask_b32_e64 v90, v90, v94, s27
	v_cndmask_b32_e64 v91, v91, v94, s28
	v_cndmask_b32_e64 v92, v92, v98, s28
	v_cndmask_b32_e64 v76, v76, v98, s27
	v_cndmask_b32_e64 v89, v89, v98, s26
	v_cndmask_b32_e64 v93, v90, v110, s29
	v_cndmask_b32_e64 v90, v91, v110, s30
	v_cndmask_b32_e64 v91, v92, v116, s30
	v_cndmask_b32_e64 v92, v76, v116, s29
	v_cndmask_b32_e64 v94, v89, v116, s31
	v_cndmask_b32_e64 v80, v80, v116, s8
	v_perm_b32 v76, v88, v87, 0x5040100
	v_perm_b32 v90, v91, v90, 0x5040100
	;; [unrolled: 1-line block ×5, first 2 shown]
	s_mov_b32 s3, exec_lo
	ds_store_b128 v81, v[76:79]
	ds_store_b128 v81, v[87:90] offset:1024
	v_cmpx_eq_u32_e32 0, v0
	s_cbranch_execz .LBB130_13
; %bb.12:
	s_load_b128 s[4:7], s[0:1], 0x58
	s_mul_i32 s8, s37, s34
	s_delay_alu instid0(SALU_CYCLE_1) | instskip(NEXT) | instid1(SALU_CYCLE_1)
	s_add_i32 s8, s8, s15
	s_mul_i32 s8, s8, s36
	s_delay_alu instid0(SALU_CYCLE_1) | instskip(NEXT) | instid1(SALU_CYCLE_1)
	s_add_i32 s8, s8, s14
	s_ashr_i32 s9, s8, 31
	s_delay_alu instid0(SALU_CYCLE_1)
	s_lshl_b64 s[8:9], s[8:9], 2
	s_waitcnt lgkmcnt(0)
	s_add_u32 s6, s6, s8
	s_addc_u32 s7, s7, s9
	s_add_u32 s4, s4, s8
	s_addc_u32 s5, s5, s9
	s_clause 0x1
	global_store_b32 v73, v74, s[6:7]
	global_store_b32 v73, v75, s[4:5]
.LBB130_13:
	s_or_b32 exec_lo, exec_lo, s3
	s_waitcnt lgkmcnt(0)
	s_waitcnt_vscnt null, 0x0
	s_barrier
	buffer_gl0_inv
	ds_load_b128 v[87:90], v114
	ds_load_b128 v[91:94], v114 offset:16
	ds_load_b128 v[99:102], v114 offset:1040
	;; [unrolled: 1-line block ×5, first 2 shown]
	v_mov_b32_e32 v74, v73
	v_mov_b32_e32 v75, v73
	;; [unrolled: 1-line block ×7, first 2 shown]
	ds_load_b128 v[127:130], v114 offset:3088
	ds_load_b128 v[123:126], v114 offset:3072
	ds_load_b128 v[135:138], v114 offset:4112
	ds_load_b128 v[131:134], v114 offset:4096
	v_cmp_eq_u32_e32 vcc_lo, 1, v86
	v_cmp_eq_u32_e64 s3, 1, v82
	v_cmp_eq_u32_e64 s4, 1, v85
	;; [unrolled: 1-line block ×4, first 2 shown]
	s_waitcnt lgkmcnt(8)
	v_wmma_f32_16x16x16_f16 v[73:80], v[65:72], v[87:94], v[73:80]
	ds_load_b128 v[69:72], v114 offset:5136
	ds_load_b128 v[65:68], v114 offset:5120
	;; [unrolled: 1-line block ×4, first 2 shown]
	s_waitcnt lgkmcnt(10)
	v_wmma_f32_16x16x16_f16 v[73:80], v[57:64], v[95:102], v[73:80]
	s_waitcnt lgkmcnt(8)
	s_delay_alu instid0(VALU_DEP_1)
	v_wmma_f32_16x16x16_f16 v[73:80], v[57:64], v[115:122], v[73:80]
	ds_load_b128 v[61:64], v114 offset:7184
	ds_load_b128 v[57:60], v114 offset:7168
	;; [unrolled: 1-line block ×4, first 2 shown]
	s_waitcnt lgkmcnt(10)
	v_wmma_f32_16x16x16_f16 v[73:80], v[49:56], v[123:130], v[73:80]
	s_waitcnt lgkmcnt(8)
	s_delay_alu instid0(VALU_DEP_1)
	v_wmma_f32_16x16x16_f16 v[73:80], v[49:56], v[131:138], v[73:80]
	ds_load_b128 v[53:56], v114 offset:9232
	ds_load_b128 v[49:52], v114 offset:9216
	s_waitcnt lgkmcnt(8)
	v_wmma_f32_16x16x16_f16 v[73:80], v[41:48], v[65:72], v[73:80]
	ds_load_b128 v[69:72], v114 offset:10256
	ds_load_b128 v[65:68], v114 offset:10240
	s_waitcnt lgkmcnt(8)
	;; [unrolled: 4-line block ×7, first 2 shown]
	s_barrier
	buffer_gl0_inv
	v_wmma_f32_16x16x16_f16 v[73:80], v[1:8], v[41:48], v[73:80]
	s_delay_alu instid0(VALU_DEP_1) | instskip(NEXT) | instid1(VALU_DEP_1)
	v_wmma_f32_16x16x16_f16 v[73:80], v[1:8], v[57:64], v[73:80]
	v_wmma_f32_16x16x16_f16 v[73:80], v[33:40], v[17:24], v[73:80]
	s_delay_alu instid0(VALU_DEP_1) | instskip(NEXT) | instid1(VALU_DEP_1)
	v_wmma_f32_16x16x16_f16 v[73:80], v[33:40], v[49:56], v[73:80]
	v_wmma_f32_16x16x16_f16 v[73:80], v[25:32], v[9:16], v[73:80]
	s_delay_alu instid0(VALU_DEP_1) | instskip(NEXT) | instid1(VALU_DEP_2)
	v_cvt_f16_f32_e32 v1, v73
	v_cvt_f16_f32_e32 v2, v74
	s_delay_alu instid0(VALU_DEP_3) | instskip(NEXT) | instid1(VALU_DEP_4)
	v_cvt_f16_f32_e32 v3, v75
	v_cvt_f16_f32_e32 v4, v76
	;; [unrolled: 1-line block ×6, first 2 shown]
	v_pack_b32_f16 v1, v1, v2
	v_pack_b32_f16 v2, v3, v4
	;; [unrolled: 1-line block ×3, first 2 shown]
	s_delay_alu instid0(VALU_DEP_4)
	v_pack_b32_f16 v4, v7, v8
	ds_store_b128 v81, v[1:4]
	s_waitcnt lgkmcnt(0)
	s_barrier
	buffer_gl0_inv
	ds_load_b128 v[1:4], v83
	ds_load_b128 v[5:8], v83 offset:16
	s_waitcnt lgkmcnt(1)
	v_lshrrev_b32_e32 v9, 16, v1
	s_waitcnt lgkmcnt(0)
	v_lshrrev_b32_e32 v13, 16, v5
	v_lshrrev_b32_e32 v15, 16, v7
	;; [unrolled: 1-line block ×4, first 2 shown]
	v_cndmask_b32_e64 v17, v1, v9, s3
	v_cndmask_b32_e64 v18, v5, v13, s3
	;; [unrolled: 1-line block ×3, first 2 shown]
	v_cmp_eq_u32_e64 s3, 2, v84
	v_cndmask_b32_e64 v20, v5, v13, s5
	v_cndmask_b32_e32 v21, v1, v9, vcc_lo
	v_cndmask_b32_e32 v22, v5, v13, vcc_lo
	v_cndmask_b32_e64 v1, v1, v9, s4
	v_cndmask_b32_e64 v5, v5, v13, s4
	v_cmp_eq_u32_e32 vcc_lo, 2, v86
	v_cmp_eq_u32_e64 s4, 2, v85
	v_cndmask_b32_e64 v9, v17, v2, s6
	v_cndmask_b32_e64 v13, v18, v6, s6
	;; [unrolled: 1-line block ×4, first 2 shown]
	v_cndmask_b32_e32 v19, v21, v2, vcc_lo
	v_cmp_eq_u32_e64 s3, 3, v86
	v_cndmask_b32_e32 v20, v22, v6, vcc_lo
	v_cndmask_b32_e64 v1, v1, v2, s4
	v_cmp_eq_u32_e32 vcc_lo, 3, v85
	v_cmp_eq_u32_e64 s5, 3, v82
	v_cndmask_b32_e64 v2, v5, v6, s4
	v_cmp_eq_u32_e64 s4, 3, v84
	v_lshrrev_b32_e32 v16, 16, v8
	v_cmp_eq_u32_e64 s6, 4, v82
	v_cndmask_b32_e64 v5, v9, v10, s5
	v_cndmask_b32_e64 v6, v13, v14, s5
	;; [unrolled: 1-line block ×3, first 2 shown]
	v_cmp_eq_u32_e64 s5, 4, v84
	v_cndmask_b32_e64 v13, v18, v14, s4
	v_cndmask_b32_e64 v17, v19, v10, s3
	;; [unrolled: 1-line block ×3, first 2 shown]
	v_cndmask_b32_e32 v1, v1, v10, vcc_lo
	v_cndmask_b32_e32 v2, v2, v14, vcc_lo
	v_cmp_eq_u32_e32 vcc_lo, 4, v86
	v_cmp_eq_u32_e64 s4, 4, v85
	v_lshrrev_b32_e32 v11, 16, v3
	v_cndmask_b32_e64 v5, v5, v3, s6
	v_cndmask_b32_e64 v6, v6, v7, s6
	;; [unrolled: 1-line block ×4, first 2 shown]
	v_cndmask_b32_e32 v13, v17, v3, vcc_lo
	v_cmp_eq_u32_e64 s3, 5, v86
	v_cndmask_b32_e32 v14, v18, v7, vcc_lo
	v_cndmask_b32_e64 v1, v1, v3, s4
	v_cmp_eq_u32_e32 vcc_lo, 5, v85
	v_cmp_eq_u32_e64 s5, 5, v82
	v_cndmask_b32_e64 v2, v2, v7, s4
	v_cmp_eq_u32_e64 s4, 5, v84
	v_cmp_eq_u32_e64 s6, 6, v82
	v_cndmask_b32_e32 v1, v1, v11, vcc_lo
	v_cndmask_b32_e64 v3, v5, v11, s5
	v_cndmask_b32_e64 v5, v6, v15, s5
	;; [unrolled: 1-line block ×6, first 2 shown]
	v_cndmask_b32_e32 v2, v2, v15, vcc_lo
	v_cmp_eq_u32_e32 vcc_lo, 6, v86
	v_cmp_eq_u32_e64 s3, 6, v85
	v_cmp_eq_u32_e64 s5, 6, v84
	v_lshrrev_b32_e32 v12, 16, v4
	v_cndmask_b32_e64 v3, v3, v4, s6
	v_cndmask_b32_e64 v5, v5, v8, s6
	v_cndmask_b32_e32 v9, v9, v4, vcc_lo
	v_cndmask_b32_e32 v10, v10, v8, vcc_lo
	v_cndmask_b32_e64 v1, v1, v4, s3
	v_cmp_eq_u32_e32 vcc_lo, 7, v85
	v_cndmask_b32_e64 v2, v2, v8, s3
	v_cmp_eq_u32_e64 s3, 7, v82
	v_cndmask_b32_e64 v6, v6, v4, s5
	v_cndmask_b32_e64 v7, v7, v8, s5
	v_cmp_eq_u32_e64 s4, 7, v86
	v_cndmask_b32_e32 v2, v2, v16, vcc_lo
	v_cmp_eq_u32_e64 s5, 7, v84
	v_cndmask_b32_e64 v8, v3, v12, s3
	v_cndmask_b32_e32 v1, v1, v12, vcc_lo
	v_cndmask_b32_e64 v5, v5, v16, s3
	v_cmp_lt_u32_e32 vcc_lo, 31, v0
	v_cmp_lt_u32_e64 s3, 7, v113
	v_cndmask_b32_e64 v6, v6, v12, s5
	v_cndmask_b32_e64 v3, v9, v12, s4
	;; [unrolled: 1-line block ×4, first 2 shown]
	s_or_b32 s3, vcc_lo, s3
	v_perm_b32 v4, v2, v1, 0x5040100
	v_perm_b32 v1, v5, v8, 0x5040100
	;; [unrolled: 1-line block ×4, first 2 shown]
	s_or_b32 s2, s2, s3
	s_delay_alu instid0(SALU_CYCLE_1)
	s_xor_b32 s2, s2, -1
	ds_store_b128 v81, v[1:4]
	s_waitcnt lgkmcnt(0)
	s_barrier
	buffer_gl0_inv
	s_and_saveexec_b32 s3, s2
	s_cbranch_execz .LBB130_2
; %bb.14:
	s_load_b64 s[0:1], s[0:1], 0x68
	v_lshlrev_b32_e32 v1, 10, v0
	v_and_b32_e32 v0, 1, v0
	v_lshlrev_b32_e32 v2, 6, v105
	s_lshl_b32 s4, s36, 6
	v_lshlrev_b32_e32 v4, 3, v113
	v_and_b32_e32 v1, 0x3800, v1
	v_lshlrev_b32_e32 v0, 4, v0
	s_mul_i32 s2, s4, s34
	s_delay_alu instid0(SALU_CYCLE_1) | instskip(SKIP_1) | instid1(VALU_DEP_2)
	s_mul_i32 s2, s2, s37
	v_lshlrev_b32_e32 v4, 1, v4
	v_or3_b32 v0, v1, v2, v0
	s_ashr_i32 s3, s2, 31
	s_delay_alu instid0(SALU_CYCLE_1)
	s_lshl_b64 s[2:3], s[2:3], 1
	ds_load_b128 v[0:3], v0
	s_waitcnt lgkmcnt(0)
	s_add_u32 s5, s0, s2
	s_addc_u32 s3, s1, s3
	s_lshl_b32 s0, s14, 6
	s_mul_i32 s2, s4, s15
	s_ashr_i32 s1, s0, 31
	s_delay_alu instid0(SALU_CYCLE_1) | instskip(NEXT) | instid1(SALU_CYCLE_1)
	s_lshl_b64 s[0:1], s[0:1], 1
	s_add_u32 s4, s5, s0
	s_addc_u32 s5, s3, s1
	s_ashr_i32 s3, s2, 31
	s_delay_alu instid0(SALU_CYCLE_1) | instskip(NEXT) | instid1(SALU_CYCLE_1)
	s_lshl_b64 s[0:1], s[2:3], 1
	s_add_u32 s0, s4, s0
	s_addc_u32 s1, s5, s1
	global_store_b128 v4, v[0:3], s[0:1]
	s_nop 0
	s_sendmsg sendmsg(MSG_DEALLOC_VGPRS)
	s_endpgm
	.section	.rodata,"a",@progbits
	.p2align	6, 0x0
	.amdhsa_kernel _Z39paged_attention_ll4mi_QKV_mfma16_kernelIDF16_DF16_LN4vllm18Fp8KVCacheDataTypeE0EhLi32ELi64ELi256ELb1ELi1EL8MFMAType0EEvPKT_PKT0_S8_ifPKiSA_SA_iPKfiiiPfSD_PS3_PT2_iSC_SC_
		.amdhsa_group_segment_fixed_size 17472
		.amdhsa_private_segment_fixed_size 0
		.amdhsa_kernarg_size 400
		.amdhsa_user_sgpr_count 13
		.amdhsa_user_sgpr_dispatch_ptr 0
		.amdhsa_user_sgpr_queue_ptr 0
		.amdhsa_user_sgpr_kernarg_segment_ptr 1
		.amdhsa_user_sgpr_dispatch_id 0
		.amdhsa_user_sgpr_private_segment_size 0
		.amdhsa_wavefront_size32 1
		.amdhsa_uses_dynamic_stack 0
		.amdhsa_enable_private_segment 0
		.amdhsa_system_sgpr_workgroup_id_x 1
		.amdhsa_system_sgpr_workgroup_id_y 1
		.amdhsa_system_sgpr_workgroup_id_z 1
		.amdhsa_system_sgpr_workgroup_info 0
		.amdhsa_system_vgpr_workitem_id 0
		.amdhsa_next_free_vgpr 146
		.amdhsa_next_free_sgpr 69
		.amdhsa_reserve_vcc 1
		.amdhsa_float_round_mode_32 0
		.amdhsa_float_round_mode_16_64 0
		.amdhsa_float_denorm_mode_32 3
		.amdhsa_float_denorm_mode_16_64 3
		.amdhsa_dx10_clamp 1
		.amdhsa_ieee_mode 1
		.amdhsa_fp16_overflow 0
		.amdhsa_workgroup_processor_mode 1
		.amdhsa_memory_ordered 1
		.amdhsa_forward_progress 0
		.amdhsa_shared_vgpr_count 0
		.amdhsa_exception_fp_ieee_invalid_op 0
		.amdhsa_exception_fp_denorm_src 0
		.amdhsa_exception_fp_ieee_div_zero 0
		.amdhsa_exception_fp_ieee_overflow 0
		.amdhsa_exception_fp_ieee_underflow 0
		.amdhsa_exception_fp_ieee_inexact 0
		.amdhsa_exception_int_div_zero 0
	.end_amdhsa_kernel
	.section	.text._Z39paged_attention_ll4mi_QKV_mfma16_kernelIDF16_DF16_LN4vllm18Fp8KVCacheDataTypeE0EhLi32ELi64ELi256ELb1ELi1EL8MFMAType0EEvPKT_PKT0_S8_ifPKiSA_SA_iPKfiiiPfSD_PS3_PT2_iSC_SC_,"axG",@progbits,_Z39paged_attention_ll4mi_QKV_mfma16_kernelIDF16_DF16_LN4vllm18Fp8KVCacheDataTypeE0EhLi32ELi64ELi256ELb1ELi1EL8MFMAType0EEvPKT_PKT0_S8_ifPKiSA_SA_iPKfiiiPfSD_PS3_PT2_iSC_SC_,comdat
.Lfunc_end130:
	.size	_Z39paged_attention_ll4mi_QKV_mfma16_kernelIDF16_DF16_LN4vllm18Fp8KVCacheDataTypeE0EhLi32ELi64ELi256ELb1ELi1EL8MFMAType0EEvPKT_PKT0_S8_ifPKiSA_SA_iPKfiiiPfSD_PS3_PT2_iSC_SC_, .Lfunc_end130-_Z39paged_attention_ll4mi_QKV_mfma16_kernelIDF16_DF16_LN4vllm18Fp8KVCacheDataTypeE0EhLi32ELi64ELi256ELb1ELi1EL8MFMAType0EEvPKT_PKT0_S8_ifPKiSA_SA_iPKfiiiPfSD_PS3_PT2_iSC_SC_
                                        ; -- End function
	.section	.AMDGPU.csdata,"",@progbits
; Kernel info:
; codeLenInByte = 6924
; NumSgprs: 71
; NumVgprs: 146
; ScratchSize: 0
; MemoryBound: 1
; FloatMode: 240
; IeeeMode: 1
; LDSByteSize: 17472 bytes/workgroup (compile time only)
; SGPRBlocks: 8
; VGPRBlocks: 18
; NumSGPRsForWavesPerEU: 71
; NumVGPRsForWavesPerEU: 146
; Occupancy: 9
; WaveLimiterHint : 1
; COMPUTE_PGM_RSRC2:SCRATCH_EN: 0
; COMPUTE_PGM_RSRC2:USER_SGPR: 13
; COMPUTE_PGM_RSRC2:TRAP_HANDLER: 0
; COMPUTE_PGM_RSRC2:TGID_X_EN: 1
; COMPUTE_PGM_RSRC2:TGID_Y_EN: 1
; COMPUTE_PGM_RSRC2:TGID_Z_EN: 1
; COMPUTE_PGM_RSRC2:TIDIG_COMP_CNT: 0
	.section	.text._Z39paged_attention_ll4mi_QKV_mfma16_kernelIDF16_DF16_LN4vllm18Fp8KVCacheDataTypeE0EhLi32ELi64ELi256ELb1ELi2EL8MFMAType0EEvPKT_PKT0_S8_ifPKiSA_SA_iPKfiiiPfSD_PS3_PT2_iSC_SC_,"axG",@progbits,_Z39paged_attention_ll4mi_QKV_mfma16_kernelIDF16_DF16_LN4vllm18Fp8KVCacheDataTypeE0EhLi32ELi64ELi256ELb1ELi2EL8MFMAType0EEvPKT_PKT0_S8_ifPKiSA_SA_iPKfiiiPfSD_PS3_PT2_iSC_SC_,comdat
	.protected	_Z39paged_attention_ll4mi_QKV_mfma16_kernelIDF16_DF16_LN4vllm18Fp8KVCacheDataTypeE0EhLi32ELi64ELi256ELb1ELi2EL8MFMAType0EEvPKT_PKT0_S8_ifPKiSA_SA_iPKfiiiPfSD_PS3_PT2_iSC_SC_ ; -- Begin function _Z39paged_attention_ll4mi_QKV_mfma16_kernelIDF16_DF16_LN4vllm18Fp8KVCacheDataTypeE0EhLi32ELi64ELi256ELb1ELi2EL8MFMAType0EEvPKT_PKT0_S8_ifPKiSA_SA_iPKfiiiPfSD_PS3_PT2_iSC_SC_
	.globl	_Z39paged_attention_ll4mi_QKV_mfma16_kernelIDF16_DF16_LN4vllm18Fp8KVCacheDataTypeE0EhLi32ELi64ELi256ELb1ELi2EL8MFMAType0EEvPKT_PKT0_S8_ifPKiSA_SA_iPKfiiiPfSD_PS3_PT2_iSC_SC_
	.p2align	8
	.type	_Z39paged_attention_ll4mi_QKV_mfma16_kernelIDF16_DF16_LN4vllm18Fp8KVCacheDataTypeE0EhLi32ELi64ELi256ELb1ELi2EL8MFMAType0EEvPKT_PKT0_S8_ifPKiSA_SA_iPKfiiiPfSD_PS3_PT2_iSC_SC_,@function
_Z39paged_attention_ll4mi_QKV_mfma16_kernelIDF16_DF16_LN4vllm18Fp8KVCacheDataTypeE0EhLi32ELi64ELi256ELb1ELi2EL8MFMAType0EEvPKT_PKT0_S8_ifPKiSA_SA_iPKfiiiPfSD_PS3_PT2_iSC_SC_: ; @_Z39paged_attention_ll4mi_QKV_mfma16_kernelIDF16_DF16_LN4vllm18Fp8KVCacheDataTypeE0EhLi32ELi64ELi256ELb1ELi2EL8MFMAType0EEvPKT_PKT0_S8_ifPKiSA_SA_iPKfiiiPfSD_PS3_PT2_iSC_SC_
; %bb.0:
	s_load_b64 s[2:3], s[0:1], 0x30
	s_mov_b32 s30, s13
	s_waitcnt lgkmcnt(0)
	s_cmp_lg_u64 s[2:3], 0
	s_cselect_b32 s6, -1, 0
	s_ashr_i32 s31, s13, 31
	s_cmp_eq_u64 s[2:3], 0
	s_cbranch_scc1 .LBB131_3
; %bb.1:
	s_lshl_b64 s[4:5], s[30:31], 2
	s_delay_alu instid0(SALU_CYCLE_1) | instskip(SKIP_4) | instid1(SALU_CYCLE_1)
	s_add_u32 s4, s2, s4
	s_addc_u32 s5, s3, s5
	s_load_b64 s[4:5], s[4:5], 0x0
	s_waitcnt lgkmcnt(0)
	s_sub_i32 s4, s5, s4
	s_cmp_eq_u32 s4, 1
	s_cselect_b32 s4, -1, 0
	s_delay_alu instid0(SALU_CYCLE_1)
	s_and_not1_b32 vcc_lo, exec_lo, s4
	s_cbranch_vccz .LBB131_4
.LBB131_2:
	s_endpgm
.LBB131_3:
.LBB131_4:
	s_load_b64 s[8:9], s[0:1], 0x28
	s_lshl_b64 s[4:5], s[30:31], 2
	s_waitcnt lgkmcnt(0)
	s_add_u32 s8, s8, s4
	s_addc_u32 s9, s9, s5
	s_lshl_b32 s16, s14, 8
	s_load_b32 s17, s[8:9], 0x0
	s_waitcnt lgkmcnt(0)
	s_cmp_ge_i32 s16, s17
	s_cbranch_scc1 .LBB131_2
; %bb.5:
	s_and_not1_b32 vcc_lo, exec_lo, s6
	s_cbranch_vccnz .LBB131_7
; %bb.6:
	s_add_u32 s2, s2, s4
	s_addc_u32 s3, s3, s5
	s_load_b32 s3, s[2:3], 0x0
	s_branch .LBB131_8
.LBB131_7:
	s_mov_b32 s3, s30
.LBB131_8:
	s_clause 0x2
	s_load_b128 s[8:11], s[0:1], 0x8
	s_load_b64 s[12:13], s[0:1], 0x20
	s_load_b128 s[4:7], s[0:1], 0x48
	v_and_b32_e32 v80, 15, v0
	v_cmp_gt_u32_e32 vcc_lo, 32, v0
	v_bfe_u32 v78, v0, 4, 1
	s_lshl_b32 s33, s15, 1
	s_delay_alu instid0(VALU_DEP_3) | instskip(SKIP_1) | instid1(VALU_DEP_2)
	v_cmp_gt_u32_e64 s2, 8, v80
	v_lshlrev_b32_e32 v1, 3, v80
	s_and_b32 s31, vcc_lo, s2
	s_delay_alu instid0(SALU_CYCLE_1) | instskip(SKIP_2) | instid1(SALU_CYCLE_1)
	s_xor_b32 s2, s31, -1
	s_waitcnt lgkmcnt(0)
	s_and_saveexec_b32 s7, s2
	s_xor_b32 s2, exec_lo, s7
; %bb.9:
	v_mov_b32_e32 v2, 0
; %bb.10:
	s_or_saveexec_b32 s2, s2
	v_and_b32_e32 v81, 31, v0
	v_and_b32_e32 v77, 1, v0
	v_or_b32_e32 v76, s33, v78
	v_lshlrev_b32_e32 v75, 6, v78
	s_xor_b32 exec_lo, exec_lo, s2
	s_cbranch_execz .LBB131_12
; %bb.11:
	s_load_b64 s[18:19], s[0:1], 0x0
	v_lshlrev_b32_e32 v2, 6, v76
	s_mul_hi_i32 s21, s3, s4
	s_mul_i32 s20, s3, s4
	v_lshlrev_b32_e32 v4, 1, v1
	s_lshl_b64 s[20:21], s[20:21], 1
	v_ashrrev_i32_e32 v3, 31, v2
	v_lshlrev_b32_e32 v7, 10, v77
	s_delay_alu instid0(VALU_DEP_2) | instskip(SKIP_3) | instid1(VALU_DEP_1)
	v_lshlrev_b64 v[2:3], 1, v[2:3]
	s_waitcnt lgkmcnt(0)
	s_add_u32 s3, s18, s20
	s_addc_u32 s4, s19, s21
	v_add_co_u32 v2, vcc_lo, s3, v2
	s_delay_alu instid0(VALU_DEP_2) | instskip(NEXT) | instid1(VALU_DEP_2)
	v_add_co_ci_u32_e32 v3, vcc_lo, s4, v3, vcc_lo
	v_add_co_u32 v2, vcc_lo, v2, v4
	s_delay_alu instid0(VALU_DEP_2) | instskip(SKIP_2) | instid1(VALU_DEP_1)
	v_add_co_ci_u32_e32 v3, vcc_lo, 0, v3, vcc_lo
	global_load_b128 v[3:6], v[2:3], off
	v_lshlrev_b32_e32 v2, 10, v80
	v_and_b32_e32 v2, 0x3800, v2
	s_delay_alu instid0(VALU_DEP_1)
	v_or3_b32 v7, v2, v7, v75
	v_mov_b32_e32 v2, 0
	s_waitcnt vmcnt(0)
	ds_store_b128 v7, v[3:6]
.LBB131_12:
	s_or_b32 exec_lo, exec_lo, s2
	v_and_b32_e32 v3, 0xef, v0
	s_add_i32 s3, s17, 31
	s_clause 0x1
	s_load_b32 s2, s[0:1], 0x38
	s_load_b32 s34, s[0:1], 0x98
	s_ashr_i32 s4, s3, 31
	v_add_nc_u32_e32 v3, s16, v3
	s_lshr_b32 s4, s4, 27
	s_load_b32 s18, s[0:1], 0x1c
	s_add_i32 s3, s3, s4
	s_waitcnt lgkmcnt(0)
	v_ashrrev_i32_e32 v4, 31, v3
	v_cmp_gt_i32_e32 vcc_lo, s17, v3
	s_ashr_i32 s4, s3, 5
	s_barrier
	s_add_i32 s4, s4, -1
	v_lshrrev_b32_e32 v5, 27, v4
	v_or_b32_e32 v4, 16, v3
	buffer_gl0_inv
	v_lshlrev_b64 v[73:74], 1, v[1:2]
	v_lshrrev_b32_e32 v82, 5, v0
	v_add_nc_u32_e32 v6, v3, v5
	v_add_nc_u32_e32 v5, v4, v5
	s_mul_i32 s2, s30, s2
	s_delay_alu instid0(SALU_CYCLE_1) | instskip(NEXT) | instid1(VALU_DEP_2)
	s_ashr_i32 s3, s2, 31
	v_ashrrev_i32_e32 v6, 5, v6
	s_delay_alu instid0(VALU_DEP_2) | instskip(SKIP_1) | instid1(SALU_CYCLE_1)
	v_ashrrev_i32_e32 v5, 5, v5
	s_lshl_b64 s[2:3], s[2:3], 2
	s_add_u32 s19, s12, s2
	s_delay_alu instid0(VALU_DEP_2) | instskip(SKIP_3) | instid1(SALU_CYCLE_1)
	v_cndmask_b32_e32 v3, s4, v6, vcc_lo
	v_cmp_gt_i32_e32 vcc_lo, s17, v4
	s_addc_u32 s35, s13, s3
	s_mul_i32 s2, s15, s6
	s_ashr_i32 s3, s2, 31
	v_cndmask_b32_e32 v5, s4, v5, vcc_lo
	v_ashrrev_i32_e32 v4, 31, v3
	s_lshl_b64 s[2:3], s[2:3], 1
	s_delay_alu instid0(SALU_CYCLE_1) | instskip(NEXT) | instid1(VALU_DEP_2)
	s_add_u32 s15, s8, s2
	v_ashrrev_i32_e32 v6, 31, v5
	s_delay_alu instid0(VALU_DEP_2) | instskip(SKIP_2) | instid1(VALU_DEP_2)
	v_lshlrev_b64 v[3:4], 2, v[3:4]
	s_addc_u32 s26, s9, s3
	s_lshl_b32 s6, s14, 3
	v_lshlrev_b64 v[5:6], 2, v[5:6]
	s_ashr_i32 s7, s6, 31
	s_delay_alu instid0(VALU_DEP_2) | instskip(SKIP_1) | instid1(VALU_DEP_3)
	v_add_co_u32 v3, vcc_lo, s19, v3
	v_add_co_ci_u32_e32 v4, vcc_lo, s35, v4, vcc_lo
	v_add_co_u32 v5, vcc_lo, s19, v5
	s_delay_alu instid0(VALU_DEP_4)
	v_add_co_ci_u32_e32 v6, vcc_lo, s35, v6, vcc_lo
	s_lshl_b64 s[6:7], s[6:7], 2
	s_clause 0x1
	global_load_b32 v7, v[3:4], off
	global_load_b32 v8, v[5:6], off
	s_add_u32 s6, s19, s6
	s_addc_u32 s7, s35, s7
	s_or_b32 s8, s16, 32
	s_delay_alu instid0(SALU_CYCLE_1) | instskip(SKIP_2) | instid1(SALU_CYCLE_1)
	s_ashr_i32 s9, s8, 5
	s_cmp_lt_i32 s8, s17
	s_cselect_b32 s8, s9, s4
	s_ashr_i32 s9, s8, 31
	s_delay_alu instid0(SALU_CYCLE_1) | instskip(NEXT) | instid1(SALU_CYCLE_1)
	s_lshl_b64 s[8:9], s[8:9], 2
	s_add_u32 s8, s19, s8
	s_addc_u32 s9, s35, s9
	s_or_b32 s12, s16, 64
	s_delay_alu instid0(SALU_CYCLE_1) | instskip(SKIP_2) | instid1(SALU_CYCLE_1)
	s_ashr_i32 s13, s12, 5
	s_cmp_lt_i32 s12, s17
	s_cselect_b32 s12, s13, s4
	s_ashr_i32 s13, s12, 31
	s_delay_alu instid0(SALU_CYCLE_1) | instskip(NEXT) | instid1(SALU_CYCLE_1)
	s_lshl_b64 s[12:13], s[12:13], 2
	;; [unrolled: 10-line block ×5, first 2 shown]
	s_add_u32 s24, s19, s24
	s_addc_u32 s25, s35, s25
	s_clause 0x5
	s_load_b32 s28, s[6:7], 0x0
	s_load_b32 s29, s[8:9], 0x0
	s_load_b32 s36, s[12:13], 0x0
	s_load_b32 s37, s[20:21], 0x0
	s_load_b32 s38, s[22:23], 0x0
	s_load_b32 s39, s[24:25], 0x0
	s_mov_b32 s20, 0
	s_or_b32 s6, s16, 0xc0
	s_mov_b32 s21, s20
	s_mov_b32 s22, s20
	;; [unrolled: 1-line block ×6, first 2 shown]
	s_ashr_i32 s7, s6, 5
	s_cmp_lt_i32 s6, s17
	s_cselect_b32 s6, s7, s4
	s_delay_alu instid0(SALU_CYCLE_1)
	s_ashr_i32 s7, s6, 31
	s_waitcnt lgkmcnt(0)
	s_mul_hi_i32 s9, s28, s5
	s_lshl_b64 s[6:7], s[6:7], 2
	s_mul_i32 s8, s28, s5
	s_add_u32 s6, s19, s6
	s_addc_u32 s7, s35, s7
	s_or_b32 s12, s16, 0xe0
	s_mul_hi_i32 s13, s29, s5
	s_mul_i32 s28, s39, s5
	s_waitcnt vmcnt(1)
	v_mad_i64_i32 v[3:4], null, v7, s5, 0
	s_waitcnt vmcnt(0)
	v_mad_i64_i32 v[5:6], null, v8, s5, 0
	s_delay_alu instid0(VALU_DEP_2) | instskip(NEXT) | instid1(VALU_DEP_2)
	v_lshlrev_b64 v[3:4], 1, v[3:4]
	v_lshlrev_b64 v[1:2], 1, v[5:6]
	s_delay_alu instid0(VALU_DEP_2) | instskip(NEXT) | instid1(VALU_DEP_3)
	v_add_co_u32 v3, vcc_lo, s15, v3
	v_add_co_ci_u32_e32 v4, vcc_lo, s26, v4, vcc_lo
	s_delay_alu instid0(VALU_DEP_3) | instskip(NEXT) | instid1(VALU_DEP_4)
	v_add_co_u32 v1, vcc_lo, s15, v1
	v_add_co_ci_u32_e32 v2, vcc_lo, s26, v2, vcc_lo
	s_delay_alu instid0(VALU_DEP_4) | instskip(NEXT) | instid1(VALU_DEP_4)
	v_add_co_u32 v25, vcc_lo, v3, v73
	v_add_co_ci_u32_e32 v26, vcc_lo, v4, v74, vcc_lo
	s_delay_alu instid0(VALU_DEP_4) | instskip(NEXT) | instid1(VALU_DEP_4)
	v_add_co_u32 v27, vcc_lo, v1, v73
	v_add_co_ci_u32_e32 v28, vcc_lo, v2, v74, vcc_lo
	s_clause 0xf
	global_load_b128 v[1:4], v[25:26], off
	global_load_b128 v[5:8], v[25:26], off offset:512
	global_load_b128 v[9:12], v[27:28], off offset:256
	;; [unrolled: 1-line block ×15, first 2 shown]
	s_mov_b32 s26, s20
	v_dual_mov_b32 v130, s27 :: v_dual_lshlrev_b32 v153, 6, v77
	v_mov_b32_e32 v124, s21
	ds_load_b128 v[25:28], v153
	ds_load_b128 v[29:32], v153 offset:1024
	ds_load_b128 v[131:134], v153 offset:2048
	ds_load_b128 v[135:138], v153 offset:3072
	v_dual_mov_b32 v129, s26 :: v_dual_mov_b32 v128, s25
	v_dual_mov_b32 v127, s24 :: v_dual_mov_b32 v126, s23
	v_mov_b32_e32 v125, s22
	v_mov_b32_e32 v123, s20
	s_ashr_i32 s15, s12, 5
	s_cmp_lt_i32 s12, s17
	s_mul_i32 s12, s29, s5
	s_cselect_b32 s20, s15, s4
	s_mul_hi_i32 s23, s36, s5
	s_ashr_i32 s21, s20, 31
	s_mul_i32 s22, s36, s5
	s_lshl_b64 s[20:21], s[20:21], 2
	s_mul_hi_i32 s25, s37, s5
	s_add_u32 s20, s19, s20
	s_addc_u32 s21, s35, s21
	s_add_i32 s15, s16, 0x100
	s_mul_i32 s24, s37, s5
	s_ashr_i32 s26, s15, 5
	s_cmp_lt_i32 s15, s17
	s_load_b32 s15, s[6:7], 0x0
	s_cselect_b32 s26, s26, s4
	s_mul_hi_i32 s7, s38, s5
	s_ashr_i32 s27, s26, 31
	s_mul_i32 s6, s38, s5
	s_lshl_b64 s[26:27], s[26:27], 2
	s_mul_hi_i32 s29, s39, s5
	s_add_u32 s26, s19, s26
	s_addc_u32 s27, s35, s27
	s_add_u32 s4, s10, s2
	s_clause 0x1
	s_load_b32 s19, s[20:21], 0x0
	s_load_b32 s26, s[26:27], 0x0
	s_addc_u32 s27, s11, s3
	s_lshl_b64 s[2:3], s[8:9], 1
	s_lshl_b64 s[8:9], s[12:13], 1
	;; [unrolled: 1-line block ×6, first 2 shown]
	s_waitcnt lgkmcnt(0)
	s_mul_hi_i32 s23, s15, s5
	s_mul_i32 s22, s15, s5
	s_delay_alu instid0(SALU_CYCLE_1)
	s_lshl_b64 s[22:23], s[22:23], 1
	s_waitcnt vmcnt(14)
	v_wmma_f32_16x16x16_f16 v[139:146], v[1:8], v[25:32], v[123:130]
	s_waitcnt vmcnt(12)
	v_wmma_f32_16x16x16_f16 v[123:130], v[9:16], v[25:32], v[123:130]
	s_waitcnt vmcnt(10)
	s_delay_alu instid0(VALU_DEP_2) | instskip(SKIP_1) | instid1(VALU_DEP_2)
	v_wmma_f32_16x16x16_f16 v[139:146], v[17:24], v[131:138], v[139:146]
	s_waitcnt vmcnt(8)
	v_wmma_f32_16x16x16_f16 v[123:130], v[83:90], v[131:138], v[123:130]
	v_mbcnt_lo_u32_b32 v132, -1, 0
	s_delay_alu instid0(VALU_DEP_1) | instskip(SKIP_1) | instid1(VALU_DEP_1)
	v_xor_b32_e32 v133, 16, v132
	v_lshlrev_b32_e32 v79, 6, v80
	v_lshl_or_b32 v33, v82, 10, v79
	s_delay_alu instid0(VALU_DEP_1) | instskip(NEXT) | instid1(VALU_DEP_1)
	v_add_co_u32 v154, s4, s4, v33
	v_add_co_ci_u32_e64 v155, null, s27, 0, s4
	s_delay_alu instid0(VALU_DEP_2) | instskip(NEXT) | instid1(VALU_DEP_2)
	v_add_co_u32 v33, vcc_lo, v154, s2
	v_add_co_ci_u32_e32 v34, vcc_lo, s3, v155, vcc_lo
	v_add_co_u32 v35, vcc_lo, v154, s8
	v_add_co_ci_u32_e32 v36, vcc_lo, s9, v155, vcc_lo
	;; [unrolled: 2-line block ×6, first 2 shown]
	s_mul_hi_i32 s3, s19, s5
	s_mul_i32 s2, s19, s5
	v_add_co_u32 v151, vcc_lo, v154, s22
	s_lshl_b64 s[2:3], s[2:3], 1
	v_add_co_ci_u32_e32 v152, vcc_lo, s23, v155, vcc_lo
	v_add_co_u32 v29, vcc_lo, v154, s2
	v_add_co_ci_u32_e32 v30, vcc_lo, s3, v155, vcc_lo
	s_mul_hi_i32 s3, s26, s5
	s_mul_i32 s2, s26, s5
	s_clause 0x7
	global_load_b128 v[65:68], v[33:34], off
	global_load_b128 v[69:72], v[33:34], off offset:16
	global_load_b128 v[57:60], v[35:36], off
	global_load_b128 v[61:64], v[35:36], off offset:16
	;; [unrolled: 2-line block ×4, first 2 shown]
	s_lshl_b64 s[2:3], s[2:3], 1
	s_clause 0x1
	global_load_b128 v[9:12], v[147:148], off
	global_load_b128 v[13:16], v[147:148], off offset:16
	v_add_co_u32 v21, vcc_lo, v154, s2
	v_add_co_ci_u32_e32 v22, vcc_lo, s3, v155, vcc_lo
	s_clause 0x7
	global_load_b128 v[1:4], v[149:150], off
	global_load_b128 v[5:8], v[149:150], off offset:16
	global_load_b128 v[33:36], v[151:152], off
	global_load_b128 v[37:40], v[151:152], off offset:16
	;; [unrolled: 2-line block ×4, first 2 shown]
	ds_load_b128 v[83:86], v153 offset:4096
	ds_load_b128 v[87:90], v153 offset:5120
	v_cmp_gt_i32_e32 vcc_lo, 32, v133
	v_cndmask_b32_e32 v132, v132, v133, vcc_lo
	s_waitcnt vmcnt(24) lgkmcnt(0)
	v_wmma_f32_16x16x16_f16 v[139:146], v[91:98], v[83:90], v[139:146]
	ds_load_b128 v[91:94], v153 offset:6144
	ds_load_b128 v[95:98], v153 offset:7168
	s_waitcnt vmcnt(22)
	v_wmma_f32_16x16x16_f16 v[123:130], v[99:106], v[83:90], v[123:130]
	s_waitcnt vmcnt(0) lgkmcnt(0)
	s_barrier
	buffer_gl0_inv
	v_wmma_f32_16x16x16_f16 v[139:146], v[107:114], v[91:98], v[139:146]
	v_and_b32_e32 v131, 0xe0, v0
	v_wmma_f32_16x16x16_f16 v[123:130], v[115:122], v[91:98], v[123:130]
	s_delay_alu instid0(VALU_DEP_3) | instskip(NEXT) | instid1(VALU_DEP_2)
	v_mul_f32_e32 v98, s18, v139
	v_dual_mul_f32 v106, s18, v129 :: v_dual_add_nc_u32 v131, s16, v131
	v_mul_f32_e32 v97, s18, v140
	s_delay_alu instid0(VALU_DEP_4) | instskip(NEXT) | instid1(VALU_DEP_3)
	v_dual_mul_f32 v95, s18, v142 :: v_dual_mul_f32 v112, s18, v123
	v_or_b32_e32 v131, v131, v78
	v_dual_mul_f32 v96, s18, v141 :: v_dual_mul_f32 v93, s18, v144
	v_mul_f32_e32 v110, s18, v125
	v_mul_f32_e32 v94, s18, v143
	s_delay_alu instid0(VALU_DEP_4)
	v_or_b32_e32 v133, 2, v131
	v_or_b32_e32 v83, 4, v131
	;; [unrolled: 1-line block ×3, first 2 shown]
	v_cmp_gt_i32_e32 vcc_lo, s17, v131
	v_or_b32_e32 v85, 8, v131
	v_cmp_gt_i32_e64 s2, s17, v133
	v_or_b32_e32 v86, 10, v131
	v_cmp_gt_i32_e64 s3, s17, v83
	v_cndmask_b32_e32 v98, 0xff7fffff, v98, vcc_lo
	v_cmp_gt_i32_e64 s4, s17, v84
	v_cndmask_b32_e64 v97, 0xff7fffff, v97, s2
	v_or_b32_e32 v87, 12, v131
	v_or_b32_e32 v88, 14, v131
	v_cndmask_b32_e64 v83, 0xff7fffff, v96, s3
	v_cndmask_b32_e64 v84, 0xff7fffff, v95, s4
	v_max3_f32 v95, v98, 0xff7fffff, v97
	v_cmp_gt_i32_e64 s5, s17, v85
	v_cmp_gt_i32_e64 s6, s17, v86
	v_or_b32_e32 v89, 16, v131
	v_or_b32_e32 v90, 18, v131
	v_dual_mul_f32 v91, s18, v146 :: v_dual_mul_f32 v108, s18, v127
	v_mul_f32_e32 v92, s18, v145
	v_cndmask_b32_e64 v85, 0xff7fffff, v94, s5
	v_cndmask_b32_e64 v86, 0xff7fffff, v93, s6
	v_max3_f32 v83, v95, v83, v84
	v_cmp_gt_i32_e64 s7, s17, v87
	v_cmp_gt_i32_e64 s8, s17, v88
	v_or_b32_e32 v99, 20, v131
	v_or_b32_e32 v100, 22, v131
	v_mul_f32_e32 v111, s18, v124
	v_cndmask_b32_e64 v84, 0xff7fffff, v92, s7
	v_cndmask_b32_e64 v87, 0xff7fffff, v91, s8
	v_max3_f32 v83, v83, v85, v86
	v_cmp_gt_i32_e64 s9, s17, v89
	v_cmp_gt_i32_e64 s10, s17, v90
	v_or_b32_e32 v101, 24, v131
	v_or_b32_e32 v102, 26, v131
	;; [unrolled: 8-line block ×3, first 2 shown]
	v_mul_f32_e32 v107, s18, v128
	v_cndmask_b32_e64 v84, 0xff7fffff, v110, s11
	v_cndmask_b32_e64 v87, 0xff7fffff, v109, s12
	v_max3_f32 v83, v83, v85, v86
	v_cmp_gt_i32_e64 s13, s17, v101
	v_cmp_gt_i32_e64 s15, s17, v102
	v_mul_f32_e32 v105, s18, v130
	v_cmp_gt_i32_e64 s16, s17, v103
	v_max3_f32 v83, v83, v84, v87
	v_cndmask_b32_e64 v85, 0xff7fffff, v108, s13
	v_cndmask_b32_e64 v86, 0xff7fffff, v107, s15
	v_cmp_gt_i32_e64 s17, s17, v104
	v_cndmask_b32_e64 v84, 0xff7fffff, v106, s16
	s_delay_alu instid0(VALU_DEP_3) | instskip(NEXT) | instid1(VALU_DEP_3)
	v_max3_f32 v83, v83, v85, v86
	v_cndmask_b32_e64 v87, 0xff7fffff, v105, s17
	v_lshlrev_b32_e32 v85, 2, v132
	s_delay_alu instid0(VALU_DEP_2) | instskip(SKIP_3) | instid1(VALU_DEP_1)
	v_max3_f32 v83, v83, v84, v87
	ds_bpermute_b32 v84, v85, v83
	s_waitcnt lgkmcnt(0)
	v_max_f32_e32 v84, v84, v84
	v_max_f32_e32 v83, v83, v84
	s_delay_alu instid0(VALU_DEP_1)
	v_fma_f32 v84, s18, v139, -v83
	v_fma_f32 v86, s18, v140, -v83
	;; [unrolled: 1-line block ×5, first 2 shown]
	v_mul_f32_e32 v84, 0x3fb8aa3b, v84
	v_mul_f32_e32 v86, 0x3fb8aa3b, v86
	s_delay_alu instid0(VALU_DEP_3) | instskip(NEXT) | instid1(VALU_DEP_3)
	v_dual_mul_f32 v90, 0x3fb8aa3b, v88 :: v_dual_mul_f32 v89, 0x3fb8aa3b, v89
	v_exp_f32_e32 v84, v84
	v_mul_f32_e32 v87, 0x3fb8aa3b, v87
	s_delay_alu instid0(VALU_DEP_3) | instskip(NEXT) | instid1(VALU_DEP_2)
	v_exp_f32_e32 v86, v86
	v_exp_f32_e32 v92, v90
	;; [unrolled: 1-line block ×3, first 2 shown]
	v_cndmask_b32_e32 v88, 0, v84, vcc_lo
	v_exp_f32_e32 v91, v87
	v_cndmask_b32_e64 v87, 0, v86, s2
	s_delay_alu instid0(TRANS32_DEP_3) | instskip(SKIP_4) | instid1(VALU_DEP_1)
	v_cndmask_b32_e64 v89, 0, v92, s4
	s_waitcnt_depctr 0xfff
	v_cndmask_b32_e64 v92, 0, v94, s5
	v_add_f32_e32 v86, 0, v88
	s_mov_b32 s2, exec_lo
	v_add_f32_e32 v86, v86, v87
	v_cndmask_b32_e64 v90, 0, v91, s3
	s_delay_alu instid0(VALU_DEP_1) | instskip(NEXT) | instid1(VALU_DEP_1)
	v_add_f32_e32 v86, v86, v90
	v_add_f32_e32 v86, v86, v89
	v_fma_f32 v84, s18, v144, -v83
	v_fma_f32 v93, s18, v145, -v83
	;; [unrolled: 1-line block ×5, first 2 shown]
	s_delay_alu instid0(VALU_DEP_4) | instskip(NEXT) | instid1(VALU_DEP_4)
	v_dual_mul_f32 v84, 0x3fb8aa3b, v84 :: v_dual_mul_f32 v93, 0x3fb8aa3b, v93
	v_mul_f32_e32 v91, 0x3fb8aa3b, v91
	v_fma_f32 v98, s18, v126, -v83
	v_fma_f32 v99, s18, v127, -v83
	s_delay_alu instid0(VALU_DEP_4) | instskip(SKIP_2) | instid1(VALU_DEP_2)
	v_exp_f32_e32 v84, v84
	v_fma_f32 v100, s18, v128, -v83
	v_exp_f32_e32 v96, v91
	v_dual_mul_f32 v98, 0x3fb8aa3b, v98 :: v_dual_mul_f32 v99, 0x3fb8aa3b, v99
	s_delay_alu instid0(VALU_DEP_2) | instskip(NEXT) | instid1(VALU_DEP_2)
	v_mul_f32_e32 v100, 0x3fb8aa3b, v100
	v_exp_f32_e32 v101, v98
	s_delay_alu instid0(VALU_DEP_2)
	v_exp_f32_e32 v99, v99
	v_cndmask_b32_e64 v91, 0, v84, s6
	v_add_f32_e32 v84, v86, v92
	v_exp_f32_e32 v93, v93
	v_fma_f32 v86, s18, v125, -v83
	v_mul_f32_e32 v97, 0x3fb8aa3b, v94
	v_exp_f32_e32 v102, v100
	v_add_f32_e32 v84, v84, v91
	s_delay_alu instid0(VALU_DEP_3) | instskip(NEXT) | instid1(VALU_DEP_3)
	v_mul_f32_e32 v86, 0x3fb8aa3b, v86
	v_exp_f32_e32 v97, v97
	v_cndmask_b32_e64 v100, 0, v99, s13
	s_delay_alu instid0(TRANS32_DEP_3) | instskip(SKIP_3) | instid1(TRANS32_DEP_3)
	v_cndmask_b32_e64 v94, 0, v93, s7
	v_mul_f32_e32 v95, 0x3fb8aa3b, v95
	v_cndmask_b32_e64 v93, 0, v96, s8
	v_exp_f32_e32 v86, v86
	v_cndmask_b32_e64 v99, 0, v102, s15
	v_add_f32_e32 v84, v84, v94
	v_exp_f32_e32 v95, v95
	s_delay_alu instid0(VALU_DEP_1)
	v_add_f32_e32 v84, v84, v93
	s_waitcnt_depctr 0xfff
	v_cndmask_b32_e64 v98, 0, v86, s11
	v_cndmask_b32_e64 v96, 0, v95, s9
	;; [unrolled: 1-line block ×3, first 2 shown]
	v_fma_f32 v97, s18, v129, -v83
	s_delay_alu instid0(VALU_DEP_1) | instskip(SKIP_3) | instid1(VALU_DEP_4)
	v_mul_f32_e32 v86, 0x3fb8aa3b, v97
	v_cndmask_b32_e64 v97, 0, v101, s12
	v_fma_f32 v101, s18, v130, -v83
	v_add_f32_e32 v84, v84, v96
	v_exp_f32_e32 v86, v86
	s_delay_alu instid0(VALU_DEP_1) | instskip(NEXT) | instid1(VALU_DEP_1)
	v_dual_mul_f32 v101, 0x3fb8aa3b, v101 :: v_dual_add_f32 v84, v84, v95
	v_exp_f32_e32 v101, v101
	s_delay_alu instid0(VALU_DEP_1) | instskip(SKIP_4) | instid1(VALU_DEP_2)
	v_add_f32_e32 v84, v84, v98
	s_waitcnt_depctr 0xfff
	v_cndmask_b32_e64 v102, 0, v86, s16
	v_add_f32_e32 v84, v84, v97
	v_cndmask_b32_e64 v101, 0, v101, s17
	v_add_f32_e32 v84, v84, v100
	s_delay_alu instid0(VALU_DEP_1) | instskip(NEXT) | instid1(VALU_DEP_1)
	v_add_f32_e32 v84, v84, v99
	v_add_f32_e32 v84, v84, v102
	s_delay_alu instid0(VALU_DEP_1)
	v_add_f32_e32 v84, v84, v101
	ds_bpermute_b32 v85, v85, v84
	v_cmpx_gt_u32_e32 16, v81
	s_cbranch_execz .LBB131_14
; %bb.13:
	v_mul_u32_u24_e32 v81, 0x44, v82
	s_waitcnt lgkmcnt(0)
	v_add_f32_e32 v84, v84, v85
	s_delay_alu instid0(VALU_DEP_2) | instskip(NEXT) | instid1(VALU_DEP_1)
	v_lshl_add_u32 v81, v80, 2, v81
	v_add_nc_u32_e32 v81, 0x4000, v81
	ds_store_2addr_b32 v81, v83, v84 offset1:136
.LBB131_14:
	s_or_b32 exec_lo, exec_lo, s2
	v_lshlrev_b32_e32 v80, 2, v80
	s_load_b32 s35, s[0:1], 0x94
	s_waitcnt lgkmcnt(0)
	s_barrier
	buffer_gl0_inv
	v_add_nc_u32_e32 v109, 0x4000, v80
	v_cmp_eq_u32_e32 vcc_lo, 1, v82
	v_cmp_eq_u32_e64 s2, 2, v82
	v_cmp_eq_u32_e64 s3, 3, v82
	;; [unrolled: 1-line block ×3, first 2 shown]
	ds_load_2addr_b32 v[80:81], v109 offset1:17
	ds_load_2addr_b32 v[83:84], v109 offset0:34 offset1:51
	ds_load_2addr_b32 v[103:104], v109 offset0:68 offset1:85
	;; [unrolled: 1-line block ×3, first 2 shown]
	v_cmp_eq_u32_e64 s5, 7, v82
	s_waitcnt lgkmcnt(3)
	v_max3_f32 v85, v80, 0xff7fffff, v81
	s_waitcnt lgkmcnt(2)
	s_delay_alu instid0(VALU_DEP_1) | instskip(SKIP_1) | instid1(VALU_DEP_1)
	v_max3_f32 v85, v85, v83, v84
	s_waitcnt lgkmcnt(1)
	v_max3_f32 v85, v85, v103, v104
	s_waitcnt lgkmcnt(0)
	s_delay_alu instid0(VALU_DEP_1) | instskip(NEXT) | instid1(VALU_DEP_1)
	v_max3_f32 v85, v85, v105, v106
	v_sub_f32_e32 v80, v80, v85
	ds_load_2addr_b32 v[107:108], v109 offset0:136 offset1:153
	v_sub_f32_e32 v83, v83, v85
	v_sub_f32_e32 v111, v84, v85
	;; [unrolled: 1-line block ×3, first 2 shown]
	v_mul_f32_e32 v110, 0x3fb8aa3b, v80
	ds_load_2addr_b32 v[80:81], v109 offset0:170 offset1:187
	v_mul_f32_e32 v112, 0x3fb8aa3b, v83
	ds_load_2addr_b32 v[83:84], v109 offset0:204 offset1:221
	v_dual_mul_f32 v111, 0x3fb8aa3b, v111 :: v_dual_mul_f32 v86, 0x3fb8aa3b, v86
	v_sub_f32_e32 v103, v103, v85
	v_exp_f32_e32 v110, v110
	v_sub_f32_e32 v105, v105, v85
	s_delay_alu instid0(VALU_DEP_3) | instskip(SKIP_1) | instid1(VALU_DEP_1)
	v_exp_f32_e32 v111, v111
	v_exp_f32_e32 v113, v86
	v_dual_mul_f32 v114, 0x3fb8aa3b, v103 :: v_dual_mul_f32 v105, 0x3fb8aa3b, v105
	s_waitcnt lgkmcnt(2)
	s_delay_alu instid0(TRANS32_DEP_3)
	v_fma_f32 v86, v110, v107, 0
	v_sub_f32_e32 v107, v104, v85
	v_exp_f32_e32 v112, v112
	ds_load_2addr_b32 v[103:104], v109 offset0:238 offset1:255
	s_waitcnt lgkmcnt(0)
	v_dual_fmac_f32 v86, v113, v108 :: v_dual_mul_f32 v107, 0x3fb8aa3b, v107
	v_exp_f32_e32 v108, v114
	s_barrier
	buffer_gl0_inv
	v_exp_f32_e32 v105, v105
	v_fmac_f32_e32 v86, v112, v80
	v_sub_f32_e32 v80, v106, v85
	v_exp_f32_e32 v106, v107
	s_delay_alu instid0(VALU_DEP_2) | instskip(NEXT) | instid1(VALU_DEP_2)
	v_fmac_f32_e32 v86, v111, v81
	v_dual_mul_f32 v80, 0x3fb8aa3b, v80 :: v_dual_cndmask_b32 v81, v110, v113
	s_delay_alu instid0(VALU_DEP_2) | instskip(NEXT) | instid1(VALU_DEP_2)
	v_fmac_f32_e32 v86, v108, v83
	v_exp_f32_e32 v107, v80
	s_waitcnt_depctr 0xfff
	v_fmac_f32_e32 v86, v106, v84
	s_delay_alu instid0(VALU_DEP_1) | instskip(NEXT) | instid1(VALU_DEP_1)
	v_fmac_f32_e32 v86, v105, v103
	v_fmac_f32_e32 v86, v107, v104
	s_delay_alu instid0(VALU_DEP_1) | instskip(NEXT) | instid1(VALU_DEP_1)
	v_add_f32_e32 v103, 0x358637bd, v86
	v_div_scale_f32 v104, null, v103, v103, 1.0
	v_div_scale_f32 v110, vcc_lo, 1.0, v103, 1.0
	s_delay_alu instid0(VALU_DEP_2) | instskip(SKIP_2) | instid1(VALU_DEP_1)
	v_rcp_f32_e32 v109, v104
	s_waitcnt_depctr 0xfff
	v_fma_f32 v80, -v104, v109, 1.0
	v_fmac_f32_e32 v109, v80, v109
	v_cndmask_b32_e64 v80, v81, v112, s2
	v_cmp_eq_u32_e64 s2, 4, v82
	v_lshl_or_b32 v81, v82, 11, v79
	s_delay_alu instid0(VALU_DEP_4) | instskip(NEXT) | instid1(VALU_DEP_4)
	v_mul_f32_e32 v112, v110, v109
	v_cndmask_b32_e64 v83, v80, v111, s3
	v_cmp_eq_u32_e64 s3, 6, v82
	v_lshlrev_b32_e32 v80, 2, v78
	v_lshl_or_b32 v78, v78, 4, v81
	v_fma_f32 v84, -v104, v112, v110
	v_cndmask_b32_e64 v83, v83, v108, s2
	s_delay_alu instid0(VALU_DEP_4) | instskip(SKIP_1) | instid1(VALU_DEP_4)
	v_or_b32_e32 v82, 1, v80
	v_cmp_eq_u32_e64 s2, 1, v80
	v_fmac_f32_e32 v112, v84, v109
	s_delay_alu instid0(VALU_DEP_4)
	v_cndmask_b32_e64 v106, v83, v106, s4
	v_or_b32_e32 v84, 2, v80
	v_or_b32_e32 v83, 3, v80
	v_cmp_eq_u32_e64 s8, 1, v82
	v_fma_f32 v104, -v104, v112, v110
	v_cndmask_b32_e64 v105, v106, v105, s3
	v_cmp_eq_u32_e64 s9, 1, v84
	v_cmp_eq_u32_e64 s10, 1, v83
	;; [unrolled: 1-line block ×3, first 2 shown]
	v_div_fmas_f32 v104, v104, v109, v112
	v_cndmask_b32_e64 v105, v105, v107, s5
	v_cmp_eq_u32_e32 vcc_lo, 2, v80
	v_cmp_eq_u32_e64 s13, 2, v84
	v_cmp_eq_u32_e64 s15, 2, v83
	v_div_fixup_f32 v103, v104, v103, 1.0
	v_cmp_eq_u32_e64 s17, 3, v83
	v_cmp_eq_u32_e64 s3, 3, v80
	v_cmp_eq_u32_e64 s12, 3, v82
	v_cmp_eq_u32_e64 s16, 3, v84
	v_mul_f32_e32 v111, v105, v103
	v_cmp_eq_u32_e64 s21, 4, v83
	v_cmp_eq_u32_e64 s4, 4, v80
	;; [unrolled: 1-line block ×4, first 2 shown]
	v_fma_mixlo_f16 v103, v111, v88, 0
	v_fma_mixlo_f16 v104, v111, v90, 0
	;; [unrolled: 1-line block ×8, first 2 shown]
	v_fma_mixhi_f16 v103, v111, v87, 0
	v_fma_mixhi_f16 v104, v111, v89, 0
	v_fma_mixhi_f16 v105, v111, v91, 0
	v_fma_mixhi_f16 v106, v111, v93, 0
	v_fma_mixhi_f16 v107, v111, v95, 0
	v_fma_mixhi_f16 v108, v111, v97, 0
	v_fma_mixhi_f16 v109, v111, v99, 0
	v_fma_mixhi_f16 v110, v111, v101, 0
	ds_store_b128 v78, v[103:106]
	ds_store_b128 v78, v[107:110] offset:1024
	s_waitcnt lgkmcnt(0)
	s_barrier
	buffer_gl0_inv
	ds_load_b128 v[87:90], v81
	ds_load_b128 v[91:94], v81 offset:16
	ds_load_b128 v[95:98], v81 offset:1024
	;; [unrolled: 1-line block ×3, first 2 shown]
	v_cmp_eq_u32_e64 s23, 5, v83
	v_cmp_eq_u32_e64 s5, 5, v80
	;; [unrolled: 1-line block ×12, first 2 shown]
	s_waitcnt lgkmcnt(3)
	v_lshrrev_b32_e32 v103, 16, v87
	s_waitcnt lgkmcnt(2)
	v_lshrrev_b32_e32 v107, 16, v91
	;; [unrolled: 2-line block ×4, first 2 shown]
	v_lshrrev_b32_e32 v104, 16, v88
	v_cndmask_b32_e64 v119, v87, v103, s2
	v_cndmask_b32_e64 v120, v91, v107, s2
	;; [unrolled: 1-line block ×8, first 2 shown]
	v_lshrrev_b32_e32 v108, 16, v92
	v_cndmask_b32_e64 v103, v95, v111, s2
	v_cndmask_b32_e64 v107, v99, v115, s2
	;; [unrolled: 1-line block ×5, first 2 shown]
	v_cndmask_b32_e32 v111, v119, v88, vcc_lo
	v_cndmask_b32_e64 v119, v121, v88, s11
	v_cndmask_b32_e64 v121, v123, v88, s13
	;; [unrolled: 1-line block ×4, first 2 shown]
	v_lshrrev_b32_e32 v112, 16, v96
	v_lshrrev_b32_e32 v116, 16, v100
	v_cndmask_b32_e64 v126, v99, v115, s8
	v_cndmask_b32_e64 v128, v99, v115, s9
	;; [unrolled: 1-line block ×3, first 2 shown]
	v_cndmask_b32_e32 v115, v120, v92, vcc_lo
	v_cndmask_b32_e64 v120, v122, v92, s11
	v_cndmask_b32_e64 v122, v124, v92, s13
	v_cndmask_b32_e32 v91, v103, v96, vcc_lo
	v_cndmask_b32_e32 v92, v107, v100, vcc_lo
	v_cndmask_b32_e64 v103, v125, v96, s11
	v_cndmask_b32_e64 v87, v87, v104, s17
	;; [unrolled: 1-line block ×3, first 2 shown]
	v_lshrrev_b32_e32 v105, 16, v89
	v_lshrrev_b32_e32 v109, 16, v93
	v_cndmask_b32_e64 v107, v127, v96, s13
	v_cndmask_b32_e64 v95, v95, v96, s15
	;; [unrolled: 1-line block ×14, first 2 shown]
	v_lshrrev_b32_e32 v113, 16, v97
	v_cndmask_b32_e64 v99, v99, v89, s4
	v_cndmask_b32_e64 v104, v111, v93, s4
	;; [unrolled: 1-line block ×11, first 2 shown]
	v_lshrrev_b32_e32 v106, 16, v90
	v_lshrrev_b32_e32 v110, 16, v94
	v_cndmask_b32_e64 v93, v99, v105, s5
	v_cndmask_b32_e64 v99, v104, v109, s5
	;; [unrolled: 1-line block ×9, first 2 shown]
	v_lshrrev_b32_e32 v114, 16, v98
	v_cndmask_b32_e64 v89, v89, v113, s5
	v_cndmask_b32_e64 v93, v93, v90, s6
	;; [unrolled: 1-line block ×19, first 2 shown]
	v_perm_b32 v90, v88, v87, 0x5040100
	v_cndmask_b32_e64 v87, v126, v100, s11
	v_cndmask_b32_e64 v105, v89, v114, s7
	v_perm_b32 v89, v103, v99, 0x5040100
	v_perm_b32 v88, v104, v94, 0x5040100
	v_cndmask_b32_e64 v94, v107, v112, s16
	v_cndmask_b32_e64 v95, v95, v112, s17
	;; [unrolled: 1-line block ×5, first 2 shown]
	v_lshrrev_b32_e32 v117, 16, v101
	v_cndmask_b32_e64 v94, v94, v97, s20
	v_cndmask_b32_e64 v95, v95, v97, s21
	;; [unrolled: 1-line block ×11, first 2 shown]
	v_lshrrev_b32_e32 v118, 16, v102
	v_cndmask_b32_e64 v91, v91, v102, s6
	v_cndmask_b32_e64 v94, v94, v98, s25
	;; [unrolled: 1-line block ×12, first 2 shown]
	v_perm_b32 v87, v93, v92, 0x5040100
	v_perm_b32 v94, v95, v94, 0x5040100
	;; [unrolled: 1-line block ×5, first 2 shown]
	s_lshl_b32 s6, s34, 1
	s_mov_b32 s2, exec_lo
	ds_store_b128 v78, v[87:90]
	ds_store_b128 v78, v[91:94] offset:1024
	v_cmpx_gt_u32_e32 2, v0
	s_cbranch_execz .LBB131_16
; %bb.15:
	v_or_b32_e32 v87, s33, v0
	s_load_b128 s[8:11], s[0:1], 0x58
	s_delay_alu instid0(VALU_DEP_1) | instskip(NEXT) | instid1(VALU_DEP_1)
	v_mad_u64_u32 v[88:89], null, s6, s30, v[87:88]
	v_mad_u64_u32 v[89:90], null, v88, s35, s[14:15]
	s_delay_alu instid0(VALU_DEP_1) | instskip(NEXT) | instid1(VALU_DEP_1)
	v_ashrrev_i32_e32 v90, 31, v89
	v_lshlrev_b64 v[87:88], 2, v[89:90]
	s_waitcnt lgkmcnt(0)
	s_delay_alu instid0(VALU_DEP_1) | instskip(NEXT) | instid1(VALU_DEP_2)
	v_add_co_u32 v89, vcc_lo, s10, v87
	v_add_co_ci_u32_e32 v90, vcc_lo, s11, v88, vcc_lo
	v_add_co_u32 v87, vcc_lo, s8, v87
	v_add_co_ci_u32_e32 v88, vcc_lo, s9, v88, vcc_lo
	global_store_b32 v[89:90], v85, off
	global_store_b32 v[87:88], v86, off
.LBB131_16:
	s_or_b32 exec_lo, exec_lo, s2
	s_waitcnt lgkmcnt(0)
	s_waitcnt_vscnt null, 0x0
	s_barrier
	buffer_gl0_inv
	ds_load_b128 v[93:96], v79
	ds_load_b128 v[97:100], v79 offset:16
	ds_load_b128 v[105:108], v79 offset:1040
	;; [unrolled: 1-line block ×5, first 2 shown]
	v_cmp_eq_u32_e32 vcc_lo, 1, v84
	v_mov_b32_e32 v85, 0
	ds_load_b128 v[121:124], v79 offset:3088
	ds_load_b128 v[117:120], v79 offset:3072
	;; [unrolled: 1-line block ×4, first 2 shown]
	v_cmp_eq_u32_e64 s2, 1, v80
	v_cmp_eq_u32_e64 s3, 1, v83
	;; [unrolled: 1-line block ×3, first 2 shown]
	v_mov_b32_e32 v86, v85
	v_mov_b32_e32 v87, v85
	;; [unrolled: 1-line block ×7, first 2 shown]
	v_cmp_eq_u32_e64 s5, 2, v80
	s_waitcnt lgkmcnt(8)
	s_delay_alu instid0(VALU_DEP_2)
	v_wmma_f32_16x16x16_f16 v[85:92], v[65:72], v[93:100], v[85:92]
	ds_load_b128 v[69:72], v79 offset:5136
	ds_load_b128 v[65:68], v79 offset:5120
	;; [unrolled: 1-line block ×4, first 2 shown]
	s_waitcnt lgkmcnt(10)
	v_wmma_f32_16x16x16_f16 v[85:92], v[57:64], v[101:108], v[85:92]
	s_waitcnt lgkmcnt(8)
	s_delay_alu instid0(VALU_DEP_1)
	v_wmma_f32_16x16x16_f16 v[85:92], v[57:64], v[109:116], v[85:92]
	ds_load_b128 v[61:64], v79 offset:7184
	ds_load_b128 v[57:60], v79 offset:7168
	;; [unrolled: 1-line block ×4, first 2 shown]
	s_waitcnt lgkmcnt(10)
	v_wmma_f32_16x16x16_f16 v[85:92], v[49:56], v[117:124], v[85:92]
	s_waitcnt lgkmcnt(8)
	s_delay_alu instid0(VALU_DEP_1)
	v_wmma_f32_16x16x16_f16 v[85:92], v[49:56], v[125:132], v[85:92]
	ds_load_b128 v[53:56], v79 offset:9232
	ds_load_b128 v[49:52], v79 offset:9216
	s_waitcnt lgkmcnt(8)
	v_wmma_f32_16x16x16_f16 v[85:92], v[41:48], v[65:72], v[85:92]
	ds_load_b128 v[69:72], v79 offset:10256
	ds_load_b128 v[65:68], v79 offset:10240
	s_waitcnt lgkmcnt(8)
	;; [unrolled: 4-line block ×7, first 2 shown]
	s_barrier
	buffer_gl0_inv
	v_wmma_f32_16x16x16_f16 v[85:92], v[33:40], v[41:48], v[85:92]
	s_delay_alu instid0(VALU_DEP_1) | instskip(NEXT) | instid1(VALU_DEP_1)
	v_wmma_f32_16x16x16_f16 v[85:92], v[33:40], v[57:64], v[85:92]
	v_wmma_f32_16x16x16_f16 v[85:92], v[25:32], v[9:16], v[85:92]
	s_delay_alu instid0(VALU_DEP_1) | instskip(NEXT) | instid1(VALU_DEP_1)
	v_wmma_f32_16x16x16_f16 v[85:92], v[25:32], v[49:56], v[85:92]
	v_wmma_f32_16x16x16_f16 v[85:92], v[17:24], v[1:8], v[85:92]
	s_delay_alu instid0(VALU_DEP_1) | instskip(NEXT) | instid1(VALU_DEP_2)
	v_cvt_f16_f32_e32 v1, v85
	v_cvt_f16_f32_e32 v2, v86
	s_delay_alu instid0(VALU_DEP_3) | instskip(NEXT) | instid1(VALU_DEP_4)
	v_cvt_f16_f32_e32 v3, v87
	v_cvt_f16_f32_e32 v4, v88
	;; [unrolled: 1-line block ×6, first 2 shown]
	v_pack_b32_f16 v1, v1, v2
	v_pack_b32_f16 v2, v3, v4
	;; [unrolled: 1-line block ×3, first 2 shown]
	s_delay_alu instid0(VALU_DEP_4)
	v_pack_b32_f16 v4, v7, v8
	ds_store_b128 v78, v[1:4]
	s_waitcnt lgkmcnt(0)
	s_barrier
	buffer_gl0_inv
	ds_load_b128 v[1:4], v81
	ds_load_b128 v[5:8], v81 offset:16
	s_waitcnt lgkmcnt(1)
	v_lshrrev_b32_e32 v9, 16, v1
	s_waitcnt lgkmcnt(0)
	v_lshrrev_b32_e32 v13, 16, v5
	v_lshrrev_b32_e32 v15, 16, v7
	;; [unrolled: 1-line block ×4, first 2 shown]
	v_cndmask_b32_e64 v17, v1, v9, s2
	v_cndmask_b32_e64 v18, v5, v13, s2
	;; [unrolled: 1-line block ×3, first 2 shown]
	v_cmp_eq_u32_e64 s2, 2, v82
	v_cndmask_b32_e64 v20, v5, v13, s4
	v_cndmask_b32_e32 v21, v1, v9, vcc_lo
	v_cndmask_b32_e32 v22, v5, v13, vcc_lo
	v_cndmask_b32_e64 v1, v1, v9, s3
	v_cndmask_b32_e64 v5, v5, v13, s3
	v_cmp_eq_u32_e32 vcc_lo, 2, v84
	v_cmp_eq_u32_e64 s3, 2, v83
	v_cndmask_b32_e64 v9, v17, v2, s5
	v_cndmask_b32_e64 v13, v18, v6, s5
	v_cndmask_b32_e64 v17, v19, v2, s2
	v_cndmask_b32_e64 v18, v20, v6, s2
	v_cndmask_b32_e32 v19, v21, v2, vcc_lo
	v_cmp_eq_u32_e64 s2, 3, v84
	v_cndmask_b32_e32 v20, v22, v6, vcc_lo
	v_cndmask_b32_e64 v1, v1, v2, s3
	v_cmp_eq_u32_e32 vcc_lo, 3, v83
	v_cmp_eq_u32_e64 s4, 3, v80
	v_cndmask_b32_e64 v2, v5, v6, s3
	v_cmp_eq_u32_e64 s3, 3, v82
	v_lshrrev_b32_e32 v16, 16, v8
	v_cmp_eq_u32_e64 s5, 4, v80
	v_cndmask_b32_e64 v5, v9, v10, s4
	v_cndmask_b32_e64 v6, v13, v14, s4
	v_cndmask_b32_e64 v9, v17, v10, s3
	v_cmp_eq_u32_e64 s4, 4, v82
	v_cndmask_b32_e64 v13, v18, v14, s3
	v_cndmask_b32_e64 v17, v19, v10, s2
	;; [unrolled: 1-line block ×3, first 2 shown]
	v_cndmask_b32_e32 v1, v1, v10, vcc_lo
	v_cndmask_b32_e32 v2, v2, v14, vcc_lo
	v_cmp_eq_u32_e32 vcc_lo, 4, v84
	v_cmp_eq_u32_e64 s3, 4, v83
	v_lshrrev_b32_e32 v11, 16, v3
	v_cndmask_b32_e64 v5, v5, v3, s5
	v_cndmask_b32_e64 v6, v6, v7, s5
	;; [unrolled: 1-line block ×4, first 2 shown]
	v_cndmask_b32_e32 v13, v17, v3, vcc_lo
	v_cmp_eq_u32_e64 s2, 5, v84
	v_cndmask_b32_e32 v14, v18, v7, vcc_lo
	v_cndmask_b32_e64 v1, v1, v3, s3
	v_cmp_eq_u32_e32 vcc_lo, 5, v83
	v_cmp_eq_u32_e64 s4, 5, v80
	v_cndmask_b32_e64 v2, v2, v7, s3
	v_cmp_eq_u32_e64 s3, 5, v82
	v_cmp_eq_u32_e64 s5, 6, v80
	v_cndmask_b32_e32 v1, v1, v11, vcc_lo
	v_cndmask_b32_e64 v3, v5, v11, s4
	v_cndmask_b32_e64 v5, v6, v15, s4
	;; [unrolled: 1-line block ×3, first 2 shown]
	v_cmp_eq_u32_e64 s4, 6, v82
	v_cndmask_b32_e64 v7, v10, v15, s3
	v_cndmask_b32_e64 v9, v13, v11, s2
	;; [unrolled: 1-line block ×3, first 2 shown]
	v_cndmask_b32_e32 v2, v2, v15, vcc_lo
	v_cmp_eq_u32_e32 vcc_lo, 6, v84
	v_cmp_eq_u32_e64 s2, 6, v83
	v_lshrrev_b32_e32 v12, 16, v4
	v_cndmask_b32_e64 v3, v3, v4, s5
	v_cndmask_b32_e64 v5, v5, v8, s5
	;; [unrolled: 1-line block ×4, first 2 shown]
	v_cndmask_b32_e32 v9, v9, v4, vcc_lo
	v_cmp_eq_u32_e64 s3, 7, v84
	v_cndmask_b32_e32 v10, v10, v8, vcc_lo
	v_cndmask_b32_e64 v1, v1, v4, s2
	v_cmp_eq_u32_e32 vcc_lo, 7, v83
	v_cndmask_b32_e64 v2, v2, v8, s2
	v_cmp_eq_u32_e64 s2, 7, v80
	v_cmp_eq_u32_e64 s4, 7, v82
	v_cndmask_b32_e32 v1, v1, v12, vcc_lo
	s_delay_alu instid0(VALU_DEP_4) | instskip(NEXT) | instid1(VALU_DEP_4)
	v_cndmask_b32_e32 v2, v2, v16, vcc_lo
	v_cndmask_b32_e64 v8, v3, v12, s2
	s_delay_alu instid0(VALU_DEP_4)
	v_cndmask_b32_e64 v6, v6, v12, s4
	v_cndmask_b32_e64 v3, v9, v12, s3
	;; [unrolled: 1-line block ×5, first 2 shown]
	v_perm_b32 v4, v2, v1, 0x5040100
	s_delay_alu instid0(VALU_DEP_4) | instskip(NEXT) | instid1(VALU_DEP_4)
	v_perm_b32 v3, v9, v3, 0x5040100
	v_perm_b32 v2, v7, v6, 0x5040100
	s_delay_alu instid0(VALU_DEP_4)
	v_perm_b32 v1, v5, v8, 0x5040100
	ds_store_b128 v78, v[1:4]
	s_waitcnt lgkmcnt(0)
	s_barrier
	buffer_gl0_inv
	s_and_saveexec_b32 s2, s31
	s_cbranch_execz .LBB131_2
; %bb.17:
	s_load_b64 s[0:1], s[0:1], 0x68
	v_lshlrev_b32_e32 v0, 10, v0
	s_lshl_b32 s2, s35, 6
	v_lshlrev_b32_e32 v1, 4, v77
	v_mul_lo_u32 v4, s2, v76
	s_mul_i32 s3, s2, s30
	v_and_b32_e32 v0, 0x3800, v0
	s_mul_i32 s2, s3, s6
	s_delay_alu instid0(SALU_CYCLE_1) | instskip(NEXT) | instid1(VALU_DEP_1)
	s_ashr_i32 s3, s2, 31
	v_or3_b32 v0, v0, v75, v1
	s_lshl_b64 s[2:3], s[2:3], 1
	s_delay_alu instid0(VALU_DEP_3)
	v_ashrrev_i32_e32 v5, 31, v4
	ds_load_b128 v[0:3], v0
	v_lshlrev_b64 v[4:5], 1, v[4:5]
	s_waitcnt lgkmcnt(0)
	s_add_u32 s2, s0, s2
	s_addc_u32 s3, s1, s3
	s_lshl_b32 s0, s14, 6
	s_delay_alu instid0(SALU_CYCLE_1) | instskip(NEXT) | instid1(SALU_CYCLE_1)
	s_ashr_i32 s1, s0, 31
	s_lshl_b64 s[0:1], s[0:1], 1
	s_delay_alu instid0(SALU_CYCLE_1) | instskip(SKIP_3) | instid1(VALU_DEP_2)
	s_add_u32 s0, s2, s0
	s_addc_u32 s1, s3, s1
	v_add_co_u32 v4, vcc_lo, s0, v4
	v_add_co_ci_u32_e32 v5, vcc_lo, s1, v5, vcc_lo
	v_add_co_u32 v4, vcc_lo, v4, v73
	s_delay_alu instid0(VALU_DEP_2)
	v_add_co_ci_u32_e32 v5, vcc_lo, v5, v74, vcc_lo
	global_store_b128 v[4:5], v[0:3], off
	s_nop 0
	s_sendmsg sendmsg(MSG_DEALLOC_VGPRS)
	s_endpgm
	.section	.rodata,"a",@progbits
	.p2align	6, 0x0
	.amdhsa_kernel _Z39paged_attention_ll4mi_QKV_mfma16_kernelIDF16_DF16_LN4vllm18Fp8KVCacheDataTypeE0EhLi32ELi64ELi256ELb1ELi2EL8MFMAType0EEvPKT_PKT0_S8_ifPKiSA_SA_iPKfiiiPfSD_PS3_PT2_iSC_SC_
		.amdhsa_group_segment_fixed_size 17472
		.amdhsa_private_segment_fixed_size 0
		.amdhsa_kernarg_size 400
		.amdhsa_user_sgpr_count 13
		.amdhsa_user_sgpr_dispatch_ptr 0
		.amdhsa_user_sgpr_queue_ptr 0
		.amdhsa_user_sgpr_kernarg_segment_ptr 1
		.amdhsa_user_sgpr_dispatch_id 0
		.amdhsa_user_sgpr_private_segment_size 0
		.amdhsa_wavefront_size32 1
		.amdhsa_uses_dynamic_stack 0
		.amdhsa_enable_private_segment 0
		.amdhsa_system_sgpr_workgroup_id_x 1
		.amdhsa_system_sgpr_workgroup_id_y 1
		.amdhsa_system_sgpr_workgroup_id_z 1
		.amdhsa_system_sgpr_workgroup_info 0
		.amdhsa_system_vgpr_workitem_id 0
		.amdhsa_next_free_vgpr 156
		.amdhsa_next_free_sgpr 40
		.amdhsa_reserve_vcc 1
		.amdhsa_float_round_mode_32 0
		.amdhsa_float_round_mode_16_64 0
		.amdhsa_float_denorm_mode_32 3
		.amdhsa_float_denorm_mode_16_64 3
		.amdhsa_dx10_clamp 1
		.amdhsa_ieee_mode 1
		.amdhsa_fp16_overflow 0
		.amdhsa_workgroup_processor_mode 1
		.amdhsa_memory_ordered 1
		.amdhsa_forward_progress 0
		.amdhsa_shared_vgpr_count 0
		.amdhsa_exception_fp_ieee_invalid_op 0
		.amdhsa_exception_fp_denorm_src 0
		.amdhsa_exception_fp_ieee_div_zero 0
		.amdhsa_exception_fp_ieee_overflow 0
		.amdhsa_exception_fp_ieee_underflow 0
		.amdhsa_exception_fp_ieee_inexact 0
		.amdhsa_exception_int_div_zero 0
	.end_amdhsa_kernel
	.section	.text._Z39paged_attention_ll4mi_QKV_mfma16_kernelIDF16_DF16_LN4vllm18Fp8KVCacheDataTypeE0EhLi32ELi64ELi256ELb1ELi2EL8MFMAType0EEvPKT_PKT0_S8_ifPKiSA_SA_iPKfiiiPfSD_PS3_PT2_iSC_SC_,"axG",@progbits,_Z39paged_attention_ll4mi_QKV_mfma16_kernelIDF16_DF16_LN4vllm18Fp8KVCacheDataTypeE0EhLi32ELi64ELi256ELb1ELi2EL8MFMAType0EEvPKT_PKT0_S8_ifPKiSA_SA_iPKfiiiPfSD_PS3_PT2_iSC_SC_,comdat
.Lfunc_end131:
	.size	_Z39paged_attention_ll4mi_QKV_mfma16_kernelIDF16_DF16_LN4vllm18Fp8KVCacheDataTypeE0EhLi32ELi64ELi256ELb1ELi2EL8MFMAType0EEvPKT_PKT0_S8_ifPKiSA_SA_iPKfiiiPfSD_PS3_PT2_iSC_SC_, .Lfunc_end131-_Z39paged_attention_ll4mi_QKV_mfma16_kernelIDF16_DF16_LN4vllm18Fp8KVCacheDataTypeE0EhLi32ELi64ELi256ELb1ELi2EL8MFMAType0EEvPKT_PKT0_S8_ifPKiSA_SA_iPKfiiiPfSD_PS3_PT2_iSC_SC_
                                        ; -- End function
	.section	.AMDGPU.csdata,"",@progbits
; Kernel info:
; codeLenInByte = 7008
; NumSgprs: 42
; NumVgprs: 156
; ScratchSize: 0
; MemoryBound: 0
; FloatMode: 240
; IeeeMode: 1
; LDSByteSize: 17472 bytes/workgroup (compile time only)
; SGPRBlocks: 5
; VGPRBlocks: 19
; NumSGPRsForWavesPerEU: 42
; NumVGPRsForWavesPerEU: 156
; Occupancy: 9
; WaveLimiterHint : 1
; COMPUTE_PGM_RSRC2:SCRATCH_EN: 0
; COMPUTE_PGM_RSRC2:USER_SGPR: 13
; COMPUTE_PGM_RSRC2:TRAP_HANDLER: 0
; COMPUTE_PGM_RSRC2:TGID_X_EN: 1
; COMPUTE_PGM_RSRC2:TGID_Y_EN: 1
; COMPUTE_PGM_RSRC2:TGID_Z_EN: 1
; COMPUTE_PGM_RSRC2:TIDIG_COMP_CNT: 0
	.section	.text._Z39paged_attention_ll4mi_QKV_mfma16_kernelIDF16_DF16_LN4vllm18Fp8KVCacheDataTypeE0EhLi32ELi64ELi256ELb1ELi3EL8MFMAType0EEvPKT_PKT0_S8_ifPKiSA_SA_iPKfiiiPfSD_PS3_PT2_iSC_SC_,"axG",@progbits,_Z39paged_attention_ll4mi_QKV_mfma16_kernelIDF16_DF16_LN4vllm18Fp8KVCacheDataTypeE0EhLi32ELi64ELi256ELb1ELi3EL8MFMAType0EEvPKT_PKT0_S8_ifPKiSA_SA_iPKfiiiPfSD_PS3_PT2_iSC_SC_,comdat
	.protected	_Z39paged_attention_ll4mi_QKV_mfma16_kernelIDF16_DF16_LN4vllm18Fp8KVCacheDataTypeE0EhLi32ELi64ELi256ELb1ELi3EL8MFMAType0EEvPKT_PKT0_S8_ifPKiSA_SA_iPKfiiiPfSD_PS3_PT2_iSC_SC_ ; -- Begin function _Z39paged_attention_ll4mi_QKV_mfma16_kernelIDF16_DF16_LN4vllm18Fp8KVCacheDataTypeE0EhLi32ELi64ELi256ELb1ELi3EL8MFMAType0EEvPKT_PKT0_S8_ifPKiSA_SA_iPKfiiiPfSD_PS3_PT2_iSC_SC_
	.globl	_Z39paged_attention_ll4mi_QKV_mfma16_kernelIDF16_DF16_LN4vllm18Fp8KVCacheDataTypeE0EhLi32ELi64ELi256ELb1ELi3EL8MFMAType0EEvPKT_PKT0_S8_ifPKiSA_SA_iPKfiiiPfSD_PS3_PT2_iSC_SC_
	.p2align	8
	.type	_Z39paged_attention_ll4mi_QKV_mfma16_kernelIDF16_DF16_LN4vllm18Fp8KVCacheDataTypeE0EhLi32ELi64ELi256ELb1ELi3EL8MFMAType0EEvPKT_PKT0_S8_ifPKiSA_SA_iPKfiiiPfSD_PS3_PT2_iSC_SC_,@function
_Z39paged_attention_ll4mi_QKV_mfma16_kernelIDF16_DF16_LN4vllm18Fp8KVCacheDataTypeE0EhLi32ELi64ELi256ELb1ELi3EL8MFMAType0EEvPKT_PKT0_S8_ifPKiSA_SA_iPKfiiiPfSD_PS3_PT2_iSC_SC_: ; @_Z39paged_attention_ll4mi_QKV_mfma16_kernelIDF16_DF16_LN4vllm18Fp8KVCacheDataTypeE0EhLi32ELi64ELi256ELb1ELi3EL8MFMAType0EEvPKT_PKT0_S8_ifPKiSA_SA_iPKfiiiPfSD_PS3_PT2_iSC_SC_
; %bb.0:
	s_load_b64 s[2:3], s[0:1], 0x30
	s_mov_b32 s34, s13
	s_waitcnt lgkmcnt(0)
	s_cmp_lg_u64 s[2:3], 0
	s_cselect_b32 s6, -1, 0
	s_ashr_i32 s35, s13, 31
	s_cmp_eq_u64 s[2:3], 0
	s_cbranch_scc1 .LBB132_3
; %bb.1:
	s_lshl_b64 s[4:5], s[34:35], 2
	s_delay_alu instid0(SALU_CYCLE_1) | instskip(SKIP_4) | instid1(SALU_CYCLE_1)
	s_add_u32 s4, s2, s4
	s_addc_u32 s5, s3, s5
	s_load_b64 s[4:5], s[4:5], 0x0
	s_waitcnt lgkmcnt(0)
	s_sub_i32 s4, s5, s4
	s_cmp_eq_u32 s4, 1
	s_cselect_b32 s4, -1, 0
	s_delay_alu instid0(SALU_CYCLE_1)
	s_and_not1_b32 vcc_lo, exec_lo, s4
	s_cbranch_vccz .LBB132_4
.LBB132_2:
	s_nop 0
	s_sendmsg sendmsg(MSG_DEALLOC_VGPRS)
	s_endpgm
.LBB132_3:
.LBB132_4:
	s_load_b64 s[8:9], s[0:1], 0x28
	s_lshl_b64 s[4:5], s[34:35], 2
	s_waitcnt lgkmcnt(0)
	s_add_u32 s8, s8, s4
	s_addc_u32 s9, s9, s5
	s_lshl_b32 s16, s14, 8
	s_load_b32 s18, s[8:9], 0x0
	s_waitcnt lgkmcnt(0)
	s_cmp_ge_i32 s16, s18
	s_cbranch_scc1 .LBB132_2
; %bb.5:
	s_and_not1_b32 vcc_lo, exec_lo, s6
	s_cbranch_vccnz .LBB132_7
; %bb.6:
	s_add_u32 s2, s2, s4
	s_addc_u32 s3, s3, s5
	s_load_b32 s17, s[2:3], 0x0
	s_branch .LBB132_8
.LBB132_7:
	s_mov_b32 s17, s34
.LBB132_8:
	s_clause 0x2
	s_load_b128 s[8:11], s[0:1], 0x8
	s_load_b64 s[12:13], s[0:1], 0x20
	s_load_b128 s[4:7], s[0:1], 0x48
	v_lshrrev_b32_e32 v78, 5, v0
	v_bfe_u32 v75, v0, 4, 1
	v_and_b32_e32 v77, 15, v0
	s_delay_alu instid0(VALU_DEP_2) | instskip(NEXT) | instid1(VALU_DEP_2)
	v_lshl_or_b32 v3, v78, 1, v75
	v_cmp_lt_u32_e64 s3, 7, v77
	v_lshlrev_b32_e32 v1, 3, v77
	v_cmp_gt_u32_e64 s2, 8, v77
	s_delay_alu instid0(VALU_DEP_4) | instskip(NEXT) | instid1(VALU_DEP_4)
	v_cmp_lt_u32_e32 vcc_lo, 2, v3
	s_or_b32 s3, s3, vcc_lo
	s_waitcnt lgkmcnt(0)
	s_and_saveexec_b32 s7, s3
	s_delay_alu instid0(SALU_CYCLE_1)
	s_xor_b32 s3, exec_lo, s7
; %bb.9:
	v_mov_b32_e32 v2, 0
                                        ; implicit-def: $vgpr3
; %bb.10:
	s_or_saveexec_b32 s3, s3
	v_and_b32_e32 v80, 31, v0
	v_and_b32_e32 v76, 1, v0
	s_mul_i32 s33, s15, 3
	s_xor_b32 exec_lo, exec_lo, s3
	s_cbranch_execz .LBB132_12
; %bb.11:
	s_load_b64 s[20:21], s[0:1], 0x0
	v_add_lshl_u32 v4, v3, s33, 6
	s_mul_hi_i32 s23, s17, s4
	s_mul_i32 s22, s17, s4
	v_lshlrev_b32_e32 v2, 1, v1
	s_lshl_b64 s[22:23], s[22:23], 1
	v_ashrrev_i32_e32 v5, 31, v4
	v_lshlrev_b32_e32 v3, 6, v3
	v_lshlrev_b32_e32 v8, 10, v76
	s_delay_alu instid0(VALU_DEP_3) | instskip(SKIP_3) | instid1(VALU_DEP_1)
	v_lshlrev_b64 v[4:5], 1, v[4:5]
	s_waitcnt lgkmcnt(0)
	s_add_u32 s4, s20, s22
	s_addc_u32 s7, s21, s23
	v_add_co_u32 v4, vcc_lo, s4, v4
	s_delay_alu instid0(VALU_DEP_2) | instskip(NEXT) | instid1(VALU_DEP_2)
	v_add_co_ci_u32_e32 v5, vcc_lo, s7, v5, vcc_lo
	v_add_co_u32 v4, vcc_lo, v4, v2
	s_delay_alu instid0(VALU_DEP_2) | instskip(SKIP_3) | instid1(VALU_DEP_1)
	v_add_co_ci_u32_e32 v5, vcc_lo, 0, v5, vcc_lo
	v_lshlrev_b32_e32 v2, 10, v77
	global_load_b128 v[4:7], v[4:5], off
	v_and_b32_e32 v2, 0x3800, v2
	v_or3_b32 v3, v2, v8, v3
	v_mov_b32_e32 v2, 0
	s_waitcnt vmcnt(0)
	ds_store_b128 v3, v[4:7]
.LBB132_12:
	s_or_b32 exec_lo, exec_lo, s3
	v_and_b32_e32 v3, 0xef, v0
	s_add_i32 s3, s18, 31
	s_clause 0x1
	s_load_b32 s4, s[0:1], 0x38
	s_load_b32 s35, s[0:1], 0x98
	s_ashr_i32 s7, s3, 31
	v_add_nc_u32_e32 v3, s16, v3
	s_lshr_b32 s7, s7, 27
	s_load_b32 s19, s[0:1], 0x1c
	s_add_i32 s3, s3, s7
	s_waitcnt lgkmcnt(0)
	v_ashrrev_i32_e32 v4, 31, v3
	v_cmp_gt_i32_e32 vcc_lo, s18, v3
	s_ashr_i32 s3, s3, 5
	s_barrier
	s_add_i32 s3, s3, -1
	v_lshrrev_b32_e32 v5, 27, v4
	v_or_b32_e32 v4, 16, v3
	buffer_gl0_inv
	s_mul_i32 s6, s15, s6
	v_lshlrev_b64 v[73:74], 1, v[1:2]
	v_add_nc_u32_e32 v6, v3, v5
	v_add_nc_u32_e32 v5, v4, v5
	s_mul_i32 s20, s34, s4
	s_delay_alu instid0(SALU_CYCLE_1) | instskip(NEXT) | instid1(VALU_DEP_2)
	s_ashr_i32 s21, s20, 31
	v_ashrrev_i32_e32 v6, 5, v6
	s_delay_alu instid0(VALU_DEP_2) | instskip(SKIP_1) | instid1(SALU_CYCLE_1)
	v_ashrrev_i32_e32 v5, 5, v5
	s_lshl_b64 s[20:21], s[20:21], 2
	s_add_u32 s4, s12, s20
	s_delay_alu instid0(VALU_DEP_2) | instskip(SKIP_3) | instid1(SALU_CYCLE_1)
	v_cndmask_b32_e32 v3, s3, v6, vcc_lo
	v_cmp_gt_i32_e32 vcc_lo, s18, v4
	s_addc_u32 s17, s13, s21
	s_ashr_i32 s7, s6, 31
	s_lshl_b64 s[6:7], s[6:7], 1
	v_cndmask_b32_e32 v5, s3, v5, vcc_lo
	v_ashrrev_i32_e32 v4, 31, v3
	s_add_u32 s15, s8, s6
	s_addc_u32 s28, s9, s7
	s_lshl_b32 s8, s14, 3
	v_ashrrev_i32_e32 v6, 31, v5
	v_lshlrev_b64 v[3:4], 2, v[3:4]
	s_ashr_i32 s9, s8, 31
	s_delay_alu instid0(SALU_CYCLE_1) | instskip(NEXT) | instid1(VALU_DEP_2)
	s_lshl_b64 s[8:9], s[8:9], 2
	v_lshlrev_b64 v[5:6], 2, v[5:6]
	s_add_u32 s8, s4, s8
	s_delay_alu instid0(VALU_DEP_2) | instskip(SKIP_1) | instid1(VALU_DEP_3)
	v_add_co_u32 v3, vcc_lo, s4, v3
	v_add_co_ci_u32_e32 v4, vcc_lo, s17, v4, vcc_lo
	v_add_co_u32 v5, vcc_lo, s4, v5
	s_delay_alu instid0(VALU_DEP_4)
	v_add_co_ci_u32_e32 v6, vcc_lo, s17, v6, vcc_lo
	s_addc_u32 s9, s17, s9
	s_clause 0x1
	global_load_b32 v7, v[3:4], off
	global_load_b32 v8, v[5:6], off
	s_or_b32 s12, s16, 32
	s_delay_alu instid0(SALU_CYCLE_1) | instskip(SKIP_2) | instid1(SALU_CYCLE_1)
	s_ashr_i32 s13, s12, 5
	s_cmp_lt_i32 s12, s18
	s_cselect_b32 s12, s13, s3
	s_ashr_i32 s13, s12, 31
	s_delay_alu instid0(SALU_CYCLE_1) | instskip(NEXT) | instid1(SALU_CYCLE_1)
	s_lshl_b64 s[12:13], s[12:13], 2
	s_add_u32 s12, s4, s12
	s_addc_u32 s13, s17, s13
	s_or_b32 s20, s16, 64
	s_delay_alu instid0(SALU_CYCLE_1) | instskip(SKIP_2) | instid1(SALU_CYCLE_1)
	s_ashr_i32 s21, s20, 5
	s_cmp_lt_i32 s20, s18
	s_cselect_b32 s20, s21, s3
	s_ashr_i32 s21, s20, 31
	s_delay_alu instid0(SALU_CYCLE_1) | instskip(NEXT) | instid1(SALU_CYCLE_1)
	s_lshl_b64 s[20:21], s[20:21], 2
	s_add_u32 s20, s4, s20
	s_addc_u32 s21, s17, s21
	;; [unrolled: 10-line block ×5, first 2 shown]
	s_clause 0x5
	s_load_b32 s29, s[8:9], 0x0
	s_load_b32 s30, s[12:13], 0x0
	;; [unrolled: 1-line block ×6, first 2 shown]
	s_or_b32 s8, s16, 0xc0
	s_mov_b32 s20, 0
	s_ashr_i32 s9, s8, 5
	s_cmp_lt_i32 s8, s18
	s_mov_b32 s27, s20
	s_cselect_b32 s8, s9, s3
	s_mov_b32 s21, s20
	s_ashr_i32 s9, s8, 31
	s_mov_b32 s22, s20
	s_lshl_b64 s[8:9], s[8:9], 2
	s_mov_b32 s23, s20
	s_add_u32 s8, s4, s8
	s_mov_b32 s24, s20
	s_mov_b32 s25, s20
	s_mov_b32 s26, s20
	s_addc_u32 s9, s17, s9
	v_dual_mov_b32 v128, s27 :: v_dual_lshlrev_b32 v79, 6, v77
	v_dual_mov_b32 v122, s21 :: v_dual_mov_b32 v127, s26
	v_dual_mov_b32 v126, s25 :: v_dual_mov_b32 v125, s24
	;; [unrolled: 1-line block ×3, first 2 shown]
	v_mov_b32_e32 v121, s20
	s_waitcnt lgkmcnt(0)
	s_mul_hi_i32 s13, s29, s5
	s_mul_i32 s12, s29, s5
	v_lshl_or_b32 v33, v78, 10, v79
	s_mul_hi_i32 s21, s30, s5
	s_mul_i32 s20, s30, s5
	s_mul_hi_i32 s25, s31, s5
	s_mul_i32 s24, s31, s5
	;; [unrolled: 2-line block ×4, first 2 shown]
	s_waitcnt vmcnt(1)
	v_mad_i64_i32 v[3:4], null, v7, s5, 0
	s_waitcnt vmcnt(0)
	v_mad_i64_i32 v[5:6], null, v8, s5, 0
	s_delay_alu instid0(VALU_DEP_2) | instskip(NEXT) | instid1(VALU_DEP_2)
	v_lshlrev_b64 v[3:4], 1, v[3:4]
	v_lshlrev_b64 v[1:2], 1, v[5:6]
	s_delay_alu instid0(VALU_DEP_2) | instskip(NEXT) | instid1(VALU_DEP_3)
	v_add_co_u32 v3, vcc_lo, s15, v3
	v_add_co_ci_u32_e32 v4, vcc_lo, s28, v4, vcc_lo
	s_delay_alu instid0(VALU_DEP_3) | instskip(NEXT) | instid1(VALU_DEP_4)
	v_add_co_u32 v1, vcc_lo, s15, v1
	v_add_co_ci_u32_e32 v2, vcc_lo, s28, v2, vcc_lo
	s_delay_alu instid0(VALU_DEP_4) | instskip(NEXT) | instid1(VALU_DEP_4)
	v_add_co_u32 v25, vcc_lo, v3, v73
	v_add_co_ci_u32_e32 v26, vcc_lo, v4, v74, vcc_lo
	s_delay_alu instid0(VALU_DEP_4) | instskip(NEXT) | instid1(VALU_DEP_4)
	v_add_co_u32 v27, vcc_lo, v1, v73
	v_add_co_ci_u32_e32 v28, vcc_lo, v2, v74, vcc_lo
	s_clause 0xf
	global_load_b128 v[1:4], v[25:26], off
	global_load_b128 v[5:8], v[25:26], off offset:512
	global_load_b128 v[9:12], v[27:28], off offset:256
	;; [unrolled: 1-line block ×15, first 2 shown]
	v_mul_lo_u16 v25, 0x56, v77
	s_or_b32 s15, s16, 0xe0
	s_delay_alu instid0(SALU_CYCLE_1) | instskip(SKIP_1) | instid1(VALU_DEP_1)
	s_ashr_i32 s22, s15, 5
	s_cmp_lt_i32 s15, s18
	v_lshrrev_b16 v25, 8, v25
	s_cselect_b32 s22, s22, s3
	s_delay_alu instid0(SALU_CYCLE_1) | instskip(NEXT) | instid1(VALU_DEP_1)
	s_ashr_i32 s23, s22, 31
	v_mul_lo_u16 v25, v25, 3
	s_lshl_b64 s[22:23], s[22:23], 2
	s_delay_alu instid0(SALU_CYCLE_1) | instskip(SKIP_1) | instid1(VALU_DEP_1)
	s_add_u32 s22, s4, s22
	s_addc_u32 s23, s17, s23
	v_sub_nc_u16 v25, v77, v25
	s_add_i32 s15, s16, 0x100
	s_delay_alu instid0(SALU_CYCLE_1) | instskip(SKIP_1) | instid1(VALU_DEP_1)
	s_ashr_i32 s28, s15, 5
	s_cmp_lt_i32 s15, s18
	v_and_b32_e32 v25, 0xff, v25
	s_cselect_b32 s28, s28, s3
	s_delay_alu instid0(SALU_CYCLE_1) | instskip(NEXT) | instid1(VALU_DEP_1)
	s_ashr_i32 s29, s28, 31
	v_lshlrev_b32_e32 v151, 6, v25
	s_lshl_b64 s[28:29], s[28:29], 2
	ds_load_b128 v[25:28], v151
	ds_load_b128 v[29:32], v151 offset:1024
	s_add_u32 s28, s4, s28
	s_addc_u32 s29, s17, s29
	s_add_u32 s3, s10, s6
	ds_load_b128 v[129:132], v151 offset:2048
	ds_load_b128 v[133:136], v151 offset:3072
	s_clause 0x2
	s_load_b32 s15, s[8:9], 0x0
	s_load_b32 s4, s[22:23], 0x0
	;; [unrolled: 1-line block ×3, first 2 shown]
	s_addc_u32 s28, s11, s7
	v_add_co_u32 v152, s3, s3, v33
	s_delay_alu instid0(VALU_DEP_1) | instskip(SKIP_2) | instid1(VALU_DEP_2)
	v_add_co_ci_u32_e64 v153, null, s28, 0, s3
	s_lshl_b64 s[6:7], s[12:13], 1
	s_lshl_b64 s[10:11], s[20:21], 1
	v_add_co_u32 v33, vcc_lo, v152, s6
	s_delay_alu instid0(VALU_DEP_2)
	v_add_co_ci_u32_e32 v34, vcc_lo, s7, v153, vcc_lo
	v_add_co_u32 v35, vcc_lo, v152, s10
	s_lshl_b64 s[12:13], s[24:25], 1
	v_add_co_ci_u32_e32 v36, vcc_lo, s11, v153, vcc_lo
	v_add_co_u32 v37, vcc_lo, v152, s12
	s_lshl_b64 s[20:21], s[26:27], 1
	s_mul_hi_i32 s9, s37, s5
	s_mul_i32 s8, s37, s5
	v_add_co_ci_u32_e32 v38, vcc_lo, s13, v153, vcc_lo
	v_add_co_u32 v39, vcc_lo, v152, s20
	s_lshl_b64 s[8:9], s[8:9], 1
	v_add_co_ci_u32_e32 v40, vcc_lo, s21, v153, vcc_lo
	v_add_co_u32 v145, vcc_lo, v152, s8
	s_lshl_b64 s[22:23], s[30:31], 1
	s_waitcnt lgkmcnt(0)
	s_mul_hi_i32 s25, s15, s5
	s_mul_i32 s24, s15, s5
	v_add_co_ci_u32_e32 v146, vcc_lo, s9, v153, vcc_lo
	v_add_co_u32 v147, vcc_lo, v152, s22
	s_lshl_b64 s[24:25], s[24:25], 1
	v_add_co_ci_u32_e32 v148, vcc_lo, s23, v153, vcc_lo
	s_mul_hi_i32 s7, s4, s5
	s_mul_i32 s6, s4, s5
	v_add_co_u32 v149, vcc_lo, v152, s24
	s_lshl_b64 s[6:7], s[6:7], 1
	v_add_co_ci_u32_e32 v150, vcc_lo, s25, v153, vcc_lo
	s_clause 0x7
	global_load_b128 v[65:68], v[33:34], off
	global_load_b128 v[69:72], v[33:34], off offset:16
	global_load_b128 v[57:60], v[35:36], off
	global_load_b128 v[61:64], v[35:36], off offset:16
	;; [unrolled: 2-line block ×4, first 2 shown]
	s_waitcnt vmcnt(22)
	v_wmma_f32_16x16x16_f16 v[137:144], v[1:8], v[25:32], v[121:128]
	s_waitcnt vmcnt(20)
	v_wmma_f32_16x16x16_f16 v[121:128], v[9:16], v[25:32], v[121:128]
	v_add_co_u32 v29, vcc_lo, v152, s6
	v_add_co_ci_u32_e32 v30, vcc_lo, s7, v153, vcc_lo
	s_mul_hi_i32 s7, s17, s5
	s_mul_i32 s6, s17, s5
	s_waitcnt vmcnt(18)
	v_wmma_f32_16x16x16_f16 v[137:144], v[17:24], v[129:136], v[137:144]
	s_lshl_b64 s[4:5], s[6:7], 1
	s_clause 0x1
	global_load_b128 v[9:12], v[145:146], off
	global_load_b128 v[13:16], v[145:146], off offset:16
	v_add_co_u32 v21, vcc_lo, v152, s4
	v_add_co_ci_u32_e32 v22, vcc_lo, s5, v153, vcc_lo
	s_clause 0x7
	global_load_b128 v[1:4], v[147:148], off
	global_load_b128 v[5:8], v[147:148], off offset:16
	global_load_b128 v[33:36], v[149:150], off
	global_load_b128 v[37:40], v[149:150], off offset:16
	;; [unrolled: 2-line block ×4, first 2 shown]
	s_waitcnt vmcnt(26)
	v_wmma_f32_16x16x16_f16 v[121:128], v[81:88], v[129:136], v[121:128]
	ds_load_b128 v[81:84], v151 offset:4096
	ds_load_b128 v[85:88], v151 offset:5120
	v_mbcnt_lo_u32_b32 v130, -1, 0
	s_delay_alu instid0(VALU_DEP_1) | instskip(NEXT) | instid1(VALU_DEP_1)
	v_xor_b32_e32 v131, 16, v130
	v_cmp_gt_i32_e32 vcc_lo, 32, v131
	v_cndmask_b32_e32 v130, v130, v131, vcc_lo
	s_waitcnt vmcnt(24) lgkmcnt(0)
	v_wmma_f32_16x16x16_f16 v[137:144], v[89:96], v[81:88], v[137:144]
	ds_load_b128 v[89:92], v151 offset:6144
	ds_load_b128 v[93:96], v151 offset:7168
	s_waitcnt vmcnt(22)
	v_wmma_f32_16x16x16_f16 v[121:128], v[97:104], v[81:88], v[121:128]
	s_waitcnt vmcnt(0) lgkmcnt(0)
	s_barrier
	buffer_gl0_inv
	v_wmma_f32_16x16x16_f16 v[137:144], v[105:112], v[89:96], v[137:144]
	v_and_b32_e32 v129, 0xe0, v0
	v_wmma_f32_16x16x16_f16 v[121:128], v[113:120], v[89:96], v[121:128]
	s_delay_alu instid0(VALU_DEP_3) | instskip(NEXT) | instid1(VALU_DEP_2)
	v_mul_f32_e32 v96, s19, v137
	v_dual_mul_f32 v104, s19, v126 :: v_dual_add_nc_u32 v129, s16, v129
	v_mul_f32_e32 v95, s19, v138
	v_dual_mul_f32 v93, s19, v140 :: v_dual_mul_f32 v94, s19, v139
	s_delay_alu instid0(VALU_DEP_3) | instskip(SKIP_3) | instid1(VALU_DEP_4)
	v_or_b32_e32 v129, v129, v75
	v_dual_mul_f32 v91, s19, v142 :: v_dual_mul_f32 v106, s19, v124
	v_dual_mul_f32 v92, s19, v141 :: v_dual_mul_f32 v89, s19, v144
	v_mul_f32_e32 v108, s19, v122
	v_or_b32_e32 v131, 2, v129
	v_or_b32_e32 v132, 4, v129
	;; [unrolled: 1-line block ×3, first 2 shown]
	v_cmp_gt_i32_e32 vcc_lo, s18, v129
	v_or_b32_e32 v82, 8, v129
	v_cmp_gt_i32_e64 s3, s18, v131
	v_or_b32_e32 v83, 10, v129
	v_cmp_gt_i32_e64 s4, s18, v132
	v_cndmask_b32_e32 v96, 0xff7fffff, v96, vcc_lo
	v_cmp_gt_i32_e64 s5, s18, v81
	v_cndmask_b32_e64 v95, 0xff7fffff, v95, s3
	v_or_b32_e32 v84, 12, v129
	v_or_b32_e32 v85, 14, v129
	v_cndmask_b32_e64 v94, 0xff7fffff, v94, s4
	v_cndmask_b32_e64 v81, 0xff7fffff, v93, s5
	v_max3_f32 v93, v96, 0xff7fffff, v95
	v_cmp_gt_i32_e64 s6, s18, v82
	v_cmp_gt_i32_e64 s7, s18, v83
	v_or_b32_e32 v86, 16, v129
	v_or_b32_e32 v87, 18, v129
	v_mul_f32_e32 v90, s19, v143
	v_cndmask_b32_e64 v82, 0xff7fffff, v92, s6
	v_cndmask_b32_e64 v83, 0xff7fffff, v91, s7
	v_max3_f32 v81, v93, v94, v81
	v_cmp_gt_i32_e64 s8, s18, v84
	v_cmp_gt_i32_e64 s9, s18, v85
	v_or_b32_e32 v88, 20, v129
	v_or_b32_e32 v97, 22, v129
	v_mul_f32_e32 v109, s19, v121
	;; [unrolled: 8-line block ×4, first 2 shown]
	v_cndmask_b32_e64 v84, 0xff7fffff, v107, s12
	v_cndmask_b32_e64 v85, 0xff7fffff, v106, s13
	v_max3_f32 v81, v81, v82, v83
	v_cmp_gt_i32_e64 s15, s18, v98
	v_cmp_gt_i32_e64 s16, s18, v99
	v_dual_mul_f32 v102, s19, v128 :: v_dual_mul_f32 v103, s19, v127
	s_delay_alu instid0(VALU_DEP_4) | instskip(NEXT) | instid1(VALU_DEP_4)
	v_max3_f32 v81, v81, v84, v85
	v_cndmask_b32_e64 v82, 0xff7fffff, v105, s15
	s_delay_alu instid0(VALU_DEP_4) | instskip(SKIP_2) | instid1(VALU_DEP_3)
	v_cndmask_b32_e64 v83, 0xff7fffff, v104, s16
	v_cmp_gt_i32_e64 s17, s18, v100
	v_cmp_gt_i32_e64 s18, s18, v101
	v_max3_f32 v81, v81, v82, v83
	s_delay_alu instid0(VALU_DEP_3) | instskip(NEXT) | instid1(VALU_DEP_3)
	v_cndmask_b32_e64 v84, 0xff7fffff, v103, s17
	v_cndmask_b32_e64 v85, 0xff7fffff, v102, s18
	v_lshlrev_b32_e32 v83, 2, v130
	s_delay_alu instid0(VALU_DEP_2) | instskip(SKIP_3) | instid1(VALU_DEP_1)
	v_max3_f32 v81, v81, v84, v85
	ds_bpermute_b32 v82, v83, v81
	s_waitcnt lgkmcnt(0)
	v_max_f32_e32 v82, v82, v82
	v_max_f32_e32 v81, v81, v82
	s_delay_alu instid0(VALU_DEP_1)
	v_fma_f32 v82, s19, v137, -v81
	v_fma_f32 v84, s19, v138, -v81
	;; [unrolled: 1-line block ×5, first 2 shown]
	v_mul_f32_e32 v82, 0x3fb8aa3b, v82
	s_delay_alu instid0(VALU_DEP_4) | instskip(NEXT) | instid1(VALU_DEP_3)
	v_dual_mul_f32 v84, 0x3fb8aa3b, v84 :: v_dual_mul_f32 v89, 0x3fb8aa3b, v87
	v_mul_f32_e32 v86, 0x3fb8aa3b, v86
	s_delay_alu instid0(VALU_DEP_3) | instskip(NEXT) | instid1(VALU_DEP_2)
	v_exp_f32_e32 v82, v82
	v_exp_f32_e32 v84, v84
	s_delay_alu instid0(VALU_DEP_2) | instskip(NEXT) | instid1(VALU_DEP_1)
	v_exp_f32_e32 v92, v89
	v_exp_f32_e32 v86, v86
	v_cndmask_b32_e32 v88, 0, v82, vcc_lo
	s_delay_alu instid0(TRANS32_DEP_3)
	v_cndmask_b32_e64 v87, 0, v84, s3
	s_waitcnt_depctr 0xfff
	v_cndmask_b32_e64 v92, 0, v92, s6
	v_cmp_gt_u32_e64 s3, 16, v80
	v_cndmask_b32_e64 v89, 0, v86, s5
	v_add_f32_e32 v84, 0, v88
	s_delay_alu instid0(VALU_DEP_1) | instskip(NEXT) | instid1(VALU_DEP_1)
	v_dual_add_f32 v84, v84, v87 :: v_dual_mul_f32 v85, 0x3fb8aa3b, v85
	v_exp_f32_e32 v85, v85
	s_waitcnt_depctr 0xfff
	v_cndmask_b32_e64 v90, 0, v85, s4
	s_delay_alu instid0(VALU_DEP_1) | instskip(NEXT) | instid1(VALU_DEP_1)
	v_add_f32_e32 v84, v84, v90
	v_add_f32_e32 v84, v84, v89
	v_fma_f32 v82, s19, v142, -v81
	v_fma_f32 v91, s19, v143, -v81
	;; [unrolled: 1-line block ×5, first 2 shown]
	s_delay_alu instid0(VALU_DEP_4) | instskip(SKIP_1) | instid1(VALU_DEP_4)
	v_dual_mul_f32 v82, 0x3fb8aa3b, v82 :: v_dual_mul_f32 v91, 0x3fb8aa3b, v91
	v_fma_f32 v96, s19, v124, -v81
	v_mul_f32_e32 v86, 0x3fb8aa3b, v86
	v_fma_f32 v99, s19, v127, -v81
	s_delay_alu instid0(VALU_DEP_4) | instskip(SKIP_3) | instid1(VALU_DEP_1)
	v_exp_f32_e32 v82, v82
	v_exp_f32_e32 v93, v91
	v_mul_f32_e32 v97, 0x3fb8aa3b, v96
	v_exp_f32_e32 v86, v86
	v_exp_f32_e32 v97, v97
	v_cndmask_b32_e64 v91, 0, v82, s7
	v_dual_add_f32 v82, v84, v92 :: v_dual_mul_f32 v85, 0x3fb8aa3b, v85
	v_fma_f32 v84, s19, v123, -v81
	v_mul_f32_e32 v95, 0x3fb8aa3b, v94
	s_delay_alu instid0(TRANS32_DEP_3) | instskip(NEXT) | instid1(VALU_DEP_4)
	v_cndmask_b32_e64 v94, 0, v93, s8
	v_add_f32_e32 v82, v82, v91
	v_exp_f32_e32 v85, v85
	v_mul_f32_e32 v84, 0x3fb8aa3b, v84
	v_cndmask_b32_e64 v96, 0, v86, s10
	v_exp_f32_e32 v95, v95
	v_add_f32_e32 v82, v82, v94
	v_fma_f32 v86, s19, v126, -v81
	v_exp_f32_e32 v84, v84
	v_cndmask_b32_e64 v97, 0, v97, s13
	s_delay_alu instid0(TRANS32_DEP_3) | instskip(SKIP_2) | instid1(TRANS32_DEP_2)
	v_cndmask_b32_e64 v93, 0, v85, s9
	v_fma_f32 v85, s19, v125, -v81
	v_mul_f32_e32 v86, 0x3fb8aa3b, v86
	v_cndmask_b32_e64 v95, 0, v95, s11
	s_waitcnt_depctr 0xfff
	v_cndmask_b32_e64 v98, 0, v84, s12
	v_mul_f32_e32 v84, 0x3fb8aa3b, v99
	v_fma_f32 v99, s19, v128, -v81
	v_add_f32_e32 v82, v82, v93
	v_mul_f32_e32 v85, 0x3fb8aa3b, v85
	v_exp_f32_e32 v86, v86
	v_exp_f32_e32 v84, v84
	s_delay_alu instid0(VALU_DEP_1)
	v_exp_f32_e32 v85, v85
	s_waitcnt_depctr 0xfff
	v_cndmask_b32_e64 v102, 0, v84, s17
	v_cndmask_b32_e64 v100, 0, v85, s15
	v_dual_mul_f32 v85, 0x3fb8aa3b, v99 :: v_dual_add_f32 v82, v82, v96
	v_cndmask_b32_e64 v99, 0, v86, s16
	s_delay_alu instid0(VALU_DEP_2) | instskip(NEXT) | instid1(VALU_DEP_2)
	v_exp_f32_e32 v85, v85
	v_add_f32_e32 v82, v82, v95
	s_delay_alu instid0(VALU_DEP_1) | instskip(SKIP_3) | instid1(VALU_DEP_1)
	v_add_f32_e32 v82, v82, v98
	s_waitcnt_depctr 0xfff
	v_cndmask_b32_e64 v101, 0, v85, s18
	v_add_f32_e32 v82, v82, v97
	v_add_f32_e32 v82, v82, v100
	s_delay_alu instid0(VALU_DEP_1) | instskip(NEXT) | instid1(VALU_DEP_1)
	v_add_f32_e32 v82, v82, v99
	v_add_f32_e32 v82, v82, v102
	s_delay_alu instid0(VALU_DEP_1)
	v_add_f32_e32 v82, v82, v101
	ds_bpermute_b32 v83, v83, v82
	s_and_saveexec_b32 s4, s3
	s_cbranch_execz .LBB132_14
; %bb.13:
	v_mul_u32_u24_e32 v80, 0x44, v78
	s_waitcnt lgkmcnt(0)
	v_add_f32_e32 v82, v82, v83
	s_delay_alu instid0(VALU_DEP_2) | instskip(NEXT) | instid1(VALU_DEP_1)
	v_lshl_add_u32 v80, v77, 2, v80
	v_add_nc_u32_e32 v80, 0x4000, v80
	ds_store_2addr_b32 v80, v81, v82 offset1:136
.LBB132_14:
	s_or_b32 exec_lo, exec_lo, s4
	v_lshlrev_b32_e32 v80, 2, v77
	s_load_b32 s36, s[0:1], 0x94
	s_waitcnt lgkmcnt(0)
	s_barrier
	buffer_gl0_inv
	v_add_nc_u32_e32 v84, 0x4000, v80
	v_cmp_eq_u32_e32 vcc_lo, 1, v78
	v_cmp_eq_u32_e64 s4, 2, v78
	v_cmp_eq_u32_e64 s5, 3, v78
	v_cmp_eq_u32_e64 s6, 5, v78
	ds_load_2addr_b32 v[80:81], v84 offset1:17
	ds_load_2addr_b32 v[82:83], v84 offset0:34 offset1:51
	ds_load_2addr_b32 v[103:104], v84 offset0:68 offset1:85
	;; [unrolled: 1-line block ×3, first 2 shown]
	v_cmp_eq_u32_e64 s7, 7, v78
	s_waitcnt lgkmcnt(3)
	v_max3_f32 v85, v80, 0xff7fffff, v81
	s_waitcnt lgkmcnt(2)
	s_delay_alu instid0(VALU_DEP_1) | instskip(SKIP_1) | instid1(VALU_DEP_1)
	v_max3_f32 v85, v85, v82, v83
	s_waitcnt lgkmcnt(1)
	v_max3_f32 v85, v85, v103, v104
	s_waitcnt lgkmcnt(0)
	s_delay_alu instid0(VALU_DEP_1) | instskip(NEXT) | instid1(VALU_DEP_1)
	v_max3_f32 v85, v85, v105, v106
	v_sub_f32_e32 v103, v103, v85
	ds_load_2addr_b32 v[107:108], v84 offset0:136 offset1:153
	v_sub_f32_e32 v80, v80, v85
	v_dual_sub_f32 v110, v83, v85 :: v_dual_mul_f32 v113, 0x3fb8aa3b, v103
	s_delay_alu instid0(VALU_DEP_2) | instskip(SKIP_3) | instid1(VALU_DEP_1)
	v_dual_sub_f32 v86, v81, v85 :: v_dual_mul_f32 v109, 0x3fb8aa3b, v80
	ds_load_2addr_b32 v[80:81], v84 offset0:170 offset1:187
	v_mul_f32_e32 v86, 0x3fb8aa3b, v86
	v_exp_f32_e32 v109, v109
	v_exp_f32_e32 v112, v86
	v_mul_f32_e32 v110, 0x3fb8aa3b, v110
	s_waitcnt lgkmcnt(1)
	s_waitcnt_depctr 0xfff
	v_fma_f32 v86, v109, v107, 0
	v_sub_f32_e32 v107, v104, v85
	v_sub_f32_e32 v82, v82, v85
	v_exp_f32_e32 v110, v110
	ds_load_2addr_b32 v[103:104], v84 offset0:238 offset1:255
	v_dual_fmac_f32 v86, v112, v108 :: v_dual_mul_f32 v111, 0x3fb8aa3b, v82
	ds_load_2addr_b32 v[82:83], v84 offset0:204 offset1:221
	v_dual_sub_f32 v84, v105, v85 :: v_dual_mul_f32 v105, 0x3fb8aa3b, v107
	v_exp_f32_e32 v107, v113
	v_exp_f32_e32 v111, v111
	s_waitcnt lgkmcnt(0)
	s_delay_alu instid0(VALU_DEP_1)
	v_mul_f32_e32 v84, 0x3fb8aa3b, v84
	v_exp_f32_e32 v105, v105
	s_barrier
	buffer_gl0_inv
	v_fmac_f32_e32 v86, v111, v80
	v_sub_f32_e32 v80, v106, v85
	v_exp_f32_e32 v106, v84
	s_delay_alu instid0(VALU_DEP_2) | instskip(NEXT) | instid1(VALU_DEP_2)
	v_fmac_f32_e32 v86, v110, v81
	v_mul_f32_e32 v80, 0x3fb8aa3b, v80
	s_delay_alu instid0(VALU_DEP_2) | instskip(NEXT) | instid1(VALU_DEP_2)
	v_dual_cndmask_b32 v81, v109, v112 :: v_dual_fmac_f32 v86, v107, v82
	v_exp_f32_e32 v108, v80
	s_delay_alu instid0(VALU_DEP_1) | instskip(SKIP_2) | instid1(VALU_DEP_1)
	v_fmac_f32_e32 v86, v105, v83
	s_waitcnt_depctr 0xfff
	v_fmac_f32_e32 v86, v106, v103
	v_fmac_f32_e32 v86, v108, v104
	s_delay_alu instid0(VALU_DEP_1) | instskip(NEXT) | instid1(VALU_DEP_1)
	v_add_f32_e32 v103, 0x358637bd, v86
	v_div_scale_f32 v104, null, v103, v103, 1.0
	v_div_scale_f32 v109, vcc_lo, 1.0, v103, 1.0
	s_delay_alu instid0(VALU_DEP_2) | instskip(SKIP_2) | instid1(VALU_DEP_1)
	v_rcp_f32_e32 v113, v104
	s_waitcnt_depctr 0xfff
	v_fma_f32 v80, -v104, v113, 1.0
	v_fmac_f32_e32 v113, v80, v113
	v_cndmask_b32_e64 v80, v81, v111, s4
	v_cmp_eq_u32_e64 s4, 4, v78
	v_lshl_or_b32 v81, v78, 11, v79
	s_delay_alu instid0(VALU_DEP_4) | instskip(NEXT) | instid1(VALU_DEP_4)
	v_mul_f32_e32 v111, v109, v113
	v_cndmask_b32_e64 v82, v80, v110, s5
	v_cmp_eq_u32_e64 s5, 6, v78
	s_delay_alu instid0(VALU_DEP_4) | instskip(SKIP_3) | instid1(VALU_DEP_3)
	v_lshl_or_b32 v78, v75, 4, v81
	v_lshlrev_b32_e32 v80, 2, v75
	v_fma_f32 v83, -v104, v111, v109
	v_cndmask_b32_e64 v84, v82, v107, s4
	v_or_b32_e32 v82, 1, v80
	s_delay_alu instid0(VALU_DEP_3) | instskip(NEXT) | instid1(VALU_DEP_3)
	v_fmac_f32_e32 v111, v83, v113
	v_cndmask_b32_e64 v105, v84, v105, s6
	v_or_b32_e32 v84, 2, v80
	v_or_b32_e32 v83, 3, v80
	v_cmp_eq_u32_e64 s4, 1, v80
	v_fma_f32 v104, -v104, v111, v109
	v_cndmask_b32_e64 v105, v105, v106, s5
	v_cmp_eq_u32_e64 s10, 1, v82
	v_cmp_eq_u32_e64 s11, 1, v84
	;; [unrolled: 1-line block ×3, first 2 shown]
	v_div_fmas_f32 v104, v104, v113, v111
	v_cndmask_b32_e64 v105, v105, v108, s7
	v_cmp_eq_u32_e32 vcc_lo, 2, v80
	v_cmp_eq_u32_e64 s13, 2, v82
	v_cmp_eq_u32_e64 s16, 2, v84
	v_div_fixup_f32 v103, v104, v103, 1.0
	v_cmp_eq_u32_e64 s17, 2, v83
	v_cmp_eq_u32_e64 s19, 3, v83
	;; [unrolled: 1-line block ×4, first 2 shown]
	v_mul_f32_e32 v111, v105, v103
	v_cmp_eq_u32_e64 s18, 3, v84
	v_cmp_eq_u32_e64 s23, 4, v83
	v_cmp_eq_u32_e64 s6, 4, v80
	v_cmp_eq_u32_e64 s20, 4, v82
	v_fma_mixlo_f16 v103, v111, v88, 0
	v_fma_mixlo_f16 v104, v111, v90, 0
	v_fma_mixlo_f16 v105, v111, v92, 0
	v_fma_mixlo_f16 v106, v111, v94, 0
	v_fma_mixlo_f16 v107, v111, v96, 0
	v_fma_mixlo_f16 v108, v111, v98, 0
	v_fma_mixlo_f16 v109, v111, v100, 0
	v_fma_mixlo_f16 v110, v111, v102, 0
	v_fma_mixhi_f16 v103, v111, v87, 0
	v_fma_mixhi_f16 v104, v111, v89, 0
	;; [unrolled: 1-line block ×8, first 2 shown]
	ds_store_b128 v78, v[103:106]
	ds_store_b128 v78, v[107:110] offset:1024
	s_waitcnt lgkmcnt(0)
	s_barrier
	buffer_gl0_inv
	ds_load_b128 v[87:90], v81
	ds_load_b128 v[91:94], v81 offset:16
	ds_load_b128 v[95:98], v81 offset:1024
	;; [unrolled: 1-line block ×3, first 2 shown]
	v_cmp_eq_u32_e64 s22, 4, v84
	v_cmp_eq_u32_e64 s25, 5, v83
	;; [unrolled: 1-line block ×13, first 2 shown]
	s_waitcnt lgkmcnt(3)
	v_lshrrev_b32_e32 v103, 16, v87
	s_waitcnt lgkmcnt(2)
	v_lshrrev_b32_e32 v107, 16, v91
	;; [unrolled: 2-line block ×4, first 2 shown]
	v_lshrrev_b32_e32 v104, 16, v88
	v_cndmask_b32_e64 v119, v87, v103, s4
	v_cndmask_b32_e64 v120, v91, v107, s4
	;; [unrolled: 1-line block ×8, first 2 shown]
	v_lshrrev_b32_e32 v108, 16, v92
	v_cndmask_b32_e64 v103, v95, v111, s4
	v_cndmask_b32_e64 v107, v99, v115, s4
	;; [unrolled: 1-line block ×5, first 2 shown]
	v_cndmask_b32_e32 v111, v119, v88, vcc_lo
	v_cndmask_b32_e64 v119, v121, v88, s13
	v_cndmask_b32_e64 v121, v123, v88, s16
	;; [unrolled: 1-line block ×4, first 2 shown]
	v_lshrrev_b32_e32 v112, 16, v96
	v_lshrrev_b32_e32 v116, 16, v100
	v_cndmask_b32_e64 v126, v99, v115, s10
	v_cndmask_b32_e64 v128, v99, v115, s11
	;; [unrolled: 1-line block ×3, first 2 shown]
	v_cndmask_b32_e32 v115, v120, v92, vcc_lo
	v_cndmask_b32_e64 v120, v122, v92, s13
	v_cndmask_b32_e64 v122, v124, v92, s16
	v_cndmask_b32_e32 v91, v103, v96, vcc_lo
	v_cndmask_b32_e32 v92, v107, v100, vcc_lo
	v_cndmask_b32_e64 v103, v125, v96, s13
	v_cndmask_b32_e64 v87, v87, v104, s19
	;; [unrolled: 1-line block ×3, first 2 shown]
	v_lshrrev_b32_e32 v105, 16, v89
	v_lshrrev_b32_e32 v109, 16, v93
	v_cndmask_b32_e64 v107, v127, v96, s16
	v_cndmask_b32_e64 v95, v95, v96, s17
	;; [unrolled: 1-line block ×14, first 2 shown]
	v_lshrrev_b32_e32 v113, 16, v97
	v_cndmask_b32_e64 v99, v99, v89, s6
	v_cndmask_b32_e64 v104, v111, v93, s6
	;; [unrolled: 1-line block ×11, first 2 shown]
	v_lshrrev_b32_e32 v106, 16, v90
	v_lshrrev_b32_e32 v110, 16, v94
	v_cndmask_b32_e64 v93, v99, v105, s7
	v_cndmask_b32_e64 v99, v104, v109, s7
	v_cndmask_b32_e64 v103, v108, v105, s21
	v_cndmask_b32_e64 v104, v111, v109, s21
	v_cndmask_b32_e64 v108, v115, v105, s24
	v_cndmask_b32_e64 v111, v119, v109, s24
	v_cndmask_b32_e64 v92, v92, v113, s21
	v_cndmask_b32_e64 v87, v87, v90, s28
	v_cndmask_b32_e64 v88, v88, v94, s28
	v_lshrrev_b32_e32 v114, 16, v98
	v_cndmask_b32_e64 v89, v89, v113, s7
	v_cndmask_b32_e64 v93, v93, v90, s8
	;; [unrolled: 1-line block ×19, first 2 shown]
	v_perm_b32 v90, v88, v87, 0x5040100
	v_cndmask_b32_e64 v87, v126, v100, s13
	v_cndmask_b32_e64 v105, v89, v114, s9
	v_perm_b32 v89, v103, v99, 0x5040100
	v_perm_b32 v88, v104, v94, 0x5040100
	v_cndmask_b32_e64 v94, v107, v112, s18
	v_cndmask_b32_e64 v95, v95, v112, s19
	;; [unrolled: 1-line block ×5, first 2 shown]
	v_lshrrev_b32_e32 v117, 16, v101
	v_cndmask_b32_e64 v94, v94, v97, s22
	v_cndmask_b32_e64 v95, v95, v97, s23
	;; [unrolled: 1-line block ×11, first 2 shown]
	v_lshrrev_b32_e32 v118, 16, v102
	v_cndmask_b32_e64 v91, v91, v102, s8
	v_cndmask_b32_e64 v94, v94, v98, s27
	;; [unrolled: 1-line block ×12, first 2 shown]
	v_perm_b32 v87, v93, v92, 0x5040100
	v_perm_b32 v94, v95, v94, 0x5040100
	v_perm_b32 v93, v96, v98, 0x5040100
	v_perm_b32 v92, v97, v106, 0x5040100
	v_perm_b32 v91, v91, v105, 0x5040100
	s_mul_i32 s8, s35, 3
	s_mov_b32 s4, exec_lo
	ds_store_b128 v78, v[87:90]
	ds_store_b128 v78, v[91:94] offset:1024
	v_cmpx_gt_u32_e32 3, v0
	s_cbranch_execz .LBB132_16
; %bb.15:
	s_mul_i32 s5, s8, s34
	s_load_b128 s[16:19], s[0:1], 0x58
	v_add3_u32 v77, s5, s33, v77
	s_delay_alu instid0(VALU_DEP_1) | instskip(NEXT) | instid1(VALU_DEP_1)
	v_mad_u64_u32 v[87:88], null, v77, s36, s[14:15]
	v_ashrrev_i32_e32 v88, 31, v87
	s_delay_alu instid0(VALU_DEP_1) | instskip(SKIP_1) | instid1(VALU_DEP_1)
	v_lshlrev_b64 v[87:88], 2, v[87:88]
	s_waitcnt lgkmcnt(0)
	v_add_co_u32 v89, vcc_lo, s18, v87
	s_delay_alu instid0(VALU_DEP_2)
	v_add_co_ci_u32_e32 v90, vcc_lo, s19, v88, vcc_lo
	v_add_co_u32 v87, vcc_lo, s16, v87
	v_add_co_ci_u32_e32 v88, vcc_lo, s17, v88, vcc_lo
	global_store_b32 v[89:90], v85, off
	global_store_b32 v[87:88], v86, off
.LBB132_16:
	s_or_b32 exec_lo, exec_lo, s4
	s_waitcnt lgkmcnt(0)
	s_waitcnt_vscnt null, 0x0
	s_barrier
	buffer_gl0_inv
	ds_load_b128 v[93:96], v79
	ds_load_b128 v[97:100], v79 offset:16
	ds_load_b128 v[105:108], v79 offset:1040
	;; [unrolled: 1-line block ×5, first 2 shown]
	v_cmp_eq_u32_e32 vcc_lo, 1, v84
	v_mov_b32_e32 v85, 0
	ds_load_b128 v[121:124], v79 offset:3088
	ds_load_b128 v[117:120], v79 offset:3072
	;; [unrolled: 1-line block ×4, first 2 shown]
	v_cmp_eq_u32_e64 s4, 1, v80
	v_cmp_eq_u32_e64 s5, 1, v83
	;; [unrolled: 1-line block ×3, first 2 shown]
	v_mov_b32_e32 v86, v85
	v_mov_b32_e32 v87, v85
	;; [unrolled: 1-line block ×7, first 2 shown]
	v_cmp_eq_u32_e64 s7, 2, v80
	s_waitcnt lgkmcnt(8)
	s_delay_alu instid0(VALU_DEP_2)
	v_wmma_f32_16x16x16_f16 v[85:92], v[65:72], v[93:100], v[85:92]
	ds_load_b128 v[69:72], v79 offset:5136
	ds_load_b128 v[65:68], v79 offset:5120
	;; [unrolled: 1-line block ×4, first 2 shown]
	s_waitcnt lgkmcnt(10)
	v_wmma_f32_16x16x16_f16 v[85:92], v[57:64], v[101:108], v[85:92]
	s_waitcnt lgkmcnt(8)
	s_delay_alu instid0(VALU_DEP_1)
	v_wmma_f32_16x16x16_f16 v[85:92], v[57:64], v[109:116], v[85:92]
	ds_load_b128 v[61:64], v79 offset:7184
	ds_load_b128 v[57:60], v79 offset:7168
	;; [unrolled: 1-line block ×4, first 2 shown]
	s_waitcnt lgkmcnt(10)
	v_wmma_f32_16x16x16_f16 v[85:92], v[49:56], v[117:124], v[85:92]
	s_waitcnt lgkmcnt(8)
	s_delay_alu instid0(VALU_DEP_1)
	v_wmma_f32_16x16x16_f16 v[85:92], v[49:56], v[125:132], v[85:92]
	ds_load_b128 v[53:56], v79 offset:9232
	ds_load_b128 v[49:52], v79 offset:9216
	s_waitcnt lgkmcnt(8)
	v_wmma_f32_16x16x16_f16 v[85:92], v[41:48], v[65:72], v[85:92]
	ds_load_b128 v[69:72], v79 offset:10256
	ds_load_b128 v[65:68], v79 offset:10240
	s_waitcnt lgkmcnt(8)
	;; [unrolled: 4-line block ×7, first 2 shown]
	s_barrier
	buffer_gl0_inv
	v_wmma_f32_16x16x16_f16 v[85:92], v[33:40], v[41:48], v[85:92]
	s_delay_alu instid0(VALU_DEP_1) | instskip(NEXT) | instid1(VALU_DEP_1)
	v_wmma_f32_16x16x16_f16 v[85:92], v[33:40], v[57:64], v[85:92]
	v_wmma_f32_16x16x16_f16 v[85:92], v[25:32], v[9:16], v[85:92]
	s_delay_alu instid0(VALU_DEP_1) | instskip(NEXT) | instid1(VALU_DEP_1)
	v_wmma_f32_16x16x16_f16 v[85:92], v[25:32], v[49:56], v[85:92]
	v_wmma_f32_16x16x16_f16 v[85:92], v[17:24], v[1:8], v[85:92]
	s_delay_alu instid0(VALU_DEP_1) | instskip(NEXT) | instid1(VALU_DEP_2)
	v_cvt_f16_f32_e32 v1, v85
	v_cvt_f16_f32_e32 v2, v86
	s_delay_alu instid0(VALU_DEP_3) | instskip(NEXT) | instid1(VALU_DEP_4)
	v_cvt_f16_f32_e32 v3, v87
	v_cvt_f16_f32_e32 v4, v88
	v_cvt_f16_f32_e32 v5, v89
	v_cvt_f16_f32_e32 v6, v90
	v_cvt_f16_f32_e32 v7, v91
	v_cvt_f16_f32_e32 v8, v92
	v_pack_b32_f16 v1, v1, v2
	v_pack_b32_f16 v2, v3, v4
	;; [unrolled: 1-line block ×3, first 2 shown]
	s_delay_alu instid0(VALU_DEP_4)
	v_pack_b32_f16 v4, v7, v8
	ds_store_b128 v78, v[1:4]
	s_waitcnt lgkmcnt(0)
	s_barrier
	buffer_gl0_inv
	ds_load_b128 v[1:4], v81
	ds_load_b128 v[5:8], v81 offset:16
	s_waitcnt lgkmcnt(1)
	v_lshrrev_b32_e32 v9, 16, v1
	s_waitcnt lgkmcnt(0)
	v_lshrrev_b32_e32 v13, 16, v5
	v_lshrrev_b32_e32 v15, 16, v7
	;; [unrolled: 1-line block ×4, first 2 shown]
	v_cndmask_b32_e64 v17, v1, v9, s4
	v_cndmask_b32_e64 v18, v5, v13, s4
	;; [unrolled: 1-line block ×3, first 2 shown]
	v_cmp_eq_u32_e64 s4, 2, v82
	v_cndmask_b32_e64 v20, v5, v13, s6
	v_cndmask_b32_e32 v21, v1, v9, vcc_lo
	v_cndmask_b32_e32 v22, v5, v13, vcc_lo
	v_cndmask_b32_e64 v1, v1, v9, s5
	v_cndmask_b32_e64 v5, v5, v13, s5
	v_cmp_eq_u32_e32 vcc_lo, 2, v84
	v_cmp_eq_u32_e64 s5, 2, v83
	v_cndmask_b32_e64 v9, v17, v2, s7
	v_cndmask_b32_e64 v13, v18, v6, s7
	;; [unrolled: 1-line block ×4, first 2 shown]
	v_cndmask_b32_e32 v19, v21, v2, vcc_lo
	v_cmp_eq_u32_e64 s4, 3, v84
	v_cndmask_b32_e32 v20, v22, v6, vcc_lo
	v_cndmask_b32_e64 v1, v1, v2, s5
	v_cmp_eq_u32_e32 vcc_lo, 3, v83
	v_cmp_eq_u32_e64 s6, 3, v80
	v_cndmask_b32_e64 v2, v5, v6, s5
	v_cmp_eq_u32_e64 s5, 3, v82
	v_lshrrev_b32_e32 v16, 16, v8
	v_cmp_eq_u32_e64 s7, 4, v80
	v_cndmask_b32_e64 v5, v9, v10, s6
	v_cndmask_b32_e64 v6, v13, v14, s6
	;; [unrolled: 1-line block ×3, first 2 shown]
	v_cmp_eq_u32_e64 s6, 4, v82
	v_cndmask_b32_e64 v13, v18, v14, s5
	v_cndmask_b32_e64 v17, v19, v10, s4
	;; [unrolled: 1-line block ×3, first 2 shown]
	v_cndmask_b32_e32 v1, v1, v10, vcc_lo
	v_cndmask_b32_e32 v2, v2, v14, vcc_lo
	v_cmp_eq_u32_e32 vcc_lo, 4, v84
	v_cmp_eq_u32_e64 s5, 4, v83
	v_lshrrev_b32_e32 v11, 16, v3
	v_cndmask_b32_e64 v5, v5, v3, s7
	v_cndmask_b32_e64 v6, v6, v7, s7
	v_cndmask_b32_e64 v9, v9, v3, s6
	v_cndmask_b32_e64 v10, v13, v7, s6
	v_cndmask_b32_e32 v13, v17, v3, vcc_lo
	v_cmp_eq_u32_e64 s4, 5, v84
	v_cndmask_b32_e32 v14, v18, v7, vcc_lo
	v_cndmask_b32_e64 v1, v1, v3, s5
	v_cmp_eq_u32_e32 vcc_lo, 5, v83
	v_cmp_eq_u32_e64 s6, 5, v80
	v_cndmask_b32_e64 v2, v2, v7, s5
	v_cmp_eq_u32_e64 s5, 5, v82
	v_cmp_eq_u32_e64 s7, 6, v80
	v_cndmask_b32_e32 v1, v1, v11, vcc_lo
	v_cndmask_b32_e64 v3, v5, v11, s6
	v_cndmask_b32_e64 v5, v6, v15, s6
	;; [unrolled: 1-line block ×3, first 2 shown]
	v_cmp_eq_u32_e64 s6, 6, v82
	v_cndmask_b32_e64 v7, v10, v15, s5
	v_cndmask_b32_e64 v9, v13, v11, s4
	;; [unrolled: 1-line block ×3, first 2 shown]
	v_cndmask_b32_e32 v2, v2, v15, vcc_lo
	v_cmp_eq_u32_e32 vcc_lo, 6, v84
	v_cmp_eq_u32_e64 s4, 6, v83
	v_lshrrev_b32_e32 v12, 16, v4
	v_cndmask_b32_e64 v3, v3, v4, s7
	v_cndmask_b32_e64 v5, v5, v8, s7
	;; [unrolled: 1-line block ×4, first 2 shown]
	v_cndmask_b32_e32 v9, v9, v4, vcc_lo
	v_cmp_eq_u32_e64 s5, 7, v84
	v_cndmask_b32_e32 v10, v10, v8, vcc_lo
	v_cndmask_b32_e64 v1, v1, v4, s4
	v_cmp_eq_u32_e32 vcc_lo, 7, v83
	v_cndmask_b32_e64 v2, v2, v8, s4
	v_cmp_eq_u32_e64 s4, 7, v80
	v_cmp_eq_u32_e64 s6, 7, v82
	v_cndmask_b32_e32 v1, v1, v12, vcc_lo
	s_delay_alu instid0(VALU_DEP_4) | instskip(NEXT) | instid1(VALU_DEP_4)
	v_cndmask_b32_e32 v2, v2, v16, vcc_lo
	v_cndmask_b32_e64 v8, v3, v12, s4
	s_delay_alu instid0(VALU_DEP_4)
	v_cndmask_b32_e64 v6, v6, v12, s6
	v_cndmask_b32_e64 v3, v9, v12, s5
	;; [unrolled: 1-line block ×5, first 2 shown]
	v_cmp_gt_u32_e32 vcc_lo, 32, v0
	v_perm_b32 v4, v2, v1, 0x5040100
	v_perm_b32 v3, v9, v3, 0x5040100
	;; [unrolled: 1-line block ×4, first 2 shown]
	s_and_b32 s2, vcc_lo, s2
	ds_store_b128 v78, v[1:4]
	s_waitcnt lgkmcnt(0)
	s_barrier
	buffer_gl0_inv
	s_and_saveexec_b32 s4, s2
	s_cbranch_execz .LBB132_2
; %bb.17:
	s_load_b64 s[4:5], s[0:1], 0x68
	v_lshlrev_b32_e32 v0, 10, v0
	v_lshlrev_b32_e32 v2, 4, v76
	v_add_nc_u32_e32 v1, s33, v75
	s_lshl_b32 s0, s36, 6
	s_delay_alu instid0(SALU_CYCLE_1) | instskip(NEXT) | instid1(VALU_DEP_2)
	s_mul_i32 s1, s0, s34
	v_and_or_b32 v0, 0x3800, v0, v2
	s_mul_i32 s6, s1, s8
	v_mul_lo_u32 v1, v1, s0
	s_ashr_i32 s7, s6, 31
	s_delay_alu instid0(VALU_DEP_2) | instskip(SKIP_1) | instid1(VALU_DEP_2)
	v_lshl_or_b32 v3, v75, 6, v0
	s_lshl_b64 s[6:7], s[6:7], 1
	v_ashrrev_i32_e32 v2, 31, v1
	ds_load_b128 v[3:6], v3
	s_waitcnt lgkmcnt(0)
	s_add_u32 s1, s4, s6
	s_addc_u32 s2, s5, s7
	s_lshl_b32 s4, s14, 6
	v_lshlrev_b64 v[7:8], 1, v[1:2]
	s_ashr_i32 s5, s4, 31
	s_delay_alu instid0(SALU_CYCLE_1) | instskip(NEXT) | instid1(SALU_CYCLE_1)
	s_lshl_b64 s[4:5], s[4:5], 1
	s_add_u32 s1, s1, s4
	s_addc_u32 s2, s2, s5
	v_add_co_u32 v1, vcc_lo, s1, v73
	v_add_co_ci_u32_e32 v2, vcc_lo, s2, v74, vcc_lo
	s_delay_alu instid0(VALU_DEP_2) | instskip(NEXT) | instid1(VALU_DEP_2)
	v_add_co_u32 v7, vcc_lo, v1, v7
	v_add_co_ci_u32_e32 v8, vcc_lo, v2, v8, vcc_lo
	global_store_b128 v[7:8], v[3:6], off
	s_and_b32 exec_lo, exec_lo, s3
	s_cbranch_execz .LBB132_2
; %bb.18:
	ds_load_b128 v[3:6], v0 offset:128
	s_add_i32 s1, s33, 2
	s_delay_alu instid0(SALU_CYCLE_1) | instskip(NEXT) | instid1(SALU_CYCLE_1)
	s_mul_i32 s0, s1, s0
	s_ashr_i32 s1, s0, 31
	s_delay_alu instid0(SALU_CYCLE_1) | instskip(NEXT) | instid1(SALU_CYCLE_1)
	s_lshl_b64 s[0:1], s[0:1], 1
	v_add_co_u32 v0, vcc_lo, v1, s0
	v_add_co_ci_u32_e32 v1, vcc_lo, s1, v2, vcc_lo
	s_waitcnt lgkmcnt(0)
	global_store_b128 v[0:1], v[3:6], off
	s_nop 0
	s_sendmsg sendmsg(MSG_DEALLOC_VGPRS)
	s_endpgm
	.section	.rodata,"a",@progbits
	.p2align	6, 0x0
	.amdhsa_kernel _Z39paged_attention_ll4mi_QKV_mfma16_kernelIDF16_DF16_LN4vllm18Fp8KVCacheDataTypeE0EhLi32ELi64ELi256ELb1ELi3EL8MFMAType0EEvPKT_PKT0_S8_ifPKiSA_SA_iPKfiiiPfSD_PS3_PT2_iSC_SC_
		.amdhsa_group_segment_fixed_size 17472
		.amdhsa_private_segment_fixed_size 0
		.amdhsa_kernarg_size 400
		.amdhsa_user_sgpr_count 13
		.amdhsa_user_sgpr_dispatch_ptr 0
		.amdhsa_user_sgpr_queue_ptr 0
		.amdhsa_user_sgpr_kernarg_segment_ptr 1
		.amdhsa_user_sgpr_dispatch_id 0
		.amdhsa_user_sgpr_private_segment_size 0
		.amdhsa_wavefront_size32 1
		.amdhsa_uses_dynamic_stack 0
		.amdhsa_enable_private_segment 0
		.amdhsa_system_sgpr_workgroup_id_x 1
		.amdhsa_system_sgpr_workgroup_id_y 1
		.amdhsa_system_sgpr_workgroup_id_z 1
		.amdhsa_system_sgpr_workgroup_info 0
		.amdhsa_system_vgpr_workitem_id 0
		.amdhsa_next_free_vgpr 154
		.amdhsa_next_free_sgpr 39
		.amdhsa_reserve_vcc 1
		.amdhsa_float_round_mode_32 0
		.amdhsa_float_round_mode_16_64 0
		.amdhsa_float_denorm_mode_32 3
		.amdhsa_float_denorm_mode_16_64 3
		.amdhsa_dx10_clamp 1
		.amdhsa_ieee_mode 1
		.amdhsa_fp16_overflow 0
		.amdhsa_workgroup_processor_mode 1
		.amdhsa_memory_ordered 1
		.amdhsa_forward_progress 0
		.amdhsa_shared_vgpr_count 0
		.amdhsa_exception_fp_ieee_invalid_op 0
		.amdhsa_exception_fp_denorm_src 0
		.amdhsa_exception_fp_ieee_div_zero 0
		.amdhsa_exception_fp_ieee_overflow 0
		.amdhsa_exception_fp_ieee_underflow 0
		.amdhsa_exception_fp_ieee_inexact 0
		.amdhsa_exception_int_div_zero 0
	.end_amdhsa_kernel
	.section	.text._Z39paged_attention_ll4mi_QKV_mfma16_kernelIDF16_DF16_LN4vllm18Fp8KVCacheDataTypeE0EhLi32ELi64ELi256ELb1ELi3EL8MFMAType0EEvPKT_PKT0_S8_ifPKiSA_SA_iPKfiiiPfSD_PS3_PT2_iSC_SC_,"axG",@progbits,_Z39paged_attention_ll4mi_QKV_mfma16_kernelIDF16_DF16_LN4vllm18Fp8KVCacheDataTypeE0EhLi32ELi64ELi256ELb1ELi3EL8MFMAType0EEvPKT_PKT0_S8_ifPKiSA_SA_iPKfiiiPfSD_PS3_PT2_iSC_SC_,comdat
.Lfunc_end132:
	.size	_Z39paged_attention_ll4mi_QKV_mfma16_kernelIDF16_DF16_LN4vllm18Fp8KVCacheDataTypeE0EhLi32ELi64ELi256ELb1ELi3EL8MFMAType0EEvPKT_PKT0_S8_ifPKiSA_SA_iPKfiiiPfSD_PS3_PT2_iSC_SC_, .Lfunc_end132-_Z39paged_attention_ll4mi_QKV_mfma16_kernelIDF16_DF16_LN4vllm18Fp8KVCacheDataTypeE0EhLi32ELi64ELi256ELb1ELi3EL8MFMAType0EEvPKT_PKT0_S8_ifPKiSA_SA_iPKfiiiPfSD_PS3_PT2_iSC_SC_
                                        ; -- End function
	.section	.AMDGPU.csdata,"",@progbits
; Kernel info:
; codeLenInByte = 7172
; NumSgprs: 41
; NumVgprs: 154
; ScratchSize: 0
; MemoryBound: 0
; FloatMode: 240
; IeeeMode: 1
; LDSByteSize: 17472 bytes/workgroup (compile time only)
; SGPRBlocks: 5
; VGPRBlocks: 19
; NumSGPRsForWavesPerEU: 41
; NumVGPRsForWavesPerEU: 154
; Occupancy: 9
; WaveLimiterHint : 1
; COMPUTE_PGM_RSRC2:SCRATCH_EN: 0
; COMPUTE_PGM_RSRC2:USER_SGPR: 13
; COMPUTE_PGM_RSRC2:TRAP_HANDLER: 0
; COMPUTE_PGM_RSRC2:TGID_X_EN: 1
; COMPUTE_PGM_RSRC2:TGID_Y_EN: 1
; COMPUTE_PGM_RSRC2:TGID_Z_EN: 1
; COMPUTE_PGM_RSRC2:TIDIG_COMP_CNT: 0
	.section	.text._Z39paged_attention_ll4mi_QKV_mfma16_kernelIDF16_DF16_LN4vllm18Fp8KVCacheDataTypeE0EhLi32ELi64ELi256ELb1ELi4EL8MFMAType0EEvPKT_PKT0_S8_ifPKiSA_SA_iPKfiiiPfSD_PS3_PT2_iSC_SC_,"axG",@progbits,_Z39paged_attention_ll4mi_QKV_mfma16_kernelIDF16_DF16_LN4vllm18Fp8KVCacheDataTypeE0EhLi32ELi64ELi256ELb1ELi4EL8MFMAType0EEvPKT_PKT0_S8_ifPKiSA_SA_iPKfiiiPfSD_PS3_PT2_iSC_SC_,comdat
	.protected	_Z39paged_attention_ll4mi_QKV_mfma16_kernelIDF16_DF16_LN4vllm18Fp8KVCacheDataTypeE0EhLi32ELi64ELi256ELb1ELi4EL8MFMAType0EEvPKT_PKT0_S8_ifPKiSA_SA_iPKfiiiPfSD_PS3_PT2_iSC_SC_ ; -- Begin function _Z39paged_attention_ll4mi_QKV_mfma16_kernelIDF16_DF16_LN4vllm18Fp8KVCacheDataTypeE0EhLi32ELi64ELi256ELb1ELi4EL8MFMAType0EEvPKT_PKT0_S8_ifPKiSA_SA_iPKfiiiPfSD_PS3_PT2_iSC_SC_
	.globl	_Z39paged_attention_ll4mi_QKV_mfma16_kernelIDF16_DF16_LN4vllm18Fp8KVCacheDataTypeE0EhLi32ELi64ELi256ELb1ELi4EL8MFMAType0EEvPKT_PKT0_S8_ifPKiSA_SA_iPKfiiiPfSD_PS3_PT2_iSC_SC_
	.p2align	8
	.type	_Z39paged_attention_ll4mi_QKV_mfma16_kernelIDF16_DF16_LN4vllm18Fp8KVCacheDataTypeE0EhLi32ELi64ELi256ELb1ELi4EL8MFMAType0EEvPKT_PKT0_S8_ifPKiSA_SA_iPKfiiiPfSD_PS3_PT2_iSC_SC_,@function
_Z39paged_attention_ll4mi_QKV_mfma16_kernelIDF16_DF16_LN4vllm18Fp8KVCacheDataTypeE0EhLi32ELi64ELi256ELb1ELi4EL8MFMAType0EEvPKT_PKT0_S8_ifPKiSA_SA_iPKfiiiPfSD_PS3_PT2_iSC_SC_: ; @_Z39paged_attention_ll4mi_QKV_mfma16_kernelIDF16_DF16_LN4vllm18Fp8KVCacheDataTypeE0EhLi32ELi64ELi256ELb1ELi4EL8MFMAType0EEvPKT_PKT0_S8_ifPKiSA_SA_iPKfiiiPfSD_PS3_PT2_iSC_SC_
; %bb.0:
	s_load_b64 s[2:3], s[0:1], 0x30
	s_mov_b32 s34, s13
	s_waitcnt lgkmcnt(0)
	s_cmp_lg_u64 s[2:3], 0
	s_cselect_b32 s6, -1, 0
	s_ashr_i32 s35, s13, 31
	s_cmp_eq_u64 s[2:3], 0
	s_cbranch_scc1 .LBB133_3
; %bb.1:
	s_lshl_b64 s[4:5], s[34:35], 2
	s_delay_alu instid0(SALU_CYCLE_1) | instskip(SKIP_4) | instid1(SALU_CYCLE_1)
	s_add_u32 s4, s2, s4
	s_addc_u32 s5, s3, s5
	s_load_b64 s[4:5], s[4:5], 0x0
	s_waitcnt lgkmcnt(0)
	s_sub_i32 s4, s5, s4
	s_cmp_eq_u32 s4, 1
	s_cselect_b32 s4, -1, 0
	s_delay_alu instid0(SALU_CYCLE_1)
	s_and_not1_b32 vcc_lo, exec_lo, s4
	s_cbranch_vccz .LBB133_4
.LBB133_2:
	s_endpgm
.LBB133_3:
.LBB133_4:
	s_load_b64 s[8:9], s[0:1], 0x28
	s_lshl_b64 s[4:5], s[34:35], 2
	s_waitcnt lgkmcnt(0)
	s_add_u32 s8, s8, s4
	s_addc_u32 s9, s9, s5
	s_lshl_b32 s16, s14, 8
	s_load_b32 s18, s[8:9], 0x0
	s_waitcnt lgkmcnt(0)
	s_cmp_ge_i32 s16, s18
	s_cbranch_scc1 .LBB133_2
; %bb.5:
	s_and_not1_b32 vcc_lo, exec_lo, s6
	s_cbranch_vccnz .LBB133_7
; %bb.6:
	s_add_u32 s2, s2, s4
	s_addc_u32 s3, s3, s5
	s_load_b32 s17, s[2:3], 0x0
	s_branch .LBB133_8
.LBB133_7:
	s_mov_b32 s17, s34
.LBB133_8:
	s_clause 0x2
	s_load_b128 s[8:11], s[0:1], 0x8
	s_load_b64 s[12:13], s[0:1], 0x20
	s_load_b128 s[4:7], s[0:1], 0x48
	v_and_b32_e32 v79, 15, v0
	v_cmp_lt_u32_e32 vcc_lo, 63, v0
	s_delay_alu instid0(VALU_DEP_2) | instskip(SKIP_2) | instid1(VALU_DEP_3)
	v_cmp_lt_u32_e64 s3, 7, v79
	v_lshlrev_b32_e32 v1, 3, v79
	v_cmp_gt_u32_e64 s2, 8, v79
	s_or_b32 s3, vcc_lo, s3
	s_waitcnt lgkmcnt(0)
	s_and_saveexec_b32 s7, s3
	s_delay_alu instid0(SALU_CYCLE_1)
	s_xor_b32 s3, exec_lo, s7
; %bb.9:
	v_mov_b32_e32 v2, 0
; %bb.10:
	s_or_saveexec_b32 s3, s3
	v_lshrrev_b32_e32 v78, 5, v0
	v_and_b32_e32 v80, 31, v0
	v_and_b32_e32 v76, 1, v0
	v_bfe_u32 v75, v0, 4, 1
	s_lshl_b32 s31, s15, 2
	s_xor_b32 exec_lo, exec_lo, s3
	s_cbranch_execz .LBB133_12
; %bb.11:
	s_delay_alu instid0(VALU_DEP_1)
	v_lshl_or_b32 v7, v78, 1, v75
	s_load_b64 s[20:21], s[0:1], 0x0
	s_mul_hi_i32 s23, s17, s4
	s_mul_i32 s22, s17, s4
	v_lshlrev_b32_e32 v4, 1, v1
	v_or_b32_e32 v2, s31, v7
	s_lshl_b64 s[22:23], s[22:23], 1
	v_lshlrev_b32_e32 v7, 6, v7
	v_lshlrev_b32_e32 v8, 10, v76
	s_delay_alu instid0(VALU_DEP_3) | instskip(NEXT) | instid1(VALU_DEP_1)
	v_lshlrev_b32_e32 v2, 6, v2
	v_ashrrev_i32_e32 v3, 31, v2
	s_delay_alu instid0(VALU_DEP_1) | instskip(SKIP_3) | instid1(VALU_DEP_1)
	v_lshlrev_b64 v[2:3], 1, v[2:3]
	s_waitcnt lgkmcnt(0)
	s_add_u32 s4, s20, s22
	s_addc_u32 s7, s21, s23
	v_add_co_u32 v2, vcc_lo, s4, v2
	s_delay_alu instid0(VALU_DEP_2) | instskip(NEXT) | instid1(VALU_DEP_2)
	v_add_co_ci_u32_e32 v3, vcc_lo, s7, v3, vcc_lo
	v_add_co_u32 v2, vcc_lo, v2, v4
	s_delay_alu instid0(VALU_DEP_2) | instskip(SKIP_2) | instid1(VALU_DEP_1)
	v_add_co_ci_u32_e32 v3, vcc_lo, 0, v3, vcc_lo
	global_load_b128 v[3:6], v[2:3], off
	v_lshlrev_b32_e32 v2, 10, v79
	v_and_b32_e32 v2, 0x3800, v2
	s_delay_alu instid0(VALU_DEP_1)
	v_or3_b32 v7, v2, v8, v7
	v_mov_b32_e32 v2, 0
	s_waitcnt vmcnt(0)
	ds_store_b128 v7, v[3:6]
.LBB133_12:
	s_or_b32 exec_lo, exec_lo, s3
	v_and_b32_e32 v3, 0xef, v0
	s_add_i32 s3, s18, 31
	s_clause 0x1
	s_load_b32 s4, s[0:1], 0x38
	s_load_b32 s33, s[0:1], 0x98
	s_ashr_i32 s7, s3, 31
	v_add_nc_u32_e32 v3, s16, v3
	s_lshr_b32 s7, s7, 27
	s_load_b32 s19, s[0:1], 0x1c
	s_add_i32 s3, s3, s7
	s_waitcnt lgkmcnt(0)
	v_ashrrev_i32_e32 v4, 31, v3
	v_cmp_gt_i32_e32 vcc_lo, s18, v3
	s_ashr_i32 s3, s3, 5
	s_barrier
	s_add_i32 s3, s3, -1
	v_lshrrev_b32_e32 v5, 27, v4
	v_or_b32_e32 v4, 16, v3
	buffer_gl0_inv
	s_mul_i32 s6, s15, s6
	v_lshlrev_b64 v[73:74], 1, v[1:2]
	v_add_nc_u32_e32 v6, v3, v5
	v_add_nc_u32_e32 v5, v4, v5
	s_mul_i32 s20, s34, s4
	v_lshlrev_b32_e32 v77, 6, v79
	s_ashr_i32 s21, s20, 31
	v_ashrrev_i32_e32 v6, 5, v6
	v_ashrrev_i32_e32 v5, 5, v5
	s_lshl_b64 s[20:21], s[20:21], 2
	v_lshl_or_b32 v33, v78, 10, v77
	s_add_u32 s4, s12, s20
	v_cndmask_b32_e32 v3, s3, v6, vcc_lo
	v_cmp_gt_i32_e32 vcc_lo, s18, v4
	s_addc_u32 s17, s13, s21
	s_ashr_i32 s7, s6, 31
	s_delay_alu instid0(SALU_CYCLE_1)
	s_lshl_b64 s[6:7], s[6:7], 1
	v_cndmask_b32_e32 v5, s3, v5, vcc_lo
	v_ashrrev_i32_e32 v4, 31, v3
	s_add_u32 s15, s8, s6
	s_addc_u32 s28, s9, s7
	s_lshl_b32 s8, s14, 3
	v_ashrrev_i32_e32 v6, 31, v5
	v_lshlrev_b64 v[3:4], 2, v[3:4]
	s_ashr_i32 s9, s8, 31
	s_delay_alu instid0(SALU_CYCLE_1) | instskip(NEXT) | instid1(VALU_DEP_2)
	s_lshl_b64 s[8:9], s[8:9], 2
	v_lshlrev_b64 v[5:6], 2, v[5:6]
	s_add_u32 s8, s4, s8
	s_delay_alu instid0(VALU_DEP_2) | instskip(SKIP_1) | instid1(VALU_DEP_3)
	v_add_co_u32 v3, vcc_lo, s4, v3
	v_add_co_ci_u32_e32 v4, vcc_lo, s17, v4, vcc_lo
	v_add_co_u32 v5, vcc_lo, s4, v5
	s_delay_alu instid0(VALU_DEP_4)
	v_add_co_ci_u32_e32 v6, vcc_lo, s17, v6, vcc_lo
	s_addc_u32 s9, s17, s9
	s_clause 0x1
	global_load_b32 v7, v[3:4], off
	global_load_b32 v8, v[5:6], off
	s_or_b32 s12, s16, 32
	s_delay_alu instid0(SALU_CYCLE_1) | instskip(SKIP_2) | instid1(SALU_CYCLE_1)
	s_ashr_i32 s13, s12, 5
	s_cmp_lt_i32 s12, s18
	s_cselect_b32 s12, s13, s3
	s_ashr_i32 s13, s12, 31
	s_delay_alu instid0(SALU_CYCLE_1) | instskip(NEXT) | instid1(SALU_CYCLE_1)
	s_lshl_b64 s[12:13], s[12:13], 2
	s_add_u32 s12, s4, s12
	s_addc_u32 s13, s17, s13
	s_or_b32 s20, s16, 64
	s_delay_alu instid0(SALU_CYCLE_1) | instskip(SKIP_2) | instid1(SALU_CYCLE_1)
	s_ashr_i32 s21, s20, 5
	s_cmp_lt_i32 s20, s18
	s_cselect_b32 s20, s21, s3
	s_ashr_i32 s21, s20, 31
	s_delay_alu instid0(SALU_CYCLE_1) | instskip(NEXT) | instid1(SALU_CYCLE_1)
	s_lshl_b64 s[20:21], s[20:21], 2
	s_add_u32 s20, s4, s20
	s_addc_u32 s21, s17, s21
	;; [unrolled: 10-line block ×5, first 2 shown]
	s_clause 0x5
	s_load_b32 s29, s[8:9], 0x0
	s_load_b32 s30, s[12:13], 0x0
	;; [unrolled: 1-line block ×6, first 2 shown]
	s_or_b32 s8, s16, 0xc0
	s_mov_b32 s20, 0
	s_ashr_i32 s9, s8, 5
	s_cmp_lt_i32 s8, s18
	s_mov_b32 s27, s20
	s_cselect_b32 s8, s9, s3
	s_mov_b32 s21, s20
	s_ashr_i32 s9, s8, 31
	s_mov_b32 s22, s20
	s_lshl_b64 s[8:9], s[8:9], 2
	s_mov_b32 s23, s20
	s_add_u32 s8, s4, s8
	s_mov_b32 s24, s20
	s_mov_b32 s25, s20
	;; [unrolled: 1-line block ×3, first 2 shown]
	s_addc_u32 s9, s17, s9
	v_dual_mov_b32 v128, s27 :: v_dual_mov_b32 v127, s26
	v_dual_mov_b32 v126, s25 :: v_dual_mov_b32 v125, s24
	;; [unrolled: 1-line block ×3, first 2 shown]
	v_mov_b32_e32 v121, s20
	s_waitcnt lgkmcnt(0)
	s_mul_hi_i32 s13, s29, s5
	s_mul_i32 s12, s29, s5
	v_mov_b32_e32 v122, s21
	s_mul_hi_i32 s21, s30, s5
	s_mul_i32 s20, s30, s5
	s_mul_hi_i32 s25, s35, s5
	s_mul_i32 s24, s35, s5
	;; [unrolled: 2-line block ×3, first 2 shown]
	s_mul_i32 s36, s38, s5
	s_waitcnt vmcnt(1)
	v_mad_i64_i32 v[3:4], null, v7, s5, 0
	s_waitcnt vmcnt(0)
	v_mad_i64_i32 v[5:6], null, v8, s5, 0
	s_delay_alu instid0(VALU_DEP_2) | instskip(NEXT) | instid1(VALU_DEP_2)
	v_lshlrev_b64 v[3:4], 1, v[3:4]
	v_lshlrev_b64 v[1:2], 1, v[5:6]
	s_delay_alu instid0(VALU_DEP_2) | instskip(NEXT) | instid1(VALU_DEP_3)
	v_add_co_u32 v3, vcc_lo, s15, v3
	v_add_co_ci_u32_e32 v4, vcc_lo, s28, v4, vcc_lo
	s_delay_alu instid0(VALU_DEP_3) | instskip(NEXT) | instid1(VALU_DEP_4)
	v_add_co_u32 v1, vcc_lo, s15, v1
	v_add_co_ci_u32_e32 v2, vcc_lo, s28, v2, vcc_lo
	s_delay_alu instid0(VALU_DEP_4) | instskip(NEXT) | instid1(VALU_DEP_4)
	v_add_co_u32 v25, vcc_lo, v3, v73
	v_add_co_ci_u32_e32 v26, vcc_lo, v4, v74, vcc_lo
	s_delay_alu instid0(VALU_DEP_4) | instskip(NEXT) | instid1(VALU_DEP_4)
	v_add_co_u32 v27, vcc_lo, v1, v73
	v_add_co_ci_u32_e32 v28, vcc_lo, v2, v74, vcc_lo
	s_clause 0xf
	global_load_b128 v[1:4], v[25:26], off
	global_load_b128 v[5:8], v[25:26], off offset:512
	global_load_b128 v[9:12], v[27:28], off offset:256
	;; [unrolled: 1-line block ×15, first 2 shown]
	s_or_b32 s15, s16, 0xe0
	v_and_b32_e32 v25, 3, v0
	s_ashr_i32 s22, s15, 5
	s_cmp_lt_i32 s15, s18
	s_cselect_b32 s22, s22, s3
	s_delay_alu instid0(VALU_DEP_1)
	v_lshlrev_b32_e32 v151, 6, v25
	s_ashr_i32 s23, s22, 31
	ds_load_b128 v[25:28], v151
	ds_load_b128 v[29:32], v151 offset:1024
	s_lshl_b64 s[22:23], s[22:23], 2
	ds_load_b128 v[129:132], v151 offset:2048
	ds_load_b128 v[133:136], v151 offset:3072
	s_add_u32 s22, s4, s22
	s_addc_u32 s23, s17, s23
	s_add_i32 s15, s16, 0x100
	s_delay_alu instid0(SALU_CYCLE_1)
	s_ashr_i32 s28, s15, 5
	s_cmp_lt_i32 s15, s18
	s_load_b32 s15, s[8:9], 0x0
	s_cselect_b32 s28, s28, s3
	s_mul_hi_i32 s9, s37, s5
	s_ashr_i32 s29, s28, 31
	s_mul_i32 s8, s37, s5
	s_lshl_b64 s[28:29], s[28:29], 2
	s_mul_hi_i32 s37, s38, s5
	s_add_u32 s28, s4, s28
	s_addc_u32 s29, s17, s29
	s_add_u32 s3, s10, s6
	s_clause 0x1
	s_load_b32 s4, s[22:23], 0x0
	s_load_b32 s17, s[28:29], 0x0
	s_addc_u32 s28, s11, s7
	v_add_co_u32 v152, s3, s3, v33
	s_delay_alu instid0(VALU_DEP_1) | instskip(SKIP_2) | instid1(VALU_DEP_2)
	v_add_co_ci_u32_e64 v153, null, s28, 0, s3
	s_lshl_b64 s[6:7], s[12:13], 1
	s_lshl_b64 s[10:11], s[20:21], 1
	v_add_co_u32 v33, vcc_lo, v152, s6
	s_delay_alu instid0(VALU_DEP_2)
	v_add_co_ci_u32_e32 v34, vcc_lo, s7, v153, vcc_lo
	v_add_co_u32 v35, vcc_lo, v152, s10
	s_lshl_b64 s[12:13], s[24:25], 1
	v_add_co_ci_u32_e32 v36, vcc_lo, s11, v153, vcc_lo
	v_add_co_u32 v37, vcc_lo, v152, s12
	s_lshl_b64 s[20:21], s[26:27], 1
	;; [unrolled: 3-line block ×4, first 2 shown]
	s_waitcnt lgkmcnt(0)
	s_mul_hi_i32 s25, s15, s5
	s_mul_i32 s24, s15, s5
	v_add_co_ci_u32_e32 v146, vcc_lo, s9, v153, vcc_lo
	v_add_co_u32 v147, vcc_lo, v152, s22
	s_lshl_b64 s[24:25], s[24:25], 1
	v_add_co_ci_u32_e32 v148, vcc_lo, s23, v153, vcc_lo
	s_mul_hi_i32 s7, s4, s5
	s_mul_i32 s6, s4, s5
	v_add_co_u32 v149, vcc_lo, v152, s24
	s_lshl_b64 s[6:7], s[6:7], 1
	v_add_co_ci_u32_e32 v150, vcc_lo, s25, v153, vcc_lo
	s_clause 0x7
	global_load_b128 v[65:68], v[33:34], off
	global_load_b128 v[69:72], v[33:34], off offset:16
	global_load_b128 v[57:60], v[35:36], off
	global_load_b128 v[61:64], v[35:36], off offset:16
	global_load_b128 v[49:52], v[37:38], off
	global_load_b128 v[53:56], v[37:38], off offset:16
	global_load_b128 v[41:44], v[39:40], off
	global_load_b128 v[45:48], v[39:40], off offset:16
	s_waitcnt vmcnt(22)
	v_wmma_f32_16x16x16_f16 v[137:144], v[1:8], v[25:32], v[121:128]
	s_waitcnt vmcnt(20)
	v_wmma_f32_16x16x16_f16 v[121:128], v[9:16], v[25:32], v[121:128]
	v_add_co_u32 v29, vcc_lo, v152, s6
	v_add_co_ci_u32_e32 v30, vcc_lo, s7, v153, vcc_lo
	s_mul_hi_i32 s7, s17, s5
	s_mul_i32 s6, s17, s5
	s_waitcnt vmcnt(18)
	v_wmma_f32_16x16x16_f16 v[137:144], v[17:24], v[129:136], v[137:144]
	s_lshl_b64 s[4:5], s[6:7], 1
	s_clause 0x1
	global_load_b128 v[9:12], v[145:146], off
	global_load_b128 v[13:16], v[145:146], off offset:16
	v_add_co_u32 v21, vcc_lo, v152, s4
	v_add_co_ci_u32_e32 v22, vcc_lo, s5, v153, vcc_lo
	s_clause 0x7
	global_load_b128 v[1:4], v[147:148], off
	global_load_b128 v[5:8], v[147:148], off offset:16
	global_load_b128 v[33:36], v[149:150], off
	global_load_b128 v[37:40], v[149:150], off offset:16
	;; [unrolled: 2-line block ×4, first 2 shown]
	s_waitcnt vmcnt(26)
	v_wmma_f32_16x16x16_f16 v[121:128], v[81:88], v[129:136], v[121:128]
	ds_load_b128 v[81:84], v151 offset:4096
	ds_load_b128 v[85:88], v151 offset:5120
	v_mbcnt_lo_u32_b32 v130, -1, 0
	s_delay_alu instid0(VALU_DEP_1) | instskip(NEXT) | instid1(VALU_DEP_1)
	v_xor_b32_e32 v131, 16, v130
	v_cmp_gt_i32_e32 vcc_lo, 32, v131
	v_cndmask_b32_e32 v130, v130, v131, vcc_lo
	s_waitcnt vmcnt(24) lgkmcnt(0)
	v_wmma_f32_16x16x16_f16 v[137:144], v[89:96], v[81:88], v[137:144]
	ds_load_b128 v[89:92], v151 offset:6144
	ds_load_b128 v[93:96], v151 offset:7168
	s_waitcnt vmcnt(22)
	v_wmma_f32_16x16x16_f16 v[121:128], v[97:104], v[81:88], v[121:128]
	s_waitcnt vmcnt(0) lgkmcnt(0)
	s_barrier
	buffer_gl0_inv
	v_wmma_f32_16x16x16_f16 v[137:144], v[105:112], v[89:96], v[137:144]
	v_and_b32_e32 v129, 0xe0, v0
	v_wmma_f32_16x16x16_f16 v[121:128], v[113:120], v[89:96], v[121:128]
	s_delay_alu instid0(VALU_DEP_3) | instskip(NEXT) | instid1(VALU_DEP_2)
	v_mul_f32_e32 v96, s19, v137
	v_dual_mul_f32 v104, s19, v126 :: v_dual_add_nc_u32 v129, s16, v129
	v_mul_f32_e32 v95, s19, v138
	v_dual_mul_f32 v93, s19, v140 :: v_dual_mul_f32 v94, s19, v139
	s_delay_alu instid0(VALU_DEP_3) | instskip(SKIP_3) | instid1(VALU_DEP_4)
	v_or_b32_e32 v129, v129, v75
	v_dual_mul_f32 v91, s19, v142 :: v_dual_mul_f32 v106, s19, v124
	v_dual_mul_f32 v92, s19, v141 :: v_dual_mul_f32 v89, s19, v144
	v_mul_f32_e32 v108, s19, v122
	v_or_b32_e32 v131, 2, v129
	v_or_b32_e32 v132, 4, v129
	;; [unrolled: 1-line block ×3, first 2 shown]
	v_cmp_gt_i32_e32 vcc_lo, s18, v129
	v_or_b32_e32 v82, 8, v129
	v_cmp_gt_i32_e64 s3, s18, v131
	v_or_b32_e32 v83, 10, v129
	v_cmp_gt_i32_e64 s4, s18, v132
	v_cndmask_b32_e32 v96, 0xff7fffff, v96, vcc_lo
	v_cmp_gt_i32_e64 s5, s18, v81
	v_cndmask_b32_e64 v95, 0xff7fffff, v95, s3
	v_or_b32_e32 v84, 12, v129
	v_or_b32_e32 v85, 14, v129
	v_cndmask_b32_e64 v94, 0xff7fffff, v94, s4
	v_cndmask_b32_e64 v81, 0xff7fffff, v93, s5
	v_max3_f32 v93, v96, 0xff7fffff, v95
	v_cmp_gt_i32_e64 s6, s18, v82
	v_cmp_gt_i32_e64 s7, s18, v83
	v_or_b32_e32 v86, 16, v129
	v_or_b32_e32 v87, 18, v129
	v_mul_f32_e32 v90, s19, v143
	v_cndmask_b32_e64 v82, 0xff7fffff, v92, s6
	v_cndmask_b32_e64 v83, 0xff7fffff, v91, s7
	v_max3_f32 v81, v93, v94, v81
	v_cmp_gt_i32_e64 s8, s18, v84
	v_cmp_gt_i32_e64 s9, s18, v85
	v_or_b32_e32 v88, 20, v129
	v_or_b32_e32 v97, 22, v129
	v_mul_f32_e32 v109, s19, v121
	;; [unrolled: 8-line block ×4, first 2 shown]
	v_cndmask_b32_e64 v84, 0xff7fffff, v107, s12
	v_cndmask_b32_e64 v85, 0xff7fffff, v106, s13
	v_max3_f32 v81, v81, v82, v83
	v_cmp_gt_i32_e64 s15, s18, v98
	v_cmp_gt_i32_e64 s16, s18, v99
	v_dual_mul_f32 v102, s19, v128 :: v_dual_mul_f32 v103, s19, v127
	s_delay_alu instid0(VALU_DEP_4) | instskip(NEXT) | instid1(VALU_DEP_4)
	v_max3_f32 v81, v81, v84, v85
	v_cndmask_b32_e64 v82, 0xff7fffff, v105, s15
	s_delay_alu instid0(VALU_DEP_4) | instskip(SKIP_2) | instid1(VALU_DEP_3)
	v_cndmask_b32_e64 v83, 0xff7fffff, v104, s16
	v_cmp_gt_i32_e64 s17, s18, v100
	v_cmp_gt_i32_e64 s18, s18, v101
	v_max3_f32 v81, v81, v82, v83
	s_delay_alu instid0(VALU_DEP_3) | instskip(NEXT) | instid1(VALU_DEP_3)
	v_cndmask_b32_e64 v84, 0xff7fffff, v103, s17
	v_cndmask_b32_e64 v85, 0xff7fffff, v102, s18
	v_lshlrev_b32_e32 v83, 2, v130
	s_delay_alu instid0(VALU_DEP_2) | instskip(SKIP_3) | instid1(VALU_DEP_1)
	v_max3_f32 v81, v81, v84, v85
	ds_bpermute_b32 v82, v83, v81
	s_waitcnt lgkmcnt(0)
	v_max_f32_e32 v82, v82, v82
	v_max_f32_e32 v81, v81, v82
	s_delay_alu instid0(VALU_DEP_1) | instskip(SKIP_3) | instid1(VALU_DEP_4)
	v_fma_f32 v82, s19, v137, -v81
	v_fma_f32 v84, s19, v138, -v81
	;; [unrolled: 1-line block ×4, first 2 shown]
	v_mul_f32_e32 v82, 0x3fb8aa3b, v82
	s_delay_alu instid0(VALU_DEP_3) | instskip(NEXT) | instid1(VALU_DEP_3)
	v_dual_mul_f32 v84, 0x3fb8aa3b, v84 :: v_dual_mul_f32 v85, 0x3fb8aa3b, v85
	v_mul_f32_e32 v86, 0x3fb8aa3b, v86
	s_delay_alu instid0(VALU_DEP_3) | instskip(NEXT) | instid1(VALU_DEP_2)
	v_exp_f32_e32 v82, v82
	v_exp_f32_e32 v84, v84
	s_delay_alu instid0(VALU_DEP_2) | instskip(NEXT) | instid1(VALU_DEP_1)
	v_exp_f32_e32 v85, v85
	v_exp_f32_e32 v90, v86
	v_cndmask_b32_e32 v87, 0, v82, vcc_lo
	s_delay_alu instid0(TRANS32_DEP_3) | instskip(SKIP_4) | instid1(VALU_DEP_1)
	v_cndmask_b32_e64 v86, 0, v84, s3
	s_waitcnt_depctr 0xfff
	v_cndmask_b32_e64 v89, 0, v85, s4
	s_mov_b32 s3, exec_lo
	v_add_f32_e32 v84, 0, v87
	v_add_f32_e32 v84, v84, v86
	s_delay_alu instid0(VALU_DEP_1)
	v_add_f32_e32 v84, v84, v89
	v_fma_f32 v88, s19, v141, -v81
	v_fma_f32 v91, s19, v143, -v81
	;; [unrolled: 1-line block ×5, first 2 shown]
	v_mul_f32_e32 v88, 0x3fb8aa3b, v88
	v_fma_f32 v100, s19, v128, -v81
	v_mul_f32_e32 v82, 0x3fb8aa3b, v82
	v_fma_f32 v98, s19, v126, -v81
	v_mul_f32_e32 v97, 0x3fb8aa3b, v95
	v_exp_f32_e32 v92, v88
	v_cndmask_b32_e64 v88, 0, v90, s5
	v_fma_f32 v90, s19, v121, -v81
	v_mul_f32_e32 v91, 0x3fb8aa3b, v91
	v_exp_f32_e32 v82, v82
	v_exp_f32_e32 v99, v97
	v_add_f32_e32 v84, v84, v88
	v_mul_f32_e32 v94, 0x3fb8aa3b, v90
	v_exp_f32_e32 v93, v91
	v_mul_f32_e32 v98, 0x3fb8aa3b, v98
	v_cndmask_b32_e64 v91, 0, v92, s6
	v_fma_f32 v92, s19, v122, -v81
	v_mul_f32_e32 v85, 0x3fb8aa3b, v85
	v_exp_f32_e32 v94, v94
	v_cndmask_b32_e64 v90, 0, v82, s7
	v_add_f32_e32 v82, v84, v91
	v_mul_f32_e32 v92, 0x3fb8aa3b, v92
	v_exp_f32_e32 v85, v85
	v_fma_f32 v84, s19, v123, -v81
	v_cndmask_b32_e64 v93, 0, v93, s8
	v_add_f32_e32 v82, v82, v90
	v_exp_f32_e32 v96, v92
	v_exp_f32_e32 v98, v98
	v_cndmask_b32_e64 v95, 0, v94, s10
	s_delay_alu instid0(VALU_DEP_2) | instskip(NEXT) | instid1(TRANS32_DEP_3)
	v_add_f32_e32 v82, v82, v93
	v_cndmask_b32_e64 v92, 0, v85, s9
	v_fma_f32 v85, s19, v125, -v81
	v_mul_f32_e32 v84, 0x3fb8aa3b, v84
	s_delay_alu instid0(TRANS32_DEP_2) | instskip(SKIP_1) | instid1(VALU_DEP_4)
	v_cndmask_b32_e64 v94, 0, v96, s11
	v_fma_f32 v96, s19, v127, -v81
	v_mul_f32_e32 v85, 0x3fb8aa3b, v85
	s_delay_alu instid0(VALU_DEP_4) | instskip(SKIP_1) | instid1(VALU_DEP_2)
	v_exp_f32_e32 v84, v84
	v_cndmask_b32_e64 v98, 0, v98, s16
	v_exp_f32_e32 v85, v85
	s_waitcnt_depctr 0xfff
	v_cndmask_b32_e64 v97, 0, v84, s12
	v_mul_f32_e32 v84, 0x3fb8aa3b, v96
	v_cndmask_b32_e64 v96, 0, v99, s13
	v_cndmask_b32_e64 v99, 0, v85, s15
	v_mul_f32_e32 v85, 0x3fb8aa3b, v100
	v_add_f32_e32 v82, v82, v92
	v_exp_f32_e32 v84, v84
	s_delay_alu instid0(VALU_DEP_2) | instskip(NEXT) | instid1(VALU_DEP_1)
	v_exp_f32_e32 v85, v85
	v_add_f32_e32 v82, v82, v95
	s_delay_alu instid0(VALU_DEP_1) | instskip(SKIP_4) | instid1(VALU_DEP_1)
	v_add_f32_e32 v82, v82, v94
	s_waitcnt_depctr 0xfff
	v_cndmask_b32_e64 v101, 0, v84, s17
	v_cndmask_b32_e64 v100, 0, v85, s18
	v_add_f32_e32 v82, v82, v97
	v_add_f32_e32 v82, v82, v96
	s_delay_alu instid0(VALU_DEP_1) | instskip(NEXT) | instid1(VALU_DEP_1)
	v_add_f32_e32 v82, v82, v99
	v_add_f32_e32 v82, v82, v98
	s_delay_alu instid0(VALU_DEP_1) | instskip(NEXT) | instid1(VALU_DEP_1)
	v_add_f32_e32 v82, v82, v101
	v_add_f32_e32 v82, v82, v100
	ds_bpermute_b32 v83, v83, v82
	v_cmpx_gt_u32_e32 16, v80
	s_cbranch_execz .LBB133_14
; %bb.13:
	v_mul_u32_u24_e32 v80, 0x44, v78
	s_waitcnt lgkmcnt(0)
	v_add_f32_e32 v82, v82, v83
	s_delay_alu instid0(VALU_DEP_2) | instskip(NEXT) | instid1(VALU_DEP_1)
	v_lshl_add_u32 v80, v79, 2, v80
	v_add_nc_u32_e32 v80, 0x4000, v80
	ds_store_2addr_b32 v80, v81, v82 offset1:136
.LBB133_14:
	s_or_b32 exec_lo, exec_lo, s3
	v_lshlrev_b32_e32 v79, 2, v79
	s_load_b32 s35, s[0:1], 0x94
	s_waitcnt lgkmcnt(0)
	s_barrier
	buffer_gl0_inv
	v_add_nc_u32_e32 v83, 0x4000, v79
	v_cmp_eq_u32_e32 vcc_lo, 1, v78
	v_cmp_eq_u32_e64 s3, 2, v78
	v_cmp_eq_u32_e64 s4, 3, v78
	;; [unrolled: 1-line block ×3, first 2 shown]
	ds_load_2addr_b32 v[79:80], v83 offset1:17
	ds_load_2addr_b32 v[81:82], v83 offset0:34 offset1:51
	ds_load_2addr_b32 v[102:103], v83 offset0:68 offset1:85
	ds_load_2addr_b32 v[104:105], v83 offset0:102 offset1:119
	v_cmp_eq_u32_e64 s6, 7, v78
	s_waitcnt lgkmcnt(3)
	v_max3_f32 v84, v79, 0xff7fffff, v80
	s_waitcnt lgkmcnt(2)
	s_delay_alu instid0(VALU_DEP_1) | instskip(SKIP_1) | instid1(VALU_DEP_1)
	v_max3_f32 v84, v84, v81, v82
	s_waitcnt lgkmcnt(1)
	v_max3_f32 v84, v84, v102, v103
	s_waitcnt lgkmcnt(0)
	s_delay_alu instid0(VALU_DEP_1) | instskip(NEXT) | instid1(VALU_DEP_1)
	v_max3_f32 v84, v84, v104, v105
	v_sub_f32_e32 v102, v102, v84
	ds_load_2addr_b32 v[106:107], v83 offset0:136 offset1:153
	v_sub_f32_e32 v79, v79, v84
	v_dual_sub_f32 v109, v82, v84 :: v_dual_mul_f32 v112, 0x3fb8aa3b, v102
	s_delay_alu instid0(VALU_DEP_2) | instskip(SKIP_3) | instid1(VALU_DEP_1)
	v_dual_sub_f32 v85, v80, v84 :: v_dual_mul_f32 v108, 0x3fb8aa3b, v79
	ds_load_2addr_b32 v[79:80], v83 offset0:170 offset1:187
	v_mul_f32_e32 v85, 0x3fb8aa3b, v85
	v_exp_f32_e32 v108, v108
	v_exp_f32_e32 v111, v85
	v_mul_f32_e32 v109, 0x3fb8aa3b, v109
	s_waitcnt lgkmcnt(1)
	s_waitcnt_depctr 0xfff
	v_fma_f32 v85, v108, v106, 0
	v_sub_f32_e32 v106, v103, v84
	v_sub_f32_e32 v81, v81, v84
	v_exp_f32_e32 v109, v109
	ds_load_2addr_b32 v[102:103], v83 offset0:238 offset1:255
	v_dual_fmac_f32 v85, v111, v107 :: v_dual_mul_f32 v110, 0x3fb8aa3b, v81
	ds_load_2addr_b32 v[81:82], v83 offset0:204 offset1:221
	v_dual_sub_f32 v83, v104, v84 :: v_dual_mul_f32 v104, 0x3fb8aa3b, v106
	v_exp_f32_e32 v106, v112
	v_exp_f32_e32 v110, v110
	s_waitcnt lgkmcnt(0)
	s_delay_alu instid0(VALU_DEP_1)
	v_mul_f32_e32 v83, 0x3fb8aa3b, v83
	v_exp_f32_e32 v104, v104
	s_barrier
	buffer_gl0_inv
	v_fmac_f32_e32 v85, v110, v79
	v_sub_f32_e32 v79, v105, v84
	v_exp_f32_e32 v105, v83
	s_delay_alu instid0(VALU_DEP_2) | instskip(NEXT) | instid1(VALU_DEP_2)
	v_fmac_f32_e32 v85, v109, v80
	v_mul_f32_e32 v79, 0x3fb8aa3b, v79
	s_delay_alu instid0(VALU_DEP_2) | instskip(NEXT) | instid1(VALU_DEP_2)
	v_dual_cndmask_b32 v80, v108, v111 :: v_dual_fmac_f32 v85, v106, v81
	v_exp_f32_e32 v107, v79
	s_delay_alu instid0(VALU_DEP_1) | instskip(SKIP_2) | instid1(VALU_DEP_1)
	v_fmac_f32_e32 v85, v104, v82
	s_waitcnt_depctr 0xfff
	v_fmac_f32_e32 v85, v105, v102
	v_fmac_f32_e32 v85, v107, v103
	s_delay_alu instid0(VALU_DEP_1) | instskip(NEXT) | instid1(VALU_DEP_1)
	v_add_f32_e32 v102, 0x358637bd, v85
	v_div_scale_f32 v103, null, v102, v102, 1.0
	v_div_scale_f32 v108, vcc_lo, 1.0, v102, 1.0
	s_delay_alu instid0(VALU_DEP_2) | instskip(SKIP_2) | instid1(VALU_DEP_1)
	v_rcp_f32_e32 v112, v103
	s_waitcnt_depctr 0xfff
	v_fma_f32 v79, -v103, v112, 1.0
	v_fmac_f32_e32 v112, v79, v112
	v_cndmask_b32_e64 v79, v80, v110, s3
	v_cmp_eq_u32_e64 s3, 4, v78
	v_lshl_or_b32 v80, v78, 11, v77
	s_delay_alu instid0(VALU_DEP_4) | instskip(NEXT) | instid1(VALU_DEP_4)
	v_mul_f32_e32 v110, v108, v112
	v_cndmask_b32_e64 v81, v79, v109, s4
	v_cmp_eq_u32_e64 s4, 6, v78
	s_delay_alu instid0(VALU_DEP_4) | instskip(SKIP_3) | instid1(VALU_DEP_3)
	v_lshl_or_b32 v78, v75, 4, v80
	v_lshlrev_b32_e32 v79, 2, v75
	v_fma_f32 v82, -v103, v110, v108
	v_cndmask_b32_e64 v83, v81, v106, s3
	v_or_b32_e32 v81, 1, v79
	s_delay_alu instid0(VALU_DEP_3) | instskip(NEXT) | instid1(VALU_DEP_3)
	v_fmac_f32_e32 v110, v82, v112
	v_cndmask_b32_e64 v104, v83, v104, s5
	v_or_b32_e32 v83, 2, v79
	v_or_b32_e32 v82, 3, v79
	v_cmp_eq_u32_e64 s3, 1, v79
	v_fma_f32 v103, -v103, v110, v108
	v_cndmask_b32_e64 v104, v104, v105, s4
	v_cmp_eq_u32_e64 s9, 1, v81
	v_cmp_eq_u32_e64 s10, 1, v83
	;; [unrolled: 1-line block ×3, first 2 shown]
	v_div_fmas_f32 v103, v103, v112, v110
	v_cndmask_b32_e64 v104, v104, v107, s6
	v_cmp_eq_u32_e32 vcc_lo, 2, v79
	v_cmp_eq_u32_e64 s12, 2, v81
	v_cmp_eq_u32_e64 s15, 2, v83
	v_div_fixup_f32 v102, v103, v102, 1.0
	v_cmp_eq_u32_e64 s16, 2, v82
	v_cmp_eq_u32_e64 s18, 3, v82
	;; [unrolled: 1-line block ×4, first 2 shown]
	v_mul_f32_e32 v110, v104, v102
	v_cmp_eq_u32_e64 s17, 3, v83
	v_cmp_eq_u32_e64 s22, 4, v82
	;; [unrolled: 1-line block ×4, first 2 shown]
	v_fma_mixlo_f16 v102, v110, v87, 0
	v_fma_mixlo_f16 v103, v110, v89, 0
	;; [unrolled: 1-line block ×8, first 2 shown]
	v_fma_mixhi_f16 v102, v110, v86, 0
	v_fma_mixhi_f16 v103, v110, v88, 0
	;; [unrolled: 1-line block ×8, first 2 shown]
	ds_store_b128 v78, v[102:105]
	ds_store_b128 v78, v[106:109] offset:1024
	s_waitcnt lgkmcnt(0)
	s_barrier
	buffer_gl0_inv
	ds_load_b128 v[86:89], v80
	ds_load_b128 v[90:93], v80 offset:16
	ds_load_b128 v[94:97], v80 offset:1024
	;; [unrolled: 1-line block ×3, first 2 shown]
	v_cmp_eq_u32_e64 s21, 4, v83
	v_cmp_eq_u32_e64 s24, 5, v82
	;; [unrolled: 1-line block ×13, first 2 shown]
	s_waitcnt lgkmcnt(3)
	v_lshrrev_b32_e32 v102, 16, v86
	s_waitcnt lgkmcnt(2)
	v_lshrrev_b32_e32 v106, 16, v90
	;; [unrolled: 2-line block ×4, first 2 shown]
	v_lshrrev_b32_e32 v103, 16, v87
	v_cndmask_b32_e64 v118, v86, v102, s3
	v_cndmask_b32_e64 v119, v90, v106, s3
	;; [unrolled: 1-line block ×8, first 2 shown]
	v_lshrrev_b32_e32 v107, 16, v91
	v_cndmask_b32_e64 v102, v94, v110, s3
	v_cndmask_b32_e64 v106, v98, v114, s3
	;; [unrolled: 1-line block ×5, first 2 shown]
	v_cndmask_b32_e32 v110, v118, v87, vcc_lo
	v_cndmask_b32_e64 v118, v120, v87, s12
	v_cndmask_b32_e64 v120, v122, v87, s15
	;; [unrolled: 1-line block ×4, first 2 shown]
	v_lshrrev_b32_e32 v111, 16, v95
	v_lshrrev_b32_e32 v115, 16, v99
	v_cndmask_b32_e64 v125, v98, v114, s9
	v_cndmask_b32_e64 v127, v98, v114, s10
	v_cndmask_b32_e64 v98, v98, v114, s11
	v_cndmask_b32_e32 v114, v119, v91, vcc_lo
	v_cndmask_b32_e64 v119, v121, v91, s12
	v_cndmask_b32_e64 v121, v123, v91, s15
	v_cndmask_b32_e32 v90, v102, v95, vcc_lo
	v_cndmask_b32_e32 v91, v106, v99, vcc_lo
	v_cndmask_b32_e64 v102, v124, v95, s12
	v_cndmask_b32_e64 v86, v86, v103, s18
	;; [unrolled: 1-line block ×3, first 2 shown]
	v_lshrrev_b32_e32 v104, 16, v88
	v_lshrrev_b32_e32 v108, 16, v92
	v_cndmask_b32_e64 v106, v126, v95, s15
	v_cndmask_b32_e64 v94, v94, v95, s16
	;; [unrolled: 1-line block ×14, first 2 shown]
	v_lshrrev_b32_e32 v112, 16, v96
	v_cndmask_b32_e64 v98, v98, v88, s5
	v_cndmask_b32_e64 v103, v110, v92, s5
	;; [unrolled: 1-line block ×11, first 2 shown]
	v_lshrrev_b32_e32 v105, 16, v89
	v_lshrrev_b32_e32 v109, 16, v93
	v_cndmask_b32_e64 v92, v98, v104, s6
	v_cndmask_b32_e64 v98, v103, v108, s6
	;; [unrolled: 1-line block ×9, first 2 shown]
	v_lshrrev_b32_e32 v113, 16, v97
	v_cndmask_b32_e64 v88, v88, v112, s6
	v_cndmask_b32_e64 v92, v92, v89, s7
	v_cndmask_b32_e64 v98, v98, v93, s7
	v_cndmask_b32_e64 v102, v102, v89, s25
	v_cndmask_b32_e64 v103, v103, v93, s25
	v_cndmask_b32_e64 v104, v107, v89, s26
	v_cndmask_b32_e64 v107, v110, v93, s26
	v_cndmask_b32_e64 v89, v91, v97, s25
	v_cndmask_b32_e64 v86, v86, v105, s29
	v_cndmask_b32_e64 v87, v87, v109, s29
	v_cndmask_b32_e64 v122, v127, v99, s15
	v_cndmask_b32_e64 v88, v88, v97, s7
	v_cndmask_b32_e64 v91, v92, v105, s8
	v_cndmask_b32_e64 v92, v98, v109, s8
	v_cndmask_b32_e64 v93, v102, v105, s30
	v_cndmask_b32_e64 v98, v104, v105, s28
	v_cndmask_b32_e64 v102, v107, v109, s28
	v_cndmask_b32_e64 v103, v103, v109, s30
	v_cndmask_b32_e64 v105, v89, v113, s30
	v_perm_b32 v89, v87, v86, 0x5040100
	v_cndmask_b32_e64 v86, v125, v99, s12
	v_cndmask_b32_e64 v104, v88, v113, s8
	v_perm_b32 v88, v102, v98, 0x5040100
	v_perm_b32 v87, v103, v93, 0x5040100
	v_cndmask_b32_e64 v93, v106, v111, s17
	v_cndmask_b32_e64 v94, v94, v111, s18
	;; [unrolled: 1-line block ×5, first 2 shown]
	v_lshrrev_b32_e32 v116, 16, v100
	v_cndmask_b32_e64 v93, v93, v96, s21
	v_cndmask_b32_e64 v94, v94, v96, s22
	;; [unrolled: 1-line block ×11, first 2 shown]
	v_lshrrev_b32_e32 v117, 16, v101
	v_cndmask_b32_e64 v90, v90, v101, s7
	v_cndmask_b32_e64 v93, v93, v97, s26
	;; [unrolled: 1-line block ×12, first 2 shown]
	v_perm_b32 v86, v92, v91, 0x5040100
	v_perm_b32 v93, v94, v93, 0x5040100
	;; [unrolled: 1-line block ×5, first 2 shown]
	s_lshl_b32 s7, s33, 2
	s_mov_b32 s3, exec_lo
	ds_store_b128 v78, v[86:89]
	ds_store_b128 v78, v[90:93] offset:1024
	v_cmpx_gt_u32_e32 4, v0
	s_cbranch_execz .LBB133_16
; %bb.15:
	v_or_b32_e32 v86, s31, v0
	s_load_b128 s[8:11], s[0:1], 0x58
	s_delay_alu instid0(VALU_DEP_1) | instskip(NEXT) | instid1(VALU_DEP_1)
	v_mad_u64_u32 v[87:88], null, s7, s34, v[86:87]
	v_mad_u64_u32 v[88:89], null, v87, s35, s[14:15]
	s_delay_alu instid0(VALU_DEP_1) | instskip(NEXT) | instid1(VALU_DEP_1)
	v_ashrrev_i32_e32 v89, 31, v88
	v_lshlrev_b64 v[86:87], 2, v[88:89]
	s_waitcnt lgkmcnt(0)
	s_delay_alu instid0(VALU_DEP_1) | instskip(NEXT) | instid1(VALU_DEP_2)
	v_add_co_u32 v88, vcc_lo, s10, v86
	v_add_co_ci_u32_e32 v89, vcc_lo, s11, v87, vcc_lo
	v_add_co_u32 v86, vcc_lo, s8, v86
	v_add_co_ci_u32_e32 v87, vcc_lo, s9, v87, vcc_lo
	global_store_b32 v[88:89], v84, off
	global_store_b32 v[86:87], v85, off
.LBB133_16:
	s_or_b32 exec_lo, exec_lo, s3
	s_waitcnt lgkmcnt(0)
	s_waitcnt_vscnt null, 0x0
	s_barrier
	buffer_gl0_inv
	ds_load_b128 v[92:95], v77
	ds_load_b128 v[96:99], v77 offset:16
	ds_load_b128 v[104:107], v77 offset:1040
	;; [unrolled: 1-line block ×5, first 2 shown]
	v_cmp_eq_u32_e32 vcc_lo, 1, v83
	v_mov_b32_e32 v84, 0
	ds_load_b128 v[120:123], v77 offset:3088
	ds_load_b128 v[116:119], v77 offset:3072
	;; [unrolled: 1-line block ×4, first 2 shown]
	v_cmp_eq_u32_e64 s3, 1, v79
	v_cmp_eq_u32_e64 s4, 1, v82
	;; [unrolled: 1-line block ×3, first 2 shown]
	v_mov_b32_e32 v85, v84
	v_mov_b32_e32 v86, v84
	;; [unrolled: 1-line block ×7, first 2 shown]
	v_cmp_eq_u32_e64 s6, 2, v79
	s_waitcnt lgkmcnt(8)
	s_delay_alu instid0(VALU_DEP_2)
	v_wmma_f32_16x16x16_f16 v[84:91], v[65:72], v[92:99], v[84:91]
	ds_load_b128 v[69:72], v77 offset:5136
	ds_load_b128 v[65:68], v77 offset:5120
	;; [unrolled: 1-line block ×4, first 2 shown]
	s_waitcnt lgkmcnt(10)
	v_wmma_f32_16x16x16_f16 v[84:91], v[57:64], v[100:107], v[84:91]
	s_waitcnt lgkmcnt(8)
	s_delay_alu instid0(VALU_DEP_1)
	v_wmma_f32_16x16x16_f16 v[84:91], v[57:64], v[108:115], v[84:91]
	ds_load_b128 v[61:64], v77 offset:7184
	ds_load_b128 v[57:60], v77 offset:7168
	;; [unrolled: 1-line block ×4, first 2 shown]
	s_waitcnt lgkmcnt(10)
	v_wmma_f32_16x16x16_f16 v[84:91], v[49:56], v[116:123], v[84:91]
	s_waitcnt lgkmcnt(8)
	s_delay_alu instid0(VALU_DEP_1)
	v_wmma_f32_16x16x16_f16 v[84:91], v[49:56], v[124:131], v[84:91]
	ds_load_b128 v[53:56], v77 offset:9232
	ds_load_b128 v[49:52], v77 offset:9216
	s_waitcnt lgkmcnt(8)
	v_wmma_f32_16x16x16_f16 v[84:91], v[41:48], v[65:72], v[84:91]
	ds_load_b128 v[69:72], v77 offset:10256
	ds_load_b128 v[65:68], v77 offset:10240
	s_waitcnt lgkmcnt(8)
	;; [unrolled: 4-line block ×7, first 2 shown]
	s_barrier
	buffer_gl0_inv
	v_wmma_f32_16x16x16_f16 v[84:91], v[33:40], v[41:48], v[84:91]
	s_delay_alu instid0(VALU_DEP_1) | instskip(NEXT) | instid1(VALU_DEP_1)
	v_wmma_f32_16x16x16_f16 v[84:91], v[33:40], v[57:64], v[84:91]
	v_wmma_f32_16x16x16_f16 v[84:91], v[25:32], v[9:16], v[84:91]
	s_delay_alu instid0(VALU_DEP_1) | instskip(NEXT) | instid1(VALU_DEP_1)
	v_wmma_f32_16x16x16_f16 v[84:91], v[25:32], v[49:56], v[84:91]
	v_wmma_f32_16x16x16_f16 v[84:91], v[17:24], v[1:8], v[84:91]
	s_delay_alu instid0(VALU_DEP_1) | instskip(NEXT) | instid1(VALU_DEP_2)
	v_cvt_f16_f32_e32 v1, v84
	v_cvt_f16_f32_e32 v2, v85
	s_delay_alu instid0(VALU_DEP_3) | instskip(NEXT) | instid1(VALU_DEP_4)
	v_cvt_f16_f32_e32 v3, v86
	v_cvt_f16_f32_e32 v4, v87
	;; [unrolled: 1-line block ×6, first 2 shown]
	v_pack_b32_f16 v1, v1, v2
	v_pack_b32_f16 v2, v3, v4
	;; [unrolled: 1-line block ×3, first 2 shown]
	s_delay_alu instid0(VALU_DEP_4)
	v_pack_b32_f16 v4, v7, v8
	ds_store_b128 v78, v[1:4]
	s_waitcnt lgkmcnt(0)
	s_barrier
	buffer_gl0_inv
	ds_load_b128 v[1:4], v80
	ds_load_b128 v[5:8], v80 offset:16
	s_waitcnt lgkmcnt(1)
	v_lshrrev_b32_e32 v9, 16, v1
	s_waitcnt lgkmcnt(0)
	v_lshrrev_b32_e32 v13, 16, v5
	v_lshrrev_b32_e32 v10, 16, v2
	;; [unrolled: 1-line block ×4, first 2 shown]
	v_cndmask_b32_e64 v17, v1, v9, s3
	v_cndmask_b32_e64 v18, v5, v13, s3
	;; [unrolled: 1-line block ×3, first 2 shown]
	v_cmp_eq_u32_e64 s3, 2, v81
	v_cndmask_b32_e64 v20, v5, v13, s5
	v_cndmask_b32_e32 v21, v1, v9, vcc_lo
	v_cndmask_b32_e32 v22, v5, v13, vcc_lo
	v_cndmask_b32_e64 v1, v1, v9, s4
	v_cndmask_b32_e64 v5, v5, v13, s4
	v_cmp_eq_u32_e32 vcc_lo, 2, v83
	v_cmp_eq_u32_e64 s4, 2, v82
	v_cndmask_b32_e64 v9, v17, v2, s6
	v_cndmask_b32_e64 v13, v18, v6, s6
	;; [unrolled: 1-line block ×4, first 2 shown]
	v_cndmask_b32_e32 v19, v21, v2, vcc_lo
	v_cmp_eq_u32_e64 s3, 3, v83
	v_cndmask_b32_e32 v20, v22, v6, vcc_lo
	v_cndmask_b32_e64 v1, v1, v2, s4
	v_cmp_eq_u32_e32 vcc_lo, 3, v82
	v_cmp_eq_u32_e64 s5, 3, v79
	v_cndmask_b32_e64 v2, v5, v6, s4
	v_cmp_eq_u32_e64 s4, 3, v81
	v_cmp_eq_u32_e64 s6, 4, v79
	v_cndmask_b32_e32 v1, v1, v10, vcc_lo
	v_cndmask_b32_e64 v5, v9, v10, s5
	v_cndmask_b32_e64 v6, v13, v14, s5
	;; [unrolled: 1-line block ×3, first 2 shown]
	v_cmp_eq_u32_e64 s5, 4, v81
	v_cndmask_b32_e64 v13, v18, v14, s4
	v_cndmask_b32_e64 v17, v19, v10, s3
	;; [unrolled: 1-line block ×3, first 2 shown]
	v_cndmask_b32_e32 v2, v2, v14, vcc_lo
	v_cmp_eq_u32_e32 vcc_lo, 4, v83
	v_cmp_eq_u32_e64 s4, 4, v82
	v_lshrrev_b32_e32 v15, 16, v7
	v_cndmask_b32_e64 v5, v5, v3, s6
	v_cndmask_b32_e64 v6, v6, v7, s6
	v_cndmask_b32_e32 v14, v18, v7, vcc_lo
	v_cndmask_b32_e64 v9, v9, v3, s5
	v_cndmask_b32_e64 v10, v13, v7, s5
	v_cndmask_b32_e32 v13, v17, v3, vcc_lo
	v_cmp_eq_u32_e64 s3, 5, v83
	v_cndmask_b32_e64 v1, v1, v3, s4
	v_cmp_eq_u32_e32 vcc_lo, 5, v82
	v_cmp_eq_u32_e64 s5, 5, v79
	v_cndmask_b32_e64 v2, v2, v7, s4
	v_cmp_eq_u32_e64 s4, 5, v81
	v_cmp_eq_u32_e64 s6, 6, v79
	v_lshrrev_b32_e32 v12, 16, v4
	v_cndmask_b32_e64 v3, v5, v11, s5
	v_cndmask_b32_e64 v5, v6, v15, s5
	;; [unrolled: 1-line block ×3, first 2 shown]
	v_cmp_eq_u32_e64 s5, 6, v81
	v_cndmask_b32_e64 v7, v10, v15, s4
	v_cndmask_b32_e64 v9, v13, v11, s3
	;; [unrolled: 1-line block ×3, first 2 shown]
	v_cndmask_b32_e32 v1, v1, v11, vcc_lo
	v_cndmask_b32_e32 v2, v2, v15, vcc_lo
	v_cmp_eq_u32_e32 vcc_lo, 6, v83
	v_cmp_eq_u32_e64 s3, 6, v82
	v_lshrrev_b32_e32 v16, 16, v8
	v_cndmask_b32_e64 v3, v3, v4, s6
	v_cndmask_b32_e64 v5, v5, v8, s6
	v_cndmask_b32_e32 v9, v9, v4, vcc_lo
	v_cndmask_b32_e64 v6, v6, v4, s5
	v_cndmask_b32_e64 v7, v7, v8, s5
	v_cmp_eq_u32_e64 s4, 7, v83
	v_cndmask_b32_e32 v10, v10, v8, vcc_lo
	v_cndmask_b32_e64 v1, v1, v4, s3
	v_cmp_eq_u32_e32 vcc_lo, 7, v82
	v_cndmask_b32_e64 v2, v2, v8, s3
	v_cmp_eq_u32_e64 s3, 7, v79
	v_cmp_eq_u32_e64 s5, 7, v81
	v_cndmask_b32_e32 v1, v1, v12, vcc_lo
	s_delay_alu instid0(VALU_DEP_4) | instskip(NEXT) | instid1(VALU_DEP_4)
	v_cndmask_b32_e32 v2, v2, v16, vcc_lo
	v_cndmask_b32_e64 v8, v3, v12, s3
	s_delay_alu instid0(VALU_DEP_4)
	v_cndmask_b32_e64 v6, v6, v12, s5
	v_cndmask_b32_e64 v3, v9, v12, s4
	;; [unrolled: 1-line block ×5, first 2 shown]
	v_cmp_gt_u32_e32 vcc_lo, 32, v0
	v_perm_b32 v4, v2, v1, 0x5040100
	v_perm_b32 v3, v9, v3, 0x5040100
	;; [unrolled: 1-line block ×4, first 2 shown]
	s_and_b32 s2, vcc_lo, s2
	ds_store_b128 v78, v[1:4]
	s_waitcnt lgkmcnt(0)
	s_barrier
	buffer_gl0_inv
	s_and_saveexec_b32 s3, s2
	s_cbranch_execz .LBB133_2
; %bb.17:
	s_load_b64 s[0:1], s[0:1], 0x68
	v_lshlrev_b32_e32 v0, 10, v0
	v_or_b32_e32 v1, s31, v75
	s_lshl_b32 s4, s35, 6
	v_lshlrev_b32_e32 v2, 4, v76
	s_mul_i32 s2, s4, s34
	v_lshlrev_b32_e32 v3, 6, v75
	v_mul_lo_u32 v8, v1, s4
	v_and_b32_e32 v0, 0x3800, v0
	v_or_b32_e32 v1, 2, v1
	s_mul_i32 s2, s2, s7
	s_delay_alu instid0(SALU_CYCLE_1) | instskip(NEXT) | instid1(VALU_DEP_2)
	s_ashr_i32 s3, s2, 31
	v_or3_b32 v4, v0, v2, v3
	s_lshl_b64 s[2:3], s[2:3], 1
	v_mul_lo_u32 v10, v1, s4
	v_ashrrev_i32_e32 v9, 31, v8
	ds_load_b128 v[0:3], v4
	ds_load_b128 v[4:7], v4 offset:128
	s_waitcnt lgkmcnt(0)
	s_add_u32 s2, s0, s2
	s_addc_u32 s3, s1, s3
	s_lshl_b32 s0, s14, 6
	v_ashrrev_i32_e32 v11, 31, v10
	s_ashr_i32 s1, s0, 31
	v_lshlrev_b64 v[8:9], 1, v[8:9]
	s_lshl_b64 s[0:1], s[0:1], 1
	s_delay_alu instid0(SALU_CYCLE_1) | instskip(SKIP_4) | instid1(VALU_DEP_3)
	s_add_u32 s0, s2, s0
	s_addc_u32 s1, s3, s1
	v_add_co_u32 v12, vcc_lo, s0, v73
	v_add_co_ci_u32_e32 v13, vcc_lo, s1, v74, vcc_lo
	v_lshlrev_b64 v[10:11], 1, v[10:11]
	v_add_co_u32 v8, vcc_lo, v12, v8
	s_delay_alu instid0(VALU_DEP_3) | instskip(NEXT) | instid1(VALU_DEP_3)
	v_add_co_ci_u32_e32 v9, vcc_lo, v13, v9, vcc_lo
	v_add_co_u32 v10, vcc_lo, v12, v10
	s_delay_alu instid0(VALU_DEP_4)
	v_add_co_ci_u32_e32 v11, vcc_lo, v13, v11, vcc_lo
	s_clause 0x1
	global_store_b128 v[8:9], v[0:3], off
	global_store_b128 v[10:11], v[4:7], off
	s_nop 0
	s_sendmsg sendmsg(MSG_DEALLOC_VGPRS)
	s_endpgm
	.section	.rodata,"a",@progbits
	.p2align	6, 0x0
	.amdhsa_kernel _Z39paged_attention_ll4mi_QKV_mfma16_kernelIDF16_DF16_LN4vllm18Fp8KVCacheDataTypeE0EhLi32ELi64ELi256ELb1ELi4EL8MFMAType0EEvPKT_PKT0_S8_ifPKiSA_SA_iPKfiiiPfSD_PS3_PT2_iSC_SC_
		.amdhsa_group_segment_fixed_size 17472
		.amdhsa_private_segment_fixed_size 0
		.amdhsa_kernarg_size 400
		.amdhsa_user_sgpr_count 13
		.amdhsa_user_sgpr_dispatch_ptr 0
		.amdhsa_user_sgpr_queue_ptr 0
		.amdhsa_user_sgpr_kernarg_segment_ptr 1
		.amdhsa_user_sgpr_dispatch_id 0
		.amdhsa_user_sgpr_private_segment_size 0
		.amdhsa_wavefront_size32 1
		.amdhsa_uses_dynamic_stack 0
		.amdhsa_enable_private_segment 0
		.amdhsa_system_sgpr_workgroup_id_x 1
		.amdhsa_system_sgpr_workgroup_id_y 1
		.amdhsa_system_sgpr_workgroup_id_z 1
		.amdhsa_system_sgpr_workgroup_info 0
		.amdhsa_system_vgpr_workitem_id 0
		.amdhsa_next_free_vgpr 154
		.amdhsa_next_free_sgpr 39
		.amdhsa_reserve_vcc 1
		.amdhsa_float_round_mode_32 0
		.amdhsa_float_round_mode_16_64 0
		.amdhsa_float_denorm_mode_32 3
		.amdhsa_float_denorm_mode_16_64 3
		.amdhsa_dx10_clamp 1
		.amdhsa_ieee_mode 1
		.amdhsa_fp16_overflow 0
		.amdhsa_workgroup_processor_mode 1
		.amdhsa_memory_ordered 1
		.amdhsa_forward_progress 0
		.amdhsa_shared_vgpr_count 0
		.amdhsa_exception_fp_ieee_invalid_op 0
		.amdhsa_exception_fp_denorm_src 0
		.amdhsa_exception_fp_ieee_div_zero 0
		.amdhsa_exception_fp_ieee_overflow 0
		.amdhsa_exception_fp_ieee_underflow 0
		.amdhsa_exception_fp_ieee_inexact 0
		.amdhsa_exception_int_div_zero 0
	.end_amdhsa_kernel
	.section	.text._Z39paged_attention_ll4mi_QKV_mfma16_kernelIDF16_DF16_LN4vllm18Fp8KVCacheDataTypeE0EhLi32ELi64ELi256ELb1ELi4EL8MFMAType0EEvPKT_PKT0_S8_ifPKiSA_SA_iPKfiiiPfSD_PS3_PT2_iSC_SC_,"axG",@progbits,_Z39paged_attention_ll4mi_QKV_mfma16_kernelIDF16_DF16_LN4vllm18Fp8KVCacheDataTypeE0EhLi32ELi64ELi256ELb1ELi4EL8MFMAType0EEvPKT_PKT0_S8_ifPKiSA_SA_iPKfiiiPfSD_PS3_PT2_iSC_SC_,comdat
.Lfunc_end133:
	.size	_Z39paged_attention_ll4mi_QKV_mfma16_kernelIDF16_DF16_LN4vllm18Fp8KVCacheDataTypeE0EhLi32ELi64ELi256ELb1ELi4EL8MFMAType0EEvPKT_PKT0_S8_ifPKiSA_SA_iPKfiiiPfSD_PS3_PT2_iSC_SC_, .Lfunc_end133-_Z39paged_attention_ll4mi_QKV_mfma16_kernelIDF16_DF16_LN4vllm18Fp8KVCacheDataTypeE0EhLi32ELi64ELi256ELb1ELi4EL8MFMAType0EEvPKT_PKT0_S8_ifPKiSA_SA_iPKfiiiPfSD_PS3_PT2_iSC_SC_
                                        ; -- End function
	.section	.AMDGPU.csdata,"",@progbits
; Kernel info:
; codeLenInByte = 7084
; NumSgprs: 41
; NumVgprs: 154
; ScratchSize: 0
; MemoryBound: 0
; FloatMode: 240
; IeeeMode: 1
; LDSByteSize: 17472 bytes/workgroup (compile time only)
; SGPRBlocks: 5
; VGPRBlocks: 19
; NumSGPRsForWavesPerEU: 41
; NumVGPRsForWavesPerEU: 154
; Occupancy: 9
; WaveLimiterHint : 1
; COMPUTE_PGM_RSRC2:SCRATCH_EN: 0
; COMPUTE_PGM_RSRC2:USER_SGPR: 13
; COMPUTE_PGM_RSRC2:TRAP_HANDLER: 0
; COMPUTE_PGM_RSRC2:TGID_X_EN: 1
; COMPUTE_PGM_RSRC2:TGID_Y_EN: 1
; COMPUTE_PGM_RSRC2:TGID_Z_EN: 1
; COMPUTE_PGM_RSRC2:TIDIG_COMP_CNT: 0
	.section	.text._Z38paged_attention_ll4mi_QKV_mfma4_kernelIDF16_DF16_LN4vllm18Fp8KVCacheDataTypeE0EhLi32ELi64ELi256ELb0ELi1EEvPKT_PKT0_S7_ifPKiS9_S9_iPKfiiiPfSC_PS2_PT2_iSB_SB_,"axG",@progbits,_Z38paged_attention_ll4mi_QKV_mfma4_kernelIDF16_DF16_LN4vllm18Fp8KVCacheDataTypeE0EhLi32ELi64ELi256ELb0ELi1EEvPKT_PKT0_S7_ifPKiS9_S9_iPKfiiiPfSC_PS2_PT2_iSB_SB_,comdat
	.protected	_Z38paged_attention_ll4mi_QKV_mfma4_kernelIDF16_DF16_LN4vllm18Fp8KVCacheDataTypeE0EhLi32ELi64ELi256ELb0ELi1EEvPKT_PKT0_S7_ifPKiS9_S9_iPKfiiiPfSC_PS2_PT2_iSB_SB_ ; -- Begin function _Z38paged_attention_ll4mi_QKV_mfma4_kernelIDF16_DF16_LN4vllm18Fp8KVCacheDataTypeE0EhLi32ELi64ELi256ELb0ELi1EEvPKT_PKT0_S7_ifPKiS9_S9_iPKfiiiPfSC_PS2_PT2_iSB_SB_
	.globl	_Z38paged_attention_ll4mi_QKV_mfma4_kernelIDF16_DF16_LN4vllm18Fp8KVCacheDataTypeE0EhLi32ELi64ELi256ELb0ELi1EEvPKT_PKT0_S7_ifPKiS9_S9_iPKfiiiPfSC_PS2_PT2_iSB_SB_
	.p2align	8
	.type	_Z38paged_attention_ll4mi_QKV_mfma4_kernelIDF16_DF16_LN4vllm18Fp8KVCacheDataTypeE0EhLi32ELi64ELi256ELb0ELi1EEvPKT_PKT0_S7_ifPKiS9_S9_iPKfiiiPfSC_PS2_PT2_iSB_SB_,@function
_Z38paged_attention_ll4mi_QKV_mfma4_kernelIDF16_DF16_LN4vllm18Fp8KVCacheDataTypeE0EhLi32ELi64ELi256ELb0ELi1EEvPKT_PKT0_S7_ifPKiS9_S9_iPKfiiiPfSC_PS2_PT2_iSB_SB_: ; @_Z38paged_attention_ll4mi_QKV_mfma4_kernelIDF16_DF16_LN4vllm18Fp8KVCacheDataTypeE0EhLi32ELi64ELi256ELb0ELi1EEvPKT_PKT0_S7_ifPKiS9_S9_iPKfiiiPfSC_PS2_PT2_iSB_SB_
; %bb.0:
	s_add_u32 s8, s0, 0x90
	s_addc_u32 s9, s1, 0
	s_getpc_b64 s[0:1]
	s_add_u32 s0, s0, __PRETTY_FUNCTION__._Z38paged_attention_ll4mi_QKV_mfma4_kernelIDF16_DF16_LN4vllm18Fp8KVCacheDataTypeE0EhLi32ELi64ELi256ELb0ELi1EEvPKT_PKT0_S7_ifPKiS9_S9_iPKfiiiPfSC_PS2_PT2_iSB_SB_@rel32@lo+4
	s_addc_u32 s1, s1, __PRETTY_FUNCTION__._Z38paged_attention_ll4mi_QKV_mfma4_kernelIDF16_DF16_LN4vllm18Fp8KVCacheDataTypeE0EhLi32ELi64ELi256ELb0ELi1EEvPKT_PKT0_S7_ifPKiS9_S9_iPKfiiiPfSC_PS2_PT2_iSB_SB_@rel32@hi+12
	s_delay_alu instid0(SALU_CYCLE_1) | instskip(SKIP_4) | instid1(SALU_CYCLE_1)
	v_dual_mov_b32 v0, s0 :: v_dual_mov_b32 v1, s1
	s_mov_b32 s32, 0
	s_getpc_b64 s[2:3]
	s_add_u32 s2, s2, __assert_fail@rel32@lo+4
	s_addc_u32 s3, s3, __assert_fail@rel32@hi+12
	s_swappc_b64 s[30:31], s[2:3]
	.section	.rodata,"a",@progbits
	.p2align	6, 0x0
	.amdhsa_kernel _Z38paged_attention_ll4mi_QKV_mfma4_kernelIDF16_DF16_LN4vllm18Fp8KVCacheDataTypeE0EhLi32ELi64ELi256ELb0ELi1EEvPKT_PKT0_S7_ifPKiS9_S9_iPKfiiiPfSC_PS2_PT2_iSB_SB_
		.amdhsa_group_segment_fixed_size 0
		.amdhsa_private_segment_fixed_size 64
		.amdhsa_kernarg_size 400
		.amdhsa_user_sgpr_count 15
		.amdhsa_user_sgpr_dispatch_ptr 0
		.amdhsa_user_sgpr_queue_ptr 0
		.amdhsa_user_sgpr_kernarg_segment_ptr 1
		.amdhsa_user_sgpr_dispatch_id 0
		.amdhsa_user_sgpr_private_segment_size 0
		.amdhsa_wavefront_size32 1
		.amdhsa_uses_dynamic_stack 0
		.amdhsa_enable_private_segment 1
		.amdhsa_system_sgpr_workgroup_id_x 1
		.amdhsa_system_sgpr_workgroup_id_y 0
		.amdhsa_system_sgpr_workgroup_id_z 0
		.amdhsa_system_sgpr_workgroup_info 0
		.amdhsa_system_vgpr_workitem_id 0
		.amdhsa_next_free_vgpr 41
		.amdhsa_next_free_sgpr 34
		.amdhsa_reserve_vcc 1
		.amdhsa_float_round_mode_32 0
		.amdhsa_float_round_mode_16_64 0
		.amdhsa_float_denorm_mode_32 3
		.amdhsa_float_denorm_mode_16_64 3
		.amdhsa_dx10_clamp 1
		.amdhsa_ieee_mode 1
		.amdhsa_fp16_overflow 0
		.amdhsa_workgroup_processor_mode 1
		.amdhsa_memory_ordered 1
		.amdhsa_forward_progress 0
		.amdhsa_shared_vgpr_count 0
		.amdhsa_exception_fp_ieee_invalid_op 0
		.amdhsa_exception_fp_denorm_src 0
		.amdhsa_exception_fp_ieee_div_zero 0
		.amdhsa_exception_fp_ieee_overflow 0
		.amdhsa_exception_fp_ieee_underflow 0
		.amdhsa_exception_fp_ieee_inexact 0
		.amdhsa_exception_int_div_zero 0
	.end_amdhsa_kernel
	.section	.text._Z38paged_attention_ll4mi_QKV_mfma4_kernelIDF16_DF16_LN4vllm18Fp8KVCacheDataTypeE0EhLi32ELi64ELi256ELb0ELi1EEvPKT_PKT0_S7_ifPKiS9_S9_iPKfiiiPfSC_PS2_PT2_iSB_SB_,"axG",@progbits,_Z38paged_attention_ll4mi_QKV_mfma4_kernelIDF16_DF16_LN4vllm18Fp8KVCacheDataTypeE0EhLi32ELi64ELi256ELb0ELi1EEvPKT_PKT0_S7_ifPKiS9_S9_iPKfiiiPfSC_PS2_PT2_iSB_SB_,comdat
.Lfunc_end134:
	.size	_Z38paged_attention_ll4mi_QKV_mfma4_kernelIDF16_DF16_LN4vllm18Fp8KVCacheDataTypeE0EhLi32ELi64ELi256ELb0ELi1EEvPKT_PKT0_S7_ifPKiS9_S9_iPKfiiiPfSC_PS2_PT2_iSB_SB_, .Lfunc_end134-_Z38paged_attention_ll4mi_QKV_mfma4_kernelIDF16_DF16_LN4vllm18Fp8KVCacheDataTypeE0EhLi32ELi64ELi256ELb0ELi1EEvPKT_PKT0_S7_ifPKiS9_S9_iPKfiiiPfSC_PS2_PT2_iSB_SB_
                                        ; -- End function
	.section	.AMDGPU.csdata,"",@progbits
; Kernel info:
; codeLenInByte = 72
; NumSgprs: 36
; NumVgprs: 41
; ScratchSize: 64
; MemoryBound: 0
; FloatMode: 240
; IeeeMode: 1
; LDSByteSize: 0 bytes/workgroup (compile time only)
; SGPRBlocks: 4
; VGPRBlocks: 5
; NumSGPRsForWavesPerEU: 36
; NumVGPRsForWavesPerEU: 41
; Occupancy: 16
; WaveLimiterHint : 1
; COMPUTE_PGM_RSRC2:SCRATCH_EN: 1
; COMPUTE_PGM_RSRC2:USER_SGPR: 15
; COMPUTE_PGM_RSRC2:TRAP_HANDLER: 0
; COMPUTE_PGM_RSRC2:TGID_X_EN: 1
; COMPUTE_PGM_RSRC2:TGID_Y_EN: 0
; COMPUTE_PGM_RSRC2:TGID_Z_EN: 0
; COMPUTE_PGM_RSRC2:TIDIG_COMP_CNT: 0
	.section	.text._Z38paged_attention_ll4mi_QKV_mfma4_kernelIDF16_DF16_LN4vllm18Fp8KVCacheDataTypeE0EhLi32ELi64ELi256ELb0ELi2EEvPKT_PKT0_S7_ifPKiS9_S9_iPKfiiiPfSC_PS2_PT2_iSB_SB_,"axG",@progbits,_Z38paged_attention_ll4mi_QKV_mfma4_kernelIDF16_DF16_LN4vllm18Fp8KVCacheDataTypeE0EhLi32ELi64ELi256ELb0ELi2EEvPKT_PKT0_S7_ifPKiS9_S9_iPKfiiiPfSC_PS2_PT2_iSB_SB_,comdat
	.protected	_Z38paged_attention_ll4mi_QKV_mfma4_kernelIDF16_DF16_LN4vllm18Fp8KVCacheDataTypeE0EhLi32ELi64ELi256ELb0ELi2EEvPKT_PKT0_S7_ifPKiS9_S9_iPKfiiiPfSC_PS2_PT2_iSB_SB_ ; -- Begin function _Z38paged_attention_ll4mi_QKV_mfma4_kernelIDF16_DF16_LN4vllm18Fp8KVCacheDataTypeE0EhLi32ELi64ELi256ELb0ELi2EEvPKT_PKT0_S7_ifPKiS9_S9_iPKfiiiPfSC_PS2_PT2_iSB_SB_
	.globl	_Z38paged_attention_ll4mi_QKV_mfma4_kernelIDF16_DF16_LN4vllm18Fp8KVCacheDataTypeE0EhLi32ELi64ELi256ELb0ELi2EEvPKT_PKT0_S7_ifPKiS9_S9_iPKfiiiPfSC_PS2_PT2_iSB_SB_
	.p2align	8
	.type	_Z38paged_attention_ll4mi_QKV_mfma4_kernelIDF16_DF16_LN4vllm18Fp8KVCacheDataTypeE0EhLi32ELi64ELi256ELb0ELi2EEvPKT_PKT0_S7_ifPKiS9_S9_iPKfiiiPfSC_PS2_PT2_iSB_SB_,@function
_Z38paged_attention_ll4mi_QKV_mfma4_kernelIDF16_DF16_LN4vllm18Fp8KVCacheDataTypeE0EhLi32ELi64ELi256ELb0ELi2EEvPKT_PKT0_S7_ifPKiS9_S9_iPKfiiiPfSC_PS2_PT2_iSB_SB_: ; @_Z38paged_attention_ll4mi_QKV_mfma4_kernelIDF16_DF16_LN4vllm18Fp8KVCacheDataTypeE0EhLi32ELi64ELi256ELb0ELi2EEvPKT_PKT0_S7_ifPKiS9_S9_iPKfiiiPfSC_PS2_PT2_iSB_SB_
; %bb.0:
	s_add_u32 s8, s0, 0x90
	s_addc_u32 s9, s1, 0
	s_getpc_b64 s[0:1]
	s_add_u32 s0, s0, __PRETTY_FUNCTION__._Z38paged_attention_ll4mi_QKV_mfma4_kernelIDF16_DF16_LN4vllm18Fp8KVCacheDataTypeE0EhLi32ELi64ELi256ELb0ELi2EEvPKT_PKT0_S7_ifPKiS9_S9_iPKfiiiPfSC_PS2_PT2_iSB_SB_@rel32@lo+4
	s_addc_u32 s1, s1, __PRETTY_FUNCTION__._Z38paged_attention_ll4mi_QKV_mfma4_kernelIDF16_DF16_LN4vllm18Fp8KVCacheDataTypeE0EhLi32ELi64ELi256ELb0ELi2EEvPKT_PKT0_S7_ifPKiS9_S9_iPKfiiiPfSC_PS2_PT2_iSB_SB_@rel32@hi+12
	s_delay_alu instid0(SALU_CYCLE_1) | instskip(SKIP_4) | instid1(SALU_CYCLE_1)
	v_dual_mov_b32 v0, s0 :: v_dual_mov_b32 v1, s1
	s_mov_b32 s32, 0
	s_getpc_b64 s[2:3]
	s_add_u32 s2, s2, __assert_fail@rel32@lo+4
	s_addc_u32 s3, s3, __assert_fail@rel32@hi+12
	s_swappc_b64 s[30:31], s[2:3]
	.section	.rodata,"a",@progbits
	.p2align	6, 0x0
	.amdhsa_kernel _Z38paged_attention_ll4mi_QKV_mfma4_kernelIDF16_DF16_LN4vllm18Fp8KVCacheDataTypeE0EhLi32ELi64ELi256ELb0ELi2EEvPKT_PKT0_S7_ifPKiS9_S9_iPKfiiiPfSC_PS2_PT2_iSB_SB_
		.amdhsa_group_segment_fixed_size 0
		.amdhsa_private_segment_fixed_size 64
		.amdhsa_kernarg_size 400
		.amdhsa_user_sgpr_count 15
		.amdhsa_user_sgpr_dispatch_ptr 0
		.amdhsa_user_sgpr_queue_ptr 0
		.amdhsa_user_sgpr_kernarg_segment_ptr 1
		.amdhsa_user_sgpr_dispatch_id 0
		.amdhsa_user_sgpr_private_segment_size 0
		.amdhsa_wavefront_size32 1
		.amdhsa_uses_dynamic_stack 0
		.amdhsa_enable_private_segment 1
		.amdhsa_system_sgpr_workgroup_id_x 1
		.amdhsa_system_sgpr_workgroup_id_y 0
		.amdhsa_system_sgpr_workgroup_id_z 0
		.amdhsa_system_sgpr_workgroup_info 0
		.amdhsa_system_vgpr_workitem_id 0
		.amdhsa_next_free_vgpr 41
		.amdhsa_next_free_sgpr 34
		.amdhsa_reserve_vcc 1
		.amdhsa_float_round_mode_32 0
		.amdhsa_float_round_mode_16_64 0
		.amdhsa_float_denorm_mode_32 3
		.amdhsa_float_denorm_mode_16_64 3
		.amdhsa_dx10_clamp 1
		.amdhsa_ieee_mode 1
		.amdhsa_fp16_overflow 0
		.amdhsa_workgroup_processor_mode 1
		.amdhsa_memory_ordered 1
		.amdhsa_forward_progress 0
		.amdhsa_shared_vgpr_count 0
		.amdhsa_exception_fp_ieee_invalid_op 0
		.amdhsa_exception_fp_denorm_src 0
		.amdhsa_exception_fp_ieee_div_zero 0
		.amdhsa_exception_fp_ieee_overflow 0
		.amdhsa_exception_fp_ieee_underflow 0
		.amdhsa_exception_fp_ieee_inexact 0
		.amdhsa_exception_int_div_zero 0
	.end_amdhsa_kernel
	.section	.text._Z38paged_attention_ll4mi_QKV_mfma4_kernelIDF16_DF16_LN4vllm18Fp8KVCacheDataTypeE0EhLi32ELi64ELi256ELb0ELi2EEvPKT_PKT0_S7_ifPKiS9_S9_iPKfiiiPfSC_PS2_PT2_iSB_SB_,"axG",@progbits,_Z38paged_attention_ll4mi_QKV_mfma4_kernelIDF16_DF16_LN4vllm18Fp8KVCacheDataTypeE0EhLi32ELi64ELi256ELb0ELi2EEvPKT_PKT0_S7_ifPKiS9_S9_iPKfiiiPfSC_PS2_PT2_iSB_SB_,comdat
.Lfunc_end135:
	.size	_Z38paged_attention_ll4mi_QKV_mfma4_kernelIDF16_DF16_LN4vllm18Fp8KVCacheDataTypeE0EhLi32ELi64ELi256ELb0ELi2EEvPKT_PKT0_S7_ifPKiS9_S9_iPKfiiiPfSC_PS2_PT2_iSB_SB_, .Lfunc_end135-_Z38paged_attention_ll4mi_QKV_mfma4_kernelIDF16_DF16_LN4vllm18Fp8KVCacheDataTypeE0EhLi32ELi64ELi256ELb0ELi2EEvPKT_PKT0_S7_ifPKiS9_S9_iPKfiiiPfSC_PS2_PT2_iSB_SB_
                                        ; -- End function
	.section	.AMDGPU.csdata,"",@progbits
; Kernel info:
; codeLenInByte = 72
; NumSgprs: 36
; NumVgprs: 41
; ScratchSize: 64
; MemoryBound: 0
; FloatMode: 240
; IeeeMode: 1
; LDSByteSize: 0 bytes/workgroup (compile time only)
; SGPRBlocks: 4
; VGPRBlocks: 5
; NumSGPRsForWavesPerEU: 36
; NumVGPRsForWavesPerEU: 41
; Occupancy: 16
; WaveLimiterHint : 1
; COMPUTE_PGM_RSRC2:SCRATCH_EN: 1
; COMPUTE_PGM_RSRC2:USER_SGPR: 15
; COMPUTE_PGM_RSRC2:TRAP_HANDLER: 0
; COMPUTE_PGM_RSRC2:TGID_X_EN: 1
; COMPUTE_PGM_RSRC2:TGID_Y_EN: 0
; COMPUTE_PGM_RSRC2:TGID_Z_EN: 0
; COMPUTE_PGM_RSRC2:TIDIG_COMP_CNT: 0
	.section	.text._Z38paged_attention_ll4mi_QKV_mfma4_kernelIDF16_DF16_LN4vllm18Fp8KVCacheDataTypeE0EhLi32ELi64ELi256ELb0ELi3EEvPKT_PKT0_S7_ifPKiS9_S9_iPKfiiiPfSC_PS2_PT2_iSB_SB_,"axG",@progbits,_Z38paged_attention_ll4mi_QKV_mfma4_kernelIDF16_DF16_LN4vllm18Fp8KVCacheDataTypeE0EhLi32ELi64ELi256ELb0ELi3EEvPKT_PKT0_S7_ifPKiS9_S9_iPKfiiiPfSC_PS2_PT2_iSB_SB_,comdat
	.protected	_Z38paged_attention_ll4mi_QKV_mfma4_kernelIDF16_DF16_LN4vllm18Fp8KVCacheDataTypeE0EhLi32ELi64ELi256ELb0ELi3EEvPKT_PKT0_S7_ifPKiS9_S9_iPKfiiiPfSC_PS2_PT2_iSB_SB_ ; -- Begin function _Z38paged_attention_ll4mi_QKV_mfma4_kernelIDF16_DF16_LN4vllm18Fp8KVCacheDataTypeE0EhLi32ELi64ELi256ELb0ELi3EEvPKT_PKT0_S7_ifPKiS9_S9_iPKfiiiPfSC_PS2_PT2_iSB_SB_
	.globl	_Z38paged_attention_ll4mi_QKV_mfma4_kernelIDF16_DF16_LN4vllm18Fp8KVCacheDataTypeE0EhLi32ELi64ELi256ELb0ELi3EEvPKT_PKT0_S7_ifPKiS9_S9_iPKfiiiPfSC_PS2_PT2_iSB_SB_
	.p2align	8
	.type	_Z38paged_attention_ll4mi_QKV_mfma4_kernelIDF16_DF16_LN4vllm18Fp8KVCacheDataTypeE0EhLi32ELi64ELi256ELb0ELi3EEvPKT_PKT0_S7_ifPKiS9_S9_iPKfiiiPfSC_PS2_PT2_iSB_SB_,@function
_Z38paged_attention_ll4mi_QKV_mfma4_kernelIDF16_DF16_LN4vllm18Fp8KVCacheDataTypeE0EhLi32ELi64ELi256ELb0ELi3EEvPKT_PKT0_S7_ifPKiS9_S9_iPKfiiiPfSC_PS2_PT2_iSB_SB_: ; @_Z38paged_attention_ll4mi_QKV_mfma4_kernelIDF16_DF16_LN4vllm18Fp8KVCacheDataTypeE0EhLi32ELi64ELi256ELb0ELi3EEvPKT_PKT0_S7_ifPKiS9_S9_iPKfiiiPfSC_PS2_PT2_iSB_SB_
; %bb.0:
	s_add_u32 s8, s0, 0x90
	s_addc_u32 s9, s1, 0
	s_getpc_b64 s[0:1]
	s_add_u32 s0, s0, __PRETTY_FUNCTION__._Z38paged_attention_ll4mi_QKV_mfma4_kernelIDF16_DF16_LN4vllm18Fp8KVCacheDataTypeE0EhLi32ELi64ELi256ELb0ELi3EEvPKT_PKT0_S7_ifPKiS9_S9_iPKfiiiPfSC_PS2_PT2_iSB_SB_@rel32@lo+4
	s_addc_u32 s1, s1, __PRETTY_FUNCTION__._Z38paged_attention_ll4mi_QKV_mfma4_kernelIDF16_DF16_LN4vllm18Fp8KVCacheDataTypeE0EhLi32ELi64ELi256ELb0ELi3EEvPKT_PKT0_S7_ifPKiS9_S9_iPKfiiiPfSC_PS2_PT2_iSB_SB_@rel32@hi+12
	s_delay_alu instid0(SALU_CYCLE_1) | instskip(SKIP_4) | instid1(SALU_CYCLE_1)
	v_dual_mov_b32 v0, s0 :: v_dual_mov_b32 v1, s1
	s_mov_b32 s32, 0
	s_getpc_b64 s[2:3]
	s_add_u32 s2, s2, __assert_fail@rel32@lo+4
	s_addc_u32 s3, s3, __assert_fail@rel32@hi+12
	s_swappc_b64 s[30:31], s[2:3]
	.section	.rodata,"a",@progbits
	.p2align	6, 0x0
	.amdhsa_kernel _Z38paged_attention_ll4mi_QKV_mfma4_kernelIDF16_DF16_LN4vllm18Fp8KVCacheDataTypeE0EhLi32ELi64ELi256ELb0ELi3EEvPKT_PKT0_S7_ifPKiS9_S9_iPKfiiiPfSC_PS2_PT2_iSB_SB_
		.amdhsa_group_segment_fixed_size 0
		.amdhsa_private_segment_fixed_size 64
		.amdhsa_kernarg_size 400
		.amdhsa_user_sgpr_count 15
		.amdhsa_user_sgpr_dispatch_ptr 0
		.amdhsa_user_sgpr_queue_ptr 0
		.amdhsa_user_sgpr_kernarg_segment_ptr 1
		.amdhsa_user_sgpr_dispatch_id 0
		.amdhsa_user_sgpr_private_segment_size 0
		.amdhsa_wavefront_size32 1
		.amdhsa_uses_dynamic_stack 0
		.amdhsa_enable_private_segment 1
		.amdhsa_system_sgpr_workgroup_id_x 1
		.amdhsa_system_sgpr_workgroup_id_y 0
		.amdhsa_system_sgpr_workgroup_id_z 0
		.amdhsa_system_sgpr_workgroup_info 0
		.amdhsa_system_vgpr_workitem_id 0
		.amdhsa_next_free_vgpr 41
		.amdhsa_next_free_sgpr 34
		.amdhsa_reserve_vcc 1
		.amdhsa_float_round_mode_32 0
		.amdhsa_float_round_mode_16_64 0
		.amdhsa_float_denorm_mode_32 3
		.amdhsa_float_denorm_mode_16_64 3
		.amdhsa_dx10_clamp 1
		.amdhsa_ieee_mode 1
		.amdhsa_fp16_overflow 0
		.amdhsa_workgroup_processor_mode 1
		.amdhsa_memory_ordered 1
		.amdhsa_forward_progress 0
		.amdhsa_shared_vgpr_count 0
		.amdhsa_exception_fp_ieee_invalid_op 0
		.amdhsa_exception_fp_denorm_src 0
		.amdhsa_exception_fp_ieee_div_zero 0
		.amdhsa_exception_fp_ieee_overflow 0
		.amdhsa_exception_fp_ieee_underflow 0
		.amdhsa_exception_fp_ieee_inexact 0
		.amdhsa_exception_int_div_zero 0
	.end_amdhsa_kernel
	.section	.text._Z38paged_attention_ll4mi_QKV_mfma4_kernelIDF16_DF16_LN4vllm18Fp8KVCacheDataTypeE0EhLi32ELi64ELi256ELb0ELi3EEvPKT_PKT0_S7_ifPKiS9_S9_iPKfiiiPfSC_PS2_PT2_iSB_SB_,"axG",@progbits,_Z38paged_attention_ll4mi_QKV_mfma4_kernelIDF16_DF16_LN4vllm18Fp8KVCacheDataTypeE0EhLi32ELi64ELi256ELb0ELi3EEvPKT_PKT0_S7_ifPKiS9_S9_iPKfiiiPfSC_PS2_PT2_iSB_SB_,comdat
.Lfunc_end136:
	.size	_Z38paged_attention_ll4mi_QKV_mfma4_kernelIDF16_DF16_LN4vllm18Fp8KVCacheDataTypeE0EhLi32ELi64ELi256ELb0ELi3EEvPKT_PKT0_S7_ifPKiS9_S9_iPKfiiiPfSC_PS2_PT2_iSB_SB_, .Lfunc_end136-_Z38paged_attention_ll4mi_QKV_mfma4_kernelIDF16_DF16_LN4vllm18Fp8KVCacheDataTypeE0EhLi32ELi64ELi256ELb0ELi3EEvPKT_PKT0_S7_ifPKiS9_S9_iPKfiiiPfSC_PS2_PT2_iSB_SB_
                                        ; -- End function
	.section	.AMDGPU.csdata,"",@progbits
; Kernel info:
; codeLenInByte = 72
; NumSgprs: 36
; NumVgprs: 41
; ScratchSize: 64
; MemoryBound: 0
; FloatMode: 240
; IeeeMode: 1
; LDSByteSize: 0 bytes/workgroup (compile time only)
; SGPRBlocks: 4
; VGPRBlocks: 5
; NumSGPRsForWavesPerEU: 36
; NumVGPRsForWavesPerEU: 41
; Occupancy: 16
; WaveLimiterHint : 1
; COMPUTE_PGM_RSRC2:SCRATCH_EN: 1
; COMPUTE_PGM_RSRC2:USER_SGPR: 15
; COMPUTE_PGM_RSRC2:TRAP_HANDLER: 0
; COMPUTE_PGM_RSRC2:TGID_X_EN: 1
; COMPUTE_PGM_RSRC2:TGID_Y_EN: 0
; COMPUTE_PGM_RSRC2:TGID_Z_EN: 0
; COMPUTE_PGM_RSRC2:TIDIG_COMP_CNT: 0
	.section	.text._Z38paged_attention_ll4mi_QKV_mfma4_kernelIDF16_DF16_LN4vllm18Fp8KVCacheDataTypeE0EhLi32ELi64ELi256ELb0ELi4EEvPKT_PKT0_S7_ifPKiS9_S9_iPKfiiiPfSC_PS2_PT2_iSB_SB_,"axG",@progbits,_Z38paged_attention_ll4mi_QKV_mfma4_kernelIDF16_DF16_LN4vllm18Fp8KVCacheDataTypeE0EhLi32ELi64ELi256ELb0ELi4EEvPKT_PKT0_S7_ifPKiS9_S9_iPKfiiiPfSC_PS2_PT2_iSB_SB_,comdat
	.protected	_Z38paged_attention_ll4mi_QKV_mfma4_kernelIDF16_DF16_LN4vllm18Fp8KVCacheDataTypeE0EhLi32ELi64ELi256ELb0ELi4EEvPKT_PKT0_S7_ifPKiS9_S9_iPKfiiiPfSC_PS2_PT2_iSB_SB_ ; -- Begin function _Z38paged_attention_ll4mi_QKV_mfma4_kernelIDF16_DF16_LN4vllm18Fp8KVCacheDataTypeE0EhLi32ELi64ELi256ELb0ELi4EEvPKT_PKT0_S7_ifPKiS9_S9_iPKfiiiPfSC_PS2_PT2_iSB_SB_
	.globl	_Z38paged_attention_ll4mi_QKV_mfma4_kernelIDF16_DF16_LN4vllm18Fp8KVCacheDataTypeE0EhLi32ELi64ELi256ELb0ELi4EEvPKT_PKT0_S7_ifPKiS9_S9_iPKfiiiPfSC_PS2_PT2_iSB_SB_
	.p2align	8
	.type	_Z38paged_attention_ll4mi_QKV_mfma4_kernelIDF16_DF16_LN4vllm18Fp8KVCacheDataTypeE0EhLi32ELi64ELi256ELb0ELi4EEvPKT_PKT0_S7_ifPKiS9_S9_iPKfiiiPfSC_PS2_PT2_iSB_SB_,@function
_Z38paged_attention_ll4mi_QKV_mfma4_kernelIDF16_DF16_LN4vllm18Fp8KVCacheDataTypeE0EhLi32ELi64ELi256ELb0ELi4EEvPKT_PKT0_S7_ifPKiS9_S9_iPKfiiiPfSC_PS2_PT2_iSB_SB_: ; @_Z38paged_attention_ll4mi_QKV_mfma4_kernelIDF16_DF16_LN4vllm18Fp8KVCacheDataTypeE0EhLi32ELi64ELi256ELb0ELi4EEvPKT_PKT0_S7_ifPKiS9_S9_iPKfiiiPfSC_PS2_PT2_iSB_SB_
; %bb.0:
	s_add_u32 s8, s0, 0x90
	s_addc_u32 s9, s1, 0
	s_getpc_b64 s[0:1]
	s_add_u32 s0, s0, __PRETTY_FUNCTION__._Z38paged_attention_ll4mi_QKV_mfma4_kernelIDF16_DF16_LN4vllm18Fp8KVCacheDataTypeE0EhLi32ELi64ELi256ELb0ELi4EEvPKT_PKT0_S7_ifPKiS9_S9_iPKfiiiPfSC_PS2_PT2_iSB_SB_@rel32@lo+4
	s_addc_u32 s1, s1, __PRETTY_FUNCTION__._Z38paged_attention_ll4mi_QKV_mfma4_kernelIDF16_DF16_LN4vllm18Fp8KVCacheDataTypeE0EhLi32ELi64ELi256ELb0ELi4EEvPKT_PKT0_S7_ifPKiS9_S9_iPKfiiiPfSC_PS2_PT2_iSB_SB_@rel32@hi+12
	s_delay_alu instid0(SALU_CYCLE_1) | instskip(SKIP_4) | instid1(SALU_CYCLE_1)
	v_dual_mov_b32 v0, s0 :: v_dual_mov_b32 v1, s1
	s_mov_b32 s32, 0
	s_getpc_b64 s[2:3]
	s_add_u32 s2, s2, __assert_fail@rel32@lo+4
	s_addc_u32 s3, s3, __assert_fail@rel32@hi+12
	s_swappc_b64 s[30:31], s[2:3]
	.section	.rodata,"a",@progbits
	.p2align	6, 0x0
	.amdhsa_kernel _Z38paged_attention_ll4mi_QKV_mfma4_kernelIDF16_DF16_LN4vllm18Fp8KVCacheDataTypeE0EhLi32ELi64ELi256ELb0ELi4EEvPKT_PKT0_S7_ifPKiS9_S9_iPKfiiiPfSC_PS2_PT2_iSB_SB_
		.amdhsa_group_segment_fixed_size 0
		.amdhsa_private_segment_fixed_size 64
		.amdhsa_kernarg_size 400
		.amdhsa_user_sgpr_count 15
		.amdhsa_user_sgpr_dispatch_ptr 0
		.amdhsa_user_sgpr_queue_ptr 0
		.amdhsa_user_sgpr_kernarg_segment_ptr 1
		.amdhsa_user_sgpr_dispatch_id 0
		.amdhsa_user_sgpr_private_segment_size 0
		.amdhsa_wavefront_size32 1
		.amdhsa_uses_dynamic_stack 0
		.amdhsa_enable_private_segment 1
		.amdhsa_system_sgpr_workgroup_id_x 1
		.amdhsa_system_sgpr_workgroup_id_y 0
		.amdhsa_system_sgpr_workgroup_id_z 0
		.amdhsa_system_sgpr_workgroup_info 0
		.amdhsa_system_vgpr_workitem_id 0
		.amdhsa_next_free_vgpr 41
		.amdhsa_next_free_sgpr 34
		.amdhsa_reserve_vcc 1
		.amdhsa_float_round_mode_32 0
		.amdhsa_float_round_mode_16_64 0
		.amdhsa_float_denorm_mode_32 3
		.amdhsa_float_denorm_mode_16_64 3
		.amdhsa_dx10_clamp 1
		.amdhsa_ieee_mode 1
		.amdhsa_fp16_overflow 0
		.amdhsa_workgroup_processor_mode 1
		.amdhsa_memory_ordered 1
		.amdhsa_forward_progress 0
		.amdhsa_shared_vgpr_count 0
		.amdhsa_exception_fp_ieee_invalid_op 0
		.amdhsa_exception_fp_denorm_src 0
		.amdhsa_exception_fp_ieee_div_zero 0
		.amdhsa_exception_fp_ieee_overflow 0
		.amdhsa_exception_fp_ieee_underflow 0
		.amdhsa_exception_fp_ieee_inexact 0
		.amdhsa_exception_int_div_zero 0
	.end_amdhsa_kernel
	.section	.text._Z38paged_attention_ll4mi_QKV_mfma4_kernelIDF16_DF16_LN4vllm18Fp8KVCacheDataTypeE0EhLi32ELi64ELi256ELb0ELi4EEvPKT_PKT0_S7_ifPKiS9_S9_iPKfiiiPfSC_PS2_PT2_iSB_SB_,"axG",@progbits,_Z38paged_attention_ll4mi_QKV_mfma4_kernelIDF16_DF16_LN4vllm18Fp8KVCacheDataTypeE0EhLi32ELi64ELi256ELb0ELi4EEvPKT_PKT0_S7_ifPKiS9_S9_iPKfiiiPfSC_PS2_PT2_iSB_SB_,comdat
.Lfunc_end137:
	.size	_Z38paged_attention_ll4mi_QKV_mfma4_kernelIDF16_DF16_LN4vllm18Fp8KVCacheDataTypeE0EhLi32ELi64ELi256ELb0ELi4EEvPKT_PKT0_S7_ifPKiS9_S9_iPKfiiiPfSC_PS2_PT2_iSB_SB_, .Lfunc_end137-_Z38paged_attention_ll4mi_QKV_mfma4_kernelIDF16_DF16_LN4vllm18Fp8KVCacheDataTypeE0EhLi32ELi64ELi256ELb0ELi4EEvPKT_PKT0_S7_ifPKiS9_S9_iPKfiiiPfSC_PS2_PT2_iSB_SB_
                                        ; -- End function
	.section	.AMDGPU.csdata,"",@progbits
; Kernel info:
; codeLenInByte = 72
; NumSgprs: 36
; NumVgprs: 41
; ScratchSize: 64
; MemoryBound: 0
; FloatMode: 240
; IeeeMode: 1
; LDSByteSize: 0 bytes/workgroup (compile time only)
; SGPRBlocks: 4
; VGPRBlocks: 5
; NumSGPRsForWavesPerEU: 36
; NumVGPRsForWavesPerEU: 41
; Occupancy: 16
; WaveLimiterHint : 1
; COMPUTE_PGM_RSRC2:SCRATCH_EN: 1
; COMPUTE_PGM_RSRC2:USER_SGPR: 15
; COMPUTE_PGM_RSRC2:TRAP_HANDLER: 0
; COMPUTE_PGM_RSRC2:TGID_X_EN: 1
; COMPUTE_PGM_RSRC2:TGID_Y_EN: 0
; COMPUTE_PGM_RSRC2:TGID_Z_EN: 0
; COMPUTE_PGM_RSRC2:TIDIG_COMP_CNT: 0
	.section	.text._Z39paged_attention_ll4mi_QKV_mfma16_kernelIDF16_DF16_LN4vllm18Fp8KVCacheDataTypeE0EhLi32ELi64ELi256ELb0ELi5EL8MFMAType0EEvPKT_PKT0_S8_ifPKiSA_SA_iPKfiiiPfSD_PS3_PT2_iSC_SC_,"axG",@progbits,_Z39paged_attention_ll4mi_QKV_mfma16_kernelIDF16_DF16_LN4vllm18Fp8KVCacheDataTypeE0EhLi32ELi64ELi256ELb0ELi5EL8MFMAType0EEvPKT_PKT0_S8_ifPKiSA_SA_iPKfiiiPfSD_PS3_PT2_iSC_SC_,comdat
	.protected	_Z39paged_attention_ll4mi_QKV_mfma16_kernelIDF16_DF16_LN4vllm18Fp8KVCacheDataTypeE0EhLi32ELi64ELi256ELb0ELi5EL8MFMAType0EEvPKT_PKT0_S8_ifPKiSA_SA_iPKfiiiPfSD_PS3_PT2_iSC_SC_ ; -- Begin function _Z39paged_attention_ll4mi_QKV_mfma16_kernelIDF16_DF16_LN4vllm18Fp8KVCacheDataTypeE0EhLi32ELi64ELi256ELb0ELi5EL8MFMAType0EEvPKT_PKT0_S8_ifPKiSA_SA_iPKfiiiPfSD_PS3_PT2_iSC_SC_
	.globl	_Z39paged_attention_ll4mi_QKV_mfma16_kernelIDF16_DF16_LN4vllm18Fp8KVCacheDataTypeE0EhLi32ELi64ELi256ELb0ELi5EL8MFMAType0EEvPKT_PKT0_S8_ifPKiSA_SA_iPKfiiiPfSD_PS3_PT2_iSC_SC_
	.p2align	8
	.type	_Z39paged_attention_ll4mi_QKV_mfma16_kernelIDF16_DF16_LN4vllm18Fp8KVCacheDataTypeE0EhLi32ELi64ELi256ELb0ELi5EL8MFMAType0EEvPKT_PKT0_S8_ifPKiSA_SA_iPKfiiiPfSD_PS3_PT2_iSC_SC_,@function
_Z39paged_attention_ll4mi_QKV_mfma16_kernelIDF16_DF16_LN4vllm18Fp8KVCacheDataTypeE0EhLi32ELi64ELi256ELb0ELi5EL8MFMAType0EEvPKT_PKT0_S8_ifPKiSA_SA_iPKfiiiPfSD_PS3_PT2_iSC_SC_: ; @_Z39paged_attention_ll4mi_QKV_mfma16_kernelIDF16_DF16_LN4vllm18Fp8KVCacheDataTypeE0EhLi32ELi64ELi256ELb0ELi5EL8MFMAType0EEvPKT_PKT0_S8_ifPKiSA_SA_iPKfiiiPfSD_PS3_PT2_iSC_SC_
; %bb.0:
	s_load_b64 s[2:3], s[0:1], 0x30
	s_mov_b32 s34, s13
	s_waitcnt lgkmcnt(0)
	s_cmp_lg_u64 s[2:3], 0
	s_cselect_b32 s6, -1, 0
	s_ashr_i32 s35, s13, 31
	s_cmp_eq_u64 s[2:3], 0
	s_cbranch_scc1 .LBB138_3
; %bb.1:
	s_lshl_b64 s[4:5], s[34:35], 2
	s_delay_alu instid0(SALU_CYCLE_1) | instskip(SKIP_4) | instid1(SALU_CYCLE_1)
	s_add_u32 s4, s2, s4
	s_addc_u32 s5, s3, s5
	s_load_b64 s[4:5], s[4:5], 0x0
	s_waitcnt lgkmcnt(0)
	s_sub_i32 s4, s5, s4
	s_cmp_eq_u32 s4, 1
	s_cselect_b32 s4, -1, 0
	s_delay_alu instid0(SALU_CYCLE_1)
	s_and_not1_b32 vcc_lo, exec_lo, s4
	s_cbranch_vccz .LBB138_4
.LBB138_2:
	s_nop 0
	s_sendmsg sendmsg(MSG_DEALLOC_VGPRS)
	s_endpgm
.LBB138_3:
.LBB138_4:
	s_load_b64 s[8:9], s[0:1], 0x28
	s_lshl_b64 s[4:5], s[34:35], 2
	s_waitcnt lgkmcnt(0)
	s_add_u32 s8, s8, s4
	s_addc_u32 s9, s9, s5
	s_lshl_b32 s16, s14, 8
	s_load_b32 s18, s[8:9], 0x0
	s_waitcnt lgkmcnt(0)
	s_cmp_ge_i32 s16, s18
	s_cbranch_scc1 .LBB138_2
; %bb.5:
	s_and_not1_b32 vcc_lo, exec_lo, s6
	s_cbranch_vccnz .LBB138_7
; %bb.6:
	s_add_u32 s2, s2, s4
	s_addc_u32 s3, s3, s5
	s_load_b32 s17, s[2:3], 0x0
	s_branch .LBB138_8
.LBB138_7:
	s_mov_b32 s17, s34
.LBB138_8:
	s_clause 0x2
	s_load_b128 s[8:11], s[0:1], 0x8
	s_load_b64 s[12:13], s[0:1], 0x20
	s_load_b128 s[4:7], s[0:1], 0x48
	v_lshrrev_b32_e32 v78, 5, v0
	v_bfe_u32 v75, v0, 4, 1
	v_and_b32_e32 v77, 15, v0
	s_delay_alu instid0(VALU_DEP_2) | instskip(NEXT) | instid1(VALU_DEP_2)
	v_lshl_or_b32 v3, v78, 1, v75
	v_cmp_lt_u32_e64 s3, 7, v77
	v_lshlrev_b32_e32 v1, 3, v77
	v_cmp_gt_u32_e64 s2, 8, v77
	s_delay_alu instid0(VALU_DEP_4) | instskip(NEXT) | instid1(VALU_DEP_4)
	v_cmp_lt_u32_e32 vcc_lo, 4, v3
	s_or_b32 s3, s3, vcc_lo
	s_waitcnt lgkmcnt(0)
	s_and_saveexec_b32 s7, s3
	s_delay_alu instid0(SALU_CYCLE_1)
	s_xor_b32 s3, exec_lo, s7
; %bb.9:
	v_mov_b32_e32 v2, 0
                                        ; implicit-def: $vgpr3
; %bb.10:
	s_or_saveexec_b32 s3, s3
	v_and_b32_e32 v80, 31, v0
	v_and_b32_e32 v76, 1, v0
	s_mul_i32 s33, s15, 5
	s_xor_b32 exec_lo, exec_lo, s3
	s_cbranch_execz .LBB138_12
; %bb.11:
	s_load_b64 s[20:21], s[0:1], 0x0
	v_add_lshl_u32 v4, v3, s33, 6
	s_mul_hi_i32 s23, s17, s4
	s_mul_i32 s22, s17, s4
	v_lshlrev_b32_e32 v2, 1, v1
	s_lshl_b64 s[22:23], s[22:23], 1
	v_ashrrev_i32_e32 v5, 31, v4
	v_lshlrev_b32_e32 v3, 6, v3
	v_lshlrev_b32_e32 v8, 10, v76
	s_delay_alu instid0(VALU_DEP_3) | instskip(SKIP_3) | instid1(VALU_DEP_1)
	v_lshlrev_b64 v[4:5], 1, v[4:5]
	s_waitcnt lgkmcnt(0)
	s_add_u32 s4, s20, s22
	s_addc_u32 s7, s21, s23
	v_add_co_u32 v4, vcc_lo, s4, v4
	s_delay_alu instid0(VALU_DEP_2) | instskip(NEXT) | instid1(VALU_DEP_2)
	v_add_co_ci_u32_e32 v5, vcc_lo, s7, v5, vcc_lo
	v_add_co_u32 v4, vcc_lo, v4, v2
	s_delay_alu instid0(VALU_DEP_2) | instskip(SKIP_3) | instid1(VALU_DEP_1)
	v_add_co_ci_u32_e32 v5, vcc_lo, 0, v5, vcc_lo
	v_lshlrev_b32_e32 v2, 10, v77
	global_load_b128 v[4:7], v[4:5], off
	v_and_b32_e32 v2, 0x3800, v2
	v_or3_b32 v3, v2, v8, v3
	v_mov_b32_e32 v2, 0
	s_waitcnt vmcnt(0)
	ds_store_b128 v3, v[4:7]
.LBB138_12:
	s_or_b32 exec_lo, exec_lo, s3
	v_and_b32_e32 v3, 0xef, v0
	s_add_i32 s3, s18, 31
	s_clause 0x1
	s_load_b32 s4, s[0:1], 0x38
	s_load_b32 s35, s[0:1], 0x98
	s_ashr_i32 s7, s3, 31
	v_add_nc_u32_e32 v3, s16, v3
	s_lshr_b32 s7, s7, 27
	s_load_b32 s19, s[0:1], 0x1c
	s_add_i32 s3, s3, s7
	s_waitcnt lgkmcnt(0)
	v_ashrrev_i32_e32 v4, 31, v3
	v_cmp_gt_i32_e32 vcc_lo, s18, v3
	s_ashr_i32 s3, s3, 5
	s_barrier
	s_add_i32 s3, s3, -1
	v_lshrrev_b32_e32 v5, 27, v4
	v_or_b32_e32 v4, 16, v3
	buffer_gl0_inv
	s_mul_i32 s6, s15, s6
	v_lshlrev_b64 v[73:74], 1, v[1:2]
	v_add_nc_u32_e32 v6, v3, v5
	v_add_nc_u32_e32 v5, v4, v5
	s_mul_i32 s20, s34, s4
	s_delay_alu instid0(SALU_CYCLE_1) | instskip(NEXT) | instid1(VALU_DEP_2)
	s_ashr_i32 s21, s20, 31
	v_ashrrev_i32_e32 v6, 5, v6
	s_delay_alu instid0(VALU_DEP_2) | instskip(SKIP_1) | instid1(SALU_CYCLE_1)
	v_ashrrev_i32_e32 v5, 5, v5
	s_lshl_b64 s[20:21], s[20:21], 2
	s_add_u32 s4, s12, s20
	s_delay_alu instid0(VALU_DEP_2) | instskip(SKIP_3) | instid1(SALU_CYCLE_1)
	v_cndmask_b32_e32 v3, s3, v6, vcc_lo
	v_cmp_gt_i32_e32 vcc_lo, s18, v4
	s_addc_u32 s17, s13, s21
	s_ashr_i32 s7, s6, 31
	s_lshl_b64 s[6:7], s[6:7], 1
	v_cndmask_b32_e32 v5, s3, v5, vcc_lo
	v_ashrrev_i32_e32 v4, 31, v3
	s_add_u32 s15, s8, s6
	s_addc_u32 s28, s9, s7
	s_lshl_b32 s8, s14, 3
	v_ashrrev_i32_e32 v6, 31, v5
	v_lshlrev_b64 v[3:4], 2, v[3:4]
	s_ashr_i32 s9, s8, 31
	s_delay_alu instid0(SALU_CYCLE_1) | instskip(NEXT) | instid1(VALU_DEP_2)
	s_lshl_b64 s[8:9], s[8:9], 2
	v_lshlrev_b64 v[5:6], 2, v[5:6]
	s_add_u32 s8, s4, s8
	s_delay_alu instid0(VALU_DEP_2) | instskip(SKIP_1) | instid1(VALU_DEP_3)
	v_add_co_u32 v3, vcc_lo, s4, v3
	v_add_co_ci_u32_e32 v4, vcc_lo, s17, v4, vcc_lo
	v_add_co_u32 v5, vcc_lo, s4, v5
	s_delay_alu instid0(VALU_DEP_4)
	v_add_co_ci_u32_e32 v6, vcc_lo, s17, v6, vcc_lo
	s_addc_u32 s9, s17, s9
	s_clause 0x1
	global_load_b32 v7, v[3:4], off
	global_load_b32 v8, v[5:6], off
	s_or_b32 s12, s16, 32
	s_delay_alu instid0(SALU_CYCLE_1) | instskip(SKIP_2) | instid1(SALU_CYCLE_1)
	s_ashr_i32 s13, s12, 5
	s_cmp_lt_i32 s12, s18
	s_cselect_b32 s12, s13, s3
	s_ashr_i32 s13, s12, 31
	s_delay_alu instid0(SALU_CYCLE_1) | instskip(NEXT) | instid1(SALU_CYCLE_1)
	s_lshl_b64 s[12:13], s[12:13], 2
	s_add_u32 s12, s4, s12
	s_addc_u32 s13, s17, s13
	s_or_b32 s20, s16, 64
	s_delay_alu instid0(SALU_CYCLE_1) | instskip(SKIP_2) | instid1(SALU_CYCLE_1)
	s_ashr_i32 s21, s20, 5
	s_cmp_lt_i32 s20, s18
	s_cselect_b32 s20, s21, s3
	s_ashr_i32 s21, s20, 31
	s_delay_alu instid0(SALU_CYCLE_1) | instskip(NEXT) | instid1(SALU_CYCLE_1)
	s_lshl_b64 s[20:21], s[20:21], 2
	s_add_u32 s20, s4, s20
	s_addc_u32 s21, s17, s21
	;; [unrolled: 10-line block ×5, first 2 shown]
	s_clause 0x5
	s_load_b32 s29, s[8:9], 0x0
	s_load_b32 s30, s[12:13], 0x0
	;; [unrolled: 1-line block ×6, first 2 shown]
	s_or_b32 s8, s16, 0xc0
	s_mov_b32 s20, 0
	s_ashr_i32 s9, s8, 5
	s_cmp_lt_i32 s8, s18
	s_mov_b32 s27, s20
	s_cselect_b32 s8, s9, s3
	s_mov_b32 s21, s20
	s_ashr_i32 s9, s8, 31
	s_mov_b32 s22, s20
	s_lshl_b64 s[8:9], s[8:9], 2
	s_mov_b32 s23, s20
	s_add_u32 s8, s4, s8
	s_mov_b32 s24, s20
	s_mov_b32 s25, s20
	;; [unrolled: 1-line block ×3, first 2 shown]
	s_addc_u32 s9, s17, s9
	v_dual_mov_b32 v128, s27 :: v_dual_lshlrev_b32 v79, 6, v77
	v_dual_mov_b32 v122, s21 :: v_dual_mov_b32 v127, s26
	v_dual_mov_b32 v126, s25 :: v_dual_mov_b32 v125, s24
	;; [unrolled: 1-line block ×3, first 2 shown]
	v_mov_b32_e32 v121, s20
	s_waitcnt lgkmcnt(0)
	s_mul_hi_i32 s13, s29, s5
	s_mul_i32 s12, s29, s5
	v_lshl_or_b32 v33, v78, 10, v79
	s_mul_hi_i32 s21, s30, s5
	s_mul_i32 s20, s30, s5
	s_mul_hi_i32 s25, s31, s5
	s_mul_i32 s24, s31, s5
	;; [unrolled: 2-line block ×4, first 2 shown]
	s_waitcnt vmcnt(1)
	v_mad_i64_i32 v[3:4], null, v7, s5, 0
	s_waitcnt vmcnt(0)
	v_mad_i64_i32 v[5:6], null, v8, s5, 0
	s_delay_alu instid0(VALU_DEP_2) | instskip(NEXT) | instid1(VALU_DEP_2)
	v_lshlrev_b64 v[3:4], 1, v[3:4]
	v_lshlrev_b64 v[1:2], 1, v[5:6]
	s_delay_alu instid0(VALU_DEP_2) | instskip(NEXT) | instid1(VALU_DEP_3)
	v_add_co_u32 v3, vcc_lo, s15, v3
	v_add_co_ci_u32_e32 v4, vcc_lo, s28, v4, vcc_lo
	s_delay_alu instid0(VALU_DEP_3) | instskip(NEXT) | instid1(VALU_DEP_4)
	v_add_co_u32 v1, vcc_lo, s15, v1
	v_add_co_ci_u32_e32 v2, vcc_lo, s28, v2, vcc_lo
	s_delay_alu instid0(VALU_DEP_4) | instskip(NEXT) | instid1(VALU_DEP_4)
	v_add_co_u32 v25, vcc_lo, v3, v73
	v_add_co_ci_u32_e32 v26, vcc_lo, v4, v74, vcc_lo
	s_delay_alu instid0(VALU_DEP_4) | instskip(NEXT) | instid1(VALU_DEP_4)
	v_add_co_u32 v27, vcc_lo, v1, v73
	v_add_co_ci_u32_e32 v28, vcc_lo, v2, v74, vcc_lo
	s_clause 0xf
	global_load_b128 v[1:4], v[25:26], off
	global_load_b128 v[5:8], v[25:26], off offset:512
	global_load_b128 v[9:12], v[27:28], off offset:256
	;; [unrolled: 1-line block ×15, first 2 shown]
	v_mul_lo_u16 v25, v77, 52
	s_or_b32 s15, s16, 0xe0
	s_delay_alu instid0(SALU_CYCLE_1) | instskip(SKIP_1) | instid1(VALU_DEP_1)
	s_ashr_i32 s22, s15, 5
	s_cmp_lt_i32 s15, s18
	v_lshrrev_b16 v25, 8, v25
	s_cselect_b32 s22, s22, s3
	s_delay_alu instid0(SALU_CYCLE_1) | instskip(NEXT) | instid1(VALU_DEP_1)
	s_ashr_i32 s23, s22, 31
	v_mul_lo_u16 v25, v25, 5
	s_lshl_b64 s[22:23], s[22:23], 2
	s_delay_alu instid0(SALU_CYCLE_1) | instskip(SKIP_1) | instid1(VALU_DEP_1)
	s_add_u32 s22, s4, s22
	s_addc_u32 s23, s17, s23
	v_sub_nc_u16 v25, v77, v25
	s_add_i32 s15, s16, 0x100
	s_delay_alu instid0(SALU_CYCLE_1) | instskip(SKIP_1) | instid1(VALU_DEP_1)
	s_ashr_i32 s28, s15, 5
	s_cmp_lt_i32 s15, s18
	v_and_b32_e32 v25, 0xff, v25
	s_cselect_b32 s28, s28, s3
	s_delay_alu instid0(SALU_CYCLE_1) | instskip(NEXT) | instid1(VALU_DEP_1)
	s_ashr_i32 s29, s28, 31
	v_lshlrev_b32_e32 v151, 6, v25
	s_lshl_b64 s[28:29], s[28:29], 2
	ds_load_b128 v[25:28], v151
	ds_load_b128 v[29:32], v151 offset:1024
	s_add_u32 s28, s4, s28
	s_addc_u32 s29, s17, s29
	s_add_u32 s3, s10, s6
	ds_load_b128 v[129:132], v151 offset:2048
	ds_load_b128 v[133:136], v151 offset:3072
	s_clause 0x2
	s_load_b32 s15, s[8:9], 0x0
	s_load_b32 s4, s[22:23], 0x0
	;; [unrolled: 1-line block ×3, first 2 shown]
	s_addc_u32 s28, s11, s7
	v_add_co_u32 v152, s3, s3, v33
	s_delay_alu instid0(VALU_DEP_1) | instskip(SKIP_2) | instid1(VALU_DEP_2)
	v_add_co_ci_u32_e64 v153, null, s28, 0, s3
	s_lshl_b64 s[6:7], s[12:13], 1
	s_lshl_b64 s[10:11], s[20:21], 1
	v_add_co_u32 v33, vcc_lo, v152, s6
	s_delay_alu instid0(VALU_DEP_2)
	v_add_co_ci_u32_e32 v34, vcc_lo, s7, v153, vcc_lo
	v_add_co_u32 v35, vcc_lo, v152, s10
	s_lshl_b64 s[12:13], s[24:25], 1
	v_add_co_ci_u32_e32 v36, vcc_lo, s11, v153, vcc_lo
	v_add_co_u32 v37, vcc_lo, v152, s12
	s_lshl_b64 s[20:21], s[26:27], 1
	s_mul_hi_i32 s9, s37, s5
	s_mul_i32 s8, s37, s5
	v_add_co_ci_u32_e32 v38, vcc_lo, s13, v153, vcc_lo
	v_add_co_u32 v39, vcc_lo, v152, s20
	s_lshl_b64 s[8:9], s[8:9], 1
	v_add_co_ci_u32_e32 v40, vcc_lo, s21, v153, vcc_lo
	v_add_co_u32 v145, vcc_lo, v152, s8
	s_lshl_b64 s[22:23], s[30:31], 1
	s_waitcnt lgkmcnt(0)
	s_mul_hi_i32 s25, s15, s5
	s_mul_i32 s24, s15, s5
	v_add_co_ci_u32_e32 v146, vcc_lo, s9, v153, vcc_lo
	v_add_co_u32 v147, vcc_lo, v152, s22
	s_lshl_b64 s[24:25], s[24:25], 1
	v_add_co_ci_u32_e32 v148, vcc_lo, s23, v153, vcc_lo
	s_mul_hi_i32 s7, s4, s5
	s_mul_i32 s6, s4, s5
	v_add_co_u32 v149, vcc_lo, v152, s24
	s_lshl_b64 s[6:7], s[6:7], 1
	v_add_co_ci_u32_e32 v150, vcc_lo, s25, v153, vcc_lo
	s_clause 0x7
	global_load_b128 v[65:68], v[33:34], off
	global_load_b128 v[69:72], v[33:34], off offset:16
	global_load_b128 v[57:60], v[35:36], off
	global_load_b128 v[61:64], v[35:36], off offset:16
	;; [unrolled: 2-line block ×4, first 2 shown]
	s_waitcnt vmcnt(22)
	v_wmma_f32_16x16x16_f16 v[137:144], v[1:8], v[25:32], v[121:128]
	s_waitcnt vmcnt(20)
	v_wmma_f32_16x16x16_f16 v[121:128], v[9:16], v[25:32], v[121:128]
	v_add_co_u32 v29, vcc_lo, v152, s6
	v_add_co_ci_u32_e32 v30, vcc_lo, s7, v153, vcc_lo
	s_mul_hi_i32 s7, s17, s5
	s_mul_i32 s6, s17, s5
	s_waitcnt vmcnt(18)
	v_wmma_f32_16x16x16_f16 v[137:144], v[17:24], v[129:136], v[137:144]
	s_lshl_b64 s[4:5], s[6:7], 1
	s_clause 0x1
	global_load_b128 v[9:12], v[145:146], off
	global_load_b128 v[13:16], v[145:146], off offset:16
	v_add_co_u32 v21, vcc_lo, v152, s4
	v_add_co_ci_u32_e32 v22, vcc_lo, s5, v153, vcc_lo
	s_clause 0x7
	global_load_b128 v[1:4], v[147:148], off
	global_load_b128 v[5:8], v[147:148], off offset:16
	global_load_b128 v[33:36], v[149:150], off
	global_load_b128 v[37:40], v[149:150], off offset:16
	;; [unrolled: 2-line block ×4, first 2 shown]
	s_waitcnt vmcnt(26)
	v_wmma_f32_16x16x16_f16 v[121:128], v[81:88], v[129:136], v[121:128]
	ds_load_b128 v[81:84], v151 offset:4096
	ds_load_b128 v[85:88], v151 offset:5120
	v_mbcnt_lo_u32_b32 v130, -1, 0
	s_delay_alu instid0(VALU_DEP_1) | instskip(NEXT) | instid1(VALU_DEP_1)
	v_xor_b32_e32 v131, 16, v130
	v_cmp_gt_i32_e32 vcc_lo, 32, v131
	v_cndmask_b32_e32 v130, v130, v131, vcc_lo
	s_waitcnt vmcnt(24) lgkmcnt(0)
	v_wmma_f32_16x16x16_f16 v[137:144], v[89:96], v[81:88], v[137:144]
	ds_load_b128 v[89:92], v151 offset:6144
	ds_load_b128 v[93:96], v151 offset:7168
	s_waitcnt vmcnt(22)
	v_wmma_f32_16x16x16_f16 v[121:128], v[97:104], v[81:88], v[121:128]
	s_waitcnt vmcnt(0) lgkmcnt(0)
	s_barrier
	buffer_gl0_inv
	v_wmma_f32_16x16x16_f16 v[137:144], v[105:112], v[89:96], v[137:144]
	v_and_b32_e32 v129, 0xe0, v0
	v_wmma_f32_16x16x16_f16 v[121:128], v[113:120], v[89:96], v[121:128]
	s_delay_alu instid0(VALU_DEP_3) | instskip(NEXT) | instid1(VALU_DEP_2)
	v_mul_f32_e32 v96, s19, v137
	v_dual_mul_f32 v104, s19, v126 :: v_dual_add_nc_u32 v129, s16, v129
	v_mul_f32_e32 v95, s19, v138
	v_dual_mul_f32 v93, s19, v140 :: v_dual_mul_f32 v94, s19, v139
	s_delay_alu instid0(VALU_DEP_3) | instskip(SKIP_3) | instid1(VALU_DEP_4)
	v_or_b32_e32 v129, v129, v75
	v_dual_mul_f32 v91, s19, v142 :: v_dual_mul_f32 v106, s19, v124
	v_dual_mul_f32 v92, s19, v141 :: v_dual_mul_f32 v89, s19, v144
	v_mul_f32_e32 v108, s19, v122
	v_or_b32_e32 v131, 2, v129
	v_or_b32_e32 v132, 4, v129
	;; [unrolled: 1-line block ×3, first 2 shown]
	v_cmp_gt_i32_e32 vcc_lo, s18, v129
	v_or_b32_e32 v82, 8, v129
	v_cmp_gt_i32_e64 s3, s18, v131
	v_or_b32_e32 v83, 10, v129
	v_cmp_gt_i32_e64 s4, s18, v132
	v_cndmask_b32_e32 v96, 0xff7fffff, v96, vcc_lo
	v_cmp_gt_i32_e64 s5, s18, v81
	v_cndmask_b32_e64 v95, 0xff7fffff, v95, s3
	v_or_b32_e32 v84, 12, v129
	v_or_b32_e32 v85, 14, v129
	v_cndmask_b32_e64 v94, 0xff7fffff, v94, s4
	v_cndmask_b32_e64 v81, 0xff7fffff, v93, s5
	v_max3_f32 v93, v96, 0xff7fffff, v95
	v_cmp_gt_i32_e64 s6, s18, v82
	v_cmp_gt_i32_e64 s7, s18, v83
	v_or_b32_e32 v86, 16, v129
	v_or_b32_e32 v87, 18, v129
	v_mul_f32_e32 v90, s19, v143
	v_cndmask_b32_e64 v82, 0xff7fffff, v92, s6
	v_cndmask_b32_e64 v83, 0xff7fffff, v91, s7
	v_max3_f32 v81, v93, v94, v81
	v_cmp_gt_i32_e64 s8, s18, v84
	v_cmp_gt_i32_e64 s9, s18, v85
	v_or_b32_e32 v88, 20, v129
	v_or_b32_e32 v97, 22, v129
	v_mul_f32_e32 v109, s19, v121
	;; [unrolled: 8-line block ×4, first 2 shown]
	v_cndmask_b32_e64 v84, 0xff7fffff, v107, s12
	v_cndmask_b32_e64 v85, 0xff7fffff, v106, s13
	v_max3_f32 v81, v81, v82, v83
	v_cmp_gt_i32_e64 s15, s18, v98
	v_cmp_gt_i32_e64 s16, s18, v99
	v_dual_mul_f32 v102, s19, v128 :: v_dual_mul_f32 v103, s19, v127
	s_delay_alu instid0(VALU_DEP_4) | instskip(NEXT) | instid1(VALU_DEP_4)
	v_max3_f32 v81, v81, v84, v85
	v_cndmask_b32_e64 v82, 0xff7fffff, v105, s15
	s_delay_alu instid0(VALU_DEP_4) | instskip(SKIP_2) | instid1(VALU_DEP_3)
	v_cndmask_b32_e64 v83, 0xff7fffff, v104, s16
	v_cmp_gt_i32_e64 s17, s18, v100
	v_cmp_gt_i32_e64 s18, s18, v101
	v_max3_f32 v81, v81, v82, v83
	s_delay_alu instid0(VALU_DEP_3) | instskip(NEXT) | instid1(VALU_DEP_3)
	v_cndmask_b32_e64 v84, 0xff7fffff, v103, s17
	v_cndmask_b32_e64 v85, 0xff7fffff, v102, s18
	v_lshlrev_b32_e32 v83, 2, v130
	s_delay_alu instid0(VALU_DEP_2) | instskip(SKIP_3) | instid1(VALU_DEP_1)
	v_max3_f32 v81, v81, v84, v85
	ds_bpermute_b32 v82, v83, v81
	s_waitcnt lgkmcnt(0)
	v_max_f32_e32 v82, v82, v82
	v_max_f32_e32 v81, v81, v82
	s_delay_alu instid0(VALU_DEP_1)
	v_fma_f32 v82, s19, v137, -v81
	v_fma_f32 v84, s19, v138, -v81
	;; [unrolled: 1-line block ×5, first 2 shown]
	v_mul_f32_e32 v82, 0x3fb8aa3b, v82
	s_delay_alu instid0(VALU_DEP_4) | instskip(NEXT) | instid1(VALU_DEP_3)
	v_dual_mul_f32 v84, 0x3fb8aa3b, v84 :: v_dual_mul_f32 v89, 0x3fb8aa3b, v87
	v_mul_f32_e32 v86, 0x3fb8aa3b, v86
	s_delay_alu instid0(VALU_DEP_3) | instskip(NEXT) | instid1(VALU_DEP_2)
	v_exp_f32_e32 v82, v82
	v_exp_f32_e32 v84, v84
	s_delay_alu instid0(VALU_DEP_2) | instskip(NEXT) | instid1(VALU_DEP_1)
	v_exp_f32_e32 v92, v89
	v_exp_f32_e32 v86, v86
	v_cndmask_b32_e32 v88, 0, v82, vcc_lo
	s_delay_alu instid0(TRANS32_DEP_3)
	v_cndmask_b32_e64 v87, 0, v84, s3
	s_waitcnt_depctr 0xfff
	v_cndmask_b32_e64 v92, 0, v92, s6
	v_cmp_gt_u32_e64 s3, 16, v80
	v_cndmask_b32_e64 v89, 0, v86, s5
	v_add_f32_e32 v84, 0, v88
	s_delay_alu instid0(VALU_DEP_1) | instskip(NEXT) | instid1(VALU_DEP_1)
	v_dual_add_f32 v84, v84, v87 :: v_dual_mul_f32 v85, 0x3fb8aa3b, v85
	v_exp_f32_e32 v85, v85
	s_waitcnt_depctr 0xfff
	v_cndmask_b32_e64 v90, 0, v85, s4
	s_delay_alu instid0(VALU_DEP_1) | instskip(NEXT) | instid1(VALU_DEP_1)
	v_add_f32_e32 v84, v84, v90
	v_add_f32_e32 v84, v84, v89
	v_fma_f32 v82, s19, v142, -v81
	v_fma_f32 v91, s19, v143, -v81
	;; [unrolled: 1-line block ×5, first 2 shown]
	s_delay_alu instid0(VALU_DEP_4) | instskip(SKIP_1) | instid1(VALU_DEP_4)
	v_dual_mul_f32 v82, 0x3fb8aa3b, v82 :: v_dual_mul_f32 v91, 0x3fb8aa3b, v91
	v_fma_f32 v96, s19, v124, -v81
	v_mul_f32_e32 v86, 0x3fb8aa3b, v86
	v_fma_f32 v99, s19, v127, -v81
	s_delay_alu instid0(VALU_DEP_4) | instskip(SKIP_3) | instid1(VALU_DEP_1)
	v_exp_f32_e32 v82, v82
	v_exp_f32_e32 v93, v91
	v_mul_f32_e32 v97, 0x3fb8aa3b, v96
	v_exp_f32_e32 v86, v86
	v_exp_f32_e32 v97, v97
	v_cndmask_b32_e64 v91, 0, v82, s7
	v_dual_add_f32 v82, v84, v92 :: v_dual_mul_f32 v85, 0x3fb8aa3b, v85
	v_fma_f32 v84, s19, v123, -v81
	v_mul_f32_e32 v95, 0x3fb8aa3b, v94
	s_delay_alu instid0(TRANS32_DEP_3) | instskip(NEXT) | instid1(VALU_DEP_4)
	v_cndmask_b32_e64 v94, 0, v93, s8
	v_add_f32_e32 v82, v82, v91
	v_exp_f32_e32 v85, v85
	v_mul_f32_e32 v84, 0x3fb8aa3b, v84
	v_cndmask_b32_e64 v96, 0, v86, s10
	v_exp_f32_e32 v95, v95
	v_add_f32_e32 v82, v82, v94
	v_fma_f32 v86, s19, v126, -v81
	v_exp_f32_e32 v84, v84
	v_cndmask_b32_e64 v97, 0, v97, s13
	s_delay_alu instid0(TRANS32_DEP_3) | instskip(SKIP_2) | instid1(TRANS32_DEP_2)
	v_cndmask_b32_e64 v93, 0, v85, s9
	v_fma_f32 v85, s19, v125, -v81
	v_mul_f32_e32 v86, 0x3fb8aa3b, v86
	v_cndmask_b32_e64 v95, 0, v95, s11
	s_waitcnt_depctr 0xfff
	v_cndmask_b32_e64 v98, 0, v84, s12
	v_mul_f32_e32 v84, 0x3fb8aa3b, v99
	v_fma_f32 v99, s19, v128, -v81
	v_add_f32_e32 v82, v82, v93
	v_mul_f32_e32 v85, 0x3fb8aa3b, v85
	v_exp_f32_e32 v86, v86
	v_exp_f32_e32 v84, v84
	s_delay_alu instid0(VALU_DEP_1)
	v_exp_f32_e32 v85, v85
	s_waitcnt_depctr 0xfff
	v_cndmask_b32_e64 v102, 0, v84, s17
	v_cndmask_b32_e64 v100, 0, v85, s15
	v_dual_mul_f32 v85, 0x3fb8aa3b, v99 :: v_dual_add_f32 v82, v82, v96
	v_cndmask_b32_e64 v99, 0, v86, s16
	s_delay_alu instid0(VALU_DEP_2) | instskip(NEXT) | instid1(VALU_DEP_2)
	v_exp_f32_e32 v85, v85
	v_add_f32_e32 v82, v82, v95
	s_delay_alu instid0(VALU_DEP_1) | instskip(SKIP_3) | instid1(VALU_DEP_1)
	v_add_f32_e32 v82, v82, v98
	s_waitcnt_depctr 0xfff
	v_cndmask_b32_e64 v101, 0, v85, s18
	v_add_f32_e32 v82, v82, v97
	v_add_f32_e32 v82, v82, v100
	s_delay_alu instid0(VALU_DEP_1) | instskip(NEXT) | instid1(VALU_DEP_1)
	v_add_f32_e32 v82, v82, v99
	v_add_f32_e32 v82, v82, v102
	s_delay_alu instid0(VALU_DEP_1)
	v_add_f32_e32 v82, v82, v101
	ds_bpermute_b32 v83, v83, v82
	s_and_saveexec_b32 s4, s3
	s_cbranch_execz .LBB138_14
; %bb.13:
	v_mul_u32_u24_e32 v80, 0x44, v78
	s_waitcnt lgkmcnt(0)
	v_add_f32_e32 v82, v82, v83
	s_delay_alu instid0(VALU_DEP_2) | instskip(NEXT) | instid1(VALU_DEP_1)
	v_lshl_add_u32 v80, v77, 2, v80
	v_add_nc_u32_e32 v80, 0x4000, v80
	ds_store_2addr_b32 v80, v81, v82 offset1:136
.LBB138_14:
	s_or_b32 exec_lo, exec_lo, s4
	v_lshlrev_b32_e32 v80, 2, v77
	s_load_b32 s36, s[0:1], 0x94
	s_waitcnt lgkmcnt(0)
	s_barrier
	buffer_gl0_inv
	v_add_nc_u32_e32 v84, 0x4000, v80
	v_cmp_eq_u32_e32 vcc_lo, 1, v78
	v_cmp_eq_u32_e64 s4, 2, v78
	v_cmp_eq_u32_e64 s5, 3, v78
	;; [unrolled: 1-line block ×3, first 2 shown]
	ds_load_2addr_b32 v[80:81], v84 offset1:17
	ds_load_2addr_b32 v[82:83], v84 offset0:34 offset1:51
	ds_load_2addr_b32 v[103:104], v84 offset0:68 offset1:85
	;; [unrolled: 1-line block ×3, first 2 shown]
	v_cmp_eq_u32_e64 s7, 7, v78
	s_waitcnt lgkmcnt(3)
	v_max3_f32 v85, v80, 0xff7fffff, v81
	s_waitcnt lgkmcnt(2)
	s_delay_alu instid0(VALU_DEP_1) | instskip(SKIP_1) | instid1(VALU_DEP_1)
	v_max3_f32 v85, v85, v82, v83
	s_waitcnt lgkmcnt(1)
	v_max3_f32 v85, v85, v103, v104
	s_waitcnt lgkmcnt(0)
	s_delay_alu instid0(VALU_DEP_1) | instskip(NEXT) | instid1(VALU_DEP_1)
	v_max3_f32 v85, v85, v105, v106
	v_sub_f32_e32 v103, v103, v85
	ds_load_2addr_b32 v[107:108], v84 offset0:136 offset1:153
	v_sub_f32_e32 v80, v80, v85
	v_dual_sub_f32 v110, v83, v85 :: v_dual_mul_f32 v113, 0x3fb8aa3b, v103
	s_delay_alu instid0(VALU_DEP_2) | instskip(SKIP_3) | instid1(VALU_DEP_1)
	v_dual_sub_f32 v86, v81, v85 :: v_dual_mul_f32 v109, 0x3fb8aa3b, v80
	ds_load_2addr_b32 v[80:81], v84 offset0:170 offset1:187
	v_mul_f32_e32 v86, 0x3fb8aa3b, v86
	v_exp_f32_e32 v109, v109
	v_exp_f32_e32 v112, v86
	v_mul_f32_e32 v110, 0x3fb8aa3b, v110
	s_waitcnt lgkmcnt(1)
	s_waitcnt_depctr 0xfff
	v_fma_f32 v86, v109, v107, 0
	v_sub_f32_e32 v107, v104, v85
	v_sub_f32_e32 v82, v82, v85
	v_exp_f32_e32 v110, v110
	ds_load_2addr_b32 v[103:104], v84 offset0:238 offset1:255
	v_dual_fmac_f32 v86, v112, v108 :: v_dual_mul_f32 v111, 0x3fb8aa3b, v82
	ds_load_2addr_b32 v[82:83], v84 offset0:204 offset1:221
	v_dual_sub_f32 v84, v105, v85 :: v_dual_mul_f32 v105, 0x3fb8aa3b, v107
	v_exp_f32_e32 v107, v113
	v_exp_f32_e32 v111, v111
	s_waitcnt lgkmcnt(0)
	s_delay_alu instid0(VALU_DEP_1)
	v_mul_f32_e32 v84, 0x3fb8aa3b, v84
	v_exp_f32_e32 v105, v105
	s_barrier
	buffer_gl0_inv
	v_fmac_f32_e32 v86, v111, v80
	v_sub_f32_e32 v80, v106, v85
	v_exp_f32_e32 v106, v84
	s_delay_alu instid0(VALU_DEP_2) | instskip(NEXT) | instid1(VALU_DEP_2)
	v_fmac_f32_e32 v86, v110, v81
	v_mul_f32_e32 v80, 0x3fb8aa3b, v80
	s_delay_alu instid0(VALU_DEP_2) | instskip(NEXT) | instid1(VALU_DEP_2)
	v_dual_cndmask_b32 v81, v109, v112 :: v_dual_fmac_f32 v86, v107, v82
	v_exp_f32_e32 v108, v80
	s_delay_alu instid0(VALU_DEP_1) | instskip(SKIP_2) | instid1(VALU_DEP_1)
	v_fmac_f32_e32 v86, v105, v83
	s_waitcnt_depctr 0xfff
	v_fmac_f32_e32 v86, v106, v103
	v_fmac_f32_e32 v86, v108, v104
	s_delay_alu instid0(VALU_DEP_1) | instskip(NEXT) | instid1(VALU_DEP_1)
	v_add_f32_e32 v103, 0x358637bd, v86
	v_div_scale_f32 v104, null, v103, v103, 1.0
	v_div_scale_f32 v109, vcc_lo, 1.0, v103, 1.0
	s_delay_alu instid0(VALU_DEP_2) | instskip(SKIP_2) | instid1(VALU_DEP_1)
	v_rcp_f32_e32 v113, v104
	s_waitcnt_depctr 0xfff
	v_fma_f32 v80, -v104, v113, 1.0
	v_fmac_f32_e32 v113, v80, v113
	v_cndmask_b32_e64 v80, v81, v111, s4
	v_cmp_eq_u32_e64 s4, 4, v78
	v_lshl_or_b32 v81, v78, 11, v79
	s_delay_alu instid0(VALU_DEP_4) | instskip(NEXT) | instid1(VALU_DEP_4)
	v_mul_f32_e32 v111, v109, v113
	v_cndmask_b32_e64 v82, v80, v110, s5
	v_cmp_eq_u32_e64 s5, 6, v78
	s_delay_alu instid0(VALU_DEP_4) | instskip(SKIP_3) | instid1(VALU_DEP_3)
	v_lshl_or_b32 v78, v75, 4, v81
	v_lshlrev_b32_e32 v80, 2, v75
	v_fma_f32 v83, -v104, v111, v109
	v_cndmask_b32_e64 v84, v82, v107, s4
	v_or_b32_e32 v82, 1, v80
	s_delay_alu instid0(VALU_DEP_3) | instskip(NEXT) | instid1(VALU_DEP_3)
	v_fmac_f32_e32 v111, v83, v113
	v_cndmask_b32_e64 v105, v84, v105, s6
	v_or_b32_e32 v84, 2, v80
	v_or_b32_e32 v83, 3, v80
	v_cmp_eq_u32_e64 s4, 1, v80
	v_fma_f32 v104, -v104, v111, v109
	v_cndmask_b32_e64 v105, v105, v106, s5
	v_cmp_eq_u32_e64 s10, 1, v82
	v_cmp_eq_u32_e64 s11, 1, v84
	;; [unrolled: 1-line block ×3, first 2 shown]
	v_div_fmas_f32 v104, v104, v113, v111
	v_cndmask_b32_e64 v105, v105, v108, s7
	v_cmp_eq_u32_e32 vcc_lo, 2, v80
	v_cmp_eq_u32_e64 s13, 2, v82
	v_cmp_eq_u32_e64 s16, 2, v84
	v_div_fixup_f32 v103, v104, v103, 1.0
	v_cmp_eq_u32_e64 s17, 2, v83
	v_cmp_eq_u32_e64 s19, 3, v83
	v_cmp_eq_u32_e64 s5, 3, v80
	v_cmp_eq_u32_e64 s15, 3, v82
	v_mul_f32_e32 v111, v105, v103
	v_cmp_eq_u32_e64 s18, 3, v84
	v_cmp_eq_u32_e64 s23, 4, v83
	;; [unrolled: 1-line block ×4, first 2 shown]
	v_fma_mixlo_f16 v103, v111, v88, 0
	v_fma_mixlo_f16 v104, v111, v90, 0
	;; [unrolled: 1-line block ×8, first 2 shown]
	v_fma_mixhi_f16 v103, v111, v87, 0
	v_fma_mixhi_f16 v104, v111, v89, 0
	;; [unrolled: 1-line block ×8, first 2 shown]
	ds_store_b128 v78, v[103:106]
	ds_store_b128 v78, v[107:110] offset:1024
	s_waitcnt lgkmcnt(0)
	s_barrier
	buffer_gl0_inv
	ds_load_b128 v[87:90], v81
	ds_load_b128 v[91:94], v81 offset:16
	ds_load_b128 v[95:98], v81 offset:1024
	;; [unrolled: 1-line block ×3, first 2 shown]
	v_cmp_eq_u32_e64 s22, 4, v84
	v_cmp_eq_u32_e64 s25, 5, v83
	;; [unrolled: 1-line block ×13, first 2 shown]
	s_waitcnt lgkmcnt(3)
	v_lshrrev_b32_e32 v103, 16, v87
	s_waitcnt lgkmcnt(2)
	v_lshrrev_b32_e32 v107, 16, v91
	;; [unrolled: 2-line block ×4, first 2 shown]
	v_lshrrev_b32_e32 v104, 16, v88
	v_cndmask_b32_e64 v119, v87, v103, s4
	v_cndmask_b32_e64 v120, v91, v107, s4
	;; [unrolled: 1-line block ×8, first 2 shown]
	v_lshrrev_b32_e32 v108, 16, v92
	v_cndmask_b32_e64 v103, v95, v111, s4
	v_cndmask_b32_e64 v107, v99, v115, s4
	;; [unrolled: 1-line block ×5, first 2 shown]
	v_cndmask_b32_e32 v111, v119, v88, vcc_lo
	v_cndmask_b32_e64 v119, v121, v88, s13
	v_cndmask_b32_e64 v121, v123, v88, s16
	;; [unrolled: 1-line block ×4, first 2 shown]
	v_lshrrev_b32_e32 v112, 16, v96
	v_lshrrev_b32_e32 v116, 16, v100
	v_cndmask_b32_e64 v126, v99, v115, s10
	v_cndmask_b32_e64 v128, v99, v115, s11
	;; [unrolled: 1-line block ×3, first 2 shown]
	v_cndmask_b32_e32 v115, v120, v92, vcc_lo
	v_cndmask_b32_e64 v120, v122, v92, s13
	v_cndmask_b32_e64 v122, v124, v92, s16
	v_cndmask_b32_e32 v91, v103, v96, vcc_lo
	v_cndmask_b32_e32 v92, v107, v100, vcc_lo
	v_cndmask_b32_e64 v103, v125, v96, s13
	v_cndmask_b32_e64 v87, v87, v104, s19
	;; [unrolled: 1-line block ×3, first 2 shown]
	v_lshrrev_b32_e32 v105, 16, v89
	v_lshrrev_b32_e32 v109, 16, v93
	v_cndmask_b32_e64 v107, v127, v96, s16
	v_cndmask_b32_e64 v95, v95, v96, s17
	;; [unrolled: 1-line block ×14, first 2 shown]
	v_lshrrev_b32_e32 v113, 16, v97
	v_cndmask_b32_e64 v99, v99, v89, s6
	v_cndmask_b32_e64 v104, v111, v93, s6
	;; [unrolled: 1-line block ×11, first 2 shown]
	v_lshrrev_b32_e32 v106, 16, v90
	v_lshrrev_b32_e32 v110, 16, v94
	v_cndmask_b32_e64 v93, v99, v105, s7
	v_cndmask_b32_e64 v99, v104, v109, s7
	;; [unrolled: 1-line block ×9, first 2 shown]
	v_lshrrev_b32_e32 v114, 16, v98
	v_cndmask_b32_e64 v89, v89, v113, s7
	v_cndmask_b32_e64 v93, v93, v90, s8
	;; [unrolled: 1-line block ×19, first 2 shown]
	v_perm_b32 v90, v88, v87, 0x5040100
	v_cndmask_b32_e64 v87, v126, v100, s13
	v_cndmask_b32_e64 v105, v89, v114, s9
	v_perm_b32 v89, v103, v99, 0x5040100
	v_perm_b32 v88, v104, v94, 0x5040100
	v_cndmask_b32_e64 v94, v107, v112, s18
	v_cndmask_b32_e64 v95, v95, v112, s19
	v_cndmask_b32_e64 v96, v96, v116, s19
	v_cndmask_b32_e64 v99, v123, v116, s18
	v_cndmask_b32_e64 v87, v87, v116, s15
	v_lshrrev_b32_e32 v117, 16, v101
	v_cndmask_b32_e64 v94, v94, v97, s22
	v_cndmask_b32_e64 v95, v95, v97, s23
	;; [unrolled: 1-line block ×11, first 2 shown]
	v_lshrrev_b32_e32 v118, 16, v102
	v_cndmask_b32_e64 v91, v91, v102, s8
	v_cndmask_b32_e64 v94, v94, v98, s27
	;; [unrolled: 1-line block ×12, first 2 shown]
	v_perm_b32 v87, v93, v92, 0x5040100
	v_perm_b32 v94, v95, v94, 0x5040100
	;; [unrolled: 1-line block ×5, first 2 shown]
	s_mul_i32 s8, s35, 5
	s_mov_b32 s4, exec_lo
	ds_store_b128 v78, v[87:90]
	ds_store_b128 v78, v[91:94] offset:1024
	v_cmpx_gt_u32_e32 5, v0
	s_cbranch_execz .LBB138_16
; %bb.15:
	s_mul_i32 s5, s8, s34
	s_load_b128 s[16:19], s[0:1], 0x58
	v_add3_u32 v77, s5, s33, v77
	s_delay_alu instid0(VALU_DEP_1) | instskip(NEXT) | instid1(VALU_DEP_1)
	v_mad_u64_u32 v[87:88], null, v77, s36, s[14:15]
	v_ashrrev_i32_e32 v88, 31, v87
	s_delay_alu instid0(VALU_DEP_1) | instskip(SKIP_1) | instid1(VALU_DEP_1)
	v_lshlrev_b64 v[87:88], 2, v[87:88]
	s_waitcnt lgkmcnt(0)
	v_add_co_u32 v89, vcc_lo, s18, v87
	s_delay_alu instid0(VALU_DEP_2)
	v_add_co_ci_u32_e32 v90, vcc_lo, s19, v88, vcc_lo
	v_add_co_u32 v87, vcc_lo, s16, v87
	v_add_co_ci_u32_e32 v88, vcc_lo, s17, v88, vcc_lo
	global_store_b32 v[89:90], v85, off
	global_store_b32 v[87:88], v86, off
.LBB138_16:
	s_or_b32 exec_lo, exec_lo, s4
	s_waitcnt lgkmcnt(0)
	s_waitcnt_vscnt null, 0x0
	s_barrier
	buffer_gl0_inv
	ds_load_b128 v[93:96], v79
	ds_load_b128 v[97:100], v79 offset:16
	ds_load_b128 v[105:108], v79 offset:1040
	;; [unrolled: 1-line block ×5, first 2 shown]
	v_cmp_eq_u32_e32 vcc_lo, 1, v84
	v_mov_b32_e32 v85, 0
	ds_load_b128 v[121:124], v79 offset:3088
	ds_load_b128 v[117:120], v79 offset:3072
	;; [unrolled: 1-line block ×4, first 2 shown]
	v_cmp_eq_u32_e64 s4, 1, v80
	v_cmp_eq_u32_e64 s5, 1, v83
	;; [unrolled: 1-line block ×3, first 2 shown]
	v_mov_b32_e32 v86, v85
	v_mov_b32_e32 v87, v85
	;; [unrolled: 1-line block ×7, first 2 shown]
	v_cmp_eq_u32_e64 s7, 2, v80
	s_waitcnt lgkmcnt(8)
	s_delay_alu instid0(VALU_DEP_2)
	v_wmma_f32_16x16x16_f16 v[85:92], v[65:72], v[93:100], v[85:92]
	ds_load_b128 v[69:72], v79 offset:5136
	ds_load_b128 v[65:68], v79 offset:5120
	;; [unrolled: 1-line block ×4, first 2 shown]
	s_waitcnt lgkmcnt(10)
	v_wmma_f32_16x16x16_f16 v[85:92], v[57:64], v[101:108], v[85:92]
	s_waitcnt lgkmcnt(8)
	s_delay_alu instid0(VALU_DEP_1)
	v_wmma_f32_16x16x16_f16 v[85:92], v[57:64], v[109:116], v[85:92]
	ds_load_b128 v[61:64], v79 offset:7184
	ds_load_b128 v[57:60], v79 offset:7168
	;; [unrolled: 1-line block ×4, first 2 shown]
	s_waitcnt lgkmcnt(10)
	v_wmma_f32_16x16x16_f16 v[85:92], v[49:56], v[117:124], v[85:92]
	s_waitcnt lgkmcnt(8)
	s_delay_alu instid0(VALU_DEP_1)
	v_wmma_f32_16x16x16_f16 v[85:92], v[49:56], v[125:132], v[85:92]
	ds_load_b128 v[53:56], v79 offset:9232
	ds_load_b128 v[49:52], v79 offset:9216
	s_waitcnt lgkmcnt(8)
	v_wmma_f32_16x16x16_f16 v[85:92], v[41:48], v[65:72], v[85:92]
	ds_load_b128 v[69:72], v79 offset:10256
	ds_load_b128 v[65:68], v79 offset:10240
	s_waitcnt lgkmcnt(8)
	;; [unrolled: 4-line block ×7, first 2 shown]
	s_barrier
	buffer_gl0_inv
	v_wmma_f32_16x16x16_f16 v[85:92], v[33:40], v[41:48], v[85:92]
	s_delay_alu instid0(VALU_DEP_1) | instskip(NEXT) | instid1(VALU_DEP_1)
	v_wmma_f32_16x16x16_f16 v[85:92], v[33:40], v[57:64], v[85:92]
	v_wmma_f32_16x16x16_f16 v[85:92], v[25:32], v[9:16], v[85:92]
	s_delay_alu instid0(VALU_DEP_1) | instskip(NEXT) | instid1(VALU_DEP_1)
	v_wmma_f32_16x16x16_f16 v[85:92], v[25:32], v[49:56], v[85:92]
	v_wmma_f32_16x16x16_f16 v[85:92], v[17:24], v[1:8], v[85:92]
	s_delay_alu instid0(VALU_DEP_1) | instskip(NEXT) | instid1(VALU_DEP_2)
	v_cvt_f16_f32_e32 v1, v85
	v_cvt_f16_f32_e32 v2, v86
	s_delay_alu instid0(VALU_DEP_3) | instskip(NEXT) | instid1(VALU_DEP_4)
	v_cvt_f16_f32_e32 v3, v87
	v_cvt_f16_f32_e32 v4, v88
	;; [unrolled: 1-line block ×6, first 2 shown]
	v_pack_b32_f16 v1, v1, v2
	v_pack_b32_f16 v2, v3, v4
	;; [unrolled: 1-line block ×3, first 2 shown]
	s_delay_alu instid0(VALU_DEP_4)
	v_pack_b32_f16 v4, v7, v8
	ds_store_b128 v78, v[1:4]
	s_waitcnt lgkmcnt(0)
	s_barrier
	buffer_gl0_inv
	ds_load_b128 v[1:4], v81
	ds_load_b128 v[5:8], v81 offset:16
	s_waitcnt lgkmcnt(1)
	v_lshrrev_b32_e32 v9, 16, v1
	s_waitcnt lgkmcnt(0)
	v_lshrrev_b32_e32 v13, 16, v5
	v_lshrrev_b32_e32 v15, 16, v7
	;; [unrolled: 1-line block ×4, first 2 shown]
	v_cndmask_b32_e64 v17, v1, v9, s4
	v_cndmask_b32_e64 v18, v5, v13, s4
	;; [unrolled: 1-line block ×3, first 2 shown]
	v_cmp_eq_u32_e64 s4, 2, v82
	v_cndmask_b32_e64 v20, v5, v13, s6
	v_cndmask_b32_e32 v21, v1, v9, vcc_lo
	v_cndmask_b32_e32 v22, v5, v13, vcc_lo
	v_cndmask_b32_e64 v1, v1, v9, s5
	v_cndmask_b32_e64 v5, v5, v13, s5
	v_cmp_eq_u32_e32 vcc_lo, 2, v84
	v_cmp_eq_u32_e64 s5, 2, v83
	v_cndmask_b32_e64 v9, v17, v2, s7
	v_cndmask_b32_e64 v13, v18, v6, s7
	;; [unrolled: 1-line block ×4, first 2 shown]
	v_cndmask_b32_e32 v19, v21, v2, vcc_lo
	v_cmp_eq_u32_e64 s4, 3, v84
	v_cndmask_b32_e32 v20, v22, v6, vcc_lo
	v_cndmask_b32_e64 v1, v1, v2, s5
	v_cmp_eq_u32_e32 vcc_lo, 3, v83
	v_cmp_eq_u32_e64 s6, 3, v80
	v_cndmask_b32_e64 v2, v5, v6, s5
	v_cmp_eq_u32_e64 s5, 3, v82
	v_lshrrev_b32_e32 v16, 16, v8
	v_cmp_eq_u32_e64 s7, 4, v80
	v_cndmask_b32_e64 v5, v9, v10, s6
	v_cndmask_b32_e64 v6, v13, v14, s6
	;; [unrolled: 1-line block ×3, first 2 shown]
	v_cmp_eq_u32_e64 s6, 4, v82
	v_cndmask_b32_e64 v13, v18, v14, s5
	v_cndmask_b32_e64 v17, v19, v10, s4
	;; [unrolled: 1-line block ×3, first 2 shown]
	v_cndmask_b32_e32 v1, v1, v10, vcc_lo
	v_cndmask_b32_e32 v2, v2, v14, vcc_lo
	v_cmp_eq_u32_e32 vcc_lo, 4, v84
	v_cmp_eq_u32_e64 s5, 4, v83
	v_lshrrev_b32_e32 v11, 16, v3
	v_cndmask_b32_e64 v5, v5, v3, s7
	v_cndmask_b32_e64 v6, v6, v7, s7
	;; [unrolled: 1-line block ×4, first 2 shown]
	v_cndmask_b32_e32 v13, v17, v3, vcc_lo
	v_cmp_eq_u32_e64 s4, 5, v84
	v_cndmask_b32_e32 v14, v18, v7, vcc_lo
	v_cndmask_b32_e64 v1, v1, v3, s5
	v_cmp_eq_u32_e32 vcc_lo, 5, v83
	v_cmp_eq_u32_e64 s6, 5, v80
	v_cndmask_b32_e64 v2, v2, v7, s5
	v_cmp_eq_u32_e64 s5, 5, v82
	v_cmp_eq_u32_e64 s7, 6, v80
	v_cndmask_b32_e32 v1, v1, v11, vcc_lo
	v_cndmask_b32_e64 v3, v5, v11, s6
	v_cndmask_b32_e64 v5, v6, v15, s6
	;; [unrolled: 1-line block ×3, first 2 shown]
	v_cmp_eq_u32_e64 s6, 6, v82
	v_cndmask_b32_e64 v7, v10, v15, s5
	v_cndmask_b32_e64 v9, v13, v11, s4
	;; [unrolled: 1-line block ×3, first 2 shown]
	v_cndmask_b32_e32 v2, v2, v15, vcc_lo
	v_cmp_eq_u32_e32 vcc_lo, 6, v84
	v_cmp_eq_u32_e64 s4, 6, v83
	v_lshrrev_b32_e32 v12, 16, v4
	v_cndmask_b32_e64 v3, v3, v4, s7
	v_cndmask_b32_e64 v5, v5, v8, s7
	;; [unrolled: 1-line block ×4, first 2 shown]
	v_cndmask_b32_e32 v9, v9, v4, vcc_lo
	v_cmp_eq_u32_e64 s5, 7, v84
	v_cndmask_b32_e32 v10, v10, v8, vcc_lo
	v_cndmask_b32_e64 v1, v1, v4, s4
	v_cmp_eq_u32_e32 vcc_lo, 7, v83
	v_cndmask_b32_e64 v2, v2, v8, s4
	v_cmp_eq_u32_e64 s4, 7, v80
	v_cmp_eq_u32_e64 s6, 7, v82
	v_cndmask_b32_e32 v1, v1, v12, vcc_lo
	s_delay_alu instid0(VALU_DEP_4) | instskip(NEXT) | instid1(VALU_DEP_4)
	v_cndmask_b32_e32 v2, v2, v16, vcc_lo
	v_cndmask_b32_e64 v8, v3, v12, s4
	s_delay_alu instid0(VALU_DEP_4)
	v_cndmask_b32_e64 v6, v6, v12, s6
	v_cndmask_b32_e64 v3, v9, v12, s5
	;; [unrolled: 1-line block ×5, first 2 shown]
	v_cmp_gt_u32_e32 vcc_lo, 32, v0
	v_perm_b32 v4, v2, v1, 0x5040100
	v_perm_b32 v3, v9, v3, 0x5040100
	;; [unrolled: 1-line block ×4, first 2 shown]
	s_and_b32 s2, vcc_lo, s2
	ds_store_b128 v78, v[1:4]
	s_waitcnt lgkmcnt(0)
	s_barrier
	buffer_gl0_inv
	s_and_saveexec_b32 s4, s2
	s_cbranch_execz .LBB138_2
; %bb.17:
	s_load_b64 s[4:5], s[0:1], 0x68
	v_lshlrev_b32_e32 v0, 10, v0
	v_add_nc_u32_e32 v2, s33, v75
	v_lshlrev_b32_e32 v3, 4, v76
	s_lshl_b32 s0, s36, 6
	s_delay_alu instid0(SALU_CYCLE_1) | instskip(NEXT) | instid1(VALU_DEP_2)
	s_mul_i32 s1, s0, s34
	v_mul_lo_u32 v1, v2, s0
	s_delay_alu instid0(VALU_DEP_2) | instskip(SKIP_2) | instid1(SALU_CYCLE_1)
	v_and_or_b32 v0, 0x3800, v0, v3
	v_add_nc_u32_e32 v2, 2, v2
	s_mul_i32 s6, s1, s8
	s_ashr_i32 s7, s6, 31
	s_delay_alu instid0(VALU_DEP_2)
	v_lshl_or_b32 v7, v75, 6, v0
	s_lshl_b64 s[6:7], s[6:7], 1
	v_mul_lo_u32 v11, v2, s0
	v_ashrrev_i32_e32 v2, 31, v1
	ds_load_b128 v[3:6], v7
	ds_load_b128 v[7:10], v7 offset:128
	s_waitcnt lgkmcnt(0)
	s_add_u32 s1, s4, s6
	s_addc_u32 s2, s5, s7
	s_lshl_b32 s4, s14, 6
	v_ashrrev_i32_e32 v12, 31, v11
	s_ashr_i32 s5, s4, 31
	v_lshlrev_b64 v[13:14], 1, v[1:2]
	s_lshl_b64 s[4:5], s[4:5], 1
	s_delay_alu instid0(SALU_CYCLE_1) | instskip(SKIP_4) | instid1(VALU_DEP_3)
	s_add_u32 s1, s1, s4
	s_addc_u32 s2, s2, s5
	v_add_co_u32 v1, vcc_lo, s1, v73
	v_add_co_ci_u32_e32 v2, vcc_lo, s2, v74, vcc_lo
	v_lshlrev_b64 v[11:12], 1, v[11:12]
	v_add_co_u32 v13, vcc_lo, v1, v13
	s_delay_alu instid0(VALU_DEP_3) | instskip(NEXT) | instid1(VALU_DEP_3)
	v_add_co_ci_u32_e32 v14, vcc_lo, v2, v14, vcc_lo
	v_add_co_u32 v11, vcc_lo, v1, v11
	s_delay_alu instid0(VALU_DEP_4)
	v_add_co_ci_u32_e32 v12, vcc_lo, v2, v12, vcc_lo
	s_clause 0x1
	global_store_b128 v[13:14], v[3:6], off
	global_store_b128 v[11:12], v[7:10], off
	s_and_b32 exec_lo, exec_lo, s3
	s_cbranch_execz .LBB138_2
; %bb.18:
	ds_load_b128 v[3:6], v0 offset:256
	s_add_i32 s1, s33, 4
	s_delay_alu instid0(SALU_CYCLE_1) | instskip(NEXT) | instid1(SALU_CYCLE_1)
	s_mul_i32 s0, s1, s0
	s_ashr_i32 s1, s0, 31
	s_delay_alu instid0(SALU_CYCLE_1) | instskip(NEXT) | instid1(SALU_CYCLE_1)
	s_lshl_b64 s[0:1], s[0:1], 1
	v_add_co_u32 v0, vcc_lo, v1, s0
	v_add_co_ci_u32_e32 v1, vcc_lo, s1, v2, vcc_lo
	s_waitcnt lgkmcnt(0)
	global_store_b128 v[0:1], v[3:6], off
	s_nop 0
	s_sendmsg sendmsg(MSG_DEALLOC_VGPRS)
	s_endpgm
	.section	.rodata,"a",@progbits
	.p2align	6, 0x0
	.amdhsa_kernel _Z39paged_attention_ll4mi_QKV_mfma16_kernelIDF16_DF16_LN4vllm18Fp8KVCacheDataTypeE0EhLi32ELi64ELi256ELb0ELi5EL8MFMAType0EEvPKT_PKT0_S8_ifPKiSA_SA_iPKfiiiPfSD_PS3_PT2_iSC_SC_
		.amdhsa_group_segment_fixed_size 17472
		.amdhsa_private_segment_fixed_size 0
		.amdhsa_kernarg_size 400
		.amdhsa_user_sgpr_count 13
		.amdhsa_user_sgpr_dispatch_ptr 0
		.amdhsa_user_sgpr_queue_ptr 0
		.amdhsa_user_sgpr_kernarg_segment_ptr 1
		.amdhsa_user_sgpr_dispatch_id 0
		.amdhsa_user_sgpr_private_segment_size 0
		.amdhsa_wavefront_size32 1
		.amdhsa_uses_dynamic_stack 0
		.amdhsa_enable_private_segment 0
		.amdhsa_system_sgpr_workgroup_id_x 1
		.amdhsa_system_sgpr_workgroup_id_y 1
		.amdhsa_system_sgpr_workgroup_id_z 1
		.amdhsa_system_sgpr_workgroup_info 0
		.amdhsa_system_vgpr_workitem_id 0
		.amdhsa_next_free_vgpr 154
		.amdhsa_next_free_sgpr 39
		.amdhsa_reserve_vcc 1
		.amdhsa_float_round_mode_32 0
		.amdhsa_float_round_mode_16_64 0
		.amdhsa_float_denorm_mode_32 3
		.amdhsa_float_denorm_mode_16_64 3
		.amdhsa_dx10_clamp 1
		.amdhsa_ieee_mode 1
		.amdhsa_fp16_overflow 0
		.amdhsa_workgroup_processor_mode 1
		.amdhsa_memory_ordered 1
		.amdhsa_forward_progress 0
		.amdhsa_shared_vgpr_count 0
		.amdhsa_exception_fp_ieee_invalid_op 0
		.amdhsa_exception_fp_denorm_src 0
		.amdhsa_exception_fp_ieee_div_zero 0
		.amdhsa_exception_fp_ieee_overflow 0
		.amdhsa_exception_fp_ieee_underflow 0
		.amdhsa_exception_fp_ieee_inexact 0
		.amdhsa_exception_int_div_zero 0
	.end_amdhsa_kernel
	.section	.text._Z39paged_attention_ll4mi_QKV_mfma16_kernelIDF16_DF16_LN4vllm18Fp8KVCacheDataTypeE0EhLi32ELi64ELi256ELb0ELi5EL8MFMAType0EEvPKT_PKT0_S8_ifPKiSA_SA_iPKfiiiPfSD_PS3_PT2_iSC_SC_,"axG",@progbits,_Z39paged_attention_ll4mi_QKV_mfma16_kernelIDF16_DF16_LN4vllm18Fp8KVCacheDataTypeE0EhLi32ELi64ELi256ELb0ELi5EL8MFMAType0EEvPKT_PKT0_S8_ifPKiSA_SA_iPKfiiiPfSD_PS3_PT2_iSC_SC_,comdat
.Lfunc_end138:
	.size	_Z39paged_attention_ll4mi_QKV_mfma16_kernelIDF16_DF16_LN4vllm18Fp8KVCacheDataTypeE0EhLi32ELi64ELi256ELb0ELi5EL8MFMAType0EEvPKT_PKT0_S8_ifPKiSA_SA_iPKfiiiPfSD_PS3_PT2_iSC_SC_, .Lfunc_end138-_Z39paged_attention_ll4mi_QKV_mfma16_kernelIDF16_DF16_LN4vllm18Fp8KVCacheDataTypeE0EhLi32ELi64ELi256ELb0ELi5EL8MFMAType0EEvPKT_PKT0_S8_ifPKiSA_SA_iPKfiiiPfSD_PS3_PT2_iSC_SC_
                                        ; -- End function
	.section	.AMDGPU.csdata,"",@progbits
; Kernel info:
; codeLenInByte = 7232
; NumSgprs: 41
; NumVgprs: 154
; ScratchSize: 0
; MemoryBound: 0
; FloatMode: 240
; IeeeMode: 1
; LDSByteSize: 17472 bytes/workgroup (compile time only)
; SGPRBlocks: 5
; VGPRBlocks: 19
; NumSGPRsForWavesPerEU: 41
; NumVGPRsForWavesPerEU: 154
; Occupancy: 9
; WaveLimiterHint : 1
; COMPUTE_PGM_RSRC2:SCRATCH_EN: 0
; COMPUTE_PGM_RSRC2:USER_SGPR: 13
; COMPUTE_PGM_RSRC2:TRAP_HANDLER: 0
; COMPUTE_PGM_RSRC2:TGID_X_EN: 1
; COMPUTE_PGM_RSRC2:TGID_Y_EN: 1
; COMPUTE_PGM_RSRC2:TGID_Z_EN: 1
; COMPUTE_PGM_RSRC2:TIDIG_COMP_CNT: 0
	.section	.text._Z39paged_attention_ll4mi_QKV_mfma16_kernelIDF16_DF16_LN4vllm18Fp8KVCacheDataTypeE0EhLi32ELi64ELi256ELb0ELi6EL8MFMAType0EEvPKT_PKT0_S8_ifPKiSA_SA_iPKfiiiPfSD_PS3_PT2_iSC_SC_,"axG",@progbits,_Z39paged_attention_ll4mi_QKV_mfma16_kernelIDF16_DF16_LN4vllm18Fp8KVCacheDataTypeE0EhLi32ELi64ELi256ELb0ELi6EL8MFMAType0EEvPKT_PKT0_S8_ifPKiSA_SA_iPKfiiiPfSD_PS3_PT2_iSC_SC_,comdat
	.protected	_Z39paged_attention_ll4mi_QKV_mfma16_kernelIDF16_DF16_LN4vllm18Fp8KVCacheDataTypeE0EhLi32ELi64ELi256ELb0ELi6EL8MFMAType0EEvPKT_PKT0_S8_ifPKiSA_SA_iPKfiiiPfSD_PS3_PT2_iSC_SC_ ; -- Begin function _Z39paged_attention_ll4mi_QKV_mfma16_kernelIDF16_DF16_LN4vllm18Fp8KVCacheDataTypeE0EhLi32ELi64ELi256ELb0ELi6EL8MFMAType0EEvPKT_PKT0_S8_ifPKiSA_SA_iPKfiiiPfSD_PS3_PT2_iSC_SC_
	.globl	_Z39paged_attention_ll4mi_QKV_mfma16_kernelIDF16_DF16_LN4vllm18Fp8KVCacheDataTypeE0EhLi32ELi64ELi256ELb0ELi6EL8MFMAType0EEvPKT_PKT0_S8_ifPKiSA_SA_iPKfiiiPfSD_PS3_PT2_iSC_SC_
	.p2align	8
	.type	_Z39paged_attention_ll4mi_QKV_mfma16_kernelIDF16_DF16_LN4vllm18Fp8KVCacheDataTypeE0EhLi32ELi64ELi256ELb0ELi6EL8MFMAType0EEvPKT_PKT0_S8_ifPKiSA_SA_iPKfiiiPfSD_PS3_PT2_iSC_SC_,@function
_Z39paged_attention_ll4mi_QKV_mfma16_kernelIDF16_DF16_LN4vllm18Fp8KVCacheDataTypeE0EhLi32ELi64ELi256ELb0ELi6EL8MFMAType0EEvPKT_PKT0_S8_ifPKiSA_SA_iPKfiiiPfSD_PS3_PT2_iSC_SC_: ; @_Z39paged_attention_ll4mi_QKV_mfma16_kernelIDF16_DF16_LN4vllm18Fp8KVCacheDataTypeE0EhLi32ELi64ELi256ELb0ELi6EL8MFMAType0EEvPKT_PKT0_S8_ifPKiSA_SA_iPKfiiiPfSD_PS3_PT2_iSC_SC_
; %bb.0:
	s_load_b64 s[2:3], s[0:1], 0x30
	s_mov_b32 s34, s13
	s_waitcnt lgkmcnt(0)
	s_cmp_lg_u64 s[2:3], 0
	s_cselect_b32 s6, -1, 0
	s_ashr_i32 s35, s13, 31
	s_cmp_eq_u64 s[2:3], 0
	s_cbranch_scc1 .LBB139_3
; %bb.1:
	s_lshl_b64 s[4:5], s[34:35], 2
	s_delay_alu instid0(SALU_CYCLE_1) | instskip(SKIP_4) | instid1(SALU_CYCLE_1)
	s_add_u32 s4, s2, s4
	s_addc_u32 s5, s3, s5
	s_load_b64 s[4:5], s[4:5], 0x0
	s_waitcnt lgkmcnt(0)
	s_sub_i32 s4, s5, s4
	s_cmp_eq_u32 s4, 1
	s_cselect_b32 s4, -1, 0
	s_delay_alu instid0(SALU_CYCLE_1)
	s_and_not1_b32 vcc_lo, exec_lo, s4
	s_cbranch_vccz .LBB139_4
.LBB139_2:
	s_endpgm
.LBB139_3:
.LBB139_4:
	s_load_b64 s[8:9], s[0:1], 0x28
	s_lshl_b64 s[4:5], s[34:35], 2
	s_waitcnt lgkmcnt(0)
	s_add_u32 s8, s8, s4
	s_addc_u32 s9, s9, s5
	s_lshl_b32 s16, s14, 8
	s_load_b32 s18, s[8:9], 0x0
	s_waitcnt lgkmcnt(0)
	s_cmp_ge_i32 s16, s18
	s_cbranch_scc1 .LBB139_2
; %bb.5:
	s_and_not1_b32 vcc_lo, exec_lo, s6
	s_cbranch_vccnz .LBB139_7
; %bb.6:
	s_add_u32 s2, s2, s4
	s_addc_u32 s3, s3, s5
	s_load_b32 s17, s[2:3], 0x0
	s_branch .LBB139_8
.LBB139_7:
	s_mov_b32 s17, s34
.LBB139_8:
	s_clause 0x2
	s_load_b128 s[8:11], s[0:1], 0x8
	s_load_b64 s[12:13], s[0:1], 0x20
	s_load_b128 s[4:7], s[0:1], 0x48
	v_and_b32_e32 v77, 15, v0
	v_cmp_lt_u32_e32 vcc_lo, 0x5f, v0
	s_delay_alu instid0(VALU_DEP_2) | instskip(SKIP_2) | instid1(VALU_DEP_3)
	v_cmp_lt_u32_e64 s3, 7, v77
	v_lshlrev_b32_e32 v1, 3, v77
	v_cmp_gt_u32_e64 s2, 8, v77
	s_or_b32 s3, vcc_lo, s3
	s_waitcnt lgkmcnt(0)
	s_and_saveexec_b32 s7, s3
	s_delay_alu instid0(SALU_CYCLE_1)
	s_xor_b32 s3, exec_lo, s7
; %bb.9:
	v_mov_b32_e32 v2, 0
; %bb.10:
	s_or_saveexec_b32 s3, s3
	v_lshrrev_b32_e32 v79, 5, v0
	v_and_b32_e32 v80, 31, v0
	v_and_b32_e32 v76, 1, v0
	v_bfe_u32 v75, v0, 4, 1
	s_mul_i32 s31, s15, 6
	s_xor_b32 exec_lo, exec_lo, s3
	s_cbranch_execz .LBB139_12
; %bb.11:
	s_load_b64 s[20:21], s[0:1], 0x0
	v_lshl_or_b32 v7, v79, 1, v75
	s_mul_hi_i32 s23, s17, s4
	s_mul_i32 s22, s17, s4
	v_lshlrev_b32_e32 v4, 1, v1
	s_lshl_b64 s[22:23], s[22:23], 1
	v_add_lshl_u32 v2, v7, s31, 6
	v_lshlrev_b32_e32 v7, 6, v7
	v_lshlrev_b32_e32 v8, 10, v76
	s_delay_alu instid0(VALU_DEP_3) | instskip(NEXT) | instid1(VALU_DEP_1)
	v_ashrrev_i32_e32 v3, 31, v2
	v_lshlrev_b64 v[2:3], 1, v[2:3]
	s_waitcnt lgkmcnt(0)
	s_add_u32 s4, s20, s22
	s_addc_u32 s7, s21, s23
	s_delay_alu instid0(VALU_DEP_1) | instskip(NEXT) | instid1(VALU_DEP_2)
	v_add_co_u32 v2, vcc_lo, s4, v2
	v_add_co_ci_u32_e32 v3, vcc_lo, s7, v3, vcc_lo
	s_delay_alu instid0(VALU_DEP_2) | instskip(NEXT) | instid1(VALU_DEP_2)
	v_add_co_u32 v2, vcc_lo, v2, v4
	v_add_co_ci_u32_e32 v3, vcc_lo, 0, v3, vcc_lo
	global_load_b128 v[3:6], v[2:3], off
	v_lshlrev_b32_e32 v2, 10, v77
	s_delay_alu instid0(VALU_DEP_1) | instskip(NEXT) | instid1(VALU_DEP_1)
	v_and_b32_e32 v2, 0x3800, v2
	v_or3_b32 v7, v2, v8, v7
	v_mov_b32_e32 v2, 0
	s_waitcnt vmcnt(0)
	ds_store_b128 v7, v[3:6]
.LBB139_12:
	s_or_b32 exec_lo, exec_lo, s3
	v_and_b32_e32 v3, 0xef, v0
	s_add_i32 s3, s18, 31
	s_clause 0x1
	s_load_b32 s4, s[0:1], 0x38
	s_load_b32 s33, s[0:1], 0x98
	s_ashr_i32 s7, s3, 31
	v_add_nc_u32_e32 v3, s16, v3
	s_lshr_b32 s7, s7, 27
	s_load_b32 s19, s[0:1], 0x1c
	s_add_i32 s3, s3, s7
	s_waitcnt lgkmcnt(0)
	v_ashrrev_i32_e32 v4, 31, v3
	v_cmp_gt_i32_e32 vcc_lo, s18, v3
	s_ashr_i32 s3, s3, 5
	s_barrier
	s_add_i32 s3, s3, -1
	v_lshrrev_b32_e32 v5, 27, v4
	v_or_b32_e32 v4, 16, v3
	buffer_gl0_inv
	s_mul_i32 s6, s15, s6
	v_lshlrev_b64 v[73:74], 1, v[1:2]
	v_add_nc_u32_e32 v6, v3, v5
	v_add_nc_u32_e32 v5, v4, v5
	s_mul_i32 s20, s34, s4
	v_lshlrev_b32_e32 v78, 6, v77
	s_ashr_i32 s21, s20, 31
	v_ashrrev_i32_e32 v6, 5, v6
	v_ashrrev_i32_e32 v5, 5, v5
	s_lshl_b64 s[20:21], s[20:21], 2
	v_lshl_or_b32 v33, v79, 10, v78
	s_add_u32 s4, s12, s20
	v_cndmask_b32_e32 v3, s3, v6, vcc_lo
	v_cmp_gt_i32_e32 vcc_lo, s18, v4
	s_addc_u32 s17, s13, s21
	s_ashr_i32 s7, s6, 31
	s_delay_alu instid0(VALU_DEP_2) | instskip(SKIP_2) | instid1(SALU_CYCLE_1)
	v_ashrrev_i32_e32 v4, 31, v3
	v_cndmask_b32_e32 v5, s3, v5, vcc_lo
	s_lshl_b64 s[6:7], s[6:7], 1
	s_add_u32 s15, s8, s6
	s_delay_alu instid0(VALU_DEP_2) | instskip(NEXT) | instid1(VALU_DEP_2)
	v_lshlrev_b64 v[3:4], 2, v[3:4]
	v_ashrrev_i32_e32 v6, 31, v5
	s_addc_u32 s28, s9, s7
	s_lshl_b32 s8, s14, 3
	s_delay_alu instid0(SALU_CYCLE_1) | instskip(NEXT) | instid1(VALU_DEP_1)
	s_ashr_i32 s9, s8, 31
	v_lshlrev_b64 v[5:6], 2, v[5:6]
	v_add_co_u32 v3, vcc_lo, s4, v3
	v_add_co_ci_u32_e32 v4, vcc_lo, s17, v4, vcc_lo
	s_lshl_b64 s[8:9], s[8:9], 2
	s_delay_alu instid0(VALU_DEP_3) | instskip(NEXT) | instid1(VALU_DEP_4)
	v_add_co_u32 v5, vcc_lo, s4, v5
	v_add_co_ci_u32_e32 v6, vcc_lo, s17, v6, vcc_lo
	s_add_u32 s8, s4, s8
	s_clause 0x1
	global_load_b32 v7, v[3:4], off
	global_load_b32 v8, v[5:6], off
	s_addc_u32 s9, s17, s9
	s_or_b32 s12, s16, 32
	s_delay_alu instid0(SALU_CYCLE_1) | instskip(SKIP_2) | instid1(SALU_CYCLE_1)
	s_ashr_i32 s13, s12, 5
	s_cmp_lt_i32 s12, s18
	s_cselect_b32 s12, s13, s3
	s_ashr_i32 s13, s12, 31
	s_delay_alu instid0(SALU_CYCLE_1) | instskip(NEXT) | instid1(SALU_CYCLE_1)
	s_lshl_b64 s[12:13], s[12:13], 2
	s_add_u32 s12, s4, s12
	s_addc_u32 s13, s17, s13
	s_or_b32 s20, s16, 64
	s_delay_alu instid0(SALU_CYCLE_1) | instskip(SKIP_2) | instid1(SALU_CYCLE_1)
	s_ashr_i32 s21, s20, 5
	s_cmp_lt_i32 s20, s18
	s_cselect_b32 s20, s21, s3
	s_ashr_i32 s21, s20, 31
	s_delay_alu instid0(SALU_CYCLE_1) | instskip(NEXT) | instid1(SALU_CYCLE_1)
	s_lshl_b64 s[20:21], s[20:21], 2
	s_add_u32 s20, s4, s20
	;; [unrolled: 10-line block ×5, first 2 shown]
	s_addc_u32 s27, s17, s27
	s_clause 0x5
	s_load_b32 s29, s[8:9], 0x0
	s_load_b32 s30, s[12:13], 0x0
	;; [unrolled: 1-line block ×6, first 2 shown]
	s_or_b32 s8, s16, 0xc0
	s_mov_b32 s20, 0
	s_ashr_i32 s9, s8, 5
	s_cmp_lt_i32 s8, s18
	s_mov_b32 s27, s20
	s_cselect_b32 s8, s9, s3
	s_mov_b32 s21, s20
	s_ashr_i32 s9, s8, 31
	s_mov_b32 s22, s20
	s_lshl_b64 s[8:9], s[8:9], 2
	s_mov_b32 s23, s20
	s_add_u32 s8, s4, s8
	s_mov_b32 s24, s20
	s_mov_b32 s25, s20
	s_mov_b32 s26, s20
	s_addc_u32 s9, s17, s9
	v_dual_mov_b32 v128, s27 :: v_dual_mov_b32 v127, s26
	v_dual_mov_b32 v126, s25 :: v_dual_mov_b32 v125, s24
	;; [unrolled: 1-line block ×3, first 2 shown]
	v_mov_b32_e32 v121, s20
	s_waitcnt lgkmcnt(0)
	s_mul_hi_i32 s13, s29, s5
	s_mul_i32 s12, s29, s5
	v_mov_b32_e32 v122, s21
	s_mul_hi_i32 s21, s30, s5
	s_mul_i32 s20, s30, s5
	s_mul_hi_i32 s25, s35, s5
	s_mul_i32 s24, s35, s5
	;; [unrolled: 2-line block ×3, first 2 shown]
	s_mul_i32 s36, s38, s5
	s_waitcnt vmcnt(1)
	v_mad_i64_i32 v[3:4], null, v7, s5, 0
	s_waitcnt vmcnt(0)
	v_mad_i64_i32 v[5:6], null, v8, s5, 0
	s_delay_alu instid0(VALU_DEP_2) | instskip(NEXT) | instid1(VALU_DEP_2)
	v_lshlrev_b64 v[3:4], 1, v[3:4]
	v_lshlrev_b64 v[1:2], 1, v[5:6]
	s_delay_alu instid0(VALU_DEP_2) | instskip(NEXT) | instid1(VALU_DEP_3)
	v_add_co_u32 v3, vcc_lo, s15, v3
	v_add_co_ci_u32_e32 v4, vcc_lo, s28, v4, vcc_lo
	s_delay_alu instid0(VALU_DEP_3) | instskip(NEXT) | instid1(VALU_DEP_4)
	v_add_co_u32 v1, vcc_lo, s15, v1
	v_add_co_ci_u32_e32 v2, vcc_lo, s28, v2, vcc_lo
	s_delay_alu instid0(VALU_DEP_4) | instskip(NEXT) | instid1(VALU_DEP_4)
	v_add_co_u32 v25, vcc_lo, v3, v73
	v_add_co_ci_u32_e32 v26, vcc_lo, v4, v74, vcc_lo
	s_delay_alu instid0(VALU_DEP_4) | instskip(NEXT) | instid1(VALU_DEP_4)
	v_add_co_u32 v27, vcc_lo, v1, v73
	v_add_co_ci_u32_e32 v28, vcc_lo, v2, v74, vcc_lo
	s_clause 0xf
	global_load_b128 v[1:4], v[25:26], off
	global_load_b128 v[5:8], v[25:26], off offset:512
	global_load_b128 v[9:12], v[27:28], off offset:256
	;; [unrolled: 1-line block ×15, first 2 shown]
	v_mul_lo_u16 v25, v77, 43
	s_or_b32 s15, s16, 0xe0
	s_delay_alu instid0(SALU_CYCLE_1) | instskip(SKIP_1) | instid1(VALU_DEP_1)
	s_ashr_i32 s22, s15, 5
	s_cmp_lt_i32 s15, s18
	v_lshrrev_b16 v25, 8, v25
	s_cselect_b32 s22, s22, s3
	s_delay_alu instid0(SALU_CYCLE_1) | instskip(NEXT) | instid1(VALU_DEP_1)
	s_ashr_i32 s23, s22, 31
	v_mul_lo_u16 v25, v25, 6
	s_lshl_b64 s[22:23], s[22:23], 2
	s_delay_alu instid0(SALU_CYCLE_1) | instskip(SKIP_1) | instid1(VALU_DEP_1)
	s_add_u32 s22, s4, s22
	s_addc_u32 s23, s17, s23
	v_sub_nc_u16 v25, v77, v25
	s_add_i32 s15, s16, 0x100
	s_delay_alu instid0(SALU_CYCLE_1) | instskip(SKIP_1) | instid1(VALU_DEP_1)
	s_ashr_i32 s28, s15, 5
	s_cmp_lt_i32 s15, s18
	v_and_b32_e32 v25, 0xff, v25
	s_cselect_b32 s28, s28, s3
	s_delay_alu instid0(SALU_CYCLE_1) | instskip(NEXT) | instid1(VALU_DEP_1)
	s_ashr_i32 s29, s28, 31
	v_lshlrev_b32_e32 v151, 6, v25
	ds_load_b128 v[25:28], v151
	ds_load_b128 v[29:32], v151 offset:1024
	ds_load_b128 v[129:132], v151 offset:2048
	;; [unrolled: 1-line block ×3, first 2 shown]
	s_load_b32 s15, s[8:9], 0x0
	s_mul_hi_i32 s9, s37, s5
	s_lshl_b64 s[28:29], s[28:29], 2
	s_mul_i32 s8, s37, s5
	s_add_u32 s28, s4, s28
	s_addc_u32 s29, s17, s29
	s_add_u32 s3, s10, s6
	s_clause 0x1
	s_load_b32 s4, s[22:23], 0x0
	s_load_b32 s17, s[28:29], 0x0
	s_addc_u32 s28, s11, s7
	v_add_co_u32 v152, s3, s3, v33
	s_delay_alu instid0(VALU_DEP_1) | instskip(SKIP_2) | instid1(VALU_DEP_2)
	v_add_co_ci_u32_e64 v153, null, s28, 0, s3
	s_lshl_b64 s[6:7], s[12:13], 1
	s_lshl_b64 s[10:11], s[20:21], 1
	v_add_co_u32 v33, vcc_lo, v152, s6
	s_delay_alu instid0(VALU_DEP_2)
	v_add_co_ci_u32_e32 v34, vcc_lo, s7, v153, vcc_lo
	v_add_co_u32 v35, vcc_lo, v152, s10
	s_lshl_b64 s[12:13], s[24:25], 1
	v_add_co_ci_u32_e32 v36, vcc_lo, s11, v153, vcc_lo
	v_add_co_u32 v37, vcc_lo, v152, s12
	s_lshl_b64 s[20:21], s[26:27], 1
	;; [unrolled: 3-line block ×3, first 2 shown]
	s_mul_hi_i32 s37, s38, s5
	v_add_co_ci_u32_e32 v40, vcc_lo, s21, v153, vcc_lo
	v_add_co_u32 v145, vcc_lo, v152, s8
	s_lshl_b64 s[22:23], s[36:37], 1
	s_waitcnt lgkmcnt(0)
	s_mul_hi_i32 s25, s15, s5
	s_mul_i32 s24, s15, s5
	v_add_co_ci_u32_e32 v146, vcc_lo, s9, v153, vcc_lo
	v_add_co_u32 v147, vcc_lo, v152, s22
	s_lshl_b64 s[24:25], s[24:25], 1
	v_add_co_ci_u32_e32 v148, vcc_lo, s23, v153, vcc_lo
	s_mul_hi_i32 s7, s4, s5
	s_mul_i32 s6, s4, s5
	v_add_co_u32 v149, vcc_lo, v152, s24
	s_lshl_b64 s[6:7], s[6:7], 1
	v_add_co_ci_u32_e32 v150, vcc_lo, s25, v153, vcc_lo
	s_clause 0x7
	global_load_b128 v[65:68], v[33:34], off
	global_load_b128 v[69:72], v[33:34], off offset:16
	global_load_b128 v[57:60], v[35:36], off
	global_load_b128 v[61:64], v[35:36], off offset:16
	;; [unrolled: 2-line block ×4, first 2 shown]
	s_waitcnt vmcnt(22)
	v_wmma_f32_16x16x16_f16 v[137:144], v[1:8], v[25:32], v[121:128]
	s_waitcnt vmcnt(20)
	v_wmma_f32_16x16x16_f16 v[121:128], v[9:16], v[25:32], v[121:128]
	v_add_co_u32 v29, vcc_lo, v152, s6
	v_add_co_ci_u32_e32 v30, vcc_lo, s7, v153, vcc_lo
	s_mul_hi_i32 s7, s17, s5
	s_mul_i32 s6, s17, s5
	s_waitcnt vmcnt(18)
	v_wmma_f32_16x16x16_f16 v[137:144], v[17:24], v[129:136], v[137:144]
	s_lshl_b64 s[4:5], s[6:7], 1
	s_clause 0x1
	global_load_b128 v[9:12], v[145:146], off
	global_load_b128 v[13:16], v[145:146], off offset:16
	v_add_co_u32 v21, vcc_lo, v152, s4
	v_add_co_ci_u32_e32 v22, vcc_lo, s5, v153, vcc_lo
	s_clause 0x7
	global_load_b128 v[1:4], v[147:148], off
	global_load_b128 v[5:8], v[147:148], off offset:16
	global_load_b128 v[33:36], v[149:150], off
	global_load_b128 v[37:40], v[149:150], off offset:16
	global_load_b128 v[25:28], v[29:30], off
	global_load_b128 v[29:32], v[29:30], off offset:16
	global_load_b128 v[17:20], v[21:22], off
	global_load_b128 v[21:24], v[21:22], off offset:16
	s_waitcnt vmcnt(26)
	v_wmma_f32_16x16x16_f16 v[121:128], v[81:88], v[129:136], v[121:128]
	ds_load_b128 v[81:84], v151 offset:4096
	ds_load_b128 v[85:88], v151 offset:5120
	v_mbcnt_lo_u32_b32 v130, -1, 0
	s_delay_alu instid0(VALU_DEP_1) | instskip(NEXT) | instid1(VALU_DEP_1)
	v_xor_b32_e32 v131, 16, v130
	v_cmp_gt_i32_e32 vcc_lo, 32, v131
	v_cndmask_b32_e32 v130, v130, v131, vcc_lo
	s_waitcnt vmcnt(24) lgkmcnt(0)
	v_wmma_f32_16x16x16_f16 v[137:144], v[89:96], v[81:88], v[137:144]
	ds_load_b128 v[89:92], v151 offset:6144
	ds_load_b128 v[93:96], v151 offset:7168
	s_waitcnt vmcnt(22)
	v_wmma_f32_16x16x16_f16 v[121:128], v[97:104], v[81:88], v[121:128]
	s_waitcnt vmcnt(0) lgkmcnt(0)
	s_barrier
	buffer_gl0_inv
	v_wmma_f32_16x16x16_f16 v[137:144], v[105:112], v[89:96], v[137:144]
	v_and_b32_e32 v129, 0xe0, v0
	v_wmma_f32_16x16x16_f16 v[121:128], v[113:120], v[89:96], v[121:128]
	s_delay_alu instid0(VALU_DEP_3) | instskip(NEXT) | instid1(VALU_DEP_2)
	v_mul_f32_e32 v96, s19, v137
	v_dual_mul_f32 v102, s19, v128 :: v_dual_add_nc_u32 v129, s16, v129
	v_mul_f32_e32 v95, s19, v138
	s_delay_alu instid0(VALU_DEP_4) | instskip(NEXT) | instid1(VALU_DEP_3)
	v_dual_mul_f32 v93, s19, v140 :: v_dual_mul_f32 v108, s19, v122
	v_or_b32_e32 v129, v129, v75
	v_dual_mul_f32 v94, s19, v139 :: v_dual_mul_f32 v91, s19, v142
	v_mul_f32_e32 v106, s19, v124
	v_mul_f32_e32 v92, s19, v141
	s_delay_alu instid0(VALU_DEP_4)
	v_or_b32_e32 v131, 2, v129
	v_or_b32_e32 v132, 4, v129
	;; [unrolled: 1-line block ×3, first 2 shown]
	v_cmp_gt_i32_e32 vcc_lo, s18, v129
	v_or_b32_e32 v82, 8, v129
	v_cmp_gt_i32_e64 s3, s18, v131
	v_or_b32_e32 v83, 10, v129
	v_cmp_gt_i32_e64 s4, s18, v132
	v_cndmask_b32_e32 v96, 0xff7fffff, v96, vcc_lo
	v_cmp_gt_i32_e64 s5, s18, v81
	v_cndmask_b32_e64 v95, 0xff7fffff, v95, s3
	v_or_b32_e32 v84, 12, v129
	v_or_b32_e32 v85, 14, v129
	v_cndmask_b32_e64 v94, 0xff7fffff, v94, s4
	v_cndmask_b32_e64 v81, 0xff7fffff, v93, s5
	v_max3_f32 v93, v96, 0xff7fffff, v95
	v_cmp_gt_i32_e64 s6, s18, v82
	v_cmp_gt_i32_e64 s7, s18, v83
	v_or_b32_e32 v86, 16, v129
	v_or_b32_e32 v87, 18, v129
	v_dual_mul_f32 v89, s19, v144 :: v_dual_mul_f32 v104, s19, v126
	v_mul_f32_e32 v90, s19, v143
	v_cndmask_b32_e64 v82, 0xff7fffff, v92, s6
	v_cndmask_b32_e64 v83, 0xff7fffff, v91, s7
	v_max3_f32 v81, v93, v94, v81
	v_cmp_gt_i32_e64 s8, s18, v84
	v_cmp_gt_i32_e64 s9, s18, v85
	v_or_b32_e32 v88, 20, v129
	v_or_b32_e32 v97, 22, v129
	v_mul_f32_e32 v109, s19, v121
	v_cndmask_b32_e64 v84, 0xff7fffff, v90, s8
	v_cndmask_b32_e64 v85, 0xff7fffff, v89, s9
	v_max3_f32 v81, v81, v82, v83
	v_cmp_gt_i32_e64 s10, s18, v86
	v_cmp_gt_i32_e64 s11, s18, v87
	v_or_b32_e32 v98, 24, v129
	v_or_b32_e32 v99, 26, v129
	;; [unrolled: 8-line block ×3, first 2 shown]
	v_mul_f32_e32 v105, s19, v125
	v_cndmask_b32_e64 v84, 0xff7fffff, v107, s12
	v_cndmask_b32_e64 v85, 0xff7fffff, v106, s13
	v_max3_f32 v81, v81, v82, v83
	v_cmp_gt_i32_e64 s15, s18, v98
	v_cmp_gt_i32_e64 s16, s18, v99
	v_mul_f32_e32 v103, s19, v127
	v_cmp_gt_i32_e64 s17, s18, v100
	v_max3_f32 v81, v81, v84, v85
	v_cndmask_b32_e64 v82, 0xff7fffff, v105, s15
	v_cndmask_b32_e64 v83, 0xff7fffff, v104, s16
	v_cmp_gt_i32_e64 s18, s18, v101
	v_cndmask_b32_e64 v84, 0xff7fffff, v103, s17
	s_delay_alu instid0(VALU_DEP_3) | instskip(NEXT) | instid1(VALU_DEP_3)
	v_max3_f32 v81, v81, v82, v83
	v_cndmask_b32_e64 v85, 0xff7fffff, v102, s18
	v_lshlrev_b32_e32 v83, 2, v130
	s_delay_alu instid0(VALU_DEP_2) | instskip(SKIP_3) | instid1(VALU_DEP_1)
	v_max3_f32 v81, v81, v84, v85
	ds_bpermute_b32 v82, v83, v81
	s_waitcnt lgkmcnt(0)
	v_max_f32_e32 v82, v82, v82
	v_max_f32_e32 v81, v81, v82
	s_delay_alu instid0(VALU_DEP_1) | instskip(SKIP_2) | instid1(VALU_DEP_3)
	v_fma_f32 v82, s19, v137, -v81
	v_fma_f32 v84, s19, v138, -v81
	;; [unrolled: 1-line block ×3, first 2 shown]
	v_mul_f32_e32 v82, 0x3fb8aa3b, v82
	s_delay_alu instid0(VALU_DEP_2) | instskip(NEXT) | instid1(VALU_DEP_2)
	v_dual_mul_f32 v84, 0x3fb8aa3b, v84 :: v_dual_mul_f32 v89, 0x3fb8aa3b, v87
	v_exp_f32_e32 v82, v82
	s_delay_alu instid0(VALU_DEP_1) | instskip(SKIP_4) | instid1(VALU_DEP_2)
	v_exp_f32_e32 v84, v84
	s_waitcnt_depctr 0xfff
	v_cndmask_b32_e32 v88, 0, v82, vcc_lo
	v_cndmask_b32_e64 v87, 0, v84, s3
	s_mov_b32 s3, exec_lo
	v_add_f32_e32 v84, 0, v88
	s_delay_alu instid0(VALU_DEP_1)
	v_add_f32_e32 v84, v84, v87
	v_fma_f32 v85, s19, v139, -v81
	v_fma_f32 v82, s19, v142, -v81
	;; [unrolled: 1-line block ×5, first 2 shown]
	s_delay_alu instid0(VALU_DEP_4) | instskip(NEXT) | instid1(VALU_DEP_4)
	v_dual_mul_f32 v85, 0x3fb8aa3b, v85 :: v_dual_mul_f32 v82, 0x3fb8aa3b, v82
	v_mul_f32_e32 v86, 0x3fb8aa3b, v86
	v_fma_f32 v96, s19, v124, -v81
	v_fma_f32 v99, s19, v127, -v81
	s_delay_alu instid0(VALU_DEP_4) | instskip(SKIP_4) | instid1(VALU_DEP_2)
	v_exp_f32_e32 v85, v85
	v_exp_f32_e32 v82, v82
	;; [unrolled: 1-line block ×3, first 2 shown]
	v_mul_f32_e32 v95, 0x3fb8aa3b, v94
	v_mul_f32_e32 v97, 0x3fb8aa3b, v96
	v_exp_f32_e32 v95, v95
	s_delay_alu instid0(VALU_DEP_1) | instskip(SKIP_2) | instid1(VALU_DEP_2)
	v_exp_f32_e32 v97, v97
	v_cndmask_b32_e64 v90, 0, v85, s4
	v_fma_f32 v85, s19, v144, -v81
	v_add_f32_e32 v84, v84, v90
	v_exp_f32_e32 v92, v89
	v_cndmask_b32_e64 v89, 0, v86, s5
	v_mul_f32_e32 v91, 0x3fb8aa3b, v91
	v_fma_f32 v86, s19, v121, -v81
	v_mul_f32_e32 v85, 0x3fb8aa3b, v85
	v_cndmask_b32_e64 v95, 0, v95, s11
	v_add_f32_e32 v84, v84, v89
	v_exp_f32_e32 v93, v91
	v_mul_f32_e32 v86, 0x3fb8aa3b, v86
	v_exp_f32_e32 v85, v85
	v_cndmask_b32_e64 v92, 0, v92, s6
	v_cndmask_b32_e64 v91, 0, v82, s7
	;; [unrolled: 1-line block ×3, first 2 shown]
	v_exp_f32_e32 v86, v86
	s_delay_alu instid0(VALU_DEP_3) | instskip(SKIP_1) | instid1(TRANS32_DEP_3)
	v_add_f32_e32 v82, v84, v92
	v_fma_f32 v84, s19, v123, -v81
	v_cndmask_b32_e64 v94, 0, v93, s8
	s_delay_alu instid0(TRANS32_DEP_2) | instskip(SKIP_1) | instid1(VALU_DEP_4)
	v_cndmask_b32_e64 v93, 0, v85, s9
	v_fma_f32 v85, s19, v125, -v81
	v_mul_f32_e32 v84, 0x3fb8aa3b, v84
	v_add_f32_e32 v82, v82, v91
	s_delay_alu instid0(TRANS32_DEP_1) | instskip(SKIP_3) | instid1(VALU_DEP_2)
	v_cndmask_b32_e64 v96, 0, v86, s10
	v_fma_f32 v86, s19, v126, -v81
	v_mul_f32_e32 v85, 0x3fb8aa3b, v85
	v_exp_f32_e32 v84, v84
	v_mul_f32_e32 v86, 0x3fb8aa3b, v86
	s_delay_alu instid0(VALU_DEP_2) | instskip(NEXT) | instid1(VALU_DEP_1)
	v_exp_f32_e32 v85, v85
	v_exp_f32_e32 v86, v86
	s_delay_alu instid0(TRANS32_DEP_3)
	v_cndmask_b32_e64 v98, 0, v84, s12
	v_mul_f32_e32 v84, 0x3fb8aa3b, v99
	v_fma_f32 v99, s19, v128, -v81
	v_add_f32_e32 v82, v82, v94
	s_waitcnt_depctr 0xfff
	v_cndmask_b32_e64 v100, 0, v85, s15
	v_exp_f32_e32 v84, v84
	v_dual_mul_f32 v85, 0x3fb8aa3b, v99 :: v_dual_add_f32 v82, v82, v93
	v_cndmask_b32_e64 v99, 0, v86, s16
	s_delay_alu instid0(VALU_DEP_2) | instskip(NEXT) | instid1(VALU_DEP_2)
	v_exp_f32_e32 v85, v85
	v_add_f32_e32 v82, v82, v96
	s_waitcnt_depctr 0xfff
	v_cndmask_b32_e64 v102, 0, v84, s17
	v_add_f32_e32 v82, v82, v95
	v_cndmask_b32_e64 v101, 0, v85, s18
	s_delay_alu instid0(VALU_DEP_2) | instskip(NEXT) | instid1(VALU_DEP_1)
	v_add_f32_e32 v82, v82, v98
	v_add_f32_e32 v82, v82, v97
	s_delay_alu instid0(VALU_DEP_1) | instskip(NEXT) | instid1(VALU_DEP_1)
	v_add_f32_e32 v82, v82, v100
	v_add_f32_e32 v82, v82, v99
	s_delay_alu instid0(VALU_DEP_1) | instskip(NEXT) | instid1(VALU_DEP_1)
	v_add_f32_e32 v82, v82, v102
	v_add_f32_e32 v82, v82, v101
	ds_bpermute_b32 v83, v83, v82
	v_cmpx_gt_u32_e32 16, v80
	s_cbranch_execz .LBB139_14
; %bb.13:
	v_mul_u32_u24_e32 v80, 0x44, v79
	s_waitcnt lgkmcnt(0)
	v_add_f32_e32 v82, v82, v83
	s_delay_alu instid0(VALU_DEP_2) | instskip(NEXT) | instid1(VALU_DEP_1)
	v_lshl_add_u32 v80, v77, 2, v80
	v_add_nc_u32_e32 v80, 0x4000, v80
	ds_store_2addr_b32 v80, v81, v82 offset1:136
.LBB139_14:
	s_or_b32 exec_lo, exec_lo, s3
	v_lshlrev_b32_e32 v80, 2, v77
	s_load_b32 s35, s[0:1], 0x94
	s_waitcnt lgkmcnt(0)
	s_barrier
	buffer_gl0_inv
	v_add_nc_u32_e32 v84, 0x4000, v80
	v_cmp_eq_u32_e32 vcc_lo, 1, v79
	v_cmp_eq_u32_e64 s3, 2, v79
	v_cmp_eq_u32_e64 s4, 3, v79
	;; [unrolled: 1-line block ×3, first 2 shown]
	ds_load_2addr_b32 v[80:81], v84 offset1:17
	ds_load_2addr_b32 v[82:83], v84 offset0:34 offset1:51
	ds_load_2addr_b32 v[103:104], v84 offset0:68 offset1:85
	;; [unrolled: 1-line block ×3, first 2 shown]
	v_cmp_eq_u32_e64 s6, 7, v79
	s_waitcnt lgkmcnt(3)
	v_max3_f32 v85, v80, 0xff7fffff, v81
	s_waitcnt lgkmcnt(2)
	s_delay_alu instid0(VALU_DEP_1) | instskip(SKIP_1) | instid1(VALU_DEP_1)
	v_max3_f32 v85, v85, v82, v83
	s_waitcnt lgkmcnt(1)
	v_max3_f32 v85, v85, v103, v104
	s_waitcnt lgkmcnt(0)
	s_delay_alu instid0(VALU_DEP_1) | instskip(NEXT) | instid1(VALU_DEP_1)
	v_max3_f32 v85, v85, v105, v106
	v_sub_f32_e32 v103, v103, v85
	ds_load_2addr_b32 v[107:108], v84 offset0:136 offset1:153
	v_sub_f32_e32 v80, v80, v85
	v_dual_sub_f32 v110, v83, v85 :: v_dual_mul_f32 v113, 0x3fb8aa3b, v103
	s_delay_alu instid0(VALU_DEP_2) | instskip(SKIP_3) | instid1(VALU_DEP_1)
	v_dual_sub_f32 v86, v81, v85 :: v_dual_mul_f32 v109, 0x3fb8aa3b, v80
	ds_load_2addr_b32 v[80:81], v84 offset0:170 offset1:187
	v_mul_f32_e32 v86, 0x3fb8aa3b, v86
	v_exp_f32_e32 v109, v109
	v_exp_f32_e32 v112, v86
	v_mul_f32_e32 v110, 0x3fb8aa3b, v110
	s_waitcnt lgkmcnt(1)
	s_waitcnt_depctr 0xfff
	v_fma_f32 v86, v109, v107, 0
	v_sub_f32_e32 v107, v104, v85
	v_sub_f32_e32 v82, v82, v85
	v_exp_f32_e32 v110, v110
	ds_load_2addr_b32 v[103:104], v84 offset0:238 offset1:255
	v_dual_fmac_f32 v86, v112, v108 :: v_dual_mul_f32 v111, 0x3fb8aa3b, v82
	ds_load_2addr_b32 v[82:83], v84 offset0:204 offset1:221
	v_dual_sub_f32 v84, v105, v85 :: v_dual_mul_f32 v105, 0x3fb8aa3b, v107
	v_exp_f32_e32 v107, v113
	v_exp_f32_e32 v111, v111
	s_waitcnt lgkmcnt(0)
	s_delay_alu instid0(VALU_DEP_1)
	v_mul_f32_e32 v84, 0x3fb8aa3b, v84
	v_exp_f32_e32 v105, v105
	s_barrier
	buffer_gl0_inv
	v_fmac_f32_e32 v86, v111, v80
	v_sub_f32_e32 v80, v106, v85
	v_exp_f32_e32 v106, v84
	s_delay_alu instid0(VALU_DEP_2) | instskip(NEXT) | instid1(VALU_DEP_2)
	v_fmac_f32_e32 v86, v110, v81
	v_mul_f32_e32 v80, 0x3fb8aa3b, v80
	s_delay_alu instid0(VALU_DEP_2) | instskip(NEXT) | instid1(VALU_DEP_2)
	v_dual_cndmask_b32 v81, v109, v112 :: v_dual_fmac_f32 v86, v107, v82
	v_exp_f32_e32 v108, v80
	s_delay_alu instid0(VALU_DEP_1) | instskip(SKIP_2) | instid1(VALU_DEP_1)
	v_fmac_f32_e32 v86, v105, v83
	s_waitcnt_depctr 0xfff
	v_fmac_f32_e32 v86, v106, v103
	v_fmac_f32_e32 v86, v108, v104
	s_delay_alu instid0(VALU_DEP_1) | instskip(NEXT) | instid1(VALU_DEP_1)
	v_add_f32_e32 v103, 0x358637bd, v86
	v_div_scale_f32 v104, null, v103, v103, 1.0
	v_div_scale_f32 v109, vcc_lo, 1.0, v103, 1.0
	s_delay_alu instid0(VALU_DEP_2) | instskip(SKIP_2) | instid1(VALU_DEP_1)
	v_rcp_f32_e32 v113, v104
	s_waitcnt_depctr 0xfff
	v_fma_f32 v80, -v104, v113, 1.0
	v_fmac_f32_e32 v113, v80, v113
	v_cndmask_b32_e64 v80, v81, v111, s3
	v_cmp_eq_u32_e64 s3, 4, v79
	v_lshl_or_b32 v81, v79, 11, v78
	s_delay_alu instid0(VALU_DEP_4) | instskip(NEXT) | instid1(VALU_DEP_4)
	v_mul_f32_e32 v111, v109, v113
	v_cndmask_b32_e64 v82, v80, v110, s4
	v_cmp_eq_u32_e64 s4, 6, v79
	s_delay_alu instid0(VALU_DEP_4) | instskip(SKIP_3) | instid1(VALU_DEP_3)
	v_lshl_or_b32 v79, v75, 4, v81
	v_lshlrev_b32_e32 v80, 2, v75
	v_fma_f32 v83, -v104, v111, v109
	v_cndmask_b32_e64 v84, v82, v107, s3
	v_or_b32_e32 v82, 1, v80
	s_delay_alu instid0(VALU_DEP_3) | instskip(NEXT) | instid1(VALU_DEP_3)
	v_fmac_f32_e32 v111, v83, v113
	v_cndmask_b32_e64 v105, v84, v105, s5
	v_or_b32_e32 v84, 2, v80
	v_or_b32_e32 v83, 3, v80
	v_cmp_eq_u32_e64 s3, 1, v80
	v_fma_f32 v104, -v104, v111, v109
	v_cndmask_b32_e64 v105, v105, v106, s4
	v_cmp_eq_u32_e64 s9, 1, v82
	v_cmp_eq_u32_e64 s10, 1, v84
	v_cmp_eq_u32_e64 s11, 1, v83
	v_div_fmas_f32 v104, v104, v113, v111
	v_cndmask_b32_e64 v105, v105, v108, s6
	v_cmp_eq_u32_e32 vcc_lo, 2, v80
	v_cmp_eq_u32_e64 s12, 2, v82
	v_cmp_eq_u32_e64 s15, 2, v84
	v_div_fixup_f32 v103, v104, v103, 1.0
	v_cmp_eq_u32_e64 s16, 2, v83
	v_cmp_eq_u32_e64 s18, 3, v83
	v_cmp_eq_u32_e64 s4, 3, v80
	v_cmp_eq_u32_e64 s13, 3, v82
	v_mul_f32_e32 v111, v105, v103
	v_cmp_eq_u32_e64 s17, 3, v84
	v_cmp_eq_u32_e64 s22, 4, v83
	;; [unrolled: 1-line block ×4, first 2 shown]
	v_fma_mixlo_f16 v103, v111, v88, 0
	v_fma_mixlo_f16 v104, v111, v90, 0
	;; [unrolled: 1-line block ×8, first 2 shown]
	v_fma_mixhi_f16 v103, v111, v87, 0
	v_fma_mixhi_f16 v104, v111, v89, 0
	;; [unrolled: 1-line block ×8, first 2 shown]
	ds_store_b128 v79, v[103:106]
	ds_store_b128 v79, v[107:110] offset:1024
	s_waitcnt lgkmcnt(0)
	s_barrier
	buffer_gl0_inv
	ds_load_b128 v[87:90], v81
	ds_load_b128 v[91:94], v81 offset:16
	ds_load_b128 v[95:98], v81 offset:1024
	;; [unrolled: 1-line block ×3, first 2 shown]
	v_cmp_eq_u32_e64 s21, 4, v84
	v_cmp_eq_u32_e64 s24, 5, v83
	;; [unrolled: 1-line block ×13, first 2 shown]
	s_waitcnt lgkmcnt(3)
	v_lshrrev_b32_e32 v103, 16, v87
	s_waitcnt lgkmcnt(2)
	v_lshrrev_b32_e32 v107, 16, v91
	;; [unrolled: 2-line block ×4, first 2 shown]
	v_lshrrev_b32_e32 v104, 16, v88
	v_cndmask_b32_e64 v119, v87, v103, s3
	v_cndmask_b32_e64 v120, v91, v107, s3
	;; [unrolled: 1-line block ×8, first 2 shown]
	v_lshrrev_b32_e32 v108, 16, v92
	v_cndmask_b32_e64 v103, v95, v111, s3
	v_cndmask_b32_e64 v107, v99, v115, s3
	;; [unrolled: 1-line block ×5, first 2 shown]
	v_cndmask_b32_e32 v111, v119, v88, vcc_lo
	v_cndmask_b32_e64 v119, v121, v88, s12
	v_cndmask_b32_e64 v121, v123, v88, s15
	v_cndmask_b32_e64 v87, v87, v88, s16
	v_cndmask_b32_e64 v88, v91, v92, s16
	v_lshrrev_b32_e32 v112, 16, v96
	v_lshrrev_b32_e32 v116, 16, v100
	v_cndmask_b32_e64 v126, v99, v115, s9
	v_cndmask_b32_e64 v128, v99, v115, s10
	;; [unrolled: 1-line block ×3, first 2 shown]
	v_cndmask_b32_e32 v115, v120, v92, vcc_lo
	v_cndmask_b32_e64 v120, v122, v92, s12
	v_cndmask_b32_e64 v122, v124, v92, s15
	v_cndmask_b32_e32 v91, v103, v96, vcc_lo
	v_cndmask_b32_e32 v92, v107, v100, vcc_lo
	v_cndmask_b32_e64 v103, v125, v96, s12
	v_cndmask_b32_e64 v87, v87, v104, s18
	;; [unrolled: 1-line block ×3, first 2 shown]
	v_lshrrev_b32_e32 v105, 16, v89
	v_lshrrev_b32_e32 v109, 16, v93
	v_cndmask_b32_e64 v107, v127, v96, s15
	v_cndmask_b32_e64 v95, v95, v96, s16
	;; [unrolled: 1-line block ×14, first 2 shown]
	v_lshrrev_b32_e32 v113, 16, v97
	v_cndmask_b32_e64 v99, v99, v89, s5
	v_cndmask_b32_e64 v104, v111, v93, s5
	;; [unrolled: 1-line block ×11, first 2 shown]
	v_lshrrev_b32_e32 v106, 16, v90
	v_lshrrev_b32_e32 v110, 16, v94
	v_cndmask_b32_e64 v93, v99, v105, s6
	v_cndmask_b32_e64 v99, v104, v109, s6
	;; [unrolled: 1-line block ×9, first 2 shown]
	v_lshrrev_b32_e32 v114, 16, v98
	v_cndmask_b32_e64 v89, v89, v113, s6
	v_cndmask_b32_e64 v93, v93, v90, s7
	;; [unrolled: 1-line block ×19, first 2 shown]
	v_perm_b32 v90, v88, v87, 0x5040100
	v_cndmask_b32_e64 v87, v126, v100, s12
	v_cndmask_b32_e64 v105, v89, v114, s8
	v_perm_b32 v89, v103, v99, 0x5040100
	v_perm_b32 v88, v104, v94, 0x5040100
	v_cndmask_b32_e64 v94, v107, v112, s17
	v_cndmask_b32_e64 v95, v95, v112, s18
	;; [unrolled: 1-line block ×5, first 2 shown]
	v_lshrrev_b32_e32 v117, 16, v101
	v_cndmask_b32_e64 v94, v94, v97, s21
	v_cndmask_b32_e64 v95, v95, v97, s22
	v_cndmask_b32_e64 v96, v96, v101, s22
	v_cndmask_b32_e64 v97, v99, v101, s21
	v_cndmask_b32_e64 v87, v87, v101, s19
	v_cndmask_b32_e64 v91, v91, v117, s6
	v_cndmask_b32_e64 v94, v94, v113, s23
	v_cndmask_b32_e64 v95, v95, v113, s24
	v_cndmask_b32_e64 v96, v96, v117, s24
	v_cndmask_b32_e64 v97, v97, v117, s23
	v_cndmask_b32_e64 v87, v87, v117, s20
	v_lshrrev_b32_e32 v118, 16, v102
	v_cndmask_b32_e64 v91, v91, v102, s7
	v_cndmask_b32_e64 v94, v94, v98, s26
	;; [unrolled: 1-line block ×12, first 2 shown]
	v_perm_b32 v87, v93, v92, 0x5040100
	v_perm_b32 v94, v95, v94, 0x5040100
	;; [unrolled: 1-line block ×5, first 2 shown]
	s_mul_i32 s7, s33, 6
	s_mov_b32 s3, exec_lo
	ds_store_b128 v79, v[87:90]
	ds_store_b128 v79, v[91:94] offset:1024
	v_cmpx_gt_u32_e32 6, v0
	s_cbranch_execz .LBB139_16
; %bb.15:
	s_mul_i32 s4, s7, s34
	s_load_b128 s[8:11], s[0:1], 0x58
	v_add3_u32 v77, s4, s31, v77
	s_delay_alu instid0(VALU_DEP_1) | instskip(NEXT) | instid1(VALU_DEP_1)
	v_mad_u64_u32 v[87:88], null, v77, s35, s[14:15]
	v_ashrrev_i32_e32 v88, 31, v87
	s_delay_alu instid0(VALU_DEP_1) | instskip(SKIP_1) | instid1(VALU_DEP_1)
	v_lshlrev_b64 v[87:88], 2, v[87:88]
	s_waitcnt lgkmcnt(0)
	v_add_co_u32 v89, vcc_lo, s10, v87
	s_delay_alu instid0(VALU_DEP_2)
	v_add_co_ci_u32_e32 v90, vcc_lo, s11, v88, vcc_lo
	v_add_co_u32 v87, vcc_lo, s8, v87
	v_add_co_ci_u32_e32 v88, vcc_lo, s9, v88, vcc_lo
	global_store_b32 v[89:90], v85, off
	global_store_b32 v[87:88], v86, off
.LBB139_16:
	s_or_b32 exec_lo, exec_lo, s3
	s_waitcnt lgkmcnt(0)
	s_waitcnt_vscnt null, 0x0
	s_barrier
	buffer_gl0_inv
	ds_load_b128 v[93:96], v78
	ds_load_b128 v[97:100], v78 offset:16
	ds_load_b128 v[105:108], v78 offset:1040
	;; [unrolled: 1-line block ×5, first 2 shown]
	v_cmp_eq_u32_e32 vcc_lo, 1, v84
	v_mov_b32_e32 v85, 0
	ds_load_b128 v[121:124], v78 offset:3088
	ds_load_b128 v[117:120], v78 offset:3072
	ds_load_b128 v[129:132], v78 offset:4112
	ds_load_b128 v[125:128], v78 offset:4096
	v_cmp_eq_u32_e64 s3, 1, v80
	v_cmp_eq_u32_e64 s4, 1, v83
	;; [unrolled: 1-line block ×3, first 2 shown]
	v_mov_b32_e32 v86, v85
	v_mov_b32_e32 v87, v85
	;; [unrolled: 1-line block ×7, first 2 shown]
	v_cmp_eq_u32_e64 s6, 2, v80
	s_waitcnt lgkmcnt(8)
	s_delay_alu instid0(VALU_DEP_2)
	v_wmma_f32_16x16x16_f16 v[85:92], v[65:72], v[93:100], v[85:92]
	ds_load_b128 v[69:72], v78 offset:5136
	ds_load_b128 v[65:68], v78 offset:5120
	;; [unrolled: 1-line block ×4, first 2 shown]
	s_waitcnt lgkmcnt(10)
	v_wmma_f32_16x16x16_f16 v[85:92], v[57:64], v[101:108], v[85:92]
	s_waitcnt lgkmcnt(8)
	s_delay_alu instid0(VALU_DEP_1)
	v_wmma_f32_16x16x16_f16 v[85:92], v[57:64], v[109:116], v[85:92]
	ds_load_b128 v[61:64], v78 offset:7184
	ds_load_b128 v[57:60], v78 offset:7168
	ds_load_b128 v[105:108], v78 offset:8208
	ds_load_b128 v[101:104], v78 offset:8192
	s_waitcnt lgkmcnt(10)
	v_wmma_f32_16x16x16_f16 v[85:92], v[49:56], v[117:124], v[85:92]
	s_waitcnt lgkmcnt(8)
	s_delay_alu instid0(VALU_DEP_1)
	v_wmma_f32_16x16x16_f16 v[85:92], v[49:56], v[125:132], v[85:92]
	ds_load_b128 v[53:56], v78 offset:9232
	ds_load_b128 v[49:52], v78 offset:9216
	s_waitcnt lgkmcnt(8)
	v_wmma_f32_16x16x16_f16 v[85:92], v[41:48], v[65:72], v[85:92]
	ds_load_b128 v[69:72], v78 offset:10256
	ds_load_b128 v[65:68], v78 offset:10240
	s_waitcnt lgkmcnt(8)
	;; [unrolled: 4-line block ×7, first 2 shown]
	s_barrier
	buffer_gl0_inv
	v_wmma_f32_16x16x16_f16 v[85:92], v[33:40], v[41:48], v[85:92]
	s_delay_alu instid0(VALU_DEP_1) | instskip(NEXT) | instid1(VALU_DEP_1)
	v_wmma_f32_16x16x16_f16 v[85:92], v[33:40], v[57:64], v[85:92]
	v_wmma_f32_16x16x16_f16 v[85:92], v[25:32], v[9:16], v[85:92]
	s_delay_alu instid0(VALU_DEP_1) | instskip(NEXT) | instid1(VALU_DEP_1)
	v_wmma_f32_16x16x16_f16 v[85:92], v[25:32], v[49:56], v[85:92]
	v_wmma_f32_16x16x16_f16 v[85:92], v[17:24], v[1:8], v[85:92]
	s_delay_alu instid0(VALU_DEP_1) | instskip(NEXT) | instid1(VALU_DEP_2)
	v_cvt_f16_f32_e32 v1, v85
	v_cvt_f16_f32_e32 v2, v86
	s_delay_alu instid0(VALU_DEP_3) | instskip(NEXT) | instid1(VALU_DEP_4)
	v_cvt_f16_f32_e32 v3, v87
	v_cvt_f16_f32_e32 v4, v88
	;; [unrolled: 1-line block ×6, first 2 shown]
	v_pack_b32_f16 v1, v1, v2
	v_pack_b32_f16 v2, v3, v4
	;; [unrolled: 1-line block ×3, first 2 shown]
	s_delay_alu instid0(VALU_DEP_4)
	v_pack_b32_f16 v4, v7, v8
	ds_store_b128 v79, v[1:4]
	s_waitcnt lgkmcnt(0)
	s_barrier
	buffer_gl0_inv
	ds_load_b128 v[1:4], v81
	ds_load_b128 v[5:8], v81 offset:16
	s_waitcnt lgkmcnt(1)
	v_lshrrev_b32_e32 v9, 16, v1
	s_waitcnt lgkmcnt(0)
	v_lshrrev_b32_e32 v13, 16, v5
	v_lshrrev_b32_e32 v15, 16, v7
	;; [unrolled: 1-line block ×4, first 2 shown]
	v_cndmask_b32_e64 v17, v1, v9, s3
	v_cndmask_b32_e64 v18, v5, v13, s3
	;; [unrolled: 1-line block ×3, first 2 shown]
	v_cmp_eq_u32_e64 s3, 2, v82
	v_cndmask_b32_e64 v20, v5, v13, s5
	v_cndmask_b32_e32 v21, v1, v9, vcc_lo
	v_cndmask_b32_e32 v22, v5, v13, vcc_lo
	v_cndmask_b32_e64 v1, v1, v9, s4
	v_cndmask_b32_e64 v5, v5, v13, s4
	v_cmp_eq_u32_e32 vcc_lo, 2, v84
	v_cmp_eq_u32_e64 s4, 2, v83
	v_cndmask_b32_e64 v9, v17, v2, s6
	v_cndmask_b32_e64 v13, v18, v6, s6
	;; [unrolled: 1-line block ×4, first 2 shown]
	v_cndmask_b32_e32 v19, v21, v2, vcc_lo
	v_cmp_eq_u32_e64 s3, 3, v84
	v_cndmask_b32_e32 v20, v22, v6, vcc_lo
	v_cndmask_b32_e64 v1, v1, v2, s4
	v_cmp_eq_u32_e32 vcc_lo, 3, v83
	v_cmp_eq_u32_e64 s5, 3, v80
	v_cndmask_b32_e64 v2, v5, v6, s4
	v_cmp_eq_u32_e64 s4, 3, v82
	v_lshrrev_b32_e32 v16, 16, v8
	v_cmp_eq_u32_e64 s6, 4, v80
	v_cndmask_b32_e64 v5, v9, v10, s5
	v_cndmask_b32_e64 v6, v13, v14, s5
	;; [unrolled: 1-line block ×3, first 2 shown]
	v_cmp_eq_u32_e64 s5, 4, v82
	v_cndmask_b32_e64 v13, v18, v14, s4
	v_cndmask_b32_e64 v17, v19, v10, s3
	;; [unrolled: 1-line block ×3, first 2 shown]
	v_cndmask_b32_e32 v1, v1, v10, vcc_lo
	v_cndmask_b32_e32 v2, v2, v14, vcc_lo
	v_cmp_eq_u32_e32 vcc_lo, 4, v84
	v_cmp_eq_u32_e64 s4, 4, v83
	v_lshrrev_b32_e32 v11, 16, v3
	v_cndmask_b32_e64 v5, v5, v3, s6
	v_cndmask_b32_e64 v6, v6, v7, s6
	;; [unrolled: 1-line block ×4, first 2 shown]
	v_cndmask_b32_e32 v13, v17, v3, vcc_lo
	v_cmp_eq_u32_e64 s3, 5, v84
	v_cndmask_b32_e32 v14, v18, v7, vcc_lo
	v_cndmask_b32_e64 v1, v1, v3, s4
	v_cmp_eq_u32_e32 vcc_lo, 5, v83
	v_cmp_eq_u32_e64 s5, 5, v80
	v_cndmask_b32_e64 v2, v2, v7, s4
	v_cmp_eq_u32_e64 s4, 5, v82
	v_cmp_eq_u32_e64 s6, 6, v80
	v_cndmask_b32_e32 v1, v1, v11, vcc_lo
	v_cndmask_b32_e64 v3, v5, v11, s5
	v_cndmask_b32_e64 v5, v6, v15, s5
	;; [unrolled: 1-line block ×3, first 2 shown]
	v_cmp_eq_u32_e64 s5, 6, v82
	v_cndmask_b32_e64 v7, v10, v15, s4
	v_cndmask_b32_e64 v9, v13, v11, s3
	v_cndmask_b32_e64 v10, v14, v15, s3
	v_cndmask_b32_e32 v2, v2, v15, vcc_lo
	v_cmp_eq_u32_e32 vcc_lo, 6, v84
	v_cmp_eq_u32_e64 s3, 6, v83
	v_lshrrev_b32_e32 v12, 16, v4
	v_cndmask_b32_e64 v3, v3, v4, s6
	v_cndmask_b32_e64 v5, v5, v8, s6
	v_cndmask_b32_e64 v6, v6, v4, s5
	v_cndmask_b32_e64 v7, v7, v8, s5
	v_cndmask_b32_e32 v9, v9, v4, vcc_lo
	v_cmp_eq_u32_e64 s4, 7, v84
	v_cndmask_b32_e32 v10, v10, v8, vcc_lo
	v_cndmask_b32_e64 v1, v1, v4, s3
	v_cmp_eq_u32_e32 vcc_lo, 7, v83
	v_cndmask_b32_e64 v2, v2, v8, s3
	v_cmp_eq_u32_e64 s3, 7, v80
	v_cmp_eq_u32_e64 s5, 7, v82
	v_cndmask_b32_e32 v1, v1, v12, vcc_lo
	s_delay_alu instid0(VALU_DEP_4) | instskip(NEXT) | instid1(VALU_DEP_4)
	v_cndmask_b32_e32 v2, v2, v16, vcc_lo
	v_cndmask_b32_e64 v8, v3, v12, s3
	s_delay_alu instid0(VALU_DEP_4)
	v_cndmask_b32_e64 v6, v6, v12, s5
	v_cndmask_b32_e64 v3, v9, v12, s4
	;; [unrolled: 1-line block ×5, first 2 shown]
	v_cmp_gt_u32_e32 vcc_lo, 32, v0
	v_perm_b32 v4, v2, v1, 0x5040100
	v_perm_b32 v3, v9, v3, 0x5040100
	;; [unrolled: 1-line block ×4, first 2 shown]
	s_and_b32 s2, vcc_lo, s2
	ds_store_b128 v79, v[1:4]
	s_waitcnt lgkmcnt(0)
	s_barrier
	buffer_gl0_inv
	s_and_saveexec_b32 s3, s2
	s_cbranch_execz .LBB139_2
; %bb.17:
	s_load_b64 s[0:1], s[0:1], 0x68
	s_lshl_b32 s4, s35, 6
	v_or_b32_e32 v3, s31, v75
	s_mul_i32 s2, s4, s34
	v_lshlrev_b32_e32 v0, 10, v0
	s_mul_i32 s2, s2, s7
	v_lshlrev_b32_e32 v1, 4, v76
	s_ashr_i32 s3, s2, 31
	v_mul_lo_u32 v12, v3, s4
	s_lshl_b64 s[2:3], s[2:3], 1
	v_lshlrev_b32_e32 v2, 6, v75
	v_and_b32_e32 v0, 0x3800, v0
	s_delay_alu instid0(VALU_DEP_1) | instskip(NEXT) | instid1(VALU_DEP_4)
	v_or3_b32 v8, v0, v1, v2
	v_ashrrev_i32_e32 v13, 31, v12
	ds_load_b128 v[0:3], v8
	ds_load_b128 v[4:7], v8 offset:128
	ds_load_b128 v[8:11], v8 offset:256
	s_waitcnt lgkmcnt(0)
	s_add_u32 s2, s0, s2
	s_addc_u32 s3, s1, s3
	s_lshl_b32 s0, s14, 6
	s_delay_alu instid0(SALU_CYCLE_1) | instskip(NEXT) | instid1(SALU_CYCLE_1)
	s_ashr_i32 s1, s0, 31
	s_lshl_b64 s[0:1], s[0:1], 1
	s_delay_alu instid0(SALU_CYCLE_1)
	s_add_u32 s0, s2, s0
	s_addc_u32 s1, s3, s1
	s_lshl_b32 s2, s35, 7
	v_add_co_u32 v18, vcc_lo, s0, v73
	v_add_nc_u32_e32 v14, s2, v12
	v_lshlrev_b64 v[12:13], 1, v[12:13]
	v_add_co_ci_u32_e32 v19, vcc_lo, s1, v74, vcc_lo
	s_delay_alu instid0(VALU_DEP_3) | instskip(SKIP_1) | instid1(VALU_DEP_4)
	v_add_nc_u32_e32 v16, s2, v14
	v_ashrrev_i32_e32 v15, 31, v14
	v_add_co_u32 v12, vcc_lo, v18, v12
	s_delay_alu instid0(VALU_DEP_4) | instskip(NEXT) | instid1(VALU_DEP_4)
	v_add_co_ci_u32_e32 v13, vcc_lo, v19, v13, vcc_lo
	v_ashrrev_i32_e32 v17, 31, v16
	s_delay_alu instid0(VALU_DEP_4) | instskip(NEXT) | instid1(VALU_DEP_2)
	v_lshlrev_b64 v[14:15], 1, v[14:15]
	v_lshlrev_b64 v[16:17], 1, v[16:17]
	s_delay_alu instid0(VALU_DEP_2) | instskip(NEXT) | instid1(VALU_DEP_3)
	v_add_co_u32 v14, vcc_lo, v18, v14
	v_add_co_ci_u32_e32 v15, vcc_lo, v19, v15, vcc_lo
	s_delay_alu instid0(VALU_DEP_3) | instskip(NEXT) | instid1(VALU_DEP_4)
	v_add_co_u32 v16, vcc_lo, v18, v16
	v_add_co_ci_u32_e32 v17, vcc_lo, v19, v17, vcc_lo
	s_clause 0x2
	global_store_b128 v[12:13], v[0:3], off
	global_store_b128 v[14:15], v[4:7], off
	;; [unrolled: 1-line block ×3, first 2 shown]
	s_nop 0
	s_sendmsg sendmsg(MSG_DEALLOC_VGPRS)
	s_endpgm
	.section	.rodata,"a",@progbits
	.p2align	6, 0x0
	.amdhsa_kernel _Z39paged_attention_ll4mi_QKV_mfma16_kernelIDF16_DF16_LN4vllm18Fp8KVCacheDataTypeE0EhLi32ELi64ELi256ELb0ELi6EL8MFMAType0EEvPKT_PKT0_S8_ifPKiSA_SA_iPKfiiiPfSD_PS3_PT2_iSC_SC_
		.amdhsa_group_segment_fixed_size 17472
		.amdhsa_private_segment_fixed_size 0
		.amdhsa_kernarg_size 400
		.amdhsa_user_sgpr_count 13
		.amdhsa_user_sgpr_dispatch_ptr 0
		.amdhsa_user_sgpr_queue_ptr 0
		.amdhsa_user_sgpr_kernarg_segment_ptr 1
		.amdhsa_user_sgpr_dispatch_id 0
		.amdhsa_user_sgpr_private_segment_size 0
		.amdhsa_wavefront_size32 1
		.amdhsa_uses_dynamic_stack 0
		.amdhsa_enable_private_segment 0
		.amdhsa_system_sgpr_workgroup_id_x 1
		.amdhsa_system_sgpr_workgroup_id_y 1
		.amdhsa_system_sgpr_workgroup_id_z 1
		.amdhsa_system_sgpr_workgroup_info 0
		.amdhsa_system_vgpr_workitem_id 0
		.amdhsa_next_free_vgpr 154
		.amdhsa_next_free_sgpr 39
		.amdhsa_reserve_vcc 1
		.amdhsa_float_round_mode_32 0
		.amdhsa_float_round_mode_16_64 0
		.amdhsa_float_denorm_mode_32 3
		.amdhsa_float_denorm_mode_16_64 3
		.amdhsa_dx10_clamp 1
		.amdhsa_ieee_mode 1
		.amdhsa_fp16_overflow 0
		.amdhsa_workgroup_processor_mode 1
		.amdhsa_memory_ordered 1
		.amdhsa_forward_progress 0
		.amdhsa_shared_vgpr_count 0
		.amdhsa_exception_fp_ieee_invalid_op 0
		.amdhsa_exception_fp_denorm_src 0
		.amdhsa_exception_fp_ieee_div_zero 0
		.amdhsa_exception_fp_ieee_overflow 0
		.amdhsa_exception_fp_ieee_underflow 0
		.amdhsa_exception_fp_ieee_inexact 0
		.amdhsa_exception_int_div_zero 0
	.end_amdhsa_kernel
	.section	.text._Z39paged_attention_ll4mi_QKV_mfma16_kernelIDF16_DF16_LN4vllm18Fp8KVCacheDataTypeE0EhLi32ELi64ELi256ELb0ELi6EL8MFMAType0EEvPKT_PKT0_S8_ifPKiSA_SA_iPKfiiiPfSD_PS3_PT2_iSC_SC_,"axG",@progbits,_Z39paged_attention_ll4mi_QKV_mfma16_kernelIDF16_DF16_LN4vllm18Fp8KVCacheDataTypeE0EhLi32ELi64ELi256ELb0ELi6EL8MFMAType0EEvPKT_PKT0_S8_ifPKiSA_SA_iPKfiiiPfSD_PS3_PT2_iSC_SC_,comdat
.Lfunc_end139:
	.size	_Z39paged_attention_ll4mi_QKV_mfma16_kernelIDF16_DF16_LN4vllm18Fp8KVCacheDataTypeE0EhLi32ELi64ELi256ELb0ELi6EL8MFMAType0EEvPKT_PKT0_S8_ifPKiSA_SA_iPKfiiiPfSD_PS3_PT2_iSC_SC_, .Lfunc_end139-_Z39paged_attention_ll4mi_QKV_mfma16_kernelIDF16_DF16_LN4vllm18Fp8KVCacheDataTypeE0EhLi32ELi64ELi256ELb0ELi6EL8MFMAType0EEvPKT_PKT0_S8_ifPKiSA_SA_iPKfiiiPfSD_PS3_PT2_iSC_SC_
                                        ; -- End function
	.section	.AMDGPU.csdata,"",@progbits
; Kernel info:
; codeLenInByte = 7188
; NumSgprs: 41
; NumVgprs: 154
; ScratchSize: 0
; MemoryBound: 0
; FloatMode: 240
; IeeeMode: 1
; LDSByteSize: 17472 bytes/workgroup (compile time only)
; SGPRBlocks: 5
; VGPRBlocks: 19
; NumSGPRsForWavesPerEU: 41
; NumVGPRsForWavesPerEU: 154
; Occupancy: 9
; WaveLimiterHint : 1
; COMPUTE_PGM_RSRC2:SCRATCH_EN: 0
; COMPUTE_PGM_RSRC2:USER_SGPR: 13
; COMPUTE_PGM_RSRC2:TRAP_HANDLER: 0
; COMPUTE_PGM_RSRC2:TGID_X_EN: 1
; COMPUTE_PGM_RSRC2:TGID_Y_EN: 1
; COMPUTE_PGM_RSRC2:TGID_Z_EN: 1
; COMPUTE_PGM_RSRC2:TIDIG_COMP_CNT: 0
	.section	.text._Z39paged_attention_ll4mi_QKV_mfma16_kernelIDF16_DF16_LN4vllm18Fp8KVCacheDataTypeE0EhLi32ELi64ELi256ELb0ELi7EL8MFMAType0EEvPKT_PKT0_S8_ifPKiSA_SA_iPKfiiiPfSD_PS3_PT2_iSC_SC_,"axG",@progbits,_Z39paged_attention_ll4mi_QKV_mfma16_kernelIDF16_DF16_LN4vllm18Fp8KVCacheDataTypeE0EhLi32ELi64ELi256ELb0ELi7EL8MFMAType0EEvPKT_PKT0_S8_ifPKiSA_SA_iPKfiiiPfSD_PS3_PT2_iSC_SC_,comdat
	.protected	_Z39paged_attention_ll4mi_QKV_mfma16_kernelIDF16_DF16_LN4vllm18Fp8KVCacheDataTypeE0EhLi32ELi64ELi256ELb0ELi7EL8MFMAType0EEvPKT_PKT0_S8_ifPKiSA_SA_iPKfiiiPfSD_PS3_PT2_iSC_SC_ ; -- Begin function _Z39paged_attention_ll4mi_QKV_mfma16_kernelIDF16_DF16_LN4vllm18Fp8KVCacheDataTypeE0EhLi32ELi64ELi256ELb0ELi7EL8MFMAType0EEvPKT_PKT0_S8_ifPKiSA_SA_iPKfiiiPfSD_PS3_PT2_iSC_SC_
	.globl	_Z39paged_attention_ll4mi_QKV_mfma16_kernelIDF16_DF16_LN4vllm18Fp8KVCacheDataTypeE0EhLi32ELi64ELi256ELb0ELi7EL8MFMAType0EEvPKT_PKT0_S8_ifPKiSA_SA_iPKfiiiPfSD_PS3_PT2_iSC_SC_
	.p2align	8
	.type	_Z39paged_attention_ll4mi_QKV_mfma16_kernelIDF16_DF16_LN4vllm18Fp8KVCacheDataTypeE0EhLi32ELi64ELi256ELb0ELi7EL8MFMAType0EEvPKT_PKT0_S8_ifPKiSA_SA_iPKfiiiPfSD_PS3_PT2_iSC_SC_,@function
_Z39paged_attention_ll4mi_QKV_mfma16_kernelIDF16_DF16_LN4vllm18Fp8KVCacheDataTypeE0EhLi32ELi64ELi256ELb0ELi7EL8MFMAType0EEvPKT_PKT0_S8_ifPKiSA_SA_iPKfiiiPfSD_PS3_PT2_iSC_SC_: ; @_Z39paged_attention_ll4mi_QKV_mfma16_kernelIDF16_DF16_LN4vllm18Fp8KVCacheDataTypeE0EhLi32ELi64ELi256ELb0ELi7EL8MFMAType0EEvPKT_PKT0_S8_ifPKiSA_SA_iPKfiiiPfSD_PS3_PT2_iSC_SC_
; %bb.0:
	s_load_b64 s[2:3], s[0:1], 0x30
	s_mov_b32 s34, s13
	s_waitcnt lgkmcnt(0)
	s_cmp_lg_u64 s[2:3], 0
	s_cselect_b32 s6, -1, 0
	s_ashr_i32 s35, s13, 31
	s_cmp_eq_u64 s[2:3], 0
	s_cbranch_scc1 .LBB140_3
; %bb.1:
	s_lshl_b64 s[4:5], s[34:35], 2
	s_delay_alu instid0(SALU_CYCLE_1) | instskip(SKIP_4) | instid1(SALU_CYCLE_1)
	s_add_u32 s4, s2, s4
	s_addc_u32 s5, s3, s5
	s_load_b64 s[4:5], s[4:5], 0x0
	s_waitcnt lgkmcnt(0)
	s_sub_i32 s4, s5, s4
	s_cmp_eq_u32 s4, 1
	s_cselect_b32 s4, -1, 0
	s_delay_alu instid0(SALU_CYCLE_1)
	s_and_not1_b32 vcc_lo, exec_lo, s4
	s_cbranch_vccz .LBB140_4
.LBB140_2:
	s_nop 0
	s_sendmsg sendmsg(MSG_DEALLOC_VGPRS)
	s_endpgm
.LBB140_3:
.LBB140_4:
	s_load_b64 s[8:9], s[0:1], 0x28
	s_lshl_b64 s[4:5], s[34:35], 2
	s_waitcnt lgkmcnt(0)
	s_add_u32 s8, s8, s4
	s_addc_u32 s9, s9, s5
	s_lshl_b32 s16, s14, 8
	s_load_b32 s18, s[8:9], 0x0
	s_waitcnt lgkmcnt(0)
	s_cmp_ge_i32 s16, s18
	s_cbranch_scc1 .LBB140_2
; %bb.5:
	s_and_not1_b32 vcc_lo, exec_lo, s6
	s_cbranch_vccnz .LBB140_7
; %bb.6:
	s_add_u32 s2, s2, s4
	s_addc_u32 s3, s3, s5
	s_load_b32 s17, s[2:3], 0x0
	s_branch .LBB140_8
.LBB140_7:
	s_mov_b32 s17, s34
.LBB140_8:
	s_clause 0x2
	s_load_b128 s[8:11], s[0:1], 0x8
	s_load_b64 s[12:13], s[0:1], 0x20
	s_load_b128 s[4:7], s[0:1], 0x48
	v_lshrrev_b32_e32 v78, 5, v0
	v_bfe_u32 v75, v0, 4, 1
	v_and_b32_e32 v77, 15, v0
	s_delay_alu instid0(VALU_DEP_2) | instskip(NEXT) | instid1(VALU_DEP_2)
	v_lshl_or_b32 v3, v78, 1, v75
	v_cmp_lt_u32_e64 s3, 7, v77
	v_lshlrev_b32_e32 v1, 3, v77
	v_cmp_gt_u32_e64 s2, 8, v77
	s_delay_alu instid0(VALU_DEP_4) | instskip(NEXT) | instid1(VALU_DEP_4)
	v_cmp_lt_u32_e32 vcc_lo, 6, v3
	s_or_b32 s3, s3, vcc_lo
	s_waitcnt lgkmcnt(0)
	s_and_saveexec_b32 s7, s3
	s_delay_alu instid0(SALU_CYCLE_1)
	s_xor_b32 s3, exec_lo, s7
; %bb.9:
	v_mov_b32_e32 v2, 0
                                        ; implicit-def: $vgpr3
; %bb.10:
	s_or_saveexec_b32 s3, s3
	v_and_b32_e32 v80, 31, v0
	v_and_b32_e32 v76, 1, v0
	s_mul_i32 s33, s15, 7
	s_xor_b32 exec_lo, exec_lo, s3
	s_cbranch_execz .LBB140_12
; %bb.11:
	s_load_b64 s[20:21], s[0:1], 0x0
	v_add_lshl_u32 v4, v3, s33, 6
	s_mul_hi_i32 s23, s17, s4
	s_mul_i32 s22, s17, s4
	v_lshlrev_b32_e32 v2, 1, v1
	s_lshl_b64 s[22:23], s[22:23], 1
	v_ashrrev_i32_e32 v5, 31, v4
	v_lshlrev_b32_e32 v3, 6, v3
	v_lshlrev_b32_e32 v8, 10, v76
	s_delay_alu instid0(VALU_DEP_3) | instskip(SKIP_3) | instid1(VALU_DEP_1)
	v_lshlrev_b64 v[4:5], 1, v[4:5]
	s_waitcnt lgkmcnt(0)
	s_add_u32 s4, s20, s22
	s_addc_u32 s7, s21, s23
	v_add_co_u32 v4, vcc_lo, s4, v4
	s_delay_alu instid0(VALU_DEP_2) | instskip(NEXT) | instid1(VALU_DEP_2)
	v_add_co_ci_u32_e32 v5, vcc_lo, s7, v5, vcc_lo
	v_add_co_u32 v4, vcc_lo, v4, v2
	s_delay_alu instid0(VALU_DEP_2) | instskip(SKIP_3) | instid1(VALU_DEP_1)
	v_add_co_ci_u32_e32 v5, vcc_lo, 0, v5, vcc_lo
	v_lshlrev_b32_e32 v2, 10, v77
	global_load_b128 v[4:7], v[4:5], off
	v_and_b32_e32 v2, 0x3800, v2
	v_or3_b32 v3, v2, v8, v3
	v_mov_b32_e32 v2, 0
	s_waitcnt vmcnt(0)
	ds_store_b128 v3, v[4:7]
.LBB140_12:
	s_or_b32 exec_lo, exec_lo, s3
	v_and_b32_e32 v3, 0xef, v0
	s_add_i32 s3, s18, 31
	s_clause 0x1
	s_load_b32 s4, s[0:1], 0x38
	s_load_b32 s35, s[0:1], 0x98
	s_ashr_i32 s7, s3, 31
	v_add_nc_u32_e32 v3, s16, v3
	s_lshr_b32 s7, s7, 27
	s_load_b32 s19, s[0:1], 0x1c
	s_add_i32 s3, s3, s7
	s_waitcnt lgkmcnt(0)
	v_ashrrev_i32_e32 v4, 31, v3
	v_cmp_gt_i32_e32 vcc_lo, s18, v3
	s_ashr_i32 s3, s3, 5
	s_barrier
	s_add_i32 s3, s3, -1
	v_lshrrev_b32_e32 v5, 27, v4
	v_or_b32_e32 v4, 16, v3
	buffer_gl0_inv
	s_mul_i32 s6, s15, s6
	v_lshlrev_b64 v[73:74], 1, v[1:2]
	v_add_nc_u32_e32 v6, v3, v5
	v_add_nc_u32_e32 v5, v4, v5
	s_mul_i32 s20, s34, s4
	s_delay_alu instid0(SALU_CYCLE_1) | instskip(NEXT) | instid1(VALU_DEP_2)
	s_ashr_i32 s21, s20, 31
	v_ashrrev_i32_e32 v6, 5, v6
	s_delay_alu instid0(VALU_DEP_2) | instskip(SKIP_1) | instid1(SALU_CYCLE_1)
	v_ashrrev_i32_e32 v5, 5, v5
	s_lshl_b64 s[20:21], s[20:21], 2
	s_add_u32 s4, s12, s20
	s_delay_alu instid0(VALU_DEP_2) | instskip(SKIP_3) | instid1(SALU_CYCLE_1)
	v_cndmask_b32_e32 v3, s3, v6, vcc_lo
	v_cmp_gt_i32_e32 vcc_lo, s18, v4
	s_addc_u32 s17, s13, s21
	s_ashr_i32 s7, s6, 31
	s_lshl_b64 s[6:7], s[6:7], 1
	v_cndmask_b32_e32 v5, s3, v5, vcc_lo
	v_ashrrev_i32_e32 v4, 31, v3
	s_add_u32 s15, s8, s6
	s_addc_u32 s28, s9, s7
	s_lshl_b32 s8, s14, 3
	v_ashrrev_i32_e32 v6, 31, v5
	v_lshlrev_b64 v[3:4], 2, v[3:4]
	s_ashr_i32 s9, s8, 31
	s_delay_alu instid0(SALU_CYCLE_1) | instskip(NEXT) | instid1(VALU_DEP_2)
	s_lshl_b64 s[8:9], s[8:9], 2
	v_lshlrev_b64 v[5:6], 2, v[5:6]
	s_add_u32 s8, s4, s8
	s_delay_alu instid0(VALU_DEP_2) | instskip(SKIP_1) | instid1(VALU_DEP_3)
	v_add_co_u32 v3, vcc_lo, s4, v3
	v_add_co_ci_u32_e32 v4, vcc_lo, s17, v4, vcc_lo
	v_add_co_u32 v5, vcc_lo, s4, v5
	s_delay_alu instid0(VALU_DEP_4)
	v_add_co_ci_u32_e32 v6, vcc_lo, s17, v6, vcc_lo
	s_addc_u32 s9, s17, s9
	s_clause 0x1
	global_load_b32 v7, v[3:4], off
	global_load_b32 v8, v[5:6], off
	s_or_b32 s12, s16, 32
	s_delay_alu instid0(SALU_CYCLE_1) | instskip(SKIP_2) | instid1(SALU_CYCLE_1)
	s_ashr_i32 s13, s12, 5
	s_cmp_lt_i32 s12, s18
	s_cselect_b32 s12, s13, s3
	s_ashr_i32 s13, s12, 31
	s_delay_alu instid0(SALU_CYCLE_1) | instskip(NEXT) | instid1(SALU_CYCLE_1)
	s_lshl_b64 s[12:13], s[12:13], 2
	s_add_u32 s12, s4, s12
	s_addc_u32 s13, s17, s13
	s_or_b32 s20, s16, 64
	s_delay_alu instid0(SALU_CYCLE_1) | instskip(SKIP_2) | instid1(SALU_CYCLE_1)
	s_ashr_i32 s21, s20, 5
	s_cmp_lt_i32 s20, s18
	s_cselect_b32 s20, s21, s3
	s_ashr_i32 s21, s20, 31
	s_delay_alu instid0(SALU_CYCLE_1) | instskip(NEXT) | instid1(SALU_CYCLE_1)
	s_lshl_b64 s[20:21], s[20:21], 2
	s_add_u32 s20, s4, s20
	s_addc_u32 s21, s17, s21
	;; [unrolled: 10-line block ×5, first 2 shown]
	s_clause 0x5
	s_load_b32 s29, s[8:9], 0x0
	s_load_b32 s30, s[12:13], 0x0
	;; [unrolled: 1-line block ×6, first 2 shown]
	s_or_b32 s8, s16, 0xc0
	s_mov_b32 s20, 0
	s_ashr_i32 s9, s8, 5
	s_cmp_lt_i32 s8, s18
	s_mov_b32 s27, s20
	s_cselect_b32 s8, s9, s3
	s_mov_b32 s21, s20
	s_ashr_i32 s9, s8, 31
	s_mov_b32 s22, s20
	s_lshl_b64 s[8:9], s[8:9], 2
	s_mov_b32 s23, s20
	s_add_u32 s8, s4, s8
	s_mov_b32 s24, s20
	s_mov_b32 s25, s20
	;; [unrolled: 1-line block ×3, first 2 shown]
	s_addc_u32 s9, s17, s9
	v_dual_mov_b32 v128, s27 :: v_dual_lshlrev_b32 v79, 6, v77
	v_dual_mov_b32 v122, s21 :: v_dual_mov_b32 v127, s26
	v_dual_mov_b32 v126, s25 :: v_dual_mov_b32 v125, s24
	;; [unrolled: 1-line block ×3, first 2 shown]
	v_mov_b32_e32 v121, s20
	s_waitcnt lgkmcnt(0)
	s_mul_hi_i32 s13, s29, s5
	s_mul_i32 s12, s29, s5
	v_lshl_or_b32 v33, v78, 10, v79
	s_mul_hi_i32 s21, s30, s5
	s_mul_i32 s20, s30, s5
	s_mul_hi_i32 s25, s31, s5
	s_mul_i32 s24, s31, s5
	;; [unrolled: 2-line block ×4, first 2 shown]
	s_waitcnt vmcnt(1)
	v_mad_i64_i32 v[3:4], null, v7, s5, 0
	s_waitcnt vmcnt(0)
	v_mad_i64_i32 v[5:6], null, v8, s5, 0
	s_delay_alu instid0(VALU_DEP_2) | instskip(NEXT) | instid1(VALU_DEP_2)
	v_lshlrev_b64 v[3:4], 1, v[3:4]
	v_lshlrev_b64 v[1:2], 1, v[5:6]
	s_delay_alu instid0(VALU_DEP_2) | instskip(NEXT) | instid1(VALU_DEP_3)
	v_add_co_u32 v3, vcc_lo, s15, v3
	v_add_co_ci_u32_e32 v4, vcc_lo, s28, v4, vcc_lo
	s_delay_alu instid0(VALU_DEP_3) | instskip(NEXT) | instid1(VALU_DEP_4)
	v_add_co_u32 v1, vcc_lo, s15, v1
	v_add_co_ci_u32_e32 v2, vcc_lo, s28, v2, vcc_lo
	s_delay_alu instid0(VALU_DEP_4) | instskip(NEXT) | instid1(VALU_DEP_4)
	v_add_co_u32 v25, vcc_lo, v3, v73
	v_add_co_ci_u32_e32 v26, vcc_lo, v4, v74, vcc_lo
	s_delay_alu instid0(VALU_DEP_4) | instskip(NEXT) | instid1(VALU_DEP_4)
	v_add_co_u32 v27, vcc_lo, v1, v73
	v_add_co_ci_u32_e32 v28, vcc_lo, v2, v74, vcc_lo
	s_clause 0xf
	global_load_b128 v[1:4], v[25:26], off
	global_load_b128 v[5:8], v[25:26], off offset:512
	global_load_b128 v[9:12], v[27:28], off offset:256
	;; [unrolled: 1-line block ×15, first 2 shown]
	v_mul_lo_u16 v25, v77, 37
	s_or_b32 s15, s16, 0xe0
	s_delay_alu instid0(SALU_CYCLE_1) | instskip(SKIP_1) | instid1(VALU_DEP_1)
	s_ashr_i32 s22, s15, 5
	s_cmp_lt_i32 s15, s18
	v_lshrrev_b16 v25, 8, v25
	s_cselect_b32 s22, s22, s3
	s_delay_alu instid0(SALU_CYCLE_1) | instskip(NEXT) | instid1(VALU_DEP_1)
	s_ashr_i32 s23, s22, 31
	v_mul_lo_u16 v25, v25, 7
	s_lshl_b64 s[22:23], s[22:23], 2
	s_delay_alu instid0(SALU_CYCLE_1) | instskip(SKIP_1) | instid1(VALU_DEP_1)
	s_add_u32 s22, s4, s22
	s_addc_u32 s23, s17, s23
	v_sub_nc_u16 v25, v77, v25
	s_add_i32 s15, s16, 0x100
	s_delay_alu instid0(SALU_CYCLE_1) | instskip(SKIP_1) | instid1(VALU_DEP_1)
	s_ashr_i32 s28, s15, 5
	s_cmp_lt_i32 s15, s18
	v_and_b32_e32 v25, 0xff, v25
	s_cselect_b32 s28, s28, s3
	s_delay_alu instid0(SALU_CYCLE_1) | instskip(NEXT) | instid1(VALU_DEP_1)
	s_ashr_i32 s29, s28, 31
	v_lshlrev_b32_e32 v151, 6, v25
	s_lshl_b64 s[28:29], s[28:29], 2
	ds_load_b128 v[25:28], v151
	ds_load_b128 v[29:32], v151 offset:1024
	s_add_u32 s28, s4, s28
	s_addc_u32 s29, s17, s29
	s_add_u32 s3, s10, s6
	ds_load_b128 v[129:132], v151 offset:2048
	ds_load_b128 v[133:136], v151 offset:3072
	s_clause 0x2
	s_load_b32 s15, s[8:9], 0x0
	s_load_b32 s4, s[22:23], 0x0
	;; [unrolled: 1-line block ×3, first 2 shown]
	s_addc_u32 s28, s11, s7
	v_add_co_u32 v152, s3, s3, v33
	s_delay_alu instid0(VALU_DEP_1) | instskip(SKIP_2) | instid1(VALU_DEP_2)
	v_add_co_ci_u32_e64 v153, null, s28, 0, s3
	s_lshl_b64 s[6:7], s[12:13], 1
	s_lshl_b64 s[10:11], s[20:21], 1
	v_add_co_u32 v33, vcc_lo, v152, s6
	s_delay_alu instid0(VALU_DEP_2)
	v_add_co_ci_u32_e32 v34, vcc_lo, s7, v153, vcc_lo
	v_add_co_u32 v35, vcc_lo, v152, s10
	s_lshl_b64 s[12:13], s[24:25], 1
	v_add_co_ci_u32_e32 v36, vcc_lo, s11, v153, vcc_lo
	v_add_co_u32 v37, vcc_lo, v152, s12
	s_lshl_b64 s[20:21], s[26:27], 1
	s_mul_hi_i32 s9, s37, s5
	s_mul_i32 s8, s37, s5
	v_add_co_ci_u32_e32 v38, vcc_lo, s13, v153, vcc_lo
	v_add_co_u32 v39, vcc_lo, v152, s20
	s_lshl_b64 s[8:9], s[8:9], 1
	v_add_co_ci_u32_e32 v40, vcc_lo, s21, v153, vcc_lo
	v_add_co_u32 v145, vcc_lo, v152, s8
	s_lshl_b64 s[22:23], s[30:31], 1
	s_waitcnt lgkmcnt(0)
	s_mul_hi_i32 s25, s15, s5
	s_mul_i32 s24, s15, s5
	v_add_co_ci_u32_e32 v146, vcc_lo, s9, v153, vcc_lo
	v_add_co_u32 v147, vcc_lo, v152, s22
	s_lshl_b64 s[24:25], s[24:25], 1
	v_add_co_ci_u32_e32 v148, vcc_lo, s23, v153, vcc_lo
	s_mul_hi_i32 s7, s4, s5
	s_mul_i32 s6, s4, s5
	v_add_co_u32 v149, vcc_lo, v152, s24
	s_lshl_b64 s[6:7], s[6:7], 1
	v_add_co_ci_u32_e32 v150, vcc_lo, s25, v153, vcc_lo
	s_clause 0x7
	global_load_b128 v[65:68], v[33:34], off
	global_load_b128 v[69:72], v[33:34], off offset:16
	global_load_b128 v[57:60], v[35:36], off
	global_load_b128 v[61:64], v[35:36], off offset:16
	;; [unrolled: 2-line block ×4, first 2 shown]
	s_waitcnt vmcnt(22)
	v_wmma_f32_16x16x16_f16 v[137:144], v[1:8], v[25:32], v[121:128]
	s_waitcnt vmcnt(20)
	v_wmma_f32_16x16x16_f16 v[121:128], v[9:16], v[25:32], v[121:128]
	v_add_co_u32 v29, vcc_lo, v152, s6
	v_add_co_ci_u32_e32 v30, vcc_lo, s7, v153, vcc_lo
	s_mul_hi_i32 s7, s17, s5
	s_mul_i32 s6, s17, s5
	s_waitcnt vmcnt(18)
	v_wmma_f32_16x16x16_f16 v[137:144], v[17:24], v[129:136], v[137:144]
	s_lshl_b64 s[4:5], s[6:7], 1
	s_clause 0x1
	global_load_b128 v[9:12], v[145:146], off
	global_load_b128 v[13:16], v[145:146], off offset:16
	v_add_co_u32 v21, vcc_lo, v152, s4
	v_add_co_ci_u32_e32 v22, vcc_lo, s5, v153, vcc_lo
	s_clause 0x7
	global_load_b128 v[1:4], v[147:148], off
	global_load_b128 v[5:8], v[147:148], off offset:16
	global_load_b128 v[33:36], v[149:150], off
	global_load_b128 v[37:40], v[149:150], off offset:16
	;; [unrolled: 2-line block ×4, first 2 shown]
	s_waitcnt vmcnt(26)
	v_wmma_f32_16x16x16_f16 v[121:128], v[81:88], v[129:136], v[121:128]
	ds_load_b128 v[81:84], v151 offset:4096
	ds_load_b128 v[85:88], v151 offset:5120
	v_mbcnt_lo_u32_b32 v130, -1, 0
	s_delay_alu instid0(VALU_DEP_1) | instskip(NEXT) | instid1(VALU_DEP_1)
	v_xor_b32_e32 v131, 16, v130
	v_cmp_gt_i32_e32 vcc_lo, 32, v131
	v_cndmask_b32_e32 v130, v130, v131, vcc_lo
	s_waitcnt vmcnt(24) lgkmcnt(0)
	v_wmma_f32_16x16x16_f16 v[137:144], v[89:96], v[81:88], v[137:144]
	ds_load_b128 v[89:92], v151 offset:6144
	ds_load_b128 v[93:96], v151 offset:7168
	s_waitcnt vmcnt(22)
	v_wmma_f32_16x16x16_f16 v[121:128], v[97:104], v[81:88], v[121:128]
	s_waitcnt vmcnt(0) lgkmcnt(0)
	s_barrier
	buffer_gl0_inv
	v_wmma_f32_16x16x16_f16 v[137:144], v[105:112], v[89:96], v[137:144]
	v_and_b32_e32 v129, 0xe0, v0
	v_wmma_f32_16x16x16_f16 v[121:128], v[113:120], v[89:96], v[121:128]
	s_delay_alu instid0(VALU_DEP_3) | instskip(NEXT) | instid1(VALU_DEP_2)
	v_mul_f32_e32 v96, s19, v137
	v_dual_mul_f32 v104, s19, v126 :: v_dual_add_nc_u32 v129, s16, v129
	v_mul_f32_e32 v95, s19, v138
	v_dual_mul_f32 v93, s19, v140 :: v_dual_mul_f32 v94, s19, v139
	s_delay_alu instid0(VALU_DEP_3) | instskip(SKIP_3) | instid1(VALU_DEP_4)
	v_or_b32_e32 v129, v129, v75
	v_dual_mul_f32 v91, s19, v142 :: v_dual_mul_f32 v106, s19, v124
	v_dual_mul_f32 v92, s19, v141 :: v_dual_mul_f32 v89, s19, v144
	v_mul_f32_e32 v108, s19, v122
	v_or_b32_e32 v131, 2, v129
	v_or_b32_e32 v132, 4, v129
	;; [unrolled: 1-line block ×3, first 2 shown]
	v_cmp_gt_i32_e32 vcc_lo, s18, v129
	v_or_b32_e32 v82, 8, v129
	v_cmp_gt_i32_e64 s3, s18, v131
	v_or_b32_e32 v83, 10, v129
	v_cmp_gt_i32_e64 s4, s18, v132
	v_cndmask_b32_e32 v96, 0xff7fffff, v96, vcc_lo
	v_cmp_gt_i32_e64 s5, s18, v81
	v_cndmask_b32_e64 v95, 0xff7fffff, v95, s3
	v_or_b32_e32 v84, 12, v129
	v_or_b32_e32 v85, 14, v129
	v_cndmask_b32_e64 v94, 0xff7fffff, v94, s4
	v_cndmask_b32_e64 v81, 0xff7fffff, v93, s5
	v_max3_f32 v93, v96, 0xff7fffff, v95
	v_cmp_gt_i32_e64 s6, s18, v82
	v_cmp_gt_i32_e64 s7, s18, v83
	v_or_b32_e32 v86, 16, v129
	v_or_b32_e32 v87, 18, v129
	v_mul_f32_e32 v90, s19, v143
	v_cndmask_b32_e64 v82, 0xff7fffff, v92, s6
	v_cndmask_b32_e64 v83, 0xff7fffff, v91, s7
	v_max3_f32 v81, v93, v94, v81
	v_cmp_gt_i32_e64 s8, s18, v84
	v_cmp_gt_i32_e64 s9, s18, v85
	v_or_b32_e32 v88, 20, v129
	v_or_b32_e32 v97, 22, v129
	v_mul_f32_e32 v109, s19, v121
	;; [unrolled: 8-line block ×4, first 2 shown]
	v_cndmask_b32_e64 v84, 0xff7fffff, v107, s12
	v_cndmask_b32_e64 v85, 0xff7fffff, v106, s13
	v_max3_f32 v81, v81, v82, v83
	v_cmp_gt_i32_e64 s15, s18, v98
	v_cmp_gt_i32_e64 s16, s18, v99
	v_dual_mul_f32 v102, s19, v128 :: v_dual_mul_f32 v103, s19, v127
	s_delay_alu instid0(VALU_DEP_4) | instskip(NEXT) | instid1(VALU_DEP_4)
	v_max3_f32 v81, v81, v84, v85
	v_cndmask_b32_e64 v82, 0xff7fffff, v105, s15
	s_delay_alu instid0(VALU_DEP_4) | instskip(SKIP_2) | instid1(VALU_DEP_3)
	v_cndmask_b32_e64 v83, 0xff7fffff, v104, s16
	v_cmp_gt_i32_e64 s17, s18, v100
	v_cmp_gt_i32_e64 s18, s18, v101
	v_max3_f32 v81, v81, v82, v83
	s_delay_alu instid0(VALU_DEP_3) | instskip(NEXT) | instid1(VALU_DEP_3)
	v_cndmask_b32_e64 v84, 0xff7fffff, v103, s17
	v_cndmask_b32_e64 v85, 0xff7fffff, v102, s18
	v_lshlrev_b32_e32 v83, 2, v130
	s_delay_alu instid0(VALU_DEP_2) | instskip(SKIP_3) | instid1(VALU_DEP_1)
	v_max3_f32 v81, v81, v84, v85
	ds_bpermute_b32 v82, v83, v81
	s_waitcnt lgkmcnt(0)
	v_max_f32_e32 v82, v82, v82
	v_max_f32_e32 v81, v81, v82
	s_delay_alu instid0(VALU_DEP_1)
	v_fma_f32 v82, s19, v137, -v81
	v_fma_f32 v84, s19, v138, -v81
	;; [unrolled: 1-line block ×5, first 2 shown]
	v_mul_f32_e32 v82, 0x3fb8aa3b, v82
	s_delay_alu instid0(VALU_DEP_4) | instskip(NEXT) | instid1(VALU_DEP_3)
	v_dual_mul_f32 v84, 0x3fb8aa3b, v84 :: v_dual_mul_f32 v89, 0x3fb8aa3b, v87
	v_mul_f32_e32 v86, 0x3fb8aa3b, v86
	s_delay_alu instid0(VALU_DEP_3) | instskip(NEXT) | instid1(VALU_DEP_2)
	v_exp_f32_e32 v82, v82
	v_exp_f32_e32 v84, v84
	s_delay_alu instid0(VALU_DEP_2) | instskip(NEXT) | instid1(VALU_DEP_1)
	v_exp_f32_e32 v92, v89
	v_exp_f32_e32 v86, v86
	v_cndmask_b32_e32 v88, 0, v82, vcc_lo
	s_delay_alu instid0(TRANS32_DEP_3)
	v_cndmask_b32_e64 v87, 0, v84, s3
	s_waitcnt_depctr 0xfff
	v_cndmask_b32_e64 v92, 0, v92, s6
	v_cmp_gt_u32_e64 s3, 16, v80
	v_cndmask_b32_e64 v89, 0, v86, s5
	v_add_f32_e32 v84, 0, v88
	s_delay_alu instid0(VALU_DEP_1) | instskip(NEXT) | instid1(VALU_DEP_1)
	v_dual_add_f32 v84, v84, v87 :: v_dual_mul_f32 v85, 0x3fb8aa3b, v85
	v_exp_f32_e32 v85, v85
	s_waitcnt_depctr 0xfff
	v_cndmask_b32_e64 v90, 0, v85, s4
	s_delay_alu instid0(VALU_DEP_1) | instskip(NEXT) | instid1(VALU_DEP_1)
	v_add_f32_e32 v84, v84, v90
	v_add_f32_e32 v84, v84, v89
	v_fma_f32 v82, s19, v142, -v81
	v_fma_f32 v91, s19, v143, -v81
	;; [unrolled: 1-line block ×5, first 2 shown]
	s_delay_alu instid0(VALU_DEP_4) | instskip(SKIP_1) | instid1(VALU_DEP_4)
	v_dual_mul_f32 v82, 0x3fb8aa3b, v82 :: v_dual_mul_f32 v91, 0x3fb8aa3b, v91
	v_fma_f32 v96, s19, v124, -v81
	v_mul_f32_e32 v86, 0x3fb8aa3b, v86
	v_fma_f32 v99, s19, v127, -v81
	s_delay_alu instid0(VALU_DEP_4) | instskip(SKIP_3) | instid1(VALU_DEP_1)
	v_exp_f32_e32 v82, v82
	v_exp_f32_e32 v93, v91
	v_mul_f32_e32 v97, 0x3fb8aa3b, v96
	v_exp_f32_e32 v86, v86
	v_exp_f32_e32 v97, v97
	v_cndmask_b32_e64 v91, 0, v82, s7
	v_dual_add_f32 v82, v84, v92 :: v_dual_mul_f32 v85, 0x3fb8aa3b, v85
	v_fma_f32 v84, s19, v123, -v81
	v_mul_f32_e32 v95, 0x3fb8aa3b, v94
	s_delay_alu instid0(TRANS32_DEP_3) | instskip(NEXT) | instid1(VALU_DEP_4)
	v_cndmask_b32_e64 v94, 0, v93, s8
	v_add_f32_e32 v82, v82, v91
	v_exp_f32_e32 v85, v85
	v_mul_f32_e32 v84, 0x3fb8aa3b, v84
	v_cndmask_b32_e64 v96, 0, v86, s10
	v_exp_f32_e32 v95, v95
	v_add_f32_e32 v82, v82, v94
	v_fma_f32 v86, s19, v126, -v81
	v_exp_f32_e32 v84, v84
	v_cndmask_b32_e64 v97, 0, v97, s13
	s_delay_alu instid0(TRANS32_DEP_3) | instskip(SKIP_2) | instid1(TRANS32_DEP_2)
	v_cndmask_b32_e64 v93, 0, v85, s9
	v_fma_f32 v85, s19, v125, -v81
	v_mul_f32_e32 v86, 0x3fb8aa3b, v86
	v_cndmask_b32_e64 v95, 0, v95, s11
	s_waitcnt_depctr 0xfff
	v_cndmask_b32_e64 v98, 0, v84, s12
	v_mul_f32_e32 v84, 0x3fb8aa3b, v99
	v_fma_f32 v99, s19, v128, -v81
	v_add_f32_e32 v82, v82, v93
	v_mul_f32_e32 v85, 0x3fb8aa3b, v85
	v_exp_f32_e32 v86, v86
	v_exp_f32_e32 v84, v84
	s_delay_alu instid0(VALU_DEP_1)
	v_exp_f32_e32 v85, v85
	s_waitcnt_depctr 0xfff
	v_cndmask_b32_e64 v102, 0, v84, s17
	v_cndmask_b32_e64 v100, 0, v85, s15
	v_dual_mul_f32 v85, 0x3fb8aa3b, v99 :: v_dual_add_f32 v82, v82, v96
	v_cndmask_b32_e64 v99, 0, v86, s16
	s_delay_alu instid0(VALU_DEP_2) | instskip(NEXT) | instid1(VALU_DEP_2)
	v_exp_f32_e32 v85, v85
	v_add_f32_e32 v82, v82, v95
	s_delay_alu instid0(VALU_DEP_1) | instskip(SKIP_3) | instid1(VALU_DEP_1)
	v_add_f32_e32 v82, v82, v98
	s_waitcnt_depctr 0xfff
	v_cndmask_b32_e64 v101, 0, v85, s18
	v_add_f32_e32 v82, v82, v97
	v_add_f32_e32 v82, v82, v100
	s_delay_alu instid0(VALU_DEP_1) | instskip(NEXT) | instid1(VALU_DEP_1)
	v_add_f32_e32 v82, v82, v99
	v_add_f32_e32 v82, v82, v102
	s_delay_alu instid0(VALU_DEP_1)
	v_add_f32_e32 v82, v82, v101
	ds_bpermute_b32 v83, v83, v82
	s_and_saveexec_b32 s4, s3
	s_cbranch_execz .LBB140_14
; %bb.13:
	v_mul_u32_u24_e32 v80, 0x44, v78
	s_waitcnt lgkmcnt(0)
	v_add_f32_e32 v82, v82, v83
	s_delay_alu instid0(VALU_DEP_2) | instskip(NEXT) | instid1(VALU_DEP_1)
	v_lshl_add_u32 v80, v77, 2, v80
	v_add_nc_u32_e32 v80, 0x4000, v80
	ds_store_2addr_b32 v80, v81, v82 offset1:136
.LBB140_14:
	s_or_b32 exec_lo, exec_lo, s4
	v_lshlrev_b32_e32 v80, 2, v77
	s_load_b32 s36, s[0:1], 0x94
	s_waitcnt lgkmcnt(0)
	s_barrier
	buffer_gl0_inv
	v_add_nc_u32_e32 v84, 0x4000, v80
	v_cmp_eq_u32_e32 vcc_lo, 1, v78
	v_cmp_eq_u32_e64 s4, 2, v78
	v_cmp_eq_u32_e64 s5, 3, v78
	;; [unrolled: 1-line block ×3, first 2 shown]
	ds_load_2addr_b32 v[80:81], v84 offset1:17
	ds_load_2addr_b32 v[82:83], v84 offset0:34 offset1:51
	ds_load_2addr_b32 v[103:104], v84 offset0:68 offset1:85
	;; [unrolled: 1-line block ×3, first 2 shown]
	v_cmp_eq_u32_e64 s7, 7, v78
	s_waitcnt lgkmcnt(3)
	v_max3_f32 v85, v80, 0xff7fffff, v81
	s_waitcnt lgkmcnt(2)
	s_delay_alu instid0(VALU_DEP_1) | instskip(SKIP_1) | instid1(VALU_DEP_1)
	v_max3_f32 v85, v85, v82, v83
	s_waitcnt lgkmcnt(1)
	v_max3_f32 v85, v85, v103, v104
	s_waitcnt lgkmcnt(0)
	s_delay_alu instid0(VALU_DEP_1) | instskip(NEXT) | instid1(VALU_DEP_1)
	v_max3_f32 v85, v85, v105, v106
	v_sub_f32_e32 v103, v103, v85
	ds_load_2addr_b32 v[107:108], v84 offset0:136 offset1:153
	v_sub_f32_e32 v80, v80, v85
	v_dual_sub_f32 v110, v83, v85 :: v_dual_mul_f32 v113, 0x3fb8aa3b, v103
	s_delay_alu instid0(VALU_DEP_2) | instskip(SKIP_3) | instid1(VALU_DEP_1)
	v_dual_sub_f32 v86, v81, v85 :: v_dual_mul_f32 v109, 0x3fb8aa3b, v80
	ds_load_2addr_b32 v[80:81], v84 offset0:170 offset1:187
	v_mul_f32_e32 v86, 0x3fb8aa3b, v86
	v_exp_f32_e32 v109, v109
	v_exp_f32_e32 v112, v86
	v_mul_f32_e32 v110, 0x3fb8aa3b, v110
	s_waitcnt lgkmcnt(1)
	s_waitcnt_depctr 0xfff
	v_fma_f32 v86, v109, v107, 0
	v_sub_f32_e32 v107, v104, v85
	v_sub_f32_e32 v82, v82, v85
	v_exp_f32_e32 v110, v110
	ds_load_2addr_b32 v[103:104], v84 offset0:238 offset1:255
	v_dual_fmac_f32 v86, v112, v108 :: v_dual_mul_f32 v111, 0x3fb8aa3b, v82
	ds_load_2addr_b32 v[82:83], v84 offset0:204 offset1:221
	v_dual_sub_f32 v84, v105, v85 :: v_dual_mul_f32 v105, 0x3fb8aa3b, v107
	v_exp_f32_e32 v107, v113
	v_exp_f32_e32 v111, v111
	s_waitcnt lgkmcnt(0)
	s_delay_alu instid0(VALU_DEP_1)
	v_mul_f32_e32 v84, 0x3fb8aa3b, v84
	v_exp_f32_e32 v105, v105
	s_barrier
	buffer_gl0_inv
	v_fmac_f32_e32 v86, v111, v80
	v_sub_f32_e32 v80, v106, v85
	v_exp_f32_e32 v106, v84
	s_delay_alu instid0(VALU_DEP_2) | instskip(NEXT) | instid1(VALU_DEP_2)
	v_fmac_f32_e32 v86, v110, v81
	v_mul_f32_e32 v80, 0x3fb8aa3b, v80
	s_delay_alu instid0(VALU_DEP_2) | instskip(NEXT) | instid1(VALU_DEP_2)
	v_dual_cndmask_b32 v81, v109, v112 :: v_dual_fmac_f32 v86, v107, v82
	v_exp_f32_e32 v108, v80
	s_delay_alu instid0(VALU_DEP_1) | instskip(SKIP_2) | instid1(VALU_DEP_1)
	v_fmac_f32_e32 v86, v105, v83
	s_waitcnt_depctr 0xfff
	v_fmac_f32_e32 v86, v106, v103
	v_fmac_f32_e32 v86, v108, v104
	s_delay_alu instid0(VALU_DEP_1) | instskip(NEXT) | instid1(VALU_DEP_1)
	v_add_f32_e32 v103, 0x358637bd, v86
	v_div_scale_f32 v104, null, v103, v103, 1.0
	v_div_scale_f32 v109, vcc_lo, 1.0, v103, 1.0
	s_delay_alu instid0(VALU_DEP_2) | instskip(SKIP_2) | instid1(VALU_DEP_1)
	v_rcp_f32_e32 v113, v104
	s_waitcnt_depctr 0xfff
	v_fma_f32 v80, -v104, v113, 1.0
	v_fmac_f32_e32 v113, v80, v113
	v_cndmask_b32_e64 v80, v81, v111, s4
	v_cmp_eq_u32_e64 s4, 4, v78
	v_lshl_or_b32 v81, v78, 11, v79
	s_delay_alu instid0(VALU_DEP_4) | instskip(NEXT) | instid1(VALU_DEP_4)
	v_mul_f32_e32 v111, v109, v113
	v_cndmask_b32_e64 v82, v80, v110, s5
	v_cmp_eq_u32_e64 s5, 6, v78
	s_delay_alu instid0(VALU_DEP_4) | instskip(SKIP_3) | instid1(VALU_DEP_3)
	v_lshl_or_b32 v78, v75, 4, v81
	v_lshlrev_b32_e32 v80, 2, v75
	v_fma_f32 v83, -v104, v111, v109
	v_cndmask_b32_e64 v84, v82, v107, s4
	v_or_b32_e32 v82, 1, v80
	s_delay_alu instid0(VALU_DEP_3) | instskip(NEXT) | instid1(VALU_DEP_3)
	v_fmac_f32_e32 v111, v83, v113
	v_cndmask_b32_e64 v105, v84, v105, s6
	v_or_b32_e32 v84, 2, v80
	v_or_b32_e32 v83, 3, v80
	v_cmp_eq_u32_e64 s4, 1, v80
	v_fma_f32 v104, -v104, v111, v109
	v_cndmask_b32_e64 v105, v105, v106, s5
	v_cmp_eq_u32_e64 s10, 1, v82
	v_cmp_eq_u32_e64 s11, 1, v84
	;; [unrolled: 1-line block ×3, first 2 shown]
	v_div_fmas_f32 v104, v104, v113, v111
	v_cndmask_b32_e64 v105, v105, v108, s7
	v_cmp_eq_u32_e32 vcc_lo, 2, v80
	v_cmp_eq_u32_e64 s13, 2, v82
	v_cmp_eq_u32_e64 s16, 2, v84
	v_div_fixup_f32 v103, v104, v103, 1.0
	v_cmp_eq_u32_e64 s17, 2, v83
	v_cmp_eq_u32_e64 s19, 3, v83
	;; [unrolled: 1-line block ×4, first 2 shown]
	v_mul_f32_e32 v111, v105, v103
	v_cmp_eq_u32_e64 s18, 3, v84
	v_cmp_eq_u32_e64 s23, 4, v83
	;; [unrolled: 1-line block ×4, first 2 shown]
	v_fma_mixlo_f16 v103, v111, v88, 0
	v_fma_mixlo_f16 v104, v111, v90, 0
	;; [unrolled: 1-line block ×8, first 2 shown]
	v_fma_mixhi_f16 v103, v111, v87, 0
	v_fma_mixhi_f16 v104, v111, v89, 0
	v_fma_mixhi_f16 v105, v111, v91, 0
	v_fma_mixhi_f16 v106, v111, v93, 0
	v_fma_mixhi_f16 v107, v111, v95, 0
	v_fma_mixhi_f16 v108, v111, v97, 0
	v_fma_mixhi_f16 v109, v111, v99, 0
	v_fma_mixhi_f16 v110, v111, v101, 0
	ds_store_b128 v78, v[103:106]
	ds_store_b128 v78, v[107:110] offset:1024
	s_waitcnt lgkmcnt(0)
	s_barrier
	buffer_gl0_inv
	ds_load_b128 v[87:90], v81
	ds_load_b128 v[91:94], v81 offset:16
	ds_load_b128 v[95:98], v81 offset:1024
	;; [unrolled: 1-line block ×3, first 2 shown]
	v_cmp_eq_u32_e64 s22, 4, v84
	v_cmp_eq_u32_e64 s25, 5, v83
	;; [unrolled: 1-line block ×13, first 2 shown]
	s_waitcnt lgkmcnt(3)
	v_lshrrev_b32_e32 v103, 16, v87
	s_waitcnt lgkmcnt(2)
	v_lshrrev_b32_e32 v107, 16, v91
	s_waitcnt lgkmcnt(1)
	v_lshrrev_b32_e32 v111, 16, v95
	s_waitcnt lgkmcnt(0)
	v_lshrrev_b32_e32 v115, 16, v99
	v_lshrrev_b32_e32 v104, 16, v88
	v_cndmask_b32_e64 v119, v87, v103, s4
	v_cndmask_b32_e64 v120, v91, v107, s4
	v_cndmask_b32_e64 v121, v87, v103, s10
	v_cndmask_b32_e64 v122, v91, v107, s10
	v_cndmask_b32_e64 v123, v87, v103, s11
	v_cndmask_b32_e64 v124, v91, v107, s11
	v_cndmask_b32_e64 v87, v87, v103, s12
	v_cndmask_b32_e64 v91, v91, v107, s12
	v_lshrrev_b32_e32 v108, 16, v92
	v_cndmask_b32_e64 v103, v95, v111, s4
	v_cndmask_b32_e64 v107, v99, v115, s4
	;; [unrolled: 1-line block ×5, first 2 shown]
	v_cndmask_b32_e32 v111, v119, v88, vcc_lo
	v_cndmask_b32_e64 v119, v121, v88, s13
	v_cndmask_b32_e64 v121, v123, v88, s16
	;; [unrolled: 1-line block ×4, first 2 shown]
	v_lshrrev_b32_e32 v112, 16, v96
	v_lshrrev_b32_e32 v116, 16, v100
	v_cndmask_b32_e64 v126, v99, v115, s10
	v_cndmask_b32_e64 v128, v99, v115, s11
	;; [unrolled: 1-line block ×3, first 2 shown]
	v_cndmask_b32_e32 v115, v120, v92, vcc_lo
	v_cndmask_b32_e64 v120, v122, v92, s13
	v_cndmask_b32_e64 v122, v124, v92, s16
	v_cndmask_b32_e32 v91, v103, v96, vcc_lo
	v_cndmask_b32_e32 v92, v107, v100, vcc_lo
	v_cndmask_b32_e64 v103, v125, v96, s13
	v_cndmask_b32_e64 v87, v87, v104, s19
	v_cndmask_b32_e64 v88, v88, v108, s19
	v_lshrrev_b32_e32 v105, 16, v89
	v_lshrrev_b32_e32 v109, 16, v93
	v_cndmask_b32_e64 v107, v127, v96, s16
	v_cndmask_b32_e64 v95, v95, v96, s17
	;; [unrolled: 1-line block ×14, first 2 shown]
	v_lshrrev_b32_e32 v113, 16, v97
	v_cndmask_b32_e64 v99, v99, v89, s6
	v_cndmask_b32_e64 v104, v111, v93, s6
	;; [unrolled: 1-line block ×11, first 2 shown]
	v_lshrrev_b32_e32 v106, 16, v90
	v_lshrrev_b32_e32 v110, 16, v94
	v_cndmask_b32_e64 v93, v99, v105, s7
	v_cndmask_b32_e64 v99, v104, v109, s7
	;; [unrolled: 1-line block ×9, first 2 shown]
	v_lshrrev_b32_e32 v114, 16, v98
	v_cndmask_b32_e64 v89, v89, v113, s7
	v_cndmask_b32_e64 v93, v93, v90, s8
	;; [unrolled: 1-line block ×19, first 2 shown]
	v_perm_b32 v90, v88, v87, 0x5040100
	v_cndmask_b32_e64 v87, v126, v100, s13
	v_cndmask_b32_e64 v105, v89, v114, s9
	v_perm_b32 v89, v103, v99, 0x5040100
	v_perm_b32 v88, v104, v94, 0x5040100
	v_cndmask_b32_e64 v94, v107, v112, s18
	v_cndmask_b32_e64 v95, v95, v112, s19
	;; [unrolled: 1-line block ×5, first 2 shown]
	v_lshrrev_b32_e32 v117, 16, v101
	v_cndmask_b32_e64 v94, v94, v97, s22
	v_cndmask_b32_e64 v95, v95, v97, s23
	;; [unrolled: 1-line block ×11, first 2 shown]
	v_lshrrev_b32_e32 v118, 16, v102
	v_cndmask_b32_e64 v91, v91, v102, s8
	v_cndmask_b32_e64 v94, v94, v98, s27
	;; [unrolled: 1-line block ×12, first 2 shown]
	v_perm_b32 v87, v93, v92, 0x5040100
	v_perm_b32 v94, v95, v94, 0x5040100
	v_perm_b32 v93, v96, v98, 0x5040100
	v_perm_b32 v92, v97, v106, 0x5040100
	v_perm_b32 v91, v91, v105, 0x5040100
	s_mul_i32 s8, s35, 7
	s_mov_b32 s4, exec_lo
	ds_store_b128 v78, v[87:90]
	ds_store_b128 v78, v[91:94] offset:1024
	v_cmpx_gt_u32_e32 7, v0
	s_cbranch_execz .LBB140_16
; %bb.15:
	s_mul_i32 s5, s8, s34
	s_load_b128 s[16:19], s[0:1], 0x58
	v_add3_u32 v77, s5, s33, v77
	s_delay_alu instid0(VALU_DEP_1) | instskip(NEXT) | instid1(VALU_DEP_1)
	v_mad_u64_u32 v[87:88], null, v77, s36, s[14:15]
	v_ashrrev_i32_e32 v88, 31, v87
	s_delay_alu instid0(VALU_DEP_1) | instskip(SKIP_1) | instid1(VALU_DEP_1)
	v_lshlrev_b64 v[87:88], 2, v[87:88]
	s_waitcnt lgkmcnt(0)
	v_add_co_u32 v89, vcc_lo, s18, v87
	s_delay_alu instid0(VALU_DEP_2)
	v_add_co_ci_u32_e32 v90, vcc_lo, s19, v88, vcc_lo
	v_add_co_u32 v87, vcc_lo, s16, v87
	v_add_co_ci_u32_e32 v88, vcc_lo, s17, v88, vcc_lo
	global_store_b32 v[89:90], v85, off
	global_store_b32 v[87:88], v86, off
.LBB140_16:
	s_or_b32 exec_lo, exec_lo, s4
	s_waitcnt lgkmcnt(0)
	s_waitcnt_vscnt null, 0x0
	s_barrier
	buffer_gl0_inv
	ds_load_b128 v[93:96], v79
	ds_load_b128 v[97:100], v79 offset:16
	ds_load_b128 v[105:108], v79 offset:1040
	;; [unrolled: 1-line block ×5, first 2 shown]
	v_cmp_eq_u32_e32 vcc_lo, 1, v84
	v_mov_b32_e32 v85, 0
	ds_load_b128 v[121:124], v79 offset:3088
	ds_load_b128 v[117:120], v79 offset:3072
	;; [unrolled: 1-line block ×4, first 2 shown]
	v_cmp_eq_u32_e64 s4, 1, v80
	v_cmp_eq_u32_e64 s5, 1, v83
	;; [unrolled: 1-line block ×3, first 2 shown]
	v_mov_b32_e32 v86, v85
	v_mov_b32_e32 v87, v85
	;; [unrolled: 1-line block ×7, first 2 shown]
	v_cmp_eq_u32_e64 s7, 2, v80
	s_waitcnt lgkmcnt(8)
	s_delay_alu instid0(VALU_DEP_2)
	v_wmma_f32_16x16x16_f16 v[85:92], v[65:72], v[93:100], v[85:92]
	ds_load_b128 v[69:72], v79 offset:5136
	ds_load_b128 v[65:68], v79 offset:5120
	;; [unrolled: 1-line block ×4, first 2 shown]
	s_waitcnt lgkmcnt(10)
	v_wmma_f32_16x16x16_f16 v[85:92], v[57:64], v[101:108], v[85:92]
	s_waitcnt lgkmcnt(8)
	s_delay_alu instid0(VALU_DEP_1)
	v_wmma_f32_16x16x16_f16 v[85:92], v[57:64], v[109:116], v[85:92]
	ds_load_b128 v[61:64], v79 offset:7184
	ds_load_b128 v[57:60], v79 offset:7168
	;; [unrolled: 1-line block ×4, first 2 shown]
	s_waitcnt lgkmcnt(10)
	v_wmma_f32_16x16x16_f16 v[85:92], v[49:56], v[117:124], v[85:92]
	s_waitcnt lgkmcnt(8)
	s_delay_alu instid0(VALU_DEP_1)
	v_wmma_f32_16x16x16_f16 v[85:92], v[49:56], v[125:132], v[85:92]
	ds_load_b128 v[53:56], v79 offset:9232
	ds_load_b128 v[49:52], v79 offset:9216
	s_waitcnt lgkmcnt(8)
	v_wmma_f32_16x16x16_f16 v[85:92], v[41:48], v[65:72], v[85:92]
	ds_load_b128 v[69:72], v79 offset:10256
	ds_load_b128 v[65:68], v79 offset:10240
	s_waitcnt lgkmcnt(8)
	;; [unrolled: 4-line block ×7, first 2 shown]
	s_barrier
	buffer_gl0_inv
	v_wmma_f32_16x16x16_f16 v[85:92], v[33:40], v[41:48], v[85:92]
	s_delay_alu instid0(VALU_DEP_1) | instskip(NEXT) | instid1(VALU_DEP_1)
	v_wmma_f32_16x16x16_f16 v[85:92], v[33:40], v[57:64], v[85:92]
	v_wmma_f32_16x16x16_f16 v[85:92], v[25:32], v[9:16], v[85:92]
	s_delay_alu instid0(VALU_DEP_1) | instskip(NEXT) | instid1(VALU_DEP_1)
	v_wmma_f32_16x16x16_f16 v[85:92], v[25:32], v[49:56], v[85:92]
	v_wmma_f32_16x16x16_f16 v[85:92], v[17:24], v[1:8], v[85:92]
	s_delay_alu instid0(VALU_DEP_1) | instskip(NEXT) | instid1(VALU_DEP_2)
	v_cvt_f16_f32_e32 v1, v85
	v_cvt_f16_f32_e32 v2, v86
	s_delay_alu instid0(VALU_DEP_3) | instskip(NEXT) | instid1(VALU_DEP_4)
	v_cvt_f16_f32_e32 v3, v87
	v_cvt_f16_f32_e32 v4, v88
	v_cvt_f16_f32_e32 v5, v89
	v_cvt_f16_f32_e32 v6, v90
	v_cvt_f16_f32_e32 v7, v91
	v_cvt_f16_f32_e32 v8, v92
	v_pack_b32_f16 v1, v1, v2
	v_pack_b32_f16 v2, v3, v4
	;; [unrolled: 1-line block ×3, first 2 shown]
	s_delay_alu instid0(VALU_DEP_4)
	v_pack_b32_f16 v4, v7, v8
	ds_store_b128 v78, v[1:4]
	s_waitcnt lgkmcnt(0)
	s_barrier
	buffer_gl0_inv
	ds_load_b128 v[1:4], v81
	ds_load_b128 v[5:8], v81 offset:16
	s_waitcnt lgkmcnt(1)
	v_lshrrev_b32_e32 v9, 16, v1
	s_waitcnt lgkmcnt(0)
	v_lshrrev_b32_e32 v13, 16, v5
	v_lshrrev_b32_e32 v15, 16, v7
	v_lshrrev_b32_e32 v10, 16, v2
	v_lshrrev_b32_e32 v14, 16, v6
	v_cndmask_b32_e64 v17, v1, v9, s4
	v_cndmask_b32_e64 v18, v5, v13, s4
	;; [unrolled: 1-line block ×3, first 2 shown]
	v_cmp_eq_u32_e64 s4, 2, v82
	v_cndmask_b32_e64 v20, v5, v13, s6
	v_cndmask_b32_e32 v21, v1, v9, vcc_lo
	v_cndmask_b32_e32 v22, v5, v13, vcc_lo
	v_cndmask_b32_e64 v1, v1, v9, s5
	v_cndmask_b32_e64 v5, v5, v13, s5
	v_cmp_eq_u32_e32 vcc_lo, 2, v84
	v_cmp_eq_u32_e64 s5, 2, v83
	v_cndmask_b32_e64 v9, v17, v2, s7
	v_cndmask_b32_e64 v13, v18, v6, s7
	v_cndmask_b32_e64 v17, v19, v2, s4
	v_cndmask_b32_e64 v18, v20, v6, s4
	v_cndmask_b32_e32 v19, v21, v2, vcc_lo
	v_cmp_eq_u32_e64 s4, 3, v84
	v_cndmask_b32_e32 v20, v22, v6, vcc_lo
	v_cndmask_b32_e64 v1, v1, v2, s5
	v_cmp_eq_u32_e32 vcc_lo, 3, v83
	v_cmp_eq_u32_e64 s6, 3, v80
	v_cndmask_b32_e64 v2, v5, v6, s5
	v_cmp_eq_u32_e64 s5, 3, v82
	v_lshrrev_b32_e32 v16, 16, v8
	v_cmp_eq_u32_e64 s7, 4, v80
	v_cndmask_b32_e64 v5, v9, v10, s6
	v_cndmask_b32_e64 v6, v13, v14, s6
	;; [unrolled: 1-line block ×3, first 2 shown]
	v_cmp_eq_u32_e64 s6, 4, v82
	v_cndmask_b32_e64 v13, v18, v14, s5
	v_cndmask_b32_e64 v17, v19, v10, s4
	;; [unrolled: 1-line block ×3, first 2 shown]
	v_cndmask_b32_e32 v1, v1, v10, vcc_lo
	v_cndmask_b32_e32 v2, v2, v14, vcc_lo
	v_cmp_eq_u32_e32 vcc_lo, 4, v84
	v_cmp_eq_u32_e64 s5, 4, v83
	v_lshrrev_b32_e32 v11, 16, v3
	v_cndmask_b32_e64 v5, v5, v3, s7
	v_cndmask_b32_e64 v6, v6, v7, s7
	;; [unrolled: 1-line block ×4, first 2 shown]
	v_cndmask_b32_e32 v13, v17, v3, vcc_lo
	v_cmp_eq_u32_e64 s4, 5, v84
	v_cndmask_b32_e32 v14, v18, v7, vcc_lo
	v_cndmask_b32_e64 v1, v1, v3, s5
	v_cmp_eq_u32_e32 vcc_lo, 5, v83
	v_cmp_eq_u32_e64 s6, 5, v80
	v_cndmask_b32_e64 v2, v2, v7, s5
	v_cmp_eq_u32_e64 s5, 5, v82
	v_cmp_eq_u32_e64 s7, 6, v80
	v_cndmask_b32_e32 v1, v1, v11, vcc_lo
	v_cndmask_b32_e64 v3, v5, v11, s6
	v_cndmask_b32_e64 v5, v6, v15, s6
	;; [unrolled: 1-line block ×3, first 2 shown]
	v_cmp_eq_u32_e64 s6, 6, v82
	v_cndmask_b32_e64 v7, v10, v15, s5
	v_cndmask_b32_e64 v9, v13, v11, s4
	;; [unrolled: 1-line block ×3, first 2 shown]
	v_cndmask_b32_e32 v2, v2, v15, vcc_lo
	v_cmp_eq_u32_e32 vcc_lo, 6, v84
	v_cmp_eq_u32_e64 s4, 6, v83
	v_lshrrev_b32_e32 v12, 16, v4
	v_cndmask_b32_e64 v3, v3, v4, s7
	v_cndmask_b32_e64 v5, v5, v8, s7
	v_cndmask_b32_e64 v6, v6, v4, s6
	v_cndmask_b32_e64 v7, v7, v8, s6
	v_cndmask_b32_e32 v9, v9, v4, vcc_lo
	v_cmp_eq_u32_e64 s5, 7, v84
	v_cndmask_b32_e32 v10, v10, v8, vcc_lo
	v_cndmask_b32_e64 v1, v1, v4, s4
	v_cmp_eq_u32_e32 vcc_lo, 7, v83
	v_cndmask_b32_e64 v2, v2, v8, s4
	v_cmp_eq_u32_e64 s4, 7, v80
	v_cmp_eq_u32_e64 s6, 7, v82
	v_cndmask_b32_e32 v1, v1, v12, vcc_lo
	s_delay_alu instid0(VALU_DEP_4) | instskip(NEXT) | instid1(VALU_DEP_4)
	v_cndmask_b32_e32 v2, v2, v16, vcc_lo
	v_cndmask_b32_e64 v8, v3, v12, s4
	s_delay_alu instid0(VALU_DEP_4)
	v_cndmask_b32_e64 v6, v6, v12, s6
	v_cndmask_b32_e64 v3, v9, v12, s5
	;; [unrolled: 1-line block ×5, first 2 shown]
	v_cmp_gt_u32_e32 vcc_lo, 32, v0
	v_perm_b32 v4, v2, v1, 0x5040100
	v_perm_b32 v3, v9, v3, 0x5040100
	;; [unrolled: 1-line block ×4, first 2 shown]
	s_and_b32 s2, vcc_lo, s2
	ds_store_b128 v78, v[1:4]
	s_waitcnt lgkmcnt(0)
	s_barrier
	buffer_gl0_inv
	s_and_saveexec_b32 s4, s2
	s_cbranch_execz .LBB140_2
; %bb.17:
	s_load_b64 s[4:5], s[0:1], 0x68
	v_lshlrev_b32_e32 v0, 10, v0
	v_add_nc_u32_e32 v2, s33, v75
	v_lshlrev_b32_e32 v3, 4, v76
	s_lshl_b32 s0, s36, 6
	s_delay_alu instid0(SALU_CYCLE_1) | instskip(NEXT) | instid1(VALU_DEP_2)
	s_mul_i32 s1, s0, s34
	v_mul_lo_u32 v1, v2, s0
	s_delay_alu instid0(VALU_DEP_2)
	v_and_or_b32 v0, 0x3800, v0, v3
	v_add_nc_u32_e32 v3, 2, v2
	s_mul_i32 s6, s1, s8
	v_add_nc_u32_e32 v4, 4, v2
	s_ashr_i32 s7, s6, 31
	v_lshl_or_b32 v11, v75, 6, v0
	s_lshl_b64 s[6:7], s[6:7], 1
	v_mul_lo_u32 v15, v3, s0
	v_mul_lo_u32 v17, v4, s0
	v_ashrrev_i32_e32 v2, 31, v1
	ds_load_b128 v[3:6], v11
	ds_load_b128 v[7:10], v11 offset:128
	ds_load_b128 v[11:14], v11 offset:256
	s_waitcnt lgkmcnt(0)
	s_add_u32 s1, s4, s6
	s_addc_u32 s2, s5, s7
	s_lshl_b32 s4, s14, 6
	v_ashrrev_i32_e32 v16, 31, v15
	s_ashr_i32 s5, s4, 31
	v_lshlrev_b64 v[19:20], 1, v[1:2]
	s_lshl_b64 s[4:5], s[4:5], 1
	v_ashrrev_i32_e32 v18, 31, v17
	s_add_u32 s1, s1, s4
	s_addc_u32 s2, s2, s5
	v_add_co_u32 v1, vcc_lo, s1, v73
	v_add_co_ci_u32_e32 v2, vcc_lo, s2, v74, vcc_lo
	v_lshlrev_b64 v[15:16], 1, v[15:16]
	s_delay_alu instid0(VALU_DEP_3) | instskip(SKIP_1) | instid1(VALU_DEP_4)
	v_add_co_u32 v19, vcc_lo, v1, v19
	v_lshlrev_b64 v[17:18], 1, v[17:18]
	v_add_co_ci_u32_e32 v20, vcc_lo, v2, v20, vcc_lo
	s_delay_alu instid0(VALU_DEP_4) | instskip(SKIP_1) | instid1(VALU_DEP_4)
	v_add_co_u32 v15, vcc_lo, v1, v15
	v_add_co_ci_u32_e32 v16, vcc_lo, v2, v16, vcc_lo
	v_add_co_u32 v17, vcc_lo, v1, v17
	v_add_co_ci_u32_e32 v18, vcc_lo, v2, v18, vcc_lo
	s_clause 0x2
	global_store_b128 v[19:20], v[3:6], off
	global_store_b128 v[15:16], v[7:10], off
	;; [unrolled: 1-line block ×3, first 2 shown]
	s_and_b32 exec_lo, exec_lo, s3
	s_cbranch_execz .LBB140_2
; %bb.18:
	ds_load_b128 v[3:6], v0 offset:384
	s_add_i32 s1, s33, 6
	s_delay_alu instid0(SALU_CYCLE_1) | instskip(NEXT) | instid1(SALU_CYCLE_1)
	s_mul_i32 s0, s1, s0
	s_ashr_i32 s1, s0, 31
	s_delay_alu instid0(SALU_CYCLE_1) | instskip(NEXT) | instid1(SALU_CYCLE_1)
	s_lshl_b64 s[0:1], s[0:1], 1
	v_add_co_u32 v0, vcc_lo, v1, s0
	v_add_co_ci_u32_e32 v1, vcc_lo, s1, v2, vcc_lo
	s_waitcnt lgkmcnt(0)
	global_store_b128 v[0:1], v[3:6], off
	s_nop 0
	s_sendmsg sendmsg(MSG_DEALLOC_VGPRS)
	s_endpgm
	.section	.rodata,"a",@progbits
	.p2align	6, 0x0
	.amdhsa_kernel _Z39paged_attention_ll4mi_QKV_mfma16_kernelIDF16_DF16_LN4vllm18Fp8KVCacheDataTypeE0EhLi32ELi64ELi256ELb0ELi7EL8MFMAType0EEvPKT_PKT0_S8_ifPKiSA_SA_iPKfiiiPfSD_PS3_PT2_iSC_SC_
		.amdhsa_group_segment_fixed_size 17472
		.amdhsa_private_segment_fixed_size 0
		.amdhsa_kernarg_size 400
		.amdhsa_user_sgpr_count 13
		.amdhsa_user_sgpr_dispatch_ptr 0
		.amdhsa_user_sgpr_queue_ptr 0
		.amdhsa_user_sgpr_kernarg_segment_ptr 1
		.amdhsa_user_sgpr_dispatch_id 0
		.amdhsa_user_sgpr_private_segment_size 0
		.amdhsa_wavefront_size32 1
		.amdhsa_uses_dynamic_stack 0
		.amdhsa_enable_private_segment 0
		.amdhsa_system_sgpr_workgroup_id_x 1
		.amdhsa_system_sgpr_workgroup_id_y 1
		.amdhsa_system_sgpr_workgroup_id_z 1
		.amdhsa_system_sgpr_workgroup_info 0
		.amdhsa_system_vgpr_workitem_id 0
		.amdhsa_next_free_vgpr 154
		.amdhsa_next_free_sgpr 39
		.amdhsa_reserve_vcc 1
		.amdhsa_float_round_mode_32 0
		.amdhsa_float_round_mode_16_64 0
		.amdhsa_float_denorm_mode_32 3
		.amdhsa_float_denorm_mode_16_64 3
		.amdhsa_dx10_clamp 1
		.amdhsa_ieee_mode 1
		.amdhsa_fp16_overflow 0
		.amdhsa_workgroup_processor_mode 1
		.amdhsa_memory_ordered 1
		.amdhsa_forward_progress 0
		.amdhsa_shared_vgpr_count 0
		.amdhsa_exception_fp_ieee_invalid_op 0
		.amdhsa_exception_fp_denorm_src 0
		.amdhsa_exception_fp_ieee_div_zero 0
		.amdhsa_exception_fp_ieee_overflow 0
		.amdhsa_exception_fp_ieee_underflow 0
		.amdhsa_exception_fp_ieee_inexact 0
		.amdhsa_exception_int_div_zero 0
	.end_amdhsa_kernel
	.section	.text._Z39paged_attention_ll4mi_QKV_mfma16_kernelIDF16_DF16_LN4vllm18Fp8KVCacheDataTypeE0EhLi32ELi64ELi256ELb0ELi7EL8MFMAType0EEvPKT_PKT0_S8_ifPKiSA_SA_iPKfiiiPfSD_PS3_PT2_iSC_SC_,"axG",@progbits,_Z39paged_attention_ll4mi_QKV_mfma16_kernelIDF16_DF16_LN4vllm18Fp8KVCacheDataTypeE0EhLi32ELi64ELi256ELb0ELi7EL8MFMAType0EEvPKT_PKT0_S8_ifPKiSA_SA_iPKfiiiPfSD_PS3_PT2_iSC_SC_,comdat
.Lfunc_end140:
	.size	_Z39paged_attention_ll4mi_QKV_mfma16_kernelIDF16_DF16_LN4vllm18Fp8KVCacheDataTypeE0EhLi32ELi64ELi256ELb0ELi7EL8MFMAType0EEvPKT_PKT0_S8_ifPKiSA_SA_iPKfiiiPfSD_PS3_PT2_iSC_SC_, .Lfunc_end140-_Z39paged_attention_ll4mi_QKV_mfma16_kernelIDF16_DF16_LN4vllm18Fp8KVCacheDataTypeE0EhLi32ELi64ELi256ELb0ELi7EL8MFMAType0EEvPKT_PKT0_S8_ifPKiSA_SA_iPKfiiiPfSD_PS3_PT2_iSC_SC_
                                        ; -- End function
	.section	.AMDGPU.csdata,"",@progbits
; Kernel info:
; codeLenInByte = 7276
; NumSgprs: 41
; NumVgprs: 154
; ScratchSize: 0
; MemoryBound: 0
; FloatMode: 240
; IeeeMode: 1
; LDSByteSize: 17472 bytes/workgroup (compile time only)
; SGPRBlocks: 5
; VGPRBlocks: 19
; NumSGPRsForWavesPerEU: 41
; NumVGPRsForWavesPerEU: 154
; Occupancy: 9
; WaveLimiterHint : 1
; COMPUTE_PGM_RSRC2:SCRATCH_EN: 0
; COMPUTE_PGM_RSRC2:USER_SGPR: 13
; COMPUTE_PGM_RSRC2:TRAP_HANDLER: 0
; COMPUTE_PGM_RSRC2:TGID_X_EN: 1
; COMPUTE_PGM_RSRC2:TGID_Y_EN: 1
; COMPUTE_PGM_RSRC2:TGID_Z_EN: 1
; COMPUTE_PGM_RSRC2:TIDIG_COMP_CNT: 0
	.section	.text._Z39paged_attention_ll4mi_QKV_mfma16_kernelIDF16_DF16_LN4vllm18Fp8KVCacheDataTypeE0EhLi32ELi64ELi256ELb0ELi8EL8MFMAType0EEvPKT_PKT0_S8_ifPKiSA_SA_iPKfiiiPfSD_PS3_PT2_iSC_SC_,"axG",@progbits,_Z39paged_attention_ll4mi_QKV_mfma16_kernelIDF16_DF16_LN4vllm18Fp8KVCacheDataTypeE0EhLi32ELi64ELi256ELb0ELi8EL8MFMAType0EEvPKT_PKT0_S8_ifPKiSA_SA_iPKfiiiPfSD_PS3_PT2_iSC_SC_,comdat
	.protected	_Z39paged_attention_ll4mi_QKV_mfma16_kernelIDF16_DF16_LN4vllm18Fp8KVCacheDataTypeE0EhLi32ELi64ELi256ELb0ELi8EL8MFMAType0EEvPKT_PKT0_S8_ifPKiSA_SA_iPKfiiiPfSD_PS3_PT2_iSC_SC_ ; -- Begin function _Z39paged_attention_ll4mi_QKV_mfma16_kernelIDF16_DF16_LN4vllm18Fp8KVCacheDataTypeE0EhLi32ELi64ELi256ELb0ELi8EL8MFMAType0EEvPKT_PKT0_S8_ifPKiSA_SA_iPKfiiiPfSD_PS3_PT2_iSC_SC_
	.globl	_Z39paged_attention_ll4mi_QKV_mfma16_kernelIDF16_DF16_LN4vllm18Fp8KVCacheDataTypeE0EhLi32ELi64ELi256ELb0ELi8EL8MFMAType0EEvPKT_PKT0_S8_ifPKiSA_SA_iPKfiiiPfSD_PS3_PT2_iSC_SC_
	.p2align	8
	.type	_Z39paged_attention_ll4mi_QKV_mfma16_kernelIDF16_DF16_LN4vllm18Fp8KVCacheDataTypeE0EhLi32ELi64ELi256ELb0ELi8EL8MFMAType0EEvPKT_PKT0_S8_ifPKiSA_SA_iPKfiiiPfSD_PS3_PT2_iSC_SC_,@function
_Z39paged_attention_ll4mi_QKV_mfma16_kernelIDF16_DF16_LN4vllm18Fp8KVCacheDataTypeE0EhLi32ELi64ELi256ELb0ELi8EL8MFMAType0EEvPKT_PKT0_S8_ifPKiSA_SA_iPKfiiiPfSD_PS3_PT2_iSC_SC_: ; @_Z39paged_attention_ll4mi_QKV_mfma16_kernelIDF16_DF16_LN4vllm18Fp8KVCacheDataTypeE0EhLi32ELi64ELi256ELb0ELi8EL8MFMAType0EEvPKT_PKT0_S8_ifPKiSA_SA_iPKfiiiPfSD_PS3_PT2_iSC_SC_
; %bb.0:
	s_load_b64 s[2:3], s[0:1], 0x30
	s_mov_b32 s34, s13
	s_waitcnt lgkmcnt(0)
	s_cmp_lg_u64 s[2:3], 0
	s_cselect_b32 s6, -1, 0
	s_ashr_i32 s35, s13, 31
	s_cmp_eq_u64 s[2:3], 0
	s_cbranch_scc1 .LBB141_3
; %bb.1:
	s_lshl_b64 s[4:5], s[34:35], 2
	s_delay_alu instid0(SALU_CYCLE_1) | instskip(SKIP_4) | instid1(SALU_CYCLE_1)
	s_add_u32 s4, s2, s4
	s_addc_u32 s5, s3, s5
	s_load_b64 s[4:5], s[4:5], 0x0
	s_waitcnt lgkmcnt(0)
	s_sub_i32 s4, s5, s4
	s_cmp_eq_u32 s4, 1
	s_cselect_b32 s4, -1, 0
	s_delay_alu instid0(SALU_CYCLE_1)
	s_and_not1_b32 vcc_lo, exec_lo, s4
	s_cbranch_vccz .LBB141_4
.LBB141_2:
	s_endpgm
.LBB141_3:
.LBB141_4:
	s_load_b64 s[8:9], s[0:1], 0x28
	s_lshl_b64 s[4:5], s[34:35], 2
	s_waitcnt lgkmcnt(0)
	s_add_u32 s8, s8, s4
	s_addc_u32 s9, s9, s5
	s_lshl_b32 s16, s14, 8
	s_load_b32 s18, s[8:9], 0x0
	s_waitcnt lgkmcnt(0)
	s_cmp_ge_i32 s16, s18
	s_cbranch_scc1 .LBB141_2
; %bb.5:
	s_and_not1_b32 vcc_lo, exec_lo, s6
	s_cbranch_vccnz .LBB141_7
; %bb.6:
	s_add_u32 s2, s2, s4
	s_addc_u32 s3, s3, s5
	s_load_b32 s17, s[2:3], 0x0
	s_branch .LBB141_8
.LBB141_7:
	s_mov_b32 s17, s34
.LBB141_8:
	s_clause 0x2
	s_load_b128 s[8:11], s[0:1], 0x8
	s_load_b64 s[12:13], s[0:1], 0x20
	s_load_b128 s[4:7], s[0:1], 0x48
	v_and_b32_e32 v79, 15, v0
	v_cmp_lt_u32_e32 vcc_lo, 0x7f, v0
	s_delay_alu instid0(VALU_DEP_2) | instskip(SKIP_2) | instid1(VALU_DEP_3)
	v_cmp_lt_u32_e64 s3, 7, v79
	v_lshlrev_b32_e32 v1, 3, v79
	v_cmp_gt_u32_e64 s2, 8, v79
	s_or_b32 s3, vcc_lo, s3
	s_waitcnt lgkmcnt(0)
	s_and_saveexec_b32 s7, s3
	s_delay_alu instid0(SALU_CYCLE_1)
	s_xor_b32 s3, exec_lo, s7
; %bb.9:
	v_mov_b32_e32 v2, 0
; %bb.10:
	s_or_saveexec_b32 s3, s3
	v_lshrrev_b32_e32 v78, 5, v0
	v_and_b32_e32 v80, 31, v0
	v_and_b32_e32 v76, 1, v0
	v_bfe_u32 v75, v0, 4, 1
	s_lshl_b32 s31, s15, 3
	s_xor_b32 exec_lo, exec_lo, s3
	s_cbranch_execz .LBB141_12
; %bb.11:
	s_delay_alu instid0(VALU_DEP_1)
	v_lshl_or_b32 v7, v78, 1, v75
	s_load_b64 s[20:21], s[0:1], 0x0
	s_mul_hi_i32 s23, s17, s4
	s_mul_i32 s22, s17, s4
	v_lshlrev_b32_e32 v4, 1, v1
	v_or_b32_e32 v2, s31, v7
	s_lshl_b64 s[22:23], s[22:23], 1
	v_lshlrev_b32_e32 v7, 6, v7
	v_lshlrev_b32_e32 v8, 10, v76
	s_delay_alu instid0(VALU_DEP_3) | instskip(NEXT) | instid1(VALU_DEP_1)
	v_lshlrev_b32_e32 v2, 6, v2
	v_ashrrev_i32_e32 v3, 31, v2
	s_delay_alu instid0(VALU_DEP_1) | instskip(SKIP_3) | instid1(VALU_DEP_1)
	v_lshlrev_b64 v[2:3], 1, v[2:3]
	s_waitcnt lgkmcnt(0)
	s_add_u32 s4, s20, s22
	s_addc_u32 s7, s21, s23
	v_add_co_u32 v2, vcc_lo, s4, v2
	s_delay_alu instid0(VALU_DEP_2) | instskip(NEXT) | instid1(VALU_DEP_2)
	v_add_co_ci_u32_e32 v3, vcc_lo, s7, v3, vcc_lo
	v_add_co_u32 v2, vcc_lo, v2, v4
	s_delay_alu instid0(VALU_DEP_2) | instskip(SKIP_2) | instid1(VALU_DEP_1)
	v_add_co_ci_u32_e32 v3, vcc_lo, 0, v3, vcc_lo
	global_load_b128 v[3:6], v[2:3], off
	v_lshlrev_b32_e32 v2, 10, v79
	v_and_b32_e32 v2, 0x3800, v2
	s_delay_alu instid0(VALU_DEP_1)
	v_or3_b32 v7, v2, v8, v7
	v_mov_b32_e32 v2, 0
	s_waitcnt vmcnt(0)
	ds_store_b128 v7, v[3:6]
.LBB141_12:
	s_or_b32 exec_lo, exec_lo, s3
	v_and_b32_e32 v3, 0xef, v0
	s_add_i32 s3, s18, 31
	s_clause 0x1
	s_load_b32 s4, s[0:1], 0x38
	s_load_b32 s33, s[0:1], 0x98
	s_ashr_i32 s7, s3, 31
	v_add_nc_u32_e32 v3, s16, v3
	s_lshr_b32 s7, s7, 27
	s_load_b32 s19, s[0:1], 0x1c
	s_add_i32 s3, s3, s7
	s_waitcnt lgkmcnt(0)
	v_ashrrev_i32_e32 v4, 31, v3
	v_cmp_gt_i32_e32 vcc_lo, s18, v3
	s_ashr_i32 s3, s3, 5
	s_barrier
	s_add_i32 s3, s3, -1
	v_lshrrev_b32_e32 v5, 27, v4
	v_or_b32_e32 v4, 16, v3
	buffer_gl0_inv
	s_mul_i32 s6, s15, s6
	v_lshlrev_b64 v[73:74], 1, v[1:2]
	v_add_nc_u32_e32 v6, v3, v5
	v_add_nc_u32_e32 v5, v4, v5
	s_mul_i32 s20, s34, s4
	v_lshlrev_b32_e32 v77, 6, v79
	s_ashr_i32 s21, s20, 31
	v_ashrrev_i32_e32 v6, 5, v6
	v_ashrrev_i32_e32 v5, 5, v5
	s_lshl_b64 s[20:21], s[20:21], 2
	v_lshl_or_b32 v33, v78, 10, v77
	s_add_u32 s4, s12, s20
	v_cndmask_b32_e32 v3, s3, v6, vcc_lo
	v_cmp_gt_i32_e32 vcc_lo, s18, v4
	s_addc_u32 s17, s13, s21
	s_ashr_i32 s7, s6, 31
	s_delay_alu instid0(SALU_CYCLE_1)
	s_lshl_b64 s[6:7], s[6:7], 1
	v_cndmask_b32_e32 v5, s3, v5, vcc_lo
	v_ashrrev_i32_e32 v4, 31, v3
	s_add_u32 s15, s8, s6
	s_addc_u32 s28, s9, s7
	s_lshl_b32 s8, s14, 3
	v_ashrrev_i32_e32 v6, 31, v5
	v_lshlrev_b64 v[3:4], 2, v[3:4]
	s_ashr_i32 s9, s8, 31
	s_delay_alu instid0(SALU_CYCLE_1) | instskip(NEXT) | instid1(VALU_DEP_2)
	s_lshl_b64 s[8:9], s[8:9], 2
	v_lshlrev_b64 v[5:6], 2, v[5:6]
	s_add_u32 s8, s4, s8
	s_delay_alu instid0(VALU_DEP_2) | instskip(SKIP_1) | instid1(VALU_DEP_3)
	v_add_co_u32 v3, vcc_lo, s4, v3
	v_add_co_ci_u32_e32 v4, vcc_lo, s17, v4, vcc_lo
	v_add_co_u32 v5, vcc_lo, s4, v5
	s_delay_alu instid0(VALU_DEP_4)
	v_add_co_ci_u32_e32 v6, vcc_lo, s17, v6, vcc_lo
	s_addc_u32 s9, s17, s9
	s_clause 0x1
	global_load_b32 v7, v[3:4], off
	global_load_b32 v8, v[5:6], off
	s_or_b32 s12, s16, 32
	s_delay_alu instid0(SALU_CYCLE_1) | instskip(SKIP_2) | instid1(SALU_CYCLE_1)
	s_ashr_i32 s13, s12, 5
	s_cmp_lt_i32 s12, s18
	s_cselect_b32 s12, s13, s3
	s_ashr_i32 s13, s12, 31
	s_delay_alu instid0(SALU_CYCLE_1) | instskip(NEXT) | instid1(SALU_CYCLE_1)
	s_lshl_b64 s[12:13], s[12:13], 2
	s_add_u32 s12, s4, s12
	s_addc_u32 s13, s17, s13
	s_or_b32 s20, s16, 64
	s_delay_alu instid0(SALU_CYCLE_1) | instskip(SKIP_2) | instid1(SALU_CYCLE_1)
	s_ashr_i32 s21, s20, 5
	s_cmp_lt_i32 s20, s18
	s_cselect_b32 s20, s21, s3
	s_ashr_i32 s21, s20, 31
	s_delay_alu instid0(SALU_CYCLE_1) | instskip(NEXT) | instid1(SALU_CYCLE_1)
	s_lshl_b64 s[20:21], s[20:21], 2
	s_add_u32 s20, s4, s20
	s_addc_u32 s21, s17, s21
	;; [unrolled: 10-line block ×5, first 2 shown]
	s_clause 0x5
	s_load_b32 s29, s[8:9], 0x0
	s_load_b32 s30, s[12:13], 0x0
	;; [unrolled: 1-line block ×6, first 2 shown]
	s_or_b32 s8, s16, 0xc0
	s_mov_b32 s20, 0
	s_ashr_i32 s9, s8, 5
	s_cmp_lt_i32 s8, s18
	s_mov_b32 s27, s20
	s_cselect_b32 s8, s9, s3
	s_mov_b32 s21, s20
	s_ashr_i32 s9, s8, 31
	s_mov_b32 s22, s20
	s_lshl_b64 s[8:9], s[8:9], 2
	s_mov_b32 s23, s20
	s_add_u32 s8, s4, s8
	s_mov_b32 s24, s20
	s_mov_b32 s25, s20
	;; [unrolled: 1-line block ×3, first 2 shown]
	s_addc_u32 s9, s17, s9
	v_dual_mov_b32 v128, s27 :: v_dual_mov_b32 v127, s26
	v_dual_mov_b32 v126, s25 :: v_dual_mov_b32 v125, s24
	;; [unrolled: 1-line block ×3, first 2 shown]
	v_mov_b32_e32 v121, s20
	s_waitcnt lgkmcnt(0)
	s_mul_hi_i32 s13, s29, s5
	s_mul_i32 s12, s29, s5
	v_mov_b32_e32 v122, s21
	s_mul_hi_i32 s21, s30, s5
	s_mul_i32 s20, s30, s5
	s_mul_hi_i32 s25, s35, s5
	s_mul_i32 s24, s35, s5
	;; [unrolled: 2-line block ×3, first 2 shown]
	s_mul_i32 s36, s38, s5
	s_waitcnt vmcnt(1)
	v_mad_i64_i32 v[3:4], null, v7, s5, 0
	s_waitcnt vmcnt(0)
	v_mad_i64_i32 v[5:6], null, v8, s5, 0
	s_delay_alu instid0(VALU_DEP_2) | instskip(NEXT) | instid1(VALU_DEP_2)
	v_lshlrev_b64 v[3:4], 1, v[3:4]
	v_lshlrev_b64 v[1:2], 1, v[5:6]
	s_delay_alu instid0(VALU_DEP_2) | instskip(NEXT) | instid1(VALU_DEP_3)
	v_add_co_u32 v3, vcc_lo, s15, v3
	v_add_co_ci_u32_e32 v4, vcc_lo, s28, v4, vcc_lo
	s_delay_alu instid0(VALU_DEP_3) | instskip(NEXT) | instid1(VALU_DEP_4)
	v_add_co_u32 v1, vcc_lo, s15, v1
	v_add_co_ci_u32_e32 v2, vcc_lo, s28, v2, vcc_lo
	s_delay_alu instid0(VALU_DEP_4) | instskip(NEXT) | instid1(VALU_DEP_4)
	v_add_co_u32 v25, vcc_lo, v3, v73
	v_add_co_ci_u32_e32 v26, vcc_lo, v4, v74, vcc_lo
	s_delay_alu instid0(VALU_DEP_4) | instskip(NEXT) | instid1(VALU_DEP_4)
	v_add_co_u32 v27, vcc_lo, v1, v73
	v_add_co_ci_u32_e32 v28, vcc_lo, v2, v74, vcc_lo
	s_clause 0xf
	global_load_b128 v[1:4], v[25:26], off
	global_load_b128 v[5:8], v[25:26], off offset:512
	global_load_b128 v[9:12], v[27:28], off offset:256
	;; [unrolled: 1-line block ×15, first 2 shown]
	s_or_b32 s15, s16, 0xe0
	v_and_b32_e32 v25, 7, v0
	s_ashr_i32 s22, s15, 5
	s_cmp_lt_i32 s15, s18
	s_cselect_b32 s22, s22, s3
	s_delay_alu instid0(VALU_DEP_1)
	v_lshlrev_b32_e32 v151, 6, v25
	s_ashr_i32 s23, s22, 31
	ds_load_b128 v[25:28], v151
	ds_load_b128 v[29:32], v151 offset:1024
	s_lshl_b64 s[22:23], s[22:23], 2
	ds_load_b128 v[129:132], v151 offset:2048
	ds_load_b128 v[133:136], v151 offset:3072
	s_add_u32 s22, s4, s22
	s_addc_u32 s23, s17, s23
	s_add_i32 s15, s16, 0x100
	s_delay_alu instid0(SALU_CYCLE_1)
	s_ashr_i32 s28, s15, 5
	s_cmp_lt_i32 s15, s18
	s_load_b32 s15, s[8:9], 0x0
	s_cselect_b32 s28, s28, s3
	s_mul_hi_i32 s9, s37, s5
	s_ashr_i32 s29, s28, 31
	s_mul_i32 s8, s37, s5
	s_lshl_b64 s[28:29], s[28:29], 2
	s_mul_hi_i32 s37, s38, s5
	s_add_u32 s28, s4, s28
	s_addc_u32 s29, s17, s29
	s_add_u32 s3, s10, s6
	s_clause 0x1
	s_load_b32 s4, s[22:23], 0x0
	s_load_b32 s17, s[28:29], 0x0
	s_addc_u32 s28, s11, s7
	v_add_co_u32 v152, s3, s3, v33
	s_delay_alu instid0(VALU_DEP_1) | instskip(SKIP_2) | instid1(VALU_DEP_2)
	v_add_co_ci_u32_e64 v153, null, s28, 0, s3
	s_lshl_b64 s[6:7], s[12:13], 1
	s_lshl_b64 s[10:11], s[20:21], 1
	v_add_co_u32 v33, vcc_lo, v152, s6
	s_delay_alu instid0(VALU_DEP_2)
	v_add_co_ci_u32_e32 v34, vcc_lo, s7, v153, vcc_lo
	v_add_co_u32 v35, vcc_lo, v152, s10
	s_lshl_b64 s[12:13], s[24:25], 1
	v_add_co_ci_u32_e32 v36, vcc_lo, s11, v153, vcc_lo
	v_add_co_u32 v37, vcc_lo, v152, s12
	s_lshl_b64 s[20:21], s[26:27], 1
	;; [unrolled: 3-line block ×4, first 2 shown]
	s_waitcnt lgkmcnt(0)
	s_mul_hi_i32 s25, s15, s5
	s_mul_i32 s24, s15, s5
	v_add_co_ci_u32_e32 v146, vcc_lo, s9, v153, vcc_lo
	v_add_co_u32 v147, vcc_lo, v152, s22
	s_lshl_b64 s[24:25], s[24:25], 1
	v_add_co_ci_u32_e32 v148, vcc_lo, s23, v153, vcc_lo
	s_mul_hi_i32 s7, s4, s5
	s_mul_i32 s6, s4, s5
	v_add_co_u32 v149, vcc_lo, v152, s24
	s_lshl_b64 s[6:7], s[6:7], 1
	v_add_co_ci_u32_e32 v150, vcc_lo, s25, v153, vcc_lo
	s_clause 0x7
	global_load_b128 v[65:68], v[33:34], off
	global_load_b128 v[69:72], v[33:34], off offset:16
	global_load_b128 v[57:60], v[35:36], off
	global_load_b128 v[61:64], v[35:36], off offset:16
	;; [unrolled: 2-line block ×4, first 2 shown]
	s_waitcnt vmcnt(22)
	v_wmma_f32_16x16x16_f16 v[137:144], v[1:8], v[25:32], v[121:128]
	s_waitcnt vmcnt(20)
	v_wmma_f32_16x16x16_f16 v[121:128], v[9:16], v[25:32], v[121:128]
	v_add_co_u32 v29, vcc_lo, v152, s6
	v_add_co_ci_u32_e32 v30, vcc_lo, s7, v153, vcc_lo
	s_mul_hi_i32 s7, s17, s5
	s_mul_i32 s6, s17, s5
	s_waitcnt vmcnt(18)
	v_wmma_f32_16x16x16_f16 v[137:144], v[17:24], v[129:136], v[137:144]
	s_lshl_b64 s[4:5], s[6:7], 1
	s_clause 0x1
	global_load_b128 v[9:12], v[145:146], off
	global_load_b128 v[13:16], v[145:146], off offset:16
	v_add_co_u32 v21, vcc_lo, v152, s4
	v_add_co_ci_u32_e32 v22, vcc_lo, s5, v153, vcc_lo
	s_clause 0x7
	global_load_b128 v[1:4], v[147:148], off
	global_load_b128 v[5:8], v[147:148], off offset:16
	global_load_b128 v[33:36], v[149:150], off
	global_load_b128 v[37:40], v[149:150], off offset:16
	;; [unrolled: 2-line block ×4, first 2 shown]
	s_waitcnt vmcnt(26)
	v_wmma_f32_16x16x16_f16 v[121:128], v[81:88], v[129:136], v[121:128]
	ds_load_b128 v[81:84], v151 offset:4096
	ds_load_b128 v[85:88], v151 offset:5120
	v_mbcnt_lo_u32_b32 v130, -1, 0
	s_delay_alu instid0(VALU_DEP_1) | instskip(NEXT) | instid1(VALU_DEP_1)
	v_xor_b32_e32 v131, 16, v130
	v_cmp_gt_i32_e32 vcc_lo, 32, v131
	v_cndmask_b32_e32 v130, v130, v131, vcc_lo
	s_waitcnt vmcnt(24) lgkmcnt(0)
	v_wmma_f32_16x16x16_f16 v[137:144], v[89:96], v[81:88], v[137:144]
	ds_load_b128 v[89:92], v151 offset:6144
	ds_load_b128 v[93:96], v151 offset:7168
	s_waitcnt vmcnt(22)
	v_wmma_f32_16x16x16_f16 v[121:128], v[97:104], v[81:88], v[121:128]
	s_waitcnt vmcnt(0) lgkmcnt(0)
	s_barrier
	buffer_gl0_inv
	v_wmma_f32_16x16x16_f16 v[137:144], v[105:112], v[89:96], v[137:144]
	v_and_b32_e32 v129, 0xe0, v0
	v_wmma_f32_16x16x16_f16 v[121:128], v[113:120], v[89:96], v[121:128]
	s_delay_alu instid0(VALU_DEP_3) | instskip(NEXT) | instid1(VALU_DEP_2)
	v_mul_f32_e32 v96, s19, v137
	v_dual_mul_f32 v104, s19, v126 :: v_dual_add_nc_u32 v129, s16, v129
	v_mul_f32_e32 v95, s19, v138
	v_dual_mul_f32 v93, s19, v140 :: v_dual_mul_f32 v94, s19, v139
	s_delay_alu instid0(VALU_DEP_3) | instskip(SKIP_3) | instid1(VALU_DEP_4)
	v_or_b32_e32 v129, v129, v75
	v_dual_mul_f32 v91, s19, v142 :: v_dual_mul_f32 v106, s19, v124
	v_dual_mul_f32 v92, s19, v141 :: v_dual_mul_f32 v89, s19, v144
	v_mul_f32_e32 v108, s19, v122
	v_or_b32_e32 v131, 2, v129
	v_or_b32_e32 v132, 4, v129
	v_or_b32_e32 v81, 6, v129
	v_cmp_gt_i32_e32 vcc_lo, s18, v129
	v_or_b32_e32 v82, 8, v129
	v_cmp_gt_i32_e64 s3, s18, v131
	v_or_b32_e32 v83, 10, v129
	v_cmp_gt_i32_e64 s4, s18, v132
	v_cndmask_b32_e32 v96, 0xff7fffff, v96, vcc_lo
	v_cmp_gt_i32_e64 s5, s18, v81
	v_cndmask_b32_e64 v95, 0xff7fffff, v95, s3
	v_or_b32_e32 v84, 12, v129
	v_or_b32_e32 v85, 14, v129
	v_cndmask_b32_e64 v94, 0xff7fffff, v94, s4
	v_cndmask_b32_e64 v81, 0xff7fffff, v93, s5
	v_max3_f32 v93, v96, 0xff7fffff, v95
	v_cmp_gt_i32_e64 s6, s18, v82
	v_cmp_gt_i32_e64 s7, s18, v83
	v_or_b32_e32 v86, 16, v129
	v_or_b32_e32 v87, 18, v129
	v_mul_f32_e32 v90, s19, v143
	v_cndmask_b32_e64 v82, 0xff7fffff, v92, s6
	v_cndmask_b32_e64 v83, 0xff7fffff, v91, s7
	v_max3_f32 v81, v93, v94, v81
	v_cmp_gt_i32_e64 s8, s18, v84
	v_cmp_gt_i32_e64 s9, s18, v85
	v_or_b32_e32 v88, 20, v129
	v_or_b32_e32 v97, 22, v129
	v_mul_f32_e32 v109, s19, v121
	v_cndmask_b32_e64 v84, 0xff7fffff, v90, s8
	v_cndmask_b32_e64 v85, 0xff7fffff, v89, s9
	v_max3_f32 v81, v81, v82, v83
	v_cmp_gt_i32_e64 s10, s18, v86
	v_cmp_gt_i32_e64 s11, s18, v87
	v_or_b32_e32 v98, 24, v129
	v_or_b32_e32 v99, 26, v129
	v_mul_f32_e32 v107, s19, v123
	v_cndmask_b32_e64 v82, 0xff7fffff, v109, s10
	v_cndmask_b32_e64 v83, 0xff7fffff, v108, s11
	v_max3_f32 v81, v81, v84, v85
	v_cmp_gt_i32_e64 s12, s18, v88
	v_cmp_gt_i32_e64 s13, s18, v97
	v_or_b32_e32 v100, 28, v129
	v_or_b32_e32 v101, 30, v129
	v_mul_f32_e32 v105, s19, v125
	v_cndmask_b32_e64 v84, 0xff7fffff, v107, s12
	v_cndmask_b32_e64 v85, 0xff7fffff, v106, s13
	v_max3_f32 v81, v81, v82, v83
	v_cmp_gt_i32_e64 s15, s18, v98
	v_cmp_gt_i32_e64 s16, s18, v99
	v_dual_mul_f32 v102, s19, v128 :: v_dual_mul_f32 v103, s19, v127
	s_delay_alu instid0(VALU_DEP_4) | instskip(NEXT) | instid1(VALU_DEP_4)
	v_max3_f32 v81, v81, v84, v85
	v_cndmask_b32_e64 v82, 0xff7fffff, v105, s15
	s_delay_alu instid0(VALU_DEP_4) | instskip(SKIP_2) | instid1(VALU_DEP_3)
	v_cndmask_b32_e64 v83, 0xff7fffff, v104, s16
	v_cmp_gt_i32_e64 s17, s18, v100
	v_cmp_gt_i32_e64 s18, s18, v101
	v_max3_f32 v81, v81, v82, v83
	s_delay_alu instid0(VALU_DEP_3) | instskip(NEXT) | instid1(VALU_DEP_3)
	v_cndmask_b32_e64 v84, 0xff7fffff, v103, s17
	v_cndmask_b32_e64 v85, 0xff7fffff, v102, s18
	v_lshlrev_b32_e32 v83, 2, v130
	s_delay_alu instid0(VALU_DEP_2) | instskip(SKIP_3) | instid1(VALU_DEP_1)
	v_max3_f32 v81, v81, v84, v85
	ds_bpermute_b32 v82, v83, v81
	s_waitcnt lgkmcnt(0)
	v_max_f32_e32 v82, v82, v82
	v_max_f32_e32 v81, v81, v82
	s_delay_alu instid0(VALU_DEP_1) | instskip(SKIP_3) | instid1(VALU_DEP_4)
	v_fma_f32 v82, s19, v137, -v81
	v_fma_f32 v84, s19, v138, -v81
	;; [unrolled: 1-line block ×4, first 2 shown]
	v_mul_f32_e32 v82, 0x3fb8aa3b, v82
	s_delay_alu instid0(VALU_DEP_3) | instskip(NEXT) | instid1(VALU_DEP_3)
	v_dual_mul_f32 v84, 0x3fb8aa3b, v84 :: v_dual_mul_f32 v85, 0x3fb8aa3b, v85
	v_mul_f32_e32 v86, 0x3fb8aa3b, v86
	s_delay_alu instid0(VALU_DEP_3) | instskip(NEXT) | instid1(VALU_DEP_2)
	v_exp_f32_e32 v82, v82
	v_exp_f32_e32 v84, v84
	s_delay_alu instid0(VALU_DEP_2) | instskip(NEXT) | instid1(VALU_DEP_1)
	v_exp_f32_e32 v85, v85
	v_exp_f32_e32 v90, v86
	v_cndmask_b32_e32 v87, 0, v82, vcc_lo
	s_delay_alu instid0(TRANS32_DEP_3) | instskip(SKIP_4) | instid1(VALU_DEP_1)
	v_cndmask_b32_e64 v86, 0, v84, s3
	s_waitcnt_depctr 0xfff
	v_cndmask_b32_e64 v89, 0, v85, s4
	s_mov_b32 s3, exec_lo
	v_add_f32_e32 v84, 0, v87
	v_add_f32_e32 v84, v84, v86
	s_delay_alu instid0(VALU_DEP_1)
	v_add_f32_e32 v84, v84, v89
	v_fma_f32 v88, s19, v141, -v81
	v_fma_f32 v91, s19, v143, -v81
	;; [unrolled: 1-line block ×5, first 2 shown]
	v_mul_f32_e32 v88, 0x3fb8aa3b, v88
	v_fma_f32 v100, s19, v128, -v81
	v_mul_f32_e32 v82, 0x3fb8aa3b, v82
	v_fma_f32 v98, s19, v126, -v81
	v_mul_f32_e32 v97, 0x3fb8aa3b, v95
	v_exp_f32_e32 v92, v88
	v_cndmask_b32_e64 v88, 0, v90, s5
	v_fma_f32 v90, s19, v121, -v81
	v_mul_f32_e32 v91, 0x3fb8aa3b, v91
	v_exp_f32_e32 v82, v82
	v_exp_f32_e32 v99, v97
	v_add_f32_e32 v84, v84, v88
	v_mul_f32_e32 v94, 0x3fb8aa3b, v90
	v_exp_f32_e32 v93, v91
	v_mul_f32_e32 v98, 0x3fb8aa3b, v98
	v_cndmask_b32_e64 v91, 0, v92, s6
	v_fma_f32 v92, s19, v122, -v81
	v_mul_f32_e32 v85, 0x3fb8aa3b, v85
	v_exp_f32_e32 v94, v94
	v_cndmask_b32_e64 v90, 0, v82, s7
	v_add_f32_e32 v82, v84, v91
	v_mul_f32_e32 v92, 0x3fb8aa3b, v92
	v_exp_f32_e32 v85, v85
	v_fma_f32 v84, s19, v123, -v81
	v_cndmask_b32_e64 v93, 0, v93, s8
	v_add_f32_e32 v82, v82, v90
	v_exp_f32_e32 v96, v92
	v_exp_f32_e32 v98, v98
	v_cndmask_b32_e64 v95, 0, v94, s10
	s_delay_alu instid0(VALU_DEP_2) | instskip(NEXT) | instid1(TRANS32_DEP_3)
	v_add_f32_e32 v82, v82, v93
	v_cndmask_b32_e64 v92, 0, v85, s9
	v_fma_f32 v85, s19, v125, -v81
	v_mul_f32_e32 v84, 0x3fb8aa3b, v84
	s_delay_alu instid0(TRANS32_DEP_2) | instskip(SKIP_1) | instid1(VALU_DEP_4)
	v_cndmask_b32_e64 v94, 0, v96, s11
	v_fma_f32 v96, s19, v127, -v81
	v_mul_f32_e32 v85, 0x3fb8aa3b, v85
	s_delay_alu instid0(VALU_DEP_4) | instskip(SKIP_1) | instid1(VALU_DEP_2)
	v_exp_f32_e32 v84, v84
	v_cndmask_b32_e64 v98, 0, v98, s16
	v_exp_f32_e32 v85, v85
	s_waitcnt_depctr 0xfff
	v_cndmask_b32_e64 v97, 0, v84, s12
	v_mul_f32_e32 v84, 0x3fb8aa3b, v96
	v_cndmask_b32_e64 v96, 0, v99, s13
	v_cndmask_b32_e64 v99, 0, v85, s15
	v_mul_f32_e32 v85, 0x3fb8aa3b, v100
	v_add_f32_e32 v82, v82, v92
	v_exp_f32_e32 v84, v84
	s_delay_alu instid0(VALU_DEP_2) | instskip(NEXT) | instid1(VALU_DEP_1)
	v_exp_f32_e32 v85, v85
	v_add_f32_e32 v82, v82, v95
	s_delay_alu instid0(VALU_DEP_1) | instskip(SKIP_4) | instid1(VALU_DEP_1)
	v_add_f32_e32 v82, v82, v94
	s_waitcnt_depctr 0xfff
	v_cndmask_b32_e64 v101, 0, v84, s17
	v_cndmask_b32_e64 v100, 0, v85, s18
	v_add_f32_e32 v82, v82, v97
	v_add_f32_e32 v82, v82, v96
	s_delay_alu instid0(VALU_DEP_1) | instskip(NEXT) | instid1(VALU_DEP_1)
	v_add_f32_e32 v82, v82, v99
	v_add_f32_e32 v82, v82, v98
	s_delay_alu instid0(VALU_DEP_1) | instskip(NEXT) | instid1(VALU_DEP_1)
	v_add_f32_e32 v82, v82, v101
	v_add_f32_e32 v82, v82, v100
	ds_bpermute_b32 v83, v83, v82
	v_cmpx_gt_u32_e32 16, v80
	s_cbranch_execz .LBB141_14
; %bb.13:
	v_mul_u32_u24_e32 v80, 0x44, v78
	s_waitcnt lgkmcnt(0)
	v_add_f32_e32 v82, v82, v83
	s_delay_alu instid0(VALU_DEP_2) | instskip(NEXT) | instid1(VALU_DEP_1)
	v_lshl_add_u32 v80, v79, 2, v80
	v_add_nc_u32_e32 v80, 0x4000, v80
	ds_store_2addr_b32 v80, v81, v82 offset1:136
.LBB141_14:
	s_or_b32 exec_lo, exec_lo, s3
	v_lshlrev_b32_e32 v79, 2, v79
	s_load_b32 s35, s[0:1], 0x94
	s_waitcnt lgkmcnt(0)
	s_barrier
	buffer_gl0_inv
	v_add_nc_u32_e32 v83, 0x4000, v79
	v_cmp_eq_u32_e32 vcc_lo, 1, v78
	v_cmp_eq_u32_e64 s3, 2, v78
	v_cmp_eq_u32_e64 s4, 3, v78
	;; [unrolled: 1-line block ×3, first 2 shown]
	ds_load_2addr_b32 v[79:80], v83 offset1:17
	ds_load_2addr_b32 v[81:82], v83 offset0:34 offset1:51
	ds_load_2addr_b32 v[102:103], v83 offset0:68 offset1:85
	;; [unrolled: 1-line block ×3, first 2 shown]
	v_cmp_eq_u32_e64 s6, 7, v78
	s_waitcnt lgkmcnt(3)
	v_max3_f32 v84, v79, 0xff7fffff, v80
	s_waitcnt lgkmcnt(2)
	s_delay_alu instid0(VALU_DEP_1) | instskip(SKIP_1) | instid1(VALU_DEP_1)
	v_max3_f32 v84, v84, v81, v82
	s_waitcnt lgkmcnt(1)
	v_max3_f32 v84, v84, v102, v103
	s_waitcnt lgkmcnt(0)
	s_delay_alu instid0(VALU_DEP_1) | instskip(NEXT) | instid1(VALU_DEP_1)
	v_max3_f32 v84, v84, v104, v105
	v_sub_f32_e32 v102, v102, v84
	ds_load_2addr_b32 v[106:107], v83 offset0:136 offset1:153
	v_sub_f32_e32 v79, v79, v84
	v_dual_sub_f32 v109, v82, v84 :: v_dual_mul_f32 v112, 0x3fb8aa3b, v102
	s_delay_alu instid0(VALU_DEP_2) | instskip(SKIP_3) | instid1(VALU_DEP_1)
	v_dual_sub_f32 v85, v80, v84 :: v_dual_mul_f32 v108, 0x3fb8aa3b, v79
	ds_load_2addr_b32 v[79:80], v83 offset0:170 offset1:187
	v_mul_f32_e32 v85, 0x3fb8aa3b, v85
	v_exp_f32_e32 v108, v108
	v_exp_f32_e32 v111, v85
	v_mul_f32_e32 v109, 0x3fb8aa3b, v109
	s_waitcnt lgkmcnt(1)
	s_waitcnt_depctr 0xfff
	v_fma_f32 v85, v108, v106, 0
	v_sub_f32_e32 v106, v103, v84
	v_sub_f32_e32 v81, v81, v84
	v_exp_f32_e32 v109, v109
	ds_load_2addr_b32 v[102:103], v83 offset0:238 offset1:255
	v_dual_fmac_f32 v85, v111, v107 :: v_dual_mul_f32 v110, 0x3fb8aa3b, v81
	ds_load_2addr_b32 v[81:82], v83 offset0:204 offset1:221
	v_dual_sub_f32 v83, v104, v84 :: v_dual_mul_f32 v104, 0x3fb8aa3b, v106
	v_exp_f32_e32 v106, v112
	v_exp_f32_e32 v110, v110
	s_waitcnt lgkmcnt(0)
	s_delay_alu instid0(VALU_DEP_1)
	v_mul_f32_e32 v83, 0x3fb8aa3b, v83
	v_exp_f32_e32 v104, v104
	s_barrier
	buffer_gl0_inv
	v_fmac_f32_e32 v85, v110, v79
	v_sub_f32_e32 v79, v105, v84
	v_exp_f32_e32 v105, v83
	s_delay_alu instid0(VALU_DEP_2) | instskip(NEXT) | instid1(VALU_DEP_2)
	v_fmac_f32_e32 v85, v109, v80
	v_mul_f32_e32 v79, 0x3fb8aa3b, v79
	s_delay_alu instid0(VALU_DEP_2) | instskip(NEXT) | instid1(VALU_DEP_2)
	v_dual_cndmask_b32 v80, v108, v111 :: v_dual_fmac_f32 v85, v106, v81
	v_exp_f32_e32 v107, v79
	s_delay_alu instid0(VALU_DEP_1) | instskip(SKIP_2) | instid1(VALU_DEP_1)
	v_fmac_f32_e32 v85, v104, v82
	s_waitcnt_depctr 0xfff
	v_fmac_f32_e32 v85, v105, v102
	v_fmac_f32_e32 v85, v107, v103
	s_delay_alu instid0(VALU_DEP_1) | instskip(NEXT) | instid1(VALU_DEP_1)
	v_add_f32_e32 v102, 0x358637bd, v85
	v_div_scale_f32 v103, null, v102, v102, 1.0
	v_div_scale_f32 v108, vcc_lo, 1.0, v102, 1.0
	s_delay_alu instid0(VALU_DEP_2) | instskip(SKIP_2) | instid1(VALU_DEP_1)
	v_rcp_f32_e32 v112, v103
	s_waitcnt_depctr 0xfff
	v_fma_f32 v79, -v103, v112, 1.0
	v_fmac_f32_e32 v112, v79, v112
	v_cndmask_b32_e64 v79, v80, v110, s3
	v_cmp_eq_u32_e64 s3, 4, v78
	v_lshl_or_b32 v80, v78, 11, v77
	s_delay_alu instid0(VALU_DEP_4) | instskip(NEXT) | instid1(VALU_DEP_4)
	v_mul_f32_e32 v110, v108, v112
	v_cndmask_b32_e64 v81, v79, v109, s4
	v_cmp_eq_u32_e64 s4, 6, v78
	s_delay_alu instid0(VALU_DEP_4) | instskip(SKIP_3) | instid1(VALU_DEP_3)
	v_lshl_or_b32 v78, v75, 4, v80
	v_lshlrev_b32_e32 v79, 2, v75
	v_fma_f32 v82, -v103, v110, v108
	v_cndmask_b32_e64 v83, v81, v106, s3
	v_or_b32_e32 v81, 1, v79
	s_delay_alu instid0(VALU_DEP_3) | instskip(NEXT) | instid1(VALU_DEP_3)
	v_fmac_f32_e32 v110, v82, v112
	v_cndmask_b32_e64 v104, v83, v104, s5
	v_or_b32_e32 v83, 2, v79
	v_or_b32_e32 v82, 3, v79
	v_cmp_eq_u32_e64 s3, 1, v79
	v_fma_f32 v103, -v103, v110, v108
	v_cndmask_b32_e64 v104, v104, v105, s4
	v_cmp_eq_u32_e64 s9, 1, v81
	v_cmp_eq_u32_e64 s10, 1, v83
	;; [unrolled: 1-line block ×3, first 2 shown]
	v_div_fmas_f32 v103, v103, v112, v110
	v_cndmask_b32_e64 v104, v104, v107, s6
	v_cmp_eq_u32_e32 vcc_lo, 2, v79
	v_cmp_eq_u32_e64 s12, 2, v81
	v_cmp_eq_u32_e64 s15, 2, v83
	v_div_fixup_f32 v102, v103, v102, 1.0
	v_cmp_eq_u32_e64 s16, 2, v82
	v_cmp_eq_u32_e64 s18, 3, v82
	;; [unrolled: 1-line block ×4, first 2 shown]
	v_mul_f32_e32 v110, v104, v102
	v_cmp_eq_u32_e64 s17, 3, v83
	v_cmp_eq_u32_e64 s22, 4, v82
	;; [unrolled: 1-line block ×4, first 2 shown]
	v_fma_mixlo_f16 v102, v110, v87, 0
	v_fma_mixlo_f16 v103, v110, v89, 0
	;; [unrolled: 1-line block ×8, first 2 shown]
	v_fma_mixhi_f16 v102, v110, v86, 0
	v_fma_mixhi_f16 v103, v110, v88, 0
	;; [unrolled: 1-line block ×8, first 2 shown]
	ds_store_b128 v78, v[102:105]
	ds_store_b128 v78, v[106:109] offset:1024
	s_waitcnt lgkmcnt(0)
	s_barrier
	buffer_gl0_inv
	ds_load_b128 v[86:89], v80
	ds_load_b128 v[90:93], v80 offset:16
	ds_load_b128 v[94:97], v80 offset:1024
	ds_load_b128 v[98:101], v80 offset:1040
	v_cmp_eq_u32_e64 s21, 4, v83
	v_cmp_eq_u32_e64 s24, 5, v82
	;; [unrolled: 1-line block ×13, first 2 shown]
	s_waitcnt lgkmcnt(3)
	v_lshrrev_b32_e32 v102, 16, v86
	s_waitcnt lgkmcnt(2)
	v_lshrrev_b32_e32 v106, 16, v90
	;; [unrolled: 2-line block ×4, first 2 shown]
	v_lshrrev_b32_e32 v103, 16, v87
	v_cndmask_b32_e64 v118, v86, v102, s3
	v_cndmask_b32_e64 v119, v90, v106, s3
	;; [unrolled: 1-line block ×8, first 2 shown]
	v_lshrrev_b32_e32 v107, 16, v91
	v_cndmask_b32_e64 v102, v94, v110, s3
	v_cndmask_b32_e64 v106, v98, v114, s3
	;; [unrolled: 1-line block ×5, first 2 shown]
	v_cndmask_b32_e32 v110, v118, v87, vcc_lo
	v_cndmask_b32_e64 v118, v120, v87, s12
	v_cndmask_b32_e64 v120, v122, v87, s15
	;; [unrolled: 1-line block ×4, first 2 shown]
	v_lshrrev_b32_e32 v111, 16, v95
	v_lshrrev_b32_e32 v115, 16, v99
	v_cndmask_b32_e64 v125, v98, v114, s9
	v_cndmask_b32_e64 v127, v98, v114, s10
	v_cndmask_b32_e64 v98, v98, v114, s11
	v_cndmask_b32_e32 v114, v119, v91, vcc_lo
	v_cndmask_b32_e64 v119, v121, v91, s12
	v_cndmask_b32_e64 v121, v123, v91, s15
	v_cndmask_b32_e32 v90, v102, v95, vcc_lo
	v_cndmask_b32_e32 v91, v106, v99, vcc_lo
	v_cndmask_b32_e64 v102, v124, v95, s12
	v_cndmask_b32_e64 v86, v86, v103, s18
	;; [unrolled: 1-line block ×3, first 2 shown]
	v_lshrrev_b32_e32 v104, 16, v88
	v_lshrrev_b32_e32 v108, 16, v92
	v_cndmask_b32_e64 v106, v126, v95, s15
	v_cndmask_b32_e64 v94, v94, v95, s16
	;; [unrolled: 1-line block ×14, first 2 shown]
	v_lshrrev_b32_e32 v112, 16, v96
	v_cndmask_b32_e64 v98, v98, v88, s5
	v_cndmask_b32_e64 v103, v110, v92, s5
	;; [unrolled: 1-line block ×11, first 2 shown]
	v_lshrrev_b32_e32 v105, 16, v89
	v_lshrrev_b32_e32 v109, 16, v93
	v_cndmask_b32_e64 v92, v98, v104, s6
	v_cndmask_b32_e64 v98, v103, v108, s6
	;; [unrolled: 1-line block ×9, first 2 shown]
	v_lshrrev_b32_e32 v113, 16, v97
	v_cndmask_b32_e64 v88, v88, v112, s6
	v_cndmask_b32_e64 v92, v92, v89, s7
	;; [unrolled: 1-line block ×19, first 2 shown]
	v_perm_b32 v89, v87, v86, 0x5040100
	v_cndmask_b32_e64 v86, v125, v99, s12
	v_cndmask_b32_e64 v104, v88, v113, s8
	v_perm_b32 v88, v102, v98, 0x5040100
	v_perm_b32 v87, v103, v93, 0x5040100
	v_cndmask_b32_e64 v93, v106, v111, s17
	v_cndmask_b32_e64 v94, v94, v111, s18
	;; [unrolled: 1-line block ×5, first 2 shown]
	v_lshrrev_b32_e32 v116, 16, v100
	v_cndmask_b32_e64 v93, v93, v96, s21
	v_cndmask_b32_e64 v94, v94, v96, s22
	;; [unrolled: 1-line block ×11, first 2 shown]
	v_lshrrev_b32_e32 v117, 16, v101
	v_cndmask_b32_e64 v90, v90, v101, s7
	v_cndmask_b32_e64 v93, v93, v97, s26
	;; [unrolled: 1-line block ×12, first 2 shown]
	v_perm_b32 v86, v92, v91, 0x5040100
	v_perm_b32 v93, v94, v93, 0x5040100
	v_perm_b32 v92, v95, v97, 0x5040100
	v_perm_b32 v91, v96, v105, 0x5040100
	v_perm_b32 v90, v90, v104, 0x5040100
	s_lshl_b32 s7, s33, 3
	s_mov_b32 s3, exec_lo
	ds_store_b128 v78, v[86:89]
	ds_store_b128 v78, v[90:93] offset:1024
	v_cmpx_gt_u32_e32 8, v0
	s_cbranch_execz .LBB141_16
; %bb.15:
	v_or_b32_e32 v86, s31, v0
	s_load_b128 s[8:11], s[0:1], 0x58
	s_delay_alu instid0(VALU_DEP_1) | instskip(NEXT) | instid1(VALU_DEP_1)
	v_mad_u64_u32 v[87:88], null, s7, s34, v[86:87]
	v_mad_u64_u32 v[88:89], null, v87, s35, s[14:15]
	s_delay_alu instid0(VALU_DEP_1) | instskip(NEXT) | instid1(VALU_DEP_1)
	v_ashrrev_i32_e32 v89, 31, v88
	v_lshlrev_b64 v[86:87], 2, v[88:89]
	s_waitcnt lgkmcnt(0)
	s_delay_alu instid0(VALU_DEP_1) | instskip(NEXT) | instid1(VALU_DEP_2)
	v_add_co_u32 v88, vcc_lo, s10, v86
	v_add_co_ci_u32_e32 v89, vcc_lo, s11, v87, vcc_lo
	v_add_co_u32 v86, vcc_lo, s8, v86
	v_add_co_ci_u32_e32 v87, vcc_lo, s9, v87, vcc_lo
	global_store_b32 v[88:89], v84, off
	global_store_b32 v[86:87], v85, off
.LBB141_16:
	s_or_b32 exec_lo, exec_lo, s3
	s_waitcnt lgkmcnt(0)
	s_waitcnt_vscnt null, 0x0
	s_barrier
	buffer_gl0_inv
	ds_load_b128 v[92:95], v77
	ds_load_b128 v[96:99], v77 offset:16
	ds_load_b128 v[104:107], v77 offset:1040
	;; [unrolled: 1-line block ×5, first 2 shown]
	v_cmp_eq_u32_e32 vcc_lo, 1, v83
	v_mov_b32_e32 v84, 0
	ds_load_b128 v[120:123], v77 offset:3088
	ds_load_b128 v[116:119], v77 offset:3072
	;; [unrolled: 1-line block ×4, first 2 shown]
	v_cmp_eq_u32_e64 s3, 1, v79
	v_cmp_eq_u32_e64 s4, 1, v82
	;; [unrolled: 1-line block ×3, first 2 shown]
	v_mov_b32_e32 v85, v84
	v_mov_b32_e32 v86, v84
	;; [unrolled: 1-line block ×7, first 2 shown]
	v_cmp_eq_u32_e64 s6, 2, v79
	s_waitcnt lgkmcnt(8)
	s_delay_alu instid0(VALU_DEP_2)
	v_wmma_f32_16x16x16_f16 v[84:91], v[65:72], v[92:99], v[84:91]
	ds_load_b128 v[69:72], v77 offset:5136
	ds_load_b128 v[65:68], v77 offset:5120
	;; [unrolled: 1-line block ×4, first 2 shown]
	s_waitcnt lgkmcnt(10)
	v_wmma_f32_16x16x16_f16 v[84:91], v[57:64], v[100:107], v[84:91]
	s_waitcnt lgkmcnt(8)
	s_delay_alu instid0(VALU_DEP_1)
	v_wmma_f32_16x16x16_f16 v[84:91], v[57:64], v[108:115], v[84:91]
	ds_load_b128 v[61:64], v77 offset:7184
	ds_load_b128 v[57:60], v77 offset:7168
	;; [unrolled: 1-line block ×4, first 2 shown]
	s_waitcnt lgkmcnt(10)
	v_wmma_f32_16x16x16_f16 v[84:91], v[49:56], v[116:123], v[84:91]
	s_waitcnt lgkmcnt(8)
	s_delay_alu instid0(VALU_DEP_1)
	v_wmma_f32_16x16x16_f16 v[84:91], v[49:56], v[124:131], v[84:91]
	ds_load_b128 v[53:56], v77 offset:9232
	ds_load_b128 v[49:52], v77 offset:9216
	s_waitcnt lgkmcnt(8)
	v_wmma_f32_16x16x16_f16 v[84:91], v[41:48], v[65:72], v[84:91]
	ds_load_b128 v[69:72], v77 offset:10256
	ds_load_b128 v[65:68], v77 offset:10240
	s_waitcnt lgkmcnt(8)
	;; [unrolled: 4-line block ×7, first 2 shown]
	s_barrier
	buffer_gl0_inv
	v_wmma_f32_16x16x16_f16 v[84:91], v[33:40], v[41:48], v[84:91]
	s_delay_alu instid0(VALU_DEP_1) | instskip(NEXT) | instid1(VALU_DEP_1)
	v_wmma_f32_16x16x16_f16 v[84:91], v[33:40], v[57:64], v[84:91]
	v_wmma_f32_16x16x16_f16 v[84:91], v[25:32], v[9:16], v[84:91]
	s_delay_alu instid0(VALU_DEP_1) | instskip(NEXT) | instid1(VALU_DEP_1)
	v_wmma_f32_16x16x16_f16 v[84:91], v[25:32], v[49:56], v[84:91]
	v_wmma_f32_16x16x16_f16 v[84:91], v[17:24], v[1:8], v[84:91]
	s_delay_alu instid0(VALU_DEP_1) | instskip(NEXT) | instid1(VALU_DEP_2)
	v_cvt_f16_f32_e32 v1, v84
	v_cvt_f16_f32_e32 v2, v85
	s_delay_alu instid0(VALU_DEP_3) | instskip(NEXT) | instid1(VALU_DEP_4)
	v_cvt_f16_f32_e32 v3, v86
	v_cvt_f16_f32_e32 v4, v87
	;; [unrolled: 1-line block ×6, first 2 shown]
	v_pack_b32_f16 v1, v1, v2
	v_pack_b32_f16 v2, v3, v4
	;; [unrolled: 1-line block ×3, first 2 shown]
	s_delay_alu instid0(VALU_DEP_4)
	v_pack_b32_f16 v4, v7, v8
	ds_store_b128 v78, v[1:4]
	s_waitcnt lgkmcnt(0)
	s_barrier
	buffer_gl0_inv
	ds_load_b128 v[1:4], v80
	ds_load_b128 v[5:8], v80 offset:16
	s_waitcnt lgkmcnt(1)
	v_lshrrev_b32_e32 v9, 16, v1
	s_waitcnt lgkmcnt(0)
	v_lshrrev_b32_e32 v13, 16, v5
	v_lshrrev_b32_e32 v10, 16, v2
	;; [unrolled: 1-line block ×4, first 2 shown]
	v_cndmask_b32_e64 v17, v1, v9, s3
	v_cndmask_b32_e64 v18, v5, v13, s3
	;; [unrolled: 1-line block ×3, first 2 shown]
	v_cmp_eq_u32_e64 s3, 2, v81
	v_cndmask_b32_e64 v20, v5, v13, s5
	v_cndmask_b32_e32 v21, v1, v9, vcc_lo
	v_cndmask_b32_e32 v22, v5, v13, vcc_lo
	v_cndmask_b32_e64 v1, v1, v9, s4
	v_cndmask_b32_e64 v5, v5, v13, s4
	v_cmp_eq_u32_e32 vcc_lo, 2, v83
	v_cmp_eq_u32_e64 s4, 2, v82
	v_cndmask_b32_e64 v9, v17, v2, s6
	v_cndmask_b32_e64 v13, v18, v6, s6
	v_cndmask_b32_e64 v17, v19, v2, s3
	v_cndmask_b32_e64 v18, v20, v6, s3
	v_cndmask_b32_e32 v19, v21, v2, vcc_lo
	v_cmp_eq_u32_e64 s3, 3, v83
	v_cndmask_b32_e32 v20, v22, v6, vcc_lo
	v_cndmask_b32_e64 v1, v1, v2, s4
	v_cmp_eq_u32_e32 vcc_lo, 3, v82
	v_cmp_eq_u32_e64 s5, 3, v79
	v_cndmask_b32_e64 v2, v5, v6, s4
	v_cmp_eq_u32_e64 s4, 3, v81
	v_cmp_eq_u32_e64 s6, 4, v79
	v_cndmask_b32_e32 v1, v1, v10, vcc_lo
	v_cndmask_b32_e64 v5, v9, v10, s5
	v_cndmask_b32_e64 v6, v13, v14, s5
	;; [unrolled: 1-line block ×3, first 2 shown]
	v_cmp_eq_u32_e64 s5, 4, v81
	v_cndmask_b32_e64 v13, v18, v14, s4
	v_cndmask_b32_e64 v17, v19, v10, s3
	;; [unrolled: 1-line block ×3, first 2 shown]
	v_cndmask_b32_e32 v2, v2, v14, vcc_lo
	v_cmp_eq_u32_e32 vcc_lo, 4, v83
	v_cmp_eq_u32_e64 s4, 4, v82
	v_lshrrev_b32_e32 v15, 16, v7
	v_cndmask_b32_e64 v5, v5, v3, s6
	v_cndmask_b32_e64 v6, v6, v7, s6
	v_cndmask_b32_e32 v14, v18, v7, vcc_lo
	v_cndmask_b32_e64 v9, v9, v3, s5
	v_cndmask_b32_e64 v10, v13, v7, s5
	v_cndmask_b32_e32 v13, v17, v3, vcc_lo
	v_cmp_eq_u32_e64 s3, 5, v83
	v_cndmask_b32_e64 v1, v1, v3, s4
	v_cmp_eq_u32_e32 vcc_lo, 5, v82
	v_cmp_eq_u32_e64 s5, 5, v79
	v_cndmask_b32_e64 v2, v2, v7, s4
	v_cmp_eq_u32_e64 s4, 5, v81
	v_cmp_eq_u32_e64 s6, 6, v79
	v_lshrrev_b32_e32 v12, 16, v4
	v_cndmask_b32_e64 v3, v5, v11, s5
	v_cndmask_b32_e64 v5, v6, v15, s5
	;; [unrolled: 1-line block ×3, first 2 shown]
	v_cmp_eq_u32_e64 s5, 6, v81
	v_cndmask_b32_e64 v7, v10, v15, s4
	v_cndmask_b32_e64 v9, v13, v11, s3
	;; [unrolled: 1-line block ×3, first 2 shown]
	v_cndmask_b32_e32 v1, v1, v11, vcc_lo
	v_cndmask_b32_e32 v2, v2, v15, vcc_lo
	v_cmp_eq_u32_e32 vcc_lo, 6, v83
	v_cmp_eq_u32_e64 s3, 6, v82
	v_lshrrev_b32_e32 v16, 16, v8
	v_cndmask_b32_e64 v3, v3, v4, s6
	v_cndmask_b32_e64 v5, v5, v8, s6
	v_cndmask_b32_e32 v9, v9, v4, vcc_lo
	v_cndmask_b32_e64 v6, v6, v4, s5
	v_cndmask_b32_e64 v7, v7, v8, s5
	v_cmp_eq_u32_e64 s4, 7, v83
	v_cndmask_b32_e32 v10, v10, v8, vcc_lo
	v_cndmask_b32_e64 v1, v1, v4, s3
	v_cmp_eq_u32_e32 vcc_lo, 7, v82
	v_cndmask_b32_e64 v2, v2, v8, s3
	v_cmp_eq_u32_e64 s3, 7, v79
	v_cmp_eq_u32_e64 s5, 7, v81
	v_cndmask_b32_e32 v1, v1, v12, vcc_lo
	s_delay_alu instid0(VALU_DEP_4) | instskip(NEXT) | instid1(VALU_DEP_4)
	v_cndmask_b32_e32 v2, v2, v16, vcc_lo
	v_cndmask_b32_e64 v8, v3, v12, s3
	s_delay_alu instid0(VALU_DEP_4)
	v_cndmask_b32_e64 v6, v6, v12, s5
	v_cndmask_b32_e64 v3, v9, v12, s4
	;; [unrolled: 1-line block ×5, first 2 shown]
	v_cmp_gt_u32_e32 vcc_lo, 32, v0
	v_perm_b32 v4, v2, v1, 0x5040100
	v_perm_b32 v3, v9, v3, 0x5040100
	;; [unrolled: 1-line block ×4, first 2 shown]
	s_and_b32 s2, vcc_lo, s2
	ds_store_b128 v78, v[1:4]
	s_waitcnt lgkmcnt(0)
	s_barrier
	buffer_gl0_inv
	s_and_saveexec_b32 s3, s2
	s_cbranch_execz .LBB141_2
; %bb.17:
	s_load_b64 s[0:1], s[0:1], 0x68
	s_lshl_b32 s4, s35, 6
	v_or_b32_e32 v2, s31, v75
	s_mul_i32 s2, s4, s34
	v_lshlrev_b32_e32 v1, 10, v0
	s_mul_i32 s2, s2, s7
	v_lshlrev_b32_e32 v3, 4, v76
	v_mul_lo_u32 v0, v2, s4
	s_ashr_i32 s3, s2, 31
	v_lshlrev_b32_e32 v4, 6, v75
	v_and_b32_e32 v1, 0x3800, v1
	v_or_b32_e32 v5, 2, v2
	s_lshl_b64 s[2:3], s[2:3], 1
	v_or_b32_e32 v6, 4, v2
	v_or_b32_e32 v7, 6, v2
	v_or3_b32 v12, v1, v3, v4
	v_ashrrev_i32_e32 v1, 31, v0
	v_mul_lo_u32 v2, v5, s4
	v_mul_lo_u32 v16, v6, s4
	;; [unrolled: 1-line block ×3, first 2 shown]
	s_waitcnt lgkmcnt(0)
	s_add_u32 s2, s0, s2
	s_addc_u32 s3, s1, s3
	s_lshl_b32 s0, s14, 6
	v_lshlrev_b64 v[0:1], 1, v[0:1]
	s_ashr_i32 s1, s0, 31
	v_ashrrev_i32_e32 v3, 31, v2
	s_lshl_b64 s[0:1], s[0:1], 1
	v_ashrrev_i32_e32 v17, 31, v16
	s_add_u32 s0, s2, s0
	s_addc_u32 s1, s3, s1
	v_add_co_u32 v24, vcc_lo, s0, v73
	v_add_co_ci_u32_e32 v25, vcc_lo, s1, v74, vcc_lo
	v_lshlrev_b64 v[22:23], 1, v[2:3]
	s_delay_alu instid0(VALU_DEP_3) | instskip(NEXT) | instid1(VALU_DEP_3)
	v_add_co_u32 v18, vcc_lo, v24, v0
	v_add_co_ci_u32_e32 v19, vcc_lo, v25, v1, vcc_lo
	ds_load_b128 v[0:3], v12
	ds_load_b128 v[4:7], v12 offset:128
	ds_load_b128 v[8:11], v12 offset:256
	;; [unrolled: 1-line block ×3, first 2 shown]
	v_ashrrev_i32_e32 v21, 31, v20
	v_lshlrev_b64 v[16:17], 1, v[16:17]
	v_add_co_u32 v22, vcc_lo, v24, v22
	v_add_co_ci_u32_e32 v23, vcc_lo, v25, v23, vcc_lo
	s_delay_alu instid0(VALU_DEP_4) | instskip(NEXT) | instid1(VALU_DEP_4)
	v_lshlrev_b64 v[20:21], 1, v[20:21]
	v_add_co_u32 v16, vcc_lo, v24, v16
	v_add_co_ci_u32_e32 v17, vcc_lo, v25, v17, vcc_lo
	s_delay_alu instid0(VALU_DEP_3) | instskip(NEXT) | instid1(VALU_DEP_4)
	v_add_co_u32 v20, vcc_lo, v24, v20
	v_add_co_ci_u32_e32 v21, vcc_lo, v25, v21, vcc_lo
	s_waitcnt lgkmcnt(3)
	global_store_b128 v[18:19], v[0:3], off
	s_waitcnt lgkmcnt(2)
	global_store_b128 v[22:23], v[4:7], off
	;; [unrolled: 2-line block ×4, first 2 shown]
	s_nop 0
	s_sendmsg sendmsg(MSG_DEALLOC_VGPRS)
	s_endpgm
	.section	.rodata,"a",@progbits
	.p2align	6, 0x0
	.amdhsa_kernel _Z39paged_attention_ll4mi_QKV_mfma16_kernelIDF16_DF16_LN4vllm18Fp8KVCacheDataTypeE0EhLi32ELi64ELi256ELb0ELi8EL8MFMAType0EEvPKT_PKT0_S8_ifPKiSA_SA_iPKfiiiPfSD_PS3_PT2_iSC_SC_
		.amdhsa_group_segment_fixed_size 17472
		.amdhsa_private_segment_fixed_size 0
		.amdhsa_kernarg_size 400
		.amdhsa_user_sgpr_count 13
		.amdhsa_user_sgpr_dispatch_ptr 0
		.amdhsa_user_sgpr_queue_ptr 0
		.amdhsa_user_sgpr_kernarg_segment_ptr 1
		.amdhsa_user_sgpr_dispatch_id 0
		.amdhsa_user_sgpr_private_segment_size 0
		.amdhsa_wavefront_size32 1
		.amdhsa_uses_dynamic_stack 0
		.amdhsa_enable_private_segment 0
		.amdhsa_system_sgpr_workgroup_id_x 1
		.amdhsa_system_sgpr_workgroup_id_y 1
		.amdhsa_system_sgpr_workgroup_id_z 1
		.amdhsa_system_sgpr_workgroup_info 0
		.amdhsa_system_vgpr_workitem_id 0
		.amdhsa_next_free_vgpr 154
		.amdhsa_next_free_sgpr 39
		.amdhsa_reserve_vcc 1
		.amdhsa_float_round_mode_32 0
		.amdhsa_float_round_mode_16_64 0
		.amdhsa_float_denorm_mode_32 3
		.amdhsa_float_denorm_mode_16_64 3
		.amdhsa_dx10_clamp 1
		.amdhsa_ieee_mode 1
		.amdhsa_fp16_overflow 0
		.amdhsa_workgroup_processor_mode 1
		.amdhsa_memory_ordered 1
		.amdhsa_forward_progress 0
		.amdhsa_shared_vgpr_count 0
		.amdhsa_exception_fp_ieee_invalid_op 0
		.amdhsa_exception_fp_denorm_src 0
		.amdhsa_exception_fp_ieee_div_zero 0
		.amdhsa_exception_fp_ieee_overflow 0
		.amdhsa_exception_fp_ieee_underflow 0
		.amdhsa_exception_fp_ieee_inexact 0
		.amdhsa_exception_int_div_zero 0
	.end_amdhsa_kernel
	.section	.text._Z39paged_attention_ll4mi_QKV_mfma16_kernelIDF16_DF16_LN4vllm18Fp8KVCacheDataTypeE0EhLi32ELi64ELi256ELb0ELi8EL8MFMAType0EEvPKT_PKT0_S8_ifPKiSA_SA_iPKfiiiPfSD_PS3_PT2_iSC_SC_,"axG",@progbits,_Z39paged_attention_ll4mi_QKV_mfma16_kernelIDF16_DF16_LN4vllm18Fp8KVCacheDataTypeE0EhLi32ELi64ELi256ELb0ELi8EL8MFMAType0EEvPKT_PKT0_S8_ifPKiSA_SA_iPKfiiiPfSD_PS3_PT2_iSC_SC_,comdat
.Lfunc_end141:
	.size	_Z39paged_attention_ll4mi_QKV_mfma16_kernelIDF16_DF16_LN4vllm18Fp8KVCacheDataTypeE0EhLi32ELi64ELi256ELb0ELi8EL8MFMAType0EEvPKT_PKT0_S8_ifPKiSA_SA_iPKfiiiPfSD_PS3_PT2_iSC_SC_, .Lfunc_end141-_Z39paged_attention_ll4mi_QKV_mfma16_kernelIDF16_DF16_LN4vllm18Fp8KVCacheDataTypeE0EhLi32ELi64ELi256ELb0ELi8EL8MFMAType0EEvPKT_PKT0_S8_ifPKiSA_SA_iPKfiiiPfSD_PS3_PT2_iSC_SC_
                                        ; -- End function
	.section	.AMDGPU.csdata,"",@progbits
; Kernel info:
; codeLenInByte = 7200
; NumSgprs: 41
; NumVgprs: 154
; ScratchSize: 0
; MemoryBound: 0
; FloatMode: 240
; IeeeMode: 1
; LDSByteSize: 17472 bytes/workgroup (compile time only)
; SGPRBlocks: 5
; VGPRBlocks: 19
; NumSGPRsForWavesPerEU: 41
; NumVGPRsForWavesPerEU: 154
; Occupancy: 9
; WaveLimiterHint : 1
; COMPUTE_PGM_RSRC2:SCRATCH_EN: 0
; COMPUTE_PGM_RSRC2:USER_SGPR: 13
; COMPUTE_PGM_RSRC2:TRAP_HANDLER: 0
; COMPUTE_PGM_RSRC2:TGID_X_EN: 1
; COMPUTE_PGM_RSRC2:TGID_Y_EN: 1
; COMPUTE_PGM_RSRC2:TGID_Z_EN: 1
; COMPUTE_PGM_RSRC2:TIDIG_COMP_CNT: 0
	.section	.text._Z39paged_attention_ll4mi_QKV_mfma16_kernelIDF16_DF16_LN4vllm18Fp8KVCacheDataTypeE0EhLi32ELi64ELi256ELb0ELi9EL8MFMAType0EEvPKT_PKT0_S8_ifPKiSA_SA_iPKfiiiPfSD_PS3_PT2_iSC_SC_,"axG",@progbits,_Z39paged_attention_ll4mi_QKV_mfma16_kernelIDF16_DF16_LN4vllm18Fp8KVCacheDataTypeE0EhLi32ELi64ELi256ELb0ELi9EL8MFMAType0EEvPKT_PKT0_S8_ifPKiSA_SA_iPKfiiiPfSD_PS3_PT2_iSC_SC_,comdat
	.protected	_Z39paged_attention_ll4mi_QKV_mfma16_kernelIDF16_DF16_LN4vllm18Fp8KVCacheDataTypeE0EhLi32ELi64ELi256ELb0ELi9EL8MFMAType0EEvPKT_PKT0_S8_ifPKiSA_SA_iPKfiiiPfSD_PS3_PT2_iSC_SC_ ; -- Begin function _Z39paged_attention_ll4mi_QKV_mfma16_kernelIDF16_DF16_LN4vllm18Fp8KVCacheDataTypeE0EhLi32ELi64ELi256ELb0ELi9EL8MFMAType0EEvPKT_PKT0_S8_ifPKiSA_SA_iPKfiiiPfSD_PS3_PT2_iSC_SC_
	.globl	_Z39paged_attention_ll4mi_QKV_mfma16_kernelIDF16_DF16_LN4vllm18Fp8KVCacheDataTypeE0EhLi32ELi64ELi256ELb0ELi9EL8MFMAType0EEvPKT_PKT0_S8_ifPKiSA_SA_iPKfiiiPfSD_PS3_PT2_iSC_SC_
	.p2align	8
	.type	_Z39paged_attention_ll4mi_QKV_mfma16_kernelIDF16_DF16_LN4vllm18Fp8KVCacheDataTypeE0EhLi32ELi64ELi256ELb0ELi9EL8MFMAType0EEvPKT_PKT0_S8_ifPKiSA_SA_iPKfiiiPfSD_PS3_PT2_iSC_SC_,@function
_Z39paged_attention_ll4mi_QKV_mfma16_kernelIDF16_DF16_LN4vllm18Fp8KVCacheDataTypeE0EhLi32ELi64ELi256ELb0ELi9EL8MFMAType0EEvPKT_PKT0_S8_ifPKiSA_SA_iPKfiiiPfSD_PS3_PT2_iSC_SC_: ; @_Z39paged_attention_ll4mi_QKV_mfma16_kernelIDF16_DF16_LN4vllm18Fp8KVCacheDataTypeE0EhLi32ELi64ELi256ELb0ELi9EL8MFMAType0EEvPKT_PKT0_S8_ifPKiSA_SA_iPKfiiiPfSD_PS3_PT2_iSC_SC_
; %bb.0:
	s_load_b64 s[2:3], s[0:1], 0x30
	s_mov_b32 s34, s13
	s_waitcnt lgkmcnt(0)
	s_cmp_lg_u64 s[2:3], 0
	s_cselect_b32 s6, -1, 0
	s_ashr_i32 s35, s13, 31
	s_cmp_eq_u64 s[2:3], 0
	s_cbranch_scc1 .LBB142_3
; %bb.1:
	s_lshl_b64 s[4:5], s[34:35], 2
	s_delay_alu instid0(SALU_CYCLE_1) | instskip(SKIP_4) | instid1(SALU_CYCLE_1)
	s_add_u32 s4, s2, s4
	s_addc_u32 s5, s3, s5
	s_load_b64 s[4:5], s[4:5], 0x0
	s_waitcnt lgkmcnt(0)
	s_sub_i32 s4, s5, s4
	s_cmp_eq_u32 s4, 1
	s_cselect_b32 s4, -1, 0
	s_delay_alu instid0(SALU_CYCLE_1)
	s_and_not1_b32 vcc_lo, exec_lo, s4
	s_cbranch_vccz .LBB142_4
.LBB142_2:
	s_nop 0
	s_sendmsg sendmsg(MSG_DEALLOC_VGPRS)
	s_endpgm
.LBB142_3:
.LBB142_4:
	s_load_b64 s[8:9], s[0:1], 0x28
	s_lshl_b64 s[4:5], s[34:35], 2
	s_waitcnt lgkmcnt(0)
	s_add_u32 s8, s8, s4
	s_addc_u32 s9, s9, s5
	s_lshl_b32 s16, s14, 8
	s_load_b32 s18, s[8:9], 0x0
	s_waitcnt lgkmcnt(0)
	s_cmp_ge_i32 s16, s18
	s_cbranch_scc1 .LBB142_2
; %bb.5:
	s_and_not1_b32 vcc_lo, exec_lo, s6
	s_cbranch_vccnz .LBB142_7
; %bb.6:
	s_add_u32 s2, s2, s4
	s_addc_u32 s3, s3, s5
	s_load_b32 s17, s[2:3], 0x0
	s_branch .LBB142_8
.LBB142_7:
	s_mov_b32 s17, s34
.LBB142_8:
	s_clause 0x2
	s_load_b128 s[8:11], s[0:1], 0x8
	s_load_b64 s[12:13], s[0:1], 0x20
	s_load_b128 s[4:7], s[0:1], 0x48
	v_lshrrev_b32_e32 v78, 5, v0
	v_bfe_u32 v75, v0, 4, 1
	v_and_b32_e32 v77, 15, v0
	s_delay_alu instid0(VALU_DEP_2) | instskip(NEXT) | instid1(VALU_DEP_2)
	v_lshl_or_b32 v3, v78, 1, v75
	v_cmp_lt_u32_e64 s3, 7, v77
	v_lshlrev_b32_e32 v1, 3, v77
	v_cmp_gt_u32_e64 s2, 8, v77
	s_delay_alu instid0(VALU_DEP_4) | instskip(NEXT) | instid1(VALU_DEP_4)
	v_cmp_lt_u32_e32 vcc_lo, 8, v3
	s_or_b32 s3, s3, vcc_lo
	s_waitcnt lgkmcnt(0)
	s_and_saveexec_b32 s7, s3
	s_delay_alu instid0(SALU_CYCLE_1)
	s_xor_b32 s3, exec_lo, s7
; %bb.9:
	v_mov_b32_e32 v2, 0
                                        ; implicit-def: $vgpr3
; %bb.10:
	s_or_saveexec_b32 s3, s3
	v_and_b32_e32 v80, 31, v0
	v_and_b32_e32 v76, 1, v0
	s_mul_i32 s33, s15, 9
	s_xor_b32 exec_lo, exec_lo, s3
	s_cbranch_execz .LBB142_12
; %bb.11:
	s_load_b64 s[20:21], s[0:1], 0x0
	v_add_lshl_u32 v4, v3, s33, 6
	s_mul_hi_i32 s23, s17, s4
	s_mul_i32 s22, s17, s4
	v_lshlrev_b32_e32 v2, 1, v1
	s_lshl_b64 s[22:23], s[22:23], 1
	v_ashrrev_i32_e32 v5, 31, v4
	v_lshlrev_b32_e32 v3, 6, v3
	v_lshlrev_b32_e32 v8, 10, v76
	s_delay_alu instid0(VALU_DEP_3) | instskip(SKIP_3) | instid1(VALU_DEP_1)
	v_lshlrev_b64 v[4:5], 1, v[4:5]
	s_waitcnt lgkmcnt(0)
	s_add_u32 s4, s20, s22
	s_addc_u32 s7, s21, s23
	v_add_co_u32 v4, vcc_lo, s4, v4
	s_delay_alu instid0(VALU_DEP_2) | instskip(NEXT) | instid1(VALU_DEP_2)
	v_add_co_ci_u32_e32 v5, vcc_lo, s7, v5, vcc_lo
	v_add_co_u32 v4, vcc_lo, v4, v2
	s_delay_alu instid0(VALU_DEP_2) | instskip(SKIP_3) | instid1(VALU_DEP_1)
	v_add_co_ci_u32_e32 v5, vcc_lo, 0, v5, vcc_lo
	v_lshlrev_b32_e32 v2, 10, v77
	global_load_b128 v[4:7], v[4:5], off
	v_and_b32_e32 v2, 0x3800, v2
	v_or3_b32 v3, v2, v8, v3
	v_mov_b32_e32 v2, 0
	s_waitcnt vmcnt(0)
	ds_store_b128 v3, v[4:7]
.LBB142_12:
	s_or_b32 exec_lo, exec_lo, s3
	v_and_b32_e32 v3, 0xef, v0
	s_add_i32 s3, s18, 31
	s_clause 0x1
	s_load_b32 s4, s[0:1], 0x38
	s_load_b32 s35, s[0:1], 0x98
	s_ashr_i32 s7, s3, 31
	v_add_nc_u32_e32 v3, s16, v3
	s_lshr_b32 s7, s7, 27
	s_load_b32 s19, s[0:1], 0x1c
	s_add_i32 s3, s3, s7
	s_waitcnt lgkmcnt(0)
	v_ashrrev_i32_e32 v4, 31, v3
	v_cmp_gt_i32_e32 vcc_lo, s18, v3
	s_ashr_i32 s3, s3, 5
	s_barrier
	s_add_i32 s3, s3, -1
	v_lshrrev_b32_e32 v5, 27, v4
	v_or_b32_e32 v4, 16, v3
	buffer_gl0_inv
	s_mul_i32 s6, s15, s6
	v_lshlrev_b64 v[73:74], 1, v[1:2]
	v_add_nc_u32_e32 v6, v3, v5
	v_add_nc_u32_e32 v5, v4, v5
	s_mul_i32 s20, s34, s4
	s_delay_alu instid0(SALU_CYCLE_1) | instskip(NEXT) | instid1(VALU_DEP_2)
	s_ashr_i32 s21, s20, 31
	v_ashrrev_i32_e32 v6, 5, v6
	s_delay_alu instid0(VALU_DEP_2) | instskip(SKIP_1) | instid1(SALU_CYCLE_1)
	v_ashrrev_i32_e32 v5, 5, v5
	s_lshl_b64 s[20:21], s[20:21], 2
	s_add_u32 s4, s12, s20
	s_delay_alu instid0(VALU_DEP_2) | instskip(SKIP_3) | instid1(SALU_CYCLE_1)
	v_cndmask_b32_e32 v3, s3, v6, vcc_lo
	v_cmp_gt_i32_e32 vcc_lo, s18, v4
	s_addc_u32 s17, s13, s21
	s_ashr_i32 s7, s6, 31
	s_lshl_b64 s[6:7], s[6:7], 1
	v_cndmask_b32_e32 v5, s3, v5, vcc_lo
	v_ashrrev_i32_e32 v4, 31, v3
	s_add_u32 s15, s8, s6
	s_addc_u32 s28, s9, s7
	s_lshl_b32 s8, s14, 3
	v_ashrrev_i32_e32 v6, 31, v5
	v_lshlrev_b64 v[3:4], 2, v[3:4]
	s_ashr_i32 s9, s8, 31
	s_delay_alu instid0(SALU_CYCLE_1) | instskip(NEXT) | instid1(VALU_DEP_2)
	s_lshl_b64 s[8:9], s[8:9], 2
	v_lshlrev_b64 v[5:6], 2, v[5:6]
	s_add_u32 s8, s4, s8
	s_delay_alu instid0(VALU_DEP_2) | instskip(SKIP_1) | instid1(VALU_DEP_3)
	v_add_co_u32 v3, vcc_lo, s4, v3
	v_add_co_ci_u32_e32 v4, vcc_lo, s17, v4, vcc_lo
	v_add_co_u32 v5, vcc_lo, s4, v5
	s_delay_alu instid0(VALU_DEP_4)
	v_add_co_ci_u32_e32 v6, vcc_lo, s17, v6, vcc_lo
	s_addc_u32 s9, s17, s9
	s_clause 0x1
	global_load_b32 v7, v[3:4], off
	global_load_b32 v8, v[5:6], off
	s_or_b32 s12, s16, 32
	s_delay_alu instid0(SALU_CYCLE_1) | instskip(SKIP_2) | instid1(SALU_CYCLE_1)
	s_ashr_i32 s13, s12, 5
	s_cmp_lt_i32 s12, s18
	s_cselect_b32 s12, s13, s3
	s_ashr_i32 s13, s12, 31
	s_delay_alu instid0(SALU_CYCLE_1) | instskip(NEXT) | instid1(SALU_CYCLE_1)
	s_lshl_b64 s[12:13], s[12:13], 2
	s_add_u32 s12, s4, s12
	s_addc_u32 s13, s17, s13
	s_or_b32 s20, s16, 64
	s_delay_alu instid0(SALU_CYCLE_1) | instskip(SKIP_2) | instid1(SALU_CYCLE_1)
	s_ashr_i32 s21, s20, 5
	s_cmp_lt_i32 s20, s18
	s_cselect_b32 s20, s21, s3
	s_ashr_i32 s21, s20, 31
	s_delay_alu instid0(SALU_CYCLE_1) | instskip(NEXT) | instid1(SALU_CYCLE_1)
	s_lshl_b64 s[20:21], s[20:21], 2
	s_add_u32 s20, s4, s20
	s_addc_u32 s21, s17, s21
	;; [unrolled: 10-line block ×5, first 2 shown]
	s_clause 0x5
	s_load_b32 s29, s[8:9], 0x0
	s_load_b32 s30, s[12:13], 0x0
	;; [unrolled: 1-line block ×6, first 2 shown]
	s_mov_b32 s20, 0
	s_or_b32 s8, s16, 0xc0
	s_mov_b32 s21, s20
	s_mov_b32 s22, s20
	;; [unrolled: 1-line block ×7, first 2 shown]
	s_ashr_i32 s9, s8, 5
	v_mov_b32_e32 v128, s27
	s_cmp_lt_i32 s8, s18
	v_mov_b32_e32 v127, s26
	s_cselect_b32 s8, s9, s3
	v_mov_b32_e32 v126, s25
	s_ashr_i32 s9, s8, 31
	v_mov_b32_e32 v125, s24
	s_lshl_b64 s[8:9], s[8:9], 2
	v_mov_b32_e32 v124, s23
	s_add_u32 s8, s4, s8
	s_addc_u32 s9, s17, s9
	v_mov_b32_e32 v123, s22
	v_mov_b32_e32 v121, s20
	s_waitcnt lgkmcnt(0)
	s_mul_hi_i32 s13, s29, s5
	s_mul_i32 s12, s29, s5
	v_mov_b32_e32 v122, s21
	s_mul_hi_i32 s21, s30, s5
	s_mul_i32 s20, s30, s5
	s_mul_hi_i32 s25, s31, s5
	s_mul_i32 s24, s31, s5
	;; [unrolled: 2-line block ×4, first 2 shown]
	s_waitcnt vmcnt(1)
	v_mad_i64_i32 v[3:4], null, v7, s5, 0
	s_waitcnt vmcnt(0)
	v_mad_i64_i32 v[5:6], null, v8, s5, 0
	s_delay_alu instid0(VALU_DEP_2) | instskip(NEXT) | instid1(VALU_DEP_2)
	v_lshlrev_b64 v[3:4], 1, v[3:4]
	v_lshlrev_b64 v[1:2], 1, v[5:6]
	s_delay_alu instid0(VALU_DEP_2) | instskip(NEXT) | instid1(VALU_DEP_3)
	v_add_co_u32 v3, vcc_lo, s15, v3
	v_add_co_ci_u32_e32 v4, vcc_lo, s28, v4, vcc_lo
	s_delay_alu instid0(VALU_DEP_3) | instskip(NEXT) | instid1(VALU_DEP_4)
	v_add_co_u32 v1, vcc_lo, s15, v1
	v_add_co_ci_u32_e32 v2, vcc_lo, s28, v2, vcc_lo
	s_delay_alu instid0(VALU_DEP_4) | instskip(NEXT) | instid1(VALU_DEP_4)
	v_add_co_u32 v25, vcc_lo, v3, v73
	v_add_co_ci_u32_e32 v26, vcc_lo, v4, v74, vcc_lo
	s_delay_alu instid0(VALU_DEP_4) | instskip(NEXT) | instid1(VALU_DEP_4)
	v_add_co_u32 v27, vcc_lo, v1, v73
	v_add_co_ci_u32_e32 v28, vcc_lo, v2, v74, vcc_lo
	s_clause 0xf
	global_load_b128 v[1:4], v[25:26], off
	global_load_b128 v[5:8], v[25:26], off offset:512
	global_load_b128 v[9:12], v[27:28], off offset:256
	;; [unrolled: 1-line block ×15, first 2 shown]
	v_add_nc_u32_e32 v25, -9, v77
	v_cmp_gt_u32_e32 vcc_lo, 9, v77
	s_or_b32 s15, s16, 0xe0
	s_delay_alu instid0(SALU_CYCLE_1) | instskip(SKIP_3) | instid1(SALU_CYCLE_1)
	s_ashr_i32 s22, s15, 5
	s_cmp_lt_i32 s15, s18
	v_cndmask_b32_e32 v25, v25, v77, vcc_lo
	s_cselect_b32 s22, s22, s3
	s_ashr_i32 s23, s22, 31
	s_delay_alu instid0(VALU_DEP_1)
	v_lshlrev_b32_e32 v151, 6, v25
	ds_load_b128 v[25:28], v151
	ds_load_b128 v[29:32], v151 offset:1024
	ds_load_b128 v[129:132], v151 offset:2048
	;; [unrolled: 1-line block ×3, first 2 shown]
	s_lshl_b64 s[22:23], s[22:23], 2
	s_delay_alu instid0(SALU_CYCLE_1) | instskip(SKIP_2) | instid1(SALU_CYCLE_1)
	s_add_u32 s22, s4, s22
	s_addc_u32 s23, s17, s23
	s_add_i32 s15, s16, 0x100
	s_ashr_i32 s28, s15, 5
	s_cmp_lt_i32 s15, s18
	s_load_b32 s15, s[8:9], 0x0
	s_cselect_b32 s28, s28, s3
	s_mul_hi_i32 s9, s37, s5
	s_ashr_i32 s29, s28, 31
	s_mul_i32 s8, s37, s5
	s_lshl_b64 s[28:29], s[28:29], 2
	s_delay_alu instid0(SALU_CYCLE_1)
	s_add_u32 s28, s4, s28
	s_addc_u32 s29, s17, s29
	s_add_u32 s3, s10, s6
	s_clause 0x1
	s_load_b32 s4, s[22:23], 0x0
	s_load_b32 s17, s[28:29], 0x0
	s_addc_u32 s28, s11, s7
	s_lshl_b64 s[6:7], s[12:13], 1
	s_lshl_b64 s[10:11], s[20:21], 1
	;; [unrolled: 1-line block ×6, first 2 shown]
	s_waitcnt lgkmcnt(0)
	s_mul_hi_i32 s25, s15, s5
	s_mul_i32 s24, s15, s5
	s_delay_alu instid0(SALU_CYCLE_1)
	s_lshl_b64 s[24:25], s[24:25], 1
	s_waitcnt vmcnt(14)
	v_wmma_f32_16x16x16_f16 v[137:144], v[1:8], v[25:32], v[121:128]
	s_waitcnt vmcnt(12)
	v_wmma_f32_16x16x16_f16 v[121:128], v[9:16], v[25:32], v[121:128]
	s_waitcnt vmcnt(10)
	s_delay_alu instid0(VALU_DEP_2) | instskip(SKIP_1) | instid1(VALU_DEP_2)
	v_wmma_f32_16x16x16_f16 v[137:144], v[17:24], v[129:136], v[137:144]
	s_waitcnt vmcnt(8)
	v_wmma_f32_16x16x16_f16 v[121:128], v[81:88], v[129:136], v[121:128]
	v_mbcnt_lo_u32_b32 v130, -1, 0
	s_delay_alu instid0(VALU_DEP_1) | instskip(SKIP_1) | instid1(VALU_DEP_1)
	v_xor_b32_e32 v131, 16, v130
	v_lshlrev_b32_e32 v79, 6, v77
	v_lshl_or_b32 v33, v78, 10, v79
	s_delay_alu instid0(VALU_DEP_1) | instskip(NEXT) | instid1(VALU_DEP_1)
	v_add_co_u32 v152, s3, s3, v33
	v_add_co_ci_u32_e64 v153, null, s28, 0, s3
	s_delay_alu instid0(VALU_DEP_2) | instskip(NEXT) | instid1(VALU_DEP_2)
	v_add_co_u32 v33, vcc_lo, v152, s6
	v_add_co_ci_u32_e32 v34, vcc_lo, s7, v153, vcc_lo
	v_add_co_u32 v35, vcc_lo, v152, s10
	v_add_co_ci_u32_e32 v36, vcc_lo, s11, v153, vcc_lo
	;; [unrolled: 2-line block ×6, first 2 shown]
	s_mul_hi_i32 s7, s4, s5
	s_mul_i32 s6, s4, s5
	v_add_co_u32 v149, vcc_lo, v152, s24
	s_lshl_b64 s[6:7], s[6:7], 1
	v_add_co_ci_u32_e32 v150, vcc_lo, s25, v153, vcc_lo
	v_add_co_u32 v29, vcc_lo, v152, s6
	v_add_co_ci_u32_e32 v30, vcc_lo, s7, v153, vcc_lo
	s_mul_hi_i32 s7, s17, s5
	s_mul_i32 s6, s17, s5
	s_clause 0x7
	global_load_b128 v[65:68], v[33:34], off
	global_load_b128 v[69:72], v[33:34], off offset:16
	global_load_b128 v[57:60], v[35:36], off
	global_load_b128 v[61:64], v[35:36], off offset:16
	;; [unrolled: 2-line block ×4, first 2 shown]
	s_lshl_b64 s[4:5], s[6:7], 1
	s_clause 0x1
	global_load_b128 v[9:12], v[145:146], off
	global_load_b128 v[13:16], v[145:146], off offset:16
	v_add_co_u32 v21, vcc_lo, v152, s4
	v_add_co_ci_u32_e32 v22, vcc_lo, s5, v153, vcc_lo
	s_clause 0x7
	global_load_b128 v[1:4], v[147:148], off
	global_load_b128 v[5:8], v[147:148], off offset:16
	global_load_b128 v[33:36], v[149:150], off
	global_load_b128 v[37:40], v[149:150], off offset:16
	global_load_b128 v[25:28], v[29:30], off
	global_load_b128 v[29:32], v[29:30], off offset:16
	global_load_b128 v[17:20], v[21:22], off
	global_load_b128 v[21:24], v[21:22], off offset:16
	ds_load_b128 v[81:84], v151 offset:4096
	ds_load_b128 v[85:88], v151 offset:5120
	v_cmp_gt_i32_e32 vcc_lo, 32, v131
	v_cndmask_b32_e32 v130, v130, v131, vcc_lo
	s_waitcnt vmcnt(24) lgkmcnt(0)
	v_wmma_f32_16x16x16_f16 v[137:144], v[89:96], v[81:88], v[137:144]
	ds_load_b128 v[89:92], v151 offset:6144
	ds_load_b128 v[93:96], v151 offset:7168
	s_waitcnt vmcnt(22)
	v_wmma_f32_16x16x16_f16 v[121:128], v[97:104], v[81:88], v[121:128]
	s_waitcnt vmcnt(0) lgkmcnt(0)
	s_barrier
	buffer_gl0_inv
	v_wmma_f32_16x16x16_f16 v[121:128], v[113:120], v[89:96], v[121:128]
	v_and_b32_e32 v129, 0xe0, v0
	v_wmma_f32_16x16x16_f16 v[137:144], v[105:112], v[89:96], v[137:144]
	s_delay_alu instid0(VALU_DEP_2) | instskip(NEXT) | instid1(VALU_DEP_2)
	v_dual_mul_f32 v104, s19, v126 :: v_dual_add_nc_u32 v129, s16, v129
	v_dual_mul_f32 v106, s19, v124 :: v_dual_mul_f32 v95, s19, v138
	s_delay_alu instid0(VALU_DEP_3) | instskip(NEXT) | instid1(VALU_DEP_3)
	v_dual_mul_f32 v96, s19, v137 :: v_dual_mul_f32 v93, s19, v140
	v_or_b32_e32 v129, v129, v75
	v_dual_mul_f32 v94, s19, v139 :: v_dual_mul_f32 v91, s19, v142
	v_dual_mul_f32 v92, s19, v141 :: v_dual_mul_f32 v89, s19, v144
	v_mul_f32_e32 v108, s19, v122
	s_delay_alu instid0(VALU_DEP_4)
	v_or_b32_e32 v131, 2, v129
	v_or_b32_e32 v132, 4, v129
	;; [unrolled: 1-line block ×3, first 2 shown]
	v_cmp_gt_i32_e32 vcc_lo, s18, v129
	v_or_b32_e32 v82, 8, v129
	v_cmp_gt_i32_e64 s3, s18, v131
	v_or_b32_e32 v83, 10, v129
	v_cmp_gt_i32_e64 s4, s18, v132
	v_cndmask_b32_e32 v96, 0xff7fffff, v96, vcc_lo
	v_cmp_gt_i32_e64 s5, s18, v81
	v_cndmask_b32_e64 v95, 0xff7fffff, v95, s3
	v_or_b32_e32 v84, 12, v129
	v_or_b32_e32 v85, 14, v129
	v_cndmask_b32_e64 v94, 0xff7fffff, v94, s4
	v_cndmask_b32_e64 v81, 0xff7fffff, v93, s5
	v_max3_f32 v93, v96, 0xff7fffff, v95
	v_cmp_gt_i32_e64 s6, s18, v82
	v_cmp_gt_i32_e64 s7, s18, v83
	v_or_b32_e32 v86, 16, v129
	v_or_b32_e32 v87, 18, v129
	v_mul_f32_e32 v90, s19, v143
	v_cndmask_b32_e64 v82, 0xff7fffff, v92, s6
	v_cndmask_b32_e64 v83, 0xff7fffff, v91, s7
	v_max3_f32 v81, v93, v94, v81
	v_cmp_gt_i32_e64 s8, s18, v84
	v_cmp_gt_i32_e64 s9, s18, v85
	v_or_b32_e32 v88, 20, v129
	v_or_b32_e32 v97, 22, v129
	v_mul_f32_e32 v109, s19, v121
	;; [unrolled: 8-line block ×4, first 2 shown]
	v_cndmask_b32_e64 v84, 0xff7fffff, v107, s12
	v_cndmask_b32_e64 v85, 0xff7fffff, v106, s13
	v_max3_f32 v81, v81, v82, v83
	v_cmp_gt_i32_e64 s15, s18, v98
	v_cmp_gt_i32_e64 s16, s18, v99
	v_dual_mul_f32 v102, s19, v128 :: v_dual_mul_f32 v103, s19, v127
	s_delay_alu instid0(VALU_DEP_4) | instskip(NEXT) | instid1(VALU_DEP_4)
	v_max3_f32 v81, v81, v84, v85
	v_cndmask_b32_e64 v82, 0xff7fffff, v105, s15
	s_delay_alu instid0(VALU_DEP_4) | instskip(SKIP_2) | instid1(VALU_DEP_3)
	v_cndmask_b32_e64 v83, 0xff7fffff, v104, s16
	v_cmp_gt_i32_e64 s17, s18, v100
	v_cmp_gt_i32_e64 s18, s18, v101
	v_max3_f32 v81, v81, v82, v83
	s_delay_alu instid0(VALU_DEP_3) | instskip(NEXT) | instid1(VALU_DEP_3)
	v_cndmask_b32_e64 v84, 0xff7fffff, v103, s17
	v_cndmask_b32_e64 v85, 0xff7fffff, v102, s18
	v_lshlrev_b32_e32 v83, 2, v130
	s_delay_alu instid0(VALU_DEP_2) | instskip(SKIP_3) | instid1(VALU_DEP_1)
	v_max3_f32 v81, v81, v84, v85
	ds_bpermute_b32 v82, v83, v81
	s_waitcnt lgkmcnt(0)
	v_max_f32_e32 v82, v82, v82
	v_max_f32_e32 v81, v81, v82
	s_delay_alu instid0(VALU_DEP_1)
	v_fma_f32 v82, s19, v137, -v81
	v_fma_f32 v84, s19, v138, -v81
	;; [unrolled: 1-line block ×5, first 2 shown]
	v_mul_f32_e32 v82, 0x3fb8aa3b, v82
	s_delay_alu instid0(VALU_DEP_4) | instskip(NEXT) | instid1(VALU_DEP_3)
	v_dual_mul_f32 v84, 0x3fb8aa3b, v84 :: v_dual_mul_f32 v85, 0x3fb8aa3b, v85
	v_dual_mul_f32 v86, 0x3fb8aa3b, v86 :: v_dual_mul_f32 v89, 0x3fb8aa3b, v87
	s_delay_alu instid0(VALU_DEP_3) | instskip(NEXT) | instid1(VALU_DEP_2)
	v_exp_f32_e32 v82, v82
	v_exp_f32_e32 v84, v84
	s_delay_alu instid0(VALU_DEP_2) | instskip(NEXT) | instid1(VALU_DEP_1)
	v_exp_f32_e32 v85, v85
	v_exp_f32_e32 v86, v86
	;; [unrolled: 1-line block ×3, first 2 shown]
	v_cndmask_b32_e32 v88, 0, v82, vcc_lo
	v_cndmask_b32_e64 v87, 0, v84, s3
	s_delay_alu instid0(TRANS32_DEP_3)
	v_cndmask_b32_e64 v90, 0, v85, s4
	s_waitcnt_depctr 0xfff
	v_cndmask_b32_e64 v89, 0, v86, s5
	v_cndmask_b32_e64 v92, 0, v92, s6
	v_add_f32_e32 v84, 0, v88
	v_cmp_gt_u32_e64 s3, 16, v80
	s_delay_alu instid0(VALU_DEP_2) | instskip(NEXT) | instid1(VALU_DEP_1)
	v_add_f32_e32 v84, v84, v87
	v_add_f32_e32 v84, v84, v90
	s_delay_alu instid0(VALU_DEP_1)
	v_add_f32_e32 v84, v84, v89
	v_fma_f32 v82, s19, v142, -v81
	v_fma_f32 v91, s19, v143, -v81
	;; [unrolled: 1-line block ×5, first 2 shown]
	s_delay_alu instid0(VALU_DEP_4) | instskip(SKIP_1) | instid1(VALU_DEP_4)
	v_dual_mul_f32 v82, 0x3fb8aa3b, v82 :: v_dual_mul_f32 v91, 0x3fb8aa3b, v91
	v_fma_f32 v96, s19, v124, -v81
	v_mul_f32_e32 v86, 0x3fb8aa3b, v86
	s_delay_alu instid0(VALU_DEP_4) | instskip(NEXT) | instid1(VALU_DEP_4)
	v_mul_f32_e32 v95, 0x3fb8aa3b, v94
	v_exp_f32_e32 v82, v82
	v_exp_f32_e32 v93, v91
	v_mul_f32_e32 v97, 0x3fb8aa3b, v96
	v_exp_f32_e32 v86, v86
	v_fma_f32 v99, s19, v127, -v81
	s_delay_alu instid0(VALU_DEP_2) | instskip(SKIP_2) | instid1(TRANS32_DEP_3)
	v_exp_f32_e32 v97, v97
	v_cndmask_b32_e64 v91, 0, v82, s7
	v_dual_add_f32 v82, v84, v92 :: v_dual_mul_f32 v85, 0x3fb8aa3b, v85
	v_cndmask_b32_e64 v94, 0, v93, s8
	v_fma_f32 v84, s19, v123, -v81
	s_delay_alu instid0(TRANS32_DEP_2) | instskip(NEXT) | instid1(VALU_DEP_4)
	v_cndmask_b32_e64 v96, 0, v86, s10
	v_add_f32_e32 v82, v82, v91
	v_exp_f32_e32 v85, v85
	v_fma_f32 v86, s19, v126, -v81
	v_mul_f32_e32 v84, 0x3fb8aa3b, v84
	v_cndmask_b32_e64 v97, 0, v97, s13
	v_add_f32_e32 v82, v82, v94
	s_delay_alu instid0(VALU_DEP_3) | instskip(SKIP_3) | instid1(VALU_DEP_2)
	v_exp_f32_e32 v84, v84
	s_waitcnt_depctr 0xfff
	v_cndmask_b32_e64 v93, 0, v85, s9
	v_fma_f32 v85, s19, v125, -v81
	v_add_f32_e32 v82, v82, v93
	v_exp_f32_e32 v95, v95
	s_delay_alu instid0(VALU_DEP_2)
	v_mul_f32_e32 v85, 0x3fb8aa3b, v85
	v_cndmask_b32_e64 v98, 0, v84, s12
	v_mul_f32_e32 v84, 0x3fb8aa3b, v99
	v_add_f32_e32 v82, v82, v96
	v_fma_f32 v99, s19, v128, -v81
	v_exp_f32_e32 v85, v85
	v_mul_f32_e32 v86, 0x3fb8aa3b, v86
	v_exp_f32_e32 v84, v84
	s_delay_alu instid0(TRANS32_DEP_3) | instskip(NEXT) | instid1(VALU_DEP_1)
	v_cndmask_b32_e64 v95, 0, v95, s11
	v_add_f32_e32 v82, v82, v95
	s_waitcnt_depctr 0xfff
	v_cndmask_b32_e64 v100, 0, v85, s15
	v_mul_f32_e32 v85, 0x3fb8aa3b, v99
	v_exp_f32_e32 v86, v86
	v_cndmask_b32_e64 v102, 0, v84, s17
	v_add_f32_e32 v82, v82, v98
	s_delay_alu instid0(VALU_DEP_3) | instskip(NEXT) | instid1(VALU_DEP_1)
	v_exp_f32_e32 v85, v85
	v_add_f32_e32 v82, v82, v97
	s_waitcnt_depctr 0xfff
	v_cndmask_b32_e64 v99, 0, v86, s16
	v_add_f32_e32 v82, v82, v100
	v_cndmask_b32_e64 v101, 0, v85, s18
	s_delay_alu instid0(VALU_DEP_2) | instskip(NEXT) | instid1(VALU_DEP_1)
	v_add_f32_e32 v82, v82, v99
	v_add_f32_e32 v82, v82, v102
	s_delay_alu instid0(VALU_DEP_1)
	v_add_f32_e32 v82, v82, v101
	ds_bpermute_b32 v83, v83, v82
	s_and_saveexec_b32 s4, s3
	s_cbranch_execz .LBB142_14
; %bb.13:
	v_mul_u32_u24_e32 v80, 0x44, v78
	s_waitcnt lgkmcnt(0)
	v_add_f32_e32 v82, v82, v83
	s_delay_alu instid0(VALU_DEP_2) | instskip(NEXT) | instid1(VALU_DEP_1)
	v_lshl_add_u32 v80, v77, 2, v80
	v_add_nc_u32_e32 v80, 0x4000, v80
	ds_store_2addr_b32 v80, v81, v82 offset1:136
.LBB142_14:
	s_or_b32 exec_lo, exec_lo, s4
	v_lshlrev_b32_e32 v80, 2, v77
	s_load_b32 s36, s[0:1], 0x94
	s_waitcnt lgkmcnt(0)
	s_barrier
	buffer_gl0_inv
	v_add_nc_u32_e32 v84, 0x4000, v80
	v_cmp_eq_u32_e32 vcc_lo, 1, v78
	v_cmp_eq_u32_e64 s4, 2, v78
	v_cmp_eq_u32_e64 s5, 3, v78
	;; [unrolled: 1-line block ×3, first 2 shown]
	ds_load_2addr_b32 v[80:81], v84 offset1:17
	ds_load_2addr_b32 v[82:83], v84 offset0:34 offset1:51
	ds_load_2addr_b32 v[103:104], v84 offset0:68 offset1:85
	;; [unrolled: 1-line block ×3, first 2 shown]
	v_cmp_eq_u32_e64 s7, 7, v78
	s_waitcnt lgkmcnt(3)
	v_max3_f32 v85, v80, 0xff7fffff, v81
	s_waitcnt lgkmcnt(2)
	s_delay_alu instid0(VALU_DEP_1) | instskip(SKIP_1) | instid1(VALU_DEP_1)
	v_max3_f32 v85, v85, v82, v83
	s_waitcnt lgkmcnt(1)
	v_max3_f32 v85, v85, v103, v104
	s_waitcnt lgkmcnt(0)
	s_delay_alu instid0(VALU_DEP_1) | instskip(NEXT) | instid1(VALU_DEP_1)
	v_max3_f32 v85, v85, v105, v106
	v_sub_f32_e32 v103, v103, v85
	ds_load_2addr_b32 v[107:108], v84 offset0:136 offset1:153
	v_sub_f32_e32 v80, v80, v85
	v_dual_sub_f32 v110, v83, v85 :: v_dual_mul_f32 v113, 0x3fb8aa3b, v103
	s_delay_alu instid0(VALU_DEP_2) | instskip(SKIP_3) | instid1(VALU_DEP_1)
	v_dual_sub_f32 v86, v81, v85 :: v_dual_mul_f32 v109, 0x3fb8aa3b, v80
	ds_load_2addr_b32 v[80:81], v84 offset0:170 offset1:187
	v_mul_f32_e32 v86, 0x3fb8aa3b, v86
	v_exp_f32_e32 v109, v109
	v_exp_f32_e32 v112, v86
	v_mul_f32_e32 v110, 0x3fb8aa3b, v110
	s_waitcnt lgkmcnt(1)
	s_waitcnt_depctr 0xfff
	v_fma_f32 v86, v109, v107, 0
	v_sub_f32_e32 v107, v104, v85
	v_sub_f32_e32 v82, v82, v85
	v_exp_f32_e32 v110, v110
	ds_load_2addr_b32 v[103:104], v84 offset0:238 offset1:255
	v_dual_fmac_f32 v86, v112, v108 :: v_dual_mul_f32 v111, 0x3fb8aa3b, v82
	ds_load_2addr_b32 v[82:83], v84 offset0:204 offset1:221
	v_dual_sub_f32 v84, v105, v85 :: v_dual_mul_f32 v105, 0x3fb8aa3b, v107
	v_exp_f32_e32 v107, v113
	v_exp_f32_e32 v111, v111
	s_waitcnt lgkmcnt(0)
	s_delay_alu instid0(VALU_DEP_1)
	v_mul_f32_e32 v84, 0x3fb8aa3b, v84
	v_exp_f32_e32 v105, v105
	s_barrier
	buffer_gl0_inv
	v_fmac_f32_e32 v86, v111, v80
	v_sub_f32_e32 v80, v106, v85
	v_exp_f32_e32 v106, v84
	s_delay_alu instid0(VALU_DEP_2) | instskip(NEXT) | instid1(VALU_DEP_2)
	v_fmac_f32_e32 v86, v110, v81
	v_mul_f32_e32 v80, 0x3fb8aa3b, v80
	s_delay_alu instid0(VALU_DEP_2) | instskip(NEXT) | instid1(VALU_DEP_2)
	v_dual_cndmask_b32 v81, v109, v112 :: v_dual_fmac_f32 v86, v107, v82
	v_exp_f32_e32 v108, v80
	s_delay_alu instid0(VALU_DEP_1) | instskip(SKIP_2) | instid1(VALU_DEP_1)
	v_fmac_f32_e32 v86, v105, v83
	s_waitcnt_depctr 0xfff
	v_fmac_f32_e32 v86, v106, v103
	v_fmac_f32_e32 v86, v108, v104
	s_delay_alu instid0(VALU_DEP_1) | instskip(NEXT) | instid1(VALU_DEP_1)
	v_add_f32_e32 v103, 0x358637bd, v86
	v_div_scale_f32 v104, null, v103, v103, 1.0
	v_div_scale_f32 v109, vcc_lo, 1.0, v103, 1.0
	s_delay_alu instid0(VALU_DEP_2) | instskip(SKIP_2) | instid1(VALU_DEP_1)
	v_rcp_f32_e32 v113, v104
	s_waitcnt_depctr 0xfff
	v_fma_f32 v80, -v104, v113, 1.0
	v_fmac_f32_e32 v113, v80, v113
	v_cndmask_b32_e64 v80, v81, v111, s4
	v_cmp_eq_u32_e64 s4, 4, v78
	v_lshl_or_b32 v81, v78, 11, v79
	s_delay_alu instid0(VALU_DEP_4) | instskip(NEXT) | instid1(VALU_DEP_4)
	v_mul_f32_e32 v111, v109, v113
	v_cndmask_b32_e64 v82, v80, v110, s5
	v_cmp_eq_u32_e64 s5, 6, v78
	s_delay_alu instid0(VALU_DEP_4) | instskip(SKIP_3) | instid1(VALU_DEP_3)
	v_lshl_or_b32 v78, v75, 4, v81
	v_lshlrev_b32_e32 v80, 2, v75
	v_fma_f32 v83, -v104, v111, v109
	v_cndmask_b32_e64 v84, v82, v107, s4
	v_or_b32_e32 v82, 1, v80
	s_delay_alu instid0(VALU_DEP_3) | instskip(NEXT) | instid1(VALU_DEP_3)
	v_fmac_f32_e32 v111, v83, v113
	v_cndmask_b32_e64 v105, v84, v105, s6
	v_or_b32_e32 v84, 2, v80
	v_or_b32_e32 v83, 3, v80
	v_cmp_eq_u32_e64 s4, 1, v80
	v_fma_f32 v104, -v104, v111, v109
	v_cndmask_b32_e64 v105, v105, v106, s5
	v_cmp_eq_u32_e64 s10, 1, v82
	v_cmp_eq_u32_e64 s11, 1, v84
	;; [unrolled: 1-line block ×3, first 2 shown]
	v_div_fmas_f32 v104, v104, v113, v111
	v_cndmask_b32_e64 v105, v105, v108, s7
	v_cmp_eq_u32_e32 vcc_lo, 2, v80
	v_cmp_eq_u32_e64 s13, 2, v82
	v_cmp_eq_u32_e64 s16, 2, v84
	v_div_fixup_f32 v103, v104, v103, 1.0
	v_cmp_eq_u32_e64 s17, 2, v83
	v_cmp_eq_u32_e64 s19, 3, v83
	v_cmp_eq_u32_e64 s5, 3, v80
	v_cmp_eq_u32_e64 s15, 3, v82
	v_mul_f32_e32 v111, v105, v103
	v_cmp_eq_u32_e64 s18, 3, v84
	v_cmp_eq_u32_e64 s23, 4, v83
	v_cmp_eq_u32_e64 s6, 4, v80
	v_cmp_eq_u32_e64 s20, 4, v82
	v_fma_mixlo_f16 v103, v111, v88, 0
	v_fma_mixlo_f16 v104, v111, v90, 0
	;; [unrolled: 1-line block ×8, first 2 shown]
	v_fma_mixhi_f16 v103, v111, v87, 0
	v_fma_mixhi_f16 v104, v111, v89, 0
	v_fma_mixhi_f16 v105, v111, v91, 0
	v_fma_mixhi_f16 v106, v111, v93, 0
	v_fma_mixhi_f16 v107, v111, v95, 0
	v_fma_mixhi_f16 v108, v111, v97, 0
	v_fma_mixhi_f16 v109, v111, v99, 0
	v_fma_mixhi_f16 v110, v111, v101, 0
	ds_store_b128 v78, v[103:106]
	ds_store_b128 v78, v[107:110] offset:1024
	s_waitcnt lgkmcnt(0)
	s_barrier
	buffer_gl0_inv
	ds_load_b128 v[87:90], v81
	ds_load_b128 v[91:94], v81 offset:16
	ds_load_b128 v[95:98], v81 offset:1024
	;; [unrolled: 1-line block ×3, first 2 shown]
	v_cmp_eq_u32_e64 s22, 4, v84
	v_cmp_eq_u32_e64 s25, 5, v83
	v_cmp_eq_u32_e64 s7, 5, v80
	v_cmp_eq_u32_e64 s21, 5, v82
	v_cmp_eq_u32_e64 s24, 5, v84
	v_cmp_eq_u32_e64 s28, 6, v83
	v_cmp_eq_u32_e64 s8, 6, v80
	v_cmp_eq_u32_e64 s26, 6, v82
	v_cmp_eq_u32_e64 s27, 6, v84
	v_cmp_eq_u32_e64 s30, 7, v83
	v_cmp_eq_u32_e64 s9, 7, v80
	v_cmp_eq_u32_e64 s29, 7, v84
	v_cmp_eq_u32_e64 s31, 7, v82
	s_waitcnt lgkmcnt(3)
	v_lshrrev_b32_e32 v103, 16, v87
	s_waitcnt lgkmcnt(2)
	v_lshrrev_b32_e32 v107, 16, v91
	;; [unrolled: 2-line block ×4, first 2 shown]
	v_lshrrev_b32_e32 v104, 16, v88
	v_cndmask_b32_e64 v119, v87, v103, s4
	v_cndmask_b32_e64 v120, v91, v107, s4
	v_cndmask_b32_e64 v121, v87, v103, s10
	v_cndmask_b32_e64 v122, v91, v107, s10
	v_cndmask_b32_e64 v123, v87, v103, s11
	v_cndmask_b32_e64 v124, v91, v107, s11
	v_cndmask_b32_e64 v87, v87, v103, s12
	v_cndmask_b32_e64 v91, v91, v107, s12
	v_lshrrev_b32_e32 v108, 16, v92
	v_cndmask_b32_e64 v103, v95, v111, s4
	v_cndmask_b32_e64 v107, v99, v115, s4
	;; [unrolled: 1-line block ×5, first 2 shown]
	v_cndmask_b32_e32 v111, v119, v88, vcc_lo
	v_cndmask_b32_e64 v119, v121, v88, s13
	v_cndmask_b32_e64 v121, v123, v88, s16
	;; [unrolled: 1-line block ×4, first 2 shown]
	v_lshrrev_b32_e32 v112, 16, v96
	v_lshrrev_b32_e32 v116, 16, v100
	v_cndmask_b32_e64 v126, v99, v115, s10
	v_cndmask_b32_e64 v128, v99, v115, s11
	;; [unrolled: 1-line block ×3, first 2 shown]
	v_cndmask_b32_e32 v115, v120, v92, vcc_lo
	v_cndmask_b32_e64 v120, v122, v92, s13
	v_cndmask_b32_e64 v122, v124, v92, s16
	v_cndmask_b32_e32 v91, v103, v96, vcc_lo
	v_cndmask_b32_e32 v92, v107, v100, vcc_lo
	v_cndmask_b32_e64 v103, v125, v96, s13
	v_cndmask_b32_e64 v87, v87, v104, s19
	;; [unrolled: 1-line block ×3, first 2 shown]
	v_lshrrev_b32_e32 v105, 16, v89
	v_lshrrev_b32_e32 v109, 16, v93
	v_cndmask_b32_e64 v107, v127, v96, s16
	v_cndmask_b32_e64 v95, v95, v96, s17
	;; [unrolled: 1-line block ×14, first 2 shown]
	v_lshrrev_b32_e32 v113, 16, v97
	v_cndmask_b32_e64 v99, v99, v89, s6
	v_cndmask_b32_e64 v104, v111, v93, s6
	;; [unrolled: 1-line block ×11, first 2 shown]
	v_lshrrev_b32_e32 v106, 16, v90
	v_lshrrev_b32_e32 v110, 16, v94
	v_cndmask_b32_e64 v93, v99, v105, s7
	v_cndmask_b32_e64 v99, v104, v109, s7
	;; [unrolled: 1-line block ×9, first 2 shown]
	v_lshrrev_b32_e32 v114, 16, v98
	v_cndmask_b32_e64 v89, v89, v113, s7
	v_cndmask_b32_e64 v93, v93, v90, s8
	;; [unrolled: 1-line block ×19, first 2 shown]
	v_perm_b32 v90, v88, v87, 0x5040100
	v_cndmask_b32_e64 v87, v126, v100, s13
	v_cndmask_b32_e64 v105, v89, v114, s9
	v_perm_b32 v89, v103, v99, 0x5040100
	v_perm_b32 v88, v104, v94, 0x5040100
	v_cndmask_b32_e64 v94, v107, v112, s18
	v_cndmask_b32_e64 v95, v95, v112, s19
	;; [unrolled: 1-line block ×5, first 2 shown]
	v_lshrrev_b32_e32 v117, 16, v101
	v_cndmask_b32_e64 v94, v94, v97, s22
	v_cndmask_b32_e64 v95, v95, v97, s23
	;; [unrolled: 1-line block ×11, first 2 shown]
	v_lshrrev_b32_e32 v118, 16, v102
	v_cndmask_b32_e64 v91, v91, v102, s8
	v_cndmask_b32_e64 v94, v94, v98, s27
	;; [unrolled: 1-line block ×12, first 2 shown]
	v_perm_b32 v87, v93, v92, 0x5040100
	v_perm_b32 v94, v95, v94, 0x5040100
	;; [unrolled: 1-line block ×5, first 2 shown]
	s_mul_i32 s8, s35, 9
	s_mov_b32 s4, exec_lo
	ds_store_b128 v78, v[87:90]
	ds_store_b128 v78, v[91:94] offset:1024
	v_cmpx_gt_u32_e32 9, v0
	s_cbranch_execz .LBB142_16
; %bb.15:
	s_mul_i32 s5, s8, s34
	s_load_b128 s[16:19], s[0:1], 0x58
	v_add3_u32 v77, s5, s33, v77
	s_delay_alu instid0(VALU_DEP_1) | instskip(NEXT) | instid1(VALU_DEP_1)
	v_mad_u64_u32 v[87:88], null, v77, s36, s[14:15]
	v_ashrrev_i32_e32 v88, 31, v87
	s_delay_alu instid0(VALU_DEP_1) | instskip(SKIP_1) | instid1(VALU_DEP_1)
	v_lshlrev_b64 v[87:88], 2, v[87:88]
	s_waitcnt lgkmcnt(0)
	v_add_co_u32 v89, vcc_lo, s18, v87
	s_delay_alu instid0(VALU_DEP_2)
	v_add_co_ci_u32_e32 v90, vcc_lo, s19, v88, vcc_lo
	v_add_co_u32 v87, vcc_lo, s16, v87
	v_add_co_ci_u32_e32 v88, vcc_lo, s17, v88, vcc_lo
	global_store_b32 v[89:90], v85, off
	global_store_b32 v[87:88], v86, off
.LBB142_16:
	s_or_b32 exec_lo, exec_lo, s4
	s_waitcnt lgkmcnt(0)
	s_waitcnt_vscnt null, 0x0
	s_barrier
	buffer_gl0_inv
	ds_load_b128 v[93:96], v79
	ds_load_b128 v[97:100], v79 offset:16
	ds_load_b128 v[105:108], v79 offset:1040
	;; [unrolled: 1-line block ×5, first 2 shown]
	v_cmp_eq_u32_e32 vcc_lo, 1, v84
	v_mov_b32_e32 v85, 0
	ds_load_b128 v[121:124], v79 offset:3088
	ds_load_b128 v[117:120], v79 offset:3072
	;; [unrolled: 1-line block ×4, first 2 shown]
	v_cmp_eq_u32_e64 s4, 1, v80
	v_cmp_eq_u32_e64 s5, 1, v83
	;; [unrolled: 1-line block ×3, first 2 shown]
	v_mov_b32_e32 v86, v85
	v_mov_b32_e32 v87, v85
	;; [unrolled: 1-line block ×7, first 2 shown]
	v_cmp_eq_u32_e64 s7, 2, v80
	s_waitcnt lgkmcnt(8)
	s_delay_alu instid0(VALU_DEP_2)
	v_wmma_f32_16x16x16_f16 v[85:92], v[65:72], v[93:100], v[85:92]
	ds_load_b128 v[69:72], v79 offset:5136
	ds_load_b128 v[65:68], v79 offset:5120
	;; [unrolled: 1-line block ×4, first 2 shown]
	s_waitcnt lgkmcnt(10)
	v_wmma_f32_16x16x16_f16 v[85:92], v[57:64], v[101:108], v[85:92]
	s_waitcnt lgkmcnt(8)
	s_delay_alu instid0(VALU_DEP_1)
	v_wmma_f32_16x16x16_f16 v[85:92], v[57:64], v[109:116], v[85:92]
	ds_load_b128 v[61:64], v79 offset:7184
	ds_load_b128 v[57:60], v79 offset:7168
	;; [unrolled: 1-line block ×4, first 2 shown]
	s_waitcnt lgkmcnt(10)
	v_wmma_f32_16x16x16_f16 v[85:92], v[49:56], v[117:124], v[85:92]
	s_waitcnt lgkmcnt(8)
	s_delay_alu instid0(VALU_DEP_1)
	v_wmma_f32_16x16x16_f16 v[85:92], v[49:56], v[125:132], v[85:92]
	ds_load_b128 v[53:56], v79 offset:9232
	ds_load_b128 v[49:52], v79 offset:9216
	s_waitcnt lgkmcnt(8)
	v_wmma_f32_16x16x16_f16 v[85:92], v[41:48], v[65:72], v[85:92]
	ds_load_b128 v[69:72], v79 offset:10256
	ds_load_b128 v[65:68], v79 offset:10240
	s_waitcnt lgkmcnt(8)
	;; [unrolled: 4-line block ×7, first 2 shown]
	s_barrier
	buffer_gl0_inv
	v_wmma_f32_16x16x16_f16 v[85:92], v[33:40], v[41:48], v[85:92]
	s_delay_alu instid0(VALU_DEP_1) | instskip(NEXT) | instid1(VALU_DEP_1)
	v_wmma_f32_16x16x16_f16 v[85:92], v[33:40], v[57:64], v[85:92]
	v_wmma_f32_16x16x16_f16 v[85:92], v[25:32], v[9:16], v[85:92]
	s_delay_alu instid0(VALU_DEP_1) | instskip(NEXT) | instid1(VALU_DEP_1)
	v_wmma_f32_16x16x16_f16 v[85:92], v[25:32], v[49:56], v[85:92]
	v_wmma_f32_16x16x16_f16 v[85:92], v[17:24], v[1:8], v[85:92]
	s_delay_alu instid0(VALU_DEP_1) | instskip(NEXT) | instid1(VALU_DEP_2)
	v_cvt_f16_f32_e32 v1, v85
	v_cvt_f16_f32_e32 v2, v86
	s_delay_alu instid0(VALU_DEP_3) | instskip(NEXT) | instid1(VALU_DEP_4)
	v_cvt_f16_f32_e32 v3, v87
	v_cvt_f16_f32_e32 v4, v88
	;; [unrolled: 1-line block ×6, first 2 shown]
	v_pack_b32_f16 v1, v1, v2
	v_pack_b32_f16 v2, v3, v4
	;; [unrolled: 1-line block ×3, first 2 shown]
	s_delay_alu instid0(VALU_DEP_4)
	v_pack_b32_f16 v4, v7, v8
	ds_store_b128 v78, v[1:4]
	s_waitcnt lgkmcnt(0)
	s_barrier
	buffer_gl0_inv
	ds_load_b128 v[1:4], v81
	ds_load_b128 v[5:8], v81 offset:16
	s_waitcnt lgkmcnt(1)
	v_lshrrev_b32_e32 v9, 16, v1
	s_waitcnt lgkmcnt(0)
	v_lshrrev_b32_e32 v13, 16, v5
	v_lshrrev_b32_e32 v15, 16, v7
	;; [unrolled: 1-line block ×4, first 2 shown]
	v_cndmask_b32_e64 v17, v1, v9, s4
	v_cndmask_b32_e64 v18, v5, v13, s4
	v_cndmask_b32_e64 v19, v1, v9, s6
	v_cmp_eq_u32_e64 s4, 2, v82
	v_cndmask_b32_e64 v20, v5, v13, s6
	v_cndmask_b32_e32 v21, v1, v9, vcc_lo
	v_cndmask_b32_e32 v22, v5, v13, vcc_lo
	v_cndmask_b32_e64 v1, v1, v9, s5
	v_cndmask_b32_e64 v5, v5, v13, s5
	v_cmp_eq_u32_e32 vcc_lo, 2, v84
	v_cmp_eq_u32_e64 s5, 2, v83
	v_cndmask_b32_e64 v9, v17, v2, s7
	v_cndmask_b32_e64 v13, v18, v6, s7
	;; [unrolled: 1-line block ×4, first 2 shown]
	v_cndmask_b32_e32 v19, v21, v2, vcc_lo
	v_cmp_eq_u32_e64 s4, 3, v84
	v_cndmask_b32_e32 v20, v22, v6, vcc_lo
	v_cndmask_b32_e64 v1, v1, v2, s5
	v_cmp_eq_u32_e32 vcc_lo, 3, v83
	v_cmp_eq_u32_e64 s6, 3, v80
	v_cndmask_b32_e64 v2, v5, v6, s5
	v_cmp_eq_u32_e64 s5, 3, v82
	v_lshrrev_b32_e32 v16, 16, v8
	v_cmp_eq_u32_e64 s7, 4, v80
	v_cndmask_b32_e64 v5, v9, v10, s6
	v_cndmask_b32_e64 v6, v13, v14, s6
	;; [unrolled: 1-line block ×3, first 2 shown]
	v_cmp_eq_u32_e64 s6, 4, v82
	v_cndmask_b32_e64 v13, v18, v14, s5
	v_cndmask_b32_e64 v17, v19, v10, s4
	v_cndmask_b32_e64 v18, v20, v14, s4
	v_cndmask_b32_e32 v1, v1, v10, vcc_lo
	v_cndmask_b32_e32 v2, v2, v14, vcc_lo
	v_cmp_eq_u32_e32 vcc_lo, 4, v84
	v_cmp_eq_u32_e64 s5, 4, v83
	v_lshrrev_b32_e32 v11, 16, v3
	v_cndmask_b32_e64 v5, v5, v3, s7
	v_cndmask_b32_e64 v6, v6, v7, s7
	;; [unrolled: 1-line block ×4, first 2 shown]
	v_cndmask_b32_e32 v13, v17, v3, vcc_lo
	v_cmp_eq_u32_e64 s4, 5, v84
	v_cndmask_b32_e32 v14, v18, v7, vcc_lo
	v_cndmask_b32_e64 v1, v1, v3, s5
	v_cmp_eq_u32_e32 vcc_lo, 5, v83
	v_cmp_eq_u32_e64 s6, 5, v80
	v_cndmask_b32_e64 v2, v2, v7, s5
	v_cmp_eq_u32_e64 s5, 5, v82
	v_cmp_eq_u32_e64 s7, 6, v80
	v_cndmask_b32_e32 v1, v1, v11, vcc_lo
	v_cndmask_b32_e64 v3, v5, v11, s6
	v_cndmask_b32_e64 v5, v6, v15, s6
	;; [unrolled: 1-line block ×3, first 2 shown]
	v_cmp_eq_u32_e64 s6, 6, v82
	v_cndmask_b32_e64 v7, v10, v15, s5
	v_cndmask_b32_e64 v9, v13, v11, s4
	;; [unrolled: 1-line block ×3, first 2 shown]
	v_cndmask_b32_e32 v2, v2, v15, vcc_lo
	v_cmp_eq_u32_e32 vcc_lo, 6, v84
	v_cmp_eq_u32_e64 s4, 6, v83
	v_lshrrev_b32_e32 v12, 16, v4
	v_cndmask_b32_e64 v3, v3, v4, s7
	v_cndmask_b32_e64 v5, v5, v8, s7
	;; [unrolled: 1-line block ×4, first 2 shown]
	v_cndmask_b32_e32 v9, v9, v4, vcc_lo
	v_cmp_eq_u32_e64 s5, 7, v84
	v_cndmask_b32_e32 v10, v10, v8, vcc_lo
	v_cndmask_b32_e64 v1, v1, v4, s4
	v_cmp_eq_u32_e32 vcc_lo, 7, v83
	v_cndmask_b32_e64 v2, v2, v8, s4
	v_cmp_eq_u32_e64 s4, 7, v80
	v_cmp_eq_u32_e64 s6, 7, v82
	v_cndmask_b32_e32 v1, v1, v12, vcc_lo
	s_delay_alu instid0(VALU_DEP_4) | instskip(NEXT) | instid1(VALU_DEP_4)
	v_cndmask_b32_e32 v2, v2, v16, vcc_lo
	v_cndmask_b32_e64 v8, v3, v12, s4
	s_delay_alu instid0(VALU_DEP_4)
	v_cndmask_b32_e64 v6, v6, v12, s6
	v_cndmask_b32_e64 v3, v9, v12, s5
	;; [unrolled: 1-line block ×5, first 2 shown]
	v_cmp_gt_u32_e32 vcc_lo, 32, v0
	v_perm_b32 v4, v2, v1, 0x5040100
	v_perm_b32 v3, v9, v3, 0x5040100
	;; [unrolled: 1-line block ×4, first 2 shown]
	s_and_b32 s2, vcc_lo, s2
	ds_store_b128 v78, v[1:4]
	s_waitcnt lgkmcnt(0)
	s_barrier
	buffer_gl0_inv
	s_and_saveexec_b32 s4, s2
	s_cbranch_execz .LBB142_2
; %bb.17:
	s_load_b64 s[4:5], s[0:1], 0x68
	v_lshlrev_b32_e32 v0, 10, v0
	v_lshlrev_b32_e32 v1, 4, v76
	s_lshl_b32 s0, s36, 6
	v_add_nc_u32_e32 v2, s33, v75
	s_mul_i32 s1, s0, s34
	s_delay_alu instid0(SALU_CYCLE_1) | instskip(SKIP_1) | instid1(VALU_DEP_2)
	s_mul_i32 s6, s1, s8
	v_and_or_b32 v0, 0x3800, v0, v1
	v_mul_lo_u32 v1, v2, s0
	s_ashr_i32 s7, s6, 31
	v_add_nc_u32_e32 v3, 2, v2
	s_lshl_b64 s[6:7], s[6:7], 1
	v_add_nc_u32_e32 v4, 4, v2
	v_add_nc_u32_e32 v5, 6, v2
	v_lshl_or_b32 v15, v75, 6, v0
	v_mul_lo_u32 v3, v3, s0
	v_ashrrev_i32_e32 v2, 31, v1
	v_mul_lo_u32 v19, v4, s0
	v_mul_lo_u32 v21, v5, s0
	s_waitcnt lgkmcnt(0)
	s_add_u32 s1, s4, s6
	s_addc_u32 s2, s5, s7
	s_lshl_b32 s4, s14, 6
	v_lshlrev_b64 v[5:6], 1, v[1:2]
	s_ashr_i32 s5, s4, 31
	v_ashrrev_i32_e32 v4, 31, v3
	s_lshl_b64 s[4:5], s[4:5], 1
	v_ashrrev_i32_e32 v20, 31, v19
	s_add_u32 s1, s1, s4
	s_addc_u32 s2, s2, s5
	v_add_co_u32 v1, vcc_lo, s1, v73
	v_add_co_ci_u32_e32 v2, vcc_lo, s2, v74, vcc_lo
	v_lshlrev_b64 v[25:26], 1, v[3:4]
	s_delay_alu instid0(VALU_DEP_3) | instskip(NEXT) | instid1(VALU_DEP_3)
	v_add_co_u32 v23, vcc_lo, v1, v5
	v_add_co_ci_u32_e32 v24, vcc_lo, v2, v6, vcc_lo
	ds_load_b128 v[3:6], v15
	ds_load_b128 v[7:10], v15 offset:128
	ds_load_b128 v[11:14], v15 offset:256
	;; [unrolled: 1-line block ×3, first 2 shown]
	v_ashrrev_i32_e32 v22, 31, v21
	v_lshlrev_b64 v[19:20], 1, v[19:20]
	v_add_co_u32 v25, vcc_lo, v1, v25
	v_add_co_ci_u32_e32 v26, vcc_lo, v2, v26, vcc_lo
	s_delay_alu instid0(VALU_DEP_4) | instskip(NEXT) | instid1(VALU_DEP_4)
	v_lshlrev_b64 v[21:22], 1, v[21:22]
	v_add_co_u32 v19, vcc_lo, v1, v19
	v_add_co_ci_u32_e32 v20, vcc_lo, v2, v20, vcc_lo
	s_delay_alu instid0(VALU_DEP_3) | instskip(NEXT) | instid1(VALU_DEP_4)
	v_add_co_u32 v21, vcc_lo, v1, v21
	v_add_co_ci_u32_e32 v22, vcc_lo, v2, v22, vcc_lo
	s_waitcnt lgkmcnt(3)
	global_store_b128 v[23:24], v[3:6], off
	s_waitcnt lgkmcnt(2)
	global_store_b128 v[25:26], v[7:10], off
	s_waitcnt lgkmcnt(1)
	global_store_b128 v[19:20], v[11:14], off
	s_waitcnt lgkmcnt(0)
	global_store_b128 v[21:22], v[15:18], off
	s_and_b32 exec_lo, exec_lo, s3
	s_cbranch_execz .LBB142_2
; %bb.18:
	ds_load_b128 v[3:6], v0 offset:512
	s_add_i32 s1, s33, 8
	s_delay_alu instid0(SALU_CYCLE_1) | instskip(NEXT) | instid1(SALU_CYCLE_1)
	s_mul_i32 s0, s1, s0
	s_ashr_i32 s1, s0, 31
	s_delay_alu instid0(SALU_CYCLE_1) | instskip(NEXT) | instid1(SALU_CYCLE_1)
	s_lshl_b64 s[0:1], s[0:1], 1
	v_add_co_u32 v0, vcc_lo, v1, s0
	v_add_co_ci_u32_e32 v1, vcc_lo, s1, v2, vcc_lo
	s_waitcnt lgkmcnt(0)
	global_store_b128 v[0:1], v[3:6], off
	s_nop 0
	s_sendmsg sendmsg(MSG_DEALLOC_VGPRS)
	s_endpgm
	.section	.rodata,"a",@progbits
	.p2align	6, 0x0
	.amdhsa_kernel _Z39paged_attention_ll4mi_QKV_mfma16_kernelIDF16_DF16_LN4vllm18Fp8KVCacheDataTypeE0EhLi32ELi64ELi256ELb0ELi9EL8MFMAType0EEvPKT_PKT0_S8_ifPKiSA_SA_iPKfiiiPfSD_PS3_PT2_iSC_SC_
		.amdhsa_group_segment_fixed_size 17472
		.amdhsa_private_segment_fixed_size 0
		.amdhsa_kernarg_size 400
		.amdhsa_user_sgpr_count 13
		.amdhsa_user_sgpr_dispatch_ptr 0
		.amdhsa_user_sgpr_queue_ptr 0
		.amdhsa_user_sgpr_kernarg_segment_ptr 1
		.amdhsa_user_sgpr_dispatch_id 0
		.amdhsa_user_sgpr_private_segment_size 0
		.amdhsa_wavefront_size32 1
		.amdhsa_uses_dynamic_stack 0
		.amdhsa_enable_private_segment 0
		.amdhsa_system_sgpr_workgroup_id_x 1
		.amdhsa_system_sgpr_workgroup_id_y 1
		.amdhsa_system_sgpr_workgroup_id_z 1
		.amdhsa_system_sgpr_workgroup_info 0
		.amdhsa_system_vgpr_workitem_id 0
		.amdhsa_next_free_vgpr 154
		.amdhsa_next_free_sgpr 39
		.amdhsa_reserve_vcc 1
		.amdhsa_float_round_mode_32 0
		.amdhsa_float_round_mode_16_64 0
		.amdhsa_float_denorm_mode_32 3
		.amdhsa_float_denorm_mode_16_64 3
		.amdhsa_dx10_clamp 1
		.amdhsa_ieee_mode 1
		.amdhsa_fp16_overflow 0
		.amdhsa_workgroup_processor_mode 1
		.amdhsa_memory_ordered 1
		.amdhsa_forward_progress 0
		.amdhsa_shared_vgpr_count 0
		.amdhsa_exception_fp_ieee_invalid_op 0
		.amdhsa_exception_fp_denorm_src 0
		.amdhsa_exception_fp_ieee_div_zero 0
		.amdhsa_exception_fp_ieee_overflow 0
		.amdhsa_exception_fp_ieee_underflow 0
		.amdhsa_exception_fp_ieee_inexact 0
		.amdhsa_exception_int_div_zero 0
	.end_amdhsa_kernel
	.section	.text._Z39paged_attention_ll4mi_QKV_mfma16_kernelIDF16_DF16_LN4vllm18Fp8KVCacheDataTypeE0EhLi32ELi64ELi256ELb0ELi9EL8MFMAType0EEvPKT_PKT0_S8_ifPKiSA_SA_iPKfiiiPfSD_PS3_PT2_iSC_SC_,"axG",@progbits,_Z39paged_attention_ll4mi_QKV_mfma16_kernelIDF16_DF16_LN4vllm18Fp8KVCacheDataTypeE0EhLi32ELi64ELi256ELb0ELi9EL8MFMAType0EEvPKT_PKT0_S8_ifPKiSA_SA_iPKfiiiPfSD_PS3_PT2_iSC_SC_,comdat
.Lfunc_end142:
	.size	_Z39paged_attention_ll4mi_QKV_mfma16_kernelIDF16_DF16_LN4vllm18Fp8KVCacheDataTypeE0EhLi32ELi64ELi256ELb0ELi9EL8MFMAType0EEvPKT_PKT0_S8_ifPKiSA_SA_iPKfiiiPfSD_PS3_PT2_iSC_SC_, .Lfunc_end142-_Z39paged_attention_ll4mi_QKV_mfma16_kernelIDF16_DF16_LN4vllm18Fp8KVCacheDataTypeE0EhLi32ELi64ELi256ELb0ELi9EL8MFMAType0EEvPKT_PKT0_S8_ifPKiSA_SA_iPKfiiiPfSD_PS3_PT2_iSC_SC_
                                        ; -- End function
	.section	.AMDGPU.csdata,"",@progbits
; Kernel info:
; codeLenInByte = 7316
; NumSgprs: 41
; NumVgprs: 154
; ScratchSize: 0
; MemoryBound: 0
; FloatMode: 240
; IeeeMode: 1
; LDSByteSize: 17472 bytes/workgroup (compile time only)
; SGPRBlocks: 5
; VGPRBlocks: 19
; NumSGPRsForWavesPerEU: 41
; NumVGPRsForWavesPerEU: 154
; Occupancy: 9
; WaveLimiterHint : 1
; COMPUTE_PGM_RSRC2:SCRATCH_EN: 0
; COMPUTE_PGM_RSRC2:USER_SGPR: 13
; COMPUTE_PGM_RSRC2:TRAP_HANDLER: 0
; COMPUTE_PGM_RSRC2:TGID_X_EN: 1
; COMPUTE_PGM_RSRC2:TGID_Y_EN: 1
; COMPUTE_PGM_RSRC2:TGID_Z_EN: 1
; COMPUTE_PGM_RSRC2:TIDIG_COMP_CNT: 0
	.section	.text._Z39paged_attention_ll4mi_QKV_mfma16_kernelIDF16_DF16_LN4vllm18Fp8KVCacheDataTypeE0EhLi32ELi64ELi256ELb0ELi10EL8MFMAType0EEvPKT_PKT0_S8_ifPKiSA_SA_iPKfiiiPfSD_PS3_PT2_iSC_SC_,"axG",@progbits,_Z39paged_attention_ll4mi_QKV_mfma16_kernelIDF16_DF16_LN4vllm18Fp8KVCacheDataTypeE0EhLi32ELi64ELi256ELb0ELi10EL8MFMAType0EEvPKT_PKT0_S8_ifPKiSA_SA_iPKfiiiPfSD_PS3_PT2_iSC_SC_,comdat
	.protected	_Z39paged_attention_ll4mi_QKV_mfma16_kernelIDF16_DF16_LN4vllm18Fp8KVCacheDataTypeE0EhLi32ELi64ELi256ELb0ELi10EL8MFMAType0EEvPKT_PKT0_S8_ifPKiSA_SA_iPKfiiiPfSD_PS3_PT2_iSC_SC_ ; -- Begin function _Z39paged_attention_ll4mi_QKV_mfma16_kernelIDF16_DF16_LN4vllm18Fp8KVCacheDataTypeE0EhLi32ELi64ELi256ELb0ELi10EL8MFMAType0EEvPKT_PKT0_S8_ifPKiSA_SA_iPKfiiiPfSD_PS3_PT2_iSC_SC_
	.globl	_Z39paged_attention_ll4mi_QKV_mfma16_kernelIDF16_DF16_LN4vllm18Fp8KVCacheDataTypeE0EhLi32ELi64ELi256ELb0ELi10EL8MFMAType0EEvPKT_PKT0_S8_ifPKiSA_SA_iPKfiiiPfSD_PS3_PT2_iSC_SC_
	.p2align	8
	.type	_Z39paged_attention_ll4mi_QKV_mfma16_kernelIDF16_DF16_LN4vllm18Fp8KVCacheDataTypeE0EhLi32ELi64ELi256ELb0ELi10EL8MFMAType0EEvPKT_PKT0_S8_ifPKiSA_SA_iPKfiiiPfSD_PS3_PT2_iSC_SC_,@function
_Z39paged_attention_ll4mi_QKV_mfma16_kernelIDF16_DF16_LN4vllm18Fp8KVCacheDataTypeE0EhLi32ELi64ELi256ELb0ELi10EL8MFMAType0EEvPKT_PKT0_S8_ifPKiSA_SA_iPKfiiiPfSD_PS3_PT2_iSC_SC_: ; @_Z39paged_attention_ll4mi_QKV_mfma16_kernelIDF16_DF16_LN4vllm18Fp8KVCacheDataTypeE0EhLi32ELi64ELi256ELb0ELi10EL8MFMAType0EEvPKT_PKT0_S8_ifPKiSA_SA_iPKfiiiPfSD_PS3_PT2_iSC_SC_
; %bb.0:
	s_load_b64 s[2:3], s[0:1], 0x30
	s_mov_b32 s34, s13
	s_waitcnt lgkmcnt(0)
	s_cmp_lg_u64 s[2:3], 0
	s_cselect_b32 s6, -1, 0
	s_ashr_i32 s35, s13, 31
	s_cmp_eq_u64 s[2:3], 0
	s_cbranch_scc1 .LBB143_3
; %bb.1:
	s_lshl_b64 s[4:5], s[34:35], 2
	s_delay_alu instid0(SALU_CYCLE_1) | instskip(SKIP_4) | instid1(SALU_CYCLE_1)
	s_add_u32 s4, s2, s4
	s_addc_u32 s5, s3, s5
	s_load_b64 s[4:5], s[4:5], 0x0
	s_waitcnt lgkmcnt(0)
	s_sub_i32 s4, s5, s4
	s_cmp_eq_u32 s4, 1
	s_cselect_b32 s4, -1, 0
	s_delay_alu instid0(SALU_CYCLE_1)
	s_and_not1_b32 vcc_lo, exec_lo, s4
	s_cbranch_vccz .LBB143_4
.LBB143_2:
	s_endpgm
.LBB143_3:
.LBB143_4:
	s_load_b64 s[8:9], s[0:1], 0x28
	s_lshl_b64 s[4:5], s[34:35], 2
	s_waitcnt lgkmcnt(0)
	s_add_u32 s8, s8, s4
	s_addc_u32 s9, s9, s5
	s_lshl_b32 s16, s14, 8
	s_load_b32 s18, s[8:9], 0x0
	s_waitcnt lgkmcnt(0)
	s_cmp_ge_i32 s16, s18
	s_cbranch_scc1 .LBB143_2
; %bb.5:
	s_and_not1_b32 vcc_lo, exec_lo, s6
	s_cbranch_vccnz .LBB143_7
; %bb.6:
	s_add_u32 s2, s2, s4
	s_addc_u32 s3, s3, s5
	s_load_b32 s17, s[2:3], 0x0
	s_branch .LBB143_8
.LBB143_7:
	s_mov_b32 s17, s34
.LBB143_8:
	s_clause 0x2
	s_load_b128 s[8:11], s[0:1], 0x8
	s_load_b64 s[12:13], s[0:1], 0x20
	s_load_b128 s[4:7], s[0:1], 0x48
	v_and_b32_e32 v77, 15, v0
	v_cmp_lt_u32_e32 vcc_lo, 0x9f, v0
	s_delay_alu instid0(VALU_DEP_2) | instskip(SKIP_2) | instid1(VALU_DEP_3)
	v_cmp_lt_u32_e64 s3, 7, v77
	v_lshlrev_b32_e32 v1, 3, v77
	v_cmp_gt_u32_e64 s2, 8, v77
	s_or_b32 s3, vcc_lo, s3
	s_waitcnt lgkmcnt(0)
	s_and_saveexec_b32 s7, s3
	s_delay_alu instid0(SALU_CYCLE_1)
	s_xor_b32 s3, exec_lo, s7
; %bb.9:
	v_mov_b32_e32 v2, 0
; %bb.10:
	s_or_saveexec_b32 s3, s3
	v_lshrrev_b32_e32 v79, 5, v0
	v_and_b32_e32 v80, 31, v0
	v_and_b32_e32 v76, 1, v0
	v_bfe_u32 v75, v0, 4, 1
	s_mul_i32 s31, s15, 10
	s_xor_b32 exec_lo, exec_lo, s3
	s_cbranch_execz .LBB143_12
; %bb.11:
	s_load_b64 s[20:21], s[0:1], 0x0
	v_lshl_or_b32 v7, v79, 1, v75
	s_mul_hi_i32 s23, s17, s4
	s_mul_i32 s22, s17, s4
	v_lshlrev_b32_e32 v4, 1, v1
	s_lshl_b64 s[22:23], s[22:23], 1
	v_add_lshl_u32 v2, v7, s31, 6
	v_lshlrev_b32_e32 v7, 6, v7
	v_lshlrev_b32_e32 v8, 10, v76
	s_delay_alu instid0(VALU_DEP_3) | instskip(NEXT) | instid1(VALU_DEP_1)
	v_ashrrev_i32_e32 v3, 31, v2
	v_lshlrev_b64 v[2:3], 1, v[2:3]
	s_waitcnt lgkmcnt(0)
	s_add_u32 s4, s20, s22
	s_addc_u32 s7, s21, s23
	s_delay_alu instid0(VALU_DEP_1) | instskip(NEXT) | instid1(VALU_DEP_2)
	v_add_co_u32 v2, vcc_lo, s4, v2
	v_add_co_ci_u32_e32 v3, vcc_lo, s7, v3, vcc_lo
	s_delay_alu instid0(VALU_DEP_2) | instskip(NEXT) | instid1(VALU_DEP_2)
	v_add_co_u32 v2, vcc_lo, v2, v4
	v_add_co_ci_u32_e32 v3, vcc_lo, 0, v3, vcc_lo
	global_load_b128 v[3:6], v[2:3], off
	v_lshlrev_b32_e32 v2, 10, v77
	s_delay_alu instid0(VALU_DEP_1) | instskip(NEXT) | instid1(VALU_DEP_1)
	v_and_b32_e32 v2, 0x3800, v2
	v_or3_b32 v7, v2, v8, v7
	v_mov_b32_e32 v2, 0
	s_waitcnt vmcnt(0)
	ds_store_b128 v7, v[3:6]
.LBB143_12:
	s_or_b32 exec_lo, exec_lo, s3
	v_and_b32_e32 v3, 0xef, v0
	s_add_i32 s3, s18, 31
	s_clause 0x1
	s_load_b32 s4, s[0:1], 0x38
	s_load_b32 s33, s[0:1], 0x98
	s_ashr_i32 s7, s3, 31
	v_add_nc_u32_e32 v3, s16, v3
	s_lshr_b32 s7, s7, 27
	s_load_b32 s19, s[0:1], 0x1c
	s_add_i32 s3, s3, s7
	s_waitcnt lgkmcnt(0)
	v_ashrrev_i32_e32 v4, 31, v3
	v_cmp_gt_i32_e32 vcc_lo, s18, v3
	s_ashr_i32 s3, s3, 5
	s_barrier
	s_add_i32 s3, s3, -1
	v_lshrrev_b32_e32 v5, 27, v4
	v_or_b32_e32 v4, 16, v3
	buffer_gl0_inv
	s_mul_i32 s6, s15, s6
	v_lshlrev_b64 v[73:74], 1, v[1:2]
	v_add_nc_u32_e32 v6, v3, v5
	v_add_nc_u32_e32 v5, v4, v5
	s_mul_i32 s20, s34, s4
	v_lshlrev_b32_e32 v78, 6, v77
	s_ashr_i32 s21, s20, 31
	v_ashrrev_i32_e32 v6, 5, v6
	v_ashrrev_i32_e32 v5, 5, v5
	s_lshl_b64 s[20:21], s[20:21], 2
	v_lshl_or_b32 v33, v79, 10, v78
	s_add_u32 s4, s12, s20
	v_cndmask_b32_e32 v3, s3, v6, vcc_lo
	v_cmp_gt_i32_e32 vcc_lo, s18, v4
	s_addc_u32 s17, s13, s21
	s_ashr_i32 s7, s6, 31
	s_delay_alu instid0(VALU_DEP_2) | instskip(SKIP_2) | instid1(SALU_CYCLE_1)
	v_ashrrev_i32_e32 v4, 31, v3
	v_cndmask_b32_e32 v5, s3, v5, vcc_lo
	s_lshl_b64 s[6:7], s[6:7], 1
	s_add_u32 s15, s8, s6
	s_delay_alu instid0(VALU_DEP_2) | instskip(NEXT) | instid1(VALU_DEP_2)
	v_lshlrev_b64 v[3:4], 2, v[3:4]
	v_ashrrev_i32_e32 v6, 31, v5
	s_addc_u32 s28, s9, s7
	s_lshl_b32 s8, s14, 3
	s_delay_alu instid0(SALU_CYCLE_1) | instskip(NEXT) | instid1(VALU_DEP_1)
	s_ashr_i32 s9, s8, 31
	v_lshlrev_b64 v[5:6], 2, v[5:6]
	v_add_co_u32 v3, vcc_lo, s4, v3
	v_add_co_ci_u32_e32 v4, vcc_lo, s17, v4, vcc_lo
	s_lshl_b64 s[8:9], s[8:9], 2
	s_delay_alu instid0(VALU_DEP_3) | instskip(NEXT) | instid1(VALU_DEP_4)
	v_add_co_u32 v5, vcc_lo, s4, v5
	v_add_co_ci_u32_e32 v6, vcc_lo, s17, v6, vcc_lo
	s_add_u32 s8, s4, s8
	s_clause 0x1
	global_load_b32 v7, v[3:4], off
	global_load_b32 v8, v[5:6], off
	s_addc_u32 s9, s17, s9
	s_or_b32 s12, s16, 32
	s_delay_alu instid0(SALU_CYCLE_1) | instskip(SKIP_2) | instid1(SALU_CYCLE_1)
	s_ashr_i32 s13, s12, 5
	s_cmp_lt_i32 s12, s18
	s_cselect_b32 s12, s13, s3
	s_ashr_i32 s13, s12, 31
	s_delay_alu instid0(SALU_CYCLE_1) | instskip(NEXT) | instid1(SALU_CYCLE_1)
	s_lshl_b64 s[12:13], s[12:13], 2
	s_add_u32 s12, s4, s12
	s_addc_u32 s13, s17, s13
	s_or_b32 s20, s16, 64
	s_delay_alu instid0(SALU_CYCLE_1) | instskip(SKIP_2) | instid1(SALU_CYCLE_1)
	s_ashr_i32 s21, s20, 5
	s_cmp_lt_i32 s20, s18
	s_cselect_b32 s20, s21, s3
	s_ashr_i32 s21, s20, 31
	s_delay_alu instid0(SALU_CYCLE_1) | instskip(NEXT) | instid1(SALU_CYCLE_1)
	s_lshl_b64 s[20:21], s[20:21], 2
	s_add_u32 s20, s4, s20
	;; [unrolled: 10-line block ×5, first 2 shown]
	s_addc_u32 s27, s17, s27
	s_clause 0x5
	s_load_b32 s29, s[8:9], 0x0
	s_load_b32 s30, s[12:13], 0x0
	;; [unrolled: 1-line block ×6, first 2 shown]
	s_or_b32 s8, s16, 0xc0
	s_mov_b32 s20, 0
	s_ashr_i32 s9, s8, 5
	s_cmp_lt_i32 s8, s18
	s_mov_b32 s27, s20
	s_cselect_b32 s8, s9, s3
	s_mov_b32 s21, s20
	s_ashr_i32 s9, s8, 31
	s_mov_b32 s22, s20
	s_lshl_b64 s[8:9], s[8:9], 2
	s_mov_b32 s23, s20
	s_add_u32 s8, s4, s8
	s_mov_b32 s24, s20
	s_mov_b32 s25, s20
	;; [unrolled: 1-line block ×3, first 2 shown]
	s_addc_u32 s9, s17, s9
	v_dual_mov_b32 v128, s27 :: v_dual_mov_b32 v127, s26
	v_dual_mov_b32 v126, s25 :: v_dual_mov_b32 v125, s24
	v_dual_mov_b32 v124, s23 :: v_dual_mov_b32 v123, s22
	v_mov_b32_e32 v121, s20
	s_waitcnt lgkmcnt(0)
	s_mul_hi_i32 s13, s29, s5
	s_mul_i32 s12, s29, s5
	v_mov_b32_e32 v122, s21
	s_mul_hi_i32 s21, s30, s5
	s_mul_i32 s20, s30, s5
	s_mul_hi_i32 s25, s35, s5
	s_mul_i32 s24, s35, s5
	;; [unrolled: 2-line block ×3, first 2 shown]
	s_mul_i32 s36, s38, s5
	s_waitcnt vmcnt(1)
	v_mad_i64_i32 v[3:4], null, v7, s5, 0
	s_waitcnt vmcnt(0)
	v_mad_i64_i32 v[5:6], null, v8, s5, 0
	s_delay_alu instid0(VALU_DEP_2) | instskip(NEXT) | instid1(VALU_DEP_2)
	v_lshlrev_b64 v[3:4], 1, v[3:4]
	v_lshlrev_b64 v[1:2], 1, v[5:6]
	s_delay_alu instid0(VALU_DEP_2) | instskip(NEXT) | instid1(VALU_DEP_3)
	v_add_co_u32 v3, vcc_lo, s15, v3
	v_add_co_ci_u32_e32 v4, vcc_lo, s28, v4, vcc_lo
	s_delay_alu instid0(VALU_DEP_3) | instskip(NEXT) | instid1(VALU_DEP_4)
	v_add_co_u32 v1, vcc_lo, s15, v1
	v_add_co_ci_u32_e32 v2, vcc_lo, s28, v2, vcc_lo
	s_delay_alu instid0(VALU_DEP_4) | instskip(NEXT) | instid1(VALU_DEP_4)
	v_add_co_u32 v25, vcc_lo, v3, v73
	v_add_co_ci_u32_e32 v26, vcc_lo, v4, v74, vcc_lo
	s_delay_alu instid0(VALU_DEP_4) | instskip(NEXT) | instid1(VALU_DEP_4)
	v_add_co_u32 v27, vcc_lo, v1, v73
	v_add_co_ci_u32_e32 v28, vcc_lo, v2, v74, vcc_lo
	s_clause 0xf
	global_load_b128 v[1:4], v[25:26], off
	global_load_b128 v[5:8], v[25:26], off offset:512
	global_load_b128 v[9:12], v[27:28], off offset:256
	;; [unrolled: 1-line block ×15, first 2 shown]
	s_or_b32 s15, s16, 0xe0
	v_add_nc_u32_e32 v25, -10, v77
	s_ashr_i32 s22, s15, 5
	s_cmp_lt_i32 s15, s18
	v_cmp_gt_u32_e32 vcc_lo, 10, v77
	s_cselect_b32 s22, s22, s3
	s_delay_alu instid0(SALU_CYCLE_1) | instskip(NEXT) | instid1(SALU_CYCLE_1)
	s_ashr_i32 s23, s22, 31
	s_lshl_b64 s[22:23], s[22:23], 2
	v_cndmask_b32_e32 v25, v25, v77, vcc_lo
	s_add_u32 s22, s4, s22
	s_addc_u32 s23, s17, s23
	s_add_i32 s15, s16, 0x100
	s_delay_alu instid0(SALU_CYCLE_1)
	s_ashr_i32 s28, s15, 5
	s_cmp_lt_i32 s15, s18
	v_lshlrev_b32_e32 v151, 6, v25
	s_cselect_b32 s28, s28, s3
	ds_load_b128 v[25:28], v151
	ds_load_b128 v[29:32], v151 offset:1024
	s_ashr_i32 s29, s28, 31
	ds_load_b128 v[129:132], v151 offset:2048
	ds_load_b128 v[133:136], v151 offset:3072
	s_lshl_b64 s[28:29], s[28:29], 2
	s_load_b32 s15, s[8:9], 0x0
	s_add_u32 s28, s4, s28
	s_addc_u32 s29, s17, s29
	s_add_u32 s3, s10, s6
	s_clause 0x1
	s_load_b32 s4, s[22:23], 0x0
	s_load_b32 s17, s[28:29], 0x0
	s_addc_u32 s28, s11, s7
	v_add_co_u32 v152, s3, s3, v33
	s_delay_alu instid0(VALU_DEP_1) | instskip(SKIP_2) | instid1(VALU_DEP_2)
	v_add_co_ci_u32_e64 v153, null, s28, 0, s3
	s_lshl_b64 s[6:7], s[12:13], 1
	s_lshl_b64 s[10:11], s[20:21], 1
	v_add_co_u32 v33, vcc_lo, v152, s6
	s_delay_alu instid0(VALU_DEP_2)
	v_add_co_ci_u32_e32 v34, vcc_lo, s7, v153, vcc_lo
	v_add_co_u32 v35, vcc_lo, v152, s10
	s_lshl_b64 s[12:13], s[24:25], 1
	v_add_co_ci_u32_e32 v36, vcc_lo, s11, v153, vcc_lo
	v_add_co_u32 v37, vcc_lo, v152, s12
	s_lshl_b64 s[20:21], s[26:27], 1
	s_mul_hi_i32 s9, s37, s5
	s_mul_i32 s8, s37, s5
	v_add_co_ci_u32_e32 v38, vcc_lo, s13, v153, vcc_lo
	v_add_co_u32 v39, vcc_lo, v152, s20
	s_lshl_b64 s[8:9], s[8:9], 1
	s_mul_hi_i32 s37, s38, s5
	v_add_co_ci_u32_e32 v40, vcc_lo, s21, v153, vcc_lo
	v_add_co_u32 v145, vcc_lo, v152, s8
	s_lshl_b64 s[22:23], s[36:37], 1
	s_waitcnt lgkmcnt(0)
	s_mul_hi_i32 s25, s15, s5
	s_mul_i32 s24, s15, s5
	v_add_co_ci_u32_e32 v146, vcc_lo, s9, v153, vcc_lo
	v_add_co_u32 v147, vcc_lo, v152, s22
	s_lshl_b64 s[24:25], s[24:25], 1
	v_add_co_ci_u32_e32 v148, vcc_lo, s23, v153, vcc_lo
	s_mul_hi_i32 s7, s4, s5
	s_mul_i32 s6, s4, s5
	v_add_co_u32 v149, vcc_lo, v152, s24
	s_lshl_b64 s[6:7], s[6:7], 1
	v_add_co_ci_u32_e32 v150, vcc_lo, s25, v153, vcc_lo
	s_clause 0x7
	global_load_b128 v[65:68], v[33:34], off
	global_load_b128 v[69:72], v[33:34], off offset:16
	global_load_b128 v[57:60], v[35:36], off
	global_load_b128 v[61:64], v[35:36], off offset:16
	;; [unrolled: 2-line block ×4, first 2 shown]
	s_waitcnt vmcnt(22)
	v_wmma_f32_16x16x16_f16 v[137:144], v[1:8], v[25:32], v[121:128]
	s_waitcnt vmcnt(20)
	v_wmma_f32_16x16x16_f16 v[121:128], v[9:16], v[25:32], v[121:128]
	v_add_co_u32 v29, vcc_lo, v152, s6
	v_add_co_ci_u32_e32 v30, vcc_lo, s7, v153, vcc_lo
	s_mul_hi_i32 s7, s17, s5
	s_mul_i32 s6, s17, s5
	s_waitcnt vmcnt(18)
	v_wmma_f32_16x16x16_f16 v[137:144], v[17:24], v[129:136], v[137:144]
	s_lshl_b64 s[4:5], s[6:7], 1
	s_clause 0x1
	global_load_b128 v[9:12], v[145:146], off
	global_load_b128 v[13:16], v[145:146], off offset:16
	v_add_co_u32 v21, vcc_lo, v152, s4
	v_add_co_ci_u32_e32 v22, vcc_lo, s5, v153, vcc_lo
	s_clause 0x7
	global_load_b128 v[1:4], v[147:148], off
	global_load_b128 v[5:8], v[147:148], off offset:16
	global_load_b128 v[33:36], v[149:150], off
	global_load_b128 v[37:40], v[149:150], off offset:16
	;; [unrolled: 2-line block ×4, first 2 shown]
	s_waitcnt vmcnt(26)
	v_wmma_f32_16x16x16_f16 v[121:128], v[81:88], v[129:136], v[121:128]
	ds_load_b128 v[81:84], v151 offset:4096
	ds_load_b128 v[85:88], v151 offset:5120
	v_mbcnt_lo_u32_b32 v130, -1, 0
	s_delay_alu instid0(VALU_DEP_1) | instskip(NEXT) | instid1(VALU_DEP_1)
	v_xor_b32_e32 v131, 16, v130
	v_cmp_gt_i32_e32 vcc_lo, 32, v131
	v_cndmask_b32_e32 v130, v130, v131, vcc_lo
	s_waitcnt vmcnt(24) lgkmcnt(0)
	v_wmma_f32_16x16x16_f16 v[137:144], v[89:96], v[81:88], v[137:144]
	ds_load_b128 v[89:92], v151 offset:6144
	ds_load_b128 v[93:96], v151 offset:7168
	s_waitcnt vmcnt(22)
	v_wmma_f32_16x16x16_f16 v[121:128], v[97:104], v[81:88], v[121:128]
	s_waitcnt vmcnt(0) lgkmcnt(0)
	s_barrier
	buffer_gl0_inv
	v_wmma_f32_16x16x16_f16 v[137:144], v[105:112], v[89:96], v[137:144]
	v_and_b32_e32 v129, 0xe0, v0
	v_wmma_f32_16x16x16_f16 v[121:128], v[113:120], v[89:96], v[121:128]
	s_delay_alu instid0(VALU_DEP_3) | instskip(NEXT) | instid1(VALU_DEP_2)
	v_mul_f32_e32 v96, s19, v137
	v_dual_mul_f32 v104, s19, v126 :: v_dual_add_nc_u32 v129, s16, v129
	v_mul_f32_e32 v95, s19, v138
	v_dual_mul_f32 v93, s19, v140 :: v_dual_mul_f32 v94, s19, v139
	s_delay_alu instid0(VALU_DEP_3) | instskip(SKIP_3) | instid1(VALU_DEP_4)
	v_or_b32_e32 v129, v129, v75
	v_dual_mul_f32 v91, s19, v142 :: v_dual_mul_f32 v106, s19, v124
	v_dual_mul_f32 v92, s19, v141 :: v_dual_mul_f32 v89, s19, v144
	v_mul_f32_e32 v108, s19, v122
	v_or_b32_e32 v131, 2, v129
	v_or_b32_e32 v132, 4, v129
	;; [unrolled: 1-line block ×3, first 2 shown]
	v_cmp_gt_i32_e32 vcc_lo, s18, v129
	v_or_b32_e32 v82, 8, v129
	v_cmp_gt_i32_e64 s3, s18, v131
	v_or_b32_e32 v83, 10, v129
	v_cmp_gt_i32_e64 s4, s18, v132
	v_cndmask_b32_e32 v96, 0xff7fffff, v96, vcc_lo
	v_cmp_gt_i32_e64 s5, s18, v81
	v_cndmask_b32_e64 v95, 0xff7fffff, v95, s3
	v_or_b32_e32 v84, 12, v129
	v_or_b32_e32 v85, 14, v129
	v_cndmask_b32_e64 v94, 0xff7fffff, v94, s4
	v_cndmask_b32_e64 v81, 0xff7fffff, v93, s5
	v_max3_f32 v93, v96, 0xff7fffff, v95
	v_cmp_gt_i32_e64 s6, s18, v82
	v_cmp_gt_i32_e64 s7, s18, v83
	v_or_b32_e32 v86, 16, v129
	v_or_b32_e32 v87, 18, v129
	v_mul_f32_e32 v90, s19, v143
	v_cndmask_b32_e64 v82, 0xff7fffff, v92, s6
	v_cndmask_b32_e64 v83, 0xff7fffff, v91, s7
	v_max3_f32 v81, v93, v94, v81
	v_cmp_gt_i32_e64 s8, s18, v84
	v_cmp_gt_i32_e64 s9, s18, v85
	v_or_b32_e32 v88, 20, v129
	v_or_b32_e32 v97, 22, v129
	v_mul_f32_e32 v109, s19, v121
	;; [unrolled: 8-line block ×4, first 2 shown]
	v_cndmask_b32_e64 v84, 0xff7fffff, v107, s12
	v_cndmask_b32_e64 v85, 0xff7fffff, v106, s13
	v_max3_f32 v81, v81, v82, v83
	v_cmp_gt_i32_e64 s15, s18, v98
	v_cmp_gt_i32_e64 s16, s18, v99
	v_dual_mul_f32 v102, s19, v128 :: v_dual_mul_f32 v103, s19, v127
	s_delay_alu instid0(VALU_DEP_4) | instskip(NEXT) | instid1(VALU_DEP_4)
	v_max3_f32 v81, v81, v84, v85
	v_cndmask_b32_e64 v82, 0xff7fffff, v105, s15
	s_delay_alu instid0(VALU_DEP_4) | instskip(SKIP_2) | instid1(VALU_DEP_3)
	v_cndmask_b32_e64 v83, 0xff7fffff, v104, s16
	v_cmp_gt_i32_e64 s17, s18, v100
	v_cmp_gt_i32_e64 s18, s18, v101
	v_max3_f32 v81, v81, v82, v83
	s_delay_alu instid0(VALU_DEP_3) | instskip(NEXT) | instid1(VALU_DEP_3)
	v_cndmask_b32_e64 v84, 0xff7fffff, v103, s17
	v_cndmask_b32_e64 v85, 0xff7fffff, v102, s18
	v_lshlrev_b32_e32 v83, 2, v130
	s_delay_alu instid0(VALU_DEP_2) | instskip(SKIP_3) | instid1(VALU_DEP_1)
	v_max3_f32 v81, v81, v84, v85
	ds_bpermute_b32 v82, v83, v81
	s_waitcnt lgkmcnt(0)
	v_max_f32_e32 v82, v82, v82
	v_max_f32_e32 v81, v81, v82
	s_delay_alu instid0(VALU_DEP_1) | instskip(SKIP_2) | instid1(VALU_DEP_3)
	v_fma_f32 v82, s19, v137, -v81
	v_fma_f32 v84, s19, v138, -v81
	;; [unrolled: 1-line block ×3, first 2 shown]
	v_mul_f32_e32 v82, 0x3fb8aa3b, v82
	s_delay_alu instid0(VALU_DEP_2) | instskip(NEXT) | instid1(VALU_DEP_2)
	v_dual_mul_f32 v84, 0x3fb8aa3b, v84 :: v_dual_mul_f32 v89, 0x3fb8aa3b, v87
	v_exp_f32_e32 v82, v82
	s_delay_alu instid0(VALU_DEP_1) | instskip(NEXT) | instid1(VALU_DEP_1)
	v_exp_f32_e32 v84, v84
	v_exp_f32_e32 v92, v89
	s_delay_alu instid0(TRANS32_DEP_3)
	v_cndmask_b32_e32 v88, 0, v82, vcc_lo
	s_waitcnt_depctr 0xfff
	v_cndmask_b32_e64 v87, 0, v84, s3
	v_cndmask_b32_e64 v92, 0, v92, s6
	s_mov_b32 s3, exec_lo
	v_add_f32_e32 v84, 0, v88
	s_delay_alu instid0(VALU_DEP_1)
	v_add_f32_e32 v84, v84, v87
	v_fma_f32 v85, s19, v139, -v81
	v_fma_f32 v86, s19, v140, -v81
	;; [unrolled: 1-line block ×5, first 2 shown]
	s_delay_alu instid0(VALU_DEP_4) | instskip(NEXT) | instid1(VALU_DEP_4)
	v_dual_mul_f32 v85, 0x3fb8aa3b, v85 :: v_dual_mul_f32 v86, 0x3fb8aa3b, v86
	v_mul_f32_e32 v82, 0x3fb8aa3b, v82
	v_fma_f32 v96, s19, v124, -v81
	v_fma_f32 v99, s19, v127, -v81
	s_delay_alu instid0(VALU_DEP_4) | instskip(SKIP_3) | instid1(VALU_DEP_1)
	v_exp_f32_e32 v85, v85
	v_exp_f32_e32 v86, v86
	v_exp_f32_e32 v82, v82
	v_mul_f32_e32 v97, 0x3fb8aa3b, v96
	v_exp_f32_e32 v97, v97
	v_cndmask_b32_e64 v90, 0, v85, s4
	v_fma_f32 v85, s19, v144, -v81
	s_delay_alu instid0(TRANS32_DEP_3) | instskip(SKIP_1) | instid1(VALU_DEP_4)
	v_cndmask_b32_e64 v89, 0, v86, s5
	v_fma_f32 v86, s19, v121, -v81
	v_dual_add_f32 v84, v84, v90 :: v_dual_mul_f32 v91, 0x3fb8aa3b, v91
	s_delay_alu instid0(VALU_DEP_2) | instskip(NEXT) | instid1(TRANS32_DEP_1)
	v_mul_f32_e32 v86, 0x3fb8aa3b, v86
	v_cndmask_b32_e64 v97, 0, v97, s13
	s_delay_alu instid0(VALU_DEP_3)
	v_add_f32_e32 v84, v84, v89
	v_mul_f32_e32 v85, 0x3fb8aa3b, v85
	v_exp_f32_e32 v93, v91
	v_cndmask_b32_e64 v91, 0, v82, s7
	v_exp_f32_e32 v86, v86
	v_add_f32_e32 v82, v84, v92
	v_exp_f32_e32 v85, v85
	v_fma_f32 v84, s19, v123, -v81
	s_delay_alu instid0(VALU_DEP_2) | instskip(NEXT) | instid1(TRANS32_DEP_3)
	v_dual_mul_f32 v95, 0x3fb8aa3b, v94 :: v_dual_add_f32 v82, v82, v91
	v_cndmask_b32_e64 v94, 0, v93, s8
	s_delay_alu instid0(VALU_DEP_2) | instskip(NEXT) | instid1(TRANS32_DEP_3)
	v_exp_f32_e32 v95, v95
	v_cndmask_b32_e64 v96, 0, v86, s10
	v_fma_f32 v86, s19, v126, -v81
	s_delay_alu instid0(TRANS32_DEP_2) | instskip(SKIP_3) | instid1(VALU_DEP_3)
	v_cndmask_b32_e64 v93, 0, v85, s9
	v_fma_f32 v85, s19, v125, -v81
	v_mul_f32_e32 v84, 0x3fb8aa3b, v84
	v_add_f32_e32 v82, v82, v94
	v_dual_mul_f32 v86, 0x3fb8aa3b, v86 :: v_dual_mul_f32 v85, 0x3fb8aa3b, v85
	s_delay_alu instid0(VALU_DEP_3) | instskip(NEXT) | instid1(TRANS32_DEP_2)
	v_exp_f32_e32 v84, v84
	v_cndmask_b32_e64 v95, 0, v95, s11
	s_delay_alu instid0(VALU_DEP_2) | instskip(NEXT) | instid1(VALU_DEP_2)
	v_exp_f32_e32 v86, v86
	v_exp_f32_e32 v85, v85
	s_delay_alu instid0(TRANS32_DEP_3)
	v_cndmask_b32_e64 v98, 0, v84, s12
	v_mul_f32_e32 v84, 0x3fb8aa3b, v99
	v_fma_f32 v99, s19, v128, -v81
	v_add_f32_e32 v82, v82, v93
	s_waitcnt_depctr 0xfff
	v_cndmask_b32_e64 v100, 0, v85, s15
	v_exp_f32_e32 v84, v84
	v_dual_mul_f32 v85, 0x3fb8aa3b, v99 :: v_dual_add_f32 v82, v82, v96
	v_cndmask_b32_e64 v99, 0, v86, s16
	s_delay_alu instid0(VALU_DEP_2) | instskip(NEXT) | instid1(VALU_DEP_2)
	v_exp_f32_e32 v85, v85
	v_add_f32_e32 v82, v82, v95
	s_waitcnt_depctr 0xfff
	v_cndmask_b32_e64 v102, 0, v84, s17
	v_add_f32_e32 v82, v82, v98
	v_cndmask_b32_e64 v101, 0, v85, s18
	s_delay_alu instid0(VALU_DEP_2) | instskip(NEXT) | instid1(VALU_DEP_1)
	v_add_f32_e32 v82, v82, v97
	v_add_f32_e32 v82, v82, v100
	s_delay_alu instid0(VALU_DEP_1) | instskip(NEXT) | instid1(VALU_DEP_1)
	v_add_f32_e32 v82, v82, v99
	v_add_f32_e32 v82, v82, v102
	s_delay_alu instid0(VALU_DEP_1)
	v_add_f32_e32 v82, v82, v101
	ds_bpermute_b32 v83, v83, v82
	v_cmpx_gt_u32_e32 16, v80
	s_cbranch_execz .LBB143_14
; %bb.13:
	v_mul_u32_u24_e32 v80, 0x44, v79
	s_waitcnt lgkmcnt(0)
	v_add_f32_e32 v82, v82, v83
	s_delay_alu instid0(VALU_DEP_2) | instskip(NEXT) | instid1(VALU_DEP_1)
	v_lshl_add_u32 v80, v77, 2, v80
	v_add_nc_u32_e32 v80, 0x4000, v80
	ds_store_2addr_b32 v80, v81, v82 offset1:136
.LBB143_14:
	s_or_b32 exec_lo, exec_lo, s3
	v_lshlrev_b32_e32 v80, 2, v77
	s_load_b32 s35, s[0:1], 0x94
	s_waitcnt lgkmcnt(0)
	s_barrier
	buffer_gl0_inv
	v_add_nc_u32_e32 v84, 0x4000, v80
	v_cmp_eq_u32_e32 vcc_lo, 1, v79
	v_cmp_eq_u32_e64 s3, 2, v79
	v_cmp_eq_u32_e64 s4, 3, v79
	;; [unrolled: 1-line block ×3, first 2 shown]
	ds_load_2addr_b32 v[80:81], v84 offset1:17
	ds_load_2addr_b32 v[82:83], v84 offset0:34 offset1:51
	ds_load_2addr_b32 v[103:104], v84 offset0:68 offset1:85
	;; [unrolled: 1-line block ×3, first 2 shown]
	v_cmp_eq_u32_e64 s6, 7, v79
	s_waitcnt lgkmcnt(3)
	v_max3_f32 v85, v80, 0xff7fffff, v81
	s_waitcnt lgkmcnt(2)
	s_delay_alu instid0(VALU_DEP_1) | instskip(SKIP_1) | instid1(VALU_DEP_1)
	v_max3_f32 v85, v85, v82, v83
	s_waitcnt lgkmcnt(1)
	v_max3_f32 v85, v85, v103, v104
	s_waitcnt lgkmcnt(0)
	s_delay_alu instid0(VALU_DEP_1) | instskip(NEXT) | instid1(VALU_DEP_1)
	v_max3_f32 v85, v85, v105, v106
	v_sub_f32_e32 v103, v103, v85
	ds_load_2addr_b32 v[107:108], v84 offset0:136 offset1:153
	v_sub_f32_e32 v80, v80, v85
	v_dual_sub_f32 v110, v83, v85 :: v_dual_mul_f32 v113, 0x3fb8aa3b, v103
	s_delay_alu instid0(VALU_DEP_2) | instskip(SKIP_3) | instid1(VALU_DEP_1)
	v_dual_sub_f32 v86, v81, v85 :: v_dual_mul_f32 v109, 0x3fb8aa3b, v80
	ds_load_2addr_b32 v[80:81], v84 offset0:170 offset1:187
	v_mul_f32_e32 v86, 0x3fb8aa3b, v86
	v_exp_f32_e32 v109, v109
	v_exp_f32_e32 v112, v86
	v_mul_f32_e32 v110, 0x3fb8aa3b, v110
	s_waitcnt lgkmcnt(1)
	s_waitcnt_depctr 0xfff
	v_fma_f32 v86, v109, v107, 0
	v_sub_f32_e32 v107, v104, v85
	v_sub_f32_e32 v82, v82, v85
	v_exp_f32_e32 v110, v110
	ds_load_2addr_b32 v[103:104], v84 offset0:238 offset1:255
	v_dual_fmac_f32 v86, v112, v108 :: v_dual_mul_f32 v111, 0x3fb8aa3b, v82
	ds_load_2addr_b32 v[82:83], v84 offset0:204 offset1:221
	v_dual_sub_f32 v84, v105, v85 :: v_dual_mul_f32 v105, 0x3fb8aa3b, v107
	v_exp_f32_e32 v107, v113
	v_exp_f32_e32 v111, v111
	s_waitcnt lgkmcnt(0)
	s_delay_alu instid0(VALU_DEP_1)
	v_mul_f32_e32 v84, 0x3fb8aa3b, v84
	v_exp_f32_e32 v105, v105
	s_barrier
	buffer_gl0_inv
	v_fmac_f32_e32 v86, v111, v80
	v_sub_f32_e32 v80, v106, v85
	v_exp_f32_e32 v106, v84
	s_delay_alu instid0(VALU_DEP_2) | instskip(NEXT) | instid1(VALU_DEP_2)
	v_fmac_f32_e32 v86, v110, v81
	v_mul_f32_e32 v80, 0x3fb8aa3b, v80
	s_delay_alu instid0(VALU_DEP_2) | instskip(NEXT) | instid1(VALU_DEP_2)
	v_dual_cndmask_b32 v81, v109, v112 :: v_dual_fmac_f32 v86, v107, v82
	v_exp_f32_e32 v108, v80
	s_delay_alu instid0(VALU_DEP_1) | instskip(SKIP_2) | instid1(VALU_DEP_1)
	v_fmac_f32_e32 v86, v105, v83
	s_waitcnt_depctr 0xfff
	v_fmac_f32_e32 v86, v106, v103
	v_fmac_f32_e32 v86, v108, v104
	s_delay_alu instid0(VALU_DEP_1) | instskip(NEXT) | instid1(VALU_DEP_1)
	v_add_f32_e32 v103, 0x358637bd, v86
	v_div_scale_f32 v104, null, v103, v103, 1.0
	v_div_scale_f32 v109, vcc_lo, 1.0, v103, 1.0
	s_delay_alu instid0(VALU_DEP_2) | instskip(SKIP_2) | instid1(VALU_DEP_1)
	v_rcp_f32_e32 v113, v104
	s_waitcnt_depctr 0xfff
	v_fma_f32 v80, -v104, v113, 1.0
	v_fmac_f32_e32 v113, v80, v113
	v_cndmask_b32_e64 v80, v81, v111, s3
	v_cmp_eq_u32_e64 s3, 4, v79
	v_lshl_or_b32 v81, v79, 11, v78
	s_delay_alu instid0(VALU_DEP_4) | instskip(NEXT) | instid1(VALU_DEP_4)
	v_mul_f32_e32 v111, v109, v113
	v_cndmask_b32_e64 v82, v80, v110, s4
	v_cmp_eq_u32_e64 s4, 6, v79
	s_delay_alu instid0(VALU_DEP_4) | instskip(SKIP_3) | instid1(VALU_DEP_3)
	v_lshl_or_b32 v79, v75, 4, v81
	v_lshlrev_b32_e32 v80, 2, v75
	v_fma_f32 v83, -v104, v111, v109
	v_cndmask_b32_e64 v84, v82, v107, s3
	v_or_b32_e32 v82, 1, v80
	s_delay_alu instid0(VALU_DEP_3) | instskip(NEXT) | instid1(VALU_DEP_3)
	v_fmac_f32_e32 v111, v83, v113
	v_cndmask_b32_e64 v105, v84, v105, s5
	v_or_b32_e32 v84, 2, v80
	v_or_b32_e32 v83, 3, v80
	v_cmp_eq_u32_e64 s3, 1, v80
	v_fma_f32 v104, -v104, v111, v109
	v_cndmask_b32_e64 v105, v105, v106, s4
	v_cmp_eq_u32_e64 s9, 1, v82
	v_cmp_eq_u32_e64 s10, 1, v84
	;; [unrolled: 1-line block ×3, first 2 shown]
	v_div_fmas_f32 v104, v104, v113, v111
	v_cndmask_b32_e64 v105, v105, v108, s6
	v_cmp_eq_u32_e32 vcc_lo, 2, v80
	v_cmp_eq_u32_e64 s12, 2, v82
	v_cmp_eq_u32_e64 s15, 2, v84
	v_div_fixup_f32 v103, v104, v103, 1.0
	v_cmp_eq_u32_e64 s16, 2, v83
	v_cmp_eq_u32_e64 s18, 3, v83
	;; [unrolled: 1-line block ×4, first 2 shown]
	v_mul_f32_e32 v111, v105, v103
	v_cmp_eq_u32_e64 s17, 3, v84
	v_cmp_eq_u32_e64 s22, 4, v83
	v_cmp_eq_u32_e64 s5, 4, v80
	v_cmp_eq_u32_e64 s19, 4, v82
	v_fma_mixlo_f16 v103, v111, v88, 0
	v_fma_mixlo_f16 v104, v111, v90, 0
	v_fma_mixlo_f16 v105, v111, v92, 0
	v_fma_mixlo_f16 v106, v111, v94, 0
	v_fma_mixlo_f16 v107, v111, v96, 0
	v_fma_mixlo_f16 v108, v111, v98, 0
	v_fma_mixlo_f16 v109, v111, v100, 0
	v_fma_mixlo_f16 v110, v111, v102, 0
	v_fma_mixhi_f16 v103, v111, v87, 0
	v_fma_mixhi_f16 v104, v111, v89, 0
	;; [unrolled: 1-line block ×8, first 2 shown]
	ds_store_b128 v79, v[103:106]
	ds_store_b128 v79, v[107:110] offset:1024
	s_waitcnt lgkmcnt(0)
	s_barrier
	buffer_gl0_inv
	ds_load_b128 v[87:90], v81
	ds_load_b128 v[91:94], v81 offset:16
	ds_load_b128 v[95:98], v81 offset:1024
	;; [unrolled: 1-line block ×3, first 2 shown]
	v_cmp_eq_u32_e64 s21, 4, v84
	v_cmp_eq_u32_e64 s24, 5, v83
	;; [unrolled: 1-line block ×13, first 2 shown]
	s_waitcnt lgkmcnt(3)
	v_lshrrev_b32_e32 v103, 16, v87
	s_waitcnt lgkmcnt(2)
	v_lshrrev_b32_e32 v107, 16, v91
	;; [unrolled: 2-line block ×4, first 2 shown]
	v_lshrrev_b32_e32 v104, 16, v88
	v_cndmask_b32_e64 v119, v87, v103, s3
	v_cndmask_b32_e64 v120, v91, v107, s3
	v_cndmask_b32_e64 v121, v87, v103, s9
	v_cndmask_b32_e64 v122, v91, v107, s9
	v_cndmask_b32_e64 v123, v87, v103, s10
	v_cndmask_b32_e64 v124, v91, v107, s10
	v_cndmask_b32_e64 v87, v87, v103, s11
	v_cndmask_b32_e64 v91, v91, v107, s11
	v_lshrrev_b32_e32 v108, 16, v92
	v_cndmask_b32_e64 v103, v95, v111, s3
	v_cndmask_b32_e64 v107, v99, v115, s3
	;; [unrolled: 1-line block ×5, first 2 shown]
	v_cndmask_b32_e32 v111, v119, v88, vcc_lo
	v_cndmask_b32_e64 v119, v121, v88, s12
	v_cndmask_b32_e64 v121, v123, v88, s15
	;; [unrolled: 1-line block ×4, first 2 shown]
	v_lshrrev_b32_e32 v112, 16, v96
	v_lshrrev_b32_e32 v116, 16, v100
	v_cndmask_b32_e64 v126, v99, v115, s9
	v_cndmask_b32_e64 v128, v99, v115, s10
	v_cndmask_b32_e64 v99, v99, v115, s11
	v_cndmask_b32_e32 v115, v120, v92, vcc_lo
	v_cndmask_b32_e64 v120, v122, v92, s12
	v_cndmask_b32_e64 v122, v124, v92, s15
	v_cndmask_b32_e32 v91, v103, v96, vcc_lo
	v_cndmask_b32_e32 v92, v107, v100, vcc_lo
	v_cndmask_b32_e64 v103, v125, v96, s12
	v_cndmask_b32_e64 v87, v87, v104, s18
	;; [unrolled: 1-line block ×3, first 2 shown]
	v_lshrrev_b32_e32 v105, 16, v89
	v_lshrrev_b32_e32 v109, 16, v93
	v_cndmask_b32_e64 v107, v127, v96, s15
	v_cndmask_b32_e64 v95, v95, v96, s16
	v_cndmask_b32_e64 v96, v99, v100, s16
	v_cndmask_b32_e64 v99, v111, v104, s4
	v_cndmask_b32_e64 v111, v115, v108, s4
	v_cndmask_b32_e64 v115, v119, v104, s13
	v_cndmask_b32_e64 v119, v120, v108, s13
	v_cndmask_b32_e64 v120, v121, v104, s17
	v_cndmask_b32_e64 v121, v122, v108, s17
	v_cndmask_b32_e64 v91, v91, v112, s4
	v_cndmask_b32_e64 v92, v92, v116, s4
	v_cndmask_b32_e64 v103, v103, v112, s13
	v_cndmask_b32_e64 v87, v87, v89, s22
	v_cndmask_b32_e64 v88, v88, v93, s22
	v_lshrrev_b32_e32 v113, 16, v97
	v_cndmask_b32_e64 v99, v99, v89, s5
	v_cndmask_b32_e64 v104, v111, v93, s5
	;; [unrolled: 1-line block ×11, first 2 shown]
	v_lshrrev_b32_e32 v106, 16, v90
	v_lshrrev_b32_e32 v110, 16, v94
	v_cndmask_b32_e64 v93, v99, v105, s6
	v_cndmask_b32_e64 v99, v104, v109, s6
	;; [unrolled: 1-line block ×9, first 2 shown]
	v_lshrrev_b32_e32 v114, 16, v98
	v_cndmask_b32_e64 v89, v89, v113, s6
	v_cndmask_b32_e64 v93, v93, v90, s7
	;; [unrolled: 1-line block ×19, first 2 shown]
	v_perm_b32 v90, v88, v87, 0x5040100
	v_cndmask_b32_e64 v87, v126, v100, s12
	v_cndmask_b32_e64 v105, v89, v114, s8
	v_perm_b32 v89, v103, v99, 0x5040100
	v_perm_b32 v88, v104, v94, 0x5040100
	v_cndmask_b32_e64 v94, v107, v112, s17
	v_cndmask_b32_e64 v95, v95, v112, s18
	;; [unrolled: 1-line block ×5, first 2 shown]
	v_lshrrev_b32_e32 v117, 16, v101
	v_cndmask_b32_e64 v94, v94, v97, s21
	v_cndmask_b32_e64 v95, v95, v97, s22
	;; [unrolled: 1-line block ×11, first 2 shown]
	v_lshrrev_b32_e32 v118, 16, v102
	v_cndmask_b32_e64 v91, v91, v102, s7
	v_cndmask_b32_e64 v94, v94, v98, s26
	;; [unrolled: 1-line block ×12, first 2 shown]
	v_perm_b32 v87, v93, v92, 0x5040100
	v_perm_b32 v94, v95, v94, 0x5040100
	;; [unrolled: 1-line block ×5, first 2 shown]
	s_mul_i32 s7, s33, 10
	s_mov_b32 s3, exec_lo
	ds_store_b128 v79, v[87:90]
	ds_store_b128 v79, v[91:94] offset:1024
	v_cmpx_gt_u32_e32 10, v0
	s_cbranch_execz .LBB143_16
; %bb.15:
	s_mul_i32 s4, s7, s34
	s_load_b128 s[8:11], s[0:1], 0x58
	v_add3_u32 v77, s4, s31, v77
	s_delay_alu instid0(VALU_DEP_1) | instskip(NEXT) | instid1(VALU_DEP_1)
	v_mad_u64_u32 v[87:88], null, v77, s35, s[14:15]
	v_ashrrev_i32_e32 v88, 31, v87
	s_delay_alu instid0(VALU_DEP_1) | instskip(SKIP_1) | instid1(VALU_DEP_1)
	v_lshlrev_b64 v[87:88], 2, v[87:88]
	s_waitcnt lgkmcnt(0)
	v_add_co_u32 v89, vcc_lo, s10, v87
	s_delay_alu instid0(VALU_DEP_2)
	v_add_co_ci_u32_e32 v90, vcc_lo, s11, v88, vcc_lo
	v_add_co_u32 v87, vcc_lo, s8, v87
	v_add_co_ci_u32_e32 v88, vcc_lo, s9, v88, vcc_lo
	global_store_b32 v[89:90], v85, off
	global_store_b32 v[87:88], v86, off
.LBB143_16:
	s_or_b32 exec_lo, exec_lo, s3
	s_waitcnt lgkmcnt(0)
	s_waitcnt_vscnt null, 0x0
	s_barrier
	buffer_gl0_inv
	ds_load_b128 v[93:96], v78
	ds_load_b128 v[97:100], v78 offset:16
	ds_load_b128 v[105:108], v78 offset:1040
	;; [unrolled: 1-line block ×5, first 2 shown]
	v_cmp_eq_u32_e32 vcc_lo, 1, v84
	v_mov_b32_e32 v85, 0
	ds_load_b128 v[121:124], v78 offset:3088
	ds_load_b128 v[117:120], v78 offset:3072
	;; [unrolled: 1-line block ×4, first 2 shown]
	v_cmp_eq_u32_e64 s3, 1, v80
	v_cmp_eq_u32_e64 s4, 1, v83
	;; [unrolled: 1-line block ×3, first 2 shown]
	v_mov_b32_e32 v86, v85
	v_mov_b32_e32 v87, v85
	;; [unrolled: 1-line block ×7, first 2 shown]
	v_cmp_eq_u32_e64 s6, 2, v80
	s_waitcnt lgkmcnt(8)
	s_delay_alu instid0(VALU_DEP_2)
	v_wmma_f32_16x16x16_f16 v[85:92], v[65:72], v[93:100], v[85:92]
	ds_load_b128 v[69:72], v78 offset:5136
	ds_load_b128 v[65:68], v78 offset:5120
	;; [unrolled: 1-line block ×4, first 2 shown]
	s_waitcnt lgkmcnt(10)
	v_wmma_f32_16x16x16_f16 v[85:92], v[57:64], v[101:108], v[85:92]
	s_waitcnt lgkmcnt(8)
	s_delay_alu instid0(VALU_DEP_1)
	v_wmma_f32_16x16x16_f16 v[85:92], v[57:64], v[109:116], v[85:92]
	ds_load_b128 v[61:64], v78 offset:7184
	ds_load_b128 v[57:60], v78 offset:7168
	;; [unrolled: 1-line block ×4, first 2 shown]
	s_waitcnt lgkmcnt(10)
	v_wmma_f32_16x16x16_f16 v[85:92], v[49:56], v[117:124], v[85:92]
	s_waitcnt lgkmcnt(8)
	s_delay_alu instid0(VALU_DEP_1)
	v_wmma_f32_16x16x16_f16 v[85:92], v[49:56], v[125:132], v[85:92]
	ds_load_b128 v[53:56], v78 offset:9232
	ds_load_b128 v[49:52], v78 offset:9216
	s_waitcnt lgkmcnt(8)
	v_wmma_f32_16x16x16_f16 v[85:92], v[41:48], v[65:72], v[85:92]
	ds_load_b128 v[69:72], v78 offset:10256
	ds_load_b128 v[65:68], v78 offset:10240
	s_waitcnt lgkmcnt(8)
	;; [unrolled: 4-line block ×7, first 2 shown]
	s_barrier
	buffer_gl0_inv
	v_wmma_f32_16x16x16_f16 v[85:92], v[33:40], v[41:48], v[85:92]
	s_delay_alu instid0(VALU_DEP_1) | instskip(NEXT) | instid1(VALU_DEP_1)
	v_wmma_f32_16x16x16_f16 v[85:92], v[33:40], v[57:64], v[85:92]
	v_wmma_f32_16x16x16_f16 v[85:92], v[25:32], v[9:16], v[85:92]
	s_delay_alu instid0(VALU_DEP_1) | instskip(NEXT) | instid1(VALU_DEP_1)
	v_wmma_f32_16x16x16_f16 v[85:92], v[25:32], v[49:56], v[85:92]
	v_wmma_f32_16x16x16_f16 v[85:92], v[17:24], v[1:8], v[85:92]
	s_delay_alu instid0(VALU_DEP_1) | instskip(NEXT) | instid1(VALU_DEP_2)
	v_cvt_f16_f32_e32 v1, v85
	v_cvt_f16_f32_e32 v2, v86
	s_delay_alu instid0(VALU_DEP_3) | instskip(NEXT) | instid1(VALU_DEP_4)
	v_cvt_f16_f32_e32 v3, v87
	v_cvt_f16_f32_e32 v4, v88
	;; [unrolled: 1-line block ×6, first 2 shown]
	v_pack_b32_f16 v1, v1, v2
	v_pack_b32_f16 v2, v3, v4
	;; [unrolled: 1-line block ×3, first 2 shown]
	s_delay_alu instid0(VALU_DEP_4)
	v_pack_b32_f16 v4, v7, v8
	ds_store_b128 v79, v[1:4]
	s_waitcnt lgkmcnt(0)
	s_barrier
	buffer_gl0_inv
	ds_load_b128 v[1:4], v81
	ds_load_b128 v[5:8], v81 offset:16
	s_waitcnt lgkmcnt(1)
	v_lshrrev_b32_e32 v9, 16, v1
	s_waitcnt lgkmcnt(0)
	v_lshrrev_b32_e32 v13, 16, v5
	v_lshrrev_b32_e32 v15, 16, v7
	;; [unrolled: 1-line block ×4, first 2 shown]
	v_cndmask_b32_e64 v17, v1, v9, s3
	v_cndmask_b32_e64 v18, v5, v13, s3
	;; [unrolled: 1-line block ×3, first 2 shown]
	v_cmp_eq_u32_e64 s3, 2, v82
	v_cndmask_b32_e64 v20, v5, v13, s5
	v_cndmask_b32_e32 v21, v1, v9, vcc_lo
	v_cndmask_b32_e32 v22, v5, v13, vcc_lo
	v_cndmask_b32_e64 v1, v1, v9, s4
	v_cndmask_b32_e64 v5, v5, v13, s4
	v_cmp_eq_u32_e32 vcc_lo, 2, v84
	v_cmp_eq_u32_e64 s4, 2, v83
	v_cndmask_b32_e64 v9, v17, v2, s6
	v_cndmask_b32_e64 v13, v18, v6, s6
	;; [unrolled: 1-line block ×4, first 2 shown]
	v_cndmask_b32_e32 v19, v21, v2, vcc_lo
	v_cmp_eq_u32_e64 s3, 3, v84
	v_cndmask_b32_e32 v20, v22, v6, vcc_lo
	v_cndmask_b32_e64 v1, v1, v2, s4
	v_cmp_eq_u32_e32 vcc_lo, 3, v83
	v_cmp_eq_u32_e64 s5, 3, v80
	v_cndmask_b32_e64 v2, v5, v6, s4
	v_cmp_eq_u32_e64 s4, 3, v82
	v_lshrrev_b32_e32 v16, 16, v8
	v_cmp_eq_u32_e64 s6, 4, v80
	v_cndmask_b32_e64 v5, v9, v10, s5
	v_cndmask_b32_e64 v6, v13, v14, s5
	;; [unrolled: 1-line block ×3, first 2 shown]
	v_cmp_eq_u32_e64 s5, 4, v82
	v_cndmask_b32_e64 v13, v18, v14, s4
	v_cndmask_b32_e64 v17, v19, v10, s3
	;; [unrolled: 1-line block ×3, first 2 shown]
	v_cndmask_b32_e32 v1, v1, v10, vcc_lo
	v_cndmask_b32_e32 v2, v2, v14, vcc_lo
	v_cmp_eq_u32_e32 vcc_lo, 4, v84
	v_cmp_eq_u32_e64 s4, 4, v83
	v_lshrrev_b32_e32 v11, 16, v3
	v_cndmask_b32_e64 v5, v5, v3, s6
	v_cndmask_b32_e64 v6, v6, v7, s6
	v_cndmask_b32_e64 v9, v9, v3, s5
	v_cndmask_b32_e64 v10, v13, v7, s5
	v_cndmask_b32_e32 v13, v17, v3, vcc_lo
	v_cmp_eq_u32_e64 s3, 5, v84
	v_cndmask_b32_e32 v14, v18, v7, vcc_lo
	v_cndmask_b32_e64 v1, v1, v3, s4
	v_cmp_eq_u32_e32 vcc_lo, 5, v83
	v_cmp_eq_u32_e64 s5, 5, v80
	v_cndmask_b32_e64 v2, v2, v7, s4
	v_cmp_eq_u32_e64 s4, 5, v82
	v_cmp_eq_u32_e64 s6, 6, v80
	v_cndmask_b32_e32 v1, v1, v11, vcc_lo
	v_cndmask_b32_e64 v3, v5, v11, s5
	v_cndmask_b32_e64 v5, v6, v15, s5
	;; [unrolled: 1-line block ×3, first 2 shown]
	v_cmp_eq_u32_e64 s5, 6, v82
	v_cndmask_b32_e64 v7, v10, v15, s4
	v_cndmask_b32_e64 v9, v13, v11, s3
	;; [unrolled: 1-line block ×3, first 2 shown]
	v_cndmask_b32_e32 v2, v2, v15, vcc_lo
	v_cmp_eq_u32_e32 vcc_lo, 6, v84
	v_cmp_eq_u32_e64 s3, 6, v83
	v_lshrrev_b32_e32 v12, 16, v4
	v_cndmask_b32_e64 v3, v3, v4, s6
	v_cndmask_b32_e64 v5, v5, v8, s6
	;; [unrolled: 1-line block ×4, first 2 shown]
	v_cndmask_b32_e32 v9, v9, v4, vcc_lo
	v_cmp_eq_u32_e64 s4, 7, v84
	v_cndmask_b32_e32 v10, v10, v8, vcc_lo
	v_cndmask_b32_e64 v1, v1, v4, s3
	v_cmp_eq_u32_e32 vcc_lo, 7, v83
	v_cndmask_b32_e64 v2, v2, v8, s3
	v_cmp_eq_u32_e64 s3, 7, v80
	v_cmp_eq_u32_e64 s5, 7, v82
	v_cndmask_b32_e32 v1, v1, v12, vcc_lo
	s_delay_alu instid0(VALU_DEP_4) | instskip(NEXT) | instid1(VALU_DEP_4)
	v_cndmask_b32_e32 v2, v2, v16, vcc_lo
	v_cndmask_b32_e64 v8, v3, v12, s3
	s_delay_alu instid0(VALU_DEP_4)
	v_cndmask_b32_e64 v6, v6, v12, s5
	v_cndmask_b32_e64 v3, v9, v12, s4
	;; [unrolled: 1-line block ×5, first 2 shown]
	v_cmp_gt_u32_e32 vcc_lo, 32, v0
	v_perm_b32 v4, v2, v1, 0x5040100
	v_perm_b32 v3, v9, v3, 0x5040100
	v_perm_b32 v2, v7, v6, 0x5040100
	v_perm_b32 v1, v5, v8, 0x5040100
	s_and_b32 s2, vcc_lo, s2
	ds_store_b128 v79, v[1:4]
	s_waitcnt lgkmcnt(0)
	s_barrier
	buffer_gl0_inv
	s_and_saveexec_b32 s3, s2
	s_cbranch_execz .LBB143_2
; %bb.17:
	s_load_b64 s[0:1], s[0:1], 0x68
	s_lshl_b32 s4, s35, 6
	v_or_b32_e32 v2, s31, v75
	s_mul_i32 s2, s4, s34
	v_lshlrev_b32_e32 v0, 10, v0
	s_mul_i32 s2, s2, s7
	v_lshlrev_b32_e32 v1, 4, v76
	s_ashr_i32 s3, s2, 31
	v_mul_lo_u32 v20, v2, s4
	s_lshl_b64 s[2:3], s[2:3], 1
	v_lshlrev_b32_e32 v3, 6, v75
	v_and_b32_e32 v0, 0x3800, v0
	s_delay_alu instid0(VALU_DEP_1) | instskip(NEXT) | instid1(VALU_DEP_4)
	v_or3_b32 v16, v0, v1, v3
	v_ashrrev_i32_e32 v21, 31, v20
	ds_load_b128 v[0:3], v16
	ds_load_b128 v[4:7], v16 offset:128
	s_waitcnt lgkmcnt(0)
	s_add_u32 s2, s0, s2
	s_addc_u32 s3, s1, s3
	s_lshl_b32 s0, s14, 6
	ds_load_b128 v[8:11], v16 offset:256
	ds_load_b128 v[12:15], v16 offset:384
	;; [unrolled: 1-line block ×3, first 2 shown]
	s_ashr_i32 s1, s0, 31
	s_delay_alu instid0(SALU_CYCLE_1) | instskip(NEXT) | instid1(SALU_CYCLE_1)
	s_lshl_b64 s[0:1], s[0:1], 1
	s_add_u32 s0, s2, s0
	s_addc_u32 s1, s3, s1
	s_lshl_b32 s2, s35, 7
	v_add_co_u32 v30, vcc_lo, s0, v73
	v_add_nc_u32_e32 v22, s2, v20
	v_lshlrev_b64 v[20:21], 1, v[20:21]
	v_add_co_ci_u32_e32 v31, vcc_lo, s1, v74, vcc_lo
	s_delay_alu instid0(VALU_DEP_3) | instskip(SKIP_1) | instid1(VALU_DEP_4)
	v_add_nc_u32_e32 v24, s2, v22
	v_ashrrev_i32_e32 v23, 31, v22
	v_add_co_u32 v20, vcc_lo, v30, v20
	s_delay_alu instid0(VALU_DEP_4) | instskip(NEXT) | instid1(VALU_DEP_4)
	v_add_co_ci_u32_e32 v21, vcc_lo, v31, v21, vcc_lo
	v_add_nc_u32_e32 v26, s2, v24
	v_ashrrev_i32_e32 v25, 31, v24
	v_lshlrev_b64 v[22:23], 1, v[22:23]
	s_delay_alu instid0(VALU_DEP_3) | instskip(SKIP_1) | instid1(VALU_DEP_4)
	v_add_nc_u32_e32 v28, s2, v26
	v_ashrrev_i32_e32 v27, 31, v26
	v_lshlrev_b64 v[24:25], 1, v[24:25]
	s_delay_alu instid0(VALU_DEP_4) | instskip(NEXT) | instid1(VALU_DEP_4)
	v_add_co_u32 v22, vcc_lo, v30, v22
	v_ashrrev_i32_e32 v29, 31, v28
	s_delay_alu instid0(VALU_DEP_4) | instskip(SKIP_2) | instid1(VALU_DEP_4)
	v_lshlrev_b64 v[26:27], 1, v[26:27]
	v_add_co_ci_u32_e32 v23, vcc_lo, v31, v23, vcc_lo
	v_add_co_u32 v24, vcc_lo, v30, v24
	v_lshlrev_b64 v[28:29], 1, v[28:29]
	v_add_co_ci_u32_e32 v25, vcc_lo, v31, v25, vcc_lo
	v_add_co_u32 v26, vcc_lo, v30, v26
	v_add_co_ci_u32_e32 v27, vcc_lo, v31, v27, vcc_lo
	s_delay_alu instid0(VALU_DEP_4)
	v_add_co_u32 v28, vcc_lo, v30, v28
	v_add_co_ci_u32_e32 v29, vcc_lo, v31, v29, vcc_lo
	s_clause 0x1
	global_store_b128 v[20:21], v[0:3], off
	global_store_b128 v[22:23], v[4:7], off
	s_waitcnt lgkmcnt(2)
	global_store_b128 v[24:25], v[8:11], off
	s_waitcnt lgkmcnt(1)
	;; [unrolled: 2-line block ×3, first 2 shown]
	global_store_b128 v[28:29], v[16:19], off
	s_nop 0
	s_sendmsg sendmsg(MSG_DEALLOC_VGPRS)
	s_endpgm
	.section	.rodata,"a",@progbits
	.p2align	6, 0x0
	.amdhsa_kernel _Z39paged_attention_ll4mi_QKV_mfma16_kernelIDF16_DF16_LN4vllm18Fp8KVCacheDataTypeE0EhLi32ELi64ELi256ELb0ELi10EL8MFMAType0EEvPKT_PKT0_S8_ifPKiSA_SA_iPKfiiiPfSD_PS3_PT2_iSC_SC_
		.amdhsa_group_segment_fixed_size 17472
		.amdhsa_private_segment_fixed_size 0
		.amdhsa_kernarg_size 400
		.amdhsa_user_sgpr_count 13
		.amdhsa_user_sgpr_dispatch_ptr 0
		.amdhsa_user_sgpr_queue_ptr 0
		.amdhsa_user_sgpr_kernarg_segment_ptr 1
		.amdhsa_user_sgpr_dispatch_id 0
		.amdhsa_user_sgpr_private_segment_size 0
		.amdhsa_wavefront_size32 1
		.amdhsa_uses_dynamic_stack 0
		.amdhsa_enable_private_segment 0
		.amdhsa_system_sgpr_workgroup_id_x 1
		.amdhsa_system_sgpr_workgroup_id_y 1
		.amdhsa_system_sgpr_workgroup_id_z 1
		.amdhsa_system_sgpr_workgroup_info 0
		.amdhsa_system_vgpr_workitem_id 0
		.amdhsa_next_free_vgpr 154
		.amdhsa_next_free_sgpr 39
		.amdhsa_reserve_vcc 1
		.amdhsa_float_round_mode_32 0
		.amdhsa_float_round_mode_16_64 0
		.amdhsa_float_denorm_mode_32 3
		.amdhsa_float_denorm_mode_16_64 3
		.amdhsa_dx10_clamp 1
		.amdhsa_ieee_mode 1
		.amdhsa_fp16_overflow 0
		.amdhsa_workgroup_processor_mode 1
		.amdhsa_memory_ordered 1
		.amdhsa_forward_progress 0
		.amdhsa_shared_vgpr_count 0
		.amdhsa_exception_fp_ieee_invalid_op 0
		.amdhsa_exception_fp_denorm_src 0
		.amdhsa_exception_fp_ieee_div_zero 0
		.amdhsa_exception_fp_ieee_overflow 0
		.amdhsa_exception_fp_ieee_underflow 0
		.amdhsa_exception_fp_ieee_inexact 0
		.amdhsa_exception_int_div_zero 0
	.end_amdhsa_kernel
	.section	.text._Z39paged_attention_ll4mi_QKV_mfma16_kernelIDF16_DF16_LN4vllm18Fp8KVCacheDataTypeE0EhLi32ELi64ELi256ELb0ELi10EL8MFMAType0EEvPKT_PKT0_S8_ifPKiSA_SA_iPKfiiiPfSD_PS3_PT2_iSC_SC_,"axG",@progbits,_Z39paged_attention_ll4mi_QKV_mfma16_kernelIDF16_DF16_LN4vllm18Fp8KVCacheDataTypeE0EhLi32ELi64ELi256ELb0ELi10EL8MFMAType0EEvPKT_PKT0_S8_ifPKiSA_SA_iPKfiiiPfSD_PS3_PT2_iSC_SC_,comdat
.Lfunc_end143:
	.size	_Z39paged_attention_ll4mi_QKV_mfma16_kernelIDF16_DF16_LN4vllm18Fp8KVCacheDataTypeE0EhLi32ELi64ELi256ELb0ELi10EL8MFMAType0EEvPKT_PKT0_S8_ifPKiSA_SA_iPKfiiiPfSD_PS3_PT2_iSC_SC_, .Lfunc_end143-_Z39paged_attention_ll4mi_QKV_mfma16_kernelIDF16_DF16_LN4vllm18Fp8KVCacheDataTypeE0EhLi32ELi64ELi256ELb0ELi10EL8MFMAType0EEvPKT_PKT0_S8_ifPKiSA_SA_iPKfiiiPfSD_PS3_PT2_iSC_SC_
                                        ; -- End function
	.section	.AMDGPU.csdata,"",@progbits
; Kernel info:
; codeLenInByte = 7264
; NumSgprs: 41
; NumVgprs: 154
; ScratchSize: 0
; MemoryBound: 0
; FloatMode: 240
; IeeeMode: 1
; LDSByteSize: 17472 bytes/workgroup (compile time only)
; SGPRBlocks: 5
; VGPRBlocks: 19
; NumSGPRsForWavesPerEU: 41
; NumVGPRsForWavesPerEU: 154
; Occupancy: 9
; WaveLimiterHint : 1
; COMPUTE_PGM_RSRC2:SCRATCH_EN: 0
; COMPUTE_PGM_RSRC2:USER_SGPR: 13
; COMPUTE_PGM_RSRC2:TRAP_HANDLER: 0
; COMPUTE_PGM_RSRC2:TGID_X_EN: 1
; COMPUTE_PGM_RSRC2:TGID_Y_EN: 1
; COMPUTE_PGM_RSRC2:TGID_Z_EN: 1
; COMPUTE_PGM_RSRC2:TIDIG_COMP_CNT: 0
	.section	.text._Z39paged_attention_ll4mi_QKV_mfma16_kernelIDF16_DF16_LN4vllm18Fp8KVCacheDataTypeE0EhLi32ELi64ELi256ELb0ELi11EL8MFMAType0EEvPKT_PKT0_S8_ifPKiSA_SA_iPKfiiiPfSD_PS3_PT2_iSC_SC_,"axG",@progbits,_Z39paged_attention_ll4mi_QKV_mfma16_kernelIDF16_DF16_LN4vllm18Fp8KVCacheDataTypeE0EhLi32ELi64ELi256ELb0ELi11EL8MFMAType0EEvPKT_PKT0_S8_ifPKiSA_SA_iPKfiiiPfSD_PS3_PT2_iSC_SC_,comdat
	.protected	_Z39paged_attention_ll4mi_QKV_mfma16_kernelIDF16_DF16_LN4vllm18Fp8KVCacheDataTypeE0EhLi32ELi64ELi256ELb0ELi11EL8MFMAType0EEvPKT_PKT0_S8_ifPKiSA_SA_iPKfiiiPfSD_PS3_PT2_iSC_SC_ ; -- Begin function _Z39paged_attention_ll4mi_QKV_mfma16_kernelIDF16_DF16_LN4vllm18Fp8KVCacheDataTypeE0EhLi32ELi64ELi256ELb0ELi11EL8MFMAType0EEvPKT_PKT0_S8_ifPKiSA_SA_iPKfiiiPfSD_PS3_PT2_iSC_SC_
	.globl	_Z39paged_attention_ll4mi_QKV_mfma16_kernelIDF16_DF16_LN4vllm18Fp8KVCacheDataTypeE0EhLi32ELi64ELi256ELb0ELi11EL8MFMAType0EEvPKT_PKT0_S8_ifPKiSA_SA_iPKfiiiPfSD_PS3_PT2_iSC_SC_
	.p2align	8
	.type	_Z39paged_attention_ll4mi_QKV_mfma16_kernelIDF16_DF16_LN4vllm18Fp8KVCacheDataTypeE0EhLi32ELi64ELi256ELb0ELi11EL8MFMAType0EEvPKT_PKT0_S8_ifPKiSA_SA_iPKfiiiPfSD_PS3_PT2_iSC_SC_,@function
_Z39paged_attention_ll4mi_QKV_mfma16_kernelIDF16_DF16_LN4vllm18Fp8KVCacheDataTypeE0EhLi32ELi64ELi256ELb0ELi11EL8MFMAType0EEvPKT_PKT0_S8_ifPKiSA_SA_iPKfiiiPfSD_PS3_PT2_iSC_SC_: ; @_Z39paged_attention_ll4mi_QKV_mfma16_kernelIDF16_DF16_LN4vllm18Fp8KVCacheDataTypeE0EhLi32ELi64ELi256ELb0ELi11EL8MFMAType0EEvPKT_PKT0_S8_ifPKiSA_SA_iPKfiiiPfSD_PS3_PT2_iSC_SC_
; %bb.0:
	s_load_b64 s[2:3], s[0:1], 0x30
	s_mov_b32 s34, s13
	s_waitcnt lgkmcnt(0)
	s_cmp_lg_u64 s[2:3], 0
	s_cselect_b32 s6, -1, 0
	s_ashr_i32 s35, s13, 31
	s_cmp_eq_u64 s[2:3], 0
	s_cbranch_scc1 .LBB144_3
; %bb.1:
	s_lshl_b64 s[4:5], s[34:35], 2
	s_delay_alu instid0(SALU_CYCLE_1) | instskip(SKIP_4) | instid1(SALU_CYCLE_1)
	s_add_u32 s4, s2, s4
	s_addc_u32 s5, s3, s5
	s_load_b64 s[4:5], s[4:5], 0x0
	s_waitcnt lgkmcnt(0)
	s_sub_i32 s4, s5, s4
	s_cmp_eq_u32 s4, 1
	s_cselect_b32 s4, -1, 0
	s_delay_alu instid0(SALU_CYCLE_1)
	s_and_not1_b32 vcc_lo, exec_lo, s4
	s_cbranch_vccz .LBB144_4
.LBB144_2:
	s_nop 0
	s_sendmsg sendmsg(MSG_DEALLOC_VGPRS)
	s_endpgm
.LBB144_3:
.LBB144_4:
	s_load_b64 s[8:9], s[0:1], 0x28
	s_lshl_b64 s[4:5], s[34:35], 2
	s_waitcnt lgkmcnt(0)
	s_add_u32 s8, s8, s4
	s_addc_u32 s9, s9, s5
	s_lshl_b32 s16, s14, 8
	s_load_b32 s18, s[8:9], 0x0
	s_waitcnt lgkmcnt(0)
	s_cmp_ge_i32 s16, s18
	s_cbranch_scc1 .LBB144_2
; %bb.5:
	s_and_not1_b32 vcc_lo, exec_lo, s6
	s_cbranch_vccnz .LBB144_7
; %bb.6:
	s_add_u32 s2, s2, s4
	s_addc_u32 s3, s3, s5
	s_load_b32 s17, s[2:3], 0x0
	s_branch .LBB144_8
.LBB144_7:
	s_mov_b32 s17, s34
.LBB144_8:
	s_clause 0x2
	s_load_b128 s[8:11], s[0:1], 0x8
	s_load_b64 s[12:13], s[0:1], 0x20
	s_load_b128 s[4:7], s[0:1], 0x48
	v_lshrrev_b32_e32 v78, 5, v0
	v_bfe_u32 v75, v0, 4, 1
	v_and_b32_e32 v77, 15, v0
	s_delay_alu instid0(VALU_DEP_2) | instskip(NEXT) | instid1(VALU_DEP_2)
	v_lshl_or_b32 v3, v78, 1, v75
	v_cmp_lt_u32_e64 s3, 7, v77
	v_lshlrev_b32_e32 v1, 3, v77
	v_cmp_gt_u32_e64 s2, 8, v77
	s_delay_alu instid0(VALU_DEP_4) | instskip(NEXT) | instid1(VALU_DEP_4)
	v_cmp_lt_u32_e32 vcc_lo, 10, v3
	s_or_b32 s3, s3, vcc_lo
	s_waitcnt lgkmcnt(0)
	s_and_saveexec_b32 s7, s3
	s_delay_alu instid0(SALU_CYCLE_1)
	s_xor_b32 s3, exec_lo, s7
; %bb.9:
	v_mov_b32_e32 v2, 0
                                        ; implicit-def: $vgpr3
; %bb.10:
	s_or_saveexec_b32 s3, s3
	v_and_b32_e32 v80, 31, v0
	v_and_b32_e32 v76, 1, v0
	s_mul_i32 s33, s15, 11
	s_xor_b32 exec_lo, exec_lo, s3
	s_cbranch_execz .LBB144_12
; %bb.11:
	s_load_b64 s[20:21], s[0:1], 0x0
	v_add_lshl_u32 v4, v3, s33, 6
	s_mul_hi_i32 s23, s17, s4
	s_mul_i32 s22, s17, s4
	v_lshlrev_b32_e32 v2, 1, v1
	s_lshl_b64 s[22:23], s[22:23], 1
	v_ashrrev_i32_e32 v5, 31, v4
	v_lshlrev_b32_e32 v3, 6, v3
	v_lshlrev_b32_e32 v8, 10, v76
	s_delay_alu instid0(VALU_DEP_3) | instskip(SKIP_3) | instid1(VALU_DEP_1)
	v_lshlrev_b64 v[4:5], 1, v[4:5]
	s_waitcnt lgkmcnt(0)
	s_add_u32 s4, s20, s22
	s_addc_u32 s7, s21, s23
	v_add_co_u32 v4, vcc_lo, s4, v4
	s_delay_alu instid0(VALU_DEP_2) | instskip(NEXT) | instid1(VALU_DEP_2)
	v_add_co_ci_u32_e32 v5, vcc_lo, s7, v5, vcc_lo
	v_add_co_u32 v4, vcc_lo, v4, v2
	s_delay_alu instid0(VALU_DEP_2) | instskip(SKIP_3) | instid1(VALU_DEP_1)
	v_add_co_ci_u32_e32 v5, vcc_lo, 0, v5, vcc_lo
	v_lshlrev_b32_e32 v2, 10, v77
	global_load_b128 v[4:7], v[4:5], off
	v_and_b32_e32 v2, 0x3800, v2
	v_or3_b32 v3, v2, v8, v3
	v_mov_b32_e32 v2, 0
	s_waitcnt vmcnt(0)
	ds_store_b128 v3, v[4:7]
.LBB144_12:
	s_or_b32 exec_lo, exec_lo, s3
	v_and_b32_e32 v3, 0xef, v0
	s_add_i32 s3, s18, 31
	s_clause 0x1
	s_load_b32 s4, s[0:1], 0x38
	s_load_b32 s35, s[0:1], 0x98
	s_ashr_i32 s7, s3, 31
	v_add_nc_u32_e32 v3, s16, v3
	s_lshr_b32 s7, s7, 27
	s_load_b32 s19, s[0:1], 0x1c
	s_add_i32 s3, s3, s7
	s_waitcnt lgkmcnt(0)
	v_ashrrev_i32_e32 v4, 31, v3
	v_cmp_gt_i32_e32 vcc_lo, s18, v3
	s_ashr_i32 s3, s3, 5
	s_barrier
	s_add_i32 s3, s3, -1
	v_lshrrev_b32_e32 v5, 27, v4
	v_or_b32_e32 v4, 16, v3
	buffer_gl0_inv
	s_mul_i32 s6, s15, s6
	v_lshlrev_b64 v[73:74], 1, v[1:2]
	v_add_nc_u32_e32 v6, v3, v5
	v_add_nc_u32_e32 v5, v4, v5
	s_mul_i32 s20, s34, s4
	s_delay_alu instid0(SALU_CYCLE_1) | instskip(NEXT) | instid1(VALU_DEP_2)
	s_ashr_i32 s21, s20, 31
	v_ashrrev_i32_e32 v6, 5, v6
	s_delay_alu instid0(VALU_DEP_2) | instskip(SKIP_1) | instid1(SALU_CYCLE_1)
	v_ashrrev_i32_e32 v5, 5, v5
	s_lshl_b64 s[20:21], s[20:21], 2
	s_add_u32 s4, s12, s20
	s_delay_alu instid0(VALU_DEP_2) | instskip(SKIP_3) | instid1(SALU_CYCLE_1)
	v_cndmask_b32_e32 v3, s3, v6, vcc_lo
	v_cmp_gt_i32_e32 vcc_lo, s18, v4
	s_addc_u32 s17, s13, s21
	s_ashr_i32 s7, s6, 31
	s_lshl_b64 s[6:7], s[6:7], 1
	v_cndmask_b32_e32 v5, s3, v5, vcc_lo
	v_ashrrev_i32_e32 v4, 31, v3
	s_add_u32 s15, s8, s6
	s_addc_u32 s28, s9, s7
	s_lshl_b32 s8, s14, 3
	v_ashrrev_i32_e32 v6, 31, v5
	v_lshlrev_b64 v[3:4], 2, v[3:4]
	s_ashr_i32 s9, s8, 31
	s_delay_alu instid0(SALU_CYCLE_1) | instskip(NEXT) | instid1(VALU_DEP_2)
	s_lshl_b64 s[8:9], s[8:9], 2
	v_lshlrev_b64 v[5:6], 2, v[5:6]
	s_add_u32 s8, s4, s8
	s_delay_alu instid0(VALU_DEP_2) | instskip(SKIP_1) | instid1(VALU_DEP_3)
	v_add_co_u32 v3, vcc_lo, s4, v3
	v_add_co_ci_u32_e32 v4, vcc_lo, s17, v4, vcc_lo
	v_add_co_u32 v5, vcc_lo, s4, v5
	s_delay_alu instid0(VALU_DEP_4)
	v_add_co_ci_u32_e32 v6, vcc_lo, s17, v6, vcc_lo
	s_addc_u32 s9, s17, s9
	s_clause 0x1
	global_load_b32 v7, v[3:4], off
	global_load_b32 v8, v[5:6], off
	s_or_b32 s12, s16, 32
	s_delay_alu instid0(SALU_CYCLE_1) | instskip(SKIP_2) | instid1(SALU_CYCLE_1)
	s_ashr_i32 s13, s12, 5
	s_cmp_lt_i32 s12, s18
	s_cselect_b32 s12, s13, s3
	s_ashr_i32 s13, s12, 31
	s_delay_alu instid0(SALU_CYCLE_1) | instskip(NEXT) | instid1(SALU_CYCLE_1)
	s_lshl_b64 s[12:13], s[12:13], 2
	s_add_u32 s12, s4, s12
	s_addc_u32 s13, s17, s13
	s_or_b32 s20, s16, 64
	s_delay_alu instid0(SALU_CYCLE_1) | instskip(SKIP_2) | instid1(SALU_CYCLE_1)
	s_ashr_i32 s21, s20, 5
	s_cmp_lt_i32 s20, s18
	s_cselect_b32 s20, s21, s3
	s_ashr_i32 s21, s20, 31
	s_delay_alu instid0(SALU_CYCLE_1) | instskip(NEXT) | instid1(SALU_CYCLE_1)
	s_lshl_b64 s[20:21], s[20:21], 2
	s_add_u32 s20, s4, s20
	s_addc_u32 s21, s17, s21
	;; [unrolled: 10-line block ×5, first 2 shown]
	s_clause 0x5
	s_load_b32 s29, s[8:9], 0x0
	s_load_b32 s30, s[12:13], 0x0
	s_load_b32 s31, s[20:21], 0x0
	s_load_b32 s36, s[22:23], 0x0
	s_load_b32 s37, s[24:25], 0x0
	s_load_b32 s38, s[26:27], 0x0
	s_mov_b32 s20, 0
	s_or_b32 s8, s16, 0xc0
	s_mov_b32 s21, s20
	s_mov_b32 s22, s20
	;; [unrolled: 1-line block ×7, first 2 shown]
	s_ashr_i32 s9, s8, 5
	v_mov_b32_e32 v128, s27
	s_cmp_lt_i32 s8, s18
	v_mov_b32_e32 v127, s26
	s_cselect_b32 s8, s9, s3
	v_mov_b32_e32 v126, s25
	s_ashr_i32 s9, s8, 31
	v_mov_b32_e32 v125, s24
	s_lshl_b64 s[8:9], s[8:9], 2
	v_mov_b32_e32 v124, s23
	s_add_u32 s8, s4, s8
	s_addc_u32 s9, s17, s9
	v_mov_b32_e32 v123, s22
	v_mov_b32_e32 v121, s20
	s_waitcnt lgkmcnt(0)
	s_mul_hi_i32 s13, s29, s5
	s_mul_i32 s12, s29, s5
	v_mov_b32_e32 v122, s21
	s_mul_hi_i32 s21, s30, s5
	s_mul_i32 s20, s30, s5
	s_mul_hi_i32 s25, s31, s5
	s_mul_i32 s24, s31, s5
	;; [unrolled: 2-line block ×4, first 2 shown]
	s_waitcnt vmcnt(1)
	v_mad_i64_i32 v[3:4], null, v7, s5, 0
	s_waitcnt vmcnt(0)
	v_mad_i64_i32 v[5:6], null, v8, s5, 0
	s_delay_alu instid0(VALU_DEP_2) | instskip(NEXT) | instid1(VALU_DEP_2)
	v_lshlrev_b64 v[3:4], 1, v[3:4]
	v_lshlrev_b64 v[1:2], 1, v[5:6]
	s_delay_alu instid0(VALU_DEP_2) | instskip(NEXT) | instid1(VALU_DEP_3)
	v_add_co_u32 v3, vcc_lo, s15, v3
	v_add_co_ci_u32_e32 v4, vcc_lo, s28, v4, vcc_lo
	s_delay_alu instid0(VALU_DEP_3) | instskip(NEXT) | instid1(VALU_DEP_4)
	v_add_co_u32 v1, vcc_lo, s15, v1
	v_add_co_ci_u32_e32 v2, vcc_lo, s28, v2, vcc_lo
	s_delay_alu instid0(VALU_DEP_4) | instskip(NEXT) | instid1(VALU_DEP_4)
	v_add_co_u32 v25, vcc_lo, v3, v73
	v_add_co_ci_u32_e32 v26, vcc_lo, v4, v74, vcc_lo
	s_delay_alu instid0(VALU_DEP_4) | instskip(NEXT) | instid1(VALU_DEP_4)
	v_add_co_u32 v27, vcc_lo, v1, v73
	v_add_co_ci_u32_e32 v28, vcc_lo, v2, v74, vcc_lo
	s_clause 0xf
	global_load_b128 v[1:4], v[25:26], off
	global_load_b128 v[5:8], v[25:26], off offset:512
	global_load_b128 v[9:12], v[27:28], off offset:256
	;; [unrolled: 1-line block ×15, first 2 shown]
	v_add_nc_u32_e32 v25, -11, v77
	v_cmp_gt_u32_e32 vcc_lo, 11, v77
	s_or_b32 s15, s16, 0xe0
	s_delay_alu instid0(SALU_CYCLE_1) | instskip(SKIP_3) | instid1(SALU_CYCLE_1)
	s_ashr_i32 s22, s15, 5
	s_cmp_lt_i32 s15, s18
	v_cndmask_b32_e32 v25, v25, v77, vcc_lo
	s_cselect_b32 s22, s22, s3
	s_ashr_i32 s23, s22, 31
	s_delay_alu instid0(VALU_DEP_1)
	v_lshlrev_b32_e32 v151, 6, v25
	ds_load_b128 v[25:28], v151
	ds_load_b128 v[29:32], v151 offset:1024
	ds_load_b128 v[129:132], v151 offset:2048
	;; [unrolled: 1-line block ×3, first 2 shown]
	s_lshl_b64 s[22:23], s[22:23], 2
	s_delay_alu instid0(SALU_CYCLE_1) | instskip(SKIP_2) | instid1(SALU_CYCLE_1)
	s_add_u32 s22, s4, s22
	s_addc_u32 s23, s17, s23
	s_add_i32 s15, s16, 0x100
	s_ashr_i32 s28, s15, 5
	s_cmp_lt_i32 s15, s18
	s_load_b32 s15, s[8:9], 0x0
	s_cselect_b32 s28, s28, s3
	s_mul_hi_i32 s9, s37, s5
	s_ashr_i32 s29, s28, 31
	s_mul_i32 s8, s37, s5
	s_lshl_b64 s[28:29], s[28:29], 2
	s_delay_alu instid0(SALU_CYCLE_1)
	s_add_u32 s28, s4, s28
	s_addc_u32 s29, s17, s29
	s_add_u32 s3, s10, s6
	s_clause 0x1
	s_load_b32 s4, s[22:23], 0x0
	s_load_b32 s17, s[28:29], 0x0
	s_addc_u32 s28, s11, s7
	s_lshl_b64 s[6:7], s[12:13], 1
	s_lshl_b64 s[10:11], s[20:21], 1
	;; [unrolled: 1-line block ×6, first 2 shown]
	s_waitcnt lgkmcnt(0)
	s_mul_hi_i32 s25, s15, s5
	s_mul_i32 s24, s15, s5
	s_delay_alu instid0(SALU_CYCLE_1)
	s_lshl_b64 s[24:25], s[24:25], 1
	s_waitcnt vmcnt(14)
	v_wmma_f32_16x16x16_f16 v[137:144], v[1:8], v[25:32], v[121:128]
	s_waitcnt vmcnt(12)
	v_wmma_f32_16x16x16_f16 v[121:128], v[9:16], v[25:32], v[121:128]
	s_waitcnt vmcnt(10)
	s_delay_alu instid0(VALU_DEP_2) | instskip(SKIP_1) | instid1(VALU_DEP_2)
	v_wmma_f32_16x16x16_f16 v[137:144], v[17:24], v[129:136], v[137:144]
	s_waitcnt vmcnt(8)
	v_wmma_f32_16x16x16_f16 v[121:128], v[81:88], v[129:136], v[121:128]
	v_mbcnt_lo_u32_b32 v130, -1, 0
	s_delay_alu instid0(VALU_DEP_1) | instskip(SKIP_1) | instid1(VALU_DEP_1)
	v_xor_b32_e32 v131, 16, v130
	v_lshlrev_b32_e32 v79, 6, v77
	v_lshl_or_b32 v33, v78, 10, v79
	s_delay_alu instid0(VALU_DEP_1) | instskip(NEXT) | instid1(VALU_DEP_1)
	v_add_co_u32 v152, s3, s3, v33
	v_add_co_ci_u32_e64 v153, null, s28, 0, s3
	s_delay_alu instid0(VALU_DEP_2) | instskip(NEXT) | instid1(VALU_DEP_2)
	v_add_co_u32 v33, vcc_lo, v152, s6
	v_add_co_ci_u32_e32 v34, vcc_lo, s7, v153, vcc_lo
	v_add_co_u32 v35, vcc_lo, v152, s10
	v_add_co_ci_u32_e32 v36, vcc_lo, s11, v153, vcc_lo
	v_add_co_u32 v37, vcc_lo, v152, s12
	v_add_co_ci_u32_e32 v38, vcc_lo, s13, v153, vcc_lo
	v_add_co_u32 v39, vcc_lo, v152, s20
	v_add_co_ci_u32_e32 v40, vcc_lo, s21, v153, vcc_lo
	v_add_co_u32 v145, vcc_lo, v152, s8
	v_add_co_ci_u32_e32 v146, vcc_lo, s9, v153, vcc_lo
	v_add_co_u32 v147, vcc_lo, v152, s22
	v_add_co_ci_u32_e32 v148, vcc_lo, s23, v153, vcc_lo
	s_mul_hi_i32 s7, s4, s5
	s_mul_i32 s6, s4, s5
	v_add_co_u32 v149, vcc_lo, v152, s24
	s_lshl_b64 s[6:7], s[6:7], 1
	v_add_co_ci_u32_e32 v150, vcc_lo, s25, v153, vcc_lo
	v_add_co_u32 v29, vcc_lo, v152, s6
	v_add_co_ci_u32_e32 v30, vcc_lo, s7, v153, vcc_lo
	s_mul_hi_i32 s7, s17, s5
	s_mul_i32 s6, s17, s5
	s_clause 0x7
	global_load_b128 v[65:68], v[33:34], off
	global_load_b128 v[69:72], v[33:34], off offset:16
	global_load_b128 v[57:60], v[35:36], off
	global_load_b128 v[61:64], v[35:36], off offset:16
	;; [unrolled: 2-line block ×4, first 2 shown]
	s_lshl_b64 s[4:5], s[6:7], 1
	s_clause 0x1
	global_load_b128 v[9:12], v[145:146], off
	global_load_b128 v[13:16], v[145:146], off offset:16
	v_add_co_u32 v21, vcc_lo, v152, s4
	v_add_co_ci_u32_e32 v22, vcc_lo, s5, v153, vcc_lo
	s_clause 0x7
	global_load_b128 v[1:4], v[147:148], off
	global_load_b128 v[5:8], v[147:148], off offset:16
	global_load_b128 v[33:36], v[149:150], off
	global_load_b128 v[37:40], v[149:150], off offset:16
	;; [unrolled: 2-line block ×4, first 2 shown]
	ds_load_b128 v[81:84], v151 offset:4096
	ds_load_b128 v[85:88], v151 offset:5120
	v_cmp_gt_i32_e32 vcc_lo, 32, v131
	v_cndmask_b32_e32 v130, v130, v131, vcc_lo
	s_waitcnt vmcnt(24) lgkmcnt(0)
	v_wmma_f32_16x16x16_f16 v[137:144], v[89:96], v[81:88], v[137:144]
	ds_load_b128 v[89:92], v151 offset:6144
	ds_load_b128 v[93:96], v151 offset:7168
	s_waitcnt vmcnt(22)
	v_wmma_f32_16x16x16_f16 v[121:128], v[97:104], v[81:88], v[121:128]
	s_waitcnt vmcnt(0) lgkmcnt(0)
	s_barrier
	buffer_gl0_inv
	v_wmma_f32_16x16x16_f16 v[121:128], v[113:120], v[89:96], v[121:128]
	v_and_b32_e32 v129, 0xe0, v0
	v_wmma_f32_16x16x16_f16 v[137:144], v[105:112], v[89:96], v[137:144]
	s_delay_alu instid0(VALU_DEP_2) | instskip(NEXT) | instid1(VALU_DEP_2)
	v_dual_mul_f32 v104, s19, v126 :: v_dual_add_nc_u32 v129, s16, v129
	v_dual_mul_f32 v106, s19, v124 :: v_dual_mul_f32 v95, s19, v138
	s_delay_alu instid0(VALU_DEP_3) | instskip(NEXT) | instid1(VALU_DEP_3)
	v_dual_mul_f32 v96, s19, v137 :: v_dual_mul_f32 v93, s19, v140
	v_or_b32_e32 v129, v129, v75
	v_dual_mul_f32 v94, s19, v139 :: v_dual_mul_f32 v91, s19, v142
	v_dual_mul_f32 v92, s19, v141 :: v_dual_mul_f32 v89, s19, v144
	v_mul_f32_e32 v108, s19, v122
	s_delay_alu instid0(VALU_DEP_4)
	v_or_b32_e32 v131, 2, v129
	v_or_b32_e32 v132, 4, v129
	;; [unrolled: 1-line block ×3, first 2 shown]
	v_cmp_gt_i32_e32 vcc_lo, s18, v129
	v_or_b32_e32 v82, 8, v129
	v_cmp_gt_i32_e64 s3, s18, v131
	v_or_b32_e32 v83, 10, v129
	v_cmp_gt_i32_e64 s4, s18, v132
	v_cndmask_b32_e32 v96, 0xff7fffff, v96, vcc_lo
	v_cmp_gt_i32_e64 s5, s18, v81
	v_cndmask_b32_e64 v95, 0xff7fffff, v95, s3
	v_or_b32_e32 v84, 12, v129
	v_or_b32_e32 v85, 14, v129
	v_cndmask_b32_e64 v94, 0xff7fffff, v94, s4
	v_cndmask_b32_e64 v81, 0xff7fffff, v93, s5
	v_max3_f32 v93, v96, 0xff7fffff, v95
	v_cmp_gt_i32_e64 s6, s18, v82
	v_cmp_gt_i32_e64 s7, s18, v83
	v_or_b32_e32 v86, 16, v129
	v_or_b32_e32 v87, 18, v129
	v_mul_f32_e32 v90, s19, v143
	v_cndmask_b32_e64 v82, 0xff7fffff, v92, s6
	v_cndmask_b32_e64 v83, 0xff7fffff, v91, s7
	v_max3_f32 v81, v93, v94, v81
	v_cmp_gt_i32_e64 s8, s18, v84
	v_cmp_gt_i32_e64 s9, s18, v85
	v_or_b32_e32 v88, 20, v129
	v_or_b32_e32 v97, 22, v129
	v_mul_f32_e32 v109, s19, v121
	;; [unrolled: 8-line block ×4, first 2 shown]
	v_cndmask_b32_e64 v84, 0xff7fffff, v107, s12
	v_cndmask_b32_e64 v85, 0xff7fffff, v106, s13
	v_max3_f32 v81, v81, v82, v83
	v_cmp_gt_i32_e64 s15, s18, v98
	v_cmp_gt_i32_e64 s16, s18, v99
	v_dual_mul_f32 v102, s19, v128 :: v_dual_mul_f32 v103, s19, v127
	s_delay_alu instid0(VALU_DEP_4) | instskip(NEXT) | instid1(VALU_DEP_4)
	v_max3_f32 v81, v81, v84, v85
	v_cndmask_b32_e64 v82, 0xff7fffff, v105, s15
	s_delay_alu instid0(VALU_DEP_4) | instskip(SKIP_2) | instid1(VALU_DEP_3)
	v_cndmask_b32_e64 v83, 0xff7fffff, v104, s16
	v_cmp_gt_i32_e64 s17, s18, v100
	v_cmp_gt_i32_e64 s18, s18, v101
	v_max3_f32 v81, v81, v82, v83
	s_delay_alu instid0(VALU_DEP_3) | instskip(NEXT) | instid1(VALU_DEP_3)
	v_cndmask_b32_e64 v84, 0xff7fffff, v103, s17
	v_cndmask_b32_e64 v85, 0xff7fffff, v102, s18
	v_lshlrev_b32_e32 v83, 2, v130
	s_delay_alu instid0(VALU_DEP_2) | instskip(SKIP_3) | instid1(VALU_DEP_1)
	v_max3_f32 v81, v81, v84, v85
	ds_bpermute_b32 v82, v83, v81
	s_waitcnt lgkmcnt(0)
	v_max_f32_e32 v82, v82, v82
	v_max_f32_e32 v81, v81, v82
	s_delay_alu instid0(VALU_DEP_1)
	v_fma_f32 v82, s19, v137, -v81
	v_fma_f32 v84, s19, v138, -v81
	;; [unrolled: 1-line block ×5, first 2 shown]
	v_mul_f32_e32 v82, 0x3fb8aa3b, v82
	s_delay_alu instid0(VALU_DEP_4) | instskip(NEXT) | instid1(VALU_DEP_3)
	v_dual_mul_f32 v84, 0x3fb8aa3b, v84 :: v_dual_mul_f32 v85, 0x3fb8aa3b, v85
	v_dual_mul_f32 v86, 0x3fb8aa3b, v86 :: v_dual_mul_f32 v89, 0x3fb8aa3b, v87
	s_delay_alu instid0(VALU_DEP_3) | instskip(NEXT) | instid1(VALU_DEP_2)
	v_exp_f32_e32 v82, v82
	v_exp_f32_e32 v84, v84
	s_delay_alu instid0(VALU_DEP_2) | instskip(NEXT) | instid1(VALU_DEP_1)
	v_exp_f32_e32 v85, v85
	v_exp_f32_e32 v86, v86
	;; [unrolled: 1-line block ×3, first 2 shown]
	v_cndmask_b32_e32 v88, 0, v82, vcc_lo
	v_cndmask_b32_e64 v87, 0, v84, s3
	s_delay_alu instid0(TRANS32_DEP_3)
	v_cndmask_b32_e64 v90, 0, v85, s4
	s_waitcnt_depctr 0xfff
	v_cndmask_b32_e64 v89, 0, v86, s5
	v_cndmask_b32_e64 v92, 0, v92, s6
	v_add_f32_e32 v84, 0, v88
	v_cmp_gt_u32_e64 s3, 16, v80
	s_delay_alu instid0(VALU_DEP_2) | instskip(NEXT) | instid1(VALU_DEP_1)
	v_add_f32_e32 v84, v84, v87
	v_add_f32_e32 v84, v84, v90
	s_delay_alu instid0(VALU_DEP_1)
	v_add_f32_e32 v84, v84, v89
	v_fma_f32 v82, s19, v142, -v81
	v_fma_f32 v91, s19, v143, -v81
	;; [unrolled: 1-line block ×5, first 2 shown]
	s_delay_alu instid0(VALU_DEP_4) | instskip(SKIP_1) | instid1(VALU_DEP_4)
	v_dual_mul_f32 v82, 0x3fb8aa3b, v82 :: v_dual_mul_f32 v91, 0x3fb8aa3b, v91
	v_fma_f32 v96, s19, v124, -v81
	v_mul_f32_e32 v86, 0x3fb8aa3b, v86
	s_delay_alu instid0(VALU_DEP_4) | instskip(NEXT) | instid1(VALU_DEP_4)
	v_mul_f32_e32 v95, 0x3fb8aa3b, v94
	v_exp_f32_e32 v82, v82
	v_exp_f32_e32 v93, v91
	v_mul_f32_e32 v97, 0x3fb8aa3b, v96
	v_exp_f32_e32 v86, v86
	v_fma_f32 v99, s19, v127, -v81
	s_delay_alu instid0(VALU_DEP_2) | instskip(SKIP_2) | instid1(TRANS32_DEP_3)
	v_exp_f32_e32 v97, v97
	v_cndmask_b32_e64 v91, 0, v82, s7
	v_dual_add_f32 v82, v84, v92 :: v_dual_mul_f32 v85, 0x3fb8aa3b, v85
	v_cndmask_b32_e64 v94, 0, v93, s8
	v_fma_f32 v84, s19, v123, -v81
	s_delay_alu instid0(TRANS32_DEP_2) | instskip(NEXT) | instid1(VALU_DEP_4)
	v_cndmask_b32_e64 v96, 0, v86, s10
	v_add_f32_e32 v82, v82, v91
	v_exp_f32_e32 v85, v85
	v_fma_f32 v86, s19, v126, -v81
	v_mul_f32_e32 v84, 0x3fb8aa3b, v84
	v_cndmask_b32_e64 v97, 0, v97, s13
	v_add_f32_e32 v82, v82, v94
	s_delay_alu instid0(VALU_DEP_3) | instskip(SKIP_3) | instid1(VALU_DEP_2)
	v_exp_f32_e32 v84, v84
	s_waitcnt_depctr 0xfff
	v_cndmask_b32_e64 v93, 0, v85, s9
	v_fma_f32 v85, s19, v125, -v81
	v_add_f32_e32 v82, v82, v93
	v_exp_f32_e32 v95, v95
	s_delay_alu instid0(VALU_DEP_2)
	v_mul_f32_e32 v85, 0x3fb8aa3b, v85
	v_cndmask_b32_e64 v98, 0, v84, s12
	v_mul_f32_e32 v84, 0x3fb8aa3b, v99
	v_add_f32_e32 v82, v82, v96
	v_fma_f32 v99, s19, v128, -v81
	v_exp_f32_e32 v85, v85
	v_mul_f32_e32 v86, 0x3fb8aa3b, v86
	v_exp_f32_e32 v84, v84
	s_delay_alu instid0(TRANS32_DEP_3) | instskip(NEXT) | instid1(VALU_DEP_1)
	v_cndmask_b32_e64 v95, 0, v95, s11
	v_add_f32_e32 v82, v82, v95
	s_waitcnt_depctr 0xfff
	v_cndmask_b32_e64 v100, 0, v85, s15
	v_mul_f32_e32 v85, 0x3fb8aa3b, v99
	v_exp_f32_e32 v86, v86
	v_cndmask_b32_e64 v102, 0, v84, s17
	v_add_f32_e32 v82, v82, v98
	s_delay_alu instid0(VALU_DEP_3) | instskip(NEXT) | instid1(VALU_DEP_1)
	v_exp_f32_e32 v85, v85
	v_add_f32_e32 v82, v82, v97
	s_waitcnt_depctr 0xfff
	v_cndmask_b32_e64 v99, 0, v86, s16
	v_add_f32_e32 v82, v82, v100
	v_cndmask_b32_e64 v101, 0, v85, s18
	s_delay_alu instid0(VALU_DEP_2) | instskip(NEXT) | instid1(VALU_DEP_1)
	v_add_f32_e32 v82, v82, v99
	v_add_f32_e32 v82, v82, v102
	s_delay_alu instid0(VALU_DEP_1)
	v_add_f32_e32 v82, v82, v101
	ds_bpermute_b32 v83, v83, v82
	s_and_saveexec_b32 s4, s3
	s_cbranch_execz .LBB144_14
; %bb.13:
	v_mul_u32_u24_e32 v80, 0x44, v78
	s_waitcnt lgkmcnt(0)
	v_add_f32_e32 v82, v82, v83
	s_delay_alu instid0(VALU_DEP_2) | instskip(NEXT) | instid1(VALU_DEP_1)
	v_lshl_add_u32 v80, v77, 2, v80
	v_add_nc_u32_e32 v80, 0x4000, v80
	ds_store_2addr_b32 v80, v81, v82 offset1:136
.LBB144_14:
	s_or_b32 exec_lo, exec_lo, s4
	v_lshlrev_b32_e32 v80, 2, v77
	s_load_b32 s36, s[0:1], 0x94
	s_waitcnt lgkmcnt(0)
	s_barrier
	buffer_gl0_inv
	v_add_nc_u32_e32 v84, 0x4000, v80
	v_cmp_eq_u32_e32 vcc_lo, 1, v78
	v_cmp_eq_u32_e64 s4, 2, v78
	v_cmp_eq_u32_e64 s5, 3, v78
	;; [unrolled: 1-line block ×3, first 2 shown]
	ds_load_2addr_b32 v[80:81], v84 offset1:17
	ds_load_2addr_b32 v[82:83], v84 offset0:34 offset1:51
	ds_load_2addr_b32 v[103:104], v84 offset0:68 offset1:85
	;; [unrolled: 1-line block ×3, first 2 shown]
	v_cmp_eq_u32_e64 s7, 7, v78
	s_waitcnt lgkmcnt(3)
	v_max3_f32 v85, v80, 0xff7fffff, v81
	s_waitcnt lgkmcnt(2)
	s_delay_alu instid0(VALU_DEP_1) | instskip(SKIP_1) | instid1(VALU_DEP_1)
	v_max3_f32 v85, v85, v82, v83
	s_waitcnt lgkmcnt(1)
	v_max3_f32 v85, v85, v103, v104
	s_waitcnt lgkmcnt(0)
	s_delay_alu instid0(VALU_DEP_1) | instskip(NEXT) | instid1(VALU_DEP_1)
	v_max3_f32 v85, v85, v105, v106
	v_sub_f32_e32 v103, v103, v85
	ds_load_2addr_b32 v[107:108], v84 offset0:136 offset1:153
	v_sub_f32_e32 v80, v80, v85
	v_dual_sub_f32 v110, v83, v85 :: v_dual_mul_f32 v113, 0x3fb8aa3b, v103
	s_delay_alu instid0(VALU_DEP_2) | instskip(SKIP_3) | instid1(VALU_DEP_1)
	v_dual_sub_f32 v86, v81, v85 :: v_dual_mul_f32 v109, 0x3fb8aa3b, v80
	ds_load_2addr_b32 v[80:81], v84 offset0:170 offset1:187
	v_mul_f32_e32 v86, 0x3fb8aa3b, v86
	v_exp_f32_e32 v109, v109
	v_exp_f32_e32 v112, v86
	v_mul_f32_e32 v110, 0x3fb8aa3b, v110
	s_waitcnt lgkmcnt(1)
	s_waitcnt_depctr 0xfff
	v_fma_f32 v86, v109, v107, 0
	v_sub_f32_e32 v107, v104, v85
	v_sub_f32_e32 v82, v82, v85
	v_exp_f32_e32 v110, v110
	ds_load_2addr_b32 v[103:104], v84 offset0:238 offset1:255
	v_dual_fmac_f32 v86, v112, v108 :: v_dual_mul_f32 v111, 0x3fb8aa3b, v82
	ds_load_2addr_b32 v[82:83], v84 offset0:204 offset1:221
	v_dual_sub_f32 v84, v105, v85 :: v_dual_mul_f32 v105, 0x3fb8aa3b, v107
	v_exp_f32_e32 v107, v113
	v_exp_f32_e32 v111, v111
	s_waitcnt lgkmcnt(0)
	s_delay_alu instid0(VALU_DEP_1)
	v_mul_f32_e32 v84, 0x3fb8aa3b, v84
	v_exp_f32_e32 v105, v105
	s_barrier
	buffer_gl0_inv
	v_fmac_f32_e32 v86, v111, v80
	v_sub_f32_e32 v80, v106, v85
	v_exp_f32_e32 v106, v84
	s_delay_alu instid0(VALU_DEP_2) | instskip(NEXT) | instid1(VALU_DEP_2)
	v_fmac_f32_e32 v86, v110, v81
	v_mul_f32_e32 v80, 0x3fb8aa3b, v80
	s_delay_alu instid0(VALU_DEP_2) | instskip(NEXT) | instid1(VALU_DEP_2)
	v_dual_cndmask_b32 v81, v109, v112 :: v_dual_fmac_f32 v86, v107, v82
	v_exp_f32_e32 v108, v80
	s_delay_alu instid0(VALU_DEP_1) | instskip(SKIP_2) | instid1(VALU_DEP_1)
	v_fmac_f32_e32 v86, v105, v83
	s_waitcnt_depctr 0xfff
	v_fmac_f32_e32 v86, v106, v103
	v_fmac_f32_e32 v86, v108, v104
	s_delay_alu instid0(VALU_DEP_1) | instskip(NEXT) | instid1(VALU_DEP_1)
	v_add_f32_e32 v103, 0x358637bd, v86
	v_div_scale_f32 v104, null, v103, v103, 1.0
	v_div_scale_f32 v109, vcc_lo, 1.0, v103, 1.0
	s_delay_alu instid0(VALU_DEP_2) | instskip(SKIP_2) | instid1(VALU_DEP_1)
	v_rcp_f32_e32 v113, v104
	s_waitcnt_depctr 0xfff
	v_fma_f32 v80, -v104, v113, 1.0
	v_fmac_f32_e32 v113, v80, v113
	v_cndmask_b32_e64 v80, v81, v111, s4
	v_cmp_eq_u32_e64 s4, 4, v78
	v_lshl_or_b32 v81, v78, 11, v79
	s_delay_alu instid0(VALU_DEP_4) | instskip(NEXT) | instid1(VALU_DEP_4)
	v_mul_f32_e32 v111, v109, v113
	v_cndmask_b32_e64 v82, v80, v110, s5
	v_cmp_eq_u32_e64 s5, 6, v78
	s_delay_alu instid0(VALU_DEP_4) | instskip(SKIP_3) | instid1(VALU_DEP_3)
	v_lshl_or_b32 v78, v75, 4, v81
	v_lshlrev_b32_e32 v80, 2, v75
	v_fma_f32 v83, -v104, v111, v109
	v_cndmask_b32_e64 v84, v82, v107, s4
	v_or_b32_e32 v82, 1, v80
	s_delay_alu instid0(VALU_DEP_3) | instskip(NEXT) | instid1(VALU_DEP_3)
	v_fmac_f32_e32 v111, v83, v113
	v_cndmask_b32_e64 v105, v84, v105, s6
	v_or_b32_e32 v84, 2, v80
	v_or_b32_e32 v83, 3, v80
	v_cmp_eq_u32_e64 s4, 1, v80
	v_fma_f32 v104, -v104, v111, v109
	v_cndmask_b32_e64 v105, v105, v106, s5
	v_cmp_eq_u32_e64 s10, 1, v82
	v_cmp_eq_u32_e64 s11, 1, v84
	;; [unrolled: 1-line block ×3, first 2 shown]
	v_div_fmas_f32 v104, v104, v113, v111
	v_cndmask_b32_e64 v105, v105, v108, s7
	v_cmp_eq_u32_e32 vcc_lo, 2, v80
	v_cmp_eq_u32_e64 s13, 2, v82
	v_cmp_eq_u32_e64 s16, 2, v84
	v_div_fixup_f32 v103, v104, v103, 1.0
	v_cmp_eq_u32_e64 s17, 2, v83
	v_cmp_eq_u32_e64 s19, 3, v83
	;; [unrolled: 1-line block ×4, first 2 shown]
	v_mul_f32_e32 v111, v105, v103
	v_cmp_eq_u32_e64 s18, 3, v84
	v_cmp_eq_u32_e64 s23, 4, v83
	;; [unrolled: 1-line block ×4, first 2 shown]
	v_fma_mixlo_f16 v103, v111, v88, 0
	v_fma_mixlo_f16 v104, v111, v90, 0
	;; [unrolled: 1-line block ×8, first 2 shown]
	v_fma_mixhi_f16 v103, v111, v87, 0
	v_fma_mixhi_f16 v104, v111, v89, 0
	;; [unrolled: 1-line block ×8, first 2 shown]
	ds_store_b128 v78, v[103:106]
	ds_store_b128 v78, v[107:110] offset:1024
	s_waitcnt lgkmcnt(0)
	s_barrier
	buffer_gl0_inv
	ds_load_b128 v[87:90], v81
	ds_load_b128 v[91:94], v81 offset:16
	ds_load_b128 v[95:98], v81 offset:1024
	;; [unrolled: 1-line block ×3, first 2 shown]
	v_cmp_eq_u32_e64 s22, 4, v84
	v_cmp_eq_u32_e64 s25, 5, v83
	;; [unrolled: 1-line block ×13, first 2 shown]
	s_waitcnt lgkmcnt(3)
	v_lshrrev_b32_e32 v103, 16, v87
	s_waitcnt lgkmcnt(2)
	v_lshrrev_b32_e32 v107, 16, v91
	;; [unrolled: 2-line block ×4, first 2 shown]
	v_lshrrev_b32_e32 v104, 16, v88
	v_cndmask_b32_e64 v119, v87, v103, s4
	v_cndmask_b32_e64 v120, v91, v107, s4
	;; [unrolled: 1-line block ×8, first 2 shown]
	v_lshrrev_b32_e32 v108, 16, v92
	v_cndmask_b32_e64 v103, v95, v111, s4
	v_cndmask_b32_e64 v107, v99, v115, s4
	;; [unrolled: 1-line block ×5, first 2 shown]
	v_cndmask_b32_e32 v111, v119, v88, vcc_lo
	v_cndmask_b32_e64 v119, v121, v88, s13
	v_cndmask_b32_e64 v121, v123, v88, s16
	;; [unrolled: 1-line block ×4, first 2 shown]
	v_lshrrev_b32_e32 v112, 16, v96
	v_lshrrev_b32_e32 v116, 16, v100
	v_cndmask_b32_e64 v126, v99, v115, s10
	v_cndmask_b32_e64 v128, v99, v115, s11
	;; [unrolled: 1-line block ×3, first 2 shown]
	v_cndmask_b32_e32 v115, v120, v92, vcc_lo
	v_cndmask_b32_e64 v120, v122, v92, s13
	v_cndmask_b32_e64 v122, v124, v92, s16
	v_cndmask_b32_e32 v91, v103, v96, vcc_lo
	v_cndmask_b32_e32 v92, v107, v100, vcc_lo
	v_cndmask_b32_e64 v103, v125, v96, s13
	v_cndmask_b32_e64 v87, v87, v104, s19
	;; [unrolled: 1-line block ×3, first 2 shown]
	v_lshrrev_b32_e32 v105, 16, v89
	v_lshrrev_b32_e32 v109, 16, v93
	v_cndmask_b32_e64 v107, v127, v96, s16
	v_cndmask_b32_e64 v95, v95, v96, s17
	v_cndmask_b32_e64 v96, v99, v100, s17
	v_cndmask_b32_e64 v99, v111, v104, s5
	v_cndmask_b32_e64 v111, v115, v108, s5
	v_cndmask_b32_e64 v115, v119, v104, s15
	v_cndmask_b32_e64 v119, v120, v108, s15
	v_cndmask_b32_e64 v120, v121, v104, s18
	v_cndmask_b32_e64 v121, v122, v108, s18
	v_cndmask_b32_e64 v91, v91, v112, s5
	v_cndmask_b32_e64 v92, v92, v116, s5
	v_cndmask_b32_e64 v103, v103, v112, s15
	v_cndmask_b32_e64 v87, v87, v89, s23
	v_cndmask_b32_e64 v88, v88, v93, s23
	v_lshrrev_b32_e32 v113, 16, v97
	v_cndmask_b32_e64 v99, v99, v89, s6
	v_cndmask_b32_e64 v104, v111, v93, s6
	;; [unrolled: 1-line block ×11, first 2 shown]
	v_lshrrev_b32_e32 v106, 16, v90
	v_lshrrev_b32_e32 v110, 16, v94
	v_cndmask_b32_e64 v93, v99, v105, s7
	v_cndmask_b32_e64 v99, v104, v109, s7
	;; [unrolled: 1-line block ×9, first 2 shown]
	v_lshrrev_b32_e32 v114, 16, v98
	v_cndmask_b32_e64 v89, v89, v113, s7
	v_cndmask_b32_e64 v93, v93, v90, s8
	;; [unrolled: 1-line block ×19, first 2 shown]
	v_perm_b32 v90, v88, v87, 0x5040100
	v_cndmask_b32_e64 v87, v126, v100, s13
	v_cndmask_b32_e64 v105, v89, v114, s9
	v_perm_b32 v89, v103, v99, 0x5040100
	v_perm_b32 v88, v104, v94, 0x5040100
	v_cndmask_b32_e64 v94, v107, v112, s18
	v_cndmask_b32_e64 v95, v95, v112, s19
	v_cndmask_b32_e64 v96, v96, v116, s19
	v_cndmask_b32_e64 v99, v123, v116, s18
	v_cndmask_b32_e64 v87, v87, v116, s15
	v_lshrrev_b32_e32 v117, 16, v101
	v_cndmask_b32_e64 v94, v94, v97, s22
	v_cndmask_b32_e64 v95, v95, v97, s23
	;; [unrolled: 1-line block ×11, first 2 shown]
	v_lshrrev_b32_e32 v118, 16, v102
	v_cndmask_b32_e64 v91, v91, v102, s8
	v_cndmask_b32_e64 v94, v94, v98, s27
	;; [unrolled: 1-line block ×12, first 2 shown]
	v_perm_b32 v87, v93, v92, 0x5040100
	v_perm_b32 v94, v95, v94, 0x5040100
	;; [unrolled: 1-line block ×5, first 2 shown]
	s_mul_i32 s8, s35, 11
	s_mov_b32 s4, exec_lo
	ds_store_b128 v78, v[87:90]
	ds_store_b128 v78, v[91:94] offset:1024
	v_cmpx_gt_u32_e32 11, v0
	s_cbranch_execz .LBB144_16
; %bb.15:
	s_mul_i32 s5, s8, s34
	s_load_b128 s[16:19], s[0:1], 0x58
	v_add3_u32 v77, s5, s33, v77
	s_delay_alu instid0(VALU_DEP_1) | instskip(NEXT) | instid1(VALU_DEP_1)
	v_mad_u64_u32 v[87:88], null, v77, s36, s[14:15]
	v_ashrrev_i32_e32 v88, 31, v87
	s_delay_alu instid0(VALU_DEP_1) | instskip(SKIP_1) | instid1(VALU_DEP_1)
	v_lshlrev_b64 v[87:88], 2, v[87:88]
	s_waitcnt lgkmcnt(0)
	v_add_co_u32 v89, vcc_lo, s18, v87
	s_delay_alu instid0(VALU_DEP_2)
	v_add_co_ci_u32_e32 v90, vcc_lo, s19, v88, vcc_lo
	v_add_co_u32 v87, vcc_lo, s16, v87
	v_add_co_ci_u32_e32 v88, vcc_lo, s17, v88, vcc_lo
	global_store_b32 v[89:90], v85, off
	global_store_b32 v[87:88], v86, off
.LBB144_16:
	s_or_b32 exec_lo, exec_lo, s4
	s_waitcnt lgkmcnt(0)
	s_waitcnt_vscnt null, 0x0
	s_barrier
	buffer_gl0_inv
	ds_load_b128 v[93:96], v79
	ds_load_b128 v[97:100], v79 offset:16
	ds_load_b128 v[105:108], v79 offset:1040
	;; [unrolled: 1-line block ×5, first 2 shown]
	v_cmp_eq_u32_e32 vcc_lo, 1, v84
	v_mov_b32_e32 v85, 0
	ds_load_b128 v[121:124], v79 offset:3088
	ds_load_b128 v[117:120], v79 offset:3072
	;; [unrolled: 1-line block ×4, first 2 shown]
	v_cmp_eq_u32_e64 s4, 1, v80
	v_cmp_eq_u32_e64 s5, 1, v83
	;; [unrolled: 1-line block ×3, first 2 shown]
	v_mov_b32_e32 v86, v85
	v_mov_b32_e32 v87, v85
	;; [unrolled: 1-line block ×7, first 2 shown]
	v_cmp_eq_u32_e64 s7, 2, v80
	s_waitcnt lgkmcnt(8)
	s_delay_alu instid0(VALU_DEP_2)
	v_wmma_f32_16x16x16_f16 v[85:92], v[65:72], v[93:100], v[85:92]
	ds_load_b128 v[69:72], v79 offset:5136
	ds_load_b128 v[65:68], v79 offset:5120
	;; [unrolled: 1-line block ×4, first 2 shown]
	s_waitcnt lgkmcnt(10)
	v_wmma_f32_16x16x16_f16 v[85:92], v[57:64], v[101:108], v[85:92]
	s_waitcnt lgkmcnt(8)
	s_delay_alu instid0(VALU_DEP_1)
	v_wmma_f32_16x16x16_f16 v[85:92], v[57:64], v[109:116], v[85:92]
	ds_load_b128 v[61:64], v79 offset:7184
	ds_load_b128 v[57:60], v79 offset:7168
	;; [unrolled: 1-line block ×4, first 2 shown]
	s_waitcnt lgkmcnt(10)
	v_wmma_f32_16x16x16_f16 v[85:92], v[49:56], v[117:124], v[85:92]
	s_waitcnt lgkmcnt(8)
	s_delay_alu instid0(VALU_DEP_1)
	v_wmma_f32_16x16x16_f16 v[85:92], v[49:56], v[125:132], v[85:92]
	ds_load_b128 v[53:56], v79 offset:9232
	ds_load_b128 v[49:52], v79 offset:9216
	s_waitcnt lgkmcnt(8)
	v_wmma_f32_16x16x16_f16 v[85:92], v[41:48], v[65:72], v[85:92]
	ds_load_b128 v[69:72], v79 offset:10256
	ds_load_b128 v[65:68], v79 offset:10240
	s_waitcnt lgkmcnt(8)
	;; [unrolled: 4-line block ×7, first 2 shown]
	s_barrier
	buffer_gl0_inv
	v_wmma_f32_16x16x16_f16 v[85:92], v[33:40], v[41:48], v[85:92]
	s_delay_alu instid0(VALU_DEP_1) | instskip(NEXT) | instid1(VALU_DEP_1)
	v_wmma_f32_16x16x16_f16 v[85:92], v[33:40], v[57:64], v[85:92]
	v_wmma_f32_16x16x16_f16 v[85:92], v[25:32], v[9:16], v[85:92]
	s_delay_alu instid0(VALU_DEP_1) | instskip(NEXT) | instid1(VALU_DEP_1)
	v_wmma_f32_16x16x16_f16 v[85:92], v[25:32], v[49:56], v[85:92]
	v_wmma_f32_16x16x16_f16 v[85:92], v[17:24], v[1:8], v[85:92]
	s_delay_alu instid0(VALU_DEP_1) | instskip(NEXT) | instid1(VALU_DEP_2)
	v_cvt_f16_f32_e32 v1, v85
	v_cvt_f16_f32_e32 v2, v86
	s_delay_alu instid0(VALU_DEP_3) | instskip(NEXT) | instid1(VALU_DEP_4)
	v_cvt_f16_f32_e32 v3, v87
	v_cvt_f16_f32_e32 v4, v88
	;; [unrolled: 1-line block ×6, first 2 shown]
	v_pack_b32_f16 v1, v1, v2
	v_pack_b32_f16 v2, v3, v4
	;; [unrolled: 1-line block ×3, first 2 shown]
	s_delay_alu instid0(VALU_DEP_4)
	v_pack_b32_f16 v4, v7, v8
	ds_store_b128 v78, v[1:4]
	s_waitcnt lgkmcnt(0)
	s_barrier
	buffer_gl0_inv
	ds_load_b128 v[1:4], v81
	ds_load_b128 v[5:8], v81 offset:16
	s_waitcnt lgkmcnt(1)
	v_lshrrev_b32_e32 v9, 16, v1
	s_waitcnt lgkmcnt(0)
	v_lshrrev_b32_e32 v13, 16, v5
	v_lshrrev_b32_e32 v15, 16, v7
	;; [unrolled: 1-line block ×4, first 2 shown]
	v_cndmask_b32_e64 v17, v1, v9, s4
	v_cndmask_b32_e64 v18, v5, v13, s4
	v_cndmask_b32_e64 v19, v1, v9, s6
	v_cmp_eq_u32_e64 s4, 2, v82
	v_cndmask_b32_e64 v20, v5, v13, s6
	v_cndmask_b32_e32 v21, v1, v9, vcc_lo
	v_cndmask_b32_e32 v22, v5, v13, vcc_lo
	v_cndmask_b32_e64 v1, v1, v9, s5
	v_cndmask_b32_e64 v5, v5, v13, s5
	v_cmp_eq_u32_e32 vcc_lo, 2, v84
	v_cmp_eq_u32_e64 s5, 2, v83
	v_cndmask_b32_e64 v9, v17, v2, s7
	v_cndmask_b32_e64 v13, v18, v6, s7
	;; [unrolled: 1-line block ×4, first 2 shown]
	v_cndmask_b32_e32 v19, v21, v2, vcc_lo
	v_cmp_eq_u32_e64 s4, 3, v84
	v_cndmask_b32_e32 v20, v22, v6, vcc_lo
	v_cndmask_b32_e64 v1, v1, v2, s5
	v_cmp_eq_u32_e32 vcc_lo, 3, v83
	v_cmp_eq_u32_e64 s6, 3, v80
	v_cndmask_b32_e64 v2, v5, v6, s5
	v_cmp_eq_u32_e64 s5, 3, v82
	v_lshrrev_b32_e32 v16, 16, v8
	v_cmp_eq_u32_e64 s7, 4, v80
	v_cndmask_b32_e64 v5, v9, v10, s6
	v_cndmask_b32_e64 v6, v13, v14, s6
	;; [unrolled: 1-line block ×3, first 2 shown]
	v_cmp_eq_u32_e64 s6, 4, v82
	v_cndmask_b32_e64 v13, v18, v14, s5
	v_cndmask_b32_e64 v17, v19, v10, s4
	;; [unrolled: 1-line block ×3, first 2 shown]
	v_cndmask_b32_e32 v1, v1, v10, vcc_lo
	v_cndmask_b32_e32 v2, v2, v14, vcc_lo
	v_cmp_eq_u32_e32 vcc_lo, 4, v84
	v_cmp_eq_u32_e64 s5, 4, v83
	v_lshrrev_b32_e32 v11, 16, v3
	v_cndmask_b32_e64 v5, v5, v3, s7
	v_cndmask_b32_e64 v6, v6, v7, s7
	v_cndmask_b32_e64 v9, v9, v3, s6
	v_cndmask_b32_e64 v10, v13, v7, s6
	v_cndmask_b32_e32 v13, v17, v3, vcc_lo
	v_cmp_eq_u32_e64 s4, 5, v84
	v_cndmask_b32_e32 v14, v18, v7, vcc_lo
	v_cndmask_b32_e64 v1, v1, v3, s5
	v_cmp_eq_u32_e32 vcc_lo, 5, v83
	v_cmp_eq_u32_e64 s6, 5, v80
	v_cndmask_b32_e64 v2, v2, v7, s5
	v_cmp_eq_u32_e64 s5, 5, v82
	v_cmp_eq_u32_e64 s7, 6, v80
	v_cndmask_b32_e32 v1, v1, v11, vcc_lo
	v_cndmask_b32_e64 v3, v5, v11, s6
	v_cndmask_b32_e64 v5, v6, v15, s6
	;; [unrolled: 1-line block ×3, first 2 shown]
	v_cmp_eq_u32_e64 s6, 6, v82
	v_cndmask_b32_e64 v7, v10, v15, s5
	v_cndmask_b32_e64 v9, v13, v11, s4
	;; [unrolled: 1-line block ×3, first 2 shown]
	v_cndmask_b32_e32 v2, v2, v15, vcc_lo
	v_cmp_eq_u32_e32 vcc_lo, 6, v84
	v_cmp_eq_u32_e64 s4, 6, v83
	v_lshrrev_b32_e32 v12, 16, v4
	v_cndmask_b32_e64 v3, v3, v4, s7
	v_cndmask_b32_e64 v5, v5, v8, s7
	;; [unrolled: 1-line block ×4, first 2 shown]
	v_cndmask_b32_e32 v9, v9, v4, vcc_lo
	v_cmp_eq_u32_e64 s5, 7, v84
	v_cndmask_b32_e32 v10, v10, v8, vcc_lo
	v_cndmask_b32_e64 v1, v1, v4, s4
	v_cmp_eq_u32_e32 vcc_lo, 7, v83
	v_cndmask_b32_e64 v2, v2, v8, s4
	v_cmp_eq_u32_e64 s4, 7, v80
	v_cmp_eq_u32_e64 s6, 7, v82
	v_cndmask_b32_e32 v1, v1, v12, vcc_lo
	s_delay_alu instid0(VALU_DEP_4) | instskip(NEXT) | instid1(VALU_DEP_4)
	v_cndmask_b32_e32 v2, v2, v16, vcc_lo
	v_cndmask_b32_e64 v8, v3, v12, s4
	s_delay_alu instid0(VALU_DEP_4)
	v_cndmask_b32_e64 v6, v6, v12, s6
	v_cndmask_b32_e64 v3, v9, v12, s5
	v_cndmask_b32_e64 v9, v10, v16, s5
	v_cndmask_b32_e64 v7, v7, v16, s6
	v_cndmask_b32_e64 v5, v5, v16, s4
	v_cmp_gt_u32_e32 vcc_lo, 32, v0
	v_perm_b32 v4, v2, v1, 0x5040100
	v_perm_b32 v3, v9, v3, 0x5040100
	;; [unrolled: 1-line block ×4, first 2 shown]
	s_and_b32 s2, vcc_lo, s2
	ds_store_b128 v78, v[1:4]
	s_waitcnt lgkmcnt(0)
	s_barrier
	buffer_gl0_inv
	s_and_saveexec_b32 s4, s2
	s_cbranch_execz .LBB144_2
; %bb.17:
	s_load_b64 s[4:5], s[0:1], 0x68
	v_lshlrev_b32_e32 v0, 10, v0
	v_lshlrev_b32_e32 v1, 4, v76
	s_lshl_b32 s0, s36, 6
	v_add_nc_u32_e32 v7, s33, v75
	s_mul_i32 s1, s0, s34
	s_delay_alu instid0(SALU_CYCLE_1) | instskip(SKIP_1) | instid1(VALU_DEP_2)
	s_mul_i32 s6, s1, s8
	v_and_or_b32 v0, 0x3800, v0, v1
	v_mul_lo_u32 v1, v7, s0
	v_add_nc_u32_e32 v2, 2, v7
	s_ashr_i32 s7, s6, 31
	v_add_nc_u32_e32 v4, 4, v7
	s_lshl_b64 s[6:7], s[6:7], 1
	v_add_nc_u32_e32 v8, 6, v7
	v_mul_lo_u32 v3, v2, s0
	v_lshl_or_b32 v19, v75, 6, v0
	v_ashrrev_i32_e32 v2, 31, v1
	v_mul_lo_u32 v11, v4, s0
	v_mul_lo_u32 v25, v8, s0
	s_waitcnt lgkmcnt(0)
	s_add_u32 s1, s4, s6
	s_addc_u32 s2, s5, s7
	s_lshl_b32 s4, s14, 6
	v_lshlrev_b64 v[5:6], 1, v[1:2]
	s_ashr_i32 s5, s4, 31
	v_ashrrev_i32_e32 v4, 31, v3
	s_lshl_b64 s[4:5], s[4:5], 1
	v_ashrrev_i32_e32 v12, 31, v11
	s_add_u32 s1, s1, s4
	s_addc_u32 s2, s2, s5
	v_add_co_u32 v1, vcc_lo, s1, v73
	v_add_co_ci_u32_e32 v2, vcc_lo, s2, v74, vcc_lo
	v_lshlrev_b64 v[3:4], 1, v[3:4]
	s_delay_alu instid0(VALU_DEP_3) | instskip(SKIP_1) | instid1(VALU_DEP_4)
	v_add_co_u32 v23, vcc_lo, v1, v5
	v_add_nc_u32_e32 v5, 8, v7
	v_add_co_ci_u32_e32 v24, vcc_lo, v2, v6, vcc_lo
	s_delay_alu instid0(VALU_DEP_4) | instskip(NEXT) | instid1(VALU_DEP_3)
	v_add_co_u32 v27, vcc_lo, v1, v3
	v_mul_lo_u32 v29, v5, s0
	v_add_co_ci_u32_e32 v28, vcc_lo, v2, v4, vcc_lo
	ds_load_b128 v[3:6], v19
	ds_load_b128 v[7:10], v19 offset:128
	v_lshlrev_b64 v[31:32], 1, v[11:12]
	ds_load_b128 v[11:14], v19 offset:256
	ds_load_b128 v[15:18], v19 offset:384
	;; [unrolled: 1-line block ×3, first 2 shown]
	v_ashrrev_i32_e32 v26, 31, v25
	v_ashrrev_i32_e32 v30, 31, v29
	v_add_co_u32 v31, vcc_lo, v1, v31
	s_delay_alu instid0(VALU_DEP_3) | instskip(NEXT) | instid1(VALU_DEP_3)
	v_lshlrev_b64 v[25:26], 1, v[25:26]
	v_lshlrev_b64 v[29:30], 1, v[29:30]
	v_add_co_ci_u32_e32 v32, vcc_lo, v2, v32, vcc_lo
	s_delay_alu instid0(VALU_DEP_3) | instskip(NEXT) | instid1(VALU_DEP_4)
	v_add_co_u32 v25, vcc_lo, v1, v25
	v_add_co_ci_u32_e32 v26, vcc_lo, v2, v26, vcc_lo
	s_delay_alu instid0(VALU_DEP_4)
	v_add_co_u32 v29, vcc_lo, v1, v29
	v_add_co_ci_u32_e32 v30, vcc_lo, v2, v30, vcc_lo
	s_waitcnt lgkmcnt(4)
	global_store_b128 v[23:24], v[3:6], off
	s_waitcnt lgkmcnt(3)
	global_store_b128 v[27:28], v[7:10], off
	;; [unrolled: 2-line block ×5, first 2 shown]
	s_and_b32 exec_lo, exec_lo, s3
	s_cbranch_execz .LBB144_2
; %bb.18:
	ds_load_b128 v[3:6], v0 offset:640
	s_add_i32 s1, s33, 10
	s_delay_alu instid0(SALU_CYCLE_1) | instskip(NEXT) | instid1(SALU_CYCLE_1)
	s_mul_i32 s0, s1, s0
	s_ashr_i32 s1, s0, 31
	s_delay_alu instid0(SALU_CYCLE_1) | instskip(NEXT) | instid1(SALU_CYCLE_1)
	s_lshl_b64 s[0:1], s[0:1], 1
	v_add_co_u32 v0, vcc_lo, v1, s0
	v_add_co_ci_u32_e32 v1, vcc_lo, s1, v2, vcc_lo
	s_waitcnt lgkmcnt(0)
	global_store_b128 v[0:1], v[3:6], off
	s_nop 0
	s_sendmsg sendmsg(MSG_DEALLOC_VGPRS)
	s_endpgm
	.section	.rodata,"a",@progbits
	.p2align	6, 0x0
	.amdhsa_kernel _Z39paged_attention_ll4mi_QKV_mfma16_kernelIDF16_DF16_LN4vllm18Fp8KVCacheDataTypeE0EhLi32ELi64ELi256ELb0ELi11EL8MFMAType0EEvPKT_PKT0_S8_ifPKiSA_SA_iPKfiiiPfSD_PS3_PT2_iSC_SC_
		.amdhsa_group_segment_fixed_size 17472
		.amdhsa_private_segment_fixed_size 0
		.amdhsa_kernarg_size 400
		.amdhsa_user_sgpr_count 13
		.amdhsa_user_sgpr_dispatch_ptr 0
		.amdhsa_user_sgpr_queue_ptr 0
		.amdhsa_user_sgpr_kernarg_segment_ptr 1
		.amdhsa_user_sgpr_dispatch_id 0
		.amdhsa_user_sgpr_private_segment_size 0
		.amdhsa_wavefront_size32 1
		.amdhsa_uses_dynamic_stack 0
		.amdhsa_enable_private_segment 0
		.amdhsa_system_sgpr_workgroup_id_x 1
		.amdhsa_system_sgpr_workgroup_id_y 1
		.amdhsa_system_sgpr_workgroup_id_z 1
		.amdhsa_system_sgpr_workgroup_info 0
		.amdhsa_system_vgpr_workitem_id 0
		.amdhsa_next_free_vgpr 154
		.amdhsa_next_free_sgpr 39
		.amdhsa_reserve_vcc 1
		.amdhsa_float_round_mode_32 0
		.amdhsa_float_round_mode_16_64 0
		.amdhsa_float_denorm_mode_32 3
		.amdhsa_float_denorm_mode_16_64 3
		.amdhsa_dx10_clamp 1
		.amdhsa_ieee_mode 1
		.amdhsa_fp16_overflow 0
		.amdhsa_workgroup_processor_mode 1
		.amdhsa_memory_ordered 1
		.amdhsa_forward_progress 0
		.amdhsa_shared_vgpr_count 0
		.amdhsa_exception_fp_ieee_invalid_op 0
		.amdhsa_exception_fp_denorm_src 0
		.amdhsa_exception_fp_ieee_div_zero 0
		.amdhsa_exception_fp_ieee_overflow 0
		.amdhsa_exception_fp_ieee_underflow 0
		.amdhsa_exception_fp_ieee_inexact 0
		.amdhsa_exception_int_div_zero 0
	.end_amdhsa_kernel
	.section	.text._Z39paged_attention_ll4mi_QKV_mfma16_kernelIDF16_DF16_LN4vllm18Fp8KVCacheDataTypeE0EhLi32ELi64ELi256ELb0ELi11EL8MFMAType0EEvPKT_PKT0_S8_ifPKiSA_SA_iPKfiiiPfSD_PS3_PT2_iSC_SC_,"axG",@progbits,_Z39paged_attention_ll4mi_QKV_mfma16_kernelIDF16_DF16_LN4vllm18Fp8KVCacheDataTypeE0EhLi32ELi64ELi256ELb0ELi11EL8MFMAType0EEvPKT_PKT0_S8_ifPKiSA_SA_iPKfiiiPfSD_PS3_PT2_iSC_SC_,comdat
.Lfunc_end144:
	.size	_Z39paged_attention_ll4mi_QKV_mfma16_kernelIDF16_DF16_LN4vllm18Fp8KVCacheDataTypeE0EhLi32ELi64ELi256ELb0ELi11EL8MFMAType0EEvPKT_PKT0_S8_ifPKiSA_SA_iPKfiiiPfSD_PS3_PT2_iSC_SC_, .Lfunc_end144-_Z39paged_attention_ll4mi_QKV_mfma16_kernelIDF16_DF16_LN4vllm18Fp8KVCacheDataTypeE0EhLi32ELi64ELi256ELb0ELi11EL8MFMAType0EEvPKT_PKT0_S8_ifPKiSA_SA_iPKfiiiPfSD_PS3_PT2_iSC_SC_
                                        ; -- End function
	.section	.AMDGPU.csdata,"",@progbits
; Kernel info:
; codeLenInByte = 7380
; NumSgprs: 41
; NumVgprs: 154
; ScratchSize: 0
; MemoryBound: 0
; FloatMode: 240
; IeeeMode: 1
; LDSByteSize: 17472 bytes/workgroup (compile time only)
; SGPRBlocks: 5
; VGPRBlocks: 19
; NumSGPRsForWavesPerEU: 41
; NumVGPRsForWavesPerEU: 154
; Occupancy: 9
; WaveLimiterHint : 1
; COMPUTE_PGM_RSRC2:SCRATCH_EN: 0
; COMPUTE_PGM_RSRC2:USER_SGPR: 13
; COMPUTE_PGM_RSRC2:TRAP_HANDLER: 0
; COMPUTE_PGM_RSRC2:TGID_X_EN: 1
; COMPUTE_PGM_RSRC2:TGID_Y_EN: 1
; COMPUTE_PGM_RSRC2:TGID_Z_EN: 1
; COMPUTE_PGM_RSRC2:TIDIG_COMP_CNT: 0
	.section	.text._Z39paged_attention_ll4mi_QKV_mfma16_kernelIDF16_DF16_LN4vllm18Fp8KVCacheDataTypeE0EhLi32ELi64ELi256ELb0ELi12EL8MFMAType0EEvPKT_PKT0_S8_ifPKiSA_SA_iPKfiiiPfSD_PS3_PT2_iSC_SC_,"axG",@progbits,_Z39paged_attention_ll4mi_QKV_mfma16_kernelIDF16_DF16_LN4vllm18Fp8KVCacheDataTypeE0EhLi32ELi64ELi256ELb0ELi12EL8MFMAType0EEvPKT_PKT0_S8_ifPKiSA_SA_iPKfiiiPfSD_PS3_PT2_iSC_SC_,comdat
	.protected	_Z39paged_attention_ll4mi_QKV_mfma16_kernelIDF16_DF16_LN4vllm18Fp8KVCacheDataTypeE0EhLi32ELi64ELi256ELb0ELi12EL8MFMAType0EEvPKT_PKT0_S8_ifPKiSA_SA_iPKfiiiPfSD_PS3_PT2_iSC_SC_ ; -- Begin function _Z39paged_attention_ll4mi_QKV_mfma16_kernelIDF16_DF16_LN4vllm18Fp8KVCacheDataTypeE0EhLi32ELi64ELi256ELb0ELi12EL8MFMAType0EEvPKT_PKT0_S8_ifPKiSA_SA_iPKfiiiPfSD_PS3_PT2_iSC_SC_
	.globl	_Z39paged_attention_ll4mi_QKV_mfma16_kernelIDF16_DF16_LN4vllm18Fp8KVCacheDataTypeE0EhLi32ELi64ELi256ELb0ELi12EL8MFMAType0EEvPKT_PKT0_S8_ifPKiSA_SA_iPKfiiiPfSD_PS3_PT2_iSC_SC_
	.p2align	8
	.type	_Z39paged_attention_ll4mi_QKV_mfma16_kernelIDF16_DF16_LN4vllm18Fp8KVCacheDataTypeE0EhLi32ELi64ELi256ELb0ELi12EL8MFMAType0EEvPKT_PKT0_S8_ifPKiSA_SA_iPKfiiiPfSD_PS3_PT2_iSC_SC_,@function
_Z39paged_attention_ll4mi_QKV_mfma16_kernelIDF16_DF16_LN4vllm18Fp8KVCacheDataTypeE0EhLi32ELi64ELi256ELb0ELi12EL8MFMAType0EEvPKT_PKT0_S8_ifPKiSA_SA_iPKfiiiPfSD_PS3_PT2_iSC_SC_: ; @_Z39paged_attention_ll4mi_QKV_mfma16_kernelIDF16_DF16_LN4vllm18Fp8KVCacheDataTypeE0EhLi32ELi64ELi256ELb0ELi12EL8MFMAType0EEvPKT_PKT0_S8_ifPKiSA_SA_iPKfiiiPfSD_PS3_PT2_iSC_SC_
; %bb.0:
	s_load_b64 s[2:3], s[0:1], 0x30
	s_mov_b32 s34, s13
	s_waitcnt lgkmcnt(0)
	s_cmp_lg_u64 s[2:3], 0
	s_cselect_b32 s6, -1, 0
	s_ashr_i32 s35, s13, 31
	s_cmp_eq_u64 s[2:3], 0
	s_cbranch_scc1 .LBB145_3
; %bb.1:
	s_lshl_b64 s[4:5], s[34:35], 2
	s_delay_alu instid0(SALU_CYCLE_1) | instskip(SKIP_4) | instid1(SALU_CYCLE_1)
	s_add_u32 s4, s2, s4
	s_addc_u32 s5, s3, s5
	s_load_b64 s[4:5], s[4:5], 0x0
	s_waitcnt lgkmcnt(0)
	s_sub_i32 s4, s5, s4
	s_cmp_eq_u32 s4, 1
	s_cselect_b32 s4, -1, 0
	s_delay_alu instid0(SALU_CYCLE_1)
	s_and_not1_b32 vcc_lo, exec_lo, s4
	s_cbranch_vccz .LBB145_4
.LBB145_2:
	s_endpgm
.LBB145_3:
.LBB145_4:
	s_load_b64 s[8:9], s[0:1], 0x28
	s_lshl_b64 s[4:5], s[34:35], 2
	s_waitcnt lgkmcnt(0)
	s_add_u32 s8, s8, s4
	s_addc_u32 s9, s9, s5
	s_lshl_b32 s16, s14, 8
	s_load_b32 s18, s[8:9], 0x0
	s_waitcnt lgkmcnt(0)
	s_cmp_ge_i32 s16, s18
	s_cbranch_scc1 .LBB145_2
; %bb.5:
	s_and_not1_b32 vcc_lo, exec_lo, s6
	s_cbranch_vccnz .LBB145_7
; %bb.6:
	s_add_u32 s2, s2, s4
	s_addc_u32 s3, s3, s5
	s_load_b32 s17, s[2:3], 0x0
	s_branch .LBB145_8
.LBB145_7:
	s_mov_b32 s17, s34
.LBB145_8:
	s_clause 0x2
	s_load_b128 s[8:11], s[0:1], 0x8
	s_load_b64 s[12:13], s[0:1], 0x20
	s_load_b128 s[4:7], s[0:1], 0x48
	v_and_b32_e32 v77, 15, v0
	v_cmp_lt_u32_e32 vcc_lo, 0xbf, v0
	s_delay_alu instid0(VALU_DEP_2) | instskip(SKIP_2) | instid1(VALU_DEP_3)
	v_cmp_lt_u32_e64 s3, 7, v77
	v_lshlrev_b32_e32 v1, 3, v77
	v_cmp_gt_u32_e64 s2, 8, v77
	s_or_b32 s3, vcc_lo, s3
	s_waitcnt lgkmcnt(0)
	s_and_saveexec_b32 s7, s3
	s_delay_alu instid0(SALU_CYCLE_1)
	s_xor_b32 s3, exec_lo, s7
; %bb.9:
	v_mov_b32_e32 v2, 0
; %bb.10:
	s_or_saveexec_b32 s3, s3
	v_lshrrev_b32_e32 v79, 5, v0
	v_and_b32_e32 v80, 31, v0
	v_and_b32_e32 v76, 1, v0
	v_bfe_u32 v75, v0, 4, 1
	s_mul_i32 s31, s15, 12
	s_xor_b32 exec_lo, exec_lo, s3
	s_cbranch_execz .LBB145_12
; %bb.11:
	s_load_b64 s[20:21], s[0:1], 0x0
	v_lshl_or_b32 v7, v79, 1, v75
	s_mul_hi_i32 s23, s17, s4
	s_mul_i32 s22, s17, s4
	v_lshlrev_b32_e32 v4, 1, v1
	s_lshl_b64 s[22:23], s[22:23], 1
	v_add_lshl_u32 v2, v7, s31, 6
	v_lshlrev_b32_e32 v7, 6, v7
	v_lshlrev_b32_e32 v8, 10, v76
	s_delay_alu instid0(VALU_DEP_3) | instskip(NEXT) | instid1(VALU_DEP_1)
	v_ashrrev_i32_e32 v3, 31, v2
	v_lshlrev_b64 v[2:3], 1, v[2:3]
	s_waitcnt lgkmcnt(0)
	s_add_u32 s4, s20, s22
	s_addc_u32 s7, s21, s23
	s_delay_alu instid0(VALU_DEP_1) | instskip(NEXT) | instid1(VALU_DEP_2)
	v_add_co_u32 v2, vcc_lo, s4, v2
	v_add_co_ci_u32_e32 v3, vcc_lo, s7, v3, vcc_lo
	s_delay_alu instid0(VALU_DEP_2) | instskip(NEXT) | instid1(VALU_DEP_2)
	v_add_co_u32 v2, vcc_lo, v2, v4
	v_add_co_ci_u32_e32 v3, vcc_lo, 0, v3, vcc_lo
	global_load_b128 v[3:6], v[2:3], off
	v_lshlrev_b32_e32 v2, 10, v77
	s_delay_alu instid0(VALU_DEP_1) | instskip(NEXT) | instid1(VALU_DEP_1)
	v_and_b32_e32 v2, 0x3800, v2
	v_or3_b32 v7, v2, v8, v7
	v_mov_b32_e32 v2, 0
	s_waitcnt vmcnt(0)
	ds_store_b128 v7, v[3:6]
.LBB145_12:
	s_or_b32 exec_lo, exec_lo, s3
	v_and_b32_e32 v3, 0xef, v0
	s_add_i32 s3, s18, 31
	s_clause 0x1
	s_load_b32 s4, s[0:1], 0x38
	s_load_b32 s33, s[0:1], 0x98
	s_ashr_i32 s7, s3, 31
	v_add_nc_u32_e32 v3, s16, v3
	s_lshr_b32 s7, s7, 27
	s_load_b32 s19, s[0:1], 0x1c
	s_add_i32 s3, s3, s7
	s_waitcnt lgkmcnt(0)
	v_ashrrev_i32_e32 v4, 31, v3
	v_cmp_gt_i32_e32 vcc_lo, s18, v3
	s_ashr_i32 s3, s3, 5
	s_barrier
	s_add_i32 s3, s3, -1
	v_lshrrev_b32_e32 v5, 27, v4
	v_or_b32_e32 v4, 16, v3
	buffer_gl0_inv
	s_mul_i32 s6, s15, s6
	v_lshlrev_b64 v[73:74], 1, v[1:2]
	v_add_nc_u32_e32 v6, v3, v5
	v_add_nc_u32_e32 v5, v4, v5
	s_mul_i32 s20, s34, s4
	v_lshlrev_b32_e32 v78, 6, v77
	s_ashr_i32 s21, s20, 31
	v_ashrrev_i32_e32 v6, 5, v6
	v_ashrrev_i32_e32 v5, 5, v5
	s_lshl_b64 s[20:21], s[20:21], 2
	v_lshl_or_b32 v33, v79, 10, v78
	s_add_u32 s4, s12, s20
	v_cndmask_b32_e32 v3, s3, v6, vcc_lo
	v_cmp_gt_i32_e32 vcc_lo, s18, v4
	s_addc_u32 s17, s13, s21
	s_ashr_i32 s7, s6, 31
	s_delay_alu instid0(VALU_DEP_2) | instskip(SKIP_2) | instid1(SALU_CYCLE_1)
	v_ashrrev_i32_e32 v4, 31, v3
	v_cndmask_b32_e32 v5, s3, v5, vcc_lo
	s_lshl_b64 s[6:7], s[6:7], 1
	s_add_u32 s15, s8, s6
	s_delay_alu instid0(VALU_DEP_2) | instskip(NEXT) | instid1(VALU_DEP_2)
	v_lshlrev_b64 v[3:4], 2, v[3:4]
	v_ashrrev_i32_e32 v6, 31, v5
	s_addc_u32 s28, s9, s7
	s_lshl_b32 s8, s14, 3
	s_delay_alu instid0(SALU_CYCLE_1) | instskip(NEXT) | instid1(VALU_DEP_1)
	s_ashr_i32 s9, s8, 31
	v_lshlrev_b64 v[5:6], 2, v[5:6]
	v_add_co_u32 v3, vcc_lo, s4, v3
	v_add_co_ci_u32_e32 v4, vcc_lo, s17, v4, vcc_lo
	s_lshl_b64 s[8:9], s[8:9], 2
	s_delay_alu instid0(VALU_DEP_3) | instskip(NEXT) | instid1(VALU_DEP_4)
	v_add_co_u32 v5, vcc_lo, s4, v5
	v_add_co_ci_u32_e32 v6, vcc_lo, s17, v6, vcc_lo
	s_add_u32 s8, s4, s8
	s_clause 0x1
	global_load_b32 v7, v[3:4], off
	global_load_b32 v8, v[5:6], off
	s_addc_u32 s9, s17, s9
	s_or_b32 s12, s16, 32
	s_delay_alu instid0(SALU_CYCLE_1) | instskip(SKIP_2) | instid1(SALU_CYCLE_1)
	s_ashr_i32 s13, s12, 5
	s_cmp_lt_i32 s12, s18
	s_cselect_b32 s12, s13, s3
	s_ashr_i32 s13, s12, 31
	s_delay_alu instid0(SALU_CYCLE_1) | instskip(NEXT) | instid1(SALU_CYCLE_1)
	s_lshl_b64 s[12:13], s[12:13], 2
	s_add_u32 s12, s4, s12
	s_addc_u32 s13, s17, s13
	s_or_b32 s20, s16, 64
	s_delay_alu instid0(SALU_CYCLE_1) | instskip(SKIP_2) | instid1(SALU_CYCLE_1)
	s_ashr_i32 s21, s20, 5
	s_cmp_lt_i32 s20, s18
	s_cselect_b32 s20, s21, s3
	s_ashr_i32 s21, s20, 31
	s_delay_alu instid0(SALU_CYCLE_1) | instskip(NEXT) | instid1(SALU_CYCLE_1)
	s_lshl_b64 s[20:21], s[20:21], 2
	s_add_u32 s20, s4, s20
	;; [unrolled: 10-line block ×5, first 2 shown]
	s_addc_u32 s27, s17, s27
	s_clause 0x5
	s_load_b32 s29, s[8:9], 0x0
	s_load_b32 s30, s[12:13], 0x0
	;; [unrolled: 1-line block ×6, first 2 shown]
	s_or_b32 s8, s16, 0xc0
	s_mov_b32 s20, 0
	s_ashr_i32 s9, s8, 5
	s_cmp_lt_i32 s8, s18
	s_mov_b32 s27, s20
	s_cselect_b32 s8, s9, s3
	s_mov_b32 s21, s20
	s_ashr_i32 s9, s8, 31
	s_mov_b32 s22, s20
	s_lshl_b64 s[8:9], s[8:9], 2
	s_mov_b32 s23, s20
	s_add_u32 s8, s4, s8
	s_mov_b32 s24, s20
	s_mov_b32 s25, s20
	;; [unrolled: 1-line block ×3, first 2 shown]
	s_addc_u32 s9, s17, s9
	v_dual_mov_b32 v128, s27 :: v_dual_mov_b32 v127, s26
	v_dual_mov_b32 v126, s25 :: v_dual_mov_b32 v125, s24
	;; [unrolled: 1-line block ×3, first 2 shown]
	v_mov_b32_e32 v121, s20
	s_waitcnt lgkmcnt(0)
	s_mul_hi_i32 s13, s29, s5
	s_mul_i32 s12, s29, s5
	v_mov_b32_e32 v122, s21
	s_mul_hi_i32 s21, s30, s5
	s_mul_i32 s20, s30, s5
	s_mul_hi_i32 s25, s35, s5
	s_mul_i32 s24, s35, s5
	s_mul_hi_i32 s27, s36, s5
	s_mul_i32 s26, s36, s5
	s_mul_i32 s36, s38, s5
	s_waitcnt vmcnt(1)
	v_mad_i64_i32 v[3:4], null, v7, s5, 0
	s_waitcnt vmcnt(0)
	v_mad_i64_i32 v[5:6], null, v8, s5, 0
	s_delay_alu instid0(VALU_DEP_2) | instskip(NEXT) | instid1(VALU_DEP_2)
	v_lshlrev_b64 v[3:4], 1, v[3:4]
	v_lshlrev_b64 v[1:2], 1, v[5:6]
	s_delay_alu instid0(VALU_DEP_2) | instskip(NEXT) | instid1(VALU_DEP_3)
	v_add_co_u32 v3, vcc_lo, s15, v3
	v_add_co_ci_u32_e32 v4, vcc_lo, s28, v4, vcc_lo
	s_delay_alu instid0(VALU_DEP_3) | instskip(NEXT) | instid1(VALU_DEP_4)
	v_add_co_u32 v1, vcc_lo, s15, v1
	v_add_co_ci_u32_e32 v2, vcc_lo, s28, v2, vcc_lo
	s_delay_alu instid0(VALU_DEP_4) | instskip(NEXT) | instid1(VALU_DEP_4)
	v_add_co_u32 v25, vcc_lo, v3, v73
	v_add_co_ci_u32_e32 v26, vcc_lo, v4, v74, vcc_lo
	s_delay_alu instid0(VALU_DEP_4) | instskip(NEXT) | instid1(VALU_DEP_4)
	v_add_co_u32 v27, vcc_lo, v1, v73
	v_add_co_ci_u32_e32 v28, vcc_lo, v2, v74, vcc_lo
	s_clause 0xf
	global_load_b128 v[1:4], v[25:26], off
	global_load_b128 v[5:8], v[25:26], off offset:512
	global_load_b128 v[9:12], v[27:28], off offset:256
	;; [unrolled: 1-line block ×15, first 2 shown]
	s_or_b32 s15, s16, 0xe0
	v_add_nc_u32_e32 v25, -12, v77
	s_ashr_i32 s22, s15, 5
	s_cmp_lt_i32 s15, s18
	v_cmp_gt_u32_e32 vcc_lo, 12, v77
	s_cselect_b32 s22, s22, s3
	s_delay_alu instid0(SALU_CYCLE_1) | instskip(NEXT) | instid1(SALU_CYCLE_1)
	s_ashr_i32 s23, s22, 31
	s_lshl_b64 s[22:23], s[22:23], 2
	v_cndmask_b32_e32 v25, v25, v77, vcc_lo
	s_add_u32 s22, s4, s22
	s_addc_u32 s23, s17, s23
	s_add_i32 s15, s16, 0x100
	s_delay_alu instid0(SALU_CYCLE_1)
	s_ashr_i32 s28, s15, 5
	s_cmp_lt_i32 s15, s18
	v_lshlrev_b32_e32 v151, 6, v25
	s_cselect_b32 s28, s28, s3
	ds_load_b128 v[25:28], v151
	ds_load_b128 v[29:32], v151 offset:1024
	s_ashr_i32 s29, s28, 31
	ds_load_b128 v[129:132], v151 offset:2048
	ds_load_b128 v[133:136], v151 offset:3072
	s_lshl_b64 s[28:29], s[28:29], 2
	s_load_b32 s15, s[8:9], 0x0
	s_add_u32 s28, s4, s28
	s_addc_u32 s29, s17, s29
	s_add_u32 s3, s10, s6
	s_clause 0x1
	s_load_b32 s4, s[22:23], 0x0
	s_load_b32 s17, s[28:29], 0x0
	s_addc_u32 s28, s11, s7
	v_add_co_u32 v152, s3, s3, v33
	s_delay_alu instid0(VALU_DEP_1) | instskip(SKIP_2) | instid1(VALU_DEP_2)
	v_add_co_ci_u32_e64 v153, null, s28, 0, s3
	s_lshl_b64 s[6:7], s[12:13], 1
	s_lshl_b64 s[10:11], s[20:21], 1
	v_add_co_u32 v33, vcc_lo, v152, s6
	s_delay_alu instid0(VALU_DEP_2)
	v_add_co_ci_u32_e32 v34, vcc_lo, s7, v153, vcc_lo
	v_add_co_u32 v35, vcc_lo, v152, s10
	s_lshl_b64 s[12:13], s[24:25], 1
	v_add_co_ci_u32_e32 v36, vcc_lo, s11, v153, vcc_lo
	v_add_co_u32 v37, vcc_lo, v152, s12
	s_lshl_b64 s[20:21], s[26:27], 1
	s_mul_hi_i32 s9, s37, s5
	s_mul_i32 s8, s37, s5
	v_add_co_ci_u32_e32 v38, vcc_lo, s13, v153, vcc_lo
	v_add_co_u32 v39, vcc_lo, v152, s20
	s_lshl_b64 s[8:9], s[8:9], 1
	s_mul_hi_i32 s37, s38, s5
	v_add_co_ci_u32_e32 v40, vcc_lo, s21, v153, vcc_lo
	v_add_co_u32 v145, vcc_lo, v152, s8
	s_lshl_b64 s[22:23], s[36:37], 1
	s_waitcnt lgkmcnt(0)
	s_mul_hi_i32 s25, s15, s5
	s_mul_i32 s24, s15, s5
	v_add_co_ci_u32_e32 v146, vcc_lo, s9, v153, vcc_lo
	v_add_co_u32 v147, vcc_lo, v152, s22
	s_lshl_b64 s[24:25], s[24:25], 1
	v_add_co_ci_u32_e32 v148, vcc_lo, s23, v153, vcc_lo
	s_mul_hi_i32 s7, s4, s5
	s_mul_i32 s6, s4, s5
	v_add_co_u32 v149, vcc_lo, v152, s24
	s_lshl_b64 s[6:7], s[6:7], 1
	v_add_co_ci_u32_e32 v150, vcc_lo, s25, v153, vcc_lo
	s_clause 0x7
	global_load_b128 v[65:68], v[33:34], off
	global_load_b128 v[69:72], v[33:34], off offset:16
	global_load_b128 v[57:60], v[35:36], off
	global_load_b128 v[61:64], v[35:36], off offset:16
	;; [unrolled: 2-line block ×4, first 2 shown]
	s_waitcnt vmcnt(22)
	v_wmma_f32_16x16x16_f16 v[137:144], v[1:8], v[25:32], v[121:128]
	s_waitcnt vmcnt(20)
	v_wmma_f32_16x16x16_f16 v[121:128], v[9:16], v[25:32], v[121:128]
	v_add_co_u32 v29, vcc_lo, v152, s6
	v_add_co_ci_u32_e32 v30, vcc_lo, s7, v153, vcc_lo
	s_mul_hi_i32 s7, s17, s5
	s_mul_i32 s6, s17, s5
	s_waitcnt vmcnt(18)
	v_wmma_f32_16x16x16_f16 v[137:144], v[17:24], v[129:136], v[137:144]
	s_lshl_b64 s[4:5], s[6:7], 1
	s_clause 0x1
	global_load_b128 v[9:12], v[145:146], off
	global_load_b128 v[13:16], v[145:146], off offset:16
	v_add_co_u32 v21, vcc_lo, v152, s4
	v_add_co_ci_u32_e32 v22, vcc_lo, s5, v153, vcc_lo
	s_clause 0x7
	global_load_b128 v[1:4], v[147:148], off
	global_load_b128 v[5:8], v[147:148], off offset:16
	global_load_b128 v[33:36], v[149:150], off
	global_load_b128 v[37:40], v[149:150], off offset:16
	;; [unrolled: 2-line block ×4, first 2 shown]
	s_waitcnt vmcnt(26)
	v_wmma_f32_16x16x16_f16 v[121:128], v[81:88], v[129:136], v[121:128]
	ds_load_b128 v[81:84], v151 offset:4096
	ds_load_b128 v[85:88], v151 offset:5120
	v_mbcnt_lo_u32_b32 v130, -1, 0
	s_delay_alu instid0(VALU_DEP_1) | instskip(NEXT) | instid1(VALU_DEP_1)
	v_xor_b32_e32 v131, 16, v130
	v_cmp_gt_i32_e32 vcc_lo, 32, v131
	v_cndmask_b32_e32 v130, v130, v131, vcc_lo
	s_waitcnt vmcnt(24) lgkmcnt(0)
	v_wmma_f32_16x16x16_f16 v[137:144], v[89:96], v[81:88], v[137:144]
	ds_load_b128 v[89:92], v151 offset:6144
	ds_load_b128 v[93:96], v151 offset:7168
	s_waitcnt vmcnt(22)
	v_wmma_f32_16x16x16_f16 v[121:128], v[97:104], v[81:88], v[121:128]
	s_waitcnt vmcnt(0) lgkmcnt(0)
	s_barrier
	buffer_gl0_inv
	v_wmma_f32_16x16x16_f16 v[137:144], v[105:112], v[89:96], v[137:144]
	v_and_b32_e32 v129, 0xe0, v0
	v_wmma_f32_16x16x16_f16 v[121:128], v[113:120], v[89:96], v[121:128]
	s_delay_alu instid0(VALU_DEP_3) | instskip(NEXT) | instid1(VALU_DEP_2)
	v_mul_f32_e32 v96, s19, v137
	v_dual_mul_f32 v104, s19, v126 :: v_dual_add_nc_u32 v129, s16, v129
	v_mul_f32_e32 v95, s19, v138
	v_dual_mul_f32 v93, s19, v140 :: v_dual_mul_f32 v94, s19, v139
	s_delay_alu instid0(VALU_DEP_3) | instskip(SKIP_3) | instid1(VALU_DEP_4)
	v_or_b32_e32 v129, v129, v75
	v_dual_mul_f32 v91, s19, v142 :: v_dual_mul_f32 v106, s19, v124
	v_dual_mul_f32 v92, s19, v141 :: v_dual_mul_f32 v89, s19, v144
	v_mul_f32_e32 v108, s19, v122
	v_or_b32_e32 v131, 2, v129
	v_or_b32_e32 v132, 4, v129
	;; [unrolled: 1-line block ×3, first 2 shown]
	v_cmp_gt_i32_e32 vcc_lo, s18, v129
	v_or_b32_e32 v82, 8, v129
	v_cmp_gt_i32_e64 s3, s18, v131
	v_or_b32_e32 v83, 10, v129
	v_cmp_gt_i32_e64 s4, s18, v132
	v_cndmask_b32_e32 v96, 0xff7fffff, v96, vcc_lo
	v_cmp_gt_i32_e64 s5, s18, v81
	v_cndmask_b32_e64 v95, 0xff7fffff, v95, s3
	v_or_b32_e32 v84, 12, v129
	v_or_b32_e32 v85, 14, v129
	v_cndmask_b32_e64 v94, 0xff7fffff, v94, s4
	v_cndmask_b32_e64 v81, 0xff7fffff, v93, s5
	v_max3_f32 v93, v96, 0xff7fffff, v95
	v_cmp_gt_i32_e64 s6, s18, v82
	v_cmp_gt_i32_e64 s7, s18, v83
	v_or_b32_e32 v86, 16, v129
	v_or_b32_e32 v87, 18, v129
	v_mul_f32_e32 v90, s19, v143
	v_cndmask_b32_e64 v82, 0xff7fffff, v92, s6
	v_cndmask_b32_e64 v83, 0xff7fffff, v91, s7
	v_max3_f32 v81, v93, v94, v81
	v_cmp_gt_i32_e64 s8, s18, v84
	v_cmp_gt_i32_e64 s9, s18, v85
	v_or_b32_e32 v88, 20, v129
	v_or_b32_e32 v97, 22, v129
	v_mul_f32_e32 v109, s19, v121
	;; [unrolled: 8-line block ×4, first 2 shown]
	v_cndmask_b32_e64 v84, 0xff7fffff, v107, s12
	v_cndmask_b32_e64 v85, 0xff7fffff, v106, s13
	v_max3_f32 v81, v81, v82, v83
	v_cmp_gt_i32_e64 s15, s18, v98
	v_cmp_gt_i32_e64 s16, s18, v99
	v_dual_mul_f32 v102, s19, v128 :: v_dual_mul_f32 v103, s19, v127
	s_delay_alu instid0(VALU_DEP_4) | instskip(NEXT) | instid1(VALU_DEP_4)
	v_max3_f32 v81, v81, v84, v85
	v_cndmask_b32_e64 v82, 0xff7fffff, v105, s15
	s_delay_alu instid0(VALU_DEP_4) | instskip(SKIP_2) | instid1(VALU_DEP_3)
	v_cndmask_b32_e64 v83, 0xff7fffff, v104, s16
	v_cmp_gt_i32_e64 s17, s18, v100
	v_cmp_gt_i32_e64 s18, s18, v101
	v_max3_f32 v81, v81, v82, v83
	s_delay_alu instid0(VALU_DEP_3) | instskip(NEXT) | instid1(VALU_DEP_3)
	v_cndmask_b32_e64 v84, 0xff7fffff, v103, s17
	v_cndmask_b32_e64 v85, 0xff7fffff, v102, s18
	v_lshlrev_b32_e32 v83, 2, v130
	s_delay_alu instid0(VALU_DEP_2) | instskip(SKIP_3) | instid1(VALU_DEP_1)
	v_max3_f32 v81, v81, v84, v85
	ds_bpermute_b32 v82, v83, v81
	s_waitcnt lgkmcnt(0)
	v_max_f32_e32 v82, v82, v82
	v_max_f32_e32 v81, v81, v82
	s_delay_alu instid0(VALU_DEP_1) | instskip(SKIP_2) | instid1(VALU_DEP_3)
	v_fma_f32 v82, s19, v137, -v81
	v_fma_f32 v84, s19, v138, -v81
	;; [unrolled: 1-line block ×3, first 2 shown]
	v_mul_f32_e32 v82, 0x3fb8aa3b, v82
	s_delay_alu instid0(VALU_DEP_2) | instskip(NEXT) | instid1(VALU_DEP_2)
	v_dual_mul_f32 v84, 0x3fb8aa3b, v84 :: v_dual_mul_f32 v89, 0x3fb8aa3b, v87
	v_exp_f32_e32 v82, v82
	s_delay_alu instid0(VALU_DEP_1) | instskip(NEXT) | instid1(VALU_DEP_1)
	v_exp_f32_e32 v84, v84
	v_exp_f32_e32 v92, v89
	s_delay_alu instid0(TRANS32_DEP_3)
	v_cndmask_b32_e32 v88, 0, v82, vcc_lo
	s_waitcnt_depctr 0xfff
	v_cndmask_b32_e64 v87, 0, v84, s3
	v_cndmask_b32_e64 v92, 0, v92, s6
	s_mov_b32 s3, exec_lo
	v_add_f32_e32 v84, 0, v88
	s_delay_alu instid0(VALU_DEP_1)
	v_add_f32_e32 v84, v84, v87
	v_fma_f32 v85, s19, v139, -v81
	v_fma_f32 v86, s19, v140, -v81
	;; [unrolled: 1-line block ×5, first 2 shown]
	s_delay_alu instid0(VALU_DEP_4) | instskip(NEXT) | instid1(VALU_DEP_4)
	v_dual_mul_f32 v85, 0x3fb8aa3b, v85 :: v_dual_mul_f32 v86, 0x3fb8aa3b, v86
	v_mul_f32_e32 v82, 0x3fb8aa3b, v82
	v_fma_f32 v96, s19, v124, -v81
	v_fma_f32 v99, s19, v127, -v81
	s_delay_alu instid0(VALU_DEP_4) | instskip(SKIP_3) | instid1(VALU_DEP_1)
	v_exp_f32_e32 v85, v85
	v_exp_f32_e32 v86, v86
	;; [unrolled: 1-line block ×3, first 2 shown]
	v_mul_f32_e32 v97, 0x3fb8aa3b, v96
	v_exp_f32_e32 v97, v97
	v_cndmask_b32_e64 v90, 0, v85, s4
	v_fma_f32 v85, s19, v144, -v81
	s_delay_alu instid0(TRANS32_DEP_3) | instskip(SKIP_1) | instid1(VALU_DEP_4)
	v_cndmask_b32_e64 v89, 0, v86, s5
	v_fma_f32 v86, s19, v121, -v81
	v_dual_add_f32 v84, v84, v90 :: v_dual_mul_f32 v91, 0x3fb8aa3b, v91
	s_delay_alu instid0(VALU_DEP_2) | instskip(NEXT) | instid1(TRANS32_DEP_1)
	v_mul_f32_e32 v86, 0x3fb8aa3b, v86
	v_cndmask_b32_e64 v97, 0, v97, s13
	s_delay_alu instid0(VALU_DEP_3)
	v_add_f32_e32 v84, v84, v89
	v_mul_f32_e32 v85, 0x3fb8aa3b, v85
	v_exp_f32_e32 v93, v91
	v_cndmask_b32_e64 v91, 0, v82, s7
	v_exp_f32_e32 v86, v86
	v_add_f32_e32 v82, v84, v92
	v_exp_f32_e32 v85, v85
	v_fma_f32 v84, s19, v123, -v81
	s_delay_alu instid0(VALU_DEP_2) | instskip(NEXT) | instid1(TRANS32_DEP_3)
	v_dual_mul_f32 v95, 0x3fb8aa3b, v94 :: v_dual_add_f32 v82, v82, v91
	v_cndmask_b32_e64 v94, 0, v93, s8
	s_delay_alu instid0(VALU_DEP_2) | instskip(NEXT) | instid1(TRANS32_DEP_3)
	v_exp_f32_e32 v95, v95
	v_cndmask_b32_e64 v96, 0, v86, s10
	v_fma_f32 v86, s19, v126, -v81
	s_delay_alu instid0(TRANS32_DEP_2) | instskip(SKIP_3) | instid1(VALU_DEP_3)
	v_cndmask_b32_e64 v93, 0, v85, s9
	v_fma_f32 v85, s19, v125, -v81
	v_mul_f32_e32 v84, 0x3fb8aa3b, v84
	v_add_f32_e32 v82, v82, v94
	v_dual_mul_f32 v86, 0x3fb8aa3b, v86 :: v_dual_mul_f32 v85, 0x3fb8aa3b, v85
	s_delay_alu instid0(VALU_DEP_3) | instskip(NEXT) | instid1(TRANS32_DEP_2)
	v_exp_f32_e32 v84, v84
	v_cndmask_b32_e64 v95, 0, v95, s11
	s_delay_alu instid0(VALU_DEP_2) | instskip(NEXT) | instid1(VALU_DEP_2)
	v_exp_f32_e32 v86, v86
	v_exp_f32_e32 v85, v85
	s_delay_alu instid0(TRANS32_DEP_3)
	v_cndmask_b32_e64 v98, 0, v84, s12
	v_mul_f32_e32 v84, 0x3fb8aa3b, v99
	v_fma_f32 v99, s19, v128, -v81
	v_add_f32_e32 v82, v82, v93
	s_waitcnt_depctr 0xfff
	v_cndmask_b32_e64 v100, 0, v85, s15
	v_exp_f32_e32 v84, v84
	v_dual_mul_f32 v85, 0x3fb8aa3b, v99 :: v_dual_add_f32 v82, v82, v96
	v_cndmask_b32_e64 v99, 0, v86, s16
	s_delay_alu instid0(VALU_DEP_2) | instskip(NEXT) | instid1(VALU_DEP_2)
	v_exp_f32_e32 v85, v85
	v_add_f32_e32 v82, v82, v95
	s_waitcnt_depctr 0xfff
	v_cndmask_b32_e64 v102, 0, v84, s17
	v_add_f32_e32 v82, v82, v98
	v_cndmask_b32_e64 v101, 0, v85, s18
	s_delay_alu instid0(VALU_DEP_2) | instskip(NEXT) | instid1(VALU_DEP_1)
	v_add_f32_e32 v82, v82, v97
	v_add_f32_e32 v82, v82, v100
	s_delay_alu instid0(VALU_DEP_1) | instskip(NEXT) | instid1(VALU_DEP_1)
	v_add_f32_e32 v82, v82, v99
	v_add_f32_e32 v82, v82, v102
	s_delay_alu instid0(VALU_DEP_1)
	v_add_f32_e32 v82, v82, v101
	ds_bpermute_b32 v83, v83, v82
	v_cmpx_gt_u32_e32 16, v80
	s_cbranch_execz .LBB145_14
; %bb.13:
	v_mul_u32_u24_e32 v80, 0x44, v79
	s_waitcnt lgkmcnt(0)
	v_add_f32_e32 v82, v82, v83
	s_delay_alu instid0(VALU_DEP_2) | instskip(NEXT) | instid1(VALU_DEP_1)
	v_lshl_add_u32 v80, v77, 2, v80
	v_add_nc_u32_e32 v80, 0x4000, v80
	ds_store_2addr_b32 v80, v81, v82 offset1:136
.LBB145_14:
	s_or_b32 exec_lo, exec_lo, s3
	v_lshlrev_b32_e32 v80, 2, v77
	s_load_b32 s35, s[0:1], 0x94
	s_waitcnt lgkmcnt(0)
	s_barrier
	buffer_gl0_inv
	v_add_nc_u32_e32 v84, 0x4000, v80
	v_cmp_eq_u32_e32 vcc_lo, 1, v79
	v_cmp_eq_u32_e64 s3, 2, v79
	v_cmp_eq_u32_e64 s4, 3, v79
	;; [unrolled: 1-line block ×3, first 2 shown]
	ds_load_2addr_b32 v[80:81], v84 offset1:17
	ds_load_2addr_b32 v[82:83], v84 offset0:34 offset1:51
	ds_load_2addr_b32 v[103:104], v84 offset0:68 offset1:85
	;; [unrolled: 1-line block ×3, first 2 shown]
	v_cmp_eq_u32_e64 s6, 7, v79
	s_waitcnt lgkmcnt(3)
	v_max3_f32 v85, v80, 0xff7fffff, v81
	s_waitcnt lgkmcnt(2)
	s_delay_alu instid0(VALU_DEP_1) | instskip(SKIP_1) | instid1(VALU_DEP_1)
	v_max3_f32 v85, v85, v82, v83
	s_waitcnt lgkmcnt(1)
	v_max3_f32 v85, v85, v103, v104
	s_waitcnt lgkmcnt(0)
	s_delay_alu instid0(VALU_DEP_1) | instskip(NEXT) | instid1(VALU_DEP_1)
	v_max3_f32 v85, v85, v105, v106
	v_sub_f32_e32 v103, v103, v85
	ds_load_2addr_b32 v[107:108], v84 offset0:136 offset1:153
	v_sub_f32_e32 v80, v80, v85
	v_dual_sub_f32 v110, v83, v85 :: v_dual_mul_f32 v113, 0x3fb8aa3b, v103
	s_delay_alu instid0(VALU_DEP_2) | instskip(SKIP_3) | instid1(VALU_DEP_1)
	v_dual_sub_f32 v86, v81, v85 :: v_dual_mul_f32 v109, 0x3fb8aa3b, v80
	ds_load_2addr_b32 v[80:81], v84 offset0:170 offset1:187
	v_mul_f32_e32 v86, 0x3fb8aa3b, v86
	v_exp_f32_e32 v109, v109
	v_exp_f32_e32 v112, v86
	v_mul_f32_e32 v110, 0x3fb8aa3b, v110
	s_waitcnt lgkmcnt(1)
	s_waitcnt_depctr 0xfff
	v_fma_f32 v86, v109, v107, 0
	v_sub_f32_e32 v107, v104, v85
	v_sub_f32_e32 v82, v82, v85
	v_exp_f32_e32 v110, v110
	ds_load_2addr_b32 v[103:104], v84 offset0:238 offset1:255
	v_dual_fmac_f32 v86, v112, v108 :: v_dual_mul_f32 v111, 0x3fb8aa3b, v82
	ds_load_2addr_b32 v[82:83], v84 offset0:204 offset1:221
	v_dual_sub_f32 v84, v105, v85 :: v_dual_mul_f32 v105, 0x3fb8aa3b, v107
	v_exp_f32_e32 v107, v113
	v_exp_f32_e32 v111, v111
	s_waitcnt lgkmcnt(0)
	s_delay_alu instid0(VALU_DEP_1)
	v_mul_f32_e32 v84, 0x3fb8aa3b, v84
	v_exp_f32_e32 v105, v105
	s_barrier
	buffer_gl0_inv
	v_fmac_f32_e32 v86, v111, v80
	v_sub_f32_e32 v80, v106, v85
	v_exp_f32_e32 v106, v84
	s_delay_alu instid0(VALU_DEP_2) | instskip(NEXT) | instid1(VALU_DEP_2)
	v_fmac_f32_e32 v86, v110, v81
	v_mul_f32_e32 v80, 0x3fb8aa3b, v80
	s_delay_alu instid0(VALU_DEP_2) | instskip(NEXT) | instid1(VALU_DEP_2)
	v_dual_cndmask_b32 v81, v109, v112 :: v_dual_fmac_f32 v86, v107, v82
	v_exp_f32_e32 v108, v80
	s_delay_alu instid0(VALU_DEP_1) | instskip(SKIP_2) | instid1(VALU_DEP_1)
	v_fmac_f32_e32 v86, v105, v83
	s_waitcnt_depctr 0xfff
	v_fmac_f32_e32 v86, v106, v103
	v_fmac_f32_e32 v86, v108, v104
	s_delay_alu instid0(VALU_DEP_1) | instskip(NEXT) | instid1(VALU_DEP_1)
	v_add_f32_e32 v103, 0x358637bd, v86
	v_div_scale_f32 v104, null, v103, v103, 1.0
	v_div_scale_f32 v109, vcc_lo, 1.0, v103, 1.0
	s_delay_alu instid0(VALU_DEP_2) | instskip(SKIP_2) | instid1(VALU_DEP_1)
	v_rcp_f32_e32 v113, v104
	s_waitcnt_depctr 0xfff
	v_fma_f32 v80, -v104, v113, 1.0
	v_fmac_f32_e32 v113, v80, v113
	v_cndmask_b32_e64 v80, v81, v111, s3
	v_cmp_eq_u32_e64 s3, 4, v79
	v_lshl_or_b32 v81, v79, 11, v78
	s_delay_alu instid0(VALU_DEP_4) | instskip(NEXT) | instid1(VALU_DEP_4)
	v_mul_f32_e32 v111, v109, v113
	v_cndmask_b32_e64 v82, v80, v110, s4
	v_cmp_eq_u32_e64 s4, 6, v79
	s_delay_alu instid0(VALU_DEP_4) | instskip(SKIP_3) | instid1(VALU_DEP_3)
	v_lshl_or_b32 v79, v75, 4, v81
	v_lshlrev_b32_e32 v80, 2, v75
	v_fma_f32 v83, -v104, v111, v109
	v_cndmask_b32_e64 v84, v82, v107, s3
	v_or_b32_e32 v82, 1, v80
	s_delay_alu instid0(VALU_DEP_3) | instskip(NEXT) | instid1(VALU_DEP_3)
	v_fmac_f32_e32 v111, v83, v113
	v_cndmask_b32_e64 v105, v84, v105, s5
	v_or_b32_e32 v84, 2, v80
	v_or_b32_e32 v83, 3, v80
	v_cmp_eq_u32_e64 s3, 1, v80
	v_fma_f32 v104, -v104, v111, v109
	v_cndmask_b32_e64 v105, v105, v106, s4
	v_cmp_eq_u32_e64 s9, 1, v82
	v_cmp_eq_u32_e64 s10, 1, v84
	;; [unrolled: 1-line block ×3, first 2 shown]
	v_div_fmas_f32 v104, v104, v113, v111
	v_cndmask_b32_e64 v105, v105, v108, s6
	v_cmp_eq_u32_e32 vcc_lo, 2, v80
	v_cmp_eq_u32_e64 s12, 2, v82
	v_cmp_eq_u32_e64 s15, 2, v84
	v_div_fixup_f32 v103, v104, v103, 1.0
	v_cmp_eq_u32_e64 s16, 2, v83
	v_cmp_eq_u32_e64 s18, 3, v83
	;; [unrolled: 1-line block ×4, first 2 shown]
	v_mul_f32_e32 v111, v105, v103
	v_cmp_eq_u32_e64 s17, 3, v84
	v_cmp_eq_u32_e64 s22, 4, v83
	;; [unrolled: 1-line block ×4, first 2 shown]
	v_fma_mixlo_f16 v103, v111, v88, 0
	v_fma_mixlo_f16 v104, v111, v90, 0
	;; [unrolled: 1-line block ×8, first 2 shown]
	v_fma_mixhi_f16 v103, v111, v87, 0
	v_fma_mixhi_f16 v104, v111, v89, 0
	;; [unrolled: 1-line block ×8, first 2 shown]
	ds_store_b128 v79, v[103:106]
	ds_store_b128 v79, v[107:110] offset:1024
	s_waitcnt lgkmcnt(0)
	s_barrier
	buffer_gl0_inv
	ds_load_b128 v[87:90], v81
	ds_load_b128 v[91:94], v81 offset:16
	ds_load_b128 v[95:98], v81 offset:1024
	ds_load_b128 v[99:102], v81 offset:1040
	v_cmp_eq_u32_e64 s21, 4, v84
	v_cmp_eq_u32_e64 s24, 5, v83
	;; [unrolled: 1-line block ×13, first 2 shown]
	s_waitcnt lgkmcnt(3)
	v_lshrrev_b32_e32 v103, 16, v87
	s_waitcnt lgkmcnt(2)
	v_lshrrev_b32_e32 v107, 16, v91
	s_waitcnt lgkmcnt(1)
	v_lshrrev_b32_e32 v111, 16, v95
	s_waitcnt lgkmcnt(0)
	v_lshrrev_b32_e32 v115, 16, v99
	v_lshrrev_b32_e32 v104, 16, v88
	v_cndmask_b32_e64 v119, v87, v103, s3
	v_cndmask_b32_e64 v120, v91, v107, s3
	;; [unrolled: 1-line block ×8, first 2 shown]
	v_lshrrev_b32_e32 v108, 16, v92
	v_cndmask_b32_e64 v103, v95, v111, s3
	v_cndmask_b32_e64 v107, v99, v115, s3
	;; [unrolled: 1-line block ×5, first 2 shown]
	v_cndmask_b32_e32 v111, v119, v88, vcc_lo
	v_cndmask_b32_e64 v119, v121, v88, s12
	v_cndmask_b32_e64 v121, v123, v88, s15
	;; [unrolled: 1-line block ×4, first 2 shown]
	v_lshrrev_b32_e32 v112, 16, v96
	v_lshrrev_b32_e32 v116, 16, v100
	v_cndmask_b32_e64 v126, v99, v115, s9
	v_cndmask_b32_e64 v128, v99, v115, s10
	;; [unrolled: 1-line block ×3, first 2 shown]
	v_cndmask_b32_e32 v115, v120, v92, vcc_lo
	v_cndmask_b32_e64 v120, v122, v92, s12
	v_cndmask_b32_e64 v122, v124, v92, s15
	v_cndmask_b32_e32 v91, v103, v96, vcc_lo
	v_cndmask_b32_e32 v92, v107, v100, vcc_lo
	v_cndmask_b32_e64 v103, v125, v96, s12
	v_cndmask_b32_e64 v87, v87, v104, s18
	v_cndmask_b32_e64 v88, v88, v108, s18
	v_lshrrev_b32_e32 v105, 16, v89
	v_lshrrev_b32_e32 v109, 16, v93
	v_cndmask_b32_e64 v107, v127, v96, s15
	v_cndmask_b32_e64 v95, v95, v96, s16
	;; [unrolled: 1-line block ×14, first 2 shown]
	v_lshrrev_b32_e32 v113, 16, v97
	v_cndmask_b32_e64 v99, v99, v89, s5
	v_cndmask_b32_e64 v104, v111, v93, s5
	;; [unrolled: 1-line block ×11, first 2 shown]
	v_lshrrev_b32_e32 v106, 16, v90
	v_lshrrev_b32_e32 v110, 16, v94
	v_cndmask_b32_e64 v93, v99, v105, s6
	v_cndmask_b32_e64 v99, v104, v109, s6
	v_cndmask_b32_e64 v103, v108, v105, s20
	v_cndmask_b32_e64 v104, v111, v109, s20
	v_cndmask_b32_e64 v108, v115, v105, s23
	v_cndmask_b32_e64 v111, v119, v109, s23
	v_cndmask_b32_e64 v92, v92, v113, s20
	v_cndmask_b32_e64 v87, v87, v90, s27
	v_cndmask_b32_e64 v88, v88, v94, s27
	v_lshrrev_b32_e32 v114, 16, v98
	v_cndmask_b32_e64 v89, v89, v113, s6
	v_cndmask_b32_e64 v93, v93, v90, s7
	;; [unrolled: 1-line block ×19, first 2 shown]
	v_perm_b32 v90, v88, v87, 0x5040100
	v_cndmask_b32_e64 v87, v126, v100, s12
	v_cndmask_b32_e64 v105, v89, v114, s8
	v_perm_b32 v89, v103, v99, 0x5040100
	v_perm_b32 v88, v104, v94, 0x5040100
	v_cndmask_b32_e64 v94, v107, v112, s17
	v_cndmask_b32_e64 v95, v95, v112, s18
	;; [unrolled: 1-line block ×5, first 2 shown]
	v_lshrrev_b32_e32 v117, 16, v101
	v_cndmask_b32_e64 v94, v94, v97, s21
	v_cndmask_b32_e64 v95, v95, v97, s22
	;; [unrolled: 1-line block ×11, first 2 shown]
	v_lshrrev_b32_e32 v118, 16, v102
	v_cndmask_b32_e64 v91, v91, v102, s7
	v_cndmask_b32_e64 v94, v94, v98, s26
	v_cndmask_b32_e64 v95, v95, v98, s27
	v_cndmask_b32_e64 v96, v96, v102, s27
	v_cndmask_b32_e64 v97, v97, v102, s26
	v_cndmask_b32_e64 v87, v87, v102, s25
	v_cndmask_b32_e64 v98, v94, v114, s28
	v_cndmask_b32_e64 v94, v95, v114, s29
	v_cndmask_b32_e64 v95, v96, v118, s29
	v_cndmask_b32_e64 v96, v97, v118, s28
	v_cndmask_b32_e64 v97, v87, v118, s30
	v_cndmask_b32_e64 v91, v91, v118, s8
	v_perm_b32 v87, v93, v92, 0x5040100
	v_perm_b32 v94, v95, v94, 0x5040100
	;; [unrolled: 1-line block ×5, first 2 shown]
	s_mul_i32 s7, s33, 12
	s_mov_b32 s3, exec_lo
	ds_store_b128 v79, v[87:90]
	ds_store_b128 v79, v[91:94] offset:1024
	v_cmpx_gt_u32_e32 12, v0
	s_cbranch_execz .LBB145_16
; %bb.15:
	s_mul_i32 s4, s7, s34
	s_load_b128 s[8:11], s[0:1], 0x58
	v_add3_u32 v77, s4, s31, v77
	s_delay_alu instid0(VALU_DEP_1) | instskip(NEXT) | instid1(VALU_DEP_1)
	v_mad_u64_u32 v[87:88], null, v77, s35, s[14:15]
	v_ashrrev_i32_e32 v88, 31, v87
	s_delay_alu instid0(VALU_DEP_1) | instskip(SKIP_1) | instid1(VALU_DEP_1)
	v_lshlrev_b64 v[87:88], 2, v[87:88]
	s_waitcnt lgkmcnt(0)
	v_add_co_u32 v89, vcc_lo, s10, v87
	s_delay_alu instid0(VALU_DEP_2)
	v_add_co_ci_u32_e32 v90, vcc_lo, s11, v88, vcc_lo
	v_add_co_u32 v87, vcc_lo, s8, v87
	v_add_co_ci_u32_e32 v88, vcc_lo, s9, v88, vcc_lo
	global_store_b32 v[89:90], v85, off
	global_store_b32 v[87:88], v86, off
.LBB145_16:
	s_or_b32 exec_lo, exec_lo, s3
	s_waitcnt lgkmcnt(0)
	s_waitcnt_vscnt null, 0x0
	s_barrier
	buffer_gl0_inv
	ds_load_b128 v[93:96], v78
	ds_load_b128 v[97:100], v78 offset:16
	ds_load_b128 v[105:108], v78 offset:1040
	;; [unrolled: 1-line block ×5, first 2 shown]
	v_cmp_eq_u32_e32 vcc_lo, 1, v84
	v_mov_b32_e32 v85, 0
	ds_load_b128 v[121:124], v78 offset:3088
	ds_load_b128 v[117:120], v78 offset:3072
	;; [unrolled: 1-line block ×4, first 2 shown]
	v_cmp_eq_u32_e64 s3, 1, v80
	v_cmp_eq_u32_e64 s4, 1, v83
	;; [unrolled: 1-line block ×3, first 2 shown]
	v_mov_b32_e32 v86, v85
	v_mov_b32_e32 v87, v85
	;; [unrolled: 1-line block ×7, first 2 shown]
	v_cmp_eq_u32_e64 s6, 2, v80
	s_waitcnt lgkmcnt(8)
	s_delay_alu instid0(VALU_DEP_2)
	v_wmma_f32_16x16x16_f16 v[85:92], v[65:72], v[93:100], v[85:92]
	ds_load_b128 v[69:72], v78 offset:5136
	ds_load_b128 v[65:68], v78 offset:5120
	ds_load_b128 v[97:100], v78 offset:6160
	ds_load_b128 v[93:96], v78 offset:6144
	s_waitcnt lgkmcnt(10)
	v_wmma_f32_16x16x16_f16 v[85:92], v[57:64], v[101:108], v[85:92]
	s_waitcnt lgkmcnt(8)
	s_delay_alu instid0(VALU_DEP_1)
	v_wmma_f32_16x16x16_f16 v[85:92], v[57:64], v[109:116], v[85:92]
	ds_load_b128 v[61:64], v78 offset:7184
	ds_load_b128 v[57:60], v78 offset:7168
	;; [unrolled: 1-line block ×4, first 2 shown]
	s_waitcnt lgkmcnt(10)
	v_wmma_f32_16x16x16_f16 v[85:92], v[49:56], v[117:124], v[85:92]
	s_waitcnt lgkmcnt(8)
	s_delay_alu instid0(VALU_DEP_1)
	v_wmma_f32_16x16x16_f16 v[85:92], v[49:56], v[125:132], v[85:92]
	ds_load_b128 v[53:56], v78 offset:9232
	ds_load_b128 v[49:52], v78 offset:9216
	s_waitcnt lgkmcnt(8)
	v_wmma_f32_16x16x16_f16 v[85:92], v[41:48], v[65:72], v[85:92]
	ds_load_b128 v[69:72], v78 offset:10256
	ds_load_b128 v[65:68], v78 offset:10240
	s_waitcnt lgkmcnt(8)
	;; [unrolled: 4-line block ×7, first 2 shown]
	s_barrier
	buffer_gl0_inv
	v_wmma_f32_16x16x16_f16 v[85:92], v[33:40], v[41:48], v[85:92]
	s_delay_alu instid0(VALU_DEP_1) | instskip(NEXT) | instid1(VALU_DEP_1)
	v_wmma_f32_16x16x16_f16 v[85:92], v[33:40], v[57:64], v[85:92]
	v_wmma_f32_16x16x16_f16 v[85:92], v[25:32], v[9:16], v[85:92]
	s_delay_alu instid0(VALU_DEP_1) | instskip(NEXT) | instid1(VALU_DEP_1)
	v_wmma_f32_16x16x16_f16 v[85:92], v[25:32], v[49:56], v[85:92]
	v_wmma_f32_16x16x16_f16 v[85:92], v[17:24], v[1:8], v[85:92]
	s_delay_alu instid0(VALU_DEP_1) | instskip(NEXT) | instid1(VALU_DEP_2)
	v_cvt_f16_f32_e32 v1, v85
	v_cvt_f16_f32_e32 v2, v86
	s_delay_alu instid0(VALU_DEP_3) | instskip(NEXT) | instid1(VALU_DEP_4)
	v_cvt_f16_f32_e32 v3, v87
	v_cvt_f16_f32_e32 v4, v88
	;; [unrolled: 1-line block ×6, first 2 shown]
	v_pack_b32_f16 v1, v1, v2
	v_pack_b32_f16 v2, v3, v4
	;; [unrolled: 1-line block ×3, first 2 shown]
	s_delay_alu instid0(VALU_DEP_4)
	v_pack_b32_f16 v4, v7, v8
	ds_store_b128 v79, v[1:4]
	s_waitcnt lgkmcnt(0)
	s_barrier
	buffer_gl0_inv
	ds_load_b128 v[1:4], v81
	ds_load_b128 v[5:8], v81 offset:16
	s_waitcnt lgkmcnt(1)
	v_lshrrev_b32_e32 v9, 16, v1
	s_waitcnt lgkmcnt(0)
	v_lshrrev_b32_e32 v13, 16, v5
	v_lshrrev_b32_e32 v15, 16, v7
	;; [unrolled: 1-line block ×4, first 2 shown]
	v_cndmask_b32_e64 v17, v1, v9, s3
	v_cndmask_b32_e64 v18, v5, v13, s3
	;; [unrolled: 1-line block ×3, first 2 shown]
	v_cmp_eq_u32_e64 s3, 2, v82
	v_cndmask_b32_e64 v20, v5, v13, s5
	v_cndmask_b32_e32 v21, v1, v9, vcc_lo
	v_cndmask_b32_e32 v22, v5, v13, vcc_lo
	v_cndmask_b32_e64 v1, v1, v9, s4
	v_cndmask_b32_e64 v5, v5, v13, s4
	v_cmp_eq_u32_e32 vcc_lo, 2, v84
	v_cmp_eq_u32_e64 s4, 2, v83
	v_cndmask_b32_e64 v9, v17, v2, s6
	v_cndmask_b32_e64 v13, v18, v6, s6
	;; [unrolled: 1-line block ×4, first 2 shown]
	v_cndmask_b32_e32 v19, v21, v2, vcc_lo
	v_cmp_eq_u32_e64 s3, 3, v84
	v_cndmask_b32_e32 v20, v22, v6, vcc_lo
	v_cndmask_b32_e64 v1, v1, v2, s4
	v_cmp_eq_u32_e32 vcc_lo, 3, v83
	v_cmp_eq_u32_e64 s5, 3, v80
	v_cndmask_b32_e64 v2, v5, v6, s4
	v_cmp_eq_u32_e64 s4, 3, v82
	v_lshrrev_b32_e32 v16, 16, v8
	v_cmp_eq_u32_e64 s6, 4, v80
	v_cndmask_b32_e64 v5, v9, v10, s5
	v_cndmask_b32_e64 v6, v13, v14, s5
	;; [unrolled: 1-line block ×3, first 2 shown]
	v_cmp_eq_u32_e64 s5, 4, v82
	v_cndmask_b32_e64 v13, v18, v14, s4
	v_cndmask_b32_e64 v17, v19, v10, s3
	;; [unrolled: 1-line block ×3, first 2 shown]
	v_cndmask_b32_e32 v1, v1, v10, vcc_lo
	v_cndmask_b32_e32 v2, v2, v14, vcc_lo
	v_cmp_eq_u32_e32 vcc_lo, 4, v84
	v_cmp_eq_u32_e64 s4, 4, v83
	v_lshrrev_b32_e32 v11, 16, v3
	v_cndmask_b32_e64 v5, v5, v3, s6
	v_cndmask_b32_e64 v6, v6, v7, s6
	;; [unrolled: 1-line block ×4, first 2 shown]
	v_cndmask_b32_e32 v13, v17, v3, vcc_lo
	v_cmp_eq_u32_e64 s3, 5, v84
	v_cndmask_b32_e32 v14, v18, v7, vcc_lo
	v_cndmask_b32_e64 v1, v1, v3, s4
	v_cmp_eq_u32_e32 vcc_lo, 5, v83
	v_cmp_eq_u32_e64 s5, 5, v80
	v_cndmask_b32_e64 v2, v2, v7, s4
	v_cmp_eq_u32_e64 s4, 5, v82
	v_cmp_eq_u32_e64 s6, 6, v80
	v_cndmask_b32_e32 v1, v1, v11, vcc_lo
	v_cndmask_b32_e64 v3, v5, v11, s5
	v_cndmask_b32_e64 v5, v6, v15, s5
	;; [unrolled: 1-line block ×3, first 2 shown]
	v_cmp_eq_u32_e64 s5, 6, v82
	v_cndmask_b32_e64 v7, v10, v15, s4
	v_cndmask_b32_e64 v9, v13, v11, s3
	;; [unrolled: 1-line block ×3, first 2 shown]
	v_cndmask_b32_e32 v2, v2, v15, vcc_lo
	v_cmp_eq_u32_e32 vcc_lo, 6, v84
	v_cmp_eq_u32_e64 s3, 6, v83
	v_lshrrev_b32_e32 v12, 16, v4
	v_cndmask_b32_e64 v3, v3, v4, s6
	v_cndmask_b32_e64 v5, v5, v8, s6
	;; [unrolled: 1-line block ×4, first 2 shown]
	v_cndmask_b32_e32 v9, v9, v4, vcc_lo
	v_cmp_eq_u32_e64 s4, 7, v84
	v_cndmask_b32_e32 v10, v10, v8, vcc_lo
	v_cndmask_b32_e64 v1, v1, v4, s3
	v_cmp_eq_u32_e32 vcc_lo, 7, v83
	v_cndmask_b32_e64 v2, v2, v8, s3
	v_cmp_eq_u32_e64 s3, 7, v80
	v_cmp_eq_u32_e64 s5, 7, v82
	v_cndmask_b32_e32 v1, v1, v12, vcc_lo
	s_delay_alu instid0(VALU_DEP_4) | instskip(NEXT) | instid1(VALU_DEP_4)
	v_cndmask_b32_e32 v2, v2, v16, vcc_lo
	v_cndmask_b32_e64 v8, v3, v12, s3
	s_delay_alu instid0(VALU_DEP_4)
	v_cndmask_b32_e64 v6, v6, v12, s5
	v_cndmask_b32_e64 v3, v9, v12, s4
	;; [unrolled: 1-line block ×5, first 2 shown]
	v_cmp_gt_u32_e32 vcc_lo, 32, v0
	v_perm_b32 v4, v2, v1, 0x5040100
	v_perm_b32 v3, v9, v3, 0x5040100
	;; [unrolled: 1-line block ×4, first 2 shown]
	s_and_b32 s2, vcc_lo, s2
	ds_store_b128 v79, v[1:4]
	s_waitcnt lgkmcnt(0)
	s_barrier
	buffer_gl0_inv
	s_and_saveexec_b32 s3, s2
	s_cbranch_execz .LBB145_2
; %bb.17:
	s_load_b64 s[0:1], s[0:1], 0x68
	v_lshlrev_b32_e32 v0, 10, v0
	s_lshl_b32 s4, s35, 6
	v_or_b32_e32 v3, s31, v75
	s_mul_i32 s2, s4, s34
	v_lshlrev_b32_e32 v1, 4, v76
	s_mul_i32 s2, s2, s7
	v_lshlrev_b32_e32 v2, 6, v75
	v_and_b32_e32 v0, 0x3800, v0
	s_ashr_i32 s3, s2, 31
	v_mul_lo_u32 v4, v3, s4
	s_lshl_b64 s[2:3], s[2:3], 1
	s_delay_alu instid0(VALU_DEP_2) | instskip(NEXT) | instid1(VALU_DEP_2)
	v_or3_b32 v16, v0, v1, v2
	v_ashrrev_i32_e32 v5, 31, v4
	ds_load_b128 v[0:3], v16
	s_waitcnt lgkmcnt(0)
	s_add_u32 s2, s0, s2
	s_addc_u32 s3, s1, s3
	s_lshl_b32 s0, s14, 6
	v_lshlrev_b64 v[5:6], 1, v[4:5]
	s_ashr_i32 s1, s0, 31
	s_delay_alu instid0(SALU_CYCLE_1) | instskip(NEXT) | instid1(SALU_CYCLE_1)
	s_lshl_b64 s[0:1], s[0:1], 1
	s_add_u32 s0, s2, s0
	s_addc_u32 s1, s3, s1
	s_lshl_b32 s2, s35, 7
	v_add_co_u32 v30, vcc_lo, s0, v73
	v_add_nc_u32_e32 v8, s2, v4
	v_add_co_ci_u32_e32 v31, vcc_lo, s1, v74, vcc_lo
	s_delay_alu instid0(VALU_DEP_3) | instskip(NEXT) | instid1(VALU_DEP_3)
	v_add_co_u32 v12, vcc_lo, v30, v5
	v_add_nc_u32_e32 v10, s2, v8
	v_ashrrev_i32_e32 v9, 31, v8
	s_delay_alu instid0(VALU_DEP_4)
	v_add_co_ci_u32_e32 v13, vcc_lo, v31, v6, vcc_lo
	ds_load_b128 v[4:7], v16 offset:128
	v_ashrrev_i32_e32 v11, 31, v10
	v_lshlrev_b64 v[8:9], 1, v[8:9]
	v_add_nc_u32_e32 v14, s2, v10
	global_store_b128 v[12:13], v[0:3], off
	v_lshlrev_b64 v[0:1], 1, v[10:11]
	v_ashrrev_i32_e32 v15, 31, v14
	v_add_co_u32 v22, vcc_lo, v30, v8
	v_add_nc_u32_e32 v20, s2, v14
	v_add_co_ci_u32_e32 v23, vcc_lo, v31, v9, vcc_lo
	v_add_co_u32 v26, vcc_lo, v30, v0
	v_lshlrev_b64 v[24:25], 1, v[14:15]
	v_add_co_ci_u32_e32 v27, vcc_lo, v31, v1, vcc_lo
	ds_load_b128 v[0:3], v16 offset:256
	ds_load_b128 v[8:11], v16 offset:384
	;; [unrolled: 1-line block ×4, first 2 shown]
	v_add_nc_u32_e32 v28, s2, v20
	v_ashrrev_i32_e32 v21, 31, v20
	v_add_co_u32 v24, vcc_lo, v30, v24
	v_add_co_ci_u32_e32 v25, vcc_lo, v31, v25, vcc_lo
	s_delay_alu instid0(VALU_DEP_4) | instskip(NEXT) | instid1(VALU_DEP_4)
	v_ashrrev_i32_e32 v29, 31, v28
	v_lshlrev_b64 v[20:21], 1, v[20:21]
	s_delay_alu instid0(VALU_DEP_2) | instskip(NEXT) | instid1(VALU_DEP_2)
	v_lshlrev_b64 v[28:29], 1, v[28:29]
	v_add_co_u32 v20, vcc_lo, v30, v20
	s_delay_alu instid0(VALU_DEP_3) | instskip(NEXT) | instid1(VALU_DEP_3)
	v_add_co_ci_u32_e32 v21, vcc_lo, v31, v21, vcc_lo
	v_add_co_u32 v28, vcc_lo, v30, v28
	s_delay_alu instid0(VALU_DEP_4)
	v_add_co_ci_u32_e32 v29, vcc_lo, v31, v29, vcc_lo
	s_waitcnt lgkmcnt(4)
	global_store_b128 v[22:23], v[4:7], off
	s_waitcnt lgkmcnt(3)
	global_store_b128 v[26:27], v[0:3], off
	;; [unrolled: 2-line block ×5, first 2 shown]
	s_nop 0
	s_sendmsg sendmsg(MSG_DEALLOC_VGPRS)
	s_endpgm
	.section	.rodata,"a",@progbits
	.p2align	6, 0x0
	.amdhsa_kernel _Z39paged_attention_ll4mi_QKV_mfma16_kernelIDF16_DF16_LN4vllm18Fp8KVCacheDataTypeE0EhLi32ELi64ELi256ELb0ELi12EL8MFMAType0EEvPKT_PKT0_S8_ifPKiSA_SA_iPKfiiiPfSD_PS3_PT2_iSC_SC_
		.amdhsa_group_segment_fixed_size 17472
		.amdhsa_private_segment_fixed_size 0
		.amdhsa_kernarg_size 400
		.amdhsa_user_sgpr_count 13
		.amdhsa_user_sgpr_dispatch_ptr 0
		.amdhsa_user_sgpr_queue_ptr 0
		.amdhsa_user_sgpr_kernarg_segment_ptr 1
		.amdhsa_user_sgpr_dispatch_id 0
		.amdhsa_user_sgpr_private_segment_size 0
		.amdhsa_wavefront_size32 1
		.amdhsa_uses_dynamic_stack 0
		.amdhsa_enable_private_segment 0
		.amdhsa_system_sgpr_workgroup_id_x 1
		.amdhsa_system_sgpr_workgroup_id_y 1
		.amdhsa_system_sgpr_workgroup_id_z 1
		.amdhsa_system_sgpr_workgroup_info 0
		.amdhsa_system_vgpr_workitem_id 0
		.amdhsa_next_free_vgpr 154
		.amdhsa_next_free_sgpr 39
		.amdhsa_reserve_vcc 1
		.amdhsa_float_round_mode_32 0
		.amdhsa_float_round_mode_16_64 0
		.amdhsa_float_denorm_mode_32 3
		.amdhsa_float_denorm_mode_16_64 3
		.amdhsa_dx10_clamp 1
		.amdhsa_ieee_mode 1
		.amdhsa_fp16_overflow 0
		.amdhsa_workgroup_processor_mode 1
		.amdhsa_memory_ordered 1
		.amdhsa_forward_progress 0
		.amdhsa_shared_vgpr_count 0
		.amdhsa_exception_fp_ieee_invalid_op 0
		.amdhsa_exception_fp_denorm_src 0
		.amdhsa_exception_fp_ieee_div_zero 0
		.amdhsa_exception_fp_ieee_overflow 0
		.amdhsa_exception_fp_ieee_underflow 0
		.amdhsa_exception_fp_ieee_inexact 0
		.amdhsa_exception_int_div_zero 0
	.end_amdhsa_kernel
	.section	.text._Z39paged_attention_ll4mi_QKV_mfma16_kernelIDF16_DF16_LN4vllm18Fp8KVCacheDataTypeE0EhLi32ELi64ELi256ELb0ELi12EL8MFMAType0EEvPKT_PKT0_S8_ifPKiSA_SA_iPKfiiiPfSD_PS3_PT2_iSC_SC_,"axG",@progbits,_Z39paged_attention_ll4mi_QKV_mfma16_kernelIDF16_DF16_LN4vllm18Fp8KVCacheDataTypeE0EhLi32ELi64ELi256ELb0ELi12EL8MFMAType0EEvPKT_PKT0_S8_ifPKiSA_SA_iPKfiiiPfSD_PS3_PT2_iSC_SC_,comdat
.Lfunc_end145:
	.size	_Z39paged_attention_ll4mi_QKV_mfma16_kernelIDF16_DF16_LN4vllm18Fp8KVCacheDataTypeE0EhLi32ELi64ELi256ELb0ELi12EL8MFMAType0EEvPKT_PKT0_S8_ifPKiSA_SA_iPKfiiiPfSD_PS3_PT2_iSC_SC_, .Lfunc_end145-_Z39paged_attention_ll4mi_QKV_mfma16_kernelIDF16_DF16_LN4vllm18Fp8KVCacheDataTypeE0EhLi32ELi64ELi256ELb0ELi12EL8MFMAType0EEvPKT_PKT0_S8_ifPKiSA_SA_iPKfiiiPfSD_PS3_PT2_iSC_SC_
                                        ; -- End function
	.section	.AMDGPU.csdata,"",@progbits
; Kernel info:
; codeLenInByte = 7312
; NumSgprs: 41
; NumVgprs: 154
; ScratchSize: 0
; MemoryBound: 0
; FloatMode: 240
; IeeeMode: 1
; LDSByteSize: 17472 bytes/workgroup (compile time only)
; SGPRBlocks: 5
; VGPRBlocks: 19
; NumSGPRsForWavesPerEU: 41
; NumVGPRsForWavesPerEU: 154
; Occupancy: 9
; WaveLimiterHint : 1
; COMPUTE_PGM_RSRC2:SCRATCH_EN: 0
; COMPUTE_PGM_RSRC2:USER_SGPR: 13
; COMPUTE_PGM_RSRC2:TRAP_HANDLER: 0
; COMPUTE_PGM_RSRC2:TGID_X_EN: 1
; COMPUTE_PGM_RSRC2:TGID_Y_EN: 1
; COMPUTE_PGM_RSRC2:TGID_Z_EN: 1
; COMPUTE_PGM_RSRC2:TIDIG_COMP_CNT: 0
	.section	.text._Z39paged_attention_ll4mi_QKV_mfma16_kernelIDF16_DF16_LN4vllm18Fp8KVCacheDataTypeE0EhLi32ELi64ELi256ELb0ELi13EL8MFMAType0EEvPKT_PKT0_S8_ifPKiSA_SA_iPKfiiiPfSD_PS3_PT2_iSC_SC_,"axG",@progbits,_Z39paged_attention_ll4mi_QKV_mfma16_kernelIDF16_DF16_LN4vllm18Fp8KVCacheDataTypeE0EhLi32ELi64ELi256ELb0ELi13EL8MFMAType0EEvPKT_PKT0_S8_ifPKiSA_SA_iPKfiiiPfSD_PS3_PT2_iSC_SC_,comdat
	.protected	_Z39paged_attention_ll4mi_QKV_mfma16_kernelIDF16_DF16_LN4vllm18Fp8KVCacheDataTypeE0EhLi32ELi64ELi256ELb0ELi13EL8MFMAType0EEvPKT_PKT0_S8_ifPKiSA_SA_iPKfiiiPfSD_PS3_PT2_iSC_SC_ ; -- Begin function _Z39paged_attention_ll4mi_QKV_mfma16_kernelIDF16_DF16_LN4vllm18Fp8KVCacheDataTypeE0EhLi32ELi64ELi256ELb0ELi13EL8MFMAType0EEvPKT_PKT0_S8_ifPKiSA_SA_iPKfiiiPfSD_PS3_PT2_iSC_SC_
	.globl	_Z39paged_attention_ll4mi_QKV_mfma16_kernelIDF16_DF16_LN4vllm18Fp8KVCacheDataTypeE0EhLi32ELi64ELi256ELb0ELi13EL8MFMAType0EEvPKT_PKT0_S8_ifPKiSA_SA_iPKfiiiPfSD_PS3_PT2_iSC_SC_
	.p2align	8
	.type	_Z39paged_attention_ll4mi_QKV_mfma16_kernelIDF16_DF16_LN4vllm18Fp8KVCacheDataTypeE0EhLi32ELi64ELi256ELb0ELi13EL8MFMAType0EEvPKT_PKT0_S8_ifPKiSA_SA_iPKfiiiPfSD_PS3_PT2_iSC_SC_,@function
_Z39paged_attention_ll4mi_QKV_mfma16_kernelIDF16_DF16_LN4vllm18Fp8KVCacheDataTypeE0EhLi32ELi64ELi256ELb0ELi13EL8MFMAType0EEvPKT_PKT0_S8_ifPKiSA_SA_iPKfiiiPfSD_PS3_PT2_iSC_SC_: ; @_Z39paged_attention_ll4mi_QKV_mfma16_kernelIDF16_DF16_LN4vllm18Fp8KVCacheDataTypeE0EhLi32ELi64ELi256ELb0ELi13EL8MFMAType0EEvPKT_PKT0_S8_ifPKiSA_SA_iPKfiiiPfSD_PS3_PT2_iSC_SC_
; %bb.0:
	s_load_b64 s[2:3], s[0:1], 0x30
	s_mov_b32 s34, s13
	s_waitcnt lgkmcnt(0)
	s_cmp_lg_u64 s[2:3], 0
	s_cselect_b32 s6, -1, 0
	s_ashr_i32 s35, s13, 31
	s_cmp_eq_u64 s[2:3], 0
	s_cbranch_scc1 .LBB146_3
; %bb.1:
	s_lshl_b64 s[4:5], s[34:35], 2
	s_delay_alu instid0(SALU_CYCLE_1) | instskip(SKIP_4) | instid1(SALU_CYCLE_1)
	s_add_u32 s4, s2, s4
	s_addc_u32 s5, s3, s5
	s_load_b64 s[4:5], s[4:5], 0x0
	s_waitcnt lgkmcnt(0)
	s_sub_i32 s4, s5, s4
	s_cmp_eq_u32 s4, 1
	s_cselect_b32 s4, -1, 0
	s_delay_alu instid0(SALU_CYCLE_1)
	s_and_not1_b32 vcc_lo, exec_lo, s4
	s_cbranch_vccz .LBB146_4
.LBB146_2:
	s_nop 0
	s_sendmsg sendmsg(MSG_DEALLOC_VGPRS)
	s_endpgm
.LBB146_3:
.LBB146_4:
	s_load_b64 s[8:9], s[0:1], 0x28
	s_lshl_b64 s[4:5], s[34:35], 2
	s_waitcnt lgkmcnt(0)
	s_add_u32 s8, s8, s4
	s_addc_u32 s9, s9, s5
	s_lshl_b32 s16, s14, 8
	s_load_b32 s18, s[8:9], 0x0
	s_waitcnt lgkmcnt(0)
	s_cmp_ge_i32 s16, s18
	s_cbranch_scc1 .LBB146_2
; %bb.5:
	s_and_not1_b32 vcc_lo, exec_lo, s6
	s_cbranch_vccnz .LBB146_7
; %bb.6:
	s_add_u32 s2, s2, s4
	s_addc_u32 s3, s3, s5
	s_load_b32 s17, s[2:3], 0x0
	s_branch .LBB146_8
.LBB146_7:
	s_mov_b32 s17, s34
.LBB146_8:
	s_clause 0x2
	s_load_b128 s[8:11], s[0:1], 0x8
	s_load_b64 s[12:13], s[0:1], 0x20
	s_load_b128 s[4:7], s[0:1], 0x48
	v_lshrrev_b32_e32 v78, 5, v0
	v_bfe_u32 v75, v0, 4, 1
	v_and_b32_e32 v77, 15, v0
	s_delay_alu instid0(VALU_DEP_2) | instskip(NEXT) | instid1(VALU_DEP_2)
	v_lshl_or_b32 v3, v78, 1, v75
	v_cmp_lt_u32_e64 s3, 7, v77
	v_lshlrev_b32_e32 v1, 3, v77
	v_cmp_gt_u32_e64 s2, 8, v77
	s_delay_alu instid0(VALU_DEP_4) | instskip(NEXT) | instid1(VALU_DEP_4)
	v_cmp_lt_u32_e32 vcc_lo, 12, v3
	s_or_b32 s3, s3, vcc_lo
	s_waitcnt lgkmcnt(0)
	s_and_saveexec_b32 s7, s3
	s_delay_alu instid0(SALU_CYCLE_1)
	s_xor_b32 s3, exec_lo, s7
; %bb.9:
	v_mov_b32_e32 v2, 0
                                        ; implicit-def: $vgpr3
; %bb.10:
	s_or_saveexec_b32 s3, s3
	v_and_b32_e32 v80, 31, v0
	v_and_b32_e32 v76, 1, v0
	s_mul_i32 s33, s15, 13
	s_xor_b32 exec_lo, exec_lo, s3
	s_cbranch_execz .LBB146_12
; %bb.11:
	s_load_b64 s[20:21], s[0:1], 0x0
	v_add_lshl_u32 v4, v3, s33, 6
	s_mul_hi_i32 s23, s17, s4
	s_mul_i32 s22, s17, s4
	v_lshlrev_b32_e32 v2, 1, v1
	s_lshl_b64 s[22:23], s[22:23], 1
	v_ashrrev_i32_e32 v5, 31, v4
	v_lshlrev_b32_e32 v3, 6, v3
	v_lshlrev_b32_e32 v8, 10, v76
	s_delay_alu instid0(VALU_DEP_3) | instskip(SKIP_3) | instid1(VALU_DEP_1)
	v_lshlrev_b64 v[4:5], 1, v[4:5]
	s_waitcnt lgkmcnt(0)
	s_add_u32 s4, s20, s22
	s_addc_u32 s7, s21, s23
	v_add_co_u32 v4, vcc_lo, s4, v4
	s_delay_alu instid0(VALU_DEP_2) | instskip(NEXT) | instid1(VALU_DEP_2)
	v_add_co_ci_u32_e32 v5, vcc_lo, s7, v5, vcc_lo
	v_add_co_u32 v4, vcc_lo, v4, v2
	s_delay_alu instid0(VALU_DEP_2) | instskip(SKIP_3) | instid1(VALU_DEP_1)
	v_add_co_ci_u32_e32 v5, vcc_lo, 0, v5, vcc_lo
	v_lshlrev_b32_e32 v2, 10, v77
	global_load_b128 v[4:7], v[4:5], off
	v_and_b32_e32 v2, 0x3800, v2
	v_or3_b32 v3, v2, v8, v3
	v_mov_b32_e32 v2, 0
	s_waitcnt vmcnt(0)
	ds_store_b128 v3, v[4:7]
.LBB146_12:
	s_or_b32 exec_lo, exec_lo, s3
	v_and_b32_e32 v3, 0xef, v0
	s_add_i32 s3, s18, 31
	s_clause 0x1
	s_load_b32 s4, s[0:1], 0x38
	s_load_b32 s35, s[0:1], 0x98
	s_ashr_i32 s7, s3, 31
	v_add_nc_u32_e32 v3, s16, v3
	s_lshr_b32 s7, s7, 27
	s_load_b32 s19, s[0:1], 0x1c
	s_add_i32 s3, s3, s7
	s_waitcnt lgkmcnt(0)
	v_ashrrev_i32_e32 v4, 31, v3
	v_cmp_gt_i32_e32 vcc_lo, s18, v3
	s_ashr_i32 s3, s3, 5
	s_barrier
	s_add_i32 s3, s3, -1
	v_lshrrev_b32_e32 v5, 27, v4
	v_or_b32_e32 v4, 16, v3
	buffer_gl0_inv
	s_mul_i32 s6, s15, s6
	v_lshlrev_b64 v[73:74], 1, v[1:2]
	v_add_nc_u32_e32 v6, v3, v5
	v_add_nc_u32_e32 v5, v4, v5
	s_mul_i32 s20, s34, s4
	s_delay_alu instid0(SALU_CYCLE_1) | instskip(NEXT) | instid1(VALU_DEP_2)
	s_ashr_i32 s21, s20, 31
	v_ashrrev_i32_e32 v6, 5, v6
	s_delay_alu instid0(VALU_DEP_2) | instskip(SKIP_1) | instid1(SALU_CYCLE_1)
	v_ashrrev_i32_e32 v5, 5, v5
	s_lshl_b64 s[20:21], s[20:21], 2
	s_add_u32 s4, s12, s20
	s_delay_alu instid0(VALU_DEP_2) | instskip(SKIP_3) | instid1(SALU_CYCLE_1)
	v_cndmask_b32_e32 v3, s3, v6, vcc_lo
	v_cmp_gt_i32_e32 vcc_lo, s18, v4
	s_addc_u32 s17, s13, s21
	s_ashr_i32 s7, s6, 31
	s_lshl_b64 s[6:7], s[6:7], 1
	v_cndmask_b32_e32 v5, s3, v5, vcc_lo
	v_ashrrev_i32_e32 v4, 31, v3
	s_add_u32 s15, s8, s6
	s_addc_u32 s28, s9, s7
	s_lshl_b32 s8, s14, 3
	v_ashrrev_i32_e32 v6, 31, v5
	v_lshlrev_b64 v[3:4], 2, v[3:4]
	s_ashr_i32 s9, s8, 31
	s_delay_alu instid0(SALU_CYCLE_1) | instskip(NEXT) | instid1(VALU_DEP_2)
	s_lshl_b64 s[8:9], s[8:9], 2
	v_lshlrev_b64 v[5:6], 2, v[5:6]
	s_add_u32 s8, s4, s8
	s_delay_alu instid0(VALU_DEP_2) | instskip(SKIP_1) | instid1(VALU_DEP_3)
	v_add_co_u32 v3, vcc_lo, s4, v3
	v_add_co_ci_u32_e32 v4, vcc_lo, s17, v4, vcc_lo
	v_add_co_u32 v5, vcc_lo, s4, v5
	s_delay_alu instid0(VALU_DEP_4)
	v_add_co_ci_u32_e32 v6, vcc_lo, s17, v6, vcc_lo
	s_addc_u32 s9, s17, s9
	s_clause 0x1
	global_load_b32 v7, v[3:4], off
	global_load_b32 v8, v[5:6], off
	s_or_b32 s12, s16, 32
	s_delay_alu instid0(SALU_CYCLE_1) | instskip(SKIP_2) | instid1(SALU_CYCLE_1)
	s_ashr_i32 s13, s12, 5
	s_cmp_lt_i32 s12, s18
	s_cselect_b32 s12, s13, s3
	s_ashr_i32 s13, s12, 31
	s_delay_alu instid0(SALU_CYCLE_1) | instskip(NEXT) | instid1(SALU_CYCLE_1)
	s_lshl_b64 s[12:13], s[12:13], 2
	s_add_u32 s12, s4, s12
	s_addc_u32 s13, s17, s13
	s_or_b32 s20, s16, 64
	s_delay_alu instid0(SALU_CYCLE_1) | instskip(SKIP_2) | instid1(SALU_CYCLE_1)
	s_ashr_i32 s21, s20, 5
	s_cmp_lt_i32 s20, s18
	s_cselect_b32 s20, s21, s3
	s_ashr_i32 s21, s20, 31
	s_delay_alu instid0(SALU_CYCLE_1) | instskip(NEXT) | instid1(SALU_CYCLE_1)
	s_lshl_b64 s[20:21], s[20:21], 2
	s_add_u32 s20, s4, s20
	s_addc_u32 s21, s17, s21
	;; [unrolled: 10-line block ×5, first 2 shown]
	s_clause 0x5
	s_load_b32 s29, s[8:9], 0x0
	s_load_b32 s30, s[12:13], 0x0
	;; [unrolled: 1-line block ×6, first 2 shown]
	s_mov_b32 s20, 0
	s_or_b32 s8, s16, 0xc0
	s_mov_b32 s21, s20
	s_mov_b32 s22, s20
	;; [unrolled: 1-line block ×7, first 2 shown]
	s_ashr_i32 s9, s8, 5
	v_mov_b32_e32 v128, s27
	s_cmp_lt_i32 s8, s18
	v_mov_b32_e32 v127, s26
	s_cselect_b32 s8, s9, s3
	v_mov_b32_e32 v126, s25
	s_ashr_i32 s9, s8, 31
	v_mov_b32_e32 v125, s24
	s_lshl_b64 s[8:9], s[8:9], 2
	v_mov_b32_e32 v124, s23
	s_add_u32 s8, s4, s8
	s_addc_u32 s9, s17, s9
	v_mov_b32_e32 v123, s22
	v_mov_b32_e32 v121, s20
	s_waitcnt lgkmcnt(0)
	s_mul_hi_i32 s13, s29, s5
	s_mul_i32 s12, s29, s5
	v_mov_b32_e32 v122, s21
	s_mul_hi_i32 s21, s30, s5
	s_mul_i32 s20, s30, s5
	s_mul_hi_i32 s25, s31, s5
	s_mul_i32 s24, s31, s5
	;; [unrolled: 2-line block ×4, first 2 shown]
	s_waitcnt vmcnt(1)
	v_mad_i64_i32 v[3:4], null, v7, s5, 0
	s_waitcnt vmcnt(0)
	v_mad_i64_i32 v[5:6], null, v8, s5, 0
	s_delay_alu instid0(VALU_DEP_2) | instskip(NEXT) | instid1(VALU_DEP_2)
	v_lshlrev_b64 v[3:4], 1, v[3:4]
	v_lshlrev_b64 v[1:2], 1, v[5:6]
	s_delay_alu instid0(VALU_DEP_2) | instskip(NEXT) | instid1(VALU_DEP_3)
	v_add_co_u32 v3, vcc_lo, s15, v3
	v_add_co_ci_u32_e32 v4, vcc_lo, s28, v4, vcc_lo
	s_delay_alu instid0(VALU_DEP_3) | instskip(NEXT) | instid1(VALU_DEP_4)
	v_add_co_u32 v1, vcc_lo, s15, v1
	v_add_co_ci_u32_e32 v2, vcc_lo, s28, v2, vcc_lo
	s_delay_alu instid0(VALU_DEP_4) | instskip(NEXT) | instid1(VALU_DEP_4)
	v_add_co_u32 v25, vcc_lo, v3, v73
	v_add_co_ci_u32_e32 v26, vcc_lo, v4, v74, vcc_lo
	s_delay_alu instid0(VALU_DEP_4) | instskip(NEXT) | instid1(VALU_DEP_4)
	v_add_co_u32 v27, vcc_lo, v1, v73
	v_add_co_ci_u32_e32 v28, vcc_lo, v2, v74, vcc_lo
	s_clause 0xf
	global_load_b128 v[1:4], v[25:26], off
	global_load_b128 v[5:8], v[25:26], off offset:512
	global_load_b128 v[9:12], v[27:28], off offset:256
	;; [unrolled: 1-line block ×15, first 2 shown]
	v_add_nc_u32_e32 v25, -13, v77
	v_cmp_gt_u32_e32 vcc_lo, 13, v77
	s_or_b32 s15, s16, 0xe0
	s_delay_alu instid0(SALU_CYCLE_1) | instskip(SKIP_3) | instid1(SALU_CYCLE_1)
	s_ashr_i32 s22, s15, 5
	s_cmp_lt_i32 s15, s18
	v_cndmask_b32_e32 v25, v25, v77, vcc_lo
	s_cselect_b32 s22, s22, s3
	s_ashr_i32 s23, s22, 31
	s_delay_alu instid0(VALU_DEP_1)
	v_lshlrev_b32_e32 v151, 6, v25
	ds_load_b128 v[25:28], v151
	ds_load_b128 v[29:32], v151 offset:1024
	ds_load_b128 v[129:132], v151 offset:2048
	;; [unrolled: 1-line block ×3, first 2 shown]
	s_lshl_b64 s[22:23], s[22:23], 2
	s_delay_alu instid0(SALU_CYCLE_1) | instskip(SKIP_2) | instid1(SALU_CYCLE_1)
	s_add_u32 s22, s4, s22
	s_addc_u32 s23, s17, s23
	s_add_i32 s15, s16, 0x100
	s_ashr_i32 s28, s15, 5
	s_cmp_lt_i32 s15, s18
	s_load_b32 s15, s[8:9], 0x0
	s_cselect_b32 s28, s28, s3
	s_mul_hi_i32 s9, s37, s5
	s_ashr_i32 s29, s28, 31
	s_mul_i32 s8, s37, s5
	s_lshl_b64 s[28:29], s[28:29], 2
	s_delay_alu instid0(SALU_CYCLE_1)
	s_add_u32 s28, s4, s28
	s_addc_u32 s29, s17, s29
	s_add_u32 s3, s10, s6
	s_clause 0x1
	s_load_b32 s4, s[22:23], 0x0
	s_load_b32 s17, s[28:29], 0x0
	s_addc_u32 s28, s11, s7
	s_lshl_b64 s[6:7], s[12:13], 1
	s_lshl_b64 s[10:11], s[20:21], 1
	;; [unrolled: 1-line block ×6, first 2 shown]
	s_waitcnt lgkmcnt(0)
	s_mul_hi_i32 s25, s15, s5
	s_mul_i32 s24, s15, s5
	s_delay_alu instid0(SALU_CYCLE_1)
	s_lshl_b64 s[24:25], s[24:25], 1
	s_waitcnt vmcnt(14)
	v_wmma_f32_16x16x16_f16 v[137:144], v[1:8], v[25:32], v[121:128]
	s_waitcnt vmcnt(12)
	v_wmma_f32_16x16x16_f16 v[121:128], v[9:16], v[25:32], v[121:128]
	s_waitcnt vmcnt(10)
	s_delay_alu instid0(VALU_DEP_2) | instskip(SKIP_1) | instid1(VALU_DEP_2)
	v_wmma_f32_16x16x16_f16 v[137:144], v[17:24], v[129:136], v[137:144]
	s_waitcnt vmcnt(8)
	v_wmma_f32_16x16x16_f16 v[121:128], v[81:88], v[129:136], v[121:128]
	v_mbcnt_lo_u32_b32 v130, -1, 0
	s_delay_alu instid0(VALU_DEP_1) | instskip(SKIP_1) | instid1(VALU_DEP_1)
	v_xor_b32_e32 v131, 16, v130
	v_lshlrev_b32_e32 v79, 6, v77
	v_lshl_or_b32 v33, v78, 10, v79
	s_delay_alu instid0(VALU_DEP_1) | instskip(NEXT) | instid1(VALU_DEP_1)
	v_add_co_u32 v152, s3, s3, v33
	v_add_co_ci_u32_e64 v153, null, s28, 0, s3
	s_delay_alu instid0(VALU_DEP_2) | instskip(NEXT) | instid1(VALU_DEP_2)
	v_add_co_u32 v33, vcc_lo, v152, s6
	v_add_co_ci_u32_e32 v34, vcc_lo, s7, v153, vcc_lo
	v_add_co_u32 v35, vcc_lo, v152, s10
	v_add_co_ci_u32_e32 v36, vcc_lo, s11, v153, vcc_lo
	;; [unrolled: 2-line block ×6, first 2 shown]
	s_mul_hi_i32 s7, s4, s5
	s_mul_i32 s6, s4, s5
	v_add_co_u32 v149, vcc_lo, v152, s24
	s_lshl_b64 s[6:7], s[6:7], 1
	v_add_co_ci_u32_e32 v150, vcc_lo, s25, v153, vcc_lo
	v_add_co_u32 v29, vcc_lo, v152, s6
	v_add_co_ci_u32_e32 v30, vcc_lo, s7, v153, vcc_lo
	s_mul_hi_i32 s7, s17, s5
	s_mul_i32 s6, s17, s5
	s_clause 0x7
	global_load_b128 v[65:68], v[33:34], off
	global_load_b128 v[69:72], v[33:34], off offset:16
	global_load_b128 v[57:60], v[35:36], off
	global_load_b128 v[61:64], v[35:36], off offset:16
	;; [unrolled: 2-line block ×4, first 2 shown]
	s_lshl_b64 s[4:5], s[6:7], 1
	s_clause 0x1
	global_load_b128 v[9:12], v[145:146], off
	global_load_b128 v[13:16], v[145:146], off offset:16
	v_add_co_u32 v21, vcc_lo, v152, s4
	v_add_co_ci_u32_e32 v22, vcc_lo, s5, v153, vcc_lo
	s_clause 0x7
	global_load_b128 v[1:4], v[147:148], off
	global_load_b128 v[5:8], v[147:148], off offset:16
	global_load_b128 v[33:36], v[149:150], off
	global_load_b128 v[37:40], v[149:150], off offset:16
	;; [unrolled: 2-line block ×4, first 2 shown]
	ds_load_b128 v[81:84], v151 offset:4096
	ds_load_b128 v[85:88], v151 offset:5120
	v_cmp_gt_i32_e32 vcc_lo, 32, v131
	v_cndmask_b32_e32 v130, v130, v131, vcc_lo
	s_waitcnt vmcnt(24) lgkmcnt(0)
	v_wmma_f32_16x16x16_f16 v[137:144], v[89:96], v[81:88], v[137:144]
	ds_load_b128 v[89:92], v151 offset:6144
	ds_load_b128 v[93:96], v151 offset:7168
	s_waitcnt vmcnt(22)
	v_wmma_f32_16x16x16_f16 v[121:128], v[97:104], v[81:88], v[121:128]
	s_waitcnt vmcnt(0) lgkmcnt(0)
	s_barrier
	buffer_gl0_inv
	v_wmma_f32_16x16x16_f16 v[121:128], v[113:120], v[89:96], v[121:128]
	v_and_b32_e32 v129, 0xe0, v0
	v_wmma_f32_16x16x16_f16 v[137:144], v[105:112], v[89:96], v[137:144]
	s_delay_alu instid0(VALU_DEP_2) | instskip(NEXT) | instid1(VALU_DEP_2)
	v_dual_mul_f32 v104, s19, v126 :: v_dual_add_nc_u32 v129, s16, v129
	v_dual_mul_f32 v106, s19, v124 :: v_dual_mul_f32 v95, s19, v138
	s_delay_alu instid0(VALU_DEP_3) | instskip(NEXT) | instid1(VALU_DEP_3)
	v_dual_mul_f32 v96, s19, v137 :: v_dual_mul_f32 v93, s19, v140
	v_or_b32_e32 v129, v129, v75
	v_dual_mul_f32 v94, s19, v139 :: v_dual_mul_f32 v91, s19, v142
	v_dual_mul_f32 v92, s19, v141 :: v_dual_mul_f32 v89, s19, v144
	v_mul_f32_e32 v108, s19, v122
	s_delay_alu instid0(VALU_DEP_4)
	v_or_b32_e32 v131, 2, v129
	v_or_b32_e32 v132, 4, v129
	;; [unrolled: 1-line block ×3, first 2 shown]
	v_cmp_gt_i32_e32 vcc_lo, s18, v129
	v_or_b32_e32 v82, 8, v129
	v_cmp_gt_i32_e64 s3, s18, v131
	v_or_b32_e32 v83, 10, v129
	v_cmp_gt_i32_e64 s4, s18, v132
	v_cndmask_b32_e32 v96, 0xff7fffff, v96, vcc_lo
	v_cmp_gt_i32_e64 s5, s18, v81
	v_cndmask_b32_e64 v95, 0xff7fffff, v95, s3
	v_or_b32_e32 v84, 12, v129
	v_or_b32_e32 v85, 14, v129
	v_cndmask_b32_e64 v94, 0xff7fffff, v94, s4
	v_cndmask_b32_e64 v81, 0xff7fffff, v93, s5
	v_max3_f32 v93, v96, 0xff7fffff, v95
	v_cmp_gt_i32_e64 s6, s18, v82
	v_cmp_gt_i32_e64 s7, s18, v83
	v_or_b32_e32 v86, 16, v129
	v_or_b32_e32 v87, 18, v129
	v_mul_f32_e32 v90, s19, v143
	v_cndmask_b32_e64 v82, 0xff7fffff, v92, s6
	v_cndmask_b32_e64 v83, 0xff7fffff, v91, s7
	v_max3_f32 v81, v93, v94, v81
	v_cmp_gt_i32_e64 s8, s18, v84
	v_cmp_gt_i32_e64 s9, s18, v85
	v_or_b32_e32 v88, 20, v129
	v_or_b32_e32 v97, 22, v129
	v_mul_f32_e32 v109, s19, v121
	;; [unrolled: 8-line block ×4, first 2 shown]
	v_cndmask_b32_e64 v84, 0xff7fffff, v107, s12
	v_cndmask_b32_e64 v85, 0xff7fffff, v106, s13
	v_max3_f32 v81, v81, v82, v83
	v_cmp_gt_i32_e64 s15, s18, v98
	v_cmp_gt_i32_e64 s16, s18, v99
	v_dual_mul_f32 v102, s19, v128 :: v_dual_mul_f32 v103, s19, v127
	s_delay_alu instid0(VALU_DEP_4) | instskip(NEXT) | instid1(VALU_DEP_4)
	v_max3_f32 v81, v81, v84, v85
	v_cndmask_b32_e64 v82, 0xff7fffff, v105, s15
	s_delay_alu instid0(VALU_DEP_4) | instskip(SKIP_2) | instid1(VALU_DEP_3)
	v_cndmask_b32_e64 v83, 0xff7fffff, v104, s16
	v_cmp_gt_i32_e64 s17, s18, v100
	v_cmp_gt_i32_e64 s18, s18, v101
	v_max3_f32 v81, v81, v82, v83
	s_delay_alu instid0(VALU_DEP_3) | instskip(NEXT) | instid1(VALU_DEP_3)
	v_cndmask_b32_e64 v84, 0xff7fffff, v103, s17
	v_cndmask_b32_e64 v85, 0xff7fffff, v102, s18
	v_lshlrev_b32_e32 v83, 2, v130
	s_delay_alu instid0(VALU_DEP_2) | instskip(SKIP_3) | instid1(VALU_DEP_1)
	v_max3_f32 v81, v81, v84, v85
	ds_bpermute_b32 v82, v83, v81
	s_waitcnt lgkmcnt(0)
	v_max_f32_e32 v82, v82, v82
	v_max_f32_e32 v81, v81, v82
	s_delay_alu instid0(VALU_DEP_1)
	v_fma_f32 v82, s19, v137, -v81
	v_fma_f32 v84, s19, v138, -v81
	;; [unrolled: 1-line block ×5, first 2 shown]
	v_mul_f32_e32 v82, 0x3fb8aa3b, v82
	s_delay_alu instid0(VALU_DEP_4) | instskip(NEXT) | instid1(VALU_DEP_3)
	v_dual_mul_f32 v84, 0x3fb8aa3b, v84 :: v_dual_mul_f32 v85, 0x3fb8aa3b, v85
	v_dual_mul_f32 v86, 0x3fb8aa3b, v86 :: v_dual_mul_f32 v89, 0x3fb8aa3b, v87
	s_delay_alu instid0(VALU_DEP_3) | instskip(NEXT) | instid1(VALU_DEP_2)
	v_exp_f32_e32 v82, v82
	v_exp_f32_e32 v84, v84
	s_delay_alu instid0(VALU_DEP_2) | instskip(NEXT) | instid1(VALU_DEP_1)
	v_exp_f32_e32 v85, v85
	v_exp_f32_e32 v86, v86
	;; [unrolled: 1-line block ×3, first 2 shown]
	v_cndmask_b32_e32 v88, 0, v82, vcc_lo
	v_cndmask_b32_e64 v87, 0, v84, s3
	s_delay_alu instid0(TRANS32_DEP_3)
	v_cndmask_b32_e64 v90, 0, v85, s4
	s_waitcnt_depctr 0xfff
	v_cndmask_b32_e64 v89, 0, v86, s5
	v_cndmask_b32_e64 v92, 0, v92, s6
	v_add_f32_e32 v84, 0, v88
	v_cmp_gt_u32_e64 s3, 16, v80
	s_delay_alu instid0(VALU_DEP_2) | instskip(NEXT) | instid1(VALU_DEP_1)
	v_add_f32_e32 v84, v84, v87
	v_add_f32_e32 v84, v84, v90
	s_delay_alu instid0(VALU_DEP_1)
	v_add_f32_e32 v84, v84, v89
	v_fma_f32 v82, s19, v142, -v81
	v_fma_f32 v91, s19, v143, -v81
	;; [unrolled: 1-line block ×5, first 2 shown]
	s_delay_alu instid0(VALU_DEP_4) | instskip(SKIP_1) | instid1(VALU_DEP_4)
	v_dual_mul_f32 v82, 0x3fb8aa3b, v82 :: v_dual_mul_f32 v91, 0x3fb8aa3b, v91
	v_fma_f32 v96, s19, v124, -v81
	v_mul_f32_e32 v86, 0x3fb8aa3b, v86
	s_delay_alu instid0(VALU_DEP_4) | instskip(NEXT) | instid1(VALU_DEP_4)
	v_mul_f32_e32 v95, 0x3fb8aa3b, v94
	v_exp_f32_e32 v82, v82
	v_exp_f32_e32 v93, v91
	v_mul_f32_e32 v97, 0x3fb8aa3b, v96
	v_exp_f32_e32 v86, v86
	v_fma_f32 v99, s19, v127, -v81
	s_delay_alu instid0(VALU_DEP_2) | instskip(SKIP_2) | instid1(TRANS32_DEP_3)
	v_exp_f32_e32 v97, v97
	v_cndmask_b32_e64 v91, 0, v82, s7
	v_dual_add_f32 v82, v84, v92 :: v_dual_mul_f32 v85, 0x3fb8aa3b, v85
	v_cndmask_b32_e64 v94, 0, v93, s8
	v_fma_f32 v84, s19, v123, -v81
	s_delay_alu instid0(TRANS32_DEP_2) | instskip(NEXT) | instid1(VALU_DEP_4)
	v_cndmask_b32_e64 v96, 0, v86, s10
	v_add_f32_e32 v82, v82, v91
	v_exp_f32_e32 v85, v85
	v_fma_f32 v86, s19, v126, -v81
	v_mul_f32_e32 v84, 0x3fb8aa3b, v84
	v_cndmask_b32_e64 v97, 0, v97, s13
	v_add_f32_e32 v82, v82, v94
	s_delay_alu instid0(VALU_DEP_3) | instskip(SKIP_3) | instid1(VALU_DEP_2)
	v_exp_f32_e32 v84, v84
	s_waitcnt_depctr 0xfff
	v_cndmask_b32_e64 v93, 0, v85, s9
	v_fma_f32 v85, s19, v125, -v81
	v_add_f32_e32 v82, v82, v93
	v_exp_f32_e32 v95, v95
	s_delay_alu instid0(VALU_DEP_2)
	v_mul_f32_e32 v85, 0x3fb8aa3b, v85
	v_cndmask_b32_e64 v98, 0, v84, s12
	v_mul_f32_e32 v84, 0x3fb8aa3b, v99
	v_add_f32_e32 v82, v82, v96
	v_fma_f32 v99, s19, v128, -v81
	v_exp_f32_e32 v85, v85
	v_mul_f32_e32 v86, 0x3fb8aa3b, v86
	v_exp_f32_e32 v84, v84
	s_delay_alu instid0(TRANS32_DEP_3) | instskip(NEXT) | instid1(VALU_DEP_1)
	v_cndmask_b32_e64 v95, 0, v95, s11
	v_add_f32_e32 v82, v82, v95
	s_waitcnt_depctr 0xfff
	v_cndmask_b32_e64 v100, 0, v85, s15
	v_mul_f32_e32 v85, 0x3fb8aa3b, v99
	v_exp_f32_e32 v86, v86
	v_cndmask_b32_e64 v102, 0, v84, s17
	v_add_f32_e32 v82, v82, v98
	s_delay_alu instid0(VALU_DEP_3) | instskip(NEXT) | instid1(VALU_DEP_1)
	v_exp_f32_e32 v85, v85
	v_add_f32_e32 v82, v82, v97
	s_waitcnt_depctr 0xfff
	v_cndmask_b32_e64 v99, 0, v86, s16
	v_add_f32_e32 v82, v82, v100
	v_cndmask_b32_e64 v101, 0, v85, s18
	s_delay_alu instid0(VALU_DEP_2) | instskip(NEXT) | instid1(VALU_DEP_1)
	v_add_f32_e32 v82, v82, v99
	v_add_f32_e32 v82, v82, v102
	s_delay_alu instid0(VALU_DEP_1)
	v_add_f32_e32 v82, v82, v101
	ds_bpermute_b32 v83, v83, v82
	s_and_saveexec_b32 s4, s3
	s_cbranch_execz .LBB146_14
; %bb.13:
	v_mul_u32_u24_e32 v80, 0x44, v78
	s_waitcnt lgkmcnt(0)
	v_add_f32_e32 v82, v82, v83
	s_delay_alu instid0(VALU_DEP_2) | instskip(NEXT) | instid1(VALU_DEP_1)
	v_lshl_add_u32 v80, v77, 2, v80
	v_add_nc_u32_e32 v80, 0x4000, v80
	ds_store_2addr_b32 v80, v81, v82 offset1:136
.LBB146_14:
	s_or_b32 exec_lo, exec_lo, s4
	v_lshlrev_b32_e32 v80, 2, v77
	s_load_b32 s36, s[0:1], 0x94
	s_waitcnt lgkmcnt(0)
	s_barrier
	buffer_gl0_inv
	v_add_nc_u32_e32 v84, 0x4000, v80
	v_cmp_eq_u32_e32 vcc_lo, 1, v78
	v_cmp_eq_u32_e64 s4, 2, v78
	v_cmp_eq_u32_e64 s5, 3, v78
	;; [unrolled: 1-line block ×3, first 2 shown]
	ds_load_2addr_b32 v[80:81], v84 offset1:17
	ds_load_2addr_b32 v[82:83], v84 offset0:34 offset1:51
	ds_load_2addr_b32 v[103:104], v84 offset0:68 offset1:85
	;; [unrolled: 1-line block ×3, first 2 shown]
	v_cmp_eq_u32_e64 s7, 7, v78
	s_waitcnt lgkmcnt(3)
	v_max3_f32 v85, v80, 0xff7fffff, v81
	s_waitcnt lgkmcnt(2)
	s_delay_alu instid0(VALU_DEP_1) | instskip(SKIP_1) | instid1(VALU_DEP_1)
	v_max3_f32 v85, v85, v82, v83
	s_waitcnt lgkmcnt(1)
	v_max3_f32 v85, v85, v103, v104
	s_waitcnt lgkmcnt(0)
	s_delay_alu instid0(VALU_DEP_1) | instskip(NEXT) | instid1(VALU_DEP_1)
	v_max3_f32 v85, v85, v105, v106
	v_sub_f32_e32 v103, v103, v85
	ds_load_2addr_b32 v[107:108], v84 offset0:136 offset1:153
	v_sub_f32_e32 v80, v80, v85
	v_dual_sub_f32 v110, v83, v85 :: v_dual_mul_f32 v113, 0x3fb8aa3b, v103
	s_delay_alu instid0(VALU_DEP_2) | instskip(SKIP_3) | instid1(VALU_DEP_1)
	v_dual_sub_f32 v86, v81, v85 :: v_dual_mul_f32 v109, 0x3fb8aa3b, v80
	ds_load_2addr_b32 v[80:81], v84 offset0:170 offset1:187
	v_mul_f32_e32 v86, 0x3fb8aa3b, v86
	v_exp_f32_e32 v109, v109
	v_exp_f32_e32 v112, v86
	v_mul_f32_e32 v110, 0x3fb8aa3b, v110
	s_waitcnt lgkmcnt(1)
	s_waitcnt_depctr 0xfff
	v_fma_f32 v86, v109, v107, 0
	v_sub_f32_e32 v107, v104, v85
	v_sub_f32_e32 v82, v82, v85
	v_exp_f32_e32 v110, v110
	ds_load_2addr_b32 v[103:104], v84 offset0:238 offset1:255
	v_dual_fmac_f32 v86, v112, v108 :: v_dual_mul_f32 v111, 0x3fb8aa3b, v82
	ds_load_2addr_b32 v[82:83], v84 offset0:204 offset1:221
	v_dual_sub_f32 v84, v105, v85 :: v_dual_mul_f32 v105, 0x3fb8aa3b, v107
	v_exp_f32_e32 v107, v113
	v_exp_f32_e32 v111, v111
	s_waitcnt lgkmcnt(0)
	s_delay_alu instid0(VALU_DEP_1)
	v_mul_f32_e32 v84, 0x3fb8aa3b, v84
	v_exp_f32_e32 v105, v105
	s_barrier
	buffer_gl0_inv
	v_fmac_f32_e32 v86, v111, v80
	v_sub_f32_e32 v80, v106, v85
	v_exp_f32_e32 v106, v84
	s_delay_alu instid0(VALU_DEP_2) | instskip(NEXT) | instid1(VALU_DEP_2)
	v_fmac_f32_e32 v86, v110, v81
	v_mul_f32_e32 v80, 0x3fb8aa3b, v80
	s_delay_alu instid0(VALU_DEP_2) | instskip(NEXT) | instid1(VALU_DEP_2)
	v_dual_cndmask_b32 v81, v109, v112 :: v_dual_fmac_f32 v86, v107, v82
	v_exp_f32_e32 v108, v80
	s_delay_alu instid0(VALU_DEP_1) | instskip(SKIP_2) | instid1(VALU_DEP_1)
	v_fmac_f32_e32 v86, v105, v83
	s_waitcnt_depctr 0xfff
	v_fmac_f32_e32 v86, v106, v103
	v_fmac_f32_e32 v86, v108, v104
	s_delay_alu instid0(VALU_DEP_1) | instskip(NEXT) | instid1(VALU_DEP_1)
	v_add_f32_e32 v103, 0x358637bd, v86
	v_div_scale_f32 v104, null, v103, v103, 1.0
	v_div_scale_f32 v109, vcc_lo, 1.0, v103, 1.0
	s_delay_alu instid0(VALU_DEP_2) | instskip(SKIP_2) | instid1(VALU_DEP_1)
	v_rcp_f32_e32 v113, v104
	s_waitcnt_depctr 0xfff
	v_fma_f32 v80, -v104, v113, 1.0
	v_fmac_f32_e32 v113, v80, v113
	v_cndmask_b32_e64 v80, v81, v111, s4
	v_cmp_eq_u32_e64 s4, 4, v78
	v_lshl_or_b32 v81, v78, 11, v79
	s_delay_alu instid0(VALU_DEP_4) | instskip(NEXT) | instid1(VALU_DEP_4)
	v_mul_f32_e32 v111, v109, v113
	v_cndmask_b32_e64 v82, v80, v110, s5
	v_cmp_eq_u32_e64 s5, 6, v78
	s_delay_alu instid0(VALU_DEP_4) | instskip(SKIP_3) | instid1(VALU_DEP_3)
	v_lshl_or_b32 v78, v75, 4, v81
	v_lshlrev_b32_e32 v80, 2, v75
	v_fma_f32 v83, -v104, v111, v109
	v_cndmask_b32_e64 v84, v82, v107, s4
	v_or_b32_e32 v82, 1, v80
	s_delay_alu instid0(VALU_DEP_3) | instskip(NEXT) | instid1(VALU_DEP_3)
	v_fmac_f32_e32 v111, v83, v113
	v_cndmask_b32_e64 v105, v84, v105, s6
	v_or_b32_e32 v84, 2, v80
	v_or_b32_e32 v83, 3, v80
	v_cmp_eq_u32_e64 s4, 1, v80
	v_fma_f32 v104, -v104, v111, v109
	v_cndmask_b32_e64 v105, v105, v106, s5
	v_cmp_eq_u32_e64 s10, 1, v82
	v_cmp_eq_u32_e64 s11, 1, v84
	;; [unrolled: 1-line block ×3, first 2 shown]
	v_div_fmas_f32 v104, v104, v113, v111
	v_cndmask_b32_e64 v105, v105, v108, s7
	v_cmp_eq_u32_e32 vcc_lo, 2, v80
	v_cmp_eq_u32_e64 s13, 2, v82
	v_cmp_eq_u32_e64 s16, 2, v84
	v_div_fixup_f32 v103, v104, v103, 1.0
	v_cmp_eq_u32_e64 s17, 2, v83
	v_cmp_eq_u32_e64 s19, 3, v83
	;; [unrolled: 1-line block ×4, first 2 shown]
	v_mul_f32_e32 v111, v105, v103
	v_cmp_eq_u32_e64 s18, 3, v84
	v_cmp_eq_u32_e64 s23, 4, v83
	;; [unrolled: 1-line block ×4, first 2 shown]
	v_fma_mixlo_f16 v103, v111, v88, 0
	v_fma_mixlo_f16 v104, v111, v90, 0
	;; [unrolled: 1-line block ×8, first 2 shown]
	v_fma_mixhi_f16 v103, v111, v87, 0
	v_fma_mixhi_f16 v104, v111, v89, 0
	;; [unrolled: 1-line block ×8, first 2 shown]
	ds_store_b128 v78, v[103:106]
	ds_store_b128 v78, v[107:110] offset:1024
	s_waitcnt lgkmcnt(0)
	s_barrier
	buffer_gl0_inv
	ds_load_b128 v[87:90], v81
	ds_load_b128 v[91:94], v81 offset:16
	ds_load_b128 v[95:98], v81 offset:1024
	ds_load_b128 v[99:102], v81 offset:1040
	v_cmp_eq_u32_e64 s22, 4, v84
	v_cmp_eq_u32_e64 s25, 5, v83
	;; [unrolled: 1-line block ×13, first 2 shown]
	s_waitcnt lgkmcnt(3)
	v_lshrrev_b32_e32 v103, 16, v87
	s_waitcnt lgkmcnt(2)
	v_lshrrev_b32_e32 v107, 16, v91
	;; [unrolled: 2-line block ×4, first 2 shown]
	v_lshrrev_b32_e32 v104, 16, v88
	v_cndmask_b32_e64 v119, v87, v103, s4
	v_cndmask_b32_e64 v120, v91, v107, s4
	;; [unrolled: 1-line block ×8, first 2 shown]
	v_lshrrev_b32_e32 v108, 16, v92
	v_cndmask_b32_e64 v103, v95, v111, s4
	v_cndmask_b32_e64 v107, v99, v115, s4
	;; [unrolled: 1-line block ×5, first 2 shown]
	v_cndmask_b32_e32 v111, v119, v88, vcc_lo
	v_cndmask_b32_e64 v119, v121, v88, s13
	v_cndmask_b32_e64 v121, v123, v88, s16
	;; [unrolled: 1-line block ×4, first 2 shown]
	v_lshrrev_b32_e32 v112, 16, v96
	v_lshrrev_b32_e32 v116, 16, v100
	v_cndmask_b32_e64 v126, v99, v115, s10
	v_cndmask_b32_e64 v128, v99, v115, s11
	;; [unrolled: 1-line block ×3, first 2 shown]
	v_cndmask_b32_e32 v115, v120, v92, vcc_lo
	v_cndmask_b32_e64 v120, v122, v92, s13
	v_cndmask_b32_e64 v122, v124, v92, s16
	v_cndmask_b32_e32 v91, v103, v96, vcc_lo
	v_cndmask_b32_e32 v92, v107, v100, vcc_lo
	v_cndmask_b32_e64 v103, v125, v96, s13
	v_cndmask_b32_e64 v87, v87, v104, s19
	;; [unrolled: 1-line block ×3, first 2 shown]
	v_lshrrev_b32_e32 v105, 16, v89
	v_lshrrev_b32_e32 v109, 16, v93
	v_cndmask_b32_e64 v107, v127, v96, s16
	v_cndmask_b32_e64 v95, v95, v96, s17
	v_cndmask_b32_e64 v96, v99, v100, s17
	v_cndmask_b32_e64 v99, v111, v104, s5
	v_cndmask_b32_e64 v111, v115, v108, s5
	v_cndmask_b32_e64 v115, v119, v104, s15
	v_cndmask_b32_e64 v119, v120, v108, s15
	v_cndmask_b32_e64 v120, v121, v104, s18
	v_cndmask_b32_e64 v121, v122, v108, s18
	v_cndmask_b32_e64 v91, v91, v112, s5
	v_cndmask_b32_e64 v92, v92, v116, s5
	v_cndmask_b32_e64 v103, v103, v112, s15
	v_cndmask_b32_e64 v87, v87, v89, s23
	v_cndmask_b32_e64 v88, v88, v93, s23
	v_lshrrev_b32_e32 v113, 16, v97
	v_cndmask_b32_e64 v99, v99, v89, s6
	v_cndmask_b32_e64 v104, v111, v93, s6
	;; [unrolled: 1-line block ×11, first 2 shown]
	v_lshrrev_b32_e32 v106, 16, v90
	v_lshrrev_b32_e32 v110, 16, v94
	v_cndmask_b32_e64 v93, v99, v105, s7
	v_cndmask_b32_e64 v99, v104, v109, s7
	;; [unrolled: 1-line block ×9, first 2 shown]
	v_lshrrev_b32_e32 v114, 16, v98
	v_cndmask_b32_e64 v89, v89, v113, s7
	v_cndmask_b32_e64 v93, v93, v90, s8
	;; [unrolled: 1-line block ×19, first 2 shown]
	v_perm_b32 v90, v88, v87, 0x5040100
	v_cndmask_b32_e64 v87, v126, v100, s13
	v_cndmask_b32_e64 v105, v89, v114, s9
	v_perm_b32 v89, v103, v99, 0x5040100
	v_perm_b32 v88, v104, v94, 0x5040100
	v_cndmask_b32_e64 v94, v107, v112, s18
	v_cndmask_b32_e64 v95, v95, v112, s19
	;; [unrolled: 1-line block ×5, first 2 shown]
	v_lshrrev_b32_e32 v117, 16, v101
	v_cndmask_b32_e64 v94, v94, v97, s22
	v_cndmask_b32_e64 v95, v95, v97, s23
	;; [unrolled: 1-line block ×11, first 2 shown]
	v_lshrrev_b32_e32 v118, 16, v102
	v_cndmask_b32_e64 v91, v91, v102, s8
	v_cndmask_b32_e64 v94, v94, v98, s27
	;; [unrolled: 1-line block ×12, first 2 shown]
	v_perm_b32 v87, v93, v92, 0x5040100
	v_perm_b32 v94, v95, v94, 0x5040100
	;; [unrolled: 1-line block ×5, first 2 shown]
	s_mul_i32 s8, s35, 13
	s_mov_b32 s4, exec_lo
	ds_store_b128 v78, v[87:90]
	ds_store_b128 v78, v[91:94] offset:1024
	v_cmpx_gt_u32_e32 13, v0
	s_cbranch_execz .LBB146_16
; %bb.15:
	s_mul_i32 s5, s8, s34
	s_load_b128 s[16:19], s[0:1], 0x58
	v_add3_u32 v77, s5, s33, v77
	s_delay_alu instid0(VALU_DEP_1) | instskip(NEXT) | instid1(VALU_DEP_1)
	v_mad_u64_u32 v[87:88], null, v77, s36, s[14:15]
	v_ashrrev_i32_e32 v88, 31, v87
	s_delay_alu instid0(VALU_DEP_1) | instskip(SKIP_1) | instid1(VALU_DEP_1)
	v_lshlrev_b64 v[87:88], 2, v[87:88]
	s_waitcnt lgkmcnt(0)
	v_add_co_u32 v89, vcc_lo, s18, v87
	s_delay_alu instid0(VALU_DEP_2)
	v_add_co_ci_u32_e32 v90, vcc_lo, s19, v88, vcc_lo
	v_add_co_u32 v87, vcc_lo, s16, v87
	v_add_co_ci_u32_e32 v88, vcc_lo, s17, v88, vcc_lo
	global_store_b32 v[89:90], v85, off
	global_store_b32 v[87:88], v86, off
.LBB146_16:
	s_or_b32 exec_lo, exec_lo, s4
	s_waitcnt lgkmcnt(0)
	s_waitcnt_vscnt null, 0x0
	s_barrier
	buffer_gl0_inv
	ds_load_b128 v[93:96], v79
	ds_load_b128 v[97:100], v79 offset:16
	ds_load_b128 v[105:108], v79 offset:1040
	;; [unrolled: 1-line block ×5, first 2 shown]
	v_cmp_eq_u32_e32 vcc_lo, 1, v84
	v_mov_b32_e32 v85, 0
	ds_load_b128 v[121:124], v79 offset:3088
	ds_load_b128 v[117:120], v79 offset:3072
	;; [unrolled: 1-line block ×4, first 2 shown]
	v_cmp_eq_u32_e64 s4, 1, v80
	v_cmp_eq_u32_e64 s5, 1, v83
	v_cmp_eq_u32_e64 s6, 1, v82
	v_mov_b32_e32 v86, v85
	v_mov_b32_e32 v87, v85
	;; [unrolled: 1-line block ×7, first 2 shown]
	v_cmp_eq_u32_e64 s7, 2, v80
	s_waitcnt lgkmcnt(8)
	s_delay_alu instid0(VALU_DEP_2)
	v_wmma_f32_16x16x16_f16 v[85:92], v[65:72], v[93:100], v[85:92]
	ds_load_b128 v[69:72], v79 offset:5136
	ds_load_b128 v[65:68], v79 offset:5120
	;; [unrolled: 1-line block ×4, first 2 shown]
	s_waitcnt lgkmcnt(10)
	v_wmma_f32_16x16x16_f16 v[85:92], v[57:64], v[101:108], v[85:92]
	s_waitcnt lgkmcnt(8)
	s_delay_alu instid0(VALU_DEP_1)
	v_wmma_f32_16x16x16_f16 v[85:92], v[57:64], v[109:116], v[85:92]
	ds_load_b128 v[61:64], v79 offset:7184
	ds_load_b128 v[57:60], v79 offset:7168
	;; [unrolled: 1-line block ×4, first 2 shown]
	s_waitcnt lgkmcnt(10)
	v_wmma_f32_16x16x16_f16 v[85:92], v[49:56], v[117:124], v[85:92]
	s_waitcnt lgkmcnt(8)
	s_delay_alu instid0(VALU_DEP_1)
	v_wmma_f32_16x16x16_f16 v[85:92], v[49:56], v[125:132], v[85:92]
	ds_load_b128 v[53:56], v79 offset:9232
	ds_load_b128 v[49:52], v79 offset:9216
	s_waitcnt lgkmcnt(8)
	v_wmma_f32_16x16x16_f16 v[85:92], v[41:48], v[65:72], v[85:92]
	ds_load_b128 v[69:72], v79 offset:10256
	ds_load_b128 v[65:68], v79 offset:10240
	s_waitcnt lgkmcnt(8)
	;; [unrolled: 4-line block ×7, first 2 shown]
	s_barrier
	buffer_gl0_inv
	v_wmma_f32_16x16x16_f16 v[85:92], v[33:40], v[41:48], v[85:92]
	s_delay_alu instid0(VALU_DEP_1) | instskip(NEXT) | instid1(VALU_DEP_1)
	v_wmma_f32_16x16x16_f16 v[85:92], v[33:40], v[57:64], v[85:92]
	v_wmma_f32_16x16x16_f16 v[85:92], v[25:32], v[9:16], v[85:92]
	s_delay_alu instid0(VALU_DEP_1) | instskip(NEXT) | instid1(VALU_DEP_1)
	v_wmma_f32_16x16x16_f16 v[85:92], v[25:32], v[49:56], v[85:92]
	v_wmma_f32_16x16x16_f16 v[85:92], v[17:24], v[1:8], v[85:92]
	s_delay_alu instid0(VALU_DEP_1) | instskip(NEXT) | instid1(VALU_DEP_2)
	v_cvt_f16_f32_e32 v1, v85
	v_cvt_f16_f32_e32 v2, v86
	s_delay_alu instid0(VALU_DEP_3) | instskip(NEXT) | instid1(VALU_DEP_4)
	v_cvt_f16_f32_e32 v3, v87
	v_cvt_f16_f32_e32 v4, v88
	;; [unrolled: 1-line block ×6, first 2 shown]
	v_pack_b32_f16 v1, v1, v2
	v_pack_b32_f16 v2, v3, v4
	;; [unrolled: 1-line block ×3, first 2 shown]
	s_delay_alu instid0(VALU_DEP_4)
	v_pack_b32_f16 v4, v7, v8
	ds_store_b128 v78, v[1:4]
	s_waitcnt lgkmcnt(0)
	s_barrier
	buffer_gl0_inv
	ds_load_b128 v[1:4], v81
	ds_load_b128 v[5:8], v81 offset:16
	s_waitcnt lgkmcnt(1)
	v_lshrrev_b32_e32 v9, 16, v1
	s_waitcnt lgkmcnt(0)
	v_lshrrev_b32_e32 v13, 16, v5
	v_lshrrev_b32_e32 v15, 16, v7
	;; [unrolled: 1-line block ×4, first 2 shown]
	v_cndmask_b32_e64 v17, v1, v9, s4
	v_cndmask_b32_e64 v18, v5, v13, s4
	;; [unrolled: 1-line block ×3, first 2 shown]
	v_cmp_eq_u32_e64 s4, 2, v82
	v_cndmask_b32_e64 v20, v5, v13, s6
	v_cndmask_b32_e32 v21, v1, v9, vcc_lo
	v_cndmask_b32_e32 v22, v5, v13, vcc_lo
	v_cndmask_b32_e64 v1, v1, v9, s5
	v_cndmask_b32_e64 v5, v5, v13, s5
	v_cmp_eq_u32_e32 vcc_lo, 2, v84
	v_cmp_eq_u32_e64 s5, 2, v83
	v_cndmask_b32_e64 v9, v17, v2, s7
	v_cndmask_b32_e64 v13, v18, v6, s7
	;; [unrolled: 1-line block ×4, first 2 shown]
	v_cndmask_b32_e32 v19, v21, v2, vcc_lo
	v_cmp_eq_u32_e64 s4, 3, v84
	v_cndmask_b32_e32 v20, v22, v6, vcc_lo
	v_cndmask_b32_e64 v1, v1, v2, s5
	v_cmp_eq_u32_e32 vcc_lo, 3, v83
	v_cmp_eq_u32_e64 s6, 3, v80
	v_cndmask_b32_e64 v2, v5, v6, s5
	v_cmp_eq_u32_e64 s5, 3, v82
	v_lshrrev_b32_e32 v16, 16, v8
	v_cmp_eq_u32_e64 s7, 4, v80
	v_cndmask_b32_e64 v5, v9, v10, s6
	v_cndmask_b32_e64 v6, v13, v14, s6
	v_cndmask_b32_e64 v9, v17, v10, s5
	v_cmp_eq_u32_e64 s6, 4, v82
	v_cndmask_b32_e64 v13, v18, v14, s5
	v_cndmask_b32_e64 v17, v19, v10, s4
	;; [unrolled: 1-line block ×3, first 2 shown]
	v_cndmask_b32_e32 v1, v1, v10, vcc_lo
	v_cndmask_b32_e32 v2, v2, v14, vcc_lo
	v_cmp_eq_u32_e32 vcc_lo, 4, v84
	v_cmp_eq_u32_e64 s5, 4, v83
	v_lshrrev_b32_e32 v11, 16, v3
	v_cndmask_b32_e64 v5, v5, v3, s7
	v_cndmask_b32_e64 v6, v6, v7, s7
	;; [unrolled: 1-line block ×4, first 2 shown]
	v_cndmask_b32_e32 v13, v17, v3, vcc_lo
	v_cmp_eq_u32_e64 s4, 5, v84
	v_cndmask_b32_e32 v14, v18, v7, vcc_lo
	v_cndmask_b32_e64 v1, v1, v3, s5
	v_cmp_eq_u32_e32 vcc_lo, 5, v83
	v_cmp_eq_u32_e64 s6, 5, v80
	v_cndmask_b32_e64 v2, v2, v7, s5
	v_cmp_eq_u32_e64 s5, 5, v82
	v_cmp_eq_u32_e64 s7, 6, v80
	v_cndmask_b32_e32 v1, v1, v11, vcc_lo
	v_cndmask_b32_e64 v3, v5, v11, s6
	v_cndmask_b32_e64 v5, v6, v15, s6
	;; [unrolled: 1-line block ×3, first 2 shown]
	v_cmp_eq_u32_e64 s6, 6, v82
	v_cndmask_b32_e64 v7, v10, v15, s5
	v_cndmask_b32_e64 v9, v13, v11, s4
	;; [unrolled: 1-line block ×3, first 2 shown]
	v_cndmask_b32_e32 v2, v2, v15, vcc_lo
	v_cmp_eq_u32_e32 vcc_lo, 6, v84
	v_cmp_eq_u32_e64 s4, 6, v83
	v_lshrrev_b32_e32 v12, 16, v4
	v_cndmask_b32_e64 v3, v3, v4, s7
	v_cndmask_b32_e64 v5, v5, v8, s7
	;; [unrolled: 1-line block ×4, first 2 shown]
	v_cndmask_b32_e32 v9, v9, v4, vcc_lo
	v_cmp_eq_u32_e64 s5, 7, v84
	v_cndmask_b32_e32 v10, v10, v8, vcc_lo
	v_cndmask_b32_e64 v1, v1, v4, s4
	v_cmp_eq_u32_e32 vcc_lo, 7, v83
	v_cndmask_b32_e64 v2, v2, v8, s4
	v_cmp_eq_u32_e64 s4, 7, v80
	v_cmp_eq_u32_e64 s6, 7, v82
	v_cndmask_b32_e32 v1, v1, v12, vcc_lo
	s_delay_alu instid0(VALU_DEP_4) | instskip(NEXT) | instid1(VALU_DEP_4)
	v_cndmask_b32_e32 v2, v2, v16, vcc_lo
	v_cndmask_b32_e64 v8, v3, v12, s4
	s_delay_alu instid0(VALU_DEP_4)
	v_cndmask_b32_e64 v6, v6, v12, s6
	v_cndmask_b32_e64 v3, v9, v12, s5
	;; [unrolled: 1-line block ×5, first 2 shown]
	v_cmp_gt_u32_e32 vcc_lo, 32, v0
	v_perm_b32 v4, v2, v1, 0x5040100
	v_perm_b32 v3, v9, v3, 0x5040100
	;; [unrolled: 1-line block ×4, first 2 shown]
	s_and_b32 s2, vcc_lo, s2
	ds_store_b128 v78, v[1:4]
	s_waitcnt lgkmcnt(0)
	s_barrier
	buffer_gl0_inv
	s_and_saveexec_b32 s4, s2
	s_cbranch_execz .LBB146_2
; %bb.17:
	s_load_b64 s[4:5], s[0:1], 0x68
	v_lshlrev_b32_e32 v0, 10, v0
	v_lshlrev_b32_e32 v1, 4, v76
	s_lshl_b32 s0, s36, 6
	v_add_nc_u32_e32 v18, s33, v75
	s_mul_i32 s1, s0, s34
	s_delay_alu instid0(VALU_DEP_2) | instskip(SKIP_1) | instid1(VALU_DEP_2)
	v_and_or_b32 v0, 0x3800, v0, v1
	s_mul_i32 s6, s1, s8
	v_mul_lo_u32 v1, v18, s0
	s_ashr_i32 s7, s6, 31
	v_add_nc_u32_e32 v2, 2, v18
	v_lshl_or_b32 v19, v75, 6, v0
	s_lshl_b64 s[6:7], s[6:7], 1
	v_add_nc_u32_e32 v8, 4, v18
	v_add_nc_u32_e32 v15, 6, v18
	v_mul_lo_u32 v7, v2, s0
	ds_load_b128 v[3:6], v19
	v_ashrrev_i32_e32 v2, 31, v1
	v_mul_lo_u32 v11, v8, s0
	s_waitcnt lgkmcnt(0)
	s_add_u32 s1, s4, s6
	s_addc_u32 s2, s5, s7
	s_lshl_b32 s4, s14, 6
	v_lshlrev_b64 v[9:10], 1, v[1:2]
	s_ashr_i32 s5, s4, 31
	v_ashrrev_i32_e32 v8, 31, v7
	s_lshl_b64 s[4:5], s[4:5], 1
	v_ashrrev_i32_e32 v12, 31, v11
	s_add_u32 s1, s1, s4
	s_addc_u32 s2, s2, s5
	v_add_co_u32 v1, vcc_lo, s1, v73
	v_add_co_ci_u32_e32 v2, vcc_lo, s2, v74, vcc_lo
	v_mul_lo_u32 v15, v15, s0
	s_delay_alu instid0(VALU_DEP_3) | instskip(NEXT) | instid1(VALU_DEP_3)
	v_add_co_u32 v13, vcc_lo, v1, v9
	v_add_co_ci_u32_e32 v14, vcc_lo, v2, v10, vcc_lo
	v_lshlrev_b64 v[16:17], 1, v[7:8]
	ds_load_b128 v[7:10], v19 offset:128
	global_store_b128 v[13:14], v[3:6], off
	v_add_nc_u32_e32 v5, 8, v18
	v_lshlrev_b64 v[3:4], 1, v[11:12]
	v_add_co_u32 v23, vcc_lo, v1, v16
	v_ashrrev_i32_e32 v16, 31, v15
	s_delay_alu instid0(VALU_DEP_4) | instskip(SKIP_3) | instid1(VALU_DEP_3)
	v_mul_lo_u32 v25, v5, s0
	v_add_nc_u32_e32 v5, 10, v18
	v_add_co_ci_u32_e32 v24, vcc_lo, v2, v17, vcc_lo
	v_add_co_u32 v27, vcc_lo, v1, v3
	v_mul_lo_u32 v29, v5, s0
	v_add_co_ci_u32_e32 v28, vcc_lo, v2, v4, vcc_lo
	v_lshlrev_b64 v[31:32], 1, v[15:16]
	ds_load_b128 v[3:6], v19 offset:256
	ds_load_b128 v[11:14], v19 offset:384
	ds_load_b128 v[15:18], v19 offset:512
	ds_load_b128 v[19:22], v19 offset:640
	v_ashrrev_i32_e32 v26, 31, v25
	v_ashrrev_i32_e32 v30, 31, v29
	v_add_co_u32 v31, vcc_lo, v1, v31
	s_delay_alu instid0(VALU_DEP_3) | instskip(SKIP_1) | instid1(VALU_DEP_4)
	v_lshlrev_b64 v[25:26], 1, v[25:26]
	v_add_co_ci_u32_e32 v32, vcc_lo, v2, v32, vcc_lo
	v_lshlrev_b64 v[29:30], 1, v[29:30]
	s_delay_alu instid0(VALU_DEP_3) | instskip(NEXT) | instid1(VALU_DEP_4)
	v_add_co_u32 v25, vcc_lo, v1, v25
	v_add_co_ci_u32_e32 v26, vcc_lo, v2, v26, vcc_lo
	s_delay_alu instid0(VALU_DEP_3) | instskip(NEXT) | instid1(VALU_DEP_4)
	v_add_co_u32 v29, vcc_lo, v1, v29
	v_add_co_ci_u32_e32 v30, vcc_lo, v2, v30, vcc_lo
	s_waitcnt lgkmcnt(4)
	global_store_b128 v[23:24], v[7:10], off
	s_waitcnt lgkmcnt(3)
	global_store_b128 v[27:28], v[3:6], off
	;; [unrolled: 2-line block ×5, first 2 shown]
	s_and_b32 exec_lo, exec_lo, s3
	s_cbranch_execz .LBB146_2
; %bb.18:
	ds_load_b128 v[3:6], v0 offset:768
	s_add_i32 s1, s33, 12
	s_delay_alu instid0(SALU_CYCLE_1) | instskip(NEXT) | instid1(SALU_CYCLE_1)
	s_mul_i32 s0, s1, s0
	s_ashr_i32 s1, s0, 31
	s_delay_alu instid0(SALU_CYCLE_1) | instskip(NEXT) | instid1(SALU_CYCLE_1)
	s_lshl_b64 s[0:1], s[0:1], 1
	v_add_co_u32 v0, vcc_lo, v1, s0
	v_add_co_ci_u32_e32 v1, vcc_lo, s1, v2, vcc_lo
	s_waitcnt lgkmcnt(0)
	global_store_b128 v[0:1], v[3:6], off
	s_nop 0
	s_sendmsg sendmsg(MSG_DEALLOC_VGPRS)
	s_endpgm
	.section	.rodata,"a",@progbits
	.p2align	6, 0x0
	.amdhsa_kernel _Z39paged_attention_ll4mi_QKV_mfma16_kernelIDF16_DF16_LN4vllm18Fp8KVCacheDataTypeE0EhLi32ELi64ELi256ELb0ELi13EL8MFMAType0EEvPKT_PKT0_S8_ifPKiSA_SA_iPKfiiiPfSD_PS3_PT2_iSC_SC_
		.amdhsa_group_segment_fixed_size 17472
		.amdhsa_private_segment_fixed_size 0
		.amdhsa_kernarg_size 400
		.amdhsa_user_sgpr_count 13
		.amdhsa_user_sgpr_dispatch_ptr 0
		.amdhsa_user_sgpr_queue_ptr 0
		.amdhsa_user_sgpr_kernarg_segment_ptr 1
		.amdhsa_user_sgpr_dispatch_id 0
		.amdhsa_user_sgpr_private_segment_size 0
		.amdhsa_wavefront_size32 1
		.amdhsa_uses_dynamic_stack 0
		.amdhsa_enable_private_segment 0
		.amdhsa_system_sgpr_workgroup_id_x 1
		.amdhsa_system_sgpr_workgroup_id_y 1
		.amdhsa_system_sgpr_workgroup_id_z 1
		.amdhsa_system_sgpr_workgroup_info 0
		.amdhsa_system_vgpr_workitem_id 0
		.amdhsa_next_free_vgpr 154
		.amdhsa_next_free_sgpr 39
		.amdhsa_reserve_vcc 1
		.amdhsa_float_round_mode_32 0
		.amdhsa_float_round_mode_16_64 0
		.amdhsa_float_denorm_mode_32 3
		.amdhsa_float_denorm_mode_16_64 3
		.amdhsa_dx10_clamp 1
		.amdhsa_ieee_mode 1
		.amdhsa_fp16_overflow 0
		.amdhsa_workgroup_processor_mode 1
		.amdhsa_memory_ordered 1
		.amdhsa_forward_progress 0
		.amdhsa_shared_vgpr_count 0
		.amdhsa_exception_fp_ieee_invalid_op 0
		.amdhsa_exception_fp_denorm_src 0
		.amdhsa_exception_fp_ieee_div_zero 0
		.amdhsa_exception_fp_ieee_overflow 0
		.amdhsa_exception_fp_ieee_underflow 0
		.amdhsa_exception_fp_ieee_inexact 0
		.amdhsa_exception_int_div_zero 0
	.end_amdhsa_kernel
	.section	.text._Z39paged_attention_ll4mi_QKV_mfma16_kernelIDF16_DF16_LN4vllm18Fp8KVCacheDataTypeE0EhLi32ELi64ELi256ELb0ELi13EL8MFMAType0EEvPKT_PKT0_S8_ifPKiSA_SA_iPKfiiiPfSD_PS3_PT2_iSC_SC_,"axG",@progbits,_Z39paged_attention_ll4mi_QKV_mfma16_kernelIDF16_DF16_LN4vllm18Fp8KVCacheDataTypeE0EhLi32ELi64ELi256ELb0ELi13EL8MFMAType0EEvPKT_PKT0_S8_ifPKiSA_SA_iPKfiiiPfSD_PS3_PT2_iSC_SC_,comdat
.Lfunc_end146:
	.size	_Z39paged_attention_ll4mi_QKV_mfma16_kernelIDF16_DF16_LN4vllm18Fp8KVCacheDataTypeE0EhLi32ELi64ELi256ELb0ELi13EL8MFMAType0EEvPKT_PKT0_S8_ifPKiSA_SA_iPKfiiiPfSD_PS3_PT2_iSC_SC_, .Lfunc_end146-_Z39paged_attention_ll4mi_QKV_mfma16_kernelIDF16_DF16_LN4vllm18Fp8KVCacheDataTypeE0EhLi32ELi64ELi256ELb0ELi13EL8MFMAType0EEvPKT_PKT0_S8_ifPKiSA_SA_iPKfiiiPfSD_PS3_PT2_iSC_SC_
                                        ; -- End function
	.section	.AMDGPU.csdata,"",@progbits
; Kernel info:
; codeLenInByte = 7432
; NumSgprs: 41
; NumVgprs: 154
; ScratchSize: 0
; MemoryBound: 0
; FloatMode: 240
; IeeeMode: 1
; LDSByteSize: 17472 bytes/workgroup (compile time only)
; SGPRBlocks: 5
; VGPRBlocks: 19
; NumSGPRsForWavesPerEU: 41
; NumVGPRsForWavesPerEU: 154
; Occupancy: 9
; WaveLimiterHint : 1
; COMPUTE_PGM_RSRC2:SCRATCH_EN: 0
; COMPUTE_PGM_RSRC2:USER_SGPR: 13
; COMPUTE_PGM_RSRC2:TRAP_HANDLER: 0
; COMPUTE_PGM_RSRC2:TGID_X_EN: 1
; COMPUTE_PGM_RSRC2:TGID_Y_EN: 1
; COMPUTE_PGM_RSRC2:TGID_Z_EN: 1
; COMPUTE_PGM_RSRC2:TIDIG_COMP_CNT: 0
	.section	.text._Z39paged_attention_ll4mi_QKV_mfma16_kernelIDF16_DF16_LN4vllm18Fp8KVCacheDataTypeE0EhLi32ELi64ELi256ELb0ELi14EL8MFMAType0EEvPKT_PKT0_S8_ifPKiSA_SA_iPKfiiiPfSD_PS3_PT2_iSC_SC_,"axG",@progbits,_Z39paged_attention_ll4mi_QKV_mfma16_kernelIDF16_DF16_LN4vllm18Fp8KVCacheDataTypeE0EhLi32ELi64ELi256ELb0ELi14EL8MFMAType0EEvPKT_PKT0_S8_ifPKiSA_SA_iPKfiiiPfSD_PS3_PT2_iSC_SC_,comdat
	.protected	_Z39paged_attention_ll4mi_QKV_mfma16_kernelIDF16_DF16_LN4vllm18Fp8KVCacheDataTypeE0EhLi32ELi64ELi256ELb0ELi14EL8MFMAType0EEvPKT_PKT0_S8_ifPKiSA_SA_iPKfiiiPfSD_PS3_PT2_iSC_SC_ ; -- Begin function _Z39paged_attention_ll4mi_QKV_mfma16_kernelIDF16_DF16_LN4vllm18Fp8KVCacheDataTypeE0EhLi32ELi64ELi256ELb0ELi14EL8MFMAType0EEvPKT_PKT0_S8_ifPKiSA_SA_iPKfiiiPfSD_PS3_PT2_iSC_SC_
	.globl	_Z39paged_attention_ll4mi_QKV_mfma16_kernelIDF16_DF16_LN4vllm18Fp8KVCacheDataTypeE0EhLi32ELi64ELi256ELb0ELi14EL8MFMAType0EEvPKT_PKT0_S8_ifPKiSA_SA_iPKfiiiPfSD_PS3_PT2_iSC_SC_
	.p2align	8
	.type	_Z39paged_attention_ll4mi_QKV_mfma16_kernelIDF16_DF16_LN4vllm18Fp8KVCacheDataTypeE0EhLi32ELi64ELi256ELb0ELi14EL8MFMAType0EEvPKT_PKT0_S8_ifPKiSA_SA_iPKfiiiPfSD_PS3_PT2_iSC_SC_,@function
_Z39paged_attention_ll4mi_QKV_mfma16_kernelIDF16_DF16_LN4vllm18Fp8KVCacheDataTypeE0EhLi32ELi64ELi256ELb0ELi14EL8MFMAType0EEvPKT_PKT0_S8_ifPKiSA_SA_iPKfiiiPfSD_PS3_PT2_iSC_SC_: ; @_Z39paged_attention_ll4mi_QKV_mfma16_kernelIDF16_DF16_LN4vllm18Fp8KVCacheDataTypeE0EhLi32ELi64ELi256ELb0ELi14EL8MFMAType0EEvPKT_PKT0_S8_ifPKiSA_SA_iPKfiiiPfSD_PS3_PT2_iSC_SC_
; %bb.0:
	s_load_b64 s[2:3], s[0:1], 0x30
	s_mov_b32 s34, s13
	s_waitcnt lgkmcnt(0)
	s_cmp_lg_u64 s[2:3], 0
	s_cselect_b32 s6, -1, 0
	s_ashr_i32 s35, s13, 31
	s_cmp_eq_u64 s[2:3], 0
	s_cbranch_scc1 .LBB147_3
; %bb.1:
	s_lshl_b64 s[4:5], s[34:35], 2
	s_delay_alu instid0(SALU_CYCLE_1) | instskip(SKIP_4) | instid1(SALU_CYCLE_1)
	s_add_u32 s4, s2, s4
	s_addc_u32 s5, s3, s5
	s_load_b64 s[4:5], s[4:5], 0x0
	s_waitcnt lgkmcnt(0)
	s_sub_i32 s4, s5, s4
	s_cmp_eq_u32 s4, 1
	s_cselect_b32 s4, -1, 0
	s_delay_alu instid0(SALU_CYCLE_1)
	s_and_not1_b32 vcc_lo, exec_lo, s4
	s_cbranch_vccz .LBB147_4
.LBB147_2:
	s_endpgm
.LBB147_3:
.LBB147_4:
	s_load_b64 s[8:9], s[0:1], 0x28
	s_lshl_b64 s[4:5], s[34:35], 2
	s_waitcnt lgkmcnt(0)
	s_add_u32 s8, s8, s4
	s_addc_u32 s9, s9, s5
	s_lshl_b32 s16, s14, 8
	s_load_b32 s18, s[8:9], 0x0
	s_waitcnt lgkmcnt(0)
	s_cmp_ge_i32 s16, s18
	s_cbranch_scc1 .LBB147_2
; %bb.5:
	s_and_not1_b32 vcc_lo, exec_lo, s6
	s_cbranch_vccnz .LBB147_7
; %bb.6:
	s_add_u32 s2, s2, s4
	s_addc_u32 s3, s3, s5
	s_load_b32 s17, s[2:3], 0x0
	s_branch .LBB147_8
.LBB147_7:
	s_mov_b32 s17, s34
.LBB147_8:
	s_clause 0x2
	s_load_b128 s[8:11], s[0:1], 0x8
	s_load_b64 s[12:13], s[0:1], 0x20
	s_load_b128 s[4:7], s[0:1], 0x48
	v_and_b32_e32 v77, 15, v0
	v_cmp_lt_u32_e32 vcc_lo, 0xdf, v0
	s_delay_alu instid0(VALU_DEP_2) | instskip(SKIP_2) | instid1(VALU_DEP_3)
	v_cmp_lt_u32_e64 s3, 7, v77
	v_lshlrev_b32_e32 v1, 3, v77
	v_cmp_gt_u32_e64 s2, 8, v77
	s_or_b32 s3, vcc_lo, s3
	s_waitcnt lgkmcnt(0)
	s_and_saveexec_b32 s7, s3
	s_delay_alu instid0(SALU_CYCLE_1)
	s_xor_b32 s3, exec_lo, s7
; %bb.9:
	v_mov_b32_e32 v2, 0
; %bb.10:
	s_or_saveexec_b32 s3, s3
	v_lshrrev_b32_e32 v79, 5, v0
	v_and_b32_e32 v80, 31, v0
	v_and_b32_e32 v76, 1, v0
	v_bfe_u32 v75, v0, 4, 1
	s_mul_i32 s31, s15, 14
	s_xor_b32 exec_lo, exec_lo, s3
	s_cbranch_execz .LBB147_12
; %bb.11:
	s_load_b64 s[20:21], s[0:1], 0x0
	v_lshl_or_b32 v7, v79, 1, v75
	s_mul_hi_i32 s23, s17, s4
	s_mul_i32 s22, s17, s4
	v_lshlrev_b32_e32 v4, 1, v1
	s_lshl_b64 s[22:23], s[22:23], 1
	v_add_lshl_u32 v2, v7, s31, 6
	v_lshlrev_b32_e32 v7, 6, v7
	v_lshlrev_b32_e32 v8, 10, v76
	s_delay_alu instid0(VALU_DEP_3) | instskip(NEXT) | instid1(VALU_DEP_1)
	v_ashrrev_i32_e32 v3, 31, v2
	v_lshlrev_b64 v[2:3], 1, v[2:3]
	s_waitcnt lgkmcnt(0)
	s_add_u32 s4, s20, s22
	s_addc_u32 s7, s21, s23
	s_delay_alu instid0(VALU_DEP_1) | instskip(NEXT) | instid1(VALU_DEP_2)
	v_add_co_u32 v2, vcc_lo, s4, v2
	v_add_co_ci_u32_e32 v3, vcc_lo, s7, v3, vcc_lo
	s_delay_alu instid0(VALU_DEP_2) | instskip(NEXT) | instid1(VALU_DEP_2)
	v_add_co_u32 v2, vcc_lo, v2, v4
	v_add_co_ci_u32_e32 v3, vcc_lo, 0, v3, vcc_lo
	global_load_b128 v[3:6], v[2:3], off
	v_lshlrev_b32_e32 v2, 10, v77
	s_delay_alu instid0(VALU_DEP_1) | instskip(NEXT) | instid1(VALU_DEP_1)
	v_and_b32_e32 v2, 0x3800, v2
	v_or3_b32 v7, v2, v8, v7
	v_mov_b32_e32 v2, 0
	s_waitcnt vmcnt(0)
	ds_store_b128 v7, v[3:6]
.LBB147_12:
	s_or_b32 exec_lo, exec_lo, s3
	v_and_b32_e32 v3, 0xef, v0
	s_add_i32 s3, s18, 31
	s_clause 0x1
	s_load_b32 s4, s[0:1], 0x38
	s_load_b32 s33, s[0:1], 0x98
	s_ashr_i32 s7, s3, 31
	v_add_nc_u32_e32 v3, s16, v3
	s_lshr_b32 s7, s7, 27
	s_load_b32 s19, s[0:1], 0x1c
	s_add_i32 s3, s3, s7
	s_waitcnt lgkmcnt(0)
	v_ashrrev_i32_e32 v4, 31, v3
	v_cmp_gt_i32_e32 vcc_lo, s18, v3
	s_ashr_i32 s3, s3, 5
	s_barrier
	s_add_i32 s3, s3, -1
	v_lshrrev_b32_e32 v5, 27, v4
	v_or_b32_e32 v4, 16, v3
	buffer_gl0_inv
	s_mul_i32 s6, s15, s6
	v_lshlrev_b64 v[73:74], 1, v[1:2]
	v_add_nc_u32_e32 v6, v3, v5
	v_add_nc_u32_e32 v5, v4, v5
	s_mul_i32 s20, s34, s4
	v_lshlrev_b32_e32 v78, 6, v77
	s_ashr_i32 s21, s20, 31
	v_ashrrev_i32_e32 v6, 5, v6
	v_ashrrev_i32_e32 v5, 5, v5
	s_lshl_b64 s[20:21], s[20:21], 2
	v_lshl_or_b32 v33, v79, 10, v78
	s_add_u32 s4, s12, s20
	v_cndmask_b32_e32 v3, s3, v6, vcc_lo
	v_cmp_gt_i32_e32 vcc_lo, s18, v4
	s_addc_u32 s17, s13, s21
	s_ashr_i32 s7, s6, 31
	s_delay_alu instid0(VALU_DEP_2) | instskip(SKIP_2) | instid1(SALU_CYCLE_1)
	v_ashrrev_i32_e32 v4, 31, v3
	v_cndmask_b32_e32 v5, s3, v5, vcc_lo
	s_lshl_b64 s[6:7], s[6:7], 1
	s_add_u32 s15, s8, s6
	s_delay_alu instid0(VALU_DEP_2) | instskip(NEXT) | instid1(VALU_DEP_2)
	v_lshlrev_b64 v[3:4], 2, v[3:4]
	v_ashrrev_i32_e32 v6, 31, v5
	s_addc_u32 s28, s9, s7
	s_lshl_b32 s8, s14, 3
	s_delay_alu instid0(SALU_CYCLE_1) | instskip(NEXT) | instid1(VALU_DEP_1)
	s_ashr_i32 s9, s8, 31
	v_lshlrev_b64 v[5:6], 2, v[5:6]
	v_add_co_u32 v3, vcc_lo, s4, v3
	v_add_co_ci_u32_e32 v4, vcc_lo, s17, v4, vcc_lo
	s_lshl_b64 s[8:9], s[8:9], 2
	s_delay_alu instid0(VALU_DEP_3) | instskip(NEXT) | instid1(VALU_DEP_4)
	v_add_co_u32 v5, vcc_lo, s4, v5
	v_add_co_ci_u32_e32 v6, vcc_lo, s17, v6, vcc_lo
	s_add_u32 s8, s4, s8
	s_clause 0x1
	global_load_b32 v7, v[3:4], off
	global_load_b32 v8, v[5:6], off
	s_addc_u32 s9, s17, s9
	s_or_b32 s12, s16, 32
	s_delay_alu instid0(SALU_CYCLE_1) | instskip(SKIP_2) | instid1(SALU_CYCLE_1)
	s_ashr_i32 s13, s12, 5
	s_cmp_lt_i32 s12, s18
	s_cselect_b32 s12, s13, s3
	s_ashr_i32 s13, s12, 31
	s_delay_alu instid0(SALU_CYCLE_1) | instskip(NEXT) | instid1(SALU_CYCLE_1)
	s_lshl_b64 s[12:13], s[12:13], 2
	s_add_u32 s12, s4, s12
	s_addc_u32 s13, s17, s13
	s_or_b32 s20, s16, 64
	s_delay_alu instid0(SALU_CYCLE_1) | instskip(SKIP_2) | instid1(SALU_CYCLE_1)
	s_ashr_i32 s21, s20, 5
	s_cmp_lt_i32 s20, s18
	s_cselect_b32 s20, s21, s3
	s_ashr_i32 s21, s20, 31
	s_delay_alu instid0(SALU_CYCLE_1) | instskip(NEXT) | instid1(SALU_CYCLE_1)
	s_lshl_b64 s[20:21], s[20:21], 2
	s_add_u32 s20, s4, s20
	;; [unrolled: 10-line block ×5, first 2 shown]
	s_addc_u32 s27, s17, s27
	s_clause 0x5
	s_load_b32 s29, s[8:9], 0x0
	s_load_b32 s30, s[12:13], 0x0
	;; [unrolled: 1-line block ×6, first 2 shown]
	s_or_b32 s8, s16, 0xc0
	s_mov_b32 s20, 0
	s_ashr_i32 s9, s8, 5
	s_cmp_lt_i32 s8, s18
	s_mov_b32 s27, s20
	s_cselect_b32 s8, s9, s3
	s_mov_b32 s21, s20
	s_ashr_i32 s9, s8, 31
	s_mov_b32 s22, s20
	s_lshl_b64 s[8:9], s[8:9], 2
	s_mov_b32 s23, s20
	s_add_u32 s8, s4, s8
	s_mov_b32 s24, s20
	s_mov_b32 s25, s20
	;; [unrolled: 1-line block ×3, first 2 shown]
	s_addc_u32 s9, s17, s9
	v_dual_mov_b32 v128, s27 :: v_dual_mov_b32 v127, s26
	v_dual_mov_b32 v126, s25 :: v_dual_mov_b32 v125, s24
	;; [unrolled: 1-line block ×3, first 2 shown]
	v_mov_b32_e32 v121, s20
	s_waitcnt lgkmcnt(0)
	s_mul_hi_i32 s13, s29, s5
	s_mul_i32 s12, s29, s5
	v_mov_b32_e32 v122, s21
	s_mul_hi_i32 s21, s30, s5
	s_mul_i32 s20, s30, s5
	s_mul_hi_i32 s25, s35, s5
	s_mul_i32 s24, s35, s5
	;; [unrolled: 2-line block ×3, first 2 shown]
	s_mul_i32 s36, s38, s5
	s_waitcnt vmcnt(1)
	v_mad_i64_i32 v[3:4], null, v7, s5, 0
	s_waitcnt vmcnt(0)
	v_mad_i64_i32 v[5:6], null, v8, s5, 0
	s_delay_alu instid0(VALU_DEP_2) | instskip(NEXT) | instid1(VALU_DEP_2)
	v_lshlrev_b64 v[3:4], 1, v[3:4]
	v_lshlrev_b64 v[1:2], 1, v[5:6]
	s_delay_alu instid0(VALU_DEP_2) | instskip(NEXT) | instid1(VALU_DEP_3)
	v_add_co_u32 v3, vcc_lo, s15, v3
	v_add_co_ci_u32_e32 v4, vcc_lo, s28, v4, vcc_lo
	s_delay_alu instid0(VALU_DEP_3) | instskip(NEXT) | instid1(VALU_DEP_4)
	v_add_co_u32 v1, vcc_lo, s15, v1
	v_add_co_ci_u32_e32 v2, vcc_lo, s28, v2, vcc_lo
	s_delay_alu instid0(VALU_DEP_4) | instskip(NEXT) | instid1(VALU_DEP_4)
	v_add_co_u32 v25, vcc_lo, v3, v73
	v_add_co_ci_u32_e32 v26, vcc_lo, v4, v74, vcc_lo
	s_delay_alu instid0(VALU_DEP_4) | instskip(NEXT) | instid1(VALU_DEP_4)
	v_add_co_u32 v27, vcc_lo, v1, v73
	v_add_co_ci_u32_e32 v28, vcc_lo, v2, v74, vcc_lo
	s_clause 0xf
	global_load_b128 v[1:4], v[25:26], off
	global_load_b128 v[5:8], v[25:26], off offset:512
	global_load_b128 v[9:12], v[27:28], off offset:256
	;; [unrolled: 1-line block ×15, first 2 shown]
	s_or_b32 s15, s16, 0xe0
	v_add_nc_u32_e32 v25, -14, v77
	s_ashr_i32 s22, s15, 5
	s_cmp_lt_i32 s15, s18
	v_cmp_gt_u32_e32 vcc_lo, 14, v77
	s_cselect_b32 s22, s22, s3
	s_delay_alu instid0(SALU_CYCLE_1) | instskip(NEXT) | instid1(SALU_CYCLE_1)
	s_ashr_i32 s23, s22, 31
	s_lshl_b64 s[22:23], s[22:23], 2
	v_cndmask_b32_e32 v25, v25, v77, vcc_lo
	s_add_u32 s22, s4, s22
	s_addc_u32 s23, s17, s23
	s_add_i32 s15, s16, 0x100
	s_delay_alu instid0(SALU_CYCLE_1)
	s_ashr_i32 s28, s15, 5
	s_cmp_lt_i32 s15, s18
	v_lshlrev_b32_e32 v151, 6, v25
	s_cselect_b32 s28, s28, s3
	ds_load_b128 v[25:28], v151
	ds_load_b128 v[29:32], v151 offset:1024
	s_ashr_i32 s29, s28, 31
	ds_load_b128 v[129:132], v151 offset:2048
	ds_load_b128 v[133:136], v151 offset:3072
	s_lshl_b64 s[28:29], s[28:29], 2
	s_load_b32 s15, s[8:9], 0x0
	s_add_u32 s28, s4, s28
	s_addc_u32 s29, s17, s29
	s_add_u32 s3, s10, s6
	s_clause 0x1
	s_load_b32 s4, s[22:23], 0x0
	s_load_b32 s17, s[28:29], 0x0
	s_addc_u32 s28, s11, s7
	v_add_co_u32 v152, s3, s3, v33
	s_delay_alu instid0(VALU_DEP_1) | instskip(SKIP_2) | instid1(VALU_DEP_2)
	v_add_co_ci_u32_e64 v153, null, s28, 0, s3
	s_lshl_b64 s[6:7], s[12:13], 1
	s_lshl_b64 s[10:11], s[20:21], 1
	v_add_co_u32 v33, vcc_lo, v152, s6
	s_delay_alu instid0(VALU_DEP_2)
	v_add_co_ci_u32_e32 v34, vcc_lo, s7, v153, vcc_lo
	v_add_co_u32 v35, vcc_lo, v152, s10
	s_lshl_b64 s[12:13], s[24:25], 1
	v_add_co_ci_u32_e32 v36, vcc_lo, s11, v153, vcc_lo
	v_add_co_u32 v37, vcc_lo, v152, s12
	s_lshl_b64 s[20:21], s[26:27], 1
	s_mul_hi_i32 s9, s37, s5
	s_mul_i32 s8, s37, s5
	v_add_co_ci_u32_e32 v38, vcc_lo, s13, v153, vcc_lo
	v_add_co_u32 v39, vcc_lo, v152, s20
	s_lshl_b64 s[8:9], s[8:9], 1
	s_mul_hi_i32 s37, s38, s5
	v_add_co_ci_u32_e32 v40, vcc_lo, s21, v153, vcc_lo
	v_add_co_u32 v145, vcc_lo, v152, s8
	s_lshl_b64 s[22:23], s[36:37], 1
	s_waitcnt lgkmcnt(0)
	s_mul_hi_i32 s25, s15, s5
	s_mul_i32 s24, s15, s5
	v_add_co_ci_u32_e32 v146, vcc_lo, s9, v153, vcc_lo
	v_add_co_u32 v147, vcc_lo, v152, s22
	s_lshl_b64 s[24:25], s[24:25], 1
	v_add_co_ci_u32_e32 v148, vcc_lo, s23, v153, vcc_lo
	s_mul_hi_i32 s7, s4, s5
	s_mul_i32 s6, s4, s5
	v_add_co_u32 v149, vcc_lo, v152, s24
	s_lshl_b64 s[6:7], s[6:7], 1
	v_add_co_ci_u32_e32 v150, vcc_lo, s25, v153, vcc_lo
	s_clause 0x7
	global_load_b128 v[65:68], v[33:34], off
	global_load_b128 v[69:72], v[33:34], off offset:16
	global_load_b128 v[57:60], v[35:36], off
	global_load_b128 v[61:64], v[35:36], off offset:16
	;; [unrolled: 2-line block ×4, first 2 shown]
	s_waitcnt vmcnt(22)
	v_wmma_f32_16x16x16_f16 v[137:144], v[1:8], v[25:32], v[121:128]
	s_waitcnt vmcnt(20)
	v_wmma_f32_16x16x16_f16 v[121:128], v[9:16], v[25:32], v[121:128]
	v_add_co_u32 v29, vcc_lo, v152, s6
	v_add_co_ci_u32_e32 v30, vcc_lo, s7, v153, vcc_lo
	s_mul_hi_i32 s7, s17, s5
	s_mul_i32 s6, s17, s5
	s_waitcnt vmcnt(18)
	v_wmma_f32_16x16x16_f16 v[137:144], v[17:24], v[129:136], v[137:144]
	s_lshl_b64 s[4:5], s[6:7], 1
	s_clause 0x1
	global_load_b128 v[9:12], v[145:146], off
	global_load_b128 v[13:16], v[145:146], off offset:16
	v_add_co_u32 v21, vcc_lo, v152, s4
	v_add_co_ci_u32_e32 v22, vcc_lo, s5, v153, vcc_lo
	s_clause 0x7
	global_load_b128 v[1:4], v[147:148], off
	global_load_b128 v[5:8], v[147:148], off offset:16
	global_load_b128 v[33:36], v[149:150], off
	global_load_b128 v[37:40], v[149:150], off offset:16
	;; [unrolled: 2-line block ×4, first 2 shown]
	s_waitcnt vmcnt(26)
	v_wmma_f32_16x16x16_f16 v[121:128], v[81:88], v[129:136], v[121:128]
	ds_load_b128 v[81:84], v151 offset:4096
	ds_load_b128 v[85:88], v151 offset:5120
	v_mbcnt_lo_u32_b32 v130, -1, 0
	s_delay_alu instid0(VALU_DEP_1) | instskip(NEXT) | instid1(VALU_DEP_1)
	v_xor_b32_e32 v131, 16, v130
	v_cmp_gt_i32_e32 vcc_lo, 32, v131
	v_cndmask_b32_e32 v130, v130, v131, vcc_lo
	s_waitcnt vmcnt(24) lgkmcnt(0)
	v_wmma_f32_16x16x16_f16 v[137:144], v[89:96], v[81:88], v[137:144]
	ds_load_b128 v[89:92], v151 offset:6144
	ds_load_b128 v[93:96], v151 offset:7168
	s_waitcnt vmcnt(22)
	v_wmma_f32_16x16x16_f16 v[121:128], v[97:104], v[81:88], v[121:128]
	s_waitcnt vmcnt(0) lgkmcnt(0)
	s_barrier
	buffer_gl0_inv
	v_wmma_f32_16x16x16_f16 v[137:144], v[105:112], v[89:96], v[137:144]
	v_and_b32_e32 v129, 0xe0, v0
	v_wmma_f32_16x16x16_f16 v[121:128], v[113:120], v[89:96], v[121:128]
	s_delay_alu instid0(VALU_DEP_3) | instskip(NEXT) | instid1(VALU_DEP_2)
	v_mul_f32_e32 v96, s19, v137
	v_dual_mul_f32 v104, s19, v126 :: v_dual_add_nc_u32 v129, s16, v129
	v_mul_f32_e32 v95, s19, v138
	v_dual_mul_f32 v93, s19, v140 :: v_dual_mul_f32 v94, s19, v139
	s_delay_alu instid0(VALU_DEP_3) | instskip(SKIP_3) | instid1(VALU_DEP_4)
	v_or_b32_e32 v129, v129, v75
	v_dual_mul_f32 v91, s19, v142 :: v_dual_mul_f32 v106, s19, v124
	v_dual_mul_f32 v92, s19, v141 :: v_dual_mul_f32 v89, s19, v144
	v_mul_f32_e32 v108, s19, v122
	v_or_b32_e32 v131, 2, v129
	v_or_b32_e32 v132, 4, v129
	;; [unrolled: 1-line block ×3, first 2 shown]
	v_cmp_gt_i32_e32 vcc_lo, s18, v129
	v_or_b32_e32 v82, 8, v129
	v_cmp_gt_i32_e64 s3, s18, v131
	v_or_b32_e32 v83, 10, v129
	v_cmp_gt_i32_e64 s4, s18, v132
	v_cndmask_b32_e32 v96, 0xff7fffff, v96, vcc_lo
	v_cmp_gt_i32_e64 s5, s18, v81
	v_cndmask_b32_e64 v95, 0xff7fffff, v95, s3
	v_or_b32_e32 v84, 12, v129
	v_or_b32_e32 v85, 14, v129
	v_cndmask_b32_e64 v94, 0xff7fffff, v94, s4
	v_cndmask_b32_e64 v81, 0xff7fffff, v93, s5
	v_max3_f32 v93, v96, 0xff7fffff, v95
	v_cmp_gt_i32_e64 s6, s18, v82
	v_cmp_gt_i32_e64 s7, s18, v83
	v_or_b32_e32 v86, 16, v129
	v_or_b32_e32 v87, 18, v129
	v_mul_f32_e32 v90, s19, v143
	v_cndmask_b32_e64 v82, 0xff7fffff, v92, s6
	v_cndmask_b32_e64 v83, 0xff7fffff, v91, s7
	v_max3_f32 v81, v93, v94, v81
	v_cmp_gt_i32_e64 s8, s18, v84
	v_cmp_gt_i32_e64 s9, s18, v85
	v_or_b32_e32 v88, 20, v129
	v_or_b32_e32 v97, 22, v129
	v_mul_f32_e32 v109, s19, v121
	;; [unrolled: 8-line block ×4, first 2 shown]
	v_cndmask_b32_e64 v84, 0xff7fffff, v107, s12
	v_cndmask_b32_e64 v85, 0xff7fffff, v106, s13
	v_max3_f32 v81, v81, v82, v83
	v_cmp_gt_i32_e64 s15, s18, v98
	v_cmp_gt_i32_e64 s16, s18, v99
	v_dual_mul_f32 v102, s19, v128 :: v_dual_mul_f32 v103, s19, v127
	s_delay_alu instid0(VALU_DEP_4) | instskip(NEXT) | instid1(VALU_DEP_4)
	v_max3_f32 v81, v81, v84, v85
	v_cndmask_b32_e64 v82, 0xff7fffff, v105, s15
	s_delay_alu instid0(VALU_DEP_4) | instskip(SKIP_2) | instid1(VALU_DEP_3)
	v_cndmask_b32_e64 v83, 0xff7fffff, v104, s16
	v_cmp_gt_i32_e64 s17, s18, v100
	v_cmp_gt_i32_e64 s18, s18, v101
	v_max3_f32 v81, v81, v82, v83
	s_delay_alu instid0(VALU_DEP_3) | instskip(NEXT) | instid1(VALU_DEP_3)
	v_cndmask_b32_e64 v84, 0xff7fffff, v103, s17
	v_cndmask_b32_e64 v85, 0xff7fffff, v102, s18
	v_lshlrev_b32_e32 v83, 2, v130
	s_delay_alu instid0(VALU_DEP_2) | instskip(SKIP_3) | instid1(VALU_DEP_1)
	v_max3_f32 v81, v81, v84, v85
	ds_bpermute_b32 v82, v83, v81
	s_waitcnt lgkmcnt(0)
	v_max_f32_e32 v82, v82, v82
	v_max_f32_e32 v81, v81, v82
	s_delay_alu instid0(VALU_DEP_1) | instskip(SKIP_2) | instid1(VALU_DEP_3)
	v_fma_f32 v82, s19, v137, -v81
	v_fma_f32 v84, s19, v138, -v81
	;; [unrolled: 1-line block ×3, first 2 shown]
	v_mul_f32_e32 v82, 0x3fb8aa3b, v82
	s_delay_alu instid0(VALU_DEP_2) | instskip(NEXT) | instid1(VALU_DEP_2)
	v_dual_mul_f32 v84, 0x3fb8aa3b, v84 :: v_dual_mul_f32 v89, 0x3fb8aa3b, v87
	v_exp_f32_e32 v82, v82
	s_delay_alu instid0(VALU_DEP_1) | instskip(NEXT) | instid1(VALU_DEP_1)
	v_exp_f32_e32 v84, v84
	v_exp_f32_e32 v92, v89
	s_delay_alu instid0(TRANS32_DEP_3)
	v_cndmask_b32_e32 v88, 0, v82, vcc_lo
	s_waitcnt_depctr 0xfff
	v_cndmask_b32_e64 v87, 0, v84, s3
	v_cndmask_b32_e64 v92, 0, v92, s6
	s_mov_b32 s3, exec_lo
	v_add_f32_e32 v84, 0, v88
	s_delay_alu instid0(VALU_DEP_1)
	v_add_f32_e32 v84, v84, v87
	v_fma_f32 v85, s19, v139, -v81
	v_fma_f32 v86, s19, v140, -v81
	;; [unrolled: 1-line block ×5, first 2 shown]
	s_delay_alu instid0(VALU_DEP_4) | instskip(NEXT) | instid1(VALU_DEP_4)
	v_dual_mul_f32 v85, 0x3fb8aa3b, v85 :: v_dual_mul_f32 v86, 0x3fb8aa3b, v86
	v_mul_f32_e32 v82, 0x3fb8aa3b, v82
	v_fma_f32 v96, s19, v124, -v81
	v_fma_f32 v99, s19, v127, -v81
	s_delay_alu instid0(VALU_DEP_4) | instskip(SKIP_3) | instid1(VALU_DEP_1)
	v_exp_f32_e32 v85, v85
	v_exp_f32_e32 v86, v86
	;; [unrolled: 1-line block ×3, first 2 shown]
	v_mul_f32_e32 v97, 0x3fb8aa3b, v96
	v_exp_f32_e32 v97, v97
	v_cndmask_b32_e64 v90, 0, v85, s4
	v_fma_f32 v85, s19, v144, -v81
	s_delay_alu instid0(TRANS32_DEP_3) | instskip(SKIP_1) | instid1(VALU_DEP_4)
	v_cndmask_b32_e64 v89, 0, v86, s5
	v_fma_f32 v86, s19, v121, -v81
	v_dual_add_f32 v84, v84, v90 :: v_dual_mul_f32 v91, 0x3fb8aa3b, v91
	s_delay_alu instid0(VALU_DEP_2) | instskip(NEXT) | instid1(TRANS32_DEP_1)
	v_mul_f32_e32 v86, 0x3fb8aa3b, v86
	v_cndmask_b32_e64 v97, 0, v97, s13
	s_delay_alu instid0(VALU_DEP_3)
	v_add_f32_e32 v84, v84, v89
	v_mul_f32_e32 v85, 0x3fb8aa3b, v85
	v_exp_f32_e32 v93, v91
	v_cndmask_b32_e64 v91, 0, v82, s7
	v_exp_f32_e32 v86, v86
	v_add_f32_e32 v82, v84, v92
	v_exp_f32_e32 v85, v85
	v_fma_f32 v84, s19, v123, -v81
	s_delay_alu instid0(VALU_DEP_2) | instskip(NEXT) | instid1(TRANS32_DEP_3)
	v_dual_mul_f32 v95, 0x3fb8aa3b, v94 :: v_dual_add_f32 v82, v82, v91
	v_cndmask_b32_e64 v94, 0, v93, s8
	s_delay_alu instid0(VALU_DEP_2) | instskip(NEXT) | instid1(TRANS32_DEP_3)
	v_exp_f32_e32 v95, v95
	v_cndmask_b32_e64 v96, 0, v86, s10
	v_fma_f32 v86, s19, v126, -v81
	s_delay_alu instid0(TRANS32_DEP_2) | instskip(SKIP_3) | instid1(VALU_DEP_3)
	v_cndmask_b32_e64 v93, 0, v85, s9
	v_fma_f32 v85, s19, v125, -v81
	v_mul_f32_e32 v84, 0x3fb8aa3b, v84
	v_add_f32_e32 v82, v82, v94
	v_dual_mul_f32 v86, 0x3fb8aa3b, v86 :: v_dual_mul_f32 v85, 0x3fb8aa3b, v85
	s_delay_alu instid0(VALU_DEP_3) | instskip(NEXT) | instid1(TRANS32_DEP_2)
	v_exp_f32_e32 v84, v84
	v_cndmask_b32_e64 v95, 0, v95, s11
	s_delay_alu instid0(VALU_DEP_2) | instskip(NEXT) | instid1(VALU_DEP_2)
	v_exp_f32_e32 v86, v86
	v_exp_f32_e32 v85, v85
	s_delay_alu instid0(TRANS32_DEP_3)
	v_cndmask_b32_e64 v98, 0, v84, s12
	v_mul_f32_e32 v84, 0x3fb8aa3b, v99
	v_fma_f32 v99, s19, v128, -v81
	v_add_f32_e32 v82, v82, v93
	s_waitcnt_depctr 0xfff
	v_cndmask_b32_e64 v100, 0, v85, s15
	v_exp_f32_e32 v84, v84
	v_dual_mul_f32 v85, 0x3fb8aa3b, v99 :: v_dual_add_f32 v82, v82, v96
	v_cndmask_b32_e64 v99, 0, v86, s16
	s_delay_alu instid0(VALU_DEP_2) | instskip(NEXT) | instid1(VALU_DEP_2)
	v_exp_f32_e32 v85, v85
	v_add_f32_e32 v82, v82, v95
	s_waitcnt_depctr 0xfff
	v_cndmask_b32_e64 v102, 0, v84, s17
	v_add_f32_e32 v82, v82, v98
	v_cndmask_b32_e64 v101, 0, v85, s18
	s_delay_alu instid0(VALU_DEP_2) | instskip(NEXT) | instid1(VALU_DEP_1)
	v_add_f32_e32 v82, v82, v97
	v_add_f32_e32 v82, v82, v100
	s_delay_alu instid0(VALU_DEP_1) | instskip(NEXT) | instid1(VALU_DEP_1)
	v_add_f32_e32 v82, v82, v99
	v_add_f32_e32 v82, v82, v102
	s_delay_alu instid0(VALU_DEP_1)
	v_add_f32_e32 v82, v82, v101
	ds_bpermute_b32 v83, v83, v82
	v_cmpx_gt_u32_e32 16, v80
	s_cbranch_execz .LBB147_14
; %bb.13:
	v_mul_u32_u24_e32 v80, 0x44, v79
	s_waitcnt lgkmcnt(0)
	v_add_f32_e32 v82, v82, v83
	s_delay_alu instid0(VALU_DEP_2) | instskip(NEXT) | instid1(VALU_DEP_1)
	v_lshl_add_u32 v80, v77, 2, v80
	v_add_nc_u32_e32 v80, 0x4000, v80
	ds_store_2addr_b32 v80, v81, v82 offset1:136
.LBB147_14:
	s_or_b32 exec_lo, exec_lo, s3
	v_lshlrev_b32_e32 v80, 2, v77
	s_load_b32 s35, s[0:1], 0x94
	s_waitcnt lgkmcnt(0)
	s_barrier
	buffer_gl0_inv
	v_add_nc_u32_e32 v84, 0x4000, v80
	v_cmp_eq_u32_e32 vcc_lo, 1, v79
	v_cmp_eq_u32_e64 s3, 2, v79
	v_cmp_eq_u32_e64 s4, 3, v79
	;; [unrolled: 1-line block ×3, first 2 shown]
	ds_load_2addr_b32 v[80:81], v84 offset1:17
	ds_load_2addr_b32 v[82:83], v84 offset0:34 offset1:51
	ds_load_2addr_b32 v[103:104], v84 offset0:68 offset1:85
	;; [unrolled: 1-line block ×3, first 2 shown]
	v_cmp_eq_u32_e64 s6, 7, v79
	s_waitcnt lgkmcnt(3)
	v_max3_f32 v85, v80, 0xff7fffff, v81
	s_waitcnt lgkmcnt(2)
	s_delay_alu instid0(VALU_DEP_1) | instskip(SKIP_1) | instid1(VALU_DEP_1)
	v_max3_f32 v85, v85, v82, v83
	s_waitcnt lgkmcnt(1)
	v_max3_f32 v85, v85, v103, v104
	s_waitcnt lgkmcnt(0)
	s_delay_alu instid0(VALU_DEP_1) | instskip(NEXT) | instid1(VALU_DEP_1)
	v_max3_f32 v85, v85, v105, v106
	v_sub_f32_e32 v103, v103, v85
	ds_load_2addr_b32 v[107:108], v84 offset0:136 offset1:153
	v_sub_f32_e32 v80, v80, v85
	v_dual_sub_f32 v110, v83, v85 :: v_dual_mul_f32 v113, 0x3fb8aa3b, v103
	s_delay_alu instid0(VALU_DEP_2) | instskip(SKIP_3) | instid1(VALU_DEP_1)
	v_dual_sub_f32 v86, v81, v85 :: v_dual_mul_f32 v109, 0x3fb8aa3b, v80
	ds_load_2addr_b32 v[80:81], v84 offset0:170 offset1:187
	v_mul_f32_e32 v86, 0x3fb8aa3b, v86
	v_exp_f32_e32 v109, v109
	v_exp_f32_e32 v112, v86
	v_mul_f32_e32 v110, 0x3fb8aa3b, v110
	s_waitcnt lgkmcnt(1)
	s_waitcnt_depctr 0xfff
	v_fma_f32 v86, v109, v107, 0
	v_sub_f32_e32 v107, v104, v85
	v_sub_f32_e32 v82, v82, v85
	v_exp_f32_e32 v110, v110
	ds_load_2addr_b32 v[103:104], v84 offset0:238 offset1:255
	v_dual_fmac_f32 v86, v112, v108 :: v_dual_mul_f32 v111, 0x3fb8aa3b, v82
	ds_load_2addr_b32 v[82:83], v84 offset0:204 offset1:221
	v_dual_sub_f32 v84, v105, v85 :: v_dual_mul_f32 v105, 0x3fb8aa3b, v107
	v_exp_f32_e32 v107, v113
	v_exp_f32_e32 v111, v111
	s_waitcnt lgkmcnt(0)
	s_delay_alu instid0(VALU_DEP_1)
	v_mul_f32_e32 v84, 0x3fb8aa3b, v84
	v_exp_f32_e32 v105, v105
	s_barrier
	buffer_gl0_inv
	v_fmac_f32_e32 v86, v111, v80
	v_sub_f32_e32 v80, v106, v85
	v_exp_f32_e32 v106, v84
	s_delay_alu instid0(VALU_DEP_2) | instskip(NEXT) | instid1(VALU_DEP_2)
	v_fmac_f32_e32 v86, v110, v81
	v_mul_f32_e32 v80, 0x3fb8aa3b, v80
	s_delay_alu instid0(VALU_DEP_2) | instskip(NEXT) | instid1(VALU_DEP_2)
	v_dual_cndmask_b32 v81, v109, v112 :: v_dual_fmac_f32 v86, v107, v82
	v_exp_f32_e32 v108, v80
	s_delay_alu instid0(VALU_DEP_1) | instskip(SKIP_2) | instid1(VALU_DEP_1)
	v_fmac_f32_e32 v86, v105, v83
	s_waitcnt_depctr 0xfff
	v_fmac_f32_e32 v86, v106, v103
	v_fmac_f32_e32 v86, v108, v104
	s_delay_alu instid0(VALU_DEP_1) | instskip(NEXT) | instid1(VALU_DEP_1)
	v_add_f32_e32 v103, 0x358637bd, v86
	v_div_scale_f32 v104, null, v103, v103, 1.0
	v_div_scale_f32 v109, vcc_lo, 1.0, v103, 1.0
	s_delay_alu instid0(VALU_DEP_2) | instskip(SKIP_2) | instid1(VALU_DEP_1)
	v_rcp_f32_e32 v113, v104
	s_waitcnt_depctr 0xfff
	v_fma_f32 v80, -v104, v113, 1.0
	v_fmac_f32_e32 v113, v80, v113
	v_cndmask_b32_e64 v80, v81, v111, s3
	v_cmp_eq_u32_e64 s3, 4, v79
	v_lshl_or_b32 v81, v79, 11, v78
	s_delay_alu instid0(VALU_DEP_4) | instskip(NEXT) | instid1(VALU_DEP_4)
	v_mul_f32_e32 v111, v109, v113
	v_cndmask_b32_e64 v82, v80, v110, s4
	v_cmp_eq_u32_e64 s4, 6, v79
	s_delay_alu instid0(VALU_DEP_4) | instskip(SKIP_3) | instid1(VALU_DEP_3)
	v_lshl_or_b32 v79, v75, 4, v81
	v_lshlrev_b32_e32 v80, 2, v75
	v_fma_f32 v83, -v104, v111, v109
	v_cndmask_b32_e64 v84, v82, v107, s3
	v_or_b32_e32 v82, 1, v80
	s_delay_alu instid0(VALU_DEP_3) | instskip(NEXT) | instid1(VALU_DEP_3)
	v_fmac_f32_e32 v111, v83, v113
	v_cndmask_b32_e64 v105, v84, v105, s5
	v_or_b32_e32 v84, 2, v80
	v_or_b32_e32 v83, 3, v80
	v_cmp_eq_u32_e64 s3, 1, v80
	v_fma_f32 v104, -v104, v111, v109
	v_cndmask_b32_e64 v105, v105, v106, s4
	v_cmp_eq_u32_e64 s9, 1, v82
	v_cmp_eq_u32_e64 s10, 1, v84
	;; [unrolled: 1-line block ×3, first 2 shown]
	v_div_fmas_f32 v104, v104, v113, v111
	v_cndmask_b32_e64 v105, v105, v108, s6
	v_cmp_eq_u32_e32 vcc_lo, 2, v80
	v_cmp_eq_u32_e64 s12, 2, v82
	v_cmp_eq_u32_e64 s15, 2, v84
	v_div_fixup_f32 v103, v104, v103, 1.0
	v_cmp_eq_u32_e64 s16, 2, v83
	v_cmp_eq_u32_e64 s18, 3, v83
	;; [unrolled: 1-line block ×4, first 2 shown]
	v_mul_f32_e32 v111, v105, v103
	v_cmp_eq_u32_e64 s17, 3, v84
	v_cmp_eq_u32_e64 s22, 4, v83
	;; [unrolled: 1-line block ×4, first 2 shown]
	v_fma_mixlo_f16 v103, v111, v88, 0
	v_fma_mixlo_f16 v104, v111, v90, 0
	;; [unrolled: 1-line block ×8, first 2 shown]
	v_fma_mixhi_f16 v103, v111, v87, 0
	v_fma_mixhi_f16 v104, v111, v89, 0
	v_fma_mixhi_f16 v105, v111, v91, 0
	v_fma_mixhi_f16 v106, v111, v93, 0
	v_fma_mixhi_f16 v107, v111, v95, 0
	v_fma_mixhi_f16 v108, v111, v97, 0
	v_fma_mixhi_f16 v109, v111, v99, 0
	v_fma_mixhi_f16 v110, v111, v101, 0
	ds_store_b128 v79, v[103:106]
	ds_store_b128 v79, v[107:110] offset:1024
	s_waitcnt lgkmcnt(0)
	s_barrier
	buffer_gl0_inv
	ds_load_b128 v[87:90], v81
	ds_load_b128 v[91:94], v81 offset:16
	ds_load_b128 v[95:98], v81 offset:1024
	;; [unrolled: 1-line block ×3, first 2 shown]
	v_cmp_eq_u32_e64 s21, 4, v84
	v_cmp_eq_u32_e64 s24, 5, v83
	;; [unrolled: 1-line block ×13, first 2 shown]
	s_waitcnt lgkmcnt(3)
	v_lshrrev_b32_e32 v103, 16, v87
	s_waitcnt lgkmcnt(2)
	v_lshrrev_b32_e32 v107, 16, v91
	;; [unrolled: 2-line block ×4, first 2 shown]
	v_lshrrev_b32_e32 v104, 16, v88
	v_cndmask_b32_e64 v119, v87, v103, s3
	v_cndmask_b32_e64 v120, v91, v107, s3
	;; [unrolled: 1-line block ×8, first 2 shown]
	v_lshrrev_b32_e32 v108, 16, v92
	v_cndmask_b32_e64 v103, v95, v111, s3
	v_cndmask_b32_e64 v107, v99, v115, s3
	;; [unrolled: 1-line block ×5, first 2 shown]
	v_cndmask_b32_e32 v111, v119, v88, vcc_lo
	v_cndmask_b32_e64 v119, v121, v88, s12
	v_cndmask_b32_e64 v121, v123, v88, s15
	v_cndmask_b32_e64 v87, v87, v88, s16
	v_cndmask_b32_e64 v88, v91, v92, s16
	v_lshrrev_b32_e32 v112, 16, v96
	v_lshrrev_b32_e32 v116, 16, v100
	v_cndmask_b32_e64 v126, v99, v115, s9
	v_cndmask_b32_e64 v128, v99, v115, s10
	;; [unrolled: 1-line block ×3, first 2 shown]
	v_cndmask_b32_e32 v115, v120, v92, vcc_lo
	v_cndmask_b32_e64 v120, v122, v92, s12
	v_cndmask_b32_e64 v122, v124, v92, s15
	v_cndmask_b32_e32 v91, v103, v96, vcc_lo
	v_cndmask_b32_e32 v92, v107, v100, vcc_lo
	v_cndmask_b32_e64 v103, v125, v96, s12
	v_cndmask_b32_e64 v87, v87, v104, s18
	;; [unrolled: 1-line block ×3, first 2 shown]
	v_lshrrev_b32_e32 v105, 16, v89
	v_lshrrev_b32_e32 v109, 16, v93
	v_cndmask_b32_e64 v107, v127, v96, s15
	v_cndmask_b32_e64 v95, v95, v96, s16
	;; [unrolled: 1-line block ×14, first 2 shown]
	v_lshrrev_b32_e32 v113, 16, v97
	v_cndmask_b32_e64 v99, v99, v89, s5
	v_cndmask_b32_e64 v104, v111, v93, s5
	;; [unrolled: 1-line block ×11, first 2 shown]
	v_lshrrev_b32_e32 v106, 16, v90
	v_lshrrev_b32_e32 v110, 16, v94
	v_cndmask_b32_e64 v93, v99, v105, s6
	v_cndmask_b32_e64 v99, v104, v109, s6
	;; [unrolled: 1-line block ×9, first 2 shown]
	v_lshrrev_b32_e32 v114, 16, v98
	v_cndmask_b32_e64 v89, v89, v113, s6
	v_cndmask_b32_e64 v93, v93, v90, s7
	;; [unrolled: 1-line block ×19, first 2 shown]
	v_perm_b32 v90, v88, v87, 0x5040100
	v_cndmask_b32_e64 v87, v126, v100, s12
	v_cndmask_b32_e64 v105, v89, v114, s8
	v_perm_b32 v89, v103, v99, 0x5040100
	v_perm_b32 v88, v104, v94, 0x5040100
	v_cndmask_b32_e64 v94, v107, v112, s17
	v_cndmask_b32_e64 v95, v95, v112, s18
	v_cndmask_b32_e64 v96, v96, v116, s18
	v_cndmask_b32_e64 v99, v123, v116, s17
	v_cndmask_b32_e64 v87, v87, v116, s13
	v_lshrrev_b32_e32 v117, 16, v101
	v_cndmask_b32_e64 v94, v94, v97, s21
	v_cndmask_b32_e64 v95, v95, v97, s22
	;; [unrolled: 1-line block ×11, first 2 shown]
	v_lshrrev_b32_e32 v118, 16, v102
	v_cndmask_b32_e64 v91, v91, v102, s7
	v_cndmask_b32_e64 v94, v94, v98, s26
	;; [unrolled: 1-line block ×12, first 2 shown]
	v_perm_b32 v87, v93, v92, 0x5040100
	v_perm_b32 v94, v95, v94, 0x5040100
	;; [unrolled: 1-line block ×5, first 2 shown]
	s_mul_i32 s7, s33, 14
	s_mov_b32 s3, exec_lo
	ds_store_b128 v79, v[87:90]
	ds_store_b128 v79, v[91:94] offset:1024
	v_cmpx_gt_u32_e32 14, v0
	s_cbranch_execz .LBB147_16
; %bb.15:
	s_mul_i32 s4, s7, s34
	s_load_b128 s[8:11], s[0:1], 0x58
	v_add3_u32 v77, s4, s31, v77
	s_delay_alu instid0(VALU_DEP_1) | instskip(NEXT) | instid1(VALU_DEP_1)
	v_mad_u64_u32 v[87:88], null, v77, s35, s[14:15]
	v_ashrrev_i32_e32 v88, 31, v87
	s_delay_alu instid0(VALU_DEP_1) | instskip(SKIP_1) | instid1(VALU_DEP_1)
	v_lshlrev_b64 v[87:88], 2, v[87:88]
	s_waitcnt lgkmcnt(0)
	v_add_co_u32 v89, vcc_lo, s10, v87
	s_delay_alu instid0(VALU_DEP_2)
	v_add_co_ci_u32_e32 v90, vcc_lo, s11, v88, vcc_lo
	v_add_co_u32 v87, vcc_lo, s8, v87
	v_add_co_ci_u32_e32 v88, vcc_lo, s9, v88, vcc_lo
	global_store_b32 v[89:90], v85, off
	global_store_b32 v[87:88], v86, off
.LBB147_16:
	s_or_b32 exec_lo, exec_lo, s3
	s_waitcnt lgkmcnt(0)
	s_waitcnt_vscnt null, 0x0
	s_barrier
	buffer_gl0_inv
	ds_load_b128 v[93:96], v78
	ds_load_b128 v[97:100], v78 offset:16
	ds_load_b128 v[105:108], v78 offset:1040
	;; [unrolled: 1-line block ×5, first 2 shown]
	v_cmp_eq_u32_e32 vcc_lo, 1, v84
	v_mov_b32_e32 v85, 0
	ds_load_b128 v[121:124], v78 offset:3088
	ds_load_b128 v[117:120], v78 offset:3072
	;; [unrolled: 1-line block ×4, first 2 shown]
	v_cmp_eq_u32_e64 s3, 1, v80
	v_cmp_eq_u32_e64 s4, 1, v83
	;; [unrolled: 1-line block ×3, first 2 shown]
	v_mov_b32_e32 v86, v85
	v_mov_b32_e32 v87, v85
	;; [unrolled: 1-line block ×7, first 2 shown]
	v_cmp_eq_u32_e64 s6, 2, v80
	s_waitcnt lgkmcnt(8)
	s_delay_alu instid0(VALU_DEP_2)
	v_wmma_f32_16x16x16_f16 v[85:92], v[65:72], v[93:100], v[85:92]
	ds_load_b128 v[69:72], v78 offset:5136
	ds_load_b128 v[65:68], v78 offset:5120
	;; [unrolled: 1-line block ×4, first 2 shown]
	s_waitcnt lgkmcnt(10)
	v_wmma_f32_16x16x16_f16 v[85:92], v[57:64], v[101:108], v[85:92]
	s_waitcnt lgkmcnt(8)
	s_delay_alu instid0(VALU_DEP_1)
	v_wmma_f32_16x16x16_f16 v[85:92], v[57:64], v[109:116], v[85:92]
	ds_load_b128 v[61:64], v78 offset:7184
	ds_load_b128 v[57:60], v78 offset:7168
	;; [unrolled: 1-line block ×4, first 2 shown]
	s_waitcnt lgkmcnt(10)
	v_wmma_f32_16x16x16_f16 v[85:92], v[49:56], v[117:124], v[85:92]
	s_waitcnt lgkmcnt(8)
	s_delay_alu instid0(VALU_DEP_1)
	v_wmma_f32_16x16x16_f16 v[85:92], v[49:56], v[125:132], v[85:92]
	ds_load_b128 v[53:56], v78 offset:9232
	ds_load_b128 v[49:52], v78 offset:9216
	s_waitcnt lgkmcnt(8)
	v_wmma_f32_16x16x16_f16 v[85:92], v[41:48], v[65:72], v[85:92]
	ds_load_b128 v[69:72], v78 offset:10256
	ds_load_b128 v[65:68], v78 offset:10240
	s_waitcnt lgkmcnt(8)
	;; [unrolled: 4-line block ×7, first 2 shown]
	s_barrier
	buffer_gl0_inv
	v_wmma_f32_16x16x16_f16 v[85:92], v[33:40], v[41:48], v[85:92]
	s_delay_alu instid0(VALU_DEP_1) | instskip(NEXT) | instid1(VALU_DEP_1)
	v_wmma_f32_16x16x16_f16 v[85:92], v[33:40], v[57:64], v[85:92]
	v_wmma_f32_16x16x16_f16 v[85:92], v[25:32], v[9:16], v[85:92]
	s_delay_alu instid0(VALU_DEP_1) | instskip(NEXT) | instid1(VALU_DEP_1)
	v_wmma_f32_16x16x16_f16 v[85:92], v[25:32], v[49:56], v[85:92]
	v_wmma_f32_16x16x16_f16 v[85:92], v[17:24], v[1:8], v[85:92]
	s_delay_alu instid0(VALU_DEP_1) | instskip(NEXT) | instid1(VALU_DEP_2)
	v_cvt_f16_f32_e32 v1, v85
	v_cvt_f16_f32_e32 v2, v86
	s_delay_alu instid0(VALU_DEP_3) | instskip(NEXT) | instid1(VALU_DEP_4)
	v_cvt_f16_f32_e32 v3, v87
	v_cvt_f16_f32_e32 v4, v88
	v_cvt_f16_f32_e32 v5, v89
	v_cvt_f16_f32_e32 v6, v90
	v_cvt_f16_f32_e32 v7, v91
	v_cvt_f16_f32_e32 v8, v92
	v_pack_b32_f16 v1, v1, v2
	v_pack_b32_f16 v2, v3, v4
	;; [unrolled: 1-line block ×3, first 2 shown]
	s_delay_alu instid0(VALU_DEP_4)
	v_pack_b32_f16 v4, v7, v8
	ds_store_b128 v79, v[1:4]
	s_waitcnt lgkmcnt(0)
	s_barrier
	buffer_gl0_inv
	ds_load_b128 v[1:4], v81
	ds_load_b128 v[5:8], v81 offset:16
	s_waitcnt lgkmcnt(1)
	v_lshrrev_b32_e32 v9, 16, v1
	s_waitcnt lgkmcnt(0)
	v_lshrrev_b32_e32 v13, 16, v5
	v_lshrrev_b32_e32 v15, 16, v7
	v_lshrrev_b32_e32 v10, 16, v2
	v_lshrrev_b32_e32 v14, 16, v6
	v_cndmask_b32_e64 v17, v1, v9, s3
	v_cndmask_b32_e64 v18, v5, v13, s3
	;; [unrolled: 1-line block ×3, first 2 shown]
	v_cmp_eq_u32_e64 s3, 2, v82
	v_cndmask_b32_e64 v20, v5, v13, s5
	v_cndmask_b32_e32 v21, v1, v9, vcc_lo
	v_cndmask_b32_e32 v22, v5, v13, vcc_lo
	v_cndmask_b32_e64 v1, v1, v9, s4
	v_cndmask_b32_e64 v5, v5, v13, s4
	v_cmp_eq_u32_e32 vcc_lo, 2, v84
	v_cmp_eq_u32_e64 s4, 2, v83
	v_cndmask_b32_e64 v9, v17, v2, s6
	v_cndmask_b32_e64 v13, v18, v6, s6
	;; [unrolled: 1-line block ×4, first 2 shown]
	v_cndmask_b32_e32 v19, v21, v2, vcc_lo
	v_cmp_eq_u32_e64 s3, 3, v84
	v_cndmask_b32_e32 v20, v22, v6, vcc_lo
	v_cndmask_b32_e64 v1, v1, v2, s4
	v_cmp_eq_u32_e32 vcc_lo, 3, v83
	v_cmp_eq_u32_e64 s5, 3, v80
	v_cndmask_b32_e64 v2, v5, v6, s4
	v_cmp_eq_u32_e64 s4, 3, v82
	v_lshrrev_b32_e32 v16, 16, v8
	v_cmp_eq_u32_e64 s6, 4, v80
	v_cndmask_b32_e64 v5, v9, v10, s5
	v_cndmask_b32_e64 v6, v13, v14, s5
	;; [unrolled: 1-line block ×3, first 2 shown]
	v_cmp_eq_u32_e64 s5, 4, v82
	v_cndmask_b32_e64 v13, v18, v14, s4
	v_cndmask_b32_e64 v17, v19, v10, s3
	;; [unrolled: 1-line block ×3, first 2 shown]
	v_cndmask_b32_e32 v1, v1, v10, vcc_lo
	v_cndmask_b32_e32 v2, v2, v14, vcc_lo
	v_cmp_eq_u32_e32 vcc_lo, 4, v84
	v_cmp_eq_u32_e64 s4, 4, v83
	v_lshrrev_b32_e32 v11, 16, v3
	v_cndmask_b32_e64 v5, v5, v3, s6
	v_cndmask_b32_e64 v6, v6, v7, s6
	;; [unrolled: 1-line block ×4, first 2 shown]
	v_cndmask_b32_e32 v13, v17, v3, vcc_lo
	v_cmp_eq_u32_e64 s3, 5, v84
	v_cndmask_b32_e32 v14, v18, v7, vcc_lo
	v_cndmask_b32_e64 v1, v1, v3, s4
	v_cmp_eq_u32_e32 vcc_lo, 5, v83
	v_cmp_eq_u32_e64 s5, 5, v80
	v_cndmask_b32_e64 v2, v2, v7, s4
	v_cmp_eq_u32_e64 s4, 5, v82
	v_cmp_eq_u32_e64 s6, 6, v80
	v_cndmask_b32_e32 v1, v1, v11, vcc_lo
	v_cndmask_b32_e64 v3, v5, v11, s5
	v_cndmask_b32_e64 v5, v6, v15, s5
	;; [unrolled: 1-line block ×3, first 2 shown]
	v_cmp_eq_u32_e64 s5, 6, v82
	v_cndmask_b32_e64 v7, v10, v15, s4
	v_cndmask_b32_e64 v9, v13, v11, s3
	;; [unrolled: 1-line block ×3, first 2 shown]
	v_cndmask_b32_e32 v2, v2, v15, vcc_lo
	v_cmp_eq_u32_e32 vcc_lo, 6, v84
	v_cmp_eq_u32_e64 s3, 6, v83
	v_lshrrev_b32_e32 v12, 16, v4
	v_cndmask_b32_e64 v3, v3, v4, s6
	v_cndmask_b32_e64 v5, v5, v8, s6
	;; [unrolled: 1-line block ×4, first 2 shown]
	v_cndmask_b32_e32 v9, v9, v4, vcc_lo
	v_cmp_eq_u32_e64 s4, 7, v84
	v_cndmask_b32_e32 v10, v10, v8, vcc_lo
	v_cndmask_b32_e64 v1, v1, v4, s3
	v_cmp_eq_u32_e32 vcc_lo, 7, v83
	v_cndmask_b32_e64 v2, v2, v8, s3
	v_cmp_eq_u32_e64 s3, 7, v80
	v_cmp_eq_u32_e64 s5, 7, v82
	v_cndmask_b32_e32 v1, v1, v12, vcc_lo
	s_delay_alu instid0(VALU_DEP_4) | instskip(NEXT) | instid1(VALU_DEP_4)
	v_cndmask_b32_e32 v2, v2, v16, vcc_lo
	v_cndmask_b32_e64 v8, v3, v12, s3
	s_delay_alu instid0(VALU_DEP_4)
	v_cndmask_b32_e64 v6, v6, v12, s5
	v_cndmask_b32_e64 v3, v9, v12, s4
	;; [unrolled: 1-line block ×5, first 2 shown]
	v_cmp_gt_u32_e32 vcc_lo, 32, v0
	v_perm_b32 v4, v2, v1, 0x5040100
	v_perm_b32 v3, v9, v3, 0x5040100
	;; [unrolled: 1-line block ×4, first 2 shown]
	s_and_b32 s2, vcc_lo, s2
	ds_store_b128 v79, v[1:4]
	s_waitcnt lgkmcnt(0)
	s_barrier
	buffer_gl0_inv
	s_and_saveexec_b32 s3, s2
	s_cbranch_execz .LBB147_2
; %bb.17:
	s_load_b64 s[0:1], s[0:1], 0x68
	v_lshlrev_b32_e32 v0, 10, v0
	s_lshl_b32 s4, s35, 6
	v_or_b32_e32 v3, s31, v75
	s_mul_i32 s2, s4, s34
	v_lshlrev_b32_e32 v1, 4, v76
	v_lshlrev_b32_e32 v2, 6, v75
	v_and_b32_e32 v0, 0x3800, v0
	s_mul_i32 s2, s2, s7
	v_mul_lo_u32 v8, v3, s4
	s_ashr_i32 s3, s2, 31
	s_delay_alu instid0(SALU_CYCLE_1)
	s_lshl_b64 s[2:3], s[2:3], 1
	v_or3_b32 v16, v0, v1, v2
	ds_load_b128 v[0:3], v16
	ds_load_b128 v[4:7], v16 offset:128
	v_ashrrev_i32_e32 v9, 31, v8
	s_waitcnt lgkmcnt(0)
	s_add_u32 s2, s0, s2
	s_addc_u32 s3, s1, s3
	s_lshl_b32 s0, s14, 6
	s_delay_alu instid0(SALU_CYCLE_1) | instskip(SKIP_2) | instid1(SALU_CYCLE_1)
	s_ashr_i32 s1, s0, 31
	v_lshlrev_b64 v[9:10], 1, v[8:9]
	s_lshl_b64 s[0:1], s[0:1], 1
	s_add_u32 s0, s2, s0
	s_addc_u32 s1, s3, s1
	s_lshl_b32 s2, s35, 7
	v_add_co_u32 v30, vcc_lo, s0, v73
	v_add_nc_u32_e32 v11, s2, v8
	v_add_co_ci_u32_e32 v31, vcc_lo, s1, v74, vcc_lo
	s_delay_alu instid0(VALU_DEP_3) | instskip(NEXT) | instid1(VALU_DEP_3)
	v_add_co_u32 v9, vcc_lo, v30, v9
	v_add_nc_u32_e32 v8, s2, v11
	s_delay_alu instid0(VALU_DEP_3) | instskip(SKIP_1) | instid1(VALU_DEP_3)
	v_add_co_ci_u32_e32 v10, vcc_lo, v31, v10, vcc_lo
	v_ashrrev_i32_e32 v12, 31, v11
	v_add_nc_u32_e32 v13, s2, v8
	global_store_b128 v[9:10], v[0:3], off
	v_ashrrev_i32_e32 v9, 31, v8
	v_lshlrev_b64 v[11:12], 1, v[11:12]
	v_ashrrev_i32_e32 v14, 31, v13
	v_add_nc_u32_e32 v10, s2, v13
	s_delay_alu instid0(VALU_DEP_4) | instskip(NEXT) | instid1(VALU_DEP_4)
	v_lshlrev_b64 v[2:3], 1, v[8:9]
	v_add_co_u32 v0, vcc_lo, v30, v11
	s_delay_alu instid0(VALU_DEP_4)
	v_lshlrev_b64 v[8:9], 1, v[13:14]
	v_add_co_ci_u32_e32 v1, vcc_lo, v31, v12, vcc_lo
	v_ashrrev_i32_e32 v11, 31, v10
	v_add_co_u32 v22, vcc_lo, v30, v2
	v_add_nc_u32_e32 v20, s2, v10
	v_add_co_ci_u32_e32 v23, vcc_lo, v31, v3, vcc_lo
	v_add_co_u32 v24, vcc_lo, v30, v8
	global_store_b128 v[0:1], v[4:7], off
	v_add_co_ci_u32_e32 v25, vcc_lo, v31, v9, vcc_lo
	ds_load_b128 v[0:3], v16 offset:256
	ds_load_b128 v[4:7], v16 offset:384
	v_lshlrev_b64 v[26:27], 1, v[10:11]
	ds_load_b128 v[8:11], v16 offset:512
	ds_load_b128 v[12:15], v16 offset:640
	;; [unrolled: 1-line block ×3, first 2 shown]
	v_add_nc_u32_e32 v28, s2, v20
	v_ashrrev_i32_e32 v21, 31, v20
	v_add_co_u32 v26, vcc_lo, v30, v26
	s_delay_alu instid0(VALU_DEP_3) | instskip(NEXT) | instid1(VALU_DEP_3)
	v_ashrrev_i32_e32 v29, 31, v28
	v_lshlrev_b64 v[20:21], 1, v[20:21]
	v_add_co_ci_u32_e32 v27, vcc_lo, v31, v27, vcc_lo
	s_delay_alu instid0(VALU_DEP_3) | instskip(NEXT) | instid1(VALU_DEP_3)
	v_lshlrev_b64 v[28:29], 1, v[28:29]
	v_add_co_u32 v20, vcc_lo, v30, v20
	s_delay_alu instid0(VALU_DEP_4) | instskip(NEXT) | instid1(VALU_DEP_3)
	v_add_co_ci_u32_e32 v21, vcc_lo, v31, v21, vcc_lo
	v_add_co_u32 v28, vcc_lo, v30, v28
	s_delay_alu instid0(VALU_DEP_4)
	v_add_co_ci_u32_e32 v29, vcc_lo, v31, v29, vcc_lo
	s_waitcnt lgkmcnt(4)
	global_store_b128 v[22:23], v[0:3], off
	s_waitcnt lgkmcnt(3)
	global_store_b128 v[24:25], v[4:7], off
	;; [unrolled: 2-line block ×5, first 2 shown]
	s_nop 0
	s_sendmsg sendmsg(MSG_DEALLOC_VGPRS)
	s_endpgm
	.section	.rodata,"a",@progbits
	.p2align	6, 0x0
	.amdhsa_kernel _Z39paged_attention_ll4mi_QKV_mfma16_kernelIDF16_DF16_LN4vllm18Fp8KVCacheDataTypeE0EhLi32ELi64ELi256ELb0ELi14EL8MFMAType0EEvPKT_PKT0_S8_ifPKiSA_SA_iPKfiiiPfSD_PS3_PT2_iSC_SC_
		.amdhsa_group_segment_fixed_size 17472
		.amdhsa_private_segment_fixed_size 0
		.amdhsa_kernarg_size 400
		.amdhsa_user_sgpr_count 13
		.amdhsa_user_sgpr_dispatch_ptr 0
		.amdhsa_user_sgpr_queue_ptr 0
		.amdhsa_user_sgpr_kernarg_segment_ptr 1
		.amdhsa_user_sgpr_dispatch_id 0
		.amdhsa_user_sgpr_private_segment_size 0
		.amdhsa_wavefront_size32 1
		.amdhsa_uses_dynamic_stack 0
		.amdhsa_enable_private_segment 0
		.amdhsa_system_sgpr_workgroup_id_x 1
		.amdhsa_system_sgpr_workgroup_id_y 1
		.amdhsa_system_sgpr_workgroup_id_z 1
		.amdhsa_system_sgpr_workgroup_info 0
		.amdhsa_system_vgpr_workitem_id 0
		.amdhsa_next_free_vgpr 154
		.amdhsa_next_free_sgpr 39
		.amdhsa_reserve_vcc 1
		.amdhsa_float_round_mode_32 0
		.amdhsa_float_round_mode_16_64 0
		.amdhsa_float_denorm_mode_32 3
		.amdhsa_float_denorm_mode_16_64 3
		.amdhsa_dx10_clamp 1
		.amdhsa_ieee_mode 1
		.amdhsa_fp16_overflow 0
		.amdhsa_workgroup_processor_mode 1
		.amdhsa_memory_ordered 1
		.amdhsa_forward_progress 0
		.amdhsa_shared_vgpr_count 0
		.amdhsa_exception_fp_ieee_invalid_op 0
		.amdhsa_exception_fp_denorm_src 0
		.amdhsa_exception_fp_ieee_div_zero 0
		.amdhsa_exception_fp_ieee_overflow 0
		.amdhsa_exception_fp_ieee_underflow 0
		.amdhsa_exception_fp_ieee_inexact 0
		.amdhsa_exception_int_div_zero 0
	.end_amdhsa_kernel
	.section	.text._Z39paged_attention_ll4mi_QKV_mfma16_kernelIDF16_DF16_LN4vllm18Fp8KVCacheDataTypeE0EhLi32ELi64ELi256ELb0ELi14EL8MFMAType0EEvPKT_PKT0_S8_ifPKiSA_SA_iPKfiiiPfSD_PS3_PT2_iSC_SC_,"axG",@progbits,_Z39paged_attention_ll4mi_QKV_mfma16_kernelIDF16_DF16_LN4vllm18Fp8KVCacheDataTypeE0EhLi32ELi64ELi256ELb0ELi14EL8MFMAType0EEvPKT_PKT0_S8_ifPKiSA_SA_iPKfiiiPfSD_PS3_PT2_iSC_SC_,comdat
.Lfunc_end147:
	.size	_Z39paged_attention_ll4mi_QKV_mfma16_kernelIDF16_DF16_LN4vllm18Fp8KVCacheDataTypeE0EhLi32ELi64ELi256ELb0ELi14EL8MFMAType0EEvPKT_PKT0_S8_ifPKiSA_SA_iPKfiiiPfSD_PS3_PT2_iSC_SC_, .Lfunc_end147-_Z39paged_attention_ll4mi_QKV_mfma16_kernelIDF16_DF16_LN4vllm18Fp8KVCacheDataTypeE0EhLi32ELi64ELi256ELb0ELi14EL8MFMAType0EEvPKT_PKT0_S8_ifPKiSA_SA_iPKfiiiPfSD_PS3_PT2_iSC_SC_
                                        ; -- End function
	.section	.AMDGPU.csdata,"",@progbits
; Kernel info:
; codeLenInByte = 7364
; NumSgprs: 41
; NumVgprs: 154
; ScratchSize: 0
; MemoryBound: 0
; FloatMode: 240
; IeeeMode: 1
; LDSByteSize: 17472 bytes/workgroup (compile time only)
; SGPRBlocks: 5
; VGPRBlocks: 19
; NumSGPRsForWavesPerEU: 41
; NumVGPRsForWavesPerEU: 154
; Occupancy: 9
; WaveLimiterHint : 1
; COMPUTE_PGM_RSRC2:SCRATCH_EN: 0
; COMPUTE_PGM_RSRC2:USER_SGPR: 13
; COMPUTE_PGM_RSRC2:TRAP_HANDLER: 0
; COMPUTE_PGM_RSRC2:TGID_X_EN: 1
; COMPUTE_PGM_RSRC2:TGID_Y_EN: 1
; COMPUTE_PGM_RSRC2:TGID_Z_EN: 1
; COMPUTE_PGM_RSRC2:TIDIG_COMP_CNT: 0
	.section	.text._Z39paged_attention_ll4mi_QKV_mfma16_kernelIDF16_DF16_LN4vllm18Fp8KVCacheDataTypeE0EhLi32ELi64ELi256ELb0ELi15EL8MFMAType0EEvPKT_PKT0_S8_ifPKiSA_SA_iPKfiiiPfSD_PS3_PT2_iSC_SC_,"axG",@progbits,_Z39paged_attention_ll4mi_QKV_mfma16_kernelIDF16_DF16_LN4vllm18Fp8KVCacheDataTypeE0EhLi32ELi64ELi256ELb0ELi15EL8MFMAType0EEvPKT_PKT0_S8_ifPKiSA_SA_iPKfiiiPfSD_PS3_PT2_iSC_SC_,comdat
	.protected	_Z39paged_attention_ll4mi_QKV_mfma16_kernelIDF16_DF16_LN4vllm18Fp8KVCacheDataTypeE0EhLi32ELi64ELi256ELb0ELi15EL8MFMAType0EEvPKT_PKT0_S8_ifPKiSA_SA_iPKfiiiPfSD_PS3_PT2_iSC_SC_ ; -- Begin function _Z39paged_attention_ll4mi_QKV_mfma16_kernelIDF16_DF16_LN4vllm18Fp8KVCacheDataTypeE0EhLi32ELi64ELi256ELb0ELi15EL8MFMAType0EEvPKT_PKT0_S8_ifPKiSA_SA_iPKfiiiPfSD_PS3_PT2_iSC_SC_
	.globl	_Z39paged_attention_ll4mi_QKV_mfma16_kernelIDF16_DF16_LN4vllm18Fp8KVCacheDataTypeE0EhLi32ELi64ELi256ELb0ELi15EL8MFMAType0EEvPKT_PKT0_S8_ifPKiSA_SA_iPKfiiiPfSD_PS3_PT2_iSC_SC_
	.p2align	8
	.type	_Z39paged_attention_ll4mi_QKV_mfma16_kernelIDF16_DF16_LN4vllm18Fp8KVCacheDataTypeE0EhLi32ELi64ELi256ELb0ELi15EL8MFMAType0EEvPKT_PKT0_S8_ifPKiSA_SA_iPKfiiiPfSD_PS3_PT2_iSC_SC_,@function
_Z39paged_attention_ll4mi_QKV_mfma16_kernelIDF16_DF16_LN4vllm18Fp8KVCacheDataTypeE0EhLi32ELi64ELi256ELb0ELi15EL8MFMAType0EEvPKT_PKT0_S8_ifPKiSA_SA_iPKfiiiPfSD_PS3_PT2_iSC_SC_: ; @_Z39paged_attention_ll4mi_QKV_mfma16_kernelIDF16_DF16_LN4vllm18Fp8KVCacheDataTypeE0EhLi32ELi64ELi256ELb0ELi15EL8MFMAType0EEvPKT_PKT0_S8_ifPKiSA_SA_iPKfiiiPfSD_PS3_PT2_iSC_SC_
; %bb.0:
	s_load_b64 s[2:3], s[0:1], 0x30
	s_mov_b32 s34, s13
	s_waitcnt lgkmcnt(0)
	s_cmp_lg_u64 s[2:3], 0
	s_cselect_b32 s6, -1, 0
	s_ashr_i32 s35, s13, 31
	s_cmp_eq_u64 s[2:3], 0
	s_cbranch_scc1 .LBB148_3
; %bb.1:
	s_lshl_b64 s[4:5], s[34:35], 2
	s_delay_alu instid0(SALU_CYCLE_1) | instskip(SKIP_4) | instid1(SALU_CYCLE_1)
	s_add_u32 s4, s2, s4
	s_addc_u32 s5, s3, s5
	s_load_b64 s[4:5], s[4:5], 0x0
	s_waitcnt lgkmcnt(0)
	s_sub_i32 s4, s5, s4
	s_cmp_eq_u32 s4, 1
	s_cselect_b32 s4, -1, 0
	s_delay_alu instid0(SALU_CYCLE_1)
	s_and_not1_b32 vcc_lo, exec_lo, s4
	s_cbranch_vccz .LBB148_4
.LBB148_2:
	s_nop 0
	s_sendmsg sendmsg(MSG_DEALLOC_VGPRS)
	s_endpgm
.LBB148_3:
.LBB148_4:
	s_load_b64 s[8:9], s[0:1], 0x28
	s_lshl_b64 s[4:5], s[34:35], 2
	s_waitcnt lgkmcnt(0)
	s_add_u32 s8, s8, s4
	s_addc_u32 s9, s9, s5
	s_lshl_b32 s16, s14, 8
	s_load_b32 s18, s[8:9], 0x0
	s_waitcnt lgkmcnt(0)
	s_cmp_ge_i32 s16, s18
	s_cbranch_scc1 .LBB148_2
; %bb.5:
	s_and_not1_b32 vcc_lo, exec_lo, s6
	s_cbranch_vccnz .LBB148_7
; %bb.6:
	s_add_u32 s2, s2, s4
	s_addc_u32 s3, s3, s5
	s_load_b32 s17, s[2:3], 0x0
	s_branch .LBB148_8
.LBB148_7:
	s_mov_b32 s17, s34
.LBB148_8:
	s_clause 0x2
	s_load_b128 s[8:11], s[0:1], 0x8
	s_load_b64 s[12:13], s[0:1], 0x20
	s_load_b128 s[4:7], s[0:1], 0x48
	v_lshrrev_b32_e32 v78, 5, v0
	v_bfe_u32 v75, v0, 4, 1
	v_and_b32_e32 v77, 15, v0
	s_delay_alu instid0(VALU_DEP_2) | instskip(NEXT) | instid1(VALU_DEP_2)
	v_lshl_or_b32 v3, v78, 1, v75
	v_cmp_lt_u32_e64 s3, 7, v77
	v_lshlrev_b32_e32 v1, 3, v77
	v_cmp_gt_u32_e64 s2, 8, v77
	s_delay_alu instid0(VALU_DEP_4) | instskip(NEXT) | instid1(VALU_DEP_4)
	v_cmp_lt_u32_e32 vcc_lo, 14, v3
	s_or_b32 s3, s3, vcc_lo
	s_waitcnt lgkmcnt(0)
	s_and_saveexec_b32 s7, s3
	s_delay_alu instid0(SALU_CYCLE_1)
	s_xor_b32 s3, exec_lo, s7
; %bb.9:
	v_mov_b32_e32 v2, 0
                                        ; implicit-def: $vgpr3
; %bb.10:
	s_or_saveexec_b32 s3, s3
	v_and_b32_e32 v80, 31, v0
	v_and_b32_e32 v76, 1, v0
	s_mul_i32 s33, s15, 15
	s_xor_b32 exec_lo, exec_lo, s3
	s_cbranch_execz .LBB148_12
; %bb.11:
	s_load_b64 s[20:21], s[0:1], 0x0
	v_add_lshl_u32 v4, v3, s33, 6
	s_mul_hi_i32 s23, s17, s4
	s_mul_i32 s22, s17, s4
	v_lshlrev_b32_e32 v2, 1, v1
	s_lshl_b64 s[22:23], s[22:23], 1
	v_ashrrev_i32_e32 v5, 31, v4
	v_lshlrev_b32_e32 v3, 6, v3
	v_lshlrev_b32_e32 v8, 10, v76
	s_delay_alu instid0(VALU_DEP_3) | instskip(SKIP_3) | instid1(VALU_DEP_1)
	v_lshlrev_b64 v[4:5], 1, v[4:5]
	s_waitcnt lgkmcnt(0)
	s_add_u32 s4, s20, s22
	s_addc_u32 s7, s21, s23
	v_add_co_u32 v4, vcc_lo, s4, v4
	s_delay_alu instid0(VALU_DEP_2) | instskip(NEXT) | instid1(VALU_DEP_2)
	v_add_co_ci_u32_e32 v5, vcc_lo, s7, v5, vcc_lo
	v_add_co_u32 v4, vcc_lo, v4, v2
	s_delay_alu instid0(VALU_DEP_2) | instskip(SKIP_3) | instid1(VALU_DEP_1)
	v_add_co_ci_u32_e32 v5, vcc_lo, 0, v5, vcc_lo
	v_lshlrev_b32_e32 v2, 10, v77
	global_load_b128 v[4:7], v[4:5], off
	v_and_b32_e32 v2, 0x3800, v2
	v_or3_b32 v3, v2, v8, v3
	v_mov_b32_e32 v2, 0
	s_waitcnt vmcnt(0)
	ds_store_b128 v3, v[4:7]
.LBB148_12:
	s_or_b32 exec_lo, exec_lo, s3
	v_and_b32_e32 v3, 0xef, v0
	s_add_i32 s3, s18, 31
	s_clause 0x1
	s_load_b32 s4, s[0:1], 0x38
	s_load_b32 s35, s[0:1], 0x98
	s_ashr_i32 s7, s3, 31
	v_add_nc_u32_e32 v3, s16, v3
	s_lshr_b32 s7, s7, 27
	s_load_b32 s19, s[0:1], 0x1c
	s_add_i32 s3, s3, s7
	s_waitcnt lgkmcnt(0)
	v_ashrrev_i32_e32 v4, 31, v3
	v_cmp_gt_i32_e32 vcc_lo, s18, v3
	s_ashr_i32 s3, s3, 5
	s_barrier
	s_add_i32 s3, s3, -1
	v_lshrrev_b32_e32 v5, 27, v4
	v_or_b32_e32 v4, 16, v3
	buffer_gl0_inv
	s_mul_i32 s6, s15, s6
	v_lshlrev_b64 v[73:74], 1, v[1:2]
	v_add_nc_u32_e32 v6, v3, v5
	v_add_nc_u32_e32 v5, v4, v5
	s_mul_i32 s20, s34, s4
	s_delay_alu instid0(SALU_CYCLE_1) | instskip(NEXT) | instid1(VALU_DEP_2)
	s_ashr_i32 s21, s20, 31
	v_ashrrev_i32_e32 v6, 5, v6
	s_delay_alu instid0(VALU_DEP_2) | instskip(SKIP_1) | instid1(SALU_CYCLE_1)
	v_ashrrev_i32_e32 v5, 5, v5
	s_lshl_b64 s[20:21], s[20:21], 2
	s_add_u32 s4, s12, s20
	s_delay_alu instid0(VALU_DEP_2) | instskip(SKIP_3) | instid1(SALU_CYCLE_1)
	v_cndmask_b32_e32 v3, s3, v6, vcc_lo
	v_cmp_gt_i32_e32 vcc_lo, s18, v4
	s_addc_u32 s17, s13, s21
	s_ashr_i32 s7, s6, 31
	s_lshl_b64 s[6:7], s[6:7], 1
	v_cndmask_b32_e32 v5, s3, v5, vcc_lo
	v_ashrrev_i32_e32 v4, 31, v3
	s_add_u32 s15, s8, s6
	s_addc_u32 s28, s9, s7
	s_lshl_b32 s8, s14, 3
	v_ashrrev_i32_e32 v6, 31, v5
	v_lshlrev_b64 v[3:4], 2, v[3:4]
	s_ashr_i32 s9, s8, 31
	s_delay_alu instid0(SALU_CYCLE_1) | instskip(NEXT) | instid1(VALU_DEP_2)
	s_lshl_b64 s[8:9], s[8:9], 2
	v_lshlrev_b64 v[5:6], 2, v[5:6]
	s_add_u32 s8, s4, s8
	s_delay_alu instid0(VALU_DEP_2) | instskip(SKIP_1) | instid1(VALU_DEP_3)
	v_add_co_u32 v3, vcc_lo, s4, v3
	v_add_co_ci_u32_e32 v4, vcc_lo, s17, v4, vcc_lo
	v_add_co_u32 v5, vcc_lo, s4, v5
	s_delay_alu instid0(VALU_DEP_4)
	v_add_co_ci_u32_e32 v6, vcc_lo, s17, v6, vcc_lo
	s_addc_u32 s9, s17, s9
	s_clause 0x1
	global_load_b32 v7, v[3:4], off
	global_load_b32 v8, v[5:6], off
	s_or_b32 s12, s16, 32
	s_delay_alu instid0(SALU_CYCLE_1) | instskip(SKIP_2) | instid1(SALU_CYCLE_1)
	s_ashr_i32 s13, s12, 5
	s_cmp_lt_i32 s12, s18
	s_cselect_b32 s12, s13, s3
	s_ashr_i32 s13, s12, 31
	s_delay_alu instid0(SALU_CYCLE_1) | instskip(NEXT) | instid1(SALU_CYCLE_1)
	s_lshl_b64 s[12:13], s[12:13], 2
	s_add_u32 s12, s4, s12
	s_addc_u32 s13, s17, s13
	s_or_b32 s20, s16, 64
	s_delay_alu instid0(SALU_CYCLE_1) | instskip(SKIP_2) | instid1(SALU_CYCLE_1)
	s_ashr_i32 s21, s20, 5
	s_cmp_lt_i32 s20, s18
	s_cselect_b32 s20, s21, s3
	s_ashr_i32 s21, s20, 31
	s_delay_alu instid0(SALU_CYCLE_1) | instskip(NEXT) | instid1(SALU_CYCLE_1)
	s_lshl_b64 s[20:21], s[20:21], 2
	s_add_u32 s20, s4, s20
	s_addc_u32 s21, s17, s21
	;; [unrolled: 10-line block ×5, first 2 shown]
	s_clause 0x5
	s_load_b32 s29, s[8:9], 0x0
	s_load_b32 s30, s[12:13], 0x0
	;; [unrolled: 1-line block ×6, first 2 shown]
	s_mov_b32 s20, 0
	s_or_b32 s8, s16, 0xc0
	s_mov_b32 s21, s20
	s_mov_b32 s22, s20
	;; [unrolled: 1-line block ×7, first 2 shown]
	s_ashr_i32 s9, s8, 5
	v_mov_b32_e32 v128, s27
	s_cmp_lt_i32 s8, s18
	v_mov_b32_e32 v127, s26
	s_cselect_b32 s8, s9, s3
	v_mov_b32_e32 v126, s25
	s_ashr_i32 s9, s8, 31
	v_mov_b32_e32 v125, s24
	s_lshl_b64 s[8:9], s[8:9], 2
	v_mov_b32_e32 v124, s23
	s_add_u32 s8, s4, s8
	s_addc_u32 s9, s17, s9
	v_mov_b32_e32 v123, s22
	v_mov_b32_e32 v121, s20
	s_waitcnt lgkmcnt(0)
	s_mul_hi_i32 s13, s29, s5
	s_mul_i32 s12, s29, s5
	v_mov_b32_e32 v122, s21
	s_mul_hi_i32 s21, s30, s5
	s_mul_i32 s20, s30, s5
	s_mul_hi_i32 s25, s31, s5
	s_mul_i32 s24, s31, s5
	;; [unrolled: 2-line block ×4, first 2 shown]
	s_waitcnt vmcnt(1)
	v_mad_i64_i32 v[3:4], null, v7, s5, 0
	s_waitcnt vmcnt(0)
	v_mad_i64_i32 v[5:6], null, v8, s5, 0
	s_delay_alu instid0(VALU_DEP_2) | instskip(NEXT) | instid1(VALU_DEP_2)
	v_lshlrev_b64 v[3:4], 1, v[3:4]
	v_lshlrev_b64 v[1:2], 1, v[5:6]
	s_delay_alu instid0(VALU_DEP_2) | instskip(NEXT) | instid1(VALU_DEP_3)
	v_add_co_u32 v3, vcc_lo, s15, v3
	v_add_co_ci_u32_e32 v4, vcc_lo, s28, v4, vcc_lo
	s_delay_alu instid0(VALU_DEP_3) | instskip(NEXT) | instid1(VALU_DEP_4)
	v_add_co_u32 v1, vcc_lo, s15, v1
	v_add_co_ci_u32_e32 v2, vcc_lo, s28, v2, vcc_lo
	s_delay_alu instid0(VALU_DEP_4) | instskip(NEXT) | instid1(VALU_DEP_4)
	v_add_co_u32 v25, vcc_lo, v3, v73
	v_add_co_ci_u32_e32 v26, vcc_lo, v4, v74, vcc_lo
	s_delay_alu instid0(VALU_DEP_4) | instskip(NEXT) | instid1(VALU_DEP_4)
	v_add_co_u32 v27, vcc_lo, v1, v73
	v_add_co_ci_u32_e32 v28, vcc_lo, v2, v74, vcc_lo
	s_clause 0xf
	global_load_b128 v[1:4], v[25:26], off
	global_load_b128 v[5:8], v[25:26], off offset:512
	global_load_b128 v[9:12], v[27:28], off offset:256
	;; [unrolled: 1-line block ×15, first 2 shown]
	v_cmp_ne_u32_e32 vcc_lo, 15, v77
	s_or_b32 s15, s16, 0xe0
	s_delay_alu instid0(SALU_CYCLE_1) | instskip(SKIP_3) | instid1(SALU_CYCLE_1)
	s_ashr_i32 s22, s15, 5
	s_cmp_lt_i32 s15, s18
	v_cndmask_b32_e32 v25, 0, v77, vcc_lo
	s_cselect_b32 s22, s22, s3
	s_ashr_i32 s23, s22, 31
	s_delay_alu instid0(VALU_DEP_1)
	v_lshlrev_b32_e32 v151, 6, v25
	ds_load_b128 v[25:28], v151
	ds_load_b128 v[29:32], v151 offset:1024
	ds_load_b128 v[129:132], v151 offset:2048
	;; [unrolled: 1-line block ×3, first 2 shown]
	s_lshl_b64 s[22:23], s[22:23], 2
	s_delay_alu instid0(SALU_CYCLE_1) | instskip(SKIP_2) | instid1(SALU_CYCLE_1)
	s_add_u32 s22, s4, s22
	s_addc_u32 s23, s17, s23
	s_add_i32 s15, s16, 0x100
	s_ashr_i32 s28, s15, 5
	s_cmp_lt_i32 s15, s18
	s_load_b32 s15, s[8:9], 0x0
	s_cselect_b32 s28, s28, s3
	s_mul_hi_i32 s9, s37, s5
	s_ashr_i32 s29, s28, 31
	s_mul_i32 s8, s37, s5
	s_lshl_b64 s[28:29], s[28:29], 2
	s_delay_alu instid0(SALU_CYCLE_1)
	s_add_u32 s28, s4, s28
	s_addc_u32 s29, s17, s29
	s_add_u32 s3, s10, s6
	s_clause 0x1
	s_load_b32 s4, s[22:23], 0x0
	s_load_b32 s17, s[28:29], 0x0
	s_addc_u32 s28, s11, s7
	s_lshl_b64 s[6:7], s[12:13], 1
	s_lshl_b64 s[10:11], s[20:21], 1
	s_lshl_b64 s[12:13], s[24:25], 1
	s_lshl_b64 s[20:21], s[26:27], 1
	s_lshl_b64 s[8:9], s[8:9], 1
	s_lshl_b64 s[22:23], s[30:31], 1
	s_waitcnt lgkmcnt(0)
	s_mul_hi_i32 s25, s15, s5
	s_mul_i32 s24, s15, s5
	s_delay_alu instid0(SALU_CYCLE_1)
	s_lshl_b64 s[24:25], s[24:25], 1
	s_waitcnt vmcnt(14)
	v_wmma_f32_16x16x16_f16 v[137:144], v[1:8], v[25:32], v[121:128]
	s_waitcnt vmcnt(12)
	v_wmma_f32_16x16x16_f16 v[121:128], v[9:16], v[25:32], v[121:128]
	s_waitcnt vmcnt(10)
	s_delay_alu instid0(VALU_DEP_2) | instskip(SKIP_1) | instid1(VALU_DEP_2)
	v_wmma_f32_16x16x16_f16 v[137:144], v[17:24], v[129:136], v[137:144]
	s_waitcnt vmcnt(8)
	v_wmma_f32_16x16x16_f16 v[121:128], v[81:88], v[129:136], v[121:128]
	v_mbcnt_lo_u32_b32 v130, -1, 0
	s_delay_alu instid0(VALU_DEP_1) | instskip(SKIP_1) | instid1(VALU_DEP_1)
	v_xor_b32_e32 v131, 16, v130
	v_lshlrev_b32_e32 v79, 6, v77
	v_lshl_or_b32 v33, v78, 10, v79
	s_delay_alu instid0(VALU_DEP_1) | instskip(NEXT) | instid1(VALU_DEP_1)
	v_add_co_u32 v152, s3, s3, v33
	v_add_co_ci_u32_e64 v153, null, s28, 0, s3
	s_delay_alu instid0(VALU_DEP_2) | instskip(NEXT) | instid1(VALU_DEP_2)
	v_add_co_u32 v33, vcc_lo, v152, s6
	v_add_co_ci_u32_e32 v34, vcc_lo, s7, v153, vcc_lo
	v_add_co_u32 v35, vcc_lo, v152, s10
	v_add_co_ci_u32_e32 v36, vcc_lo, s11, v153, vcc_lo
	;; [unrolled: 2-line block ×6, first 2 shown]
	s_mul_hi_i32 s7, s4, s5
	s_mul_i32 s6, s4, s5
	v_add_co_u32 v149, vcc_lo, v152, s24
	s_lshl_b64 s[6:7], s[6:7], 1
	v_add_co_ci_u32_e32 v150, vcc_lo, s25, v153, vcc_lo
	v_add_co_u32 v29, vcc_lo, v152, s6
	v_add_co_ci_u32_e32 v30, vcc_lo, s7, v153, vcc_lo
	s_mul_hi_i32 s7, s17, s5
	s_mul_i32 s6, s17, s5
	s_clause 0x7
	global_load_b128 v[65:68], v[33:34], off
	global_load_b128 v[69:72], v[33:34], off offset:16
	global_load_b128 v[57:60], v[35:36], off
	global_load_b128 v[61:64], v[35:36], off offset:16
	;; [unrolled: 2-line block ×4, first 2 shown]
	s_lshl_b64 s[4:5], s[6:7], 1
	s_clause 0x1
	global_load_b128 v[9:12], v[145:146], off
	global_load_b128 v[13:16], v[145:146], off offset:16
	v_add_co_u32 v21, vcc_lo, v152, s4
	v_add_co_ci_u32_e32 v22, vcc_lo, s5, v153, vcc_lo
	s_clause 0x7
	global_load_b128 v[1:4], v[147:148], off
	global_load_b128 v[5:8], v[147:148], off offset:16
	global_load_b128 v[33:36], v[149:150], off
	global_load_b128 v[37:40], v[149:150], off offset:16
	global_load_b128 v[25:28], v[29:30], off
	global_load_b128 v[29:32], v[29:30], off offset:16
	global_load_b128 v[17:20], v[21:22], off
	global_load_b128 v[21:24], v[21:22], off offset:16
	ds_load_b128 v[81:84], v151 offset:4096
	ds_load_b128 v[85:88], v151 offset:5120
	v_cmp_gt_i32_e32 vcc_lo, 32, v131
	v_cndmask_b32_e32 v130, v130, v131, vcc_lo
	s_waitcnt vmcnt(24) lgkmcnt(0)
	v_wmma_f32_16x16x16_f16 v[137:144], v[89:96], v[81:88], v[137:144]
	ds_load_b128 v[89:92], v151 offset:6144
	ds_load_b128 v[93:96], v151 offset:7168
	s_waitcnt vmcnt(22)
	v_wmma_f32_16x16x16_f16 v[121:128], v[97:104], v[81:88], v[121:128]
	s_waitcnt vmcnt(0) lgkmcnt(0)
	s_barrier
	buffer_gl0_inv
	v_wmma_f32_16x16x16_f16 v[137:144], v[105:112], v[89:96], v[137:144]
	v_and_b32_e32 v129, 0xe0, v0
	v_wmma_f32_16x16x16_f16 v[121:128], v[113:120], v[89:96], v[121:128]
	s_delay_alu instid0(VALU_DEP_3) | instskip(NEXT) | instid1(VALU_DEP_2)
	v_mul_f32_e32 v96, s19, v137
	v_dual_mul_f32 v104, s19, v126 :: v_dual_add_nc_u32 v129, s16, v129
	v_mul_f32_e32 v95, s19, v138
	v_dual_mul_f32 v93, s19, v140 :: v_dual_mul_f32 v94, s19, v139
	s_delay_alu instid0(VALU_DEP_3) | instskip(SKIP_3) | instid1(VALU_DEP_4)
	v_or_b32_e32 v129, v129, v75
	v_dual_mul_f32 v91, s19, v142 :: v_dual_mul_f32 v106, s19, v124
	v_dual_mul_f32 v92, s19, v141 :: v_dual_mul_f32 v89, s19, v144
	v_mul_f32_e32 v108, s19, v122
	v_or_b32_e32 v131, 2, v129
	v_or_b32_e32 v132, 4, v129
	;; [unrolled: 1-line block ×3, first 2 shown]
	v_cmp_gt_i32_e32 vcc_lo, s18, v129
	v_or_b32_e32 v82, 8, v129
	v_cmp_gt_i32_e64 s3, s18, v131
	v_or_b32_e32 v83, 10, v129
	v_cmp_gt_i32_e64 s4, s18, v132
	v_cndmask_b32_e32 v96, 0xff7fffff, v96, vcc_lo
	v_cmp_gt_i32_e64 s5, s18, v81
	v_cndmask_b32_e64 v95, 0xff7fffff, v95, s3
	v_or_b32_e32 v84, 12, v129
	v_or_b32_e32 v85, 14, v129
	v_cndmask_b32_e64 v94, 0xff7fffff, v94, s4
	v_cndmask_b32_e64 v81, 0xff7fffff, v93, s5
	v_max3_f32 v93, v96, 0xff7fffff, v95
	v_cmp_gt_i32_e64 s6, s18, v82
	v_cmp_gt_i32_e64 s7, s18, v83
	v_or_b32_e32 v86, 16, v129
	v_or_b32_e32 v87, 18, v129
	v_mul_f32_e32 v90, s19, v143
	v_cndmask_b32_e64 v82, 0xff7fffff, v92, s6
	v_cndmask_b32_e64 v83, 0xff7fffff, v91, s7
	v_max3_f32 v81, v93, v94, v81
	v_cmp_gt_i32_e64 s8, s18, v84
	v_cmp_gt_i32_e64 s9, s18, v85
	v_or_b32_e32 v88, 20, v129
	v_or_b32_e32 v97, 22, v129
	v_mul_f32_e32 v109, s19, v121
	;; [unrolled: 8-line block ×4, first 2 shown]
	v_cndmask_b32_e64 v84, 0xff7fffff, v107, s12
	v_cndmask_b32_e64 v85, 0xff7fffff, v106, s13
	v_max3_f32 v81, v81, v82, v83
	v_cmp_gt_i32_e64 s15, s18, v98
	v_cmp_gt_i32_e64 s16, s18, v99
	v_dual_mul_f32 v102, s19, v128 :: v_dual_mul_f32 v103, s19, v127
	s_delay_alu instid0(VALU_DEP_4) | instskip(NEXT) | instid1(VALU_DEP_4)
	v_max3_f32 v81, v81, v84, v85
	v_cndmask_b32_e64 v82, 0xff7fffff, v105, s15
	s_delay_alu instid0(VALU_DEP_4) | instskip(SKIP_2) | instid1(VALU_DEP_3)
	v_cndmask_b32_e64 v83, 0xff7fffff, v104, s16
	v_cmp_gt_i32_e64 s17, s18, v100
	v_cmp_gt_i32_e64 s18, s18, v101
	v_max3_f32 v81, v81, v82, v83
	s_delay_alu instid0(VALU_DEP_3) | instskip(NEXT) | instid1(VALU_DEP_3)
	v_cndmask_b32_e64 v84, 0xff7fffff, v103, s17
	v_cndmask_b32_e64 v85, 0xff7fffff, v102, s18
	v_lshlrev_b32_e32 v83, 2, v130
	s_delay_alu instid0(VALU_DEP_2) | instskip(SKIP_3) | instid1(VALU_DEP_1)
	v_max3_f32 v81, v81, v84, v85
	ds_bpermute_b32 v82, v83, v81
	s_waitcnt lgkmcnt(0)
	v_max_f32_e32 v82, v82, v82
	v_max_f32_e32 v81, v81, v82
	s_delay_alu instid0(VALU_DEP_1)
	v_fma_f32 v82, s19, v137, -v81
	v_fma_f32 v84, s19, v138, -v81
	;; [unrolled: 1-line block ×5, first 2 shown]
	v_mul_f32_e32 v82, 0x3fb8aa3b, v82
	s_delay_alu instid0(VALU_DEP_4) | instskip(NEXT) | instid1(VALU_DEP_3)
	v_dual_mul_f32 v84, 0x3fb8aa3b, v84 :: v_dual_mul_f32 v89, 0x3fb8aa3b, v87
	v_mul_f32_e32 v86, 0x3fb8aa3b, v86
	s_delay_alu instid0(VALU_DEP_3) | instskip(NEXT) | instid1(VALU_DEP_2)
	v_exp_f32_e32 v82, v82
	v_exp_f32_e32 v84, v84
	s_delay_alu instid0(VALU_DEP_2) | instskip(NEXT) | instid1(VALU_DEP_1)
	v_exp_f32_e32 v92, v89
	v_exp_f32_e32 v86, v86
	v_cndmask_b32_e32 v88, 0, v82, vcc_lo
	s_delay_alu instid0(TRANS32_DEP_3)
	v_cndmask_b32_e64 v87, 0, v84, s3
	s_waitcnt_depctr 0xfff
	v_cndmask_b32_e64 v92, 0, v92, s6
	v_cmp_gt_u32_e64 s3, 16, v80
	v_cndmask_b32_e64 v89, 0, v86, s5
	v_add_f32_e32 v84, 0, v88
	s_delay_alu instid0(VALU_DEP_1) | instskip(NEXT) | instid1(VALU_DEP_1)
	v_dual_add_f32 v84, v84, v87 :: v_dual_mul_f32 v85, 0x3fb8aa3b, v85
	v_exp_f32_e32 v85, v85
	s_waitcnt_depctr 0xfff
	v_cndmask_b32_e64 v90, 0, v85, s4
	s_delay_alu instid0(VALU_DEP_1) | instskip(NEXT) | instid1(VALU_DEP_1)
	v_add_f32_e32 v84, v84, v90
	v_add_f32_e32 v84, v84, v89
	v_fma_f32 v82, s19, v142, -v81
	v_fma_f32 v91, s19, v143, -v81
	;; [unrolled: 1-line block ×5, first 2 shown]
	s_delay_alu instid0(VALU_DEP_4) | instskip(SKIP_1) | instid1(VALU_DEP_4)
	v_dual_mul_f32 v82, 0x3fb8aa3b, v82 :: v_dual_mul_f32 v91, 0x3fb8aa3b, v91
	v_fma_f32 v96, s19, v124, -v81
	v_mul_f32_e32 v86, 0x3fb8aa3b, v86
	v_fma_f32 v99, s19, v127, -v81
	s_delay_alu instid0(VALU_DEP_4) | instskip(SKIP_3) | instid1(VALU_DEP_1)
	v_exp_f32_e32 v82, v82
	v_exp_f32_e32 v93, v91
	v_mul_f32_e32 v97, 0x3fb8aa3b, v96
	v_exp_f32_e32 v86, v86
	v_exp_f32_e32 v97, v97
	v_cndmask_b32_e64 v91, 0, v82, s7
	v_dual_add_f32 v82, v84, v92 :: v_dual_mul_f32 v85, 0x3fb8aa3b, v85
	v_fma_f32 v84, s19, v123, -v81
	v_mul_f32_e32 v95, 0x3fb8aa3b, v94
	s_delay_alu instid0(TRANS32_DEP_3) | instskip(NEXT) | instid1(VALU_DEP_4)
	v_cndmask_b32_e64 v94, 0, v93, s8
	v_add_f32_e32 v82, v82, v91
	v_exp_f32_e32 v85, v85
	v_mul_f32_e32 v84, 0x3fb8aa3b, v84
	v_cndmask_b32_e64 v96, 0, v86, s10
	v_exp_f32_e32 v95, v95
	v_add_f32_e32 v82, v82, v94
	v_fma_f32 v86, s19, v126, -v81
	v_exp_f32_e32 v84, v84
	v_cndmask_b32_e64 v97, 0, v97, s13
	s_delay_alu instid0(TRANS32_DEP_3) | instskip(SKIP_2) | instid1(TRANS32_DEP_2)
	v_cndmask_b32_e64 v93, 0, v85, s9
	v_fma_f32 v85, s19, v125, -v81
	v_mul_f32_e32 v86, 0x3fb8aa3b, v86
	v_cndmask_b32_e64 v95, 0, v95, s11
	s_waitcnt_depctr 0xfff
	v_cndmask_b32_e64 v98, 0, v84, s12
	v_mul_f32_e32 v84, 0x3fb8aa3b, v99
	v_fma_f32 v99, s19, v128, -v81
	v_add_f32_e32 v82, v82, v93
	v_mul_f32_e32 v85, 0x3fb8aa3b, v85
	v_exp_f32_e32 v86, v86
	v_exp_f32_e32 v84, v84
	s_delay_alu instid0(VALU_DEP_1)
	v_exp_f32_e32 v85, v85
	s_waitcnt_depctr 0xfff
	v_cndmask_b32_e64 v102, 0, v84, s17
	v_cndmask_b32_e64 v100, 0, v85, s15
	v_dual_mul_f32 v85, 0x3fb8aa3b, v99 :: v_dual_add_f32 v82, v82, v96
	v_cndmask_b32_e64 v99, 0, v86, s16
	s_delay_alu instid0(VALU_DEP_2) | instskip(NEXT) | instid1(VALU_DEP_2)
	v_exp_f32_e32 v85, v85
	v_add_f32_e32 v82, v82, v95
	s_delay_alu instid0(VALU_DEP_1) | instskip(SKIP_3) | instid1(VALU_DEP_1)
	v_add_f32_e32 v82, v82, v98
	s_waitcnt_depctr 0xfff
	v_cndmask_b32_e64 v101, 0, v85, s18
	v_add_f32_e32 v82, v82, v97
	v_add_f32_e32 v82, v82, v100
	s_delay_alu instid0(VALU_DEP_1) | instskip(NEXT) | instid1(VALU_DEP_1)
	v_add_f32_e32 v82, v82, v99
	v_add_f32_e32 v82, v82, v102
	s_delay_alu instid0(VALU_DEP_1)
	v_add_f32_e32 v82, v82, v101
	ds_bpermute_b32 v83, v83, v82
	s_and_saveexec_b32 s4, s3
	s_cbranch_execz .LBB148_14
; %bb.13:
	v_mul_u32_u24_e32 v80, 0x44, v78
	s_waitcnt lgkmcnt(0)
	v_add_f32_e32 v82, v82, v83
	s_delay_alu instid0(VALU_DEP_2) | instskip(NEXT) | instid1(VALU_DEP_1)
	v_lshl_add_u32 v80, v77, 2, v80
	v_add_nc_u32_e32 v80, 0x4000, v80
	ds_store_2addr_b32 v80, v81, v82 offset1:136
.LBB148_14:
	s_or_b32 exec_lo, exec_lo, s4
	v_lshlrev_b32_e32 v80, 2, v77
	s_load_b32 s36, s[0:1], 0x94
	s_waitcnt lgkmcnt(0)
	s_barrier
	buffer_gl0_inv
	v_add_nc_u32_e32 v84, 0x4000, v80
	v_cmp_eq_u32_e32 vcc_lo, 1, v78
	v_cmp_eq_u32_e64 s4, 2, v78
	v_cmp_eq_u32_e64 s5, 3, v78
	;; [unrolled: 1-line block ×3, first 2 shown]
	ds_load_2addr_b32 v[80:81], v84 offset1:17
	ds_load_2addr_b32 v[82:83], v84 offset0:34 offset1:51
	ds_load_2addr_b32 v[103:104], v84 offset0:68 offset1:85
	;; [unrolled: 1-line block ×3, first 2 shown]
	v_cmp_eq_u32_e64 s7, 7, v78
	s_waitcnt lgkmcnt(3)
	v_max3_f32 v85, v80, 0xff7fffff, v81
	s_waitcnt lgkmcnt(2)
	s_delay_alu instid0(VALU_DEP_1) | instskip(SKIP_1) | instid1(VALU_DEP_1)
	v_max3_f32 v85, v85, v82, v83
	s_waitcnt lgkmcnt(1)
	v_max3_f32 v85, v85, v103, v104
	s_waitcnt lgkmcnt(0)
	s_delay_alu instid0(VALU_DEP_1) | instskip(NEXT) | instid1(VALU_DEP_1)
	v_max3_f32 v85, v85, v105, v106
	v_sub_f32_e32 v103, v103, v85
	ds_load_2addr_b32 v[107:108], v84 offset0:136 offset1:153
	v_sub_f32_e32 v80, v80, v85
	v_dual_sub_f32 v110, v83, v85 :: v_dual_mul_f32 v113, 0x3fb8aa3b, v103
	s_delay_alu instid0(VALU_DEP_2) | instskip(SKIP_3) | instid1(VALU_DEP_1)
	v_dual_sub_f32 v86, v81, v85 :: v_dual_mul_f32 v109, 0x3fb8aa3b, v80
	ds_load_2addr_b32 v[80:81], v84 offset0:170 offset1:187
	v_mul_f32_e32 v86, 0x3fb8aa3b, v86
	v_exp_f32_e32 v109, v109
	v_exp_f32_e32 v112, v86
	v_mul_f32_e32 v110, 0x3fb8aa3b, v110
	s_waitcnt lgkmcnt(1)
	s_waitcnt_depctr 0xfff
	v_fma_f32 v86, v109, v107, 0
	v_sub_f32_e32 v107, v104, v85
	v_sub_f32_e32 v82, v82, v85
	v_exp_f32_e32 v110, v110
	ds_load_2addr_b32 v[103:104], v84 offset0:238 offset1:255
	v_dual_fmac_f32 v86, v112, v108 :: v_dual_mul_f32 v111, 0x3fb8aa3b, v82
	ds_load_2addr_b32 v[82:83], v84 offset0:204 offset1:221
	v_dual_sub_f32 v84, v105, v85 :: v_dual_mul_f32 v105, 0x3fb8aa3b, v107
	v_exp_f32_e32 v107, v113
	v_exp_f32_e32 v111, v111
	s_waitcnt lgkmcnt(0)
	s_delay_alu instid0(VALU_DEP_1)
	v_mul_f32_e32 v84, 0x3fb8aa3b, v84
	v_exp_f32_e32 v105, v105
	s_barrier
	buffer_gl0_inv
	v_fmac_f32_e32 v86, v111, v80
	v_sub_f32_e32 v80, v106, v85
	v_exp_f32_e32 v106, v84
	s_delay_alu instid0(VALU_DEP_2) | instskip(NEXT) | instid1(VALU_DEP_2)
	v_fmac_f32_e32 v86, v110, v81
	v_mul_f32_e32 v80, 0x3fb8aa3b, v80
	s_delay_alu instid0(VALU_DEP_2) | instskip(NEXT) | instid1(VALU_DEP_2)
	v_dual_cndmask_b32 v81, v109, v112 :: v_dual_fmac_f32 v86, v107, v82
	v_exp_f32_e32 v108, v80
	s_delay_alu instid0(VALU_DEP_1) | instskip(SKIP_2) | instid1(VALU_DEP_1)
	v_fmac_f32_e32 v86, v105, v83
	s_waitcnt_depctr 0xfff
	v_fmac_f32_e32 v86, v106, v103
	v_fmac_f32_e32 v86, v108, v104
	s_delay_alu instid0(VALU_DEP_1) | instskip(NEXT) | instid1(VALU_DEP_1)
	v_add_f32_e32 v103, 0x358637bd, v86
	v_div_scale_f32 v104, null, v103, v103, 1.0
	v_div_scale_f32 v109, vcc_lo, 1.0, v103, 1.0
	s_delay_alu instid0(VALU_DEP_2) | instskip(SKIP_2) | instid1(VALU_DEP_1)
	v_rcp_f32_e32 v113, v104
	s_waitcnt_depctr 0xfff
	v_fma_f32 v80, -v104, v113, 1.0
	v_fmac_f32_e32 v113, v80, v113
	v_cndmask_b32_e64 v80, v81, v111, s4
	v_cmp_eq_u32_e64 s4, 4, v78
	v_lshl_or_b32 v81, v78, 11, v79
	s_delay_alu instid0(VALU_DEP_4) | instskip(NEXT) | instid1(VALU_DEP_4)
	v_mul_f32_e32 v111, v109, v113
	v_cndmask_b32_e64 v82, v80, v110, s5
	v_cmp_eq_u32_e64 s5, 6, v78
	s_delay_alu instid0(VALU_DEP_4) | instskip(SKIP_3) | instid1(VALU_DEP_3)
	v_lshl_or_b32 v78, v75, 4, v81
	v_lshlrev_b32_e32 v80, 2, v75
	v_fma_f32 v83, -v104, v111, v109
	v_cndmask_b32_e64 v84, v82, v107, s4
	v_or_b32_e32 v82, 1, v80
	s_delay_alu instid0(VALU_DEP_3) | instskip(NEXT) | instid1(VALU_DEP_3)
	v_fmac_f32_e32 v111, v83, v113
	v_cndmask_b32_e64 v105, v84, v105, s6
	v_or_b32_e32 v84, 2, v80
	v_or_b32_e32 v83, 3, v80
	v_cmp_eq_u32_e64 s4, 1, v80
	v_fma_f32 v104, -v104, v111, v109
	v_cndmask_b32_e64 v105, v105, v106, s5
	v_cmp_eq_u32_e64 s10, 1, v82
	v_cmp_eq_u32_e64 s11, 1, v84
	;; [unrolled: 1-line block ×3, first 2 shown]
	v_div_fmas_f32 v104, v104, v113, v111
	v_cndmask_b32_e64 v105, v105, v108, s7
	v_cmp_eq_u32_e32 vcc_lo, 2, v80
	v_cmp_eq_u32_e64 s13, 2, v82
	v_cmp_eq_u32_e64 s16, 2, v84
	v_div_fixup_f32 v103, v104, v103, 1.0
	v_cmp_eq_u32_e64 s17, 2, v83
	v_cmp_eq_u32_e64 s19, 3, v83
	;; [unrolled: 1-line block ×4, first 2 shown]
	v_mul_f32_e32 v111, v105, v103
	v_cmp_eq_u32_e64 s18, 3, v84
	v_cmp_eq_u32_e64 s23, 4, v83
	;; [unrolled: 1-line block ×4, first 2 shown]
	v_fma_mixlo_f16 v103, v111, v88, 0
	v_fma_mixlo_f16 v104, v111, v90, 0
	;; [unrolled: 1-line block ×8, first 2 shown]
	v_fma_mixhi_f16 v103, v111, v87, 0
	v_fma_mixhi_f16 v104, v111, v89, 0
	;; [unrolled: 1-line block ×8, first 2 shown]
	ds_store_b128 v78, v[103:106]
	ds_store_b128 v78, v[107:110] offset:1024
	s_waitcnt lgkmcnt(0)
	s_barrier
	buffer_gl0_inv
	ds_load_b128 v[87:90], v81
	ds_load_b128 v[91:94], v81 offset:16
	ds_load_b128 v[95:98], v81 offset:1024
	;; [unrolled: 1-line block ×3, first 2 shown]
	v_cmp_eq_u32_e64 s22, 4, v84
	v_cmp_eq_u32_e64 s25, 5, v83
	;; [unrolled: 1-line block ×13, first 2 shown]
	s_waitcnt lgkmcnt(3)
	v_lshrrev_b32_e32 v103, 16, v87
	s_waitcnt lgkmcnt(2)
	v_lshrrev_b32_e32 v107, 16, v91
	;; [unrolled: 2-line block ×4, first 2 shown]
	v_lshrrev_b32_e32 v104, 16, v88
	v_cndmask_b32_e64 v119, v87, v103, s4
	v_cndmask_b32_e64 v120, v91, v107, s4
	;; [unrolled: 1-line block ×8, first 2 shown]
	v_lshrrev_b32_e32 v108, 16, v92
	v_cndmask_b32_e64 v103, v95, v111, s4
	v_cndmask_b32_e64 v107, v99, v115, s4
	v_cndmask_b32_e64 v125, v95, v111, s10
	v_cndmask_b32_e64 v127, v95, v111, s11
	v_cndmask_b32_e64 v95, v95, v111, s12
	v_cndmask_b32_e32 v111, v119, v88, vcc_lo
	v_cndmask_b32_e64 v119, v121, v88, s13
	v_cndmask_b32_e64 v121, v123, v88, s16
	;; [unrolled: 1-line block ×4, first 2 shown]
	v_lshrrev_b32_e32 v112, 16, v96
	v_lshrrev_b32_e32 v116, 16, v100
	v_cndmask_b32_e64 v126, v99, v115, s10
	v_cndmask_b32_e64 v128, v99, v115, s11
	;; [unrolled: 1-line block ×3, first 2 shown]
	v_cndmask_b32_e32 v115, v120, v92, vcc_lo
	v_cndmask_b32_e64 v120, v122, v92, s13
	v_cndmask_b32_e64 v122, v124, v92, s16
	v_cndmask_b32_e32 v91, v103, v96, vcc_lo
	v_cndmask_b32_e32 v92, v107, v100, vcc_lo
	v_cndmask_b32_e64 v103, v125, v96, s13
	v_cndmask_b32_e64 v87, v87, v104, s19
	;; [unrolled: 1-line block ×3, first 2 shown]
	v_lshrrev_b32_e32 v105, 16, v89
	v_lshrrev_b32_e32 v109, 16, v93
	v_cndmask_b32_e64 v107, v127, v96, s16
	v_cndmask_b32_e64 v95, v95, v96, s17
	v_cndmask_b32_e64 v96, v99, v100, s17
	v_cndmask_b32_e64 v99, v111, v104, s5
	v_cndmask_b32_e64 v111, v115, v108, s5
	v_cndmask_b32_e64 v115, v119, v104, s15
	v_cndmask_b32_e64 v119, v120, v108, s15
	v_cndmask_b32_e64 v120, v121, v104, s18
	v_cndmask_b32_e64 v121, v122, v108, s18
	v_cndmask_b32_e64 v91, v91, v112, s5
	v_cndmask_b32_e64 v92, v92, v116, s5
	v_cndmask_b32_e64 v103, v103, v112, s15
	v_cndmask_b32_e64 v87, v87, v89, s23
	v_cndmask_b32_e64 v88, v88, v93, s23
	v_lshrrev_b32_e32 v113, 16, v97
	v_cndmask_b32_e64 v99, v99, v89, s6
	v_cndmask_b32_e64 v104, v111, v93, s6
	;; [unrolled: 1-line block ×11, first 2 shown]
	v_lshrrev_b32_e32 v106, 16, v90
	v_lshrrev_b32_e32 v110, 16, v94
	v_cndmask_b32_e64 v93, v99, v105, s7
	v_cndmask_b32_e64 v99, v104, v109, s7
	;; [unrolled: 1-line block ×9, first 2 shown]
	v_lshrrev_b32_e32 v114, 16, v98
	v_cndmask_b32_e64 v89, v89, v113, s7
	v_cndmask_b32_e64 v93, v93, v90, s8
	;; [unrolled: 1-line block ×19, first 2 shown]
	v_perm_b32 v90, v88, v87, 0x5040100
	v_cndmask_b32_e64 v87, v126, v100, s13
	v_cndmask_b32_e64 v105, v89, v114, s9
	v_perm_b32 v89, v103, v99, 0x5040100
	v_perm_b32 v88, v104, v94, 0x5040100
	v_cndmask_b32_e64 v94, v107, v112, s18
	v_cndmask_b32_e64 v95, v95, v112, s19
	;; [unrolled: 1-line block ×5, first 2 shown]
	v_lshrrev_b32_e32 v117, 16, v101
	v_cndmask_b32_e64 v94, v94, v97, s22
	v_cndmask_b32_e64 v95, v95, v97, s23
	;; [unrolled: 1-line block ×11, first 2 shown]
	v_lshrrev_b32_e32 v118, 16, v102
	v_cndmask_b32_e64 v91, v91, v102, s8
	v_cndmask_b32_e64 v94, v94, v98, s27
	;; [unrolled: 1-line block ×12, first 2 shown]
	v_perm_b32 v87, v93, v92, 0x5040100
	v_perm_b32 v94, v95, v94, 0x5040100
	;; [unrolled: 1-line block ×5, first 2 shown]
	s_mul_i32 s8, s35, 15
	s_mov_b32 s4, exec_lo
	ds_store_b128 v78, v[87:90]
	ds_store_b128 v78, v[91:94] offset:1024
	v_cmpx_gt_u32_e32 15, v0
	s_cbranch_execz .LBB148_16
; %bb.15:
	s_mul_i32 s5, s8, s34
	s_load_b128 s[16:19], s[0:1], 0x58
	v_add3_u32 v77, s5, s33, v77
	s_delay_alu instid0(VALU_DEP_1) | instskip(NEXT) | instid1(VALU_DEP_1)
	v_mad_u64_u32 v[87:88], null, v77, s36, s[14:15]
	v_ashrrev_i32_e32 v88, 31, v87
	s_delay_alu instid0(VALU_DEP_1) | instskip(SKIP_1) | instid1(VALU_DEP_1)
	v_lshlrev_b64 v[87:88], 2, v[87:88]
	s_waitcnt lgkmcnt(0)
	v_add_co_u32 v89, vcc_lo, s18, v87
	s_delay_alu instid0(VALU_DEP_2)
	v_add_co_ci_u32_e32 v90, vcc_lo, s19, v88, vcc_lo
	v_add_co_u32 v87, vcc_lo, s16, v87
	v_add_co_ci_u32_e32 v88, vcc_lo, s17, v88, vcc_lo
	global_store_b32 v[89:90], v85, off
	global_store_b32 v[87:88], v86, off
.LBB148_16:
	s_or_b32 exec_lo, exec_lo, s4
	s_waitcnt lgkmcnt(0)
	s_waitcnt_vscnt null, 0x0
	s_barrier
	buffer_gl0_inv
	ds_load_b128 v[93:96], v79
	ds_load_b128 v[97:100], v79 offset:16
	ds_load_b128 v[105:108], v79 offset:1040
	;; [unrolled: 1-line block ×5, first 2 shown]
	v_cmp_eq_u32_e32 vcc_lo, 1, v84
	v_mov_b32_e32 v85, 0
	ds_load_b128 v[121:124], v79 offset:3088
	ds_load_b128 v[117:120], v79 offset:3072
	ds_load_b128 v[129:132], v79 offset:4112
	ds_load_b128 v[125:128], v79 offset:4096
	v_cmp_eq_u32_e64 s4, 1, v80
	v_cmp_eq_u32_e64 s5, 1, v83
	;; [unrolled: 1-line block ×3, first 2 shown]
	v_mov_b32_e32 v86, v85
	v_mov_b32_e32 v87, v85
	;; [unrolled: 1-line block ×7, first 2 shown]
	v_cmp_eq_u32_e64 s7, 2, v80
	s_waitcnt lgkmcnt(8)
	s_delay_alu instid0(VALU_DEP_2)
	v_wmma_f32_16x16x16_f16 v[85:92], v[65:72], v[93:100], v[85:92]
	ds_load_b128 v[69:72], v79 offset:5136
	ds_load_b128 v[65:68], v79 offset:5120
	;; [unrolled: 1-line block ×4, first 2 shown]
	s_waitcnt lgkmcnt(10)
	v_wmma_f32_16x16x16_f16 v[85:92], v[57:64], v[101:108], v[85:92]
	s_waitcnt lgkmcnt(8)
	s_delay_alu instid0(VALU_DEP_1)
	v_wmma_f32_16x16x16_f16 v[85:92], v[57:64], v[109:116], v[85:92]
	ds_load_b128 v[61:64], v79 offset:7184
	ds_load_b128 v[57:60], v79 offset:7168
	;; [unrolled: 1-line block ×4, first 2 shown]
	s_waitcnt lgkmcnt(10)
	v_wmma_f32_16x16x16_f16 v[85:92], v[49:56], v[117:124], v[85:92]
	s_waitcnt lgkmcnt(8)
	s_delay_alu instid0(VALU_DEP_1)
	v_wmma_f32_16x16x16_f16 v[85:92], v[49:56], v[125:132], v[85:92]
	ds_load_b128 v[53:56], v79 offset:9232
	ds_load_b128 v[49:52], v79 offset:9216
	s_waitcnt lgkmcnt(8)
	v_wmma_f32_16x16x16_f16 v[85:92], v[41:48], v[65:72], v[85:92]
	ds_load_b128 v[69:72], v79 offset:10256
	ds_load_b128 v[65:68], v79 offset:10240
	s_waitcnt lgkmcnt(8)
	;; [unrolled: 4-line block ×7, first 2 shown]
	s_barrier
	buffer_gl0_inv
	v_wmma_f32_16x16x16_f16 v[85:92], v[33:40], v[41:48], v[85:92]
	s_delay_alu instid0(VALU_DEP_1) | instskip(NEXT) | instid1(VALU_DEP_1)
	v_wmma_f32_16x16x16_f16 v[85:92], v[33:40], v[57:64], v[85:92]
	v_wmma_f32_16x16x16_f16 v[85:92], v[25:32], v[9:16], v[85:92]
	s_delay_alu instid0(VALU_DEP_1) | instskip(NEXT) | instid1(VALU_DEP_1)
	v_wmma_f32_16x16x16_f16 v[85:92], v[25:32], v[49:56], v[85:92]
	v_wmma_f32_16x16x16_f16 v[85:92], v[17:24], v[1:8], v[85:92]
	s_delay_alu instid0(VALU_DEP_1) | instskip(NEXT) | instid1(VALU_DEP_2)
	v_cvt_f16_f32_e32 v1, v85
	v_cvt_f16_f32_e32 v2, v86
	s_delay_alu instid0(VALU_DEP_3) | instskip(NEXT) | instid1(VALU_DEP_4)
	v_cvt_f16_f32_e32 v3, v87
	v_cvt_f16_f32_e32 v4, v88
	;; [unrolled: 1-line block ×6, first 2 shown]
	v_pack_b32_f16 v1, v1, v2
	v_pack_b32_f16 v2, v3, v4
	;; [unrolled: 1-line block ×3, first 2 shown]
	s_delay_alu instid0(VALU_DEP_4)
	v_pack_b32_f16 v4, v7, v8
	ds_store_b128 v78, v[1:4]
	s_waitcnt lgkmcnt(0)
	s_barrier
	buffer_gl0_inv
	ds_load_b128 v[1:4], v81
	ds_load_b128 v[5:8], v81 offset:16
	s_waitcnt lgkmcnt(1)
	v_lshrrev_b32_e32 v9, 16, v1
	s_waitcnt lgkmcnt(0)
	v_lshrrev_b32_e32 v13, 16, v5
	v_lshrrev_b32_e32 v15, 16, v7
	;; [unrolled: 1-line block ×4, first 2 shown]
	v_cndmask_b32_e64 v17, v1, v9, s4
	v_cndmask_b32_e64 v18, v5, v13, s4
	;; [unrolled: 1-line block ×3, first 2 shown]
	v_cmp_eq_u32_e64 s4, 2, v82
	v_cndmask_b32_e64 v20, v5, v13, s6
	v_cndmask_b32_e32 v21, v1, v9, vcc_lo
	v_cndmask_b32_e32 v22, v5, v13, vcc_lo
	v_cndmask_b32_e64 v1, v1, v9, s5
	v_cndmask_b32_e64 v5, v5, v13, s5
	v_cmp_eq_u32_e32 vcc_lo, 2, v84
	v_cmp_eq_u32_e64 s5, 2, v83
	v_cndmask_b32_e64 v9, v17, v2, s7
	v_cndmask_b32_e64 v13, v18, v6, s7
	v_cndmask_b32_e64 v17, v19, v2, s4
	v_cndmask_b32_e64 v18, v20, v6, s4
	v_cndmask_b32_e32 v19, v21, v2, vcc_lo
	v_cmp_eq_u32_e64 s4, 3, v84
	v_cndmask_b32_e32 v20, v22, v6, vcc_lo
	v_cndmask_b32_e64 v1, v1, v2, s5
	v_cmp_eq_u32_e32 vcc_lo, 3, v83
	v_cmp_eq_u32_e64 s6, 3, v80
	v_cndmask_b32_e64 v2, v5, v6, s5
	v_cmp_eq_u32_e64 s5, 3, v82
	v_lshrrev_b32_e32 v16, 16, v8
	v_cmp_eq_u32_e64 s7, 4, v80
	v_cndmask_b32_e64 v5, v9, v10, s6
	v_cndmask_b32_e64 v6, v13, v14, s6
	;; [unrolled: 1-line block ×3, first 2 shown]
	v_cmp_eq_u32_e64 s6, 4, v82
	v_cndmask_b32_e64 v13, v18, v14, s5
	v_cndmask_b32_e64 v17, v19, v10, s4
	;; [unrolled: 1-line block ×3, first 2 shown]
	v_cndmask_b32_e32 v1, v1, v10, vcc_lo
	v_cndmask_b32_e32 v2, v2, v14, vcc_lo
	v_cmp_eq_u32_e32 vcc_lo, 4, v84
	v_cmp_eq_u32_e64 s5, 4, v83
	v_lshrrev_b32_e32 v11, 16, v3
	v_cndmask_b32_e64 v5, v5, v3, s7
	v_cndmask_b32_e64 v6, v6, v7, s7
	;; [unrolled: 1-line block ×4, first 2 shown]
	v_cndmask_b32_e32 v13, v17, v3, vcc_lo
	v_cmp_eq_u32_e64 s4, 5, v84
	v_cndmask_b32_e32 v14, v18, v7, vcc_lo
	v_cndmask_b32_e64 v1, v1, v3, s5
	v_cmp_eq_u32_e32 vcc_lo, 5, v83
	v_cmp_eq_u32_e64 s6, 5, v80
	v_cndmask_b32_e64 v2, v2, v7, s5
	v_cmp_eq_u32_e64 s5, 5, v82
	v_cmp_eq_u32_e64 s7, 6, v80
	v_cndmask_b32_e32 v1, v1, v11, vcc_lo
	v_cndmask_b32_e64 v3, v5, v11, s6
	v_cndmask_b32_e64 v5, v6, v15, s6
	;; [unrolled: 1-line block ×3, first 2 shown]
	v_cmp_eq_u32_e64 s6, 6, v82
	v_cndmask_b32_e64 v7, v10, v15, s5
	v_cndmask_b32_e64 v9, v13, v11, s4
	;; [unrolled: 1-line block ×3, first 2 shown]
	v_cndmask_b32_e32 v2, v2, v15, vcc_lo
	v_cmp_eq_u32_e32 vcc_lo, 6, v84
	v_cmp_eq_u32_e64 s4, 6, v83
	v_lshrrev_b32_e32 v12, 16, v4
	v_cndmask_b32_e64 v3, v3, v4, s7
	v_cndmask_b32_e64 v5, v5, v8, s7
	;; [unrolled: 1-line block ×4, first 2 shown]
	v_cndmask_b32_e32 v9, v9, v4, vcc_lo
	v_cmp_eq_u32_e64 s5, 7, v84
	v_cndmask_b32_e32 v10, v10, v8, vcc_lo
	v_cndmask_b32_e64 v1, v1, v4, s4
	v_cmp_eq_u32_e32 vcc_lo, 7, v83
	v_cndmask_b32_e64 v2, v2, v8, s4
	v_cmp_eq_u32_e64 s4, 7, v80
	v_cmp_eq_u32_e64 s6, 7, v82
	v_cndmask_b32_e32 v1, v1, v12, vcc_lo
	s_delay_alu instid0(VALU_DEP_4) | instskip(NEXT) | instid1(VALU_DEP_4)
	v_cndmask_b32_e32 v2, v2, v16, vcc_lo
	v_cndmask_b32_e64 v8, v3, v12, s4
	s_delay_alu instid0(VALU_DEP_4)
	v_cndmask_b32_e64 v6, v6, v12, s6
	v_cndmask_b32_e64 v3, v9, v12, s5
	;; [unrolled: 1-line block ×5, first 2 shown]
	v_cmp_gt_u32_e32 vcc_lo, 32, v0
	v_perm_b32 v4, v2, v1, 0x5040100
	v_perm_b32 v3, v9, v3, 0x5040100
	;; [unrolled: 1-line block ×4, first 2 shown]
	s_and_b32 s2, vcc_lo, s2
	ds_store_b128 v78, v[1:4]
	s_waitcnt lgkmcnt(0)
	s_barrier
	buffer_gl0_inv
	s_and_saveexec_b32 s4, s2
	s_cbranch_execz .LBB148_2
; %bb.17:
	s_load_b64 s[4:5], s[0:1], 0x68
	v_add_nc_u32_e32 v20, s33, v75
	v_lshlrev_b32_e32 v0, 10, v0
	v_lshlrev_b32_e32 v1, 4, v76
	s_lshl_b32 s0, s36, 6
	s_delay_alu instid0(SALU_CYCLE_1)
	s_mul_i32 s1, s0, s34
	v_add_nc_u32_e32 v2, 2, v20
	s_mul_i32 s6, s1, s8
	v_and_or_b32 v0, 0x3800, v0, v1
	v_mul_lo_u32 v1, v20, s0
	s_ashr_i32 s7, s6, 31
	v_mul_lo_u32 v11, v2, s0
	s_lshl_b64 s[6:7], s[6:7], 1
	v_add_nc_u32_e32 v3, 4, v20
	v_lshl_or_b32 v21, v75, 6, v0
	v_add_nc_u32_e32 v16, 6, v20
	v_ashrrev_i32_e32 v2, 31, v1
	s_delay_alu instid0(VALU_DEP_4)
	v_mul_lo_u32 v13, v3, s0
	s_waitcnt lgkmcnt(0)
	s_add_u32 s1, s4, s6
	s_addc_u32 s2, s5, s7
	s_lshl_b32 s4, s14, 6
	ds_load_b128 v[3:6], v21
	ds_load_b128 v[7:10], v21 offset:128
	s_ashr_i32 s5, s4, 31
	v_ashrrev_i32_e32 v12, 31, v11
	s_lshl_b64 s[4:5], s[4:5], 1
	v_lshlrev_b64 v[14:15], 1, v[1:2]
	s_add_u32 s1, s1, s4
	s_addc_u32 s2, s2, s5
	v_add_co_u32 v1, vcc_lo, s1, v73
	v_add_co_ci_u32_e32 v2, vcc_lo, s2, v74, vcc_lo
	v_lshlrev_b64 v[11:12], 1, v[11:12]
	s_delay_alu instid0(VALU_DEP_3) | instskip(SKIP_1) | instid1(VALU_DEP_4)
	v_add_co_u32 v18, vcc_lo, v1, v14
	v_mul_lo_u32 v16, v16, s0
	v_add_co_ci_u32_e32 v19, vcc_lo, v2, v15, vcc_lo
	s_delay_alu instid0(VALU_DEP_4)
	v_add_co_u32 v11, vcc_lo, v1, v11
	v_ashrrev_i32_e32 v14, 31, v13
	v_add_co_ci_u32_e32 v12, vcc_lo, v2, v12, vcc_lo
	v_add_nc_u32_e32 v15, 8, v20
	v_ashrrev_i32_e32 v17, 31, v16
	s_waitcnt lgkmcnt(1)
	global_store_b128 v[18:19], v[3:6], off
	v_lshlrev_b64 v[3:4], 1, v[13:14]
	s_waitcnt lgkmcnt(0)
	global_store_b128 v[11:12], v[7:10], off
	v_mul_lo_u32 v11, v15, s0
	v_add_nc_u32_e32 v7, 10, v20
	v_lshlrev_b64 v[5:6], 1, v[16:17]
	v_add_co_u32 v23, vcc_lo, v1, v3
	v_add_nc_u32_e32 v3, 12, v20
	s_delay_alu instid0(VALU_DEP_4)
	v_mul_lo_u32 v25, v7, s0
	v_ashrrev_i32_e32 v12, 31, v11
	v_add_co_ci_u32_e32 v24, vcc_lo, v2, v4, vcc_lo
	v_add_co_u32 v27, vcc_lo, v1, v5
	v_mul_lo_u32 v29, v3, s0
	v_add_co_ci_u32_e32 v28, vcc_lo, v2, v6, vcc_lo
	ds_load_b128 v[3:6], v21 offset:256
	ds_load_b128 v[7:10], v21 offset:384
	v_lshlrev_b64 v[31:32], 1, v[11:12]
	ds_load_b128 v[11:14], v21 offset:512
	ds_load_b128 v[15:18], v21 offset:640
	;; [unrolled: 1-line block ×3, first 2 shown]
	v_ashrrev_i32_e32 v26, 31, v25
	v_ashrrev_i32_e32 v30, 31, v29
	v_add_co_u32 v31, vcc_lo, v1, v31
	s_delay_alu instid0(VALU_DEP_3) | instskip(NEXT) | instid1(VALU_DEP_3)
	v_lshlrev_b64 v[25:26], 1, v[25:26]
	v_lshlrev_b64 v[29:30], 1, v[29:30]
	v_add_co_ci_u32_e32 v32, vcc_lo, v2, v32, vcc_lo
	s_delay_alu instid0(VALU_DEP_3) | instskip(NEXT) | instid1(VALU_DEP_4)
	v_add_co_u32 v25, vcc_lo, v1, v25
	v_add_co_ci_u32_e32 v26, vcc_lo, v2, v26, vcc_lo
	s_delay_alu instid0(VALU_DEP_4)
	v_add_co_u32 v29, vcc_lo, v1, v29
	v_add_co_ci_u32_e32 v30, vcc_lo, v2, v30, vcc_lo
	s_waitcnt lgkmcnt(4)
	global_store_b128 v[23:24], v[3:6], off
	s_waitcnt lgkmcnt(3)
	global_store_b128 v[27:28], v[7:10], off
	;; [unrolled: 2-line block ×5, first 2 shown]
	s_and_b32 exec_lo, exec_lo, s3
	s_cbranch_execz .LBB148_2
; %bb.18:
	ds_load_b128 v[3:6], v0 offset:896
	s_add_i32 s1, s33, 14
	s_delay_alu instid0(SALU_CYCLE_1) | instskip(NEXT) | instid1(SALU_CYCLE_1)
	s_mul_i32 s0, s1, s0
	s_ashr_i32 s1, s0, 31
	s_delay_alu instid0(SALU_CYCLE_1) | instskip(NEXT) | instid1(SALU_CYCLE_1)
	s_lshl_b64 s[0:1], s[0:1], 1
	v_add_co_u32 v0, vcc_lo, v1, s0
	v_add_co_ci_u32_e32 v1, vcc_lo, s1, v2, vcc_lo
	s_waitcnt lgkmcnt(0)
	global_store_b128 v[0:1], v[3:6], off
	s_nop 0
	s_sendmsg sendmsg(MSG_DEALLOC_VGPRS)
	s_endpgm
	.section	.rodata,"a",@progbits
	.p2align	6, 0x0
	.amdhsa_kernel _Z39paged_attention_ll4mi_QKV_mfma16_kernelIDF16_DF16_LN4vllm18Fp8KVCacheDataTypeE0EhLi32ELi64ELi256ELb0ELi15EL8MFMAType0EEvPKT_PKT0_S8_ifPKiSA_SA_iPKfiiiPfSD_PS3_PT2_iSC_SC_
		.amdhsa_group_segment_fixed_size 17472
		.amdhsa_private_segment_fixed_size 0
		.amdhsa_kernarg_size 400
		.amdhsa_user_sgpr_count 13
		.amdhsa_user_sgpr_dispatch_ptr 0
		.amdhsa_user_sgpr_queue_ptr 0
		.amdhsa_user_sgpr_kernarg_segment_ptr 1
		.amdhsa_user_sgpr_dispatch_id 0
		.amdhsa_user_sgpr_private_segment_size 0
		.amdhsa_wavefront_size32 1
		.amdhsa_uses_dynamic_stack 0
		.amdhsa_enable_private_segment 0
		.amdhsa_system_sgpr_workgroup_id_x 1
		.amdhsa_system_sgpr_workgroup_id_y 1
		.amdhsa_system_sgpr_workgroup_id_z 1
		.amdhsa_system_sgpr_workgroup_info 0
		.amdhsa_system_vgpr_workitem_id 0
		.amdhsa_next_free_vgpr 154
		.amdhsa_next_free_sgpr 39
		.amdhsa_reserve_vcc 1
		.amdhsa_float_round_mode_32 0
		.amdhsa_float_round_mode_16_64 0
		.amdhsa_float_denorm_mode_32 3
		.amdhsa_float_denorm_mode_16_64 3
		.amdhsa_dx10_clamp 1
		.amdhsa_ieee_mode 1
		.amdhsa_fp16_overflow 0
		.amdhsa_workgroup_processor_mode 1
		.amdhsa_memory_ordered 1
		.amdhsa_forward_progress 0
		.amdhsa_shared_vgpr_count 0
		.amdhsa_exception_fp_ieee_invalid_op 0
		.amdhsa_exception_fp_denorm_src 0
		.amdhsa_exception_fp_ieee_div_zero 0
		.amdhsa_exception_fp_ieee_overflow 0
		.amdhsa_exception_fp_ieee_underflow 0
		.amdhsa_exception_fp_ieee_inexact 0
		.amdhsa_exception_int_div_zero 0
	.end_amdhsa_kernel
	.section	.text._Z39paged_attention_ll4mi_QKV_mfma16_kernelIDF16_DF16_LN4vllm18Fp8KVCacheDataTypeE0EhLi32ELi64ELi256ELb0ELi15EL8MFMAType0EEvPKT_PKT0_S8_ifPKiSA_SA_iPKfiiiPfSD_PS3_PT2_iSC_SC_,"axG",@progbits,_Z39paged_attention_ll4mi_QKV_mfma16_kernelIDF16_DF16_LN4vllm18Fp8KVCacheDataTypeE0EhLi32ELi64ELi256ELb0ELi15EL8MFMAType0EEvPKT_PKT0_S8_ifPKiSA_SA_iPKfiiiPfSD_PS3_PT2_iSC_SC_,comdat
.Lfunc_end148:
	.size	_Z39paged_attention_ll4mi_QKV_mfma16_kernelIDF16_DF16_LN4vllm18Fp8KVCacheDataTypeE0EhLi32ELi64ELi256ELb0ELi15EL8MFMAType0EEvPKT_PKT0_S8_ifPKiSA_SA_iPKfiiiPfSD_PS3_PT2_iSC_SC_, .Lfunc_end148-_Z39paged_attention_ll4mi_QKV_mfma16_kernelIDF16_DF16_LN4vllm18Fp8KVCacheDataTypeE0EhLi32ELi64ELi256ELb0ELi15EL8MFMAType0EEvPKT_PKT0_S8_ifPKiSA_SA_iPKfiiiPfSD_PS3_PT2_iSC_SC_
                                        ; -- End function
	.section	.AMDGPU.csdata,"",@progbits
; Kernel info:
; codeLenInByte = 7496
; NumSgprs: 41
; NumVgprs: 154
; ScratchSize: 0
; MemoryBound: 0
; FloatMode: 240
; IeeeMode: 1
; LDSByteSize: 17472 bytes/workgroup (compile time only)
; SGPRBlocks: 5
; VGPRBlocks: 19
; NumSGPRsForWavesPerEU: 41
; NumVGPRsForWavesPerEU: 154
; Occupancy: 9
; WaveLimiterHint : 1
; COMPUTE_PGM_RSRC2:SCRATCH_EN: 0
; COMPUTE_PGM_RSRC2:USER_SGPR: 13
; COMPUTE_PGM_RSRC2:TRAP_HANDLER: 0
; COMPUTE_PGM_RSRC2:TGID_X_EN: 1
; COMPUTE_PGM_RSRC2:TGID_Y_EN: 1
; COMPUTE_PGM_RSRC2:TGID_Z_EN: 1
; COMPUTE_PGM_RSRC2:TIDIG_COMP_CNT: 0
	.section	.text._Z39paged_attention_ll4mi_QKV_mfma16_kernelIDF16_DF16_LN4vllm18Fp8KVCacheDataTypeE0EhLi32ELi64ELi256ELb0ELi16EL8MFMAType0EEvPKT_PKT0_S8_ifPKiSA_SA_iPKfiiiPfSD_PS3_PT2_iSC_SC_,"axG",@progbits,_Z39paged_attention_ll4mi_QKV_mfma16_kernelIDF16_DF16_LN4vllm18Fp8KVCacheDataTypeE0EhLi32ELi64ELi256ELb0ELi16EL8MFMAType0EEvPKT_PKT0_S8_ifPKiSA_SA_iPKfiiiPfSD_PS3_PT2_iSC_SC_,comdat
	.protected	_Z39paged_attention_ll4mi_QKV_mfma16_kernelIDF16_DF16_LN4vllm18Fp8KVCacheDataTypeE0EhLi32ELi64ELi256ELb0ELi16EL8MFMAType0EEvPKT_PKT0_S8_ifPKiSA_SA_iPKfiiiPfSD_PS3_PT2_iSC_SC_ ; -- Begin function _Z39paged_attention_ll4mi_QKV_mfma16_kernelIDF16_DF16_LN4vllm18Fp8KVCacheDataTypeE0EhLi32ELi64ELi256ELb0ELi16EL8MFMAType0EEvPKT_PKT0_S8_ifPKiSA_SA_iPKfiiiPfSD_PS3_PT2_iSC_SC_
	.globl	_Z39paged_attention_ll4mi_QKV_mfma16_kernelIDF16_DF16_LN4vllm18Fp8KVCacheDataTypeE0EhLi32ELi64ELi256ELb0ELi16EL8MFMAType0EEvPKT_PKT0_S8_ifPKiSA_SA_iPKfiiiPfSD_PS3_PT2_iSC_SC_
	.p2align	8
	.type	_Z39paged_attention_ll4mi_QKV_mfma16_kernelIDF16_DF16_LN4vllm18Fp8KVCacheDataTypeE0EhLi32ELi64ELi256ELb0ELi16EL8MFMAType0EEvPKT_PKT0_S8_ifPKiSA_SA_iPKfiiiPfSD_PS3_PT2_iSC_SC_,@function
_Z39paged_attention_ll4mi_QKV_mfma16_kernelIDF16_DF16_LN4vllm18Fp8KVCacheDataTypeE0EhLi32ELi64ELi256ELb0ELi16EL8MFMAType0EEvPKT_PKT0_S8_ifPKiSA_SA_iPKfiiiPfSD_PS3_PT2_iSC_SC_: ; @_Z39paged_attention_ll4mi_QKV_mfma16_kernelIDF16_DF16_LN4vllm18Fp8KVCacheDataTypeE0EhLi32ELi64ELi256ELb0ELi16EL8MFMAType0EEvPKT_PKT0_S8_ifPKiSA_SA_iPKfiiiPfSD_PS3_PT2_iSC_SC_
; %bb.0:
	s_load_b64 s[2:3], s[0:1], 0x30
	s_mov_b32 s34, s13
	s_waitcnt lgkmcnt(0)
	s_cmp_lg_u64 s[2:3], 0
	s_cselect_b32 s6, -1, 0
	s_ashr_i32 s35, s13, 31
	s_cmp_eq_u64 s[2:3], 0
	s_cbranch_scc1 .LBB149_3
; %bb.1:
	s_lshl_b64 s[4:5], s[34:35], 2
	s_delay_alu instid0(SALU_CYCLE_1) | instskip(SKIP_4) | instid1(SALU_CYCLE_1)
	s_add_u32 s4, s2, s4
	s_addc_u32 s5, s3, s5
	s_load_b64 s[4:5], s[4:5], 0x0
	s_waitcnt lgkmcnt(0)
	s_sub_i32 s4, s5, s4
	s_cmp_eq_u32 s4, 1
	s_cselect_b32 s4, -1, 0
	s_delay_alu instid0(SALU_CYCLE_1)
	s_and_not1_b32 vcc_lo, exec_lo, s4
	s_cbranch_vccz .LBB149_4
.LBB149_2:
	s_endpgm
.LBB149_3:
.LBB149_4:
	s_load_b64 s[8:9], s[0:1], 0x28
	s_lshl_b64 s[4:5], s[34:35], 2
	s_waitcnt lgkmcnt(0)
	s_add_u32 s8, s8, s4
	s_addc_u32 s9, s9, s5
	s_lshl_b32 s16, s14, 8
	s_load_b32 s18, s[8:9], 0x0
	s_waitcnt lgkmcnt(0)
	s_cmp_ge_i32 s16, s18
	s_cbranch_scc1 .LBB149_2
; %bb.5:
	s_and_not1_b32 vcc_lo, exec_lo, s6
	s_cbranch_vccnz .LBB149_7
; %bb.6:
	s_add_u32 s2, s2, s4
	s_addc_u32 s3, s3, s5
	s_load_b32 s17, s[2:3], 0x0
	s_branch .LBB149_8
.LBB149_7:
	s_mov_b32 s17, s34
.LBB149_8:
	s_clause 0x2
	s_load_b128 s[8:11], s[0:1], 0x8
	s_load_b64 s[12:13], s[0:1], 0x20
	s_load_b128 s[4:7], s[0:1], 0x48
	v_and_b32_e32 v79, 15, v0
	v_cmp_lt_u32_e32 vcc_lo, 0xff, v0
	s_delay_alu instid0(VALU_DEP_2) | instskip(SKIP_2) | instid1(VALU_DEP_3)
	v_cmp_lt_u32_e64 s3, 7, v79
	v_lshlrev_b32_e32 v1, 3, v79
	v_cmp_gt_u32_e64 s2, 8, v79
	s_or_b32 s3, vcc_lo, s3
	s_waitcnt lgkmcnt(0)
	s_and_saveexec_b32 s7, s3
	s_delay_alu instid0(SALU_CYCLE_1)
	s_xor_b32 s3, exec_lo, s7
; %bb.9:
	v_mov_b32_e32 v2, 0
; %bb.10:
	s_or_saveexec_b32 s3, s3
	v_lshrrev_b32_e32 v78, 5, v0
	v_and_b32_e32 v80, 31, v0
	v_and_b32_e32 v76, 1, v0
	v_bfe_u32 v75, v0, 4, 1
	s_lshl_b32 s31, s15, 4
	s_xor_b32 exec_lo, exec_lo, s3
	s_cbranch_execz .LBB149_12
; %bb.11:
	s_delay_alu instid0(VALU_DEP_1)
	v_lshl_or_b32 v7, v78, 1, v75
	s_load_b64 s[20:21], s[0:1], 0x0
	s_mul_hi_i32 s23, s17, s4
	s_mul_i32 s22, s17, s4
	v_lshlrev_b32_e32 v4, 1, v1
	v_or_b32_e32 v2, s31, v7
	s_lshl_b64 s[22:23], s[22:23], 1
	v_lshlrev_b32_e32 v7, 6, v7
	v_lshlrev_b32_e32 v8, 10, v76
	s_delay_alu instid0(VALU_DEP_3) | instskip(NEXT) | instid1(VALU_DEP_1)
	v_lshlrev_b32_e32 v2, 6, v2
	v_ashrrev_i32_e32 v3, 31, v2
	s_delay_alu instid0(VALU_DEP_1) | instskip(SKIP_3) | instid1(VALU_DEP_1)
	v_lshlrev_b64 v[2:3], 1, v[2:3]
	s_waitcnt lgkmcnt(0)
	s_add_u32 s4, s20, s22
	s_addc_u32 s7, s21, s23
	v_add_co_u32 v2, vcc_lo, s4, v2
	s_delay_alu instid0(VALU_DEP_2) | instskip(NEXT) | instid1(VALU_DEP_2)
	v_add_co_ci_u32_e32 v3, vcc_lo, s7, v3, vcc_lo
	v_add_co_u32 v2, vcc_lo, v2, v4
	s_delay_alu instid0(VALU_DEP_2) | instskip(SKIP_2) | instid1(VALU_DEP_1)
	v_add_co_ci_u32_e32 v3, vcc_lo, 0, v3, vcc_lo
	global_load_b128 v[3:6], v[2:3], off
	v_lshlrev_b32_e32 v2, 10, v79
	v_and_b32_e32 v2, 0x3800, v2
	s_delay_alu instid0(VALU_DEP_1)
	v_or3_b32 v7, v2, v8, v7
	v_mov_b32_e32 v2, 0
	s_waitcnt vmcnt(0)
	ds_store_b128 v7, v[3:6]
.LBB149_12:
	s_or_b32 exec_lo, exec_lo, s3
	v_and_b32_e32 v3, 0xef, v0
	s_add_i32 s3, s18, 31
	s_clause 0x1
	s_load_b32 s4, s[0:1], 0x38
	s_load_b32 s33, s[0:1], 0x98
	s_ashr_i32 s7, s3, 31
	v_add_nc_u32_e32 v3, s16, v3
	s_lshr_b32 s7, s7, 27
	s_load_b32 s19, s[0:1], 0x1c
	s_add_i32 s3, s3, s7
	s_waitcnt lgkmcnt(0)
	v_ashrrev_i32_e32 v4, 31, v3
	v_cmp_gt_i32_e32 vcc_lo, s18, v3
	s_ashr_i32 s3, s3, 5
	s_barrier
	s_add_i32 s3, s3, -1
	v_lshrrev_b32_e32 v5, 27, v4
	v_or_b32_e32 v4, 16, v3
	buffer_gl0_inv
	s_mul_i32 s6, s15, s6
	v_lshlrev_b64 v[73:74], 1, v[1:2]
	v_add_nc_u32_e32 v6, v3, v5
	v_add_nc_u32_e32 v5, v4, v5
	s_mul_i32 s20, s34, s4
	s_delay_alu instid0(SALU_CYCLE_1) | instskip(NEXT) | instid1(VALU_DEP_2)
	s_ashr_i32 s21, s20, 31
	v_ashrrev_i32_e32 v6, 5, v6
	s_delay_alu instid0(VALU_DEP_2) | instskip(SKIP_1) | instid1(SALU_CYCLE_1)
	v_ashrrev_i32_e32 v5, 5, v5
	s_lshl_b64 s[20:21], s[20:21], 2
	s_add_u32 s4, s12, s20
	s_delay_alu instid0(VALU_DEP_2) | instskip(SKIP_3) | instid1(SALU_CYCLE_1)
	v_cndmask_b32_e32 v3, s3, v6, vcc_lo
	v_cmp_gt_i32_e32 vcc_lo, s18, v4
	s_addc_u32 s17, s13, s21
	s_ashr_i32 s7, s6, 31
	s_lshl_b64 s[6:7], s[6:7], 1
	v_cndmask_b32_e32 v5, s3, v5, vcc_lo
	v_ashrrev_i32_e32 v4, 31, v3
	s_add_u32 s15, s8, s6
	s_addc_u32 s28, s9, s7
	s_lshl_b32 s8, s14, 3
	v_ashrrev_i32_e32 v6, 31, v5
	v_lshlrev_b64 v[3:4], 2, v[3:4]
	s_ashr_i32 s9, s8, 31
	s_delay_alu instid0(SALU_CYCLE_1) | instskip(NEXT) | instid1(VALU_DEP_2)
	s_lshl_b64 s[8:9], s[8:9], 2
	v_lshlrev_b64 v[5:6], 2, v[5:6]
	s_add_u32 s8, s4, s8
	s_delay_alu instid0(VALU_DEP_2) | instskip(SKIP_1) | instid1(VALU_DEP_3)
	v_add_co_u32 v3, vcc_lo, s4, v3
	v_add_co_ci_u32_e32 v4, vcc_lo, s17, v4, vcc_lo
	v_add_co_u32 v5, vcc_lo, s4, v5
	s_delay_alu instid0(VALU_DEP_4)
	v_add_co_ci_u32_e32 v6, vcc_lo, s17, v6, vcc_lo
	s_addc_u32 s9, s17, s9
	s_clause 0x1
	global_load_b32 v7, v[3:4], off
	global_load_b32 v8, v[5:6], off
	s_or_b32 s12, s16, 32
	s_delay_alu instid0(SALU_CYCLE_1) | instskip(SKIP_2) | instid1(SALU_CYCLE_1)
	s_ashr_i32 s13, s12, 5
	s_cmp_lt_i32 s12, s18
	s_cselect_b32 s12, s13, s3
	s_ashr_i32 s13, s12, 31
	s_delay_alu instid0(SALU_CYCLE_1) | instskip(NEXT) | instid1(SALU_CYCLE_1)
	s_lshl_b64 s[12:13], s[12:13], 2
	s_add_u32 s12, s4, s12
	s_addc_u32 s13, s17, s13
	s_or_b32 s20, s16, 64
	s_delay_alu instid0(SALU_CYCLE_1) | instskip(SKIP_2) | instid1(SALU_CYCLE_1)
	s_ashr_i32 s21, s20, 5
	s_cmp_lt_i32 s20, s18
	s_cselect_b32 s20, s21, s3
	s_ashr_i32 s21, s20, 31
	s_delay_alu instid0(SALU_CYCLE_1) | instskip(NEXT) | instid1(SALU_CYCLE_1)
	s_lshl_b64 s[20:21], s[20:21], 2
	s_add_u32 s20, s4, s20
	s_addc_u32 s21, s17, s21
	;; [unrolled: 10-line block ×5, first 2 shown]
	s_clause 0x5
	s_load_b32 s29, s[8:9], 0x0
	s_load_b32 s30, s[12:13], 0x0
	;; [unrolled: 1-line block ×6, first 2 shown]
	s_or_b32 s8, s16, 0xc0
	s_mov_b32 s20, 0
	s_ashr_i32 s9, s8, 5
	s_cmp_lt_i32 s8, s18
	s_mov_b32 s27, s20
	s_cselect_b32 s8, s9, s3
	s_mov_b32 s21, s20
	s_ashr_i32 s9, s8, 31
	s_mov_b32 s22, s20
	s_lshl_b64 s[8:9], s[8:9], 2
	s_mov_b32 s23, s20
	s_add_u32 s8, s4, s8
	s_mov_b32 s24, s20
	s_mov_b32 s25, s20
	;; [unrolled: 1-line block ×3, first 2 shown]
	s_addc_u32 s9, s17, s9
	v_dual_mov_b32 v128, s27 :: v_dual_lshlrev_b32 v77, 6, v79
	v_dual_mov_b32 v122, s21 :: v_dual_mov_b32 v127, s26
	v_dual_mov_b32 v126, s25 :: v_dual_mov_b32 v125, s24
	v_dual_mov_b32 v124, s23 :: v_dual_mov_b32 v123, s22
	v_mov_b32_e32 v121, s20
	s_waitcnt lgkmcnt(0)
	s_mul_hi_i32 s13, s29, s5
	s_mul_i32 s12, s29, s5
	s_mul_hi_i32 s21, s30, s5
	s_mul_i32 s20, s30, s5
	;; [unrolled: 2-line block ×4, first 2 shown]
	s_mul_i32 s36, s38, s5
	s_waitcnt vmcnt(1)
	v_mad_i64_i32 v[3:4], null, v7, s5, 0
	s_waitcnt vmcnt(0)
	v_mad_i64_i32 v[5:6], null, v8, s5, 0
	s_delay_alu instid0(VALU_DEP_2) | instskip(NEXT) | instid1(VALU_DEP_2)
	v_lshlrev_b64 v[3:4], 1, v[3:4]
	v_lshlrev_b64 v[1:2], 1, v[5:6]
	s_delay_alu instid0(VALU_DEP_2) | instskip(NEXT) | instid1(VALU_DEP_3)
	v_add_co_u32 v3, vcc_lo, s15, v3
	v_add_co_ci_u32_e32 v4, vcc_lo, s28, v4, vcc_lo
	s_delay_alu instid0(VALU_DEP_3) | instskip(NEXT) | instid1(VALU_DEP_4)
	v_add_co_u32 v5, vcc_lo, s15, v1
	v_add_co_ci_u32_e32 v6, vcc_lo, s28, v2, vcc_lo
	s_delay_alu instid0(VALU_DEP_4) | instskip(NEXT) | instid1(VALU_DEP_4)
	v_add_co_u32 v1, vcc_lo, v3, v73
	v_add_co_ci_u32_e32 v2, vcc_lo, v4, v74, vcc_lo
	s_delay_alu instid0(VALU_DEP_4) | instskip(NEXT) | instid1(VALU_DEP_4)
	v_add_co_u32 v3, vcc_lo, v5, v73
	v_add_co_ci_u32_e32 v4, vcc_lo, v6, v74, vcc_lo
	s_clause 0xf
	global_load_b128 v[17:20], v[1:2], off
	global_load_b128 v[21:24], v[1:2], off offset:512
	global_load_b128 v[25:28], v[3:4], off offset:256
	;; [unrolled: 1-line block ×15, first 2 shown]
	s_or_b32 s15, s16, 0xe0
	v_lshl_or_b32 v1, v78, 10, v77
	s_ashr_i32 s22, s15, 5
	s_cmp_lt_i32 s15, s18
	ds_load_b128 v[129:132], v77
	ds_load_b128 v[133:136], v77 offset:1024
	s_cselect_b32 s22, s22, s3
	s_delay_alu instid0(SALU_CYCLE_1) | instskip(NEXT) | instid1(SALU_CYCLE_1)
	s_ashr_i32 s23, s22, 31
	s_lshl_b64 s[22:23], s[22:23], 2
	s_delay_alu instid0(SALU_CYCLE_1) | instskip(SKIP_2) | instid1(SALU_CYCLE_1)
	s_add_u32 s22, s4, s22
	s_addc_u32 s23, s17, s23
	s_add_i32 s15, s16, 0x100
	s_ashr_i32 s28, s15, 5
	s_cmp_lt_i32 s15, s18
	s_load_b32 s15, s[8:9], 0x0
	s_cselect_b32 s28, s28, s3
	s_mul_hi_i32 s9, s37, s5
	s_ashr_i32 s29, s28, 31
	s_mul_i32 s8, s37, s5
	s_lshl_b64 s[28:29], s[28:29], 2
	s_mul_hi_i32 s37, s38, s5
	s_add_u32 s28, s4, s28
	s_addc_u32 s29, s17, s29
	s_add_u32 s3, s10, s6
	s_clause 0x1
	s_load_b32 s4, s[22:23], 0x0
	s_load_b32 s17, s[28:29], 0x0
	s_addc_u32 s28, s11, s7
	v_add_co_u32 v147, s3, s3, v1
	s_delay_alu instid0(VALU_DEP_1) | instskip(SKIP_2) | instid1(VALU_DEP_2)
	v_add_co_ci_u32_e64 v148, null, s28, 0, s3
	s_lshl_b64 s[6:7], s[12:13], 1
	s_lshl_b64 s[10:11], s[20:21], 1
	v_add_co_u32 v1, vcc_lo, v147, s6
	s_delay_alu instid0(VALU_DEP_2)
	v_add_co_ci_u32_e32 v2, vcc_lo, s7, v148, vcc_lo
	v_add_co_u32 v3, vcc_lo, v147, s10
	s_lshl_b64 s[12:13], s[24:25], 1
	v_add_co_ci_u32_e32 v4, vcc_lo, s11, v148, vcc_lo
	v_add_co_u32 v5, vcc_lo, v147, s12
	s_lshl_b64 s[20:21], s[26:27], 1
	;; [unrolled: 3-line block ×4, first 2 shown]
	s_waitcnt lgkmcnt(0)
	s_mul_hi_i32 s25, s15, s5
	s_mul_i32 s24, s15, s5
	v_add_co_ci_u32_e32 v14, vcc_lo, s9, v148, vcc_lo
	v_add_co_u32 v137, vcc_lo, v147, s22
	s_lshl_b64 s[24:25], s[24:25], 1
	v_add_co_ci_u32_e32 v138, vcc_lo, s23, v148, vcc_lo
	v_add_co_u32 v145, vcc_lo, v147, s24
	v_add_co_ci_u32_e32 v146, vcc_lo, s25, v148, vcc_lo
	s_clause 0xb
	global_load_b128 v[65:68], v[1:2], off
	global_load_b128 v[69:72], v[1:2], off offset:16
	global_load_b128 v[57:60], v[3:4], off
	global_load_b128 v[61:64], v[3:4], off offset:16
	;; [unrolled: 2-line block ×6, first 2 shown]
	s_mul_hi_i32 s7, s4, s5
	s_mul_i32 s6, s4, s5
	s_delay_alu instid0(SALU_CYCLE_1)
	s_lshl_b64 s[6:7], s[6:7], 1
	s_waitcnt vmcnt(26)
	v_wmma_f32_16x16x16_f16 v[137:144], v[17:24], v[129:136], v[121:128]
	s_waitcnt vmcnt(24)
	v_wmma_f32_16x16x16_f16 v[121:128], v[25:32], v[129:136], v[121:128]
	s_clause 0x1
	global_load_b128 v[25:28], v[145:146], off
	global_load_b128 v[29:32], v[145:146], off offset:16
	ds_load_b128 v[17:20], v77 offset:2048
	ds_load_b128 v[21:24], v77 offset:3072
	v_add_co_u32 v129, vcc_lo, v147, s6
	v_add_co_ci_u32_e32 v130, vcc_lo, s7, v148, vcc_lo
	s_mul_hi_i32 s7, s17, s5
	s_mul_i32 s6, s17, s5
	s_delay_alu instid0(SALU_CYCLE_1) | instskip(NEXT) | instid1(SALU_CYCLE_1)
	s_lshl_b64 s[4:5], s[6:7], 1
	v_add_co_u32 v131, vcc_lo, v147, s4
	v_add_co_ci_u32_e32 v132, vcc_lo, s5, v148, vcc_lo
	s_waitcnt vmcnt(24) lgkmcnt(0)
	v_wmma_f32_16x16x16_f16 v[137:144], v[33:40], v[17:24], v[137:144]
	s_clause 0x1
	global_load_b128 v[33:36], v[129:130], off
	global_load_b128 v[37:40], v[129:130], off offset:16
	s_waitcnt vmcnt(24)
	v_wmma_f32_16x16x16_f16 v[121:128], v[81:88], v[17:24], v[121:128]
	s_clause 0x1
	global_load_b128 v[17:20], v[131:132], off
	global_load_b128 v[21:24], v[131:132], off offset:16
	ds_load_b128 v[81:84], v77 offset:4096
	ds_load_b128 v[85:88], v77 offset:5120
	v_mbcnt_lo_u32_b32 v130, -1, 0
	s_delay_alu instid0(VALU_DEP_1) | instskip(NEXT) | instid1(VALU_DEP_1)
	v_xor_b32_e32 v131, 16, v130
	v_cmp_gt_i32_e32 vcc_lo, 32, v131
	v_cndmask_b32_e32 v130, v130, v131, vcc_lo
	s_waitcnt vmcnt(24) lgkmcnt(0)
	v_wmma_f32_16x16x16_f16 v[137:144], v[89:96], v[81:88], v[137:144]
	ds_load_b128 v[89:92], v77 offset:6144
	ds_load_b128 v[93:96], v77 offset:7168
	s_waitcnt vmcnt(22)
	v_wmma_f32_16x16x16_f16 v[121:128], v[97:104], v[81:88], v[121:128]
	s_waitcnt vmcnt(0) lgkmcnt(0)
	s_barrier
	buffer_gl0_inv
	v_wmma_f32_16x16x16_f16 v[137:144], v[105:112], v[89:96], v[137:144]
	v_and_b32_e32 v129, 0xe0, v0
	v_wmma_f32_16x16x16_f16 v[121:128], v[113:120], v[89:96], v[121:128]
	s_delay_alu instid0(VALU_DEP_2) | instskip(NEXT) | instid1(VALU_DEP_2)
	v_dual_mul_f32 v94, s19, v139 :: v_dual_add_nc_u32 v129, s16, v129
	v_mul_f32_e32 v102, s19, v128
	v_dual_mul_f32 v89, s19, v144 :: v_dual_mul_f32 v96, s19, v137
	v_mul_f32_e32 v95, s19, v138
	s_delay_alu instid0(VALU_DEP_4) | instskip(SKIP_2) | instid1(VALU_DEP_3)
	v_or_b32_e32 v129, v129, v75
	v_dual_mul_f32 v93, s19, v140 :: v_dual_mul_f32 v104, s19, v126
	v_dual_mul_f32 v91, s19, v142 :: v_dual_mul_f32 v106, s19, v124
	v_or_b32_e32 v131, 2, v129
	v_or_b32_e32 v132, 4, v129
	;; [unrolled: 1-line block ×3, first 2 shown]
	v_cmp_gt_i32_e32 vcc_lo, s18, v129
	v_or_b32_e32 v82, 8, v129
	v_cmp_gt_i32_e64 s3, s18, v131
	v_or_b32_e32 v83, 10, v129
	v_cmp_gt_i32_e64 s4, s18, v132
	v_cndmask_b32_e32 v96, 0xff7fffff, v96, vcc_lo
	v_cmp_gt_i32_e64 s5, s18, v81
	v_cndmask_b32_e64 v95, 0xff7fffff, v95, s3
	v_or_b32_e32 v84, 12, v129
	v_or_b32_e32 v85, 14, v129
	v_mul_f32_e32 v92, s19, v141
	v_cndmask_b32_e64 v94, 0xff7fffff, v94, s4
	v_cndmask_b32_e64 v81, 0xff7fffff, v93, s5
	v_max3_f32 v93, v96, 0xff7fffff, v95
	v_cmp_gt_i32_e64 s6, s18, v82
	v_cmp_gt_i32_e64 s7, s18, v83
	v_or_b32_e32 v86, 16, v129
	v_or_b32_e32 v87, 18, v129
	v_mul_f32_e32 v90, s19, v143
	v_cndmask_b32_e64 v82, 0xff7fffff, v92, s6
	v_cndmask_b32_e64 v83, 0xff7fffff, v91, s7
	v_max3_f32 v81, v93, v94, v81
	v_cmp_gt_i32_e64 s8, s18, v84
	v_cmp_gt_i32_e64 s9, s18, v85
	v_or_b32_e32 v88, 20, v129
	v_or_b32_e32 v97, 22, v129
	v_dual_mul_f32 v103, s19, v127 :: v_dual_mul_f32 v108, s19, v122
	v_mul_f32_e32 v109, s19, v121
	v_cndmask_b32_e64 v84, 0xff7fffff, v90, s8
	v_cndmask_b32_e64 v85, 0xff7fffff, v89, s9
	v_max3_f32 v81, v81, v82, v83
	v_cmp_gt_i32_e64 s10, s18, v86
	v_cmp_gt_i32_e64 s11, s18, v87
	v_or_b32_e32 v98, 24, v129
	v_or_b32_e32 v99, 26, v129
	v_mul_f32_e32 v107, s19, v123
	v_cndmask_b32_e64 v82, 0xff7fffff, v109, s10
	v_cndmask_b32_e64 v83, 0xff7fffff, v108, s11
	v_max3_f32 v81, v81, v84, v85
	v_cmp_gt_i32_e64 s12, s18, v88
	v_cmp_gt_i32_e64 s13, s18, v97
	v_or_b32_e32 v100, 28, v129
	v_or_b32_e32 v101, 30, v129
	v_mul_f32_e32 v105, s19, v125
	v_cndmask_b32_e64 v84, 0xff7fffff, v107, s12
	v_cndmask_b32_e64 v85, 0xff7fffff, v106, s13
	v_max3_f32 v81, v81, v82, v83
	v_cmp_gt_i32_e64 s15, s18, v98
	v_cmp_gt_i32_e64 s16, s18, v99
	;; [unrolled: 1-line block ×4, first 2 shown]
	v_max3_f32 v81, v81, v84, v85
	v_cndmask_b32_e64 v82, 0xff7fffff, v105, s15
	v_cndmask_b32_e64 v83, 0xff7fffff, v104, s16
	;; [unrolled: 1-line block ×4, first 2 shown]
	s_delay_alu instid0(VALU_DEP_3) | instskip(SKIP_1) | instid1(VALU_DEP_2)
	v_max3_f32 v81, v81, v82, v83
	v_lshlrev_b32_e32 v83, 2, v130
	v_max3_f32 v81, v81, v84, v85
	ds_bpermute_b32 v82, v83, v81
	s_waitcnt lgkmcnt(0)
	v_max_f32_e32 v82, v82, v82
	s_delay_alu instid0(VALU_DEP_1) | instskip(NEXT) | instid1(VALU_DEP_1)
	v_max_f32_e32 v81, v81, v82
	v_fma_f32 v82, s19, v137, -v81
	v_fma_f32 v84, s19, v138, -v81
	;; [unrolled: 1-line block ×4, first 2 shown]
	s_delay_alu instid0(VALU_DEP_4) | instskip(NEXT) | instid1(VALU_DEP_3)
	v_mul_f32_e32 v82, 0x3fb8aa3b, v82
	v_dual_mul_f32 v84, 0x3fb8aa3b, v84 :: v_dual_mul_f32 v85, 0x3fb8aa3b, v85
	s_delay_alu instid0(VALU_DEP_3) | instskip(NEXT) | instid1(VALU_DEP_3)
	v_mul_f32_e32 v86, 0x3fb8aa3b, v86
	v_exp_f32_e32 v82, v82
	s_delay_alu instid0(VALU_DEP_2) | instskip(NEXT) | instid1(VALU_DEP_2)
	v_exp_f32_e32 v84, v84
	v_exp_f32_e32 v85, v85
	s_delay_alu instid0(VALU_DEP_1) | instskip(SKIP_1) | instid1(TRANS32_DEP_3)
	v_exp_f32_e32 v90, v86
	v_cndmask_b32_e32 v87, 0, v82, vcc_lo
	v_cndmask_b32_e64 v86, 0, v84, s3
	s_waitcnt_depctr 0xfff
	v_cndmask_b32_e64 v89, 0, v85, s4
	s_mov_b32 s3, exec_lo
	v_add_f32_e32 v84, 0, v87
	s_delay_alu instid0(VALU_DEP_1) | instskip(NEXT) | instid1(VALU_DEP_1)
	v_add_f32_e32 v84, v84, v86
	v_add_f32_e32 v84, v84, v89
	v_fma_f32 v88, s19, v141, -v81
	v_fma_f32 v82, s19, v142, -v81
	v_fma_f32 v91, s19, v143, -v81
	v_fma_f32 v85, s19, v144, -v81
	v_fma_f32 v95, s19, v124, -v81
	v_mul_f32_e32 v88, 0x3fb8aa3b, v88
	s_delay_alu instid0(VALU_DEP_4) | instskip(SKIP_1) | instid1(VALU_DEP_4)
	v_dual_mul_f32 v82, 0x3fb8aa3b, v82 :: v_dual_mul_f32 v91, 0x3fb8aa3b, v91
	v_fma_f32 v100, s19, v128, -v81
	v_mul_f32_e32 v97, 0x3fb8aa3b, v95
	s_delay_alu instid0(VALU_DEP_4)
	v_exp_f32_e32 v92, v88
	v_cndmask_b32_e64 v88, 0, v90, s5
	v_fma_f32 v90, s19, v121, -v81
	v_mul_f32_e32 v85, 0x3fb8aa3b, v85
	v_exp_f32_e32 v82, v82
	v_exp_f32_e32 v93, v91
	v_add_f32_e32 v84, v84, v88
	v_mul_f32_e32 v94, 0x3fb8aa3b, v90
	v_exp_f32_e32 v85, v85
	v_exp_f32_e32 v99, v97
	v_cndmask_b32_e64 v91, 0, v92, s6
	v_fma_f32 v92, s19, v122, -v81
	v_exp_f32_e32 v94, v94
	v_fma_f32 v98, s19, v126, -v81
	v_cndmask_b32_e64 v90, 0, v82, s7
	v_cndmask_b32_e64 v93, 0, v93, s8
	v_mul_f32_e32 v92, 0x3fb8aa3b, v92
	s_delay_alu instid0(VALU_DEP_4) | instskip(NEXT) | instid1(VALU_DEP_2)
	v_mul_f32_e32 v98, 0x3fb8aa3b, v98
	v_exp_f32_e32 v96, v92
	v_cndmask_b32_e64 v92, 0, v85, s9
	v_fma_f32 v85, s19, v125, -v81
	v_add_f32_e32 v82, v84, v91
	v_fma_f32 v84, s19, v123, -v81
	v_cndmask_b32_e64 v95, 0, v94, s10
	v_exp_f32_e32 v98, v98
	s_delay_alu instid0(VALU_DEP_3) | instskip(NEXT) | instid1(VALU_DEP_3)
	v_dual_mul_f32 v85, 0x3fb8aa3b, v85 :: v_dual_add_f32 v82, v82, v90
	v_mul_f32_e32 v84, 0x3fb8aa3b, v84
	s_delay_alu instid0(TRANS32_DEP_2) | instskip(SKIP_1) | instid1(VALU_DEP_4)
	v_cndmask_b32_e64 v94, 0, v96, s11
	v_fma_f32 v96, s19, v127, -v81
	v_exp_f32_e32 v85, v85
	s_delay_alu instid0(VALU_DEP_3) | instskip(NEXT) | instid1(TRANS32_DEP_3)
	v_exp_f32_e32 v84, v84
	v_cndmask_b32_e64 v98, 0, v98, s16
	s_waitcnt_depctr 0xfff
	v_cndmask_b32_e64 v97, 0, v84, s12
	v_mul_f32_e32 v84, 0x3fb8aa3b, v96
	v_cndmask_b32_e64 v96, 0, v99, s13
	v_cndmask_b32_e64 v99, 0, v85, s15
	v_dual_mul_f32 v85, 0x3fb8aa3b, v100 :: v_dual_add_f32 v82, v82, v93
	s_delay_alu instid0(VALU_DEP_4) | instskip(NEXT) | instid1(VALU_DEP_1)
	v_exp_f32_e32 v84, v84
	v_exp_f32_e32 v85, v85
	s_delay_alu instid0(VALU_DEP_1) | instskip(NEXT) | instid1(VALU_DEP_1)
	v_add_f32_e32 v82, v82, v92
	v_add_f32_e32 v82, v82, v95
	s_waitcnt_depctr 0xfff
	v_cndmask_b32_e64 v101, 0, v84, s17
	v_cndmask_b32_e64 v100, 0, v85, s18
	v_add_f32_e32 v82, v82, v94
	s_delay_alu instid0(VALU_DEP_1) | instskip(NEXT) | instid1(VALU_DEP_1)
	v_add_f32_e32 v82, v82, v97
	v_add_f32_e32 v82, v82, v96
	s_delay_alu instid0(VALU_DEP_1) | instskip(NEXT) | instid1(VALU_DEP_1)
	v_add_f32_e32 v82, v82, v99
	;; [unrolled: 3-line block ×3, first 2 shown]
	v_add_f32_e32 v82, v82, v100
	ds_bpermute_b32 v83, v83, v82
	v_cmpx_gt_u32_e32 16, v80
	s_cbranch_execz .LBB149_14
; %bb.13:
	v_mul_u32_u24_e32 v80, 0x44, v78
	s_waitcnt lgkmcnt(0)
	v_add_f32_e32 v82, v82, v83
	s_delay_alu instid0(VALU_DEP_2) | instskip(NEXT) | instid1(VALU_DEP_1)
	v_lshl_add_u32 v80, v79, 2, v80
	v_add_nc_u32_e32 v80, 0x4000, v80
	ds_store_2addr_b32 v80, v81, v82 offset1:136
.LBB149_14:
	s_or_b32 exec_lo, exec_lo, s3
	v_lshlrev_b32_e32 v79, 2, v79
	s_load_b32 s35, s[0:1], 0x94
	s_waitcnt lgkmcnt(0)
	s_barrier
	buffer_gl0_inv
	v_add_nc_u32_e32 v83, 0x4000, v79
	v_cmp_eq_u32_e32 vcc_lo, 1, v78
	v_cmp_eq_u32_e64 s3, 2, v78
	v_cmp_eq_u32_e64 s4, 3, v78
	;; [unrolled: 1-line block ×3, first 2 shown]
	ds_load_2addr_b32 v[79:80], v83 offset1:17
	ds_load_2addr_b32 v[81:82], v83 offset0:34 offset1:51
	ds_load_2addr_b32 v[102:103], v83 offset0:68 offset1:85
	;; [unrolled: 1-line block ×3, first 2 shown]
	v_cmp_eq_u32_e64 s6, 7, v78
	s_waitcnt lgkmcnt(3)
	v_max3_f32 v84, v79, 0xff7fffff, v80
	s_waitcnt lgkmcnt(2)
	s_delay_alu instid0(VALU_DEP_1) | instskip(SKIP_1) | instid1(VALU_DEP_1)
	v_max3_f32 v84, v84, v81, v82
	s_waitcnt lgkmcnt(1)
	v_max3_f32 v84, v84, v102, v103
	s_waitcnt lgkmcnt(0)
	s_delay_alu instid0(VALU_DEP_1) | instskip(NEXT) | instid1(VALU_DEP_1)
	v_max3_f32 v84, v84, v104, v105
	v_sub_f32_e32 v102, v102, v84
	ds_load_2addr_b32 v[106:107], v83 offset0:136 offset1:153
	v_sub_f32_e32 v79, v79, v84
	v_dual_sub_f32 v109, v82, v84 :: v_dual_mul_f32 v112, 0x3fb8aa3b, v102
	s_delay_alu instid0(VALU_DEP_2) | instskip(SKIP_3) | instid1(VALU_DEP_1)
	v_dual_sub_f32 v85, v80, v84 :: v_dual_mul_f32 v108, 0x3fb8aa3b, v79
	ds_load_2addr_b32 v[79:80], v83 offset0:170 offset1:187
	v_mul_f32_e32 v85, 0x3fb8aa3b, v85
	v_exp_f32_e32 v108, v108
	v_exp_f32_e32 v111, v85
	v_mul_f32_e32 v109, 0x3fb8aa3b, v109
	s_waitcnt lgkmcnt(1)
	s_waitcnt_depctr 0xfff
	v_fma_f32 v85, v108, v106, 0
	v_sub_f32_e32 v106, v103, v84
	v_sub_f32_e32 v81, v81, v84
	v_exp_f32_e32 v109, v109
	ds_load_2addr_b32 v[102:103], v83 offset0:238 offset1:255
	v_dual_fmac_f32 v85, v111, v107 :: v_dual_mul_f32 v110, 0x3fb8aa3b, v81
	ds_load_2addr_b32 v[81:82], v83 offset0:204 offset1:221
	v_dual_sub_f32 v83, v104, v84 :: v_dual_mul_f32 v104, 0x3fb8aa3b, v106
	v_exp_f32_e32 v106, v112
	v_exp_f32_e32 v110, v110
	s_waitcnt lgkmcnt(0)
	s_delay_alu instid0(VALU_DEP_1)
	v_mul_f32_e32 v83, 0x3fb8aa3b, v83
	v_exp_f32_e32 v104, v104
	s_barrier
	buffer_gl0_inv
	v_fmac_f32_e32 v85, v110, v79
	v_sub_f32_e32 v79, v105, v84
	v_exp_f32_e32 v105, v83
	s_delay_alu instid0(VALU_DEP_2) | instskip(NEXT) | instid1(VALU_DEP_2)
	v_fmac_f32_e32 v85, v109, v80
	v_mul_f32_e32 v79, 0x3fb8aa3b, v79
	s_delay_alu instid0(VALU_DEP_2) | instskip(NEXT) | instid1(VALU_DEP_2)
	v_dual_cndmask_b32 v80, v108, v111 :: v_dual_fmac_f32 v85, v106, v81
	v_exp_f32_e32 v107, v79
	s_delay_alu instid0(VALU_DEP_1) | instskip(SKIP_2) | instid1(VALU_DEP_1)
	v_fmac_f32_e32 v85, v104, v82
	s_waitcnt_depctr 0xfff
	v_fmac_f32_e32 v85, v105, v102
	v_fmac_f32_e32 v85, v107, v103
	s_delay_alu instid0(VALU_DEP_1) | instskip(NEXT) | instid1(VALU_DEP_1)
	v_add_f32_e32 v102, 0x358637bd, v85
	v_div_scale_f32 v103, null, v102, v102, 1.0
	v_div_scale_f32 v108, vcc_lo, 1.0, v102, 1.0
	s_delay_alu instid0(VALU_DEP_2) | instskip(SKIP_2) | instid1(VALU_DEP_1)
	v_rcp_f32_e32 v112, v103
	s_waitcnt_depctr 0xfff
	v_fma_f32 v79, -v103, v112, 1.0
	v_fmac_f32_e32 v112, v79, v112
	v_cndmask_b32_e64 v79, v80, v110, s3
	v_cmp_eq_u32_e64 s3, 4, v78
	v_lshl_or_b32 v80, v78, 11, v77
	s_delay_alu instid0(VALU_DEP_4) | instskip(NEXT) | instid1(VALU_DEP_4)
	v_mul_f32_e32 v110, v108, v112
	v_cndmask_b32_e64 v81, v79, v109, s4
	v_cmp_eq_u32_e64 s4, 6, v78
	s_delay_alu instid0(VALU_DEP_4) | instskip(SKIP_3) | instid1(VALU_DEP_3)
	v_lshl_or_b32 v78, v75, 4, v80
	v_lshlrev_b32_e32 v79, 2, v75
	v_fma_f32 v82, -v103, v110, v108
	v_cndmask_b32_e64 v83, v81, v106, s3
	v_or_b32_e32 v81, 1, v79
	s_delay_alu instid0(VALU_DEP_3) | instskip(NEXT) | instid1(VALU_DEP_3)
	v_fmac_f32_e32 v110, v82, v112
	v_cndmask_b32_e64 v104, v83, v104, s5
	v_or_b32_e32 v83, 2, v79
	v_or_b32_e32 v82, 3, v79
	v_cmp_eq_u32_e64 s3, 1, v79
	v_fma_f32 v103, -v103, v110, v108
	v_cndmask_b32_e64 v104, v104, v105, s4
	v_cmp_eq_u32_e64 s9, 1, v81
	v_cmp_eq_u32_e64 s10, 1, v83
	;; [unrolled: 1-line block ×3, first 2 shown]
	v_div_fmas_f32 v103, v103, v112, v110
	v_cndmask_b32_e64 v104, v104, v107, s6
	v_cmp_eq_u32_e32 vcc_lo, 2, v79
	v_cmp_eq_u32_e64 s12, 2, v81
	v_cmp_eq_u32_e64 s15, 2, v83
	v_div_fixup_f32 v102, v103, v102, 1.0
	v_cmp_eq_u32_e64 s16, 2, v82
	v_cmp_eq_u32_e64 s18, 3, v82
	;; [unrolled: 1-line block ×4, first 2 shown]
	v_mul_f32_e32 v110, v104, v102
	v_cmp_eq_u32_e64 s17, 3, v83
	v_cmp_eq_u32_e64 s22, 4, v82
	;; [unrolled: 1-line block ×4, first 2 shown]
	v_fma_mixlo_f16 v102, v110, v87, 0
	v_fma_mixlo_f16 v103, v110, v89, 0
	;; [unrolled: 1-line block ×8, first 2 shown]
	v_fma_mixhi_f16 v102, v110, v86, 0
	v_fma_mixhi_f16 v103, v110, v88, 0
	;; [unrolled: 1-line block ×8, first 2 shown]
	ds_store_b128 v78, v[102:105]
	ds_store_b128 v78, v[106:109] offset:1024
	s_waitcnt lgkmcnt(0)
	s_barrier
	buffer_gl0_inv
	ds_load_b128 v[86:89], v80
	ds_load_b128 v[90:93], v80 offset:16
	ds_load_b128 v[94:97], v80 offset:1024
	;; [unrolled: 1-line block ×3, first 2 shown]
	v_cmp_eq_u32_e64 s21, 4, v83
	v_cmp_eq_u32_e64 s24, 5, v82
	;; [unrolled: 1-line block ×13, first 2 shown]
	s_waitcnt lgkmcnt(3)
	v_lshrrev_b32_e32 v102, 16, v86
	s_waitcnt lgkmcnt(2)
	v_lshrrev_b32_e32 v106, 16, v90
	;; [unrolled: 2-line block ×4, first 2 shown]
	v_lshrrev_b32_e32 v103, 16, v87
	v_cndmask_b32_e64 v118, v86, v102, s3
	v_cndmask_b32_e64 v119, v90, v106, s3
	;; [unrolled: 1-line block ×8, first 2 shown]
	v_lshrrev_b32_e32 v107, 16, v91
	v_cndmask_b32_e64 v102, v94, v110, s3
	v_cndmask_b32_e64 v106, v98, v114, s3
	;; [unrolled: 1-line block ×5, first 2 shown]
	v_cndmask_b32_e32 v110, v118, v87, vcc_lo
	v_cndmask_b32_e64 v118, v120, v87, s12
	v_cndmask_b32_e64 v120, v122, v87, s15
	;; [unrolled: 1-line block ×4, first 2 shown]
	v_lshrrev_b32_e32 v111, 16, v95
	v_lshrrev_b32_e32 v115, 16, v99
	v_cndmask_b32_e64 v125, v98, v114, s9
	v_cndmask_b32_e64 v127, v98, v114, s10
	v_cndmask_b32_e64 v98, v98, v114, s11
	v_cndmask_b32_e32 v114, v119, v91, vcc_lo
	v_cndmask_b32_e64 v119, v121, v91, s12
	v_cndmask_b32_e64 v121, v123, v91, s15
	v_cndmask_b32_e32 v90, v102, v95, vcc_lo
	v_cndmask_b32_e32 v91, v106, v99, vcc_lo
	v_cndmask_b32_e64 v102, v124, v95, s12
	v_cndmask_b32_e64 v86, v86, v103, s18
	;; [unrolled: 1-line block ×3, first 2 shown]
	v_lshrrev_b32_e32 v104, 16, v88
	v_lshrrev_b32_e32 v108, 16, v92
	v_cndmask_b32_e64 v106, v126, v95, s15
	v_cndmask_b32_e64 v94, v94, v95, s16
	;; [unrolled: 1-line block ×14, first 2 shown]
	v_lshrrev_b32_e32 v112, 16, v96
	v_cndmask_b32_e64 v98, v98, v88, s5
	v_cndmask_b32_e64 v103, v110, v92, s5
	;; [unrolled: 1-line block ×11, first 2 shown]
	v_lshrrev_b32_e32 v105, 16, v89
	v_lshrrev_b32_e32 v109, 16, v93
	v_cndmask_b32_e64 v92, v98, v104, s6
	v_cndmask_b32_e64 v98, v103, v108, s6
	;; [unrolled: 1-line block ×9, first 2 shown]
	v_lshrrev_b32_e32 v113, 16, v97
	v_cndmask_b32_e64 v88, v88, v112, s6
	v_cndmask_b32_e64 v92, v92, v89, s7
	v_cndmask_b32_e64 v98, v98, v93, s7
	v_cndmask_b32_e64 v102, v102, v89, s25
	v_cndmask_b32_e64 v103, v103, v93, s25
	v_cndmask_b32_e64 v104, v107, v89, s26
	v_cndmask_b32_e64 v107, v110, v93, s26
	v_cndmask_b32_e64 v89, v91, v97, s25
	v_cndmask_b32_e64 v86, v86, v105, s29
	v_cndmask_b32_e64 v87, v87, v109, s29
	v_cndmask_b32_e64 v122, v127, v99, s15
	v_cndmask_b32_e64 v88, v88, v97, s7
	v_cndmask_b32_e64 v91, v92, v105, s8
	v_cndmask_b32_e64 v92, v98, v109, s8
	v_cndmask_b32_e64 v93, v102, v105, s30
	v_cndmask_b32_e64 v98, v104, v105, s28
	v_cndmask_b32_e64 v102, v107, v109, s28
	v_cndmask_b32_e64 v103, v103, v109, s30
	v_cndmask_b32_e64 v105, v89, v113, s30
	v_perm_b32 v89, v87, v86, 0x5040100
	v_cndmask_b32_e64 v86, v125, v99, s12
	v_cndmask_b32_e64 v104, v88, v113, s8
	v_perm_b32 v88, v102, v98, 0x5040100
	v_perm_b32 v87, v103, v93, 0x5040100
	v_cndmask_b32_e64 v93, v106, v111, s17
	v_cndmask_b32_e64 v94, v94, v111, s18
	;; [unrolled: 1-line block ×5, first 2 shown]
	v_lshrrev_b32_e32 v116, 16, v100
	v_cndmask_b32_e64 v93, v93, v96, s21
	v_cndmask_b32_e64 v94, v94, v96, s22
	;; [unrolled: 1-line block ×11, first 2 shown]
	v_lshrrev_b32_e32 v117, 16, v101
	v_cndmask_b32_e64 v90, v90, v101, s7
	v_cndmask_b32_e64 v93, v93, v97, s26
	;; [unrolled: 1-line block ×12, first 2 shown]
	v_perm_b32 v86, v92, v91, 0x5040100
	v_perm_b32 v93, v94, v93, 0x5040100
	;; [unrolled: 1-line block ×5, first 2 shown]
	s_lshl_b32 s7, s33, 4
	s_mov_b32 s3, exec_lo
	ds_store_b128 v78, v[86:89]
	ds_store_b128 v78, v[90:93] offset:1024
	v_cmpx_gt_u32_e32 16, v0
	s_cbranch_execz .LBB149_16
; %bb.15:
	v_or_b32_e32 v86, s31, v0
	s_load_b128 s[8:11], s[0:1], 0x58
	s_delay_alu instid0(VALU_DEP_1) | instskip(NEXT) | instid1(VALU_DEP_1)
	v_mad_u64_u32 v[87:88], null, s7, s34, v[86:87]
	v_mad_u64_u32 v[88:89], null, v87, s35, s[14:15]
	s_delay_alu instid0(VALU_DEP_1) | instskip(NEXT) | instid1(VALU_DEP_1)
	v_ashrrev_i32_e32 v89, 31, v88
	v_lshlrev_b64 v[86:87], 2, v[88:89]
	s_waitcnt lgkmcnt(0)
	s_delay_alu instid0(VALU_DEP_1) | instskip(NEXT) | instid1(VALU_DEP_2)
	v_add_co_u32 v88, vcc_lo, s10, v86
	v_add_co_ci_u32_e32 v89, vcc_lo, s11, v87, vcc_lo
	v_add_co_u32 v86, vcc_lo, s8, v86
	v_add_co_ci_u32_e32 v87, vcc_lo, s9, v87, vcc_lo
	global_store_b32 v[88:89], v84, off
	global_store_b32 v[86:87], v85, off
.LBB149_16:
	s_or_b32 exec_lo, exec_lo, s3
	s_waitcnt lgkmcnt(0)
	s_waitcnt_vscnt null, 0x0
	s_barrier
	buffer_gl0_inv
	ds_load_b128 v[92:95], v77
	ds_load_b128 v[96:99], v77 offset:16
	ds_load_b128 v[104:107], v77 offset:1040
	;; [unrolled: 1-line block ×5, first 2 shown]
	v_cmp_eq_u32_e32 vcc_lo, 1, v83
	v_mov_b32_e32 v84, 0
	ds_load_b128 v[120:123], v77 offset:3088
	ds_load_b128 v[116:119], v77 offset:3072
	;; [unrolled: 1-line block ×4, first 2 shown]
	v_cmp_eq_u32_e64 s3, 1, v79
	v_cmp_eq_u32_e64 s4, 1, v82
	v_cmp_eq_u32_e64 s5, 1, v81
	v_mov_b32_e32 v85, v84
	v_mov_b32_e32 v86, v84
	;; [unrolled: 1-line block ×7, first 2 shown]
	v_cmp_eq_u32_e64 s6, 2, v79
	s_waitcnt lgkmcnt(8)
	s_delay_alu instid0(VALU_DEP_2)
	v_wmma_f32_16x16x16_f16 v[84:91], v[65:72], v[92:99], v[84:91]
	ds_load_b128 v[69:72], v77 offset:5136
	ds_load_b128 v[65:68], v77 offset:5120
	;; [unrolled: 1-line block ×4, first 2 shown]
	s_waitcnt lgkmcnt(10)
	v_wmma_f32_16x16x16_f16 v[84:91], v[57:64], v[100:107], v[84:91]
	s_waitcnt lgkmcnt(8)
	s_delay_alu instid0(VALU_DEP_1)
	v_wmma_f32_16x16x16_f16 v[84:91], v[57:64], v[108:115], v[84:91]
	ds_load_b128 v[61:64], v77 offset:7184
	ds_load_b128 v[57:60], v77 offset:7168
	;; [unrolled: 1-line block ×4, first 2 shown]
	s_waitcnt lgkmcnt(10)
	v_wmma_f32_16x16x16_f16 v[84:91], v[49:56], v[116:123], v[84:91]
	s_waitcnt lgkmcnt(8)
	s_delay_alu instid0(VALU_DEP_1)
	v_wmma_f32_16x16x16_f16 v[84:91], v[49:56], v[124:131], v[84:91]
	ds_load_b128 v[53:56], v77 offset:9232
	ds_load_b128 v[49:52], v77 offset:9216
	s_waitcnt lgkmcnt(8)
	v_wmma_f32_16x16x16_f16 v[84:91], v[41:48], v[65:72], v[84:91]
	ds_load_b128 v[69:72], v77 offset:10256
	ds_load_b128 v[65:68], v77 offset:10240
	s_waitcnt lgkmcnt(8)
	;; [unrolled: 4-line block ×7, first 2 shown]
	s_barrier
	buffer_gl0_inv
	v_wmma_f32_16x16x16_f16 v[84:91], v[25:32], v[41:48], v[84:91]
	s_delay_alu instid0(VALU_DEP_1) | instskip(NEXT) | instid1(VALU_DEP_1)
	v_wmma_f32_16x16x16_f16 v[84:91], v[25:32], v[57:64], v[84:91]
	v_wmma_f32_16x16x16_f16 v[84:91], v[33:40], v[9:16], v[84:91]
	s_delay_alu instid0(VALU_DEP_1) | instskip(NEXT) | instid1(VALU_DEP_1)
	v_wmma_f32_16x16x16_f16 v[84:91], v[33:40], v[49:56], v[84:91]
	v_wmma_f32_16x16x16_f16 v[84:91], v[17:24], v[1:8], v[84:91]
	s_delay_alu instid0(VALU_DEP_1) | instskip(NEXT) | instid1(VALU_DEP_2)
	v_cvt_f16_f32_e32 v1, v84
	v_cvt_f16_f32_e32 v2, v85
	s_delay_alu instid0(VALU_DEP_3) | instskip(NEXT) | instid1(VALU_DEP_4)
	v_cvt_f16_f32_e32 v3, v86
	v_cvt_f16_f32_e32 v4, v87
	v_cvt_f16_f32_e32 v5, v88
	v_cvt_f16_f32_e32 v6, v89
	v_cvt_f16_f32_e32 v7, v90
	v_cvt_f16_f32_e32 v8, v91
	v_pack_b32_f16 v1, v1, v2
	v_pack_b32_f16 v2, v3, v4
	;; [unrolled: 1-line block ×3, first 2 shown]
	s_delay_alu instid0(VALU_DEP_4)
	v_pack_b32_f16 v4, v7, v8
	ds_store_b128 v78, v[1:4]
	s_waitcnt lgkmcnt(0)
	s_barrier
	buffer_gl0_inv
	ds_load_b128 v[1:4], v80
	ds_load_b128 v[5:8], v80 offset:16
	s_waitcnt lgkmcnt(1)
	v_lshrrev_b32_e32 v9, 16, v1
	s_waitcnt lgkmcnt(0)
	v_lshrrev_b32_e32 v13, 16, v5
	v_lshrrev_b32_e32 v10, 16, v2
	;; [unrolled: 1-line block ×4, first 2 shown]
	v_cndmask_b32_e64 v17, v1, v9, s3
	v_cndmask_b32_e64 v18, v5, v13, s3
	;; [unrolled: 1-line block ×3, first 2 shown]
	v_cmp_eq_u32_e64 s3, 2, v81
	v_cndmask_b32_e64 v20, v5, v13, s5
	v_cndmask_b32_e32 v21, v1, v9, vcc_lo
	v_cndmask_b32_e32 v22, v5, v13, vcc_lo
	v_cndmask_b32_e64 v1, v1, v9, s4
	v_cndmask_b32_e64 v5, v5, v13, s4
	v_cmp_eq_u32_e32 vcc_lo, 2, v83
	v_cmp_eq_u32_e64 s4, 2, v82
	v_cndmask_b32_e64 v9, v17, v2, s6
	v_cndmask_b32_e64 v13, v18, v6, s6
	;; [unrolled: 1-line block ×4, first 2 shown]
	v_cndmask_b32_e32 v19, v21, v2, vcc_lo
	v_cmp_eq_u32_e64 s3, 3, v83
	v_cndmask_b32_e32 v20, v22, v6, vcc_lo
	v_cndmask_b32_e64 v1, v1, v2, s4
	v_cmp_eq_u32_e32 vcc_lo, 3, v82
	v_cmp_eq_u32_e64 s5, 3, v79
	v_cndmask_b32_e64 v2, v5, v6, s4
	v_cmp_eq_u32_e64 s4, 3, v81
	v_cmp_eq_u32_e64 s6, 4, v79
	v_cndmask_b32_e32 v1, v1, v10, vcc_lo
	v_cndmask_b32_e64 v5, v9, v10, s5
	v_cndmask_b32_e64 v6, v13, v14, s5
	;; [unrolled: 1-line block ×3, first 2 shown]
	v_cmp_eq_u32_e64 s5, 4, v81
	v_cndmask_b32_e64 v13, v18, v14, s4
	v_cndmask_b32_e64 v17, v19, v10, s3
	v_cndmask_b32_e64 v18, v20, v14, s3
	v_cndmask_b32_e32 v2, v2, v14, vcc_lo
	v_cmp_eq_u32_e32 vcc_lo, 4, v83
	v_cmp_eq_u32_e64 s4, 4, v82
	v_lshrrev_b32_e32 v15, 16, v7
	v_cndmask_b32_e64 v5, v5, v3, s6
	v_cndmask_b32_e64 v6, v6, v7, s6
	v_cndmask_b32_e32 v14, v18, v7, vcc_lo
	v_cndmask_b32_e64 v9, v9, v3, s5
	v_cndmask_b32_e64 v10, v13, v7, s5
	v_cndmask_b32_e32 v13, v17, v3, vcc_lo
	v_cmp_eq_u32_e64 s3, 5, v83
	v_cndmask_b32_e64 v1, v1, v3, s4
	v_cmp_eq_u32_e32 vcc_lo, 5, v82
	v_cmp_eq_u32_e64 s5, 5, v79
	v_cndmask_b32_e64 v2, v2, v7, s4
	v_cmp_eq_u32_e64 s4, 5, v81
	v_cmp_eq_u32_e64 s6, 6, v79
	v_lshrrev_b32_e32 v12, 16, v4
	v_cndmask_b32_e64 v3, v5, v11, s5
	v_cndmask_b32_e64 v5, v6, v15, s5
	;; [unrolled: 1-line block ×3, first 2 shown]
	v_cmp_eq_u32_e64 s5, 6, v81
	v_cndmask_b32_e64 v7, v10, v15, s4
	v_cndmask_b32_e64 v9, v13, v11, s3
	;; [unrolled: 1-line block ×3, first 2 shown]
	v_cndmask_b32_e32 v1, v1, v11, vcc_lo
	v_cndmask_b32_e32 v2, v2, v15, vcc_lo
	v_cmp_eq_u32_e32 vcc_lo, 6, v83
	v_cmp_eq_u32_e64 s3, 6, v82
	v_lshrrev_b32_e32 v16, 16, v8
	v_cndmask_b32_e64 v3, v3, v4, s6
	v_cndmask_b32_e64 v5, v5, v8, s6
	v_cndmask_b32_e32 v9, v9, v4, vcc_lo
	v_cndmask_b32_e64 v6, v6, v4, s5
	v_cndmask_b32_e64 v7, v7, v8, s5
	v_cmp_eq_u32_e64 s4, 7, v83
	v_cndmask_b32_e32 v10, v10, v8, vcc_lo
	v_cndmask_b32_e64 v1, v1, v4, s3
	v_cmp_eq_u32_e32 vcc_lo, 7, v82
	v_cndmask_b32_e64 v2, v2, v8, s3
	v_cmp_eq_u32_e64 s3, 7, v79
	v_cmp_eq_u32_e64 s5, 7, v81
	v_cndmask_b32_e32 v1, v1, v12, vcc_lo
	s_delay_alu instid0(VALU_DEP_4) | instskip(NEXT) | instid1(VALU_DEP_4)
	v_cndmask_b32_e32 v2, v2, v16, vcc_lo
	v_cndmask_b32_e64 v8, v3, v12, s3
	s_delay_alu instid0(VALU_DEP_4)
	v_cndmask_b32_e64 v6, v6, v12, s5
	v_cndmask_b32_e64 v3, v9, v12, s4
	;; [unrolled: 1-line block ×5, first 2 shown]
	v_cmp_gt_u32_e32 vcc_lo, 32, v0
	v_perm_b32 v4, v2, v1, 0x5040100
	v_perm_b32 v3, v9, v3, 0x5040100
	;; [unrolled: 1-line block ×4, first 2 shown]
	s_and_b32 s2, vcc_lo, s2
	ds_store_b128 v78, v[1:4]
	s_waitcnt lgkmcnt(0)
	s_barrier
	buffer_gl0_inv
	s_and_saveexec_b32 s3, s2
	s_cbranch_execz .LBB149_2
; %bb.17:
	s_load_b64 s[0:1], s[0:1], 0x68
	v_lshlrev_b32_e32 v0, 10, v0
	s_lshl_b32 s4, s35, 6
	v_or_b32_e32 v23, s31, v75
	s_mul_i32 s2, s4, s34
	v_lshlrev_b32_e32 v1, 4, v76
	v_lshlrev_b32_e32 v2, 6, v75
	s_mul_i32 s2, s2, s7
	v_and_b32_e32 v0, 0x3800, v0
	v_mul_lo_u32 v8, v23, s4
	s_ashr_i32 s3, s2, 31
	v_or_b32_e32 v3, 2, v23
	s_lshl_b64 s[2:3], s[2:3], 1
	v_or3_b32 v27, v0, v1, v2
	v_or_b32_e32 v11, 4, v23
	v_or_b32_e32 v18, 6, v23
	v_mul_lo_u32 v10, v3, s4
	v_ashrrev_i32_e32 v9, 31, v8
	ds_load_b128 v[0:3], v27
	ds_load_b128 v[4:7], v27 offset:128
	v_mul_lo_u32 v12, v11, s4
	s_waitcnt lgkmcnt(0)
	s_add_u32 s2, s0, s2
	s_addc_u32 s3, s1, s3
	s_lshl_b32 s0, s14, 6
	v_lshlrev_b64 v[8:9], 1, v[8:9]
	s_ashr_i32 s1, s0, 31
	v_ashrrev_i32_e32 v11, 31, v10
	s_lshl_b64 s[0:1], s[0:1], 1
	v_ashrrev_i32_e32 v13, 31, v12
	s_add_u32 s0, s2, s0
	s_addc_u32 s1, s3, s1
	v_add_co_u32 v30, vcc_lo, s0, v73
	v_add_co_ci_u32_e32 v31, vcc_lo, s1, v74, vcc_lo
	v_lshlrev_b64 v[16:17], 1, v[10:11]
	s_delay_alu instid0(VALU_DEP_3) | instskip(NEXT) | instid1(VALU_DEP_3)
	v_add_co_u32 v14, vcc_lo, v30, v8
	v_add_co_ci_u32_e32 v15, vcc_lo, v31, v9, vcc_lo
	ds_load_b128 v[8:11], v27 offset:256
	v_mul_lo_u32 v18, v18, s4
	v_or_b32_e32 v19, 8, v23
	v_add_co_u32 v16, vcc_lo, v30, v16
	global_store_b128 v[14:15], v[0:3], off
	v_lshlrev_b64 v[0:1], 1, v[12:13]
	v_add_co_ci_u32_e32 v17, vcc_lo, v31, v17, vcc_lo
	v_mul_lo_u32 v12, v19, s4
	v_ashrrev_i32_e32 v19, 31, v18
	v_or_b32_e32 v14, 10, v23
	global_store_b128 v[16:17], v[4:7], off
	v_add_co_u32 v4, vcc_lo, v30, v0
	v_add_co_ci_u32_e32 v5, vcc_lo, v31, v1, vcc_lo
	ds_load_b128 v[0:3], v27 offset:384
	v_ashrrev_i32_e32 v13, 31, v12
	v_lshlrev_b64 v[6:7], 1, v[18:19]
	v_mul_lo_u32 v14, v14, s4
	s_waitcnt lgkmcnt(1)
	global_store_b128 v[4:5], v[8:11], off
	v_or_b32_e32 v8, 12, v23
	v_lshlrev_b64 v[4:5], 1, v[12:13]
	v_add_co_u32 v20, vcc_lo, v30, v6
	v_or_b32_e32 v6, 14, v23
	v_ashrrev_i32_e32 v15, 31, v14
	v_mul_lo_u32 v22, v8, s4
	v_add_co_ci_u32_e32 v21, vcc_lo, v31, v7, vcc_lo
	v_add_co_u32 v24, vcc_lo, v30, v4
	v_mul_lo_u32 v26, v6, s4
	v_add_co_ci_u32_e32 v25, vcc_lo, v31, v5, vcc_lo
	v_lshlrev_b64 v[28:29], 1, v[14:15]
	ds_load_b128 v[4:7], v27 offset:512
	ds_load_b128 v[8:11], v27 offset:640
	;; [unrolled: 1-line block ×4, first 2 shown]
	v_ashrrev_i32_e32 v23, 31, v22
	v_ashrrev_i32_e32 v27, 31, v26
	v_add_co_u32 v28, vcc_lo, v30, v28
	s_delay_alu instid0(VALU_DEP_3) | instskip(SKIP_1) | instid1(VALU_DEP_4)
	v_lshlrev_b64 v[22:23], 1, v[22:23]
	v_add_co_ci_u32_e32 v29, vcc_lo, v31, v29, vcc_lo
	v_lshlrev_b64 v[26:27], 1, v[26:27]
	s_delay_alu instid0(VALU_DEP_3) | instskip(NEXT) | instid1(VALU_DEP_4)
	v_add_co_u32 v22, vcc_lo, v30, v22
	v_add_co_ci_u32_e32 v23, vcc_lo, v31, v23, vcc_lo
	s_delay_alu instid0(VALU_DEP_3) | instskip(NEXT) | instid1(VALU_DEP_4)
	v_add_co_u32 v26, vcc_lo, v30, v26
	v_add_co_ci_u32_e32 v27, vcc_lo, v31, v27, vcc_lo
	s_waitcnt lgkmcnt(4)
	global_store_b128 v[20:21], v[0:3], off
	s_waitcnt lgkmcnt(3)
	global_store_b128 v[24:25], v[4:7], off
	;; [unrolled: 2-line block ×5, first 2 shown]
	s_nop 0
	s_sendmsg sendmsg(MSG_DEALLOC_VGPRS)
	s_endpgm
	.section	.rodata,"a",@progbits
	.p2align	6, 0x0
	.amdhsa_kernel _Z39paged_attention_ll4mi_QKV_mfma16_kernelIDF16_DF16_LN4vllm18Fp8KVCacheDataTypeE0EhLi32ELi64ELi256ELb0ELi16EL8MFMAType0EEvPKT_PKT0_S8_ifPKiSA_SA_iPKfiiiPfSD_PS3_PT2_iSC_SC_
		.amdhsa_group_segment_fixed_size 17472
		.amdhsa_private_segment_fixed_size 0
		.amdhsa_kernarg_size 400
		.amdhsa_user_sgpr_count 13
		.amdhsa_user_sgpr_dispatch_ptr 0
		.amdhsa_user_sgpr_queue_ptr 0
		.amdhsa_user_sgpr_kernarg_segment_ptr 1
		.amdhsa_user_sgpr_dispatch_id 0
		.amdhsa_user_sgpr_private_segment_size 0
		.amdhsa_wavefront_size32 1
		.amdhsa_uses_dynamic_stack 0
		.amdhsa_enable_private_segment 0
		.amdhsa_system_sgpr_workgroup_id_x 1
		.amdhsa_system_sgpr_workgroup_id_y 1
		.amdhsa_system_sgpr_workgroup_id_z 1
		.amdhsa_system_sgpr_workgroup_info 0
		.amdhsa_system_vgpr_workitem_id 0
		.amdhsa_next_free_vgpr 149
		.amdhsa_next_free_sgpr 39
		.amdhsa_reserve_vcc 1
		.amdhsa_float_round_mode_32 0
		.amdhsa_float_round_mode_16_64 0
		.amdhsa_float_denorm_mode_32 3
		.amdhsa_float_denorm_mode_16_64 3
		.amdhsa_dx10_clamp 1
		.amdhsa_ieee_mode 1
		.amdhsa_fp16_overflow 0
		.amdhsa_workgroup_processor_mode 1
		.amdhsa_memory_ordered 1
		.amdhsa_forward_progress 0
		.amdhsa_shared_vgpr_count 0
		.amdhsa_exception_fp_ieee_invalid_op 0
		.amdhsa_exception_fp_denorm_src 0
		.amdhsa_exception_fp_ieee_div_zero 0
		.amdhsa_exception_fp_ieee_overflow 0
		.amdhsa_exception_fp_ieee_underflow 0
		.amdhsa_exception_fp_ieee_inexact 0
		.amdhsa_exception_int_div_zero 0
	.end_amdhsa_kernel
	.section	.text._Z39paged_attention_ll4mi_QKV_mfma16_kernelIDF16_DF16_LN4vllm18Fp8KVCacheDataTypeE0EhLi32ELi64ELi256ELb0ELi16EL8MFMAType0EEvPKT_PKT0_S8_ifPKiSA_SA_iPKfiiiPfSD_PS3_PT2_iSC_SC_,"axG",@progbits,_Z39paged_attention_ll4mi_QKV_mfma16_kernelIDF16_DF16_LN4vllm18Fp8KVCacheDataTypeE0EhLi32ELi64ELi256ELb0ELi16EL8MFMAType0EEvPKT_PKT0_S8_ifPKiSA_SA_iPKfiiiPfSD_PS3_PT2_iSC_SC_,comdat
.Lfunc_end149:
	.size	_Z39paged_attention_ll4mi_QKV_mfma16_kernelIDF16_DF16_LN4vllm18Fp8KVCacheDataTypeE0EhLi32ELi64ELi256ELb0ELi16EL8MFMAType0EEvPKT_PKT0_S8_ifPKiSA_SA_iPKfiiiPfSD_PS3_PT2_iSC_SC_, .Lfunc_end149-_Z39paged_attention_ll4mi_QKV_mfma16_kernelIDF16_DF16_LN4vllm18Fp8KVCacheDataTypeE0EhLi32ELi64ELi256ELb0ELi16EL8MFMAType0EEvPKT_PKT0_S8_ifPKiSA_SA_iPKfiiiPfSD_PS3_PT2_iSC_SC_
                                        ; -- End function
	.section	.AMDGPU.csdata,"",@progbits
; Kernel info:
; codeLenInByte = 7432
; NumSgprs: 41
; NumVgprs: 149
; ScratchSize: 0
; MemoryBound: 0
; FloatMode: 240
; IeeeMode: 1
; LDSByteSize: 17472 bytes/workgroup (compile time only)
; SGPRBlocks: 5
; VGPRBlocks: 18
; NumSGPRsForWavesPerEU: 41
; NumVGPRsForWavesPerEU: 149
; Occupancy: 9
; WaveLimiterHint : 1
; COMPUTE_PGM_RSRC2:SCRATCH_EN: 0
; COMPUTE_PGM_RSRC2:USER_SGPR: 13
; COMPUTE_PGM_RSRC2:TRAP_HANDLER: 0
; COMPUTE_PGM_RSRC2:TGID_X_EN: 1
; COMPUTE_PGM_RSRC2:TGID_Y_EN: 1
; COMPUTE_PGM_RSRC2:TGID_Z_EN: 1
; COMPUTE_PGM_RSRC2:TIDIG_COMP_CNT: 0
	.section	.text._Z39paged_attention_ll4mi_QKV_mfma16_kernelIDF16_DF16_LN4vllm18Fp8KVCacheDataTypeE0EhLi32ELi64ELi256ELb0ELi1EL8MFMAType0EEvPKT_PKT0_S8_ifPKiSA_SA_iPKfiiiPfSD_PS3_PT2_iSC_SC_,"axG",@progbits,_Z39paged_attention_ll4mi_QKV_mfma16_kernelIDF16_DF16_LN4vllm18Fp8KVCacheDataTypeE0EhLi32ELi64ELi256ELb0ELi1EL8MFMAType0EEvPKT_PKT0_S8_ifPKiSA_SA_iPKfiiiPfSD_PS3_PT2_iSC_SC_,comdat
	.protected	_Z39paged_attention_ll4mi_QKV_mfma16_kernelIDF16_DF16_LN4vllm18Fp8KVCacheDataTypeE0EhLi32ELi64ELi256ELb0ELi1EL8MFMAType0EEvPKT_PKT0_S8_ifPKiSA_SA_iPKfiiiPfSD_PS3_PT2_iSC_SC_ ; -- Begin function _Z39paged_attention_ll4mi_QKV_mfma16_kernelIDF16_DF16_LN4vllm18Fp8KVCacheDataTypeE0EhLi32ELi64ELi256ELb0ELi1EL8MFMAType0EEvPKT_PKT0_S8_ifPKiSA_SA_iPKfiiiPfSD_PS3_PT2_iSC_SC_
	.globl	_Z39paged_attention_ll4mi_QKV_mfma16_kernelIDF16_DF16_LN4vllm18Fp8KVCacheDataTypeE0EhLi32ELi64ELi256ELb0ELi1EL8MFMAType0EEvPKT_PKT0_S8_ifPKiSA_SA_iPKfiiiPfSD_PS3_PT2_iSC_SC_
	.p2align	8
	.type	_Z39paged_attention_ll4mi_QKV_mfma16_kernelIDF16_DF16_LN4vllm18Fp8KVCacheDataTypeE0EhLi32ELi64ELi256ELb0ELi1EL8MFMAType0EEvPKT_PKT0_S8_ifPKiSA_SA_iPKfiiiPfSD_PS3_PT2_iSC_SC_,@function
_Z39paged_attention_ll4mi_QKV_mfma16_kernelIDF16_DF16_LN4vllm18Fp8KVCacheDataTypeE0EhLi32ELi64ELi256ELb0ELi1EL8MFMAType0EEvPKT_PKT0_S8_ifPKiSA_SA_iPKfiiiPfSD_PS3_PT2_iSC_SC_: ; @_Z39paged_attention_ll4mi_QKV_mfma16_kernelIDF16_DF16_LN4vllm18Fp8KVCacheDataTypeE0EhLi32ELi64ELi256ELb0ELi1EL8MFMAType0EEvPKT_PKT0_S8_ifPKiSA_SA_iPKfiiiPfSD_PS3_PT2_iSC_SC_
; %bb.0:
	s_load_b64 s[4:5], s[0:1], 0x30
	s_mov_b32 s34, s13
	s_waitcnt lgkmcnt(0)
	s_cmp_lg_u64 s[4:5], 0
	s_cselect_b32 s6, -1, 0
	s_ashr_i32 s35, s13, 31
	s_cmp_eq_u64 s[4:5], 0
	s_cbranch_scc1 .LBB150_3
; %bb.1:
	s_lshl_b64 s[2:3], s[34:35], 2
	s_delay_alu instid0(SALU_CYCLE_1) | instskip(SKIP_4) | instid1(SALU_CYCLE_1)
	s_add_u32 s2, s4, s2
	s_addc_u32 s3, s5, s3
	s_load_b64 s[2:3], s[2:3], 0x0
	s_waitcnt lgkmcnt(0)
	s_sub_i32 s2, s3, s2
	s_cmp_eq_u32 s2, 1
	s_cselect_b32 s2, -1, 0
	s_delay_alu instid0(SALU_CYCLE_1)
	s_and_not1_b32 vcc_lo, exec_lo, s2
	s_cbranch_vccz .LBB150_4
.LBB150_2:
	s_endpgm
.LBB150_3:
.LBB150_4:
	s_load_b64 s[2:3], s[0:1], 0x28
	s_lshl_b64 s[8:9], s[34:35], 2
	s_waitcnt lgkmcnt(0)
	s_add_u32 s2, s2, s8
	s_addc_u32 s3, s3, s9
	s_lshl_b32 s12, s14, 8
	s_load_b32 s33, s[2:3], 0x0
	s_waitcnt lgkmcnt(0)
	s_cmp_ge_i32 s12, s33
	s_cbranch_scc1 .LBB150_2
; %bb.5:
	s_clause 0x1
	s_load_b128 s[56:59], s[0:1], 0x8
	s_load_b64 s[2:3], s[0:1], 0x20
	s_and_not1_b32 vcc_lo, exec_lo, s6
	s_mov_b64 s[6:7], s[34:35]
	s_cbranch_vccnz .LBB150_7
; %bb.6:
	s_add_u32 s4, s4, s8
	s_addc_u32 s5, s5, s9
	s_load_b32 s6, s[4:5], 0x0
.LBB150_7:
	s_load_b128 s[52:55], s[0:1], 0x48
	v_and_b32_e32 v113, 15, v0
	s_mov_b32 s13, exec_lo
                                        ; implicit-def: $sgpr36
                                        ; implicit-def: $sgpr24
                                        ; implicit-def: $sgpr4
                                        ; implicit-def: $sgpr16
	s_delay_alu instid0(VALU_DEP_1)
	v_cmpx_eq_u32_e32 0, v113
	s_cbranch_execz .LBB150_9
; %bb.8:
	s_load_b64 s[4:5], s[0:1], 0x0
	s_waitcnt lgkmcnt(0)
	s_mul_hi_i32 s7, s6, s52
	s_mul_i32 s6, s6, s52
	s_delay_alu instid0(SALU_CYCLE_1) | instskip(NEXT) | instid1(SALU_CYCLE_1)
	s_lshl_b64 s[6:7], s[6:7], 1
	s_add_u32 s6, s4, s6
	s_addc_u32 s7, s5, s7
	s_lshl_b32 s4, s15, 6
	s_delay_alu instid0(SALU_CYCLE_1) | instskip(NEXT) | instid1(SALU_CYCLE_1)
	s_ashr_i32 s5, s4, 31
	s_lshl_b64 s[4:5], s[4:5], 1
	s_delay_alu instid0(SALU_CYCLE_1)
	s_add_u32 s16, s6, s4
	s_addc_u32 s17, s7, s5
	s_clause 0x3
	s_load_b256 s[36:43], s[16:17], 0x0
	s_load_b256 s[24:31], s[16:17], 0x20
	;; [unrolled: 1-line block ×4, first 2 shown]
.LBB150_9:
	s_or_b32 exec_lo, exec_lo, s13
	v_and_b32_e32 v1, 0xef, v0
	s_waitcnt lgkmcnt(0)
	v_dual_mov_b32 v33, s36 :: v_dual_mov_b32 v40, s43
	v_mov_b32_e32 v34, s37
	s_add_i32 s13, s33, 31
	v_dual_mov_b32 v36, s39 :: v_dual_add_nc_u32 v1, s12, v1
	s_ashr_i32 s35, s13, 31
	s_load_b32 s44, s[0:1], 0x38
	s_lshr_b32 s35, s35, 27
	s_delay_alu instid0(VALU_DEP_1)
	v_ashrrev_i32_e32 v2, 31, v1
	v_or_b32_e32 v3, 16, v1
	s_add_i32 s13, s13, s35
	s_load_b32 s35, s[0:1], 0x1c
	s_ashr_i32 s13, s13, 5
	v_lshrrev_b32_e32 v2, 27, v2
	s_add_i32 s13, s13, -1
	v_cmp_gt_i32_e32 vcc_lo, s33, v1
	v_dual_mov_b32 v123, s31 :: v_dual_mov_b32 v118, s26
	s_delay_alu instid0(VALU_DEP_3) | instskip(SKIP_2) | instid1(VALU_DEP_3)
	v_dual_mov_b32 v35, s38 :: v_dual_add_nc_u32 v4, v1, v2
	v_dual_mov_b32 v37, s40 :: v_dual_mov_b32 v122, s30
	v_dual_mov_b32 v39, s42 :: v_dual_mov_b32 v120, s28
	v_ashrrev_i32_e32 v4, 5, v4
	v_add_nc_u32_e32 v2, v3, v2
	s_waitcnt lgkmcnt(0)
	s_mul_i32 s44, s34, s44
	v_dual_mov_b32 v121, s29 :: v_dual_mov_b32 v116, s24
	v_cndmask_b32_e32 v1, s13, v4, vcc_lo
	v_ashrrev_i32_e32 v2, 5, v2
	v_cmp_gt_i32_e32 vcc_lo, s33, v3
	s_ashr_i32 s45, s44, 31
	v_lshlrev_b32_e32 v114, 6, v113
	s_lshl_b64 s[44:45], s[44:45], 2
	v_lshrrev_b32_e32 v115, 5, v0
	v_cndmask_b32_e32 v3, s13, v2, vcc_lo
	v_ashrrev_i32_e32 v2, 31, v1
	s_add_u32 s52, s2, s44
	s_addc_u32 s55, s3, s45
	s_mul_i32 s2, s15, s54
	v_ashrrev_i32_e32 v4, 31, v3
	v_lshlrev_b64 v[1:2], 2, v[1:2]
	s_ashr_i32 s3, s2, 31
	v_mov_b32_e32 v38, s41
	s_lshl_b64 s[2:3], s[2:3], 1
	v_lshlrev_b64 v[3:4], 2, v[3:4]
	s_add_u32 s63, s56, s2
	v_add_co_u32 v1, vcc_lo, s52, v1
	v_add_co_ci_u32_e32 v2, vcc_lo, s55, v2, vcc_lo
	s_delay_alu instid0(VALU_DEP_3) | instskip(NEXT) | instid1(VALU_DEP_4)
	v_add_co_u32 v3, vcc_lo, s52, v3
	v_add_co_ci_u32_e32 v4, vcc_lo, s55, v4, vcc_lo
	s_clause 0x1
	global_load_b32 v5, v[1:2], off
	global_load_b32 v6, v[3:4], off
	s_addc_u32 s68, s57, s3
	s_lshl_b32 s44, s14, 3
	s_delay_alu instid0(SALU_CYCLE_1) | instskip(NEXT) | instid1(SALU_CYCLE_1)
	s_ashr_i32 s45, s44, 31
	s_lshl_b64 s[44:45], s[44:45], 2
	s_delay_alu instid0(SALU_CYCLE_1) | instskip(SKIP_2) | instid1(SALU_CYCLE_1)
	s_add_u32 s44, s52, s44
	s_addc_u32 s45, s55, s45
	s_or_b32 s46, s12, 32
	s_ashr_i32 s47, s46, 5
	s_cmp_lt_i32 s46, s33
	s_cselect_b32 s46, s47, s13
	s_delay_alu instid0(SALU_CYCLE_1) | instskip(NEXT) | instid1(SALU_CYCLE_1)
	s_ashr_i32 s47, s46, 31
	s_lshl_b64 s[46:47], s[46:47], 2
	s_delay_alu instid0(SALU_CYCLE_1) | instskip(SKIP_2) | instid1(SALU_CYCLE_1)
	s_add_u32 s46, s52, s46
	s_addc_u32 s47, s55, s47
	s_or_b32 s48, s12, 64
	s_ashr_i32 s49, s48, 5
	s_cmp_lt_i32 s48, s33
	s_cselect_b32 s48, s49, s13
	;; [unrolled: 10-line block ×5, first 2 shown]
	s_delay_alu instid0(SALU_CYCLE_1) | instskip(NEXT) | instid1(SALU_CYCLE_1)
	s_ashr_i32 s57, s56, 31
	s_lshl_b64 s[56:57], s[56:57], 2
	s_delay_alu instid0(SALU_CYCLE_1)
	s_add_u32 s66, s52, s56
	s_addc_u32 s67, s55, s57
	s_clause 0x5
	s_load_b32 s62, s[44:45], 0x0
	s_load_b32 s61, s[46:47], 0x0
	;; [unrolled: 1-line block ×6, first 2 shown]
	s_mov_b32 s44, 0
	s_delay_alu instid0(SALU_CYCLE_1)
	s_mov_b32 s45, s44
	s_mov_b32 s46, s44
	;; [unrolled: 1-line block ×7, first 2 shown]
	v_mov_b32_e32 v119, s27
	v_mov_b32_e32 v117, s25
	s_or_b32 s24, s12, 0xc0
	v_dual_mov_b32 v131, s51 :: v_dual_mov_b32 v126, s46
	s_ashr_i32 s25, s24, 5
	s_cmp_lt_i32 s24, s33
	v_mov_b32_e32 v130, s50
	s_cselect_b32 s24, s25, s13
	v_dual_mov_b32 v129, s49 :: v_dual_mov_b32 v124, s44
	s_ashr_i32 s25, s24, 31
	v_mov_b32_e32 v128, s48
	s_lshl_b64 s[24:25], s[24:25], 2
	v_mov_b32_e32 v127, s47
	s_add_u32 s24, s52, s24
	s_addc_u32 s25, s55, s25
	s_or_b32 s28, s12, 0xe0
	v_mov_b32_e32 v125, s45
	s_ashr_i32 s30, s28, 5
	s_cmp_lt_i32 s28, s33
	s_waitcnt lgkmcnt(0)
	s_mul_hi_i32 s27, s62, s53
	s_cselect_b32 s30, s30, s13
	s_mul_i32 s26, s62, s53
	s_ashr_i32 s31, s30, 31
	s_mul_hi_i32 s29, s61, s53
	s_lshl_b64 s[30:31], s[30:31], 2
	s_mul_i32 s28, s61, s53
	s_add_u32 s30, s52, s30
	s_addc_u32 s31, s55, s31
	s_add_i32 s40, s12, 0x100
	s_mul_hi_i32 s37, s60, s53
	s_mul_i32 s36, s60, s53
	s_mul_hi_i32 s39, s57, s53
	s_mul_i32 s38, s57, s53
	;; [unrolled: 2-line block ×3, first 2 shown]
	s_ashr_i32 s41, s40, 5
	s_cmp_lt_i32 s40, s33
	s_cselect_b32 s40, s41, s13
	s_delay_alu instid0(SALU_CYCLE_1) | instskip(NEXT) | instid1(SALU_CYCLE_1)
	s_ashr_i32 s41, s40, 31
	s_lshl_b64 s[40:41], s[40:41], 2
	s_delay_alu instid0(SALU_CYCLE_1)
	s_add_u32 s40, s52, s40
	s_addc_u32 s41, s55, s41
	s_add_u32 s13, s58, s2
	s_waitcnt vmcnt(1)
	v_mad_i64_i32 v[1:2], null, v5, s53, 0
	s_waitcnt vmcnt(0)
	v_mad_i64_i32 v[3:4], null, v6, s53, 0
	v_lshlrev_b32_e32 v5, 4, v113
	s_delay_alu instid0(VALU_DEP_3) | instskip(NEXT) | instid1(VALU_DEP_3)
	v_lshlrev_b64 v[1:2], 1, v[1:2]
	v_lshlrev_b64 v[3:4], 1, v[3:4]
	s_delay_alu instid0(VALU_DEP_2) | instskip(NEXT) | instid1(VALU_DEP_3)
	v_add_co_u32 v1, vcc_lo, s63, v1
	v_add_co_ci_u32_e32 v2, vcc_lo, s68, v2, vcc_lo
	s_delay_alu instid0(VALU_DEP_3) | instskip(NEXT) | instid1(VALU_DEP_4)
	v_add_co_u32 v3, vcc_lo, s63, v3
	v_add_co_ci_u32_e32 v4, vcc_lo, s68, v4, vcc_lo
	s_delay_alu instid0(VALU_DEP_4) | instskip(NEXT) | instid1(VALU_DEP_4)
	v_add_co_u32 v17, vcc_lo, v1, v5
	v_add_co_ci_u32_e32 v18, vcc_lo, 0, v2, vcc_lo
	s_delay_alu instid0(VALU_DEP_4) | instskip(NEXT) | instid1(VALU_DEP_4)
	v_add_co_u32 v19, vcc_lo, v3, v5
	v_add_co_ci_u32_e32 v20, vcc_lo, 0, v4, vcc_lo
	s_clause 0xf
	global_load_b128 v[1:4], v[17:18], off
	global_load_b128 v[5:8], v[17:18], off offset:512
	global_load_b128 v[9:12], v[19:20], off offset:256
	;; [unrolled: 1-line block ×15, first 2 shown]
	v_lshl_or_b32 v17, v115, 10, v114
	s_clause 0x2
	s_load_b32 s44, s[24:25], 0x0
	s_load_b32 s45, s[30:31], 0x0
	;; [unrolled: 1-line block ×3, first 2 shown]
	s_addc_u32 s41, s59, s3
	s_lshl_b64 s[2:3], s[26:27], 1
	v_add_co_u32 v144, s13, s13, v17
	s_delay_alu instid0(VALU_DEP_1) | instskip(SKIP_1) | instid1(VALU_DEP_2)
	v_add_co_ci_u32_e64 v145, null, s41, 0, s13
	s_lshl_b64 s[26:27], s[28:29], 1
	v_add_co_u32 v17, vcc_lo, v144, s2
	s_delay_alu instid0(VALU_DEP_2)
	v_add_co_ci_u32_e32 v18, vcc_lo, s3, v145, vcc_lo
	v_add_co_u32 v19, vcc_lo, v144, s26
	s_lshl_b64 s[28:29], s[36:37], 1
	v_add_co_ci_u32_e32 v20, vcc_lo, s27, v145, vcc_lo
	v_add_co_u32 v21, vcc_lo, v144, s28
	s_lshl_b64 s[30:31], s[38:39], 1
	s_mul_hi_i32 s25, s56, s53
	s_mul_i32 s24, s56, s53
	v_add_co_ci_u32_e32 v22, vcc_lo, s29, v145, vcc_lo
	v_add_co_u32 v23, vcc_lo, v144, s30
	s_lshl_b64 s[24:25], s[24:25], 1
	v_add_co_ci_u32_e32 v24, vcc_lo, s31, v145, vcc_lo
	v_add_co_u32 v132, vcc_lo, v144, s24
	s_lshl_b64 s[36:37], s[42:43], 1
	s_waitcnt lgkmcnt(0)
	s_mul_hi_i32 s39, s44, s53
	s_mul_i32 s38, s44, s53
	v_add_co_ci_u32_e32 v133, vcc_lo, s25, v145, vcc_lo
	v_add_co_u32 v140, vcc_lo, v144, s36
	s_lshl_b64 s[38:39], s[38:39], 1
	v_add_co_ci_u32_e32 v141, vcc_lo, s37, v145, vcc_lo
	s_mul_hi_i32 s3, s45, s53
	s_mul_i32 s2, s45, s53
	v_add_co_u32 v142, vcc_lo, v144, s38
	s_lshl_b64 s[2:3], s[2:3], 1
	v_add_co_ci_u32_e32 v143, vcc_lo, s39, v145, vcc_lo
	s_clause 0x9
	global_load_b128 v[65:68], v[17:18], off
	global_load_b128 v[69:72], v[17:18], off offset:16
	global_load_b128 v[57:60], v[19:20], off
	global_load_b128 v[61:64], v[19:20], off offset:16
	global_load_b128 v[49:52], v[21:22], off
	global_load_b128 v[53:56], v[21:22], off offset:16
	global_load_b128 v[41:44], v[23:24], off
	global_load_b128 v[45:48], v[23:24], off offset:16
	global_load_b128 v[17:20], v[132:133], off
	global_load_b128 v[21:24], v[132:133], off offset:16
	s_mul_hi_i32 s25, s40, s53
	s_mul_i32 s24, s40, s53
	s_waitcnt vmcnt(24)
	v_wmma_f32_16x16x16_f16 v[132:139], v[1:8], v[33:40], v[124:131]
	s_waitcnt vmcnt(22)
	v_wmma_f32_16x16x16_f16 v[124:131], v[9:16], v[33:40], v[124:131]
	v_add_co_u32 v37, vcc_lo, v144, s2
	v_add_co_ci_u32_e32 v38, vcc_lo, s3, v145, vcc_lo
	s_lshl_b64 s[2:3], s[24:25], 1
	s_clause 0x1
	global_load_b128 v[9:12], v[140:141], off
	global_load_b128 v[13:16], v[140:141], off offset:16
	v_add_co_u32 v140, vcc_lo, v144, s2
	v_add_co_ci_u32_e32 v141, vcc_lo, s3, v145, vcc_lo
	s_clause 0x1
	global_load_b128 v[1:4], v[142:143], off
	global_load_b128 v[5:8], v[142:143], off offset:16
	s_waitcnt vmcnt(24)
	v_wmma_f32_16x16x16_f16 v[132:139], v[25:32], v[116:123], v[132:139]
	s_clause 0x3
	global_load_b128 v[33:36], v[37:38], off
	global_load_b128 v[37:40], v[37:38], off offset:16
	global_load_b128 v[25:28], v[140:141], off
	global_load_b128 v[29:32], v[140:141], off offset:16
	s_waitcnt vmcnt(26)
	v_wmma_f32_16x16x16_f16 v[124:131], v[105:112], v[116:123], v[124:131]
	v_and_b32_e32 v106, 0xe0, v0
	v_mbcnt_lo_u32_b32 v107, -1, 0
	v_dual_mov_b32 v123, s11 :: v_dual_mov_b32 v122, s10
	v_dual_mov_b32 v121, s9 :: v_dual_mov_b32 v120, s8
	;; [unrolled: 1-line block ×4, first 2 shown]
	v_bfe_u32 v105, v0, 4, 1
	v_add_nc_u32_e32 v106, s12, v106
	v_xor_b32_e32 v108, 16, v107
	s_waitcnt vmcnt(0)
	v_wmma_f32_16x16x16_f16 v[132:139], v[97:104], v[116:123], v[132:139]
	v_dual_mov_b32 v104, s23 :: v_dual_mov_b32 v103, s22
	v_or_b32_e32 v106, v106, v105
	v_dual_mov_b32 v102, s21 :: v_dual_mov_b32 v101, s20
	v_dual_mov_b32 v100, s19 :: v_dual_mov_b32 v99, s18
	;; [unrolled: 1-line block ×3, first 2 shown]
	v_cmp_gt_i32_e32 vcc_lo, 32, v108
	v_wmma_f32_16x16x16_f16 v[124:131], v[89:96], v[116:123], v[124:131]
	v_or_b32_e32 v109, 4, v106
	v_or_b32_e32 v110, 6, v106
	v_wmma_f32_16x16x16_f16 v[132:139], v[81:88], v[97:104], v[132:139]
	v_cndmask_b32_e32 v107, v107, v108, vcc_lo
	v_or_b32_e32 v108, 2, v106
	v_wmma_f32_16x16x16_f16 v[124:131], v[73:80], v[97:104], v[124:131]
	v_cmp_gt_i32_e32 vcc_lo, s33, v106
	v_dual_mul_f32 v74, s35, v138 :: v_dual_mul_f32 v77, s35, v135
	v_dual_mul_f32 v80, s35, v132 :: v_dual_mul_f32 v79, s35, v133
	s_delay_alu instid0(VALU_DEP_4)
	v_mul_f32_e32 v84, s35, v131
	v_cmp_gt_i32_e64 s2, s33, v108
	v_or_b32_e32 v111, 8, v106
	v_or_b32_e32 v112, 10, v106
	v_dual_mul_f32 v75, s35, v137 :: v_dual_mul_f32 v78, s35, v134
	v_cndmask_b32_e32 v80, 0xff7fffff, v80, vcc_lo
	v_cndmask_b32_e64 v79, 0xff7fffff, v79, s2
	v_cmp_gt_i32_e64 s3, s33, v109
	v_cmp_gt_i32_e64 s4, s33, v110
	v_or_b32_e32 v89, 12, v106
	v_or_b32_e32 v90, 14, v106
	v_dual_mul_f32 v73, s35, v139 :: v_dual_mul_f32 v76, s35, v136
	v_cndmask_b32_e64 v78, 0xff7fffff, v78, s3
	v_cndmask_b32_e64 v77, 0xff7fffff, v77, s4
	v_max3_f32 v79, v80, 0xff7fffff, v79
	v_cmp_gt_i32_e64 s5, s33, v111
	v_cmp_gt_i32_e64 s6, s33, v112
	v_or_b32_e32 v91, 16, v106
	v_or_b32_e32 v92, 18, v106
	v_max3_f32 v77, v79, v78, v77
	v_cndmask_b32_e64 v76, 0xff7fffff, v76, s5
	v_cndmask_b32_e64 v75, 0xff7fffff, v75, s6
	v_cmp_gt_i32_e64 s7, s33, v89
	v_cmp_gt_i32_e64 s8, s33, v90
	v_or_b32_e32 v93, 20, v106
	v_or_b32_e32 v94, 22, v106
	;; [unrolled: 1-line block ×3, first 2 shown]
	v_dual_mul_f32 v96, s35, v126 :: v_dual_mul_f32 v97, s35, v125
	v_mul_f32_e32 v98, s35, v124
	v_cndmask_b32_e64 v74, 0xff7fffff, v74, s7
	v_cndmask_b32_e64 v73, 0xff7fffff, v73, s8
	v_max3_f32 v75, v77, v76, v75
	v_cmp_gt_i32_e64 s9, s33, v91
	v_cmp_gt_i32_e64 s10, s33, v92
	v_or_b32_e32 v95, 24, v106
	v_dual_mul_f32 v87, s35, v128 :: v_dual_mul_f32 v88, s35, v127
	v_max3_f32 v73, v75, v74, v73
	s_delay_alu instid0(VALU_DEP_4)
	v_cndmask_b32_e64 v77, 0xff7fffff, v97, s10
	v_cmp_gt_i32_e64 s11, s33, v93
	v_cmp_gt_i32_e64 s12, s33, v94
	;; [unrolled: 1-line block ×3, first 2 shown]
	v_lshlrev_b32_e32 v81, 2, v107
	v_cndmask_b32_e64 v76, 0xff7fffff, v98, s9
	v_or_b32_e32 v82, 28, v106
	v_or_b32_e32 v83, 30, v106
	v_dual_mul_f32 v85, s35, v130 :: v_dual_mul_f32 v86, s35, v129
	v_cndmask_b32_e64 v74, 0xff7fffff, v96, s11
	v_cndmask_b32_e64 v75, 0xff7fffff, v88, s12
	v_max3_f32 v73, v73, v76, v77
	v_cmp_gt_i32_e64 s13, s33, v95
	v_cndmask_b32_e64 v77, 0xff7fffff, v86, s16
	v_cmp_gt_i32_e64 s17, s33, v82
	v_cmp_gt_i32_e64 s18, s33, v83
	v_max3_f32 v73, v73, v74, v75
	v_cndmask_b32_e64 v76, 0xff7fffff, v87, s13
	s_barrier
	v_cndmask_b32_e64 v74, 0xff7fffff, v85, s17
	v_cndmask_b32_e64 v75, 0xff7fffff, v84, s18
	buffer_gl0_inv
	v_max3_f32 v73, v73, v76, v77
	s_delay_alu instid0(VALU_DEP_1) | instskip(SKIP_3) | instid1(VALU_DEP_1)
	v_max3_f32 v73, v73, v74, v75
	ds_bpermute_b32 v74, v81, v73
	s_waitcnt lgkmcnt(0)
	v_max_f32_e32 v74, v74, v74
	v_max_f32_e32 v73, v73, v74
	s_delay_alu instid0(VALU_DEP_1) | instskip(SKIP_4) | instid1(VALU_DEP_4)
	v_fma_f32 v74, s35, v132, -v73
	v_fma_f32 v77, s35, v135, -v73
	v_fma_f32 v75, s35, v133, -v73
	v_fma_f32 v76, s35, v134, -v73
	v_fma_f32 v78, s35, v136, -v73
	v_dual_mul_f32 v74, 0x3fb8aa3b, v74 :: v_dual_mul_f32 v79, 0x3fb8aa3b, v77
	s_delay_alu instid0(VALU_DEP_4) | instskip(SKIP_1) | instid1(VALU_DEP_3)
	v_mul_f32_e32 v75, 0x3fb8aa3b, v75
	v_fma_f32 v83, s35, v138, -v73
	v_exp_f32_e32 v74, v74
	v_mul_f32_e32 v76, 0x3fb8aa3b, v76
	s_delay_alu instid0(VALU_DEP_3) | instskip(SKIP_1) | instid1(TRANS32_DEP_3)
	v_exp_f32_e32 v75, v75
	v_exp_f32_e32 v82, v79
	v_cndmask_b32_e32 v77, 0, v74, vcc_lo
	s_delay_alu instid0(VALU_DEP_2) | instskip(SKIP_2) | instid1(TRANS32_DEP_3)
	v_exp_f32_e32 v80, v76
	v_fma_f32 v74, s35, v137, -v73
	v_mul_f32_e32 v78, 0x3fb8aa3b, v78
	v_cndmask_b32_e64 v76, 0, v75, s2
	s_delay_alu instid0(VALU_DEP_3) | instskip(NEXT) | instid1(VALU_DEP_3)
	v_dual_add_f32 v75, 0, v77 :: v_dual_mul_f32 v74, 0x3fb8aa3b, v74
	v_exp_f32_e32 v84, v78
	s_delay_alu instid0(TRANS32_DEP_3) | instskip(NEXT) | instid1(VALU_DEP_2)
	v_cndmask_b32_e64 v78, 0, v82, s4
	v_add_f32_e32 v75, v75, v76
	s_delay_alu instid0(TRANS32_DEP_2) | instskip(SKIP_4) | instid1(VALU_DEP_3)
	v_cndmask_b32_e64 v79, 0, v80, s3
	v_fma_f32 v80, s35, v139, -v73
	v_mul_f32_e32 v83, 0x3fb8aa3b, v83
	v_exp_f32_e32 v74, v74
	v_fma_f32 v82, s35, v124, -v73
	v_dual_add_f32 v75, v75, v79 :: v_dual_mul_f32 v80, 0x3fb8aa3b, v80
	s_delay_alu instid0(VALU_DEP_3) | instskip(SKIP_1) | instid1(VALU_DEP_3)
	v_exp_f32_e32 v83, v83
	v_cndmask_b32_e64 v87, 0, v84, s5
	v_mul_f32_e32 v82, 0x3fb8aa3b, v82
	v_fma_f32 v84, s35, v125, -v73
	v_exp_f32_e32 v85, v80
	v_add_f32_e32 v75, v75, v78
	s_delay_alu instid0(TRANS32_DEP_3)
	v_cndmask_b32_e64 v80, 0, v74, s6
	v_exp_f32_e32 v82, v82
	v_mul_f32_e32 v84, 0x3fb8aa3b, v84
	s_mov_b32 s3, exec_lo
	v_cndmask_b32_e64 v89, 0, v83, s7
	v_fma_f32 v83, s35, v127, -v73
	s_delay_alu instid0(VALU_DEP_3) | instskip(NEXT) | instid1(TRANS32_DEP_3)
	v_exp_f32_e32 v84, v84
	v_cndmask_b32_e64 v88, 0, v85, s8
	v_fma_f32 v85, s35, v128, -v73
	v_add_f32_e32 v74, v75, v87
	v_fma_f32 v75, s35, v126, -v73
	v_mul_f32_e32 v83, 0x3fb8aa3b, v83
	v_cndmask_b32_e64 v91, 0, v82, s9
	s_delay_alu instid0(VALU_DEP_4) | instskip(NEXT) | instid1(VALU_DEP_4)
	v_dual_mul_f32 v85, 0x3fb8aa3b, v85 :: v_dual_add_f32 v74, v74, v80
	v_mul_f32_e32 v75, 0x3fb8aa3b, v75
	s_delay_alu instid0(VALU_DEP_4)
	v_exp_f32_e32 v83, v83
	v_fma_f32 v82, s35, v129, -v73
	v_cndmask_b32_e64 v90, 0, v84, s10
	v_add_f32_e32 v74, v74, v89
	v_exp_f32_e32 v75, v75
	v_fma_f32 v84, s35, v130, -v73
	v_mul_f32_e32 v82, 0x3fb8aa3b, v82
	v_exp_f32_e32 v85, v85
	s_delay_alu instid0(TRANS32_DEP_3) | instskip(SKIP_3) | instid1(TRANS32_DEP_3)
	v_cndmask_b32_e64 v92, 0, v83, s12
	v_fma_f32 v83, s35, v131, -v73
	v_add_f32_e32 v74, v74, v88
	v_exp_f32_e32 v82, v82
	v_cndmask_b32_e64 v93, 0, v75, s11
	v_mul_f32_e32 v75, 0x3fb8aa3b, v84
	v_mul_f32_e32 v83, 0x3fb8aa3b, v83
	v_add_f32_e32 v74, v74, v91
	s_delay_alu instid0(TRANS32_DEP_2) | instskip(NEXT) | instid1(VALU_DEP_4)
	v_cndmask_b32_e64 v95, 0, v85, s13
	v_exp_f32_e32 v75, v75
	s_delay_alu instid0(VALU_DEP_2) | instskip(NEXT) | instid1(TRANS32_DEP_2)
	v_add_f32_e32 v74, v74, v90
	v_cndmask_b32_e64 v94, 0, v82, s16
	v_exp_f32_e32 v82, v83
	s_delay_alu instid0(VALU_DEP_2) | instskip(SKIP_4) | instid1(VALU_DEP_2)
	v_add_f32_e32 v74, v74, v93
	s_waitcnt_depctr 0xfff
	v_cndmask_b32_e64 v97, 0, v75, s17
	v_add_f32_e32 v74, v74, v92
	v_cndmask_b32_e64 v96, 0, v82, s18
	v_add_f32_e32 v74, v74, v95
	s_delay_alu instid0(VALU_DEP_1) | instskip(NEXT) | instid1(VALU_DEP_1)
	v_add_f32_e32 v74, v74, v94
	v_add_f32_e32 v74, v74, v97
	s_delay_alu instid0(VALU_DEP_1) | instskip(SKIP_2) | instid1(VALU_DEP_1)
	v_add_f32_e32 v74, v74, v96
	ds_bpermute_b32 v75, v81, v74
	v_and_b32_e32 v81, 31, v0
	v_cmp_lt_u32_e64 s2, 15, v81
	v_cmpx_gt_u32_e32 16, v81
	s_cbranch_execz .LBB150_11
; %bb.10:
	v_mul_u32_u24_e32 v81, 0x44, v115
	s_delay_alu instid0(VALU_DEP_1) | instskip(SKIP_1) | instid1(VALU_DEP_1)
	v_lshl_add_u32 v81, v113, 2, v81
	s_waitcnt lgkmcnt(0)
	v_dual_add_f32 v74, v74, v75 :: v_dual_add_nc_u32 v75, 0x4000, v81
	ds_store_2addr_b32 v75, v73, v74 offset1:136
.LBB150_11:
	s_or_b32 exec_lo, exec_lo, s3
	v_lshlrev_b32_e32 v73, 2, v113
	s_load_b64 s[36:37], s[0:1], 0x94
	s_waitcnt lgkmcnt(0)
	s_barrier
	buffer_gl0_inv
	v_add_nc_u32_e32 v73, 0x4000, v73
	v_cmp_eq_u32_e32 vcc_lo, 1, v115
	v_cmp_eq_u32_e64 s3, 2, v115
	v_cmp_eq_u32_e64 s4, 3, v115
	;; [unrolled: 1-line block ×3, first 2 shown]
	ds_load_2addr_b32 v[81:82], v73 offset1:17
	ds_load_2addr_b32 v[83:84], v73 offset0:34 offset1:51
	ds_load_2addr_b32 v[85:86], v73 offset0:68 offset1:85
	;; [unrolled: 1-line block ×4, first 2 shown]
	v_cmp_eq_u32_e64 s7, 5, v115
	v_cmp_eq_u32_e64 s5, 6, v115
	s_waitcnt lgkmcnt(4)
	v_max3_f32 v74, v81, 0xff7fffff, v82
	s_waitcnt lgkmcnt(3)
	s_delay_alu instid0(VALU_DEP_1) | instskip(SKIP_1) | instid1(VALU_DEP_1)
	v_max3_f32 v74, v74, v83, v84
	s_waitcnt lgkmcnt(2)
	v_max3_f32 v74, v74, v85, v86
	s_waitcnt lgkmcnt(1)
	s_delay_alu instid0(VALU_DEP_1) | instskip(NEXT) | instid1(VALU_DEP_1)
	v_max3_f32 v74, v74, v98, v99
	v_sub_f32_e32 v83, v83, v74
	v_sub_f32_e32 v75, v81, v74
	;; [unrolled: 1-line block ×3, first 2 shown]
	s_delay_alu instid0(VALU_DEP_3) | instskip(NEXT) | instid1(VALU_DEP_2)
	v_dual_sub_f32 v85, v85, v74 :: v_dual_mul_f32 v104, 0x3fb8aa3b, v83
	v_dual_mul_f32 v75, 0x3fb8aa3b, v75 :: v_dual_mul_f32 v102, 0x3fb8aa3b, v102
	s_delay_alu instid0(VALU_DEP_2) | instskip(NEXT) | instid1(VALU_DEP_1)
	v_exp_f32_e32 v104, v104
	v_exp_f32_e32 v103, v75
	v_sub_f32_e32 v75, v84, v74
	s_delay_alu instid0(VALU_DEP_2) | instskip(NEXT) | instid1(VALU_DEP_1)
	v_exp_f32_e32 v102, v102
	v_mul_f32_e32 v106, 0x3fb8aa3b, v75
	s_waitcnt lgkmcnt(0)
	s_waitcnt_depctr 0xfff
	v_fma_f32 v75, v103, v100, 0
	v_sub_f32_e32 v100, v86, v74
	ds_load_2addr_b32 v[81:82], v73 offset0:170 offset1:187
	v_exp_f32_e32 v106, v106
	ds_load_2addr_b32 v[83:84], v73 offset0:204 offset1:221
	v_fmac_f32_e32 v75, v102, v101
	s_waitcnt lgkmcnt(1)
	s_delay_alu instid0(VALU_DEP_1) | instskip(SKIP_1) | instid1(VALU_DEP_2)
	v_fmac_f32_e32 v75, v104, v81
	v_sub_f32_e32 v81, v99, v74
	v_dual_fmac_f32 v75, v106, v82 :: v_dual_lshlrev_b32 v82, 2, v105
	v_mul_f32_e32 v107, 0x3fb8aa3b, v85
	ds_load_2addr_b32 v[85:86], v73 offset0:238 offset1:255
	v_dual_sub_f32 v73, v98, v74 :: v_dual_mul_f32 v98, 0x3fb8aa3b, v100
	v_mul_f32_e32 v81, 0x3fb8aa3b, v81
	v_exp_f32_e32 v100, v107
	s_waitcnt lgkmcnt(0)
	s_delay_alu instid0(VALU_DEP_2)
	v_mul_f32_e32 v73, 0x3fb8aa3b, v73
	v_exp_f32_e32 v98, v98
	v_exp_f32_e32 v101, v81
	v_cndmask_b32_e32 v81, v103, v102, vcc_lo
	s_barrier
	v_exp_f32_e32 v99, v73
	buffer_gl0_inv
	v_cmp_eq_u32_e64 s8, 7, v82
	v_fmac_f32_e32 v75, v100, v83
	v_lshl_or_b32 v83, v115, 11, v114
	s_delay_alu instid0(VALU_DEP_2) | instskip(NEXT) | instid1(VALU_DEP_1)
	v_fmac_f32_e32 v75, v98, v84
	v_fmac_f32_e32 v75, v99, v85
	s_delay_alu instid0(VALU_DEP_1) | instskip(SKIP_1) | instid1(VALU_DEP_2)
	v_fmac_f32_e32 v75, v101, v86
	v_or_b32_e32 v86, 2, v82
	v_add_f32_e32 v107, 0x358637bd, v75
	s_delay_alu instid0(VALU_DEP_2)
	v_cmp_eq_u32_e64 s10, 1, v86
	v_cmp_eq_u32_e64 s16, 2, v86
	;; [unrolled: 1-line block ×4, first 2 shown]
	v_div_scale_f32 v108, null, v107, v107, 1.0
	v_div_scale_f32 v102, vcc_lo, 1.0, v107, 1.0
	v_cmp_eq_u32_e64 s24, 5, v86
	s_delay_alu instid0(VALU_DEP_3) | instskip(SKIP_4) | instid1(VALU_DEP_1)
	v_rcp_f32_e32 v109, v108
	v_cmp_eq_u32_e64 s27, 6, v86
	v_cmp_eq_u32_e64 s29, 7, v86
	s_waitcnt_depctr 0xfff
	v_fma_f32 v73, -v108, v109, 1.0
	v_fmac_f32_e32 v109, v73, v109
	v_cndmask_b32_e64 v73, v81, v104, s3
	v_cmp_eq_u32_e64 s3, 7, v115
	v_lshl_or_b32 v81, v105, 4, v83
	s_delay_alu instid0(VALU_DEP_4) | instskip(NEXT) | instid1(VALU_DEP_4)
	v_mul_f32_e32 v103, v102, v109
	v_cndmask_b32_e64 v73, v73, v106, s4
	v_cmp_eq_u32_e64 s4, 1, v82
	s_delay_alu instid0(VALU_DEP_3) | instskip(NEXT) | instid1(VALU_DEP_3)
	v_fma_f32 v84, -v108, v103, v102
	v_cndmask_b32_e64 v85, v73, v100, s6
	v_cmp_eq_u32_e64 s6, 4, v82
	v_mov_b32_e32 v73, 0
	s_delay_alu instid0(VALU_DEP_4) | instskip(NEXT) | instid1(VALU_DEP_4)
	v_fmac_f32_e32 v103, v84, v109
	v_cndmask_b32_e64 v98, v85, v98, s7
	v_or_b32_e32 v84, 1, v82
	v_or_b32_e32 v85, 3, v82
	v_cmp_eq_u32_e64 s7, 6, v82
	v_fma_f32 v100, -v108, v103, v102
	v_cndmask_b32_e64 v98, v98, v99, s5
	v_cmp_eq_u32_e64 s9, 1, v84
	v_cmp_eq_u32_e64 s11, 1, v85
	;; [unrolled: 1-line block ×3, first 2 shown]
	v_div_fmas_f32 v99, v100, v109, v103
	v_cndmask_b32_e64 v98, v98, v101, s3
	v_cmp_eq_u32_e32 vcc_lo, 2, v82
	v_cmp_eq_u32_e64 s17, 2, v85
	v_cmp_eq_u32_e64 s5, 3, v82
	v_div_fixup_f32 v99, v99, v107, 1.0
	v_cmp_eq_u32_e64 s13, 3, v84
	v_cmp_eq_u32_e64 s19, 3, v85
	;; [unrolled: 1-line block ×4, first 2 shown]
	v_mul_f32_e32 v102, v98, v99
	v_cmp_eq_u32_e64 s3, 5, v82
	v_cmp_eq_u32_e64 s21, 5, v84
	;; [unrolled: 1-line block ×4, first 2 shown]
	v_fma_mixlo_f16 v98, v102, v77, 0
	v_fma_mixlo_f16 v99, v102, v79, 0
	;; [unrolled: 1-line block ×8, first 2 shown]
	v_fma_mixhi_f16 v98, v102, v76, 0
	v_fma_mixhi_f16 v99, v102, v78, 0
	;; [unrolled: 1-line block ×8, first 2 shown]
	ds_store_b128 v81, v[98:101]
	ds_store_b128 v81, v[106:109] offset:1024
	s_waitcnt lgkmcnt(0)
	s_barrier
	buffer_gl0_inv
	ds_load_b128 v[76:79], v83
	ds_load_b128 v[87:90], v83 offset:16
	ds_load_b128 v[91:94], v83 offset:1024
	;; [unrolled: 1-line block ×3, first 2 shown]
	v_cmp_eq_u32_e64 s28, 6, v85
	v_cmp_eq_u32_e64 s30, 7, v85
	;; [unrolled: 1-line block ×3, first 2 shown]
	s_waitcnt lgkmcnt(3)
	v_lshrrev_b32_e32 v80, 16, v76
	s_waitcnt lgkmcnt(2)
	v_lshrrev_b32_e32 v102, 16, v87
	;; [unrolled: 2-line block ×4, first 2 shown]
	v_lshrrev_b32_e32 v99, 16, v77
	v_cndmask_b32_e64 v117, v76, v80, s4
	v_cndmask_b32_e64 v118, v87, v102, s4
	;; [unrolled: 1-line block ×7, first 2 shown]
	v_lshrrev_b32_e32 v103, 16, v88
	v_cndmask_b32_e64 v122, v87, v102, s10
	v_cndmask_b32_e64 v87, v91, v107, s4
	;; [unrolled: 1-line block ×9, first 2 shown]
	v_cndmask_b32_e32 v107, v117, v77, vcc_lo
	v_cndmask_b32_e32 v111, v118, v88, vcc_lo
	v_cndmask_b32_e64 v117, v119, v77, s12
	v_cndmask_b32_e64 v118, v120, v88, s12
	v_cndmask_b32_e64 v119, v121, v77, s16
	v_cndmask_b32_e64 v76, v76, v77, s17
	v_cndmask_b32_e64 v77, v80, v88, s17
	v_lshrrev_b32_e32 v108, 16, v92
	v_lshrrev_b32_e32 v112, 16, v96
	v_cndmask_b32_e64 v120, v122, v88, s16
	v_cndmask_b32_e32 v80, v87, v92, vcc_lo
	v_cndmask_b32_e32 v87, v102, v96, vcc_lo
	v_cndmask_b32_e64 v88, v123, v92, s12
	v_cndmask_b32_e64 v102, v125, v92, s16
	;; [unrolled: 1-line block ×10, first 2 shown]
	v_lshrrev_b32_e32 v100, 16, v78
	v_lshrrev_b32_e32 v104, 16, v89
	v_cndmask_b32_e64 v118, v119, v99, s18
	v_cndmask_b32_e64 v119, v120, v103, s18
	;; [unrolled: 1-line block ×11, first 2 shown]
	v_lshrrev_b32_e32 v109, 16, v93
	v_cndmask_b32_e64 v111, v118, v78, s22
	v_cndmask_b32_e64 v117, v119, v89, s22
	;; [unrolled: 1-line block ×11, first 2 shown]
	v_lshrrev_b32_e32 v101, 16, v79
	v_lshrrev_b32_e32 v106, 16, v90
	v_cndmask_b32_e64 v103, v111, v100, s24
	v_cndmask_b32_e64 v107, v117, v104, s24
	;; [unrolled: 1-line block ×9, first 2 shown]
	v_lshrrev_b32_e32 v110, 16, v94
	v_cndmask_b32_e64 v78, v78, v109, s3
	v_cndmask_b32_e64 v100, v103, v79, s27
	;; [unrolled: 1-line block ×14, first 2 shown]
	v_perm_b32 v79, v77, v76, 0x5040100
	v_perm_b32 v77, v99, v89, 0x5040100
	v_cndmask_b32_e64 v76, v126, v96, s16
	v_cndmask_b32_e64 v89, v124, v96, s12
	v_cndmask_b32_e64 v100, v78, v110, s8
	v_perm_b32 v78, v95, v90, 0x5040100
	v_cndmask_b32_e64 v90, v102, v108, s18
	v_cndmask_b32_e64 v91, v91, v108, s19
	;; [unrolled: 1-line block ×5, first 2 shown]
	v_lshrrev_b32_e32 v115, 16, v97
	v_cndmask_b32_e64 v90, v90, v93, s22
	v_cndmask_b32_e64 v91, v91, v93, s23
	;; [unrolled: 1-line block ×11, first 2 shown]
	v_lshrrev_b32_e32 v116, 16, v98
	v_cndmask_b32_e64 v80, v80, v98, s7
	v_cndmask_b32_e64 v90, v90, v94, s27
	;; [unrolled: 1-line block ×12, first 2 shown]
	v_perm_b32 v76, v88, v87, 0x5040100
	v_perm_b32 v90, v91, v90, 0x5040100
	;; [unrolled: 1-line block ×5, first 2 shown]
	s_mov_b32 s3, exec_lo
	ds_store_b128 v81, v[76:79]
	ds_store_b128 v81, v[87:90] offset:1024
	v_cmpx_eq_u32_e32 0, v0
	s_cbranch_execz .LBB150_13
; %bb.12:
	s_load_b128 s[4:7], s[0:1], 0x58
	s_mul_i32 s8, s37, s34
	s_delay_alu instid0(SALU_CYCLE_1) | instskip(NEXT) | instid1(SALU_CYCLE_1)
	s_add_i32 s8, s8, s15
	s_mul_i32 s8, s8, s36
	s_delay_alu instid0(SALU_CYCLE_1) | instskip(NEXT) | instid1(SALU_CYCLE_1)
	s_add_i32 s8, s8, s14
	s_ashr_i32 s9, s8, 31
	s_delay_alu instid0(SALU_CYCLE_1)
	s_lshl_b64 s[8:9], s[8:9], 2
	s_waitcnt lgkmcnt(0)
	s_add_u32 s6, s6, s8
	s_addc_u32 s7, s7, s9
	s_add_u32 s4, s4, s8
	s_addc_u32 s5, s5, s9
	s_clause 0x1
	global_store_b32 v73, v74, s[6:7]
	global_store_b32 v73, v75, s[4:5]
.LBB150_13:
	s_or_b32 exec_lo, exec_lo, s3
	s_waitcnt lgkmcnt(0)
	s_waitcnt_vscnt null, 0x0
	s_barrier
	buffer_gl0_inv
	ds_load_b128 v[87:90], v114
	ds_load_b128 v[91:94], v114 offset:16
	ds_load_b128 v[99:102], v114 offset:1040
	;; [unrolled: 1-line block ×5, first 2 shown]
	v_mov_b32_e32 v74, v73
	v_mov_b32_e32 v75, v73
	;; [unrolled: 1-line block ×7, first 2 shown]
	ds_load_b128 v[127:130], v114 offset:3088
	ds_load_b128 v[123:126], v114 offset:3072
	;; [unrolled: 1-line block ×4, first 2 shown]
	v_cmp_eq_u32_e32 vcc_lo, 1, v86
	v_cmp_eq_u32_e64 s3, 1, v82
	v_cmp_eq_u32_e64 s4, 1, v85
	;; [unrolled: 1-line block ×4, first 2 shown]
	s_waitcnt lgkmcnt(8)
	v_wmma_f32_16x16x16_f16 v[73:80], v[65:72], v[87:94], v[73:80]
	ds_load_b128 v[69:72], v114 offset:5136
	ds_load_b128 v[65:68], v114 offset:5120
	;; [unrolled: 1-line block ×4, first 2 shown]
	s_waitcnt lgkmcnt(10)
	v_wmma_f32_16x16x16_f16 v[73:80], v[57:64], v[95:102], v[73:80]
	s_waitcnt lgkmcnt(8)
	s_delay_alu instid0(VALU_DEP_1)
	v_wmma_f32_16x16x16_f16 v[73:80], v[57:64], v[115:122], v[73:80]
	ds_load_b128 v[61:64], v114 offset:7184
	ds_load_b128 v[57:60], v114 offset:7168
	;; [unrolled: 1-line block ×4, first 2 shown]
	s_waitcnt lgkmcnt(10)
	v_wmma_f32_16x16x16_f16 v[73:80], v[49:56], v[123:130], v[73:80]
	s_waitcnt lgkmcnt(8)
	s_delay_alu instid0(VALU_DEP_1)
	v_wmma_f32_16x16x16_f16 v[73:80], v[49:56], v[131:138], v[73:80]
	ds_load_b128 v[53:56], v114 offset:9232
	ds_load_b128 v[49:52], v114 offset:9216
	s_waitcnt lgkmcnt(8)
	v_wmma_f32_16x16x16_f16 v[73:80], v[41:48], v[65:72], v[73:80]
	ds_load_b128 v[69:72], v114 offset:10256
	ds_load_b128 v[65:68], v114 offset:10240
	s_waitcnt lgkmcnt(8)
	;; [unrolled: 4-line block ×7, first 2 shown]
	s_barrier
	buffer_gl0_inv
	v_wmma_f32_16x16x16_f16 v[73:80], v[1:8], v[41:48], v[73:80]
	s_delay_alu instid0(VALU_DEP_1) | instskip(NEXT) | instid1(VALU_DEP_1)
	v_wmma_f32_16x16x16_f16 v[73:80], v[1:8], v[57:64], v[73:80]
	v_wmma_f32_16x16x16_f16 v[73:80], v[33:40], v[17:24], v[73:80]
	s_delay_alu instid0(VALU_DEP_1) | instskip(NEXT) | instid1(VALU_DEP_1)
	v_wmma_f32_16x16x16_f16 v[73:80], v[33:40], v[49:56], v[73:80]
	v_wmma_f32_16x16x16_f16 v[73:80], v[25:32], v[9:16], v[73:80]
	s_delay_alu instid0(VALU_DEP_1) | instskip(NEXT) | instid1(VALU_DEP_2)
	v_cvt_f16_f32_e32 v1, v73
	v_cvt_f16_f32_e32 v2, v74
	s_delay_alu instid0(VALU_DEP_3) | instskip(NEXT) | instid1(VALU_DEP_4)
	v_cvt_f16_f32_e32 v3, v75
	v_cvt_f16_f32_e32 v4, v76
	;; [unrolled: 1-line block ×6, first 2 shown]
	v_pack_b32_f16 v1, v1, v2
	v_pack_b32_f16 v2, v3, v4
	v_pack_b32_f16 v3, v5, v6
	s_delay_alu instid0(VALU_DEP_4)
	v_pack_b32_f16 v4, v7, v8
	ds_store_b128 v81, v[1:4]
	s_waitcnt lgkmcnt(0)
	s_barrier
	buffer_gl0_inv
	ds_load_b128 v[1:4], v83
	ds_load_b128 v[5:8], v83 offset:16
	s_waitcnt lgkmcnt(1)
	v_lshrrev_b32_e32 v9, 16, v1
	s_waitcnt lgkmcnt(0)
	v_lshrrev_b32_e32 v13, 16, v5
	v_lshrrev_b32_e32 v15, 16, v7
	v_lshrrev_b32_e32 v10, 16, v2
	v_lshrrev_b32_e32 v14, 16, v6
	v_cndmask_b32_e64 v17, v1, v9, s3
	v_cndmask_b32_e64 v18, v5, v13, s3
	v_cndmask_b32_e64 v19, v1, v9, s5
	v_cmp_eq_u32_e64 s3, 2, v84
	v_cndmask_b32_e64 v20, v5, v13, s5
	v_cndmask_b32_e32 v21, v1, v9, vcc_lo
	v_cndmask_b32_e32 v22, v5, v13, vcc_lo
	v_cndmask_b32_e64 v1, v1, v9, s4
	v_cndmask_b32_e64 v5, v5, v13, s4
	v_cmp_eq_u32_e32 vcc_lo, 2, v86
	v_cmp_eq_u32_e64 s4, 2, v85
	v_cndmask_b32_e64 v9, v17, v2, s6
	v_cndmask_b32_e64 v13, v18, v6, s6
	;; [unrolled: 1-line block ×4, first 2 shown]
	v_cndmask_b32_e32 v19, v21, v2, vcc_lo
	v_cmp_eq_u32_e64 s3, 3, v86
	v_cndmask_b32_e32 v20, v22, v6, vcc_lo
	v_cndmask_b32_e64 v1, v1, v2, s4
	v_cmp_eq_u32_e32 vcc_lo, 3, v85
	v_cmp_eq_u32_e64 s5, 3, v82
	v_cndmask_b32_e64 v2, v5, v6, s4
	v_cmp_eq_u32_e64 s4, 3, v84
	v_lshrrev_b32_e32 v16, 16, v8
	v_cmp_eq_u32_e64 s6, 4, v82
	v_cndmask_b32_e64 v5, v9, v10, s5
	v_cndmask_b32_e64 v6, v13, v14, s5
	;; [unrolled: 1-line block ×3, first 2 shown]
	v_cmp_eq_u32_e64 s5, 4, v84
	v_cndmask_b32_e64 v13, v18, v14, s4
	v_cndmask_b32_e64 v17, v19, v10, s3
	;; [unrolled: 1-line block ×3, first 2 shown]
	v_cndmask_b32_e32 v1, v1, v10, vcc_lo
	v_cndmask_b32_e32 v2, v2, v14, vcc_lo
	v_cmp_eq_u32_e32 vcc_lo, 4, v86
	v_cmp_eq_u32_e64 s4, 4, v85
	v_lshrrev_b32_e32 v11, 16, v3
	v_cndmask_b32_e64 v5, v5, v3, s6
	v_cndmask_b32_e64 v6, v6, v7, s6
	;; [unrolled: 1-line block ×4, first 2 shown]
	v_cndmask_b32_e32 v13, v17, v3, vcc_lo
	v_cmp_eq_u32_e64 s3, 5, v86
	v_cndmask_b32_e32 v14, v18, v7, vcc_lo
	v_cndmask_b32_e64 v1, v1, v3, s4
	v_cmp_eq_u32_e32 vcc_lo, 5, v85
	v_cmp_eq_u32_e64 s5, 5, v82
	v_cndmask_b32_e64 v2, v2, v7, s4
	v_cmp_eq_u32_e64 s4, 5, v84
	v_cmp_eq_u32_e64 s6, 6, v82
	v_cndmask_b32_e32 v1, v1, v11, vcc_lo
	v_cndmask_b32_e64 v3, v5, v11, s5
	v_cndmask_b32_e64 v5, v6, v15, s5
	;; [unrolled: 1-line block ×6, first 2 shown]
	v_cndmask_b32_e32 v2, v2, v15, vcc_lo
	v_cmp_eq_u32_e32 vcc_lo, 6, v86
	v_cmp_eq_u32_e64 s3, 6, v85
	v_cmp_eq_u32_e64 s5, 6, v84
	v_lshrrev_b32_e32 v12, 16, v4
	v_cndmask_b32_e64 v3, v3, v4, s6
	v_cndmask_b32_e64 v5, v5, v8, s6
	v_cndmask_b32_e32 v9, v9, v4, vcc_lo
	v_cndmask_b32_e32 v10, v10, v8, vcc_lo
	v_cndmask_b32_e64 v1, v1, v4, s3
	v_cmp_eq_u32_e32 vcc_lo, 7, v85
	v_cndmask_b32_e64 v2, v2, v8, s3
	v_cmp_eq_u32_e64 s3, 7, v82
	v_cndmask_b32_e64 v6, v6, v4, s5
	v_cndmask_b32_e64 v7, v7, v8, s5
	v_cmp_eq_u32_e64 s4, 7, v86
	v_cndmask_b32_e32 v2, v2, v16, vcc_lo
	v_cmp_eq_u32_e64 s5, 7, v84
	v_cndmask_b32_e64 v8, v3, v12, s3
	v_cndmask_b32_e32 v1, v1, v12, vcc_lo
	v_cndmask_b32_e64 v5, v5, v16, s3
	v_cmp_lt_u32_e32 vcc_lo, 31, v0
	v_cmp_lt_u32_e64 s3, 7, v113
	v_cndmask_b32_e64 v6, v6, v12, s5
	v_cndmask_b32_e64 v3, v9, v12, s4
	v_cndmask_b32_e64 v9, v10, v16, s4
	v_cndmask_b32_e64 v7, v7, v16, s5
	s_or_b32 s3, vcc_lo, s3
	v_perm_b32 v4, v2, v1, 0x5040100
	v_perm_b32 v1, v5, v8, 0x5040100
	;; [unrolled: 1-line block ×4, first 2 shown]
	s_or_b32 s2, s2, s3
	s_delay_alu instid0(SALU_CYCLE_1)
	s_xor_b32 s2, s2, -1
	ds_store_b128 v81, v[1:4]
	s_waitcnt lgkmcnt(0)
	s_barrier
	buffer_gl0_inv
	s_and_saveexec_b32 s3, s2
	s_cbranch_execz .LBB150_2
; %bb.14:
	s_load_b64 s[0:1], s[0:1], 0x68
	v_lshlrev_b32_e32 v1, 10, v0
	v_and_b32_e32 v0, 1, v0
	v_lshlrev_b32_e32 v2, 6, v105
	s_lshl_b32 s4, s36, 6
	v_lshlrev_b32_e32 v4, 3, v113
	v_and_b32_e32 v1, 0x3800, v1
	v_lshlrev_b32_e32 v0, 4, v0
	s_mul_i32 s2, s4, s34
	s_delay_alu instid0(SALU_CYCLE_1) | instskip(SKIP_1) | instid1(VALU_DEP_2)
	s_mul_i32 s2, s2, s37
	v_lshlrev_b32_e32 v4, 1, v4
	v_or3_b32 v0, v1, v2, v0
	s_ashr_i32 s3, s2, 31
	s_delay_alu instid0(SALU_CYCLE_1)
	s_lshl_b64 s[2:3], s[2:3], 1
	ds_load_b128 v[0:3], v0
	s_waitcnt lgkmcnt(0)
	s_add_u32 s5, s0, s2
	s_addc_u32 s3, s1, s3
	s_lshl_b32 s0, s14, 6
	s_mul_i32 s2, s4, s15
	s_ashr_i32 s1, s0, 31
	s_delay_alu instid0(SALU_CYCLE_1) | instskip(NEXT) | instid1(SALU_CYCLE_1)
	s_lshl_b64 s[0:1], s[0:1], 1
	s_add_u32 s4, s5, s0
	s_addc_u32 s5, s3, s1
	s_ashr_i32 s3, s2, 31
	s_delay_alu instid0(SALU_CYCLE_1) | instskip(NEXT) | instid1(SALU_CYCLE_1)
	s_lshl_b64 s[0:1], s[2:3], 1
	s_add_u32 s0, s4, s0
	s_addc_u32 s1, s5, s1
	global_store_b128 v4, v[0:3], s[0:1]
	s_nop 0
	s_sendmsg sendmsg(MSG_DEALLOC_VGPRS)
	s_endpgm
	.section	.rodata,"a",@progbits
	.p2align	6, 0x0
	.amdhsa_kernel _Z39paged_attention_ll4mi_QKV_mfma16_kernelIDF16_DF16_LN4vllm18Fp8KVCacheDataTypeE0EhLi32ELi64ELi256ELb0ELi1EL8MFMAType0EEvPKT_PKT0_S8_ifPKiSA_SA_iPKfiiiPfSD_PS3_PT2_iSC_SC_
		.amdhsa_group_segment_fixed_size 17472
		.amdhsa_private_segment_fixed_size 0
		.amdhsa_kernarg_size 400
		.amdhsa_user_sgpr_count 13
		.amdhsa_user_sgpr_dispatch_ptr 0
		.amdhsa_user_sgpr_queue_ptr 0
		.amdhsa_user_sgpr_kernarg_segment_ptr 1
		.amdhsa_user_sgpr_dispatch_id 0
		.amdhsa_user_sgpr_private_segment_size 0
		.amdhsa_wavefront_size32 1
		.amdhsa_uses_dynamic_stack 0
		.amdhsa_enable_private_segment 0
		.amdhsa_system_sgpr_workgroup_id_x 1
		.amdhsa_system_sgpr_workgroup_id_y 1
		.amdhsa_system_sgpr_workgroup_id_z 1
		.amdhsa_system_sgpr_workgroup_info 0
		.amdhsa_system_vgpr_workitem_id 0
		.amdhsa_next_free_vgpr 146
		.amdhsa_next_free_sgpr 69
		.amdhsa_reserve_vcc 1
		.amdhsa_float_round_mode_32 0
		.amdhsa_float_round_mode_16_64 0
		.amdhsa_float_denorm_mode_32 3
		.amdhsa_float_denorm_mode_16_64 3
		.amdhsa_dx10_clamp 1
		.amdhsa_ieee_mode 1
		.amdhsa_fp16_overflow 0
		.amdhsa_workgroup_processor_mode 1
		.amdhsa_memory_ordered 1
		.amdhsa_forward_progress 0
		.amdhsa_shared_vgpr_count 0
		.amdhsa_exception_fp_ieee_invalid_op 0
		.amdhsa_exception_fp_denorm_src 0
		.amdhsa_exception_fp_ieee_div_zero 0
		.amdhsa_exception_fp_ieee_overflow 0
		.amdhsa_exception_fp_ieee_underflow 0
		.amdhsa_exception_fp_ieee_inexact 0
		.amdhsa_exception_int_div_zero 0
	.end_amdhsa_kernel
	.section	.text._Z39paged_attention_ll4mi_QKV_mfma16_kernelIDF16_DF16_LN4vllm18Fp8KVCacheDataTypeE0EhLi32ELi64ELi256ELb0ELi1EL8MFMAType0EEvPKT_PKT0_S8_ifPKiSA_SA_iPKfiiiPfSD_PS3_PT2_iSC_SC_,"axG",@progbits,_Z39paged_attention_ll4mi_QKV_mfma16_kernelIDF16_DF16_LN4vllm18Fp8KVCacheDataTypeE0EhLi32ELi64ELi256ELb0ELi1EL8MFMAType0EEvPKT_PKT0_S8_ifPKiSA_SA_iPKfiiiPfSD_PS3_PT2_iSC_SC_,comdat
.Lfunc_end150:
	.size	_Z39paged_attention_ll4mi_QKV_mfma16_kernelIDF16_DF16_LN4vllm18Fp8KVCacheDataTypeE0EhLi32ELi64ELi256ELb0ELi1EL8MFMAType0EEvPKT_PKT0_S8_ifPKiSA_SA_iPKfiiiPfSD_PS3_PT2_iSC_SC_, .Lfunc_end150-_Z39paged_attention_ll4mi_QKV_mfma16_kernelIDF16_DF16_LN4vllm18Fp8KVCacheDataTypeE0EhLi32ELi64ELi256ELb0ELi1EL8MFMAType0EEvPKT_PKT0_S8_ifPKiSA_SA_iPKfiiiPfSD_PS3_PT2_iSC_SC_
                                        ; -- End function
	.section	.AMDGPU.csdata,"",@progbits
; Kernel info:
; codeLenInByte = 6924
; NumSgprs: 71
; NumVgprs: 146
; ScratchSize: 0
; MemoryBound: 1
; FloatMode: 240
; IeeeMode: 1
; LDSByteSize: 17472 bytes/workgroup (compile time only)
; SGPRBlocks: 8
; VGPRBlocks: 18
; NumSGPRsForWavesPerEU: 71
; NumVGPRsForWavesPerEU: 146
; Occupancy: 9
; WaveLimiterHint : 1
; COMPUTE_PGM_RSRC2:SCRATCH_EN: 0
; COMPUTE_PGM_RSRC2:USER_SGPR: 13
; COMPUTE_PGM_RSRC2:TRAP_HANDLER: 0
; COMPUTE_PGM_RSRC2:TGID_X_EN: 1
; COMPUTE_PGM_RSRC2:TGID_Y_EN: 1
; COMPUTE_PGM_RSRC2:TGID_Z_EN: 1
; COMPUTE_PGM_RSRC2:TIDIG_COMP_CNT: 0
	.section	.text._Z39paged_attention_ll4mi_QKV_mfma16_kernelIDF16_DF16_LN4vllm18Fp8KVCacheDataTypeE0EhLi32ELi64ELi256ELb0ELi2EL8MFMAType0EEvPKT_PKT0_S8_ifPKiSA_SA_iPKfiiiPfSD_PS3_PT2_iSC_SC_,"axG",@progbits,_Z39paged_attention_ll4mi_QKV_mfma16_kernelIDF16_DF16_LN4vllm18Fp8KVCacheDataTypeE0EhLi32ELi64ELi256ELb0ELi2EL8MFMAType0EEvPKT_PKT0_S8_ifPKiSA_SA_iPKfiiiPfSD_PS3_PT2_iSC_SC_,comdat
	.protected	_Z39paged_attention_ll4mi_QKV_mfma16_kernelIDF16_DF16_LN4vllm18Fp8KVCacheDataTypeE0EhLi32ELi64ELi256ELb0ELi2EL8MFMAType0EEvPKT_PKT0_S8_ifPKiSA_SA_iPKfiiiPfSD_PS3_PT2_iSC_SC_ ; -- Begin function _Z39paged_attention_ll4mi_QKV_mfma16_kernelIDF16_DF16_LN4vllm18Fp8KVCacheDataTypeE0EhLi32ELi64ELi256ELb0ELi2EL8MFMAType0EEvPKT_PKT0_S8_ifPKiSA_SA_iPKfiiiPfSD_PS3_PT2_iSC_SC_
	.globl	_Z39paged_attention_ll4mi_QKV_mfma16_kernelIDF16_DF16_LN4vllm18Fp8KVCacheDataTypeE0EhLi32ELi64ELi256ELb0ELi2EL8MFMAType0EEvPKT_PKT0_S8_ifPKiSA_SA_iPKfiiiPfSD_PS3_PT2_iSC_SC_
	.p2align	8
	.type	_Z39paged_attention_ll4mi_QKV_mfma16_kernelIDF16_DF16_LN4vllm18Fp8KVCacheDataTypeE0EhLi32ELi64ELi256ELb0ELi2EL8MFMAType0EEvPKT_PKT0_S8_ifPKiSA_SA_iPKfiiiPfSD_PS3_PT2_iSC_SC_,@function
_Z39paged_attention_ll4mi_QKV_mfma16_kernelIDF16_DF16_LN4vllm18Fp8KVCacheDataTypeE0EhLi32ELi64ELi256ELb0ELi2EL8MFMAType0EEvPKT_PKT0_S8_ifPKiSA_SA_iPKfiiiPfSD_PS3_PT2_iSC_SC_: ; @_Z39paged_attention_ll4mi_QKV_mfma16_kernelIDF16_DF16_LN4vllm18Fp8KVCacheDataTypeE0EhLi32ELi64ELi256ELb0ELi2EL8MFMAType0EEvPKT_PKT0_S8_ifPKiSA_SA_iPKfiiiPfSD_PS3_PT2_iSC_SC_
; %bb.0:
	s_load_b64 s[2:3], s[0:1], 0x30
	s_mov_b32 s30, s13
	s_waitcnt lgkmcnt(0)
	s_cmp_lg_u64 s[2:3], 0
	s_cselect_b32 s6, -1, 0
	s_ashr_i32 s31, s13, 31
	s_cmp_eq_u64 s[2:3], 0
	s_cbranch_scc1 .LBB151_3
; %bb.1:
	s_lshl_b64 s[4:5], s[30:31], 2
	s_delay_alu instid0(SALU_CYCLE_1) | instskip(SKIP_4) | instid1(SALU_CYCLE_1)
	s_add_u32 s4, s2, s4
	s_addc_u32 s5, s3, s5
	s_load_b64 s[4:5], s[4:5], 0x0
	s_waitcnt lgkmcnt(0)
	s_sub_i32 s4, s5, s4
	s_cmp_eq_u32 s4, 1
	s_cselect_b32 s4, -1, 0
	s_delay_alu instid0(SALU_CYCLE_1)
	s_and_not1_b32 vcc_lo, exec_lo, s4
	s_cbranch_vccz .LBB151_4
.LBB151_2:
	s_endpgm
.LBB151_3:
.LBB151_4:
	s_load_b64 s[8:9], s[0:1], 0x28
	s_lshl_b64 s[4:5], s[30:31], 2
	s_waitcnt lgkmcnt(0)
	s_add_u32 s8, s8, s4
	s_addc_u32 s9, s9, s5
	s_lshl_b32 s16, s14, 8
	s_load_b32 s17, s[8:9], 0x0
	s_waitcnt lgkmcnt(0)
	s_cmp_ge_i32 s16, s17
	s_cbranch_scc1 .LBB151_2
; %bb.5:
	s_and_not1_b32 vcc_lo, exec_lo, s6
	s_cbranch_vccnz .LBB151_7
; %bb.6:
	s_add_u32 s2, s2, s4
	s_addc_u32 s3, s3, s5
	s_load_b32 s3, s[2:3], 0x0
	s_branch .LBB151_8
.LBB151_7:
	s_mov_b32 s3, s30
.LBB151_8:
	s_clause 0x2
	s_load_b128 s[8:11], s[0:1], 0x8
	s_load_b64 s[12:13], s[0:1], 0x20
	s_load_b128 s[4:7], s[0:1], 0x48
	v_and_b32_e32 v80, 15, v0
	v_cmp_gt_u32_e32 vcc_lo, 32, v0
	v_bfe_u32 v78, v0, 4, 1
	s_lshl_b32 s33, s15, 1
	s_delay_alu instid0(VALU_DEP_3) | instskip(SKIP_1) | instid1(VALU_DEP_2)
	v_cmp_gt_u32_e64 s2, 8, v80
	v_lshlrev_b32_e32 v1, 3, v80
	s_and_b32 s31, vcc_lo, s2
	s_delay_alu instid0(SALU_CYCLE_1) | instskip(SKIP_2) | instid1(SALU_CYCLE_1)
	s_xor_b32 s2, s31, -1
	s_waitcnt lgkmcnt(0)
	s_and_saveexec_b32 s7, s2
	s_xor_b32 s2, exec_lo, s7
; %bb.9:
	v_mov_b32_e32 v2, 0
; %bb.10:
	s_or_saveexec_b32 s2, s2
	v_and_b32_e32 v81, 31, v0
	v_and_b32_e32 v77, 1, v0
	v_or_b32_e32 v76, s33, v78
	v_lshlrev_b32_e32 v75, 6, v78
	s_xor_b32 exec_lo, exec_lo, s2
	s_cbranch_execz .LBB151_12
; %bb.11:
	s_load_b64 s[18:19], s[0:1], 0x0
	v_lshlrev_b32_e32 v2, 6, v76
	s_mul_hi_i32 s21, s3, s4
	s_mul_i32 s20, s3, s4
	v_lshlrev_b32_e32 v4, 1, v1
	s_lshl_b64 s[20:21], s[20:21], 1
	v_ashrrev_i32_e32 v3, 31, v2
	v_lshlrev_b32_e32 v7, 10, v77
	s_delay_alu instid0(VALU_DEP_2) | instskip(SKIP_3) | instid1(VALU_DEP_1)
	v_lshlrev_b64 v[2:3], 1, v[2:3]
	s_waitcnt lgkmcnt(0)
	s_add_u32 s3, s18, s20
	s_addc_u32 s4, s19, s21
	v_add_co_u32 v2, vcc_lo, s3, v2
	s_delay_alu instid0(VALU_DEP_2) | instskip(NEXT) | instid1(VALU_DEP_2)
	v_add_co_ci_u32_e32 v3, vcc_lo, s4, v3, vcc_lo
	v_add_co_u32 v2, vcc_lo, v2, v4
	s_delay_alu instid0(VALU_DEP_2) | instskip(SKIP_2) | instid1(VALU_DEP_1)
	v_add_co_ci_u32_e32 v3, vcc_lo, 0, v3, vcc_lo
	global_load_b128 v[3:6], v[2:3], off
	v_lshlrev_b32_e32 v2, 10, v80
	v_and_b32_e32 v2, 0x3800, v2
	s_delay_alu instid0(VALU_DEP_1)
	v_or3_b32 v7, v2, v7, v75
	v_mov_b32_e32 v2, 0
	s_waitcnt vmcnt(0)
	ds_store_b128 v7, v[3:6]
.LBB151_12:
	s_or_b32 exec_lo, exec_lo, s2
	v_and_b32_e32 v3, 0xef, v0
	s_add_i32 s3, s17, 31
	s_clause 0x1
	s_load_b32 s2, s[0:1], 0x38
	s_load_b32 s34, s[0:1], 0x98
	s_ashr_i32 s4, s3, 31
	v_add_nc_u32_e32 v3, s16, v3
	s_lshr_b32 s4, s4, 27
	s_load_b32 s18, s[0:1], 0x1c
	s_add_i32 s3, s3, s4
	s_waitcnt lgkmcnt(0)
	v_ashrrev_i32_e32 v4, 31, v3
	v_cmp_gt_i32_e32 vcc_lo, s17, v3
	s_ashr_i32 s4, s3, 5
	s_barrier
	s_add_i32 s4, s4, -1
	v_lshrrev_b32_e32 v5, 27, v4
	v_or_b32_e32 v4, 16, v3
	buffer_gl0_inv
	v_lshlrev_b64 v[73:74], 1, v[1:2]
	v_lshrrev_b32_e32 v82, 5, v0
	v_add_nc_u32_e32 v6, v3, v5
	v_add_nc_u32_e32 v5, v4, v5
	s_mul_i32 s2, s30, s2
	s_delay_alu instid0(SALU_CYCLE_1) | instskip(NEXT) | instid1(VALU_DEP_2)
	s_ashr_i32 s3, s2, 31
	v_ashrrev_i32_e32 v6, 5, v6
	s_delay_alu instid0(VALU_DEP_2) | instskip(SKIP_1) | instid1(SALU_CYCLE_1)
	v_ashrrev_i32_e32 v5, 5, v5
	s_lshl_b64 s[2:3], s[2:3], 2
	s_add_u32 s19, s12, s2
	s_delay_alu instid0(VALU_DEP_2) | instskip(SKIP_3) | instid1(SALU_CYCLE_1)
	v_cndmask_b32_e32 v3, s4, v6, vcc_lo
	v_cmp_gt_i32_e32 vcc_lo, s17, v4
	s_addc_u32 s35, s13, s3
	s_mul_i32 s2, s15, s6
	s_ashr_i32 s3, s2, 31
	v_cndmask_b32_e32 v5, s4, v5, vcc_lo
	v_ashrrev_i32_e32 v4, 31, v3
	s_lshl_b64 s[2:3], s[2:3], 1
	s_delay_alu instid0(SALU_CYCLE_1) | instskip(NEXT) | instid1(VALU_DEP_2)
	s_add_u32 s15, s8, s2
	v_ashrrev_i32_e32 v6, 31, v5
	s_delay_alu instid0(VALU_DEP_2) | instskip(SKIP_2) | instid1(VALU_DEP_2)
	v_lshlrev_b64 v[3:4], 2, v[3:4]
	s_addc_u32 s26, s9, s3
	s_lshl_b32 s6, s14, 3
	v_lshlrev_b64 v[5:6], 2, v[5:6]
	s_ashr_i32 s7, s6, 31
	s_delay_alu instid0(VALU_DEP_2) | instskip(SKIP_1) | instid1(VALU_DEP_3)
	v_add_co_u32 v3, vcc_lo, s19, v3
	v_add_co_ci_u32_e32 v4, vcc_lo, s35, v4, vcc_lo
	v_add_co_u32 v5, vcc_lo, s19, v5
	s_delay_alu instid0(VALU_DEP_4)
	v_add_co_ci_u32_e32 v6, vcc_lo, s35, v6, vcc_lo
	s_lshl_b64 s[6:7], s[6:7], 2
	s_clause 0x1
	global_load_b32 v7, v[3:4], off
	global_load_b32 v8, v[5:6], off
	s_add_u32 s6, s19, s6
	s_addc_u32 s7, s35, s7
	s_or_b32 s8, s16, 32
	s_delay_alu instid0(SALU_CYCLE_1) | instskip(SKIP_2) | instid1(SALU_CYCLE_1)
	s_ashr_i32 s9, s8, 5
	s_cmp_lt_i32 s8, s17
	s_cselect_b32 s8, s9, s4
	s_ashr_i32 s9, s8, 31
	s_delay_alu instid0(SALU_CYCLE_1) | instskip(NEXT) | instid1(SALU_CYCLE_1)
	s_lshl_b64 s[8:9], s[8:9], 2
	s_add_u32 s8, s19, s8
	s_addc_u32 s9, s35, s9
	s_or_b32 s12, s16, 64
	s_delay_alu instid0(SALU_CYCLE_1) | instskip(SKIP_2) | instid1(SALU_CYCLE_1)
	s_ashr_i32 s13, s12, 5
	s_cmp_lt_i32 s12, s17
	s_cselect_b32 s12, s13, s4
	s_ashr_i32 s13, s12, 31
	s_delay_alu instid0(SALU_CYCLE_1) | instskip(NEXT) | instid1(SALU_CYCLE_1)
	s_lshl_b64 s[12:13], s[12:13], 2
	;; [unrolled: 10-line block ×5, first 2 shown]
	s_add_u32 s24, s19, s24
	s_addc_u32 s25, s35, s25
	s_clause 0x5
	s_load_b32 s28, s[6:7], 0x0
	s_load_b32 s29, s[8:9], 0x0
	;; [unrolled: 1-line block ×6, first 2 shown]
	s_mov_b32 s20, 0
	s_or_b32 s6, s16, 0xc0
	s_mov_b32 s21, s20
	s_mov_b32 s22, s20
	;; [unrolled: 1-line block ×6, first 2 shown]
	s_ashr_i32 s7, s6, 5
	s_cmp_lt_i32 s6, s17
	s_cselect_b32 s6, s7, s4
	s_delay_alu instid0(SALU_CYCLE_1)
	s_ashr_i32 s7, s6, 31
	s_waitcnt lgkmcnt(0)
	s_mul_hi_i32 s9, s28, s5
	s_lshl_b64 s[6:7], s[6:7], 2
	s_mul_i32 s8, s28, s5
	s_add_u32 s6, s19, s6
	s_addc_u32 s7, s35, s7
	s_or_b32 s12, s16, 0xe0
	s_mul_hi_i32 s13, s29, s5
	s_mul_i32 s28, s39, s5
	s_waitcnt vmcnt(1)
	v_mad_i64_i32 v[3:4], null, v7, s5, 0
	s_waitcnt vmcnt(0)
	v_mad_i64_i32 v[5:6], null, v8, s5, 0
	s_delay_alu instid0(VALU_DEP_2) | instskip(NEXT) | instid1(VALU_DEP_2)
	v_lshlrev_b64 v[3:4], 1, v[3:4]
	v_lshlrev_b64 v[1:2], 1, v[5:6]
	s_delay_alu instid0(VALU_DEP_2) | instskip(NEXT) | instid1(VALU_DEP_3)
	v_add_co_u32 v3, vcc_lo, s15, v3
	v_add_co_ci_u32_e32 v4, vcc_lo, s26, v4, vcc_lo
	s_delay_alu instid0(VALU_DEP_3) | instskip(NEXT) | instid1(VALU_DEP_4)
	v_add_co_u32 v1, vcc_lo, s15, v1
	v_add_co_ci_u32_e32 v2, vcc_lo, s26, v2, vcc_lo
	s_delay_alu instid0(VALU_DEP_4) | instskip(NEXT) | instid1(VALU_DEP_4)
	v_add_co_u32 v25, vcc_lo, v3, v73
	v_add_co_ci_u32_e32 v26, vcc_lo, v4, v74, vcc_lo
	s_delay_alu instid0(VALU_DEP_4) | instskip(NEXT) | instid1(VALU_DEP_4)
	v_add_co_u32 v27, vcc_lo, v1, v73
	v_add_co_ci_u32_e32 v28, vcc_lo, v2, v74, vcc_lo
	s_clause 0xf
	global_load_b128 v[1:4], v[25:26], off
	global_load_b128 v[5:8], v[25:26], off offset:512
	global_load_b128 v[9:12], v[27:28], off offset:256
	global_load_b128 v[13:16], v[27:28], off offset:768
	global_load_b128 v[17:20], v[25:26], off offset:1024
	global_load_b128 v[21:24], v[25:26], off offset:1536
	global_load_b128 v[83:86], v[27:28], off offset:1280
	global_load_b128 v[87:90], v[27:28], off offset:1792
	global_load_b128 v[91:94], v[25:26], off offset:2048
	global_load_b128 v[95:98], v[25:26], off offset:2560
	global_load_b128 v[99:102], v[27:28], off offset:2304
	global_load_b128 v[103:106], v[27:28], off offset:2816
	global_load_b128 v[107:110], v[25:26], off offset:3072
	global_load_b128 v[111:114], v[25:26], off offset:3584
	global_load_b128 v[115:118], v[27:28], off offset:3328
	global_load_b128 v[119:122], v[27:28], off offset:3840
	s_mov_b32 s26, s20
	v_dual_mov_b32 v130, s27 :: v_dual_lshlrev_b32 v153, 6, v77
	v_mov_b32_e32 v124, s21
	ds_load_b128 v[25:28], v153
	ds_load_b128 v[29:32], v153 offset:1024
	ds_load_b128 v[131:134], v153 offset:2048
	;; [unrolled: 1-line block ×3, first 2 shown]
	v_dual_mov_b32 v129, s26 :: v_dual_mov_b32 v128, s25
	v_dual_mov_b32 v127, s24 :: v_dual_mov_b32 v126, s23
	v_mov_b32_e32 v125, s22
	v_mov_b32_e32 v123, s20
	s_ashr_i32 s15, s12, 5
	s_cmp_lt_i32 s12, s17
	s_mul_i32 s12, s29, s5
	s_cselect_b32 s20, s15, s4
	s_mul_hi_i32 s23, s36, s5
	s_ashr_i32 s21, s20, 31
	s_mul_i32 s22, s36, s5
	s_lshl_b64 s[20:21], s[20:21], 2
	s_mul_hi_i32 s25, s37, s5
	s_add_u32 s20, s19, s20
	s_addc_u32 s21, s35, s21
	s_add_i32 s15, s16, 0x100
	s_mul_i32 s24, s37, s5
	s_ashr_i32 s26, s15, 5
	s_cmp_lt_i32 s15, s17
	s_load_b32 s15, s[6:7], 0x0
	s_cselect_b32 s26, s26, s4
	s_mul_hi_i32 s7, s38, s5
	s_ashr_i32 s27, s26, 31
	s_mul_i32 s6, s38, s5
	s_lshl_b64 s[26:27], s[26:27], 2
	s_mul_hi_i32 s29, s39, s5
	s_add_u32 s26, s19, s26
	s_addc_u32 s27, s35, s27
	s_add_u32 s4, s10, s2
	s_clause 0x1
	s_load_b32 s19, s[20:21], 0x0
	s_load_b32 s26, s[26:27], 0x0
	s_addc_u32 s27, s11, s3
	s_lshl_b64 s[2:3], s[8:9], 1
	s_lshl_b64 s[8:9], s[12:13], 1
	;; [unrolled: 1-line block ×6, first 2 shown]
	s_waitcnt lgkmcnt(0)
	s_mul_hi_i32 s23, s15, s5
	s_mul_i32 s22, s15, s5
	s_delay_alu instid0(SALU_CYCLE_1)
	s_lshl_b64 s[22:23], s[22:23], 1
	s_waitcnt vmcnt(14)
	v_wmma_f32_16x16x16_f16 v[139:146], v[1:8], v[25:32], v[123:130]
	s_waitcnt vmcnt(12)
	v_wmma_f32_16x16x16_f16 v[123:130], v[9:16], v[25:32], v[123:130]
	s_waitcnt vmcnt(10)
	s_delay_alu instid0(VALU_DEP_2) | instskip(SKIP_1) | instid1(VALU_DEP_2)
	v_wmma_f32_16x16x16_f16 v[139:146], v[17:24], v[131:138], v[139:146]
	s_waitcnt vmcnt(8)
	v_wmma_f32_16x16x16_f16 v[123:130], v[83:90], v[131:138], v[123:130]
	v_mbcnt_lo_u32_b32 v132, -1, 0
	s_delay_alu instid0(VALU_DEP_1) | instskip(SKIP_1) | instid1(VALU_DEP_1)
	v_xor_b32_e32 v133, 16, v132
	v_lshlrev_b32_e32 v79, 6, v80
	v_lshl_or_b32 v33, v82, 10, v79
	s_delay_alu instid0(VALU_DEP_1) | instskip(NEXT) | instid1(VALU_DEP_1)
	v_add_co_u32 v154, s4, s4, v33
	v_add_co_ci_u32_e64 v155, null, s27, 0, s4
	s_delay_alu instid0(VALU_DEP_2) | instskip(NEXT) | instid1(VALU_DEP_2)
	v_add_co_u32 v33, vcc_lo, v154, s2
	v_add_co_ci_u32_e32 v34, vcc_lo, s3, v155, vcc_lo
	v_add_co_u32 v35, vcc_lo, v154, s8
	v_add_co_ci_u32_e32 v36, vcc_lo, s9, v155, vcc_lo
	;; [unrolled: 2-line block ×6, first 2 shown]
	s_mul_hi_i32 s3, s19, s5
	s_mul_i32 s2, s19, s5
	v_add_co_u32 v151, vcc_lo, v154, s22
	s_lshl_b64 s[2:3], s[2:3], 1
	v_add_co_ci_u32_e32 v152, vcc_lo, s23, v155, vcc_lo
	v_add_co_u32 v29, vcc_lo, v154, s2
	v_add_co_ci_u32_e32 v30, vcc_lo, s3, v155, vcc_lo
	s_mul_hi_i32 s3, s26, s5
	s_mul_i32 s2, s26, s5
	s_clause 0x7
	global_load_b128 v[65:68], v[33:34], off
	global_load_b128 v[69:72], v[33:34], off offset:16
	global_load_b128 v[57:60], v[35:36], off
	global_load_b128 v[61:64], v[35:36], off offset:16
	;; [unrolled: 2-line block ×4, first 2 shown]
	s_lshl_b64 s[2:3], s[2:3], 1
	s_clause 0x1
	global_load_b128 v[9:12], v[147:148], off
	global_load_b128 v[13:16], v[147:148], off offset:16
	v_add_co_u32 v21, vcc_lo, v154, s2
	v_add_co_ci_u32_e32 v22, vcc_lo, s3, v155, vcc_lo
	s_clause 0x7
	global_load_b128 v[1:4], v[149:150], off
	global_load_b128 v[5:8], v[149:150], off offset:16
	global_load_b128 v[33:36], v[151:152], off
	global_load_b128 v[37:40], v[151:152], off offset:16
	;; [unrolled: 2-line block ×4, first 2 shown]
	ds_load_b128 v[83:86], v153 offset:4096
	ds_load_b128 v[87:90], v153 offset:5120
	v_cmp_gt_i32_e32 vcc_lo, 32, v133
	v_cndmask_b32_e32 v132, v132, v133, vcc_lo
	s_waitcnt vmcnt(24) lgkmcnt(0)
	v_wmma_f32_16x16x16_f16 v[139:146], v[91:98], v[83:90], v[139:146]
	ds_load_b128 v[91:94], v153 offset:6144
	ds_load_b128 v[95:98], v153 offset:7168
	s_waitcnt vmcnt(22)
	v_wmma_f32_16x16x16_f16 v[123:130], v[99:106], v[83:90], v[123:130]
	s_waitcnt vmcnt(0) lgkmcnt(0)
	s_barrier
	buffer_gl0_inv
	v_wmma_f32_16x16x16_f16 v[139:146], v[107:114], v[91:98], v[139:146]
	v_and_b32_e32 v131, 0xe0, v0
	v_wmma_f32_16x16x16_f16 v[123:130], v[115:122], v[91:98], v[123:130]
	s_delay_alu instid0(VALU_DEP_3) | instskip(NEXT) | instid1(VALU_DEP_2)
	v_mul_f32_e32 v98, s18, v139
	v_dual_mul_f32 v106, s18, v129 :: v_dual_add_nc_u32 v131, s16, v131
	v_mul_f32_e32 v97, s18, v140
	s_delay_alu instid0(VALU_DEP_4) | instskip(NEXT) | instid1(VALU_DEP_3)
	v_dual_mul_f32 v95, s18, v142 :: v_dual_mul_f32 v112, s18, v123
	v_or_b32_e32 v131, v131, v78
	v_dual_mul_f32 v96, s18, v141 :: v_dual_mul_f32 v93, s18, v144
	v_mul_f32_e32 v110, s18, v125
	v_mul_f32_e32 v94, s18, v143
	s_delay_alu instid0(VALU_DEP_4)
	v_or_b32_e32 v133, 2, v131
	v_or_b32_e32 v83, 4, v131
	;; [unrolled: 1-line block ×3, first 2 shown]
	v_cmp_gt_i32_e32 vcc_lo, s17, v131
	v_or_b32_e32 v85, 8, v131
	v_cmp_gt_i32_e64 s2, s17, v133
	v_or_b32_e32 v86, 10, v131
	v_cmp_gt_i32_e64 s3, s17, v83
	v_cndmask_b32_e32 v98, 0xff7fffff, v98, vcc_lo
	v_cmp_gt_i32_e64 s4, s17, v84
	v_cndmask_b32_e64 v97, 0xff7fffff, v97, s2
	v_or_b32_e32 v87, 12, v131
	v_or_b32_e32 v88, 14, v131
	v_cndmask_b32_e64 v83, 0xff7fffff, v96, s3
	v_cndmask_b32_e64 v84, 0xff7fffff, v95, s4
	v_max3_f32 v95, v98, 0xff7fffff, v97
	v_cmp_gt_i32_e64 s5, s17, v85
	v_cmp_gt_i32_e64 s6, s17, v86
	v_or_b32_e32 v89, 16, v131
	v_or_b32_e32 v90, 18, v131
	v_dual_mul_f32 v91, s18, v146 :: v_dual_mul_f32 v108, s18, v127
	v_mul_f32_e32 v92, s18, v145
	v_cndmask_b32_e64 v85, 0xff7fffff, v94, s5
	v_cndmask_b32_e64 v86, 0xff7fffff, v93, s6
	v_max3_f32 v83, v95, v83, v84
	v_cmp_gt_i32_e64 s7, s17, v87
	v_cmp_gt_i32_e64 s8, s17, v88
	v_or_b32_e32 v99, 20, v131
	v_or_b32_e32 v100, 22, v131
	v_mul_f32_e32 v111, s18, v124
	v_cndmask_b32_e64 v84, 0xff7fffff, v92, s7
	v_cndmask_b32_e64 v87, 0xff7fffff, v91, s8
	v_max3_f32 v83, v83, v85, v86
	v_cmp_gt_i32_e64 s9, s17, v89
	v_cmp_gt_i32_e64 s10, s17, v90
	v_or_b32_e32 v101, 24, v131
	v_or_b32_e32 v102, 26, v131
	;; [unrolled: 8-line block ×3, first 2 shown]
	v_mul_f32_e32 v107, s18, v128
	v_cndmask_b32_e64 v84, 0xff7fffff, v110, s11
	v_cndmask_b32_e64 v87, 0xff7fffff, v109, s12
	v_max3_f32 v83, v83, v85, v86
	v_cmp_gt_i32_e64 s13, s17, v101
	v_cmp_gt_i32_e64 s15, s17, v102
	v_mul_f32_e32 v105, s18, v130
	v_cmp_gt_i32_e64 s16, s17, v103
	v_max3_f32 v83, v83, v84, v87
	v_cndmask_b32_e64 v85, 0xff7fffff, v108, s13
	v_cndmask_b32_e64 v86, 0xff7fffff, v107, s15
	v_cmp_gt_i32_e64 s17, s17, v104
	v_cndmask_b32_e64 v84, 0xff7fffff, v106, s16
	s_delay_alu instid0(VALU_DEP_3) | instskip(NEXT) | instid1(VALU_DEP_3)
	v_max3_f32 v83, v83, v85, v86
	v_cndmask_b32_e64 v87, 0xff7fffff, v105, s17
	v_lshlrev_b32_e32 v85, 2, v132
	s_delay_alu instid0(VALU_DEP_2) | instskip(SKIP_3) | instid1(VALU_DEP_1)
	v_max3_f32 v83, v83, v84, v87
	ds_bpermute_b32 v84, v85, v83
	s_waitcnt lgkmcnt(0)
	v_max_f32_e32 v84, v84, v84
	v_max_f32_e32 v83, v83, v84
	s_delay_alu instid0(VALU_DEP_1)
	v_fma_f32 v84, s18, v139, -v83
	v_fma_f32 v86, s18, v140, -v83
	;; [unrolled: 1-line block ×5, first 2 shown]
	v_mul_f32_e32 v84, 0x3fb8aa3b, v84
	v_mul_f32_e32 v86, 0x3fb8aa3b, v86
	s_delay_alu instid0(VALU_DEP_3) | instskip(NEXT) | instid1(VALU_DEP_3)
	v_dual_mul_f32 v90, 0x3fb8aa3b, v88 :: v_dual_mul_f32 v89, 0x3fb8aa3b, v89
	v_exp_f32_e32 v84, v84
	v_mul_f32_e32 v87, 0x3fb8aa3b, v87
	s_delay_alu instid0(VALU_DEP_3) | instskip(NEXT) | instid1(VALU_DEP_2)
	v_exp_f32_e32 v86, v86
	v_exp_f32_e32 v92, v90
	;; [unrolled: 1-line block ×3, first 2 shown]
	v_cndmask_b32_e32 v88, 0, v84, vcc_lo
	v_exp_f32_e32 v91, v87
	v_cndmask_b32_e64 v87, 0, v86, s2
	s_delay_alu instid0(TRANS32_DEP_3) | instskip(SKIP_4) | instid1(VALU_DEP_1)
	v_cndmask_b32_e64 v89, 0, v92, s4
	s_waitcnt_depctr 0xfff
	v_cndmask_b32_e64 v92, 0, v94, s5
	v_add_f32_e32 v86, 0, v88
	s_mov_b32 s2, exec_lo
	v_add_f32_e32 v86, v86, v87
	v_cndmask_b32_e64 v90, 0, v91, s3
	s_delay_alu instid0(VALU_DEP_1) | instskip(NEXT) | instid1(VALU_DEP_1)
	v_add_f32_e32 v86, v86, v90
	v_add_f32_e32 v86, v86, v89
	v_fma_f32 v84, s18, v144, -v83
	v_fma_f32 v93, s18, v145, -v83
	;; [unrolled: 1-line block ×5, first 2 shown]
	s_delay_alu instid0(VALU_DEP_4) | instskip(NEXT) | instid1(VALU_DEP_4)
	v_dual_mul_f32 v84, 0x3fb8aa3b, v84 :: v_dual_mul_f32 v93, 0x3fb8aa3b, v93
	v_mul_f32_e32 v91, 0x3fb8aa3b, v91
	v_fma_f32 v98, s18, v126, -v83
	v_fma_f32 v99, s18, v127, -v83
	s_delay_alu instid0(VALU_DEP_4) | instskip(SKIP_2) | instid1(VALU_DEP_2)
	v_exp_f32_e32 v84, v84
	v_fma_f32 v100, s18, v128, -v83
	v_exp_f32_e32 v96, v91
	v_dual_mul_f32 v98, 0x3fb8aa3b, v98 :: v_dual_mul_f32 v99, 0x3fb8aa3b, v99
	s_delay_alu instid0(VALU_DEP_2) | instskip(NEXT) | instid1(VALU_DEP_2)
	v_mul_f32_e32 v100, 0x3fb8aa3b, v100
	v_exp_f32_e32 v101, v98
	s_delay_alu instid0(VALU_DEP_2)
	v_exp_f32_e32 v99, v99
	v_cndmask_b32_e64 v91, 0, v84, s6
	v_add_f32_e32 v84, v86, v92
	v_exp_f32_e32 v93, v93
	v_fma_f32 v86, s18, v125, -v83
	v_mul_f32_e32 v97, 0x3fb8aa3b, v94
	v_exp_f32_e32 v102, v100
	v_add_f32_e32 v84, v84, v91
	s_delay_alu instid0(VALU_DEP_3) | instskip(NEXT) | instid1(VALU_DEP_3)
	v_mul_f32_e32 v86, 0x3fb8aa3b, v86
	v_exp_f32_e32 v97, v97
	v_cndmask_b32_e64 v100, 0, v99, s13
	s_delay_alu instid0(TRANS32_DEP_3) | instskip(SKIP_3) | instid1(TRANS32_DEP_3)
	v_cndmask_b32_e64 v94, 0, v93, s7
	v_mul_f32_e32 v95, 0x3fb8aa3b, v95
	v_cndmask_b32_e64 v93, 0, v96, s8
	v_exp_f32_e32 v86, v86
	v_cndmask_b32_e64 v99, 0, v102, s15
	v_add_f32_e32 v84, v84, v94
	v_exp_f32_e32 v95, v95
	s_delay_alu instid0(VALU_DEP_1)
	v_add_f32_e32 v84, v84, v93
	s_waitcnt_depctr 0xfff
	v_cndmask_b32_e64 v98, 0, v86, s11
	v_cndmask_b32_e64 v96, 0, v95, s9
	;; [unrolled: 1-line block ×3, first 2 shown]
	v_fma_f32 v97, s18, v129, -v83
	s_delay_alu instid0(VALU_DEP_1) | instskip(SKIP_3) | instid1(VALU_DEP_4)
	v_mul_f32_e32 v86, 0x3fb8aa3b, v97
	v_cndmask_b32_e64 v97, 0, v101, s12
	v_fma_f32 v101, s18, v130, -v83
	v_add_f32_e32 v84, v84, v96
	v_exp_f32_e32 v86, v86
	s_delay_alu instid0(VALU_DEP_1) | instskip(NEXT) | instid1(VALU_DEP_1)
	v_dual_mul_f32 v101, 0x3fb8aa3b, v101 :: v_dual_add_f32 v84, v84, v95
	v_exp_f32_e32 v101, v101
	s_delay_alu instid0(VALU_DEP_1) | instskip(SKIP_4) | instid1(VALU_DEP_2)
	v_add_f32_e32 v84, v84, v98
	s_waitcnt_depctr 0xfff
	v_cndmask_b32_e64 v102, 0, v86, s16
	v_add_f32_e32 v84, v84, v97
	v_cndmask_b32_e64 v101, 0, v101, s17
	v_add_f32_e32 v84, v84, v100
	s_delay_alu instid0(VALU_DEP_1) | instskip(NEXT) | instid1(VALU_DEP_1)
	v_add_f32_e32 v84, v84, v99
	v_add_f32_e32 v84, v84, v102
	s_delay_alu instid0(VALU_DEP_1)
	v_add_f32_e32 v84, v84, v101
	ds_bpermute_b32 v85, v85, v84
	v_cmpx_gt_u32_e32 16, v81
	s_cbranch_execz .LBB151_14
; %bb.13:
	v_mul_u32_u24_e32 v81, 0x44, v82
	s_waitcnt lgkmcnt(0)
	v_add_f32_e32 v84, v84, v85
	s_delay_alu instid0(VALU_DEP_2) | instskip(NEXT) | instid1(VALU_DEP_1)
	v_lshl_add_u32 v81, v80, 2, v81
	v_add_nc_u32_e32 v81, 0x4000, v81
	ds_store_2addr_b32 v81, v83, v84 offset1:136
.LBB151_14:
	s_or_b32 exec_lo, exec_lo, s2
	v_lshlrev_b32_e32 v80, 2, v80
	s_load_b32 s35, s[0:1], 0x94
	s_waitcnt lgkmcnt(0)
	s_barrier
	buffer_gl0_inv
	v_add_nc_u32_e32 v109, 0x4000, v80
	v_cmp_eq_u32_e32 vcc_lo, 1, v82
	v_cmp_eq_u32_e64 s2, 2, v82
	v_cmp_eq_u32_e64 s3, 3, v82
	;; [unrolled: 1-line block ×3, first 2 shown]
	ds_load_2addr_b32 v[80:81], v109 offset1:17
	ds_load_2addr_b32 v[83:84], v109 offset0:34 offset1:51
	ds_load_2addr_b32 v[103:104], v109 offset0:68 offset1:85
	ds_load_2addr_b32 v[105:106], v109 offset0:102 offset1:119
	v_cmp_eq_u32_e64 s5, 7, v82
	s_waitcnt lgkmcnt(3)
	v_max3_f32 v85, v80, 0xff7fffff, v81
	s_waitcnt lgkmcnt(2)
	s_delay_alu instid0(VALU_DEP_1) | instskip(SKIP_1) | instid1(VALU_DEP_1)
	v_max3_f32 v85, v85, v83, v84
	s_waitcnt lgkmcnt(1)
	v_max3_f32 v85, v85, v103, v104
	s_waitcnt lgkmcnt(0)
	s_delay_alu instid0(VALU_DEP_1) | instskip(NEXT) | instid1(VALU_DEP_1)
	v_max3_f32 v85, v85, v105, v106
	v_sub_f32_e32 v80, v80, v85
	ds_load_2addr_b32 v[107:108], v109 offset0:136 offset1:153
	v_sub_f32_e32 v83, v83, v85
	v_sub_f32_e32 v111, v84, v85
	;; [unrolled: 1-line block ×3, first 2 shown]
	v_mul_f32_e32 v110, 0x3fb8aa3b, v80
	ds_load_2addr_b32 v[80:81], v109 offset0:170 offset1:187
	v_mul_f32_e32 v112, 0x3fb8aa3b, v83
	ds_load_2addr_b32 v[83:84], v109 offset0:204 offset1:221
	v_dual_mul_f32 v111, 0x3fb8aa3b, v111 :: v_dual_mul_f32 v86, 0x3fb8aa3b, v86
	v_sub_f32_e32 v103, v103, v85
	v_exp_f32_e32 v110, v110
	v_sub_f32_e32 v105, v105, v85
	s_delay_alu instid0(VALU_DEP_3) | instskip(SKIP_1) | instid1(VALU_DEP_1)
	v_exp_f32_e32 v111, v111
	v_exp_f32_e32 v113, v86
	v_dual_mul_f32 v114, 0x3fb8aa3b, v103 :: v_dual_mul_f32 v105, 0x3fb8aa3b, v105
	s_waitcnt lgkmcnt(2)
	s_delay_alu instid0(TRANS32_DEP_3)
	v_fma_f32 v86, v110, v107, 0
	v_sub_f32_e32 v107, v104, v85
	v_exp_f32_e32 v112, v112
	ds_load_2addr_b32 v[103:104], v109 offset0:238 offset1:255
	s_waitcnt lgkmcnt(0)
	v_dual_fmac_f32 v86, v113, v108 :: v_dual_mul_f32 v107, 0x3fb8aa3b, v107
	v_exp_f32_e32 v108, v114
	s_barrier
	buffer_gl0_inv
	v_exp_f32_e32 v105, v105
	v_fmac_f32_e32 v86, v112, v80
	v_sub_f32_e32 v80, v106, v85
	v_exp_f32_e32 v106, v107
	s_delay_alu instid0(VALU_DEP_2) | instskip(NEXT) | instid1(VALU_DEP_2)
	v_fmac_f32_e32 v86, v111, v81
	v_dual_mul_f32 v80, 0x3fb8aa3b, v80 :: v_dual_cndmask_b32 v81, v110, v113
	s_delay_alu instid0(VALU_DEP_2) | instskip(NEXT) | instid1(VALU_DEP_2)
	v_fmac_f32_e32 v86, v108, v83
	v_exp_f32_e32 v107, v80
	s_waitcnt_depctr 0xfff
	v_fmac_f32_e32 v86, v106, v84
	s_delay_alu instid0(VALU_DEP_1) | instskip(NEXT) | instid1(VALU_DEP_1)
	v_fmac_f32_e32 v86, v105, v103
	v_fmac_f32_e32 v86, v107, v104
	s_delay_alu instid0(VALU_DEP_1) | instskip(NEXT) | instid1(VALU_DEP_1)
	v_add_f32_e32 v103, 0x358637bd, v86
	v_div_scale_f32 v104, null, v103, v103, 1.0
	v_div_scale_f32 v110, vcc_lo, 1.0, v103, 1.0
	s_delay_alu instid0(VALU_DEP_2) | instskip(SKIP_2) | instid1(VALU_DEP_1)
	v_rcp_f32_e32 v109, v104
	s_waitcnt_depctr 0xfff
	v_fma_f32 v80, -v104, v109, 1.0
	v_fmac_f32_e32 v109, v80, v109
	v_cndmask_b32_e64 v80, v81, v112, s2
	v_cmp_eq_u32_e64 s2, 4, v82
	v_lshl_or_b32 v81, v82, 11, v79
	s_delay_alu instid0(VALU_DEP_4) | instskip(NEXT) | instid1(VALU_DEP_4)
	v_mul_f32_e32 v112, v110, v109
	v_cndmask_b32_e64 v83, v80, v111, s3
	v_cmp_eq_u32_e64 s3, 6, v82
	v_lshlrev_b32_e32 v80, 2, v78
	v_lshl_or_b32 v78, v78, 4, v81
	v_fma_f32 v84, -v104, v112, v110
	v_cndmask_b32_e64 v83, v83, v108, s2
	s_delay_alu instid0(VALU_DEP_4) | instskip(SKIP_1) | instid1(VALU_DEP_4)
	v_or_b32_e32 v82, 1, v80
	v_cmp_eq_u32_e64 s2, 1, v80
	v_fmac_f32_e32 v112, v84, v109
	s_delay_alu instid0(VALU_DEP_4)
	v_cndmask_b32_e64 v106, v83, v106, s4
	v_or_b32_e32 v84, 2, v80
	v_or_b32_e32 v83, 3, v80
	v_cmp_eq_u32_e64 s8, 1, v82
	v_fma_f32 v104, -v104, v112, v110
	v_cndmask_b32_e64 v105, v106, v105, s3
	v_cmp_eq_u32_e64 s9, 1, v84
	v_cmp_eq_u32_e64 s10, 1, v83
	;; [unrolled: 1-line block ×3, first 2 shown]
	v_div_fmas_f32 v104, v104, v109, v112
	v_cndmask_b32_e64 v105, v105, v107, s5
	v_cmp_eq_u32_e32 vcc_lo, 2, v80
	v_cmp_eq_u32_e64 s13, 2, v84
	v_cmp_eq_u32_e64 s15, 2, v83
	v_div_fixup_f32 v103, v104, v103, 1.0
	v_cmp_eq_u32_e64 s17, 3, v83
	v_cmp_eq_u32_e64 s3, 3, v80
	;; [unrolled: 1-line block ×4, first 2 shown]
	v_mul_f32_e32 v111, v105, v103
	v_cmp_eq_u32_e64 s21, 4, v83
	v_cmp_eq_u32_e64 s4, 4, v80
	v_cmp_eq_u32_e64 s18, 4, v82
	v_cmp_eq_u32_e64 s20, 4, v84
	v_fma_mixlo_f16 v103, v111, v88, 0
	v_fma_mixlo_f16 v104, v111, v90, 0
	;; [unrolled: 1-line block ×8, first 2 shown]
	v_fma_mixhi_f16 v103, v111, v87, 0
	v_fma_mixhi_f16 v104, v111, v89, 0
	;; [unrolled: 1-line block ×8, first 2 shown]
	ds_store_b128 v78, v[103:106]
	ds_store_b128 v78, v[107:110] offset:1024
	s_waitcnt lgkmcnt(0)
	s_barrier
	buffer_gl0_inv
	ds_load_b128 v[87:90], v81
	ds_load_b128 v[91:94], v81 offset:16
	ds_load_b128 v[95:98], v81 offset:1024
	;; [unrolled: 1-line block ×3, first 2 shown]
	v_cmp_eq_u32_e64 s23, 5, v83
	v_cmp_eq_u32_e64 s5, 5, v80
	;; [unrolled: 1-line block ×12, first 2 shown]
	s_waitcnt lgkmcnt(3)
	v_lshrrev_b32_e32 v103, 16, v87
	s_waitcnt lgkmcnt(2)
	v_lshrrev_b32_e32 v107, 16, v91
	;; [unrolled: 2-line block ×4, first 2 shown]
	v_lshrrev_b32_e32 v104, 16, v88
	v_cndmask_b32_e64 v119, v87, v103, s2
	v_cndmask_b32_e64 v120, v91, v107, s2
	;; [unrolled: 1-line block ×8, first 2 shown]
	v_lshrrev_b32_e32 v108, 16, v92
	v_cndmask_b32_e64 v103, v95, v111, s2
	v_cndmask_b32_e64 v107, v99, v115, s2
	;; [unrolled: 1-line block ×5, first 2 shown]
	v_cndmask_b32_e32 v111, v119, v88, vcc_lo
	v_cndmask_b32_e64 v119, v121, v88, s11
	v_cndmask_b32_e64 v121, v123, v88, s13
	;; [unrolled: 1-line block ×4, first 2 shown]
	v_lshrrev_b32_e32 v112, 16, v96
	v_lshrrev_b32_e32 v116, 16, v100
	v_cndmask_b32_e64 v126, v99, v115, s8
	v_cndmask_b32_e64 v128, v99, v115, s9
	;; [unrolled: 1-line block ×3, first 2 shown]
	v_cndmask_b32_e32 v115, v120, v92, vcc_lo
	v_cndmask_b32_e64 v120, v122, v92, s11
	v_cndmask_b32_e64 v122, v124, v92, s13
	v_cndmask_b32_e32 v91, v103, v96, vcc_lo
	v_cndmask_b32_e32 v92, v107, v100, vcc_lo
	v_cndmask_b32_e64 v103, v125, v96, s11
	v_cndmask_b32_e64 v87, v87, v104, s17
	;; [unrolled: 1-line block ×3, first 2 shown]
	v_lshrrev_b32_e32 v105, 16, v89
	v_lshrrev_b32_e32 v109, 16, v93
	v_cndmask_b32_e64 v107, v127, v96, s13
	v_cndmask_b32_e64 v95, v95, v96, s15
	;; [unrolled: 1-line block ×14, first 2 shown]
	v_lshrrev_b32_e32 v113, 16, v97
	v_cndmask_b32_e64 v99, v99, v89, s4
	v_cndmask_b32_e64 v104, v111, v93, s4
	;; [unrolled: 1-line block ×11, first 2 shown]
	v_lshrrev_b32_e32 v106, 16, v90
	v_lshrrev_b32_e32 v110, 16, v94
	v_cndmask_b32_e64 v93, v99, v105, s5
	v_cndmask_b32_e64 v99, v104, v109, s5
	;; [unrolled: 1-line block ×9, first 2 shown]
	v_lshrrev_b32_e32 v114, 16, v98
	v_cndmask_b32_e64 v89, v89, v113, s5
	v_cndmask_b32_e64 v93, v93, v90, s6
	;; [unrolled: 1-line block ×19, first 2 shown]
	v_perm_b32 v90, v88, v87, 0x5040100
	v_cndmask_b32_e64 v87, v126, v100, s11
	v_cndmask_b32_e64 v105, v89, v114, s7
	v_perm_b32 v89, v103, v99, 0x5040100
	v_perm_b32 v88, v104, v94, 0x5040100
	v_cndmask_b32_e64 v94, v107, v112, s16
	v_cndmask_b32_e64 v95, v95, v112, s17
	;; [unrolled: 1-line block ×5, first 2 shown]
	v_lshrrev_b32_e32 v117, 16, v101
	v_cndmask_b32_e64 v94, v94, v97, s20
	v_cndmask_b32_e64 v95, v95, v97, s21
	;; [unrolled: 1-line block ×11, first 2 shown]
	v_lshrrev_b32_e32 v118, 16, v102
	v_cndmask_b32_e64 v91, v91, v102, s6
	v_cndmask_b32_e64 v94, v94, v98, s25
	;; [unrolled: 1-line block ×12, first 2 shown]
	v_perm_b32 v87, v93, v92, 0x5040100
	v_perm_b32 v94, v95, v94, 0x5040100
	;; [unrolled: 1-line block ×5, first 2 shown]
	s_lshl_b32 s6, s34, 1
	s_mov_b32 s2, exec_lo
	ds_store_b128 v78, v[87:90]
	ds_store_b128 v78, v[91:94] offset:1024
	v_cmpx_gt_u32_e32 2, v0
	s_cbranch_execz .LBB151_16
; %bb.15:
	v_or_b32_e32 v87, s33, v0
	s_load_b128 s[8:11], s[0:1], 0x58
	s_delay_alu instid0(VALU_DEP_1) | instskip(NEXT) | instid1(VALU_DEP_1)
	v_mad_u64_u32 v[88:89], null, s6, s30, v[87:88]
	v_mad_u64_u32 v[89:90], null, v88, s35, s[14:15]
	s_delay_alu instid0(VALU_DEP_1) | instskip(NEXT) | instid1(VALU_DEP_1)
	v_ashrrev_i32_e32 v90, 31, v89
	v_lshlrev_b64 v[87:88], 2, v[89:90]
	s_waitcnt lgkmcnt(0)
	s_delay_alu instid0(VALU_DEP_1) | instskip(NEXT) | instid1(VALU_DEP_2)
	v_add_co_u32 v89, vcc_lo, s10, v87
	v_add_co_ci_u32_e32 v90, vcc_lo, s11, v88, vcc_lo
	v_add_co_u32 v87, vcc_lo, s8, v87
	v_add_co_ci_u32_e32 v88, vcc_lo, s9, v88, vcc_lo
	global_store_b32 v[89:90], v85, off
	global_store_b32 v[87:88], v86, off
.LBB151_16:
	s_or_b32 exec_lo, exec_lo, s2
	s_waitcnt lgkmcnt(0)
	s_waitcnt_vscnt null, 0x0
	s_barrier
	buffer_gl0_inv
	ds_load_b128 v[93:96], v79
	ds_load_b128 v[97:100], v79 offset:16
	ds_load_b128 v[105:108], v79 offset:1040
	;; [unrolled: 1-line block ×5, first 2 shown]
	v_cmp_eq_u32_e32 vcc_lo, 1, v84
	v_mov_b32_e32 v85, 0
	ds_load_b128 v[121:124], v79 offset:3088
	ds_load_b128 v[117:120], v79 offset:3072
	;; [unrolled: 1-line block ×4, first 2 shown]
	v_cmp_eq_u32_e64 s2, 1, v80
	v_cmp_eq_u32_e64 s3, 1, v83
	;; [unrolled: 1-line block ×3, first 2 shown]
	v_mov_b32_e32 v86, v85
	v_mov_b32_e32 v87, v85
	;; [unrolled: 1-line block ×7, first 2 shown]
	v_cmp_eq_u32_e64 s5, 2, v80
	s_waitcnt lgkmcnt(8)
	s_delay_alu instid0(VALU_DEP_2)
	v_wmma_f32_16x16x16_f16 v[85:92], v[65:72], v[93:100], v[85:92]
	ds_load_b128 v[69:72], v79 offset:5136
	ds_load_b128 v[65:68], v79 offset:5120
	;; [unrolled: 1-line block ×4, first 2 shown]
	s_waitcnt lgkmcnt(10)
	v_wmma_f32_16x16x16_f16 v[85:92], v[57:64], v[101:108], v[85:92]
	s_waitcnt lgkmcnt(8)
	s_delay_alu instid0(VALU_DEP_1)
	v_wmma_f32_16x16x16_f16 v[85:92], v[57:64], v[109:116], v[85:92]
	ds_load_b128 v[61:64], v79 offset:7184
	ds_load_b128 v[57:60], v79 offset:7168
	;; [unrolled: 1-line block ×4, first 2 shown]
	s_waitcnt lgkmcnt(10)
	v_wmma_f32_16x16x16_f16 v[85:92], v[49:56], v[117:124], v[85:92]
	s_waitcnt lgkmcnt(8)
	s_delay_alu instid0(VALU_DEP_1)
	v_wmma_f32_16x16x16_f16 v[85:92], v[49:56], v[125:132], v[85:92]
	ds_load_b128 v[53:56], v79 offset:9232
	ds_load_b128 v[49:52], v79 offset:9216
	s_waitcnt lgkmcnt(8)
	v_wmma_f32_16x16x16_f16 v[85:92], v[41:48], v[65:72], v[85:92]
	ds_load_b128 v[69:72], v79 offset:10256
	ds_load_b128 v[65:68], v79 offset:10240
	s_waitcnt lgkmcnt(8)
	;; [unrolled: 4-line block ×7, first 2 shown]
	s_barrier
	buffer_gl0_inv
	v_wmma_f32_16x16x16_f16 v[85:92], v[33:40], v[41:48], v[85:92]
	s_delay_alu instid0(VALU_DEP_1) | instskip(NEXT) | instid1(VALU_DEP_1)
	v_wmma_f32_16x16x16_f16 v[85:92], v[33:40], v[57:64], v[85:92]
	v_wmma_f32_16x16x16_f16 v[85:92], v[25:32], v[9:16], v[85:92]
	s_delay_alu instid0(VALU_DEP_1) | instskip(NEXT) | instid1(VALU_DEP_1)
	v_wmma_f32_16x16x16_f16 v[85:92], v[25:32], v[49:56], v[85:92]
	v_wmma_f32_16x16x16_f16 v[85:92], v[17:24], v[1:8], v[85:92]
	s_delay_alu instid0(VALU_DEP_1) | instskip(NEXT) | instid1(VALU_DEP_2)
	v_cvt_f16_f32_e32 v1, v85
	v_cvt_f16_f32_e32 v2, v86
	s_delay_alu instid0(VALU_DEP_3) | instskip(NEXT) | instid1(VALU_DEP_4)
	v_cvt_f16_f32_e32 v3, v87
	v_cvt_f16_f32_e32 v4, v88
	;; [unrolled: 1-line block ×6, first 2 shown]
	v_pack_b32_f16 v1, v1, v2
	v_pack_b32_f16 v2, v3, v4
	v_pack_b32_f16 v3, v5, v6
	s_delay_alu instid0(VALU_DEP_4)
	v_pack_b32_f16 v4, v7, v8
	ds_store_b128 v78, v[1:4]
	s_waitcnt lgkmcnt(0)
	s_barrier
	buffer_gl0_inv
	ds_load_b128 v[1:4], v81
	ds_load_b128 v[5:8], v81 offset:16
	s_waitcnt lgkmcnt(1)
	v_lshrrev_b32_e32 v9, 16, v1
	s_waitcnt lgkmcnt(0)
	v_lshrrev_b32_e32 v13, 16, v5
	v_lshrrev_b32_e32 v15, 16, v7
	;; [unrolled: 1-line block ×4, first 2 shown]
	v_cndmask_b32_e64 v17, v1, v9, s2
	v_cndmask_b32_e64 v18, v5, v13, s2
	v_cndmask_b32_e64 v19, v1, v9, s4
	v_cmp_eq_u32_e64 s2, 2, v82
	v_cndmask_b32_e64 v20, v5, v13, s4
	v_cndmask_b32_e32 v21, v1, v9, vcc_lo
	v_cndmask_b32_e32 v22, v5, v13, vcc_lo
	v_cndmask_b32_e64 v1, v1, v9, s3
	v_cndmask_b32_e64 v5, v5, v13, s3
	v_cmp_eq_u32_e32 vcc_lo, 2, v84
	v_cmp_eq_u32_e64 s3, 2, v83
	v_cndmask_b32_e64 v9, v17, v2, s5
	v_cndmask_b32_e64 v13, v18, v6, s5
	;; [unrolled: 1-line block ×4, first 2 shown]
	v_cndmask_b32_e32 v19, v21, v2, vcc_lo
	v_cmp_eq_u32_e64 s2, 3, v84
	v_cndmask_b32_e32 v20, v22, v6, vcc_lo
	v_cndmask_b32_e64 v1, v1, v2, s3
	v_cmp_eq_u32_e32 vcc_lo, 3, v83
	v_cmp_eq_u32_e64 s4, 3, v80
	v_cndmask_b32_e64 v2, v5, v6, s3
	v_cmp_eq_u32_e64 s3, 3, v82
	v_lshrrev_b32_e32 v16, 16, v8
	v_cmp_eq_u32_e64 s5, 4, v80
	v_cndmask_b32_e64 v5, v9, v10, s4
	v_cndmask_b32_e64 v6, v13, v14, s4
	;; [unrolled: 1-line block ×3, first 2 shown]
	v_cmp_eq_u32_e64 s4, 4, v82
	v_cndmask_b32_e64 v13, v18, v14, s3
	v_cndmask_b32_e64 v17, v19, v10, s2
	;; [unrolled: 1-line block ×3, first 2 shown]
	v_cndmask_b32_e32 v1, v1, v10, vcc_lo
	v_cndmask_b32_e32 v2, v2, v14, vcc_lo
	v_cmp_eq_u32_e32 vcc_lo, 4, v84
	v_cmp_eq_u32_e64 s3, 4, v83
	v_lshrrev_b32_e32 v11, 16, v3
	v_cndmask_b32_e64 v5, v5, v3, s5
	v_cndmask_b32_e64 v6, v6, v7, s5
	;; [unrolled: 1-line block ×4, first 2 shown]
	v_cndmask_b32_e32 v13, v17, v3, vcc_lo
	v_cmp_eq_u32_e64 s2, 5, v84
	v_cndmask_b32_e32 v14, v18, v7, vcc_lo
	v_cndmask_b32_e64 v1, v1, v3, s3
	v_cmp_eq_u32_e32 vcc_lo, 5, v83
	v_cmp_eq_u32_e64 s4, 5, v80
	v_cndmask_b32_e64 v2, v2, v7, s3
	v_cmp_eq_u32_e64 s3, 5, v82
	v_cmp_eq_u32_e64 s5, 6, v80
	v_cndmask_b32_e32 v1, v1, v11, vcc_lo
	v_cndmask_b32_e64 v3, v5, v11, s4
	v_cndmask_b32_e64 v5, v6, v15, s4
	;; [unrolled: 1-line block ×3, first 2 shown]
	v_cmp_eq_u32_e64 s4, 6, v82
	v_cndmask_b32_e64 v7, v10, v15, s3
	v_cndmask_b32_e64 v9, v13, v11, s2
	;; [unrolled: 1-line block ×3, first 2 shown]
	v_cndmask_b32_e32 v2, v2, v15, vcc_lo
	v_cmp_eq_u32_e32 vcc_lo, 6, v84
	v_cmp_eq_u32_e64 s2, 6, v83
	v_lshrrev_b32_e32 v12, 16, v4
	v_cndmask_b32_e64 v3, v3, v4, s5
	v_cndmask_b32_e64 v5, v5, v8, s5
	v_cndmask_b32_e64 v6, v6, v4, s4
	v_cndmask_b32_e64 v7, v7, v8, s4
	v_cndmask_b32_e32 v9, v9, v4, vcc_lo
	v_cmp_eq_u32_e64 s3, 7, v84
	v_cndmask_b32_e32 v10, v10, v8, vcc_lo
	v_cndmask_b32_e64 v1, v1, v4, s2
	v_cmp_eq_u32_e32 vcc_lo, 7, v83
	v_cndmask_b32_e64 v2, v2, v8, s2
	v_cmp_eq_u32_e64 s2, 7, v80
	v_cmp_eq_u32_e64 s4, 7, v82
	v_cndmask_b32_e32 v1, v1, v12, vcc_lo
	s_delay_alu instid0(VALU_DEP_4) | instskip(NEXT) | instid1(VALU_DEP_4)
	v_cndmask_b32_e32 v2, v2, v16, vcc_lo
	v_cndmask_b32_e64 v8, v3, v12, s2
	s_delay_alu instid0(VALU_DEP_4)
	v_cndmask_b32_e64 v6, v6, v12, s4
	v_cndmask_b32_e64 v3, v9, v12, s3
	;; [unrolled: 1-line block ×5, first 2 shown]
	v_perm_b32 v4, v2, v1, 0x5040100
	s_delay_alu instid0(VALU_DEP_4) | instskip(NEXT) | instid1(VALU_DEP_4)
	v_perm_b32 v3, v9, v3, 0x5040100
	v_perm_b32 v2, v7, v6, 0x5040100
	s_delay_alu instid0(VALU_DEP_4)
	v_perm_b32 v1, v5, v8, 0x5040100
	ds_store_b128 v78, v[1:4]
	s_waitcnt lgkmcnt(0)
	s_barrier
	buffer_gl0_inv
	s_and_saveexec_b32 s2, s31
	s_cbranch_execz .LBB151_2
; %bb.17:
	s_load_b64 s[0:1], s[0:1], 0x68
	v_lshlrev_b32_e32 v0, 10, v0
	s_lshl_b32 s2, s35, 6
	v_lshlrev_b32_e32 v1, 4, v77
	v_mul_lo_u32 v4, s2, v76
	s_mul_i32 s3, s2, s30
	v_and_b32_e32 v0, 0x3800, v0
	s_mul_i32 s2, s3, s6
	s_delay_alu instid0(SALU_CYCLE_1) | instskip(NEXT) | instid1(VALU_DEP_1)
	s_ashr_i32 s3, s2, 31
	v_or3_b32 v0, v0, v75, v1
	s_lshl_b64 s[2:3], s[2:3], 1
	s_delay_alu instid0(VALU_DEP_3)
	v_ashrrev_i32_e32 v5, 31, v4
	ds_load_b128 v[0:3], v0
	v_lshlrev_b64 v[4:5], 1, v[4:5]
	s_waitcnt lgkmcnt(0)
	s_add_u32 s2, s0, s2
	s_addc_u32 s3, s1, s3
	s_lshl_b32 s0, s14, 6
	s_delay_alu instid0(SALU_CYCLE_1) | instskip(NEXT) | instid1(SALU_CYCLE_1)
	s_ashr_i32 s1, s0, 31
	s_lshl_b64 s[0:1], s[0:1], 1
	s_delay_alu instid0(SALU_CYCLE_1) | instskip(SKIP_3) | instid1(VALU_DEP_2)
	s_add_u32 s0, s2, s0
	s_addc_u32 s1, s3, s1
	v_add_co_u32 v4, vcc_lo, s0, v4
	v_add_co_ci_u32_e32 v5, vcc_lo, s1, v5, vcc_lo
	v_add_co_u32 v4, vcc_lo, v4, v73
	s_delay_alu instid0(VALU_DEP_2)
	v_add_co_ci_u32_e32 v5, vcc_lo, v5, v74, vcc_lo
	global_store_b128 v[4:5], v[0:3], off
	s_nop 0
	s_sendmsg sendmsg(MSG_DEALLOC_VGPRS)
	s_endpgm
	.section	.rodata,"a",@progbits
	.p2align	6, 0x0
	.amdhsa_kernel _Z39paged_attention_ll4mi_QKV_mfma16_kernelIDF16_DF16_LN4vllm18Fp8KVCacheDataTypeE0EhLi32ELi64ELi256ELb0ELi2EL8MFMAType0EEvPKT_PKT0_S8_ifPKiSA_SA_iPKfiiiPfSD_PS3_PT2_iSC_SC_
		.amdhsa_group_segment_fixed_size 17472
		.amdhsa_private_segment_fixed_size 0
		.amdhsa_kernarg_size 400
		.amdhsa_user_sgpr_count 13
		.amdhsa_user_sgpr_dispatch_ptr 0
		.amdhsa_user_sgpr_queue_ptr 0
		.amdhsa_user_sgpr_kernarg_segment_ptr 1
		.amdhsa_user_sgpr_dispatch_id 0
		.amdhsa_user_sgpr_private_segment_size 0
		.amdhsa_wavefront_size32 1
		.amdhsa_uses_dynamic_stack 0
		.amdhsa_enable_private_segment 0
		.amdhsa_system_sgpr_workgroup_id_x 1
		.amdhsa_system_sgpr_workgroup_id_y 1
		.amdhsa_system_sgpr_workgroup_id_z 1
		.amdhsa_system_sgpr_workgroup_info 0
		.amdhsa_system_vgpr_workitem_id 0
		.amdhsa_next_free_vgpr 156
		.amdhsa_next_free_sgpr 40
		.amdhsa_reserve_vcc 1
		.amdhsa_float_round_mode_32 0
		.amdhsa_float_round_mode_16_64 0
		.amdhsa_float_denorm_mode_32 3
		.amdhsa_float_denorm_mode_16_64 3
		.amdhsa_dx10_clamp 1
		.amdhsa_ieee_mode 1
		.amdhsa_fp16_overflow 0
		.amdhsa_workgroup_processor_mode 1
		.amdhsa_memory_ordered 1
		.amdhsa_forward_progress 0
		.amdhsa_shared_vgpr_count 0
		.amdhsa_exception_fp_ieee_invalid_op 0
		.amdhsa_exception_fp_denorm_src 0
		.amdhsa_exception_fp_ieee_div_zero 0
		.amdhsa_exception_fp_ieee_overflow 0
		.amdhsa_exception_fp_ieee_underflow 0
		.amdhsa_exception_fp_ieee_inexact 0
		.amdhsa_exception_int_div_zero 0
	.end_amdhsa_kernel
	.section	.text._Z39paged_attention_ll4mi_QKV_mfma16_kernelIDF16_DF16_LN4vllm18Fp8KVCacheDataTypeE0EhLi32ELi64ELi256ELb0ELi2EL8MFMAType0EEvPKT_PKT0_S8_ifPKiSA_SA_iPKfiiiPfSD_PS3_PT2_iSC_SC_,"axG",@progbits,_Z39paged_attention_ll4mi_QKV_mfma16_kernelIDF16_DF16_LN4vllm18Fp8KVCacheDataTypeE0EhLi32ELi64ELi256ELb0ELi2EL8MFMAType0EEvPKT_PKT0_S8_ifPKiSA_SA_iPKfiiiPfSD_PS3_PT2_iSC_SC_,comdat
.Lfunc_end151:
	.size	_Z39paged_attention_ll4mi_QKV_mfma16_kernelIDF16_DF16_LN4vllm18Fp8KVCacheDataTypeE0EhLi32ELi64ELi256ELb0ELi2EL8MFMAType0EEvPKT_PKT0_S8_ifPKiSA_SA_iPKfiiiPfSD_PS3_PT2_iSC_SC_, .Lfunc_end151-_Z39paged_attention_ll4mi_QKV_mfma16_kernelIDF16_DF16_LN4vllm18Fp8KVCacheDataTypeE0EhLi32ELi64ELi256ELb0ELi2EL8MFMAType0EEvPKT_PKT0_S8_ifPKiSA_SA_iPKfiiiPfSD_PS3_PT2_iSC_SC_
                                        ; -- End function
	.section	.AMDGPU.csdata,"",@progbits
; Kernel info:
; codeLenInByte = 7008
; NumSgprs: 42
; NumVgprs: 156
; ScratchSize: 0
; MemoryBound: 0
; FloatMode: 240
; IeeeMode: 1
; LDSByteSize: 17472 bytes/workgroup (compile time only)
; SGPRBlocks: 5
; VGPRBlocks: 19
; NumSGPRsForWavesPerEU: 42
; NumVGPRsForWavesPerEU: 156
; Occupancy: 9
; WaveLimiterHint : 1
; COMPUTE_PGM_RSRC2:SCRATCH_EN: 0
; COMPUTE_PGM_RSRC2:USER_SGPR: 13
; COMPUTE_PGM_RSRC2:TRAP_HANDLER: 0
; COMPUTE_PGM_RSRC2:TGID_X_EN: 1
; COMPUTE_PGM_RSRC2:TGID_Y_EN: 1
; COMPUTE_PGM_RSRC2:TGID_Z_EN: 1
; COMPUTE_PGM_RSRC2:TIDIG_COMP_CNT: 0
	.section	.text._Z39paged_attention_ll4mi_QKV_mfma16_kernelIDF16_DF16_LN4vllm18Fp8KVCacheDataTypeE0EhLi32ELi64ELi256ELb0ELi3EL8MFMAType0EEvPKT_PKT0_S8_ifPKiSA_SA_iPKfiiiPfSD_PS3_PT2_iSC_SC_,"axG",@progbits,_Z39paged_attention_ll4mi_QKV_mfma16_kernelIDF16_DF16_LN4vllm18Fp8KVCacheDataTypeE0EhLi32ELi64ELi256ELb0ELi3EL8MFMAType0EEvPKT_PKT0_S8_ifPKiSA_SA_iPKfiiiPfSD_PS3_PT2_iSC_SC_,comdat
	.protected	_Z39paged_attention_ll4mi_QKV_mfma16_kernelIDF16_DF16_LN4vllm18Fp8KVCacheDataTypeE0EhLi32ELi64ELi256ELb0ELi3EL8MFMAType0EEvPKT_PKT0_S8_ifPKiSA_SA_iPKfiiiPfSD_PS3_PT2_iSC_SC_ ; -- Begin function _Z39paged_attention_ll4mi_QKV_mfma16_kernelIDF16_DF16_LN4vllm18Fp8KVCacheDataTypeE0EhLi32ELi64ELi256ELb0ELi3EL8MFMAType0EEvPKT_PKT0_S8_ifPKiSA_SA_iPKfiiiPfSD_PS3_PT2_iSC_SC_
	.globl	_Z39paged_attention_ll4mi_QKV_mfma16_kernelIDF16_DF16_LN4vllm18Fp8KVCacheDataTypeE0EhLi32ELi64ELi256ELb0ELi3EL8MFMAType0EEvPKT_PKT0_S8_ifPKiSA_SA_iPKfiiiPfSD_PS3_PT2_iSC_SC_
	.p2align	8
	.type	_Z39paged_attention_ll4mi_QKV_mfma16_kernelIDF16_DF16_LN4vllm18Fp8KVCacheDataTypeE0EhLi32ELi64ELi256ELb0ELi3EL8MFMAType0EEvPKT_PKT0_S8_ifPKiSA_SA_iPKfiiiPfSD_PS3_PT2_iSC_SC_,@function
_Z39paged_attention_ll4mi_QKV_mfma16_kernelIDF16_DF16_LN4vllm18Fp8KVCacheDataTypeE0EhLi32ELi64ELi256ELb0ELi3EL8MFMAType0EEvPKT_PKT0_S8_ifPKiSA_SA_iPKfiiiPfSD_PS3_PT2_iSC_SC_: ; @_Z39paged_attention_ll4mi_QKV_mfma16_kernelIDF16_DF16_LN4vllm18Fp8KVCacheDataTypeE0EhLi32ELi64ELi256ELb0ELi3EL8MFMAType0EEvPKT_PKT0_S8_ifPKiSA_SA_iPKfiiiPfSD_PS3_PT2_iSC_SC_
; %bb.0:
	s_load_b64 s[2:3], s[0:1], 0x30
	s_mov_b32 s34, s13
	s_waitcnt lgkmcnt(0)
	s_cmp_lg_u64 s[2:3], 0
	s_cselect_b32 s6, -1, 0
	s_ashr_i32 s35, s13, 31
	s_cmp_eq_u64 s[2:3], 0
	s_cbranch_scc1 .LBB152_3
; %bb.1:
	s_lshl_b64 s[4:5], s[34:35], 2
	s_delay_alu instid0(SALU_CYCLE_1) | instskip(SKIP_4) | instid1(SALU_CYCLE_1)
	s_add_u32 s4, s2, s4
	s_addc_u32 s5, s3, s5
	s_load_b64 s[4:5], s[4:5], 0x0
	s_waitcnt lgkmcnt(0)
	s_sub_i32 s4, s5, s4
	s_cmp_eq_u32 s4, 1
	s_cselect_b32 s4, -1, 0
	s_delay_alu instid0(SALU_CYCLE_1)
	s_and_not1_b32 vcc_lo, exec_lo, s4
	s_cbranch_vccz .LBB152_4
.LBB152_2:
	s_nop 0
	s_sendmsg sendmsg(MSG_DEALLOC_VGPRS)
	s_endpgm
.LBB152_3:
.LBB152_4:
	s_load_b64 s[8:9], s[0:1], 0x28
	s_lshl_b64 s[4:5], s[34:35], 2
	s_waitcnt lgkmcnt(0)
	s_add_u32 s8, s8, s4
	s_addc_u32 s9, s9, s5
	s_lshl_b32 s16, s14, 8
	s_load_b32 s18, s[8:9], 0x0
	s_waitcnt lgkmcnt(0)
	s_cmp_ge_i32 s16, s18
	s_cbranch_scc1 .LBB152_2
; %bb.5:
	s_and_not1_b32 vcc_lo, exec_lo, s6
	s_cbranch_vccnz .LBB152_7
; %bb.6:
	s_add_u32 s2, s2, s4
	s_addc_u32 s3, s3, s5
	s_load_b32 s17, s[2:3], 0x0
	s_branch .LBB152_8
.LBB152_7:
	s_mov_b32 s17, s34
.LBB152_8:
	s_clause 0x2
	s_load_b128 s[8:11], s[0:1], 0x8
	s_load_b64 s[12:13], s[0:1], 0x20
	s_load_b128 s[4:7], s[0:1], 0x48
	v_lshrrev_b32_e32 v78, 5, v0
	v_bfe_u32 v75, v0, 4, 1
	v_and_b32_e32 v77, 15, v0
	s_delay_alu instid0(VALU_DEP_2) | instskip(NEXT) | instid1(VALU_DEP_2)
	v_lshl_or_b32 v3, v78, 1, v75
	v_cmp_lt_u32_e64 s3, 7, v77
	v_lshlrev_b32_e32 v1, 3, v77
	v_cmp_gt_u32_e64 s2, 8, v77
	s_delay_alu instid0(VALU_DEP_4) | instskip(NEXT) | instid1(VALU_DEP_4)
	v_cmp_lt_u32_e32 vcc_lo, 2, v3
	s_or_b32 s3, s3, vcc_lo
	s_waitcnt lgkmcnt(0)
	s_and_saveexec_b32 s7, s3
	s_delay_alu instid0(SALU_CYCLE_1)
	s_xor_b32 s3, exec_lo, s7
; %bb.9:
	v_mov_b32_e32 v2, 0
                                        ; implicit-def: $vgpr3
; %bb.10:
	s_or_saveexec_b32 s3, s3
	v_and_b32_e32 v80, 31, v0
	v_and_b32_e32 v76, 1, v0
	s_mul_i32 s33, s15, 3
	s_xor_b32 exec_lo, exec_lo, s3
	s_cbranch_execz .LBB152_12
; %bb.11:
	s_load_b64 s[20:21], s[0:1], 0x0
	v_add_lshl_u32 v4, v3, s33, 6
	s_mul_hi_i32 s23, s17, s4
	s_mul_i32 s22, s17, s4
	v_lshlrev_b32_e32 v2, 1, v1
	s_lshl_b64 s[22:23], s[22:23], 1
	v_ashrrev_i32_e32 v5, 31, v4
	v_lshlrev_b32_e32 v3, 6, v3
	v_lshlrev_b32_e32 v8, 10, v76
	s_delay_alu instid0(VALU_DEP_3) | instskip(SKIP_3) | instid1(VALU_DEP_1)
	v_lshlrev_b64 v[4:5], 1, v[4:5]
	s_waitcnt lgkmcnt(0)
	s_add_u32 s4, s20, s22
	s_addc_u32 s7, s21, s23
	v_add_co_u32 v4, vcc_lo, s4, v4
	s_delay_alu instid0(VALU_DEP_2) | instskip(NEXT) | instid1(VALU_DEP_2)
	v_add_co_ci_u32_e32 v5, vcc_lo, s7, v5, vcc_lo
	v_add_co_u32 v4, vcc_lo, v4, v2
	s_delay_alu instid0(VALU_DEP_2) | instskip(SKIP_3) | instid1(VALU_DEP_1)
	v_add_co_ci_u32_e32 v5, vcc_lo, 0, v5, vcc_lo
	v_lshlrev_b32_e32 v2, 10, v77
	global_load_b128 v[4:7], v[4:5], off
	v_and_b32_e32 v2, 0x3800, v2
	v_or3_b32 v3, v2, v8, v3
	v_mov_b32_e32 v2, 0
	s_waitcnt vmcnt(0)
	ds_store_b128 v3, v[4:7]
.LBB152_12:
	s_or_b32 exec_lo, exec_lo, s3
	v_and_b32_e32 v3, 0xef, v0
	s_add_i32 s3, s18, 31
	s_clause 0x1
	s_load_b32 s4, s[0:1], 0x38
	s_load_b32 s35, s[0:1], 0x98
	s_ashr_i32 s7, s3, 31
	v_add_nc_u32_e32 v3, s16, v3
	s_lshr_b32 s7, s7, 27
	s_load_b32 s19, s[0:1], 0x1c
	s_add_i32 s3, s3, s7
	s_waitcnt lgkmcnt(0)
	v_ashrrev_i32_e32 v4, 31, v3
	v_cmp_gt_i32_e32 vcc_lo, s18, v3
	s_ashr_i32 s3, s3, 5
	s_barrier
	s_add_i32 s3, s3, -1
	v_lshrrev_b32_e32 v5, 27, v4
	v_or_b32_e32 v4, 16, v3
	buffer_gl0_inv
	s_mul_i32 s6, s15, s6
	v_lshlrev_b64 v[73:74], 1, v[1:2]
	v_add_nc_u32_e32 v6, v3, v5
	v_add_nc_u32_e32 v5, v4, v5
	s_mul_i32 s20, s34, s4
	s_delay_alu instid0(SALU_CYCLE_1) | instskip(NEXT) | instid1(VALU_DEP_2)
	s_ashr_i32 s21, s20, 31
	v_ashrrev_i32_e32 v6, 5, v6
	s_delay_alu instid0(VALU_DEP_2) | instskip(SKIP_1) | instid1(SALU_CYCLE_1)
	v_ashrrev_i32_e32 v5, 5, v5
	s_lshl_b64 s[20:21], s[20:21], 2
	s_add_u32 s4, s12, s20
	s_delay_alu instid0(VALU_DEP_2) | instskip(SKIP_3) | instid1(SALU_CYCLE_1)
	v_cndmask_b32_e32 v3, s3, v6, vcc_lo
	v_cmp_gt_i32_e32 vcc_lo, s18, v4
	s_addc_u32 s17, s13, s21
	s_ashr_i32 s7, s6, 31
	s_lshl_b64 s[6:7], s[6:7], 1
	v_cndmask_b32_e32 v5, s3, v5, vcc_lo
	v_ashrrev_i32_e32 v4, 31, v3
	s_add_u32 s15, s8, s6
	s_addc_u32 s28, s9, s7
	s_lshl_b32 s8, s14, 3
	v_ashrrev_i32_e32 v6, 31, v5
	v_lshlrev_b64 v[3:4], 2, v[3:4]
	s_ashr_i32 s9, s8, 31
	s_delay_alu instid0(SALU_CYCLE_1) | instskip(NEXT) | instid1(VALU_DEP_2)
	s_lshl_b64 s[8:9], s[8:9], 2
	v_lshlrev_b64 v[5:6], 2, v[5:6]
	s_add_u32 s8, s4, s8
	s_delay_alu instid0(VALU_DEP_2) | instskip(SKIP_1) | instid1(VALU_DEP_3)
	v_add_co_u32 v3, vcc_lo, s4, v3
	v_add_co_ci_u32_e32 v4, vcc_lo, s17, v4, vcc_lo
	v_add_co_u32 v5, vcc_lo, s4, v5
	s_delay_alu instid0(VALU_DEP_4)
	v_add_co_ci_u32_e32 v6, vcc_lo, s17, v6, vcc_lo
	s_addc_u32 s9, s17, s9
	s_clause 0x1
	global_load_b32 v7, v[3:4], off
	global_load_b32 v8, v[5:6], off
	s_or_b32 s12, s16, 32
	s_delay_alu instid0(SALU_CYCLE_1) | instskip(SKIP_2) | instid1(SALU_CYCLE_1)
	s_ashr_i32 s13, s12, 5
	s_cmp_lt_i32 s12, s18
	s_cselect_b32 s12, s13, s3
	s_ashr_i32 s13, s12, 31
	s_delay_alu instid0(SALU_CYCLE_1) | instskip(NEXT) | instid1(SALU_CYCLE_1)
	s_lshl_b64 s[12:13], s[12:13], 2
	s_add_u32 s12, s4, s12
	s_addc_u32 s13, s17, s13
	s_or_b32 s20, s16, 64
	s_delay_alu instid0(SALU_CYCLE_1) | instskip(SKIP_2) | instid1(SALU_CYCLE_1)
	s_ashr_i32 s21, s20, 5
	s_cmp_lt_i32 s20, s18
	s_cselect_b32 s20, s21, s3
	s_ashr_i32 s21, s20, 31
	s_delay_alu instid0(SALU_CYCLE_1) | instskip(NEXT) | instid1(SALU_CYCLE_1)
	s_lshl_b64 s[20:21], s[20:21], 2
	s_add_u32 s20, s4, s20
	s_addc_u32 s21, s17, s21
	;; [unrolled: 10-line block ×5, first 2 shown]
	s_clause 0x5
	s_load_b32 s29, s[8:9], 0x0
	s_load_b32 s30, s[12:13], 0x0
	;; [unrolled: 1-line block ×6, first 2 shown]
	s_or_b32 s8, s16, 0xc0
	s_mov_b32 s20, 0
	s_ashr_i32 s9, s8, 5
	s_cmp_lt_i32 s8, s18
	s_mov_b32 s27, s20
	s_cselect_b32 s8, s9, s3
	s_mov_b32 s21, s20
	s_ashr_i32 s9, s8, 31
	s_mov_b32 s22, s20
	s_lshl_b64 s[8:9], s[8:9], 2
	s_mov_b32 s23, s20
	s_add_u32 s8, s4, s8
	s_mov_b32 s24, s20
	s_mov_b32 s25, s20
	;; [unrolled: 1-line block ×3, first 2 shown]
	s_addc_u32 s9, s17, s9
	v_dual_mov_b32 v128, s27 :: v_dual_lshlrev_b32 v79, 6, v77
	v_dual_mov_b32 v122, s21 :: v_dual_mov_b32 v127, s26
	v_dual_mov_b32 v126, s25 :: v_dual_mov_b32 v125, s24
	;; [unrolled: 1-line block ×3, first 2 shown]
	v_mov_b32_e32 v121, s20
	s_waitcnt lgkmcnt(0)
	s_mul_hi_i32 s13, s29, s5
	s_mul_i32 s12, s29, s5
	v_lshl_or_b32 v33, v78, 10, v79
	s_mul_hi_i32 s21, s30, s5
	s_mul_i32 s20, s30, s5
	s_mul_hi_i32 s25, s31, s5
	s_mul_i32 s24, s31, s5
	;; [unrolled: 2-line block ×4, first 2 shown]
	s_waitcnt vmcnt(1)
	v_mad_i64_i32 v[3:4], null, v7, s5, 0
	s_waitcnt vmcnt(0)
	v_mad_i64_i32 v[5:6], null, v8, s5, 0
	s_delay_alu instid0(VALU_DEP_2) | instskip(NEXT) | instid1(VALU_DEP_2)
	v_lshlrev_b64 v[3:4], 1, v[3:4]
	v_lshlrev_b64 v[1:2], 1, v[5:6]
	s_delay_alu instid0(VALU_DEP_2) | instskip(NEXT) | instid1(VALU_DEP_3)
	v_add_co_u32 v3, vcc_lo, s15, v3
	v_add_co_ci_u32_e32 v4, vcc_lo, s28, v4, vcc_lo
	s_delay_alu instid0(VALU_DEP_3) | instskip(NEXT) | instid1(VALU_DEP_4)
	v_add_co_u32 v1, vcc_lo, s15, v1
	v_add_co_ci_u32_e32 v2, vcc_lo, s28, v2, vcc_lo
	s_delay_alu instid0(VALU_DEP_4) | instskip(NEXT) | instid1(VALU_DEP_4)
	v_add_co_u32 v25, vcc_lo, v3, v73
	v_add_co_ci_u32_e32 v26, vcc_lo, v4, v74, vcc_lo
	s_delay_alu instid0(VALU_DEP_4) | instskip(NEXT) | instid1(VALU_DEP_4)
	v_add_co_u32 v27, vcc_lo, v1, v73
	v_add_co_ci_u32_e32 v28, vcc_lo, v2, v74, vcc_lo
	s_clause 0xf
	global_load_b128 v[1:4], v[25:26], off
	global_load_b128 v[5:8], v[25:26], off offset:512
	global_load_b128 v[9:12], v[27:28], off offset:256
	;; [unrolled: 1-line block ×15, first 2 shown]
	v_mul_lo_u16 v25, 0x56, v77
	s_or_b32 s15, s16, 0xe0
	s_delay_alu instid0(SALU_CYCLE_1) | instskip(SKIP_1) | instid1(VALU_DEP_1)
	s_ashr_i32 s22, s15, 5
	s_cmp_lt_i32 s15, s18
	v_lshrrev_b16 v25, 8, v25
	s_cselect_b32 s22, s22, s3
	s_delay_alu instid0(SALU_CYCLE_1) | instskip(NEXT) | instid1(VALU_DEP_1)
	s_ashr_i32 s23, s22, 31
	v_mul_lo_u16 v25, v25, 3
	s_lshl_b64 s[22:23], s[22:23], 2
	s_delay_alu instid0(SALU_CYCLE_1) | instskip(SKIP_1) | instid1(VALU_DEP_1)
	s_add_u32 s22, s4, s22
	s_addc_u32 s23, s17, s23
	v_sub_nc_u16 v25, v77, v25
	s_add_i32 s15, s16, 0x100
	s_delay_alu instid0(SALU_CYCLE_1) | instskip(SKIP_1) | instid1(VALU_DEP_1)
	s_ashr_i32 s28, s15, 5
	s_cmp_lt_i32 s15, s18
	v_and_b32_e32 v25, 0xff, v25
	s_cselect_b32 s28, s28, s3
	s_delay_alu instid0(SALU_CYCLE_1) | instskip(NEXT) | instid1(VALU_DEP_1)
	s_ashr_i32 s29, s28, 31
	v_lshlrev_b32_e32 v151, 6, v25
	s_lshl_b64 s[28:29], s[28:29], 2
	ds_load_b128 v[25:28], v151
	ds_load_b128 v[29:32], v151 offset:1024
	s_add_u32 s28, s4, s28
	s_addc_u32 s29, s17, s29
	s_add_u32 s3, s10, s6
	ds_load_b128 v[129:132], v151 offset:2048
	ds_load_b128 v[133:136], v151 offset:3072
	s_clause 0x2
	s_load_b32 s15, s[8:9], 0x0
	s_load_b32 s4, s[22:23], 0x0
	;; [unrolled: 1-line block ×3, first 2 shown]
	s_addc_u32 s28, s11, s7
	v_add_co_u32 v152, s3, s3, v33
	s_delay_alu instid0(VALU_DEP_1) | instskip(SKIP_2) | instid1(VALU_DEP_2)
	v_add_co_ci_u32_e64 v153, null, s28, 0, s3
	s_lshl_b64 s[6:7], s[12:13], 1
	s_lshl_b64 s[10:11], s[20:21], 1
	v_add_co_u32 v33, vcc_lo, v152, s6
	s_delay_alu instid0(VALU_DEP_2)
	v_add_co_ci_u32_e32 v34, vcc_lo, s7, v153, vcc_lo
	v_add_co_u32 v35, vcc_lo, v152, s10
	s_lshl_b64 s[12:13], s[24:25], 1
	v_add_co_ci_u32_e32 v36, vcc_lo, s11, v153, vcc_lo
	v_add_co_u32 v37, vcc_lo, v152, s12
	s_lshl_b64 s[20:21], s[26:27], 1
	s_mul_hi_i32 s9, s37, s5
	s_mul_i32 s8, s37, s5
	v_add_co_ci_u32_e32 v38, vcc_lo, s13, v153, vcc_lo
	v_add_co_u32 v39, vcc_lo, v152, s20
	s_lshl_b64 s[8:9], s[8:9], 1
	v_add_co_ci_u32_e32 v40, vcc_lo, s21, v153, vcc_lo
	v_add_co_u32 v145, vcc_lo, v152, s8
	s_lshl_b64 s[22:23], s[30:31], 1
	s_waitcnt lgkmcnt(0)
	s_mul_hi_i32 s25, s15, s5
	s_mul_i32 s24, s15, s5
	v_add_co_ci_u32_e32 v146, vcc_lo, s9, v153, vcc_lo
	v_add_co_u32 v147, vcc_lo, v152, s22
	s_lshl_b64 s[24:25], s[24:25], 1
	v_add_co_ci_u32_e32 v148, vcc_lo, s23, v153, vcc_lo
	s_mul_hi_i32 s7, s4, s5
	s_mul_i32 s6, s4, s5
	v_add_co_u32 v149, vcc_lo, v152, s24
	s_lshl_b64 s[6:7], s[6:7], 1
	v_add_co_ci_u32_e32 v150, vcc_lo, s25, v153, vcc_lo
	s_clause 0x7
	global_load_b128 v[65:68], v[33:34], off
	global_load_b128 v[69:72], v[33:34], off offset:16
	global_load_b128 v[57:60], v[35:36], off
	global_load_b128 v[61:64], v[35:36], off offset:16
	;; [unrolled: 2-line block ×4, first 2 shown]
	s_waitcnt vmcnt(22)
	v_wmma_f32_16x16x16_f16 v[137:144], v[1:8], v[25:32], v[121:128]
	s_waitcnt vmcnt(20)
	v_wmma_f32_16x16x16_f16 v[121:128], v[9:16], v[25:32], v[121:128]
	v_add_co_u32 v29, vcc_lo, v152, s6
	v_add_co_ci_u32_e32 v30, vcc_lo, s7, v153, vcc_lo
	s_mul_hi_i32 s7, s17, s5
	s_mul_i32 s6, s17, s5
	s_waitcnt vmcnt(18)
	v_wmma_f32_16x16x16_f16 v[137:144], v[17:24], v[129:136], v[137:144]
	s_lshl_b64 s[4:5], s[6:7], 1
	s_clause 0x1
	global_load_b128 v[9:12], v[145:146], off
	global_load_b128 v[13:16], v[145:146], off offset:16
	v_add_co_u32 v21, vcc_lo, v152, s4
	v_add_co_ci_u32_e32 v22, vcc_lo, s5, v153, vcc_lo
	s_clause 0x7
	global_load_b128 v[1:4], v[147:148], off
	global_load_b128 v[5:8], v[147:148], off offset:16
	global_load_b128 v[33:36], v[149:150], off
	global_load_b128 v[37:40], v[149:150], off offset:16
	;; [unrolled: 2-line block ×4, first 2 shown]
	s_waitcnt vmcnt(26)
	v_wmma_f32_16x16x16_f16 v[121:128], v[81:88], v[129:136], v[121:128]
	ds_load_b128 v[81:84], v151 offset:4096
	ds_load_b128 v[85:88], v151 offset:5120
	v_mbcnt_lo_u32_b32 v130, -1, 0
	s_delay_alu instid0(VALU_DEP_1) | instskip(NEXT) | instid1(VALU_DEP_1)
	v_xor_b32_e32 v131, 16, v130
	v_cmp_gt_i32_e32 vcc_lo, 32, v131
	v_cndmask_b32_e32 v130, v130, v131, vcc_lo
	s_waitcnt vmcnt(24) lgkmcnt(0)
	v_wmma_f32_16x16x16_f16 v[137:144], v[89:96], v[81:88], v[137:144]
	ds_load_b128 v[89:92], v151 offset:6144
	ds_load_b128 v[93:96], v151 offset:7168
	s_waitcnt vmcnt(22)
	v_wmma_f32_16x16x16_f16 v[121:128], v[97:104], v[81:88], v[121:128]
	s_waitcnt vmcnt(0) lgkmcnt(0)
	s_barrier
	buffer_gl0_inv
	v_wmma_f32_16x16x16_f16 v[137:144], v[105:112], v[89:96], v[137:144]
	v_and_b32_e32 v129, 0xe0, v0
	v_wmma_f32_16x16x16_f16 v[121:128], v[113:120], v[89:96], v[121:128]
	s_delay_alu instid0(VALU_DEP_3) | instskip(NEXT) | instid1(VALU_DEP_2)
	v_mul_f32_e32 v96, s19, v137
	v_dual_mul_f32 v104, s19, v126 :: v_dual_add_nc_u32 v129, s16, v129
	v_mul_f32_e32 v95, s19, v138
	v_dual_mul_f32 v93, s19, v140 :: v_dual_mul_f32 v94, s19, v139
	s_delay_alu instid0(VALU_DEP_3) | instskip(SKIP_3) | instid1(VALU_DEP_4)
	v_or_b32_e32 v129, v129, v75
	v_dual_mul_f32 v91, s19, v142 :: v_dual_mul_f32 v106, s19, v124
	v_dual_mul_f32 v92, s19, v141 :: v_dual_mul_f32 v89, s19, v144
	v_mul_f32_e32 v108, s19, v122
	v_or_b32_e32 v131, 2, v129
	v_or_b32_e32 v132, 4, v129
	;; [unrolled: 1-line block ×3, first 2 shown]
	v_cmp_gt_i32_e32 vcc_lo, s18, v129
	v_or_b32_e32 v82, 8, v129
	v_cmp_gt_i32_e64 s3, s18, v131
	v_or_b32_e32 v83, 10, v129
	v_cmp_gt_i32_e64 s4, s18, v132
	v_cndmask_b32_e32 v96, 0xff7fffff, v96, vcc_lo
	v_cmp_gt_i32_e64 s5, s18, v81
	v_cndmask_b32_e64 v95, 0xff7fffff, v95, s3
	v_or_b32_e32 v84, 12, v129
	v_or_b32_e32 v85, 14, v129
	v_cndmask_b32_e64 v94, 0xff7fffff, v94, s4
	v_cndmask_b32_e64 v81, 0xff7fffff, v93, s5
	v_max3_f32 v93, v96, 0xff7fffff, v95
	v_cmp_gt_i32_e64 s6, s18, v82
	v_cmp_gt_i32_e64 s7, s18, v83
	v_or_b32_e32 v86, 16, v129
	v_or_b32_e32 v87, 18, v129
	v_mul_f32_e32 v90, s19, v143
	v_cndmask_b32_e64 v82, 0xff7fffff, v92, s6
	v_cndmask_b32_e64 v83, 0xff7fffff, v91, s7
	v_max3_f32 v81, v93, v94, v81
	v_cmp_gt_i32_e64 s8, s18, v84
	v_cmp_gt_i32_e64 s9, s18, v85
	v_or_b32_e32 v88, 20, v129
	v_or_b32_e32 v97, 22, v129
	v_mul_f32_e32 v109, s19, v121
	v_cndmask_b32_e64 v84, 0xff7fffff, v90, s8
	v_cndmask_b32_e64 v85, 0xff7fffff, v89, s9
	v_max3_f32 v81, v81, v82, v83
	v_cmp_gt_i32_e64 s10, s18, v86
	v_cmp_gt_i32_e64 s11, s18, v87
	v_or_b32_e32 v98, 24, v129
	v_or_b32_e32 v99, 26, v129
	v_mul_f32_e32 v107, s19, v123
	v_cndmask_b32_e64 v82, 0xff7fffff, v109, s10
	v_cndmask_b32_e64 v83, 0xff7fffff, v108, s11
	v_max3_f32 v81, v81, v84, v85
	v_cmp_gt_i32_e64 s12, s18, v88
	v_cmp_gt_i32_e64 s13, s18, v97
	v_or_b32_e32 v100, 28, v129
	v_or_b32_e32 v101, 30, v129
	v_mul_f32_e32 v105, s19, v125
	v_cndmask_b32_e64 v84, 0xff7fffff, v107, s12
	v_cndmask_b32_e64 v85, 0xff7fffff, v106, s13
	v_max3_f32 v81, v81, v82, v83
	v_cmp_gt_i32_e64 s15, s18, v98
	v_cmp_gt_i32_e64 s16, s18, v99
	v_dual_mul_f32 v102, s19, v128 :: v_dual_mul_f32 v103, s19, v127
	s_delay_alu instid0(VALU_DEP_4) | instskip(NEXT) | instid1(VALU_DEP_4)
	v_max3_f32 v81, v81, v84, v85
	v_cndmask_b32_e64 v82, 0xff7fffff, v105, s15
	s_delay_alu instid0(VALU_DEP_4) | instskip(SKIP_2) | instid1(VALU_DEP_3)
	v_cndmask_b32_e64 v83, 0xff7fffff, v104, s16
	v_cmp_gt_i32_e64 s17, s18, v100
	v_cmp_gt_i32_e64 s18, s18, v101
	v_max3_f32 v81, v81, v82, v83
	s_delay_alu instid0(VALU_DEP_3) | instskip(NEXT) | instid1(VALU_DEP_3)
	v_cndmask_b32_e64 v84, 0xff7fffff, v103, s17
	v_cndmask_b32_e64 v85, 0xff7fffff, v102, s18
	v_lshlrev_b32_e32 v83, 2, v130
	s_delay_alu instid0(VALU_DEP_2) | instskip(SKIP_3) | instid1(VALU_DEP_1)
	v_max3_f32 v81, v81, v84, v85
	ds_bpermute_b32 v82, v83, v81
	s_waitcnt lgkmcnt(0)
	v_max_f32_e32 v82, v82, v82
	v_max_f32_e32 v81, v81, v82
	s_delay_alu instid0(VALU_DEP_1)
	v_fma_f32 v82, s19, v137, -v81
	v_fma_f32 v84, s19, v138, -v81
	;; [unrolled: 1-line block ×5, first 2 shown]
	v_mul_f32_e32 v82, 0x3fb8aa3b, v82
	s_delay_alu instid0(VALU_DEP_4) | instskip(NEXT) | instid1(VALU_DEP_3)
	v_dual_mul_f32 v84, 0x3fb8aa3b, v84 :: v_dual_mul_f32 v89, 0x3fb8aa3b, v87
	v_mul_f32_e32 v86, 0x3fb8aa3b, v86
	s_delay_alu instid0(VALU_DEP_3) | instskip(NEXT) | instid1(VALU_DEP_2)
	v_exp_f32_e32 v82, v82
	v_exp_f32_e32 v84, v84
	s_delay_alu instid0(VALU_DEP_2) | instskip(NEXT) | instid1(VALU_DEP_1)
	v_exp_f32_e32 v92, v89
	v_exp_f32_e32 v86, v86
	v_cndmask_b32_e32 v88, 0, v82, vcc_lo
	s_delay_alu instid0(TRANS32_DEP_3)
	v_cndmask_b32_e64 v87, 0, v84, s3
	s_waitcnt_depctr 0xfff
	v_cndmask_b32_e64 v92, 0, v92, s6
	v_cmp_gt_u32_e64 s3, 16, v80
	v_cndmask_b32_e64 v89, 0, v86, s5
	v_add_f32_e32 v84, 0, v88
	s_delay_alu instid0(VALU_DEP_1) | instskip(NEXT) | instid1(VALU_DEP_1)
	v_dual_add_f32 v84, v84, v87 :: v_dual_mul_f32 v85, 0x3fb8aa3b, v85
	v_exp_f32_e32 v85, v85
	s_waitcnt_depctr 0xfff
	v_cndmask_b32_e64 v90, 0, v85, s4
	s_delay_alu instid0(VALU_DEP_1) | instskip(NEXT) | instid1(VALU_DEP_1)
	v_add_f32_e32 v84, v84, v90
	v_add_f32_e32 v84, v84, v89
	v_fma_f32 v82, s19, v142, -v81
	v_fma_f32 v91, s19, v143, -v81
	;; [unrolled: 1-line block ×5, first 2 shown]
	s_delay_alu instid0(VALU_DEP_4) | instskip(SKIP_1) | instid1(VALU_DEP_4)
	v_dual_mul_f32 v82, 0x3fb8aa3b, v82 :: v_dual_mul_f32 v91, 0x3fb8aa3b, v91
	v_fma_f32 v96, s19, v124, -v81
	v_mul_f32_e32 v86, 0x3fb8aa3b, v86
	v_fma_f32 v99, s19, v127, -v81
	s_delay_alu instid0(VALU_DEP_4) | instskip(SKIP_3) | instid1(VALU_DEP_1)
	v_exp_f32_e32 v82, v82
	v_exp_f32_e32 v93, v91
	v_mul_f32_e32 v97, 0x3fb8aa3b, v96
	v_exp_f32_e32 v86, v86
	v_exp_f32_e32 v97, v97
	v_cndmask_b32_e64 v91, 0, v82, s7
	v_dual_add_f32 v82, v84, v92 :: v_dual_mul_f32 v85, 0x3fb8aa3b, v85
	v_fma_f32 v84, s19, v123, -v81
	v_mul_f32_e32 v95, 0x3fb8aa3b, v94
	s_delay_alu instid0(TRANS32_DEP_3) | instskip(NEXT) | instid1(VALU_DEP_4)
	v_cndmask_b32_e64 v94, 0, v93, s8
	v_add_f32_e32 v82, v82, v91
	v_exp_f32_e32 v85, v85
	v_mul_f32_e32 v84, 0x3fb8aa3b, v84
	v_cndmask_b32_e64 v96, 0, v86, s10
	v_exp_f32_e32 v95, v95
	v_add_f32_e32 v82, v82, v94
	v_fma_f32 v86, s19, v126, -v81
	v_exp_f32_e32 v84, v84
	v_cndmask_b32_e64 v97, 0, v97, s13
	s_delay_alu instid0(TRANS32_DEP_3) | instskip(SKIP_2) | instid1(TRANS32_DEP_2)
	v_cndmask_b32_e64 v93, 0, v85, s9
	v_fma_f32 v85, s19, v125, -v81
	v_mul_f32_e32 v86, 0x3fb8aa3b, v86
	v_cndmask_b32_e64 v95, 0, v95, s11
	s_waitcnt_depctr 0xfff
	v_cndmask_b32_e64 v98, 0, v84, s12
	v_mul_f32_e32 v84, 0x3fb8aa3b, v99
	v_fma_f32 v99, s19, v128, -v81
	v_add_f32_e32 v82, v82, v93
	v_mul_f32_e32 v85, 0x3fb8aa3b, v85
	v_exp_f32_e32 v86, v86
	v_exp_f32_e32 v84, v84
	s_delay_alu instid0(VALU_DEP_1)
	v_exp_f32_e32 v85, v85
	s_waitcnt_depctr 0xfff
	v_cndmask_b32_e64 v102, 0, v84, s17
	v_cndmask_b32_e64 v100, 0, v85, s15
	v_dual_mul_f32 v85, 0x3fb8aa3b, v99 :: v_dual_add_f32 v82, v82, v96
	v_cndmask_b32_e64 v99, 0, v86, s16
	s_delay_alu instid0(VALU_DEP_2) | instskip(NEXT) | instid1(VALU_DEP_2)
	v_exp_f32_e32 v85, v85
	v_add_f32_e32 v82, v82, v95
	s_delay_alu instid0(VALU_DEP_1) | instskip(SKIP_3) | instid1(VALU_DEP_1)
	v_add_f32_e32 v82, v82, v98
	s_waitcnt_depctr 0xfff
	v_cndmask_b32_e64 v101, 0, v85, s18
	v_add_f32_e32 v82, v82, v97
	v_add_f32_e32 v82, v82, v100
	s_delay_alu instid0(VALU_DEP_1) | instskip(NEXT) | instid1(VALU_DEP_1)
	v_add_f32_e32 v82, v82, v99
	v_add_f32_e32 v82, v82, v102
	s_delay_alu instid0(VALU_DEP_1)
	v_add_f32_e32 v82, v82, v101
	ds_bpermute_b32 v83, v83, v82
	s_and_saveexec_b32 s4, s3
	s_cbranch_execz .LBB152_14
; %bb.13:
	v_mul_u32_u24_e32 v80, 0x44, v78
	s_waitcnt lgkmcnt(0)
	v_add_f32_e32 v82, v82, v83
	s_delay_alu instid0(VALU_DEP_2) | instskip(NEXT) | instid1(VALU_DEP_1)
	v_lshl_add_u32 v80, v77, 2, v80
	v_add_nc_u32_e32 v80, 0x4000, v80
	ds_store_2addr_b32 v80, v81, v82 offset1:136
.LBB152_14:
	s_or_b32 exec_lo, exec_lo, s4
	v_lshlrev_b32_e32 v80, 2, v77
	s_load_b32 s36, s[0:1], 0x94
	s_waitcnt lgkmcnt(0)
	s_barrier
	buffer_gl0_inv
	v_add_nc_u32_e32 v84, 0x4000, v80
	v_cmp_eq_u32_e32 vcc_lo, 1, v78
	v_cmp_eq_u32_e64 s4, 2, v78
	v_cmp_eq_u32_e64 s5, 3, v78
	;; [unrolled: 1-line block ×3, first 2 shown]
	ds_load_2addr_b32 v[80:81], v84 offset1:17
	ds_load_2addr_b32 v[82:83], v84 offset0:34 offset1:51
	ds_load_2addr_b32 v[103:104], v84 offset0:68 offset1:85
	ds_load_2addr_b32 v[105:106], v84 offset0:102 offset1:119
	v_cmp_eq_u32_e64 s7, 7, v78
	s_waitcnt lgkmcnt(3)
	v_max3_f32 v85, v80, 0xff7fffff, v81
	s_waitcnt lgkmcnt(2)
	s_delay_alu instid0(VALU_DEP_1) | instskip(SKIP_1) | instid1(VALU_DEP_1)
	v_max3_f32 v85, v85, v82, v83
	s_waitcnt lgkmcnt(1)
	v_max3_f32 v85, v85, v103, v104
	s_waitcnt lgkmcnt(0)
	s_delay_alu instid0(VALU_DEP_1) | instskip(NEXT) | instid1(VALU_DEP_1)
	v_max3_f32 v85, v85, v105, v106
	v_sub_f32_e32 v103, v103, v85
	ds_load_2addr_b32 v[107:108], v84 offset0:136 offset1:153
	v_sub_f32_e32 v80, v80, v85
	v_dual_sub_f32 v110, v83, v85 :: v_dual_mul_f32 v113, 0x3fb8aa3b, v103
	s_delay_alu instid0(VALU_DEP_2) | instskip(SKIP_3) | instid1(VALU_DEP_1)
	v_dual_sub_f32 v86, v81, v85 :: v_dual_mul_f32 v109, 0x3fb8aa3b, v80
	ds_load_2addr_b32 v[80:81], v84 offset0:170 offset1:187
	v_mul_f32_e32 v86, 0x3fb8aa3b, v86
	v_exp_f32_e32 v109, v109
	v_exp_f32_e32 v112, v86
	v_mul_f32_e32 v110, 0x3fb8aa3b, v110
	s_waitcnt lgkmcnt(1)
	s_waitcnt_depctr 0xfff
	v_fma_f32 v86, v109, v107, 0
	v_sub_f32_e32 v107, v104, v85
	v_sub_f32_e32 v82, v82, v85
	v_exp_f32_e32 v110, v110
	ds_load_2addr_b32 v[103:104], v84 offset0:238 offset1:255
	v_dual_fmac_f32 v86, v112, v108 :: v_dual_mul_f32 v111, 0x3fb8aa3b, v82
	ds_load_2addr_b32 v[82:83], v84 offset0:204 offset1:221
	v_dual_sub_f32 v84, v105, v85 :: v_dual_mul_f32 v105, 0x3fb8aa3b, v107
	v_exp_f32_e32 v107, v113
	v_exp_f32_e32 v111, v111
	s_waitcnt lgkmcnt(0)
	s_delay_alu instid0(VALU_DEP_1)
	v_mul_f32_e32 v84, 0x3fb8aa3b, v84
	v_exp_f32_e32 v105, v105
	s_barrier
	buffer_gl0_inv
	v_fmac_f32_e32 v86, v111, v80
	v_sub_f32_e32 v80, v106, v85
	v_exp_f32_e32 v106, v84
	s_delay_alu instid0(VALU_DEP_2) | instskip(NEXT) | instid1(VALU_DEP_2)
	v_fmac_f32_e32 v86, v110, v81
	v_mul_f32_e32 v80, 0x3fb8aa3b, v80
	s_delay_alu instid0(VALU_DEP_2) | instskip(NEXT) | instid1(VALU_DEP_2)
	v_dual_cndmask_b32 v81, v109, v112 :: v_dual_fmac_f32 v86, v107, v82
	v_exp_f32_e32 v108, v80
	s_delay_alu instid0(VALU_DEP_1) | instskip(SKIP_2) | instid1(VALU_DEP_1)
	v_fmac_f32_e32 v86, v105, v83
	s_waitcnt_depctr 0xfff
	v_fmac_f32_e32 v86, v106, v103
	v_fmac_f32_e32 v86, v108, v104
	s_delay_alu instid0(VALU_DEP_1) | instskip(NEXT) | instid1(VALU_DEP_1)
	v_add_f32_e32 v103, 0x358637bd, v86
	v_div_scale_f32 v104, null, v103, v103, 1.0
	v_div_scale_f32 v109, vcc_lo, 1.0, v103, 1.0
	s_delay_alu instid0(VALU_DEP_2) | instskip(SKIP_2) | instid1(VALU_DEP_1)
	v_rcp_f32_e32 v113, v104
	s_waitcnt_depctr 0xfff
	v_fma_f32 v80, -v104, v113, 1.0
	v_fmac_f32_e32 v113, v80, v113
	v_cndmask_b32_e64 v80, v81, v111, s4
	v_cmp_eq_u32_e64 s4, 4, v78
	v_lshl_or_b32 v81, v78, 11, v79
	s_delay_alu instid0(VALU_DEP_4) | instskip(NEXT) | instid1(VALU_DEP_4)
	v_mul_f32_e32 v111, v109, v113
	v_cndmask_b32_e64 v82, v80, v110, s5
	v_cmp_eq_u32_e64 s5, 6, v78
	s_delay_alu instid0(VALU_DEP_4) | instskip(SKIP_3) | instid1(VALU_DEP_3)
	v_lshl_or_b32 v78, v75, 4, v81
	v_lshlrev_b32_e32 v80, 2, v75
	v_fma_f32 v83, -v104, v111, v109
	v_cndmask_b32_e64 v84, v82, v107, s4
	v_or_b32_e32 v82, 1, v80
	s_delay_alu instid0(VALU_DEP_3) | instskip(NEXT) | instid1(VALU_DEP_3)
	v_fmac_f32_e32 v111, v83, v113
	v_cndmask_b32_e64 v105, v84, v105, s6
	v_or_b32_e32 v84, 2, v80
	v_or_b32_e32 v83, 3, v80
	v_cmp_eq_u32_e64 s4, 1, v80
	v_fma_f32 v104, -v104, v111, v109
	v_cndmask_b32_e64 v105, v105, v106, s5
	v_cmp_eq_u32_e64 s10, 1, v82
	v_cmp_eq_u32_e64 s11, 1, v84
	;; [unrolled: 1-line block ×3, first 2 shown]
	v_div_fmas_f32 v104, v104, v113, v111
	v_cndmask_b32_e64 v105, v105, v108, s7
	v_cmp_eq_u32_e32 vcc_lo, 2, v80
	v_cmp_eq_u32_e64 s13, 2, v82
	v_cmp_eq_u32_e64 s16, 2, v84
	v_div_fixup_f32 v103, v104, v103, 1.0
	v_cmp_eq_u32_e64 s17, 2, v83
	v_cmp_eq_u32_e64 s19, 3, v83
	;; [unrolled: 1-line block ×4, first 2 shown]
	v_mul_f32_e32 v111, v105, v103
	v_cmp_eq_u32_e64 s18, 3, v84
	v_cmp_eq_u32_e64 s23, 4, v83
	v_cmp_eq_u32_e64 s6, 4, v80
	v_cmp_eq_u32_e64 s20, 4, v82
	v_fma_mixlo_f16 v103, v111, v88, 0
	v_fma_mixlo_f16 v104, v111, v90, 0
	;; [unrolled: 1-line block ×8, first 2 shown]
	v_fma_mixhi_f16 v103, v111, v87, 0
	v_fma_mixhi_f16 v104, v111, v89, 0
	;; [unrolled: 1-line block ×8, first 2 shown]
	ds_store_b128 v78, v[103:106]
	ds_store_b128 v78, v[107:110] offset:1024
	s_waitcnt lgkmcnt(0)
	s_barrier
	buffer_gl0_inv
	ds_load_b128 v[87:90], v81
	ds_load_b128 v[91:94], v81 offset:16
	ds_load_b128 v[95:98], v81 offset:1024
	;; [unrolled: 1-line block ×3, first 2 shown]
	v_cmp_eq_u32_e64 s22, 4, v84
	v_cmp_eq_u32_e64 s25, 5, v83
	;; [unrolled: 1-line block ×13, first 2 shown]
	s_waitcnt lgkmcnt(3)
	v_lshrrev_b32_e32 v103, 16, v87
	s_waitcnt lgkmcnt(2)
	v_lshrrev_b32_e32 v107, 16, v91
	s_waitcnt lgkmcnt(1)
	v_lshrrev_b32_e32 v111, 16, v95
	s_waitcnt lgkmcnt(0)
	v_lshrrev_b32_e32 v115, 16, v99
	v_lshrrev_b32_e32 v104, 16, v88
	v_cndmask_b32_e64 v119, v87, v103, s4
	v_cndmask_b32_e64 v120, v91, v107, s4
	;; [unrolled: 1-line block ×8, first 2 shown]
	v_lshrrev_b32_e32 v108, 16, v92
	v_cndmask_b32_e64 v103, v95, v111, s4
	v_cndmask_b32_e64 v107, v99, v115, s4
	;; [unrolled: 1-line block ×5, first 2 shown]
	v_cndmask_b32_e32 v111, v119, v88, vcc_lo
	v_cndmask_b32_e64 v119, v121, v88, s13
	v_cndmask_b32_e64 v121, v123, v88, s16
	;; [unrolled: 1-line block ×4, first 2 shown]
	v_lshrrev_b32_e32 v112, 16, v96
	v_lshrrev_b32_e32 v116, 16, v100
	v_cndmask_b32_e64 v126, v99, v115, s10
	v_cndmask_b32_e64 v128, v99, v115, s11
	v_cndmask_b32_e64 v99, v99, v115, s12
	v_cndmask_b32_e32 v115, v120, v92, vcc_lo
	v_cndmask_b32_e64 v120, v122, v92, s13
	v_cndmask_b32_e64 v122, v124, v92, s16
	v_cndmask_b32_e32 v91, v103, v96, vcc_lo
	v_cndmask_b32_e32 v92, v107, v100, vcc_lo
	v_cndmask_b32_e64 v103, v125, v96, s13
	v_cndmask_b32_e64 v87, v87, v104, s19
	;; [unrolled: 1-line block ×3, first 2 shown]
	v_lshrrev_b32_e32 v105, 16, v89
	v_lshrrev_b32_e32 v109, 16, v93
	v_cndmask_b32_e64 v107, v127, v96, s16
	v_cndmask_b32_e64 v95, v95, v96, s17
	;; [unrolled: 1-line block ×14, first 2 shown]
	v_lshrrev_b32_e32 v113, 16, v97
	v_cndmask_b32_e64 v99, v99, v89, s6
	v_cndmask_b32_e64 v104, v111, v93, s6
	;; [unrolled: 1-line block ×11, first 2 shown]
	v_lshrrev_b32_e32 v106, 16, v90
	v_lshrrev_b32_e32 v110, 16, v94
	v_cndmask_b32_e64 v93, v99, v105, s7
	v_cndmask_b32_e64 v99, v104, v109, s7
	;; [unrolled: 1-line block ×9, first 2 shown]
	v_lshrrev_b32_e32 v114, 16, v98
	v_cndmask_b32_e64 v89, v89, v113, s7
	v_cndmask_b32_e64 v93, v93, v90, s8
	;; [unrolled: 1-line block ×19, first 2 shown]
	v_perm_b32 v90, v88, v87, 0x5040100
	v_cndmask_b32_e64 v87, v126, v100, s13
	v_cndmask_b32_e64 v105, v89, v114, s9
	v_perm_b32 v89, v103, v99, 0x5040100
	v_perm_b32 v88, v104, v94, 0x5040100
	v_cndmask_b32_e64 v94, v107, v112, s18
	v_cndmask_b32_e64 v95, v95, v112, s19
	;; [unrolled: 1-line block ×5, first 2 shown]
	v_lshrrev_b32_e32 v117, 16, v101
	v_cndmask_b32_e64 v94, v94, v97, s22
	v_cndmask_b32_e64 v95, v95, v97, s23
	;; [unrolled: 1-line block ×11, first 2 shown]
	v_lshrrev_b32_e32 v118, 16, v102
	v_cndmask_b32_e64 v91, v91, v102, s8
	v_cndmask_b32_e64 v94, v94, v98, s27
	;; [unrolled: 1-line block ×12, first 2 shown]
	v_perm_b32 v87, v93, v92, 0x5040100
	v_perm_b32 v94, v95, v94, 0x5040100
	;; [unrolled: 1-line block ×5, first 2 shown]
	s_mul_i32 s8, s35, 3
	s_mov_b32 s4, exec_lo
	ds_store_b128 v78, v[87:90]
	ds_store_b128 v78, v[91:94] offset:1024
	v_cmpx_gt_u32_e32 3, v0
	s_cbranch_execz .LBB152_16
; %bb.15:
	s_mul_i32 s5, s8, s34
	s_load_b128 s[16:19], s[0:1], 0x58
	v_add3_u32 v77, s5, s33, v77
	s_delay_alu instid0(VALU_DEP_1) | instskip(NEXT) | instid1(VALU_DEP_1)
	v_mad_u64_u32 v[87:88], null, v77, s36, s[14:15]
	v_ashrrev_i32_e32 v88, 31, v87
	s_delay_alu instid0(VALU_DEP_1) | instskip(SKIP_1) | instid1(VALU_DEP_1)
	v_lshlrev_b64 v[87:88], 2, v[87:88]
	s_waitcnt lgkmcnt(0)
	v_add_co_u32 v89, vcc_lo, s18, v87
	s_delay_alu instid0(VALU_DEP_2)
	v_add_co_ci_u32_e32 v90, vcc_lo, s19, v88, vcc_lo
	v_add_co_u32 v87, vcc_lo, s16, v87
	v_add_co_ci_u32_e32 v88, vcc_lo, s17, v88, vcc_lo
	global_store_b32 v[89:90], v85, off
	global_store_b32 v[87:88], v86, off
.LBB152_16:
	s_or_b32 exec_lo, exec_lo, s4
	s_waitcnt lgkmcnt(0)
	s_waitcnt_vscnt null, 0x0
	s_barrier
	buffer_gl0_inv
	ds_load_b128 v[93:96], v79
	ds_load_b128 v[97:100], v79 offset:16
	ds_load_b128 v[105:108], v79 offset:1040
	;; [unrolled: 1-line block ×5, first 2 shown]
	v_cmp_eq_u32_e32 vcc_lo, 1, v84
	v_mov_b32_e32 v85, 0
	ds_load_b128 v[121:124], v79 offset:3088
	ds_load_b128 v[117:120], v79 offset:3072
	;; [unrolled: 1-line block ×4, first 2 shown]
	v_cmp_eq_u32_e64 s4, 1, v80
	v_cmp_eq_u32_e64 s5, 1, v83
	;; [unrolled: 1-line block ×3, first 2 shown]
	v_mov_b32_e32 v86, v85
	v_mov_b32_e32 v87, v85
	;; [unrolled: 1-line block ×7, first 2 shown]
	v_cmp_eq_u32_e64 s7, 2, v80
	s_waitcnt lgkmcnt(8)
	s_delay_alu instid0(VALU_DEP_2)
	v_wmma_f32_16x16x16_f16 v[85:92], v[65:72], v[93:100], v[85:92]
	ds_load_b128 v[69:72], v79 offset:5136
	ds_load_b128 v[65:68], v79 offset:5120
	ds_load_b128 v[97:100], v79 offset:6160
	ds_load_b128 v[93:96], v79 offset:6144
	s_waitcnt lgkmcnt(10)
	v_wmma_f32_16x16x16_f16 v[85:92], v[57:64], v[101:108], v[85:92]
	s_waitcnt lgkmcnt(8)
	s_delay_alu instid0(VALU_DEP_1)
	v_wmma_f32_16x16x16_f16 v[85:92], v[57:64], v[109:116], v[85:92]
	ds_load_b128 v[61:64], v79 offset:7184
	ds_load_b128 v[57:60], v79 offset:7168
	;; [unrolled: 1-line block ×4, first 2 shown]
	s_waitcnt lgkmcnt(10)
	v_wmma_f32_16x16x16_f16 v[85:92], v[49:56], v[117:124], v[85:92]
	s_waitcnt lgkmcnt(8)
	s_delay_alu instid0(VALU_DEP_1)
	v_wmma_f32_16x16x16_f16 v[85:92], v[49:56], v[125:132], v[85:92]
	ds_load_b128 v[53:56], v79 offset:9232
	ds_load_b128 v[49:52], v79 offset:9216
	s_waitcnt lgkmcnt(8)
	v_wmma_f32_16x16x16_f16 v[85:92], v[41:48], v[65:72], v[85:92]
	ds_load_b128 v[69:72], v79 offset:10256
	ds_load_b128 v[65:68], v79 offset:10240
	s_waitcnt lgkmcnt(8)
	v_wmma_f32_16x16x16_f16 v[85:92], v[41:48], v[93:100], v[85:92]
	ds_load_b128 v[45:48], v79 offset:11280
	ds_load_b128 v[41:44], v79 offset:11264
	s_waitcnt lgkmcnt(8)
	v_wmma_f32_16x16x16_f16 v[85:92], v[9:16], v[57:64], v[85:92]
	ds_load_b128 v[61:64], v79 offset:12304
	ds_load_b128 v[57:60], v79 offset:12288
	s_waitcnt lgkmcnt(8)
	v_wmma_f32_16x16x16_f16 v[85:92], v[9:16], v[101:108], v[85:92]
	ds_load_b128 v[13:16], v79 offset:13328
	ds_load_b128 v[9:12], v79 offset:13312
	s_waitcnt lgkmcnt(8)
	v_wmma_f32_16x16x16_f16 v[85:92], v[1:8], v[49:56], v[85:92]
	ds_load_b128 v[53:56], v79 offset:14352
	ds_load_b128 v[49:52], v79 offset:14336
	s_waitcnt lgkmcnt(8)
	v_wmma_f32_16x16x16_f16 v[85:92], v[1:8], v[65:72], v[85:92]
	ds_load_b128 v[5:8], v79 offset:15376
	ds_load_b128 v[1:4], v79 offset:15360
	s_waitcnt lgkmcnt(0)
	s_barrier
	buffer_gl0_inv
	v_wmma_f32_16x16x16_f16 v[85:92], v[33:40], v[41:48], v[85:92]
	s_delay_alu instid0(VALU_DEP_1) | instskip(NEXT) | instid1(VALU_DEP_1)
	v_wmma_f32_16x16x16_f16 v[85:92], v[33:40], v[57:64], v[85:92]
	v_wmma_f32_16x16x16_f16 v[85:92], v[25:32], v[9:16], v[85:92]
	s_delay_alu instid0(VALU_DEP_1) | instskip(NEXT) | instid1(VALU_DEP_1)
	v_wmma_f32_16x16x16_f16 v[85:92], v[25:32], v[49:56], v[85:92]
	v_wmma_f32_16x16x16_f16 v[85:92], v[17:24], v[1:8], v[85:92]
	s_delay_alu instid0(VALU_DEP_1) | instskip(NEXT) | instid1(VALU_DEP_2)
	v_cvt_f16_f32_e32 v1, v85
	v_cvt_f16_f32_e32 v2, v86
	s_delay_alu instid0(VALU_DEP_3) | instskip(NEXT) | instid1(VALU_DEP_4)
	v_cvt_f16_f32_e32 v3, v87
	v_cvt_f16_f32_e32 v4, v88
	;; [unrolled: 1-line block ×6, first 2 shown]
	v_pack_b32_f16 v1, v1, v2
	v_pack_b32_f16 v2, v3, v4
	;; [unrolled: 1-line block ×3, first 2 shown]
	s_delay_alu instid0(VALU_DEP_4)
	v_pack_b32_f16 v4, v7, v8
	ds_store_b128 v78, v[1:4]
	s_waitcnt lgkmcnt(0)
	s_barrier
	buffer_gl0_inv
	ds_load_b128 v[1:4], v81
	ds_load_b128 v[5:8], v81 offset:16
	s_waitcnt lgkmcnt(1)
	v_lshrrev_b32_e32 v9, 16, v1
	s_waitcnt lgkmcnt(0)
	v_lshrrev_b32_e32 v13, 16, v5
	v_lshrrev_b32_e32 v15, 16, v7
	;; [unrolled: 1-line block ×4, first 2 shown]
	v_cndmask_b32_e64 v17, v1, v9, s4
	v_cndmask_b32_e64 v18, v5, v13, s4
	;; [unrolled: 1-line block ×3, first 2 shown]
	v_cmp_eq_u32_e64 s4, 2, v82
	v_cndmask_b32_e64 v20, v5, v13, s6
	v_cndmask_b32_e32 v21, v1, v9, vcc_lo
	v_cndmask_b32_e32 v22, v5, v13, vcc_lo
	v_cndmask_b32_e64 v1, v1, v9, s5
	v_cndmask_b32_e64 v5, v5, v13, s5
	v_cmp_eq_u32_e32 vcc_lo, 2, v84
	v_cmp_eq_u32_e64 s5, 2, v83
	v_cndmask_b32_e64 v9, v17, v2, s7
	v_cndmask_b32_e64 v13, v18, v6, s7
	;; [unrolled: 1-line block ×4, first 2 shown]
	v_cndmask_b32_e32 v19, v21, v2, vcc_lo
	v_cmp_eq_u32_e64 s4, 3, v84
	v_cndmask_b32_e32 v20, v22, v6, vcc_lo
	v_cndmask_b32_e64 v1, v1, v2, s5
	v_cmp_eq_u32_e32 vcc_lo, 3, v83
	v_cmp_eq_u32_e64 s6, 3, v80
	v_cndmask_b32_e64 v2, v5, v6, s5
	v_cmp_eq_u32_e64 s5, 3, v82
	v_lshrrev_b32_e32 v16, 16, v8
	v_cmp_eq_u32_e64 s7, 4, v80
	v_cndmask_b32_e64 v5, v9, v10, s6
	v_cndmask_b32_e64 v6, v13, v14, s6
	;; [unrolled: 1-line block ×3, first 2 shown]
	v_cmp_eq_u32_e64 s6, 4, v82
	v_cndmask_b32_e64 v13, v18, v14, s5
	v_cndmask_b32_e64 v17, v19, v10, s4
	;; [unrolled: 1-line block ×3, first 2 shown]
	v_cndmask_b32_e32 v1, v1, v10, vcc_lo
	v_cndmask_b32_e32 v2, v2, v14, vcc_lo
	v_cmp_eq_u32_e32 vcc_lo, 4, v84
	v_cmp_eq_u32_e64 s5, 4, v83
	v_lshrrev_b32_e32 v11, 16, v3
	v_cndmask_b32_e64 v5, v5, v3, s7
	v_cndmask_b32_e64 v6, v6, v7, s7
	;; [unrolled: 1-line block ×4, first 2 shown]
	v_cndmask_b32_e32 v13, v17, v3, vcc_lo
	v_cmp_eq_u32_e64 s4, 5, v84
	v_cndmask_b32_e32 v14, v18, v7, vcc_lo
	v_cndmask_b32_e64 v1, v1, v3, s5
	v_cmp_eq_u32_e32 vcc_lo, 5, v83
	v_cmp_eq_u32_e64 s6, 5, v80
	v_cndmask_b32_e64 v2, v2, v7, s5
	v_cmp_eq_u32_e64 s5, 5, v82
	v_cmp_eq_u32_e64 s7, 6, v80
	v_cndmask_b32_e32 v1, v1, v11, vcc_lo
	v_cndmask_b32_e64 v3, v5, v11, s6
	v_cndmask_b32_e64 v5, v6, v15, s6
	;; [unrolled: 1-line block ×3, first 2 shown]
	v_cmp_eq_u32_e64 s6, 6, v82
	v_cndmask_b32_e64 v7, v10, v15, s5
	v_cndmask_b32_e64 v9, v13, v11, s4
	;; [unrolled: 1-line block ×3, first 2 shown]
	v_cndmask_b32_e32 v2, v2, v15, vcc_lo
	v_cmp_eq_u32_e32 vcc_lo, 6, v84
	v_cmp_eq_u32_e64 s4, 6, v83
	v_lshrrev_b32_e32 v12, 16, v4
	v_cndmask_b32_e64 v3, v3, v4, s7
	v_cndmask_b32_e64 v5, v5, v8, s7
	v_cndmask_b32_e64 v6, v6, v4, s6
	v_cndmask_b32_e64 v7, v7, v8, s6
	v_cndmask_b32_e32 v9, v9, v4, vcc_lo
	v_cmp_eq_u32_e64 s5, 7, v84
	v_cndmask_b32_e32 v10, v10, v8, vcc_lo
	v_cndmask_b32_e64 v1, v1, v4, s4
	v_cmp_eq_u32_e32 vcc_lo, 7, v83
	v_cndmask_b32_e64 v2, v2, v8, s4
	v_cmp_eq_u32_e64 s4, 7, v80
	v_cmp_eq_u32_e64 s6, 7, v82
	v_cndmask_b32_e32 v1, v1, v12, vcc_lo
	s_delay_alu instid0(VALU_DEP_4) | instskip(NEXT) | instid1(VALU_DEP_4)
	v_cndmask_b32_e32 v2, v2, v16, vcc_lo
	v_cndmask_b32_e64 v8, v3, v12, s4
	s_delay_alu instid0(VALU_DEP_4)
	v_cndmask_b32_e64 v6, v6, v12, s6
	v_cndmask_b32_e64 v3, v9, v12, s5
	;; [unrolled: 1-line block ×5, first 2 shown]
	v_cmp_gt_u32_e32 vcc_lo, 32, v0
	v_perm_b32 v4, v2, v1, 0x5040100
	v_perm_b32 v3, v9, v3, 0x5040100
	;; [unrolled: 1-line block ×4, first 2 shown]
	s_and_b32 s2, vcc_lo, s2
	ds_store_b128 v78, v[1:4]
	s_waitcnt lgkmcnt(0)
	s_barrier
	buffer_gl0_inv
	s_and_saveexec_b32 s4, s2
	s_cbranch_execz .LBB152_2
; %bb.17:
	s_load_b64 s[4:5], s[0:1], 0x68
	v_lshlrev_b32_e32 v0, 10, v0
	v_lshlrev_b32_e32 v2, 4, v76
	v_add_nc_u32_e32 v1, s33, v75
	s_lshl_b32 s0, s36, 6
	s_delay_alu instid0(SALU_CYCLE_1) | instskip(NEXT) | instid1(VALU_DEP_2)
	s_mul_i32 s1, s0, s34
	v_and_or_b32 v0, 0x3800, v0, v2
	s_mul_i32 s6, s1, s8
	v_mul_lo_u32 v1, v1, s0
	s_ashr_i32 s7, s6, 31
	s_delay_alu instid0(VALU_DEP_2) | instskip(SKIP_1) | instid1(VALU_DEP_2)
	v_lshl_or_b32 v3, v75, 6, v0
	s_lshl_b64 s[6:7], s[6:7], 1
	v_ashrrev_i32_e32 v2, 31, v1
	ds_load_b128 v[3:6], v3
	s_waitcnt lgkmcnt(0)
	s_add_u32 s1, s4, s6
	s_addc_u32 s2, s5, s7
	s_lshl_b32 s4, s14, 6
	v_lshlrev_b64 v[7:8], 1, v[1:2]
	s_ashr_i32 s5, s4, 31
	s_delay_alu instid0(SALU_CYCLE_1) | instskip(NEXT) | instid1(SALU_CYCLE_1)
	s_lshl_b64 s[4:5], s[4:5], 1
	s_add_u32 s1, s1, s4
	s_addc_u32 s2, s2, s5
	v_add_co_u32 v1, vcc_lo, s1, v73
	v_add_co_ci_u32_e32 v2, vcc_lo, s2, v74, vcc_lo
	s_delay_alu instid0(VALU_DEP_2) | instskip(NEXT) | instid1(VALU_DEP_2)
	v_add_co_u32 v7, vcc_lo, v1, v7
	v_add_co_ci_u32_e32 v8, vcc_lo, v2, v8, vcc_lo
	global_store_b128 v[7:8], v[3:6], off
	s_and_b32 exec_lo, exec_lo, s3
	s_cbranch_execz .LBB152_2
; %bb.18:
	ds_load_b128 v[3:6], v0 offset:128
	s_add_i32 s1, s33, 2
	s_delay_alu instid0(SALU_CYCLE_1) | instskip(NEXT) | instid1(SALU_CYCLE_1)
	s_mul_i32 s0, s1, s0
	s_ashr_i32 s1, s0, 31
	s_delay_alu instid0(SALU_CYCLE_1) | instskip(NEXT) | instid1(SALU_CYCLE_1)
	s_lshl_b64 s[0:1], s[0:1], 1
	v_add_co_u32 v0, vcc_lo, v1, s0
	v_add_co_ci_u32_e32 v1, vcc_lo, s1, v2, vcc_lo
	s_waitcnt lgkmcnt(0)
	global_store_b128 v[0:1], v[3:6], off
	s_nop 0
	s_sendmsg sendmsg(MSG_DEALLOC_VGPRS)
	s_endpgm
	.section	.rodata,"a",@progbits
	.p2align	6, 0x0
	.amdhsa_kernel _Z39paged_attention_ll4mi_QKV_mfma16_kernelIDF16_DF16_LN4vllm18Fp8KVCacheDataTypeE0EhLi32ELi64ELi256ELb0ELi3EL8MFMAType0EEvPKT_PKT0_S8_ifPKiSA_SA_iPKfiiiPfSD_PS3_PT2_iSC_SC_
		.amdhsa_group_segment_fixed_size 17472
		.amdhsa_private_segment_fixed_size 0
		.amdhsa_kernarg_size 400
		.amdhsa_user_sgpr_count 13
		.amdhsa_user_sgpr_dispatch_ptr 0
		.amdhsa_user_sgpr_queue_ptr 0
		.amdhsa_user_sgpr_kernarg_segment_ptr 1
		.amdhsa_user_sgpr_dispatch_id 0
		.amdhsa_user_sgpr_private_segment_size 0
		.amdhsa_wavefront_size32 1
		.amdhsa_uses_dynamic_stack 0
		.amdhsa_enable_private_segment 0
		.amdhsa_system_sgpr_workgroup_id_x 1
		.amdhsa_system_sgpr_workgroup_id_y 1
		.amdhsa_system_sgpr_workgroup_id_z 1
		.amdhsa_system_sgpr_workgroup_info 0
		.amdhsa_system_vgpr_workitem_id 0
		.amdhsa_next_free_vgpr 154
		.amdhsa_next_free_sgpr 39
		.amdhsa_reserve_vcc 1
		.amdhsa_float_round_mode_32 0
		.amdhsa_float_round_mode_16_64 0
		.amdhsa_float_denorm_mode_32 3
		.amdhsa_float_denorm_mode_16_64 3
		.amdhsa_dx10_clamp 1
		.amdhsa_ieee_mode 1
		.amdhsa_fp16_overflow 0
		.amdhsa_workgroup_processor_mode 1
		.amdhsa_memory_ordered 1
		.amdhsa_forward_progress 0
		.amdhsa_shared_vgpr_count 0
		.amdhsa_exception_fp_ieee_invalid_op 0
		.amdhsa_exception_fp_denorm_src 0
		.amdhsa_exception_fp_ieee_div_zero 0
		.amdhsa_exception_fp_ieee_overflow 0
		.amdhsa_exception_fp_ieee_underflow 0
		.amdhsa_exception_fp_ieee_inexact 0
		.amdhsa_exception_int_div_zero 0
	.end_amdhsa_kernel
	.section	.text._Z39paged_attention_ll4mi_QKV_mfma16_kernelIDF16_DF16_LN4vllm18Fp8KVCacheDataTypeE0EhLi32ELi64ELi256ELb0ELi3EL8MFMAType0EEvPKT_PKT0_S8_ifPKiSA_SA_iPKfiiiPfSD_PS3_PT2_iSC_SC_,"axG",@progbits,_Z39paged_attention_ll4mi_QKV_mfma16_kernelIDF16_DF16_LN4vllm18Fp8KVCacheDataTypeE0EhLi32ELi64ELi256ELb0ELi3EL8MFMAType0EEvPKT_PKT0_S8_ifPKiSA_SA_iPKfiiiPfSD_PS3_PT2_iSC_SC_,comdat
.Lfunc_end152:
	.size	_Z39paged_attention_ll4mi_QKV_mfma16_kernelIDF16_DF16_LN4vllm18Fp8KVCacheDataTypeE0EhLi32ELi64ELi256ELb0ELi3EL8MFMAType0EEvPKT_PKT0_S8_ifPKiSA_SA_iPKfiiiPfSD_PS3_PT2_iSC_SC_, .Lfunc_end152-_Z39paged_attention_ll4mi_QKV_mfma16_kernelIDF16_DF16_LN4vllm18Fp8KVCacheDataTypeE0EhLi32ELi64ELi256ELb0ELi3EL8MFMAType0EEvPKT_PKT0_S8_ifPKiSA_SA_iPKfiiiPfSD_PS3_PT2_iSC_SC_
                                        ; -- End function
	.section	.AMDGPU.csdata,"",@progbits
; Kernel info:
; codeLenInByte = 7172
; NumSgprs: 41
; NumVgprs: 154
; ScratchSize: 0
; MemoryBound: 0
; FloatMode: 240
; IeeeMode: 1
; LDSByteSize: 17472 bytes/workgroup (compile time only)
; SGPRBlocks: 5
; VGPRBlocks: 19
; NumSGPRsForWavesPerEU: 41
; NumVGPRsForWavesPerEU: 154
; Occupancy: 9
; WaveLimiterHint : 1
; COMPUTE_PGM_RSRC2:SCRATCH_EN: 0
; COMPUTE_PGM_RSRC2:USER_SGPR: 13
; COMPUTE_PGM_RSRC2:TRAP_HANDLER: 0
; COMPUTE_PGM_RSRC2:TGID_X_EN: 1
; COMPUTE_PGM_RSRC2:TGID_Y_EN: 1
; COMPUTE_PGM_RSRC2:TGID_Z_EN: 1
; COMPUTE_PGM_RSRC2:TIDIG_COMP_CNT: 0
	.section	.text._Z39paged_attention_ll4mi_QKV_mfma16_kernelIDF16_DF16_LN4vllm18Fp8KVCacheDataTypeE0EhLi32ELi64ELi256ELb0ELi4EL8MFMAType0EEvPKT_PKT0_S8_ifPKiSA_SA_iPKfiiiPfSD_PS3_PT2_iSC_SC_,"axG",@progbits,_Z39paged_attention_ll4mi_QKV_mfma16_kernelIDF16_DF16_LN4vllm18Fp8KVCacheDataTypeE0EhLi32ELi64ELi256ELb0ELi4EL8MFMAType0EEvPKT_PKT0_S8_ifPKiSA_SA_iPKfiiiPfSD_PS3_PT2_iSC_SC_,comdat
	.protected	_Z39paged_attention_ll4mi_QKV_mfma16_kernelIDF16_DF16_LN4vllm18Fp8KVCacheDataTypeE0EhLi32ELi64ELi256ELb0ELi4EL8MFMAType0EEvPKT_PKT0_S8_ifPKiSA_SA_iPKfiiiPfSD_PS3_PT2_iSC_SC_ ; -- Begin function _Z39paged_attention_ll4mi_QKV_mfma16_kernelIDF16_DF16_LN4vllm18Fp8KVCacheDataTypeE0EhLi32ELi64ELi256ELb0ELi4EL8MFMAType0EEvPKT_PKT0_S8_ifPKiSA_SA_iPKfiiiPfSD_PS3_PT2_iSC_SC_
	.globl	_Z39paged_attention_ll4mi_QKV_mfma16_kernelIDF16_DF16_LN4vllm18Fp8KVCacheDataTypeE0EhLi32ELi64ELi256ELb0ELi4EL8MFMAType0EEvPKT_PKT0_S8_ifPKiSA_SA_iPKfiiiPfSD_PS3_PT2_iSC_SC_
	.p2align	8
	.type	_Z39paged_attention_ll4mi_QKV_mfma16_kernelIDF16_DF16_LN4vllm18Fp8KVCacheDataTypeE0EhLi32ELi64ELi256ELb0ELi4EL8MFMAType0EEvPKT_PKT0_S8_ifPKiSA_SA_iPKfiiiPfSD_PS3_PT2_iSC_SC_,@function
_Z39paged_attention_ll4mi_QKV_mfma16_kernelIDF16_DF16_LN4vllm18Fp8KVCacheDataTypeE0EhLi32ELi64ELi256ELb0ELi4EL8MFMAType0EEvPKT_PKT0_S8_ifPKiSA_SA_iPKfiiiPfSD_PS3_PT2_iSC_SC_: ; @_Z39paged_attention_ll4mi_QKV_mfma16_kernelIDF16_DF16_LN4vllm18Fp8KVCacheDataTypeE0EhLi32ELi64ELi256ELb0ELi4EL8MFMAType0EEvPKT_PKT0_S8_ifPKiSA_SA_iPKfiiiPfSD_PS3_PT2_iSC_SC_
; %bb.0:
	s_load_b64 s[2:3], s[0:1], 0x30
	s_mov_b32 s34, s13
	s_waitcnt lgkmcnt(0)
	s_cmp_lg_u64 s[2:3], 0
	s_cselect_b32 s6, -1, 0
	s_ashr_i32 s35, s13, 31
	s_cmp_eq_u64 s[2:3], 0
	s_cbranch_scc1 .LBB153_3
; %bb.1:
	s_lshl_b64 s[4:5], s[34:35], 2
	s_delay_alu instid0(SALU_CYCLE_1) | instskip(SKIP_4) | instid1(SALU_CYCLE_1)
	s_add_u32 s4, s2, s4
	s_addc_u32 s5, s3, s5
	s_load_b64 s[4:5], s[4:5], 0x0
	s_waitcnt lgkmcnt(0)
	s_sub_i32 s4, s5, s4
	s_cmp_eq_u32 s4, 1
	s_cselect_b32 s4, -1, 0
	s_delay_alu instid0(SALU_CYCLE_1)
	s_and_not1_b32 vcc_lo, exec_lo, s4
	s_cbranch_vccz .LBB153_4
.LBB153_2:
	s_endpgm
.LBB153_3:
.LBB153_4:
	s_load_b64 s[8:9], s[0:1], 0x28
	s_lshl_b64 s[4:5], s[34:35], 2
	s_waitcnt lgkmcnt(0)
	s_add_u32 s8, s8, s4
	s_addc_u32 s9, s9, s5
	s_lshl_b32 s16, s14, 8
	s_load_b32 s18, s[8:9], 0x0
	s_waitcnt lgkmcnt(0)
	s_cmp_ge_i32 s16, s18
	s_cbranch_scc1 .LBB153_2
; %bb.5:
	s_and_not1_b32 vcc_lo, exec_lo, s6
	s_cbranch_vccnz .LBB153_7
; %bb.6:
	s_add_u32 s2, s2, s4
	s_addc_u32 s3, s3, s5
	s_load_b32 s17, s[2:3], 0x0
	s_branch .LBB153_8
.LBB153_7:
	s_mov_b32 s17, s34
.LBB153_8:
	s_clause 0x2
	s_load_b128 s[8:11], s[0:1], 0x8
	s_load_b64 s[12:13], s[0:1], 0x20
	s_load_b128 s[4:7], s[0:1], 0x48
	v_and_b32_e32 v79, 15, v0
	v_cmp_lt_u32_e32 vcc_lo, 63, v0
	s_delay_alu instid0(VALU_DEP_2) | instskip(SKIP_2) | instid1(VALU_DEP_3)
	v_cmp_lt_u32_e64 s3, 7, v79
	v_lshlrev_b32_e32 v1, 3, v79
	v_cmp_gt_u32_e64 s2, 8, v79
	s_or_b32 s3, vcc_lo, s3
	s_waitcnt lgkmcnt(0)
	s_and_saveexec_b32 s7, s3
	s_delay_alu instid0(SALU_CYCLE_1)
	s_xor_b32 s3, exec_lo, s7
; %bb.9:
	v_mov_b32_e32 v2, 0
; %bb.10:
	s_or_saveexec_b32 s3, s3
	v_lshrrev_b32_e32 v78, 5, v0
	v_and_b32_e32 v80, 31, v0
	v_and_b32_e32 v76, 1, v0
	v_bfe_u32 v75, v0, 4, 1
	s_lshl_b32 s31, s15, 2
	s_xor_b32 exec_lo, exec_lo, s3
	s_cbranch_execz .LBB153_12
; %bb.11:
	s_delay_alu instid0(VALU_DEP_1)
	v_lshl_or_b32 v7, v78, 1, v75
	s_load_b64 s[20:21], s[0:1], 0x0
	s_mul_hi_i32 s23, s17, s4
	s_mul_i32 s22, s17, s4
	v_lshlrev_b32_e32 v4, 1, v1
	v_or_b32_e32 v2, s31, v7
	s_lshl_b64 s[22:23], s[22:23], 1
	v_lshlrev_b32_e32 v7, 6, v7
	v_lshlrev_b32_e32 v8, 10, v76
	s_delay_alu instid0(VALU_DEP_3) | instskip(NEXT) | instid1(VALU_DEP_1)
	v_lshlrev_b32_e32 v2, 6, v2
	v_ashrrev_i32_e32 v3, 31, v2
	s_delay_alu instid0(VALU_DEP_1) | instskip(SKIP_3) | instid1(VALU_DEP_1)
	v_lshlrev_b64 v[2:3], 1, v[2:3]
	s_waitcnt lgkmcnt(0)
	s_add_u32 s4, s20, s22
	s_addc_u32 s7, s21, s23
	v_add_co_u32 v2, vcc_lo, s4, v2
	s_delay_alu instid0(VALU_DEP_2) | instskip(NEXT) | instid1(VALU_DEP_2)
	v_add_co_ci_u32_e32 v3, vcc_lo, s7, v3, vcc_lo
	v_add_co_u32 v2, vcc_lo, v2, v4
	s_delay_alu instid0(VALU_DEP_2) | instskip(SKIP_2) | instid1(VALU_DEP_1)
	v_add_co_ci_u32_e32 v3, vcc_lo, 0, v3, vcc_lo
	global_load_b128 v[3:6], v[2:3], off
	v_lshlrev_b32_e32 v2, 10, v79
	v_and_b32_e32 v2, 0x3800, v2
	s_delay_alu instid0(VALU_DEP_1)
	v_or3_b32 v7, v2, v8, v7
	v_mov_b32_e32 v2, 0
	s_waitcnt vmcnt(0)
	ds_store_b128 v7, v[3:6]
.LBB153_12:
	s_or_b32 exec_lo, exec_lo, s3
	v_and_b32_e32 v3, 0xef, v0
	s_add_i32 s3, s18, 31
	s_clause 0x1
	s_load_b32 s4, s[0:1], 0x38
	s_load_b32 s33, s[0:1], 0x98
	s_ashr_i32 s7, s3, 31
	v_add_nc_u32_e32 v3, s16, v3
	s_lshr_b32 s7, s7, 27
	s_load_b32 s19, s[0:1], 0x1c
	s_add_i32 s3, s3, s7
	s_waitcnt lgkmcnt(0)
	v_ashrrev_i32_e32 v4, 31, v3
	v_cmp_gt_i32_e32 vcc_lo, s18, v3
	s_ashr_i32 s3, s3, 5
	s_barrier
	s_add_i32 s3, s3, -1
	v_lshrrev_b32_e32 v5, 27, v4
	v_or_b32_e32 v4, 16, v3
	buffer_gl0_inv
	s_mul_i32 s6, s15, s6
	v_lshlrev_b64 v[73:74], 1, v[1:2]
	v_add_nc_u32_e32 v6, v3, v5
	v_add_nc_u32_e32 v5, v4, v5
	s_mul_i32 s20, s34, s4
	v_lshlrev_b32_e32 v77, 6, v79
	s_ashr_i32 s21, s20, 31
	v_ashrrev_i32_e32 v6, 5, v6
	v_ashrrev_i32_e32 v5, 5, v5
	s_lshl_b64 s[20:21], s[20:21], 2
	v_lshl_or_b32 v33, v78, 10, v77
	s_add_u32 s4, s12, s20
	v_cndmask_b32_e32 v3, s3, v6, vcc_lo
	v_cmp_gt_i32_e32 vcc_lo, s18, v4
	s_addc_u32 s17, s13, s21
	s_ashr_i32 s7, s6, 31
	s_delay_alu instid0(SALU_CYCLE_1)
	s_lshl_b64 s[6:7], s[6:7], 1
	v_cndmask_b32_e32 v5, s3, v5, vcc_lo
	v_ashrrev_i32_e32 v4, 31, v3
	s_add_u32 s15, s8, s6
	s_addc_u32 s28, s9, s7
	s_lshl_b32 s8, s14, 3
	v_ashrrev_i32_e32 v6, 31, v5
	v_lshlrev_b64 v[3:4], 2, v[3:4]
	s_ashr_i32 s9, s8, 31
	s_delay_alu instid0(SALU_CYCLE_1) | instskip(NEXT) | instid1(VALU_DEP_2)
	s_lshl_b64 s[8:9], s[8:9], 2
	v_lshlrev_b64 v[5:6], 2, v[5:6]
	s_add_u32 s8, s4, s8
	s_delay_alu instid0(VALU_DEP_2) | instskip(SKIP_1) | instid1(VALU_DEP_3)
	v_add_co_u32 v3, vcc_lo, s4, v3
	v_add_co_ci_u32_e32 v4, vcc_lo, s17, v4, vcc_lo
	v_add_co_u32 v5, vcc_lo, s4, v5
	s_delay_alu instid0(VALU_DEP_4)
	v_add_co_ci_u32_e32 v6, vcc_lo, s17, v6, vcc_lo
	s_addc_u32 s9, s17, s9
	s_clause 0x1
	global_load_b32 v7, v[3:4], off
	global_load_b32 v8, v[5:6], off
	s_or_b32 s12, s16, 32
	s_delay_alu instid0(SALU_CYCLE_1) | instskip(SKIP_2) | instid1(SALU_CYCLE_1)
	s_ashr_i32 s13, s12, 5
	s_cmp_lt_i32 s12, s18
	s_cselect_b32 s12, s13, s3
	s_ashr_i32 s13, s12, 31
	s_delay_alu instid0(SALU_CYCLE_1) | instskip(NEXT) | instid1(SALU_CYCLE_1)
	s_lshl_b64 s[12:13], s[12:13], 2
	s_add_u32 s12, s4, s12
	s_addc_u32 s13, s17, s13
	s_or_b32 s20, s16, 64
	s_delay_alu instid0(SALU_CYCLE_1) | instskip(SKIP_2) | instid1(SALU_CYCLE_1)
	s_ashr_i32 s21, s20, 5
	s_cmp_lt_i32 s20, s18
	s_cselect_b32 s20, s21, s3
	s_ashr_i32 s21, s20, 31
	s_delay_alu instid0(SALU_CYCLE_1) | instskip(NEXT) | instid1(SALU_CYCLE_1)
	s_lshl_b64 s[20:21], s[20:21], 2
	s_add_u32 s20, s4, s20
	s_addc_u32 s21, s17, s21
	s_or_b32 s22, s16, 0x60
	s_delay_alu instid0(SALU_CYCLE_1) | instskip(SKIP_2) | instid1(SALU_CYCLE_1)
	s_ashr_i32 s23, s22, 5
	s_cmp_lt_i32 s22, s18
	s_cselect_b32 s22, s23, s3
	s_ashr_i32 s23, s22, 31
	s_delay_alu instid0(SALU_CYCLE_1) | instskip(NEXT) | instid1(SALU_CYCLE_1)
	s_lshl_b64 s[22:23], s[22:23], 2
	s_add_u32 s22, s4, s22
	s_addc_u32 s23, s17, s23
	s_or_b32 s24, s16, 0x80
	s_delay_alu instid0(SALU_CYCLE_1) | instskip(SKIP_2) | instid1(SALU_CYCLE_1)
	s_ashr_i32 s25, s24, 5
	s_cmp_lt_i32 s24, s18
	s_cselect_b32 s24, s25, s3
	s_ashr_i32 s25, s24, 31
	s_delay_alu instid0(SALU_CYCLE_1) | instskip(NEXT) | instid1(SALU_CYCLE_1)
	s_lshl_b64 s[24:25], s[24:25], 2
	s_add_u32 s24, s4, s24
	s_addc_u32 s25, s17, s25
	s_or_b32 s26, s16, 0xa0
	s_delay_alu instid0(SALU_CYCLE_1) | instskip(SKIP_2) | instid1(SALU_CYCLE_1)
	s_ashr_i32 s27, s26, 5
	s_cmp_lt_i32 s26, s18
	s_cselect_b32 s26, s27, s3
	s_ashr_i32 s27, s26, 31
	s_delay_alu instid0(SALU_CYCLE_1) | instskip(NEXT) | instid1(SALU_CYCLE_1)
	s_lshl_b64 s[26:27], s[26:27], 2
	s_add_u32 s26, s4, s26
	s_addc_u32 s27, s17, s27
	s_clause 0x5
	s_load_b32 s29, s[8:9], 0x0
	s_load_b32 s30, s[12:13], 0x0
	s_load_b32 s35, s[20:21], 0x0
	s_load_b32 s36, s[22:23], 0x0
	s_load_b32 s37, s[24:25], 0x0
	s_load_b32 s38, s[26:27], 0x0
	s_or_b32 s8, s16, 0xc0
	s_mov_b32 s20, 0
	s_ashr_i32 s9, s8, 5
	s_cmp_lt_i32 s8, s18
	s_mov_b32 s27, s20
	s_cselect_b32 s8, s9, s3
	s_mov_b32 s21, s20
	s_ashr_i32 s9, s8, 31
	s_mov_b32 s22, s20
	s_lshl_b64 s[8:9], s[8:9], 2
	s_mov_b32 s23, s20
	s_add_u32 s8, s4, s8
	s_mov_b32 s24, s20
	s_mov_b32 s25, s20
	;; [unrolled: 1-line block ×3, first 2 shown]
	s_addc_u32 s9, s17, s9
	v_dual_mov_b32 v128, s27 :: v_dual_mov_b32 v127, s26
	v_dual_mov_b32 v126, s25 :: v_dual_mov_b32 v125, s24
	;; [unrolled: 1-line block ×3, first 2 shown]
	v_mov_b32_e32 v121, s20
	s_waitcnt lgkmcnt(0)
	s_mul_hi_i32 s13, s29, s5
	s_mul_i32 s12, s29, s5
	v_mov_b32_e32 v122, s21
	s_mul_hi_i32 s21, s30, s5
	s_mul_i32 s20, s30, s5
	s_mul_hi_i32 s25, s35, s5
	s_mul_i32 s24, s35, s5
	;; [unrolled: 2-line block ×3, first 2 shown]
	s_mul_i32 s36, s38, s5
	s_waitcnt vmcnt(1)
	v_mad_i64_i32 v[3:4], null, v7, s5, 0
	s_waitcnt vmcnt(0)
	v_mad_i64_i32 v[5:6], null, v8, s5, 0
	s_delay_alu instid0(VALU_DEP_2) | instskip(NEXT) | instid1(VALU_DEP_2)
	v_lshlrev_b64 v[3:4], 1, v[3:4]
	v_lshlrev_b64 v[1:2], 1, v[5:6]
	s_delay_alu instid0(VALU_DEP_2) | instskip(NEXT) | instid1(VALU_DEP_3)
	v_add_co_u32 v3, vcc_lo, s15, v3
	v_add_co_ci_u32_e32 v4, vcc_lo, s28, v4, vcc_lo
	s_delay_alu instid0(VALU_DEP_3) | instskip(NEXT) | instid1(VALU_DEP_4)
	v_add_co_u32 v1, vcc_lo, s15, v1
	v_add_co_ci_u32_e32 v2, vcc_lo, s28, v2, vcc_lo
	s_delay_alu instid0(VALU_DEP_4) | instskip(NEXT) | instid1(VALU_DEP_4)
	v_add_co_u32 v25, vcc_lo, v3, v73
	v_add_co_ci_u32_e32 v26, vcc_lo, v4, v74, vcc_lo
	s_delay_alu instid0(VALU_DEP_4) | instskip(NEXT) | instid1(VALU_DEP_4)
	v_add_co_u32 v27, vcc_lo, v1, v73
	v_add_co_ci_u32_e32 v28, vcc_lo, v2, v74, vcc_lo
	s_clause 0xf
	global_load_b128 v[1:4], v[25:26], off
	global_load_b128 v[5:8], v[25:26], off offset:512
	global_load_b128 v[9:12], v[27:28], off offset:256
	;; [unrolled: 1-line block ×15, first 2 shown]
	s_or_b32 s15, s16, 0xe0
	v_and_b32_e32 v25, 3, v0
	s_ashr_i32 s22, s15, 5
	s_cmp_lt_i32 s15, s18
	s_cselect_b32 s22, s22, s3
	s_delay_alu instid0(VALU_DEP_1)
	v_lshlrev_b32_e32 v151, 6, v25
	s_ashr_i32 s23, s22, 31
	ds_load_b128 v[25:28], v151
	ds_load_b128 v[29:32], v151 offset:1024
	s_lshl_b64 s[22:23], s[22:23], 2
	ds_load_b128 v[129:132], v151 offset:2048
	ds_load_b128 v[133:136], v151 offset:3072
	s_add_u32 s22, s4, s22
	s_addc_u32 s23, s17, s23
	s_add_i32 s15, s16, 0x100
	s_delay_alu instid0(SALU_CYCLE_1)
	s_ashr_i32 s28, s15, 5
	s_cmp_lt_i32 s15, s18
	s_load_b32 s15, s[8:9], 0x0
	s_cselect_b32 s28, s28, s3
	s_mul_hi_i32 s9, s37, s5
	s_ashr_i32 s29, s28, 31
	s_mul_i32 s8, s37, s5
	s_lshl_b64 s[28:29], s[28:29], 2
	s_mul_hi_i32 s37, s38, s5
	s_add_u32 s28, s4, s28
	s_addc_u32 s29, s17, s29
	s_add_u32 s3, s10, s6
	s_clause 0x1
	s_load_b32 s4, s[22:23], 0x0
	s_load_b32 s17, s[28:29], 0x0
	s_addc_u32 s28, s11, s7
	v_add_co_u32 v152, s3, s3, v33
	s_delay_alu instid0(VALU_DEP_1) | instskip(SKIP_2) | instid1(VALU_DEP_2)
	v_add_co_ci_u32_e64 v153, null, s28, 0, s3
	s_lshl_b64 s[6:7], s[12:13], 1
	s_lshl_b64 s[10:11], s[20:21], 1
	v_add_co_u32 v33, vcc_lo, v152, s6
	s_delay_alu instid0(VALU_DEP_2)
	v_add_co_ci_u32_e32 v34, vcc_lo, s7, v153, vcc_lo
	v_add_co_u32 v35, vcc_lo, v152, s10
	s_lshl_b64 s[12:13], s[24:25], 1
	v_add_co_ci_u32_e32 v36, vcc_lo, s11, v153, vcc_lo
	v_add_co_u32 v37, vcc_lo, v152, s12
	s_lshl_b64 s[20:21], s[26:27], 1
	v_add_co_ci_u32_e32 v38, vcc_lo, s13, v153, vcc_lo
	v_add_co_u32 v39, vcc_lo, v152, s20
	s_lshl_b64 s[8:9], s[8:9], 1
	v_add_co_ci_u32_e32 v40, vcc_lo, s21, v153, vcc_lo
	v_add_co_u32 v145, vcc_lo, v152, s8
	s_lshl_b64 s[22:23], s[36:37], 1
	s_waitcnt lgkmcnt(0)
	s_mul_hi_i32 s25, s15, s5
	s_mul_i32 s24, s15, s5
	v_add_co_ci_u32_e32 v146, vcc_lo, s9, v153, vcc_lo
	v_add_co_u32 v147, vcc_lo, v152, s22
	s_lshl_b64 s[24:25], s[24:25], 1
	v_add_co_ci_u32_e32 v148, vcc_lo, s23, v153, vcc_lo
	s_mul_hi_i32 s7, s4, s5
	s_mul_i32 s6, s4, s5
	v_add_co_u32 v149, vcc_lo, v152, s24
	s_lshl_b64 s[6:7], s[6:7], 1
	v_add_co_ci_u32_e32 v150, vcc_lo, s25, v153, vcc_lo
	s_clause 0x7
	global_load_b128 v[65:68], v[33:34], off
	global_load_b128 v[69:72], v[33:34], off offset:16
	global_load_b128 v[57:60], v[35:36], off
	global_load_b128 v[61:64], v[35:36], off offset:16
	global_load_b128 v[49:52], v[37:38], off
	global_load_b128 v[53:56], v[37:38], off offset:16
	global_load_b128 v[41:44], v[39:40], off
	global_load_b128 v[45:48], v[39:40], off offset:16
	s_waitcnt vmcnt(22)
	v_wmma_f32_16x16x16_f16 v[137:144], v[1:8], v[25:32], v[121:128]
	s_waitcnt vmcnt(20)
	v_wmma_f32_16x16x16_f16 v[121:128], v[9:16], v[25:32], v[121:128]
	v_add_co_u32 v29, vcc_lo, v152, s6
	v_add_co_ci_u32_e32 v30, vcc_lo, s7, v153, vcc_lo
	s_mul_hi_i32 s7, s17, s5
	s_mul_i32 s6, s17, s5
	s_waitcnt vmcnt(18)
	v_wmma_f32_16x16x16_f16 v[137:144], v[17:24], v[129:136], v[137:144]
	s_lshl_b64 s[4:5], s[6:7], 1
	s_clause 0x1
	global_load_b128 v[9:12], v[145:146], off
	global_load_b128 v[13:16], v[145:146], off offset:16
	v_add_co_u32 v21, vcc_lo, v152, s4
	v_add_co_ci_u32_e32 v22, vcc_lo, s5, v153, vcc_lo
	s_clause 0x7
	global_load_b128 v[1:4], v[147:148], off
	global_load_b128 v[5:8], v[147:148], off offset:16
	global_load_b128 v[33:36], v[149:150], off
	global_load_b128 v[37:40], v[149:150], off offset:16
	;; [unrolled: 2-line block ×4, first 2 shown]
	s_waitcnt vmcnt(26)
	v_wmma_f32_16x16x16_f16 v[121:128], v[81:88], v[129:136], v[121:128]
	ds_load_b128 v[81:84], v151 offset:4096
	ds_load_b128 v[85:88], v151 offset:5120
	v_mbcnt_lo_u32_b32 v130, -1, 0
	s_delay_alu instid0(VALU_DEP_1) | instskip(NEXT) | instid1(VALU_DEP_1)
	v_xor_b32_e32 v131, 16, v130
	v_cmp_gt_i32_e32 vcc_lo, 32, v131
	v_cndmask_b32_e32 v130, v130, v131, vcc_lo
	s_waitcnt vmcnt(24) lgkmcnt(0)
	v_wmma_f32_16x16x16_f16 v[137:144], v[89:96], v[81:88], v[137:144]
	ds_load_b128 v[89:92], v151 offset:6144
	ds_load_b128 v[93:96], v151 offset:7168
	s_waitcnt vmcnt(22)
	v_wmma_f32_16x16x16_f16 v[121:128], v[97:104], v[81:88], v[121:128]
	s_waitcnt vmcnt(0) lgkmcnt(0)
	s_barrier
	buffer_gl0_inv
	v_wmma_f32_16x16x16_f16 v[137:144], v[105:112], v[89:96], v[137:144]
	v_and_b32_e32 v129, 0xe0, v0
	v_wmma_f32_16x16x16_f16 v[121:128], v[113:120], v[89:96], v[121:128]
	s_delay_alu instid0(VALU_DEP_3) | instskip(NEXT) | instid1(VALU_DEP_2)
	v_mul_f32_e32 v96, s19, v137
	v_dual_mul_f32 v104, s19, v126 :: v_dual_add_nc_u32 v129, s16, v129
	v_mul_f32_e32 v95, s19, v138
	v_dual_mul_f32 v93, s19, v140 :: v_dual_mul_f32 v94, s19, v139
	s_delay_alu instid0(VALU_DEP_3) | instskip(SKIP_3) | instid1(VALU_DEP_4)
	v_or_b32_e32 v129, v129, v75
	v_dual_mul_f32 v91, s19, v142 :: v_dual_mul_f32 v106, s19, v124
	v_dual_mul_f32 v92, s19, v141 :: v_dual_mul_f32 v89, s19, v144
	v_mul_f32_e32 v108, s19, v122
	v_or_b32_e32 v131, 2, v129
	v_or_b32_e32 v132, 4, v129
	;; [unrolled: 1-line block ×3, first 2 shown]
	v_cmp_gt_i32_e32 vcc_lo, s18, v129
	v_or_b32_e32 v82, 8, v129
	v_cmp_gt_i32_e64 s3, s18, v131
	v_or_b32_e32 v83, 10, v129
	v_cmp_gt_i32_e64 s4, s18, v132
	v_cndmask_b32_e32 v96, 0xff7fffff, v96, vcc_lo
	v_cmp_gt_i32_e64 s5, s18, v81
	v_cndmask_b32_e64 v95, 0xff7fffff, v95, s3
	v_or_b32_e32 v84, 12, v129
	v_or_b32_e32 v85, 14, v129
	v_cndmask_b32_e64 v94, 0xff7fffff, v94, s4
	v_cndmask_b32_e64 v81, 0xff7fffff, v93, s5
	v_max3_f32 v93, v96, 0xff7fffff, v95
	v_cmp_gt_i32_e64 s6, s18, v82
	v_cmp_gt_i32_e64 s7, s18, v83
	v_or_b32_e32 v86, 16, v129
	v_or_b32_e32 v87, 18, v129
	v_mul_f32_e32 v90, s19, v143
	v_cndmask_b32_e64 v82, 0xff7fffff, v92, s6
	v_cndmask_b32_e64 v83, 0xff7fffff, v91, s7
	v_max3_f32 v81, v93, v94, v81
	v_cmp_gt_i32_e64 s8, s18, v84
	v_cmp_gt_i32_e64 s9, s18, v85
	v_or_b32_e32 v88, 20, v129
	v_or_b32_e32 v97, 22, v129
	v_mul_f32_e32 v109, s19, v121
	;; [unrolled: 8-line block ×4, first 2 shown]
	v_cndmask_b32_e64 v84, 0xff7fffff, v107, s12
	v_cndmask_b32_e64 v85, 0xff7fffff, v106, s13
	v_max3_f32 v81, v81, v82, v83
	v_cmp_gt_i32_e64 s15, s18, v98
	v_cmp_gt_i32_e64 s16, s18, v99
	v_dual_mul_f32 v102, s19, v128 :: v_dual_mul_f32 v103, s19, v127
	s_delay_alu instid0(VALU_DEP_4) | instskip(NEXT) | instid1(VALU_DEP_4)
	v_max3_f32 v81, v81, v84, v85
	v_cndmask_b32_e64 v82, 0xff7fffff, v105, s15
	s_delay_alu instid0(VALU_DEP_4) | instskip(SKIP_2) | instid1(VALU_DEP_3)
	v_cndmask_b32_e64 v83, 0xff7fffff, v104, s16
	v_cmp_gt_i32_e64 s17, s18, v100
	v_cmp_gt_i32_e64 s18, s18, v101
	v_max3_f32 v81, v81, v82, v83
	s_delay_alu instid0(VALU_DEP_3) | instskip(NEXT) | instid1(VALU_DEP_3)
	v_cndmask_b32_e64 v84, 0xff7fffff, v103, s17
	v_cndmask_b32_e64 v85, 0xff7fffff, v102, s18
	v_lshlrev_b32_e32 v83, 2, v130
	s_delay_alu instid0(VALU_DEP_2) | instskip(SKIP_3) | instid1(VALU_DEP_1)
	v_max3_f32 v81, v81, v84, v85
	ds_bpermute_b32 v82, v83, v81
	s_waitcnt lgkmcnt(0)
	v_max_f32_e32 v82, v82, v82
	v_max_f32_e32 v81, v81, v82
	s_delay_alu instid0(VALU_DEP_1) | instskip(SKIP_3) | instid1(VALU_DEP_4)
	v_fma_f32 v82, s19, v137, -v81
	v_fma_f32 v84, s19, v138, -v81
	;; [unrolled: 1-line block ×4, first 2 shown]
	v_mul_f32_e32 v82, 0x3fb8aa3b, v82
	s_delay_alu instid0(VALU_DEP_3) | instskip(NEXT) | instid1(VALU_DEP_3)
	v_dual_mul_f32 v84, 0x3fb8aa3b, v84 :: v_dual_mul_f32 v85, 0x3fb8aa3b, v85
	v_mul_f32_e32 v86, 0x3fb8aa3b, v86
	s_delay_alu instid0(VALU_DEP_3) | instskip(NEXT) | instid1(VALU_DEP_2)
	v_exp_f32_e32 v82, v82
	v_exp_f32_e32 v84, v84
	s_delay_alu instid0(VALU_DEP_2) | instskip(NEXT) | instid1(VALU_DEP_1)
	v_exp_f32_e32 v85, v85
	v_exp_f32_e32 v90, v86
	v_cndmask_b32_e32 v87, 0, v82, vcc_lo
	s_delay_alu instid0(TRANS32_DEP_3) | instskip(SKIP_4) | instid1(VALU_DEP_1)
	v_cndmask_b32_e64 v86, 0, v84, s3
	s_waitcnt_depctr 0xfff
	v_cndmask_b32_e64 v89, 0, v85, s4
	s_mov_b32 s3, exec_lo
	v_add_f32_e32 v84, 0, v87
	v_add_f32_e32 v84, v84, v86
	s_delay_alu instid0(VALU_DEP_1)
	v_add_f32_e32 v84, v84, v89
	v_fma_f32 v88, s19, v141, -v81
	v_fma_f32 v91, s19, v143, -v81
	;; [unrolled: 1-line block ×5, first 2 shown]
	v_mul_f32_e32 v88, 0x3fb8aa3b, v88
	v_fma_f32 v100, s19, v128, -v81
	v_mul_f32_e32 v82, 0x3fb8aa3b, v82
	v_fma_f32 v98, s19, v126, -v81
	v_mul_f32_e32 v97, 0x3fb8aa3b, v95
	v_exp_f32_e32 v92, v88
	v_cndmask_b32_e64 v88, 0, v90, s5
	v_fma_f32 v90, s19, v121, -v81
	v_mul_f32_e32 v91, 0x3fb8aa3b, v91
	v_exp_f32_e32 v82, v82
	v_exp_f32_e32 v99, v97
	v_add_f32_e32 v84, v84, v88
	v_mul_f32_e32 v94, 0x3fb8aa3b, v90
	v_exp_f32_e32 v93, v91
	v_mul_f32_e32 v98, 0x3fb8aa3b, v98
	v_cndmask_b32_e64 v91, 0, v92, s6
	v_fma_f32 v92, s19, v122, -v81
	v_mul_f32_e32 v85, 0x3fb8aa3b, v85
	v_exp_f32_e32 v94, v94
	v_cndmask_b32_e64 v90, 0, v82, s7
	v_add_f32_e32 v82, v84, v91
	v_mul_f32_e32 v92, 0x3fb8aa3b, v92
	v_exp_f32_e32 v85, v85
	v_fma_f32 v84, s19, v123, -v81
	v_cndmask_b32_e64 v93, 0, v93, s8
	v_add_f32_e32 v82, v82, v90
	v_exp_f32_e32 v96, v92
	v_exp_f32_e32 v98, v98
	v_cndmask_b32_e64 v95, 0, v94, s10
	s_delay_alu instid0(VALU_DEP_2) | instskip(NEXT) | instid1(TRANS32_DEP_3)
	v_add_f32_e32 v82, v82, v93
	v_cndmask_b32_e64 v92, 0, v85, s9
	v_fma_f32 v85, s19, v125, -v81
	v_mul_f32_e32 v84, 0x3fb8aa3b, v84
	s_delay_alu instid0(TRANS32_DEP_2) | instskip(SKIP_1) | instid1(VALU_DEP_4)
	v_cndmask_b32_e64 v94, 0, v96, s11
	v_fma_f32 v96, s19, v127, -v81
	v_mul_f32_e32 v85, 0x3fb8aa3b, v85
	s_delay_alu instid0(VALU_DEP_4) | instskip(SKIP_1) | instid1(VALU_DEP_2)
	v_exp_f32_e32 v84, v84
	v_cndmask_b32_e64 v98, 0, v98, s16
	v_exp_f32_e32 v85, v85
	s_waitcnt_depctr 0xfff
	v_cndmask_b32_e64 v97, 0, v84, s12
	v_mul_f32_e32 v84, 0x3fb8aa3b, v96
	v_cndmask_b32_e64 v96, 0, v99, s13
	v_cndmask_b32_e64 v99, 0, v85, s15
	v_mul_f32_e32 v85, 0x3fb8aa3b, v100
	v_add_f32_e32 v82, v82, v92
	v_exp_f32_e32 v84, v84
	s_delay_alu instid0(VALU_DEP_2) | instskip(NEXT) | instid1(VALU_DEP_1)
	v_exp_f32_e32 v85, v85
	v_add_f32_e32 v82, v82, v95
	s_delay_alu instid0(VALU_DEP_1) | instskip(SKIP_4) | instid1(VALU_DEP_1)
	v_add_f32_e32 v82, v82, v94
	s_waitcnt_depctr 0xfff
	v_cndmask_b32_e64 v101, 0, v84, s17
	v_cndmask_b32_e64 v100, 0, v85, s18
	v_add_f32_e32 v82, v82, v97
	v_add_f32_e32 v82, v82, v96
	s_delay_alu instid0(VALU_DEP_1) | instskip(NEXT) | instid1(VALU_DEP_1)
	v_add_f32_e32 v82, v82, v99
	v_add_f32_e32 v82, v82, v98
	s_delay_alu instid0(VALU_DEP_1) | instskip(NEXT) | instid1(VALU_DEP_1)
	v_add_f32_e32 v82, v82, v101
	v_add_f32_e32 v82, v82, v100
	ds_bpermute_b32 v83, v83, v82
	v_cmpx_gt_u32_e32 16, v80
	s_cbranch_execz .LBB153_14
; %bb.13:
	v_mul_u32_u24_e32 v80, 0x44, v78
	s_waitcnt lgkmcnt(0)
	v_add_f32_e32 v82, v82, v83
	s_delay_alu instid0(VALU_DEP_2) | instskip(NEXT) | instid1(VALU_DEP_1)
	v_lshl_add_u32 v80, v79, 2, v80
	v_add_nc_u32_e32 v80, 0x4000, v80
	ds_store_2addr_b32 v80, v81, v82 offset1:136
.LBB153_14:
	s_or_b32 exec_lo, exec_lo, s3
	v_lshlrev_b32_e32 v79, 2, v79
	s_load_b32 s35, s[0:1], 0x94
	s_waitcnt lgkmcnt(0)
	s_barrier
	buffer_gl0_inv
	v_add_nc_u32_e32 v83, 0x4000, v79
	v_cmp_eq_u32_e32 vcc_lo, 1, v78
	v_cmp_eq_u32_e64 s3, 2, v78
	v_cmp_eq_u32_e64 s4, 3, v78
	;; [unrolled: 1-line block ×3, first 2 shown]
	ds_load_2addr_b32 v[79:80], v83 offset1:17
	ds_load_2addr_b32 v[81:82], v83 offset0:34 offset1:51
	ds_load_2addr_b32 v[102:103], v83 offset0:68 offset1:85
	ds_load_2addr_b32 v[104:105], v83 offset0:102 offset1:119
	v_cmp_eq_u32_e64 s6, 7, v78
	s_waitcnt lgkmcnt(3)
	v_max3_f32 v84, v79, 0xff7fffff, v80
	s_waitcnt lgkmcnt(2)
	s_delay_alu instid0(VALU_DEP_1) | instskip(SKIP_1) | instid1(VALU_DEP_1)
	v_max3_f32 v84, v84, v81, v82
	s_waitcnt lgkmcnt(1)
	v_max3_f32 v84, v84, v102, v103
	s_waitcnt lgkmcnt(0)
	s_delay_alu instid0(VALU_DEP_1) | instskip(NEXT) | instid1(VALU_DEP_1)
	v_max3_f32 v84, v84, v104, v105
	v_sub_f32_e32 v102, v102, v84
	ds_load_2addr_b32 v[106:107], v83 offset0:136 offset1:153
	v_sub_f32_e32 v79, v79, v84
	v_dual_sub_f32 v109, v82, v84 :: v_dual_mul_f32 v112, 0x3fb8aa3b, v102
	s_delay_alu instid0(VALU_DEP_2) | instskip(SKIP_3) | instid1(VALU_DEP_1)
	v_dual_sub_f32 v85, v80, v84 :: v_dual_mul_f32 v108, 0x3fb8aa3b, v79
	ds_load_2addr_b32 v[79:80], v83 offset0:170 offset1:187
	v_mul_f32_e32 v85, 0x3fb8aa3b, v85
	v_exp_f32_e32 v108, v108
	v_exp_f32_e32 v111, v85
	v_mul_f32_e32 v109, 0x3fb8aa3b, v109
	s_waitcnt lgkmcnt(1)
	s_waitcnt_depctr 0xfff
	v_fma_f32 v85, v108, v106, 0
	v_sub_f32_e32 v106, v103, v84
	v_sub_f32_e32 v81, v81, v84
	v_exp_f32_e32 v109, v109
	ds_load_2addr_b32 v[102:103], v83 offset0:238 offset1:255
	v_dual_fmac_f32 v85, v111, v107 :: v_dual_mul_f32 v110, 0x3fb8aa3b, v81
	ds_load_2addr_b32 v[81:82], v83 offset0:204 offset1:221
	v_dual_sub_f32 v83, v104, v84 :: v_dual_mul_f32 v104, 0x3fb8aa3b, v106
	v_exp_f32_e32 v106, v112
	v_exp_f32_e32 v110, v110
	s_waitcnt lgkmcnt(0)
	s_delay_alu instid0(VALU_DEP_1)
	v_mul_f32_e32 v83, 0x3fb8aa3b, v83
	v_exp_f32_e32 v104, v104
	s_barrier
	buffer_gl0_inv
	v_fmac_f32_e32 v85, v110, v79
	v_sub_f32_e32 v79, v105, v84
	v_exp_f32_e32 v105, v83
	s_delay_alu instid0(VALU_DEP_2) | instskip(NEXT) | instid1(VALU_DEP_2)
	v_fmac_f32_e32 v85, v109, v80
	v_mul_f32_e32 v79, 0x3fb8aa3b, v79
	s_delay_alu instid0(VALU_DEP_2) | instskip(NEXT) | instid1(VALU_DEP_2)
	v_dual_cndmask_b32 v80, v108, v111 :: v_dual_fmac_f32 v85, v106, v81
	v_exp_f32_e32 v107, v79
	s_delay_alu instid0(VALU_DEP_1) | instskip(SKIP_2) | instid1(VALU_DEP_1)
	v_fmac_f32_e32 v85, v104, v82
	s_waitcnt_depctr 0xfff
	v_fmac_f32_e32 v85, v105, v102
	v_fmac_f32_e32 v85, v107, v103
	s_delay_alu instid0(VALU_DEP_1) | instskip(NEXT) | instid1(VALU_DEP_1)
	v_add_f32_e32 v102, 0x358637bd, v85
	v_div_scale_f32 v103, null, v102, v102, 1.0
	v_div_scale_f32 v108, vcc_lo, 1.0, v102, 1.0
	s_delay_alu instid0(VALU_DEP_2) | instskip(SKIP_2) | instid1(VALU_DEP_1)
	v_rcp_f32_e32 v112, v103
	s_waitcnt_depctr 0xfff
	v_fma_f32 v79, -v103, v112, 1.0
	v_fmac_f32_e32 v112, v79, v112
	v_cndmask_b32_e64 v79, v80, v110, s3
	v_cmp_eq_u32_e64 s3, 4, v78
	v_lshl_or_b32 v80, v78, 11, v77
	s_delay_alu instid0(VALU_DEP_4) | instskip(NEXT) | instid1(VALU_DEP_4)
	v_mul_f32_e32 v110, v108, v112
	v_cndmask_b32_e64 v81, v79, v109, s4
	v_cmp_eq_u32_e64 s4, 6, v78
	s_delay_alu instid0(VALU_DEP_4) | instskip(SKIP_3) | instid1(VALU_DEP_3)
	v_lshl_or_b32 v78, v75, 4, v80
	v_lshlrev_b32_e32 v79, 2, v75
	v_fma_f32 v82, -v103, v110, v108
	v_cndmask_b32_e64 v83, v81, v106, s3
	v_or_b32_e32 v81, 1, v79
	s_delay_alu instid0(VALU_DEP_3) | instskip(NEXT) | instid1(VALU_DEP_3)
	v_fmac_f32_e32 v110, v82, v112
	v_cndmask_b32_e64 v104, v83, v104, s5
	v_or_b32_e32 v83, 2, v79
	v_or_b32_e32 v82, 3, v79
	v_cmp_eq_u32_e64 s3, 1, v79
	v_fma_f32 v103, -v103, v110, v108
	v_cndmask_b32_e64 v104, v104, v105, s4
	v_cmp_eq_u32_e64 s9, 1, v81
	v_cmp_eq_u32_e64 s10, 1, v83
	;; [unrolled: 1-line block ×3, first 2 shown]
	v_div_fmas_f32 v103, v103, v112, v110
	v_cndmask_b32_e64 v104, v104, v107, s6
	v_cmp_eq_u32_e32 vcc_lo, 2, v79
	v_cmp_eq_u32_e64 s12, 2, v81
	v_cmp_eq_u32_e64 s15, 2, v83
	v_div_fixup_f32 v102, v103, v102, 1.0
	v_cmp_eq_u32_e64 s16, 2, v82
	v_cmp_eq_u32_e64 s18, 3, v82
	;; [unrolled: 1-line block ×4, first 2 shown]
	v_mul_f32_e32 v110, v104, v102
	v_cmp_eq_u32_e64 s17, 3, v83
	v_cmp_eq_u32_e64 s22, 4, v82
	;; [unrolled: 1-line block ×4, first 2 shown]
	v_fma_mixlo_f16 v102, v110, v87, 0
	v_fma_mixlo_f16 v103, v110, v89, 0
	;; [unrolled: 1-line block ×8, first 2 shown]
	v_fma_mixhi_f16 v102, v110, v86, 0
	v_fma_mixhi_f16 v103, v110, v88, 0
	v_fma_mixhi_f16 v104, v110, v90, 0
	v_fma_mixhi_f16 v105, v110, v92, 0
	v_fma_mixhi_f16 v106, v110, v94, 0
	v_fma_mixhi_f16 v107, v110, v96, 0
	v_fma_mixhi_f16 v108, v110, v98, 0
	v_fma_mixhi_f16 v109, v110, v100, 0
	ds_store_b128 v78, v[102:105]
	ds_store_b128 v78, v[106:109] offset:1024
	s_waitcnt lgkmcnt(0)
	s_barrier
	buffer_gl0_inv
	ds_load_b128 v[86:89], v80
	ds_load_b128 v[90:93], v80 offset:16
	ds_load_b128 v[94:97], v80 offset:1024
	;; [unrolled: 1-line block ×3, first 2 shown]
	v_cmp_eq_u32_e64 s21, 4, v83
	v_cmp_eq_u32_e64 s24, 5, v82
	;; [unrolled: 1-line block ×13, first 2 shown]
	s_waitcnt lgkmcnt(3)
	v_lshrrev_b32_e32 v102, 16, v86
	s_waitcnt lgkmcnt(2)
	v_lshrrev_b32_e32 v106, 16, v90
	s_waitcnt lgkmcnt(1)
	v_lshrrev_b32_e32 v110, 16, v94
	s_waitcnt lgkmcnt(0)
	v_lshrrev_b32_e32 v114, 16, v98
	v_lshrrev_b32_e32 v103, 16, v87
	v_cndmask_b32_e64 v118, v86, v102, s3
	v_cndmask_b32_e64 v119, v90, v106, s3
	;; [unrolled: 1-line block ×8, first 2 shown]
	v_lshrrev_b32_e32 v107, 16, v91
	v_cndmask_b32_e64 v102, v94, v110, s3
	v_cndmask_b32_e64 v106, v98, v114, s3
	;; [unrolled: 1-line block ×5, first 2 shown]
	v_cndmask_b32_e32 v110, v118, v87, vcc_lo
	v_cndmask_b32_e64 v118, v120, v87, s12
	v_cndmask_b32_e64 v120, v122, v87, s15
	;; [unrolled: 1-line block ×4, first 2 shown]
	v_lshrrev_b32_e32 v111, 16, v95
	v_lshrrev_b32_e32 v115, 16, v99
	v_cndmask_b32_e64 v125, v98, v114, s9
	v_cndmask_b32_e64 v127, v98, v114, s10
	;; [unrolled: 1-line block ×3, first 2 shown]
	v_cndmask_b32_e32 v114, v119, v91, vcc_lo
	v_cndmask_b32_e64 v119, v121, v91, s12
	v_cndmask_b32_e64 v121, v123, v91, s15
	v_cndmask_b32_e32 v90, v102, v95, vcc_lo
	v_cndmask_b32_e32 v91, v106, v99, vcc_lo
	v_cndmask_b32_e64 v102, v124, v95, s12
	v_cndmask_b32_e64 v86, v86, v103, s18
	;; [unrolled: 1-line block ×3, first 2 shown]
	v_lshrrev_b32_e32 v104, 16, v88
	v_lshrrev_b32_e32 v108, 16, v92
	v_cndmask_b32_e64 v106, v126, v95, s15
	v_cndmask_b32_e64 v94, v94, v95, s16
	;; [unrolled: 1-line block ×14, first 2 shown]
	v_lshrrev_b32_e32 v112, 16, v96
	v_cndmask_b32_e64 v98, v98, v88, s5
	v_cndmask_b32_e64 v103, v110, v92, s5
	;; [unrolled: 1-line block ×11, first 2 shown]
	v_lshrrev_b32_e32 v105, 16, v89
	v_lshrrev_b32_e32 v109, 16, v93
	v_cndmask_b32_e64 v92, v98, v104, s6
	v_cndmask_b32_e64 v98, v103, v108, s6
	;; [unrolled: 1-line block ×9, first 2 shown]
	v_lshrrev_b32_e32 v113, 16, v97
	v_cndmask_b32_e64 v88, v88, v112, s6
	v_cndmask_b32_e64 v92, v92, v89, s7
	;; [unrolled: 1-line block ×19, first 2 shown]
	v_perm_b32 v89, v87, v86, 0x5040100
	v_cndmask_b32_e64 v86, v125, v99, s12
	v_cndmask_b32_e64 v104, v88, v113, s8
	v_perm_b32 v88, v102, v98, 0x5040100
	v_perm_b32 v87, v103, v93, 0x5040100
	v_cndmask_b32_e64 v93, v106, v111, s17
	v_cndmask_b32_e64 v94, v94, v111, s18
	;; [unrolled: 1-line block ×5, first 2 shown]
	v_lshrrev_b32_e32 v116, 16, v100
	v_cndmask_b32_e64 v93, v93, v96, s21
	v_cndmask_b32_e64 v94, v94, v96, s22
	;; [unrolled: 1-line block ×11, first 2 shown]
	v_lshrrev_b32_e32 v117, 16, v101
	v_cndmask_b32_e64 v90, v90, v101, s7
	v_cndmask_b32_e64 v93, v93, v97, s26
	;; [unrolled: 1-line block ×12, first 2 shown]
	v_perm_b32 v86, v92, v91, 0x5040100
	v_perm_b32 v93, v94, v93, 0x5040100
	;; [unrolled: 1-line block ×5, first 2 shown]
	s_lshl_b32 s7, s33, 2
	s_mov_b32 s3, exec_lo
	ds_store_b128 v78, v[86:89]
	ds_store_b128 v78, v[90:93] offset:1024
	v_cmpx_gt_u32_e32 4, v0
	s_cbranch_execz .LBB153_16
; %bb.15:
	v_or_b32_e32 v86, s31, v0
	s_load_b128 s[8:11], s[0:1], 0x58
	s_delay_alu instid0(VALU_DEP_1) | instskip(NEXT) | instid1(VALU_DEP_1)
	v_mad_u64_u32 v[87:88], null, s7, s34, v[86:87]
	v_mad_u64_u32 v[88:89], null, v87, s35, s[14:15]
	s_delay_alu instid0(VALU_DEP_1) | instskip(NEXT) | instid1(VALU_DEP_1)
	v_ashrrev_i32_e32 v89, 31, v88
	v_lshlrev_b64 v[86:87], 2, v[88:89]
	s_waitcnt lgkmcnt(0)
	s_delay_alu instid0(VALU_DEP_1) | instskip(NEXT) | instid1(VALU_DEP_2)
	v_add_co_u32 v88, vcc_lo, s10, v86
	v_add_co_ci_u32_e32 v89, vcc_lo, s11, v87, vcc_lo
	v_add_co_u32 v86, vcc_lo, s8, v86
	v_add_co_ci_u32_e32 v87, vcc_lo, s9, v87, vcc_lo
	global_store_b32 v[88:89], v84, off
	global_store_b32 v[86:87], v85, off
.LBB153_16:
	s_or_b32 exec_lo, exec_lo, s3
	s_waitcnt lgkmcnt(0)
	s_waitcnt_vscnt null, 0x0
	s_barrier
	buffer_gl0_inv
	ds_load_b128 v[92:95], v77
	ds_load_b128 v[96:99], v77 offset:16
	ds_load_b128 v[104:107], v77 offset:1040
	;; [unrolled: 1-line block ×5, first 2 shown]
	v_cmp_eq_u32_e32 vcc_lo, 1, v83
	v_mov_b32_e32 v84, 0
	ds_load_b128 v[120:123], v77 offset:3088
	ds_load_b128 v[116:119], v77 offset:3072
	;; [unrolled: 1-line block ×4, first 2 shown]
	v_cmp_eq_u32_e64 s3, 1, v79
	v_cmp_eq_u32_e64 s4, 1, v82
	v_cmp_eq_u32_e64 s5, 1, v81
	v_mov_b32_e32 v85, v84
	v_mov_b32_e32 v86, v84
	;; [unrolled: 1-line block ×7, first 2 shown]
	v_cmp_eq_u32_e64 s6, 2, v79
	s_waitcnt lgkmcnt(8)
	s_delay_alu instid0(VALU_DEP_2)
	v_wmma_f32_16x16x16_f16 v[84:91], v[65:72], v[92:99], v[84:91]
	ds_load_b128 v[69:72], v77 offset:5136
	ds_load_b128 v[65:68], v77 offset:5120
	;; [unrolled: 1-line block ×4, first 2 shown]
	s_waitcnt lgkmcnt(10)
	v_wmma_f32_16x16x16_f16 v[84:91], v[57:64], v[100:107], v[84:91]
	s_waitcnt lgkmcnt(8)
	s_delay_alu instid0(VALU_DEP_1)
	v_wmma_f32_16x16x16_f16 v[84:91], v[57:64], v[108:115], v[84:91]
	ds_load_b128 v[61:64], v77 offset:7184
	ds_load_b128 v[57:60], v77 offset:7168
	;; [unrolled: 1-line block ×4, first 2 shown]
	s_waitcnt lgkmcnt(10)
	v_wmma_f32_16x16x16_f16 v[84:91], v[49:56], v[116:123], v[84:91]
	s_waitcnt lgkmcnt(8)
	s_delay_alu instid0(VALU_DEP_1)
	v_wmma_f32_16x16x16_f16 v[84:91], v[49:56], v[124:131], v[84:91]
	ds_load_b128 v[53:56], v77 offset:9232
	ds_load_b128 v[49:52], v77 offset:9216
	s_waitcnt lgkmcnt(8)
	v_wmma_f32_16x16x16_f16 v[84:91], v[41:48], v[65:72], v[84:91]
	ds_load_b128 v[69:72], v77 offset:10256
	ds_load_b128 v[65:68], v77 offset:10240
	s_waitcnt lgkmcnt(8)
	;; [unrolled: 4-line block ×7, first 2 shown]
	s_barrier
	buffer_gl0_inv
	v_wmma_f32_16x16x16_f16 v[84:91], v[33:40], v[41:48], v[84:91]
	s_delay_alu instid0(VALU_DEP_1) | instskip(NEXT) | instid1(VALU_DEP_1)
	v_wmma_f32_16x16x16_f16 v[84:91], v[33:40], v[57:64], v[84:91]
	v_wmma_f32_16x16x16_f16 v[84:91], v[25:32], v[9:16], v[84:91]
	s_delay_alu instid0(VALU_DEP_1) | instskip(NEXT) | instid1(VALU_DEP_1)
	v_wmma_f32_16x16x16_f16 v[84:91], v[25:32], v[49:56], v[84:91]
	v_wmma_f32_16x16x16_f16 v[84:91], v[17:24], v[1:8], v[84:91]
	s_delay_alu instid0(VALU_DEP_1) | instskip(NEXT) | instid1(VALU_DEP_2)
	v_cvt_f16_f32_e32 v1, v84
	v_cvt_f16_f32_e32 v2, v85
	s_delay_alu instid0(VALU_DEP_3) | instskip(NEXT) | instid1(VALU_DEP_4)
	v_cvt_f16_f32_e32 v3, v86
	v_cvt_f16_f32_e32 v4, v87
	;; [unrolled: 1-line block ×6, first 2 shown]
	v_pack_b32_f16 v1, v1, v2
	v_pack_b32_f16 v2, v3, v4
	;; [unrolled: 1-line block ×3, first 2 shown]
	s_delay_alu instid0(VALU_DEP_4)
	v_pack_b32_f16 v4, v7, v8
	ds_store_b128 v78, v[1:4]
	s_waitcnt lgkmcnt(0)
	s_barrier
	buffer_gl0_inv
	ds_load_b128 v[1:4], v80
	ds_load_b128 v[5:8], v80 offset:16
	s_waitcnt lgkmcnt(1)
	v_lshrrev_b32_e32 v9, 16, v1
	s_waitcnt lgkmcnt(0)
	v_lshrrev_b32_e32 v13, 16, v5
	v_lshrrev_b32_e32 v10, 16, v2
	;; [unrolled: 1-line block ×4, first 2 shown]
	v_cndmask_b32_e64 v17, v1, v9, s3
	v_cndmask_b32_e64 v18, v5, v13, s3
	;; [unrolled: 1-line block ×3, first 2 shown]
	v_cmp_eq_u32_e64 s3, 2, v81
	v_cndmask_b32_e64 v20, v5, v13, s5
	v_cndmask_b32_e32 v21, v1, v9, vcc_lo
	v_cndmask_b32_e32 v22, v5, v13, vcc_lo
	v_cndmask_b32_e64 v1, v1, v9, s4
	v_cndmask_b32_e64 v5, v5, v13, s4
	v_cmp_eq_u32_e32 vcc_lo, 2, v83
	v_cmp_eq_u32_e64 s4, 2, v82
	v_cndmask_b32_e64 v9, v17, v2, s6
	v_cndmask_b32_e64 v13, v18, v6, s6
	;; [unrolled: 1-line block ×4, first 2 shown]
	v_cndmask_b32_e32 v19, v21, v2, vcc_lo
	v_cmp_eq_u32_e64 s3, 3, v83
	v_cndmask_b32_e32 v20, v22, v6, vcc_lo
	v_cndmask_b32_e64 v1, v1, v2, s4
	v_cmp_eq_u32_e32 vcc_lo, 3, v82
	v_cmp_eq_u32_e64 s5, 3, v79
	v_cndmask_b32_e64 v2, v5, v6, s4
	v_cmp_eq_u32_e64 s4, 3, v81
	v_cmp_eq_u32_e64 s6, 4, v79
	v_cndmask_b32_e32 v1, v1, v10, vcc_lo
	v_cndmask_b32_e64 v5, v9, v10, s5
	v_cndmask_b32_e64 v6, v13, v14, s5
	;; [unrolled: 1-line block ×3, first 2 shown]
	v_cmp_eq_u32_e64 s5, 4, v81
	v_cndmask_b32_e64 v13, v18, v14, s4
	v_cndmask_b32_e64 v17, v19, v10, s3
	;; [unrolled: 1-line block ×3, first 2 shown]
	v_cndmask_b32_e32 v2, v2, v14, vcc_lo
	v_cmp_eq_u32_e32 vcc_lo, 4, v83
	v_cmp_eq_u32_e64 s4, 4, v82
	v_lshrrev_b32_e32 v15, 16, v7
	v_cndmask_b32_e64 v5, v5, v3, s6
	v_cndmask_b32_e64 v6, v6, v7, s6
	v_cndmask_b32_e32 v14, v18, v7, vcc_lo
	v_cndmask_b32_e64 v9, v9, v3, s5
	v_cndmask_b32_e64 v10, v13, v7, s5
	v_cndmask_b32_e32 v13, v17, v3, vcc_lo
	v_cmp_eq_u32_e64 s3, 5, v83
	v_cndmask_b32_e64 v1, v1, v3, s4
	v_cmp_eq_u32_e32 vcc_lo, 5, v82
	v_cmp_eq_u32_e64 s5, 5, v79
	v_cndmask_b32_e64 v2, v2, v7, s4
	v_cmp_eq_u32_e64 s4, 5, v81
	v_cmp_eq_u32_e64 s6, 6, v79
	v_lshrrev_b32_e32 v12, 16, v4
	v_cndmask_b32_e64 v3, v5, v11, s5
	v_cndmask_b32_e64 v5, v6, v15, s5
	;; [unrolled: 1-line block ×3, first 2 shown]
	v_cmp_eq_u32_e64 s5, 6, v81
	v_cndmask_b32_e64 v7, v10, v15, s4
	v_cndmask_b32_e64 v9, v13, v11, s3
	;; [unrolled: 1-line block ×3, first 2 shown]
	v_cndmask_b32_e32 v1, v1, v11, vcc_lo
	v_cndmask_b32_e32 v2, v2, v15, vcc_lo
	v_cmp_eq_u32_e32 vcc_lo, 6, v83
	v_cmp_eq_u32_e64 s3, 6, v82
	v_lshrrev_b32_e32 v16, 16, v8
	v_cndmask_b32_e64 v3, v3, v4, s6
	v_cndmask_b32_e64 v5, v5, v8, s6
	v_cndmask_b32_e32 v9, v9, v4, vcc_lo
	v_cndmask_b32_e64 v6, v6, v4, s5
	v_cndmask_b32_e64 v7, v7, v8, s5
	v_cmp_eq_u32_e64 s4, 7, v83
	v_cndmask_b32_e32 v10, v10, v8, vcc_lo
	v_cndmask_b32_e64 v1, v1, v4, s3
	v_cmp_eq_u32_e32 vcc_lo, 7, v82
	v_cndmask_b32_e64 v2, v2, v8, s3
	v_cmp_eq_u32_e64 s3, 7, v79
	v_cmp_eq_u32_e64 s5, 7, v81
	v_cndmask_b32_e32 v1, v1, v12, vcc_lo
	s_delay_alu instid0(VALU_DEP_4) | instskip(NEXT) | instid1(VALU_DEP_4)
	v_cndmask_b32_e32 v2, v2, v16, vcc_lo
	v_cndmask_b32_e64 v8, v3, v12, s3
	s_delay_alu instid0(VALU_DEP_4)
	v_cndmask_b32_e64 v6, v6, v12, s5
	v_cndmask_b32_e64 v3, v9, v12, s4
	;; [unrolled: 1-line block ×5, first 2 shown]
	v_cmp_gt_u32_e32 vcc_lo, 32, v0
	v_perm_b32 v4, v2, v1, 0x5040100
	v_perm_b32 v3, v9, v3, 0x5040100
	;; [unrolled: 1-line block ×4, first 2 shown]
	s_and_b32 s2, vcc_lo, s2
	ds_store_b128 v78, v[1:4]
	s_waitcnt lgkmcnt(0)
	s_barrier
	buffer_gl0_inv
	s_and_saveexec_b32 s3, s2
	s_cbranch_execz .LBB153_2
; %bb.17:
	s_load_b64 s[0:1], s[0:1], 0x68
	v_lshlrev_b32_e32 v0, 10, v0
	v_or_b32_e32 v1, s31, v75
	s_lshl_b32 s4, s35, 6
	v_lshlrev_b32_e32 v2, 4, v76
	s_mul_i32 s2, s4, s34
	v_lshlrev_b32_e32 v3, 6, v75
	v_mul_lo_u32 v8, v1, s4
	v_and_b32_e32 v0, 0x3800, v0
	v_or_b32_e32 v1, 2, v1
	s_mul_i32 s2, s2, s7
	s_delay_alu instid0(SALU_CYCLE_1) | instskip(NEXT) | instid1(VALU_DEP_2)
	s_ashr_i32 s3, s2, 31
	v_or3_b32 v4, v0, v2, v3
	s_lshl_b64 s[2:3], s[2:3], 1
	v_mul_lo_u32 v10, v1, s4
	v_ashrrev_i32_e32 v9, 31, v8
	ds_load_b128 v[0:3], v4
	ds_load_b128 v[4:7], v4 offset:128
	s_waitcnt lgkmcnt(0)
	s_add_u32 s2, s0, s2
	s_addc_u32 s3, s1, s3
	s_lshl_b32 s0, s14, 6
	v_ashrrev_i32_e32 v11, 31, v10
	s_ashr_i32 s1, s0, 31
	v_lshlrev_b64 v[8:9], 1, v[8:9]
	s_lshl_b64 s[0:1], s[0:1], 1
	s_delay_alu instid0(SALU_CYCLE_1) | instskip(SKIP_4) | instid1(VALU_DEP_3)
	s_add_u32 s0, s2, s0
	s_addc_u32 s1, s3, s1
	v_add_co_u32 v12, vcc_lo, s0, v73
	v_add_co_ci_u32_e32 v13, vcc_lo, s1, v74, vcc_lo
	v_lshlrev_b64 v[10:11], 1, v[10:11]
	v_add_co_u32 v8, vcc_lo, v12, v8
	s_delay_alu instid0(VALU_DEP_3) | instskip(NEXT) | instid1(VALU_DEP_3)
	v_add_co_ci_u32_e32 v9, vcc_lo, v13, v9, vcc_lo
	v_add_co_u32 v10, vcc_lo, v12, v10
	s_delay_alu instid0(VALU_DEP_4)
	v_add_co_ci_u32_e32 v11, vcc_lo, v13, v11, vcc_lo
	s_clause 0x1
	global_store_b128 v[8:9], v[0:3], off
	global_store_b128 v[10:11], v[4:7], off
	s_nop 0
	s_sendmsg sendmsg(MSG_DEALLOC_VGPRS)
	s_endpgm
	.section	.rodata,"a",@progbits
	.p2align	6, 0x0
	.amdhsa_kernel _Z39paged_attention_ll4mi_QKV_mfma16_kernelIDF16_DF16_LN4vllm18Fp8KVCacheDataTypeE0EhLi32ELi64ELi256ELb0ELi4EL8MFMAType0EEvPKT_PKT0_S8_ifPKiSA_SA_iPKfiiiPfSD_PS3_PT2_iSC_SC_
		.amdhsa_group_segment_fixed_size 17472
		.amdhsa_private_segment_fixed_size 0
		.amdhsa_kernarg_size 400
		.amdhsa_user_sgpr_count 13
		.amdhsa_user_sgpr_dispatch_ptr 0
		.amdhsa_user_sgpr_queue_ptr 0
		.amdhsa_user_sgpr_kernarg_segment_ptr 1
		.amdhsa_user_sgpr_dispatch_id 0
		.amdhsa_user_sgpr_private_segment_size 0
		.amdhsa_wavefront_size32 1
		.amdhsa_uses_dynamic_stack 0
		.amdhsa_enable_private_segment 0
		.amdhsa_system_sgpr_workgroup_id_x 1
		.amdhsa_system_sgpr_workgroup_id_y 1
		.amdhsa_system_sgpr_workgroup_id_z 1
		.amdhsa_system_sgpr_workgroup_info 0
		.amdhsa_system_vgpr_workitem_id 0
		.amdhsa_next_free_vgpr 154
		.amdhsa_next_free_sgpr 39
		.amdhsa_reserve_vcc 1
		.amdhsa_float_round_mode_32 0
		.amdhsa_float_round_mode_16_64 0
		.amdhsa_float_denorm_mode_32 3
		.amdhsa_float_denorm_mode_16_64 3
		.amdhsa_dx10_clamp 1
		.amdhsa_ieee_mode 1
		.amdhsa_fp16_overflow 0
		.amdhsa_workgroup_processor_mode 1
		.amdhsa_memory_ordered 1
		.amdhsa_forward_progress 0
		.amdhsa_shared_vgpr_count 0
		.amdhsa_exception_fp_ieee_invalid_op 0
		.amdhsa_exception_fp_denorm_src 0
		.amdhsa_exception_fp_ieee_div_zero 0
		.amdhsa_exception_fp_ieee_overflow 0
		.amdhsa_exception_fp_ieee_underflow 0
		.amdhsa_exception_fp_ieee_inexact 0
		.amdhsa_exception_int_div_zero 0
	.end_amdhsa_kernel
	.section	.text._Z39paged_attention_ll4mi_QKV_mfma16_kernelIDF16_DF16_LN4vllm18Fp8KVCacheDataTypeE0EhLi32ELi64ELi256ELb0ELi4EL8MFMAType0EEvPKT_PKT0_S8_ifPKiSA_SA_iPKfiiiPfSD_PS3_PT2_iSC_SC_,"axG",@progbits,_Z39paged_attention_ll4mi_QKV_mfma16_kernelIDF16_DF16_LN4vllm18Fp8KVCacheDataTypeE0EhLi32ELi64ELi256ELb0ELi4EL8MFMAType0EEvPKT_PKT0_S8_ifPKiSA_SA_iPKfiiiPfSD_PS3_PT2_iSC_SC_,comdat
.Lfunc_end153:
	.size	_Z39paged_attention_ll4mi_QKV_mfma16_kernelIDF16_DF16_LN4vllm18Fp8KVCacheDataTypeE0EhLi32ELi64ELi256ELb0ELi4EL8MFMAType0EEvPKT_PKT0_S8_ifPKiSA_SA_iPKfiiiPfSD_PS3_PT2_iSC_SC_, .Lfunc_end153-_Z39paged_attention_ll4mi_QKV_mfma16_kernelIDF16_DF16_LN4vllm18Fp8KVCacheDataTypeE0EhLi32ELi64ELi256ELb0ELi4EL8MFMAType0EEvPKT_PKT0_S8_ifPKiSA_SA_iPKfiiiPfSD_PS3_PT2_iSC_SC_
                                        ; -- End function
	.section	.AMDGPU.csdata,"",@progbits
; Kernel info:
; codeLenInByte = 7084
; NumSgprs: 41
; NumVgprs: 154
; ScratchSize: 0
; MemoryBound: 0
; FloatMode: 240
; IeeeMode: 1
; LDSByteSize: 17472 bytes/workgroup (compile time only)
; SGPRBlocks: 5
; VGPRBlocks: 19
; NumSGPRsForWavesPerEU: 41
; NumVGPRsForWavesPerEU: 154
; Occupancy: 9
; WaveLimiterHint : 1
; COMPUTE_PGM_RSRC2:SCRATCH_EN: 0
; COMPUTE_PGM_RSRC2:USER_SGPR: 13
; COMPUTE_PGM_RSRC2:TRAP_HANDLER: 0
; COMPUTE_PGM_RSRC2:TGID_X_EN: 1
; COMPUTE_PGM_RSRC2:TGID_Y_EN: 1
; COMPUTE_PGM_RSRC2:TGID_Z_EN: 1
; COMPUTE_PGM_RSRC2:TIDIG_COMP_CNT: 0
	.section	.text._Z38paged_attention_ll4mi_QKV_mfma4_kernelIDF16_DF16_LN4vllm18Fp8KVCacheDataTypeE0EDF16_Li32ELi64ELi256ELb1ELi1EEvPKT_PKT0_S7_ifPKiS9_S9_iPKfiiiPfSC_PS2_PT2_iSB_SB_,"axG",@progbits,_Z38paged_attention_ll4mi_QKV_mfma4_kernelIDF16_DF16_LN4vllm18Fp8KVCacheDataTypeE0EDF16_Li32ELi64ELi256ELb1ELi1EEvPKT_PKT0_S7_ifPKiS9_S9_iPKfiiiPfSC_PS2_PT2_iSB_SB_,comdat
	.protected	_Z38paged_attention_ll4mi_QKV_mfma4_kernelIDF16_DF16_LN4vllm18Fp8KVCacheDataTypeE0EDF16_Li32ELi64ELi256ELb1ELi1EEvPKT_PKT0_S7_ifPKiS9_S9_iPKfiiiPfSC_PS2_PT2_iSB_SB_ ; -- Begin function _Z38paged_attention_ll4mi_QKV_mfma4_kernelIDF16_DF16_LN4vllm18Fp8KVCacheDataTypeE0EDF16_Li32ELi64ELi256ELb1ELi1EEvPKT_PKT0_S7_ifPKiS9_S9_iPKfiiiPfSC_PS2_PT2_iSB_SB_
	.globl	_Z38paged_attention_ll4mi_QKV_mfma4_kernelIDF16_DF16_LN4vllm18Fp8KVCacheDataTypeE0EDF16_Li32ELi64ELi256ELb1ELi1EEvPKT_PKT0_S7_ifPKiS9_S9_iPKfiiiPfSC_PS2_PT2_iSB_SB_
	.p2align	8
	.type	_Z38paged_attention_ll4mi_QKV_mfma4_kernelIDF16_DF16_LN4vllm18Fp8KVCacheDataTypeE0EDF16_Li32ELi64ELi256ELb1ELi1EEvPKT_PKT0_S7_ifPKiS9_S9_iPKfiiiPfSC_PS2_PT2_iSB_SB_,@function
_Z38paged_attention_ll4mi_QKV_mfma4_kernelIDF16_DF16_LN4vllm18Fp8KVCacheDataTypeE0EDF16_Li32ELi64ELi256ELb1ELi1EEvPKT_PKT0_S7_ifPKiS9_S9_iPKfiiiPfSC_PS2_PT2_iSB_SB_: ; @_Z38paged_attention_ll4mi_QKV_mfma4_kernelIDF16_DF16_LN4vllm18Fp8KVCacheDataTypeE0EDF16_Li32ELi64ELi256ELb1ELi1EEvPKT_PKT0_S7_ifPKiS9_S9_iPKfiiiPfSC_PS2_PT2_iSB_SB_
; %bb.0:
	s_add_u32 s8, s0, 0x90
	s_addc_u32 s9, s1, 0
	s_getpc_b64 s[0:1]
	s_add_u32 s0, s0, __PRETTY_FUNCTION__._Z38paged_attention_ll4mi_QKV_mfma4_kernelIDF16_DF16_LN4vllm18Fp8KVCacheDataTypeE0EDF16_Li32ELi64ELi256ELb1ELi1EEvPKT_PKT0_S7_ifPKiS9_S9_iPKfiiiPfSC_PS2_PT2_iSB_SB_@rel32@lo+4
	s_addc_u32 s1, s1, __PRETTY_FUNCTION__._Z38paged_attention_ll4mi_QKV_mfma4_kernelIDF16_DF16_LN4vllm18Fp8KVCacheDataTypeE0EDF16_Li32ELi64ELi256ELb1ELi1EEvPKT_PKT0_S7_ifPKiS9_S9_iPKfiiiPfSC_PS2_PT2_iSB_SB_@rel32@hi+12
	s_delay_alu instid0(SALU_CYCLE_1) | instskip(SKIP_4) | instid1(SALU_CYCLE_1)
	v_dual_mov_b32 v0, s0 :: v_dual_mov_b32 v1, s1
	s_mov_b32 s32, 0
	s_getpc_b64 s[2:3]
	s_add_u32 s2, s2, __assert_fail@rel32@lo+4
	s_addc_u32 s3, s3, __assert_fail@rel32@hi+12
	s_swappc_b64 s[30:31], s[2:3]
	.section	.rodata,"a",@progbits
	.p2align	6, 0x0
	.amdhsa_kernel _Z38paged_attention_ll4mi_QKV_mfma4_kernelIDF16_DF16_LN4vllm18Fp8KVCacheDataTypeE0EDF16_Li32ELi64ELi256ELb1ELi1EEvPKT_PKT0_S7_ifPKiS9_S9_iPKfiiiPfSC_PS2_PT2_iSB_SB_
		.amdhsa_group_segment_fixed_size 0
		.amdhsa_private_segment_fixed_size 64
		.amdhsa_kernarg_size 400
		.amdhsa_user_sgpr_count 15
		.amdhsa_user_sgpr_dispatch_ptr 0
		.amdhsa_user_sgpr_queue_ptr 0
		.amdhsa_user_sgpr_kernarg_segment_ptr 1
		.amdhsa_user_sgpr_dispatch_id 0
		.amdhsa_user_sgpr_private_segment_size 0
		.amdhsa_wavefront_size32 1
		.amdhsa_uses_dynamic_stack 0
		.amdhsa_enable_private_segment 1
		.amdhsa_system_sgpr_workgroup_id_x 1
		.amdhsa_system_sgpr_workgroup_id_y 0
		.amdhsa_system_sgpr_workgroup_id_z 0
		.amdhsa_system_sgpr_workgroup_info 0
		.amdhsa_system_vgpr_workitem_id 0
		.amdhsa_next_free_vgpr 41
		.amdhsa_next_free_sgpr 34
		.amdhsa_reserve_vcc 1
		.amdhsa_float_round_mode_32 0
		.amdhsa_float_round_mode_16_64 0
		.amdhsa_float_denorm_mode_32 3
		.amdhsa_float_denorm_mode_16_64 3
		.amdhsa_dx10_clamp 1
		.amdhsa_ieee_mode 1
		.amdhsa_fp16_overflow 0
		.amdhsa_workgroup_processor_mode 1
		.amdhsa_memory_ordered 1
		.amdhsa_forward_progress 0
		.amdhsa_shared_vgpr_count 0
		.amdhsa_exception_fp_ieee_invalid_op 0
		.amdhsa_exception_fp_denorm_src 0
		.amdhsa_exception_fp_ieee_div_zero 0
		.amdhsa_exception_fp_ieee_overflow 0
		.amdhsa_exception_fp_ieee_underflow 0
		.amdhsa_exception_fp_ieee_inexact 0
		.amdhsa_exception_int_div_zero 0
	.end_amdhsa_kernel
	.section	.text._Z38paged_attention_ll4mi_QKV_mfma4_kernelIDF16_DF16_LN4vllm18Fp8KVCacheDataTypeE0EDF16_Li32ELi64ELi256ELb1ELi1EEvPKT_PKT0_S7_ifPKiS9_S9_iPKfiiiPfSC_PS2_PT2_iSB_SB_,"axG",@progbits,_Z38paged_attention_ll4mi_QKV_mfma4_kernelIDF16_DF16_LN4vllm18Fp8KVCacheDataTypeE0EDF16_Li32ELi64ELi256ELb1ELi1EEvPKT_PKT0_S7_ifPKiS9_S9_iPKfiiiPfSC_PS2_PT2_iSB_SB_,comdat
.Lfunc_end154:
	.size	_Z38paged_attention_ll4mi_QKV_mfma4_kernelIDF16_DF16_LN4vllm18Fp8KVCacheDataTypeE0EDF16_Li32ELi64ELi256ELb1ELi1EEvPKT_PKT0_S7_ifPKiS9_S9_iPKfiiiPfSC_PS2_PT2_iSB_SB_, .Lfunc_end154-_Z38paged_attention_ll4mi_QKV_mfma4_kernelIDF16_DF16_LN4vllm18Fp8KVCacheDataTypeE0EDF16_Li32ELi64ELi256ELb1ELi1EEvPKT_PKT0_S7_ifPKiS9_S9_iPKfiiiPfSC_PS2_PT2_iSB_SB_
                                        ; -- End function
	.section	.AMDGPU.csdata,"",@progbits
; Kernel info:
; codeLenInByte = 72
; NumSgprs: 36
; NumVgprs: 41
; ScratchSize: 64
; MemoryBound: 0
; FloatMode: 240
; IeeeMode: 1
; LDSByteSize: 0 bytes/workgroup (compile time only)
; SGPRBlocks: 4
; VGPRBlocks: 5
; NumSGPRsForWavesPerEU: 36
; NumVGPRsForWavesPerEU: 41
; Occupancy: 16
; WaveLimiterHint : 1
; COMPUTE_PGM_RSRC2:SCRATCH_EN: 1
; COMPUTE_PGM_RSRC2:USER_SGPR: 15
; COMPUTE_PGM_RSRC2:TRAP_HANDLER: 0
; COMPUTE_PGM_RSRC2:TGID_X_EN: 1
; COMPUTE_PGM_RSRC2:TGID_Y_EN: 0
; COMPUTE_PGM_RSRC2:TGID_Z_EN: 0
; COMPUTE_PGM_RSRC2:TIDIG_COMP_CNT: 0
	.section	.text._Z38paged_attention_ll4mi_QKV_mfma4_kernelIDF16_DF16_LN4vllm18Fp8KVCacheDataTypeE0EDF16_Li32ELi64ELi256ELb1ELi2EEvPKT_PKT0_S7_ifPKiS9_S9_iPKfiiiPfSC_PS2_PT2_iSB_SB_,"axG",@progbits,_Z38paged_attention_ll4mi_QKV_mfma4_kernelIDF16_DF16_LN4vllm18Fp8KVCacheDataTypeE0EDF16_Li32ELi64ELi256ELb1ELi2EEvPKT_PKT0_S7_ifPKiS9_S9_iPKfiiiPfSC_PS2_PT2_iSB_SB_,comdat
	.protected	_Z38paged_attention_ll4mi_QKV_mfma4_kernelIDF16_DF16_LN4vllm18Fp8KVCacheDataTypeE0EDF16_Li32ELi64ELi256ELb1ELi2EEvPKT_PKT0_S7_ifPKiS9_S9_iPKfiiiPfSC_PS2_PT2_iSB_SB_ ; -- Begin function _Z38paged_attention_ll4mi_QKV_mfma4_kernelIDF16_DF16_LN4vllm18Fp8KVCacheDataTypeE0EDF16_Li32ELi64ELi256ELb1ELi2EEvPKT_PKT0_S7_ifPKiS9_S9_iPKfiiiPfSC_PS2_PT2_iSB_SB_
	.globl	_Z38paged_attention_ll4mi_QKV_mfma4_kernelIDF16_DF16_LN4vllm18Fp8KVCacheDataTypeE0EDF16_Li32ELi64ELi256ELb1ELi2EEvPKT_PKT0_S7_ifPKiS9_S9_iPKfiiiPfSC_PS2_PT2_iSB_SB_
	.p2align	8
	.type	_Z38paged_attention_ll4mi_QKV_mfma4_kernelIDF16_DF16_LN4vllm18Fp8KVCacheDataTypeE0EDF16_Li32ELi64ELi256ELb1ELi2EEvPKT_PKT0_S7_ifPKiS9_S9_iPKfiiiPfSC_PS2_PT2_iSB_SB_,@function
_Z38paged_attention_ll4mi_QKV_mfma4_kernelIDF16_DF16_LN4vllm18Fp8KVCacheDataTypeE0EDF16_Li32ELi64ELi256ELb1ELi2EEvPKT_PKT0_S7_ifPKiS9_S9_iPKfiiiPfSC_PS2_PT2_iSB_SB_: ; @_Z38paged_attention_ll4mi_QKV_mfma4_kernelIDF16_DF16_LN4vllm18Fp8KVCacheDataTypeE0EDF16_Li32ELi64ELi256ELb1ELi2EEvPKT_PKT0_S7_ifPKiS9_S9_iPKfiiiPfSC_PS2_PT2_iSB_SB_
; %bb.0:
	s_add_u32 s8, s0, 0x90
	s_addc_u32 s9, s1, 0
	s_getpc_b64 s[0:1]
	s_add_u32 s0, s0, __PRETTY_FUNCTION__._Z38paged_attention_ll4mi_QKV_mfma4_kernelIDF16_DF16_LN4vllm18Fp8KVCacheDataTypeE0EDF16_Li32ELi64ELi256ELb1ELi2EEvPKT_PKT0_S7_ifPKiS9_S9_iPKfiiiPfSC_PS2_PT2_iSB_SB_@rel32@lo+4
	s_addc_u32 s1, s1, __PRETTY_FUNCTION__._Z38paged_attention_ll4mi_QKV_mfma4_kernelIDF16_DF16_LN4vllm18Fp8KVCacheDataTypeE0EDF16_Li32ELi64ELi256ELb1ELi2EEvPKT_PKT0_S7_ifPKiS9_S9_iPKfiiiPfSC_PS2_PT2_iSB_SB_@rel32@hi+12
	s_delay_alu instid0(SALU_CYCLE_1) | instskip(SKIP_4) | instid1(SALU_CYCLE_1)
	v_dual_mov_b32 v0, s0 :: v_dual_mov_b32 v1, s1
	s_mov_b32 s32, 0
	s_getpc_b64 s[2:3]
	s_add_u32 s2, s2, __assert_fail@rel32@lo+4
	s_addc_u32 s3, s3, __assert_fail@rel32@hi+12
	s_swappc_b64 s[30:31], s[2:3]
	.section	.rodata,"a",@progbits
	.p2align	6, 0x0
	.amdhsa_kernel _Z38paged_attention_ll4mi_QKV_mfma4_kernelIDF16_DF16_LN4vllm18Fp8KVCacheDataTypeE0EDF16_Li32ELi64ELi256ELb1ELi2EEvPKT_PKT0_S7_ifPKiS9_S9_iPKfiiiPfSC_PS2_PT2_iSB_SB_
		.amdhsa_group_segment_fixed_size 0
		.amdhsa_private_segment_fixed_size 64
		.amdhsa_kernarg_size 400
		.amdhsa_user_sgpr_count 15
		.amdhsa_user_sgpr_dispatch_ptr 0
		.amdhsa_user_sgpr_queue_ptr 0
		.amdhsa_user_sgpr_kernarg_segment_ptr 1
		.amdhsa_user_sgpr_dispatch_id 0
		.amdhsa_user_sgpr_private_segment_size 0
		.amdhsa_wavefront_size32 1
		.amdhsa_uses_dynamic_stack 0
		.amdhsa_enable_private_segment 1
		.amdhsa_system_sgpr_workgroup_id_x 1
		.amdhsa_system_sgpr_workgroup_id_y 0
		.amdhsa_system_sgpr_workgroup_id_z 0
		.amdhsa_system_sgpr_workgroup_info 0
		.amdhsa_system_vgpr_workitem_id 0
		.amdhsa_next_free_vgpr 41
		.amdhsa_next_free_sgpr 34
		.amdhsa_reserve_vcc 1
		.amdhsa_float_round_mode_32 0
		.amdhsa_float_round_mode_16_64 0
		.amdhsa_float_denorm_mode_32 3
		.amdhsa_float_denorm_mode_16_64 3
		.amdhsa_dx10_clamp 1
		.amdhsa_ieee_mode 1
		.amdhsa_fp16_overflow 0
		.amdhsa_workgroup_processor_mode 1
		.amdhsa_memory_ordered 1
		.amdhsa_forward_progress 0
		.amdhsa_shared_vgpr_count 0
		.amdhsa_exception_fp_ieee_invalid_op 0
		.amdhsa_exception_fp_denorm_src 0
		.amdhsa_exception_fp_ieee_div_zero 0
		.amdhsa_exception_fp_ieee_overflow 0
		.amdhsa_exception_fp_ieee_underflow 0
		.amdhsa_exception_fp_ieee_inexact 0
		.amdhsa_exception_int_div_zero 0
	.end_amdhsa_kernel
	.section	.text._Z38paged_attention_ll4mi_QKV_mfma4_kernelIDF16_DF16_LN4vllm18Fp8KVCacheDataTypeE0EDF16_Li32ELi64ELi256ELb1ELi2EEvPKT_PKT0_S7_ifPKiS9_S9_iPKfiiiPfSC_PS2_PT2_iSB_SB_,"axG",@progbits,_Z38paged_attention_ll4mi_QKV_mfma4_kernelIDF16_DF16_LN4vllm18Fp8KVCacheDataTypeE0EDF16_Li32ELi64ELi256ELb1ELi2EEvPKT_PKT0_S7_ifPKiS9_S9_iPKfiiiPfSC_PS2_PT2_iSB_SB_,comdat
.Lfunc_end155:
	.size	_Z38paged_attention_ll4mi_QKV_mfma4_kernelIDF16_DF16_LN4vllm18Fp8KVCacheDataTypeE0EDF16_Li32ELi64ELi256ELb1ELi2EEvPKT_PKT0_S7_ifPKiS9_S9_iPKfiiiPfSC_PS2_PT2_iSB_SB_, .Lfunc_end155-_Z38paged_attention_ll4mi_QKV_mfma4_kernelIDF16_DF16_LN4vllm18Fp8KVCacheDataTypeE0EDF16_Li32ELi64ELi256ELb1ELi2EEvPKT_PKT0_S7_ifPKiS9_S9_iPKfiiiPfSC_PS2_PT2_iSB_SB_
                                        ; -- End function
	.section	.AMDGPU.csdata,"",@progbits
; Kernel info:
; codeLenInByte = 72
; NumSgprs: 36
; NumVgprs: 41
; ScratchSize: 64
; MemoryBound: 0
; FloatMode: 240
; IeeeMode: 1
; LDSByteSize: 0 bytes/workgroup (compile time only)
; SGPRBlocks: 4
; VGPRBlocks: 5
; NumSGPRsForWavesPerEU: 36
; NumVGPRsForWavesPerEU: 41
; Occupancy: 16
; WaveLimiterHint : 1
; COMPUTE_PGM_RSRC2:SCRATCH_EN: 1
; COMPUTE_PGM_RSRC2:USER_SGPR: 15
; COMPUTE_PGM_RSRC2:TRAP_HANDLER: 0
; COMPUTE_PGM_RSRC2:TGID_X_EN: 1
; COMPUTE_PGM_RSRC2:TGID_Y_EN: 0
; COMPUTE_PGM_RSRC2:TGID_Z_EN: 0
; COMPUTE_PGM_RSRC2:TIDIG_COMP_CNT: 0
	.section	.text._Z38paged_attention_ll4mi_QKV_mfma4_kernelIDF16_DF16_LN4vllm18Fp8KVCacheDataTypeE0EDF16_Li32ELi64ELi256ELb1ELi3EEvPKT_PKT0_S7_ifPKiS9_S9_iPKfiiiPfSC_PS2_PT2_iSB_SB_,"axG",@progbits,_Z38paged_attention_ll4mi_QKV_mfma4_kernelIDF16_DF16_LN4vllm18Fp8KVCacheDataTypeE0EDF16_Li32ELi64ELi256ELb1ELi3EEvPKT_PKT0_S7_ifPKiS9_S9_iPKfiiiPfSC_PS2_PT2_iSB_SB_,comdat
	.protected	_Z38paged_attention_ll4mi_QKV_mfma4_kernelIDF16_DF16_LN4vllm18Fp8KVCacheDataTypeE0EDF16_Li32ELi64ELi256ELb1ELi3EEvPKT_PKT0_S7_ifPKiS9_S9_iPKfiiiPfSC_PS2_PT2_iSB_SB_ ; -- Begin function _Z38paged_attention_ll4mi_QKV_mfma4_kernelIDF16_DF16_LN4vllm18Fp8KVCacheDataTypeE0EDF16_Li32ELi64ELi256ELb1ELi3EEvPKT_PKT0_S7_ifPKiS9_S9_iPKfiiiPfSC_PS2_PT2_iSB_SB_
	.globl	_Z38paged_attention_ll4mi_QKV_mfma4_kernelIDF16_DF16_LN4vllm18Fp8KVCacheDataTypeE0EDF16_Li32ELi64ELi256ELb1ELi3EEvPKT_PKT0_S7_ifPKiS9_S9_iPKfiiiPfSC_PS2_PT2_iSB_SB_
	.p2align	8
	.type	_Z38paged_attention_ll4mi_QKV_mfma4_kernelIDF16_DF16_LN4vllm18Fp8KVCacheDataTypeE0EDF16_Li32ELi64ELi256ELb1ELi3EEvPKT_PKT0_S7_ifPKiS9_S9_iPKfiiiPfSC_PS2_PT2_iSB_SB_,@function
_Z38paged_attention_ll4mi_QKV_mfma4_kernelIDF16_DF16_LN4vllm18Fp8KVCacheDataTypeE0EDF16_Li32ELi64ELi256ELb1ELi3EEvPKT_PKT0_S7_ifPKiS9_S9_iPKfiiiPfSC_PS2_PT2_iSB_SB_: ; @_Z38paged_attention_ll4mi_QKV_mfma4_kernelIDF16_DF16_LN4vllm18Fp8KVCacheDataTypeE0EDF16_Li32ELi64ELi256ELb1ELi3EEvPKT_PKT0_S7_ifPKiS9_S9_iPKfiiiPfSC_PS2_PT2_iSB_SB_
; %bb.0:
	s_add_u32 s8, s0, 0x90
	s_addc_u32 s9, s1, 0
	s_getpc_b64 s[0:1]
	s_add_u32 s0, s0, __PRETTY_FUNCTION__._Z38paged_attention_ll4mi_QKV_mfma4_kernelIDF16_DF16_LN4vllm18Fp8KVCacheDataTypeE0EDF16_Li32ELi64ELi256ELb1ELi3EEvPKT_PKT0_S7_ifPKiS9_S9_iPKfiiiPfSC_PS2_PT2_iSB_SB_@rel32@lo+4
	s_addc_u32 s1, s1, __PRETTY_FUNCTION__._Z38paged_attention_ll4mi_QKV_mfma4_kernelIDF16_DF16_LN4vllm18Fp8KVCacheDataTypeE0EDF16_Li32ELi64ELi256ELb1ELi3EEvPKT_PKT0_S7_ifPKiS9_S9_iPKfiiiPfSC_PS2_PT2_iSB_SB_@rel32@hi+12
	s_delay_alu instid0(SALU_CYCLE_1) | instskip(SKIP_4) | instid1(SALU_CYCLE_1)
	v_dual_mov_b32 v0, s0 :: v_dual_mov_b32 v1, s1
	s_mov_b32 s32, 0
	s_getpc_b64 s[2:3]
	s_add_u32 s2, s2, __assert_fail@rel32@lo+4
	s_addc_u32 s3, s3, __assert_fail@rel32@hi+12
	s_swappc_b64 s[30:31], s[2:3]
	.section	.rodata,"a",@progbits
	.p2align	6, 0x0
	.amdhsa_kernel _Z38paged_attention_ll4mi_QKV_mfma4_kernelIDF16_DF16_LN4vllm18Fp8KVCacheDataTypeE0EDF16_Li32ELi64ELi256ELb1ELi3EEvPKT_PKT0_S7_ifPKiS9_S9_iPKfiiiPfSC_PS2_PT2_iSB_SB_
		.amdhsa_group_segment_fixed_size 0
		.amdhsa_private_segment_fixed_size 64
		.amdhsa_kernarg_size 400
		.amdhsa_user_sgpr_count 15
		.amdhsa_user_sgpr_dispatch_ptr 0
		.amdhsa_user_sgpr_queue_ptr 0
		.amdhsa_user_sgpr_kernarg_segment_ptr 1
		.amdhsa_user_sgpr_dispatch_id 0
		.amdhsa_user_sgpr_private_segment_size 0
		.amdhsa_wavefront_size32 1
		.amdhsa_uses_dynamic_stack 0
		.amdhsa_enable_private_segment 1
		.amdhsa_system_sgpr_workgroup_id_x 1
		.amdhsa_system_sgpr_workgroup_id_y 0
		.amdhsa_system_sgpr_workgroup_id_z 0
		.amdhsa_system_sgpr_workgroup_info 0
		.amdhsa_system_vgpr_workitem_id 0
		.amdhsa_next_free_vgpr 41
		.amdhsa_next_free_sgpr 34
		.amdhsa_reserve_vcc 1
		.amdhsa_float_round_mode_32 0
		.amdhsa_float_round_mode_16_64 0
		.amdhsa_float_denorm_mode_32 3
		.amdhsa_float_denorm_mode_16_64 3
		.amdhsa_dx10_clamp 1
		.amdhsa_ieee_mode 1
		.amdhsa_fp16_overflow 0
		.amdhsa_workgroup_processor_mode 1
		.amdhsa_memory_ordered 1
		.amdhsa_forward_progress 0
		.amdhsa_shared_vgpr_count 0
		.amdhsa_exception_fp_ieee_invalid_op 0
		.amdhsa_exception_fp_denorm_src 0
		.amdhsa_exception_fp_ieee_div_zero 0
		.amdhsa_exception_fp_ieee_overflow 0
		.amdhsa_exception_fp_ieee_underflow 0
		.amdhsa_exception_fp_ieee_inexact 0
		.amdhsa_exception_int_div_zero 0
	.end_amdhsa_kernel
	.section	.text._Z38paged_attention_ll4mi_QKV_mfma4_kernelIDF16_DF16_LN4vllm18Fp8KVCacheDataTypeE0EDF16_Li32ELi64ELi256ELb1ELi3EEvPKT_PKT0_S7_ifPKiS9_S9_iPKfiiiPfSC_PS2_PT2_iSB_SB_,"axG",@progbits,_Z38paged_attention_ll4mi_QKV_mfma4_kernelIDF16_DF16_LN4vllm18Fp8KVCacheDataTypeE0EDF16_Li32ELi64ELi256ELb1ELi3EEvPKT_PKT0_S7_ifPKiS9_S9_iPKfiiiPfSC_PS2_PT2_iSB_SB_,comdat
.Lfunc_end156:
	.size	_Z38paged_attention_ll4mi_QKV_mfma4_kernelIDF16_DF16_LN4vllm18Fp8KVCacheDataTypeE0EDF16_Li32ELi64ELi256ELb1ELi3EEvPKT_PKT0_S7_ifPKiS9_S9_iPKfiiiPfSC_PS2_PT2_iSB_SB_, .Lfunc_end156-_Z38paged_attention_ll4mi_QKV_mfma4_kernelIDF16_DF16_LN4vllm18Fp8KVCacheDataTypeE0EDF16_Li32ELi64ELi256ELb1ELi3EEvPKT_PKT0_S7_ifPKiS9_S9_iPKfiiiPfSC_PS2_PT2_iSB_SB_
                                        ; -- End function
	.section	.AMDGPU.csdata,"",@progbits
; Kernel info:
; codeLenInByte = 72
; NumSgprs: 36
; NumVgprs: 41
; ScratchSize: 64
; MemoryBound: 0
; FloatMode: 240
; IeeeMode: 1
; LDSByteSize: 0 bytes/workgroup (compile time only)
; SGPRBlocks: 4
; VGPRBlocks: 5
; NumSGPRsForWavesPerEU: 36
; NumVGPRsForWavesPerEU: 41
; Occupancy: 16
; WaveLimiterHint : 1
; COMPUTE_PGM_RSRC2:SCRATCH_EN: 1
; COMPUTE_PGM_RSRC2:USER_SGPR: 15
; COMPUTE_PGM_RSRC2:TRAP_HANDLER: 0
; COMPUTE_PGM_RSRC2:TGID_X_EN: 1
; COMPUTE_PGM_RSRC2:TGID_Y_EN: 0
; COMPUTE_PGM_RSRC2:TGID_Z_EN: 0
; COMPUTE_PGM_RSRC2:TIDIG_COMP_CNT: 0
	.section	.text._Z38paged_attention_ll4mi_QKV_mfma4_kernelIDF16_DF16_LN4vllm18Fp8KVCacheDataTypeE0EDF16_Li32ELi64ELi256ELb1ELi4EEvPKT_PKT0_S7_ifPKiS9_S9_iPKfiiiPfSC_PS2_PT2_iSB_SB_,"axG",@progbits,_Z38paged_attention_ll4mi_QKV_mfma4_kernelIDF16_DF16_LN4vllm18Fp8KVCacheDataTypeE0EDF16_Li32ELi64ELi256ELb1ELi4EEvPKT_PKT0_S7_ifPKiS9_S9_iPKfiiiPfSC_PS2_PT2_iSB_SB_,comdat
	.protected	_Z38paged_attention_ll4mi_QKV_mfma4_kernelIDF16_DF16_LN4vllm18Fp8KVCacheDataTypeE0EDF16_Li32ELi64ELi256ELb1ELi4EEvPKT_PKT0_S7_ifPKiS9_S9_iPKfiiiPfSC_PS2_PT2_iSB_SB_ ; -- Begin function _Z38paged_attention_ll4mi_QKV_mfma4_kernelIDF16_DF16_LN4vllm18Fp8KVCacheDataTypeE0EDF16_Li32ELi64ELi256ELb1ELi4EEvPKT_PKT0_S7_ifPKiS9_S9_iPKfiiiPfSC_PS2_PT2_iSB_SB_
	.globl	_Z38paged_attention_ll4mi_QKV_mfma4_kernelIDF16_DF16_LN4vllm18Fp8KVCacheDataTypeE0EDF16_Li32ELi64ELi256ELb1ELi4EEvPKT_PKT0_S7_ifPKiS9_S9_iPKfiiiPfSC_PS2_PT2_iSB_SB_
	.p2align	8
	.type	_Z38paged_attention_ll4mi_QKV_mfma4_kernelIDF16_DF16_LN4vllm18Fp8KVCacheDataTypeE0EDF16_Li32ELi64ELi256ELb1ELi4EEvPKT_PKT0_S7_ifPKiS9_S9_iPKfiiiPfSC_PS2_PT2_iSB_SB_,@function
_Z38paged_attention_ll4mi_QKV_mfma4_kernelIDF16_DF16_LN4vllm18Fp8KVCacheDataTypeE0EDF16_Li32ELi64ELi256ELb1ELi4EEvPKT_PKT0_S7_ifPKiS9_S9_iPKfiiiPfSC_PS2_PT2_iSB_SB_: ; @_Z38paged_attention_ll4mi_QKV_mfma4_kernelIDF16_DF16_LN4vllm18Fp8KVCacheDataTypeE0EDF16_Li32ELi64ELi256ELb1ELi4EEvPKT_PKT0_S7_ifPKiS9_S9_iPKfiiiPfSC_PS2_PT2_iSB_SB_
; %bb.0:
	s_add_u32 s8, s0, 0x90
	s_addc_u32 s9, s1, 0
	s_getpc_b64 s[0:1]
	s_add_u32 s0, s0, __PRETTY_FUNCTION__._Z38paged_attention_ll4mi_QKV_mfma4_kernelIDF16_DF16_LN4vllm18Fp8KVCacheDataTypeE0EDF16_Li32ELi64ELi256ELb1ELi4EEvPKT_PKT0_S7_ifPKiS9_S9_iPKfiiiPfSC_PS2_PT2_iSB_SB_@rel32@lo+4
	s_addc_u32 s1, s1, __PRETTY_FUNCTION__._Z38paged_attention_ll4mi_QKV_mfma4_kernelIDF16_DF16_LN4vllm18Fp8KVCacheDataTypeE0EDF16_Li32ELi64ELi256ELb1ELi4EEvPKT_PKT0_S7_ifPKiS9_S9_iPKfiiiPfSC_PS2_PT2_iSB_SB_@rel32@hi+12
	s_delay_alu instid0(SALU_CYCLE_1) | instskip(SKIP_4) | instid1(SALU_CYCLE_1)
	v_dual_mov_b32 v0, s0 :: v_dual_mov_b32 v1, s1
	s_mov_b32 s32, 0
	s_getpc_b64 s[2:3]
	s_add_u32 s2, s2, __assert_fail@rel32@lo+4
	s_addc_u32 s3, s3, __assert_fail@rel32@hi+12
	s_swappc_b64 s[30:31], s[2:3]
	.section	.rodata,"a",@progbits
	.p2align	6, 0x0
	.amdhsa_kernel _Z38paged_attention_ll4mi_QKV_mfma4_kernelIDF16_DF16_LN4vllm18Fp8KVCacheDataTypeE0EDF16_Li32ELi64ELi256ELb1ELi4EEvPKT_PKT0_S7_ifPKiS9_S9_iPKfiiiPfSC_PS2_PT2_iSB_SB_
		.amdhsa_group_segment_fixed_size 0
		.amdhsa_private_segment_fixed_size 64
		.amdhsa_kernarg_size 400
		.amdhsa_user_sgpr_count 15
		.amdhsa_user_sgpr_dispatch_ptr 0
		.amdhsa_user_sgpr_queue_ptr 0
		.amdhsa_user_sgpr_kernarg_segment_ptr 1
		.amdhsa_user_sgpr_dispatch_id 0
		.amdhsa_user_sgpr_private_segment_size 0
		.amdhsa_wavefront_size32 1
		.amdhsa_uses_dynamic_stack 0
		.amdhsa_enable_private_segment 1
		.amdhsa_system_sgpr_workgroup_id_x 1
		.amdhsa_system_sgpr_workgroup_id_y 0
		.amdhsa_system_sgpr_workgroup_id_z 0
		.amdhsa_system_sgpr_workgroup_info 0
		.amdhsa_system_vgpr_workitem_id 0
		.amdhsa_next_free_vgpr 41
		.amdhsa_next_free_sgpr 34
		.amdhsa_reserve_vcc 1
		.amdhsa_float_round_mode_32 0
		.amdhsa_float_round_mode_16_64 0
		.amdhsa_float_denorm_mode_32 3
		.amdhsa_float_denorm_mode_16_64 3
		.amdhsa_dx10_clamp 1
		.amdhsa_ieee_mode 1
		.amdhsa_fp16_overflow 0
		.amdhsa_workgroup_processor_mode 1
		.amdhsa_memory_ordered 1
		.amdhsa_forward_progress 0
		.amdhsa_shared_vgpr_count 0
		.amdhsa_exception_fp_ieee_invalid_op 0
		.amdhsa_exception_fp_denorm_src 0
		.amdhsa_exception_fp_ieee_div_zero 0
		.amdhsa_exception_fp_ieee_overflow 0
		.amdhsa_exception_fp_ieee_underflow 0
		.amdhsa_exception_fp_ieee_inexact 0
		.amdhsa_exception_int_div_zero 0
	.end_amdhsa_kernel
	.section	.text._Z38paged_attention_ll4mi_QKV_mfma4_kernelIDF16_DF16_LN4vllm18Fp8KVCacheDataTypeE0EDF16_Li32ELi64ELi256ELb1ELi4EEvPKT_PKT0_S7_ifPKiS9_S9_iPKfiiiPfSC_PS2_PT2_iSB_SB_,"axG",@progbits,_Z38paged_attention_ll4mi_QKV_mfma4_kernelIDF16_DF16_LN4vllm18Fp8KVCacheDataTypeE0EDF16_Li32ELi64ELi256ELb1ELi4EEvPKT_PKT0_S7_ifPKiS9_S9_iPKfiiiPfSC_PS2_PT2_iSB_SB_,comdat
.Lfunc_end157:
	.size	_Z38paged_attention_ll4mi_QKV_mfma4_kernelIDF16_DF16_LN4vllm18Fp8KVCacheDataTypeE0EDF16_Li32ELi64ELi256ELb1ELi4EEvPKT_PKT0_S7_ifPKiS9_S9_iPKfiiiPfSC_PS2_PT2_iSB_SB_, .Lfunc_end157-_Z38paged_attention_ll4mi_QKV_mfma4_kernelIDF16_DF16_LN4vllm18Fp8KVCacheDataTypeE0EDF16_Li32ELi64ELi256ELb1ELi4EEvPKT_PKT0_S7_ifPKiS9_S9_iPKfiiiPfSC_PS2_PT2_iSB_SB_
                                        ; -- End function
	.section	.AMDGPU.csdata,"",@progbits
; Kernel info:
; codeLenInByte = 72
; NumSgprs: 36
; NumVgprs: 41
; ScratchSize: 64
; MemoryBound: 0
; FloatMode: 240
; IeeeMode: 1
; LDSByteSize: 0 bytes/workgroup (compile time only)
; SGPRBlocks: 4
; VGPRBlocks: 5
; NumSGPRsForWavesPerEU: 36
; NumVGPRsForWavesPerEU: 41
; Occupancy: 16
; WaveLimiterHint : 1
; COMPUTE_PGM_RSRC2:SCRATCH_EN: 1
; COMPUTE_PGM_RSRC2:USER_SGPR: 15
; COMPUTE_PGM_RSRC2:TRAP_HANDLER: 0
; COMPUTE_PGM_RSRC2:TGID_X_EN: 1
; COMPUTE_PGM_RSRC2:TGID_Y_EN: 0
; COMPUTE_PGM_RSRC2:TGID_Z_EN: 0
; COMPUTE_PGM_RSRC2:TIDIG_COMP_CNT: 0
	.section	.text._Z39paged_attention_ll4mi_QKV_mfma16_kernelIDF16_DF16_LN4vllm18Fp8KVCacheDataTypeE0EDF16_Li32ELi64ELi256ELb1ELi5EL8MFMAType0EEvPKT_PKT0_S8_ifPKiSA_SA_iPKfiiiPfSD_PS3_PT2_iSC_SC_,"axG",@progbits,_Z39paged_attention_ll4mi_QKV_mfma16_kernelIDF16_DF16_LN4vllm18Fp8KVCacheDataTypeE0EDF16_Li32ELi64ELi256ELb1ELi5EL8MFMAType0EEvPKT_PKT0_S8_ifPKiSA_SA_iPKfiiiPfSD_PS3_PT2_iSC_SC_,comdat
	.protected	_Z39paged_attention_ll4mi_QKV_mfma16_kernelIDF16_DF16_LN4vllm18Fp8KVCacheDataTypeE0EDF16_Li32ELi64ELi256ELb1ELi5EL8MFMAType0EEvPKT_PKT0_S8_ifPKiSA_SA_iPKfiiiPfSD_PS3_PT2_iSC_SC_ ; -- Begin function _Z39paged_attention_ll4mi_QKV_mfma16_kernelIDF16_DF16_LN4vllm18Fp8KVCacheDataTypeE0EDF16_Li32ELi64ELi256ELb1ELi5EL8MFMAType0EEvPKT_PKT0_S8_ifPKiSA_SA_iPKfiiiPfSD_PS3_PT2_iSC_SC_
	.globl	_Z39paged_attention_ll4mi_QKV_mfma16_kernelIDF16_DF16_LN4vllm18Fp8KVCacheDataTypeE0EDF16_Li32ELi64ELi256ELb1ELi5EL8MFMAType0EEvPKT_PKT0_S8_ifPKiSA_SA_iPKfiiiPfSD_PS3_PT2_iSC_SC_
	.p2align	8
	.type	_Z39paged_attention_ll4mi_QKV_mfma16_kernelIDF16_DF16_LN4vllm18Fp8KVCacheDataTypeE0EDF16_Li32ELi64ELi256ELb1ELi5EL8MFMAType0EEvPKT_PKT0_S8_ifPKiSA_SA_iPKfiiiPfSD_PS3_PT2_iSC_SC_,@function
_Z39paged_attention_ll4mi_QKV_mfma16_kernelIDF16_DF16_LN4vllm18Fp8KVCacheDataTypeE0EDF16_Li32ELi64ELi256ELb1ELi5EL8MFMAType0EEvPKT_PKT0_S8_ifPKiSA_SA_iPKfiiiPfSD_PS3_PT2_iSC_SC_: ; @_Z39paged_attention_ll4mi_QKV_mfma16_kernelIDF16_DF16_LN4vllm18Fp8KVCacheDataTypeE0EDF16_Li32ELi64ELi256ELb1ELi5EL8MFMAType0EEvPKT_PKT0_S8_ifPKiSA_SA_iPKfiiiPfSD_PS3_PT2_iSC_SC_
; %bb.0:
	s_load_b64 s[2:3], s[0:1], 0x30
	s_mov_b32 s34, s13
	s_waitcnt lgkmcnt(0)
	s_cmp_lg_u64 s[2:3], 0
	s_cselect_b32 s6, -1, 0
	s_ashr_i32 s35, s13, 31
	s_cmp_eq_u64 s[2:3], 0
	s_cbranch_scc1 .LBB158_3
; %bb.1:
	s_lshl_b64 s[4:5], s[34:35], 2
	s_delay_alu instid0(SALU_CYCLE_1) | instskip(SKIP_4) | instid1(SALU_CYCLE_1)
	s_add_u32 s4, s2, s4
	s_addc_u32 s5, s3, s5
	s_load_b64 s[4:5], s[4:5], 0x0
	s_waitcnt lgkmcnt(0)
	s_sub_i32 s4, s5, s4
	s_cmp_eq_u32 s4, 1
	s_cselect_b32 s4, -1, 0
	s_delay_alu instid0(SALU_CYCLE_1)
	s_and_not1_b32 vcc_lo, exec_lo, s4
	s_cbranch_vccz .LBB158_4
.LBB158_2:
	s_nop 0
	s_sendmsg sendmsg(MSG_DEALLOC_VGPRS)
	s_endpgm
.LBB158_3:
.LBB158_4:
	s_load_b64 s[8:9], s[0:1], 0x28
	s_lshl_b64 s[4:5], s[34:35], 2
	s_waitcnt lgkmcnt(0)
	s_add_u32 s8, s8, s4
	s_addc_u32 s9, s9, s5
	s_lshl_b32 s16, s14, 8
	s_load_b32 s18, s[8:9], 0x0
	s_waitcnt lgkmcnt(0)
	s_cmp_ge_i32 s16, s18
	s_cbranch_scc1 .LBB158_2
; %bb.5:
	s_and_not1_b32 vcc_lo, exec_lo, s6
	s_cbranch_vccnz .LBB158_7
; %bb.6:
	s_add_u32 s2, s2, s4
	s_addc_u32 s3, s3, s5
	s_load_b32 s17, s[2:3], 0x0
	s_branch .LBB158_8
.LBB158_7:
	s_mov_b32 s17, s34
.LBB158_8:
	s_clause 0x2
	s_load_b128 s[8:11], s[0:1], 0x8
	s_load_b64 s[12:13], s[0:1], 0x20
	s_load_b128 s[4:7], s[0:1], 0x48
	v_lshrrev_b32_e32 v78, 5, v0
	v_bfe_u32 v75, v0, 4, 1
	v_and_b32_e32 v77, 15, v0
	s_delay_alu instid0(VALU_DEP_2) | instskip(NEXT) | instid1(VALU_DEP_2)
	v_lshl_or_b32 v3, v78, 1, v75
	v_cmp_lt_u32_e64 s3, 7, v77
	v_lshlrev_b32_e32 v1, 3, v77
	v_cmp_gt_u32_e64 s2, 8, v77
	s_delay_alu instid0(VALU_DEP_4) | instskip(NEXT) | instid1(VALU_DEP_4)
	v_cmp_lt_u32_e32 vcc_lo, 4, v3
	s_or_b32 s3, s3, vcc_lo
	s_waitcnt lgkmcnt(0)
	s_and_saveexec_b32 s7, s3
	s_delay_alu instid0(SALU_CYCLE_1)
	s_xor_b32 s3, exec_lo, s7
; %bb.9:
	v_mov_b32_e32 v2, 0
                                        ; implicit-def: $vgpr3
; %bb.10:
	s_or_saveexec_b32 s3, s3
	v_and_b32_e32 v80, 31, v0
	v_and_b32_e32 v76, 1, v0
	s_mul_i32 s33, s15, 5
	s_xor_b32 exec_lo, exec_lo, s3
	s_cbranch_execz .LBB158_12
; %bb.11:
	s_load_b64 s[20:21], s[0:1], 0x0
	v_add_lshl_u32 v4, v3, s33, 6
	s_mul_hi_i32 s23, s17, s4
	s_mul_i32 s22, s17, s4
	v_lshlrev_b32_e32 v2, 1, v1
	s_lshl_b64 s[22:23], s[22:23], 1
	v_ashrrev_i32_e32 v5, 31, v4
	v_lshlrev_b32_e32 v3, 6, v3
	v_lshlrev_b32_e32 v8, 10, v76
	s_delay_alu instid0(VALU_DEP_3) | instskip(SKIP_3) | instid1(VALU_DEP_1)
	v_lshlrev_b64 v[4:5], 1, v[4:5]
	s_waitcnt lgkmcnt(0)
	s_add_u32 s4, s20, s22
	s_addc_u32 s7, s21, s23
	v_add_co_u32 v4, vcc_lo, s4, v4
	s_delay_alu instid0(VALU_DEP_2) | instskip(NEXT) | instid1(VALU_DEP_2)
	v_add_co_ci_u32_e32 v5, vcc_lo, s7, v5, vcc_lo
	v_add_co_u32 v4, vcc_lo, v4, v2
	s_delay_alu instid0(VALU_DEP_2) | instskip(SKIP_3) | instid1(VALU_DEP_1)
	v_add_co_ci_u32_e32 v5, vcc_lo, 0, v5, vcc_lo
	v_lshlrev_b32_e32 v2, 10, v77
	global_load_b128 v[4:7], v[4:5], off
	v_and_b32_e32 v2, 0x3800, v2
	v_or3_b32 v3, v2, v8, v3
	v_mov_b32_e32 v2, 0
	s_waitcnt vmcnt(0)
	ds_store_b128 v3, v[4:7]
.LBB158_12:
	s_or_b32 exec_lo, exec_lo, s3
	v_and_b32_e32 v3, 0xef, v0
	s_add_i32 s3, s18, 31
	s_clause 0x1
	s_load_b32 s4, s[0:1], 0x38
	s_load_b32 s35, s[0:1], 0x98
	s_ashr_i32 s7, s3, 31
	v_add_nc_u32_e32 v3, s16, v3
	s_lshr_b32 s7, s7, 27
	s_load_b32 s19, s[0:1], 0x1c
	s_add_i32 s3, s3, s7
	s_waitcnt lgkmcnt(0)
	v_ashrrev_i32_e32 v4, 31, v3
	v_cmp_gt_i32_e32 vcc_lo, s18, v3
	s_ashr_i32 s3, s3, 5
	s_barrier
	s_add_i32 s3, s3, -1
	v_lshrrev_b32_e32 v5, 27, v4
	v_or_b32_e32 v4, 16, v3
	buffer_gl0_inv
	s_mul_i32 s6, s15, s6
	v_lshlrev_b64 v[73:74], 1, v[1:2]
	v_add_nc_u32_e32 v6, v3, v5
	v_add_nc_u32_e32 v5, v4, v5
	s_mul_i32 s20, s34, s4
	s_delay_alu instid0(SALU_CYCLE_1) | instskip(NEXT) | instid1(VALU_DEP_2)
	s_ashr_i32 s21, s20, 31
	v_ashrrev_i32_e32 v6, 5, v6
	s_delay_alu instid0(VALU_DEP_2) | instskip(SKIP_1) | instid1(SALU_CYCLE_1)
	v_ashrrev_i32_e32 v5, 5, v5
	s_lshl_b64 s[20:21], s[20:21], 2
	s_add_u32 s4, s12, s20
	s_delay_alu instid0(VALU_DEP_2) | instskip(SKIP_3) | instid1(SALU_CYCLE_1)
	v_cndmask_b32_e32 v3, s3, v6, vcc_lo
	v_cmp_gt_i32_e32 vcc_lo, s18, v4
	s_addc_u32 s17, s13, s21
	s_ashr_i32 s7, s6, 31
	s_lshl_b64 s[6:7], s[6:7], 1
	v_cndmask_b32_e32 v5, s3, v5, vcc_lo
	v_ashrrev_i32_e32 v4, 31, v3
	s_add_u32 s15, s8, s6
	s_addc_u32 s28, s9, s7
	s_lshl_b32 s8, s14, 3
	v_ashrrev_i32_e32 v6, 31, v5
	v_lshlrev_b64 v[3:4], 2, v[3:4]
	s_ashr_i32 s9, s8, 31
	s_delay_alu instid0(SALU_CYCLE_1) | instskip(NEXT) | instid1(VALU_DEP_2)
	s_lshl_b64 s[8:9], s[8:9], 2
	v_lshlrev_b64 v[5:6], 2, v[5:6]
	s_add_u32 s8, s4, s8
	s_delay_alu instid0(VALU_DEP_2) | instskip(SKIP_1) | instid1(VALU_DEP_3)
	v_add_co_u32 v3, vcc_lo, s4, v3
	v_add_co_ci_u32_e32 v4, vcc_lo, s17, v4, vcc_lo
	v_add_co_u32 v5, vcc_lo, s4, v5
	s_delay_alu instid0(VALU_DEP_4)
	v_add_co_ci_u32_e32 v6, vcc_lo, s17, v6, vcc_lo
	s_addc_u32 s9, s17, s9
	s_clause 0x1
	global_load_b32 v7, v[3:4], off
	global_load_b32 v8, v[5:6], off
	s_or_b32 s12, s16, 32
	s_delay_alu instid0(SALU_CYCLE_1) | instskip(SKIP_2) | instid1(SALU_CYCLE_1)
	s_ashr_i32 s13, s12, 5
	s_cmp_lt_i32 s12, s18
	s_cselect_b32 s12, s13, s3
	s_ashr_i32 s13, s12, 31
	s_delay_alu instid0(SALU_CYCLE_1) | instskip(NEXT) | instid1(SALU_CYCLE_1)
	s_lshl_b64 s[12:13], s[12:13], 2
	s_add_u32 s12, s4, s12
	s_addc_u32 s13, s17, s13
	s_or_b32 s20, s16, 64
	s_delay_alu instid0(SALU_CYCLE_1) | instskip(SKIP_2) | instid1(SALU_CYCLE_1)
	s_ashr_i32 s21, s20, 5
	s_cmp_lt_i32 s20, s18
	s_cselect_b32 s20, s21, s3
	s_ashr_i32 s21, s20, 31
	s_delay_alu instid0(SALU_CYCLE_1) | instskip(NEXT) | instid1(SALU_CYCLE_1)
	s_lshl_b64 s[20:21], s[20:21], 2
	s_add_u32 s20, s4, s20
	s_addc_u32 s21, s17, s21
	;; [unrolled: 10-line block ×5, first 2 shown]
	s_clause 0x5
	s_load_b32 s29, s[8:9], 0x0
	s_load_b32 s30, s[12:13], 0x0
	;; [unrolled: 1-line block ×6, first 2 shown]
	s_or_b32 s8, s16, 0xc0
	s_mov_b32 s20, 0
	s_ashr_i32 s9, s8, 5
	s_cmp_lt_i32 s8, s18
	s_mov_b32 s27, s20
	s_cselect_b32 s8, s9, s3
	s_mov_b32 s21, s20
	s_ashr_i32 s9, s8, 31
	s_mov_b32 s22, s20
	s_lshl_b64 s[8:9], s[8:9], 2
	s_mov_b32 s23, s20
	s_add_u32 s8, s4, s8
	s_mov_b32 s24, s20
	s_mov_b32 s25, s20
	;; [unrolled: 1-line block ×3, first 2 shown]
	s_addc_u32 s9, s17, s9
	v_dual_mov_b32 v128, s27 :: v_dual_lshlrev_b32 v79, 6, v77
	v_dual_mov_b32 v122, s21 :: v_dual_mov_b32 v127, s26
	v_dual_mov_b32 v126, s25 :: v_dual_mov_b32 v125, s24
	;; [unrolled: 1-line block ×3, first 2 shown]
	v_mov_b32_e32 v121, s20
	s_waitcnt lgkmcnt(0)
	s_mul_hi_i32 s13, s29, s5
	s_mul_i32 s12, s29, s5
	v_lshl_or_b32 v33, v78, 10, v79
	s_mul_hi_i32 s21, s30, s5
	s_mul_i32 s20, s30, s5
	s_mul_hi_i32 s25, s31, s5
	s_mul_i32 s24, s31, s5
	;; [unrolled: 2-line block ×4, first 2 shown]
	s_waitcnt vmcnt(1)
	v_mad_i64_i32 v[3:4], null, v7, s5, 0
	s_waitcnt vmcnt(0)
	v_mad_i64_i32 v[5:6], null, v8, s5, 0
	s_delay_alu instid0(VALU_DEP_2) | instskip(NEXT) | instid1(VALU_DEP_2)
	v_lshlrev_b64 v[3:4], 1, v[3:4]
	v_lshlrev_b64 v[1:2], 1, v[5:6]
	s_delay_alu instid0(VALU_DEP_2) | instskip(NEXT) | instid1(VALU_DEP_3)
	v_add_co_u32 v3, vcc_lo, s15, v3
	v_add_co_ci_u32_e32 v4, vcc_lo, s28, v4, vcc_lo
	s_delay_alu instid0(VALU_DEP_3) | instskip(NEXT) | instid1(VALU_DEP_4)
	v_add_co_u32 v1, vcc_lo, s15, v1
	v_add_co_ci_u32_e32 v2, vcc_lo, s28, v2, vcc_lo
	s_delay_alu instid0(VALU_DEP_4) | instskip(NEXT) | instid1(VALU_DEP_4)
	v_add_co_u32 v25, vcc_lo, v3, v73
	v_add_co_ci_u32_e32 v26, vcc_lo, v4, v74, vcc_lo
	s_delay_alu instid0(VALU_DEP_4) | instskip(NEXT) | instid1(VALU_DEP_4)
	v_add_co_u32 v27, vcc_lo, v1, v73
	v_add_co_ci_u32_e32 v28, vcc_lo, v2, v74, vcc_lo
	s_clause 0xf
	global_load_b128 v[1:4], v[25:26], off
	global_load_b128 v[5:8], v[25:26], off offset:512
	global_load_b128 v[9:12], v[27:28], off offset:256
	global_load_b128 v[13:16], v[27:28], off offset:768
	global_load_b128 v[17:20], v[25:26], off offset:1024
	global_load_b128 v[21:24], v[25:26], off offset:1536
	global_load_b128 v[81:84], v[27:28], off offset:1280
	global_load_b128 v[85:88], v[27:28], off offset:1792
	global_load_b128 v[89:92], v[25:26], off offset:2048
	global_load_b128 v[93:96], v[25:26], off offset:2560
	global_load_b128 v[97:100], v[27:28], off offset:2304
	global_load_b128 v[101:104], v[27:28], off offset:2816
	global_load_b128 v[105:108], v[25:26], off offset:3072
	global_load_b128 v[109:112], v[25:26], off offset:3584
	global_load_b128 v[113:116], v[27:28], off offset:3328
	global_load_b128 v[117:120], v[27:28], off offset:3840
	v_mul_lo_u16 v25, v77, 52
	s_or_b32 s15, s16, 0xe0
	s_delay_alu instid0(SALU_CYCLE_1) | instskip(SKIP_1) | instid1(VALU_DEP_1)
	s_ashr_i32 s22, s15, 5
	s_cmp_lt_i32 s15, s18
	v_lshrrev_b16 v25, 8, v25
	s_cselect_b32 s22, s22, s3
	s_delay_alu instid0(SALU_CYCLE_1) | instskip(NEXT) | instid1(VALU_DEP_1)
	s_ashr_i32 s23, s22, 31
	v_mul_lo_u16 v25, v25, 5
	s_lshl_b64 s[22:23], s[22:23], 2
	s_delay_alu instid0(SALU_CYCLE_1) | instskip(SKIP_1) | instid1(VALU_DEP_1)
	s_add_u32 s22, s4, s22
	s_addc_u32 s23, s17, s23
	v_sub_nc_u16 v25, v77, v25
	s_add_i32 s15, s16, 0x100
	s_delay_alu instid0(SALU_CYCLE_1) | instskip(SKIP_1) | instid1(VALU_DEP_1)
	s_ashr_i32 s28, s15, 5
	s_cmp_lt_i32 s15, s18
	v_and_b32_e32 v25, 0xff, v25
	s_cselect_b32 s28, s28, s3
	s_delay_alu instid0(SALU_CYCLE_1) | instskip(NEXT) | instid1(VALU_DEP_1)
	s_ashr_i32 s29, s28, 31
	v_lshlrev_b32_e32 v151, 6, v25
	s_lshl_b64 s[28:29], s[28:29], 2
	ds_load_b128 v[25:28], v151
	ds_load_b128 v[29:32], v151 offset:1024
	s_add_u32 s28, s4, s28
	s_addc_u32 s29, s17, s29
	s_add_u32 s3, s10, s6
	ds_load_b128 v[129:132], v151 offset:2048
	ds_load_b128 v[133:136], v151 offset:3072
	s_clause 0x2
	s_load_b32 s15, s[8:9], 0x0
	s_load_b32 s4, s[22:23], 0x0
	;; [unrolled: 1-line block ×3, first 2 shown]
	s_addc_u32 s28, s11, s7
	v_add_co_u32 v152, s3, s3, v33
	s_delay_alu instid0(VALU_DEP_1) | instskip(SKIP_2) | instid1(VALU_DEP_2)
	v_add_co_ci_u32_e64 v153, null, s28, 0, s3
	s_lshl_b64 s[6:7], s[12:13], 1
	s_lshl_b64 s[10:11], s[20:21], 1
	v_add_co_u32 v33, vcc_lo, v152, s6
	s_delay_alu instid0(VALU_DEP_2)
	v_add_co_ci_u32_e32 v34, vcc_lo, s7, v153, vcc_lo
	v_add_co_u32 v35, vcc_lo, v152, s10
	s_lshl_b64 s[12:13], s[24:25], 1
	v_add_co_ci_u32_e32 v36, vcc_lo, s11, v153, vcc_lo
	v_add_co_u32 v37, vcc_lo, v152, s12
	s_lshl_b64 s[20:21], s[26:27], 1
	s_mul_hi_i32 s9, s37, s5
	s_mul_i32 s8, s37, s5
	v_add_co_ci_u32_e32 v38, vcc_lo, s13, v153, vcc_lo
	v_add_co_u32 v39, vcc_lo, v152, s20
	s_lshl_b64 s[8:9], s[8:9], 1
	v_add_co_ci_u32_e32 v40, vcc_lo, s21, v153, vcc_lo
	v_add_co_u32 v145, vcc_lo, v152, s8
	s_lshl_b64 s[22:23], s[30:31], 1
	s_waitcnt lgkmcnt(0)
	s_mul_hi_i32 s25, s15, s5
	s_mul_i32 s24, s15, s5
	v_add_co_ci_u32_e32 v146, vcc_lo, s9, v153, vcc_lo
	v_add_co_u32 v147, vcc_lo, v152, s22
	s_lshl_b64 s[24:25], s[24:25], 1
	v_add_co_ci_u32_e32 v148, vcc_lo, s23, v153, vcc_lo
	s_mul_hi_i32 s7, s4, s5
	s_mul_i32 s6, s4, s5
	v_add_co_u32 v149, vcc_lo, v152, s24
	s_lshl_b64 s[6:7], s[6:7], 1
	v_add_co_ci_u32_e32 v150, vcc_lo, s25, v153, vcc_lo
	s_clause 0x7
	global_load_b128 v[65:68], v[33:34], off
	global_load_b128 v[69:72], v[33:34], off offset:16
	global_load_b128 v[57:60], v[35:36], off
	global_load_b128 v[61:64], v[35:36], off offset:16
	;; [unrolled: 2-line block ×4, first 2 shown]
	s_waitcnt vmcnt(22)
	v_wmma_f32_16x16x16_f16 v[137:144], v[1:8], v[25:32], v[121:128]
	s_waitcnt vmcnt(20)
	v_wmma_f32_16x16x16_f16 v[121:128], v[9:16], v[25:32], v[121:128]
	v_add_co_u32 v29, vcc_lo, v152, s6
	v_add_co_ci_u32_e32 v30, vcc_lo, s7, v153, vcc_lo
	s_mul_hi_i32 s7, s17, s5
	s_mul_i32 s6, s17, s5
	s_waitcnt vmcnt(18)
	v_wmma_f32_16x16x16_f16 v[137:144], v[17:24], v[129:136], v[137:144]
	s_lshl_b64 s[4:5], s[6:7], 1
	s_clause 0x1
	global_load_b128 v[9:12], v[145:146], off
	global_load_b128 v[13:16], v[145:146], off offset:16
	v_add_co_u32 v21, vcc_lo, v152, s4
	v_add_co_ci_u32_e32 v22, vcc_lo, s5, v153, vcc_lo
	s_clause 0x7
	global_load_b128 v[1:4], v[147:148], off
	global_load_b128 v[5:8], v[147:148], off offset:16
	global_load_b128 v[33:36], v[149:150], off
	global_load_b128 v[37:40], v[149:150], off offset:16
	;; [unrolled: 2-line block ×4, first 2 shown]
	s_waitcnt vmcnt(26)
	v_wmma_f32_16x16x16_f16 v[121:128], v[81:88], v[129:136], v[121:128]
	ds_load_b128 v[81:84], v151 offset:4096
	ds_load_b128 v[85:88], v151 offset:5120
	v_mbcnt_lo_u32_b32 v130, -1, 0
	s_delay_alu instid0(VALU_DEP_1) | instskip(NEXT) | instid1(VALU_DEP_1)
	v_xor_b32_e32 v131, 16, v130
	v_cmp_gt_i32_e32 vcc_lo, 32, v131
	v_cndmask_b32_e32 v130, v130, v131, vcc_lo
	s_waitcnt vmcnt(24) lgkmcnt(0)
	v_wmma_f32_16x16x16_f16 v[137:144], v[89:96], v[81:88], v[137:144]
	ds_load_b128 v[89:92], v151 offset:6144
	ds_load_b128 v[93:96], v151 offset:7168
	s_waitcnt vmcnt(22)
	v_wmma_f32_16x16x16_f16 v[121:128], v[97:104], v[81:88], v[121:128]
	s_waitcnt vmcnt(0) lgkmcnt(0)
	s_barrier
	buffer_gl0_inv
	v_wmma_f32_16x16x16_f16 v[137:144], v[105:112], v[89:96], v[137:144]
	v_and_b32_e32 v129, 0xe0, v0
	v_wmma_f32_16x16x16_f16 v[121:128], v[113:120], v[89:96], v[121:128]
	s_delay_alu instid0(VALU_DEP_3) | instskip(NEXT) | instid1(VALU_DEP_2)
	v_mul_f32_e32 v96, s19, v137
	v_dual_mul_f32 v104, s19, v126 :: v_dual_add_nc_u32 v129, s16, v129
	v_mul_f32_e32 v95, s19, v138
	v_dual_mul_f32 v93, s19, v140 :: v_dual_mul_f32 v94, s19, v139
	s_delay_alu instid0(VALU_DEP_3) | instskip(SKIP_3) | instid1(VALU_DEP_4)
	v_or_b32_e32 v129, v129, v75
	v_dual_mul_f32 v91, s19, v142 :: v_dual_mul_f32 v106, s19, v124
	v_dual_mul_f32 v92, s19, v141 :: v_dual_mul_f32 v89, s19, v144
	v_mul_f32_e32 v108, s19, v122
	v_or_b32_e32 v131, 2, v129
	v_or_b32_e32 v132, 4, v129
	;; [unrolled: 1-line block ×3, first 2 shown]
	v_cmp_gt_i32_e32 vcc_lo, s18, v129
	v_or_b32_e32 v82, 8, v129
	v_cmp_gt_i32_e64 s3, s18, v131
	v_or_b32_e32 v83, 10, v129
	v_cmp_gt_i32_e64 s4, s18, v132
	v_cndmask_b32_e32 v96, 0xff7fffff, v96, vcc_lo
	v_cmp_gt_i32_e64 s5, s18, v81
	v_cndmask_b32_e64 v95, 0xff7fffff, v95, s3
	v_or_b32_e32 v84, 12, v129
	v_or_b32_e32 v85, 14, v129
	v_cndmask_b32_e64 v94, 0xff7fffff, v94, s4
	v_cndmask_b32_e64 v81, 0xff7fffff, v93, s5
	v_max3_f32 v93, v96, 0xff7fffff, v95
	v_cmp_gt_i32_e64 s6, s18, v82
	v_cmp_gt_i32_e64 s7, s18, v83
	v_or_b32_e32 v86, 16, v129
	v_or_b32_e32 v87, 18, v129
	v_mul_f32_e32 v90, s19, v143
	v_cndmask_b32_e64 v82, 0xff7fffff, v92, s6
	v_cndmask_b32_e64 v83, 0xff7fffff, v91, s7
	v_max3_f32 v81, v93, v94, v81
	v_cmp_gt_i32_e64 s8, s18, v84
	v_cmp_gt_i32_e64 s9, s18, v85
	v_or_b32_e32 v88, 20, v129
	v_or_b32_e32 v97, 22, v129
	v_mul_f32_e32 v109, s19, v121
	v_cndmask_b32_e64 v84, 0xff7fffff, v90, s8
	v_cndmask_b32_e64 v85, 0xff7fffff, v89, s9
	v_max3_f32 v81, v81, v82, v83
	v_cmp_gt_i32_e64 s10, s18, v86
	v_cmp_gt_i32_e64 s11, s18, v87
	v_or_b32_e32 v98, 24, v129
	v_or_b32_e32 v99, 26, v129
	v_mul_f32_e32 v107, s19, v123
	v_cndmask_b32_e64 v82, 0xff7fffff, v109, s10
	v_cndmask_b32_e64 v83, 0xff7fffff, v108, s11
	v_max3_f32 v81, v81, v84, v85
	v_cmp_gt_i32_e64 s12, s18, v88
	v_cmp_gt_i32_e64 s13, s18, v97
	v_or_b32_e32 v100, 28, v129
	v_or_b32_e32 v101, 30, v129
	v_mul_f32_e32 v105, s19, v125
	v_cndmask_b32_e64 v84, 0xff7fffff, v107, s12
	v_cndmask_b32_e64 v85, 0xff7fffff, v106, s13
	v_max3_f32 v81, v81, v82, v83
	v_cmp_gt_i32_e64 s15, s18, v98
	v_cmp_gt_i32_e64 s16, s18, v99
	v_dual_mul_f32 v102, s19, v128 :: v_dual_mul_f32 v103, s19, v127
	s_delay_alu instid0(VALU_DEP_4) | instskip(NEXT) | instid1(VALU_DEP_4)
	v_max3_f32 v81, v81, v84, v85
	v_cndmask_b32_e64 v82, 0xff7fffff, v105, s15
	s_delay_alu instid0(VALU_DEP_4) | instskip(SKIP_2) | instid1(VALU_DEP_3)
	v_cndmask_b32_e64 v83, 0xff7fffff, v104, s16
	v_cmp_gt_i32_e64 s17, s18, v100
	v_cmp_gt_i32_e64 s18, s18, v101
	v_max3_f32 v81, v81, v82, v83
	s_delay_alu instid0(VALU_DEP_3) | instskip(NEXT) | instid1(VALU_DEP_3)
	v_cndmask_b32_e64 v84, 0xff7fffff, v103, s17
	v_cndmask_b32_e64 v85, 0xff7fffff, v102, s18
	v_lshlrev_b32_e32 v83, 2, v130
	s_delay_alu instid0(VALU_DEP_2) | instskip(SKIP_3) | instid1(VALU_DEP_1)
	v_max3_f32 v81, v81, v84, v85
	ds_bpermute_b32 v82, v83, v81
	s_waitcnt lgkmcnt(0)
	v_max_f32_e32 v82, v82, v82
	v_max_f32_e32 v81, v81, v82
	s_delay_alu instid0(VALU_DEP_1)
	v_fma_f32 v82, s19, v137, -v81
	v_fma_f32 v84, s19, v138, -v81
	;; [unrolled: 1-line block ×5, first 2 shown]
	v_mul_f32_e32 v82, 0x3fb8aa3b, v82
	s_delay_alu instid0(VALU_DEP_4) | instskip(NEXT) | instid1(VALU_DEP_3)
	v_dual_mul_f32 v84, 0x3fb8aa3b, v84 :: v_dual_mul_f32 v89, 0x3fb8aa3b, v87
	v_mul_f32_e32 v86, 0x3fb8aa3b, v86
	s_delay_alu instid0(VALU_DEP_3) | instskip(NEXT) | instid1(VALU_DEP_2)
	v_exp_f32_e32 v82, v82
	v_exp_f32_e32 v84, v84
	s_delay_alu instid0(VALU_DEP_2) | instskip(NEXT) | instid1(VALU_DEP_1)
	v_exp_f32_e32 v92, v89
	v_exp_f32_e32 v86, v86
	v_cndmask_b32_e32 v88, 0, v82, vcc_lo
	s_delay_alu instid0(TRANS32_DEP_3)
	v_cndmask_b32_e64 v87, 0, v84, s3
	s_waitcnt_depctr 0xfff
	v_cndmask_b32_e64 v92, 0, v92, s6
	v_cmp_gt_u32_e64 s3, 16, v80
	v_cndmask_b32_e64 v89, 0, v86, s5
	v_add_f32_e32 v84, 0, v88
	s_delay_alu instid0(VALU_DEP_1) | instskip(NEXT) | instid1(VALU_DEP_1)
	v_dual_add_f32 v84, v84, v87 :: v_dual_mul_f32 v85, 0x3fb8aa3b, v85
	v_exp_f32_e32 v85, v85
	s_waitcnt_depctr 0xfff
	v_cndmask_b32_e64 v90, 0, v85, s4
	s_delay_alu instid0(VALU_DEP_1) | instskip(NEXT) | instid1(VALU_DEP_1)
	v_add_f32_e32 v84, v84, v90
	v_add_f32_e32 v84, v84, v89
	v_fma_f32 v82, s19, v142, -v81
	v_fma_f32 v91, s19, v143, -v81
	;; [unrolled: 1-line block ×5, first 2 shown]
	s_delay_alu instid0(VALU_DEP_4) | instskip(SKIP_1) | instid1(VALU_DEP_4)
	v_dual_mul_f32 v82, 0x3fb8aa3b, v82 :: v_dual_mul_f32 v91, 0x3fb8aa3b, v91
	v_fma_f32 v96, s19, v124, -v81
	v_mul_f32_e32 v86, 0x3fb8aa3b, v86
	v_fma_f32 v99, s19, v127, -v81
	s_delay_alu instid0(VALU_DEP_4) | instskip(SKIP_3) | instid1(VALU_DEP_1)
	v_exp_f32_e32 v82, v82
	v_exp_f32_e32 v93, v91
	v_mul_f32_e32 v97, 0x3fb8aa3b, v96
	v_exp_f32_e32 v86, v86
	v_exp_f32_e32 v97, v97
	v_cndmask_b32_e64 v91, 0, v82, s7
	v_dual_add_f32 v82, v84, v92 :: v_dual_mul_f32 v85, 0x3fb8aa3b, v85
	v_fma_f32 v84, s19, v123, -v81
	v_mul_f32_e32 v95, 0x3fb8aa3b, v94
	s_delay_alu instid0(TRANS32_DEP_3) | instskip(NEXT) | instid1(VALU_DEP_4)
	v_cndmask_b32_e64 v94, 0, v93, s8
	v_add_f32_e32 v82, v82, v91
	v_exp_f32_e32 v85, v85
	v_mul_f32_e32 v84, 0x3fb8aa3b, v84
	v_cndmask_b32_e64 v96, 0, v86, s10
	v_exp_f32_e32 v95, v95
	v_add_f32_e32 v82, v82, v94
	v_fma_f32 v86, s19, v126, -v81
	v_exp_f32_e32 v84, v84
	v_cndmask_b32_e64 v97, 0, v97, s13
	s_delay_alu instid0(TRANS32_DEP_3) | instskip(SKIP_2) | instid1(TRANS32_DEP_2)
	v_cndmask_b32_e64 v93, 0, v85, s9
	v_fma_f32 v85, s19, v125, -v81
	v_mul_f32_e32 v86, 0x3fb8aa3b, v86
	v_cndmask_b32_e64 v95, 0, v95, s11
	s_waitcnt_depctr 0xfff
	v_cndmask_b32_e64 v98, 0, v84, s12
	v_mul_f32_e32 v84, 0x3fb8aa3b, v99
	v_fma_f32 v99, s19, v128, -v81
	v_add_f32_e32 v82, v82, v93
	v_mul_f32_e32 v85, 0x3fb8aa3b, v85
	v_exp_f32_e32 v86, v86
	v_exp_f32_e32 v84, v84
	s_delay_alu instid0(VALU_DEP_1)
	v_exp_f32_e32 v85, v85
	s_waitcnt_depctr 0xfff
	v_cndmask_b32_e64 v102, 0, v84, s17
	v_cndmask_b32_e64 v100, 0, v85, s15
	v_dual_mul_f32 v85, 0x3fb8aa3b, v99 :: v_dual_add_f32 v82, v82, v96
	v_cndmask_b32_e64 v99, 0, v86, s16
	s_delay_alu instid0(VALU_DEP_2) | instskip(NEXT) | instid1(VALU_DEP_2)
	v_exp_f32_e32 v85, v85
	v_add_f32_e32 v82, v82, v95
	s_delay_alu instid0(VALU_DEP_1) | instskip(SKIP_3) | instid1(VALU_DEP_1)
	v_add_f32_e32 v82, v82, v98
	s_waitcnt_depctr 0xfff
	v_cndmask_b32_e64 v101, 0, v85, s18
	v_add_f32_e32 v82, v82, v97
	v_add_f32_e32 v82, v82, v100
	s_delay_alu instid0(VALU_DEP_1) | instskip(NEXT) | instid1(VALU_DEP_1)
	v_add_f32_e32 v82, v82, v99
	v_add_f32_e32 v82, v82, v102
	s_delay_alu instid0(VALU_DEP_1)
	v_add_f32_e32 v82, v82, v101
	ds_bpermute_b32 v83, v83, v82
	s_and_saveexec_b32 s4, s3
	s_cbranch_execz .LBB158_14
; %bb.13:
	v_mul_u32_u24_e32 v80, 0x44, v78
	s_waitcnt lgkmcnt(0)
	v_add_f32_e32 v82, v82, v83
	s_delay_alu instid0(VALU_DEP_2) | instskip(NEXT) | instid1(VALU_DEP_1)
	v_lshl_add_u32 v80, v77, 2, v80
	v_add_nc_u32_e32 v80, 0x4000, v80
	ds_store_2addr_b32 v80, v81, v82 offset1:136
.LBB158_14:
	s_or_b32 exec_lo, exec_lo, s4
	v_lshlrev_b32_e32 v80, 2, v77
	s_load_b32 s36, s[0:1], 0x94
	s_waitcnt lgkmcnt(0)
	s_barrier
	buffer_gl0_inv
	v_add_nc_u32_e32 v84, 0x4000, v80
	v_cmp_eq_u32_e32 vcc_lo, 1, v78
	v_cmp_eq_u32_e64 s4, 2, v78
	v_cmp_eq_u32_e64 s5, 3, v78
	;; [unrolled: 1-line block ×3, first 2 shown]
	ds_load_2addr_b32 v[80:81], v84 offset1:17
	ds_load_2addr_b32 v[82:83], v84 offset0:34 offset1:51
	ds_load_2addr_b32 v[103:104], v84 offset0:68 offset1:85
	;; [unrolled: 1-line block ×3, first 2 shown]
	v_cmp_eq_u32_e64 s7, 7, v78
	s_waitcnt lgkmcnt(3)
	v_max3_f32 v85, v80, 0xff7fffff, v81
	s_waitcnt lgkmcnt(2)
	s_delay_alu instid0(VALU_DEP_1) | instskip(SKIP_1) | instid1(VALU_DEP_1)
	v_max3_f32 v85, v85, v82, v83
	s_waitcnt lgkmcnt(1)
	v_max3_f32 v85, v85, v103, v104
	s_waitcnt lgkmcnt(0)
	s_delay_alu instid0(VALU_DEP_1) | instskip(NEXT) | instid1(VALU_DEP_1)
	v_max3_f32 v85, v85, v105, v106
	v_sub_f32_e32 v103, v103, v85
	ds_load_2addr_b32 v[107:108], v84 offset0:136 offset1:153
	v_sub_f32_e32 v80, v80, v85
	v_dual_sub_f32 v110, v83, v85 :: v_dual_mul_f32 v113, 0x3fb8aa3b, v103
	s_delay_alu instid0(VALU_DEP_2) | instskip(SKIP_3) | instid1(VALU_DEP_1)
	v_dual_sub_f32 v86, v81, v85 :: v_dual_mul_f32 v109, 0x3fb8aa3b, v80
	ds_load_2addr_b32 v[80:81], v84 offset0:170 offset1:187
	v_mul_f32_e32 v86, 0x3fb8aa3b, v86
	v_exp_f32_e32 v109, v109
	v_exp_f32_e32 v112, v86
	v_mul_f32_e32 v110, 0x3fb8aa3b, v110
	s_waitcnt lgkmcnt(1)
	s_waitcnt_depctr 0xfff
	v_fma_f32 v86, v109, v107, 0
	v_sub_f32_e32 v107, v104, v85
	v_sub_f32_e32 v82, v82, v85
	v_exp_f32_e32 v110, v110
	ds_load_2addr_b32 v[103:104], v84 offset0:238 offset1:255
	v_dual_fmac_f32 v86, v112, v108 :: v_dual_mul_f32 v111, 0x3fb8aa3b, v82
	ds_load_2addr_b32 v[82:83], v84 offset0:204 offset1:221
	v_dual_sub_f32 v84, v105, v85 :: v_dual_mul_f32 v105, 0x3fb8aa3b, v107
	v_exp_f32_e32 v107, v113
	v_exp_f32_e32 v111, v111
	s_waitcnt lgkmcnt(0)
	s_delay_alu instid0(VALU_DEP_1)
	v_mul_f32_e32 v84, 0x3fb8aa3b, v84
	v_exp_f32_e32 v105, v105
	s_barrier
	buffer_gl0_inv
	v_fmac_f32_e32 v86, v111, v80
	v_sub_f32_e32 v80, v106, v85
	v_exp_f32_e32 v106, v84
	s_delay_alu instid0(VALU_DEP_2) | instskip(NEXT) | instid1(VALU_DEP_2)
	v_fmac_f32_e32 v86, v110, v81
	v_mul_f32_e32 v80, 0x3fb8aa3b, v80
	s_delay_alu instid0(VALU_DEP_2) | instskip(NEXT) | instid1(VALU_DEP_2)
	v_dual_cndmask_b32 v81, v109, v112 :: v_dual_fmac_f32 v86, v107, v82
	v_exp_f32_e32 v108, v80
	s_delay_alu instid0(VALU_DEP_1) | instskip(SKIP_2) | instid1(VALU_DEP_1)
	v_fmac_f32_e32 v86, v105, v83
	s_waitcnt_depctr 0xfff
	v_fmac_f32_e32 v86, v106, v103
	v_fmac_f32_e32 v86, v108, v104
	s_delay_alu instid0(VALU_DEP_1) | instskip(NEXT) | instid1(VALU_DEP_1)
	v_add_f32_e32 v103, 0x358637bd, v86
	v_div_scale_f32 v104, null, v103, v103, 1.0
	v_div_scale_f32 v109, vcc_lo, 1.0, v103, 1.0
	s_delay_alu instid0(VALU_DEP_2) | instskip(SKIP_2) | instid1(VALU_DEP_1)
	v_rcp_f32_e32 v113, v104
	s_waitcnt_depctr 0xfff
	v_fma_f32 v80, -v104, v113, 1.0
	v_fmac_f32_e32 v113, v80, v113
	v_cndmask_b32_e64 v80, v81, v111, s4
	v_cmp_eq_u32_e64 s4, 4, v78
	v_lshl_or_b32 v81, v78, 11, v79
	s_delay_alu instid0(VALU_DEP_4) | instskip(NEXT) | instid1(VALU_DEP_4)
	v_mul_f32_e32 v111, v109, v113
	v_cndmask_b32_e64 v82, v80, v110, s5
	v_cmp_eq_u32_e64 s5, 6, v78
	s_delay_alu instid0(VALU_DEP_4) | instskip(SKIP_3) | instid1(VALU_DEP_3)
	v_lshl_or_b32 v78, v75, 4, v81
	v_lshlrev_b32_e32 v80, 2, v75
	v_fma_f32 v83, -v104, v111, v109
	v_cndmask_b32_e64 v84, v82, v107, s4
	v_or_b32_e32 v82, 1, v80
	s_delay_alu instid0(VALU_DEP_3) | instskip(NEXT) | instid1(VALU_DEP_3)
	v_fmac_f32_e32 v111, v83, v113
	v_cndmask_b32_e64 v105, v84, v105, s6
	v_or_b32_e32 v84, 2, v80
	v_or_b32_e32 v83, 3, v80
	v_cmp_eq_u32_e64 s4, 1, v80
	v_fma_f32 v104, -v104, v111, v109
	v_cndmask_b32_e64 v105, v105, v106, s5
	v_cmp_eq_u32_e64 s10, 1, v82
	v_cmp_eq_u32_e64 s11, 1, v84
	;; [unrolled: 1-line block ×3, first 2 shown]
	v_div_fmas_f32 v104, v104, v113, v111
	v_cndmask_b32_e64 v105, v105, v108, s7
	v_cmp_eq_u32_e32 vcc_lo, 2, v80
	v_cmp_eq_u32_e64 s13, 2, v82
	v_cmp_eq_u32_e64 s16, 2, v84
	v_div_fixup_f32 v103, v104, v103, 1.0
	v_cmp_eq_u32_e64 s17, 2, v83
	v_cmp_eq_u32_e64 s19, 3, v83
	;; [unrolled: 1-line block ×4, first 2 shown]
	v_mul_f32_e32 v111, v105, v103
	v_cmp_eq_u32_e64 s18, 3, v84
	v_cmp_eq_u32_e64 s23, 4, v83
	;; [unrolled: 1-line block ×4, first 2 shown]
	v_fma_mixlo_f16 v103, v111, v88, 0
	v_fma_mixlo_f16 v104, v111, v90, 0
	;; [unrolled: 1-line block ×8, first 2 shown]
	v_fma_mixhi_f16 v103, v111, v87, 0
	v_fma_mixhi_f16 v104, v111, v89, 0
	v_fma_mixhi_f16 v105, v111, v91, 0
	v_fma_mixhi_f16 v106, v111, v93, 0
	v_fma_mixhi_f16 v107, v111, v95, 0
	v_fma_mixhi_f16 v108, v111, v97, 0
	v_fma_mixhi_f16 v109, v111, v99, 0
	v_fma_mixhi_f16 v110, v111, v101, 0
	ds_store_b128 v78, v[103:106]
	ds_store_b128 v78, v[107:110] offset:1024
	s_waitcnt lgkmcnt(0)
	s_barrier
	buffer_gl0_inv
	ds_load_b128 v[87:90], v81
	ds_load_b128 v[91:94], v81 offset:16
	ds_load_b128 v[95:98], v81 offset:1024
	;; [unrolled: 1-line block ×3, first 2 shown]
	v_cmp_eq_u32_e64 s22, 4, v84
	v_cmp_eq_u32_e64 s25, 5, v83
	v_cmp_eq_u32_e64 s7, 5, v80
	v_cmp_eq_u32_e64 s21, 5, v82
	v_cmp_eq_u32_e64 s24, 5, v84
	v_cmp_eq_u32_e64 s28, 6, v83
	v_cmp_eq_u32_e64 s8, 6, v80
	v_cmp_eq_u32_e64 s26, 6, v82
	v_cmp_eq_u32_e64 s27, 6, v84
	v_cmp_eq_u32_e64 s30, 7, v83
	v_cmp_eq_u32_e64 s9, 7, v80
	v_cmp_eq_u32_e64 s29, 7, v84
	v_cmp_eq_u32_e64 s31, 7, v82
	s_waitcnt lgkmcnt(3)
	v_lshrrev_b32_e32 v103, 16, v87
	s_waitcnt lgkmcnt(2)
	v_lshrrev_b32_e32 v107, 16, v91
	;; [unrolled: 2-line block ×4, first 2 shown]
	v_lshrrev_b32_e32 v104, 16, v88
	v_cndmask_b32_e64 v119, v87, v103, s4
	v_cndmask_b32_e64 v120, v91, v107, s4
	;; [unrolled: 1-line block ×8, first 2 shown]
	v_lshrrev_b32_e32 v108, 16, v92
	v_cndmask_b32_e64 v103, v95, v111, s4
	v_cndmask_b32_e64 v107, v99, v115, s4
	;; [unrolled: 1-line block ×5, first 2 shown]
	v_cndmask_b32_e32 v111, v119, v88, vcc_lo
	v_cndmask_b32_e64 v119, v121, v88, s13
	v_cndmask_b32_e64 v121, v123, v88, s16
	;; [unrolled: 1-line block ×4, first 2 shown]
	v_lshrrev_b32_e32 v112, 16, v96
	v_lshrrev_b32_e32 v116, 16, v100
	v_cndmask_b32_e64 v126, v99, v115, s10
	v_cndmask_b32_e64 v128, v99, v115, s11
	;; [unrolled: 1-line block ×3, first 2 shown]
	v_cndmask_b32_e32 v115, v120, v92, vcc_lo
	v_cndmask_b32_e64 v120, v122, v92, s13
	v_cndmask_b32_e64 v122, v124, v92, s16
	v_cndmask_b32_e32 v91, v103, v96, vcc_lo
	v_cndmask_b32_e32 v92, v107, v100, vcc_lo
	v_cndmask_b32_e64 v103, v125, v96, s13
	v_cndmask_b32_e64 v87, v87, v104, s19
	;; [unrolled: 1-line block ×3, first 2 shown]
	v_lshrrev_b32_e32 v105, 16, v89
	v_lshrrev_b32_e32 v109, 16, v93
	v_cndmask_b32_e64 v107, v127, v96, s16
	v_cndmask_b32_e64 v95, v95, v96, s17
	;; [unrolled: 1-line block ×14, first 2 shown]
	v_lshrrev_b32_e32 v113, 16, v97
	v_cndmask_b32_e64 v99, v99, v89, s6
	v_cndmask_b32_e64 v104, v111, v93, s6
	;; [unrolled: 1-line block ×11, first 2 shown]
	v_lshrrev_b32_e32 v106, 16, v90
	v_lshrrev_b32_e32 v110, 16, v94
	v_cndmask_b32_e64 v93, v99, v105, s7
	v_cndmask_b32_e64 v99, v104, v109, s7
	;; [unrolled: 1-line block ×9, first 2 shown]
	v_lshrrev_b32_e32 v114, 16, v98
	v_cndmask_b32_e64 v89, v89, v113, s7
	v_cndmask_b32_e64 v93, v93, v90, s8
	;; [unrolled: 1-line block ×19, first 2 shown]
	v_perm_b32 v90, v88, v87, 0x5040100
	v_cndmask_b32_e64 v87, v126, v100, s13
	v_cndmask_b32_e64 v105, v89, v114, s9
	v_perm_b32 v89, v103, v99, 0x5040100
	v_perm_b32 v88, v104, v94, 0x5040100
	v_cndmask_b32_e64 v94, v107, v112, s18
	v_cndmask_b32_e64 v95, v95, v112, s19
	;; [unrolled: 1-line block ×5, first 2 shown]
	v_lshrrev_b32_e32 v117, 16, v101
	v_cndmask_b32_e64 v94, v94, v97, s22
	v_cndmask_b32_e64 v95, v95, v97, s23
	v_cndmask_b32_e64 v96, v96, v101, s23
	v_cndmask_b32_e64 v97, v99, v101, s22
	v_cndmask_b32_e64 v87, v87, v101, s20
	v_cndmask_b32_e64 v91, v91, v117, s7
	v_cndmask_b32_e64 v94, v94, v113, s24
	v_cndmask_b32_e64 v95, v95, v113, s25
	v_cndmask_b32_e64 v96, v96, v117, s25
	v_cndmask_b32_e64 v97, v97, v117, s24
	v_cndmask_b32_e64 v87, v87, v117, s21
	v_lshrrev_b32_e32 v118, 16, v102
	v_cndmask_b32_e64 v91, v91, v102, s8
	v_cndmask_b32_e64 v94, v94, v98, s27
	;; [unrolled: 1-line block ×12, first 2 shown]
	v_perm_b32 v87, v93, v92, 0x5040100
	v_perm_b32 v94, v95, v94, 0x5040100
	;; [unrolled: 1-line block ×5, first 2 shown]
	s_mul_i32 s8, s35, 5
	s_mov_b32 s4, exec_lo
	ds_store_b128 v78, v[87:90]
	ds_store_b128 v78, v[91:94] offset:1024
	v_cmpx_gt_u32_e32 5, v0
	s_cbranch_execz .LBB158_16
; %bb.15:
	s_mul_i32 s5, s8, s34
	s_load_b128 s[16:19], s[0:1], 0x58
	v_add3_u32 v77, s5, s33, v77
	s_delay_alu instid0(VALU_DEP_1) | instskip(NEXT) | instid1(VALU_DEP_1)
	v_mad_u64_u32 v[87:88], null, v77, s36, s[14:15]
	v_ashrrev_i32_e32 v88, 31, v87
	s_delay_alu instid0(VALU_DEP_1) | instskip(SKIP_1) | instid1(VALU_DEP_1)
	v_lshlrev_b64 v[87:88], 2, v[87:88]
	s_waitcnt lgkmcnt(0)
	v_add_co_u32 v89, vcc_lo, s18, v87
	s_delay_alu instid0(VALU_DEP_2)
	v_add_co_ci_u32_e32 v90, vcc_lo, s19, v88, vcc_lo
	v_add_co_u32 v87, vcc_lo, s16, v87
	v_add_co_ci_u32_e32 v88, vcc_lo, s17, v88, vcc_lo
	global_store_b32 v[89:90], v85, off
	global_store_b32 v[87:88], v86, off
.LBB158_16:
	s_or_b32 exec_lo, exec_lo, s4
	s_waitcnt lgkmcnt(0)
	s_waitcnt_vscnt null, 0x0
	s_barrier
	buffer_gl0_inv
	ds_load_b128 v[93:96], v79
	ds_load_b128 v[97:100], v79 offset:16
	ds_load_b128 v[105:108], v79 offset:1040
	;; [unrolled: 1-line block ×5, first 2 shown]
	v_cmp_eq_u32_e32 vcc_lo, 1, v84
	v_mov_b32_e32 v85, 0
	ds_load_b128 v[121:124], v79 offset:3088
	ds_load_b128 v[117:120], v79 offset:3072
	;; [unrolled: 1-line block ×4, first 2 shown]
	v_cmp_eq_u32_e64 s4, 1, v80
	v_cmp_eq_u32_e64 s5, 1, v83
	;; [unrolled: 1-line block ×3, first 2 shown]
	v_mov_b32_e32 v86, v85
	v_mov_b32_e32 v87, v85
	;; [unrolled: 1-line block ×7, first 2 shown]
	v_cmp_eq_u32_e64 s7, 2, v80
	s_waitcnt lgkmcnt(8)
	s_delay_alu instid0(VALU_DEP_2)
	v_wmma_f32_16x16x16_f16 v[85:92], v[65:72], v[93:100], v[85:92]
	ds_load_b128 v[69:72], v79 offset:5136
	ds_load_b128 v[65:68], v79 offset:5120
	;; [unrolled: 1-line block ×4, first 2 shown]
	s_waitcnt lgkmcnt(10)
	v_wmma_f32_16x16x16_f16 v[85:92], v[57:64], v[101:108], v[85:92]
	s_waitcnt lgkmcnt(8)
	s_delay_alu instid0(VALU_DEP_1)
	v_wmma_f32_16x16x16_f16 v[85:92], v[57:64], v[109:116], v[85:92]
	ds_load_b128 v[61:64], v79 offset:7184
	ds_load_b128 v[57:60], v79 offset:7168
	;; [unrolled: 1-line block ×4, first 2 shown]
	s_waitcnt lgkmcnt(10)
	v_wmma_f32_16x16x16_f16 v[85:92], v[49:56], v[117:124], v[85:92]
	s_waitcnt lgkmcnt(8)
	s_delay_alu instid0(VALU_DEP_1)
	v_wmma_f32_16x16x16_f16 v[85:92], v[49:56], v[125:132], v[85:92]
	ds_load_b128 v[53:56], v79 offset:9232
	ds_load_b128 v[49:52], v79 offset:9216
	s_waitcnt lgkmcnt(8)
	v_wmma_f32_16x16x16_f16 v[85:92], v[41:48], v[65:72], v[85:92]
	ds_load_b128 v[69:72], v79 offset:10256
	ds_load_b128 v[65:68], v79 offset:10240
	s_waitcnt lgkmcnt(8)
	v_wmma_f32_16x16x16_f16 v[85:92], v[41:48], v[93:100], v[85:92]
	ds_load_b128 v[45:48], v79 offset:11280
	ds_load_b128 v[41:44], v79 offset:11264
	s_waitcnt lgkmcnt(8)
	v_wmma_f32_16x16x16_f16 v[85:92], v[9:16], v[57:64], v[85:92]
	ds_load_b128 v[61:64], v79 offset:12304
	ds_load_b128 v[57:60], v79 offset:12288
	s_waitcnt lgkmcnt(8)
	v_wmma_f32_16x16x16_f16 v[85:92], v[9:16], v[101:108], v[85:92]
	ds_load_b128 v[13:16], v79 offset:13328
	ds_load_b128 v[9:12], v79 offset:13312
	s_waitcnt lgkmcnt(8)
	v_wmma_f32_16x16x16_f16 v[85:92], v[1:8], v[49:56], v[85:92]
	ds_load_b128 v[53:56], v79 offset:14352
	ds_load_b128 v[49:52], v79 offset:14336
	s_waitcnt lgkmcnt(8)
	v_wmma_f32_16x16x16_f16 v[85:92], v[1:8], v[65:72], v[85:92]
	ds_load_b128 v[5:8], v79 offset:15376
	ds_load_b128 v[1:4], v79 offset:15360
	s_waitcnt lgkmcnt(0)
	s_barrier
	buffer_gl0_inv
	v_wmma_f32_16x16x16_f16 v[85:92], v[33:40], v[41:48], v[85:92]
	s_delay_alu instid0(VALU_DEP_1) | instskip(NEXT) | instid1(VALU_DEP_1)
	v_wmma_f32_16x16x16_f16 v[85:92], v[33:40], v[57:64], v[85:92]
	v_wmma_f32_16x16x16_f16 v[85:92], v[25:32], v[9:16], v[85:92]
	s_delay_alu instid0(VALU_DEP_1) | instskip(NEXT) | instid1(VALU_DEP_1)
	v_wmma_f32_16x16x16_f16 v[85:92], v[25:32], v[49:56], v[85:92]
	v_wmma_f32_16x16x16_f16 v[85:92], v[17:24], v[1:8], v[85:92]
	s_delay_alu instid0(VALU_DEP_1) | instskip(NEXT) | instid1(VALU_DEP_2)
	v_cvt_f16_f32_e32 v1, v85
	v_cvt_f16_f32_e32 v2, v86
	s_delay_alu instid0(VALU_DEP_3) | instskip(NEXT) | instid1(VALU_DEP_4)
	v_cvt_f16_f32_e32 v3, v87
	v_cvt_f16_f32_e32 v4, v88
	;; [unrolled: 1-line block ×6, first 2 shown]
	v_pack_b32_f16 v1, v1, v2
	v_pack_b32_f16 v2, v3, v4
	;; [unrolled: 1-line block ×3, first 2 shown]
	s_delay_alu instid0(VALU_DEP_4)
	v_pack_b32_f16 v4, v7, v8
	ds_store_b128 v78, v[1:4]
	s_waitcnt lgkmcnt(0)
	s_barrier
	buffer_gl0_inv
	ds_load_b128 v[1:4], v81
	ds_load_b128 v[5:8], v81 offset:16
	s_waitcnt lgkmcnt(1)
	v_lshrrev_b32_e32 v9, 16, v1
	s_waitcnt lgkmcnt(0)
	v_lshrrev_b32_e32 v13, 16, v5
	v_lshrrev_b32_e32 v15, 16, v7
	;; [unrolled: 1-line block ×4, first 2 shown]
	v_cndmask_b32_e64 v17, v1, v9, s4
	v_cndmask_b32_e64 v18, v5, v13, s4
	;; [unrolled: 1-line block ×3, first 2 shown]
	v_cmp_eq_u32_e64 s4, 2, v82
	v_cndmask_b32_e64 v20, v5, v13, s6
	v_cndmask_b32_e32 v21, v1, v9, vcc_lo
	v_cndmask_b32_e32 v22, v5, v13, vcc_lo
	v_cndmask_b32_e64 v1, v1, v9, s5
	v_cndmask_b32_e64 v5, v5, v13, s5
	v_cmp_eq_u32_e32 vcc_lo, 2, v84
	v_cmp_eq_u32_e64 s5, 2, v83
	v_cndmask_b32_e64 v9, v17, v2, s7
	v_cndmask_b32_e64 v13, v18, v6, s7
	v_cndmask_b32_e64 v17, v19, v2, s4
	v_cndmask_b32_e64 v18, v20, v6, s4
	v_cndmask_b32_e32 v19, v21, v2, vcc_lo
	v_cmp_eq_u32_e64 s4, 3, v84
	v_cndmask_b32_e32 v20, v22, v6, vcc_lo
	v_cndmask_b32_e64 v1, v1, v2, s5
	v_cmp_eq_u32_e32 vcc_lo, 3, v83
	v_cmp_eq_u32_e64 s6, 3, v80
	v_cndmask_b32_e64 v2, v5, v6, s5
	v_cmp_eq_u32_e64 s5, 3, v82
	v_lshrrev_b32_e32 v16, 16, v8
	v_cmp_eq_u32_e64 s7, 4, v80
	v_cndmask_b32_e64 v5, v9, v10, s6
	v_cndmask_b32_e64 v6, v13, v14, s6
	;; [unrolled: 1-line block ×3, first 2 shown]
	v_cmp_eq_u32_e64 s6, 4, v82
	v_cndmask_b32_e64 v13, v18, v14, s5
	v_cndmask_b32_e64 v17, v19, v10, s4
	;; [unrolled: 1-line block ×3, first 2 shown]
	v_cndmask_b32_e32 v1, v1, v10, vcc_lo
	v_cndmask_b32_e32 v2, v2, v14, vcc_lo
	v_cmp_eq_u32_e32 vcc_lo, 4, v84
	v_cmp_eq_u32_e64 s5, 4, v83
	v_lshrrev_b32_e32 v11, 16, v3
	v_cndmask_b32_e64 v5, v5, v3, s7
	v_cndmask_b32_e64 v6, v6, v7, s7
	;; [unrolled: 1-line block ×4, first 2 shown]
	v_cndmask_b32_e32 v13, v17, v3, vcc_lo
	v_cmp_eq_u32_e64 s4, 5, v84
	v_cndmask_b32_e32 v14, v18, v7, vcc_lo
	v_cndmask_b32_e64 v1, v1, v3, s5
	v_cmp_eq_u32_e32 vcc_lo, 5, v83
	v_cmp_eq_u32_e64 s6, 5, v80
	v_cndmask_b32_e64 v2, v2, v7, s5
	v_cmp_eq_u32_e64 s5, 5, v82
	v_cmp_eq_u32_e64 s7, 6, v80
	v_cndmask_b32_e32 v1, v1, v11, vcc_lo
	v_cndmask_b32_e64 v3, v5, v11, s6
	v_cndmask_b32_e64 v5, v6, v15, s6
	;; [unrolled: 1-line block ×3, first 2 shown]
	v_cmp_eq_u32_e64 s6, 6, v82
	v_cndmask_b32_e64 v7, v10, v15, s5
	v_cndmask_b32_e64 v9, v13, v11, s4
	;; [unrolled: 1-line block ×3, first 2 shown]
	v_cndmask_b32_e32 v2, v2, v15, vcc_lo
	v_cmp_eq_u32_e32 vcc_lo, 6, v84
	v_cmp_eq_u32_e64 s4, 6, v83
	v_lshrrev_b32_e32 v12, 16, v4
	v_cndmask_b32_e64 v3, v3, v4, s7
	v_cndmask_b32_e64 v5, v5, v8, s7
	;; [unrolled: 1-line block ×4, first 2 shown]
	v_cndmask_b32_e32 v9, v9, v4, vcc_lo
	v_cmp_eq_u32_e64 s5, 7, v84
	v_cndmask_b32_e32 v10, v10, v8, vcc_lo
	v_cndmask_b32_e64 v1, v1, v4, s4
	v_cmp_eq_u32_e32 vcc_lo, 7, v83
	v_cndmask_b32_e64 v2, v2, v8, s4
	v_cmp_eq_u32_e64 s4, 7, v80
	v_cmp_eq_u32_e64 s6, 7, v82
	v_cndmask_b32_e32 v1, v1, v12, vcc_lo
	s_delay_alu instid0(VALU_DEP_4) | instskip(NEXT) | instid1(VALU_DEP_4)
	v_cndmask_b32_e32 v2, v2, v16, vcc_lo
	v_cndmask_b32_e64 v8, v3, v12, s4
	s_delay_alu instid0(VALU_DEP_4)
	v_cndmask_b32_e64 v6, v6, v12, s6
	v_cndmask_b32_e64 v3, v9, v12, s5
	;; [unrolled: 1-line block ×5, first 2 shown]
	v_cmp_gt_u32_e32 vcc_lo, 32, v0
	v_perm_b32 v4, v2, v1, 0x5040100
	v_perm_b32 v3, v9, v3, 0x5040100
	;; [unrolled: 1-line block ×4, first 2 shown]
	s_and_b32 s2, vcc_lo, s2
	ds_store_b128 v78, v[1:4]
	s_waitcnt lgkmcnt(0)
	s_barrier
	buffer_gl0_inv
	s_and_saveexec_b32 s4, s2
	s_cbranch_execz .LBB158_2
; %bb.17:
	s_load_b64 s[4:5], s[0:1], 0x68
	v_lshlrev_b32_e32 v0, 10, v0
	v_add_nc_u32_e32 v2, s33, v75
	v_lshlrev_b32_e32 v3, 4, v76
	s_lshl_b32 s0, s36, 6
	s_delay_alu instid0(SALU_CYCLE_1) | instskip(NEXT) | instid1(VALU_DEP_2)
	s_mul_i32 s1, s0, s34
	v_mul_lo_u32 v1, v2, s0
	s_delay_alu instid0(VALU_DEP_2) | instskip(SKIP_2) | instid1(SALU_CYCLE_1)
	v_and_or_b32 v0, 0x3800, v0, v3
	v_add_nc_u32_e32 v2, 2, v2
	s_mul_i32 s6, s1, s8
	s_ashr_i32 s7, s6, 31
	s_delay_alu instid0(VALU_DEP_2)
	v_lshl_or_b32 v7, v75, 6, v0
	s_lshl_b64 s[6:7], s[6:7], 1
	v_mul_lo_u32 v11, v2, s0
	v_ashrrev_i32_e32 v2, 31, v1
	ds_load_b128 v[3:6], v7
	ds_load_b128 v[7:10], v7 offset:128
	s_waitcnt lgkmcnt(0)
	s_add_u32 s1, s4, s6
	s_addc_u32 s2, s5, s7
	s_lshl_b32 s4, s14, 6
	v_ashrrev_i32_e32 v12, 31, v11
	s_ashr_i32 s5, s4, 31
	v_lshlrev_b64 v[13:14], 1, v[1:2]
	s_lshl_b64 s[4:5], s[4:5], 1
	s_delay_alu instid0(SALU_CYCLE_1) | instskip(SKIP_4) | instid1(VALU_DEP_3)
	s_add_u32 s1, s1, s4
	s_addc_u32 s2, s2, s5
	v_add_co_u32 v1, vcc_lo, s1, v73
	v_add_co_ci_u32_e32 v2, vcc_lo, s2, v74, vcc_lo
	v_lshlrev_b64 v[11:12], 1, v[11:12]
	v_add_co_u32 v13, vcc_lo, v1, v13
	s_delay_alu instid0(VALU_DEP_3) | instskip(NEXT) | instid1(VALU_DEP_3)
	v_add_co_ci_u32_e32 v14, vcc_lo, v2, v14, vcc_lo
	v_add_co_u32 v11, vcc_lo, v1, v11
	s_delay_alu instid0(VALU_DEP_4)
	v_add_co_ci_u32_e32 v12, vcc_lo, v2, v12, vcc_lo
	s_clause 0x1
	global_store_b128 v[13:14], v[3:6], off
	global_store_b128 v[11:12], v[7:10], off
	s_and_b32 exec_lo, exec_lo, s3
	s_cbranch_execz .LBB158_2
; %bb.18:
	ds_load_b128 v[3:6], v0 offset:256
	s_add_i32 s1, s33, 4
	s_delay_alu instid0(SALU_CYCLE_1) | instskip(NEXT) | instid1(SALU_CYCLE_1)
	s_mul_i32 s0, s1, s0
	s_ashr_i32 s1, s0, 31
	s_delay_alu instid0(SALU_CYCLE_1) | instskip(NEXT) | instid1(SALU_CYCLE_1)
	s_lshl_b64 s[0:1], s[0:1], 1
	v_add_co_u32 v0, vcc_lo, v1, s0
	v_add_co_ci_u32_e32 v1, vcc_lo, s1, v2, vcc_lo
	s_waitcnt lgkmcnt(0)
	global_store_b128 v[0:1], v[3:6], off
	s_nop 0
	s_sendmsg sendmsg(MSG_DEALLOC_VGPRS)
	s_endpgm
	.section	.rodata,"a",@progbits
	.p2align	6, 0x0
	.amdhsa_kernel _Z39paged_attention_ll4mi_QKV_mfma16_kernelIDF16_DF16_LN4vllm18Fp8KVCacheDataTypeE0EDF16_Li32ELi64ELi256ELb1ELi5EL8MFMAType0EEvPKT_PKT0_S8_ifPKiSA_SA_iPKfiiiPfSD_PS3_PT2_iSC_SC_
		.amdhsa_group_segment_fixed_size 17472
		.amdhsa_private_segment_fixed_size 0
		.amdhsa_kernarg_size 400
		.amdhsa_user_sgpr_count 13
		.amdhsa_user_sgpr_dispatch_ptr 0
		.amdhsa_user_sgpr_queue_ptr 0
		.amdhsa_user_sgpr_kernarg_segment_ptr 1
		.amdhsa_user_sgpr_dispatch_id 0
		.amdhsa_user_sgpr_private_segment_size 0
		.amdhsa_wavefront_size32 1
		.amdhsa_uses_dynamic_stack 0
		.amdhsa_enable_private_segment 0
		.amdhsa_system_sgpr_workgroup_id_x 1
		.amdhsa_system_sgpr_workgroup_id_y 1
		.amdhsa_system_sgpr_workgroup_id_z 1
		.amdhsa_system_sgpr_workgroup_info 0
		.amdhsa_system_vgpr_workitem_id 0
		.amdhsa_next_free_vgpr 154
		.amdhsa_next_free_sgpr 39
		.amdhsa_reserve_vcc 1
		.amdhsa_float_round_mode_32 0
		.amdhsa_float_round_mode_16_64 0
		.amdhsa_float_denorm_mode_32 3
		.amdhsa_float_denorm_mode_16_64 3
		.amdhsa_dx10_clamp 1
		.amdhsa_ieee_mode 1
		.amdhsa_fp16_overflow 0
		.amdhsa_workgroup_processor_mode 1
		.amdhsa_memory_ordered 1
		.amdhsa_forward_progress 0
		.amdhsa_shared_vgpr_count 0
		.amdhsa_exception_fp_ieee_invalid_op 0
		.amdhsa_exception_fp_denorm_src 0
		.amdhsa_exception_fp_ieee_div_zero 0
		.amdhsa_exception_fp_ieee_overflow 0
		.amdhsa_exception_fp_ieee_underflow 0
		.amdhsa_exception_fp_ieee_inexact 0
		.amdhsa_exception_int_div_zero 0
	.end_amdhsa_kernel
	.section	.text._Z39paged_attention_ll4mi_QKV_mfma16_kernelIDF16_DF16_LN4vllm18Fp8KVCacheDataTypeE0EDF16_Li32ELi64ELi256ELb1ELi5EL8MFMAType0EEvPKT_PKT0_S8_ifPKiSA_SA_iPKfiiiPfSD_PS3_PT2_iSC_SC_,"axG",@progbits,_Z39paged_attention_ll4mi_QKV_mfma16_kernelIDF16_DF16_LN4vllm18Fp8KVCacheDataTypeE0EDF16_Li32ELi64ELi256ELb1ELi5EL8MFMAType0EEvPKT_PKT0_S8_ifPKiSA_SA_iPKfiiiPfSD_PS3_PT2_iSC_SC_,comdat
.Lfunc_end158:
	.size	_Z39paged_attention_ll4mi_QKV_mfma16_kernelIDF16_DF16_LN4vllm18Fp8KVCacheDataTypeE0EDF16_Li32ELi64ELi256ELb1ELi5EL8MFMAType0EEvPKT_PKT0_S8_ifPKiSA_SA_iPKfiiiPfSD_PS3_PT2_iSC_SC_, .Lfunc_end158-_Z39paged_attention_ll4mi_QKV_mfma16_kernelIDF16_DF16_LN4vllm18Fp8KVCacheDataTypeE0EDF16_Li32ELi64ELi256ELb1ELi5EL8MFMAType0EEvPKT_PKT0_S8_ifPKiSA_SA_iPKfiiiPfSD_PS3_PT2_iSC_SC_
                                        ; -- End function
	.section	.AMDGPU.csdata,"",@progbits
; Kernel info:
; codeLenInByte = 7232
; NumSgprs: 41
; NumVgprs: 154
; ScratchSize: 0
; MemoryBound: 0
; FloatMode: 240
; IeeeMode: 1
; LDSByteSize: 17472 bytes/workgroup (compile time only)
; SGPRBlocks: 5
; VGPRBlocks: 19
; NumSGPRsForWavesPerEU: 41
; NumVGPRsForWavesPerEU: 154
; Occupancy: 9
; WaveLimiterHint : 1
; COMPUTE_PGM_RSRC2:SCRATCH_EN: 0
; COMPUTE_PGM_RSRC2:USER_SGPR: 13
; COMPUTE_PGM_RSRC2:TRAP_HANDLER: 0
; COMPUTE_PGM_RSRC2:TGID_X_EN: 1
; COMPUTE_PGM_RSRC2:TGID_Y_EN: 1
; COMPUTE_PGM_RSRC2:TGID_Z_EN: 1
; COMPUTE_PGM_RSRC2:TIDIG_COMP_CNT: 0
	.section	.text._Z39paged_attention_ll4mi_QKV_mfma16_kernelIDF16_DF16_LN4vllm18Fp8KVCacheDataTypeE0EDF16_Li32ELi64ELi256ELb1ELi6EL8MFMAType0EEvPKT_PKT0_S8_ifPKiSA_SA_iPKfiiiPfSD_PS3_PT2_iSC_SC_,"axG",@progbits,_Z39paged_attention_ll4mi_QKV_mfma16_kernelIDF16_DF16_LN4vllm18Fp8KVCacheDataTypeE0EDF16_Li32ELi64ELi256ELb1ELi6EL8MFMAType0EEvPKT_PKT0_S8_ifPKiSA_SA_iPKfiiiPfSD_PS3_PT2_iSC_SC_,comdat
	.protected	_Z39paged_attention_ll4mi_QKV_mfma16_kernelIDF16_DF16_LN4vllm18Fp8KVCacheDataTypeE0EDF16_Li32ELi64ELi256ELb1ELi6EL8MFMAType0EEvPKT_PKT0_S8_ifPKiSA_SA_iPKfiiiPfSD_PS3_PT2_iSC_SC_ ; -- Begin function _Z39paged_attention_ll4mi_QKV_mfma16_kernelIDF16_DF16_LN4vllm18Fp8KVCacheDataTypeE0EDF16_Li32ELi64ELi256ELb1ELi6EL8MFMAType0EEvPKT_PKT0_S8_ifPKiSA_SA_iPKfiiiPfSD_PS3_PT2_iSC_SC_
	.globl	_Z39paged_attention_ll4mi_QKV_mfma16_kernelIDF16_DF16_LN4vllm18Fp8KVCacheDataTypeE0EDF16_Li32ELi64ELi256ELb1ELi6EL8MFMAType0EEvPKT_PKT0_S8_ifPKiSA_SA_iPKfiiiPfSD_PS3_PT2_iSC_SC_
	.p2align	8
	.type	_Z39paged_attention_ll4mi_QKV_mfma16_kernelIDF16_DF16_LN4vllm18Fp8KVCacheDataTypeE0EDF16_Li32ELi64ELi256ELb1ELi6EL8MFMAType0EEvPKT_PKT0_S8_ifPKiSA_SA_iPKfiiiPfSD_PS3_PT2_iSC_SC_,@function
_Z39paged_attention_ll4mi_QKV_mfma16_kernelIDF16_DF16_LN4vllm18Fp8KVCacheDataTypeE0EDF16_Li32ELi64ELi256ELb1ELi6EL8MFMAType0EEvPKT_PKT0_S8_ifPKiSA_SA_iPKfiiiPfSD_PS3_PT2_iSC_SC_: ; @_Z39paged_attention_ll4mi_QKV_mfma16_kernelIDF16_DF16_LN4vllm18Fp8KVCacheDataTypeE0EDF16_Li32ELi64ELi256ELb1ELi6EL8MFMAType0EEvPKT_PKT0_S8_ifPKiSA_SA_iPKfiiiPfSD_PS3_PT2_iSC_SC_
; %bb.0:
	s_load_b64 s[2:3], s[0:1], 0x30
	s_mov_b32 s34, s13
	s_waitcnt lgkmcnt(0)
	s_cmp_lg_u64 s[2:3], 0
	s_cselect_b32 s6, -1, 0
	s_ashr_i32 s35, s13, 31
	s_cmp_eq_u64 s[2:3], 0
	s_cbranch_scc1 .LBB159_3
; %bb.1:
	s_lshl_b64 s[4:5], s[34:35], 2
	s_delay_alu instid0(SALU_CYCLE_1) | instskip(SKIP_4) | instid1(SALU_CYCLE_1)
	s_add_u32 s4, s2, s4
	s_addc_u32 s5, s3, s5
	s_load_b64 s[4:5], s[4:5], 0x0
	s_waitcnt lgkmcnt(0)
	s_sub_i32 s4, s5, s4
	s_cmp_eq_u32 s4, 1
	s_cselect_b32 s4, -1, 0
	s_delay_alu instid0(SALU_CYCLE_1)
	s_and_not1_b32 vcc_lo, exec_lo, s4
	s_cbranch_vccz .LBB159_4
.LBB159_2:
	s_endpgm
.LBB159_3:
.LBB159_4:
	s_load_b64 s[8:9], s[0:1], 0x28
	s_lshl_b64 s[4:5], s[34:35], 2
	s_waitcnt lgkmcnt(0)
	s_add_u32 s8, s8, s4
	s_addc_u32 s9, s9, s5
	s_lshl_b32 s16, s14, 8
	s_load_b32 s18, s[8:9], 0x0
	s_waitcnt lgkmcnt(0)
	s_cmp_ge_i32 s16, s18
	s_cbranch_scc1 .LBB159_2
; %bb.5:
	s_and_not1_b32 vcc_lo, exec_lo, s6
	s_cbranch_vccnz .LBB159_7
; %bb.6:
	s_add_u32 s2, s2, s4
	s_addc_u32 s3, s3, s5
	s_load_b32 s17, s[2:3], 0x0
	s_branch .LBB159_8
.LBB159_7:
	s_mov_b32 s17, s34
.LBB159_8:
	s_clause 0x2
	s_load_b128 s[8:11], s[0:1], 0x8
	s_load_b64 s[12:13], s[0:1], 0x20
	s_load_b128 s[4:7], s[0:1], 0x48
	v_and_b32_e32 v77, 15, v0
	v_cmp_lt_u32_e32 vcc_lo, 0x5f, v0
	s_delay_alu instid0(VALU_DEP_2) | instskip(SKIP_2) | instid1(VALU_DEP_3)
	v_cmp_lt_u32_e64 s3, 7, v77
	v_lshlrev_b32_e32 v1, 3, v77
	v_cmp_gt_u32_e64 s2, 8, v77
	s_or_b32 s3, vcc_lo, s3
	s_waitcnt lgkmcnt(0)
	s_and_saveexec_b32 s7, s3
	s_delay_alu instid0(SALU_CYCLE_1)
	s_xor_b32 s3, exec_lo, s7
; %bb.9:
	v_mov_b32_e32 v2, 0
; %bb.10:
	s_or_saveexec_b32 s3, s3
	v_lshrrev_b32_e32 v79, 5, v0
	v_and_b32_e32 v80, 31, v0
	v_and_b32_e32 v76, 1, v0
	v_bfe_u32 v75, v0, 4, 1
	s_mul_i32 s31, s15, 6
	s_xor_b32 exec_lo, exec_lo, s3
	s_cbranch_execz .LBB159_12
; %bb.11:
	s_load_b64 s[20:21], s[0:1], 0x0
	v_lshl_or_b32 v7, v79, 1, v75
	s_mul_hi_i32 s23, s17, s4
	s_mul_i32 s22, s17, s4
	v_lshlrev_b32_e32 v4, 1, v1
	s_lshl_b64 s[22:23], s[22:23], 1
	v_add_lshl_u32 v2, v7, s31, 6
	v_lshlrev_b32_e32 v7, 6, v7
	v_lshlrev_b32_e32 v8, 10, v76
	s_delay_alu instid0(VALU_DEP_3) | instskip(NEXT) | instid1(VALU_DEP_1)
	v_ashrrev_i32_e32 v3, 31, v2
	v_lshlrev_b64 v[2:3], 1, v[2:3]
	s_waitcnt lgkmcnt(0)
	s_add_u32 s4, s20, s22
	s_addc_u32 s7, s21, s23
	s_delay_alu instid0(VALU_DEP_1) | instskip(NEXT) | instid1(VALU_DEP_2)
	v_add_co_u32 v2, vcc_lo, s4, v2
	v_add_co_ci_u32_e32 v3, vcc_lo, s7, v3, vcc_lo
	s_delay_alu instid0(VALU_DEP_2) | instskip(NEXT) | instid1(VALU_DEP_2)
	v_add_co_u32 v2, vcc_lo, v2, v4
	v_add_co_ci_u32_e32 v3, vcc_lo, 0, v3, vcc_lo
	global_load_b128 v[3:6], v[2:3], off
	v_lshlrev_b32_e32 v2, 10, v77
	s_delay_alu instid0(VALU_DEP_1) | instskip(NEXT) | instid1(VALU_DEP_1)
	v_and_b32_e32 v2, 0x3800, v2
	v_or3_b32 v7, v2, v8, v7
	v_mov_b32_e32 v2, 0
	s_waitcnt vmcnt(0)
	ds_store_b128 v7, v[3:6]
.LBB159_12:
	s_or_b32 exec_lo, exec_lo, s3
	v_and_b32_e32 v3, 0xef, v0
	s_add_i32 s3, s18, 31
	s_clause 0x1
	s_load_b32 s4, s[0:1], 0x38
	s_load_b32 s33, s[0:1], 0x98
	s_ashr_i32 s7, s3, 31
	v_add_nc_u32_e32 v3, s16, v3
	s_lshr_b32 s7, s7, 27
	s_load_b32 s19, s[0:1], 0x1c
	s_add_i32 s3, s3, s7
	s_waitcnt lgkmcnt(0)
	v_ashrrev_i32_e32 v4, 31, v3
	v_cmp_gt_i32_e32 vcc_lo, s18, v3
	s_ashr_i32 s3, s3, 5
	s_barrier
	s_add_i32 s3, s3, -1
	v_lshrrev_b32_e32 v5, 27, v4
	v_or_b32_e32 v4, 16, v3
	buffer_gl0_inv
	s_mul_i32 s6, s15, s6
	v_lshlrev_b64 v[73:74], 1, v[1:2]
	v_add_nc_u32_e32 v6, v3, v5
	v_add_nc_u32_e32 v5, v4, v5
	s_mul_i32 s20, s34, s4
	v_lshlrev_b32_e32 v78, 6, v77
	s_ashr_i32 s21, s20, 31
	v_ashrrev_i32_e32 v6, 5, v6
	v_ashrrev_i32_e32 v5, 5, v5
	s_lshl_b64 s[20:21], s[20:21], 2
	v_lshl_or_b32 v33, v79, 10, v78
	s_add_u32 s4, s12, s20
	v_cndmask_b32_e32 v3, s3, v6, vcc_lo
	v_cmp_gt_i32_e32 vcc_lo, s18, v4
	s_addc_u32 s17, s13, s21
	s_ashr_i32 s7, s6, 31
	s_delay_alu instid0(VALU_DEP_2) | instskip(SKIP_2) | instid1(SALU_CYCLE_1)
	v_ashrrev_i32_e32 v4, 31, v3
	v_cndmask_b32_e32 v5, s3, v5, vcc_lo
	s_lshl_b64 s[6:7], s[6:7], 1
	s_add_u32 s15, s8, s6
	s_delay_alu instid0(VALU_DEP_2) | instskip(NEXT) | instid1(VALU_DEP_2)
	v_lshlrev_b64 v[3:4], 2, v[3:4]
	v_ashrrev_i32_e32 v6, 31, v5
	s_addc_u32 s28, s9, s7
	s_lshl_b32 s8, s14, 3
	s_delay_alu instid0(SALU_CYCLE_1) | instskip(NEXT) | instid1(VALU_DEP_1)
	s_ashr_i32 s9, s8, 31
	v_lshlrev_b64 v[5:6], 2, v[5:6]
	v_add_co_u32 v3, vcc_lo, s4, v3
	v_add_co_ci_u32_e32 v4, vcc_lo, s17, v4, vcc_lo
	s_lshl_b64 s[8:9], s[8:9], 2
	s_delay_alu instid0(VALU_DEP_3) | instskip(NEXT) | instid1(VALU_DEP_4)
	v_add_co_u32 v5, vcc_lo, s4, v5
	v_add_co_ci_u32_e32 v6, vcc_lo, s17, v6, vcc_lo
	s_add_u32 s8, s4, s8
	s_clause 0x1
	global_load_b32 v7, v[3:4], off
	global_load_b32 v8, v[5:6], off
	s_addc_u32 s9, s17, s9
	s_or_b32 s12, s16, 32
	s_delay_alu instid0(SALU_CYCLE_1) | instskip(SKIP_2) | instid1(SALU_CYCLE_1)
	s_ashr_i32 s13, s12, 5
	s_cmp_lt_i32 s12, s18
	s_cselect_b32 s12, s13, s3
	s_ashr_i32 s13, s12, 31
	s_delay_alu instid0(SALU_CYCLE_1) | instskip(NEXT) | instid1(SALU_CYCLE_1)
	s_lshl_b64 s[12:13], s[12:13], 2
	s_add_u32 s12, s4, s12
	s_addc_u32 s13, s17, s13
	s_or_b32 s20, s16, 64
	s_delay_alu instid0(SALU_CYCLE_1) | instskip(SKIP_2) | instid1(SALU_CYCLE_1)
	s_ashr_i32 s21, s20, 5
	s_cmp_lt_i32 s20, s18
	s_cselect_b32 s20, s21, s3
	s_ashr_i32 s21, s20, 31
	s_delay_alu instid0(SALU_CYCLE_1) | instskip(NEXT) | instid1(SALU_CYCLE_1)
	s_lshl_b64 s[20:21], s[20:21], 2
	s_add_u32 s20, s4, s20
	s_addc_u32 s21, s17, s21
	s_or_b32 s22, s16, 0x60
	s_delay_alu instid0(SALU_CYCLE_1) | instskip(SKIP_2) | instid1(SALU_CYCLE_1)
	s_ashr_i32 s23, s22, 5
	s_cmp_lt_i32 s22, s18
	s_cselect_b32 s22, s23, s3
	s_ashr_i32 s23, s22, 31
	s_delay_alu instid0(SALU_CYCLE_1) | instskip(NEXT) | instid1(SALU_CYCLE_1)
	s_lshl_b64 s[22:23], s[22:23], 2
	s_add_u32 s22, s4, s22
	s_addc_u32 s23, s17, s23
	s_or_b32 s24, s16, 0x80
	s_delay_alu instid0(SALU_CYCLE_1) | instskip(SKIP_2) | instid1(SALU_CYCLE_1)
	s_ashr_i32 s25, s24, 5
	s_cmp_lt_i32 s24, s18
	s_cselect_b32 s24, s25, s3
	s_ashr_i32 s25, s24, 31
	s_delay_alu instid0(SALU_CYCLE_1) | instskip(NEXT) | instid1(SALU_CYCLE_1)
	s_lshl_b64 s[24:25], s[24:25], 2
	s_add_u32 s24, s4, s24
	s_addc_u32 s25, s17, s25
	s_or_b32 s26, s16, 0xa0
	s_delay_alu instid0(SALU_CYCLE_1) | instskip(SKIP_2) | instid1(SALU_CYCLE_1)
	s_ashr_i32 s27, s26, 5
	s_cmp_lt_i32 s26, s18
	s_cselect_b32 s26, s27, s3
	s_ashr_i32 s27, s26, 31
	s_delay_alu instid0(SALU_CYCLE_1) | instskip(NEXT) | instid1(SALU_CYCLE_1)
	s_lshl_b64 s[26:27], s[26:27], 2
	s_add_u32 s26, s4, s26
	s_addc_u32 s27, s17, s27
	s_clause 0x5
	s_load_b32 s29, s[8:9], 0x0
	s_load_b32 s30, s[12:13], 0x0
	;; [unrolled: 1-line block ×6, first 2 shown]
	s_or_b32 s8, s16, 0xc0
	s_mov_b32 s20, 0
	s_ashr_i32 s9, s8, 5
	s_cmp_lt_i32 s8, s18
	s_mov_b32 s27, s20
	s_cselect_b32 s8, s9, s3
	s_mov_b32 s21, s20
	s_ashr_i32 s9, s8, 31
	s_mov_b32 s22, s20
	s_lshl_b64 s[8:9], s[8:9], 2
	s_mov_b32 s23, s20
	s_add_u32 s8, s4, s8
	s_mov_b32 s24, s20
	s_mov_b32 s25, s20
	;; [unrolled: 1-line block ×3, first 2 shown]
	s_addc_u32 s9, s17, s9
	v_dual_mov_b32 v128, s27 :: v_dual_mov_b32 v127, s26
	v_dual_mov_b32 v126, s25 :: v_dual_mov_b32 v125, s24
	;; [unrolled: 1-line block ×3, first 2 shown]
	v_mov_b32_e32 v121, s20
	s_waitcnt lgkmcnt(0)
	s_mul_hi_i32 s13, s29, s5
	s_mul_i32 s12, s29, s5
	v_mov_b32_e32 v122, s21
	s_mul_hi_i32 s21, s30, s5
	s_mul_i32 s20, s30, s5
	s_mul_hi_i32 s25, s35, s5
	s_mul_i32 s24, s35, s5
	;; [unrolled: 2-line block ×3, first 2 shown]
	s_mul_i32 s36, s38, s5
	s_waitcnt vmcnt(1)
	v_mad_i64_i32 v[3:4], null, v7, s5, 0
	s_waitcnt vmcnt(0)
	v_mad_i64_i32 v[5:6], null, v8, s5, 0
	s_delay_alu instid0(VALU_DEP_2) | instskip(NEXT) | instid1(VALU_DEP_2)
	v_lshlrev_b64 v[3:4], 1, v[3:4]
	v_lshlrev_b64 v[1:2], 1, v[5:6]
	s_delay_alu instid0(VALU_DEP_2) | instskip(NEXT) | instid1(VALU_DEP_3)
	v_add_co_u32 v3, vcc_lo, s15, v3
	v_add_co_ci_u32_e32 v4, vcc_lo, s28, v4, vcc_lo
	s_delay_alu instid0(VALU_DEP_3) | instskip(NEXT) | instid1(VALU_DEP_4)
	v_add_co_u32 v1, vcc_lo, s15, v1
	v_add_co_ci_u32_e32 v2, vcc_lo, s28, v2, vcc_lo
	s_delay_alu instid0(VALU_DEP_4) | instskip(NEXT) | instid1(VALU_DEP_4)
	v_add_co_u32 v25, vcc_lo, v3, v73
	v_add_co_ci_u32_e32 v26, vcc_lo, v4, v74, vcc_lo
	s_delay_alu instid0(VALU_DEP_4) | instskip(NEXT) | instid1(VALU_DEP_4)
	v_add_co_u32 v27, vcc_lo, v1, v73
	v_add_co_ci_u32_e32 v28, vcc_lo, v2, v74, vcc_lo
	s_clause 0xf
	global_load_b128 v[1:4], v[25:26], off
	global_load_b128 v[5:8], v[25:26], off offset:512
	global_load_b128 v[9:12], v[27:28], off offset:256
	;; [unrolled: 1-line block ×15, first 2 shown]
	v_mul_lo_u16 v25, v77, 43
	s_or_b32 s15, s16, 0xe0
	s_delay_alu instid0(SALU_CYCLE_1) | instskip(SKIP_1) | instid1(VALU_DEP_1)
	s_ashr_i32 s22, s15, 5
	s_cmp_lt_i32 s15, s18
	v_lshrrev_b16 v25, 8, v25
	s_cselect_b32 s22, s22, s3
	s_delay_alu instid0(SALU_CYCLE_1) | instskip(NEXT) | instid1(VALU_DEP_1)
	s_ashr_i32 s23, s22, 31
	v_mul_lo_u16 v25, v25, 6
	s_lshl_b64 s[22:23], s[22:23], 2
	s_delay_alu instid0(SALU_CYCLE_1) | instskip(SKIP_1) | instid1(VALU_DEP_1)
	s_add_u32 s22, s4, s22
	s_addc_u32 s23, s17, s23
	v_sub_nc_u16 v25, v77, v25
	s_add_i32 s15, s16, 0x100
	s_delay_alu instid0(SALU_CYCLE_1) | instskip(SKIP_1) | instid1(VALU_DEP_1)
	s_ashr_i32 s28, s15, 5
	s_cmp_lt_i32 s15, s18
	v_and_b32_e32 v25, 0xff, v25
	s_cselect_b32 s28, s28, s3
	s_delay_alu instid0(SALU_CYCLE_1) | instskip(NEXT) | instid1(VALU_DEP_1)
	s_ashr_i32 s29, s28, 31
	v_lshlrev_b32_e32 v151, 6, v25
	ds_load_b128 v[25:28], v151
	ds_load_b128 v[29:32], v151 offset:1024
	ds_load_b128 v[129:132], v151 offset:2048
	;; [unrolled: 1-line block ×3, first 2 shown]
	s_load_b32 s15, s[8:9], 0x0
	s_mul_hi_i32 s9, s37, s5
	s_lshl_b64 s[28:29], s[28:29], 2
	s_mul_i32 s8, s37, s5
	s_add_u32 s28, s4, s28
	s_addc_u32 s29, s17, s29
	s_add_u32 s3, s10, s6
	s_clause 0x1
	s_load_b32 s4, s[22:23], 0x0
	s_load_b32 s17, s[28:29], 0x0
	s_addc_u32 s28, s11, s7
	v_add_co_u32 v152, s3, s3, v33
	s_delay_alu instid0(VALU_DEP_1) | instskip(SKIP_2) | instid1(VALU_DEP_2)
	v_add_co_ci_u32_e64 v153, null, s28, 0, s3
	s_lshl_b64 s[6:7], s[12:13], 1
	s_lshl_b64 s[10:11], s[20:21], 1
	v_add_co_u32 v33, vcc_lo, v152, s6
	s_delay_alu instid0(VALU_DEP_2)
	v_add_co_ci_u32_e32 v34, vcc_lo, s7, v153, vcc_lo
	v_add_co_u32 v35, vcc_lo, v152, s10
	s_lshl_b64 s[12:13], s[24:25], 1
	v_add_co_ci_u32_e32 v36, vcc_lo, s11, v153, vcc_lo
	v_add_co_u32 v37, vcc_lo, v152, s12
	s_lshl_b64 s[20:21], s[26:27], 1
	;; [unrolled: 3-line block ×3, first 2 shown]
	s_mul_hi_i32 s37, s38, s5
	v_add_co_ci_u32_e32 v40, vcc_lo, s21, v153, vcc_lo
	v_add_co_u32 v145, vcc_lo, v152, s8
	s_lshl_b64 s[22:23], s[36:37], 1
	s_waitcnt lgkmcnt(0)
	s_mul_hi_i32 s25, s15, s5
	s_mul_i32 s24, s15, s5
	v_add_co_ci_u32_e32 v146, vcc_lo, s9, v153, vcc_lo
	v_add_co_u32 v147, vcc_lo, v152, s22
	s_lshl_b64 s[24:25], s[24:25], 1
	v_add_co_ci_u32_e32 v148, vcc_lo, s23, v153, vcc_lo
	s_mul_hi_i32 s7, s4, s5
	s_mul_i32 s6, s4, s5
	v_add_co_u32 v149, vcc_lo, v152, s24
	s_lshl_b64 s[6:7], s[6:7], 1
	v_add_co_ci_u32_e32 v150, vcc_lo, s25, v153, vcc_lo
	s_clause 0x7
	global_load_b128 v[65:68], v[33:34], off
	global_load_b128 v[69:72], v[33:34], off offset:16
	global_load_b128 v[57:60], v[35:36], off
	global_load_b128 v[61:64], v[35:36], off offset:16
	;; [unrolled: 2-line block ×4, first 2 shown]
	s_waitcnt vmcnt(22)
	v_wmma_f32_16x16x16_f16 v[137:144], v[1:8], v[25:32], v[121:128]
	s_waitcnt vmcnt(20)
	v_wmma_f32_16x16x16_f16 v[121:128], v[9:16], v[25:32], v[121:128]
	v_add_co_u32 v29, vcc_lo, v152, s6
	v_add_co_ci_u32_e32 v30, vcc_lo, s7, v153, vcc_lo
	s_mul_hi_i32 s7, s17, s5
	s_mul_i32 s6, s17, s5
	s_waitcnt vmcnt(18)
	v_wmma_f32_16x16x16_f16 v[137:144], v[17:24], v[129:136], v[137:144]
	s_lshl_b64 s[4:5], s[6:7], 1
	s_clause 0x1
	global_load_b128 v[9:12], v[145:146], off
	global_load_b128 v[13:16], v[145:146], off offset:16
	v_add_co_u32 v21, vcc_lo, v152, s4
	v_add_co_ci_u32_e32 v22, vcc_lo, s5, v153, vcc_lo
	s_clause 0x7
	global_load_b128 v[1:4], v[147:148], off
	global_load_b128 v[5:8], v[147:148], off offset:16
	global_load_b128 v[33:36], v[149:150], off
	global_load_b128 v[37:40], v[149:150], off offset:16
	;; [unrolled: 2-line block ×4, first 2 shown]
	s_waitcnt vmcnt(26)
	v_wmma_f32_16x16x16_f16 v[121:128], v[81:88], v[129:136], v[121:128]
	ds_load_b128 v[81:84], v151 offset:4096
	ds_load_b128 v[85:88], v151 offset:5120
	v_mbcnt_lo_u32_b32 v130, -1, 0
	s_delay_alu instid0(VALU_DEP_1) | instskip(NEXT) | instid1(VALU_DEP_1)
	v_xor_b32_e32 v131, 16, v130
	v_cmp_gt_i32_e32 vcc_lo, 32, v131
	v_cndmask_b32_e32 v130, v130, v131, vcc_lo
	s_waitcnt vmcnt(24) lgkmcnt(0)
	v_wmma_f32_16x16x16_f16 v[137:144], v[89:96], v[81:88], v[137:144]
	ds_load_b128 v[89:92], v151 offset:6144
	ds_load_b128 v[93:96], v151 offset:7168
	s_waitcnt vmcnt(22)
	v_wmma_f32_16x16x16_f16 v[121:128], v[97:104], v[81:88], v[121:128]
	s_waitcnt vmcnt(0) lgkmcnt(0)
	s_barrier
	buffer_gl0_inv
	v_wmma_f32_16x16x16_f16 v[137:144], v[105:112], v[89:96], v[137:144]
	v_and_b32_e32 v129, 0xe0, v0
	v_wmma_f32_16x16x16_f16 v[121:128], v[113:120], v[89:96], v[121:128]
	s_delay_alu instid0(VALU_DEP_3) | instskip(NEXT) | instid1(VALU_DEP_2)
	v_mul_f32_e32 v96, s19, v137
	v_dual_mul_f32 v102, s19, v128 :: v_dual_add_nc_u32 v129, s16, v129
	v_mul_f32_e32 v95, s19, v138
	s_delay_alu instid0(VALU_DEP_4) | instskip(NEXT) | instid1(VALU_DEP_3)
	v_dual_mul_f32 v93, s19, v140 :: v_dual_mul_f32 v108, s19, v122
	v_or_b32_e32 v129, v129, v75
	v_dual_mul_f32 v94, s19, v139 :: v_dual_mul_f32 v91, s19, v142
	v_mul_f32_e32 v106, s19, v124
	v_mul_f32_e32 v92, s19, v141
	s_delay_alu instid0(VALU_DEP_4)
	v_or_b32_e32 v131, 2, v129
	v_or_b32_e32 v132, 4, v129
	;; [unrolled: 1-line block ×3, first 2 shown]
	v_cmp_gt_i32_e32 vcc_lo, s18, v129
	v_or_b32_e32 v82, 8, v129
	v_cmp_gt_i32_e64 s3, s18, v131
	v_or_b32_e32 v83, 10, v129
	v_cmp_gt_i32_e64 s4, s18, v132
	v_cndmask_b32_e32 v96, 0xff7fffff, v96, vcc_lo
	v_cmp_gt_i32_e64 s5, s18, v81
	v_cndmask_b32_e64 v95, 0xff7fffff, v95, s3
	v_or_b32_e32 v84, 12, v129
	v_or_b32_e32 v85, 14, v129
	v_cndmask_b32_e64 v94, 0xff7fffff, v94, s4
	v_cndmask_b32_e64 v81, 0xff7fffff, v93, s5
	v_max3_f32 v93, v96, 0xff7fffff, v95
	v_cmp_gt_i32_e64 s6, s18, v82
	v_cmp_gt_i32_e64 s7, s18, v83
	v_or_b32_e32 v86, 16, v129
	v_or_b32_e32 v87, 18, v129
	v_dual_mul_f32 v89, s19, v144 :: v_dual_mul_f32 v104, s19, v126
	v_mul_f32_e32 v90, s19, v143
	v_cndmask_b32_e64 v82, 0xff7fffff, v92, s6
	v_cndmask_b32_e64 v83, 0xff7fffff, v91, s7
	v_max3_f32 v81, v93, v94, v81
	v_cmp_gt_i32_e64 s8, s18, v84
	v_cmp_gt_i32_e64 s9, s18, v85
	v_or_b32_e32 v88, 20, v129
	v_or_b32_e32 v97, 22, v129
	v_mul_f32_e32 v109, s19, v121
	v_cndmask_b32_e64 v84, 0xff7fffff, v90, s8
	v_cndmask_b32_e64 v85, 0xff7fffff, v89, s9
	v_max3_f32 v81, v81, v82, v83
	v_cmp_gt_i32_e64 s10, s18, v86
	v_cmp_gt_i32_e64 s11, s18, v87
	v_or_b32_e32 v98, 24, v129
	v_or_b32_e32 v99, 26, v129
	;; [unrolled: 8-line block ×3, first 2 shown]
	v_mul_f32_e32 v105, s19, v125
	v_cndmask_b32_e64 v84, 0xff7fffff, v107, s12
	v_cndmask_b32_e64 v85, 0xff7fffff, v106, s13
	v_max3_f32 v81, v81, v82, v83
	v_cmp_gt_i32_e64 s15, s18, v98
	v_cmp_gt_i32_e64 s16, s18, v99
	v_mul_f32_e32 v103, s19, v127
	v_cmp_gt_i32_e64 s17, s18, v100
	v_max3_f32 v81, v81, v84, v85
	v_cndmask_b32_e64 v82, 0xff7fffff, v105, s15
	v_cndmask_b32_e64 v83, 0xff7fffff, v104, s16
	v_cmp_gt_i32_e64 s18, s18, v101
	v_cndmask_b32_e64 v84, 0xff7fffff, v103, s17
	s_delay_alu instid0(VALU_DEP_3) | instskip(NEXT) | instid1(VALU_DEP_3)
	v_max3_f32 v81, v81, v82, v83
	v_cndmask_b32_e64 v85, 0xff7fffff, v102, s18
	v_lshlrev_b32_e32 v83, 2, v130
	s_delay_alu instid0(VALU_DEP_2) | instskip(SKIP_3) | instid1(VALU_DEP_1)
	v_max3_f32 v81, v81, v84, v85
	ds_bpermute_b32 v82, v83, v81
	s_waitcnt lgkmcnt(0)
	v_max_f32_e32 v82, v82, v82
	v_max_f32_e32 v81, v81, v82
	s_delay_alu instid0(VALU_DEP_1) | instskip(SKIP_2) | instid1(VALU_DEP_3)
	v_fma_f32 v82, s19, v137, -v81
	v_fma_f32 v84, s19, v138, -v81
	;; [unrolled: 1-line block ×3, first 2 shown]
	v_mul_f32_e32 v82, 0x3fb8aa3b, v82
	s_delay_alu instid0(VALU_DEP_2) | instskip(NEXT) | instid1(VALU_DEP_2)
	v_dual_mul_f32 v84, 0x3fb8aa3b, v84 :: v_dual_mul_f32 v89, 0x3fb8aa3b, v87
	v_exp_f32_e32 v82, v82
	s_delay_alu instid0(VALU_DEP_1) | instskip(SKIP_4) | instid1(VALU_DEP_2)
	v_exp_f32_e32 v84, v84
	s_waitcnt_depctr 0xfff
	v_cndmask_b32_e32 v88, 0, v82, vcc_lo
	v_cndmask_b32_e64 v87, 0, v84, s3
	s_mov_b32 s3, exec_lo
	v_add_f32_e32 v84, 0, v88
	s_delay_alu instid0(VALU_DEP_1)
	v_add_f32_e32 v84, v84, v87
	v_fma_f32 v85, s19, v139, -v81
	v_fma_f32 v82, s19, v142, -v81
	;; [unrolled: 1-line block ×5, first 2 shown]
	s_delay_alu instid0(VALU_DEP_4) | instskip(NEXT) | instid1(VALU_DEP_4)
	v_dual_mul_f32 v85, 0x3fb8aa3b, v85 :: v_dual_mul_f32 v82, 0x3fb8aa3b, v82
	v_mul_f32_e32 v86, 0x3fb8aa3b, v86
	v_fma_f32 v96, s19, v124, -v81
	v_fma_f32 v99, s19, v127, -v81
	s_delay_alu instid0(VALU_DEP_4) | instskip(SKIP_4) | instid1(VALU_DEP_2)
	v_exp_f32_e32 v85, v85
	v_exp_f32_e32 v82, v82
	;; [unrolled: 1-line block ×3, first 2 shown]
	v_mul_f32_e32 v95, 0x3fb8aa3b, v94
	v_mul_f32_e32 v97, 0x3fb8aa3b, v96
	v_exp_f32_e32 v95, v95
	s_delay_alu instid0(VALU_DEP_1) | instskip(SKIP_2) | instid1(VALU_DEP_2)
	v_exp_f32_e32 v97, v97
	v_cndmask_b32_e64 v90, 0, v85, s4
	v_fma_f32 v85, s19, v144, -v81
	v_add_f32_e32 v84, v84, v90
	v_exp_f32_e32 v92, v89
	v_cndmask_b32_e64 v89, 0, v86, s5
	v_mul_f32_e32 v91, 0x3fb8aa3b, v91
	v_fma_f32 v86, s19, v121, -v81
	v_mul_f32_e32 v85, 0x3fb8aa3b, v85
	v_cndmask_b32_e64 v95, 0, v95, s11
	v_add_f32_e32 v84, v84, v89
	v_exp_f32_e32 v93, v91
	v_mul_f32_e32 v86, 0x3fb8aa3b, v86
	v_exp_f32_e32 v85, v85
	v_cndmask_b32_e64 v92, 0, v92, s6
	v_cndmask_b32_e64 v91, 0, v82, s7
	v_cndmask_b32_e64 v97, 0, v97, s13
	v_exp_f32_e32 v86, v86
	s_delay_alu instid0(VALU_DEP_3) | instskip(SKIP_1) | instid1(TRANS32_DEP_3)
	v_add_f32_e32 v82, v84, v92
	v_fma_f32 v84, s19, v123, -v81
	v_cndmask_b32_e64 v94, 0, v93, s8
	s_delay_alu instid0(TRANS32_DEP_2) | instskip(SKIP_1) | instid1(VALU_DEP_4)
	v_cndmask_b32_e64 v93, 0, v85, s9
	v_fma_f32 v85, s19, v125, -v81
	v_mul_f32_e32 v84, 0x3fb8aa3b, v84
	v_add_f32_e32 v82, v82, v91
	s_delay_alu instid0(TRANS32_DEP_1) | instskip(SKIP_3) | instid1(VALU_DEP_2)
	v_cndmask_b32_e64 v96, 0, v86, s10
	v_fma_f32 v86, s19, v126, -v81
	v_mul_f32_e32 v85, 0x3fb8aa3b, v85
	v_exp_f32_e32 v84, v84
	v_mul_f32_e32 v86, 0x3fb8aa3b, v86
	s_delay_alu instid0(VALU_DEP_2) | instskip(NEXT) | instid1(VALU_DEP_1)
	v_exp_f32_e32 v85, v85
	v_exp_f32_e32 v86, v86
	s_delay_alu instid0(TRANS32_DEP_3)
	v_cndmask_b32_e64 v98, 0, v84, s12
	v_mul_f32_e32 v84, 0x3fb8aa3b, v99
	v_fma_f32 v99, s19, v128, -v81
	v_add_f32_e32 v82, v82, v94
	s_waitcnt_depctr 0xfff
	v_cndmask_b32_e64 v100, 0, v85, s15
	v_exp_f32_e32 v84, v84
	v_dual_mul_f32 v85, 0x3fb8aa3b, v99 :: v_dual_add_f32 v82, v82, v93
	v_cndmask_b32_e64 v99, 0, v86, s16
	s_delay_alu instid0(VALU_DEP_2) | instskip(NEXT) | instid1(VALU_DEP_2)
	v_exp_f32_e32 v85, v85
	v_add_f32_e32 v82, v82, v96
	s_waitcnt_depctr 0xfff
	v_cndmask_b32_e64 v102, 0, v84, s17
	v_add_f32_e32 v82, v82, v95
	v_cndmask_b32_e64 v101, 0, v85, s18
	s_delay_alu instid0(VALU_DEP_2) | instskip(NEXT) | instid1(VALU_DEP_1)
	v_add_f32_e32 v82, v82, v98
	v_add_f32_e32 v82, v82, v97
	s_delay_alu instid0(VALU_DEP_1) | instskip(NEXT) | instid1(VALU_DEP_1)
	v_add_f32_e32 v82, v82, v100
	v_add_f32_e32 v82, v82, v99
	s_delay_alu instid0(VALU_DEP_1) | instskip(NEXT) | instid1(VALU_DEP_1)
	v_add_f32_e32 v82, v82, v102
	v_add_f32_e32 v82, v82, v101
	ds_bpermute_b32 v83, v83, v82
	v_cmpx_gt_u32_e32 16, v80
	s_cbranch_execz .LBB159_14
; %bb.13:
	v_mul_u32_u24_e32 v80, 0x44, v79
	s_waitcnt lgkmcnt(0)
	v_add_f32_e32 v82, v82, v83
	s_delay_alu instid0(VALU_DEP_2) | instskip(NEXT) | instid1(VALU_DEP_1)
	v_lshl_add_u32 v80, v77, 2, v80
	v_add_nc_u32_e32 v80, 0x4000, v80
	ds_store_2addr_b32 v80, v81, v82 offset1:136
.LBB159_14:
	s_or_b32 exec_lo, exec_lo, s3
	v_lshlrev_b32_e32 v80, 2, v77
	s_load_b32 s35, s[0:1], 0x94
	s_waitcnt lgkmcnt(0)
	s_barrier
	buffer_gl0_inv
	v_add_nc_u32_e32 v84, 0x4000, v80
	v_cmp_eq_u32_e32 vcc_lo, 1, v79
	v_cmp_eq_u32_e64 s3, 2, v79
	v_cmp_eq_u32_e64 s4, 3, v79
	v_cmp_eq_u32_e64 s5, 5, v79
	ds_load_2addr_b32 v[80:81], v84 offset1:17
	ds_load_2addr_b32 v[82:83], v84 offset0:34 offset1:51
	ds_load_2addr_b32 v[103:104], v84 offset0:68 offset1:85
	;; [unrolled: 1-line block ×3, first 2 shown]
	v_cmp_eq_u32_e64 s6, 7, v79
	s_waitcnt lgkmcnt(3)
	v_max3_f32 v85, v80, 0xff7fffff, v81
	s_waitcnt lgkmcnt(2)
	s_delay_alu instid0(VALU_DEP_1) | instskip(SKIP_1) | instid1(VALU_DEP_1)
	v_max3_f32 v85, v85, v82, v83
	s_waitcnt lgkmcnt(1)
	v_max3_f32 v85, v85, v103, v104
	s_waitcnt lgkmcnt(0)
	s_delay_alu instid0(VALU_DEP_1) | instskip(NEXT) | instid1(VALU_DEP_1)
	v_max3_f32 v85, v85, v105, v106
	v_sub_f32_e32 v103, v103, v85
	ds_load_2addr_b32 v[107:108], v84 offset0:136 offset1:153
	v_sub_f32_e32 v80, v80, v85
	v_dual_sub_f32 v110, v83, v85 :: v_dual_mul_f32 v113, 0x3fb8aa3b, v103
	s_delay_alu instid0(VALU_DEP_2) | instskip(SKIP_3) | instid1(VALU_DEP_1)
	v_dual_sub_f32 v86, v81, v85 :: v_dual_mul_f32 v109, 0x3fb8aa3b, v80
	ds_load_2addr_b32 v[80:81], v84 offset0:170 offset1:187
	v_mul_f32_e32 v86, 0x3fb8aa3b, v86
	v_exp_f32_e32 v109, v109
	v_exp_f32_e32 v112, v86
	v_mul_f32_e32 v110, 0x3fb8aa3b, v110
	s_waitcnt lgkmcnt(1)
	s_waitcnt_depctr 0xfff
	v_fma_f32 v86, v109, v107, 0
	v_sub_f32_e32 v107, v104, v85
	v_sub_f32_e32 v82, v82, v85
	v_exp_f32_e32 v110, v110
	ds_load_2addr_b32 v[103:104], v84 offset0:238 offset1:255
	v_dual_fmac_f32 v86, v112, v108 :: v_dual_mul_f32 v111, 0x3fb8aa3b, v82
	ds_load_2addr_b32 v[82:83], v84 offset0:204 offset1:221
	v_dual_sub_f32 v84, v105, v85 :: v_dual_mul_f32 v105, 0x3fb8aa3b, v107
	v_exp_f32_e32 v107, v113
	v_exp_f32_e32 v111, v111
	s_waitcnt lgkmcnt(0)
	s_delay_alu instid0(VALU_DEP_1)
	v_mul_f32_e32 v84, 0x3fb8aa3b, v84
	v_exp_f32_e32 v105, v105
	s_barrier
	buffer_gl0_inv
	v_fmac_f32_e32 v86, v111, v80
	v_sub_f32_e32 v80, v106, v85
	v_exp_f32_e32 v106, v84
	s_delay_alu instid0(VALU_DEP_2) | instskip(NEXT) | instid1(VALU_DEP_2)
	v_fmac_f32_e32 v86, v110, v81
	v_mul_f32_e32 v80, 0x3fb8aa3b, v80
	s_delay_alu instid0(VALU_DEP_2) | instskip(NEXT) | instid1(VALU_DEP_2)
	v_dual_cndmask_b32 v81, v109, v112 :: v_dual_fmac_f32 v86, v107, v82
	v_exp_f32_e32 v108, v80
	s_delay_alu instid0(VALU_DEP_1) | instskip(SKIP_2) | instid1(VALU_DEP_1)
	v_fmac_f32_e32 v86, v105, v83
	s_waitcnt_depctr 0xfff
	v_fmac_f32_e32 v86, v106, v103
	v_fmac_f32_e32 v86, v108, v104
	s_delay_alu instid0(VALU_DEP_1) | instskip(NEXT) | instid1(VALU_DEP_1)
	v_add_f32_e32 v103, 0x358637bd, v86
	v_div_scale_f32 v104, null, v103, v103, 1.0
	v_div_scale_f32 v109, vcc_lo, 1.0, v103, 1.0
	s_delay_alu instid0(VALU_DEP_2) | instskip(SKIP_2) | instid1(VALU_DEP_1)
	v_rcp_f32_e32 v113, v104
	s_waitcnt_depctr 0xfff
	v_fma_f32 v80, -v104, v113, 1.0
	v_fmac_f32_e32 v113, v80, v113
	v_cndmask_b32_e64 v80, v81, v111, s3
	v_cmp_eq_u32_e64 s3, 4, v79
	v_lshl_or_b32 v81, v79, 11, v78
	s_delay_alu instid0(VALU_DEP_4) | instskip(NEXT) | instid1(VALU_DEP_4)
	v_mul_f32_e32 v111, v109, v113
	v_cndmask_b32_e64 v82, v80, v110, s4
	v_cmp_eq_u32_e64 s4, 6, v79
	s_delay_alu instid0(VALU_DEP_4) | instskip(SKIP_3) | instid1(VALU_DEP_3)
	v_lshl_or_b32 v79, v75, 4, v81
	v_lshlrev_b32_e32 v80, 2, v75
	v_fma_f32 v83, -v104, v111, v109
	v_cndmask_b32_e64 v84, v82, v107, s3
	v_or_b32_e32 v82, 1, v80
	s_delay_alu instid0(VALU_DEP_3) | instskip(NEXT) | instid1(VALU_DEP_3)
	v_fmac_f32_e32 v111, v83, v113
	v_cndmask_b32_e64 v105, v84, v105, s5
	v_or_b32_e32 v84, 2, v80
	v_or_b32_e32 v83, 3, v80
	v_cmp_eq_u32_e64 s3, 1, v80
	v_fma_f32 v104, -v104, v111, v109
	v_cndmask_b32_e64 v105, v105, v106, s4
	v_cmp_eq_u32_e64 s9, 1, v82
	v_cmp_eq_u32_e64 s10, 1, v84
	v_cmp_eq_u32_e64 s11, 1, v83
	v_div_fmas_f32 v104, v104, v113, v111
	v_cndmask_b32_e64 v105, v105, v108, s6
	v_cmp_eq_u32_e32 vcc_lo, 2, v80
	v_cmp_eq_u32_e64 s12, 2, v82
	v_cmp_eq_u32_e64 s15, 2, v84
	v_div_fixup_f32 v103, v104, v103, 1.0
	v_cmp_eq_u32_e64 s16, 2, v83
	v_cmp_eq_u32_e64 s18, 3, v83
	;; [unrolled: 1-line block ×4, first 2 shown]
	v_mul_f32_e32 v111, v105, v103
	v_cmp_eq_u32_e64 s17, 3, v84
	v_cmp_eq_u32_e64 s22, 4, v83
	;; [unrolled: 1-line block ×4, first 2 shown]
	v_fma_mixlo_f16 v103, v111, v88, 0
	v_fma_mixlo_f16 v104, v111, v90, 0
	;; [unrolled: 1-line block ×8, first 2 shown]
	v_fma_mixhi_f16 v103, v111, v87, 0
	v_fma_mixhi_f16 v104, v111, v89, 0
	;; [unrolled: 1-line block ×8, first 2 shown]
	ds_store_b128 v79, v[103:106]
	ds_store_b128 v79, v[107:110] offset:1024
	s_waitcnt lgkmcnt(0)
	s_barrier
	buffer_gl0_inv
	ds_load_b128 v[87:90], v81
	ds_load_b128 v[91:94], v81 offset:16
	ds_load_b128 v[95:98], v81 offset:1024
	;; [unrolled: 1-line block ×3, first 2 shown]
	v_cmp_eq_u32_e64 s21, 4, v84
	v_cmp_eq_u32_e64 s24, 5, v83
	;; [unrolled: 1-line block ×13, first 2 shown]
	s_waitcnt lgkmcnt(3)
	v_lshrrev_b32_e32 v103, 16, v87
	s_waitcnt lgkmcnt(2)
	v_lshrrev_b32_e32 v107, 16, v91
	;; [unrolled: 2-line block ×4, first 2 shown]
	v_lshrrev_b32_e32 v104, 16, v88
	v_cndmask_b32_e64 v119, v87, v103, s3
	v_cndmask_b32_e64 v120, v91, v107, s3
	;; [unrolled: 1-line block ×8, first 2 shown]
	v_lshrrev_b32_e32 v108, 16, v92
	v_cndmask_b32_e64 v103, v95, v111, s3
	v_cndmask_b32_e64 v107, v99, v115, s3
	v_cndmask_b32_e64 v125, v95, v111, s9
	v_cndmask_b32_e64 v127, v95, v111, s10
	v_cndmask_b32_e64 v95, v95, v111, s11
	v_cndmask_b32_e32 v111, v119, v88, vcc_lo
	v_cndmask_b32_e64 v119, v121, v88, s12
	v_cndmask_b32_e64 v121, v123, v88, s15
	;; [unrolled: 1-line block ×4, first 2 shown]
	v_lshrrev_b32_e32 v112, 16, v96
	v_lshrrev_b32_e32 v116, 16, v100
	v_cndmask_b32_e64 v126, v99, v115, s9
	v_cndmask_b32_e64 v128, v99, v115, s10
	;; [unrolled: 1-line block ×3, first 2 shown]
	v_cndmask_b32_e32 v115, v120, v92, vcc_lo
	v_cndmask_b32_e64 v120, v122, v92, s12
	v_cndmask_b32_e64 v122, v124, v92, s15
	v_cndmask_b32_e32 v91, v103, v96, vcc_lo
	v_cndmask_b32_e32 v92, v107, v100, vcc_lo
	v_cndmask_b32_e64 v103, v125, v96, s12
	v_cndmask_b32_e64 v87, v87, v104, s18
	;; [unrolled: 1-line block ×3, first 2 shown]
	v_lshrrev_b32_e32 v105, 16, v89
	v_lshrrev_b32_e32 v109, 16, v93
	v_cndmask_b32_e64 v107, v127, v96, s15
	v_cndmask_b32_e64 v95, v95, v96, s16
	;; [unrolled: 1-line block ×14, first 2 shown]
	v_lshrrev_b32_e32 v113, 16, v97
	v_cndmask_b32_e64 v99, v99, v89, s5
	v_cndmask_b32_e64 v104, v111, v93, s5
	;; [unrolled: 1-line block ×11, first 2 shown]
	v_lshrrev_b32_e32 v106, 16, v90
	v_lshrrev_b32_e32 v110, 16, v94
	v_cndmask_b32_e64 v93, v99, v105, s6
	v_cndmask_b32_e64 v99, v104, v109, s6
	;; [unrolled: 1-line block ×9, first 2 shown]
	v_lshrrev_b32_e32 v114, 16, v98
	v_cndmask_b32_e64 v89, v89, v113, s6
	v_cndmask_b32_e64 v93, v93, v90, s7
	;; [unrolled: 1-line block ×19, first 2 shown]
	v_perm_b32 v90, v88, v87, 0x5040100
	v_cndmask_b32_e64 v87, v126, v100, s12
	v_cndmask_b32_e64 v105, v89, v114, s8
	v_perm_b32 v89, v103, v99, 0x5040100
	v_perm_b32 v88, v104, v94, 0x5040100
	v_cndmask_b32_e64 v94, v107, v112, s17
	v_cndmask_b32_e64 v95, v95, v112, s18
	;; [unrolled: 1-line block ×5, first 2 shown]
	v_lshrrev_b32_e32 v117, 16, v101
	v_cndmask_b32_e64 v94, v94, v97, s21
	v_cndmask_b32_e64 v95, v95, v97, s22
	;; [unrolled: 1-line block ×11, first 2 shown]
	v_lshrrev_b32_e32 v118, 16, v102
	v_cndmask_b32_e64 v91, v91, v102, s7
	v_cndmask_b32_e64 v94, v94, v98, s26
	;; [unrolled: 1-line block ×12, first 2 shown]
	v_perm_b32 v87, v93, v92, 0x5040100
	v_perm_b32 v94, v95, v94, 0x5040100
	;; [unrolled: 1-line block ×5, first 2 shown]
	s_mul_i32 s7, s33, 6
	s_mov_b32 s3, exec_lo
	ds_store_b128 v79, v[87:90]
	ds_store_b128 v79, v[91:94] offset:1024
	v_cmpx_gt_u32_e32 6, v0
	s_cbranch_execz .LBB159_16
; %bb.15:
	s_mul_i32 s4, s7, s34
	s_load_b128 s[8:11], s[0:1], 0x58
	v_add3_u32 v77, s4, s31, v77
	s_delay_alu instid0(VALU_DEP_1) | instskip(NEXT) | instid1(VALU_DEP_1)
	v_mad_u64_u32 v[87:88], null, v77, s35, s[14:15]
	v_ashrrev_i32_e32 v88, 31, v87
	s_delay_alu instid0(VALU_DEP_1) | instskip(SKIP_1) | instid1(VALU_DEP_1)
	v_lshlrev_b64 v[87:88], 2, v[87:88]
	s_waitcnt lgkmcnt(0)
	v_add_co_u32 v89, vcc_lo, s10, v87
	s_delay_alu instid0(VALU_DEP_2)
	v_add_co_ci_u32_e32 v90, vcc_lo, s11, v88, vcc_lo
	v_add_co_u32 v87, vcc_lo, s8, v87
	v_add_co_ci_u32_e32 v88, vcc_lo, s9, v88, vcc_lo
	global_store_b32 v[89:90], v85, off
	global_store_b32 v[87:88], v86, off
.LBB159_16:
	s_or_b32 exec_lo, exec_lo, s3
	s_waitcnt lgkmcnt(0)
	s_waitcnt_vscnt null, 0x0
	s_barrier
	buffer_gl0_inv
	ds_load_b128 v[93:96], v78
	ds_load_b128 v[97:100], v78 offset:16
	ds_load_b128 v[105:108], v78 offset:1040
	;; [unrolled: 1-line block ×5, first 2 shown]
	v_cmp_eq_u32_e32 vcc_lo, 1, v84
	v_mov_b32_e32 v85, 0
	ds_load_b128 v[121:124], v78 offset:3088
	ds_load_b128 v[117:120], v78 offset:3072
	;; [unrolled: 1-line block ×4, first 2 shown]
	v_cmp_eq_u32_e64 s3, 1, v80
	v_cmp_eq_u32_e64 s4, 1, v83
	;; [unrolled: 1-line block ×3, first 2 shown]
	v_mov_b32_e32 v86, v85
	v_mov_b32_e32 v87, v85
	;; [unrolled: 1-line block ×7, first 2 shown]
	v_cmp_eq_u32_e64 s6, 2, v80
	s_waitcnt lgkmcnt(8)
	s_delay_alu instid0(VALU_DEP_2)
	v_wmma_f32_16x16x16_f16 v[85:92], v[65:72], v[93:100], v[85:92]
	ds_load_b128 v[69:72], v78 offset:5136
	ds_load_b128 v[65:68], v78 offset:5120
	;; [unrolled: 1-line block ×4, first 2 shown]
	s_waitcnt lgkmcnt(10)
	v_wmma_f32_16x16x16_f16 v[85:92], v[57:64], v[101:108], v[85:92]
	s_waitcnt lgkmcnt(8)
	s_delay_alu instid0(VALU_DEP_1)
	v_wmma_f32_16x16x16_f16 v[85:92], v[57:64], v[109:116], v[85:92]
	ds_load_b128 v[61:64], v78 offset:7184
	ds_load_b128 v[57:60], v78 offset:7168
	;; [unrolled: 1-line block ×4, first 2 shown]
	s_waitcnt lgkmcnt(10)
	v_wmma_f32_16x16x16_f16 v[85:92], v[49:56], v[117:124], v[85:92]
	s_waitcnt lgkmcnt(8)
	s_delay_alu instid0(VALU_DEP_1)
	v_wmma_f32_16x16x16_f16 v[85:92], v[49:56], v[125:132], v[85:92]
	ds_load_b128 v[53:56], v78 offset:9232
	ds_load_b128 v[49:52], v78 offset:9216
	s_waitcnt lgkmcnt(8)
	v_wmma_f32_16x16x16_f16 v[85:92], v[41:48], v[65:72], v[85:92]
	ds_load_b128 v[69:72], v78 offset:10256
	ds_load_b128 v[65:68], v78 offset:10240
	s_waitcnt lgkmcnt(8)
	;; [unrolled: 4-line block ×7, first 2 shown]
	s_barrier
	buffer_gl0_inv
	v_wmma_f32_16x16x16_f16 v[85:92], v[33:40], v[41:48], v[85:92]
	s_delay_alu instid0(VALU_DEP_1) | instskip(NEXT) | instid1(VALU_DEP_1)
	v_wmma_f32_16x16x16_f16 v[85:92], v[33:40], v[57:64], v[85:92]
	v_wmma_f32_16x16x16_f16 v[85:92], v[25:32], v[9:16], v[85:92]
	s_delay_alu instid0(VALU_DEP_1) | instskip(NEXT) | instid1(VALU_DEP_1)
	v_wmma_f32_16x16x16_f16 v[85:92], v[25:32], v[49:56], v[85:92]
	v_wmma_f32_16x16x16_f16 v[85:92], v[17:24], v[1:8], v[85:92]
	s_delay_alu instid0(VALU_DEP_1) | instskip(NEXT) | instid1(VALU_DEP_2)
	v_cvt_f16_f32_e32 v1, v85
	v_cvt_f16_f32_e32 v2, v86
	s_delay_alu instid0(VALU_DEP_3) | instskip(NEXT) | instid1(VALU_DEP_4)
	v_cvt_f16_f32_e32 v3, v87
	v_cvt_f16_f32_e32 v4, v88
	;; [unrolled: 1-line block ×6, first 2 shown]
	v_pack_b32_f16 v1, v1, v2
	v_pack_b32_f16 v2, v3, v4
	;; [unrolled: 1-line block ×3, first 2 shown]
	s_delay_alu instid0(VALU_DEP_4)
	v_pack_b32_f16 v4, v7, v8
	ds_store_b128 v79, v[1:4]
	s_waitcnt lgkmcnt(0)
	s_barrier
	buffer_gl0_inv
	ds_load_b128 v[1:4], v81
	ds_load_b128 v[5:8], v81 offset:16
	s_waitcnt lgkmcnt(1)
	v_lshrrev_b32_e32 v9, 16, v1
	s_waitcnt lgkmcnt(0)
	v_lshrrev_b32_e32 v13, 16, v5
	v_lshrrev_b32_e32 v15, 16, v7
	;; [unrolled: 1-line block ×4, first 2 shown]
	v_cndmask_b32_e64 v17, v1, v9, s3
	v_cndmask_b32_e64 v18, v5, v13, s3
	;; [unrolled: 1-line block ×3, first 2 shown]
	v_cmp_eq_u32_e64 s3, 2, v82
	v_cndmask_b32_e64 v20, v5, v13, s5
	v_cndmask_b32_e32 v21, v1, v9, vcc_lo
	v_cndmask_b32_e32 v22, v5, v13, vcc_lo
	v_cndmask_b32_e64 v1, v1, v9, s4
	v_cndmask_b32_e64 v5, v5, v13, s4
	v_cmp_eq_u32_e32 vcc_lo, 2, v84
	v_cmp_eq_u32_e64 s4, 2, v83
	v_cndmask_b32_e64 v9, v17, v2, s6
	v_cndmask_b32_e64 v13, v18, v6, s6
	;; [unrolled: 1-line block ×4, first 2 shown]
	v_cndmask_b32_e32 v19, v21, v2, vcc_lo
	v_cmp_eq_u32_e64 s3, 3, v84
	v_cndmask_b32_e32 v20, v22, v6, vcc_lo
	v_cndmask_b32_e64 v1, v1, v2, s4
	v_cmp_eq_u32_e32 vcc_lo, 3, v83
	v_cmp_eq_u32_e64 s5, 3, v80
	v_cndmask_b32_e64 v2, v5, v6, s4
	v_cmp_eq_u32_e64 s4, 3, v82
	v_lshrrev_b32_e32 v16, 16, v8
	v_cmp_eq_u32_e64 s6, 4, v80
	v_cndmask_b32_e64 v5, v9, v10, s5
	v_cndmask_b32_e64 v6, v13, v14, s5
	;; [unrolled: 1-line block ×3, first 2 shown]
	v_cmp_eq_u32_e64 s5, 4, v82
	v_cndmask_b32_e64 v13, v18, v14, s4
	v_cndmask_b32_e64 v17, v19, v10, s3
	;; [unrolled: 1-line block ×3, first 2 shown]
	v_cndmask_b32_e32 v1, v1, v10, vcc_lo
	v_cndmask_b32_e32 v2, v2, v14, vcc_lo
	v_cmp_eq_u32_e32 vcc_lo, 4, v84
	v_cmp_eq_u32_e64 s4, 4, v83
	v_lshrrev_b32_e32 v11, 16, v3
	v_cndmask_b32_e64 v5, v5, v3, s6
	v_cndmask_b32_e64 v6, v6, v7, s6
	;; [unrolled: 1-line block ×4, first 2 shown]
	v_cndmask_b32_e32 v13, v17, v3, vcc_lo
	v_cmp_eq_u32_e64 s3, 5, v84
	v_cndmask_b32_e32 v14, v18, v7, vcc_lo
	v_cndmask_b32_e64 v1, v1, v3, s4
	v_cmp_eq_u32_e32 vcc_lo, 5, v83
	v_cmp_eq_u32_e64 s5, 5, v80
	v_cndmask_b32_e64 v2, v2, v7, s4
	v_cmp_eq_u32_e64 s4, 5, v82
	v_cmp_eq_u32_e64 s6, 6, v80
	v_cndmask_b32_e32 v1, v1, v11, vcc_lo
	v_cndmask_b32_e64 v3, v5, v11, s5
	v_cndmask_b32_e64 v5, v6, v15, s5
	;; [unrolled: 1-line block ×3, first 2 shown]
	v_cmp_eq_u32_e64 s5, 6, v82
	v_cndmask_b32_e64 v7, v10, v15, s4
	v_cndmask_b32_e64 v9, v13, v11, s3
	;; [unrolled: 1-line block ×3, first 2 shown]
	v_cndmask_b32_e32 v2, v2, v15, vcc_lo
	v_cmp_eq_u32_e32 vcc_lo, 6, v84
	v_cmp_eq_u32_e64 s3, 6, v83
	v_lshrrev_b32_e32 v12, 16, v4
	v_cndmask_b32_e64 v3, v3, v4, s6
	v_cndmask_b32_e64 v5, v5, v8, s6
	;; [unrolled: 1-line block ×4, first 2 shown]
	v_cndmask_b32_e32 v9, v9, v4, vcc_lo
	v_cmp_eq_u32_e64 s4, 7, v84
	v_cndmask_b32_e32 v10, v10, v8, vcc_lo
	v_cndmask_b32_e64 v1, v1, v4, s3
	v_cmp_eq_u32_e32 vcc_lo, 7, v83
	v_cndmask_b32_e64 v2, v2, v8, s3
	v_cmp_eq_u32_e64 s3, 7, v80
	v_cmp_eq_u32_e64 s5, 7, v82
	v_cndmask_b32_e32 v1, v1, v12, vcc_lo
	s_delay_alu instid0(VALU_DEP_4) | instskip(NEXT) | instid1(VALU_DEP_4)
	v_cndmask_b32_e32 v2, v2, v16, vcc_lo
	v_cndmask_b32_e64 v8, v3, v12, s3
	s_delay_alu instid0(VALU_DEP_4)
	v_cndmask_b32_e64 v6, v6, v12, s5
	v_cndmask_b32_e64 v3, v9, v12, s4
	;; [unrolled: 1-line block ×5, first 2 shown]
	v_cmp_gt_u32_e32 vcc_lo, 32, v0
	v_perm_b32 v4, v2, v1, 0x5040100
	v_perm_b32 v3, v9, v3, 0x5040100
	;; [unrolled: 1-line block ×4, first 2 shown]
	s_and_b32 s2, vcc_lo, s2
	ds_store_b128 v79, v[1:4]
	s_waitcnt lgkmcnt(0)
	s_barrier
	buffer_gl0_inv
	s_and_saveexec_b32 s3, s2
	s_cbranch_execz .LBB159_2
; %bb.17:
	s_load_b64 s[0:1], s[0:1], 0x68
	s_lshl_b32 s4, s35, 6
	v_or_b32_e32 v3, s31, v75
	s_mul_i32 s2, s4, s34
	v_lshlrev_b32_e32 v0, 10, v0
	s_mul_i32 s2, s2, s7
	v_lshlrev_b32_e32 v1, 4, v76
	s_ashr_i32 s3, s2, 31
	v_mul_lo_u32 v12, v3, s4
	s_lshl_b64 s[2:3], s[2:3], 1
	v_lshlrev_b32_e32 v2, 6, v75
	v_and_b32_e32 v0, 0x3800, v0
	s_delay_alu instid0(VALU_DEP_1) | instskip(NEXT) | instid1(VALU_DEP_4)
	v_or3_b32 v8, v0, v1, v2
	v_ashrrev_i32_e32 v13, 31, v12
	ds_load_b128 v[0:3], v8
	ds_load_b128 v[4:7], v8 offset:128
	ds_load_b128 v[8:11], v8 offset:256
	s_waitcnt lgkmcnt(0)
	s_add_u32 s2, s0, s2
	s_addc_u32 s3, s1, s3
	s_lshl_b32 s0, s14, 6
	s_delay_alu instid0(SALU_CYCLE_1) | instskip(NEXT) | instid1(SALU_CYCLE_1)
	s_ashr_i32 s1, s0, 31
	s_lshl_b64 s[0:1], s[0:1], 1
	s_delay_alu instid0(SALU_CYCLE_1)
	s_add_u32 s0, s2, s0
	s_addc_u32 s1, s3, s1
	s_lshl_b32 s2, s35, 7
	v_add_co_u32 v18, vcc_lo, s0, v73
	v_add_nc_u32_e32 v14, s2, v12
	v_lshlrev_b64 v[12:13], 1, v[12:13]
	v_add_co_ci_u32_e32 v19, vcc_lo, s1, v74, vcc_lo
	s_delay_alu instid0(VALU_DEP_3) | instskip(SKIP_1) | instid1(VALU_DEP_4)
	v_add_nc_u32_e32 v16, s2, v14
	v_ashrrev_i32_e32 v15, 31, v14
	v_add_co_u32 v12, vcc_lo, v18, v12
	s_delay_alu instid0(VALU_DEP_4) | instskip(NEXT) | instid1(VALU_DEP_4)
	v_add_co_ci_u32_e32 v13, vcc_lo, v19, v13, vcc_lo
	v_ashrrev_i32_e32 v17, 31, v16
	s_delay_alu instid0(VALU_DEP_4) | instskip(NEXT) | instid1(VALU_DEP_2)
	v_lshlrev_b64 v[14:15], 1, v[14:15]
	v_lshlrev_b64 v[16:17], 1, v[16:17]
	s_delay_alu instid0(VALU_DEP_2) | instskip(NEXT) | instid1(VALU_DEP_3)
	v_add_co_u32 v14, vcc_lo, v18, v14
	v_add_co_ci_u32_e32 v15, vcc_lo, v19, v15, vcc_lo
	s_delay_alu instid0(VALU_DEP_3) | instskip(NEXT) | instid1(VALU_DEP_4)
	v_add_co_u32 v16, vcc_lo, v18, v16
	v_add_co_ci_u32_e32 v17, vcc_lo, v19, v17, vcc_lo
	s_clause 0x2
	global_store_b128 v[12:13], v[0:3], off
	global_store_b128 v[14:15], v[4:7], off
	;; [unrolled: 1-line block ×3, first 2 shown]
	s_nop 0
	s_sendmsg sendmsg(MSG_DEALLOC_VGPRS)
	s_endpgm
	.section	.rodata,"a",@progbits
	.p2align	6, 0x0
	.amdhsa_kernel _Z39paged_attention_ll4mi_QKV_mfma16_kernelIDF16_DF16_LN4vllm18Fp8KVCacheDataTypeE0EDF16_Li32ELi64ELi256ELb1ELi6EL8MFMAType0EEvPKT_PKT0_S8_ifPKiSA_SA_iPKfiiiPfSD_PS3_PT2_iSC_SC_
		.amdhsa_group_segment_fixed_size 17472
		.amdhsa_private_segment_fixed_size 0
		.amdhsa_kernarg_size 400
		.amdhsa_user_sgpr_count 13
		.amdhsa_user_sgpr_dispatch_ptr 0
		.amdhsa_user_sgpr_queue_ptr 0
		.amdhsa_user_sgpr_kernarg_segment_ptr 1
		.amdhsa_user_sgpr_dispatch_id 0
		.amdhsa_user_sgpr_private_segment_size 0
		.amdhsa_wavefront_size32 1
		.amdhsa_uses_dynamic_stack 0
		.amdhsa_enable_private_segment 0
		.amdhsa_system_sgpr_workgroup_id_x 1
		.amdhsa_system_sgpr_workgroup_id_y 1
		.amdhsa_system_sgpr_workgroup_id_z 1
		.amdhsa_system_sgpr_workgroup_info 0
		.amdhsa_system_vgpr_workitem_id 0
		.amdhsa_next_free_vgpr 154
		.amdhsa_next_free_sgpr 39
		.amdhsa_reserve_vcc 1
		.amdhsa_float_round_mode_32 0
		.amdhsa_float_round_mode_16_64 0
		.amdhsa_float_denorm_mode_32 3
		.amdhsa_float_denorm_mode_16_64 3
		.amdhsa_dx10_clamp 1
		.amdhsa_ieee_mode 1
		.amdhsa_fp16_overflow 0
		.amdhsa_workgroup_processor_mode 1
		.amdhsa_memory_ordered 1
		.amdhsa_forward_progress 0
		.amdhsa_shared_vgpr_count 0
		.amdhsa_exception_fp_ieee_invalid_op 0
		.amdhsa_exception_fp_denorm_src 0
		.amdhsa_exception_fp_ieee_div_zero 0
		.amdhsa_exception_fp_ieee_overflow 0
		.amdhsa_exception_fp_ieee_underflow 0
		.amdhsa_exception_fp_ieee_inexact 0
		.amdhsa_exception_int_div_zero 0
	.end_amdhsa_kernel
	.section	.text._Z39paged_attention_ll4mi_QKV_mfma16_kernelIDF16_DF16_LN4vllm18Fp8KVCacheDataTypeE0EDF16_Li32ELi64ELi256ELb1ELi6EL8MFMAType0EEvPKT_PKT0_S8_ifPKiSA_SA_iPKfiiiPfSD_PS3_PT2_iSC_SC_,"axG",@progbits,_Z39paged_attention_ll4mi_QKV_mfma16_kernelIDF16_DF16_LN4vllm18Fp8KVCacheDataTypeE0EDF16_Li32ELi64ELi256ELb1ELi6EL8MFMAType0EEvPKT_PKT0_S8_ifPKiSA_SA_iPKfiiiPfSD_PS3_PT2_iSC_SC_,comdat
.Lfunc_end159:
	.size	_Z39paged_attention_ll4mi_QKV_mfma16_kernelIDF16_DF16_LN4vllm18Fp8KVCacheDataTypeE0EDF16_Li32ELi64ELi256ELb1ELi6EL8MFMAType0EEvPKT_PKT0_S8_ifPKiSA_SA_iPKfiiiPfSD_PS3_PT2_iSC_SC_, .Lfunc_end159-_Z39paged_attention_ll4mi_QKV_mfma16_kernelIDF16_DF16_LN4vllm18Fp8KVCacheDataTypeE0EDF16_Li32ELi64ELi256ELb1ELi6EL8MFMAType0EEvPKT_PKT0_S8_ifPKiSA_SA_iPKfiiiPfSD_PS3_PT2_iSC_SC_
                                        ; -- End function
	.section	.AMDGPU.csdata,"",@progbits
; Kernel info:
; codeLenInByte = 7188
; NumSgprs: 41
; NumVgprs: 154
; ScratchSize: 0
; MemoryBound: 0
; FloatMode: 240
; IeeeMode: 1
; LDSByteSize: 17472 bytes/workgroup (compile time only)
; SGPRBlocks: 5
; VGPRBlocks: 19
; NumSGPRsForWavesPerEU: 41
; NumVGPRsForWavesPerEU: 154
; Occupancy: 9
; WaveLimiterHint : 1
; COMPUTE_PGM_RSRC2:SCRATCH_EN: 0
; COMPUTE_PGM_RSRC2:USER_SGPR: 13
; COMPUTE_PGM_RSRC2:TRAP_HANDLER: 0
; COMPUTE_PGM_RSRC2:TGID_X_EN: 1
; COMPUTE_PGM_RSRC2:TGID_Y_EN: 1
; COMPUTE_PGM_RSRC2:TGID_Z_EN: 1
; COMPUTE_PGM_RSRC2:TIDIG_COMP_CNT: 0
	.section	.text._Z39paged_attention_ll4mi_QKV_mfma16_kernelIDF16_DF16_LN4vllm18Fp8KVCacheDataTypeE0EDF16_Li32ELi64ELi256ELb1ELi7EL8MFMAType0EEvPKT_PKT0_S8_ifPKiSA_SA_iPKfiiiPfSD_PS3_PT2_iSC_SC_,"axG",@progbits,_Z39paged_attention_ll4mi_QKV_mfma16_kernelIDF16_DF16_LN4vllm18Fp8KVCacheDataTypeE0EDF16_Li32ELi64ELi256ELb1ELi7EL8MFMAType0EEvPKT_PKT0_S8_ifPKiSA_SA_iPKfiiiPfSD_PS3_PT2_iSC_SC_,comdat
	.protected	_Z39paged_attention_ll4mi_QKV_mfma16_kernelIDF16_DF16_LN4vllm18Fp8KVCacheDataTypeE0EDF16_Li32ELi64ELi256ELb1ELi7EL8MFMAType0EEvPKT_PKT0_S8_ifPKiSA_SA_iPKfiiiPfSD_PS3_PT2_iSC_SC_ ; -- Begin function _Z39paged_attention_ll4mi_QKV_mfma16_kernelIDF16_DF16_LN4vllm18Fp8KVCacheDataTypeE0EDF16_Li32ELi64ELi256ELb1ELi7EL8MFMAType0EEvPKT_PKT0_S8_ifPKiSA_SA_iPKfiiiPfSD_PS3_PT2_iSC_SC_
	.globl	_Z39paged_attention_ll4mi_QKV_mfma16_kernelIDF16_DF16_LN4vllm18Fp8KVCacheDataTypeE0EDF16_Li32ELi64ELi256ELb1ELi7EL8MFMAType0EEvPKT_PKT0_S8_ifPKiSA_SA_iPKfiiiPfSD_PS3_PT2_iSC_SC_
	.p2align	8
	.type	_Z39paged_attention_ll4mi_QKV_mfma16_kernelIDF16_DF16_LN4vllm18Fp8KVCacheDataTypeE0EDF16_Li32ELi64ELi256ELb1ELi7EL8MFMAType0EEvPKT_PKT0_S8_ifPKiSA_SA_iPKfiiiPfSD_PS3_PT2_iSC_SC_,@function
_Z39paged_attention_ll4mi_QKV_mfma16_kernelIDF16_DF16_LN4vllm18Fp8KVCacheDataTypeE0EDF16_Li32ELi64ELi256ELb1ELi7EL8MFMAType0EEvPKT_PKT0_S8_ifPKiSA_SA_iPKfiiiPfSD_PS3_PT2_iSC_SC_: ; @_Z39paged_attention_ll4mi_QKV_mfma16_kernelIDF16_DF16_LN4vllm18Fp8KVCacheDataTypeE0EDF16_Li32ELi64ELi256ELb1ELi7EL8MFMAType0EEvPKT_PKT0_S8_ifPKiSA_SA_iPKfiiiPfSD_PS3_PT2_iSC_SC_
; %bb.0:
	s_load_b64 s[2:3], s[0:1], 0x30
	s_mov_b32 s34, s13
	s_waitcnt lgkmcnt(0)
	s_cmp_lg_u64 s[2:3], 0
	s_cselect_b32 s6, -1, 0
	s_ashr_i32 s35, s13, 31
	s_cmp_eq_u64 s[2:3], 0
	s_cbranch_scc1 .LBB160_3
; %bb.1:
	s_lshl_b64 s[4:5], s[34:35], 2
	s_delay_alu instid0(SALU_CYCLE_1) | instskip(SKIP_4) | instid1(SALU_CYCLE_1)
	s_add_u32 s4, s2, s4
	s_addc_u32 s5, s3, s5
	s_load_b64 s[4:5], s[4:5], 0x0
	s_waitcnt lgkmcnt(0)
	s_sub_i32 s4, s5, s4
	s_cmp_eq_u32 s4, 1
	s_cselect_b32 s4, -1, 0
	s_delay_alu instid0(SALU_CYCLE_1)
	s_and_not1_b32 vcc_lo, exec_lo, s4
	s_cbranch_vccz .LBB160_4
.LBB160_2:
	s_nop 0
	s_sendmsg sendmsg(MSG_DEALLOC_VGPRS)
	s_endpgm
.LBB160_3:
.LBB160_4:
	s_load_b64 s[8:9], s[0:1], 0x28
	s_lshl_b64 s[4:5], s[34:35], 2
	s_waitcnt lgkmcnt(0)
	s_add_u32 s8, s8, s4
	s_addc_u32 s9, s9, s5
	s_lshl_b32 s16, s14, 8
	s_load_b32 s18, s[8:9], 0x0
	s_waitcnt lgkmcnt(0)
	s_cmp_ge_i32 s16, s18
	s_cbranch_scc1 .LBB160_2
; %bb.5:
	s_and_not1_b32 vcc_lo, exec_lo, s6
	s_cbranch_vccnz .LBB160_7
; %bb.6:
	s_add_u32 s2, s2, s4
	s_addc_u32 s3, s3, s5
	s_load_b32 s17, s[2:3], 0x0
	s_branch .LBB160_8
.LBB160_7:
	s_mov_b32 s17, s34
.LBB160_8:
	s_clause 0x2
	s_load_b128 s[8:11], s[0:1], 0x8
	s_load_b64 s[12:13], s[0:1], 0x20
	s_load_b128 s[4:7], s[0:1], 0x48
	v_lshrrev_b32_e32 v78, 5, v0
	v_bfe_u32 v75, v0, 4, 1
	v_and_b32_e32 v77, 15, v0
	s_delay_alu instid0(VALU_DEP_2) | instskip(NEXT) | instid1(VALU_DEP_2)
	v_lshl_or_b32 v3, v78, 1, v75
	v_cmp_lt_u32_e64 s3, 7, v77
	v_lshlrev_b32_e32 v1, 3, v77
	v_cmp_gt_u32_e64 s2, 8, v77
	s_delay_alu instid0(VALU_DEP_4) | instskip(NEXT) | instid1(VALU_DEP_4)
	v_cmp_lt_u32_e32 vcc_lo, 6, v3
	s_or_b32 s3, s3, vcc_lo
	s_waitcnt lgkmcnt(0)
	s_and_saveexec_b32 s7, s3
	s_delay_alu instid0(SALU_CYCLE_1)
	s_xor_b32 s3, exec_lo, s7
; %bb.9:
	v_mov_b32_e32 v2, 0
                                        ; implicit-def: $vgpr3
; %bb.10:
	s_or_saveexec_b32 s3, s3
	v_and_b32_e32 v80, 31, v0
	v_and_b32_e32 v76, 1, v0
	s_mul_i32 s33, s15, 7
	s_xor_b32 exec_lo, exec_lo, s3
	s_cbranch_execz .LBB160_12
; %bb.11:
	s_load_b64 s[20:21], s[0:1], 0x0
	v_add_lshl_u32 v4, v3, s33, 6
	s_mul_hi_i32 s23, s17, s4
	s_mul_i32 s22, s17, s4
	v_lshlrev_b32_e32 v2, 1, v1
	s_lshl_b64 s[22:23], s[22:23], 1
	v_ashrrev_i32_e32 v5, 31, v4
	v_lshlrev_b32_e32 v3, 6, v3
	v_lshlrev_b32_e32 v8, 10, v76
	s_delay_alu instid0(VALU_DEP_3) | instskip(SKIP_3) | instid1(VALU_DEP_1)
	v_lshlrev_b64 v[4:5], 1, v[4:5]
	s_waitcnt lgkmcnt(0)
	s_add_u32 s4, s20, s22
	s_addc_u32 s7, s21, s23
	v_add_co_u32 v4, vcc_lo, s4, v4
	s_delay_alu instid0(VALU_DEP_2) | instskip(NEXT) | instid1(VALU_DEP_2)
	v_add_co_ci_u32_e32 v5, vcc_lo, s7, v5, vcc_lo
	v_add_co_u32 v4, vcc_lo, v4, v2
	s_delay_alu instid0(VALU_DEP_2) | instskip(SKIP_3) | instid1(VALU_DEP_1)
	v_add_co_ci_u32_e32 v5, vcc_lo, 0, v5, vcc_lo
	v_lshlrev_b32_e32 v2, 10, v77
	global_load_b128 v[4:7], v[4:5], off
	v_and_b32_e32 v2, 0x3800, v2
	v_or3_b32 v3, v2, v8, v3
	v_mov_b32_e32 v2, 0
	s_waitcnt vmcnt(0)
	ds_store_b128 v3, v[4:7]
.LBB160_12:
	s_or_b32 exec_lo, exec_lo, s3
	v_and_b32_e32 v3, 0xef, v0
	s_add_i32 s3, s18, 31
	s_clause 0x1
	s_load_b32 s4, s[0:1], 0x38
	s_load_b32 s35, s[0:1], 0x98
	s_ashr_i32 s7, s3, 31
	v_add_nc_u32_e32 v3, s16, v3
	s_lshr_b32 s7, s7, 27
	s_load_b32 s19, s[0:1], 0x1c
	s_add_i32 s3, s3, s7
	s_waitcnt lgkmcnt(0)
	v_ashrrev_i32_e32 v4, 31, v3
	v_cmp_gt_i32_e32 vcc_lo, s18, v3
	s_ashr_i32 s3, s3, 5
	s_barrier
	s_add_i32 s3, s3, -1
	v_lshrrev_b32_e32 v5, 27, v4
	v_or_b32_e32 v4, 16, v3
	buffer_gl0_inv
	s_mul_i32 s6, s15, s6
	v_lshlrev_b64 v[73:74], 1, v[1:2]
	v_add_nc_u32_e32 v6, v3, v5
	v_add_nc_u32_e32 v5, v4, v5
	s_mul_i32 s20, s34, s4
	s_delay_alu instid0(SALU_CYCLE_1) | instskip(NEXT) | instid1(VALU_DEP_2)
	s_ashr_i32 s21, s20, 31
	v_ashrrev_i32_e32 v6, 5, v6
	s_delay_alu instid0(VALU_DEP_2) | instskip(SKIP_1) | instid1(SALU_CYCLE_1)
	v_ashrrev_i32_e32 v5, 5, v5
	s_lshl_b64 s[20:21], s[20:21], 2
	s_add_u32 s4, s12, s20
	s_delay_alu instid0(VALU_DEP_2) | instskip(SKIP_3) | instid1(SALU_CYCLE_1)
	v_cndmask_b32_e32 v3, s3, v6, vcc_lo
	v_cmp_gt_i32_e32 vcc_lo, s18, v4
	s_addc_u32 s17, s13, s21
	s_ashr_i32 s7, s6, 31
	s_lshl_b64 s[6:7], s[6:7], 1
	v_cndmask_b32_e32 v5, s3, v5, vcc_lo
	v_ashrrev_i32_e32 v4, 31, v3
	s_add_u32 s15, s8, s6
	s_addc_u32 s28, s9, s7
	s_lshl_b32 s8, s14, 3
	v_ashrrev_i32_e32 v6, 31, v5
	v_lshlrev_b64 v[3:4], 2, v[3:4]
	s_ashr_i32 s9, s8, 31
	s_delay_alu instid0(SALU_CYCLE_1) | instskip(NEXT) | instid1(VALU_DEP_2)
	s_lshl_b64 s[8:9], s[8:9], 2
	v_lshlrev_b64 v[5:6], 2, v[5:6]
	s_add_u32 s8, s4, s8
	s_delay_alu instid0(VALU_DEP_2) | instskip(SKIP_1) | instid1(VALU_DEP_3)
	v_add_co_u32 v3, vcc_lo, s4, v3
	v_add_co_ci_u32_e32 v4, vcc_lo, s17, v4, vcc_lo
	v_add_co_u32 v5, vcc_lo, s4, v5
	s_delay_alu instid0(VALU_DEP_4)
	v_add_co_ci_u32_e32 v6, vcc_lo, s17, v6, vcc_lo
	s_addc_u32 s9, s17, s9
	s_clause 0x1
	global_load_b32 v7, v[3:4], off
	global_load_b32 v8, v[5:6], off
	s_or_b32 s12, s16, 32
	s_delay_alu instid0(SALU_CYCLE_1) | instskip(SKIP_2) | instid1(SALU_CYCLE_1)
	s_ashr_i32 s13, s12, 5
	s_cmp_lt_i32 s12, s18
	s_cselect_b32 s12, s13, s3
	s_ashr_i32 s13, s12, 31
	s_delay_alu instid0(SALU_CYCLE_1) | instskip(NEXT) | instid1(SALU_CYCLE_1)
	s_lshl_b64 s[12:13], s[12:13], 2
	s_add_u32 s12, s4, s12
	s_addc_u32 s13, s17, s13
	s_or_b32 s20, s16, 64
	s_delay_alu instid0(SALU_CYCLE_1) | instskip(SKIP_2) | instid1(SALU_CYCLE_1)
	s_ashr_i32 s21, s20, 5
	s_cmp_lt_i32 s20, s18
	s_cselect_b32 s20, s21, s3
	s_ashr_i32 s21, s20, 31
	s_delay_alu instid0(SALU_CYCLE_1) | instskip(NEXT) | instid1(SALU_CYCLE_1)
	s_lshl_b64 s[20:21], s[20:21], 2
	s_add_u32 s20, s4, s20
	s_addc_u32 s21, s17, s21
	;; [unrolled: 10-line block ×5, first 2 shown]
	s_clause 0x5
	s_load_b32 s29, s[8:9], 0x0
	s_load_b32 s30, s[12:13], 0x0
	;; [unrolled: 1-line block ×6, first 2 shown]
	s_or_b32 s8, s16, 0xc0
	s_mov_b32 s20, 0
	s_ashr_i32 s9, s8, 5
	s_cmp_lt_i32 s8, s18
	s_mov_b32 s27, s20
	s_cselect_b32 s8, s9, s3
	s_mov_b32 s21, s20
	s_ashr_i32 s9, s8, 31
	s_mov_b32 s22, s20
	s_lshl_b64 s[8:9], s[8:9], 2
	s_mov_b32 s23, s20
	s_add_u32 s8, s4, s8
	s_mov_b32 s24, s20
	s_mov_b32 s25, s20
	s_mov_b32 s26, s20
	s_addc_u32 s9, s17, s9
	v_dual_mov_b32 v128, s27 :: v_dual_lshlrev_b32 v79, 6, v77
	v_dual_mov_b32 v122, s21 :: v_dual_mov_b32 v127, s26
	v_dual_mov_b32 v126, s25 :: v_dual_mov_b32 v125, s24
	;; [unrolled: 1-line block ×3, first 2 shown]
	v_mov_b32_e32 v121, s20
	s_waitcnt lgkmcnt(0)
	s_mul_hi_i32 s13, s29, s5
	s_mul_i32 s12, s29, s5
	v_lshl_or_b32 v33, v78, 10, v79
	s_mul_hi_i32 s21, s30, s5
	s_mul_i32 s20, s30, s5
	s_mul_hi_i32 s25, s31, s5
	s_mul_i32 s24, s31, s5
	;; [unrolled: 2-line block ×4, first 2 shown]
	s_waitcnt vmcnt(1)
	v_mad_i64_i32 v[3:4], null, v7, s5, 0
	s_waitcnt vmcnt(0)
	v_mad_i64_i32 v[5:6], null, v8, s5, 0
	s_delay_alu instid0(VALU_DEP_2) | instskip(NEXT) | instid1(VALU_DEP_2)
	v_lshlrev_b64 v[3:4], 1, v[3:4]
	v_lshlrev_b64 v[1:2], 1, v[5:6]
	s_delay_alu instid0(VALU_DEP_2) | instskip(NEXT) | instid1(VALU_DEP_3)
	v_add_co_u32 v3, vcc_lo, s15, v3
	v_add_co_ci_u32_e32 v4, vcc_lo, s28, v4, vcc_lo
	s_delay_alu instid0(VALU_DEP_3) | instskip(NEXT) | instid1(VALU_DEP_4)
	v_add_co_u32 v1, vcc_lo, s15, v1
	v_add_co_ci_u32_e32 v2, vcc_lo, s28, v2, vcc_lo
	s_delay_alu instid0(VALU_DEP_4) | instskip(NEXT) | instid1(VALU_DEP_4)
	v_add_co_u32 v25, vcc_lo, v3, v73
	v_add_co_ci_u32_e32 v26, vcc_lo, v4, v74, vcc_lo
	s_delay_alu instid0(VALU_DEP_4) | instskip(NEXT) | instid1(VALU_DEP_4)
	v_add_co_u32 v27, vcc_lo, v1, v73
	v_add_co_ci_u32_e32 v28, vcc_lo, v2, v74, vcc_lo
	s_clause 0xf
	global_load_b128 v[1:4], v[25:26], off
	global_load_b128 v[5:8], v[25:26], off offset:512
	global_load_b128 v[9:12], v[27:28], off offset:256
	;; [unrolled: 1-line block ×15, first 2 shown]
	v_mul_lo_u16 v25, v77, 37
	s_or_b32 s15, s16, 0xe0
	s_delay_alu instid0(SALU_CYCLE_1) | instskip(SKIP_1) | instid1(VALU_DEP_1)
	s_ashr_i32 s22, s15, 5
	s_cmp_lt_i32 s15, s18
	v_lshrrev_b16 v25, 8, v25
	s_cselect_b32 s22, s22, s3
	s_delay_alu instid0(SALU_CYCLE_1) | instskip(NEXT) | instid1(VALU_DEP_1)
	s_ashr_i32 s23, s22, 31
	v_mul_lo_u16 v25, v25, 7
	s_lshl_b64 s[22:23], s[22:23], 2
	s_delay_alu instid0(SALU_CYCLE_1) | instskip(SKIP_1) | instid1(VALU_DEP_1)
	s_add_u32 s22, s4, s22
	s_addc_u32 s23, s17, s23
	v_sub_nc_u16 v25, v77, v25
	s_add_i32 s15, s16, 0x100
	s_delay_alu instid0(SALU_CYCLE_1) | instskip(SKIP_1) | instid1(VALU_DEP_1)
	s_ashr_i32 s28, s15, 5
	s_cmp_lt_i32 s15, s18
	v_and_b32_e32 v25, 0xff, v25
	s_cselect_b32 s28, s28, s3
	s_delay_alu instid0(SALU_CYCLE_1) | instskip(NEXT) | instid1(VALU_DEP_1)
	s_ashr_i32 s29, s28, 31
	v_lshlrev_b32_e32 v151, 6, v25
	s_lshl_b64 s[28:29], s[28:29], 2
	ds_load_b128 v[25:28], v151
	ds_load_b128 v[29:32], v151 offset:1024
	s_add_u32 s28, s4, s28
	s_addc_u32 s29, s17, s29
	s_add_u32 s3, s10, s6
	ds_load_b128 v[129:132], v151 offset:2048
	ds_load_b128 v[133:136], v151 offset:3072
	s_clause 0x2
	s_load_b32 s15, s[8:9], 0x0
	s_load_b32 s4, s[22:23], 0x0
	;; [unrolled: 1-line block ×3, first 2 shown]
	s_addc_u32 s28, s11, s7
	v_add_co_u32 v152, s3, s3, v33
	s_delay_alu instid0(VALU_DEP_1) | instskip(SKIP_2) | instid1(VALU_DEP_2)
	v_add_co_ci_u32_e64 v153, null, s28, 0, s3
	s_lshl_b64 s[6:7], s[12:13], 1
	s_lshl_b64 s[10:11], s[20:21], 1
	v_add_co_u32 v33, vcc_lo, v152, s6
	s_delay_alu instid0(VALU_DEP_2)
	v_add_co_ci_u32_e32 v34, vcc_lo, s7, v153, vcc_lo
	v_add_co_u32 v35, vcc_lo, v152, s10
	s_lshl_b64 s[12:13], s[24:25], 1
	v_add_co_ci_u32_e32 v36, vcc_lo, s11, v153, vcc_lo
	v_add_co_u32 v37, vcc_lo, v152, s12
	s_lshl_b64 s[20:21], s[26:27], 1
	s_mul_hi_i32 s9, s37, s5
	s_mul_i32 s8, s37, s5
	v_add_co_ci_u32_e32 v38, vcc_lo, s13, v153, vcc_lo
	v_add_co_u32 v39, vcc_lo, v152, s20
	s_lshl_b64 s[8:9], s[8:9], 1
	v_add_co_ci_u32_e32 v40, vcc_lo, s21, v153, vcc_lo
	v_add_co_u32 v145, vcc_lo, v152, s8
	s_lshl_b64 s[22:23], s[30:31], 1
	s_waitcnt lgkmcnt(0)
	s_mul_hi_i32 s25, s15, s5
	s_mul_i32 s24, s15, s5
	v_add_co_ci_u32_e32 v146, vcc_lo, s9, v153, vcc_lo
	v_add_co_u32 v147, vcc_lo, v152, s22
	s_lshl_b64 s[24:25], s[24:25], 1
	v_add_co_ci_u32_e32 v148, vcc_lo, s23, v153, vcc_lo
	s_mul_hi_i32 s7, s4, s5
	s_mul_i32 s6, s4, s5
	v_add_co_u32 v149, vcc_lo, v152, s24
	s_lshl_b64 s[6:7], s[6:7], 1
	v_add_co_ci_u32_e32 v150, vcc_lo, s25, v153, vcc_lo
	s_clause 0x7
	global_load_b128 v[65:68], v[33:34], off
	global_load_b128 v[69:72], v[33:34], off offset:16
	global_load_b128 v[57:60], v[35:36], off
	global_load_b128 v[61:64], v[35:36], off offset:16
	;; [unrolled: 2-line block ×4, first 2 shown]
	s_waitcnt vmcnt(22)
	v_wmma_f32_16x16x16_f16 v[137:144], v[1:8], v[25:32], v[121:128]
	s_waitcnt vmcnt(20)
	v_wmma_f32_16x16x16_f16 v[121:128], v[9:16], v[25:32], v[121:128]
	v_add_co_u32 v29, vcc_lo, v152, s6
	v_add_co_ci_u32_e32 v30, vcc_lo, s7, v153, vcc_lo
	s_mul_hi_i32 s7, s17, s5
	s_mul_i32 s6, s17, s5
	s_waitcnt vmcnt(18)
	v_wmma_f32_16x16x16_f16 v[137:144], v[17:24], v[129:136], v[137:144]
	s_lshl_b64 s[4:5], s[6:7], 1
	s_clause 0x1
	global_load_b128 v[9:12], v[145:146], off
	global_load_b128 v[13:16], v[145:146], off offset:16
	v_add_co_u32 v21, vcc_lo, v152, s4
	v_add_co_ci_u32_e32 v22, vcc_lo, s5, v153, vcc_lo
	s_clause 0x7
	global_load_b128 v[1:4], v[147:148], off
	global_load_b128 v[5:8], v[147:148], off offset:16
	global_load_b128 v[33:36], v[149:150], off
	global_load_b128 v[37:40], v[149:150], off offset:16
	;; [unrolled: 2-line block ×4, first 2 shown]
	s_waitcnt vmcnt(26)
	v_wmma_f32_16x16x16_f16 v[121:128], v[81:88], v[129:136], v[121:128]
	ds_load_b128 v[81:84], v151 offset:4096
	ds_load_b128 v[85:88], v151 offset:5120
	v_mbcnt_lo_u32_b32 v130, -1, 0
	s_delay_alu instid0(VALU_DEP_1) | instskip(NEXT) | instid1(VALU_DEP_1)
	v_xor_b32_e32 v131, 16, v130
	v_cmp_gt_i32_e32 vcc_lo, 32, v131
	v_cndmask_b32_e32 v130, v130, v131, vcc_lo
	s_waitcnt vmcnt(24) lgkmcnt(0)
	v_wmma_f32_16x16x16_f16 v[137:144], v[89:96], v[81:88], v[137:144]
	ds_load_b128 v[89:92], v151 offset:6144
	ds_load_b128 v[93:96], v151 offset:7168
	s_waitcnt vmcnt(22)
	v_wmma_f32_16x16x16_f16 v[121:128], v[97:104], v[81:88], v[121:128]
	s_waitcnt vmcnt(0) lgkmcnt(0)
	s_barrier
	buffer_gl0_inv
	v_wmma_f32_16x16x16_f16 v[137:144], v[105:112], v[89:96], v[137:144]
	v_and_b32_e32 v129, 0xe0, v0
	v_wmma_f32_16x16x16_f16 v[121:128], v[113:120], v[89:96], v[121:128]
	s_delay_alu instid0(VALU_DEP_3) | instskip(NEXT) | instid1(VALU_DEP_2)
	v_mul_f32_e32 v96, s19, v137
	v_dual_mul_f32 v104, s19, v126 :: v_dual_add_nc_u32 v129, s16, v129
	v_mul_f32_e32 v95, s19, v138
	v_dual_mul_f32 v93, s19, v140 :: v_dual_mul_f32 v94, s19, v139
	s_delay_alu instid0(VALU_DEP_3) | instskip(SKIP_3) | instid1(VALU_DEP_4)
	v_or_b32_e32 v129, v129, v75
	v_dual_mul_f32 v91, s19, v142 :: v_dual_mul_f32 v106, s19, v124
	v_dual_mul_f32 v92, s19, v141 :: v_dual_mul_f32 v89, s19, v144
	v_mul_f32_e32 v108, s19, v122
	v_or_b32_e32 v131, 2, v129
	v_or_b32_e32 v132, 4, v129
	;; [unrolled: 1-line block ×3, first 2 shown]
	v_cmp_gt_i32_e32 vcc_lo, s18, v129
	v_or_b32_e32 v82, 8, v129
	v_cmp_gt_i32_e64 s3, s18, v131
	v_or_b32_e32 v83, 10, v129
	v_cmp_gt_i32_e64 s4, s18, v132
	v_cndmask_b32_e32 v96, 0xff7fffff, v96, vcc_lo
	v_cmp_gt_i32_e64 s5, s18, v81
	v_cndmask_b32_e64 v95, 0xff7fffff, v95, s3
	v_or_b32_e32 v84, 12, v129
	v_or_b32_e32 v85, 14, v129
	v_cndmask_b32_e64 v94, 0xff7fffff, v94, s4
	v_cndmask_b32_e64 v81, 0xff7fffff, v93, s5
	v_max3_f32 v93, v96, 0xff7fffff, v95
	v_cmp_gt_i32_e64 s6, s18, v82
	v_cmp_gt_i32_e64 s7, s18, v83
	v_or_b32_e32 v86, 16, v129
	v_or_b32_e32 v87, 18, v129
	v_mul_f32_e32 v90, s19, v143
	v_cndmask_b32_e64 v82, 0xff7fffff, v92, s6
	v_cndmask_b32_e64 v83, 0xff7fffff, v91, s7
	v_max3_f32 v81, v93, v94, v81
	v_cmp_gt_i32_e64 s8, s18, v84
	v_cmp_gt_i32_e64 s9, s18, v85
	v_or_b32_e32 v88, 20, v129
	v_or_b32_e32 v97, 22, v129
	v_mul_f32_e32 v109, s19, v121
	;; [unrolled: 8-line block ×4, first 2 shown]
	v_cndmask_b32_e64 v84, 0xff7fffff, v107, s12
	v_cndmask_b32_e64 v85, 0xff7fffff, v106, s13
	v_max3_f32 v81, v81, v82, v83
	v_cmp_gt_i32_e64 s15, s18, v98
	v_cmp_gt_i32_e64 s16, s18, v99
	v_dual_mul_f32 v102, s19, v128 :: v_dual_mul_f32 v103, s19, v127
	s_delay_alu instid0(VALU_DEP_4) | instskip(NEXT) | instid1(VALU_DEP_4)
	v_max3_f32 v81, v81, v84, v85
	v_cndmask_b32_e64 v82, 0xff7fffff, v105, s15
	s_delay_alu instid0(VALU_DEP_4) | instskip(SKIP_2) | instid1(VALU_DEP_3)
	v_cndmask_b32_e64 v83, 0xff7fffff, v104, s16
	v_cmp_gt_i32_e64 s17, s18, v100
	v_cmp_gt_i32_e64 s18, s18, v101
	v_max3_f32 v81, v81, v82, v83
	s_delay_alu instid0(VALU_DEP_3) | instskip(NEXT) | instid1(VALU_DEP_3)
	v_cndmask_b32_e64 v84, 0xff7fffff, v103, s17
	v_cndmask_b32_e64 v85, 0xff7fffff, v102, s18
	v_lshlrev_b32_e32 v83, 2, v130
	s_delay_alu instid0(VALU_DEP_2) | instskip(SKIP_3) | instid1(VALU_DEP_1)
	v_max3_f32 v81, v81, v84, v85
	ds_bpermute_b32 v82, v83, v81
	s_waitcnt lgkmcnt(0)
	v_max_f32_e32 v82, v82, v82
	v_max_f32_e32 v81, v81, v82
	s_delay_alu instid0(VALU_DEP_1)
	v_fma_f32 v82, s19, v137, -v81
	v_fma_f32 v84, s19, v138, -v81
	;; [unrolled: 1-line block ×5, first 2 shown]
	v_mul_f32_e32 v82, 0x3fb8aa3b, v82
	s_delay_alu instid0(VALU_DEP_4) | instskip(NEXT) | instid1(VALU_DEP_3)
	v_dual_mul_f32 v84, 0x3fb8aa3b, v84 :: v_dual_mul_f32 v89, 0x3fb8aa3b, v87
	v_mul_f32_e32 v86, 0x3fb8aa3b, v86
	s_delay_alu instid0(VALU_DEP_3) | instskip(NEXT) | instid1(VALU_DEP_2)
	v_exp_f32_e32 v82, v82
	v_exp_f32_e32 v84, v84
	s_delay_alu instid0(VALU_DEP_2) | instskip(NEXT) | instid1(VALU_DEP_1)
	v_exp_f32_e32 v92, v89
	v_exp_f32_e32 v86, v86
	v_cndmask_b32_e32 v88, 0, v82, vcc_lo
	s_delay_alu instid0(TRANS32_DEP_3)
	v_cndmask_b32_e64 v87, 0, v84, s3
	s_waitcnt_depctr 0xfff
	v_cndmask_b32_e64 v92, 0, v92, s6
	v_cmp_gt_u32_e64 s3, 16, v80
	v_cndmask_b32_e64 v89, 0, v86, s5
	v_add_f32_e32 v84, 0, v88
	s_delay_alu instid0(VALU_DEP_1) | instskip(NEXT) | instid1(VALU_DEP_1)
	v_dual_add_f32 v84, v84, v87 :: v_dual_mul_f32 v85, 0x3fb8aa3b, v85
	v_exp_f32_e32 v85, v85
	s_waitcnt_depctr 0xfff
	v_cndmask_b32_e64 v90, 0, v85, s4
	s_delay_alu instid0(VALU_DEP_1) | instskip(NEXT) | instid1(VALU_DEP_1)
	v_add_f32_e32 v84, v84, v90
	v_add_f32_e32 v84, v84, v89
	v_fma_f32 v82, s19, v142, -v81
	v_fma_f32 v91, s19, v143, -v81
	;; [unrolled: 1-line block ×5, first 2 shown]
	s_delay_alu instid0(VALU_DEP_4) | instskip(SKIP_1) | instid1(VALU_DEP_4)
	v_dual_mul_f32 v82, 0x3fb8aa3b, v82 :: v_dual_mul_f32 v91, 0x3fb8aa3b, v91
	v_fma_f32 v96, s19, v124, -v81
	v_mul_f32_e32 v86, 0x3fb8aa3b, v86
	v_fma_f32 v99, s19, v127, -v81
	s_delay_alu instid0(VALU_DEP_4) | instskip(SKIP_3) | instid1(VALU_DEP_1)
	v_exp_f32_e32 v82, v82
	v_exp_f32_e32 v93, v91
	v_mul_f32_e32 v97, 0x3fb8aa3b, v96
	v_exp_f32_e32 v86, v86
	v_exp_f32_e32 v97, v97
	v_cndmask_b32_e64 v91, 0, v82, s7
	v_dual_add_f32 v82, v84, v92 :: v_dual_mul_f32 v85, 0x3fb8aa3b, v85
	v_fma_f32 v84, s19, v123, -v81
	v_mul_f32_e32 v95, 0x3fb8aa3b, v94
	s_delay_alu instid0(TRANS32_DEP_3) | instskip(NEXT) | instid1(VALU_DEP_4)
	v_cndmask_b32_e64 v94, 0, v93, s8
	v_add_f32_e32 v82, v82, v91
	v_exp_f32_e32 v85, v85
	v_mul_f32_e32 v84, 0x3fb8aa3b, v84
	v_cndmask_b32_e64 v96, 0, v86, s10
	v_exp_f32_e32 v95, v95
	v_add_f32_e32 v82, v82, v94
	v_fma_f32 v86, s19, v126, -v81
	v_exp_f32_e32 v84, v84
	v_cndmask_b32_e64 v97, 0, v97, s13
	s_delay_alu instid0(TRANS32_DEP_3) | instskip(SKIP_2) | instid1(TRANS32_DEP_2)
	v_cndmask_b32_e64 v93, 0, v85, s9
	v_fma_f32 v85, s19, v125, -v81
	v_mul_f32_e32 v86, 0x3fb8aa3b, v86
	v_cndmask_b32_e64 v95, 0, v95, s11
	s_waitcnt_depctr 0xfff
	v_cndmask_b32_e64 v98, 0, v84, s12
	v_mul_f32_e32 v84, 0x3fb8aa3b, v99
	v_fma_f32 v99, s19, v128, -v81
	v_add_f32_e32 v82, v82, v93
	v_mul_f32_e32 v85, 0x3fb8aa3b, v85
	v_exp_f32_e32 v86, v86
	v_exp_f32_e32 v84, v84
	s_delay_alu instid0(VALU_DEP_1)
	v_exp_f32_e32 v85, v85
	s_waitcnt_depctr 0xfff
	v_cndmask_b32_e64 v102, 0, v84, s17
	v_cndmask_b32_e64 v100, 0, v85, s15
	v_dual_mul_f32 v85, 0x3fb8aa3b, v99 :: v_dual_add_f32 v82, v82, v96
	v_cndmask_b32_e64 v99, 0, v86, s16
	s_delay_alu instid0(VALU_DEP_2) | instskip(NEXT) | instid1(VALU_DEP_2)
	v_exp_f32_e32 v85, v85
	v_add_f32_e32 v82, v82, v95
	s_delay_alu instid0(VALU_DEP_1) | instskip(SKIP_3) | instid1(VALU_DEP_1)
	v_add_f32_e32 v82, v82, v98
	s_waitcnt_depctr 0xfff
	v_cndmask_b32_e64 v101, 0, v85, s18
	v_add_f32_e32 v82, v82, v97
	v_add_f32_e32 v82, v82, v100
	s_delay_alu instid0(VALU_DEP_1) | instskip(NEXT) | instid1(VALU_DEP_1)
	v_add_f32_e32 v82, v82, v99
	v_add_f32_e32 v82, v82, v102
	s_delay_alu instid0(VALU_DEP_1)
	v_add_f32_e32 v82, v82, v101
	ds_bpermute_b32 v83, v83, v82
	s_and_saveexec_b32 s4, s3
	s_cbranch_execz .LBB160_14
; %bb.13:
	v_mul_u32_u24_e32 v80, 0x44, v78
	s_waitcnt lgkmcnt(0)
	v_add_f32_e32 v82, v82, v83
	s_delay_alu instid0(VALU_DEP_2) | instskip(NEXT) | instid1(VALU_DEP_1)
	v_lshl_add_u32 v80, v77, 2, v80
	v_add_nc_u32_e32 v80, 0x4000, v80
	ds_store_2addr_b32 v80, v81, v82 offset1:136
.LBB160_14:
	s_or_b32 exec_lo, exec_lo, s4
	v_lshlrev_b32_e32 v80, 2, v77
	s_load_b32 s36, s[0:1], 0x94
	s_waitcnt lgkmcnt(0)
	s_barrier
	buffer_gl0_inv
	v_add_nc_u32_e32 v84, 0x4000, v80
	v_cmp_eq_u32_e32 vcc_lo, 1, v78
	v_cmp_eq_u32_e64 s4, 2, v78
	v_cmp_eq_u32_e64 s5, 3, v78
	;; [unrolled: 1-line block ×3, first 2 shown]
	ds_load_2addr_b32 v[80:81], v84 offset1:17
	ds_load_2addr_b32 v[82:83], v84 offset0:34 offset1:51
	ds_load_2addr_b32 v[103:104], v84 offset0:68 offset1:85
	;; [unrolled: 1-line block ×3, first 2 shown]
	v_cmp_eq_u32_e64 s7, 7, v78
	s_waitcnt lgkmcnt(3)
	v_max3_f32 v85, v80, 0xff7fffff, v81
	s_waitcnt lgkmcnt(2)
	s_delay_alu instid0(VALU_DEP_1) | instskip(SKIP_1) | instid1(VALU_DEP_1)
	v_max3_f32 v85, v85, v82, v83
	s_waitcnt lgkmcnt(1)
	v_max3_f32 v85, v85, v103, v104
	s_waitcnt lgkmcnt(0)
	s_delay_alu instid0(VALU_DEP_1) | instskip(NEXT) | instid1(VALU_DEP_1)
	v_max3_f32 v85, v85, v105, v106
	v_sub_f32_e32 v103, v103, v85
	ds_load_2addr_b32 v[107:108], v84 offset0:136 offset1:153
	v_sub_f32_e32 v80, v80, v85
	v_dual_sub_f32 v110, v83, v85 :: v_dual_mul_f32 v113, 0x3fb8aa3b, v103
	s_delay_alu instid0(VALU_DEP_2) | instskip(SKIP_3) | instid1(VALU_DEP_1)
	v_dual_sub_f32 v86, v81, v85 :: v_dual_mul_f32 v109, 0x3fb8aa3b, v80
	ds_load_2addr_b32 v[80:81], v84 offset0:170 offset1:187
	v_mul_f32_e32 v86, 0x3fb8aa3b, v86
	v_exp_f32_e32 v109, v109
	v_exp_f32_e32 v112, v86
	v_mul_f32_e32 v110, 0x3fb8aa3b, v110
	s_waitcnt lgkmcnt(1)
	s_waitcnt_depctr 0xfff
	v_fma_f32 v86, v109, v107, 0
	v_sub_f32_e32 v107, v104, v85
	v_sub_f32_e32 v82, v82, v85
	v_exp_f32_e32 v110, v110
	ds_load_2addr_b32 v[103:104], v84 offset0:238 offset1:255
	v_dual_fmac_f32 v86, v112, v108 :: v_dual_mul_f32 v111, 0x3fb8aa3b, v82
	ds_load_2addr_b32 v[82:83], v84 offset0:204 offset1:221
	v_dual_sub_f32 v84, v105, v85 :: v_dual_mul_f32 v105, 0x3fb8aa3b, v107
	v_exp_f32_e32 v107, v113
	v_exp_f32_e32 v111, v111
	s_waitcnt lgkmcnt(0)
	s_delay_alu instid0(VALU_DEP_1)
	v_mul_f32_e32 v84, 0x3fb8aa3b, v84
	v_exp_f32_e32 v105, v105
	s_barrier
	buffer_gl0_inv
	v_fmac_f32_e32 v86, v111, v80
	v_sub_f32_e32 v80, v106, v85
	v_exp_f32_e32 v106, v84
	s_delay_alu instid0(VALU_DEP_2) | instskip(NEXT) | instid1(VALU_DEP_2)
	v_fmac_f32_e32 v86, v110, v81
	v_mul_f32_e32 v80, 0x3fb8aa3b, v80
	s_delay_alu instid0(VALU_DEP_2) | instskip(NEXT) | instid1(VALU_DEP_2)
	v_dual_cndmask_b32 v81, v109, v112 :: v_dual_fmac_f32 v86, v107, v82
	v_exp_f32_e32 v108, v80
	s_delay_alu instid0(VALU_DEP_1) | instskip(SKIP_2) | instid1(VALU_DEP_1)
	v_fmac_f32_e32 v86, v105, v83
	s_waitcnt_depctr 0xfff
	v_fmac_f32_e32 v86, v106, v103
	v_fmac_f32_e32 v86, v108, v104
	s_delay_alu instid0(VALU_DEP_1) | instskip(NEXT) | instid1(VALU_DEP_1)
	v_add_f32_e32 v103, 0x358637bd, v86
	v_div_scale_f32 v104, null, v103, v103, 1.0
	v_div_scale_f32 v109, vcc_lo, 1.0, v103, 1.0
	s_delay_alu instid0(VALU_DEP_2) | instskip(SKIP_2) | instid1(VALU_DEP_1)
	v_rcp_f32_e32 v113, v104
	s_waitcnt_depctr 0xfff
	v_fma_f32 v80, -v104, v113, 1.0
	v_fmac_f32_e32 v113, v80, v113
	v_cndmask_b32_e64 v80, v81, v111, s4
	v_cmp_eq_u32_e64 s4, 4, v78
	v_lshl_or_b32 v81, v78, 11, v79
	s_delay_alu instid0(VALU_DEP_4) | instskip(NEXT) | instid1(VALU_DEP_4)
	v_mul_f32_e32 v111, v109, v113
	v_cndmask_b32_e64 v82, v80, v110, s5
	v_cmp_eq_u32_e64 s5, 6, v78
	s_delay_alu instid0(VALU_DEP_4) | instskip(SKIP_3) | instid1(VALU_DEP_3)
	v_lshl_or_b32 v78, v75, 4, v81
	v_lshlrev_b32_e32 v80, 2, v75
	v_fma_f32 v83, -v104, v111, v109
	v_cndmask_b32_e64 v84, v82, v107, s4
	v_or_b32_e32 v82, 1, v80
	s_delay_alu instid0(VALU_DEP_3) | instskip(NEXT) | instid1(VALU_DEP_3)
	v_fmac_f32_e32 v111, v83, v113
	v_cndmask_b32_e64 v105, v84, v105, s6
	v_or_b32_e32 v84, 2, v80
	v_or_b32_e32 v83, 3, v80
	v_cmp_eq_u32_e64 s4, 1, v80
	v_fma_f32 v104, -v104, v111, v109
	v_cndmask_b32_e64 v105, v105, v106, s5
	v_cmp_eq_u32_e64 s10, 1, v82
	v_cmp_eq_u32_e64 s11, 1, v84
	;; [unrolled: 1-line block ×3, first 2 shown]
	v_div_fmas_f32 v104, v104, v113, v111
	v_cndmask_b32_e64 v105, v105, v108, s7
	v_cmp_eq_u32_e32 vcc_lo, 2, v80
	v_cmp_eq_u32_e64 s13, 2, v82
	v_cmp_eq_u32_e64 s16, 2, v84
	v_div_fixup_f32 v103, v104, v103, 1.0
	v_cmp_eq_u32_e64 s17, 2, v83
	v_cmp_eq_u32_e64 s19, 3, v83
	;; [unrolled: 1-line block ×4, first 2 shown]
	v_mul_f32_e32 v111, v105, v103
	v_cmp_eq_u32_e64 s18, 3, v84
	v_cmp_eq_u32_e64 s23, 4, v83
	;; [unrolled: 1-line block ×4, first 2 shown]
	v_fma_mixlo_f16 v103, v111, v88, 0
	v_fma_mixlo_f16 v104, v111, v90, 0
	;; [unrolled: 1-line block ×8, first 2 shown]
	v_fma_mixhi_f16 v103, v111, v87, 0
	v_fma_mixhi_f16 v104, v111, v89, 0
	;; [unrolled: 1-line block ×8, first 2 shown]
	ds_store_b128 v78, v[103:106]
	ds_store_b128 v78, v[107:110] offset:1024
	s_waitcnt lgkmcnt(0)
	s_barrier
	buffer_gl0_inv
	ds_load_b128 v[87:90], v81
	ds_load_b128 v[91:94], v81 offset:16
	ds_load_b128 v[95:98], v81 offset:1024
	;; [unrolled: 1-line block ×3, first 2 shown]
	v_cmp_eq_u32_e64 s22, 4, v84
	v_cmp_eq_u32_e64 s25, 5, v83
	;; [unrolled: 1-line block ×13, first 2 shown]
	s_waitcnt lgkmcnt(3)
	v_lshrrev_b32_e32 v103, 16, v87
	s_waitcnt lgkmcnt(2)
	v_lshrrev_b32_e32 v107, 16, v91
	;; [unrolled: 2-line block ×4, first 2 shown]
	v_lshrrev_b32_e32 v104, 16, v88
	v_cndmask_b32_e64 v119, v87, v103, s4
	v_cndmask_b32_e64 v120, v91, v107, s4
	;; [unrolled: 1-line block ×8, first 2 shown]
	v_lshrrev_b32_e32 v108, 16, v92
	v_cndmask_b32_e64 v103, v95, v111, s4
	v_cndmask_b32_e64 v107, v99, v115, s4
	;; [unrolled: 1-line block ×5, first 2 shown]
	v_cndmask_b32_e32 v111, v119, v88, vcc_lo
	v_cndmask_b32_e64 v119, v121, v88, s13
	v_cndmask_b32_e64 v121, v123, v88, s16
	v_cndmask_b32_e64 v87, v87, v88, s17
	v_cndmask_b32_e64 v88, v91, v92, s17
	v_lshrrev_b32_e32 v112, 16, v96
	v_lshrrev_b32_e32 v116, 16, v100
	v_cndmask_b32_e64 v126, v99, v115, s10
	v_cndmask_b32_e64 v128, v99, v115, s11
	;; [unrolled: 1-line block ×3, first 2 shown]
	v_cndmask_b32_e32 v115, v120, v92, vcc_lo
	v_cndmask_b32_e64 v120, v122, v92, s13
	v_cndmask_b32_e64 v122, v124, v92, s16
	v_cndmask_b32_e32 v91, v103, v96, vcc_lo
	v_cndmask_b32_e32 v92, v107, v100, vcc_lo
	v_cndmask_b32_e64 v103, v125, v96, s13
	v_cndmask_b32_e64 v87, v87, v104, s19
	;; [unrolled: 1-line block ×3, first 2 shown]
	v_lshrrev_b32_e32 v105, 16, v89
	v_lshrrev_b32_e32 v109, 16, v93
	v_cndmask_b32_e64 v107, v127, v96, s16
	v_cndmask_b32_e64 v95, v95, v96, s17
	;; [unrolled: 1-line block ×14, first 2 shown]
	v_lshrrev_b32_e32 v113, 16, v97
	v_cndmask_b32_e64 v99, v99, v89, s6
	v_cndmask_b32_e64 v104, v111, v93, s6
	;; [unrolled: 1-line block ×11, first 2 shown]
	v_lshrrev_b32_e32 v106, 16, v90
	v_lshrrev_b32_e32 v110, 16, v94
	v_cndmask_b32_e64 v93, v99, v105, s7
	v_cndmask_b32_e64 v99, v104, v109, s7
	;; [unrolled: 1-line block ×9, first 2 shown]
	v_lshrrev_b32_e32 v114, 16, v98
	v_cndmask_b32_e64 v89, v89, v113, s7
	v_cndmask_b32_e64 v93, v93, v90, s8
	;; [unrolled: 1-line block ×19, first 2 shown]
	v_perm_b32 v90, v88, v87, 0x5040100
	v_cndmask_b32_e64 v87, v126, v100, s13
	v_cndmask_b32_e64 v105, v89, v114, s9
	v_perm_b32 v89, v103, v99, 0x5040100
	v_perm_b32 v88, v104, v94, 0x5040100
	v_cndmask_b32_e64 v94, v107, v112, s18
	v_cndmask_b32_e64 v95, v95, v112, s19
	;; [unrolled: 1-line block ×5, first 2 shown]
	v_lshrrev_b32_e32 v117, 16, v101
	v_cndmask_b32_e64 v94, v94, v97, s22
	v_cndmask_b32_e64 v95, v95, v97, s23
	;; [unrolled: 1-line block ×11, first 2 shown]
	v_lshrrev_b32_e32 v118, 16, v102
	v_cndmask_b32_e64 v91, v91, v102, s8
	v_cndmask_b32_e64 v94, v94, v98, s27
	v_cndmask_b32_e64 v95, v95, v98, s28
	v_cndmask_b32_e64 v96, v96, v102, s28
	v_cndmask_b32_e64 v97, v97, v102, s27
	v_cndmask_b32_e64 v87, v87, v102, s26
	v_cndmask_b32_e64 v98, v94, v114, s29
	v_cndmask_b32_e64 v94, v95, v114, s30
	v_cndmask_b32_e64 v95, v96, v118, s30
	v_cndmask_b32_e64 v96, v97, v118, s29
	v_cndmask_b32_e64 v97, v87, v118, s31
	v_cndmask_b32_e64 v91, v91, v118, s9
	v_perm_b32 v87, v93, v92, 0x5040100
	v_perm_b32 v94, v95, v94, 0x5040100
	;; [unrolled: 1-line block ×5, first 2 shown]
	s_mul_i32 s8, s35, 7
	s_mov_b32 s4, exec_lo
	ds_store_b128 v78, v[87:90]
	ds_store_b128 v78, v[91:94] offset:1024
	v_cmpx_gt_u32_e32 7, v0
	s_cbranch_execz .LBB160_16
; %bb.15:
	s_mul_i32 s5, s8, s34
	s_load_b128 s[16:19], s[0:1], 0x58
	v_add3_u32 v77, s5, s33, v77
	s_delay_alu instid0(VALU_DEP_1) | instskip(NEXT) | instid1(VALU_DEP_1)
	v_mad_u64_u32 v[87:88], null, v77, s36, s[14:15]
	v_ashrrev_i32_e32 v88, 31, v87
	s_delay_alu instid0(VALU_DEP_1) | instskip(SKIP_1) | instid1(VALU_DEP_1)
	v_lshlrev_b64 v[87:88], 2, v[87:88]
	s_waitcnt lgkmcnt(0)
	v_add_co_u32 v89, vcc_lo, s18, v87
	s_delay_alu instid0(VALU_DEP_2)
	v_add_co_ci_u32_e32 v90, vcc_lo, s19, v88, vcc_lo
	v_add_co_u32 v87, vcc_lo, s16, v87
	v_add_co_ci_u32_e32 v88, vcc_lo, s17, v88, vcc_lo
	global_store_b32 v[89:90], v85, off
	global_store_b32 v[87:88], v86, off
.LBB160_16:
	s_or_b32 exec_lo, exec_lo, s4
	s_waitcnt lgkmcnt(0)
	s_waitcnt_vscnt null, 0x0
	s_barrier
	buffer_gl0_inv
	ds_load_b128 v[93:96], v79
	ds_load_b128 v[97:100], v79 offset:16
	ds_load_b128 v[105:108], v79 offset:1040
	;; [unrolled: 1-line block ×5, first 2 shown]
	v_cmp_eq_u32_e32 vcc_lo, 1, v84
	v_mov_b32_e32 v85, 0
	ds_load_b128 v[121:124], v79 offset:3088
	ds_load_b128 v[117:120], v79 offset:3072
	;; [unrolled: 1-line block ×4, first 2 shown]
	v_cmp_eq_u32_e64 s4, 1, v80
	v_cmp_eq_u32_e64 s5, 1, v83
	;; [unrolled: 1-line block ×3, first 2 shown]
	v_mov_b32_e32 v86, v85
	v_mov_b32_e32 v87, v85
	;; [unrolled: 1-line block ×7, first 2 shown]
	v_cmp_eq_u32_e64 s7, 2, v80
	s_waitcnt lgkmcnt(8)
	s_delay_alu instid0(VALU_DEP_2)
	v_wmma_f32_16x16x16_f16 v[85:92], v[65:72], v[93:100], v[85:92]
	ds_load_b128 v[69:72], v79 offset:5136
	ds_load_b128 v[65:68], v79 offset:5120
	;; [unrolled: 1-line block ×4, first 2 shown]
	s_waitcnt lgkmcnt(10)
	v_wmma_f32_16x16x16_f16 v[85:92], v[57:64], v[101:108], v[85:92]
	s_waitcnt lgkmcnt(8)
	s_delay_alu instid0(VALU_DEP_1)
	v_wmma_f32_16x16x16_f16 v[85:92], v[57:64], v[109:116], v[85:92]
	ds_load_b128 v[61:64], v79 offset:7184
	ds_load_b128 v[57:60], v79 offset:7168
	;; [unrolled: 1-line block ×4, first 2 shown]
	s_waitcnt lgkmcnt(10)
	v_wmma_f32_16x16x16_f16 v[85:92], v[49:56], v[117:124], v[85:92]
	s_waitcnt lgkmcnt(8)
	s_delay_alu instid0(VALU_DEP_1)
	v_wmma_f32_16x16x16_f16 v[85:92], v[49:56], v[125:132], v[85:92]
	ds_load_b128 v[53:56], v79 offset:9232
	ds_load_b128 v[49:52], v79 offset:9216
	s_waitcnt lgkmcnt(8)
	v_wmma_f32_16x16x16_f16 v[85:92], v[41:48], v[65:72], v[85:92]
	ds_load_b128 v[69:72], v79 offset:10256
	ds_load_b128 v[65:68], v79 offset:10240
	s_waitcnt lgkmcnt(8)
	v_wmma_f32_16x16x16_f16 v[85:92], v[41:48], v[93:100], v[85:92]
	ds_load_b128 v[45:48], v79 offset:11280
	ds_load_b128 v[41:44], v79 offset:11264
	s_waitcnt lgkmcnt(8)
	v_wmma_f32_16x16x16_f16 v[85:92], v[9:16], v[57:64], v[85:92]
	ds_load_b128 v[61:64], v79 offset:12304
	ds_load_b128 v[57:60], v79 offset:12288
	s_waitcnt lgkmcnt(8)
	v_wmma_f32_16x16x16_f16 v[85:92], v[9:16], v[101:108], v[85:92]
	ds_load_b128 v[13:16], v79 offset:13328
	ds_load_b128 v[9:12], v79 offset:13312
	s_waitcnt lgkmcnt(8)
	v_wmma_f32_16x16x16_f16 v[85:92], v[1:8], v[49:56], v[85:92]
	ds_load_b128 v[53:56], v79 offset:14352
	ds_load_b128 v[49:52], v79 offset:14336
	s_waitcnt lgkmcnt(8)
	v_wmma_f32_16x16x16_f16 v[85:92], v[1:8], v[65:72], v[85:92]
	ds_load_b128 v[5:8], v79 offset:15376
	ds_load_b128 v[1:4], v79 offset:15360
	s_waitcnt lgkmcnt(0)
	s_barrier
	buffer_gl0_inv
	v_wmma_f32_16x16x16_f16 v[85:92], v[33:40], v[41:48], v[85:92]
	s_delay_alu instid0(VALU_DEP_1) | instskip(NEXT) | instid1(VALU_DEP_1)
	v_wmma_f32_16x16x16_f16 v[85:92], v[33:40], v[57:64], v[85:92]
	v_wmma_f32_16x16x16_f16 v[85:92], v[25:32], v[9:16], v[85:92]
	s_delay_alu instid0(VALU_DEP_1) | instskip(NEXT) | instid1(VALU_DEP_1)
	v_wmma_f32_16x16x16_f16 v[85:92], v[25:32], v[49:56], v[85:92]
	v_wmma_f32_16x16x16_f16 v[85:92], v[17:24], v[1:8], v[85:92]
	s_delay_alu instid0(VALU_DEP_1) | instskip(NEXT) | instid1(VALU_DEP_2)
	v_cvt_f16_f32_e32 v1, v85
	v_cvt_f16_f32_e32 v2, v86
	s_delay_alu instid0(VALU_DEP_3) | instskip(NEXT) | instid1(VALU_DEP_4)
	v_cvt_f16_f32_e32 v3, v87
	v_cvt_f16_f32_e32 v4, v88
	;; [unrolled: 1-line block ×6, first 2 shown]
	v_pack_b32_f16 v1, v1, v2
	v_pack_b32_f16 v2, v3, v4
	;; [unrolled: 1-line block ×3, first 2 shown]
	s_delay_alu instid0(VALU_DEP_4)
	v_pack_b32_f16 v4, v7, v8
	ds_store_b128 v78, v[1:4]
	s_waitcnt lgkmcnt(0)
	s_barrier
	buffer_gl0_inv
	ds_load_b128 v[1:4], v81
	ds_load_b128 v[5:8], v81 offset:16
	s_waitcnt lgkmcnt(1)
	v_lshrrev_b32_e32 v9, 16, v1
	s_waitcnt lgkmcnt(0)
	v_lshrrev_b32_e32 v13, 16, v5
	v_lshrrev_b32_e32 v15, 16, v7
	;; [unrolled: 1-line block ×4, first 2 shown]
	v_cndmask_b32_e64 v17, v1, v9, s4
	v_cndmask_b32_e64 v18, v5, v13, s4
	;; [unrolled: 1-line block ×3, first 2 shown]
	v_cmp_eq_u32_e64 s4, 2, v82
	v_cndmask_b32_e64 v20, v5, v13, s6
	v_cndmask_b32_e32 v21, v1, v9, vcc_lo
	v_cndmask_b32_e32 v22, v5, v13, vcc_lo
	v_cndmask_b32_e64 v1, v1, v9, s5
	v_cndmask_b32_e64 v5, v5, v13, s5
	v_cmp_eq_u32_e32 vcc_lo, 2, v84
	v_cmp_eq_u32_e64 s5, 2, v83
	v_cndmask_b32_e64 v9, v17, v2, s7
	v_cndmask_b32_e64 v13, v18, v6, s7
	v_cndmask_b32_e64 v17, v19, v2, s4
	v_cndmask_b32_e64 v18, v20, v6, s4
	v_cndmask_b32_e32 v19, v21, v2, vcc_lo
	v_cmp_eq_u32_e64 s4, 3, v84
	v_cndmask_b32_e32 v20, v22, v6, vcc_lo
	v_cndmask_b32_e64 v1, v1, v2, s5
	v_cmp_eq_u32_e32 vcc_lo, 3, v83
	v_cmp_eq_u32_e64 s6, 3, v80
	v_cndmask_b32_e64 v2, v5, v6, s5
	v_cmp_eq_u32_e64 s5, 3, v82
	v_lshrrev_b32_e32 v16, 16, v8
	v_cmp_eq_u32_e64 s7, 4, v80
	v_cndmask_b32_e64 v5, v9, v10, s6
	v_cndmask_b32_e64 v6, v13, v14, s6
	;; [unrolled: 1-line block ×3, first 2 shown]
	v_cmp_eq_u32_e64 s6, 4, v82
	v_cndmask_b32_e64 v13, v18, v14, s5
	v_cndmask_b32_e64 v17, v19, v10, s4
	;; [unrolled: 1-line block ×3, first 2 shown]
	v_cndmask_b32_e32 v1, v1, v10, vcc_lo
	v_cndmask_b32_e32 v2, v2, v14, vcc_lo
	v_cmp_eq_u32_e32 vcc_lo, 4, v84
	v_cmp_eq_u32_e64 s5, 4, v83
	v_lshrrev_b32_e32 v11, 16, v3
	v_cndmask_b32_e64 v5, v5, v3, s7
	v_cndmask_b32_e64 v6, v6, v7, s7
	;; [unrolled: 1-line block ×4, first 2 shown]
	v_cndmask_b32_e32 v13, v17, v3, vcc_lo
	v_cmp_eq_u32_e64 s4, 5, v84
	v_cndmask_b32_e32 v14, v18, v7, vcc_lo
	v_cndmask_b32_e64 v1, v1, v3, s5
	v_cmp_eq_u32_e32 vcc_lo, 5, v83
	v_cmp_eq_u32_e64 s6, 5, v80
	v_cndmask_b32_e64 v2, v2, v7, s5
	v_cmp_eq_u32_e64 s5, 5, v82
	v_cmp_eq_u32_e64 s7, 6, v80
	v_cndmask_b32_e32 v1, v1, v11, vcc_lo
	v_cndmask_b32_e64 v3, v5, v11, s6
	v_cndmask_b32_e64 v5, v6, v15, s6
	;; [unrolled: 1-line block ×3, first 2 shown]
	v_cmp_eq_u32_e64 s6, 6, v82
	v_cndmask_b32_e64 v7, v10, v15, s5
	v_cndmask_b32_e64 v9, v13, v11, s4
	;; [unrolled: 1-line block ×3, first 2 shown]
	v_cndmask_b32_e32 v2, v2, v15, vcc_lo
	v_cmp_eq_u32_e32 vcc_lo, 6, v84
	v_cmp_eq_u32_e64 s4, 6, v83
	v_lshrrev_b32_e32 v12, 16, v4
	v_cndmask_b32_e64 v3, v3, v4, s7
	v_cndmask_b32_e64 v5, v5, v8, s7
	;; [unrolled: 1-line block ×4, first 2 shown]
	v_cndmask_b32_e32 v9, v9, v4, vcc_lo
	v_cmp_eq_u32_e64 s5, 7, v84
	v_cndmask_b32_e32 v10, v10, v8, vcc_lo
	v_cndmask_b32_e64 v1, v1, v4, s4
	v_cmp_eq_u32_e32 vcc_lo, 7, v83
	v_cndmask_b32_e64 v2, v2, v8, s4
	v_cmp_eq_u32_e64 s4, 7, v80
	v_cmp_eq_u32_e64 s6, 7, v82
	v_cndmask_b32_e32 v1, v1, v12, vcc_lo
	s_delay_alu instid0(VALU_DEP_4) | instskip(NEXT) | instid1(VALU_DEP_4)
	v_cndmask_b32_e32 v2, v2, v16, vcc_lo
	v_cndmask_b32_e64 v8, v3, v12, s4
	s_delay_alu instid0(VALU_DEP_4)
	v_cndmask_b32_e64 v6, v6, v12, s6
	v_cndmask_b32_e64 v3, v9, v12, s5
	;; [unrolled: 1-line block ×5, first 2 shown]
	v_cmp_gt_u32_e32 vcc_lo, 32, v0
	v_perm_b32 v4, v2, v1, 0x5040100
	v_perm_b32 v3, v9, v3, 0x5040100
	;; [unrolled: 1-line block ×4, first 2 shown]
	s_and_b32 s2, vcc_lo, s2
	ds_store_b128 v78, v[1:4]
	s_waitcnt lgkmcnt(0)
	s_barrier
	buffer_gl0_inv
	s_and_saveexec_b32 s4, s2
	s_cbranch_execz .LBB160_2
; %bb.17:
	s_load_b64 s[4:5], s[0:1], 0x68
	v_lshlrev_b32_e32 v0, 10, v0
	v_add_nc_u32_e32 v2, s33, v75
	v_lshlrev_b32_e32 v3, 4, v76
	s_lshl_b32 s0, s36, 6
	s_delay_alu instid0(SALU_CYCLE_1) | instskip(NEXT) | instid1(VALU_DEP_2)
	s_mul_i32 s1, s0, s34
	v_mul_lo_u32 v1, v2, s0
	s_delay_alu instid0(VALU_DEP_2)
	v_and_or_b32 v0, 0x3800, v0, v3
	v_add_nc_u32_e32 v3, 2, v2
	s_mul_i32 s6, s1, s8
	v_add_nc_u32_e32 v4, 4, v2
	s_ashr_i32 s7, s6, 31
	v_lshl_or_b32 v11, v75, 6, v0
	s_lshl_b64 s[6:7], s[6:7], 1
	v_mul_lo_u32 v15, v3, s0
	v_mul_lo_u32 v17, v4, s0
	v_ashrrev_i32_e32 v2, 31, v1
	ds_load_b128 v[3:6], v11
	ds_load_b128 v[7:10], v11 offset:128
	ds_load_b128 v[11:14], v11 offset:256
	s_waitcnt lgkmcnt(0)
	s_add_u32 s1, s4, s6
	s_addc_u32 s2, s5, s7
	s_lshl_b32 s4, s14, 6
	v_ashrrev_i32_e32 v16, 31, v15
	s_ashr_i32 s5, s4, 31
	v_lshlrev_b64 v[19:20], 1, v[1:2]
	s_lshl_b64 s[4:5], s[4:5], 1
	v_ashrrev_i32_e32 v18, 31, v17
	s_add_u32 s1, s1, s4
	s_addc_u32 s2, s2, s5
	v_add_co_u32 v1, vcc_lo, s1, v73
	v_add_co_ci_u32_e32 v2, vcc_lo, s2, v74, vcc_lo
	v_lshlrev_b64 v[15:16], 1, v[15:16]
	s_delay_alu instid0(VALU_DEP_3) | instskip(SKIP_1) | instid1(VALU_DEP_4)
	v_add_co_u32 v19, vcc_lo, v1, v19
	v_lshlrev_b64 v[17:18], 1, v[17:18]
	v_add_co_ci_u32_e32 v20, vcc_lo, v2, v20, vcc_lo
	s_delay_alu instid0(VALU_DEP_4) | instskip(SKIP_1) | instid1(VALU_DEP_4)
	v_add_co_u32 v15, vcc_lo, v1, v15
	v_add_co_ci_u32_e32 v16, vcc_lo, v2, v16, vcc_lo
	v_add_co_u32 v17, vcc_lo, v1, v17
	v_add_co_ci_u32_e32 v18, vcc_lo, v2, v18, vcc_lo
	s_clause 0x2
	global_store_b128 v[19:20], v[3:6], off
	global_store_b128 v[15:16], v[7:10], off
	;; [unrolled: 1-line block ×3, first 2 shown]
	s_and_b32 exec_lo, exec_lo, s3
	s_cbranch_execz .LBB160_2
; %bb.18:
	ds_load_b128 v[3:6], v0 offset:384
	s_add_i32 s1, s33, 6
	s_delay_alu instid0(SALU_CYCLE_1) | instskip(NEXT) | instid1(SALU_CYCLE_1)
	s_mul_i32 s0, s1, s0
	s_ashr_i32 s1, s0, 31
	s_delay_alu instid0(SALU_CYCLE_1) | instskip(NEXT) | instid1(SALU_CYCLE_1)
	s_lshl_b64 s[0:1], s[0:1], 1
	v_add_co_u32 v0, vcc_lo, v1, s0
	v_add_co_ci_u32_e32 v1, vcc_lo, s1, v2, vcc_lo
	s_waitcnt lgkmcnt(0)
	global_store_b128 v[0:1], v[3:6], off
	s_nop 0
	s_sendmsg sendmsg(MSG_DEALLOC_VGPRS)
	s_endpgm
	.section	.rodata,"a",@progbits
	.p2align	6, 0x0
	.amdhsa_kernel _Z39paged_attention_ll4mi_QKV_mfma16_kernelIDF16_DF16_LN4vllm18Fp8KVCacheDataTypeE0EDF16_Li32ELi64ELi256ELb1ELi7EL8MFMAType0EEvPKT_PKT0_S8_ifPKiSA_SA_iPKfiiiPfSD_PS3_PT2_iSC_SC_
		.amdhsa_group_segment_fixed_size 17472
		.amdhsa_private_segment_fixed_size 0
		.amdhsa_kernarg_size 400
		.amdhsa_user_sgpr_count 13
		.amdhsa_user_sgpr_dispatch_ptr 0
		.amdhsa_user_sgpr_queue_ptr 0
		.amdhsa_user_sgpr_kernarg_segment_ptr 1
		.amdhsa_user_sgpr_dispatch_id 0
		.amdhsa_user_sgpr_private_segment_size 0
		.amdhsa_wavefront_size32 1
		.amdhsa_uses_dynamic_stack 0
		.amdhsa_enable_private_segment 0
		.amdhsa_system_sgpr_workgroup_id_x 1
		.amdhsa_system_sgpr_workgroup_id_y 1
		.amdhsa_system_sgpr_workgroup_id_z 1
		.amdhsa_system_sgpr_workgroup_info 0
		.amdhsa_system_vgpr_workitem_id 0
		.amdhsa_next_free_vgpr 154
		.amdhsa_next_free_sgpr 39
		.amdhsa_reserve_vcc 1
		.amdhsa_float_round_mode_32 0
		.amdhsa_float_round_mode_16_64 0
		.amdhsa_float_denorm_mode_32 3
		.amdhsa_float_denorm_mode_16_64 3
		.amdhsa_dx10_clamp 1
		.amdhsa_ieee_mode 1
		.amdhsa_fp16_overflow 0
		.amdhsa_workgroup_processor_mode 1
		.amdhsa_memory_ordered 1
		.amdhsa_forward_progress 0
		.amdhsa_shared_vgpr_count 0
		.amdhsa_exception_fp_ieee_invalid_op 0
		.amdhsa_exception_fp_denorm_src 0
		.amdhsa_exception_fp_ieee_div_zero 0
		.amdhsa_exception_fp_ieee_overflow 0
		.amdhsa_exception_fp_ieee_underflow 0
		.amdhsa_exception_fp_ieee_inexact 0
		.amdhsa_exception_int_div_zero 0
	.end_amdhsa_kernel
	.section	.text._Z39paged_attention_ll4mi_QKV_mfma16_kernelIDF16_DF16_LN4vllm18Fp8KVCacheDataTypeE0EDF16_Li32ELi64ELi256ELb1ELi7EL8MFMAType0EEvPKT_PKT0_S8_ifPKiSA_SA_iPKfiiiPfSD_PS3_PT2_iSC_SC_,"axG",@progbits,_Z39paged_attention_ll4mi_QKV_mfma16_kernelIDF16_DF16_LN4vllm18Fp8KVCacheDataTypeE0EDF16_Li32ELi64ELi256ELb1ELi7EL8MFMAType0EEvPKT_PKT0_S8_ifPKiSA_SA_iPKfiiiPfSD_PS3_PT2_iSC_SC_,comdat
.Lfunc_end160:
	.size	_Z39paged_attention_ll4mi_QKV_mfma16_kernelIDF16_DF16_LN4vllm18Fp8KVCacheDataTypeE0EDF16_Li32ELi64ELi256ELb1ELi7EL8MFMAType0EEvPKT_PKT0_S8_ifPKiSA_SA_iPKfiiiPfSD_PS3_PT2_iSC_SC_, .Lfunc_end160-_Z39paged_attention_ll4mi_QKV_mfma16_kernelIDF16_DF16_LN4vllm18Fp8KVCacheDataTypeE0EDF16_Li32ELi64ELi256ELb1ELi7EL8MFMAType0EEvPKT_PKT0_S8_ifPKiSA_SA_iPKfiiiPfSD_PS3_PT2_iSC_SC_
                                        ; -- End function
	.section	.AMDGPU.csdata,"",@progbits
; Kernel info:
; codeLenInByte = 7276
; NumSgprs: 41
; NumVgprs: 154
; ScratchSize: 0
; MemoryBound: 0
; FloatMode: 240
; IeeeMode: 1
; LDSByteSize: 17472 bytes/workgroup (compile time only)
; SGPRBlocks: 5
; VGPRBlocks: 19
; NumSGPRsForWavesPerEU: 41
; NumVGPRsForWavesPerEU: 154
; Occupancy: 9
; WaveLimiterHint : 1
; COMPUTE_PGM_RSRC2:SCRATCH_EN: 0
; COMPUTE_PGM_RSRC2:USER_SGPR: 13
; COMPUTE_PGM_RSRC2:TRAP_HANDLER: 0
; COMPUTE_PGM_RSRC2:TGID_X_EN: 1
; COMPUTE_PGM_RSRC2:TGID_Y_EN: 1
; COMPUTE_PGM_RSRC2:TGID_Z_EN: 1
; COMPUTE_PGM_RSRC2:TIDIG_COMP_CNT: 0
	.section	.text._Z39paged_attention_ll4mi_QKV_mfma16_kernelIDF16_DF16_LN4vllm18Fp8KVCacheDataTypeE0EDF16_Li32ELi64ELi256ELb1ELi8EL8MFMAType0EEvPKT_PKT0_S8_ifPKiSA_SA_iPKfiiiPfSD_PS3_PT2_iSC_SC_,"axG",@progbits,_Z39paged_attention_ll4mi_QKV_mfma16_kernelIDF16_DF16_LN4vllm18Fp8KVCacheDataTypeE0EDF16_Li32ELi64ELi256ELb1ELi8EL8MFMAType0EEvPKT_PKT0_S8_ifPKiSA_SA_iPKfiiiPfSD_PS3_PT2_iSC_SC_,comdat
	.protected	_Z39paged_attention_ll4mi_QKV_mfma16_kernelIDF16_DF16_LN4vllm18Fp8KVCacheDataTypeE0EDF16_Li32ELi64ELi256ELb1ELi8EL8MFMAType0EEvPKT_PKT0_S8_ifPKiSA_SA_iPKfiiiPfSD_PS3_PT2_iSC_SC_ ; -- Begin function _Z39paged_attention_ll4mi_QKV_mfma16_kernelIDF16_DF16_LN4vllm18Fp8KVCacheDataTypeE0EDF16_Li32ELi64ELi256ELb1ELi8EL8MFMAType0EEvPKT_PKT0_S8_ifPKiSA_SA_iPKfiiiPfSD_PS3_PT2_iSC_SC_
	.globl	_Z39paged_attention_ll4mi_QKV_mfma16_kernelIDF16_DF16_LN4vllm18Fp8KVCacheDataTypeE0EDF16_Li32ELi64ELi256ELb1ELi8EL8MFMAType0EEvPKT_PKT0_S8_ifPKiSA_SA_iPKfiiiPfSD_PS3_PT2_iSC_SC_
	.p2align	8
	.type	_Z39paged_attention_ll4mi_QKV_mfma16_kernelIDF16_DF16_LN4vllm18Fp8KVCacheDataTypeE0EDF16_Li32ELi64ELi256ELb1ELi8EL8MFMAType0EEvPKT_PKT0_S8_ifPKiSA_SA_iPKfiiiPfSD_PS3_PT2_iSC_SC_,@function
_Z39paged_attention_ll4mi_QKV_mfma16_kernelIDF16_DF16_LN4vllm18Fp8KVCacheDataTypeE0EDF16_Li32ELi64ELi256ELb1ELi8EL8MFMAType0EEvPKT_PKT0_S8_ifPKiSA_SA_iPKfiiiPfSD_PS3_PT2_iSC_SC_: ; @_Z39paged_attention_ll4mi_QKV_mfma16_kernelIDF16_DF16_LN4vllm18Fp8KVCacheDataTypeE0EDF16_Li32ELi64ELi256ELb1ELi8EL8MFMAType0EEvPKT_PKT0_S8_ifPKiSA_SA_iPKfiiiPfSD_PS3_PT2_iSC_SC_
; %bb.0:
	s_load_b64 s[2:3], s[0:1], 0x30
	s_mov_b32 s34, s13
	s_waitcnt lgkmcnt(0)
	s_cmp_lg_u64 s[2:3], 0
	s_cselect_b32 s6, -1, 0
	s_ashr_i32 s35, s13, 31
	s_cmp_eq_u64 s[2:3], 0
	s_cbranch_scc1 .LBB161_3
; %bb.1:
	s_lshl_b64 s[4:5], s[34:35], 2
	s_delay_alu instid0(SALU_CYCLE_1) | instskip(SKIP_4) | instid1(SALU_CYCLE_1)
	s_add_u32 s4, s2, s4
	s_addc_u32 s5, s3, s5
	s_load_b64 s[4:5], s[4:5], 0x0
	s_waitcnt lgkmcnt(0)
	s_sub_i32 s4, s5, s4
	s_cmp_eq_u32 s4, 1
	s_cselect_b32 s4, -1, 0
	s_delay_alu instid0(SALU_CYCLE_1)
	s_and_not1_b32 vcc_lo, exec_lo, s4
	s_cbranch_vccz .LBB161_4
.LBB161_2:
	s_endpgm
.LBB161_3:
.LBB161_4:
	s_load_b64 s[8:9], s[0:1], 0x28
	s_lshl_b64 s[4:5], s[34:35], 2
	s_waitcnt lgkmcnt(0)
	s_add_u32 s8, s8, s4
	s_addc_u32 s9, s9, s5
	s_lshl_b32 s16, s14, 8
	s_load_b32 s18, s[8:9], 0x0
	s_waitcnt lgkmcnt(0)
	s_cmp_ge_i32 s16, s18
	s_cbranch_scc1 .LBB161_2
; %bb.5:
	s_and_not1_b32 vcc_lo, exec_lo, s6
	s_cbranch_vccnz .LBB161_7
; %bb.6:
	s_add_u32 s2, s2, s4
	s_addc_u32 s3, s3, s5
	s_load_b32 s17, s[2:3], 0x0
	s_branch .LBB161_8
.LBB161_7:
	s_mov_b32 s17, s34
.LBB161_8:
	s_clause 0x2
	s_load_b128 s[8:11], s[0:1], 0x8
	s_load_b64 s[12:13], s[0:1], 0x20
	s_load_b128 s[4:7], s[0:1], 0x48
	v_and_b32_e32 v79, 15, v0
	v_cmp_lt_u32_e32 vcc_lo, 0x7f, v0
	s_delay_alu instid0(VALU_DEP_2) | instskip(SKIP_2) | instid1(VALU_DEP_3)
	v_cmp_lt_u32_e64 s3, 7, v79
	v_lshlrev_b32_e32 v1, 3, v79
	v_cmp_gt_u32_e64 s2, 8, v79
	s_or_b32 s3, vcc_lo, s3
	s_waitcnt lgkmcnt(0)
	s_and_saveexec_b32 s7, s3
	s_delay_alu instid0(SALU_CYCLE_1)
	s_xor_b32 s3, exec_lo, s7
; %bb.9:
	v_mov_b32_e32 v2, 0
; %bb.10:
	s_or_saveexec_b32 s3, s3
	v_lshrrev_b32_e32 v78, 5, v0
	v_and_b32_e32 v80, 31, v0
	v_and_b32_e32 v76, 1, v0
	v_bfe_u32 v75, v0, 4, 1
	s_lshl_b32 s31, s15, 3
	s_xor_b32 exec_lo, exec_lo, s3
	s_cbranch_execz .LBB161_12
; %bb.11:
	s_delay_alu instid0(VALU_DEP_1)
	v_lshl_or_b32 v7, v78, 1, v75
	s_load_b64 s[20:21], s[0:1], 0x0
	s_mul_hi_i32 s23, s17, s4
	s_mul_i32 s22, s17, s4
	v_lshlrev_b32_e32 v4, 1, v1
	v_or_b32_e32 v2, s31, v7
	s_lshl_b64 s[22:23], s[22:23], 1
	v_lshlrev_b32_e32 v7, 6, v7
	v_lshlrev_b32_e32 v8, 10, v76
	s_delay_alu instid0(VALU_DEP_3) | instskip(NEXT) | instid1(VALU_DEP_1)
	v_lshlrev_b32_e32 v2, 6, v2
	v_ashrrev_i32_e32 v3, 31, v2
	s_delay_alu instid0(VALU_DEP_1) | instskip(SKIP_3) | instid1(VALU_DEP_1)
	v_lshlrev_b64 v[2:3], 1, v[2:3]
	s_waitcnt lgkmcnt(0)
	s_add_u32 s4, s20, s22
	s_addc_u32 s7, s21, s23
	v_add_co_u32 v2, vcc_lo, s4, v2
	s_delay_alu instid0(VALU_DEP_2) | instskip(NEXT) | instid1(VALU_DEP_2)
	v_add_co_ci_u32_e32 v3, vcc_lo, s7, v3, vcc_lo
	v_add_co_u32 v2, vcc_lo, v2, v4
	s_delay_alu instid0(VALU_DEP_2) | instskip(SKIP_2) | instid1(VALU_DEP_1)
	v_add_co_ci_u32_e32 v3, vcc_lo, 0, v3, vcc_lo
	global_load_b128 v[3:6], v[2:3], off
	v_lshlrev_b32_e32 v2, 10, v79
	v_and_b32_e32 v2, 0x3800, v2
	s_delay_alu instid0(VALU_DEP_1)
	v_or3_b32 v7, v2, v8, v7
	v_mov_b32_e32 v2, 0
	s_waitcnt vmcnt(0)
	ds_store_b128 v7, v[3:6]
.LBB161_12:
	s_or_b32 exec_lo, exec_lo, s3
	v_and_b32_e32 v3, 0xef, v0
	s_add_i32 s3, s18, 31
	s_clause 0x1
	s_load_b32 s4, s[0:1], 0x38
	s_load_b32 s33, s[0:1], 0x98
	s_ashr_i32 s7, s3, 31
	v_add_nc_u32_e32 v3, s16, v3
	s_lshr_b32 s7, s7, 27
	s_load_b32 s19, s[0:1], 0x1c
	s_add_i32 s3, s3, s7
	s_waitcnt lgkmcnt(0)
	v_ashrrev_i32_e32 v4, 31, v3
	v_cmp_gt_i32_e32 vcc_lo, s18, v3
	s_ashr_i32 s3, s3, 5
	s_barrier
	s_add_i32 s3, s3, -1
	v_lshrrev_b32_e32 v5, 27, v4
	v_or_b32_e32 v4, 16, v3
	buffer_gl0_inv
	s_mul_i32 s6, s15, s6
	v_lshlrev_b64 v[73:74], 1, v[1:2]
	v_add_nc_u32_e32 v6, v3, v5
	v_add_nc_u32_e32 v5, v4, v5
	s_mul_i32 s20, s34, s4
	v_lshlrev_b32_e32 v77, 6, v79
	s_ashr_i32 s21, s20, 31
	v_ashrrev_i32_e32 v6, 5, v6
	v_ashrrev_i32_e32 v5, 5, v5
	s_lshl_b64 s[20:21], s[20:21], 2
	v_lshl_or_b32 v33, v78, 10, v77
	s_add_u32 s4, s12, s20
	v_cndmask_b32_e32 v3, s3, v6, vcc_lo
	v_cmp_gt_i32_e32 vcc_lo, s18, v4
	s_addc_u32 s17, s13, s21
	s_ashr_i32 s7, s6, 31
	s_delay_alu instid0(SALU_CYCLE_1)
	s_lshl_b64 s[6:7], s[6:7], 1
	v_cndmask_b32_e32 v5, s3, v5, vcc_lo
	v_ashrrev_i32_e32 v4, 31, v3
	s_add_u32 s15, s8, s6
	s_addc_u32 s28, s9, s7
	s_lshl_b32 s8, s14, 3
	v_ashrrev_i32_e32 v6, 31, v5
	v_lshlrev_b64 v[3:4], 2, v[3:4]
	s_ashr_i32 s9, s8, 31
	s_delay_alu instid0(SALU_CYCLE_1) | instskip(NEXT) | instid1(VALU_DEP_2)
	s_lshl_b64 s[8:9], s[8:9], 2
	v_lshlrev_b64 v[5:6], 2, v[5:6]
	s_add_u32 s8, s4, s8
	s_delay_alu instid0(VALU_DEP_2) | instskip(SKIP_1) | instid1(VALU_DEP_3)
	v_add_co_u32 v3, vcc_lo, s4, v3
	v_add_co_ci_u32_e32 v4, vcc_lo, s17, v4, vcc_lo
	v_add_co_u32 v5, vcc_lo, s4, v5
	s_delay_alu instid0(VALU_DEP_4)
	v_add_co_ci_u32_e32 v6, vcc_lo, s17, v6, vcc_lo
	s_addc_u32 s9, s17, s9
	s_clause 0x1
	global_load_b32 v7, v[3:4], off
	global_load_b32 v8, v[5:6], off
	s_or_b32 s12, s16, 32
	s_delay_alu instid0(SALU_CYCLE_1) | instskip(SKIP_2) | instid1(SALU_CYCLE_1)
	s_ashr_i32 s13, s12, 5
	s_cmp_lt_i32 s12, s18
	s_cselect_b32 s12, s13, s3
	s_ashr_i32 s13, s12, 31
	s_delay_alu instid0(SALU_CYCLE_1) | instskip(NEXT) | instid1(SALU_CYCLE_1)
	s_lshl_b64 s[12:13], s[12:13], 2
	s_add_u32 s12, s4, s12
	s_addc_u32 s13, s17, s13
	s_or_b32 s20, s16, 64
	s_delay_alu instid0(SALU_CYCLE_1) | instskip(SKIP_2) | instid1(SALU_CYCLE_1)
	s_ashr_i32 s21, s20, 5
	s_cmp_lt_i32 s20, s18
	s_cselect_b32 s20, s21, s3
	s_ashr_i32 s21, s20, 31
	s_delay_alu instid0(SALU_CYCLE_1) | instskip(NEXT) | instid1(SALU_CYCLE_1)
	s_lshl_b64 s[20:21], s[20:21], 2
	s_add_u32 s20, s4, s20
	s_addc_u32 s21, s17, s21
	;; [unrolled: 10-line block ×5, first 2 shown]
	s_clause 0x5
	s_load_b32 s29, s[8:9], 0x0
	s_load_b32 s30, s[12:13], 0x0
	;; [unrolled: 1-line block ×6, first 2 shown]
	s_or_b32 s8, s16, 0xc0
	s_mov_b32 s20, 0
	s_ashr_i32 s9, s8, 5
	s_cmp_lt_i32 s8, s18
	s_mov_b32 s27, s20
	s_cselect_b32 s8, s9, s3
	s_mov_b32 s21, s20
	s_ashr_i32 s9, s8, 31
	s_mov_b32 s22, s20
	s_lshl_b64 s[8:9], s[8:9], 2
	s_mov_b32 s23, s20
	s_add_u32 s8, s4, s8
	s_mov_b32 s24, s20
	s_mov_b32 s25, s20
	;; [unrolled: 1-line block ×3, first 2 shown]
	s_addc_u32 s9, s17, s9
	v_dual_mov_b32 v128, s27 :: v_dual_mov_b32 v127, s26
	v_dual_mov_b32 v126, s25 :: v_dual_mov_b32 v125, s24
	;; [unrolled: 1-line block ×3, first 2 shown]
	v_mov_b32_e32 v121, s20
	s_waitcnt lgkmcnt(0)
	s_mul_hi_i32 s13, s29, s5
	s_mul_i32 s12, s29, s5
	v_mov_b32_e32 v122, s21
	s_mul_hi_i32 s21, s30, s5
	s_mul_i32 s20, s30, s5
	s_mul_hi_i32 s25, s35, s5
	s_mul_i32 s24, s35, s5
	;; [unrolled: 2-line block ×3, first 2 shown]
	s_mul_i32 s36, s38, s5
	s_waitcnt vmcnt(1)
	v_mad_i64_i32 v[3:4], null, v7, s5, 0
	s_waitcnt vmcnt(0)
	v_mad_i64_i32 v[5:6], null, v8, s5, 0
	s_delay_alu instid0(VALU_DEP_2) | instskip(NEXT) | instid1(VALU_DEP_2)
	v_lshlrev_b64 v[3:4], 1, v[3:4]
	v_lshlrev_b64 v[1:2], 1, v[5:6]
	s_delay_alu instid0(VALU_DEP_2) | instskip(NEXT) | instid1(VALU_DEP_3)
	v_add_co_u32 v3, vcc_lo, s15, v3
	v_add_co_ci_u32_e32 v4, vcc_lo, s28, v4, vcc_lo
	s_delay_alu instid0(VALU_DEP_3) | instskip(NEXT) | instid1(VALU_DEP_4)
	v_add_co_u32 v1, vcc_lo, s15, v1
	v_add_co_ci_u32_e32 v2, vcc_lo, s28, v2, vcc_lo
	s_delay_alu instid0(VALU_DEP_4) | instskip(NEXT) | instid1(VALU_DEP_4)
	v_add_co_u32 v25, vcc_lo, v3, v73
	v_add_co_ci_u32_e32 v26, vcc_lo, v4, v74, vcc_lo
	s_delay_alu instid0(VALU_DEP_4) | instskip(NEXT) | instid1(VALU_DEP_4)
	v_add_co_u32 v27, vcc_lo, v1, v73
	v_add_co_ci_u32_e32 v28, vcc_lo, v2, v74, vcc_lo
	s_clause 0xf
	global_load_b128 v[1:4], v[25:26], off
	global_load_b128 v[5:8], v[25:26], off offset:512
	global_load_b128 v[9:12], v[27:28], off offset:256
	;; [unrolled: 1-line block ×15, first 2 shown]
	s_or_b32 s15, s16, 0xe0
	v_and_b32_e32 v25, 7, v0
	s_ashr_i32 s22, s15, 5
	s_cmp_lt_i32 s15, s18
	s_cselect_b32 s22, s22, s3
	s_delay_alu instid0(VALU_DEP_1)
	v_lshlrev_b32_e32 v151, 6, v25
	s_ashr_i32 s23, s22, 31
	ds_load_b128 v[25:28], v151
	ds_load_b128 v[29:32], v151 offset:1024
	s_lshl_b64 s[22:23], s[22:23], 2
	ds_load_b128 v[129:132], v151 offset:2048
	ds_load_b128 v[133:136], v151 offset:3072
	s_add_u32 s22, s4, s22
	s_addc_u32 s23, s17, s23
	s_add_i32 s15, s16, 0x100
	s_delay_alu instid0(SALU_CYCLE_1)
	s_ashr_i32 s28, s15, 5
	s_cmp_lt_i32 s15, s18
	s_load_b32 s15, s[8:9], 0x0
	s_cselect_b32 s28, s28, s3
	s_mul_hi_i32 s9, s37, s5
	s_ashr_i32 s29, s28, 31
	s_mul_i32 s8, s37, s5
	s_lshl_b64 s[28:29], s[28:29], 2
	s_mul_hi_i32 s37, s38, s5
	s_add_u32 s28, s4, s28
	s_addc_u32 s29, s17, s29
	s_add_u32 s3, s10, s6
	s_clause 0x1
	s_load_b32 s4, s[22:23], 0x0
	s_load_b32 s17, s[28:29], 0x0
	s_addc_u32 s28, s11, s7
	v_add_co_u32 v152, s3, s3, v33
	s_delay_alu instid0(VALU_DEP_1) | instskip(SKIP_2) | instid1(VALU_DEP_2)
	v_add_co_ci_u32_e64 v153, null, s28, 0, s3
	s_lshl_b64 s[6:7], s[12:13], 1
	s_lshl_b64 s[10:11], s[20:21], 1
	v_add_co_u32 v33, vcc_lo, v152, s6
	s_delay_alu instid0(VALU_DEP_2)
	v_add_co_ci_u32_e32 v34, vcc_lo, s7, v153, vcc_lo
	v_add_co_u32 v35, vcc_lo, v152, s10
	s_lshl_b64 s[12:13], s[24:25], 1
	v_add_co_ci_u32_e32 v36, vcc_lo, s11, v153, vcc_lo
	v_add_co_u32 v37, vcc_lo, v152, s12
	s_lshl_b64 s[20:21], s[26:27], 1
	;; [unrolled: 3-line block ×4, first 2 shown]
	s_waitcnt lgkmcnt(0)
	s_mul_hi_i32 s25, s15, s5
	s_mul_i32 s24, s15, s5
	v_add_co_ci_u32_e32 v146, vcc_lo, s9, v153, vcc_lo
	v_add_co_u32 v147, vcc_lo, v152, s22
	s_lshl_b64 s[24:25], s[24:25], 1
	v_add_co_ci_u32_e32 v148, vcc_lo, s23, v153, vcc_lo
	s_mul_hi_i32 s7, s4, s5
	s_mul_i32 s6, s4, s5
	v_add_co_u32 v149, vcc_lo, v152, s24
	s_lshl_b64 s[6:7], s[6:7], 1
	v_add_co_ci_u32_e32 v150, vcc_lo, s25, v153, vcc_lo
	s_clause 0x7
	global_load_b128 v[65:68], v[33:34], off
	global_load_b128 v[69:72], v[33:34], off offset:16
	global_load_b128 v[57:60], v[35:36], off
	global_load_b128 v[61:64], v[35:36], off offset:16
	;; [unrolled: 2-line block ×4, first 2 shown]
	s_waitcnt vmcnt(22)
	v_wmma_f32_16x16x16_f16 v[137:144], v[1:8], v[25:32], v[121:128]
	s_waitcnt vmcnt(20)
	v_wmma_f32_16x16x16_f16 v[121:128], v[9:16], v[25:32], v[121:128]
	v_add_co_u32 v29, vcc_lo, v152, s6
	v_add_co_ci_u32_e32 v30, vcc_lo, s7, v153, vcc_lo
	s_mul_hi_i32 s7, s17, s5
	s_mul_i32 s6, s17, s5
	s_waitcnt vmcnt(18)
	v_wmma_f32_16x16x16_f16 v[137:144], v[17:24], v[129:136], v[137:144]
	s_lshl_b64 s[4:5], s[6:7], 1
	s_clause 0x1
	global_load_b128 v[9:12], v[145:146], off
	global_load_b128 v[13:16], v[145:146], off offset:16
	v_add_co_u32 v21, vcc_lo, v152, s4
	v_add_co_ci_u32_e32 v22, vcc_lo, s5, v153, vcc_lo
	s_clause 0x7
	global_load_b128 v[1:4], v[147:148], off
	global_load_b128 v[5:8], v[147:148], off offset:16
	global_load_b128 v[33:36], v[149:150], off
	global_load_b128 v[37:40], v[149:150], off offset:16
	;; [unrolled: 2-line block ×4, first 2 shown]
	s_waitcnt vmcnt(26)
	v_wmma_f32_16x16x16_f16 v[121:128], v[81:88], v[129:136], v[121:128]
	ds_load_b128 v[81:84], v151 offset:4096
	ds_load_b128 v[85:88], v151 offset:5120
	v_mbcnt_lo_u32_b32 v130, -1, 0
	s_delay_alu instid0(VALU_DEP_1) | instskip(NEXT) | instid1(VALU_DEP_1)
	v_xor_b32_e32 v131, 16, v130
	v_cmp_gt_i32_e32 vcc_lo, 32, v131
	v_cndmask_b32_e32 v130, v130, v131, vcc_lo
	s_waitcnt vmcnt(24) lgkmcnt(0)
	v_wmma_f32_16x16x16_f16 v[137:144], v[89:96], v[81:88], v[137:144]
	ds_load_b128 v[89:92], v151 offset:6144
	ds_load_b128 v[93:96], v151 offset:7168
	s_waitcnt vmcnt(22)
	v_wmma_f32_16x16x16_f16 v[121:128], v[97:104], v[81:88], v[121:128]
	s_waitcnt vmcnt(0) lgkmcnt(0)
	s_barrier
	buffer_gl0_inv
	v_wmma_f32_16x16x16_f16 v[137:144], v[105:112], v[89:96], v[137:144]
	v_and_b32_e32 v129, 0xe0, v0
	v_wmma_f32_16x16x16_f16 v[121:128], v[113:120], v[89:96], v[121:128]
	s_delay_alu instid0(VALU_DEP_3) | instskip(NEXT) | instid1(VALU_DEP_2)
	v_mul_f32_e32 v96, s19, v137
	v_dual_mul_f32 v104, s19, v126 :: v_dual_add_nc_u32 v129, s16, v129
	v_mul_f32_e32 v95, s19, v138
	v_dual_mul_f32 v93, s19, v140 :: v_dual_mul_f32 v94, s19, v139
	s_delay_alu instid0(VALU_DEP_3) | instskip(SKIP_3) | instid1(VALU_DEP_4)
	v_or_b32_e32 v129, v129, v75
	v_dual_mul_f32 v91, s19, v142 :: v_dual_mul_f32 v106, s19, v124
	v_dual_mul_f32 v92, s19, v141 :: v_dual_mul_f32 v89, s19, v144
	v_mul_f32_e32 v108, s19, v122
	v_or_b32_e32 v131, 2, v129
	v_or_b32_e32 v132, 4, v129
	;; [unrolled: 1-line block ×3, first 2 shown]
	v_cmp_gt_i32_e32 vcc_lo, s18, v129
	v_or_b32_e32 v82, 8, v129
	v_cmp_gt_i32_e64 s3, s18, v131
	v_or_b32_e32 v83, 10, v129
	v_cmp_gt_i32_e64 s4, s18, v132
	v_cndmask_b32_e32 v96, 0xff7fffff, v96, vcc_lo
	v_cmp_gt_i32_e64 s5, s18, v81
	v_cndmask_b32_e64 v95, 0xff7fffff, v95, s3
	v_or_b32_e32 v84, 12, v129
	v_or_b32_e32 v85, 14, v129
	v_cndmask_b32_e64 v94, 0xff7fffff, v94, s4
	v_cndmask_b32_e64 v81, 0xff7fffff, v93, s5
	v_max3_f32 v93, v96, 0xff7fffff, v95
	v_cmp_gt_i32_e64 s6, s18, v82
	v_cmp_gt_i32_e64 s7, s18, v83
	v_or_b32_e32 v86, 16, v129
	v_or_b32_e32 v87, 18, v129
	v_mul_f32_e32 v90, s19, v143
	v_cndmask_b32_e64 v82, 0xff7fffff, v92, s6
	v_cndmask_b32_e64 v83, 0xff7fffff, v91, s7
	v_max3_f32 v81, v93, v94, v81
	v_cmp_gt_i32_e64 s8, s18, v84
	v_cmp_gt_i32_e64 s9, s18, v85
	v_or_b32_e32 v88, 20, v129
	v_or_b32_e32 v97, 22, v129
	v_mul_f32_e32 v109, s19, v121
	;; [unrolled: 8-line block ×4, first 2 shown]
	v_cndmask_b32_e64 v84, 0xff7fffff, v107, s12
	v_cndmask_b32_e64 v85, 0xff7fffff, v106, s13
	v_max3_f32 v81, v81, v82, v83
	v_cmp_gt_i32_e64 s15, s18, v98
	v_cmp_gt_i32_e64 s16, s18, v99
	v_dual_mul_f32 v102, s19, v128 :: v_dual_mul_f32 v103, s19, v127
	s_delay_alu instid0(VALU_DEP_4) | instskip(NEXT) | instid1(VALU_DEP_4)
	v_max3_f32 v81, v81, v84, v85
	v_cndmask_b32_e64 v82, 0xff7fffff, v105, s15
	s_delay_alu instid0(VALU_DEP_4) | instskip(SKIP_2) | instid1(VALU_DEP_3)
	v_cndmask_b32_e64 v83, 0xff7fffff, v104, s16
	v_cmp_gt_i32_e64 s17, s18, v100
	v_cmp_gt_i32_e64 s18, s18, v101
	v_max3_f32 v81, v81, v82, v83
	s_delay_alu instid0(VALU_DEP_3) | instskip(NEXT) | instid1(VALU_DEP_3)
	v_cndmask_b32_e64 v84, 0xff7fffff, v103, s17
	v_cndmask_b32_e64 v85, 0xff7fffff, v102, s18
	v_lshlrev_b32_e32 v83, 2, v130
	s_delay_alu instid0(VALU_DEP_2) | instskip(SKIP_3) | instid1(VALU_DEP_1)
	v_max3_f32 v81, v81, v84, v85
	ds_bpermute_b32 v82, v83, v81
	s_waitcnt lgkmcnt(0)
	v_max_f32_e32 v82, v82, v82
	v_max_f32_e32 v81, v81, v82
	s_delay_alu instid0(VALU_DEP_1) | instskip(SKIP_3) | instid1(VALU_DEP_4)
	v_fma_f32 v82, s19, v137, -v81
	v_fma_f32 v84, s19, v138, -v81
	;; [unrolled: 1-line block ×4, first 2 shown]
	v_mul_f32_e32 v82, 0x3fb8aa3b, v82
	s_delay_alu instid0(VALU_DEP_3) | instskip(NEXT) | instid1(VALU_DEP_3)
	v_dual_mul_f32 v84, 0x3fb8aa3b, v84 :: v_dual_mul_f32 v85, 0x3fb8aa3b, v85
	v_mul_f32_e32 v86, 0x3fb8aa3b, v86
	s_delay_alu instid0(VALU_DEP_3) | instskip(NEXT) | instid1(VALU_DEP_2)
	v_exp_f32_e32 v82, v82
	v_exp_f32_e32 v84, v84
	s_delay_alu instid0(VALU_DEP_2) | instskip(NEXT) | instid1(VALU_DEP_1)
	v_exp_f32_e32 v85, v85
	v_exp_f32_e32 v90, v86
	v_cndmask_b32_e32 v87, 0, v82, vcc_lo
	s_delay_alu instid0(TRANS32_DEP_3) | instskip(SKIP_4) | instid1(VALU_DEP_1)
	v_cndmask_b32_e64 v86, 0, v84, s3
	s_waitcnt_depctr 0xfff
	v_cndmask_b32_e64 v89, 0, v85, s4
	s_mov_b32 s3, exec_lo
	v_add_f32_e32 v84, 0, v87
	v_add_f32_e32 v84, v84, v86
	s_delay_alu instid0(VALU_DEP_1)
	v_add_f32_e32 v84, v84, v89
	v_fma_f32 v88, s19, v141, -v81
	v_fma_f32 v91, s19, v143, -v81
	;; [unrolled: 1-line block ×5, first 2 shown]
	v_mul_f32_e32 v88, 0x3fb8aa3b, v88
	v_fma_f32 v100, s19, v128, -v81
	v_mul_f32_e32 v82, 0x3fb8aa3b, v82
	v_fma_f32 v98, s19, v126, -v81
	v_mul_f32_e32 v97, 0x3fb8aa3b, v95
	v_exp_f32_e32 v92, v88
	v_cndmask_b32_e64 v88, 0, v90, s5
	v_fma_f32 v90, s19, v121, -v81
	v_mul_f32_e32 v91, 0x3fb8aa3b, v91
	v_exp_f32_e32 v82, v82
	v_exp_f32_e32 v99, v97
	v_add_f32_e32 v84, v84, v88
	v_mul_f32_e32 v94, 0x3fb8aa3b, v90
	v_exp_f32_e32 v93, v91
	v_mul_f32_e32 v98, 0x3fb8aa3b, v98
	v_cndmask_b32_e64 v91, 0, v92, s6
	v_fma_f32 v92, s19, v122, -v81
	v_mul_f32_e32 v85, 0x3fb8aa3b, v85
	v_exp_f32_e32 v94, v94
	v_cndmask_b32_e64 v90, 0, v82, s7
	v_add_f32_e32 v82, v84, v91
	v_mul_f32_e32 v92, 0x3fb8aa3b, v92
	v_exp_f32_e32 v85, v85
	v_fma_f32 v84, s19, v123, -v81
	v_cndmask_b32_e64 v93, 0, v93, s8
	v_add_f32_e32 v82, v82, v90
	v_exp_f32_e32 v96, v92
	v_exp_f32_e32 v98, v98
	v_cndmask_b32_e64 v95, 0, v94, s10
	s_delay_alu instid0(VALU_DEP_2) | instskip(NEXT) | instid1(TRANS32_DEP_3)
	v_add_f32_e32 v82, v82, v93
	v_cndmask_b32_e64 v92, 0, v85, s9
	v_fma_f32 v85, s19, v125, -v81
	v_mul_f32_e32 v84, 0x3fb8aa3b, v84
	s_delay_alu instid0(TRANS32_DEP_2) | instskip(SKIP_1) | instid1(VALU_DEP_4)
	v_cndmask_b32_e64 v94, 0, v96, s11
	v_fma_f32 v96, s19, v127, -v81
	v_mul_f32_e32 v85, 0x3fb8aa3b, v85
	s_delay_alu instid0(VALU_DEP_4) | instskip(SKIP_1) | instid1(VALU_DEP_2)
	v_exp_f32_e32 v84, v84
	v_cndmask_b32_e64 v98, 0, v98, s16
	v_exp_f32_e32 v85, v85
	s_waitcnt_depctr 0xfff
	v_cndmask_b32_e64 v97, 0, v84, s12
	v_mul_f32_e32 v84, 0x3fb8aa3b, v96
	v_cndmask_b32_e64 v96, 0, v99, s13
	v_cndmask_b32_e64 v99, 0, v85, s15
	v_mul_f32_e32 v85, 0x3fb8aa3b, v100
	v_add_f32_e32 v82, v82, v92
	v_exp_f32_e32 v84, v84
	s_delay_alu instid0(VALU_DEP_2) | instskip(NEXT) | instid1(VALU_DEP_1)
	v_exp_f32_e32 v85, v85
	v_add_f32_e32 v82, v82, v95
	s_delay_alu instid0(VALU_DEP_1) | instskip(SKIP_4) | instid1(VALU_DEP_1)
	v_add_f32_e32 v82, v82, v94
	s_waitcnt_depctr 0xfff
	v_cndmask_b32_e64 v101, 0, v84, s17
	v_cndmask_b32_e64 v100, 0, v85, s18
	v_add_f32_e32 v82, v82, v97
	v_add_f32_e32 v82, v82, v96
	s_delay_alu instid0(VALU_DEP_1) | instskip(NEXT) | instid1(VALU_DEP_1)
	v_add_f32_e32 v82, v82, v99
	v_add_f32_e32 v82, v82, v98
	s_delay_alu instid0(VALU_DEP_1) | instskip(NEXT) | instid1(VALU_DEP_1)
	v_add_f32_e32 v82, v82, v101
	v_add_f32_e32 v82, v82, v100
	ds_bpermute_b32 v83, v83, v82
	v_cmpx_gt_u32_e32 16, v80
	s_cbranch_execz .LBB161_14
; %bb.13:
	v_mul_u32_u24_e32 v80, 0x44, v78
	s_waitcnt lgkmcnt(0)
	v_add_f32_e32 v82, v82, v83
	s_delay_alu instid0(VALU_DEP_2) | instskip(NEXT) | instid1(VALU_DEP_1)
	v_lshl_add_u32 v80, v79, 2, v80
	v_add_nc_u32_e32 v80, 0x4000, v80
	ds_store_2addr_b32 v80, v81, v82 offset1:136
.LBB161_14:
	s_or_b32 exec_lo, exec_lo, s3
	v_lshlrev_b32_e32 v79, 2, v79
	s_load_b32 s35, s[0:1], 0x94
	s_waitcnt lgkmcnt(0)
	s_barrier
	buffer_gl0_inv
	v_add_nc_u32_e32 v83, 0x4000, v79
	v_cmp_eq_u32_e32 vcc_lo, 1, v78
	v_cmp_eq_u32_e64 s3, 2, v78
	v_cmp_eq_u32_e64 s4, 3, v78
	;; [unrolled: 1-line block ×3, first 2 shown]
	ds_load_2addr_b32 v[79:80], v83 offset1:17
	ds_load_2addr_b32 v[81:82], v83 offset0:34 offset1:51
	ds_load_2addr_b32 v[102:103], v83 offset0:68 offset1:85
	;; [unrolled: 1-line block ×3, first 2 shown]
	v_cmp_eq_u32_e64 s6, 7, v78
	s_waitcnt lgkmcnt(3)
	v_max3_f32 v84, v79, 0xff7fffff, v80
	s_waitcnt lgkmcnt(2)
	s_delay_alu instid0(VALU_DEP_1) | instskip(SKIP_1) | instid1(VALU_DEP_1)
	v_max3_f32 v84, v84, v81, v82
	s_waitcnt lgkmcnt(1)
	v_max3_f32 v84, v84, v102, v103
	s_waitcnt lgkmcnt(0)
	s_delay_alu instid0(VALU_DEP_1) | instskip(NEXT) | instid1(VALU_DEP_1)
	v_max3_f32 v84, v84, v104, v105
	v_sub_f32_e32 v102, v102, v84
	ds_load_2addr_b32 v[106:107], v83 offset0:136 offset1:153
	v_sub_f32_e32 v79, v79, v84
	v_dual_sub_f32 v109, v82, v84 :: v_dual_mul_f32 v112, 0x3fb8aa3b, v102
	s_delay_alu instid0(VALU_DEP_2) | instskip(SKIP_3) | instid1(VALU_DEP_1)
	v_dual_sub_f32 v85, v80, v84 :: v_dual_mul_f32 v108, 0x3fb8aa3b, v79
	ds_load_2addr_b32 v[79:80], v83 offset0:170 offset1:187
	v_mul_f32_e32 v85, 0x3fb8aa3b, v85
	v_exp_f32_e32 v108, v108
	v_exp_f32_e32 v111, v85
	v_mul_f32_e32 v109, 0x3fb8aa3b, v109
	s_waitcnt lgkmcnt(1)
	s_waitcnt_depctr 0xfff
	v_fma_f32 v85, v108, v106, 0
	v_sub_f32_e32 v106, v103, v84
	v_sub_f32_e32 v81, v81, v84
	v_exp_f32_e32 v109, v109
	ds_load_2addr_b32 v[102:103], v83 offset0:238 offset1:255
	v_dual_fmac_f32 v85, v111, v107 :: v_dual_mul_f32 v110, 0x3fb8aa3b, v81
	ds_load_2addr_b32 v[81:82], v83 offset0:204 offset1:221
	v_dual_sub_f32 v83, v104, v84 :: v_dual_mul_f32 v104, 0x3fb8aa3b, v106
	v_exp_f32_e32 v106, v112
	v_exp_f32_e32 v110, v110
	s_waitcnt lgkmcnt(0)
	s_delay_alu instid0(VALU_DEP_1)
	v_mul_f32_e32 v83, 0x3fb8aa3b, v83
	v_exp_f32_e32 v104, v104
	s_barrier
	buffer_gl0_inv
	v_fmac_f32_e32 v85, v110, v79
	v_sub_f32_e32 v79, v105, v84
	v_exp_f32_e32 v105, v83
	s_delay_alu instid0(VALU_DEP_2) | instskip(NEXT) | instid1(VALU_DEP_2)
	v_fmac_f32_e32 v85, v109, v80
	v_mul_f32_e32 v79, 0x3fb8aa3b, v79
	s_delay_alu instid0(VALU_DEP_2) | instskip(NEXT) | instid1(VALU_DEP_2)
	v_dual_cndmask_b32 v80, v108, v111 :: v_dual_fmac_f32 v85, v106, v81
	v_exp_f32_e32 v107, v79
	s_delay_alu instid0(VALU_DEP_1) | instskip(SKIP_2) | instid1(VALU_DEP_1)
	v_fmac_f32_e32 v85, v104, v82
	s_waitcnt_depctr 0xfff
	v_fmac_f32_e32 v85, v105, v102
	v_fmac_f32_e32 v85, v107, v103
	s_delay_alu instid0(VALU_DEP_1) | instskip(NEXT) | instid1(VALU_DEP_1)
	v_add_f32_e32 v102, 0x358637bd, v85
	v_div_scale_f32 v103, null, v102, v102, 1.0
	v_div_scale_f32 v108, vcc_lo, 1.0, v102, 1.0
	s_delay_alu instid0(VALU_DEP_2) | instskip(SKIP_2) | instid1(VALU_DEP_1)
	v_rcp_f32_e32 v112, v103
	s_waitcnt_depctr 0xfff
	v_fma_f32 v79, -v103, v112, 1.0
	v_fmac_f32_e32 v112, v79, v112
	v_cndmask_b32_e64 v79, v80, v110, s3
	v_cmp_eq_u32_e64 s3, 4, v78
	v_lshl_or_b32 v80, v78, 11, v77
	s_delay_alu instid0(VALU_DEP_4) | instskip(NEXT) | instid1(VALU_DEP_4)
	v_mul_f32_e32 v110, v108, v112
	v_cndmask_b32_e64 v81, v79, v109, s4
	v_cmp_eq_u32_e64 s4, 6, v78
	s_delay_alu instid0(VALU_DEP_4) | instskip(SKIP_3) | instid1(VALU_DEP_3)
	v_lshl_or_b32 v78, v75, 4, v80
	v_lshlrev_b32_e32 v79, 2, v75
	v_fma_f32 v82, -v103, v110, v108
	v_cndmask_b32_e64 v83, v81, v106, s3
	v_or_b32_e32 v81, 1, v79
	s_delay_alu instid0(VALU_DEP_3) | instskip(NEXT) | instid1(VALU_DEP_3)
	v_fmac_f32_e32 v110, v82, v112
	v_cndmask_b32_e64 v104, v83, v104, s5
	v_or_b32_e32 v83, 2, v79
	v_or_b32_e32 v82, 3, v79
	v_cmp_eq_u32_e64 s3, 1, v79
	v_fma_f32 v103, -v103, v110, v108
	v_cndmask_b32_e64 v104, v104, v105, s4
	v_cmp_eq_u32_e64 s9, 1, v81
	v_cmp_eq_u32_e64 s10, 1, v83
	;; [unrolled: 1-line block ×3, first 2 shown]
	v_div_fmas_f32 v103, v103, v112, v110
	v_cndmask_b32_e64 v104, v104, v107, s6
	v_cmp_eq_u32_e32 vcc_lo, 2, v79
	v_cmp_eq_u32_e64 s12, 2, v81
	v_cmp_eq_u32_e64 s15, 2, v83
	v_div_fixup_f32 v102, v103, v102, 1.0
	v_cmp_eq_u32_e64 s16, 2, v82
	v_cmp_eq_u32_e64 s18, 3, v82
	;; [unrolled: 1-line block ×4, first 2 shown]
	v_mul_f32_e32 v110, v104, v102
	v_cmp_eq_u32_e64 s17, 3, v83
	v_cmp_eq_u32_e64 s22, 4, v82
	;; [unrolled: 1-line block ×4, first 2 shown]
	v_fma_mixlo_f16 v102, v110, v87, 0
	v_fma_mixlo_f16 v103, v110, v89, 0
	;; [unrolled: 1-line block ×8, first 2 shown]
	v_fma_mixhi_f16 v102, v110, v86, 0
	v_fma_mixhi_f16 v103, v110, v88, 0
	;; [unrolled: 1-line block ×8, first 2 shown]
	ds_store_b128 v78, v[102:105]
	ds_store_b128 v78, v[106:109] offset:1024
	s_waitcnt lgkmcnt(0)
	s_barrier
	buffer_gl0_inv
	ds_load_b128 v[86:89], v80
	ds_load_b128 v[90:93], v80 offset:16
	ds_load_b128 v[94:97], v80 offset:1024
	;; [unrolled: 1-line block ×3, first 2 shown]
	v_cmp_eq_u32_e64 s21, 4, v83
	v_cmp_eq_u32_e64 s24, 5, v82
	;; [unrolled: 1-line block ×13, first 2 shown]
	s_waitcnt lgkmcnt(3)
	v_lshrrev_b32_e32 v102, 16, v86
	s_waitcnt lgkmcnt(2)
	v_lshrrev_b32_e32 v106, 16, v90
	s_waitcnt lgkmcnt(1)
	v_lshrrev_b32_e32 v110, 16, v94
	s_waitcnt lgkmcnt(0)
	v_lshrrev_b32_e32 v114, 16, v98
	v_lshrrev_b32_e32 v103, 16, v87
	v_cndmask_b32_e64 v118, v86, v102, s3
	v_cndmask_b32_e64 v119, v90, v106, s3
	;; [unrolled: 1-line block ×8, first 2 shown]
	v_lshrrev_b32_e32 v107, 16, v91
	v_cndmask_b32_e64 v102, v94, v110, s3
	v_cndmask_b32_e64 v106, v98, v114, s3
	;; [unrolled: 1-line block ×5, first 2 shown]
	v_cndmask_b32_e32 v110, v118, v87, vcc_lo
	v_cndmask_b32_e64 v118, v120, v87, s12
	v_cndmask_b32_e64 v120, v122, v87, s15
	;; [unrolled: 1-line block ×4, first 2 shown]
	v_lshrrev_b32_e32 v111, 16, v95
	v_lshrrev_b32_e32 v115, 16, v99
	v_cndmask_b32_e64 v125, v98, v114, s9
	v_cndmask_b32_e64 v127, v98, v114, s10
	;; [unrolled: 1-line block ×3, first 2 shown]
	v_cndmask_b32_e32 v114, v119, v91, vcc_lo
	v_cndmask_b32_e64 v119, v121, v91, s12
	v_cndmask_b32_e64 v121, v123, v91, s15
	v_cndmask_b32_e32 v90, v102, v95, vcc_lo
	v_cndmask_b32_e32 v91, v106, v99, vcc_lo
	v_cndmask_b32_e64 v102, v124, v95, s12
	v_cndmask_b32_e64 v86, v86, v103, s18
	;; [unrolled: 1-line block ×3, first 2 shown]
	v_lshrrev_b32_e32 v104, 16, v88
	v_lshrrev_b32_e32 v108, 16, v92
	v_cndmask_b32_e64 v106, v126, v95, s15
	v_cndmask_b32_e64 v94, v94, v95, s16
	v_cndmask_b32_e64 v95, v98, v99, s16
	v_cndmask_b32_e64 v98, v110, v103, s4
	v_cndmask_b32_e64 v110, v114, v107, s4
	v_cndmask_b32_e64 v114, v118, v103, s13
	v_cndmask_b32_e64 v118, v119, v107, s13
	v_cndmask_b32_e64 v119, v120, v103, s17
	v_cndmask_b32_e64 v120, v121, v107, s17
	v_cndmask_b32_e64 v90, v90, v111, s4
	v_cndmask_b32_e64 v91, v91, v115, s4
	v_cndmask_b32_e64 v102, v102, v111, s13
	v_cndmask_b32_e64 v86, v86, v88, s22
	v_cndmask_b32_e64 v87, v87, v92, s22
	v_lshrrev_b32_e32 v112, 16, v96
	v_cndmask_b32_e64 v98, v98, v88, s5
	v_cndmask_b32_e64 v103, v110, v92, s5
	;; [unrolled: 1-line block ×11, first 2 shown]
	v_lshrrev_b32_e32 v105, 16, v89
	v_lshrrev_b32_e32 v109, 16, v93
	v_cndmask_b32_e64 v92, v98, v104, s6
	v_cndmask_b32_e64 v98, v103, v108, s6
	;; [unrolled: 1-line block ×9, first 2 shown]
	v_lshrrev_b32_e32 v113, 16, v97
	v_cndmask_b32_e64 v88, v88, v112, s6
	v_cndmask_b32_e64 v92, v92, v89, s7
	;; [unrolled: 1-line block ×19, first 2 shown]
	v_perm_b32 v89, v87, v86, 0x5040100
	v_cndmask_b32_e64 v86, v125, v99, s12
	v_cndmask_b32_e64 v104, v88, v113, s8
	v_perm_b32 v88, v102, v98, 0x5040100
	v_perm_b32 v87, v103, v93, 0x5040100
	v_cndmask_b32_e64 v93, v106, v111, s17
	v_cndmask_b32_e64 v94, v94, v111, s18
	;; [unrolled: 1-line block ×5, first 2 shown]
	v_lshrrev_b32_e32 v116, 16, v100
	v_cndmask_b32_e64 v93, v93, v96, s21
	v_cndmask_b32_e64 v94, v94, v96, s22
	;; [unrolled: 1-line block ×11, first 2 shown]
	v_lshrrev_b32_e32 v117, 16, v101
	v_cndmask_b32_e64 v90, v90, v101, s7
	v_cndmask_b32_e64 v93, v93, v97, s26
	v_cndmask_b32_e64 v94, v94, v97, s27
	v_cndmask_b32_e64 v95, v95, v101, s27
	v_cndmask_b32_e64 v96, v96, v101, s26
	v_cndmask_b32_e64 v86, v86, v101, s25
	v_cndmask_b32_e64 v97, v93, v113, s28
	v_cndmask_b32_e64 v93, v94, v113, s29
	v_cndmask_b32_e64 v94, v95, v117, s29
	v_cndmask_b32_e64 v95, v96, v117, s28
	v_cndmask_b32_e64 v96, v86, v117, s30
	v_cndmask_b32_e64 v90, v90, v117, s8
	v_perm_b32 v86, v92, v91, 0x5040100
	v_perm_b32 v93, v94, v93, 0x5040100
	;; [unrolled: 1-line block ×5, first 2 shown]
	s_lshl_b32 s7, s33, 3
	s_mov_b32 s3, exec_lo
	ds_store_b128 v78, v[86:89]
	ds_store_b128 v78, v[90:93] offset:1024
	v_cmpx_gt_u32_e32 8, v0
	s_cbranch_execz .LBB161_16
; %bb.15:
	v_or_b32_e32 v86, s31, v0
	s_load_b128 s[8:11], s[0:1], 0x58
	s_delay_alu instid0(VALU_DEP_1) | instskip(NEXT) | instid1(VALU_DEP_1)
	v_mad_u64_u32 v[87:88], null, s7, s34, v[86:87]
	v_mad_u64_u32 v[88:89], null, v87, s35, s[14:15]
	s_delay_alu instid0(VALU_DEP_1) | instskip(NEXT) | instid1(VALU_DEP_1)
	v_ashrrev_i32_e32 v89, 31, v88
	v_lshlrev_b64 v[86:87], 2, v[88:89]
	s_waitcnt lgkmcnt(0)
	s_delay_alu instid0(VALU_DEP_1) | instskip(NEXT) | instid1(VALU_DEP_2)
	v_add_co_u32 v88, vcc_lo, s10, v86
	v_add_co_ci_u32_e32 v89, vcc_lo, s11, v87, vcc_lo
	v_add_co_u32 v86, vcc_lo, s8, v86
	v_add_co_ci_u32_e32 v87, vcc_lo, s9, v87, vcc_lo
	global_store_b32 v[88:89], v84, off
	global_store_b32 v[86:87], v85, off
.LBB161_16:
	s_or_b32 exec_lo, exec_lo, s3
	s_waitcnt lgkmcnt(0)
	s_waitcnt_vscnt null, 0x0
	s_barrier
	buffer_gl0_inv
	ds_load_b128 v[92:95], v77
	ds_load_b128 v[96:99], v77 offset:16
	ds_load_b128 v[104:107], v77 offset:1040
	;; [unrolled: 1-line block ×5, first 2 shown]
	v_cmp_eq_u32_e32 vcc_lo, 1, v83
	v_mov_b32_e32 v84, 0
	ds_load_b128 v[120:123], v77 offset:3088
	ds_load_b128 v[116:119], v77 offset:3072
	;; [unrolled: 1-line block ×4, first 2 shown]
	v_cmp_eq_u32_e64 s3, 1, v79
	v_cmp_eq_u32_e64 s4, 1, v82
	;; [unrolled: 1-line block ×3, first 2 shown]
	v_mov_b32_e32 v85, v84
	v_mov_b32_e32 v86, v84
	;; [unrolled: 1-line block ×7, first 2 shown]
	v_cmp_eq_u32_e64 s6, 2, v79
	s_waitcnt lgkmcnt(8)
	s_delay_alu instid0(VALU_DEP_2)
	v_wmma_f32_16x16x16_f16 v[84:91], v[65:72], v[92:99], v[84:91]
	ds_load_b128 v[69:72], v77 offset:5136
	ds_load_b128 v[65:68], v77 offset:5120
	;; [unrolled: 1-line block ×4, first 2 shown]
	s_waitcnt lgkmcnt(10)
	v_wmma_f32_16x16x16_f16 v[84:91], v[57:64], v[100:107], v[84:91]
	s_waitcnt lgkmcnt(8)
	s_delay_alu instid0(VALU_DEP_1)
	v_wmma_f32_16x16x16_f16 v[84:91], v[57:64], v[108:115], v[84:91]
	ds_load_b128 v[61:64], v77 offset:7184
	ds_load_b128 v[57:60], v77 offset:7168
	;; [unrolled: 1-line block ×4, first 2 shown]
	s_waitcnt lgkmcnt(10)
	v_wmma_f32_16x16x16_f16 v[84:91], v[49:56], v[116:123], v[84:91]
	s_waitcnt lgkmcnt(8)
	s_delay_alu instid0(VALU_DEP_1)
	v_wmma_f32_16x16x16_f16 v[84:91], v[49:56], v[124:131], v[84:91]
	ds_load_b128 v[53:56], v77 offset:9232
	ds_load_b128 v[49:52], v77 offset:9216
	s_waitcnt lgkmcnt(8)
	v_wmma_f32_16x16x16_f16 v[84:91], v[41:48], v[65:72], v[84:91]
	ds_load_b128 v[69:72], v77 offset:10256
	ds_load_b128 v[65:68], v77 offset:10240
	s_waitcnt lgkmcnt(8)
	;; [unrolled: 4-line block ×7, first 2 shown]
	s_barrier
	buffer_gl0_inv
	v_wmma_f32_16x16x16_f16 v[84:91], v[33:40], v[41:48], v[84:91]
	s_delay_alu instid0(VALU_DEP_1) | instskip(NEXT) | instid1(VALU_DEP_1)
	v_wmma_f32_16x16x16_f16 v[84:91], v[33:40], v[57:64], v[84:91]
	v_wmma_f32_16x16x16_f16 v[84:91], v[25:32], v[9:16], v[84:91]
	s_delay_alu instid0(VALU_DEP_1) | instskip(NEXT) | instid1(VALU_DEP_1)
	v_wmma_f32_16x16x16_f16 v[84:91], v[25:32], v[49:56], v[84:91]
	v_wmma_f32_16x16x16_f16 v[84:91], v[17:24], v[1:8], v[84:91]
	s_delay_alu instid0(VALU_DEP_1) | instskip(NEXT) | instid1(VALU_DEP_2)
	v_cvt_f16_f32_e32 v1, v84
	v_cvt_f16_f32_e32 v2, v85
	s_delay_alu instid0(VALU_DEP_3) | instskip(NEXT) | instid1(VALU_DEP_4)
	v_cvt_f16_f32_e32 v3, v86
	v_cvt_f16_f32_e32 v4, v87
	;; [unrolled: 1-line block ×6, first 2 shown]
	v_pack_b32_f16 v1, v1, v2
	v_pack_b32_f16 v2, v3, v4
	;; [unrolled: 1-line block ×3, first 2 shown]
	s_delay_alu instid0(VALU_DEP_4)
	v_pack_b32_f16 v4, v7, v8
	ds_store_b128 v78, v[1:4]
	s_waitcnt lgkmcnt(0)
	s_barrier
	buffer_gl0_inv
	ds_load_b128 v[1:4], v80
	ds_load_b128 v[5:8], v80 offset:16
	s_waitcnt lgkmcnt(1)
	v_lshrrev_b32_e32 v9, 16, v1
	s_waitcnt lgkmcnt(0)
	v_lshrrev_b32_e32 v13, 16, v5
	v_lshrrev_b32_e32 v10, 16, v2
	;; [unrolled: 1-line block ×4, first 2 shown]
	v_cndmask_b32_e64 v17, v1, v9, s3
	v_cndmask_b32_e64 v18, v5, v13, s3
	;; [unrolled: 1-line block ×3, first 2 shown]
	v_cmp_eq_u32_e64 s3, 2, v81
	v_cndmask_b32_e64 v20, v5, v13, s5
	v_cndmask_b32_e32 v21, v1, v9, vcc_lo
	v_cndmask_b32_e32 v22, v5, v13, vcc_lo
	v_cndmask_b32_e64 v1, v1, v9, s4
	v_cndmask_b32_e64 v5, v5, v13, s4
	v_cmp_eq_u32_e32 vcc_lo, 2, v83
	v_cmp_eq_u32_e64 s4, 2, v82
	v_cndmask_b32_e64 v9, v17, v2, s6
	v_cndmask_b32_e64 v13, v18, v6, s6
	;; [unrolled: 1-line block ×4, first 2 shown]
	v_cndmask_b32_e32 v19, v21, v2, vcc_lo
	v_cmp_eq_u32_e64 s3, 3, v83
	v_cndmask_b32_e32 v20, v22, v6, vcc_lo
	v_cndmask_b32_e64 v1, v1, v2, s4
	v_cmp_eq_u32_e32 vcc_lo, 3, v82
	v_cmp_eq_u32_e64 s5, 3, v79
	v_cndmask_b32_e64 v2, v5, v6, s4
	v_cmp_eq_u32_e64 s4, 3, v81
	v_cmp_eq_u32_e64 s6, 4, v79
	v_cndmask_b32_e32 v1, v1, v10, vcc_lo
	v_cndmask_b32_e64 v5, v9, v10, s5
	v_cndmask_b32_e64 v6, v13, v14, s5
	;; [unrolled: 1-line block ×3, first 2 shown]
	v_cmp_eq_u32_e64 s5, 4, v81
	v_cndmask_b32_e64 v13, v18, v14, s4
	v_cndmask_b32_e64 v17, v19, v10, s3
	v_cndmask_b32_e64 v18, v20, v14, s3
	v_cndmask_b32_e32 v2, v2, v14, vcc_lo
	v_cmp_eq_u32_e32 vcc_lo, 4, v83
	v_cmp_eq_u32_e64 s4, 4, v82
	v_lshrrev_b32_e32 v15, 16, v7
	v_cndmask_b32_e64 v5, v5, v3, s6
	v_cndmask_b32_e64 v6, v6, v7, s6
	v_cndmask_b32_e32 v14, v18, v7, vcc_lo
	v_cndmask_b32_e64 v9, v9, v3, s5
	v_cndmask_b32_e64 v10, v13, v7, s5
	v_cndmask_b32_e32 v13, v17, v3, vcc_lo
	v_cmp_eq_u32_e64 s3, 5, v83
	v_cndmask_b32_e64 v1, v1, v3, s4
	v_cmp_eq_u32_e32 vcc_lo, 5, v82
	v_cmp_eq_u32_e64 s5, 5, v79
	v_cndmask_b32_e64 v2, v2, v7, s4
	v_cmp_eq_u32_e64 s4, 5, v81
	v_cmp_eq_u32_e64 s6, 6, v79
	v_lshrrev_b32_e32 v12, 16, v4
	v_cndmask_b32_e64 v3, v5, v11, s5
	v_cndmask_b32_e64 v5, v6, v15, s5
	;; [unrolled: 1-line block ×3, first 2 shown]
	v_cmp_eq_u32_e64 s5, 6, v81
	v_cndmask_b32_e64 v7, v10, v15, s4
	v_cndmask_b32_e64 v9, v13, v11, s3
	;; [unrolled: 1-line block ×3, first 2 shown]
	v_cndmask_b32_e32 v1, v1, v11, vcc_lo
	v_cndmask_b32_e32 v2, v2, v15, vcc_lo
	v_cmp_eq_u32_e32 vcc_lo, 6, v83
	v_cmp_eq_u32_e64 s3, 6, v82
	v_lshrrev_b32_e32 v16, 16, v8
	v_cndmask_b32_e64 v3, v3, v4, s6
	v_cndmask_b32_e64 v5, v5, v8, s6
	v_cndmask_b32_e32 v9, v9, v4, vcc_lo
	v_cndmask_b32_e64 v6, v6, v4, s5
	v_cndmask_b32_e64 v7, v7, v8, s5
	v_cmp_eq_u32_e64 s4, 7, v83
	v_cndmask_b32_e32 v10, v10, v8, vcc_lo
	v_cndmask_b32_e64 v1, v1, v4, s3
	v_cmp_eq_u32_e32 vcc_lo, 7, v82
	v_cndmask_b32_e64 v2, v2, v8, s3
	v_cmp_eq_u32_e64 s3, 7, v79
	v_cmp_eq_u32_e64 s5, 7, v81
	v_cndmask_b32_e32 v1, v1, v12, vcc_lo
	s_delay_alu instid0(VALU_DEP_4) | instskip(NEXT) | instid1(VALU_DEP_4)
	v_cndmask_b32_e32 v2, v2, v16, vcc_lo
	v_cndmask_b32_e64 v8, v3, v12, s3
	s_delay_alu instid0(VALU_DEP_4)
	v_cndmask_b32_e64 v6, v6, v12, s5
	v_cndmask_b32_e64 v3, v9, v12, s4
	;; [unrolled: 1-line block ×5, first 2 shown]
	v_cmp_gt_u32_e32 vcc_lo, 32, v0
	v_perm_b32 v4, v2, v1, 0x5040100
	v_perm_b32 v3, v9, v3, 0x5040100
	;; [unrolled: 1-line block ×4, first 2 shown]
	s_and_b32 s2, vcc_lo, s2
	ds_store_b128 v78, v[1:4]
	s_waitcnt lgkmcnt(0)
	s_barrier
	buffer_gl0_inv
	s_and_saveexec_b32 s3, s2
	s_cbranch_execz .LBB161_2
; %bb.17:
	s_load_b64 s[0:1], s[0:1], 0x68
	s_lshl_b32 s4, s35, 6
	v_or_b32_e32 v2, s31, v75
	s_mul_i32 s2, s4, s34
	v_lshlrev_b32_e32 v1, 10, v0
	s_mul_i32 s2, s2, s7
	v_lshlrev_b32_e32 v3, 4, v76
	v_mul_lo_u32 v0, v2, s4
	s_ashr_i32 s3, s2, 31
	v_lshlrev_b32_e32 v4, 6, v75
	v_and_b32_e32 v1, 0x3800, v1
	v_or_b32_e32 v5, 2, v2
	s_lshl_b64 s[2:3], s[2:3], 1
	v_or_b32_e32 v6, 4, v2
	v_or_b32_e32 v7, 6, v2
	v_or3_b32 v12, v1, v3, v4
	v_ashrrev_i32_e32 v1, 31, v0
	v_mul_lo_u32 v2, v5, s4
	v_mul_lo_u32 v16, v6, s4
	;; [unrolled: 1-line block ×3, first 2 shown]
	s_waitcnt lgkmcnt(0)
	s_add_u32 s2, s0, s2
	s_addc_u32 s3, s1, s3
	s_lshl_b32 s0, s14, 6
	v_lshlrev_b64 v[0:1], 1, v[0:1]
	s_ashr_i32 s1, s0, 31
	v_ashrrev_i32_e32 v3, 31, v2
	s_lshl_b64 s[0:1], s[0:1], 1
	v_ashrrev_i32_e32 v17, 31, v16
	s_add_u32 s0, s2, s0
	s_addc_u32 s1, s3, s1
	v_add_co_u32 v24, vcc_lo, s0, v73
	v_add_co_ci_u32_e32 v25, vcc_lo, s1, v74, vcc_lo
	v_lshlrev_b64 v[22:23], 1, v[2:3]
	s_delay_alu instid0(VALU_DEP_3) | instskip(NEXT) | instid1(VALU_DEP_3)
	v_add_co_u32 v18, vcc_lo, v24, v0
	v_add_co_ci_u32_e32 v19, vcc_lo, v25, v1, vcc_lo
	ds_load_b128 v[0:3], v12
	ds_load_b128 v[4:7], v12 offset:128
	ds_load_b128 v[8:11], v12 offset:256
	;; [unrolled: 1-line block ×3, first 2 shown]
	v_ashrrev_i32_e32 v21, 31, v20
	v_lshlrev_b64 v[16:17], 1, v[16:17]
	v_add_co_u32 v22, vcc_lo, v24, v22
	v_add_co_ci_u32_e32 v23, vcc_lo, v25, v23, vcc_lo
	s_delay_alu instid0(VALU_DEP_4) | instskip(NEXT) | instid1(VALU_DEP_4)
	v_lshlrev_b64 v[20:21], 1, v[20:21]
	v_add_co_u32 v16, vcc_lo, v24, v16
	v_add_co_ci_u32_e32 v17, vcc_lo, v25, v17, vcc_lo
	s_delay_alu instid0(VALU_DEP_3) | instskip(NEXT) | instid1(VALU_DEP_4)
	v_add_co_u32 v20, vcc_lo, v24, v20
	v_add_co_ci_u32_e32 v21, vcc_lo, v25, v21, vcc_lo
	s_waitcnt lgkmcnt(3)
	global_store_b128 v[18:19], v[0:3], off
	s_waitcnt lgkmcnt(2)
	global_store_b128 v[22:23], v[4:7], off
	;; [unrolled: 2-line block ×4, first 2 shown]
	s_nop 0
	s_sendmsg sendmsg(MSG_DEALLOC_VGPRS)
	s_endpgm
	.section	.rodata,"a",@progbits
	.p2align	6, 0x0
	.amdhsa_kernel _Z39paged_attention_ll4mi_QKV_mfma16_kernelIDF16_DF16_LN4vllm18Fp8KVCacheDataTypeE0EDF16_Li32ELi64ELi256ELb1ELi8EL8MFMAType0EEvPKT_PKT0_S8_ifPKiSA_SA_iPKfiiiPfSD_PS3_PT2_iSC_SC_
		.amdhsa_group_segment_fixed_size 17472
		.amdhsa_private_segment_fixed_size 0
		.amdhsa_kernarg_size 400
		.amdhsa_user_sgpr_count 13
		.amdhsa_user_sgpr_dispatch_ptr 0
		.amdhsa_user_sgpr_queue_ptr 0
		.amdhsa_user_sgpr_kernarg_segment_ptr 1
		.amdhsa_user_sgpr_dispatch_id 0
		.amdhsa_user_sgpr_private_segment_size 0
		.amdhsa_wavefront_size32 1
		.amdhsa_uses_dynamic_stack 0
		.amdhsa_enable_private_segment 0
		.amdhsa_system_sgpr_workgroup_id_x 1
		.amdhsa_system_sgpr_workgroup_id_y 1
		.amdhsa_system_sgpr_workgroup_id_z 1
		.amdhsa_system_sgpr_workgroup_info 0
		.amdhsa_system_vgpr_workitem_id 0
		.amdhsa_next_free_vgpr 154
		.amdhsa_next_free_sgpr 39
		.amdhsa_reserve_vcc 1
		.amdhsa_float_round_mode_32 0
		.amdhsa_float_round_mode_16_64 0
		.amdhsa_float_denorm_mode_32 3
		.amdhsa_float_denorm_mode_16_64 3
		.amdhsa_dx10_clamp 1
		.amdhsa_ieee_mode 1
		.amdhsa_fp16_overflow 0
		.amdhsa_workgroup_processor_mode 1
		.amdhsa_memory_ordered 1
		.amdhsa_forward_progress 0
		.amdhsa_shared_vgpr_count 0
		.amdhsa_exception_fp_ieee_invalid_op 0
		.amdhsa_exception_fp_denorm_src 0
		.amdhsa_exception_fp_ieee_div_zero 0
		.amdhsa_exception_fp_ieee_overflow 0
		.amdhsa_exception_fp_ieee_underflow 0
		.amdhsa_exception_fp_ieee_inexact 0
		.amdhsa_exception_int_div_zero 0
	.end_amdhsa_kernel
	.section	.text._Z39paged_attention_ll4mi_QKV_mfma16_kernelIDF16_DF16_LN4vllm18Fp8KVCacheDataTypeE0EDF16_Li32ELi64ELi256ELb1ELi8EL8MFMAType0EEvPKT_PKT0_S8_ifPKiSA_SA_iPKfiiiPfSD_PS3_PT2_iSC_SC_,"axG",@progbits,_Z39paged_attention_ll4mi_QKV_mfma16_kernelIDF16_DF16_LN4vllm18Fp8KVCacheDataTypeE0EDF16_Li32ELi64ELi256ELb1ELi8EL8MFMAType0EEvPKT_PKT0_S8_ifPKiSA_SA_iPKfiiiPfSD_PS3_PT2_iSC_SC_,comdat
.Lfunc_end161:
	.size	_Z39paged_attention_ll4mi_QKV_mfma16_kernelIDF16_DF16_LN4vllm18Fp8KVCacheDataTypeE0EDF16_Li32ELi64ELi256ELb1ELi8EL8MFMAType0EEvPKT_PKT0_S8_ifPKiSA_SA_iPKfiiiPfSD_PS3_PT2_iSC_SC_, .Lfunc_end161-_Z39paged_attention_ll4mi_QKV_mfma16_kernelIDF16_DF16_LN4vllm18Fp8KVCacheDataTypeE0EDF16_Li32ELi64ELi256ELb1ELi8EL8MFMAType0EEvPKT_PKT0_S8_ifPKiSA_SA_iPKfiiiPfSD_PS3_PT2_iSC_SC_
                                        ; -- End function
	.section	.AMDGPU.csdata,"",@progbits
; Kernel info:
; codeLenInByte = 7200
; NumSgprs: 41
; NumVgprs: 154
; ScratchSize: 0
; MemoryBound: 0
; FloatMode: 240
; IeeeMode: 1
; LDSByteSize: 17472 bytes/workgroup (compile time only)
; SGPRBlocks: 5
; VGPRBlocks: 19
; NumSGPRsForWavesPerEU: 41
; NumVGPRsForWavesPerEU: 154
; Occupancy: 9
; WaveLimiterHint : 1
; COMPUTE_PGM_RSRC2:SCRATCH_EN: 0
; COMPUTE_PGM_RSRC2:USER_SGPR: 13
; COMPUTE_PGM_RSRC2:TRAP_HANDLER: 0
; COMPUTE_PGM_RSRC2:TGID_X_EN: 1
; COMPUTE_PGM_RSRC2:TGID_Y_EN: 1
; COMPUTE_PGM_RSRC2:TGID_Z_EN: 1
; COMPUTE_PGM_RSRC2:TIDIG_COMP_CNT: 0
	.section	.text._Z39paged_attention_ll4mi_QKV_mfma16_kernelIDF16_DF16_LN4vllm18Fp8KVCacheDataTypeE0EDF16_Li32ELi64ELi256ELb1ELi9EL8MFMAType0EEvPKT_PKT0_S8_ifPKiSA_SA_iPKfiiiPfSD_PS3_PT2_iSC_SC_,"axG",@progbits,_Z39paged_attention_ll4mi_QKV_mfma16_kernelIDF16_DF16_LN4vllm18Fp8KVCacheDataTypeE0EDF16_Li32ELi64ELi256ELb1ELi9EL8MFMAType0EEvPKT_PKT0_S8_ifPKiSA_SA_iPKfiiiPfSD_PS3_PT2_iSC_SC_,comdat
	.protected	_Z39paged_attention_ll4mi_QKV_mfma16_kernelIDF16_DF16_LN4vllm18Fp8KVCacheDataTypeE0EDF16_Li32ELi64ELi256ELb1ELi9EL8MFMAType0EEvPKT_PKT0_S8_ifPKiSA_SA_iPKfiiiPfSD_PS3_PT2_iSC_SC_ ; -- Begin function _Z39paged_attention_ll4mi_QKV_mfma16_kernelIDF16_DF16_LN4vllm18Fp8KVCacheDataTypeE0EDF16_Li32ELi64ELi256ELb1ELi9EL8MFMAType0EEvPKT_PKT0_S8_ifPKiSA_SA_iPKfiiiPfSD_PS3_PT2_iSC_SC_
	.globl	_Z39paged_attention_ll4mi_QKV_mfma16_kernelIDF16_DF16_LN4vllm18Fp8KVCacheDataTypeE0EDF16_Li32ELi64ELi256ELb1ELi9EL8MFMAType0EEvPKT_PKT0_S8_ifPKiSA_SA_iPKfiiiPfSD_PS3_PT2_iSC_SC_
	.p2align	8
	.type	_Z39paged_attention_ll4mi_QKV_mfma16_kernelIDF16_DF16_LN4vllm18Fp8KVCacheDataTypeE0EDF16_Li32ELi64ELi256ELb1ELi9EL8MFMAType0EEvPKT_PKT0_S8_ifPKiSA_SA_iPKfiiiPfSD_PS3_PT2_iSC_SC_,@function
_Z39paged_attention_ll4mi_QKV_mfma16_kernelIDF16_DF16_LN4vllm18Fp8KVCacheDataTypeE0EDF16_Li32ELi64ELi256ELb1ELi9EL8MFMAType0EEvPKT_PKT0_S8_ifPKiSA_SA_iPKfiiiPfSD_PS3_PT2_iSC_SC_: ; @_Z39paged_attention_ll4mi_QKV_mfma16_kernelIDF16_DF16_LN4vllm18Fp8KVCacheDataTypeE0EDF16_Li32ELi64ELi256ELb1ELi9EL8MFMAType0EEvPKT_PKT0_S8_ifPKiSA_SA_iPKfiiiPfSD_PS3_PT2_iSC_SC_
; %bb.0:
	s_load_b64 s[2:3], s[0:1], 0x30
	s_mov_b32 s34, s13
	s_waitcnt lgkmcnt(0)
	s_cmp_lg_u64 s[2:3], 0
	s_cselect_b32 s6, -1, 0
	s_ashr_i32 s35, s13, 31
	s_cmp_eq_u64 s[2:3], 0
	s_cbranch_scc1 .LBB162_3
; %bb.1:
	s_lshl_b64 s[4:5], s[34:35], 2
	s_delay_alu instid0(SALU_CYCLE_1) | instskip(SKIP_4) | instid1(SALU_CYCLE_1)
	s_add_u32 s4, s2, s4
	s_addc_u32 s5, s3, s5
	s_load_b64 s[4:5], s[4:5], 0x0
	s_waitcnt lgkmcnt(0)
	s_sub_i32 s4, s5, s4
	s_cmp_eq_u32 s4, 1
	s_cselect_b32 s4, -1, 0
	s_delay_alu instid0(SALU_CYCLE_1)
	s_and_not1_b32 vcc_lo, exec_lo, s4
	s_cbranch_vccz .LBB162_4
.LBB162_2:
	s_nop 0
	s_sendmsg sendmsg(MSG_DEALLOC_VGPRS)
	s_endpgm
.LBB162_3:
.LBB162_4:
	s_load_b64 s[8:9], s[0:1], 0x28
	s_lshl_b64 s[4:5], s[34:35], 2
	s_waitcnt lgkmcnt(0)
	s_add_u32 s8, s8, s4
	s_addc_u32 s9, s9, s5
	s_lshl_b32 s16, s14, 8
	s_load_b32 s18, s[8:9], 0x0
	s_waitcnt lgkmcnt(0)
	s_cmp_ge_i32 s16, s18
	s_cbranch_scc1 .LBB162_2
; %bb.5:
	s_and_not1_b32 vcc_lo, exec_lo, s6
	s_cbranch_vccnz .LBB162_7
; %bb.6:
	s_add_u32 s2, s2, s4
	s_addc_u32 s3, s3, s5
	s_load_b32 s17, s[2:3], 0x0
	s_branch .LBB162_8
.LBB162_7:
	s_mov_b32 s17, s34
.LBB162_8:
	s_clause 0x2
	s_load_b128 s[8:11], s[0:1], 0x8
	s_load_b64 s[12:13], s[0:1], 0x20
	s_load_b128 s[4:7], s[0:1], 0x48
	v_lshrrev_b32_e32 v78, 5, v0
	v_bfe_u32 v75, v0, 4, 1
	v_and_b32_e32 v77, 15, v0
	s_delay_alu instid0(VALU_DEP_2) | instskip(NEXT) | instid1(VALU_DEP_2)
	v_lshl_or_b32 v3, v78, 1, v75
	v_cmp_lt_u32_e64 s3, 7, v77
	v_lshlrev_b32_e32 v1, 3, v77
	v_cmp_gt_u32_e64 s2, 8, v77
	s_delay_alu instid0(VALU_DEP_4) | instskip(NEXT) | instid1(VALU_DEP_4)
	v_cmp_lt_u32_e32 vcc_lo, 8, v3
	s_or_b32 s3, s3, vcc_lo
	s_waitcnt lgkmcnt(0)
	s_and_saveexec_b32 s7, s3
	s_delay_alu instid0(SALU_CYCLE_1)
	s_xor_b32 s3, exec_lo, s7
; %bb.9:
	v_mov_b32_e32 v2, 0
                                        ; implicit-def: $vgpr3
; %bb.10:
	s_or_saveexec_b32 s3, s3
	v_and_b32_e32 v80, 31, v0
	v_and_b32_e32 v76, 1, v0
	s_mul_i32 s33, s15, 9
	s_xor_b32 exec_lo, exec_lo, s3
	s_cbranch_execz .LBB162_12
; %bb.11:
	s_load_b64 s[20:21], s[0:1], 0x0
	v_add_lshl_u32 v4, v3, s33, 6
	s_mul_hi_i32 s23, s17, s4
	s_mul_i32 s22, s17, s4
	v_lshlrev_b32_e32 v2, 1, v1
	s_lshl_b64 s[22:23], s[22:23], 1
	v_ashrrev_i32_e32 v5, 31, v4
	v_lshlrev_b32_e32 v3, 6, v3
	v_lshlrev_b32_e32 v8, 10, v76
	s_delay_alu instid0(VALU_DEP_3) | instskip(SKIP_3) | instid1(VALU_DEP_1)
	v_lshlrev_b64 v[4:5], 1, v[4:5]
	s_waitcnt lgkmcnt(0)
	s_add_u32 s4, s20, s22
	s_addc_u32 s7, s21, s23
	v_add_co_u32 v4, vcc_lo, s4, v4
	s_delay_alu instid0(VALU_DEP_2) | instskip(NEXT) | instid1(VALU_DEP_2)
	v_add_co_ci_u32_e32 v5, vcc_lo, s7, v5, vcc_lo
	v_add_co_u32 v4, vcc_lo, v4, v2
	s_delay_alu instid0(VALU_DEP_2) | instskip(SKIP_3) | instid1(VALU_DEP_1)
	v_add_co_ci_u32_e32 v5, vcc_lo, 0, v5, vcc_lo
	v_lshlrev_b32_e32 v2, 10, v77
	global_load_b128 v[4:7], v[4:5], off
	v_and_b32_e32 v2, 0x3800, v2
	v_or3_b32 v3, v2, v8, v3
	v_mov_b32_e32 v2, 0
	s_waitcnt vmcnt(0)
	ds_store_b128 v3, v[4:7]
.LBB162_12:
	s_or_b32 exec_lo, exec_lo, s3
	v_and_b32_e32 v3, 0xef, v0
	s_add_i32 s3, s18, 31
	s_clause 0x1
	s_load_b32 s4, s[0:1], 0x38
	s_load_b32 s35, s[0:1], 0x98
	s_ashr_i32 s7, s3, 31
	v_add_nc_u32_e32 v3, s16, v3
	s_lshr_b32 s7, s7, 27
	s_load_b32 s19, s[0:1], 0x1c
	s_add_i32 s3, s3, s7
	s_waitcnt lgkmcnt(0)
	v_ashrrev_i32_e32 v4, 31, v3
	v_cmp_gt_i32_e32 vcc_lo, s18, v3
	s_ashr_i32 s3, s3, 5
	s_barrier
	s_add_i32 s3, s3, -1
	v_lshrrev_b32_e32 v5, 27, v4
	v_or_b32_e32 v4, 16, v3
	buffer_gl0_inv
	s_mul_i32 s6, s15, s6
	v_lshlrev_b64 v[73:74], 1, v[1:2]
	v_add_nc_u32_e32 v6, v3, v5
	v_add_nc_u32_e32 v5, v4, v5
	s_mul_i32 s20, s34, s4
	s_delay_alu instid0(SALU_CYCLE_1) | instskip(NEXT) | instid1(VALU_DEP_2)
	s_ashr_i32 s21, s20, 31
	v_ashrrev_i32_e32 v6, 5, v6
	s_delay_alu instid0(VALU_DEP_2) | instskip(SKIP_1) | instid1(SALU_CYCLE_1)
	v_ashrrev_i32_e32 v5, 5, v5
	s_lshl_b64 s[20:21], s[20:21], 2
	s_add_u32 s4, s12, s20
	s_delay_alu instid0(VALU_DEP_2) | instskip(SKIP_3) | instid1(SALU_CYCLE_1)
	v_cndmask_b32_e32 v3, s3, v6, vcc_lo
	v_cmp_gt_i32_e32 vcc_lo, s18, v4
	s_addc_u32 s17, s13, s21
	s_ashr_i32 s7, s6, 31
	s_lshl_b64 s[6:7], s[6:7], 1
	v_cndmask_b32_e32 v5, s3, v5, vcc_lo
	v_ashrrev_i32_e32 v4, 31, v3
	s_add_u32 s15, s8, s6
	s_addc_u32 s28, s9, s7
	s_lshl_b32 s8, s14, 3
	v_ashrrev_i32_e32 v6, 31, v5
	v_lshlrev_b64 v[3:4], 2, v[3:4]
	s_ashr_i32 s9, s8, 31
	s_delay_alu instid0(SALU_CYCLE_1) | instskip(NEXT) | instid1(VALU_DEP_2)
	s_lshl_b64 s[8:9], s[8:9], 2
	v_lshlrev_b64 v[5:6], 2, v[5:6]
	s_add_u32 s8, s4, s8
	s_delay_alu instid0(VALU_DEP_2) | instskip(SKIP_1) | instid1(VALU_DEP_3)
	v_add_co_u32 v3, vcc_lo, s4, v3
	v_add_co_ci_u32_e32 v4, vcc_lo, s17, v4, vcc_lo
	v_add_co_u32 v5, vcc_lo, s4, v5
	s_delay_alu instid0(VALU_DEP_4)
	v_add_co_ci_u32_e32 v6, vcc_lo, s17, v6, vcc_lo
	s_addc_u32 s9, s17, s9
	s_clause 0x1
	global_load_b32 v7, v[3:4], off
	global_load_b32 v8, v[5:6], off
	s_or_b32 s12, s16, 32
	s_delay_alu instid0(SALU_CYCLE_1) | instskip(SKIP_2) | instid1(SALU_CYCLE_1)
	s_ashr_i32 s13, s12, 5
	s_cmp_lt_i32 s12, s18
	s_cselect_b32 s12, s13, s3
	s_ashr_i32 s13, s12, 31
	s_delay_alu instid0(SALU_CYCLE_1) | instskip(NEXT) | instid1(SALU_CYCLE_1)
	s_lshl_b64 s[12:13], s[12:13], 2
	s_add_u32 s12, s4, s12
	s_addc_u32 s13, s17, s13
	s_or_b32 s20, s16, 64
	s_delay_alu instid0(SALU_CYCLE_1) | instskip(SKIP_2) | instid1(SALU_CYCLE_1)
	s_ashr_i32 s21, s20, 5
	s_cmp_lt_i32 s20, s18
	s_cselect_b32 s20, s21, s3
	s_ashr_i32 s21, s20, 31
	s_delay_alu instid0(SALU_CYCLE_1) | instskip(NEXT) | instid1(SALU_CYCLE_1)
	s_lshl_b64 s[20:21], s[20:21], 2
	s_add_u32 s20, s4, s20
	s_addc_u32 s21, s17, s21
	;; [unrolled: 10-line block ×5, first 2 shown]
	s_clause 0x5
	s_load_b32 s29, s[8:9], 0x0
	s_load_b32 s30, s[12:13], 0x0
	;; [unrolled: 1-line block ×6, first 2 shown]
	s_mov_b32 s20, 0
	s_or_b32 s8, s16, 0xc0
	s_mov_b32 s21, s20
	s_mov_b32 s22, s20
	;; [unrolled: 1-line block ×7, first 2 shown]
	s_ashr_i32 s9, s8, 5
	v_mov_b32_e32 v128, s27
	s_cmp_lt_i32 s8, s18
	v_mov_b32_e32 v127, s26
	s_cselect_b32 s8, s9, s3
	v_mov_b32_e32 v126, s25
	s_ashr_i32 s9, s8, 31
	v_mov_b32_e32 v125, s24
	s_lshl_b64 s[8:9], s[8:9], 2
	v_mov_b32_e32 v124, s23
	s_add_u32 s8, s4, s8
	s_addc_u32 s9, s17, s9
	v_mov_b32_e32 v123, s22
	v_mov_b32_e32 v121, s20
	s_waitcnt lgkmcnt(0)
	s_mul_hi_i32 s13, s29, s5
	s_mul_i32 s12, s29, s5
	v_mov_b32_e32 v122, s21
	s_mul_hi_i32 s21, s30, s5
	s_mul_i32 s20, s30, s5
	s_mul_hi_i32 s25, s31, s5
	s_mul_i32 s24, s31, s5
	;; [unrolled: 2-line block ×4, first 2 shown]
	s_waitcnt vmcnt(1)
	v_mad_i64_i32 v[3:4], null, v7, s5, 0
	s_waitcnt vmcnt(0)
	v_mad_i64_i32 v[5:6], null, v8, s5, 0
	s_delay_alu instid0(VALU_DEP_2) | instskip(NEXT) | instid1(VALU_DEP_2)
	v_lshlrev_b64 v[3:4], 1, v[3:4]
	v_lshlrev_b64 v[1:2], 1, v[5:6]
	s_delay_alu instid0(VALU_DEP_2) | instskip(NEXT) | instid1(VALU_DEP_3)
	v_add_co_u32 v3, vcc_lo, s15, v3
	v_add_co_ci_u32_e32 v4, vcc_lo, s28, v4, vcc_lo
	s_delay_alu instid0(VALU_DEP_3) | instskip(NEXT) | instid1(VALU_DEP_4)
	v_add_co_u32 v1, vcc_lo, s15, v1
	v_add_co_ci_u32_e32 v2, vcc_lo, s28, v2, vcc_lo
	s_delay_alu instid0(VALU_DEP_4) | instskip(NEXT) | instid1(VALU_DEP_4)
	v_add_co_u32 v25, vcc_lo, v3, v73
	v_add_co_ci_u32_e32 v26, vcc_lo, v4, v74, vcc_lo
	s_delay_alu instid0(VALU_DEP_4) | instskip(NEXT) | instid1(VALU_DEP_4)
	v_add_co_u32 v27, vcc_lo, v1, v73
	v_add_co_ci_u32_e32 v28, vcc_lo, v2, v74, vcc_lo
	s_clause 0xf
	global_load_b128 v[1:4], v[25:26], off
	global_load_b128 v[5:8], v[25:26], off offset:512
	global_load_b128 v[9:12], v[27:28], off offset:256
	;; [unrolled: 1-line block ×15, first 2 shown]
	v_add_nc_u32_e32 v25, -9, v77
	v_cmp_gt_u32_e32 vcc_lo, 9, v77
	s_or_b32 s15, s16, 0xe0
	s_delay_alu instid0(SALU_CYCLE_1) | instskip(SKIP_3) | instid1(SALU_CYCLE_1)
	s_ashr_i32 s22, s15, 5
	s_cmp_lt_i32 s15, s18
	v_cndmask_b32_e32 v25, v25, v77, vcc_lo
	s_cselect_b32 s22, s22, s3
	s_ashr_i32 s23, s22, 31
	s_delay_alu instid0(VALU_DEP_1)
	v_lshlrev_b32_e32 v151, 6, v25
	ds_load_b128 v[25:28], v151
	ds_load_b128 v[29:32], v151 offset:1024
	ds_load_b128 v[129:132], v151 offset:2048
	;; [unrolled: 1-line block ×3, first 2 shown]
	s_lshl_b64 s[22:23], s[22:23], 2
	s_delay_alu instid0(SALU_CYCLE_1) | instskip(SKIP_2) | instid1(SALU_CYCLE_1)
	s_add_u32 s22, s4, s22
	s_addc_u32 s23, s17, s23
	s_add_i32 s15, s16, 0x100
	s_ashr_i32 s28, s15, 5
	s_cmp_lt_i32 s15, s18
	s_load_b32 s15, s[8:9], 0x0
	s_cselect_b32 s28, s28, s3
	s_mul_hi_i32 s9, s37, s5
	s_ashr_i32 s29, s28, 31
	s_mul_i32 s8, s37, s5
	s_lshl_b64 s[28:29], s[28:29], 2
	s_delay_alu instid0(SALU_CYCLE_1)
	s_add_u32 s28, s4, s28
	s_addc_u32 s29, s17, s29
	s_add_u32 s3, s10, s6
	s_clause 0x1
	s_load_b32 s4, s[22:23], 0x0
	s_load_b32 s17, s[28:29], 0x0
	s_addc_u32 s28, s11, s7
	s_lshl_b64 s[6:7], s[12:13], 1
	s_lshl_b64 s[10:11], s[20:21], 1
	;; [unrolled: 1-line block ×6, first 2 shown]
	s_waitcnt lgkmcnt(0)
	s_mul_hi_i32 s25, s15, s5
	s_mul_i32 s24, s15, s5
	s_delay_alu instid0(SALU_CYCLE_1)
	s_lshl_b64 s[24:25], s[24:25], 1
	s_waitcnt vmcnt(14)
	v_wmma_f32_16x16x16_f16 v[137:144], v[1:8], v[25:32], v[121:128]
	s_waitcnt vmcnt(12)
	v_wmma_f32_16x16x16_f16 v[121:128], v[9:16], v[25:32], v[121:128]
	s_waitcnt vmcnt(10)
	s_delay_alu instid0(VALU_DEP_2) | instskip(SKIP_1) | instid1(VALU_DEP_2)
	v_wmma_f32_16x16x16_f16 v[137:144], v[17:24], v[129:136], v[137:144]
	s_waitcnt vmcnt(8)
	v_wmma_f32_16x16x16_f16 v[121:128], v[81:88], v[129:136], v[121:128]
	v_mbcnt_lo_u32_b32 v130, -1, 0
	s_delay_alu instid0(VALU_DEP_1) | instskip(SKIP_1) | instid1(VALU_DEP_1)
	v_xor_b32_e32 v131, 16, v130
	v_lshlrev_b32_e32 v79, 6, v77
	v_lshl_or_b32 v33, v78, 10, v79
	s_delay_alu instid0(VALU_DEP_1) | instskip(NEXT) | instid1(VALU_DEP_1)
	v_add_co_u32 v152, s3, s3, v33
	v_add_co_ci_u32_e64 v153, null, s28, 0, s3
	s_delay_alu instid0(VALU_DEP_2) | instskip(NEXT) | instid1(VALU_DEP_2)
	v_add_co_u32 v33, vcc_lo, v152, s6
	v_add_co_ci_u32_e32 v34, vcc_lo, s7, v153, vcc_lo
	v_add_co_u32 v35, vcc_lo, v152, s10
	v_add_co_ci_u32_e32 v36, vcc_lo, s11, v153, vcc_lo
	;; [unrolled: 2-line block ×6, first 2 shown]
	s_mul_hi_i32 s7, s4, s5
	s_mul_i32 s6, s4, s5
	v_add_co_u32 v149, vcc_lo, v152, s24
	s_lshl_b64 s[6:7], s[6:7], 1
	v_add_co_ci_u32_e32 v150, vcc_lo, s25, v153, vcc_lo
	v_add_co_u32 v29, vcc_lo, v152, s6
	v_add_co_ci_u32_e32 v30, vcc_lo, s7, v153, vcc_lo
	s_mul_hi_i32 s7, s17, s5
	s_mul_i32 s6, s17, s5
	s_clause 0x7
	global_load_b128 v[65:68], v[33:34], off
	global_load_b128 v[69:72], v[33:34], off offset:16
	global_load_b128 v[57:60], v[35:36], off
	global_load_b128 v[61:64], v[35:36], off offset:16
	;; [unrolled: 2-line block ×4, first 2 shown]
	s_lshl_b64 s[4:5], s[6:7], 1
	s_clause 0x1
	global_load_b128 v[9:12], v[145:146], off
	global_load_b128 v[13:16], v[145:146], off offset:16
	v_add_co_u32 v21, vcc_lo, v152, s4
	v_add_co_ci_u32_e32 v22, vcc_lo, s5, v153, vcc_lo
	s_clause 0x7
	global_load_b128 v[1:4], v[147:148], off
	global_load_b128 v[5:8], v[147:148], off offset:16
	global_load_b128 v[33:36], v[149:150], off
	global_load_b128 v[37:40], v[149:150], off offset:16
	;; [unrolled: 2-line block ×4, first 2 shown]
	ds_load_b128 v[81:84], v151 offset:4096
	ds_load_b128 v[85:88], v151 offset:5120
	v_cmp_gt_i32_e32 vcc_lo, 32, v131
	v_cndmask_b32_e32 v130, v130, v131, vcc_lo
	s_waitcnt vmcnt(24) lgkmcnt(0)
	v_wmma_f32_16x16x16_f16 v[137:144], v[89:96], v[81:88], v[137:144]
	ds_load_b128 v[89:92], v151 offset:6144
	ds_load_b128 v[93:96], v151 offset:7168
	s_waitcnt vmcnt(22)
	v_wmma_f32_16x16x16_f16 v[121:128], v[97:104], v[81:88], v[121:128]
	s_waitcnt vmcnt(0) lgkmcnt(0)
	s_barrier
	buffer_gl0_inv
	v_wmma_f32_16x16x16_f16 v[121:128], v[113:120], v[89:96], v[121:128]
	v_and_b32_e32 v129, 0xe0, v0
	v_wmma_f32_16x16x16_f16 v[137:144], v[105:112], v[89:96], v[137:144]
	s_delay_alu instid0(VALU_DEP_2) | instskip(NEXT) | instid1(VALU_DEP_2)
	v_dual_mul_f32 v104, s19, v126 :: v_dual_add_nc_u32 v129, s16, v129
	v_dual_mul_f32 v106, s19, v124 :: v_dual_mul_f32 v95, s19, v138
	s_delay_alu instid0(VALU_DEP_3) | instskip(NEXT) | instid1(VALU_DEP_3)
	v_dual_mul_f32 v96, s19, v137 :: v_dual_mul_f32 v93, s19, v140
	v_or_b32_e32 v129, v129, v75
	v_dual_mul_f32 v94, s19, v139 :: v_dual_mul_f32 v91, s19, v142
	v_dual_mul_f32 v92, s19, v141 :: v_dual_mul_f32 v89, s19, v144
	v_mul_f32_e32 v108, s19, v122
	s_delay_alu instid0(VALU_DEP_4)
	v_or_b32_e32 v131, 2, v129
	v_or_b32_e32 v132, 4, v129
	;; [unrolled: 1-line block ×3, first 2 shown]
	v_cmp_gt_i32_e32 vcc_lo, s18, v129
	v_or_b32_e32 v82, 8, v129
	v_cmp_gt_i32_e64 s3, s18, v131
	v_or_b32_e32 v83, 10, v129
	v_cmp_gt_i32_e64 s4, s18, v132
	v_cndmask_b32_e32 v96, 0xff7fffff, v96, vcc_lo
	v_cmp_gt_i32_e64 s5, s18, v81
	v_cndmask_b32_e64 v95, 0xff7fffff, v95, s3
	v_or_b32_e32 v84, 12, v129
	v_or_b32_e32 v85, 14, v129
	v_cndmask_b32_e64 v94, 0xff7fffff, v94, s4
	v_cndmask_b32_e64 v81, 0xff7fffff, v93, s5
	v_max3_f32 v93, v96, 0xff7fffff, v95
	v_cmp_gt_i32_e64 s6, s18, v82
	v_cmp_gt_i32_e64 s7, s18, v83
	v_or_b32_e32 v86, 16, v129
	v_or_b32_e32 v87, 18, v129
	v_mul_f32_e32 v90, s19, v143
	v_cndmask_b32_e64 v82, 0xff7fffff, v92, s6
	v_cndmask_b32_e64 v83, 0xff7fffff, v91, s7
	v_max3_f32 v81, v93, v94, v81
	v_cmp_gt_i32_e64 s8, s18, v84
	v_cmp_gt_i32_e64 s9, s18, v85
	v_or_b32_e32 v88, 20, v129
	v_or_b32_e32 v97, 22, v129
	v_mul_f32_e32 v109, s19, v121
	;; [unrolled: 8-line block ×4, first 2 shown]
	v_cndmask_b32_e64 v84, 0xff7fffff, v107, s12
	v_cndmask_b32_e64 v85, 0xff7fffff, v106, s13
	v_max3_f32 v81, v81, v82, v83
	v_cmp_gt_i32_e64 s15, s18, v98
	v_cmp_gt_i32_e64 s16, s18, v99
	v_dual_mul_f32 v102, s19, v128 :: v_dual_mul_f32 v103, s19, v127
	s_delay_alu instid0(VALU_DEP_4) | instskip(NEXT) | instid1(VALU_DEP_4)
	v_max3_f32 v81, v81, v84, v85
	v_cndmask_b32_e64 v82, 0xff7fffff, v105, s15
	s_delay_alu instid0(VALU_DEP_4) | instskip(SKIP_2) | instid1(VALU_DEP_3)
	v_cndmask_b32_e64 v83, 0xff7fffff, v104, s16
	v_cmp_gt_i32_e64 s17, s18, v100
	v_cmp_gt_i32_e64 s18, s18, v101
	v_max3_f32 v81, v81, v82, v83
	s_delay_alu instid0(VALU_DEP_3) | instskip(NEXT) | instid1(VALU_DEP_3)
	v_cndmask_b32_e64 v84, 0xff7fffff, v103, s17
	v_cndmask_b32_e64 v85, 0xff7fffff, v102, s18
	v_lshlrev_b32_e32 v83, 2, v130
	s_delay_alu instid0(VALU_DEP_2) | instskip(SKIP_3) | instid1(VALU_DEP_1)
	v_max3_f32 v81, v81, v84, v85
	ds_bpermute_b32 v82, v83, v81
	s_waitcnt lgkmcnt(0)
	v_max_f32_e32 v82, v82, v82
	v_max_f32_e32 v81, v81, v82
	s_delay_alu instid0(VALU_DEP_1)
	v_fma_f32 v82, s19, v137, -v81
	v_fma_f32 v84, s19, v138, -v81
	;; [unrolled: 1-line block ×5, first 2 shown]
	v_mul_f32_e32 v82, 0x3fb8aa3b, v82
	s_delay_alu instid0(VALU_DEP_4) | instskip(NEXT) | instid1(VALU_DEP_3)
	v_dual_mul_f32 v84, 0x3fb8aa3b, v84 :: v_dual_mul_f32 v85, 0x3fb8aa3b, v85
	v_dual_mul_f32 v86, 0x3fb8aa3b, v86 :: v_dual_mul_f32 v89, 0x3fb8aa3b, v87
	s_delay_alu instid0(VALU_DEP_3) | instskip(NEXT) | instid1(VALU_DEP_2)
	v_exp_f32_e32 v82, v82
	v_exp_f32_e32 v84, v84
	s_delay_alu instid0(VALU_DEP_2) | instskip(NEXT) | instid1(VALU_DEP_1)
	v_exp_f32_e32 v85, v85
	v_exp_f32_e32 v86, v86
	;; [unrolled: 1-line block ×3, first 2 shown]
	v_cndmask_b32_e32 v88, 0, v82, vcc_lo
	v_cndmask_b32_e64 v87, 0, v84, s3
	s_delay_alu instid0(TRANS32_DEP_3)
	v_cndmask_b32_e64 v90, 0, v85, s4
	s_waitcnt_depctr 0xfff
	v_cndmask_b32_e64 v89, 0, v86, s5
	v_cndmask_b32_e64 v92, 0, v92, s6
	v_add_f32_e32 v84, 0, v88
	v_cmp_gt_u32_e64 s3, 16, v80
	s_delay_alu instid0(VALU_DEP_2) | instskip(NEXT) | instid1(VALU_DEP_1)
	v_add_f32_e32 v84, v84, v87
	v_add_f32_e32 v84, v84, v90
	s_delay_alu instid0(VALU_DEP_1)
	v_add_f32_e32 v84, v84, v89
	v_fma_f32 v82, s19, v142, -v81
	v_fma_f32 v91, s19, v143, -v81
	v_fma_f32 v85, s19, v144, -v81
	v_fma_f32 v86, s19, v121, -v81
	v_fma_f32 v94, s19, v122, -v81
	s_delay_alu instid0(VALU_DEP_4) | instskip(SKIP_1) | instid1(VALU_DEP_4)
	v_dual_mul_f32 v82, 0x3fb8aa3b, v82 :: v_dual_mul_f32 v91, 0x3fb8aa3b, v91
	v_fma_f32 v96, s19, v124, -v81
	v_mul_f32_e32 v86, 0x3fb8aa3b, v86
	s_delay_alu instid0(VALU_DEP_4) | instskip(NEXT) | instid1(VALU_DEP_4)
	v_mul_f32_e32 v95, 0x3fb8aa3b, v94
	v_exp_f32_e32 v82, v82
	v_exp_f32_e32 v93, v91
	v_mul_f32_e32 v97, 0x3fb8aa3b, v96
	v_exp_f32_e32 v86, v86
	v_fma_f32 v99, s19, v127, -v81
	s_delay_alu instid0(VALU_DEP_2) | instskip(SKIP_2) | instid1(TRANS32_DEP_3)
	v_exp_f32_e32 v97, v97
	v_cndmask_b32_e64 v91, 0, v82, s7
	v_dual_add_f32 v82, v84, v92 :: v_dual_mul_f32 v85, 0x3fb8aa3b, v85
	v_cndmask_b32_e64 v94, 0, v93, s8
	v_fma_f32 v84, s19, v123, -v81
	s_delay_alu instid0(TRANS32_DEP_2) | instskip(NEXT) | instid1(VALU_DEP_4)
	v_cndmask_b32_e64 v96, 0, v86, s10
	v_add_f32_e32 v82, v82, v91
	v_exp_f32_e32 v85, v85
	v_fma_f32 v86, s19, v126, -v81
	v_mul_f32_e32 v84, 0x3fb8aa3b, v84
	v_cndmask_b32_e64 v97, 0, v97, s13
	v_add_f32_e32 v82, v82, v94
	s_delay_alu instid0(VALU_DEP_3) | instskip(SKIP_3) | instid1(VALU_DEP_2)
	v_exp_f32_e32 v84, v84
	s_waitcnt_depctr 0xfff
	v_cndmask_b32_e64 v93, 0, v85, s9
	v_fma_f32 v85, s19, v125, -v81
	v_add_f32_e32 v82, v82, v93
	v_exp_f32_e32 v95, v95
	s_delay_alu instid0(VALU_DEP_2)
	v_mul_f32_e32 v85, 0x3fb8aa3b, v85
	v_cndmask_b32_e64 v98, 0, v84, s12
	v_mul_f32_e32 v84, 0x3fb8aa3b, v99
	v_add_f32_e32 v82, v82, v96
	v_fma_f32 v99, s19, v128, -v81
	v_exp_f32_e32 v85, v85
	v_mul_f32_e32 v86, 0x3fb8aa3b, v86
	v_exp_f32_e32 v84, v84
	s_delay_alu instid0(TRANS32_DEP_3) | instskip(NEXT) | instid1(VALU_DEP_1)
	v_cndmask_b32_e64 v95, 0, v95, s11
	v_add_f32_e32 v82, v82, v95
	s_waitcnt_depctr 0xfff
	v_cndmask_b32_e64 v100, 0, v85, s15
	v_mul_f32_e32 v85, 0x3fb8aa3b, v99
	v_exp_f32_e32 v86, v86
	v_cndmask_b32_e64 v102, 0, v84, s17
	v_add_f32_e32 v82, v82, v98
	s_delay_alu instid0(VALU_DEP_3) | instskip(NEXT) | instid1(VALU_DEP_1)
	v_exp_f32_e32 v85, v85
	v_add_f32_e32 v82, v82, v97
	s_waitcnt_depctr 0xfff
	v_cndmask_b32_e64 v99, 0, v86, s16
	v_add_f32_e32 v82, v82, v100
	v_cndmask_b32_e64 v101, 0, v85, s18
	s_delay_alu instid0(VALU_DEP_2) | instskip(NEXT) | instid1(VALU_DEP_1)
	v_add_f32_e32 v82, v82, v99
	v_add_f32_e32 v82, v82, v102
	s_delay_alu instid0(VALU_DEP_1)
	v_add_f32_e32 v82, v82, v101
	ds_bpermute_b32 v83, v83, v82
	s_and_saveexec_b32 s4, s3
	s_cbranch_execz .LBB162_14
; %bb.13:
	v_mul_u32_u24_e32 v80, 0x44, v78
	s_waitcnt lgkmcnt(0)
	v_add_f32_e32 v82, v82, v83
	s_delay_alu instid0(VALU_DEP_2) | instskip(NEXT) | instid1(VALU_DEP_1)
	v_lshl_add_u32 v80, v77, 2, v80
	v_add_nc_u32_e32 v80, 0x4000, v80
	ds_store_2addr_b32 v80, v81, v82 offset1:136
.LBB162_14:
	s_or_b32 exec_lo, exec_lo, s4
	v_lshlrev_b32_e32 v80, 2, v77
	s_load_b32 s36, s[0:1], 0x94
	s_waitcnt lgkmcnt(0)
	s_barrier
	buffer_gl0_inv
	v_add_nc_u32_e32 v84, 0x4000, v80
	v_cmp_eq_u32_e32 vcc_lo, 1, v78
	v_cmp_eq_u32_e64 s4, 2, v78
	v_cmp_eq_u32_e64 s5, 3, v78
	v_cmp_eq_u32_e64 s6, 5, v78
	ds_load_2addr_b32 v[80:81], v84 offset1:17
	ds_load_2addr_b32 v[82:83], v84 offset0:34 offset1:51
	ds_load_2addr_b32 v[103:104], v84 offset0:68 offset1:85
	;; [unrolled: 1-line block ×3, first 2 shown]
	v_cmp_eq_u32_e64 s7, 7, v78
	s_waitcnt lgkmcnt(3)
	v_max3_f32 v85, v80, 0xff7fffff, v81
	s_waitcnt lgkmcnt(2)
	s_delay_alu instid0(VALU_DEP_1) | instskip(SKIP_1) | instid1(VALU_DEP_1)
	v_max3_f32 v85, v85, v82, v83
	s_waitcnt lgkmcnt(1)
	v_max3_f32 v85, v85, v103, v104
	s_waitcnt lgkmcnt(0)
	s_delay_alu instid0(VALU_DEP_1) | instskip(NEXT) | instid1(VALU_DEP_1)
	v_max3_f32 v85, v85, v105, v106
	v_sub_f32_e32 v103, v103, v85
	ds_load_2addr_b32 v[107:108], v84 offset0:136 offset1:153
	v_sub_f32_e32 v80, v80, v85
	v_dual_sub_f32 v110, v83, v85 :: v_dual_mul_f32 v113, 0x3fb8aa3b, v103
	s_delay_alu instid0(VALU_DEP_2) | instskip(SKIP_3) | instid1(VALU_DEP_1)
	v_dual_sub_f32 v86, v81, v85 :: v_dual_mul_f32 v109, 0x3fb8aa3b, v80
	ds_load_2addr_b32 v[80:81], v84 offset0:170 offset1:187
	v_mul_f32_e32 v86, 0x3fb8aa3b, v86
	v_exp_f32_e32 v109, v109
	v_exp_f32_e32 v112, v86
	v_mul_f32_e32 v110, 0x3fb8aa3b, v110
	s_waitcnt lgkmcnt(1)
	s_waitcnt_depctr 0xfff
	v_fma_f32 v86, v109, v107, 0
	v_sub_f32_e32 v107, v104, v85
	v_sub_f32_e32 v82, v82, v85
	v_exp_f32_e32 v110, v110
	ds_load_2addr_b32 v[103:104], v84 offset0:238 offset1:255
	v_dual_fmac_f32 v86, v112, v108 :: v_dual_mul_f32 v111, 0x3fb8aa3b, v82
	ds_load_2addr_b32 v[82:83], v84 offset0:204 offset1:221
	v_dual_sub_f32 v84, v105, v85 :: v_dual_mul_f32 v105, 0x3fb8aa3b, v107
	v_exp_f32_e32 v107, v113
	v_exp_f32_e32 v111, v111
	s_waitcnt lgkmcnt(0)
	s_delay_alu instid0(VALU_DEP_1)
	v_mul_f32_e32 v84, 0x3fb8aa3b, v84
	v_exp_f32_e32 v105, v105
	s_barrier
	buffer_gl0_inv
	v_fmac_f32_e32 v86, v111, v80
	v_sub_f32_e32 v80, v106, v85
	v_exp_f32_e32 v106, v84
	s_delay_alu instid0(VALU_DEP_2) | instskip(NEXT) | instid1(VALU_DEP_2)
	v_fmac_f32_e32 v86, v110, v81
	v_mul_f32_e32 v80, 0x3fb8aa3b, v80
	s_delay_alu instid0(VALU_DEP_2) | instskip(NEXT) | instid1(VALU_DEP_2)
	v_dual_cndmask_b32 v81, v109, v112 :: v_dual_fmac_f32 v86, v107, v82
	v_exp_f32_e32 v108, v80
	s_delay_alu instid0(VALU_DEP_1) | instskip(SKIP_2) | instid1(VALU_DEP_1)
	v_fmac_f32_e32 v86, v105, v83
	s_waitcnt_depctr 0xfff
	v_fmac_f32_e32 v86, v106, v103
	v_fmac_f32_e32 v86, v108, v104
	s_delay_alu instid0(VALU_DEP_1) | instskip(NEXT) | instid1(VALU_DEP_1)
	v_add_f32_e32 v103, 0x358637bd, v86
	v_div_scale_f32 v104, null, v103, v103, 1.0
	v_div_scale_f32 v109, vcc_lo, 1.0, v103, 1.0
	s_delay_alu instid0(VALU_DEP_2) | instskip(SKIP_2) | instid1(VALU_DEP_1)
	v_rcp_f32_e32 v113, v104
	s_waitcnt_depctr 0xfff
	v_fma_f32 v80, -v104, v113, 1.0
	v_fmac_f32_e32 v113, v80, v113
	v_cndmask_b32_e64 v80, v81, v111, s4
	v_cmp_eq_u32_e64 s4, 4, v78
	v_lshl_or_b32 v81, v78, 11, v79
	s_delay_alu instid0(VALU_DEP_4) | instskip(NEXT) | instid1(VALU_DEP_4)
	v_mul_f32_e32 v111, v109, v113
	v_cndmask_b32_e64 v82, v80, v110, s5
	v_cmp_eq_u32_e64 s5, 6, v78
	s_delay_alu instid0(VALU_DEP_4) | instskip(SKIP_3) | instid1(VALU_DEP_3)
	v_lshl_or_b32 v78, v75, 4, v81
	v_lshlrev_b32_e32 v80, 2, v75
	v_fma_f32 v83, -v104, v111, v109
	v_cndmask_b32_e64 v84, v82, v107, s4
	v_or_b32_e32 v82, 1, v80
	s_delay_alu instid0(VALU_DEP_3) | instskip(NEXT) | instid1(VALU_DEP_3)
	v_fmac_f32_e32 v111, v83, v113
	v_cndmask_b32_e64 v105, v84, v105, s6
	v_or_b32_e32 v84, 2, v80
	v_or_b32_e32 v83, 3, v80
	v_cmp_eq_u32_e64 s4, 1, v80
	v_fma_f32 v104, -v104, v111, v109
	v_cndmask_b32_e64 v105, v105, v106, s5
	v_cmp_eq_u32_e64 s10, 1, v82
	v_cmp_eq_u32_e64 s11, 1, v84
	;; [unrolled: 1-line block ×3, first 2 shown]
	v_div_fmas_f32 v104, v104, v113, v111
	v_cndmask_b32_e64 v105, v105, v108, s7
	v_cmp_eq_u32_e32 vcc_lo, 2, v80
	v_cmp_eq_u32_e64 s13, 2, v82
	v_cmp_eq_u32_e64 s16, 2, v84
	v_div_fixup_f32 v103, v104, v103, 1.0
	v_cmp_eq_u32_e64 s17, 2, v83
	v_cmp_eq_u32_e64 s19, 3, v83
	;; [unrolled: 1-line block ×4, first 2 shown]
	v_mul_f32_e32 v111, v105, v103
	v_cmp_eq_u32_e64 s18, 3, v84
	v_cmp_eq_u32_e64 s23, 4, v83
	;; [unrolled: 1-line block ×4, first 2 shown]
	v_fma_mixlo_f16 v103, v111, v88, 0
	v_fma_mixlo_f16 v104, v111, v90, 0
	;; [unrolled: 1-line block ×8, first 2 shown]
	v_fma_mixhi_f16 v103, v111, v87, 0
	v_fma_mixhi_f16 v104, v111, v89, 0
	;; [unrolled: 1-line block ×8, first 2 shown]
	ds_store_b128 v78, v[103:106]
	ds_store_b128 v78, v[107:110] offset:1024
	s_waitcnt lgkmcnt(0)
	s_barrier
	buffer_gl0_inv
	ds_load_b128 v[87:90], v81
	ds_load_b128 v[91:94], v81 offset:16
	ds_load_b128 v[95:98], v81 offset:1024
	;; [unrolled: 1-line block ×3, first 2 shown]
	v_cmp_eq_u32_e64 s22, 4, v84
	v_cmp_eq_u32_e64 s25, 5, v83
	;; [unrolled: 1-line block ×13, first 2 shown]
	s_waitcnt lgkmcnt(3)
	v_lshrrev_b32_e32 v103, 16, v87
	s_waitcnt lgkmcnt(2)
	v_lshrrev_b32_e32 v107, 16, v91
	;; [unrolled: 2-line block ×4, first 2 shown]
	v_lshrrev_b32_e32 v104, 16, v88
	v_cndmask_b32_e64 v119, v87, v103, s4
	v_cndmask_b32_e64 v120, v91, v107, s4
	;; [unrolled: 1-line block ×8, first 2 shown]
	v_lshrrev_b32_e32 v108, 16, v92
	v_cndmask_b32_e64 v103, v95, v111, s4
	v_cndmask_b32_e64 v107, v99, v115, s4
	;; [unrolled: 1-line block ×5, first 2 shown]
	v_cndmask_b32_e32 v111, v119, v88, vcc_lo
	v_cndmask_b32_e64 v119, v121, v88, s13
	v_cndmask_b32_e64 v121, v123, v88, s16
	;; [unrolled: 1-line block ×4, first 2 shown]
	v_lshrrev_b32_e32 v112, 16, v96
	v_lshrrev_b32_e32 v116, 16, v100
	v_cndmask_b32_e64 v126, v99, v115, s10
	v_cndmask_b32_e64 v128, v99, v115, s11
	;; [unrolled: 1-line block ×3, first 2 shown]
	v_cndmask_b32_e32 v115, v120, v92, vcc_lo
	v_cndmask_b32_e64 v120, v122, v92, s13
	v_cndmask_b32_e64 v122, v124, v92, s16
	v_cndmask_b32_e32 v91, v103, v96, vcc_lo
	v_cndmask_b32_e32 v92, v107, v100, vcc_lo
	v_cndmask_b32_e64 v103, v125, v96, s13
	v_cndmask_b32_e64 v87, v87, v104, s19
	;; [unrolled: 1-line block ×3, first 2 shown]
	v_lshrrev_b32_e32 v105, 16, v89
	v_lshrrev_b32_e32 v109, 16, v93
	v_cndmask_b32_e64 v107, v127, v96, s16
	v_cndmask_b32_e64 v95, v95, v96, s17
	;; [unrolled: 1-line block ×14, first 2 shown]
	v_lshrrev_b32_e32 v113, 16, v97
	v_cndmask_b32_e64 v99, v99, v89, s6
	v_cndmask_b32_e64 v104, v111, v93, s6
	;; [unrolled: 1-line block ×11, first 2 shown]
	v_lshrrev_b32_e32 v106, 16, v90
	v_lshrrev_b32_e32 v110, 16, v94
	v_cndmask_b32_e64 v93, v99, v105, s7
	v_cndmask_b32_e64 v99, v104, v109, s7
	;; [unrolled: 1-line block ×9, first 2 shown]
	v_lshrrev_b32_e32 v114, 16, v98
	v_cndmask_b32_e64 v89, v89, v113, s7
	v_cndmask_b32_e64 v93, v93, v90, s8
	;; [unrolled: 1-line block ×19, first 2 shown]
	v_perm_b32 v90, v88, v87, 0x5040100
	v_cndmask_b32_e64 v87, v126, v100, s13
	v_cndmask_b32_e64 v105, v89, v114, s9
	v_perm_b32 v89, v103, v99, 0x5040100
	v_perm_b32 v88, v104, v94, 0x5040100
	v_cndmask_b32_e64 v94, v107, v112, s18
	v_cndmask_b32_e64 v95, v95, v112, s19
	;; [unrolled: 1-line block ×5, first 2 shown]
	v_lshrrev_b32_e32 v117, 16, v101
	v_cndmask_b32_e64 v94, v94, v97, s22
	v_cndmask_b32_e64 v95, v95, v97, s23
	;; [unrolled: 1-line block ×11, first 2 shown]
	v_lshrrev_b32_e32 v118, 16, v102
	v_cndmask_b32_e64 v91, v91, v102, s8
	v_cndmask_b32_e64 v94, v94, v98, s27
	;; [unrolled: 1-line block ×12, first 2 shown]
	v_perm_b32 v87, v93, v92, 0x5040100
	v_perm_b32 v94, v95, v94, 0x5040100
	;; [unrolled: 1-line block ×5, first 2 shown]
	s_mul_i32 s8, s35, 9
	s_mov_b32 s4, exec_lo
	ds_store_b128 v78, v[87:90]
	ds_store_b128 v78, v[91:94] offset:1024
	v_cmpx_gt_u32_e32 9, v0
	s_cbranch_execz .LBB162_16
; %bb.15:
	s_mul_i32 s5, s8, s34
	s_load_b128 s[16:19], s[0:1], 0x58
	v_add3_u32 v77, s5, s33, v77
	s_delay_alu instid0(VALU_DEP_1) | instskip(NEXT) | instid1(VALU_DEP_1)
	v_mad_u64_u32 v[87:88], null, v77, s36, s[14:15]
	v_ashrrev_i32_e32 v88, 31, v87
	s_delay_alu instid0(VALU_DEP_1) | instskip(SKIP_1) | instid1(VALU_DEP_1)
	v_lshlrev_b64 v[87:88], 2, v[87:88]
	s_waitcnt lgkmcnt(0)
	v_add_co_u32 v89, vcc_lo, s18, v87
	s_delay_alu instid0(VALU_DEP_2)
	v_add_co_ci_u32_e32 v90, vcc_lo, s19, v88, vcc_lo
	v_add_co_u32 v87, vcc_lo, s16, v87
	v_add_co_ci_u32_e32 v88, vcc_lo, s17, v88, vcc_lo
	global_store_b32 v[89:90], v85, off
	global_store_b32 v[87:88], v86, off
.LBB162_16:
	s_or_b32 exec_lo, exec_lo, s4
	s_waitcnt lgkmcnt(0)
	s_waitcnt_vscnt null, 0x0
	s_barrier
	buffer_gl0_inv
	ds_load_b128 v[93:96], v79
	ds_load_b128 v[97:100], v79 offset:16
	ds_load_b128 v[105:108], v79 offset:1040
	ds_load_b128 v[101:104], v79 offset:1024
	ds_load_b128 v[113:116], v79 offset:2064
	ds_load_b128 v[109:112], v79 offset:2048
	v_cmp_eq_u32_e32 vcc_lo, 1, v84
	v_mov_b32_e32 v85, 0
	ds_load_b128 v[121:124], v79 offset:3088
	ds_load_b128 v[117:120], v79 offset:3072
	;; [unrolled: 1-line block ×4, first 2 shown]
	v_cmp_eq_u32_e64 s4, 1, v80
	v_cmp_eq_u32_e64 s5, 1, v83
	;; [unrolled: 1-line block ×3, first 2 shown]
	v_mov_b32_e32 v86, v85
	v_mov_b32_e32 v87, v85
	v_mov_b32_e32 v88, v85
	v_mov_b32_e32 v89, v85
	v_mov_b32_e32 v90, v85
	v_mov_b32_e32 v91, v85
	v_mov_b32_e32 v92, v85
	v_cmp_eq_u32_e64 s7, 2, v80
	s_waitcnt lgkmcnt(8)
	s_delay_alu instid0(VALU_DEP_2)
	v_wmma_f32_16x16x16_f16 v[85:92], v[65:72], v[93:100], v[85:92]
	ds_load_b128 v[69:72], v79 offset:5136
	ds_load_b128 v[65:68], v79 offset:5120
	;; [unrolled: 1-line block ×4, first 2 shown]
	s_waitcnt lgkmcnt(10)
	v_wmma_f32_16x16x16_f16 v[85:92], v[57:64], v[101:108], v[85:92]
	s_waitcnt lgkmcnt(8)
	s_delay_alu instid0(VALU_DEP_1)
	v_wmma_f32_16x16x16_f16 v[85:92], v[57:64], v[109:116], v[85:92]
	ds_load_b128 v[61:64], v79 offset:7184
	ds_load_b128 v[57:60], v79 offset:7168
	;; [unrolled: 1-line block ×4, first 2 shown]
	s_waitcnt lgkmcnt(10)
	v_wmma_f32_16x16x16_f16 v[85:92], v[49:56], v[117:124], v[85:92]
	s_waitcnt lgkmcnt(8)
	s_delay_alu instid0(VALU_DEP_1)
	v_wmma_f32_16x16x16_f16 v[85:92], v[49:56], v[125:132], v[85:92]
	ds_load_b128 v[53:56], v79 offset:9232
	ds_load_b128 v[49:52], v79 offset:9216
	s_waitcnt lgkmcnt(8)
	v_wmma_f32_16x16x16_f16 v[85:92], v[41:48], v[65:72], v[85:92]
	ds_load_b128 v[69:72], v79 offset:10256
	ds_load_b128 v[65:68], v79 offset:10240
	s_waitcnt lgkmcnt(8)
	;; [unrolled: 4-line block ×7, first 2 shown]
	s_barrier
	buffer_gl0_inv
	v_wmma_f32_16x16x16_f16 v[85:92], v[33:40], v[41:48], v[85:92]
	s_delay_alu instid0(VALU_DEP_1) | instskip(NEXT) | instid1(VALU_DEP_1)
	v_wmma_f32_16x16x16_f16 v[85:92], v[33:40], v[57:64], v[85:92]
	v_wmma_f32_16x16x16_f16 v[85:92], v[25:32], v[9:16], v[85:92]
	s_delay_alu instid0(VALU_DEP_1) | instskip(NEXT) | instid1(VALU_DEP_1)
	v_wmma_f32_16x16x16_f16 v[85:92], v[25:32], v[49:56], v[85:92]
	v_wmma_f32_16x16x16_f16 v[85:92], v[17:24], v[1:8], v[85:92]
	s_delay_alu instid0(VALU_DEP_1) | instskip(NEXT) | instid1(VALU_DEP_2)
	v_cvt_f16_f32_e32 v1, v85
	v_cvt_f16_f32_e32 v2, v86
	s_delay_alu instid0(VALU_DEP_3) | instskip(NEXT) | instid1(VALU_DEP_4)
	v_cvt_f16_f32_e32 v3, v87
	v_cvt_f16_f32_e32 v4, v88
	;; [unrolled: 1-line block ×6, first 2 shown]
	v_pack_b32_f16 v1, v1, v2
	v_pack_b32_f16 v2, v3, v4
	;; [unrolled: 1-line block ×3, first 2 shown]
	s_delay_alu instid0(VALU_DEP_4)
	v_pack_b32_f16 v4, v7, v8
	ds_store_b128 v78, v[1:4]
	s_waitcnt lgkmcnt(0)
	s_barrier
	buffer_gl0_inv
	ds_load_b128 v[1:4], v81
	ds_load_b128 v[5:8], v81 offset:16
	s_waitcnt lgkmcnt(1)
	v_lshrrev_b32_e32 v9, 16, v1
	s_waitcnt lgkmcnt(0)
	v_lshrrev_b32_e32 v13, 16, v5
	v_lshrrev_b32_e32 v15, 16, v7
	;; [unrolled: 1-line block ×4, first 2 shown]
	v_cndmask_b32_e64 v17, v1, v9, s4
	v_cndmask_b32_e64 v18, v5, v13, s4
	;; [unrolled: 1-line block ×3, first 2 shown]
	v_cmp_eq_u32_e64 s4, 2, v82
	v_cndmask_b32_e64 v20, v5, v13, s6
	v_cndmask_b32_e32 v21, v1, v9, vcc_lo
	v_cndmask_b32_e32 v22, v5, v13, vcc_lo
	v_cndmask_b32_e64 v1, v1, v9, s5
	v_cndmask_b32_e64 v5, v5, v13, s5
	v_cmp_eq_u32_e32 vcc_lo, 2, v84
	v_cmp_eq_u32_e64 s5, 2, v83
	v_cndmask_b32_e64 v9, v17, v2, s7
	v_cndmask_b32_e64 v13, v18, v6, s7
	;; [unrolled: 1-line block ×4, first 2 shown]
	v_cndmask_b32_e32 v19, v21, v2, vcc_lo
	v_cmp_eq_u32_e64 s4, 3, v84
	v_cndmask_b32_e32 v20, v22, v6, vcc_lo
	v_cndmask_b32_e64 v1, v1, v2, s5
	v_cmp_eq_u32_e32 vcc_lo, 3, v83
	v_cmp_eq_u32_e64 s6, 3, v80
	v_cndmask_b32_e64 v2, v5, v6, s5
	v_cmp_eq_u32_e64 s5, 3, v82
	v_lshrrev_b32_e32 v16, 16, v8
	v_cmp_eq_u32_e64 s7, 4, v80
	v_cndmask_b32_e64 v5, v9, v10, s6
	v_cndmask_b32_e64 v6, v13, v14, s6
	;; [unrolled: 1-line block ×3, first 2 shown]
	v_cmp_eq_u32_e64 s6, 4, v82
	v_cndmask_b32_e64 v13, v18, v14, s5
	v_cndmask_b32_e64 v17, v19, v10, s4
	;; [unrolled: 1-line block ×3, first 2 shown]
	v_cndmask_b32_e32 v1, v1, v10, vcc_lo
	v_cndmask_b32_e32 v2, v2, v14, vcc_lo
	v_cmp_eq_u32_e32 vcc_lo, 4, v84
	v_cmp_eq_u32_e64 s5, 4, v83
	v_lshrrev_b32_e32 v11, 16, v3
	v_cndmask_b32_e64 v5, v5, v3, s7
	v_cndmask_b32_e64 v6, v6, v7, s7
	v_cndmask_b32_e64 v9, v9, v3, s6
	v_cndmask_b32_e64 v10, v13, v7, s6
	v_cndmask_b32_e32 v13, v17, v3, vcc_lo
	v_cmp_eq_u32_e64 s4, 5, v84
	v_cndmask_b32_e32 v14, v18, v7, vcc_lo
	v_cndmask_b32_e64 v1, v1, v3, s5
	v_cmp_eq_u32_e32 vcc_lo, 5, v83
	v_cmp_eq_u32_e64 s6, 5, v80
	v_cndmask_b32_e64 v2, v2, v7, s5
	v_cmp_eq_u32_e64 s5, 5, v82
	v_cmp_eq_u32_e64 s7, 6, v80
	v_cndmask_b32_e32 v1, v1, v11, vcc_lo
	v_cndmask_b32_e64 v3, v5, v11, s6
	v_cndmask_b32_e64 v5, v6, v15, s6
	;; [unrolled: 1-line block ×3, first 2 shown]
	v_cmp_eq_u32_e64 s6, 6, v82
	v_cndmask_b32_e64 v7, v10, v15, s5
	v_cndmask_b32_e64 v9, v13, v11, s4
	;; [unrolled: 1-line block ×3, first 2 shown]
	v_cndmask_b32_e32 v2, v2, v15, vcc_lo
	v_cmp_eq_u32_e32 vcc_lo, 6, v84
	v_cmp_eq_u32_e64 s4, 6, v83
	v_lshrrev_b32_e32 v12, 16, v4
	v_cndmask_b32_e64 v3, v3, v4, s7
	v_cndmask_b32_e64 v5, v5, v8, s7
	;; [unrolled: 1-line block ×4, first 2 shown]
	v_cndmask_b32_e32 v9, v9, v4, vcc_lo
	v_cmp_eq_u32_e64 s5, 7, v84
	v_cndmask_b32_e32 v10, v10, v8, vcc_lo
	v_cndmask_b32_e64 v1, v1, v4, s4
	v_cmp_eq_u32_e32 vcc_lo, 7, v83
	v_cndmask_b32_e64 v2, v2, v8, s4
	v_cmp_eq_u32_e64 s4, 7, v80
	v_cmp_eq_u32_e64 s6, 7, v82
	v_cndmask_b32_e32 v1, v1, v12, vcc_lo
	s_delay_alu instid0(VALU_DEP_4) | instskip(NEXT) | instid1(VALU_DEP_4)
	v_cndmask_b32_e32 v2, v2, v16, vcc_lo
	v_cndmask_b32_e64 v8, v3, v12, s4
	s_delay_alu instid0(VALU_DEP_4)
	v_cndmask_b32_e64 v6, v6, v12, s6
	v_cndmask_b32_e64 v3, v9, v12, s5
	;; [unrolled: 1-line block ×5, first 2 shown]
	v_cmp_gt_u32_e32 vcc_lo, 32, v0
	v_perm_b32 v4, v2, v1, 0x5040100
	v_perm_b32 v3, v9, v3, 0x5040100
	v_perm_b32 v2, v7, v6, 0x5040100
	v_perm_b32 v1, v5, v8, 0x5040100
	s_and_b32 s2, vcc_lo, s2
	ds_store_b128 v78, v[1:4]
	s_waitcnt lgkmcnt(0)
	s_barrier
	buffer_gl0_inv
	s_and_saveexec_b32 s4, s2
	s_cbranch_execz .LBB162_2
; %bb.17:
	s_load_b64 s[4:5], s[0:1], 0x68
	v_lshlrev_b32_e32 v0, 10, v0
	v_lshlrev_b32_e32 v1, 4, v76
	s_lshl_b32 s0, s36, 6
	v_add_nc_u32_e32 v2, s33, v75
	s_mul_i32 s1, s0, s34
	s_delay_alu instid0(SALU_CYCLE_1) | instskip(SKIP_1) | instid1(VALU_DEP_2)
	s_mul_i32 s6, s1, s8
	v_and_or_b32 v0, 0x3800, v0, v1
	v_mul_lo_u32 v1, v2, s0
	s_ashr_i32 s7, s6, 31
	v_add_nc_u32_e32 v3, 2, v2
	s_lshl_b64 s[6:7], s[6:7], 1
	v_add_nc_u32_e32 v4, 4, v2
	v_add_nc_u32_e32 v5, 6, v2
	v_lshl_or_b32 v15, v75, 6, v0
	v_mul_lo_u32 v3, v3, s0
	v_ashrrev_i32_e32 v2, 31, v1
	v_mul_lo_u32 v19, v4, s0
	v_mul_lo_u32 v21, v5, s0
	s_waitcnt lgkmcnt(0)
	s_add_u32 s1, s4, s6
	s_addc_u32 s2, s5, s7
	s_lshl_b32 s4, s14, 6
	v_lshlrev_b64 v[5:6], 1, v[1:2]
	s_ashr_i32 s5, s4, 31
	v_ashrrev_i32_e32 v4, 31, v3
	s_lshl_b64 s[4:5], s[4:5], 1
	v_ashrrev_i32_e32 v20, 31, v19
	s_add_u32 s1, s1, s4
	s_addc_u32 s2, s2, s5
	v_add_co_u32 v1, vcc_lo, s1, v73
	v_add_co_ci_u32_e32 v2, vcc_lo, s2, v74, vcc_lo
	v_lshlrev_b64 v[25:26], 1, v[3:4]
	s_delay_alu instid0(VALU_DEP_3) | instskip(NEXT) | instid1(VALU_DEP_3)
	v_add_co_u32 v23, vcc_lo, v1, v5
	v_add_co_ci_u32_e32 v24, vcc_lo, v2, v6, vcc_lo
	ds_load_b128 v[3:6], v15
	ds_load_b128 v[7:10], v15 offset:128
	ds_load_b128 v[11:14], v15 offset:256
	;; [unrolled: 1-line block ×3, first 2 shown]
	v_ashrrev_i32_e32 v22, 31, v21
	v_lshlrev_b64 v[19:20], 1, v[19:20]
	v_add_co_u32 v25, vcc_lo, v1, v25
	v_add_co_ci_u32_e32 v26, vcc_lo, v2, v26, vcc_lo
	s_delay_alu instid0(VALU_DEP_4) | instskip(NEXT) | instid1(VALU_DEP_4)
	v_lshlrev_b64 v[21:22], 1, v[21:22]
	v_add_co_u32 v19, vcc_lo, v1, v19
	v_add_co_ci_u32_e32 v20, vcc_lo, v2, v20, vcc_lo
	s_delay_alu instid0(VALU_DEP_3) | instskip(NEXT) | instid1(VALU_DEP_4)
	v_add_co_u32 v21, vcc_lo, v1, v21
	v_add_co_ci_u32_e32 v22, vcc_lo, v2, v22, vcc_lo
	s_waitcnt lgkmcnt(3)
	global_store_b128 v[23:24], v[3:6], off
	s_waitcnt lgkmcnt(2)
	global_store_b128 v[25:26], v[7:10], off
	;; [unrolled: 2-line block ×4, first 2 shown]
	s_and_b32 exec_lo, exec_lo, s3
	s_cbranch_execz .LBB162_2
; %bb.18:
	ds_load_b128 v[3:6], v0 offset:512
	s_add_i32 s1, s33, 8
	s_delay_alu instid0(SALU_CYCLE_1) | instskip(NEXT) | instid1(SALU_CYCLE_1)
	s_mul_i32 s0, s1, s0
	s_ashr_i32 s1, s0, 31
	s_delay_alu instid0(SALU_CYCLE_1) | instskip(NEXT) | instid1(SALU_CYCLE_1)
	s_lshl_b64 s[0:1], s[0:1], 1
	v_add_co_u32 v0, vcc_lo, v1, s0
	v_add_co_ci_u32_e32 v1, vcc_lo, s1, v2, vcc_lo
	s_waitcnt lgkmcnt(0)
	global_store_b128 v[0:1], v[3:6], off
	s_nop 0
	s_sendmsg sendmsg(MSG_DEALLOC_VGPRS)
	s_endpgm
	.section	.rodata,"a",@progbits
	.p2align	6, 0x0
	.amdhsa_kernel _Z39paged_attention_ll4mi_QKV_mfma16_kernelIDF16_DF16_LN4vllm18Fp8KVCacheDataTypeE0EDF16_Li32ELi64ELi256ELb1ELi9EL8MFMAType0EEvPKT_PKT0_S8_ifPKiSA_SA_iPKfiiiPfSD_PS3_PT2_iSC_SC_
		.amdhsa_group_segment_fixed_size 17472
		.amdhsa_private_segment_fixed_size 0
		.amdhsa_kernarg_size 400
		.amdhsa_user_sgpr_count 13
		.amdhsa_user_sgpr_dispatch_ptr 0
		.amdhsa_user_sgpr_queue_ptr 0
		.amdhsa_user_sgpr_kernarg_segment_ptr 1
		.amdhsa_user_sgpr_dispatch_id 0
		.amdhsa_user_sgpr_private_segment_size 0
		.amdhsa_wavefront_size32 1
		.amdhsa_uses_dynamic_stack 0
		.amdhsa_enable_private_segment 0
		.amdhsa_system_sgpr_workgroup_id_x 1
		.amdhsa_system_sgpr_workgroup_id_y 1
		.amdhsa_system_sgpr_workgroup_id_z 1
		.amdhsa_system_sgpr_workgroup_info 0
		.amdhsa_system_vgpr_workitem_id 0
		.amdhsa_next_free_vgpr 154
		.amdhsa_next_free_sgpr 39
		.amdhsa_reserve_vcc 1
		.amdhsa_float_round_mode_32 0
		.amdhsa_float_round_mode_16_64 0
		.amdhsa_float_denorm_mode_32 3
		.amdhsa_float_denorm_mode_16_64 3
		.amdhsa_dx10_clamp 1
		.amdhsa_ieee_mode 1
		.amdhsa_fp16_overflow 0
		.amdhsa_workgroup_processor_mode 1
		.amdhsa_memory_ordered 1
		.amdhsa_forward_progress 0
		.amdhsa_shared_vgpr_count 0
		.amdhsa_exception_fp_ieee_invalid_op 0
		.amdhsa_exception_fp_denorm_src 0
		.amdhsa_exception_fp_ieee_div_zero 0
		.amdhsa_exception_fp_ieee_overflow 0
		.amdhsa_exception_fp_ieee_underflow 0
		.amdhsa_exception_fp_ieee_inexact 0
		.amdhsa_exception_int_div_zero 0
	.end_amdhsa_kernel
	.section	.text._Z39paged_attention_ll4mi_QKV_mfma16_kernelIDF16_DF16_LN4vllm18Fp8KVCacheDataTypeE0EDF16_Li32ELi64ELi256ELb1ELi9EL8MFMAType0EEvPKT_PKT0_S8_ifPKiSA_SA_iPKfiiiPfSD_PS3_PT2_iSC_SC_,"axG",@progbits,_Z39paged_attention_ll4mi_QKV_mfma16_kernelIDF16_DF16_LN4vllm18Fp8KVCacheDataTypeE0EDF16_Li32ELi64ELi256ELb1ELi9EL8MFMAType0EEvPKT_PKT0_S8_ifPKiSA_SA_iPKfiiiPfSD_PS3_PT2_iSC_SC_,comdat
.Lfunc_end162:
	.size	_Z39paged_attention_ll4mi_QKV_mfma16_kernelIDF16_DF16_LN4vllm18Fp8KVCacheDataTypeE0EDF16_Li32ELi64ELi256ELb1ELi9EL8MFMAType0EEvPKT_PKT0_S8_ifPKiSA_SA_iPKfiiiPfSD_PS3_PT2_iSC_SC_, .Lfunc_end162-_Z39paged_attention_ll4mi_QKV_mfma16_kernelIDF16_DF16_LN4vllm18Fp8KVCacheDataTypeE0EDF16_Li32ELi64ELi256ELb1ELi9EL8MFMAType0EEvPKT_PKT0_S8_ifPKiSA_SA_iPKfiiiPfSD_PS3_PT2_iSC_SC_
                                        ; -- End function
	.section	.AMDGPU.csdata,"",@progbits
; Kernel info:
; codeLenInByte = 7316
; NumSgprs: 41
; NumVgprs: 154
; ScratchSize: 0
; MemoryBound: 0
; FloatMode: 240
; IeeeMode: 1
; LDSByteSize: 17472 bytes/workgroup (compile time only)
; SGPRBlocks: 5
; VGPRBlocks: 19
; NumSGPRsForWavesPerEU: 41
; NumVGPRsForWavesPerEU: 154
; Occupancy: 9
; WaveLimiterHint : 1
; COMPUTE_PGM_RSRC2:SCRATCH_EN: 0
; COMPUTE_PGM_RSRC2:USER_SGPR: 13
; COMPUTE_PGM_RSRC2:TRAP_HANDLER: 0
; COMPUTE_PGM_RSRC2:TGID_X_EN: 1
; COMPUTE_PGM_RSRC2:TGID_Y_EN: 1
; COMPUTE_PGM_RSRC2:TGID_Z_EN: 1
; COMPUTE_PGM_RSRC2:TIDIG_COMP_CNT: 0
	.section	.text._Z39paged_attention_ll4mi_QKV_mfma16_kernelIDF16_DF16_LN4vllm18Fp8KVCacheDataTypeE0EDF16_Li32ELi64ELi256ELb1ELi10EL8MFMAType0EEvPKT_PKT0_S8_ifPKiSA_SA_iPKfiiiPfSD_PS3_PT2_iSC_SC_,"axG",@progbits,_Z39paged_attention_ll4mi_QKV_mfma16_kernelIDF16_DF16_LN4vllm18Fp8KVCacheDataTypeE0EDF16_Li32ELi64ELi256ELb1ELi10EL8MFMAType0EEvPKT_PKT0_S8_ifPKiSA_SA_iPKfiiiPfSD_PS3_PT2_iSC_SC_,comdat
	.protected	_Z39paged_attention_ll4mi_QKV_mfma16_kernelIDF16_DF16_LN4vllm18Fp8KVCacheDataTypeE0EDF16_Li32ELi64ELi256ELb1ELi10EL8MFMAType0EEvPKT_PKT0_S8_ifPKiSA_SA_iPKfiiiPfSD_PS3_PT2_iSC_SC_ ; -- Begin function _Z39paged_attention_ll4mi_QKV_mfma16_kernelIDF16_DF16_LN4vllm18Fp8KVCacheDataTypeE0EDF16_Li32ELi64ELi256ELb1ELi10EL8MFMAType0EEvPKT_PKT0_S8_ifPKiSA_SA_iPKfiiiPfSD_PS3_PT2_iSC_SC_
	.globl	_Z39paged_attention_ll4mi_QKV_mfma16_kernelIDF16_DF16_LN4vllm18Fp8KVCacheDataTypeE0EDF16_Li32ELi64ELi256ELb1ELi10EL8MFMAType0EEvPKT_PKT0_S8_ifPKiSA_SA_iPKfiiiPfSD_PS3_PT2_iSC_SC_
	.p2align	8
	.type	_Z39paged_attention_ll4mi_QKV_mfma16_kernelIDF16_DF16_LN4vllm18Fp8KVCacheDataTypeE0EDF16_Li32ELi64ELi256ELb1ELi10EL8MFMAType0EEvPKT_PKT0_S8_ifPKiSA_SA_iPKfiiiPfSD_PS3_PT2_iSC_SC_,@function
_Z39paged_attention_ll4mi_QKV_mfma16_kernelIDF16_DF16_LN4vllm18Fp8KVCacheDataTypeE0EDF16_Li32ELi64ELi256ELb1ELi10EL8MFMAType0EEvPKT_PKT0_S8_ifPKiSA_SA_iPKfiiiPfSD_PS3_PT2_iSC_SC_: ; @_Z39paged_attention_ll4mi_QKV_mfma16_kernelIDF16_DF16_LN4vllm18Fp8KVCacheDataTypeE0EDF16_Li32ELi64ELi256ELb1ELi10EL8MFMAType0EEvPKT_PKT0_S8_ifPKiSA_SA_iPKfiiiPfSD_PS3_PT2_iSC_SC_
; %bb.0:
	s_load_b64 s[2:3], s[0:1], 0x30
	s_mov_b32 s34, s13
	s_waitcnt lgkmcnt(0)
	s_cmp_lg_u64 s[2:3], 0
	s_cselect_b32 s6, -1, 0
	s_ashr_i32 s35, s13, 31
	s_cmp_eq_u64 s[2:3], 0
	s_cbranch_scc1 .LBB163_3
; %bb.1:
	s_lshl_b64 s[4:5], s[34:35], 2
	s_delay_alu instid0(SALU_CYCLE_1) | instskip(SKIP_4) | instid1(SALU_CYCLE_1)
	s_add_u32 s4, s2, s4
	s_addc_u32 s5, s3, s5
	s_load_b64 s[4:5], s[4:5], 0x0
	s_waitcnt lgkmcnt(0)
	s_sub_i32 s4, s5, s4
	s_cmp_eq_u32 s4, 1
	s_cselect_b32 s4, -1, 0
	s_delay_alu instid0(SALU_CYCLE_1)
	s_and_not1_b32 vcc_lo, exec_lo, s4
	s_cbranch_vccz .LBB163_4
.LBB163_2:
	s_endpgm
.LBB163_3:
.LBB163_4:
	s_load_b64 s[8:9], s[0:1], 0x28
	s_lshl_b64 s[4:5], s[34:35], 2
	s_waitcnt lgkmcnt(0)
	s_add_u32 s8, s8, s4
	s_addc_u32 s9, s9, s5
	s_lshl_b32 s16, s14, 8
	s_load_b32 s18, s[8:9], 0x0
	s_waitcnt lgkmcnt(0)
	s_cmp_ge_i32 s16, s18
	s_cbranch_scc1 .LBB163_2
; %bb.5:
	s_and_not1_b32 vcc_lo, exec_lo, s6
	s_cbranch_vccnz .LBB163_7
; %bb.6:
	s_add_u32 s2, s2, s4
	s_addc_u32 s3, s3, s5
	s_load_b32 s17, s[2:3], 0x0
	s_branch .LBB163_8
.LBB163_7:
	s_mov_b32 s17, s34
.LBB163_8:
	s_clause 0x2
	s_load_b128 s[8:11], s[0:1], 0x8
	s_load_b64 s[12:13], s[0:1], 0x20
	s_load_b128 s[4:7], s[0:1], 0x48
	v_and_b32_e32 v77, 15, v0
	v_cmp_lt_u32_e32 vcc_lo, 0x9f, v0
	s_delay_alu instid0(VALU_DEP_2) | instskip(SKIP_2) | instid1(VALU_DEP_3)
	v_cmp_lt_u32_e64 s3, 7, v77
	v_lshlrev_b32_e32 v1, 3, v77
	v_cmp_gt_u32_e64 s2, 8, v77
	s_or_b32 s3, vcc_lo, s3
	s_waitcnt lgkmcnt(0)
	s_and_saveexec_b32 s7, s3
	s_delay_alu instid0(SALU_CYCLE_1)
	s_xor_b32 s3, exec_lo, s7
; %bb.9:
	v_mov_b32_e32 v2, 0
; %bb.10:
	s_or_saveexec_b32 s3, s3
	v_lshrrev_b32_e32 v79, 5, v0
	v_and_b32_e32 v80, 31, v0
	v_and_b32_e32 v76, 1, v0
	v_bfe_u32 v75, v0, 4, 1
	s_mul_i32 s31, s15, 10
	s_xor_b32 exec_lo, exec_lo, s3
	s_cbranch_execz .LBB163_12
; %bb.11:
	s_load_b64 s[20:21], s[0:1], 0x0
	v_lshl_or_b32 v7, v79, 1, v75
	s_mul_hi_i32 s23, s17, s4
	s_mul_i32 s22, s17, s4
	v_lshlrev_b32_e32 v4, 1, v1
	s_lshl_b64 s[22:23], s[22:23], 1
	v_add_lshl_u32 v2, v7, s31, 6
	v_lshlrev_b32_e32 v7, 6, v7
	v_lshlrev_b32_e32 v8, 10, v76
	s_delay_alu instid0(VALU_DEP_3) | instskip(NEXT) | instid1(VALU_DEP_1)
	v_ashrrev_i32_e32 v3, 31, v2
	v_lshlrev_b64 v[2:3], 1, v[2:3]
	s_waitcnt lgkmcnt(0)
	s_add_u32 s4, s20, s22
	s_addc_u32 s7, s21, s23
	s_delay_alu instid0(VALU_DEP_1) | instskip(NEXT) | instid1(VALU_DEP_2)
	v_add_co_u32 v2, vcc_lo, s4, v2
	v_add_co_ci_u32_e32 v3, vcc_lo, s7, v3, vcc_lo
	s_delay_alu instid0(VALU_DEP_2) | instskip(NEXT) | instid1(VALU_DEP_2)
	v_add_co_u32 v2, vcc_lo, v2, v4
	v_add_co_ci_u32_e32 v3, vcc_lo, 0, v3, vcc_lo
	global_load_b128 v[3:6], v[2:3], off
	v_lshlrev_b32_e32 v2, 10, v77
	s_delay_alu instid0(VALU_DEP_1) | instskip(NEXT) | instid1(VALU_DEP_1)
	v_and_b32_e32 v2, 0x3800, v2
	v_or3_b32 v7, v2, v8, v7
	v_mov_b32_e32 v2, 0
	s_waitcnt vmcnt(0)
	ds_store_b128 v7, v[3:6]
.LBB163_12:
	s_or_b32 exec_lo, exec_lo, s3
	v_and_b32_e32 v3, 0xef, v0
	s_add_i32 s3, s18, 31
	s_clause 0x1
	s_load_b32 s4, s[0:1], 0x38
	s_load_b32 s33, s[0:1], 0x98
	s_ashr_i32 s7, s3, 31
	v_add_nc_u32_e32 v3, s16, v3
	s_lshr_b32 s7, s7, 27
	s_load_b32 s19, s[0:1], 0x1c
	s_add_i32 s3, s3, s7
	s_waitcnt lgkmcnt(0)
	v_ashrrev_i32_e32 v4, 31, v3
	v_cmp_gt_i32_e32 vcc_lo, s18, v3
	s_ashr_i32 s3, s3, 5
	s_barrier
	s_add_i32 s3, s3, -1
	v_lshrrev_b32_e32 v5, 27, v4
	v_or_b32_e32 v4, 16, v3
	buffer_gl0_inv
	s_mul_i32 s6, s15, s6
	v_lshlrev_b64 v[73:74], 1, v[1:2]
	v_add_nc_u32_e32 v6, v3, v5
	v_add_nc_u32_e32 v5, v4, v5
	s_mul_i32 s20, s34, s4
	v_lshlrev_b32_e32 v78, 6, v77
	s_ashr_i32 s21, s20, 31
	v_ashrrev_i32_e32 v6, 5, v6
	v_ashrrev_i32_e32 v5, 5, v5
	s_lshl_b64 s[20:21], s[20:21], 2
	v_lshl_or_b32 v33, v79, 10, v78
	s_add_u32 s4, s12, s20
	v_cndmask_b32_e32 v3, s3, v6, vcc_lo
	v_cmp_gt_i32_e32 vcc_lo, s18, v4
	s_addc_u32 s17, s13, s21
	s_ashr_i32 s7, s6, 31
	s_delay_alu instid0(VALU_DEP_2) | instskip(SKIP_2) | instid1(SALU_CYCLE_1)
	v_ashrrev_i32_e32 v4, 31, v3
	v_cndmask_b32_e32 v5, s3, v5, vcc_lo
	s_lshl_b64 s[6:7], s[6:7], 1
	s_add_u32 s15, s8, s6
	s_delay_alu instid0(VALU_DEP_2) | instskip(NEXT) | instid1(VALU_DEP_2)
	v_lshlrev_b64 v[3:4], 2, v[3:4]
	v_ashrrev_i32_e32 v6, 31, v5
	s_addc_u32 s28, s9, s7
	s_lshl_b32 s8, s14, 3
	s_delay_alu instid0(SALU_CYCLE_1) | instskip(NEXT) | instid1(VALU_DEP_1)
	s_ashr_i32 s9, s8, 31
	v_lshlrev_b64 v[5:6], 2, v[5:6]
	v_add_co_u32 v3, vcc_lo, s4, v3
	v_add_co_ci_u32_e32 v4, vcc_lo, s17, v4, vcc_lo
	s_lshl_b64 s[8:9], s[8:9], 2
	s_delay_alu instid0(VALU_DEP_3) | instskip(NEXT) | instid1(VALU_DEP_4)
	v_add_co_u32 v5, vcc_lo, s4, v5
	v_add_co_ci_u32_e32 v6, vcc_lo, s17, v6, vcc_lo
	s_add_u32 s8, s4, s8
	s_clause 0x1
	global_load_b32 v7, v[3:4], off
	global_load_b32 v8, v[5:6], off
	s_addc_u32 s9, s17, s9
	s_or_b32 s12, s16, 32
	s_delay_alu instid0(SALU_CYCLE_1) | instskip(SKIP_2) | instid1(SALU_CYCLE_1)
	s_ashr_i32 s13, s12, 5
	s_cmp_lt_i32 s12, s18
	s_cselect_b32 s12, s13, s3
	s_ashr_i32 s13, s12, 31
	s_delay_alu instid0(SALU_CYCLE_1) | instskip(NEXT) | instid1(SALU_CYCLE_1)
	s_lshl_b64 s[12:13], s[12:13], 2
	s_add_u32 s12, s4, s12
	s_addc_u32 s13, s17, s13
	s_or_b32 s20, s16, 64
	s_delay_alu instid0(SALU_CYCLE_1) | instskip(SKIP_2) | instid1(SALU_CYCLE_1)
	s_ashr_i32 s21, s20, 5
	s_cmp_lt_i32 s20, s18
	s_cselect_b32 s20, s21, s3
	s_ashr_i32 s21, s20, 31
	s_delay_alu instid0(SALU_CYCLE_1) | instskip(NEXT) | instid1(SALU_CYCLE_1)
	s_lshl_b64 s[20:21], s[20:21], 2
	s_add_u32 s20, s4, s20
	;; [unrolled: 10-line block ×5, first 2 shown]
	s_addc_u32 s27, s17, s27
	s_clause 0x5
	s_load_b32 s29, s[8:9], 0x0
	s_load_b32 s30, s[12:13], 0x0
	;; [unrolled: 1-line block ×6, first 2 shown]
	s_or_b32 s8, s16, 0xc0
	s_mov_b32 s20, 0
	s_ashr_i32 s9, s8, 5
	s_cmp_lt_i32 s8, s18
	s_mov_b32 s27, s20
	s_cselect_b32 s8, s9, s3
	s_mov_b32 s21, s20
	s_ashr_i32 s9, s8, 31
	s_mov_b32 s22, s20
	s_lshl_b64 s[8:9], s[8:9], 2
	s_mov_b32 s23, s20
	s_add_u32 s8, s4, s8
	s_mov_b32 s24, s20
	s_mov_b32 s25, s20
	;; [unrolled: 1-line block ×3, first 2 shown]
	s_addc_u32 s9, s17, s9
	v_dual_mov_b32 v128, s27 :: v_dual_mov_b32 v127, s26
	v_dual_mov_b32 v126, s25 :: v_dual_mov_b32 v125, s24
	;; [unrolled: 1-line block ×3, first 2 shown]
	v_mov_b32_e32 v121, s20
	s_waitcnt lgkmcnt(0)
	s_mul_hi_i32 s13, s29, s5
	s_mul_i32 s12, s29, s5
	v_mov_b32_e32 v122, s21
	s_mul_hi_i32 s21, s30, s5
	s_mul_i32 s20, s30, s5
	s_mul_hi_i32 s25, s35, s5
	s_mul_i32 s24, s35, s5
	;; [unrolled: 2-line block ×3, first 2 shown]
	s_mul_i32 s36, s38, s5
	s_waitcnt vmcnt(1)
	v_mad_i64_i32 v[3:4], null, v7, s5, 0
	s_waitcnt vmcnt(0)
	v_mad_i64_i32 v[5:6], null, v8, s5, 0
	s_delay_alu instid0(VALU_DEP_2) | instskip(NEXT) | instid1(VALU_DEP_2)
	v_lshlrev_b64 v[3:4], 1, v[3:4]
	v_lshlrev_b64 v[1:2], 1, v[5:6]
	s_delay_alu instid0(VALU_DEP_2) | instskip(NEXT) | instid1(VALU_DEP_3)
	v_add_co_u32 v3, vcc_lo, s15, v3
	v_add_co_ci_u32_e32 v4, vcc_lo, s28, v4, vcc_lo
	s_delay_alu instid0(VALU_DEP_3) | instskip(NEXT) | instid1(VALU_DEP_4)
	v_add_co_u32 v1, vcc_lo, s15, v1
	v_add_co_ci_u32_e32 v2, vcc_lo, s28, v2, vcc_lo
	s_delay_alu instid0(VALU_DEP_4) | instskip(NEXT) | instid1(VALU_DEP_4)
	v_add_co_u32 v25, vcc_lo, v3, v73
	v_add_co_ci_u32_e32 v26, vcc_lo, v4, v74, vcc_lo
	s_delay_alu instid0(VALU_DEP_4) | instskip(NEXT) | instid1(VALU_DEP_4)
	v_add_co_u32 v27, vcc_lo, v1, v73
	v_add_co_ci_u32_e32 v28, vcc_lo, v2, v74, vcc_lo
	s_clause 0xf
	global_load_b128 v[1:4], v[25:26], off
	global_load_b128 v[5:8], v[25:26], off offset:512
	global_load_b128 v[9:12], v[27:28], off offset:256
	global_load_b128 v[13:16], v[27:28], off offset:768
	global_load_b128 v[17:20], v[25:26], off offset:1024
	global_load_b128 v[21:24], v[25:26], off offset:1536
	global_load_b128 v[81:84], v[27:28], off offset:1280
	global_load_b128 v[85:88], v[27:28], off offset:1792
	global_load_b128 v[89:92], v[25:26], off offset:2048
	global_load_b128 v[93:96], v[25:26], off offset:2560
	global_load_b128 v[97:100], v[27:28], off offset:2304
	global_load_b128 v[101:104], v[27:28], off offset:2816
	global_load_b128 v[105:108], v[25:26], off offset:3072
	global_load_b128 v[109:112], v[25:26], off offset:3584
	global_load_b128 v[113:116], v[27:28], off offset:3328
	global_load_b128 v[117:120], v[27:28], off offset:3840
	s_or_b32 s15, s16, 0xe0
	v_add_nc_u32_e32 v25, -10, v77
	s_ashr_i32 s22, s15, 5
	s_cmp_lt_i32 s15, s18
	v_cmp_gt_u32_e32 vcc_lo, 10, v77
	s_cselect_b32 s22, s22, s3
	s_delay_alu instid0(SALU_CYCLE_1) | instskip(NEXT) | instid1(SALU_CYCLE_1)
	s_ashr_i32 s23, s22, 31
	s_lshl_b64 s[22:23], s[22:23], 2
	v_cndmask_b32_e32 v25, v25, v77, vcc_lo
	s_add_u32 s22, s4, s22
	s_addc_u32 s23, s17, s23
	s_add_i32 s15, s16, 0x100
	s_delay_alu instid0(SALU_CYCLE_1)
	s_ashr_i32 s28, s15, 5
	s_cmp_lt_i32 s15, s18
	v_lshlrev_b32_e32 v151, 6, v25
	s_cselect_b32 s28, s28, s3
	ds_load_b128 v[25:28], v151
	ds_load_b128 v[29:32], v151 offset:1024
	s_ashr_i32 s29, s28, 31
	ds_load_b128 v[129:132], v151 offset:2048
	ds_load_b128 v[133:136], v151 offset:3072
	s_lshl_b64 s[28:29], s[28:29], 2
	s_load_b32 s15, s[8:9], 0x0
	s_add_u32 s28, s4, s28
	s_addc_u32 s29, s17, s29
	s_add_u32 s3, s10, s6
	s_clause 0x1
	s_load_b32 s4, s[22:23], 0x0
	s_load_b32 s17, s[28:29], 0x0
	s_addc_u32 s28, s11, s7
	v_add_co_u32 v152, s3, s3, v33
	s_delay_alu instid0(VALU_DEP_1) | instskip(SKIP_2) | instid1(VALU_DEP_2)
	v_add_co_ci_u32_e64 v153, null, s28, 0, s3
	s_lshl_b64 s[6:7], s[12:13], 1
	s_lshl_b64 s[10:11], s[20:21], 1
	v_add_co_u32 v33, vcc_lo, v152, s6
	s_delay_alu instid0(VALU_DEP_2)
	v_add_co_ci_u32_e32 v34, vcc_lo, s7, v153, vcc_lo
	v_add_co_u32 v35, vcc_lo, v152, s10
	s_lshl_b64 s[12:13], s[24:25], 1
	v_add_co_ci_u32_e32 v36, vcc_lo, s11, v153, vcc_lo
	v_add_co_u32 v37, vcc_lo, v152, s12
	s_lshl_b64 s[20:21], s[26:27], 1
	s_mul_hi_i32 s9, s37, s5
	s_mul_i32 s8, s37, s5
	v_add_co_ci_u32_e32 v38, vcc_lo, s13, v153, vcc_lo
	v_add_co_u32 v39, vcc_lo, v152, s20
	s_lshl_b64 s[8:9], s[8:9], 1
	s_mul_hi_i32 s37, s38, s5
	v_add_co_ci_u32_e32 v40, vcc_lo, s21, v153, vcc_lo
	v_add_co_u32 v145, vcc_lo, v152, s8
	s_lshl_b64 s[22:23], s[36:37], 1
	s_waitcnt lgkmcnt(0)
	s_mul_hi_i32 s25, s15, s5
	s_mul_i32 s24, s15, s5
	v_add_co_ci_u32_e32 v146, vcc_lo, s9, v153, vcc_lo
	v_add_co_u32 v147, vcc_lo, v152, s22
	s_lshl_b64 s[24:25], s[24:25], 1
	v_add_co_ci_u32_e32 v148, vcc_lo, s23, v153, vcc_lo
	s_mul_hi_i32 s7, s4, s5
	s_mul_i32 s6, s4, s5
	v_add_co_u32 v149, vcc_lo, v152, s24
	s_lshl_b64 s[6:7], s[6:7], 1
	v_add_co_ci_u32_e32 v150, vcc_lo, s25, v153, vcc_lo
	s_clause 0x7
	global_load_b128 v[65:68], v[33:34], off
	global_load_b128 v[69:72], v[33:34], off offset:16
	global_load_b128 v[57:60], v[35:36], off
	global_load_b128 v[61:64], v[35:36], off offset:16
	;; [unrolled: 2-line block ×4, first 2 shown]
	s_waitcnt vmcnt(22)
	v_wmma_f32_16x16x16_f16 v[137:144], v[1:8], v[25:32], v[121:128]
	s_waitcnt vmcnt(20)
	v_wmma_f32_16x16x16_f16 v[121:128], v[9:16], v[25:32], v[121:128]
	v_add_co_u32 v29, vcc_lo, v152, s6
	v_add_co_ci_u32_e32 v30, vcc_lo, s7, v153, vcc_lo
	s_mul_hi_i32 s7, s17, s5
	s_mul_i32 s6, s17, s5
	s_waitcnt vmcnt(18)
	v_wmma_f32_16x16x16_f16 v[137:144], v[17:24], v[129:136], v[137:144]
	s_lshl_b64 s[4:5], s[6:7], 1
	s_clause 0x1
	global_load_b128 v[9:12], v[145:146], off
	global_load_b128 v[13:16], v[145:146], off offset:16
	v_add_co_u32 v21, vcc_lo, v152, s4
	v_add_co_ci_u32_e32 v22, vcc_lo, s5, v153, vcc_lo
	s_clause 0x7
	global_load_b128 v[1:4], v[147:148], off
	global_load_b128 v[5:8], v[147:148], off offset:16
	global_load_b128 v[33:36], v[149:150], off
	global_load_b128 v[37:40], v[149:150], off offset:16
	;; [unrolled: 2-line block ×4, first 2 shown]
	s_waitcnt vmcnt(26)
	v_wmma_f32_16x16x16_f16 v[121:128], v[81:88], v[129:136], v[121:128]
	ds_load_b128 v[81:84], v151 offset:4096
	ds_load_b128 v[85:88], v151 offset:5120
	v_mbcnt_lo_u32_b32 v130, -1, 0
	s_delay_alu instid0(VALU_DEP_1) | instskip(NEXT) | instid1(VALU_DEP_1)
	v_xor_b32_e32 v131, 16, v130
	v_cmp_gt_i32_e32 vcc_lo, 32, v131
	v_cndmask_b32_e32 v130, v130, v131, vcc_lo
	s_waitcnt vmcnt(24) lgkmcnt(0)
	v_wmma_f32_16x16x16_f16 v[137:144], v[89:96], v[81:88], v[137:144]
	ds_load_b128 v[89:92], v151 offset:6144
	ds_load_b128 v[93:96], v151 offset:7168
	s_waitcnt vmcnt(22)
	v_wmma_f32_16x16x16_f16 v[121:128], v[97:104], v[81:88], v[121:128]
	s_waitcnt vmcnt(0) lgkmcnt(0)
	s_barrier
	buffer_gl0_inv
	v_wmma_f32_16x16x16_f16 v[137:144], v[105:112], v[89:96], v[137:144]
	v_and_b32_e32 v129, 0xe0, v0
	v_wmma_f32_16x16x16_f16 v[121:128], v[113:120], v[89:96], v[121:128]
	s_delay_alu instid0(VALU_DEP_3) | instskip(NEXT) | instid1(VALU_DEP_2)
	v_mul_f32_e32 v96, s19, v137
	v_dual_mul_f32 v104, s19, v126 :: v_dual_add_nc_u32 v129, s16, v129
	v_mul_f32_e32 v95, s19, v138
	v_dual_mul_f32 v93, s19, v140 :: v_dual_mul_f32 v94, s19, v139
	s_delay_alu instid0(VALU_DEP_3) | instskip(SKIP_3) | instid1(VALU_DEP_4)
	v_or_b32_e32 v129, v129, v75
	v_dual_mul_f32 v91, s19, v142 :: v_dual_mul_f32 v106, s19, v124
	v_dual_mul_f32 v92, s19, v141 :: v_dual_mul_f32 v89, s19, v144
	v_mul_f32_e32 v108, s19, v122
	v_or_b32_e32 v131, 2, v129
	v_or_b32_e32 v132, 4, v129
	;; [unrolled: 1-line block ×3, first 2 shown]
	v_cmp_gt_i32_e32 vcc_lo, s18, v129
	v_or_b32_e32 v82, 8, v129
	v_cmp_gt_i32_e64 s3, s18, v131
	v_or_b32_e32 v83, 10, v129
	v_cmp_gt_i32_e64 s4, s18, v132
	v_cndmask_b32_e32 v96, 0xff7fffff, v96, vcc_lo
	v_cmp_gt_i32_e64 s5, s18, v81
	v_cndmask_b32_e64 v95, 0xff7fffff, v95, s3
	v_or_b32_e32 v84, 12, v129
	v_or_b32_e32 v85, 14, v129
	v_cndmask_b32_e64 v94, 0xff7fffff, v94, s4
	v_cndmask_b32_e64 v81, 0xff7fffff, v93, s5
	v_max3_f32 v93, v96, 0xff7fffff, v95
	v_cmp_gt_i32_e64 s6, s18, v82
	v_cmp_gt_i32_e64 s7, s18, v83
	v_or_b32_e32 v86, 16, v129
	v_or_b32_e32 v87, 18, v129
	v_mul_f32_e32 v90, s19, v143
	v_cndmask_b32_e64 v82, 0xff7fffff, v92, s6
	v_cndmask_b32_e64 v83, 0xff7fffff, v91, s7
	v_max3_f32 v81, v93, v94, v81
	v_cmp_gt_i32_e64 s8, s18, v84
	v_cmp_gt_i32_e64 s9, s18, v85
	v_or_b32_e32 v88, 20, v129
	v_or_b32_e32 v97, 22, v129
	v_mul_f32_e32 v109, s19, v121
	;; [unrolled: 8-line block ×4, first 2 shown]
	v_cndmask_b32_e64 v84, 0xff7fffff, v107, s12
	v_cndmask_b32_e64 v85, 0xff7fffff, v106, s13
	v_max3_f32 v81, v81, v82, v83
	v_cmp_gt_i32_e64 s15, s18, v98
	v_cmp_gt_i32_e64 s16, s18, v99
	v_dual_mul_f32 v102, s19, v128 :: v_dual_mul_f32 v103, s19, v127
	s_delay_alu instid0(VALU_DEP_4) | instskip(NEXT) | instid1(VALU_DEP_4)
	v_max3_f32 v81, v81, v84, v85
	v_cndmask_b32_e64 v82, 0xff7fffff, v105, s15
	s_delay_alu instid0(VALU_DEP_4) | instskip(SKIP_2) | instid1(VALU_DEP_3)
	v_cndmask_b32_e64 v83, 0xff7fffff, v104, s16
	v_cmp_gt_i32_e64 s17, s18, v100
	v_cmp_gt_i32_e64 s18, s18, v101
	v_max3_f32 v81, v81, v82, v83
	s_delay_alu instid0(VALU_DEP_3) | instskip(NEXT) | instid1(VALU_DEP_3)
	v_cndmask_b32_e64 v84, 0xff7fffff, v103, s17
	v_cndmask_b32_e64 v85, 0xff7fffff, v102, s18
	v_lshlrev_b32_e32 v83, 2, v130
	s_delay_alu instid0(VALU_DEP_2) | instskip(SKIP_3) | instid1(VALU_DEP_1)
	v_max3_f32 v81, v81, v84, v85
	ds_bpermute_b32 v82, v83, v81
	s_waitcnt lgkmcnt(0)
	v_max_f32_e32 v82, v82, v82
	v_max_f32_e32 v81, v81, v82
	s_delay_alu instid0(VALU_DEP_1) | instskip(SKIP_2) | instid1(VALU_DEP_3)
	v_fma_f32 v82, s19, v137, -v81
	v_fma_f32 v84, s19, v138, -v81
	;; [unrolled: 1-line block ×3, first 2 shown]
	v_mul_f32_e32 v82, 0x3fb8aa3b, v82
	s_delay_alu instid0(VALU_DEP_2) | instskip(NEXT) | instid1(VALU_DEP_2)
	v_dual_mul_f32 v84, 0x3fb8aa3b, v84 :: v_dual_mul_f32 v89, 0x3fb8aa3b, v87
	v_exp_f32_e32 v82, v82
	s_delay_alu instid0(VALU_DEP_1) | instskip(NEXT) | instid1(VALU_DEP_1)
	v_exp_f32_e32 v84, v84
	v_exp_f32_e32 v92, v89
	s_delay_alu instid0(TRANS32_DEP_3)
	v_cndmask_b32_e32 v88, 0, v82, vcc_lo
	s_waitcnt_depctr 0xfff
	v_cndmask_b32_e64 v87, 0, v84, s3
	v_cndmask_b32_e64 v92, 0, v92, s6
	s_mov_b32 s3, exec_lo
	v_add_f32_e32 v84, 0, v88
	s_delay_alu instid0(VALU_DEP_1)
	v_add_f32_e32 v84, v84, v87
	v_fma_f32 v85, s19, v139, -v81
	v_fma_f32 v86, s19, v140, -v81
	;; [unrolled: 1-line block ×5, first 2 shown]
	s_delay_alu instid0(VALU_DEP_4) | instskip(NEXT) | instid1(VALU_DEP_4)
	v_dual_mul_f32 v85, 0x3fb8aa3b, v85 :: v_dual_mul_f32 v86, 0x3fb8aa3b, v86
	v_mul_f32_e32 v82, 0x3fb8aa3b, v82
	v_fma_f32 v96, s19, v124, -v81
	v_fma_f32 v99, s19, v127, -v81
	s_delay_alu instid0(VALU_DEP_4) | instskip(SKIP_3) | instid1(VALU_DEP_1)
	v_exp_f32_e32 v85, v85
	v_exp_f32_e32 v86, v86
	;; [unrolled: 1-line block ×3, first 2 shown]
	v_mul_f32_e32 v97, 0x3fb8aa3b, v96
	v_exp_f32_e32 v97, v97
	v_cndmask_b32_e64 v90, 0, v85, s4
	v_fma_f32 v85, s19, v144, -v81
	s_delay_alu instid0(TRANS32_DEP_3) | instskip(SKIP_1) | instid1(VALU_DEP_4)
	v_cndmask_b32_e64 v89, 0, v86, s5
	v_fma_f32 v86, s19, v121, -v81
	v_dual_add_f32 v84, v84, v90 :: v_dual_mul_f32 v91, 0x3fb8aa3b, v91
	s_delay_alu instid0(VALU_DEP_2) | instskip(NEXT) | instid1(TRANS32_DEP_1)
	v_mul_f32_e32 v86, 0x3fb8aa3b, v86
	v_cndmask_b32_e64 v97, 0, v97, s13
	s_delay_alu instid0(VALU_DEP_3)
	v_add_f32_e32 v84, v84, v89
	v_mul_f32_e32 v85, 0x3fb8aa3b, v85
	v_exp_f32_e32 v93, v91
	v_cndmask_b32_e64 v91, 0, v82, s7
	v_exp_f32_e32 v86, v86
	v_add_f32_e32 v82, v84, v92
	v_exp_f32_e32 v85, v85
	v_fma_f32 v84, s19, v123, -v81
	s_delay_alu instid0(VALU_DEP_2) | instskip(NEXT) | instid1(TRANS32_DEP_3)
	v_dual_mul_f32 v95, 0x3fb8aa3b, v94 :: v_dual_add_f32 v82, v82, v91
	v_cndmask_b32_e64 v94, 0, v93, s8
	s_delay_alu instid0(VALU_DEP_2) | instskip(NEXT) | instid1(TRANS32_DEP_3)
	v_exp_f32_e32 v95, v95
	v_cndmask_b32_e64 v96, 0, v86, s10
	v_fma_f32 v86, s19, v126, -v81
	s_delay_alu instid0(TRANS32_DEP_2) | instskip(SKIP_3) | instid1(VALU_DEP_3)
	v_cndmask_b32_e64 v93, 0, v85, s9
	v_fma_f32 v85, s19, v125, -v81
	v_mul_f32_e32 v84, 0x3fb8aa3b, v84
	v_add_f32_e32 v82, v82, v94
	v_dual_mul_f32 v86, 0x3fb8aa3b, v86 :: v_dual_mul_f32 v85, 0x3fb8aa3b, v85
	s_delay_alu instid0(VALU_DEP_3) | instskip(NEXT) | instid1(TRANS32_DEP_2)
	v_exp_f32_e32 v84, v84
	v_cndmask_b32_e64 v95, 0, v95, s11
	s_delay_alu instid0(VALU_DEP_2) | instskip(NEXT) | instid1(VALU_DEP_2)
	v_exp_f32_e32 v86, v86
	v_exp_f32_e32 v85, v85
	s_delay_alu instid0(TRANS32_DEP_3)
	v_cndmask_b32_e64 v98, 0, v84, s12
	v_mul_f32_e32 v84, 0x3fb8aa3b, v99
	v_fma_f32 v99, s19, v128, -v81
	v_add_f32_e32 v82, v82, v93
	s_waitcnt_depctr 0xfff
	v_cndmask_b32_e64 v100, 0, v85, s15
	v_exp_f32_e32 v84, v84
	v_dual_mul_f32 v85, 0x3fb8aa3b, v99 :: v_dual_add_f32 v82, v82, v96
	v_cndmask_b32_e64 v99, 0, v86, s16
	s_delay_alu instid0(VALU_DEP_2) | instskip(NEXT) | instid1(VALU_DEP_2)
	v_exp_f32_e32 v85, v85
	v_add_f32_e32 v82, v82, v95
	s_waitcnt_depctr 0xfff
	v_cndmask_b32_e64 v102, 0, v84, s17
	v_add_f32_e32 v82, v82, v98
	v_cndmask_b32_e64 v101, 0, v85, s18
	s_delay_alu instid0(VALU_DEP_2) | instskip(NEXT) | instid1(VALU_DEP_1)
	v_add_f32_e32 v82, v82, v97
	v_add_f32_e32 v82, v82, v100
	s_delay_alu instid0(VALU_DEP_1) | instskip(NEXT) | instid1(VALU_DEP_1)
	v_add_f32_e32 v82, v82, v99
	v_add_f32_e32 v82, v82, v102
	s_delay_alu instid0(VALU_DEP_1)
	v_add_f32_e32 v82, v82, v101
	ds_bpermute_b32 v83, v83, v82
	v_cmpx_gt_u32_e32 16, v80
	s_cbranch_execz .LBB163_14
; %bb.13:
	v_mul_u32_u24_e32 v80, 0x44, v79
	s_waitcnt lgkmcnt(0)
	v_add_f32_e32 v82, v82, v83
	s_delay_alu instid0(VALU_DEP_2) | instskip(NEXT) | instid1(VALU_DEP_1)
	v_lshl_add_u32 v80, v77, 2, v80
	v_add_nc_u32_e32 v80, 0x4000, v80
	ds_store_2addr_b32 v80, v81, v82 offset1:136
.LBB163_14:
	s_or_b32 exec_lo, exec_lo, s3
	v_lshlrev_b32_e32 v80, 2, v77
	s_load_b32 s35, s[0:1], 0x94
	s_waitcnt lgkmcnt(0)
	s_barrier
	buffer_gl0_inv
	v_add_nc_u32_e32 v84, 0x4000, v80
	v_cmp_eq_u32_e32 vcc_lo, 1, v79
	v_cmp_eq_u32_e64 s3, 2, v79
	v_cmp_eq_u32_e64 s4, 3, v79
	;; [unrolled: 1-line block ×3, first 2 shown]
	ds_load_2addr_b32 v[80:81], v84 offset1:17
	ds_load_2addr_b32 v[82:83], v84 offset0:34 offset1:51
	ds_load_2addr_b32 v[103:104], v84 offset0:68 offset1:85
	ds_load_2addr_b32 v[105:106], v84 offset0:102 offset1:119
	v_cmp_eq_u32_e64 s6, 7, v79
	s_waitcnt lgkmcnt(3)
	v_max3_f32 v85, v80, 0xff7fffff, v81
	s_waitcnt lgkmcnt(2)
	s_delay_alu instid0(VALU_DEP_1) | instskip(SKIP_1) | instid1(VALU_DEP_1)
	v_max3_f32 v85, v85, v82, v83
	s_waitcnt lgkmcnt(1)
	v_max3_f32 v85, v85, v103, v104
	s_waitcnt lgkmcnt(0)
	s_delay_alu instid0(VALU_DEP_1) | instskip(NEXT) | instid1(VALU_DEP_1)
	v_max3_f32 v85, v85, v105, v106
	v_sub_f32_e32 v103, v103, v85
	ds_load_2addr_b32 v[107:108], v84 offset0:136 offset1:153
	v_sub_f32_e32 v80, v80, v85
	v_dual_sub_f32 v110, v83, v85 :: v_dual_mul_f32 v113, 0x3fb8aa3b, v103
	s_delay_alu instid0(VALU_DEP_2) | instskip(SKIP_3) | instid1(VALU_DEP_1)
	v_dual_sub_f32 v86, v81, v85 :: v_dual_mul_f32 v109, 0x3fb8aa3b, v80
	ds_load_2addr_b32 v[80:81], v84 offset0:170 offset1:187
	v_mul_f32_e32 v86, 0x3fb8aa3b, v86
	v_exp_f32_e32 v109, v109
	v_exp_f32_e32 v112, v86
	v_mul_f32_e32 v110, 0x3fb8aa3b, v110
	s_waitcnt lgkmcnt(1)
	s_waitcnt_depctr 0xfff
	v_fma_f32 v86, v109, v107, 0
	v_sub_f32_e32 v107, v104, v85
	v_sub_f32_e32 v82, v82, v85
	v_exp_f32_e32 v110, v110
	ds_load_2addr_b32 v[103:104], v84 offset0:238 offset1:255
	v_dual_fmac_f32 v86, v112, v108 :: v_dual_mul_f32 v111, 0x3fb8aa3b, v82
	ds_load_2addr_b32 v[82:83], v84 offset0:204 offset1:221
	v_dual_sub_f32 v84, v105, v85 :: v_dual_mul_f32 v105, 0x3fb8aa3b, v107
	v_exp_f32_e32 v107, v113
	v_exp_f32_e32 v111, v111
	s_waitcnt lgkmcnt(0)
	s_delay_alu instid0(VALU_DEP_1)
	v_mul_f32_e32 v84, 0x3fb8aa3b, v84
	v_exp_f32_e32 v105, v105
	s_barrier
	buffer_gl0_inv
	v_fmac_f32_e32 v86, v111, v80
	v_sub_f32_e32 v80, v106, v85
	v_exp_f32_e32 v106, v84
	s_delay_alu instid0(VALU_DEP_2) | instskip(NEXT) | instid1(VALU_DEP_2)
	v_fmac_f32_e32 v86, v110, v81
	v_mul_f32_e32 v80, 0x3fb8aa3b, v80
	s_delay_alu instid0(VALU_DEP_2) | instskip(NEXT) | instid1(VALU_DEP_2)
	v_dual_cndmask_b32 v81, v109, v112 :: v_dual_fmac_f32 v86, v107, v82
	v_exp_f32_e32 v108, v80
	s_delay_alu instid0(VALU_DEP_1) | instskip(SKIP_2) | instid1(VALU_DEP_1)
	v_fmac_f32_e32 v86, v105, v83
	s_waitcnt_depctr 0xfff
	v_fmac_f32_e32 v86, v106, v103
	v_fmac_f32_e32 v86, v108, v104
	s_delay_alu instid0(VALU_DEP_1) | instskip(NEXT) | instid1(VALU_DEP_1)
	v_add_f32_e32 v103, 0x358637bd, v86
	v_div_scale_f32 v104, null, v103, v103, 1.0
	v_div_scale_f32 v109, vcc_lo, 1.0, v103, 1.0
	s_delay_alu instid0(VALU_DEP_2) | instskip(SKIP_2) | instid1(VALU_DEP_1)
	v_rcp_f32_e32 v113, v104
	s_waitcnt_depctr 0xfff
	v_fma_f32 v80, -v104, v113, 1.0
	v_fmac_f32_e32 v113, v80, v113
	v_cndmask_b32_e64 v80, v81, v111, s3
	v_cmp_eq_u32_e64 s3, 4, v79
	v_lshl_or_b32 v81, v79, 11, v78
	s_delay_alu instid0(VALU_DEP_4) | instskip(NEXT) | instid1(VALU_DEP_4)
	v_mul_f32_e32 v111, v109, v113
	v_cndmask_b32_e64 v82, v80, v110, s4
	v_cmp_eq_u32_e64 s4, 6, v79
	s_delay_alu instid0(VALU_DEP_4) | instskip(SKIP_3) | instid1(VALU_DEP_3)
	v_lshl_or_b32 v79, v75, 4, v81
	v_lshlrev_b32_e32 v80, 2, v75
	v_fma_f32 v83, -v104, v111, v109
	v_cndmask_b32_e64 v84, v82, v107, s3
	v_or_b32_e32 v82, 1, v80
	s_delay_alu instid0(VALU_DEP_3) | instskip(NEXT) | instid1(VALU_DEP_3)
	v_fmac_f32_e32 v111, v83, v113
	v_cndmask_b32_e64 v105, v84, v105, s5
	v_or_b32_e32 v84, 2, v80
	v_or_b32_e32 v83, 3, v80
	v_cmp_eq_u32_e64 s3, 1, v80
	v_fma_f32 v104, -v104, v111, v109
	v_cndmask_b32_e64 v105, v105, v106, s4
	v_cmp_eq_u32_e64 s9, 1, v82
	v_cmp_eq_u32_e64 s10, 1, v84
	;; [unrolled: 1-line block ×3, first 2 shown]
	v_div_fmas_f32 v104, v104, v113, v111
	v_cndmask_b32_e64 v105, v105, v108, s6
	v_cmp_eq_u32_e32 vcc_lo, 2, v80
	v_cmp_eq_u32_e64 s12, 2, v82
	v_cmp_eq_u32_e64 s15, 2, v84
	v_div_fixup_f32 v103, v104, v103, 1.0
	v_cmp_eq_u32_e64 s16, 2, v83
	v_cmp_eq_u32_e64 s18, 3, v83
	;; [unrolled: 1-line block ×4, first 2 shown]
	v_mul_f32_e32 v111, v105, v103
	v_cmp_eq_u32_e64 s17, 3, v84
	v_cmp_eq_u32_e64 s22, 4, v83
	;; [unrolled: 1-line block ×4, first 2 shown]
	v_fma_mixlo_f16 v103, v111, v88, 0
	v_fma_mixlo_f16 v104, v111, v90, 0
	;; [unrolled: 1-line block ×8, first 2 shown]
	v_fma_mixhi_f16 v103, v111, v87, 0
	v_fma_mixhi_f16 v104, v111, v89, 0
	;; [unrolled: 1-line block ×8, first 2 shown]
	ds_store_b128 v79, v[103:106]
	ds_store_b128 v79, v[107:110] offset:1024
	s_waitcnt lgkmcnt(0)
	s_barrier
	buffer_gl0_inv
	ds_load_b128 v[87:90], v81
	ds_load_b128 v[91:94], v81 offset:16
	ds_load_b128 v[95:98], v81 offset:1024
	;; [unrolled: 1-line block ×3, first 2 shown]
	v_cmp_eq_u32_e64 s21, 4, v84
	v_cmp_eq_u32_e64 s24, 5, v83
	;; [unrolled: 1-line block ×13, first 2 shown]
	s_waitcnt lgkmcnt(3)
	v_lshrrev_b32_e32 v103, 16, v87
	s_waitcnt lgkmcnt(2)
	v_lshrrev_b32_e32 v107, 16, v91
	;; [unrolled: 2-line block ×4, first 2 shown]
	v_lshrrev_b32_e32 v104, 16, v88
	v_cndmask_b32_e64 v119, v87, v103, s3
	v_cndmask_b32_e64 v120, v91, v107, s3
	;; [unrolled: 1-line block ×8, first 2 shown]
	v_lshrrev_b32_e32 v108, 16, v92
	v_cndmask_b32_e64 v103, v95, v111, s3
	v_cndmask_b32_e64 v107, v99, v115, s3
	;; [unrolled: 1-line block ×5, first 2 shown]
	v_cndmask_b32_e32 v111, v119, v88, vcc_lo
	v_cndmask_b32_e64 v119, v121, v88, s12
	v_cndmask_b32_e64 v121, v123, v88, s15
	;; [unrolled: 1-line block ×4, first 2 shown]
	v_lshrrev_b32_e32 v112, 16, v96
	v_lshrrev_b32_e32 v116, 16, v100
	v_cndmask_b32_e64 v126, v99, v115, s9
	v_cndmask_b32_e64 v128, v99, v115, s10
	;; [unrolled: 1-line block ×3, first 2 shown]
	v_cndmask_b32_e32 v115, v120, v92, vcc_lo
	v_cndmask_b32_e64 v120, v122, v92, s12
	v_cndmask_b32_e64 v122, v124, v92, s15
	v_cndmask_b32_e32 v91, v103, v96, vcc_lo
	v_cndmask_b32_e32 v92, v107, v100, vcc_lo
	v_cndmask_b32_e64 v103, v125, v96, s12
	v_cndmask_b32_e64 v87, v87, v104, s18
	;; [unrolled: 1-line block ×3, first 2 shown]
	v_lshrrev_b32_e32 v105, 16, v89
	v_lshrrev_b32_e32 v109, 16, v93
	v_cndmask_b32_e64 v107, v127, v96, s15
	v_cndmask_b32_e64 v95, v95, v96, s16
	;; [unrolled: 1-line block ×14, first 2 shown]
	v_lshrrev_b32_e32 v113, 16, v97
	v_cndmask_b32_e64 v99, v99, v89, s5
	v_cndmask_b32_e64 v104, v111, v93, s5
	;; [unrolled: 1-line block ×11, first 2 shown]
	v_lshrrev_b32_e32 v106, 16, v90
	v_lshrrev_b32_e32 v110, 16, v94
	v_cndmask_b32_e64 v93, v99, v105, s6
	v_cndmask_b32_e64 v99, v104, v109, s6
	;; [unrolled: 1-line block ×9, first 2 shown]
	v_lshrrev_b32_e32 v114, 16, v98
	v_cndmask_b32_e64 v89, v89, v113, s6
	v_cndmask_b32_e64 v93, v93, v90, s7
	;; [unrolled: 1-line block ×19, first 2 shown]
	v_perm_b32 v90, v88, v87, 0x5040100
	v_cndmask_b32_e64 v87, v126, v100, s12
	v_cndmask_b32_e64 v105, v89, v114, s8
	v_perm_b32 v89, v103, v99, 0x5040100
	v_perm_b32 v88, v104, v94, 0x5040100
	v_cndmask_b32_e64 v94, v107, v112, s17
	v_cndmask_b32_e64 v95, v95, v112, s18
	;; [unrolled: 1-line block ×5, first 2 shown]
	v_lshrrev_b32_e32 v117, 16, v101
	v_cndmask_b32_e64 v94, v94, v97, s21
	v_cndmask_b32_e64 v95, v95, v97, s22
	;; [unrolled: 1-line block ×11, first 2 shown]
	v_lshrrev_b32_e32 v118, 16, v102
	v_cndmask_b32_e64 v91, v91, v102, s7
	v_cndmask_b32_e64 v94, v94, v98, s26
	;; [unrolled: 1-line block ×12, first 2 shown]
	v_perm_b32 v87, v93, v92, 0x5040100
	v_perm_b32 v94, v95, v94, 0x5040100
	;; [unrolled: 1-line block ×5, first 2 shown]
	s_mul_i32 s7, s33, 10
	s_mov_b32 s3, exec_lo
	ds_store_b128 v79, v[87:90]
	ds_store_b128 v79, v[91:94] offset:1024
	v_cmpx_gt_u32_e32 10, v0
	s_cbranch_execz .LBB163_16
; %bb.15:
	s_mul_i32 s4, s7, s34
	s_load_b128 s[8:11], s[0:1], 0x58
	v_add3_u32 v77, s4, s31, v77
	s_delay_alu instid0(VALU_DEP_1) | instskip(NEXT) | instid1(VALU_DEP_1)
	v_mad_u64_u32 v[87:88], null, v77, s35, s[14:15]
	v_ashrrev_i32_e32 v88, 31, v87
	s_delay_alu instid0(VALU_DEP_1) | instskip(SKIP_1) | instid1(VALU_DEP_1)
	v_lshlrev_b64 v[87:88], 2, v[87:88]
	s_waitcnt lgkmcnt(0)
	v_add_co_u32 v89, vcc_lo, s10, v87
	s_delay_alu instid0(VALU_DEP_2)
	v_add_co_ci_u32_e32 v90, vcc_lo, s11, v88, vcc_lo
	v_add_co_u32 v87, vcc_lo, s8, v87
	v_add_co_ci_u32_e32 v88, vcc_lo, s9, v88, vcc_lo
	global_store_b32 v[89:90], v85, off
	global_store_b32 v[87:88], v86, off
.LBB163_16:
	s_or_b32 exec_lo, exec_lo, s3
	s_waitcnt lgkmcnt(0)
	s_waitcnt_vscnt null, 0x0
	s_barrier
	buffer_gl0_inv
	ds_load_b128 v[93:96], v78
	ds_load_b128 v[97:100], v78 offset:16
	ds_load_b128 v[105:108], v78 offset:1040
	;; [unrolled: 1-line block ×5, first 2 shown]
	v_cmp_eq_u32_e32 vcc_lo, 1, v84
	v_mov_b32_e32 v85, 0
	ds_load_b128 v[121:124], v78 offset:3088
	ds_load_b128 v[117:120], v78 offset:3072
	;; [unrolled: 1-line block ×4, first 2 shown]
	v_cmp_eq_u32_e64 s3, 1, v80
	v_cmp_eq_u32_e64 s4, 1, v83
	;; [unrolled: 1-line block ×3, first 2 shown]
	v_mov_b32_e32 v86, v85
	v_mov_b32_e32 v87, v85
	;; [unrolled: 1-line block ×7, first 2 shown]
	v_cmp_eq_u32_e64 s6, 2, v80
	s_waitcnt lgkmcnt(8)
	s_delay_alu instid0(VALU_DEP_2)
	v_wmma_f32_16x16x16_f16 v[85:92], v[65:72], v[93:100], v[85:92]
	ds_load_b128 v[69:72], v78 offset:5136
	ds_load_b128 v[65:68], v78 offset:5120
	;; [unrolled: 1-line block ×4, first 2 shown]
	s_waitcnt lgkmcnt(10)
	v_wmma_f32_16x16x16_f16 v[85:92], v[57:64], v[101:108], v[85:92]
	s_waitcnt lgkmcnt(8)
	s_delay_alu instid0(VALU_DEP_1)
	v_wmma_f32_16x16x16_f16 v[85:92], v[57:64], v[109:116], v[85:92]
	ds_load_b128 v[61:64], v78 offset:7184
	ds_load_b128 v[57:60], v78 offset:7168
	;; [unrolled: 1-line block ×4, first 2 shown]
	s_waitcnt lgkmcnt(10)
	v_wmma_f32_16x16x16_f16 v[85:92], v[49:56], v[117:124], v[85:92]
	s_waitcnt lgkmcnt(8)
	s_delay_alu instid0(VALU_DEP_1)
	v_wmma_f32_16x16x16_f16 v[85:92], v[49:56], v[125:132], v[85:92]
	ds_load_b128 v[53:56], v78 offset:9232
	ds_load_b128 v[49:52], v78 offset:9216
	s_waitcnt lgkmcnt(8)
	v_wmma_f32_16x16x16_f16 v[85:92], v[41:48], v[65:72], v[85:92]
	ds_load_b128 v[69:72], v78 offset:10256
	ds_load_b128 v[65:68], v78 offset:10240
	s_waitcnt lgkmcnt(8)
	;; [unrolled: 4-line block ×7, first 2 shown]
	s_barrier
	buffer_gl0_inv
	v_wmma_f32_16x16x16_f16 v[85:92], v[33:40], v[41:48], v[85:92]
	s_delay_alu instid0(VALU_DEP_1) | instskip(NEXT) | instid1(VALU_DEP_1)
	v_wmma_f32_16x16x16_f16 v[85:92], v[33:40], v[57:64], v[85:92]
	v_wmma_f32_16x16x16_f16 v[85:92], v[25:32], v[9:16], v[85:92]
	s_delay_alu instid0(VALU_DEP_1) | instskip(NEXT) | instid1(VALU_DEP_1)
	v_wmma_f32_16x16x16_f16 v[85:92], v[25:32], v[49:56], v[85:92]
	v_wmma_f32_16x16x16_f16 v[85:92], v[17:24], v[1:8], v[85:92]
	s_delay_alu instid0(VALU_DEP_1) | instskip(NEXT) | instid1(VALU_DEP_2)
	v_cvt_f16_f32_e32 v1, v85
	v_cvt_f16_f32_e32 v2, v86
	s_delay_alu instid0(VALU_DEP_3) | instskip(NEXT) | instid1(VALU_DEP_4)
	v_cvt_f16_f32_e32 v3, v87
	v_cvt_f16_f32_e32 v4, v88
	;; [unrolled: 1-line block ×6, first 2 shown]
	v_pack_b32_f16 v1, v1, v2
	v_pack_b32_f16 v2, v3, v4
	;; [unrolled: 1-line block ×3, first 2 shown]
	s_delay_alu instid0(VALU_DEP_4)
	v_pack_b32_f16 v4, v7, v8
	ds_store_b128 v79, v[1:4]
	s_waitcnt lgkmcnt(0)
	s_barrier
	buffer_gl0_inv
	ds_load_b128 v[1:4], v81
	ds_load_b128 v[5:8], v81 offset:16
	s_waitcnt lgkmcnt(1)
	v_lshrrev_b32_e32 v9, 16, v1
	s_waitcnt lgkmcnt(0)
	v_lshrrev_b32_e32 v13, 16, v5
	v_lshrrev_b32_e32 v15, 16, v7
	;; [unrolled: 1-line block ×4, first 2 shown]
	v_cndmask_b32_e64 v17, v1, v9, s3
	v_cndmask_b32_e64 v18, v5, v13, s3
	;; [unrolled: 1-line block ×3, first 2 shown]
	v_cmp_eq_u32_e64 s3, 2, v82
	v_cndmask_b32_e64 v20, v5, v13, s5
	v_cndmask_b32_e32 v21, v1, v9, vcc_lo
	v_cndmask_b32_e32 v22, v5, v13, vcc_lo
	v_cndmask_b32_e64 v1, v1, v9, s4
	v_cndmask_b32_e64 v5, v5, v13, s4
	v_cmp_eq_u32_e32 vcc_lo, 2, v84
	v_cmp_eq_u32_e64 s4, 2, v83
	v_cndmask_b32_e64 v9, v17, v2, s6
	v_cndmask_b32_e64 v13, v18, v6, s6
	;; [unrolled: 1-line block ×4, first 2 shown]
	v_cndmask_b32_e32 v19, v21, v2, vcc_lo
	v_cmp_eq_u32_e64 s3, 3, v84
	v_cndmask_b32_e32 v20, v22, v6, vcc_lo
	v_cndmask_b32_e64 v1, v1, v2, s4
	v_cmp_eq_u32_e32 vcc_lo, 3, v83
	v_cmp_eq_u32_e64 s5, 3, v80
	v_cndmask_b32_e64 v2, v5, v6, s4
	v_cmp_eq_u32_e64 s4, 3, v82
	v_lshrrev_b32_e32 v16, 16, v8
	v_cmp_eq_u32_e64 s6, 4, v80
	v_cndmask_b32_e64 v5, v9, v10, s5
	v_cndmask_b32_e64 v6, v13, v14, s5
	;; [unrolled: 1-line block ×3, first 2 shown]
	v_cmp_eq_u32_e64 s5, 4, v82
	v_cndmask_b32_e64 v13, v18, v14, s4
	v_cndmask_b32_e64 v17, v19, v10, s3
	;; [unrolled: 1-line block ×3, first 2 shown]
	v_cndmask_b32_e32 v1, v1, v10, vcc_lo
	v_cndmask_b32_e32 v2, v2, v14, vcc_lo
	v_cmp_eq_u32_e32 vcc_lo, 4, v84
	v_cmp_eq_u32_e64 s4, 4, v83
	v_lshrrev_b32_e32 v11, 16, v3
	v_cndmask_b32_e64 v5, v5, v3, s6
	v_cndmask_b32_e64 v6, v6, v7, s6
	;; [unrolled: 1-line block ×4, first 2 shown]
	v_cndmask_b32_e32 v13, v17, v3, vcc_lo
	v_cmp_eq_u32_e64 s3, 5, v84
	v_cndmask_b32_e32 v14, v18, v7, vcc_lo
	v_cndmask_b32_e64 v1, v1, v3, s4
	v_cmp_eq_u32_e32 vcc_lo, 5, v83
	v_cmp_eq_u32_e64 s5, 5, v80
	v_cndmask_b32_e64 v2, v2, v7, s4
	v_cmp_eq_u32_e64 s4, 5, v82
	v_cmp_eq_u32_e64 s6, 6, v80
	v_cndmask_b32_e32 v1, v1, v11, vcc_lo
	v_cndmask_b32_e64 v3, v5, v11, s5
	v_cndmask_b32_e64 v5, v6, v15, s5
	;; [unrolled: 1-line block ×3, first 2 shown]
	v_cmp_eq_u32_e64 s5, 6, v82
	v_cndmask_b32_e64 v7, v10, v15, s4
	v_cndmask_b32_e64 v9, v13, v11, s3
	;; [unrolled: 1-line block ×3, first 2 shown]
	v_cndmask_b32_e32 v2, v2, v15, vcc_lo
	v_cmp_eq_u32_e32 vcc_lo, 6, v84
	v_cmp_eq_u32_e64 s3, 6, v83
	v_lshrrev_b32_e32 v12, 16, v4
	v_cndmask_b32_e64 v3, v3, v4, s6
	v_cndmask_b32_e64 v5, v5, v8, s6
	;; [unrolled: 1-line block ×4, first 2 shown]
	v_cndmask_b32_e32 v9, v9, v4, vcc_lo
	v_cmp_eq_u32_e64 s4, 7, v84
	v_cndmask_b32_e32 v10, v10, v8, vcc_lo
	v_cndmask_b32_e64 v1, v1, v4, s3
	v_cmp_eq_u32_e32 vcc_lo, 7, v83
	v_cndmask_b32_e64 v2, v2, v8, s3
	v_cmp_eq_u32_e64 s3, 7, v80
	v_cmp_eq_u32_e64 s5, 7, v82
	v_cndmask_b32_e32 v1, v1, v12, vcc_lo
	s_delay_alu instid0(VALU_DEP_4) | instskip(NEXT) | instid1(VALU_DEP_4)
	v_cndmask_b32_e32 v2, v2, v16, vcc_lo
	v_cndmask_b32_e64 v8, v3, v12, s3
	s_delay_alu instid0(VALU_DEP_4)
	v_cndmask_b32_e64 v6, v6, v12, s5
	v_cndmask_b32_e64 v3, v9, v12, s4
	;; [unrolled: 1-line block ×5, first 2 shown]
	v_cmp_gt_u32_e32 vcc_lo, 32, v0
	v_perm_b32 v4, v2, v1, 0x5040100
	v_perm_b32 v3, v9, v3, 0x5040100
	;; [unrolled: 1-line block ×4, first 2 shown]
	s_and_b32 s2, vcc_lo, s2
	ds_store_b128 v79, v[1:4]
	s_waitcnt lgkmcnt(0)
	s_barrier
	buffer_gl0_inv
	s_and_saveexec_b32 s3, s2
	s_cbranch_execz .LBB163_2
; %bb.17:
	s_load_b64 s[0:1], s[0:1], 0x68
	s_lshl_b32 s4, s35, 6
	v_or_b32_e32 v2, s31, v75
	s_mul_i32 s2, s4, s34
	v_lshlrev_b32_e32 v0, 10, v0
	s_mul_i32 s2, s2, s7
	v_lshlrev_b32_e32 v1, 4, v76
	s_ashr_i32 s3, s2, 31
	v_mul_lo_u32 v20, v2, s4
	s_lshl_b64 s[2:3], s[2:3], 1
	v_lshlrev_b32_e32 v3, 6, v75
	v_and_b32_e32 v0, 0x3800, v0
	s_delay_alu instid0(VALU_DEP_1) | instskip(NEXT) | instid1(VALU_DEP_4)
	v_or3_b32 v16, v0, v1, v3
	v_ashrrev_i32_e32 v21, 31, v20
	ds_load_b128 v[0:3], v16
	ds_load_b128 v[4:7], v16 offset:128
	s_waitcnt lgkmcnt(0)
	s_add_u32 s2, s0, s2
	s_addc_u32 s3, s1, s3
	s_lshl_b32 s0, s14, 6
	ds_load_b128 v[8:11], v16 offset:256
	ds_load_b128 v[12:15], v16 offset:384
	;; [unrolled: 1-line block ×3, first 2 shown]
	s_ashr_i32 s1, s0, 31
	s_delay_alu instid0(SALU_CYCLE_1) | instskip(NEXT) | instid1(SALU_CYCLE_1)
	s_lshl_b64 s[0:1], s[0:1], 1
	s_add_u32 s0, s2, s0
	s_addc_u32 s1, s3, s1
	s_lshl_b32 s2, s35, 7
	v_add_co_u32 v30, vcc_lo, s0, v73
	v_add_nc_u32_e32 v22, s2, v20
	v_lshlrev_b64 v[20:21], 1, v[20:21]
	v_add_co_ci_u32_e32 v31, vcc_lo, s1, v74, vcc_lo
	s_delay_alu instid0(VALU_DEP_3) | instskip(SKIP_1) | instid1(VALU_DEP_4)
	v_add_nc_u32_e32 v24, s2, v22
	v_ashrrev_i32_e32 v23, 31, v22
	v_add_co_u32 v20, vcc_lo, v30, v20
	s_delay_alu instid0(VALU_DEP_4) | instskip(NEXT) | instid1(VALU_DEP_4)
	v_add_co_ci_u32_e32 v21, vcc_lo, v31, v21, vcc_lo
	v_add_nc_u32_e32 v26, s2, v24
	v_ashrrev_i32_e32 v25, 31, v24
	v_lshlrev_b64 v[22:23], 1, v[22:23]
	s_delay_alu instid0(VALU_DEP_3) | instskip(SKIP_1) | instid1(VALU_DEP_4)
	v_add_nc_u32_e32 v28, s2, v26
	v_ashrrev_i32_e32 v27, 31, v26
	v_lshlrev_b64 v[24:25], 1, v[24:25]
	s_delay_alu instid0(VALU_DEP_4) | instskip(NEXT) | instid1(VALU_DEP_4)
	v_add_co_u32 v22, vcc_lo, v30, v22
	v_ashrrev_i32_e32 v29, 31, v28
	s_delay_alu instid0(VALU_DEP_4) | instskip(SKIP_2) | instid1(VALU_DEP_4)
	v_lshlrev_b64 v[26:27], 1, v[26:27]
	v_add_co_ci_u32_e32 v23, vcc_lo, v31, v23, vcc_lo
	v_add_co_u32 v24, vcc_lo, v30, v24
	v_lshlrev_b64 v[28:29], 1, v[28:29]
	v_add_co_ci_u32_e32 v25, vcc_lo, v31, v25, vcc_lo
	v_add_co_u32 v26, vcc_lo, v30, v26
	v_add_co_ci_u32_e32 v27, vcc_lo, v31, v27, vcc_lo
	s_delay_alu instid0(VALU_DEP_4)
	v_add_co_u32 v28, vcc_lo, v30, v28
	v_add_co_ci_u32_e32 v29, vcc_lo, v31, v29, vcc_lo
	s_clause 0x1
	global_store_b128 v[20:21], v[0:3], off
	global_store_b128 v[22:23], v[4:7], off
	s_waitcnt lgkmcnt(2)
	global_store_b128 v[24:25], v[8:11], off
	s_waitcnt lgkmcnt(1)
	global_store_b128 v[26:27], v[12:15], off
	s_waitcnt lgkmcnt(0)
	global_store_b128 v[28:29], v[16:19], off
	s_nop 0
	s_sendmsg sendmsg(MSG_DEALLOC_VGPRS)
	s_endpgm
	.section	.rodata,"a",@progbits
	.p2align	6, 0x0
	.amdhsa_kernel _Z39paged_attention_ll4mi_QKV_mfma16_kernelIDF16_DF16_LN4vllm18Fp8KVCacheDataTypeE0EDF16_Li32ELi64ELi256ELb1ELi10EL8MFMAType0EEvPKT_PKT0_S8_ifPKiSA_SA_iPKfiiiPfSD_PS3_PT2_iSC_SC_
		.amdhsa_group_segment_fixed_size 17472
		.amdhsa_private_segment_fixed_size 0
		.amdhsa_kernarg_size 400
		.amdhsa_user_sgpr_count 13
		.amdhsa_user_sgpr_dispatch_ptr 0
		.amdhsa_user_sgpr_queue_ptr 0
		.amdhsa_user_sgpr_kernarg_segment_ptr 1
		.amdhsa_user_sgpr_dispatch_id 0
		.amdhsa_user_sgpr_private_segment_size 0
		.amdhsa_wavefront_size32 1
		.amdhsa_uses_dynamic_stack 0
		.amdhsa_enable_private_segment 0
		.amdhsa_system_sgpr_workgroup_id_x 1
		.amdhsa_system_sgpr_workgroup_id_y 1
		.amdhsa_system_sgpr_workgroup_id_z 1
		.amdhsa_system_sgpr_workgroup_info 0
		.amdhsa_system_vgpr_workitem_id 0
		.amdhsa_next_free_vgpr 154
		.amdhsa_next_free_sgpr 39
		.amdhsa_reserve_vcc 1
		.amdhsa_float_round_mode_32 0
		.amdhsa_float_round_mode_16_64 0
		.amdhsa_float_denorm_mode_32 3
		.amdhsa_float_denorm_mode_16_64 3
		.amdhsa_dx10_clamp 1
		.amdhsa_ieee_mode 1
		.amdhsa_fp16_overflow 0
		.amdhsa_workgroup_processor_mode 1
		.amdhsa_memory_ordered 1
		.amdhsa_forward_progress 0
		.amdhsa_shared_vgpr_count 0
		.amdhsa_exception_fp_ieee_invalid_op 0
		.amdhsa_exception_fp_denorm_src 0
		.amdhsa_exception_fp_ieee_div_zero 0
		.amdhsa_exception_fp_ieee_overflow 0
		.amdhsa_exception_fp_ieee_underflow 0
		.amdhsa_exception_fp_ieee_inexact 0
		.amdhsa_exception_int_div_zero 0
	.end_amdhsa_kernel
	.section	.text._Z39paged_attention_ll4mi_QKV_mfma16_kernelIDF16_DF16_LN4vllm18Fp8KVCacheDataTypeE0EDF16_Li32ELi64ELi256ELb1ELi10EL8MFMAType0EEvPKT_PKT0_S8_ifPKiSA_SA_iPKfiiiPfSD_PS3_PT2_iSC_SC_,"axG",@progbits,_Z39paged_attention_ll4mi_QKV_mfma16_kernelIDF16_DF16_LN4vllm18Fp8KVCacheDataTypeE0EDF16_Li32ELi64ELi256ELb1ELi10EL8MFMAType0EEvPKT_PKT0_S8_ifPKiSA_SA_iPKfiiiPfSD_PS3_PT2_iSC_SC_,comdat
.Lfunc_end163:
	.size	_Z39paged_attention_ll4mi_QKV_mfma16_kernelIDF16_DF16_LN4vllm18Fp8KVCacheDataTypeE0EDF16_Li32ELi64ELi256ELb1ELi10EL8MFMAType0EEvPKT_PKT0_S8_ifPKiSA_SA_iPKfiiiPfSD_PS3_PT2_iSC_SC_, .Lfunc_end163-_Z39paged_attention_ll4mi_QKV_mfma16_kernelIDF16_DF16_LN4vllm18Fp8KVCacheDataTypeE0EDF16_Li32ELi64ELi256ELb1ELi10EL8MFMAType0EEvPKT_PKT0_S8_ifPKiSA_SA_iPKfiiiPfSD_PS3_PT2_iSC_SC_
                                        ; -- End function
	.section	.AMDGPU.csdata,"",@progbits
; Kernel info:
; codeLenInByte = 7264
; NumSgprs: 41
; NumVgprs: 154
; ScratchSize: 0
; MemoryBound: 0
; FloatMode: 240
; IeeeMode: 1
; LDSByteSize: 17472 bytes/workgroup (compile time only)
; SGPRBlocks: 5
; VGPRBlocks: 19
; NumSGPRsForWavesPerEU: 41
; NumVGPRsForWavesPerEU: 154
; Occupancy: 9
; WaveLimiterHint : 1
; COMPUTE_PGM_RSRC2:SCRATCH_EN: 0
; COMPUTE_PGM_RSRC2:USER_SGPR: 13
; COMPUTE_PGM_RSRC2:TRAP_HANDLER: 0
; COMPUTE_PGM_RSRC2:TGID_X_EN: 1
; COMPUTE_PGM_RSRC2:TGID_Y_EN: 1
; COMPUTE_PGM_RSRC2:TGID_Z_EN: 1
; COMPUTE_PGM_RSRC2:TIDIG_COMP_CNT: 0
	.section	.text._Z39paged_attention_ll4mi_QKV_mfma16_kernelIDF16_DF16_LN4vllm18Fp8KVCacheDataTypeE0EDF16_Li32ELi64ELi256ELb1ELi11EL8MFMAType0EEvPKT_PKT0_S8_ifPKiSA_SA_iPKfiiiPfSD_PS3_PT2_iSC_SC_,"axG",@progbits,_Z39paged_attention_ll4mi_QKV_mfma16_kernelIDF16_DF16_LN4vllm18Fp8KVCacheDataTypeE0EDF16_Li32ELi64ELi256ELb1ELi11EL8MFMAType0EEvPKT_PKT0_S8_ifPKiSA_SA_iPKfiiiPfSD_PS3_PT2_iSC_SC_,comdat
	.protected	_Z39paged_attention_ll4mi_QKV_mfma16_kernelIDF16_DF16_LN4vllm18Fp8KVCacheDataTypeE0EDF16_Li32ELi64ELi256ELb1ELi11EL8MFMAType0EEvPKT_PKT0_S8_ifPKiSA_SA_iPKfiiiPfSD_PS3_PT2_iSC_SC_ ; -- Begin function _Z39paged_attention_ll4mi_QKV_mfma16_kernelIDF16_DF16_LN4vllm18Fp8KVCacheDataTypeE0EDF16_Li32ELi64ELi256ELb1ELi11EL8MFMAType0EEvPKT_PKT0_S8_ifPKiSA_SA_iPKfiiiPfSD_PS3_PT2_iSC_SC_
	.globl	_Z39paged_attention_ll4mi_QKV_mfma16_kernelIDF16_DF16_LN4vllm18Fp8KVCacheDataTypeE0EDF16_Li32ELi64ELi256ELb1ELi11EL8MFMAType0EEvPKT_PKT0_S8_ifPKiSA_SA_iPKfiiiPfSD_PS3_PT2_iSC_SC_
	.p2align	8
	.type	_Z39paged_attention_ll4mi_QKV_mfma16_kernelIDF16_DF16_LN4vllm18Fp8KVCacheDataTypeE0EDF16_Li32ELi64ELi256ELb1ELi11EL8MFMAType0EEvPKT_PKT0_S8_ifPKiSA_SA_iPKfiiiPfSD_PS3_PT2_iSC_SC_,@function
_Z39paged_attention_ll4mi_QKV_mfma16_kernelIDF16_DF16_LN4vllm18Fp8KVCacheDataTypeE0EDF16_Li32ELi64ELi256ELb1ELi11EL8MFMAType0EEvPKT_PKT0_S8_ifPKiSA_SA_iPKfiiiPfSD_PS3_PT2_iSC_SC_: ; @_Z39paged_attention_ll4mi_QKV_mfma16_kernelIDF16_DF16_LN4vllm18Fp8KVCacheDataTypeE0EDF16_Li32ELi64ELi256ELb1ELi11EL8MFMAType0EEvPKT_PKT0_S8_ifPKiSA_SA_iPKfiiiPfSD_PS3_PT2_iSC_SC_
; %bb.0:
	s_load_b64 s[2:3], s[0:1], 0x30
	s_mov_b32 s34, s13
	s_waitcnt lgkmcnt(0)
	s_cmp_lg_u64 s[2:3], 0
	s_cselect_b32 s6, -1, 0
	s_ashr_i32 s35, s13, 31
	s_cmp_eq_u64 s[2:3], 0
	s_cbranch_scc1 .LBB164_3
; %bb.1:
	s_lshl_b64 s[4:5], s[34:35], 2
	s_delay_alu instid0(SALU_CYCLE_1) | instskip(SKIP_4) | instid1(SALU_CYCLE_1)
	s_add_u32 s4, s2, s4
	s_addc_u32 s5, s3, s5
	s_load_b64 s[4:5], s[4:5], 0x0
	s_waitcnt lgkmcnt(0)
	s_sub_i32 s4, s5, s4
	s_cmp_eq_u32 s4, 1
	s_cselect_b32 s4, -1, 0
	s_delay_alu instid0(SALU_CYCLE_1)
	s_and_not1_b32 vcc_lo, exec_lo, s4
	s_cbranch_vccz .LBB164_4
.LBB164_2:
	s_nop 0
	s_sendmsg sendmsg(MSG_DEALLOC_VGPRS)
	s_endpgm
.LBB164_3:
.LBB164_4:
	s_load_b64 s[8:9], s[0:1], 0x28
	s_lshl_b64 s[4:5], s[34:35], 2
	s_waitcnt lgkmcnt(0)
	s_add_u32 s8, s8, s4
	s_addc_u32 s9, s9, s5
	s_lshl_b32 s16, s14, 8
	s_load_b32 s18, s[8:9], 0x0
	s_waitcnt lgkmcnt(0)
	s_cmp_ge_i32 s16, s18
	s_cbranch_scc1 .LBB164_2
; %bb.5:
	s_and_not1_b32 vcc_lo, exec_lo, s6
	s_cbranch_vccnz .LBB164_7
; %bb.6:
	s_add_u32 s2, s2, s4
	s_addc_u32 s3, s3, s5
	s_load_b32 s17, s[2:3], 0x0
	s_branch .LBB164_8
.LBB164_7:
	s_mov_b32 s17, s34
.LBB164_8:
	s_clause 0x2
	s_load_b128 s[8:11], s[0:1], 0x8
	s_load_b64 s[12:13], s[0:1], 0x20
	s_load_b128 s[4:7], s[0:1], 0x48
	v_lshrrev_b32_e32 v78, 5, v0
	v_bfe_u32 v75, v0, 4, 1
	v_and_b32_e32 v77, 15, v0
	s_delay_alu instid0(VALU_DEP_2) | instskip(NEXT) | instid1(VALU_DEP_2)
	v_lshl_or_b32 v3, v78, 1, v75
	v_cmp_lt_u32_e64 s3, 7, v77
	v_lshlrev_b32_e32 v1, 3, v77
	v_cmp_gt_u32_e64 s2, 8, v77
	s_delay_alu instid0(VALU_DEP_4) | instskip(NEXT) | instid1(VALU_DEP_4)
	v_cmp_lt_u32_e32 vcc_lo, 10, v3
	s_or_b32 s3, s3, vcc_lo
	s_waitcnt lgkmcnt(0)
	s_and_saveexec_b32 s7, s3
	s_delay_alu instid0(SALU_CYCLE_1)
	s_xor_b32 s3, exec_lo, s7
; %bb.9:
	v_mov_b32_e32 v2, 0
                                        ; implicit-def: $vgpr3
; %bb.10:
	s_or_saveexec_b32 s3, s3
	v_and_b32_e32 v80, 31, v0
	v_and_b32_e32 v76, 1, v0
	s_mul_i32 s33, s15, 11
	s_xor_b32 exec_lo, exec_lo, s3
	s_cbranch_execz .LBB164_12
; %bb.11:
	s_load_b64 s[20:21], s[0:1], 0x0
	v_add_lshl_u32 v4, v3, s33, 6
	s_mul_hi_i32 s23, s17, s4
	s_mul_i32 s22, s17, s4
	v_lshlrev_b32_e32 v2, 1, v1
	s_lshl_b64 s[22:23], s[22:23], 1
	v_ashrrev_i32_e32 v5, 31, v4
	v_lshlrev_b32_e32 v3, 6, v3
	v_lshlrev_b32_e32 v8, 10, v76
	s_delay_alu instid0(VALU_DEP_3) | instskip(SKIP_3) | instid1(VALU_DEP_1)
	v_lshlrev_b64 v[4:5], 1, v[4:5]
	s_waitcnt lgkmcnt(0)
	s_add_u32 s4, s20, s22
	s_addc_u32 s7, s21, s23
	v_add_co_u32 v4, vcc_lo, s4, v4
	s_delay_alu instid0(VALU_DEP_2) | instskip(NEXT) | instid1(VALU_DEP_2)
	v_add_co_ci_u32_e32 v5, vcc_lo, s7, v5, vcc_lo
	v_add_co_u32 v4, vcc_lo, v4, v2
	s_delay_alu instid0(VALU_DEP_2) | instskip(SKIP_3) | instid1(VALU_DEP_1)
	v_add_co_ci_u32_e32 v5, vcc_lo, 0, v5, vcc_lo
	v_lshlrev_b32_e32 v2, 10, v77
	global_load_b128 v[4:7], v[4:5], off
	v_and_b32_e32 v2, 0x3800, v2
	v_or3_b32 v3, v2, v8, v3
	v_mov_b32_e32 v2, 0
	s_waitcnt vmcnt(0)
	ds_store_b128 v3, v[4:7]
.LBB164_12:
	s_or_b32 exec_lo, exec_lo, s3
	v_and_b32_e32 v3, 0xef, v0
	s_add_i32 s3, s18, 31
	s_clause 0x1
	s_load_b32 s4, s[0:1], 0x38
	s_load_b32 s35, s[0:1], 0x98
	s_ashr_i32 s7, s3, 31
	v_add_nc_u32_e32 v3, s16, v3
	s_lshr_b32 s7, s7, 27
	s_load_b32 s19, s[0:1], 0x1c
	s_add_i32 s3, s3, s7
	s_waitcnt lgkmcnt(0)
	v_ashrrev_i32_e32 v4, 31, v3
	v_cmp_gt_i32_e32 vcc_lo, s18, v3
	s_ashr_i32 s3, s3, 5
	s_barrier
	s_add_i32 s3, s3, -1
	v_lshrrev_b32_e32 v5, 27, v4
	v_or_b32_e32 v4, 16, v3
	buffer_gl0_inv
	s_mul_i32 s6, s15, s6
	v_lshlrev_b64 v[73:74], 1, v[1:2]
	v_add_nc_u32_e32 v6, v3, v5
	v_add_nc_u32_e32 v5, v4, v5
	s_mul_i32 s20, s34, s4
	s_delay_alu instid0(SALU_CYCLE_1) | instskip(NEXT) | instid1(VALU_DEP_2)
	s_ashr_i32 s21, s20, 31
	v_ashrrev_i32_e32 v6, 5, v6
	s_delay_alu instid0(VALU_DEP_2) | instskip(SKIP_1) | instid1(SALU_CYCLE_1)
	v_ashrrev_i32_e32 v5, 5, v5
	s_lshl_b64 s[20:21], s[20:21], 2
	s_add_u32 s4, s12, s20
	s_delay_alu instid0(VALU_DEP_2) | instskip(SKIP_3) | instid1(SALU_CYCLE_1)
	v_cndmask_b32_e32 v3, s3, v6, vcc_lo
	v_cmp_gt_i32_e32 vcc_lo, s18, v4
	s_addc_u32 s17, s13, s21
	s_ashr_i32 s7, s6, 31
	s_lshl_b64 s[6:7], s[6:7], 1
	v_cndmask_b32_e32 v5, s3, v5, vcc_lo
	v_ashrrev_i32_e32 v4, 31, v3
	s_add_u32 s15, s8, s6
	s_addc_u32 s28, s9, s7
	s_lshl_b32 s8, s14, 3
	v_ashrrev_i32_e32 v6, 31, v5
	v_lshlrev_b64 v[3:4], 2, v[3:4]
	s_ashr_i32 s9, s8, 31
	s_delay_alu instid0(SALU_CYCLE_1) | instskip(NEXT) | instid1(VALU_DEP_2)
	s_lshl_b64 s[8:9], s[8:9], 2
	v_lshlrev_b64 v[5:6], 2, v[5:6]
	s_add_u32 s8, s4, s8
	s_delay_alu instid0(VALU_DEP_2) | instskip(SKIP_1) | instid1(VALU_DEP_3)
	v_add_co_u32 v3, vcc_lo, s4, v3
	v_add_co_ci_u32_e32 v4, vcc_lo, s17, v4, vcc_lo
	v_add_co_u32 v5, vcc_lo, s4, v5
	s_delay_alu instid0(VALU_DEP_4)
	v_add_co_ci_u32_e32 v6, vcc_lo, s17, v6, vcc_lo
	s_addc_u32 s9, s17, s9
	s_clause 0x1
	global_load_b32 v7, v[3:4], off
	global_load_b32 v8, v[5:6], off
	s_or_b32 s12, s16, 32
	s_delay_alu instid0(SALU_CYCLE_1) | instskip(SKIP_2) | instid1(SALU_CYCLE_1)
	s_ashr_i32 s13, s12, 5
	s_cmp_lt_i32 s12, s18
	s_cselect_b32 s12, s13, s3
	s_ashr_i32 s13, s12, 31
	s_delay_alu instid0(SALU_CYCLE_1) | instskip(NEXT) | instid1(SALU_CYCLE_1)
	s_lshl_b64 s[12:13], s[12:13], 2
	s_add_u32 s12, s4, s12
	s_addc_u32 s13, s17, s13
	s_or_b32 s20, s16, 64
	s_delay_alu instid0(SALU_CYCLE_1) | instskip(SKIP_2) | instid1(SALU_CYCLE_1)
	s_ashr_i32 s21, s20, 5
	s_cmp_lt_i32 s20, s18
	s_cselect_b32 s20, s21, s3
	s_ashr_i32 s21, s20, 31
	s_delay_alu instid0(SALU_CYCLE_1) | instskip(NEXT) | instid1(SALU_CYCLE_1)
	s_lshl_b64 s[20:21], s[20:21], 2
	s_add_u32 s20, s4, s20
	s_addc_u32 s21, s17, s21
	;; [unrolled: 10-line block ×5, first 2 shown]
	s_clause 0x5
	s_load_b32 s29, s[8:9], 0x0
	s_load_b32 s30, s[12:13], 0x0
	;; [unrolled: 1-line block ×6, first 2 shown]
	s_mov_b32 s20, 0
	s_or_b32 s8, s16, 0xc0
	s_mov_b32 s21, s20
	s_mov_b32 s22, s20
	;; [unrolled: 1-line block ×7, first 2 shown]
	s_ashr_i32 s9, s8, 5
	v_mov_b32_e32 v128, s27
	s_cmp_lt_i32 s8, s18
	v_mov_b32_e32 v127, s26
	s_cselect_b32 s8, s9, s3
	v_mov_b32_e32 v126, s25
	s_ashr_i32 s9, s8, 31
	v_mov_b32_e32 v125, s24
	s_lshl_b64 s[8:9], s[8:9], 2
	v_mov_b32_e32 v124, s23
	s_add_u32 s8, s4, s8
	s_addc_u32 s9, s17, s9
	v_mov_b32_e32 v123, s22
	v_mov_b32_e32 v121, s20
	s_waitcnt lgkmcnt(0)
	s_mul_hi_i32 s13, s29, s5
	s_mul_i32 s12, s29, s5
	v_mov_b32_e32 v122, s21
	s_mul_hi_i32 s21, s30, s5
	s_mul_i32 s20, s30, s5
	s_mul_hi_i32 s25, s31, s5
	s_mul_i32 s24, s31, s5
	;; [unrolled: 2-line block ×4, first 2 shown]
	s_waitcnt vmcnt(1)
	v_mad_i64_i32 v[3:4], null, v7, s5, 0
	s_waitcnt vmcnt(0)
	v_mad_i64_i32 v[5:6], null, v8, s5, 0
	s_delay_alu instid0(VALU_DEP_2) | instskip(NEXT) | instid1(VALU_DEP_2)
	v_lshlrev_b64 v[3:4], 1, v[3:4]
	v_lshlrev_b64 v[1:2], 1, v[5:6]
	s_delay_alu instid0(VALU_DEP_2) | instskip(NEXT) | instid1(VALU_DEP_3)
	v_add_co_u32 v3, vcc_lo, s15, v3
	v_add_co_ci_u32_e32 v4, vcc_lo, s28, v4, vcc_lo
	s_delay_alu instid0(VALU_DEP_3) | instskip(NEXT) | instid1(VALU_DEP_4)
	v_add_co_u32 v1, vcc_lo, s15, v1
	v_add_co_ci_u32_e32 v2, vcc_lo, s28, v2, vcc_lo
	s_delay_alu instid0(VALU_DEP_4) | instskip(NEXT) | instid1(VALU_DEP_4)
	v_add_co_u32 v25, vcc_lo, v3, v73
	v_add_co_ci_u32_e32 v26, vcc_lo, v4, v74, vcc_lo
	s_delay_alu instid0(VALU_DEP_4) | instskip(NEXT) | instid1(VALU_DEP_4)
	v_add_co_u32 v27, vcc_lo, v1, v73
	v_add_co_ci_u32_e32 v28, vcc_lo, v2, v74, vcc_lo
	s_clause 0xf
	global_load_b128 v[1:4], v[25:26], off
	global_load_b128 v[5:8], v[25:26], off offset:512
	global_load_b128 v[9:12], v[27:28], off offset:256
	;; [unrolled: 1-line block ×15, first 2 shown]
	v_add_nc_u32_e32 v25, -11, v77
	v_cmp_gt_u32_e32 vcc_lo, 11, v77
	s_or_b32 s15, s16, 0xe0
	s_delay_alu instid0(SALU_CYCLE_1) | instskip(SKIP_3) | instid1(SALU_CYCLE_1)
	s_ashr_i32 s22, s15, 5
	s_cmp_lt_i32 s15, s18
	v_cndmask_b32_e32 v25, v25, v77, vcc_lo
	s_cselect_b32 s22, s22, s3
	s_ashr_i32 s23, s22, 31
	s_delay_alu instid0(VALU_DEP_1)
	v_lshlrev_b32_e32 v151, 6, v25
	ds_load_b128 v[25:28], v151
	ds_load_b128 v[29:32], v151 offset:1024
	ds_load_b128 v[129:132], v151 offset:2048
	;; [unrolled: 1-line block ×3, first 2 shown]
	s_lshl_b64 s[22:23], s[22:23], 2
	s_delay_alu instid0(SALU_CYCLE_1) | instskip(SKIP_2) | instid1(SALU_CYCLE_1)
	s_add_u32 s22, s4, s22
	s_addc_u32 s23, s17, s23
	s_add_i32 s15, s16, 0x100
	s_ashr_i32 s28, s15, 5
	s_cmp_lt_i32 s15, s18
	s_load_b32 s15, s[8:9], 0x0
	s_cselect_b32 s28, s28, s3
	s_mul_hi_i32 s9, s37, s5
	s_ashr_i32 s29, s28, 31
	s_mul_i32 s8, s37, s5
	s_lshl_b64 s[28:29], s[28:29], 2
	s_delay_alu instid0(SALU_CYCLE_1)
	s_add_u32 s28, s4, s28
	s_addc_u32 s29, s17, s29
	s_add_u32 s3, s10, s6
	s_clause 0x1
	s_load_b32 s4, s[22:23], 0x0
	s_load_b32 s17, s[28:29], 0x0
	s_addc_u32 s28, s11, s7
	s_lshl_b64 s[6:7], s[12:13], 1
	s_lshl_b64 s[10:11], s[20:21], 1
	;; [unrolled: 1-line block ×6, first 2 shown]
	s_waitcnt lgkmcnt(0)
	s_mul_hi_i32 s25, s15, s5
	s_mul_i32 s24, s15, s5
	s_delay_alu instid0(SALU_CYCLE_1)
	s_lshl_b64 s[24:25], s[24:25], 1
	s_waitcnt vmcnt(14)
	v_wmma_f32_16x16x16_f16 v[137:144], v[1:8], v[25:32], v[121:128]
	s_waitcnt vmcnt(12)
	v_wmma_f32_16x16x16_f16 v[121:128], v[9:16], v[25:32], v[121:128]
	s_waitcnt vmcnt(10)
	s_delay_alu instid0(VALU_DEP_2) | instskip(SKIP_1) | instid1(VALU_DEP_2)
	v_wmma_f32_16x16x16_f16 v[137:144], v[17:24], v[129:136], v[137:144]
	s_waitcnt vmcnt(8)
	v_wmma_f32_16x16x16_f16 v[121:128], v[81:88], v[129:136], v[121:128]
	v_mbcnt_lo_u32_b32 v130, -1, 0
	s_delay_alu instid0(VALU_DEP_1) | instskip(SKIP_1) | instid1(VALU_DEP_1)
	v_xor_b32_e32 v131, 16, v130
	v_lshlrev_b32_e32 v79, 6, v77
	v_lshl_or_b32 v33, v78, 10, v79
	s_delay_alu instid0(VALU_DEP_1) | instskip(NEXT) | instid1(VALU_DEP_1)
	v_add_co_u32 v152, s3, s3, v33
	v_add_co_ci_u32_e64 v153, null, s28, 0, s3
	s_delay_alu instid0(VALU_DEP_2) | instskip(NEXT) | instid1(VALU_DEP_2)
	v_add_co_u32 v33, vcc_lo, v152, s6
	v_add_co_ci_u32_e32 v34, vcc_lo, s7, v153, vcc_lo
	v_add_co_u32 v35, vcc_lo, v152, s10
	v_add_co_ci_u32_e32 v36, vcc_lo, s11, v153, vcc_lo
	;; [unrolled: 2-line block ×6, first 2 shown]
	s_mul_hi_i32 s7, s4, s5
	s_mul_i32 s6, s4, s5
	v_add_co_u32 v149, vcc_lo, v152, s24
	s_lshl_b64 s[6:7], s[6:7], 1
	v_add_co_ci_u32_e32 v150, vcc_lo, s25, v153, vcc_lo
	v_add_co_u32 v29, vcc_lo, v152, s6
	v_add_co_ci_u32_e32 v30, vcc_lo, s7, v153, vcc_lo
	s_mul_hi_i32 s7, s17, s5
	s_mul_i32 s6, s17, s5
	s_clause 0x7
	global_load_b128 v[65:68], v[33:34], off
	global_load_b128 v[69:72], v[33:34], off offset:16
	global_load_b128 v[57:60], v[35:36], off
	global_load_b128 v[61:64], v[35:36], off offset:16
	;; [unrolled: 2-line block ×4, first 2 shown]
	s_lshl_b64 s[4:5], s[6:7], 1
	s_clause 0x1
	global_load_b128 v[9:12], v[145:146], off
	global_load_b128 v[13:16], v[145:146], off offset:16
	v_add_co_u32 v21, vcc_lo, v152, s4
	v_add_co_ci_u32_e32 v22, vcc_lo, s5, v153, vcc_lo
	s_clause 0x7
	global_load_b128 v[1:4], v[147:148], off
	global_load_b128 v[5:8], v[147:148], off offset:16
	global_load_b128 v[33:36], v[149:150], off
	global_load_b128 v[37:40], v[149:150], off offset:16
	;; [unrolled: 2-line block ×4, first 2 shown]
	ds_load_b128 v[81:84], v151 offset:4096
	ds_load_b128 v[85:88], v151 offset:5120
	v_cmp_gt_i32_e32 vcc_lo, 32, v131
	v_cndmask_b32_e32 v130, v130, v131, vcc_lo
	s_waitcnt vmcnt(24) lgkmcnt(0)
	v_wmma_f32_16x16x16_f16 v[137:144], v[89:96], v[81:88], v[137:144]
	ds_load_b128 v[89:92], v151 offset:6144
	ds_load_b128 v[93:96], v151 offset:7168
	s_waitcnt vmcnt(22)
	v_wmma_f32_16x16x16_f16 v[121:128], v[97:104], v[81:88], v[121:128]
	s_waitcnt vmcnt(0) lgkmcnt(0)
	s_barrier
	buffer_gl0_inv
	v_wmma_f32_16x16x16_f16 v[121:128], v[113:120], v[89:96], v[121:128]
	v_and_b32_e32 v129, 0xe0, v0
	v_wmma_f32_16x16x16_f16 v[137:144], v[105:112], v[89:96], v[137:144]
	s_delay_alu instid0(VALU_DEP_2) | instskip(NEXT) | instid1(VALU_DEP_2)
	v_dual_mul_f32 v104, s19, v126 :: v_dual_add_nc_u32 v129, s16, v129
	v_dual_mul_f32 v106, s19, v124 :: v_dual_mul_f32 v95, s19, v138
	s_delay_alu instid0(VALU_DEP_3) | instskip(NEXT) | instid1(VALU_DEP_3)
	v_dual_mul_f32 v96, s19, v137 :: v_dual_mul_f32 v93, s19, v140
	v_or_b32_e32 v129, v129, v75
	v_dual_mul_f32 v94, s19, v139 :: v_dual_mul_f32 v91, s19, v142
	v_dual_mul_f32 v92, s19, v141 :: v_dual_mul_f32 v89, s19, v144
	v_mul_f32_e32 v108, s19, v122
	s_delay_alu instid0(VALU_DEP_4)
	v_or_b32_e32 v131, 2, v129
	v_or_b32_e32 v132, 4, v129
	;; [unrolled: 1-line block ×3, first 2 shown]
	v_cmp_gt_i32_e32 vcc_lo, s18, v129
	v_or_b32_e32 v82, 8, v129
	v_cmp_gt_i32_e64 s3, s18, v131
	v_or_b32_e32 v83, 10, v129
	v_cmp_gt_i32_e64 s4, s18, v132
	v_cndmask_b32_e32 v96, 0xff7fffff, v96, vcc_lo
	v_cmp_gt_i32_e64 s5, s18, v81
	v_cndmask_b32_e64 v95, 0xff7fffff, v95, s3
	v_or_b32_e32 v84, 12, v129
	v_or_b32_e32 v85, 14, v129
	v_cndmask_b32_e64 v94, 0xff7fffff, v94, s4
	v_cndmask_b32_e64 v81, 0xff7fffff, v93, s5
	v_max3_f32 v93, v96, 0xff7fffff, v95
	v_cmp_gt_i32_e64 s6, s18, v82
	v_cmp_gt_i32_e64 s7, s18, v83
	v_or_b32_e32 v86, 16, v129
	v_or_b32_e32 v87, 18, v129
	v_mul_f32_e32 v90, s19, v143
	v_cndmask_b32_e64 v82, 0xff7fffff, v92, s6
	v_cndmask_b32_e64 v83, 0xff7fffff, v91, s7
	v_max3_f32 v81, v93, v94, v81
	v_cmp_gt_i32_e64 s8, s18, v84
	v_cmp_gt_i32_e64 s9, s18, v85
	v_or_b32_e32 v88, 20, v129
	v_or_b32_e32 v97, 22, v129
	v_mul_f32_e32 v109, s19, v121
	;; [unrolled: 8-line block ×4, first 2 shown]
	v_cndmask_b32_e64 v84, 0xff7fffff, v107, s12
	v_cndmask_b32_e64 v85, 0xff7fffff, v106, s13
	v_max3_f32 v81, v81, v82, v83
	v_cmp_gt_i32_e64 s15, s18, v98
	v_cmp_gt_i32_e64 s16, s18, v99
	v_dual_mul_f32 v102, s19, v128 :: v_dual_mul_f32 v103, s19, v127
	s_delay_alu instid0(VALU_DEP_4) | instskip(NEXT) | instid1(VALU_DEP_4)
	v_max3_f32 v81, v81, v84, v85
	v_cndmask_b32_e64 v82, 0xff7fffff, v105, s15
	s_delay_alu instid0(VALU_DEP_4) | instskip(SKIP_2) | instid1(VALU_DEP_3)
	v_cndmask_b32_e64 v83, 0xff7fffff, v104, s16
	v_cmp_gt_i32_e64 s17, s18, v100
	v_cmp_gt_i32_e64 s18, s18, v101
	v_max3_f32 v81, v81, v82, v83
	s_delay_alu instid0(VALU_DEP_3) | instskip(NEXT) | instid1(VALU_DEP_3)
	v_cndmask_b32_e64 v84, 0xff7fffff, v103, s17
	v_cndmask_b32_e64 v85, 0xff7fffff, v102, s18
	v_lshlrev_b32_e32 v83, 2, v130
	s_delay_alu instid0(VALU_DEP_2) | instskip(SKIP_3) | instid1(VALU_DEP_1)
	v_max3_f32 v81, v81, v84, v85
	ds_bpermute_b32 v82, v83, v81
	s_waitcnt lgkmcnt(0)
	v_max_f32_e32 v82, v82, v82
	v_max_f32_e32 v81, v81, v82
	s_delay_alu instid0(VALU_DEP_1)
	v_fma_f32 v82, s19, v137, -v81
	v_fma_f32 v84, s19, v138, -v81
	;; [unrolled: 1-line block ×5, first 2 shown]
	v_mul_f32_e32 v82, 0x3fb8aa3b, v82
	s_delay_alu instid0(VALU_DEP_4) | instskip(NEXT) | instid1(VALU_DEP_3)
	v_dual_mul_f32 v84, 0x3fb8aa3b, v84 :: v_dual_mul_f32 v85, 0x3fb8aa3b, v85
	v_dual_mul_f32 v86, 0x3fb8aa3b, v86 :: v_dual_mul_f32 v89, 0x3fb8aa3b, v87
	s_delay_alu instid0(VALU_DEP_3) | instskip(NEXT) | instid1(VALU_DEP_2)
	v_exp_f32_e32 v82, v82
	v_exp_f32_e32 v84, v84
	s_delay_alu instid0(VALU_DEP_2) | instskip(NEXT) | instid1(VALU_DEP_1)
	v_exp_f32_e32 v85, v85
	v_exp_f32_e32 v86, v86
	;; [unrolled: 1-line block ×3, first 2 shown]
	v_cndmask_b32_e32 v88, 0, v82, vcc_lo
	v_cndmask_b32_e64 v87, 0, v84, s3
	s_delay_alu instid0(TRANS32_DEP_3)
	v_cndmask_b32_e64 v90, 0, v85, s4
	s_waitcnt_depctr 0xfff
	v_cndmask_b32_e64 v89, 0, v86, s5
	v_cndmask_b32_e64 v92, 0, v92, s6
	v_add_f32_e32 v84, 0, v88
	v_cmp_gt_u32_e64 s3, 16, v80
	s_delay_alu instid0(VALU_DEP_2) | instskip(NEXT) | instid1(VALU_DEP_1)
	v_add_f32_e32 v84, v84, v87
	v_add_f32_e32 v84, v84, v90
	s_delay_alu instid0(VALU_DEP_1)
	v_add_f32_e32 v84, v84, v89
	v_fma_f32 v82, s19, v142, -v81
	v_fma_f32 v91, s19, v143, -v81
	v_fma_f32 v85, s19, v144, -v81
	v_fma_f32 v86, s19, v121, -v81
	v_fma_f32 v94, s19, v122, -v81
	s_delay_alu instid0(VALU_DEP_4) | instskip(SKIP_1) | instid1(VALU_DEP_4)
	v_dual_mul_f32 v82, 0x3fb8aa3b, v82 :: v_dual_mul_f32 v91, 0x3fb8aa3b, v91
	v_fma_f32 v96, s19, v124, -v81
	v_mul_f32_e32 v86, 0x3fb8aa3b, v86
	s_delay_alu instid0(VALU_DEP_4) | instskip(NEXT) | instid1(VALU_DEP_4)
	v_mul_f32_e32 v95, 0x3fb8aa3b, v94
	v_exp_f32_e32 v82, v82
	v_exp_f32_e32 v93, v91
	v_mul_f32_e32 v97, 0x3fb8aa3b, v96
	v_exp_f32_e32 v86, v86
	v_fma_f32 v99, s19, v127, -v81
	s_delay_alu instid0(VALU_DEP_2) | instskip(SKIP_2) | instid1(TRANS32_DEP_3)
	v_exp_f32_e32 v97, v97
	v_cndmask_b32_e64 v91, 0, v82, s7
	v_dual_add_f32 v82, v84, v92 :: v_dual_mul_f32 v85, 0x3fb8aa3b, v85
	v_cndmask_b32_e64 v94, 0, v93, s8
	v_fma_f32 v84, s19, v123, -v81
	s_delay_alu instid0(TRANS32_DEP_2) | instskip(NEXT) | instid1(VALU_DEP_4)
	v_cndmask_b32_e64 v96, 0, v86, s10
	v_add_f32_e32 v82, v82, v91
	v_exp_f32_e32 v85, v85
	v_fma_f32 v86, s19, v126, -v81
	v_mul_f32_e32 v84, 0x3fb8aa3b, v84
	v_cndmask_b32_e64 v97, 0, v97, s13
	v_add_f32_e32 v82, v82, v94
	s_delay_alu instid0(VALU_DEP_3) | instskip(SKIP_3) | instid1(VALU_DEP_2)
	v_exp_f32_e32 v84, v84
	s_waitcnt_depctr 0xfff
	v_cndmask_b32_e64 v93, 0, v85, s9
	v_fma_f32 v85, s19, v125, -v81
	v_add_f32_e32 v82, v82, v93
	v_exp_f32_e32 v95, v95
	s_delay_alu instid0(VALU_DEP_2)
	v_mul_f32_e32 v85, 0x3fb8aa3b, v85
	v_cndmask_b32_e64 v98, 0, v84, s12
	v_mul_f32_e32 v84, 0x3fb8aa3b, v99
	v_add_f32_e32 v82, v82, v96
	v_fma_f32 v99, s19, v128, -v81
	v_exp_f32_e32 v85, v85
	v_mul_f32_e32 v86, 0x3fb8aa3b, v86
	v_exp_f32_e32 v84, v84
	s_delay_alu instid0(TRANS32_DEP_3) | instskip(NEXT) | instid1(VALU_DEP_1)
	v_cndmask_b32_e64 v95, 0, v95, s11
	v_add_f32_e32 v82, v82, v95
	s_waitcnt_depctr 0xfff
	v_cndmask_b32_e64 v100, 0, v85, s15
	v_mul_f32_e32 v85, 0x3fb8aa3b, v99
	v_exp_f32_e32 v86, v86
	v_cndmask_b32_e64 v102, 0, v84, s17
	v_add_f32_e32 v82, v82, v98
	s_delay_alu instid0(VALU_DEP_3) | instskip(NEXT) | instid1(VALU_DEP_1)
	v_exp_f32_e32 v85, v85
	v_add_f32_e32 v82, v82, v97
	s_waitcnt_depctr 0xfff
	v_cndmask_b32_e64 v99, 0, v86, s16
	v_add_f32_e32 v82, v82, v100
	v_cndmask_b32_e64 v101, 0, v85, s18
	s_delay_alu instid0(VALU_DEP_2) | instskip(NEXT) | instid1(VALU_DEP_1)
	v_add_f32_e32 v82, v82, v99
	v_add_f32_e32 v82, v82, v102
	s_delay_alu instid0(VALU_DEP_1)
	v_add_f32_e32 v82, v82, v101
	ds_bpermute_b32 v83, v83, v82
	s_and_saveexec_b32 s4, s3
	s_cbranch_execz .LBB164_14
; %bb.13:
	v_mul_u32_u24_e32 v80, 0x44, v78
	s_waitcnt lgkmcnt(0)
	v_add_f32_e32 v82, v82, v83
	s_delay_alu instid0(VALU_DEP_2) | instskip(NEXT) | instid1(VALU_DEP_1)
	v_lshl_add_u32 v80, v77, 2, v80
	v_add_nc_u32_e32 v80, 0x4000, v80
	ds_store_2addr_b32 v80, v81, v82 offset1:136
.LBB164_14:
	s_or_b32 exec_lo, exec_lo, s4
	v_lshlrev_b32_e32 v80, 2, v77
	s_load_b32 s36, s[0:1], 0x94
	s_waitcnt lgkmcnt(0)
	s_barrier
	buffer_gl0_inv
	v_add_nc_u32_e32 v84, 0x4000, v80
	v_cmp_eq_u32_e32 vcc_lo, 1, v78
	v_cmp_eq_u32_e64 s4, 2, v78
	v_cmp_eq_u32_e64 s5, 3, v78
	;; [unrolled: 1-line block ×3, first 2 shown]
	ds_load_2addr_b32 v[80:81], v84 offset1:17
	ds_load_2addr_b32 v[82:83], v84 offset0:34 offset1:51
	ds_load_2addr_b32 v[103:104], v84 offset0:68 offset1:85
	;; [unrolled: 1-line block ×3, first 2 shown]
	v_cmp_eq_u32_e64 s7, 7, v78
	s_waitcnt lgkmcnt(3)
	v_max3_f32 v85, v80, 0xff7fffff, v81
	s_waitcnt lgkmcnt(2)
	s_delay_alu instid0(VALU_DEP_1) | instskip(SKIP_1) | instid1(VALU_DEP_1)
	v_max3_f32 v85, v85, v82, v83
	s_waitcnt lgkmcnt(1)
	v_max3_f32 v85, v85, v103, v104
	s_waitcnt lgkmcnt(0)
	s_delay_alu instid0(VALU_DEP_1) | instskip(NEXT) | instid1(VALU_DEP_1)
	v_max3_f32 v85, v85, v105, v106
	v_sub_f32_e32 v103, v103, v85
	ds_load_2addr_b32 v[107:108], v84 offset0:136 offset1:153
	v_sub_f32_e32 v80, v80, v85
	v_dual_sub_f32 v110, v83, v85 :: v_dual_mul_f32 v113, 0x3fb8aa3b, v103
	s_delay_alu instid0(VALU_DEP_2) | instskip(SKIP_3) | instid1(VALU_DEP_1)
	v_dual_sub_f32 v86, v81, v85 :: v_dual_mul_f32 v109, 0x3fb8aa3b, v80
	ds_load_2addr_b32 v[80:81], v84 offset0:170 offset1:187
	v_mul_f32_e32 v86, 0x3fb8aa3b, v86
	v_exp_f32_e32 v109, v109
	v_exp_f32_e32 v112, v86
	v_mul_f32_e32 v110, 0x3fb8aa3b, v110
	s_waitcnt lgkmcnt(1)
	s_waitcnt_depctr 0xfff
	v_fma_f32 v86, v109, v107, 0
	v_sub_f32_e32 v107, v104, v85
	v_sub_f32_e32 v82, v82, v85
	v_exp_f32_e32 v110, v110
	ds_load_2addr_b32 v[103:104], v84 offset0:238 offset1:255
	v_dual_fmac_f32 v86, v112, v108 :: v_dual_mul_f32 v111, 0x3fb8aa3b, v82
	ds_load_2addr_b32 v[82:83], v84 offset0:204 offset1:221
	v_dual_sub_f32 v84, v105, v85 :: v_dual_mul_f32 v105, 0x3fb8aa3b, v107
	v_exp_f32_e32 v107, v113
	v_exp_f32_e32 v111, v111
	s_waitcnt lgkmcnt(0)
	s_delay_alu instid0(VALU_DEP_1)
	v_mul_f32_e32 v84, 0x3fb8aa3b, v84
	v_exp_f32_e32 v105, v105
	s_barrier
	buffer_gl0_inv
	v_fmac_f32_e32 v86, v111, v80
	v_sub_f32_e32 v80, v106, v85
	v_exp_f32_e32 v106, v84
	s_delay_alu instid0(VALU_DEP_2) | instskip(NEXT) | instid1(VALU_DEP_2)
	v_fmac_f32_e32 v86, v110, v81
	v_mul_f32_e32 v80, 0x3fb8aa3b, v80
	s_delay_alu instid0(VALU_DEP_2) | instskip(NEXT) | instid1(VALU_DEP_2)
	v_dual_cndmask_b32 v81, v109, v112 :: v_dual_fmac_f32 v86, v107, v82
	v_exp_f32_e32 v108, v80
	s_delay_alu instid0(VALU_DEP_1) | instskip(SKIP_2) | instid1(VALU_DEP_1)
	v_fmac_f32_e32 v86, v105, v83
	s_waitcnt_depctr 0xfff
	v_fmac_f32_e32 v86, v106, v103
	v_fmac_f32_e32 v86, v108, v104
	s_delay_alu instid0(VALU_DEP_1) | instskip(NEXT) | instid1(VALU_DEP_1)
	v_add_f32_e32 v103, 0x358637bd, v86
	v_div_scale_f32 v104, null, v103, v103, 1.0
	v_div_scale_f32 v109, vcc_lo, 1.0, v103, 1.0
	s_delay_alu instid0(VALU_DEP_2) | instskip(SKIP_2) | instid1(VALU_DEP_1)
	v_rcp_f32_e32 v113, v104
	s_waitcnt_depctr 0xfff
	v_fma_f32 v80, -v104, v113, 1.0
	v_fmac_f32_e32 v113, v80, v113
	v_cndmask_b32_e64 v80, v81, v111, s4
	v_cmp_eq_u32_e64 s4, 4, v78
	v_lshl_or_b32 v81, v78, 11, v79
	s_delay_alu instid0(VALU_DEP_4) | instskip(NEXT) | instid1(VALU_DEP_4)
	v_mul_f32_e32 v111, v109, v113
	v_cndmask_b32_e64 v82, v80, v110, s5
	v_cmp_eq_u32_e64 s5, 6, v78
	s_delay_alu instid0(VALU_DEP_4) | instskip(SKIP_3) | instid1(VALU_DEP_3)
	v_lshl_or_b32 v78, v75, 4, v81
	v_lshlrev_b32_e32 v80, 2, v75
	v_fma_f32 v83, -v104, v111, v109
	v_cndmask_b32_e64 v84, v82, v107, s4
	v_or_b32_e32 v82, 1, v80
	s_delay_alu instid0(VALU_DEP_3) | instskip(NEXT) | instid1(VALU_DEP_3)
	v_fmac_f32_e32 v111, v83, v113
	v_cndmask_b32_e64 v105, v84, v105, s6
	v_or_b32_e32 v84, 2, v80
	v_or_b32_e32 v83, 3, v80
	v_cmp_eq_u32_e64 s4, 1, v80
	v_fma_f32 v104, -v104, v111, v109
	v_cndmask_b32_e64 v105, v105, v106, s5
	v_cmp_eq_u32_e64 s10, 1, v82
	v_cmp_eq_u32_e64 s11, 1, v84
	;; [unrolled: 1-line block ×3, first 2 shown]
	v_div_fmas_f32 v104, v104, v113, v111
	v_cndmask_b32_e64 v105, v105, v108, s7
	v_cmp_eq_u32_e32 vcc_lo, 2, v80
	v_cmp_eq_u32_e64 s13, 2, v82
	v_cmp_eq_u32_e64 s16, 2, v84
	v_div_fixup_f32 v103, v104, v103, 1.0
	v_cmp_eq_u32_e64 s17, 2, v83
	v_cmp_eq_u32_e64 s19, 3, v83
	;; [unrolled: 1-line block ×4, first 2 shown]
	v_mul_f32_e32 v111, v105, v103
	v_cmp_eq_u32_e64 s18, 3, v84
	v_cmp_eq_u32_e64 s23, 4, v83
	;; [unrolled: 1-line block ×4, first 2 shown]
	v_fma_mixlo_f16 v103, v111, v88, 0
	v_fma_mixlo_f16 v104, v111, v90, 0
	;; [unrolled: 1-line block ×8, first 2 shown]
	v_fma_mixhi_f16 v103, v111, v87, 0
	v_fma_mixhi_f16 v104, v111, v89, 0
	;; [unrolled: 1-line block ×8, first 2 shown]
	ds_store_b128 v78, v[103:106]
	ds_store_b128 v78, v[107:110] offset:1024
	s_waitcnt lgkmcnt(0)
	s_barrier
	buffer_gl0_inv
	ds_load_b128 v[87:90], v81
	ds_load_b128 v[91:94], v81 offset:16
	ds_load_b128 v[95:98], v81 offset:1024
	ds_load_b128 v[99:102], v81 offset:1040
	v_cmp_eq_u32_e64 s22, 4, v84
	v_cmp_eq_u32_e64 s25, 5, v83
	;; [unrolled: 1-line block ×13, first 2 shown]
	s_waitcnt lgkmcnt(3)
	v_lshrrev_b32_e32 v103, 16, v87
	s_waitcnt lgkmcnt(2)
	v_lshrrev_b32_e32 v107, 16, v91
	;; [unrolled: 2-line block ×4, first 2 shown]
	v_lshrrev_b32_e32 v104, 16, v88
	v_cndmask_b32_e64 v119, v87, v103, s4
	v_cndmask_b32_e64 v120, v91, v107, s4
	v_cndmask_b32_e64 v121, v87, v103, s10
	v_cndmask_b32_e64 v122, v91, v107, s10
	v_cndmask_b32_e64 v123, v87, v103, s11
	v_cndmask_b32_e64 v124, v91, v107, s11
	v_cndmask_b32_e64 v87, v87, v103, s12
	v_cndmask_b32_e64 v91, v91, v107, s12
	v_lshrrev_b32_e32 v108, 16, v92
	v_cndmask_b32_e64 v103, v95, v111, s4
	v_cndmask_b32_e64 v107, v99, v115, s4
	;; [unrolled: 1-line block ×5, first 2 shown]
	v_cndmask_b32_e32 v111, v119, v88, vcc_lo
	v_cndmask_b32_e64 v119, v121, v88, s13
	v_cndmask_b32_e64 v121, v123, v88, s16
	;; [unrolled: 1-line block ×4, first 2 shown]
	v_lshrrev_b32_e32 v112, 16, v96
	v_lshrrev_b32_e32 v116, 16, v100
	v_cndmask_b32_e64 v126, v99, v115, s10
	v_cndmask_b32_e64 v128, v99, v115, s11
	;; [unrolled: 1-line block ×3, first 2 shown]
	v_cndmask_b32_e32 v115, v120, v92, vcc_lo
	v_cndmask_b32_e64 v120, v122, v92, s13
	v_cndmask_b32_e64 v122, v124, v92, s16
	v_cndmask_b32_e32 v91, v103, v96, vcc_lo
	v_cndmask_b32_e32 v92, v107, v100, vcc_lo
	v_cndmask_b32_e64 v103, v125, v96, s13
	v_cndmask_b32_e64 v87, v87, v104, s19
	;; [unrolled: 1-line block ×3, first 2 shown]
	v_lshrrev_b32_e32 v105, 16, v89
	v_lshrrev_b32_e32 v109, 16, v93
	v_cndmask_b32_e64 v107, v127, v96, s16
	v_cndmask_b32_e64 v95, v95, v96, s17
	;; [unrolled: 1-line block ×14, first 2 shown]
	v_lshrrev_b32_e32 v113, 16, v97
	v_cndmask_b32_e64 v99, v99, v89, s6
	v_cndmask_b32_e64 v104, v111, v93, s6
	;; [unrolled: 1-line block ×11, first 2 shown]
	v_lshrrev_b32_e32 v106, 16, v90
	v_lshrrev_b32_e32 v110, 16, v94
	v_cndmask_b32_e64 v93, v99, v105, s7
	v_cndmask_b32_e64 v99, v104, v109, s7
	;; [unrolled: 1-line block ×9, first 2 shown]
	v_lshrrev_b32_e32 v114, 16, v98
	v_cndmask_b32_e64 v89, v89, v113, s7
	v_cndmask_b32_e64 v93, v93, v90, s8
	;; [unrolled: 1-line block ×19, first 2 shown]
	v_perm_b32 v90, v88, v87, 0x5040100
	v_cndmask_b32_e64 v87, v126, v100, s13
	v_cndmask_b32_e64 v105, v89, v114, s9
	v_perm_b32 v89, v103, v99, 0x5040100
	v_perm_b32 v88, v104, v94, 0x5040100
	v_cndmask_b32_e64 v94, v107, v112, s18
	v_cndmask_b32_e64 v95, v95, v112, s19
	;; [unrolled: 1-line block ×5, first 2 shown]
	v_lshrrev_b32_e32 v117, 16, v101
	v_cndmask_b32_e64 v94, v94, v97, s22
	v_cndmask_b32_e64 v95, v95, v97, s23
	;; [unrolled: 1-line block ×11, first 2 shown]
	v_lshrrev_b32_e32 v118, 16, v102
	v_cndmask_b32_e64 v91, v91, v102, s8
	v_cndmask_b32_e64 v94, v94, v98, s27
	;; [unrolled: 1-line block ×12, first 2 shown]
	v_perm_b32 v87, v93, v92, 0x5040100
	v_perm_b32 v94, v95, v94, 0x5040100
	;; [unrolled: 1-line block ×5, first 2 shown]
	s_mul_i32 s8, s35, 11
	s_mov_b32 s4, exec_lo
	ds_store_b128 v78, v[87:90]
	ds_store_b128 v78, v[91:94] offset:1024
	v_cmpx_gt_u32_e32 11, v0
	s_cbranch_execz .LBB164_16
; %bb.15:
	s_mul_i32 s5, s8, s34
	s_load_b128 s[16:19], s[0:1], 0x58
	v_add3_u32 v77, s5, s33, v77
	s_delay_alu instid0(VALU_DEP_1) | instskip(NEXT) | instid1(VALU_DEP_1)
	v_mad_u64_u32 v[87:88], null, v77, s36, s[14:15]
	v_ashrrev_i32_e32 v88, 31, v87
	s_delay_alu instid0(VALU_DEP_1) | instskip(SKIP_1) | instid1(VALU_DEP_1)
	v_lshlrev_b64 v[87:88], 2, v[87:88]
	s_waitcnt lgkmcnt(0)
	v_add_co_u32 v89, vcc_lo, s18, v87
	s_delay_alu instid0(VALU_DEP_2)
	v_add_co_ci_u32_e32 v90, vcc_lo, s19, v88, vcc_lo
	v_add_co_u32 v87, vcc_lo, s16, v87
	v_add_co_ci_u32_e32 v88, vcc_lo, s17, v88, vcc_lo
	global_store_b32 v[89:90], v85, off
	global_store_b32 v[87:88], v86, off
.LBB164_16:
	s_or_b32 exec_lo, exec_lo, s4
	s_waitcnt lgkmcnt(0)
	s_waitcnt_vscnt null, 0x0
	s_barrier
	buffer_gl0_inv
	ds_load_b128 v[93:96], v79
	ds_load_b128 v[97:100], v79 offset:16
	ds_load_b128 v[105:108], v79 offset:1040
	;; [unrolled: 1-line block ×5, first 2 shown]
	v_cmp_eq_u32_e32 vcc_lo, 1, v84
	v_mov_b32_e32 v85, 0
	ds_load_b128 v[121:124], v79 offset:3088
	ds_load_b128 v[117:120], v79 offset:3072
	;; [unrolled: 1-line block ×4, first 2 shown]
	v_cmp_eq_u32_e64 s4, 1, v80
	v_cmp_eq_u32_e64 s5, 1, v83
	;; [unrolled: 1-line block ×3, first 2 shown]
	v_mov_b32_e32 v86, v85
	v_mov_b32_e32 v87, v85
	;; [unrolled: 1-line block ×7, first 2 shown]
	v_cmp_eq_u32_e64 s7, 2, v80
	s_waitcnt lgkmcnt(8)
	s_delay_alu instid0(VALU_DEP_2)
	v_wmma_f32_16x16x16_f16 v[85:92], v[65:72], v[93:100], v[85:92]
	ds_load_b128 v[69:72], v79 offset:5136
	ds_load_b128 v[65:68], v79 offset:5120
	;; [unrolled: 1-line block ×4, first 2 shown]
	s_waitcnt lgkmcnt(10)
	v_wmma_f32_16x16x16_f16 v[85:92], v[57:64], v[101:108], v[85:92]
	s_waitcnt lgkmcnt(8)
	s_delay_alu instid0(VALU_DEP_1)
	v_wmma_f32_16x16x16_f16 v[85:92], v[57:64], v[109:116], v[85:92]
	ds_load_b128 v[61:64], v79 offset:7184
	ds_load_b128 v[57:60], v79 offset:7168
	;; [unrolled: 1-line block ×4, first 2 shown]
	s_waitcnt lgkmcnt(10)
	v_wmma_f32_16x16x16_f16 v[85:92], v[49:56], v[117:124], v[85:92]
	s_waitcnt lgkmcnt(8)
	s_delay_alu instid0(VALU_DEP_1)
	v_wmma_f32_16x16x16_f16 v[85:92], v[49:56], v[125:132], v[85:92]
	ds_load_b128 v[53:56], v79 offset:9232
	ds_load_b128 v[49:52], v79 offset:9216
	s_waitcnt lgkmcnt(8)
	v_wmma_f32_16x16x16_f16 v[85:92], v[41:48], v[65:72], v[85:92]
	ds_load_b128 v[69:72], v79 offset:10256
	ds_load_b128 v[65:68], v79 offset:10240
	s_waitcnt lgkmcnt(8)
	;; [unrolled: 4-line block ×7, first 2 shown]
	s_barrier
	buffer_gl0_inv
	v_wmma_f32_16x16x16_f16 v[85:92], v[33:40], v[41:48], v[85:92]
	s_delay_alu instid0(VALU_DEP_1) | instskip(NEXT) | instid1(VALU_DEP_1)
	v_wmma_f32_16x16x16_f16 v[85:92], v[33:40], v[57:64], v[85:92]
	v_wmma_f32_16x16x16_f16 v[85:92], v[25:32], v[9:16], v[85:92]
	s_delay_alu instid0(VALU_DEP_1) | instskip(NEXT) | instid1(VALU_DEP_1)
	v_wmma_f32_16x16x16_f16 v[85:92], v[25:32], v[49:56], v[85:92]
	v_wmma_f32_16x16x16_f16 v[85:92], v[17:24], v[1:8], v[85:92]
	s_delay_alu instid0(VALU_DEP_1) | instskip(NEXT) | instid1(VALU_DEP_2)
	v_cvt_f16_f32_e32 v1, v85
	v_cvt_f16_f32_e32 v2, v86
	s_delay_alu instid0(VALU_DEP_3) | instskip(NEXT) | instid1(VALU_DEP_4)
	v_cvt_f16_f32_e32 v3, v87
	v_cvt_f16_f32_e32 v4, v88
	;; [unrolled: 1-line block ×6, first 2 shown]
	v_pack_b32_f16 v1, v1, v2
	v_pack_b32_f16 v2, v3, v4
	;; [unrolled: 1-line block ×3, first 2 shown]
	s_delay_alu instid0(VALU_DEP_4)
	v_pack_b32_f16 v4, v7, v8
	ds_store_b128 v78, v[1:4]
	s_waitcnt lgkmcnt(0)
	s_barrier
	buffer_gl0_inv
	ds_load_b128 v[1:4], v81
	ds_load_b128 v[5:8], v81 offset:16
	s_waitcnt lgkmcnt(1)
	v_lshrrev_b32_e32 v9, 16, v1
	s_waitcnt lgkmcnt(0)
	v_lshrrev_b32_e32 v13, 16, v5
	v_lshrrev_b32_e32 v15, 16, v7
	;; [unrolled: 1-line block ×4, first 2 shown]
	v_cndmask_b32_e64 v17, v1, v9, s4
	v_cndmask_b32_e64 v18, v5, v13, s4
	v_cndmask_b32_e64 v19, v1, v9, s6
	v_cmp_eq_u32_e64 s4, 2, v82
	v_cndmask_b32_e64 v20, v5, v13, s6
	v_cndmask_b32_e32 v21, v1, v9, vcc_lo
	v_cndmask_b32_e32 v22, v5, v13, vcc_lo
	v_cndmask_b32_e64 v1, v1, v9, s5
	v_cndmask_b32_e64 v5, v5, v13, s5
	v_cmp_eq_u32_e32 vcc_lo, 2, v84
	v_cmp_eq_u32_e64 s5, 2, v83
	v_cndmask_b32_e64 v9, v17, v2, s7
	v_cndmask_b32_e64 v13, v18, v6, s7
	;; [unrolled: 1-line block ×4, first 2 shown]
	v_cndmask_b32_e32 v19, v21, v2, vcc_lo
	v_cmp_eq_u32_e64 s4, 3, v84
	v_cndmask_b32_e32 v20, v22, v6, vcc_lo
	v_cndmask_b32_e64 v1, v1, v2, s5
	v_cmp_eq_u32_e32 vcc_lo, 3, v83
	v_cmp_eq_u32_e64 s6, 3, v80
	v_cndmask_b32_e64 v2, v5, v6, s5
	v_cmp_eq_u32_e64 s5, 3, v82
	v_lshrrev_b32_e32 v16, 16, v8
	v_cmp_eq_u32_e64 s7, 4, v80
	v_cndmask_b32_e64 v5, v9, v10, s6
	v_cndmask_b32_e64 v6, v13, v14, s6
	;; [unrolled: 1-line block ×3, first 2 shown]
	v_cmp_eq_u32_e64 s6, 4, v82
	v_cndmask_b32_e64 v13, v18, v14, s5
	v_cndmask_b32_e64 v17, v19, v10, s4
	v_cndmask_b32_e64 v18, v20, v14, s4
	v_cndmask_b32_e32 v1, v1, v10, vcc_lo
	v_cndmask_b32_e32 v2, v2, v14, vcc_lo
	v_cmp_eq_u32_e32 vcc_lo, 4, v84
	v_cmp_eq_u32_e64 s5, 4, v83
	v_lshrrev_b32_e32 v11, 16, v3
	v_cndmask_b32_e64 v5, v5, v3, s7
	v_cndmask_b32_e64 v6, v6, v7, s7
	;; [unrolled: 1-line block ×4, first 2 shown]
	v_cndmask_b32_e32 v13, v17, v3, vcc_lo
	v_cmp_eq_u32_e64 s4, 5, v84
	v_cndmask_b32_e32 v14, v18, v7, vcc_lo
	v_cndmask_b32_e64 v1, v1, v3, s5
	v_cmp_eq_u32_e32 vcc_lo, 5, v83
	v_cmp_eq_u32_e64 s6, 5, v80
	v_cndmask_b32_e64 v2, v2, v7, s5
	v_cmp_eq_u32_e64 s5, 5, v82
	v_cmp_eq_u32_e64 s7, 6, v80
	v_cndmask_b32_e32 v1, v1, v11, vcc_lo
	v_cndmask_b32_e64 v3, v5, v11, s6
	v_cndmask_b32_e64 v5, v6, v15, s6
	;; [unrolled: 1-line block ×3, first 2 shown]
	v_cmp_eq_u32_e64 s6, 6, v82
	v_cndmask_b32_e64 v7, v10, v15, s5
	v_cndmask_b32_e64 v9, v13, v11, s4
	;; [unrolled: 1-line block ×3, first 2 shown]
	v_cndmask_b32_e32 v2, v2, v15, vcc_lo
	v_cmp_eq_u32_e32 vcc_lo, 6, v84
	v_cmp_eq_u32_e64 s4, 6, v83
	v_lshrrev_b32_e32 v12, 16, v4
	v_cndmask_b32_e64 v3, v3, v4, s7
	v_cndmask_b32_e64 v5, v5, v8, s7
	;; [unrolled: 1-line block ×4, first 2 shown]
	v_cndmask_b32_e32 v9, v9, v4, vcc_lo
	v_cmp_eq_u32_e64 s5, 7, v84
	v_cndmask_b32_e32 v10, v10, v8, vcc_lo
	v_cndmask_b32_e64 v1, v1, v4, s4
	v_cmp_eq_u32_e32 vcc_lo, 7, v83
	v_cndmask_b32_e64 v2, v2, v8, s4
	v_cmp_eq_u32_e64 s4, 7, v80
	v_cmp_eq_u32_e64 s6, 7, v82
	v_cndmask_b32_e32 v1, v1, v12, vcc_lo
	s_delay_alu instid0(VALU_DEP_4) | instskip(NEXT) | instid1(VALU_DEP_4)
	v_cndmask_b32_e32 v2, v2, v16, vcc_lo
	v_cndmask_b32_e64 v8, v3, v12, s4
	s_delay_alu instid0(VALU_DEP_4)
	v_cndmask_b32_e64 v6, v6, v12, s6
	v_cndmask_b32_e64 v3, v9, v12, s5
	;; [unrolled: 1-line block ×5, first 2 shown]
	v_cmp_gt_u32_e32 vcc_lo, 32, v0
	v_perm_b32 v4, v2, v1, 0x5040100
	v_perm_b32 v3, v9, v3, 0x5040100
	;; [unrolled: 1-line block ×4, first 2 shown]
	s_and_b32 s2, vcc_lo, s2
	ds_store_b128 v78, v[1:4]
	s_waitcnt lgkmcnt(0)
	s_barrier
	buffer_gl0_inv
	s_and_saveexec_b32 s4, s2
	s_cbranch_execz .LBB164_2
; %bb.17:
	s_load_b64 s[4:5], s[0:1], 0x68
	v_lshlrev_b32_e32 v0, 10, v0
	v_lshlrev_b32_e32 v1, 4, v76
	s_lshl_b32 s0, s36, 6
	v_add_nc_u32_e32 v7, s33, v75
	s_mul_i32 s1, s0, s34
	s_delay_alu instid0(SALU_CYCLE_1) | instskip(SKIP_1) | instid1(VALU_DEP_2)
	s_mul_i32 s6, s1, s8
	v_and_or_b32 v0, 0x3800, v0, v1
	v_mul_lo_u32 v1, v7, s0
	v_add_nc_u32_e32 v2, 2, v7
	s_ashr_i32 s7, s6, 31
	v_add_nc_u32_e32 v4, 4, v7
	s_lshl_b64 s[6:7], s[6:7], 1
	v_add_nc_u32_e32 v8, 6, v7
	v_mul_lo_u32 v3, v2, s0
	v_lshl_or_b32 v19, v75, 6, v0
	v_ashrrev_i32_e32 v2, 31, v1
	v_mul_lo_u32 v11, v4, s0
	v_mul_lo_u32 v25, v8, s0
	s_waitcnt lgkmcnt(0)
	s_add_u32 s1, s4, s6
	s_addc_u32 s2, s5, s7
	s_lshl_b32 s4, s14, 6
	v_lshlrev_b64 v[5:6], 1, v[1:2]
	s_ashr_i32 s5, s4, 31
	v_ashrrev_i32_e32 v4, 31, v3
	s_lshl_b64 s[4:5], s[4:5], 1
	v_ashrrev_i32_e32 v12, 31, v11
	s_add_u32 s1, s1, s4
	s_addc_u32 s2, s2, s5
	v_add_co_u32 v1, vcc_lo, s1, v73
	v_add_co_ci_u32_e32 v2, vcc_lo, s2, v74, vcc_lo
	v_lshlrev_b64 v[3:4], 1, v[3:4]
	s_delay_alu instid0(VALU_DEP_3) | instskip(SKIP_1) | instid1(VALU_DEP_4)
	v_add_co_u32 v23, vcc_lo, v1, v5
	v_add_nc_u32_e32 v5, 8, v7
	v_add_co_ci_u32_e32 v24, vcc_lo, v2, v6, vcc_lo
	s_delay_alu instid0(VALU_DEP_4) | instskip(NEXT) | instid1(VALU_DEP_3)
	v_add_co_u32 v27, vcc_lo, v1, v3
	v_mul_lo_u32 v29, v5, s0
	v_add_co_ci_u32_e32 v28, vcc_lo, v2, v4, vcc_lo
	ds_load_b128 v[3:6], v19
	ds_load_b128 v[7:10], v19 offset:128
	v_lshlrev_b64 v[31:32], 1, v[11:12]
	ds_load_b128 v[11:14], v19 offset:256
	ds_load_b128 v[15:18], v19 offset:384
	;; [unrolled: 1-line block ×3, first 2 shown]
	v_ashrrev_i32_e32 v26, 31, v25
	v_ashrrev_i32_e32 v30, 31, v29
	v_add_co_u32 v31, vcc_lo, v1, v31
	s_delay_alu instid0(VALU_DEP_3) | instskip(NEXT) | instid1(VALU_DEP_3)
	v_lshlrev_b64 v[25:26], 1, v[25:26]
	v_lshlrev_b64 v[29:30], 1, v[29:30]
	v_add_co_ci_u32_e32 v32, vcc_lo, v2, v32, vcc_lo
	s_delay_alu instid0(VALU_DEP_3) | instskip(NEXT) | instid1(VALU_DEP_4)
	v_add_co_u32 v25, vcc_lo, v1, v25
	v_add_co_ci_u32_e32 v26, vcc_lo, v2, v26, vcc_lo
	s_delay_alu instid0(VALU_DEP_4)
	v_add_co_u32 v29, vcc_lo, v1, v29
	v_add_co_ci_u32_e32 v30, vcc_lo, v2, v30, vcc_lo
	s_waitcnt lgkmcnt(4)
	global_store_b128 v[23:24], v[3:6], off
	s_waitcnt lgkmcnt(3)
	global_store_b128 v[27:28], v[7:10], off
	;; [unrolled: 2-line block ×5, first 2 shown]
	s_and_b32 exec_lo, exec_lo, s3
	s_cbranch_execz .LBB164_2
; %bb.18:
	ds_load_b128 v[3:6], v0 offset:640
	s_add_i32 s1, s33, 10
	s_delay_alu instid0(SALU_CYCLE_1) | instskip(NEXT) | instid1(SALU_CYCLE_1)
	s_mul_i32 s0, s1, s0
	s_ashr_i32 s1, s0, 31
	s_delay_alu instid0(SALU_CYCLE_1) | instskip(NEXT) | instid1(SALU_CYCLE_1)
	s_lshl_b64 s[0:1], s[0:1], 1
	v_add_co_u32 v0, vcc_lo, v1, s0
	v_add_co_ci_u32_e32 v1, vcc_lo, s1, v2, vcc_lo
	s_waitcnt lgkmcnt(0)
	global_store_b128 v[0:1], v[3:6], off
	s_nop 0
	s_sendmsg sendmsg(MSG_DEALLOC_VGPRS)
	s_endpgm
	.section	.rodata,"a",@progbits
	.p2align	6, 0x0
	.amdhsa_kernel _Z39paged_attention_ll4mi_QKV_mfma16_kernelIDF16_DF16_LN4vllm18Fp8KVCacheDataTypeE0EDF16_Li32ELi64ELi256ELb1ELi11EL8MFMAType0EEvPKT_PKT0_S8_ifPKiSA_SA_iPKfiiiPfSD_PS3_PT2_iSC_SC_
		.amdhsa_group_segment_fixed_size 17472
		.amdhsa_private_segment_fixed_size 0
		.amdhsa_kernarg_size 400
		.amdhsa_user_sgpr_count 13
		.amdhsa_user_sgpr_dispatch_ptr 0
		.amdhsa_user_sgpr_queue_ptr 0
		.amdhsa_user_sgpr_kernarg_segment_ptr 1
		.amdhsa_user_sgpr_dispatch_id 0
		.amdhsa_user_sgpr_private_segment_size 0
		.amdhsa_wavefront_size32 1
		.amdhsa_uses_dynamic_stack 0
		.amdhsa_enable_private_segment 0
		.amdhsa_system_sgpr_workgroup_id_x 1
		.amdhsa_system_sgpr_workgroup_id_y 1
		.amdhsa_system_sgpr_workgroup_id_z 1
		.amdhsa_system_sgpr_workgroup_info 0
		.amdhsa_system_vgpr_workitem_id 0
		.amdhsa_next_free_vgpr 154
		.amdhsa_next_free_sgpr 39
		.amdhsa_reserve_vcc 1
		.amdhsa_float_round_mode_32 0
		.amdhsa_float_round_mode_16_64 0
		.amdhsa_float_denorm_mode_32 3
		.amdhsa_float_denorm_mode_16_64 3
		.amdhsa_dx10_clamp 1
		.amdhsa_ieee_mode 1
		.amdhsa_fp16_overflow 0
		.amdhsa_workgroup_processor_mode 1
		.amdhsa_memory_ordered 1
		.amdhsa_forward_progress 0
		.amdhsa_shared_vgpr_count 0
		.amdhsa_exception_fp_ieee_invalid_op 0
		.amdhsa_exception_fp_denorm_src 0
		.amdhsa_exception_fp_ieee_div_zero 0
		.amdhsa_exception_fp_ieee_overflow 0
		.amdhsa_exception_fp_ieee_underflow 0
		.amdhsa_exception_fp_ieee_inexact 0
		.amdhsa_exception_int_div_zero 0
	.end_amdhsa_kernel
	.section	.text._Z39paged_attention_ll4mi_QKV_mfma16_kernelIDF16_DF16_LN4vllm18Fp8KVCacheDataTypeE0EDF16_Li32ELi64ELi256ELb1ELi11EL8MFMAType0EEvPKT_PKT0_S8_ifPKiSA_SA_iPKfiiiPfSD_PS3_PT2_iSC_SC_,"axG",@progbits,_Z39paged_attention_ll4mi_QKV_mfma16_kernelIDF16_DF16_LN4vllm18Fp8KVCacheDataTypeE0EDF16_Li32ELi64ELi256ELb1ELi11EL8MFMAType0EEvPKT_PKT0_S8_ifPKiSA_SA_iPKfiiiPfSD_PS3_PT2_iSC_SC_,comdat
.Lfunc_end164:
	.size	_Z39paged_attention_ll4mi_QKV_mfma16_kernelIDF16_DF16_LN4vllm18Fp8KVCacheDataTypeE0EDF16_Li32ELi64ELi256ELb1ELi11EL8MFMAType0EEvPKT_PKT0_S8_ifPKiSA_SA_iPKfiiiPfSD_PS3_PT2_iSC_SC_, .Lfunc_end164-_Z39paged_attention_ll4mi_QKV_mfma16_kernelIDF16_DF16_LN4vllm18Fp8KVCacheDataTypeE0EDF16_Li32ELi64ELi256ELb1ELi11EL8MFMAType0EEvPKT_PKT0_S8_ifPKiSA_SA_iPKfiiiPfSD_PS3_PT2_iSC_SC_
                                        ; -- End function
	.section	.AMDGPU.csdata,"",@progbits
; Kernel info:
; codeLenInByte = 7380
; NumSgprs: 41
; NumVgprs: 154
; ScratchSize: 0
; MemoryBound: 0
; FloatMode: 240
; IeeeMode: 1
; LDSByteSize: 17472 bytes/workgroup (compile time only)
; SGPRBlocks: 5
; VGPRBlocks: 19
; NumSGPRsForWavesPerEU: 41
; NumVGPRsForWavesPerEU: 154
; Occupancy: 9
; WaveLimiterHint : 1
; COMPUTE_PGM_RSRC2:SCRATCH_EN: 0
; COMPUTE_PGM_RSRC2:USER_SGPR: 13
; COMPUTE_PGM_RSRC2:TRAP_HANDLER: 0
; COMPUTE_PGM_RSRC2:TGID_X_EN: 1
; COMPUTE_PGM_RSRC2:TGID_Y_EN: 1
; COMPUTE_PGM_RSRC2:TGID_Z_EN: 1
; COMPUTE_PGM_RSRC2:TIDIG_COMP_CNT: 0
	.section	.text._Z39paged_attention_ll4mi_QKV_mfma16_kernelIDF16_DF16_LN4vllm18Fp8KVCacheDataTypeE0EDF16_Li32ELi64ELi256ELb1ELi12EL8MFMAType0EEvPKT_PKT0_S8_ifPKiSA_SA_iPKfiiiPfSD_PS3_PT2_iSC_SC_,"axG",@progbits,_Z39paged_attention_ll4mi_QKV_mfma16_kernelIDF16_DF16_LN4vllm18Fp8KVCacheDataTypeE0EDF16_Li32ELi64ELi256ELb1ELi12EL8MFMAType0EEvPKT_PKT0_S8_ifPKiSA_SA_iPKfiiiPfSD_PS3_PT2_iSC_SC_,comdat
	.protected	_Z39paged_attention_ll4mi_QKV_mfma16_kernelIDF16_DF16_LN4vllm18Fp8KVCacheDataTypeE0EDF16_Li32ELi64ELi256ELb1ELi12EL8MFMAType0EEvPKT_PKT0_S8_ifPKiSA_SA_iPKfiiiPfSD_PS3_PT2_iSC_SC_ ; -- Begin function _Z39paged_attention_ll4mi_QKV_mfma16_kernelIDF16_DF16_LN4vllm18Fp8KVCacheDataTypeE0EDF16_Li32ELi64ELi256ELb1ELi12EL8MFMAType0EEvPKT_PKT0_S8_ifPKiSA_SA_iPKfiiiPfSD_PS3_PT2_iSC_SC_
	.globl	_Z39paged_attention_ll4mi_QKV_mfma16_kernelIDF16_DF16_LN4vllm18Fp8KVCacheDataTypeE0EDF16_Li32ELi64ELi256ELb1ELi12EL8MFMAType0EEvPKT_PKT0_S8_ifPKiSA_SA_iPKfiiiPfSD_PS3_PT2_iSC_SC_
	.p2align	8
	.type	_Z39paged_attention_ll4mi_QKV_mfma16_kernelIDF16_DF16_LN4vllm18Fp8KVCacheDataTypeE0EDF16_Li32ELi64ELi256ELb1ELi12EL8MFMAType0EEvPKT_PKT0_S8_ifPKiSA_SA_iPKfiiiPfSD_PS3_PT2_iSC_SC_,@function
_Z39paged_attention_ll4mi_QKV_mfma16_kernelIDF16_DF16_LN4vllm18Fp8KVCacheDataTypeE0EDF16_Li32ELi64ELi256ELb1ELi12EL8MFMAType0EEvPKT_PKT0_S8_ifPKiSA_SA_iPKfiiiPfSD_PS3_PT2_iSC_SC_: ; @_Z39paged_attention_ll4mi_QKV_mfma16_kernelIDF16_DF16_LN4vllm18Fp8KVCacheDataTypeE0EDF16_Li32ELi64ELi256ELb1ELi12EL8MFMAType0EEvPKT_PKT0_S8_ifPKiSA_SA_iPKfiiiPfSD_PS3_PT2_iSC_SC_
; %bb.0:
	s_load_b64 s[2:3], s[0:1], 0x30
	s_mov_b32 s34, s13
	s_waitcnt lgkmcnt(0)
	s_cmp_lg_u64 s[2:3], 0
	s_cselect_b32 s6, -1, 0
	s_ashr_i32 s35, s13, 31
	s_cmp_eq_u64 s[2:3], 0
	s_cbranch_scc1 .LBB165_3
; %bb.1:
	s_lshl_b64 s[4:5], s[34:35], 2
	s_delay_alu instid0(SALU_CYCLE_1) | instskip(SKIP_4) | instid1(SALU_CYCLE_1)
	s_add_u32 s4, s2, s4
	s_addc_u32 s5, s3, s5
	s_load_b64 s[4:5], s[4:5], 0x0
	s_waitcnt lgkmcnt(0)
	s_sub_i32 s4, s5, s4
	s_cmp_eq_u32 s4, 1
	s_cselect_b32 s4, -1, 0
	s_delay_alu instid0(SALU_CYCLE_1)
	s_and_not1_b32 vcc_lo, exec_lo, s4
	s_cbranch_vccz .LBB165_4
.LBB165_2:
	s_endpgm
.LBB165_3:
.LBB165_4:
	s_load_b64 s[8:9], s[0:1], 0x28
	s_lshl_b64 s[4:5], s[34:35], 2
	s_waitcnt lgkmcnt(0)
	s_add_u32 s8, s8, s4
	s_addc_u32 s9, s9, s5
	s_lshl_b32 s16, s14, 8
	s_load_b32 s18, s[8:9], 0x0
	s_waitcnt lgkmcnt(0)
	s_cmp_ge_i32 s16, s18
	s_cbranch_scc1 .LBB165_2
; %bb.5:
	s_and_not1_b32 vcc_lo, exec_lo, s6
	s_cbranch_vccnz .LBB165_7
; %bb.6:
	s_add_u32 s2, s2, s4
	s_addc_u32 s3, s3, s5
	s_load_b32 s17, s[2:3], 0x0
	s_branch .LBB165_8
.LBB165_7:
	s_mov_b32 s17, s34
.LBB165_8:
	s_clause 0x2
	s_load_b128 s[8:11], s[0:1], 0x8
	s_load_b64 s[12:13], s[0:1], 0x20
	s_load_b128 s[4:7], s[0:1], 0x48
	v_and_b32_e32 v77, 15, v0
	v_cmp_lt_u32_e32 vcc_lo, 0xbf, v0
	s_delay_alu instid0(VALU_DEP_2) | instskip(SKIP_2) | instid1(VALU_DEP_3)
	v_cmp_lt_u32_e64 s3, 7, v77
	v_lshlrev_b32_e32 v1, 3, v77
	v_cmp_gt_u32_e64 s2, 8, v77
	s_or_b32 s3, vcc_lo, s3
	s_waitcnt lgkmcnt(0)
	s_and_saveexec_b32 s7, s3
	s_delay_alu instid0(SALU_CYCLE_1)
	s_xor_b32 s3, exec_lo, s7
; %bb.9:
	v_mov_b32_e32 v2, 0
; %bb.10:
	s_or_saveexec_b32 s3, s3
	v_lshrrev_b32_e32 v79, 5, v0
	v_and_b32_e32 v80, 31, v0
	v_and_b32_e32 v76, 1, v0
	v_bfe_u32 v75, v0, 4, 1
	s_mul_i32 s31, s15, 12
	s_xor_b32 exec_lo, exec_lo, s3
	s_cbranch_execz .LBB165_12
; %bb.11:
	s_load_b64 s[20:21], s[0:1], 0x0
	v_lshl_or_b32 v7, v79, 1, v75
	s_mul_hi_i32 s23, s17, s4
	s_mul_i32 s22, s17, s4
	v_lshlrev_b32_e32 v4, 1, v1
	s_lshl_b64 s[22:23], s[22:23], 1
	v_add_lshl_u32 v2, v7, s31, 6
	v_lshlrev_b32_e32 v7, 6, v7
	v_lshlrev_b32_e32 v8, 10, v76
	s_delay_alu instid0(VALU_DEP_3) | instskip(NEXT) | instid1(VALU_DEP_1)
	v_ashrrev_i32_e32 v3, 31, v2
	v_lshlrev_b64 v[2:3], 1, v[2:3]
	s_waitcnt lgkmcnt(0)
	s_add_u32 s4, s20, s22
	s_addc_u32 s7, s21, s23
	s_delay_alu instid0(VALU_DEP_1) | instskip(NEXT) | instid1(VALU_DEP_2)
	v_add_co_u32 v2, vcc_lo, s4, v2
	v_add_co_ci_u32_e32 v3, vcc_lo, s7, v3, vcc_lo
	s_delay_alu instid0(VALU_DEP_2) | instskip(NEXT) | instid1(VALU_DEP_2)
	v_add_co_u32 v2, vcc_lo, v2, v4
	v_add_co_ci_u32_e32 v3, vcc_lo, 0, v3, vcc_lo
	global_load_b128 v[3:6], v[2:3], off
	v_lshlrev_b32_e32 v2, 10, v77
	s_delay_alu instid0(VALU_DEP_1) | instskip(NEXT) | instid1(VALU_DEP_1)
	v_and_b32_e32 v2, 0x3800, v2
	v_or3_b32 v7, v2, v8, v7
	v_mov_b32_e32 v2, 0
	s_waitcnt vmcnt(0)
	ds_store_b128 v7, v[3:6]
.LBB165_12:
	s_or_b32 exec_lo, exec_lo, s3
	v_and_b32_e32 v3, 0xef, v0
	s_add_i32 s3, s18, 31
	s_clause 0x1
	s_load_b32 s4, s[0:1], 0x38
	s_load_b32 s33, s[0:1], 0x98
	s_ashr_i32 s7, s3, 31
	v_add_nc_u32_e32 v3, s16, v3
	s_lshr_b32 s7, s7, 27
	s_load_b32 s19, s[0:1], 0x1c
	s_add_i32 s3, s3, s7
	s_waitcnt lgkmcnt(0)
	v_ashrrev_i32_e32 v4, 31, v3
	v_cmp_gt_i32_e32 vcc_lo, s18, v3
	s_ashr_i32 s3, s3, 5
	s_barrier
	s_add_i32 s3, s3, -1
	v_lshrrev_b32_e32 v5, 27, v4
	v_or_b32_e32 v4, 16, v3
	buffer_gl0_inv
	s_mul_i32 s6, s15, s6
	v_lshlrev_b64 v[73:74], 1, v[1:2]
	v_add_nc_u32_e32 v6, v3, v5
	v_add_nc_u32_e32 v5, v4, v5
	s_mul_i32 s20, s34, s4
	v_lshlrev_b32_e32 v78, 6, v77
	s_ashr_i32 s21, s20, 31
	v_ashrrev_i32_e32 v6, 5, v6
	v_ashrrev_i32_e32 v5, 5, v5
	s_lshl_b64 s[20:21], s[20:21], 2
	v_lshl_or_b32 v33, v79, 10, v78
	s_add_u32 s4, s12, s20
	v_cndmask_b32_e32 v3, s3, v6, vcc_lo
	v_cmp_gt_i32_e32 vcc_lo, s18, v4
	s_addc_u32 s17, s13, s21
	s_ashr_i32 s7, s6, 31
	s_delay_alu instid0(VALU_DEP_2) | instskip(SKIP_2) | instid1(SALU_CYCLE_1)
	v_ashrrev_i32_e32 v4, 31, v3
	v_cndmask_b32_e32 v5, s3, v5, vcc_lo
	s_lshl_b64 s[6:7], s[6:7], 1
	s_add_u32 s15, s8, s6
	s_delay_alu instid0(VALU_DEP_2) | instskip(NEXT) | instid1(VALU_DEP_2)
	v_lshlrev_b64 v[3:4], 2, v[3:4]
	v_ashrrev_i32_e32 v6, 31, v5
	s_addc_u32 s28, s9, s7
	s_lshl_b32 s8, s14, 3
	s_delay_alu instid0(SALU_CYCLE_1) | instskip(NEXT) | instid1(VALU_DEP_1)
	s_ashr_i32 s9, s8, 31
	v_lshlrev_b64 v[5:6], 2, v[5:6]
	v_add_co_u32 v3, vcc_lo, s4, v3
	v_add_co_ci_u32_e32 v4, vcc_lo, s17, v4, vcc_lo
	s_lshl_b64 s[8:9], s[8:9], 2
	s_delay_alu instid0(VALU_DEP_3) | instskip(NEXT) | instid1(VALU_DEP_4)
	v_add_co_u32 v5, vcc_lo, s4, v5
	v_add_co_ci_u32_e32 v6, vcc_lo, s17, v6, vcc_lo
	s_add_u32 s8, s4, s8
	s_clause 0x1
	global_load_b32 v7, v[3:4], off
	global_load_b32 v8, v[5:6], off
	s_addc_u32 s9, s17, s9
	s_or_b32 s12, s16, 32
	s_delay_alu instid0(SALU_CYCLE_1) | instskip(SKIP_2) | instid1(SALU_CYCLE_1)
	s_ashr_i32 s13, s12, 5
	s_cmp_lt_i32 s12, s18
	s_cselect_b32 s12, s13, s3
	s_ashr_i32 s13, s12, 31
	s_delay_alu instid0(SALU_CYCLE_1) | instskip(NEXT) | instid1(SALU_CYCLE_1)
	s_lshl_b64 s[12:13], s[12:13], 2
	s_add_u32 s12, s4, s12
	s_addc_u32 s13, s17, s13
	s_or_b32 s20, s16, 64
	s_delay_alu instid0(SALU_CYCLE_1) | instskip(SKIP_2) | instid1(SALU_CYCLE_1)
	s_ashr_i32 s21, s20, 5
	s_cmp_lt_i32 s20, s18
	s_cselect_b32 s20, s21, s3
	s_ashr_i32 s21, s20, 31
	s_delay_alu instid0(SALU_CYCLE_1) | instskip(NEXT) | instid1(SALU_CYCLE_1)
	s_lshl_b64 s[20:21], s[20:21], 2
	s_add_u32 s20, s4, s20
	;; [unrolled: 10-line block ×5, first 2 shown]
	s_addc_u32 s27, s17, s27
	s_clause 0x5
	s_load_b32 s29, s[8:9], 0x0
	s_load_b32 s30, s[12:13], 0x0
	;; [unrolled: 1-line block ×6, first 2 shown]
	s_or_b32 s8, s16, 0xc0
	s_mov_b32 s20, 0
	s_ashr_i32 s9, s8, 5
	s_cmp_lt_i32 s8, s18
	s_mov_b32 s27, s20
	s_cselect_b32 s8, s9, s3
	s_mov_b32 s21, s20
	s_ashr_i32 s9, s8, 31
	s_mov_b32 s22, s20
	s_lshl_b64 s[8:9], s[8:9], 2
	s_mov_b32 s23, s20
	s_add_u32 s8, s4, s8
	s_mov_b32 s24, s20
	s_mov_b32 s25, s20
	;; [unrolled: 1-line block ×3, first 2 shown]
	s_addc_u32 s9, s17, s9
	v_dual_mov_b32 v128, s27 :: v_dual_mov_b32 v127, s26
	v_dual_mov_b32 v126, s25 :: v_dual_mov_b32 v125, s24
	;; [unrolled: 1-line block ×3, first 2 shown]
	v_mov_b32_e32 v121, s20
	s_waitcnt lgkmcnt(0)
	s_mul_hi_i32 s13, s29, s5
	s_mul_i32 s12, s29, s5
	v_mov_b32_e32 v122, s21
	s_mul_hi_i32 s21, s30, s5
	s_mul_i32 s20, s30, s5
	s_mul_hi_i32 s25, s35, s5
	s_mul_i32 s24, s35, s5
	;; [unrolled: 2-line block ×3, first 2 shown]
	s_mul_i32 s36, s38, s5
	s_waitcnt vmcnt(1)
	v_mad_i64_i32 v[3:4], null, v7, s5, 0
	s_waitcnt vmcnt(0)
	v_mad_i64_i32 v[5:6], null, v8, s5, 0
	s_delay_alu instid0(VALU_DEP_2) | instskip(NEXT) | instid1(VALU_DEP_2)
	v_lshlrev_b64 v[3:4], 1, v[3:4]
	v_lshlrev_b64 v[1:2], 1, v[5:6]
	s_delay_alu instid0(VALU_DEP_2) | instskip(NEXT) | instid1(VALU_DEP_3)
	v_add_co_u32 v3, vcc_lo, s15, v3
	v_add_co_ci_u32_e32 v4, vcc_lo, s28, v4, vcc_lo
	s_delay_alu instid0(VALU_DEP_3) | instskip(NEXT) | instid1(VALU_DEP_4)
	v_add_co_u32 v1, vcc_lo, s15, v1
	v_add_co_ci_u32_e32 v2, vcc_lo, s28, v2, vcc_lo
	s_delay_alu instid0(VALU_DEP_4) | instskip(NEXT) | instid1(VALU_DEP_4)
	v_add_co_u32 v25, vcc_lo, v3, v73
	v_add_co_ci_u32_e32 v26, vcc_lo, v4, v74, vcc_lo
	s_delay_alu instid0(VALU_DEP_4) | instskip(NEXT) | instid1(VALU_DEP_4)
	v_add_co_u32 v27, vcc_lo, v1, v73
	v_add_co_ci_u32_e32 v28, vcc_lo, v2, v74, vcc_lo
	s_clause 0xf
	global_load_b128 v[1:4], v[25:26], off
	global_load_b128 v[5:8], v[25:26], off offset:512
	global_load_b128 v[9:12], v[27:28], off offset:256
	;; [unrolled: 1-line block ×15, first 2 shown]
	s_or_b32 s15, s16, 0xe0
	v_add_nc_u32_e32 v25, -12, v77
	s_ashr_i32 s22, s15, 5
	s_cmp_lt_i32 s15, s18
	v_cmp_gt_u32_e32 vcc_lo, 12, v77
	s_cselect_b32 s22, s22, s3
	s_delay_alu instid0(SALU_CYCLE_1) | instskip(NEXT) | instid1(SALU_CYCLE_1)
	s_ashr_i32 s23, s22, 31
	s_lshl_b64 s[22:23], s[22:23], 2
	v_cndmask_b32_e32 v25, v25, v77, vcc_lo
	s_add_u32 s22, s4, s22
	s_addc_u32 s23, s17, s23
	s_add_i32 s15, s16, 0x100
	s_delay_alu instid0(SALU_CYCLE_1)
	s_ashr_i32 s28, s15, 5
	s_cmp_lt_i32 s15, s18
	v_lshlrev_b32_e32 v151, 6, v25
	s_cselect_b32 s28, s28, s3
	ds_load_b128 v[25:28], v151
	ds_load_b128 v[29:32], v151 offset:1024
	s_ashr_i32 s29, s28, 31
	ds_load_b128 v[129:132], v151 offset:2048
	ds_load_b128 v[133:136], v151 offset:3072
	s_lshl_b64 s[28:29], s[28:29], 2
	s_load_b32 s15, s[8:9], 0x0
	s_add_u32 s28, s4, s28
	s_addc_u32 s29, s17, s29
	s_add_u32 s3, s10, s6
	s_clause 0x1
	s_load_b32 s4, s[22:23], 0x0
	s_load_b32 s17, s[28:29], 0x0
	s_addc_u32 s28, s11, s7
	v_add_co_u32 v152, s3, s3, v33
	s_delay_alu instid0(VALU_DEP_1) | instskip(SKIP_2) | instid1(VALU_DEP_2)
	v_add_co_ci_u32_e64 v153, null, s28, 0, s3
	s_lshl_b64 s[6:7], s[12:13], 1
	s_lshl_b64 s[10:11], s[20:21], 1
	v_add_co_u32 v33, vcc_lo, v152, s6
	s_delay_alu instid0(VALU_DEP_2)
	v_add_co_ci_u32_e32 v34, vcc_lo, s7, v153, vcc_lo
	v_add_co_u32 v35, vcc_lo, v152, s10
	s_lshl_b64 s[12:13], s[24:25], 1
	v_add_co_ci_u32_e32 v36, vcc_lo, s11, v153, vcc_lo
	v_add_co_u32 v37, vcc_lo, v152, s12
	s_lshl_b64 s[20:21], s[26:27], 1
	s_mul_hi_i32 s9, s37, s5
	s_mul_i32 s8, s37, s5
	v_add_co_ci_u32_e32 v38, vcc_lo, s13, v153, vcc_lo
	v_add_co_u32 v39, vcc_lo, v152, s20
	s_lshl_b64 s[8:9], s[8:9], 1
	s_mul_hi_i32 s37, s38, s5
	v_add_co_ci_u32_e32 v40, vcc_lo, s21, v153, vcc_lo
	v_add_co_u32 v145, vcc_lo, v152, s8
	s_lshl_b64 s[22:23], s[36:37], 1
	s_waitcnt lgkmcnt(0)
	s_mul_hi_i32 s25, s15, s5
	s_mul_i32 s24, s15, s5
	v_add_co_ci_u32_e32 v146, vcc_lo, s9, v153, vcc_lo
	v_add_co_u32 v147, vcc_lo, v152, s22
	s_lshl_b64 s[24:25], s[24:25], 1
	v_add_co_ci_u32_e32 v148, vcc_lo, s23, v153, vcc_lo
	s_mul_hi_i32 s7, s4, s5
	s_mul_i32 s6, s4, s5
	v_add_co_u32 v149, vcc_lo, v152, s24
	s_lshl_b64 s[6:7], s[6:7], 1
	v_add_co_ci_u32_e32 v150, vcc_lo, s25, v153, vcc_lo
	s_clause 0x7
	global_load_b128 v[65:68], v[33:34], off
	global_load_b128 v[69:72], v[33:34], off offset:16
	global_load_b128 v[57:60], v[35:36], off
	global_load_b128 v[61:64], v[35:36], off offset:16
	;; [unrolled: 2-line block ×4, first 2 shown]
	s_waitcnt vmcnt(22)
	v_wmma_f32_16x16x16_f16 v[137:144], v[1:8], v[25:32], v[121:128]
	s_waitcnt vmcnt(20)
	v_wmma_f32_16x16x16_f16 v[121:128], v[9:16], v[25:32], v[121:128]
	v_add_co_u32 v29, vcc_lo, v152, s6
	v_add_co_ci_u32_e32 v30, vcc_lo, s7, v153, vcc_lo
	s_mul_hi_i32 s7, s17, s5
	s_mul_i32 s6, s17, s5
	s_waitcnt vmcnt(18)
	v_wmma_f32_16x16x16_f16 v[137:144], v[17:24], v[129:136], v[137:144]
	s_lshl_b64 s[4:5], s[6:7], 1
	s_clause 0x1
	global_load_b128 v[9:12], v[145:146], off
	global_load_b128 v[13:16], v[145:146], off offset:16
	v_add_co_u32 v21, vcc_lo, v152, s4
	v_add_co_ci_u32_e32 v22, vcc_lo, s5, v153, vcc_lo
	s_clause 0x7
	global_load_b128 v[1:4], v[147:148], off
	global_load_b128 v[5:8], v[147:148], off offset:16
	global_load_b128 v[33:36], v[149:150], off
	global_load_b128 v[37:40], v[149:150], off offset:16
	;; [unrolled: 2-line block ×4, first 2 shown]
	s_waitcnt vmcnt(26)
	v_wmma_f32_16x16x16_f16 v[121:128], v[81:88], v[129:136], v[121:128]
	ds_load_b128 v[81:84], v151 offset:4096
	ds_load_b128 v[85:88], v151 offset:5120
	v_mbcnt_lo_u32_b32 v130, -1, 0
	s_delay_alu instid0(VALU_DEP_1) | instskip(NEXT) | instid1(VALU_DEP_1)
	v_xor_b32_e32 v131, 16, v130
	v_cmp_gt_i32_e32 vcc_lo, 32, v131
	v_cndmask_b32_e32 v130, v130, v131, vcc_lo
	s_waitcnt vmcnt(24) lgkmcnt(0)
	v_wmma_f32_16x16x16_f16 v[137:144], v[89:96], v[81:88], v[137:144]
	ds_load_b128 v[89:92], v151 offset:6144
	ds_load_b128 v[93:96], v151 offset:7168
	s_waitcnt vmcnt(22)
	v_wmma_f32_16x16x16_f16 v[121:128], v[97:104], v[81:88], v[121:128]
	s_waitcnt vmcnt(0) lgkmcnt(0)
	s_barrier
	buffer_gl0_inv
	v_wmma_f32_16x16x16_f16 v[137:144], v[105:112], v[89:96], v[137:144]
	v_and_b32_e32 v129, 0xe0, v0
	v_wmma_f32_16x16x16_f16 v[121:128], v[113:120], v[89:96], v[121:128]
	s_delay_alu instid0(VALU_DEP_3) | instskip(NEXT) | instid1(VALU_DEP_2)
	v_mul_f32_e32 v96, s19, v137
	v_dual_mul_f32 v104, s19, v126 :: v_dual_add_nc_u32 v129, s16, v129
	v_mul_f32_e32 v95, s19, v138
	v_dual_mul_f32 v93, s19, v140 :: v_dual_mul_f32 v94, s19, v139
	s_delay_alu instid0(VALU_DEP_3) | instskip(SKIP_3) | instid1(VALU_DEP_4)
	v_or_b32_e32 v129, v129, v75
	v_dual_mul_f32 v91, s19, v142 :: v_dual_mul_f32 v106, s19, v124
	v_dual_mul_f32 v92, s19, v141 :: v_dual_mul_f32 v89, s19, v144
	v_mul_f32_e32 v108, s19, v122
	v_or_b32_e32 v131, 2, v129
	v_or_b32_e32 v132, 4, v129
	;; [unrolled: 1-line block ×3, first 2 shown]
	v_cmp_gt_i32_e32 vcc_lo, s18, v129
	v_or_b32_e32 v82, 8, v129
	v_cmp_gt_i32_e64 s3, s18, v131
	v_or_b32_e32 v83, 10, v129
	v_cmp_gt_i32_e64 s4, s18, v132
	v_cndmask_b32_e32 v96, 0xff7fffff, v96, vcc_lo
	v_cmp_gt_i32_e64 s5, s18, v81
	v_cndmask_b32_e64 v95, 0xff7fffff, v95, s3
	v_or_b32_e32 v84, 12, v129
	v_or_b32_e32 v85, 14, v129
	v_cndmask_b32_e64 v94, 0xff7fffff, v94, s4
	v_cndmask_b32_e64 v81, 0xff7fffff, v93, s5
	v_max3_f32 v93, v96, 0xff7fffff, v95
	v_cmp_gt_i32_e64 s6, s18, v82
	v_cmp_gt_i32_e64 s7, s18, v83
	v_or_b32_e32 v86, 16, v129
	v_or_b32_e32 v87, 18, v129
	v_mul_f32_e32 v90, s19, v143
	v_cndmask_b32_e64 v82, 0xff7fffff, v92, s6
	v_cndmask_b32_e64 v83, 0xff7fffff, v91, s7
	v_max3_f32 v81, v93, v94, v81
	v_cmp_gt_i32_e64 s8, s18, v84
	v_cmp_gt_i32_e64 s9, s18, v85
	v_or_b32_e32 v88, 20, v129
	v_or_b32_e32 v97, 22, v129
	v_mul_f32_e32 v109, s19, v121
	;; [unrolled: 8-line block ×4, first 2 shown]
	v_cndmask_b32_e64 v84, 0xff7fffff, v107, s12
	v_cndmask_b32_e64 v85, 0xff7fffff, v106, s13
	v_max3_f32 v81, v81, v82, v83
	v_cmp_gt_i32_e64 s15, s18, v98
	v_cmp_gt_i32_e64 s16, s18, v99
	v_dual_mul_f32 v102, s19, v128 :: v_dual_mul_f32 v103, s19, v127
	s_delay_alu instid0(VALU_DEP_4) | instskip(NEXT) | instid1(VALU_DEP_4)
	v_max3_f32 v81, v81, v84, v85
	v_cndmask_b32_e64 v82, 0xff7fffff, v105, s15
	s_delay_alu instid0(VALU_DEP_4) | instskip(SKIP_2) | instid1(VALU_DEP_3)
	v_cndmask_b32_e64 v83, 0xff7fffff, v104, s16
	v_cmp_gt_i32_e64 s17, s18, v100
	v_cmp_gt_i32_e64 s18, s18, v101
	v_max3_f32 v81, v81, v82, v83
	s_delay_alu instid0(VALU_DEP_3) | instskip(NEXT) | instid1(VALU_DEP_3)
	v_cndmask_b32_e64 v84, 0xff7fffff, v103, s17
	v_cndmask_b32_e64 v85, 0xff7fffff, v102, s18
	v_lshlrev_b32_e32 v83, 2, v130
	s_delay_alu instid0(VALU_DEP_2) | instskip(SKIP_3) | instid1(VALU_DEP_1)
	v_max3_f32 v81, v81, v84, v85
	ds_bpermute_b32 v82, v83, v81
	s_waitcnt lgkmcnt(0)
	v_max_f32_e32 v82, v82, v82
	v_max_f32_e32 v81, v81, v82
	s_delay_alu instid0(VALU_DEP_1) | instskip(SKIP_2) | instid1(VALU_DEP_3)
	v_fma_f32 v82, s19, v137, -v81
	v_fma_f32 v84, s19, v138, -v81
	;; [unrolled: 1-line block ×3, first 2 shown]
	v_mul_f32_e32 v82, 0x3fb8aa3b, v82
	s_delay_alu instid0(VALU_DEP_2) | instskip(NEXT) | instid1(VALU_DEP_2)
	v_dual_mul_f32 v84, 0x3fb8aa3b, v84 :: v_dual_mul_f32 v89, 0x3fb8aa3b, v87
	v_exp_f32_e32 v82, v82
	s_delay_alu instid0(VALU_DEP_1) | instskip(NEXT) | instid1(VALU_DEP_1)
	v_exp_f32_e32 v84, v84
	v_exp_f32_e32 v92, v89
	s_delay_alu instid0(TRANS32_DEP_3)
	v_cndmask_b32_e32 v88, 0, v82, vcc_lo
	s_waitcnt_depctr 0xfff
	v_cndmask_b32_e64 v87, 0, v84, s3
	v_cndmask_b32_e64 v92, 0, v92, s6
	s_mov_b32 s3, exec_lo
	v_add_f32_e32 v84, 0, v88
	s_delay_alu instid0(VALU_DEP_1)
	v_add_f32_e32 v84, v84, v87
	v_fma_f32 v85, s19, v139, -v81
	v_fma_f32 v86, s19, v140, -v81
	;; [unrolled: 1-line block ×5, first 2 shown]
	s_delay_alu instid0(VALU_DEP_4) | instskip(NEXT) | instid1(VALU_DEP_4)
	v_dual_mul_f32 v85, 0x3fb8aa3b, v85 :: v_dual_mul_f32 v86, 0x3fb8aa3b, v86
	v_mul_f32_e32 v82, 0x3fb8aa3b, v82
	v_fma_f32 v96, s19, v124, -v81
	v_fma_f32 v99, s19, v127, -v81
	s_delay_alu instid0(VALU_DEP_4) | instskip(SKIP_3) | instid1(VALU_DEP_1)
	v_exp_f32_e32 v85, v85
	v_exp_f32_e32 v86, v86
	;; [unrolled: 1-line block ×3, first 2 shown]
	v_mul_f32_e32 v97, 0x3fb8aa3b, v96
	v_exp_f32_e32 v97, v97
	v_cndmask_b32_e64 v90, 0, v85, s4
	v_fma_f32 v85, s19, v144, -v81
	s_delay_alu instid0(TRANS32_DEP_3) | instskip(SKIP_1) | instid1(VALU_DEP_4)
	v_cndmask_b32_e64 v89, 0, v86, s5
	v_fma_f32 v86, s19, v121, -v81
	v_dual_add_f32 v84, v84, v90 :: v_dual_mul_f32 v91, 0x3fb8aa3b, v91
	s_delay_alu instid0(VALU_DEP_2) | instskip(NEXT) | instid1(TRANS32_DEP_1)
	v_mul_f32_e32 v86, 0x3fb8aa3b, v86
	v_cndmask_b32_e64 v97, 0, v97, s13
	s_delay_alu instid0(VALU_DEP_3)
	v_add_f32_e32 v84, v84, v89
	v_mul_f32_e32 v85, 0x3fb8aa3b, v85
	v_exp_f32_e32 v93, v91
	v_cndmask_b32_e64 v91, 0, v82, s7
	v_exp_f32_e32 v86, v86
	v_add_f32_e32 v82, v84, v92
	v_exp_f32_e32 v85, v85
	v_fma_f32 v84, s19, v123, -v81
	s_delay_alu instid0(VALU_DEP_2) | instskip(NEXT) | instid1(TRANS32_DEP_3)
	v_dual_mul_f32 v95, 0x3fb8aa3b, v94 :: v_dual_add_f32 v82, v82, v91
	v_cndmask_b32_e64 v94, 0, v93, s8
	s_delay_alu instid0(VALU_DEP_2) | instskip(NEXT) | instid1(TRANS32_DEP_3)
	v_exp_f32_e32 v95, v95
	v_cndmask_b32_e64 v96, 0, v86, s10
	v_fma_f32 v86, s19, v126, -v81
	s_delay_alu instid0(TRANS32_DEP_2) | instskip(SKIP_3) | instid1(VALU_DEP_3)
	v_cndmask_b32_e64 v93, 0, v85, s9
	v_fma_f32 v85, s19, v125, -v81
	v_mul_f32_e32 v84, 0x3fb8aa3b, v84
	v_add_f32_e32 v82, v82, v94
	v_dual_mul_f32 v86, 0x3fb8aa3b, v86 :: v_dual_mul_f32 v85, 0x3fb8aa3b, v85
	s_delay_alu instid0(VALU_DEP_3) | instskip(NEXT) | instid1(TRANS32_DEP_2)
	v_exp_f32_e32 v84, v84
	v_cndmask_b32_e64 v95, 0, v95, s11
	s_delay_alu instid0(VALU_DEP_2) | instskip(NEXT) | instid1(VALU_DEP_2)
	v_exp_f32_e32 v86, v86
	v_exp_f32_e32 v85, v85
	s_delay_alu instid0(TRANS32_DEP_3)
	v_cndmask_b32_e64 v98, 0, v84, s12
	v_mul_f32_e32 v84, 0x3fb8aa3b, v99
	v_fma_f32 v99, s19, v128, -v81
	v_add_f32_e32 v82, v82, v93
	s_waitcnt_depctr 0xfff
	v_cndmask_b32_e64 v100, 0, v85, s15
	v_exp_f32_e32 v84, v84
	v_dual_mul_f32 v85, 0x3fb8aa3b, v99 :: v_dual_add_f32 v82, v82, v96
	v_cndmask_b32_e64 v99, 0, v86, s16
	s_delay_alu instid0(VALU_DEP_2) | instskip(NEXT) | instid1(VALU_DEP_2)
	v_exp_f32_e32 v85, v85
	v_add_f32_e32 v82, v82, v95
	s_waitcnt_depctr 0xfff
	v_cndmask_b32_e64 v102, 0, v84, s17
	v_add_f32_e32 v82, v82, v98
	v_cndmask_b32_e64 v101, 0, v85, s18
	s_delay_alu instid0(VALU_DEP_2) | instskip(NEXT) | instid1(VALU_DEP_1)
	v_add_f32_e32 v82, v82, v97
	v_add_f32_e32 v82, v82, v100
	s_delay_alu instid0(VALU_DEP_1) | instskip(NEXT) | instid1(VALU_DEP_1)
	v_add_f32_e32 v82, v82, v99
	v_add_f32_e32 v82, v82, v102
	s_delay_alu instid0(VALU_DEP_1)
	v_add_f32_e32 v82, v82, v101
	ds_bpermute_b32 v83, v83, v82
	v_cmpx_gt_u32_e32 16, v80
	s_cbranch_execz .LBB165_14
; %bb.13:
	v_mul_u32_u24_e32 v80, 0x44, v79
	s_waitcnt lgkmcnt(0)
	v_add_f32_e32 v82, v82, v83
	s_delay_alu instid0(VALU_DEP_2) | instskip(NEXT) | instid1(VALU_DEP_1)
	v_lshl_add_u32 v80, v77, 2, v80
	v_add_nc_u32_e32 v80, 0x4000, v80
	ds_store_2addr_b32 v80, v81, v82 offset1:136
.LBB165_14:
	s_or_b32 exec_lo, exec_lo, s3
	v_lshlrev_b32_e32 v80, 2, v77
	s_load_b32 s35, s[0:1], 0x94
	s_waitcnt lgkmcnt(0)
	s_barrier
	buffer_gl0_inv
	v_add_nc_u32_e32 v84, 0x4000, v80
	v_cmp_eq_u32_e32 vcc_lo, 1, v79
	v_cmp_eq_u32_e64 s3, 2, v79
	v_cmp_eq_u32_e64 s4, 3, v79
	;; [unrolled: 1-line block ×3, first 2 shown]
	ds_load_2addr_b32 v[80:81], v84 offset1:17
	ds_load_2addr_b32 v[82:83], v84 offset0:34 offset1:51
	ds_load_2addr_b32 v[103:104], v84 offset0:68 offset1:85
	;; [unrolled: 1-line block ×3, first 2 shown]
	v_cmp_eq_u32_e64 s6, 7, v79
	s_waitcnt lgkmcnt(3)
	v_max3_f32 v85, v80, 0xff7fffff, v81
	s_waitcnt lgkmcnt(2)
	s_delay_alu instid0(VALU_DEP_1) | instskip(SKIP_1) | instid1(VALU_DEP_1)
	v_max3_f32 v85, v85, v82, v83
	s_waitcnt lgkmcnt(1)
	v_max3_f32 v85, v85, v103, v104
	s_waitcnt lgkmcnt(0)
	s_delay_alu instid0(VALU_DEP_1) | instskip(NEXT) | instid1(VALU_DEP_1)
	v_max3_f32 v85, v85, v105, v106
	v_sub_f32_e32 v103, v103, v85
	ds_load_2addr_b32 v[107:108], v84 offset0:136 offset1:153
	v_sub_f32_e32 v80, v80, v85
	v_dual_sub_f32 v110, v83, v85 :: v_dual_mul_f32 v113, 0x3fb8aa3b, v103
	s_delay_alu instid0(VALU_DEP_2) | instskip(SKIP_3) | instid1(VALU_DEP_1)
	v_dual_sub_f32 v86, v81, v85 :: v_dual_mul_f32 v109, 0x3fb8aa3b, v80
	ds_load_2addr_b32 v[80:81], v84 offset0:170 offset1:187
	v_mul_f32_e32 v86, 0x3fb8aa3b, v86
	v_exp_f32_e32 v109, v109
	v_exp_f32_e32 v112, v86
	v_mul_f32_e32 v110, 0x3fb8aa3b, v110
	s_waitcnt lgkmcnt(1)
	s_waitcnt_depctr 0xfff
	v_fma_f32 v86, v109, v107, 0
	v_sub_f32_e32 v107, v104, v85
	v_sub_f32_e32 v82, v82, v85
	v_exp_f32_e32 v110, v110
	ds_load_2addr_b32 v[103:104], v84 offset0:238 offset1:255
	v_dual_fmac_f32 v86, v112, v108 :: v_dual_mul_f32 v111, 0x3fb8aa3b, v82
	ds_load_2addr_b32 v[82:83], v84 offset0:204 offset1:221
	v_dual_sub_f32 v84, v105, v85 :: v_dual_mul_f32 v105, 0x3fb8aa3b, v107
	v_exp_f32_e32 v107, v113
	v_exp_f32_e32 v111, v111
	s_waitcnt lgkmcnt(0)
	s_delay_alu instid0(VALU_DEP_1)
	v_mul_f32_e32 v84, 0x3fb8aa3b, v84
	v_exp_f32_e32 v105, v105
	s_barrier
	buffer_gl0_inv
	v_fmac_f32_e32 v86, v111, v80
	v_sub_f32_e32 v80, v106, v85
	v_exp_f32_e32 v106, v84
	s_delay_alu instid0(VALU_DEP_2) | instskip(NEXT) | instid1(VALU_DEP_2)
	v_fmac_f32_e32 v86, v110, v81
	v_mul_f32_e32 v80, 0x3fb8aa3b, v80
	s_delay_alu instid0(VALU_DEP_2) | instskip(NEXT) | instid1(VALU_DEP_2)
	v_dual_cndmask_b32 v81, v109, v112 :: v_dual_fmac_f32 v86, v107, v82
	v_exp_f32_e32 v108, v80
	s_delay_alu instid0(VALU_DEP_1) | instskip(SKIP_2) | instid1(VALU_DEP_1)
	v_fmac_f32_e32 v86, v105, v83
	s_waitcnt_depctr 0xfff
	v_fmac_f32_e32 v86, v106, v103
	v_fmac_f32_e32 v86, v108, v104
	s_delay_alu instid0(VALU_DEP_1) | instskip(NEXT) | instid1(VALU_DEP_1)
	v_add_f32_e32 v103, 0x358637bd, v86
	v_div_scale_f32 v104, null, v103, v103, 1.0
	v_div_scale_f32 v109, vcc_lo, 1.0, v103, 1.0
	s_delay_alu instid0(VALU_DEP_2) | instskip(SKIP_2) | instid1(VALU_DEP_1)
	v_rcp_f32_e32 v113, v104
	s_waitcnt_depctr 0xfff
	v_fma_f32 v80, -v104, v113, 1.0
	v_fmac_f32_e32 v113, v80, v113
	v_cndmask_b32_e64 v80, v81, v111, s3
	v_cmp_eq_u32_e64 s3, 4, v79
	v_lshl_or_b32 v81, v79, 11, v78
	s_delay_alu instid0(VALU_DEP_4) | instskip(NEXT) | instid1(VALU_DEP_4)
	v_mul_f32_e32 v111, v109, v113
	v_cndmask_b32_e64 v82, v80, v110, s4
	v_cmp_eq_u32_e64 s4, 6, v79
	s_delay_alu instid0(VALU_DEP_4) | instskip(SKIP_3) | instid1(VALU_DEP_3)
	v_lshl_or_b32 v79, v75, 4, v81
	v_lshlrev_b32_e32 v80, 2, v75
	v_fma_f32 v83, -v104, v111, v109
	v_cndmask_b32_e64 v84, v82, v107, s3
	v_or_b32_e32 v82, 1, v80
	s_delay_alu instid0(VALU_DEP_3) | instskip(NEXT) | instid1(VALU_DEP_3)
	v_fmac_f32_e32 v111, v83, v113
	v_cndmask_b32_e64 v105, v84, v105, s5
	v_or_b32_e32 v84, 2, v80
	v_or_b32_e32 v83, 3, v80
	v_cmp_eq_u32_e64 s3, 1, v80
	v_fma_f32 v104, -v104, v111, v109
	v_cndmask_b32_e64 v105, v105, v106, s4
	v_cmp_eq_u32_e64 s9, 1, v82
	v_cmp_eq_u32_e64 s10, 1, v84
	;; [unrolled: 1-line block ×3, first 2 shown]
	v_div_fmas_f32 v104, v104, v113, v111
	v_cndmask_b32_e64 v105, v105, v108, s6
	v_cmp_eq_u32_e32 vcc_lo, 2, v80
	v_cmp_eq_u32_e64 s12, 2, v82
	v_cmp_eq_u32_e64 s15, 2, v84
	v_div_fixup_f32 v103, v104, v103, 1.0
	v_cmp_eq_u32_e64 s16, 2, v83
	v_cmp_eq_u32_e64 s18, 3, v83
	;; [unrolled: 1-line block ×4, first 2 shown]
	v_mul_f32_e32 v111, v105, v103
	v_cmp_eq_u32_e64 s17, 3, v84
	v_cmp_eq_u32_e64 s22, 4, v83
	;; [unrolled: 1-line block ×4, first 2 shown]
	v_fma_mixlo_f16 v103, v111, v88, 0
	v_fma_mixlo_f16 v104, v111, v90, 0
	;; [unrolled: 1-line block ×8, first 2 shown]
	v_fma_mixhi_f16 v103, v111, v87, 0
	v_fma_mixhi_f16 v104, v111, v89, 0
	;; [unrolled: 1-line block ×8, first 2 shown]
	ds_store_b128 v79, v[103:106]
	ds_store_b128 v79, v[107:110] offset:1024
	s_waitcnt lgkmcnt(0)
	s_barrier
	buffer_gl0_inv
	ds_load_b128 v[87:90], v81
	ds_load_b128 v[91:94], v81 offset:16
	ds_load_b128 v[95:98], v81 offset:1024
	;; [unrolled: 1-line block ×3, first 2 shown]
	v_cmp_eq_u32_e64 s21, 4, v84
	v_cmp_eq_u32_e64 s24, 5, v83
	;; [unrolled: 1-line block ×13, first 2 shown]
	s_waitcnt lgkmcnt(3)
	v_lshrrev_b32_e32 v103, 16, v87
	s_waitcnt lgkmcnt(2)
	v_lshrrev_b32_e32 v107, 16, v91
	;; [unrolled: 2-line block ×4, first 2 shown]
	v_lshrrev_b32_e32 v104, 16, v88
	v_cndmask_b32_e64 v119, v87, v103, s3
	v_cndmask_b32_e64 v120, v91, v107, s3
	v_cndmask_b32_e64 v121, v87, v103, s9
	v_cndmask_b32_e64 v122, v91, v107, s9
	v_cndmask_b32_e64 v123, v87, v103, s10
	v_cndmask_b32_e64 v124, v91, v107, s10
	v_cndmask_b32_e64 v87, v87, v103, s11
	v_cndmask_b32_e64 v91, v91, v107, s11
	v_lshrrev_b32_e32 v108, 16, v92
	v_cndmask_b32_e64 v103, v95, v111, s3
	v_cndmask_b32_e64 v107, v99, v115, s3
	;; [unrolled: 1-line block ×5, first 2 shown]
	v_cndmask_b32_e32 v111, v119, v88, vcc_lo
	v_cndmask_b32_e64 v119, v121, v88, s12
	v_cndmask_b32_e64 v121, v123, v88, s15
	;; [unrolled: 1-line block ×4, first 2 shown]
	v_lshrrev_b32_e32 v112, 16, v96
	v_lshrrev_b32_e32 v116, 16, v100
	v_cndmask_b32_e64 v126, v99, v115, s9
	v_cndmask_b32_e64 v128, v99, v115, s10
	;; [unrolled: 1-line block ×3, first 2 shown]
	v_cndmask_b32_e32 v115, v120, v92, vcc_lo
	v_cndmask_b32_e64 v120, v122, v92, s12
	v_cndmask_b32_e64 v122, v124, v92, s15
	v_cndmask_b32_e32 v91, v103, v96, vcc_lo
	v_cndmask_b32_e32 v92, v107, v100, vcc_lo
	v_cndmask_b32_e64 v103, v125, v96, s12
	v_cndmask_b32_e64 v87, v87, v104, s18
	;; [unrolled: 1-line block ×3, first 2 shown]
	v_lshrrev_b32_e32 v105, 16, v89
	v_lshrrev_b32_e32 v109, 16, v93
	v_cndmask_b32_e64 v107, v127, v96, s15
	v_cndmask_b32_e64 v95, v95, v96, s16
	;; [unrolled: 1-line block ×14, first 2 shown]
	v_lshrrev_b32_e32 v113, 16, v97
	v_cndmask_b32_e64 v99, v99, v89, s5
	v_cndmask_b32_e64 v104, v111, v93, s5
	;; [unrolled: 1-line block ×11, first 2 shown]
	v_lshrrev_b32_e32 v106, 16, v90
	v_lshrrev_b32_e32 v110, 16, v94
	v_cndmask_b32_e64 v93, v99, v105, s6
	v_cndmask_b32_e64 v99, v104, v109, s6
	;; [unrolled: 1-line block ×9, first 2 shown]
	v_lshrrev_b32_e32 v114, 16, v98
	v_cndmask_b32_e64 v89, v89, v113, s6
	v_cndmask_b32_e64 v93, v93, v90, s7
	;; [unrolled: 1-line block ×19, first 2 shown]
	v_perm_b32 v90, v88, v87, 0x5040100
	v_cndmask_b32_e64 v87, v126, v100, s12
	v_cndmask_b32_e64 v105, v89, v114, s8
	v_perm_b32 v89, v103, v99, 0x5040100
	v_perm_b32 v88, v104, v94, 0x5040100
	v_cndmask_b32_e64 v94, v107, v112, s17
	v_cndmask_b32_e64 v95, v95, v112, s18
	v_cndmask_b32_e64 v96, v96, v116, s18
	v_cndmask_b32_e64 v99, v123, v116, s17
	v_cndmask_b32_e64 v87, v87, v116, s13
	v_lshrrev_b32_e32 v117, 16, v101
	v_cndmask_b32_e64 v94, v94, v97, s21
	v_cndmask_b32_e64 v95, v95, v97, s22
	;; [unrolled: 1-line block ×11, first 2 shown]
	v_lshrrev_b32_e32 v118, 16, v102
	v_cndmask_b32_e64 v91, v91, v102, s7
	v_cndmask_b32_e64 v94, v94, v98, s26
	;; [unrolled: 1-line block ×12, first 2 shown]
	v_perm_b32 v87, v93, v92, 0x5040100
	v_perm_b32 v94, v95, v94, 0x5040100
	;; [unrolled: 1-line block ×5, first 2 shown]
	s_mul_i32 s7, s33, 12
	s_mov_b32 s3, exec_lo
	ds_store_b128 v79, v[87:90]
	ds_store_b128 v79, v[91:94] offset:1024
	v_cmpx_gt_u32_e32 12, v0
	s_cbranch_execz .LBB165_16
; %bb.15:
	s_mul_i32 s4, s7, s34
	s_load_b128 s[8:11], s[0:1], 0x58
	v_add3_u32 v77, s4, s31, v77
	s_delay_alu instid0(VALU_DEP_1) | instskip(NEXT) | instid1(VALU_DEP_1)
	v_mad_u64_u32 v[87:88], null, v77, s35, s[14:15]
	v_ashrrev_i32_e32 v88, 31, v87
	s_delay_alu instid0(VALU_DEP_1) | instskip(SKIP_1) | instid1(VALU_DEP_1)
	v_lshlrev_b64 v[87:88], 2, v[87:88]
	s_waitcnt lgkmcnt(0)
	v_add_co_u32 v89, vcc_lo, s10, v87
	s_delay_alu instid0(VALU_DEP_2)
	v_add_co_ci_u32_e32 v90, vcc_lo, s11, v88, vcc_lo
	v_add_co_u32 v87, vcc_lo, s8, v87
	v_add_co_ci_u32_e32 v88, vcc_lo, s9, v88, vcc_lo
	global_store_b32 v[89:90], v85, off
	global_store_b32 v[87:88], v86, off
.LBB165_16:
	s_or_b32 exec_lo, exec_lo, s3
	s_waitcnt lgkmcnt(0)
	s_waitcnt_vscnt null, 0x0
	s_barrier
	buffer_gl0_inv
	ds_load_b128 v[93:96], v78
	ds_load_b128 v[97:100], v78 offset:16
	ds_load_b128 v[105:108], v78 offset:1040
	;; [unrolled: 1-line block ×5, first 2 shown]
	v_cmp_eq_u32_e32 vcc_lo, 1, v84
	v_mov_b32_e32 v85, 0
	ds_load_b128 v[121:124], v78 offset:3088
	ds_load_b128 v[117:120], v78 offset:3072
	;; [unrolled: 1-line block ×4, first 2 shown]
	v_cmp_eq_u32_e64 s3, 1, v80
	v_cmp_eq_u32_e64 s4, 1, v83
	;; [unrolled: 1-line block ×3, first 2 shown]
	v_mov_b32_e32 v86, v85
	v_mov_b32_e32 v87, v85
	;; [unrolled: 1-line block ×7, first 2 shown]
	v_cmp_eq_u32_e64 s6, 2, v80
	s_waitcnt lgkmcnt(8)
	s_delay_alu instid0(VALU_DEP_2)
	v_wmma_f32_16x16x16_f16 v[85:92], v[65:72], v[93:100], v[85:92]
	ds_load_b128 v[69:72], v78 offset:5136
	ds_load_b128 v[65:68], v78 offset:5120
	ds_load_b128 v[97:100], v78 offset:6160
	ds_load_b128 v[93:96], v78 offset:6144
	s_waitcnt lgkmcnt(10)
	v_wmma_f32_16x16x16_f16 v[85:92], v[57:64], v[101:108], v[85:92]
	s_waitcnt lgkmcnt(8)
	s_delay_alu instid0(VALU_DEP_1)
	v_wmma_f32_16x16x16_f16 v[85:92], v[57:64], v[109:116], v[85:92]
	ds_load_b128 v[61:64], v78 offset:7184
	ds_load_b128 v[57:60], v78 offset:7168
	;; [unrolled: 1-line block ×4, first 2 shown]
	s_waitcnt lgkmcnt(10)
	v_wmma_f32_16x16x16_f16 v[85:92], v[49:56], v[117:124], v[85:92]
	s_waitcnt lgkmcnt(8)
	s_delay_alu instid0(VALU_DEP_1)
	v_wmma_f32_16x16x16_f16 v[85:92], v[49:56], v[125:132], v[85:92]
	ds_load_b128 v[53:56], v78 offset:9232
	ds_load_b128 v[49:52], v78 offset:9216
	s_waitcnt lgkmcnt(8)
	v_wmma_f32_16x16x16_f16 v[85:92], v[41:48], v[65:72], v[85:92]
	ds_load_b128 v[69:72], v78 offset:10256
	ds_load_b128 v[65:68], v78 offset:10240
	s_waitcnt lgkmcnt(8)
	;; [unrolled: 4-line block ×7, first 2 shown]
	s_barrier
	buffer_gl0_inv
	v_wmma_f32_16x16x16_f16 v[85:92], v[33:40], v[41:48], v[85:92]
	s_delay_alu instid0(VALU_DEP_1) | instskip(NEXT) | instid1(VALU_DEP_1)
	v_wmma_f32_16x16x16_f16 v[85:92], v[33:40], v[57:64], v[85:92]
	v_wmma_f32_16x16x16_f16 v[85:92], v[25:32], v[9:16], v[85:92]
	s_delay_alu instid0(VALU_DEP_1) | instskip(NEXT) | instid1(VALU_DEP_1)
	v_wmma_f32_16x16x16_f16 v[85:92], v[25:32], v[49:56], v[85:92]
	v_wmma_f32_16x16x16_f16 v[85:92], v[17:24], v[1:8], v[85:92]
	s_delay_alu instid0(VALU_DEP_1) | instskip(NEXT) | instid1(VALU_DEP_2)
	v_cvt_f16_f32_e32 v1, v85
	v_cvt_f16_f32_e32 v2, v86
	s_delay_alu instid0(VALU_DEP_3) | instskip(NEXT) | instid1(VALU_DEP_4)
	v_cvt_f16_f32_e32 v3, v87
	v_cvt_f16_f32_e32 v4, v88
	;; [unrolled: 1-line block ×6, first 2 shown]
	v_pack_b32_f16 v1, v1, v2
	v_pack_b32_f16 v2, v3, v4
	;; [unrolled: 1-line block ×3, first 2 shown]
	s_delay_alu instid0(VALU_DEP_4)
	v_pack_b32_f16 v4, v7, v8
	ds_store_b128 v79, v[1:4]
	s_waitcnt lgkmcnt(0)
	s_barrier
	buffer_gl0_inv
	ds_load_b128 v[1:4], v81
	ds_load_b128 v[5:8], v81 offset:16
	s_waitcnt lgkmcnt(1)
	v_lshrrev_b32_e32 v9, 16, v1
	s_waitcnt lgkmcnt(0)
	v_lshrrev_b32_e32 v13, 16, v5
	v_lshrrev_b32_e32 v15, 16, v7
	;; [unrolled: 1-line block ×4, first 2 shown]
	v_cndmask_b32_e64 v17, v1, v9, s3
	v_cndmask_b32_e64 v18, v5, v13, s3
	v_cndmask_b32_e64 v19, v1, v9, s5
	v_cmp_eq_u32_e64 s3, 2, v82
	v_cndmask_b32_e64 v20, v5, v13, s5
	v_cndmask_b32_e32 v21, v1, v9, vcc_lo
	v_cndmask_b32_e32 v22, v5, v13, vcc_lo
	v_cndmask_b32_e64 v1, v1, v9, s4
	v_cndmask_b32_e64 v5, v5, v13, s4
	v_cmp_eq_u32_e32 vcc_lo, 2, v84
	v_cmp_eq_u32_e64 s4, 2, v83
	v_cndmask_b32_e64 v9, v17, v2, s6
	v_cndmask_b32_e64 v13, v18, v6, s6
	;; [unrolled: 1-line block ×4, first 2 shown]
	v_cndmask_b32_e32 v19, v21, v2, vcc_lo
	v_cmp_eq_u32_e64 s3, 3, v84
	v_cndmask_b32_e32 v20, v22, v6, vcc_lo
	v_cndmask_b32_e64 v1, v1, v2, s4
	v_cmp_eq_u32_e32 vcc_lo, 3, v83
	v_cmp_eq_u32_e64 s5, 3, v80
	v_cndmask_b32_e64 v2, v5, v6, s4
	v_cmp_eq_u32_e64 s4, 3, v82
	v_lshrrev_b32_e32 v16, 16, v8
	v_cmp_eq_u32_e64 s6, 4, v80
	v_cndmask_b32_e64 v5, v9, v10, s5
	v_cndmask_b32_e64 v6, v13, v14, s5
	;; [unrolled: 1-line block ×3, first 2 shown]
	v_cmp_eq_u32_e64 s5, 4, v82
	v_cndmask_b32_e64 v13, v18, v14, s4
	v_cndmask_b32_e64 v17, v19, v10, s3
	;; [unrolled: 1-line block ×3, first 2 shown]
	v_cndmask_b32_e32 v1, v1, v10, vcc_lo
	v_cndmask_b32_e32 v2, v2, v14, vcc_lo
	v_cmp_eq_u32_e32 vcc_lo, 4, v84
	v_cmp_eq_u32_e64 s4, 4, v83
	v_lshrrev_b32_e32 v11, 16, v3
	v_cndmask_b32_e64 v5, v5, v3, s6
	v_cndmask_b32_e64 v6, v6, v7, s6
	;; [unrolled: 1-line block ×4, first 2 shown]
	v_cndmask_b32_e32 v13, v17, v3, vcc_lo
	v_cmp_eq_u32_e64 s3, 5, v84
	v_cndmask_b32_e32 v14, v18, v7, vcc_lo
	v_cndmask_b32_e64 v1, v1, v3, s4
	v_cmp_eq_u32_e32 vcc_lo, 5, v83
	v_cmp_eq_u32_e64 s5, 5, v80
	v_cndmask_b32_e64 v2, v2, v7, s4
	v_cmp_eq_u32_e64 s4, 5, v82
	v_cmp_eq_u32_e64 s6, 6, v80
	v_cndmask_b32_e32 v1, v1, v11, vcc_lo
	v_cndmask_b32_e64 v3, v5, v11, s5
	v_cndmask_b32_e64 v5, v6, v15, s5
	;; [unrolled: 1-line block ×3, first 2 shown]
	v_cmp_eq_u32_e64 s5, 6, v82
	v_cndmask_b32_e64 v7, v10, v15, s4
	v_cndmask_b32_e64 v9, v13, v11, s3
	;; [unrolled: 1-line block ×3, first 2 shown]
	v_cndmask_b32_e32 v2, v2, v15, vcc_lo
	v_cmp_eq_u32_e32 vcc_lo, 6, v84
	v_cmp_eq_u32_e64 s3, 6, v83
	v_lshrrev_b32_e32 v12, 16, v4
	v_cndmask_b32_e64 v3, v3, v4, s6
	v_cndmask_b32_e64 v5, v5, v8, s6
	;; [unrolled: 1-line block ×4, first 2 shown]
	v_cndmask_b32_e32 v9, v9, v4, vcc_lo
	v_cmp_eq_u32_e64 s4, 7, v84
	v_cndmask_b32_e32 v10, v10, v8, vcc_lo
	v_cndmask_b32_e64 v1, v1, v4, s3
	v_cmp_eq_u32_e32 vcc_lo, 7, v83
	v_cndmask_b32_e64 v2, v2, v8, s3
	v_cmp_eq_u32_e64 s3, 7, v80
	v_cmp_eq_u32_e64 s5, 7, v82
	v_cndmask_b32_e32 v1, v1, v12, vcc_lo
	s_delay_alu instid0(VALU_DEP_4) | instskip(NEXT) | instid1(VALU_DEP_4)
	v_cndmask_b32_e32 v2, v2, v16, vcc_lo
	v_cndmask_b32_e64 v8, v3, v12, s3
	s_delay_alu instid0(VALU_DEP_4)
	v_cndmask_b32_e64 v6, v6, v12, s5
	v_cndmask_b32_e64 v3, v9, v12, s4
	;; [unrolled: 1-line block ×5, first 2 shown]
	v_cmp_gt_u32_e32 vcc_lo, 32, v0
	v_perm_b32 v4, v2, v1, 0x5040100
	v_perm_b32 v3, v9, v3, 0x5040100
	;; [unrolled: 1-line block ×4, first 2 shown]
	s_and_b32 s2, vcc_lo, s2
	ds_store_b128 v79, v[1:4]
	s_waitcnt lgkmcnt(0)
	s_barrier
	buffer_gl0_inv
	s_and_saveexec_b32 s3, s2
	s_cbranch_execz .LBB165_2
; %bb.17:
	s_load_b64 s[0:1], s[0:1], 0x68
	v_lshlrev_b32_e32 v0, 10, v0
	s_lshl_b32 s4, s35, 6
	v_or_b32_e32 v3, s31, v75
	s_mul_i32 s2, s4, s34
	v_lshlrev_b32_e32 v1, 4, v76
	s_mul_i32 s2, s2, s7
	v_lshlrev_b32_e32 v2, 6, v75
	v_and_b32_e32 v0, 0x3800, v0
	s_ashr_i32 s3, s2, 31
	v_mul_lo_u32 v4, v3, s4
	s_lshl_b64 s[2:3], s[2:3], 1
	s_delay_alu instid0(VALU_DEP_2) | instskip(NEXT) | instid1(VALU_DEP_2)
	v_or3_b32 v16, v0, v1, v2
	v_ashrrev_i32_e32 v5, 31, v4
	ds_load_b128 v[0:3], v16
	s_waitcnt lgkmcnt(0)
	s_add_u32 s2, s0, s2
	s_addc_u32 s3, s1, s3
	s_lshl_b32 s0, s14, 6
	v_lshlrev_b64 v[5:6], 1, v[4:5]
	s_ashr_i32 s1, s0, 31
	s_delay_alu instid0(SALU_CYCLE_1) | instskip(NEXT) | instid1(SALU_CYCLE_1)
	s_lshl_b64 s[0:1], s[0:1], 1
	s_add_u32 s0, s2, s0
	s_addc_u32 s1, s3, s1
	s_lshl_b32 s2, s35, 7
	v_add_co_u32 v30, vcc_lo, s0, v73
	v_add_nc_u32_e32 v8, s2, v4
	v_add_co_ci_u32_e32 v31, vcc_lo, s1, v74, vcc_lo
	s_delay_alu instid0(VALU_DEP_3) | instskip(NEXT) | instid1(VALU_DEP_3)
	v_add_co_u32 v12, vcc_lo, v30, v5
	v_add_nc_u32_e32 v10, s2, v8
	v_ashrrev_i32_e32 v9, 31, v8
	s_delay_alu instid0(VALU_DEP_4)
	v_add_co_ci_u32_e32 v13, vcc_lo, v31, v6, vcc_lo
	ds_load_b128 v[4:7], v16 offset:128
	v_ashrrev_i32_e32 v11, 31, v10
	v_lshlrev_b64 v[8:9], 1, v[8:9]
	v_add_nc_u32_e32 v14, s2, v10
	global_store_b128 v[12:13], v[0:3], off
	v_lshlrev_b64 v[0:1], 1, v[10:11]
	v_ashrrev_i32_e32 v15, 31, v14
	v_add_co_u32 v22, vcc_lo, v30, v8
	v_add_nc_u32_e32 v20, s2, v14
	v_add_co_ci_u32_e32 v23, vcc_lo, v31, v9, vcc_lo
	v_add_co_u32 v26, vcc_lo, v30, v0
	v_lshlrev_b64 v[24:25], 1, v[14:15]
	v_add_co_ci_u32_e32 v27, vcc_lo, v31, v1, vcc_lo
	ds_load_b128 v[0:3], v16 offset:256
	ds_load_b128 v[8:11], v16 offset:384
	;; [unrolled: 1-line block ×4, first 2 shown]
	v_add_nc_u32_e32 v28, s2, v20
	v_ashrrev_i32_e32 v21, 31, v20
	v_add_co_u32 v24, vcc_lo, v30, v24
	v_add_co_ci_u32_e32 v25, vcc_lo, v31, v25, vcc_lo
	s_delay_alu instid0(VALU_DEP_4) | instskip(NEXT) | instid1(VALU_DEP_4)
	v_ashrrev_i32_e32 v29, 31, v28
	v_lshlrev_b64 v[20:21], 1, v[20:21]
	s_delay_alu instid0(VALU_DEP_2) | instskip(NEXT) | instid1(VALU_DEP_2)
	v_lshlrev_b64 v[28:29], 1, v[28:29]
	v_add_co_u32 v20, vcc_lo, v30, v20
	s_delay_alu instid0(VALU_DEP_3) | instskip(NEXT) | instid1(VALU_DEP_3)
	v_add_co_ci_u32_e32 v21, vcc_lo, v31, v21, vcc_lo
	v_add_co_u32 v28, vcc_lo, v30, v28
	s_delay_alu instid0(VALU_DEP_4)
	v_add_co_ci_u32_e32 v29, vcc_lo, v31, v29, vcc_lo
	s_waitcnt lgkmcnt(4)
	global_store_b128 v[22:23], v[4:7], off
	s_waitcnt lgkmcnt(3)
	global_store_b128 v[26:27], v[0:3], off
	;; [unrolled: 2-line block ×5, first 2 shown]
	s_nop 0
	s_sendmsg sendmsg(MSG_DEALLOC_VGPRS)
	s_endpgm
	.section	.rodata,"a",@progbits
	.p2align	6, 0x0
	.amdhsa_kernel _Z39paged_attention_ll4mi_QKV_mfma16_kernelIDF16_DF16_LN4vllm18Fp8KVCacheDataTypeE0EDF16_Li32ELi64ELi256ELb1ELi12EL8MFMAType0EEvPKT_PKT0_S8_ifPKiSA_SA_iPKfiiiPfSD_PS3_PT2_iSC_SC_
		.amdhsa_group_segment_fixed_size 17472
		.amdhsa_private_segment_fixed_size 0
		.amdhsa_kernarg_size 400
		.amdhsa_user_sgpr_count 13
		.amdhsa_user_sgpr_dispatch_ptr 0
		.amdhsa_user_sgpr_queue_ptr 0
		.amdhsa_user_sgpr_kernarg_segment_ptr 1
		.amdhsa_user_sgpr_dispatch_id 0
		.amdhsa_user_sgpr_private_segment_size 0
		.amdhsa_wavefront_size32 1
		.amdhsa_uses_dynamic_stack 0
		.amdhsa_enable_private_segment 0
		.amdhsa_system_sgpr_workgroup_id_x 1
		.amdhsa_system_sgpr_workgroup_id_y 1
		.amdhsa_system_sgpr_workgroup_id_z 1
		.amdhsa_system_sgpr_workgroup_info 0
		.amdhsa_system_vgpr_workitem_id 0
		.amdhsa_next_free_vgpr 154
		.amdhsa_next_free_sgpr 39
		.amdhsa_reserve_vcc 1
		.amdhsa_float_round_mode_32 0
		.amdhsa_float_round_mode_16_64 0
		.amdhsa_float_denorm_mode_32 3
		.amdhsa_float_denorm_mode_16_64 3
		.amdhsa_dx10_clamp 1
		.amdhsa_ieee_mode 1
		.amdhsa_fp16_overflow 0
		.amdhsa_workgroup_processor_mode 1
		.amdhsa_memory_ordered 1
		.amdhsa_forward_progress 0
		.amdhsa_shared_vgpr_count 0
		.amdhsa_exception_fp_ieee_invalid_op 0
		.amdhsa_exception_fp_denorm_src 0
		.amdhsa_exception_fp_ieee_div_zero 0
		.amdhsa_exception_fp_ieee_overflow 0
		.amdhsa_exception_fp_ieee_underflow 0
		.amdhsa_exception_fp_ieee_inexact 0
		.amdhsa_exception_int_div_zero 0
	.end_amdhsa_kernel
	.section	.text._Z39paged_attention_ll4mi_QKV_mfma16_kernelIDF16_DF16_LN4vllm18Fp8KVCacheDataTypeE0EDF16_Li32ELi64ELi256ELb1ELi12EL8MFMAType0EEvPKT_PKT0_S8_ifPKiSA_SA_iPKfiiiPfSD_PS3_PT2_iSC_SC_,"axG",@progbits,_Z39paged_attention_ll4mi_QKV_mfma16_kernelIDF16_DF16_LN4vllm18Fp8KVCacheDataTypeE0EDF16_Li32ELi64ELi256ELb1ELi12EL8MFMAType0EEvPKT_PKT0_S8_ifPKiSA_SA_iPKfiiiPfSD_PS3_PT2_iSC_SC_,comdat
.Lfunc_end165:
	.size	_Z39paged_attention_ll4mi_QKV_mfma16_kernelIDF16_DF16_LN4vllm18Fp8KVCacheDataTypeE0EDF16_Li32ELi64ELi256ELb1ELi12EL8MFMAType0EEvPKT_PKT0_S8_ifPKiSA_SA_iPKfiiiPfSD_PS3_PT2_iSC_SC_, .Lfunc_end165-_Z39paged_attention_ll4mi_QKV_mfma16_kernelIDF16_DF16_LN4vllm18Fp8KVCacheDataTypeE0EDF16_Li32ELi64ELi256ELb1ELi12EL8MFMAType0EEvPKT_PKT0_S8_ifPKiSA_SA_iPKfiiiPfSD_PS3_PT2_iSC_SC_
                                        ; -- End function
	.section	.AMDGPU.csdata,"",@progbits
; Kernel info:
; codeLenInByte = 7312
; NumSgprs: 41
; NumVgprs: 154
; ScratchSize: 0
; MemoryBound: 0
; FloatMode: 240
; IeeeMode: 1
; LDSByteSize: 17472 bytes/workgroup (compile time only)
; SGPRBlocks: 5
; VGPRBlocks: 19
; NumSGPRsForWavesPerEU: 41
; NumVGPRsForWavesPerEU: 154
; Occupancy: 9
; WaveLimiterHint : 1
; COMPUTE_PGM_RSRC2:SCRATCH_EN: 0
; COMPUTE_PGM_RSRC2:USER_SGPR: 13
; COMPUTE_PGM_RSRC2:TRAP_HANDLER: 0
; COMPUTE_PGM_RSRC2:TGID_X_EN: 1
; COMPUTE_PGM_RSRC2:TGID_Y_EN: 1
; COMPUTE_PGM_RSRC2:TGID_Z_EN: 1
; COMPUTE_PGM_RSRC2:TIDIG_COMP_CNT: 0
	.section	.text._Z39paged_attention_ll4mi_QKV_mfma16_kernelIDF16_DF16_LN4vllm18Fp8KVCacheDataTypeE0EDF16_Li32ELi64ELi256ELb1ELi13EL8MFMAType0EEvPKT_PKT0_S8_ifPKiSA_SA_iPKfiiiPfSD_PS3_PT2_iSC_SC_,"axG",@progbits,_Z39paged_attention_ll4mi_QKV_mfma16_kernelIDF16_DF16_LN4vllm18Fp8KVCacheDataTypeE0EDF16_Li32ELi64ELi256ELb1ELi13EL8MFMAType0EEvPKT_PKT0_S8_ifPKiSA_SA_iPKfiiiPfSD_PS3_PT2_iSC_SC_,comdat
	.protected	_Z39paged_attention_ll4mi_QKV_mfma16_kernelIDF16_DF16_LN4vllm18Fp8KVCacheDataTypeE0EDF16_Li32ELi64ELi256ELb1ELi13EL8MFMAType0EEvPKT_PKT0_S8_ifPKiSA_SA_iPKfiiiPfSD_PS3_PT2_iSC_SC_ ; -- Begin function _Z39paged_attention_ll4mi_QKV_mfma16_kernelIDF16_DF16_LN4vllm18Fp8KVCacheDataTypeE0EDF16_Li32ELi64ELi256ELb1ELi13EL8MFMAType0EEvPKT_PKT0_S8_ifPKiSA_SA_iPKfiiiPfSD_PS3_PT2_iSC_SC_
	.globl	_Z39paged_attention_ll4mi_QKV_mfma16_kernelIDF16_DF16_LN4vllm18Fp8KVCacheDataTypeE0EDF16_Li32ELi64ELi256ELb1ELi13EL8MFMAType0EEvPKT_PKT0_S8_ifPKiSA_SA_iPKfiiiPfSD_PS3_PT2_iSC_SC_
	.p2align	8
	.type	_Z39paged_attention_ll4mi_QKV_mfma16_kernelIDF16_DF16_LN4vllm18Fp8KVCacheDataTypeE0EDF16_Li32ELi64ELi256ELb1ELi13EL8MFMAType0EEvPKT_PKT0_S8_ifPKiSA_SA_iPKfiiiPfSD_PS3_PT2_iSC_SC_,@function
_Z39paged_attention_ll4mi_QKV_mfma16_kernelIDF16_DF16_LN4vllm18Fp8KVCacheDataTypeE0EDF16_Li32ELi64ELi256ELb1ELi13EL8MFMAType0EEvPKT_PKT0_S8_ifPKiSA_SA_iPKfiiiPfSD_PS3_PT2_iSC_SC_: ; @_Z39paged_attention_ll4mi_QKV_mfma16_kernelIDF16_DF16_LN4vllm18Fp8KVCacheDataTypeE0EDF16_Li32ELi64ELi256ELb1ELi13EL8MFMAType0EEvPKT_PKT0_S8_ifPKiSA_SA_iPKfiiiPfSD_PS3_PT2_iSC_SC_
; %bb.0:
	s_load_b64 s[2:3], s[0:1], 0x30
	s_mov_b32 s34, s13
	s_waitcnt lgkmcnt(0)
	s_cmp_lg_u64 s[2:3], 0
	s_cselect_b32 s6, -1, 0
	s_ashr_i32 s35, s13, 31
	s_cmp_eq_u64 s[2:3], 0
	s_cbranch_scc1 .LBB166_3
; %bb.1:
	s_lshl_b64 s[4:5], s[34:35], 2
	s_delay_alu instid0(SALU_CYCLE_1) | instskip(SKIP_4) | instid1(SALU_CYCLE_1)
	s_add_u32 s4, s2, s4
	s_addc_u32 s5, s3, s5
	s_load_b64 s[4:5], s[4:5], 0x0
	s_waitcnt lgkmcnt(0)
	s_sub_i32 s4, s5, s4
	s_cmp_eq_u32 s4, 1
	s_cselect_b32 s4, -1, 0
	s_delay_alu instid0(SALU_CYCLE_1)
	s_and_not1_b32 vcc_lo, exec_lo, s4
	s_cbranch_vccz .LBB166_4
.LBB166_2:
	s_nop 0
	s_sendmsg sendmsg(MSG_DEALLOC_VGPRS)
	s_endpgm
.LBB166_3:
.LBB166_4:
	s_load_b64 s[8:9], s[0:1], 0x28
	s_lshl_b64 s[4:5], s[34:35], 2
	s_waitcnt lgkmcnt(0)
	s_add_u32 s8, s8, s4
	s_addc_u32 s9, s9, s5
	s_lshl_b32 s16, s14, 8
	s_load_b32 s18, s[8:9], 0x0
	s_waitcnt lgkmcnt(0)
	s_cmp_ge_i32 s16, s18
	s_cbranch_scc1 .LBB166_2
; %bb.5:
	s_and_not1_b32 vcc_lo, exec_lo, s6
	s_cbranch_vccnz .LBB166_7
; %bb.6:
	s_add_u32 s2, s2, s4
	s_addc_u32 s3, s3, s5
	s_load_b32 s17, s[2:3], 0x0
	s_branch .LBB166_8
.LBB166_7:
	s_mov_b32 s17, s34
.LBB166_8:
	s_clause 0x2
	s_load_b128 s[8:11], s[0:1], 0x8
	s_load_b64 s[12:13], s[0:1], 0x20
	s_load_b128 s[4:7], s[0:1], 0x48
	v_lshrrev_b32_e32 v78, 5, v0
	v_bfe_u32 v75, v0, 4, 1
	v_and_b32_e32 v77, 15, v0
	s_delay_alu instid0(VALU_DEP_2) | instskip(NEXT) | instid1(VALU_DEP_2)
	v_lshl_or_b32 v3, v78, 1, v75
	v_cmp_lt_u32_e64 s3, 7, v77
	v_lshlrev_b32_e32 v1, 3, v77
	v_cmp_gt_u32_e64 s2, 8, v77
	s_delay_alu instid0(VALU_DEP_4) | instskip(NEXT) | instid1(VALU_DEP_4)
	v_cmp_lt_u32_e32 vcc_lo, 12, v3
	s_or_b32 s3, s3, vcc_lo
	s_waitcnt lgkmcnt(0)
	s_and_saveexec_b32 s7, s3
	s_delay_alu instid0(SALU_CYCLE_1)
	s_xor_b32 s3, exec_lo, s7
; %bb.9:
	v_mov_b32_e32 v2, 0
                                        ; implicit-def: $vgpr3
; %bb.10:
	s_or_saveexec_b32 s3, s3
	v_and_b32_e32 v80, 31, v0
	v_and_b32_e32 v76, 1, v0
	s_mul_i32 s33, s15, 13
	s_xor_b32 exec_lo, exec_lo, s3
	s_cbranch_execz .LBB166_12
; %bb.11:
	s_load_b64 s[20:21], s[0:1], 0x0
	v_add_lshl_u32 v4, v3, s33, 6
	s_mul_hi_i32 s23, s17, s4
	s_mul_i32 s22, s17, s4
	v_lshlrev_b32_e32 v2, 1, v1
	s_lshl_b64 s[22:23], s[22:23], 1
	v_ashrrev_i32_e32 v5, 31, v4
	v_lshlrev_b32_e32 v3, 6, v3
	v_lshlrev_b32_e32 v8, 10, v76
	s_delay_alu instid0(VALU_DEP_3) | instskip(SKIP_3) | instid1(VALU_DEP_1)
	v_lshlrev_b64 v[4:5], 1, v[4:5]
	s_waitcnt lgkmcnt(0)
	s_add_u32 s4, s20, s22
	s_addc_u32 s7, s21, s23
	v_add_co_u32 v4, vcc_lo, s4, v4
	s_delay_alu instid0(VALU_DEP_2) | instskip(NEXT) | instid1(VALU_DEP_2)
	v_add_co_ci_u32_e32 v5, vcc_lo, s7, v5, vcc_lo
	v_add_co_u32 v4, vcc_lo, v4, v2
	s_delay_alu instid0(VALU_DEP_2) | instskip(SKIP_3) | instid1(VALU_DEP_1)
	v_add_co_ci_u32_e32 v5, vcc_lo, 0, v5, vcc_lo
	v_lshlrev_b32_e32 v2, 10, v77
	global_load_b128 v[4:7], v[4:5], off
	v_and_b32_e32 v2, 0x3800, v2
	v_or3_b32 v3, v2, v8, v3
	v_mov_b32_e32 v2, 0
	s_waitcnt vmcnt(0)
	ds_store_b128 v3, v[4:7]
.LBB166_12:
	s_or_b32 exec_lo, exec_lo, s3
	v_and_b32_e32 v3, 0xef, v0
	s_add_i32 s3, s18, 31
	s_clause 0x1
	s_load_b32 s4, s[0:1], 0x38
	s_load_b32 s35, s[0:1], 0x98
	s_ashr_i32 s7, s3, 31
	v_add_nc_u32_e32 v3, s16, v3
	s_lshr_b32 s7, s7, 27
	s_load_b32 s19, s[0:1], 0x1c
	s_add_i32 s3, s3, s7
	s_waitcnt lgkmcnt(0)
	v_ashrrev_i32_e32 v4, 31, v3
	v_cmp_gt_i32_e32 vcc_lo, s18, v3
	s_ashr_i32 s3, s3, 5
	s_barrier
	s_add_i32 s3, s3, -1
	v_lshrrev_b32_e32 v5, 27, v4
	v_or_b32_e32 v4, 16, v3
	buffer_gl0_inv
	s_mul_i32 s6, s15, s6
	v_lshlrev_b64 v[73:74], 1, v[1:2]
	v_add_nc_u32_e32 v6, v3, v5
	v_add_nc_u32_e32 v5, v4, v5
	s_mul_i32 s20, s34, s4
	s_delay_alu instid0(SALU_CYCLE_1) | instskip(NEXT) | instid1(VALU_DEP_2)
	s_ashr_i32 s21, s20, 31
	v_ashrrev_i32_e32 v6, 5, v6
	s_delay_alu instid0(VALU_DEP_2) | instskip(SKIP_1) | instid1(SALU_CYCLE_1)
	v_ashrrev_i32_e32 v5, 5, v5
	s_lshl_b64 s[20:21], s[20:21], 2
	s_add_u32 s4, s12, s20
	s_delay_alu instid0(VALU_DEP_2) | instskip(SKIP_3) | instid1(SALU_CYCLE_1)
	v_cndmask_b32_e32 v3, s3, v6, vcc_lo
	v_cmp_gt_i32_e32 vcc_lo, s18, v4
	s_addc_u32 s17, s13, s21
	s_ashr_i32 s7, s6, 31
	s_lshl_b64 s[6:7], s[6:7], 1
	v_cndmask_b32_e32 v5, s3, v5, vcc_lo
	v_ashrrev_i32_e32 v4, 31, v3
	s_add_u32 s15, s8, s6
	s_addc_u32 s28, s9, s7
	s_lshl_b32 s8, s14, 3
	v_ashrrev_i32_e32 v6, 31, v5
	v_lshlrev_b64 v[3:4], 2, v[3:4]
	s_ashr_i32 s9, s8, 31
	s_delay_alu instid0(SALU_CYCLE_1) | instskip(NEXT) | instid1(VALU_DEP_2)
	s_lshl_b64 s[8:9], s[8:9], 2
	v_lshlrev_b64 v[5:6], 2, v[5:6]
	s_add_u32 s8, s4, s8
	s_delay_alu instid0(VALU_DEP_2) | instskip(SKIP_1) | instid1(VALU_DEP_3)
	v_add_co_u32 v3, vcc_lo, s4, v3
	v_add_co_ci_u32_e32 v4, vcc_lo, s17, v4, vcc_lo
	v_add_co_u32 v5, vcc_lo, s4, v5
	s_delay_alu instid0(VALU_DEP_4)
	v_add_co_ci_u32_e32 v6, vcc_lo, s17, v6, vcc_lo
	s_addc_u32 s9, s17, s9
	s_clause 0x1
	global_load_b32 v7, v[3:4], off
	global_load_b32 v8, v[5:6], off
	s_or_b32 s12, s16, 32
	s_delay_alu instid0(SALU_CYCLE_1) | instskip(SKIP_2) | instid1(SALU_CYCLE_1)
	s_ashr_i32 s13, s12, 5
	s_cmp_lt_i32 s12, s18
	s_cselect_b32 s12, s13, s3
	s_ashr_i32 s13, s12, 31
	s_delay_alu instid0(SALU_CYCLE_1) | instskip(NEXT) | instid1(SALU_CYCLE_1)
	s_lshl_b64 s[12:13], s[12:13], 2
	s_add_u32 s12, s4, s12
	s_addc_u32 s13, s17, s13
	s_or_b32 s20, s16, 64
	s_delay_alu instid0(SALU_CYCLE_1) | instskip(SKIP_2) | instid1(SALU_CYCLE_1)
	s_ashr_i32 s21, s20, 5
	s_cmp_lt_i32 s20, s18
	s_cselect_b32 s20, s21, s3
	s_ashr_i32 s21, s20, 31
	s_delay_alu instid0(SALU_CYCLE_1) | instskip(NEXT) | instid1(SALU_CYCLE_1)
	s_lshl_b64 s[20:21], s[20:21], 2
	s_add_u32 s20, s4, s20
	s_addc_u32 s21, s17, s21
	;; [unrolled: 10-line block ×5, first 2 shown]
	s_clause 0x5
	s_load_b32 s29, s[8:9], 0x0
	s_load_b32 s30, s[12:13], 0x0
	s_load_b32 s31, s[20:21], 0x0
	s_load_b32 s36, s[22:23], 0x0
	s_load_b32 s37, s[24:25], 0x0
	s_load_b32 s38, s[26:27], 0x0
	s_mov_b32 s20, 0
	s_or_b32 s8, s16, 0xc0
	s_mov_b32 s21, s20
	s_mov_b32 s22, s20
	;; [unrolled: 1-line block ×7, first 2 shown]
	s_ashr_i32 s9, s8, 5
	v_mov_b32_e32 v128, s27
	s_cmp_lt_i32 s8, s18
	v_mov_b32_e32 v127, s26
	s_cselect_b32 s8, s9, s3
	v_mov_b32_e32 v126, s25
	s_ashr_i32 s9, s8, 31
	v_mov_b32_e32 v125, s24
	s_lshl_b64 s[8:9], s[8:9], 2
	v_mov_b32_e32 v124, s23
	s_add_u32 s8, s4, s8
	s_addc_u32 s9, s17, s9
	v_mov_b32_e32 v123, s22
	v_mov_b32_e32 v121, s20
	s_waitcnt lgkmcnt(0)
	s_mul_hi_i32 s13, s29, s5
	s_mul_i32 s12, s29, s5
	v_mov_b32_e32 v122, s21
	s_mul_hi_i32 s21, s30, s5
	s_mul_i32 s20, s30, s5
	s_mul_hi_i32 s25, s31, s5
	s_mul_i32 s24, s31, s5
	;; [unrolled: 2-line block ×4, first 2 shown]
	s_waitcnt vmcnt(1)
	v_mad_i64_i32 v[3:4], null, v7, s5, 0
	s_waitcnt vmcnt(0)
	v_mad_i64_i32 v[5:6], null, v8, s5, 0
	s_delay_alu instid0(VALU_DEP_2) | instskip(NEXT) | instid1(VALU_DEP_2)
	v_lshlrev_b64 v[3:4], 1, v[3:4]
	v_lshlrev_b64 v[1:2], 1, v[5:6]
	s_delay_alu instid0(VALU_DEP_2) | instskip(NEXT) | instid1(VALU_DEP_3)
	v_add_co_u32 v3, vcc_lo, s15, v3
	v_add_co_ci_u32_e32 v4, vcc_lo, s28, v4, vcc_lo
	s_delay_alu instid0(VALU_DEP_3) | instskip(NEXT) | instid1(VALU_DEP_4)
	v_add_co_u32 v1, vcc_lo, s15, v1
	v_add_co_ci_u32_e32 v2, vcc_lo, s28, v2, vcc_lo
	s_delay_alu instid0(VALU_DEP_4) | instskip(NEXT) | instid1(VALU_DEP_4)
	v_add_co_u32 v25, vcc_lo, v3, v73
	v_add_co_ci_u32_e32 v26, vcc_lo, v4, v74, vcc_lo
	s_delay_alu instid0(VALU_DEP_4) | instskip(NEXT) | instid1(VALU_DEP_4)
	v_add_co_u32 v27, vcc_lo, v1, v73
	v_add_co_ci_u32_e32 v28, vcc_lo, v2, v74, vcc_lo
	s_clause 0xf
	global_load_b128 v[1:4], v[25:26], off
	global_load_b128 v[5:8], v[25:26], off offset:512
	global_load_b128 v[9:12], v[27:28], off offset:256
	;; [unrolled: 1-line block ×15, first 2 shown]
	v_add_nc_u32_e32 v25, -13, v77
	v_cmp_gt_u32_e32 vcc_lo, 13, v77
	s_or_b32 s15, s16, 0xe0
	s_delay_alu instid0(SALU_CYCLE_1) | instskip(SKIP_3) | instid1(SALU_CYCLE_1)
	s_ashr_i32 s22, s15, 5
	s_cmp_lt_i32 s15, s18
	v_cndmask_b32_e32 v25, v25, v77, vcc_lo
	s_cselect_b32 s22, s22, s3
	s_ashr_i32 s23, s22, 31
	s_delay_alu instid0(VALU_DEP_1)
	v_lshlrev_b32_e32 v151, 6, v25
	ds_load_b128 v[25:28], v151
	ds_load_b128 v[29:32], v151 offset:1024
	ds_load_b128 v[129:132], v151 offset:2048
	;; [unrolled: 1-line block ×3, first 2 shown]
	s_lshl_b64 s[22:23], s[22:23], 2
	s_delay_alu instid0(SALU_CYCLE_1) | instskip(SKIP_2) | instid1(SALU_CYCLE_1)
	s_add_u32 s22, s4, s22
	s_addc_u32 s23, s17, s23
	s_add_i32 s15, s16, 0x100
	s_ashr_i32 s28, s15, 5
	s_cmp_lt_i32 s15, s18
	s_load_b32 s15, s[8:9], 0x0
	s_cselect_b32 s28, s28, s3
	s_mul_hi_i32 s9, s37, s5
	s_ashr_i32 s29, s28, 31
	s_mul_i32 s8, s37, s5
	s_lshl_b64 s[28:29], s[28:29], 2
	s_delay_alu instid0(SALU_CYCLE_1)
	s_add_u32 s28, s4, s28
	s_addc_u32 s29, s17, s29
	s_add_u32 s3, s10, s6
	s_clause 0x1
	s_load_b32 s4, s[22:23], 0x0
	s_load_b32 s17, s[28:29], 0x0
	s_addc_u32 s28, s11, s7
	s_lshl_b64 s[6:7], s[12:13], 1
	s_lshl_b64 s[10:11], s[20:21], 1
	;; [unrolled: 1-line block ×6, first 2 shown]
	s_waitcnt lgkmcnt(0)
	s_mul_hi_i32 s25, s15, s5
	s_mul_i32 s24, s15, s5
	s_delay_alu instid0(SALU_CYCLE_1)
	s_lshl_b64 s[24:25], s[24:25], 1
	s_waitcnt vmcnt(14)
	v_wmma_f32_16x16x16_f16 v[137:144], v[1:8], v[25:32], v[121:128]
	s_waitcnt vmcnt(12)
	v_wmma_f32_16x16x16_f16 v[121:128], v[9:16], v[25:32], v[121:128]
	s_waitcnt vmcnt(10)
	s_delay_alu instid0(VALU_DEP_2) | instskip(SKIP_1) | instid1(VALU_DEP_2)
	v_wmma_f32_16x16x16_f16 v[137:144], v[17:24], v[129:136], v[137:144]
	s_waitcnt vmcnt(8)
	v_wmma_f32_16x16x16_f16 v[121:128], v[81:88], v[129:136], v[121:128]
	v_mbcnt_lo_u32_b32 v130, -1, 0
	s_delay_alu instid0(VALU_DEP_1) | instskip(SKIP_1) | instid1(VALU_DEP_1)
	v_xor_b32_e32 v131, 16, v130
	v_lshlrev_b32_e32 v79, 6, v77
	v_lshl_or_b32 v33, v78, 10, v79
	s_delay_alu instid0(VALU_DEP_1) | instskip(NEXT) | instid1(VALU_DEP_1)
	v_add_co_u32 v152, s3, s3, v33
	v_add_co_ci_u32_e64 v153, null, s28, 0, s3
	s_delay_alu instid0(VALU_DEP_2) | instskip(NEXT) | instid1(VALU_DEP_2)
	v_add_co_u32 v33, vcc_lo, v152, s6
	v_add_co_ci_u32_e32 v34, vcc_lo, s7, v153, vcc_lo
	v_add_co_u32 v35, vcc_lo, v152, s10
	v_add_co_ci_u32_e32 v36, vcc_lo, s11, v153, vcc_lo
	;; [unrolled: 2-line block ×6, first 2 shown]
	s_mul_hi_i32 s7, s4, s5
	s_mul_i32 s6, s4, s5
	v_add_co_u32 v149, vcc_lo, v152, s24
	s_lshl_b64 s[6:7], s[6:7], 1
	v_add_co_ci_u32_e32 v150, vcc_lo, s25, v153, vcc_lo
	v_add_co_u32 v29, vcc_lo, v152, s6
	v_add_co_ci_u32_e32 v30, vcc_lo, s7, v153, vcc_lo
	s_mul_hi_i32 s7, s17, s5
	s_mul_i32 s6, s17, s5
	s_clause 0x7
	global_load_b128 v[65:68], v[33:34], off
	global_load_b128 v[69:72], v[33:34], off offset:16
	global_load_b128 v[57:60], v[35:36], off
	global_load_b128 v[61:64], v[35:36], off offset:16
	global_load_b128 v[49:52], v[37:38], off
	global_load_b128 v[53:56], v[37:38], off offset:16
	global_load_b128 v[41:44], v[39:40], off
	global_load_b128 v[45:48], v[39:40], off offset:16
	s_lshl_b64 s[4:5], s[6:7], 1
	s_clause 0x1
	global_load_b128 v[9:12], v[145:146], off
	global_load_b128 v[13:16], v[145:146], off offset:16
	v_add_co_u32 v21, vcc_lo, v152, s4
	v_add_co_ci_u32_e32 v22, vcc_lo, s5, v153, vcc_lo
	s_clause 0x7
	global_load_b128 v[1:4], v[147:148], off
	global_load_b128 v[5:8], v[147:148], off offset:16
	global_load_b128 v[33:36], v[149:150], off
	global_load_b128 v[37:40], v[149:150], off offset:16
	;; [unrolled: 2-line block ×4, first 2 shown]
	ds_load_b128 v[81:84], v151 offset:4096
	ds_load_b128 v[85:88], v151 offset:5120
	v_cmp_gt_i32_e32 vcc_lo, 32, v131
	v_cndmask_b32_e32 v130, v130, v131, vcc_lo
	s_waitcnt vmcnt(24) lgkmcnt(0)
	v_wmma_f32_16x16x16_f16 v[137:144], v[89:96], v[81:88], v[137:144]
	ds_load_b128 v[89:92], v151 offset:6144
	ds_load_b128 v[93:96], v151 offset:7168
	s_waitcnt vmcnt(22)
	v_wmma_f32_16x16x16_f16 v[121:128], v[97:104], v[81:88], v[121:128]
	s_waitcnt vmcnt(0) lgkmcnt(0)
	s_barrier
	buffer_gl0_inv
	v_wmma_f32_16x16x16_f16 v[121:128], v[113:120], v[89:96], v[121:128]
	v_and_b32_e32 v129, 0xe0, v0
	v_wmma_f32_16x16x16_f16 v[137:144], v[105:112], v[89:96], v[137:144]
	s_delay_alu instid0(VALU_DEP_2) | instskip(NEXT) | instid1(VALU_DEP_2)
	v_dual_mul_f32 v104, s19, v126 :: v_dual_add_nc_u32 v129, s16, v129
	v_dual_mul_f32 v106, s19, v124 :: v_dual_mul_f32 v95, s19, v138
	s_delay_alu instid0(VALU_DEP_3) | instskip(NEXT) | instid1(VALU_DEP_3)
	v_dual_mul_f32 v96, s19, v137 :: v_dual_mul_f32 v93, s19, v140
	v_or_b32_e32 v129, v129, v75
	v_dual_mul_f32 v94, s19, v139 :: v_dual_mul_f32 v91, s19, v142
	v_dual_mul_f32 v92, s19, v141 :: v_dual_mul_f32 v89, s19, v144
	v_mul_f32_e32 v108, s19, v122
	s_delay_alu instid0(VALU_DEP_4)
	v_or_b32_e32 v131, 2, v129
	v_or_b32_e32 v132, 4, v129
	;; [unrolled: 1-line block ×3, first 2 shown]
	v_cmp_gt_i32_e32 vcc_lo, s18, v129
	v_or_b32_e32 v82, 8, v129
	v_cmp_gt_i32_e64 s3, s18, v131
	v_or_b32_e32 v83, 10, v129
	v_cmp_gt_i32_e64 s4, s18, v132
	v_cndmask_b32_e32 v96, 0xff7fffff, v96, vcc_lo
	v_cmp_gt_i32_e64 s5, s18, v81
	v_cndmask_b32_e64 v95, 0xff7fffff, v95, s3
	v_or_b32_e32 v84, 12, v129
	v_or_b32_e32 v85, 14, v129
	v_cndmask_b32_e64 v94, 0xff7fffff, v94, s4
	v_cndmask_b32_e64 v81, 0xff7fffff, v93, s5
	v_max3_f32 v93, v96, 0xff7fffff, v95
	v_cmp_gt_i32_e64 s6, s18, v82
	v_cmp_gt_i32_e64 s7, s18, v83
	v_or_b32_e32 v86, 16, v129
	v_or_b32_e32 v87, 18, v129
	v_mul_f32_e32 v90, s19, v143
	v_cndmask_b32_e64 v82, 0xff7fffff, v92, s6
	v_cndmask_b32_e64 v83, 0xff7fffff, v91, s7
	v_max3_f32 v81, v93, v94, v81
	v_cmp_gt_i32_e64 s8, s18, v84
	v_cmp_gt_i32_e64 s9, s18, v85
	v_or_b32_e32 v88, 20, v129
	v_or_b32_e32 v97, 22, v129
	v_mul_f32_e32 v109, s19, v121
	;; [unrolled: 8-line block ×4, first 2 shown]
	v_cndmask_b32_e64 v84, 0xff7fffff, v107, s12
	v_cndmask_b32_e64 v85, 0xff7fffff, v106, s13
	v_max3_f32 v81, v81, v82, v83
	v_cmp_gt_i32_e64 s15, s18, v98
	v_cmp_gt_i32_e64 s16, s18, v99
	v_dual_mul_f32 v102, s19, v128 :: v_dual_mul_f32 v103, s19, v127
	s_delay_alu instid0(VALU_DEP_4) | instskip(NEXT) | instid1(VALU_DEP_4)
	v_max3_f32 v81, v81, v84, v85
	v_cndmask_b32_e64 v82, 0xff7fffff, v105, s15
	s_delay_alu instid0(VALU_DEP_4) | instskip(SKIP_2) | instid1(VALU_DEP_3)
	v_cndmask_b32_e64 v83, 0xff7fffff, v104, s16
	v_cmp_gt_i32_e64 s17, s18, v100
	v_cmp_gt_i32_e64 s18, s18, v101
	v_max3_f32 v81, v81, v82, v83
	s_delay_alu instid0(VALU_DEP_3) | instskip(NEXT) | instid1(VALU_DEP_3)
	v_cndmask_b32_e64 v84, 0xff7fffff, v103, s17
	v_cndmask_b32_e64 v85, 0xff7fffff, v102, s18
	v_lshlrev_b32_e32 v83, 2, v130
	s_delay_alu instid0(VALU_DEP_2) | instskip(SKIP_3) | instid1(VALU_DEP_1)
	v_max3_f32 v81, v81, v84, v85
	ds_bpermute_b32 v82, v83, v81
	s_waitcnt lgkmcnt(0)
	v_max_f32_e32 v82, v82, v82
	v_max_f32_e32 v81, v81, v82
	s_delay_alu instid0(VALU_DEP_1)
	v_fma_f32 v82, s19, v137, -v81
	v_fma_f32 v84, s19, v138, -v81
	;; [unrolled: 1-line block ×5, first 2 shown]
	v_mul_f32_e32 v82, 0x3fb8aa3b, v82
	s_delay_alu instid0(VALU_DEP_4) | instskip(NEXT) | instid1(VALU_DEP_3)
	v_dual_mul_f32 v84, 0x3fb8aa3b, v84 :: v_dual_mul_f32 v85, 0x3fb8aa3b, v85
	v_dual_mul_f32 v86, 0x3fb8aa3b, v86 :: v_dual_mul_f32 v89, 0x3fb8aa3b, v87
	s_delay_alu instid0(VALU_DEP_3) | instskip(NEXT) | instid1(VALU_DEP_2)
	v_exp_f32_e32 v82, v82
	v_exp_f32_e32 v84, v84
	s_delay_alu instid0(VALU_DEP_2) | instskip(NEXT) | instid1(VALU_DEP_1)
	v_exp_f32_e32 v85, v85
	v_exp_f32_e32 v86, v86
	;; [unrolled: 1-line block ×3, first 2 shown]
	v_cndmask_b32_e32 v88, 0, v82, vcc_lo
	v_cndmask_b32_e64 v87, 0, v84, s3
	s_delay_alu instid0(TRANS32_DEP_3)
	v_cndmask_b32_e64 v90, 0, v85, s4
	s_waitcnt_depctr 0xfff
	v_cndmask_b32_e64 v89, 0, v86, s5
	v_cndmask_b32_e64 v92, 0, v92, s6
	v_add_f32_e32 v84, 0, v88
	v_cmp_gt_u32_e64 s3, 16, v80
	s_delay_alu instid0(VALU_DEP_2) | instskip(NEXT) | instid1(VALU_DEP_1)
	v_add_f32_e32 v84, v84, v87
	v_add_f32_e32 v84, v84, v90
	s_delay_alu instid0(VALU_DEP_1)
	v_add_f32_e32 v84, v84, v89
	v_fma_f32 v82, s19, v142, -v81
	v_fma_f32 v91, s19, v143, -v81
	;; [unrolled: 1-line block ×5, first 2 shown]
	s_delay_alu instid0(VALU_DEP_4) | instskip(SKIP_1) | instid1(VALU_DEP_4)
	v_dual_mul_f32 v82, 0x3fb8aa3b, v82 :: v_dual_mul_f32 v91, 0x3fb8aa3b, v91
	v_fma_f32 v96, s19, v124, -v81
	v_mul_f32_e32 v86, 0x3fb8aa3b, v86
	s_delay_alu instid0(VALU_DEP_4) | instskip(NEXT) | instid1(VALU_DEP_4)
	v_mul_f32_e32 v95, 0x3fb8aa3b, v94
	v_exp_f32_e32 v82, v82
	v_exp_f32_e32 v93, v91
	v_mul_f32_e32 v97, 0x3fb8aa3b, v96
	v_exp_f32_e32 v86, v86
	v_fma_f32 v99, s19, v127, -v81
	s_delay_alu instid0(VALU_DEP_2) | instskip(SKIP_2) | instid1(TRANS32_DEP_3)
	v_exp_f32_e32 v97, v97
	v_cndmask_b32_e64 v91, 0, v82, s7
	v_dual_add_f32 v82, v84, v92 :: v_dual_mul_f32 v85, 0x3fb8aa3b, v85
	v_cndmask_b32_e64 v94, 0, v93, s8
	v_fma_f32 v84, s19, v123, -v81
	s_delay_alu instid0(TRANS32_DEP_2) | instskip(NEXT) | instid1(VALU_DEP_4)
	v_cndmask_b32_e64 v96, 0, v86, s10
	v_add_f32_e32 v82, v82, v91
	v_exp_f32_e32 v85, v85
	v_fma_f32 v86, s19, v126, -v81
	v_mul_f32_e32 v84, 0x3fb8aa3b, v84
	v_cndmask_b32_e64 v97, 0, v97, s13
	v_add_f32_e32 v82, v82, v94
	s_delay_alu instid0(VALU_DEP_3) | instskip(SKIP_3) | instid1(VALU_DEP_2)
	v_exp_f32_e32 v84, v84
	s_waitcnt_depctr 0xfff
	v_cndmask_b32_e64 v93, 0, v85, s9
	v_fma_f32 v85, s19, v125, -v81
	v_add_f32_e32 v82, v82, v93
	v_exp_f32_e32 v95, v95
	s_delay_alu instid0(VALU_DEP_2)
	v_mul_f32_e32 v85, 0x3fb8aa3b, v85
	v_cndmask_b32_e64 v98, 0, v84, s12
	v_mul_f32_e32 v84, 0x3fb8aa3b, v99
	v_add_f32_e32 v82, v82, v96
	v_fma_f32 v99, s19, v128, -v81
	v_exp_f32_e32 v85, v85
	v_mul_f32_e32 v86, 0x3fb8aa3b, v86
	v_exp_f32_e32 v84, v84
	s_delay_alu instid0(TRANS32_DEP_3) | instskip(NEXT) | instid1(VALU_DEP_1)
	v_cndmask_b32_e64 v95, 0, v95, s11
	v_add_f32_e32 v82, v82, v95
	s_waitcnt_depctr 0xfff
	v_cndmask_b32_e64 v100, 0, v85, s15
	v_mul_f32_e32 v85, 0x3fb8aa3b, v99
	v_exp_f32_e32 v86, v86
	v_cndmask_b32_e64 v102, 0, v84, s17
	v_add_f32_e32 v82, v82, v98
	s_delay_alu instid0(VALU_DEP_3) | instskip(NEXT) | instid1(VALU_DEP_1)
	v_exp_f32_e32 v85, v85
	v_add_f32_e32 v82, v82, v97
	s_waitcnt_depctr 0xfff
	v_cndmask_b32_e64 v99, 0, v86, s16
	v_add_f32_e32 v82, v82, v100
	v_cndmask_b32_e64 v101, 0, v85, s18
	s_delay_alu instid0(VALU_DEP_2) | instskip(NEXT) | instid1(VALU_DEP_1)
	v_add_f32_e32 v82, v82, v99
	v_add_f32_e32 v82, v82, v102
	s_delay_alu instid0(VALU_DEP_1)
	v_add_f32_e32 v82, v82, v101
	ds_bpermute_b32 v83, v83, v82
	s_and_saveexec_b32 s4, s3
	s_cbranch_execz .LBB166_14
; %bb.13:
	v_mul_u32_u24_e32 v80, 0x44, v78
	s_waitcnt lgkmcnt(0)
	v_add_f32_e32 v82, v82, v83
	s_delay_alu instid0(VALU_DEP_2) | instskip(NEXT) | instid1(VALU_DEP_1)
	v_lshl_add_u32 v80, v77, 2, v80
	v_add_nc_u32_e32 v80, 0x4000, v80
	ds_store_2addr_b32 v80, v81, v82 offset1:136
.LBB166_14:
	s_or_b32 exec_lo, exec_lo, s4
	v_lshlrev_b32_e32 v80, 2, v77
	s_load_b32 s36, s[0:1], 0x94
	s_waitcnt lgkmcnt(0)
	s_barrier
	buffer_gl0_inv
	v_add_nc_u32_e32 v84, 0x4000, v80
	v_cmp_eq_u32_e32 vcc_lo, 1, v78
	v_cmp_eq_u32_e64 s4, 2, v78
	v_cmp_eq_u32_e64 s5, 3, v78
	;; [unrolled: 1-line block ×3, first 2 shown]
	ds_load_2addr_b32 v[80:81], v84 offset1:17
	ds_load_2addr_b32 v[82:83], v84 offset0:34 offset1:51
	ds_load_2addr_b32 v[103:104], v84 offset0:68 offset1:85
	;; [unrolled: 1-line block ×3, first 2 shown]
	v_cmp_eq_u32_e64 s7, 7, v78
	s_waitcnt lgkmcnt(3)
	v_max3_f32 v85, v80, 0xff7fffff, v81
	s_waitcnt lgkmcnt(2)
	s_delay_alu instid0(VALU_DEP_1) | instskip(SKIP_1) | instid1(VALU_DEP_1)
	v_max3_f32 v85, v85, v82, v83
	s_waitcnt lgkmcnt(1)
	v_max3_f32 v85, v85, v103, v104
	s_waitcnt lgkmcnt(0)
	s_delay_alu instid0(VALU_DEP_1) | instskip(NEXT) | instid1(VALU_DEP_1)
	v_max3_f32 v85, v85, v105, v106
	v_sub_f32_e32 v103, v103, v85
	ds_load_2addr_b32 v[107:108], v84 offset0:136 offset1:153
	v_sub_f32_e32 v80, v80, v85
	v_dual_sub_f32 v110, v83, v85 :: v_dual_mul_f32 v113, 0x3fb8aa3b, v103
	s_delay_alu instid0(VALU_DEP_2) | instskip(SKIP_3) | instid1(VALU_DEP_1)
	v_dual_sub_f32 v86, v81, v85 :: v_dual_mul_f32 v109, 0x3fb8aa3b, v80
	ds_load_2addr_b32 v[80:81], v84 offset0:170 offset1:187
	v_mul_f32_e32 v86, 0x3fb8aa3b, v86
	v_exp_f32_e32 v109, v109
	v_exp_f32_e32 v112, v86
	v_mul_f32_e32 v110, 0x3fb8aa3b, v110
	s_waitcnt lgkmcnt(1)
	s_waitcnt_depctr 0xfff
	v_fma_f32 v86, v109, v107, 0
	v_sub_f32_e32 v107, v104, v85
	v_sub_f32_e32 v82, v82, v85
	v_exp_f32_e32 v110, v110
	ds_load_2addr_b32 v[103:104], v84 offset0:238 offset1:255
	v_dual_fmac_f32 v86, v112, v108 :: v_dual_mul_f32 v111, 0x3fb8aa3b, v82
	ds_load_2addr_b32 v[82:83], v84 offset0:204 offset1:221
	v_dual_sub_f32 v84, v105, v85 :: v_dual_mul_f32 v105, 0x3fb8aa3b, v107
	v_exp_f32_e32 v107, v113
	v_exp_f32_e32 v111, v111
	s_waitcnt lgkmcnt(0)
	s_delay_alu instid0(VALU_DEP_1)
	v_mul_f32_e32 v84, 0x3fb8aa3b, v84
	v_exp_f32_e32 v105, v105
	s_barrier
	buffer_gl0_inv
	v_fmac_f32_e32 v86, v111, v80
	v_sub_f32_e32 v80, v106, v85
	v_exp_f32_e32 v106, v84
	s_delay_alu instid0(VALU_DEP_2) | instskip(NEXT) | instid1(VALU_DEP_2)
	v_fmac_f32_e32 v86, v110, v81
	v_mul_f32_e32 v80, 0x3fb8aa3b, v80
	s_delay_alu instid0(VALU_DEP_2) | instskip(NEXT) | instid1(VALU_DEP_2)
	v_dual_cndmask_b32 v81, v109, v112 :: v_dual_fmac_f32 v86, v107, v82
	v_exp_f32_e32 v108, v80
	s_delay_alu instid0(VALU_DEP_1) | instskip(SKIP_2) | instid1(VALU_DEP_1)
	v_fmac_f32_e32 v86, v105, v83
	s_waitcnt_depctr 0xfff
	v_fmac_f32_e32 v86, v106, v103
	v_fmac_f32_e32 v86, v108, v104
	s_delay_alu instid0(VALU_DEP_1) | instskip(NEXT) | instid1(VALU_DEP_1)
	v_add_f32_e32 v103, 0x358637bd, v86
	v_div_scale_f32 v104, null, v103, v103, 1.0
	v_div_scale_f32 v109, vcc_lo, 1.0, v103, 1.0
	s_delay_alu instid0(VALU_DEP_2) | instskip(SKIP_2) | instid1(VALU_DEP_1)
	v_rcp_f32_e32 v113, v104
	s_waitcnt_depctr 0xfff
	v_fma_f32 v80, -v104, v113, 1.0
	v_fmac_f32_e32 v113, v80, v113
	v_cndmask_b32_e64 v80, v81, v111, s4
	v_cmp_eq_u32_e64 s4, 4, v78
	v_lshl_or_b32 v81, v78, 11, v79
	s_delay_alu instid0(VALU_DEP_4) | instskip(NEXT) | instid1(VALU_DEP_4)
	v_mul_f32_e32 v111, v109, v113
	v_cndmask_b32_e64 v82, v80, v110, s5
	v_cmp_eq_u32_e64 s5, 6, v78
	s_delay_alu instid0(VALU_DEP_4) | instskip(SKIP_3) | instid1(VALU_DEP_3)
	v_lshl_or_b32 v78, v75, 4, v81
	v_lshlrev_b32_e32 v80, 2, v75
	v_fma_f32 v83, -v104, v111, v109
	v_cndmask_b32_e64 v84, v82, v107, s4
	v_or_b32_e32 v82, 1, v80
	s_delay_alu instid0(VALU_DEP_3) | instskip(NEXT) | instid1(VALU_DEP_3)
	v_fmac_f32_e32 v111, v83, v113
	v_cndmask_b32_e64 v105, v84, v105, s6
	v_or_b32_e32 v84, 2, v80
	v_or_b32_e32 v83, 3, v80
	v_cmp_eq_u32_e64 s4, 1, v80
	v_fma_f32 v104, -v104, v111, v109
	v_cndmask_b32_e64 v105, v105, v106, s5
	v_cmp_eq_u32_e64 s10, 1, v82
	v_cmp_eq_u32_e64 s11, 1, v84
	;; [unrolled: 1-line block ×3, first 2 shown]
	v_div_fmas_f32 v104, v104, v113, v111
	v_cndmask_b32_e64 v105, v105, v108, s7
	v_cmp_eq_u32_e32 vcc_lo, 2, v80
	v_cmp_eq_u32_e64 s13, 2, v82
	v_cmp_eq_u32_e64 s16, 2, v84
	v_div_fixup_f32 v103, v104, v103, 1.0
	v_cmp_eq_u32_e64 s17, 2, v83
	v_cmp_eq_u32_e64 s19, 3, v83
	;; [unrolled: 1-line block ×4, first 2 shown]
	v_mul_f32_e32 v111, v105, v103
	v_cmp_eq_u32_e64 s18, 3, v84
	v_cmp_eq_u32_e64 s23, 4, v83
	;; [unrolled: 1-line block ×4, first 2 shown]
	v_fma_mixlo_f16 v103, v111, v88, 0
	v_fma_mixlo_f16 v104, v111, v90, 0
	;; [unrolled: 1-line block ×8, first 2 shown]
	v_fma_mixhi_f16 v103, v111, v87, 0
	v_fma_mixhi_f16 v104, v111, v89, 0
	;; [unrolled: 1-line block ×8, first 2 shown]
	ds_store_b128 v78, v[103:106]
	ds_store_b128 v78, v[107:110] offset:1024
	s_waitcnt lgkmcnt(0)
	s_barrier
	buffer_gl0_inv
	ds_load_b128 v[87:90], v81
	ds_load_b128 v[91:94], v81 offset:16
	ds_load_b128 v[95:98], v81 offset:1024
	;; [unrolled: 1-line block ×3, first 2 shown]
	v_cmp_eq_u32_e64 s22, 4, v84
	v_cmp_eq_u32_e64 s25, 5, v83
	v_cmp_eq_u32_e64 s7, 5, v80
	v_cmp_eq_u32_e64 s21, 5, v82
	v_cmp_eq_u32_e64 s24, 5, v84
	v_cmp_eq_u32_e64 s28, 6, v83
	v_cmp_eq_u32_e64 s8, 6, v80
	v_cmp_eq_u32_e64 s26, 6, v82
	v_cmp_eq_u32_e64 s27, 6, v84
	v_cmp_eq_u32_e64 s30, 7, v83
	v_cmp_eq_u32_e64 s9, 7, v80
	v_cmp_eq_u32_e64 s29, 7, v84
	v_cmp_eq_u32_e64 s31, 7, v82
	s_waitcnt lgkmcnt(3)
	v_lshrrev_b32_e32 v103, 16, v87
	s_waitcnt lgkmcnt(2)
	v_lshrrev_b32_e32 v107, 16, v91
	;; [unrolled: 2-line block ×4, first 2 shown]
	v_lshrrev_b32_e32 v104, 16, v88
	v_cndmask_b32_e64 v119, v87, v103, s4
	v_cndmask_b32_e64 v120, v91, v107, s4
	;; [unrolled: 1-line block ×8, first 2 shown]
	v_lshrrev_b32_e32 v108, 16, v92
	v_cndmask_b32_e64 v103, v95, v111, s4
	v_cndmask_b32_e64 v107, v99, v115, s4
	;; [unrolled: 1-line block ×5, first 2 shown]
	v_cndmask_b32_e32 v111, v119, v88, vcc_lo
	v_cndmask_b32_e64 v119, v121, v88, s13
	v_cndmask_b32_e64 v121, v123, v88, s16
	;; [unrolled: 1-line block ×4, first 2 shown]
	v_lshrrev_b32_e32 v112, 16, v96
	v_lshrrev_b32_e32 v116, 16, v100
	v_cndmask_b32_e64 v126, v99, v115, s10
	v_cndmask_b32_e64 v128, v99, v115, s11
	;; [unrolled: 1-line block ×3, first 2 shown]
	v_cndmask_b32_e32 v115, v120, v92, vcc_lo
	v_cndmask_b32_e64 v120, v122, v92, s13
	v_cndmask_b32_e64 v122, v124, v92, s16
	v_cndmask_b32_e32 v91, v103, v96, vcc_lo
	v_cndmask_b32_e32 v92, v107, v100, vcc_lo
	v_cndmask_b32_e64 v103, v125, v96, s13
	v_cndmask_b32_e64 v87, v87, v104, s19
	;; [unrolled: 1-line block ×3, first 2 shown]
	v_lshrrev_b32_e32 v105, 16, v89
	v_lshrrev_b32_e32 v109, 16, v93
	v_cndmask_b32_e64 v107, v127, v96, s16
	v_cndmask_b32_e64 v95, v95, v96, s17
	;; [unrolled: 1-line block ×14, first 2 shown]
	v_lshrrev_b32_e32 v113, 16, v97
	v_cndmask_b32_e64 v99, v99, v89, s6
	v_cndmask_b32_e64 v104, v111, v93, s6
	;; [unrolled: 1-line block ×11, first 2 shown]
	v_lshrrev_b32_e32 v106, 16, v90
	v_lshrrev_b32_e32 v110, 16, v94
	v_cndmask_b32_e64 v93, v99, v105, s7
	v_cndmask_b32_e64 v99, v104, v109, s7
	;; [unrolled: 1-line block ×9, first 2 shown]
	v_lshrrev_b32_e32 v114, 16, v98
	v_cndmask_b32_e64 v89, v89, v113, s7
	v_cndmask_b32_e64 v93, v93, v90, s8
	;; [unrolled: 1-line block ×19, first 2 shown]
	v_perm_b32 v90, v88, v87, 0x5040100
	v_cndmask_b32_e64 v87, v126, v100, s13
	v_cndmask_b32_e64 v105, v89, v114, s9
	v_perm_b32 v89, v103, v99, 0x5040100
	v_perm_b32 v88, v104, v94, 0x5040100
	v_cndmask_b32_e64 v94, v107, v112, s18
	v_cndmask_b32_e64 v95, v95, v112, s19
	;; [unrolled: 1-line block ×5, first 2 shown]
	v_lshrrev_b32_e32 v117, 16, v101
	v_cndmask_b32_e64 v94, v94, v97, s22
	v_cndmask_b32_e64 v95, v95, v97, s23
	v_cndmask_b32_e64 v96, v96, v101, s23
	v_cndmask_b32_e64 v97, v99, v101, s22
	v_cndmask_b32_e64 v87, v87, v101, s20
	v_cndmask_b32_e64 v91, v91, v117, s7
	v_cndmask_b32_e64 v94, v94, v113, s24
	v_cndmask_b32_e64 v95, v95, v113, s25
	v_cndmask_b32_e64 v96, v96, v117, s25
	v_cndmask_b32_e64 v97, v97, v117, s24
	v_cndmask_b32_e64 v87, v87, v117, s21
	v_lshrrev_b32_e32 v118, 16, v102
	v_cndmask_b32_e64 v91, v91, v102, s8
	v_cndmask_b32_e64 v94, v94, v98, s27
	;; [unrolled: 1-line block ×12, first 2 shown]
	v_perm_b32 v87, v93, v92, 0x5040100
	v_perm_b32 v94, v95, v94, 0x5040100
	v_perm_b32 v93, v96, v98, 0x5040100
	v_perm_b32 v92, v97, v106, 0x5040100
	v_perm_b32 v91, v91, v105, 0x5040100
	s_mul_i32 s8, s35, 13
	s_mov_b32 s4, exec_lo
	ds_store_b128 v78, v[87:90]
	ds_store_b128 v78, v[91:94] offset:1024
	v_cmpx_gt_u32_e32 13, v0
	s_cbranch_execz .LBB166_16
; %bb.15:
	s_mul_i32 s5, s8, s34
	s_load_b128 s[16:19], s[0:1], 0x58
	v_add3_u32 v77, s5, s33, v77
	s_delay_alu instid0(VALU_DEP_1) | instskip(NEXT) | instid1(VALU_DEP_1)
	v_mad_u64_u32 v[87:88], null, v77, s36, s[14:15]
	v_ashrrev_i32_e32 v88, 31, v87
	s_delay_alu instid0(VALU_DEP_1) | instskip(SKIP_1) | instid1(VALU_DEP_1)
	v_lshlrev_b64 v[87:88], 2, v[87:88]
	s_waitcnt lgkmcnt(0)
	v_add_co_u32 v89, vcc_lo, s18, v87
	s_delay_alu instid0(VALU_DEP_2)
	v_add_co_ci_u32_e32 v90, vcc_lo, s19, v88, vcc_lo
	v_add_co_u32 v87, vcc_lo, s16, v87
	v_add_co_ci_u32_e32 v88, vcc_lo, s17, v88, vcc_lo
	global_store_b32 v[89:90], v85, off
	global_store_b32 v[87:88], v86, off
.LBB166_16:
	s_or_b32 exec_lo, exec_lo, s4
	s_waitcnt lgkmcnt(0)
	s_waitcnt_vscnt null, 0x0
	s_barrier
	buffer_gl0_inv
	ds_load_b128 v[93:96], v79
	ds_load_b128 v[97:100], v79 offset:16
	ds_load_b128 v[105:108], v79 offset:1040
	;; [unrolled: 1-line block ×5, first 2 shown]
	v_cmp_eq_u32_e32 vcc_lo, 1, v84
	v_mov_b32_e32 v85, 0
	ds_load_b128 v[121:124], v79 offset:3088
	ds_load_b128 v[117:120], v79 offset:3072
	;; [unrolled: 1-line block ×4, first 2 shown]
	v_cmp_eq_u32_e64 s4, 1, v80
	v_cmp_eq_u32_e64 s5, 1, v83
	;; [unrolled: 1-line block ×3, first 2 shown]
	v_mov_b32_e32 v86, v85
	v_mov_b32_e32 v87, v85
	;; [unrolled: 1-line block ×7, first 2 shown]
	v_cmp_eq_u32_e64 s7, 2, v80
	s_waitcnt lgkmcnt(8)
	s_delay_alu instid0(VALU_DEP_2)
	v_wmma_f32_16x16x16_f16 v[85:92], v[65:72], v[93:100], v[85:92]
	ds_load_b128 v[69:72], v79 offset:5136
	ds_load_b128 v[65:68], v79 offset:5120
	;; [unrolled: 1-line block ×4, first 2 shown]
	s_waitcnt lgkmcnt(10)
	v_wmma_f32_16x16x16_f16 v[85:92], v[57:64], v[101:108], v[85:92]
	s_waitcnt lgkmcnt(8)
	s_delay_alu instid0(VALU_DEP_1)
	v_wmma_f32_16x16x16_f16 v[85:92], v[57:64], v[109:116], v[85:92]
	ds_load_b128 v[61:64], v79 offset:7184
	ds_load_b128 v[57:60], v79 offset:7168
	;; [unrolled: 1-line block ×4, first 2 shown]
	s_waitcnt lgkmcnt(10)
	v_wmma_f32_16x16x16_f16 v[85:92], v[49:56], v[117:124], v[85:92]
	s_waitcnt lgkmcnt(8)
	s_delay_alu instid0(VALU_DEP_1)
	v_wmma_f32_16x16x16_f16 v[85:92], v[49:56], v[125:132], v[85:92]
	ds_load_b128 v[53:56], v79 offset:9232
	ds_load_b128 v[49:52], v79 offset:9216
	s_waitcnt lgkmcnt(8)
	v_wmma_f32_16x16x16_f16 v[85:92], v[41:48], v[65:72], v[85:92]
	ds_load_b128 v[69:72], v79 offset:10256
	ds_load_b128 v[65:68], v79 offset:10240
	s_waitcnt lgkmcnt(8)
	;; [unrolled: 4-line block ×7, first 2 shown]
	s_barrier
	buffer_gl0_inv
	v_wmma_f32_16x16x16_f16 v[85:92], v[33:40], v[41:48], v[85:92]
	s_delay_alu instid0(VALU_DEP_1) | instskip(NEXT) | instid1(VALU_DEP_1)
	v_wmma_f32_16x16x16_f16 v[85:92], v[33:40], v[57:64], v[85:92]
	v_wmma_f32_16x16x16_f16 v[85:92], v[25:32], v[9:16], v[85:92]
	s_delay_alu instid0(VALU_DEP_1) | instskip(NEXT) | instid1(VALU_DEP_1)
	v_wmma_f32_16x16x16_f16 v[85:92], v[25:32], v[49:56], v[85:92]
	v_wmma_f32_16x16x16_f16 v[85:92], v[17:24], v[1:8], v[85:92]
	s_delay_alu instid0(VALU_DEP_1) | instskip(NEXT) | instid1(VALU_DEP_2)
	v_cvt_f16_f32_e32 v1, v85
	v_cvt_f16_f32_e32 v2, v86
	s_delay_alu instid0(VALU_DEP_3) | instskip(NEXT) | instid1(VALU_DEP_4)
	v_cvt_f16_f32_e32 v3, v87
	v_cvt_f16_f32_e32 v4, v88
	;; [unrolled: 1-line block ×6, first 2 shown]
	v_pack_b32_f16 v1, v1, v2
	v_pack_b32_f16 v2, v3, v4
	;; [unrolled: 1-line block ×3, first 2 shown]
	s_delay_alu instid0(VALU_DEP_4)
	v_pack_b32_f16 v4, v7, v8
	ds_store_b128 v78, v[1:4]
	s_waitcnt lgkmcnt(0)
	s_barrier
	buffer_gl0_inv
	ds_load_b128 v[1:4], v81
	ds_load_b128 v[5:8], v81 offset:16
	s_waitcnt lgkmcnt(1)
	v_lshrrev_b32_e32 v9, 16, v1
	s_waitcnt lgkmcnt(0)
	v_lshrrev_b32_e32 v13, 16, v5
	v_lshrrev_b32_e32 v15, 16, v7
	;; [unrolled: 1-line block ×4, first 2 shown]
	v_cndmask_b32_e64 v17, v1, v9, s4
	v_cndmask_b32_e64 v18, v5, v13, s4
	;; [unrolled: 1-line block ×3, first 2 shown]
	v_cmp_eq_u32_e64 s4, 2, v82
	v_cndmask_b32_e64 v20, v5, v13, s6
	v_cndmask_b32_e32 v21, v1, v9, vcc_lo
	v_cndmask_b32_e32 v22, v5, v13, vcc_lo
	v_cndmask_b32_e64 v1, v1, v9, s5
	v_cndmask_b32_e64 v5, v5, v13, s5
	v_cmp_eq_u32_e32 vcc_lo, 2, v84
	v_cmp_eq_u32_e64 s5, 2, v83
	v_cndmask_b32_e64 v9, v17, v2, s7
	v_cndmask_b32_e64 v13, v18, v6, s7
	;; [unrolled: 1-line block ×4, first 2 shown]
	v_cndmask_b32_e32 v19, v21, v2, vcc_lo
	v_cmp_eq_u32_e64 s4, 3, v84
	v_cndmask_b32_e32 v20, v22, v6, vcc_lo
	v_cndmask_b32_e64 v1, v1, v2, s5
	v_cmp_eq_u32_e32 vcc_lo, 3, v83
	v_cmp_eq_u32_e64 s6, 3, v80
	v_cndmask_b32_e64 v2, v5, v6, s5
	v_cmp_eq_u32_e64 s5, 3, v82
	v_lshrrev_b32_e32 v16, 16, v8
	v_cmp_eq_u32_e64 s7, 4, v80
	v_cndmask_b32_e64 v5, v9, v10, s6
	v_cndmask_b32_e64 v6, v13, v14, s6
	;; [unrolled: 1-line block ×3, first 2 shown]
	v_cmp_eq_u32_e64 s6, 4, v82
	v_cndmask_b32_e64 v13, v18, v14, s5
	v_cndmask_b32_e64 v17, v19, v10, s4
	v_cndmask_b32_e64 v18, v20, v14, s4
	v_cndmask_b32_e32 v1, v1, v10, vcc_lo
	v_cndmask_b32_e32 v2, v2, v14, vcc_lo
	v_cmp_eq_u32_e32 vcc_lo, 4, v84
	v_cmp_eq_u32_e64 s5, 4, v83
	v_lshrrev_b32_e32 v11, 16, v3
	v_cndmask_b32_e64 v5, v5, v3, s7
	v_cndmask_b32_e64 v6, v6, v7, s7
	;; [unrolled: 1-line block ×4, first 2 shown]
	v_cndmask_b32_e32 v13, v17, v3, vcc_lo
	v_cmp_eq_u32_e64 s4, 5, v84
	v_cndmask_b32_e32 v14, v18, v7, vcc_lo
	v_cndmask_b32_e64 v1, v1, v3, s5
	v_cmp_eq_u32_e32 vcc_lo, 5, v83
	v_cmp_eq_u32_e64 s6, 5, v80
	v_cndmask_b32_e64 v2, v2, v7, s5
	v_cmp_eq_u32_e64 s5, 5, v82
	v_cmp_eq_u32_e64 s7, 6, v80
	v_cndmask_b32_e32 v1, v1, v11, vcc_lo
	v_cndmask_b32_e64 v3, v5, v11, s6
	v_cndmask_b32_e64 v5, v6, v15, s6
	;; [unrolled: 1-line block ×3, first 2 shown]
	v_cmp_eq_u32_e64 s6, 6, v82
	v_cndmask_b32_e64 v7, v10, v15, s5
	v_cndmask_b32_e64 v9, v13, v11, s4
	;; [unrolled: 1-line block ×3, first 2 shown]
	v_cndmask_b32_e32 v2, v2, v15, vcc_lo
	v_cmp_eq_u32_e32 vcc_lo, 6, v84
	v_cmp_eq_u32_e64 s4, 6, v83
	v_lshrrev_b32_e32 v12, 16, v4
	v_cndmask_b32_e64 v3, v3, v4, s7
	v_cndmask_b32_e64 v5, v5, v8, s7
	;; [unrolled: 1-line block ×4, first 2 shown]
	v_cndmask_b32_e32 v9, v9, v4, vcc_lo
	v_cmp_eq_u32_e64 s5, 7, v84
	v_cndmask_b32_e32 v10, v10, v8, vcc_lo
	v_cndmask_b32_e64 v1, v1, v4, s4
	v_cmp_eq_u32_e32 vcc_lo, 7, v83
	v_cndmask_b32_e64 v2, v2, v8, s4
	v_cmp_eq_u32_e64 s4, 7, v80
	v_cmp_eq_u32_e64 s6, 7, v82
	v_cndmask_b32_e32 v1, v1, v12, vcc_lo
	s_delay_alu instid0(VALU_DEP_4) | instskip(NEXT) | instid1(VALU_DEP_4)
	v_cndmask_b32_e32 v2, v2, v16, vcc_lo
	v_cndmask_b32_e64 v8, v3, v12, s4
	s_delay_alu instid0(VALU_DEP_4)
	v_cndmask_b32_e64 v6, v6, v12, s6
	v_cndmask_b32_e64 v3, v9, v12, s5
	v_cndmask_b32_e64 v9, v10, v16, s5
	v_cndmask_b32_e64 v7, v7, v16, s6
	v_cndmask_b32_e64 v5, v5, v16, s4
	v_cmp_gt_u32_e32 vcc_lo, 32, v0
	v_perm_b32 v4, v2, v1, 0x5040100
	v_perm_b32 v3, v9, v3, 0x5040100
	;; [unrolled: 1-line block ×4, first 2 shown]
	s_and_b32 s2, vcc_lo, s2
	ds_store_b128 v78, v[1:4]
	s_waitcnt lgkmcnt(0)
	s_barrier
	buffer_gl0_inv
	s_and_saveexec_b32 s4, s2
	s_cbranch_execz .LBB166_2
; %bb.17:
	s_load_b64 s[4:5], s[0:1], 0x68
	v_lshlrev_b32_e32 v0, 10, v0
	v_lshlrev_b32_e32 v1, 4, v76
	s_lshl_b32 s0, s36, 6
	v_add_nc_u32_e32 v18, s33, v75
	s_mul_i32 s1, s0, s34
	s_delay_alu instid0(VALU_DEP_2) | instskip(SKIP_1) | instid1(VALU_DEP_2)
	v_and_or_b32 v0, 0x3800, v0, v1
	s_mul_i32 s6, s1, s8
	v_mul_lo_u32 v1, v18, s0
	s_ashr_i32 s7, s6, 31
	v_add_nc_u32_e32 v2, 2, v18
	v_lshl_or_b32 v19, v75, 6, v0
	s_lshl_b64 s[6:7], s[6:7], 1
	v_add_nc_u32_e32 v8, 4, v18
	v_add_nc_u32_e32 v15, 6, v18
	v_mul_lo_u32 v7, v2, s0
	ds_load_b128 v[3:6], v19
	v_ashrrev_i32_e32 v2, 31, v1
	v_mul_lo_u32 v11, v8, s0
	s_waitcnt lgkmcnt(0)
	s_add_u32 s1, s4, s6
	s_addc_u32 s2, s5, s7
	s_lshl_b32 s4, s14, 6
	v_lshlrev_b64 v[9:10], 1, v[1:2]
	s_ashr_i32 s5, s4, 31
	v_ashrrev_i32_e32 v8, 31, v7
	s_lshl_b64 s[4:5], s[4:5], 1
	v_ashrrev_i32_e32 v12, 31, v11
	s_add_u32 s1, s1, s4
	s_addc_u32 s2, s2, s5
	v_add_co_u32 v1, vcc_lo, s1, v73
	v_add_co_ci_u32_e32 v2, vcc_lo, s2, v74, vcc_lo
	v_mul_lo_u32 v15, v15, s0
	s_delay_alu instid0(VALU_DEP_3) | instskip(NEXT) | instid1(VALU_DEP_3)
	v_add_co_u32 v13, vcc_lo, v1, v9
	v_add_co_ci_u32_e32 v14, vcc_lo, v2, v10, vcc_lo
	v_lshlrev_b64 v[16:17], 1, v[7:8]
	ds_load_b128 v[7:10], v19 offset:128
	global_store_b128 v[13:14], v[3:6], off
	v_add_nc_u32_e32 v5, 8, v18
	v_lshlrev_b64 v[3:4], 1, v[11:12]
	v_add_co_u32 v23, vcc_lo, v1, v16
	v_ashrrev_i32_e32 v16, 31, v15
	s_delay_alu instid0(VALU_DEP_4) | instskip(SKIP_3) | instid1(VALU_DEP_3)
	v_mul_lo_u32 v25, v5, s0
	v_add_nc_u32_e32 v5, 10, v18
	v_add_co_ci_u32_e32 v24, vcc_lo, v2, v17, vcc_lo
	v_add_co_u32 v27, vcc_lo, v1, v3
	v_mul_lo_u32 v29, v5, s0
	v_add_co_ci_u32_e32 v28, vcc_lo, v2, v4, vcc_lo
	v_lshlrev_b64 v[31:32], 1, v[15:16]
	ds_load_b128 v[3:6], v19 offset:256
	ds_load_b128 v[11:14], v19 offset:384
	;; [unrolled: 1-line block ×4, first 2 shown]
	v_ashrrev_i32_e32 v26, 31, v25
	v_ashrrev_i32_e32 v30, 31, v29
	v_add_co_u32 v31, vcc_lo, v1, v31
	s_delay_alu instid0(VALU_DEP_3) | instskip(SKIP_1) | instid1(VALU_DEP_4)
	v_lshlrev_b64 v[25:26], 1, v[25:26]
	v_add_co_ci_u32_e32 v32, vcc_lo, v2, v32, vcc_lo
	v_lshlrev_b64 v[29:30], 1, v[29:30]
	s_delay_alu instid0(VALU_DEP_3) | instskip(NEXT) | instid1(VALU_DEP_4)
	v_add_co_u32 v25, vcc_lo, v1, v25
	v_add_co_ci_u32_e32 v26, vcc_lo, v2, v26, vcc_lo
	s_delay_alu instid0(VALU_DEP_3) | instskip(NEXT) | instid1(VALU_DEP_4)
	v_add_co_u32 v29, vcc_lo, v1, v29
	v_add_co_ci_u32_e32 v30, vcc_lo, v2, v30, vcc_lo
	s_waitcnt lgkmcnt(4)
	global_store_b128 v[23:24], v[7:10], off
	s_waitcnt lgkmcnt(3)
	global_store_b128 v[27:28], v[3:6], off
	;; [unrolled: 2-line block ×5, first 2 shown]
	s_and_b32 exec_lo, exec_lo, s3
	s_cbranch_execz .LBB166_2
; %bb.18:
	ds_load_b128 v[3:6], v0 offset:768
	s_add_i32 s1, s33, 12
	s_delay_alu instid0(SALU_CYCLE_1) | instskip(NEXT) | instid1(SALU_CYCLE_1)
	s_mul_i32 s0, s1, s0
	s_ashr_i32 s1, s0, 31
	s_delay_alu instid0(SALU_CYCLE_1) | instskip(NEXT) | instid1(SALU_CYCLE_1)
	s_lshl_b64 s[0:1], s[0:1], 1
	v_add_co_u32 v0, vcc_lo, v1, s0
	v_add_co_ci_u32_e32 v1, vcc_lo, s1, v2, vcc_lo
	s_waitcnt lgkmcnt(0)
	global_store_b128 v[0:1], v[3:6], off
	s_nop 0
	s_sendmsg sendmsg(MSG_DEALLOC_VGPRS)
	s_endpgm
	.section	.rodata,"a",@progbits
	.p2align	6, 0x0
	.amdhsa_kernel _Z39paged_attention_ll4mi_QKV_mfma16_kernelIDF16_DF16_LN4vllm18Fp8KVCacheDataTypeE0EDF16_Li32ELi64ELi256ELb1ELi13EL8MFMAType0EEvPKT_PKT0_S8_ifPKiSA_SA_iPKfiiiPfSD_PS3_PT2_iSC_SC_
		.amdhsa_group_segment_fixed_size 17472
		.amdhsa_private_segment_fixed_size 0
		.amdhsa_kernarg_size 400
		.amdhsa_user_sgpr_count 13
		.amdhsa_user_sgpr_dispatch_ptr 0
		.amdhsa_user_sgpr_queue_ptr 0
		.amdhsa_user_sgpr_kernarg_segment_ptr 1
		.amdhsa_user_sgpr_dispatch_id 0
		.amdhsa_user_sgpr_private_segment_size 0
		.amdhsa_wavefront_size32 1
		.amdhsa_uses_dynamic_stack 0
		.amdhsa_enable_private_segment 0
		.amdhsa_system_sgpr_workgroup_id_x 1
		.amdhsa_system_sgpr_workgroup_id_y 1
		.amdhsa_system_sgpr_workgroup_id_z 1
		.amdhsa_system_sgpr_workgroup_info 0
		.amdhsa_system_vgpr_workitem_id 0
		.amdhsa_next_free_vgpr 154
		.amdhsa_next_free_sgpr 39
		.amdhsa_reserve_vcc 1
		.amdhsa_float_round_mode_32 0
		.amdhsa_float_round_mode_16_64 0
		.amdhsa_float_denorm_mode_32 3
		.amdhsa_float_denorm_mode_16_64 3
		.amdhsa_dx10_clamp 1
		.amdhsa_ieee_mode 1
		.amdhsa_fp16_overflow 0
		.amdhsa_workgroup_processor_mode 1
		.amdhsa_memory_ordered 1
		.amdhsa_forward_progress 0
		.amdhsa_shared_vgpr_count 0
		.amdhsa_exception_fp_ieee_invalid_op 0
		.amdhsa_exception_fp_denorm_src 0
		.amdhsa_exception_fp_ieee_div_zero 0
		.amdhsa_exception_fp_ieee_overflow 0
		.amdhsa_exception_fp_ieee_underflow 0
		.amdhsa_exception_fp_ieee_inexact 0
		.amdhsa_exception_int_div_zero 0
	.end_amdhsa_kernel
	.section	.text._Z39paged_attention_ll4mi_QKV_mfma16_kernelIDF16_DF16_LN4vllm18Fp8KVCacheDataTypeE0EDF16_Li32ELi64ELi256ELb1ELi13EL8MFMAType0EEvPKT_PKT0_S8_ifPKiSA_SA_iPKfiiiPfSD_PS3_PT2_iSC_SC_,"axG",@progbits,_Z39paged_attention_ll4mi_QKV_mfma16_kernelIDF16_DF16_LN4vllm18Fp8KVCacheDataTypeE0EDF16_Li32ELi64ELi256ELb1ELi13EL8MFMAType0EEvPKT_PKT0_S8_ifPKiSA_SA_iPKfiiiPfSD_PS3_PT2_iSC_SC_,comdat
.Lfunc_end166:
	.size	_Z39paged_attention_ll4mi_QKV_mfma16_kernelIDF16_DF16_LN4vllm18Fp8KVCacheDataTypeE0EDF16_Li32ELi64ELi256ELb1ELi13EL8MFMAType0EEvPKT_PKT0_S8_ifPKiSA_SA_iPKfiiiPfSD_PS3_PT2_iSC_SC_, .Lfunc_end166-_Z39paged_attention_ll4mi_QKV_mfma16_kernelIDF16_DF16_LN4vllm18Fp8KVCacheDataTypeE0EDF16_Li32ELi64ELi256ELb1ELi13EL8MFMAType0EEvPKT_PKT0_S8_ifPKiSA_SA_iPKfiiiPfSD_PS3_PT2_iSC_SC_
                                        ; -- End function
	.section	.AMDGPU.csdata,"",@progbits
; Kernel info:
; codeLenInByte = 7432
; NumSgprs: 41
; NumVgprs: 154
; ScratchSize: 0
; MemoryBound: 0
; FloatMode: 240
; IeeeMode: 1
; LDSByteSize: 17472 bytes/workgroup (compile time only)
; SGPRBlocks: 5
; VGPRBlocks: 19
; NumSGPRsForWavesPerEU: 41
; NumVGPRsForWavesPerEU: 154
; Occupancy: 9
; WaveLimiterHint : 1
; COMPUTE_PGM_RSRC2:SCRATCH_EN: 0
; COMPUTE_PGM_RSRC2:USER_SGPR: 13
; COMPUTE_PGM_RSRC2:TRAP_HANDLER: 0
; COMPUTE_PGM_RSRC2:TGID_X_EN: 1
; COMPUTE_PGM_RSRC2:TGID_Y_EN: 1
; COMPUTE_PGM_RSRC2:TGID_Z_EN: 1
; COMPUTE_PGM_RSRC2:TIDIG_COMP_CNT: 0
	.section	.text._Z39paged_attention_ll4mi_QKV_mfma16_kernelIDF16_DF16_LN4vllm18Fp8KVCacheDataTypeE0EDF16_Li32ELi64ELi256ELb1ELi14EL8MFMAType0EEvPKT_PKT0_S8_ifPKiSA_SA_iPKfiiiPfSD_PS3_PT2_iSC_SC_,"axG",@progbits,_Z39paged_attention_ll4mi_QKV_mfma16_kernelIDF16_DF16_LN4vllm18Fp8KVCacheDataTypeE0EDF16_Li32ELi64ELi256ELb1ELi14EL8MFMAType0EEvPKT_PKT0_S8_ifPKiSA_SA_iPKfiiiPfSD_PS3_PT2_iSC_SC_,comdat
	.protected	_Z39paged_attention_ll4mi_QKV_mfma16_kernelIDF16_DF16_LN4vllm18Fp8KVCacheDataTypeE0EDF16_Li32ELi64ELi256ELb1ELi14EL8MFMAType0EEvPKT_PKT0_S8_ifPKiSA_SA_iPKfiiiPfSD_PS3_PT2_iSC_SC_ ; -- Begin function _Z39paged_attention_ll4mi_QKV_mfma16_kernelIDF16_DF16_LN4vllm18Fp8KVCacheDataTypeE0EDF16_Li32ELi64ELi256ELb1ELi14EL8MFMAType0EEvPKT_PKT0_S8_ifPKiSA_SA_iPKfiiiPfSD_PS3_PT2_iSC_SC_
	.globl	_Z39paged_attention_ll4mi_QKV_mfma16_kernelIDF16_DF16_LN4vllm18Fp8KVCacheDataTypeE0EDF16_Li32ELi64ELi256ELb1ELi14EL8MFMAType0EEvPKT_PKT0_S8_ifPKiSA_SA_iPKfiiiPfSD_PS3_PT2_iSC_SC_
	.p2align	8
	.type	_Z39paged_attention_ll4mi_QKV_mfma16_kernelIDF16_DF16_LN4vllm18Fp8KVCacheDataTypeE0EDF16_Li32ELi64ELi256ELb1ELi14EL8MFMAType0EEvPKT_PKT0_S8_ifPKiSA_SA_iPKfiiiPfSD_PS3_PT2_iSC_SC_,@function
_Z39paged_attention_ll4mi_QKV_mfma16_kernelIDF16_DF16_LN4vllm18Fp8KVCacheDataTypeE0EDF16_Li32ELi64ELi256ELb1ELi14EL8MFMAType0EEvPKT_PKT0_S8_ifPKiSA_SA_iPKfiiiPfSD_PS3_PT2_iSC_SC_: ; @_Z39paged_attention_ll4mi_QKV_mfma16_kernelIDF16_DF16_LN4vllm18Fp8KVCacheDataTypeE0EDF16_Li32ELi64ELi256ELb1ELi14EL8MFMAType0EEvPKT_PKT0_S8_ifPKiSA_SA_iPKfiiiPfSD_PS3_PT2_iSC_SC_
; %bb.0:
	s_load_b64 s[2:3], s[0:1], 0x30
	s_mov_b32 s34, s13
	s_waitcnt lgkmcnt(0)
	s_cmp_lg_u64 s[2:3], 0
	s_cselect_b32 s6, -1, 0
	s_ashr_i32 s35, s13, 31
	s_cmp_eq_u64 s[2:3], 0
	s_cbranch_scc1 .LBB167_3
; %bb.1:
	s_lshl_b64 s[4:5], s[34:35], 2
	s_delay_alu instid0(SALU_CYCLE_1) | instskip(SKIP_4) | instid1(SALU_CYCLE_1)
	s_add_u32 s4, s2, s4
	s_addc_u32 s5, s3, s5
	s_load_b64 s[4:5], s[4:5], 0x0
	s_waitcnt lgkmcnt(0)
	s_sub_i32 s4, s5, s4
	s_cmp_eq_u32 s4, 1
	s_cselect_b32 s4, -1, 0
	s_delay_alu instid0(SALU_CYCLE_1)
	s_and_not1_b32 vcc_lo, exec_lo, s4
	s_cbranch_vccz .LBB167_4
.LBB167_2:
	s_endpgm
.LBB167_3:
.LBB167_4:
	s_load_b64 s[8:9], s[0:1], 0x28
	s_lshl_b64 s[4:5], s[34:35], 2
	s_waitcnt lgkmcnt(0)
	s_add_u32 s8, s8, s4
	s_addc_u32 s9, s9, s5
	s_lshl_b32 s16, s14, 8
	s_load_b32 s18, s[8:9], 0x0
	s_waitcnt lgkmcnt(0)
	s_cmp_ge_i32 s16, s18
	s_cbranch_scc1 .LBB167_2
; %bb.5:
	s_and_not1_b32 vcc_lo, exec_lo, s6
	s_cbranch_vccnz .LBB167_7
; %bb.6:
	s_add_u32 s2, s2, s4
	s_addc_u32 s3, s3, s5
	s_load_b32 s17, s[2:3], 0x0
	s_branch .LBB167_8
.LBB167_7:
	s_mov_b32 s17, s34
.LBB167_8:
	s_clause 0x2
	s_load_b128 s[8:11], s[0:1], 0x8
	s_load_b64 s[12:13], s[0:1], 0x20
	s_load_b128 s[4:7], s[0:1], 0x48
	v_and_b32_e32 v77, 15, v0
	v_cmp_lt_u32_e32 vcc_lo, 0xdf, v0
	s_delay_alu instid0(VALU_DEP_2) | instskip(SKIP_2) | instid1(VALU_DEP_3)
	v_cmp_lt_u32_e64 s3, 7, v77
	v_lshlrev_b32_e32 v1, 3, v77
	v_cmp_gt_u32_e64 s2, 8, v77
	s_or_b32 s3, vcc_lo, s3
	s_waitcnt lgkmcnt(0)
	s_and_saveexec_b32 s7, s3
	s_delay_alu instid0(SALU_CYCLE_1)
	s_xor_b32 s3, exec_lo, s7
; %bb.9:
	v_mov_b32_e32 v2, 0
; %bb.10:
	s_or_saveexec_b32 s3, s3
	v_lshrrev_b32_e32 v79, 5, v0
	v_and_b32_e32 v80, 31, v0
	v_and_b32_e32 v76, 1, v0
	v_bfe_u32 v75, v0, 4, 1
	s_mul_i32 s31, s15, 14
	s_xor_b32 exec_lo, exec_lo, s3
	s_cbranch_execz .LBB167_12
; %bb.11:
	s_load_b64 s[20:21], s[0:1], 0x0
	v_lshl_or_b32 v7, v79, 1, v75
	s_mul_hi_i32 s23, s17, s4
	s_mul_i32 s22, s17, s4
	v_lshlrev_b32_e32 v4, 1, v1
	s_lshl_b64 s[22:23], s[22:23], 1
	v_add_lshl_u32 v2, v7, s31, 6
	v_lshlrev_b32_e32 v7, 6, v7
	v_lshlrev_b32_e32 v8, 10, v76
	s_delay_alu instid0(VALU_DEP_3) | instskip(NEXT) | instid1(VALU_DEP_1)
	v_ashrrev_i32_e32 v3, 31, v2
	v_lshlrev_b64 v[2:3], 1, v[2:3]
	s_waitcnt lgkmcnt(0)
	s_add_u32 s4, s20, s22
	s_addc_u32 s7, s21, s23
	s_delay_alu instid0(VALU_DEP_1) | instskip(NEXT) | instid1(VALU_DEP_2)
	v_add_co_u32 v2, vcc_lo, s4, v2
	v_add_co_ci_u32_e32 v3, vcc_lo, s7, v3, vcc_lo
	s_delay_alu instid0(VALU_DEP_2) | instskip(NEXT) | instid1(VALU_DEP_2)
	v_add_co_u32 v2, vcc_lo, v2, v4
	v_add_co_ci_u32_e32 v3, vcc_lo, 0, v3, vcc_lo
	global_load_b128 v[3:6], v[2:3], off
	v_lshlrev_b32_e32 v2, 10, v77
	s_delay_alu instid0(VALU_DEP_1) | instskip(NEXT) | instid1(VALU_DEP_1)
	v_and_b32_e32 v2, 0x3800, v2
	v_or3_b32 v7, v2, v8, v7
	v_mov_b32_e32 v2, 0
	s_waitcnt vmcnt(0)
	ds_store_b128 v7, v[3:6]
.LBB167_12:
	s_or_b32 exec_lo, exec_lo, s3
	v_and_b32_e32 v3, 0xef, v0
	s_add_i32 s3, s18, 31
	s_clause 0x1
	s_load_b32 s4, s[0:1], 0x38
	s_load_b32 s33, s[0:1], 0x98
	s_ashr_i32 s7, s3, 31
	v_add_nc_u32_e32 v3, s16, v3
	s_lshr_b32 s7, s7, 27
	s_load_b32 s19, s[0:1], 0x1c
	s_add_i32 s3, s3, s7
	s_waitcnt lgkmcnt(0)
	v_ashrrev_i32_e32 v4, 31, v3
	v_cmp_gt_i32_e32 vcc_lo, s18, v3
	s_ashr_i32 s3, s3, 5
	s_barrier
	s_add_i32 s3, s3, -1
	v_lshrrev_b32_e32 v5, 27, v4
	v_or_b32_e32 v4, 16, v3
	buffer_gl0_inv
	s_mul_i32 s6, s15, s6
	v_lshlrev_b64 v[73:74], 1, v[1:2]
	v_add_nc_u32_e32 v6, v3, v5
	v_add_nc_u32_e32 v5, v4, v5
	s_mul_i32 s20, s34, s4
	v_lshlrev_b32_e32 v78, 6, v77
	s_ashr_i32 s21, s20, 31
	v_ashrrev_i32_e32 v6, 5, v6
	v_ashrrev_i32_e32 v5, 5, v5
	s_lshl_b64 s[20:21], s[20:21], 2
	v_lshl_or_b32 v33, v79, 10, v78
	s_add_u32 s4, s12, s20
	v_cndmask_b32_e32 v3, s3, v6, vcc_lo
	v_cmp_gt_i32_e32 vcc_lo, s18, v4
	s_addc_u32 s17, s13, s21
	s_ashr_i32 s7, s6, 31
	s_delay_alu instid0(VALU_DEP_2) | instskip(SKIP_2) | instid1(SALU_CYCLE_1)
	v_ashrrev_i32_e32 v4, 31, v3
	v_cndmask_b32_e32 v5, s3, v5, vcc_lo
	s_lshl_b64 s[6:7], s[6:7], 1
	s_add_u32 s15, s8, s6
	s_delay_alu instid0(VALU_DEP_2) | instskip(NEXT) | instid1(VALU_DEP_2)
	v_lshlrev_b64 v[3:4], 2, v[3:4]
	v_ashrrev_i32_e32 v6, 31, v5
	s_addc_u32 s28, s9, s7
	s_lshl_b32 s8, s14, 3
	s_delay_alu instid0(SALU_CYCLE_1) | instskip(NEXT) | instid1(VALU_DEP_1)
	s_ashr_i32 s9, s8, 31
	v_lshlrev_b64 v[5:6], 2, v[5:6]
	v_add_co_u32 v3, vcc_lo, s4, v3
	v_add_co_ci_u32_e32 v4, vcc_lo, s17, v4, vcc_lo
	s_lshl_b64 s[8:9], s[8:9], 2
	s_delay_alu instid0(VALU_DEP_3) | instskip(NEXT) | instid1(VALU_DEP_4)
	v_add_co_u32 v5, vcc_lo, s4, v5
	v_add_co_ci_u32_e32 v6, vcc_lo, s17, v6, vcc_lo
	s_add_u32 s8, s4, s8
	s_clause 0x1
	global_load_b32 v7, v[3:4], off
	global_load_b32 v8, v[5:6], off
	s_addc_u32 s9, s17, s9
	s_or_b32 s12, s16, 32
	s_delay_alu instid0(SALU_CYCLE_1) | instskip(SKIP_2) | instid1(SALU_CYCLE_1)
	s_ashr_i32 s13, s12, 5
	s_cmp_lt_i32 s12, s18
	s_cselect_b32 s12, s13, s3
	s_ashr_i32 s13, s12, 31
	s_delay_alu instid0(SALU_CYCLE_1) | instskip(NEXT) | instid1(SALU_CYCLE_1)
	s_lshl_b64 s[12:13], s[12:13], 2
	s_add_u32 s12, s4, s12
	s_addc_u32 s13, s17, s13
	s_or_b32 s20, s16, 64
	s_delay_alu instid0(SALU_CYCLE_1) | instskip(SKIP_2) | instid1(SALU_CYCLE_1)
	s_ashr_i32 s21, s20, 5
	s_cmp_lt_i32 s20, s18
	s_cselect_b32 s20, s21, s3
	s_ashr_i32 s21, s20, 31
	s_delay_alu instid0(SALU_CYCLE_1) | instskip(NEXT) | instid1(SALU_CYCLE_1)
	s_lshl_b64 s[20:21], s[20:21], 2
	s_add_u32 s20, s4, s20
	;; [unrolled: 10-line block ×5, first 2 shown]
	s_addc_u32 s27, s17, s27
	s_clause 0x5
	s_load_b32 s29, s[8:9], 0x0
	s_load_b32 s30, s[12:13], 0x0
	;; [unrolled: 1-line block ×6, first 2 shown]
	s_or_b32 s8, s16, 0xc0
	s_mov_b32 s20, 0
	s_ashr_i32 s9, s8, 5
	s_cmp_lt_i32 s8, s18
	s_mov_b32 s27, s20
	s_cselect_b32 s8, s9, s3
	s_mov_b32 s21, s20
	s_ashr_i32 s9, s8, 31
	s_mov_b32 s22, s20
	s_lshl_b64 s[8:9], s[8:9], 2
	s_mov_b32 s23, s20
	s_add_u32 s8, s4, s8
	s_mov_b32 s24, s20
	s_mov_b32 s25, s20
	;; [unrolled: 1-line block ×3, first 2 shown]
	s_addc_u32 s9, s17, s9
	v_dual_mov_b32 v128, s27 :: v_dual_mov_b32 v127, s26
	v_dual_mov_b32 v126, s25 :: v_dual_mov_b32 v125, s24
	;; [unrolled: 1-line block ×3, first 2 shown]
	v_mov_b32_e32 v121, s20
	s_waitcnt lgkmcnt(0)
	s_mul_hi_i32 s13, s29, s5
	s_mul_i32 s12, s29, s5
	v_mov_b32_e32 v122, s21
	s_mul_hi_i32 s21, s30, s5
	s_mul_i32 s20, s30, s5
	s_mul_hi_i32 s25, s35, s5
	s_mul_i32 s24, s35, s5
	s_mul_hi_i32 s27, s36, s5
	s_mul_i32 s26, s36, s5
	s_mul_i32 s36, s38, s5
	s_waitcnt vmcnt(1)
	v_mad_i64_i32 v[3:4], null, v7, s5, 0
	s_waitcnt vmcnt(0)
	v_mad_i64_i32 v[5:6], null, v8, s5, 0
	s_delay_alu instid0(VALU_DEP_2) | instskip(NEXT) | instid1(VALU_DEP_2)
	v_lshlrev_b64 v[3:4], 1, v[3:4]
	v_lshlrev_b64 v[1:2], 1, v[5:6]
	s_delay_alu instid0(VALU_DEP_2) | instskip(NEXT) | instid1(VALU_DEP_3)
	v_add_co_u32 v3, vcc_lo, s15, v3
	v_add_co_ci_u32_e32 v4, vcc_lo, s28, v4, vcc_lo
	s_delay_alu instid0(VALU_DEP_3) | instskip(NEXT) | instid1(VALU_DEP_4)
	v_add_co_u32 v1, vcc_lo, s15, v1
	v_add_co_ci_u32_e32 v2, vcc_lo, s28, v2, vcc_lo
	s_delay_alu instid0(VALU_DEP_4) | instskip(NEXT) | instid1(VALU_DEP_4)
	v_add_co_u32 v25, vcc_lo, v3, v73
	v_add_co_ci_u32_e32 v26, vcc_lo, v4, v74, vcc_lo
	s_delay_alu instid0(VALU_DEP_4) | instskip(NEXT) | instid1(VALU_DEP_4)
	v_add_co_u32 v27, vcc_lo, v1, v73
	v_add_co_ci_u32_e32 v28, vcc_lo, v2, v74, vcc_lo
	s_clause 0xf
	global_load_b128 v[1:4], v[25:26], off
	global_load_b128 v[5:8], v[25:26], off offset:512
	global_load_b128 v[9:12], v[27:28], off offset:256
	;; [unrolled: 1-line block ×15, first 2 shown]
	s_or_b32 s15, s16, 0xe0
	v_add_nc_u32_e32 v25, -14, v77
	s_ashr_i32 s22, s15, 5
	s_cmp_lt_i32 s15, s18
	v_cmp_gt_u32_e32 vcc_lo, 14, v77
	s_cselect_b32 s22, s22, s3
	s_delay_alu instid0(SALU_CYCLE_1) | instskip(NEXT) | instid1(SALU_CYCLE_1)
	s_ashr_i32 s23, s22, 31
	s_lshl_b64 s[22:23], s[22:23], 2
	v_cndmask_b32_e32 v25, v25, v77, vcc_lo
	s_add_u32 s22, s4, s22
	s_addc_u32 s23, s17, s23
	s_add_i32 s15, s16, 0x100
	s_delay_alu instid0(SALU_CYCLE_1)
	s_ashr_i32 s28, s15, 5
	s_cmp_lt_i32 s15, s18
	v_lshlrev_b32_e32 v151, 6, v25
	s_cselect_b32 s28, s28, s3
	ds_load_b128 v[25:28], v151
	ds_load_b128 v[29:32], v151 offset:1024
	s_ashr_i32 s29, s28, 31
	ds_load_b128 v[129:132], v151 offset:2048
	ds_load_b128 v[133:136], v151 offset:3072
	s_lshl_b64 s[28:29], s[28:29], 2
	s_load_b32 s15, s[8:9], 0x0
	s_add_u32 s28, s4, s28
	s_addc_u32 s29, s17, s29
	s_add_u32 s3, s10, s6
	s_clause 0x1
	s_load_b32 s4, s[22:23], 0x0
	s_load_b32 s17, s[28:29], 0x0
	s_addc_u32 s28, s11, s7
	v_add_co_u32 v152, s3, s3, v33
	s_delay_alu instid0(VALU_DEP_1) | instskip(SKIP_2) | instid1(VALU_DEP_2)
	v_add_co_ci_u32_e64 v153, null, s28, 0, s3
	s_lshl_b64 s[6:7], s[12:13], 1
	s_lshl_b64 s[10:11], s[20:21], 1
	v_add_co_u32 v33, vcc_lo, v152, s6
	s_delay_alu instid0(VALU_DEP_2)
	v_add_co_ci_u32_e32 v34, vcc_lo, s7, v153, vcc_lo
	v_add_co_u32 v35, vcc_lo, v152, s10
	s_lshl_b64 s[12:13], s[24:25], 1
	v_add_co_ci_u32_e32 v36, vcc_lo, s11, v153, vcc_lo
	v_add_co_u32 v37, vcc_lo, v152, s12
	s_lshl_b64 s[20:21], s[26:27], 1
	s_mul_hi_i32 s9, s37, s5
	s_mul_i32 s8, s37, s5
	v_add_co_ci_u32_e32 v38, vcc_lo, s13, v153, vcc_lo
	v_add_co_u32 v39, vcc_lo, v152, s20
	s_lshl_b64 s[8:9], s[8:9], 1
	s_mul_hi_i32 s37, s38, s5
	v_add_co_ci_u32_e32 v40, vcc_lo, s21, v153, vcc_lo
	v_add_co_u32 v145, vcc_lo, v152, s8
	s_lshl_b64 s[22:23], s[36:37], 1
	s_waitcnt lgkmcnt(0)
	s_mul_hi_i32 s25, s15, s5
	s_mul_i32 s24, s15, s5
	v_add_co_ci_u32_e32 v146, vcc_lo, s9, v153, vcc_lo
	v_add_co_u32 v147, vcc_lo, v152, s22
	s_lshl_b64 s[24:25], s[24:25], 1
	v_add_co_ci_u32_e32 v148, vcc_lo, s23, v153, vcc_lo
	s_mul_hi_i32 s7, s4, s5
	s_mul_i32 s6, s4, s5
	v_add_co_u32 v149, vcc_lo, v152, s24
	s_lshl_b64 s[6:7], s[6:7], 1
	v_add_co_ci_u32_e32 v150, vcc_lo, s25, v153, vcc_lo
	s_clause 0x7
	global_load_b128 v[65:68], v[33:34], off
	global_load_b128 v[69:72], v[33:34], off offset:16
	global_load_b128 v[57:60], v[35:36], off
	global_load_b128 v[61:64], v[35:36], off offset:16
	;; [unrolled: 2-line block ×4, first 2 shown]
	s_waitcnt vmcnt(22)
	v_wmma_f32_16x16x16_f16 v[137:144], v[1:8], v[25:32], v[121:128]
	s_waitcnt vmcnt(20)
	v_wmma_f32_16x16x16_f16 v[121:128], v[9:16], v[25:32], v[121:128]
	v_add_co_u32 v29, vcc_lo, v152, s6
	v_add_co_ci_u32_e32 v30, vcc_lo, s7, v153, vcc_lo
	s_mul_hi_i32 s7, s17, s5
	s_mul_i32 s6, s17, s5
	s_waitcnt vmcnt(18)
	v_wmma_f32_16x16x16_f16 v[137:144], v[17:24], v[129:136], v[137:144]
	s_lshl_b64 s[4:5], s[6:7], 1
	s_clause 0x1
	global_load_b128 v[9:12], v[145:146], off
	global_load_b128 v[13:16], v[145:146], off offset:16
	v_add_co_u32 v21, vcc_lo, v152, s4
	v_add_co_ci_u32_e32 v22, vcc_lo, s5, v153, vcc_lo
	s_clause 0x7
	global_load_b128 v[1:4], v[147:148], off
	global_load_b128 v[5:8], v[147:148], off offset:16
	global_load_b128 v[33:36], v[149:150], off
	global_load_b128 v[37:40], v[149:150], off offset:16
	;; [unrolled: 2-line block ×4, first 2 shown]
	s_waitcnt vmcnt(26)
	v_wmma_f32_16x16x16_f16 v[121:128], v[81:88], v[129:136], v[121:128]
	ds_load_b128 v[81:84], v151 offset:4096
	ds_load_b128 v[85:88], v151 offset:5120
	v_mbcnt_lo_u32_b32 v130, -1, 0
	s_delay_alu instid0(VALU_DEP_1) | instskip(NEXT) | instid1(VALU_DEP_1)
	v_xor_b32_e32 v131, 16, v130
	v_cmp_gt_i32_e32 vcc_lo, 32, v131
	v_cndmask_b32_e32 v130, v130, v131, vcc_lo
	s_waitcnt vmcnt(24) lgkmcnt(0)
	v_wmma_f32_16x16x16_f16 v[137:144], v[89:96], v[81:88], v[137:144]
	ds_load_b128 v[89:92], v151 offset:6144
	ds_load_b128 v[93:96], v151 offset:7168
	s_waitcnt vmcnt(22)
	v_wmma_f32_16x16x16_f16 v[121:128], v[97:104], v[81:88], v[121:128]
	s_waitcnt vmcnt(0) lgkmcnt(0)
	s_barrier
	buffer_gl0_inv
	v_wmma_f32_16x16x16_f16 v[137:144], v[105:112], v[89:96], v[137:144]
	v_and_b32_e32 v129, 0xe0, v0
	v_wmma_f32_16x16x16_f16 v[121:128], v[113:120], v[89:96], v[121:128]
	s_delay_alu instid0(VALU_DEP_3) | instskip(NEXT) | instid1(VALU_DEP_2)
	v_mul_f32_e32 v96, s19, v137
	v_dual_mul_f32 v104, s19, v126 :: v_dual_add_nc_u32 v129, s16, v129
	v_mul_f32_e32 v95, s19, v138
	v_dual_mul_f32 v93, s19, v140 :: v_dual_mul_f32 v94, s19, v139
	s_delay_alu instid0(VALU_DEP_3) | instskip(SKIP_3) | instid1(VALU_DEP_4)
	v_or_b32_e32 v129, v129, v75
	v_dual_mul_f32 v91, s19, v142 :: v_dual_mul_f32 v106, s19, v124
	v_dual_mul_f32 v92, s19, v141 :: v_dual_mul_f32 v89, s19, v144
	v_mul_f32_e32 v108, s19, v122
	v_or_b32_e32 v131, 2, v129
	v_or_b32_e32 v132, 4, v129
	;; [unrolled: 1-line block ×3, first 2 shown]
	v_cmp_gt_i32_e32 vcc_lo, s18, v129
	v_or_b32_e32 v82, 8, v129
	v_cmp_gt_i32_e64 s3, s18, v131
	v_or_b32_e32 v83, 10, v129
	v_cmp_gt_i32_e64 s4, s18, v132
	v_cndmask_b32_e32 v96, 0xff7fffff, v96, vcc_lo
	v_cmp_gt_i32_e64 s5, s18, v81
	v_cndmask_b32_e64 v95, 0xff7fffff, v95, s3
	v_or_b32_e32 v84, 12, v129
	v_or_b32_e32 v85, 14, v129
	v_cndmask_b32_e64 v94, 0xff7fffff, v94, s4
	v_cndmask_b32_e64 v81, 0xff7fffff, v93, s5
	v_max3_f32 v93, v96, 0xff7fffff, v95
	v_cmp_gt_i32_e64 s6, s18, v82
	v_cmp_gt_i32_e64 s7, s18, v83
	v_or_b32_e32 v86, 16, v129
	v_or_b32_e32 v87, 18, v129
	v_mul_f32_e32 v90, s19, v143
	v_cndmask_b32_e64 v82, 0xff7fffff, v92, s6
	v_cndmask_b32_e64 v83, 0xff7fffff, v91, s7
	v_max3_f32 v81, v93, v94, v81
	v_cmp_gt_i32_e64 s8, s18, v84
	v_cmp_gt_i32_e64 s9, s18, v85
	v_or_b32_e32 v88, 20, v129
	v_or_b32_e32 v97, 22, v129
	v_mul_f32_e32 v109, s19, v121
	;; [unrolled: 8-line block ×4, first 2 shown]
	v_cndmask_b32_e64 v84, 0xff7fffff, v107, s12
	v_cndmask_b32_e64 v85, 0xff7fffff, v106, s13
	v_max3_f32 v81, v81, v82, v83
	v_cmp_gt_i32_e64 s15, s18, v98
	v_cmp_gt_i32_e64 s16, s18, v99
	v_dual_mul_f32 v102, s19, v128 :: v_dual_mul_f32 v103, s19, v127
	s_delay_alu instid0(VALU_DEP_4) | instskip(NEXT) | instid1(VALU_DEP_4)
	v_max3_f32 v81, v81, v84, v85
	v_cndmask_b32_e64 v82, 0xff7fffff, v105, s15
	s_delay_alu instid0(VALU_DEP_4) | instskip(SKIP_2) | instid1(VALU_DEP_3)
	v_cndmask_b32_e64 v83, 0xff7fffff, v104, s16
	v_cmp_gt_i32_e64 s17, s18, v100
	v_cmp_gt_i32_e64 s18, s18, v101
	v_max3_f32 v81, v81, v82, v83
	s_delay_alu instid0(VALU_DEP_3) | instskip(NEXT) | instid1(VALU_DEP_3)
	v_cndmask_b32_e64 v84, 0xff7fffff, v103, s17
	v_cndmask_b32_e64 v85, 0xff7fffff, v102, s18
	v_lshlrev_b32_e32 v83, 2, v130
	s_delay_alu instid0(VALU_DEP_2) | instskip(SKIP_3) | instid1(VALU_DEP_1)
	v_max3_f32 v81, v81, v84, v85
	ds_bpermute_b32 v82, v83, v81
	s_waitcnt lgkmcnt(0)
	v_max_f32_e32 v82, v82, v82
	v_max_f32_e32 v81, v81, v82
	s_delay_alu instid0(VALU_DEP_1) | instskip(SKIP_2) | instid1(VALU_DEP_3)
	v_fma_f32 v82, s19, v137, -v81
	v_fma_f32 v84, s19, v138, -v81
	;; [unrolled: 1-line block ×3, first 2 shown]
	v_mul_f32_e32 v82, 0x3fb8aa3b, v82
	s_delay_alu instid0(VALU_DEP_2) | instskip(NEXT) | instid1(VALU_DEP_2)
	v_dual_mul_f32 v84, 0x3fb8aa3b, v84 :: v_dual_mul_f32 v89, 0x3fb8aa3b, v87
	v_exp_f32_e32 v82, v82
	s_delay_alu instid0(VALU_DEP_1) | instskip(NEXT) | instid1(VALU_DEP_1)
	v_exp_f32_e32 v84, v84
	v_exp_f32_e32 v92, v89
	s_delay_alu instid0(TRANS32_DEP_3)
	v_cndmask_b32_e32 v88, 0, v82, vcc_lo
	s_waitcnt_depctr 0xfff
	v_cndmask_b32_e64 v87, 0, v84, s3
	v_cndmask_b32_e64 v92, 0, v92, s6
	s_mov_b32 s3, exec_lo
	v_add_f32_e32 v84, 0, v88
	s_delay_alu instid0(VALU_DEP_1)
	v_add_f32_e32 v84, v84, v87
	v_fma_f32 v85, s19, v139, -v81
	v_fma_f32 v86, s19, v140, -v81
	;; [unrolled: 1-line block ×5, first 2 shown]
	s_delay_alu instid0(VALU_DEP_4) | instskip(NEXT) | instid1(VALU_DEP_4)
	v_dual_mul_f32 v85, 0x3fb8aa3b, v85 :: v_dual_mul_f32 v86, 0x3fb8aa3b, v86
	v_mul_f32_e32 v82, 0x3fb8aa3b, v82
	v_fma_f32 v96, s19, v124, -v81
	v_fma_f32 v99, s19, v127, -v81
	s_delay_alu instid0(VALU_DEP_4) | instskip(SKIP_3) | instid1(VALU_DEP_1)
	v_exp_f32_e32 v85, v85
	v_exp_f32_e32 v86, v86
	;; [unrolled: 1-line block ×3, first 2 shown]
	v_mul_f32_e32 v97, 0x3fb8aa3b, v96
	v_exp_f32_e32 v97, v97
	v_cndmask_b32_e64 v90, 0, v85, s4
	v_fma_f32 v85, s19, v144, -v81
	s_delay_alu instid0(TRANS32_DEP_3) | instskip(SKIP_1) | instid1(VALU_DEP_4)
	v_cndmask_b32_e64 v89, 0, v86, s5
	v_fma_f32 v86, s19, v121, -v81
	v_dual_add_f32 v84, v84, v90 :: v_dual_mul_f32 v91, 0x3fb8aa3b, v91
	s_delay_alu instid0(VALU_DEP_2) | instskip(NEXT) | instid1(TRANS32_DEP_1)
	v_mul_f32_e32 v86, 0x3fb8aa3b, v86
	v_cndmask_b32_e64 v97, 0, v97, s13
	s_delay_alu instid0(VALU_DEP_3)
	v_add_f32_e32 v84, v84, v89
	v_mul_f32_e32 v85, 0x3fb8aa3b, v85
	v_exp_f32_e32 v93, v91
	v_cndmask_b32_e64 v91, 0, v82, s7
	v_exp_f32_e32 v86, v86
	v_add_f32_e32 v82, v84, v92
	v_exp_f32_e32 v85, v85
	v_fma_f32 v84, s19, v123, -v81
	s_delay_alu instid0(VALU_DEP_2) | instskip(NEXT) | instid1(TRANS32_DEP_3)
	v_dual_mul_f32 v95, 0x3fb8aa3b, v94 :: v_dual_add_f32 v82, v82, v91
	v_cndmask_b32_e64 v94, 0, v93, s8
	s_delay_alu instid0(VALU_DEP_2) | instskip(NEXT) | instid1(TRANS32_DEP_3)
	v_exp_f32_e32 v95, v95
	v_cndmask_b32_e64 v96, 0, v86, s10
	v_fma_f32 v86, s19, v126, -v81
	s_delay_alu instid0(TRANS32_DEP_2) | instskip(SKIP_3) | instid1(VALU_DEP_3)
	v_cndmask_b32_e64 v93, 0, v85, s9
	v_fma_f32 v85, s19, v125, -v81
	v_mul_f32_e32 v84, 0x3fb8aa3b, v84
	v_add_f32_e32 v82, v82, v94
	v_dual_mul_f32 v86, 0x3fb8aa3b, v86 :: v_dual_mul_f32 v85, 0x3fb8aa3b, v85
	s_delay_alu instid0(VALU_DEP_3) | instskip(NEXT) | instid1(TRANS32_DEP_2)
	v_exp_f32_e32 v84, v84
	v_cndmask_b32_e64 v95, 0, v95, s11
	s_delay_alu instid0(VALU_DEP_2) | instskip(NEXT) | instid1(VALU_DEP_2)
	v_exp_f32_e32 v86, v86
	v_exp_f32_e32 v85, v85
	s_delay_alu instid0(TRANS32_DEP_3)
	v_cndmask_b32_e64 v98, 0, v84, s12
	v_mul_f32_e32 v84, 0x3fb8aa3b, v99
	v_fma_f32 v99, s19, v128, -v81
	v_add_f32_e32 v82, v82, v93
	s_waitcnt_depctr 0xfff
	v_cndmask_b32_e64 v100, 0, v85, s15
	v_exp_f32_e32 v84, v84
	v_dual_mul_f32 v85, 0x3fb8aa3b, v99 :: v_dual_add_f32 v82, v82, v96
	v_cndmask_b32_e64 v99, 0, v86, s16
	s_delay_alu instid0(VALU_DEP_2) | instskip(NEXT) | instid1(VALU_DEP_2)
	v_exp_f32_e32 v85, v85
	v_add_f32_e32 v82, v82, v95
	s_waitcnt_depctr 0xfff
	v_cndmask_b32_e64 v102, 0, v84, s17
	v_add_f32_e32 v82, v82, v98
	v_cndmask_b32_e64 v101, 0, v85, s18
	s_delay_alu instid0(VALU_DEP_2) | instskip(NEXT) | instid1(VALU_DEP_1)
	v_add_f32_e32 v82, v82, v97
	v_add_f32_e32 v82, v82, v100
	s_delay_alu instid0(VALU_DEP_1) | instskip(NEXT) | instid1(VALU_DEP_1)
	v_add_f32_e32 v82, v82, v99
	v_add_f32_e32 v82, v82, v102
	s_delay_alu instid0(VALU_DEP_1)
	v_add_f32_e32 v82, v82, v101
	ds_bpermute_b32 v83, v83, v82
	v_cmpx_gt_u32_e32 16, v80
	s_cbranch_execz .LBB167_14
; %bb.13:
	v_mul_u32_u24_e32 v80, 0x44, v79
	s_waitcnt lgkmcnt(0)
	v_add_f32_e32 v82, v82, v83
	s_delay_alu instid0(VALU_DEP_2) | instskip(NEXT) | instid1(VALU_DEP_1)
	v_lshl_add_u32 v80, v77, 2, v80
	v_add_nc_u32_e32 v80, 0x4000, v80
	ds_store_2addr_b32 v80, v81, v82 offset1:136
.LBB167_14:
	s_or_b32 exec_lo, exec_lo, s3
	v_lshlrev_b32_e32 v80, 2, v77
	s_load_b32 s35, s[0:1], 0x94
	s_waitcnt lgkmcnt(0)
	s_barrier
	buffer_gl0_inv
	v_add_nc_u32_e32 v84, 0x4000, v80
	v_cmp_eq_u32_e32 vcc_lo, 1, v79
	v_cmp_eq_u32_e64 s3, 2, v79
	v_cmp_eq_u32_e64 s4, 3, v79
	;; [unrolled: 1-line block ×3, first 2 shown]
	ds_load_2addr_b32 v[80:81], v84 offset1:17
	ds_load_2addr_b32 v[82:83], v84 offset0:34 offset1:51
	ds_load_2addr_b32 v[103:104], v84 offset0:68 offset1:85
	;; [unrolled: 1-line block ×3, first 2 shown]
	v_cmp_eq_u32_e64 s6, 7, v79
	s_waitcnt lgkmcnt(3)
	v_max3_f32 v85, v80, 0xff7fffff, v81
	s_waitcnt lgkmcnt(2)
	s_delay_alu instid0(VALU_DEP_1) | instskip(SKIP_1) | instid1(VALU_DEP_1)
	v_max3_f32 v85, v85, v82, v83
	s_waitcnt lgkmcnt(1)
	v_max3_f32 v85, v85, v103, v104
	s_waitcnt lgkmcnt(0)
	s_delay_alu instid0(VALU_DEP_1) | instskip(NEXT) | instid1(VALU_DEP_1)
	v_max3_f32 v85, v85, v105, v106
	v_sub_f32_e32 v103, v103, v85
	ds_load_2addr_b32 v[107:108], v84 offset0:136 offset1:153
	v_sub_f32_e32 v80, v80, v85
	v_dual_sub_f32 v110, v83, v85 :: v_dual_mul_f32 v113, 0x3fb8aa3b, v103
	s_delay_alu instid0(VALU_DEP_2) | instskip(SKIP_3) | instid1(VALU_DEP_1)
	v_dual_sub_f32 v86, v81, v85 :: v_dual_mul_f32 v109, 0x3fb8aa3b, v80
	ds_load_2addr_b32 v[80:81], v84 offset0:170 offset1:187
	v_mul_f32_e32 v86, 0x3fb8aa3b, v86
	v_exp_f32_e32 v109, v109
	v_exp_f32_e32 v112, v86
	v_mul_f32_e32 v110, 0x3fb8aa3b, v110
	s_waitcnt lgkmcnt(1)
	s_waitcnt_depctr 0xfff
	v_fma_f32 v86, v109, v107, 0
	v_sub_f32_e32 v107, v104, v85
	v_sub_f32_e32 v82, v82, v85
	v_exp_f32_e32 v110, v110
	ds_load_2addr_b32 v[103:104], v84 offset0:238 offset1:255
	v_dual_fmac_f32 v86, v112, v108 :: v_dual_mul_f32 v111, 0x3fb8aa3b, v82
	ds_load_2addr_b32 v[82:83], v84 offset0:204 offset1:221
	v_dual_sub_f32 v84, v105, v85 :: v_dual_mul_f32 v105, 0x3fb8aa3b, v107
	v_exp_f32_e32 v107, v113
	v_exp_f32_e32 v111, v111
	s_waitcnt lgkmcnt(0)
	s_delay_alu instid0(VALU_DEP_1)
	v_mul_f32_e32 v84, 0x3fb8aa3b, v84
	v_exp_f32_e32 v105, v105
	s_barrier
	buffer_gl0_inv
	v_fmac_f32_e32 v86, v111, v80
	v_sub_f32_e32 v80, v106, v85
	v_exp_f32_e32 v106, v84
	s_delay_alu instid0(VALU_DEP_2) | instskip(NEXT) | instid1(VALU_DEP_2)
	v_fmac_f32_e32 v86, v110, v81
	v_mul_f32_e32 v80, 0x3fb8aa3b, v80
	s_delay_alu instid0(VALU_DEP_2) | instskip(NEXT) | instid1(VALU_DEP_2)
	v_dual_cndmask_b32 v81, v109, v112 :: v_dual_fmac_f32 v86, v107, v82
	v_exp_f32_e32 v108, v80
	s_delay_alu instid0(VALU_DEP_1) | instskip(SKIP_2) | instid1(VALU_DEP_1)
	v_fmac_f32_e32 v86, v105, v83
	s_waitcnt_depctr 0xfff
	v_fmac_f32_e32 v86, v106, v103
	v_fmac_f32_e32 v86, v108, v104
	s_delay_alu instid0(VALU_DEP_1) | instskip(NEXT) | instid1(VALU_DEP_1)
	v_add_f32_e32 v103, 0x358637bd, v86
	v_div_scale_f32 v104, null, v103, v103, 1.0
	v_div_scale_f32 v109, vcc_lo, 1.0, v103, 1.0
	s_delay_alu instid0(VALU_DEP_2) | instskip(SKIP_2) | instid1(VALU_DEP_1)
	v_rcp_f32_e32 v113, v104
	s_waitcnt_depctr 0xfff
	v_fma_f32 v80, -v104, v113, 1.0
	v_fmac_f32_e32 v113, v80, v113
	v_cndmask_b32_e64 v80, v81, v111, s3
	v_cmp_eq_u32_e64 s3, 4, v79
	v_lshl_or_b32 v81, v79, 11, v78
	s_delay_alu instid0(VALU_DEP_4) | instskip(NEXT) | instid1(VALU_DEP_4)
	v_mul_f32_e32 v111, v109, v113
	v_cndmask_b32_e64 v82, v80, v110, s4
	v_cmp_eq_u32_e64 s4, 6, v79
	s_delay_alu instid0(VALU_DEP_4) | instskip(SKIP_3) | instid1(VALU_DEP_3)
	v_lshl_or_b32 v79, v75, 4, v81
	v_lshlrev_b32_e32 v80, 2, v75
	v_fma_f32 v83, -v104, v111, v109
	v_cndmask_b32_e64 v84, v82, v107, s3
	v_or_b32_e32 v82, 1, v80
	s_delay_alu instid0(VALU_DEP_3) | instskip(NEXT) | instid1(VALU_DEP_3)
	v_fmac_f32_e32 v111, v83, v113
	v_cndmask_b32_e64 v105, v84, v105, s5
	v_or_b32_e32 v84, 2, v80
	v_or_b32_e32 v83, 3, v80
	v_cmp_eq_u32_e64 s3, 1, v80
	v_fma_f32 v104, -v104, v111, v109
	v_cndmask_b32_e64 v105, v105, v106, s4
	v_cmp_eq_u32_e64 s9, 1, v82
	v_cmp_eq_u32_e64 s10, 1, v84
	;; [unrolled: 1-line block ×3, first 2 shown]
	v_div_fmas_f32 v104, v104, v113, v111
	v_cndmask_b32_e64 v105, v105, v108, s6
	v_cmp_eq_u32_e32 vcc_lo, 2, v80
	v_cmp_eq_u32_e64 s12, 2, v82
	v_cmp_eq_u32_e64 s15, 2, v84
	v_div_fixup_f32 v103, v104, v103, 1.0
	v_cmp_eq_u32_e64 s16, 2, v83
	v_cmp_eq_u32_e64 s18, 3, v83
	;; [unrolled: 1-line block ×4, first 2 shown]
	v_mul_f32_e32 v111, v105, v103
	v_cmp_eq_u32_e64 s17, 3, v84
	v_cmp_eq_u32_e64 s22, 4, v83
	;; [unrolled: 1-line block ×4, first 2 shown]
	v_fma_mixlo_f16 v103, v111, v88, 0
	v_fma_mixlo_f16 v104, v111, v90, 0
	;; [unrolled: 1-line block ×8, first 2 shown]
	v_fma_mixhi_f16 v103, v111, v87, 0
	v_fma_mixhi_f16 v104, v111, v89, 0
	;; [unrolled: 1-line block ×8, first 2 shown]
	ds_store_b128 v79, v[103:106]
	ds_store_b128 v79, v[107:110] offset:1024
	s_waitcnt lgkmcnt(0)
	s_barrier
	buffer_gl0_inv
	ds_load_b128 v[87:90], v81
	ds_load_b128 v[91:94], v81 offset:16
	ds_load_b128 v[95:98], v81 offset:1024
	;; [unrolled: 1-line block ×3, first 2 shown]
	v_cmp_eq_u32_e64 s21, 4, v84
	v_cmp_eq_u32_e64 s24, 5, v83
	;; [unrolled: 1-line block ×13, first 2 shown]
	s_waitcnt lgkmcnt(3)
	v_lshrrev_b32_e32 v103, 16, v87
	s_waitcnt lgkmcnt(2)
	v_lshrrev_b32_e32 v107, 16, v91
	;; [unrolled: 2-line block ×4, first 2 shown]
	v_lshrrev_b32_e32 v104, 16, v88
	v_cndmask_b32_e64 v119, v87, v103, s3
	v_cndmask_b32_e64 v120, v91, v107, s3
	;; [unrolled: 1-line block ×8, first 2 shown]
	v_lshrrev_b32_e32 v108, 16, v92
	v_cndmask_b32_e64 v103, v95, v111, s3
	v_cndmask_b32_e64 v107, v99, v115, s3
	;; [unrolled: 1-line block ×5, first 2 shown]
	v_cndmask_b32_e32 v111, v119, v88, vcc_lo
	v_cndmask_b32_e64 v119, v121, v88, s12
	v_cndmask_b32_e64 v121, v123, v88, s15
	;; [unrolled: 1-line block ×4, first 2 shown]
	v_lshrrev_b32_e32 v112, 16, v96
	v_lshrrev_b32_e32 v116, 16, v100
	v_cndmask_b32_e64 v126, v99, v115, s9
	v_cndmask_b32_e64 v128, v99, v115, s10
	;; [unrolled: 1-line block ×3, first 2 shown]
	v_cndmask_b32_e32 v115, v120, v92, vcc_lo
	v_cndmask_b32_e64 v120, v122, v92, s12
	v_cndmask_b32_e64 v122, v124, v92, s15
	v_cndmask_b32_e32 v91, v103, v96, vcc_lo
	v_cndmask_b32_e32 v92, v107, v100, vcc_lo
	v_cndmask_b32_e64 v103, v125, v96, s12
	v_cndmask_b32_e64 v87, v87, v104, s18
	;; [unrolled: 1-line block ×3, first 2 shown]
	v_lshrrev_b32_e32 v105, 16, v89
	v_lshrrev_b32_e32 v109, 16, v93
	v_cndmask_b32_e64 v107, v127, v96, s15
	v_cndmask_b32_e64 v95, v95, v96, s16
	;; [unrolled: 1-line block ×14, first 2 shown]
	v_lshrrev_b32_e32 v113, 16, v97
	v_cndmask_b32_e64 v99, v99, v89, s5
	v_cndmask_b32_e64 v104, v111, v93, s5
	;; [unrolled: 1-line block ×11, first 2 shown]
	v_lshrrev_b32_e32 v106, 16, v90
	v_lshrrev_b32_e32 v110, 16, v94
	v_cndmask_b32_e64 v93, v99, v105, s6
	v_cndmask_b32_e64 v99, v104, v109, s6
	;; [unrolled: 1-line block ×9, first 2 shown]
	v_lshrrev_b32_e32 v114, 16, v98
	v_cndmask_b32_e64 v89, v89, v113, s6
	v_cndmask_b32_e64 v93, v93, v90, s7
	;; [unrolled: 1-line block ×19, first 2 shown]
	v_perm_b32 v90, v88, v87, 0x5040100
	v_cndmask_b32_e64 v87, v126, v100, s12
	v_cndmask_b32_e64 v105, v89, v114, s8
	v_perm_b32 v89, v103, v99, 0x5040100
	v_perm_b32 v88, v104, v94, 0x5040100
	v_cndmask_b32_e64 v94, v107, v112, s17
	v_cndmask_b32_e64 v95, v95, v112, s18
	;; [unrolled: 1-line block ×5, first 2 shown]
	v_lshrrev_b32_e32 v117, 16, v101
	v_cndmask_b32_e64 v94, v94, v97, s21
	v_cndmask_b32_e64 v95, v95, v97, s22
	;; [unrolled: 1-line block ×11, first 2 shown]
	v_lshrrev_b32_e32 v118, 16, v102
	v_cndmask_b32_e64 v91, v91, v102, s7
	v_cndmask_b32_e64 v94, v94, v98, s26
	;; [unrolled: 1-line block ×12, first 2 shown]
	v_perm_b32 v87, v93, v92, 0x5040100
	v_perm_b32 v94, v95, v94, 0x5040100
	;; [unrolled: 1-line block ×5, first 2 shown]
	s_mul_i32 s7, s33, 14
	s_mov_b32 s3, exec_lo
	ds_store_b128 v79, v[87:90]
	ds_store_b128 v79, v[91:94] offset:1024
	v_cmpx_gt_u32_e32 14, v0
	s_cbranch_execz .LBB167_16
; %bb.15:
	s_mul_i32 s4, s7, s34
	s_load_b128 s[8:11], s[0:1], 0x58
	v_add3_u32 v77, s4, s31, v77
	s_delay_alu instid0(VALU_DEP_1) | instskip(NEXT) | instid1(VALU_DEP_1)
	v_mad_u64_u32 v[87:88], null, v77, s35, s[14:15]
	v_ashrrev_i32_e32 v88, 31, v87
	s_delay_alu instid0(VALU_DEP_1) | instskip(SKIP_1) | instid1(VALU_DEP_1)
	v_lshlrev_b64 v[87:88], 2, v[87:88]
	s_waitcnt lgkmcnt(0)
	v_add_co_u32 v89, vcc_lo, s10, v87
	s_delay_alu instid0(VALU_DEP_2)
	v_add_co_ci_u32_e32 v90, vcc_lo, s11, v88, vcc_lo
	v_add_co_u32 v87, vcc_lo, s8, v87
	v_add_co_ci_u32_e32 v88, vcc_lo, s9, v88, vcc_lo
	global_store_b32 v[89:90], v85, off
	global_store_b32 v[87:88], v86, off
.LBB167_16:
	s_or_b32 exec_lo, exec_lo, s3
	s_waitcnt lgkmcnt(0)
	s_waitcnt_vscnt null, 0x0
	s_barrier
	buffer_gl0_inv
	ds_load_b128 v[93:96], v78
	ds_load_b128 v[97:100], v78 offset:16
	ds_load_b128 v[105:108], v78 offset:1040
	;; [unrolled: 1-line block ×5, first 2 shown]
	v_cmp_eq_u32_e32 vcc_lo, 1, v84
	v_mov_b32_e32 v85, 0
	ds_load_b128 v[121:124], v78 offset:3088
	ds_load_b128 v[117:120], v78 offset:3072
	ds_load_b128 v[129:132], v78 offset:4112
	ds_load_b128 v[125:128], v78 offset:4096
	v_cmp_eq_u32_e64 s3, 1, v80
	v_cmp_eq_u32_e64 s4, 1, v83
	;; [unrolled: 1-line block ×3, first 2 shown]
	v_mov_b32_e32 v86, v85
	v_mov_b32_e32 v87, v85
	;; [unrolled: 1-line block ×7, first 2 shown]
	v_cmp_eq_u32_e64 s6, 2, v80
	s_waitcnt lgkmcnt(8)
	s_delay_alu instid0(VALU_DEP_2)
	v_wmma_f32_16x16x16_f16 v[85:92], v[65:72], v[93:100], v[85:92]
	ds_load_b128 v[69:72], v78 offset:5136
	ds_load_b128 v[65:68], v78 offset:5120
	;; [unrolled: 1-line block ×4, first 2 shown]
	s_waitcnt lgkmcnt(10)
	v_wmma_f32_16x16x16_f16 v[85:92], v[57:64], v[101:108], v[85:92]
	s_waitcnt lgkmcnt(8)
	s_delay_alu instid0(VALU_DEP_1)
	v_wmma_f32_16x16x16_f16 v[85:92], v[57:64], v[109:116], v[85:92]
	ds_load_b128 v[61:64], v78 offset:7184
	ds_load_b128 v[57:60], v78 offset:7168
	;; [unrolled: 1-line block ×4, first 2 shown]
	s_waitcnt lgkmcnt(10)
	v_wmma_f32_16x16x16_f16 v[85:92], v[49:56], v[117:124], v[85:92]
	s_waitcnt lgkmcnt(8)
	s_delay_alu instid0(VALU_DEP_1)
	v_wmma_f32_16x16x16_f16 v[85:92], v[49:56], v[125:132], v[85:92]
	ds_load_b128 v[53:56], v78 offset:9232
	ds_load_b128 v[49:52], v78 offset:9216
	s_waitcnt lgkmcnt(8)
	v_wmma_f32_16x16x16_f16 v[85:92], v[41:48], v[65:72], v[85:92]
	ds_load_b128 v[69:72], v78 offset:10256
	ds_load_b128 v[65:68], v78 offset:10240
	s_waitcnt lgkmcnt(8)
	;; [unrolled: 4-line block ×7, first 2 shown]
	s_barrier
	buffer_gl0_inv
	v_wmma_f32_16x16x16_f16 v[85:92], v[33:40], v[41:48], v[85:92]
	s_delay_alu instid0(VALU_DEP_1) | instskip(NEXT) | instid1(VALU_DEP_1)
	v_wmma_f32_16x16x16_f16 v[85:92], v[33:40], v[57:64], v[85:92]
	v_wmma_f32_16x16x16_f16 v[85:92], v[25:32], v[9:16], v[85:92]
	s_delay_alu instid0(VALU_DEP_1) | instskip(NEXT) | instid1(VALU_DEP_1)
	v_wmma_f32_16x16x16_f16 v[85:92], v[25:32], v[49:56], v[85:92]
	v_wmma_f32_16x16x16_f16 v[85:92], v[17:24], v[1:8], v[85:92]
	s_delay_alu instid0(VALU_DEP_1) | instskip(NEXT) | instid1(VALU_DEP_2)
	v_cvt_f16_f32_e32 v1, v85
	v_cvt_f16_f32_e32 v2, v86
	s_delay_alu instid0(VALU_DEP_3) | instskip(NEXT) | instid1(VALU_DEP_4)
	v_cvt_f16_f32_e32 v3, v87
	v_cvt_f16_f32_e32 v4, v88
	;; [unrolled: 1-line block ×6, first 2 shown]
	v_pack_b32_f16 v1, v1, v2
	v_pack_b32_f16 v2, v3, v4
	;; [unrolled: 1-line block ×3, first 2 shown]
	s_delay_alu instid0(VALU_DEP_4)
	v_pack_b32_f16 v4, v7, v8
	ds_store_b128 v79, v[1:4]
	s_waitcnt lgkmcnt(0)
	s_barrier
	buffer_gl0_inv
	ds_load_b128 v[1:4], v81
	ds_load_b128 v[5:8], v81 offset:16
	s_waitcnt lgkmcnt(1)
	v_lshrrev_b32_e32 v9, 16, v1
	s_waitcnt lgkmcnt(0)
	v_lshrrev_b32_e32 v13, 16, v5
	v_lshrrev_b32_e32 v15, 16, v7
	;; [unrolled: 1-line block ×4, first 2 shown]
	v_cndmask_b32_e64 v17, v1, v9, s3
	v_cndmask_b32_e64 v18, v5, v13, s3
	;; [unrolled: 1-line block ×3, first 2 shown]
	v_cmp_eq_u32_e64 s3, 2, v82
	v_cndmask_b32_e64 v20, v5, v13, s5
	v_cndmask_b32_e32 v21, v1, v9, vcc_lo
	v_cndmask_b32_e32 v22, v5, v13, vcc_lo
	v_cndmask_b32_e64 v1, v1, v9, s4
	v_cndmask_b32_e64 v5, v5, v13, s4
	v_cmp_eq_u32_e32 vcc_lo, 2, v84
	v_cmp_eq_u32_e64 s4, 2, v83
	v_cndmask_b32_e64 v9, v17, v2, s6
	v_cndmask_b32_e64 v13, v18, v6, s6
	;; [unrolled: 1-line block ×4, first 2 shown]
	v_cndmask_b32_e32 v19, v21, v2, vcc_lo
	v_cmp_eq_u32_e64 s3, 3, v84
	v_cndmask_b32_e32 v20, v22, v6, vcc_lo
	v_cndmask_b32_e64 v1, v1, v2, s4
	v_cmp_eq_u32_e32 vcc_lo, 3, v83
	v_cmp_eq_u32_e64 s5, 3, v80
	v_cndmask_b32_e64 v2, v5, v6, s4
	v_cmp_eq_u32_e64 s4, 3, v82
	v_lshrrev_b32_e32 v16, 16, v8
	v_cmp_eq_u32_e64 s6, 4, v80
	v_cndmask_b32_e64 v5, v9, v10, s5
	v_cndmask_b32_e64 v6, v13, v14, s5
	;; [unrolled: 1-line block ×3, first 2 shown]
	v_cmp_eq_u32_e64 s5, 4, v82
	v_cndmask_b32_e64 v13, v18, v14, s4
	v_cndmask_b32_e64 v17, v19, v10, s3
	;; [unrolled: 1-line block ×3, first 2 shown]
	v_cndmask_b32_e32 v1, v1, v10, vcc_lo
	v_cndmask_b32_e32 v2, v2, v14, vcc_lo
	v_cmp_eq_u32_e32 vcc_lo, 4, v84
	v_cmp_eq_u32_e64 s4, 4, v83
	v_lshrrev_b32_e32 v11, 16, v3
	v_cndmask_b32_e64 v5, v5, v3, s6
	v_cndmask_b32_e64 v6, v6, v7, s6
	;; [unrolled: 1-line block ×4, first 2 shown]
	v_cndmask_b32_e32 v13, v17, v3, vcc_lo
	v_cmp_eq_u32_e64 s3, 5, v84
	v_cndmask_b32_e32 v14, v18, v7, vcc_lo
	v_cndmask_b32_e64 v1, v1, v3, s4
	v_cmp_eq_u32_e32 vcc_lo, 5, v83
	v_cmp_eq_u32_e64 s5, 5, v80
	v_cndmask_b32_e64 v2, v2, v7, s4
	v_cmp_eq_u32_e64 s4, 5, v82
	v_cmp_eq_u32_e64 s6, 6, v80
	v_cndmask_b32_e32 v1, v1, v11, vcc_lo
	v_cndmask_b32_e64 v3, v5, v11, s5
	v_cndmask_b32_e64 v5, v6, v15, s5
	;; [unrolled: 1-line block ×3, first 2 shown]
	v_cmp_eq_u32_e64 s5, 6, v82
	v_cndmask_b32_e64 v7, v10, v15, s4
	v_cndmask_b32_e64 v9, v13, v11, s3
	;; [unrolled: 1-line block ×3, first 2 shown]
	v_cndmask_b32_e32 v2, v2, v15, vcc_lo
	v_cmp_eq_u32_e32 vcc_lo, 6, v84
	v_cmp_eq_u32_e64 s3, 6, v83
	v_lshrrev_b32_e32 v12, 16, v4
	v_cndmask_b32_e64 v3, v3, v4, s6
	v_cndmask_b32_e64 v5, v5, v8, s6
	;; [unrolled: 1-line block ×4, first 2 shown]
	v_cndmask_b32_e32 v9, v9, v4, vcc_lo
	v_cmp_eq_u32_e64 s4, 7, v84
	v_cndmask_b32_e32 v10, v10, v8, vcc_lo
	v_cndmask_b32_e64 v1, v1, v4, s3
	v_cmp_eq_u32_e32 vcc_lo, 7, v83
	v_cndmask_b32_e64 v2, v2, v8, s3
	v_cmp_eq_u32_e64 s3, 7, v80
	v_cmp_eq_u32_e64 s5, 7, v82
	v_cndmask_b32_e32 v1, v1, v12, vcc_lo
	s_delay_alu instid0(VALU_DEP_4) | instskip(NEXT) | instid1(VALU_DEP_4)
	v_cndmask_b32_e32 v2, v2, v16, vcc_lo
	v_cndmask_b32_e64 v8, v3, v12, s3
	s_delay_alu instid0(VALU_DEP_4)
	v_cndmask_b32_e64 v6, v6, v12, s5
	v_cndmask_b32_e64 v3, v9, v12, s4
	;; [unrolled: 1-line block ×5, first 2 shown]
	v_cmp_gt_u32_e32 vcc_lo, 32, v0
	v_perm_b32 v4, v2, v1, 0x5040100
	v_perm_b32 v3, v9, v3, 0x5040100
	;; [unrolled: 1-line block ×4, first 2 shown]
	s_and_b32 s2, vcc_lo, s2
	ds_store_b128 v79, v[1:4]
	s_waitcnt lgkmcnt(0)
	s_barrier
	buffer_gl0_inv
	s_and_saveexec_b32 s3, s2
	s_cbranch_execz .LBB167_2
; %bb.17:
	s_load_b64 s[0:1], s[0:1], 0x68
	v_lshlrev_b32_e32 v0, 10, v0
	s_lshl_b32 s4, s35, 6
	v_or_b32_e32 v3, s31, v75
	s_mul_i32 s2, s4, s34
	v_lshlrev_b32_e32 v1, 4, v76
	v_lshlrev_b32_e32 v2, 6, v75
	v_and_b32_e32 v0, 0x3800, v0
	s_mul_i32 s2, s2, s7
	v_mul_lo_u32 v8, v3, s4
	s_ashr_i32 s3, s2, 31
	s_delay_alu instid0(SALU_CYCLE_1)
	s_lshl_b64 s[2:3], s[2:3], 1
	v_or3_b32 v16, v0, v1, v2
	ds_load_b128 v[0:3], v16
	ds_load_b128 v[4:7], v16 offset:128
	v_ashrrev_i32_e32 v9, 31, v8
	s_waitcnt lgkmcnt(0)
	s_add_u32 s2, s0, s2
	s_addc_u32 s3, s1, s3
	s_lshl_b32 s0, s14, 6
	s_delay_alu instid0(SALU_CYCLE_1) | instskip(SKIP_2) | instid1(SALU_CYCLE_1)
	s_ashr_i32 s1, s0, 31
	v_lshlrev_b64 v[9:10], 1, v[8:9]
	s_lshl_b64 s[0:1], s[0:1], 1
	s_add_u32 s0, s2, s0
	s_addc_u32 s1, s3, s1
	s_lshl_b32 s2, s35, 7
	v_add_co_u32 v30, vcc_lo, s0, v73
	v_add_nc_u32_e32 v11, s2, v8
	v_add_co_ci_u32_e32 v31, vcc_lo, s1, v74, vcc_lo
	s_delay_alu instid0(VALU_DEP_3) | instskip(NEXT) | instid1(VALU_DEP_3)
	v_add_co_u32 v9, vcc_lo, v30, v9
	v_add_nc_u32_e32 v8, s2, v11
	s_delay_alu instid0(VALU_DEP_3) | instskip(SKIP_1) | instid1(VALU_DEP_3)
	v_add_co_ci_u32_e32 v10, vcc_lo, v31, v10, vcc_lo
	v_ashrrev_i32_e32 v12, 31, v11
	v_add_nc_u32_e32 v13, s2, v8
	global_store_b128 v[9:10], v[0:3], off
	v_ashrrev_i32_e32 v9, 31, v8
	v_lshlrev_b64 v[11:12], 1, v[11:12]
	v_ashrrev_i32_e32 v14, 31, v13
	v_add_nc_u32_e32 v10, s2, v13
	s_delay_alu instid0(VALU_DEP_4) | instskip(NEXT) | instid1(VALU_DEP_4)
	v_lshlrev_b64 v[2:3], 1, v[8:9]
	v_add_co_u32 v0, vcc_lo, v30, v11
	s_delay_alu instid0(VALU_DEP_4)
	v_lshlrev_b64 v[8:9], 1, v[13:14]
	v_add_co_ci_u32_e32 v1, vcc_lo, v31, v12, vcc_lo
	v_ashrrev_i32_e32 v11, 31, v10
	v_add_co_u32 v22, vcc_lo, v30, v2
	v_add_nc_u32_e32 v20, s2, v10
	v_add_co_ci_u32_e32 v23, vcc_lo, v31, v3, vcc_lo
	v_add_co_u32 v24, vcc_lo, v30, v8
	global_store_b128 v[0:1], v[4:7], off
	v_add_co_ci_u32_e32 v25, vcc_lo, v31, v9, vcc_lo
	ds_load_b128 v[0:3], v16 offset:256
	ds_load_b128 v[4:7], v16 offset:384
	v_lshlrev_b64 v[26:27], 1, v[10:11]
	ds_load_b128 v[8:11], v16 offset:512
	ds_load_b128 v[12:15], v16 offset:640
	;; [unrolled: 1-line block ×3, first 2 shown]
	v_add_nc_u32_e32 v28, s2, v20
	v_ashrrev_i32_e32 v21, 31, v20
	v_add_co_u32 v26, vcc_lo, v30, v26
	s_delay_alu instid0(VALU_DEP_3) | instskip(NEXT) | instid1(VALU_DEP_3)
	v_ashrrev_i32_e32 v29, 31, v28
	v_lshlrev_b64 v[20:21], 1, v[20:21]
	v_add_co_ci_u32_e32 v27, vcc_lo, v31, v27, vcc_lo
	s_delay_alu instid0(VALU_DEP_3) | instskip(NEXT) | instid1(VALU_DEP_3)
	v_lshlrev_b64 v[28:29], 1, v[28:29]
	v_add_co_u32 v20, vcc_lo, v30, v20
	s_delay_alu instid0(VALU_DEP_4) | instskip(NEXT) | instid1(VALU_DEP_3)
	v_add_co_ci_u32_e32 v21, vcc_lo, v31, v21, vcc_lo
	v_add_co_u32 v28, vcc_lo, v30, v28
	s_delay_alu instid0(VALU_DEP_4)
	v_add_co_ci_u32_e32 v29, vcc_lo, v31, v29, vcc_lo
	s_waitcnt lgkmcnt(4)
	global_store_b128 v[22:23], v[0:3], off
	s_waitcnt lgkmcnt(3)
	global_store_b128 v[24:25], v[4:7], off
	;; [unrolled: 2-line block ×5, first 2 shown]
	s_nop 0
	s_sendmsg sendmsg(MSG_DEALLOC_VGPRS)
	s_endpgm
	.section	.rodata,"a",@progbits
	.p2align	6, 0x0
	.amdhsa_kernel _Z39paged_attention_ll4mi_QKV_mfma16_kernelIDF16_DF16_LN4vllm18Fp8KVCacheDataTypeE0EDF16_Li32ELi64ELi256ELb1ELi14EL8MFMAType0EEvPKT_PKT0_S8_ifPKiSA_SA_iPKfiiiPfSD_PS3_PT2_iSC_SC_
		.amdhsa_group_segment_fixed_size 17472
		.amdhsa_private_segment_fixed_size 0
		.amdhsa_kernarg_size 400
		.amdhsa_user_sgpr_count 13
		.amdhsa_user_sgpr_dispatch_ptr 0
		.amdhsa_user_sgpr_queue_ptr 0
		.amdhsa_user_sgpr_kernarg_segment_ptr 1
		.amdhsa_user_sgpr_dispatch_id 0
		.amdhsa_user_sgpr_private_segment_size 0
		.amdhsa_wavefront_size32 1
		.amdhsa_uses_dynamic_stack 0
		.amdhsa_enable_private_segment 0
		.amdhsa_system_sgpr_workgroup_id_x 1
		.amdhsa_system_sgpr_workgroup_id_y 1
		.amdhsa_system_sgpr_workgroup_id_z 1
		.amdhsa_system_sgpr_workgroup_info 0
		.amdhsa_system_vgpr_workitem_id 0
		.amdhsa_next_free_vgpr 154
		.amdhsa_next_free_sgpr 39
		.amdhsa_reserve_vcc 1
		.amdhsa_float_round_mode_32 0
		.amdhsa_float_round_mode_16_64 0
		.amdhsa_float_denorm_mode_32 3
		.amdhsa_float_denorm_mode_16_64 3
		.amdhsa_dx10_clamp 1
		.amdhsa_ieee_mode 1
		.amdhsa_fp16_overflow 0
		.amdhsa_workgroup_processor_mode 1
		.amdhsa_memory_ordered 1
		.amdhsa_forward_progress 0
		.amdhsa_shared_vgpr_count 0
		.amdhsa_exception_fp_ieee_invalid_op 0
		.amdhsa_exception_fp_denorm_src 0
		.amdhsa_exception_fp_ieee_div_zero 0
		.amdhsa_exception_fp_ieee_overflow 0
		.amdhsa_exception_fp_ieee_underflow 0
		.amdhsa_exception_fp_ieee_inexact 0
		.amdhsa_exception_int_div_zero 0
	.end_amdhsa_kernel
	.section	.text._Z39paged_attention_ll4mi_QKV_mfma16_kernelIDF16_DF16_LN4vllm18Fp8KVCacheDataTypeE0EDF16_Li32ELi64ELi256ELb1ELi14EL8MFMAType0EEvPKT_PKT0_S8_ifPKiSA_SA_iPKfiiiPfSD_PS3_PT2_iSC_SC_,"axG",@progbits,_Z39paged_attention_ll4mi_QKV_mfma16_kernelIDF16_DF16_LN4vllm18Fp8KVCacheDataTypeE0EDF16_Li32ELi64ELi256ELb1ELi14EL8MFMAType0EEvPKT_PKT0_S8_ifPKiSA_SA_iPKfiiiPfSD_PS3_PT2_iSC_SC_,comdat
.Lfunc_end167:
	.size	_Z39paged_attention_ll4mi_QKV_mfma16_kernelIDF16_DF16_LN4vllm18Fp8KVCacheDataTypeE0EDF16_Li32ELi64ELi256ELb1ELi14EL8MFMAType0EEvPKT_PKT0_S8_ifPKiSA_SA_iPKfiiiPfSD_PS3_PT2_iSC_SC_, .Lfunc_end167-_Z39paged_attention_ll4mi_QKV_mfma16_kernelIDF16_DF16_LN4vllm18Fp8KVCacheDataTypeE0EDF16_Li32ELi64ELi256ELb1ELi14EL8MFMAType0EEvPKT_PKT0_S8_ifPKiSA_SA_iPKfiiiPfSD_PS3_PT2_iSC_SC_
                                        ; -- End function
	.section	.AMDGPU.csdata,"",@progbits
; Kernel info:
; codeLenInByte = 7364
; NumSgprs: 41
; NumVgprs: 154
; ScratchSize: 0
; MemoryBound: 0
; FloatMode: 240
; IeeeMode: 1
; LDSByteSize: 17472 bytes/workgroup (compile time only)
; SGPRBlocks: 5
; VGPRBlocks: 19
; NumSGPRsForWavesPerEU: 41
; NumVGPRsForWavesPerEU: 154
; Occupancy: 9
; WaveLimiterHint : 1
; COMPUTE_PGM_RSRC2:SCRATCH_EN: 0
; COMPUTE_PGM_RSRC2:USER_SGPR: 13
; COMPUTE_PGM_RSRC2:TRAP_HANDLER: 0
; COMPUTE_PGM_RSRC2:TGID_X_EN: 1
; COMPUTE_PGM_RSRC2:TGID_Y_EN: 1
; COMPUTE_PGM_RSRC2:TGID_Z_EN: 1
; COMPUTE_PGM_RSRC2:TIDIG_COMP_CNT: 0
	.section	.text._Z39paged_attention_ll4mi_QKV_mfma16_kernelIDF16_DF16_LN4vllm18Fp8KVCacheDataTypeE0EDF16_Li32ELi64ELi256ELb1ELi15EL8MFMAType0EEvPKT_PKT0_S8_ifPKiSA_SA_iPKfiiiPfSD_PS3_PT2_iSC_SC_,"axG",@progbits,_Z39paged_attention_ll4mi_QKV_mfma16_kernelIDF16_DF16_LN4vllm18Fp8KVCacheDataTypeE0EDF16_Li32ELi64ELi256ELb1ELi15EL8MFMAType0EEvPKT_PKT0_S8_ifPKiSA_SA_iPKfiiiPfSD_PS3_PT2_iSC_SC_,comdat
	.protected	_Z39paged_attention_ll4mi_QKV_mfma16_kernelIDF16_DF16_LN4vllm18Fp8KVCacheDataTypeE0EDF16_Li32ELi64ELi256ELb1ELi15EL8MFMAType0EEvPKT_PKT0_S8_ifPKiSA_SA_iPKfiiiPfSD_PS3_PT2_iSC_SC_ ; -- Begin function _Z39paged_attention_ll4mi_QKV_mfma16_kernelIDF16_DF16_LN4vllm18Fp8KVCacheDataTypeE0EDF16_Li32ELi64ELi256ELb1ELi15EL8MFMAType0EEvPKT_PKT0_S8_ifPKiSA_SA_iPKfiiiPfSD_PS3_PT2_iSC_SC_
	.globl	_Z39paged_attention_ll4mi_QKV_mfma16_kernelIDF16_DF16_LN4vllm18Fp8KVCacheDataTypeE0EDF16_Li32ELi64ELi256ELb1ELi15EL8MFMAType0EEvPKT_PKT0_S8_ifPKiSA_SA_iPKfiiiPfSD_PS3_PT2_iSC_SC_
	.p2align	8
	.type	_Z39paged_attention_ll4mi_QKV_mfma16_kernelIDF16_DF16_LN4vllm18Fp8KVCacheDataTypeE0EDF16_Li32ELi64ELi256ELb1ELi15EL8MFMAType0EEvPKT_PKT0_S8_ifPKiSA_SA_iPKfiiiPfSD_PS3_PT2_iSC_SC_,@function
_Z39paged_attention_ll4mi_QKV_mfma16_kernelIDF16_DF16_LN4vllm18Fp8KVCacheDataTypeE0EDF16_Li32ELi64ELi256ELb1ELi15EL8MFMAType0EEvPKT_PKT0_S8_ifPKiSA_SA_iPKfiiiPfSD_PS3_PT2_iSC_SC_: ; @_Z39paged_attention_ll4mi_QKV_mfma16_kernelIDF16_DF16_LN4vllm18Fp8KVCacheDataTypeE0EDF16_Li32ELi64ELi256ELb1ELi15EL8MFMAType0EEvPKT_PKT0_S8_ifPKiSA_SA_iPKfiiiPfSD_PS3_PT2_iSC_SC_
; %bb.0:
	s_load_b64 s[2:3], s[0:1], 0x30
	s_mov_b32 s34, s13
	s_waitcnt lgkmcnt(0)
	s_cmp_lg_u64 s[2:3], 0
	s_cselect_b32 s6, -1, 0
	s_ashr_i32 s35, s13, 31
	s_cmp_eq_u64 s[2:3], 0
	s_cbranch_scc1 .LBB168_3
; %bb.1:
	s_lshl_b64 s[4:5], s[34:35], 2
	s_delay_alu instid0(SALU_CYCLE_1) | instskip(SKIP_4) | instid1(SALU_CYCLE_1)
	s_add_u32 s4, s2, s4
	s_addc_u32 s5, s3, s5
	s_load_b64 s[4:5], s[4:5], 0x0
	s_waitcnt lgkmcnt(0)
	s_sub_i32 s4, s5, s4
	s_cmp_eq_u32 s4, 1
	s_cselect_b32 s4, -1, 0
	s_delay_alu instid0(SALU_CYCLE_1)
	s_and_not1_b32 vcc_lo, exec_lo, s4
	s_cbranch_vccz .LBB168_4
.LBB168_2:
	s_nop 0
	s_sendmsg sendmsg(MSG_DEALLOC_VGPRS)
	s_endpgm
.LBB168_3:
.LBB168_4:
	s_load_b64 s[8:9], s[0:1], 0x28
	s_lshl_b64 s[4:5], s[34:35], 2
	s_waitcnt lgkmcnt(0)
	s_add_u32 s8, s8, s4
	s_addc_u32 s9, s9, s5
	s_lshl_b32 s16, s14, 8
	s_load_b32 s18, s[8:9], 0x0
	s_waitcnt lgkmcnt(0)
	s_cmp_ge_i32 s16, s18
	s_cbranch_scc1 .LBB168_2
; %bb.5:
	s_and_not1_b32 vcc_lo, exec_lo, s6
	s_cbranch_vccnz .LBB168_7
; %bb.6:
	s_add_u32 s2, s2, s4
	s_addc_u32 s3, s3, s5
	s_load_b32 s17, s[2:3], 0x0
	s_branch .LBB168_8
.LBB168_7:
	s_mov_b32 s17, s34
.LBB168_8:
	s_clause 0x2
	s_load_b128 s[8:11], s[0:1], 0x8
	s_load_b64 s[12:13], s[0:1], 0x20
	s_load_b128 s[4:7], s[0:1], 0x48
	v_lshrrev_b32_e32 v78, 5, v0
	v_bfe_u32 v75, v0, 4, 1
	v_and_b32_e32 v77, 15, v0
	s_delay_alu instid0(VALU_DEP_2) | instskip(NEXT) | instid1(VALU_DEP_2)
	v_lshl_or_b32 v3, v78, 1, v75
	v_cmp_lt_u32_e64 s3, 7, v77
	v_lshlrev_b32_e32 v1, 3, v77
	v_cmp_gt_u32_e64 s2, 8, v77
	s_delay_alu instid0(VALU_DEP_4) | instskip(NEXT) | instid1(VALU_DEP_4)
	v_cmp_lt_u32_e32 vcc_lo, 14, v3
	s_or_b32 s3, s3, vcc_lo
	s_waitcnt lgkmcnt(0)
	s_and_saveexec_b32 s7, s3
	s_delay_alu instid0(SALU_CYCLE_1)
	s_xor_b32 s3, exec_lo, s7
; %bb.9:
	v_mov_b32_e32 v2, 0
                                        ; implicit-def: $vgpr3
; %bb.10:
	s_or_saveexec_b32 s3, s3
	v_and_b32_e32 v80, 31, v0
	v_and_b32_e32 v76, 1, v0
	s_mul_i32 s33, s15, 15
	s_xor_b32 exec_lo, exec_lo, s3
	s_cbranch_execz .LBB168_12
; %bb.11:
	s_load_b64 s[20:21], s[0:1], 0x0
	v_add_lshl_u32 v4, v3, s33, 6
	s_mul_hi_i32 s23, s17, s4
	s_mul_i32 s22, s17, s4
	v_lshlrev_b32_e32 v2, 1, v1
	s_lshl_b64 s[22:23], s[22:23], 1
	v_ashrrev_i32_e32 v5, 31, v4
	v_lshlrev_b32_e32 v3, 6, v3
	v_lshlrev_b32_e32 v8, 10, v76
	s_delay_alu instid0(VALU_DEP_3) | instskip(SKIP_3) | instid1(VALU_DEP_1)
	v_lshlrev_b64 v[4:5], 1, v[4:5]
	s_waitcnt lgkmcnt(0)
	s_add_u32 s4, s20, s22
	s_addc_u32 s7, s21, s23
	v_add_co_u32 v4, vcc_lo, s4, v4
	s_delay_alu instid0(VALU_DEP_2) | instskip(NEXT) | instid1(VALU_DEP_2)
	v_add_co_ci_u32_e32 v5, vcc_lo, s7, v5, vcc_lo
	v_add_co_u32 v4, vcc_lo, v4, v2
	s_delay_alu instid0(VALU_DEP_2) | instskip(SKIP_3) | instid1(VALU_DEP_1)
	v_add_co_ci_u32_e32 v5, vcc_lo, 0, v5, vcc_lo
	v_lshlrev_b32_e32 v2, 10, v77
	global_load_b128 v[4:7], v[4:5], off
	v_and_b32_e32 v2, 0x3800, v2
	v_or3_b32 v3, v2, v8, v3
	v_mov_b32_e32 v2, 0
	s_waitcnt vmcnt(0)
	ds_store_b128 v3, v[4:7]
.LBB168_12:
	s_or_b32 exec_lo, exec_lo, s3
	v_and_b32_e32 v3, 0xef, v0
	s_add_i32 s3, s18, 31
	s_clause 0x1
	s_load_b32 s4, s[0:1], 0x38
	s_load_b32 s35, s[0:1], 0x98
	s_ashr_i32 s7, s3, 31
	v_add_nc_u32_e32 v3, s16, v3
	s_lshr_b32 s7, s7, 27
	s_load_b32 s19, s[0:1], 0x1c
	s_add_i32 s3, s3, s7
	s_waitcnt lgkmcnt(0)
	v_ashrrev_i32_e32 v4, 31, v3
	v_cmp_gt_i32_e32 vcc_lo, s18, v3
	s_ashr_i32 s3, s3, 5
	s_barrier
	s_add_i32 s3, s3, -1
	v_lshrrev_b32_e32 v5, 27, v4
	v_or_b32_e32 v4, 16, v3
	buffer_gl0_inv
	s_mul_i32 s6, s15, s6
	v_lshlrev_b64 v[73:74], 1, v[1:2]
	v_add_nc_u32_e32 v6, v3, v5
	v_add_nc_u32_e32 v5, v4, v5
	s_mul_i32 s20, s34, s4
	s_delay_alu instid0(SALU_CYCLE_1) | instskip(NEXT) | instid1(VALU_DEP_2)
	s_ashr_i32 s21, s20, 31
	v_ashrrev_i32_e32 v6, 5, v6
	s_delay_alu instid0(VALU_DEP_2) | instskip(SKIP_1) | instid1(SALU_CYCLE_1)
	v_ashrrev_i32_e32 v5, 5, v5
	s_lshl_b64 s[20:21], s[20:21], 2
	s_add_u32 s4, s12, s20
	s_delay_alu instid0(VALU_DEP_2) | instskip(SKIP_3) | instid1(SALU_CYCLE_1)
	v_cndmask_b32_e32 v3, s3, v6, vcc_lo
	v_cmp_gt_i32_e32 vcc_lo, s18, v4
	s_addc_u32 s17, s13, s21
	s_ashr_i32 s7, s6, 31
	s_lshl_b64 s[6:7], s[6:7], 1
	v_cndmask_b32_e32 v5, s3, v5, vcc_lo
	v_ashrrev_i32_e32 v4, 31, v3
	s_add_u32 s15, s8, s6
	s_addc_u32 s28, s9, s7
	s_lshl_b32 s8, s14, 3
	v_ashrrev_i32_e32 v6, 31, v5
	v_lshlrev_b64 v[3:4], 2, v[3:4]
	s_ashr_i32 s9, s8, 31
	s_delay_alu instid0(SALU_CYCLE_1) | instskip(NEXT) | instid1(VALU_DEP_2)
	s_lshl_b64 s[8:9], s[8:9], 2
	v_lshlrev_b64 v[5:6], 2, v[5:6]
	s_add_u32 s8, s4, s8
	s_delay_alu instid0(VALU_DEP_2) | instskip(SKIP_1) | instid1(VALU_DEP_3)
	v_add_co_u32 v3, vcc_lo, s4, v3
	v_add_co_ci_u32_e32 v4, vcc_lo, s17, v4, vcc_lo
	v_add_co_u32 v5, vcc_lo, s4, v5
	s_delay_alu instid0(VALU_DEP_4)
	v_add_co_ci_u32_e32 v6, vcc_lo, s17, v6, vcc_lo
	s_addc_u32 s9, s17, s9
	s_clause 0x1
	global_load_b32 v7, v[3:4], off
	global_load_b32 v8, v[5:6], off
	s_or_b32 s12, s16, 32
	s_delay_alu instid0(SALU_CYCLE_1) | instskip(SKIP_2) | instid1(SALU_CYCLE_1)
	s_ashr_i32 s13, s12, 5
	s_cmp_lt_i32 s12, s18
	s_cselect_b32 s12, s13, s3
	s_ashr_i32 s13, s12, 31
	s_delay_alu instid0(SALU_CYCLE_1) | instskip(NEXT) | instid1(SALU_CYCLE_1)
	s_lshl_b64 s[12:13], s[12:13], 2
	s_add_u32 s12, s4, s12
	s_addc_u32 s13, s17, s13
	s_or_b32 s20, s16, 64
	s_delay_alu instid0(SALU_CYCLE_1) | instskip(SKIP_2) | instid1(SALU_CYCLE_1)
	s_ashr_i32 s21, s20, 5
	s_cmp_lt_i32 s20, s18
	s_cselect_b32 s20, s21, s3
	s_ashr_i32 s21, s20, 31
	s_delay_alu instid0(SALU_CYCLE_1) | instskip(NEXT) | instid1(SALU_CYCLE_1)
	s_lshl_b64 s[20:21], s[20:21], 2
	s_add_u32 s20, s4, s20
	s_addc_u32 s21, s17, s21
	s_or_b32 s22, s16, 0x60
	s_delay_alu instid0(SALU_CYCLE_1) | instskip(SKIP_2) | instid1(SALU_CYCLE_1)
	s_ashr_i32 s23, s22, 5
	s_cmp_lt_i32 s22, s18
	s_cselect_b32 s22, s23, s3
	s_ashr_i32 s23, s22, 31
	s_delay_alu instid0(SALU_CYCLE_1) | instskip(NEXT) | instid1(SALU_CYCLE_1)
	s_lshl_b64 s[22:23], s[22:23], 2
	s_add_u32 s22, s4, s22
	s_addc_u32 s23, s17, s23
	s_or_b32 s24, s16, 0x80
	s_delay_alu instid0(SALU_CYCLE_1) | instskip(SKIP_2) | instid1(SALU_CYCLE_1)
	s_ashr_i32 s25, s24, 5
	s_cmp_lt_i32 s24, s18
	s_cselect_b32 s24, s25, s3
	s_ashr_i32 s25, s24, 31
	s_delay_alu instid0(SALU_CYCLE_1) | instskip(NEXT) | instid1(SALU_CYCLE_1)
	s_lshl_b64 s[24:25], s[24:25], 2
	s_add_u32 s24, s4, s24
	s_addc_u32 s25, s17, s25
	s_or_b32 s26, s16, 0xa0
	s_delay_alu instid0(SALU_CYCLE_1) | instskip(SKIP_2) | instid1(SALU_CYCLE_1)
	s_ashr_i32 s27, s26, 5
	s_cmp_lt_i32 s26, s18
	s_cselect_b32 s26, s27, s3
	s_ashr_i32 s27, s26, 31
	s_delay_alu instid0(SALU_CYCLE_1) | instskip(NEXT) | instid1(SALU_CYCLE_1)
	s_lshl_b64 s[26:27], s[26:27], 2
	s_add_u32 s26, s4, s26
	s_addc_u32 s27, s17, s27
	s_clause 0x5
	s_load_b32 s29, s[8:9], 0x0
	s_load_b32 s30, s[12:13], 0x0
	;; [unrolled: 1-line block ×6, first 2 shown]
	s_mov_b32 s20, 0
	s_or_b32 s8, s16, 0xc0
	s_mov_b32 s21, s20
	s_mov_b32 s22, s20
	;; [unrolled: 1-line block ×7, first 2 shown]
	s_ashr_i32 s9, s8, 5
	v_mov_b32_e32 v128, s27
	s_cmp_lt_i32 s8, s18
	v_mov_b32_e32 v127, s26
	s_cselect_b32 s8, s9, s3
	v_mov_b32_e32 v126, s25
	s_ashr_i32 s9, s8, 31
	v_mov_b32_e32 v125, s24
	s_lshl_b64 s[8:9], s[8:9], 2
	v_mov_b32_e32 v124, s23
	s_add_u32 s8, s4, s8
	s_addc_u32 s9, s17, s9
	v_mov_b32_e32 v123, s22
	v_mov_b32_e32 v121, s20
	s_waitcnt lgkmcnt(0)
	s_mul_hi_i32 s13, s29, s5
	s_mul_i32 s12, s29, s5
	v_mov_b32_e32 v122, s21
	s_mul_hi_i32 s21, s30, s5
	s_mul_i32 s20, s30, s5
	s_mul_hi_i32 s25, s31, s5
	s_mul_i32 s24, s31, s5
	;; [unrolled: 2-line block ×4, first 2 shown]
	s_waitcnt vmcnt(1)
	v_mad_i64_i32 v[3:4], null, v7, s5, 0
	s_waitcnt vmcnt(0)
	v_mad_i64_i32 v[5:6], null, v8, s5, 0
	s_delay_alu instid0(VALU_DEP_2) | instskip(NEXT) | instid1(VALU_DEP_2)
	v_lshlrev_b64 v[3:4], 1, v[3:4]
	v_lshlrev_b64 v[1:2], 1, v[5:6]
	s_delay_alu instid0(VALU_DEP_2) | instskip(NEXT) | instid1(VALU_DEP_3)
	v_add_co_u32 v3, vcc_lo, s15, v3
	v_add_co_ci_u32_e32 v4, vcc_lo, s28, v4, vcc_lo
	s_delay_alu instid0(VALU_DEP_3) | instskip(NEXT) | instid1(VALU_DEP_4)
	v_add_co_u32 v1, vcc_lo, s15, v1
	v_add_co_ci_u32_e32 v2, vcc_lo, s28, v2, vcc_lo
	s_delay_alu instid0(VALU_DEP_4) | instskip(NEXT) | instid1(VALU_DEP_4)
	v_add_co_u32 v25, vcc_lo, v3, v73
	v_add_co_ci_u32_e32 v26, vcc_lo, v4, v74, vcc_lo
	s_delay_alu instid0(VALU_DEP_4) | instskip(NEXT) | instid1(VALU_DEP_4)
	v_add_co_u32 v27, vcc_lo, v1, v73
	v_add_co_ci_u32_e32 v28, vcc_lo, v2, v74, vcc_lo
	s_clause 0xf
	global_load_b128 v[1:4], v[25:26], off
	global_load_b128 v[5:8], v[25:26], off offset:512
	global_load_b128 v[9:12], v[27:28], off offset:256
	;; [unrolled: 1-line block ×15, first 2 shown]
	v_cmp_ne_u32_e32 vcc_lo, 15, v77
	s_or_b32 s15, s16, 0xe0
	s_delay_alu instid0(SALU_CYCLE_1) | instskip(SKIP_3) | instid1(SALU_CYCLE_1)
	s_ashr_i32 s22, s15, 5
	s_cmp_lt_i32 s15, s18
	v_cndmask_b32_e32 v25, 0, v77, vcc_lo
	s_cselect_b32 s22, s22, s3
	s_ashr_i32 s23, s22, 31
	s_delay_alu instid0(VALU_DEP_1)
	v_lshlrev_b32_e32 v151, 6, v25
	ds_load_b128 v[25:28], v151
	ds_load_b128 v[29:32], v151 offset:1024
	ds_load_b128 v[129:132], v151 offset:2048
	;; [unrolled: 1-line block ×3, first 2 shown]
	s_lshl_b64 s[22:23], s[22:23], 2
	s_delay_alu instid0(SALU_CYCLE_1) | instskip(SKIP_2) | instid1(SALU_CYCLE_1)
	s_add_u32 s22, s4, s22
	s_addc_u32 s23, s17, s23
	s_add_i32 s15, s16, 0x100
	s_ashr_i32 s28, s15, 5
	s_cmp_lt_i32 s15, s18
	s_load_b32 s15, s[8:9], 0x0
	s_cselect_b32 s28, s28, s3
	s_mul_hi_i32 s9, s37, s5
	s_ashr_i32 s29, s28, 31
	s_mul_i32 s8, s37, s5
	s_lshl_b64 s[28:29], s[28:29], 2
	s_delay_alu instid0(SALU_CYCLE_1)
	s_add_u32 s28, s4, s28
	s_addc_u32 s29, s17, s29
	s_add_u32 s3, s10, s6
	s_clause 0x1
	s_load_b32 s4, s[22:23], 0x0
	s_load_b32 s17, s[28:29], 0x0
	s_addc_u32 s28, s11, s7
	s_lshl_b64 s[6:7], s[12:13], 1
	s_lshl_b64 s[10:11], s[20:21], 1
	;; [unrolled: 1-line block ×6, first 2 shown]
	s_waitcnt lgkmcnt(0)
	s_mul_hi_i32 s25, s15, s5
	s_mul_i32 s24, s15, s5
	s_delay_alu instid0(SALU_CYCLE_1)
	s_lshl_b64 s[24:25], s[24:25], 1
	s_waitcnt vmcnt(14)
	v_wmma_f32_16x16x16_f16 v[137:144], v[1:8], v[25:32], v[121:128]
	s_waitcnt vmcnt(12)
	v_wmma_f32_16x16x16_f16 v[121:128], v[9:16], v[25:32], v[121:128]
	s_waitcnt vmcnt(10)
	s_delay_alu instid0(VALU_DEP_2) | instskip(SKIP_1) | instid1(VALU_DEP_2)
	v_wmma_f32_16x16x16_f16 v[137:144], v[17:24], v[129:136], v[137:144]
	s_waitcnt vmcnt(8)
	v_wmma_f32_16x16x16_f16 v[121:128], v[81:88], v[129:136], v[121:128]
	v_mbcnt_lo_u32_b32 v130, -1, 0
	s_delay_alu instid0(VALU_DEP_1) | instskip(SKIP_1) | instid1(VALU_DEP_1)
	v_xor_b32_e32 v131, 16, v130
	v_lshlrev_b32_e32 v79, 6, v77
	v_lshl_or_b32 v33, v78, 10, v79
	s_delay_alu instid0(VALU_DEP_1) | instskip(NEXT) | instid1(VALU_DEP_1)
	v_add_co_u32 v152, s3, s3, v33
	v_add_co_ci_u32_e64 v153, null, s28, 0, s3
	s_delay_alu instid0(VALU_DEP_2) | instskip(NEXT) | instid1(VALU_DEP_2)
	v_add_co_u32 v33, vcc_lo, v152, s6
	v_add_co_ci_u32_e32 v34, vcc_lo, s7, v153, vcc_lo
	v_add_co_u32 v35, vcc_lo, v152, s10
	v_add_co_ci_u32_e32 v36, vcc_lo, s11, v153, vcc_lo
	;; [unrolled: 2-line block ×6, first 2 shown]
	s_mul_hi_i32 s7, s4, s5
	s_mul_i32 s6, s4, s5
	v_add_co_u32 v149, vcc_lo, v152, s24
	s_lshl_b64 s[6:7], s[6:7], 1
	v_add_co_ci_u32_e32 v150, vcc_lo, s25, v153, vcc_lo
	v_add_co_u32 v29, vcc_lo, v152, s6
	v_add_co_ci_u32_e32 v30, vcc_lo, s7, v153, vcc_lo
	s_mul_hi_i32 s7, s17, s5
	s_mul_i32 s6, s17, s5
	s_clause 0x7
	global_load_b128 v[65:68], v[33:34], off
	global_load_b128 v[69:72], v[33:34], off offset:16
	global_load_b128 v[57:60], v[35:36], off
	global_load_b128 v[61:64], v[35:36], off offset:16
	global_load_b128 v[49:52], v[37:38], off
	global_load_b128 v[53:56], v[37:38], off offset:16
	global_load_b128 v[41:44], v[39:40], off
	global_load_b128 v[45:48], v[39:40], off offset:16
	s_lshl_b64 s[4:5], s[6:7], 1
	s_clause 0x1
	global_load_b128 v[9:12], v[145:146], off
	global_load_b128 v[13:16], v[145:146], off offset:16
	v_add_co_u32 v21, vcc_lo, v152, s4
	v_add_co_ci_u32_e32 v22, vcc_lo, s5, v153, vcc_lo
	s_clause 0x7
	global_load_b128 v[1:4], v[147:148], off
	global_load_b128 v[5:8], v[147:148], off offset:16
	global_load_b128 v[33:36], v[149:150], off
	global_load_b128 v[37:40], v[149:150], off offset:16
	;; [unrolled: 2-line block ×4, first 2 shown]
	ds_load_b128 v[81:84], v151 offset:4096
	ds_load_b128 v[85:88], v151 offset:5120
	v_cmp_gt_i32_e32 vcc_lo, 32, v131
	v_cndmask_b32_e32 v130, v130, v131, vcc_lo
	s_waitcnt vmcnt(24) lgkmcnt(0)
	v_wmma_f32_16x16x16_f16 v[137:144], v[89:96], v[81:88], v[137:144]
	ds_load_b128 v[89:92], v151 offset:6144
	ds_load_b128 v[93:96], v151 offset:7168
	s_waitcnt vmcnt(22)
	v_wmma_f32_16x16x16_f16 v[121:128], v[97:104], v[81:88], v[121:128]
	s_waitcnt vmcnt(0) lgkmcnt(0)
	s_barrier
	buffer_gl0_inv
	v_wmma_f32_16x16x16_f16 v[137:144], v[105:112], v[89:96], v[137:144]
	v_and_b32_e32 v129, 0xe0, v0
	v_wmma_f32_16x16x16_f16 v[121:128], v[113:120], v[89:96], v[121:128]
	s_delay_alu instid0(VALU_DEP_3) | instskip(NEXT) | instid1(VALU_DEP_2)
	v_mul_f32_e32 v96, s19, v137
	v_dual_mul_f32 v104, s19, v126 :: v_dual_add_nc_u32 v129, s16, v129
	v_mul_f32_e32 v95, s19, v138
	v_dual_mul_f32 v93, s19, v140 :: v_dual_mul_f32 v94, s19, v139
	s_delay_alu instid0(VALU_DEP_3) | instskip(SKIP_3) | instid1(VALU_DEP_4)
	v_or_b32_e32 v129, v129, v75
	v_dual_mul_f32 v91, s19, v142 :: v_dual_mul_f32 v106, s19, v124
	v_dual_mul_f32 v92, s19, v141 :: v_dual_mul_f32 v89, s19, v144
	v_mul_f32_e32 v108, s19, v122
	v_or_b32_e32 v131, 2, v129
	v_or_b32_e32 v132, 4, v129
	v_or_b32_e32 v81, 6, v129
	v_cmp_gt_i32_e32 vcc_lo, s18, v129
	v_or_b32_e32 v82, 8, v129
	v_cmp_gt_i32_e64 s3, s18, v131
	v_or_b32_e32 v83, 10, v129
	v_cmp_gt_i32_e64 s4, s18, v132
	v_cndmask_b32_e32 v96, 0xff7fffff, v96, vcc_lo
	v_cmp_gt_i32_e64 s5, s18, v81
	v_cndmask_b32_e64 v95, 0xff7fffff, v95, s3
	v_or_b32_e32 v84, 12, v129
	v_or_b32_e32 v85, 14, v129
	v_cndmask_b32_e64 v94, 0xff7fffff, v94, s4
	v_cndmask_b32_e64 v81, 0xff7fffff, v93, s5
	v_max3_f32 v93, v96, 0xff7fffff, v95
	v_cmp_gt_i32_e64 s6, s18, v82
	v_cmp_gt_i32_e64 s7, s18, v83
	v_or_b32_e32 v86, 16, v129
	v_or_b32_e32 v87, 18, v129
	v_mul_f32_e32 v90, s19, v143
	v_cndmask_b32_e64 v82, 0xff7fffff, v92, s6
	v_cndmask_b32_e64 v83, 0xff7fffff, v91, s7
	v_max3_f32 v81, v93, v94, v81
	v_cmp_gt_i32_e64 s8, s18, v84
	v_cmp_gt_i32_e64 s9, s18, v85
	v_or_b32_e32 v88, 20, v129
	v_or_b32_e32 v97, 22, v129
	v_mul_f32_e32 v109, s19, v121
	;; [unrolled: 8-line block ×4, first 2 shown]
	v_cndmask_b32_e64 v84, 0xff7fffff, v107, s12
	v_cndmask_b32_e64 v85, 0xff7fffff, v106, s13
	v_max3_f32 v81, v81, v82, v83
	v_cmp_gt_i32_e64 s15, s18, v98
	v_cmp_gt_i32_e64 s16, s18, v99
	v_dual_mul_f32 v102, s19, v128 :: v_dual_mul_f32 v103, s19, v127
	s_delay_alu instid0(VALU_DEP_4) | instskip(NEXT) | instid1(VALU_DEP_4)
	v_max3_f32 v81, v81, v84, v85
	v_cndmask_b32_e64 v82, 0xff7fffff, v105, s15
	s_delay_alu instid0(VALU_DEP_4) | instskip(SKIP_2) | instid1(VALU_DEP_3)
	v_cndmask_b32_e64 v83, 0xff7fffff, v104, s16
	v_cmp_gt_i32_e64 s17, s18, v100
	v_cmp_gt_i32_e64 s18, s18, v101
	v_max3_f32 v81, v81, v82, v83
	s_delay_alu instid0(VALU_DEP_3) | instskip(NEXT) | instid1(VALU_DEP_3)
	v_cndmask_b32_e64 v84, 0xff7fffff, v103, s17
	v_cndmask_b32_e64 v85, 0xff7fffff, v102, s18
	v_lshlrev_b32_e32 v83, 2, v130
	s_delay_alu instid0(VALU_DEP_2) | instskip(SKIP_3) | instid1(VALU_DEP_1)
	v_max3_f32 v81, v81, v84, v85
	ds_bpermute_b32 v82, v83, v81
	s_waitcnt lgkmcnt(0)
	v_max_f32_e32 v82, v82, v82
	v_max_f32_e32 v81, v81, v82
	s_delay_alu instid0(VALU_DEP_1)
	v_fma_f32 v82, s19, v137, -v81
	v_fma_f32 v84, s19, v138, -v81
	;; [unrolled: 1-line block ×5, first 2 shown]
	v_mul_f32_e32 v82, 0x3fb8aa3b, v82
	s_delay_alu instid0(VALU_DEP_4) | instskip(NEXT) | instid1(VALU_DEP_3)
	v_dual_mul_f32 v84, 0x3fb8aa3b, v84 :: v_dual_mul_f32 v89, 0x3fb8aa3b, v87
	v_mul_f32_e32 v86, 0x3fb8aa3b, v86
	s_delay_alu instid0(VALU_DEP_3) | instskip(NEXT) | instid1(VALU_DEP_2)
	v_exp_f32_e32 v82, v82
	v_exp_f32_e32 v84, v84
	s_delay_alu instid0(VALU_DEP_2) | instskip(NEXT) | instid1(VALU_DEP_1)
	v_exp_f32_e32 v92, v89
	v_exp_f32_e32 v86, v86
	v_cndmask_b32_e32 v88, 0, v82, vcc_lo
	s_delay_alu instid0(TRANS32_DEP_3)
	v_cndmask_b32_e64 v87, 0, v84, s3
	s_waitcnt_depctr 0xfff
	v_cndmask_b32_e64 v92, 0, v92, s6
	v_cmp_gt_u32_e64 s3, 16, v80
	v_cndmask_b32_e64 v89, 0, v86, s5
	v_add_f32_e32 v84, 0, v88
	s_delay_alu instid0(VALU_DEP_1) | instskip(NEXT) | instid1(VALU_DEP_1)
	v_dual_add_f32 v84, v84, v87 :: v_dual_mul_f32 v85, 0x3fb8aa3b, v85
	v_exp_f32_e32 v85, v85
	s_waitcnt_depctr 0xfff
	v_cndmask_b32_e64 v90, 0, v85, s4
	s_delay_alu instid0(VALU_DEP_1) | instskip(NEXT) | instid1(VALU_DEP_1)
	v_add_f32_e32 v84, v84, v90
	v_add_f32_e32 v84, v84, v89
	v_fma_f32 v82, s19, v142, -v81
	v_fma_f32 v91, s19, v143, -v81
	;; [unrolled: 1-line block ×5, first 2 shown]
	s_delay_alu instid0(VALU_DEP_4) | instskip(SKIP_1) | instid1(VALU_DEP_4)
	v_dual_mul_f32 v82, 0x3fb8aa3b, v82 :: v_dual_mul_f32 v91, 0x3fb8aa3b, v91
	v_fma_f32 v96, s19, v124, -v81
	v_mul_f32_e32 v86, 0x3fb8aa3b, v86
	v_fma_f32 v99, s19, v127, -v81
	s_delay_alu instid0(VALU_DEP_4) | instskip(SKIP_3) | instid1(VALU_DEP_1)
	v_exp_f32_e32 v82, v82
	v_exp_f32_e32 v93, v91
	v_mul_f32_e32 v97, 0x3fb8aa3b, v96
	v_exp_f32_e32 v86, v86
	v_exp_f32_e32 v97, v97
	v_cndmask_b32_e64 v91, 0, v82, s7
	v_dual_add_f32 v82, v84, v92 :: v_dual_mul_f32 v85, 0x3fb8aa3b, v85
	v_fma_f32 v84, s19, v123, -v81
	v_mul_f32_e32 v95, 0x3fb8aa3b, v94
	s_delay_alu instid0(TRANS32_DEP_3) | instskip(NEXT) | instid1(VALU_DEP_4)
	v_cndmask_b32_e64 v94, 0, v93, s8
	v_add_f32_e32 v82, v82, v91
	v_exp_f32_e32 v85, v85
	v_mul_f32_e32 v84, 0x3fb8aa3b, v84
	v_cndmask_b32_e64 v96, 0, v86, s10
	v_exp_f32_e32 v95, v95
	v_add_f32_e32 v82, v82, v94
	v_fma_f32 v86, s19, v126, -v81
	v_exp_f32_e32 v84, v84
	v_cndmask_b32_e64 v97, 0, v97, s13
	s_delay_alu instid0(TRANS32_DEP_3) | instskip(SKIP_2) | instid1(TRANS32_DEP_2)
	v_cndmask_b32_e64 v93, 0, v85, s9
	v_fma_f32 v85, s19, v125, -v81
	v_mul_f32_e32 v86, 0x3fb8aa3b, v86
	v_cndmask_b32_e64 v95, 0, v95, s11
	s_waitcnt_depctr 0xfff
	v_cndmask_b32_e64 v98, 0, v84, s12
	v_mul_f32_e32 v84, 0x3fb8aa3b, v99
	v_fma_f32 v99, s19, v128, -v81
	v_add_f32_e32 v82, v82, v93
	v_mul_f32_e32 v85, 0x3fb8aa3b, v85
	v_exp_f32_e32 v86, v86
	v_exp_f32_e32 v84, v84
	s_delay_alu instid0(VALU_DEP_1)
	v_exp_f32_e32 v85, v85
	s_waitcnt_depctr 0xfff
	v_cndmask_b32_e64 v102, 0, v84, s17
	v_cndmask_b32_e64 v100, 0, v85, s15
	v_dual_mul_f32 v85, 0x3fb8aa3b, v99 :: v_dual_add_f32 v82, v82, v96
	v_cndmask_b32_e64 v99, 0, v86, s16
	s_delay_alu instid0(VALU_DEP_2) | instskip(NEXT) | instid1(VALU_DEP_2)
	v_exp_f32_e32 v85, v85
	v_add_f32_e32 v82, v82, v95
	s_delay_alu instid0(VALU_DEP_1) | instskip(SKIP_3) | instid1(VALU_DEP_1)
	v_add_f32_e32 v82, v82, v98
	s_waitcnt_depctr 0xfff
	v_cndmask_b32_e64 v101, 0, v85, s18
	v_add_f32_e32 v82, v82, v97
	v_add_f32_e32 v82, v82, v100
	s_delay_alu instid0(VALU_DEP_1) | instskip(NEXT) | instid1(VALU_DEP_1)
	v_add_f32_e32 v82, v82, v99
	v_add_f32_e32 v82, v82, v102
	s_delay_alu instid0(VALU_DEP_1)
	v_add_f32_e32 v82, v82, v101
	ds_bpermute_b32 v83, v83, v82
	s_and_saveexec_b32 s4, s3
	s_cbranch_execz .LBB168_14
; %bb.13:
	v_mul_u32_u24_e32 v80, 0x44, v78
	s_waitcnt lgkmcnt(0)
	v_add_f32_e32 v82, v82, v83
	s_delay_alu instid0(VALU_DEP_2) | instskip(NEXT) | instid1(VALU_DEP_1)
	v_lshl_add_u32 v80, v77, 2, v80
	v_add_nc_u32_e32 v80, 0x4000, v80
	ds_store_2addr_b32 v80, v81, v82 offset1:136
.LBB168_14:
	s_or_b32 exec_lo, exec_lo, s4
	v_lshlrev_b32_e32 v80, 2, v77
	s_load_b32 s36, s[0:1], 0x94
	s_waitcnt lgkmcnt(0)
	s_barrier
	buffer_gl0_inv
	v_add_nc_u32_e32 v84, 0x4000, v80
	v_cmp_eq_u32_e32 vcc_lo, 1, v78
	v_cmp_eq_u32_e64 s4, 2, v78
	v_cmp_eq_u32_e64 s5, 3, v78
	;; [unrolled: 1-line block ×3, first 2 shown]
	ds_load_2addr_b32 v[80:81], v84 offset1:17
	ds_load_2addr_b32 v[82:83], v84 offset0:34 offset1:51
	ds_load_2addr_b32 v[103:104], v84 offset0:68 offset1:85
	;; [unrolled: 1-line block ×3, first 2 shown]
	v_cmp_eq_u32_e64 s7, 7, v78
	s_waitcnt lgkmcnt(3)
	v_max3_f32 v85, v80, 0xff7fffff, v81
	s_waitcnt lgkmcnt(2)
	s_delay_alu instid0(VALU_DEP_1) | instskip(SKIP_1) | instid1(VALU_DEP_1)
	v_max3_f32 v85, v85, v82, v83
	s_waitcnt lgkmcnt(1)
	v_max3_f32 v85, v85, v103, v104
	s_waitcnt lgkmcnt(0)
	s_delay_alu instid0(VALU_DEP_1) | instskip(NEXT) | instid1(VALU_DEP_1)
	v_max3_f32 v85, v85, v105, v106
	v_sub_f32_e32 v103, v103, v85
	ds_load_2addr_b32 v[107:108], v84 offset0:136 offset1:153
	v_sub_f32_e32 v80, v80, v85
	v_dual_sub_f32 v110, v83, v85 :: v_dual_mul_f32 v113, 0x3fb8aa3b, v103
	s_delay_alu instid0(VALU_DEP_2) | instskip(SKIP_3) | instid1(VALU_DEP_1)
	v_dual_sub_f32 v86, v81, v85 :: v_dual_mul_f32 v109, 0x3fb8aa3b, v80
	ds_load_2addr_b32 v[80:81], v84 offset0:170 offset1:187
	v_mul_f32_e32 v86, 0x3fb8aa3b, v86
	v_exp_f32_e32 v109, v109
	v_exp_f32_e32 v112, v86
	v_mul_f32_e32 v110, 0x3fb8aa3b, v110
	s_waitcnt lgkmcnt(1)
	s_waitcnt_depctr 0xfff
	v_fma_f32 v86, v109, v107, 0
	v_sub_f32_e32 v107, v104, v85
	v_sub_f32_e32 v82, v82, v85
	v_exp_f32_e32 v110, v110
	ds_load_2addr_b32 v[103:104], v84 offset0:238 offset1:255
	v_dual_fmac_f32 v86, v112, v108 :: v_dual_mul_f32 v111, 0x3fb8aa3b, v82
	ds_load_2addr_b32 v[82:83], v84 offset0:204 offset1:221
	v_dual_sub_f32 v84, v105, v85 :: v_dual_mul_f32 v105, 0x3fb8aa3b, v107
	v_exp_f32_e32 v107, v113
	v_exp_f32_e32 v111, v111
	s_waitcnt lgkmcnt(0)
	s_delay_alu instid0(VALU_DEP_1)
	v_mul_f32_e32 v84, 0x3fb8aa3b, v84
	v_exp_f32_e32 v105, v105
	s_barrier
	buffer_gl0_inv
	v_fmac_f32_e32 v86, v111, v80
	v_sub_f32_e32 v80, v106, v85
	v_exp_f32_e32 v106, v84
	s_delay_alu instid0(VALU_DEP_2) | instskip(NEXT) | instid1(VALU_DEP_2)
	v_fmac_f32_e32 v86, v110, v81
	v_mul_f32_e32 v80, 0x3fb8aa3b, v80
	s_delay_alu instid0(VALU_DEP_2) | instskip(NEXT) | instid1(VALU_DEP_2)
	v_dual_cndmask_b32 v81, v109, v112 :: v_dual_fmac_f32 v86, v107, v82
	v_exp_f32_e32 v108, v80
	s_delay_alu instid0(VALU_DEP_1) | instskip(SKIP_2) | instid1(VALU_DEP_1)
	v_fmac_f32_e32 v86, v105, v83
	s_waitcnt_depctr 0xfff
	v_fmac_f32_e32 v86, v106, v103
	v_fmac_f32_e32 v86, v108, v104
	s_delay_alu instid0(VALU_DEP_1) | instskip(NEXT) | instid1(VALU_DEP_1)
	v_add_f32_e32 v103, 0x358637bd, v86
	v_div_scale_f32 v104, null, v103, v103, 1.0
	v_div_scale_f32 v109, vcc_lo, 1.0, v103, 1.0
	s_delay_alu instid0(VALU_DEP_2) | instskip(SKIP_2) | instid1(VALU_DEP_1)
	v_rcp_f32_e32 v113, v104
	s_waitcnt_depctr 0xfff
	v_fma_f32 v80, -v104, v113, 1.0
	v_fmac_f32_e32 v113, v80, v113
	v_cndmask_b32_e64 v80, v81, v111, s4
	v_cmp_eq_u32_e64 s4, 4, v78
	v_lshl_or_b32 v81, v78, 11, v79
	s_delay_alu instid0(VALU_DEP_4) | instskip(NEXT) | instid1(VALU_DEP_4)
	v_mul_f32_e32 v111, v109, v113
	v_cndmask_b32_e64 v82, v80, v110, s5
	v_cmp_eq_u32_e64 s5, 6, v78
	s_delay_alu instid0(VALU_DEP_4) | instskip(SKIP_3) | instid1(VALU_DEP_3)
	v_lshl_or_b32 v78, v75, 4, v81
	v_lshlrev_b32_e32 v80, 2, v75
	v_fma_f32 v83, -v104, v111, v109
	v_cndmask_b32_e64 v84, v82, v107, s4
	v_or_b32_e32 v82, 1, v80
	s_delay_alu instid0(VALU_DEP_3) | instskip(NEXT) | instid1(VALU_DEP_3)
	v_fmac_f32_e32 v111, v83, v113
	v_cndmask_b32_e64 v105, v84, v105, s6
	v_or_b32_e32 v84, 2, v80
	v_or_b32_e32 v83, 3, v80
	v_cmp_eq_u32_e64 s4, 1, v80
	v_fma_f32 v104, -v104, v111, v109
	v_cndmask_b32_e64 v105, v105, v106, s5
	v_cmp_eq_u32_e64 s10, 1, v82
	v_cmp_eq_u32_e64 s11, 1, v84
	;; [unrolled: 1-line block ×3, first 2 shown]
	v_div_fmas_f32 v104, v104, v113, v111
	v_cndmask_b32_e64 v105, v105, v108, s7
	v_cmp_eq_u32_e32 vcc_lo, 2, v80
	v_cmp_eq_u32_e64 s13, 2, v82
	v_cmp_eq_u32_e64 s16, 2, v84
	v_div_fixup_f32 v103, v104, v103, 1.0
	v_cmp_eq_u32_e64 s17, 2, v83
	v_cmp_eq_u32_e64 s19, 3, v83
	;; [unrolled: 1-line block ×4, first 2 shown]
	v_mul_f32_e32 v111, v105, v103
	v_cmp_eq_u32_e64 s18, 3, v84
	v_cmp_eq_u32_e64 s23, 4, v83
	;; [unrolled: 1-line block ×4, first 2 shown]
	v_fma_mixlo_f16 v103, v111, v88, 0
	v_fma_mixlo_f16 v104, v111, v90, 0
	;; [unrolled: 1-line block ×8, first 2 shown]
	v_fma_mixhi_f16 v103, v111, v87, 0
	v_fma_mixhi_f16 v104, v111, v89, 0
	;; [unrolled: 1-line block ×8, first 2 shown]
	ds_store_b128 v78, v[103:106]
	ds_store_b128 v78, v[107:110] offset:1024
	s_waitcnt lgkmcnt(0)
	s_barrier
	buffer_gl0_inv
	ds_load_b128 v[87:90], v81
	ds_load_b128 v[91:94], v81 offset:16
	ds_load_b128 v[95:98], v81 offset:1024
	;; [unrolled: 1-line block ×3, first 2 shown]
	v_cmp_eq_u32_e64 s22, 4, v84
	v_cmp_eq_u32_e64 s25, 5, v83
	;; [unrolled: 1-line block ×13, first 2 shown]
	s_waitcnt lgkmcnt(3)
	v_lshrrev_b32_e32 v103, 16, v87
	s_waitcnt lgkmcnt(2)
	v_lshrrev_b32_e32 v107, 16, v91
	;; [unrolled: 2-line block ×4, first 2 shown]
	v_lshrrev_b32_e32 v104, 16, v88
	v_cndmask_b32_e64 v119, v87, v103, s4
	v_cndmask_b32_e64 v120, v91, v107, s4
	v_cndmask_b32_e64 v121, v87, v103, s10
	v_cndmask_b32_e64 v122, v91, v107, s10
	v_cndmask_b32_e64 v123, v87, v103, s11
	v_cndmask_b32_e64 v124, v91, v107, s11
	v_cndmask_b32_e64 v87, v87, v103, s12
	v_cndmask_b32_e64 v91, v91, v107, s12
	v_lshrrev_b32_e32 v108, 16, v92
	v_cndmask_b32_e64 v103, v95, v111, s4
	v_cndmask_b32_e64 v107, v99, v115, s4
	v_cndmask_b32_e64 v125, v95, v111, s10
	v_cndmask_b32_e64 v127, v95, v111, s11
	v_cndmask_b32_e64 v95, v95, v111, s12
	v_cndmask_b32_e32 v111, v119, v88, vcc_lo
	v_cndmask_b32_e64 v119, v121, v88, s13
	v_cndmask_b32_e64 v121, v123, v88, s16
	v_cndmask_b32_e64 v87, v87, v88, s17
	v_cndmask_b32_e64 v88, v91, v92, s17
	v_lshrrev_b32_e32 v112, 16, v96
	v_lshrrev_b32_e32 v116, 16, v100
	v_cndmask_b32_e64 v126, v99, v115, s10
	v_cndmask_b32_e64 v128, v99, v115, s11
	v_cndmask_b32_e64 v99, v99, v115, s12
	v_cndmask_b32_e32 v115, v120, v92, vcc_lo
	v_cndmask_b32_e64 v120, v122, v92, s13
	v_cndmask_b32_e64 v122, v124, v92, s16
	v_cndmask_b32_e32 v91, v103, v96, vcc_lo
	v_cndmask_b32_e32 v92, v107, v100, vcc_lo
	v_cndmask_b32_e64 v103, v125, v96, s13
	v_cndmask_b32_e64 v87, v87, v104, s19
	v_cndmask_b32_e64 v88, v88, v108, s19
	v_lshrrev_b32_e32 v105, 16, v89
	v_lshrrev_b32_e32 v109, 16, v93
	v_cndmask_b32_e64 v107, v127, v96, s16
	v_cndmask_b32_e64 v95, v95, v96, s17
	;; [unrolled: 1-line block ×14, first 2 shown]
	v_lshrrev_b32_e32 v113, 16, v97
	v_cndmask_b32_e64 v99, v99, v89, s6
	v_cndmask_b32_e64 v104, v111, v93, s6
	;; [unrolled: 1-line block ×11, first 2 shown]
	v_lshrrev_b32_e32 v106, 16, v90
	v_lshrrev_b32_e32 v110, 16, v94
	v_cndmask_b32_e64 v93, v99, v105, s7
	v_cndmask_b32_e64 v99, v104, v109, s7
	;; [unrolled: 1-line block ×9, first 2 shown]
	v_lshrrev_b32_e32 v114, 16, v98
	v_cndmask_b32_e64 v89, v89, v113, s7
	v_cndmask_b32_e64 v93, v93, v90, s8
	;; [unrolled: 1-line block ×19, first 2 shown]
	v_perm_b32 v90, v88, v87, 0x5040100
	v_cndmask_b32_e64 v87, v126, v100, s13
	v_cndmask_b32_e64 v105, v89, v114, s9
	v_perm_b32 v89, v103, v99, 0x5040100
	v_perm_b32 v88, v104, v94, 0x5040100
	v_cndmask_b32_e64 v94, v107, v112, s18
	v_cndmask_b32_e64 v95, v95, v112, s19
	;; [unrolled: 1-line block ×5, first 2 shown]
	v_lshrrev_b32_e32 v117, 16, v101
	v_cndmask_b32_e64 v94, v94, v97, s22
	v_cndmask_b32_e64 v95, v95, v97, s23
	;; [unrolled: 1-line block ×11, first 2 shown]
	v_lshrrev_b32_e32 v118, 16, v102
	v_cndmask_b32_e64 v91, v91, v102, s8
	v_cndmask_b32_e64 v94, v94, v98, s27
	;; [unrolled: 1-line block ×12, first 2 shown]
	v_perm_b32 v87, v93, v92, 0x5040100
	v_perm_b32 v94, v95, v94, 0x5040100
	;; [unrolled: 1-line block ×5, first 2 shown]
	s_mul_i32 s8, s35, 15
	s_mov_b32 s4, exec_lo
	ds_store_b128 v78, v[87:90]
	ds_store_b128 v78, v[91:94] offset:1024
	v_cmpx_gt_u32_e32 15, v0
	s_cbranch_execz .LBB168_16
; %bb.15:
	s_mul_i32 s5, s8, s34
	s_load_b128 s[16:19], s[0:1], 0x58
	v_add3_u32 v77, s5, s33, v77
	s_delay_alu instid0(VALU_DEP_1) | instskip(NEXT) | instid1(VALU_DEP_1)
	v_mad_u64_u32 v[87:88], null, v77, s36, s[14:15]
	v_ashrrev_i32_e32 v88, 31, v87
	s_delay_alu instid0(VALU_DEP_1) | instskip(SKIP_1) | instid1(VALU_DEP_1)
	v_lshlrev_b64 v[87:88], 2, v[87:88]
	s_waitcnt lgkmcnt(0)
	v_add_co_u32 v89, vcc_lo, s18, v87
	s_delay_alu instid0(VALU_DEP_2)
	v_add_co_ci_u32_e32 v90, vcc_lo, s19, v88, vcc_lo
	v_add_co_u32 v87, vcc_lo, s16, v87
	v_add_co_ci_u32_e32 v88, vcc_lo, s17, v88, vcc_lo
	global_store_b32 v[89:90], v85, off
	global_store_b32 v[87:88], v86, off
.LBB168_16:
	s_or_b32 exec_lo, exec_lo, s4
	s_waitcnt lgkmcnt(0)
	s_waitcnt_vscnt null, 0x0
	s_barrier
	buffer_gl0_inv
	ds_load_b128 v[93:96], v79
	ds_load_b128 v[97:100], v79 offset:16
	ds_load_b128 v[105:108], v79 offset:1040
	;; [unrolled: 1-line block ×5, first 2 shown]
	v_cmp_eq_u32_e32 vcc_lo, 1, v84
	v_mov_b32_e32 v85, 0
	ds_load_b128 v[121:124], v79 offset:3088
	ds_load_b128 v[117:120], v79 offset:3072
	;; [unrolled: 1-line block ×4, first 2 shown]
	v_cmp_eq_u32_e64 s4, 1, v80
	v_cmp_eq_u32_e64 s5, 1, v83
	;; [unrolled: 1-line block ×3, first 2 shown]
	v_mov_b32_e32 v86, v85
	v_mov_b32_e32 v87, v85
	;; [unrolled: 1-line block ×7, first 2 shown]
	v_cmp_eq_u32_e64 s7, 2, v80
	s_waitcnt lgkmcnt(8)
	s_delay_alu instid0(VALU_DEP_2)
	v_wmma_f32_16x16x16_f16 v[85:92], v[65:72], v[93:100], v[85:92]
	ds_load_b128 v[69:72], v79 offset:5136
	ds_load_b128 v[65:68], v79 offset:5120
	;; [unrolled: 1-line block ×4, first 2 shown]
	s_waitcnt lgkmcnt(10)
	v_wmma_f32_16x16x16_f16 v[85:92], v[57:64], v[101:108], v[85:92]
	s_waitcnt lgkmcnt(8)
	s_delay_alu instid0(VALU_DEP_1)
	v_wmma_f32_16x16x16_f16 v[85:92], v[57:64], v[109:116], v[85:92]
	ds_load_b128 v[61:64], v79 offset:7184
	ds_load_b128 v[57:60], v79 offset:7168
	;; [unrolled: 1-line block ×4, first 2 shown]
	s_waitcnt lgkmcnt(10)
	v_wmma_f32_16x16x16_f16 v[85:92], v[49:56], v[117:124], v[85:92]
	s_waitcnt lgkmcnt(8)
	s_delay_alu instid0(VALU_DEP_1)
	v_wmma_f32_16x16x16_f16 v[85:92], v[49:56], v[125:132], v[85:92]
	ds_load_b128 v[53:56], v79 offset:9232
	ds_load_b128 v[49:52], v79 offset:9216
	s_waitcnt lgkmcnt(8)
	v_wmma_f32_16x16x16_f16 v[85:92], v[41:48], v[65:72], v[85:92]
	ds_load_b128 v[69:72], v79 offset:10256
	ds_load_b128 v[65:68], v79 offset:10240
	s_waitcnt lgkmcnt(8)
	;; [unrolled: 4-line block ×7, first 2 shown]
	s_barrier
	buffer_gl0_inv
	v_wmma_f32_16x16x16_f16 v[85:92], v[33:40], v[41:48], v[85:92]
	s_delay_alu instid0(VALU_DEP_1) | instskip(NEXT) | instid1(VALU_DEP_1)
	v_wmma_f32_16x16x16_f16 v[85:92], v[33:40], v[57:64], v[85:92]
	v_wmma_f32_16x16x16_f16 v[85:92], v[25:32], v[9:16], v[85:92]
	s_delay_alu instid0(VALU_DEP_1) | instskip(NEXT) | instid1(VALU_DEP_1)
	v_wmma_f32_16x16x16_f16 v[85:92], v[25:32], v[49:56], v[85:92]
	v_wmma_f32_16x16x16_f16 v[85:92], v[17:24], v[1:8], v[85:92]
	s_delay_alu instid0(VALU_DEP_1) | instskip(NEXT) | instid1(VALU_DEP_2)
	v_cvt_f16_f32_e32 v1, v85
	v_cvt_f16_f32_e32 v2, v86
	s_delay_alu instid0(VALU_DEP_3) | instskip(NEXT) | instid1(VALU_DEP_4)
	v_cvt_f16_f32_e32 v3, v87
	v_cvt_f16_f32_e32 v4, v88
	;; [unrolled: 1-line block ×6, first 2 shown]
	v_pack_b32_f16 v1, v1, v2
	v_pack_b32_f16 v2, v3, v4
	;; [unrolled: 1-line block ×3, first 2 shown]
	s_delay_alu instid0(VALU_DEP_4)
	v_pack_b32_f16 v4, v7, v8
	ds_store_b128 v78, v[1:4]
	s_waitcnt lgkmcnt(0)
	s_barrier
	buffer_gl0_inv
	ds_load_b128 v[1:4], v81
	ds_load_b128 v[5:8], v81 offset:16
	s_waitcnt lgkmcnt(1)
	v_lshrrev_b32_e32 v9, 16, v1
	s_waitcnt lgkmcnt(0)
	v_lshrrev_b32_e32 v13, 16, v5
	v_lshrrev_b32_e32 v15, 16, v7
	;; [unrolled: 1-line block ×4, first 2 shown]
	v_cndmask_b32_e64 v17, v1, v9, s4
	v_cndmask_b32_e64 v18, v5, v13, s4
	;; [unrolled: 1-line block ×3, first 2 shown]
	v_cmp_eq_u32_e64 s4, 2, v82
	v_cndmask_b32_e64 v20, v5, v13, s6
	v_cndmask_b32_e32 v21, v1, v9, vcc_lo
	v_cndmask_b32_e32 v22, v5, v13, vcc_lo
	v_cndmask_b32_e64 v1, v1, v9, s5
	v_cndmask_b32_e64 v5, v5, v13, s5
	v_cmp_eq_u32_e32 vcc_lo, 2, v84
	v_cmp_eq_u32_e64 s5, 2, v83
	v_cndmask_b32_e64 v9, v17, v2, s7
	v_cndmask_b32_e64 v13, v18, v6, s7
	;; [unrolled: 1-line block ×4, first 2 shown]
	v_cndmask_b32_e32 v19, v21, v2, vcc_lo
	v_cmp_eq_u32_e64 s4, 3, v84
	v_cndmask_b32_e32 v20, v22, v6, vcc_lo
	v_cndmask_b32_e64 v1, v1, v2, s5
	v_cmp_eq_u32_e32 vcc_lo, 3, v83
	v_cmp_eq_u32_e64 s6, 3, v80
	v_cndmask_b32_e64 v2, v5, v6, s5
	v_cmp_eq_u32_e64 s5, 3, v82
	v_lshrrev_b32_e32 v16, 16, v8
	v_cmp_eq_u32_e64 s7, 4, v80
	v_cndmask_b32_e64 v5, v9, v10, s6
	v_cndmask_b32_e64 v6, v13, v14, s6
	;; [unrolled: 1-line block ×3, first 2 shown]
	v_cmp_eq_u32_e64 s6, 4, v82
	v_cndmask_b32_e64 v13, v18, v14, s5
	v_cndmask_b32_e64 v17, v19, v10, s4
	v_cndmask_b32_e64 v18, v20, v14, s4
	v_cndmask_b32_e32 v1, v1, v10, vcc_lo
	v_cndmask_b32_e32 v2, v2, v14, vcc_lo
	v_cmp_eq_u32_e32 vcc_lo, 4, v84
	v_cmp_eq_u32_e64 s5, 4, v83
	v_lshrrev_b32_e32 v11, 16, v3
	v_cndmask_b32_e64 v5, v5, v3, s7
	v_cndmask_b32_e64 v6, v6, v7, s7
	;; [unrolled: 1-line block ×4, first 2 shown]
	v_cndmask_b32_e32 v13, v17, v3, vcc_lo
	v_cmp_eq_u32_e64 s4, 5, v84
	v_cndmask_b32_e32 v14, v18, v7, vcc_lo
	v_cndmask_b32_e64 v1, v1, v3, s5
	v_cmp_eq_u32_e32 vcc_lo, 5, v83
	v_cmp_eq_u32_e64 s6, 5, v80
	v_cndmask_b32_e64 v2, v2, v7, s5
	v_cmp_eq_u32_e64 s5, 5, v82
	v_cmp_eq_u32_e64 s7, 6, v80
	v_cndmask_b32_e32 v1, v1, v11, vcc_lo
	v_cndmask_b32_e64 v3, v5, v11, s6
	v_cndmask_b32_e64 v5, v6, v15, s6
	;; [unrolled: 1-line block ×3, first 2 shown]
	v_cmp_eq_u32_e64 s6, 6, v82
	v_cndmask_b32_e64 v7, v10, v15, s5
	v_cndmask_b32_e64 v9, v13, v11, s4
	;; [unrolled: 1-line block ×3, first 2 shown]
	v_cndmask_b32_e32 v2, v2, v15, vcc_lo
	v_cmp_eq_u32_e32 vcc_lo, 6, v84
	v_cmp_eq_u32_e64 s4, 6, v83
	v_lshrrev_b32_e32 v12, 16, v4
	v_cndmask_b32_e64 v3, v3, v4, s7
	v_cndmask_b32_e64 v5, v5, v8, s7
	;; [unrolled: 1-line block ×4, first 2 shown]
	v_cndmask_b32_e32 v9, v9, v4, vcc_lo
	v_cmp_eq_u32_e64 s5, 7, v84
	v_cndmask_b32_e32 v10, v10, v8, vcc_lo
	v_cndmask_b32_e64 v1, v1, v4, s4
	v_cmp_eq_u32_e32 vcc_lo, 7, v83
	v_cndmask_b32_e64 v2, v2, v8, s4
	v_cmp_eq_u32_e64 s4, 7, v80
	v_cmp_eq_u32_e64 s6, 7, v82
	v_cndmask_b32_e32 v1, v1, v12, vcc_lo
	s_delay_alu instid0(VALU_DEP_4) | instskip(NEXT) | instid1(VALU_DEP_4)
	v_cndmask_b32_e32 v2, v2, v16, vcc_lo
	v_cndmask_b32_e64 v8, v3, v12, s4
	s_delay_alu instid0(VALU_DEP_4)
	v_cndmask_b32_e64 v6, v6, v12, s6
	v_cndmask_b32_e64 v3, v9, v12, s5
	;; [unrolled: 1-line block ×5, first 2 shown]
	v_cmp_gt_u32_e32 vcc_lo, 32, v0
	v_perm_b32 v4, v2, v1, 0x5040100
	v_perm_b32 v3, v9, v3, 0x5040100
	;; [unrolled: 1-line block ×4, first 2 shown]
	s_and_b32 s2, vcc_lo, s2
	ds_store_b128 v78, v[1:4]
	s_waitcnt lgkmcnt(0)
	s_barrier
	buffer_gl0_inv
	s_and_saveexec_b32 s4, s2
	s_cbranch_execz .LBB168_2
; %bb.17:
	s_load_b64 s[4:5], s[0:1], 0x68
	v_add_nc_u32_e32 v20, s33, v75
	v_lshlrev_b32_e32 v0, 10, v0
	v_lshlrev_b32_e32 v1, 4, v76
	s_lshl_b32 s0, s36, 6
	s_delay_alu instid0(SALU_CYCLE_1)
	s_mul_i32 s1, s0, s34
	v_add_nc_u32_e32 v2, 2, v20
	s_mul_i32 s6, s1, s8
	v_and_or_b32 v0, 0x3800, v0, v1
	v_mul_lo_u32 v1, v20, s0
	s_ashr_i32 s7, s6, 31
	v_mul_lo_u32 v11, v2, s0
	s_lshl_b64 s[6:7], s[6:7], 1
	v_add_nc_u32_e32 v3, 4, v20
	v_lshl_or_b32 v21, v75, 6, v0
	v_add_nc_u32_e32 v16, 6, v20
	v_ashrrev_i32_e32 v2, 31, v1
	s_delay_alu instid0(VALU_DEP_4)
	v_mul_lo_u32 v13, v3, s0
	s_waitcnt lgkmcnt(0)
	s_add_u32 s1, s4, s6
	s_addc_u32 s2, s5, s7
	s_lshl_b32 s4, s14, 6
	ds_load_b128 v[3:6], v21
	ds_load_b128 v[7:10], v21 offset:128
	s_ashr_i32 s5, s4, 31
	v_ashrrev_i32_e32 v12, 31, v11
	s_lshl_b64 s[4:5], s[4:5], 1
	v_lshlrev_b64 v[14:15], 1, v[1:2]
	s_add_u32 s1, s1, s4
	s_addc_u32 s2, s2, s5
	v_add_co_u32 v1, vcc_lo, s1, v73
	v_add_co_ci_u32_e32 v2, vcc_lo, s2, v74, vcc_lo
	v_lshlrev_b64 v[11:12], 1, v[11:12]
	s_delay_alu instid0(VALU_DEP_3) | instskip(SKIP_1) | instid1(VALU_DEP_4)
	v_add_co_u32 v18, vcc_lo, v1, v14
	v_mul_lo_u32 v16, v16, s0
	v_add_co_ci_u32_e32 v19, vcc_lo, v2, v15, vcc_lo
	s_delay_alu instid0(VALU_DEP_4)
	v_add_co_u32 v11, vcc_lo, v1, v11
	v_ashrrev_i32_e32 v14, 31, v13
	v_add_co_ci_u32_e32 v12, vcc_lo, v2, v12, vcc_lo
	v_add_nc_u32_e32 v15, 8, v20
	v_ashrrev_i32_e32 v17, 31, v16
	s_waitcnt lgkmcnt(1)
	global_store_b128 v[18:19], v[3:6], off
	v_lshlrev_b64 v[3:4], 1, v[13:14]
	s_waitcnt lgkmcnt(0)
	global_store_b128 v[11:12], v[7:10], off
	v_mul_lo_u32 v11, v15, s0
	v_add_nc_u32_e32 v7, 10, v20
	v_lshlrev_b64 v[5:6], 1, v[16:17]
	v_add_co_u32 v23, vcc_lo, v1, v3
	v_add_nc_u32_e32 v3, 12, v20
	s_delay_alu instid0(VALU_DEP_4)
	v_mul_lo_u32 v25, v7, s0
	v_ashrrev_i32_e32 v12, 31, v11
	v_add_co_ci_u32_e32 v24, vcc_lo, v2, v4, vcc_lo
	v_add_co_u32 v27, vcc_lo, v1, v5
	v_mul_lo_u32 v29, v3, s0
	v_add_co_ci_u32_e32 v28, vcc_lo, v2, v6, vcc_lo
	ds_load_b128 v[3:6], v21 offset:256
	ds_load_b128 v[7:10], v21 offset:384
	v_lshlrev_b64 v[31:32], 1, v[11:12]
	ds_load_b128 v[11:14], v21 offset:512
	ds_load_b128 v[15:18], v21 offset:640
	;; [unrolled: 1-line block ×3, first 2 shown]
	v_ashrrev_i32_e32 v26, 31, v25
	v_ashrrev_i32_e32 v30, 31, v29
	v_add_co_u32 v31, vcc_lo, v1, v31
	s_delay_alu instid0(VALU_DEP_3) | instskip(NEXT) | instid1(VALU_DEP_3)
	v_lshlrev_b64 v[25:26], 1, v[25:26]
	v_lshlrev_b64 v[29:30], 1, v[29:30]
	v_add_co_ci_u32_e32 v32, vcc_lo, v2, v32, vcc_lo
	s_delay_alu instid0(VALU_DEP_3) | instskip(NEXT) | instid1(VALU_DEP_4)
	v_add_co_u32 v25, vcc_lo, v1, v25
	v_add_co_ci_u32_e32 v26, vcc_lo, v2, v26, vcc_lo
	s_delay_alu instid0(VALU_DEP_4)
	v_add_co_u32 v29, vcc_lo, v1, v29
	v_add_co_ci_u32_e32 v30, vcc_lo, v2, v30, vcc_lo
	s_waitcnt lgkmcnt(4)
	global_store_b128 v[23:24], v[3:6], off
	s_waitcnt lgkmcnt(3)
	global_store_b128 v[27:28], v[7:10], off
	;; [unrolled: 2-line block ×5, first 2 shown]
	s_and_b32 exec_lo, exec_lo, s3
	s_cbranch_execz .LBB168_2
; %bb.18:
	ds_load_b128 v[3:6], v0 offset:896
	s_add_i32 s1, s33, 14
	s_delay_alu instid0(SALU_CYCLE_1) | instskip(NEXT) | instid1(SALU_CYCLE_1)
	s_mul_i32 s0, s1, s0
	s_ashr_i32 s1, s0, 31
	s_delay_alu instid0(SALU_CYCLE_1) | instskip(NEXT) | instid1(SALU_CYCLE_1)
	s_lshl_b64 s[0:1], s[0:1], 1
	v_add_co_u32 v0, vcc_lo, v1, s0
	v_add_co_ci_u32_e32 v1, vcc_lo, s1, v2, vcc_lo
	s_waitcnt lgkmcnt(0)
	global_store_b128 v[0:1], v[3:6], off
	s_nop 0
	s_sendmsg sendmsg(MSG_DEALLOC_VGPRS)
	s_endpgm
	.section	.rodata,"a",@progbits
	.p2align	6, 0x0
	.amdhsa_kernel _Z39paged_attention_ll4mi_QKV_mfma16_kernelIDF16_DF16_LN4vllm18Fp8KVCacheDataTypeE0EDF16_Li32ELi64ELi256ELb1ELi15EL8MFMAType0EEvPKT_PKT0_S8_ifPKiSA_SA_iPKfiiiPfSD_PS3_PT2_iSC_SC_
		.amdhsa_group_segment_fixed_size 17472
		.amdhsa_private_segment_fixed_size 0
		.amdhsa_kernarg_size 400
		.amdhsa_user_sgpr_count 13
		.amdhsa_user_sgpr_dispatch_ptr 0
		.amdhsa_user_sgpr_queue_ptr 0
		.amdhsa_user_sgpr_kernarg_segment_ptr 1
		.amdhsa_user_sgpr_dispatch_id 0
		.amdhsa_user_sgpr_private_segment_size 0
		.amdhsa_wavefront_size32 1
		.amdhsa_uses_dynamic_stack 0
		.amdhsa_enable_private_segment 0
		.amdhsa_system_sgpr_workgroup_id_x 1
		.amdhsa_system_sgpr_workgroup_id_y 1
		.amdhsa_system_sgpr_workgroup_id_z 1
		.amdhsa_system_sgpr_workgroup_info 0
		.amdhsa_system_vgpr_workitem_id 0
		.amdhsa_next_free_vgpr 154
		.amdhsa_next_free_sgpr 39
		.amdhsa_reserve_vcc 1
		.amdhsa_float_round_mode_32 0
		.amdhsa_float_round_mode_16_64 0
		.amdhsa_float_denorm_mode_32 3
		.amdhsa_float_denorm_mode_16_64 3
		.amdhsa_dx10_clamp 1
		.amdhsa_ieee_mode 1
		.amdhsa_fp16_overflow 0
		.amdhsa_workgroup_processor_mode 1
		.amdhsa_memory_ordered 1
		.amdhsa_forward_progress 0
		.amdhsa_shared_vgpr_count 0
		.amdhsa_exception_fp_ieee_invalid_op 0
		.amdhsa_exception_fp_denorm_src 0
		.amdhsa_exception_fp_ieee_div_zero 0
		.amdhsa_exception_fp_ieee_overflow 0
		.amdhsa_exception_fp_ieee_underflow 0
		.amdhsa_exception_fp_ieee_inexact 0
		.amdhsa_exception_int_div_zero 0
	.end_amdhsa_kernel
	.section	.text._Z39paged_attention_ll4mi_QKV_mfma16_kernelIDF16_DF16_LN4vllm18Fp8KVCacheDataTypeE0EDF16_Li32ELi64ELi256ELb1ELi15EL8MFMAType0EEvPKT_PKT0_S8_ifPKiSA_SA_iPKfiiiPfSD_PS3_PT2_iSC_SC_,"axG",@progbits,_Z39paged_attention_ll4mi_QKV_mfma16_kernelIDF16_DF16_LN4vllm18Fp8KVCacheDataTypeE0EDF16_Li32ELi64ELi256ELb1ELi15EL8MFMAType0EEvPKT_PKT0_S8_ifPKiSA_SA_iPKfiiiPfSD_PS3_PT2_iSC_SC_,comdat
.Lfunc_end168:
	.size	_Z39paged_attention_ll4mi_QKV_mfma16_kernelIDF16_DF16_LN4vllm18Fp8KVCacheDataTypeE0EDF16_Li32ELi64ELi256ELb1ELi15EL8MFMAType0EEvPKT_PKT0_S8_ifPKiSA_SA_iPKfiiiPfSD_PS3_PT2_iSC_SC_, .Lfunc_end168-_Z39paged_attention_ll4mi_QKV_mfma16_kernelIDF16_DF16_LN4vllm18Fp8KVCacheDataTypeE0EDF16_Li32ELi64ELi256ELb1ELi15EL8MFMAType0EEvPKT_PKT0_S8_ifPKiSA_SA_iPKfiiiPfSD_PS3_PT2_iSC_SC_
                                        ; -- End function
	.section	.AMDGPU.csdata,"",@progbits
; Kernel info:
; codeLenInByte = 7496
; NumSgprs: 41
; NumVgprs: 154
; ScratchSize: 0
; MemoryBound: 0
; FloatMode: 240
; IeeeMode: 1
; LDSByteSize: 17472 bytes/workgroup (compile time only)
; SGPRBlocks: 5
; VGPRBlocks: 19
; NumSGPRsForWavesPerEU: 41
; NumVGPRsForWavesPerEU: 154
; Occupancy: 9
; WaveLimiterHint : 1
; COMPUTE_PGM_RSRC2:SCRATCH_EN: 0
; COMPUTE_PGM_RSRC2:USER_SGPR: 13
; COMPUTE_PGM_RSRC2:TRAP_HANDLER: 0
; COMPUTE_PGM_RSRC2:TGID_X_EN: 1
; COMPUTE_PGM_RSRC2:TGID_Y_EN: 1
; COMPUTE_PGM_RSRC2:TGID_Z_EN: 1
; COMPUTE_PGM_RSRC2:TIDIG_COMP_CNT: 0
	.section	.text._Z39paged_attention_ll4mi_QKV_mfma16_kernelIDF16_DF16_LN4vllm18Fp8KVCacheDataTypeE0EDF16_Li32ELi64ELi256ELb1ELi16EL8MFMAType0EEvPKT_PKT0_S8_ifPKiSA_SA_iPKfiiiPfSD_PS3_PT2_iSC_SC_,"axG",@progbits,_Z39paged_attention_ll4mi_QKV_mfma16_kernelIDF16_DF16_LN4vllm18Fp8KVCacheDataTypeE0EDF16_Li32ELi64ELi256ELb1ELi16EL8MFMAType0EEvPKT_PKT0_S8_ifPKiSA_SA_iPKfiiiPfSD_PS3_PT2_iSC_SC_,comdat
	.protected	_Z39paged_attention_ll4mi_QKV_mfma16_kernelIDF16_DF16_LN4vllm18Fp8KVCacheDataTypeE0EDF16_Li32ELi64ELi256ELb1ELi16EL8MFMAType0EEvPKT_PKT0_S8_ifPKiSA_SA_iPKfiiiPfSD_PS3_PT2_iSC_SC_ ; -- Begin function _Z39paged_attention_ll4mi_QKV_mfma16_kernelIDF16_DF16_LN4vllm18Fp8KVCacheDataTypeE0EDF16_Li32ELi64ELi256ELb1ELi16EL8MFMAType0EEvPKT_PKT0_S8_ifPKiSA_SA_iPKfiiiPfSD_PS3_PT2_iSC_SC_
	.globl	_Z39paged_attention_ll4mi_QKV_mfma16_kernelIDF16_DF16_LN4vllm18Fp8KVCacheDataTypeE0EDF16_Li32ELi64ELi256ELb1ELi16EL8MFMAType0EEvPKT_PKT0_S8_ifPKiSA_SA_iPKfiiiPfSD_PS3_PT2_iSC_SC_
	.p2align	8
	.type	_Z39paged_attention_ll4mi_QKV_mfma16_kernelIDF16_DF16_LN4vllm18Fp8KVCacheDataTypeE0EDF16_Li32ELi64ELi256ELb1ELi16EL8MFMAType0EEvPKT_PKT0_S8_ifPKiSA_SA_iPKfiiiPfSD_PS3_PT2_iSC_SC_,@function
_Z39paged_attention_ll4mi_QKV_mfma16_kernelIDF16_DF16_LN4vllm18Fp8KVCacheDataTypeE0EDF16_Li32ELi64ELi256ELb1ELi16EL8MFMAType0EEvPKT_PKT0_S8_ifPKiSA_SA_iPKfiiiPfSD_PS3_PT2_iSC_SC_: ; @_Z39paged_attention_ll4mi_QKV_mfma16_kernelIDF16_DF16_LN4vllm18Fp8KVCacheDataTypeE0EDF16_Li32ELi64ELi256ELb1ELi16EL8MFMAType0EEvPKT_PKT0_S8_ifPKiSA_SA_iPKfiiiPfSD_PS3_PT2_iSC_SC_
; %bb.0:
	s_load_b64 s[2:3], s[0:1], 0x30
	s_mov_b32 s34, s13
	s_waitcnt lgkmcnt(0)
	s_cmp_lg_u64 s[2:3], 0
	s_cselect_b32 s6, -1, 0
	s_ashr_i32 s35, s13, 31
	s_cmp_eq_u64 s[2:3], 0
	s_cbranch_scc1 .LBB169_3
; %bb.1:
	s_lshl_b64 s[4:5], s[34:35], 2
	s_delay_alu instid0(SALU_CYCLE_1) | instskip(SKIP_4) | instid1(SALU_CYCLE_1)
	s_add_u32 s4, s2, s4
	s_addc_u32 s5, s3, s5
	s_load_b64 s[4:5], s[4:5], 0x0
	s_waitcnt lgkmcnt(0)
	s_sub_i32 s4, s5, s4
	s_cmp_eq_u32 s4, 1
	s_cselect_b32 s4, -1, 0
	s_delay_alu instid0(SALU_CYCLE_1)
	s_and_not1_b32 vcc_lo, exec_lo, s4
	s_cbranch_vccz .LBB169_4
.LBB169_2:
	s_endpgm
.LBB169_3:
.LBB169_4:
	s_load_b64 s[8:9], s[0:1], 0x28
	s_lshl_b64 s[4:5], s[34:35], 2
	s_waitcnt lgkmcnt(0)
	s_add_u32 s8, s8, s4
	s_addc_u32 s9, s9, s5
	s_lshl_b32 s16, s14, 8
	s_load_b32 s18, s[8:9], 0x0
	s_waitcnt lgkmcnt(0)
	s_cmp_ge_i32 s16, s18
	s_cbranch_scc1 .LBB169_2
; %bb.5:
	s_and_not1_b32 vcc_lo, exec_lo, s6
	s_cbranch_vccnz .LBB169_7
; %bb.6:
	s_add_u32 s2, s2, s4
	s_addc_u32 s3, s3, s5
	s_load_b32 s17, s[2:3], 0x0
	s_branch .LBB169_8
.LBB169_7:
	s_mov_b32 s17, s34
.LBB169_8:
	s_clause 0x2
	s_load_b128 s[8:11], s[0:1], 0x8
	s_load_b64 s[12:13], s[0:1], 0x20
	s_load_b128 s[4:7], s[0:1], 0x48
	v_and_b32_e32 v79, 15, v0
	v_cmp_lt_u32_e32 vcc_lo, 0xff, v0
	s_delay_alu instid0(VALU_DEP_2) | instskip(SKIP_2) | instid1(VALU_DEP_3)
	v_cmp_lt_u32_e64 s3, 7, v79
	v_lshlrev_b32_e32 v1, 3, v79
	v_cmp_gt_u32_e64 s2, 8, v79
	s_or_b32 s3, vcc_lo, s3
	s_waitcnt lgkmcnt(0)
	s_and_saveexec_b32 s7, s3
	s_delay_alu instid0(SALU_CYCLE_1)
	s_xor_b32 s3, exec_lo, s7
; %bb.9:
	v_mov_b32_e32 v2, 0
; %bb.10:
	s_or_saveexec_b32 s3, s3
	v_lshrrev_b32_e32 v78, 5, v0
	v_and_b32_e32 v80, 31, v0
	v_and_b32_e32 v76, 1, v0
	v_bfe_u32 v75, v0, 4, 1
	s_lshl_b32 s31, s15, 4
	s_xor_b32 exec_lo, exec_lo, s3
	s_cbranch_execz .LBB169_12
; %bb.11:
	s_delay_alu instid0(VALU_DEP_1)
	v_lshl_or_b32 v7, v78, 1, v75
	s_load_b64 s[20:21], s[0:1], 0x0
	s_mul_hi_i32 s23, s17, s4
	s_mul_i32 s22, s17, s4
	v_lshlrev_b32_e32 v4, 1, v1
	v_or_b32_e32 v2, s31, v7
	s_lshl_b64 s[22:23], s[22:23], 1
	v_lshlrev_b32_e32 v7, 6, v7
	v_lshlrev_b32_e32 v8, 10, v76
	s_delay_alu instid0(VALU_DEP_3) | instskip(NEXT) | instid1(VALU_DEP_1)
	v_lshlrev_b32_e32 v2, 6, v2
	v_ashrrev_i32_e32 v3, 31, v2
	s_delay_alu instid0(VALU_DEP_1) | instskip(SKIP_3) | instid1(VALU_DEP_1)
	v_lshlrev_b64 v[2:3], 1, v[2:3]
	s_waitcnt lgkmcnt(0)
	s_add_u32 s4, s20, s22
	s_addc_u32 s7, s21, s23
	v_add_co_u32 v2, vcc_lo, s4, v2
	s_delay_alu instid0(VALU_DEP_2) | instskip(NEXT) | instid1(VALU_DEP_2)
	v_add_co_ci_u32_e32 v3, vcc_lo, s7, v3, vcc_lo
	v_add_co_u32 v2, vcc_lo, v2, v4
	s_delay_alu instid0(VALU_DEP_2) | instskip(SKIP_2) | instid1(VALU_DEP_1)
	v_add_co_ci_u32_e32 v3, vcc_lo, 0, v3, vcc_lo
	global_load_b128 v[3:6], v[2:3], off
	v_lshlrev_b32_e32 v2, 10, v79
	v_and_b32_e32 v2, 0x3800, v2
	s_delay_alu instid0(VALU_DEP_1)
	v_or3_b32 v7, v2, v8, v7
	v_mov_b32_e32 v2, 0
	s_waitcnt vmcnt(0)
	ds_store_b128 v7, v[3:6]
.LBB169_12:
	s_or_b32 exec_lo, exec_lo, s3
	v_and_b32_e32 v3, 0xef, v0
	s_add_i32 s3, s18, 31
	s_clause 0x1
	s_load_b32 s4, s[0:1], 0x38
	s_load_b32 s33, s[0:1], 0x98
	s_ashr_i32 s7, s3, 31
	v_add_nc_u32_e32 v3, s16, v3
	s_lshr_b32 s7, s7, 27
	s_load_b32 s19, s[0:1], 0x1c
	s_add_i32 s3, s3, s7
	s_waitcnt lgkmcnt(0)
	v_ashrrev_i32_e32 v4, 31, v3
	v_cmp_gt_i32_e32 vcc_lo, s18, v3
	s_ashr_i32 s3, s3, 5
	s_barrier
	s_add_i32 s3, s3, -1
	v_lshrrev_b32_e32 v5, 27, v4
	v_or_b32_e32 v4, 16, v3
	buffer_gl0_inv
	s_mul_i32 s6, s15, s6
	v_lshlrev_b64 v[73:74], 1, v[1:2]
	v_add_nc_u32_e32 v6, v3, v5
	v_add_nc_u32_e32 v5, v4, v5
	s_mul_i32 s20, s34, s4
	s_delay_alu instid0(SALU_CYCLE_1) | instskip(NEXT) | instid1(VALU_DEP_2)
	s_ashr_i32 s21, s20, 31
	v_ashrrev_i32_e32 v6, 5, v6
	s_delay_alu instid0(VALU_DEP_2) | instskip(SKIP_1) | instid1(SALU_CYCLE_1)
	v_ashrrev_i32_e32 v5, 5, v5
	s_lshl_b64 s[20:21], s[20:21], 2
	s_add_u32 s4, s12, s20
	s_delay_alu instid0(VALU_DEP_2) | instskip(SKIP_3) | instid1(SALU_CYCLE_1)
	v_cndmask_b32_e32 v3, s3, v6, vcc_lo
	v_cmp_gt_i32_e32 vcc_lo, s18, v4
	s_addc_u32 s17, s13, s21
	s_ashr_i32 s7, s6, 31
	s_lshl_b64 s[6:7], s[6:7], 1
	v_cndmask_b32_e32 v5, s3, v5, vcc_lo
	v_ashrrev_i32_e32 v4, 31, v3
	s_add_u32 s15, s8, s6
	s_addc_u32 s28, s9, s7
	s_lshl_b32 s8, s14, 3
	v_ashrrev_i32_e32 v6, 31, v5
	v_lshlrev_b64 v[3:4], 2, v[3:4]
	s_ashr_i32 s9, s8, 31
	s_delay_alu instid0(SALU_CYCLE_1) | instskip(NEXT) | instid1(VALU_DEP_2)
	s_lshl_b64 s[8:9], s[8:9], 2
	v_lshlrev_b64 v[5:6], 2, v[5:6]
	s_add_u32 s8, s4, s8
	s_delay_alu instid0(VALU_DEP_2) | instskip(SKIP_1) | instid1(VALU_DEP_3)
	v_add_co_u32 v3, vcc_lo, s4, v3
	v_add_co_ci_u32_e32 v4, vcc_lo, s17, v4, vcc_lo
	v_add_co_u32 v5, vcc_lo, s4, v5
	s_delay_alu instid0(VALU_DEP_4)
	v_add_co_ci_u32_e32 v6, vcc_lo, s17, v6, vcc_lo
	s_addc_u32 s9, s17, s9
	s_clause 0x1
	global_load_b32 v7, v[3:4], off
	global_load_b32 v8, v[5:6], off
	s_or_b32 s12, s16, 32
	s_delay_alu instid0(SALU_CYCLE_1) | instskip(SKIP_2) | instid1(SALU_CYCLE_1)
	s_ashr_i32 s13, s12, 5
	s_cmp_lt_i32 s12, s18
	s_cselect_b32 s12, s13, s3
	s_ashr_i32 s13, s12, 31
	s_delay_alu instid0(SALU_CYCLE_1) | instskip(NEXT) | instid1(SALU_CYCLE_1)
	s_lshl_b64 s[12:13], s[12:13], 2
	s_add_u32 s12, s4, s12
	s_addc_u32 s13, s17, s13
	s_or_b32 s20, s16, 64
	s_delay_alu instid0(SALU_CYCLE_1) | instskip(SKIP_2) | instid1(SALU_CYCLE_1)
	s_ashr_i32 s21, s20, 5
	s_cmp_lt_i32 s20, s18
	s_cselect_b32 s20, s21, s3
	s_ashr_i32 s21, s20, 31
	s_delay_alu instid0(SALU_CYCLE_1) | instskip(NEXT) | instid1(SALU_CYCLE_1)
	s_lshl_b64 s[20:21], s[20:21], 2
	s_add_u32 s20, s4, s20
	s_addc_u32 s21, s17, s21
	;; [unrolled: 10-line block ×5, first 2 shown]
	s_clause 0x5
	s_load_b32 s29, s[8:9], 0x0
	s_load_b32 s30, s[12:13], 0x0
	;; [unrolled: 1-line block ×6, first 2 shown]
	s_or_b32 s8, s16, 0xc0
	s_mov_b32 s20, 0
	s_ashr_i32 s9, s8, 5
	s_cmp_lt_i32 s8, s18
	s_mov_b32 s27, s20
	s_cselect_b32 s8, s9, s3
	s_mov_b32 s21, s20
	s_ashr_i32 s9, s8, 31
	s_mov_b32 s22, s20
	s_lshl_b64 s[8:9], s[8:9], 2
	s_mov_b32 s23, s20
	s_add_u32 s8, s4, s8
	s_mov_b32 s24, s20
	s_mov_b32 s25, s20
	;; [unrolled: 1-line block ×3, first 2 shown]
	s_addc_u32 s9, s17, s9
	v_dual_mov_b32 v128, s27 :: v_dual_lshlrev_b32 v77, 6, v79
	v_dual_mov_b32 v122, s21 :: v_dual_mov_b32 v127, s26
	v_dual_mov_b32 v126, s25 :: v_dual_mov_b32 v125, s24
	;; [unrolled: 1-line block ×3, first 2 shown]
	v_mov_b32_e32 v121, s20
	s_waitcnt lgkmcnt(0)
	s_mul_hi_i32 s13, s29, s5
	s_mul_i32 s12, s29, s5
	s_mul_hi_i32 s21, s30, s5
	s_mul_i32 s20, s30, s5
	;; [unrolled: 2-line block ×4, first 2 shown]
	s_mul_i32 s36, s38, s5
	s_waitcnt vmcnt(1)
	v_mad_i64_i32 v[3:4], null, v7, s5, 0
	s_waitcnt vmcnt(0)
	v_mad_i64_i32 v[5:6], null, v8, s5, 0
	s_delay_alu instid0(VALU_DEP_2) | instskip(NEXT) | instid1(VALU_DEP_2)
	v_lshlrev_b64 v[3:4], 1, v[3:4]
	v_lshlrev_b64 v[1:2], 1, v[5:6]
	s_delay_alu instid0(VALU_DEP_2) | instskip(NEXT) | instid1(VALU_DEP_3)
	v_add_co_u32 v3, vcc_lo, s15, v3
	v_add_co_ci_u32_e32 v4, vcc_lo, s28, v4, vcc_lo
	s_delay_alu instid0(VALU_DEP_3) | instskip(NEXT) | instid1(VALU_DEP_4)
	v_add_co_u32 v5, vcc_lo, s15, v1
	v_add_co_ci_u32_e32 v6, vcc_lo, s28, v2, vcc_lo
	s_delay_alu instid0(VALU_DEP_4) | instskip(NEXT) | instid1(VALU_DEP_4)
	v_add_co_u32 v1, vcc_lo, v3, v73
	v_add_co_ci_u32_e32 v2, vcc_lo, v4, v74, vcc_lo
	s_delay_alu instid0(VALU_DEP_4) | instskip(NEXT) | instid1(VALU_DEP_4)
	v_add_co_u32 v3, vcc_lo, v5, v73
	v_add_co_ci_u32_e32 v4, vcc_lo, v6, v74, vcc_lo
	s_clause 0xf
	global_load_b128 v[17:20], v[1:2], off
	global_load_b128 v[21:24], v[1:2], off offset:512
	global_load_b128 v[25:28], v[3:4], off offset:256
	;; [unrolled: 1-line block ×15, first 2 shown]
	s_or_b32 s15, s16, 0xe0
	v_lshl_or_b32 v1, v78, 10, v77
	s_ashr_i32 s22, s15, 5
	s_cmp_lt_i32 s15, s18
	ds_load_b128 v[129:132], v77
	ds_load_b128 v[133:136], v77 offset:1024
	s_cselect_b32 s22, s22, s3
	s_delay_alu instid0(SALU_CYCLE_1) | instskip(NEXT) | instid1(SALU_CYCLE_1)
	s_ashr_i32 s23, s22, 31
	s_lshl_b64 s[22:23], s[22:23], 2
	s_delay_alu instid0(SALU_CYCLE_1) | instskip(SKIP_2) | instid1(SALU_CYCLE_1)
	s_add_u32 s22, s4, s22
	s_addc_u32 s23, s17, s23
	s_add_i32 s15, s16, 0x100
	s_ashr_i32 s28, s15, 5
	s_cmp_lt_i32 s15, s18
	s_load_b32 s15, s[8:9], 0x0
	s_cselect_b32 s28, s28, s3
	s_mul_hi_i32 s9, s37, s5
	s_ashr_i32 s29, s28, 31
	s_mul_i32 s8, s37, s5
	s_lshl_b64 s[28:29], s[28:29], 2
	s_mul_hi_i32 s37, s38, s5
	s_add_u32 s28, s4, s28
	s_addc_u32 s29, s17, s29
	s_add_u32 s3, s10, s6
	s_clause 0x1
	s_load_b32 s4, s[22:23], 0x0
	s_load_b32 s17, s[28:29], 0x0
	s_addc_u32 s28, s11, s7
	v_add_co_u32 v147, s3, s3, v1
	s_delay_alu instid0(VALU_DEP_1) | instskip(SKIP_2) | instid1(VALU_DEP_2)
	v_add_co_ci_u32_e64 v148, null, s28, 0, s3
	s_lshl_b64 s[6:7], s[12:13], 1
	s_lshl_b64 s[10:11], s[20:21], 1
	v_add_co_u32 v1, vcc_lo, v147, s6
	s_delay_alu instid0(VALU_DEP_2)
	v_add_co_ci_u32_e32 v2, vcc_lo, s7, v148, vcc_lo
	v_add_co_u32 v3, vcc_lo, v147, s10
	s_lshl_b64 s[12:13], s[24:25], 1
	v_add_co_ci_u32_e32 v4, vcc_lo, s11, v148, vcc_lo
	v_add_co_u32 v5, vcc_lo, v147, s12
	s_lshl_b64 s[20:21], s[26:27], 1
	;; [unrolled: 3-line block ×4, first 2 shown]
	s_waitcnt lgkmcnt(0)
	s_mul_hi_i32 s25, s15, s5
	s_mul_i32 s24, s15, s5
	v_add_co_ci_u32_e32 v14, vcc_lo, s9, v148, vcc_lo
	v_add_co_u32 v137, vcc_lo, v147, s22
	s_lshl_b64 s[24:25], s[24:25], 1
	v_add_co_ci_u32_e32 v138, vcc_lo, s23, v148, vcc_lo
	v_add_co_u32 v145, vcc_lo, v147, s24
	v_add_co_ci_u32_e32 v146, vcc_lo, s25, v148, vcc_lo
	s_clause 0xb
	global_load_b128 v[65:68], v[1:2], off
	global_load_b128 v[69:72], v[1:2], off offset:16
	global_load_b128 v[57:60], v[3:4], off
	global_load_b128 v[61:64], v[3:4], off offset:16
	;; [unrolled: 2-line block ×6, first 2 shown]
	s_mul_hi_i32 s7, s4, s5
	s_mul_i32 s6, s4, s5
	s_delay_alu instid0(SALU_CYCLE_1)
	s_lshl_b64 s[6:7], s[6:7], 1
	s_waitcnt vmcnt(26)
	v_wmma_f32_16x16x16_f16 v[137:144], v[17:24], v[129:136], v[121:128]
	s_waitcnt vmcnt(24)
	v_wmma_f32_16x16x16_f16 v[121:128], v[25:32], v[129:136], v[121:128]
	s_clause 0x1
	global_load_b128 v[25:28], v[145:146], off
	global_load_b128 v[29:32], v[145:146], off offset:16
	ds_load_b128 v[17:20], v77 offset:2048
	ds_load_b128 v[21:24], v77 offset:3072
	v_add_co_u32 v129, vcc_lo, v147, s6
	v_add_co_ci_u32_e32 v130, vcc_lo, s7, v148, vcc_lo
	s_mul_hi_i32 s7, s17, s5
	s_mul_i32 s6, s17, s5
	s_delay_alu instid0(SALU_CYCLE_1) | instskip(NEXT) | instid1(SALU_CYCLE_1)
	s_lshl_b64 s[4:5], s[6:7], 1
	v_add_co_u32 v131, vcc_lo, v147, s4
	v_add_co_ci_u32_e32 v132, vcc_lo, s5, v148, vcc_lo
	s_waitcnt vmcnt(24) lgkmcnt(0)
	v_wmma_f32_16x16x16_f16 v[137:144], v[33:40], v[17:24], v[137:144]
	s_clause 0x1
	global_load_b128 v[33:36], v[129:130], off
	global_load_b128 v[37:40], v[129:130], off offset:16
	s_waitcnt vmcnt(24)
	v_wmma_f32_16x16x16_f16 v[121:128], v[81:88], v[17:24], v[121:128]
	s_clause 0x1
	global_load_b128 v[17:20], v[131:132], off
	global_load_b128 v[21:24], v[131:132], off offset:16
	ds_load_b128 v[81:84], v77 offset:4096
	ds_load_b128 v[85:88], v77 offset:5120
	v_mbcnt_lo_u32_b32 v130, -1, 0
	s_delay_alu instid0(VALU_DEP_1) | instskip(NEXT) | instid1(VALU_DEP_1)
	v_xor_b32_e32 v131, 16, v130
	v_cmp_gt_i32_e32 vcc_lo, 32, v131
	v_cndmask_b32_e32 v130, v130, v131, vcc_lo
	s_waitcnt vmcnt(24) lgkmcnt(0)
	v_wmma_f32_16x16x16_f16 v[137:144], v[89:96], v[81:88], v[137:144]
	ds_load_b128 v[89:92], v77 offset:6144
	ds_load_b128 v[93:96], v77 offset:7168
	s_waitcnt vmcnt(22)
	v_wmma_f32_16x16x16_f16 v[121:128], v[97:104], v[81:88], v[121:128]
	s_waitcnt vmcnt(0) lgkmcnt(0)
	s_barrier
	buffer_gl0_inv
	v_wmma_f32_16x16x16_f16 v[137:144], v[105:112], v[89:96], v[137:144]
	v_and_b32_e32 v129, 0xe0, v0
	v_wmma_f32_16x16x16_f16 v[121:128], v[113:120], v[89:96], v[121:128]
	s_delay_alu instid0(VALU_DEP_2) | instskip(NEXT) | instid1(VALU_DEP_2)
	v_dual_mul_f32 v94, s19, v139 :: v_dual_add_nc_u32 v129, s16, v129
	v_mul_f32_e32 v102, s19, v128
	v_dual_mul_f32 v89, s19, v144 :: v_dual_mul_f32 v96, s19, v137
	v_mul_f32_e32 v95, s19, v138
	s_delay_alu instid0(VALU_DEP_4) | instskip(SKIP_2) | instid1(VALU_DEP_3)
	v_or_b32_e32 v129, v129, v75
	v_dual_mul_f32 v93, s19, v140 :: v_dual_mul_f32 v104, s19, v126
	v_dual_mul_f32 v91, s19, v142 :: v_dual_mul_f32 v106, s19, v124
	v_or_b32_e32 v131, 2, v129
	v_or_b32_e32 v132, 4, v129
	;; [unrolled: 1-line block ×3, first 2 shown]
	v_cmp_gt_i32_e32 vcc_lo, s18, v129
	v_or_b32_e32 v82, 8, v129
	v_cmp_gt_i32_e64 s3, s18, v131
	v_or_b32_e32 v83, 10, v129
	v_cmp_gt_i32_e64 s4, s18, v132
	v_cndmask_b32_e32 v96, 0xff7fffff, v96, vcc_lo
	v_cmp_gt_i32_e64 s5, s18, v81
	v_cndmask_b32_e64 v95, 0xff7fffff, v95, s3
	v_or_b32_e32 v84, 12, v129
	v_or_b32_e32 v85, 14, v129
	v_mul_f32_e32 v92, s19, v141
	v_cndmask_b32_e64 v94, 0xff7fffff, v94, s4
	v_cndmask_b32_e64 v81, 0xff7fffff, v93, s5
	v_max3_f32 v93, v96, 0xff7fffff, v95
	v_cmp_gt_i32_e64 s6, s18, v82
	v_cmp_gt_i32_e64 s7, s18, v83
	v_or_b32_e32 v86, 16, v129
	v_or_b32_e32 v87, 18, v129
	v_mul_f32_e32 v90, s19, v143
	v_cndmask_b32_e64 v82, 0xff7fffff, v92, s6
	v_cndmask_b32_e64 v83, 0xff7fffff, v91, s7
	v_max3_f32 v81, v93, v94, v81
	v_cmp_gt_i32_e64 s8, s18, v84
	v_cmp_gt_i32_e64 s9, s18, v85
	v_or_b32_e32 v88, 20, v129
	v_or_b32_e32 v97, 22, v129
	v_dual_mul_f32 v103, s19, v127 :: v_dual_mul_f32 v108, s19, v122
	v_mul_f32_e32 v109, s19, v121
	v_cndmask_b32_e64 v84, 0xff7fffff, v90, s8
	v_cndmask_b32_e64 v85, 0xff7fffff, v89, s9
	v_max3_f32 v81, v81, v82, v83
	v_cmp_gt_i32_e64 s10, s18, v86
	v_cmp_gt_i32_e64 s11, s18, v87
	v_or_b32_e32 v98, 24, v129
	v_or_b32_e32 v99, 26, v129
	v_mul_f32_e32 v107, s19, v123
	v_cndmask_b32_e64 v82, 0xff7fffff, v109, s10
	v_cndmask_b32_e64 v83, 0xff7fffff, v108, s11
	v_max3_f32 v81, v81, v84, v85
	v_cmp_gt_i32_e64 s12, s18, v88
	v_cmp_gt_i32_e64 s13, s18, v97
	v_or_b32_e32 v100, 28, v129
	v_or_b32_e32 v101, 30, v129
	v_mul_f32_e32 v105, s19, v125
	v_cndmask_b32_e64 v84, 0xff7fffff, v107, s12
	v_cndmask_b32_e64 v85, 0xff7fffff, v106, s13
	v_max3_f32 v81, v81, v82, v83
	v_cmp_gt_i32_e64 s15, s18, v98
	v_cmp_gt_i32_e64 s16, s18, v99
	v_cmp_gt_i32_e64 s17, s18, v100
	v_cmp_gt_i32_e64 s18, s18, v101
	v_max3_f32 v81, v81, v84, v85
	v_cndmask_b32_e64 v82, 0xff7fffff, v105, s15
	v_cndmask_b32_e64 v83, 0xff7fffff, v104, s16
	;; [unrolled: 1-line block ×4, first 2 shown]
	s_delay_alu instid0(VALU_DEP_3) | instskip(SKIP_1) | instid1(VALU_DEP_2)
	v_max3_f32 v81, v81, v82, v83
	v_lshlrev_b32_e32 v83, 2, v130
	v_max3_f32 v81, v81, v84, v85
	ds_bpermute_b32 v82, v83, v81
	s_waitcnt lgkmcnt(0)
	v_max_f32_e32 v82, v82, v82
	s_delay_alu instid0(VALU_DEP_1) | instskip(NEXT) | instid1(VALU_DEP_1)
	v_max_f32_e32 v81, v81, v82
	v_fma_f32 v82, s19, v137, -v81
	v_fma_f32 v84, s19, v138, -v81
	;; [unrolled: 1-line block ×4, first 2 shown]
	s_delay_alu instid0(VALU_DEP_4) | instskip(NEXT) | instid1(VALU_DEP_3)
	v_mul_f32_e32 v82, 0x3fb8aa3b, v82
	v_dual_mul_f32 v84, 0x3fb8aa3b, v84 :: v_dual_mul_f32 v85, 0x3fb8aa3b, v85
	s_delay_alu instid0(VALU_DEP_3) | instskip(NEXT) | instid1(VALU_DEP_3)
	v_mul_f32_e32 v86, 0x3fb8aa3b, v86
	v_exp_f32_e32 v82, v82
	s_delay_alu instid0(VALU_DEP_2) | instskip(NEXT) | instid1(VALU_DEP_2)
	v_exp_f32_e32 v84, v84
	v_exp_f32_e32 v85, v85
	s_delay_alu instid0(VALU_DEP_1) | instskip(SKIP_1) | instid1(TRANS32_DEP_3)
	v_exp_f32_e32 v90, v86
	v_cndmask_b32_e32 v87, 0, v82, vcc_lo
	v_cndmask_b32_e64 v86, 0, v84, s3
	s_waitcnt_depctr 0xfff
	v_cndmask_b32_e64 v89, 0, v85, s4
	s_mov_b32 s3, exec_lo
	v_add_f32_e32 v84, 0, v87
	s_delay_alu instid0(VALU_DEP_1) | instskip(NEXT) | instid1(VALU_DEP_1)
	v_add_f32_e32 v84, v84, v86
	v_add_f32_e32 v84, v84, v89
	v_fma_f32 v88, s19, v141, -v81
	v_fma_f32 v82, s19, v142, -v81
	;; [unrolled: 1-line block ×5, first 2 shown]
	v_mul_f32_e32 v88, 0x3fb8aa3b, v88
	s_delay_alu instid0(VALU_DEP_4) | instskip(SKIP_1) | instid1(VALU_DEP_4)
	v_dual_mul_f32 v82, 0x3fb8aa3b, v82 :: v_dual_mul_f32 v91, 0x3fb8aa3b, v91
	v_fma_f32 v100, s19, v128, -v81
	v_mul_f32_e32 v97, 0x3fb8aa3b, v95
	s_delay_alu instid0(VALU_DEP_4)
	v_exp_f32_e32 v92, v88
	v_cndmask_b32_e64 v88, 0, v90, s5
	v_fma_f32 v90, s19, v121, -v81
	v_mul_f32_e32 v85, 0x3fb8aa3b, v85
	v_exp_f32_e32 v82, v82
	v_exp_f32_e32 v93, v91
	v_add_f32_e32 v84, v84, v88
	v_mul_f32_e32 v94, 0x3fb8aa3b, v90
	v_exp_f32_e32 v85, v85
	v_exp_f32_e32 v99, v97
	v_cndmask_b32_e64 v91, 0, v92, s6
	v_fma_f32 v92, s19, v122, -v81
	v_exp_f32_e32 v94, v94
	v_fma_f32 v98, s19, v126, -v81
	v_cndmask_b32_e64 v90, 0, v82, s7
	v_cndmask_b32_e64 v93, 0, v93, s8
	v_mul_f32_e32 v92, 0x3fb8aa3b, v92
	s_delay_alu instid0(VALU_DEP_4) | instskip(NEXT) | instid1(VALU_DEP_2)
	v_mul_f32_e32 v98, 0x3fb8aa3b, v98
	v_exp_f32_e32 v96, v92
	v_cndmask_b32_e64 v92, 0, v85, s9
	v_fma_f32 v85, s19, v125, -v81
	v_add_f32_e32 v82, v84, v91
	v_fma_f32 v84, s19, v123, -v81
	v_cndmask_b32_e64 v95, 0, v94, s10
	v_exp_f32_e32 v98, v98
	s_delay_alu instid0(VALU_DEP_3) | instskip(NEXT) | instid1(VALU_DEP_3)
	v_dual_mul_f32 v85, 0x3fb8aa3b, v85 :: v_dual_add_f32 v82, v82, v90
	v_mul_f32_e32 v84, 0x3fb8aa3b, v84
	s_delay_alu instid0(TRANS32_DEP_2) | instskip(SKIP_1) | instid1(VALU_DEP_4)
	v_cndmask_b32_e64 v94, 0, v96, s11
	v_fma_f32 v96, s19, v127, -v81
	v_exp_f32_e32 v85, v85
	s_delay_alu instid0(VALU_DEP_3) | instskip(NEXT) | instid1(TRANS32_DEP_3)
	v_exp_f32_e32 v84, v84
	v_cndmask_b32_e64 v98, 0, v98, s16
	s_waitcnt_depctr 0xfff
	v_cndmask_b32_e64 v97, 0, v84, s12
	v_mul_f32_e32 v84, 0x3fb8aa3b, v96
	v_cndmask_b32_e64 v96, 0, v99, s13
	v_cndmask_b32_e64 v99, 0, v85, s15
	v_dual_mul_f32 v85, 0x3fb8aa3b, v100 :: v_dual_add_f32 v82, v82, v93
	s_delay_alu instid0(VALU_DEP_4) | instskip(NEXT) | instid1(VALU_DEP_1)
	v_exp_f32_e32 v84, v84
	v_exp_f32_e32 v85, v85
	s_delay_alu instid0(VALU_DEP_1) | instskip(NEXT) | instid1(VALU_DEP_1)
	v_add_f32_e32 v82, v82, v92
	v_add_f32_e32 v82, v82, v95
	s_waitcnt_depctr 0xfff
	v_cndmask_b32_e64 v101, 0, v84, s17
	v_cndmask_b32_e64 v100, 0, v85, s18
	v_add_f32_e32 v82, v82, v94
	s_delay_alu instid0(VALU_DEP_1) | instskip(NEXT) | instid1(VALU_DEP_1)
	v_add_f32_e32 v82, v82, v97
	v_add_f32_e32 v82, v82, v96
	s_delay_alu instid0(VALU_DEP_1) | instskip(NEXT) | instid1(VALU_DEP_1)
	v_add_f32_e32 v82, v82, v99
	;; [unrolled: 3-line block ×3, first 2 shown]
	v_add_f32_e32 v82, v82, v100
	ds_bpermute_b32 v83, v83, v82
	v_cmpx_gt_u32_e32 16, v80
	s_cbranch_execz .LBB169_14
; %bb.13:
	v_mul_u32_u24_e32 v80, 0x44, v78
	s_waitcnt lgkmcnt(0)
	v_add_f32_e32 v82, v82, v83
	s_delay_alu instid0(VALU_DEP_2) | instskip(NEXT) | instid1(VALU_DEP_1)
	v_lshl_add_u32 v80, v79, 2, v80
	v_add_nc_u32_e32 v80, 0x4000, v80
	ds_store_2addr_b32 v80, v81, v82 offset1:136
.LBB169_14:
	s_or_b32 exec_lo, exec_lo, s3
	v_lshlrev_b32_e32 v79, 2, v79
	s_load_b32 s35, s[0:1], 0x94
	s_waitcnt lgkmcnt(0)
	s_barrier
	buffer_gl0_inv
	v_add_nc_u32_e32 v83, 0x4000, v79
	v_cmp_eq_u32_e32 vcc_lo, 1, v78
	v_cmp_eq_u32_e64 s3, 2, v78
	v_cmp_eq_u32_e64 s4, 3, v78
	;; [unrolled: 1-line block ×3, first 2 shown]
	ds_load_2addr_b32 v[79:80], v83 offset1:17
	ds_load_2addr_b32 v[81:82], v83 offset0:34 offset1:51
	ds_load_2addr_b32 v[102:103], v83 offset0:68 offset1:85
	;; [unrolled: 1-line block ×3, first 2 shown]
	v_cmp_eq_u32_e64 s6, 7, v78
	s_waitcnt lgkmcnt(3)
	v_max3_f32 v84, v79, 0xff7fffff, v80
	s_waitcnt lgkmcnt(2)
	s_delay_alu instid0(VALU_DEP_1) | instskip(SKIP_1) | instid1(VALU_DEP_1)
	v_max3_f32 v84, v84, v81, v82
	s_waitcnt lgkmcnt(1)
	v_max3_f32 v84, v84, v102, v103
	s_waitcnt lgkmcnt(0)
	s_delay_alu instid0(VALU_DEP_1) | instskip(NEXT) | instid1(VALU_DEP_1)
	v_max3_f32 v84, v84, v104, v105
	v_sub_f32_e32 v102, v102, v84
	ds_load_2addr_b32 v[106:107], v83 offset0:136 offset1:153
	v_sub_f32_e32 v79, v79, v84
	v_dual_sub_f32 v109, v82, v84 :: v_dual_mul_f32 v112, 0x3fb8aa3b, v102
	s_delay_alu instid0(VALU_DEP_2) | instskip(SKIP_3) | instid1(VALU_DEP_1)
	v_dual_sub_f32 v85, v80, v84 :: v_dual_mul_f32 v108, 0x3fb8aa3b, v79
	ds_load_2addr_b32 v[79:80], v83 offset0:170 offset1:187
	v_mul_f32_e32 v85, 0x3fb8aa3b, v85
	v_exp_f32_e32 v108, v108
	v_exp_f32_e32 v111, v85
	v_mul_f32_e32 v109, 0x3fb8aa3b, v109
	s_waitcnt lgkmcnt(1)
	s_waitcnt_depctr 0xfff
	v_fma_f32 v85, v108, v106, 0
	v_sub_f32_e32 v106, v103, v84
	v_sub_f32_e32 v81, v81, v84
	v_exp_f32_e32 v109, v109
	ds_load_2addr_b32 v[102:103], v83 offset0:238 offset1:255
	v_dual_fmac_f32 v85, v111, v107 :: v_dual_mul_f32 v110, 0x3fb8aa3b, v81
	ds_load_2addr_b32 v[81:82], v83 offset0:204 offset1:221
	v_dual_sub_f32 v83, v104, v84 :: v_dual_mul_f32 v104, 0x3fb8aa3b, v106
	v_exp_f32_e32 v106, v112
	v_exp_f32_e32 v110, v110
	s_waitcnt lgkmcnt(0)
	s_delay_alu instid0(VALU_DEP_1)
	v_mul_f32_e32 v83, 0x3fb8aa3b, v83
	v_exp_f32_e32 v104, v104
	s_barrier
	buffer_gl0_inv
	v_fmac_f32_e32 v85, v110, v79
	v_sub_f32_e32 v79, v105, v84
	v_exp_f32_e32 v105, v83
	s_delay_alu instid0(VALU_DEP_2) | instskip(NEXT) | instid1(VALU_DEP_2)
	v_fmac_f32_e32 v85, v109, v80
	v_mul_f32_e32 v79, 0x3fb8aa3b, v79
	s_delay_alu instid0(VALU_DEP_2) | instskip(NEXT) | instid1(VALU_DEP_2)
	v_dual_cndmask_b32 v80, v108, v111 :: v_dual_fmac_f32 v85, v106, v81
	v_exp_f32_e32 v107, v79
	s_delay_alu instid0(VALU_DEP_1) | instskip(SKIP_2) | instid1(VALU_DEP_1)
	v_fmac_f32_e32 v85, v104, v82
	s_waitcnt_depctr 0xfff
	v_fmac_f32_e32 v85, v105, v102
	v_fmac_f32_e32 v85, v107, v103
	s_delay_alu instid0(VALU_DEP_1) | instskip(NEXT) | instid1(VALU_DEP_1)
	v_add_f32_e32 v102, 0x358637bd, v85
	v_div_scale_f32 v103, null, v102, v102, 1.0
	v_div_scale_f32 v108, vcc_lo, 1.0, v102, 1.0
	s_delay_alu instid0(VALU_DEP_2) | instskip(SKIP_2) | instid1(VALU_DEP_1)
	v_rcp_f32_e32 v112, v103
	s_waitcnt_depctr 0xfff
	v_fma_f32 v79, -v103, v112, 1.0
	v_fmac_f32_e32 v112, v79, v112
	v_cndmask_b32_e64 v79, v80, v110, s3
	v_cmp_eq_u32_e64 s3, 4, v78
	v_lshl_or_b32 v80, v78, 11, v77
	s_delay_alu instid0(VALU_DEP_4) | instskip(NEXT) | instid1(VALU_DEP_4)
	v_mul_f32_e32 v110, v108, v112
	v_cndmask_b32_e64 v81, v79, v109, s4
	v_cmp_eq_u32_e64 s4, 6, v78
	s_delay_alu instid0(VALU_DEP_4) | instskip(SKIP_3) | instid1(VALU_DEP_3)
	v_lshl_or_b32 v78, v75, 4, v80
	v_lshlrev_b32_e32 v79, 2, v75
	v_fma_f32 v82, -v103, v110, v108
	v_cndmask_b32_e64 v83, v81, v106, s3
	v_or_b32_e32 v81, 1, v79
	s_delay_alu instid0(VALU_DEP_3) | instskip(NEXT) | instid1(VALU_DEP_3)
	v_fmac_f32_e32 v110, v82, v112
	v_cndmask_b32_e64 v104, v83, v104, s5
	v_or_b32_e32 v83, 2, v79
	v_or_b32_e32 v82, 3, v79
	v_cmp_eq_u32_e64 s3, 1, v79
	v_fma_f32 v103, -v103, v110, v108
	v_cndmask_b32_e64 v104, v104, v105, s4
	v_cmp_eq_u32_e64 s9, 1, v81
	v_cmp_eq_u32_e64 s10, 1, v83
	;; [unrolled: 1-line block ×3, first 2 shown]
	v_div_fmas_f32 v103, v103, v112, v110
	v_cndmask_b32_e64 v104, v104, v107, s6
	v_cmp_eq_u32_e32 vcc_lo, 2, v79
	v_cmp_eq_u32_e64 s12, 2, v81
	v_cmp_eq_u32_e64 s15, 2, v83
	v_div_fixup_f32 v102, v103, v102, 1.0
	v_cmp_eq_u32_e64 s16, 2, v82
	v_cmp_eq_u32_e64 s18, 3, v82
	;; [unrolled: 1-line block ×4, first 2 shown]
	v_mul_f32_e32 v110, v104, v102
	v_cmp_eq_u32_e64 s17, 3, v83
	v_cmp_eq_u32_e64 s22, 4, v82
	;; [unrolled: 1-line block ×4, first 2 shown]
	v_fma_mixlo_f16 v102, v110, v87, 0
	v_fma_mixlo_f16 v103, v110, v89, 0
	;; [unrolled: 1-line block ×8, first 2 shown]
	v_fma_mixhi_f16 v102, v110, v86, 0
	v_fma_mixhi_f16 v103, v110, v88, 0
	;; [unrolled: 1-line block ×8, first 2 shown]
	ds_store_b128 v78, v[102:105]
	ds_store_b128 v78, v[106:109] offset:1024
	s_waitcnt lgkmcnt(0)
	s_barrier
	buffer_gl0_inv
	ds_load_b128 v[86:89], v80
	ds_load_b128 v[90:93], v80 offset:16
	ds_load_b128 v[94:97], v80 offset:1024
	;; [unrolled: 1-line block ×3, first 2 shown]
	v_cmp_eq_u32_e64 s21, 4, v83
	v_cmp_eq_u32_e64 s24, 5, v82
	;; [unrolled: 1-line block ×13, first 2 shown]
	s_waitcnt lgkmcnt(3)
	v_lshrrev_b32_e32 v102, 16, v86
	s_waitcnt lgkmcnt(2)
	v_lshrrev_b32_e32 v106, 16, v90
	;; [unrolled: 2-line block ×4, first 2 shown]
	v_lshrrev_b32_e32 v103, 16, v87
	v_cndmask_b32_e64 v118, v86, v102, s3
	v_cndmask_b32_e64 v119, v90, v106, s3
	;; [unrolled: 1-line block ×8, first 2 shown]
	v_lshrrev_b32_e32 v107, 16, v91
	v_cndmask_b32_e64 v102, v94, v110, s3
	v_cndmask_b32_e64 v106, v98, v114, s3
	;; [unrolled: 1-line block ×5, first 2 shown]
	v_cndmask_b32_e32 v110, v118, v87, vcc_lo
	v_cndmask_b32_e64 v118, v120, v87, s12
	v_cndmask_b32_e64 v120, v122, v87, s15
	;; [unrolled: 1-line block ×4, first 2 shown]
	v_lshrrev_b32_e32 v111, 16, v95
	v_lshrrev_b32_e32 v115, 16, v99
	v_cndmask_b32_e64 v125, v98, v114, s9
	v_cndmask_b32_e64 v127, v98, v114, s10
	;; [unrolled: 1-line block ×3, first 2 shown]
	v_cndmask_b32_e32 v114, v119, v91, vcc_lo
	v_cndmask_b32_e64 v119, v121, v91, s12
	v_cndmask_b32_e64 v121, v123, v91, s15
	v_cndmask_b32_e32 v90, v102, v95, vcc_lo
	v_cndmask_b32_e32 v91, v106, v99, vcc_lo
	v_cndmask_b32_e64 v102, v124, v95, s12
	v_cndmask_b32_e64 v86, v86, v103, s18
	v_cndmask_b32_e64 v87, v87, v107, s18
	v_lshrrev_b32_e32 v104, 16, v88
	v_lshrrev_b32_e32 v108, 16, v92
	v_cndmask_b32_e64 v106, v126, v95, s15
	v_cndmask_b32_e64 v94, v94, v95, s16
	v_cndmask_b32_e64 v95, v98, v99, s16
	v_cndmask_b32_e64 v98, v110, v103, s4
	v_cndmask_b32_e64 v110, v114, v107, s4
	v_cndmask_b32_e64 v114, v118, v103, s13
	v_cndmask_b32_e64 v118, v119, v107, s13
	v_cndmask_b32_e64 v119, v120, v103, s17
	v_cndmask_b32_e64 v120, v121, v107, s17
	v_cndmask_b32_e64 v90, v90, v111, s4
	v_cndmask_b32_e64 v91, v91, v115, s4
	v_cndmask_b32_e64 v102, v102, v111, s13
	v_cndmask_b32_e64 v86, v86, v88, s22
	v_cndmask_b32_e64 v87, v87, v92, s22
	v_lshrrev_b32_e32 v112, 16, v96
	v_cndmask_b32_e64 v98, v98, v88, s5
	v_cndmask_b32_e64 v103, v110, v92, s5
	;; [unrolled: 1-line block ×11, first 2 shown]
	v_lshrrev_b32_e32 v105, 16, v89
	v_lshrrev_b32_e32 v109, 16, v93
	v_cndmask_b32_e64 v92, v98, v104, s6
	v_cndmask_b32_e64 v98, v103, v108, s6
	;; [unrolled: 1-line block ×9, first 2 shown]
	v_lshrrev_b32_e32 v113, 16, v97
	v_cndmask_b32_e64 v88, v88, v112, s6
	v_cndmask_b32_e64 v92, v92, v89, s7
	;; [unrolled: 1-line block ×19, first 2 shown]
	v_perm_b32 v89, v87, v86, 0x5040100
	v_cndmask_b32_e64 v86, v125, v99, s12
	v_cndmask_b32_e64 v104, v88, v113, s8
	v_perm_b32 v88, v102, v98, 0x5040100
	v_perm_b32 v87, v103, v93, 0x5040100
	v_cndmask_b32_e64 v93, v106, v111, s17
	v_cndmask_b32_e64 v94, v94, v111, s18
	;; [unrolled: 1-line block ×5, first 2 shown]
	v_lshrrev_b32_e32 v116, 16, v100
	v_cndmask_b32_e64 v93, v93, v96, s21
	v_cndmask_b32_e64 v94, v94, v96, s22
	;; [unrolled: 1-line block ×11, first 2 shown]
	v_lshrrev_b32_e32 v117, 16, v101
	v_cndmask_b32_e64 v90, v90, v101, s7
	v_cndmask_b32_e64 v93, v93, v97, s26
	;; [unrolled: 1-line block ×12, first 2 shown]
	v_perm_b32 v86, v92, v91, 0x5040100
	v_perm_b32 v93, v94, v93, 0x5040100
	v_perm_b32 v92, v95, v97, 0x5040100
	v_perm_b32 v91, v96, v105, 0x5040100
	v_perm_b32 v90, v90, v104, 0x5040100
	s_lshl_b32 s7, s33, 4
	s_mov_b32 s3, exec_lo
	ds_store_b128 v78, v[86:89]
	ds_store_b128 v78, v[90:93] offset:1024
	v_cmpx_gt_u32_e32 16, v0
	s_cbranch_execz .LBB169_16
; %bb.15:
	v_or_b32_e32 v86, s31, v0
	s_load_b128 s[8:11], s[0:1], 0x58
	s_delay_alu instid0(VALU_DEP_1) | instskip(NEXT) | instid1(VALU_DEP_1)
	v_mad_u64_u32 v[87:88], null, s7, s34, v[86:87]
	v_mad_u64_u32 v[88:89], null, v87, s35, s[14:15]
	s_delay_alu instid0(VALU_DEP_1) | instskip(NEXT) | instid1(VALU_DEP_1)
	v_ashrrev_i32_e32 v89, 31, v88
	v_lshlrev_b64 v[86:87], 2, v[88:89]
	s_waitcnt lgkmcnt(0)
	s_delay_alu instid0(VALU_DEP_1) | instskip(NEXT) | instid1(VALU_DEP_2)
	v_add_co_u32 v88, vcc_lo, s10, v86
	v_add_co_ci_u32_e32 v89, vcc_lo, s11, v87, vcc_lo
	v_add_co_u32 v86, vcc_lo, s8, v86
	v_add_co_ci_u32_e32 v87, vcc_lo, s9, v87, vcc_lo
	global_store_b32 v[88:89], v84, off
	global_store_b32 v[86:87], v85, off
.LBB169_16:
	s_or_b32 exec_lo, exec_lo, s3
	s_waitcnt lgkmcnt(0)
	s_waitcnt_vscnt null, 0x0
	s_barrier
	buffer_gl0_inv
	ds_load_b128 v[92:95], v77
	ds_load_b128 v[96:99], v77 offset:16
	ds_load_b128 v[104:107], v77 offset:1040
	;; [unrolled: 1-line block ×5, first 2 shown]
	v_cmp_eq_u32_e32 vcc_lo, 1, v83
	v_mov_b32_e32 v84, 0
	ds_load_b128 v[120:123], v77 offset:3088
	ds_load_b128 v[116:119], v77 offset:3072
	;; [unrolled: 1-line block ×4, first 2 shown]
	v_cmp_eq_u32_e64 s3, 1, v79
	v_cmp_eq_u32_e64 s4, 1, v82
	;; [unrolled: 1-line block ×3, first 2 shown]
	v_mov_b32_e32 v85, v84
	v_mov_b32_e32 v86, v84
	;; [unrolled: 1-line block ×7, first 2 shown]
	v_cmp_eq_u32_e64 s6, 2, v79
	s_waitcnt lgkmcnt(8)
	s_delay_alu instid0(VALU_DEP_2)
	v_wmma_f32_16x16x16_f16 v[84:91], v[65:72], v[92:99], v[84:91]
	ds_load_b128 v[69:72], v77 offset:5136
	ds_load_b128 v[65:68], v77 offset:5120
	;; [unrolled: 1-line block ×4, first 2 shown]
	s_waitcnt lgkmcnt(10)
	v_wmma_f32_16x16x16_f16 v[84:91], v[57:64], v[100:107], v[84:91]
	s_waitcnt lgkmcnt(8)
	s_delay_alu instid0(VALU_DEP_1)
	v_wmma_f32_16x16x16_f16 v[84:91], v[57:64], v[108:115], v[84:91]
	ds_load_b128 v[61:64], v77 offset:7184
	ds_load_b128 v[57:60], v77 offset:7168
	;; [unrolled: 1-line block ×4, first 2 shown]
	s_waitcnt lgkmcnt(10)
	v_wmma_f32_16x16x16_f16 v[84:91], v[49:56], v[116:123], v[84:91]
	s_waitcnt lgkmcnt(8)
	s_delay_alu instid0(VALU_DEP_1)
	v_wmma_f32_16x16x16_f16 v[84:91], v[49:56], v[124:131], v[84:91]
	ds_load_b128 v[53:56], v77 offset:9232
	ds_load_b128 v[49:52], v77 offset:9216
	s_waitcnt lgkmcnt(8)
	v_wmma_f32_16x16x16_f16 v[84:91], v[41:48], v[65:72], v[84:91]
	ds_load_b128 v[69:72], v77 offset:10256
	ds_load_b128 v[65:68], v77 offset:10240
	s_waitcnt lgkmcnt(8)
	;; [unrolled: 4-line block ×7, first 2 shown]
	s_barrier
	buffer_gl0_inv
	v_wmma_f32_16x16x16_f16 v[84:91], v[25:32], v[41:48], v[84:91]
	s_delay_alu instid0(VALU_DEP_1) | instskip(NEXT) | instid1(VALU_DEP_1)
	v_wmma_f32_16x16x16_f16 v[84:91], v[25:32], v[57:64], v[84:91]
	v_wmma_f32_16x16x16_f16 v[84:91], v[33:40], v[9:16], v[84:91]
	s_delay_alu instid0(VALU_DEP_1) | instskip(NEXT) | instid1(VALU_DEP_1)
	v_wmma_f32_16x16x16_f16 v[84:91], v[33:40], v[49:56], v[84:91]
	v_wmma_f32_16x16x16_f16 v[84:91], v[17:24], v[1:8], v[84:91]
	s_delay_alu instid0(VALU_DEP_1) | instskip(NEXT) | instid1(VALU_DEP_2)
	v_cvt_f16_f32_e32 v1, v84
	v_cvt_f16_f32_e32 v2, v85
	s_delay_alu instid0(VALU_DEP_3) | instskip(NEXT) | instid1(VALU_DEP_4)
	v_cvt_f16_f32_e32 v3, v86
	v_cvt_f16_f32_e32 v4, v87
	;; [unrolled: 1-line block ×6, first 2 shown]
	v_pack_b32_f16 v1, v1, v2
	v_pack_b32_f16 v2, v3, v4
	v_pack_b32_f16 v3, v5, v6
	s_delay_alu instid0(VALU_DEP_4)
	v_pack_b32_f16 v4, v7, v8
	ds_store_b128 v78, v[1:4]
	s_waitcnt lgkmcnt(0)
	s_barrier
	buffer_gl0_inv
	ds_load_b128 v[1:4], v80
	ds_load_b128 v[5:8], v80 offset:16
	s_waitcnt lgkmcnt(1)
	v_lshrrev_b32_e32 v9, 16, v1
	s_waitcnt lgkmcnt(0)
	v_lshrrev_b32_e32 v13, 16, v5
	v_lshrrev_b32_e32 v10, 16, v2
	;; [unrolled: 1-line block ×4, first 2 shown]
	v_cndmask_b32_e64 v17, v1, v9, s3
	v_cndmask_b32_e64 v18, v5, v13, s3
	v_cndmask_b32_e64 v19, v1, v9, s5
	v_cmp_eq_u32_e64 s3, 2, v81
	v_cndmask_b32_e64 v20, v5, v13, s5
	v_cndmask_b32_e32 v21, v1, v9, vcc_lo
	v_cndmask_b32_e32 v22, v5, v13, vcc_lo
	v_cndmask_b32_e64 v1, v1, v9, s4
	v_cndmask_b32_e64 v5, v5, v13, s4
	v_cmp_eq_u32_e32 vcc_lo, 2, v83
	v_cmp_eq_u32_e64 s4, 2, v82
	v_cndmask_b32_e64 v9, v17, v2, s6
	v_cndmask_b32_e64 v13, v18, v6, s6
	;; [unrolled: 1-line block ×4, first 2 shown]
	v_cndmask_b32_e32 v19, v21, v2, vcc_lo
	v_cmp_eq_u32_e64 s3, 3, v83
	v_cndmask_b32_e32 v20, v22, v6, vcc_lo
	v_cndmask_b32_e64 v1, v1, v2, s4
	v_cmp_eq_u32_e32 vcc_lo, 3, v82
	v_cmp_eq_u32_e64 s5, 3, v79
	v_cndmask_b32_e64 v2, v5, v6, s4
	v_cmp_eq_u32_e64 s4, 3, v81
	v_cmp_eq_u32_e64 s6, 4, v79
	v_cndmask_b32_e32 v1, v1, v10, vcc_lo
	v_cndmask_b32_e64 v5, v9, v10, s5
	v_cndmask_b32_e64 v6, v13, v14, s5
	;; [unrolled: 1-line block ×3, first 2 shown]
	v_cmp_eq_u32_e64 s5, 4, v81
	v_cndmask_b32_e64 v13, v18, v14, s4
	v_cndmask_b32_e64 v17, v19, v10, s3
	;; [unrolled: 1-line block ×3, first 2 shown]
	v_cndmask_b32_e32 v2, v2, v14, vcc_lo
	v_cmp_eq_u32_e32 vcc_lo, 4, v83
	v_cmp_eq_u32_e64 s4, 4, v82
	v_lshrrev_b32_e32 v15, 16, v7
	v_cndmask_b32_e64 v5, v5, v3, s6
	v_cndmask_b32_e64 v6, v6, v7, s6
	v_cndmask_b32_e32 v14, v18, v7, vcc_lo
	v_cndmask_b32_e64 v9, v9, v3, s5
	v_cndmask_b32_e64 v10, v13, v7, s5
	v_cndmask_b32_e32 v13, v17, v3, vcc_lo
	v_cmp_eq_u32_e64 s3, 5, v83
	v_cndmask_b32_e64 v1, v1, v3, s4
	v_cmp_eq_u32_e32 vcc_lo, 5, v82
	v_cmp_eq_u32_e64 s5, 5, v79
	v_cndmask_b32_e64 v2, v2, v7, s4
	v_cmp_eq_u32_e64 s4, 5, v81
	v_cmp_eq_u32_e64 s6, 6, v79
	v_lshrrev_b32_e32 v12, 16, v4
	v_cndmask_b32_e64 v3, v5, v11, s5
	v_cndmask_b32_e64 v5, v6, v15, s5
	;; [unrolled: 1-line block ×3, first 2 shown]
	v_cmp_eq_u32_e64 s5, 6, v81
	v_cndmask_b32_e64 v7, v10, v15, s4
	v_cndmask_b32_e64 v9, v13, v11, s3
	;; [unrolled: 1-line block ×3, first 2 shown]
	v_cndmask_b32_e32 v1, v1, v11, vcc_lo
	v_cndmask_b32_e32 v2, v2, v15, vcc_lo
	v_cmp_eq_u32_e32 vcc_lo, 6, v83
	v_cmp_eq_u32_e64 s3, 6, v82
	v_lshrrev_b32_e32 v16, 16, v8
	v_cndmask_b32_e64 v3, v3, v4, s6
	v_cndmask_b32_e64 v5, v5, v8, s6
	v_cndmask_b32_e32 v9, v9, v4, vcc_lo
	v_cndmask_b32_e64 v6, v6, v4, s5
	v_cndmask_b32_e64 v7, v7, v8, s5
	v_cmp_eq_u32_e64 s4, 7, v83
	v_cndmask_b32_e32 v10, v10, v8, vcc_lo
	v_cndmask_b32_e64 v1, v1, v4, s3
	v_cmp_eq_u32_e32 vcc_lo, 7, v82
	v_cndmask_b32_e64 v2, v2, v8, s3
	v_cmp_eq_u32_e64 s3, 7, v79
	v_cmp_eq_u32_e64 s5, 7, v81
	v_cndmask_b32_e32 v1, v1, v12, vcc_lo
	s_delay_alu instid0(VALU_DEP_4) | instskip(NEXT) | instid1(VALU_DEP_4)
	v_cndmask_b32_e32 v2, v2, v16, vcc_lo
	v_cndmask_b32_e64 v8, v3, v12, s3
	s_delay_alu instid0(VALU_DEP_4)
	v_cndmask_b32_e64 v6, v6, v12, s5
	v_cndmask_b32_e64 v3, v9, v12, s4
	;; [unrolled: 1-line block ×5, first 2 shown]
	v_cmp_gt_u32_e32 vcc_lo, 32, v0
	v_perm_b32 v4, v2, v1, 0x5040100
	v_perm_b32 v3, v9, v3, 0x5040100
	;; [unrolled: 1-line block ×4, first 2 shown]
	s_and_b32 s2, vcc_lo, s2
	ds_store_b128 v78, v[1:4]
	s_waitcnt lgkmcnt(0)
	s_barrier
	buffer_gl0_inv
	s_and_saveexec_b32 s3, s2
	s_cbranch_execz .LBB169_2
; %bb.17:
	s_load_b64 s[0:1], s[0:1], 0x68
	v_lshlrev_b32_e32 v0, 10, v0
	s_lshl_b32 s4, s35, 6
	v_or_b32_e32 v23, s31, v75
	s_mul_i32 s2, s4, s34
	v_lshlrev_b32_e32 v1, 4, v76
	v_lshlrev_b32_e32 v2, 6, v75
	s_mul_i32 s2, s2, s7
	v_and_b32_e32 v0, 0x3800, v0
	v_mul_lo_u32 v8, v23, s4
	s_ashr_i32 s3, s2, 31
	v_or_b32_e32 v3, 2, v23
	s_lshl_b64 s[2:3], s[2:3], 1
	v_or3_b32 v27, v0, v1, v2
	v_or_b32_e32 v11, 4, v23
	v_or_b32_e32 v18, 6, v23
	v_mul_lo_u32 v10, v3, s4
	v_ashrrev_i32_e32 v9, 31, v8
	ds_load_b128 v[0:3], v27
	ds_load_b128 v[4:7], v27 offset:128
	v_mul_lo_u32 v12, v11, s4
	s_waitcnt lgkmcnt(0)
	s_add_u32 s2, s0, s2
	s_addc_u32 s3, s1, s3
	s_lshl_b32 s0, s14, 6
	v_lshlrev_b64 v[8:9], 1, v[8:9]
	s_ashr_i32 s1, s0, 31
	v_ashrrev_i32_e32 v11, 31, v10
	s_lshl_b64 s[0:1], s[0:1], 1
	v_ashrrev_i32_e32 v13, 31, v12
	s_add_u32 s0, s2, s0
	s_addc_u32 s1, s3, s1
	v_add_co_u32 v30, vcc_lo, s0, v73
	v_add_co_ci_u32_e32 v31, vcc_lo, s1, v74, vcc_lo
	v_lshlrev_b64 v[16:17], 1, v[10:11]
	s_delay_alu instid0(VALU_DEP_3) | instskip(NEXT) | instid1(VALU_DEP_3)
	v_add_co_u32 v14, vcc_lo, v30, v8
	v_add_co_ci_u32_e32 v15, vcc_lo, v31, v9, vcc_lo
	ds_load_b128 v[8:11], v27 offset:256
	v_mul_lo_u32 v18, v18, s4
	v_or_b32_e32 v19, 8, v23
	v_add_co_u32 v16, vcc_lo, v30, v16
	global_store_b128 v[14:15], v[0:3], off
	v_lshlrev_b64 v[0:1], 1, v[12:13]
	v_add_co_ci_u32_e32 v17, vcc_lo, v31, v17, vcc_lo
	v_mul_lo_u32 v12, v19, s4
	v_ashrrev_i32_e32 v19, 31, v18
	v_or_b32_e32 v14, 10, v23
	global_store_b128 v[16:17], v[4:7], off
	v_add_co_u32 v4, vcc_lo, v30, v0
	v_add_co_ci_u32_e32 v5, vcc_lo, v31, v1, vcc_lo
	ds_load_b128 v[0:3], v27 offset:384
	v_ashrrev_i32_e32 v13, 31, v12
	v_lshlrev_b64 v[6:7], 1, v[18:19]
	v_mul_lo_u32 v14, v14, s4
	s_waitcnt lgkmcnt(1)
	global_store_b128 v[4:5], v[8:11], off
	v_or_b32_e32 v8, 12, v23
	v_lshlrev_b64 v[4:5], 1, v[12:13]
	v_add_co_u32 v20, vcc_lo, v30, v6
	v_or_b32_e32 v6, 14, v23
	v_ashrrev_i32_e32 v15, 31, v14
	v_mul_lo_u32 v22, v8, s4
	v_add_co_ci_u32_e32 v21, vcc_lo, v31, v7, vcc_lo
	v_add_co_u32 v24, vcc_lo, v30, v4
	v_mul_lo_u32 v26, v6, s4
	v_add_co_ci_u32_e32 v25, vcc_lo, v31, v5, vcc_lo
	v_lshlrev_b64 v[28:29], 1, v[14:15]
	ds_load_b128 v[4:7], v27 offset:512
	ds_load_b128 v[8:11], v27 offset:640
	;; [unrolled: 1-line block ×4, first 2 shown]
	v_ashrrev_i32_e32 v23, 31, v22
	v_ashrrev_i32_e32 v27, 31, v26
	v_add_co_u32 v28, vcc_lo, v30, v28
	s_delay_alu instid0(VALU_DEP_3) | instskip(SKIP_1) | instid1(VALU_DEP_4)
	v_lshlrev_b64 v[22:23], 1, v[22:23]
	v_add_co_ci_u32_e32 v29, vcc_lo, v31, v29, vcc_lo
	v_lshlrev_b64 v[26:27], 1, v[26:27]
	s_delay_alu instid0(VALU_DEP_3) | instskip(NEXT) | instid1(VALU_DEP_4)
	v_add_co_u32 v22, vcc_lo, v30, v22
	v_add_co_ci_u32_e32 v23, vcc_lo, v31, v23, vcc_lo
	s_delay_alu instid0(VALU_DEP_3) | instskip(NEXT) | instid1(VALU_DEP_4)
	v_add_co_u32 v26, vcc_lo, v30, v26
	v_add_co_ci_u32_e32 v27, vcc_lo, v31, v27, vcc_lo
	s_waitcnt lgkmcnt(4)
	global_store_b128 v[20:21], v[0:3], off
	s_waitcnt lgkmcnt(3)
	global_store_b128 v[24:25], v[4:7], off
	;; [unrolled: 2-line block ×5, first 2 shown]
	s_nop 0
	s_sendmsg sendmsg(MSG_DEALLOC_VGPRS)
	s_endpgm
	.section	.rodata,"a",@progbits
	.p2align	6, 0x0
	.amdhsa_kernel _Z39paged_attention_ll4mi_QKV_mfma16_kernelIDF16_DF16_LN4vllm18Fp8KVCacheDataTypeE0EDF16_Li32ELi64ELi256ELb1ELi16EL8MFMAType0EEvPKT_PKT0_S8_ifPKiSA_SA_iPKfiiiPfSD_PS3_PT2_iSC_SC_
		.amdhsa_group_segment_fixed_size 17472
		.amdhsa_private_segment_fixed_size 0
		.amdhsa_kernarg_size 400
		.amdhsa_user_sgpr_count 13
		.amdhsa_user_sgpr_dispatch_ptr 0
		.amdhsa_user_sgpr_queue_ptr 0
		.amdhsa_user_sgpr_kernarg_segment_ptr 1
		.amdhsa_user_sgpr_dispatch_id 0
		.amdhsa_user_sgpr_private_segment_size 0
		.amdhsa_wavefront_size32 1
		.amdhsa_uses_dynamic_stack 0
		.amdhsa_enable_private_segment 0
		.amdhsa_system_sgpr_workgroup_id_x 1
		.amdhsa_system_sgpr_workgroup_id_y 1
		.amdhsa_system_sgpr_workgroup_id_z 1
		.amdhsa_system_sgpr_workgroup_info 0
		.amdhsa_system_vgpr_workitem_id 0
		.amdhsa_next_free_vgpr 149
		.amdhsa_next_free_sgpr 39
		.amdhsa_reserve_vcc 1
		.amdhsa_float_round_mode_32 0
		.amdhsa_float_round_mode_16_64 0
		.amdhsa_float_denorm_mode_32 3
		.amdhsa_float_denorm_mode_16_64 3
		.amdhsa_dx10_clamp 1
		.amdhsa_ieee_mode 1
		.amdhsa_fp16_overflow 0
		.amdhsa_workgroup_processor_mode 1
		.amdhsa_memory_ordered 1
		.amdhsa_forward_progress 0
		.amdhsa_shared_vgpr_count 0
		.amdhsa_exception_fp_ieee_invalid_op 0
		.amdhsa_exception_fp_denorm_src 0
		.amdhsa_exception_fp_ieee_div_zero 0
		.amdhsa_exception_fp_ieee_overflow 0
		.amdhsa_exception_fp_ieee_underflow 0
		.amdhsa_exception_fp_ieee_inexact 0
		.amdhsa_exception_int_div_zero 0
	.end_amdhsa_kernel
	.section	.text._Z39paged_attention_ll4mi_QKV_mfma16_kernelIDF16_DF16_LN4vllm18Fp8KVCacheDataTypeE0EDF16_Li32ELi64ELi256ELb1ELi16EL8MFMAType0EEvPKT_PKT0_S8_ifPKiSA_SA_iPKfiiiPfSD_PS3_PT2_iSC_SC_,"axG",@progbits,_Z39paged_attention_ll4mi_QKV_mfma16_kernelIDF16_DF16_LN4vllm18Fp8KVCacheDataTypeE0EDF16_Li32ELi64ELi256ELb1ELi16EL8MFMAType0EEvPKT_PKT0_S8_ifPKiSA_SA_iPKfiiiPfSD_PS3_PT2_iSC_SC_,comdat
.Lfunc_end169:
	.size	_Z39paged_attention_ll4mi_QKV_mfma16_kernelIDF16_DF16_LN4vllm18Fp8KVCacheDataTypeE0EDF16_Li32ELi64ELi256ELb1ELi16EL8MFMAType0EEvPKT_PKT0_S8_ifPKiSA_SA_iPKfiiiPfSD_PS3_PT2_iSC_SC_, .Lfunc_end169-_Z39paged_attention_ll4mi_QKV_mfma16_kernelIDF16_DF16_LN4vllm18Fp8KVCacheDataTypeE0EDF16_Li32ELi64ELi256ELb1ELi16EL8MFMAType0EEvPKT_PKT0_S8_ifPKiSA_SA_iPKfiiiPfSD_PS3_PT2_iSC_SC_
                                        ; -- End function
	.section	.AMDGPU.csdata,"",@progbits
; Kernel info:
; codeLenInByte = 7432
; NumSgprs: 41
; NumVgprs: 149
; ScratchSize: 0
; MemoryBound: 0
; FloatMode: 240
; IeeeMode: 1
; LDSByteSize: 17472 bytes/workgroup (compile time only)
; SGPRBlocks: 5
; VGPRBlocks: 18
; NumSGPRsForWavesPerEU: 41
; NumVGPRsForWavesPerEU: 149
; Occupancy: 9
; WaveLimiterHint : 1
; COMPUTE_PGM_RSRC2:SCRATCH_EN: 0
; COMPUTE_PGM_RSRC2:USER_SGPR: 13
; COMPUTE_PGM_RSRC2:TRAP_HANDLER: 0
; COMPUTE_PGM_RSRC2:TGID_X_EN: 1
; COMPUTE_PGM_RSRC2:TGID_Y_EN: 1
; COMPUTE_PGM_RSRC2:TGID_Z_EN: 1
; COMPUTE_PGM_RSRC2:TIDIG_COMP_CNT: 0
	.section	.text._Z39paged_attention_ll4mi_QKV_mfma16_kernelIDF16_DF16_LN4vllm18Fp8KVCacheDataTypeE0EDF16_Li32ELi64ELi256ELb1ELi1EL8MFMAType0EEvPKT_PKT0_S8_ifPKiSA_SA_iPKfiiiPfSD_PS3_PT2_iSC_SC_,"axG",@progbits,_Z39paged_attention_ll4mi_QKV_mfma16_kernelIDF16_DF16_LN4vllm18Fp8KVCacheDataTypeE0EDF16_Li32ELi64ELi256ELb1ELi1EL8MFMAType0EEvPKT_PKT0_S8_ifPKiSA_SA_iPKfiiiPfSD_PS3_PT2_iSC_SC_,comdat
	.protected	_Z39paged_attention_ll4mi_QKV_mfma16_kernelIDF16_DF16_LN4vllm18Fp8KVCacheDataTypeE0EDF16_Li32ELi64ELi256ELb1ELi1EL8MFMAType0EEvPKT_PKT0_S8_ifPKiSA_SA_iPKfiiiPfSD_PS3_PT2_iSC_SC_ ; -- Begin function _Z39paged_attention_ll4mi_QKV_mfma16_kernelIDF16_DF16_LN4vllm18Fp8KVCacheDataTypeE0EDF16_Li32ELi64ELi256ELb1ELi1EL8MFMAType0EEvPKT_PKT0_S8_ifPKiSA_SA_iPKfiiiPfSD_PS3_PT2_iSC_SC_
	.globl	_Z39paged_attention_ll4mi_QKV_mfma16_kernelIDF16_DF16_LN4vllm18Fp8KVCacheDataTypeE0EDF16_Li32ELi64ELi256ELb1ELi1EL8MFMAType0EEvPKT_PKT0_S8_ifPKiSA_SA_iPKfiiiPfSD_PS3_PT2_iSC_SC_
	.p2align	8
	.type	_Z39paged_attention_ll4mi_QKV_mfma16_kernelIDF16_DF16_LN4vllm18Fp8KVCacheDataTypeE0EDF16_Li32ELi64ELi256ELb1ELi1EL8MFMAType0EEvPKT_PKT0_S8_ifPKiSA_SA_iPKfiiiPfSD_PS3_PT2_iSC_SC_,@function
_Z39paged_attention_ll4mi_QKV_mfma16_kernelIDF16_DF16_LN4vllm18Fp8KVCacheDataTypeE0EDF16_Li32ELi64ELi256ELb1ELi1EL8MFMAType0EEvPKT_PKT0_S8_ifPKiSA_SA_iPKfiiiPfSD_PS3_PT2_iSC_SC_: ; @_Z39paged_attention_ll4mi_QKV_mfma16_kernelIDF16_DF16_LN4vllm18Fp8KVCacheDataTypeE0EDF16_Li32ELi64ELi256ELb1ELi1EL8MFMAType0EEvPKT_PKT0_S8_ifPKiSA_SA_iPKfiiiPfSD_PS3_PT2_iSC_SC_
; %bb.0:
	s_load_b64 s[4:5], s[0:1], 0x30
	s_mov_b32 s34, s13
	s_waitcnt lgkmcnt(0)
	s_cmp_lg_u64 s[4:5], 0
	s_cselect_b32 s6, -1, 0
	s_ashr_i32 s35, s13, 31
	s_cmp_eq_u64 s[4:5], 0
	s_cbranch_scc1 .LBB170_3
; %bb.1:
	s_lshl_b64 s[2:3], s[34:35], 2
	s_delay_alu instid0(SALU_CYCLE_1) | instskip(SKIP_4) | instid1(SALU_CYCLE_1)
	s_add_u32 s2, s4, s2
	s_addc_u32 s3, s5, s3
	s_load_b64 s[2:3], s[2:3], 0x0
	s_waitcnt lgkmcnt(0)
	s_sub_i32 s2, s3, s2
	s_cmp_eq_u32 s2, 1
	s_cselect_b32 s2, -1, 0
	s_delay_alu instid0(SALU_CYCLE_1)
	s_and_not1_b32 vcc_lo, exec_lo, s2
	s_cbranch_vccz .LBB170_4
.LBB170_2:
	s_endpgm
.LBB170_3:
.LBB170_4:
	s_load_b64 s[2:3], s[0:1], 0x28
	s_lshl_b64 s[8:9], s[34:35], 2
	s_waitcnt lgkmcnt(0)
	s_add_u32 s2, s2, s8
	s_addc_u32 s3, s3, s9
	s_lshl_b32 s12, s14, 8
	s_load_b32 s33, s[2:3], 0x0
	s_waitcnt lgkmcnt(0)
	s_cmp_ge_i32 s12, s33
	s_cbranch_scc1 .LBB170_2
; %bb.5:
	s_clause 0x1
	s_load_b128 s[56:59], s[0:1], 0x8
	s_load_b64 s[2:3], s[0:1], 0x20
	s_and_not1_b32 vcc_lo, exec_lo, s6
	s_mov_b64 s[6:7], s[34:35]
	s_cbranch_vccnz .LBB170_7
; %bb.6:
	s_add_u32 s4, s4, s8
	s_addc_u32 s5, s5, s9
	s_load_b32 s6, s[4:5], 0x0
.LBB170_7:
	s_load_b128 s[52:55], s[0:1], 0x48
	v_and_b32_e32 v113, 15, v0
	s_mov_b32 s13, exec_lo
                                        ; implicit-def: $sgpr36
                                        ; implicit-def: $sgpr24
                                        ; implicit-def: $sgpr4
                                        ; implicit-def: $sgpr16
	s_delay_alu instid0(VALU_DEP_1)
	v_cmpx_eq_u32_e32 0, v113
	s_cbranch_execz .LBB170_9
; %bb.8:
	s_load_b64 s[4:5], s[0:1], 0x0
	s_waitcnt lgkmcnt(0)
	s_mul_hi_i32 s7, s6, s52
	s_mul_i32 s6, s6, s52
	s_delay_alu instid0(SALU_CYCLE_1) | instskip(NEXT) | instid1(SALU_CYCLE_1)
	s_lshl_b64 s[6:7], s[6:7], 1
	s_add_u32 s6, s4, s6
	s_addc_u32 s7, s5, s7
	s_lshl_b32 s4, s15, 6
	s_delay_alu instid0(SALU_CYCLE_1) | instskip(NEXT) | instid1(SALU_CYCLE_1)
	s_ashr_i32 s5, s4, 31
	s_lshl_b64 s[4:5], s[4:5], 1
	s_delay_alu instid0(SALU_CYCLE_1)
	s_add_u32 s16, s6, s4
	s_addc_u32 s17, s7, s5
	s_clause 0x3
	s_load_b256 s[36:43], s[16:17], 0x0
	s_load_b256 s[24:31], s[16:17], 0x20
	;; [unrolled: 1-line block ×4, first 2 shown]
.LBB170_9:
	s_or_b32 exec_lo, exec_lo, s13
	v_and_b32_e32 v1, 0xef, v0
	s_waitcnt lgkmcnt(0)
	v_dual_mov_b32 v33, s36 :: v_dual_mov_b32 v40, s43
	v_mov_b32_e32 v34, s37
	s_add_i32 s13, s33, 31
	v_dual_mov_b32 v36, s39 :: v_dual_add_nc_u32 v1, s12, v1
	s_ashr_i32 s35, s13, 31
	s_load_b32 s44, s[0:1], 0x38
	s_lshr_b32 s35, s35, 27
	s_delay_alu instid0(VALU_DEP_1)
	v_ashrrev_i32_e32 v2, 31, v1
	v_or_b32_e32 v3, 16, v1
	s_add_i32 s13, s13, s35
	s_load_b32 s35, s[0:1], 0x1c
	s_ashr_i32 s13, s13, 5
	v_lshrrev_b32_e32 v2, 27, v2
	s_add_i32 s13, s13, -1
	v_cmp_gt_i32_e32 vcc_lo, s33, v1
	v_dual_mov_b32 v123, s31 :: v_dual_mov_b32 v118, s26
	s_delay_alu instid0(VALU_DEP_3) | instskip(SKIP_2) | instid1(VALU_DEP_3)
	v_dual_mov_b32 v35, s38 :: v_dual_add_nc_u32 v4, v1, v2
	v_dual_mov_b32 v37, s40 :: v_dual_mov_b32 v122, s30
	v_dual_mov_b32 v39, s42 :: v_dual_mov_b32 v120, s28
	v_ashrrev_i32_e32 v4, 5, v4
	v_add_nc_u32_e32 v2, v3, v2
	s_waitcnt lgkmcnt(0)
	s_mul_i32 s44, s34, s44
	v_dual_mov_b32 v121, s29 :: v_dual_mov_b32 v116, s24
	v_cndmask_b32_e32 v1, s13, v4, vcc_lo
	v_ashrrev_i32_e32 v2, 5, v2
	v_cmp_gt_i32_e32 vcc_lo, s33, v3
	s_ashr_i32 s45, s44, 31
	v_lshlrev_b32_e32 v114, 6, v113
	s_lshl_b64 s[44:45], s[44:45], 2
	v_lshrrev_b32_e32 v115, 5, v0
	v_cndmask_b32_e32 v3, s13, v2, vcc_lo
	v_ashrrev_i32_e32 v2, 31, v1
	s_add_u32 s52, s2, s44
	s_addc_u32 s55, s3, s45
	s_mul_i32 s2, s15, s54
	v_ashrrev_i32_e32 v4, 31, v3
	v_lshlrev_b64 v[1:2], 2, v[1:2]
	s_ashr_i32 s3, s2, 31
	v_mov_b32_e32 v38, s41
	s_lshl_b64 s[2:3], s[2:3], 1
	v_lshlrev_b64 v[3:4], 2, v[3:4]
	s_add_u32 s63, s56, s2
	v_add_co_u32 v1, vcc_lo, s52, v1
	v_add_co_ci_u32_e32 v2, vcc_lo, s55, v2, vcc_lo
	s_delay_alu instid0(VALU_DEP_3) | instskip(NEXT) | instid1(VALU_DEP_4)
	v_add_co_u32 v3, vcc_lo, s52, v3
	v_add_co_ci_u32_e32 v4, vcc_lo, s55, v4, vcc_lo
	s_clause 0x1
	global_load_b32 v5, v[1:2], off
	global_load_b32 v6, v[3:4], off
	s_addc_u32 s68, s57, s3
	s_lshl_b32 s44, s14, 3
	s_delay_alu instid0(SALU_CYCLE_1) | instskip(NEXT) | instid1(SALU_CYCLE_1)
	s_ashr_i32 s45, s44, 31
	s_lshl_b64 s[44:45], s[44:45], 2
	s_delay_alu instid0(SALU_CYCLE_1) | instskip(SKIP_2) | instid1(SALU_CYCLE_1)
	s_add_u32 s44, s52, s44
	s_addc_u32 s45, s55, s45
	s_or_b32 s46, s12, 32
	s_ashr_i32 s47, s46, 5
	s_cmp_lt_i32 s46, s33
	s_cselect_b32 s46, s47, s13
	s_delay_alu instid0(SALU_CYCLE_1) | instskip(NEXT) | instid1(SALU_CYCLE_1)
	s_ashr_i32 s47, s46, 31
	s_lshl_b64 s[46:47], s[46:47], 2
	s_delay_alu instid0(SALU_CYCLE_1) | instskip(SKIP_2) | instid1(SALU_CYCLE_1)
	s_add_u32 s46, s52, s46
	s_addc_u32 s47, s55, s47
	s_or_b32 s48, s12, 64
	s_ashr_i32 s49, s48, 5
	s_cmp_lt_i32 s48, s33
	s_cselect_b32 s48, s49, s13
	;; [unrolled: 10-line block ×5, first 2 shown]
	s_delay_alu instid0(SALU_CYCLE_1) | instskip(NEXT) | instid1(SALU_CYCLE_1)
	s_ashr_i32 s57, s56, 31
	s_lshl_b64 s[56:57], s[56:57], 2
	s_delay_alu instid0(SALU_CYCLE_1)
	s_add_u32 s66, s52, s56
	s_addc_u32 s67, s55, s57
	s_clause 0x5
	s_load_b32 s62, s[44:45], 0x0
	s_load_b32 s61, s[46:47], 0x0
	;; [unrolled: 1-line block ×6, first 2 shown]
	s_mov_b32 s44, 0
	s_delay_alu instid0(SALU_CYCLE_1)
	s_mov_b32 s45, s44
	s_mov_b32 s46, s44
	;; [unrolled: 1-line block ×7, first 2 shown]
	v_mov_b32_e32 v119, s27
	v_mov_b32_e32 v117, s25
	s_or_b32 s24, s12, 0xc0
	v_dual_mov_b32 v131, s51 :: v_dual_mov_b32 v126, s46
	s_ashr_i32 s25, s24, 5
	s_cmp_lt_i32 s24, s33
	v_mov_b32_e32 v130, s50
	s_cselect_b32 s24, s25, s13
	v_dual_mov_b32 v129, s49 :: v_dual_mov_b32 v124, s44
	s_ashr_i32 s25, s24, 31
	v_mov_b32_e32 v128, s48
	s_lshl_b64 s[24:25], s[24:25], 2
	v_mov_b32_e32 v127, s47
	s_add_u32 s24, s52, s24
	s_addc_u32 s25, s55, s25
	s_or_b32 s28, s12, 0xe0
	v_mov_b32_e32 v125, s45
	s_ashr_i32 s30, s28, 5
	s_cmp_lt_i32 s28, s33
	s_waitcnt lgkmcnt(0)
	s_mul_hi_i32 s27, s62, s53
	s_cselect_b32 s30, s30, s13
	s_mul_i32 s26, s62, s53
	s_ashr_i32 s31, s30, 31
	s_mul_hi_i32 s29, s61, s53
	s_lshl_b64 s[30:31], s[30:31], 2
	s_mul_i32 s28, s61, s53
	s_add_u32 s30, s52, s30
	s_addc_u32 s31, s55, s31
	s_add_i32 s40, s12, 0x100
	s_mul_hi_i32 s37, s60, s53
	s_mul_i32 s36, s60, s53
	s_mul_hi_i32 s39, s57, s53
	s_mul_i32 s38, s57, s53
	;; [unrolled: 2-line block ×3, first 2 shown]
	s_ashr_i32 s41, s40, 5
	s_cmp_lt_i32 s40, s33
	s_cselect_b32 s40, s41, s13
	s_delay_alu instid0(SALU_CYCLE_1) | instskip(NEXT) | instid1(SALU_CYCLE_1)
	s_ashr_i32 s41, s40, 31
	s_lshl_b64 s[40:41], s[40:41], 2
	s_delay_alu instid0(SALU_CYCLE_1)
	s_add_u32 s40, s52, s40
	s_addc_u32 s41, s55, s41
	s_add_u32 s13, s58, s2
	s_waitcnt vmcnt(1)
	v_mad_i64_i32 v[1:2], null, v5, s53, 0
	s_waitcnt vmcnt(0)
	v_mad_i64_i32 v[3:4], null, v6, s53, 0
	v_lshlrev_b32_e32 v5, 4, v113
	s_delay_alu instid0(VALU_DEP_3) | instskip(NEXT) | instid1(VALU_DEP_3)
	v_lshlrev_b64 v[1:2], 1, v[1:2]
	v_lshlrev_b64 v[3:4], 1, v[3:4]
	s_delay_alu instid0(VALU_DEP_2) | instskip(NEXT) | instid1(VALU_DEP_3)
	v_add_co_u32 v1, vcc_lo, s63, v1
	v_add_co_ci_u32_e32 v2, vcc_lo, s68, v2, vcc_lo
	s_delay_alu instid0(VALU_DEP_3) | instskip(NEXT) | instid1(VALU_DEP_4)
	v_add_co_u32 v3, vcc_lo, s63, v3
	v_add_co_ci_u32_e32 v4, vcc_lo, s68, v4, vcc_lo
	s_delay_alu instid0(VALU_DEP_4) | instskip(NEXT) | instid1(VALU_DEP_4)
	v_add_co_u32 v17, vcc_lo, v1, v5
	v_add_co_ci_u32_e32 v18, vcc_lo, 0, v2, vcc_lo
	s_delay_alu instid0(VALU_DEP_4) | instskip(NEXT) | instid1(VALU_DEP_4)
	v_add_co_u32 v19, vcc_lo, v3, v5
	v_add_co_ci_u32_e32 v20, vcc_lo, 0, v4, vcc_lo
	s_clause 0xf
	global_load_b128 v[1:4], v[17:18], off
	global_load_b128 v[5:8], v[17:18], off offset:512
	global_load_b128 v[9:12], v[19:20], off offset:256
	;; [unrolled: 1-line block ×15, first 2 shown]
	v_lshl_or_b32 v17, v115, 10, v114
	s_clause 0x2
	s_load_b32 s44, s[24:25], 0x0
	s_load_b32 s45, s[30:31], 0x0
	;; [unrolled: 1-line block ×3, first 2 shown]
	s_addc_u32 s41, s59, s3
	s_lshl_b64 s[2:3], s[26:27], 1
	v_add_co_u32 v144, s13, s13, v17
	s_delay_alu instid0(VALU_DEP_1) | instskip(SKIP_1) | instid1(VALU_DEP_2)
	v_add_co_ci_u32_e64 v145, null, s41, 0, s13
	s_lshl_b64 s[26:27], s[28:29], 1
	v_add_co_u32 v17, vcc_lo, v144, s2
	s_delay_alu instid0(VALU_DEP_2)
	v_add_co_ci_u32_e32 v18, vcc_lo, s3, v145, vcc_lo
	v_add_co_u32 v19, vcc_lo, v144, s26
	s_lshl_b64 s[28:29], s[36:37], 1
	v_add_co_ci_u32_e32 v20, vcc_lo, s27, v145, vcc_lo
	v_add_co_u32 v21, vcc_lo, v144, s28
	s_lshl_b64 s[30:31], s[38:39], 1
	s_mul_hi_i32 s25, s56, s53
	s_mul_i32 s24, s56, s53
	v_add_co_ci_u32_e32 v22, vcc_lo, s29, v145, vcc_lo
	v_add_co_u32 v23, vcc_lo, v144, s30
	s_lshl_b64 s[24:25], s[24:25], 1
	v_add_co_ci_u32_e32 v24, vcc_lo, s31, v145, vcc_lo
	v_add_co_u32 v132, vcc_lo, v144, s24
	s_lshl_b64 s[36:37], s[42:43], 1
	s_waitcnt lgkmcnt(0)
	s_mul_hi_i32 s39, s44, s53
	s_mul_i32 s38, s44, s53
	v_add_co_ci_u32_e32 v133, vcc_lo, s25, v145, vcc_lo
	v_add_co_u32 v140, vcc_lo, v144, s36
	s_lshl_b64 s[38:39], s[38:39], 1
	v_add_co_ci_u32_e32 v141, vcc_lo, s37, v145, vcc_lo
	s_mul_hi_i32 s3, s45, s53
	s_mul_i32 s2, s45, s53
	v_add_co_u32 v142, vcc_lo, v144, s38
	s_lshl_b64 s[2:3], s[2:3], 1
	v_add_co_ci_u32_e32 v143, vcc_lo, s39, v145, vcc_lo
	s_clause 0x9
	global_load_b128 v[65:68], v[17:18], off
	global_load_b128 v[69:72], v[17:18], off offset:16
	global_load_b128 v[57:60], v[19:20], off
	global_load_b128 v[61:64], v[19:20], off offset:16
	;; [unrolled: 2-line block ×5, first 2 shown]
	s_mul_hi_i32 s25, s40, s53
	s_mul_i32 s24, s40, s53
	s_waitcnt vmcnt(24)
	v_wmma_f32_16x16x16_f16 v[132:139], v[1:8], v[33:40], v[124:131]
	s_waitcnt vmcnt(22)
	v_wmma_f32_16x16x16_f16 v[124:131], v[9:16], v[33:40], v[124:131]
	v_add_co_u32 v37, vcc_lo, v144, s2
	v_add_co_ci_u32_e32 v38, vcc_lo, s3, v145, vcc_lo
	s_lshl_b64 s[2:3], s[24:25], 1
	s_clause 0x1
	global_load_b128 v[9:12], v[140:141], off
	global_load_b128 v[13:16], v[140:141], off offset:16
	v_add_co_u32 v140, vcc_lo, v144, s2
	v_add_co_ci_u32_e32 v141, vcc_lo, s3, v145, vcc_lo
	s_clause 0x1
	global_load_b128 v[1:4], v[142:143], off
	global_load_b128 v[5:8], v[142:143], off offset:16
	s_waitcnt vmcnt(24)
	v_wmma_f32_16x16x16_f16 v[132:139], v[25:32], v[116:123], v[132:139]
	s_clause 0x3
	global_load_b128 v[33:36], v[37:38], off
	global_load_b128 v[37:40], v[37:38], off offset:16
	global_load_b128 v[25:28], v[140:141], off
	global_load_b128 v[29:32], v[140:141], off offset:16
	s_waitcnt vmcnt(26)
	v_wmma_f32_16x16x16_f16 v[124:131], v[105:112], v[116:123], v[124:131]
	v_and_b32_e32 v106, 0xe0, v0
	v_mbcnt_lo_u32_b32 v107, -1, 0
	v_dual_mov_b32 v123, s11 :: v_dual_mov_b32 v122, s10
	v_dual_mov_b32 v121, s9 :: v_dual_mov_b32 v120, s8
	v_dual_mov_b32 v119, s7 :: v_dual_mov_b32 v118, s6
	v_dual_mov_b32 v117, s5 :: v_dual_mov_b32 v116, s4
	v_bfe_u32 v105, v0, 4, 1
	v_add_nc_u32_e32 v106, s12, v106
	v_xor_b32_e32 v108, 16, v107
	s_waitcnt vmcnt(0)
	v_wmma_f32_16x16x16_f16 v[132:139], v[97:104], v[116:123], v[132:139]
	v_dual_mov_b32 v104, s23 :: v_dual_mov_b32 v103, s22
	v_or_b32_e32 v106, v106, v105
	v_dual_mov_b32 v102, s21 :: v_dual_mov_b32 v101, s20
	v_dual_mov_b32 v100, s19 :: v_dual_mov_b32 v99, s18
	;; [unrolled: 1-line block ×3, first 2 shown]
	v_cmp_gt_i32_e32 vcc_lo, 32, v108
	v_wmma_f32_16x16x16_f16 v[124:131], v[89:96], v[116:123], v[124:131]
	v_or_b32_e32 v109, 4, v106
	v_or_b32_e32 v110, 6, v106
	v_wmma_f32_16x16x16_f16 v[132:139], v[81:88], v[97:104], v[132:139]
	v_cndmask_b32_e32 v107, v107, v108, vcc_lo
	v_or_b32_e32 v108, 2, v106
	v_wmma_f32_16x16x16_f16 v[124:131], v[73:80], v[97:104], v[124:131]
	v_cmp_gt_i32_e32 vcc_lo, s33, v106
	v_dual_mul_f32 v74, s35, v138 :: v_dual_mul_f32 v77, s35, v135
	v_dual_mul_f32 v80, s35, v132 :: v_dual_mul_f32 v79, s35, v133
	s_delay_alu instid0(VALU_DEP_4)
	v_mul_f32_e32 v84, s35, v131
	v_cmp_gt_i32_e64 s2, s33, v108
	v_or_b32_e32 v111, 8, v106
	v_or_b32_e32 v112, 10, v106
	v_dual_mul_f32 v75, s35, v137 :: v_dual_mul_f32 v78, s35, v134
	v_cndmask_b32_e32 v80, 0xff7fffff, v80, vcc_lo
	v_cndmask_b32_e64 v79, 0xff7fffff, v79, s2
	v_cmp_gt_i32_e64 s3, s33, v109
	v_cmp_gt_i32_e64 s4, s33, v110
	v_or_b32_e32 v89, 12, v106
	v_or_b32_e32 v90, 14, v106
	v_dual_mul_f32 v73, s35, v139 :: v_dual_mul_f32 v76, s35, v136
	v_cndmask_b32_e64 v78, 0xff7fffff, v78, s3
	v_cndmask_b32_e64 v77, 0xff7fffff, v77, s4
	v_max3_f32 v79, v80, 0xff7fffff, v79
	v_cmp_gt_i32_e64 s5, s33, v111
	v_cmp_gt_i32_e64 s6, s33, v112
	v_or_b32_e32 v91, 16, v106
	v_or_b32_e32 v92, 18, v106
	v_max3_f32 v77, v79, v78, v77
	v_cndmask_b32_e64 v76, 0xff7fffff, v76, s5
	v_cndmask_b32_e64 v75, 0xff7fffff, v75, s6
	v_cmp_gt_i32_e64 s7, s33, v89
	v_cmp_gt_i32_e64 s8, s33, v90
	v_or_b32_e32 v93, 20, v106
	v_or_b32_e32 v94, 22, v106
	v_or_b32_e32 v81, 26, v106
	v_dual_mul_f32 v96, s35, v126 :: v_dual_mul_f32 v97, s35, v125
	v_mul_f32_e32 v98, s35, v124
	v_cndmask_b32_e64 v74, 0xff7fffff, v74, s7
	v_cndmask_b32_e64 v73, 0xff7fffff, v73, s8
	v_max3_f32 v75, v77, v76, v75
	v_cmp_gt_i32_e64 s9, s33, v91
	v_cmp_gt_i32_e64 s10, s33, v92
	v_or_b32_e32 v95, 24, v106
	v_dual_mul_f32 v87, s35, v128 :: v_dual_mul_f32 v88, s35, v127
	v_max3_f32 v73, v75, v74, v73
	s_delay_alu instid0(VALU_DEP_4)
	v_cndmask_b32_e64 v77, 0xff7fffff, v97, s10
	v_cmp_gt_i32_e64 s11, s33, v93
	v_cmp_gt_i32_e64 s12, s33, v94
	;; [unrolled: 1-line block ×3, first 2 shown]
	v_lshlrev_b32_e32 v81, 2, v107
	v_cndmask_b32_e64 v76, 0xff7fffff, v98, s9
	v_or_b32_e32 v82, 28, v106
	v_or_b32_e32 v83, 30, v106
	v_dual_mul_f32 v85, s35, v130 :: v_dual_mul_f32 v86, s35, v129
	v_cndmask_b32_e64 v74, 0xff7fffff, v96, s11
	v_cndmask_b32_e64 v75, 0xff7fffff, v88, s12
	v_max3_f32 v73, v73, v76, v77
	v_cmp_gt_i32_e64 s13, s33, v95
	v_cndmask_b32_e64 v77, 0xff7fffff, v86, s16
	v_cmp_gt_i32_e64 s17, s33, v82
	v_cmp_gt_i32_e64 s18, s33, v83
	v_max3_f32 v73, v73, v74, v75
	v_cndmask_b32_e64 v76, 0xff7fffff, v87, s13
	s_barrier
	v_cndmask_b32_e64 v74, 0xff7fffff, v85, s17
	v_cndmask_b32_e64 v75, 0xff7fffff, v84, s18
	buffer_gl0_inv
	v_max3_f32 v73, v73, v76, v77
	s_delay_alu instid0(VALU_DEP_1) | instskip(SKIP_3) | instid1(VALU_DEP_1)
	v_max3_f32 v73, v73, v74, v75
	ds_bpermute_b32 v74, v81, v73
	s_waitcnt lgkmcnt(0)
	v_max_f32_e32 v74, v74, v74
	v_max_f32_e32 v73, v73, v74
	s_delay_alu instid0(VALU_DEP_1) | instskip(SKIP_4) | instid1(VALU_DEP_4)
	v_fma_f32 v74, s35, v132, -v73
	v_fma_f32 v77, s35, v135, -v73
	;; [unrolled: 1-line block ×5, first 2 shown]
	v_dual_mul_f32 v74, 0x3fb8aa3b, v74 :: v_dual_mul_f32 v79, 0x3fb8aa3b, v77
	s_delay_alu instid0(VALU_DEP_4) | instskip(SKIP_1) | instid1(VALU_DEP_3)
	v_mul_f32_e32 v75, 0x3fb8aa3b, v75
	v_fma_f32 v83, s35, v138, -v73
	v_exp_f32_e32 v74, v74
	v_mul_f32_e32 v76, 0x3fb8aa3b, v76
	s_delay_alu instid0(VALU_DEP_3) | instskip(SKIP_1) | instid1(TRANS32_DEP_3)
	v_exp_f32_e32 v75, v75
	v_exp_f32_e32 v82, v79
	v_cndmask_b32_e32 v77, 0, v74, vcc_lo
	s_delay_alu instid0(VALU_DEP_2) | instskip(SKIP_2) | instid1(TRANS32_DEP_3)
	v_exp_f32_e32 v80, v76
	v_fma_f32 v74, s35, v137, -v73
	v_mul_f32_e32 v78, 0x3fb8aa3b, v78
	v_cndmask_b32_e64 v76, 0, v75, s2
	s_delay_alu instid0(VALU_DEP_3) | instskip(NEXT) | instid1(VALU_DEP_3)
	v_dual_add_f32 v75, 0, v77 :: v_dual_mul_f32 v74, 0x3fb8aa3b, v74
	v_exp_f32_e32 v84, v78
	s_delay_alu instid0(TRANS32_DEP_3) | instskip(NEXT) | instid1(VALU_DEP_2)
	v_cndmask_b32_e64 v78, 0, v82, s4
	v_add_f32_e32 v75, v75, v76
	s_delay_alu instid0(TRANS32_DEP_2) | instskip(SKIP_4) | instid1(VALU_DEP_3)
	v_cndmask_b32_e64 v79, 0, v80, s3
	v_fma_f32 v80, s35, v139, -v73
	v_mul_f32_e32 v83, 0x3fb8aa3b, v83
	v_exp_f32_e32 v74, v74
	v_fma_f32 v82, s35, v124, -v73
	v_dual_add_f32 v75, v75, v79 :: v_dual_mul_f32 v80, 0x3fb8aa3b, v80
	s_delay_alu instid0(VALU_DEP_3) | instskip(SKIP_1) | instid1(VALU_DEP_3)
	v_exp_f32_e32 v83, v83
	v_cndmask_b32_e64 v87, 0, v84, s5
	v_mul_f32_e32 v82, 0x3fb8aa3b, v82
	v_fma_f32 v84, s35, v125, -v73
	v_exp_f32_e32 v85, v80
	v_add_f32_e32 v75, v75, v78
	s_delay_alu instid0(TRANS32_DEP_3)
	v_cndmask_b32_e64 v80, 0, v74, s6
	v_exp_f32_e32 v82, v82
	v_mul_f32_e32 v84, 0x3fb8aa3b, v84
	s_mov_b32 s3, exec_lo
	v_cndmask_b32_e64 v89, 0, v83, s7
	v_fma_f32 v83, s35, v127, -v73
	s_delay_alu instid0(VALU_DEP_3) | instskip(NEXT) | instid1(TRANS32_DEP_3)
	v_exp_f32_e32 v84, v84
	v_cndmask_b32_e64 v88, 0, v85, s8
	v_fma_f32 v85, s35, v128, -v73
	v_add_f32_e32 v74, v75, v87
	v_fma_f32 v75, s35, v126, -v73
	v_mul_f32_e32 v83, 0x3fb8aa3b, v83
	v_cndmask_b32_e64 v91, 0, v82, s9
	s_delay_alu instid0(VALU_DEP_4) | instskip(NEXT) | instid1(VALU_DEP_4)
	v_dual_mul_f32 v85, 0x3fb8aa3b, v85 :: v_dual_add_f32 v74, v74, v80
	v_mul_f32_e32 v75, 0x3fb8aa3b, v75
	s_delay_alu instid0(VALU_DEP_4)
	v_exp_f32_e32 v83, v83
	v_fma_f32 v82, s35, v129, -v73
	v_cndmask_b32_e64 v90, 0, v84, s10
	v_add_f32_e32 v74, v74, v89
	v_exp_f32_e32 v75, v75
	v_fma_f32 v84, s35, v130, -v73
	v_mul_f32_e32 v82, 0x3fb8aa3b, v82
	v_exp_f32_e32 v85, v85
	s_delay_alu instid0(TRANS32_DEP_3) | instskip(SKIP_3) | instid1(TRANS32_DEP_3)
	v_cndmask_b32_e64 v92, 0, v83, s12
	v_fma_f32 v83, s35, v131, -v73
	v_add_f32_e32 v74, v74, v88
	v_exp_f32_e32 v82, v82
	v_cndmask_b32_e64 v93, 0, v75, s11
	v_mul_f32_e32 v75, 0x3fb8aa3b, v84
	v_mul_f32_e32 v83, 0x3fb8aa3b, v83
	v_add_f32_e32 v74, v74, v91
	s_delay_alu instid0(TRANS32_DEP_2) | instskip(NEXT) | instid1(VALU_DEP_4)
	v_cndmask_b32_e64 v95, 0, v85, s13
	v_exp_f32_e32 v75, v75
	s_delay_alu instid0(VALU_DEP_2) | instskip(NEXT) | instid1(TRANS32_DEP_2)
	v_add_f32_e32 v74, v74, v90
	v_cndmask_b32_e64 v94, 0, v82, s16
	v_exp_f32_e32 v82, v83
	s_delay_alu instid0(VALU_DEP_2) | instskip(SKIP_4) | instid1(VALU_DEP_2)
	v_add_f32_e32 v74, v74, v93
	s_waitcnt_depctr 0xfff
	v_cndmask_b32_e64 v97, 0, v75, s17
	v_add_f32_e32 v74, v74, v92
	v_cndmask_b32_e64 v96, 0, v82, s18
	v_add_f32_e32 v74, v74, v95
	s_delay_alu instid0(VALU_DEP_1) | instskip(NEXT) | instid1(VALU_DEP_1)
	v_add_f32_e32 v74, v74, v94
	v_add_f32_e32 v74, v74, v97
	s_delay_alu instid0(VALU_DEP_1) | instskip(SKIP_2) | instid1(VALU_DEP_1)
	v_add_f32_e32 v74, v74, v96
	ds_bpermute_b32 v75, v81, v74
	v_and_b32_e32 v81, 31, v0
	v_cmp_lt_u32_e64 s2, 15, v81
	v_cmpx_gt_u32_e32 16, v81
	s_cbranch_execz .LBB170_11
; %bb.10:
	v_mul_u32_u24_e32 v81, 0x44, v115
	s_delay_alu instid0(VALU_DEP_1) | instskip(SKIP_1) | instid1(VALU_DEP_1)
	v_lshl_add_u32 v81, v113, 2, v81
	s_waitcnt lgkmcnt(0)
	v_dual_add_f32 v74, v74, v75 :: v_dual_add_nc_u32 v75, 0x4000, v81
	ds_store_2addr_b32 v75, v73, v74 offset1:136
.LBB170_11:
	s_or_b32 exec_lo, exec_lo, s3
	v_lshlrev_b32_e32 v73, 2, v113
	s_load_b64 s[36:37], s[0:1], 0x94
	s_waitcnt lgkmcnt(0)
	s_barrier
	buffer_gl0_inv
	v_add_nc_u32_e32 v73, 0x4000, v73
	v_cmp_eq_u32_e32 vcc_lo, 1, v115
	v_cmp_eq_u32_e64 s3, 2, v115
	v_cmp_eq_u32_e64 s4, 3, v115
	;; [unrolled: 1-line block ×3, first 2 shown]
	ds_load_2addr_b32 v[81:82], v73 offset1:17
	ds_load_2addr_b32 v[83:84], v73 offset0:34 offset1:51
	ds_load_2addr_b32 v[85:86], v73 offset0:68 offset1:85
	;; [unrolled: 1-line block ×4, first 2 shown]
	v_cmp_eq_u32_e64 s7, 5, v115
	v_cmp_eq_u32_e64 s5, 6, v115
	s_waitcnt lgkmcnt(4)
	v_max3_f32 v74, v81, 0xff7fffff, v82
	s_waitcnt lgkmcnt(3)
	s_delay_alu instid0(VALU_DEP_1) | instskip(SKIP_1) | instid1(VALU_DEP_1)
	v_max3_f32 v74, v74, v83, v84
	s_waitcnt lgkmcnt(2)
	v_max3_f32 v74, v74, v85, v86
	s_waitcnt lgkmcnt(1)
	s_delay_alu instid0(VALU_DEP_1) | instskip(NEXT) | instid1(VALU_DEP_1)
	v_max3_f32 v74, v74, v98, v99
	v_sub_f32_e32 v83, v83, v74
	v_sub_f32_e32 v75, v81, v74
	;; [unrolled: 1-line block ×3, first 2 shown]
	s_delay_alu instid0(VALU_DEP_3) | instskip(NEXT) | instid1(VALU_DEP_2)
	v_dual_sub_f32 v85, v85, v74 :: v_dual_mul_f32 v104, 0x3fb8aa3b, v83
	v_dual_mul_f32 v75, 0x3fb8aa3b, v75 :: v_dual_mul_f32 v102, 0x3fb8aa3b, v102
	s_delay_alu instid0(VALU_DEP_2) | instskip(NEXT) | instid1(VALU_DEP_1)
	v_exp_f32_e32 v104, v104
	v_exp_f32_e32 v103, v75
	v_sub_f32_e32 v75, v84, v74
	s_delay_alu instid0(VALU_DEP_2) | instskip(NEXT) | instid1(VALU_DEP_1)
	v_exp_f32_e32 v102, v102
	v_mul_f32_e32 v106, 0x3fb8aa3b, v75
	s_waitcnt lgkmcnt(0)
	s_waitcnt_depctr 0xfff
	v_fma_f32 v75, v103, v100, 0
	v_sub_f32_e32 v100, v86, v74
	ds_load_2addr_b32 v[81:82], v73 offset0:170 offset1:187
	v_exp_f32_e32 v106, v106
	ds_load_2addr_b32 v[83:84], v73 offset0:204 offset1:221
	v_fmac_f32_e32 v75, v102, v101
	s_waitcnt lgkmcnt(1)
	s_delay_alu instid0(VALU_DEP_1) | instskip(SKIP_1) | instid1(VALU_DEP_2)
	v_fmac_f32_e32 v75, v104, v81
	v_sub_f32_e32 v81, v99, v74
	v_dual_fmac_f32 v75, v106, v82 :: v_dual_lshlrev_b32 v82, 2, v105
	v_mul_f32_e32 v107, 0x3fb8aa3b, v85
	ds_load_2addr_b32 v[85:86], v73 offset0:238 offset1:255
	v_dual_sub_f32 v73, v98, v74 :: v_dual_mul_f32 v98, 0x3fb8aa3b, v100
	v_mul_f32_e32 v81, 0x3fb8aa3b, v81
	v_exp_f32_e32 v100, v107
	s_waitcnt lgkmcnt(0)
	s_delay_alu instid0(VALU_DEP_2)
	v_mul_f32_e32 v73, 0x3fb8aa3b, v73
	v_exp_f32_e32 v98, v98
	v_exp_f32_e32 v101, v81
	v_cndmask_b32_e32 v81, v103, v102, vcc_lo
	s_barrier
	v_exp_f32_e32 v99, v73
	buffer_gl0_inv
	v_cmp_eq_u32_e64 s8, 7, v82
	v_fmac_f32_e32 v75, v100, v83
	v_lshl_or_b32 v83, v115, 11, v114
	s_delay_alu instid0(VALU_DEP_2) | instskip(NEXT) | instid1(VALU_DEP_1)
	v_fmac_f32_e32 v75, v98, v84
	v_fmac_f32_e32 v75, v99, v85
	s_delay_alu instid0(VALU_DEP_1) | instskip(SKIP_1) | instid1(VALU_DEP_2)
	v_fmac_f32_e32 v75, v101, v86
	v_or_b32_e32 v86, 2, v82
	v_add_f32_e32 v107, 0x358637bd, v75
	s_delay_alu instid0(VALU_DEP_2)
	v_cmp_eq_u32_e64 s10, 1, v86
	v_cmp_eq_u32_e64 s16, 2, v86
	;; [unrolled: 1-line block ×4, first 2 shown]
	v_div_scale_f32 v108, null, v107, v107, 1.0
	v_div_scale_f32 v102, vcc_lo, 1.0, v107, 1.0
	v_cmp_eq_u32_e64 s24, 5, v86
	s_delay_alu instid0(VALU_DEP_3) | instskip(SKIP_4) | instid1(VALU_DEP_1)
	v_rcp_f32_e32 v109, v108
	v_cmp_eq_u32_e64 s27, 6, v86
	v_cmp_eq_u32_e64 s29, 7, v86
	s_waitcnt_depctr 0xfff
	v_fma_f32 v73, -v108, v109, 1.0
	v_fmac_f32_e32 v109, v73, v109
	v_cndmask_b32_e64 v73, v81, v104, s3
	v_cmp_eq_u32_e64 s3, 7, v115
	v_lshl_or_b32 v81, v105, 4, v83
	s_delay_alu instid0(VALU_DEP_4) | instskip(NEXT) | instid1(VALU_DEP_4)
	v_mul_f32_e32 v103, v102, v109
	v_cndmask_b32_e64 v73, v73, v106, s4
	v_cmp_eq_u32_e64 s4, 1, v82
	s_delay_alu instid0(VALU_DEP_3) | instskip(NEXT) | instid1(VALU_DEP_3)
	v_fma_f32 v84, -v108, v103, v102
	v_cndmask_b32_e64 v85, v73, v100, s6
	v_cmp_eq_u32_e64 s6, 4, v82
	v_mov_b32_e32 v73, 0
	s_delay_alu instid0(VALU_DEP_4) | instskip(NEXT) | instid1(VALU_DEP_4)
	v_fmac_f32_e32 v103, v84, v109
	v_cndmask_b32_e64 v98, v85, v98, s7
	v_or_b32_e32 v84, 1, v82
	v_or_b32_e32 v85, 3, v82
	v_cmp_eq_u32_e64 s7, 6, v82
	v_fma_f32 v100, -v108, v103, v102
	v_cndmask_b32_e64 v98, v98, v99, s5
	v_cmp_eq_u32_e64 s9, 1, v84
	v_cmp_eq_u32_e64 s11, 1, v85
	;; [unrolled: 1-line block ×3, first 2 shown]
	v_div_fmas_f32 v99, v100, v109, v103
	v_cndmask_b32_e64 v98, v98, v101, s3
	v_cmp_eq_u32_e32 vcc_lo, 2, v82
	v_cmp_eq_u32_e64 s17, 2, v85
	v_cmp_eq_u32_e64 s5, 3, v82
	v_div_fixup_f32 v99, v99, v107, 1.0
	v_cmp_eq_u32_e64 s13, 3, v84
	v_cmp_eq_u32_e64 s19, 3, v85
	;; [unrolled: 1-line block ×4, first 2 shown]
	v_mul_f32_e32 v102, v98, v99
	v_cmp_eq_u32_e64 s3, 5, v82
	v_cmp_eq_u32_e64 s21, 5, v84
	;; [unrolled: 1-line block ×4, first 2 shown]
	v_fma_mixlo_f16 v98, v102, v77, 0
	v_fma_mixlo_f16 v99, v102, v79, 0
	;; [unrolled: 1-line block ×8, first 2 shown]
	v_fma_mixhi_f16 v98, v102, v76, 0
	v_fma_mixhi_f16 v99, v102, v78, 0
	;; [unrolled: 1-line block ×8, first 2 shown]
	ds_store_b128 v81, v[98:101]
	ds_store_b128 v81, v[106:109] offset:1024
	s_waitcnt lgkmcnt(0)
	s_barrier
	buffer_gl0_inv
	ds_load_b128 v[76:79], v83
	ds_load_b128 v[87:90], v83 offset:16
	ds_load_b128 v[91:94], v83 offset:1024
	;; [unrolled: 1-line block ×3, first 2 shown]
	v_cmp_eq_u32_e64 s28, 6, v85
	v_cmp_eq_u32_e64 s30, 7, v85
	v_cmp_eq_u32_e64 s31, 7, v84
	s_waitcnt lgkmcnt(3)
	v_lshrrev_b32_e32 v80, 16, v76
	s_waitcnt lgkmcnt(2)
	v_lshrrev_b32_e32 v102, 16, v87
	;; [unrolled: 2-line block ×4, first 2 shown]
	v_lshrrev_b32_e32 v99, 16, v77
	v_cndmask_b32_e64 v117, v76, v80, s4
	v_cndmask_b32_e64 v118, v87, v102, s4
	;; [unrolled: 1-line block ×7, first 2 shown]
	v_lshrrev_b32_e32 v103, 16, v88
	v_cndmask_b32_e64 v122, v87, v102, s10
	v_cndmask_b32_e64 v87, v91, v107, s4
	;; [unrolled: 1-line block ×9, first 2 shown]
	v_cndmask_b32_e32 v107, v117, v77, vcc_lo
	v_cndmask_b32_e32 v111, v118, v88, vcc_lo
	v_cndmask_b32_e64 v117, v119, v77, s12
	v_cndmask_b32_e64 v118, v120, v88, s12
	;; [unrolled: 1-line block ×5, first 2 shown]
	v_lshrrev_b32_e32 v108, 16, v92
	v_lshrrev_b32_e32 v112, 16, v96
	v_cndmask_b32_e64 v120, v122, v88, s16
	v_cndmask_b32_e32 v80, v87, v92, vcc_lo
	v_cndmask_b32_e32 v87, v102, v96, vcc_lo
	v_cndmask_b32_e64 v88, v123, v92, s12
	v_cndmask_b32_e64 v102, v125, v92, s16
	;; [unrolled: 1-line block ×10, first 2 shown]
	v_lshrrev_b32_e32 v100, 16, v78
	v_lshrrev_b32_e32 v104, 16, v89
	v_cndmask_b32_e64 v118, v119, v99, s18
	v_cndmask_b32_e64 v119, v120, v103, s18
	;; [unrolled: 1-line block ×11, first 2 shown]
	v_lshrrev_b32_e32 v109, 16, v93
	v_cndmask_b32_e64 v111, v118, v78, s22
	v_cndmask_b32_e64 v117, v119, v89, s22
	;; [unrolled: 1-line block ×11, first 2 shown]
	v_lshrrev_b32_e32 v101, 16, v79
	v_lshrrev_b32_e32 v106, 16, v90
	v_cndmask_b32_e64 v103, v111, v100, s24
	v_cndmask_b32_e64 v107, v117, v104, s24
	;; [unrolled: 1-line block ×9, first 2 shown]
	v_lshrrev_b32_e32 v110, 16, v94
	v_cndmask_b32_e64 v78, v78, v109, s3
	v_cndmask_b32_e64 v100, v103, v79, s27
	;; [unrolled: 1-line block ×14, first 2 shown]
	v_perm_b32 v79, v77, v76, 0x5040100
	v_perm_b32 v77, v99, v89, 0x5040100
	v_cndmask_b32_e64 v76, v126, v96, s16
	v_cndmask_b32_e64 v89, v124, v96, s12
	;; [unrolled: 1-line block ×3, first 2 shown]
	v_perm_b32 v78, v95, v90, 0x5040100
	v_cndmask_b32_e64 v90, v102, v108, s18
	v_cndmask_b32_e64 v91, v91, v108, s19
	;; [unrolled: 1-line block ×5, first 2 shown]
	v_lshrrev_b32_e32 v115, 16, v97
	v_cndmask_b32_e64 v90, v90, v93, s22
	v_cndmask_b32_e64 v91, v91, v93, s23
	;; [unrolled: 1-line block ×11, first 2 shown]
	v_lshrrev_b32_e32 v116, 16, v98
	v_cndmask_b32_e64 v80, v80, v98, s7
	v_cndmask_b32_e64 v90, v90, v94, s27
	;; [unrolled: 1-line block ×12, first 2 shown]
	v_perm_b32 v76, v88, v87, 0x5040100
	v_perm_b32 v90, v91, v90, 0x5040100
	;; [unrolled: 1-line block ×5, first 2 shown]
	s_mov_b32 s3, exec_lo
	ds_store_b128 v81, v[76:79]
	ds_store_b128 v81, v[87:90] offset:1024
	v_cmpx_eq_u32_e32 0, v0
	s_cbranch_execz .LBB170_13
; %bb.12:
	s_load_b128 s[4:7], s[0:1], 0x58
	s_mul_i32 s8, s37, s34
	s_delay_alu instid0(SALU_CYCLE_1) | instskip(NEXT) | instid1(SALU_CYCLE_1)
	s_add_i32 s8, s8, s15
	s_mul_i32 s8, s8, s36
	s_delay_alu instid0(SALU_CYCLE_1) | instskip(NEXT) | instid1(SALU_CYCLE_1)
	s_add_i32 s8, s8, s14
	s_ashr_i32 s9, s8, 31
	s_delay_alu instid0(SALU_CYCLE_1)
	s_lshl_b64 s[8:9], s[8:9], 2
	s_waitcnt lgkmcnt(0)
	s_add_u32 s6, s6, s8
	s_addc_u32 s7, s7, s9
	s_add_u32 s4, s4, s8
	s_addc_u32 s5, s5, s9
	s_clause 0x1
	global_store_b32 v73, v74, s[6:7]
	global_store_b32 v73, v75, s[4:5]
.LBB170_13:
	s_or_b32 exec_lo, exec_lo, s3
	s_waitcnt lgkmcnt(0)
	s_waitcnt_vscnt null, 0x0
	s_barrier
	buffer_gl0_inv
	ds_load_b128 v[87:90], v114
	ds_load_b128 v[91:94], v114 offset:16
	ds_load_b128 v[99:102], v114 offset:1040
	;; [unrolled: 1-line block ×5, first 2 shown]
	v_mov_b32_e32 v74, v73
	v_mov_b32_e32 v75, v73
	;; [unrolled: 1-line block ×7, first 2 shown]
	ds_load_b128 v[127:130], v114 offset:3088
	ds_load_b128 v[123:126], v114 offset:3072
	ds_load_b128 v[135:138], v114 offset:4112
	ds_load_b128 v[131:134], v114 offset:4096
	v_cmp_eq_u32_e32 vcc_lo, 1, v86
	v_cmp_eq_u32_e64 s3, 1, v82
	v_cmp_eq_u32_e64 s4, 1, v85
	;; [unrolled: 1-line block ×4, first 2 shown]
	s_waitcnt lgkmcnt(8)
	v_wmma_f32_16x16x16_f16 v[73:80], v[65:72], v[87:94], v[73:80]
	ds_load_b128 v[69:72], v114 offset:5136
	ds_load_b128 v[65:68], v114 offset:5120
	;; [unrolled: 1-line block ×4, first 2 shown]
	s_waitcnt lgkmcnt(10)
	v_wmma_f32_16x16x16_f16 v[73:80], v[57:64], v[95:102], v[73:80]
	s_waitcnt lgkmcnt(8)
	s_delay_alu instid0(VALU_DEP_1)
	v_wmma_f32_16x16x16_f16 v[73:80], v[57:64], v[115:122], v[73:80]
	ds_load_b128 v[61:64], v114 offset:7184
	ds_load_b128 v[57:60], v114 offset:7168
	;; [unrolled: 1-line block ×4, first 2 shown]
	s_waitcnt lgkmcnt(10)
	v_wmma_f32_16x16x16_f16 v[73:80], v[49:56], v[123:130], v[73:80]
	s_waitcnt lgkmcnt(8)
	s_delay_alu instid0(VALU_DEP_1)
	v_wmma_f32_16x16x16_f16 v[73:80], v[49:56], v[131:138], v[73:80]
	ds_load_b128 v[53:56], v114 offset:9232
	ds_load_b128 v[49:52], v114 offset:9216
	s_waitcnt lgkmcnt(8)
	v_wmma_f32_16x16x16_f16 v[73:80], v[41:48], v[65:72], v[73:80]
	ds_load_b128 v[69:72], v114 offset:10256
	ds_load_b128 v[65:68], v114 offset:10240
	s_waitcnt lgkmcnt(8)
	;; [unrolled: 4-line block ×7, first 2 shown]
	s_barrier
	buffer_gl0_inv
	v_wmma_f32_16x16x16_f16 v[73:80], v[1:8], v[41:48], v[73:80]
	s_delay_alu instid0(VALU_DEP_1) | instskip(NEXT) | instid1(VALU_DEP_1)
	v_wmma_f32_16x16x16_f16 v[73:80], v[1:8], v[57:64], v[73:80]
	v_wmma_f32_16x16x16_f16 v[73:80], v[33:40], v[17:24], v[73:80]
	s_delay_alu instid0(VALU_DEP_1) | instskip(NEXT) | instid1(VALU_DEP_1)
	v_wmma_f32_16x16x16_f16 v[73:80], v[33:40], v[49:56], v[73:80]
	v_wmma_f32_16x16x16_f16 v[73:80], v[25:32], v[9:16], v[73:80]
	s_delay_alu instid0(VALU_DEP_1) | instskip(NEXT) | instid1(VALU_DEP_2)
	v_cvt_f16_f32_e32 v1, v73
	v_cvt_f16_f32_e32 v2, v74
	s_delay_alu instid0(VALU_DEP_3) | instskip(NEXT) | instid1(VALU_DEP_4)
	v_cvt_f16_f32_e32 v3, v75
	v_cvt_f16_f32_e32 v4, v76
	;; [unrolled: 1-line block ×6, first 2 shown]
	v_pack_b32_f16 v1, v1, v2
	v_pack_b32_f16 v2, v3, v4
	;; [unrolled: 1-line block ×3, first 2 shown]
	s_delay_alu instid0(VALU_DEP_4)
	v_pack_b32_f16 v4, v7, v8
	ds_store_b128 v81, v[1:4]
	s_waitcnt lgkmcnt(0)
	s_barrier
	buffer_gl0_inv
	ds_load_b128 v[1:4], v83
	ds_load_b128 v[5:8], v83 offset:16
	s_waitcnt lgkmcnt(1)
	v_lshrrev_b32_e32 v9, 16, v1
	s_waitcnt lgkmcnt(0)
	v_lshrrev_b32_e32 v13, 16, v5
	v_lshrrev_b32_e32 v15, 16, v7
	;; [unrolled: 1-line block ×4, first 2 shown]
	v_cndmask_b32_e64 v17, v1, v9, s3
	v_cndmask_b32_e64 v18, v5, v13, s3
	;; [unrolled: 1-line block ×3, first 2 shown]
	v_cmp_eq_u32_e64 s3, 2, v84
	v_cndmask_b32_e64 v20, v5, v13, s5
	v_cndmask_b32_e32 v21, v1, v9, vcc_lo
	v_cndmask_b32_e32 v22, v5, v13, vcc_lo
	v_cndmask_b32_e64 v1, v1, v9, s4
	v_cndmask_b32_e64 v5, v5, v13, s4
	v_cmp_eq_u32_e32 vcc_lo, 2, v86
	v_cmp_eq_u32_e64 s4, 2, v85
	v_cndmask_b32_e64 v9, v17, v2, s6
	v_cndmask_b32_e64 v13, v18, v6, s6
	v_cndmask_b32_e64 v17, v19, v2, s3
	v_cndmask_b32_e64 v18, v20, v6, s3
	v_cndmask_b32_e32 v19, v21, v2, vcc_lo
	v_cmp_eq_u32_e64 s3, 3, v86
	v_cndmask_b32_e32 v20, v22, v6, vcc_lo
	v_cndmask_b32_e64 v1, v1, v2, s4
	v_cmp_eq_u32_e32 vcc_lo, 3, v85
	v_cmp_eq_u32_e64 s5, 3, v82
	v_cndmask_b32_e64 v2, v5, v6, s4
	v_cmp_eq_u32_e64 s4, 3, v84
	v_lshrrev_b32_e32 v16, 16, v8
	v_cmp_eq_u32_e64 s6, 4, v82
	v_cndmask_b32_e64 v5, v9, v10, s5
	v_cndmask_b32_e64 v6, v13, v14, s5
	;; [unrolled: 1-line block ×3, first 2 shown]
	v_cmp_eq_u32_e64 s5, 4, v84
	v_cndmask_b32_e64 v13, v18, v14, s4
	v_cndmask_b32_e64 v17, v19, v10, s3
	v_cndmask_b32_e64 v18, v20, v14, s3
	v_cndmask_b32_e32 v1, v1, v10, vcc_lo
	v_cndmask_b32_e32 v2, v2, v14, vcc_lo
	v_cmp_eq_u32_e32 vcc_lo, 4, v86
	v_cmp_eq_u32_e64 s4, 4, v85
	v_lshrrev_b32_e32 v11, 16, v3
	v_cndmask_b32_e64 v5, v5, v3, s6
	v_cndmask_b32_e64 v6, v6, v7, s6
	;; [unrolled: 1-line block ×4, first 2 shown]
	v_cndmask_b32_e32 v13, v17, v3, vcc_lo
	v_cmp_eq_u32_e64 s3, 5, v86
	v_cndmask_b32_e32 v14, v18, v7, vcc_lo
	v_cndmask_b32_e64 v1, v1, v3, s4
	v_cmp_eq_u32_e32 vcc_lo, 5, v85
	v_cmp_eq_u32_e64 s5, 5, v82
	v_cndmask_b32_e64 v2, v2, v7, s4
	v_cmp_eq_u32_e64 s4, 5, v84
	v_cmp_eq_u32_e64 s6, 6, v82
	v_cndmask_b32_e32 v1, v1, v11, vcc_lo
	v_cndmask_b32_e64 v3, v5, v11, s5
	v_cndmask_b32_e64 v5, v6, v15, s5
	;; [unrolled: 1-line block ×6, first 2 shown]
	v_cndmask_b32_e32 v2, v2, v15, vcc_lo
	v_cmp_eq_u32_e32 vcc_lo, 6, v86
	v_cmp_eq_u32_e64 s3, 6, v85
	v_cmp_eq_u32_e64 s5, 6, v84
	v_lshrrev_b32_e32 v12, 16, v4
	v_cndmask_b32_e64 v3, v3, v4, s6
	v_cndmask_b32_e64 v5, v5, v8, s6
	v_cndmask_b32_e32 v9, v9, v4, vcc_lo
	v_cndmask_b32_e32 v10, v10, v8, vcc_lo
	v_cndmask_b32_e64 v1, v1, v4, s3
	v_cmp_eq_u32_e32 vcc_lo, 7, v85
	v_cndmask_b32_e64 v2, v2, v8, s3
	v_cmp_eq_u32_e64 s3, 7, v82
	v_cndmask_b32_e64 v6, v6, v4, s5
	v_cndmask_b32_e64 v7, v7, v8, s5
	v_cmp_eq_u32_e64 s4, 7, v86
	v_cndmask_b32_e32 v2, v2, v16, vcc_lo
	v_cmp_eq_u32_e64 s5, 7, v84
	v_cndmask_b32_e64 v8, v3, v12, s3
	v_cndmask_b32_e32 v1, v1, v12, vcc_lo
	v_cndmask_b32_e64 v5, v5, v16, s3
	v_cmp_lt_u32_e32 vcc_lo, 31, v0
	v_cmp_lt_u32_e64 s3, 7, v113
	v_cndmask_b32_e64 v6, v6, v12, s5
	v_cndmask_b32_e64 v3, v9, v12, s4
	;; [unrolled: 1-line block ×4, first 2 shown]
	s_or_b32 s3, vcc_lo, s3
	v_perm_b32 v4, v2, v1, 0x5040100
	v_perm_b32 v1, v5, v8, 0x5040100
	;; [unrolled: 1-line block ×4, first 2 shown]
	s_or_b32 s2, s2, s3
	s_delay_alu instid0(SALU_CYCLE_1)
	s_xor_b32 s2, s2, -1
	ds_store_b128 v81, v[1:4]
	s_waitcnt lgkmcnt(0)
	s_barrier
	buffer_gl0_inv
	s_and_saveexec_b32 s3, s2
	s_cbranch_execz .LBB170_2
; %bb.14:
	s_load_b64 s[0:1], s[0:1], 0x68
	v_lshlrev_b32_e32 v1, 10, v0
	v_and_b32_e32 v0, 1, v0
	v_lshlrev_b32_e32 v2, 6, v105
	s_lshl_b32 s4, s36, 6
	v_lshlrev_b32_e32 v4, 3, v113
	v_and_b32_e32 v1, 0x3800, v1
	v_lshlrev_b32_e32 v0, 4, v0
	s_mul_i32 s2, s4, s34
	s_delay_alu instid0(SALU_CYCLE_1) | instskip(SKIP_1) | instid1(VALU_DEP_2)
	s_mul_i32 s2, s2, s37
	v_lshlrev_b32_e32 v4, 1, v4
	v_or3_b32 v0, v1, v2, v0
	s_ashr_i32 s3, s2, 31
	s_delay_alu instid0(SALU_CYCLE_1)
	s_lshl_b64 s[2:3], s[2:3], 1
	ds_load_b128 v[0:3], v0
	s_waitcnt lgkmcnt(0)
	s_add_u32 s5, s0, s2
	s_addc_u32 s3, s1, s3
	s_lshl_b32 s0, s14, 6
	s_mul_i32 s2, s4, s15
	s_ashr_i32 s1, s0, 31
	s_delay_alu instid0(SALU_CYCLE_1) | instskip(NEXT) | instid1(SALU_CYCLE_1)
	s_lshl_b64 s[0:1], s[0:1], 1
	s_add_u32 s4, s5, s0
	s_addc_u32 s5, s3, s1
	s_ashr_i32 s3, s2, 31
	s_delay_alu instid0(SALU_CYCLE_1) | instskip(NEXT) | instid1(SALU_CYCLE_1)
	s_lshl_b64 s[0:1], s[2:3], 1
	s_add_u32 s0, s4, s0
	s_addc_u32 s1, s5, s1
	global_store_b128 v4, v[0:3], s[0:1]
	s_nop 0
	s_sendmsg sendmsg(MSG_DEALLOC_VGPRS)
	s_endpgm
	.section	.rodata,"a",@progbits
	.p2align	6, 0x0
	.amdhsa_kernel _Z39paged_attention_ll4mi_QKV_mfma16_kernelIDF16_DF16_LN4vllm18Fp8KVCacheDataTypeE0EDF16_Li32ELi64ELi256ELb1ELi1EL8MFMAType0EEvPKT_PKT0_S8_ifPKiSA_SA_iPKfiiiPfSD_PS3_PT2_iSC_SC_
		.amdhsa_group_segment_fixed_size 17472
		.amdhsa_private_segment_fixed_size 0
		.amdhsa_kernarg_size 400
		.amdhsa_user_sgpr_count 13
		.amdhsa_user_sgpr_dispatch_ptr 0
		.amdhsa_user_sgpr_queue_ptr 0
		.amdhsa_user_sgpr_kernarg_segment_ptr 1
		.amdhsa_user_sgpr_dispatch_id 0
		.amdhsa_user_sgpr_private_segment_size 0
		.amdhsa_wavefront_size32 1
		.amdhsa_uses_dynamic_stack 0
		.amdhsa_enable_private_segment 0
		.amdhsa_system_sgpr_workgroup_id_x 1
		.amdhsa_system_sgpr_workgroup_id_y 1
		.amdhsa_system_sgpr_workgroup_id_z 1
		.amdhsa_system_sgpr_workgroup_info 0
		.amdhsa_system_vgpr_workitem_id 0
		.amdhsa_next_free_vgpr 146
		.amdhsa_next_free_sgpr 69
		.amdhsa_reserve_vcc 1
		.amdhsa_float_round_mode_32 0
		.amdhsa_float_round_mode_16_64 0
		.amdhsa_float_denorm_mode_32 3
		.amdhsa_float_denorm_mode_16_64 3
		.amdhsa_dx10_clamp 1
		.amdhsa_ieee_mode 1
		.amdhsa_fp16_overflow 0
		.amdhsa_workgroup_processor_mode 1
		.amdhsa_memory_ordered 1
		.amdhsa_forward_progress 0
		.amdhsa_shared_vgpr_count 0
		.amdhsa_exception_fp_ieee_invalid_op 0
		.amdhsa_exception_fp_denorm_src 0
		.amdhsa_exception_fp_ieee_div_zero 0
		.amdhsa_exception_fp_ieee_overflow 0
		.amdhsa_exception_fp_ieee_underflow 0
		.amdhsa_exception_fp_ieee_inexact 0
		.amdhsa_exception_int_div_zero 0
	.end_amdhsa_kernel
	.section	.text._Z39paged_attention_ll4mi_QKV_mfma16_kernelIDF16_DF16_LN4vllm18Fp8KVCacheDataTypeE0EDF16_Li32ELi64ELi256ELb1ELi1EL8MFMAType0EEvPKT_PKT0_S8_ifPKiSA_SA_iPKfiiiPfSD_PS3_PT2_iSC_SC_,"axG",@progbits,_Z39paged_attention_ll4mi_QKV_mfma16_kernelIDF16_DF16_LN4vllm18Fp8KVCacheDataTypeE0EDF16_Li32ELi64ELi256ELb1ELi1EL8MFMAType0EEvPKT_PKT0_S8_ifPKiSA_SA_iPKfiiiPfSD_PS3_PT2_iSC_SC_,comdat
.Lfunc_end170:
	.size	_Z39paged_attention_ll4mi_QKV_mfma16_kernelIDF16_DF16_LN4vllm18Fp8KVCacheDataTypeE0EDF16_Li32ELi64ELi256ELb1ELi1EL8MFMAType0EEvPKT_PKT0_S8_ifPKiSA_SA_iPKfiiiPfSD_PS3_PT2_iSC_SC_, .Lfunc_end170-_Z39paged_attention_ll4mi_QKV_mfma16_kernelIDF16_DF16_LN4vllm18Fp8KVCacheDataTypeE0EDF16_Li32ELi64ELi256ELb1ELi1EL8MFMAType0EEvPKT_PKT0_S8_ifPKiSA_SA_iPKfiiiPfSD_PS3_PT2_iSC_SC_
                                        ; -- End function
	.section	.AMDGPU.csdata,"",@progbits
; Kernel info:
; codeLenInByte = 6924
; NumSgprs: 71
; NumVgprs: 146
; ScratchSize: 0
; MemoryBound: 1
; FloatMode: 240
; IeeeMode: 1
; LDSByteSize: 17472 bytes/workgroup (compile time only)
; SGPRBlocks: 8
; VGPRBlocks: 18
; NumSGPRsForWavesPerEU: 71
; NumVGPRsForWavesPerEU: 146
; Occupancy: 9
; WaveLimiterHint : 1
; COMPUTE_PGM_RSRC2:SCRATCH_EN: 0
; COMPUTE_PGM_RSRC2:USER_SGPR: 13
; COMPUTE_PGM_RSRC2:TRAP_HANDLER: 0
; COMPUTE_PGM_RSRC2:TGID_X_EN: 1
; COMPUTE_PGM_RSRC2:TGID_Y_EN: 1
; COMPUTE_PGM_RSRC2:TGID_Z_EN: 1
; COMPUTE_PGM_RSRC2:TIDIG_COMP_CNT: 0
	.section	.text._Z39paged_attention_ll4mi_QKV_mfma16_kernelIDF16_DF16_LN4vllm18Fp8KVCacheDataTypeE0EDF16_Li32ELi64ELi256ELb1ELi2EL8MFMAType0EEvPKT_PKT0_S8_ifPKiSA_SA_iPKfiiiPfSD_PS3_PT2_iSC_SC_,"axG",@progbits,_Z39paged_attention_ll4mi_QKV_mfma16_kernelIDF16_DF16_LN4vllm18Fp8KVCacheDataTypeE0EDF16_Li32ELi64ELi256ELb1ELi2EL8MFMAType0EEvPKT_PKT0_S8_ifPKiSA_SA_iPKfiiiPfSD_PS3_PT2_iSC_SC_,comdat
	.protected	_Z39paged_attention_ll4mi_QKV_mfma16_kernelIDF16_DF16_LN4vllm18Fp8KVCacheDataTypeE0EDF16_Li32ELi64ELi256ELb1ELi2EL8MFMAType0EEvPKT_PKT0_S8_ifPKiSA_SA_iPKfiiiPfSD_PS3_PT2_iSC_SC_ ; -- Begin function _Z39paged_attention_ll4mi_QKV_mfma16_kernelIDF16_DF16_LN4vllm18Fp8KVCacheDataTypeE0EDF16_Li32ELi64ELi256ELb1ELi2EL8MFMAType0EEvPKT_PKT0_S8_ifPKiSA_SA_iPKfiiiPfSD_PS3_PT2_iSC_SC_
	.globl	_Z39paged_attention_ll4mi_QKV_mfma16_kernelIDF16_DF16_LN4vllm18Fp8KVCacheDataTypeE0EDF16_Li32ELi64ELi256ELb1ELi2EL8MFMAType0EEvPKT_PKT0_S8_ifPKiSA_SA_iPKfiiiPfSD_PS3_PT2_iSC_SC_
	.p2align	8
	.type	_Z39paged_attention_ll4mi_QKV_mfma16_kernelIDF16_DF16_LN4vllm18Fp8KVCacheDataTypeE0EDF16_Li32ELi64ELi256ELb1ELi2EL8MFMAType0EEvPKT_PKT0_S8_ifPKiSA_SA_iPKfiiiPfSD_PS3_PT2_iSC_SC_,@function
_Z39paged_attention_ll4mi_QKV_mfma16_kernelIDF16_DF16_LN4vllm18Fp8KVCacheDataTypeE0EDF16_Li32ELi64ELi256ELb1ELi2EL8MFMAType0EEvPKT_PKT0_S8_ifPKiSA_SA_iPKfiiiPfSD_PS3_PT2_iSC_SC_: ; @_Z39paged_attention_ll4mi_QKV_mfma16_kernelIDF16_DF16_LN4vllm18Fp8KVCacheDataTypeE0EDF16_Li32ELi64ELi256ELb1ELi2EL8MFMAType0EEvPKT_PKT0_S8_ifPKiSA_SA_iPKfiiiPfSD_PS3_PT2_iSC_SC_
; %bb.0:
	s_load_b64 s[2:3], s[0:1], 0x30
	s_mov_b32 s30, s13
	s_waitcnt lgkmcnt(0)
	s_cmp_lg_u64 s[2:3], 0
	s_cselect_b32 s6, -1, 0
	s_ashr_i32 s31, s13, 31
	s_cmp_eq_u64 s[2:3], 0
	s_cbranch_scc1 .LBB171_3
; %bb.1:
	s_lshl_b64 s[4:5], s[30:31], 2
	s_delay_alu instid0(SALU_CYCLE_1) | instskip(SKIP_4) | instid1(SALU_CYCLE_1)
	s_add_u32 s4, s2, s4
	s_addc_u32 s5, s3, s5
	s_load_b64 s[4:5], s[4:5], 0x0
	s_waitcnt lgkmcnt(0)
	s_sub_i32 s4, s5, s4
	s_cmp_eq_u32 s4, 1
	s_cselect_b32 s4, -1, 0
	s_delay_alu instid0(SALU_CYCLE_1)
	s_and_not1_b32 vcc_lo, exec_lo, s4
	s_cbranch_vccz .LBB171_4
.LBB171_2:
	s_endpgm
.LBB171_3:
.LBB171_4:
	s_load_b64 s[8:9], s[0:1], 0x28
	s_lshl_b64 s[4:5], s[30:31], 2
	s_waitcnt lgkmcnt(0)
	s_add_u32 s8, s8, s4
	s_addc_u32 s9, s9, s5
	s_lshl_b32 s16, s14, 8
	s_load_b32 s17, s[8:9], 0x0
	s_waitcnt lgkmcnt(0)
	s_cmp_ge_i32 s16, s17
	s_cbranch_scc1 .LBB171_2
; %bb.5:
	s_and_not1_b32 vcc_lo, exec_lo, s6
	s_cbranch_vccnz .LBB171_7
; %bb.6:
	s_add_u32 s2, s2, s4
	s_addc_u32 s3, s3, s5
	s_load_b32 s3, s[2:3], 0x0
	s_branch .LBB171_8
.LBB171_7:
	s_mov_b32 s3, s30
.LBB171_8:
	s_clause 0x2
	s_load_b128 s[8:11], s[0:1], 0x8
	s_load_b64 s[12:13], s[0:1], 0x20
	s_load_b128 s[4:7], s[0:1], 0x48
	v_and_b32_e32 v80, 15, v0
	v_cmp_gt_u32_e32 vcc_lo, 32, v0
	v_bfe_u32 v78, v0, 4, 1
	s_lshl_b32 s33, s15, 1
	s_delay_alu instid0(VALU_DEP_3) | instskip(SKIP_1) | instid1(VALU_DEP_2)
	v_cmp_gt_u32_e64 s2, 8, v80
	v_lshlrev_b32_e32 v1, 3, v80
	s_and_b32 s31, vcc_lo, s2
	s_delay_alu instid0(SALU_CYCLE_1) | instskip(SKIP_2) | instid1(SALU_CYCLE_1)
	s_xor_b32 s2, s31, -1
	s_waitcnt lgkmcnt(0)
	s_and_saveexec_b32 s7, s2
	s_xor_b32 s2, exec_lo, s7
; %bb.9:
	v_mov_b32_e32 v2, 0
; %bb.10:
	s_or_saveexec_b32 s2, s2
	v_and_b32_e32 v81, 31, v0
	v_and_b32_e32 v77, 1, v0
	v_or_b32_e32 v76, s33, v78
	v_lshlrev_b32_e32 v75, 6, v78
	s_xor_b32 exec_lo, exec_lo, s2
	s_cbranch_execz .LBB171_12
; %bb.11:
	s_load_b64 s[18:19], s[0:1], 0x0
	v_lshlrev_b32_e32 v2, 6, v76
	s_mul_hi_i32 s21, s3, s4
	s_mul_i32 s20, s3, s4
	v_lshlrev_b32_e32 v4, 1, v1
	s_lshl_b64 s[20:21], s[20:21], 1
	v_ashrrev_i32_e32 v3, 31, v2
	v_lshlrev_b32_e32 v7, 10, v77
	s_delay_alu instid0(VALU_DEP_2) | instskip(SKIP_3) | instid1(VALU_DEP_1)
	v_lshlrev_b64 v[2:3], 1, v[2:3]
	s_waitcnt lgkmcnt(0)
	s_add_u32 s3, s18, s20
	s_addc_u32 s4, s19, s21
	v_add_co_u32 v2, vcc_lo, s3, v2
	s_delay_alu instid0(VALU_DEP_2) | instskip(NEXT) | instid1(VALU_DEP_2)
	v_add_co_ci_u32_e32 v3, vcc_lo, s4, v3, vcc_lo
	v_add_co_u32 v2, vcc_lo, v2, v4
	s_delay_alu instid0(VALU_DEP_2) | instskip(SKIP_2) | instid1(VALU_DEP_1)
	v_add_co_ci_u32_e32 v3, vcc_lo, 0, v3, vcc_lo
	global_load_b128 v[3:6], v[2:3], off
	v_lshlrev_b32_e32 v2, 10, v80
	v_and_b32_e32 v2, 0x3800, v2
	s_delay_alu instid0(VALU_DEP_1)
	v_or3_b32 v7, v2, v7, v75
	v_mov_b32_e32 v2, 0
	s_waitcnt vmcnt(0)
	ds_store_b128 v7, v[3:6]
.LBB171_12:
	s_or_b32 exec_lo, exec_lo, s2
	v_and_b32_e32 v3, 0xef, v0
	s_add_i32 s3, s17, 31
	s_clause 0x1
	s_load_b32 s2, s[0:1], 0x38
	s_load_b32 s34, s[0:1], 0x98
	s_ashr_i32 s4, s3, 31
	v_add_nc_u32_e32 v3, s16, v3
	s_lshr_b32 s4, s4, 27
	s_load_b32 s18, s[0:1], 0x1c
	s_add_i32 s3, s3, s4
	s_waitcnt lgkmcnt(0)
	v_ashrrev_i32_e32 v4, 31, v3
	v_cmp_gt_i32_e32 vcc_lo, s17, v3
	s_ashr_i32 s4, s3, 5
	s_barrier
	s_add_i32 s4, s4, -1
	v_lshrrev_b32_e32 v5, 27, v4
	v_or_b32_e32 v4, 16, v3
	buffer_gl0_inv
	v_lshlrev_b64 v[73:74], 1, v[1:2]
	v_lshrrev_b32_e32 v82, 5, v0
	v_add_nc_u32_e32 v6, v3, v5
	v_add_nc_u32_e32 v5, v4, v5
	s_mul_i32 s2, s30, s2
	s_delay_alu instid0(SALU_CYCLE_1) | instskip(NEXT) | instid1(VALU_DEP_2)
	s_ashr_i32 s3, s2, 31
	v_ashrrev_i32_e32 v6, 5, v6
	s_delay_alu instid0(VALU_DEP_2) | instskip(SKIP_1) | instid1(SALU_CYCLE_1)
	v_ashrrev_i32_e32 v5, 5, v5
	s_lshl_b64 s[2:3], s[2:3], 2
	s_add_u32 s19, s12, s2
	s_delay_alu instid0(VALU_DEP_2) | instskip(SKIP_3) | instid1(SALU_CYCLE_1)
	v_cndmask_b32_e32 v3, s4, v6, vcc_lo
	v_cmp_gt_i32_e32 vcc_lo, s17, v4
	s_addc_u32 s35, s13, s3
	s_mul_i32 s2, s15, s6
	s_ashr_i32 s3, s2, 31
	v_cndmask_b32_e32 v5, s4, v5, vcc_lo
	v_ashrrev_i32_e32 v4, 31, v3
	s_lshl_b64 s[2:3], s[2:3], 1
	s_delay_alu instid0(SALU_CYCLE_1) | instskip(NEXT) | instid1(VALU_DEP_2)
	s_add_u32 s15, s8, s2
	v_ashrrev_i32_e32 v6, 31, v5
	s_delay_alu instid0(VALU_DEP_2) | instskip(SKIP_2) | instid1(VALU_DEP_2)
	v_lshlrev_b64 v[3:4], 2, v[3:4]
	s_addc_u32 s26, s9, s3
	s_lshl_b32 s6, s14, 3
	v_lshlrev_b64 v[5:6], 2, v[5:6]
	s_ashr_i32 s7, s6, 31
	s_delay_alu instid0(VALU_DEP_2) | instskip(SKIP_1) | instid1(VALU_DEP_3)
	v_add_co_u32 v3, vcc_lo, s19, v3
	v_add_co_ci_u32_e32 v4, vcc_lo, s35, v4, vcc_lo
	v_add_co_u32 v5, vcc_lo, s19, v5
	s_delay_alu instid0(VALU_DEP_4)
	v_add_co_ci_u32_e32 v6, vcc_lo, s35, v6, vcc_lo
	s_lshl_b64 s[6:7], s[6:7], 2
	s_clause 0x1
	global_load_b32 v7, v[3:4], off
	global_load_b32 v8, v[5:6], off
	s_add_u32 s6, s19, s6
	s_addc_u32 s7, s35, s7
	s_or_b32 s8, s16, 32
	s_delay_alu instid0(SALU_CYCLE_1) | instskip(SKIP_2) | instid1(SALU_CYCLE_1)
	s_ashr_i32 s9, s8, 5
	s_cmp_lt_i32 s8, s17
	s_cselect_b32 s8, s9, s4
	s_ashr_i32 s9, s8, 31
	s_delay_alu instid0(SALU_CYCLE_1) | instskip(NEXT) | instid1(SALU_CYCLE_1)
	s_lshl_b64 s[8:9], s[8:9], 2
	s_add_u32 s8, s19, s8
	s_addc_u32 s9, s35, s9
	s_or_b32 s12, s16, 64
	s_delay_alu instid0(SALU_CYCLE_1) | instskip(SKIP_2) | instid1(SALU_CYCLE_1)
	s_ashr_i32 s13, s12, 5
	s_cmp_lt_i32 s12, s17
	s_cselect_b32 s12, s13, s4
	s_ashr_i32 s13, s12, 31
	s_delay_alu instid0(SALU_CYCLE_1) | instskip(NEXT) | instid1(SALU_CYCLE_1)
	s_lshl_b64 s[12:13], s[12:13], 2
	;; [unrolled: 10-line block ×5, first 2 shown]
	s_add_u32 s24, s19, s24
	s_addc_u32 s25, s35, s25
	s_clause 0x5
	s_load_b32 s28, s[6:7], 0x0
	s_load_b32 s29, s[8:9], 0x0
	;; [unrolled: 1-line block ×6, first 2 shown]
	s_mov_b32 s20, 0
	s_or_b32 s6, s16, 0xc0
	s_mov_b32 s21, s20
	s_mov_b32 s22, s20
	;; [unrolled: 1-line block ×6, first 2 shown]
	s_ashr_i32 s7, s6, 5
	s_cmp_lt_i32 s6, s17
	s_cselect_b32 s6, s7, s4
	s_delay_alu instid0(SALU_CYCLE_1)
	s_ashr_i32 s7, s6, 31
	s_waitcnt lgkmcnt(0)
	s_mul_hi_i32 s9, s28, s5
	s_lshl_b64 s[6:7], s[6:7], 2
	s_mul_i32 s8, s28, s5
	s_add_u32 s6, s19, s6
	s_addc_u32 s7, s35, s7
	s_or_b32 s12, s16, 0xe0
	s_mul_hi_i32 s13, s29, s5
	s_mul_i32 s28, s39, s5
	s_waitcnt vmcnt(1)
	v_mad_i64_i32 v[3:4], null, v7, s5, 0
	s_waitcnt vmcnt(0)
	v_mad_i64_i32 v[5:6], null, v8, s5, 0
	s_delay_alu instid0(VALU_DEP_2) | instskip(NEXT) | instid1(VALU_DEP_2)
	v_lshlrev_b64 v[3:4], 1, v[3:4]
	v_lshlrev_b64 v[1:2], 1, v[5:6]
	s_delay_alu instid0(VALU_DEP_2) | instskip(NEXT) | instid1(VALU_DEP_3)
	v_add_co_u32 v3, vcc_lo, s15, v3
	v_add_co_ci_u32_e32 v4, vcc_lo, s26, v4, vcc_lo
	s_delay_alu instid0(VALU_DEP_3) | instskip(NEXT) | instid1(VALU_DEP_4)
	v_add_co_u32 v1, vcc_lo, s15, v1
	v_add_co_ci_u32_e32 v2, vcc_lo, s26, v2, vcc_lo
	s_delay_alu instid0(VALU_DEP_4) | instskip(NEXT) | instid1(VALU_DEP_4)
	v_add_co_u32 v25, vcc_lo, v3, v73
	v_add_co_ci_u32_e32 v26, vcc_lo, v4, v74, vcc_lo
	s_delay_alu instid0(VALU_DEP_4) | instskip(NEXT) | instid1(VALU_DEP_4)
	v_add_co_u32 v27, vcc_lo, v1, v73
	v_add_co_ci_u32_e32 v28, vcc_lo, v2, v74, vcc_lo
	s_clause 0xf
	global_load_b128 v[1:4], v[25:26], off
	global_load_b128 v[5:8], v[25:26], off offset:512
	global_load_b128 v[9:12], v[27:28], off offset:256
	;; [unrolled: 1-line block ×15, first 2 shown]
	s_mov_b32 s26, s20
	v_dual_mov_b32 v130, s27 :: v_dual_lshlrev_b32 v153, 6, v77
	v_mov_b32_e32 v124, s21
	ds_load_b128 v[25:28], v153
	ds_load_b128 v[29:32], v153 offset:1024
	ds_load_b128 v[131:134], v153 offset:2048
	;; [unrolled: 1-line block ×3, first 2 shown]
	v_dual_mov_b32 v129, s26 :: v_dual_mov_b32 v128, s25
	v_dual_mov_b32 v127, s24 :: v_dual_mov_b32 v126, s23
	v_mov_b32_e32 v125, s22
	v_mov_b32_e32 v123, s20
	s_ashr_i32 s15, s12, 5
	s_cmp_lt_i32 s12, s17
	s_mul_i32 s12, s29, s5
	s_cselect_b32 s20, s15, s4
	s_mul_hi_i32 s23, s36, s5
	s_ashr_i32 s21, s20, 31
	s_mul_i32 s22, s36, s5
	s_lshl_b64 s[20:21], s[20:21], 2
	s_mul_hi_i32 s25, s37, s5
	s_add_u32 s20, s19, s20
	s_addc_u32 s21, s35, s21
	s_add_i32 s15, s16, 0x100
	s_mul_i32 s24, s37, s5
	s_ashr_i32 s26, s15, 5
	s_cmp_lt_i32 s15, s17
	s_load_b32 s15, s[6:7], 0x0
	s_cselect_b32 s26, s26, s4
	s_mul_hi_i32 s7, s38, s5
	s_ashr_i32 s27, s26, 31
	s_mul_i32 s6, s38, s5
	s_lshl_b64 s[26:27], s[26:27], 2
	s_mul_hi_i32 s29, s39, s5
	s_add_u32 s26, s19, s26
	s_addc_u32 s27, s35, s27
	s_add_u32 s4, s10, s2
	s_clause 0x1
	s_load_b32 s19, s[20:21], 0x0
	s_load_b32 s26, s[26:27], 0x0
	s_addc_u32 s27, s11, s3
	s_lshl_b64 s[2:3], s[8:9], 1
	s_lshl_b64 s[8:9], s[12:13], 1
	;; [unrolled: 1-line block ×6, first 2 shown]
	s_waitcnt lgkmcnt(0)
	s_mul_hi_i32 s23, s15, s5
	s_mul_i32 s22, s15, s5
	s_delay_alu instid0(SALU_CYCLE_1)
	s_lshl_b64 s[22:23], s[22:23], 1
	s_waitcnt vmcnt(14)
	v_wmma_f32_16x16x16_f16 v[139:146], v[1:8], v[25:32], v[123:130]
	s_waitcnt vmcnt(12)
	v_wmma_f32_16x16x16_f16 v[123:130], v[9:16], v[25:32], v[123:130]
	s_waitcnt vmcnt(10)
	s_delay_alu instid0(VALU_DEP_2) | instskip(SKIP_1) | instid1(VALU_DEP_2)
	v_wmma_f32_16x16x16_f16 v[139:146], v[17:24], v[131:138], v[139:146]
	s_waitcnt vmcnt(8)
	v_wmma_f32_16x16x16_f16 v[123:130], v[83:90], v[131:138], v[123:130]
	v_mbcnt_lo_u32_b32 v132, -1, 0
	s_delay_alu instid0(VALU_DEP_1) | instskip(SKIP_1) | instid1(VALU_DEP_1)
	v_xor_b32_e32 v133, 16, v132
	v_lshlrev_b32_e32 v79, 6, v80
	v_lshl_or_b32 v33, v82, 10, v79
	s_delay_alu instid0(VALU_DEP_1) | instskip(NEXT) | instid1(VALU_DEP_1)
	v_add_co_u32 v154, s4, s4, v33
	v_add_co_ci_u32_e64 v155, null, s27, 0, s4
	s_delay_alu instid0(VALU_DEP_2) | instskip(NEXT) | instid1(VALU_DEP_2)
	v_add_co_u32 v33, vcc_lo, v154, s2
	v_add_co_ci_u32_e32 v34, vcc_lo, s3, v155, vcc_lo
	v_add_co_u32 v35, vcc_lo, v154, s8
	v_add_co_ci_u32_e32 v36, vcc_lo, s9, v155, vcc_lo
	v_add_co_u32 v37, vcc_lo, v154, s10
	v_add_co_ci_u32_e32 v38, vcc_lo, s11, v155, vcc_lo
	v_add_co_u32 v39, vcc_lo, v154, s12
	v_add_co_ci_u32_e32 v40, vcc_lo, s13, v155, vcc_lo
	v_add_co_u32 v147, vcc_lo, v154, s6
	v_add_co_ci_u32_e32 v148, vcc_lo, s7, v155, vcc_lo
	v_add_co_u32 v149, vcc_lo, v154, s20
	v_add_co_ci_u32_e32 v150, vcc_lo, s21, v155, vcc_lo
	s_mul_hi_i32 s3, s19, s5
	s_mul_i32 s2, s19, s5
	v_add_co_u32 v151, vcc_lo, v154, s22
	s_lshl_b64 s[2:3], s[2:3], 1
	v_add_co_ci_u32_e32 v152, vcc_lo, s23, v155, vcc_lo
	v_add_co_u32 v29, vcc_lo, v154, s2
	v_add_co_ci_u32_e32 v30, vcc_lo, s3, v155, vcc_lo
	s_mul_hi_i32 s3, s26, s5
	s_mul_i32 s2, s26, s5
	s_clause 0x7
	global_load_b128 v[65:68], v[33:34], off
	global_load_b128 v[69:72], v[33:34], off offset:16
	global_load_b128 v[57:60], v[35:36], off
	global_load_b128 v[61:64], v[35:36], off offset:16
	;; [unrolled: 2-line block ×4, first 2 shown]
	s_lshl_b64 s[2:3], s[2:3], 1
	s_clause 0x1
	global_load_b128 v[9:12], v[147:148], off
	global_load_b128 v[13:16], v[147:148], off offset:16
	v_add_co_u32 v21, vcc_lo, v154, s2
	v_add_co_ci_u32_e32 v22, vcc_lo, s3, v155, vcc_lo
	s_clause 0x7
	global_load_b128 v[1:4], v[149:150], off
	global_load_b128 v[5:8], v[149:150], off offset:16
	global_load_b128 v[33:36], v[151:152], off
	global_load_b128 v[37:40], v[151:152], off offset:16
	;; [unrolled: 2-line block ×4, first 2 shown]
	ds_load_b128 v[83:86], v153 offset:4096
	ds_load_b128 v[87:90], v153 offset:5120
	v_cmp_gt_i32_e32 vcc_lo, 32, v133
	v_cndmask_b32_e32 v132, v132, v133, vcc_lo
	s_waitcnt vmcnt(24) lgkmcnt(0)
	v_wmma_f32_16x16x16_f16 v[139:146], v[91:98], v[83:90], v[139:146]
	ds_load_b128 v[91:94], v153 offset:6144
	ds_load_b128 v[95:98], v153 offset:7168
	s_waitcnt vmcnt(22)
	v_wmma_f32_16x16x16_f16 v[123:130], v[99:106], v[83:90], v[123:130]
	s_waitcnt vmcnt(0) lgkmcnt(0)
	s_barrier
	buffer_gl0_inv
	v_wmma_f32_16x16x16_f16 v[139:146], v[107:114], v[91:98], v[139:146]
	v_and_b32_e32 v131, 0xe0, v0
	v_wmma_f32_16x16x16_f16 v[123:130], v[115:122], v[91:98], v[123:130]
	s_delay_alu instid0(VALU_DEP_3) | instskip(NEXT) | instid1(VALU_DEP_2)
	v_mul_f32_e32 v98, s18, v139
	v_dual_mul_f32 v106, s18, v129 :: v_dual_add_nc_u32 v131, s16, v131
	v_mul_f32_e32 v97, s18, v140
	s_delay_alu instid0(VALU_DEP_4) | instskip(NEXT) | instid1(VALU_DEP_3)
	v_dual_mul_f32 v95, s18, v142 :: v_dual_mul_f32 v112, s18, v123
	v_or_b32_e32 v131, v131, v78
	v_dual_mul_f32 v96, s18, v141 :: v_dual_mul_f32 v93, s18, v144
	v_mul_f32_e32 v110, s18, v125
	v_mul_f32_e32 v94, s18, v143
	s_delay_alu instid0(VALU_DEP_4)
	v_or_b32_e32 v133, 2, v131
	v_or_b32_e32 v83, 4, v131
	;; [unrolled: 1-line block ×3, first 2 shown]
	v_cmp_gt_i32_e32 vcc_lo, s17, v131
	v_or_b32_e32 v85, 8, v131
	v_cmp_gt_i32_e64 s2, s17, v133
	v_or_b32_e32 v86, 10, v131
	v_cmp_gt_i32_e64 s3, s17, v83
	v_cndmask_b32_e32 v98, 0xff7fffff, v98, vcc_lo
	v_cmp_gt_i32_e64 s4, s17, v84
	v_cndmask_b32_e64 v97, 0xff7fffff, v97, s2
	v_or_b32_e32 v87, 12, v131
	v_or_b32_e32 v88, 14, v131
	v_cndmask_b32_e64 v83, 0xff7fffff, v96, s3
	v_cndmask_b32_e64 v84, 0xff7fffff, v95, s4
	v_max3_f32 v95, v98, 0xff7fffff, v97
	v_cmp_gt_i32_e64 s5, s17, v85
	v_cmp_gt_i32_e64 s6, s17, v86
	v_or_b32_e32 v89, 16, v131
	v_or_b32_e32 v90, 18, v131
	v_dual_mul_f32 v91, s18, v146 :: v_dual_mul_f32 v108, s18, v127
	v_mul_f32_e32 v92, s18, v145
	v_cndmask_b32_e64 v85, 0xff7fffff, v94, s5
	v_cndmask_b32_e64 v86, 0xff7fffff, v93, s6
	v_max3_f32 v83, v95, v83, v84
	v_cmp_gt_i32_e64 s7, s17, v87
	v_cmp_gt_i32_e64 s8, s17, v88
	v_or_b32_e32 v99, 20, v131
	v_or_b32_e32 v100, 22, v131
	v_mul_f32_e32 v111, s18, v124
	v_cndmask_b32_e64 v84, 0xff7fffff, v92, s7
	v_cndmask_b32_e64 v87, 0xff7fffff, v91, s8
	v_max3_f32 v83, v83, v85, v86
	v_cmp_gt_i32_e64 s9, s17, v89
	v_cmp_gt_i32_e64 s10, s17, v90
	v_or_b32_e32 v101, 24, v131
	v_or_b32_e32 v102, 26, v131
	;; [unrolled: 8-line block ×3, first 2 shown]
	v_mul_f32_e32 v107, s18, v128
	v_cndmask_b32_e64 v84, 0xff7fffff, v110, s11
	v_cndmask_b32_e64 v87, 0xff7fffff, v109, s12
	v_max3_f32 v83, v83, v85, v86
	v_cmp_gt_i32_e64 s13, s17, v101
	v_cmp_gt_i32_e64 s15, s17, v102
	v_mul_f32_e32 v105, s18, v130
	v_cmp_gt_i32_e64 s16, s17, v103
	v_max3_f32 v83, v83, v84, v87
	v_cndmask_b32_e64 v85, 0xff7fffff, v108, s13
	v_cndmask_b32_e64 v86, 0xff7fffff, v107, s15
	v_cmp_gt_i32_e64 s17, s17, v104
	v_cndmask_b32_e64 v84, 0xff7fffff, v106, s16
	s_delay_alu instid0(VALU_DEP_3) | instskip(NEXT) | instid1(VALU_DEP_3)
	v_max3_f32 v83, v83, v85, v86
	v_cndmask_b32_e64 v87, 0xff7fffff, v105, s17
	v_lshlrev_b32_e32 v85, 2, v132
	s_delay_alu instid0(VALU_DEP_2) | instskip(SKIP_3) | instid1(VALU_DEP_1)
	v_max3_f32 v83, v83, v84, v87
	ds_bpermute_b32 v84, v85, v83
	s_waitcnt lgkmcnt(0)
	v_max_f32_e32 v84, v84, v84
	v_max_f32_e32 v83, v83, v84
	s_delay_alu instid0(VALU_DEP_1)
	v_fma_f32 v84, s18, v139, -v83
	v_fma_f32 v86, s18, v140, -v83
	;; [unrolled: 1-line block ×5, first 2 shown]
	v_mul_f32_e32 v84, 0x3fb8aa3b, v84
	v_mul_f32_e32 v86, 0x3fb8aa3b, v86
	s_delay_alu instid0(VALU_DEP_3) | instskip(NEXT) | instid1(VALU_DEP_3)
	v_dual_mul_f32 v90, 0x3fb8aa3b, v88 :: v_dual_mul_f32 v89, 0x3fb8aa3b, v89
	v_exp_f32_e32 v84, v84
	v_mul_f32_e32 v87, 0x3fb8aa3b, v87
	s_delay_alu instid0(VALU_DEP_3) | instskip(NEXT) | instid1(VALU_DEP_2)
	v_exp_f32_e32 v86, v86
	v_exp_f32_e32 v92, v90
	v_exp_f32_e32 v94, v89
	v_cndmask_b32_e32 v88, 0, v84, vcc_lo
	v_exp_f32_e32 v91, v87
	v_cndmask_b32_e64 v87, 0, v86, s2
	s_delay_alu instid0(TRANS32_DEP_3) | instskip(SKIP_4) | instid1(VALU_DEP_1)
	v_cndmask_b32_e64 v89, 0, v92, s4
	s_waitcnt_depctr 0xfff
	v_cndmask_b32_e64 v92, 0, v94, s5
	v_add_f32_e32 v86, 0, v88
	s_mov_b32 s2, exec_lo
	v_add_f32_e32 v86, v86, v87
	v_cndmask_b32_e64 v90, 0, v91, s3
	s_delay_alu instid0(VALU_DEP_1) | instskip(NEXT) | instid1(VALU_DEP_1)
	v_add_f32_e32 v86, v86, v90
	v_add_f32_e32 v86, v86, v89
	v_fma_f32 v84, s18, v144, -v83
	v_fma_f32 v93, s18, v145, -v83
	;; [unrolled: 1-line block ×5, first 2 shown]
	s_delay_alu instid0(VALU_DEP_4) | instskip(NEXT) | instid1(VALU_DEP_4)
	v_dual_mul_f32 v84, 0x3fb8aa3b, v84 :: v_dual_mul_f32 v93, 0x3fb8aa3b, v93
	v_mul_f32_e32 v91, 0x3fb8aa3b, v91
	v_fma_f32 v98, s18, v126, -v83
	v_fma_f32 v99, s18, v127, -v83
	s_delay_alu instid0(VALU_DEP_4) | instskip(SKIP_2) | instid1(VALU_DEP_2)
	v_exp_f32_e32 v84, v84
	v_fma_f32 v100, s18, v128, -v83
	v_exp_f32_e32 v96, v91
	v_dual_mul_f32 v98, 0x3fb8aa3b, v98 :: v_dual_mul_f32 v99, 0x3fb8aa3b, v99
	s_delay_alu instid0(VALU_DEP_2) | instskip(NEXT) | instid1(VALU_DEP_2)
	v_mul_f32_e32 v100, 0x3fb8aa3b, v100
	v_exp_f32_e32 v101, v98
	s_delay_alu instid0(VALU_DEP_2)
	v_exp_f32_e32 v99, v99
	v_cndmask_b32_e64 v91, 0, v84, s6
	v_add_f32_e32 v84, v86, v92
	v_exp_f32_e32 v93, v93
	v_fma_f32 v86, s18, v125, -v83
	v_mul_f32_e32 v97, 0x3fb8aa3b, v94
	v_exp_f32_e32 v102, v100
	v_add_f32_e32 v84, v84, v91
	s_delay_alu instid0(VALU_DEP_3) | instskip(NEXT) | instid1(VALU_DEP_3)
	v_mul_f32_e32 v86, 0x3fb8aa3b, v86
	v_exp_f32_e32 v97, v97
	v_cndmask_b32_e64 v100, 0, v99, s13
	s_delay_alu instid0(TRANS32_DEP_3) | instskip(SKIP_3) | instid1(TRANS32_DEP_3)
	v_cndmask_b32_e64 v94, 0, v93, s7
	v_mul_f32_e32 v95, 0x3fb8aa3b, v95
	v_cndmask_b32_e64 v93, 0, v96, s8
	v_exp_f32_e32 v86, v86
	v_cndmask_b32_e64 v99, 0, v102, s15
	v_add_f32_e32 v84, v84, v94
	v_exp_f32_e32 v95, v95
	s_delay_alu instid0(VALU_DEP_1)
	v_add_f32_e32 v84, v84, v93
	s_waitcnt_depctr 0xfff
	v_cndmask_b32_e64 v98, 0, v86, s11
	v_cndmask_b32_e64 v96, 0, v95, s9
	;; [unrolled: 1-line block ×3, first 2 shown]
	v_fma_f32 v97, s18, v129, -v83
	s_delay_alu instid0(VALU_DEP_1) | instskip(SKIP_3) | instid1(VALU_DEP_4)
	v_mul_f32_e32 v86, 0x3fb8aa3b, v97
	v_cndmask_b32_e64 v97, 0, v101, s12
	v_fma_f32 v101, s18, v130, -v83
	v_add_f32_e32 v84, v84, v96
	v_exp_f32_e32 v86, v86
	s_delay_alu instid0(VALU_DEP_1) | instskip(NEXT) | instid1(VALU_DEP_1)
	v_dual_mul_f32 v101, 0x3fb8aa3b, v101 :: v_dual_add_f32 v84, v84, v95
	v_exp_f32_e32 v101, v101
	s_delay_alu instid0(VALU_DEP_1) | instskip(SKIP_4) | instid1(VALU_DEP_2)
	v_add_f32_e32 v84, v84, v98
	s_waitcnt_depctr 0xfff
	v_cndmask_b32_e64 v102, 0, v86, s16
	v_add_f32_e32 v84, v84, v97
	v_cndmask_b32_e64 v101, 0, v101, s17
	v_add_f32_e32 v84, v84, v100
	s_delay_alu instid0(VALU_DEP_1) | instskip(NEXT) | instid1(VALU_DEP_1)
	v_add_f32_e32 v84, v84, v99
	v_add_f32_e32 v84, v84, v102
	s_delay_alu instid0(VALU_DEP_1)
	v_add_f32_e32 v84, v84, v101
	ds_bpermute_b32 v85, v85, v84
	v_cmpx_gt_u32_e32 16, v81
	s_cbranch_execz .LBB171_14
; %bb.13:
	v_mul_u32_u24_e32 v81, 0x44, v82
	s_waitcnt lgkmcnt(0)
	v_add_f32_e32 v84, v84, v85
	s_delay_alu instid0(VALU_DEP_2) | instskip(NEXT) | instid1(VALU_DEP_1)
	v_lshl_add_u32 v81, v80, 2, v81
	v_add_nc_u32_e32 v81, 0x4000, v81
	ds_store_2addr_b32 v81, v83, v84 offset1:136
.LBB171_14:
	s_or_b32 exec_lo, exec_lo, s2
	v_lshlrev_b32_e32 v80, 2, v80
	s_load_b32 s35, s[0:1], 0x94
	s_waitcnt lgkmcnt(0)
	s_barrier
	buffer_gl0_inv
	v_add_nc_u32_e32 v109, 0x4000, v80
	v_cmp_eq_u32_e32 vcc_lo, 1, v82
	v_cmp_eq_u32_e64 s2, 2, v82
	v_cmp_eq_u32_e64 s3, 3, v82
	;; [unrolled: 1-line block ×3, first 2 shown]
	ds_load_2addr_b32 v[80:81], v109 offset1:17
	ds_load_2addr_b32 v[83:84], v109 offset0:34 offset1:51
	ds_load_2addr_b32 v[103:104], v109 offset0:68 offset1:85
	;; [unrolled: 1-line block ×3, first 2 shown]
	v_cmp_eq_u32_e64 s5, 7, v82
	s_waitcnt lgkmcnt(3)
	v_max3_f32 v85, v80, 0xff7fffff, v81
	s_waitcnt lgkmcnt(2)
	s_delay_alu instid0(VALU_DEP_1) | instskip(SKIP_1) | instid1(VALU_DEP_1)
	v_max3_f32 v85, v85, v83, v84
	s_waitcnt lgkmcnt(1)
	v_max3_f32 v85, v85, v103, v104
	s_waitcnt lgkmcnt(0)
	s_delay_alu instid0(VALU_DEP_1) | instskip(NEXT) | instid1(VALU_DEP_1)
	v_max3_f32 v85, v85, v105, v106
	v_sub_f32_e32 v80, v80, v85
	ds_load_2addr_b32 v[107:108], v109 offset0:136 offset1:153
	v_sub_f32_e32 v83, v83, v85
	v_sub_f32_e32 v111, v84, v85
	;; [unrolled: 1-line block ×3, first 2 shown]
	v_mul_f32_e32 v110, 0x3fb8aa3b, v80
	ds_load_2addr_b32 v[80:81], v109 offset0:170 offset1:187
	v_mul_f32_e32 v112, 0x3fb8aa3b, v83
	ds_load_2addr_b32 v[83:84], v109 offset0:204 offset1:221
	v_dual_mul_f32 v111, 0x3fb8aa3b, v111 :: v_dual_mul_f32 v86, 0x3fb8aa3b, v86
	v_sub_f32_e32 v103, v103, v85
	v_exp_f32_e32 v110, v110
	v_sub_f32_e32 v105, v105, v85
	s_delay_alu instid0(VALU_DEP_3) | instskip(SKIP_1) | instid1(VALU_DEP_1)
	v_exp_f32_e32 v111, v111
	v_exp_f32_e32 v113, v86
	v_dual_mul_f32 v114, 0x3fb8aa3b, v103 :: v_dual_mul_f32 v105, 0x3fb8aa3b, v105
	s_waitcnt lgkmcnt(2)
	s_delay_alu instid0(TRANS32_DEP_3)
	v_fma_f32 v86, v110, v107, 0
	v_sub_f32_e32 v107, v104, v85
	v_exp_f32_e32 v112, v112
	ds_load_2addr_b32 v[103:104], v109 offset0:238 offset1:255
	s_waitcnt lgkmcnt(0)
	v_dual_fmac_f32 v86, v113, v108 :: v_dual_mul_f32 v107, 0x3fb8aa3b, v107
	v_exp_f32_e32 v108, v114
	s_barrier
	buffer_gl0_inv
	v_exp_f32_e32 v105, v105
	v_fmac_f32_e32 v86, v112, v80
	v_sub_f32_e32 v80, v106, v85
	v_exp_f32_e32 v106, v107
	s_delay_alu instid0(VALU_DEP_2) | instskip(NEXT) | instid1(VALU_DEP_2)
	v_fmac_f32_e32 v86, v111, v81
	v_dual_mul_f32 v80, 0x3fb8aa3b, v80 :: v_dual_cndmask_b32 v81, v110, v113
	s_delay_alu instid0(VALU_DEP_2) | instskip(NEXT) | instid1(VALU_DEP_2)
	v_fmac_f32_e32 v86, v108, v83
	v_exp_f32_e32 v107, v80
	s_waitcnt_depctr 0xfff
	v_fmac_f32_e32 v86, v106, v84
	s_delay_alu instid0(VALU_DEP_1) | instskip(NEXT) | instid1(VALU_DEP_1)
	v_fmac_f32_e32 v86, v105, v103
	v_fmac_f32_e32 v86, v107, v104
	s_delay_alu instid0(VALU_DEP_1) | instskip(NEXT) | instid1(VALU_DEP_1)
	v_add_f32_e32 v103, 0x358637bd, v86
	v_div_scale_f32 v104, null, v103, v103, 1.0
	v_div_scale_f32 v110, vcc_lo, 1.0, v103, 1.0
	s_delay_alu instid0(VALU_DEP_2) | instskip(SKIP_2) | instid1(VALU_DEP_1)
	v_rcp_f32_e32 v109, v104
	s_waitcnt_depctr 0xfff
	v_fma_f32 v80, -v104, v109, 1.0
	v_fmac_f32_e32 v109, v80, v109
	v_cndmask_b32_e64 v80, v81, v112, s2
	v_cmp_eq_u32_e64 s2, 4, v82
	v_lshl_or_b32 v81, v82, 11, v79
	s_delay_alu instid0(VALU_DEP_4) | instskip(NEXT) | instid1(VALU_DEP_4)
	v_mul_f32_e32 v112, v110, v109
	v_cndmask_b32_e64 v83, v80, v111, s3
	v_cmp_eq_u32_e64 s3, 6, v82
	v_lshlrev_b32_e32 v80, 2, v78
	v_lshl_or_b32 v78, v78, 4, v81
	v_fma_f32 v84, -v104, v112, v110
	v_cndmask_b32_e64 v83, v83, v108, s2
	s_delay_alu instid0(VALU_DEP_4) | instskip(SKIP_1) | instid1(VALU_DEP_4)
	v_or_b32_e32 v82, 1, v80
	v_cmp_eq_u32_e64 s2, 1, v80
	v_fmac_f32_e32 v112, v84, v109
	s_delay_alu instid0(VALU_DEP_4)
	v_cndmask_b32_e64 v106, v83, v106, s4
	v_or_b32_e32 v84, 2, v80
	v_or_b32_e32 v83, 3, v80
	v_cmp_eq_u32_e64 s8, 1, v82
	v_fma_f32 v104, -v104, v112, v110
	v_cndmask_b32_e64 v105, v106, v105, s3
	v_cmp_eq_u32_e64 s9, 1, v84
	v_cmp_eq_u32_e64 s10, 1, v83
	;; [unrolled: 1-line block ×3, first 2 shown]
	v_div_fmas_f32 v104, v104, v109, v112
	v_cndmask_b32_e64 v105, v105, v107, s5
	v_cmp_eq_u32_e32 vcc_lo, 2, v80
	v_cmp_eq_u32_e64 s13, 2, v84
	v_cmp_eq_u32_e64 s15, 2, v83
	v_div_fixup_f32 v103, v104, v103, 1.0
	v_cmp_eq_u32_e64 s17, 3, v83
	v_cmp_eq_u32_e64 s3, 3, v80
	;; [unrolled: 1-line block ×4, first 2 shown]
	v_mul_f32_e32 v111, v105, v103
	v_cmp_eq_u32_e64 s21, 4, v83
	v_cmp_eq_u32_e64 s4, 4, v80
	;; [unrolled: 1-line block ×4, first 2 shown]
	v_fma_mixlo_f16 v103, v111, v88, 0
	v_fma_mixlo_f16 v104, v111, v90, 0
	;; [unrolled: 1-line block ×8, first 2 shown]
	v_fma_mixhi_f16 v103, v111, v87, 0
	v_fma_mixhi_f16 v104, v111, v89, 0
	;; [unrolled: 1-line block ×8, first 2 shown]
	ds_store_b128 v78, v[103:106]
	ds_store_b128 v78, v[107:110] offset:1024
	s_waitcnt lgkmcnt(0)
	s_barrier
	buffer_gl0_inv
	ds_load_b128 v[87:90], v81
	ds_load_b128 v[91:94], v81 offset:16
	ds_load_b128 v[95:98], v81 offset:1024
	;; [unrolled: 1-line block ×3, first 2 shown]
	v_cmp_eq_u32_e64 s23, 5, v83
	v_cmp_eq_u32_e64 s5, 5, v80
	;; [unrolled: 1-line block ×12, first 2 shown]
	s_waitcnt lgkmcnt(3)
	v_lshrrev_b32_e32 v103, 16, v87
	s_waitcnt lgkmcnt(2)
	v_lshrrev_b32_e32 v107, 16, v91
	;; [unrolled: 2-line block ×4, first 2 shown]
	v_lshrrev_b32_e32 v104, 16, v88
	v_cndmask_b32_e64 v119, v87, v103, s2
	v_cndmask_b32_e64 v120, v91, v107, s2
	v_cndmask_b32_e64 v121, v87, v103, s8
	v_cndmask_b32_e64 v122, v91, v107, s8
	v_cndmask_b32_e64 v123, v87, v103, s9
	v_cndmask_b32_e64 v124, v91, v107, s9
	v_cndmask_b32_e64 v87, v87, v103, s10
	v_cndmask_b32_e64 v91, v91, v107, s10
	v_lshrrev_b32_e32 v108, 16, v92
	v_cndmask_b32_e64 v103, v95, v111, s2
	v_cndmask_b32_e64 v107, v99, v115, s2
	;; [unrolled: 1-line block ×5, first 2 shown]
	v_cndmask_b32_e32 v111, v119, v88, vcc_lo
	v_cndmask_b32_e64 v119, v121, v88, s11
	v_cndmask_b32_e64 v121, v123, v88, s13
	;; [unrolled: 1-line block ×4, first 2 shown]
	v_lshrrev_b32_e32 v112, 16, v96
	v_lshrrev_b32_e32 v116, 16, v100
	v_cndmask_b32_e64 v126, v99, v115, s8
	v_cndmask_b32_e64 v128, v99, v115, s9
	v_cndmask_b32_e64 v99, v99, v115, s10
	v_cndmask_b32_e32 v115, v120, v92, vcc_lo
	v_cndmask_b32_e64 v120, v122, v92, s11
	v_cndmask_b32_e64 v122, v124, v92, s13
	v_cndmask_b32_e32 v91, v103, v96, vcc_lo
	v_cndmask_b32_e32 v92, v107, v100, vcc_lo
	v_cndmask_b32_e64 v103, v125, v96, s11
	v_cndmask_b32_e64 v87, v87, v104, s17
	;; [unrolled: 1-line block ×3, first 2 shown]
	v_lshrrev_b32_e32 v105, 16, v89
	v_lshrrev_b32_e32 v109, 16, v93
	v_cndmask_b32_e64 v107, v127, v96, s13
	v_cndmask_b32_e64 v95, v95, v96, s15
	;; [unrolled: 1-line block ×14, first 2 shown]
	v_lshrrev_b32_e32 v113, 16, v97
	v_cndmask_b32_e64 v99, v99, v89, s4
	v_cndmask_b32_e64 v104, v111, v93, s4
	;; [unrolled: 1-line block ×11, first 2 shown]
	v_lshrrev_b32_e32 v106, 16, v90
	v_lshrrev_b32_e32 v110, 16, v94
	v_cndmask_b32_e64 v93, v99, v105, s5
	v_cndmask_b32_e64 v99, v104, v109, s5
	;; [unrolled: 1-line block ×9, first 2 shown]
	v_lshrrev_b32_e32 v114, 16, v98
	v_cndmask_b32_e64 v89, v89, v113, s5
	v_cndmask_b32_e64 v93, v93, v90, s6
	;; [unrolled: 1-line block ×19, first 2 shown]
	v_perm_b32 v90, v88, v87, 0x5040100
	v_cndmask_b32_e64 v87, v126, v100, s11
	v_cndmask_b32_e64 v105, v89, v114, s7
	v_perm_b32 v89, v103, v99, 0x5040100
	v_perm_b32 v88, v104, v94, 0x5040100
	v_cndmask_b32_e64 v94, v107, v112, s16
	v_cndmask_b32_e64 v95, v95, v112, s17
	;; [unrolled: 1-line block ×5, first 2 shown]
	v_lshrrev_b32_e32 v117, 16, v101
	v_cndmask_b32_e64 v94, v94, v97, s20
	v_cndmask_b32_e64 v95, v95, v97, s21
	;; [unrolled: 1-line block ×11, first 2 shown]
	v_lshrrev_b32_e32 v118, 16, v102
	v_cndmask_b32_e64 v91, v91, v102, s6
	v_cndmask_b32_e64 v94, v94, v98, s25
	;; [unrolled: 1-line block ×12, first 2 shown]
	v_perm_b32 v87, v93, v92, 0x5040100
	v_perm_b32 v94, v95, v94, 0x5040100
	;; [unrolled: 1-line block ×5, first 2 shown]
	s_lshl_b32 s6, s34, 1
	s_mov_b32 s2, exec_lo
	ds_store_b128 v78, v[87:90]
	ds_store_b128 v78, v[91:94] offset:1024
	v_cmpx_gt_u32_e32 2, v0
	s_cbranch_execz .LBB171_16
; %bb.15:
	v_or_b32_e32 v87, s33, v0
	s_load_b128 s[8:11], s[0:1], 0x58
	s_delay_alu instid0(VALU_DEP_1) | instskip(NEXT) | instid1(VALU_DEP_1)
	v_mad_u64_u32 v[88:89], null, s6, s30, v[87:88]
	v_mad_u64_u32 v[89:90], null, v88, s35, s[14:15]
	s_delay_alu instid0(VALU_DEP_1) | instskip(NEXT) | instid1(VALU_DEP_1)
	v_ashrrev_i32_e32 v90, 31, v89
	v_lshlrev_b64 v[87:88], 2, v[89:90]
	s_waitcnt lgkmcnt(0)
	s_delay_alu instid0(VALU_DEP_1) | instskip(NEXT) | instid1(VALU_DEP_2)
	v_add_co_u32 v89, vcc_lo, s10, v87
	v_add_co_ci_u32_e32 v90, vcc_lo, s11, v88, vcc_lo
	v_add_co_u32 v87, vcc_lo, s8, v87
	v_add_co_ci_u32_e32 v88, vcc_lo, s9, v88, vcc_lo
	global_store_b32 v[89:90], v85, off
	global_store_b32 v[87:88], v86, off
.LBB171_16:
	s_or_b32 exec_lo, exec_lo, s2
	s_waitcnt lgkmcnt(0)
	s_waitcnt_vscnt null, 0x0
	s_barrier
	buffer_gl0_inv
	ds_load_b128 v[93:96], v79
	ds_load_b128 v[97:100], v79 offset:16
	ds_load_b128 v[105:108], v79 offset:1040
	;; [unrolled: 1-line block ×5, first 2 shown]
	v_cmp_eq_u32_e32 vcc_lo, 1, v84
	v_mov_b32_e32 v85, 0
	ds_load_b128 v[121:124], v79 offset:3088
	ds_load_b128 v[117:120], v79 offset:3072
	;; [unrolled: 1-line block ×4, first 2 shown]
	v_cmp_eq_u32_e64 s2, 1, v80
	v_cmp_eq_u32_e64 s3, 1, v83
	;; [unrolled: 1-line block ×3, first 2 shown]
	v_mov_b32_e32 v86, v85
	v_mov_b32_e32 v87, v85
	;; [unrolled: 1-line block ×7, first 2 shown]
	v_cmp_eq_u32_e64 s5, 2, v80
	s_waitcnt lgkmcnt(8)
	s_delay_alu instid0(VALU_DEP_2)
	v_wmma_f32_16x16x16_f16 v[85:92], v[65:72], v[93:100], v[85:92]
	ds_load_b128 v[69:72], v79 offset:5136
	ds_load_b128 v[65:68], v79 offset:5120
	;; [unrolled: 1-line block ×4, first 2 shown]
	s_waitcnt lgkmcnt(10)
	v_wmma_f32_16x16x16_f16 v[85:92], v[57:64], v[101:108], v[85:92]
	s_waitcnt lgkmcnt(8)
	s_delay_alu instid0(VALU_DEP_1)
	v_wmma_f32_16x16x16_f16 v[85:92], v[57:64], v[109:116], v[85:92]
	ds_load_b128 v[61:64], v79 offset:7184
	ds_load_b128 v[57:60], v79 offset:7168
	;; [unrolled: 1-line block ×4, first 2 shown]
	s_waitcnt lgkmcnt(10)
	v_wmma_f32_16x16x16_f16 v[85:92], v[49:56], v[117:124], v[85:92]
	s_waitcnt lgkmcnt(8)
	s_delay_alu instid0(VALU_DEP_1)
	v_wmma_f32_16x16x16_f16 v[85:92], v[49:56], v[125:132], v[85:92]
	ds_load_b128 v[53:56], v79 offset:9232
	ds_load_b128 v[49:52], v79 offset:9216
	s_waitcnt lgkmcnt(8)
	v_wmma_f32_16x16x16_f16 v[85:92], v[41:48], v[65:72], v[85:92]
	ds_load_b128 v[69:72], v79 offset:10256
	ds_load_b128 v[65:68], v79 offset:10240
	s_waitcnt lgkmcnt(8)
	;; [unrolled: 4-line block ×7, first 2 shown]
	s_barrier
	buffer_gl0_inv
	v_wmma_f32_16x16x16_f16 v[85:92], v[33:40], v[41:48], v[85:92]
	s_delay_alu instid0(VALU_DEP_1) | instskip(NEXT) | instid1(VALU_DEP_1)
	v_wmma_f32_16x16x16_f16 v[85:92], v[33:40], v[57:64], v[85:92]
	v_wmma_f32_16x16x16_f16 v[85:92], v[25:32], v[9:16], v[85:92]
	s_delay_alu instid0(VALU_DEP_1) | instskip(NEXT) | instid1(VALU_DEP_1)
	v_wmma_f32_16x16x16_f16 v[85:92], v[25:32], v[49:56], v[85:92]
	v_wmma_f32_16x16x16_f16 v[85:92], v[17:24], v[1:8], v[85:92]
	s_delay_alu instid0(VALU_DEP_1) | instskip(NEXT) | instid1(VALU_DEP_2)
	v_cvt_f16_f32_e32 v1, v85
	v_cvt_f16_f32_e32 v2, v86
	s_delay_alu instid0(VALU_DEP_3) | instskip(NEXT) | instid1(VALU_DEP_4)
	v_cvt_f16_f32_e32 v3, v87
	v_cvt_f16_f32_e32 v4, v88
	;; [unrolled: 1-line block ×6, first 2 shown]
	v_pack_b32_f16 v1, v1, v2
	v_pack_b32_f16 v2, v3, v4
	;; [unrolled: 1-line block ×3, first 2 shown]
	s_delay_alu instid0(VALU_DEP_4)
	v_pack_b32_f16 v4, v7, v8
	ds_store_b128 v78, v[1:4]
	s_waitcnt lgkmcnt(0)
	s_barrier
	buffer_gl0_inv
	ds_load_b128 v[1:4], v81
	ds_load_b128 v[5:8], v81 offset:16
	s_waitcnt lgkmcnt(1)
	v_lshrrev_b32_e32 v9, 16, v1
	s_waitcnt lgkmcnt(0)
	v_lshrrev_b32_e32 v13, 16, v5
	v_lshrrev_b32_e32 v15, 16, v7
	;; [unrolled: 1-line block ×4, first 2 shown]
	v_cndmask_b32_e64 v17, v1, v9, s2
	v_cndmask_b32_e64 v18, v5, v13, s2
	;; [unrolled: 1-line block ×3, first 2 shown]
	v_cmp_eq_u32_e64 s2, 2, v82
	v_cndmask_b32_e64 v20, v5, v13, s4
	v_cndmask_b32_e32 v21, v1, v9, vcc_lo
	v_cndmask_b32_e32 v22, v5, v13, vcc_lo
	v_cndmask_b32_e64 v1, v1, v9, s3
	v_cndmask_b32_e64 v5, v5, v13, s3
	v_cmp_eq_u32_e32 vcc_lo, 2, v84
	v_cmp_eq_u32_e64 s3, 2, v83
	v_cndmask_b32_e64 v9, v17, v2, s5
	v_cndmask_b32_e64 v13, v18, v6, s5
	;; [unrolled: 1-line block ×4, first 2 shown]
	v_cndmask_b32_e32 v19, v21, v2, vcc_lo
	v_cmp_eq_u32_e64 s2, 3, v84
	v_cndmask_b32_e32 v20, v22, v6, vcc_lo
	v_cndmask_b32_e64 v1, v1, v2, s3
	v_cmp_eq_u32_e32 vcc_lo, 3, v83
	v_cmp_eq_u32_e64 s4, 3, v80
	v_cndmask_b32_e64 v2, v5, v6, s3
	v_cmp_eq_u32_e64 s3, 3, v82
	v_lshrrev_b32_e32 v16, 16, v8
	v_cmp_eq_u32_e64 s5, 4, v80
	v_cndmask_b32_e64 v5, v9, v10, s4
	v_cndmask_b32_e64 v6, v13, v14, s4
	;; [unrolled: 1-line block ×3, first 2 shown]
	v_cmp_eq_u32_e64 s4, 4, v82
	v_cndmask_b32_e64 v13, v18, v14, s3
	v_cndmask_b32_e64 v17, v19, v10, s2
	;; [unrolled: 1-line block ×3, first 2 shown]
	v_cndmask_b32_e32 v1, v1, v10, vcc_lo
	v_cndmask_b32_e32 v2, v2, v14, vcc_lo
	v_cmp_eq_u32_e32 vcc_lo, 4, v84
	v_cmp_eq_u32_e64 s3, 4, v83
	v_lshrrev_b32_e32 v11, 16, v3
	v_cndmask_b32_e64 v5, v5, v3, s5
	v_cndmask_b32_e64 v6, v6, v7, s5
	;; [unrolled: 1-line block ×4, first 2 shown]
	v_cndmask_b32_e32 v13, v17, v3, vcc_lo
	v_cmp_eq_u32_e64 s2, 5, v84
	v_cndmask_b32_e32 v14, v18, v7, vcc_lo
	v_cndmask_b32_e64 v1, v1, v3, s3
	v_cmp_eq_u32_e32 vcc_lo, 5, v83
	v_cmp_eq_u32_e64 s4, 5, v80
	v_cndmask_b32_e64 v2, v2, v7, s3
	v_cmp_eq_u32_e64 s3, 5, v82
	v_cmp_eq_u32_e64 s5, 6, v80
	v_cndmask_b32_e32 v1, v1, v11, vcc_lo
	v_cndmask_b32_e64 v3, v5, v11, s4
	v_cndmask_b32_e64 v5, v6, v15, s4
	;; [unrolled: 1-line block ×3, first 2 shown]
	v_cmp_eq_u32_e64 s4, 6, v82
	v_cndmask_b32_e64 v7, v10, v15, s3
	v_cndmask_b32_e64 v9, v13, v11, s2
	;; [unrolled: 1-line block ×3, first 2 shown]
	v_cndmask_b32_e32 v2, v2, v15, vcc_lo
	v_cmp_eq_u32_e32 vcc_lo, 6, v84
	v_cmp_eq_u32_e64 s2, 6, v83
	v_lshrrev_b32_e32 v12, 16, v4
	v_cndmask_b32_e64 v3, v3, v4, s5
	v_cndmask_b32_e64 v5, v5, v8, s5
	;; [unrolled: 1-line block ×4, first 2 shown]
	v_cndmask_b32_e32 v9, v9, v4, vcc_lo
	v_cmp_eq_u32_e64 s3, 7, v84
	v_cndmask_b32_e32 v10, v10, v8, vcc_lo
	v_cndmask_b32_e64 v1, v1, v4, s2
	v_cmp_eq_u32_e32 vcc_lo, 7, v83
	v_cndmask_b32_e64 v2, v2, v8, s2
	v_cmp_eq_u32_e64 s2, 7, v80
	v_cmp_eq_u32_e64 s4, 7, v82
	v_cndmask_b32_e32 v1, v1, v12, vcc_lo
	s_delay_alu instid0(VALU_DEP_4) | instskip(NEXT) | instid1(VALU_DEP_4)
	v_cndmask_b32_e32 v2, v2, v16, vcc_lo
	v_cndmask_b32_e64 v8, v3, v12, s2
	s_delay_alu instid0(VALU_DEP_4)
	v_cndmask_b32_e64 v6, v6, v12, s4
	v_cndmask_b32_e64 v3, v9, v12, s3
	;; [unrolled: 1-line block ×5, first 2 shown]
	v_perm_b32 v4, v2, v1, 0x5040100
	s_delay_alu instid0(VALU_DEP_4) | instskip(NEXT) | instid1(VALU_DEP_4)
	v_perm_b32 v3, v9, v3, 0x5040100
	v_perm_b32 v2, v7, v6, 0x5040100
	s_delay_alu instid0(VALU_DEP_4)
	v_perm_b32 v1, v5, v8, 0x5040100
	ds_store_b128 v78, v[1:4]
	s_waitcnt lgkmcnt(0)
	s_barrier
	buffer_gl0_inv
	s_and_saveexec_b32 s2, s31
	s_cbranch_execz .LBB171_2
; %bb.17:
	s_load_b64 s[0:1], s[0:1], 0x68
	v_lshlrev_b32_e32 v0, 10, v0
	s_lshl_b32 s2, s35, 6
	v_lshlrev_b32_e32 v1, 4, v77
	v_mul_lo_u32 v4, s2, v76
	s_mul_i32 s3, s2, s30
	v_and_b32_e32 v0, 0x3800, v0
	s_mul_i32 s2, s3, s6
	s_delay_alu instid0(SALU_CYCLE_1) | instskip(NEXT) | instid1(VALU_DEP_1)
	s_ashr_i32 s3, s2, 31
	v_or3_b32 v0, v0, v75, v1
	s_lshl_b64 s[2:3], s[2:3], 1
	s_delay_alu instid0(VALU_DEP_3)
	v_ashrrev_i32_e32 v5, 31, v4
	ds_load_b128 v[0:3], v0
	v_lshlrev_b64 v[4:5], 1, v[4:5]
	s_waitcnt lgkmcnt(0)
	s_add_u32 s2, s0, s2
	s_addc_u32 s3, s1, s3
	s_lshl_b32 s0, s14, 6
	s_delay_alu instid0(SALU_CYCLE_1) | instskip(NEXT) | instid1(SALU_CYCLE_1)
	s_ashr_i32 s1, s0, 31
	s_lshl_b64 s[0:1], s[0:1], 1
	s_delay_alu instid0(SALU_CYCLE_1) | instskip(SKIP_3) | instid1(VALU_DEP_2)
	s_add_u32 s0, s2, s0
	s_addc_u32 s1, s3, s1
	v_add_co_u32 v4, vcc_lo, s0, v4
	v_add_co_ci_u32_e32 v5, vcc_lo, s1, v5, vcc_lo
	v_add_co_u32 v4, vcc_lo, v4, v73
	s_delay_alu instid0(VALU_DEP_2)
	v_add_co_ci_u32_e32 v5, vcc_lo, v5, v74, vcc_lo
	global_store_b128 v[4:5], v[0:3], off
	s_nop 0
	s_sendmsg sendmsg(MSG_DEALLOC_VGPRS)
	s_endpgm
	.section	.rodata,"a",@progbits
	.p2align	6, 0x0
	.amdhsa_kernel _Z39paged_attention_ll4mi_QKV_mfma16_kernelIDF16_DF16_LN4vllm18Fp8KVCacheDataTypeE0EDF16_Li32ELi64ELi256ELb1ELi2EL8MFMAType0EEvPKT_PKT0_S8_ifPKiSA_SA_iPKfiiiPfSD_PS3_PT2_iSC_SC_
		.amdhsa_group_segment_fixed_size 17472
		.amdhsa_private_segment_fixed_size 0
		.amdhsa_kernarg_size 400
		.amdhsa_user_sgpr_count 13
		.amdhsa_user_sgpr_dispatch_ptr 0
		.amdhsa_user_sgpr_queue_ptr 0
		.amdhsa_user_sgpr_kernarg_segment_ptr 1
		.amdhsa_user_sgpr_dispatch_id 0
		.amdhsa_user_sgpr_private_segment_size 0
		.amdhsa_wavefront_size32 1
		.amdhsa_uses_dynamic_stack 0
		.amdhsa_enable_private_segment 0
		.amdhsa_system_sgpr_workgroup_id_x 1
		.amdhsa_system_sgpr_workgroup_id_y 1
		.amdhsa_system_sgpr_workgroup_id_z 1
		.amdhsa_system_sgpr_workgroup_info 0
		.amdhsa_system_vgpr_workitem_id 0
		.amdhsa_next_free_vgpr 156
		.amdhsa_next_free_sgpr 40
		.amdhsa_reserve_vcc 1
		.amdhsa_float_round_mode_32 0
		.amdhsa_float_round_mode_16_64 0
		.amdhsa_float_denorm_mode_32 3
		.amdhsa_float_denorm_mode_16_64 3
		.amdhsa_dx10_clamp 1
		.amdhsa_ieee_mode 1
		.amdhsa_fp16_overflow 0
		.amdhsa_workgroup_processor_mode 1
		.amdhsa_memory_ordered 1
		.amdhsa_forward_progress 0
		.amdhsa_shared_vgpr_count 0
		.amdhsa_exception_fp_ieee_invalid_op 0
		.amdhsa_exception_fp_denorm_src 0
		.amdhsa_exception_fp_ieee_div_zero 0
		.amdhsa_exception_fp_ieee_overflow 0
		.amdhsa_exception_fp_ieee_underflow 0
		.amdhsa_exception_fp_ieee_inexact 0
		.amdhsa_exception_int_div_zero 0
	.end_amdhsa_kernel
	.section	.text._Z39paged_attention_ll4mi_QKV_mfma16_kernelIDF16_DF16_LN4vllm18Fp8KVCacheDataTypeE0EDF16_Li32ELi64ELi256ELb1ELi2EL8MFMAType0EEvPKT_PKT0_S8_ifPKiSA_SA_iPKfiiiPfSD_PS3_PT2_iSC_SC_,"axG",@progbits,_Z39paged_attention_ll4mi_QKV_mfma16_kernelIDF16_DF16_LN4vllm18Fp8KVCacheDataTypeE0EDF16_Li32ELi64ELi256ELb1ELi2EL8MFMAType0EEvPKT_PKT0_S8_ifPKiSA_SA_iPKfiiiPfSD_PS3_PT2_iSC_SC_,comdat
.Lfunc_end171:
	.size	_Z39paged_attention_ll4mi_QKV_mfma16_kernelIDF16_DF16_LN4vllm18Fp8KVCacheDataTypeE0EDF16_Li32ELi64ELi256ELb1ELi2EL8MFMAType0EEvPKT_PKT0_S8_ifPKiSA_SA_iPKfiiiPfSD_PS3_PT2_iSC_SC_, .Lfunc_end171-_Z39paged_attention_ll4mi_QKV_mfma16_kernelIDF16_DF16_LN4vllm18Fp8KVCacheDataTypeE0EDF16_Li32ELi64ELi256ELb1ELi2EL8MFMAType0EEvPKT_PKT0_S8_ifPKiSA_SA_iPKfiiiPfSD_PS3_PT2_iSC_SC_
                                        ; -- End function
	.section	.AMDGPU.csdata,"",@progbits
; Kernel info:
; codeLenInByte = 7008
; NumSgprs: 42
; NumVgprs: 156
; ScratchSize: 0
; MemoryBound: 0
; FloatMode: 240
; IeeeMode: 1
; LDSByteSize: 17472 bytes/workgroup (compile time only)
; SGPRBlocks: 5
; VGPRBlocks: 19
; NumSGPRsForWavesPerEU: 42
; NumVGPRsForWavesPerEU: 156
; Occupancy: 9
; WaveLimiterHint : 1
; COMPUTE_PGM_RSRC2:SCRATCH_EN: 0
; COMPUTE_PGM_RSRC2:USER_SGPR: 13
; COMPUTE_PGM_RSRC2:TRAP_HANDLER: 0
; COMPUTE_PGM_RSRC2:TGID_X_EN: 1
; COMPUTE_PGM_RSRC2:TGID_Y_EN: 1
; COMPUTE_PGM_RSRC2:TGID_Z_EN: 1
; COMPUTE_PGM_RSRC2:TIDIG_COMP_CNT: 0
	.section	.text._Z39paged_attention_ll4mi_QKV_mfma16_kernelIDF16_DF16_LN4vllm18Fp8KVCacheDataTypeE0EDF16_Li32ELi64ELi256ELb1ELi3EL8MFMAType0EEvPKT_PKT0_S8_ifPKiSA_SA_iPKfiiiPfSD_PS3_PT2_iSC_SC_,"axG",@progbits,_Z39paged_attention_ll4mi_QKV_mfma16_kernelIDF16_DF16_LN4vllm18Fp8KVCacheDataTypeE0EDF16_Li32ELi64ELi256ELb1ELi3EL8MFMAType0EEvPKT_PKT0_S8_ifPKiSA_SA_iPKfiiiPfSD_PS3_PT2_iSC_SC_,comdat
	.protected	_Z39paged_attention_ll4mi_QKV_mfma16_kernelIDF16_DF16_LN4vllm18Fp8KVCacheDataTypeE0EDF16_Li32ELi64ELi256ELb1ELi3EL8MFMAType0EEvPKT_PKT0_S8_ifPKiSA_SA_iPKfiiiPfSD_PS3_PT2_iSC_SC_ ; -- Begin function _Z39paged_attention_ll4mi_QKV_mfma16_kernelIDF16_DF16_LN4vllm18Fp8KVCacheDataTypeE0EDF16_Li32ELi64ELi256ELb1ELi3EL8MFMAType0EEvPKT_PKT0_S8_ifPKiSA_SA_iPKfiiiPfSD_PS3_PT2_iSC_SC_
	.globl	_Z39paged_attention_ll4mi_QKV_mfma16_kernelIDF16_DF16_LN4vllm18Fp8KVCacheDataTypeE0EDF16_Li32ELi64ELi256ELb1ELi3EL8MFMAType0EEvPKT_PKT0_S8_ifPKiSA_SA_iPKfiiiPfSD_PS3_PT2_iSC_SC_
	.p2align	8
	.type	_Z39paged_attention_ll4mi_QKV_mfma16_kernelIDF16_DF16_LN4vllm18Fp8KVCacheDataTypeE0EDF16_Li32ELi64ELi256ELb1ELi3EL8MFMAType0EEvPKT_PKT0_S8_ifPKiSA_SA_iPKfiiiPfSD_PS3_PT2_iSC_SC_,@function
_Z39paged_attention_ll4mi_QKV_mfma16_kernelIDF16_DF16_LN4vllm18Fp8KVCacheDataTypeE0EDF16_Li32ELi64ELi256ELb1ELi3EL8MFMAType0EEvPKT_PKT0_S8_ifPKiSA_SA_iPKfiiiPfSD_PS3_PT2_iSC_SC_: ; @_Z39paged_attention_ll4mi_QKV_mfma16_kernelIDF16_DF16_LN4vllm18Fp8KVCacheDataTypeE0EDF16_Li32ELi64ELi256ELb1ELi3EL8MFMAType0EEvPKT_PKT0_S8_ifPKiSA_SA_iPKfiiiPfSD_PS3_PT2_iSC_SC_
; %bb.0:
	s_load_b64 s[2:3], s[0:1], 0x30
	s_mov_b32 s34, s13
	s_waitcnt lgkmcnt(0)
	s_cmp_lg_u64 s[2:3], 0
	s_cselect_b32 s6, -1, 0
	s_ashr_i32 s35, s13, 31
	s_cmp_eq_u64 s[2:3], 0
	s_cbranch_scc1 .LBB172_3
; %bb.1:
	s_lshl_b64 s[4:5], s[34:35], 2
	s_delay_alu instid0(SALU_CYCLE_1) | instskip(SKIP_4) | instid1(SALU_CYCLE_1)
	s_add_u32 s4, s2, s4
	s_addc_u32 s5, s3, s5
	s_load_b64 s[4:5], s[4:5], 0x0
	s_waitcnt lgkmcnt(0)
	s_sub_i32 s4, s5, s4
	s_cmp_eq_u32 s4, 1
	s_cselect_b32 s4, -1, 0
	s_delay_alu instid0(SALU_CYCLE_1)
	s_and_not1_b32 vcc_lo, exec_lo, s4
	s_cbranch_vccz .LBB172_4
.LBB172_2:
	s_nop 0
	s_sendmsg sendmsg(MSG_DEALLOC_VGPRS)
	s_endpgm
.LBB172_3:
.LBB172_4:
	s_load_b64 s[8:9], s[0:1], 0x28
	s_lshl_b64 s[4:5], s[34:35], 2
	s_waitcnt lgkmcnt(0)
	s_add_u32 s8, s8, s4
	s_addc_u32 s9, s9, s5
	s_lshl_b32 s16, s14, 8
	s_load_b32 s18, s[8:9], 0x0
	s_waitcnt lgkmcnt(0)
	s_cmp_ge_i32 s16, s18
	s_cbranch_scc1 .LBB172_2
; %bb.5:
	s_and_not1_b32 vcc_lo, exec_lo, s6
	s_cbranch_vccnz .LBB172_7
; %bb.6:
	s_add_u32 s2, s2, s4
	s_addc_u32 s3, s3, s5
	s_load_b32 s17, s[2:3], 0x0
	s_branch .LBB172_8
.LBB172_7:
	s_mov_b32 s17, s34
.LBB172_8:
	s_clause 0x2
	s_load_b128 s[8:11], s[0:1], 0x8
	s_load_b64 s[12:13], s[0:1], 0x20
	s_load_b128 s[4:7], s[0:1], 0x48
	v_lshrrev_b32_e32 v78, 5, v0
	v_bfe_u32 v75, v0, 4, 1
	v_and_b32_e32 v77, 15, v0
	s_delay_alu instid0(VALU_DEP_2) | instskip(NEXT) | instid1(VALU_DEP_2)
	v_lshl_or_b32 v3, v78, 1, v75
	v_cmp_lt_u32_e64 s3, 7, v77
	v_lshlrev_b32_e32 v1, 3, v77
	v_cmp_gt_u32_e64 s2, 8, v77
	s_delay_alu instid0(VALU_DEP_4) | instskip(NEXT) | instid1(VALU_DEP_4)
	v_cmp_lt_u32_e32 vcc_lo, 2, v3
	s_or_b32 s3, s3, vcc_lo
	s_waitcnt lgkmcnt(0)
	s_and_saveexec_b32 s7, s3
	s_delay_alu instid0(SALU_CYCLE_1)
	s_xor_b32 s3, exec_lo, s7
; %bb.9:
	v_mov_b32_e32 v2, 0
                                        ; implicit-def: $vgpr3
; %bb.10:
	s_or_saveexec_b32 s3, s3
	v_and_b32_e32 v80, 31, v0
	v_and_b32_e32 v76, 1, v0
	s_mul_i32 s33, s15, 3
	s_xor_b32 exec_lo, exec_lo, s3
	s_cbranch_execz .LBB172_12
; %bb.11:
	s_load_b64 s[20:21], s[0:1], 0x0
	v_add_lshl_u32 v4, v3, s33, 6
	s_mul_hi_i32 s23, s17, s4
	s_mul_i32 s22, s17, s4
	v_lshlrev_b32_e32 v2, 1, v1
	s_lshl_b64 s[22:23], s[22:23], 1
	v_ashrrev_i32_e32 v5, 31, v4
	v_lshlrev_b32_e32 v3, 6, v3
	v_lshlrev_b32_e32 v8, 10, v76
	s_delay_alu instid0(VALU_DEP_3) | instskip(SKIP_3) | instid1(VALU_DEP_1)
	v_lshlrev_b64 v[4:5], 1, v[4:5]
	s_waitcnt lgkmcnt(0)
	s_add_u32 s4, s20, s22
	s_addc_u32 s7, s21, s23
	v_add_co_u32 v4, vcc_lo, s4, v4
	s_delay_alu instid0(VALU_DEP_2) | instskip(NEXT) | instid1(VALU_DEP_2)
	v_add_co_ci_u32_e32 v5, vcc_lo, s7, v5, vcc_lo
	v_add_co_u32 v4, vcc_lo, v4, v2
	s_delay_alu instid0(VALU_DEP_2) | instskip(SKIP_3) | instid1(VALU_DEP_1)
	v_add_co_ci_u32_e32 v5, vcc_lo, 0, v5, vcc_lo
	v_lshlrev_b32_e32 v2, 10, v77
	global_load_b128 v[4:7], v[4:5], off
	v_and_b32_e32 v2, 0x3800, v2
	v_or3_b32 v3, v2, v8, v3
	v_mov_b32_e32 v2, 0
	s_waitcnt vmcnt(0)
	ds_store_b128 v3, v[4:7]
.LBB172_12:
	s_or_b32 exec_lo, exec_lo, s3
	v_and_b32_e32 v3, 0xef, v0
	s_add_i32 s3, s18, 31
	s_clause 0x1
	s_load_b32 s4, s[0:1], 0x38
	s_load_b32 s35, s[0:1], 0x98
	s_ashr_i32 s7, s3, 31
	v_add_nc_u32_e32 v3, s16, v3
	s_lshr_b32 s7, s7, 27
	s_load_b32 s19, s[0:1], 0x1c
	s_add_i32 s3, s3, s7
	s_waitcnt lgkmcnt(0)
	v_ashrrev_i32_e32 v4, 31, v3
	v_cmp_gt_i32_e32 vcc_lo, s18, v3
	s_ashr_i32 s3, s3, 5
	s_barrier
	s_add_i32 s3, s3, -1
	v_lshrrev_b32_e32 v5, 27, v4
	v_or_b32_e32 v4, 16, v3
	buffer_gl0_inv
	s_mul_i32 s6, s15, s6
	v_lshlrev_b64 v[73:74], 1, v[1:2]
	v_add_nc_u32_e32 v6, v3, v5
	v_add_nc_u32_e32 v5, v4, v5
	s_mul_i32 s20, s34, s4
	s_delay_alu instid0(SALU_CYCLE_1) | instskip(NEXT) | instid1(VALU_DEP_2)
	s_ashr_i32 s21, s20, 31
	v_ashrrev_i32_e32 v6, 5, v6
	s_delay_alu instid0(VALU_DEP_2) | instskip(SKIP_1) | instid1(SALU_CYCLE_1)
	v_ashrrev_i32_e32 v5, 5, v5
	s_lshl_b64 s[20:21], s[20:21], 2
	s_add_u32 s4, s12, s20
	s_delay_alu instid0(VALU_DEP_2) | instskip(SKIP_3) | instid1(SALU_CYCLE_1)
	v_cndmask_b32_e32 v3, s3, v6, vcc_lo
	v_cmp_gt_i32_e32 vcc_lo, s18, v4
	s_addc_u32 s17, s13, s21
	s_ashr_i32 s7, s6, 31
	s_lshl_b64 s[6:7], s[6:7], 1
	v_cndmask_b32_e32 v5, s3, v5, vcc_lo
	v_ashrrev_i32_e32 v4, 31, v3
	s_add_u32 s15, s8, s6
	s_addc_u32 s28, s9, s7
	s_lshl_b32 s8, s14, 3
	v_ashrrev_i32_e32 v6, 31, v5
	v_lshlrev_b64 v[3:4], 2, v[3:4]
	s_ashr_i32 s9, s8, 31
	s_delay_alu instid0(SALU_CYCLE_1) | instskip(NEXT) | instid1(VALU_DEP_2)
	s_lshl_b64 s[8:9], s[8:9], 2
	v_lshlrev_b64 v[5:6], 2, v[5:6]
	s_add_u32 s8, s4, s8
	s_delay_alu instid0(VALU_DEP_2) | instskip(SKIP_1) | instid1(VALU_DEP_3)
	v_add_co_u32 v3, vcc_lo, s4, v3
	v_add_co_ci_u32_e32 v4, vcc_lo, s17, v4, vcc_lo
	v_add_co_u32 v5, vcc_lo, s4, v5
	s_delay_alu instid0(VALU_DEP_4)
	v_add_co_ci_u32_e32 v6, vcc_lo, s17, v6, vcc_lo
	s_addc_u32 s9, s17, s9
	s_clause 0x1
	global_load_b32 v7, v[3:4], off
	global_load_b32 v8, v[5:6], off
	s_or_b32 s12, s16, 32
	s_delay_alu instid0(SALU_CYCLE_1) | instskip(SKIP_2) | instid1(SALU_CYCLE_1)
	s_ashr_i32 s13, s12, 5
	s_cmp_lt_i32 s12, s18
	s_cselect_b32 s12, s13, s3
	s_ashr_i32 s13, s12, 31
	s_delay_alu instid0(SALU_CYCLE_1) | instskip(NEXT) | instid1(SALU_CYCLE_1)
	s_lshl_b64 s[12:13], s[12:13], 2
	s_add_u32 s12, s4, s12
	s_addc_u32 s13, s17, s13
	s_or_b32 s20, s16, 64
	s_delay_alu instid0(SALU_CYCLE_1) | instskip(SKIP_2) | instid1(SALU_CYCLE_1)
	s_ashr_i32 s21, s20, 5
	s_cmp_lt_i32 s20, s18
	s_cselect_b32 s20, s21, s3
	s_ashr_i32 s21, s20, 31
	s_delay_alu instid0(SALU_CYCLE_1) | instskip(NEXT) | instid1(SALU_CYCLE_1)
	s_lshl_b64 s[20:21], s[20:21], 2
	s_add_u32 s20, s4, s20
	s_addc_u32 s21, s17, s21
	;; [unrolled: 10-line block ×5, first 2 shown]
	s_clause 0x5
	s_load_b32 s29, s[8:9], 0x0
	s_load_b32 s30, s[12:13], 0x0
	;; [unrolled: 1-line block ×6, first 2 shown]
	s_or_b32 s8, s16, 0xc0
	s_mov_b32 s20, 0
	s_ashr_i32 s9, s8, 5
	s_cmp_lt_i32 s8, s18
	s_mov_b32 s27, s20
	s_cselect_b32 s8, s9, s3
	s_mov_b32 s21, s20
	s_ashr_i32 s9, s8, 31
	s_mov_b32 s22, s20
	s_lshl_b64 s[8:9], s[8:9], 2
	s_mov_b32 s23, s20
	s_add_u32 s8, s4, s8
	s_mov_b32 s24, s20
	s_mov_b32 s25, s20
	;; [unrolled: 1-line block ×3, first 2 shown]
	s_addc_u32 s9, s17, s9
	v_dual_mov_b32 v128, s27 :: v_dual_lshlrev_b32 v79, 6, v77
	v_dual_mov_b32 v122, s21 :: v_dual_mov_b32 v127, s26
	v_dual_mov_b32 v126, s25 :: v_dual_mov_b32 v125, s24
	;; [unrolled: 1-line block ×3, first 2 shown]
	v_mov_b32_e32 v121, s20
	s_waitcnt lgkmcnt(0)
	s_mul_hi_i32 s13, s29, s5
	s_mul_i32 s12, s29, s5
	v_lshl_or_b32 v33, v78, 10, v79
	s_mul_hi_i32 s21, s30, s5
	s_mul_i32 s20, s30, s5
	s_mul_hi_i32 s25, s31, s5
	s_mul_i32 s24, s31, s5
	;; [unrolled: 2-line block ×4, first 2 shown]
	s_waitcnt vmcnt(1)
	v_mad_i64_i32 v[3:4], null, v7, s5, 0
	s_waitcnt vmcnt(0)
	v_mad_i64_i32 v[5:6], null, v8, s5, 0
	s_delay_alu instid0(VALU_DEP_2) | instskip(NEXT) | instid1(VALU_DEP_2)
	v_lshlrev_b64 v[3:4], 1, v[3:4]
	v_lshlrev_b64 v[1:2], 1, v[5:6]
	s_delay_alu instid0(VALU_DEP_2) | instskip(NEXT) | instid1(VALU_DEP_3)
	v_add_co_u32 v3, vcc_lo, s15, v3
	v_add_co_ci_u32_e32 v4, vcc_lo, s28, v4, vcc_lo
	s_delay_alu instid0(VALU_DEP_3) | instskip(NEXT) | instid1(VALU_DEP_4)
	v_add_co_u32 v1, vcc_lo, s15, v1
	v_add_co_ci_u32_e32 v2, vcc_lo, s28, v2, vcc_lo
	s_delay_alu instid0(VALU_DEP_4) | instskip(NEXT) | instid1(VALU_DEP_4)
	v_add_co_u32 v25, vcc_lo, v3, v73
	v_add_co_ci_u32_e32 v26, vcc_lo, v4, v74, vcc_lo
	s_delay_alu instid0(VALU_DEP_4) | instskip(NEXT) | instid1(VALU_DEP_4)
	v_add_co_u32 v27, vcc_lo, v1, v73
	v_add_co_ci_u32_e32 v28, vcc_lo, v2, v74, vcc_lo
	s_clause 0xf
	global_load_b128 v[1:4], v[25:26], off
	global_load_b128 v[5:8], v[25:26], off offset:512
	global_load_b128 v[9:12], v[27:28], off offset:256
	;; [unrolled: 1-line block ×15, first 2 shown]
	v_mul_lo_u16 v25, 0x56, v77
	s_or_b32 s15, s16, 0xe0
	s_delay_alu instid0(SALU_CYCLE_1) | instskip(SKIP_1) | instid1(VALU_DEP_1)
	s_ashr_i32 s22, s15, 5
	s_cmp_lt_i32 s15, s18
	v_lshrrev_b16 v25, 8, v25
	s_cselect_b32 s22, s22, s3
	s_delay_alu instid0(SALU_CYCLE_1) | instskip(NEXT) | instid1(VALU_DEP_1)
	s_ashr_i32 s23, s22, 31
	v_mul_lo_u16 v25, v25, 3
	s_lshl_b64 s[22:23], s[22:23], 2
	s_delay_alu instid0(SALU_CYCLE_1) | instskip(SKIP_1) | instid1(VALU_DEP_1)
	s_add_u32 s22, s4, s22
	s_addc_u32 s23, s17, s23
	v_sub_nc_u16 v25, v77, v25
	s_add_i32 s15, s16, 0x100
	s_delay_alu instid0(SALU_CYCLE_1) | instskip(SKIP_1) | instid1(VALU_DEP_1)
	s_ashr_i32 s28, s15, 5
	s_cmp_lt_i32 s15, s18
	v_and_b32_e32 v25, 0xff, v25
	s_cselect_b32 s28, s28, s3
	s_delay_alu instid0(SALU_CYCLE_1) | instskip(NEXT) | instid1(VALU_DEP_1)
	s_ashr_i32 s29, s28, 31
	v_lshlrev_b32_e32 v151, 6, v25
	s_lshl_b64 s[28:29], s[28:29], 2
	ds_load_b128 v[25:28], v151
	ds_load_b128 v[29:32], v151 offset:1024
	s_add_u32 s28, s4, s28
	s_addc_u32 s29, s17, s29
	s_add_u32 s3, s10, s6
	ds_load_b128 v[129:132], v151 offset:2048
	ds_load_b128 v[133:136], v151 offset:3072
	s_clause 0x2
	s_load_b32 s15, s[8:9], 0x0
	s_load_b32 s4, s[22:23], 0x0
	;; [unrolled: 1-line block ×3, first 2 shown]
	s_addc_u32 s28, s11, s7
	v_add_co_u32 v152, s3, s3, v33
	s_delay_alu instid0(VALU_DEP_1) | instskip(SKIP_2) | instid1(VALU_DEP_2)
	v_add_co_ci_u32_e64 v153, null, s28, 0, s3
	s_lshl_b64 s[6:7], s[12:13], 1
	s_lshl_b64 s[10:11], s[20:21], 1
	v_add_co_u32 v33, vcc_lo, v152, s6
	s_delay_alu instid0(VALU_DEP_2)
	v_add_co_ci_u32_e32 v34, vcc_lo, s7, v153, vcc_lo
	v_add_co_u32 v35, vcc_lo, v152, s10
	s_lshl_b64 s[12:13], s[24:25], 1
	v_add_co_ci_u32_e32 v36, vcc_lo, s11, v153, vcc_lo
	v_add_co_u32 v37, vcc_lo, v152, s12
	s_lshl_b64 s[20:21], s[26:27], 1
	s_mul_hi_i32 s9, s37, s5
	s_mul_i32 s8, s37, s5
	v_add_co_ci_u32_e32 v38, vcc_lo, s13, v153, vcc_lo
	v_add_co_u32 v39, vcc_lo, v152, s20
	s_lshl_b64 s[8:9], s[8:9], 1
	v_add_co_ci_u32_e32 v40, vcc_lo, s21, v153, vcc_lo
	v_add_co_u32 v145, vcc_lo, v152, s8
	s_lshl_b64 s[22:23], s[30:31], 1
	s_waitcnt lgkmcnt(0)
	s_mul_hi_i32 s25, s15, s5
	s_mul_i32 s24, s15, s5
	v_add_co_ci_u32_e32 v146, vcc_lo, s9, v153, vcc_lo
	v_add_co_u32 v147, vcc_lo, v152, s22
	s_lshl_b64 s[24:25], s[24:25], 1
	v_add_co_ci_u32_e32 v148, vcc_lo, s23, v153, vcc_lo
	s_mul_hi_i32 s7, s4, s5
	s_mul_i32 s6, s4, s5
	v_add_co_u32 v149, vcc_lo, v152, s24
	s_lshl_b64 s[6:7], s[6:7], 1
	v_add_co_ci_u32_e32 v150, vcc_lo, s25, v153, vcc_lo
	s_clause 0x7
	global_load_b128 v[65:68], v[33:34], off
	global_load_b128 v[69:72], v[33:34], off offset:16
	global_load_b128 v[57:60], v[35:36], off
	global_load_b128 v[61:64], v[35:36], off offset:16
	;; [unrolled: 2-line block ×4, first 2 shown]
	s_waitcnt vmcnt(22)
	v_wmma_f32_16x16x16_f16 v[137:144], v[1:8], v[25:32], v[121:128]
	s_waitcnt vmcnt(20)
	v_wmma_f32_16x16x16_f16 v[121:128], v[9:16], v[25:32], v[121:128]
	v_add_co_u32 v29, vcc_lo, v152, s6
	v_add_co_ci_u32_e32 v30, vcc_lo, s7, v153, vcc_lo
	s_mul_hi_i32 s7, s17, s5
	s_mul_i32 s6, s17, s5
	s_waitcnt vmcnt(18)
	v_wmma_f32_16x16x16_f16 v[137:144], v[17:24], v[129:136], v[137:144]
	s_lshl_b64 s[4:5], s[6:7], 1
	s_clause 0x1
	global_load_b128 v[9:12], v[145:146], off
	global_load_b128 v[13:16], v[145:146], off offset:16
	v_add_co_u32 v21, vcc_lo, v152, s4
	v_add_co_ci_u32_e32 v22, vcc_lo, s5, v153, vcc_lo
	s_clause 0x7
	global_load_b128 v[1:4], v[147:148], off
	global_load_b128 v[5:8], v[147:148], off offset:16
	global_load_b128 v[33:36], v[149:150], off
	global_load_b128 v[37:40], v[149:150], off offset:16
	;; [unrolled: 2-line block ×4, first 2 shown]
	s_waitcnt vmcnt(26)
	v_wmma_f32_16x16x16_f16 v[121:128], v[81:88], v[129:136], v[121:128]
	ds_load_b128 v[81:84], v151 offset:4096
	ds_load_b128 v[85:88], v151 offset:5120
	v_mbcnt_lo_u32_b32 v130, -1, 0
	s_delay_alu instid0(VALU_DEP_1) | instskip(NEXT) | instid1(VALU_DEP_1)
	v_xor_b32_e32 v131, 16, v130
	v_cmp_gt_i32_e32 vcc_lo, 32, v131
	v_cndmask_b32_e32 v130, v130, v131, vcc_lo
	s_waitcnt vmcnt(24) lgkmcnt(0)
	v_wmma_f32_16x16x16_f16 v[137:144], v[89:96], v[81:88], v[137:144]
	ds_load_b128 v[89:92], v151 offset:6144
	ds_load_b128 v[93:96], v151 offset:7168
	s_waitcnt vmcnt(22)
	v_wmma_f32_16x16x16_f16 v[121:128], v[97:104], v[81:88], v[121:128]
	s_waitcnt vmcnt(0) lgkmcnt(0)
	s_barrier
	buffer_gl0_inv
	v_wmma_f32_16x16x16_f16 v[137:144], v[105:112], v[89:96], v[137:144]
	v_and_b32_e32 v129, 0xe0, v0
	v_wmma_f32_16x16x16_f16 v[121:128], v[113:120], v[89:96], v[121:128]
	s_delay_alu instid0(VALU_DEP_3) | instskip(NEXT) | instid1(VALU_DEP_2)
	v_mul_f32_e32 v96, s19, v137
	v_dual_mul_f32 v104, s19, v126 :: v_dual_add_nc_u32 v129, s16, v129
	v_mul_f32_e32 v95, s19, v138
	v_dual_mul_f32 v93, s19, v140 :: v_dual_mul_f32 v94, s19, v139
	s_delay_alu instid0(VALU_DEP_3) | instskip(SKIP_3) | instid1(VALU_DEP_4)
	v_or_b32_e32 v129, v129, v75
	v_dual_mul_f32 v91, s19, v142 :: v_dual_mul_f32 v106, s19, v124
	v_dual_mul_f32 v92, s19, v141 :: v_dual_mul_f32 v89, s19, v144
	v_mul_f32_e32 v108, s19, v122
	v_or_b32_e32 v131, 2, v129
	v_or_b32_e32 v132, 4, v129
	;; [unrolled: 1-line block ×3, first 2 shown]
	v_cmp_gt_i32_e32 vcc_lo, s18, v129
	v_or_b32_e32 v82, 8, v129
	v_cmp_gt_i32_e64 s3, s18, v131
	v_or_b32_e32 v83, 10, v129
	v_cmp_gt_i32_e64 s4, s18, v132
	v_cndmask_b32_e32 v96, 0xff7fffff, v96, vcc_lo
	v_cmp_gt_i32_e64 s5, s18, v81
	v_cndmask_b32_e64 v95, 0xff7fffff, v95, s3
	v_or_b32_e32 v84, 12, v129
	v_or_b32_e32 v85, 14, v129
	v_cndmask_b32_e64 v94, 0xff7fffff, v94, s4
	v_cndmask_b32_e64 v81, 0xff7fffff, v93, s5
	v_max3_f32 v93, v96, 0xff7fffff, v95
	v_cmp_gt_i32_e64 s6, s18, v82
	v_cmp_gt_i32_e64 s7, s18, v83
	v_or_b32_e32 v86, 16, v129
	v_or_b32_e32 v87, 18, v129
	v_mul_f32_e32 v90, s19, v143
	v_cndmask_b32_e64 v82, 0xff7fffff, v92, s6
	v_cndmask_b32_e64 v83, 0xff7fffff, v91, s7
	v_max3_f32 v81, v93, v94, v81
	v_cmp_gt_i32_e64 s8, s18, v84
	v_cmp_gt_i32_e64 s9, s18, v85
	v_or_b32_e32 v88, 20, v129
	v_or_b32_e32 v97, 22, v129
	v_mul_f32_e32 v109, s19, v121
	;; [unrolled: 8-line block ×4, first 2 shown]
	v_cndmask_b32_e64 v84, 0xff7fffff, v107, s12
	v_cndmask_b32_e64 v85, 0xff7fffff, v106, s13
	v_max3_f32 v81, v81, v82, v83
	v_cmp_gt_i32_e64 s15, s18, v98
	v_cmp_gt_i32_e64 s16, s18, v99
	v_dual_mul_f32 v102, s19, v128 :: v_dual_mul_f32 v103, s19, v127
	s_delay_alu instid0(VALU_DEP_4) | instskip(NEXT) | instid1(VALU_DEP_4)
	v_max3_f32 v81, v81, v84, v85
	v_cndmask_b32_e64 v82, 0xff7fffff, v105, s15
	s_delay_alu instid0(VALU_DEP_4) | instskip(SKIP_2) | instid1(VALU_DEP_3)
	v_cndmask_b32_e64 v83, 0xff7fffff, v104, s16
	v_cmp_gt_i32_e64 s17, s18, v100
	v_cmp_gt_i32_e64 s18, s18, v101
	v_max3_f32 v81, v81, v82, v83
	s_delay_alu instid0(VALU_DEP_3) | instskip(NEXT) | instid1(VALU_DEP_3)
	v_cndmask_b32_e64 v84, 0xff7fffff, v103, s17
	v_cndmask_b32_e64 v85, 0xff7fffff, v102, s18
	v_lshlrev_b32_e32 v83, 2, v130
	s_delay_alu instid0(VALU_DEP_2) | instskip(SKIP_3) | instid1(VALU_DEP_1)
	v_max3_f32 v81, v81, v84, v85
	ds_bpermute_b32 v82, v83, v81
	s_waitcnt lgkmcnt(0)
	v_max_f32_e32 v82, v82, v82
	v_max_f32_e32 v81, v81, v82
	s_delay_alu instid0(VALU_DEP_1)
	v_fma_f32 v82, s19, v137, -v81
	v_fma_f32 v84, s19, v138, -v81
	;; [unrolled: 1-line block ×5, first 2 shown]
	v_mul_f32_e32 v82, 0x3fb8aa3b, v82
	s_delay_alu instid0(VALU_DEP_4) | instskip(NEXT) | instid1(VALU_DEP_3)
	v_dual_mul_f32 v84, 0x3fb8aa3b, v84 :: v_dual_mul_f32 v89, 0x3fb8aa3b, v87
	v_mul_f32_e32 v86, 0x3fb8aa3b, v86
	s_delay_alu instid0(VALU_DEP_3) | instskip(NEXT) | instid1(VALU_DEP_2)
	v_exp_f32_e32 v82, v82
	v_exp_f32_e32 v84, v84
	s_delay_alu instid0(VALU_DEP_2) | instskip(NEXT) | instid1(VALU_DEP_1)
	v_exp_f32_e32 v92, v89
	v_exp_f32_e32 v86, v86
	v_cndmask_b32_e32 v88, 0, v82, vcc_lo
	s_delay_alu instid0(TRANS32_DEP_3)
	v_cndmask_b32_e64 v87, 0, v84, s3
	s_waitcnt_depctr 0xfff
	v_cndmask_b32_e64 v92, 0, v92, s6
	v_cmp_gt_u32_e64 s3, 16, v80
	v_cndmask_b32_e64 v89, 0, v86, s5
	v_add_f32_e32 v84, 0, v88
	s_delay_alu instid0(VALU_DEP_1) | instskip(NEXT) | instid1(VALU_DEP_1)
	v_dual_add_f32 v84, v84, v87 :: v_dual_mul_f32 v85, 0x3fb8aa3b, v85
	v_exp_f32_e32 v85, v85
	s_waitcnt_depctr 0xfff
	v_cndmask_b32_e64 v90, 0, v85, s4
	s_delay_alu instid0(VALU_DEP_1) | instskip(NEXT) | instid1(VALU_DEP_1)
	v_add_f32_e32 v84, v84, v90
	v_add_f32_e32 v84, v84, v89
	v_fma_f32 v82, s19, v142, -v81
	v_fma_f32 v91, s19, v143, -v81
	;; [unrolled: 1-line block ×5, first 2 shown]
	s_delay_alu instid0(VALU_DEP_4) | instskip(SKIP_1) | instid1(VALU_DEP_4)
	v_dual_mul_f32 v82, 0x3fb8aa3b, v82 :: v_dual_mul_f32 v91, 0x3fb8aa3b, v91
	v_fma_f32 v96, s19, v124, -v81
	v_mul_f32_e32 v86, 0x3fb8aa3b, v86
	v_fma_f32 v99, s19, v127, -v81
	s_delay_alu instid0(VALU_DEP_4) | instskip(SKIP_3) | instid1(VALU_DEP_1)
	v_exp_f32_e32 v82, v82
	v_exp_f32_e32 v93, v91
	v_mul_f32_e32 v97, 0x3fb8aa3b, v96
	v_exp_f32_e32 v86, v86
	v_exp_f32_e32 v97, v97
	v_cndmask_b32_e64 v91, 0, v82, s7
	v_dual_add_f32 v82, v84, v92 :: v_dual_mul_f32 v85, 0x3fb8aa3b, v85
	v_fma_f32 v84, s19, v123, -v81
	v_mul_f32_e32 v95, 0x3fb8aa3b, v94
	s_delay_alu instid0(TRANS32_DEP_3) | instskip(NEXT) | instid1(VALU_DEP_4)
	v_cndmask_b32_e64 v94, 0, v93, s8
	v_add_f32_e32 v82, v82, v91
	v_exp_f32_e32 v85, v85
	v_mul_f32_e32 v84, 0x3fb8aa3b, v84
	v_cndmask_b32_e64 v96, 0, v86, s10
	v_exp_f32_e32 v95, v95
	v_add_f32_e32 v82, v82, v94
	v_fma_f32 v86, s19, v126, -v81
	v_exp_f32_e32 v84, v84
	v_cndmask_b32_e64 v97, 0, v97, s13
	s_delay_alu instid0(TRANS32_DEP_3) | instskip(SKIP_2) | instid1(TRANS32_DEP_2)
	v_cndmask_b32_e64 v93, 0, v85, s9
	v_fma_f32 v85, s19, v125, -v81
	v_mul_f32_e32 v86, 0x3fb8aa3b, v86
	v_cndmask_b32_e64 v95, 0, v95, s11
	s_waitcnt_depctr 0xfff
	v_cndmask_b32_e64 v98, 0, v84, s12
	v_mul_f32_e32 v84, 0x3fb8aa3b, v99
	v_fma_f32 v99, s19, v128, -v81
	v_add_f32_e32 v82, v82, v93
	v_mul_f32_e32 v85, 0x3fb8aa3b, v85
	v_exp_f32_e32 v86, v86
	v_exp_f32_e32 v84, v84
	s_delay_alu instid0(VALU_DEP_1)
	v_exp_f32_e32 v85, v85
	s_waitcnt_depctr 0xfff
	v_cndmask_b32_e64 v102, 0, v84, s17
	v_cndmask_b32_e64 v100, 0, v85, s15
	v_dual_mul_f32 v85, 0x3fb8aa3b, v99 :: v_dual_add_f32 v82, v82, v96
	v_cndmask_b32_e64 v99, 0, v86, s16
	s_delay_alu instid0(VALU_DEP_2) | instskip(NEXT) | instid1(VALU_DEP_2)
	v_exp_f32_e32 v85, v85
	v_add_f32_e32 v82, v82, v95
	s_delay_alu instid0(VALU_DEP_1) | instskip(SKIP_3) | instid1(VALU_DEP_1)
	v_add_f32_e32 v82, v82, v98
	s_waitcnt_depctr 0xfff
	v_cndmask_b32_e64 v101, 0, v85, s18
	v_add_f32_e32 v82, v82, v97
	v_add_f32_e32 v82, v82, v100
	s_delay_alu instid0(VALU_DEP_1) | instskip(NEXT) | instid1(VALU_DEP_1)
	v_add_f32_e32 v82, v82, v99
	v_add_f32_e32 v82, v82, v102
	s_delay_alu instid0(VALU_DEP_1)
	v_add_f32_e32 v82, v82, v101
	ds_bpermute_b32 v83, v83, v82
	s_and_saveexec_b32 s4, s3
	s_cbranch_execz .LBB172_14
; %bb.13:
	v_mul_u32_u24_e32 v80, 0x44, v78
	s_waitcnt lgkmcnt(0)
	v_add_f32_e32 v82, v82, v83
	s_delay_alu instid0(VALU_DEP_2) | instskip(NEXT) | instid1(VALU_DEP_1)
	v_lshl_add_u32 v80, v77, 2, v80
	v_add_nc_u32_e32 v80, 0x4000, v80
	ds_store_2addr_b32 v80, v81, v82 offset1:136
.LBB172_14:
	s_or_b32 exec_lo, exec_lo, s4
	v_lshlrev_b32_e32 v80, 2, v77
	s_load_b32 s36, s[0:1], 0x94
	s_waitcnt lgkmcnt(0)
	s_barrier
	buffer_gl0_inv
	v_add_nc_u32_e32 v84, 0x4000, v80
	v_cmp_eq_u32_e32 vcc_lo, 1, v78
	v_cmp_eq_u32_e64 s4, 2, v78
	v_cmp_eq_u32_e64 s5, 3, v78
	;; [unrolled: 1-line block ×3, first 2 shown]
	ds_load_2addr_b32 v[80:81], v84 offset1:17
	ds_load_2addr_b32 v[82:83], v84 offset0:34 offset1:51
	ds_load_2addr_b32 v[103:104], v84 offset0:68 offset1:85
	;; [unrolled: 1-line block ×3, first 2 shown]
	v_cmp_eq_u32_e64 s7, 7, v78
	s_waitcnt lgkmcnt(3)
	v_max3_f32 v85, v80, 0xff7fffff, v81
	s_waitcnt lgkmcnt(2)
	s_delay_alu instid0(VALU_DEP_1) | instskip(SKIP_1) | instid1(VALU_DEP_1)
	v_max3_f32 v85, v85, v82, v83
	s_waitcnt lgkmcnt(1)
	v_max3_f32 v85, v85, v103, v104
	s_waitcnt lgkmcnt(0)
	s_delay_alu instid0(VALU_DEP_1) | instskip(NEXT) | instid1(VALU_DEP_1)
	v_max3_f32 v85, v85, v105, v106
	v_sub_f32_e32 v103, v103, v85
	ds_load_2addr_b32 v[107:108], v84 offset0:136 offset1:153
	v_sub_f32_e32 v80, v80, v85
	v_dual_sub_f32 v110, v83, v85 :: v_dual_mul_f32 v113, 0x3fb8aa3b, v103
	s_delay_alu instid0(VALU_DEP_2) | instskip(SKIP_3) | instid1(VALU_DEP_1)
	v_dual_sub_f32 v86, v81, v85 :: v_dual_mul_f32 v109, 0x3fb8aa3b, v80
	ds_load_2addr_b32 v[80:81], v84 offset0:170 offset1:187
	v_mul_f32_e32 v86, 0x3fb8aa3b, v86
	v_exp_f32_e32 v109, v109
	v_exp_f32_e32 v112, v86
	v_mul_f32_e32 v110, 0x3fb8aa3b, v110
	s_waitcnt lgkmcnt(1)
	s_waitcnt_depctr 0xfff
	v_fma_f32 v86, v109, v107, 0
	v_sub_f32_e32 v107, v104, v85
	v_sub_f32_e32 v82, v82, v85
	v_exp_f32_e32 v110, v110
	ds_load_2addr_b32 v[103:104], v84 offset0:238 offset1:255
	v_dual_fmac_f32 v86, v112, v108 :: v_dual_mul_f32 v111, 0x3fb8aa3b, v82
	ds_load_2addr_b32 v[82:83], v84 offset0:204 offset1:221
	v_dual_sub_f32 v84, v105, v85 :: v_dual_mul_f32 v105, 0x3fb8aa3b, v107
	v_exp_f32_e32 v107, v113
	v_exp_f32_e32 v111, v111
	s_waitcnt lgkmcnt(0)
	s_delay_alu instid0(VALU_DEP_1)
	v_mul_f32_e32 v84, 0x3fb8aa3b, v84
	v_exp_f32_e32 v105, v105
	s_barrier
	buffer_gl0_inv
	v_fmac_f32_e32 v86, v111, v80
	v_sub_f32_e32 v80, v106, v85
	v_exp_f32_e32 v106, v84
	s_delay_alu instid0(VALU_DEP_2) | instskip(NEXT) | instid1(VALU_DEP_2)
	v_fmac_f32_e32 v86, v110, v81
	v_mul_f32_e32 v80, 0x3fb8aa3b, v80
	s_delay_alu instid0(VALU_DEP_2) | instskip(NEXT) | instid1(VALU_DEP_2)
	v_dual_cndmask_b32 v81, v109, v112 :: v_dual_fmac_f32 v86, v107, v82
	v_exp_f32_e32 v108, v80
	s_delay_alu instid0(VALU_DEP_1) | instskip(SKIP_2) | instid1(VALU_DEP_1)
	v_fmac_f32_e32 v86, v105, v83
	s_waitcnt_depctr 0xfff
	v_fmac_f32_e32 v86, v106, v103
	v_fmac_f32_e32 v86, v108, v104
	s_delay_alu instid0(VALU_DEP_1) | instskip(NEXT) | instid1(VALU_DEP_1)
	v_add_f32_e32 v103, 0x358637bd, v86
	v_div_scale_f32 v104, null, v103, v103, 1.0
	v_div_scale_f32 v109, vcc_lo, 1.0, v103, 1.0
	s_delay_alu instid0(VALU_DEP_2) | instskip(SKIP_2) | instid1(VALU_DEP_1)
	v_rcp_f32_e32 v113, v104
	s_waitcnt_depctr 0xfff
	v_fma_f32 v80, -v104, v113, 1.0
	v_fmac_f32_e32 v113, v80, v113
	v_cndmask_b32_e64 v80, v81, v111, s4
	v_cmp_eq_u32_e64 s4, 4, v78
	v_lshl_or_b32 v81, v78, 11, v79
	s_delay_alu instid0(VALU_DEP_4) | instskip(NEXT) | instid1(VALU_DEP_4)
	v_mul_f32_e32 v111, v109, v113
	v_cndmask_b32_e64 v82, v80, v110, s5
	v_cmp_eq_u32_e64 s5, 6, v78
	s_delay_alu instid0(VALU_DEP_4) | instskip(SKIP_3) | instid1(VALU_DEP_3)
	v_lshl_or_b32 v78, v75, 4, v81
	v_lshlrev_b32_e32 v80, 2, v75
	v_fma_f32 v83, -v104, v111, v109
	v_cndmask_b32_e64 v84, v82, v107, s4
	v_or_b32_e32 v82, 1, v80
	s_delay_alu instid0(VALU_DEP_3) | instskip(NEXT) | instid1(VALU_DEP_3)
	v_fmac_f32_e32 v111, v83, v113
	v_cndmask_b32_e64 v105, v84, v105, s6
	v_or_b32_e32 v84, 2, v80
	v_or_b32_e32 v83, 3, v80
	v_cmp_eq_u32_e64 s4, 1, v80
	v_fma_f32 v104, -v104, v111, v109
	v_cndmask_b32_e64 v105, v105, v106, s5
	v_cmp_eq_u32_e64 s10, 1, v82
	v_cmp_eq_u32_e64 s11, 1, v84
	;; [unrolled: 1-line block ×3, first 2 shown]
	v_div_fmas_f32 v104, v104, v113, v111
	v_cndmask_b32_e64 v105, v105, v108, s7
	v_cmp_eq_u32_e32 vcc_lo, 2, v80
	v_cmp_eq_u32_e64 s13, 2, v82
	v_cmp_eq_u32_e64 s16, 2, v84
	v_div_fixup_f32 v103, v104, v103, 1.0
	v_cmp_eq_u32_e64 s17, 2, v83
	v_cmp_eq_u32_e64 s19, 3, v83
	;; [unrolled: 1-line block ×4, first 2 shown]
	v_mul_f32_e32 v111, v105, v103
	v_cmp_eq_u32_e64 s18, 3, v84
	v_cmp_eq_u32_e64 s23, 4, v83
	;; [unrolled: 1-line block ×4, first 2 shown]
	v_fma_mixlo_f16 v103, v111, v88, 0
	v_fma_mixlo_f16 v104, v111, v90, 0
	;; [unrolled: 1-line block ×8, first 2 shown]
	v_fma_mixhi_f16 v103, v111, v87, 0
	v_fma_mixhi_f16 v104, v111, v89, 0
	;; [unrolled: 1-line block ×8, first 2 shown]
	ds_store_b128 v78, v[103:106]
	ds_store_b128 v78, v[107:110] offset:1024
	s_waitcnt lgkmcnt(0)
	s_barrier
	buffer_gl0_inv
	ds_load_b128 v[87:90], v81
	ds_load_b128 v[91:94], v81 offset:16
	ds_load_b128 v[95:98], v81 offset:1024
	;; [unrolled: 1-line block ×3, first 2 shown]
	v_cmp_eq_u32_e64 s22, 4, v84
	v_cmp_eq_u32_e64 s25, 5, v83
	;; [unrolled: 1-line block ×13, first 2 shown]
	s_waitcnt lgkmcnt(3)
	v_lshrrev_b32_e32 v103, 16, v87
	s_waitcnt lgkmcnt(2)
	v_lshrrev_b32_e32 v107, 16, v91
	;; [unrolled: 2-line block ×4, first 2 shown]
	v_lshrrev_b32_e32 v104, 16, v88
	v_cndmask_b32_e64 v119, v87, v103, s4
	v_cndmask_b32_e64 v120, v91, v107, s4
	;; [unrolled: 1-line block ×8, first 2 shown]
	v_lshrrev_b32_e32 v108, 16, v92
	v_cndmask_b32_e64 v103, v95, v111, s4
	v_cndmask_b32_e64 v107, v99, v115, s4
	;; [unrolled: 1-line block ×5, first 2 shown]
	v_cndmask_b32_e32 v111, v119, v88, vcc_lo
	v_cndmask_b32_e64 v119, v121, v88, s13
	v_cndmask_b32_e64 v121, v123, v88, s16
	;; [unrolled: 1-line block ×4, first 2 shown]
	v_lshrrev_b32_e32 v112, 16, v96
	v_lshrrev_b32_e32 v116, 16, v100
	v_cndmask_b32_e64 v126, v99, v115, s10
	v_cndmask_b32_e64 v128, v99, v115, s11
	;; [unrolled: 1-line block ×3, first 2 shown]
	v_cndmask_b32_e32 v115, v120, v92, vcc_lo
	v_cndmask_b32_e64 v120, v122, v92, s13
	v_cndmask_b32_e64 v122, v124, v92, s16
	v_cndmask_b32_e32 v91, v103, v96, vcc_lo
	v_cndmask_b32_e32 v92, v107, v100, vcc_lo
	v_cndmask_b32_e64 v103, v125, v96, s13
	v_cndmask_b32_e64 v87, v87, v104, s19
	;; [unrolled: 1-line block ×3, first 2 shown]
	v_lshrrev_b32_e32 v105, 16, v89
	v_lshrrev_b32_e32 v109, 16, v93
	v_cndmask_b32_e64 v107, v127, v96, s16
	v_cndmask_b32_e64 v95, v95, v96, s17
	;; [unrolled: 1-line block ×14, first 2 shown]
	v_lshrrev_b32_e32 v113, 16, v97
	v_cndmask_b32_e64 v99, v99, v89, s6
	v_cndmask_b32_e64 v104, v111, v93, s6
	;; [unrolled: 1-line block ×11, first 2 shown]
	v_lshrrev_b32_e32 v106, 16, v90
	v_lshrrev_b32_e32 v110, 16, v94
	v_cndmask_b32_e64 v93, v99, v105, s7
	v_cndmask_b32_e64 v99, v104, v109, s7
	;; [unrolled: 1-line block ×9, first 2 shown]
	v_lshrrev_b32_e32 v114, 16, v98
	v_cndmask_b32_e64 v89, v89, v113, s7
	v_cndmask_b32_e64 v93, v93, v90, s8
	;; [unrolled: 1-line block ×19, first 2 shown]
	v_perm_b32 v90, v88, v87, 0x5040100
	v_cndmask_b32_e64 v87, v126, v100, s13
	v_cndmask_b32_e64 v105, v89, v114, s9
	v_perm_b32 v89, v103, v99, 0x5040100
	v_perm_b32 v88, v104, v94, 0x5040100
	v_cndmask_b32_e64 v94, v107, v112, s18
	v_cndmask_b32_e64 v95, v95, v112, s19
	;; [unrolled: 1-line block ×5, first 2 shown]
	v_lshrrev_b32_e32 v117, 16, v101
	v_cndmask_b32_e64 v94, v94, v97, s22
	v_cndmask_b32_e64 v95, v95, v97, s23
	;; [unrolled: 1-line block ×11, first 2 shown]
	v_lshrrev_b32_e32 v118, 16, v102
	v_cndmask_b32_e64 v91, v91, v102, s8
	v_cndmask_b32_e64 v94, v94, v98, s27
	;; [unrolled: 1-line block ×12, first 2 shown]
	v_perm_b32 v87, v93, v92, 0x5040100
	v_perm_b32 v94, v95, v94, 0x5040100
	;; [unrolled: 1-line block ×5, first 2 shown]
	s_mul_i32 s8, s35, 3
	s_mov_b32 s4, exec_lo
	ds_store_b128 v78, v[87:90]
	ds_store_b128 v78, v[91:94] offset:1024
	v_cmpx_gt_u32_e32 3, v0
	s_cbranch_execz .LBB172_16
; %bb.15:
	s_mul_i32 s5, s8, s34
	s_load_b128 s[16:19], s[0:1], 0x58
	v_add3_u32 v77, s5, s33, v77
	s_delay_alu instid0(VALU_DEP_1) | instskip(NEXT) | instid1(VALU_DEP_1)
	v_mad_u64_u32 v[87:88], null, v77, s36, s[14:15]
	v_ashrrev_i32_e32 v88, 31, v87
	s_delay_alu instid0(VALU_DEP_1) | instskip(SKIP_1) | instid1(VALU_DEP_1)
	v_lshlrev_b64 v[87:88], 2, v[87:88]
	s_waitcnt lgkmcnt(0)
	v_add_co_u32 v89, vcc_lo, s18, v87
	s_delay_alu instid0(VALU_DEP_2)
	v_add_co_ci_u32_e32 v90, vcc_lo, s19, v88, vcc_lo
	v_add_co_u32 v87, vcc_lo, s16, v87
	v_add_co_ci_u32_e32 v88, vcc_lo, s17, v88, vcc_lo
	global_store_b32 v[89:90], v85, off
	global_store_b32 v[87:88], v86, off
.LBB172_16:
	s_or_b32 exec_lo, exec_lo, s4
	s_waitcnt lgkmcnt(0)
	s_waitcnt_vscnt null, 0x0
	s_barrier
	buffer_gl0_inv
	ds_load_b128 v[93:96], v79
	ds_load_b128 v[97:100], v79 offset:16
	ds_load_b128 v[105:108], v79 offset:1040
	;; [unrolled: 1-line block ×5, first 2 shown]
	v_cmp_eq_u32_e32 vcc_lo, 1, v84
	v_mov_b32_e32 v85, 0
	ds_load_b128 v[121:124], v79 offset:3088
	ds_load_b128 v[117:120], v79 offset:3072
	;; [unrolled: 1-line block ×4, first 2 shown]
	v_cmp_eq_u32_e64 s4, 1, v80
	v_cmp_eq_u32_e64 s5, 1, v83
	;; [unrolled: 1-line block ×3, first 2 shown]
	v_mov_b32_e32 v86, v85
	v_mov_b32_e32 v87, v85
	;; [unrolled: 1-line block ×7, first 2 shown]
	v_cmp_eq_u32_e64 s7, 2, v80
	s_waitcnt lgkmcnt(8)
	s_delay_alu instid0(VALU_DEP_2)
	v_wmma_f32_16x16x16_f16 v[85:92], v[65:72], v[93:100], v[85:92]
	ds_load_b128 v[69:72], v79 offset:5136
	ds_load_b128 v[65:68], v79 offset:5120
	;; [unrolled: 1-line block ×4, first 2 shown]
	s_waitcnt lgkmcnt(10)
	v_wmma_f32_16x16x16_f16 v[85:92], v[57:64], v[101:108], v[85:92]
	s_waitcnt lgkmcnt(8)
	s_delay_alu instid0(VALU_DEP_1)
	v_wmma_f32_16x16x16_f16 v[85:92], v[57:64], v[109:116], v[85:92]
	ds_load_b128 v[61:64], v79 offset:7184
	ds_load_b128 v[57:60], v79 offset:7168
	;; [unrolled: 1-line block ×4, first 2 shown]
	s_waitcnt lgkmcnt(10)
	v_wmma_f32_16x16x16_f16 v[85:92], v[49:56], v[117:124], v[85:92]
	s_waitcnt lgkmcnt(8)
	s_delay_alu instid0(VALU_DEP_1)
	v_wmma_f32_16x16x16_f16 v[85:92], v[49:56], v[125:132], v[85:92]
	ds_load_b128 v[53:56], v79 offset:9232
	ds_load_b128 v[49:52], v79 offset:9216
	s_waitcnt lgkmcnt(8)
	v_wmma_f32_16x16x16_f16 v[85:92], v[41:48], v[65:72], v[85:92]
	ds_load_b128 v[69:72], v79 offset:10256
	ds_load_b128 v[65:68], v79 offset:10240
	s_waitcnt lgkmcnt(8)
	;; [unrolled: 4-line block ×7, first 2 shown]
	s_barrier
	buffer_gl0_inv
	v_wmma_f32_16x16x16_f16 v[85:92], v[33:40], v[41:48], v[85:92]
	s_delay_alu instid0(VALU_DEP_1) | instskip(NEXT) | instid1(VALU_DEP_1)
	v_wmma_f32_16x16x16_f16 v[85:92], v[33:40], v[57:64], v[85:92]
	v_wmma_f32_16x16x16_f16 v[85:92], v[25:32], v[9:16], v[85:92]
	s_delay_alu instid0(VALU_DEP_1) | instskip(NEXT) | instid1(VALU_DEP_1)
	v_wmma_f32_16x16x16_f16 v[85:92], v[25:32], v[49:56], v[85:92]
	v_wmma_f32_16x16x16_f16 v[85:92], v[17:24], v[1:8], v[85:92]
	s_delay_alu instid0(VALU_DEP_1) | instskip(NEXT) | instid1(VALU_DEP_2)
	v_cvt_f16_f32_e32 v1, v85
	v_cvt_f16_f32_e32 v2, v86
	s_delay_alu instid0(VALU_DEP_3) | instskip(NEXT) | instid1(VALU_DEP_4)
	v_cvt_f16_f32_e32 v3, v87
	v_cvt_f16_f32_e32 v4, v88
	;; [unrolled: 1-line block ×6, first 2 shown]
	v_pack_b32_f16 v1, v1, v2
	v_pack_b32_f16 v2, v3, v4
	;; [unrolled: 1-line block ×3, first 2 shown]
	s_delay_alu instid0(VALU_DEP_4)
	v_pack_b32_f16 v4, v7, v8
	ds_store_b128 v78, v[1:4]
	s_waitcnt lgkmcnt(0)
	s_barrier
	buffer_gl0_inv
	ds_load_b128 v[1:4], v81
	ds_load_b128 v[5:8], v81 offset:16
	s_waitcnt lgkmcnt(1)
	v_lshrrev_b32_e32 v9, 16, v1
	s_waitcnt lgkmcnt(0)
	v_lshrrev_b32_e32 v13, 16, v5
	v_lshrrev_b32_e32 v15, 16, v7
	;; [unrolled: 1-line block ×4, first 2 shown]
	v_cndmask_b32_e64 v17, v1, v9, s4
	v_cndmask_b32_e64 v18, v5, v13, s4
	;; [unrolled: 1-line block ×3, first 2 shown]
	v_cmp_eq_u32_e64 s4, 2, v82
	v_cndmask_b32_e64 v20, v5, v13, s6
	v_cndmask_b32_e32 v21, v1, v9, vcc_lo
	v_cndmask_b32_e32 v22, v5, v13, vcc_lo
	v_cndmask_b32_e64 v1, v1, v9, s5
	v_cndmask_b32_e64 v5, v5, v13, s5
	v_cmp_eq_u32_e32 vcc_lo, 2, v84
	v_cmp_eq_u32_e64 s5, 2, v83
	v_cndmask_b32_e64 v9, v17, v2, s7
	v_cndmask_b32_e64 v13, v18, v6, s7
	;; [unrolled: 1-line block ×4, first 2 shown]
	v_cndmask_b32_e32 v19, v21, v2, vcc_lo
	v_cmp_eq_u32_e64 s4, 3, v84
	v_cndmask_b32_e32 v20, v22, v6, vcc_lo
	v_cndmask_b32_e64 v1, v1, v2, s5
	v_cmp_eq_u32_e32 vcc_lo, 3, v83
	v_cmp_eq_u32_e64 s6, 3, v80
	v_cndmask_b32_e64 v2, v5, v6, s5
	v_cmp_eq_u32_e64 s5, 3, v82
	v_lshrrev_b32_e32 v16, 16, v8
	v_cmp_eq_u32_e64 s7, 4, v80
	v_cndmask_b32_e64 v5, v9, v10, s6
	v_cndmask_b32_e64 v6, v13, v14, s6
	;; [unrolled: 1-line block ×3, first 2 shown]
	v_cmp_eq_u32_e64 s6, 4, v82
	v_cndmask_b32_e64 v13, v18, v14, s5
	v_cndmask_b32_e64 v17, v19, v10, s4
	;; [unrolled: 1-line block ×3, first 2 shown]
	v_cndmask_b32_e32 v1, v1, v10, vcc_lo
	v_cndmask_b32_e32 v2, v2, v14, vcc_lo
	v_cmp_eq_u32_e32 vcc_lo, 4, v84
	v_cmp_eq_u32_e64 s5, 4, v83
	v_lshrrev_b32_e32 v11, 16, v3
	v_cndmask_b32_e64 v5, v5, v3, s7
	v_cndmask_b32_e64 v6, v6, v7, s7
	;; [unrolled: 1-line block ×4, first 2 shown]
	v_cndmask_b32_e32 v13, v17, v3, vcc_lo
	v_cmp_eq_u32_e64 s4, 5, v84
	v_cndmask_b32_e32 v14, v18, v7, vcc_lo
	v_cndmask_b32_e64 v1, v1, v3, s5
	v_cmp_eq_u32_e32 vcc_lo, 5, v83
	v_cmp_eq_u32_e64 s6, 5, v80
	v_cndmask_b32_e64 v2, v2, v7, s5
	v_cmp_eq_u32_e64 s5, 5, v82
	v_cmp_eq_u32_e64 s7, 6, v80
	v_cndmask_b32_e32 v1, v1, v11, vcc_lo
	v_cndmask_b32_e64 v3, v5, v11, s6
	v_cndmask_b32_e64 v5, v6, v15, s6
	;; [unrolled: 1-line block ×3, first 2 shown]
	v_cmp_eq_u32_e64 s6, 6, v82
	v_cndmask_b32_e64 v7, v10, v15, s5
	v_cndmask_b32_e64 v9, v13, v11, s4
	;; [unrolled: 1-line block ×3, first 2 shown]
	v_cndmask_b32_e32 v2, v2, v15, vcc_lo
	v_cmp_eq_u32_e32 vcc_lo, 6, v84
	v_cmp_eq_u32_e64 s4, 6, v83
	v_lshrrev_b32_e32 v12, 16, v4
	v_cndmask_b32_e64 v3, v3, v4, s7
	v_cndmask_b32_e64 v5, v5, v8, s7
	;; [unrolled: 1-line block ×4, first 2 shown]
	v_cndmask_b32_e32 v9, v9, v4, vcc_lo
	v_cmp_eq_u32_e64 s5, 7, v84
	v_cndmask_b32_e32 v10, v10, v8, vcc_lo
	v_cndmask_b32_e64 v1, v1, v4, s4
	v_cmp_eq_u32_e32 vcc_lo, 7, v83
	v_cndmask_b32_e64 v2, v2, v8, s4
	v_cmp_eq_u32_e64 s4, 7, v80
	v_cmp_eq_u32_e64 s6, 7, v82
	v_cndmask_b32_e32 v1, v1, v12, vcc_lo
	s_delay_alu instid0(VALU_DEP_4) | instskip(NEXT) | instid1(VALU_DEP_4)
	v_cndmask_b32_e32 v2, v2, v16, vcc_lo
	v_cndmask_b32_e64 v8, v3, v12, s4
	s_delay_alu instid0(VALU_DEP_4)
	v_cndmask_b32_e64 v6, v6, v12, s6
	v_cndmask_b32_e64 v3, v9, v12, s5
	;; [unrolled: 1-line block ×5, first 2 shown]
	v_cmp_gt_u32_e32 vcc_lo, 32, v0
	v_perm_b32 v4, v2, v1, 0x5040100
	v_perm_b32 v3, v9, v3, 0x5040100
	;; [unrolled: 1-line block ×4, first 2 shown]
	s_and_b32 s2, vcc_lo, s2
	ds_store_b128 v78, v[1:4]
	s_waitcnt lgkmcnt(0)
	s_barrier
	buffer_gl0_inv
	s_and_saveexec_b32 s4, s2
	s_cbranch_execz .LBB172_2
; %bb.17:
	s_load_b64 s[4:5], s[0:1], 0x68
	v_lshlrev_b32_e32 v0, 10, v0
	v_lshlrev_b32_e32 v2, 4, v76
	v_add_nc_u32_e32 v1, s33, v75
	s_lshl_b32 s0, s36, 6
	s_delay_alu instid0(SALU_CYCLE_1) | instskip(NEXT) | instid1(VALU_DEP_2)
	s_mul_i32 s1, s0, s34
	v_and_or_b32 v0, 0x3800, v0, v2
	s_mul_i32 s6, s1, s8
	v_mul_lo_u32 v1, v1, s0
	s_ashr_i32 s7, s6, 31
	s_delay_alu instid0(VALU_DEP_2) | instskip(SKIP_1) | instid1(VALU_DEP_2)
	v_lshl_or_b32 v3, v75, 6, v0
	s_lshl_b64 s[6:7], s[6:7], 1
	v_ashrrev_i32_e32 v2, 31, v1
	ds_load_b128 v[3:6], v3
	s_waitcnt lgkmcnt(0)
	s_add_u32 s1, s4, s6
	s_addc_u32 s2, s5, s7
	s_lshl_b32 s4, s14, 6
	v_lshlrev_b64 v[7:8], 1, v[1:2]
	s_ashr_i32 s5, s4, 31
	s_delay_alu instid0(SALU_CYCLE_1) | instskip(NEXT) | instid1(SALU_CYCLE_1)
	s_lshl_b64 s[4:5], s[4:5], 1
	s_add_u32 s1, s1, s4
	s_addc_u32 s2, s2, s5
	v_add_co_u32 v1, vcc_lo, s1, v73
	v_add_co_ci_u32_e32 v2, vcc_lo, s2, v74, vcc_lo
	s_delay_alu instid0(VALU_DEP_2) | instskip(NEXT) | instid1(VALU_DEP_2)
	v_add_co_u32 v7, vcc_lo, v1, v7
	v_add_co_ci_u32_e32 v8, vcc_lo, v2, v8, vcc_lo
	global_store_b128 v[7:8], v[3:6], off
	s_and_b32 exec_lo, exec_lo, s3
	s_cbranch_execz .LBB172_2
; %bb.18:
	ds_load_b128 v[3:6], v0 offset:128
	s_add_i32 s1, s33, 2
	s_delay_alu instid0(SALU_CYCLE_1) | instskip(NEXT) | instid1(SALU_CYCLE_1)
	s_mul_i32 s0, s1, s0
	s_ashr_i32 s1, s0, 31
	s_delay_alu instid0(SALU_CYCLE_1) | instskip(NEXT) | instid1(SALU_CYCLE_1)
	s_lshl_b64 s[0:1], s[0:1], 1
	v_add_co_u32 v0, vcc_lo, v1, s0
	v_add_co_ci_u32_e32 v1, vcc_lo, s1, v2, vcc_lo
	s_waitcnt lgkmcnt(0)
	global_store_b128 v[0:1], v[3:6], off
	s_nop 0
	s_sendmsg sendmsg(MSG_DEALLOC_VGPRS)
	s_endpgm
	.section	.rodata,"a",@progbits
	.p2align	6, 0x0
	.amdhsa_kernel _Z39paged_attention_ll4mi_QKV_mfma16_kernelIDF16_DF16_LN4vllm18Fp8KVCacheDataTypeE0EDF16_Li32ELi64ELi256ELb1ELi3EL8MFMAType0EEvPKT_PKT0_S8_ifPKiSA_SA_iPKfiiiPfSD_PS3_PT2_iSC_SC_
		.amdhsa_group_segment_fixed_size 17472
		.amdhsa_private_segment_fixed_size 0
		.amdhsa_kernarg_size 400
		.amdhsa_user_sgpr_count 13
		.amdhsa_user_sgpr_dispatch_ptr 0
		.amdhsa_user_sgpr_queue_ptr 0
		.amdhsa_user_sgpr_kernarg_segment_ptr 1
		.amdhsa_user_sgpr_dispatch_id 0
		.amdhsa_user_sgpr_private_segment_size 0
		.amdhsa_wavefront_size32 1
		.amdhsa_uses_dynamic_stack 0
		.amdhsa_enable_private_segment 0
		.amdhsa_system_sgpr_workgroup_id_x 1
		.amdhsa_system_sgpr_workgroup_id_y 1
		.amdhsa_system_sgpr_workgroup_id_z 1
		.amdhsa_system_sgpr_workgroup_info 0
		.amdhsa_system_vgpr_workitem_id 0
		.amdhsa_next_free_vgpr 154
		.amdhsa_next_free_sgpr 39
		.amdhsa_reserve_vcc 1
		.amdhsa_float_round_mode_32 0
		.amdhsa_float_round_mode_16_64 0
		.amdhsa_float_denorm_mode_32 3
		.amdhsa_float_denorm_mode_16_64 3
		.amdhsa_dx10_clamp 1
		.amdhsa_ieee_mode 1
		.amdhsa_fp16_overflow 0
		.amdhsa_workgroup_processor_mode 1
		.amdhsa_memory_ordered 1
		.amdhsa_forward_progress 0
		.amdhsa_shared_vgpr_count 0
		.amdhsa_exception_fp_ieee_invalid_op 0
		.amdhsa_exception_fp_denorm_src 0
		.amdhsa_exception_fp_ieee_div_zero 0
		.amdhsa_exception_fp_ieee_overflow 0
		.amdhsa_exception_fp_ieee_underflow 0
		.amdhsa_exception_fp_ieee_inexact 0
		.amdhsa_exception_int_div_zero 0
	.end_amdhsa_kernel
	.section	.text._Z39paged_attention_ll4mi_QKV_mfma16_kernelIDF16_DF16_LN4vllm18Fp8KVCacheDataTypeE0EDF16_Li32ELi64ELi256ELb1ELi3EL8MFMAType0EEvPKT_PKT0_S8_ifPKiSA_SA_iPKfiiiPfSD_PS3_PT2_iSC_SC_,"axG",@progbits,_Z39paged_attention_ll4mi_QKV_mfma16_kernelIDF16_DF16_LN4vllm18Fp8KVCacheDataTypeE0EDF16_Li32ELi64ELi256ELb1ELi3EL8MFMAType0EEvPKT_PKT0_S8_ifPKiSA_SA_iPKfiiiPfSD_PS3_PT2_iSC_SC_,comdat
.Lfunc_end172:
	.size	_Z39paged_attention_ll4mi_QKV_mfma16_kernelIDF16_DF16_LN4vllm18Fp8KVCacheDataTypeE0EDF16_Li32ELi64ELi256ELb1ELi3EL8MFMAType0EEvPKT_PKT0_S8_ifPKiSA_SA_iPKfiiiPfSD_PS3_PT2_iSC_SC_, .Lfunc_end172-_Z39paged_attention_ll4mi_QKV_mfma16_kernelIDF16_DF16_LN4vllm18Fp8KVCacheDataTypeE0EDF16_Li32ELi64ELi256ELb1ELi3EL8MFMAType0EEvPKT_PKT0_S8_ifPKiSA_SA_iPKfiiiPfSD_PS3_PT2_iSC_SC_
                                        ; -- End function
	.section	.AMDGPU.csdata,"",@progbits
; Kernel info:
; codeLenInByte = 7172
; NumSgprs: 41
; NumVgprs: 154
; ScratchSize: 0
; MemoryBound: 0
; FloatMode: 240
; IeeeMode: 1
; LDSByteSize: 17472 bytes/workgroup (compile time only)
; SGPRBlocks: 5
; VGPRBlocks: 19
; NumSGPRsForWavesPerEU: 41
; NumVGPRsForWavesPerEU: 154
; Occupancy: 9
; WaveLimiterHint : 1
; COMPUTE_PGM_RSRC2:SCRATCH_EN: 0
; COMPUTE_PGM_RSRC2:USER_SGPR: 13
; COMPUTE_PGM_RSRC2:TRAP_HANDLER: 0
; COMPUTE_PGM_RSRC2:TGID_X_EN: 1
; COMPUTE_PGM_RSRC2:TGID_Y_EN: 1
; COMPUTE_PGM_RSRC2:TGID_Z_EN: 1
; COMPUTE_PGM_RSRC2:TIDIG_COMP_CNT: 0
	.section	.text._Z39paged_attention_ll4mi_QKV_mfma16_kernelIDF16_DF16_LN4vllm18Fp8KVCacheDataTypeE0EDF16_Li32ELi64ELi256ELb1ELi4EL8MFMAType0EEvPKT_PKT0_S8_ifPKiSA_SA_iPKfiiiPfSD_PS3_PT2_iSC_SC_,"axG",@progbits,_Z39paged_attention_ll4mi_QKV_mfma16_kernelIDF16_DF16_LN4vllm18Fp8KVCacheDataTypeE0EDF16_Li32ELi64ELi256ELb1ELi4EL8MFMAType0EEvPKT_PKT0_S8_ifPKiSA_SA_iPKfiiiPfSD_PS3_PT2_iSC_SC_,comdat
	.protected	_Z39paged_attention_ll4mi_QKV_mfma16_kernelIDF16_DF16_LN4vllm18Fp8KVCacheDataTypeE0EDF16_Li32ELi64ELi256ELb1ELi4EL8MFMAType0EEvPKT_PKT0_S8_ifPKiSA_SA_iPKfiiiPfSD_PS3_PT2_iSC_SC_ ; -- Begin function _Z39paged_attention_ll4mi_QKV_mfma16_kernelIDF16_DF16_LN4vllm18Fp8KVCacheDataTypeE0EDF16_Li32ELi64ELi256ELb1ELi4EL8MFMAType0EEvPKT_PKT0_S8_ifPKiSA_SA_iPKfiiiPfSD_PS3_PT2_iSC_SC_
	.globl	_Z39paged_attention_ll4mi_QKV_mfma16_kernelIDF16_DF16_LN4vllm18Fp8KVCacheDataTypeE0EDF16_Li32ELi64ELi256ELb1ELi4EL8MFMAType0EEvPKT_PKT0_S8_ifPKiSA_SA_iPKfiiiPfSD_PS3_PT2_iSC_SC_
	.p2align	8
	.type	_Z39paged_attention_ll4mi_QKV_mfma16_kernelIDF16_DF16_LN4vllm18Fp8KVCacheDataTypeE0EDF16_Li32ELi64ELi256ELb1ELi4EL8MFMAType0EEvPKT_PKT0_S8_ifPKiSA_SA_iPKfiiiPfSD_PS3_PT2_iSC_SC_,@function
_Z39paged_attention_ll4mi_QKV_mfma16_kernelIDF16_DF16_LN4vllm18Fp8KVCacheDataTypeE0EDF16_Li32ELi64ELi256ELb1ELi4EL8MFMAType0EEvPKT_PKT0_S8_ifPKiSA_SA_iPKfiiiPfSD_PS3_PT2_iSC_SC_: ; @_Z39paged_attention_ll4mi_QKV_mfma16_kernelIDF16_DF16_LN4vllm18Fp8KVCacheDataTypeE0EDF16_Li32ELi64ELi256ELb1ELi4EL8MFMAType0EEvPKT_PKT0_S8_ifPKiSA_SA_iPKfiiiPfSD_PS3_PT2_iSC_SC_
; %bb.0:
	s_load_b64 s[2:3], s[0:1], 0x30
	s_mov_b32 s34, s13
	s_waitcnt lgkmcnt(0)
	s_cmp_lg_u64 s[2:3], 0
	s_cselect_b32 s6, -1, 0
	s_ashr_i32 s35, s13, 31
	s_cmp_eq_u64 s[2:3], 0
	s_cbranch_scc1 .LBB173_3
; %bb.1:
	s_lshl_b64 s[4:5], s[34:35], 2
	s_delay_alu instid0(SALU_CYCLE_1) | instskip(SKIP_4) | instid1(SALU_CYCLE_1)
	s_add_u32 s4, s2, s4
	s_addc_u32 s5, s3, s5
	s_load_b64 s[4:5], s[4:5], 0x0
	s_waitcnt lgkmcnt(0)
	s_sub_i32 s4, s5, s4
	s_cmp_eq_u32 s4, 1
	s_cselect_b32 s4, -1, 0
	s_delay_alu instid0(SALU_CYCLE_1)
	s_and_not1_b32 vcc_lo, exec_lo, s4
	s_cbranch_vccz .LBB173_4
.LBB173_2:
	s_endpgm
.LBB173_3:
.LBB173_4:
	s_load_b64 s[8:9], s[0:1], 0x28
	s_lshl_b64 s[4:5], s[34:35], 2
	s_waitcnt lgkmcnt(0)
	s_add_u32 s8, s8, s4
	s_addc_u32 s9, s9, s5
	s_lshl_b32 s16, s14, 8
	s_load_b32 s18, s[8:9], 0x0
	s_waitcnt lgkmcnt(0)
	s_cmp_ge_i32 s16, s18
	s_cbranch_scc1 .LBB173_2
; %bb.5:
	s_and_not1_b32 vcc_lo, exec_lo, s6
	s_cbranch_vccnz .LBB173_7
; %bb.6:
	s_add_u32 s2, s2, s4
	s_addc_u32 s3, s3, s5
	s_load_b32 s17, s[2:3], 0x0
	s_branch .LBB173_8
.LBB173_7:
	s_mov_b32 s17, s34
.LBB173_8:
	s_clause 0x2
	s_load_b128 s[8:11], s[0:1], 0x8
	s_load_b64 s[12:13], s[0:1], 0x20
	s_load_b128 s[4:7], s[0:1], 0x48
	v_and_b32_e32 v79, 15, v0
	v_cmp_lt_u32_e32 vcc_lo, 63, v0
	s_delay_alu instid0(VALU_DEP_2) | instskip(SKIP_2) | instid1(VALU_DEP_3)
	v_cmp_lt_u32_e64 s3, 7, v79
	v_lshlrev_b32_e32 v1, 3, v79
	v_cmp_gt_u32_e64 s2, 8, v79
	s_or_b32 s3, vcc_lo, s3
	s_waitcnt lgkmcnt(0)
	s_and_saveexec_b32 s7, s3
	s_delay_alu instid0(SALU_CYCLE_1)
	s_xor_b32 s3, exec_lo, s7
; %bb.9:
	v_mov_b32_e32 v2, 0
; %bb.10:
	s_or_saveexec_b32 s3, s3
	v_lshrrev_b32_e32 v78, 5, v0
	v_and_b32_e32 v80, 31, v0
	v_and_b32_e32 v76, 1, v0
	v_bfe_u32 v75, v0, 4, 1
	s_lshl_b32 s31, s15, 2
	s_xor_b32 exec_lo, exec_lo, s3
	s_cbranch_execz .LBB173_12
; %bb.11:
	s_delay_alu instid0(VALU_DEP_1)
	v_lshl_or_b32 v7, v78, 1, v75
	s_load_b64 s[20:21], s[0:1], 0x0
	s_mul_hi_i32 s23, s17, s4
	s_mul_i32 s22, s17, s4
	v_lshlrev_b32_e32 v4, 1, v1
	v_or_b32_e32 v2, s31, v7
	s_lshl_b64 s[22:23], s[22:23], 1
	v_lshlrev_b32_e32 v7, 6, v7
	v_lshlrev_b32_e32 v8, 10, v76
	s_delay_alu instid0(VALU_DEP_3) | instskip(NEXT) | instid1(VALU_DEP_1)
	v_lshlrev_b32_e32 v2, 6, v2
	v_ashrrev_i32_e32 v3, 31, v2
	s_delay_alu instid0(VALU_DEP_1) | instskip(SKIP_3) | instid1(VALU_DEP_1)
	v_lshlrev_b64 v[2:3], 1, v[2:3]
	s_waitcnt lgkmcnt(0)
	s_add_u32 s4, s20, s22
	s_addc_u32 s7, s21, s23
	v_add_co_u32 v2, vcc_lo, s4, v2
	s_delay_alu instid0(VALU_DEP_2) | instskip(NEXT) | instid1(VALU_DEP_2)
	v_add_co_ci_u32_e32 v3, vcc_lo, s7, v3, vcc_lo
	v_add_co_u32 v2, vcc_lo, v2, v4
	s_delay_alu instid0(VALU_DEP_2) | instskip(SKIP_2) | instid1(VALU_DEP_1)
	v_add_co_ci_u32_e32 v3, vcc_lo, 0, v3, vcc_lo
	global_load_b128 v[3:6], v[2:3], off
	v_lshlrev_b32_e32 v2, 10, v79
	v_and_b32_e32 v2, 0x3800, v2
	s_delay_alu instid0(VALU_DEP_1)
	v_or3_b32 v7, v2, v8, v7
	v_mov_b32_e32 v2, 0
	s_waitcnt vmcnt(0)
	ds_store_b128 v7, v[3:6]
.LBB173_12:
	s_or_b32 exec_lo, exec_lo, s3
	v_and_b32_e32 v3, 0xef, v0
	s_add_i32 s3, s18, 31
	s_clause 0x1
	s_load_b32 s4, s[0:1], 0x38
	s_load_b32 s33, s[0:1], 0x98
	s_ashr_i32 s7, s3, 31
	v_add_nc_u32_e32 v3, s16, v3
	s_lshr_b32 s7, s7, 27
	s_load_b32 s19, s[0:1], 0x1c
	s_add_i32 s3, s3, s7
	s_waitcnt lgkmcnt(0)
	v_ashrrev_i32_e32 v4, 31, v3
	v_cmp_gt_i32_e32 vcc_lo, s18, v3
	s_ashr_i32 s3, s3, 5
	s_barrier
	s_add_i32 s3, s3, -1
	v_lshrrev_b32_e32 v5, 27, v4
	v_or_b32_e32 v4, 16, v3
	buffer_gl0_inv
	s_mul_i32 s6, s15, s6
	v_lshlrev_b64 v[73:74], 1, v[1:2]
	v_add_nc_u32_e32 v6, v3, v5
	v_add_nc_u32_e32 v5, v4, v5
	s_mul_i32 s20, s34, s4
	v_lshlrev_b32_e32 v77, 6, v79
	s_ashr_i32 s21, s20, 31
	v_ashrrev_i32_e32 v6, 5, v6
	v_ashrrev_i32_e32 v5, 5, v5
	s_lshl_b64 s[20:21], s[20:21], 2
	v_lshl_or_b32 v33, v78, 10, v77
	s_add_u32 s4, s12, s20
	v_cndmask_b32_e32 v3, s3, v6, vcc_lo
	v_cmp_gt_i32_e32 vcc_lo, s18, v4
	s_addc_u32 s17, s13, s21
	s_ashr_i32 s7, s6, 31
	s_delay_alu instid0(SALU_CYCLE_1)
	s_lshl_b64 s[6:7], s[6:7], 1
	v_cndmask_b32_e32 v5, s3, v5, vcc_lo
	v_ashrrev_i32_e32 v4, 31, v3
	s_add_u32 s15, s8, s6
	s_addc_u32 s28, s9, s7
	s_lshl_b32 s8, s14, 3
	v_ashrrev_i32_e32 v6, 31, v5
	v_lshlrev_b64 v[3:4], 2, v[3:4]
	s_ashr_i32 s9, s8, 31
	s_delay_alu instid0(SALU_CYCLE_1) | instskip(NEXT) | instid1(VALU_DEP_2)
	s_lshl_b64 s[8:9], s[8:9], 2
	v_lshlrev_b64 v[5:6], 2, v[5:6]
	s_add_u32 s8, s4, s8
	s_delay_alu instid0(VALU_DEP_2) | instskip(SKIP_1) | instid1(VALU_DEP_3)
	v_add_co_u32 v3, vcc_lo, s4, v3
	v_add_co_ci_u32_e32 v4, vcc_lo, s17, v4, vcc_lo
	v_add_co_u32 v5, vcc_lo, s4, v5
	s_delay_alu instid0(VALU_DEP_4)
	v_add_co_ci_u32_e32 v6, vcc_lo, s17, v6, vcc_lo
	s_addc_u32 s9, s17, s9
	s_clause 0x1
	global_load_b32 v7, v[3:4], off
	global_load_b32 v8, v[5:6], off
	s_or_b32 s12, s16, 32
	s_delay_alu instid0(SALU_CYCLE_1) | instskip(SKIP_2) | instid1(SALU_CYCLE_1)
	s_ashr_i32 s13, s12, 5
	s_cmp_lt_i32 s12, s18
	s_cselect_b32 s12, s13, s3
	s_ashr_i32 s13, s12, 31
	s_delay_alu instid0(SALU_CYCLE_1) | instskip(NEXT) | instid1(SALU_CYCLE_1)
	s_lshl_b64 s[12:13], s[12:13], 2
	s_add_u32 s12, s4, s12
	s_addc_u32 s13, s17, s13
	s_or_b32 s20, s16, 64
	s_delay_alu instid0(SALU_CYCLE_1) | instskip(SKIP_2) | instid1(SALU_CYCLE_1)
	s_ashr_i32 s21, s20, 5
	s_cmp_lt_i32 s20, s18
	s_cselect_b32 s20, s21, s3
	s_ashr_i32 s21, s20, 31
	s_delay_alu instid0(SALU_CYCLE_1) | instskip(NEXT) | instid1(SALU_CYCLE_1)
	s_lshl_b64 s[20:21], s[20:21], 2
	s_add_u32 s20, s4, s20
	s_addc_u32 s21, s17, s21
	;; [unrolled: 10-line block ×5, first 2 shown]
	s_clause 0x5
	s_load_b32 s29, s[8:9], 0x0
	s_load_b32 s30, s[12:13], 0x0
	;; [unrolled: 1-line block ×6, first 2 shown]
	s_or_b32 s8, s16, 0xc0
	s_mov_b32 s20, 0
	s_ashr_i32 s9, s8, 5
	s_cmp_lt_i32 s8, s18
	s_mov_b32 s27, s20
	s_cselect_b32 s8, s9, s3
	s_mov_b32 s21, s20
	s_ashr_i32 s9, s8, 31
	s_mov_b32 s22, s20
	s_lshl_b64 s[8:9], s[8:9], 2
	s_mov_b32 s23, s20
	s_add_u32 s8, s4, s8
	s_mov_b32 s24, s20
	s_mov_b32 s25, s20
	;; [unrolled: 1-line block ×3, first 2 shown]
	s_addc_u32 s9, s17, s9
	v_dual_mov_b32 v128, s27 :: v_dual_mov_b32 v127, s26
	v_dual_mov_b32 v126, s25 :: v_dual_mov_b32 v125, s24
	;; [unrolled: 1-line block ×3, first 2 shown]
	v_mov_b32_e32 v121, s20
	s_waitcnt lgkmcnt(0)
	s_mul_hi_i32 s13, s29, s5
	s_mul_i32 s12, s29, s5
	v_mov_b32_e32 v122, s21
	s_mul_hi_i32 s21, s30, s5
	s_mul_i32 s20, s30, s5
	s_mul_hi_i32 s25, s35, s5
	s_mul_i32 s24, s35, s5
	;; [unrolled: 2-line block ×3, first 2 shown]
	s_mul_i32 s36, s38, s5
	s_waitcnt vmcnt(1)
	v_mad_i64_i32 v[3:4], null, v7, s5, 0
	s_waitcnt vmcnt(0)
	v_mad_i64_i32 v[5:6], null, v8, s5, 0
	s_delay_alu instid0(VALU_DEP_2) | instskip(NEXT) | instid1(VALU_DEP_2)
	v_lshlrev_b64 v[3:4], 1, v[3:4]
	v_lshlrev_b64 v[1:2], 1, v[5:6]
	s_delay_alu instid0(VALU_DEP_2) | instskip(NEXT) | instid1(VALU_DEP_3)
	v_add_co_u32 v3, vcc_lo, s15, v3
	v_add_co_ci_u32_e32 v4, vcc_lo, s28, v4, vcc_lo
	s_delay_alu instid0(VALU_DEP_3) | instskip(NEXT) | instid1(VALU_DEP_4)
	v_add_co_u32 v1, vcc_lo, s15, v1
	v_add_co_ci_u32_e32 v2, vcc_lo, s28, v2, vcc_lo
	s_delay_alu instid0(VALU_DEP_4) | instskip(NEXT) | instid1(VALU_DEP_4)
	v_add_co_u32 v25, vcc_lo, v3, v73
	v_add_co_ci_u32_e32 v26, vcc_lo, v4, v74, vcc_lo
	s_delay_alu instid0(VALU_DEP_4) | instskip(NEXT) | instid1(VALU_DEP_4)
	v_add_co_u32 v27, vcc_lo, v1, v73
	v_add_co_ci_u32_e32 v28, vcc_lo, v2, v74, vcc_lo
	s_clause 0xf
	global_load_b128 v[1:4], v[25:26], off
	global_load_b128 v[5:8], v[25:26], off offset:512
	global_load_b128 v[9:12], v[27:28], off offset:256
	;; [unrolled: 1-line block ×15, first 2 shown]
	s_or_b32 s15, s16, 0xe0
	v_and_b32_e32 v25, 3, v0
	s_ashr_i32 s22, s15, 5
	s_cmp_lt_i32 s15, s18
	s_cselect_b32 s22, s22, s3
	s_delay_alu instid0(VALU_DEP_1)
	v_lshlrev_b32_e32 v151, 6, v25
	s_ashr_i32 s23, s22, 31
	ds_load_b128 v[25:28], v151
	ds_load_b128 v[29:32], v151 offset:1024
	s_lshl_b64 s[22:23], s[22:23], 2
	ds_load_b128 v[129:132], v151 offset:2048
	ds_load_b128 v[133:136], v151 offset:3072
	s_add_u32 s22, s4, s22
	s_addc_u32 s23, s17, s23
	s_add_i32 s15, s16, 0x100
	s_delay_alu instid0(SALU_CYCLE_1)
	s_ashr_i32 s28, s15, 5
	s_cmp_lt_i32 s15, s18
	s_load_b32 s15, s[8:9], 0x0
	s_cselect_b32 s28, s28, s3
	s_mul_hi_i32 s9, s37, s5
	s_ashr_i32 s29, s28, 31
	s_mul_i32 s8, s37, s5
	s_lshl_b64 s[28:29], s[28:29], 2
	s_mul_hi_i32 s37, s38, s5
	s_add_u32 s28, s4, s28
	s_addc_u32 s29, s17, s29
	s_add_u32 s3, s10, s6
	s_clause 0x1
	s_load_b32 s4, s[22:23], 0x0
	s_load_b32 s17, s[28:29], 0x0
	s_addc_u32 s28, s11, s7
	v_add_co_u32 v152, s3, s3, v33
	s_delay_alu instid0(VALU_DEP_1) | instskip(SKIP_2) | instid1(VALU_DEP_2)
	v_add_co_ci_u32_e64 v153, null, s28, 0, s3
	s_lshl_b64 s[6:7], s[12:13], 1
	s_lshl_b64 s[10:11], s[20:21], 1
	v_add_co_u32 v33, vcc_lo, v152, s6
	s_delay_alu instid0(VALU_DEP_2)
	v_add_co_ci_u32_e32 v34, vcc_lo, s7, v153, vcc_lo
	v_add_co_u32 v35, vcc_lo, v152, s10
	s_lshl_b64 s[12:13], s[24:25], 1
	v_add_co_ci_u32_e32 v36, vcc_lo, s11, v153, vcc_lo
	v_add_co_u32 v37, vcc_lo, v152, s12
	s_lshl_b64 s[20:21], s[26:27], 1
	;; [unrolled: 3-line block ×4, first 2 shown]
	s_waitcnt lgkmcnt(0)
	s_mul_hi_i32 s25, s15, s5
	s_mul_i32 s24, s15, s5
	v_add_co_ci_u32_e32 v146, vcc_lo, s9, v153, vcc_lo
	v_add_co_u32 v147, vcc_lo, v152, s22
	s_lshl_b64 s[24:25], s[24:25], 1
	v_add_co_ci_u32_e32 v148, vcc_lo, s23, v153, vcc_lo
	s_mul_hi_i32 s7, s4, s5
	s_mul_i32 s6, s4, s5
	v_add_co_u32 v149, vcc_lo, v152, s24
	s_lshl_b64 s[6:7], s[6:7], 1
	v_add_co_ci_u32_e32 v150, vcc_lo, s25, v153, vcc_lo
	s_clause 0x7
	global_load_b128 v[65:68], v[33:34], off
	global_load_b128 v[69:72], v[33:34], off offset:16
	global_load_b128 v[57:60], v[35:36], off
	global_load_b128 v[61:64], v[35:36], off offset:16
	;; [unrolled: 2-line block ×4, first 2 shown]
	s_waitcnt vmcnt(22)
	v_wmma_f32_16x16x16_f16 v[137:144], v[1:8], v[25:32], v[121:128]
	s_waitcnt vmcnt(20)
	v_wmma_f32_16x16x16_f16 v[121:128], v[9:16], v[25:32], v[121:128]
	v_add_co_u32 v29, vcc_lo, v152, s6
	v_add_co_ci_u32_e32 v30, vcc_lo, s7, v153, vcc_lo
	s_mul_hi_i32 s7, s17, s5
	s_mul_i32 s6, s17, s5
	s_waitcnt vmcnt(18)
	v_wmma_f32_16x16x16_f16 v[137:144], v[17:24], v[129:136], v[137:144]
	s_lshl_b64 s[4:5], s[6:7], 1
	s_clause 0x1
	global_load_b128 v[9:12], v[145:146], off
	global_load_b128 v[13:16], v[145:146], off offset:16
	v_add_co_u32 v21, vcc_lo, v152, s4
	v_add_co_ci_u32_e32 v22, vcc_lo, s5, v153, vcc_lo
	s_clause 0x7
	global_load_b128 v[1:4], v[147:148], off
	global_load_b128 v[5:8], v[147:148], off offset:16
	global_load_b128 v[33:36], v[149:150], off
	global_load_b128 v[37:40], v[149:150], off offset:16
	;; [unrolled: 2-line block ×4, first 2 shown]
	s_waitcnt vmcnt(26)
	v_wmma_f32_16x16x16_f16 v[121:128], v[81:88], v[129:136], v[121:128]
	ds_load_b128 v[81:84], v151 offset:4096
	ds_load_b128 v[85:88], v151 offset:5120
	v_mbcnt_lo_u32_b32 v130, -1, 0
	s_delay_alu instid0(VALU_DEP_1) | instskip(NEXT) | instid1(VALU_DEP_1)
	v_xor_b32_e32 v131, 16, v130
	v_cmp_gt_i32_e32 vcc_lo, 32, v131
	v_cndmask_b32_e32 v130, v130, v131, vcc_lo
	s_waitcnt vmcnt(24) lgkmcnt(0)
	v_wmma_f32_16x16x16_f16 v[137:144], v[89:96], v[81:88], v[137:144]
	ds_load_b128 v[89:92], v151 offset:6144
	ds_load_b128 v[93:96], v151 offset:7168
	s_waitcnt vmcnt(22)
	v_wmma_f32_16x16x16_f16 v[121:128], v[97:104], v[81:88], v[121:128]
	s_waitcnt vmcnt(0) lgkmcnt(0)
	s_barrier
	buffer_gl0_inv
	v_wmma_f32_16x16x16_f16 v[137:144], v[105:112], v[89:96], v[137:144]
	v_and_b32_e32 v129, 0xe0, v0
	v_wmma_f32_16x16x16_f16 v[121:128], v[113:120], v[89:96], v[121:128]
	s_delay_alu instid0(VALU_DEP_3) | instskip(NEXT) | instid1(VALU_DEP_2)
	v_mul_f32_e32 v96, s19, v137
	v_dual_mul_f32 v104, s19, v126 :: v_dual_add_nc_u32 v129, s16, v129
	v_mul_f32_e32 v95, s19, v138
	v_dual_mul_f32 v93, s19, v140 :: v_dual_mul_f32 v94, s19, v139
	s_delay_alu instid0(VALU_DEP_3) | instskip(SKIP_3) | instid1(VALU_DEP_4)
	v_or_b32_e32 v129, v129, v75
	v_dual_mul_f32 v91, s19, v142 :: v_dual_mul_f32 v106, s19, v124
	v_dual_mul_f32 v92, s19, v141 :: v_dual_mul_f32 v89, s19, v144
	v_mul_f32_e32 v108, s19, v122
	v_or_b32_e32 v131, 2, v129
	v_or_b32_e32 v132, 4, v129
	;; [unrolled: 1-line block ×3, first 2 shown]
	v_cmp_gt_i32_e32 vcc_lo, s18, v129
	v_or_b32_e32 v82, 8, v129
	v_cmp_gt_i32_e64 s3, s18, v131
	v_or_b32_e32 v83, 10, v129
	v_cmp_gt_i32_e64 s4, s18, v132
	v_cndmask_b32_e32 v96, 0xff7fffff, v96, vcc_lo
	v_cmp_gt_i32_e64 s5, s18, v81
	v_cndmask_b32_e64 v95, 0xff7fffff, v95, s3
	v_or_b32_e32 v84, 12, v129
	v_or_b32_e32 v85, 14, v129
	v_cndmask_b32_e64 v94, 0xff7fffff, v94, s4
	v_cndmask_b32_e64 v81, 0xff7fffff, v93, s5
	v_max3_f32 v93, v96, 0xff7fffff, v95
	v_cmp_gt_i32_e64 s6, s18, v82
	v_cmp_gt_i32_e64 s7, s18, v83
	v_or_b32_e32 v86, 16, v129
	v_or_b32_e32 v87, 18, v129
	v_mul_f32_e32 v90, s19, v143
	v_cndmask_b32_e64 v82, 0xff7fffff, v92, s6
	v_cndmask_b32_e64 v83, 0xff7fffff, v91, s7
	v_max3_f32 v81, v93, v94, v81
	v_cmp_gt_i32_e64 s8, s18, v84
	v_cmp_gt_i32_e64 s9, s18, v85
	v_or_b32_e32 v88, 20, v129
	v_or_b32_e32 v97, 22, v129
	v_mul_f32_e32 v109, s19, v121
	;; [unrolled: 8-line block ×4, first 2 shown]
	v_cndmask_b32_e64 v84, 0xff7fffff, v107, s12
	v_cndmask_b32_e64 v85, 0xff7fffff, v106, s13
	v_max3_f32 v81, v81, v82, v83
	v_cmp_gt_i32_e64 s15, s18, v98
	v_cmp_gt_i32_e64 s16, s18, v99
	v_dual_mul_f32 v102, s19, v128 :: v_dual_mul_f32 v103, s19, v127
	s_delay_alu instid0(VALU_DEP_4) | instskip(NEXT) | instid1(VALU_DEP_4)
	v_max3_f32 v81, v81, v84, v85
	v_cndmask_b32_e64 v82, 0xff7fffff, v105, s15
	s_delay_alu instid0(VALU_DEP_4) | instskip(SKIP_2) | instid1(VALU_DEP_3)
	v_cndmask_b32_e64 v83, 0xff7fffff, v104, s16
	v_cmp_gt_i32_e64 s17, s18, v100
	v_cmp_gt_i32_e64 s18, s18, v101
	v_max3_f32 v81, v81, v82, v83
	s_delay_alu instid0(VALU_DEP_3) | instskip(NEXT) | instid1(VALU_DEP_3)
	v_cndmask_b32_e64 v84, 0xff7fffff, v103, s17
	v_cndmask_b32_e64 v85, 0xff7fffff, v102, s18
	v_lshlrev_b32_e32 v83, 2, v130
	s_delay_alu instid0(VALU_DEP_2) | instskip(SKIP_3) | instid1(VALU_DEP_1)
	v_max3_f32 v81, v81, v84, v85
	ds_bpermute_b32 v82, v83, v81
	s_waitcnt lgkmcnt(0)
	v_max_f32_e32 v82, v82, v82
	v_max_f32_e32 v81, v81, v82
	s_delay_alu instid0(VALU_DEP_1) | instskip(SKIP_3) | instid1(VALU_DEP_4)
	v_fma_f32 v82, s19, v137, -v81
	v_fma_f32 v84, s19, v138, -v81
	;; [unrolled: 1-line block ×4, first 2 shown]
	v_mul_f32_e32 v82, 0x3fb8aa3b, v82
	s_delay_alu instid0(VALU_DEP_3) | instskip(NEXT) | instid1(VALU_DEP_3)
	v_dual_mul_f32 v84, 0x3fb8aa3b, v84 :: v_dual_mul_f32 v85, 0x3fb8aa3b, v85
	v_mul_f32_e32 v86, 0x3fb8aa3b, v86
	s_delay_alu instid0(VALU_DEP_3) | instskip(NEXT) | instid1(VALU_DEP_2)
	v_exp_f32_e32 v82, v82
	v_exp_f32_e32 v84, v84
	s_delay_alu instid0(VALU_DEP_2) | instskip(NEXT) | instid1(VALU_DEP_1)
	v_exp_f32_e32 v85, v85
	v_exp_f32_e32 v90, v86
	v_cndmask_b32_e32 v87, 0, v82, vcc_lo
	s_delay_alu instid0(TRANS32_DEP_3) | instskip(SKIP_4) | instid1(VALU_DEP_1)
	v_cndmask_b32_e64 v86, 0, v84, s3
	s_waitcnt_depctr 0xfff
	v_cndmask_b32_e64 v89, 0, v85, s4
	s_mov_b32 s3, exec_lo
	v_add_f32_e32 v84, 0, v87
	v_add_f32_e32 v84, v84, v86
	s_delay_alu instid0(VALU_DEP_1)
	v_add_f32_e32 v84, v84, v89
	v_fma_f32 v88, s19, v141, -v81
	v_fma_f32 v91, s19, v143, -v81
	;; [unrolled: 1-line block ×5, first 2 shown]
	v_mul_f32_e32 v88, 0x3fb8aa3b, v88
	v_fma_f32 v100, s19, v128, -v81
	v_mul_f32_e32 v82, 0x3fb8aa3b, v82
	v_fma_f32 v98, s19, v126, -v81
	v_mul_f32_e32 v97, 0x3fb8aa3b, v95
	v_exp_f32_e32 v92, v88
	v_cndmask_b32_e64 v88, 0, v90, s5
	v_fma_f32 v90, s19, v121, -v81
	v_mul_f32_e32 v91, 0x3fb8aa3b, v91
	v_exp_f32_e32 v82, v82
	v_exp_f32_e32 v99, v97
	v_add_f32_e32 v84, v84, v88
	v_mul_f32_e32 v94, 0x3fb8aa3b, v90
	v_exp_f32_e32 v93, v91
	v_mul_f32_e32 v98, 0x3fb8aa3b, v98
	v_cndmask_b32_e64 v91, 0, v92, s6
	v_fma_f32 v92, s19, v122, -v81
	v_mul_f32_e32 v85, 0x3fb8aa3b, v85
	v_exp_f32_e32 v94, v94
	v_cndmask_b32_e64 v90, 0, v82, s7
	v_add_f32_e32 v82, v84, v91
	v_mul_f32_e32 v92, 0x3fb8aa3b, v92
	v_exp_f32_e32 v85, v85
	v_fma_f32 v84, s19, v123, -v81
	v_cndmask_b32_e64 v93, 0, v93, s8
	v_add_f32_e32 v82, v82, v90
	v_exp_f32_e32 v96, v92
	v_exp_f32_e32 v98, v98
	v_cndmask_b32_e64 v95, 0, v94, s10
	s_delay_alu instid0(VALU_DEP_2) | instskip(NEXT) | instid1(TRANS32_DEP_3)
	v_add_f32_e32 v82, v82, v93
	v_cndmask_b32_e64 v92, 0, v85, s9
	v_fma_f32 v85, s19, v125, -v81
	v_mul_f32_e32 v84, 0x3fb8aa3b, v84
	s_delay_alu instid0(TRANS32_DEP_2) | instskip(SKIP_1) | instid1(VALU_DEP_4)
	v_cndmask_b32_e64 v94, 0, v96, s11
	v_fma_f32 v96, s19, v127, -v81
	v_mul_f32_e32 v85, 0x3fb8aa3b, v85
	s_delay_alu instid0(VALU_DEP_4) | instskip(SKIP_1) | instid1(VALU_DEP_2)
	v_exp_f32_e32 v84, v84
	v_cndmask_b32_e64 v98, 0, v98, s16
	v_exp_f32_e32 v85, v85
	s_waitcnt_depctr 0xfff
	v_cndmask_b32_e64 v97, 0, v84, s12
	v_mul_f32_e32 v84, 0x3fb8aa3b, v96
	v_cndmask_b32_e64 v96, 0, v99, s13
	v_cndmask_b32_e64 v99, 0, v85, s15
	v_mul_f32_e32 v85, 0x3fb8aa3b, v100
	v_add_f32_e32 v82, v82, v92
	v_exp_f32_e32 v84, v84
	s_delay_alu instid0(VALU_DEP_2) | instskip(NEXT) | instid1(VALU_DEP_1)
	v_exp_f32_e32 v85, v85
	v_add_f32_e32 v82, v82, v95
	s_delay_alu instid0(VALU_DEP_1) | instskip(SKIP_4) | instid1(VALU_DEP_1)
	v_add_f32_e32 v82, v82, v94
	s_waitcnt_depctr 0xfff
	v_cndmask_b32_e64 v101, 0, v84, s17
	v_cndmask_b32_e64 v100, 0, v85, s18
	v_add_f32_e32 v82, v82, v97
	v_add_f32_e32 v82, v82, v96
	s_delay_alu instid0(VALU_DEP_1) | instskip(NEXT) | instid1(VALU_DEP_1)
	v_add_f32_e32 v82, v82, v99
	v_add_f32_e32 v82, v82, v98
	s_delay_alu instid0(VALU_DEP_1) | instskip(NEXT) | instid1(VALU_DEP_1)
	v_add_f32_e32 v82, v82, v101
	v_add_f32_e32 v82, v82, v100
	ds_bpermute_b32 v83, v83, v82
	v_cmpx_gt_u32_e32 16, v80
	s_cbranch_execz .LBB173_14
; %bb.13:
	v_mul_u32_u24_e32 v80, 0x44, v78
	s_waitcnt lgkmcnt(0)
	v_add_f32_e32 v82, v82, v83
	s_delay_alu instid0(VALU_DEP_2) | instskip(NEXT) | instid1(VALU_DEP_1)
	v_lshl_add_u32 v80, v79, 2, v80
	v_add_nc_u32_e32 v80, 0x4000, v80
	ds_store_2addr_b32 v80, v81, v82 offset1:136
.LBB173_14:
	s_or_b32 exec_lo, exec_lo, s3
	v_lshlrev_b32_e32 v79, 2, v79
	s_load_b32 s35, s[0:1], 0x94
	s_waitcnt lgkmcnt(0)
	s_barrier
	buffer_gl0_inv
	v_add_nc_u32_e32 v83, 0x4000, v79
	v_cmp_eq_u32_e32 vcc_lo, 1, v78
	v_cmp_eq_u32_e64 s3, 2, v78
	v_cmp_eq_u32_e64 s4, 3, v78
	;; [unrolled: 1-line block ×3, first 2 shown]
	ds_load_2addr_b32 v[79:80], v83 offset1:17
	ds_load_2addr_b32 v[81:82], v83 offset0:34 offset1:51
	ds_load_2addr_b32 v[102:103], v83 offset0:68 offset1:85
	ds_load_2addr_b32 v[104:105], v83 offset0:102 offset1:119
	v_cmp_eq_u32_e64 s6, 7, v78
	s_waitcnt lgkmcnt(3)
	v_max3_f32 v84, v79, 0xff7fffff, v80
	s_waitcnt lgkmcnt(2)
	s_delay_alu instid0(VALU_DEP_1) | instskip(SKIP_1) | instid1(VALU_DEP_1)
	v_max3_f32 v84, v84, v81, v82
	s_waitcnt lgkmcnt(1)
	v_max3_f32 v84, v84, v102, v103
	s_waitcnt lgkmcnt(0)
	s_delay_alu instid0(VALU_DEP_1) | instskip(NEXT) | instid1(VALU_DEP_1)
	v_max3_f32 v84, v84, v104, v105
	v_sub_f32_e32 v102, v102, v84
	ds_load_2addr_b32 v[106:107], v83 offset0:136 offset1:153
	v_sub_f32_e32 v79, v79, v84
	v_dual_sub_f32 v109, v82, v84 :: v_dual_mul_f32 v112, 0x3fb8aa3b, v102
	s_delay_alu instid0(VALU_DEP_2) | instskip(SKIP_3) | instid1(VALU_DEP_1)
	v_dual_sub_f32 v85, v80, v84 :: v_dual_mul_f32 v108, 0x3fb8aa3b, v79
	ds_load_2addr_b32 v[79:80], v83 offset0:170 offset1:187
	v_mul_f32_e32 v85, 0x3fb8aa3b, v85
	v_exp_f32_e32 v108, v108
	v_exp_f32_e32 v111, v85
	v_mul_f32_e32 v109, 0x3fb8aa3b, v109
	s_waitcnt lgkmcnt(1)
	s_waitcnt_depctr 0xfff
	v_fma_f32 v85, v108, v106, 0
	v_sub_f32_e32 v106, v103, v84
	v_sub_f32_e32 v81, v81, v84
	v_exp_f32_e32 v109, v109
	ds_load_2addr_b32 v[102:103], v83 offset0:238 offset1:255
	v_dual_fmac_f32 v85, v111, v107 :: v_dual_mul_f32 v110, 0x3fb8aa3b, v81
	ds_load_2addr_b32 v[81:82], v83 offset0:204 offset1:221
	v_dual_sub_f32 v83, v104, v84 :: v_dual_mul_f32 v104, 0x3fb8aa3b, v106
	v_exp_f32_e32 v106, v112
	v_exp_f32_e32 v110, v110
	s_waitcnt lgkmcnt(0)
	s_delay_alu instid0(VALU_DEP_1)
	v_mul_f32_e32 v83, 0x3fb8aa3b, v83
	v_exp_f32_e32 v104, v104
	s_barrier
	buffer_gl0_inv
	v_fmac_f32_e32 v85, v110, v79
	v_sub_f32_e32 v79, v105, v84
	v_exp_f32_e32 v105, v83
	s_delay_alu instid0(VALU_DEP_2) | instskip(NEXT) | instid1(VALU_DEP_2)
	v_fmac_f32_e32 v85, v109, v80
	v_mul_f32_e32 v79, 0x3fb8aa3b, v79
	s_delay_alu instid0(VALU_DEP_2) | instskip(NEXT) | instid1(VALU_DEP_2)
	v_dual_cndmask_b32 v80, v108, v111 :: v_dual_fmac_f32 v85, v106, v81
	v_exp_f32_e32 v107, v79
	s_delay_alu instid0(VALU_DEP_1) | instskip(SKIP_2) | instid1(VALU_DEP_1)
	v_fmac_f32_e32 v85, v104, v82
	s_waitcnt_depctr 0xfff
	v_fmac_f32_e32 v85, v105, v102
	v_fmac_f32_e32 v85, v107, v103
	s_delay_alu instid0(VALU_DEP_1) | instskip(NEXT) | instid1(VALU_DEP_1)
	v_add_f32_e32 v102, 0x358637bd, v85
	v_div_scale_f32 v103, null, v102, v102, 1.0
	v_div_scale_f32 v108, vcc_lo, 1.0, v102, 1.0
	s_delay_alu instid0(VALU_DEP_2) | instskip(SKIP_2) | instid1(VALU_DEP_1)
	v_rcp_f32_e32 v112, v103
	s_waitcnt_depctr 0xfff
	v_fma_f32 v79, -v103, v112, 1.0
	v_fmac_f32_e32 v112, v79, v112
	v_cndmask_b32_e64 v79, v80, v110, s3
	v_cmp_eq_u32_e64 s3, 4, v78
	v_lshl_or_b32 v80, v78, 11, v77
	s_delay_alu instid0(VALU_DEP_4) | instskip(NEXT) | instid1(VALU_DEP_4)
	v_mul_f32_e32 v110, v108, v112
	v_cndmask_b32_e64 v81, v79, v109, s4
	v_cmp_eq_u32_e64 s4, 6, v78
	s_delay_alu instid0(VALU_DEP_4) | instskip(SKIP_3) | instid1(VALU_DEP_3)
	v_lshl_or_b32 v78, v75, 4, v80
	v_lshlrev_b32_e32 v79, 2, v75
	v_fma_f32 v82, -v103, v110, v108
	v_cndmask_b32_e64 v83, v81, v106, s3
	v_or_b32_e32 v81, 1, v79
	s_delay_alu instid0(VALU_DEP_3) | instskip(NEXT) | instid1(VALU_DEP_3)
	v_fmac_f32_e32 v110, v82, v112
	v_cndmask_b32_e64 v104, v83, v104, s5
	v_or_b32_e32 v83, 2, v79
	v_or_b32_e32 v82, 3, v79
	v_cmp_eq_u32_e64 s3, 1, v79
	v_fma_f32 v103, -v103, v110, v108
	v_cndmask_b32_e64 v104, v104, v105, s4
	v_cmp_eq_u32_e64 s9, 1, v81
	v_cmp_eq_u32_e64 s10, 1, v83
	;; [unrolled: 1-line block ×3, first 2 shown]
	v_div_fmas_f32 v103, v103, v112, v110
	v_cndmask_b32_e64 v104, v104, v107, s6
	v_cmp_eq_u32_e32 vcc_lo, 2, v79
	v_cmp_eq_u32_e64 s12, 2, v81
	v_cmp_eq_u32_e64 s15, 2, v83
	v_div_fixup_f32 v102, v103, v102, 1.0
	v_cmp_eq_u32_e64 s16, 2, v82
	v_cmp_eq_u32_e64 s18, 3, v82
	;; [unrolled: 1-line block ×4, first 2 shown]
	v_mul_f32_e32 v110, v104, v102
	v_cmp_eq_u32_e64 s17, 3, v83
	v_cmp_eq_u32_e64 s22, 4, v82
	;; [unrolled: 1-line block ×4, first 2 shown]
	v_fma_mixlo_f16 v102, v110, v87, 0
	v_fma_mixlo_f16 v103, v110, v89, 0
	;; [unrolled: 1-line block ×8, first 2 shown]
	v_fma_mixhi_f16 v102, v110, v86, 0
	v_fma_mixhi_f16 v103, v110, v88, 0
	;; [unrolled: 1-line block ×8, first 2 shown]
	ds_store_b128 v78, v[102:105]
	ds_store_b128 v78, v[106:109] offset:1024
	s_waitcnt lgkmcnt(0)
	s_barrier
	buffer_gl0_inv
	ds_load_b128 v[86:89], v80
	ds_load_b128 v[90:93], v80 offset:16
	ds_load_b128 v[94:97], v80 offset:1024
	;; [unrolled: 1-line block ×3, first 2 shown]
	v_cmp_eq_u32_e64 s21, 4, v83
	v_cmp_eq_u32_e64 s24, 5, v82
	;; [unrolled: 1-line block ×13, first 2 shown]
	s_waitcnt lgkmcnt(3)
	v_lshrrev_b32_e32 v102, 16, v86
	s_waitcnt lgkmcnt(2)
	v_lshrrev_b32_e32 v106, 16, v90
	;; [unrolled: 2-line block ×4, first 2 shown]
	v_lshrrev_b32_e32 v103, 16, v87
	v_cndmask_b32_e64 v118, v86, v102, s3
	v_cndmask_b32_e64 v119, v90, v106, s3
	;; [unrolled: 1-line block ×8, first 2 shown]
	v_lshrrev_b32_e32 v107, 16, v91
	v_cndmask_b32_e64 v102, v94, v110, s3
	v_cndmask_b32_e64 v106, v98, v114, s3
	;; [unrolled: 1-line block ×5, first 2 shown]
	v_cndmask_b32_e32 v110, v118, v87, vcc_lo
	v_cndmask_b32_e64 v118, v120, v87, s12
	v_cndmask_b32_e64 v120, v122, v87, s15
	;; [unrolled: 1-line block ×4, first 2 shown]
	v_lshrrev_b32_e32 v111, 16, v95
	v_lshrrev_b32_e32 v115, 16, v99
	v_cndmask_b32_e64 v125, v98, v114, s9
	v_cndmask_b32_e64 v127, v98, v114, s10
	;; [unrolled: 1-line block ×3, first 2 shown]
	v_cndmask_b32_e32 v114, v119, v91, vcc_lo
	v_cndmask_b32_e64 v119, v121, v91, s12
	v_cndmask_b32_e64 v121, v123, v91, s15
	v_cndmask_b32_e32 v90, v102, v95, vcc_lo
	v_cndmask_b32_e32 v91, v106, v99, vcc_lo
	v_cndmask_b32_e64 v102, v124, v95, s12
	v_cndmask_b32_e64 v86, v86, v103, s18
	;; [unrolled: 1-line block ×3, first 2 shown]
	v_lshrrev_b32_e32 v104, 16, v88
	v_lshrrev_b32_e32 v108, 16, v92
	v_cndmask_b32_e64 v106, v126, v95, s15
	v_cndmask_b32_e64 v94, v94, v95, s16
	;; [unrolled: 1-line block ×14, first 2 shown]
	v_lshrrev_b32_e32 v112, 16, v96
	v_cndmask_b32_e64 v98, v98, v88, s5
	v_cndmask_b32_e64 v103, v110, v92, s5
	;; [unrolled: 1-line block ×11, first 2 shown]
	v_lshrrev_b32_e32 v105, 16, v89
	v_lshrrev_b32_e32 v109, 16, v93
	v_cndmask_b32_e64 v92, v98, v104, s6
	v_cndmask_b32_e64 v98, v103, v108, s6
	;; [unrolled: 1-line block ×9, first 2 shown]
	v_lshrrev_b32_e32 v113, 16, v97
	v_cndmask_b32_e64 v88, v88, v112, s6
	v_cndmask_b32_e64 v92, v92, v89, s7
	;; [unrolled: 1-line block ×19, first 2 shown]
	v_perm_b32 v89, v87, v86, 0x5040100
	v_cndmask_b32_e64 v86, v125, v99, s12
	v_cndmask_b32_e64 v104, v88, v113, s8
	v_perm_b32 v88, v102, v98, 0x5040100
	v_perm_b32 v87, v103, v93, 0x5040100
	v_cndmask_b32_e64 v93, v106, v111, s17
	v_cndmask_b32_e64 v94, v94, v111, s18
	;; [unrolled: 1-line block ×5, first 2 shown]
	v_lshrrev_b32_e32 v116, 16, v100
	v_cndmask_b32_e64 v93, v93, v96, s21
	v_cndmask_b32_e64 v94, v94, v96, s22
	;; [unrolled: 1-line block ×11, first 2 shown]
	v_lshrrev_b32_e32 v117, 16, v101
	v_cndmask_b32_e64 v90, v90, v101, s7
	v_cndmask_b32_e64 v93, v93, v97, s26
	;; [unrolled: 1-line block ×12, first 2 shown]
	v_perm_b32 v86, v92, v91, 0x5040100
	v_perm_b32 v93, v94, v93, 0x5040100
	;; [unrolled: 1-line block ×5, first 2 shown]
	s_lshl_b32 s7, s33, 2
	s_mov_b32 s3, exec_lo
	ds_store_b128 v78, v[86:89]
	ds_store_b128 v78, v[90:93] offset:1024
	v_cmpx_gt_u32_e32 4, v0
	s_cbranch_execz .LBB173_16
; %bb.15:
	v_or_b32_e32 v86, s31, v0
	s_load_b128 s[8:11], s[0:1], 0x58
	s_delay_alu instid0(VALU_DEP_1) | instskip(NEXT) | instid1(VALU_DEP_1)
	v_mad_u64_u32 v[87:88], null, s7, s34, v[86:87]
	v_mad_u64_u32 v[88:89], null, v87, s35, s[14:15]
	s_delay_alu instid0(VALU_DEP_1) | instskip(NEXT) | instid1(VALU_DEP_1)
	v_ashrrev_i32_e32 v89, 31, v88
	v_lshlrev_b64 v[86:87], 2, v[88:89]
	s_waitcnt lgkmcnt(0)
	s_delay_alu instid0(VALU_DEP_1) | instskip(NEXT) | instid1(VALU_DEP_2)
	v_add_co_u32 v88, vcc_lo, s10, v86
	v_add_co_ci_u32_e32 v89, vcc_lo, s11, v87, vcc_lo
	v_add_co_u32 v86, vcc_lo, s8, v86
	v_add_co_ci_u32_e32 v87, vcc_lo, s9, v87, vcc_lo
	global_store_b32 v[88:89], v84, off
	global_store_b32 v[86:87], v85, off
.LBB173_16:
	s_or_b32 exec_lo, exec_lo, s3
	s_waitcnt lgkmcnt(0)
	s_waitcnt_vscnt null, 0x0
	s_barrier
	buffer_gl0_inv
	ds_load_b128 v[92:95], v77
	ds_load_b128 v[96:99], v77 offset:16
	ds_load_b128 v[104:107], v77 offset:1040
	;; [unrolled: 1-line block ×5, first 2 shown]
	v_cmp_eq_u32_e32 vcc_lo, 1, v83
	v_mov_b32_e32 v84, 0
	ds_load_b128 v[120:123], v77 offset:3088
	ds_load_b128 v[116:119], v77 offset:3072
	;; [unrolled: 1-line block ×4, first 2 shown]
	v_cmp_eq_u32_e64 s3, 1, v79
	v_cmp_eq_u32_e64 s4, 1, v82
	;; [unrolled: 1-line block ×3, first 2 shown]
	v_mov_b32_e32 v85, v84
	v_mov_b32_e32 v86, v84
	v_mov_b32_e32 v87, v84
	v_mov_b32_e32 v88, v84
	v_mov_b32_e32 v89, v84
	v_mov_b32_e32 v90, v84
	v_mov_b32_e32 v91, v84
	v_cmp_eq_u32_e64 s6, 2, v79
	s_waitcnt lgkmcnt(8)
	s_delay_alu instid0(VALU_DEP_2)
	v_wmma_f32_16x16x16_f16 v[84:91], v[65:72], v[92:99], v[84:91]
	ds_load_b128 v[69:72], v77 offset:5136
	ds_load_b128 v[65:68], v77 offset:5120
	;; [unrolled: 1-line block ×4, first 2 shown]
	s_waitcnt lgkmcnt(10)
	v_wmma_f32_16x16x16_f16 v[84:91], v[57:64], v[100:107], v[84:91]
	s_waitcnt lgkmcnt(8)
	s_delay_alu instid0(VALU_DEP_1)
	v_wmma_f32_16x16x16_f16 v[84:91], v[57:64], v[108:115], v[84:91]
	ds_load_b128 v[61:64], v77 offset:7184
	ds_load_b128 v[57:60], v77 offset:7168
	;; [unrolled: 1-line block ×4, first 2 shown]
	s_waitcnt lgkmcnt(10)
	v_wmma_f32_16x16x16_f16 v[84:91], v[49:56], v[116:123], v[84:91]
	s_waitcnt lgkmcnt(8)
	s_delay_alu instid0(VALU_DEP_1)
	v_wmma_f32_16x16x16_f16 v[84:91], v[49:56], v[124:131], v[84:91]
	ds_load_b128 v[53:56], v77 offset:9232
	ds_load_b128 v[49:52], v77 offset:9216
	s_waitcnt lgkmcnt(8)
	v_wmma_f32_16x16x16_f16 v[84:91], v[41:48], v[65:72], v[84:91]
	ds_load_b128 v[69:72], v77 offset:10256
	ds_load_b128 v[65:68], v77 offset:10240
	s_waitcnt lgkmcnt(8)
	;; [unrolled: 4-line block ×7, first 2 shown]
	s_barrier
	buffer_gl0_inv
	v_wmma_f32_16x16x16_f16 v[84:91], v[33:40], v[41:48], v[84:91]
	s_delay_alu instid0(VALU_DEP_1) | instskip(NEXT) | instid1(VALU_DEP_1)
	v_wmma_f32_16x16x16_f16 v[84:91], v[33:40], v[57:64], v[84:91]
	v_wmma_f32_16x16x16_f16 v[84:91], v[25:32], v[9:16], v[84:91]
	s_delay_alu instid0(VALU_DEP_1) | instskip(NEXT) | instid1(VALU_DEP_1)
	v_wmma_f32_16x16x16_f16 v[84:91], v[25:32], v[49:56], v[84:91]
	v_wmma_f32_16x16x16_f16 v[84:91], v[17:24], v[1:8], v[84:91]
	s_delay_alu instid0(VALU_DEP_1) | instskip(NEXT) | instid1(VALU_DEP_2)
	v_cvt_f16_f32_e32 v1, v84
	v_cvt_f16_f32_e32 v2, v85
	s_delay_alu instid0(VALU_DEP_3) | instskip(NEXT) | instid1(VALU_DEP_4)
	v_cvt_f16_f32_e32 v3, v86
	v_cvt_f16_f32_e32 v4, v87
	;; [unrolled: 1-line block ×6, first 2 shown]
	v_pack_b32_f16 v1, v1, v2
	v_pack_b32_f16 v2, v3, v4
	;; [unrolled: 1-line block ×3, first 2 shown]
	s_delay_alu instid0(VALU_DEP_4)
	v_pack_b32_f16 v4, v7, v8
	ds_store_b128 v78, v[1:4]
	s_waitcnt lgkmcnt(0)
	s_barrier
	buffer_gl0_inv
	ds_load_b128 v[1:4], v80
	ds_load_b128 v[5:8], v80 offset:16
	s_waitcnt lgkmcnt(1)
	v_lshrrev_b32_e32 v9, 16, v1
	s_waitcnt lgkmcnt(0)
	v_lshrrev_b32_e32 v13, 16, v5
	v_lshrrev_b32_e32 v10, 16, v2
	;; [unrolled: 1-line block ×4, first 2 shown]
	v_cndmask_b32_e64 v17, v1, v9, s3
	v_cndmask_b32_e64 v18, v5, v13, s3
	;; [unrolled: 1-line block ×3, first 2 shown]
	v_cmp_eq_u32_e64 s3, 2, v81
	v_cndmask_b32_e64 v20, v5, v13, s5
	v_cndmask_b32_e32 v21, v1, v9, vcc_lo
	v_cndmask_b32_e32 v22, v5, v13, vcc_lo
	v_cndmask_b32_e64 v1, v1, v9, s4
	v_cndmask_b32_e64 v5, v5, v13, s4
	v_cmp_eq_u32_e32 vcc_lo, 2, v83
	v_cmp_eq_u32_e64 s4, 2, v82
	v_cndmask_b32_e64 v9, v17, v2, s6
	v_cndmask_b32_e64 v13, v18, v6, s6
	;; [unrolled: 1-line block ×4, first 2 shown]
	v_cndmask_b32_e32 v19, v21, v2, vcc_lo
	v_cmp_eq_u32_e64 s3, 3, v83
	v_cndmask_b32_e32 v20, v22, v6, vcc_lo
	v_cndmask_b32_e64 v1, v1, v2, s4
	v_cmp_eq_u32_e32 vcc_lo, 3, v82
	v_cmp_eq_u32_e64 s5, 3, v79
	v_cndmask_b32_e64 v2, v5, v6, s4
	v_cmp_eq_u32_e64 s4, 3, v81
	v_cmp_eq_u32_e64 s6, 4, v79
	v_cndmask_b32_e32 v1, v1, v10, vcc_lo
	v_cndmask_b32_e64 v5, v9, v10, s5
	v_cndmask_b32_e64 v6, v13, v14, s5
	;; [unrolled: 1-line block ×3, first 2 shown]
	v_cmp_eq_u32_e64 s5, 4, v81
	v_cndmask_b32_e64 v13, v18, v14, s4
	v_cndmask_b32_e64 v17, v19, v10, s3
	;; [unrolled: 1-line block ×3, first 2 shown]
	v_cndmask_b32_e32 v2, v2, v14, vcc_lo
	v_cmp_eq_u32_e32 vcc_lo, 4, v83
	v_cmp_eq_u32_e64 s4, 4, v82
	v_lshrrev_b32_e32 v15, 16, v7
	v_cndmask_b32_e64 v5, v5, v3, s6
	v_cndmask_b32_e64 v6, v6, v7, s6
	v_cndmask_b32_e32 v14, v18, v7, vcc_lo
	v_cndmask_b32_e64 v9, v9, v3, s5
	v_cndmask_b32_e64 v10, v13, v7, s5
	v_cndmask_b32_e32 v13, v17, v3, vcc_lo
	v_cmp_eq_u32_e64 s3, 5, v83
	v_cndmask_b32_e64 v1, v1, v3, s4
	v_cmp_eq_u32_e32 vcc_lo, 5, v82
	v_cmp_eq_u32_e64 s5, 5, v79
	v_cndmask_b32_e64 v2, v2, v7, s4
	v_cmp_eq_u32_e64 s4, 5, v81
	v_cmp_eq_u32_e64 s6, 6, v79
	v_lshrrev_b32_e32 v12, 16, v4
	v_cndmask_b32_e64 v3, v5, v11, s5
	v_cndmask_b32_e64 v5, v6, v15, s5
	;; [unrolled: 1-line block ×3, first 2 shown]
	v_cmp_eq_u32_e64 s5, 6, v81
	v_cndmask_b32_e64 v7, v10, v15, s4
	v_cndmask_b32_e64 v9, v13, v11, s3
	;; [unrolled: 1-line block ×3, first 2 shown]
	v_cndmask_b32_e32 v1, v1, v11, vcc_lo
	v_cndmask_b32_e32 v2, v2, v15, vcc_lo
	v_cmp_eq_u32_e32 vcc_lo, 6, v83
	v_cmp_eq_u32_e64 s3, 6, v82
	v_lshrrev_b32_e32 v16, 16, v8
	v_cndmask_b32_e64 v3, v3, v4, s6
	v_cndmask_b32_e64 v5, v5, v8, s6
	v_cndmask_b32_e32 v9, v9, v4, vcc_lo
	v_cndmask_b32_e64 v6, v6, v4, s5
	v_cndmask_b32_e64 v7, v7, v8, s5
	v_cmp_eq_u32_e64 s4, 7, v83
	v_cndmask_b32_e32 v10, v10, v8, vcc_lo
	v_cndmask_b32_e64 v1, v1, v4, s3
	v_cmp_eq_u32_e32 vcc_lo, 7, v82
	v_cndmask_b32_e64 v2, v2, v8, s3
	v_cmp_eq_u32_e64 s3, 7, v79
	v_cmp_eq_u32_e64 s5, 7, v81
	v_cndmask_b32_e32 v1, v1, v12, vcc_lo
	s_delay_alu instid0(VALU_DEP_4) | instskip(NEXT) | instid1(VALU_DEP_4)
	v_cndmask_b32_e32 v2, v2, v16, vcc_lo
	v_cndmask_b32_e64 v8, v3, v12, s3
	s_delay_alu instid0(VALU_DEP_4)
	v_cndmask_b32_e64 v6, v6, v12, s5
	v_cndmask_b32_e64 v3, v9, v12, s4
	;; [unrolled: 1-line block ×5, first 2 shown]
	v_cmp_gt_u32_e32 vcc_lo, 32, v0
	v_perm_b32 v4, v2, v1, 0x5040100
	v_perm_b32 v3, v9, v3, 0x5040100
	v_perm_b32 v2, v7, v6, 0x5040100
	v_perm_b32 v1, v5, v8, 0x5040100
	s_and_b32 s2, vcc_lo, s2
	ds_store_b128 v78, v[1:4]
	s_waitcnt lgkmcnt(0)
	s_barrier
	buffer_gl0_inv
	s_and_saveexec_b32 s3, s2
	s_cbranch_execz .LBB173_2
; %bb.17:
	s_load_b64 s[0:1], s[0:1], 0x68
	v_lshlrev_b32_e32 v0, 10, v0
	v_or_b32_e32 v1, s31, v75
	s_lshl_b32 s4, s35, 6
	v_lshlrev_b32_e32 v2, 4, v76
	s_mul_i32 s2, s4, s34
	v_lshlrev_b32_e32 v3, 6, v75
	v_mul_lo_u32 v8, v1, s4
	v_and_b32_e32 v0, 0x3800, v0
	v_or_b32_e32 v1, 2, v1
	s_mul_i32 s2, s2, s7
	s_delay_alu instid0(SALU_CYCLE_1) | instskip(NEXT) | instid1(VALU_DEP_2)
	s_ashr_i32 s3, s2, 31
	v_or3_b32 v4, v0, v2, v3
	s_lshl_b64 s[2:3], s[2:3], 1
	v_mul_lo_u32 v10, v1, s4
	v_ashrrev_i32_e32 v9, 31, v8
	ds_load_b128 v[0:3], v4
	ds_load_b128 v[4:7], v4 offset:128
	s_waitcnt lgkmcnt(0)
	s_add_u32 s2, s0, s2
	s_addc_u32 s3, s1, s3
	s_lshl_b32 s0, s14, 6
	v_ashrrev_i32_e32 v11, 31, v10
	s_ashr_i32 s1, s0, 31
	v_lshlrev_b64 v[8:9], 1, v[8:9]
	s_lshl_b64 s[0:1], s[0:1], 1
	s_delay_alu instid0(SALU_CYCLE_1) | instskip(SKIP_4) | instid1(VALU_DEP_3)
	s_add_u32 s0, s2, s0
	s_addc_u32 s1, s3, s1
	v_add_co_u32 v12, vcc_lo, s0, v73
	v_add_co_ci_u32_e32 v13, vcc_lo, s1, v74, vcc_lo
	v_lshlrev_b64 v[10:11], 1, v[10:11]
	v_add_co_u32 v8, vcc_lo, v12, v8
	s_delay_alu instid0(VALU_DEP_3) | instskip(NEXT) | instid1(VALU_DEP_3)
	v_add_co_ci_u32_e32 v9, vcc_lo, v13, v9, vcc_lo
	v_add_co_u32 v10, vcc_lo, v12, v10
	s_delay_alu instid0(VALU_DEP_4)
	v_add_co_ci_u32_e32 v11, vcc_lo, v13, v11, vcc_lo
	s_clause 0x1
	global_store_b128 v[8:9], v[0:3], off
	global_store_b128 v[10:11], v[4:7], off
	s_nop 0
	s_sendmsg sendmsg(MSG_DEALLOC_VGPRS)
	s_endpgm
	.section	.rodata,"a",@progbits
	.p2align	6, 0x0
	.amdhsa_kernel _Z39paged_attention_ll4mi_QKV_mfma16_kernelIDF16_DF16_LN4vllm18Fp8KVCacheDataTypeE0EDF16_Li32ELi64ELi256ELb1ELi4EL8MFMAType0EEvPKT_PKT0_S8_ifPKiSA_SA_iPKfiiiPfSD_PS3_PT2_iSC_SC_
		.amdhsa_group_segment_fixed_size 17472
		.amdhsa_private_segment_fixed_size 0
		.amdhsa_kernarg_size 400
		.amdhsa_user_sgpr_count 13
		.amdhsa_user_sgpr_dispatch_ptr 0
		.amdhsa_user_sgpr_queue_ptr 0
		.amdhsa_user_sgpr_kernarg_segment_ptr 1
		.amdhsa_user_sgpr_dispatch_id 0
		.amdhsa_user_sgpr_private_segment_size 0
		.amdhsa_wavefront_size32 1
		.amdhsa_uses_dynamic_stack 0
		.amdhsa_enable_private_segment 0
		.amdhsa_system_sgpr_workgroup_id_x 1
		.amdhsa_system_sgpr_workgroup_id_y 1
		.amdhsa_system_sgpr_workgroup_id_z 1
		.amdhsa_system_sgpr_workgroup_info 0
		.amdhsa_system_vgpr_workitem_id 0
		.amdhsa_next_free_vgpr 154
		.amdhsa_next_free_sgpr 39
		.amdhsa_reserve_vcc 1
		.amdhsa_float_round_mode_32 0
		.amdhsa_float_round_mode_16_64 0
		.amdhsa_float_denorm_mode_32 3
		.amdhsa_float_denorm_mode_16_64 3
		.amdhsa_dx10_clamp 1
		.amdhsa_ieee_mode 1
		.amdhsa_fp16_overflow 0
		.amdhsa_workgroup_processor_mode 1
		.amdhsa_memory_ordered 1
		.amdhsa_forward_progress 0
		.amdhsa_shared_vgpr_count 0
		.amdhsa_exception_fp_ieee_invalid_op 0
		.amdhsa_exception_fp_denorm_src 0
		.amdhsa_exception_fp_ieee_div_zero 0
		.amdhsa_exception_fp_ieee_overflow 0
		.amdhsa_exception_fp_ieee_underflow 0
		.amdhsa_exception_fp_ieee_inexact 0
		.amdhsa_exception_int_div_zero 0
	.end_amdhsa_kernel
	.section	.text._Z39paged_attention_ll4mi_QKV_mfma16_kernelIDF16_DF16_LN4vllm18Fp8KVCacheDataTypeE0EDF16_Li32ELi64ELi256ELb1ELi4EL8MFMAType0EEvPKT_PKT0_S8_ifPKiSA_SA_iPKfiiiPfSD_PS3_PT2_iSC_SC_,"axG",@progbits,_Z39paged_attention_ll4mi_QKV_mfma16_kernelIDF16_DF16_LN4vllm18Fp8KVCacheDataTypeE0EDF16_Li32ELi64ELi256ELb1ELi4EL8MFMAType0EEvPKT_PKT0_S8_ifPKiSA_SA_iPKfiiiPfSD_PS3_PT2_iSC_SC_,comdat
.Lfunc_end173:
	.size	_Z39paged_attention_ll4mi_QKV_mfma16_kernelIDF16_DF16_LN4vllm18Fp8KVCacheDataTypeE0EDF16_Li32ELi64ELi256ELb1ELi4EL8MFMAType0EEvPKT_PKT0_S8_ifPKiSA_SA_iPKfiiiPfSD_PS3_PT2_iSC_SC_, .Lfunc_end173-_Z39paged_attention_ll4mi_QKV_mfma16_kernelIDF16_DF16_LN4vllm18Fp8KVCacheDataTypeE0EDF16_Li32ELi64ELi256ELb1ELi4EL8MFMAType0EEvPKT_PKT0_S8_ifPKiSA_SA_iPKfiiiPfSD_PS3_PT2_iSC_SC_
                                        ; -- End function
	.section	.AMDGPU.csdata,"",@progbits
; Kernel info:
; codeLenInByte = 7084
; NumSgprs: 41
; NumVgprs: 154
; ScratchSize: 0
; MemoryBound: 0
; FloatMode: 240
; IeeeMode: 1
; LDSByteSize: 17472 bytes/workgroup (compile time only)
; SGPRBlocks: 5
; VGPRBlocks: 19
; NumSGPRsForWavesPerEU: 41
; NumVGPRsForWavesPerEU: 154
; Occupancy: 9
; WaveLimiterHint : 1
; COMPUTE_PGM_RSRC2:SCRATCH_EN: 0
; COMPUTE_PGM_RSRC2:USER_SGPR: 13
; COMPUTE_PGM_RSRC2:TRAP_HANDLER: 0
; COMPUTE_PGM_RSRC2:TGID_X_EN: 1
; COMPUTE_PGM_RSRC2:TGID_Y_EN: 1
; COMPUTE_PGM_RSRC2:TGID_Z_EN: 1
; COMPUTE_PGM_RSRC2:TIDIG_COMP_CNT: 0
	.section	.text._Z38paged_attention_ll4mi_QKV_mfma4_kernelIDF16_DF16_LN4vllm18Fp8KVCacheDataTypeE0EDF16_Li32ELi64ELi256ELb0ELi1EEvPKT_PKT0_S7_ifPKiS9_S9_iPKfiiiPfSC_PS2_PT2_iSB_SB_,"axG",@progbits,_Z38paged_attention_ll4mi_QKV_mfma4_kernelIDF16_DF16_LN4vllm18Fp8KVCacheDataTypeE0EDF16_Li32ELi64ELi256ELb0ELi1EEvPKT_PKT0_S7_ifPKiS9_S9_iPKfiiiPfSC_PS2_PT2_iSB_SB_,comdat
	.protected	_Z38paged_attention_ll4mi_QKV_mfma4_kernelIDF16_DF16_LN4vllm18Fp8KVCacheDataTypeE0EDF16_Li32ELi64ELi256ELb0ELi1EEvPKT_PKT0_S7_ifPKiS9_S9_iPKfiiiPfSC_PS2_PT2_iSB_SB_ ; -- Begin function _Z38paged_attention_ll4mi_QKV_mfma4_kernelIDF16_DF16_LN4vllm18Fp8KVCacheDataTypeE0EDF16_Li32ELi64ELi256ELb0ELi1EEvPKT_PKT0_S7_ifPKiS9_S9_iPKfiiiPfSC_PS2_PT2_iSB_SB_
	.globl	_Z38paged_attention_ll4mi_QKV_mfma4_kernelIDF16_DF16_LN4vllm18Fp8KVCacheDataTypeE0EDF16_Li32ELi64ELi256ELb0ELi1EEvPKT_PKT0_S7_ifPKiS9_S9_iPKfiiiPfSC_PS2_PT2_iSB_SB_
	.p2align	8
	.type	_Z38paged_attention_ll4mi_QKV_mfma4_kernelIDF16_DF16_LN4vllm18Fp8KVCacheDataTypeE0EDF16_Li32ELi64ELi256ELb0ELi1EEvPKT_PKT0_S7_ifPKiS9_S9_iPKfiiiPfSC_PS2_PT2_iSB_SB_,@function
_Z38paged_attention_ll4mi_QKV_mfma4_kernelIDF16_DF16_LN4vllm18Fp8KVCacheDataTypeE0EDF16_Li32ELi64ELi256ELb0ELi1EEvPKT_PKT0_S7_ifPKiS9_S9_iPKfiiiPfSC_PS2_PT2_iSB_SB_: ; @_Z38paged_attention_ll4mi_QKV_mfma4_kernelIDF16_DF16_LN4vllm18Fp8KVCacheDataTypeE0EDF16_Li32ELi64ELi256ELb0ELi1EEvPKT_PKT0_S7_ifPKiS9_S9_iPKfiiiPfSC_PS2_PT2_iSB_SB_
; %bb.0:
	s_add_u32 s8, s0, 0x90
	s_addc_u32 s9, s1, 0
	s_getpc_b64 s[0:1]
	s_add_u32 s0, s0, __PRETTY_FUNCTION__._Z38paged_attention_ll4mi_QKV_mfma4_kernelIDF16_DF16_LN4vllm18Fp8KVCacheDataTypeE0EDF16_Li32ELi64ELi256ELb0ELi1EEvPKT_PKT0_S7_ifPKiS9_S9_iPKfiiiPfSC_PS2_PT2_iSB_SB_@rel32@lo+4
	s_addc_u32 s1, s1, __PRETTY_FUNCTION__._Z38paged_attention_ll4mi_QKV_mfma4_kernelIDF16_DF16_LN4vllm18Fp8KVCacheDataTypeE0EDF16_Li32ELi64ELi256ELb0ELi1EEvPKT_PKT0_S7_ifPKiS9_S9_iPKfiiiPfSC_PS2_PT2_iSB_SB_@rel32@hi+12
	s_delay_alu instid0(SALU_CYCLE_1) | instskip(SKIP_4) | instid1(SALU_CYCLE_1)
	v_dual_mov_b32 v0, s0 :: v_dual_mov_b32 v1, s1
	s_mov_b32 s32, 0
	s_getpc_b64 s[2:3]
	s_add_u32 s2, s2, __assert_fail@rel32@lo+4
	s_addc_u32 s3, s3, __assert_fail@rel32@hi+12
	s_swappc_b64 s[30:31], s[2:3]
	.section	.rodata,"a",@progbits
	.p2align	6, 0x0
	.amdhsa_kernel _Z38paged_attention_ll4mi_QKV_mfma4_kernelIDF16_DF16_LN4vllm18Fp8KVCacheDataTypeE0EDF16_Li32ELi64ELi256ELb0ELi1EEvPKT_PKT0_S7_ifPKiS9_S9_iPKfiiiPfSC_PS2_PT2_iSB_SB_
		.amdhsa_group_segment_fixed_size 0
		.amdhsa_private_segment_fixed_size 64
		.amdhsa_kernarg_size 400
		.amdhsa_user_sgpr_count 15
		.amdhsa_user_sgpr_dispatch_ptr 0
		.amdhsa_user_sgpr_queue_ptr 0
		.amdhsa_user_sgpr_kernarg_segment_ptr 1
		.amdhsa_user_sgpr_dispatch_id 0
		.amdhsa_user_sgpr_private_segment_size 0
		.amdhsa_wavefront_size32 1
		.amdhsa_uses_dynamic_stack 0
		.amdhsa_enable_private_segment 1
		.amdhsa_system_sgpr_workgroup_id_x 1
		.amdhsa_system_sgpr_workgroup_id_y 0
		.amdhsa_system_sgpr_workgroup_id_z 0
		.amdhsa_system_sgpr_workgroup_info 0
		.amdhsa_system_vgpr_workitem_id 0
		.amdhsa_next_free_vgpr 41
		.amdhsa_next_free_sgpr 34
		.amdhsa_reserve_vcc 1
		.amdhsa_float_round_mode_32 0
		.amdhsa_float_round_mode_16_64 0
		.amdhsa_float_denorm_mode_32 3
		.amdhsa_float_denorm_mode_16_64 3
		.amdhsa_dx10_clamp 1
		.amdhsa_ieee_mode 1
		.amdhsa_fp16_overflow 0
		.amdhsa_workgroup_processor_mode 1
		.amdhsa_memory_ordered 1
		.amdhsa_forward_progress 0
		.amdhsa_shared_vgpr_count 0
		.amdhsa_exception_fp_ieee_invalid_op 0
		.amdhsa_exception_fp_denorm_src 0
		.amdhsa_exception_fp_ieee_div_zero 0
		.amdhsa_exception_fp_ieee_overflow 0
		.amdhsa_exception_fp_ieee_underflow 0
		.amdhsa_exception_fp_ieee_inexact 0
		.amdhsa_exception_int_div_zero 0
	.end_amdhsa_kernel
	.section	.text._Z38paged_attention_ll4mi_QKV_mfma4_kernelIDF16_DF16_LN4vllm18Fp8KVCacheDataTypeE0EDF16_Li32ELi64ELi256ELb0ELi1EEvPKT_PKT0_S7_ifPKiS9_S9_iPKfiiiPfSC_PS2_PT2_iSB_SB_,"axG",@progbits,_Z38paged_attention_ll4mi_QKV_mfma4_kernelIDF16_DF16_LN4vllm18Fp8KVCacheDataTypeE0EDF16_Li32ELi64ELi256ELb0ELi1EEvPKT_PKT0_S7_ifPKiS9_S9_iPKfiiiPfSC_PS2_PT2_iSB_SB_,comdat
.Lfunc_end174:
	.size	_Z38paged_attention_ll4mi_QKV_mfma4_kernelIDF16_DF16_LN4vllm18Fp8KVCacheDataTypeE0EDF16_Li32ELi64ELi256ELb0ELi1EEvPKT_PKT0_S7_ifPKiS9_S9_iPKfiiiPfSC_PS2_PT2_iSB_SB_, .Lfunc_end174-_Z38paged_attention_ll4mi_QKV_mfma4_kernelIDF16_DF16_LN4vllm18Fp8KVCacheDataTypeE0EDF16_Li32ELi64ELi256ELb0ELi1EEvPKT_PKT0_S7_ifPKiS9_S9_iPKfiiiPfSC_PS2_PT2_iSB_SB_
                                        ; -- End function
	.section	.AMDGPU.csdata,"",@progbits
; Kernel info:
; codeLenInByte = 72
; NumSgprs: 36
; NumVgprs: 41
; ScratchSize: 64
; MemoryBound: 0
; FloatMode: 240
; IeeeMode: 1
; LDSByteSize: 0 bytes/workgroup (compile time only)
; SGPRBlocks: 4
; VGPRBlocks: 5
; NumSGPRsForWavesPerEU: 36
; NumVGPRsForWavesPerEU: 41
; Occupancy: 16
; WaveLimiterHint : 1
; COMPUTE_PGM_RSRC2:SCRATCH_EN: 1
; COMPUTE_PGM_RSRC2:USER_SGPR: 15
; COMPUTE_PGM_RSRC2:TRAP_HANDLER: 0
; COMPUTE_PGM_RSRC2:TGID_X_EN: 1
; COMPUTE_PGM_RSRC2:TGID_Y_EN: 0
; COMPUTE_PGM_RSRC2:TGID_Z_EN: 0
; COMPUTE_PGM_RSRC2:TIDIG_COMP_CNT: 0
	.section	.text._Z38paged_attention_ll4mi_QKV_mfma4_kernelIDF16_DF16_LN4vllm18Fp8KVCacheDataTypeE0EDF16_Li32ELi64ELi256ELb0ELi2EEvPKT_PKT0_S7_ifPKiS9_S9_iPKfiiiPfSC_PS2_PT2_iSB_SB_,"axG",@progbits,_Z38paged_attention_ll4mi_QKV_mfma4_kernelIDF16_DF16_LN4vllm18Fp8KVCacheDataTypeE0EDF16_Li32ELi64ELi256ELb0ELi2EEvPKT_PKT0_S7_ifPKiS9_S9_iPKfiiiPfSC_PS2_PT2_iSB_SB_,comdat
	.protected	_Z38paged_attention_ll4mi_QKV_mfma4_kernelIDF16_DF16_LN4vllm18Fp8KVCacheDataTypeE0EDF16_Li32ELi64ELi256ELb0ELi2EEvPKT_PKT0_S7_ifPKiS9_S9_iPKfiiiPfSC_PS2_PT2_iSB_SB_ ; -- Begin function _Z38paged_attention_ll4mi_QKV_mfma4_kernelIDF16_DF16_LN4vllm18Fp8KVCacheDataTypeE0EDF16_Li32ELi64ELi256ELb0ELi2EEvPKT_PKT0_S7_ifPKiS9_S9_iPKfiiiPfSC_PS2_PT2_iSB_SB_
	.globl	_Z38paged_attention_ll4mi_QKV_mfma4_kernelIDF16_DF16_LN4vllm18Fp8KVCacheDataTypeE0EDF16_Li32ELi64ELi256ELb0ELi2EEvPKT_PKT0_S7_ifPKiS9_S9_iPKfiiiPfSC_PS2_PT2_iSB_SB_
	.p2align	8
	.type	_Z38paged_attention_ll4mi_QKV_mfma4_kernelIDF16_DF16_LN4vllm18Fp8KVCacheDataTypeE0EDF16_Li32ELi64ELi256ELb0ELi2EEvPKT_PKT0_S7_ifPKiS9_S9_iPKfiiiPfSC_PS2_PT2_iSB_SB_,@function
_Z38paged_attention_ll4mi_QKV_mfma4_kernelIDF16_DF16_LN4vllm18Fp8KVCacheDataTypeE0EDF16_Li32ELi64ELi256ELb0ELi2EEvPKT_PKT0_S7_ifPKiS9_S9_iPKfiiiPfSC_PS2_PT2_iSB_SB_: ; @_Z38paged_attention_ll4mi_QKV_mfma4_kernelIDF16_DF16_LN4vllm18Fp8KVCacheDataTypeE0EDF16_Li32ELi64ELi256ELb0ELi2EEvPKT_PKT0_S7_ifPKiS9_S9_iPKfiiiPfSC_PS2_PT2_iSB_SB_
; %bb.0:
	s_add_u32 s8, s0, 0x90
	s_addc_u32 s9, s1, 0
	s_getpc_b64 s[0:1]
	s_add_u32 s0, s0, __PRETTY_FUNCTION__._Z38paged_attention_ll4mi_QKV_mfma4_kernelIDF16_DF16_LN4vllm18Fp8KVCacheDataTypeE0EDF16_Li32ELi64ELi256ELb0ELi2EEvPKT_PKT0_S7_ifPKiS9_S9_iPKfiiiPfSC_PS2_PT2_iSB_SB_@rel32@lo+4
	s_addc_u32 s1, s1, __PRETTY_FUNCTION__._Z38paged_attention_ll4mi_QKV_mfma4_kernelIDF16_DF16_LN4vllm18Fp8KVCacheDataTypeE0EDF16_Li32ELi64ELi256ELb0ELi2EEvPKT_PKT0_S7_ifPKiS9_S9_iPKfiiiPfSC_PS2_PT2_iSB_SB_@rel32@hi+12
	s_delay_alu instid0(SALU_CYCLE_1) | instskip(SKIP_4) | instid1(SALU_CYCLE_1)
	v_dual_mov_b32 v0, s0 :: v_dual_mov_b32 v1, s1
	s_mov_b32 s32, 0
	s_getpc_b64 s[2:3]
	s_add_u32 s2, s2, __assert_fail@rel32@lo+4
	s_addc_u32 s3, s3, __assert_fail@rel32@hi+12
	s_swappc_b64 s[30:31], s[2:3]
	.section	.rodata,"a",@progbits
	.p2align	6, 0x0
	.amdhsa_kernel _Z38paged_attention_ll4mi_QKV_mfma4_kernelIDF16_DF16_LN4vllm18Fp8KVCacheDataTypeE0EDF16_Li32ELi64ELi256ELb0ELi2EEvPKT_PKT0_S7_ifPKiS9_S9_iPKfiiiPfSC_PS2_PT2_iSB_SB_
		.amdhsa_group_segment_fixed_size 0
		.amdhsa_private_segment_fixed_size 64
		.amdhsa_kernarg_size 400
		.amdhsa_user_sgpr_count 15
		.amdhsa_user_sgpr_dispatch_ptr 0
		.amdhsa_user_sgpr_queue_ptr 0
		.amdhsa_user_sgpr_kernarg_segment_ptr 1
		.amdhsa_user_sgpr_dispatch_id 0
		.amdhsa_user_sgpr_private_segment_size 0
		.amdhsa_wavefront_size32 1
		.amdhsa_uses_dynamic_stack 0
		.amdhsa_enable_private_segment 1
		.amdhsa_system_sgpr_workgroup_id_x 1
		.amdhsa_system_sgpr_workgroup_id_y 0
		.amdhsa_system_sgpr_workgroup_id_z 0
		.amdhsa_system_sgpr_workgroup_info 0
		.amdhsa_system_vgpr_workitem_id 0
		.amdhsa_next_free_vgpr 41
		.amdhsa_next_free_sgpr 34
		.amdhsa_reserve_vcc 1
		.amdhsa_float_round_mode_32 0
		.amdhsa_float_round_mode_16_64 0
		.amdhsa_float_denorm_mode_32 3
		.amdhsa_float_denorm_mode_16_64 3
		.amdhsa_dx10_clamp 1
		.amdhsa_ieee_mode 1
		.amdhsa_fp16_overflow 0
		.amdhsa_workgroup_processor_mode 1
		.amdhsa_memory_ordered 1
		.amdhsa_forward_progress 0
		.amdhsa_shared_vgpr_count 0
		.amdhsa_exception_fp_ieee_invalid_op 0
		.amdhsa_exception_fp_denorm_src 0
		.amdhsa_exception_fp_ieee_div_zero 0
		.amdhsa_exception_fp_ieee_overflow 0
		.amdhsa_exception_fp_ieee_underflow 0
		.amdhsa_exception_fp_ieee_inexact 0
		.amdhsa_exception_int_div_zero 0
	.end_amdhsa_kernel
	.section	.text._Z38paged_attention_ll4mi_QKV_mfma4_kernelIDF16_DF16_LN4vllm18Fp8KVCacheDataTypeE0EDF16_Li32ELi64ELi256ELb0ELi2EEvPKT_PKT0_S7_ifPKiS9_S9_iPKfiiiPfSC_PS2_PT2_iSB_SB_,"axG",@progbits,_Z38paged_attention_ll4mi_QKV_mfma4_kernelIDF16_DF16_LN4vllm18Fp8KVCacheDataTypeE0EDF16_Li32ELi64ELi256ELb0ELi2EEvPKT_PKT0_S7_ifPKiS9_S9_iPKfiiiPfSC_PS2_PT2_iSB_SB_,comdat
.Lfunc_end175:
	.size	_Z38paged_attention_ll4mi_QKV_mfma4_kernelIDF16_DF16_LN4vllm18Fp8KVCacheDataTypeE0EDF16_Li32ELi64ELi256ELb0ELi2EEvPKT_PKT0_S7_ifPKiS9_S9_iPKfiiiPfSC_PS2_PT2_iSB_SB_, .Lfunc_end175-_Z38paged_attention_ll4mi_QKV_mfma4_kernelIDF16_DF16_LN4vllm18Fp8KVCacheDataTypeE0EDF16_Li32ELi64ELi256ELb0ELi2EEvPKT_PKT0_S7_ifPKiS9_S9_iPKfiiiPfSC_PS2_PT2_iSB_SB_
                                        ; -- End function
	.section	.AMDGPU.csdata,"",@progbits
; Kernel info:
; codeLenInByte = 72
; NumSgprs: 36
; NumVgprs: 41
; ScratchSize: 64
; MemoryBound: 0
; FloatMode: 240
; IeeeMode: 1
; LDSByteSize: 0 bytes/workgroup (compile time only)
; SGPRBlocks: 4
; VGPRBlocks: 5
; NumSGPRsForWavesPerEU: 36
; NumVGPRsForWavesPerEU: 41
; Occupancy: 16
; WaveLimiterHint : 1
; COMPUTE_PGM_RSRC2:SCRATCH_EN: 1
; COMPUTE_PGM_RSRC2:USER_SGPR: 15
; COMPUTE_PGM_RSRC2:TRAP_HANDLER: 0
; COMPUTE_PGM_RSRC2:TGID_X_EN: 1
; COMPUTE_PGM_RSRC2:TGID_Y_EN: 0
; COMPUTE_PGM_RSRC2:TGID_Z_EN: 0
; COMPUTE_PGM_RSRC2:TIDIG_COMP_CNT: 0
	.section	.text._Z38paged_attention_ll4mi_QKV_mfma4_kernelIDF16_DF16_LN4vllm18Fp8KVCacheDataTypeE0EDF16_Li32ELi64ELi256ELb0ELi3EEvPKT_PKT0_S7_ifPKiS9_S9_iPKfiiiPfSC_PS2_PT2_iSB_SB_,"axG",@progbits,_Z38paged_attention_ll4mi_QKV_mfma4_kernelIDF16_DF16_LN4vllm18Fp8KVCacheDataTypeE0EDF16_Li32ELi64ELi256ELb0ELi3EEvPKT_PKT0_S7_ifPKiS9_S9_iPKfiiiPfSC_PS2_PT2_iSB_SB_,comdat
	.protected	_Z38paged_attention_ll4mi_QKV_mfma4_kernelIDF16_DF16_LN4vllm18Fp8KVCacheDataTypeE0EDF16_Li32ELi64ELi256ELb0ELi3EEvPKT_PKT0_S7_ifPKiS9_S9_iPKfiiiPfSC_PS2_PT2_iSB_SB_ ; -- Begin function _Z38paged_attention_ll4mi_QKV_mfma4_kernelIDF16_DF16_LN4vllm18Fp8KVCacheDataTypeE0EDF16_Li32ELi64ELi256ELb0ELi3EEvPKT_PKT0_S7_ifPKiS9_S9_iPKfiiiPfSC_PS2_PT2_iSB_SB_
	.globl	_Z38paged_attention_ll4mi_QKV_mfma4_kernelIDF16_DF16_LN4vllm18Fp8KVCacheDataTypeE0EDF16_Li32ELi64ELi256ELb0ELi3EEvPKT_PKT0_S7_ifPKiS9_S9_iPKfiiiPfSC_PS2_PT2_iSB_SB_
	.p2align	8
	.type	_Z38paged_attention_ll4mi_QKV_mfma4_kernelIDF16_DF16_LN4vllm18Fp8KVCacheDataTypeE0EDF16_Li32ELi64ELi256ELb0ELi3EEvPKT_PKT0_S7_ifPKiS9_S9_iPKfiiiPfSC_PS2_PT2_iSB_SB_,@function
_Z38paged_attention_ll4mi_QKV_mfma4_kernelIDF16_DF16_LN4vllm18Fp8KVCacheDataTypeE0EDF16_Li32ELi64ELi256ELb0ELi3EEvPKT_PKT0_S7_ifPKiS9_S9_iPKfiiiPfSC_PS2_PT2_iSB_SB_: ; @_Z38paged_attention_ll4mi_QKV_mfma4_kernelIDF16_DF16_LN4vllm18Fp8KVCacheDataTypeE0EDF16_Li32ELi64ELi256ELb0ELi3EEvPKT_PKT0_S7_ifPKiS9_S9_iPKfiiiPfSC_PS2_PT2_iSB_SB_
; %bb.0:
	s_add_u32 s8, s0, 0x90
	s_addc_u32 s9, s1, 0
	s_getpc_b64 s[0:1]
	s_add_u32 s0, s0, __PRETTY_FUNCTION__._Z38paged_attention_ll4mi_QKV_mfma4_kernelIDF16_DF16_LN4vllm18Fp8KVCacheDataTypeE0EDF16_Li32ELi64ELi256ELb0ELi3EEvPKT_PKT0_S7_ifPKiS9_S9_iPKfiiiPfSC_PS2_PT2_iSB_SB_@rel32@lo+4
	s_addc_u32 s1, s1, __PRETTY_FUNCTION__._Z38paged_attention_ll4mi_QKV_mfma4_kernelIDF16_DF16_LN4vllm18Fp8KVCacheDataTypeE0EDF16_Li32ELi64ELi256ELb0ELi3EEvPKT_PKT0_S7_ifPKiS9_S9_iPKfiiiPfSC_PS2_PT2_iSB_SB_@rel32@hi+12
	s_delay_alu instid0(SALU_CYCLE_1) | instskip(SKIP_4) | instid1(SALU_CYCLE_1)
	v_dual_mov_b32 v0, s0 :: v_dual_mov_b32 v1, s1
	s_mov_b32 s32, 0
	s_getpc_b64 s[2:3]
	s_add_u32 s2, s2, __assert_fail@rel32@lo+4
	s_addc_u32 s3, s3, __assert_fail@rel32@hi+12
	s_swappc_b64 s[30:31], s[2:3]
	.section	.rodata,"a",@progbits
	.p2align	6, 0x0
	.amdhsa_kernel _Z38paged_attention_ll4mi_QKV_mfma4_kernelIDF16_DF16_LN4vllm18Fp8KVCacheDataTypeE0EDF16_Li32ELi64ELi256ELb0ELi3EEvPKT_PKT0_S7_ifPKiS9_S9_iPKfiiiPfSC_PS2_PT2_iSB_SB_
		.amdhsa_group_segment_fixed_size 0
		.amdhsa_private_segment_fixed_size 64
		.amdhsa_kernarg_size 400
		.amdhsa_user_sgpr_count 15
		.amdhsa_user_sgpr_dispatch_ptr 0
		.amdhsa_user_sgpr_queue_ptr 0
		.amdhsa_user_sgpr_kernarg_segment_ptr 1
		.amdhsa_user_sgpr_dispatch_id 0
		.amdhsa_user_sgpr_private_segment_size 0
		.amdhsa_wavefront_size32 1
		.amdhsa_uses_dynamic_stack 0
		.amdhsa_enable_private_segment 1
		.amdhsa_system_sgpr_workgroup_id_x 1
		.amdhsa_system_sgpr_workgroup_id_y 0
		.amdhsa_system_sgpr_workgroup_id_z 0
		.amdhsa_system_sgpr_workgroup_info 0
		.amdhsa_system_vgpr_workitem_id 0
		.amdhsa_next_free_vgpr 41
		.amdhsa_next_free_sgpr 34
		.amdhsa_reserve_vcc 1
		.amdhsa_float_round_mode_32 0
		.amdhsa_float_round_mode_16_64 0
		.amdhsa_float_denorm_mode_32 3
		.amdhsa_float_denorm_mode_16_64 3
		.amdhsa_dx10_clamp 1
		.amdhsa_ieee_mode 1
		.amdhsa_fp16_overflow 0
		.amdhsa_workgroup_processor_mode 1
		.amdhsa_memory_ordered 1
		.amdhsa_forward_progress 0
		.amdhsa_shared_vgpr_count 0
		.amdhsa_exception_fp_ieee_invalid_op 0
		.amdhsa_exception_fp_denorm_src 0
		.amdhsa_exception_fp_ieee_div_zero 0
		.amdhsa_exception_fp_ieee_overflow 0
		.amdhsa_exception_fp_ieee_underflow 0
		.amdhsa_exception_fp_ieee_inexact 0
		.amdhsa_exception_int_div_zero 0
	.end_amdhsa_kernel
	.section	.text._Z38paged_attention_ll4mi_QKV_mfma4_kernelIDF16_DF16_LN4vllm18Fp8KVCacheDataTypeE0EDF16_Li32ELi64ELi256ELb0ELi3EEvPKT_PKT0_S7_ifPKiS9_S9_iPKfiiiPfSC_PS2_PT2_iSB_SB_,"axG",@progbits,_Z38paged_attention_ll4mi_QKV_mfma4_kernelIDF16_DF16_LN4vllm18Fp8KVCacheDataTypeE0EDF16_Li32ELi64ELi256ELb0ELi3EEvPKT_PKT0_S7_ifPKiS9_S9_iPKfiiiPfSC_PS2_PT2_iSB_SB_,comdat
.Lfunc_end176:
	.size	_Z38paged_attention_ll4mi_QKV_mfma4_kernelIDF16_DF16_LN4vllm18Fp8KVCacheDataTypeE0EDF16_Li32ELi64ELi256ELb0ELi3EEvPKT_PKT0_S7_ifPKiS9_S9_iPKfiiiPfSC_PS2_PT2_iSB_SB_, .Lfunc_end176-_Z38paged_attention_ll4mi_QKV_mfma4_kernelIDF16_DF16_LN4vllm18Fp8KVCacheDataTypeE0EDF16_Li32ELi64ELi256ELb0ELi3EEvPKT_PKT0_S7_ifPKiS9_S9_iPKfiiiPfSC_PS2_PT2_iSB_SB_
                                        ; -- End function
	.section	.AMDGPU.csdata,"",@progbits
; Kernel info:
; codeLenInByte = 72
; NumSgprs: 36
; NumVgprs: 41
; ScratchSize: 64
; MemoryBound: 0
; FloatMode: 240
; IeeeMode: 1
; LDSByteSize: 0 bytes/workgroup (compile time only)
; SGPRBlocks: 4
; VGPRBlocks: 5
; NumSGPRsForWavesPerEU: 36
; NumVGPRsForWavesPerEU: 41
; Occupancy: 16
; WaveLimiterHint : 1
; COMPUTE_PGM_RSRC2:SCRATCH_EN: 1
; COMPUTE_PGM_RSRC2:USER_SGPR: 15
; COMPUTE_PGM_RSRC2:TRAP_HANDLER: 0
; COMPUTE_PGM_RSRC2:TGID_X_EN: 1
; COMPUTE_PGM_RSRC2:TGID_Y_EN: 0
; COMPUTE_PGM_RSRC2:TGID_Z_EN: 0
; COMPUTE_PGM_RSRC2:TIDIG_COMP_CNT: 0
	.section	.text._Z38paged_attention_ll4mi_QKV_mfma4_kernelIDF16_DF16_LN4vllm18Fp8KVCacheDataTypeE0EDF16_Li32ELi64ELi256ELb0ELi4EEvPKT_PKT0_S7_ifPKiS9_S9_iPKfiiiPfSC_PS2_PT2_iSB_SB_,"axG",@progbits,_Z38paged_attention_ll4mi_QKV_mfma4_kernelIDF16_DF16_LN4vllm18Fp8KVCacheDataTypeE0EDF16_Li32ELi64ELi256ELb0ELi4EEvPKT_PKT0_S7_ifPKiS9_S9_iPKfiiiPfSC_PS2_PT2_iSB_SB_,comdat
	.protected	_Z38paged_attention_ll4mi_QKV_mfma4_kernelIDF16_DF16_LN4vllm18Fp8KVCacheDataTypeE0EDF16_Li32ELi64ELi256ELb0ELi4EEvPKT_PKT0_S7_ifPKiS9_S9_iPKfiiiPfSC_PS2_PT2_iSB_SB_ ; -- Begin function _Z38paged_attention_ll4mi_QKV_mfma4_kernelIDF16_DF16_LN4vllm18Fp8KVCacheDataTypeE0EDF16_Li32ELi64ELi256ELb0ELi4EEvPKT_PKT0_S7_ifPKiS9_S9_iPKfiiiPfSC_PS2_PT2_iSB_SB_
	.globl	_Z38paged_attention_ll4mi_QKV_mfma4_kernelIDF16_DF16_LN4vllm18Fp8KVCacheDataTypeE0EDF16_Li32ELi64ELi256ELb0ELi4EEvPKT_PKT0_S7_ifPKiS9_S9_iPKfiiiPfSC_PS2_PT2_iSB_SB_
	.p2align	8
	.type	_Z38paged_attention_ll4mi_QKV_mfma4_kernelIDF16_DF16_LN4vllm18Fp8KVCacheDataTypeE0EDF16_Li32ELi64ELi256ELb0ELi4EEvPKT_PKT0_S7_ifPKiS9_S9_iPKfiiiPfSC_PS2_PT2_iSB_SB_,@function
_Z38paged_attention_ll4mi_QKV_mfma4_kernelIDF16_DF16_LN4vllm18Fp8KVCacheDataTypeE0EDF16_Li32ELi64ELi256ELb0ELi4EEvPKT_PKT0_S7_ifPKiS9_S9_iPKfiiiPfSC_PS2_PT2_iSB_SB_: ; @_Z38paged_attention_ll4mi_QKV_mfma4_kernelIDF16_DF16_LN4vllm18Fp8KVCacheDataTypeE0EDF16_Li32ELi64ELi256ELb0ELi4EEvPKT_PKT0_S7_ifPKiS9_S9_iPKfiiiPfSC_PS2_PT2_iSB_SB_
; %bb.0:
	s_add_u32 s8, s0, 0x90
	s_addc_u32 s9, s1, 0
	s_getpc_b64 s[0:1]
	s_add_u32 s0, s0, __PRETTY_FUNCTION__._Z38paged_attention_ll4mi_QKV_mfma4_kernelIDF16_DF16_LN4vllm18Fp8KVCacheDataTypeE0EDF16_Li32ELi64ELi256ELb0ELi4EEvPKT_PKT0_S7_ifPKiS9_S9_iPKfiiiPfSC_PS2_PT2_iSB_SB_@rel32@lo+4
	s_addc_u32 s1, s1, __PRETTY_FUNCTION__._Z38paged_attention_ll4mi_QKV_mfma4_kernelIDF16_DF16_LN4vllm18Fp8KVCacheDataTypeE0EDF16_Li32ELi64ELi256ELb0ELi4EEvPKT_PKT0_S7_ifPKiS9_S9_iPKfiiiPfSC_PS2_PT2_iSB_SB_@rel32@hi+12
	s_delay_alu instid0(SALU_CYCLE_1) | instskip(SKIP_4) | instid1(SALU_CYCLE_1)
	v_dual_mov_b32 v0, s0 :: v_dual_mov_b32 v1, s1
	s_mov_b32 s32, 0
	s_getpc_b64 s[2:3]
	s_add_u32 s2, s2, __assert_fail@rel32@lo+4
	s_addc_u32 s3, s3, __assert_fail@rel32@hi+12
	s_swappc_b64 s[30:31], s[2:3]
	.section	.rodata,"a",@progbits
	.p2align	6, 0x0
	.amdhsa_kernel _Z38paged_attention_ll4mi_QKV_mfma4_kernelIDF16_DF16_LN4vllm18Fp8KVCacheDataTypeE0EDF16_Li32ELi64ELi256ELb0ELi4EEvPKT_PKT0_S7_ifPKiS9_S9_iPKfiiiPfSC_PS2_PT2_iSB_SB_
		.amdhsa_group_segment_fixed_size 0
		.amdhsa_private_segment_fixed_size 64
		.amdhsa_kernarg_size 400
		.amdhsa_user_sgpr_count 15
		.amdhsa_user_sgpr_dispatch_ptr 0
		.amdhsa_user_sgpr_queue_ptr 0
		.amdhsa_user_sgpr_kernarg_segment_ptr 1
		.amdhsa_user_sgpr_dispatch_id 0
		.amdhsa_user_sgpr_private_segment_size 0
		.amdhsa_wavefront_size32 1
		.amdhsa_uses_dynamic_stack 0
		.amdhsa_enable_private_segment 1
		.amdhsa_system_sgpr_workgroup_id_x 1
		.amdhsa_system_sgpr_workgroup_id_y 0
		.amdhsa_system_sgpr_workgroup_id_z 0
		.amdhsa_system_sgpr_workgroup_info 0
		.amdhsa_system_vgpr_workitem_id 0
		.amdhsa_next_free_vgpr 41
		.amdhsa_next_free_sgpr 34
		.amdhsa_reserve_vcc 1
		.amdhsa_float_round_mode_32 0
		.amdhsa_float_round_mode_16_64 0
		.amdhsa_float_denorm_mode_32 3
		.amdhsa_float_denorm_mode_16_64 3
		.amdhsa_dx10_clamp 1
		.amdhsa_ieee_mode 1
		.amdhsa_fp16_overflow 0
		.amdhsa_workgroup_processor_mode 1
		.amdhsa_memory_ordered 1
		.amdhsa_forward_progress 0
		.amdhsa_shared_vgpr_count 0
		.amdhsa_exception_fp_ieee_invalid_op 0
		.amdhsa_exception_fp_denorm_src 0
		.amdhsa_exception_fp_ieee_div_zero 0
		.amdhsa_exception_fp_ieee_overflow 0
		.amdhsa_exception_fp_ieee_underflow 0
		.amdhsa_exception_fp_ieee_inexact 0
		.amdhsa_exception_int_div_zero 0
	.end_amdhsa_kernel
	.section	.text._Z38paged_attention_ll4mi_QKV_mfma4_kernelIDF16_DF16_LN4vllm18Fp8KVCacheDataTypeE0EDF16_Li32ELi64ELi256ELb0ELi4EEvPKT_PKT0_S7_ifPKiS9_S9_iPKfiiiPfSC_PS2_PT2_iSB_SB_,"axG",@progbits,_Z38paged_attention_ll4mi_QKV_mfma4_kernelIDF16_DF16_LN4vllm18Fp8KVCacheDataTypeE0EDF16_Li32ELi64ELi256ELb0ELi4EEvPKT_PKT0_S7_ifPKiS9_S9_iPKfiiiPfSC_PS2_PT2_iSB_SB_,comdat
.Lfunc_end177:
	.size	_Z38paged_attention_ll4mi_QKV_mfma4_kernelIDF16_DF16_LN4vllm18Fp8KVCacheDataTypeE0EDF16_Li32ELi64ELi256ELb0ELi4EEvPKT_PKT0_S7_ifPKiS9_S9_iPKfiiiPfSC_PS2_PT2_iSB_SB_, .Lfunc_end177-_Z38paged_attention_ll4mi_QKV_mfma4_kernelIDF16_DF16_LN4vllm18Fp8KVCacheDataTypeE0EDF16_Li32ELi64ELi256ELb0ELi4EEvPKT_PKT0_S7_ifPKiS9_S9_iPKfiiiPfSC_PS2_PT2_iSB_SB_
                                        ; -- End function
	.section	.AMDGPU.csdata,"",@progbits
; Kernel info:
; codeLenInByte = 72
; NumSgprs: 36
; NumVgprs: 41
; ScratchSize: 64
; MemoryBound: 0
; FloatMode: 240
; IeeeMode: 1
; LDSByteSize: 0 bytes/workgroup (compile time only)
; SGPRBlocks: 4
; VGPRBlocks: 5
; NumSGPRsForWavesPerEU: 36
; NumVGPRsForWavesPerEU: 41
; Occupancy: 16
; WaveLimiterHint : 1
; COMPUTE_PGM_RSRC2:SCRATCH_EN: 1
; COMPUTE_PGM_RSRC2:USER_SGPR: 15
; COMPUTE_PGM_RSRC2:TRAP_HANDLER: 0
; COMPUTE_PGM_RSRC2:TGID_X_EN: 1
; COMPUTE_PGM_RSRC2:TGID_Y_EN: 0
; COMPUTE_PGM_RSRC2:TGID_Z_EN: 0
; COMPUTE_PGM_RSRC2:TIDIG_COMP_CNT: 0
	.section	.text._Z39paged_attention_ll4mi_QKV_mfma16_kernelIDF16_DF16_LN4vllm18Fp8KVCacheDataTypeE0EDF16_Li32ELi64ELi256ELb0ELi5EL8MFMAType0EEvPKT_PKT0_S8_ifPKiSA_SA_iPKfiiiPfSD_PS3_PT2_iSC_SC_,"axG",@progbits,_Z39paged_attention_ll4mi_QKV_mfma16_kernelIDF16_DF16_LN4vllm18Fp8KVCacheDataTypeE0EDF16_Li32ELi64ELi256ELb0ELi5EL8MFMAType0EEvPKT_PKT0_S8_ifPKiSA_SA_iPKfiiiPfSD_PS3_PT2_iSC_SC_,comdat
	.protected	_Z39paged_attention_ll4mi_QKV_mfma16_kernelIDF16_DF16_LN4vllm18Fp8KVCacheDataTypeE0EDF16_Li32ELi64ELi256ELb0ELi5EL8MFMAType0EEvPKT_PKT0_S8_ifPKiSA_SA_iPKfiiiPfSD_PS3_PT2_iSC_SC_ ; -- Begin function _Z39paged_attention_ll4mi_QKV_mfma16_kernelIDF16_DF16_LN4vllm18Fp8KVCacheDataTypeE0EDF16_Li32ELi64ELi256ELb0ELi5EL8MFMAType0EEvPKT_PKT0_S8_ifPKiSA_SA_iPKfiiiPfSD_PS3_PT2_iSC_SC_
	.globl	_Z39paged_attention_ll4mi_QKV_mfma16_kernelIDF16_DF16_LN4vllm18Fp8KVCacheDataTypeE0EDF16_Li32ELi64ELi256ELb0ELi5EL8MFMAType0EEvPKT_PKT0_S8_ifPKiSA_SA_iPKfiiiPfSD_PS3_PT2_iSC_SC_
	.p2align	8
	.type	_Z39paged_attention_ll4mi_QKV_mfma16_kernelIDF16_DF16_LN4vllm18Fp8KVCacheDataTypeE0EDF16_Li32ELi64ELi256ELb0ELi5EL8MFMAType0EEvPKT_PKT0_S8_ifPKiSA_SA_iPKfiiiPfSD_PS3_PT2_iSC_SC_,@function
_Z39paged_attention_ll4mi_QKV_mfma16_kernelIDF16_DF16_LN4vllm18Fp8KVCacheDataTypeE0EDF16_Li32ELi64ELi256ELb0ELi5EL8MFMAType0EEvPKT_PKT0_S8_ifPKiSA_SA_iPKfiiiPfSD_PS3_PT2_iSC_SC_: ; @_Z39paged_attention_ll4mi_QKV_mfma16_kernelIDF16_DF16_LN4vllm18Fp8KVCacheDataTypeE0EDF16_Li32ELi64ELi256ELb0ELi5EL8MFMAType0EEvPKT_PKT0_S8_ifPKiSA_SA_iPKfiiiPfSD_PS3_PT2_iSC_SC_
; %bb.0:
	s_load_b64 s[2:3], s[0:1], 0x30
	s_mov_b32 s34, s13
	s_waitcnt lgkmcnt(0)
	s_cmp_lg_u64 s[2:3], 0
	s_cselect_b32 s6, -1, 0
	s_ashr_i32 s35, s13, 31
	s_cmp_eq_u64 s[2:3], 0
	s_cbranch_scc1 .LBB178_3
; %bb.1:
	s_lshl_b64 s[4:5], s[34:35], 2
	s_delay_alu instid0(SALU_CYCLE_1) | instskip(SKIP_4) | instid1(SALU_CYCLE_1)
	s_add_u32 s4, s2, s4
	s_addc_u32 s5, s3, s5
	s_load_b64 s[4:5], s[4:5], 0x0
	s_waitcnt lgkmcnt(0)
	s_sub_i32 s4, s5, s4
	s_cmp_eq_u32 s4, 1
	s_cselect_b32 s4, -1, 0
	s_delay_alu instid0(SALU_CYCLE_1)
	s_and_not1_b32 vcc_lo, exec_lo, s4
	s_cbranch_vccz .LBB178_4
.LBB178_2:
	s_nop 0
	s_sendmsg sendmsg(MSG_DEALLOC_VGPRS)
	s_endpgm
.LBB178_3:
.LBB178_4:
	s_load_b64 s[8:9], s[0:1], 0x28
	s_lshl_b64 s[4:5], s[34:35], 2
	s_waitcnt lgkmcnt(0)
	s_add_u32 s8, s8, s4
	s_addc_u32 s9, s9, s5
	s_lshl_b32 s16, s14, 8
	s_load_b32 s18, s[8:9], 0x0
	s_waitcnt lgkmcnt(0)
	s_cmp_ge_i32 s16, s18
	s_cbranch_scc1 .LBB178_2
; %bb.5:
	s_and_not1_b32 vcc_lo, exec_lo, s6
	s_cbranch_vccnz .LBB178_7
; %bb.6:
	s_add_u32 s2, s2, s4
	s_addc_u32 s3, s3, s5
	s_load_b32 s17, s[2:3], 0x0
	s_branch .LBB178_8
.LBB178_7:
	s_mov_b32 s17, s34
.LBB178_8:
	s_clause 0x2
	s_load_b128 s[8:11], s[0:1], 0x8
	s_load_b64 s[12:13], s[0:1], 0x20
	s_load_b128 s[4:7], s[0:1], 0x48
	v_lshrrev_b32_e32 v78, 5, v0
	v_bfe_u32 v75, v0, 4, 1
	v_and_b32_e32 v77, 15, v0
	s_delay_alu instid0(VALU_DEP_2) | instskip(NEXT) | instid1(VALU_DEP_2)
	v_lshl_or_b32 v3, v78, 1, v75
	v_cmp_lt_u32_e64 s3, 7, v77
	v_lshlrev_b32_e32 v1, 3, v77
	v_cmp_gt_u32_e64 s2, 8, v77
	s_delay_alu instid0(VALU_DEP_4) | instskip(NEXT) | instid1(VALU_DEP_4)
	v_cmp_lt_u32_e32 vcc_lo, 4, v3
	s_or_b32 s3, s3, vcc_lo
	s_waitcnt lgkmcnt(0)
	s_and_saveexec_b32 s7, s3
	s_delay_alu instid0(SALU_CYCLE_1)
	s_xor_b32 s3, exec_lo, s7
; %bb.9:
	v_mov_b32_e32 v2, 0
                                        ; implicit-def: $vgpr3
; %bb.10:
	s_or_saveexec_b32 s3, s3
	v_and_b32_e32 v80, 31, v0
	v_and_b32_e32 v76, 1, v0
	s_mul_i32 s33, s15, 5
	s_xor_b32 exec_lo, exec_lo, s3
	s_cbranch_execz .LBB178_12
; %bb.11:
	s_load_b64 s[20:21], s[0:1], 0x0
	v_add_lshl_u32 v4, v3, s33, 6
	s_mul_hi_i32 s23, s17, s4
	s_mul_i32 s22, s17, s4
	v_lshlrev_b32_e32 v2, 1, v1
	s_lshl_b64 s[22:23], s[22:23], 1
	v_ashrrev_i32_e32 v5, 31, v4
	v_lshlrev_b32_e32 v3, 6, v3
	v_lshlrev_b32_e32 v8, 10, v76
	s_delay_alu instid0(VALU_DEP_3) | instskip(SKIP_3) | instid1(VALU_DEP_1)
	v_lshlrev_b64 v[4:5], 1, v[4:5]
	s_waitcnt lgkmcnt(0)
	s_add_u32 s4, s20, s22
	s_addc_u32 s7, s21, s23
	v_add_co_u32 v4, vcc_lo, s4, v4
	s_delay_alu instid0(VALU_DEP_2) | instskip(NEXT) | instid1(VALU_DEP_2)
	v_add_co_ci_u32_e32 v5, vcc_lo, s7, v5, vcc_lo
	v_add_co_u32 v4, vcc_lo, v4, v2
	s_delay_alu instid0(VALU_DEP_2) | instskip(SKIP_3) | instid1(VALU_DEP_1)
	v_add_co_ci_u32_e32 v5, vcc_lo, 0, v5, vcc_lo
	v_lshlrev_b32_e32 v2, 10, v77
	global_load_b128 v[4:7], v[4:5], off
	v_and_b32_e32 v2, 0x3800, v2
	v_or3_b32 v3, v2, v8, v3
	v_mov_b32_e32 v2, 0
	s_waitcnt vmcnt(0)
	ds_store_b128 v3, v[4:7]
.LBB178_12:
	s_or_b32 exec_lo, exec_lo, s3
	v_and_b32_e32 v3, 0xef, v0
	s_add_i32 s3, s18, 31
	s_clause 0x1
	s_load_b32 s4, s[0:1], 0x38
	s_load_b32 s35, s[0:1], 0x98
	s_ashr_i32 s7, s3, 31
	v_add_nc_u32_e32 v3, s16, v3
	s_lshr_b32 s7, s7, 27
	s_load_b32 s19, s[0:1], 0x1c
	s_add_i32 s3, s3, s7
	s_waitcnt lgkmcnt(0)
	v_ashrrev_i32_e32 v4, 31, v3
	v_cmp_gt_i32_e32 vcc_lo, s18, v3
	s_ashr_i32 s3, s3, 5
	s_barrier
	s_add_i32 s3, s3, -1
	v_lshrrev_b32_e32 v5, 27, v4
	v_or_b32_e32 v4, 16, v3
	buffer_gl0_inv
	s_mul_i32 s6, s15, s6
	v_lshlrev_b64 v[73:74], 1, v[1:2]
	v_add_nc_u32_e32 v6, v3, v5
	v_add_nc_u32_e32 v5, v4, v5
	s_mul_i32 s20, s34, s4
	s_delay_alu instid0(SALU_CYCLE_1) | instskip(NEXT) | instid1(VALU_DEP_2)
	s_ashr_i32 s21, s20, 31
	v_ashrrev_i32_e32 v6, 5, v6
	s_delay_alu instid0(VALU_DEP_2) | instskip(SKIP_1) | instid1(SALU_CYCLE_1)
	v_ashrrev_i32_e32 v5, 5, v5
	s_lshl_b64 s[20:21], s[20:21], 2
	s_add_u32 s4, s12, s20
	s_delay_alu instid0(VALU_DEP_2) | instskip(SKIP_3) | instid1(SALU_CYCLE_1)
	v_cndmask_b32_e32 v3, s3, v6, vcc_lo
	v_cmp_gt_i32_e32 vcc_lo, s18, v4
	s_addc_u32 s17, s13, s21
	s_ashr_i32 s7, s6, 31
	s_lshl_b64 s[6:7], s[6:7], 1
	v_cndmask_b32_e32 v5, s3, v5, vcc_lo
	v_ashrrev_i32_e32 v4, 31, v3
	s_add_u32 s15, s8, s6
	s_addc_u32 s28, s9, s7
	s_lshl_b32 s8, s14, 3
	v_ashrrev_i32_e32 v6, 31, v5
	v_lshlrev_b64 v[3:4], 2, v[3:4]
	s_ashr_i32 s9, s8, 31
	s_delay_alu instid0(SALU_CYCLE_1) | instskip(NEXT) | instid1(VALU_DEP_2)
	s_lshl_b64 s[8:9], s[8:9], 2
	v_lshlrev_b64 v[5:6], 2, v[5:6]
	s_add_u32 s8, s4, s8
	s_delay_alu instid0(VALU_DEP_2) | instskip(SKIP_1) | instid1(VALU_DEP_3)
	v_add_co_u32 v3, vcc_lo, s4, v3
	v_add_co_ci_u32_e32 v4, vcc_lo, s17, v4, vcc_lo
	v_add_co_u32 v5, vcc_lo, s4, v5
	s_delay_alu instid0(VALU_DEP_4)
	v_add_co_ci_u32_e32 v6, vcc_lo, s17, v6, vcc_lo
	s_addc_u32 s9, s17, s9
	s_clause 0x1
	global_load_b32 v7, v[3:4], off
	global_load_b32 v8, v[5:6], off
	s_or_b32 s12, s16, 32
	s_delay_alu instid0(SALU_CYCLE_1) | instskip(SKIP_2) | instid1(SALU_CYCLE_1)
	s_ashr_i32 s13, s12, 5
	s_cmp_lt_i32 s12, s18
	s_cselect_b32 s12, s13, s3
	s_ashr_i32 s13, s12, 31
	s_delay_alu instid0(SALU_CYCLE_1) | instskip(NEXT) | instid1(SALU_CYCLE_1)
	s_lshl_b64 s[12:13], s[12:13], 2
	s_add_u32 s12, s4, s12
	s_addc_u32 s13, s17, s13
	s_or_b32 s20, s16, 64
	s_delay_alu instid0(SALU_CYCLE_1) | instskip(SKIP_2) | instid1(SALU_CYCLE_1)
	s_ashr_i32 s21, s20, 5
	s_cmp_lt_i32 s20, s18
	s_cselect_b32 s20, s21, s3
	s_ashr_i32 s21, s20, 31
	s_delay_alu instid0(SALU_CYCLE_1) | instskip(NEXT) | instid1(SALU_CYCLE_1)
	s_lshl_b64 s[20:21], s[20:21], 2
	s_add_u32 s20, s4, s20
	s_addc_u32 s21, s17, s21
	;; [unrolled: 10-line block ×5, first 2 shown]
	s_clause 0x5
	s_load_b32 s29, s[8:9], 0x0
	s_load_b32 s30, s[12:13], 0x0
	;; [unrolled: 1-line block ×6, first 2 shown]
	s_or_b32 s8, s16, 0xc0
	s_mov_b32 s20, 0
	s_ashr_i32 s9, s8, 5
	s_cmp_lt_i32 s8, s18
	s_mov_b32 s27, s20
	s_cselect_b32 s8, s9, s3
	s_mov_b32 s21, s20
	s_ashr_i32 s9, s8, 31
	s_mov_b32 s22, s20
	s_lshl_b64 s[8:9], s[8:9], 2
	s_mov_b32 s23, s20
	s_add_u32 s8, s4, s8
	s_mov_b32 s24, s20
	s_mov_b32 s25, s20
	;; [unrolled: 1-line block ×3, first 2 shown]
	s_addc_u32 s9, s17, s9
	v_dual_mov_b32 v128, s27 :: v_dual_lshlrev_b32 v79, 6, v77
	v_dual_mov_b32 v122, s21 :: v_dual_mov_b32 v127, s26
	v_dual_mov_b32 v126, s25 :: v_dual_mov_b32 v125, s24
	;; [unrolled: 1-line block ×3, first 2 shown]
	v_mov_b32_e32 v121, s20
	s_waitcnt lgkmcnt(0)
	s_mul_hi_i32 s13, s29, s5
	s_mul_i32 s12, s29, s5
	v_lshl_or_b32 v33, v78, 10, v79
	s_mul_hi_i32 s21, s30, s5
	s_mul_i32 s20, s30, s5
	s_mul_hi_i32 s25, s31, s5
	s_mul_i32 s24, s31, s5
	;; [unrolled: 2-line block ×4, first 2 shown]
	s_waitcnt vmcnt(1)
	v_mad_i64_i32 v[3:4], null, v7, s5, 0
	s_waitcnt vmcnt(0)
	v_mad_i64_i32 v[5:6], null, v8, s5, 0
	s_delay_alu instid0(VALU_DEP_2) | instskip(NEXT) | instid1(VALU_DEP_2)
	v_lshlrev_b64 v[3:4], 1, v[3:4]
	v_lshlrev_b64 v[1:2], 1, v[5:6]
	s_delay_alu instid0(VALU_DEP_2) | instskip(NEXT) | instid1(VALU_DEP_3)
	v_add_co_u32 v3, vcc_lo, s15, v3
	v_add_co_ci_u32_e32 v4, vcc_lo, s28, v4, vcc_lo
	s_delay_alu instid0(VALU_DEP_3) | instskip(NEXT) | instid1(VALU_DEP_4)
	v_add_co_u32 v1, vcc_lo, s15, v1
	v_add_co_ci_u32_e32 v2, vcc_lo, s28, v2, vcc_lo
	s_delay_alu instid0(VALU_DEP_4) | instskip(NEXT) | instid1(VALU_DEP_4)
	v_add_co_u32 v25, vcc_lo, v3, v73
	v_add_co_ci_u32_e32 v26, vcc_lo, v4, v74, vcc_lo
	s_delay_alu instid0(VALU_DEP_4) | instskip(NEXT) | instid1(VALU_DEP_4)
	v_add_co_u32 v27, vcc_lo, v1, v73
	v_add_co_ci_u32_e32 v28, vcc_lo, v2, v74, vcc_lo
	s_clause 0xf
	global_load_b128 v[1:4], v[25:26], off
	global_load_b128 v[5:8], v[25:26], off offset:512
	global_load_b128 v[9:12], v[27:28], off offset:256
	;; [unrolled: 1-line block ×15, first 2 shown]
	v_mul_lo_u16 v25, v77, 52
	s_or_b32 s15, s16, 0xe0
	s_delay_alu instid0(SALU_CYCLE_1) | instskip(SKIP_1) | instid1(VALU_DEP_1)
	s_ashr_i32 s22, s15, 5
	s_cmp_lt_i32 s15, s18
	v_lshrrev_b16 v25, 8, v25
	s_cselect_b32 s22, s22, s3
	s_delay_alu instid0(SALU_CYCLE_1) | instskip(NEXT) | instid1(VALU_DEP_1)
	s_ashr_i32 s23, s22, 31
	v_mul_lo_u16 v25, v25, 5
	s_lshl_b64 s[22:23], s[22:23], 2
	s_delay_alu instid0(SALU_CYCLE_1) | instskip(SKIP_1) | instid1(VALU_DEP_1)
	s_add_u32 s22, s4, s22
	s_addc_u32 s23, s17, s23
	v_sub_nc_u16 v25, v77, v25
	s_add_i32 s15, s16, 0x100
	s_delay_alu instid0(SALU_CYCLE_1) | instskip(SKIP_1) | instid1(VALU_DEP_1)
	s_ashr_i32 s28, s15, 5
	s_cmp_lt_i32 s15, s18
	v_and_b32_e32 v25, 0xff, v25
	s_cselect_b32 s28, s28, s3
	s_delay_alu instid0(SALU_CYCLE_1) | instskip(NEXT) | instid1(VALU_DEP_1)
	s_ashr_i32 s29, s28, 31
	v_lshlrev_b32_e32 v151, 6, v25
	s_lshl_b64 s[28:29], s[28:29], 2
	ds_load_b128 v[25:28], v151
	ds_load_b128 v[29:32], v151 offset:1024
	s_add_u32 s28, s4, s28
	s_addc_u32 s29, s17, s29
	s_add_u32 s3, s10, s6
	ds_load_b128 v[129:132], v151 offset:2048
	ds_load_b128 v[133:136], v151 offset:3072
	s_clause 0x2
	s_load_b32 s15, s[8:9], 0x0
	s_load_b32 s4, s[22:23], 0x0
	;; [unrolled: 1-line block ×3, first 2 shown]
	s_addc_u32 s28, s11, s7
	v_add_co_u32 v152, s3, s3, v33
	s_delay_alu instid0(VALU_DEP_1) | instskip(SKIP_2) | instid1(VALU_DEP_2)
	v_add_co_ci_u32_e64 v153, null, s28, 0, s3
	s_lshl_b64 s[6:7], s[12:13], 1
	s_lshl_b64 s[10:11], s[20:21], 1
	v_add_co_u32 v33, vcc_lo, v152, s6
	s_delay_alu instid0(VALU_DEP_2)
	v_add_co_ci_u32_e32 v34, vcc_lo, s7, v153, vcc_lo
	v_add_co_u32 v35, vcc_lo, v152, s10
	s_lshl_b64 s[12:13], s[24:25], 1
	v_add_co_ci_u32_e32 v36, vcc_lo, s11, v153, vcc_lo
	v_add_co_u32 v37, vcc_lo, v152, s12
	s_lshl_b64 s[20:21], s[26:27], 1
	s_mul_hi_i32 s9, s37, s5
	s_mul_i32 s8, s37, s5
	v_add_co_ci_u32_e32 v38, vcc_lo, s13, v153, vcc_lo
	v_add_co_u32 v39, vcc_lo, v152, s20
	s_lshl_b64 s[8:9], s[8:9], 1
	v_add_co_ci_u32_e32 v40, vcc_lo, s21, v153, vcc_lo
	v_add_co_u32 v145, vcc_lo, v152, s8
	s_lshl_b64 s[22:23], s[30:31], 1
	s_waitcnt lgkmcnt(0)
	s_mul_hi_i32 s25, s15, s5
	s_mul_i32 s24, s15, s5
	v_add_co_ci_u32_e32 v146, vcc_lo, s9, v153, vcc_lo
	v_add_co_u32 v147, vcc_lo, v152, s22
	s_lshl_b64 s[24:25], s[24:25], 1
	v_add_co_ci_u32_e32 v148, vcc_lo, s23, v153, vcc_lo
	s_mul_hi_i32 s7, s4, s5
	s_mul_i32 s6, s4, s5
	v_add_co_u32 v149, vcc_lo, v152, s24
	s_lshl_b64 s[6:7], s[6:7], 1
	v_add_co_ci_u32_e32 v150, vcc_lo, s25, v153, vcc_lo
	s_clause 0x7
	global_load_b128 v[65:68], v[33:34], off
	global_load_b128 v[69:72], v[33:34], off offset:16
	global_load_b128 v[57:60], v[35:36], off
	global_load_b128 v[61:64], v[35:36], off offset:16
	;; [unrolled: 2-line block ×4, first 2 shown]
	s_waitcnt vmcnt(22)
	v_wmma_f32_16x16x16_f16 v[137:144], v[1:8], v[25:32], v[121:128]
	s_waitcnt vmcnt(20)
	v_wmma_f32_16x16x16_f16 v[121:128], v[9:16], v[25:32], v[121:128]
	v_add_co_u32 v29, vcc_lo, v152, s6
	v_add_co_ci_u32_e32 v30, vcc_lo, s7, v153, vcc_lo
	s_mul_hi_i32 s7, s17, s5
	s_mul_i32 s6, s17, s5
	s_waitcnt vmcnt(18)
	v_wmma_f32_16x16x16_f16 v[137:144], v[17:24], v[129:136], v[137:144]
	s_lshl_b64 s[4:5], s[6:7], 1
	s_clause 0x1
	global_load_b128 v[9:12], v[145:146], off
	global_load_b128 v[13:16], v[145:146], off offset:16
	v_add_co_u32 v21, vcc_lo, v152, s4
	v_add_co_ci_u32_e32 v22, vcc_lo, s5, v153, vcc_lo
	s_clause 0x7
	global_load_b128 v[1:4], v[147:148], off
	global_load_b128 v[5:8], v[147:148], off offset:16
	global_load_b128 v[33:36], v[149:150], off
	global_load_b128 v[37:40], v[149:150], off offset:16
	;; [unrolled: 2-line block ×4, first 2 shown]
	s_waitcnt vmcnt(26)
	v_wmma_f32_16x16x16_f16 v[121:128], v[81:88], v[129:136], v[121:128]
	ds_load_b128 v[81:84], v151 offset:4096
	ds_load_b128 v[85:88], v151 offset:5120
	v_mbcnt_lo_u32_b32 v130, -1, 0
	s_delay_alu instid0(VALU_DEP_1) | instskip(NEXT) | instid1(VALU_DEP_1)
	v_xor_b32_e32 v131, 16, v130
	v_cmp_gt_i32_e32 vcc_lo, 32, v131
	v_cndmask_b32_e32 v130, v130, v131, vcc_lo
	s_waitcnt vmcnt(24) lgkmcnt(0)
	v_wmma_f32_16x16x16_f16 v[137:144], v[89:96], v[81:88], v[137:144]
	ds_load_b128 v[89:92], v151 offset:6144
	ds_load_b128 v[93:96], v151 offset:7168
	s_waitcnt vmcnt(22)
	v_wmma_f32_16x16x16_f16 v[121:128], v[97:104], v[81:88], v[121:128]
	s_waitcnt vmcnt(0) lgkmcnt(0)
	s_barrier
	buffer_gl0_inv
	v_wmma_f32_16x16x16_f16 v[137:144], v[105:112], v[89:96], v[137:144]
	v_and_b32_e32 v129, 0xe0, v0
	v_wmma_f32_16x16x16_f16 v[121:128], v[113:120], v[89:96], v[121:128]
	s_delay_alu instid0(VALU_DEP_3) | instskip(NEXT) | instid1(VALU_DEP_2)
	v_mul_f32_e32 v96, s19, v137
	v_dual_mul_f32 v104, s19, v126 :: v_dual_add_nc_u32 v129, s16, v129
	v_mul_f32_e32 v95, s19, v138
	v_dual_mul_f32 v93, s19, v140 :: v_dual_mul_f32 v94, s19, v139
	s_delay_alu instid0(VALU_DEP_3) | instskip(SKIP_3) | instid1(VALU_DEP_4)
	v_or_b32_e32 v129, v129, v75
	v_dual_mul_f32 v91, s19, v142 :: v_dual_mul_f32 v106, s19, v124
	v_dual_mul_f32 v92, s19, v141 :: v_dual_mul_f32 v89, s19, v144
	v_mul_f32_e32 v108, s19, v122
	v_or_b32_e32 v131, 2, v129
	v_or_b32_e32 v132, 4, v129
	;; [unrolled: 1-line block ×3, first 2 shown]
	v_cmp_gt_i32_e32 vcc_lo, s18, v129
	v_or_b32_e32 v82, 8, v129
	v_cmp_gt_i32_e64 s3, s18, v131
	v_or_b32_e32 v83, 10, v129
	v_cmp_gt_i32_e64 s4, s18, v132
	v_cndmask_b32_e32 v96, 0xff7fffff, v96, vcc_lo
	v_cmp_gt_i32_e64 s5, s18, v81
	v_cndmask_b32_e64 v95, 0xff7fffff, v95, s3
	v_or_b32_e32 v84, 12, v129
	v_or_b32_e32 v85, 14, v129
	v_cndmask_b32_e64 v94, 0xff7fffff, v94, s4
	v_cndmask_b32_e64 v81, 0xff7fffff, v93, s5
	v_max3_f32 v93, v96, 0xff7fffff, v95
	v_cmp_gt_i32_e64 s6, s18, v82
	v_cmp_gt_i32_e64 s7, s18, v83
	v_or_b32_e32 v86, 16, v129
	v_or_b32_e32 v87, 18, v129
	v_mul_f32_e32 v90, s19, v143
	v_cndmask_b32_e64 v82, 0xff7fffff, v92, s6
	v_cndmask_b32_e64 v83, 0xff7fffff, v91, s7
	v_max3_f32 v81, v93, v94, v81
	v_cmp_gt_i32_e64 s8, s18, v84
	v_cmp_gt_i32_e64 s9, s18, v85
	v_or_b32_e32 v88, 20, v129
	v_or_b32_e32 v97, 22, v129
	v_mul_f32_e32 v109, s19, v121
	;; [unrolled: 8-line block ×4, first 2 shown]
	v_cndmask_b32_e64 v84, 0xff7fffff, v107, s12
	v_cndmask_b32_e64 v85, 0xff7fffff, v106, s13
	v_max3_f32 v81, v81, v82, v83
	v_cmp_gt_i32_e64 s15, s18, v98
	v_cmp_gt_i32_e64 s16, s18, v99
	v_dual_mul_f32 v102, s19, v128 :: v_dual_mul_f32 v103, s19, v127
	s_delay_alu instid0(VALU_DEP_4) | instskip(NEXT) | instid1(VALU_DEP_4)
	v_max3_f32 v81, v81, v84, v85
	v_cndmask_b32_e64 v82, 0xff7fffff, v105, s15
	s_delay_alu instid0(VALU_DEP_4) | instskip(SKIP_2) | instid1(VALU_DEP_3)
	v_cndmask_b32_e64 v83, 0xff7fffff, v104, s16
	v_cmp_gt_i32_e64 s17, s18, v100
	v_cmp_gt_i32_e64 s18, s18, v101
	v_max3_f32 v81, v81, v82, v83
	s_delay_alu instid0(VALU_DEP_3) | instskip(NEXT) | instid1(VALU_DEP_3)
	v_cndmask_b32_e64 v84, 0xff7fffff, v103, s17
	v_cndmask_b32_e64 v85, 0xff7fffff, v102, s18
	v_lshlrev_b32_e32 v83, 2, v130
	s_delay_alu instid0(VALU_DEP_2) | instskip(SKIP_3) | instid1(VALU_DEP_1)
	v_max3_f32 v81, v81, v84, v85
	ds_bpermute_b32 v82, v83, v81
	s_waitcnt lgkmcnt(0)
	v_max_f32_e32 v82, v82, v82
	v_max_f32_e32 v81, v81, v82
	s_delay_alu instid0(VALU_DEP_1)
	v_fma_f32 v82, s19, v137, -v81
	v_fma_f32 v84, s19, v138, -v81
	;; [unrolled: 1-line block ×5, first 2 shown]
	v_mul_f32_e32 v82, 0x3fb8aa3b, v82
	s_delay_alu instid0(VALU_DEP_4) | instskip(NEXT) | instid1(VALU_DEP_3)
	v_dual_mul_f32 v84, 0x3fb8aa3b, v84 :: v_dual_mul_f32 v89, 0x3fb8aa3b, v87
	v_mul_f32_e32 v86, 0x3fb8aa3b, v86
	s_delay_alu instid0(VALU_DEP_3) | instskip(NEXT) | instid1(VALU_DEP_2)
	v_exp_f32_e32 v82, v82
	v_exp_f32_e32 v84, v84
	s_delay_alu instid0(VALU_DEP_2) | instskip(NEXT) | instid1(VALU_DEP_1)
	v_exp_f32_e32 v92, v89
	v_exp_f32_e32 v86, v86
	v_cndmask_b32_e32 v88, 0, v82, vcc_lo
	s_delay_alu instid0(TRANS32_DEP_3)
	v_cndmask_b32_e64 v87, 0, v84, s3
	s_waitcnt_depctr 0xfff
	v_cndmask_b32_e64 v92, 0, v92, s6
	v_cmp_gt_u32_e64 s3, 16, v80
	v_cndmask_b32_e64 v89, 0, v86, s5
	v_add_f32_e32 v84, 0, v88
	s_delay_alu instid0(VALU_DEP_1) | instskip(NEXT) | instid1(VALU_DEP_1)
	v_dual_add_f32 v84, v84, v87 :: v_dual_mul_f32 v85, 0x3fb8aa3b, v85
	v_exp_f32_e32 v85, v85
	s_waitcnt_depctr 0xfff
	v_cndmask_b32_e64 v90, 0, v85, s4
	s_delay_alu instid0(VALU_DEP_1) | instskip(NEXT) | instid1(VALU_DEP_1)
	v_add_f32_e32 v84, v84, v90
	v_add_f32_e32 v84, v84, v89
	v_fma_f32 v82, s19, v142, -v81
	v_fma_f32 v91, s19, v143, -v81
	;; [unrolled: 1-line block ×5, first 2 shown]
	s_delay_alu instid0(VALU_DEP_4) | instskip(SKIP_1) | instid1(VALU_DEP_4)
	v_dual_mul_f32 v82, 0x3fb8aa3b, v82 :: v_dual_mul_f32 v91, 0x3fb8aa3b, v91
	v_fma_f32 v96, s19, v124, -v81
	v_mul_f32_e32 v86, 0x3fb8aa3b, v86
	v_fma_f32 v99, s19, v127, -v81
	s_delay_alu instid0(VALU_DEP_4) | instskip(SKIP_3) | instid1(VALU_DEP_1)
	v_exp_f32_e32 v82, v82
	v_exp_f32_e32 v93, v91
	v_mul_f32_e32 v97, 0x3fb8aa3b, v96
	v_exp_f32_e32 v86, v86
	v_exp_f32_e32 v97, v97
	v_cndmask_b32_e64 v91, 0, v82, s7
	v_dual_add_f32 v82, v84, v92 :: v_dual_mul_f32 v85, 0x3fb8aa3b, v85
	v_fma_f32 v84, s19, v123, -v81
	v_mul_f32_e32 v95, 0x3fb8aa3b, v94
	s_delay_alu instid0(TRANS32_DEP_3) | instskip(NEXT) | instid1(VALU_DEP_4)
	v_cndmask_b32_e64 v94, 0, v93, s8
	v_add_f32_e32 v82, v82, v91
	v_exp_f32_e32 v85, v85
	v_mul_f32_e32 v84, 0x3fb8aa3b, v84
	v_cndmask_b32_e64 v96, 0, v86, s10
	v_exp_f32_e32 v95, v95
	v_add_f32_e32 v82, v82, v94
	v_fma_f32 v86, s19, v126, -v81
	v_exp_f32_e32 v84, v84
	v_cndmask_b32_e64 v97, 0, v97, s13
	s_delay_alu instid0(TRANS32_DEP_3) | instskip(SKIP_2) | instid1(TRANS32_DEP_2)
	v_cndmask_b32_e64 v93, 0, v85, s9
	v_fma_f32 v85, s19, v125, -v81
	v_mul_f32_e32 v86, 0x3fb8aa3b, v86
	v_cndmask_b32_e64 v95, 0, v95, s11
	s_waitcnt_depctr 0xfff
	v_cndmask_b32_e64 v98, 0, v84, s12
	v_mul_f32_e32 v84, 0x3fb8aa3b, v99
	v_fma_f32 v99, s19, v128, -v81
	v_add_f32_e32 v82, v82, v93
	v_mul_f32_e32 v85, 0x3fb8aa3b, v85
	v_exp_f32_e32 v86, v86
	v_exp_f32_e32 v84, v84
	s_delay_alu instid0(VALU_DEP_1)
	v_exp_f32_e32 v85, v85
	s_waitcnt_depctr 0xfff
	v_cndmask_b32_e64 v102, 0, v84, s17
	v_cndmask_b32_e64 v100, 0, v85, s15
	v_dual_mul_f32 v85, 0x3fb8aa3b, v99 :: v_dual_add_f32 v82, v82, v96
	v_cndmask_b32_e64 v99, 0, v86, s16
	s_delay_alu instid0(VALU_DEP_2) | instskip(NEXT) | instid1(VALU_DEP_2)
	v_exp_f32_e32 v85, v85
	v_add_f32_e32 v82, v82, v95
	s_delay_alu instid0(VALU_DEP_1) | instskip(SKIP_3) | instid1(VALU_DEP_1)
	v_add_f32_e32 v82, v82, v98
	s_waitcnt_depctr 0xfff
	v_cndmask_b32_e64 v101, 0, v85, s18
	v_add_f32_e32 v82, v82, v97
	v_add_f32_e32 v82, v82, v100
	s_delay_alu instid0(VALU_DEP_1) | instskip(NEXT) | instid1(VALU_DEP_1)
	v_add_f32_e32 v82, v82, v99
	v_add_f32_e32 v82, v82, v102
	s_delay_alu instid0(VALU_DEP_1)
	v_add_f32_e32 v82, v82, v101
	ds_bpermute_b32 v83, v83, v82
	s_and_saveexec_b32 s4, s3
	s_cbranch_execz .LBB178_14
; %bb.13:
	v_mul_u32_u24_e32 v80, 0x44, v78
	s_waitcnt lgkmcnt(0)
	v_add_f32_e32 v82, v82, v83
	s_delay_alu instid0(VALU_DEP_2) | instskip(NEXT) | instid1(VALU_DEP_1)
	v_lshl_add_u32 v80, v77, 2, v80
	v_add_nc_u32_e32 v80, 0x4000, v80
	ds_store_2addr_b32 v80, v81, v82 offset1:136
.LBB178_14:
	s_or_b32 exec_lo, exec_lo, s4
	v_lshlrev_b32_e32 v80, 2, v77
	s_load_b32 s36, s[0:1], 0x94
	s_waitcnt lgkmcnt(0)
	s_barrier
	buffer_gl0_inv
	v_add_nc_u32_e32 v84, 0x4000, v80
	v_cmp_eq_u32_e32 vcc_lo, 1, v78
	v_cmp_eq_u32_e64 s4, 2, v78
	v_cmp_eq_u32_e64 s5, 3, v78
	;; [unrolled: 1-line block ×3, first 2 shown]
	ds_load_2addr_b32 v[80:81], v84 offset1:17
	ds_load_2addr_b32 v[82:83], v84 offset0:34 offset1:51
	ds_load_2addr_b32 v[103:104], v84 offset0:68 offset1:85
	;; [unrolled: 1-line block ×3, first 2 shown]
	v_cmp_eq_u32_e64 s7, 7, v78
	s_waitcnt lgkmcnt(3)
	v_max3_f32 v85, v80, 0xff7fffff, v81
	s_waitcnt lgkmcnt(2)
	s_delay_alu instid0(VALU_DEP_1) | instskip(SKIP_1) | instid1(VALU_DEP_1)
	v_max3_f32 v85, v85, v82, v83
	s_waitcnt lgkmcnt(1)
	v_max3_f32 v85, v85, v103, v104
	s_waitcnt lgkmcnt(0)
	s_delay_alu instid0(VALU_DEP_1) | instskip(NEXT) | instid1(VALU_DEP_1)
	v_max3_f32 v85, v85, v105, v106
	v_sub_f32_e32 v103, v103, v85
	ds_load_2addr_b32 v[107:108], v84 offset0:136 offset1:153
	v_sub_f32_e32 v80, v80, v85
	v_dual_sub_f32 v110, v83, v85 :: v_dual_mul_f32 v113, 0x3fb8aa3b, v103
	s_delay_alu instid0(VALU_DEP_2) | instskip(SKIP_3) | instid1(VALU_DEP_1)
	v_dual_sub_f32 v86, v81, v85 :: v_dual_mul_f32 v109, 0x3fb8aa3b, v80
	ds_load_2addr_b32 v[80:81], v84 offset0:170 offset1:187
	v_mul_f32_e32 v86, 0x3fb8aa3b, v86
	v_exp_f32_e32 v109, v109
	v_exp_f32_e32 v112, v86
	v_mul_f32_e32 v110, 0x3fb8aa3b, v110
	s_waitcnt lgkmcnt(1)
	s_waitcnt_depctr 0xfff
	v_fma_f32 v86, v109, v107, 0
	v_sub_f32_e32 v107, v104, v85
	v_sub_f32_e32 v82, v82, v85
	v_exp_f32_e32 v110, v110
	ds_load_2addr_b32 v[103:104], v84 offset0:238 offset1:255
	v_dual_fmac_f32 v86, v112, v108 :: v_dual_mul_f32 v111, 0x3fb8aa3b, v82
	ds_load_2addr_b32 v[82:83], v84 offset0:204 offset1:221
	v_dual_sub_f32 v84, v105, v85 :: v_dual_mul_f32 v105, 0x3fb8aa3b, v107
	v_exp_f32_e32 v107, v113
	v_exp_f32_e32 v111, v111
	s_waitcnt lgkmcnt(0)
	s_delay_alu instid0(VALU_DEP_1)
	v_mul_f32_e32 v84, 0x3fb8aa3b, v84
	v_exp_f32_e32 v105, v105
	s_barrier
	buffer_gl0_inv
	v_fmac_f32_e32 v86, v111, v80
	v_sub_f32_e32 v80, v106, v85
	v_exp_f32_e32 v106, v84
	s_delay_alu instid0(VALU_DEP_2) | instskip(NEXT) | instid1(VALU_DEP_2)
	v_fmac_f32_e32 v86, v110, v81
	v_mul_f32_e32 v80, 0x3fb8aa3b, v80
	s_delay_alu instid0(VALU_DEP_2) | instskip(NEXT) | instid1(VALU_DEP_2)
	v_dual_cndmask_b32 v81, v109, v112 :: v_dual_fmac_f32 v86, v107, v82
	v_exp_f32_e32 v108, v80
	s_delay_alu instid0(VALU_DEP_1) | instskip(SKIP_2) | instid1(VALU_DEP_1)
	v_fmac_f32_e32 v86, v105, v83
	s_waitcnt_depctr 0xfff
	v_fmac_f32_e32 v86, v106, v103
	v_fmac_f32_e32 v86, v108, v104
	s_delay_alu instid0(VALU_DEP_1) | instskip(NEXT) | instid1(VALU_DEP_1)
	v_add_f32_e32 v103, 0x358637bd, v86
	v_div_scale_f32 v104, null, v103, v103, 1.0
	v_div_scale_f32 v109, vcc_lo, 1.0, v103, 1.0
	s_delay_alu instid0(VALU_DEP_2) | instskip(SKIP_2) | instid1(VALU_DEP_1)
	v_rcp_f32_e32 v113, v104
	s_waitcnt_depctr 0xfff
	v_fma_f32 v80, -v104, v113, 1.0
	v_fmac_f32_e32 v113, v80, v113
	v_cndmask_b32_e64 v80, v81, v111, s4
	v_cmp_eq_u32_e64 s4, 4, v78
	v_lshl_or_b32 v81, v78, 11, v79
	s_delay_alu instid0(VALU_DEP_4) | instskip(NEXT) | instid1(VALU_DEP_4)
	v_mul_f32_e32 v111, v109, v113
	v_cndmask_b32_e64 v82, v80, v110, s5
	v_cmp_eq_u32_e64 s5, 6, v78
	s_delay_alu instid0(VALU_DEP_4) | instskip(SKIP_3) | instid1(VALU_DEP_3)
	v_lshl_or_b32 v78, v75, 4, v81
	v_lshlrev_b32_e32 v80, 2, v75
	v_fma_f32 v83, -v104, v111, v109
	v_cndmask_b32_e64 v84, v82, v107, s4
	v_or_b32_e32 v82, 1, v80
	s_delay_alu instid0(VALU_DEP_3) | instskip(NEXT) | instid1(VALU_DEP_3)
	v_fmac_f32_e32 v111, v83, v113
	v_cndmask_b32_e64 v105, v84, v105, s6
	v_or_b32_e32 v84, 2, v80
	v_or_b32_e32 v83, 3, v80
	v_cmp_eq_u32_e64 s4, 1, v80
	v_fma_f32 v104, -v104, v111, v109
	v_cndmask_b32_e64 v105, v105, v106, s5
	v_cmp_eq_u32_e64 s10, 1, v82
	v_cmp_eq_u32_e64 s11, 1, v84
	;; [unrolled: 1-line block ×3, first 2 shown]
	v_div_fmas_f32 v104, v104, v113, v111
	v_cndmask_b32_e64 v105, v105, v108, s7
	v_cmp_eq_u32_e32 vcc_lo, 2, v80
	v_cmp_eq_u32_e64 s13, 2, v82
	v_cmp_eq_u32_e64 s16, 2, v84
	v_div_fixup_f32 v103, v104, v103, 1.0
	v_cmp_eq_u32_e64 s17, 2, v83
	v_cmp_eq_u32_e64 s19, 3, v83
	;; [unrolled: 1-line block ×4, first 2 shown]
	v_mul_f32_e32 v111, v105, v103
	v_cmp_eq_u32_e64 s18, 3, v84
	v_cmp_eq_u32_e64 s23, 4, v83
	;; [unrolled: 1-line block ×4, first 2 shown]
	v_fma_mixlo_f16 v103, v111, v88, 0
	v_fma_mixlo_f16 v104, v111, v90, 0
	;; [unrolled: 1-line block ×8, first 2 shown]
	v_fma_mixhi_f16 v103, v111, v87, 0
	v_fma_mixhi_f16 v104, v111, v89, 0
	;; [unrolled: 1-line block ×8, first 2 shown]
	ds_store_b128 v78, v[103:106]
	ds_store_b128 v78, v[107:110] offset:1024
	s_waitcnt lgkmcnt(0)
	s_barrier
	buffer_gl0_inv
	ds_load_b128 v[87:90], v81
	ds_load_b128 v[91:94], v81 offset:16
	ds_load_b128 v[95:98], v81 offset:1024
	ds_load_b128 v[99:102], v81 offset:1040
	v_cmp_eq_u32_e64 s22, 4, v84
	v_cmp_eq_u32_e64 s25, 5, v83
	v_cmp_eq_u32_e64 s7, 5, v80
	v_cmp_eq_u32_e64 s21, 5, v82
	v_cmp_eq_u32_e64 s24, 5, v84
	v_cmp_eq_u32_e64 s28, 6, v83
	v_cmp_eq_u32_e64 s8, 6, v80
	v_cmp_eq_u32_e64 s26, 6, v82
	v_cmp_eq_u32_e64 s27, 6, v84
	v_cmp_eq_u32_e64 s30, 7, v83
	v_cmp_eq_u32_e64 s9, 7, v80
	v_cmp_eq_u32_e64 s29, 7, v84
	v_cmp_eq_u32_e64 s31, 7, v82
	s_waitcnt lgkmcnt(3)
	v_lshrrev_b32_e32 v103, 16, v87
	s_waitcnt lgkmcnt(2)
	v_lshrrev_b32_e32 v107, 16, v91
	;; [unrolled: 2-line block ×4, first 2 shown]
	v_lshrrev_b32_e32 v104, 16, v88
	v_cndmask_b32_e64 v119, v87, v103, s4
	v_cndmask_b32_e64 v120, v91, v107, s4
	;; [unrolled: 1-line block ×8, first 2 shown]
	v_lshrrev_b32_e32 v108, 16, v92
	v_cndmask_b32_e64 v103, v95, v111, s4
	v_cndmask_b32_e64 v107, v99, v115, s4
	;; [unrolled: 1-line block ×5, first 2 shown]
	v_cndmask_b32_e32 v111, v119, v88, vcc_lo
	v_cndmask_b32_e64 v119, v121, v88, s13
	v_cndmask_b32_e64 v121, v123, v88, s16
	;; [unrolled: 1-line block ×4, first 2 shown]
	v_lshrrev_b32_e32 v112, 16, v96
	v_lshrrev_b32_e32 v116, 16, v100
	v_cndmask_b32_e64 v126, v99, v115, s10
	v_cndmask_b32_e64 v128, v99, v115, s11
	;; [unrolled: 1-line block ×3, first 2 shown]
	v_cndmask_b32_e32 v115, v120, v92, vcc_lo
	v_cndmask_b32_e64 v120, v122, v92, s13
	v_cndmask_b32_e64 v122, v124, v92, s16
	v_cndmask_b32_e32 v91, v103, v96, vcc_lo
	v_cndmask_b32_e32 v92, v107, v100, vcc_lo
	v_cndmask_b32_e64 v103, v125, v96, s13
	v_cndmask_b32_e64 v87, v87, v104, s19
	;; [unrolled: 1-line block ×3, first 2 shown]
	v_lshrrev_b32_e32 v105, 16, v89
	v_lshrrev_b32_e32 v109, 16, v93
	v_cndmask_b32_e64 v107, v127, v96, s16
	v_cndmask_b32_e64 v95, v95, v96, s17
	;; [unrolled: 1-line block ×14, first 2 shown]
	v_lshrrev_b32_e32 v113, 16, v97
	v_cndmask_b32_e64 v99, v99, v89, s6
	v_cndmask_b32_e64 v104, v111, v93, s6
	;; [unrolled: 1-line block ×11, first 2 shown]
	v_lshrrev_b32_e32 v106, 16, v90
	v_lshrrev_b32_e32 v110, 16, v94
	v_cndmask_b32_e64 v93, v99, v105, s7
	v_cndmask_b32_e64 v99, v104, v109, s7
	v_cndmask_b32_e64 v103, v108, v105, s21
	v_cndmask_b32_e64 v104, v111, v109, s21
	v_cndmask_b32_e64 v108, v115, v105, s24
	v_cndmask_b32_e64 v111, v119, v109, s24
	v_cndmask_b32_e64 v92, v92, v113, s21
	v_cndmask_b32_e64 v87, v87, v90, s28
	v_cndmask_b32_e64 v88, v88, v94, s28
	v_lshrrev_b32_e32 v114, 16, v98
	v_cndmask_b32_e64 v89, v89, v113, s7
	v_cndmask_b32_e64 v93, v93, v90, s8
	v_cndmask_b32_e64 v99, v99, v94, s8
	v_cndmask_b32_e64 v103, v103, v90, s26
	v_cndmask_b32_e64 v104, v104, v94, s26
	v_cndmask_b32_e64 v105, v108, v90, s27
	v_cndmask_b32_e64 v108, v111, v94, s27
	v_cndmask_b32_e64 v90, v92, v98, s26
	v_cndmask_b32_e64 v87, v87, v106, s30
	v_cndmask_b32_e64 v88, v88, v110, s30
	v_cndmask_b32_e64 v123, v128, v100, s16
	v_cndmask_b32_e64 v89, v89, v98, s8
	v_cndmask_b32_e64 v92, v93, v106, s9
	v_cndmask_b32_e64 v93, v99, v110, s9
	v_cndmask_b32_e64 v94, v103, v106, s31
	v_cndmask_b32_e64 v99, v105, v106, s29
	v_cndmask_b32_e64 v103, v108, v110, s29
	v_cndmask_b32_e64 v104, v104, v110, s31
	v_cndmask_b32_e64 v106, v90, v114, s31
	v_perm_b32 v90, v88, v87, 0x5040100
	v_cndmask_b32_e64 v87, v126, v100, s13
	v_cndmask_b32_e64 v105, v89, v114, s9
	v_perm_b32 v89, v103, v99, 0x5040100
	v_perm_b32 v88, v104, v94, 0x5040100
	v_cndmask_b32_e64 v94, v107, v112, s18
	v_cndmask_b32_e64 v95, v95, v112, s19
	;; [unrolled: 1-line block ×5, first 2 shown]
	v_lshrrev_b32_e32 v117, 16, v101
	v_cndmask_b32_e64 v94, v94, v97, s22
	v_cndmask_b32_e64 v95, v95, v97, s23
	;; [unrolled: 1-line block ×11, first 2 shown]
	v_lshrrev_b32_e32 v118, 16, v102
	v_cndmask_b32_e64 v91, v91, v102, s8
	v_cndmask_b32_e64 v94, v94, v98, s27
	;; [unrolled: 1-line block ×12, first 2 shown]
	v_perm_b32 v87, v93, v92, 0x5040100
	v_perm_b32 v94, v95, v94, 0x5040100
	;; [unrolled: 1-line block ×5, first 2 shown]
	s_mul_i32 s8, s35, 5
	s_mov_b32 s4, exec_lo
	ds_store_b128 v78, v[87:90]
	ds_store_b128 v78, v[91:94] offset:1024
	v_cmpx_gt_u32_e32 5, v0
	s_cbranch_execz .LBB178_16
; %bb.15:
	s_mul_i32 s5, s8, s34
	s_load_b128 s[16:19], s[0:1], 0x58
	v_add3_u32 v77, s5, s33, v77
	s_delay_alu instid0(VALU_DEP_1) | instskip(NEXT) | instid1(VALU_DEP_1)
	v_mad_u64_u32 v[87:88], null, v77, s36, s[14:15]
	v_ashrrev_i32_e32 v88, 31, v87
	s_delay_alu instid0(VALU_DEP_1) | instskip(SKIP_1) | instid1(VALU_DEP_1)
	v_lshlrev_b64 v[87:88], 2, v[87:88]
	s_waitcnt lgkmcnt(0)
	v_add_co_u32 v89, vcc_lo, s18, v87
	s_delay_alu instid0(VALU_DEP_2)
	v_add_co_ci_u32_e32 v90, vcc_lo, s19, v88, vcc_lo
	v_add_co_u32 v87, vcc_lo, s16, v87
	v_add_co_ci_u32_e32 v88, vcc_lo, s17, v88, vcc_lo
	global_store_b32 v[89:90], v85, off
	global_store_b32 v[87:88], v86, off
.LBB178_16:
	s_or_b32 exec_lo, exec_lo, s4
	s_waitcnt lgkmcnt(0)
	s_waitcnt_vscnt null, 0x0
	s_barrier
	buffer_gl0_inv
	ds_load_b128 v[93:96], v79
	ds_load_b128 v[97:100], v79 offset:16
	ds_load_b128 v[105:108], v79 offset:1040
	;; [unrolled: 1-line block ×5, first 2 shown]
	v_cmp_eq_u32_e32 vcc_lo, 1, v84
	v_mov_b32_e32 v85, 0
	ds_load_b128 v[121:124], v79 offset:3088
	ds_load_b128 v[117:120], v79 offset:3072
	;; [unrolled: 1-line block ×4, first 2 shown]
	v_cmp_eq_u32_e64 s4, 1, v80
	v_cmp_eq_u32_e64 s5, 1, v83
	v_cmp_eq_u32_e64 s6, 1, v82
	v_mov_b32_e32 v86, v85
	v_mov_b32_e32 v87, v85
	;; [unrolled: 1-line block ×7, first 2 shown]
	v_cmp_eq_u32_e64 s7, 2, v80
	s_waitcnt lgkmcnt(8)
	s_delay_alu instid0(VALU_DEP_2)
	v_wmma_f32_16x16x16_f16 v[85:92], v[65:72], v[93:100], v[85:92]
	ds_load_b128 v[69:72], v79 offset:5136
	ds_load_b128 v[65:68], v79 offset:5120
	;; [unrolled: 1-line block ×4, first 2 shown]
	s_waitcnt lgkmcnt(10)
	v_wmma_f32_16x16x16_f16 v[85:92], v[57:64], v[101:108], v[85:92]
	s_waitcnt lgkmcnt(8)
	s_delay_alu instid0(VALU_DEP_1)
	v_wmma_f32_16x16x16_f16 v[85:92], v[57:64], v[109:116], v[85:92]
	ds_load_b128 v[61:64], v79 offset:7184
	ds_load_b128 v[57:60], v79 offset:7168
	;; [unrolled: 1-line block ×4, first 2 shown]
	s_waitcnt lgkmcnt(10)
	v_wmma_f32_16x16x16_f16 v[85:92], v[49:56], v[117:124], v[85:92]
	s_waitcnt lgkmcnt(8)
	s_delay_alu instid0(VALU_DEP_1)
	v_wmma_f32_16x16x16_f16 v[85:92], v[49:56], v[125:132], v[85:92]
	ds_load_b128 v[53:56], v79 offset:9232
	ds_load_b128 v[49:52], v79 offset:9216
	s_waitcnt lgkmcnt(8)
	v_wmma_f32_16x16x16_f16 v[85:92], v[41:48], v[65:72], v[85:92]
	ds_load_b128 v[69:72], v79 offset:10256
	ds_load_b128 v[65:68], v79 offset:10240
	s_waitcnt lgkmcnt(8)
	;; [unrolled: 4-line block ×7, first 2 shown]
	s_barrier
	buffer_gl0_inv
	v_wmma_f32_16x16x16_f16 v[85:92], v[33:40], v[41:48], v[85:92]
	s_delay_alu instid0(VALU_DEP_1) | instskip(NEXT) | instid1(VALU_DEP_1)
	v_wmma_f32_16x16x16_f16 v[85:92], v[33:40], v[57:64], v[85:92]
	v_wmma_f32_16x16x16_f16 v[85:92], v[25:32], v[9:16], v[85:92]
	s_delay_alu instid0(VALU_DEP_1) | instskip(NEXT) | instid1(VALU_DEP_1)
	v_wmma_f32_16x16x16_f16 v[85:92], v[25:32], v[49:56], v[85:92]
	v_wmma_f32_16x16x16_f16 v[85:92], v[17:24], v[1:8], v[85:92]
	s_delay_alu instid0(VALU_DEP_1) | instskip(NEXT) | instid1(VALU_DEP_2)
	v_cvt_f16_f32_e32 v1, v85
	v_cvt_f16_f32_e32 v2, v86
	s_delay_alu instid0(VALU_DEP_3) | instskip(NEXT) | instid1(VALU_DEP_4)
	v_cvt_f16_f32_e32 v3, v87
	v_cvt_f16_f32_e32 v4, v88
	;; [unrolled: 1-line block ×6, first 2 shown]
	v_pack_b32_f16 v1, v1, v2
	v_pack_b32_f16 v2, v3, v4
	;; [unrolled: 1-line block ×3, first 2 shown]
	s_delay_alu instid0(VALU_DEP_4)
	v_pack_b32_f16 v4, v7, v8
	ds_store_b128 v78, v[1:4]
	s_waitcnt lgkmcnt(0)
	s_barrier
	buffer_gl0_inv
	ds_load_b128 v[1:4], v81
	ds_load_b128 v[5:8], v81 offset:16
	s_waitcnt lgkmcnt(1)
	v_lshrrev_b32_e32 v9, 16, v1
	s_waitcnt lgkmcnt(0)
	v_lshrrev_b32_e32 v13, 16, v5
	v_lshrrev_b32_e32 v15, 16, v7
	;; [unrolled: 1-line block ×4, first 2 shown]
	v_cndmask_b32_e64 v17, v1, v9, s4
	v_cndmask_b32_e64 v18, v5, v13, s4
	v_cndmask_b32_e64 v19, v1, v9, s6
	v_cmp_eq_u32_e64 s4, 2, v82
	v_cndmask_b32_e64 v20, v5, v13, s6
	v_cndmask_b32_e32 v21, v1, v9, vcc_lo
	v_cndmask_b32_e32 v22, v5, v13, vcc_lo
	v_cndmask_b32_e64 v1, v1, v9, s5
	v_cndmask_b32_e64 v5, v5, v13, s5
	v_cmp_eq_u32_e32 vcc_lo, 2, v84
	v_cmp_eq_u32_e64 s5, 2, v83
	v_cndmask_b32_e64 v9, v17, v2, s7
	v_cndmask_b32_e64 v13, v18, v6, s7
	;; [unrolled: 1-line block ×4, first 2 shown]
	v_cndmask_b32_e32 v19, v21, v2, vcc_lo
	v_cmp_eq_u32_e64 s4, 3, v84
	v_cndmask_b32_e32 v20, v22, v6, vcc_lo
	v_cndmask_b32_e64 v1, v1, v2, s5
	v_cmp_eq_u32_e32 vcc_lo, 3, v83
	v_cmp_eq_u32_e64 s6, 3, v80
	v_cndmask_b32_e64 v2, v5, v6, s5
	v_cmp_eq_u32_e64 s5, 3, v82
	v_lshrrev_b32_e32 v16, 16, v8
	v_cmp_eq_u32_e64 s7, 4, v80
	v_cndmask_b32_e64 v5, v9, v10, s6
	v_cndmask_b32_e64 v6, v13, v14, s6
	;; [unrolled: 1-line block ×3, first 2 shown]
	v_cmp_eq_u32_e64 s6, 4, v82
	v_cndmask_b32_e64 v13, v18, v14, s5
	v_cndmask_b32_e64 v17, v19, v10, s4
	;; [unrolled: 1-line block ×3, first 2 shown]
	v_cndmask_b32_e32 v1, v1, v10, vcc_lo
	v_cndmask_b32_e32 v2, v2, v14, vcc_lo
	v_cmp_eq_u32_e32 vcc_lo, 4, v84
	v_cmp_eq_u32_e64 s5, 4, v83
	v_lshrrev_b32_e32 v11, 16, v3
	v_cndmask_b32_e64 v5, v5, v3, s7
	v_cndmask_b32_e64 v6, v6, v7, s7
	;; [unrolled: 1-line block ×4, first 2 shown]
	v_cndmask_b32_e32 v13, v17, v3, vcc_lo
	v_cmp_eq_u32_e64 s4, 5, v84
	v_cndmask_b32_e32 v14, v18, v7, vcc_lo
	v_cndmask_b32_e64 v1, v1, v3, s5
	v_cmp_eq_u32_e32 vcc_lo, 5, v83
	v_cmp_eq_u32_e64 s6, 5, v80
	v_cndmask_b32_e64 v2, v2, v7, s5
	v_cmp_eq_u32_e64 s5, 5, v82
	v_cmp_eq_u32_e64 s7, 6, v80
	v_cndmask_b32_e32 v1, v1, v11, vcc_lo
	v_cndmask_b32_e64 v3, v5, v11, s6
	v_cndmask_b32_e64 v5, v6, v15, s6
	;; [unrolled: 1-line block ×3, first 2 shown]
	v_cmp_eq_u32_e64 s6, 6, v82
	v_cndmask_b32_e64 v7, v10, v15, s5
	v_cndmask_b32_e64 v9, v13, v11, s4
	;; [unrolled: 1-line block ×3, first 2 shown]
	v_cndmask_b32_e32 v2, v2, v15, vcc_lo
	v_cmp_eq_u32_e32 vcc_lo, 6, v84
	v_cmp_eq_u32_e64 s4, 6, v83
	v_lshrrev_b32_e32 v12, 16, v4
	v_cndmask_b32_e64 v3, v3, v4, s7
	v_cndmask_b32_e64 v5, v5, v8, s7
	;; [unrolled: 1-line block ×4, first 2 shown]
	v_cndmask_b32_e32 v9, v9, v4, vcc_lo
	v_cmp_eq_u32_e64 s5, 7, v84
	v_cndmask_b32_e32 v10, v10, v8, vcc_lo
	v_cndmask_b32_e64 v1, v1, v4, s4
	v_cmp_eq_u32_e32 vcc_lo, 7, v83
	v_cndmask_b32_e64 v2, v2, v8, s4
	v_cmp_eq_u32_e64 s4, 7, v80
	v_cmp_eq_u32_e64 s6, 7, v82
	v_cndmask_b32_e32 v1, v1, v12, vcc_lo
	s_delay_alu instid0(VALU_DEP_4) | instskip(NEXT) | instid1(VALU_DEP_4)
	v_cndmask_b32_e32 v2, v2, v16, vcc_lo
	v_cndmask_b32_e64 v8, v3, v12, s4
	s_delay_alu instid0(VALU_DEP_4)
	v_cndmask_b32_e64 v6, v6, v12, s6
	v_cndmask_b32_e64 v3, v9, v12, s5
	;; [unrolled: 1-line block ×5, first 2 shown]
	v_cmp_gt_u32_e32 vcc_lo, 32, v0
	v_perm_b32 v4, v2, v1, 0x5040100
	v_perm_b32 v3, v9, v3, 0x5040100
	;; [unrolled: 1-line block ×4, first 2 shown]
	s_and_b32 s2, vcc_lo, s2
	ds_store_b128 v78, v[1:4]
	s_waitcnt lgkmcnt(0)
	s_barrier
	buffer_gl0_inv
	s_and_saveexec_b32 s4, s2
	s_cbranch_execz .LBB178_2
; %bb.17:
	s_load_b64 s[4:5], s[0:1], 0x68
	v_lshlrev_b32_e32 v0, 10, v0
	v_add_nc_u32_e32 v2, s33, v75
	v_lshlrev_b32_e32 v3, 4, v76
	s_lshl_b32 s0, s36, 6
	s_delay_alu instid0(SALU_CYCLE_1) | instskip(NEXT) | instid1(VALU_DEP_2)
	s_mul_i32 s1, s0, s34
	v_mul_lo_u32 v1, v2, s0
	s_delay_alu instid0(VALU_DEP_2) | instskip(SKIP_2) | instid1(SALU_CYCLE_1)
	v_and_or_b32 v0, 0x3800, v0, v3
	v_add_nc_u32_e32 v2, 2, v2
	s_mul_i32 s6, s1, s8
	s_ashr_i32 s7, s6, 31
	s_delay_alu instid0(VALU_DEP_2)
	v_lshl_or_b32 v7, v75, 6, v0
	s_lshl_b64 s[6:7], s[6:7], 1
	v_mul_lo_u32 v11, v2, s0
	v_ashrrev_i32_e32 v2, 31, v1
	ds_load_b128 v[3:6], v7
	ds_load_b128 v[7:10], v7 offset:128
	s_waitcnt lgkmcnt(0)
	s_add_u32 s1, s4, s6
	s_addc_u32 s2, s5, s7
	s_lshl_b32 s4, s14, 6
	v_ashrrev_i32_e32 v12, 31, v11
	s_ashr_i32 s5, s4, 31
	v_lshlrev_b64 v[13:14], 1, v[1:2]
	s_lshl_b64 s[4:5], s[4:5], 1
	s_delay_alu instid0(SALU_CYCLE_1) | instskip(SKIP_4) | instid1(VALU_DEP_3)
	s_add_u32 s1, s1, s4
	s_addc_u32 s2, s2, s5
	v_add_co_u32 v1, vcc_lo, s1, v73
	v_add_co_ci_u32_e32 v2, vcc_lo, s2, v74, vcc_lo
	v_lshlrev_b64 v[11:12], 1, v[11:12]
	v_add_co_u32 v13, vcc_lo, v1, v13
	s_delay_alu instid0(VALU_DEP_3) | instskip(NEXT) | instid1(VALU_DEP_3)
	v_add_co_ci_u32_e32 v14, vcc_lo, v2, v14, vcc_lo
	v_add_co_u32 v11, vcc_lo, v1, v11
	s_delay_alu instid0(VALU_DEP_4)
	v_add_co_ci_u32_e32 v12, vcc_lo, v2, v12, vcc_lo
	s_clause 0x1
	global_store_b128 v[13:14], v[3:6], off
	global_store_b128 v[11:12], v[7:10], off
	s_and_b32 exec_lo, exec_lo, s3
	s_cbranch_execz .LBB178_2
; %bb.18:
	ds_load_b128 v[3:6], v0 offset:256
	s_add_i32 s1, s33, 4
	s_delay_alu instid0(SALU_CYCLE_1) | instskip(NEXT) | instid1(SALU_CYCLE_1)
	s_mul_i32 s0, s1, s0
	s_ashr_i32 s1, s0, 31
	s_delay_alu instid0(SALU_CYCLE_1) | instskip(NEXT) | instid1(SALU_CYCLE_1)
	s_lshl_b64 s[0:1], s[0:1], 1
	v_add_co_u32 v0, vcc_lo, v1, s0
	v_add_co_ci_u32_e32 v1, vcc_lo, s1, v2, vcc_lo
	s_waitcnt lgkmcnt(0)
	global_store_b128 v[0:1], v[3:6], off
	s_nop 0
	s_sendmsg sendmsg(MSG_DEALLOC_VGPRS)
	s_endpgm
	.section	.rodata,"a",@progbits
	.p2align	6, 0x0
	.amdhsa_kernel _Z39paged_attention_ll4mi_QKV_mfma16_kernelIDF16_DF16_LN4vllm18Fp8KVCacheDataTypeE0EDF16_Li32ELi64ELi256ELb0ELi5EL8MFMAType0EEvPKT_PKT0_S8_ifPKiSA_SA_iPKfiiiPfSD_PS3_PT2_iSC_SC_
		.amdhsa_group_segment_fixed_size 17472
		.amdhsa_private_segment_fixed_size 0
		.amdhsa_kernarg_size 400
		.amdhsa_user_sgpr_count 13
		.amdhsa_user_sgpr_dispatch_ptr 0
		.amdhsa_user_sgpr_queue_ptr 0
		.amdhsa_user_sgpr_kernarg_segment_ptr 1
		.amdhsa_user_sgpr_dispatch_id 0
		.amdhsa_user_sgpr_private_segment_size 0
		.amdhsa_wavefront_size32 1
		.amdhsa_uses_dynamic_stack 0
		.amdhsa_enable_private_segment 0
		.amdhsa_system_sgpr_workgroup_id_x 1
		.amdhsa_system_sgpr_workgroup_id_y 1
		.amdhsa_system_sgpr_workgroup_id_z 1
		.amdhsa_system_sgpr_workgroup_info 0
		.amdhsa_system_vgpr_workitem_id 0
		.amdhsa_next_free_vgpr 154
		.amdhsa_next_free_sgpr 39
		.amdhsa_reserve_vcc 1
		.amdhsa_float_round_mode_32 0
		.amdhsa_float_round_mode_16_64 0
		.amdhsa_float_denorm_mode_32 3
		.amdhsa_float_denorm_mode_16_64 3
		.amdhsa_dx10_clamp 1
		.amdhsa_ieee_mode 1
		.amdhsa_fp16_overflow 0
		.amdhsa_workgroup_processor_mode 1
		.amdhsa_memory_ordered 1
		.amdhsa_forward_progress 0
		.amdhsa_shared_vgpr_count 0
		.amdhsa_exception_fp_ieee_invalid_op 0
		.amdhsa_exception_fp_denorm_src 0
		.amdhsa_exception_fp_ieee_div_zero 0
		.amdhsa_exception_fp_ieee_overflow 0
		.amdhsa_exception_fp_ieee_underflow 0
		.amdhsa_exception_fp_ieee_inexact 0
		.amdhsa_exception_int_div_zero 0
	.end_amdhsa_kernel
	.section	.text._Z39paged_attention_ll4mi_QKV_mfma16_kernelIDF16_DF16_LN4vllm18Fp8KVCacheDataTypeE0EDF16_Li32ELi64ELi256ELb0ELi5EL8MFMAType0EEvPKT_PKT0_S8_ifPKiSA_SA_iPKfiiiPfSD_PS3_PT2_iSC_SC_,"axG",@progbits,_Z39paged_attention_ll4mi_QKV_mfma16_kernelIDF16_DF16_LN4vllm18Fp8KVCacheDataTypeE0EDF16_Li32ELi64ELi256ELb0ELi5EL8MFMAType0EEvPKT_PKT0_S8_ifPKiSA_SA_iPKfiiiPfSD_PS3_PT2_iSC_SC_,comdat
.Lfunc_end178:
	.size	_Z39paged_attention_ll4mi_QKV_mfma16_kernelIDF16_DF16_LN4vllm18Fp8KVCacheDataTypeE0EDF16_Li32ELi64ELi256ELb0ELi5EL8MFMAType0EEvPKT_PKT0_S8_ifPKiSA_SA_iPKfiiiPfSD_PS3_PT2_iSC_SC_, .Lfunc_end178-_Z39paged_attention_ll4mi_QKV_mfma16_kernelIDF16_DF16_LN4vllm18Fp8KVCacheDataTypeE0EDF16_Li32ELi64ELi256ELb0ELi5EL8MFMAType0EEvPKT_PKT0_S8_ifPKiSA_SA_iPKfiiiPfSD_PS3_PT2_iSC_SC_
                                        ; -- End function
	.section	.AMDGPU.csdata,"",@progbits
; Kernel info:
; codeLenInByte = 7232
; NumSgprs: 41
; NumVgprs: 154
; ScratchSize: 0
; MemoryBound: 0
; FloatMode: 240
; IeeeMode: 1
; LDSByteSize: 17472 bytes/workgroup (compile time only)
; SGPRBlocks: 5
; VGPRBlocks: 19
; NumSGPRsForWavesPerEU: 41
; NumVGPRsForWavesPerEU: 154
; Occupancy: 9
; WaveLimiterHint : 1
; COMPUTE_PGM_RSRC2:SCRATCH_EN: 0
; COMPUTE_PGM_RSRC2:USER_SGPR: 13
; COMPUTE_PGM_RSRC2:TRAP_HANDLER: 0
; COMPUTE_PGM_RSRC2:TGID_X_EN: 1
; COMPUTE_PGM_RSRC2:TGID_Y_EN: 1
; COMPUTE_PGM_RSRC2:TGID_Z_EN: 1
; COMPUTE_PGM_RSRC2:TIDIG_COMP_CNT: 0
	.section	.text._Z39paged_attention_ll4mi_QKV_mfma16_kernelIDF16_DF16_LN4vllm18Fp8KVCacheDataTypeE0EDF16_Li32ELi64ELi256ELb0ELi6EL8MFMAType0EEvPKT_PKT0_S8_ifPKiSA_SA_iPKfiiiPfSD_PS3_PT2_iSC_SC_,"axG",@progbits,_Z39paged_attention_ll4mi_QKV_mfma16_kernelIDF16_DF16_LN4vllm18Fp8KVCacheDataTypeE0EDF16_Li32ELi64ELi256ELb0ELi6EL8MFMAType0EEvPKT_PKT0_S8_ifPKiSA_SA_iPKfiiiPfSD_PS3_PT2_iSC_SC_,comdat
	.protected	_Z39paged_attention_ll4mi_QKV_mfma16_kernelIDF16_DF16_LN4vllm18Fp8KVCacheDataTypeE0EDF16_Li32ELi64ELi256ELb0ELi6EL8MFMAType0EEvPKT_PKT0_S8_ifPKiSA_SA_iPKfiiiPfSD_PS3_PT2_iSC_SC_ ; -- Begin function _Z39paged_attention_ll4mi_QKV_mfma16_kernelIDF16_DF16_LN4vllm18Fp8KVCacheDataTypeE0EDF16_Li32ELi64ELi256ELb0ELi6EL8MFMAType0EEvPKT_PKT0_S8_ifPKiSA_SA_iPKfiiiPfSD_PS3_PT2_iSC_SC_
	.globl	_Z39paged_attention_ll4mi_QKV_mfma16_kernelIDF16_DF16_LN4vllm18Fp8KVCacheDataTypeE0EDF16_Li32ELi64ELi256ELb0ELi6EL8MFMAType0EEvPKT_PKT0_S8_ifPKiSA_SA_iPKfiiiPfSD_PS3_PT2_iSC_SC_
	.p2align	8
	.type	_Z39paged_attention_ll4mi_QKV_mfma16_kernelIDF16_DF16_LN4vllm18Fp8KVCacheDataTypeE0EDF16_Li32ELi64ELi256ELb0ELi6EL8MFMAType0EEvPKT_PKT0_S8_ifPKiSA_SA_iPKfiiiPfSD_PS3_PT2_iSC_SC_,@function
_Z39paged_attention_ll4mi_QKV_mfma16_kernelIDF16_DF16_LN4vllm18Fp8KVCacheDataTypeE0EDF16_Li32ELi64ELi256ELb0ELi6EL8MFMAType0EEvPKT_PKT0_S8_ifPKiSA_SA_iPKfiiiPfSD_PS3_PT2_iSC_SC_: ; @_Z39paged_attention_ll4mi_QKV_mfma16_kernelIDF16_DF16_LN4vllm18Fp8KVCacheDataTypeE0EDF16_Li32ELi64ELi256ELb0ELi6EL8MFMAType0EEvPKT_PKT0_S8_ifPKiSA_SA_iPKfiiiPfSD_PS3_PT2_iSC_SC_
; %bb.0:
	s_load_b64 s[2:3], s[0:1], 0x30
	s_mov_b32 s34, s13
	s_waitcnt lgkmcnt(0)
	s_cmp_lg_u64 s[2:3], 0
	s_cselect_b32 s6, -1, 0
	s_ashr_i32 s35, s13, 31
	s_cmp_eq_u64 s[2:3], 0
	s_cbranch_scc1 .LBB179_3
; %bb.1:
	s_lshl_b64 s[4:5], s[34:35], 2
	s_delay_alu instid0(SALU_CYCLE_1) | instskip(SKIP_4) | instid1(SALU_CYCLE_1)
	s_add_u32 s4, s2, s4
	s_addc_u32 s5, s3, s5
	s_load_b64 s[4:5], s[4:5], 0x0
	s_waitcnt lgkmcnt(0)
	s_sub_i32 s4, s5, s4
	s_cmp_eq_u32 s4, 1
	s_cselect_b32 s4, -1, 0
	s_delay_alu instid0(SALU_CYCLE_1)
	s_and_not1_b32 vcc_lo, exec_lo, s4
	s_cbranch_vccz .LBB179_4
.LBB179_2:
	s_endpgm
.LBB179_3:
.LBB179_4:
	s_load_b64 s[8:9], s[0:1], 0x28
	s_lshl_b64 s[4:5], s[34:35], 2
	s_waitcnt lgkmcnt(0)
	s_add_u32 s8, s8, s4
	s_addc_u32 s9, s9, s5
	s_lshl_b32 s16, s14, 8
	s_load_b32 s18, s[8:9], 0x0
	s_waitcnt lgkmcnt(0)
	s_cmp_ge_i32 s16, s18
	s_cbranch_scc1 .LBB179_2
; %bb.5:
	s_and_not1_b32 vcc_lo, exec_lo, s6
	s_cbranch_vccnz .LBB179_7
; %bb.6:
	s_add_u32 s2, s2, s4
	s_addc_u32 s3, s3, s5
	s_load_b32 s17, s[2:3], 0x0
	s_branch .LBB179_8
.LBB179_7:
	s_mov_b32 s17, s34
.LBB179_8:
	s_clause 0x2
	s_load_b128 s[8:11], s[0:1], 0x8
	s_load_b64 s[12:13], s[0:1], 0x20
	s_load_b128 s[4:7], s[0:1], 0x48
	v_and_b32_e32 v77, 15, v0
	v_cmp_lt_u32_e32 vcc_lo, 0x5f, v0
	s_delay_alu instid0(VALU_DEP_2) | instskip(SKIP_2) | instid1(VALU_DEP_3)
	v_cmp_lt_u32_e64 s3, 7, v77
	v_lshlrev_b32_e32 v1, 3, v77
	v_cmp_gt_u32_e64 s2, 8, v77
	s_or_b32 s3, vcc_lo, s3
	s_waitcnt lgkmcnt(0)
	s_and_saveexec_b32 s7, s3
	s_delay_alu instid0(SALU_CYCLE_1)
	s_xor_b32 s3, exec_lo, s7
; %bb.9:
	v_mov_b32_e32 v2, 0
; %bb.10:
	s_or_saveexec_b32 s3, s3
	v_lshrrev_b32_e32 v79, 5, v0
	v_and_b32_e32 v80, 31, v0
	v_and_b32_e32 v76, 1, v0
	v_bfe_u32 v75, v0, 4, 1
	s_mul_i32 s31, s15, 6
	s_xor_b32 exec_lo, exec_lo, s3
	s_cbranch_execz .LBB179_12
; %bb.11:
	s_load_b64 s[20:21], s[0:1], 0x0
	v_lshl_or_b32 v7, v79, 1, v75
	s_mul_hi_i32 s23, s17, s4
	s_mul_i32 s22, s17, s4
	v_lshlrev_b32_e32 v4, 1, v1
	s_lshl_b64 s[22:23], s[22:23], 1
	v_add_lshl_u32 v2, v7, s31, 6
	v_lshlrev_b32_e32 v7, 6, v7
	v_lshlrev_b32_e32 v8, 10, v76
	s_delay_alu instid0(VALU_DEP_3) | instskip(NEXT) | instid1(VALU_DEP_1)
	v_ashrrev_i32_e32 v3, 31, v2
	v_lshlrev_b64 v[2:3], 1, v[2:3]
	s_waitcnt lgkmcnt(0)
	s_add_u32 s4, s20, s22
	s_addc_u32 s7, s21, s23
	s_delay_alu instid0(VALU_DEP_1) | instskip(NEXT) | instid1(VALU_DEP_2)
	v_add_co_u32 v2, vcc_lo, s4, v2
	v_add_co_ci_u32_e32 v3, vcc_lo, s7, v3, vcc_lo
	s_delay_alu instid0(VALU_DEP_2) | instskip(NEXT) | instid1(VALU_DEP_2)
	v_add_co_u32 v2, vcc_lo, v2, v4
	v_add_co_ci_u32_e32 v3, vcc_lo, 0, v3, vcc_lo
	global_load_b128 v[3:6], v[2:3], off
	v_lshlrev_b32_e32 v2, 10, v77
	s_delay_alu instid0(VALU_DEP_1) | instskip(NEXT) | instid1(VALU_DEP_1)
	v_and_b32_e32 v2, 0x3800, v2
	v_or3_b32 v7, v2, v8, v7
	v_mov_b32_e32 v2, 0
	s_waitcnt vmcnt(0)
	ds_store_b128 v7, v[3:6]
.LBB179_12:
	s_or_b32 exec_lo, exec_lo, s3
	v_and_b32_e32 v3, 0xef, v0
	s_add_i32 s3, s18, 31
	s_clause 0x1
	s_load_b32 s4, s[0:1], 0x38
	s_load_b32 s33, s[0:1], 0x98
	s_ashr_i32 s7, s3, 31
	v_add_nc_u32_e32 v3, s16, v3
	s_lshr_b32 s7, s7, 27
	s_load_b32 s19, s[0:1], 0x1c
	s_add_i32 s3, s3, s7
	s_waitcnt lgkmcnt(0)
	v_ashrrev_i32_e32 v4, 31, v3
	v_cmp_gt_i32_e32 vcc_lo, s18, v3
	s_ashr_i32 s3, s3, 5
	s_barrier
	s_add_i32 s3, s3, -1
	v_lshrrev_b32_e32 v5, 27, v4
	v_or_b32_e32 v4, 16, v3
	buffer_gl0_inv
	s_mul_i32 s6, s15, s6
	v_lshlrev_b64 v[73:74], 1, v[1:2]
	v_add_nc_u32_e32 v6, v3, v5
	v_add_nc_u32_e32 v5, v4, v5
	s_mul_i32 s20, s34, s4
	v_lshlrev_b32_e32 v78, 6, v77
	s_ashr_i32 s21, s20, 31
	v_ashrrev_i32_e32 v6, 5, v6
	v_ashrrev_i32_e32 v5, 5, v5
	s_lshl_b64 s[20:21], s[20:21], 2
	v_lshl_or_b32 v33, v79, 10, v78
	s_add_u32 s4, s12, s20
	v_cndmask_b32_e32 v3, s3, v6, vcc_lo
	v_cmp_gt_i32_e32 vcc_lo, s18, v4
	s_addc_u32 s17, s13, s21
	s_ashr_i32 s7, s6, 31
	s_delay_alu instid0(VALU_DEP_2) | instskip(SKIP_2) | instid1(SALU_CYCLE_1)
	v_ashrrev_i32_e32 v4, 31, v3
	v_cndmask_b32_e32 v5, s3, v5, vcc_lo
	s_lshl_b64 s[6:7], s[6:7], 1
	s_add_u32 s15, s8, s6
	s_delay_alu instid0(VALU_DEP_2) | instskip(NEXT) | instid1(VALU_DEP_2)
	v_lshlrev_b64 v[3:4], 2, v[3:4]
	v_ashrrev_i32_e32 v6, 31, v5
	s_addc_u32 s28, s9, s7
	s_lshl_b32 s8, s14, 3
	s_delay_alu instid0(SALU_CYCLE_1) | instskip(NEXT) | instid1(VALU_DEP_1)
	s_ashr_i32 s9, s8, 31
	v_lshlrev_b64 v[5:6], 2, v[5:6]
	v_add_co_u32 v3, vcc_lo, s4, v3
	v_add_co_ci_u32_e32 v4, vcc_lo, s17, v4, vcc_lo
	s_lshl_b64 s[8:9], s[8:9], 2
	s_delay_alu instid0(VALU_DEP_3) | instskip(NEXT) | instid1(VALU_DEP_4)
	v_add_co_u32 v5, vcc_lo, s4, v5
	v_add_co_ci_u32_e32 v6, vcc_lo, s17, v6, vcc_lo
	s_add_u32 s8, s4, s8
	s_clause 0x1
	global_load_b32 v7, v[3:4], off
	global_load_b32 v8, v[5:6], off
	s_addc_u32 s9, s17, s9
	s_or_b32 s12, s16, 32
	s_delay_alu instid0(SALU_CYCLE_1) | instskip(SKIP_2) | instid1(SALU_CYCLE_1)
	s_ashr_i32 s13, s12, 5
	s_cmp_lt_i32 s12, s18
	s_cselect_b32 s12, s13, s3
	s_ashr_i32 s13, s12, 31
	s_delay_alu instid0(SALU_CYCLE_1) | instskip(NEXT) | instid1(SALU_CYCLE_1)
	s_lshl_b64 s[12:13], s[12:13], 2
	s_add_u32 s12, s4, s12
	s_addc_u32 s13, s17, s13
	s_or_b32 s20, s16, 64
	s_delay_alu instid0(SALU_CYCLE_1) | instskip(SKIP_2) | instid1(SALU_CYCLE_1)
	s_ashr_i32 s21, s20, 5
	s_cmp_lt_i32 s20, s18
	s_cselect_b32 s20, s21, s3
	s_ashr_i32 s21, s20, 31
	s_delay_alu instid0(SALU_CYCLE_1) | instskip(NEXT) | instid1(SALU_CYCLE_1)
	s_lshl_b64 s[20:21], s[20:21], 2
	s_add_u32 s20, s4, s20
	;; [unrolled: 10-line block ×5, first 2 shown]
	s_addc_u32 s27, s17, s27
	s_clause 0x5
	s_load_b32 s29, s[8:9], 0x0
	s_load_b32 s30, s[12:13], 0x0
	;; [unrolled: 1-line block ×6, first 2 shown]
	s_or_b32 s8, s16, 0xc0
	s_mov_b32 s20, 0
	s_ashr_i32 s9, s8, 5
	s_cmp_lt_i32 s8, s18
	s_mov_b32 s27, s20
	s_cselect_b32 s8, s9, s3
	s_mov_b32 s21, s20
	s_ashr_i32 s9, s8, 31
	s_mov_b32 s22, s20
	s_lshl_b64 s[8:9], s[8:9], 2
	s_mov_b32 s23, s20
	s_add_u32 s8, s4, s8
	s_mov_b32 s24, s20
	s_mov_b32 s25, s20
	s_mov_b32 s26, s20
	s_addc_u32 s9, s17, s9
	v_dual_mov_b32 v128, s27 :: v_dual_mov_b32 v127, s26
	v_dual_mov_b32 v126, s25 :: v_dual_mov_b32 v125, s24
	;; [unrolled: 1-line block ×3, first 2 shown]
	v_mov_b32_e32 v121, s20
	s_waitcnt lgkmcnt(0)
	s_mul_hi_i32 s13, s29, s5
	s_mul_i32 s12, s29, s5
	v_mov_b32_e32 v122, s21
	s_mul_hi_i32 s21, s30, s5
	s_mul_i32 s20, s30, s5
	s_mul_hi_i32 s25, s35, s5
	s_mul_i32 s24, s35, s5
	;; [unrolled: 2-line block ×3, first 2 shown]
	s_mul_i32 s36, s38, s5
	s_waitcnt vmcnt(1)
	v_mad_i64_i32 v[3:4], null, v7, s5, 0
	s_waitcnt vmcnt(0)
	v_mad_i64_i32 v[5:6], null, v8, s5, 0
	s_delay_alu instid0(VALU_DEP_2) | instskip(NEXT) | instid1(VALU_DEP_2)
	v_lshlrev_b64 v[3:4], 1, v[3:4]
	v_lshlrev_b64 v[1:2], 1, v[5:6]
	s_delay_alu instid0(VALU_DEP_2) | instskip(NEXT) | instid1(VALU_DEP_3)
	v_add_co_u32 v3, vcc_lo, s15, v3
	v_add_co_ci_u32_e32 v4, vcc_lo, s28, v4, vcc_lo
	s_delay_alu instid0(VALU_DEP_3) | instskip(NEXT) | instid1(VALU_DEP_4)
	v_add_co_u32 v1, vcc_lo, s15, v1
	v_add_co_ci_u32_e32 v2, vcc_lo, s28, v2, vcc_lo
	s_delay_alu instid0(VALU_DEP_4) | instskip(NEXT) | instid1(VALU_DEP_4)
	v_add_co_u32 v25, vcc_lo, v3, v73
	v_add_co_ci_u32_e32 v26, vcc_lo, v4, v74, vcc_lo
	s_delay_alu instid0(VALU_DEP_4) | instskip(NEXT) | instid1(VALU_DEP_4)
	v_add_co_u32 v27, vcc_lo, v1, v73
	v_add_co_ci_u32_e32 v28, vcc_lo, v2, v74, vcc_lo
	s_clause 0xf
	global_load_b128 v[1:4], v[25:26], off
	global_load_b128 v[5:8], v[25:26], off offset:512
	global_load_b128 v[9:12], v[27:28], off offset:256
	;; [unrolled: 1-line block ×15, first 2 shown]
	v_mul_lo_u16 v25, v77, 43
	s_or_b32 s15, s16, 0xe0
	s_delay_alu instid0(SALU_CYCLE_1) | instskip(SKIP_1) | instid1(VALU_DEP_1)
	s_ashr_i32 s22, s15, 5
	s_cmp_lt_i32 s15, s18
	v_lshrrev_b16 v25, 8, v25
	s_cselect_b32 s22, s22, s3
	s_delay_alu instid0(SALU_CYCLE_1) | instskip(NEXT) | instid1(VALU_DEP_1)
	s_ashr_i32 s23, s22, 31
	v_mul_lo_u16 v25, v25, 6
	s_lshl_b64 s[22:23], s[22:23], 2
	s_delay_alu instid0(SALU_CYCLE_1) | instskip(SKIP_1) | instid1(VALU_DEP_1)
	s_add_u32 s22, s4, s22
	s_addc_u32 s23, s17, s23
	v_sub_nc_u16 v25, v77, v25
	s_add_i32 s15, s16, 0x100
	s_delay_alu instid0(SALU_CYCLE_1) | instskip(SKIP_1) | instid1(VALU_DEP_1)
	s_ashr_i32 s28, s15, 5
	s_cmp_lt_i32 s15, s18
	v_and_b32_e32 v25, 0xff, v25
	s_cselect_b32 s28, s28, s3
	s_delay_alu instid0(SALU_CYCLE_1) | instskip(NEXT) | instid1(VALU_DEP_1)
	s_ashr_i32 s29, s28, 31
	v_lshlrev_b32_e32 v151, 6, v25
	ds_load_b128 v[25:28], v151
	ds_load_b128 v[29:32], v151 offset:1024
	ds_load_b128 v[129:132], v151 offset:2048
	;; [unrolled: 1-line block ×3, first 2 shown]
	s_load_b32 s15, s[8:9], 0x0
	s_mul_hi_i32 s9, s37, s5
	s_lshl_b64 s[28:29], s[28:29], 2
	s_mul_i32 s8, s37, s5
	s_add_u32 s28, s4, s28
	s_addc_u32 s29, s17, s29
	s_add_u32 s3, s10, s6
	s_clause 0x1
	s_load_b32 s4, s[22:23], 0x0
	s_load_b32 s17, s[28:29], 0x0
	s_addc_u32 s28, s11, s7
	v_add_co_u32 v152, s3, s3, v33
	s_delay_alu instid0(VALU_DEP_1) | instskip(SKIP_2) | instid1(VALU_DEP_2)
	v_add_co_ci_u32_e64 v153, null, s28, 0, s3
	s_lshl_b64 s[6:7], s[12:13], 1
	s_lshl_b64 s[10:11], s[20:21], 1
	v_add_co_u32 v33, vcc_lo, v152, s6
	s_delay_alu instid0(VALU_DEP_2)
	v_add_co_ci_u32_e32 v34, vcc_lo, s7, v153, vcc_lo
	v_add_co_u32 v35, vcc_lo, v152, s10
	s_lshl_b64 s[12:13], s[24:25], 1
	v_add_co_ci_u32_e32 v36, vcc_lo, s11, v153, vcc_lo
	v_add_co_u32 v37, vcc_lo, v152, s12
	s_lshl_b64 s[20:21], s[26:27], 1
	;; [unrolled: 3-line block ×3, first 2 shown]
	s_mul_hi_i32 s37, s38, s5
	v_add_co_ci_u32_e32 v40, vcc_lo, s21, v153, vcc_lo
	v_add_co_u32 v145, vcc_lo, v152, s8
	s_lshl_b64 s[22:23], s[36:37], 1
	s_waitcnt lgkmcnt(0)
	s_mul_hi_i32 s25, s15, s5
	s_mul_i32 s24, s15, s5
	v_add_co_ci_u32_e32 v146, vcc_lo, s9, v153, vcc_lo
	v_add_co_u32 v147, vcc_lo, v152, s22
	s_lshl_b64 s[24:25], s[24:25], 1
	v_add_co_ci_u32_e32 v148, vcc_lo, s23, v153, vcc_lo
	s_mul_hi_i32 s7, s4, s5
	s_mul_i32 s6, s4, s5
	v_add_co_u32 v149, vcc_lo, v152, s24
	s_lshl_b64 s[6:7], s[6:7], 1
	v_add_co_ci_u32_e32 v150, vcc_lo, s25, v153, vcc_lo
	s_clause 0x7
	global_load_b128 v[65:68], v[33:34], off
	global_load_b128 v[69:72], v[33:34], off offset:16
	global_load_b128 v[57:60], v[35:36], off
	global_load_b128 v[61:64], v[35:36], off offset:16
	;; [unrolled: 2-line block ×4, first 2 shown]
	s_waitcnt vmcnt(22)
	v_wmma_f32_16x16x16_f16 v[137:144], v[1:8], v[25:32], v[121:128]
	s_waitcnt vmcnt(20)
	v_wmma_f32_16x16x16_f16 v[121:128], v[9:16], v[25:32], v[121:128]
	v_add_co_u32 v29, vcc_lo, v152, s6
	v_add_co_ci_u32_e32 v30, vcc_lo, s7, v153, vcc_lo
	s_mul_hi_i32 s7, s17, s5
	s_mul_i32 s6, s17, s5
	s_waitcnt vmcnt(18)
	v_wmma_f32_16x16x16_f16 v[137:144], v[17:24], v[129:136], v[137:144]
	s_lshl_b64 s[4:5], s[6:7], 1
	s_clause 0x1
	global_load_b128 v[9:12], v[145:146], off
	global_load_b128 v[13:16], v[145:146], off offset:16
	v_add_co_u32 v21, vcc_lo, v152, s4
	v_add_co_ci_u32_e32 v22, vcc_lo, s5, v153, vcc_lo
	s_clause 0x7
	global_load_b128 v[1:4], v[147:148], off
	global_load_b128 v[5:8], v[147:148], off offset:16
	global_load_b128 v[33:36], v[149:150], off
	global_load_b128 v[37:40], v[149:150], off offset:16
	;; [unrolled: 2-line block ×4, first 2 shown]
	s_waitcnt vmcnt(26)
	v_wmma_f32_16x16x16_f16 v[121:128], v[81:88], v[129:136], v[121:128]
	ds_load_b128 v[81:84], v151 offset:4096
	ds_load_b128 v[85:88], v151 offset:5120
	v_mbcnt_lo_u32_b32 v130, -1, 0
	s_delay_alu instid0(VALU_DEP_1) | instskip(NEXT) | instid1(VALU_DEP_1)
	v_xor_b32_e32 v131, 16, v130
	v_cmp_gt_i32_e32 vcc_lo, 32, v131
	v_cndmask_b32_e32 v130, v130, v131, vcc_lo
	s_waitcnt vmcnt(24) lgkmcnt(0)
	v_wmma_f32_16x16x16_f16 v[137:144], v[89:96], v[81:88], v[137:144]
	ds_load_b128 v[89:92], v151 offset:6144
	ds_load_b128 v[93:96], v151 offset:7168
	s_waitcnt vmcnt(22)
	v_wmma_f32_16x16x16_f16 v[121:128], v[97:104], v[81:88], v[121:128]
	s_waitcnt vmcnt(0) lgkmcnt(0)
	s_barrier
	buffer_gl0_inv
	v_wmma_f32_16x16x16_f16 v[137:144], v[105:112], v[89:96], v[137:144]
	v_and_b32_e32 v129, 0xe0, v0
	v_wmma_f32_16x16x16_f16 v[121:128], v[113:120], v[89:96], v[121:128]
	s_delay_alu instid0(VALU_DEP_3) | instskip(NEXT) | instid1(VALU_DEP_2)
	v_mul_f32_e32 v96, s19, v137
	v_dual_mul_f32 v102, s19, v128 :: v_dual_add_nc_u32 v129, s16, v129
	v_mul_f32_e32 v95, s19, v138
	s_delay_alu instid0(VALU_DEP_4) | instskip(NEXT) | instid1(VALU_DEP_3)
	v_dual_mul_f32 v93, s19, v140 :: v_dual_mul_f32 v108, s19, v122
	v_or_b32_e32 v129, v129, v75
	v_dual_mul_f32 v94, s19, v139 :: v_dual_mul_f32 v91, s19, v142
	v_mul_f32_e32 v106, s19, v124
	v_mul_f32_e32 v92, s19, v141
	s_delay_alu instid0(VALU_DEP_4)
	v_or_b32_e32 v131, 2, v129
	v_or_b32_e32 v132, 4, v129
	;; [unrolled: 1-line block ×3, first 2 shown]
	v_cmp_gt_i32_e32 vcc_lo, s18, v129
	v_or_b32_e32 v82, 8, v129
	v_cmp_gt_i32_e64 s3, s18, v131
	v_or_b32_e32 v83, 10, v129
	v_cmp_gt_i32_e64 s4, s18, v132
	v_cndmask_b32_e32 v96, 0xff7fffff, v96, vcc_lo
	v_cmp_gt_i32_e64 s5, s18, v81
	v_cndmask_b32_e64 v95, 0xff7fffff, v95, s3
	v_or_b32_e32 v84, 12, v129
	v_or_b32_e32 v85, 14, v129
	v_cndmask_b32_e64 v94, 0xff7fffff, v94, s4
	v_cndmask_b32_e64 v81, 0xff7fffff, v93, s5
	v_max3_f32 v93, v96, 0xff7fffff, v95
	v_cmp_gt_i32_e64 s6, s18, v82
	v_cmp_gt_i32_e64 s7, s18, v83
	v_or_b32_e32 v86, 16, v129
	v_or_b32_e32 v87, 18, v129
	v_dual_mul_f32 v89, s19, v144 :: v_dual_mul_f32 v104, s19, v126
	v_mul_f32_e32 v90, s19, v143
	v_cndmask_b32_e64 v82, 0xff7fffff, v92, s6
	v_cndmask_b32_e64 v83, 0xff7fffff, v91, s7
	v_max3_f32 v81, v93, v94, v81
	v_cmp_gt_i32_e64 s8, s18, v84
	v_cmp_gt_i32_e64 s9, s18, v85
	v_or_b32_e32 v88, 20, v129
	v_or_b32_e32 v97, 22, v129
	v_mul_f32_e32 v109, s19, v121
	v_cndmask_b32_e64 v84, 0xff7fffff, v90, s8
	v_cndmask_b32_e64 v85, 0xff7fffff, v89, s9
	v_max3_f32 v81, v81, v82, v83
	v_cmp_gt_i32_e64 s10, s18, v86
	v_cmp_gt_i32_e64 s11, s18, v87
	v_or_b32_e32 v98, 24, v129
	v_or_b32_e32 v99, 26, v129
	;; [unrolled: 8-line block ×3, first 2 shown]
	v_mul_f32_e32 v105, s19, v125
	v_cndmask_b32_e64 v84, 0xff7fffff, v107, s12
	v_cndmask_b32_e64 v85, 0xff7fffff, v106, s13
	v_max3_f32 v81, v81, v82, v83
	v_cmp_gt_i32_e64 s15, s18, v98
	v_cmp_gt_i32_e64 s16, s18, v99
	v_mul_f32_e32 v103, s19, v127
	v_cmp_gt_i32_e64 s17, s18, v100
	v_max3_f32 v81, v81, v84, v85
	v_cndmask_b32_e64 v82, 0xff7fffff, v105, s15
	v_cndmask_b32_e64 v83, 0xff7fffff, v104, s16
	v_cmp_gt_i32_e64 s18, s18, v101
	v_cndmask_b32_e64 v84, 0xff7fffff, v103, s17
	s_delay_alu instid0(VALU_DEP_3) | instskip(NEXT) | instid1(VALU_DEP_3)
	v_max3_f32 v81, v81, v82, v83
	v_cndmask_b32_e64 v85, 0xff7fffff, v102, s18
	v_lshlrev_b32_e32 v83, 2, v130
	s_delay_alu instid0(VALU_DEP_2) | instskip(SKIP_3) | instid1(VALU_DEP_1)
	v_max3_f32 v81, v81, v84, v85
	ds_bpermute_b32 v82, v83, v81
	s_waitcnt lgkmcnt(0)
	v_max_f32_e32 v82, v82, v82
	v_max_f32_e32 v81, v81, v82
	s_delay_alu instid0(VALU_DEP_1) | instskip(SKIP_2) | instid1(VALU_DEP_3)
	v_fma_f32 v82, s19, v137, -v81
	v_fma_f32 v84, s19, v138, -v81
	;; [unrolled: 1-line block ×3, first 2 shown]
	v_mul_f32_e32 v82, 0x3fb8aa3b, v82
	s_delay_alu instid0(VALU_DEP_2) | instskip(NEXT) | instid1(VALU_DEP_2)
	v_dual_mul_f32 v84, 0x3fb8aa3b, v84 :: v_dual_mul_f32 v89, 0x3fb8aa3b, v87
	v_exp_f32_e32 v82, v82
	s_delay_alu instid0(VALU_DEP_1) | instskip(SKIP_4) | instid1(VALU_DEP_2)
	v_exp_f32_e32 v84, v84
	s_waitcnt_depctr 0xfff
	v_cndmask_b32_e32 v88, 0, v82, vcc_lo
	v_cndmask_b32_e64 v87, 0, v84, s3
	s_mov_b32 s3, exec_lo
	v_add_f32_e32 v84, 0, v88
	s_delay_alu instid0(VALU_DEP_1)
	v_add_f32_e32 v84, v84, v87
	v_fma_f32 v85, s19, v139, -v81
	v_fma_f32 v82, s19, v142, -v81
	;; [unrolled: 1-line block ×5, first 2 shown]
	s_delay_alu instid0(VALU_DEP_4) | instskip(NEXT) | instid1(VALU_DEP_4)
	v_dual_mul_f32 v85, 0x3fb8aa3b, v85 :: v_dual_mul_f32 v82, 0x3fb8aa3b, v82
	v_mul_f32_e32 v86, 0x3fb8aa3b, v86
	v_fma_f32 v96, s19, v124, -v81
	v_fma_f32 v99, s19, v127, -v81
	s_delay_alu instid0(VALU_DEP_4) | instskip(SKIP_4) | instid1(VALU_DEP_2)
	v_exp_f32_e32 v85, v85
	v_exp_f32_e32 v82, v82
	;; [unrolled: 1-line block ×3, first 2 shown]
	v_mul_f32_e32 v95, 0x3fb8aa3b, v94
	v_mul_f32_e32 v97, 0x3fb8aa3b, v96
	v_exp_f32_e32 v95, v95
	s_delay_alu instid0(VALU_DEP_1) | instskip(SKIP_2) | instid1(VALU_DEP_2)
	v_exp_f32_e32 v97, v97
	v_cndmask_b32_e64 v90, 0, v85, s4
	v_fma_f32 v85, s19, v144, -v81
	v_add_f32_e32 v84, v84, v90
	v_exp_f32_e32 v92, v89
	v_cndmask_b32_e64 v89, 0, v86, s5
	v_mul_f32_e32 v91, 0x3fb8aa3b, v91
	v_fma_f32 v86, s19, v121, -v81
	v_mul_f32_e32 v85, 0x3fb8aa3b, v85
	v_cndmask_b32_e64 v95, 0, v95, s11
	v_add_f32_e32 v84, v84, v89
	v_exp_f32_e32 v93, v91
	v_mul_f32_e32 v86, 0x3fb8aa3b, v86
	v_exp_f32_e32 v85, v85
	v_cndmask_b32_e64 v92, 0, v92, s6
	v_cndmask_b32_e64 v91, 0, v82, s7
	;; [unrolled: 1-line block ×3, first 2 shown]
	v_exp_f32_e32 v86, v86
	s_delay_alu instid0(VALU_DEP_3) | instskip(SKIP_1) | instid1(TRANS32_DEP_3)
	v_add_f32_e32 v82, v84, v92
	v_fma_f32 v84, s19, v123, -v81
	v_cndmask_b32_e64 v94, 0, v93, s8
	s_delay_alu instid0(TRANS32_DEP_2) | instskip(SKIP_1) | instid1(VALU_DEP_4)
	v_cndmask_b32_e64 v93, 0, v85, s9
	v_fma_f32 v85, s19, v125, -v81
	v_mul_f32_e32 v84, 0x3fb8aa3b, v84
	v_add_f32_e32 v82, v82, v91
	s_delay_alu instid0(TRANS32_DEP_1) | instskip(SKIP_3) | instid1(VALU_DEP_2)
	v_cndmask_b32_e64 v96, 0, v86, s10
	v_fma_f32 v86, s19, v126, -v81
	v_mul_f32_e32 v85, 0x3fb8aa3b, v85
	v_exp_f32_e32 v84, v84
	v_mul_f32_e32 v86, 0x3fb8aa3b, v86
	s_delay_alu instid0(VALU_DEP_2) | instskip(NEXT) | instid1(VALU_DEP_1)
	v_exp_f32_e32 v85, v85
	v_exp_f32_e32 v86, v86
	s_delay_alu instid0(TRANS32_DEP_3)
	v_cndmask_b32_e64 v98, 0, v84, s12
	v_mul_f32_e32 v84, 0x3fb8aa3b, v99
	v_fma_f32 v99, s19, v128, -v81
	v_add_f32_e32 v82, v82, v94
	s_waitcnt_depctr 0xfff
	v_cndmask_b32_e64 v100, 0, v85, s15
	v_exp_f32_e32 v84, v84
	v_dual_mul_f32 v85, 0x3fb8aa3b, v99 :: v_dual_add_f32 v82, v82, v93
	v_cndmask_b32_e64 v99, 0, v86, s16
	s_delay_alu instid0(VALU_DEP_2) | instskip(NEXT) | instid1(VALU_DEP_2)
	v_exp_f32_e32 v85, v85
	v_add_f32_e32 v82, v82, v96
	s_waitcnt_depctr 0xfff
	v_cndmask_b32_e64 v102, 0, v84, s17
	v_add_f32_e32 v82, v82, v95
	v_cndmask_b32_e64 v101, 0, v85, s18
	s_delay_alu instid0(VALU_DEP_2) | instskip(NEXT) | instid1(VALU_DEP_1)
	v_add_f32_e32 v82, v82, v98
	v_add_f32_e32 v82, v82, v97
	s_delay_alu instid0(VALU_DEP_1) | instskip(NEXT) | instid1(VALU_DEP_1)
	v_add_f32_e32 v82, v82, v100
	v_add_f32_e32 v82, v82, v99
	s_delay_alu instid0(VALU_DEP_1) | instskip(NEXT) | instid1(VALU_DEP_1)
	v_add_f32_e32 v82, v82, v102
	v_add_f32_e32 v82, v82, v101
	ds_bpermute_b32 v83, v83, v82
	v_cmpx_gt_u32_e32 16, v80
	s_cbranch_execz .LBB179_14
; %bb.13:
	v_mul_u32_u24_e32 v80, 0x44, v79
	s_waitcnt lgkmcnt(0)
	v_add_f32_e32 v82, v82, v83
	s_delay_alu instid0(VALU_DEP_2) | instskip(NEXT) | instid1(VALU_DEP_1)
	v_lshl_add_u32 v80, v77, 2, v80
	v_add_nc_u32_e32 v80, 0x4000, v80
	ds_store_2addr_b32 v80, v81, v82 offset1:136
.LBB179_14:
	s_or_b32 exec_lo, exec_lo, s3
	v_lshlrev_b32_e32 v80, 2, v77
	s_load_b32 s35, s[0:1], 0x94
	s_waitcnt lgkmcnt(0)
	s_barrier
	buffer_gl0_inv
	v_add_nc_u32_e32 v84, 0x4000, v80
	v_cmp_eq_u32_e32 vcc_lo, 1, v79
	v_cmp_eq_u32_e64 s3, 2, v79
	v_cmp_eq_u32_e64 s4, 3, v79
	;; [unrolled: 1-line block ×3, first 2 shown]
	ds_load_2addr_b32 v[80:81], v84 offset1:17
	ds_load_2addr_b32 v[82:83], v84 offset0:34 offset1:51
	ds_load_2addr_b32 v[103:104], v84 offset0:68 offset1:85
	;; [unrolled: 1-line block ×3, first 2 shown]
	v_cmp_eq_u32_e64 s6, 7, v79
	s_waitcnt lgkmcnt(3)
	v_max3_f32 v85, v80, 0xff7fffff, v81
	s_waitcnt lgkmcnt(2)
	s_delay_alu instid0(VALU_DEP_1) | instskip(SKIP_1) | instid1(VALU_DEP_1)
	v_max3_f32 v85, v85, v82, v83
	s_waitcnt lgkmcnt(1)
	v_max3_f32 v85, v85, v103, v104
	s_waitcnt lgkmcnt(0)
	s_delay_alu instid0(VALU_DEP_1) | instskip(NEXT) | instid1(VALU_DEP_1)
	v_max3_f32 v85, v85, v105, v106
	v_sub_f32_e32 v103, v103, v85
	ds_load_2addr_b32 v[107:108], v84 offset0:136 offset1:153
	v_sub_f32_e32 v80, v80, v85
	v_dual_sub_f32 v110, v83, v85 :: v_dual_mul_f32 v113, 0x3fb8aa3b, v103
	s_delay_alu instid0(VALU_DEP_2) | instskip(SKIP_3) | instid1(VALU_DEP_1)
	v_dual_sub_f32 v86, v81, v85 :: v_dual_mul_f32 v109, 0x3fb8aa3b, v80
	ds_load_2addr_b32 v[80:81], v84 offset0:170 offset1:187
	v_mul_f32_e32 v86, 0x3fb8aa3b, v86
	v_exp_f32_e32 v109, v109
	v_exp_f32_e32 v112, v86
	v_mul_f32_e32 v110, 0x3fb8aa3b, v110
	s_waitcnt lgkmcnt(1)
	s_waitcnt_depctr 0xfff
	v_fma_f32 v86, v109, v107, 0
	v_sub_f32_e32 v107, v104, v85
	v_sub_f32_e32 v82, v82, v85
	v_exp_f32_e32 v110, v110
	ds_load_2addr_b32 v[103:104], v84 offset0:238 offset1:255
	v_dual_fmac_f32 v86, v112, v108 :: v_dual_mul_f32 v111, 0x3fb8aa3b, v82
	ds_load_2addr_b32 v[82:83], v84 offset0:204 offset1:221
	v_dual_sub_f32 v84, v105, v85 :: v_dual_mul_f32 v105, 0x3fb8aa3b, v107
	v_exp_f32_e32 v107, v113
	v_exp_f32_e32 v111, v111
	s_waitcnt lgkmcnt(0)
	s_delay_alu instid0(VALU_DEP_1)
	v_mul_f32_e32 v84, 0x3fb8aa3b, v84
	v_exp_f32_e32 v105, v105
	s_barrier
	buffer_gl0_inv
	v_fmac_f32_e32 v86, v111, v80
	v_sub_f32_e32 v80, v106, v85
	v_exp_f32_e32 v106, v84
	s_delay_alu instid0(VALU_DEP_2) | instskip(NEXT) | instid1(VALU_DEP_2)
	v_fmac_f32_e32 v86, v110, v81
	v_mul_f32_e32 v80, 0x3fb8aa3b, v80
	s_delay_alu instid0(VALU_DEP_2) | instskip(NEXT) | instid1(VALU_DEP_2)
	v_dual_cndmask_b32 v81, v109, v112 :: v_dual_fmac_f32 v86, v107, v82
	v_exp_f32_e32 v108, v80
	s_delay_alu instid0(VALU_DEP_1) | instskip(SKIP_2) | instid1(VALU_DEP_1)
	v_fmac_f32_e32 v86, v105, v83
	s_waitcnt_depctr 0xfff
	v_fmac_f32_e32 v86, v106, v103
	v_fmac_f32_e32 v86, v108, v104
	s_delay_alu instid0(VALU_DEP_1) | instskip(NEXT) | instid1(VALU_DEP_1)
	v_add_f32_e32 v103, 0x358637bd, v86
	v_div_scale_f32 v104, null, v103, v103, 1.0
	v_div_scale_f32 v109, vcc_lo, 1.0, v103, 1.0
	s_delay_alu instid0(VALU_DEP_2) | instskip(SKIP_2) | instid1(VALU_DEP_1)
	v_rcp_f32_e32 v113, v104
	s_waitcnt_depctr 0xfff
	v_fma_f32 v80, -v104, v113, 1.0
	v_fmac_f32_e32 v113, v80, v113
	v_cndmask_b32_e64 v80, v81, v111, s3
	v_cmp_eq_u32_e64 s3, 4, v79
	v_lshl_or_b32 v81, v79, 11, v78
	s_delay_alu instid0(VALU_DEP_4) | instskip(NEXT) | instid1(VALU_DEP_4)
	v_mul_f32_e32 v111, v109, v113
	v_cndmask_b32_e64 v82, v80, v110, s4
	v_cmp_eq_u32_e64 s4, 6, v79
	s_delay_alu instid0(VALU_DEP_4) | instskip(SKIP_3) | instid1(VALU_DEP_3)
	v_lshl_or_b32 v79, v75, 4, v81
	v_lshlrev_b32_e32 v80, 2, v75
	v_fma_f32 v83, -v104, v111, v109
	v_cndmask_b32_e64 v84, v82, v107, s3
	v_or_b32_e32 v82, 1, v80
	s_delay_alu instid0(VALU_DEP_3) | instskip(NEXT) | instid1(VALU_DEP_3)
	v_fmac_f32_e32 v111, v83, v113
	v_cndmask_b32_e64 v105, v84, v105, s5
	v_or_b32_e32 v84, 2, v80
	v_or_b32_e32 v83, 3, v80
	v_cmp_eq_u32_e64 s3, 1, v80
	v_fma_f32 v104, -v104, v111, v109
	v_cndmask_b32_e64 v105, v105, v106, s4
	v_cmp_eq_u32_e64 s9, 1, v82
	v_cmp_eq_u32_e64 s10, 1, v84
	;; [unrolled: 1-line block ×3, first 2 shown]
	v_div_fmas_f32 v104, v104, v113, v111
	v_cndmask_b32_e64 v105, v105, v108, s6
	v_cmp_eq_u32_e32 vcc_lo, 2, v80
	v_cmp_eq_u32_e64 s12, 2, v82
	v_cmp_eq_u32_e64 s15, 2, v84
	v_div_fixup_f32 v103, v104, v103, 1.0
	v_cmp_eq_u32_e64 s16, 2, v83
	v_cmp_eq_u32_e64 s18, 3, v83
	;; [unrolled: 1-line block ×4, first 2 shown]
	v_mul_f32_e32 v111, v105, v103
	v_cmp_eq_u32_e64 s17, 3, v84
	v_cmp_eq_u32_e64 s22, 4, v83
	;; [unrolled: 1-line block ×4, first 2 shown]
	v_fma_mixlo_f16 v103, v111, v88, 0
	v_fma_mixlo_f16 v104, v111, v90, 0
	;; [unrolled: 1-line block ×8, first 2 shown]
	v_fma_mixhi_f16 v103, v111, v87, 0
	v_fma_mixhi_f16 v104, v111, v89, 0
	v_fma_mixhi_f16 v105, v111, v91, 0
	v_fma_mixhi_f16 v106, v111, v93, 0
	v_fma_mixhi_f16 v107, v111, v95, 0
	v_fma_mixhi_f16 v108, v111, v97, 0
	v_fma_mixhi_f16 v109, v111, v99, 0
	v_fma_mixhi_f16 v110, v111, v101, 0
	ds_store_b128 v79, v[103:106]
	ds_store_b128 v79, v[107:110] offset:1024
	s_waitcnt lgkmcnt(0)
	s_barrier
	buffer_gl0_inv
	ds_load_b128 v[87:90], v81
	ds_load_b128 v[91:94], v81 offset:16
	ds_load_b128 v[95:98], v81 offset:1024
	;; [unrolled: 1-line block ×3, first 2 shown]
	v_cmp_eq_u32_e64 s21, 4, v84
	v_cmp_eq_u32_e64 s24, 5, v83
	;; [unrolled: 1-line block ×13, first 2 shown]
	s_waitcnt lgkmcnt(3)
	v_lshrrev_b32_e32 v103, 16, v87
	s_waitcnt lgkmcnt(2)
	v_lshrrev_b32_e32 v107, 16, v91
	;; [unrolled: 2-line block ×4, first 2 shown]
	v_lshrrev_b32_e32 v104, 16, v88
	v_cndmask_b32_e64 v119, v87, v103, s3
	v_cndmask_b32_e64 v120, v91, v107, s3
	;; [unrolled: 1-line block ×8, first 2 shown]
	v_lshrrev_b32_e32 v108, 16, v92
	v_cndmask_b32_e64 v103, v95, v111, s3
	v_cndmask_b32_e64 v107, v99, v115, s3
	;; [unrolled: 1-line block ×5, first 2 shown]
	v_cndmask_b32_e32 v111, v119, v88, vcc_lo
	v_cndmask_b32_e64 v119, v121, v88, s12
	v_cndmask_b32_e64 v121, v123, v88, s15
	;; [unrolled: 1-line block ×4, first 2 shown]
	v_lshrrev_b32_e32 v112, 16, v96
	v_lshrrev_b32_e32 v116, 16, v100
	v_cndmask_b32_e64 v126, v99, v115, s9
	v_cndmask_b32_e64 v128, v99, v115, s10
	;; [unrolled: 1-line block ×3, first 2 shown]
	v_cndmask_b32_e32 v115, v120, v92, vcc_lo
	v_cndmask_b32_e64 v120, v122, v92, s12
	v_cndmask_b32_e64 v122, v124, v92, s15
	v_cndmask_b32_e32 v91, v103, v96, vcc_lo
	v_cndmask_b32_e32 v92, v107, v100, vcc_lo
	v_cndmask_b32_e64 v103, v125, v96, s12
	v_cndmask_b32_e64 v87, v87, v104, s18
	;; [unrolled: 1-line block ×3, first 2 shown]
	v_lshrrev_b32_e32 v105, 16, v89
	v_lshrrev_b32_e32 v109, 16, v93
	v_cndmask_b32_e64 v107, v127, v96, s15
	v_cndmask_b32_e64 v95, v95, v96, s16
	;; [unrolled: 1-line block ×14, first 2 shown]
	v_lshrrev_b32_e32 v113, 16, v97
	v_cndmask_b32_e64 v99, v99, v89, s5
	v_cndmask_b32_e64 v104, v111, v93, s5
	;; [unrolled: 1-line block ×11, first 2 shown]
	v_lshrrev_b32_e32 v106, 16, v90
	v_lshrrev_b32_e32 v110, 16, v94
	v_cndmask_b32_e64 v93, v99, v105, s6
	v_cndmask_b32_e64 v99, v104, v109, s6
	;; [unrolled: 1-line block ×9, first 2 shown]
	v_lshrrev_b32_e32 v114, 16, v98
	v_cndmask_b32_e64 v89, v89, v113, s6
	v_cndmask_b32_e64 v93, v93, v90, s7
	;; [unrolled: 1-line block ×19, first 2 shown]
	v_perm_b32 v90, v88, v87, 0x5040100
	v_cndmask_b32_e64 v87, v126, v100, s12
	v_cndmask_b32_e64 v105, v89, v114, s8
	v_perm_b32 v89, v103, v99, 0x5040100
	v_perm_b32 v88, v104, v94, 0x5040100
	v_cndmask_b32_e64 v94, v107, v112, s17
	v_cndmask_b32_e64 v95, v95, v112, s18
	;; [unrolled: 1-line block ×5, first 2 shown]
	v_lshrrev_b32_e32 v117, 16, v101
	v_cndmask_b32_e64 v94, v94, v97, s21
	v_cndmask_b32_e64 v95, v95, v97, s22
	;; [unrolled: 1-line block ×11, first 2 shown]
	v_lshrrev_b32_e32 v118, 16, v102
	v_cndmask_b32_e64 v91, v91, v102, s7
	v_cndmask_b32_e64 v94, v94, v98, s26
	v_cndmask_b32_e64 v95, v95, v98, s27
	v_cndmask_b32_e64 v96, v96, v102, s27
	v_cndmask_b32_e64 v97, v97, v102, s26
	v_cndmask_b32_e64 v87, v87, v102, s25
	v_cndmask_b32_e64 v98, v94, v114, s28
	v_cndmask_b32_e64 v94, v95, v114, s29
	v_cndmask_b32_e64 v95, v96, v118, s29
	v_cndmask_b32_e64 v96, v97, v118, s28
	v_cndmask_b32_e64 v97, v87, v118, s30
	v_cndmask_b32_e64 v91, v91, v118, s8
	v_perm_b32 v87, v93, v92, 0x5040100
	v_perm_b32 v94, v95, v94, 0x5040100
	;; [unrolled: 1-line block ×5, first 2 shown]
	s_mul_i32 s7, s33, 6
	s_mov_b32 s3, exec_lo
	ds_store_b128 v79, v[87:90]
	ds_store_b128 v79, v[91:94] offset:1024
	v_cmpx_gt_u32_e32 6, v0
	s_cbranch_execz .LBB179_16
; %bb.15:
	s_mul_i32 s4, s7, s34
	s_load_b128 s[8:11], s[0:1], 0x58
	v_add3_u32 v77, s4, s31, v77
	s_delay_alu instid0(VALU_DEP_1) | instskip(NEXT) | instid1(VALU_DEP_1)
	v_mad_u64_u32 v[87:88], null, v77, s35, s[14:15]
	v_ashrrev_i32_e32 v88, 31, v87
	s_delay_alu instid0(VALU_DEP_1) | instskip(SKIP_1) | instid1(VALU_DEP_1)
	v_lshlrev_b64 v[87:88], 2, v[87:88]
	s_waitcnt lgkmcnt(0)
	v_add_co_u32 v89, vcc_lo, s10, v87
	s_delay_alu instid0(VALU_DEP_2)
	v_add_co_ci_u32_e32 v90, vcc_lo, s11, v88, vcc_lo
	v_add_co_u32 v87, vcc_lo, s8, v87
	v_add_co_ci_u32_e32 v88, vcc_lo, s9, v88, vcc_lo
	global_store_b32 v[89:90], v85, off
	global_store_b32 v[87:88], v86, off
.LBB179_16:
	s_or_b32 exec_lo, exec_lo, s3
	s_waitcnt lgkmcnt(0)
	s_waitcnt_vscnt null, 0x0
	s_barrier
	buffer_gl0_inv
	ds_load_b128 v[93:96], v78
	ds_load_b128 v[97:100], v78 offset:16
	ds_load_b128 v[105:108], v78 offset:1040
	;; [unrolled: 1-line block ×5, first 2 shown]
	v_cmp_eq_u32_e32 vcc_lo, 1, v84
	v_mov_b32_e32 v85, 0
	ds_load_b128 v[121:124], v78 offset:3088
	ds_load_b128 v[117:120], v78 offset:3072
	;; [unrolled: 1-line block ×4, first 2 shown]
	v_cmp_eq_u32_e64 s3, 1, v80
	v_cmp_eq_u32_e64 s4, 1, v83
	v_cmp_eq_u32_e64 s5, 1, v82
	v_mov_b32_e32 v86, v85
	v_mov_b32_e32 v87, v85
	;; [unrolled: 1-line block ×7, first 2 shown]
	v_cmp_eq_u32_e64 s6, 2, v80
	s_waitcnt lgkmcnt(8)
	s_delay_alu instid0(VALU_DEP_2)
	v_wmma_f32_16x16x16_f16 v[85:92], v[65:72], v[93:100], v[85:92]
	ds_load_b128 v[69:72], v78 offset:5136
	ds_load_b128 v[65:68], v78 offset:5120
	;; [unrolled: 1-line block ×4, first 2 shown]
	s_waitcnt lgkmcnt(10)
	v_wmma_f32_16x16x16_f16 v[85:92], v[57:64], v[101:108], v[85:92]
	s_waitcnt lgkmcnt(8)
	s_delay_alu instid0(VALU_DEP_1)
	v_wmma_f32_16x16x16_f16 v[85:92], v[57:64], v[109:116], v[85:92]
	ds_load_b128 v[61:64], v78 offset:7184
	ds_load_b128 v[57:60], v78 offset:7168
	;; [unrolled: 1-line block ×4, first 2 shown]
	s_waitcnt lgkmcnt(10)
	v_wmma_f32_16x16x16_f16 v[85:92], v[49:56], v[117:124], v[85:92]
	s_waitcnt lgkmcnt(8)
	s_delay_alu instid0(VALU_DEP_1)
	v_wmma_f32_16x16x16_f16 v[85:92], v[49:56], v[125:132], v[85:92]
	ds_load_b128 v[53:56], v78 offset:9232
	ds_load_b128 v[49:52], v78 offset:9216
	s_waitcnt lgkmcnt(8)
	v_wmma_f32_16x16x16_f16 v[85:92], v[41:48], v[65:72], v[85:92]
	ds_load_b128 v[69:72], v78 offset:10256
	ds_load_b128 v[65:68], v78 offset:10240
	s_waitcnt lgkmcnt(8)
	;; [unrolled: 4-line block ×7, first 2 shown]
	s_barrier
	buffer_gl0_inv
	v_wmma_f32_16x16x16_f16 v[85:92], v[33:40], v[41:48], v[85:92]
	s_delay_alu instid0(VALU_DEP_1) | instskip(NEXT) | instid1(VALU_DEP_1)
	v_wmma_f32_16x16x16_f16 v[85:92], v[33:40], v[57:64], v[85:92]
	v_wmma_f32_16x16x16_f16 v[85:92], v[25:32], v[9:16], v[85:92]
	s_delay_alu instid0(VALU_DEP_1) | instskip(NEXT) | instid1(VALU_DEP_1)
	v_wmma_f32_16x16x16_f16 v[85:92], v[25:32], v[49:56], v[85:92]
	v_wmma_f32_16x16x16_f16 v[85:92], v[17:24], v[1:8], v[85:92]
	s_delay_alu instid0(VALU_DEP_1) | instskip(NEXT) | instid1(VALU_DEP_2)
	v_cvt_f16_f32_e32 v1, v85
	v_cvt_f16_f32_e32 v2, v86
	s_delay_alu instid0(VALU_DEP_3) | instskip(NEXT) | instid1(VALU_DEP_4)
	v_cvt_f16_f32_e32 v3, v87
	v_cvt_f16_f32_e32 v4, v88
	v_cvt_f16_f32_e32 v5, v89
	v_cvt_f16_f32_e32 v6, v90
	v_cvt_f16_f32_e32 v7, v91
	v_cvt_f16_f32_e32 v8, v92
	v_pack_b32_f16 v1, v1, v2
	v_pack_b32_f16 v2, v3, v4
	;; [unrolled: 1-line block ×3, first 2 shown]
	s_delay_alu instid0(VALU_DEP_4)
	v_pack_b32_f16 v4, v7, v8
	ds_store_b128 v79, v[1:4]
	s_waitcnt lgkmcnt(0)
	s_barrier
	buffer_gl0_inv
	ds_load_b128 v[1:4], v81
	ds_load_b128 v[5:8], v81 offset:16
	s_waitcnt lgkmcnt(1)
	v_lshrrev_b32_e32 v9, 16, v1
	s_waitcnt lgkmcnt(0)
	v_lshrrev_b32_e32 v13, 16, v5
	v_lshrrev_b32_e32 v15, 16, v7
	;; [unrolled: 1-line block ×4, first 2 shown]
	v_cndmask_b32_e64 v17, v1, v9, s3
	v_cndmask_b32_e64 v18, v5, v13, s3
	;; [unrolled: 1-line block ×3, first 2 shown]
	v_cmp_eq_u32_e64 s3, 2, v82
	v_cndmask_b32_e64 v20, v5, v13, s5
	v_cndmask_b32_e32 v21, v1, v9, vcc_lo
	v_cndmask_b32_e32 v22, v5, v13, vcc_lo
	v_cndmask_b32_e64 v1, v1, v9, s4
	v_cndmask_b32_e64 v5, v5, v13, s4
	v_cmp_eq_u32_e32 vcc_lo, 2, v84
	v_cmp_eq_u32_e64 s4, 2, v83
	v_cndmask_b32_e64 v9, v17, v2, s6
	v_cndmask_b32_e64 v13, v18, v6, s6
	;; [unrolled: 1-line block ×4, first 2 shown]
	v_cndmask_b32_e32 v19, v21, v2, vcc_lo
	v_cmp_eq_u32_e64 s3, 3, v84
	v_cndmask_b32_e32 v20, v22, v6, vcc_lo
	v_cndmask_b32_e64 v1, v1, v2, s4
	v_cmp_eq_u32_e32 vcc_lo, 3, v83
	v_cmp_eq_u32_e64 s5, 3, v80
	v_cndmask_b32_e64 v2, v5, v6, s4
	v_cmp_eq_u32_e64 s4, 3, v82
	v_lshrrev_b32_e32 v16, 16, v8
	v_cmp_eq_u32_e64 s6, 4, v80
	v_cndmask_b32_e64 v5, v9, v10, s5
	v_cndmask_b32_e64 v6, v13, v14, s5
	;; [unrolled: 1-line block ×3, first 2 shown]
	v_cmp_eq_u32_e64 s5, 4, v82
	v_cndmask_b32_e64 v13, v18, v14, s4
	v_cndmask_b32_e64 v17, v19, v10, s3
	;; [unrolled: 1-line block ×3, first 2 shown]
	v_cndmask_b32_e32 v1, v1, v10, vcc_lo
	v_cndmask_b32_e32 v2, v2, v14, vcc_lo
	v_cmp_eq_u32_e32 vcc_lo, 4, v84
	v_cmp_eq_u32_e64 s4, 4, v83
	v_lshrrev_b32_e32 v11, 16, v3
	v_cndmask_b32_e64 v5, v5, v3, s6
	v_cndmask_b32_e64 v6, v6, v7, s6
	;; [unrolled: 1-line block ×4, first 2 shown]
	v_cndmask_b32_e32 v13, v17, v3, vcc_lo
	v_cmp_eq_u32_e64 s3, 5, v84
	v_cndmask_b32_e32 v14, v18, v7, vcc_lo
	v_cndmask_b32_e64 v1, v1, v3, s4
	v_cmp_eq_u32_e32 vcc_lo, 5, v83
	v_cmp_eq_u32_e64 s5, 5, v80
	v_cndmask_b32_e64 v2, v2, v7, s4
	v_cmp_eq_u32_e64 s4, 5, v82
	v_cmp_eq_u32_e64 s6, 6, v80
	v_cndmask_b32_e32 v1, v1, v11, vcc_lo
	v_cndmask_b32_e64 v3, v5, v11, s5
	v_cndmask_b32_e64 v5, v6, v15, s5
	;; [unrolled: 1-line block ×3, first 2 shown]
	v_cmp_eq_u32_e64 s5, 6, v82
	v_cndmask_b32_e64 v7, v10, v15, s4
	v_cndmask_b32_e64 v9, v13, v11, s3
	;; [unrolled: 1-line block ×3, first 2 shown]
	v_cndmask_b32_e32 v2, v2, v15, vcc_lo
	v_cmp_eq_u32_e32 vcc_lo, 6, v84
	v_cmp_eq_u32_e64 s3, 6, v83
	v_lshrrev_b32_e32 v12, 16, v4
	v_cndmask_b32_e64 v3, v3, v4, s6
	v_cndmask_b32_e64 v5, v5, v8, s6
	;; [unrolled: 1-line block ×4, first 2 shown]
	v_cndmask_b32_e32 v9, v9, v4, vcc_lo
	v_cmp_eq_u32_e64 s4, 7, v84
	v_cndmask_b32_e32 v10, v10, v8, vcc_lo
	v_cndmask_b32_e64 v1, v1, v4, s3
	v_cmp_eq_u32_e32 vcc_lo, 7, v83
	v_cndmask_b32_e64 v2, v2, v8, s3
	v_cmp_eq_u32_e64 s3, 7, v80
	v_cmp_eq_u32_e64 s5, 7, v82
	v_cndmask_b32_e32 v1, v1, v12, vcc_lo
	s_delay_alu instid0(VALU_DEP_4) | instskip(NEXT) | instid1(VALU_DEP_4)
	v_cndmask_b32_e32 v2, v2, v16, vcc_lo
	v_cndmask_b32_e64 v8, v3, v12, s3
	s_delay_alu instid0(VALU_DEP_4)
	v_cndmask_b32_e64 v6, v6, v12, s5
	v_cndmask_b32_e64 v3, v9, v12, s4
	;; [unrolled: 1-line block ×5, first 2 shown]
	v_cmp_gt_u32_e32 vcc_lo, 32, v0
	v_perm_b32 v4, v2, v1, 0x5040100
	v_perm_b32 v3, v9, v3, 0x5040100
	;; [unrolled: 1-line block ×4, first 2 shown]
	s_and_b32 s2, vcc_lo, s2
	ds_store_b128 v79, v[1:4]
	s_waitcnt lgkmcnt(0)
	s_barrier
	buffer_gl0_inv
	s_and_saveexec_b32 s3, s2
	s_cbranch_execz .LBB179_2
; %bb.17:
	s_load_b64 s[0:1], s[0:1], 0x68
	s_lshl_b32 s4, s35, 6
	v_or_b32_e32 v3, s31, v75
	s_mul_i32 s2, s4, s34
	v_lshlrev_b32_e32 v0, 10, v0
	s_mul_i32 s2, s2, s7
	v_lshlrev_b32_e32 v1, 4, v76
	s_ashr_i32 s3, s2, 31
	v_mul_lo_u32 v12, v3, s4
	s_lshl_b64 s[2:3], s[2:3], 1
	v_lshlrev_b32_e32 v2, 6, v75
	v_and_b32_e32 v0, 0x3800, v0
	s_delay_alu instid0(VALU_DEP_1) | instskip(NEXT) | instid1(VALU_DEP_4)
	v_or3_b32 v8, v0, v1, v2
	v_ashrrev_i32_e32 v13, 31, v12
	ds_load_b128 v[0:3], v8
	ds_load_b128 v[4:7], v8 offset:128
	ds_load_b128 v[8:11], v8 offset:256
	s_waitcnt lgkmcnt(0)
	s_add_u32 s2, s0, s2
	s_addc_u32 s3, s1, s3
	s_lshl_b32 s0, s14, 6
	s_delay_alu instid0(SALU_CYCLE_1) | instskip(NEXT) | instid1(SALU_CYCLE_1)
	s_ashr_i32 s1, s0, 31
	s_lshl_b64 s[0:1], s[0:1], 1
	s_delay_alu instid0(SALU_CYCLE_1)
	s_add_u32 s0, s2, s0
	s_addc_u32 s1, s3, s1
	s_lshl_b32 s2, s35, 7
	v_add_co_u32 v18, vcc_lo, s0, v73
	v_add_nc_u32_e32 v14, s2, v12
	v_lshlrev_b64 v[12:13], 1, v[12:13]
	v_add_co_ci_u32_e32 v19, vcc_lo, s1, v74, vcc_lo
	s_delay_alu instid0(VALU_DEP_3) | instskip(SKIP_1) | instid1(VALU_DEP_4)
	v_add_nc_u32_e32 v16, s2, v14
	v_ashrrev_i32_e32 v15, 31, v14
	v_add_co_u32 v12, vcc_lo, v18, v12
	s_delay_alu instid0(VALU_DEP_4) | instskip(NEXT) | instid1(VALU_DEP_4)
	v_add_co_ci_u32_e32 v13, vcc_lo, v19, v13, vcc_lo
	v_ashrrev_i32_e32 v17, 31, v16
	s_delay_alu instid0(VALU_DEP_4) | instskip(NEXT) | instid1(VALU_DEP_2)
	v_lshlrev_b64 v[14:15], 1, v[14:15]
	v_lshlrev_b64 v[16:17], 1, v[16:17]
	s_delay_alu instid0(VALU_DEP_2) | instskip(NEXT) | instid1(VALU_DEP_3)
	v_add_co_u32 v14, vcc_lo, v18, v14
	v_add_co_ci_u32_e32 v15, vcc_lo, v19, v15, vcc_lo
	s_delay_alu instid0(VALU_DEP_3) | instskip(NEXT) | instid1(VALU_DEP_4)
	v_add_co_u32 v16, vcc_lo, v18, v16
	v_add_co_ci_u32_e32 v17, vcc_lo, v19, v17, vcc_lo
	s_clause 0x2
	global_store_b128 v[12:13], v[0:3], off
	global_store_b128 v[14:15], v[4:7], off
	;; [unrolled: 1-line block ×3, first 2 shown]
	s_nop 0
	s_sendmsg sendmsg(MSG_DEALLOC_VGPRS)
	s_endpgm
	.section	.rodata,"a",@progbits
	.p2align	6, 0x0
	.amdhsa_kernel _Z39paged_attention_ll4mi_QKV_mfma16_kernelIDF16_DF16_LN4vllm18Fp8KVCacheDataTypeE0EDF16_Li32ELi64ELi256ELb0ELi6EL8MFMAType0EEvPKT_PKT0_S8_ifPKiSA_SA_iPKfiiiPfSD_PS3_PT2_iSC_SC_
		.amdhsa_group_segment_fixed_size 17472
		.amdhsa_private_segment_fixed_size 0
		.amdhsa_kernarg_size 400
		.amdhsa_user_sgpr_count 13
		.amdhsa_user_sgpr_dispatch_ptr 0
		.amdhsa_user_sgpr_queue_ptr 0
		.amdhsa_user_sgpr_kernarg_segment_ptr 1
		.amdhsa_user_sgpr_dispatch_id 0
		.amdhsa_user_sgpr_private_segment_size 0
		.amdhsa_wavefront_size32 1
		.amdhsa_uses_dynamic_stack 0
		.amdhsa_enable_private_segment 0
		.amdhsa_system_sgpr_workgroup_id_x 1
		.amdhsa_system_sgpr_workgroup_id_y 1
		.amdhsa_system_sgpr_workgroup_id_z 1
		.amdhsa_system_sgpr_workgroup_info 0
		.amdhsa_system_vgpr_workitem_id 0
		.amdhsa_next_free_vgpr 154
		.amdhsa_next_free_sgpr 39
		.amdhsa_reserve_vcc 1
		.amdhsa_float_round_mode_32 0
		.amdhsa_float_round_mode_16_64 0
		.amdhsa_float_denorm_mode_32 3
		.amdhsa_float_denorm_mode_16_64 3
		.amdhsa_dx10_clamp 1
		.amdhsa_ieee_mode 1
		.amdhsa_fp16_overflow 0
		.amdhsa_workgroup_processor_mode 1
		.amdhsa_memory_ordered 1
		.amdhsa_forward_progress 0
		.amdhsa_shared_vgpr_count 0
		.amdhsa_exception_fp_ieee_invalid_op 0
		.amdhsa_exception_fp_denorm_src 0
		.amdhsa_exception_fp_ieee_div_zero 0
		.amdhsa_exception_fp_ieee_overflow 0
		.amdhsa_exception_fp_ieee_underflow 0
		.amdhsa_exception_fp_ieee_inexact 0
		.amdhsa_exception_int_div_zero 0
	.end_amdhsa_kernel
	.section	.text._Z39paged_attention_ll4mi_QKV_mfma16_kernelIDF16_DF16_LN4vllm18Fp8KVCacheDataTypeE0EDF16_Li32ELi64ELi256ELb0ELi6EL8MFMAType0EEvPKT_PKT0_S8_ifPKiSA_SA_iPKfiiiPfSD_PS3_PT2_iSC_SC_,"axG",@progbits,_Z39paged_attention_ll4mi_QKV_mfma16_kernelIDF16_DF16_LN4vllm18Fp8KVCacheDataTypeE0EDF16_Li32ELi64ELi256ELb0ELi6EL8MFMAType0EEvPKT_PKT0_S8_ifPKiSA_SA_iPKfiiiPfSD_PS3_PT2_iSC_SC_,comdat
.Lfunc_end179:
	.size	_Z39paged_attention_ll4mi_QKV_mfma16_kernelIDF16_DF16_LN4vllm18Fp8KVCacheDataTypeE0EDF16_Li32ELi64ELi256ELb0ELi6EL8MFMAType0EEvPKT_PKT0_S8_ifPKiSA_SA_iPKfiiiPfSD_PS3_PT2_iSC_SC_, .Lfunc_end179-_Z39paged_attention_ll4mi_QKV_mfma16_kernelIDF16_DF16_LN4vllm18Fp8KVCacheDataTypeE0EDF16_Li32ELi64ELi256ELb0ELi6EL8MFMAType0EEvPKT_PKT0_S8_ifPKiSA_SA_iPKfiiiPfSD_PS3_PT2_iSC_SC_
                                        ; -- End function
	.section	.AMDGPU.csdata,"",@progbits
; Kernel info:
; codeLenInByte = 7188
; NumSgprs: 41
; NumVgprs: 154
; ScratchSize: 0
; MemoryBound: 0
; FloatMode: 240
; IeeeMode: 1
; LDSByteSize: 17472 bytes/workgroup (compile time only)
; SGPRBlocks: 5
; VGPRBlocks: 19
; NumSGPRsForWavesPerEU: 41
; NumVGPRsForWavesPerEU: 154
; Occupancy: 9
; WaveLimiterHint : 1
; COMPUTE_PGM_RSRC2:SCRATCH_EN: 0
; COMPUTE_PGM_RSRC2:USER_SGPR: 13
; COMPUTE_PGM_RSRC2:TRAP_HANDLER: 0
; COMPUTE_PGM_RSRC2:TGID_X_EN: 1
; COMPUTE_PGM_RSRC2:TGID_Y_EN: 1
; COMPUTE_PGM_RSRC2:TGID_Z_EN: 1
; COMPUTE_PGM_RSRC2:TIDIG_COMP_CNT: 0
	.section	.text._Z39paged_attention_ll4mi_QKV_mfma16_kernelIDF16_DF16_LN4vllm18Fp8KVCacheDataTypeE0EDF16_Li32ELi64ELi256ELb0ELi7EL8MFMAType0EEvPKT_PKT0_S8_ifPKiSA_SA_iPKfiiiPfSD_PS3_PT2_iSC_SC_,"axG",@progbits,_Z39paged_attention_ll4mi_QKV_mfma16_kernelIDF16_DF16_LN4vllm18Fp8KVCacheDataTypeE0EDF16_Li32ELi64ELi256ELb0ELi7EL8MFMAType0EEvPKT_PKT0_S8_ifPKiSA_SA_iPKfiiiPfSD_PS3_PT2_iSC_SC_,comdat
	.protected	_Z39paged_attention_ll4mi_QKV_mfma16_kernelIDF16_DF16_LN4vllm18Fp8KVCacheDataTypeE0EDF16_Li32ELi64ELi256ELb0ELi7EL8MFMAType0EEvPKT_PKT0_S8_ifPKiSA_SA_iPKfiiiPfSD_PS3_PT2_iSC_SC_ ; -- Begin function _Z39paged_attention_ll4mi_QKV_mfma16_kernelIDF16_DF16_LN4vllm18Fp8KVCacheDataTypeE0EDF16_Li32ELi64ELi256ELb0ELi7EL8MFMAType0EEvPKT_PKT0_S8_ifPKiSA_SA_iPKfiiiPfSD_PS3_PT2_iSC_SC_
	.globl	_Z39paged_attention_ll4mi_QKV_mfma16_kernelIDF16_DF16_LN4vllm18Fp8KVCacheDataTypeE0EDF16_Li32ELi64ELi256ELb0ELi7EL8MFMAType0EEvPKT_PKT0_S8_ifPKiSA_SA_iPKfiiiPfSD_PS3_PT2_iSC_SC_
	.p2align	8
	.type	_Z39paged_attention_ll4mi_QKV_mfma16_kernelIDF16_DF16_LN4vllm18Fp8KVCacheDataTypeE0EDF16_Li32ELi64ELi256ELb0ELi7EL8MFMAType0EEvPKT_PKT0_S8_ifPKiSA_SA_iPKfiiiPfSD_PS3_PT2_iSC_SC_,@function
_Z39paged_attention_ll4mi_QKV_mfma16_kernelIDF16_DF16_LN4vllm18Fp8KVCacheDataTypeE0EDF16_Li32ELi64ELi256ELb0ELi7EL8MFMAType0EEvPKT_PKT0_S8_ifPKiSA_SA_iPKfiiiPfSD_PS3_PT2_iSC_SC_: ; @_Z39paged_attention_ll4mi_QKV_mfma16_kernelIDF16_DF16_LN4vllm18Fp8KVCacheDataTypeE0EDF16_Li32ELi64ELi256ELb0ELi7EL8MFMAType0EEvPKT_PKT0_S8_ifPKiSA_SA_iPKfiiiPfSD_PS3_PT2_iSC_SC_
; %bb.0:
	s_load_b64 s[2:3], s[0:1], 0x30
	s_mov_b32 s34, s13
	s_waitcnt lgkmcnt(0)
	s_cmp_lg_u64 s[2:3], 0
	s_cselect_b32 s6, -1, 0
	s_ashr_i32 s35, s13, 31
	s_cmp_eq_u64 s[2:3], 0
	s_cbranch_scc1 .LBB180_3
; %bb.1:
	s_lshl_b64 s[4:5], s[34:35], 2
	s_delay_alu instid0(SALU_CYCLE_1) | instskip(SKIP_4) | instid1(SALU_CYCLE_1)
	s_add_u32 s4, s2, s4
	s_addc_u32 s5, s3, s5
	s_load_b64 s[4:5], s[4:5], 0x0
	s_waitcnt lgkmcnt(0)
	s_sub_i32 s4, s5, s4
	s_cmp_eq_u32 s4, 1
	s_cselect_b32 s4, -1, 0
	s_delay_alu instid0(SALU_CYCLE_1)
	s_and_not1_b32 vcc_lo, exec_lo, s4
	s_cbranch_vccz .LBB180_4
.LBB180_2:
	s_nop 0
	s_sendmsg sendmsg(MSG_DEALLOC_VGPRS)
	s_endpgm
.LBB180_3:
.LBB180_4:
	s_load_b64 s[8:9], s[0:1], 0x28
	s_lshl_b64 s[4:5], s[34:35], 2
	s_waitcnt lgkmcnt(0)
	s_add_u32 s8, s8, s4
	s_addc_u32 s9, s9, s5
	s_lshl_b32 s16, s14, 8
	s_load_b32 s18, s[8:9], 0x0
	s_waitcnt lgkmcnt(0)
	s_cmp_ge_i32 s16, s18
	s_cbranch_scc1 .LBB180_2
; %bb.5:
	s_and_not1_b32 vcc_lo, exec_lo, s6
	s_cbranch_vccnz .LBB180_7
; %bb.6:
	s_add_u32 s2, s2, s4
	s_addc_u32 s3, s3, s5
	s_load_b32 s17, s[2:3], 0x0
	s_branch .LBB180_8
.LBB180_7:
	s_mov_b32 s17, s34
.LBB180_8:
	s_clause 0x2
	s_load_b128 s[8:11], s[0:1], 0x8
	s_load_b64 s[12:13], s[0:1], 0x20
	s_load_b128 s[4:7], s[0:1], 0x48
	v_lshrrev_b32_e32 v78, 5, v0
	v_bfe_u32 v75, v0, 4, 1
	v_and_b32_e32 v77, 15, v0
	s_delay_alu instid0(VALU_DEP_2) | instskip(NEXT) | instid1(VALU_DEP_2)
	v_lshl_or_b32 v3, v78, 1, v75
	v_cmp_lt_u32_e64 s3, 7, v77
	v_lshlrev_b32_e32 v1, 3, v77
	v_cmp_gt_u32_e64 s2, 8, v77
	s_delay_alu instid0(VALU_DEP_4) | instskip(NEXT) | instid1(VALU_DEP_4)
	v_cmp_lt_u32_e32 vcc_lo, 6, v3
	s_or_b32 s3, s3, vcc_lo
	s_waitcnt lgkmcnt(0)
	s_and_saveexec_b32 s7, s3
	s_delay_alu instid0(SALU_CYCLE_1)
	s_xor_b32 s3, exec_lo, s7
; %bb.9:
	v_mov_b32_e32 v2, 0
                                        ; implicit-def: $vgpr3
; %bb.10:
	s_or_saveexec_b32 s3, s3
	v_and_b32_e32 v80, 31, v0
	v_and_b32_e32 v76, 1, v0
	s_mul_i32 s33, s15, 7
	s_xor_b32 exec_lo, exec_lo, s3
	s_cbranch_execz .LBB180_12
; %bb.11:
	s_load_b64 s[20:21], s[0:1], 0x0
	v_add_lshl_u32 v4, v3, s33, 6
	s_mul_hi_i32 s23, s17, s4
	s_mul_i32 s22, s17, s4
	v_lshlrev_b32_e32 v2, 1, v1
	s_lshl_b64 s[22:23], s[22:23], 1
	v_ashrrev_i32_e32 v5, 31, v4
	v_lshlrev_b32_e32 v3, 6, v3
	v_lshlrev_b32_e32 v8, 10, v76
	s_delay_alu instid0(VALU_DEP_3) | instskip(SKIP_3) | instid1(VALU_DEP_1)
	v_lshlrev_b64 v[4:5], 1, v[4:5]
	s_waitcnt lgkmcnt(0)
	s_add_u32 s4, s20, s22
	s_addc_u32 s7, s21, s23
	v_add_co_u32 v4, vcc_lo, s4, v4
	s_delay_alu instid0(VALU_DEP_2) | instskip(NEXT) | instid1(VALU_DEP_2)
	v_add_co_ci_u32_e32 v5, vcc_lo, s7, v5, vcc_lo
	v_add_co_u32 v4, vcc_lo, v4, v2
	s_delay_alu instid0(VALU_DEP_2) | instskip(SKIP_3) | instid1(VALU_DEP_1)
	v_add_co_ci_u32_e32 v5, vcc_lo, 0, v5, vcc_lo
	v_lshlrev_b32_e32 v2, 10, v77
	global_load_b128 v[4:7], v[4:5], off
	v_and_b32_e32 v2, 0x3800, v2
	v_or3_b32 v3, v2, v8, v3
	v_mov_b32_e32 v2, 0
	s_waitcnt vmcnt(0)
	ds_store_b128 v3, v[4:7]
.LBB180_12:
	s_or_b32 exec_lo, exec_lo, s3
	v_and_b32_e32 v3, 0xef, v0
	s_add_i32 s3, s18, 31
	s_clause 0x1
	s_load_b32 s4, s[0:1], 0x38
	s_load_b32 s35, s[0:1], 0x98
	s_ashr_i32 s7, s3, 31
	v_add_nc_u32_e32 v3, s16, v3
	s_lshr_b32 s7, s7, 27
	s_load_b32 s19, s[0:1], 0x1c
	s_add_i32 s3, s3, s7
	s_waitcnt lgkmcnt(0)
	v_ashrrev_i32_e32 v4, 31, v3
	v_cmp_gt_i32_e32 vcc_lo, s18, v3
	s_ashr_i32 s3, s3, 5
	s_barrier
	s_add_i32 s3, s3, -1
	v_lshrrev_b32_e32 v5, 27, v4
	v_or_b32_e32 v4, 16, v3
	buffer_gl0_inv
	s_mul_i32 s6, s15, s6
	v_lshlrev_b64 v[73:74], 1, v[1:2]
	v_add_nc_u32_e32 v6, v3, v5
	v_add_nc_u32_e32 v5, v4, v5
	s_mul_i32 s20, s34, s4
	s_delay_alu instid0(SALU_CYCLE_1) | instskip(NEXT) | instid1(VALU_DEP_2)
	s_ashr_i32 s21, s20, 31
	v_ashrrev_i32_e32 v6, 5, v6
	s_delay_alu instid0(VALU_DEP_2) | instskip(SKIP_1) | instid1(SALU_CYCLE_1)
	v_ashrrev_i32_e32 v5, 5, v5
	s_lshl_b64 s[20:21], s[20:21], 2
	s_add_u32 s4, s12, s20
	s_delay_alu instid0(VALU_DEP_2) | instskip(SKIP_3) | instid1(SALU_CYCLE_1)
	v_cndmask_b32_e32 v3, s3, v6, vcc_lo
	v_cmp_gt_i32_e32 vcc_lo, s18, v4
	s_addc_u32 s17, s13, s21
	s_ashr_i32 s7, s6, 31
	s_lshl_b64 s[6:7], s[6:7], 1
	v_cndmask_b32_e32 v5, s3, v5, vcc_lo
	v_ashrrev_i32_e32 v4, 31, v3
	s_add_u32 s15, s8, s6
	s_addc_u32 s28, s9, s7
	s_lshl_b32 s8, s14, 3
	v_ashrrev_i32_e32 v6, 31, v5
	v_lshlrev_b64 v[3:4], 2, v[3:4]
	s_ashr_i32 s9, s8, 31
	s_delay_alu instid0(SALU_CYCLE_1) | instskip(NEXT) | instid1(VALU_DEP_2)
	s_lshl_b64 s[8:9], s[8:9], 2
	v_lshlrev_b64 v[5:6], 2, v[5:6]
	s_add_u32 s8, s4, s8
	s_delay_alu instid0(VALU_DEP_2) | instskip(SKIP_1) | instid1(VALU_DEP_3)
	v_add_co_u32 v3, vcc_lo, s4, v3
	v_add_co_ci_u32_e32 v4, vcc_lo, s17, v4, vcc_lo
	v_add_co_u32 v5, vcc_lo, s4, v5
	s_delay_alu instid0(VALU_DEP_4)
	v_add_co_ci_u32_e32 v6, vcc_lo, s17, v6, vcc_lo
	s_addc_u32 s9, s17, s9
	s_clause 0x1
	global_load_b32 v7, v[3:4], off
	global_load_b32 v8, v[5:6], off
	s_or_b32 s12, s16, 32
	s_delay_alu instid0(SALU_CYCLE_1) | instskip(SKIP_2) | instid1(SALU_CYCLE_1)
	s_ashr_i32 s13, s12, 5
	s_cmp_lt_i32 s12, s18
	s_cselect_b32 s12, s13, s3
	s_ashr_i32 s13, s12, 31
	s_delay_alu instid0(SALU_CYCLE_1) | instskip(NEXT) | instid1(SALU_CYCLE_1)
	s_lshl_b64 s[12:13], s[12:13], 2
	s_add_u32 s12, s4, s12
	s_addc_u32 s13, s17, s13
	s_or_b32 s20, s16, 64
	s_delay_alu instid0(SALU_CYCLE_1) | instskip(SKIP_2) | instid1(SALU_CYCLE_1)
	s_ashr_i32 s21, s20, 5
	s_cmp_lt_i32 s20, s18
	s_cselect_b32 s20, s21, s3
	s_ashr_i32 s21, s20, 31
	s_delay_alu instid0(SALU_CYCLE_1) | instskip(NEXT) | instid1(SALU_CYCLE_1)
	s_lshl_b64 s[20:21], s[20:21], 2
	s_add_u32 s20, s4, s20
	s_addc_u32 s21, s17, s21
	;; [unrolled: 10-line block ×5, first 2 shown]
	s_clause 0x5
	s_load_b32 s29, s[8:9], 0x0
	s_load_b32 s30, s[12:13], 0x0
	;; [unrolled: 1-line block ×6, first 2 shown]
	s_or_b32 s8, s16, 0xc0
	s_mov_b32 s20, 0
	s_ashr_i32 s9, s8, 5
	s_cmp_lt_i32 s8, s18
	s_mov_b32 s27, s20
	s_cselect_b32 s8, s9, s3
	s_mov_b32 s21, s20
	s_ashr_i32 s9, s8, 31
	s_mov_b32 s22, s20
	s_lshl_b64 s[8:9], s[8:9], 2
	s_mov_b32 s23, s20
	s_add_u32 s8, s4, s8
	s_mov_b32 s24, s20
	s_mov_b32 s25, s20
	;; [unrolled: 1-line block ×3, first 2 shown]
	s_addc_u32 s9, s17, s9
	v_dual_mov_b32 v128, s27 :: v_dual_lshlrev_b32 v79, 6, v77
	v_dual_mov_b32 v122, s21 :: v_dual_mov_b32 v127, s26
	v_dual_mov_b32 v126, s25 :: v_dual_mov_b32 v125, s24
	;; [unrolled: 1-line block ×3, first 2 shown]
	v_mov_b32_e32 v121, s20
	s_waitcnt lgkmcnt(0)
	s_mul_hi_i32 s13, s29, s5
	s_mul_i32 s12, s29, s5
	v_lshl_or_b32 v33, v78, 10, v79
	s_mul_hi_i32 s21, s30, s5
	s_mul_i32 s20, s30, s5
	s_mul_hi_i32 s25, s31, s5
	s_mul_i32 s24, s31, s5
	;; [unrolled: 2-line block ×4, first 2 shown]
	s_waitcnt vmcnt(1)
	v_mad_i64_i32 v[3:4], null, v7, s5, 0
	s_waitcnt vmcnt(0)
	v_mad_i64_i32 v[5:6], null, v8, s5, 0
	s_delay_alu instid0(VALU_DEP_2) | instskip(NEXT) | instid1(VALU_DEP_2)
	v_lshlrev_b64 v[3:4], 1, v[3:4]
	v_lshlrev_b64 v[1:2], 1, v[5:6]
	s_delay_alu instid0(VALU_DEP_2) | instskip(NEXT) | instid1(VALU_DEP_3)
	v_add_co_u32 v3, vcc_lo, s15, v3
	v_add_co_ci_u32_e32 v4, vcc_lo, s28, v4, vcc_lo
	s_delay_alu instid0(VALU_DEP_3) | instskip(NEXT) | instid1(VALU_DEP_4)
	v_add_co_u32 v1, vcc_lo, s15, v1
	v_add_co_ci_u32_e32 v2, vcc_lo, s28, v2, vcc_lo
	s_delay_alu instid0(VALU_DEP_4) | instskip(NEXT) | instid1(VALU_DEP_4)
	v_add_co_u32 v25, vcc_lo, v3, v73
	v_add_co_ci_u32_e32 v26, vcc_lo, v4, v74, vcc_lo
	s_delay_alu instid0(VALU_DEP_4) | instskip(NEXT) | instid1(VALU_DEP_4)
	v_add_co_u32 v27, vcc_lo, v1, v73
	v_add_co_ci_u32_e32 v28, vcc_lo, v2, v74, vcc_lo
	s_clause 0xf
	global_load_b128 v[1:4], v[25:26], off
	global_load_b128 v[5:8], v[25:26], off offset:512
	global_load_b128 v[9:12], v[27:28], off offset:256
	;; [unrolled: 1-line block ×15, first 2 shown]
	v_mul_lo_u16 v25, v77, 37
	s_or_b32 s15, s16, 0xe0
	s_delay_alu instid0(SALU_CYCLE_1) | instskip(SKIP_1) | instid1(VALU_DEP_1)
	s_ashr_i32 s22, s15, 5
	s_cmp_lt_i32 s15, s18
	v_lshrrev_b16 v25, 8, v25
	s_cselect_b32 s22, s22, s3
	s_delay_alu instid0(SALU_CYCLE_1) | instskip(NEXT) | instid1(VALU_DEP_1)
	s_ashr_i32 s23, s22, 31
	v_mul_lo_u16 v25, v25, 7
	s_lshl_b64 s[22:23], s[22:23], 2
	s_delay_alu instid0(SALU_CYCLE_1) | instskip(SKIP_1) | instid1(VALU_DEP_1)
	s_add_u32 s22, s4, s22
	s_addc_u32 s23, s17, s23
	v_sub_nc_u16 v25, v77, v25
	s_add_i32 s15, s16, 0x100
	s_delay_alu instid0(SALU_CYCLE_1) | instskip(SKIP_1) | instid1(VALU_DEP_1)
	s_ashr_i32 s28, s15, 5
	s_cmp_lt_i32 s15, s18
	v_and_b32_e32 v25, 0xff, v25
	s_cselect_b32 s28, s28, s3
	s_delay_alu instid0(SALU_CYCLE_1) | instskip(NEXT) | instid1(VALU_DEP_1)
	s_ashr_i32 s29, s28, 31
	v_lshlrev_b32_e32 v151, 6, v25
	s_lshl_b64 s[28:29], s[28:29], 2
	ds_load_b128 v[25:28], v151
	ds_load_b128 v[29:32], v151 offset:1024
	s_add_u32 s28, s4, s28
	s_addc_u32 s29, s17, s29
	s_add_u32 s3, s10, s6
	ds_load_b128 v[129:132], v151 offset:2048
	ds_load_b128 v[133:136], v151 offset:3072
	s_clause 0x2
	s_load_b32 s15, s[8:9], 0x0
	s_load_b32 s4, s[22:23], 0x0
	;; [unrolled: 1-line block ×3, first 2 shown]
	s_addc_u32 s28, s11, s7
	v_add_co_u32 v152, s3, s3, v33
	s_delay_alu instid0(VALU_DEP_1) | instskip(SKIP_2) | instid1(VALU_DEP_2)
	v_add_co_ci_u32_e64 v153, null, s28, 0, s3
	s_lshl_b64 s[6:7], s[12:13], 1
	s_lshl_b64 s[10:11], s[20:21], 1
	v_add_co_u32 v33, vcc_lo, v152, s6
	s_delay_alu instid0(VALU_DEP_2)
	v_add_co_ci_u32_e32 v34, vcc_lo, s7, v153, vcc_lo
	v_add_co_u32 v35, vcc_lo, v152, s10
	s_lshl_b64 s[12:13], s[24:25], 1
	v_add_co_ci_u32_e32 v36, vcc_lo, s11, v153, vcc_lo
	v_add_co_u32 v37, vcc_lo, v152, s12
	s_lshl_b64 s[20:21], s[26:27], 1
	s_mul_hi_i32 s9, s37, s5
	s_mul_i32 s8, s37, s5
	v_add_co_ci_u32_e32 v38, vcc_lo, s13, v153, vcc_lo
	v_add_co_u32 v39, vcc_lo, v152, s20
	s_lshl_b64 s[8:9], s[8:9], 1
	v_add_co_ci_u32_e32 v40, vcc_lo, s21, v153, vcc_lo
	v_add_co_u32 v145, vcc_lo, v152, s8
	s_lshl_b64 s[22:23], s[30:31], 1
	s_waitcnt lgkmcnt(0)
	s_mul_hi_i32 s25, s15, s5
	s_mul_i32 s24, s15, s5
	v_add_co_ci_u32_e32 v146, vcc_lo, s9, v153, vcc_lo
	v_add_co_u32 v147, vcc_lo, v152, s22
	s_lshl_b64 s[24:25], s[24:25], 1
	v_add_co_ci_u32_e32 v148, vcc_lo, s23, v153, vcc_lo
	s_mul_hi_i32 s7, s4, s5
	s_mul_i32 s6, s4, s5
	v_add_co_u32 v149, vcc_lo, v152, s24
	s_lshl_b64 s[6:7], s[6:7], 1
	v_add_co_ci_u32_e32 v150, vcc_lo, s25, v153, vcc_lo
	s_clause 0x7
	global_load_b128 v[65:68], v[33:34], off
	global_load_b128 v[69:72], v[33:34], off offset:16
	global_load_b128 v[57:60], v[35:36], off
	global_load_b128 v[61:64], v[35:36], off offset:16
	global_load_b128 v[49:52], v[37:38], off
	global_load_b128 v[53:56], v[37:38], off offset:16
	global_load_b128 v[41:44], v[39:40], off
	global_load_b128 v[45:48], v[39:40], off offset:16
	s_waitcnt vmcnt(22)
	v_wmma_f32_16x16x16_f16 v[137:144], v[1:8], v[25:32], v[121:128]
	s_waitcnt vmcnt(20)
	v_wmma_f32_16x16x16_f16 v[121:128], v[9:16], v[25:32], v[121:128]
	v_add_co_u32 v29, vcc_lo, v152, s6
	v_add_co_ci_u32_e32 v30, vcc_lo, s7, v153, vcc_lo
	s_mul_hi_i32 s7, s17, s5
	s_mul_i32 s6, s17, s5
	s_waitcnt vmcnt(18)
	v_wmma_f32_16x16x16_f16 v[137:144], v[17:24], v[129:136], v[137:144]
	s_lshl_b64 s[4:5], s[6:7], 1
	s_clause 0x1
	global_load_b128 v[9:12], v[145:146], off
	global_load_b128 v[13:16], v[145:146], off offset:16
	v_add_co_u32 v21, vcc_lo, v152, s4
	v_add_co_ci_u32_e32 v22, vcc_lo, s5, v153, vcc_lo
	s_clause 0x7
	global_load_b128 v[1:4], v[147:148], off
	global_load_b128 v[5:8], v[147:148], off offset:16
	global_load_b128 v[33:36], v[149:150], off
	global_load_b128 v[37:40], v[149:150], off offset:16
	;; [unrolled: 2-line block ×4, first 2 shown]
	s_waitcnt vmcnt(26)
	v_wmma_f32_16x16x16_f16 v[121:128], v[81:88], v[129:136], v[121:128]
	ds_load_b128 v[81:84], v151 offset:4096
	ds_load_b128 v[85:88], v151 offset:5120
	v_mbcnt_lo_u32_b32 v130, -1, 0
	s_delay_alu instid0(VALU_DEP_1) | instskip(NEXT) | instid1(VALU_DEP_1)
	v_xor_b32_e32 v131, 16, v130
	v_cmp_gt_i32_e32 vcc_lo, 32, v131
	v_cndmask_b32_e32 v130, v130, v131, vcc_lo
	s_waitcnt vmcnt(24) lgkmcnt(0)
	v_wmma_f32_16x16x16_f16 v[137:144], v[89:96], v[81:88], v[137:144]
	ds_load_b128 v[89:92], v151 offset:6144
	ds_load_b128 v[93:96], v151 offset:7168
	s_waitcnt vmcnt(22)
	v_wmma_f32_16x16x16_f16 v[121:128], v[97:104], v[81:88], v[121:128]
	s_waitcnt vmcnt(0) lgkmcnt(0)
	s_barrier
	buffer_gl0_inv
	v_wmma_f32_16x16x16_f16 v[137:144], v[105:112], v[89:96], v[137:144]
	v_and_b32_e32 v129, 0xe0, v0
	v_wmma_f32_16x16x16_f16 v[121:128], v[113:120], v[89:96], v[121:128]
	s_delay_alu instid0(VALU_DEP_3) | instskip(NEXT) | instid1(VALU_DEP_2)
	v_mul_f32_e32 v96, s19, v137
	v_dual_mul_f32 v104, s19, v126 :: v_dual_add_nc_u32 v129, s16, v129
	v_mul_f32_e32 v95, s19, v138
	v_dual_mul_f32 v93, s19, v140 :: v_dual_mul_f32 v94, s19, v139
	s_delay_alu instid0(VALU_DEP_3) | instskip(SKIP_3) | instid1(VALU_DEP_4)
	v_or_b32_e32 v129, v129, v75
	v_dual_mul_f32 v91, s19, v142 :: v_dual_mul_f32 v106, s19, v124
	v_dual_mul_f32 v92, s19, v141 :: v_dual_mul_f32 v89, s19, v144
	v_mul_f32_e32 v108, s19, v122
	v_or_b32_e32 v131, 2, v129
	v_or_b32_e32 v132, 4, v129
	;; [unrolled: 1-line block ×3, first 2 shown]
	v_cmp_gt_i32_e32 vcc_lo, s18, v129
	v_or_b32_e32 v82, 8, v129
	v_cmp_gt_i32_e64 s3, s18, v131
	v_or_b32_e32 v83, 10, v129
	v_cmp_gt_i32_e64 s4, s18, v132
	v_cndmask_b32_e32 v96, 0xff7fffff, v96, vcc_lo
	v_cmp_gt_i32_e64 s5, s18, v81
	v_cndmask_b32_e64 v95, 0xff7fffff, v95, s3
	v_or_b32_e32 v84, 12, v129
	v_or_b32_e32 v85, 14, v129
	v_cndmask_b32_e64 v94, 0xff7fffff, v94, s4
	v_cndmask_b32_e64 v81, 0xff7fffff, v93, s5
	v_max3_f32 v93, v96, 0xff7fffff, v95
	v_cmp_gt_i32_e64 s6, s18, v82
	v_cmp_gt_i32_e64 s7, s18, v83
	v_or_b32_e32 v86, 16, v129
	v_or_b32_e32 v87, 18, v129
	v_mul_f32_e32 v90, s19, v143
	v_cndmask_b32_e64 v82, 0xff7fffff, v92, s6
	v_cndmask_b32_e64 v83, 0xff7fffff, v91, s7
	v_max3_f32 v81, v93, v94, v81
	v_cmp_gt_i32_e64 s8, s18, v84
	v_cmp_gt_i32_e64 s9, s18, v85
	v_or_b32_e32 v88, 20, v129
	v_or_b32_e32 v97, 22, v129
	v_mul_f32_e32 v109, s19, v121
	;; [unrolled: 8-line block ×4, first 2 shown]
	v_cndmask_b32_e64 v84, 0xff7fffff, v107, s12
	v_cndmask_b32_e64 v85, 0xff7fffff, v106, s13
	v_max3_f32 v81, v81, v82, v83
	v_cmp_gt_i32_e64 s15, s18, v98
	v_cmp_gt_i32_e64 s16, s18, v99
	v_dual_mul_f32 v102, s19, v128 :: v_dual_mul_f32 v103, s19, v127
	s_delay_alu instid0(VALU_DEP_4) | instskip(NEXT) | instid1(VALU_DEP_4)
	v_max3_f32 v81, v81, v84, v85
	v_cndmask_b32_e64 v82, 0xff7fffff, v105, s15
	s_delay_alu instid0(VALU_DEP_4) | instskip(SKIP_2) | instid1(VALU_DEP_3)
	v_cndmask_b32_e64 v83, 0xff7fffff, v104, s16
	v_cmp_gt_i32_e64 s17, s18, v100
	v_cmp_gt_i32_e64 s18, s18, v101
	v_max3_f32 v81, v81, v82, v83
	s_delay_alu instid0(VALU_DEP_3) | instskip(NEXT) | instid1(VALU_DEP_3)
	v_cndmask_b32_e64 v84, 0xff7fffff, v103, s17
	v_cndmask_b32_e64 v85, 0xff7fffff, v102, s18
	v_lshlrev_b32_e32 v83, 2, v130
	s_delay_alu instid0(VALU_DEP_2) | instskip(SKIP_3) | instid1(VALU_DEP_1)
	v_max3_f32 v81, v81, v84, v85
	ds_bpermute_b32 v82, v83, v81
	s_waitcnt lgkmcnt(0)
	v_max_f32_e32 v82, v82, v82
	v_max_f32_e32 v81, v81, v82
	s_delay_alu instid0(VALU_DEP_1)
	v_fma_f32 v82, s19, v137, -v81
	v_fma_f32 v84, s19, v138, -v81
	v_fma_f32 v87, s19, v141, -v81
	v_fma_f32 v85, s19, v139, -v81
	v_fma_f32 v86, s19, v140, -v81
	v_mul_f32_e32 v82, 0x3fb8aa3b, v82
	s_delay_alu instid0(VALU_DEP_4) | instskip(NEXT) | instid1(VALU_DEP_3)
	v_dual_mul_f32 v84, 0x3fb8aa3b, v84 :: v_dual_mul_f32 v89, 0x3fb8aa3b, v87
	v_mul_f32_e32 v86, 0x3fb8aa3b, v86
	s_delay_alu instid0(VALU_DEP_3) | instskip(NEXT) | instid1(VALU_DEP_2)
	v_exp_f32_e32 v82, v82
	v_exp_f32_e32 v84, v84
	s_delay_alu instid0(VALU_DEP_2) | instskip(NEXT) | instid1(VALU_DEP_1)
	v_exp_f32_e32 v92, v89
	v_exp_f32_e32 v86, v86
	v_cndmask_b32_e32 v88, 0, v82, vcc_lo
	s_delay_alu instid0(TRANS32_DEP_3)
	v_cndmask_b32_e64 v87, 0, v84, s3
	s_waitcnt_depctr 0xfff
	v_cndmask_b32_e64 v92, 0, v92, s6
	v_cmp_gt_u32_e64 s3, 16, v80
	v_cndmask_b32_e64 v89, 0, v86, s5
	v_add_f32_e32 v84, 0, v88
	s_delay_alu instid0(VALU_DEP_1) | instskip(NEXT) | instid1(VALU_DEP_1)
	v_dual_add_f32 v84, v84, v87 :: v_dual_mul_f32 v85, 0x3fb8aa3b, v85
	v_exp_f32_e32 v85, v85
	s_waitcnt_depctr 0xfff
	v_cndmask_b32_e64 v90, 0, v85, s4
	s_delay_alu instid0(VALU_DEP_1) | instskip(NEXT) | instid1(VALU_DEP_1)
	v_add_f32_e32 v84, v84, v90
	v_add_f32_e32 v84, v84, v89
	v_fma_f32 v82, s19, v142, -v81
	v_fma_f32 v91, s19, v143, -v81
	;; [unrolled: 1-line block ×5, first 2 shown]
	s_delay_alu instid0(VALU_DEP_4) | instskip(SKIP_1) | instid1(VALU_DEP_4)
	v_dual_mul_f32 v82, 0x3fb8aa3b, v82 :: v_dual_mul_f32 v91, 0x3fb8aa3b, v91
	v_fma_f32 v96, s19, v124, -v81
	v_mul_f32_e32 v86, 0x3fb8aa3b, v86
	v_fma_f32 v99, s19, v127, -v81
	s_delay_alu instid0(VALU_DEP_4) | instskip(SKIP_3) | instid1(VALU_DEP_1)
	v_exp_f32_e32 v82, v82
	v_exp_f32_e32 v93, v91
	v_mul_f32_e32 v97, 0x3fb8aa3b, v96
	v_exp_f32_e32 v86, v86
	v_exp_f32_e32 v97, v97
	v_cndmask_b32_e64 v91, 0, v82, s7
	v_dual_add_f32 v82, v84, v92 :: v_dual_mul_f32 v85, 0x3fb8aa3b, v85
	v_fma_f32 v84, s19, v123, -v81
	v_mul_f32_e32 v95, 0x3fb8aa3b, v94
	s_delay_alu instid0(TRANS32_DEP_3) | instskip(NEXT) | instid1(VALU_DEP_4)
	v_cndmask_b32_e64 v94, 0, v93, s8
	v_add_f32_e32 v82, v82, v91
	v_exp_f32_e32 v85, v85
	v_mul_f32_e32 v84, 0x3fb8aa3b, v84
	v_cndmask_b32_e64 v96, 0, v86, s10
	v_exp_f32_e32 v95, v95
	v_add_f32_e32 v82, v82, v94
	v_fma_f32 v86, s19, v126, -v81
	v_exp_f32_e32 v84, v84
	v_cndmask_b32_e64 v97, 0, v97, s13
	s_delay_alu instid0(TRANS32_DEP_3) | instskip(SKIP_2) | instid1(TRANS32_DEP_2)
	v_cndmask_b32_e64 v93, 0, v85, s9
	v_fma_f32 v85, s19, v125, -v81
	v_mul_f32_e32 v86, 0x3fb8aa3b, v86
	v_cndmask_b32_e64 v95, 0, v95, s11
	s_waitcnt_depctr 0xfff
	v_cndmask_b32_e64 v98, 0, v84, s12
	v_mul_f32_e32 v84, 0x3fb8aa3b, v99
	v_fma_f32 v99, s19, v128, -v81
	v_add_f32_e32 v82, v82, v93
	v_mul_f32_e32 v85, 0x3fb8aa3b, v85
	v_exp_f32_e32 v86, v86
	v_exp_f32_e32 v84, v84
	s_delay_alu instid0(VALU_DEP_1)
	v_exp_f32_e32 v85, v85
	s_waitcnt_depctr 0xfff
	v_cndmask_b32_e64 v102, 0, v84, s17
	v_cndmask_b32_e64 v100, 0, v85, s15
	v_dual_mul_f32 v85, 0x3fb8aa3b, v99 :: v_dual_add_f32 v82, v82, v96
	v_cndmask_b32_e64 v99, 0, v86, s16
	s_delay_alu instid0(VALU_DEP_2) | instskip(NEXT) | instid1(VALU_DEP_2)
	v_exp_f32_e32 v85, v85
	v_add_f32_e32 v82, v82, v95
	s_delay_alu instid0(VALU_DEP_1) | instskip(SKIP_3) | instid1(VALU_DEP_1)
	v_add_f32_e32 v82, v82, v98
	s_waitcnt_depctr 0xfff
	v_cndmask_b32_e64 v101, 0, v85, s18
	v_add_f32_e32 v82, v82, v97
	v_add_f32_e32 v82, v82, v100
	s_delay_alu instid0(VALU_DEP_1) | instskip(NEXT) | instid1(VALU_DEP_1)
	v_add_f32_e32 v82, v82, v99
	v_add_f32_e32 v82, v82, v102
	s_delay_alu instid0(VALU_DEP_1)
	v_add_f32_e32 v82, v82, v101
	ds_bpermute_b32 v83, v83, v82
	s_and_saveexec_b32 s4, s3
	s_cbranch_execz .LBB180_14
; %bb.13:
	v_mul_u32_u24_e32 v80, 0x44, v78
	s_waitcnt lgkmcnt(0)
	v_add_f32_e32 v82, v82, v83
	s_delay_alu instid0(VALU_DEP_2) | instskip(NEXT) | instid1(VALU_DEP_1)
	v_lshl_add_u32 v80, v77, 2, v80
	v_add_nc_u32_e32 v80, 0x4000, v80
	ds_store_2addr_b32 v80, v81, v82 offset1:136
.LBB180_14:
	s_or_b32 exec_lo, exec_lo, s4
	v_lshlrev_b32_e32 v80, 2, v77
	s_load_b32 s36, s[0:1], 0x94
	s_waitcnt lgkmcnt(0)
	s_barrier
	buffer_gl0_inv
	v_add_nc_u32_e32 v84, 0x4000, v80
	v_cmp_eq_u32_e32 vcc_lo, 1, v78
	v_cmp_eq_u32_e64 s4, 2, v78
	v_cmp_eq_u32_e64 s5, 3, v78
	;; [unrolled: 1-line block ×3, first 2 shown]
	ds_load_2addr_b32 v[80:81], v84 offset1:17
	ds_load_2addr_b32 v[82:83], v84 offset0:34 offset1:51
	ds_load_2addr_b32 v[103:104], v84 offset0:68 offset1:85
	;; [unrolled: 1-line block ×3, first 2 shown]
	v_cmp_eq_u32_e64 s7, 7, v78
	s_waitcnt lgkmcnt(3)
	v_max3_f32 v85, v80, 0xff7fffff, v81
	s_waitcnt lgkmcnt(2)
	s_delay_alu instid0(VALU_DEP_1) | instskip(SKIP_1) | instid1(VALU_DEP_1)
	v_max3_f32 v85, v85, v82, v83
	s_waitcnt lgkmcnt(1)
	v_max3_f32 v85, v85, v103, v104
	s_waitcnt lgkmcnt(0)
	s_delay_alu instid0(VALU_DEP_1) | instskip(NEXT) | instid1(VALU_DEP_1)
	v_max3_f32 v85, v85, v105, v106
	v_sub_f32_e32 v103, v103, v85
	ds_load_2addr_b32 v[107:108], v84 offset0:136 offset1:153
	v_sub_f32_e32 v80, v80, v85
	v_dual_sub_f32 v110, v83, v85 :: v_dual_mul_f32 v113, 0x3fb8aa3b, v103
	s_delay_alu instid0(VALU_DEP_2) | instskip(SKIP_3) | instid1(VALU_DEP_1)
	v_dual_sub_f32 v86, v81, v85 :: v_dual_mul_f32 v109, 0x3fb8aa3b, v80
	ds_load_2addr_b32 v[80:81], v84 offset0:170 offset1:187
	v_mul_f32_e32 v86, 0x3fb8aa3b, v86
	v_exp_f32_e32 v109, v109
	v_exp_f32_e32 v112, v86
	v_mul_f32_e32 v110, 0x3fb8aa3b, v110
	s_waitcnt lgkmcnt(1)
	s_waitcnt_depctr 0xfff
	v_fma_f32 v86, v109, v107, 0
	v_sub_f32_e32 v107, v104, v85
	v_sub_f32_e32 v82, v82, v85
	v_exp_f32_e32 v110, v110
	ds_load_2addr_b32 v[103:104], v84 offset0:238 offset1:255
	v_dual_fmac_f32 v86, v112, v108 :: v_dual_mul_f32 v111, 0x3fb8aa3b, v82
	ds_load_2addr_b32 v[82:83], v84 offset0:204 offset1:221
	v_dual_sub_f32 v84, v105, v85 :: v_dual_mul_f32 v105, 0x3fb8aa3b, v107
	v_exp_f32_e32 v107, v113
	v_exp_f32_e32 v111, v111
	s_waitcnt lgkmcnt(0)
	s_delay_alu instid0(VALU_DEP_1)
	v_mul_f32_e32 v84, 0x3fb8aa3b, v84
	v_exp_f32_e32 v105, v105
	s_barrier
	buffer_gl0_inv
	v_fmac_f32_e32 v86, v111, v80
	v_sub_f32_e32 v80, v106, v85
	v_exp_f32_e32 v106, v84
	s_delay_alu instid0(VALU_DEP_2) | instskip(NEXT) | instid1(VALU_DEP_2)
	v_fmac_f32_e32 v86, v110, v81
	v_mul_f32_e32 v80, 0x3fb8aa3b, v80
	s_delay_alu instid0(VALU_DEP_2) | instskip(NEXT) | instid1(VALU_DEP_2)
	v_dual_cndmask_b32 v81, v109, v112 :: v_dual_fmac_f32 v86, v107, v82
	v_exp_f32_e32 v108, v80
	s_delay_alu instid0(VALU_DEP_1) | instskip(SKIP_2) | instid1(VALU_DEP_1)
	v_fmac_f32_e32 v86, v105, v83
	s_waitcnt_depctr 0xfff
	v_fmac_f32_e32 v86, v106, v103
	v_fmac_f32_e32 v86, v108, v104
	s_delay_alu instid0(VALU_DEP_1) | instskip(NEXT) | instid1(VALU_DEP_1)
	v_add_f32_e32 v103, 0x358637bd, v86
	v_div_scale_f32 v104, null, v103, v103, 1.0
	v_div_scale_f32 v109, vcc_lo, 1.0, v103, 1.0
	s_delay_alu instid0(VALU_DEP_2) | instskip(SKIP_2) | instid1(VALU_DEP_1)
	v_rcp_f32_e32 v113, v104
	s_waitcnt_depctr 0xfff
	v_fma_f32 v80, -v104, v113, 1.0
	v_fmac_f32_e32 v113, v80, v113
	v_cndmask_b32_e64 v80, v81, v111, s4
	v_cmp_eq_u32_e64 s4, 4, v78
	v_lshl_or_b32 v81, v78, 11, v79
	s_delay_alu instid0(VALU_DEP_4) | instskip(NEXT) | instid1(VALU_DEP_4)
	v_mul_f32_e32 v111, v109, v113
	v_cndmask_b32_e64 v82, v80, v110, s5
	v_cmp_eq_u32_e64 s5, 6, v78
	s_delay_alu instid0(VALU_DEP_4) | instskip(SKIP_3) | instid1(VALU_DEP_3)
	v_lshl_or_b32 v78, v75, 4, v81
	v_lshlrev_b32_e32 v80, 2, v75
	v_fma_f32 v83, -v104, v111, v109
	v_cndmask_b32_e64 v84, v82, v107, s4
	v_or_b32_e32 v82, 1, v80
	s_delay_alu instid0(VALU_DEP_3) | instskip(NEXT) | instid1(VALU_DEP_3)
	v_fmac_f32_e32 v111, v83, v113
	v_cndmask_b32_e64 v105, v84, v105, s6
	v_or_b32_e32 v84, 2, v80
	v_or_b32_e32 v83, 3, v80
	v_cmp_eq_u32_e64 s4, 1, v80
	v_fma_f32 v104, -v104, v111, v109
	v_cndmask_b32_e64 v105, v105, v106, s5
	v_cmp_eq_u32_e64 s10, 1, v82
	v_cmp_eq_u32_e64 s11, 1, v84
	;; [unrolled: 1-line block ×3, first 2 shown]
	v_div_fmas_f32 v104, v104, v113, v111
	v_cndmask_b32_e64 v105, v105, v108, s7
	v_cmp_eq_u32_e32 vcc_lo, 2, v80
	v_cmp_eq_u32_e64 s13, 2, v82
	v_cmp_eq_u32_e64 s16, 2, v84
	v_div_fixup_f32 v103, v104, v103, 1.0
	v_cmp_eq_u32_e64 s17, 2, v83
	v_cmp_eq_u32_e64 s19, 3, v83
	;; [unrolled: 1-line block ×4, first 2 shown]
	v_mul_f32_e32 v111, v105, v103
	v_cmp_eq_u32_e64 s18, 3, v84
	v_cmp_eq_u32_e64 s23, 4, v83
	v_cmp_eq_u32_e64 s6, 4, v80
	v_cmp_eq_u32_e64 s20, 4, v82
	v_fma_mixlo_f16 v103, v111, v88, 0
	v_fma_mixlo_f16 v104, v111, v90, 0
	;; [unrolled: 1-line block ×8, first 2 shown]
	v_fma_mixhi_f16 v103, v111, v87, 0
	v_fma_mixhi_f16 v104, v111, v89, 0
	;; [unrolled: 1-line block ×8, first 2 shown]
	ds_store_b128 v78, v[103:106]
	ds_store_b128 v78, v[107:110] offset:1024
	s_waitcnt lgkmcnt(0)
	s_barrier
	buffer_gl0_inv
	ds_load_b128 v[87:90], v81
	ds_load_b128 v[91:94], v81 offset:16
	ds_load_b128 v[95:98], v81 offset:1024
	;; [unrolled: 1-line block ×3, first 2 shown]
	v_cmp_eq_u32_e64 s22, 4, v84
	v_cmp_eq_u32_e64 s25, 5, v83
	;; [unrolled: 1-line block ×13, first 2 shown]
	s_waitcnt lgkmcnt(3)
	v_lshrrev_b32_e32 v103, 16, v87
	s_waitcnt lgkmcnt(2)
	v_lshrrev_b32_e32 v107, 16, v91
	;; [unrolled: 2-line block ×4, first 2 shown]
	v_lshrrev_b32_e32 v104, 16, v88
	v_cndmask_b32_e64 v119, v87, v103, s4
	v_cndmask_b32_e64 v120, v91, v107, s4
	;; [unrolled: 1-line block ×8, first 2 shown]
	v_lshrrev_b32_e32 v108, 16, v92
	v_cndmask_b32_e64 v103, v95, v111, s4
	v_cndmask_b32_e64 v107, v99, v115, s4
	;; [unrolled: 1-line block ×5, first 2 shown]
	v_cndmask_b32_e32 v111, v119, v88, vcc_lo
	v_cndmask_b32_e64 v119, v121, v88, s13
	v_cndmask_b32_e64 v121, v123, v88, s16
	;; [unrolled: 1-line block ×4, first 2 shown]
	v_lshrrev_b32_e32 v112, 16, v96
	v_lshrrev_b32_e32 v116, 16, v100
	v_cndmask_b32_e64 v126, v99, v115, s10
	v_cndmask_b32_e64 v128, v99, v115, s11
	;; [unrolled: 1-line block ×3, first 2 shown]
	v_cndmask_b32_e32 v115, v120, v92, vcc_lo
	v_cndmask_b32_e64 v120, v122, v92, s13
	v_cndmask_b32_e64 v122, v124, v92, s16
	v_cndmask_b32_e32 v91, v103, v96, vcc_lo
	v_cndmask_b32_e32 v92, v107, v100, vcc_lo
	v_cndmask_b32_e64 v103, v125, v96, s13
	v_cndmask_b32_e64 v87, v87, v104, s19
	;; [unrolled: 1-line block ×3, first 2 shown]
	v_lshrrev_b32_e32 v105, 16, v89
	v_lshrrev_b32_e32 v109, 16, v93
	v_cndmask_b32_e64 v107, v127, v96, s16
	v_cndmask_b32_e64 v95, v95, v96, s17
	;; [unrolled: 1-line block ×14, first 2 shown]
	v_lshrrev_b32_e32 v113, 16, v97
	v_cndmask_b32_e64 v99, v99, v89, s6
	v_cndmask_b32_e64 v104, v111, v93, s6
	;; [unrolled: 1-line block ×11, first 2 shown]
	v_lshrrev_b32_e32 v106, 16, v90
	v_lshrrev_b32_e32 v110, 16, v94
	v_cndmask_b32_e64 v93, v99, v105, s7
	v_cndmask_b32_e64 v99, v104, v109, s7
	;; [unrolled: 1-line block ×9, first 2 shown]
	v_lshrrev_b32_e32 v114, 16, v98
	v_cndmask_b32_e64 v89, v89, v113, s7
	v_cndmask_b32_e64 v93, v93, v90, s8
	;; [unrolled: 1-line block ×19, first 2 shown]
	v_perm_b32 v90, v88, v87, 0x5040100
	v_cndmask_b32_e64 v87, v126, v100, s13
	v_cndmask_b32_e64 v105, v89, v114, s9
	v_perm_b32 v89, v103, v99, 0x5040100
	v_perm_b32 v88, v104, v94, 0x5040100
	v_cndmask_b32_e64 v94, v107, v112, s18
	v_cndmask_b32_e64 v95, v95, v112, s19
	;; [unrolled: 1-line block ×5, first 2 shown]
	v_lshrrev_b32_e32 v117, 16, v101
	v_cndmask_b32_e64 v94, v94, v97, s22
	v_cndmask_b32_e64 v95, v95, v97, s23
	;; [unrolled: 1-line block ×11, first 2 shown]
	v_lshrrev_b32_e32 v118, 16, v102
	v_cndmask_b32_e64 v91, v91, v102, s8
	v_cndmask_b32_e64 v94, v94, v98, s27
	;; [unrolled: 1-line block ×12, first 2 shown]
	v_perm_b32 v87, v93, v92, 0x5040100
	v_perm_b32 v94, v95, v94, 0x5040100
	;; [unrolled: 1-line block ×5, first 2 shown]
	s_mul_i32 s8, s35, 7
	s_mov_b32 s4, exec_lo
	ds_store_b128 v78, v[87:90]
	ds_store_b128 v78, v[91:94] offset:1024
	v_cmpx_gt_u32_e32 7, v0
	s_cbranch_execz .LBB180_16
; %bb.15:
	s_mul_i32 s5, s8, s34
	s_load_b128 s[16:19], s[0:1], 0x58
	v_add3_u32 v77, s5, s33, v77
	s_delay_alu instid0(VALU_DEP_1) | instskip(NEXT) | instid1(VALU_DEP_1)
	v_mad_u64_u32 v[87:88], null, v77, s36, s[14:15]
	v_ashrrev_i32_e32 v88, 31, v87
	s_delay_alu instid0(VALU_DEP_1) | instskip(SKIP_1) | instid1(VALU_DEP_1)
	v_lshlrev_b64 v[87:88], 2, v[87:88]
	s_waitcnt lgkmcnt(0)
	v_add_co_u32 v89, vcc_lo, s18, v87
	s_delay_alu instid0(VALU_DEP_2)
	v_add_co_ci_u32_e32 v90, vcc_lo, s19, v88, vcc_lo
	v_add_co_u32 v87, vcc_lo, s16, v87
	v_add_co_ci_u32_e32 v88, vcc_lo, s17, v88, vcc_lo
	global_store_b32 v[89:90], v85, off
	global_store_b32 v[87:88], v86, off
.LBB180_16:
	s_or_b32 exec_lo, exec_lo, s4
	s_waitcnt lgkmcnt(0)
	s_waitcnt_vscnt null, 0x0
	s_barrier
	buffer_gl0_inv
	ds_load_b128 v[93:96], v79
	ds_load_b128 v[97:100], v79 offset:16
	ds_load_b128 v[105:108], v79 offset:1040
	;; [unrolled: 1-line block ×5, first 2 shown]
	v_cmp_eq_u32_e32 vcc_lo, 1, v84
	v_mov_b32_e32 v85, 0
	ds_load_b128 v[121:124], v79 offset:3088
	ds_load_b128 v[117:120], v79 offset:3072
	;; [unrolled: 1-line block ×4, first 2 shown]
	v_cmp_eq_u32_e64 s4, 1, v80
	v_cmp_eq_u32_e64 s5, 1, v83
	;; [unrolled: 1-line block ×3, first 2 shown]
	v_mov_b32_e32 v86, v85
	v_mov_b32_e32 v87, v85
	;; [unrolled: 1-line block ×7, first 2 shown]
	v_cmp_eq_u32_e64 s7, 2, v80
	s_waitcnt lgkmcnt(8)
	s_delay_alu instid0(VALU_DEP_2)
	v_wmma_f32_16x16x16_f16 v[85:92], v[65:72], v[93:100], v[85:92]
	ds_load_b128 v[69:72], v79 offset:5136
	ds_load_b128 v[65:68], v79 offset:5120
	;; [unrolled: 1-line block ×4, first 2 shown]
	s_waitcnt lgkmcnt(10)
	v_wmma_f32_16x16x16_f16 v[85:92], v[57:64], v[101:108], v[85:92]
	s_waitcnt lgkmcnt(8)
	s_delay_alu instid0(VALU_DEP_1)
	v_wmma_f32_16x16x16_f16 v[85:92], v[57:64], v[109:116], v[85:92]
	ds_load_b128 v[61:64], v79 offset:7184
	ds_load_b128 v[57:60], v79 offset:7168
	ds_load_b128 v[105:108], v79 offset:8208
	ds_load_b128 v[101:104], v79 offset:8192
	s_waitcnt lgkmcnt(10)
	v_wmma_f32_16x16x16_f16 v[85:92], v[49:56], v[117:124], v[85:92]
	s_waitcnt lgkmcnt(8)
	s_delay_alu instid0(VALU_DEP_1)
	v_wmma_f32_16x16x16_f16 v[85:92], v[49:56], v[125:132], v[85:92]
	ds_load_b128 v[53:56], v79 offset:9232
	ds_load_b128 v[49:52], v79 offset:9216
	s_waitcnt lgkmcnt(8)
	v_wmma_f32_16x16x16_f16 v[85:92], v[41:48], v[65:72], v[85:92]
	ds_load_b128 v[69:72], v79 offset:10256
	ds_load_b128 v[65:68], v79 offset:10240
	s_waitcnt lgkmcnt(8)
	;; [unrolled: 4-line block ×7, first 2 shown]
	s_barrier
	buffer_gl0_inv
	v_wmma_f32_16x16x16_f16 v[85:92], v[33:40], v[41:48], v[85:92]
	s_delay_alu instid0(VALU_DEP_1) | instskip(NEXT) | instid1(VALU_DEP_1)
	v_wmma_f32_16x16x16_f16 v[85:92], v[33:40], v[57:64], v[85:92]
	v_wmma_f32_16x16x16_f16 v[85:92], v[25:32], v[9:16], v[85:92]
	s_delay_alu instid0(VALU_DEP_1) | instskip(NEXT) | instid1(VALU_DEP_1)
	v_wmma_f32_16x16x16_f16 v[85:92], v[25:32], v[49:56], v[85:92]
	v_wmma_f32_16x16x16_f16 v[85:92], v[17:24], v[1:8], v[85:92]
	s_delay_alu instid0(VALU_DEP_1) | instskip(NEXT) | instid1(VALU_DEP_2)
	v_cvt_f16_f32_e32 v1, v85
	v_cvt_f16_f32_e32 v2, v86
	s_delay_alu instid0(VALU_DEP_3) | instskip(NEXT) | instid1(VALU_DEP_4)
	v_cvt_f16_f32_e32 v3, v87
	v_cvt_f16_f32_e32 v4, v88
	;; [unrolled: 1-line block ×6, first 2 shown]
	v_pack_b32_f16 v1, v1, v2
	v_pack_b32_f16 v2, v3, v4
	v_pack_b32_f16 v3, v5, v6
	s_delay_alu instid0(VALU_DEP_4)
	v_pack_b32_f16 v4, v7, v8
	ds_store_b128 v78, v[1:4]
	s_waitcnt lgkmcnt(0)
	s_barrier
	buffer_gl0_inv
	ds_load_b128 v[1:4], v81
	ds_load_b128 v[5:8], v81 offset:16
	s_waitcnt lgkmcnt(1)
	v_lshrrev_b32_e32 v9, 16, v1
	s_waitcnt lgkmcnt(0)
	v_lshrrev_b32_e32 v13, 16, v5
	v_lshrrev_b32_e32 v15, 16, v7
	;; [unrolled: 1-line block ×4, first 2 shown]
	v_cndmask_b32_e64 v17, v1, v9, s4
	v_cndmask_b32_e64 v18, v5, v13, s4
	;; [unrolled: 1-line block ×3, first 2 shown]
	v_cmp_eq_u32_e64 s4, 2, v82
	v_cndmask_b32_e64 v20, v5, v13, s6
	v_cndmask_b32_e32 v21, v1, v9, vcc_lo
	v_cndmask_b32_e32 v22, v5, v13, vcc_lo
	v_cndmask_b32_e64 v1, v1, v9, s5
	v_cndmask_b32_e64 v5, v5, v13, s5
	v_cmp_eq_u32_e32 vcc_lo, 2, v84
	v_cmp_eq_u32_e64 s5, 2, v83
	v_cndmask_b32_e64 v9, v17, v2, s7
	v_cndmask_b32_e64 v13, v18, v6, s7
	;; [unrolled: 1-line block ×4, first 2 shown]
	v_cndmask_b32_e32 v19, v21, v2, vcc_lo
	v_cmp_eq_u32_e64 s4, 3, v84
	v_cndmask_b32_e32 v20, v22, v6, vcc_lo
	v_cndmask_b32_e64 v1, v1, v2, s5
	v_cmp_eq_u32_e32 vcc_lo, 3, v83
	v_cmp_eq_u32_e64 s6, 3, v80
	v_cndmask_b32_e64 v2, v5, v6, s5
	v_cmp_eq_u32_e64 s5, 3, v82
	v_lshrrev_b32_e32 v16, 16, v8
	v_cmp_eq_u32_e64 s7, 4, v80
	v_cndmask_b32_e64 v5, v9, v10, s6
	v_cndmask_b32_e64 v6, v13, v14, s6
	;; [unrolled: 1-line block ×3, first 2 shown]
	v_cmp_eq_u32_e64 s6, 4, v82
	v_cndmask_b32_e64 v13, v18, v14, s5
	v_cndmask_b32_e64 v17, v19, v10, s4
	;; [unrolled: 1-line block ×3, first 2 shown]
	v_cndmask_b32_e32 v1, v1, v10, vcc_lo
	v_cndmask_b32_e32 v2, v2, v14, vcc_lo
	v_cmp_eq_u32_e32 vcc_lo, 4, v84
	v_cmp_eq_u32_e64 s5, 4, v83
	v_lshrrev_b32_e32 v11, 16, v3
	v_cndmask_b32_e64 v5, v5, v3, s7
	v_cndmask_b32_e64 v6, v6, v7, s7
	;; [unrolled: 1-line block ×4, first 2 shown]
	v_cndmask_b32_e32 v13, v17, v3, vcc_lo
	v_cmp_eq_u32_e64 s4, 5, v84
	v_cndmask_b32_e32 v14, v18, v7, vcc_lo
	v_cndmask_b32_e64 v1, v1, v3, s5
	v_cmp_eq_u32_e32 vcc_lo, 5, v83
	v_cmp_eq_u32_e64 s6, 5, v80
	v_cndmask_b32_e64 v2, v2, v7, s5
	v_cmp_eq_u32_e64 s5, 5, v82
	v_cmp_eq_u32_e64 s7, 6, v80
	v_cndmask_b32_e32 v1, v1, v11, vcc_lo
	v_cndmask_b32_e64 v3, v5, v11, s6
	v_cndmask_b32_e64 v5, v6, v15, s6
	;; [unrolled: 1-line block ×3, first 2 shown]
	v_cmp_eq_u32_e64 s6, 6, v82
	v_cndmask_b32_e64 v7, v10, v15, s5
	v_cndmask_b32_e64 v9, v13, v11, s4
	;; [unrolled: 1-line block ×3, first 2 shown]
	v_cndmask_b32_e32 v2, v2, v15, vcc_lo
	v_cmp_eq_u32_e32 vcc_lo, 6, v84
	v_cmp_eq_u32_e64 s4, 6, v83
	v_lshrrev_b32_e32 v12, 16, v4
	v_cndmask_b32_e64 v3, v3, v4, s7
	v_cndmask_b32_e64 v5, v5, v8, s7
	;; [unrolled: 1-line block ×4, first 2 shown]
	v_cndmask_b32_e32 v9, v9, v4, vcc_lo
	v_cmp_eq_u32_e64 s5, 7, v84
	v_cndmask_b32_e32 v10, v10, v8, vcc_lo
	v_cndmask_b32_e64 v1, v1, v4, s4
	v_cmp_eq_u32_e32 vcc_lo, 7, v83
	v_cndmask_b32_e64 v2, v2, v8, s4
	v_cmp_eq_u32_e64 s4, 7, v80
	v_cmp_eq_u32_e64 s6, 7, v82
	v_cndmask_b32_e32 v1, v1, v12, vcc_lo
	s_delay_alu instid0(VALU_DEP_4) | instskip(NEXT) | instid1(VALU_DEP_4)
	v_cndmask_b32_e32 v2, v2, v16, vcc_lo
	v_cndmask_b32_e64 v8, v3, v12, s4
	s_delay_alu instid0(VALU_DEP_4)
	v_cndmask_b32_e64 v6, v6, v12, s6
	v_cndmask_b32_e64 v3, v9, v12, s5
	;; [unrolled: 1-line block ×5, first 2 shown]
	v_cmp_gt_u32_e32 vcc_lo, 32, v0
	v_perm_b32 v4, v2, v1, 0x5040100
	v_perm_b32 v3, v9, v3, 0x5040100
	;; [unrolled: 1-line block ×4, first 2 shown]
	s_and_b32 s2, vcc_lo, s2
	ds_store_b128 v78, v[1:4]
	s_waitcnt lgkmcnt(0)
	s_barrier
	buffer_gl0_inv
	s_and_saveexec_b32 s4, s2
	s_cbranch_execz .LBB180_2
; %bb.17:
	s_load_b64 s[4:5], s[0:1], 0x68
	v_lshlrev_b32_e32 v0, 10, v0
	v_add_nc_u32_e32 v2, s33, v75
	v_lshlrev_b32_e32 v3, 4, v76
	s_lshl_b32 s0, s36, 6
	s_delay_alu instid0(SALU_CYCLE_1) | instskip(NEXT) | instid1(VALU_DEP_2)
	s_mul_i32 s1, s0, s34
	v_mul_lo_u32 v1, v2, s0
	s_delay_alu instid0(VALU_DEP_2)
	v_and_or_b32 v0, 0x3800, v0, v3
	v_add_nc_u32_e32 v3, 2, v2
	s_mul_i32 s6, s1, s8
	v_add_nc_u32_e32 v4, 4, v2
	s_ashr_i32 s7, s6, 31
	v_lshl_or_b32 v11, v75, 6, v0
	s_lshl_b64 s[6:7], s[6:7], 1
	v_mul_lo_u32 v15, v3, s0
	v_mul_lo_u32 v17, v4, s0
	v_ashrrev_i32_e32 v2, 31, v1
	ds_load_b128 v[3:6], v11
	ds_load_b128 v[7:10], v11 offset:128
	ds_load_b128 v[11:14], v11 offset:256
	s_waitcnt lgkmcnt(0)
	s_add_u32 s1, s4, s6
	s_addc_u32 s2, s5, s7
	s_lshl_b32 s4, s14, 6
	v_ashrrev_i32_e32 v16, 31, v15
	s_ashr_i32 s5, s4, 31
	v_lshlrev_b64 v[19:20], 1, v[1:2]
	s_lshl_b64 s[4:5], s[4:5], 1
	v_ashrrev_i32_e32 v18, 31, v17
	s_add_u32 s1, s1, s4
	s_addc_u32 s2, s2, s5
	v_add_co_u32 v1, vcc_lo, s1, v73
	v_add_co_ci_u32_e32 v2, vcc_lo, s2, v74, vcc_lo
	v_lshlrev_b64 v[15:16], 1, v[15:16]
	s_delay_alu instid0(VALU_DEP_3) | instskip(SKIP_1) | instid1(VALU_DEP_4)
	v_add_co_u32 v19, vcc_lo, v1, v19
	v_lshlrev_b64 v[17:18], 1, v[17:18]
	v_add_co_ci_u32_e32 v20, vcc_lo, v2, v20, vcc_lo
	s_delay_alu instid0(VALU_DEP_4) | instskip(SKIP_1) | instid1(VALU_DEP_4)
	v_add_co_u32 v15, vcc_lo, v1, v15
	v_add_co_ci_u32_e32 v16, vcc_lo, v2, v16, vcc_lo
	v_add_co_u32 v17, vcc_lo, v1, v17
	v_add_co_ci_u32_e32 v18, vcc_lo, v2, v18, vcc_lo
	s_clause 0x2
	global_store_b128 v[19:20], v[3:6], off
	global_store_b128 v[15:16], v[7:10], off
	;; [unrolled: 1-line block ×3, first 2 shown]
	s_and_b32 exec_lo, exec_lo, s3
	s_cbranch_execz .LBB180_2
; %bb.18:
	ds_load_b128 v[3:6], v0 offset:384
	s_add_i32 s1, s33, 6
	s_delay_alu instid0(SALU_CYCLE_1) | instskip(NEXT) | instid1(SALU_CYCLE_1)
	s_mul_i32 s0, s1, s0
	s_ashr_i32 s1, s0, 31
	s_delay_alu instid0(SALU_CYCLE_1) | instskip(NEXT) | instid1(SALU_CYCLE_1)
	s_lshl_b64 s[0:1], s[0:1], 1
	v_add_co_u32 v0, vcc_lo, v1, s0
	v_add_co_ci_u32_e32 v1, vcc_lo, s1, v2, vcc_lo
	s_waitcnt lgkmcnt(0)
	global_store_b128 v[0:1], v[3:6], off
	s_nop 0
	s_sendmsg sendmsg(MSG_DEALLOC_VGPRS)
	s_endpgm
	.section	.rodata,"a",@progbits
	.p2align	6, 0x0
	.amdhsa_kernel _Z39paged_attention_ll4mi_QKV_mfma16_kernelIDF16_DF16_LN4vllm18Fp8KVCacheDataTypeE0EDF16_Li32ELi64ELi256ELb0ELi7EL8MFMAType0EEvPKT_PKT0_S8_ifPKiSA_SA_iPKfiiiPfSD_PS3_PT2_iSC_SC_
		.amdhsa_group_segment_fixed_size 17472
		.amdhsa_private_segment_fixed_size 0
		.amdhsa_kernarg_size 400
		.amdhsa_user_sgpr_count 13
		.amdhsa_user_sgpr_dispatch_ptr 0
		.amdhsa_user_sgpr_queue_ptr 0
		.amdhsa_user_sgpr_kernarg_segment_ptr 1
		.amdhsa_user_sgpr_dispatch_id 0
		.amdhsa_user_sgpr_private_segment_size 0
		.amdhsa_wavefront_size32 1
		.amdhsa_uses_dynamic_stack 0
		.amdhsa_enable_private_segment 0
		.amdhsa_system_sgpr_workgroup_id_x 1
		.amdhsa_system_sgpr_workgroup_id_y 1
		.amdhsa_system_sgpr_workgroup_id_z 1
		.amdhsa_system_sgpr_workgroup_info 0
		.amdhsa_system_vgpr_workitem_id 0
		.amdhsa_next_free_vgpr 154
		.amdhsa_next_free_sgpr 39
		.amdhsa_reserve_vcc 1
		.amdhsa_float_round_mode_32 0
		.amdhsa_float_round_mode_16_64 0
		.amdhsa_float_denorm_mode_32 3
		.amdhsa_float_denorm_mode_16_64 3
		.amdhsa_dx10_clamp 1
		.amdhsa_ieee_mode 1
		.amdhsa_fp16_overflow 0
		.amdhsa_workgroup_processor_mode 1
		.amdhsa_memory_ordered 1
		.amdhsa_forward_progress 0
		.amdhsa_shared_vgpr_count 0
		.amdhsa_exception_fp_ieee_invalid_op 0
		.amdhsa_exception_fp_denorm_src 0
		.amdhsa_exception_fp_ieee_div_zero 0
		.amdhsa_exception_fp_ieee_overflow 0
		.amdhsa_exception_fp_ieee_underflow 0
		.amdhsa_exception_fp_ieee_inexact 0
		.amdhsa_exception_int_div_zero 0
	.end_amdhsa_kernel
	.section	.text._Z39paged_attention_ll4mi_QKV_mfma16_kernelIDF16_DF16_LN4vllm18Fp8KVCacheDataTypeE0EDF16_Li32ELi64ELi256ELb0ELi7EL8MFMAType0EEvPKT_PKT0_S8_ifPKiSA_SA_iPKfiiiPfSD_PS3_PT2_iSC_SC_,"axG",@progbits,_Z39paged_attention_ll4mi_QKV_mfma16_kernelIDF16_DF16_LN4vllm18Fp8KVCacheDataTypeE0EDF16_Li32ELi64ELi256ELb0ELi7EL8MFMAType0EEvPKT_PKT0_S8_ifPKiSA_SA_iPKfiiiPfSD_PS3_PT2_iSC_SC_,comdat
.Lfunc_end180:
	.size	_Z39paged_attention_ll4mi_QKV_mfma16_kernelIDF16_DF16_LN4vllm18Fp8KVCacheDataTypeE0EDF16_Li32ELi64ELi256ELb0ELi7EL8MFMAType0EEvPKT_PKT0_S8_ifPKiSA_SA_iPKfiiiPfSD_PS3_PT2_iSC_SC_, .Lfunc_end180-_Z39paged_attention_ll4mi_QKV_mfma16_kernelIDF16_DF16_LN4vllm18Fp8KVCacheDataTypeE0EDF16_Li32ELi64ELi256ELb0ELi7EL8MFMAType0EEvPKT_PKT0_S8_ifPKiSA_SA_iPKfiiiPfSD_PS3_PT2_iSC_SC_
                                        ; -- End function
	.section	.AMDGPU.csdata,"",@progbits
; Kernel info:
; codeLenInByte = 7276
; NumSgprs: 41
; NumVgprs: 154
; ScratchSize: 0
; MemoryBound: 0
; FloatMode: 240
; IeeeMode: 1
; LDSByteSize: 17472 bytes/workgroup (compile time only)
; SGPRBlocks: 5
; VGPRBlocks: 19
; NumSGPRsForWavesPerEU: 41
; NumVGPRsForWavesPerEU: 154
; Occupancy: 9
; WaveLimiterHint : 1
; COMPUTE_PGM_RSRC2:SCRATCH_EN: 0
; COMPUTE_PGM_RSRC2:USER_SGPR: 13
; COMPUTE_PGM_RSRC2:TRAP_HANDLER: 0
; COMPUTE_PGM_RSRC2:TGID_X_EN: 1
; COMPUTE_PGM_RSRC2:TGID_Y_EN: 1
; COMPUTE_PGM_RSRC2:TGID_Z_EN: 1
; COMPUTE_PGM_RSRC2:TIDIG_COMP_CNT: 0
	.section	.text._Z39paged_attention_ll4mi_QKV_mfma16_kernelIDF16_DF16_LN4vllm18Fp8KVCacheDataTypeE0EDF16_Li32ELi64ELi256ELb0ELi8EL8MFMAType0EEvPKT_PKT0_S8_ifPKiSA_SA_iPKfiiiPfSD_PS3_PT2_iSC_SC_,"axG",@progbits,_Z39paged_attention_ll4mi_QKV_mfma16_kernelIDF16_DF16_LN4vllm18Fp8KVCacheDataTypeE0EDF16_Li32ELi64ELi256ELb0ELi8EL8MFMAType0EEvPKT_PKT0_S8_ifPKiSA_SA_iPKfiiiPfSD_PS3_PT2_iSC_SC_,comdat
	.protected	_Z39paged_attention_ll4mi_QKV_mfma16_kernelIDF16_DF16_LN4vllm18Fp8KVCacheDataTypeE0EDF16_Li32ELi64ELi256ELb0ELi8EL8MFMAType0EEvPKT_PKT0_S8_ifPKiSA_SA_iPKfiiiPfSD_PS3_PT2_iSC_SC_ ; -- Begin function _Z39paged_attention_ll4mi_QKV_mfma16_kernelIDF16_DF16_LN4vllm18Fp8KVCacheDataTypeE0EDF16_Li32ELi64ELi256ELb0ELi8EL8MFMAType0EEvPKT_PKT0_S8_ifPKiSA_SA_iPKfiiiPfSD_PS3_PT2_iSC_SC_
	.globl	_Z39paged_attention_ll4mi_QKV_mfma16_kernelIDF16_DF16_LN4vllm18Fp8KVCacheDataTypeE0EDF16_Li32ELi64ELi256ELb0ELi8EL8MFMAType0EEvPKT_PKT0_S8_ifPKiSA_SA_iPKfiiiPfSD_PS3_PT2_iSC_SC_
	.p2align	8
	.type	_Z39paged_attention_ll4mi_QKV_mfma16_kernelIDF16_DF16_LN4vllm18Fp8KVCacheDataTypeE0EDF16_Li32ELi64ELi256ELb0ELi8EL8MFMAType0EEvPKT_PKT0_S8_ifPKiSA_SA_iPKfiiiPfSD_PS3_PT2_iSC_SC_,@function
_Z39paged_attention_ll4mi_QKV_mfma16_kernelIDF16_DF16_LN4vllm18Fp8KVCacheDataTypeE0EDF16_Li32ELi64ELi256ELb0ELi8EL8MFMAType0EEvPKT_PKT0_S8_ifPKiSA_SA_iPKfiiiPfSD_PS3_PT2_iSC_SC_: ; @_Z39paged_attention_ll4mi_QKV_mfma16_kernelIDF16_DF16_LN4vllm18Fp8KVCacheDataTypeE0EDF16_Li32ELi64ELi256ELb0ELi8EL8MFMAType0EEvPKT_PKT0_S8_ifPKiSA_SA_iPKfiiiPfSD_PS3_PT2_iSC_SC_
; %bb.0:
	s_load_b64 s[2:3], s[0:1], 0x30
	s_mov_b32 s34, s13
	s_waitcnt lgkmcnt(0)
	s_cmp_lg_u64 s[2:3], 0
	s_cselect_b32 s6, -1, 0
	s_ashr_i32 s35, s13, 31
	s_cmp_eq_u64 s[2:3], 0
	s_cbranch_scc1 .LBB181_3
; %bb.1:
	s_lshl_b64 s[4:5], s[34:35], 2
	s_delay_alu instid0(SALU_CYCLE_1) | instskip(SKIP_4) | instid1(SALU_CYCLE_1)
	s_add_u32 s4, s2, s4
	s_addc_u32 s5, s3, s5
	s_load_b64 s[4:5], s[4:5], 0x0
	s_waitcnt lgkmcnt(0)
	s_sub_i32 s4, s5, s4
	s_cmp_eq_u32 s4, 1
	s_cselect_b32 s4, -1, 0
	s_delay_alu instid0(SALU_CYCLE_1)
	s_and_not1_b32 vcc_lo, exec_lo, s4
	s_cbranch_vccz .LBB181_4
.LBB181_2:
	s_endpgm
.LBB181_3:
.LBB181_4:
	s_load_b64 s[8:9], s[0:1], 0x28
	s_lshl_b64 s[4:5], s[34:35], 2
	s_waitcnt lgkmcnt(0)
	s_add_u32 s8, s8, s4
	s_addc_u32 s9, s9, s5
	s_lshl_b32 s16, s14, 8
	s_load_b32 s18, s[8:9], 0x0
	s_waitcnt lgkmcnt(0)
	s_cmp_ge_i32 s16, s18
	s_cbranch_scc1 .LBB181_2
; %bb.5:
	s_and_not1_b32 vcc_lo, exec_lo, s6
	s_cbranch_vccnz .LBB181_7
; %bb.6:
	s_add_u32 s2, s2, s4
	s_addc_u32 s3, s3, s5
	s_load_b32 s17, s[2:3], 0x0
	s_branch .LBB181_8
.LBB181_7:
	s_mov_b32 s17, s34
.LBB181_8:
	s_clause 0x2
	s_load_b128 s[8:11], s[0:1], 0x8
	s_load_b64 s[12:13], s[0:1], 0x20
	s_load_b128 s[4:7], s[0:1], 0x48
	v_and_b32_e32 v79, 15, v0
	v_cmp_lt_u32_e32 vcc_lo, 0x7f, v0
	s_delay_alu instid0(VALU_DEP_2) | instskip(SKIP_2) | instid1(VALU_DEP_3)
	v_cmp_lt_u32_e64 s3, 7, v79
	v_lshlrev_b32_e32 v1, 3, v79
	v_cmp_gt_u32_e64 s2, 8, v79
	s_or_b32 s3, vcc_lo, s3
	s_waitcnt lgkmcnt(0)
	s_and_saveexec_b32 s7, s3
	s_delay_alu instid0(SALU_CYCLE_1)
	s_xor_b32 s3, exec_lo, s7
; %bb.9:
	v_mov_b32_e32 v2, 0
; %bb.10:
	s_or_saveexec_b32 s3, s3
	v_lshrrev_b32_e32 v78, 5, v0
	v_and_b32_e32 v80, 31, v0
	v_and_b32_e32 v76, 1, v0
	v_bfe_u32 v75, v0, 4, 1
	s_lshl_b32 s31, s15, 3
	s_xor_b32 exec_lo, exec_lo, s3
	s_cbranch_execz .LBB181_12
; %bb.11:
	s_delay_alu instid0(VALU_DEP_1)
	v_lshl_or_b32 v7, v78, 1, v75
	s_load_b64 s[20:21], s[0:1], 0x0
	s_mul_hi_i32 s23, s17, s4
	s_mul_i32 s22, s17, s4
	v_lshlrev_b32_e32 v4, 1, v1
	v_or_b32_e32 v2, s31, v7
	s_lshl_b64 s[22:23], s[22:23], 1
	v_lshlrev_b32_e32 v7, 6, v7
	v_lshlrev_b32_e32 v8, 10, v76
	s_delay_alu instid0(VALU_DEP_3) | instskip(NEXT) | instid1(VALU_DEP_1)
	v_lshlrev_b32_e32 v2, 6, v2
	v_ashrrev_i32_e32 v3, 31, v2
	s_delay_alu instid0(VALU_DEP_1) | instskip(SKIP_3) | instid1(VALU_DEP_1)
	v_lshlrev_b64 v[2:3], 1, v[2:3]
	s_waitcnt lgkmcnt(0)
	s_add_u32 s4, s20, s22
	s_addc_u32 s7, s21, s23
	v_add_co_u32 v2, vcc_lo, s4, v2
	s_delay_alu instid0(VALU_DEP_2) | instskip(NEXT) | instid1(VALU_DEP_2)
	v_add_co_ci_u32_e32 v3, vcc_lo, s7, v3, vcc_lo
	v_add_co_u32 v2, vcc_lo, v2, v4
	s_delay_alu instid0(VALU_DEP_2) | instskip(SKIP_2) | instid1(VALU_DEP_1)
	v_add_co_ci_u32_e32 v3, vcc_lo, 0, v3, vcc_lo
	global_load_b128 v[3:6], v[2:3], off
	v_lshlrev_b32_e32 v2, 10, v79
	v_and_b32_e32 v2, 0x3800, v2
	s_delay_alu instid0(VALU_DEP_1)
	v_or3_b32 v7, v2, v8, v7
	v_mov_b32_e32 v2, 0
	s_waitcnt vmcnt(0)
	ds_store_b128 v7, v[3:6]
.LBB181_12:
	s_or_b32 exec_lo, exec_lo, s3
	v_and_b32_e32 v3, 0xef, v0
	s_add_i32 s3, s18, 31
	s_clause 0x1
	s_load_b32 s4, s[0:1], 0x38
	s_load_b32 s33, s[0:1], 0x98
	s_ashr_i32 s7, s3, 31
	v_add_nc_u32_e32 v3, s16, v3
	s_lshr_b32 s7, s7, 27
	s_load_b32 s19, s[0:1], 0x1c
	s_add_i32 s3, s3, s7
	s_waitcnt lgkmcnt(0)
	v_ashrrev_i32_e32 v4, 31, v3
	v_cmp_gt_i32_e32 vcc_lo, s18, v3
	s_ashr_i32 s3, s3, 5
	s_barrier
	s_add_i32 s3, s3, -1
	v_lshrrev_b32_e32 v5, 27, v4
	v_or_b32_e32 v4, 16, v3
	buffer_gl0_inv
	s_mul_i32 s6, s15, s6
	v_lshlrev_b64 v[73:74], 1, v[1:2]
	v_add_nc_u32_e32 v6, v3, v5
	v_add_nc_u32_e32 v5, v4, v5
	s_mul_i32 s20, s34, s4
	v_lshlrev_b32_e32 v77, 6, v79
	s_ashr_i32 s21, s20, 31
	v_ashrrev_i32_e32 v6, 5, v6
	v_ashrrev_i32_e32 v5, 5, v5
	s_lshl_b64 s[20:21], s[20:21], 2
	v_lshl_or_b32 v33, v78, 10, v77
	s_add_u32 s4, s12, s20
	v_cndmask_b32_e32 v3, s3, v6, vcc_lo
	v_cmp_gt_i32_e32 vcc_lo, s18, v4
	s_addc_u32 s17, s13, s21
	s_ashr_i32 s7, s6, 31
	s_delay_alu instid0(SALU_CYCLE_1)
	s_lshl_b64 s[6:7], s[6:7], 1
	v_cndmask_b32_e32 v5, s3, v5, vcc_lo
	v_ashrrev_i32_e32 v4, 31, v3
	s_add_u32 s15, s8, s6
	s_addc_u32 s28, s9, s7
	s_lshl_b32 s8, s14, 3
	v_ashrrev_i32_e32 v6, 31, v5
	v_lshlrev_b64 v[3:4], 2, v[3:4]
	s_ashr_i32 s9, s8, 31
	s_delay_alu instid0(SALU_CYCLE_1) | instskip(NEXT) | instid1(VALU_DEP_2)
	s_lshl_b64 s[8:9], s[8:9], 2
	v_lshlrev_b64 v[5:6], 2, v[5:6]
	s_add_u32 s8, s4, s8
	s_delay_alu instid0(VALU_DEP_2) | instskip(SKIP_1) | instid1(VALU_DEP_3)
	v_add_co_u32 v3, vcc_lo, s4, v3
	v_add_co_ci_u32_e32 v4, vcc_lo, s17, v4, vcc_lo
	v_add_co_u32 v5, vcc_lo, s4, v5
	s_delay_alu instid0(VALU_DEP_4)
	v_add_co_ci_u32_e32 v6, vcc_lo, s17, v6, vcc_lo
	s_addc_u32 s9, s17, s9
	s_clause 0x1
	global_load_b32 v7, v[3:4], off
	global_load_b32 v8, v[5:6], off
	s_or_b32 s12, s16, 32
	s_delay_alu instid0(SALU_CYCLE_1) | instskip(SKIP_2) | instid1(SALU_CYCLE_1)
	s_ashr_i32 s13, s12, 5
	s_cmp_lt_i32 s12, s18
	s_cselect_b32 s12, s13, s3
	s_ashr_i32 s13, s12, 31
	s_delay_alu instid0(SALU_CYCLE_1) | instskip(NEXT) | instid1(SALU_CYCLE_1)
	s_lshl_b64 s[12:13], s[12:13], 2
	s_add_u32 s12, s4, s12
	s_addc_u32 s13, s17, s13
	s_or_b32 s20, s16, 64
	s_delay_alu instid0(SALU_CYCLE_1) | instskip(SKIP_2) | instid1(SALU_CYCLE_1)
	s_ashr_i32 s21, s20, 5
	s_cmp_lt_i32 s20, s18
	s_cselect_b32 s20, s21, s3
	s_ashr_i32 s21, s20, 31
	s_delay_alu instid0(SALU_CYCLE_1) | instskip(NEXT) | instid1(SALU_CYCLE_1)
	s_lshl_b64 s[20:21], s[20:21], 2
	s_add_u32 s20, s4, s20
	s_addc_u32 s21, s17, s21
	;; [unrolled: 10-line block ×5, first 2 shown]
	s_clause 0x5
	s_load_b32 s29, s[8:9], 0x0
	s_load_b32 s30, s[12:13], 0x0
	;; [unrolled: 1-line block ×6, first 2 shown]
	s_or_b32 s8, s16, 0xc0
	s_mov_b32 s20, 0
	s_ashr_i32 s9, s8, 5
	s_cmp_lt_i32 s8, s18
	s_mov_b32 s27, s20
	s_cselect_b32 s8, s9, s3
	s_mov_b32 s21, s20
	s_ashr_i32 s9, s8, 31
	s_mov_b32 s22, s20
	s_lshl_b64 s[8:9], s[8:9], 2
	s_mov_b32 s23, s20
	s_add_u32 s8, s4, s8
	s_mov_b32 s24, s20
	s_mov_b32 s25, s20
	;; [unrolled: 1-line block ×3, first 2 shown]
	s_addc_u32 s9, s17, s9
	v_dual_mov_b32 v128, s27 :: v_dual_mov_b32 v127, s26
	v_dual_mov_b32 v126, s25 :: v_dual_mov_b32 v125, s24
	;; [unrolled: 1-line block ×3, first 2 shown]
	v_mov_b32_e32 v121, s20
	s_waitcnt lgkmcnt(0)
	s_mul_hi_i32 s13, s29, s5
	s_mul_i32 s12, s29, s5
	v_mov_b32_e32 v122, s21
	s_mul_hi_i32 s21, s30, s5
	s_mul_i32 s20, s30, s5
	s_mul_hi_i32 s25, s35, s5
	s_mul_i32 s24, s35, s5
	;; [unrolled: 2-line block ×3, first 2 shown]
	s_mul_i32 s36, s38, s5
	s_waitcnt vmcnt(1)
	v_mad_i64_i32 v[3:4], null, v7, s5, 0
	s_waitcnt vmcnt(0)
	v_mad_i64_i32 v[5:6], null, v8, s5, 0
	s_delay_alu instid0(VALU_DEP_2) | instskip(NEXT) | instid1(VALU_DEP_2)
	v_lshlrev_b64 v[3:4], 1, v[3:4]
	v_lshlrev_b64 v[1:2], 1, v[5:6]
	s_delay_alu instid0(VALU_DEP_2) | instskip(NEXT) | instid1(VALU_DEP_3)
	v_add_co_u32 v3, vcc_lo, s15, v3
	v_add_co_ci_u32_e32 v4, vcc_lo, s28, v4, vcc_lo
	s_delay_alu instid0(VALU_DEP_3) | instskip(NEXT) | instid1(VALU_DEP_4)
	v_add_co_u32 v1, vcc_lo, s15, v1
	v_add_co_ci_u32_e32 v2, vcc_lo, s28, v2, vcc_lo
	s_delay_alu instid0(VALU_DEP_4) | instskip(NEXT) | instid1(VALU_DEP_4)
	v_add_co_u32 v25, vcc_lo, v3, v73
	v_add_co_ci_u32_e32 v26, vcc_lo, v4, v74, vcc_lo
	s_delay_alu instid0(VALU_DEP_4) | instskip(NEXT) | instid1(VALU_DEP_4)
	v_add_co_u32 v27, vcc_lo, v1, v73
	v_add_co_ci_u32_e32 v28, vcc_lo, v2, v74, vcc_lo
	s_clause 0xf
	global_load_b128 v[1:4], v[25:26], off
	global_load_b128 v[5:8], v[25:26], off offset:512
	global_load_b128 v[9:12], v[27:28], off offset:256
	;; [unrolled: 1-line block ×15, first 2 shown]
	s_or_b32 s15, s16, 0xe0
	v_and_b32_e32 v25, 7, v0
	s_ashr_i32 s22, s15, 5
	s_cmp_lt_i32 s15, s18
	s_cselect_b32 s22, s22, s3
	s_delay_alu instid0(VALU_DEP_1)
	v_lshlrev_b32_e32 v151, 6, v25
	s_ashr_i32 s23, s22, 31
	ds_load_b128 v[25:28], v151
	ds_load_b128 v[29:32], v151 offset:1024
	s_lshl_b64 s[22:23], s[22:23], 2
	ds_load_b128 v[129:132], v151 offset:2048
	ds_load_b128 v[133:136], v151 offset:3072
	s_add_u32 s22, s4, s22
	s_addc_u32 s23, s17, s23
	s_add_i32 s15, s16, 0x100
	s_delay_alu instid0(SALU_CYCLE_1)
	s_ashr_i32 s28, s15, 5
	s_cmp_lt_i32 s15, s18
	s_load_b32 s15, s[8:9], 0x0
	s_cselect_b32 s28, s28, s3
	s_mul_hi_i32 s9, s37, s5
	s_ashr_i32 s29, s28, 31
	s_mul_i32 s8, s37, s5
	s_lshl_b64 s[28:29], s[28:29], 2
	s_mul_hi_i32 s37, s38, s5
	s_add_u32 s28, s4, s28
	s_addc_u32 s29, s17, s29
	s_add_u32 s3, s10, s6
	s_clause 0x1
	s_load_b32 s4, s[22:23], 0x0
	s_load_b32 s17, s[28:29], 0x0
	s_addc_u32 s28, s11, s7
	v_add_co_u32 v152, s3, s3, v33
	s_delay_alu instid0(VALU_DEP_1) | instskip(SKIP_2) | instid1(VALU_DEP_2)
	v_add_co_ci_u32_e64 v153, null, s28, 0, s3
	s_lshl_b64 s[6:7], s[12:13], 1
	s_lshl_b64 s[10:11], s[20:21], 1
	v_add_co_u32 v33, vcc_lo, v152, s6
	s_delay_alu instid0(VALU_DEP_2)
	v_add_co_ci_u32_e32 v34, vcc_lo, s7, v153, vcc_lo
	v_add_co_u32 v35, vcc_lo, v152, s10
	s_lshl_b64 s[12:13], s[24:25], 1
	v_add_co_ci_u32_e32 v36, vcc_lo, s11, v153, vcc_lo
	v_add_co_u32 v37, vcc_lo, v152, s12
	s_lshl_b64 s[20:21], s[26:27], 1
	;; [unrolled: 3-line block ×4, first 2 shown]
	s_waitcnt lgkmcnt(0)
	s_mul_hi_i32 s25, s15, s5
	s_mul_i32 s24, s15, s5
	v_add_co_ci_u32_e32 v146, vcc_lo, s9, v153, vcc_lo
	v_add_co_u32 v147, vcc_lo, v152, s22
	s_lshl_b64 s[24:25], s[24:25], 1
	v_add_co_ci_u32_e32 v148, vcc_lo, s23, v153, vcc_lo
	s_mul_hi_i32 s7, s4, s5
	s_mul_i32 s6, s4, s5
	v_add_co_u32 v149, vcc_lo, v152, s24
	s_lshl_b64 s[6:7], s[6:7], 1
	v_add_co_ci_u32_e32 v150, vcc_lo, s25, v153, vcc_lo
	s_clause 0x7
	global_load_b128 v[65:68], v[33:34], off
	global_load_b128 v[69:72], v[33:34], off offset:16
	global_load_b128 v[57:60], v[35:36], off
	global_load_b128 v[61:64], v[35:36], off offset:16
	;; [unrolled: 2-line block ×4, first 2 shown]
	s_waitcnt vmcnt(22)
	v_wmma_f32_16x16x16_f16 v[137:144], v[1:8], v[25:32], v[121:128]
	s_waitcnt vmcnt(20)
	v_wmma_f32_16x16x16_f16 v[121:128], v[9:16], v[25:32], v[121:128]
	v_add_co_u32 v29, vcc_lo, v152, s6
	v_add_co_ci_u32_e32 v30, vcc_lo, s7, v153, vcc_lo
	s_mul_hi_i32 s7, s17, s5
	s_mul_i32 s6, s17, s5
	s_waitcnt vmcnt(18)
	v_wmma_f32_16x16x16_f16 v[137:144], v[17:24], v[129:136], v[137:144]
	s_lshl_b64 s[4:5], s[6:7], 1
	s_clause 0x1
	global_load_b128 v[9:12], v[145:146], off
	global_load_b128 v[13:16], v[145:146], off offset:16
	v_add_co_u32 v21, vcc_lo, v152, s4
	v_add_co_ci_u32_e32 v22, vcc_lo, s5, v153, vcc_lo
	s_clause 0x7
	global_load_b128 v[1:4], v[147:148], off
	global_load_b128 v[5:8], v[147:148], off offset:16
	global_load_b128 v[33:36], v[149:150], off
	global_load_b128 v[37:40], v[149:150], off offset:16
	;; [unrolled: 2-line block ×4, first 2 shown]
	s_waitcnt vmcnt(26)
	v_wmma_f32_16x16x16_f16 v[121:128], v[81:88], v[129:136], v[121:128]
	ds_load_b128 v[81:84], v151 offset:4096
	ds_load_b128 v[85:88], v151 offset:5120
	v_mbcnt_lo_u32_b32 v130, -1, 0
	s_delay_alu instid0(VALU_DEP_1) | instskip(NEXT) | instid1(VALU_DEP_1)
	v_xor_b32_e32 v131, 16, v130
	v_cmp_gt_i32_e32 vcc_lo, 32, v131
	v_cndmask_b32_e32 v130, v130, v131, vcc_lo
	s_waitcnt vmcnt(24) lgkmcnt(0)
	v_wmma_f32_16x16x16_f16 v[137:144], v[89:96], v[81:88], v[137:144]
	ds_load_b128 v[89:92], v151 offset:6144
	ds_load_b128 v[93:96], v151 offset:7168
	s_waitcnt vmcnt(22)
	v_wmma_f32_16x16x16_f16 v[121:128], v[97:104], v[81:88], v[121:128]
	s_waitcnt vmcnt(0) lgkmcnt(0)
	s_barrier
	buffer_gl0_inv
	v_wmma_f32_16x16x16_f16 v[137:144], v[105:112], v[89:96], v[137:144]
	v_and_b32_e32 v129, 0xe0, v0
	v_wmma_f32_16x16x16_f16 v[121:128], v[113:120], v[89:96], v[121:128]
	s_delay_alu instid0(VALU_DEP_3) | instskip(NEXT) | instid1(VALU_DEP_2)
	v_mul_f32_e32 v96, s19, v137
	v_dual_mul_f32 v104, s19, v126 :: v_dual_add_nc_u32 v129, s16, v129
	v_mul_f32_e32 v95, s19, v138
	v_dual_mul_f32 v93, s19, v140 :: v_dual_mul_f32 v94, s19, v139
	s_delay_alu instid0(VALU_DEP_3) | instskip(SKIP_3) | instid1(VALU_DEP_4)
	v_or_b32_e32 v129, v129, v75
	v_dual_mul_f32 v91, s19, v142 :: v_dual_mul_f32 v106, s19, v124
	v_dual_mul_f32 v92, s19, v141 :: v_dual_mul_f32 v89, s19, v144
	v_mul_f32_e32 v108, s19, v122
	v_or_b32_e32 v131, 2, v129
	v_or_b32_e32 v132, 4, v129
	;; [unrolled: 1-line block ×3, first 2 shown]
	v_cmp_gt_i32_e32 vcc_lo, s18, v129
	v_or_b32_e32 v82, 8, v129
	v_cmp_gt_i32_e64 s3, s18, v131
	v_or_b32_e32 v83, 10, v129
	v_cmp_gt_i32_e64 s4, s18, v132
	v_cndmask_b32_e32 v96, 0xff7fffff, v96, vcc_lo
	v_cmp_gt_i32_e64 s5, s18, v81
	v_cndmask_b32_e64 v95, 0xff7fffff, v95, s3
	v_or_b32_e32 v84, 12, v129
	v_or_b32_e32 v85, 14, v129
	v_cndmask_b32_e64 v94, 0xff7fffff, v94, s4
	v_cndmask_b32_e64 v81, 0xff7fffff, v93, s5
	v_max3_f32 v93, v96, 0xff7fffff, v95
	v_cmp_gt_i32_e64 s6, s18, v82
	v_cmp_gt_i32_e64 s7, s18, v83
	v_or_b32_e32 v86, 16, v129
	v_or_b32_e32 v87, 18, v129
	v_mul_f32_e32 v90, s19, v143
	v_cndmask_b32_e64 v82, 0xff7fffff, v92, s6
	v_cndmask_b32_e64 v83, 0xff7fffff, v91, s7
	v_max3_f32 v81, v93, v94, v81
	v_cmp_gt_i32_e64 s8, s18, v84
	v_cmp_gt_i32_e64 s9, s18, v85
	v_or_b32_e32 v88, 20, v129
	v_or_b32_e32 v97, 22, v129
	v_mul_f32_e32 v109, s19, v121
	;; [unrolled: 8-line block ×4, first 2 shown]
	v_cndmask_b32_e64 v84, 0xff7fffff, v107, s12
	v_cndmask_b32_e64 v85, 0xff7fffff, v106, s13
	v_max3_f32 v81, v81, v82, v83
	v_cmp_gt_i32_e64 s15, s18, v98
	v_cmp_gt_i32_e64 s16, s18, v99
	v_dual_mul_f32 v102, s19, v128 :: v_dual_mul_f32 v103, s19, v127
	s_delay_alu instid0(VALU_DEP_4) | instskip(NEXT) | instid1(VALU_DEP_4)
	v_max3_f32 v81, v81, v84, v85
	v_cndmask_b32_e64 v82, 0xff7fffff, v105, s15
	s_delay_alu instid0(VALU_DEP_4) | instskip(SKIP_2) | instid1(VALU_DEP_3)
	v_cndmask_b32_e64 v83, 0xff7fffff, v104, s16
	v_cmp_gt_i32_e64 s17, s18, v100
	v_cmp_gt_i32_e64 s18, s18, v101
	v_max3_f32 v81, v81, v82, v83
	s_delay_alu instid0(VALU_DEP_3) | instskip(NEXT) | instid1(VALU_DEP_3)
	v_cndmask_b32_e64 v84, 0xff7fffff, v103, s17
	v_cndmask_b32_e64 v85, 0xff7fffff, v102, s18
	v_lshlrev_b32_e32 v83, 2, v130
	s_delay_alu instid0(VALU_DEP_2) | instskip(SKIP_3) | instid1(VALU_DEP_1)
	v_max3_f32 v81, v81, v84, v85
	ds_bpermute_b32 v82, v83, v81
	s_waitcnt lgkmcnt(0)
	v_max_f32_e32 v82, v82, v82
	v_max_f32_e32 v81, v81, v82
	s_delay_alu instid0(VALU_DEP_1) | instskip(SKIP_3) | instid1(VALU_DEP_4)
	v_fma_f32 v82, s19, v137, -v81
	v_fma_f32 v84, s19, v138, -v81
	v_fma_f32 v85, s19, v139, -v81
	v_fma_f32 v86, s19, v140, -v81
	v_mul_f32_e32 v82, 0x3fb8aa3b, v82
	s_delay_alu instid0(VALU_DEP_3) | instskip(NEXT) | instid1(VALU_DEP_3)
	v_dual_mul_f32 v84, 0x3fb8aa3b, v84 :: v_dual_mul_f32 v85, 0x3fb8aa3b, v85
	v_mul_f32_e32 v86, 0x3fb8aa3b, v86
	s_delay_alu instid0(VALU_DEP_3) | instskip(NEXT) | instid1(VALU_DEP_2)
	v_exp_f32_e32 v82, v82
	v_exp_f32_e32 v84, v84
	s_delay_alu instid0(VALU_DEP_2) | instskip(NEXT) | instid1(VALU_DEP_1)
	v_exp_f32_e32 v85, v85
	v_exp_f32_e32 v90, v86
	v_cndmask_b32_e32 v87, 0, v82, vcc_lo
	s_delay_alu instid0(TRANS32_DEP_3) | instskip(SKIP_4) | instid1(VALU_DEP_1)
	v_cndmask_b32_e64 v86, 0, v84, s3
	s_waitcnt_depctr 0xfff
	v_cndmask_b32_e64 v89, 0, v85, s4
	s_mov_b32 s3, exec_lo
	v_add_f32_e32 v84, 0, v87
	v_add_f32_e32 v84, v84, v86
	s_delay_alu instid0(VALU_DEP_1)
	v_add_f32_e32 v84, v84, v89
	v_fma_f32 v88, s19, v141, -v81
	v_fma_f32 v91, s19, v143, -v81
	;; [unrolled: 1-line block ×5, first 2 shown]
	v_mul_f32_e32 v88, 0x3fb8aa3b, v88
	v_fma_f32 v100, s19, v128, -v81
	v_mul_f32_e32 v82, 0x3fb8aa3b, v82
	v_fma_f32 v98, s19, v126, -v81
	v_mul_f32_e32 v97, 0x3fb8aa3b, v95
	v_exp_f32_e32 v92, v88
	v_cndmask_b32_e64 v88, 0, v90, s5
	v_fma_f32 v90, s19, v121, -v81
	v_mul_f32_e32 v91, 0x3fb8aa3b, v91
	v_exp_f32_e32 v82, v82
	v_exp_f32_e32 v99, v97
	v_add_f32_e32 v84, v84, v88
	v_mul_f32_e32 v94, 0x3fb8aa3b, v90
	v_exp_f32_e32 v93, v91
	v_mul_f32_e32 v98, 0x3fb8aa3b, v98
	v_cndmask_b32_e64 v91, 0, v92, s6
	v_fma_f32 v92, s19, v122, -v81
	v_mul_f32_e32 v85, 0x3fb8aa3b, v85
	v_exp_f32_e32 v94, v94
	v_cndmask_b32_e64 v90, 0, v82, s7
	v_add_f32_e32 v82, v84, v91
	v_mul_f32_e32 v92, 0x3fb8aa3b, v92
	v_exp_f32_e32 v85, v85
	v_fma_f32 v84, s19, v123, -v81
	v_cndmask_b32_e64 v93, 0, v93, s8
	v_add_f32_e32 v82, v82, v90
	v_exp_f32_e32 v96, v92
	v_exp_f32_e32 v98, v98
	v_cndmask_b32_e64 v95, 0, v94, s10
	s_delay_alu instid0(VALU_DEP_2) | instskip(NEXT) | instid1(TRANS32_DEP_3)
	v_add_f32_e32 v82, v82, v93
	v_cndmask_b32_e64 v92, 0, v85, s9
	v_fma_f32 v85, s19, v125, -v81
	v_mul_f32_e32 v84, 0x3fb8aa3b, v84
	s_delay_alu instid0(TRANS32_DEP_2) | instskip(SKIP_1) | instid1(VALU_DEP_4)
	v_cndmask_b32_e64 v94, 0, v96, s11
	v_fma_f32 v96, s19, v127, -v81
	v_mul_f32_e32 v85, 0x3fb8aa3b, v85
	s_delay_alu instid0(VALU_DEP_4) | instskip(SKIP_1) | instid1(VALU_DEP_2)
	v_exp_f32_e32 v84, v84
	v_cndmask_b32_e64 v98, 0, v98, s16
	v_exp_f32_e32 v85, v85
	s_waitcnt_depctr 0xfff
	v_cndmask_b32_e64 v97, 0, v84, s12
	v_mul_f32_e32 v84, 0x3fb8aa3b, v96
	v_cndmask_b32_e64 v96, 0, v99, s13
	v_cndmask_b32_e64 v99, 0, v85, s15
	v_mul_f32_e32 v85, 0x3fb8aa3b, v100
	v_add_f32_e32 v82, v82, v92
	v_exp_f32_e32 v84, v84
	s_delay_alu instid0(VALU_DEP_2) | instskip(NEXT) | instid1(VALU_DEP_1)
	v_exp_f32_e32 v85, v85
	v_add_f32_e32 v82, v82, v95
	s_delay_alu instid0(VALU_DEP_1) | instskip(SKIP_4) | instid1(VALU_DEP_1)
	v_add_f32_e32 v82, v82, v94
	s_waitcnt_depctr 0xfff
	v_cndmask_b32_e64 v101, 0, v84, s17
	v_cndmask_b32_e64 v100, 0, v85, s18
	v_add_f32_e32 v82, v82, v97
	v_add_f32_e32 v82, v82, v96
	s_delay_alu instid0(VALU_DEP_1) | instskip(NEXT) | instid1(VALU_DEP_1)
	v_add_f32_e32 v82, v82, v99
	v_add_f32_e32 v82, v82, v98
	s_delay_alu instid0(VALU_DEP_1) | instskip(NEXT) | instid1(VALU_DEP_1)
	v_add_f32_e32 v82, v82, v101
	v_add_f32_e32 v82, v82, v100
	ds_bpermute_b32 v83, v83, v82
	v_cmpx_gt_u32_e32 16, v80
	s_cbranch_execz .LBB181_14
; %bb.13:
	v_mul_u32_u24_e32 v80, 0x44, v78
	s_waitcnt lgkmcnt(0)
	v_add_f32_e32 v82, v82, v83
	s_delay_alu instid0(VALU_DEP_2) | instskip(NEXT) | instid1(VALU_DEP_1)
	v_lshl_add_u32 v80, v79, 2, v80
	v_add_nc_u32_e32 v80, 0x4000, v80
	ds_store_2addr_b32 v80, v81, v82 offset1:136
.LBB181_14:
	s_or_b32 exec_lo, exec_lo, s3
	v_lshlrev_b32_e32 v79, 2, v79
	s_load_b32 s35, s[0:1], 0x94
	s_waitcnt lgkmcnt(0)
	s_barrier
	buffer_gl0_inv
	v_add_nc_u32_e32 v83, 0x4000, v79
	v_cmp_eq_u32_e32 vcc_lo, 1, v78
	v_cmp_eq_u32_e64 s3, 2, v78
	v_cmp_eq_u32_e64 s4, 3, v78
	;; [unrolled: 1-line block ×3, first 2 shown]
	ds_load_2addr_b32 v[79:80], v83 offset1:17
	ds_load_2addr_b32 v[81:82], v83 offset0:34 offset1:51
	ds_load_2addr_b32 v[102:103], v83 offset0:68 offset1:85
	;; [unrolled: 1-line block ×3, first 2 shown]
	v_cmp_eq_u32_e64 s6, 7, v78
	s_waitcnt lgkmcnt(3)
	v_max3_f32 v84, v79, 0xff7fffff, v80
	s_waitcnt lgkmcnt(2)
	s_delay_alu instid0(VALU_DEP_1) | instskip(SKIP_1) | instid1(VALU_DEP_1)
	v_max3_f32 v84, v84, v81, v82
	s_waitcnt lgkmcnt(1)
	v_max3_f32 v84, v84, v102, v103
	s_waitcnt lgkmcnt(0)
	s_delay_alu instid0(VALU_DEP_1) | instskip(NEXT) | instid1(VALU_DEP_1)
	v_max3_f32 v84, v84, v104, v105
	v_sub_f32_e32 v102, v102, v84
	ds_load_2addr_b32 v[106:107], v83 offset0:136 offset1:153
	v_sub_f32_e32 v79, v79, v84
	v_dual_sub_f32 v109, v82, v84 :: v_dual_mul_f32 v112, 0x3fb8aa3b, v102
	s_delay_alu instid0(VALU_DEP_2) | instskip(SKIP_3) | instid1(VALU_DEP_1)
	v_dual_sub_f32 v85, v80, v84 :: v_dual_mul_f32 v108, 0x3fb8aa3b, v79
	ds_load_2addr_b32 v[79:80], v83 offset0:170 offset1:187
	v_mul_f32_e32 v85, 0x3fb8aa3b, v85
	v_exp_f32_e32 v108, v108
	v_exp_f32_e32 v111, v85
	v_mul_f32_e32 v109, 0x3fb8aa3b, v109
	s_waitcnt lgkmcnt(1)
	s_waitcnt_depctr 0xfff
	v_fma_f32 v85, v108, v106, 0
	v_sub_f32_e32 v106, v103, v84
	v_sub_f32_e32 v81, v81, v84
	v_exp_f32_e32 v109, v109
	ds_load_2addr_b32 v[102:103], v83 offset0:238 offset1:255
	v_dual_fmac_f32 v85, v111, v107 :: v_dual_mul_f32 v110, 0x3fb8aa3b, v81
	ds_load_2addr_b32 v[81:82], v83 offset0:204 offset1:221
	v_dual_sub_f32 v83, v104, v84 :: v_dual_mul_f32 v104, 0x3fb8aa3b, v106
	v_exp_f32_e32 v106, v112
	v_exp_f32_e32 v110, v110
	s_waitcnt lgkmcnt(0)
	s_delay_alu instid0(VALU_DEP_1)
	v_mul_f32_e32 v83, 0x3fb8aa3b, v83
	v_exp_f32_e32 v104, v104
	s_barrier
	buffer_gl0_inv
	v_fmac_f32_e32 v85, v110, v79
	v_sub_f32_e32 v79, v105, v84
	v_exp_f32_e32 v105, v83
	s_delay_alu instid0(VALU_DEP_2) | instskip(NEXT) | instid1(VALU_DEP_2)
	v_fmac_f32_e32 v85, v109, v80
	v_mul_f32_e32 v79, 0x3fb8aa3b, v79
	s_delay_alu instid0(VALU_DEP_2) | instskip(NEXT) | instid1(VALU_DEP_2)
	v_dual_cndmask_b32 v80, v108, v111 :: v_dual_fmac_f32 v85, v106, v81
	v_exp_f32_e32 v107, v79
	s_delay_alu instid0(VALU_DEP_1) | instskip(SKIP_2) | instid1(VALU_DEP_1)
	v_fmac_f32_e32 v85, v104, v82
	s_waitcnt_depctr 0xfff
	v_fmac_f32_e32 v85, v105, v102
	v_fmac_f32_e32 v85, v107, v103
	s_delay_alu instid0(VALU_DEP_1) | instskip(NEXT) | instid1(VALU_DEP_1)
	v_add_f32_e32 v102, 0x358637bd, v85
	v_div_scale_f32 v103, null, v102, v102, 1.0
	v_div_scale_f32 v108, vcc_lo, 1.0, v102, 1.0
	s_delay_alu instid0(VALU_DEP_2) | instskip(SKIP_2) | instid1(VALU_DEP_1)
	v_rcp_f32_e32 v112, v103
	s_waitcnt_depctr 0xfff
	v_fma_f32 v79, -v103, v112, 1.0
	v_fmac_f32_e32 v112, v79, v112
	v_cndmask_b32_e64 v79, v80, v110, s3
	v_cmp_eq_u32_e64 s3, 4, v78
	v_lshl_or_b32 v80, v78, 11, v77
	s_delay_alu instid0(VALU_DEP_4) | instskip(NEXT) | instid1(VALU_DEP_4)
	v_mul_f32_e32 v110, v108, v112
	v_cndmask_b32_e64 v81, v79, v109, s4
	v_cmp_eq_u32_e64 s4, 6, v78
	s_delay_alu instid0(VALU_DEP_4) | instskip(SKIP_3) | instid1(VALU_DEP_3)
	v_lshl_or_b32 v78, v75, 4, v80
	v_lshlrev_b32_e32 v79, 2, v75
	v_fma_f32 v82, -v103, v110, v108
	v_cndmask_b32_e64 v83, v81, v106, s3
	v_or_b32_e32 v81, 1, v79
	s_delay_alu instid0(VALU_DEP_3) | instskip(NEXT) | instid1(VALU_DEP_3)
	v_fmac_f32_e32 v110, v82, v112
	v_cndmask_b32_e64 v104, v83, v104, s5
	v_or_b32_e32 v83, 2, v79
	v_or_b32_e32 v82, 3, v79
	v_cmp_eq_u32_e64 s3, 1, v79
	v_fma_f32 v103, -v103, v110, v108
	v_cndmask_b32_e64 v104, v104, v105, s4
	v_cmp_eq_u32_e64 s9, 1, v81
	v_cmp_eq_u32_e64 s10, 1, v83
	;; [unrolled: 1-line block ×3, first 2 shown]
	v_div_fmas_f32 v103, v103, v112, v110
	v_cndmask_b32_e64 v104, v104, v107, s6
	v_cmp_eq_u32_e32 vcc_lo, 2, v79
	v_cmp_eq_u32_e64 s12, 2, v81
	v_cmp_eq_u32_e64 s15, 2, v83
	v_div_fixup_f32 v102, v103, v102, 1.0
	v_cmp_eq_u32_e64 s16, 2, v82
	v_cmp_eq_u32_e64 s18, 3, v82
	;; [unrolled: 1-line block ×4, first 2 shown]
	v_mul_f32_e32 v110, v104, v102
	v_cmp_eq_u32_e64 s17, 3, v83
	v_cmp_eq_u32_e64 s22, 4, v82
	;; [unrolled: 1-line block ×4, first 2 shown]
	v_fma_mixlo_f16 v102, v110, v87, 0
	v_fma_mixlo_f16 v103, v110, v89, 0
	;; [unrolled: 1-line block ×8, first 2 shown]
	v_fma_mixhi_f16 v102, v110, v86, 0
	v_fma_mixhi_f16 v103, v110, v88, 0
	;; [unrolled: 1-line block ×8, first 2 shown]
	ds_store_b128 v78, v[102:105]
	ds_store_b128 v78, v[106:109] offset:1024
	s_waitcnt lgkmcnt(0)
	s_barrier
	buffer_gl0_inv
	ds_load_b128 v[86:89], v80
	ds_load_b128 v[90:93], v80 offset:16
	ds_load_b128 v[94:97], v80 offset:1024
	;; [unrolled: 1-line block ×3, first 2 shown]
	v_cmp_eq_u32_e64 s21, 4, v83
	v_cmp_eq_u32_e64 s24, 5, v82
	;; [unrolled: 1-line block ×13, first 2 shown]
	s_waitcnt lgkmcnt(3)
	v_lshrrev_b32_e32 v102, 16, v86
	s_waitcnt lgkmcnt(2)
	v_lshrrev_b32_e32 v106, 16, v90
	;; [unrolled: 2-line block ×4, first 2 shown]
	v_lshrrev_b32_e32 v103, 16, v87
	v_cndmask_b32_e64 v118, v86, v102, s3
	v_cndmask_b32_e64 v119, v90, v106, s3
	;; [unrolled: 1-line block ×8, first 2 shown]
	v_lshrrev_b32_e32 v107, 16, v91
	v_cndmask_b32_e64 v102, v94, v110, s3
	v_cndmask_b32_e64 v106, v98, v114, s3
	;; [unrolled: 1-line block ×5, first 2 shown]
	v_cndmask_b32_e32 v110, v118, v87, vcc_lo
	v_cndmask_b32_e64 v118, v120, v87, s12
	v_cndmask_b32_e64 v120, v122, v87, s15
	;; [unrolled: 1-line block ×4, first 2 shown]
	v_lshrrev_b32_e32 v111, 16, v95
	v_lshrrev_b32_e32 v115, 16, v99
	v_cndmask_b32_e64 v125, v98, v114, s9
	v_cndmask_b32_e64 v127, v98, v114, s10
	;; [unrolled: 1-line block ×3, first 2 shown]
	v_cndmask_b32_e32 v114, v119, v91, vcc_lo
	v_cndmask_b32_e64 v119, v121, v91, s12
	v_cndmask_b32_e64 v121, v123, v91, s15
	v_cndmask_b32_e32 v90, v102, v95, vcc_lo
	v_cndmask_b32_e32 v91, v106, v99, vcc_lo
	v_cndmask_b32_e64 v102, v124, v95, s12
	v_cndmask_b32_e64 v86, v86, v103, s18
	;; [unrolled: 1-line block ×3, first 2 shown]
	v_lshrrev_b32_e32 v104, 16, v88
	v_lshrrev_b32_e32 v108, 16, v92
	v_cndmask_b32_e64 v106, v126, v95, s15
	v_cndmask_b32_e64 v94, v94, v95, s16
	;; [unrolled: 1-line block ×14, first 2 shown]
	v_lshrrev_b32_e32 v112, 16, v96
	v_cndmask_b32_e64 v98, v98, v88, s5
	v_cndmask_b32_e64 v103, v110, v92, s5
	;; [unrolled: 1-line block ×11, first 2 shown]
	v_lshrrev_b32_e32 v105, 16, v89
	v_lshrrev_b32_e32 v109, 16, v93
	v_cndmask_b32_e64 v92, v98, v104, s6
	v_cndmask_b32_e64 v98, v103, v108, s6
	v_cndmask_b32_e64 v102, v107, v104, s20
	v_cndmask_b32_e64 v103, v110, v108, s20
	v_cndmask_b32_e64 v107, v114, v104, s23
	v_cndmask_b32_e64 v110, v118, v108, s23
	v_cndmask_b32_e64 v91, v91, v112, s20
	v_cndmask_b32_e64 v86, v86, v89, s27
	v_cndmask_b32_e64 v87, v87, v93, s27
	v_lshrrev_b32_e32 v113, 16, v97
	v_cndmask_b32_e64 v88, v88, v112, s6
	v_cndmask_b32_e64 v92, v92, v89, s7
	;; [unrolled: 1-line block ×19, first 2 shown]
	v_perm_b32 v89, v87, v86, 0x5040100
	v_cndmask_b32_e64 v86, v125, v99, s12
	v_cndmask_b32_e64 v104, v88, v113, s8
	v_perm_b32 v88, v102, v98, 0x5040100
	v_perm_b32 v87, v103, v93, 0x5040100
	v_cndmask_b32_e64 v93, v106, v111, s17
	v_cndmask_b32_e64 v94, v94, v111, s18
	;; [unrolled: 1-line block ×5, first 2 shown]
	v_lshrrev_b32_e32 v116, 16, v100
	v_cndmask_b32_e64 v93, v93, v96, s21
	v_cndmask_b32_e64 v94, v94, v96, s22
	;; [unrolled: 1-line block ×11, first 2 shown]
	v_lshrrev_b32_e32 v117, 16, v101
	v_cndmask_b32_e64 v90, v90, v101, s7
	v_cndmask_b32_e64 v93, v93, v97, s26
	;; [unrolled: 1-line block ×12, first 2 shown]
	v_perm_b32 v86, v92, v91, 0x5040100
	v_perm_b32 v93, v94, v93, 0x5040100
	;; [unrolled: 1-line block ×5, first 2 shown]
	s_lshl_b32 s7, s33, 3
	s_mov_b32 s3, exec_lo
	ds_store_b128 v78, v[86:89]
	ds_store_b128 v78, v[90:93] offset:1024
	v_cmpx_gt_u32_e32 8, v0
	s_cbranch_execz .LBB181_16
; %bb.15:
	v_or_b32_e32 v86, s31, v0
	s_load_b128 s[8:11], s[0:1], 0x58
	s_delay_alu instid0(VALU_DEP_1) | instskip(NEXT) | instid1(VALU_DEP_1)
	v_mad_u64_u32 v[87:88], null, s7, s34, v[86:87]
	v_mad_u64_u32 v[88:89], null, v87, s35, s[14:15]
	s_delay_alu instid0(VALU_DEP_1) | instskip(NEXT) | instid1(VALU_DEP_1)
	v_ashrrev_i32_e32 v89, 31, v88
	v_lshlrev_b64 v[86:87], 2, v[88:89]
	s_waitcnt lgkmcnt(0)
	s_delay_alu instid0(VALU_DEP_1) | instskip(NEXT) | instid1(VALU_DEP_2)
	v_add_co_u32 v88, vcc_lo, s10, v86
	v_add_co_ci_u32_e32 v89, vcc_lo, s11, v87, vcc_lo
	v_add_co_u32 v86, vcc_lo, s8, v86
	v_add_co_ci_u32_e32 v87, vcc_lo, s9, v87, vcc_lo
	global_store_b32 v[88:89], v84, off
	global_store_b32 v[86:87], v85, off
.LBB181_16:
	s_or_b32 exec_lo, exec_lo, s3
	s_waitcnt lgkmcnt(0)
	s_waitcnt_vscnt null, 0x0
	s_barrier
	buffer_gl0_inv
	ds_load_b128 v[92:95], v77
	ds_load_b128 v[96:99], v77 offset:16
	ds_load_b128 v[104:107], v77 offset:1040
	ds_load_b128 v[100:103], v77 offset:1024
	ds_load_b128 v[112:115], v77 offset:2064
	ds_load_b128 v[108:111], v77 offset:2048
	v_cmp_eq_u32_e32 vcc_lo, 1, v83
	v_mov_b32_e32 v84, 0
	ds_load_b128 v[120:123], v77 offset:3088
	ds_load_b128 v[116:119], v77 offset:3072
	;; [unrolled: 1-line block ×4, first 2 shown]
	v_cmp_eq_u32_e64 s3, 1, v79
	v_cmp_eq_u32_e64 s4, 1, v82
	;; [unrolled: 1-line block ×3, first 2 shown]
	v_mov_b32_e32 v85, v84
	v_mov_b32_e32 v86, v84
	;; [unrolled: 1-line block ×7, first 2 shown]
	v_cmp_eq_u32_e64 s6, 2, v79
	s_waitcnt lgkmcnt(8)
	s_delay_alu instid0(VALU_DEP_2)
	v_wmma_f32_16x16x16_f16 v[84:91], v[65:72], v[92:99], v[84:91]
	ds_load_b128 v[69:72], v77 offset:5136
	ds_load_b128 v[65:68], v77 offset:5120
	;; [unrolled: 1-line block ×4, first 2 shown]
	s_waitcnt lgkmcnt(10)
	v_wmma_f32_16x16x16_f16 v[84:91], v[57:64], v[100:107], v[84:91]
	s_waitcnt lgkmcnt(8)
	s_delay_alu instid0(VALU_DEP_1)
	v_wmma_f32_16x16x16_f16 v[84:91], v[57:64], v[108:115], v[84:91]
	ds_load_b128 v[61:64], v77 offset:7184
	ds_load_b128 v[57:60], v77 offset:7168
	;; [unrolled: 1-line block ×4, first 2 shown]
	s_waitcnt lgkmcnt(10)
	v_wmma_f32_16x16x16_f16 v[84:91], v[49:56], v[116:123], v[84:91]
	s_waitcnt lgkmcnt(8)
	s_delay_alu instid0(VALU_DEP_1)
	v_wmma_f32_16x16x16_f16 v[84:91], v[49:56], v[124:131], v[84:91]
	ds_load_b128 v[53:56], v77 offset:9232
	ds_load_b128 v[49:52], v77 offset:9216
	s_waitcnt lgkmcnt(8)
	v_wmma_f32_16x16x16_f16 v[84:91], v[41:48], v[65:72], v[84:91]
	ds_load_b128 v[69:72], v77 offset:10256
	ds_load_b128 v[65:68], v77 offset:10240
	s_waitcnt lgkmcnt(8)
	;; [unrolled: 4-line block ×7, first 2 shown]
	s_barrier
	buffer_gl0_inv
	v_wmma_f32_16x16x16_f16 v[84:91], v[33:40], v[41:48], v[84:91]
	s_delay_alu instid0(VALU_DEP_1) | instskip(NEXT) | instid1(VALU_DEP_1)
	v_wmma_f32_16x16x16_f16 v[84:91], v[33:40], v[57:64], v[84:91]
	v_wmma_f32_16x16x16_f16 v[84:91], v[25:32], v[9:16], v[84:91]
	s_delay_alu instid0(VALU_DEP_1) | instskip(NEXT) | instid1(VALU_DEP_1)
	v_wmma_f32_16x16x16_f16 v[84:91], v[25:32], v[49:56], v[84:91]
	v_wmma_f32_16x16x16_f16 v[84:91], v[17:24], v[1:8], v[84:91]
	s_delay_alu instid0(VALU_DEP_1) | instskip(NEXT) | instid1(VALU_DEP_2)
	v_cvt_f16_f32_e32 v1, v84
	v_cvt_f16_f32_e32 v2, v85
	s_delay_alu instid0(VALU_DEP_3) | instskip(NEXT) | instid1(VALU_DEP_4)
	v_cvt_f16_f32_e32 v3, v86
	v_cvt_f16_f32_e32 v4, v87
	;; [unrolled: 1-line block ×6, first 2 shown]
	v_pack_b32_f16 v1, v1, v2
	v_pack_b32_f16 v2, v3, v4
	;; [unrolled: 1-line block ×3, first 2 shown]
	s_delay_alu instid0(VALU_DEP_4)
	v_pack_b32_f16 v4, v7, v8
	ds_store_b128 v78, v[1:4]
	s_waitcnt lgkmcnt(0)
	s_barrier
	buffer_gl0_inv
	ds_load_b128 v[1:4], v80
	ds_load_b128 v[5:8], v80 offset:16
	s_waitcnt lgkmcnt(1)
	v_lshrrev_b32_e32 v9, 16, v1
	s_waitcnt lgkmcnt(0)
	v_lshrrev_b32_e32 v13, 16, v5
	v_lshrrev_b32_e32 v10, 16, v2
	;; [unrolled: 1-line block ×4, first 2 shown]
	v_cndmask_b32_e64 v17, v1, v9, s3
	v_cndmask_b32_e64 v18, v5, v13, s3
	;; [unrolled: 1-line block ×3, first 2 shown]
	v_cmp_eq_u32_e64 s3, 2, v81
	v_cndmask_b32_e64 v20, v5, v13, s5
	v_cndmask_b32_e32 v21, v1, v9, vcc_lo
	v_cndmask_b32_e32 v22, v5, v13, vcc_lo
	v_cndmask_b32_e64 v1, v1, v9, s4
	v_cndmask_b32_e64 v5, v5, v13, s4
	v_cmp_eq_u32_e32 vcc_lo, 2, v83
	v_cmp_eq_u32_e64 s4, 2, v82
	v_cndmask_b32_e64 v9, v17, v2, s6
	v_cndmask_b32_e64 v13, v18, v6, s6
	;; [unrolled: 1-line block ×4, first 2 shown]
	v_cndmask_b32_e32 v19, v21, v2, vcc_lo
	v_cmp_eq_u32_e64 s3, 3, v83
	v_cndmask_b32_e32 v20, v22, v6, vcc_lo
	v_cndmask_b32_e64 v1, v1, v2, s4
	v_cmp_eq_u32_e32 vcc_lo, 3, v82
	v_cmp_eq_u32_e64 s5, 3, v79
	v_cndmask_b32_e64 v2, v5, v6, s4
	v_cmp_eq_u32_e64 s4, 3, v81
	v_cmp_eq_u32_e64 s6, 4, v79
	v_cndmask_b32_e32 v1, v1, v10, vcc_lo
	v_cndmask_b32_e64 v5, v9, v10, s5
	v_cndmask_b32_e64 v6, v13, v14, s5
	;; [unrolled: 1-line block ×3, first 2 shown]
	v_cmp_eq_u32_e64 s5, 4, v81
	v_cndmask_b32_e64 v13, v18, v14, s4
	v_cndmask_b32_e64 v17, v19, v10, s3
	v_cndmask_b32_e64 v18, v20, v14, s3
	v_cndmask_b32_e32 v2, v2, v14, vcc_lo
	v_cmp_eq_u32_e32 vcc_lo, 4, v83
	v_cmp_eq_u32_e64 s4, 4, v82
	v_lshrrev_b32_e32 v15, 16, v7
	v_cndmask_b32_e64 v5, v5, v3, s6
	v_cndmask_b32_e64 v6, v6, v7, s6
	v_cndmask_b32_e32 v14, v18, v7, vcc_lo
	v_cndmask_b32_e64 v9, v9, v3, s5
	v_cndmask_b32_e64 v10, v13, v7, s5
	v_cndmask_b32_e32 v13, v17, v3, vcc_lo
	v_cmp_eq_u32_e64 s3, 5, v83
	v_cndmask_b32_e64 v1, v1, v3, s4
	v_cmp_eq_u32_e32 vcc_lo, 5, v82
	v_cmp_eq_u32_e64 s5, 5, v79
	v_cndmask_b32_e64 v2, v2, v7, s4
	v_cmp_eq_u32_e64 s4, 5, v81
	v_cmp_eq_u32_e64 s6, 6, v79
	v_lshrrev_b32_e32 v12, 16, v4
	v_cndmask_b32_e64 v3, v5, v11, s5
	v_cndmask_b32_e64 v5, v6, v15, s5
	;; [unrolled: 1-line block ×3, first 2 shown]
	v_cmp_eq_u32_e64 s5, 6, v81
	v_cndmask_b32_e64 v7, v10, v15, s4
	v_cndmask_b32_e64 v9, v13, v11, s3
	;; [unrolled: 1-line block ×3, first 2 shown]
	v_cndmask_b32_e32 v1, v1, v11, vcc_lo
	v_cndmask_b32_e32 v2, v2, v15, vcc_lo
	v_cmp_eq_u32_e32 vcc_lo, 6, v83
	v_cmp_eq_u32_e64 s3, 6, v82
	v_lshrrev_b32_e32 v16, 16, v8
	v_cndmask_b32_e64 v3, v3, v4, s6
	v_cndmask_b32_e64 v5, v5, v8, s6
	v_cndmask_b32_e32 v9, v9, v4, vcc_lo
	v_cndmask_b32_e64 v6, v6, v4, s5
	v_cndmask_b32_e64 v7, v7, v8, s5
	v_cmp_eq_u32_e64 s4, 7, v83
	v_cndmask_b32_e32 v10, v10, v8, vcc_lo
	v_cndmask_b32_e64 v1, v1, v4, s3
	v_cmp_eq_u32_e32 vcc_lo, 7, v82
	v_cndmask_b32_e64 v2, v2, v8, s3
	v_cmp_eq_u32_e64 s3, 7, v79
	v_cmp_eq_u32_e64 s5, 7, v81
	v_cndmask_b32_e32 v1, v1, v12, vcc_lo
	s_delay_alu instid0(VALU_DEP_4) | instskip(NEXT) | instid1(VALU_DEP_4)
	v_cndmask_b32_e32 v2, v2, v16, vcc_lo
	v_cndmask_b32_e64 v8, v3, v12, s3
	s_delay_alu instid0(VALU_DEP_4)
	v_cndmask_b32_e64 v6, v6, v12, s5
	v_cndmask_b32_e64 v3, v9, v12, s4
	;; [unrolled: 1-line block ×5, first 2 shown]
	v_cmp_gt_u32_e32 vcc_lo, 32, v0
	v_perm_b32 v4, v2, v1, 0x5040100
	v_perm_b32 v3, v9, v3, 0x5040100
	;; [unrolled: 1-line block ×4, first 2 shown]
	s_and_b32 s2, vcc_lo, s2
	ds_store_b128 v78, v[1:4]
	s_waitcnt lgkmcnt(0)
	s_barrier
	buffer_gl0_inv
	s_and_saveexec_b32 s3, s2
	s_cbranch_execz .LBB181_2
; %bb.17:
	s_load_b64 s[0:1], s[0:1], 0x68
	s_lshl_b32 s4, s35, 6
	v_or_b32_e32 v2, s31, v75
	s_mul_i32 s2, s4, s34
	v_lshlrev_b32_e32 v1, 10, v0
	s_mul_i32 s2, s2, s7
	v_lshlrev_b32_e32 v3, 4, v76
	v_mul_lo_u32 v0, v2, s4
	s_ashr_i32 s3, s2, 31
	v_lshlrev_b32_e32 v4, 6, v75
	v_and_b32_e32 v1, 0x3800, v1
	v_or_b32_e32 v5, 2, v2
	s_lshl_b64 s[2:3], s[2:3], 1
	v_or_b32_e32 v6, 4, v2
	v_or_b32_e32 v7, 6, v2
	v_or3_b32 v12, v1, v3, v4
	v_ashrrev_i32_e32 v1, 31, v0
	v_mul_lo_u32 v2, v5, s4
	v_mul_lo_u32 v16, v6, s4
	;; [unrolled: 1-line block ×3, first 2 shown]
	s_waitcnt lgkmcnt(0)
	s_add_u32 s2, s0, s2
	s_addc_u32 s3, s1, s3
	s_lshl_b32 s0, s14, 6
	v_lshlrev_b64 v[0:1], 1, v[0:1]
	s_ashr_i32 s1, s0, 31
	v_ashrrev_i32_e32 v3, 31, v2
	s_lshl_b64 s[0:1], s[0:1], 1
	v_ashrrev_i32_e32 v17, 31, v16
	s_add_u32 s0, s2, s0
	s_addc_u32 s1, s3, s1
	v_add_co_u32 v24, vcc_lo, s0, v73
	v_add_co_ci_u32_e32 v25, vcc_lo, s1, v74, vcc_lo
	v_lshlrev_b64 v[22:23], 1, v[2:3]
	s_delay_alu instid0(VALU_DEP_3) | instskip(NEXT) | instid1(VALU_DEP_3)
	v_add_co_u32 v18, vcc_lo, v24, v0
	v_add_co_ci_u32_e32 v19, vcc_lo, v25, v1, vcc_lo
	ds_load_b128 v[0:3], v12
	ds_load_b128 v[4:7], v12 offset:128
	ds_load_b128 v[8:11], v12 offset:256
	;; [unrolled: 1-line block ×3, first 2 shown]
	v_ashrrev_i32_e32 v21, 31, v20
	v_lshlrev_b64 v[16:17], 1, v[16:17]
	v_add_co_u32 v22, vcc_lo, v24, v22
	v_add_co_ci_u32_e32 v23, vcc_lo, v25, v23, vcc_lo
	s_delay_alu instid0(VALU_DEP_4) | instskip(NEXT) | instid1(VALU_DEP_4)
	v_lshlrev_b64 v[20:21], 1, v[20:21]
	v_add_co_u32 v16, vcc_lo, v24, v16
	v_add_co_ci_u32_e32 v17, vcc_lo, v25, v17, vcc_lo
	s_delay_alu instid0(VALU_DEP_3) | instskip(NEXT) | instid1(VALU_DEP_4)
	v_add_co_u32 v20, vcc_lo, v24, v20
	v_add_co_ci_u32_e32 v21, vcc_lo, v25, v21, vcc_lo
	s_waitcnt lgkmcnt(3)
	global_store_b128 v[18:19], v[0:3], off
	s_waitcnt lgkmcnt(2)
	global_store_b128 v[22:23], v[4:7], off
	;; [unrolled: 2-line block ×4, first 2 shown]
	s_nop 0
	s_sendmsg sendmsg(MSG_DEALLOC_VGPRS)
	s_endpgm
	.section	.rodata,"a",@progbits
	.p2align	6, 0x0
	.amdhsa_kernel _Z39paged_attention_ll4mi_QKV_mfma16_kernelIDF16_DF16_LN4vllm18Fp8KVCacheDataTypeE0EDF16_Li32ELi64ELi256ELb0ELi8EL8MFMAType0EEvPKT_PKT0_S8_ifPKiSA_SA_iPKfiiiPfSD_PS3_PT2_iSC_SC_
		.amdhsa_group_segment_fixed_size 17472
		.amdhsa_private_segment_fixed_size 0
		.amdhsa_kernarg_size 400
		.amdhsa_user_sgpr_count 13
		.amdhsa_user_sgpr_dispatch_ptr 0
		.amdhsa_user_sgpr_queue_ptr 0
		.amdhsa_user_sgpr_kernarg_segment_ptr 1
		.amdhsa_user_sgpr_dispatch_id 0
		.amdhsa_user_sgpr_private_segment_size 0
		.amdhsa_wavefront_size32 1
		.amdhsa_uses_dynamic_stack 0
		.amdhsa_enable_private_segment 0
		.amdhsa_system_sgpr_workgroup_id_x 1
		.amdhsa_system_sgpr_workgroup_id_y 1
		.amdhsa_system_sgpr_workgroup_id_z 1
		.amdhsa_system_sgpr_workgroup_info 0
		.amdhsa_system_vgpr_workitem_id 0
		.amdhsa_next_free_vgpr 154
		.amdhsa_next_free_sgpr 39
		.amdhsa_reserve_vcc 1
		.amdhsa_float_round_mode_32 0
		.amdhsa_float_round_mode_16_64 0
		.amdhsa_float_denorm_mode_32 3
		.amdhsa_float_denorm_mode_16_64 3
		.amdhsa_dx10_clamp 1
		.amdhsa_ieee_mode 1
		.amdhsa_fp16_overflow 0
		.amdhsa_workgroup_processor_mode 1
		.amdhsa_memory_ordered 1
		.amdhsa_forward_progress 0
		.amdhsa_shared_vgpr_count 0
		.amdhsa_exception_fp_ieee_invalid_op 0
		.amdhsa_exception_fp_denorm_src 0
		.amdhsa_exception_fp_ieee_div_zero 0
		.amdhsa_exception_fp_ieee_overflow 0
		.amdhsa_exception_fp_ieee_underflow 0
		.amdhsa_exception_fp_ieee_inexact 0
		.amdhsa_exception_int_div_zero 0
	.end_amdhsa_kernel
	.section	.text._Z39paged_attention_ll4mi_QKV_mfma16_kernelIDF16_DF16_LN4vllm18Fp8KVCacheDataTypeE0EDF16_Li32ELi64ELi256ELb0ELi8EL8MFMAType0EEvPKT_PKT0_S8_ifPKiSA_SA_iPKfiiiPfSD_PS3_PT2_iSC_SC_,"axG",@progbits,_Z39paged_attention_ll4mi_QKV_mfma16_kernelIDF16_DF16_LN4vllm18Fp8KVCacheDataTypeE0EDF16_Li32ELi64ELi256ELb0ELi8EL8MFMAType0EEvPKT_PKT0_S8_ifPKiSA_SA_iPKfiiiPfSD_PS3_PT2_iSC_SC_,comdat
.Lfunc_end181:
	.size	_Z39paged_attention_ll4mi_QKV_mfma16_kernelIDF16_DF16_LN4vllm18Fp8KVCacheDataTypeE0EDF16_Li32ELi64ELi256ELb0ELi8EL8MFMAType0EEvPKT_PKT0_S8_ifPKiSA_SA_iPKfiiiPfSD_PS3_PT2_iSC_SC_, .Lfunc_end181-_Z39paged_attention_ll4mi_QKV_mfma16_kernelIDF16_DF16_LN4vllm18Fp8KVCacheDataTypeE0EDF16_Li32ELi64ELi256ELb0ELi8EL8MFMAType0EEvPKT_PKT0_S8_ifPKiSA_SA_iPKfiiiPfSD_PS3_PT2_iSC_SC_
                                        ; -- End function
	.section	.AMDGPU.csdata,"",@progbits
; Kernel info:
; codeLenInByte = 7200
; NumSgprs: 41
; NumVgprs: 154
; ScratchSize: 0
; MemoryBound: 0
; FloatMode: 240
; IeeeMode: 1
; LDSByteSize: 17472 bytes/workgroup (compile time only)
; SGPRBlocks: 5
; VGPRBlocks: 19
; NumSGPRsForWavesPerEU: 41
; NumVGPRsForWavesPerEU: 154
; Occupancy: 9
; WaveLimiterHint : 1
; COMPUTE_PGM_RSRC2:SCRATCH_EN: 0
; COMPUTE_PGM_RSRC2:USER_SGPR: 13
; COMPUTE_PGM_RSRC2:TRAP_HANDLER: 0
; COMPUTE_PGM_RSRC2:TGID_X_EN: 1
; COMPUTE_PGM_RSRC2:TGID_Y_EN: 1
; COMPUTE_PGM_RSRC2:TGID_Z_EN: 1
; COMPUTE_PGM_RSRC2:TIDIG_COMP_CNT: 0
	.section	.text._Z39paged_attention_ll4mi_QKV_mfma16_kernelIDF16_DF16_LN4vllm18Fp8KVCacheDataTypeE0EDF16_Li32ELi64ELi256ELb0ELi9EL8MFMAType0EEvPKT_PKT0_S8_ifPKiSA_SA_iPKfiiiPfSD_PS3_PT2_iSC_SC_,"axG",@progbits,_Z39paged_attention_ll4mi_QKV_mfma16_kernelIDF16_DF16_LN4vllm18Fp8KVCacheDataTypeE0EDF16_Li32ELi64ELi256ELb0ELi9EL8MFMAType0EEvPKT_PKT0_S8_ifPKiSA_SA_iPKfiiiPfSD_PS3_PT2_iSC_SC_,comdat
	.protected	_Z39paged_attention_ll4mi_QKV_mfma16_kernelIDF16_DF16_LN4vllm18Fp8KVCacheDataTypeE0EDF16_Li32ELi64ELi256ELb0ELi9EL8MFMAType0EEvPKT_PKT0_S8_ifPKiSA_SA_iPKfiiiPfSD_PS3_PT2_iSC_SC_ ; -- Begin function _Z39paged_attention_ll4mi_QKV_mfma16_kernelIDF16_DF16_LN4vllm18Fp8KVCacheDataTypeE0EDF16_Li32ELi64ELi256ELb0ELi9EL8MFMAType0EEvPKT_PKT0_S8_ifPKiSA_SA_iPKfiiiPfSD_PS3_PT2_iSC_SC_
	.globl	_Z39paged_attention_ll4mi_QKV_mfma16_kernelIDF16_DF16_LN4vllm18Fp8KVCacheDataTypeE0EDF16_Li32ELi64ELi256ELb0ELi9EL8MFMAType0EEvPKT_PKT0_S8_ifPKiSA_SA_iPKfiiiPfSD_PS3_PT2_iSC_SC_
	.p2align	8
	.type	_Z39paged_attention_ll4mi_QKV_mfma16_kernelIDF16_DF16_LN4vllm18Fp8KVCacheDataTypeE0EDF16_Li32ELi64ELi256ELb0ELi9EL8MFMAType0EEvPKT_PKT0_S8_ifPKiSA_SA_iPKfiiiPfSD_PS3_PT2_iSC_SC_,@function
_Z39paged_attention_ll4mi_QKV_mfma16_kernelIDF16_DF16_LN4vllm18Fp8KVCacheDataTypeE0EDF16_Li32ELi64ELi256ELb0ELi9EL8MFMAType0EEvPKT_PKT0_S8_ifPKiSA_SA_iPKfiiiPfSD_PS3_PT2_iSC_SC_: ; @_Z39paged_attention_ll4mi_QKV_mfma16_kernelIDF16_DF16_LN4vllm18Fp8KVCacheDataTypeE0EDF16_Li32ELi64ELi256ELb0ELi9EL8MFMAType0EEvPKT_PKT0_S8_ifPKiSA_SA_iPKfiiiPfSD_PS3_PT2_iSC_SC_
; %bb.0:
	s_load_b64 s[2:3], s[0:1], 0x30
	s_mov_b32 s34, s13
	s_waitcnt lgkmcnt(0)
	s_cmp_lg_u64 s[2:3], 0
	s_cselect_b32 s6, -1, 0
	s_ashr_i32 s35, s13, 31
	s_cmp_eq_u64 s[2:3], 0
	s_cbranch_scc1 .LBB182_3
; %bb.1:
	s_lshl_b64 s[4:5], s[34:35], 2
	s_delay_alu instid0(SALU_CYCLE_1) | instskip(SKIP_4) | instid1(SALU_CYCLE_1)
	s_add_u32 s4, s2, s4
	s_addc_u32 s5, s3, s5
	s_load_b64 s[4:5], s[4:5], 0x0
	s_waitcnt lgkmcnt(0)
	s_sub_i32 s4, s5, s4
	s_cmp_eq_u32 s4, 1
	s_cselect_b32 s4, -1, 0
	s_delay_alu instid0(SALU_CYCLE_1)
	s_and_not1_b32 vcc_lo, exec_lo, s4
	s_cbranch_vccz .LBB182_4
.LBB182_2:
	s_nop 0
	s_sendmsg sendmsg(MSG_DEALLOC_VGPRS)
	s_endpgm
.LBB182_3:
.LBB182_4:
	s_load_b64 s[8:9], s[0:1], 0x28
	s_lshl_b64 s[4:5], s[34:35], 2
	s_waitcnt lgkmcnt(0)
	s_add_u32 s8, s8, s4
	s_addc_u32 s9, s9, s5
	s_lshl_b32 s16, s14, 8
	s_load_b32 s18, s[8:9], 0x0
	s_waitcnt lgkmcnt(0)
	s_cmp_ge_i32 s16, s18
	s_cbranch_scc1 .LBB182_2
; %bb.5:
	s_and_not1_b32 vcc_lo, exec_lo, s6
	s_cbranch_vccnz .LBB182_7
; %bb.6:
	s_add_u32 s2, s2, s4
	s_addc_u32 s3, s3, s5
	s_load_b32 s17, s[2:3], 0x0
	s_branch .LBB182_8
.LBB182_7:
	s_mov_b32 s17, s34
.LBB182_8:
	s_clause 0x2
	s_load_b128 s[8:11], s[0:1], 0x8
	s_load_b64 s[12:13], s[0:1], 0x20
	s_load_b128 s[4:7], s[0:1], 0x48
	v_lshrrev_b32_e32 v78, 5, v0
	v_bfe_u32 v75, v0, 4, 1
	v_and_b32_e32 v77, 15, v0
	s_delay_alu instid0(VALU_DEP_2) | instskip(NEXT) | instid1(VALU_DEP_2)
	v_lshl_or_b32 v3, v78, 1, v75
	v_cmp_lt_u32_e64 s3, 7, v77
	v_lshlrev_b32_e32 v1, 3, v77
	v_cmp_gt_u32_e64 s2, 8, v77
	s_delay_alu instid0(VALU_DEP_4) | instskip(NEXT) | instid1(VALU_DEP_4)
	v_cmp_lt_u32_e32 vcc_lo, 8, v3
	s_or_b32 s3, s3, vcc_lo
	s_waitcnt lgkmcnt(0)
	s_and_saveexec_b32 s7, s3
	s_delay_alu instid0(SALU_CYCLE_1)
	s_xor_b32 s3, exec_lo, s7
; %bb.9:
	v_mov_b32_e32 v2, 0
                                        ; implicit-def: $vgpr3
; %bb.10:
	s_or_saveexec_b32 s3, s3
	v_and_b32_e32 v80, 31, v0
	v_and_b32_e32 v76, 1, v0
	s_mul_i32 s33, s15, 9
	s_xor_b32 exec_lo, exec_lo, s3
	s_cbranch_execz .LBB182_12
; %bb.11:
	s_load_b64 s[20:21], s[0:1], 0x0
	v_add_lshl_u32 v4, v3, s33, 6
	s_mul_hi_i32 s23, s17, s4
	s_mul_i32 s22, s17, s4
	v_lshlrev_b32_e32 v2, 1, v1
	s_lshl_b64 s[22:23], s[22:23], 1
	v_ashrrev_i32_e32 v5, 31, v4
	v_lshlrev_b32_e32 v3, 6, v3
	v_lshlrev_b32_e32 v8, 10, v76
	s_delay_alu instid0(VALU_DEP_3) | instskip(SKIP_3) | instid1(VALU_DEP_1)
	v_lshlrev_b64 v[4:5], 1, v[4:5]
	s_waitcnt lgkmcnt(0)
	s_add_u32 s4, s20, s22
	s_addc_u32 s7, s21, s23
	v_add_co_u32 v4, vcc_lo, s4, v4
	s_delay_alu instid0(VALU_DEP_2) | instskip(NEXT) | instid1(VALU_DEP_2)
	v_add_co_ci_u32_e32 v5, vcc_lo, s7, v5, vcc_lo
	v_add_co_u32 v4, vcc_lo, v4, v2
	s_delay_alu instid0(VALU_DEP_2) | instskip(SKIP_3) | instid1(VALU_DEP_1)
	v_add_co_ci_u32_e32 v5, vcc_lo, 0, v5, vcc_lo
	v_lshlrev_b32_e32 v2, 10, v77
	global_load_b128 v[4:7], v[4:5], off
	v_and_b32_e32 v2, 0x3800, v2
	v_or3_b32 v3, v2, v8, v3
	v_mov_b32_e32 v2, 0
	s_waitcnt vmcnt(0)
	ds_store_b128 v3, v[4:7]
.LBB182_12:
	s_or_b32 exec_lo, exec_lo, s3
	v_and_b32_e32 v3, 0xef, v0
	s_add_i32 s3, s18, 31
	s_clause 0x1
	s_load_b32 s4, s[0:1], 0x38
	s_load_b32 s35, s[0:1], 0x98
	s_ashr_i32 s7, s3, 31
	v_add_nc_u32_e32 v3, s16, v3
	s_lshr_b32 s7, s7, 27
	s_load_b32 s19, s[0:1], 0x1c
	s_add_i32 s3, s3, s7
	s_waitcnt lgkmcnt(0)
	v_ashrrev_i32_e32 v4, 31, v3
	v_cmp_gt_i32_e32 vcc_lo, s18, v3
	s_ashr_i32 s3, s3, 5
	s_barrier
	s_add_i32 s3, s3, -1
	v_lshrrev_b32_e32 v5, 27, v4
	v_or_b32_e32 v4, 16, v3
	buffer_gl0_inv
	s_mul_i32 s6, s15, s6
	v_lshlrev_b64 v[73:74], 1, v[1:2]
	v_add_nc_u32_e32 v6, v3, v5
	v_add_nc_u32_e32 v5, v4, v5
	s_mul_i32 s20, s34, s4
	s_delay_alu instid0(SALU_CYCLE_1) | instskip(NEXT) | instid1(VALU_DEP_2)
	s_ashr_i32 s21, s20, 31
	v_ashrrev_i32_e32 v6, 5, v6
	s_delay_alu instid0(VALU_DEP_2) | instskip(SKIP_1) | instid1(SALU_CYCLE_1)
	v_ashrrev_i32_e32 v5, 5, v5
	s_lshl_b64 s[20:21], s[20:21], 2
	s_add_u32 s4, s12, s20
	s_delay_alu instid0(VALU_DEP_2) | instskip(SKIP_3) | instid1(SALU_CYCLE_1)
	v_cndmask_b32_e32 v3, s3, v6, vcc_lo
	v_cmp_gt_i32_e32 vcc_lo, s18, v4
	s_addc_u32 s17, s13, s21
	s_ashr_i32 s7, s6, 31
	s_lshl_b64 s[6:7], s[6:7], 1
	v_cndmask_b32_e32 v5, s3, v5, vcc_lo
	v_ashrrev_i32_e32 v4, 31, v3
	s_add_u32 s15, s8, s6
	s_addc_u32 s28, s9, s7
	s_lshl_b32 s8, s14, 3
	v_ashrrev_i32_e32 v6, 31, v5
	v_lshlrev_b64 v[3:4], 2, v[3:4]
	s_ashr_i32 s9, s8, 31
	s_delay_alu instid0(SALU_CYCLE_1) | instskip(NEXT) | instid1(VALU_DEP_2)
	s_lshl_b64 s[8:9], s[8:9], 2
	v_lshlrev_b64 v[5:6], 2, v[5:6]
	s_add_u32 s8, s4, s8
	s_delay_alu instid0(VALU_DEP_2) | instskip(SKIP_1) | instid1(VALU_DEP_3)
	v_add_co_u32 v3, vcc_lo, s4, v3
	v_add_co_ci_u32_e32 v4, vcc_lo, s17, v4, vcc_lo
	v_add_co_u32 v5, vcc_lo, s4, v5
	s_delay_alu instid0(VALU_DEP_4)
	v_add_co_ci_u32_e32 v6, vcc_lo, s17, v6, vcc_lo
	s_addc_u32 s9, s17, s9
	s_clause 0x1
	global_load_b32 v7, v[3:4], off
	global_load_b32 v8, v[5:6], off
	s_or_b32 s12, s16, 32
	s_delay_alu instid0(SALU_CYCLE_1) | instskip(SKIP_2) | instid1(SALU_CYCLE_1)
	s_ashr_i32 s13, s12, 5
	s_cmp_lt_i32 s12, s18
	s_cselect_b32 s12, s13, s3
	s_ashr_i32 s13, s12, 31
	s_delay_alu instid0(SALU_CYCLE_1) | instskip(NEXT) | instid1(SALU_CYCLE_1)
	s_lshl_b64 s[12:13], s[12:13], 2
	s_add_u32 s12, s4, s12
	s_addc_u32 s13, s17, s13
	s_or_b32 s20, s16, 64
	s_delay_alu instid0(SALU_CYCLE_1) | instskip(SKIP_2) | instid1(SALU_CYCLE_1)
	s_ashr_i32 s21, s20, 5
	s_cmp_lt_i32 s20, s18
	s_cselect_b32 s20, s21, s3
	s_ashr_i32 s21, s20, 31
	s_delay_alu instid0(SALU_CYCLE_1) | instskip(NEXT) | instid1(SALU_CYCLE_1)
	s_lshl_b64 s[20:21], s[20:21], 2
	s_add_u32 s20, s4, s20
	s_addc_u32 s21, s17, s21
	;; [unrolled: 10-line block ×5, first 2 shown]
	s_clause 0x5
	s_load_b32 s29, s[8:9], 0x0
	s_load_b32 s30, s[12:13], 0x0
	;; [unrolled: 1-line block ×6, first 2 shown]
	s_mov_b32 s20, 0
	s_or_b32 s8, s16, 0xc0
	s_mov_b32 s21, s20
	s_mov_b32 s22, s20
	;; [unrolled: 1-line block ×7, first 2 shown]
	s_ashr_i32 s9, s8, 5
	v_mov_b32_e32 v128, s27
	s_cmp_lt_i32 s8, s18
	v_mov_b32_e32 v127, s26
	s_cselect_b32 s8, s9, s3
	v_mov_b32_e32 v126, s25
	s_ashr_i32 s9, s8, 31
	v_mov_b32_e32 v125, s24
	s_lshl_b64 s[8:9], s[8:9], 2
	v_mov_b32_e32 v124, s23
	s_add_u32 s8, s4, s8
	s_addc_u32 s9, s17, s9
	v_mov_b32_e32 v123, s22
	v_mov_b32_e32 v121, s20
	s_waitcnt lgkmcnt(0)
	s_mul_hi_i32 s13, s29, s5
	s_mul_i32 s12, s29, s5
	v_mov_b32_e32 v122, s21
	s_mul_hi_i32 s21, s30, s5
	s_mul_i32 s20, s30, s5
	s_mul_hi_i32 s25, s31, s5
	s_mul_i32 s24, s31, s5
	;; [unrolled: 2-line block ×4, first 2 shown]
	s_waitcnt vmcnt(1)
	v_mad_i64_i32 v[3:4], null, v7, s5, 0
	s_waitcnt vmcnt(0)
	v_mad_i64_i32 v[5:6], null, v8, s5, 0
	s_delay_alu instid0(VALU_DEP_2) | instskip(NEXT) | instid1(VALU_DEP_2)
	v_lshlrev_b64 v[3:4], 1, v[3:4]
	v_lshlrev_b64 v[1:2], 1, v[5:6]
	s_delay_alu instid0(VALU_DEP_2) | instskip(NEXT) | instid1(VALU_DEP_3)
	v_add_co_u32 v3, vcc_lo, s15, v3
	v_add_co_ci_u32_e32 v4, vcc_lo, s28, v4, vcc_lo
	s_delay_alu instid0(VALU_DEP_3) | instskip(NEXT) | instid1(VALU_DEP_4)
	v_add_co_u32 v1, vcc_lo, s15, v1
	v_add_co_ci_u32_e32 v2, vcc_lo, s28, v2, vcc_lo
	s_delay_alu instid0(VALU_DEP_4) | instskip(NEXT) | instid1(VALU_DEP_4)
	v_add_co_u32 v25, vcc_lo, v3, v73
	v_add_co_ci_u32_e32 v26, vcc_lo, v4, v74, vcc_lo
	s_delay_alu instid0(VALU_DEP_4) | instskip(NEXT) | instid1(VALU_DEP_4)
	v_add_co_u32 v27, vcc_lo, v1, v73
	v_add_co_ci_u32_e32 v28, vcc_lo, v2, v74, vcc_lo
	s_clause 0xf
	global_load_b128 v[1:4], v[25:26], off
	global_load_b128 v[5:8], v[25:26], off offset:512
	global_load_b128 v[9:12], v[27:28], off offset:256
	;; [unrolled: 1-line block ×15, first 2 shown]
	v_add_nc_u32_e32 v25, -9, v77
	v_cmp_gt_u32_e32 vcc_lo, 9, v77
	s_or_b32 s15, s16, 0xe0
	s_delay_alu instid0(SALU_CYCLE_1) | instskip(SKIP_3) | instid1(SALU_CYCLE_1)
	s_ashr_i32 s22, s15, 5
	s_cmp_lt_i32 s15, s18
	v_cndmask_b32_e32 v25, v25, v77, vcc_lo
	s_cselect_b32 s22, s22, s3
	s_ashr_i32 s23, s22, 31
	s_delay_alu instid0(VALU_DEP_1)
	v_lshlrev_b32_e32 v151, 6, v25
	ds_load_b128 v[25:28], v151
	ds_load_b128 v[29:32], v151 offset:1024
	ds_load_b128 v[129:132], v151 offset:2048
	;; [unrolled: 1-line block ×3, first 2 shown]
	s_lshl_b64 s[22:23], s[22:23], 2
	s_delay_alu instid0(SALU_CYCLE_1) | instskip(SKIP_2) | instid1(SALU_CYCLE_1)
	s_add_u32 s22, s4, s22
	s_addc_u32 s23, s17, s23
	s_add_i32 s15, s16, 0x100
	s_ashr_i32 s28, s15, 5
	s_cmp_lt_i32 s15, s18
	s_load_b32 s15, s[8:9], 0x0
	s_cselect_b32 s28, s28, s3
	s_mul_hi_i32 s9, s37, s5
	s_ashr_i32 s29, s28, 31
	s_mul_i32 s8, s37, s5
	s_lshl_b64 s[28:29], s[28:29], 2
	s_delay_alu instid0(SALU_CYCLE_1)
	s_add_u32 s28, s4, s28
	s_addc_u32 s29, s17, s29
	s_add_u32 s3, s10, s6
	s_clause 0x1
	s_load_b32 s4, s[22:23], 0x0
	s_load_b32 s17, s[28:29], 0x0
	s_addc_u32 s28, s11, s7
	s_lshl_b64 s[6:7], s[12:13], 1
	s_lshl_b64 s[10:11], s[20:21], 1
	;; [unrolled: 1-line block ×6, first 2 shown]
	s_waitcnt lgkmcnt(0)
	s_mul_hi_i32 s25, s15, s5
	s_mul_i32 s24, s15, s5
	s_delay_alu instid0(SALU_CYCLE_1)
	s_lshl_b64 s[24:25], s[24:25], 1
	s_waitcnt vmcnt(14)
	v_wmma_f32_16x16x16_f16 v[137:144], v[1:8], v[25:32], v[121:128]
	s_waitcnt vmcnt(12)
	v_wmma_f32_16x16x16_f16 v[121:128], v[9:16], v[25:32], v[121:128]
	s_waitcnt vmcnt(10)
	s_delay_alu instid0(VALU_DEP_2) | instskip(SKIP_1) | instid1(VALU_DEP_2)
	v_wmma_f32_16x16x16_f16 v[137:144], v[17:24], v[129:136], v[137:144]
	s_waitcnt vmcnt(8)
	v_wmma_f32_16x16x16_f16 v[121:128], v[81:88], v[129:136], v[121:128]
	v_mbcnt_lo_u32_b32 v130, -1, 0
	s_delay_alu instid0(VALU_DEP_1) | instskip(SKIP_1) | instid1(VALU_DEP_1)
	v_xor_b32_e32 v131, 16, v130
	v_lshlrev_b32_e32 v79, 6, v77
	v_lshl_or_b32 v33, v78, 10, v79
	s_delay_alu instid0(VALU_DEP_1) | instskip(NEXT) | instid1(VALU_DEP_1)
	v_add_co_u32 v152, s3, s3, v33
	v_add_co_ci_u32_e64 v153, null, s28, 0, s3
	s_delay_alu instid0(VALU_DEP_2) | instskip(NEXT) | instid1(VALU_DEP_2)
	v_add_co_u32 v33, vcc_lo, v152, s6
	v_add_co_ci_u32_e32 v34, vcc_lo, s7, v153, vcc_lo
	v_add_co_u32 v35, vcc_lo, v152, s10
	v_add_co_ci_u32_e32 v36, vcc_lo, s11, v153, vcc_lo
	;; [unrolled: 2-line block ×6, first 2 shown]
	s_mul_hi_i32 s7, s4, s5
	s_mul_i32 s6, s4, s5
	v_add_co_u32 v149, vcc_lo, v152, s24
	s_lshl_b64 s[6:7], s[6:7], 1
	v_add_co_ci_u32_e32 v150, vcc_lo, s25, v153, vcc_lo
	v_add_co_u32 v29, vcc_lo, v152, s6
	v_add_co_ci_u32_e32 v30, vcc_lo, s7, v153, vcc_lo
	s_mul_hi_i32 s7, s17, s5
	s_mul_i32 s6, s17, s5
	s_clause 0x7
	global_load_b128 v[65:68], v[33:34], off
	global_load_b128 v[69:72], v[33:34], off offset:16
	global_load_b128 v[57:60], v[35:36], off
	global_load_b128 v[61:64], v[35:36], off offset:16
	;; [unrolled: 2-line block ×4, first 2 shown]
	s_lshl_b64 s[4:5], s[6:7], 1
	s_clause 0x1
	global_load_b128 v[9:12], v[145:146], off
	global_load_b128 v[13:16], v[145:146], off offset:16
	v_add_co_u32 v21, vcc_lo, v152, s4
	v_add_co_ci_u32_e32 v22, vcc_lo, s5, v153, vcc_lo
	s_clause 0x7
	global_load_b128 v[1:4], v[147:148], off
	global_load_b128 v[5:8], v[147:148], off offset:16
	global_load_b128 v[33:36], v[149:150], off
	global_load_b128 v[37:40], v[149:150], off offset:16
	;; [unrolled: 2-line block ×4, first 2 shown]
	ds_load_b128 v[81:84], v151 offset:4096
	ds_load_b128 v[85:88], v151 offset:5120
	v_cmp_gt_i32_e32 vcc_lo, 32, v131
	v_cndmask_b32_e32 v130, v130, v131, vcc_lo
	s_waitcnt vmcnt(24) lgkmcnt(0)
	v_wmma_f32_16x16x16_f16 v[137:144], v[89:96], v[81:88], v[137:144]
	ds_load_b128 v[89:92], v151 offset:6144
	ds_load_b128 v[93:96], v151 offset:7168
	s_waitcnt vmcnt(22)
	v_wmma_f32_16x16x16_f16 v[121:128], v[97:104], v[81:88], v[121:128]
	s_waitcnt vmcnt(0) lgkmcnt(0)
	s_barrier
	buffer_gl0_inv
	v_wmma_f32_16x16x16_f16 v[121:128], v[113:120], v[89:96], v[121:128]
	v_and_b32_e32 v129, 0xe0, v0
	v_wmma_f32_16x16x16_f16 v[137:144], v[105:112], v[89:96], v[137:144]
	s_delay_alu instid0(VALU_DEP_2) | instskip(NEXT) | instid1(VALU_DEP_2)
	v_dual_mul_f32 v104, s19, v126 :: v_dual_add_nc_u32 v129, s16, v129
	v_dual_mul_f32 v106, s19, v124 :: v_dual_mul_f32 v95, s19, v138
	s_delay_alu instid0(VALU_DEP_3) | instskip(NEXT) | instid1(VALU_DEP_3)
	v_dual_mul_f32 v96, s19, v137 :: v_dual_mul_f32 v93, s19, v140
	v_or_b32_e32 v129, v129, v75
	v_dual_mul_f32 v94, s19, v139 :: v_dual_mul_f32 v91, s19, v142
	v_dual_mul_f32 v92, s19, v141 :: v_dual_mul_f32 v89, s19, v144
	v_mul_f32_e32 v108, s19, v122
	s_delay_alu instid0(VALU_DEP_4)
	v_or_b32_e32 v131, 2, v129
	v_or_b32_e32 v132, 4, v129
	;; [unrolled: 1-line block ×3, first 2 shown]
	v_cmp_gt_i32_e32 vcc_lo, s18, v129
	v_or_b32_e32 v82, 8, v129
	v_cmp_gt_i32_e64 s3, s18, v131
	v_or_b32_e32 v83, 10, v129
	v_cmp_gt_i32_e64 s4, s18, v132
	v_cndmask_b32_e32 v96, 0xff7fffff, v96, vcc_lo
	v_cmp_gt_i32_e64 s5, s18, v81
	v_cndmask_b32_e64 v95, 0xff7fffff, v95, s3
	v_or_b32_e32 v84, 12, v129
	v_or_b32_e32 v85, 14, v129
	v_cndmask_b32_e64 v94, 0xff7fffff, v94, s4
	v_cndmask_b32_e64 v81, 0xff7fffff, v93, s5
	v_max3_f32 v93, v96, 0xff7fffff, v95
	v_cmp_gt_i32_e64 s6, s18, v82
	v_cmp_gt_i32_e64 s7, s18, v83
	v_or_b32_e32 v86, 16, v129
	v_or_b32_e32 v87, 18, v129
	v_mul_f32_e32 v90, s19, v143
	v_cndmask_b32_e64 v82, 0xff7fffff, v92, s6
	v_cndmask_b32_e64 v83, 0xff7fffff, v91, s7
	v_max3_f32 v81, v93, v94, v81
	v_cmp_gt_i32_e64 s8, s18, v84
	v_cmp_gt_i32_e64 s9, s18, v85
	v_or_b32_e32 v88, 20, v129
	v_or_b32_e32 v97, 22, v129
	v_mul_f32_e32 v109, s19, v121
	;; [unrolled: 8-line block ×4, first 2 shown]
	v_cndmask_b32_e64 v84, 0xff7fffff, v107, s12
	v_cndmask_b32_e64 v85, 0xff7fffff, v106, s13
	v_max3_f32 v81, v81, v82, v83
	v_cmp_gt_i32_e64 s15, s18, v98
	v_cmp_gt_i32_e64 s16, s18, v99
	v_dual_mul_f32 v102, s19, v128 :: v_dual_mul_f32 v103, s19, v127
	s_delay_alu instid0(VALU_DEP_4) | instskip(NEXT) | instid1(VALU_DEP_4)
	v_max3_f32 v81, v81, v84, v85
	v_cndmask_b32_e64 v82, 0xff7fffff, v105, s15
	s_delay_alu instid0(VALU_DEP_4) | instskip(SKIP_2) | instid1(VALU_DEP_3)
	v_cndmask_b32_e64 v83, 0xff7fffff, v104, s16
	v_cmp_gt_i32_e64 s17, s18, v100
	v_cmp_gt_i32_e64 s18, s18, v101
	v_max3_f32 v81, v81, v82, v83
	s_delay_alu instid0(VALU_DEP_3) | instskip(NEXT) | instid1(VALU_DEP_3)
	v_cndmask_b32_e64 v84, 0xff7fffff, v103, s17
	v_cndmask_b32_e64 v85, 0xff7fffff, v102, s18
	v_lshlrev_b32_e32 v83, 2, v130
	s_delay_alu instid0(VALU_DEP_2) | instskip(SKIP_3) | instid1(VALU_DEP_1)
	v_max3_f32 v81, v81, v84, v85
	ds_bpermute_b32 v82, v83, v81
	s_waitcnt lgkmcnt(0)
	v_max_f32_e32 v82, v82, v82
	v_max_f32_e32 v81, v81, v82
	s_delay_alu instid0(VALU_DEP_1)
	v_fma_f32 v82, s19, v137, -v81
	v_fma_f32 v84, s19, v138, -v81
	;; [unrolled: 1-line block ×5, first 2 shown]
	v_mul_f32_e32 v82, 0x3fb8aa3b, v82
	s_delay_alu instid0(VALU_DEP_4) | instskip(NEXT) | instid1(VALU_DEP_3)
	v_dual_mul_f32 v84, 0x3fb8aa3b, v84 :: v_dual_mul_f32 v85, 0x3fb8aa3b, v85
	v_dual_mul_f32 v86, 0x3fb8aa3b, v86 :: v_dual_mul_f32 v89, 0x3fb8aa3b, v87
	s_delay_alu instid0(VALU_DEP_3) | instskip(NEXT) | instid1(VALU_DEP_2)
	v_exp_f32_e32 v82, v82
	v_exp_f32_e32 v84, v84
	s_delay_alu instid0(VALU_DEP_2) | instskip(NEXT) | instid1(VALU_DEP_1)
	v_exp_f32_e32 v85, v85
	v_exp_f32_e32 v86, v86
	;; [unrolled: 1-line block ×3, first 2 shown]
	v_cndmask_b32_e32 v88, 0, v82, vcc_lo
	v_cndmask_b32_e64 v87, 0, v84, s3
	s_delay_alu instid0(TRANS32_DEP_3)
	v_cndmask_b32_e64 v90, 0, v85, s4
	s_waitcnt_depctr 0xfff
	v_cndmask_b32_e64 v89, 0, v86, s5
	v_cndmask_b32_e64 v92, 0, v92, s6
	v_add_f32_e32 v84, 0, v88
	v_cmp_gt_u32_e64 s3, 16, v80
	s_delay_alu instid0(VALU_DEP_2) | instskip(NEXT) | instid1(VALU_DEP_1)
	v_add_f32_e32 v84, v84, v87
	v_add_f32_e32 v84, v84, v90
	s_delay_alu instid0(VALU_DEP_1)
	v_add_f32_e32 v84, v84, v89
	v_fma_f32 v82, s19, v142, -v81
	v_fma_f32 v91, s19, v143, -v81
	;; [unrolled: 1-line block ×5, first 2 shown]
	s_delay_alu instid0(VALU_DEP_4) | instskip(SKIP_1) | instid1(VALU_DEP_4)
	v_dual_mul_f32 v82, 0x3fb8aa3b, v82 :: v_dual_mul_f32 v91, 0x3fb8aa3b, v91
	v_fma_f32 v96, s19, v124, -v81
	v_mul_f32_e32 v86, 0x3fb8aa3b, v86
	s_delay_alu instid0(VALU_DEP_4) | instskip(NEXT) | instid1(VALU_DEP_4)
	v_mul_f32_e32 v95, 0x3fb8aa3b, v94
	v_exp_f32_e32 v82, v82
	v_exp_f32_e32 v93, v91
	v_mul_f32_e32 v97, 0x3fb8aa3b, v96
	v_exp_f32_e32 v86, v86
	v_fma_f32 v99, s19, v127, -v81
	s_delay_alu instid0(VALU_DEP_2) | instskip(SKIP_2) | instid1(TRANS32_DEP_3)
	v_exp_f32_e32 v97, v97
	v_cndmask_b32_e64 v91, 0, v82, s7
	v_dual_add_f32 v82, v84, v92 :: v_dual_mul_f32 v85, 0x3fb8aa3b, v85
	v_cndmask_b32_e64 v94, 0, v93, s8
	v_fma_f32 v84, s19, v123, -v81
	s_delay_alu instid0(TRANS32_DEP_2) | instskip(NEXT) | instid1(VALU_DEP_4)
	v_cndmask_b32_e64 v96, 0, v86, s10
	v_add_f32_e32 v82, v82, v91
	v_exp_f32_e32 v85, v85
	v_fma_f32 v86, s19, v126, -v81
	v_mul_f32_e32 v84, 0x3fb8aa3b, v84
	v_cndmask_b32_e64 v97, 0, v97, s13
	v_add_f32_e32 v82, v82, v94
	s_delay_alu instid0(VALU_DEP_3) | instskip(SKIP_3) | instid1(VALU_DEP_2)
	v_exp_f32_e32 v84, v84
	s_waitcnt_depctr 0xfff
	v_cndmask_b32_e64 v93, 0, v85, s9
	v_fma_f32 v85, s19, v125, -v81
	v_add_f32_e32 v82, v82, v93
	v_exp_f32_e32 v95, v95
	s_delay_alu instid0(VALU_DEP_2)
	v_mul_f32_e32 v85, 0x3fb8aa3b, v85
	v_cndmask_b32_e64 v98, 0, v84, s12
	v_mul_f32_e32 v84, 0x3fb8aa3b, v99
	v_add_f32_e32 v82, v82, v96
	v_fma_f32 v99, s19, v128, -v81
	v_exp_f32_e32 v85, v85
	v_mul_f32_e32 v86, 0x3fb8aa3b, v86
	v_exp_f32_e32 v84, v84
	s_delay_alu instid0(TRANS32_DEP_3) | instskip(NEXT) | instid1(VALU_DEP_1)
	v_cndmask_b32_e64 v95, 0, v95, s11
	v_add_f32_e32 v82, v82, v95
	s_waitcnt_depctr 0xfff
	v_cndmask_b32_e64 v100, 0, v85, s15
	v_mul_f32_e32 v85, 0x3fb8aa3b, v99
	v_exp_f32_e32 v86, v86
	v_cndmask_b32_e64 v102, 0, v84, s17
	v_add_f32_e32 v82, v82, v98
	s_delay_alu instid0(VALU_DEP_3) | instskip(NEXT) | instid1(VALU_DEP_1)
	v_exp_f32_e32 v85, v85
	v_add_f32_e32 v82, v82, v97
	s_waitcnt_depctr 0xfff
	v_cndmask_b32_e64 v99, 0, v86, s16
	v_add_f32_e32 v82, v82, v100
	v_cndmask_b32_e64 v101, 0, v85, s18
	s_delay_alu instid0(VALU_DEP_2) | instskip(NEXT) | instid1(VALU_DEP_1)
	v_add_f32_e32 v82, v82, v99
	v_add_f32_e32 v82, v82, v102
	s_delay_alu instid0(VALU_DEP_1)
	v_add_f32_e32 v82, v82, v101
	ds_bpermute_b32 v83, v83, v82
	s_and_saveexec_b32 s4, s3
	s_cbranch_execz .LBB182_14
; %bb.13:
	v_mul_u32_u24_e32 v80, 0x44, v78
	s_waitcnt lgkmcnt(0)
	v_add_f32_e32 v82, v82, v83
	s_delay_alu instid0(VALU_DEP_2) | instskip(NEXT) | instid1(VALU_DEP_1)
	v_lshl_add_u32 v80, v77, 2, v80
	v_add_nc_u32_e32 v80, 0x4000, v80
	ds_store_2addr_b32 v80, v81, v82 offset1:136
.LBB182_14:
	s_or_b32 exec_lo, exec_lo, s4
	v_lshlrev_b32_e32 v80, 2, v77
	s_load_b32 s36, s[0:1], 0x94
	s_waitcnt lgkmcnt(0)
	s_barrier
	buffer_gl0_inv
	v_add_nc_u32_e32 v84, 0x4000, v80
	v_cmp_eq_u32_e32 vcc_lo, 1, v78
	v_cmp_eq_u32_e64 s4, 2, v78
	v_cmp_eq_u32_e64 s5, 3, v78
	;; [unrolled: 1-line block ×3, first 2 shown]
	ds_load_2addr_b32 v[80:81], v84 offset1:17
	ds_load_2addr_b32 v[82:83], v84 offset0:34 offset1:51
	ds_load_2addr_b32 v[103:104], v84 offset0:68 offset1:85
	;; [unrolled: 1-line block ×3, first 2 shown]
	v_cmp_eq_u32_e64 s7, 7, v78
	s_waitcnt lgkmcnt(3)
	v_max3_f32 v85, v80, 0xff7fffff, v81
	s_waitcnt lgkmcnt(2)
	s_delay_alu instid0(VALU_DEP_1) | instskip(SKIP_1) | instid1(VALU_DEP_1)
	v_max3_f32 v85, v85, v82, v83
	s_waitcnt lgkmcnt(1)
	v_max3_f32 v85, v85, v103, v104
	s_waitcnt lgkmcnt(0)
	s_delay_alu instid0(VALU_DEP_1) | instskip(NEXT) | instid1(VALU_DEP_1)
	v_max3_f32 v85, v85, v105, v106
	v_sub_f32_e32 v103, v103, v85
	ds_load_2addr_b32 v[107:108], v84 offset0:136 offset1:153
	v_sub_f32_e32 v80, v80, v85
	v_dual_sub_f32 v110, v83, v85 :: v_dual_mul_f32 v113, 0x3fb8aa3b, v103
	s_delay_alu instid0(VALU_DEP_2) | instskip(SKIP_3) | instid1(VALU_DEP_1)
	v_dual_sub_f32 v86, v81, v85 :: v_dual_mul_f32 v109, 0x3fb8aa3b, v80
	ds_load_2addr_b32 v[80:81], v84 offset0:170 offset1:187
	v_mul_f32_e32 v86, 0x3fb8aa3b, v86
	v_exp_f32_e32 v109, v109
	v_exp_f32_e32 v112, v86
	v_mul_f32_e32 v110, 0x3fb8aa3b, v110
	s_waitcnt lgkmcnt(1)
	s_waitcnt_depctr 0xfff
	v_fma_f32 v86, v109, v107, 0
	v_sub_f32_e32 v107, v104, v85
	v_sub_f32_e32 v82, v82, v85
	v_exp_f32_e32 v110, v110
	ds_load_2addr_b32 v[103:104], v84 offset0:238 offset1:255
	v_dual_fmac_f32 v86, v112, v108 :: v_dual_mul_f32 v111, 0x3fb8aa3b, v82
	ds_load_2addr_b32 v[82:83], v84 offset0:204 offset1:221
	v_dual_sub_f32 v84, v105, v85 :: v_dual_mul_f32 v105, 0x3fb8aa3b, v107
	v_exp_f32_e32 v107, v113
	v_exp_f32_e32 v111, v111
	s_waitcnt lgkmcnt(0)
	s_delay_alu instid0(VALU_DEP_1)
	v_mul_f32_e32 v84, 0x3fb8aa3b, v84
	v_exp_f32_e32 v105, v105
	s_barrier
	buffer_gl0_inv
	v_fmac_f32_e32 v86, v111, v80
	v_sub_f32_e32 v80, v106, v85
	v_exp_f32_e32 v106, v84
	s_delay_alu instid0(VALU_DEP_2) | instskip(NEXT) | instid1(VALU_DEP_2)
	v_fmac_f32_e32 v86, v110, v81
	v_mul_f32_e32 v80, 0x3fb8aa3b, v80
	s_delay_alu instid0(VALU_DEP_2) | instskip(NEXT) | instid1(VALU_DEP_2)
	v_dual_cndmask_b32 v81, v109, v112 :: v_dual_fmac_f32 v86, v107, v82
	v_exp_f32_e32 v108, v80
	s_delay_alu instid0(VALU_DEP_1) | instskip(SKIP_2) | instid1(VALU_DEP_1)
	v_fmac_f32_e32 v86, v105, v83
	s_waitcnt_depctr 0xfff
	v_fmac_f32_e32 v86, v106, v103
	v_fmac_f32_e32 v86, v108, v104
	s_delay_alu instid0(VALU_DEP_1) | instskip(NEXT) | instid1(VALU_DEP_1)
	v_add_f32_e32 v103, 0x358637bd, v86
	v_div_scale_f32 v104, null, v103, v103, 1.0
	v_div_scale_f32 v109, vcc_lo, 1.0, v103, 1.0
	s_delay_alu instid0(VALU_DEP_2) | instskip(SKIP_2) | instid1(VALU_DEP_1)
	v_rcp_f32_e32 v113, v104
	s_waitcnt_depctr 0xfff
	v_fma_f32 v80, -v104, v113, 1.0
	v_fmac_f32_e32 v113, v80, v113
	v_cndmask_b32_e64 v80, v81, v111, s4
	v_cmp_eq_u32_e64 s4, 4, v78
	v_lshl_or_b32 v81, v78, 11, v79
	s_delay_alu instid0(VALU_DEP_4) | instskip(NEXT) | instid1(VALU_DEP_4)
	v_mul_f32_e32 v111, v109, v113
	v_cndmask_b32_e64 v82, v80, v110, s5
	v_cmp_eq_u32_e64 s5, 6, v78
	s_delay_alu instid0(VALU_DEP_4) | instskip(SKIP_3) | instid1(VALU_DEP_3)
	v_lshl_or_b32 v78, v75, 4, v81
	v_lshlrev_b32_e32 v80, 2, v75
	v_fma_f32 v83, -v104, v111, v109
	v_cndmask_b32_e64 v84, v82, v107, s4
	v_or_b32_e32 v82, 1, v80
	s_delay_alu instid0(VALU_DEP_3) | instskip(NEXT) | instid1(VALU_DEP_3)
	v_fmac_f32_e32 v111, v83, v113
	v_cndmask_b32_e64 v105, v84, v105, s6
	v_or_b32_e32 v84, 2, v80
	v_or_b32_e32 v83, 3, v80
	v_cmp_eq_u32_e64 s4, 1, v80
	v_fma_f32 v104, -v104, v111, v109
	v_cndmask_b32_e64 v105, v105, v106, s5
	v_cmp_eq_u32_e64 s10, 1, v82
	v_cmp_eq_u32_e64 s11, 1, v84
	v_cmp_eq_u32_e64 s12, 1, v83
	v_div_fmas_f32 v104, v104, v113, v111
	v_cndmask_b32_e64 v105, v105, v108, s7
	v_cmp_eq_u32_e32 vcc_lo, 2, v80
	v_cmp_eq_u32_e64 s13, 2, v82
	v_cmp_eq_u32_e64 s16, 2, v84
	v_div_fixup_f32 v103, v104, v103, 1.0
	v_cmp_eq_u32_e64 s17, 2, v83
	v_cmp_eq_u32_e64 s19, 3, v83
	;; [unrolled: 1-line block ×4, first 2 shown]
	v_mul_f32_e32 v111, v105, v103
	v_cmp_eq_u32_e64 s18, 3, v84
	v_cmp_eq_u32_e64 s23, 4, v83
	;; [unrolled: 1-line block ×4, first 2 shown]
	v_fma_mixlo_f16 v103, v111, v88, 0
	v_fma_mixlo_f16 v104, v111, v90, 0
	;; [unrolled: 1-line block ×8, first 2 shown]
	v_fma_mixhi_f16 v103, v111, v87, 0
	v_fma_mixhi_f16 v104, v111, v89, 0
	v_fma_mixhi_f16 v105, v111, v91, 0
	v_fma_mixhi_f16 v106, v111, v93, 0
	v_fma_mixhi_f16 v107, v111, v95, 0
	v_fma_mixhi_f16 v108, v111, v97, 0
	v_fma_mixhi_f16 v109, v111, v99, 0
	v_fma_mixhi_f16 v110, v111, v101, 0
	ds_store_b128 v78, v[103:106]
	ds_store_b128 v78, v[107:110] offset:1024
	s_waitcnt lgkmcnt(0)
	s_barrier
	buffer_gl0_inv
	ds_load_b128 v[87:90], v81
	ds_load_b128 v[91:94], v81 offset:16
	ds_load_b128 v[95:98], v81 offset:1024
	;; [unrolled: 1-line block ×3, first 2 shown]
	v_cmp_eq_u32_e64 s22, 4, v84
	v_cmp_eq_u32_e64 s25, 5, v83
	;; [unrolled: 1-line block ×13, first 2 shown]
	s_waitcnt lgkmcnt(3)
	v_lshrrev_b32_e32 v103, 16, v87
	s_waitcnt lgkmcnt(2)
	v_lshrrev_b32_e32 v107, 16, v91
	;; [unrolled: 2-line block ×4, first 2 shown]
	v_lshrrev_b32_e32 v104, 16, v88
	v_cndmask_b32_e64 v119, v87, v103, s4
	v_cndmask_b32_e64 v120, v91, v107, s4
	v_cndmask_b32_e64 v121, v87, v103, s10
	v_cndmask_b32_e64 v122, v91, v107, s10
	v_cndmask_b32_e64 v123, v87, v103, s11
	v_cndmask_b32_e64 v124, v91, v107, s11
	v_cndmask_b32_e64 v87, v87, v103, s12
	v_cndmask_b32_e64 v91, v91, v107, s12
	v_lshrrev_b32_e32 v108, 16, v92
	v_cndmask_b32_e64 v103, v95, v111, s4
	v_cndmask_b32_e64 v107, v99, v115, s4
	;; [unrolled: 1-line block ×5, first 2 shown]
	v_cndmask_b32_e32 v111, v119, v88, vcc_lo
	v_cndmask_b32_e64 v119, v121, v88, s13
	v_cndmask_b32_e64 v121, v123, v88, s16
	;; [unrolled: 1-line block ×4, first 2 shown]
	v_lshrrev_b32_e32 v112, 16, v96
	v_lshrrev_b32_e32 v116, 16, v100
	v_cndmask_b32_e64 v126, v99, v115, s10
	v_cndmask_b32_e64 v128, v99, v115, s11
	v_cndmask_b32_e64 v99, v99, v115, s12
	v_cndmask_b32_e32 v115, v120, v92, vcc_lo
	v_cndmask_b32_e64 v120, v122, v92, s13
	v_cndmask_b32_e64 v122, v124, v92, s16
	v_cndmask_b32_e32 v91, v103, v96, vcc_lo
	v_cndmask_b32_e32 v92, v107, v100, vcc_lo
	v_cndmask_b32_e64 v103, v125, v96, s13
	v_cndmask_b32_e64 v87, v87, v104, s19
	;; [unrolled: 1-line block ×3, first 2 shown]
	v_lshrrev_b32_e32 v105, 16, v89
	v_lshrrev_b32_e32 v109, 16, v93
	v_cndmask_b32_e64 v107, v127, v96, s16
	v_cndmask_b32_e64 v95, v95, v96, s17
	;; [unrolled: 1-line block ×14, first 2 shown]
	v_lshrrev_b32_e32 v113, 16, v97
	v_cndmask_b32_e64 v99, v99, v89, s6
	v_cndmask_b32_e64 v104, v111, v93, s6
	;; [unrolled: 1-line block ×11, first 2 shown]
	v_lshrrev_b32_e32 v106, 16, v90
	v_lshrrev_b32_e32 v110, 16, v94
	v_cndmask_b32_e64 v93, v99, v105, s7
	v_cndmask_b32_e64 v99, v104, v109, s7
	;; [unrolled: 1-line block ×9, first 2 shown]
	v_lshrrev_b32_e32 v114, 16, v98
	v_cndmask_b32_e64 v89, v89, v113, s7
	v_cndmask_b32_e64 v93, v93, v90, s8
	;; [unrolled: 1-line block ×19, first 2 shown]
	v_perm_b32 v90, v88, v87, 0x5040100
	v_cndmask_b32_e64 v87, v126, v100, s13
	v_cndmask_b32_e64 v105, v89, v114, s9
	v_perm_b32 v89, v103, v99, 0x5040100
	v_perm_b32 v88, v104, v94, 0x5040100
	v_cndmask_b32_e64 v94, v107, v112, s18
	v_cndmask_b32_e64 v95, v95, v112, s19
	;; [unrolled: 1-line block ×5, first 2 shown]
	v_lshrrev_b32_e32 v117, 16, v101
	v_cndmask_b32_e64 v94, v94, v97, s22
	v_cndmask_b32_e64 v95, v95, v97, s23
	;; [unrolled: 1-line block ×11, first 2 shown]
	v_lshrrev_b32_e32 v118, 16, v102
	v_cndmask_b32_e64 v91, v91, v102, s8
	v_cndmask_b32_e64 v94, v94, v98, s27
	;; [unrolled: 1-line block ×12, first 2 shown]
	v_perm_b32 v87, v93, v92, 0x5040100
	v_perm_b32 v94, v95, v94, 0x5040100
	;; [unrolled: 1-line block ×5, first 2 shown]
	s_mul_i32 s8, s35, 9
	s_mov_b32 s4, exec_lo
	ds_store_b128 v78, v[87:90]
	ds_store_b128 v78, v[91:94] offset:1024
	v_cmpx_gt_u32_e32 9, v0
	s_cbranch_execz .LBB182_16
; %bb.15:
	s_mul_i32 s5, s8, s34
	s_load_b128 s[16:19], s[0:1], 0x58
	v_add3_u32 v77, s5, s33, v77
	s_delay_alu instid0(VALU_DEP_1) | instskip(NEXT) | instid1(VALU_DEP_1)
	v_mad_u64_u32 v[87:88], null, v77, s36, s[14:15]
	v_ashrrev_i32_e32 v88, 31, v87
	s_delay_alu instid0(VALU_DEP_1) | instskip(SKIP_1) | instid1(VALU_DEP_1)
	v_lshlrev_b64 v[87:88], 2, v[87:88]
	s_waitcnt lgkmcnt(0)
	v_add_co_u32 v89, vcc_lo, s18, v87
	s_delay_alu instid0(VALU_DEP_2)
	v_add_co_ci_u32_e32 v90, vcc_lo, s19, v88, vcc_lo
	v_add_co_u32 v87, vcc_lo, s16, v87
	v_add_co_ci_u32_e32 v88, vcc_lo, s17, v88, vcc_lo
	global_store_b32 v[89:90], v85, off
	global_store_b32 v[87:88], v86, off
.LBB182_16:
	s_or_b32 exec_lo, exec_lo, s4
	s_waitcnt lgkmcnt(0)
	s_waitcnt_vscnt null, 0x0
	s_barrier
	buffer_gl0_inv
	ds_load_b128 v[93:96], v79
	ds_load_b128 v[97:100], v79 offset:16
	ds_load_b128 v[105:108], v79 offset:1040
	;; [unrolled: 1-line block ×5, first 2 shown]
	v_cmp_eq_u32_e32 vcc_lo, 1, v84
	v_mov_b32_e32 v85, 0
	ds_load_b128 v[121:124], v79 offset:3088
	ds_load_b128 v[117:120], v79 offset:3072
	;; [unrolled: 1-line block ×4, first 2 shown]
	v_cmp_eq_u32_e64 s4, 1, v80
	v_cmp_eq_u32_e64 s5, 1, v83
	v_cmp_eq_u32_e64 s6, 1, v82
	v_mov_b32_e32 v86, v85
	v_mov_b32_e32 v87, v85
	;; [unrolled: 1-line block ×7, first 2 shown]
	v_cmp_eq_u32_e64 s7, 2, v80
	s_waitcnt lgkmcnt(8)
	s_delay_alu instid0(VALU_DEP_2)
	v_wmma_f32_16x16x16_f16 v[85:92], v[65:72], v[93:100], v[85:92]
	ds_load_b128 v[69:72], v79 offset:5136
	ds_load_b128 v[65:68], v79 offset:5120
	ds_load_b128 v[97:100], v79 offset:6160
	ds_load_b128 v[93:96], v79 offset:6144
	s_waitcnt lgkmcnt(10)
	v_wmma_f32_16x16x16_f16 v[85:92], v[57:64], v[101:108], v[85:92]
	s_waitcnt lgkmcnt(8)
	s_delay_alu instid0(VALU_DEP_1)
	v_wmma_f32_16x16x16_f16 v[85:92], v[57:64], v[109:116], v[85:92]
	ds_load_b128 v[61:64], v79 offset:7184
	ds_load_b128 v[57:60], v79 offset:7168
	;; [unrolled: 1-line block ×4, first 2 shown]
	s_waitcnt lgkmcnt(10)
	v_wmma_f32_16x16x16_f16 v[85:92], v[49:56], v[117:124], v[85:92]
	s_waitcnt lgkmcnt(8)
	s_delay_alu instid0(VALU_DEP_1)
	v_wmma_f32_16x16x16_f16 v[85:92], v[49:56], v[125:132], v[85:92]
	ds_load_b128 v[53:56], v79 offset:9232
	ds_load_b128 v[49:52], v79 offset:9216
	s_waitcnt lgkmcnt(8)
	v_wmma_f32_16x16x16_f16 v[85:92], v[41:48], v[65:72], v[85:92]
	ds_load_b128 v[69:72], v79 offset:10256
	ds_load_b128 v[65:68], v79 offset:10240
	s_waitcnt lgkmcnt(8)
	;; [unrolled: 4-line block ×7, first 2 shown]
	s_barrier
	buffer_gl0_inv
	v_wmma_f32_16x16x16_f16 v[85:92], v[33:40], v[41:48], v[85:92]
	s_delay_alu instid0(VALU_DEP_1) | instskip(NEXT) | instid1(VALU_DEP_1)
	v_wmma_f32_16x16x16_f16 v[85:92], v[33:40], v[57:64], v[85:92]
	v_wmma_f32_16x16x16_f16 v[85:92], v[25:32], v[9:16], v[85:92]
	s_delay_alu instid0(VALU_DEP_1) | instskip(NEXT) | instid1(VALU_DEP_1)
	v_wmma_f32_16x16x16_f16 v[85:92], v[25:32], v[49:56], v[85:92]
	v_wmma_f32_16x16x16_f16 v[85:92], v[17:24], v[1:8], v[85:92]
	s_delay_alu instid0(VALU_DEP_1) | instskip(NEXT) | instid1(VALU_DEP_2)
	v_cvt_f16_f32_e32 v1, v85
	v_cvt_f16_f32_e32 v2, v86
	s_delay_alu instid0(VALU_DEP_3) | instskip(NEXT) | instid1(VALU_DEP_4)
	v_cvt_f16_f32_e32 v3, v87
	v_cvt_f16_f32_e32 v4, v88
	;; [unrolled: 1-line block ×6, first 2 shown]
	v_pack_b32_f16 v1, v1, v2
	v_pack_b32_f16 v2, v3, v4
	;; [unrolled: 1-line block ×3, first 2 shown]
	s_delay_alu instid0(VALU_DEP_4)
	v_pack_b32_f16 v4, v7, v8
	ds_store_b128 v78, v[1:4]
	s_waitcnt lgkmcnt(0)
	s_barrier
	buffer_gl0_inv
	ds_load_b128 v[1:4], v81
	ds_load_b128 v[5:8], v81 offset:16
	s_waitcnt lgkmcnt(1)
	v_lshrrev_b32_e32 v9, 16, v1
	s_waitcnt lgkmcnt(0)
	v_lshrrev_b32_e32 v13, 16, v5
	v_lshrrev_b32_e32 v15, 16, v7
	;; [unrolled: 1-line block ×4, first 2 shown]
	v_cndmask_b32_e64 v17, v1, v9, s4
	v_cndmask_b32_e64 v18, v5, v13, s4
	;; [unrolled: 1-line block ×3, first 2 shown]
	v_cmp_eq_u32_e64 s4, 2, v82
	v_cndmask_b32_e64 v20, v5, v13, s6
	v_cndmask_b32_e32 v21, v1, v9, vcc_lo
	v_cndmask_b32_e32 v22, v5, v13, vcc_lo
	v_cndmask_b32_e64 v1, v1, v9, s5
	v_cndmask_b32_e64 v5, v5, v13, s5
	v_cmp_eq_u32_e32 vcc_lo, 2, v84
	v_cmp_eq_u32_e64 s5, 2, v83
	v_cndmask_b32_e64 v9, v17, v2, s7
	v_cndmask_b32_e64 v13, v18, v6, s7
	;; [unrolled: 1-line block ×4, first 2 shown]
	v_cndmask_b32_e32 v19, v21, v2, vcc_lo
	v_cmp_eq_u32_e64 s4, 3, v84
	v_cndmask_b32_e32 v20, v22, v6, vcc_lo
	v_cndmask_b32_e64 v1, v1, v2, s5
	v_cmp_eq_u32_e32 vcc_lo, 3, v83
	v_cmp_eq_u32_e64 s6, 3, v80
	v_cndmask_b32_e64 v2, v5, v6, s5
	v_cmp_eq_u32_e64 s5, 3, v82
	v_lshrrev_b32_e32 v16, 16, v8
	v_cmp_eq_u32_e64 s7, 4, v80
	v_cndmask_b32_e64 v5, v9, v10, s6
	v_cndmask_b32_e64 v6, v13, v14, s6
	;; [unrolled: 1-line block ×3, first 2 shown]
	v_cmp_eq_u32_e64 s6, 4, v82
	v_cndmask_b32_e64 v13, v18, v14, s5
	v_cndmask_b32_e64 v17, v19, v10, s4
	;; [unrolled: 1-line block ×3, first 2 shown]
	v_cndmask_b32_e32 v1, v1, v10, vcc_lo
	v_cndmask_b32_e32 v2, v2, v14, vcc_lo
	v_cmp_eq_u32_e32 vcc_lo, 4, v84
	v_cmp_eq_u32_e64 s5, 4, v83
	v_lshrrev_b32_e32 v11, 16, v3
	v_cndmask_b32_e64 v5, v5, v3, s7
	v_cndmask_b32_e64 v6, v6, v7, s7
	;; [unrolled: 1-line block ×4, first 2 shown]
	v_cndmask_b32_e32 v13, v17, v3, vcc_lo
	v_cmp_eq_u32_e64 s4, 5, v84
	v_cndmask_b32_e32 v14, v18, v7, vcc_lo
	v_cndmask_b32_e64 v1, v1, v3, s5
	v_cmp_eq_u32_e32 vcc_lo, 5, v83
	v_cmp_eq_u32_e64 s6, 5, v80
	v_cndmask_b32_e64 v2, v2, v7, s5
	v_cmp_eq_u32_e64 s5, 5, v82
	v_cmp_eq_u32_e64 s7, 6, v80
	v_cndmask_b32_e32 v1, v1, v11, vcc_lo
	v_cndmask_b32_e64 v3, v5, v11, s6
	v_cndmask_b32_e64 v5, v6, v15, s6
	;; [unrolled: 1-line block ×3, first 2 shown]
	v_cmp_eq_u32_e64 s6, 6, v82
	v_cndmask_b32_e64 v7, v10, v15, s5
	v_cndmask_b32_e64 v9, v13, v11, s4
	;; [unrolled: 1-line block ×3, first 2 shown]
	v_cndmask_b32_e32 v2, v2, v15, vcc_lo
	v_cmp_eq_u32_e32 vcc_lo, 6, v84
	v_cmp_eq_u32_e64 s4, 6, v83
	v_lshrrev_b32_e32 v12, 16, v4
	v_cndmask_b32_e64 v3, v3, v4, s7
	v_cndmask_b32_e64 v5, v5, v8, s7
	;; [unrolled: 1-line block ×4, first 2 shown]
	v_cndmask_b32_e32 v9, v9, v4, vcc_lo
	v_cmp_eq_u32_e64 s5, 7, v84
	v_cndmask_b32_e32 v10, v10, v8, vcc_lo
	v_cndmask_b32_e64 v1, v1, v4, s4
	v_cmp_eq_u32_e32 vcc_lo, 7, v83
	v_cndmask_b32_e64 v2, v2, v8, s4
	v_cmp_eq_u32_e64 s4, 7, v80
	v_cmp_eq_u32_e64 s6, 7, v82
	v_cndmask_b32_e32 v1, v1, v12, vcc_lo
	s_delay_alu instid0(VALU_DEP_4) | instskip(NEXT) | instid1(VALU_DEP_4)
	v_cndmask_b32_e32 v2, v2, v16, vcc_lo
	v_cndmask_b32_e64 v8, v3, v12, s4
	s_delay_alu instid0(VALU_DEP_4)
	v_cndmask_b32_e64 v6, v6, v12, s6
	v_cndmask_b32_e64 v3, v9, v12, s5
	;; [unrolled: 1-line block ×5, first 2 shown]
	v_cmp_gt_u32_e32 vcc_lo, 32, v0
	v_perm_b32 v4, v2, v1, 0x5040100
	v_perm_b32 v3, v9, v3, 0x5040100
	;; [unrolled: 1-line block ×4, first 2 shown]
	s_and_b32 s2, vcc_lo, s2
	ds_store_b128 v78, v[1:4]
	s_waitcnt lgkmcnt(0)
	s_barrier
	buffer_gl0_inv
	s_and_saveexec_b32 s4, s2
	s_cbranch_execz .LBB182_2
; %bb.17:
	s_load_b64 s[4:5], s[0:1], 0x68
	v_lshlrev_b32_e32 v0, 10, v0
	v_lshlrev_b32_e32 v1, 4, v76
	s_lshl_b32 s0, s36, 6
	v_add_nc_u32_e32 v2, s33, v75
	s_mul_i32 s1, s0, s34
	s_delay_alu instid0(SALU_CYCLE_1) | instskip(SKIP_1) | instid1(VALU_DEP_2)
	s_mul_i32 s6, s1, s8
	v_and_or_b32 v0, 0x3800, v0, v1
	v_mul_lo_u32 v1, v2, s0
	s_ashr_i32 s7, s6, 31
	v_add_nc_u32_e32 v3, 2, v2
	s_lshl_b64 s[6:7], s[6:7], 1
	v_add_nc_u32_e32 v4, 4, v2
	v_add_nc_u32_e32 v5, 6, v2
	v_lshl_or_b32 v15, v75, 6, v0
	v_mul_lo_u32 v3, v3, s0
	v_ashrrev_i32_e32 v2, 31, v1
	v_mul_lo_u32 v19, v4, s0
	v_mul_lo_u32 v21, v5, s0
	s_waitcnt lgkmcnt(0)
	s_add_u32 s1, s4, s6
	s_addc_u32 s2, s5, s7
	s_lshl_b32 s4, s14, 6
	v_lshlrev_b64 v[5:6], 1, v[1:2]
	s_ashr_i32 s5, s4, 31
	v_ashrrev_i32_e32 v4, 31, v3
	s_lshl_b64 s[4:5], s[4:5], 1
	v_ashrrev_i32_e32 v20, 31, v19
	s_add_u32 s1, s1, s4
	s_addc_u32 s2, s2, s5
	v_add_co_u32 v1, vcc_lo, s1, v73
	v_add_co_ci_u32_e32 v2, vcc_lo, s2, v74, vcc_lo
	v_lshlrev_b64 v[25:26], 1, v[3:4]
	s_delay_alu instid0(VALU_DEP_3) | instskip(NEXT) | instid1(VALU_DEP_3)
	v_add_co_u32 v23, vcc_lo, v1, v5
	v_add_co_ci_u32_e32 v24, vcc_lo, v2, v6, vcc_lo
	ds_load_b128 v[3:6], v15
	ds_load_b128 v[7:10], v15 offset:128
	ds_load_b128 v[11:14], v15 offset:256
	;; [unrolled: 1-line block ×3, first 2 shown]
	v_ashrrev_i32_e32 v22, 31, v21
	v_lshlrev_b64 v[19:20], 1, v[19:20]
	v_add_co_u32 v25, vcc_lo, v1, v25
	v_add_co_ci_u32_e32 v26, vcc_lo, v2, v26, vcc_lo
	s_delay_alu instid0(VALU_DEP_4) | instskip(NEXT) | instid1(VALU_DEP_4)
	v_lshlrev_b64 v[21:22], 1, v[21:22]
	v_add_co_u32 v19, vcc_lo, v1, v19
	v_add_co_ci_u32_e32 v20, vcc_lo, v2, v20, vcc_lo
	s_delay_alu instid0(VALU_DEP_3) | instskip(NEXT) | instid1(VALU_DEP_4)
	v_add_co_u32 v21, vcc_lo, v1, v21
	v_add_co_ci_u32_e32 v22, vcc_lo, v2, v22, vcc_lo
	s_waitcnt lgkmcnt(3)
	global_store_b128 v[23:24], v[3:6], off
	s_waitcnt lgkmcnt(2)
	global_store_b128 v[25:26], v[7:10], off
	;; [unrolled: 2-line block ×4, first 2 shown]
	s_and_b32 exec_lo, exec_lo, s3
	s_cbranch_execz .LBB182_2
; %bb.18:
	ds_load_b128 v[3:6], v0 offset:512
	s_add_i32 s1, s33, 8
	s_delay_alu instid0(SALU_CYCLE_1) | instskip(NEXT) | instid1(SALU_CYCLE_1)
	s_mul_i32 s0, s1, s0
	s_ashr_i32 s1, s0, 31
	s_delay_alu instid0(SALU_CYCLE_1) | instskip(NEXT) | instid1(SALU_CYCLE_1)
	s_lshl_b64 s[0:1], s[0:1], 1
	v_add_co_u32 v0, vcc_lo, v1, s0
	v_add_co_ci_u32_e32 v1, vcc_lo, s1, v2, vcc_lo
	s_waitcnt lgkmcnt(0)
	global_store_b128 v[0:1], v[3:6], off
	s_nop 0
	s_sendmsg sendmsg(MSG_DEALLOC_VGPRS)
	s_endpgm
	.section	.rodata,"a",@progbits
	.p2align	6, 0x0
	.amdhsa_kernel _Z39paged_attention_ll4mi_QKV_mfma16_kernelIDF16_DF16_LN4vllm18Fp8KVCacheDataTypeE0EDF16_Li32ELi64ELi256ELb0ELi9EL8MFMAType0EEvPKT_PKT0_S8_ifPKiSA_SA_iPKfiiiPfSD_PS3_PT2_iSC_SC_
		.amdhsa_group_segment_fixed_size 17472
		.amdhsa_private_segment_fixed_size 0
		.amdhsa_kernarg_size 400
		.amdhsa_user_sgpr_count 13
		.amdhsa_user_sgpr_dispatch_ptr 0
		.amdhsa_user_sgpr_queue_ptr 0
		.amdhsa_user_sgpr_kernarg_segment_ptr 1
		.amdhsa_user_sgpr_dispatch_id 0
		.amdhsa_user_sgpr_private_segment_size 0
		.amdhsa_wavefront_size32 1
		.amdhsa_uses_dynamic_stack 0
		.amdhsa_enable_private_segment 0
		.amdhsa_system_sgpr_workgroup_id_x 1
		.amdhsa_system_sgpr_workgroup_id_y 1
		.amdhsa_system_sgpr_workgroup_id_z 1
		.amdhsa_system_sgpr_workgroup_info 0
		.amdhsa_system_vgpr_workitem_id 0
		.amdhsa_next_free_vgpr 154
		.amdhsa_next_free_sgpr 39
		.amdhsa_reserve_vcc 1
		.amdhsa_float_round_mode_32 0
		.amdhsa_float_round_mode_16_64 0
		.amdhsa_float_denorm_mode_32 3
		.amdhsa_float_denorm_mode_16_64 3
		.amdhsa_dx10_clamp 1
		.amdhsa_ieee_mode 1
		.amdhsa_fp16_overflow 0
		.amdhsa_workgroup_processor_mode 1
		.amdhsa_memory_ordered 1
		.amdhsa_forward_progress 0
		.amdhsa_shared_vgpr_count 0
		.amdhsa_exception_fp_ieee_invalid_op 0
		.amdhsa_exception_fp_denorm_src 0
		.amdhsa_exception_fp_ieee_div_zero 0
		.amdhsa_exception_fp_ieee_overflow 0
		.amdhsa_exception_fp_ieee_underflow 0
		.amdhsa_exception_fp_ieee_inexact 0
		.amdhsa_exception_int_div_zero 0
	.end_amdhsa_kernel
	.section	.text._Z39paged_attention_ll4mi_QKV_mfma16_kernelIDF16_DF16_LN4vllm18Fp8KVCacheDataTypeE0EDF16_Li32ELi64ELi256ELb0ELi9EL8MFMAType0EEvPKT_PKT0_S8_ifPKiSA_SA_iPKfiiiPfSD_PS3_PT2_iSC_SC_,"axG",@progbits,_Z39paged_attention_ll4mi_QKV_mfma16_kernelIDF16_DF16_LN4vllm18Fp8KVCacheDataTypeE0EDF16_Li32ELi64ELi256ELb0ELi9EL8MFMAType0EEvPKT_PKT0_S8_ifPKiSA_SA_iPKfiiiPfSD_PS3_PT2_iSC_SC_,comdat
.Lfunc_end182:
	.size	_Z39paged_attention_ll4mi_QKV_mfma16_kernelIDF16_DF16_LN4vllm18Fp8KVCacheDataTypeE0EDF16_Li32ELi64ELi256ELb0ELi9EL8MFMAType0EEvPKT_PKT0_S8_ifPKiSA_SA_iPKfiiiPfSD_PS3_PT2_iSC_SC_, .Lfunc_end182-_Z39paged_attention_ll4mi_QKV_mfma16_kernelIDF16_DF16_LN4vllm18Fp8KVCacheDataTypeE0EDF16_Li32ELi64ELi256ELb0ELi9EL8MFMAType0EEvPKT_PKT0_S8_ifPKiSA_SA_iPKfiiiPfSD_PS3_PT2_iSC_SC_
                                        ; -- End function
	.section	.AMDGPU.csdata,"",@progbits
; Kernel info:
; codeLenInByte = 7316
; NumSgprs: 41
; NumVgprs: 154
; ScratchSize: 0
; MemoryBound: 0
; FloatMode: 240
; IeeeMode: 1
; LDSByteSize: 17472 bytes/workgroup (compile time only)
; SGPRBlocks: 5
; VGPRBlocks: 19
; NumSGPRsForWavesPerEU: 41
; NumVGPRsForWavesPerEU: 154
; Occupancy: 9
; WaveLimiterHint : 1
; COMPUTE_PGM_RSRC2:SCRATCH_EN: 0
; COMPUTE_PGM_RSRC2:USER_SGPR: 13
; COMPUTE_PGM_RSRC2:TRAP_HANDLER: 0
; COMPUTE_PGM_RSRC2:TGID_X_EN: 1
; COMPUTE_PGM_RSRC2:TGID_Y_EN: 1
; COMPUTE_PGM_RSRC2:TGID_Z_EN: 1
; COMPUTE_PGM_RSRC2:TIDIG_COMP_CNT: 0
	.section	.text._Z39paged_attention_ll4mi_QKV_mfma16_kernelIDF16_DF16_LN4vllm18Fp8KVCacheDataTypeE0EDF16_Li32ELi64ELi256ELb0ELi10EL8MFMAType0EEvPKT_PKT0_S8_ifPKiSA_SA_iPKfiiiPfSD_PS3_PT2_iSC_SC_,"axG",@progbits,_Z39paged_attention_ll4mi_QKV_mfma16_kernelIDF16_DF16_LN4vllm18Fp8KVCacheDataTypeE0EDF16_Li32ELi64ELi256ELb0ELi10EL8MFMAType0EEvPKT_PKT0_S8_ifPKiSA_SA_iPKfiiiPfSD_PS3_PT2_iSC_SC_,comdat
	.protected	_Z39paged_attention_ll4mi_QKV_mfma16_kernelIDF16_DF16_LN4vllm18Fp8KVCacheDataTypeE0EDF16_Li32ELi64ELi256ELb0ELi10EL8MFMAType0EEvPKT_PKT0_S8_ifPKiSA_SA_iPKfiiiPfSD_PS3_PT2_iSC_SC_ ; -- Begin function _Z39paged_attention_ll4mi_QKV_mfma16_kernelIDF16_DF16_LN4vllm18Fp8KVCacheDataTypeE0EDF16_Li32ELi64ELi256ELb0ELi10EL8MFMAType0EEvPKT_PKT0_S8_ifPKiSA_SA_iPKfiiiPfSD_PS3_PT2_iSC_SC_
	.globl	_Z39paged_attention_ll4mi_QKV_mfma16_kernelIDF16_DF16_LN4vllm18Fp8KVCacheDataTypeE0EDF16_Li32ELi64ELi256ELb0ELi10EL8MFMAType0EEvPKT_PKT0_S8_ifPKiSA_SA_iPKfiiiPfSD_PS3_PT2_iSC_SC_
	.p2align	8
	.type	_Z39paged_attention_ll4mi_QKV_mfma16_kernelIDF16_DF16_LN4vllm18Fp8KVCacheDataTypeE0EDF16_Li32ELi64ELi256ELb0ELi10EL8MFMAType0EEvPKT_PKT0_S8_ifPKiSA_SA_iPKfiiiPfSD_PS3_PT2_iSC_SC_,@function
_Z39paged_attention_ll4mi_QKV_mfma16_kernelIDF16_DF16_LN4vllm18Fp8KVCacheDataTypeE0EDF16_Li32ELi64ELi256ELb0ELi10EL8MFMAType0EEvPKT_PKT0_S8_ifPKiSA_SA_iPKfiiiPfSD_PS3_PT2_iSC_SC_: ; @_Z39paged_attention_ll4mi_QKV_mfma16_kernelIDF16_DF16_LN4vllm18Fp8KVCacheDataTypeE0EDF16_Li32ELi64ELi256ELb0ELi10EL8MFMAType0EEvPKT_PKT0_S8_ifPKiSA_SA_iPKfiiiPfSD_PS3_PT2_iSC_SC_
; %bb.0:
	s_load_b64 s[2:3], s[0:1], 0x30
	s_mov_b32 s34, s13
	s_waitcnt lgkmcnt(0)
	s_cmp_lg_u64 s[2:3], 0
	s_cselect_b32 s6, -1, 0
	s_ashr_i32 s35, s13, 31
	s_cmp_eq_u64 s[2:3], 0
	s_cbranch_scc1 .LBB183_3
; %bb.1:
	s_lshl_b64 s[4:5], s[34:35], 2
	s_delay_alu instid0(SALU_CYCLE_1) | instskip(SKIP_4) | instid1(SALU_CYCLE_1)
	s_add_u32 s4, s2, s4
	s_addc_u32 s5, s3, s5
	s_load_b64 s[4:5], s[4:5], 0x0
	s_waitcnt lgkmcnt(0)
	s_sub_i32 s4, s5, s4
	s_cmp_eq_u32 s4, 1
	s_cselect_b32 s4, -1, 0
	s_delay_alu instid0(SALU_CYCLE_1)
	s_and_not1_b32 vcc_lo, exec_lo, s4
	s_cbranch_vccz .LBB183_4
.LBB183_2:
	s_endpgm
.LBB183_3:
.LBB183_4:
	s_load_b64 s[8:9], s[0:1], 0x28
	s_lshl_b64 s[4:5], s[34:35], 2
	s_waitcnt lgkmcnt(0)
	s_add_u32 s8, s8, s4
	s_addc_u32 s9, s9, s5
	s_lshl_b32 s16, s14, 8
	s_load_b32 s18, s[8:9], 0x0
	s_waitcnt lgkmcnt(0)
	s_cmp_ge_i32 s16, s18
	s_cbranch_scc1 .LBB183_2
; %bb.5:
	s_and_not1_b32 vcc_lo, exec_lo, s6
	s_cbranch_vccnz .LBB183_7
; %bb.6:
	s_add_u32 s2, s2, s4
	s_addc_u32 s3, s3, s5
	s_load_b32 s17, s[2:3], 0x0
	s_branch .LBB183_8
.LBB183_7:
	s_mov_b32 s17, s34
.LBB183_8:
	s_clause 0x2
	s_load_b128 s[8:11], s[0:1], 0x8
	s_load_b64 s[12:13], s[0:1], 0x20
	s_load_b128 s[4:7], s[0:1], 0x48
	v_and_b32_e32 v77, 15, v0
	v_cmp_lt_u32_e32 vcc_lo, 0x9f, v0
	s_delay_alu instid0(VALU_DEP_2) | instskip(SKIP_2) | instid1(VALU_DEP_3)
	v_cmp_lt_u32_e64 s3, 7, v77
	v_lshlrev_b32_e32 v1, 3, v77
	v_cmp_gt_u32_e64 s2, 8, v77
	s_or_b32 s3, vcc_lo, s3
	s_waitcnt lgkmcnt(0)
	s_and_saveexec_b32 s7, s3
	s_delay_alu instid0(SALU_CYCLE_1)
	s_xor_b32 s3, exec_lo, s7
; %bb.9:
	v_mov_b32_e32 v2, 0
; %bb.10:
	s_or_saveexec_b32 s3, s3
	v_lshrrev_b32_e32 v79, 5, v0
	v_and_b32_e32 v80, 31, v0
	v_and_b32_e32 v76, 1, v0
	v_bfe_u32 v75, v0, 4, 1
	s_mul_i32 s31, s15, 10
	s_xor_b32 exec_lo, exec_lo, s3
	s_cbranch_execz .LBB183_12
; %bb.11:
	s_load_b64 s[20:21], s[0:1], 0x0
	v_lshl_or_b32 v7, v79, 1, v75
	s_mul_hi_i32 s23, s17, s4
	s_mul_i32 s22, s17, s4
	v_lshlrev_b32_e32 v4, 1, v1
	s_lshl_b64 s[22:23], s[22:23], 1
	v_add_lshl_u32 v2, v7, s31, 6
	v_lshlrev_b32_e32 v7, 6, v7
	v_lshlrev_b32_e32 v8, 10, v76
	s_delay_alu instid0(VALU_DEP_3) | instskip(NEXT) | instid1(VALU_DEP_1)
	v_ashrrev_i32_e32 v3, 31, v2
	v_lshlrev_b64 v[2:3], 1, v[2:3]
	s_waitcnt lgkmcnt(0)
	s_add_u32 s4, s20, s22
	s_addc_u32 s7, s21, s23
	s_delay_alu instid0(VALU_DEP_1) | instskip(NEXT) | instid1(VALU_DEP_2)
	v_add_co_u32 v2, vcc_lo, s4, v2
	v_add_co_ci_u32_e32 v3, vcc_lo, s7, v3, vcc_lo
	s_delay_alu instid0(VALU_DEP_2) | instskip(NEXT) | instid1(VALU_DEP_2)
	v_add_co_u32 v2, vcc_lo, v2, v4
	v_add_co_ci_u32_e32 v3, vcc_lo, 0, v3, vcc_lo
	global_load_b128 v[3:6], v[2:3], off
	v_lshlrev_b32_e32 v2, 10, v77
	s_delay_alu instid0(VALU_DEP_1) | instskip(NEXT) | instid1(VALU_DEP_1)
	v_and_b32_e32 v2, 0x3800, v2
	v_or3_b32 v7, v2, v8, v7
	v_mov_b32_e32 v2, 0
	s_waitcnt vmcnt(0)
	ds_store_b128 v7, v[3:6]
.LBB183_12:
	s_or_b32 exec_lo, exec_lo, s3
	v_and_b32_e32 v3, 0xef, v0
	s_add_i32 s3, s18, 31
	s_clause 0x1
	s_load_b32 s4, s[0:1], 0x38
	s_load_b32 s33, s[0:1], 0x98
	s_ashr_i32 s7, s3, 31
	v_add_nc_u32_e32 v3, s16, v3
	s_lshr_b32 s7, s7, 27
	s_load_b32 s19, s[0:1], 0x1c
	s_add_i32 s3, s3, s7
	s_waitcnt lgkmcnt(0)
	v_ashrrev_i32_e32 v4, 31, v3
	v_cmp_gt_i32_e32 vcc_lo, s18, v3
	s_ashr_i32 s3, s3, 5
	s_barrier
	s_add_i32 s3, s3, -1
	v_lshrrev_b32_e32 v5, 27, v4
	v_or_b32_e32 v4, 16, v3
	buffer_gl0_inv
	s_mul_i32 s6, s15, s6
	v_lshlrev_b64 v[73:74], 1, v[1:2]
	v_add_nc_u32_e32 v6, v3, v5
	v_add_nc_u32_e32 v5, v4, v5
	s_mul_i32 s20, s34, s4
	v_lshlrev_b32_e32 v78, 6, v77
	s_ashr_i32 s21, s20, 31
	v_ashrrev_i32_e32 v6, 5, v6
	v_ashrrev_i32_e32 v5, 5, v5
	s_lshl_b64 s[20:21], s[20:21], 2
	v_lshl_or_b32 v33, v79, 10, v78
	s_add_u32 s4, s12, s20
	v_cndmask_b32_e32 v3, s3, v6, vcc_lo
	v_cmp_gt_i32_e32 vcc_lo, s18, v4
	s_addc_u32 s17, s13, s21
	s_ashr_i32 s7, s6, 31
	s_delay_alu instid0(VALU_DEP_2) | instskip(SKIP_2) | instid1(SALU_CYCLE_1)
	v_ashrrev_i32_e32 v4, 31, v3
	v_cndmask_b32_e32 v5, s3, v5, vcc_lo
	s_lshl_b64 s[6:7], s[6:7], 1
	s_add_u32 s15, s8, s6
	s_delay_alu instid0(VALU_DEP_2) | instskip(NEXT) | instid1(VALU_DEP_2)
	v_lshlrev_b64 v[3:4], 2, v[3:4]
	v_ashrrev_i32_e32 v6, 31, v5
	s_addc_u32 s28, s9, s7
	s_lshl_b32 s8, s14, 3
	s_delay_alu instid0(SALU_CYCLE_1) | instskip(NEXT) | instid1(VALU_DEP_1)
	s_ashr_i32 s9, s8, 31
	v_lshlrev_b64 v[5:6], 2, v[5:6]
	v_add_co_u32 v3, vcc_lo, s4, v3
	v_add_co_ci_u32_e32 v4, vcc_lo, s17, v4, vcc_lo
	s_lshl_b64 s[8:9], s[8:9], 2
	s_delay_alu instid0(VALU_DEP_3) | instskip(NEXT) | instid1(VALU_DEP_4)
	v_add_co_u32 v5, vcc_lo, s4, v5
	v_add_co_ci_u32_e32 v6, vcc_lo, s17, v6, vcc_lo
	s_add_u32 s8, s4, s8
	s_clause 0x1
	global_load_b32 v7, v[3:4], off
	global_load_b32 v8, v[5:6], off
	s_addc_u32 s9, s17, s9
	s_or_b32 s12, s16, 32
	s_delay_alu instid0(SALU_CYCLE_1) | instskip(SKIP_2) | instid1(SALU_CYCLE_1)
	s_ashr_i32 s13, s12, 5
	s_cmp_lt_i32 s12, s18
	s_cselect_b32 s12, s13, s3
	s_ashr_i32 s13, s12, 31
	s_delay_alu instid0(SALU_CYCLE_1) | instskip(NEXT) | instid1(SALU_CYCLE_1)
	s_lshl_b64 s[12:13], s[12:13], 2
	s_add_u32 s12, s4, s12
	s_addc_u32 s13, s17, s13
	s_or_b32 s20, s16, 64
	s_delay_alu instid0(SALU_CYCLE_1) | instskip(SKIP_2) | instid1(SALU_CYCLE_1)
	s_ashr_i32 s21, s20, 5
	s_cmp_lt_i32 s20, s18
	s_cselect_b32 s20, s21, s3
	s_ashr_i32 s21, s20, 31
	s_delay_alu instid0(SALU_CYCLE_1) | instskip(NEXT) | instid1(SALU_CYCLE_1)
	s_lshl_b64 s[20:21], s[20:21], 2
	s_add_u32 s20, s4, s20
	;; [unrolled: 10-line block ×5, first 2 shown]
	s_addc_u32 s27, s17, s27
	s_clause 0x5
	s_load_b32 s29, s[8:9], 0x0
	s_load_b32 s30, s[12:13], 0x0
	;; [unrolled: 1-line block ×6, first 2 shown]
	s_or_b32 s8, s16, 0xc0
	s_mov_b32 s20, 0
	s_ashr_i32 s9, s8, 5
	s_cmp_lt_i32 s8, s18
	s_mov_b32 s27, s20
	s_cselect_b32 s8, s9, s3
	s_mov_b32 s21, s20
	s_ashr_i32 s9, s8, 31
	s_mov_b32 s22, s20
	s_lshl_b64 s[8:9], s[8:9], 2
	s_mov_b32 s23, s20
	s_add_u32 s8, s4, s8
	s_mov_b32 s24, s20
	s_mov_b32 s25, s20
	;; [unrolled: 1-line block ×3, first 2 shown]
	s_addc_u32 s9, s17, s9
	v_dual_mov_b32 v128, s27 :: v_dual_mov_b32 v127, s26
	v_dual_mov_b32 v126, s25 :: v_dual_mov_b32 v125, s24
	;; [unrolled: 1-line block ×3, first 2 shown]
	v_mov_b32_e32 v121, s20
	s_waitcnt lgkmcnt(0)
	s_mul_hi_i32 s13, s29, s5
	s_mul_i32 s12, s29, s5
	v_mov_b32_e32 v122, s21
	s_mul_hi_i32 s21, s30, s5
	s_mul_i32 s20, s30, s5
	s_mul_hi_i32 s25, s35, s5
	s_mul_i32 s24, s35, s5
	;; [unrolled: 2-line block ×3, first 2 shown]
	s_mul_i32 s36, s38, s5
	s_waitcnt vmcnt(1)
	v_mad_i64_i32 v[3:4], null, v7, s5, 0
	s_waitcnt vmcnt(0)
	v_mad_i64_i32 v[5:6], null, v8, s5, 0
	s_delay_alu instid0(VALU_DEP_2) | instskip(NEXT) | instid1(VALU_DEP_2)
	v_lshlrev_b64 v[3:4], 1, v[3:4]
	v_lshlrev_b64 v[1:2], 1, v[5:6]
	s_delay_alu instid0(VALU_DEP_2) | instskip(NEXT) | instid1(VALU_DEP_3)
	v_add_co_u32 v3, vcc_lo, s15, v3
	v_add_co_ci_u32_e32 v4, vcc_lo, s28, v4, vcc_lo
	s_delay_alu instid0(VALU_DEP_3) | instskip(NEXT) | instid1(VALU_DEP_4)
	v_add_co_u32 v1, vcc_lo, s15, v1
	v_add_co_ci_u32_e32 v2, vcc_lo, s28, v2, vcc_lo
	s_delay_alu instid0(VALU_DEP_4) | instskip(NEXT) | instid1(VALU_DEP_4)
	v_add_co_u32 v25, vcc_lo, v3, v73
	v_add_co_ci_u32_e32 v26, vcc_lo, v4, v74, vcc_lo
	s_delay_alu instid0(VALU_DEP_4) | instskip(NEXT) | instid1(VALU_DEP_4)
	v_add_co_u32 v27, vcc_lo, v1, v73
	v_add_co_ci_u32_e32 v28, vcc_lo, v2, v74, vcc_lo
	s_clause 0xf
	global_load_b128 v[1:4], v[25:26], off
	global_load_b128 v[5:8], v[25:26], off offset:512
	global_load_b128 v[9:12], v[27:28], off offset:256
	;; [unrolled: 1-line block ×15, first 2 shown]
	s_or_b32 s15, s16, 0xe0
	v_add_nc_u32_e32 v25, -10, v77
	s_ashr_i32 s22, s15, 5
	s_cmp_lt_i32 s15, s18
	v_cmp_gt_u32_e32 vcc_lo, 10, v77
	s_cselect_b32 s22, s22, s3
	s_delay_alu instid0(SALU_CYCLE_1) | instskip(NEXT) | instid1(SALU_CYCLE_1)
	s_ashr_i32 s23, s22, 31
	s_lshl_b64 s[22:23], s[22:23], 2
	v_cndmask_b32_e32 v25, v25, v77, vcc_lo
	s_add_u32 s22, s4, s22
	s_addc_u32 s23, s17, s23
	s_add_i32 s15, s16, 0x100
	s_delay_alu instid0(SALU_CYCLE_1)
	s_ashr_i32 s28, s15, 5
	s_cmp_lt_i32 s15, s18
	v_lshlrev_b32_e32 v151, 6, v25
	s_cselect_b32 s28, s28, s3
	ds_load_b128 v[25:28], v151
	ds_load_b128 v[29:32], v151 offset:1024
	s_ashr_i32 s29, s28, 31
	ds_load_b128 v[129:132], v151 offset:2048
	ds_load_b128 v[133:136], v151 offset:3072
	s_lshl_b64 s[28:29], s[28:29], 2
	s_load_b32 s15, s[8:9], 0x0
	s_add_u32 s28, s4, s28
	s_addc_u32 s29, s17, s29
	s_add_u32 s3, s10, s6
	s_clause 0x1
	s_load_b32 s4, s[22:23], 0x0
	s_load_b32 s17, s[28:29], 0x0
	s_addc_u32 s28, s11, s7
	v_add_co_u32 v152, s3, s3, v33
	s_delay_alu instid0(VALU_DEP_1) | instskip(SKIP_2) | instid1(VALU_DEP_2)
	v_add_co_ci_u32_e64 v153, null, s28, 0, s3
	s_lshl_b64 s[6:7], s[12:13], 1
	s_lshl_b64 s[10:11], s[20:21], 1
	v_add_co_u32 v33, vcc_lo, v152, s6
	s_delay_alu instid0(VALU_DEP_2)
	v_add_co_ci_u32_e32 v34, vcc_lo, s7, v153, vcc_lo
	v_add_co_u32 v35, vcc_lo, v152, s10
	s_lshl_b64 s[12:13], s[24:25], 1
	v_add_co_ci_u32_e32 v36, vcc_lo, s11, v153, vcc_lo
	v_add_co_u32 v37, vcc_lo, v152, s12
	s_lshl_b64 s[20:21], s[26:27], 1
	s_mul_hi_i32 s9, s37, s5
	s_mul_i32 s8, s37, s5
	v_add_co_ci_u32_e32 v38, vcc_lo, s13, v153, vcc_lo
	v_add_co_u32 v39, vcc_lo, v152, s20
	s_lshl_b64 s[8:9], s[8:9], 1
	s_mul_hi_i32 s37, s38, s5
	v_add_co_ci_u32_e32 v40, vcc_lo, s21, v153, vcc_lo
	v_add_co_u32 v145, vcc_lo, v152, s8
	s_lshl_b64 s[22:23], s[36:37], 1
	s_waitcnt lgkmcnt(0)
	s_mul_hi_i32 s25, s15, s5
	s_mul_i32 s24, s15, s5
	v_add_co_ci_u32_e32 v146, vcc_lo, s9, v153, vcc_lo
	v_add_co_u32 v147, vcc_lo, v152, s22
	s_lshl_b64 s[24:25], s[24:25], 1
	v_add_co_ci_u32_e32 v148, vcc_lo, s23, v153, vcc_lo
	s_mul_hi_i32 s7, s4, s5
	s_mul_i32 s6, s4, s5
	v_add_co_u32 v149, vcc_lo, v152, s24
	s_lshl_b64 s[6:7], s[6:7], 1
	v_add_co_ci_u32_e32 v150, vcc_lo, s25, v153, vcc_lo
	s_clause 0x7
	global_load_b128 v[65:68], v[33:34], off
	global_load_b128 v[69:72], v[33:34], off offset:16
	global_load_b128 v[57:60], v[35:36], off
	global_load_b128 v[61:64], v[35:36], off offset:16
	global_load_b128 v[49:52], v[37:38], off
	global_load_b128 v[53:56], v[37:38], off offset:16
	global_load_b128 v[41:44], v[39:40], off
	global_load_b128 v[45:48], v[39:40], off offset:16
	s_waitcnt vmcnt(22)
	v_wmma_f32_16x16x16_f16 v[137:144], v[1:8], v[25:32], v[121:128]
	s_waitcnt vmcnt(20)
	v_wmma_f32_16x16x16_f16 v[121:128], v[9:16], v[25:32], v[121:128]
	v_add_co_u32 v29, vcc_lo, v152, s6
	v_add_co_ci_u32_e32 v30, vcc_lo, s7, v153, vcc_lo
	s_mul_hi_i32 s7, s17, s5
	s_mul_i32 s6, s17, s5
	s_waitcnt vmcnt(18)
	v_wmma_f32_16x16x16_f16 v[137:144], v[17:24], v[129:136], v[137:144]
	s_lshl_b64 s[4:5], s[6:7], 1
	s_clause 0x1
	global_load_b128 v[9:12], v[145:146], off
	global_load_b128 v[13:16], v[145:146], off offset:16
	v_add_co_u32 v21, vcc_lo, v152, s4
	v_add_co_ci_u32_e32 v22, vcc_lo, s5, v153, vcc_lo
	s_clause 0x7
	global_load_b128 v[1:4], v[147:148], off
	global_load_b128 v[5:8], v[147:148], off offset:16
	global_load_b128 v[33:36], v[149:150], off
	global_load_b128 v[37:40], v[149:150], off offset:16
	;; [unrolled: 2-line block ×4, first 2 shown]
	s_waitcnt vmcnt(26)
	v_wmma_f32_16x16x16_f16 v[121:128], v[81:88], v[129:136], v[121:128]
	ds_load_b128 v[81:84], v151 offset:4096
	ds_load_b128 v[85:88], v151 offset:5120
	v_mbcnt_lo_u32_b32 v130, -1, 0
	s_delay_alu instid0(VALU_DEP_1) | instskip(NEXT) | instid1(VALU_DEP_1)
	v_xor_b32_e32 v131, 16, v130
	v_cmp_gt_i32_e32 vcc_lo, 32, v131
	v_cndmask_b32_e32 v130, v130, v131, vcc_lo
	s_waitcnt vmcnt(24) lgkmcnt(0)
	v_wmma_f32_16x16x16_f16 v[137:144], v[89:96], v[81:88], v[137:144]
	ds_load_b128 v[89:92], v151 offset:6144
	ds_load_b128 v[93:96], v151 offset:7168
	s_waitcnt vmcnt(22)
	v_wmma_f32_16x16x16_f16 v[121:128], v[97:104], v[81:88], v[121:128]
	s_waitcnt vmcnt(0) lgkmcnt(0)
	s_barrier
	buffer_gl0_inv
	v_wmma_f32_16x16x16_f16 v[137:144], v[105:112], v[89:96], v[137:144]
	v_and_b32_e32 v129, 0xe0, v0
	v_wmma_f32_16x16x16_f16 v[121:128], v[113:120], v[89:96], v[121:128]
	s_delay_alu instid0(VALU_DEP_3) | instskip(NEXT) | instid1(VALU_DEP_2)
	v_mul_f32_e32 v96, s19, v137
	v_dual_mul_f32 v104, s19, v126 :: v_dual_add_nc_u32 v129, s16, v129
	v_mul_f32_e32 v95, s19, v138
	v_dual_mul_f32 v93, s19, v140 :: v_dual_mul_f32 v94, s19, v139
	s_delay_alu instid0(VALU_DEP_3) | instskip(SKIP_3) | instid1(VALU_DEP_4)
	v_or_b32_e32 v129, v129, v75
	v_dual_mul_f32 v91, s19, v142 :: v_dual_mul_f32 v106, s19, v124
	v_dual_mul_f32 v92, s19, v141 :: v_dual_mul_f32 v89, s19, v144
	v_mul_f32_e32 v108, s19, v122
	v_or_b32_e32 v131, 2, v129
	v_or_b32_e32 v132, 4, v129
	;; [unrolled: 1-line block ×3, first 2 shown]
	v_cmp_gt_i32_e32 vcc_lo, s18, v129
	v_or_b32_e32 v82, 8, v129
	v_cmp_gt_i32_e64 s3, s18, v131
	v_or_b32_e32 v83, 10, v129
	v_cmp_gt_i32_e64 s4, s18, v132
	v_cndmask_b32_e32 v96, 0xff7fffff, v96, vcc_lo
	v_cmp_gt_i32_e64 s5, s18, v81
	v_cndmask_b32_e64 v95, 0xff7fffff, v95, s3
	v_or_b32_e32 v84, 12, v129
	v_or_b32_e32 v85, 14, v129
	v_cndmask_b32_e64 v94, 0xff7fffff, v94, s4
	v_cndmask_b32_e64 v81, 0xff7fffff, v93, s5
	v_max3_f32 v93, v96, 0xff7fffff, v95
	v_cmp_gt_i32_e64 s6, s18, v82
	v_cmp_gt_i32_e64 s7, s18, v83
	v_or_b32_e32 v86, 16, v129
	v_or_b32_e32 v87, 18, v129
	v_mul_f32_e32 v90, s19, v143
	v_cndmask_b32_e64 v82, 0xff7fffff, v92, s6
	v_cndmask_b32_e64 v83, 0xff7fffff, v91, s7
	v_max3_f32 v81, v93, v94, v81
	v_cmp_gt_i32_e64 s8, s18, v84
	v_cmp_gt_i32_e64 s9, s18, v85
	v_or_b32_e32 v88, 20, v129
	v_or_b32_e32 v97, 22, v129
	v_mul_f32_e32 v109, s19, v121
	;; [unrolled: 8-line block ×4, first 2 shown]
	v_cndmask_b32_e64 v84, 0xff7fffff, v107, s12
	v_cndmask_b32_e64 v85, 0xff7fffff, v106, s13
	v_max3_f32 v81, v81, v82, v83
	v_cmp_gt_i32_e64 s15, s18, v98
	v_cmp_gt_i32_e64 s16, s18, v99
	v_dual_mul_f32 v102, s19, v128 :: v_dual_mul_f32 v103, s19, v127
	s_delay_alu instid0(VALU_DEP_4) | instskip(NEXT) | instid1(VALU_DEP_4)
	v_max3_f32 v81, v81, v84, v85
	v_cndmask_b32_e64 v82, 0xff7fffff, v105, s15
	s_delay_alu instid0(VALU_DEP_4) | instskip(SKIP_2) | instid1(VALU_DEP_3)
	v_cndmask_b32_e64 v83, 0xff7fffff, v104, s16
	v_cmp_gt_i32_e64 s17, s18, v100
	v_cmp_gt_i32_e64 s18, s18, v101
	v_max3_f32 v81, v81, v82, v83
	s_delay_alu instid0(VALU_DEP_3) | instskip(NEXT) | instid1(VALU_DEP_3)
	v_cndmask_b32_e64 v84, 0xff7fffff, v103, s17
	v_cndmask_b32_e64 v85, 0xff7fffff, v102, s18
	v_lshlrev_b32_e32 v83, 2, v130
	s_delay_alu instid0(VALU_DEP_2) | instskip(SKIP_3) | instid1(VALU_DEP_1)
	v_max3_f32 v81, v81, v84, v85
	ds_bpermute_b32 v82, v83, v81
	s_waitcnt lgkmcnt(0)
	v_max_f32_e32 v82, v82, v82
	v_max_f32_e32 v81, v81, v82
	s_delay_alu instid0(VALU_DEP_1) | instskip(SKIP_2) | instid1(VALU_DEP_3)
	v_fma_f32 v82, s19, v137, -v81
	v_fma_f32 v84, s19, v138, -v81
	;; [unrolled: 1-line block ×3, first 2 shown]
	v_mul_f32_e32 v82, 0x3fb8aa3b, v82
	s_delay_alu instid0(VALU_DEP_2) | instskip(NEXT) | instid1(VALU_DEP_2)
	v_dual_mul_f32 v84, 0x3fb8aa3b, v84 :: v_dual_mul_f32 v89, 0x3fb8aa3b, v87
	v_exp_f32_e32 v82, v82
	s_delay_alu instid0(VALU_DEP_1) | instskip(NEXT) | instid1(VALU_DEP_1)
	v_exp_f32_e32 v84, v84
	v_exp_f32_e32 v92, v89
	s_delay_alu instid0(TRANS32_DEP_3)
	v_cndmask_b32_e32 v88, 0, v82, vcc_lo
	s_waitcnt_depctr 0xfff
	v_cndmask_b32_e64 v87, 0, v84, s3
	v_cndmask_b32_e64 v92, 0, v92, s6
	s_mov_b32 s3, exec_lo
	v_add_f32_e32 v84, 0, v88
	s_delay_alu instid0(VALU_DEP_1)
	v_add_f32_e32 v84, v84, v87
	v_fma_f32 v85, s19, v139, -v81
	v_fma_f32 v86, s19, v140, -v81
	;; [unrolled: 1-line block ×5, first 2 shown]
	s_delay_alu instid0(VALU_DEP_4) | instskip(NEXT) | instid1(VALU_DEP_4)
	v_dual_mul_f32 v85, 0x3fb8aa3b, v85 :: v_dual_mul_f32 v86, 0x3fb8aa3b, v86
	v_mul_f32_e32 v82, 0x3fb8aa3b, v82
	v_fma_f32 v96, s19, v124, -v81
	v_fma_f32 v99, s19, v127, -v81
	s_delay_alu instid0(VALU_DEP_4) | instskip(SKIP_3) | instid1(VALU_DEP_1)
	v_exp_f32_e32 v85, v85
	v_exp_f32_e32 v86, v86
	;; [unrolled: 1-line block ×3, first 2 shown]
	v_mul_f32_e32 v97, 0x3fb8aa3b, v96
	v_exp_f32_e32 v97, v97
	v_cndmask_b32_e64 v90, 0, v85, s4
	v_fma_f32 v85, s19, v144, -v81
	s_delay_alu instid0(TRANS32_DEP_3) | instskip(SKIP_1) | instid1(VALU_DEP_4)
	v_cndmask_b32_e64 v89, 0, v86, s5
	v_fma_f32 v86, s19, v121, -v81
	v_dual_add_f32 v84, v84, v90 :: v_dual_mul_f32 v91, 0x3fb8aa3b, v91
	s_delay_alu instid0(VALU_DEP_2) | instskip(NEXT) | instid1(TRANS32_DEP_1)
	v_mul_f32_e32 v86, 0x3fb8aa3b, v86
	v_cndmask_b32_e64 v97, 0, v97, s13
	s_delay_alu instid0(VALU_DEP_3)
	v_add_f32_e32 v84, v84, v89
	v_mul_f32_e32 v85, 0x3fb8aa3b, v85
	v_exp_f32_e32 v93, v91
	v_cndmask_b32_e64 v91, 0, v82, s7
	v_exp_f32_e32 v86, v86
	v_add_f32_e32 v82, v84, v92
	v_exp_f32_e32 v85, v85
	v_fma_f32 v84, s19, v123, -v81
	s_delay_alu instid0(VALU_DEP_2) | instskip(NEXT) | instid1(TRANS32_DEP_3)
	v_dual_mul_f32 v95, 0x3fb8aa3b, v94 :: v_dual_add_f32 v82, v82, v91
	v_cndmask_b32_e64 v94, 0, v93, s8
	s_delay_alu instid0(VALU_DEP_2) | instskip(NEXT) | instid1(TRANS32_DEP_3)
	v_exp_f32_e32 v95, v95
	v_cndmask_b32_e64 v96, 0, v86, s10
	v_fma_f32 v86, s19, v126, -v81
	s_delay_alu instid0(TRANS32_DEP_2) | instskip(SKIP_3) | instid1(VALU_DEP_3)
	v_cndmask_b32_e64 v93, 0, v85, s9
	v_fma_f32 v85, s19, v125, -v81
	v_mul_f32_e32 v84, 0x3fb8aa3b, v84
	v_add_f32_e32 v82, v82, v94
	v_dual_mul_f32 v86, 0x3fb8aa3b, v86 :: v_dual_mul_f32 v85, 0x3fb8aa3b, v85
	s_delay_alu instid0(VALU_DEP_3) | instskip(NEXT) | instid1(TRANS32_DEP_2)
	v_exp_f32_e32 v84, v84
	v_cndmask_b32_e64 v95, 0, v95, s11
	s_delay_alu instid0(VALU_DEP_2) | instskip(NEXT) | instid1(VALU_DEP_2)
	v_exp_f32_e32 v86, v86
	v_exp_f32_e32 v85, v85
	s_delay_alu instid0(TRANS32_DEP_3)
	v_cndmask_b32_e64 v98, 0, v84, s12
	v_mul_f32_e32 v84, 0x3fb8aa3b, v99
	v_fma_f32 v99, s19, v128, -v81
	v_add_f32_e32 v82, v82, v93
	s_waitcnt_depctr 0xfff
	v_cndmask_b32_e64 v100, 0, v85, s15
	v_exp_f32_e32 v84, v84
	v_dual_mul_f32 v85, 0x3fb8aa3b, v99 :: v_dual_add_f32 v82, v82, v96
	v_cndmask_b32_e64 v99, 0, v86, s16
	s_delay_alu instid0(VALU_DEP_2) | instskip(NEXT) | instid1(VALU_DEP_2)
	v_exp_f32_e32 v85, v85
	v_add_f32_e32 v82, v82, v95
	s_waitcnt_depctr 0xfff
	v_cndmask_b32_e64 v102, 0, v84, s17
	v_add_f32_e32 v82, v82, v98
	v_cndmask_b32_e64 v101, 0, v85, s18
	s_delay_alu instid0(VALU_DEP_2) | instskip(NEXT) | instid1(VALU_DEP_1)
	v_add_f32_e32 v82, v82, v97
	v_add_f32_e32 v82, v82, v100
	s_delay_alu instid0(VALU_DEP_1) | instskip(NEXT) | instid1(VALU_DEP_1)
	v_add_f32_e32 v82, v82, v99
	v_add_f32_e32 v82, v82, v102
	s_delay_alu instid0(VALU_DEP_1)
	v_add_f32_e32 v82, v82, v101
	ds_bpermute_b32 v83, v83, v82
	v_cmpx_gt_u32_e32 16, v80
	s_cbranch_execz .LBB183_14
; %bb.13:
	v_mul_u32_u24_e32 v80, 0x44, v79
	s_waitcnt lgkmcnt(0)
	v_add_f32_e32 v82, v82, v83
	s_delay_alu instid0(VALU_DEP_2) | instskip(NEXT) | instid1(VALU_DEP_1)
	v_lshl_add_u32 v80, v77, 2, v80
	v_add_nc_u32_e32 v80, 0x4000, v80
	ds_store_2addr_b32 v80, v81, v82 offset1:136
.LBB183_14:
	s_or_b32 exec_lo, exec_lo, s3
	v_lshlrev_b32_e32 v80, 2, v77
	s_load_b32 s35, s[0:1], 0x94
	s_waitcnt lgkmcnt(0)
	s_barrier
	buffer_gl0_inv
	v_add_nc_u32_e32 v84, 0x4000, v80
	v_cmp_eq_u32_e32 vcc_lo, 1, v79
	v_cmp_eq_u32_e64 s3, 2, v79
	v_cmp_eq_u32_e64 s4, 3, v79
	v_cmp_eq_u32_e64 s5, 5, v79
	ds_load_2addr_b32 v[80:81], v84 offset1:17
	ds_load_2addr_b32 v[82:83], v84 offset0:34 offset1:51
	ds_load_2addr_b32 v[103:104], v84 offset0:68 offset1:85
	;; [unrolled: 1-line block ×3, first 2 shown]
	v_cmp_eq_u32_e64 s6, 7, v79
	s_waitcnt lgkmcnt(3)
	v_max3_f32 v85, v80, 0xff7fffff, v81
	s_waitcnt lgkmcnt(2)
	s_delay_alu instid0(VALU_DEP_1) | instskip(SKIP_1) | instid1(VALU_DEP_1)
	v_max3_f32 v85, v85, v82, v83
	s_waitcnt lgkmcnt(1)
	v_max3_f32 v85, v85, v103, v104
	s_waitcnt lgkmcnt(0)
	s_delay_alu instid0(VALU_DEP_1) | instskip(NEXT) | instid1(VALU_DEP_1)
	v_max3_f32 v85, v85, v105, v106
	v_sub_f32_e32 v103, v103, v85
	ds_load_2addr_b32 v[107:108], v84 offset0:136 offset1:153
	v_sub_f32_e32 v80, v80, v85
	v_dual_sub_f32 v110, v83, v85 :: v_dual_mul_f32 v113, 0x3fb8aa3b, v103
	s_delay_alu instid0(VALU_DEP_2) | instskip(SKIP_3) | instid1(VALU_DEP_1)
	v_dual_sub_f32 v86, v81, v85 :: v_dual_mul_f32 v109, 0x3fb8aa3b, v80
	ds_load_2addr_b32 v[80:81], v84 offset0:170 offset1:187
	v_mul_f32_e32 v86, 0x3fb8aa3b, v86
	v_exp_f32_e32 v109, v109
	v_exp_f32_e32 v112, v86
	v_mul_f32_e32 v110, 0x3fb8aa3b, v110
	s_waitcnt lgkmcnt(1)
	s_waitcnt_depctr 0xfff
	v_fma_f32 v86, v109, v107, 0
	v_sub_f32_e32 v107, v104, v85
	v_sub_f32_e32 v82, v82, v85
	v_exp_f32_e32 v110, v110
	ds_load_2addr_b32 v[103:104], v84 offset0:238 offset1:255
	v_dual_fmac_f32 v86, v112, v108 :: v_dual_mul_f32 v111, 0x3fb8aa3b, v82
	ds_load_2addr_b32 v[82:83], v84 offset0:204 offset1:221
	v_dual_sub_f32 v84, v105, v85 :: v_dual_mul_f32 v105, 0x3fb8aa3b, v107
	v_exp_f32_e32 v107, v113
	v_exp_f32_e32 v111, v111
	s_waitcnt lgkmcnt(0)
	s_delay_alu instid0(VALU_DEP_1)
	v_mul_f32_e32 v84, 0x3fb8aa3b, v84
	v_exp_f32_e32 v105, v105
	s_barrier
	buffer_gl0_inv
	v_fmac_f32_e32 v86, v111, v80
	v_sub_f32_e32 v80, v106, v85
	v_exp_f32_e32 v106, v84
	s_delay_alu instid0(VALU_DEP_2) | instskip(NEXT) | instid1(VALU_DEP_2)
	v_fmac_f32_e32 v86, v110, v81
	v_mul_f32_e32 v80, 0x3fb8aa3b, v80
	s_delay_alu instid0(VALU_DEP_2) | instskip(NEXT) | instid1(VALU_DEP_2)
	v_dual_cndmask_b32 v81, v109, v112 :: v_dual_fmac_f32 v86, v107, v82
	v_exp_f32_e32 v108, v80
	s_delay_alu instid0(VALU_DEP_1) | instskip(SKIP_2) | instid1(VALU_DEP_1)
	v_fmac_f32_e32 v86, v105, v83
	s_waitcnt_depctr 0xfff
	v_fmac_f32_e32 v86, v106, v103
	v_fmac_f32_e32 v86, v108, v104
	s_delay_alu instid0(VALU_DEP_1) | instskip(NEXT) | instid1(VALU_DEP_1)
	v_add_f32_e32 v103, 0x358637bd, v86
	v_div_scale_f32 v104, null, v103, v103, 1.0
	v_div_scale_f32 v109, vcc_lo, 1.0, v103, 1.0
	s_delay_alu instid0(VALU_DEP_2) | instskip(SKIP_2) | instid1(VALU_DEP_1)
	v_rcp_f32_e32 v113, v104
	s_waitcnt_depctr 0xfff
	v_fma_f32 v80, -v104, v113, 1.0
	v_fmac_f32_e32 v113, v80, v113
	v_cndmask_b32_e64 v80, v81, v111, s3
	v_cmp_eq_u32_e64 s3, 4, v79
	v_lshl_or_b32 v81, v79, 11, v78
	s_delay_alu instid0(VALU_DEP_4) | instskip(NEXT) | instid1(VALU_DEP_4)
	v_mul_f32_e32 v111, v109, v113
	v_cndmask_b32_e64 v82, v80, v110, s4
	v_cmp_eq_u32_e64 s4, 6, v79
	s_delay_alu instid0(VALU_DEP_4) | instskip(SKIP_3) | instid1(VALU_DEP_3)
	v_lshl_or_b32 v79, v75, 4, v81
	v_lshlrev_b32_e32 v80, 2, v75
	v_fma_f32 v83, -v104, v111, v109
	v_cndmask_b32_e64 v84, v82, v107, s3
	v_or_b32_e32 v82, 1, v80
	s_delay_alu instid0(VALU_DEP_3) | instskip(NEXT) | instid1(VALU_DEP_3)
	v_fmac_f32_e32 v111, v83, v113
	v_cndmask_b32_e64 v105, v84, v105, s5
	v_or_b32_e32 v84, 2, v80
	v_or_b32_e32 v83, 3, v80
	v_cmp_eq_u32_e64 s3, 1, v80
	v_fma_f32 v104, -v104, v111, v109
	v_cndmask_b32_e64 v105, v105, v106, s4
	v_cmp_eq_u32_e64 s9, 1, v82
	v_cmp_eq_u32_e64 s10, 1, v84
	;; [unrolled: 1-line block ×3, first 2 shown]
	v_div_fmas_f32 v104, v104, v113, v111
	v_cndmask_b32_e64 v105, v105, v108, s6
	v_cmp_eq_u32_e32 vcc_lo, 2, v80
	v_cmp_eq_u32_e64 s12, 2, v82
	v_cmp_eq_u32_e64 s15, 2, v84
	v_div_fixup_f32 v103, v104, v103, 1.0
	v_cmp_eq_u32_e64 s16, 2, v83
	v_cmp_eq_u32_e64 s18, 3, v83
	;; [unrolled: 1-line block ×4, first 2 shown]
	v_mul_f32_e32 v111, v105, v103
	v_cmp_eq_u32_e64 s17, 3, v84
	v_cmp_eq_u32_e64 s22, 4, v83
	;; [unrolled: 1-line block ×4, first 2 shown]
	v_fma_mixlo_f16 v103, v111, v88, 0
	v_fma_mixlo_f16 v104, v111, v90, 0
	;; [unrolled: 1-line block ×8, first 2 shown]
	v_fma_mixhi_f16 v103, v111, v87, 0
	v_fma_mixhi_f16 v104, v111, v89, 0
	;; [unrolled: 1-line block ×8, first 2 shown]
	ds_store_b128 v79, v[103:106]
	ds_store_b128 v79, v[107:110] offset:1024
	s_waitcnt lgkmcnt(0)
	s_barrier
	buffer_gl0_inv
	ds_load_b128 v[87:90], v81
	ds_load_b128 v[91:94], v81 offset:16
	ds_load_b128 v[95:98], v81 offset:1024
	;; [unrolled: 1-line block ×3, first 2 shown]
	v_cmp_eq_u32_e64 s21, 4, v84
	v_cmp_eq_u32_e64 s24, 5, v83
	;; [unrolled: 1-line block ×13, first 2 shown]
	s_waitcnt lgkmcnt(3)
	v_lshrrev_b32_e32 v103, 16, v87
	s_waitcnt lgkmcnt(2)
	v_lshrrev_b32_e32 v107, 16, v91
	;; [unrolled: 2-line block ×4, first 2 shown]
	v_lshrrev_b32_e32 v104, 16, v88
	v_cndmask_b32_e64 v119, v87, v103, s3
	v_cndmask_b32_e64 v120, v91, v107, s3
	v_cndmask_b32_e64 v121, v87, v103, s9
	v_cndmask_b32_e64 v122, v91, v107, s9
	v_cndmask_b32_e64 v123, v87, v103, s10
	v_cndmask_b32_e64 v124, v91, v107, s10
	v_cndmask_b32_e64 v87, v87, v103, s11
	v_cndmask_b32_e64 v91, v91, v107, s11
	v_lshrrev_b32_e32 v108, 16, v92
	v_cndmask_b32_e64 v103, v95, v111, s3
	v_cndmask_b32_e64 v107, v99, v115, s3
	;; [unrolled: 1-line block ×5, first 2 shown]
	v_cndmask_b32_e32 v111, v119, v88, vcc_lo
	v_cndmask_b32_e64 v119, v121, v88, s12
	v_cndmask_b32_e64 v121, v123, v88, s15
	;; [unrolled: 1-line block ×4, first 2 shown]
	v_lshrrev_b32_e32 v112, 16, v96
	v_lshrrev_b32_e32 v116, 16, v100
	v_cndmask_b32_e64 v126, v99, v115, s9
	v_cndmask_b32_e64 v128, v99, v115, s10
	;; [unrolled: 1-line block ×3, first 2 shown]
	v_cndmask_b32_e32 v115, v120, v92, vcc_lo
	v_cndmask_b32_e64 v120, v122, v92, s12
	v_cndmask_b32_e64 v122, v124, v92, s15
	v_cndmask_b32_e32 v91, v103, v96, vcc_lo
	v_cndmask_b32_e32 v92, v107, v100, vcc_lo
	v_cndmask_b32_e64 v103, v125, v96, s12
	v_cndmask_b32_e64 v87, v87, v104, s18
	;; [unrolled: 1-line block ×3, first 2 shown]
	v_lshrrev_b32_e32 v105, 16, v89
	v_lshrrev_b32_e32 v109, 16, v93
	v_cndmask_b32_e64 v107, v127, v96, s15
	v_cndmask_b32_e64 v95, v95, v96, s16
	;; [unrolled: 1-line block ×14, first 2 shown]
	v_lshrrev_b32_e32 v113, 16, v97
	v_cndmask_b32_e64 v99, v99, v89, s5
	v_cndmask_b32_e64 v104, v111, v93, s5
	;; [unrolled: 1-line block ×11, first 2 shown]
	v_lshrrev_b32_e32 v106, 16, v90
	v_lshrrev_b32_e32 v110, 16, v94
	v_cndmask_b32_e64 v93, v99, v105, s6
	v_cndmask_b32_e64 v99, v104, v109, s6
	;; [unrolled: 1-line block ×9, first 2 shown]
	v_lshrrev_b32_e32 v114, 16, v98
	v_cndmask_b32_e64 v89, v89, v113, s6
	v_cndmask_b32_e64 v93, v93, v90, s7
	;; [unrolled: 1-line block ×19, first 2 shown]
	v_perm_b32 v90, v88, v87, 0x5040100
	v_cndmask_b32_e64 v87, v126, v100, s12
	v_cndmask_b32_e64 v105, v89, v114, s8
	v_perm_b32 v89, v103, v99, 0x5040100
	v_perm_b32 v88, v104, v94, 0x5040100
	v_cndmask_b32_e64 v94, v107, v112, s17
	v_cndmask_b32_e64 v95, v95, v112, s18
	;; [unrolled: 1-line block ×5, first 2 shown]
	v_lshrrev_b32_e32 v117, 16, v101
	v_cndmask_b32_e64 v94, v94, v97, s21
	v_cndmask_b32_e64 v95, v95, v97, s22
	;; [unrolled: 1-line block ×11, first 2 shown]
	v_lshrrev_b32_e32 v118, 16, v102
	v_cndmask_b32_e64 v91, v91, v102, s7
	v_cndmask_b32_e64 v94, v94, v98, s26
	;; [unrolled: 1-line block ×12, first 2 shown]
	v_perm_b32 v87, v93, v92, 0x5040100
	v_perm_b32 v94, v95, v94, 0x5040100
	;; [unrolled: 1-line block ×5, first 2 shown]
	s_mul_i32 s7, s33, 10
	s_mov_b32 s3, exec_lo
	ds_store_b128 v79, v[87:90]
	ds_store_b128 v79, v[91:94] offset:1024
	v_cmpx_gt_u32_e32 10, v0
	s_cbranch_execz .LBB183_16
; %bb.15:
	s_mul_i32 s4, s7, s34
	s_load_b128 s[8:11], s[0:1], 0x58
	v_add3_u32 v77, s4, s31, v77
	s_delay_alu instid0(VALU_DEP_1) | instskip(NEXT) | instid1(VALU_DEP_1)
	v_mad_u64_u32 v[87:88], null, v77, s35, s[14:15]
	v_ashrrev_i32_e32 v88, 31, v87
	s_delay_alu instid0(VALU_DEP_1) | instskip(SKIP_1) | instid1(VALU_DEP_1)
	v_lshlrev_b64 v[87:88], 2, v[87:88]
	s_waitcnt lgkmcnt(0)
	v_add_co_u32 v89, vcc_lo, s10, v87
	s_delay_alu instid0(VALU_DEP_2)
	v_add_co_ci_u32_e32 v90, vcc_lo, s11, v88, vcc_lo
	v_add_co_u32 v87, vcc_lo, s8, v87
	v_add_co_ci_u32_e32 v88, vcc_lo, s9, v88, vcc_lo
	global_store_b32 v[89:90], v85, off
	global_store_b32 v[87:88], v86, off
.LBB183_16:
	s_or_b32 exec_lo, exec_lo, s3
	s_waitcnt lgkmcnt(0)
	s_waitcnt_vscnt null, 0x0
	s_barrier
	buffer_gl0_inv
	ds_load_b128 v[93:96], v78
	ds_load_b128 v[97:100], v78 offset:16
	ds_load_b128 v[105:108], v78 offset:1040
	;; [unrolled: 1-line block ×5, first 2 shown]
	v_cmp_eq_u32_e32 vcc_lo, 1, v84
	v_mov_b32_e32 v85, 0
	ds_load_b128 v[121:124], v78 offset:3088
	ds_load_b128 v[117:120], v78 offset:3072
	;; [unrolled: 1-line block ×4, first 2 shown]
	v_cmp_eq_u32_e64 s3, 1, v80
	v_cmp_eq_u32_e64 s4, 1, v83
	;; [unrolled: 1-line block ×3, first 2 shown]
	v_mov_b32_e32 v86, v85
	v_mov_b32_e32 v87, v85
	;; [unrolled: 1-line block ×7, first 2 shown]
	v_cmp_eq_u32_e64 s6, 2, v80
	s_waitcnt lgkmcnt(8)
	s_delay_alu instid0(VALU_DEP_2)
	v_wmma_f32_16x16x16_f16 v[85:92], v[65:72], v[93:100], v[85:92]
	ds_load_b128 v[69:72], v78 offset:5136
	ds_load_b128 v[65:68], v78 offset:5120
	;; [unrolled: 1-line block ×4, first 2 shown]
	s_waitcnt lgkmcnt(10)
	v_wmma_f32_16x16x16_f16 v[85:92], v[57:64], v[101:108], v[85:92]
	s_waitcnt lgkmcnt(8)
	s_delay_alu instid0(VALU_DEP_1)
	v_wmma_f32_16x16x16_f16 v[85:92], v[57:64], v[109:116], v[85:92]
	ds_load_b128 v[61:64], v78 offset:7184
	ds_load_b128 v[57:60], v78 offset:7168
	;; [unrolled: 1-line block ×4, first 2 shown]
	s_waitcnt lgkmcnt(10)
	v_wmma_f32_16x16x16_f16 v[85:92], v[49:56], v[117:124], v[85:92]
	s_waitcnt lgkmcnt(8)
	s_delay_alu instid0(VALU_DEP_1)
	v_wmma_f32_16x16x16_f16 v[85:92], v[49:56], v[125:132], v[85:92]
	ds_load_b128 v[53:56], v78 offset:9232
	ds_load_b128 v[49:52], v78 offset:9216
	s_waitcnt lgkmcnt(8)
	v_wmma_f32_16x16x16_f16 v[85:92], v[41:48], v[65:72], v[85:92]
	ds_load_b128 v[69:72], v78 offset:10256
	ds_load_b128 v[65:68], v78 offset:10240
	s_waitcnt lgkmcnt(8)
	v_wmma_f32_16x16x16_f16 v[85:92], v[41:48], v[93:100], v[85:92]
	ds_load_b128 v[45:48], v78 offset:11280
	ds_load_b128 v[41:44], v78 offset:11264
	s_waitcnt lgkmcnt(8)
	v_wmma_f32_16x16x16_f16 v[85:92], v[9:16], v[57:64], v[85:92]
	ds_load_b128 v[61:64], v78 offset:12304
	ds_load_b128 v[57:60], v78 offset:12288
	s_waitcnt lgkmcnt(8)
	v_wmma_f32_16x16x16_f16 v[85:92], v[9:16], v[101:108], v[85:92]
	ds_load_b128 v[13:16], v78 offset:13328
	ds_load_b128 v[9:12], v78 offset:13312
	s_waitcnt lgkmcnt(8)
	v_wmma_f32_16x16x16_f16 v[85:92], v[1:8], v[49:56], v[85:92]
	ds_load_b128 v[53:56], v78 offset:14352
	ds_load_b128 v[49:52], v78 offset:14336
	s_waitcnt lgkmcnt(8)
	v_wmma_f32_16x16x16_f16 v[85:92], v[1:8], v[65:72], v[85:92]
	ds_load_b128 v[5:8], v78 offset:15376
	ds_load_b128 v[1:4], v78 offset:15360
	s_waitcnt lgkmcnt(0)
	s_barrier
	buffer_gl0_inv
	v_wmma_f32_16x16x16_f16 v[85:92], v[33:40], v[41:48], v[85:92]
	s_delay_alu instid0(VALU_DEP_1) | instskip(NEXT) | instid1(VALU_DEP_1)
	v_wmma_f32_16x16x16_f16 v[85:92], v[33:40], v[57:64], v[85:92]
	v_wmma_f32_16x16x16_f16 v[85:92], v[25:32], v[9:16], v[85:92]
	s_delay_alu instid0(VALU_DEP_1) | instskip(NEXT) | instid1(VALU_DEP_1)
	v_wmma_f32_16x16x16_f16 v[85:92], v[25:32], v[49:56], v[85:92]
	v_wmma_f32_16x16x16_f16 v[85:92], v[17:24], v[1:8], v[85:92]
	s_delay_alu instid0(VALU_DEP_1) | instskip(NEXT) | instid1(VALU_DEP_2)
	v_cvt_f16_f32_e32 v1, v85
	v_cvt_f16_f32_e32 v2, v86
	s_delay_alu instid0(VALU_DEP_3) | instskip(NEXT) | instid1(VALU_DEP_4)
	v_cvt_f16_f32_e32 v3, v87
	v_cvt_f16_f32_e32 v4, v88
	;; [unrolled: 1-line block ×6, first 2 shown]
	v_pack_b32_f16 v1, v1, v2
	v_pack_b32_f16 v2, v3, v4
	;; [unrolled: 1-line block ×3, first 2 shown]
	s_delay_alu instid0(VALU_DEP_4)
	v_pack_b32_f16 v4, v7, v8
	ds_store_b128 v79, v[1:4]
	s_waitcnt lgkmcnt(0)
	s_barrier
	buffer_gl0_inv
	ds_load_b128 v[1:4], v81
	ds_load_b128 v[5:8], v81 offset:16
	s_waitcnt lgkmcnt(1)
	v_lshrrev_b32_e32 v9, 16, v1
	s_waitcnt lgkmcnt(0)
	v_lshrrev_b32_e32 v13, 16, v5
	v_lshrrev_b32_e32 v15, 16, v7
	;; [unrolled: 1-line block ×4, first 2 shown]
	v_cndmask_b32_e64 v17, v1, v9, s3
	v_cndmask_b32_e64 v18, v5, v13, s3
	;; [unrolled: 1-line block ×3, first 2 shown]
	v_cmp_eq_u32_e64 s3, 2, v82
	v_cndmask_b32_e64 v20, v5, v13, s5
	v_cndmask_b32_e32 v21, v1, v9, vcc_lo
	v_cndmask_b32_e32 v22, v5, v13, vcc_lo
	v_cndmask_b32_e64 v1, v1, v9, s4
	v_cndmask_b32_e64 v5, v5, v13, s4
	v_cmp_eq_u32_e32 vcc_lo, 2, v84
	v_cmp_eq_u32_e64 s4, 2, v83
	v_cndmask_b32_e64 v9, v17, v2, s6
	v_cndmask_b32_e64 v13, v18, v6, s6
	;; [unrolled: 1-line block ×4, first 2 shown]
	v_cndmask_b32_e32 v19, v21, v2, vcc_lo
	v_cmp_eq_u32_e64 s3, 3, v84
	v_cndmask_b32_e32 v20, v22, v6, vcc_lo
	v_cndmask_b32_e64 v1, v1, v2, s4
	v_cmp_eq_u32_e32 vcc_lo, 3, v83
	v_cmp_eq_u32_e64 s5, 3, v80
	v_cndmask_b32_e64 v2, v5, v6, s4
	v_cmp_eq_u32_e64 s4, 3, v82
	v_lshrrev_b32_e32 v16, 16, v8
	v_cmp_eq_u32_e64 s6, 4, v80
	v_cndmask_b32_e64 v5, v9, v10, s5
	v_cndmask_b32_e64 v6, v13, v14, s5
	;; [unrolled: 1-line block ×3, first 2 shown]
	v_cmp_eq_u32_e64 s5, 4, v82
	v_cndmask_b32_e64 v13, v18, v14, s4
	v_cndmask_b32_e64 v17, v19, v10, s3
	;; [unrolled: 1-line block ×3, first 2 shown]
	v_cndmask_b32_e32 v1, v1, v10, vcc_lo
	v_cndmask_b32_e32 v2, v2, v14, vcc_lo
	v_cmp_eq_u32_e32 vcc_lo, 4, v84
	v_cmp_eq_u32_e64 s4, 4, v83
	v_lshrrev_b32_e32 v11, 16, v3
	v_cndmask_b32_e64 v5, v5, v3, s6
	v_cndmask_b32_e64 v6, v6, v7, s6
	;; [unrolled: 1-line block ×4, first 2 shown]
	v_cndmask_b32_e32 v13, v17, v3, vcc_lo
	v_cmp_eq_u32_e64 s3, 5, v84
	v_cndmask_b32_e32 v14, v18, v7, vcc_lo
	v_cndmask_b32_e64 v1, v1, v3, s4
	v_cmp_eq_u32_e32 vcc_lo, 5, v83
	v_cmp_eq_u32_e64 s5, 5, v80
	v_cndmask_b32_e64 v2, v2, v7, s4
	v_cmp_eq_u32_e64 s4, 5, v82
	v_cmp_eq_u32_e64 s6, 6, v80
	v_cndmask_b32_e32 v1, v1, v11, vcc_lo
	v_cndmask_b32_e64 v3, v5, v11, s5
	v_cndmask_b32_e64 v5, v6, v15, s5
	v_cndmask_b32_e64 v6, v9, v11, s4
	v_cmp_eq_u32_e64 s5, 6, v82
	v_cndmask_b32_e64 v7, v10, v15, s4
	v_cndmask_b32_e64 v9, v13, v11, s3
	;; [unrolled: 1-line block ×3, first 2 shown]
	v_cndmask_b32_e32 v2, v2, v15, vcc_lo
	v_cmp_eq_u32_e32 vcc_lo, 6, v84
	v_cmp_eq_u32_e64 s3, 6, v83
	v_lshrrev_b32_e32 v12, 16, v4
	v_cndmask_b32_e64 v3, v3, v4, s6
	v_cndmask_b32_e64 v5, v5, v8, s6
	;; [unrolled: 1-line block ×4, first 2 shown]
	v_cndmask_b32_e32 v9, v9, v4, vcc_lo
	v_cmp_eq_u32_e64 s4, 7, v84
	v_cndmask_b32_e32 v10, v10, v8, vcc_lo
	v_cndmask_b32_e64 v1, v1, v4, s3
	v_cmp_eq_u32_e32 vcc_lo, 7, v83
	v_cndmask_b32_e64 v2, v2, v8, s3
	v_cmp_eq_u32_e64 s3, 7, v80
	v_cmp_eq_u32_e64 s5, 7, v82
	v_cndmask_b32_e32 v1, v1, v12, vcc_lo
	s_delay_alu instid0(VALU_DEP_4) | instskip(NEXT) | instid1(VALU_DEP_4)
	v_cndmask_b32_e32 v2, v2, v16, vcc_lo
	v_cndmask_b32_e64 v8, v3, v12, s3
	s_delay_alu instid0(VALU_DEP_4)
	v_cndmask_b32_e64 v6, v6, v12, s5
	v_cndmask_b32_e64 v3, v9, v12, s4
	;; [unrolled: 1-line block ×5, first 2 shown]
	v_cmp_gt_u32_e32 vcc_lo, 32, v0
	v_perm_b32 v4, v2, v1, 0x5040100
	v_perm_b32 v3, v9, v3, 0x5040100
	;; [unrolled: 1-line block ×4, first 2 shown]
	s_and_b32 s2, vcc_lo, s2
	ds_store_b128 v79, v[1:4]
	s_waitcnt lgkmcnt(0)
	s_barrier
	buffer_gl0_inv
	s_and_saveexec_b32 s3, s2
	s_cbranch_execz .LBB183_2
; %bb.17:
	s_load_b64 s[0:1], s[0:1], 0x68
	s_lshl_b32 s4, s35, 6
	v_or_b32_e32 v2, s31, v75
	s_mul_i32 s2, s4, s34
	v_lshlrev_b32_e32 v0, 10, v0
	s_mul_i32 s2, s2, s7
	v_lshlrev_b32_e32 v1, 4, v76
	s_ashr_i32 s3, s2, 31
	v_mul_lo_u32 v20, v2, s4
	s_lshl_b64 s[2:3], s[2:3], 1
	v_lshlrev_b32_e32 v3, 6, v75
	v_and_b32_e32 v0, 0x3800, v0
	s_delay_alu instid0(VALU_DEP_1) | instskip(NEXT) | instid1(VALU_DEP_4)
	v_or3_b32 v16, v0, v1, v3
	v_ashrrev_i32_e32 v21, 31, v20
	ds_load_b128 v[0:3], v16
	ds_load_b128 v[4:7], v16 offset:128
	s_waitcnt lgkmcnt(0)
	s_add_u32 s2, s0, s2
	s_addc_u32 s3, s1, s3
	s_lshl_b32 s0, s14, 6
	ds_load_b128 v[8:11], v16 offset:256
	ds_load_b128 v[12:15], v16 offset:384
	;; [unrolled: 1-line block ×3, first 2 shown]
	s_ashr_i32 s1, s0, 31
	s_delay_alu instid0(SALU_CYCLE_1) | instskip(NEXT) | instid1(SALU_CYCLE_1)
	s_lshl_b64 s[0:1], s[0:1], 1
	s_add_u32 s0, s2, s0
	s_addc_u32 s1, s3, s1
	s_lshl_b32 s2, s35, 7
	v_add_co_u32 v30, vcc_lo, s0, v73
	v_add_nc_u32_e32 v22, s2, v20
	v_lshlrev_b64 v[20:21], 1, v[20:21]
	v_add_co_ci_u32_e32 v31, vcc_lo, s1, v74, vcc_lo
	s_delay_alu instid0(VALU_DEP_3) | instskip(SKIP_1) | instid1(VALU_DEP_4)
	v_add_nc_u32_e32 v24, s2, v22
	v_ashrrev_i32_e32 v23, 31, v22
	v_add_co_u32 v20, vcc_lo, v30, v20
	s_delay_alu instid0(VALU_DEP_4) | instskip(NEXT) | instid1(VALU_DEP_4)
	v_add_co_ci_u32_e32 v21, vcc_lo, v31, v21, vcc_lo
	v_add_nc_u32_e32 v26, s2, v24
	v_ashrrev_i32_e32 v25, 31, v24
	v_lshlrev_b64 v[22:23], 1, v[22:23]
	s_delay_alu instid0(VALU_DEP_3) | instskip(SKIP_1) | instid1(VALU_DEP_4)
	v_add_nc_u32_e32 v28, s2, v26
	v_ashrrev_i32_e32 v27, 31, v26
	v_lshlrev_b64 v[24:25], 1, v[24:25]
	s_delay_alu instid0(VALU_DEP_4) | instskip(NEXT) | instid1(VALU_DEP_4)
	v_add_co_u32 v22, vcc_lo, v30, v22
	v_ashrrev_i32_e32 v29, 31, v28
	s_delay_alu instid0(VALU_DEP_4) | instskip(SKIP_2) | instid1(VALU_DEP_4)
	v_lshlrev_b64 v[26:27], 1, v[26:27]
	v_add_co_ci_u32_e32 v23, vcc_lo, v31, v23, vcc_lo
	v_add_co_u32 v24, vcc_lo, v30, v24
	v_lshlrev_b64 v[28:29], 1, v[28:29]
	v_add_co_ci_u32_e32 v25, vcc_lo, v31, v25, vcc_lo
	v_add_co_u32 v26, vcc_lo, v30, v26
	v_add_co_ci_u32_e32 v27, vcc_lo, v31, v27, vcc_lo
	s_delay_alu instid0(VALU_DEP_4)
	v_add_co_u32 v28, vcc_lo, v30, v28
	v_add_co_ci_u32_e32 v29, vcc_lo, v31, v29, vcc_lo
	s_clause 0x1
	global_store_b128 v[20:21], v[0:3], off
	global_store_b128 v[22:23], v[4:7], off
	s_waitcnt lgkmcnt(2)
	global_store_b128 v[24:25], v[8:11], off
	s_waitcnt lgkmcnt(1)
	;; [unrolled: 2-line block ×3, first 2 shown]
	global_store_b128 v[28:29], v[16:19], off
	s_nop 0
	s_sendmsg sendmsg(MSG_DEALLOC_VGPRS)
	s_endpgm
	.section	.rodata,"a",@progbits
	.p2align	6, 0x0
	.amdhsa_kernel _Z39paged_attention_ll4mi_QKV_mfma16_kernelIDF16_DF16_LN4vllm18Fp8KVCacheDataTypeE0EDF16_Li32ELi64ELi256ELb0ELi10EL8MFMAType0EEvPKT_PKT0_S8_ifPKiSA_SA_iPKfiiiPfSD_PS3_PT2_iSC_SC_
		.amdhsa_group_segment_fixed_size 17472
		.amdhsa_private_segment_fixed_size 0
		.amdhsa_kernarg_size 400
		.amdhsa_user_sgpr_count 13
		.amdhsa_user_sgpr_dispatch_ptr 0
		.amdhsa_user_sgpr_queue_ptr 0
		.amdhsa_user_sgpr_kernarg_segment_ptr 1
		.amdhsa_user_sgpr_dispatch_id 0
		.amdhsa_user_sgpr_private_segment_size 0
		.amdhsa_wavefront_size32 1
		.amdhsa_uses_dynamic_stack 0
		.amdhsa_enable_private_segment 0
		.amdhsa_system_sgpr_workgroup_id_x 1
		.amdhsa_system_sgpr_workgroup_id_y 1
		.amdhsa_system_sgpr_workgroup_id_z 1
		.amdhsa_system_sgpr_workgroup_info 0
		.amdhsa_system_vgpr_workitem_id 0
		.amdhsa_next_free_vgpr 154
		.amdhsa_next_free_sgpr 39
		.amdhsa_reserve_vcc 1
		.amdhsa_float_round_mode_32 0
		.amdhsa_float_round_mode_16_64 0
		.amdhsa_float_denorm_mode_32 3
		.amdhsa_float_denorm_mode_16_64 3
		.amdhsa_dx10_clamp 1
		.amdhsa_ieee_mode 1
		.amdhsa_fp16_overflow 0
		.amdhsa_workgroup_processor_mode 1
		.amdhsa_memory_ordered 1
		.amdhsa_forward_progress 0
		.amdhsa_shared_vgpr_count 0
		.amdhsa_exception_fp_ieee_invalid_op 0
		.amdhsa_exception_fp_denorm_src 0
		.amdhsa_exception_fp_ieee_div_zero 0
		.amdhsa_exception_fp_ieee_overflow 0
		.amdhsa_exception_fp_ieee_underflow 0
		.amdhsa_exception_fp_ieee_inexact 0
		.amdhsa_exception_int_div_zero 0
	.end_amdhsa_kernel
	.section	.text._Z39paged_attention_ll4mi_QKV_mfma16_kernelIDF16_DF16_LN4vllm18Fp8KVCacheDataTypeE0EDF16_Li32ELi64ELi256ELb0ELi10EL8MFMAType0EEvPKT_PKT0_S8_ifPKiSA_SA_iPKfiiiPfSD_PS3_PT2_iSC_SC_,"axG",@progbits,_Z39paged_attention_ll4mi_QKV_mfma16_kernelIDF16_DF16_LN4vllm18Fp8KVCacheDataTypeE0EDF16_Li32ELi64ELi256ELb0ELi10EL8MFMAType0EEvPKT_PKT0_S8_ifPKiSA_SA_iPKfiiiPfSD_PS3_PT2_iSC_SC_,comdat
.Lfunc_end183:
	.size	_Z39paged_attention_ll4mi_QKV_mfma16_kernelIDF16_DF16_LN4vllm18Fp8KVCacheDataTypeE0EDF16_Li32ELi64ELi256ELb0ELi10EL8MFMAType0EEvPKT_PKT0_S8_ifPKiSA_SA_iPKfiiiPfSD_PS3_PT2_iSC_SC_, .Lfunc_end183-_Z39paged_attention_ll4mi_QKV_mfma16_kernelIDF16_DF16_LN4vllm18Fp8KVCacheDataTypeE0EDF16_Li32ELi64ELi256ELb0ELi10EL8MFMAType0EEvPKT_PKT0_S8_ifPKiSA_SA_iPKfiiiPfSD_PS3_PT2_iSC_SC_
                                        ; -- End function
	.section	.AMDGPU.csdata,"",@progbits
; Kernel info:
; codeLenInByte = 7264
; NumSgprs: 41
; NumVgprs: 154
; ScratchSize: 0
; MemoryBound: 0
; FloatMode: 240
; IeeeMode: 1
; LDSByteSize: 17472 bytes/workgroup (compile time only)
; SGPRBlocks: 5
; VGPRBlocks: 19
; NumSGPRsForWavesPerEU: 41
; NumVGPRsForWavesPerEU: 154
; Occupancy: 9
; WaveLimiterHint : 1
; COMPUTE_PGM_RSRC2:SCRATCH_EN: 0
; COMPUTE_PGM_RSRC2:USER_SGPR: 13
; COMPUTE_PGM_RSRC2:TRAP_HANDLER: 0
; COMPUTE_PGM_RSRC2:TGID_X_EN: 1
; COMPUTE_PGM_RSRC2:TGID_Y_EN: 1
; COMPUTE_PGM_RSRC2:TGID_Z_EN: 1
; COMPUTE_PGM_RSRC2:TIDIG_COMP_CNT: 0
	.section	.text._Z39paged_attention_ll4mi_QKV_mfma16_kernelIDF16_DF16_LN4vllm18Fp8KVCacheDataTypeE0EDF16_Li32ELi64ELi256ELb0ELi11EL8MFMAType0EEvPKT_PKT0_S8_ifPKiSA_SA_iPKfiiiPfSD_PS3_PT2_iSC_SC_,"axG",@progbits,_Z39paged_attention_ll4mi_QKV_mfma16_kernelIDF16_DF16_LN4vllm18Fp8KVCacheDataTypeE0EDF16_Li32ELi64ELi256ELb0ELi11EL8MFMAType0EEvPKT_PKT0_S8_ifPKiSA_SA_iPKfiiiPfSD_PS3_PT2_iSC_SC_,comdat
	.protected	_Z39paged_attention_ll4mi_QKV_mfma16_kernelIDF16_DF16_LN4vllm18Fp8KVCacheDataTypeE0EDF16_Li32ELi64ELi256ELb0ELi11EL8MFMAType0EEvPKT_PKT0_S8_ifPKiSA_SA_iPKfiiiPfSD_PS3_PT2_iSC_SC_ ; -- Begin function _Z39paged_attention_ll4mi_QKV_mfma16_kernelIDF16_DF16_LN4vllm18Fp8KVCacheDataTypeE0EDF16_Li32ELi64ELi256ELb0ELi11EL8MFMAType0EEvPKT_PKT0_S8_ifPKiSA_SA_iPKfiiiPfSD_PS3_PT2_iSC_SC_
	.globl	_Z39paged_attention_ll4mi_QKV_mfma16_kernelIDF16_DF16_LN4vllm18Fp8KVCacheDataTypeE0EDF16_Li32ELi64ELi256ELb0ELi11EL8MFMAType0EEvPKT_PKT0_S8_ifPKiSA_SA_iPKfiiiPfSD_PS3_PT2_iSC_SC_
	.p2align	8
	.type	_Z39paged_attention_ll4mi_QKV_mfma16_kernelIDF16_DF16_LN4vllm18Fp8KVCacheDataTypeE0EDF16_Li32ELi64ELi256ELb0ELi11EL8MFMAType0EEvPKT_PKT0_S8_ifPKiSA_SA_iPKfiiiPfSD_PS3_PT2_iSC_SC_,@function
_Z39paged_attention_ll4mi_QKV_mfma16_kernelIDF16_DF16_LN4vllm18Fp8KVCacheDataTypeE0EDF16_Li32ELi64ELi256ELb0ELi11EL8MFMAType0EEvPKT_PKT0_S8_ifPKiSA_SA_iPKfiiiPfSD_PS3_PT2_iSC_SC_: ; @_Z39paged_attention_ll4mi_QKV_mfma16_kernelIDF16_DF16_LN4vllm18Fp8KVCacheDataTypeE0EDF16_Li32ELi64ELi256ELb0ELi11EL8MFMAType0EEvPKT_PKT0_S8_ifPKiSA_SA_iPKfiiiPfSD_PS3_PT2_iSC_SC_
; %bb.0:
	s_load_b64 s[2:3], s[0:1], 0x30
	s_mov_b32 s34, s13
	s_waitcnt lgkmcnt(0)
	s_cmp_lg_u64 s[2:3], 0
	s_cselect_b32 s6, -1, 0
	s_ashr_i32 s35, s13, 31
	s_cmp_eq_u64 s[2:3], 0
	s_cbranch_scc1 .LBB184_3
; %bb.1:
	s_lshl_b64 s[4:5], s[34:35], 2
	s_delay_alu instid0(SALU_CYCLE_1) | instskip(SKIP_4) | instid1(SALU_CYCLE_1)
	s_add_u32 s4, s2, s4
	s_addc_u32 s5, s3, s5
	s_load_b64 s[4:5], s[4:5], 0x0
	s_waitcnt lgkmcnt(0)
	s_sub_i32 s4, s5, s4
	s_cmp_eq_u32 s4, 1
	s_cselect_b32 s4, -1, 0
	s_delay_alu instid0(SALU_CYCLE_1)
	s_and_not1_b32 vcc_lo, exec_lo, s4
	s_cbranch_vccz .LBB184_4
.LBB184_2:
	s_nop 0
	s_sendmsg sendmsg(MSG_DEALLOC_VGPRS)
	s_endpgm
.LBB184_3:
.LBB184_4:
	s_load_b64 s[8:9], s[0:1], 0x28
	s_lshl_b64 s[4:5], s[34:35], 2
	s_waitcnt lgkmcnt(0)
	s_add_u32 s8, s8, s4
	s_addc_u32 s9, s9, s5
	s_lshl_b32 s16, s14, 8
	s_load_b32 s18, s[8:9], 0x0
	s_waitcnt lgkmcnt(0)
	s_cmp_ge_i32 s16, s18
	s_cbranch_scc1 .LBB184_2
; %bb.5:
	s_and_not1_b32 vcc_lo, exec_lo, s6
	s_cbranch_vccnz .LBB184_7
; %bb.6:
	s_add_u32 s2, s2, s4
	s_addc_u32 s3, s3, s5
	s_load_b32 s17, s[2:3], 0x0
	s_branch .LBB184_8
.LBB184_7:
	s_mov_b32 s17, s34
.LBB184_8:
	s_clause 0x2
	s_load_b128 s[8:11], s[0:1], 0x8
	s_load_b64 s[12:13], s[0:1], 0x20
	s_load_b128 s[4:7], s[0:1], 0x48
	v_lshrrev_b32_e32 v78, 5, v0
	v_bfe_u32 v75, v0, 4, 1
	v_and_b32_e32 v77, 15, v0
	s_delay_alu instid0(VALU_DEP_2) | instskip(NEXT) | instid1(VALU_DEP_2)
	v_lshl_or_b32 v3, v78, 1, v75
	v_cmp_lt_u32_e64 s3, 7, v77
	v_lshlrev_b32_e32 v1, 3, v77
	v_cmp_gt_u32_e64 s2, 8, v77
	s_delay_alu instid0(VALU_DEP_4) | instskip(NEXT) | instid1(VALU_DEP_4)
	v_cmp_lt_u32_e32 vcc_lo, 10, v3
	s_or_b32 s3, s3, vcc_lo
	s_waitcnt lgkmcnt(0)
	s_and_saveexec_b32 s7, s3
	s_delay_alu instid0(SALU_CYCLE_1)
	s_xor_b32 s3, exec_lo, s7
; %bb.9:
	v_mov_b32_e32 v2, 0
                                        ; implicit-def: $vgpr3
; %bb.10:
	s_or_saveexec_b32 s3, s3
	v_and_b32_e32 v80, 31, v0
	v_and_b32_e32 v76, 1, v0
	s_mul_i32 s33, s15, 11
	s_xor_b32 exec_lo, exec_lo, s3
	s_cbranch_execz .LBB184_12
; %bb.11:
	s_load_b64 s[20:21], s[0:1], 0x0
	v_add_lshl_u32 v4, v3, s33, 6
	s_mul_hi_i32 s23, s17, s4
	s_mul_i32 s22, s17, s4
	v_lshlrev_b32_e32 v2, 1, v1
	s_lshl_b64 s[22:23], s[22:23], 1
	v_ashrrev_i32_e32 v5, 31, v4
	v_lshlrev_b32_e32 v3, 6, v3
	v_lshlrev_b32_e32 v8, 10, v76
	s_delay_alu instid0(VALU_DEP_3) | instskip(SKIP_3) | instid1(VALU_DEP_1)
	v_lshlrev_b64 v[4:5], 1, v[4:5]
	s_waitcnt lgkmcnt(0)
	s_add_u32 s4, s20, s22
	s_addc_u32 s7, s21, s23
	v_add_co_u32 v4, vcc_lo, s4, v4
	s_delay_alu instid0(VALU_DEP_2) | instskip(NEXT) | instid1(VALU_DEP_2)
	v_add_co_ci_u32_e32 v5, vcc_lo, s7, v5, vcc_lo
	v_add_co_u32 v4, vcc_lo, v4, v2
	s_delay_alu instid0(VALU_DEP_2) | instskip(SKIP_3) | instid1(VALU_DEP_1)
	v_add_co_ci_u32_e32 v5, vcc_lo, 0, v5, vcc_lo
	v_lshlrev_b32_e32 v2, 10, v77
	global_load_b128 v[4:7], v[4:5], off
	v_and_b32_e32 v2, 0x3800, v2
	v_or3_b32 v3, v2, v8, v3
	v_mov_b32_e32 v2, 0
	s_waitcnt vmcnt(0)
	ds_store_b128 v3, v[4:7]
.LBB184_12:
	s_or_b32 exec_lo, exec_lo, s3
	v_and_b32_e32 v3, 0xef, v0
	s_add_i32 s3, s18, 31
	s_clause 0x1
	s_load_b32 s4, s[0:1], 0x38
	s_load_b32 s35, s[0:1], 0x98
	s_ashr_i32 s7, s3, 31
	v_add_nc_u32_e32 v3, s16, v3
	s_lshr_b32 s7, s7, 27
	s_load_b32 s19, s[0:1], 0x1c
	s_add_i32 s3, s3, s7
	s_waitcnt lgkmcnt(0)
	v_ashrrev_i32_e32 v4, 31, v3
	v_cmp_gt_i32_e32 vcc_lo, s18, v3
	s_ashr_i32 s3, s3, 5
	s_barrier
	s_add_i32 s3, s3, -1
	v_lshrrev_b32_e32 v5, 27, v4
	v_or_b32_e32 v4, 16, v3
	buffer_gl0_inv
	s_mul_i32 s6, s15, s6
	v_lshlrev_b64 v[73:74], 1, v[1:2]
	v_add_nc_u32_e32 v6, v3, v5
	v_add_nc_u32_e32 v5, v4, v5
	s_mul_i32 s20, s34, s4
	s_delay_alu instid0(SALU_CYCLE_1) | instskip(NEXT) | instid1(VALU_DEP_2)
	s_ashr_i32 s21, s20, 31
	v_ashrrev_i32_e32 v6, 5, v6
	s_delay_alu instid0(VALU_DEP_2) | instskip(SKIP_1) | instid1(SALU_CYCLE_1)
	v_ashrrev_i32_e32 v5, 5, v5
	s_lshl_b64 s[20:21], s[20:21], 2
	s_add_u32 s4, s12, s20
	s_delay_alu instid0(VALU_DEP_2) | instskip(SKIP_3) | instid1(SALU_CYCLE_1)
	v_cndmask_b32_e32 v3, s3, v6, vcc_lo
	v_cmp_gt_i32_e32 vcc_lo, s18, v4
	s_addc_u32 s17, s13, s21
	s_ashr_i32 s7, s6, 31
	s_lshl_b64 s[6:7], s[6:7], 1
	v_cndmask_b32_e32 v5, s3, v5, vcc_lo
	v_ashrrev_i32_e32 v4, 31, v3
	s_add_u32 s15, s8, s6
	s_addc_u32 s28, s9, s7
	s_lshl_b32 s8, s14, 3
	v_ashrrev_i32_e32 v6, 31, v5
	v_lshlrev_b64 v[3:4], 2, v[3:4]
	s_ashr_i32 s9, s8, 31
	s_delay_alu instid0(SALU_CYCLE_1) | instskip(NEXT) | instid1(VALU_DEP_2)
	s_lshl_b64 s[8:9], s[8:9], 2
	v_lshlrev_b64 v[5:6], 2, v[5:6]
	s_add_u32 s8, s4, s8
	s_delay_alu instid0(VALU_DEP_2) | instskip(SKIP_1) | instid1(VALU_DEP_3)
	v_add_co_u32 v3, vcc_lo, s4, v3
	v_add_co_ci_u32_e32 v4, vcc_lo, s17, v4, vcc_lo
	v_add_co_u32 v5, vcc_lo, s4, v5
	s_delay_alu instid0(VALU_DEP_4)
	v_add_co_ci_u32_e32 v6, vcc_lo, s17, v6, vcc_lo
	s_addc_u32 s9, s17, s9
	s_clause 0x1
	global_load_b32 v7, v[3:4], off
	global_load_b32 v8, v[5:6], off
	s_or_b32 s12, s16, 32
	s_delay_alu instid0(SALU_CYCLE_1) | instskip(SKIP_2) | instid1(SALU_CYCLE_1)
	s_ashr_i32 s13, s12, 5
	s_cmp_lt_i32 s12, s18
	s_cselect_b32 s12, s13, s3
	s_ashr_i32 s13, s12, 31
	s_delay_alu instid0(SALU_CYCLE_1) | instskip(NEXT) | instid1(SALU_CYCLE_1)
	s_lshl_b64 s[12:13], s[12:13], 2
	s_add_u32 s12, s4, s12
	s_addc_u32 s13, s17, s13
	s_or_b32 s20, s16, 64
	s_delay_alu instid0(SALU_CYCLE_1) | instskip(SKIP_2) | instid1(SALU_CYCLE_1)
	s_ashr_i32 s21, s20, 5
	s_cmp_lt_i32 s20, s18
	s_cselect_b32 s20, s21, s3
	s_ashr_i32 s21, s20, 31
	s_delay_alu instid0(SALU_CYCLE_1) | instskip(NEXT) | instid1(SALU_CYCLE_1)
	s_lshl_b64 s[20:21], s[20:21], 2
	s_add_u32 s20, s4, s20
	s_addc_u32 s21, s17, s21
	;; [unrolled: 10-line block ×5, first 2 shown]
	s_clause 0x5
	s_load_b32 s29, s[8:9], 0x0
	s_load_b32 s30, s[12:13], 0x0
	;; [unrolled: 1-line block ×6, first 2 shown]
	s_mov_b32 s20, 0
	s_or_b32 s8, s16, 0xc0
	s_mov_b32 s21, s20
	s_mov_b32 s22, s20
	;; [unrolled: 1-line block ×7, first 2 shown]
	s_ashr_i32 s9, s8, 5
	v_mov_b32_e32 v128, s27
	s_cmp_lt_i32 s8, s18
	v_mov_b32_e32 v127, s26
	s_cselect_b32 s8, s9, s3
	v_mov_b32_e32 v126, s25
	s_ashr_i32 s9, s8, 31
	v_mov_b32_e32 v125, s24
	s_lshl_b64 s[8:9], s[8:9], 2
	v_mov_b32_e32 v124, s23
	s_add_u32 s8, s4, s8
	s_addc_u32 s9, s17, s9
	v_mov_b32_e32 v123, s22
	v_mov_b32_e32 v121, s20
	s_waitcnt lgkmcnt(0)
	s_mul_hi_i32 s13, s29, s5
	s_mul_i32 s12, s29, s5
	v_mov_b32_e32 v122, s21
	s_mul_hi_i32 s21, s30, s5
	s_mul_i32 s20, s30, s5
	s_mul_hi_i32 s25, s31, s5
	s_mul_i32 s24, s31, s5
	;; [unrolled: 2-line block ×4, first 2 shown]
	s_waitcnt vmcnt(1)
	v_mad_i64_i32 v[3:4], null, v7, s5, 0
	s_waitcnt vmcnt(0)
	v_mad_i64_i32 v[5:6], null, v8, s5, 0
	s_delay_alu instid0(VALU_DEP_2) | instskip(NEXT) | instid1(VALU_DEP_2)
	v_lshlrev_b64 v[3:4], 1, v[3:4]
	v_lshlrev_b64 v[1:2], 1, v[5:6]
	s_delay_alu instid0(VALU_DEP_2) | instskip(NEXT) | instid1(VALU_DEP_3)
	v_add_co_u32 v3, vcc_lo, s15, v3
	v_add_co_ci_u32_e32 v4, vcc_lo, s28, v4, vcc_lo
	s_delay_alu instid0(VALU_DEP_3) | instskip(NEXT) | instid1(VALU_DEP_4)
	v_add_co_u32 v1, vcc_lo, s15, v1
	v_add_co_ci_u32_e32 v2, vcc_lo, s28, v2, vcc_lo
	s_delay_alu instid0(VALU_DEP_4) | instskip(NEXT) | instid1(VALU_DEP_4)
	v_add_co_u32 v25, vcc_lo, v3, v73
	v_add_co_ci_u32_e32 v26, vcc_lo, v4, v74, vcc_lo
	s_delay_alu instid0(VALU_DEP_4) | instskip(NEXT) | instid1(VALU_DEP_4)
	v_add_co_u32 v27, vcc_lo, v1, v73
	v_add_co_ci_u32_e32 v28, vcc_lo, v2, v74, vcc_lo
	s_clause 0xf
	global_load_b128 v[1:4], v[25:26], off
	global_load_b128 v[5:8], v[25:26], off offset:512
	global_load_b128 v[9:12], v[27:28], off offset:256
	;; [unrolled: 1-line block ×15, first 2 shown]
	v_add_nc_u32_e32 v25, -11, v77
	v_cmp_gt_u32_e32 vcc_lo, 11, v77
	s_or_b32 s15, s16, 0xe0
	s_delay_alu instid0(SALU_CYCLE_1) | instskip(SKIP_3) | instid1(SALU_CYCLE_1)
	s_ashr_i32 s22, s15, 5
	s_cmp_lt_i32 s15, s18
	v_cndmask_b32_e32 v25, v25, v77, vcc_lo
	s_cselect_b32 s22, s22, s3
	s_ashr_i32 s23, s22, 31
	s_delay_alu instid0(VALU_DEP_1)
	v_lshlrev_b32_e32 v151, 6, v25
	ds_load_b128 v[25:28], v151
	ds_load_b128 v[29:32], v151 offset:1024
	ds_load_b128 v[129:132], v151 offset:2048
	ds_load_b128 v[133:136], v151 offset:3072
	s_lshl_b64 s[22:23], s[22:23], 2
	s_delay_alu instid0(SALU_CYCLE_1) | instskip(SKIP_2) | instid1(SALU_CYCLE_1)
	s_add_u32 s22, s4, s22
	s_addc_u32 s23, s17, s23
	s_add_i32 s15, s16, 0x100
	s_ashr_i32 s28, s15, 5
	s_cmp_lt_i32 s15, s18
	s_load_b32 s15, s[8:9], 0x0
	s_cselect_b32 s28, s28, s3
	s_mul_hi_i32 s9, s37, s5
	s_ashr_i32 s29, s28, 31
	s_mul_i32 s8, s37, s5
	s_lshl_b64 s[28:29], s[28:29], 2
	s_delay_alu instid0(SALU_CYCLE_1)
	s_add_u32 s28, s4, s28
	s_addc_u32 s29, s17, s29
	s_add_u32 s3, s10, s6
	s_clause 0x1
	s_load_b32 s4, s[22:23], 0x0
	s_load_b32 s17, s[28:29], 0x0
	s_addc_u32 s28, s11, s7
	s_lshl_b64 s[6:7], s[12:13], 1
	s_lshl_b64 s[10:11], s[20:21], 1
	;; [unrolled: 1-line block ×6, first 2 shown]
	s_waitcnt lgkmcnt(0)
	s_mul_hi_i32 s25, s15, s5
	s_mul_i32 s24, s15, s5
	s_delay_alu instid0(SALU_CYCLE_1)
	s_lshl_b64 s[24:25], s[24:25], 1
	s_waitcnt vmcnt(14)
	v_wmma_f32_16x16x16_f16 v[137:144], v[1:8], v[25:32], v[121:128]
	s_waitcnt vmcnt(12)
	v_wmma_f32_16x16x16_f16 v[121:128], v[9:16], v[25:32], v[121:128]
	s_waitcnt vmcnt(10)
	s_delay_alu instid0(VALU_DEP_2) | instskip(SKIP_1) | instid1(VALU_DEP_2)
	v_wmma_f32_16x16x16_f16 v[137:144], v[17:24], v[129:136], v[137:144]
	s_waitcnt vmcnt(8)
	v_wmma_f32_16x16x16_f16 v[121:128], v[81:88], v[129:136], v[121:128]
	v_mbcnt_lo_u32_b32 v130, -1, 0
	s_delay_alu instid0(VALU_DEP_1) | instskip(SKIP_1) | instid1(VALU_DEP_1)
	v_xor_b32_e32 v131, 16, v130
	v_lshlrev_b32_e32 v79, 6, v77
	v_lshl_or_b32 v33, v78, 10, v79
	s_delay_alu instid0(VALU_DEP_1) | instskip(NEXT) | instid1(VALU_DEP_1)
	v_add_co_u32 v152, s3, s3, v33
	v_add_co_ci_u32_e64 v153, null, s28, 0, s3
	s_delay_alu instid0(VALU_DEP_2) | instskip(NEXT) | instid1(VALU_DEP_2)
	v_add_co_u32 v33, vcc_lo, v152, s6
	v_add_co_ci_u32_e32 v34, vcc_lo, s7, v153, vcc_lo
	v_add_co_u32 v35, vcc_lo, v152, s10
	v_add_co_ci_u32_e32 v36, vcc_lo, s11, v153, vcc_lo
	;; [unrolled: 2-line block ×6, first 2 shown]
	s_mul_hi_i32 s7, s4, s5
	s_mul_i32 s6, s4, s5
	v_add_co_u32 v149, vcc_lo, v152, s24
	s_lshl_b64 s[6:7], s[6:7], 1
	v_add_co_ci_u32_e32 v150, vcc_lo, s25, v153, vcc_lo
	v_add_co_u32 v29, vcc_lo, v152, s6
	v_add_co_ci_u32_e32 v30, vcc_lo, s7, v153, vcc_lo
	s_mul_hi_i32 s7, s17, s5
	s_mul_i32 s6, s17, s5
	s_clause 0x7
	global_load_b128 v[65:68], v[33:34], off
	global_load_b128 v[69:72], v[33:34], off offset:16
	global_load_b128 v[57:60], v[35:36], off
	global_load_b128 v[61:64], v[35:36], off offset:16
	global_load_b128 v[49:52], v[37:38], off
	global_load_b128 v[53:56], v[37:38], off offset:16
	global_load_b128 v[41:44], v[39:40], off
	global_load_b128 v[45:48], v[39:40], off offset:16
	s_lshl_b64 s[4:5], s[6:7], 1
	s_clause 0x1
	global_load_b128 v[9:12], v[145:146], off
	global_load_b128 v[13:16], v[145:146], off offset:16
	v_add_co_u32 v21, vcc_lo, v152, s4
	v_add_co_ci_u32_e32 v22, vcc_lo, s5, v153, vcc_lo
	s_clause 0x7
	global_load_b128 v[1:4], v[147:148], off
	global_load_b128 v[5:8], v[147:148], off offset:16
	global_load_b128 v[33:36], v[149:150], off
	global_load_b128 v[37:40], v[149:150], off offset:16
	;; [unrolled: 2-line block ×4, first 2 shown]
	ds_load_b128 v[81:84], v151 offset:4096
	ds_load_b128 v[85:88], v151 offset:5120
	v_cmp_gt_i32_e32 vcc_lo, 32, v131
	v_cndmask_b32_e32 v130, v130, v131, vcc_lo
	s_waitcnt vmcnt(24) lgkmcnt(0)
	v_wmma_f32_16x16x16_f16 v[137:144], v[89:96], v[81:88], v[137:144]
	ds_load_b128 v[89:92], v151 offset:6144
	ds_load_b128 v[93:96], v151 offset:7168
	s_waitcnt vmcnt(22)
	v_wmma_f32_16x16x16_f16 v[121:128], v[97:104], v[81:88], v[121:128]
	s_waitcnt vmcnt(0) lgkmcnt(0)
	s_barrier
	buffer_gl0_inv
	v_wmma_f32_16x16x16_f16 v[121:128], v[113:120], v[89:96], v[121:128]
	v_and_b32_e32 v129, 0xe0, v0
	v_wmma_f32_16x16x16_f16 v[137:144], v[105:112], v[89:96], v[137:144]
	s_delay_alu instid0(VALU_DEP_2) | instskip(NEXT) | instid1(VALU_DEP_2)
	v_dual_mul_f32 v104, s19, v126 :: v_dual_add_nc_u32 v129, s16, v129
	v_dual_mul_f32 v106, s19, v124 :: v_dual_mul_f32 v95, s19, v138
	s_delay_alu instid0(VALU_DEP_3) | instskip(NEXT) | instid1(VALU_DEP_3)
	v_dual_mul_f32 v96, s19, v137 :: v_dual_mul_f32 v93, s19, v140
	v_or_b32_e32 v129, v129, v75
	v_dual_mul_f32 v94, s19, v139 :: v_dual_mul_f32 v91, s19, v142
	v_dual_mul_f32 v92, s19, v141 :: v_dual_mul_f32 v89, s19, v144
	v_mul_f32_e32 v108, s19, v122
	s_delay_alu instid0(VALU_DEP_4)
	v_or_b32_e32 v131, 2, v129
	v_or_b32_e32 v132, 4, v129
	;; [unrolled: 1-line block ×3, first 2 shown]
	v_cmp_gt_i32_e32 vcc_lo, s18, v129
	v_or_b32_e32 v82, 8, v129
	v_cmp_gt_i32_e64 s3, s18, v131
	v_or_b32_e32 v83, 10, v129
	v_cmp_gt_i32_e64 s4, s18, v132
	v_cndmask_b32_e32 v96, 0xff7fffff, v96, vcc_lo
	v_cmp_gt_i32_e64 s5, s18, v81
	v_cndmask_b32_e64 v95, 0xff7fffff, v95, s3
	v_or_b32_e32 v84, 12, v129
	v_or_b32_e32 v85, 14, v129
	v_cndmask_b32_e64 v94, 0xff7fffff, v94, s4
	v_cndmask_b32_e64 v81, 0xff7fffff, v93, s5
	v_max3_f32 v93, v96, 0xff7fffff, v95
	v_cmp_gt_i32_e64 s6, s18, v82
	v_cmp_gt_i32_e64 s7, s18, v83
	v_or_b32_e32 v86, 16, v129
	v_or_b32_e32 v87, 18, v129
	v_mul_f32_e32 v90, s19, v143
	v_cndmask_b32_e64 v82, 0xff7fffff, v92, s6
	v_cndmask_b32_e64 v83, 0xff7fffff, v91, s7
	v_max3_f32 v81, v93, v94, v81
	v_cmp_gt_i32_e64 s8, s18, v84
	v_cmp_gt_i32_e64 s9, s18, v85
	v_or_b32_e32 v88, 20, v129
	v_or_b32_e32 v97, 22, v129
	v_mul_f32_e32 v109, s19, v121
	v_cndmask_b32_e64 v84, 0xff7fffff, v90, s8
	v_cndmask_b32_e64 v85, 0xff7fffff, v89, s9
	v_max3_f32 v81, v81, v82, v83
	v_cmp_gt_i32_e64 s10, s18, v86
	v_cmp_gt_i32_e64 s11, s18, v87
	v_or_b32_e32 v98, 24, v129
	v_or_b32_e32 v99, 26, v129
	v_mul_f32_e32 v107, s19, v123
	v_cndmask_b32_e64 v82, 0xff7fffff, v109, s10
	v_cndmask_b32_e64 v83, 0xff7fffff, v108, s11
	v_max3_f32 v81, v81, v84, v85
	v_cmp_gt_i32_e64 s12, s18, v88
	v_cmp_gt_i32_e64 s13, s18, v97
	v_or_b32_e32 v100, 28, v129
	v_or_b32_e32 v101, 30, v129
	v_mul_f32_e32 v105, s19, v125
	v_cndmask_b32_e64 v84, 0xff7fffff, v107, s12
	v_cndmask_b32_e64 v85, 0xff7fffff, v106, s13
	v_max3_f32 v81, v81, v82, v83
	v_cmp_gt_i32_e64 s15, s18, v98
	v_cmp_gt_i32_e64 s16, s18, v99
	v_dual_mul_f32 v102, s19, v128 :: v_dual_mul_f32 v103, s19, v127
	s_delay_alu instid0(VALU_DEP_4) | instskip(NEXT) | instid1(VALU_DEP_4)
	v_max3_f32 v81, v81, v84, v85
	v_cndmask_b32_e64 v82, 0xff7fffff, v105, s15
	s_delay_alu instid0(VALU_DEP_4) | instskip(SKIP_2) | instid1(VALU_DEP_3)
	v_cndmask_b32_e64 v83, 0xff7fffff, v104, s16
	v_cmp_gt_i32_e64 s17, s18, v100
	v_cmp_gt_i32_e64 s18, s18, v101
	v_max3_f32 v81, v81, v82, v83
	s_delay_alu instid0(VALU_DEP_3) | instskip(NEXT) | instid1(VALU_DEP_3)
	v_cndmask_b32_e64 v84, 0xff7fffff, v103, s17
	v_cndmask_b32_e64 v85, 0xff7fffff, v102, s18
	v_lshlrev_b32_e32 v83, 2, v130
	s_delay_alu instid0(VALU_DEP_2) | instskip(SKIP_3) | instid1(VALU_DEP_1)
	v_max3_f32 v81, v81, v84, v85
	ds_bpermute_b32 v82, v83, v81
	s_waitcnt lgkmcnt(0)
	v_max_f32_e32 v82, v82, v82
	v_max_f32_e32 v81, v81, v82
	s_delay_alu instid0(VALU_DEP_1)
	v_fma_f32 v82, s19, v137, -v81
	v_fma_f32 v84, s19, v138, -v81
	;; [unrolled: 1-line block ×5, first 2 shown]
	v_mul_f32_e32 v82, 0x3fb8aa3b, v82
	s_delay_alu instid0(VALU_DEP_4) | instskip(NEXT) | instid1(VALU_DEP_3)
	v_dual_mul_f32 v84, 0x3fb8aa3b, v84 :: v_dual_mul_f32 v85, 0x3fb8aa3b, v85
	v_dual_mul_f32 v86, 0x3fb8aa3b, v86 :: v_dual_mul_f32 v89, 0x3fb8aa3b, v87
	s_delay_alu instid0(VALU_DEP_3) | instskip(NEXT) | instid1(VALU_DEP_2)
	v_exp_f32_e32 v82, v82
	v_exp_f32_e32 v84, v84
	s_delay_alu instid0(VALU_DEP_2) | instskip(NEXT) | instid1(VALU_DEP_1)
	v_exp_f32_e32 v85, v85
	v_exp_f32_e32 v86, v86
	;; [unrolled: 1-line block ×3, first 2 shown]
	v_cndmask_b32_e32 v88, 0, v82, vcc_lo
	v_cndmask_b32_e64 v87, 0, v84, s3
	s_delay_alu instid0(TRANS32_DEP_3)
	v_cndmask_b32_e64 v90, 0, v85, s4
	s_waitcnt_depctr 0xfff
	v_cndmask_b32_e64 v89, 0, v86, s5
	v_cndmask_b32_e64 v92, 0, v92, s6
	v_add_f32_e32 v84, 0, v88
	v_cmp_gt_u32_e64 s3, 16, v80
	s_delay_alu instid0(VALU_DEP_2) | instskip(NEXT) | instid1(VALU_DEP_1)
	v_add_f32_e32 v84, v84, v87
	v_add_f32_e32 v84, v84, v90
	s_delay_alu instid0(VALU_DEP_1)
	v_add_f32_e32 v84, v84, v89
	v_fma_f32 v82, s19, v142, -v81
	v_fma_f32 v91, s19, v143, -v81
	;; [unrolled: 1-line block ×5, first 2 shown]
	s_delay_alu instid0(VALU_DEP_4) | instskip(SKIP_1) | instid1(VALU_DEP_4)
	v_dual_mul_f32 v82, 0x3fb8aa3b, v82 :: v_dual_mul_f32 v91, 0x3fb8aa3b, v91
	v_fma_f32 v96, s19, v124, -v81
	v_mul_f32_e32 v86, 0x3fb8aa3b, v86
	s_delay_alu instid0(VALU_DEP_4) | instskip(NEXT) | instid1(VALU_DEP_4)
	v_mul_f32_e32 v95, 0x3fb8aa3b, v94
	v_exp_f32_e32 v82, v82
	v_exp_f32_e32 v93, v91
	v_mul_f32_e32 v97, 0x3fb8aa3b, v96
	v_exp_f32_e32 v86, v86
	v_fma_f32 v99, s19, v127, -v81
	s_delay_alu instid0(VALU_DEP_2) | instskip(SKIP_2) | instid1(TRANS32_DEP_3)
	v_exp_f32_e32 v97, v97
	v_cndmask_b32_e64 v91, 0, v82, s7
	v_dual_add_f32 v82, v84, v92 :: v_dual_mul_f32 v85, 0x3fb8aa3b, v85
	v_cndmask_b32_e64 v94, 0, v93, s8
	v_fma_f32 v84, s19, v123, -v81
	s_delay_alu instid0(TRANS32_DEP_2) | instskip(NEXT) | instid1(VALU_DEP_4)
	v_cndmask_b32_e64 v96, 0, v86, s10
	v_add_f32_e32 v82, v82, v91
	v_exp_f32_e32 v85, v85
	v_fma_f32 v86, s19, v126, -v81
	v_mul_f32_e32 v84, 0x3fb8aa3b, v84
	v_cndmask_b32_e64 v97, 0, v97, s13
	v_add_f32_e32 v82, v82, v94
	s_delay_alu instid0(VALU_DEP_3) | instskip(SKIP_3) | instid1(VALU_DEP_2)
	v_exp_f32_e32 v84, v84
	s_waitcnt_depctr 0xfff
	v_cndmask_b32_e64 v93, 0, v85, s9
	v_fma_f32 v85, s19, v125, -v81
	v_add_f32_e32 v82, v82, v93
	v_exp_f32_e32 v95, v95
	s_delay_alu instid0(VALU_DEP_2)
	v_mul_f32_e32 v85, 0x3fb8aa3b, v85
	v_cndmask_b32_e64 v98, 0, v84, s12
	v_mul_f32_e32 v84, 0x3fb8aa3b, v99
	v_add_f32_e32 v82, v82, v96
	v_fma_f32 v99, s19, v128, -v81
	v_exp_f32_e32 v85, v85
	v_mul_f32_e32 v86, 0x3fb8aa3b, v86
	v_exp_f32_e32 v84, v84
	s_delay_alu instid0(TRANS32_DEP_3) | instskip(NEXT) | instid1(VALU_DEP_1)
	v_cndmask_b32_e64 v95, 0, v95, s11
	v_add_f32_e32 v82, v82, v95
	s_waitcnt_depctr 0xfff
	v_cndmask_b32_e64 v100, 0, v85, s15
	v_mul_f32_e32 v85, 0x3fb8aa3b, v99
	v_exp_f32_e32 v86, v86
	v_cndmask_b32_e64 v102, 0, v84, s17
	v_add_f32_e32 v82, v82, v98
	s_delay_alu instid0(VALU_DEP_3) | instskip(NEXT) | instid1(VALU_DEP_1)
	v_exp_f32_e32 v85, v85
	v_add_f32_e32 v82, v82, v97
	s_waitcnt_depctr 0xfff
	v_cndmask_b32_e64 v99, 0, v86, s16
	v_add_f32_e32 v82, v82, v100
	v_cndmask_b32_e64 v101, 0, v85, s18
	s_delay_alu instid0(VALU_DEP_2) | instskip(NEXT) | instid1(VALU_DEP_1)
	v_add_f32_e32 v82, v82, v99
	v_add_f32_e32 v82, v82, v102
	s_delay_alu instid0(VALU_DEP_1)
	v_add_f32_e32 v82, v82, v101
	ds_bpermute_b32 v83, v83, v82
	s_and_saveexec_b32 s4, s3
	s_cbranch_execz .LBB184_14
; %bb.13:
	v_mul_u32_u24_e32 v80, 0x44, v78
	s_waitcnt lgkmcnt(0)
	v_add_f32_e32 v82, v82, v83
	s_delay_alu instid0(VALU_DEP_2) | instskip(NEXT) | instid1(VALU_DEP_1)
	v_lshl_add_u32 v80, v77, 2, v80
	v_add_nc_u32_e32 v80, 0x4000, v80
	ds_store_2addr_b32 v80, v81, v82 offset1:136
.LBB184_14:
	s_or_b32 exec_lo, exec_lo, s4
	v_lshlrev_b32_e32 v80, 2, v77
	s_load_b32 s36, s[0:1], 0x94
	s_waitcnt lgkmcnt(0)
	s_barrier
	buffer_gl0_inv
	v_add_nc_u32_e32 v84, 0x4000, v80
	v_cmp_eq_u32_e32 vcc_lo, 1, v78
	v_cmp_eq_u32_e64 s4, 2, v78
	v_cmp_eq_u32_e64 s5, 3, v78
	;; [unrolled: 1-line block ×3, first 2 shown]
	ds_load_2addr_b32 v[80:81], v84 offset1:17
	ds_load_2addr_b32 v[82:83], v84 offset0:34 offset1:51
	ds_load_2addr_b32 v[103:104], v84 offset0:68 offset1:85
	;; [unrolled: 1-line block ×3, first 2 shown]
	v_cmp_eq_u32_e64 s7, 7, v78
	s_waitcnt lgkmcnt(3)
	v_max3_f32 v85, v80, 0xff7fffff, v81
	s_waitcnt lgkmcnt(2)
	s_delay_alu instid0(VALU_DEP_1) | instskip(SKIP_1) | instid1(VALU_DEP_1)
	v_max3_f32 v85, v85, v82, v83
	s_waitcnt lgkmcnt(1)
	v_max3_f32 v85, v85, v103, v104
	s_waitcnt lgkmcnt(0)
	s_delay_alu instid0(VALU_DEP_1) | instskip(NEXT) | instid1(VALU_DEP_1)
	v_max3_f32 v85, v85, v105, v106
	v_sub_f32_e32 v103, v103, v85
	ds_load_2addr_b32 v[107:108], v84 offset0:136 offset1:153
	v_sub_f32_e32 v80, v80, v85
	v_dual_sub_f32 v110, v83, v85 :: v_dual_mul_f32 v113, 0x3fb8aa3b, v103
	s_delay_alu instid0(VALU_DEP_2) | instskip(SKIP_3) | instid1(VALU_DEP_1)
	v_dual_sub_f32 v86, v81, v85 :: v_dual_mul_f32 v109, 0x3fb8aa3b, v80
	ds_load_2addr_b32 v[80:81], v84 offset0:170 offset1:187
	v_mul_f32_e32 v86, 0x3fb8aa3b, v86
	v_exp_f32_e32 v109, v109
	v_exp_f32_e32 v112, v86
	v_mul_f32_e32 v110, 0x3fb8aa3b, v110
	s_waitcnt lgkmcnt(1)
	s_waitcnt_depctr 0xfff
	v_fma_f32 v86, v109, v107, 0
	v_sub_f32_e32 v107, v104, v85
	v_sub_f32_e32 v82, v82, v85
	v_exp_f32_e32 v110, v110
	ds_load_2addr_b32 v[103:104], v84 offset0:238 offset1:255
	v_dual_fmac_f32 v86, v112, v108 :: v_dual_mul_f32 v111, 0x3fb8aa3b, v82
	ds_load_2addr_b32 v[82:83], v84 offset0:204 offset1:221
	v_dual_sub_f32 v84, v105, v85 :: v_dual_mul_f32 v105, 0x3fb8aa3b, v107
	v_exp_f32_e32 v107, v113
	v_exp_f32_e32 v111, v111
	s_waitcnt lgkmcnt(0)
	s_delay_alu instid0(VALU_DEP_1)
	v_mul_f32_e32 v84, 0x3fb8aa3b, v84
	v_exp_f32_e32 v105, v105
	s_barrier
	buffer_gl0_inv
	v_fmac_f32_e32 v86, v111, v80
	v_sub_f32_e32 v80, v106, v85
	v_exp_f32_e32 v106, v84
	s_delay_alu instid0(VALU_DEP_2) | instskip(NEXT) | instid1(VALU_DEP_2)
	v_fmac_f32_e32 v86, v110, v81
	v_mul_f32_e32 v80, 0x3fb8aa3b, v80
	s_delay_alu instid0(VALU_DEP_2) | instskip(NEXT) | instid1(VALU_DEP_2)
	v_dual_cndmask_b32 v81, v109, v112 :: v_dual_fmac_f32 v86, v107, v82
	v_exp_f32_e32 v108, v80
	s_delay_alu instid0(VALU_DEP_1) | instskip(SKIP_2) | instid1(VALU_DEP_1)
	v_fmac_f32_e32 v86, v105, v83
	s_waitcnt_depctr 0xfff
	v_fmac_f32_e32 v86, v106, v103
	v_fmac_f32_e32 v86, v108, v104
	s_delay_alu instid0(VALU_DEP_1) | instskip(NEXT) | instid1(VALU_DEP_1)
	v_add_f32_e32 v103, 0x358637bd, v86
	v_div_scale_f32 v104, null, v103, v103, 1.0
	v_div_scale_f32 v109, vcc_lo, 1.0, v103, 1.0
	s_delay_alu instid0(VALU_DEP_2) | instskip(SKIP_2) | instid1(VALU_DEP_1)
	v_rcp_f32_e32 v113, v104
	s_waitcnt_depctr 0xfff
	v_fma_f32 v80, -v104, v113, 1.0
	v_fmac_f32_e32 v113, v80, v113
	v_cndmask_b32_e64 v80, v81, v111, s4
	v_cmp_eq_u32_e64 s4, 4, v78
	v_lshl_or_b32 v81, v78, 11, v79
	s_delay_alu instid0(VALU_DEP_4) | instskip(NEXT) | instid1(VALU_DEP_4)
	v_mul_f32_e32 v111, v109, v113
	v_cndmask_b32_e64 v82, v80, v110, s5
	v_cmp_eq_u32_e64 s5, 6, v78
	s_delay_alu instid0(VALU_DEP_4) | instskip(SKIP_3) | instid1(VALU_DEP_3)
	v_lshl_or_b32 v78, v75, 4, v81
	v_lshlrev_b32_e32 v80, 2, v75
	v_fma_f32 v83, -v104, v111, v109
	v_cndmask_b32_e64 v84, v82, v107, s4
	v_or_b32_e32 v82, 1, v80
	s_delay_alu instid0(VALU_DEP_3) | instskip(NEXT) | instid1(VALU_DEP_3)
	v_fmac_f32_e32 v111, v83, v113
	v_cndmask_b32_e64 v105, v84, v105, s6
	v_or_b32_e32 v84, 2, v80
	v_or_b32_e32 v83, 3, v80
	v_cmp_eq_u32_e64 s4, 1, v80
	v_fma_f32 v104, -v104, v111, v109
	v_cndmask_b32_e64 v105, v105, v106, s5
	v_cmp_eq_u32_e64 s10, 1, v82
	v_cmp_eq_u32_e64 s11, 1, v84
	;; [unrolled: 1-line block ×3, first 2 shown]
	v_div_fmas_f32 v104, v104, v113, v111
	v_cndmask_b32_e64 v105, v105, v108, s7
	v_cmp_eq_u32_e32 vcc_lo, 2, v80
	v_cmp_eq_u32_e64 s13, 2, v82
	v_cmp_eq_u32_e64 s16, 2, v84
	v_div_fixup_f32 v103, v104, v103, 1.0
	v_cmp_eq_u32_e64 s17, 2, v83
	v_cmp_eq_u32_e64 s19, 3, v83
	v_cmp_eq_u32_e64 s5, 3, v80
	v_cmp_eq_u32_e64 s15, 3, v82
	v_mul_f32_e32 v111, v105, v103
	v_cmp_eq_u32_e64 s18, 3, v84
	v_cmp_eq_u32_e64 s23, 4, v83
	;; [unrolled: 1-line block ×4, first 2 shown]
	v_fma_mixlo_f16 v103, v111, v88, 0
	v_fma_mixlo_f16 v104, v111, v90, 0
	;; [unrolled: 1-line block ×8, first 2 shown]
	v_fma_mixhi_f16 v103, v111, v87, 0
	v_fma_mixhi_f16 v104, v111, v89, 0
	v_fma_mixhi_f16 v105, v111, v91, 0
	v_fma_mixhi_f16 v106, v111, v93, 0
	v_fma_mixhi_f16 v107, v111, v95, 0
	v_fma_mixhi_f16 v108, v111, v97, 0
	v_fma_mixhi_f16 v109, v111, v99, 0
	v_fma_mixhi_f16 v110, v111, v101, 0
	ds_store_b128 v78, v[103:106]
	ds_store_b128 v78, v[107:110] offset:1024
	s_waitcnt lgkmcnt(0)
	s_barrier
	buffer_gl0_inv
	ds_load_b128 v[87:90], v81
	ds_load_b128 v[91:94], v81 offset:16
	ds_load_b128 v[95:98], v81 offset:1024
	;; [unrolled: 1-line block ×3, first 2 shown]
	v_cmp_eq_u32_e64 s22, 4, v84
	v_cmp_eq_u32_e64 s25, 5, v83
	;; [unrolled: 1-line block ×13, first 2 shown]
	s_waitcnt lgkmcnt(3)
	v_lshrrev_b32_e32 v103, 16, v87
	s_waitcnt lgkmcnt(2)
	v_lshrrev_b32_e32 v107, 16, v91
	;; [unrolled: 2-line block ×4, first 2 shown]
	v_lshrrev_b32_e32 v104, 16, v88
	v_cndmask_b32_e64 v119, v87, v103, s4
	v_cndmask_b32_e64 v120, v91, v107, s4
	;; [unrolled: 1-line block ×8, first 2 shown]
	v_lshrrev_b32_e32 v108, 16, v92
	v_cndmask_b32_e64 v103, v95, v111, s4
	v_cndmask_b32_e64 v107, v99, v115, s4
	;; [unrolled: 1-line block ×5, first 2 shown]
	v_cndmask_b32_e32 v111, v119, v88, vcc_lo
	v_cndmask_b32_e64 v119, v121, v88, s13
	v_cndmask_b32_e64 v121, v123, v88, s16
	;; [unrolled: 1-line block ×4, first 2 shown]
	v_lshrrev_b32_e32 v112, 16, v96
	v_lshrrev_b32_e32 v116, 16, v100
	v_cndmask_b32_e64 v126, v99, v115, s10
	v_cndmask_b32_e64 v128, v99, v115, s11
	v_cndmask_b32_e64 v99, v99, v115, s12
	v_cndmask_b32_e32 v115, v120, v92, vcc_lo
	v_cndmask_b32_e64 v120, v122, v92, s13
	v_cndmask_b32_e64 v122, v124, v92, s16
	v_cndmask_b32_e32 v91, v103, v96, vcc_lo
	v_cndmask_b32_e32 v92, v107, v100, vcc_lo
	v_cndmask_b32_e64 v103, v125, v96, s13
	v_cndmask_b32_e64 v87, v87, v104, s19
	;; [unrolled: 1-line block ×3, first 2 shown]
	v_lshrrev_b32_e32 v105, 16, v89
	v_lshrrev_b32_e32 v109, 16, v93
	v_cndmask_b32_e64 v107, v127, v96, s16
	v_cndmask_b32_e64 v95, v95, v96, s17
	;; [unrolled: 1-line block ×14, first 2 shown]
	v_lshrrev_b32_e32 v113, 16, v97
	v_cndmask_b32_e64 v99, v99, v89, s6
	v_cndmask_b32_e64 v104, v111, v93, s6
	;; [unrolled: 1-line block ×11, first 2 shown]
	v_lshrrev_b32_e32 v106, 16, v90
	v_lshrrev_b32_e32 v110, 16, v94
	v_cndmask_b32_e64 v93, v99, v105, s7
	v_cndmask_b32_e64 v99, v104, v109, s7
	;; [unrolled: 1-line block ×9, first 2 shown]
	v_lshrrev_b32_e32 v114, 16, v98
	v_cndmask_b32_e64 v89, v89, v113, s7
	v_cndmask_b32_e64 v93, v93, v90, s8
	;; [unrolled: 1-line block ×19, first 2 shown]
	v_perm_b32 v90, v88, v87, 0x5040100
	v_cndmask_b32_e64 v87, v126, v100, s13
	v_cndmask_b32_e64 v105, v89, v114, s9
	v_perm_b32 v89, v103, v99, 0x5040100
	v_perm_b32 v88, v104, v94, 0x5040100
	v_cndmask_b32_e64 v94, v107, v112, s18
	v_cndmask_b32_e64 v95, v95, v112, s19
	;; [unrolled: 1-line block ×5, first 2 shown]
	v_lshrrev_b32_e32 v117, 16, v101
	v_cndmask_b32_e64 v94, v94, v97, s22
	v_cndmask_b32_e64 v95, v95, v97, s23
	;; [unrolled: 1-line block ×11, first 2 shown]
	v_lshrrev_b32_e32 v118, 16, v102
	v_cndmask_b32_e64 v91, v91, v102, s8
	v_cndmask_b32_e64 v94, v94, v98, s27
	;; [unrolled: 1-line block ×12, first 2 shown]
	v_perm_b32 v87, v93, v92, 0x5040100
	v_perm_b32 v94, v95, v94, 0x5040100
	;; [unrolled: 1-line block ×5, first 2 shown]
	s_mul_i32 s8, s35, 11
	s_mov_b32 s4, exec_lo
	ds_store_b128 v78, v[87:90]
	ds_store_b128 v78, v[91:94] offset:1024
	v_cmpx_gt_u32_e32 11, v0
	s_cbranch_execz .LBB184_16
; %bb.15:
	s_mul_i32 s5, s8, s34
	s_load_b128 s[16:19], s[0:1], 0x58
	v_add3_u32 v77, s5, s33, v77
	s_delay_alu instid0(VALU_DEP_1) | instskip(NEXT) | instid1(VALU_DEP_1)
	v_mad_u64_u32 v[87:88], null, v77, s36, s[14:15]
	v_ashrrev_i32_e32 v88, 31, v87
	s_delay_alu instid0(VALU_DEP_1) | instskip(SKIP_1) | instid1(VALU_DEP_1)
	v_lshlrev_b64 v[87:88], 2, v[87:88]
	s_waitcnt lgkmcnt(0)
	v_add_co_u32 v89, vcc_lo, s18, v87
	s_delay_alu instid0(VALU_DEP_2)
	v_add_co_ci_u32_e32 v90, vcc_lo, s19, v88, vcc_lo
	v_add_co_u32 v87, vcc_lo, s16, v87
	v_add_co_ci_u32_e32 v88, vcc_lo, s17, v88, vcc_lo
	global_store_b32 v[89:90], v85, off
	global_store_b32 v[87:88], v86, off
.LBB184_16:
	s_or_b32 exec_lo, exec_lo, s4
	s_waitcnt lgkmcnt(0)
	s_waitcnt_vscnt null, 0x0
	s_barrier
	buffer_gl0_inv
	ds_load_b128 v[93:96], v79
	ds_load_b128 v[97:100], v79 offset:16
	ds_load_b128 v[105:108], v79 offset:1040
	;; [unrolled: 1-line block ×5, first 2 shown]
	v_cmp_eq_u32_e32 vcc_lo, 1, v84
	v_mov_b32_e32 v85, 0
	ds_load_b128 v[121:124], v79 offset:3088
	ds_load_b128 v[117:120], v79 offset:3072
	;; [unrolled: 1-line block ×4, first 2 shown]
	v_cmp_eq_u32_e64 s4, 1, v80
	v_cmp_eq_u32_e64 s5, 1, v83
	;; [unrolled: 1-line block ×3, first 2 shown]
	v_mov_b32_e32 v86, v85
	v_mov_b32_e32 v87, v85
	;; [unrolled: 1-line block ×7, first 2 shown]
	v_cmp_eq_u32_e64 s7, 2, v80
	s_waitcnt lgkmcnt(8)
	s_delay_alu instid0(VALU_DEP_2)
	v_wmma_f32_16x16x16_f16 v[85:92], v[65:72], v[93:100], v[85:92]
	ds_load_b128 v[69:72], v79 offset:5136
	ds_load_b128 v[65:68], v79 offset:5120
	;; [unrolled: 1-line block ×4, first 2 shown]
	s_waitcnt lgkmcnt(10)
	v_wmma_f32_16x16x16_f16 v[85:92], v[57:64], v[101:108], v[85:92]
	s_waitcnt lgkmcnt(8)
	s_delay_alu instid0(VALU_DEP_1)
	v_wmma_f32_16x16x16_f16 v[85:92], v[57:64], v[109:116], v[85:92]
	ds_load_b128 v[61:64], v79 offset:7184
	ds_load_b128 v[57:60], v79 offset:7168
	;; [unrolled: 1-line block ×4, first 2 shown]
	s_waitcnt lgkmcnt(10)
	v_wmma_f32_16x16x16_f16 v[85:92], v[49:56], v[117:124], v[85:92]
	s_waitcnt lgkmcnt(8)
	s_delay_alu instid0(VALU_DEP_1)
	v_wmma_f32_16x16x16_f16 v[85:92], v[49:56], v[125:132], v[85:92]
	ds_load_b128 v[53:56], v79 offset:9232
	ds_load_b128 v[49:52], v79 offset:9216
	s_waitcnt lgkmcnt(8)
	v_wmma_f32_16x16x16_f16 v[85:92], v[41:48], v[65:72], v[85:92]
	ds_load_b128 v[69:72], v79 offset:10256
	ds_load_b128 v[65:68], v79 offset:10240
	s_waitcnt lgkmcnt(8)
	;; [unrolled: 4-line block ×7, first 2 shown]
	s_barrier
	buffer_gl0_inv
	v_wmma_f32_16x16x16_f16 v[85:92], v[33:40], v[41:48], v[85:92]
	s_delay_alu instid0(VALU_DEP_1) | instskip(NEXT) | instid1(VALU_DEP_1)
	v_wmma_f32_16x16x16_f16 v[85:92], v[33:40], v[57:64], v[85:92]
	v_wmma_f32_16x16x16_f16 v[85:92], v[25:32], v[9:16], v[85:92]
	s_delay_alu instid0(VALU_DEP_1) | instskip(NEXT) | instid1(VALU_DEP_1)
	v_wmma_f32_16x16x16_f16 v[85:92], v[25:32], v[49:56], v[85:92]
	v_wmma_f32_16x16x16_f16 v[85:92], v[17:24], v[1:8], v[85:92]
	s_delay_alu instid0(VALU_DEP_1) | instskip(NEXT) | instid1(VALU_DEP_2)
	v_cvt_f16_f32_e32 v1, v85
	v_cvt_f16_f32_e32 v2, v86
	s_delay_alu instid0(VALU_DEP_3) | instskip(NEXT) | instid1(VALU_DEP_4)
	v_cvt_f16_f32_e32 v3, v87
	v_cvt_f16_f32_e32 v4, v88
	;; [unrolled: 1-line block ×6, first 2 shown]
	v_pack_b32_f16 v1, v1, v2
	v_pack_b32_f16 v2, v3, v4
	;; [unrolled: 1-line block ×3, first 2 shown]
	s_delay_alu instid0(VALU_DEP_4)
	v_pack_b32_f16 v4, v7, v8
	ds_store_b128 v78, v[1:4]
	s_waitcnt lgkmcnt(0)
	s_barrier
	buffer_gl0_inv
	ds_load_b128 v[1:4], v81
	ds_load_b128 v[5:8], v81 offset:16
	s_waitcnt lgkmcnt(1)
	v_lshrrev_b32_e32 v9, 16, v1
	s_waitcnt lgkmcnt(0)
	v_lshrrev_b32_e32 v13, 16, v5
	v_lshrrev_b32_e32 v15, 16, v7
	;; [unrolled: 1-line block ×4, first 2 shown]
	v_cndmask_b32_e64 v17, v1, v9, s4
	v_cndmask_b32_e64 v18, v5, v13, s4
	;; [unrolled: 1-line block ×3, first 2 shown]
	v_cmp_eq_u32_e64 s4, 2, v82
	v_cndmask_b32_e64 v20, v5, v13, s6
	v_cndmask_b32_e32 v21, v1, v9, vcc_lo
	v_cndmask_b32_e32 v22, v5, v13, vcc_lo
	v_cndmask_b32_e64 v1, v1, v9, s5
	v_cndmask_b32_e64 v5, v5, v13, s5
	v_cmp_eq_u32_e32 vcc_lo, 2, v84
	v_cmp_eq_u32_e64 s5, 2, v83
	v_cndmask_b32_e64 v9, v17, v2, s7
	v_cndmask_b32_e64 v13, v18, v6, s7
	;; [unrolled: 1-line block ×4, first 2 shown]
	v_cndmask_b32_e32 v19, v21, v2, vcc_lo
	v_cmp_eq_u32_e64 s4, 3, v84
	v_cndmask_b32_e32 v20, v22, v6, vcc_lo
	v_cndmask_b32_e64 v1, v1, v2, s5
	v_cmp_eq_u32_e32 vcc_lo, 3, v83
	v_cmp_eq_u32_e64 s6, 3, v80
	v_cndmask_b32_e64 v2, v5, v6, s5
	v_cmp_eq_u32_e64 s5, 3, v82
	v_lshrrev_b32_e32 v16, 16, v8
	v_cmp_eq_u32_e64 s7, 4, v80
	v_cndmask_b32_e64 v5, v9, v10, s6
	v_cndmask_b32_e64 v6, v13, v14, s6
	;; [unrolled: 1-line block ×3, first 2 shown]
	v_cmp_eq_u32_e64 s6, 4, v82
	v_cndmask_b32_e64 v13, v18, v14, s5
	v_cndmask_b32_e64 v17, v19, v10, s4
	;; [unrolled: 1-line block ×3, first 2 shown]
	v_cndmask_b32_e32 v1, v1, v10, vcc_lo
	v_cndmask_b32_e32 v2, v2, v14, vcc_lo
	v_cmp_eq_u32_e32 vcc_lo, 4, v84
	v_cmp_eq_u32_e64 s5, 4, v83
	v_lshrrev_b32_e32 v11, 16, v3
	v_cndmask_b32_e64 v5, v5, v3, s7
	v_cndmask_b32_e64 v6, v6, v7, s7
	v_cndmask_b32_e64 v9, v9, v3, s6
	v_cndmask_b32_e64 v10, v13, v7, s6
	v_cndmask_b32_e32 v13, v17, v3, vcc_lo
	v_cmp_eq_u32_e64 s4, 5, v84
	v_cndmask_b32_e32 v14, v18, v7, vcc_lo
	v_cndmask_b32_e64 v1, v1, v3, s5
	v_cmp_eq_u32_e32 vcc_lo, 5, v83
	v_cmp_eq_u32_e64 s6, 5, v80
	v_cndmask_b32_e64 v2, v2, v7, s5
	v_cmp_eq_u32_e64 s5, 5, v82
	v_cmp_eq_u32_e64 s7, 6, v80
	v_cndmask_b32_e32 v1, v1, v11, vcc_lo
	v_cndmask_b32_e64 v3, v5, v11, s6
	v_cndmask_b32_e64 v5, v6, v15, s6
	;; [unrolled: 1-line block ×3, first 2 shown]
	v_cmp_eq_u32_e64 s6, 6, v82
	v_cndmask_b32_e64 v7, v10, v15, s5
	v_cndmask_b32_e64 v9, v13, v11, s4
	;; [unrolled: 1-line block ×3, first 2 shown]
	v_cndmask_b32_e32 v2, v2, v15, vcc_lo
	v_cmp_eq_u32_e32 vcc_lo, 6, v84
	v_cmp_eq_u32_e64 s4, 6, v83
	v_lshrrev_b32_e32 v12, 16, v4
	v_cndmask_b32_e64 v3, v3, v4, s7
	v_cndmask_b32_e64 v5, v5, v8, s7
	;; [unrolled: 1-line block ×4, first 2 shown]
	v_cndmask_b32_e32 v9, v9, v4, vcc_lo
	v_cmp_eq_u32_e64 s5, 7, v84
	v_cndmask_b32_e32 v10, v10, v8, vcc_lo
	v_cndmask_b32_e64 v1, v1, v4, s4
	v_cmp_eq_u32_e32 vcc_lo, 7, v83
	v_cndmask_b32_e64 v2, v2, v8, s4
	v_cmp_eq_u32_e64 s4, 7, v80
	v_cmp_eq_u32_e64 s6, 7, v82
	v_cndmask_b32_e32 v1, v1, v12, vcc_lo
	s_delay_alu instid0(VALU_DEP_4) | instskip(NEXT) | instid1(VALU_DEP_4)
	v_cndmask_b32_e32 v2, v2, v16, vcc_lo
	v_cndmask_b32_e64 v8, v3, v12, s4
	s_delay_alu instid0(VALU_DEP_4)
	v_cndmask_b32_e64 v6, v6, v12, s6
	v_cndmask_b32_e64 v3, v9, v12, s5
	;; [unrolled: 1-line block ×5, first 2 shown]
	v_cmp_gt_u32_e32 vcc_lo, 32, v0
	v_perm_b32 v4, v2, v1, 0x5040100
	v_perm_b32 v3, v9, v3, 0x5040100
	;; [unrolled: 1-line block ×4, first 2 shown]
	s_and_b32 s2, vcc_lo, s2
	ds_store_b128 v78, v[1:4]
	s_waitcnt lgkmcnt(0)
	s_barrier
	buffer_gl0_inv
	s_and_saveexec_b32 s4, s2
	s_cbranch_execz .LBB184_2
; %bb.17:
	s_load_b64 s[4:5], s[0:1], 0x68
	v_lshlrev_b32_e32 v0, 10, v0
	v_lshlrev_b32_e32 v1, 4, v76
	s_lshl_b32 s0, s36, 6
	v_add_nc_u32_e32 v7, s33, v75
	s_mul_i32 s1, s0, s34
	s_delay_alu instid0(SALU_CYCLE_1) | instskip(SKIP_1) | instid1(VALU_DEP_2)
	s_mul_i32 s6, s1, s8
	v_and_or_b32 v0, 0x3800, v0, v1
	v_mul_lo_u32 v1, v7, s0
	v_add_nc_u32_e32 v2, 2, v7
	s_ashr_i32 s7, s6, 31
	v_add_nc_u32_e32 v4, 4, v7
	s_lshl_b64 s[6:7], s[6:7], 1
	v_add_nc_u32_e32 v8, 6, v7
	v_mul_lo_u32 v3, v2, s0
	v_lshl_or_b32 v19, v75, 6, v0
	v_ashrrev_i32_e32 v2, 31, v1
	v_mul_lo_u32 v11, v4, s0
	v_mul_lo_u32 v25, v8, s0
	s_waitcnt lgkmcnt(0)
	s_add_u32 s1, s4, s6
	s_addc_u32 s2, s5, s7
	s_lshl_b32 s4, s14, 6
	v_lshlrev_b64 v[5:6], 1, v[1:2]
	s_ashr_i32 s5, s4, 31
	v_ashrrev_i32_e32 v4, 31, v3
	s_lshl_b64 s[4:5], s[4:5], 1
	v_ashrrev_i32_e32 v12, 31, v11
	s_add_u32 s1, s1, s4
	s_addc_u32 s2, s2, s5
	v_add_co_u32 v1, vcc_lo, s1, v73
	v_add_co_ci_u32_e32 v2, vcc_lo, s2, v74, vcc_lo
	v_lshlrev_b64 v[3:4], 1, v[3:4]
	s_delay_alu instid0(VALU_DEP_3) | instskip(SKIP_1) | instid1(VALU_DEP_4)
	v_add_co_u32 v23, vcc_lo, v1, v5
	v_add_nc_u32_e32 v5, 8, v7
	v_add_co_ci_u32_e32 v24, vcc_lo, v2, v6, vcc_lo
	s_delay_alu instid0(VALU_DEP_4) | instskip(NEXT) | instid1(VALU_DEP_3)
	v_add_co_u32 v27, vcc_lo, v1, v3
	v_mul_lo_u32 v29, v5, s0
	v_add_co_ci_u32_e32 v28, vcc_lo, v2, v4, vcc_lo
	ds_load_b128 v[3:6], v19
	ds_load_b128 v[7:10], v19 offset:128
	v_lshlrev_b64 v[31:32], 1, v[11:12]
	ds_load_b128 v[11:14], v19 offset:256
	ds_load_b128 v[15:18], v19 offset:384
	;; [unrolled: 1-line block ×3, first 2 shown]
	v_ashrrev_i32_e32 v26, 31, v25
	v_ashrrev_i32_e32 v30, 31, v29
	v_add_co_u32 v31, vcc_lo, v1, v31
	s_delay_alu instid0(VALU_DEP_3) | instskip(NEXT) | instid1(VALU_DEP_3)
	v_lshlrev_b64 v[25:26], 1, v[25:26]
	v_lshlrev_b64 v[29:30], 1, v[29:30]
	v_add_co_ci_u32_e32 v32, vcc_lo, v2, v32, vcc_lo
	s_delay_alu instid0(VALU_DEP_3) | instskip(NEXT) | instid1(VALU_DEP_4)
	v_add_co_u32 v25, vcc_lo, v1, v25
	v_add_co_ci_u32_e32 v26, vcc_lo, v2, v26, vcc_lo
	s_delay_alu instid0(VALU_DEP_4)
	v_add_co_u32 v29, vcc_lo, v1, v29
	v_add_co_ci_u32_e32 v30, vcc_lo, v2, v30, vcc_lo
	s_waitcnt lgkmcnt(4)
	global_store_b128 v[23:24], v[3:6], off
	s_waitcnt lgkmcnt(3)
	global_store_b128 v[27:28], v[7:10], off
	;; [unrolled: 2-line block ×5, first 2 shown]
	s_and_b32 exec_lo, exec_lo, s3
	s_cbranch_execz .LBB184_2
; %bb.18:
	ds_load_b128 v[3:6], v0 offset:640
	s_add_i32 s1, s33, 10
	s_delay_alu instid0(SALU_CYCLE_1) | instskip(NEXT) | instid1(SALU_CYCLE_1)
	s_mul_i32 s0, s1, s0
	s_ashr_i32 s1, s0, 31
	s_delay_alu instid0(SALU_CYCLE_1) | instskip(NEXT) | instid1(SALU_CYCLE_1)
	s_lshl_b64 s[0:1], s[0:1], 1
	v_add_co_u32 v0, vcc_lo, v1, s0
	v_add_co_ci_u32_e32 v1, vcc_lo, s1, v2, vcc_lo
	s_waitcnt lgkmcnt(0)
	global_store_b128 v[0:1], v[3:6], off
	s_nop 0
	s_sendmsg sendmsg(MSG_DEALLOC_VGPRS)
	s_endpgm
	.section	.rodata,"a",@progbits
	.p2align	6, 0x0
	.amdhsa_kernel _Z39paged_attention_ll4mi_QKV_mfma16_kernelIDF16_DF16_LN4vllm18Fp8KVCacheDataTypeE0EDF16_Li32ELi64ELi256ELb0ELi11EL8MFMAType0EEvPKT_PKT0_S8_ifPKiSA_SA_iPKfiiiPfSD_PS3_PT2_iSC_SC_
		.amdhsa_group_segment_fixed_size 17472
		.amdhsa_private_segment_fixed_size 0
		.amdhsa_kernarg_size 400
		.amdhsa_user_sgpr_count 13
		.amdhsa_user_sgpr_dispatch_ptr 0
		.amdhsa_user_sgpr_queue_ptr 0
		.amdhsa_user_sgpr_kernarg_segment_ptr 1
		.amdhsa_user_sgpr_dispatch_id 0
		.amdhsa_user_sgpr_private_segment_size 0
		.amdhsa_wavefront_size32 1
		.amdhsa_uses_dynamic_stack 0
		.amdhsa_enable_private_segment 0
		.amdhsa_system_sgpr_workgroup_id_x 1
		.amdhsa_system_sgpr_workgroup_id_y 1
		.amdhsa_system_sgpr_workgroup_id_z 1
		.amdhsa_system_sgpr_workgroup_info 0
		.amdhsa_system_vgpr_workitem_id 0
		.amdhsa_next_free_vgpr 154
		.amdhsa_next_free_sgpr 39
		.amdhsa_reserve_vcc 1
		.amdhsa_float_round_mode_32 0
		.amdhsa_float_round_mode_16_64 0
		.amdhsa_float_denorm_mode_32 3
		.amdhsa_float_denorm_mode_16_64 3
		.amdhsa_dx10_clamp 1
		.amdhsa_ieee_mode 1
		.amdhsa_fp16_overflow 0
		.amdhsa_workgroup_processor_mode 1
		.amdhsa_memory_ordered 1
		.amdhsa_forward_progress 0
		.amdhsa_shared_vgpr_count 0
		.amdhsa_exception_fp_ieee_invalid_op 0
		.amdhsa_exception_fp_denorm_src 0
		.amdhsa_exception_fp_ieee_div_zero 0
		.amdhsa_exception_fp_ieee_overflow 0
		.amdhsa_exception_fp_ieee_underflow 0
		.amdhsa_exception_fp_ieee_inexact 0
		.amdhsa_exception_int_div_zero 0
	.end_amdhsa_kernel
	.section	.text._Z39paged_attention_ll4mi_QKV_mfma16_kernelIDF16_DF16_LN4vllm18Fp8KVCacheDataTypeE0EDF16_Li32ELi64ELi256ELb0ELi11EL8MFMAType0EEvPKT_PKT0_S8_ifPKiSA_SA_iPKfiiiPfSD_PS3_PT2_iSC_SC_,"axG",@progbits,_Z39paged_attention_ll4mi_QKV_mfma16_kernelIDF16_DF16_LN4vllm18Fp8KVCacheDataTypeE0EDF16_Li32ELi64ELi256ELb0ELi11EL8MFMAType0EEvPKT_PKT0_S8_ifPKiSA_SA_iPKfiiiPfSD_PS3_PT2_iSC_SC_,comdat
.Lfunc_end184:
	.size	_Z39paged_attention_ll4mi_QKV_mfma16_kernelIDF16_DF16_LN4vllm18Fp8KVCacheDataTypeE0EDF16_Li32ELi64ELi256ELb0ELi11EL8MFMAType0EEvPKT_PKT0_S8_ifPKiSA_SA_iPKfiiiPfSD_PS3_PT2_iSC_SC_, .Lfunc_end184-_Z39paged_attention_ll4mi_QKV_mfma16_kernelIDF16_DF16_LN4vllm18Fp8KVCacheDataTypeE0EDF16_Li32ELi64ELi256ELb0ELi11EL8MFMAType0EEvPKT_PKT0_S8_ifPKiSA_SA_iPKfiiiPfSD_PS3_PT2_iSC_SC_
                                        ; -- End function
	.section	.AMDGPU.csdata,"",@progbits
; Kernel info:
; codeLenInByte = 7380
; NumSgprs: 41
; NumVgprs: 154
; ScratchSize: 0
; MemoryBound: 0
; FloatMode: 240
; IeeeMode: 1
; LDSByteSize: 17472 bytes/workgroup (compile time only)
; SGPRBlocks: 5
; VGPRBlocks: 19
; NumSGPRsForWavesPerEU: 41
; NumVGPRsForWavesPerEU: 154
; Occupancy: 9
; WaveLimiterHint : 1
; COMPUTE_PGM_RSRC2:SCRATCH_EN: 0
; COMPUTE_PGM_RSRC2:USER_SGPR: 13
; COMPUTE_PGM_RSRC2:TRAP_HANDLER: 0
; COMPUTE_PGM_RSRC2:TGID_X_EN: 1
; COMPUTE_PGM_RSRC2:TGID_Y_EN: 1
; COMPUTE_PGM_RSRC2:TGID_Z_EN: 1
; COMPUTE_PGM_RSRC2:TIDIG_COMP_CNT: 0
	.section	.text._Z39paged_attention_ll4mi_QKV_mfma16_kernelIDF16_DF16_LN4vllm18Fp8KVCacheDataTypeE0EDF16_Li32ELi64ELi256ELb0ELi12EL8MFMAType0EEvPKT_PKT0_S8_ifPKiSA_SA_iPKfiiiPfSD_PS3_PT2_iSC_SC_,"axG",@progbits,_Z39paged_attention_ll4mi_QKV_mfma16_kernelIDF16_DF16_LN4vllm18Fp8KVCacheDataTypeE0EDF16_Li32ELi64ELi256ELb0ELi12EL8MFMAType0EEvPKT_PKT0_S8_ifPKiSA_SA_iPKfiiiPfSD_PS3_PT2_iSC_SC_,comdat
	.protected	_Z39paged_attention_ll4mi_QKV_mfma16_kernelIDF16_DF16_LN4vllm18Fp8KVCacheDataTypeE0EDF16_Li32ELi64ELi256ELb0ELi12EL8MFMAType0EEvPKT_PKT0_S8_ifPKiSA_SA_iPKfiiiPfSD_PS3_PT2_iSC_SC_ ; -- Begin function _Z39paged_attention_ll4mi_QKV_mfma16_kernelIDF16_DF16_LN4vllm18Fp8KVCacheDataTypeE0EDF16_Li32ELi64ELi256ELb0ELi12EL8MFMAType0EEvPKT_PKT0_S8_ifPKiSA_SA_iPKfiiiPfSD_PS3_PT2_iSC_SC_
	.globl	_Z39paged_attention_ll4mi_QKV_mfma16_kernelIDF16_DF16_LN4vllm18Fp8KVCacheDataTypeE0EDF16_Li32ELi64ELi256ELb0ELi12EL8MFMAType0EEvPKT_PKT0_S8_ifPKiSA_SA_iPKfiiiPfSD_PS3_PT2_iSC_SC_
	.p2align	8
	.type	_Z39paged_attention_ll4mi_QKV_mfma16_kernelIDF16_DF16_LN4vllm18Fp8KVCacheDataTypeE0EDF16_Li32ELi64ELi256ELb0ELi12EL8MFMAType0EEvPKT_PKT0_S8_ifPKiSA_SA_iPKfiiiPfSD_PS3_PT2_iSC_SC_,@function
_Z39paged_attention_ll4mi_QKV_mfma16_kernelIDF16_DF16_LN4vllm18Fp8KVCacheDataTypeE0EDF16_Li32ELi64ELi256ELb0ELi12EL8MFMAType0EEvPKT_PKT0_S8_ifPKiSA_SA_iPKfiiiPfSD_PS3_PT2_iSC_SC_: ; @_Z39paged_attention_ll4mi_QKV_mfma16_kernelIDF16_DF16_LN4vllm18Fp8KVCacheDataTypeE0EDF16_Li32ELi64ELi256ELb0ELi12EL8MFMAType0EEvPKT_PKT0_S8_ifPKiSA_SA_iPKfiiiPfSD_PS3_PT2_iSC_SC_
; %bb.0:
	s_load_b64 s[2:3], s[0:1], 0x30
	s_mov_b32 s34, s13
	s_waitcnt lgkmcnt(0)
	s_cmp_lg_u64 s[2:3], 0
	s_cselect_b32 s6, -1, 0
	s_ashr_i32 s35, s13, 31
	s_cmp_eq_u64 s[2:3], 0
	s_cbranch_scc1 .LBB185_3
; %bb.1:
	s_lshl_b64 s[4:5], s[34:35], 2
	s_delay_alu instid0(SALU_CYCLE_1) | instskip(SKIP_4) | instid1(SALU_CYCLE_1)
	s_add_u32 s4, s2, s4
	s_addc_u32 s5, s3, s5
	s_load_b64 s[4:5], s[4:5], 0x0
	s_waitcnt lgkmcnt(0)
	s_sub_i32 s4, s5, s4
	s_cmp_eq_u32 s4, 1
	s_cselect_b32 s4, -1, 0
	s_delay_alu instid0(SALU_CYCLE_1)
	s_and_not1_b32 vcc_lo, exec_lo, s4
	s_cbranch_vccz .LBB185_4
.LBB185_2:
	s_endpgm
.LBB185_3:
.LBB185_4:
	s_load_b64 s[8:9], s[0:1], 0x28
	s_lshl_b64 s[4:5], s[34:35], 2
	s_waitcnt lgkmcnt(0)
	s_add_u32 s8, s8, s4
	s_addc_u32 s9, s9, s5
	s_lshl_b32 s16, s14, 8
	s_load_b32 s18, s[8:9], 0x0
	s_waitcnt lgkmcnt(0)
	s_cmp_ge_i32 s16, s18
	s_cbranch_scc1 .LBB185_2
; %bb.5:
	s_and_not1_b32 vcc_lo, exec_lo, s6
	s_cbranch_vccnz .LBB185_7
; %bb.6:
	s_add_u32 s2, s2, s4
	s_addc_u32 s3, s3, s5
	s_load_b32 s17, s[2:3], 0x0
	s_branch .LBB185_8
.LBB185_7:
	s_mov_b32 s17, s34
.LBB185_8:
	s_clause 0x2
	s_load_b128 s[8:11], s[0:1], 0x8
	s_load_b64 s[12:13], s[0:1], 0x20
	s_load_b128 s[4:7], s[0:1], 0x48
	v_and_b32_e32 v77, 15, v0
	v_cmp_lt_u32_e32 vcc_lo, 0xbf, v0
	s_delay_alu instid0(VALU_DEP_2) | instskip(SKIP_2) | instid1(VALU_DEP_3)
	v_cmp_lt_u32_e64 s3, 7, v77
	v_lshlrev_b32_e32 v1, 3, v77
	v_cmp_gt_u32_e64 s2, 8, v77
	s_or_b32 s3, vcc_lo, s3
	s_waitcnt lgkmcnt(0)
	s_and_saveexec_b32 s7, s3
	s_delay_alu instid0(SALU_CYCLE_1)
	s_xor_b32 s3, exec_lo, s7
; %bb.9:
	v_mov_b32_e32 v2, 0
; %bb.10:
	s_or_saveexec_b32 s3, s3
	v_lshrrev_b32_e32 v79, 5, v0
	v_and_b32_e32 v80, 31, v0
	v_and_b32_e32 v76, 1, v0
	v_bfe_u32 v75, v0, 4, 1
	s_mul_i32 s31, s15, 12
	s_xor_b32 exec_lo, exec_lo, s3
	s_cbranch_execz .LBB185_12
; %bb.11:
	s_load_b64 s[20:21], s[0:1], 0x0
	v_lshl_or_b32 v7, v79, 1, v75
	s_mul_hi_i32 s23, s17, s4
	s_mul_i32 s22, s17, s4
	v_lshlrev_b32_e32 v4, 1, v1
	s_lshl_b64 s[22:23], s[22:23], 1
	v_add_lshl_u32 v2, v7, s31, 6
	v_lshlrev_b32_e32 v7, 6, v7
	v_lshlrev_b32_e32 v8, 10, v76
	s_delay_alu instid0(VALU_DEP_3) | instskip(NEXT) | instid1(VALU_DEP_1)
	v_ashrrev_i32_e32 v3, 31, v2
	v_lshlrev_b64 v[2:3], 1, v[2:3]
	s_waitcnt lgkmcnt(0)
	s_add_u32 s4, s20, s22
	s_addc_u32 s7, s21, s23
	s_delay_alu instid0(VALU_DEP_1) | instskip(NEXT) | instid1(VALU_DEP_2)
	v_add_co_u32 v2, vcc_lo, s4, v2
	v_add_co_ci_u32_e32 v3, vcc_lo, s7, v3, vcc_lo
	s_delay_alu instid0(VALU_DEP_2) | instskip(NEXT) | instid1(VALU_DEP_2)
	v_add_co_u32 v2, vcc_lo, v2, v4
	v_add_co_ci_u32_e32 v3, vcc_lo, 0, v3, vcc_lo
	global_load_b128 v[3:6], v[2:3], off
	v_lshlrev_b32_e32 v2, 10, v77
	s_delay_alu instid0(VALU_DEP_1) | instskip(NEXT) | instid1(VALU_DEP_1)
	v_and_b32_e32 v2, 0x3800, v2
	v_or3_b32 v7, v2, v8, v7
	v_mov_b32_e32 v2, 0
	s_waitcnt vmcnt(0)
	ds_store_b128 v7, v[3:6]
.LBB185_12:
	s_or_b32 exec_lo, exec_lo, s3
	v_and_b32_e32 v3, 0xef, v0
	s_add_i32 s3, s18, 31
	s_clause 0x1
	s_load_b32 s4, s[0:1], 0x38
	s_load_b32 s33, s[0:1], 0x98
	s_ashr_i32 s7, s3, 31
	v_add_nc_u32_e32 v3, s16, v3
	s_lshr_b32 s7, s7, 27
	s_load_b32 s19, s[0:1], 0x1c
	s_add_i32 s3, s3, s7
	s_waitcnt lgkmcnt(0)
	v_ashrrev_i32_e32 v4, 31, v3
	v_cmp_gt_i32_e32 vcc_lo, s18, v3
	s_ashr_i32 s3, s3, 5
	s_barrier
	s_add_i32 s3, s3, -1
	v_lshrrev_b32_e32 v5, 27, v4
	v_or_b32_e32 v4, 16, v3
	buffer_gl0_inv
	s_mul_i32 s6, s15, s6
	v_lshlrev_b64 v[73:74], 1, v[1:2]
	v_add_nc_u32_e32 v6, v3, v5
	v_add_nc_u32_e32 v5, v4, v5
	s_mul_i32 s20, s34, s4
	v_lshlrev_b32_e32 v78, 6, v77
	s_ashr_i32 s21, s20, 31
	v_ashrrev_i32_e32 v6, 5, v6
	v_ashrrev_i32_e32 v5, 5, v5
	s_lshl_b64 s[20:21], s[20:21], 2
	v_lshl_or_b32 v33, v79, 10, v78
	s_add_u32 s4, s12, s20
	v_cndmask_b32_e32 v3, s3, v6, vcc_lo
	v_cmp_gt_i32_e32 vcc_lo, s18, v4
	s_addc_u32 s17, s13, s21
	s_ashr_i32 s7, s6, 31
	s_delay_alu instid0(VALU_DEP_2) | instskip(SKIP_2) | instid1(SALU_CYCLE_1)
	v_ashrrev_i32_e32 v4, 31, v3
	v_cndmask_b32_e32 v5, s3, v5, vcc_lo
	s_lshl_b64 s[6:7], s[6:7], 1
	s_add_u32 s15, s8, s6
	s_delay_alu instid0(VALU_DEP_2) | instskip(NEXT) | instid1(VALU_DEP_2)
	v_lshlrev_b64 v[3:4], 2, v[3:4]
	v_ashrrev_i32_e32 v6, 31, v5
	s_addc_u32 s28, s9, s7
	s_lshl_b32 s8, s14, 3
	s_delay_alu instid0(SALU_CYCLE_1) | instskip(NEXT) | instid1(VALU_DEP_1)
	s_ashr_i32 s9, s8, 31
	v_lshlrev_b64 v[5:6], 2, v[5:6]
	v_add_co_u32 v3, vcc_lo, s4, v3
	v_add_co_ci_u32_e32 v4, vcc_lo, s17, v4, vcc_lo
	s_lshl_b64 s[8:9], s[8:9], 2
	s_delay_alu instid0(VALU_DEP_3) | instskip(NEXT) | instid1(VALU_DEP_4)
	v_add_co_u32 v5, vcc_lo, s4, v5
	v_add_co_ci_u32_e32 v6, vcc_lo, s17, v6, vcc_lo
	s_add_u32 s8, s4, s8
	s_clause 0x1
	global_load_b32 v7, v[3:4], off
	global_load_b32 v8, v[5:6], off
	s_addc_u32 s9, s17, s9
	s_or_b32 s12, s16, 32
	s_delay_alu instid0(SALU_CYCLE_1) | instskip(SKIP_2) | instid1(SALU_CYCLE_1)
	s_ashr_i32 s13, s12, 5
	s_cmp_lt_i32 s12, s18
	s_cselect_b32 s12, s13, s3
	s_ashr_i32 s13, s12, 31
	s_delay_alu instid0(SALU_CYCLE_1) | instskip(NEXT) | instid1(SALU_CYCLE_1)
	s_lshl_b64 s[12:13], s[12:13], 2
	s_add_u32 s12, s4, s12
	s_addc_u32 s13, s17, s13
	s_or_b32 s20, s16, 64
	s_delay_alu instid0(SALU_CYCLE_1) | instskip(SKIP_2) | instid1(SALU_CYCLE_1)
	s_ashr_i32 s21, s20, 5
	s_cmp_lt_i32 s20, s18
	s_cselect_b32 s20, s21, s3
	s_ashr_i32 s21, s20, 31
	s_delay_alu instid0(SALU_CYCLE_1) | instskip(NEXT) | instid1(SALU_CYCLE_1)
	s_lshl_b64 s[20:21], s[20:21], 2
	s_add_u32 s20, s4, s20
	;; [unrolled: 10-line block ×5, first 2 shown]
	s_addc_u32 s27, s17, s27
	s_clause 0x5
	s_load_b32 s29, s[8:9], 0x0
	s_load_b32 s30, s[12:13], 0x0
	;; [unrolled: 1-line block ×6, first 2 shown]
	s_or_b32 s8, s16, 0xc0
	s_mov_b32 s20, 0
	s_ashr_i32 s9, s8, 5
	s_cmp_lt_i32 s8, s18
	s_mov_b32 s27, s20
	s_cselect_b32 s8, s9, s3
	s_mov_b32 s21, s20
	s_ashr_i32 s9, s8, 31
	s_mov_b32 s22, s20
	s_lshl_b64 s[8:9], s[8:9], 2
	s_mov_b32 s23, s20
	s_add_u32 s8, s4, s8
	s_mov_b32 s24, s20
	s_mov_b32 s25, s20
	;; [unrolled: 1-line block ×3, first 2 shown]
	s_addc_u32 s9, s17, s9
	v_dual_mov_b32 v128, s27 :: v_dual_mov_b32 v127, s26
	v_dual_mov_b32 v126, s25 :: v_dual_mov_b32 v125, s24
	;; [unrolled: 1-line block ×3, first 2 shown]
	v_mov_b32_e32 v121, s20
	s_waitcnt lgkmcnt(0)
	s_mul_hi_i32 s13, s29, s5
	s_mul_i32 s12, s29, s5
	v_mov_b32_e32 v122, s21
	s_mul_hi_i32 s21, s30, s5
	s_mul_i32 s20, s30, s5
	s_mul_hi_i32 s25, s35, s5
	s_mul_i32 s24, s35, s5
	;; [unrolled: 2-line block ×3, first 2 shown]
	s_mul_i32 s36, s38, s5
	s_waitcnt vmcnt(1)
	v_mad_i64_i32 v[3:4], null, v7, s5, 0
	s_waitcnt vmcnt(0)
	v_mad_i64_i32 v[5:6], null, v8, s5, 0
	s_delay_alu instid0(VALU_DEP_2) | instskip(NEXT) | instid1(VALU_DEP_2)
	v_lshlrev_b64 v[3:4], 1, v[3:4]
	v_lshlrev_b64 v[1:2], 1, v[5:6]
	s_delay_alu instid0(VALU_DEP_2) | instskip(NEXT) | instid1(VALU_DEP_3)
	v_add_co_u32 v3, vcc_lo, s15, v3
	v_add_co_ci_u32_e32 v4, vcc_lo, s28, v4, vcc_lo
	s_delay_alu instid0(VALU_DEP_3) | instskip(NEXT) | instid1(VALU_DEP_4)
	v_add_co_u32 v1, vcc_lo, s15, v1
	v_add_co_ci_u32_e32 v2, vcc_lo, s28, v2, vcc_lo
	s_delay_alu instid0(VALU_DEP_4) | instskip(NEXT) | instid1(VALU_DEP_4)
	v_add_co_u32 v25, vcc_lo, v3, v73
	v_add_co_ci_u32_e32 v26, vcc_lo, v4, v74, vcc_lo
	s_delay_alu instid0(VALU_DEP_4) | instskip(NEXT) | instid1(VALU_DEP_4)
	v_add_co_u32 v27, vcc_lo, v1, v73
	v_add_co_ci_u32_e32 v28, vcc_lo, v2, v74, vcc_lo
	s_clause 0xf
	global_load_b128 v[1:4], v[25:26], off
	global_load_b128 v[5:8], v[25:26], off offset:512
	global_load_b128 v[9:12], v[27:28], off offset:256
	;; [unrolled: 1-line block ×15, first 2 shown]
	s_or_b32 s15, s16, 0xe0
	v_add_nc_u32_e32 v25, -12, v77
	s_ashr_i32 s22, s15, 5
	s_cmp_lt_i32 s15, s18
	v_cmp_gt_u32_e32 vcc_lo, 12, v77
	s_cselect_b32 s22, s22, s3
	s_delay_alu instid0(SALU_CYCLE_1) | instskip(NEXT) | instid1(SALU_CYCLE_1)
	s_ashr_i32 s23, s22, 31
	s_lshl_b64 s[22:23], s[22:23], 2
	v_cndmask_b32_e32 v25, v25, v77, vcc_lo
	s_add_u32 s22, s4, s22
	s_addc_u32 s23, s17, s23
	s_add_i32 s15, s16, 0x100
	s_delay_alu instid0(SALU_CYCLE_1)
	s_ashr_i32 s28, s15, 5
	s_cmp_lt_i32 s15, s18
	v_lshlrev_b32_e32 v151, 6, v25
	s_cselect_b32 s28, s28, s3
	ds_load_b128 v[25:28], v151
	ds_load_b128 v[29:32], v151 offset:1024
	s_ashr_i32 s29, s28, 31
	ds_load_b128 v[129:132], v151 offset:2048
	ds_load_b128 v[133:136], v151 offset:3072
	s_lshl_b64 s[28:29], s[28:29], 2
	s_load_b32 s15, s[8:9], 0x0
	s_add_u32 s28, s4, s28
	s_addc_u32 s29, s17, s29
	s_add_u32 s3, s10, s6
	s_clause 0x1
	s_load_b32 s4, s[22:23], 0x0
	s_load_b32 s17, s[28:29], 0x0
	s_addc_u32 s28, s11, s7
	v_add_co_u32 v152, s3, s3, v33
	s_delay_alu instid0(VALU_DEP_1) | instskip(SKIP_2) | instid1(VALU_DEP_2)
	v_add_co_ci_u32_e64 v153, null, s28, 0, s3
	s_lshl_b64 s[6:7], s[12:13], 1
	s_lshl_b64 s[10:11], s[20:21], 1
	v_add_co_u32 v33, vcc_lo, v152, s6
	s_delay_alu instid0(VALU_DEP_2)
	v_add_co_ci_u32_e32 v34, vcc_lo, s7, v153, vcc_lo
	v_add_co_u32 v35, vcc_lo, v152, s10
	s_lshl_b64 s[12:13], s[24:25], 1
	v_add_co_ci_u32_e32 v36, vcc_lo, s11, v153, vcc_lo
	v_add_co_u32 v37, vcc_lo, v152, s12
	s_lshl_b64 s[20:21], s[26:27], 1
	s_mul_hi_i32 s9, s37, s5
	s_mul_i32 s8, s37, s5
	v_add_co_ci_u32_e32 v38, vcc_lo, s13, v153, vcc_lo
	v_add_co_u32 v39, vcc_lo, v152, s20
	s_lshl_b64 s[8:9], s[8:9], 1
	s_mul_hi_i32 s37, s38, s5
	v_add_co_ci_u32_e32 v40, vcc_lo, s21, v153, vcc_lo
	v_add_co_u32 v145, vcc_lo, v152, s8
	s_lshl_b64 s[22:23], s[36:37], 1
	s_waitcnt lgkmcnt(0)
	s_mul_hi_i32 s25, s15, s5
	s_mul_i32 s24, s15, s5
	v_add_co_ci_u32_e32 v146, vcc_lo, s9, v153, vcc_lo
	v_add_co_u32 v147, vcc_lo, v152, s22
	s_lshl_b64 s[24:25], s[24:25], 1
	v_add_co_ci_u32_e32 v148, vcc_lo, s23, v153, vcc_lo
	s_mul_hi_i32 s7, s4, s5
	s_mul_i32 s6, s4, s5
	v_add_co_u32 v149, vcc_lo, v152, s24
	s_lshl_b64 s[6:7], s[6:7], 1
	v_add_co_ci_u32_e32 v150, vcc_lo, s25, v153, vcc_lo
	s_clause 0x7
	global_load_b128 v[65:68], v[33:34], off
	global_load_b128 v[69:72], v[33:34], off offset:16
	global_load_b128 v[57:60], v[35:36], off
	global_load_b128 v[61:64], v[35:36], off offset:16
	;; [unrolled: 2-line block ×4, first 2 shown]
	s_waitcnt vmcnt(22)
	v_wmma_f32_16x16x16_f16 v[137:144], v[1:8], v[25:32], v[121:128]
	s_waitcnt vmcnt(20)
	v_wmma_f32_16x16x16_f16 v[121:128], v[9:16], v[25:32], v[121:128]
	v_add_co_u32 v29, vcc_lo, v152, s6
	v_add_co_ci_u32_e32 v30, vcc_lo, s7, v153, vcc_lo
	s_mul_hi_i32 s7, s17, s5
	s_mul_i32 s6, s17, s5
	s_waitcnt vmcnt(18)
	v_wmma_f32_16x16x16_f16 v[137:144], v[17:24], v[129:136], v[137:144]
	s_lshl_b64 s[4:5], s[6:7], 1
	s_clause 0x1
	global_load_b128 v[9:12], v[145:146], off
	global_load_b128 v[13:16], v[145:146], off offset:16
	v_add_co_u32 v21, vcc_lo, v152, s4
	v_add_co_ci_u32_e32 v22, vcc_lo, s5, v153, vcc_lo
	s_clause 0x7
	global_load_b128 v[1:4], v[147:148], off
	global_load_b128 v[5:8], v[147:148], off offset:16
	global_load_b128 v[33:36], v[149:150], off
	global_load_b128 v[37:40], v[149:150], off offset:16
	global_load_b128 v[25:28], v[29:30], off
	global_load_b128 v[29:32], v[29:30], off offset:16
	global_load_b128 v[17:20], v[21:22], off
	global_load_b128 v[21:24], v[21:22], off offset:16
	s_waitcnt vmcnt(26)
	v_wmma_f32_16x16x16_f16 v[121:128], v[81:88], v[129:136], v[121:128]
	ds_load_b128 v[81:84], v151 offset:4096
	ds_load_b128 v[85:88], v151 offset:5120
	v_mbcnt_lo_u32_b32 v130, -1, 0
	s_delay_alu instid0(VALU_DEP_1) | instskip(NEXT) | instid1(VALU_DEP_1)
	v_xor_b32_e32 v131, 16, v130
	v_cmp_gt_i32_e32 vcc_lo, 32, v131
	v_cndmask_b32_e32 v130, v130, v131, vcc_lo
	s_waitcnt vmcnt(24) lgkmcnt(0)
	v_wmma_f32_16x16x16_f16 v[137:144], v[89:96], v[81:88], v[137:144]
	ds_load_b128 v[89:92], v151 offset:6144
	ds_load_b128 v[93:96], v151 offset:7168
	s_waitcnt vmcnt(22)
	v_wmma_f32_16x16x16_f16 v[121:128], v[97:104], v[81:88], v[121:128]
	s_waitcnt vmcnt(0) lgkmcnt(0)
	s_barrier
	buffer_gl0_inv
	v_wmma_f32_16x16x16_f16 v[137:144], v[105:112], v[89:96], v[137:144]
	v_and_b32_e32 v129, 0xe0, v0
	v_wmma_f32_16x16x16_f16 v[121:128], v[113:120], v[89:96], v[121:128]
	s_delay_alu instid0(VALU_DEP_3) | instskip(NEXT) | instid1(VALU_DEP_2)
	v_mul_f32_e32 v96, s19, v137
	v_dual_mul_f32 v104, s19, v126 :: v_dual_add_nc_u32 v129, s16, v129
	v_mul_f32_e32 v95, s19, v138
	v_dual_mul_f32 v93, s19, v140 :: v_dual_mul_f32 v94, s19, v139
	s_delay_alu instid0(VALU_DEP_3) | instskip(SKIP_3) | instid1(VALU_DEP_4)
	v_or_b32_e32 v129, v129, v75
	v_dual_mul_f32 v91, s19, v142 :: v_dual_mul_f32 v106, s19, v124
	v_dual_mul_f32 v92, s19, v141 :: v_dual_mul_f32 v89, s19, v144
	v_mul_f32_e32 v108, s19, v122
	v_or_b32_e32 v131, 2, v129
	v_or_b32_e32 v132, 4, v129
	;; [unrolled: 1-line block ×3, first 2 shown]
	v_cmp_gt_i32_e32 vcc_lo, s18, v129
	v_or_b32_e32 v82, 8, v129
	v_cmp_gt_i32_e64 s3, s18, v131
	v_or_b32_e32 v83, 10, v129
	v_cmp_gt_i32_e64 s4, s18, v132
	v_cndmask_b32_e32 v96, 0xff7fffff, v96, vcc_lo
	v_cmp_gt_i32_e64 s5, s18, v81
	v_cndmask_b32_e64 v95, 0xff7fffff, v95, s3
	v_or_b32_e32 v84, 12, v129
	v_or_b32_e32 v85, 14, v129
	v_cndmask_b32_e64 v94, 0xff7fffff, v94, s4
	v_cndmask_b32_e64 v81, 0xff7fffff, v93, s5
	v_max3_f32 v93, v96, 0xff7fffff, v95
	v_cmp_gt_i32_e64 s6, s18, v82
	v_cmp_gt_i32_e64 s7, s18, v83
	v_or_b32_e32 v86, 16, v129
	v_or_b32_e32 v87, 18, v129
	v_mul_f32_e32 v90, s19, v143
	v_cndmask_b32_e64 v82, 0xff7fffff, v92, s6
	v_cndmask_b32_e64 v83, 0xff7fffff, v91, s7
	v_max3_f32 v81, v93, v94, v81
	v_cmp_gt_i32_e64 s8, s18, v84
	v_cmp_gt_i32_e64 s9, s18, v85
	v_or_b32_e32 v88, 20, v129
	v_or_b32_e32 v97, 22, v129
	v_mul_f32_e32 v109, s19, v121
	v_cndmask_b32_e64 v84, 0xff7fffff, v90, s8
	v_cndmask_b32_e64 v85, 0xff7fffff, v89, s9
	v_max3_f32 v81, v81, v82, v83
	v_cmp_gt_i32_e64 s10, s18, v86
	v_cmp_gt_i32_e64 s11, s18, v87
	v_or_b32_e32 v98, 24, v129
	v_or_b32_e32 v99, 26, v129
	v_mul_f32_e32 v107, s19, v123
	v_cndmask_b32_e64 v82, 0xff7fffff, v109, s10
	v_cndmask_b32_e64 v83, 0xff7fffff, v108, s11
	v_max3_f32 v81, v81, v84, v85
	v_cmp_gt_i32_e64 s12, s18, v88
	v_cmp_gt_i32_e64 s13, s18, v97
	v_or_b32_e32 v100, 28, v129
	v_or_b32_e32 v101, 30, v129
	v_mul_f32_e32 v105, s19, v125
	v_cndmask_b32_e64 v84, 0xff7fffff, v107, s12
	v_cndmask_b32_e64 v85, 0xff7fffff, v106, s13
	v_max3_f32 v81, v81, v82, v83
	v_cmp_gt_i32_e64 s15, s18, v98
	v_cmp_gt_i32_e64 s16, s18, v99
	v_dual_mul_f32 v102, s19, v128 :: v_dual_mul_f32 v103, s19, v127
	s_delay_alu instid0(VALU_DEP_4) | instskip(NEXT) | instid1(VALU_DEP_4)
	v_max3_f32 v81, v81, v84, v85
	v_cndmask_b32_e64 v82, 0xff7fffff, v105, s15
	s_delay_alu instid0(VALU_DEP_4) | instskip(SKIP_2) | instid1(VALU_DEP_3)
	v_cndmask_b32_e64 v83, 0xff7fffff, v104, s16
	v_cmp_gt_i32_e64 s17, s18, v100
	v_cmp_gt_i32_e64 s18, s18, v101
	v_max3_f32 v81, v81, v82, v83
	s_delay_alu instid0(VALU_DEP_3) | instskip(NEXT) | instid1(VALU_DEP_3)
	v_cndmask_b32_e64 v84, 0xff7fffff, v103, s17
	v_cndmask_b32_e64 v85, 0xff7fffff, v102, s18
	v_lshlrev_b32_e32 v83, 2, v130
	s_delay_alu instid0(VALU_DEP_2) | instskip(SKIP_3) | instid1(VALU_DEP_1)
	v_max3_f32 v81, v81, v84, v85
	ds_bpermute_b32 v82, v83, v81
	s_waitcnt lgkmcnt(0)
	v_max_f32_e32 v82, v82, v82
	v_max_f32_e32 v81, v81, v82
	s_delay_alu instid0(VALU_DEP_1) | instskip(SKIP_2) | instid1(VALU_DEP_3)
	v_fma_f32 v82, s19, v137, -v81
	v_fma_f32 v84, s19, v138, -v81
	;; [unrolled: 1-line block ×3, first 2 shown]
	v_mul_f32_e32 v82, 0x3fb8aa3b, v82
	s_delay_alu instid0(VALU_DEP_2) | instskip(NEXT) | instid1(VALU_DEP_2)
	v_dual_mul_f32 v84, 0x3fb8aa3b, v84 :: v_dual_mul_f32 v89, 0x3fb8aa3b, v87
	v_exp_f32_e32 v82, v82
	s_delay_alu instid0(VALU_DEP_1) | instskip(NEXT) | instid1(VALU_DEP_1)
	v_exp_f32_e32 v84, v84
	v_exp_f32_e32 v92, v89
	s_delay_alu instid0(TRANS32_DEP_3)
	v_cndmask_b32_e32 v88, 0, v82, vcc_lo
	s_waitcnt_depctr 0xfff
	v_cndmask_b32_e64 v87, 0, v84, s3
	v_cndmask_b32_e64 v92, 0, v92, s6
	s_mov_b32 s3, exec_lo
	v_add_f32_e32 v84, 0, v88
	s_delay_alu instid0(VALU_DEP_1)
	v_add_f32_e32 v84, v84, v87
	v_fma_f32 v85, s19, v139, -v81
	v_fma_f32 v86, s19, v140, -v81
	;; [unrolled: 1-line block ×5, first 2 shown]
	s_delay_alu instid0(VALU_DEP_4) | instskip(NEXT) | instid1(VALU_DEP_4)
	v_dual_mul_f32 v85, 0x3fb8aa3b, v85 :: v_dual_mul_f32 v86, 0x3fb8aa3b, v86
	v_mul_f32_e32 v82, 0x3fb8aa3b, v82
	v_fma_f32 v96, s19, v124, -v81
	v_fma_f32 v99, s19, v127, -v81
	s_delay_alu instid0(VALU_DEP_4) | instskip(SKIP_3) | instid1(VALU_DEP_1)
	v_exp_f32_e32 v85, v85
	v_exp_f32_e32 v86, v86
	;; [unrolled: 1-line block ×3, first 2 shown]
	v_mul_f32_e32 v97, 0x3fb8aa3b, v96
	v_exp_f32_e32 v97, v97
	v_cndmask_b32_e64 v90, 0, v85, s4
	v_fma_f32 v85, s19, v144, -v81
	s_delay_alu instid0(TRANS32_DEP_3) | instskip(SKIP_1) | instid1(VALU_DEP_4)
	v_cndmask_b32_e64 v89, 0, v86, s5
	v_fma_f32 v86, s19, v121, -v81
	v_dual_add_f32 v84, v84, v90 :: v_dual_mul_f32 v91, 0x3fb8aa3b, v91
	s_delay_alu instid0(VALU_DEP_2) | instskip(NEXT) | instid1(TRANS32_DEP_1)
	v_mul_f32_e32 v86, 0x3fb8aa3b, v86
	v_cndmask_b32_e64 v97, 0, v97, s13
	s_delay_alu instid0(VALU_DEP_3)
	v_add_f32_e32 v84, v84, v89
	v_mul_f32_e32 v85, 0x3fb8aa3b, v85
	v_exp_f32_e32 v93, v91
	v_cndmask_b32_e64 v91, 0, v82, s7
	v_exp_f32_e32 v86, v86
	v_add_f32_e32 v82, v84, v92
	v_exp_f32_e32 v85, v85
	v_fma_f32 v84, s19, v123, -v81
	s_delay_alu instid0(VALU_DEP_2) | instskip(NEXT) | instid1(TRANS32_DEP_3)
	v_dual_mul_f32 v95, 0x3fb8aa3b, v94 :: v_dual_add_f32 v82, v82, v91
	v_cndmask_b32_e64 v94, 0, v93, s8
	s_delay_alu instid0(VALU_DEP_2) | instskip(NEXT) | instid1(TRANS32_DEP_3)
	v_exp_f32_e32 v95, v95
	v_cndmask_b32_e64 v96, 0, v86, s10
	v_fma_f32 v86, s19, v126, -v81
	s_delay_alu instid0(TRANS32_DEP_2) | instskip(SKIP_3) | instid1(VALU_DEP_3)
	v_cndmask_b32_e64 v93, 0, v85, s9
	v_fma_f32 v85, s19, v125, -v81
	v_mul_f32_e32 v84, 0x3fb8aa3b, v84
	v_add_f32_e32 v82, v82, v94
	v_dual_mul_f32 v86, 0x3fb8aa3b, v86 :: v_dual_mul_f32 v85, 0x3fb8aa3b, v85
	s_delay_alu instid0(VALU_DEP_3) | instskip(NEXT) | instid1(TRANS32_DEP_2)
	v_exp_f32_e32 v84, v84
	v_cndmask_b32_e64 v95, 0, v95, s11
	s_delay_alu instid0(VALU_DEP_2) | instskip(NEXT) | instid1(VALU_DEP_2)
	v_exp_f32_e32 v86, v86
	v_exp_f32_e32 v85, v85
	s_delay_alu instid0(TRANS32_DEP_3)
	v_cndmask_b32_e64 v98, 0, v84, s12
	v_mul_f32_e32 v84, 0x3fb8aa3b, v99
	v_fma_f32 v99, s19, v128, -v81
	v_add_f32_e32 v82, v82, v93
	s_waitcnt_depctr 0xfff
	v_cndmask_b32_e64 v100, 0, v85, s15
	v_exp_f32_e32 v84, v84
	v_dual_mul_f32 v85, 0x3fb8aa3b, v99 :: v_dual_add_f32 v82, v82, v96
	v_cndmask_b32_e64 v99, 0, v86, s16
	s_delay_alu instid0(VALU_DEP_2) | instskip(NEXT) | instid1(VALU_DEP_2)
	v_exp_f32_e32 v85, v85
	v_add_f32_e32 v82, v82, v95
	s_waitcnt_depctr 0xfff
	v_cndmask_b32_e64 v102, 0, v84, s17
	v_add_f32_e32 v82, v82, v98
	v_cndmask_b32_e64 v101, 0, v85, s18
	s_delay_alu instid0(VALU_DEP_2) | instskip(NEXT) | instid1(VALU_DEP_1)
	v_add_f32_e32 v82, v82, v97
	v_add_f32_e32 v82, v82, v100
	s_delay_alu instid0(VALU_DEP_1) | instskip(NEXT) | instid1(VALU_DEP_1)
	v_add_f32_e32 v82, v82, v99
	v_add_f32_e32 v82, v82, v102
	s_delay_alu instid0(VALU_DEP_1)
	v_add_f32_e32 v82, v82, v101
	ds_bpermute_b32 v83, v83, v82
	v_cmpx_gt_u32_e32 16, v80
	s_cbranch_execz .LBB185_14
; %bb.13:
	v_mul_u32_u24_e32 v80, 0x44, v79
	s_waitcnt lgkmcnt(0)
	v_add_f32_e32 v82, v82, v83
	s_delay_alu instid0(VALU_DEP_2) | instskip(NEXT) | instid1(VALU_DEP_1)
	v_lshl_add_u32 v80, v77, 2, v80
	v_add_nc_u32_e32 v80, 0x4000, v80
	ds_store_2addr_b32 v80, v81, v82 offset1:136
.LBB185_14:
	s_or_b32 exec_lo, exec_lo, s3
	v_lshlrev_b32_e32 v80, 2, v77
	s_load_b32 s35, s[0:1], 0x94
	s_waitcnt lgkmcnt(0)
	s_barrier
	buffer_gl0_inv
	v_add_nc_u32_e32 v84, 0x4000, v80
	v_cmp_eq_u32_e32 vcc_lo, 1, v79
	v_cmp_eq_u32_e64 s3, 2, v79
	v_cmp_eq_u32_e64 s4, 3, v79
	;; [unrolled: 1-line block ×3, first 2 shown]
	ds_load_2addr_b32 v[80:81], v84 offset1:17
	ds_load_2addr_b32 v[82:83], v84 offset0:34 offset1:51
	ds_load_2addr_b32 v[103:104], v84 offset0:68 offset1:85
	;; [unrolled: 1-line block ×3, first 2 shown]
	v_cmp_eq_u32_e64 s6, 7, v79
	s_waitcnt lgkmcnt(3)
	v_max3_f32 v85, v80, 0xff7fffff, v81
	s_waitcnt lgkmcnt(2)
	s_delay_alu instid0(VALU_DEP_1) | instskip(SKIP_1) | instid1(VALU_DEP_1)
	v_max3_f32 v85, v85, v82, v83
	s_waitcnt lgkmcnt(1)
	v_max3_f32 v85, v85, v103, v104
	s_waitcnt lgkmcnt(0)
	s_delay_alu instid0(VALU_DEP_1) | instskip(NEXT) | instid1(VALU_DEP_1)
	v_max3_f32 v85, v85, v105, v106
	v_sub_f32_e32 v103, v103, v85
	ds_load_2addr_b32 v[107:108], v84 offset0:136 offset1:153
	v_sub_f32_e32 v80, v80, v85
	v_dual_sub_f32 v110, v83, v85 :: v_dual_mul_f32 v113, 0x3fb8aa3b, v103
	s_delay_alu instid0(VALU_DEP_2) | instskip(SKIP_3) | instid1(VALU_DEP_1)
	v_dual_sub_f32 v86, v81, v85 :: v_dual_mul_f32 v109, 0x3fb8aa3b, v80
	ds_load_2addr_b32 v[80:81], v84 offset0:170 offset1:187
	v_mul_f32_e32 v86, 0x3fb8aa3b, v86
	v_exp_f32_e32 v109, v109
	v_exp_f32_e32 v112, v86
	v_mul_f32_e32 v110, 0x3fb8aa3b, v110
	s_waitcnt lgkmcnt(1)
	s_waitcnt_depctr 0xfff
	v_fma_f32 v86, v109, v107, 0
	v_sub_f32_e32 v107, v104, v85
	v_sub_f32_e32 v82, v82, v85
	v_exp_f32_e32 v110, v110
	ds_load_2addr_b32 v[103:104], v84 offset0:238 offset1:255
	v_dual_fmac_f32 v86, v112, v108 :: v_dual_mul_f32 v111, 0x3fb8aa3b, v82
	ds_load_2addr_b32 v[82:83], v84 offset0:204 offset1:221
	v_dual_sub_f32 v84, v105, v85 :: v_dual_mul_f32 v105, 0x3fb8aa3b, v107
	v_exp_f32_e32 v107, v113
	v_exp_f32_e32 v111, v111
	s_waitcnt lgkmcnt(0)
	s_delay_alu instid0(VALU_DEP_1)
	v_mul_f32_e32 v84, 0x3fb8aa3b, v84
	v_exp_f32_e32 v105, v105
	s_barrier
	buffer_gl0_inv
	v_fmac_f32_e32 v86, v111, v80
	v_sub_f32_e32 v80, v106, v85
	v_exp_f32_e32 v106, v84
	s_delay_alu instid0(VALU_DEP_2) | instskip(NEXT) | instid1(VALU_DEP_2)
	v_fmac_f32_e32 v86, v110, v81
	v_mul_f32_e32 v80, 0x3fb8aa3b, v80
	s_delay_alu instid0(VALU_DEP_2) | instskip(NEXT) | instid1(VALU_DEP_2)
	v_dual_cndmask_b32 v81, v109, v112 :: v_dual_fmac_f32 v86, v107, v82
	v_exp_f32_e32 v108, v80
	s_delay_alu instid0(VALU_DEP_1) | instskip(SKIP_2) | instid1(VALU_DEP_1)
	v_fmac_f32_e32 v86, v105, v83
	s_waitcnt_depctr 0xfff
	v_fmac_f32_e32 v86, v106, v103
	v_fmac_f32_e32 v86, v108, v104
	s_delay_alu instid0(VALU_DEP_1) | instskip(NEXT) | instid1(VALU_DEP_1)
	v_add_f32_e32 v103, 0x358637bd, v86
	v_div_scale_f32 v104, null, v103, v103, 1.0
	v_div_scale_f32 v109, vcc_lo, 1.0, v103, 1.0
	s_delay_alu instid0(VALU_DEP_2) | instskip(SKIP_2) | instid1(VALU_DEP_1)
	v_rcp_f32_e32 v113, v104
	s_waitcnt_depctr 0xfff
	v_fma_f32 v80, -v104, v113, 1.0
	v_fmac_f32_e32 v113, v80, v113
	v_cndmask_b32_e64 v80, v81, v111, s3
	v_cmp_eq_u32_e64 s3, 4, v79
	v_lshl_or_b32 v81, v79, 11, v78
	s_delay_alu instid0(VALU_DEP_4) | instskip(NEXT) | instid1(VALU_DEP_4)
	v_mul_f32_e32 v111, v109, v113
	v_cndmask_b32_e64 v82, v80, v110, s4
	v_cmp_eq_u32_e64 s4, 6, v79
	s_delay_alu instid0(VALU_DEP_4) | instskip(SKIP_3) | instid1(VALU_DEP_3)
	v_lshl_or_b32 v79, v75, 4, v81
	v_lshlrev_b32_e32 v80, 2, v75
	v_fma_f32 v83, -v104, v111, v109
	v_cndmask_b32_e64 v84, v82, v107, s3
	v_or_b32_e32 v82, 1, v80
	s_delay_alu instid0(VALU_DEP_3) | instskip(NEXT) | instid1(VALU_DEP_3)
	v_fmac_f32_e32 v111, v83, v113
	v_cndmask_b32_e64 v105, v84, v105, s5
	v_or_b32_e32 v84, 2, v80
	v_or_b32_e32 v83, 3, v80
	v_cmp_eq_u32_e64 s3, 1, v80
	v_fma_f32 v104, -v104, v111, v109
	v_cndmask_b32_e64 v105, v105, v106, s4
	v_cmp_eq_u32_e64 s9, 1, v82
	v_cmp_eq_u32_e64 s10, 1, v84
	v_cmp_eq_u32_e64 s11, 1, v83
	v_div_fmas_f32 v104, v104, v113, v111
	v_cndmask_b32_e64 v105, v105, v108, s6
	v_cmp_eq_u32_e32 vcc_lo, 2, v80
	v_cmp_eq_u32_e64 s12, 2, v82
	v_cmp_eq_u32_e64 s15, 2, v84
	v_div_fixup_f32 v103, v104, v103, 1.0
	v_cmp_eq_u32_e64 s16, 2, v83
	v_cmp_eq_u32_e64 s18, 3, v83
	;; [unrolled: 1-line block ×4, first 2 shown]
	v_mul_f32_e32 v111, v105, v103
	v_cmp_eq_u32_e64 s17, 3, v84
	v_cmp_eq_u32_e64 s22, 4, v83
	;; [unrolled: 1-line block ×4, first 2 shown]
	v_fma_mixlo_f16 v103, v111, v88, 0
	v_fma_mixlo_f16 v104, v111, v90, 0
	;; [unrolled: 1-line block ×8, first 2 shown]
	v_fma_mixhi_f16 v103, v111, v87, 0
	v_fma_mixhi_f16 v104, v111, v89, 0
	;; [unrolled: 1-line block ×8, first 2 shown]
	ds_store_b128 v79, v[103:106]
	ds_store_b128 v79, v[107:110] offset:1024
	s_waitcnt lgkmcnt(0)
	s_barrier
	buffer_gl0_inv
	ds_load_b128 v[87:90], v81
	ds_load_b128 v[91:94], v81 offset:16
	ds_load_b128 v[95:98], v81 offset:1024
	;; [unrolled: 1-line block ×3, first 2 shown]
	v_cmp_eq_u32_e64 s21, 4, v84
	v_cmp_eq_u32_e64 s24, 5, v83
	;; [unrolled: 1-line block ×13, first 2 shown]
	s_waitcnt lgkmcnt(3)
	v_lshrrev_b32_e32 v103, 16, v87
	s_waitcnt lgkmcnt(2)
	v_lshrrev_b32_e32 v107, 16, v91
	;; [unrolled: 2-line block ×4, first 2 shown]
	v_lshrrev_b32_e32 v104, 16, v88
	v_cndmask_b32_e64 v119, v87, v103, s3
	v_cndmask_b32_e64 v120, v91, v107, s3
	;; [unrolled: 1-line block ×8, first 2 shown]
	v_lshrrev_b32_e32 v108, 16, v92
	v_cndmask_b32_e64 v103, v95, v111, s3
	v_cndmask_b32_e64 v107, v99, v115, s3
	;; [unrolled: 1-line block ×5, first 2 shown]
	v_cndmask_b32_e32 v111, v119, v88, vcc_lo
	v_cndmask_b32_e64 v119, v121, v88, s12
	v_cndmask_b32_e64 v121, v123, v88, s15
	;; [unrolled: 1-line block ×4, first 2 shown]
	v_lshrrev_b32_e32 v112, 16, v96
	v_lshrrev_b32_e32 v116, 16, v100
	v_cndmask_b32_e64 v126, v99, v115, s9
	v_cndmask_b32_e64 v128, v99, v115, s10
	;; [unrolled: 1-line block ×3, first 2 shown]
	v_cndmask_b32_e32 v115, v120, v92, vcc_lo
	v_cndmask_b32_e64 v120, v122, v92, s12
	v_cndmask_b32_e64 v122, v124, v92, s15
	v_cndmask_b32_e32 v91, v103, v96, vcc_lo
	v_cndmask_b32_e32 v92, v107, v100, vcc_lo
	v_cndmask_b32_e64 v103, v125, v96, s12
	v_cndmask_b32_e64 v87, v87, v104, s18
	;; [unrolled: 1-line block ×3, first 2 shown]
	v_lshrrev_b32_e32 v105, 16, v89
	v_lshrrev_b32_e32 v109, 16, v93
	v_cndmask_b32_e64 v107, v127, v96, s15
	v_cndmask_b32_e64 v95, v95, v96, s16
	;; [unrolled: 1-line block ×14, first 2 shown]
	v_lshrrev_b32_e32 v113, 16, v97
	v_cndmask_b32_e64 v99, v99, v89, s5
	v_cndmask_b32_e64 v104, v111, v93, s5
	;; [unrolled: 1-line block ×11, first 2 shown]
	v_lshrrev_b32_e32 v106, 16, v90
	v_lshrrev_b32_e32 v110, 16, v94
	v_cndmask_b32_e64 v93, v99, v105, s6
	v_cndmask_b32_e64 v99, v104, v109, s6
	;; [unrolled: 1-line block ×9, first 2 shown]
	v_lshrrev_b32_e32 v114, 16, v98
	v_cndmask_b32_e64 v89, v89, v113, s6
	v_cndmask_b32_e64 v93, v93, v90, s7
	;; [unrolled: 1-line block ×19, first 2 shown]
	v_perm_b32 v90, v88, v87, 0x5040100
	v_cndmask_b32_e64 v87, v126, v100, s12
	v_cndmask_b32_e64 v105, v89, v114, s8
	v_perm_b32 v89, v103, v99, 0x5040100
	v_perm_b32 v88, v104, v94, 0x5040100
	v_cndmask_b32_e64 v94, v107, v112, s17
	v_cndmask_b32_e64 v95, v95, v112, s18
	;; [unrolled: 1-line block ×5, first 2 shown]
	v_lshrrev_b32_e32 v117, 16, v101
	v_cndmask_b32_e64 v94, v94, v97, s21
	v_cndmask_b32_e64 v95, v95, v97, s22
	;; [unrolled: 1-line block ×11, first 2 shown]
	v_lshrrev_b32_e32 v118, 16, v102
	v_cndmask_b32_e64 v91, v91, v102, s7
	v_cndmask_b32_e64 v94, v94, v98, s26
	;; [unrolled: 1-line block ×12, first 2 shown]
	v_perm_b32 v87, v93, v92, 0x5040100
	v_perm_b32 v94, v95, v94, 0x5040100
	;; [unrolled: 1-line block ×5, first 2 shown]
	s_mul_i32 s7, s33, 12
	s_mov_b32 s3, exec_lo
	ds_store_b128 v79, v[87:90]
	ds_store_b128 v79, v[91:94] offset:1024
	v_cmpx_gt_u32_e32 12, v0
	s_cbranch_execz .LBB185_16
; %bb.15:
	s_mul_i32 s4, s7, s34
	s_load_b128 s[8:11], s[0:1], 0x58
	v_add3_u32 v77, s4, s31, v77
	s_delay_alu instid0(VALU_DEP_1) | instskip(NEXT) | instid1(VALU_DEP_1)
	v_mad_u64_u32 v[87:88], null, v77, s35, s[14:15]
	v_ashrrev_i32_e32 v88, 31, v87
	s_delay_alu instid0(VALU_DEP_1) | instskip(SKIP_1) | instid1(VALU_DEP_1)
	v_lshlrev_b64 v[87:88], 2, v[87:88]
	s_waitcnt lgkmcnt(0)
	v_add_co_u32 v89, vcc_lo, s10, v87
	s_delay_alu instid0(VALU_DEP_2)
	v_add_co_ci_u32_e32 v90, vcc_lo, s11, v88, vcc_lo
	v_add_co_u32 v87, vcc_lo, s8, v87
	v_add_co_ci_u32_e32 v88, vcc_lo, s9, v88, vcc_lo
	global_store_b32 v[89:90], v85, off
	global_store_b32 v[87:88], v86, off
.LBB185_16:
	s_or_b32 exec_lo, exec_lo, s3
	s_waitcnt lgkmcnt(0)
	s_waitcnt_vscnt null, 0x0
	s_barrier
	buffer_gl0_inv
	ds_load_b128 v[93:96], v78
	ds_load_b128 v[97:100], v78 offset:16
	ds_load_b128 v[105:108], v78 offset:1040
	;; [unrolled: 1-line block ×5, first 2 shown]
	v_cmp_eq_u32_e32 vcc_lo, 1, v84
	v_mov_b32_e32 v85, 0
	ds_load_b128 v[121:124], v78 offset:3088
	ds_load_b128 v[117:120], v78 offset:3072
	;; [unrolled: 1-line block ×4, first 2 shown]
	v_cmp_eq_u32_e64 s3, 1, v80
	v_cmp_eq_u32_e64 s4, 1, v83
	;; [unrolled: 1-line block ×3, first 2 shown]
	v_mov_b32_e32 v86, v85
	v_mov_b32_e32 v87, v85
	;; [unrolled: 1-line block ×7, first 2 shown]
	v_cmp_eq_u32_e64 s6, 2, v80
	s_waitcnt lgkmcnt(8)
	s_delay_alu instid0(VALU_DEP_2)
	v_wmma_f32_16x16x16_f16 v[85:92], v[65:72], v[93:100], v[85:92]
	ds_load_b128 v[69:72], v78 offset:5136
	ds_load_b128 v[65:68], v78 offset:5120
	ds_load_b128 v[97:100], v78 offset:6160
	ds_load_b128 v[93:96], v78 offset:6144
	s_waitcnt lgkmcnt(10)
	v_wmma_f32_16x16x16_f16 v[85:92], v[57:64], v[101:108], v[85:92]
	s_waitcnt lgkmcnt(8)
	s_delay_alu instid0(VALU_DEP_1)
	v_wmma_f32_16x16x16_f16 v[85:92], v[57:64], v[109:116], v[85:92]
	ds_load_b128 v[61:64], v78 offset:7184
	ds_load_b128 v[57:60], v78 offset:7168
	;; [unrolled: 1-line block ×4, first 2 shown]
	s_waitcnt lgkmcnt(10)
	v_wmma_f32_16x16x16_f16 v[85:92], v[49:56], v[117:124], v[85:92]
	s_waitcnt lgkmcnt(8)
	s_delay_alu instid0(VALU_DEP_1)
	v_wmma_f32_16x16x16_f16 v[85:92], v[49:56], v[125:132], v[85:92]
	ds_load_b128 v[53:56], v78 offset:9232
	ds_load_b128 v[49:52], v78 offset:9216
	s_waitcnt lgkmcnt(8)
	v_wmma_f32_16x16x16_f16 v[85:92], v[41:48], v[65:72], v[85:92]
	ds_load_b128 v[69:72], v78 offset:10256
	ds_load_b128 v[65:68], v78 offset:10240
	s_waitcnt lgkmcnt(8)
	;; [unrolled: 4-line block ×7, first 2 shown]
	s_barrier
	buffer_gl0_inv
	v_wmma_f32_16x16x16_f16 v[85:92], v[33:40], v[41:48], v[85:92]
	s_delay_alu instid0(VALU_DEP_1) | instskip(NEXT) | instid1(VALU_DEP_1)
	v_wmma_f32_16x16x16_f16 v[85:92], v[33:40], v[57:64], v[85:92]
	v_wmma_f32_16x16x16_f16 v[85:92], v[25:32], v[9:16], v[85:92]
	s_delay_alu instid0(VALU_DEP_1) | instskip(NEXT) | instid1(VALU_DEP_1)
	v_wmma_f32_16x16x16_f16 v[85:92], v[25:32], v[49:56], v[85:92]
	v_wmma_f32_16x16x16_f16 v[85:92], v[17:24], v[1:8], v[85:92]
	s_delay_alu instid0(VALU_DEP_1) | instskip(NEXT) | instid1(VALU_DEP_2)
	v_cvt_f16_f32_e32 v1, v85
	v_cvt_f16_f32_e32 v2, v86
	s_delay_alu instid0(VALU_DEP_3) | instskip(NEXT) | instid1(VALU_DEP_4)
	v_cvt_f16_f32_e32 v3, v87
	v_cvt_f16_f32_e32 v4, v88
	;; [unrolled: 1-line block ×6, first 2 shown]
	v_pack_b32_f16 v1, v1, v2
	v_pack_b32_f16 v2, v3, v4
	;; [unrolled: 1-line block ×3, first 2 shown]
	s_delay_alu instid0(VALU_DEP_4)
	v_pack_b32_f16 v4, v7, v8
	ds_store_b128 v79, v[1:4]
	s_waitcnt lgkmcnt(0)
	s_barrier
	buffer_gl0_inv
	ds_load_b128 v[1:4], v81
	ds_load_b128 v[5:8], v81 offset:16
	s_waitcnt lgkmcnt(1)
	v_lshrrev_b32_e32 v9, 16, v1
	s_waitcnt lgkmcnt(0)
	v_lshrrev_b32_e32 v13, 16, v5
	v_lshrrev_b32_e32 v15, 16, v7
	;; [unrolled: 1-line block ×4, first 2 shown]
	v_cndmask_b32_e64 v17, v1, v9, s3
	v_cndmask_b32_e64 v18, v5, v13, s3
	;; [unrolled: 1-line block ×3, first 2 shown]
	v_cmp_eq_u32_e64 s3, 2, v82
	v_cndmask_b32_e64 v20, v5, v13, s5
	v_cndmask_b32_e32 v21, v1, v9, vcc_lo
	v_cndmask_b32_e32 v22, v5, v13, vcc_lo
	v_cndmask_b32_e64 v1, v1, v9, s4
	v_cndmask_b32_e64 v5, v5, v13, s4
	v_cmp_eq_u32_e32 vcc_lo, 2, v84
	v_cmp_eq_u32_e64 s4, 2, v83
	v_cndmask_b32_e64 v9, v17, v2, s6
	v_cndmask_b32_e64 v13, v18, v6, s6
	;; [unrolled: 1-line block ×4, first 2 shown]
	v_cndmask_b32_e32 v19, v21, v2, vcc_lo
	v_cmp_eq_u32_e64 s3, 3, v84
	v_cndmask_b32_e32 v20, v22, v6, vcc_lo
	v_cndmask_b32_e64 v1, v1, v2, s4
	v_cmp_eq_u32_e32 vcc_lo, 3, v83
	v_cmp_eq_u32_e64 s5, 3, v80
	v_cndmask_b32_e64 v2, v5, v6, s4
	v_cmp_eq_u32_e64 s4, 3, v82
	v_lshrrev_b32_e32 v16, 16, v8
	v_cmp_eq_u32_e64 s6, 4, v80
	v_cndmask_b32_e64 v5, v9, v10, s5
	v_cndmask_b32_e64 v6, v13, v14, s5
	;; [unrolled: 1-line block ×3, first 2 shown]
	v_cmp_eq_u32_e64 s5, 4, v82
	v_cndmask_b32_e64 v13, v18, v14, s4
	v_cndmask_b32_e64 v17, v19, v10, s3
	;; [unrolled: 1-line block ×3, first 2 shown]
	v_cndmask_b32_e32 v1, v1, v10, vcc_lo
	v_cndmask_b32_e32 v2, v2, v14, vcc_lo
	v_cmp_eq_u32_e32 vcc_lo, 4, v84
	v_cmp_eq_u32_e64 s4, 4, v83
	v_lshrrev_b32_e32 v11, 16, v3
	v_cndmask_b32_e64 v5, v5, v3, s6
	v_cndmask_b32_e64 v6, v6, v7, s6
	;; [unrolled: 1-line block ×4, first 2 shown]
	v_cndmask_b32_e32 v13, v17, v3, vcc_lo
	v_cmp_eq_u32_e64 s3, 5, v84
	v_cndmask_b32_e32 v14, v18, v7, vcc_lo
	v_cndmask_b32_e64 v1, v1, v3, s4
	v_cmp_eq_u32_e32 vcc_lo, 5, v83
	v_cmp_eq_u32_e64 s5, 5, v80
	v_cndmask_b32_e64 v2, v2, v7, s4
	v_cmp_eq_u32_e64 s4, 5, v82
	v_cmp_eq_u32_e64 s6, 6, v80
	v_cndmask_b32_e32 v1, v1, v11, vcc_lo
	v_cndmask_b32_e64 v3, v5, v11, s5
	v_cndmask_b32_e64 v5, v6, v15, s5
	;; [unrolled: 1-line block ×3, first 2 shown]
	v_cmp_eq_u32_e64 s5, 6, v82
	v_cndmask_b32_e64 v7, v10, v15, s4
	v_cndmask_b32_e64 v9, v13, v11, s3
	;; [unrolled: 1-line block ×3, first 2 shown]
	v_cndmask_b32_e32 v2, v2, v15, vcc_lo
	v_cmp_eq_u32_e32 vcc_lo, 6, v84
	v_cmp_eq_u32_e64 s3, 6, v83
	v_lshrrev_b32_e32 v12, 16, v4
	v_cndmask_b32_e64 v3, v3, v4, s6
	v_cndmask_b32_e64 v5, v5, v8, s6
	;; [unrolled: 1-line block ×4, first 2 shown]
	v_cndmask_b32_e32 v9, v9, v4, vcc_lo
	v_cmp_eq_u32_e64 s4, 7, v84
	v_cndmask_b32_e32 v10, v10, v8, vcc_lo
	v_cndmask_b32_e64 v1, v1, v4, s3
	v_cmp_eq_u32_e32 vcc_lo, 7, v83
	v_cndmask_b32_e64 v2, v2, v8, s3
	v_cmp_eq_u32_e64 s3, 7, v80
	v_cmp_eq_u32_e64 s5, 7, v82
	v_cndmask_b32_e32 v1, v1, v12, vcc_lo
	s_delay_alu instid0(VALU_DEP_4) | instskip(NEXT) | instid1(VALU_DEP_4)
	v_cndmask_b32_e32 v2, v2, v16, vcc_lo
	v_cndmask_b32_e64 v8, v3, v12, s3
	s_delay_alu instid0(VALU_DEP_4)
	v_cndmask_b32_e64 v6, v6, v12, s5
	v_cndmask_b32_e64 v3, v9, v12, s4
	;; [unrolled: 1-line block ×5, first 2 shown]
	v_cmp_gt_u32_e32 vcc_lo, 32, v0
	v_perm_b32 v4, v2, v1, 0x5040100
	v_perm_b32 v3, v9, v3, 0x5040100
	;; [unrolled: 1-line block ×4, first 2 shown]
	s_and_b32 s2, vcc_lo, s2
	ds_store_b128 v79, v[1:4]
	s_waitcnt lgkmcnt(0)
	s_barrier
	buffer_gl0_inv
	s_and_saveexec_b32 s3, s2
	s_cbranch_execz .LBB185_2
; %bb.17:
	s_load_b64 s[0:1], s[0:1], 0x68
	v_lshlrev_b32_e32 v0, 10, v0
	s_lshl_b32 s4, s35, 6
	v_or_b32_e32 v3, s31, v75
	s_mul_i32 s2, s4, s34
	v_lshlrev_b32_e32 v1, 4, v76
	s_mul_i32 s2, s2, s7
	v_lshlrev_b32_e32 v2, 6, v75
	v_and_b32_e32 v0, 0x3800, v0
	s_ashr_i32 s3, s2, 31
	v_mul_lo_u32 v4, v3, s4
	s_lshl_b64 s[2:3], s[2:3], 1
	s_delay_alu instid0(VALU_DEP_2) | instskip(NEXT) | instid1(VALU_DEP_2)
	v_or3_b32 v16, v0, v1, v2
	v_ashrrev_i32_e32 v5, 31, v4
	ds_load_b128 v[0:3], v16
	s_waitcnt lgkmcnt(0)
	s_add_u32 s2, s0, s2
	s_addc_u32 s3, s1, s3
	s_lshl_b32 s0, s14, 6
	v_lshlrev_b64 v[5:6], 1, v[4:5]
	s_ashr_i32 s1, s0, 31
	s_delay_alu instid0(SALU_CYCLE_1) | instskip(NEXT) | instid1(SALU_CYCLE_1)
	s_lshl_b64 s[0:1], s[0:1], 1
	s_add_u32 s0, s2, s0
	s_addc_u32 s1, s3, s1
	s_lshl_b32 s2, s35, 7
	v_add_co_u32 v30, vcc_lo, s0, v73
	v_add_nc_u32_e32 v8, s2, v4
	v_add_co_ci_u32_e32 v31, vcc_lo, s1, v74, vcc_lo
	s_delay_alu instid0(VALU_DEP_3) | instskip(NEXT) | instid1(VALU_DEP_3)
	v_add_co_u32 v12, vcc_lo, v30, v5
	v_add_nc_u32_e32 v10, s2, v8
	v_ashrrev_i32_e32 v9, 31, v8
	s_delay_alu instid0(VALU_DEP_4)
	v_add_co_ci_u32_e32 v13, vcc_lo, v31, v6, vcc_lo
	ds_load_b128 v[4:7], v16 offset:128
	v_ashrrev_i32_e32 v11, 31, v10
	v_lshlrev_b64 v[8:9], 1, v[8:9]
	v_add_nc_u32_e32 v14, s2, v10
	global_store_b128 v[12:13], v[0:3], off
	v_lshlrev_b64 v[0:1], 1, v[10:11]
	v_ashrrev_i32_e32 v15, 31, v14
	v_add_co_u32 v22, vcc_lo, v30, v8
	v_add_nc_u32_e32 v20, s2, v14
	v_add_co_ci_u32_e32 v23, vcc_lo, v31, v9, vcc_lo
	v_add_co_u32 v26, vcc_lo, v30, v0
	v_lshlrev_b64 v[24:25], 1, v[14:15]
	v_add_co_ci_u32_e32 v27, vcc_lo, v31, v1, vcc_lo
	ds_load_b128 v[0:3], v16 offset:256
	ds_load_b128 v[8:11], v16 offset:384
	;; [unrolled: 1-line block ×4, first 2 shown]
	v_add_nc_u32_e32 v28, s2, v20
	v_ashrrev_i32_e32 v21, 31, v20
	v_add_co_u32 v24, vcc_lo, v30, v24
	v_add_co_ci_u32_e32 v25, vcc_lo, v31, v25, vcc_lo
	s_delay_alu instid0(VALU_DEP_4) | instskip(NEXT) | instid1(VALU_DEP_4)
	v_ashrrev_i32_e32 v29, 31, v28
	v_lshlrev_b64 v[20:21], 1, v[20:21]
	s_delay_alu instid0(VALU_DEP_2) | instskip(NEXT) | instid1(VALU_DEP_2)
	v_lshlrev_b64 v[28:29], 1, v[28:29]
	v_add_co_u32 v20, vcc_lo, v30, v20
	s_delay_alu instid0(VALU_DEP_3) | instskip(NEXT) | instid1(VALU_DEP_3)
	v_add_co_ci_u32_e32 v21, vcc_lo, v31, v21, vcc_lo
	v_add_co_u32 v28, vcc_lo, v30, v28
	s_delay_alu instid0(VALU_DEP_4)
	v_add_co_ci_u32_e32 v29, vcc_lo, v31, v29, vcc_lo
	s_waitcnt lgkmcnt(4)
	global_store_b128 v[22:23], v[4:7], off
	s_waitcnt lgkmcnt(3)
	global_store_b128 v[26:27], v[0:3], off
	;; [unrolled: 2-line block ×5, first 2 shown]
	s_nop 0
	s_sendmsg sendmsg(MSG_DEALLOC_VGPRS)
	s_endpgm
	.section	.rodata,"a",@progbits
	.p2align	6, 0x0
	.amdhsa_kernel _Z39paged_attention_ll4mi_QKV_mfma16_kernelIDF16_DF16_LN4vllm18Fp8KVCacheDataTypeE0EDF16_Li32ELi64ELi256ELb0ELi12EL8MFMAType0EEvPKT_PKT0_S8_ifPKiSA_SA_iPKfiiiPfSD_PS3_PT2_iSC_SC_
		.amdhsa_group_segment_fixed_size 17472
		.amdhsa_private_segment_fixed_size 0
		.amdhsa_kernarg_size 400
		.amdhsa_user_sgpr_count 13
		.amdhsa_user_sgpr_dispatch_ptr 0
		.amdhsa_user_sgpr_queue_ptr 0
		.amdhsa_user_sgpr_kernarg_segment_ptr 1
		.amdhsa_user_sgpr_dispatch_id 0
		.amdhsa_user_sgpr_private_segment_size 0
		.amdhsa_wavefront_size32 1
		.amdhsa_uses_dynamic_stack 0
		.amdhsa_enable_private_segment 0
		.amdhsa_system_sgpr_workgroup_id_x 1
		.amdhsa_system_sgpr_workgroup_id_y 1
		.amdhsa_system_sgpr_workgroup_id_z 1
		.amdhsa_system_sgpr_workgroup_info 0
		.amdhsa_system_vgpr_workitem_id 0
		.amdhsa_next_free_vgpr 154
		.amdhsa_next_free_sgpr 39
		.amdhsa_reserve_vcc 1
		.amdhsa_float_round_mode_32 0
		.amdhsa_float_round_mode_16_64 0
		.amdhsa_float_denorm_mode_32 3
		.amdhsa_float_denorm_mode_16_64 3
		.amdhsa_dx10_clamp 1
		.amdhsa_ieee_mode 1
		.amdhsa_fp16_overflow 0
		.amdhsa_workgroup_processor_mode 1
		.amdhsa_memory_ordered 1
		.amdhsa_forward_progress 0
		.amdhsa_shared_vgpr_count 0
		.amdhsa_exception_fp_ieee_invalid_op 0
		.amdhsa_exception_fp_denorm_src 0
		.amdhsa_exception_fp_ieee_div_zero 0
		.amdhsa_exception_fp_ieee_overflow 0
		.amdhsa_exception_fp_ieee_underflow 0
		.amdhsa_exception_fp_ieee_inexact 0
		.amdhsa_exception_int_div_zero 0
	.end_amdhsa_kernel
	.section	.text._Z39paged_attention_ll4mi_QKV_mfma16_kernelIDF16_DF16_LN4vllm18Fp8KVCacheDataTypeE0EDF16_Li32ELi64ELi256ELb0ELi12EL8MFMAType0EEvPKT_PKT0_S8_ifPKiSA_SA_iPKfiiiPfSD_PS3_PT2_iSC_SC_,"axG",@progbits,_Z39paged_attention_ll4mi_QKV_mfma16_kernelIDF16_DF16_LN4vllm18Fp8KVCacheDataTypeE0EDF16_Li32ELi64ELi256ELb0ELi12EL8MFMAType0EEvPKT_PKT0_S8_ifPKiSA_SA_iPKfiiiPfSD_PS3_PT2_iSC_SC_,comdat
.Lfunc_end185:
	.size	_Z39paged_attention_ll4mi_QKV_mfma16_kernelIDF16_DF16_LN4vllm18Fp8KVCacheDataTypeE0EDF16_Li32ELi64ELi256ELb0ELi12EL8MFMAType0EEvPKT_PKT0_S8_ifPKiSA_SA_iPKfiiiPfSD_PS3_PT2_iSC_SC_, .Lfunc_end185-_Z39paged_attention_ll4mi_QKV_mfma16_kernelIDF16_DF16_LN4vllm18Fp8KVCacheDataTypeE0EDF16_Li32ELi64ELi256ELb0ELi12EL8MFMAType0EEvPKT_PKT0_S8_ifPKiSA_SA_iPKfiiiPfSD_PS3_PT2_iSC_SC_
                                        ; -- End function
	.section	.AMDGPU.csdata,"",@progbits
; Kernel info:
; codeLenInByte = 7312
; NumSgprs: 41
; NumVgprs: 154
; ScratchSize: 0
; MemoryBound: 0
; FloatMode: 240
; IeeeMode: 1
; LDSByteSize: 17472 bytes/workgroup (compile time only)
; SGPRBlocks: 5
; VGPRBlocks: 19
; NumSGPRsForWavesPerEU: 41
; NumVGPRsForWavesPerEU: 154
; Occupancy: 9
; WaveLimiterHint : 1
; COMPUTE_PGM_RSRC2:SCRATCH_EN: 0
; COMPUTE_PGM_RSRC2:USER_SGPR: 13
; COMPUTE_PGM_RSRC2:TRAP_HANDLER: 0
; COMPUTE_PGM_RSRC2:TGID_X_EN: 1
; COMPUTE_PGM_RSRC2:TGID_Y_EN: 1
; COMPUTE_PGM_RSRC2:TGID_Z_EN: 1
; COMPUTE_PGM_RSRC2:TIDIG_COMP_CNT: 0
	.section	.text._Z39paged_attention_ll4mi_QKV_mfma16_kernelIDF16_DF16_LN4vllm18Fp8KVCacheDataTypeE0EDF16_Li32ELi64ELi256ELb0ELi13EL8MFMAType0EEvPKT_PKT0_S8_ifPKiSA_SA_iPKfiiiPfSD_PS3_PT2_iSC_SC_,"axG",@progbits,_Z39paged_attention_ll4mi_QKV_mfma16_kernelIDF16_DF16_LN4vllm18Fp8KVCacheDataTypeE0EDF16_Li32ELi64ELi256ELb0ELi13EL8MFMAType0EEvPKT_PKT0_S8_ifPKiSA_SA_iPKfiiiPfSD_PS3_PT2_iSC_SC_,comdat
	.protected	_Z39paged_attention_ll4mi_QKV_mfma16_kernelIDF16_DF16_LN4vllm18Fp8KVCacheDataTypeE0EDF16_Li32ELi64ELi256ELb0ELi13EL8MFMAType0EEvPKT_PKT0_S8_ifPKiSA_SA_iPKfiiiPfSD_PS3_PT2_iSC_SC_ ; -- Begin function _Z39paged_attention_ll4mi_QKV_mfma16_kernelIDF16_DF16_LN4vllm18Fp8KVCacheDataTypeE0EDF16_Li32ELi64ELi256ELb0ELi13EL8MFMAType0EEvPKT_PKT0_S8_ifPKiSA_SA_iPKfiiiPfSD_PS3_PT2_iSC_SC_
	.globl	_Z39paged_attention_ll4mi_QKV_mfma16_kernelIDF16_DF16_LN4vllm18Fp8KVCacheDataTypeE0EDF16_Li32ELi64ELi256ELb0ELi13EL8MFMAType0EEvPKT_PKT0_S8_ifPKiSA_SA_iPKfiiiPfSD_PS3_PT2_iSC_SC_
	.p2align	8
	.type	_Z39paged_attention_ll4mi_QKV_mfma16_kernelIDF16_DF16_LN4vllm18Fp8KVCacheDataTypeE0EDF16_Li32ELi64ELi256ELb0ELi13EL8MFMAType0EEvPKT_PKT0_S8_ifPKiSA_SA_iPKfiiiPfSD_PS3_PT2_iSC_SC_,@function
_Z39paged_attention_ll4mi_QKV_mfma16_kernelIDF16_DF16_LN4vllm18Fp8KVCacheDataTypeE0EDF16_Li32ELi64ELi256ELb0ELi13EL8MFMAType0EEvPKT_PKT0_S8_ifPKiSA_SA_iPKfiiiPfSD_PS3_PT2_iSC_SC_: ; @_Z39paged_attention_ll4mi_QKV_mfma16_kernelIDF16_DF16_LN4vllm18Fp8KVCacheDataTypeE0EDF16_Li32ELi64ELi256ELb0ELi13EL8MFMAType0EEvPKT_PKT0_S8_ifPKiSA_SA_iPKfiiiPfSD_PS3_PT2_iSC_SC_
; %bb.0:
	s_load_b64 s[2:3], s[0:1], 0x30
	s_mov_b32 s34, s13
	s_waitcnt lgkmcnt(0)
	s_cmp_lg_u64 s[2:3], 0
	s_cselect_b32 s6, -1, 0
	s_ashr_i32 s35, s13, 31
	s_cmp_eq_u64 s[2:3], 0
	s_cbranch_scc1 .LBB186_3
; %bb.1:
	s_lshl_b64 s[4:5], s[34:35], 2
	s_delay_alu instid0(SALU_CYCLE_1) | instskip(SKIP_4) | instid1(SALU_CYCLE_1)
	s_add_u32 s4, s2, s4
	s_addc_u32 s5, s3, s5
	s_load_b64 s[4:5], s[4:5], 0x0
	s_waitcnt lgkmcnt(0)
	s_sub_i32 s4, s5, s4
	s_cmp_eq_u32 s4, 1
	s_cselect_b32 s4, -1, 0
	s_delay_alu instid0(SALU_CYCLE_1)
	s_and_not1_b32 vcc_lo, exec_lo, s4
	s_cbranch_vccz .LBB186_4
.LBB186_2:
	s_nop 0
	s_sendmsg sendmsg(MSG_DEALLOC_VGPRS)
	s_endpgm
.LBB186_3:
.LBB186_4:
	s_load_b64 s[8:9], s[0:1], 0x28
	s_lshl_b64 s[4:5], s[34:35], 2
	s_waitcnt lgkmcnt(0)
	s_add_u32 s8, s8, s4
	s_addc_u32 s9, s9, s5
	s_lshl_b32 s16, s14, 8
	s_load_b32 s18, s[8:9], 0x0
	s_waitcnt lgkmcnt(0)
	s_cmp_ge_i32 s16, s18
	s_cbranch_scc1 .LBB186_2
; %bb.5:
	s_and_not1_b32 vcc_lo, exec_lo, s6
	s_cbranch_vccnz .LBB186_7
; %bb.6:
	s_add_u32 s2, s2, s4
	s_addc_u32 s3, s3, s5
	s_load_b32 s17, s[2:3], 0x0
	s_branch .LBB186_8
.LBB186_7:
	s_mov_b32 s17, s34
.LBB186_8:
	s_clause 0x2
	s_load_b128 s[8:11], s[0:1], 0x8
	s_load_b64 s[12:13], s[0:1], 0x20
	s_load_b128 s[4:7], s[0:1], 0x48
	v_lshrrev_b32_e32 v78, 5, v0
	v_bfe_u32 v75, v0, 4, 1
	v_and_b32_e32 v77, 15, v0
	s_delay_alu instid0(VALU_DEP_2) | instskip(NEXT) | instid1(VALU_DEP_2)
	v_lshl_or_b32 v3, v78, 1, v75
	v_cmp_lt_u32_e64 s3, 7, v77
	v_lshlrev_b32_e32 v1, 3, v77
	v_cmp_gt_u32_e64 s2, 8, v77
	s_delay_alu instid0(VALU_DEP_4) | instskip(NEXT) | instid1(VALU_DEP_4)
	v_cmp_lt_u32_e32 vcc_lo, 12, v3
	s_or_b32 s3, s3, vcc_lo
	s_waitcnt lgkmcnt(0)
	s_and_saveexec_b32 s7, s3
	s_delay_alu instid0(SALU_CYCLE_1)
	s_xor_b32 s3, exec_lo, s7
; %bb.9:
	v_mov_b32_e32 v2, 0
                                        ; implicit-def: $vgpr3
; %bb.10:
	s_or_saveexec_b32 s3, s3
	v_and_b32_e32 v80, 31, v0
	v_and_b32_e32 v76, 1, v0
	s_mul_i32 s33, s15, 13
	s_xor_b32 exec_lo, exec_lo, s3
	s_cbranch_execz .LBB186_12
; %bb.11:
	s_load_b64 s[20:21], s[0:1], 0x0
	v_add_lshl_u32 v4, v3, s33, 6
	s_mul_hi_i32 s23, s17, s4
	s_mul_i32 s22, s17, s4
	v_lshlrev_b32_e32 v2, 1, v1
	s_lshl_b64 s[22:23], s[22:23], 1
	v_ashrrev_i32_e32 v5, 31, v4
	v_lshlrev_b32_e32 v3, 6, v3
	v_lshlrev_b32_e32 v8, 10, v76
	s_delay_alu instid0(VALU_DEP_3) | instskip(SKIP_3) | instid1(VALU_DEP_1)
	v_lshlrev_b64 v[4:5], 1, v[4:5]
	s_waitcnt lgkmcnt(0)
	s_add_u32 s4, s20, s22
	s_addc_u32 s7, s21, s23
	v_add_co_u32 v4, vcc_lo, s4, v4
	s_delay_alu instid0(VALU_DEP_2) | instskip(NEXT) | instid1(VALU_DEP_2)
	v_add_co_ci_u32_e32 v5, vcc_lo, s7, v5, vcc_lo
	v_add_co_u32 v4, vcc_lo, v4, v2
	s_delay_alu instid0(VALU_DEP_2) | instskip(SKIP_3) | instid1(VALU_DEP_1)
	v_add_co_ci_u32_e32 v5, vcc_lo, 0, v5, vcc_lo
	v_lshlrev_b32_e32 v2, 10, v77
	global_load_b128 v[4:7], v[4:5], off
	v_and_b32_e32 v2, 0x3800, v2
	v_or3_b32 v3, v2, v8, v3
	v_mov_b32_e32 v2, 0
	s_waitcnt vmcnt(0)
	ds_store_b128 v3, v[4:7]
.LBB186_12:
	s_or_b32 exec_lo, exec_lo, s3
	v_and_b32_e32 v3, 0xef, v0
	s_add_i32 s3, s18, 31
	s_clause 0x1
	s_load_b32 s4, s[0:1], 0x38
	s_load_b32 s35, s[0:1], 0x98
	s_ashr_i32 s7, s3, 31
	v_add_nc_u32_e32 v3, s16, v3
	s_lshr_b32 s7, s7, 27
	s_load_b32 s19, s[0:1], 0x1c
	s_add_i32 s3, s3, s7
	s_waitcnt lgkmcnt(0)
	v_ashrrev_i32_e32 v4, 31, v3
	v_cmp_gt_i32_e32 vcc_lo, s18, v3
	s_ashr_i32 s3, s3, 5
	s_barrier
	s_add_i32 s3, s3, -1
	v_lshrrev_b32_e32 v5, 27, v4
	v_or_b32_e32 v4, 16, v3
	buffer_gl0_inv
	s_mul_i32 s6, s15, s6
	v_lshlrev_b64 v[73:74], 1, v[1:2]
	v_add_nc_u32_e32 v6, v3, v5
	v_add_nc_u32_e32 v5, v4, v5
	s_mul_i32 s20, s34, s4
	s_delay_alu instid0(SALU_CYCLE_1) | instskip(NEXT) | instid1(VALU_DEP_2)
	s_ashr_i32 s21, s20, 31
	v_ashrrev_i32_e32 v6, 5, v6
	s_delay_alu instid0(VALU_DEP_2) | instskip(SKIP_1) | instid1(SALU_CYCLE_1)
	v_ashrrev_i32_e32 v5, 5, v5
	s_lshl_b64 s[20:21], s[20:21], 2
	s_add_u32 s4, s12, s20
	s_delay_alu instid0(VALU_DEP_2) | instskip(SKIP_3) | instid1(SALU_CYCLE_1)
	v_cndmask_b32_e32 v3, s3, v6, vcc_lo
	v_cmp_gt_i32_e32 vcc_lo, s18, v4
	s_addc_u32 s17, s13, s21
	s_ashr_i32 s7, s6, 31
	s_lshl_b64 s[6:7], s[6:7], 1
	v_cndmask_b32_e32 v5, s3, v5, vcc_lo
	v_ashrrev_i32_e32 v4, 31, v3
	s_add_u32 s15, s8, s6
	s_addc_u32 s28, s9, s7
	s_lshl_b32 s8, s14, 3
	v_ashrrev_i32_e32 v6, 31, v5
	v_lshlrev_b64 v[3:4], 2, v[3:4]
	s_ashr_i32 s9, s8, 31
	s_delay_alu instid0(SALU_CYCLE_1) | instskip(NEXT) | instid1(VALU_DEP_2)
	s_lshl_b64 s[8:9], s[8:9], 2
	v_lshlrev_b64 v[5:6], 2, v[5:6]
	s_add_u32 s8, s4, s8
	s_delay_alu instid0(VALU_DEP_2) | instskip(SKIP_1) | instid1(VALU_DEP_3)
	v_add_co_u32 v3, vcc_lo, s4, v3
	v_add_co_ci_u32_e32 v4, vcc_lo, s17, v4, vcc_lo
	v_add_co_u32 v5, vcc_lo, s4, v5
	s_delay_alu instid0(VALU_DEP_4)
	v_add_co_ci_u32_e32 v6, vcc_lo, s17, v6, vcc_lo
	s_addc_u32 s9, s17, s9
	s_clause 0x1
	global_load_b32 v7, v[3:4], off
	global_load_b32 v8, v[5:6], off
	s_or_b32 s12, s16, 32
	s_delay_alu instid0(SALU_CYCLE_1) | instskip(SKIP_2) | instid1(SALU_CYCLE_1)
	s_ashr_i32 s13, s12, 5
	s_cmp_lt_i32 s12, s18
	s_cselect_b32 s12, s13, s3
	s_ashr_i32 s13, s12, 31
	s_delay_alu instid0(SALU_CYCLE_1) | instskip(NEXT) | instid1(SALU_CYCLE_1)
	s_lshl_b64 s[12:13], s[12:13], 2
	s_add_u32 s12, s4, s12
	s_addc_u32 s13, s17, s13
	s_or_b32 s20, s16, 64
	s_delay_alu instid0(SALU_CYCLE_1) | instskip(SKIP_2) | instid1(SALU_CYCLE_1)
	s_ashr_i32 s21, s20, 5
	s_cmp_lt_i32 s20, s18
	s_cselect_b32 s20, s21, s3
	s_ashr_i32 s21, s20, 31
	s_delay_alu instid0(SALU_CYCLE_1) | instskip(NEXT) | instid1(SALU_CYCLE_1)
	s_lshl_b64 s[20:21], s[20:21], 2
	s_add_u32 s20, s4, s20
	s_addc_u32 s21, s17, s21
	;; [unrolled: 10-line block ×5, first 2 shown]
	s_clause 0x5
	s_load_b32 s29, s[8:9], 0x0
	s_load_b32 s30, s[12:13], 0x0
	s_load_b32 s31, s[20:21], 0x0
	s_load_b32 s36, s[22:23], 0x0
	s_load_b32 s37, s[24:25], 0x0
	s_load_b32 s38, s[26:27], 0x0
	s_mov_b32 s20, 0
	s_or_b32 s8, s16, 0xc0
	s_mov_b32 s21, s20
	s_mov_b32 s22, s20
	;; [unrolled: 1-line block ×7, first 2 shown]
	s_ashr_i32 s9, s8, 5
	v_mov_b32_e32 v128, s27
	s_cmp_lt_i32 s8, s18
	v_mov_b32_e32 v127, s26
	s_cselect_b32 s8, s9, s3
	v_mov_b32_e32 v126, s25
	s_ashr_i32 s9, s8, 31
	v_mov_b32_e32 v125, s24
	s_lshl_b64 s[8:9], s[8:9], 2
	v_mov_b32_e32 v124, s23
	s_add_u32 s8, s4, s8
	s_addc_u32 s9, s17, s9
	v_mov_b32_e32 v123, s22
	v_mov_b32_e32 v121, s20
	s_waitcnt lgkmcnt(0)
	s_mul_hi_i32 s13, s29, s5
	s_mul_i32 s12, s29, s5
	v_mov_b32_e32 v122, s21
	s_mul_hi_i32 s21, s30, s5
	s_mul_i32 s20, s30, s5
	s_mul_hi_i32 s25, s31, s5
	s_mul_i32 s24, s31, s5
	;; [unrolled: 2-line block ×4, first 2 shown]
	s_waitcnt vmcnt(1)
	v_mad_i64_i32 v[3:4], null, v7, s5, 0
	s_waitcnt vmcnt(0)
	v_mad_i64_i32 v[5:6], null, v8, s5, 0
	s_delay_alu instid0(VALU_DEP_2) | instskip(NEXT) | instid1(VALU_DEP_2)
	v_lshlrev_b64 v[3:4], 1, v[3:4]
	v_lshlrev_b64 v[1:2], 1, v[5:6]
	s_delay_alu instid0(VALU_DEP_2) | instskip(NEXT) | instid1(VALU_DEP_3)
	v_add_co_u32 v3, vcc_lo, s15, v3
	v_add_co_ci_u32_e32 v4, vcc_lo, s28, v4, vcc_lo
	s_delay_alu instid0(VALU_DEP_3) | instskip(NEXT) | instid1(VALU_DEP_4)
	v_add_co_u32 v1, vcc_lo, s15, v1
	v_add_co_ci_u32_e32 v2, vcc_lo, s28, v2, vcc_lo
	s_delay_alu instid0(VALU_DEP_4) | instskip(NEXT) | instid1(VALU_DEP_4)
	v_add_co_u32 v25, vcc_lo, v3, v73
	v_add_co_ci_u32_e32 v26, vcc_lo, v4, v74, vcc_lo
	s_delay_alu instid0(VALU_DEP_4) | instskip(NEXT) | instid1(VALU_DEP_4)
	v_add_co_u32 v27, vcc_lo, v1, v73
	v_add_co_ci_u32_e32 v28, vcc_lo, v2, v74, vcc_lo
	s_clause 0xf
	global_load_b128 v[1:4], v[25:26], off
	global_load_b128 v[5:8], v[25:26], off offset:512
	global_load_b128 v[9:12], v[27:28], off offset:256
	;; [unrolled: 1-line block ×15, first 2 shown]
	v_add_nc_u32_e32 v25, -13, v77
	v_cmp_gt_u32_e32 vcc_lo, 13, v77
	s_or_b32 s15, s16, 0xe0
	s_delay_alu instid0(SALU_CYCLE_1) | instskip(SKIP_3) | instid1(SALU_CYCLE_1)
	s_ashr_i32 s22, s15, 5
	s_cmp_lt_i32 s15, s18
	v_cndmask_b32_e32 v25, v25, v77, vcc_lo
	s_cselect_b32 s22, s22, s3
	s_ashr_i32 s23, s22, 31
	s_delay_alu instid0(VALU_DEP_1)
	v_lshlrev_b32_e32 v151, 6, v25
	ds_load_b128 v[25:28], v151
	ds_load_b128 v[29:32], v151 offset:1024
	ds_load_b128 v[129:132], v151 offset:2048
	;; [unrolled: 1-line block ×3, first 2 shown]
	s_lshl_b64 s[22:23], s[22:23], 2
	s_delay_alu instid0(SALU_CYCLE_1) | instskip(SKIP_2) | instid1(SALU_CYCLE_1)
	s_add_u32 s22, s4, s22
	s_addc_u32 s23, s17, s23
	s_add_i32 s15, s16, 0x100
	s_ashr_i32 s28, s15, 5
	s_cmp_lt_i32 s15, s18
	s_load_b32 s15, s[8:9], 0x0
	s_cselect_b32 s28, s28, s3
	s_mul_hi_i32 s9, s37, s5
	s_ashr_i32 s29, s28, 31
	s_mul_i32 s8, s37, s5
	s_lshl_b64 s[28:29], s[28:29], 2
	s_delay_alu instid0(SALU_CYCLE_1)
	s_add_u32 s28, s4, s28
	s_addc_u32 s29, s17, s29
	s_add_u32 s3, s10, s6
	s_clause 0x1
	s_load_b32 s4, s[22:23], 0x0
	s_load_b32 s17, s[28:29], 0x0
	s_addc_u32 s28, s11, s7
	s_lshl_b64 s[6:7], s[12:13], 1
	s_lshl_b64 s[10:11], s[20:21], 1
	;; [unrolled: 1-line block ×6, first 2 shown]
	s_waitcnt lgkmcnt(0)
	s_mul_hi_i32 s25, s15, s5
	s_mul_i32 s24, s15, s5
	s_delay_alu instid0(SALU_CYCLE_1)
	s_lshl_b64 s[24:25], s[24:25], 1
	s_waitcnt vmcnt(14)
	v_wmma_f32_16x16x16_f16 v[137:144], v[1:8], v[25:32], v[121:128]
	s_waitcnt vmcnt(12)
	v_wmma_f32_16x16x16_f16 v[121:128], v[9:16], v[25:32], v[121:128]
	s_waitcnt vmcnt(10)
	s_delay_alu instid0(VALU_DEP_2) | instskip(SKIP_1) | instid1(VALU_DEP_2)
	v_wmma_f32_16x16x16_f16 v[137:144], v[17:24], v[129:136], v[137:144]
	s_waitcnt vmcnt(8)
	v_wmma_f32_16x16x16_f16 v[121:128], v[81:88], v[129:136], v[121:128]
	v_mbcnt_lo_u32_b32 v130, -1, 0
	s_delay_alu instid0(VALU_DEP_1) | instskip(SKIP_1) | instid1(VALU_DEP_1)
	v_xor_b32_e32 v131, 16, v130
	v_lshlrev_b32_e32 v79, 6, v77
	v_lshl_or_b32 v33, v78, 10, v79
	s_delay_alu instid0(VALU_DEP_1) | instskip(NEXT) | instid1(VALU_DEP_1)
	v_add_co_u32 v152, s3, s3, v33
	v_add_co_ci_u32_e64 v153, null, s28, 0, s3
	s_delay_alu instid0(VALU_DEP_2) | instskip(NEXT) | instid1(VALU_DEP_2)
	v_add_co_u32 v33, vcc_lo, v152, s6
	v_add_co_ci_u32_e32 v34, vcc_lo, s7, v153, vcc_lo
	v_add_co_u32 v35, vcc_lo, v152, s10
	v_add_co_ci_u32_e32 v36, vcc_lo, s11, v153, vcc_lo
	;; [unrolled: 2-line block ×6, first 2 shown]
	s_mul_hi_i32 s7, s4, s5
	s_mul_i32 s6, s4, s5
	v_add_co_u32 v149, vcc_lo, v152, s24
	s_lshl_b64 s[6:7], s[6:7], 1
	v_add_co_ci_u32_e32 v150, vcc_lo, s25, v153, vcc_lo
	v_add_co_u32 v29, vcc_lo, v152, s6
	v_add_co_ci_u32_e32 v30, vcc_lo, s7, v153, vcc_lo
	s_mul_hi_i32 s7, s17, s5
	s_mul_i32 s6, s17, s5
	s_clause 0x7
	global_load_b128 v[65:68], v[33:34], off
	global_load_b128 v[69:72], v[33:34], off offset:16
	global_load_b128 v[57:60], v[35:36], off
	global_load_b128 v[61:64], v[35:36], off offset:16
	;; [unrolled: 2-line block ×4, first 2 shown]
	s_lshl_b64 s[4:5], s[6:7], 1
	s_clause 0x1
	global_load_b128 v[9:12], v[145:146], off
	global_load_b128 v[13:16], v[145:146], off offset:16
	v_add_co_u32 v21, vcc_lo, v152, s4
	v_add_co_ci_u32_e32 v22, vcc_lo, s5, v153, vcc_lo
	s_clause 0x7
	global_load_b128 v[1:4], v[147:148], off
	global_load_b128 v[5:8], v[147:148], off offset:16
	global_load_b128 v[33:36], v[149:150], off
	global_load_b128 v[37:40], v[149:150], off offset:16
	;; [unrolled: 2-line block ×4, first 2 shown]
	ds_load_b128 v[81:84], v151 offset:4096
	ds_load_b128 v[85:88], v151 offset:5120
	v_cmp_gt_i32_e32 vcc_lo, 32, v131
	v_cndmask_b32_e32 v130, v130, v131, vcc_lo
	s_waitcnt vmcnt(24) lgkmcnt(0)
	v_wmma_f32_16x16x16_f16 v[137:144], v[89:96], v[81:88], v[137:144]
	ds_load_b128 v[89:92], v151 offset:6144
	ds_load_b128 v[93:96], v151 offset:7168
	s_waitcnt vmcnt(22)
	v_wmma_f32_16x16x16_f16 v[121:128], v[97:104], v[81:88], v[121:128]
	s_waitcnt vmcnt(0) lgkmcnt(0)
	s_barrier
	buffer_gl0_inv
	v_wmma_f32_16x16x16_f16 v[121:128], v[113:120], v[89:96], v[121:128]
	v_and_b32_e32 v129, 0xe0, v0
	v_wmma_f32_16x16x16_f16 v[137:144], v[105:112], v[89:96], v[137:144]
	s_delay_alu instid0(VALU_DEP_2) | instskip(NEXT) | instid1(VALU_DEP_2)
	v_dual_mul_f32 v104, s19, v126 :: v_dual_add_nc_u32 v129, s16, v129
	v_dual_mul_f32 v106, s19, v124 :: v_dual_mul_f32 v95, s19, v138
	s_delay_alu instid0(VALU_DEP_3) | instskip(NEXT) | instid1(VALU_DEP_3)
	v_dual_mul_f32 v96, s19, v137 :: v_dual_mul_f32 v93, s19, v140
	v_or_b32_e32 v129, v129, v75
	v_dual_mul_f32 v94, s19, v139 :: v_dual_mul_f32 v91, s19, v142
	v_dual_mul_f32 v92, s19, v141 :: v_dual_mul_f32 v89, s19, v144
	v_mul_f32_e32 v108, s19, v122
	s_delay_alu instid0(VALU_DEP_4)
	v_or_b32_e32 v131, 2, v129
	v_or_b32_e32 v132, 4, v129
	v_or_b32_e32 v81, 6, v129
	v_cmp_gt_i32_e32 vcc_lo, s18, v129
	v_or_b32_e32 v82, 8, v129
	v_cmp_gt_i32_e64 s3, s18, v131
	v_or_b32_e32 v83, 10, v129
	v_cmp_gt_i32_e64 s4, s18, v132
	v_cndmask_b32_e32 v96, 0xff7fffff, v96, vcc_lo
	v_cmp_gt_i32_e64 s5, s18, v81
	v_cndmask_b32_e64 v95, 0xff7fffff, v95, s3
	v_or_b32_e32 v84, 12, v129
	v_or_b32_e32 v85, 14, v129
	v_cndmask_b32_e64 v94, 0xff7fffff, v94, s4
	v_cndmask_b32_e64 v81, 0xff7fffff, v93, s5
	v_max3_f32 v93, v96, 0xff7fffff, v95
	v_cmp_gt_i32_e64 s6, s18, v82
	v_cmp_gt_i32_e64 s7, s18, v83
	v_or_b32_e32 v86, 16, v129
	v_or_b32_e32 v87, 18, v129
	v_mul_f32_e32 v90, s19, v143
	v_cndmask_b32_e64 v82, 0xff7fffff, v92, s6
	v_cndmask_b32_e64 v83, 0xff7fffff, v91, s7
	v_max3_f32 v81, v93, v94, v81
	v_cmp_gt_i32_e64 s8, s18, v84
	v_cmp_gt_i32_e64 s9, s18, v85
	v_or_b32_e32 v88, 20, v129
	v_or_b32_e32 v97, 22, v129
	v_mul_f32_e32 v109, s19, v121
	;; [unrolled: 8-line block ×4, first 2 shown]
	v_cndmask_b32_e64 v84, 0xff7fffff, v107, s12
	v_cndmask_b32_e64 v85, 0xff7fffff, v106, s13
	v_max3_f32 v81, v81, v82, v83
	v_cmp_gt_i32_e64 s15, s18, v98
	v_cmp_gt_i32_e64 s16, s18, v99
	v_dual_mul_f32 v102, s19, v128 :: v_dual_mul_f32 v103, s19, v127
	s_delay_alu instid0(VALU_DEP_4) | instskip(NEXT) | instid1(VALU_DEP_4)
	v_max3_f32 v81, v81, v84, v85
	v_cndmask_b32_e64 v82, 0xff7fffff, v105, s15
	s_delay_alu instid0(VALU_DEP_4) | instskip(SKIP_2) | instid1(VALU_DEP_3)
	v_cndmask_b32_e64 v83, 0xff7fffff, v104, s16
	v_cmp_gt_i32_e64 s17, s18, v100
	v_cmp_gt_i32_e64 s18, s18, v101
	v_max3_f32 v81, v81, v82, v83
	s_delay_alu instid0(VALU_DEP_3) | instskip(NEXT) | instid1(VALU_DEP_3)
	v_cndmask_b32_e64 v84, 0xff7fffff, v103, s17
	v_cndmask_b32_e64 v85, 0xff7fffff, v102, s18
	v_lshlrev_b32_e32 v83, 2, v130
	s_delay_alu instid0(VALU_DEP_2) | instskip(SKIP_3) | instid1(VALU_DEP_1)
	v_max3_f32 v81, v81, v84, v85
	ds_bpermute_b32 v82, v83, v81
	s_waitcnt lgkmcnt(0)
	v_max_f32_e32 v82, v82, v82
	v_max_f32_e32 v81, v81, v82
	s_delay_alu instid0(VALU_DEP_1)
	v_fma_f32 v82, s19, v137, -v81
	v_fma_f32 v84, s19, v138, -v81
	;; [unrolled: 1-line block ×5, first 2 shown]
	v_mul_f32_e32 v82, 0x3fb8aa3b, v82
	s_delay_alu instid0(VALU_DEP_4) | instskip(NEXT) | instid1(VALU_DEP_3)
	v_dual_mul_f32 v84, 0x3fb8aa3b, v84 :: v_dual_mul_f32 v85, 0x3fb8aa3b, v85
	v_dual_mul_f32 v86, 0x3fb8aa3b, v86 :: v_dual_mul_f32 v89, 0x3fb8aa3b, v87
	s_delay_alu instid0(VALU_DEP_3) | instskip(NEXT) | instid1(VALU_DEP_2)
	v_exp_f32_e32 v82, v82
	v_exp_f32_e32 v84, v84
	s_delay_alu instid0(VALU_DEP_2) | instskip(NEXT) | instid1(VALU_DEP_1)
	v_exp_f32_e32 v85, v85
	v_exp_f32_e32 v86, v86
	;; [unrolled: 1-line block ×3, first 2 shown]
	v_cndmask_b32_e32 v88, 0, v82, vcc_lo
	v_cndmask_b32_e64 v87, 0, v84, s3
	s_delay_alu instid0(TRANS32_DEP_3)
	v_cndmask_b32_e64 v90, 0, v85, s4
	s_waitcnt_depctr 0xfff
	v_cndmask_b32_e64 v89, 0, v86, s5
	v_cndmask_b32_e64 v92, 0, v92, s6
	v_add_f32_e32 v84, 0, v88
	v_cmp_gt_u32_e64 s3, 16, v80
	s_delay_alu instid0(VALU_DEP_2) | instskip(NEXT) | instid1(VALU_DEP_1)
	v_add_f32_e32 v84, v84, v87
	v_add_f32_e32 v84, v84, v90
	s_delay_alu instid0(VALU_DEP_1)
	v_add_f32_e32 v84, v84, v89
	v_fma_f32 v82, s19, v142, -v81
	v_fma_f32 v91, s19, v143, -v81
	;; [unrolled: 1-line block ×5, first 2 shown]
	s_delay_alu instid0(VALU_DEP_4) | instskip(SKIP_1) | instid1(VALU_DEP_4)
	v_dual_mul_f32 v82, 0x3fb8aa3b, v82 :: v_dual_mul_f32 v91, 0x3fb8aa3b, v91
	v_fma_f32 v96, s19, v124, -v81
	v_mul_f32_e32 v86, 0x3fb8aa3b, v86
	s_delay_alu instid0(VALU_DEP_4) | instskip(NEXT) | instid1(VALU_DEP_4)
	v_mul_f32_e32 v95, 0x3fb8aa3b, v94
	v_exp_f32_e32 v82, v82
	v_exp_f32_e32 v93, v91
	v_mul_f32_e32 v97, 0x3fb8aa3b, v96
	v_exp_f32_e32 v86, v86
	v_fma_f32 v99, s19, v127, -v81
	s_delay_alu instid0(VALU_DEP_2) | instskip(SKIP_2) | instid1(TRANS32_DEP_3)
	v_exp_f32_e32 v97, v97
	v_cndmask_b32_e64 v91, 0, v82, s7
	v_dual_add_f32 v82, v84, v92 :: v_dual_mul_f32 v85, 0x3fb8aa3b, v85
	v_cndmask_b32_e64 v94, 0, v93, s8
	v_fma_f32 v84, s19, v123, -v81
	s_delay_alu instid0(TRANS32_DEP_2) | instskip(NEXT) | instid1(VALU_DEP_4)
	v_cndmask_b32_e64 v96, 0, v86, s10
	v_add_f32_e32 v82, v82, v91
	v_exp_f32_e32 v85, v85
	v_fma_f32 v86, s19, v126, -v81
	v_mul_f32_e32 v84, 0x3fb8aa3b, v84
	v_cndmask_b32_e64 v97, 0, v97, s13
	v_add_f32_e32 v82, v82, v94
	s_delay_alu instid0(VALU_DEP_3) | instskip(SKIP_3) | instid1(VALU_DEP_2)
	v_exp_f32_e32 v84, v84
	s_waitcnt_depctr 0xfff
	v_cndmask_b32_e64 v93, 0, v85, s9
	v_fma_f32 v85, s19, v125, -v81
	v_add_f32_e32 v82, v82, v93
	v_exp_f32_e32 v95, v95
	s_delay_alu instid0(VALU_DEP_2)
	v_mul_f32_e32 v85, 0x3fb8aa3b, v85
	v_cndmask_b32_e64 v98, 0, v84, s12
	v_mul_f32_e32 v84, 0x3fb8aa3b, v99
	v_add_f32_e32 v82, v82, v96
	v_fma_f32 v99, s19, v128, -v81
	v_exp_f32_e32 v85, v85
	v_mul_f32_e32 v86, 0x3fb8aa3b, v86
	v_exp_f32_e32 v84, v84
	s_delay_alu instid0(TRANS32_DEP_3) | instskip(NEXT) | instid1(VALU_DEP_1)
	v_cndmask_b32_e64 v95, 0, v95, s11
	v_add_f32_e32 v82, v82, v95
	s_waitcnt_depctr 0xfff
	v_cndmask_b32_e64 v100, 0, v85, s15
	v_mul_f32_e32 v85, 0x3fb8aa3b, v99
	v_exp_f32_e32 v86, v86
	v_cndmask_b32_e64 v102, 0, v84, s17
	v_add_f32_e32 v82, v82, v98
	s_delay_alu instid0(VALU_DEP_3) | instskip(NEXT) | instid1(VALU_DEP_1)
	v_exp_f32_e32 v85, v85
	v_add_f32_e32 v82, v82, v97
	s_waitcnt_depctr 0xfff
	v_cndmask_b32_e64 v99, 0, v86, s16
	v_add_f32_e32 v82, v82, v100
	v_cndmask_b32_e64 v101, 0, v85, s18
	s_delay_alu instid0(VALU_DEP_2) | instskip(NEXT) | instid1(VALU_DEP_1)
	v_add_f32_e32 v82, v82, v99
	v_add_f32_e32 v82, v82, v102
	s_delay_alu instid0(VALU_DEP_1)
	v_add_f32_e32 v82, v82, v101
	ds_bpermute_b32 v83, v83, v82
	s_and_saveexec_b32 s4, s3
	s_cbranch_execz .LBB186_14
; %bb.13:
	v_mul_u32_u24_e32 v80, 0x44, v78
	s_waitcnt lgkmcnt(0)
	v_add_f32_e32 v82, v82, v83
	s_delay_alu instid0(VALU_DEP_2) | instskip(NEXT) | instid1(VALU_DEP_1)
	v_lshl_add_u32 v80, v77, 2, v80
	v_add_nc_u32_e32 v80, 0x4000, v80
	ds_store_2addr_b32 v80, v81, v82 offset1:136
.LBB186_14:
	s_or_b32 exec_lo, exec_lo, s4
	v_lshlrev_b32_e32 v80, 2, v77
	s_load_b32 s36, s[0:1], 0x94
	s_waitcnt lgkmcnt(0)
	s_barrier
	buffer_gl0_inv
	v_add_nc_u32_e32 v84, 0x4000, v80
	v_cmp_eq_u32_e32 vcc_lo, 1, v78
	v_cmp_eq_u32_e64 s4, 2, v78
	v_cmp_eq_u32_e64 s5, 3, v78
	;; [unrolled: 1-line block ×3, first 2 shown]
	ds_load_2addr_b32 v[80:81], v84 offset1:17
	ds_load_2addr_b32 v[82:83], v84 offset0:34 offset1:51
	ds_load_2addr_b32 v[103:104], v84 offset0:68 offset1:85
	;; [unrolled: 1-line block ×3, first 2 shown]
	v_cmp_eq_u32_e64 s7, 7, v78
	s_waitcnt lgkmcnt(3)
	v_max3_f32 v85, v80, 0xff7fffff, v81
	s_waitcnt lgkmcnt(2)
	s_delay_alu instid0(VALU_DEP_1) | instskip(SKIP_1) | instid1(VALU_DEP_1)
	v_max3_f32 v85, v85, v82, v83
	s_waitcnt lgkmcnt(1)
	v_max3_f32 v85, v85, v103, v104
	s_waitcnt lgkmcnt(0)
	s_delay_alu instid0(VALU_DEP_1) | instskip(NEXT) | instid1(VALU_DEP_1)
	v_max3_f32 v85, v85, v105, v106
	v_sub_f32_e32 v103, v103, v85
	ds_load_2addr_b32 v[107:108], v84 offset0:136 offset1:153
	v_sub_f32_e32 v80, v80, v85
	v_dual_sub_f32 v110, v83, v85 :: v_dual_mul_f32 v113, 0x3fb8aa3b, v103
	s_delay_alu instid0(VALU_DEP_2) | instskip(SKIP_3) | instid1(VALU_DEP_1)
	v_dual_sub_f32 v86, v81, v85 :: v_dual_mul_f32 v109, 0x3fb8aa3b, v80
	ds_load_2addr_b32 v[80:81], v84 offset0:170 offset1:187
	v_mul_f32_e32 v86, 0x3fb8aa3b, v86
	v_exp_f32_e32 v109, v109
	v_exp_f32_e32 v112, v86
	v_mul_f32_e32 v110, 0x3fb8aa3b, v110
	s_waitcnt lgkmcnt(1)
	s_waitcnt_depctr 0xfff
	v_fma_f32 v86, v109, v107, 0
	v_sub_f32_e32 v107, v104, v85
	v_sub_f32_e32 v82, v82, v85
	v_exp_f32_e32 v110, v110
	ds_load_2addr_b32 v[103:104], v84 offset0:238 offset1:255
	v_dual_fmac_f32 v86, v112, v108 :: v_dual_mul_f32 v111, 0x3fb8aa3b, v82
	ds_load_2addr_b32 v[82:83], v84 offset0:204 offset1:221
	v_dual_sub_f32 v84, v105, v85 :: v_dual_mul_f32 v105, 0x3fb8aa3b, v107
	v_exp_f32_e32 v107, v113
	v_exp_f32_e32 v111, v111
	s_waitcnt lgkmcnt(0)
	s_delay_alu instid0(VALU_DEP_1)
	v_mul_f32_e32 v84, 0x3fb8aa3b, v84
	v_exp_f32_e32 v105, v105
	s_barrier
	buffer_gl0_inv
	v_fmac_f32_e32 v86, v111, v80
	v_sub_f32_e32 v80, v106, v85
	v_exp_f32_e32 v106, v84
	s_delay_alu instid0(VALU_DEP_2) | instskip(NEXT) | instid1(VALU_DEP_2)
	v_fmac_f32_e32 v86, v110, v81
	v_mul_f32_e32 v80, 0x3fb8aa3b, v80
	s_delay_alu instid0(VALU_DEP_2) | instskip(NEXT) | instid1(VALU_DEP_2)
	v_dual_cndmask_b32 v81, v109, v112 :: v_dual_fmac_f32 v86, v107, v82
	v_exp_f32_e32 v108, v80
	s_delay_alu instid0(VALU_DEP_1) | instskip(SKIP_2) | instid1(VALU_DEP_1)
	v_fmac_f32_e32 v86, v105, v83
	s_waitcnt_depctr 0xfff
	v_fmac_f32_e32 v86, v106, v103
	v_fmac_f32_e32 v86, v108, v104
	s_delay_alu instid0(VALU_DEP_1) | instskip(NEXT) | instid1(VALU_DEP_1)
	v_add_f32_e32 v103, 0x358637bd, v86
	v_div_scale_f32 v104, null, v103, v103, 1.0
	v_div_scale_f32 v109, vcc_lo, 1.0, v103, 1.0
	s_delay_alu instid0(VALU_DEP_2) | instskip(SKIP_2) | instid1(VALU_DEP_1)
	v_rcp_f32_e32 v113, v104
	s_waitcnt_depctr 0xfff
	v_fma_f32 v80, -v104, v113, 1.0
	v_fmac_f32_e32 v113, v80, v113
	v_cndmask_b32_e64 v80, v81, v111, s4
	v_cmp_eq_u32_e64 s4, 4, v78
	v_lshl_or_b32 v81, v78, 11, v79
	s_delay_alu instid0(VALU_DEP_4) | instskip(NEXT) | instid1(VALU_DEP_4)
	v_mul_f32_e32 v111, v109, v113
	v_cndmask_b32_e64 v82, v80, v110, s5
	v_cmp_eq_u32_e64 s5, 6, v78
	s_delay_alu instid0(VALU_DEP_4) | instskip(SKIP_3) | instid1(VALU_DEP_3)
	v_lshl_or_b32 v78, v75, 4, v81
	v_lshlrev_b32_e32 v80, 2, v75
	v_fma_f32 v83, -v104, v111, v109
	v_cndmask_b32_e64 v84, v82, v107, s4
	v_or_b32_e32 v82, 1, v80
	s_delay_alu instid0(VALU_DEP_3) | instskip(NEXT) | instid1(VALU_DEP_3)
	v_fmac_f32_e32 v111, v83, v113
	v_cndmask_b32_e64 v105, v84, v105, s6
	v_or_b32_e32 v84, 2, v80
	v_or_b32_e32 v83, 3, v80
	v_cmp_eq_u32_e64 s4, 1, v80
	v_fma_f32 v104, -v104, v111, v109
	v_cndmask_b32_e64 v105, v105, v106, s5
	v_cmp_eq_u32_e64 s10, 1, v82
	v_cmp_eq_u32_e64 s11, 1, v84
	;; [unrolled: 1-line block ×3, first 2 shown]
	v_div_fmas_f32 v104, v104, v113, v111
	v_cndmask_b32_e64 v105, v105, v108, s7
	v_cmp_eq_u32_e32 vcc_lo, 2, v80
	v_cmp_eq_u32_e64 s13, 2, v82
	v_cmp_eq_u32_e64 s16, 2, v84
	v_div_fixup_f32 v103, v104, v103, 1.0
	v_cmp_eq_u32_e64 s17, 2, v83
	v_cmp_eq_u32_e64 s19, 3, v83
	v_cmp_eq_u32_e64 s5, 3, v80
	v_cmp_eq_u32_e64 s15, 3, v82
	v_mul_f32_e32 v111, v105, v103
	v_cmp_eq_u32_e64 s18, 3, v84
	v_cmp_eq_u32_e64 s23, 4, v83
	;; [unrolled: 1-line block ×4, first 2 shown]
	v_fma_mixlo_f16 v103, v111, v88, 0
	v_fma_mixlo_f16 v104, v111, v90, 0
	;; [unrolled: 1-line block ×8, first 2 shown]
	v_fma_mixhi_f16 v103, v111, v87, 0
	v_fma_mixhi_f16 v104, v111, v89, 0
	;; [unrolled: 1-line block ×8, first 2 shown]
	ds_store_b128 v78, v[103:106]
	ds_store_b128 v78, v[107:110] offset:1024
	s_waitcnt lgkmcnt(0)
	s_barrier
	buffer_gl0_inv
	ds_load_b128 v[87:90], v81
	ds_load_b128 v[91:94], v81 offset:16
	ds_load_b128 v[95:98], v81 offset:1024
	;; [unrolled: 1-line block ×3, first 2 shown]
	v_cmp_eq_u32_e64 s22, 4, v84
	v_cmp_eq_u32_e64 s25, 5, v83
	;; [unrolled: 1-line block ×13, first 2 shown]
	s_waitcnt lgkmcnt(3)
	v_lshrrev_b32_e32 v103, 16, v87
	s_waitcnt lgkmcnt(2)
	v_lshrrev_b32_e32 v107, 16, v91
	;; [unrolled: 2-line block ×4, first 2 shown]
	v_lshrrev_b32_e32 v104, 16, v88
	v_cndmask_b32_e64 v119, v87, v103, s4
	v_cndmask_b32_e64 v120, v91, v107, s4
	v_cndmask_b32_e64 v121, v87, v103, s10
	v_cndmask_b32_e64 v122, v91, v107, s10
	v_cndmask_b32_e64 v123, v87, v103, s11
	v_cndmask_b32_e64 v124, v91, v107, s11
	v_cndmask_b32_e64 v87, v87, v103, s12
	v_cndmask_b32_e64 v91, v91, v107, s12
	v_lshrrev_b32_e32 v108, 16, v92
	v_cndmask_b32_e64 v103, v95, v111, s4
	v_cndmask_b32_e64 v107, v99, v115, s4
	;; [unrolled: 1-line block ×5, first 2 shown]
	v_cndmask_b32_e32 v111, v119, v88, vcc_lo
	v_cndmask_b32_e64 v119, v121, v88, s13
	v_cndmask_b32_e64 v121, v123, v88, s16
	;; [unrolled: 1-line block ×4, first 2 shown]
	v_lshrrev_b32_e32 v112, 16, v96
	v_lshrrev_b32_e32 v116, 16, v100
	v_cndmask_b32_e64 v126, v99, v115, s10
	v_cndmask_b32_e64 v128, v99, v115, s11
	;; [unrolled: 1-line block ×3, first 2 shown]
	v_cndmask_b32_e32 v115, v120, v92, vcc_lo
	v_cndmask_b32_e64 v120, v122, v92, s13
	v_cndmask_b32_e64 v122, v124, v92, s16
	v_cndmask_b32_e32 v91, v103, v96, vcc_lo
	v_cndmask_b32_e32 v92, v107, v100, vcc_lo
	v_cndmask_b32_e64 v103, v125, v96, s13
	v_cndmask_b32_e64 v87, v87, v104, s19
	;; [unrolled: 1-line block ×3, first 2 shown]
	v_lshrrev_b32_e32 v105, 16, v89
	v_lshrrev_b32_e32 v109, 16, v93
	v_cndmask_b32_e64 v107, v127, v96, s16
	v_cndmask_b32_e64 v95, v95, v96, s17
	;; [unrolled: 1-line block ×14, first 2 shown]
	v_lshrrev_b32_e32 v113, 16, v97
	v_cndmask_b32_e64 v99, v99, v89, s6
	v_cndmask_b32_e64 v104, v111, v93, s6
	;; [unrolled: 1-line block ×11, first 2 shown]
	v_lshrrev_b32_e32 v106, 16, v90
	v_lshrrev_b32_e32 v110, 16, v94
	v_cndmask_b32_e64 v93, v99, v105, s7
	v_cndmask_b32_e64 v99, v104, v109, s7
	;; [unrolled: 1-line block ×9, first 2 shown]
	v_lshrrev_b32_e32 v114, 16, v98
	v_cndmask_b32_e64 v89, v89, v113, s7
	v_cndmask_b32_e64 v93, v93, v90, s8
	;; [unrolled: 1-line block ×19, first 2 shown]
	v_perm_b32 v90, v88, v87, 0x5040100
	v_cndmask_b32_e64 v87, v126, v100, s13
	v_cndmask_b32_e64 v105, v89, v114, s9
	v_perm_b32 v89, v103, v99, 0x5040100
	v_perm_b32 v88, v104, v94, 0x5040100
	v_cndmask_b32_e64 v94, v107, v112, s18
	v_cndmask_b32_e64 v95, v95, v112, s19
	;; [unrolled: 1-line block ×5, first 2 shown]
	v_lshrrev_b32_e32 v117, 16, v101
	v_cndmask_b32_e64 v94, v94, v97, s22
	v_cndmask_b32_e64 v95, v95, v97, s23
	;; [unrolled: 1-line block ×11, first 2 shown]
	v_lshrrev_b32_e32 v118, 16, v102
	v_cndmask_b32_e64 v91, v91, v102, s8
	v_cndmask_b32_e64 v94, v94, v98, s27
	;; [unrolled: 1-line block ×12, first 2 shown]
	v_perm_b32 v87, v93, v92, 0x5040100
	v_perm_b32 v94, v95, v94, 0x5040100
	v_perm_b32 v93, v96, v98, 0x5040100
	v_perm_b32 v92, v97, v106, 0x5040100
	v_perm_b32 v91, v91, v105, 0x5040100
	s_mul_i32 s8, s35, 13
	s_mov_b32 s4, exec_lo
	ds_store_b128 v78, v[87:90]
	ds_store_b128 v78, v[91:94] offset:1024
	v_cmpx_gt_u32_e32 13, v0
	s_cbranch_execz .LBB186_16
; %bb.15:
	s_mul_i32 s5, s8, s34
	s_load_b128 s[16:19], s[0:1], 0x58
	v_add3_u32 v77, s5, s33, v77
	s_delay_alu instid0(VALU_DEP_1) | instskip(NEXT) | instid1(VALU_DEP_1)
	v_mad_u64_u32 v[87:88], null, v77, s36, s[14:15]
	v_ashrrev_i32_e32 v88, 31, v87
	s_delay_alu instid0(VALU_DEP_1) | instskip(SKIP_1) | instid1(VALU_DEP_1)
	v_lshlrev_b64 v[87:88], 2, v[87:88]
	s_waitcnt lgkmcnt(0)
	v_add_co_u32 v89, vcc_lo, s18, v87
	s_delay_alu instid0(VALU_DEP_2)
	v_add_co_ci_u32_e32 v90, vcc_lo, s19, v88, vcc_lo
	v_add_co_u32 v87, vcc_lo, s16, v87
	v_add_co_ci_u32_e32 v88, vcc_lo, s17, v88, vcc_lo
	global_store_b32 v[89:90], v85, off
	global_store_b32 v[87:88], v86, off
.LBB186_16:
	s_or_b32 exec_lo, exec_lo, s4
	s_waitcnt lgkmcnt(0)
	s_waitcnt_vscnt null, 0x0
	s_barrier
	buffer_gl0_inv
	ds_load_b128 v[93:96], v79
	ds_load_b128 v[97:100], v79 offset:16
	ds_load_b128 v[105:108], v79 offset:1040
	;; [unrolled: 1-line block ×5, first 2 shown]
	v_cmp_eq_u32_e32 vcc_lo, 1, v84
	v_mov_b32_e32 v85, 0
	ds_load_b128 v[121:124], v79 offset:3088
	ds_load_b128 v[117:120], v79 offset:3072
	;; [unrolled: 1-line block ×4, first 2 shown]
	v_cmp_eq_u32_e64 s4, 1, v80
	v_cmp_eq_u32_e64 s5, 1, v83
	v_cmp_eq_u32_e64 s6, 1, v82
	v_mov_b32_e32 v86, v85
	v_mov_b32_e32 v87, v85
	;; [unrolled: 1-line block ×7, first 2 shown]
	v_cmp_eq_u32_e64 s7, 2, v80
	s_waitcnt lgkmcnt(8)
	s_delay_alu instid0(VALU_DEP_2)
	v_wmma_f32_16x16x16_f16 v[85:92], v[65:72], v[93:100], v[85:92]
	ds_load_b128 v[69:72], v79 offset:5136
	ds_load_b128 v[65:68], v79 offset:5120
	;; [unrolled: 1-line block ×4, first 2 shown]
	s_waitcnt lgkmcnt(10)
	v_wmma_f32_16x16x16_f16 v[85:92], v[57:64], v[101:108], v[85:92]
	s_waitcnt lgkmcnt(8)
	s_delay_alu instid0(VALU_DEP_1)
	v_wmma_f32_16x16x16_f16 v[85:92], v[57:64], v[109:116], v[85:92]
	ds_load_b128 v[61:64], v79 offset:7184
	ds_load_b128 v[57:60], v79 offset:7168
	;; [unrolled: 1-line block ×4, first 2 shown]
	s_waitcnt lgkmcnt(10)
	v_wmma_f32_16x16x16_f16 v[85:92], v[49:56], v[117:124], v[85:92]
	s_waitcnt lgkmcnt(8)
	s_delay_alu instid0(VALU_DEP_1)
	v_wmma_f32_16x16x16_f16 v[85:92], v[49:56], v[125:132], v[85:92]
	ds_load_b128 v[53:56], v79 offset:9232
	ds_load_b128 v[49:52], v79 offset:9216
	s_waitcnt lgkmcnt(8)
	v_wmma_f32_16x16x16_f16 v[85:92], v[41:48], v[65:72], v[85:92]
	ds_load_b128 v[69:72], v79 offset:10256
	ds_load_b128 v[65:68], v79 offset:10240
	s_waitcnt lgkmcnt(8)
	;; [unrolled: 4-line block ×7, first 2 shown]
	s_barrier
	buffer_gl0_inv
	v_wmma_f32_16x16x16_f16 v[85:92], v[33:40], v[41:48], v[85:92]
	s_delay_alu instid0(VALU_DEP_1) | instskip(NEXT) | instid1(VALU_DEP_1)
	v_wmma_f32_16x16x16_f16 v[85:92], v[33:40], v[57:64], v[85:92]
	v_wmma_f32_16x16x16_f16 v[85:92], v[25:32], v[9:16], v[85:92]
	s_delay_alu instid0(VALU_DEP_1) | instskip(NEXT) | instid1(VALU_DEP_1)
	v_wmma_f32_16x16x16_f16 v[85:92], v[25:32], v[49:56], v[85:92]
	v_wmma_f32_16x16x16_f16 v[85:92], v[17:24], v[1:8], v[85:92]
	s_delay_alu instid0(VALU_DEP_1) | instskip(NEXT) | instid1(VALU_DEP_2)
	v_cvt_f16_f32_e32 v1, v85
	v_cvt_f16_f32_e32 v2, v86
	s_delay_alu instid0(VALU_DEP_3) | instskip(NEXT) | instid1(VALU_DEP_4)
	v_cvt_f16_f32_e32 v3, v87
	v_cvt_f16_f32_e32 v4, v88
	;; [unrolled: 1-line block ×6, first 2 shown]
	v_pack_b32_f16 v1, v1, v2
	v_pack_b32_f16 v2, v3, v4
	;; [unrolled: 1-line block ×3, first 2 shown]
	s_delay_alu instid0(VALU_DEP_4)
	v_pack_b32_f16 v4, v7, v8
	ds_store_b128 v78, v[1:4]
	s_waitcnt lgkmcnt(0)
	s_barrier
	buffer_gl0_inv
	ds_load_b128 v[1:4], v81
	ds_load_b128 v[5:8], v81 offset:16
	s_waitcnt lgkmcnt(1)
	v_lshrrev_b32_e32 v9, 16, v1
	s_waitcnt lgkmcnt(0)
	v_lshrrev_b32_e32 v13, 16, v5
	v_lshrrev_b32_e32 v15, 16, v7
	;; [unrolled: 1-line block ×4, first 2 shown]
	v_cndmask_b32_e64 v17, v1, v9, s4
	v_cndmask_b32_e64 v18, v5, v13, s4
	;; [unrolled: 1-line block ×3, first 2 shown]
	v_cmp_eq_u32_e64 s4, 2, v82
	v_cndmask_b32_e64 v20, v5, v13, s6
	v_cndmask_b32_e32 v21, v1, v9, vcc_lo
	v_cndmask_b32_e32 v22, v5, v13, vcc_lo
	v_cndmask_b32_e64 v1, v1, v9, s5
	v_cndmask_b32_e64 v5, v5, v13, s5
	v_cmp_eq_u32_e32 vcc_lo, 2, v84
	v_cmp_eq_u32_e64 s5, 2, v83
	v_cndmask_b32_e64 v9, v17, v2, s7
	v_cndmask_b32_e64 v13, v18, v6, s7
	;; [unrolled: 1-line block ×4, first 2 shown]
	v_cndmask_b32_e32 v19, v21, v2, vcc_lo
	v_cmp_eq_u32_e64 s4, 3, v84
	v_cndmask_b32_e32 v20, v22, v6, vcc_lo
	v_cndmask_b32_e64 v1, v1, v2, s5
	v_cmp_eq_u32_e32 vcc_lo, 3, v83
	v_cmp_eq_u32_e64 s6, 3, v80
	v_cndmask_b32_e64 v2, v5, v6, s5
	v_cmp_eq_u32_e64 s5, 3, v82
	v_lshrrev_b32_e32 v16, 16, v8
	v_cmp_eq_u32_e64 s7, 4, v80
	v_cndmask_b32_e64 v5, v9, v10, s6
	v_cndmask_b32_e64 v6, v13, v14, s6
	v_cndmask_b32_e64 v9, v17, v10, s5
	v_cmp_eq_u32_e64 s6, 4, v82
	v_cndmask_b32_e64 v13, v18, v14, s5
	v_cndmask_b32_e64 v17, v19, v10, s4
	;; [unrolled: 1-line block ×3, first 2 shown]
	v_cndmask_b32_e32 v1, v1, v10, vcc_lo
	v_cndmask_b32_e32 v2, v2, v14, vcc_lo
	v_cmp_eq_u32_e32 vcc_lo, 4, v84
	v_cmp_eq_u32_e64 s5, 4, v83
	v_lshrrev_b32_e32 v11, 16, v3
	v_cndmask_b32_e64 v5, v5, v3, s7
	v_cndmask_b32_e64 v6, v6, v7, s7
	;; [unrolled: 1-line block ×4, first 2 shown]
	v_cndmask_b32_e32 v13, v17, v3, vcc_lo
	v_cmp_eq_u32_e64 s4, 5, v84
	v_cndmask_b32_e32 v14, v18, v7, vcc_lo
	v_cndmask_b32_e64 v1, v1, v3, s5
	v_cmp_eq_u32_e32 vcc_lo, 5, v83
	v_cmp_eq_u32_e64 s6, 5, v80
	v_cndmask_b32_e64 v2, v2, v7, s5
	v_cmp_eq_u32_e64 s5, 5, v82
	v_cmp_eq_u32_e64 s7, 6, v80
	v_cndmask_b32_e32 v1, v1, v11, vcc_lo
	v_cndmask_b32_e64 v3, v5, v11, s6
	v_cndmask_b32_e64 v5, v6, v15, s6
	v_cndmask_b32_e64 v6, v9, v11, s5
	v_cmp_eq_u32_e64 s6, 6, v82
	v_cndmask_b32_e64 v7, v10, v15, s5
	v_cndmask_b32_e64 v9, v13, v11, s4
	;; [unrolled: 1-line block ×3, first 2 shown]
	v_cndmask_b32_e32 v2, v2, v15, vcc_lo
	v_cmp_eq_u32_e32 vcc_lo, 6, v84
	v_cmp_eq_u32_e64 s4, 6, v83
	v_lshrrev_b32_e32 v12, 16, v4
	v_cndmask_b32_e64 v3, v3, v4, s7
	v_cndmask_b32_e64 v5, v5, v8, s7
	;; [unrolled: 1-line block ×4, first 2 shown]
	v_cndmask_b32_e32 v9, v9, v4, vcc_lo
	v_cmp_eq_u32_e64 s5, 7, v84
	v_cndmask_b32_e32 v10, v10, v8, vcc_lo
	v_cndmask_b32_e64 v1, v1, v4, s4
	v_cmp_eq_u32_e32 vcc_lo, 7, v83
	v_cndmask_b32_e64 v2, v2, v8, s4
	v_cmp_eq_u32_e64 s4, 7, v80
	v_cmp_eq_u32_e64 s6, 7, v82
	v_cndmask_b32_e32 v1, v1, v12, vcc_lo
	s_delay_alu instid0(VALU_DEP_4) | instskip(NEXT) | instid1(VALU_DEP_4)
	v_cndmask_b32_e32 v2, v2, v16, vcc_lo
	v_cndmask_b32_e64 v8, v3, v12, s4
	s_delay_alu instid0(VALU_DEP_4)
	v_cndmask_b32_e64 v6, v6, v12, s6
	v_cndmask_b32_e64 v3, v9, v12, s5
	;; [unrolled: 1-line block ×5, first 2 shown]
	v_cmp_gt_u32_e32 vcc_lo, 32, v0
	v_perm_b32 v4, v2, v1, 0x5040100
	v_perm_b32 v3, v9, v3, 0x5040100
	;; [unrolled: 1-line block ×4, first 2 shown]
	s_and_b32 s2, vcc_lo, s2
	ds_store_b128 v78, v[1:4]
	s_waitcnt lgkmcnt(0)
	s_barrier
	buffer_gl0_inv
	s_and_saveexec_b32 s4, s2
	s_cbranch_execz .LBB186_2
; %bb.17:
	s_load_b64 s[4:5], s[0:1], 0x68
	v_lshlrev_b32_e32 v0, 10, v0
	v_lshlrev_b32_e32 v1, 4, v76
	s_lshl_b32 s0, s36, 6
	v_add_nc_u32_e32 v18, s33, v75
	s_mul_i32 s1, s0, s34
	s_delay_alu instid0(VALU_DEP_2) | instskip(SKIP_1) | instid1(VALU_DEP_2)
	v_and_or_b32 v0, 0x3800, v0, v1
	s_mul_i32 s6, s1, s8
	v_mul_lo_u32 v1, v18, s0
	s_ashr_i32 s7, s6, 31
	v_add_nc_u32_e32 v2, 2, v18
	v_lshl_or_b32 v19, v75, 6, v0
	s_lshl_b64 s[6:7], s[6:7], 1
	v_add_nc_u32_e32 v8, 4, v18
	v_add_nc_u32_e32 v15, 6, v18
	v_mul_lo_u32 v7, v2, s0
	ds_load_b128 v[3:6], v19
	v_ashrrev_i32_e32 v2, 31, v1
	v_mul_lo_u32 v11, v8, s0
	s_waitcnt lgkmcnt(0)
	s_add_u32 s1, s4, s6
	s_addc_u32 s2, s5, s7
	s_lshl_b32 s4, s14, 6
	v_lshlrev_b64 v[9:10], 1, v[1:2]
	s_ashr_i32 s5, s4, 31
	v_ashrrev_i32_e32 v8, 31, v7
	s_lshl_b64 s[4:5], s[4:5], 1
	v_ashrrev_i32_e32 v12, 31, v11
	s_add_u32 s1, s1, s4
	s_addc_u32 s2, s2, s5
	v_add_co_u32 v1, vcc_lo, s1, v73
	v_add_co_ci_u32_e32 v2, vcc_lo, s2, v74, vcc_lo
	v_mul_lo_u32 v15, v15, s0
	s_delay_alu instid0(VALU_DEP_3) | instskip(NEXT) | instid1(VALU_DEP_3)
	v_add_co_u32 v13, vcc_lo, v1, v9
	v_add_co_ci_u32_e32 v14, vcc_lo, v2, v10, vcc_lo
	v_lshlrev_b64 v[16:17], 1, v[7:8]
	ds_load_b128 v[7:10], v19 offset:128
	global_store_b128 v[13:14], v[3:6], off
	v_add_nc_u32_e32 v5, 8, v18
	v_lshlrev_b64 v[3:4], 1, v[11:12]
	v_add_co_u32 v23, vcc_lo, v1, v16
	v_ashrrev_i32_e32 v16, 31, v15
	s_delay_alu instid0(VALU_DEP_4) | instskip(SKIP_3) | instid1(VALU_DEP_3)
	v_mul_lo_u32 v25, v5, s0
	v_add_nc_u32_e32 v5, 10, v18
	v_add_co_ci_u32_e32 v24, vcc_lo, v2, v17, vcc_lo
	v_add_co_u32 v27, vcc_lo, v1, v3
	v_mul_lo_u32 v29, v5, s0
	v_add_co_ci_u32_e32 v28, vcc_lo, v2, v4, vcc_lo
	v_lshlrev_b64 v[31:32], 1, v[15:16]
	ds_load_b128 v[3:6], v19 offset:256
	ds_load_b128 v[11:14], v19 offset:384
	;; [unrolled: 1-line block ×4, first 2 shown]
	v_ashrrev_i32_e32 v26, 31, v25
	v_ashrrev_i32_e32 v30, 31, v29
	v_add_co_u32 v31, vcc_lo, v1, v31
	s_delay_alu instid0(VALU_DEP_3) | instskip(SKIP_1) | instid1(VALU_DEP_4)
	v_lshlrev_b64 v[25:26], 1, v[25:26]
	v_add_co_ci_u32_e32 v32, vcc_lo, v2, v32, vcc_lo
	v_lshlrev_b64 v[29:30], 1, v[29:30]
	s_delay_alu instid0(VALU_DEP_3) | instskip(NEXT) | instid1(VALU_DEP_4)
	v_add_co_u32 v25, vcc_lo, v1, v25
	v_add_co_ci_u32_e32 v26, vcc_lo, v2, v26, vcc_lo
	s_delay_alu instid0(VALU_DEP_3) | instskip(NEXT) | instid1(VALU_DEP_4)
	v_add_co_u32 v29, vcc_lo, v1, v29
	v_add_co_ci_u32_e32 v30, vcc_lo, v2, v30, vcc_lo
	s_waitcnt lgkmcnt(4)
	global_store_b128 v[23:24], v[7:10], off
	s_waitcnt lgkmcnt(3)
	global_store_b128 v[27:28], v[3:6], off
	s_waitcnt lgkmcnt(2)
	global_store_b128 v[31:32], v[11:14], off
	s_waitcnt lgkmcnt(1)
	global_store_b128 v[25:26], v[15:18], off
	s_waitcnt lgkmcnt(0)
	global_store_b128 v[29:30], v[19:22], off
	s_and_b32 exec_lo, exec_lo, s3
	s_cbranch_execz .LBB186_2
; %bb.18:
	ds_load_b128 v[3:6], v0 offset:768
	s_add_i32 s1, s33, 12
	s_delay_alu instid0(SALU_CYCLE_1) | instskip(NEXT) | instid1(SALU_CYCLE_1)
	s_mul_i32 s0, s1, s0
	s_ashr_i32 s1, s0, 31
	s_delay_alu instid0(SALU_CYCLE_1) | instskip(NEXT) | instid1(SALU_CYCLE_1)
	s_lshl_b64 s[0:1], s[0:1], 1
	v_add_co_u32 v0, vcc_lo, v1, s0
	v_add_co_ci_u32_e32 v1, vcc_lo, s1, v2, vcc_lo
	s_waitcnt lgkmcnt(0)
	global_store_b128 v[0:1], v[3:6], off
	s_nop 0
	s_sendmsg sendmsg(MSG_DEALLOC_VGPRS)
	s_endpgm
	.section	.rodata,"a",@progbits
	.p2align	6, 0x0
	.amdhsa_kernel _Z39paged_attention_ll4mi_QKV_mfma16_kernelIDF16_DF16_LN4vllm18Fp8KVCacheDataTypeE0EDF16_Li32ELi64ELi256ELb0ELi13EL8MFMAType0EEvPKT_PKT0_S8_ifPKiSA_SA_iPKfiiiPfSD_PS3_PT2_iSC_SC_
		.amdhsa_group_segment_fixed_size 17472
		.amdhsa_private_segment_fixed_size 0
		.amdhsa_kernarg_size 400
		.amdhsa_user_sgpr_count 13
		.amdhsa_user_sgpr_dispatch_ptr 0
		.amdhsa_user_sgpr_queue_ptr 0
		.amdhsa_user_sgpr_kernarg_segment_ptr 1
		.amdhsa_user_sgpr_dispatch_id 0
		.amdhsa_user_sgpr_private_segment_size 0
		.amdhsa_wavefront_size32 1
		.amdhsa_uses_dynamic_stack 0
		.amdhsa_enable_private_segment 0
		.amdhsa_system_sgpr_workgroup_id_x 1
		.amdhsa_system_sgpr_workgroup_id_y 1
		.amdhsa_system_sgpr_workgroup_id_z 1
		.amdhsa_system_sgpr_workgroup_info 0
		.amdhsa_system_vgpr_workitem_id 0
		.amdhsa_next_free_vgpr 154
		.amdhsa_next_free_sgpr 39
		.amdhsa_reserve_vcc 1
		.amdhsa_float_round_mode_32 0
		.amdhsa_float_round_mode_16_64 0
		.amdhsa_float_denorm_mode_32 3
		.amdhsa_float_denorm_mode_16_64 3
		.amdhsa_dx10_clamp 1
		.amdhsa_ieee_mode 1
		.amdhsa_fp16_overflow 0
		.amdhsa_workgroup_processor_mode 1
		.amdhsa_memory_ordered 1
		.amdhsa_forward_progress 0
		.amdhsa_shared_vgpr_count 0
		.amdhsa_exception_fp_ieee_invalid_op 0
		.amdhsa_exception_fp_denorm_src 0
		.amdhsa_exception_fp_ieee_div_zero 0
		.amdhsa_exception_fp_ieee_overflow 0
		.amdhsa_exception_fp_ieee_underflow 0
		.amdhsa_exception_fp_ieee_inexact 0
		.amdhsa_exception_int_div_zero 0
	.end_amdhsa_kernel
	.section	.text._Z39paged_attention_ll4mi_QKV_mfma16_kernelIDF16_DF16_LN4vllm18Fp8KVCacheDataTypeE0EDF16_Li32ELi64ELi256ELb0ELi13EL8MFMAType0EEvPKT_PKT0_S8_ifPKiSA_SA_iPKfiiiPfSD_PS3_PT2_iSC_SC_,"axG",@progbits,_Z39paged_attention_ll4mi_QKV_mfma16_kernelIDF16_DF16_LN4vllm18Fp8KVCacheDataTypeE0EDF16_Li32ELi64ELi256ELb0ELi13EL8MFMAType0EEvPKT_PKT0_S8_ifPKiSA_SA_iPKfiiiPfSD_PS3_PT2_iSC_SC_,comdat
.Lfunc_end186:
	.size	_Z39paged_attention_ll4mi_QKV_mfma16_kernelIDF16_DF16_LN4vllm18Fp8KVCacheDataTypeE0EDF16_Li32ELi64ELi256ELb0ELi13EL8MFMAType0EEvPKT_PKT0_S8_ifPKiSA_SA_iPKfiiiPfSD_PS3_PT2_iSC_SC_, .Lfunc_end186-_Z39paged_attention_ll4mi_QKV_mfma16_kernelIDF16_DF16_LN4vllm18Fp8KVCacheDataTypeE0EDF16_Li32ELi64ELi256ELb0ELi13EL8MFMAType0EEvPKT_PKT0_S8_ifPKiSA_SA_iPKfiiiPfSD_PS3_PT2_iSC_SC_
                                        ; -- End function
	.section	.AMDGPU.csdata,"",@progbits
; Kernel info:
; codeLenInByte = 7432
; NumSgprs: 41
; NumVgprs: 154
; ScratchSize: 0
; MemoryBound: 0
; FloatMode: 240
; IeeeMode: 1
; LDSByteSize: 17472 bytes/workgroup (compile time only)
; SGPRBlocks: 5
; VGPRBlocks: 19
; NumSGPRsForWavesPerEU: 41
; NumVGPRsForWavesPerEU: 154
; Occupancy: 9
; WaveLimiterHint : 1
; COMPUTE_PGM_RSRC2:SCRATCH_EN: 0
; COMPUTE_PGM_RSRC2:USER_SGPR: 13
; COMPUTE_PGM_RSRC2:TRAP_HANDLER: 0
; COMPUTE_PGM_RSRC2:TGID_X_EN: 1
; COMPUTE_PGM_RSRC2:TGID_Y_EN: 1
; COMPUTE_PGM_RSRC2:TGID_Z_EN: 1
; COMPUTE_PGM_RSRC2:TIDIG_COMP_CNT: 0
	.section	.text._Z39paged_attention_ll4mi_QKV_mfma16_kernelIDF16_DF16_LN4vllm18Fp8KVCacheDataTypeE0EDF16_Li32ELi64ELi256ELb0ELi14EL8MFMAType0EEvPKT_PKT0_S8_ifPKiSA_SA_iPKfiiiPfSD_PS3_PT2_iSC_SC_,"axG",@progbits,_Z39paged_attention_ll4mi_QKV_mfma16_kernelIDF16_DF16_LN4vllm18Fp8KVCacheDataTypeE0EDF16_Li32ELi64ELi256ELb0ELi14EL8MFMAType0EEvPKT_PKT0_S8_ifPKiSA_SA_iPKfiiiPfSD_PS3_PT2_iSC_SC_,comdat
	.protected	_Z39paged_attention_ll4mi_QKV_mfma16_kernelIDF16_DF16_LN4vllm18Fp8KVCacheDataTypeE0EDF16_Li32ELi64ELi256ELb0ELi14EL8MFMAType0EEvPKT_PKT0_S8_ifPKiSA_SA_iPKfiiiPfSD_PS3_PT2_iSC_SC_ ; -- Begin function _Z39paged_attention_ll4mi_QKV_mfma16_kernelIDF16_DF16_LN4vllm18Fp8KVCacheDataTypeE0EDF16_Li32ELi64ELi256ELb0ELi14EL8MFMAType0EEvPKT_PKT0_S8_ifPKiSA_SA_iPKfiiiPfSD_PS3_PT2_iSC_SC_
	.globl	_Z39paged_attention_ll4mi_QKV_mfma16_kernelIDF16_DF16_LN4vllm18Fp8KVCacheDataTypeE0EDF16_Li32ELi64ELi256ELb0ELi14EL8MFMAType0EEvPKT_PKT0_S8_ifPKiSA_SA_iPKfiiiPfSD_PS3_PT2_iSC_SC_
	.p2align	8
	.type	_Z39paged_attention_ll4mi_QKV_mfma16_kernelIDF16_DF16_LN4vllm18Fp8KVCacheDataTypeE0EDF16_Li32ELi64ELi256ELb0ELi14EL8MFMAType0EEvPKT_PKT0_S8_ifPKiSA_SA_iPKfiiiPfSD_PS3_PT2_iSC_SC_,@function
_Z39paged_attention_ll4mi_QKV_mfma16_kernelIDF16_DF16_LN4vllm18Fp8KVCacheDataTypeE0EDF16_Li32ELi64ELi256ELb0ELi14EL8MFMAType0EEvPKT_PKT0_S8_ifPKiSA_SA_iPKfiiiPfSD_PS3_PT2_iSC_SC_: ; @_Z39paged_attention_ll4mi_QKV_mfma16_kernelIDF16_DF16_LN4vllm18Fp8KVCacheDataTypeE0EDF16_Li32ELi64ELi256ELb0ELi14EL8MFMAType0EEvPKT_PKT0_S8_ifPKiSA_SA_iPKfiiiPfSD_PS3_PT2_iSC_SC_
; %bb.0:
	s_load_b64 s[2:3], s[0:1], 0x30
	s_mov_b32 s34, s13
	s_waitcnt lgkmcnt(0)
	s_cmp_lg_u64 s[2:3], 0
	s_cselect_b32 s6, -1, 0
	s_ashr_i32 s35, s13, 31
	s_cmp_eq_u64 s[2:3], 0
	s_cbranch_scc1 .LBB187_3
; %bb.1:
	s_lshl_b64 s[4:5], s[34:35], 2
	s_delay_alu instid0(SALU_CYCLE_1) | instskip(SKIP_4) | instid1(SALU_CYCLE_1)
	s_add_u32 s4, s2, s4
	s_addc_u32 s5, s3, s5
	s_load_b64 s[4:5], s[4:5], 0x0
	s_waitcnt lgkmcnt(0)
	s_sub_i32 s4, s5, s4
	s_cmp_eq_u32 s4, 1
	s_cselect_b32 s4, -1, 0
	s_delay_alu instid0(SALU_CYCLE_1)
	s_and_not1_b32 vcc_lo, exec_lo, s4
	s_cbranch_vccz .LBB187_4
.LBB187_2:
	s_endpgm
.LBB187_3:
.LBB187_4:
	s_load_b64 s[8:9], s[0:1], 0x28
	s_lshl_b64 s[4:5], s[34:35], 2
	s_waitcnt lgkmcnt(0)
	s_add_u32 s8, s8, s4
	s_addc_u32 s9, s9, s5
	s_lshl_b32 s16, s14, 8
	s_load_b32 s18, s[8:9], 0x0
	s_waitcnt lgkmcnt(0)
	s_cmp_ge_i32 s16, s18
	s_cbranch_scc1 .LBB187_2
; %bb.5:
	s_and_not1_b32 vcc_lo, exec_lo, s6
	s_cbranch_vccnz .LBB187_7
; %bb.6:
	s_add_u32 s2, s2, s4
	s_addc_u32 s3, s3, s5
	s_load_b32 s17, s[2:3], 0x0
	s_branch .LBB187_8
.LBB187_7:
	s_mov_b32 s17, s34
.LBB187_8:
	s_clause 0x2
	s_load_b128 s[8:11], s[0:1], 0x8
	s_load_b64 s[12:13], s[0:1], 0x20
	s_load_b128 s[4:7], s[0:1], 0x48
	v_and_b32_e32 v77, 15, v0
	v_cmp_lt_u32_e32 vcc_lo, 0xdf, v0
	s_delay_alu instid0(VALU_DEP_2) | instskip(SKIP_2) | instid1(VALU_DEP_3)
	v_cmp_lt_u32_e64 s3, 7, v77
	v_lshlrev_b32_e32 v1, 3, v77
	v_cmp_gt_u32_e64 s2, 8, v77
	s_or_b32 s3, vcc_lo, s3
	s_waitcnt lgkmcnt(0)
	s_and_saveexec_b32 s7, s3
	s_delay_alu instid0(SALU_CYCLE_1)
	s_xor_b32 s3, exec_lo, s7
; %bb.9:
	v_mov_b32_e32 v2, 0
; %bb.10:
	s_or_saveexec_b32 s3, s3
	v_lshrrev_b32_e32 v79, 5, v0
	v_and_b32_e32 v80, 31, v0
	v_and_b32_e32 v76, 1, v0
	v_bfe_u32 v75, v0, 4, 1
	s_mul_i32 s31, s15, 14
	s_xor_b32 exec_lo, exec_lo, s3
	s_cbranch_execz .LBB187_12
; %bb.11:
	s_load_b64 s[20:21], s[0:1], 0x0
	v_lshl_or_b32 v7, v79, 1, v75
	s_mul_hi_i32 s23, s17, s4
	s_mul_i32 s22, s17, s4
	v_lshlrev_b32_e32 v4, 1, v1
	s_lshl_b64 s[22:23], s[22:23], 1
	v_add_lshl_u32 v2, v7, s31, 6
	v_lshlrev_b32_e32 v7, 6, v7
	v_lshlrev_b32_e32 v8, 10, v76
	s_delay_alu instid0(VALU_DEP_3) | instskip(NEXT) | instid1(VALU_DEP_1)
	v_ashrrev_i32_e32 v3, 31, v2
	v_lshlrev_b64 v[2:3], 1, v[2:3]
	s_waitcnt lgkmcnt(0)
	s_add_u32 s4, s20, s22
	s_addc_u32 s7, s21, s23
	s_delay_alu instid0(VALU_DEP_1) | instskip(NEXT) | instid1(VALU_DEP_2)
	v_add_co_u32 v2, vcc_lo, s4, v2
	v_add_co_ci_u32_e32 v3, vcc_lo, s7, v3, vcc_lo
	s_delay_alu instid0(VALU_DEP_2) | instskip(NEXT) | instid1(VALU_DEP_2)
	v_add_co_u32 v2, vcc_lo, v2, v4
	v_add_co_ci_u32_e32 v3, vcc_lo, 0, v3, vcc_lo
	global_load_b128 v[3:6], v[2:3], off
	v_lshlrev_b32_e32 v2, 10, v77
	s_delay_alu instid0(VALU_DEP_1) | instskip(NEXT) | instid1(VALU_DEP_1)
	v_and_b32_e32 v2, 0x3800, v2
	v_or3_b32 v7, v2, v8, v7
	v_mov_b32_e32 v2, 0
	s_waitcnt vmcnt(0)
	ds_store_b128 v7, v[3:6]
.LBB187_12:
	s_or_b32 exec_lo, exec_lo, s3
	v_and_b32_e32 v3, 0xef, v0
	s_add_i32 s3, s18, 31
	s_clause 0x1
	s_load_b32 s4, s[0:1], 0x38
	s_load_b32 s33, s[0:1], 0x98
	s_ashr_i32 s7, s3, 31
	v_add_nc_u32_e32 v3, s16, v3
	s_lshr_b32 s7, s7, 27
	s_load_b32 s19, s[0:1], 0x1c
	s_add_i32 s3, s3, s7
	s_waitcnt lgkmcnt(0)
	v_ashrrev_i32_e32 v4, 31, v3
	v_cmp_gt_i32_e32 vcc_lo, s18, v3
	s_ashr_i32 s3, s3, 5
	s_barrier
	s_add_i32 s3, s3, -1
	v_lshrrev_b32_e32 v5, 27, v4
	v_or_b32_e32 v4, 16, v3
	buffer_gl0_inv
	s_mul_i32 s6, s15, s6
	v_lshlrev_b64 v[73:74], 1, v[1:2]
	v_add_nc_u32_e32 v6, v3, v5
	v_add_nc_u32_e32 v5, v4, v5
	s_mul_i32 s20, s34, s4
	v_lshlrev_b32_e32 v78, 6, v77
	s_ashr_i32 s21, s20, 31
	v_ashrrev_i32_e32 v6, 5, v6
	v_ashrrev_i32_e32 v5, 5, v5
	s_lshl_b64 s[20:21], s[20:21], 2
	v_lshl_or_b32 v33, v79, 10, v78
	s_add_u32 s4, s12, s20
	v_cndmask_b32_e32 v3, s3, v6, vcc_lo
	v_cmp_gt_i32_e32 vcc_lo, s18, v4
	s_addc_u32 s17, s13, s21
	s_ashr_i32 s7, s6, 31
	s_delay_alu instid0(VALU_DEP_2) | instskip(SKIP_2) | instid1(SALU_CYCLE_1)
	v_ashrrev_i32_e32 v4, 31, v3
	v_cndmask_b32_e32 v5, s3, v5, vcc_lo
	s_lshl_b64 s[6:7], s[6:7], 1
	s_add_u32 s15, s8, s6
	s_delay_alu instid0(VALU_DEP_2) | instskip(NEXT) | instid1(VALU_DEP_2)
	v_lshlrev_b64 v[3:4], 2, v[3:4]
	v_ashrrev_i32_e32 v6, 31, v5
	s_addc_u32 s28, s9, s7
	s_lshl_b32 s8, s14, 3
	s_delay_alu instid0(SALU_CYCLE_1) | instskip(NEXT) | instid1(VALU_DEP_1)
	s_ashr_i32 s9, s8, 31
	v_lshlrev_b64 v[5:6], 2, v[5:6]
	v_add_co_u32 v3, vcc_lo, s4, v3
	v_add_co_ci_u32_e32 v4, vcc_lo, s17, v4, vcc_lo
	s_lshl_b64 s[8:9], s[8:9], 2
	s_delay_alu instid0(VALU_DEP_3) | instskip(NEXT) | instid1(VALU_DEP_4)
	v_add_co_u32 v5, vcc_lo, s4, v5
	v_add_co_ci_u32_e32 v6, vcc_lo, s17, v6, vcc_lo
	s_add_u32 s8, s4, s8
	s_clause 0x1
	global_load_b32 v7, v[3:4], off
	global_load_b32 v8, v[5:6], off
	s_addc_u32 s9, s17, s9
	s_or_b32 s12, s16, 32
	s_delay_alu instid0(SALU_CYCLE_1) | instskip(SKIP_2) | instid1(SALU_CYCLE_1)
	s_ashr_i32 s13, s12, 5
	s_cmp_lt_i32 s12, s18
	s_cselect_b32 s12, s13, s3
	s_ashr_i32 s13, s12, 31
	s_delay_alu instid0(SALU_CYCLE_1) | instskip(NEXT) | instid1(SALU_CYCLE_1)
	s_lshl_b64 s[12:13], s[12:13], 2
	s_add_u32 s12, s4, s12
	s_addc_u32 s13, s17, s13
	s_or_b32 s20, s16, 64
	s_delay_alu instid0(SALU_CYCLE_1) | instskip(SKIP_2) | instid1(SALU_CYCLE_1)
	s_ashr_i32 s21, s20, 5
	s_cmp_lt_i32 s20, s18
	s_cselect_b32 s20, s21, s3
	s_ashr_i32 s21, s20, 31
	s_delay_alu instid0(SALU_CYCLE_1) | instskip(NEXT) | instid1(SALU_CYCLE_1)
	s_lshl_b64 s[20:21], s[20:21], 2
	s_add_u32 s20, s4, s20
	;; [unrolled: 10-line block ×5, first 2 shown]
	s_addc_u32 s27, s17, s27
	s_clause 0x5
	s_load_b32 s29, s[8:9], 0x0
	s_load_b32 s30, s[12:13], 0x0
	;; [unrolled: 1-line block ×6, first 2 shown]
	s_or_b32 s8, s16, 0xc0
	s_mov_b32 s20, 0
	s_ashr_i32 s9, s8, 5
	s_cmp_lt_i32 s8, s18
	s_mov_b32 s27, s20
	s_cselect_b32 s8, s9, s3
	s_mov_b32 s21, s20
	s_ashr_i32 s9, s8, 31
	s_mov_b32 s22, s20
	s_lshl_b64 s[8:9], s[8:9], 2
	s_mov_b32 s23, s20
	s_add_u32 s8, s4, s8
	s_mov_b32 s24, s20
	s_mov_b32 s25, s20
	;; [unrolled: 1-line block ×3, first 2 shown]
	s_addc_u32 s9, s17, s9
	v_dual_mov_b32 v128, s27 :: v_dual_mov_b32 v127, s26
	v_dual_mov_b32 v126, s25 :: v_dual_mov_b32 v125, s24
	;; [unrolled: 1-line block ×3, first 2 shown]
	v_mov_b32_e32 v121, s20
	s_waitcnt lgkmcnt(0)
	s_mul_hi_i32 s13, s29, s5
	s_mul_i32 s12, s29, s5
	v_mov_b32_e32 v122, s21
	s_mul_hi_i32 s21, s30, s5
	s_mul_i32 s20, s30, s5
	s_mul_hi_i32 s25, s35, s5
	s_mul_i32 s24, s35, s5
	;; [unrolled: 2-line block ×3, first 2 shown]
	s_mul_i32 s36, s38, s5
	s_waitcnt vmcnt(1)
	v_mad_i64_i32 v[3:4], null, v7, s5, 0
	s_waitcnt vmcnt(0)
	v_mad_i64_i32 v[5:6], null, v8, s5, 0
	s_delay_alu instid0(VALU_DEP_2) | instskip(NEXT) | instid1(VALU_DEP_2)
	v_lshlrev_b64 v[3:4], 1, v[3:4]
	v_lshlrev_b64 v[1:2], 1, v[5:6]
	s_delay_alu instid0(VALU_DEP_2) | instskip(NEXT) | instid1(VALU_DEP_3)
	v_add_co_u32 v3, vcc_lo, s15, v3
	v_add_co_ci_u32_e32 v4, vcc_lo, s28, v4, vcc_lo
	s_delay_alu instid0(VALU_DEP_3) | instskip(NEXT) | instid1(VALU_DEP_4)
	v_add_co_u32 v1, vcc_lo, s15, v1
	v_add_co_ci_u32_e32 v2, vcc_lo, s28, v2, vcc_lo
	s_delay_alu instid0(VALU_DEP_4) | instskip(NEXT) | instid1(VALU_DEP_4)
	v_add_co_u32 v25, vcc_lo, v3, v73
	v_add_co_ci_u32_e32 v26, vcc_lo, v4, v74, vcc_lo
	s_delay_alu instid0(VALU_DEP_4) | instskip(NEXT) | instid1(VALU_DEP_4)
	v_add_co_u32 v27, vcc_lo, v1, v73
	v_add_co_ci_u32_e32 v28, vcc_lo, v2, v74, vcc_lo
	s_clause 0xf
	global_load_b128 v[1:4], v[25:26], off
	global_load_b128 v[5:8], v[25:26], off offset:512
	global_load_b128 v[9:12], v[27:28], off offset:256
	;; [unrolled: 1-line block ×15, first 2 shown]
	s_or_b32 s15, s16, 0xe0
	v_add_nc_u32_e32 v25, -14, v77
	s_ashr_i32 s22, s15, 5
	s_cmp_lt_i32 s15, s18
	v_cmp_gt_u32_e32 vcc_lo, 14, v77
	s_cselect_b32 s22, s22, s3
	s_delay_alu instid0(SALU_CYCLE_1) | instskip(NEXT) | instid1(SALU_CYCLE_1)
	s_ashr_i32 s23, s22, 31
	s_lshl_b64 s[22:23], s[22:23], 2
	v_cndmask_b32_e32 v25, v25, v77, vcc_lo
	s_add_u32 s22, s4, s22
	s_addc_u32 s23, s17, s23
	s_add_i32 s15, s16, 0x100
	s_delay_alu instid0(SALU_CYCLE_1)
	s_ashr_i32 s28, s15, 5
	s_cmp_lt_i32 s15, s18
	v_lshlrev_b32_e32 v151, 6, v25
	s_cselect_b32 s28, s28, s3
	ds_load_b128 v[25:28], v151
	ds_load_b128 v[29:32], v151 offset:1024
	s_ashr_i32 s29, s28, 31
	ds_load_b128 v[129:132], v151 offset:2048
	ds_load_b128 v[133:136], v151 offset:3072
	s_lshl_b64 s[28:29], s[28:29], 2
	s_load_b32 s15, s[8:9], 0x0
	s_add_u32 s28, s4, s28
	s_addc_u32 s29, s17, s29
	s_add_u32 s3, s10, s6
	s_clause 0x1
	s_load_b32 s4, s[22:23], 0x0
	s_load_b32 s17, s[28:29], 0x0
	s_addc_u32 s28, s11, s7
	v_add_co_u32 v152, s3, s3, v33
	s_delay_alu instid0(VALU_DEP_1) | instskip(SKIP_2) | instid1(VALU_DEP_2)
	v_add_co_ci_u32_e64 v153, null, s28, 0, s3
	s_lshl_b64 s[6:7], s[12:13], 1
	s_lshl_b64 s[10:11], s[20:21], 1
	v_add_co_u32 v33, vcc_lo, v152, s6
	s_delay_alu instid0(VALU_DEP_2)
	v_add_co_ci_u32_e32 v34, vcc_lo, s7, v153, vcc_lo
	v_add_co_u32 v35, vcc_lo, v152, s10
	s_lshl_b64 s[12:13], s[24:25], 1
	v_add_co_ci_u32_e32 v36, vcc_lo, s11, v153, vcc_lo
	v_add_co_u32 v37, vcc_lo, v152, s12
	s_lshl_b64 s[20:21], s[26:27], 1
	s_mul_hi_i32 s9, s37, s5
	s_mul_i32 s8, s37, s5
	v_add_co_ci_u32_e32 v38, vcc_lo, s13, v153, vcc_lo
	v_add_co_u32 v39, vcc_lo, v152, s20
	s_lshl_b64 s[8:9], s[8:9], 1
	s_mul_hi_i32 s37, s38, s5
	v_add_co_ci_u32_e32 v40, vcc_lo, s21, v153, vcc_lo
	v_add_co_u32 v145, vcc_lo, v152, s8
	s_lshl_b64 s[22:23], s[36:37], 1
	s_waitcnt lgkmcnt(0)
	s_mul_hi_i32 s25, s15, s5
	s_mul_i32 s24, s15, s5
	v_add_co_ci_u32_e32 v146, vcc_lo, s9, v153, vcc_lo
	v_add_co_u32 v147, vcc_lo, v152, s22
	s_lshl_b64 s[24:25], s[24:25], 1
	v_add_co_ci_u32_e32 v148, vcc_lo, s23, v153, vcc_lo
	s_mul_hi_i32 s7, s4, s5
	s_mul_i32 s6, s4, s5
	v_add_co_u32 v149, vcc_lo, v152, s24
	s_lshl_b64 s[6:7], s[6:7], 1
	v_add_co_ci_u32_e32 v150, vcc_lo, s25, v153, vcc_lo
	s_clause 0x7
	global_load_b128 v[65:68], v[33:34], off
	global_load_b128 v[69:72], v[33:34], off offset:16
	global_load_b128 v[57:60], v[35:36], off
	global_load_b128 v[61:64], v[35:36], off offset:16
	;; [unrolled: 2-line block ×4, first 2 shown]
	s_waitcnt vmcnt(22)
	v_wmma_f32_16x16x16_f16 v[137:144], v[1:8], v[25:32], v[121:128]
	s_waitcnt vmcnt(20)
	v_wmma_f32_16x16x16_f16 v[121:128], v[9:16], v[25:32], v[121:128]
	v_add_co_u32 v29, vcc_lo, v152, s6
	v_add_co_ci_u32_e32 v30, vcc_lo, s7, v153, vcc_lo
	s_mul_hi_i32 s7, s17, s5
	s_mul_i32 s6, s17, s5
	s_waitcnt vmcnt(18)
	v_wmma_f32_16x16x16_f16 v[137:144], v[17:24], v[129:136], v[137:144]
	s_lshl_b64 s[4:5], s[6:7], 1
	s_clause 0x1
	global_load_b128 v[9:12], v[145:146], off
	global_load_b128 v[13:16], v[145:146], off offset:16
	v_add_co_u32 v21, vcc_lo, v152, s4
	v_add_co_ci_u32_e32 v22, vcc_lo, s5, v153, vcc_lo
	s_clause 0x7
	global_load_b128 v[1:4], v[147:148], off
	global_load_b128 v[5:8], v[147:148], off offset:16
	global_load_b128 v[33:36], v[149:150], off
	global_load_b128 v[37:40], v[149:150], off offset:16
	;; [unrolled: 2-line block ×4, first 2 shown]
	s_waitcnt vmcnt(26)
	v_wmma_f32_16x16x16_f16 v[121:128], v[81:88], v[129:136], v[121:128]
	ds_load_b128 v[81:84], v151 offset:4096
	ds_load_b128 v[85:88], v151 offset:5120
	v_mbcnt_lo_u32_b32 v130, -1, 0
	s_delay_alu instid0(VALU_DEP_1) | instskip(NEXT) | instid1(VALU_DEP_1)
	v_xor_b32_e32 v131, 16, v130
	v_cmp_gt_i32_e32 vcc_lo, 32, v131
	v_cndmask_b32_e32 v130, v130, v131, vcc_lo
	s_waitcnt vmcnt(24) lgkmcnt(0)
	v_wmma_f32_16x16x16_f16 v[137:144], v[89:96], v[81:88], v[137:144]
	ds_load_b128 v[89:92], v151 offset:6144
	ds_load_b128 v[93:96], v151 offset:7168
	s_waitcnt vmcnt(22)
	v_wmma_f32_16x16x16_f16 v[121:128], v[97:104], v[81:88], v[121:128]
	s_waitcnt vmcnt(0) lgkmcnt(0)
	s_barrier
	buffer_gl0_inv
	v_wmma_f32_16x16x16_f16 v[137:144], v[105:112], v[89:96], v[137:144]
	v_and_b32_e32 v129, 0xe0, v0
	v_wmma_f32_16x16x16_f16 v[121:128], v[113:120], v[89:96], v[121:128]
	s_delay_alu instid0(VALU_DEP_3) | instskip(NEXT) | instid1(VALU_DEP_2)
	v_mul_f32_e32 v96, s19, v137
	v_dual_mul_f32 v104, s19, v126 :: v_dual_add_nc_u32 v129, s16, v129
	v_mul_f32_e32 v95, s19, v138
	v_dual_mul_f32 v93, s19, v140 :: v_dual_mul_f32 v94, s19, v139
	s_delay_alu instid0(VALU_DEP_3) | instskip(SKIP_3) | instid1(VALU_DEP_4)
	v_or_b32_e32 v129, v129, v75
	v_dual_mul_f32 v91, s19, v142 :: v_dual_mul_f32 v106, s19, v124
	v_dual_mul_f32 v92, s19, v141 :: v_dual_mul_f32 v89, s19, v144
	v_mul_f32_e32 v108, s19, v122
	v_or_b32_e32 v131, 2, v129
	v_or_b32_e32 v132, 4, v129
	;; [unrolled: 1-line block ×3, first 2 shown]
	v_cmp_gt_i32_e32 vcc_lo, s18, v129
	v_or_b32_e32 v82, 8, v129
	v_cmp_gt_i32_e64 s3, s18, v131
	v_or_b32_e32 v83, 10, v129
	v_cmp_gt_i32_e64 s4, s18, v132
	v_cndmask_b32_e32 v96, 0xff7fffff, v96, vcc_lo
	v_cmp_gt_i32_e64 s5, s18, v81
	v_cndmask_b32_e64 v95, 0xff7fffff, v95, s3
	v_or_b32_e32 v84, 12, v129
	v_or_b32_e32 v85, 14, v129
	v_cndmask_b32_e64 v94, 0xff7fffff, v94, s4
	v_cndmask_b32_e64 v81, 0xff7fffff, v93, s5
	v_max3_f32 v93, v96, 0xff7fffff, v95
	v_cmp_gt_i32_e64 s6, s18, v82
	v_cmp_gt_i32_e64 s7, s18, v83
	v_or_b32_e32 v86, 16, v129
	v_or_b32_e32 v87, 18, v129
	v_mul_f32_e32 v90, s19, v143
	v_cndmask_b32_e64 v82, 0xff7fffff, v92, s6
	v_cndmask_b32_e64 v83, 0xff7fffff, v91, s7
	v_max3_f32 v81, v93, v94, v81
	v_cmp_gt_i32_e64 s8, s18, v84
	v_cmp_gt_i32_e64 s9, s18, v85
	v_or_b32_e32 v88, 20, v129
	v_or_b32_e32 v97, 22, v129
	v_mul_f32_e32 v109, s19, v121
	;; [unrolled: 8-line block ×4, first 2 shown]
	v_cndmask_b32_e64 v84, 0xff7fffff, v107, s12
	v_cndmask_b32_e64 v85, 0xff7fffff, v106, s13
	v_max3_f32 v81, v81, v82, v83
	v_cmp_gt_i32_e64 s15, s18, v98
	v_cmp_gt_i32_e64 s16, s18, v99
	v_dual_mul_f32 v102, s19, v128 :: v_dual_mul_f32 v103, s19, v127
	s_delay_alu instid0(VALU_DEP_4) | instskip(NEXT) | instid1(VALU_DEP_4)
	v_max3_f32 v81, v81, v84, v85
	v_cndmask_b32_e64 v82, 0xff7fffff, v105, s15
	s_delay_alu instid0(VALU_DEP_4) | instskip(SKIP_2) | instid1(VALU_DEP_3)
	v_cndmask_b32_e64 v83, 0xff7fffff, v104, s16
	v_cmp_gt_i32_e64 s17, s18, v100
	v_cmp_gt_i32_e64 s18, s18, v101
	v_max3_f32 v81, v81, v82, v83
	s_delay_alu instid0(VALU_DEP_3) | instskip(NEXT) | instid1(VALU_DEP_3)
	v_cndmask_b32_e64 v84, 0xff7fffff, v103, s17
	v_cndmask_b32_e64 v85, 0xff7fffff, v102, s18
	v_lshlrev_b32_e32 v83, 2, v130
	s_delay_alu instid0(VALU_DEP_2) | instskip(SKIP_3) | instid1(VALU_DEP_1)
	v_max3_f32 v81, v81, v84, v85
	ds_bpermute_b32 v82, v83, v81
	s_waitcnt lgkmcnt(0)
	v_max_f32_e32 v82, v82, v82
	v_max_f32_e32 v81, v81, v82
	s_delay_alu instid0(VALU_DEP_1) | instskip(SKIP_2) | instid1(VALU_DEP_3)
	v_fma_f32 v82, s19, v137, -v81
	v_fma_f32 v84, s19, v138, -v81
	;; [unrolled: 1-line block ×3, first 2 shown]
	v_mul_f32_e32 v82, 0x3fb8aa3b, v82
	s_delay_alu instid0(VALU_DEP_2) | instskip(NEXT) | instid1(VALU_DEP_2)
	v_dual_mul_f32 v84, 0x3fb8aa3b, v84 :: v_dual_mul_f32 v89, 0x3fb8aa3b, v87
	v_exp_f32_e32 v82, v82
	s_delay_alu instid0(VALU_DEP_1) | instskip(NEXT) | instid1(VALU_DEP_1)
	v_exp_f32_e32 v84, v84
	v_exp_f32_e32 v92, v89
	s_delay_alu instid0(TRANS32_DEP_3)
	v_cndmask_b32_e32 v88, 0, v82, vcc_lo
	s_waitcnt_depctr 0xfff
	v_cndmask_b32_e64 v87, 0, v84, s3
	v_cndmask_b32_e64 v92, 0, v92, s6
	s_mov_b32 s3, exec_lo
	v_add_f32_e32 v84, 0, v88
	s_delay_alu instid0(VALU_DEP_1)
	v_add_f32_e32 v84, v84, v87
	v_fma_f32 v85, s19, v139, -v81
	v_fma_f32 v86, s19, v140, -v81
	;; [unrolled: 1-line block ×5, first 2 shown]
	s_delay_alu instid0(VALU_DEP_4) | instskip(NEXT) | instid1(VALU_DEP_4)
	v_dual_mul_f32 v85, 0x3fb8aa3b, v85 :: v_dual_mul_f32 v86, 0x3fb8aa3b, v86
	v_mul_f32_e32 v82, 0x3fb8aa3b, v82
	v_fma_f32 v96, s19, v124, -v81
	v_fma_f32 v99, s19, v127, -v81
	s_delay_alu instid0(VALU_DEP_4) | instskip(SKIP_3) | instid1(VALU_DEP_1)
	v_exp_f32_e32 v85, v85
	v_exp_f32_e32 v86, v86
	;; [unrolled: 1-line block ×3, first 2 shown]
	v_mul_f32_e32 v97, 0x3fb8aa3b, v96
	v_exp_f32_e32 v97, v97
	v_cndmask_b32_e64 v90, 0, v85, s4
	v_fma_f32 v85, s19, v144, -v81
	s_delay_alu instid0(TRANS32_DEP_3) | instskip(SKIP_1) | instid1(VALU_DEP_4)
	v_cndmask_b32_e64 v89, 0, v86, s5
	v_fma_f32 v86, s19, v121, -v81
	v_dual_add_f32 v84, v84, v90 :: v_dual_mul_f32 v91, 0x3fb8aa3b, v91
	s_delay_alu instid0(VALU_DEP_2) | instskip(NEXT) | instid1(TRANS32_DEP_1)
	v_mul_f32_e32 v86, 0x3fb8aa3b, v86
	v_cndmask_b32_e64 v97, 0, v97, s13
	s_delay_alu instid0(VALU_DEP_3)
	v_add_f32_e32 v84, v84, v89
	v_mul_f32_e32 v85, 0x3fb8aa3b, v85
	v_exp_f32_e32 v93, v91
	v_cndmask_b32_e64 v91, 0, v82, s7
	v_exp_f32_e32 v86, v86
	v_add_f32_e32 v82, v84, v92
	v_exp_f32_e32 v85, v85
	v_fma_f32 v84, s19, v123, -v81
	s_delay_alu instid0(VALU_DEP_2) | instskip(NEXT) | instid1(TRANS32_DEP_3)
	v_dual_mul_f32 v95, 0x3fb8aa3b, v94 :: v_dual_add_f32 v82, v82, v91
	v_cndmask_b32_e64 v94, 0, v93, s8
	s_delay_alu instid0(VALU_DEP_2) | instskip(NEXT) | instid1(TRANS32_DEP_3)
	v_exp_f32_e32 v95, v95
	v_cndmask_b32_e64 v96, 0, v86, s10
	v_fma_f32 v86, s19, v126, -v81
	s_delay_alu instid0(TRANS32_DEP_2) | instskip(SKIP_3) | instid1(VALU_DEP_3)
	v_cndmask_b32_e64 v93, 0, v85, s9
	v_fma_f32 v85, s19, v125, -v81
	v_mul_f32_e32 v84, 0x3fb8aa3b, v84
	v_add_f32_e32 v82, v82, v94
	v_dual_mul_f32 v86, 0x3fb8aa3b, v86 :: v_dual_mul_f32 v85, 0x3fb8aa3b, v85
	s_delay_alu instid0(VALU_DEP_3) | instskip(NEXT) | instid1(TRANS32_DEP_2)
	v_exp_f32_e32 v84, v84
	v_cndmask_b32_e64 v95, 0, v95, s11
	s_delay_alu instid0(VALU_DEP_2) | instskip(NEXT) | instid1(VALU_DEP_2)
	v_exp_f32_e32 v86, v86
	v_exp_f32_e32 v85, v85
	s_delay_alu instid0(TRANS32_DEP_3)
	v_cndmask_b32_e64 v98, 0, v84, s12
	v_mul_f32_e32 v84, 0x3fb8aa3b, v99
	v_fma_f32 v99, s19, v128, -v81
	v_add_f32_e32 v82, v82, v93
	s_waitcnt_depctr 0xfff
	v_cndmask_b32_e64 v100, 0, v85, s15
	v_exp_f32_e32 v84, v84
	v_dual_mul_f32 v85, 0x3fb8aa3b, v99 :: v_dual_add_f32 v82, v82, v96
	v_cndmask_b32_e64 v99, 0, v86, s16
	s_delay_alu instid0(VALU_DEP_2) | instskip(NEXT) | instid1(VALU_DEP_2)
	v_exp_f32_e32 v85, v85
	v_add_f32_e32 v82, v82, v95
	s_waitcnt_depctr 0xfff
	v_cndmask_b32_e64 v102, 0, v84, s17
	v_add_f32_e32 v82, v82, v98
	v_cndmask_b32_e64 v101, 0, v85, s18
	s_delay_alu instid0(VALU_DEP_2) | instskip(NEXT) | instid1(VALU_DEP_1)
	v_add_f32_e32 v82, v82, v97
	v_add_f32_e32 v82, v82, v100
	s_delay_alu instid0(VALU_DEP_1) | instskip(NEXT) | instid1(VALU_DEP_1)
	v_add_f32_e32 v82, v82, v99
	v_add_f32_e32 v82, v82, v102
	s_delay_alu instid0(VALU_DEP_1)
	v_add_f32_e32 v82, v82, v101
	ds_bpermute_b32 v83, v83, v82
	v_cmpx_gt_u32_e32 16, v80
	s_cbranch_execz .LBB187_14
; %bb.13:
	v_mul_u32_u24_e32 v80, 0x44, v79
	s_waitcnt lgkmcnt(0)
	v_add_f32_e32 v82, v82, v83
	s_delay_alu instid0(VALU_DEP_2) | instskip(NEXT) | instid1(VALU_DEP_1)
	v_lshl_add_u32 v80, v77, 2, v80
	v_add_nc_u32_e32 v80, 0x4000, v80
	ds_store_2addr_b32 v80, v81, v82 offset1:136
.LBB187_14:
	s_or_b32 exec_lo, exec_lo, s3
	v_lshlrev_b32_e32 v80, 2, v77
	s_load_b32 s35, s[0:1], 0x94
	s_waitcnt lgkmcnt(0)
	s_barrier
	buffer_gl0_inv
	v_add_nc_u32_e32 v84, 0x4000, v80
	v_cmp_eq_u32_e32 vcc_lo, 1, v79
	v_cmp_eq_u32_e64 s3, 2, v79
	v_cmp_eq_u32_e64 s4, 3, v79
	;; [unrolled: 1-line block ×3, first 2 shown]
	ds_load_2addr_b32 v[80:81], v84 offset1:17
	ds_load_2addr_b32 v[82:83], v84 offset0:34 offset1:51
	ds_load_2addr_b32 v[103:104], v84 offset0:68 offset1:85
	;; [unrolled: 1-line block ×3, first 2 shown]
	v_cmp_eq_u32_e64 s6, 7, v79
	s_waitcnt lgkmcnt(3)
	v_max3_f32 v85, v80, 0xff7fffff, v81
	s_waitcnt lgkmcnt(2)
	s_delay_alu instid0(VALU_DEP_1) | instskip(SKIP_1) | instid1(VALU_DEP_1)
	v_max3_f32 v85, v85, v82, v83
	s_waitcnt lgkmcnt(1)
	v_max3_f32 v85, v85, v103, v104
	s_waitcnt lgkmcnt(0)
	s_delay_alu instid0(VALU_DEP_1) | instskip(NEXT) | instid1(VALU_DEP_1)
	v_max3_f32 v85, v85, v105, v106
	v_sub_f32_e32 v103, v103, v85
	ds_load_2addr_b32 v[107:108], v84 offset0:136 offset1:153
	v_sub_f32_e32 v80, v80, v85
	v_dual_sub_f32 v110, v83, v85 :: v_dual_mul_f32 v113, 0x3fb8aa3b, v103
	s_delay_alu instid0(VALU_DEP_2) | instskip(SKIP_3) | instid1(VALU_DEP_1)
	v_dual_sub_f32 v86, v81, v85 :: v_dual_mul_f32 v109, 0x3fb8aa3b, v80
	ds_load_2addr_b32 v[80:81], v84 offset0:170 offset1:187
	v_mul_f32_e32 v86, 0x3fb8aa3b, v86
	v_exp_f32_e32 v109, v109
	v_exp_f32_e32 v112, v86
	v_mul_f32_e32 v110, 0x3fb8aa3b, v110
	s_waitcnt lgkmcnt(1)
	s_waitcnt_depctr 0xfff
	v_fma_f32 v86, v109, v107, 0
	v_sub_f32_e32 v107, v104, v85
	v_sub_f32_e32 v82, v82, v85
	v_exp_f32_e32 v110, v110
	ds_load_2addr_b32 v[103:104], v84 offset0:238 offset1:255
	v_dual_fmac_f32 v86, v112, v108 :: v_dual_mul_f32 v111, 0x3fb8aa3b, v82
	ds_load_2addr_b32 v[82:83], v84 offset0:204 offset1:221
	v_dual_sub_f32 v84, v105, v85 :: v_dual_mul_f32 v105, 0x3fb8aa3b, v107
	v_exp_f32_e32 v107, v113
	v_exp_f32_e32 v111, v111
	s_waitcnt lgkmcnt(0)
	s_delay_alu instid0(VALU_DEP_1)
	v_mul_f32_e32 v84, 0x3fb8aa3b, v84
	v_exp_f32_e32 v105, v105
	s_barrier
	buffer_gl0_inv
	v_fmac_f32_e32 v86, v111, v80
	v_sub_f32_e32 v80, v106, v85
	v_exp_f32_e32 v106, v84
	s_delay_alu instid0(VALU_DEP_2) | instskip(NEXT) | instid1(VALU_DEP_2)
	v_fmac_f32_e32 v86, v110, v81
	v_mul_f32_e32 v80, 0x3fb8aa3b, v80
	s_delay_alu instid0(VALU_DEP_2) | instskip(NEXT) | instid1(VALU_DEP_2)
	v_dual_cndmask_b32 v81, v109, v112 :: v_dual_fmac_f32 v86, v107, v82
	v_exp_f32_e32 v108, v80
	s_delay_alu instid0(VALU_DEP_1) | instskip(SKIP_2) | instid1(VALU_DEP_1)
	v_fmac_f32_e32 v86, v105, v83
	s_waitcnt_depctr 0xfff
	v_fmac_f32_e32 v86, v106, v103
	v_fmac_f32_e32 v86, v108, v104
	s_delay_alu instid0(VALU_DEP_1) | instskip(NEXT) | instid1(VALU_DEP_1)
	v_add_f32_e32 v103, 0x358637bd, v86
	v_div_scale_f32 v104, null, v103, v103, 1.0
	v_div_scale_f32 v109, vcc_lo, 1.0, v103, 1.0
	s_delay_alu instid0(VALU_DEP_2) | instskip(SKIP_2) | instid1(VALU_DEP_1)
	v_rcp_f32_e32 v113, v104
	s_waitcnt_depctr 0xfff
	v_fma_f32 v80, -v104, v113, 1.0
	v_fmac_f32_e32 v113, v80, v113
	v_cndmask_b32_e64 v80, v81, v111, s3
	v_cmp_eq_u32_e64 s3, 4, v79
	v_lshl_or_b32 v81, v79, 11, v78
	s_delay_alu instid0(VALU_DEP_4) | instskip(NEXT) | instid1(VALU_DEP_4)
	v_mul_f32_e32 v111, v109, v113
	v_cndmask_b32_e64 v82, v80, v110, s4
	v_cmp_eq_u32_e64 s4, 6, v79
	s_delay_alu instid0(VALU_DEP_4) | instskip(SKIP_3) | instid1(VALU_DEP_3)
	v_lshl_or_b32 v79, v75, 4, v81
	v_lshlrev_b32_e32 v80, 2, v75
	v_fma_f32 v83, -v104, v111, v109
	v_cndmask_b32_e64 v84, v82, v107, s3
	v_or_b32_e32 v82, 1, v80
	s_delay_alu instid0(VALU_DEP_3) | instskip(NEXT) | instid1(VALU_DEP_3)
	v_fmac_f32_e32 v111, v83, v113
	v_cndmask_b32_e64 v105, v84, v105, s5
	v_or_b32_e32 v84, 2, v80
	v_or_b32_e32 v83, 3, v80
	v_cmp_eq_u32_e64 s3, 1, v80
	v_fma_f32 v104, -v104, v111, v109
	v_cndmask_b32_e64 v105, v105, v106, s4
	v_cmp_eq_u32_e64 s9, 1, v82
	v_cmp_eq_u32_e64 s10, 1, v84
	;; [unrolled: 1-line block ×3, first 2 shown]
	v_div_fmas_f32 v104, v104, v113, v111
	v_cndmask_b32_e64 v105, v105, v108, s6
	v_cmp_eq_u32_e32 vcc_lo, 2, v80
	v_cmp_eq_u32_e64 s12, 2, v82
	v_cmp_eq_u32_e64 s15, 2, v84
	v_div_fixup_f32 v103, v104, v103, 1.0
	v_cmp_eq_u32_e64 s16, 2, v83
	v_cmp_eq_u32_e64 s18, 3, v83
	;; [unrolled: 1-line block ×4, first 2 shown]
	v_mul_f32_e32 v111, v105, v103
	v_cmp_eq_u32_e64 s17, 3, v84
	v_cmp_eq_u32_e64 s22, 4, v83
	;; [unrolled: 1-line block ×4, first 2 shown]
	v_fma_mixlo_f16 v103, v111, v88, 0
	v_fma_mixlo_f16 v104, v111, v90, 0
	;; [unrolled: 1-line block ×8, first 2 shown]
	v_fma_mixhi_f16 v103, v111, v87, 0
	v_fma_mixhi_f16 v104, v111, v89, 0
	;; [unrolled: 1-line block ×8, first 2 shown]
	ds_store_b128 v79, v[103:106]
	ds_store_b128 v79, v[107:110] offset:1024
	s_waitcnt lgkmcnt(0)
	s_barrier
	buffer_gl0_inv
	ds_load_b128 v[87:90], v81
	ds_load_b128 v[91:94], v81 offset:16
	ds_load_b128 v[95:98], v81 offset:1024
	;; [unrolled: 1-line block ×3, first 2 shown]
	v_cmp_eq_u32_e64 s21, 4, v84
	v_cmp_eq_u32_e64 s24, 5, v83
	;; [unrolled: 1-line block ×13, first 2 shown]
	s_waitcnt lgkmcnt(3)
	v_lshrrev_b32_e32 v103, 16, v87
	s_waitcnt lgkmcnt(2)
	v_lshrrev_b32_e32 v107, 16, v91
	;; [unrolled: 2-line block ×4, first 2 shown]
	v_lshrrev_b32_e32 v104, 16, v88
	v_cndmask_b32_e64 v119, v87, v103, s3
	v_cndmask_b32_e64 v120, v91, v107, s3
	;; [unrolled: 1-line block ×8, first 2 shown]
	v_lshrrev_b32_e32 v108, 16, v92
	v_cndmask_b32_e64 v103, v95, v111, s3
	v_cndmask_b32_e64 v107, v99, v115, s3
	;; [unrolled: 1-line block ×5, first 2 shown]
	v_cndmask_b32_e32 v111, v119, v88, vcc_lo
	v_cndmask_b32_e64 v119, v121, v88, s12
	v_cndmask_b32_e64 v121, v123, v88, s15
	;; [unrolled: 1-line block ×4, first 2 shown]
	v_lshrrev_b32_e32 v112, 16, v96
	v_lshrrev_b32_e32 v116, 16, v100
	v_cndmask_b32_e64 v126, v99, v115, s9
	v_cndmask_b32_e64 v128, v99, v115, s10
	;; [unrolled: 1-line block ×3, first 2 shown]
	v_cndmask_b32_e32 v115, v120, v92, vcc_lo
	v_cndmask_b32_e64 v120, v122, v92, s12
	v_cndmask_b32_e64 v122, v124, v92, s15
	v_cndmask_b32_e32 v91, v103, v96, vcc_lo
	v_cndmask_b32_e32 v92, v107, v100, vcc_lo
	v_cndmask_b32_e64 v103, v125, v96, s12
	v_cndmask_b32_e64 v87, v87, v104, s18
	;; [unrolled: 1-line block ×3, first 2 shown]
	v_lshrrev_b32_e32 v105, 16, v89
	v_lshrrev_b32_e32 v109, 16, v93
	v_cndmask_b32_e64 v107, v127, v96, s15
	v_cndmask_b32_e64 v95, v95, v96, s16
	;; [unrolled: 1-line block ×14, first 2 shown]
	v_lshrrev_b32_e32 v113, 16, v97
	v_cndmask_b32_e64 v99, v99, v89, s5
	v_cndmask_b32_e64 v104, v111, v93, s5
	;; [unrolled: 1-line block ×11, first 2 shown]
	v_lshrrev_b32_e32 v106, 16, v90
	v_lshrrev_b32_e32 v110, 16, v94
	v_cndmask_b32_e64 v93, v99, v105, s6
	v_cndmask_b32_e64 v99, v104, v109, s6
	;; [unrolled: 1-line block ×9, first 2 shown]
	v_lshrrev_b32_e32 v114, 16, v98
	v_cndmask_b32_e64 v89, v89, v113, s6
	v_cndmask_b32_e64 v93, v93, v90, s7
	;; [unrolled: 1-line block ×19, first 2 shown]
	v_perm_b32 v90, v88, v87, 0x5040100
	v_cndmask_b32_e64 v87, v126, v100, s12
	v_cndmask_b32_e64 v105, v89, v114, s8
	v_perm_b32 v89, v103, v99, 0x5040100
	v_perm_b32 v88, v104, v94, 0x5040100
	v_cndmask_b32_e64 v94, v107, v112, s17
	v_cndmask_b32_e64 v95, v95, v112, s18
	;; [unrolled: 1-line block ×5, first 2 shown]
	v_lshrrev_b32_e32 v117, 16, v101
	v_cndmask_b32_e64 v94, v94, v97, s21
	v_cndmask_b32_e64 v95, v95, v97, s22
	;; [unrolled: 1-line block ×11, first 2 shown]
	v_lshrrev_b32_e32 v118, 16, v102
	v_cndmask_b32_e64 v91, v91, v102, s7
	v_cndmask_b32_e64 v94, v94, v98, s26
	;; [unrolled: 1-line block ×12, first 2 shown]
	v_perm_b32 v87, v93, v92, 0x5040100
	v_perm_b32 v94, v95, v94, 0x5040100
	;; [unrolled: 1-line block ×5, first 2 shown]
	s_mul_i32 s7, s33, 14
	s_mov_b32 s3, exec_lo
	ds_store_b128 v79, v[87:90]
	ds_store_b128 v79, v[91:94] offset:1024
	v_cmpx_gt_u32_e32 14, v0
	s_cbranch_execz .LBB187_16
; %bb.15:
	s_mul_i32 s4, s7, s34
	s_load_b128 s[8:11], s[0:1], 0x58
	v_add3_u32 v77, s4, s31, v77
	s_delay_alu instid0(VALU_DEP_1) | instskip(NEXT) | instid1(VALU_DEP_1)
	v_mad_u64_u32 v[87:88], null, v77, s35, s[14:15]
	v_ashrrev_i32_e32 v88, 31, v87
	s_delay_alu instid0(VALU_DEP_1) | instskip(SKIP_1) | instid1(VALU_DEP_1)
	v_lshlrev_b64 v[87:88], 2, v[87:88]
	s_waitcnt lgkmcnt(0)
	v_add_co_u32 v89, vcc_lo, s10, v87
	s_delay_alu instid0(VALU_DEP_2)
	v_add_co_ci_u32_e32 v90, vcc_lo, s11, v88, vcc_lo
	v_add_co_u32 v87, vcc_lo, s8, v87
	v_add_co_ci_u32_e32 v88, vcc_lo, s9, v88, vcc_lo
	global_store_b32 v[89:90], v85, off
	global_store_b32 v[87:88], v86, off
.LBB187_16:
	s_or_b32 exec_lo, exec_lo, s3
	s_waitcnt lgkmcnt(0)
	s_waitcnt_vscnt null, 0x0
	s_barrier
	buffer_gl0_inv
	ds_load_b128 v[93:96], v78
	ds_load_b128 v[97:100], v78 offset:16
	ds_load_b128 v[105:108], v78 offset:1040
	;; [unrolled: 1-line block ×5, first 2 shown]
	v_cmp_eq_u32_e32 vcc_lo, 1, v84
	v_mov_b32_e32 v85, 0
	ds_load_b128 v[121:124], v78 offset:3088
	ds_load_b128 v[117:120], v78 offset:3072
	;; [unrolled: 1-line block ×4, first 2 shown]
	v_cmp_eq_u32_e64 s3, 1, v80
	v_cmp_eq_u32_e64 s4, 1, v83
	v_cmp_eq_u32_e64 s5, 1, v82
	v_mov_b32_e32 v86, v85
	v_mov_b32_e32 v87, v85
	;; [unrolled: 1-line block ×7, first 2 shown]
	v_cmp_eq_u32_e64 s6, 2, v80
	s_waitcnt lgkmcnt(8)
	s_delay_alu instid0(VALU_DEP_2)
	v_wmma_f32_16x16x16_f16 v[85:92], v[65:72], v[93:100], v[85:92]
	ds_load_b128 v[69:72], v78 offset:5136
	ds_load_b128 v[65:68], v78 offset:5120
	;; [unrolled: 1-line block ×4, first 2 shown]
	s_waitcnt lgkmcnt(10)
	v_wmma_f32_16x16x16_f16 v[85:92], v[57:64], v[101:108], v[85:92]
	s_waitcnt lgkmcnt(8)
	s_delay_alu instid0(VALU_DEP_1)
	v_wmma_f32_16x16x16_f16 v[85:92], v[57:64], v[109:116], v[85:92]
	ds_load_b128 v[61:64], v78 offset:7184
	ds_load_b128 v[57:60], v78 offset:7168
	;; [unrolled: 1-line block ×4, first 2 shown]
	s_waitcnt lgkmcnt(10)
	v_wmma_f32_16x16x16_f16 v[85:92], v[49:56], v[117:124], v[85:92]
	s_waitcnt lgkmcnt(8)
	s_delay_alu instid0(VALU_DEP_1)
	v_wmma_f32_16x16x16_f16 v[85:92], v[49:56], v[125:132], v[85:92]
	ds_load_b128 v[53:56], v78 offset:9232
	ds_load_b128 v[49:52], v78 offset:9216
	s_waitcnt lgkmcnt(8)
	v_wmma_f32_16x16x16_f16 v[85:92], v[41:48], v[65:72], v[85:92]
	ds_load_b128 v[69:72], v78 offset:10256
	ds_load_b128 v[65:68], v78 offset:10240
	s_waitcnt lgkmcnt(8)
	;; [unrolled: 4-line block ×7, first 2 shown]
	s_barrier
	buffer_gl0_inv
	v_wmma_f32_16x16x16_f16 v[85:92], v[33:40], v[41:48], v[85:92]
	s_delay_alu instid0(VALU_DEP_1) | instskip(NEXT) | instid1(VALU_DEP_1)
	v_wmma_f32_16x16x16_f16 v[85:92], v[33:40], v[57:64], v[85:92]
	v_wmma_f32_16x16x16_f16 v[85:92], v[25:32], v[9:16], v[85:92]
	s_delay_alu instid0(VALU_DEP_1) | instskip(NEXT) | instid1(VALU_DEP_1)
	v_wmma_f32_16x16x16_f16 v[85:92], v[25:32], v[49:56], v[85:92]
	v_wmma_f32_16x16x16_f16 v[85:92], v[17:24], v[1:8], v[85:92]
	s_delay_alu instid0(VALU_DEP_1) | instskip(NEXT) | instid1(VALU_DEP_2)
	v_cvt_f16_f32_e32 v1, v85
	v_cvt_f16_f32_e32 v2, v86
	s_delay_alu instid0(VALU_DEP_3) | instskip(NEXT) | instid1(VALU_DEP_4)
	v_cvt_f16_f32_e32 v3, v87
	v_cvt_f16_f32_e32 v4, v88
	;; [unrolled: 1-line block ×6, first 2 shown]
	v_pack_b32_f16 v1, v1, v2
	v_pack_b32_f16 v2, v3, v4
	;; [unrolled: 1-line block ×3, first 2 shown]
	s_delay_alu instid0(VALU_DEP_4)
	v_pack_b32_f16 v4, v7, v8
	ds_store_b128 v79, v[1:4]
	s_waitcnt lgkmcnt(0)
	s_barrier
	buffer_gl0_inv
	ds_load_b128 v[1:4], v81
	ds_load_b128 v[5:8], v81 offset:16
	s_waitcnt lgkmcnt(1)
	v_lshrrev_b32_e32 v9, 16, v1
	s_waitcnt lgkmcnt(0)
	v_lshrrev_b32_e32 v13, 16, v5
	v_lshrrev_b32_e32 v15, 16, v7
	;; [unrolled: 1-line block ×4, first 2 shown]
	v_cndmask_b32_e64 v17, v1, v9, s3
	v_cndmask_b32_e64 v18, v5, v13, s3
	;; [unrolled: 1-line block ×3, first 2 shown]
	v_cmp_eq_u32_e64 s3, 2, v82
	v_cndmask_b32_e64 v20, v5, v13, s5
	v_cndmask_b32_e32 v21, v1, v9, vcc_lo
	v_cndmask_b32_e32 v22, v5, v13, vcc_lo
	v_cndmask_b32_e64 v1, v1, v9, s4
	v_cndmask_b32_e64 v5, v5, v13, s4
	v_cmp_eq_u32_e32 vcc_lo, 2, v84
	v_cmp_eq_u32_e64 s4, 2, v83
	v_cndmask_b32_e64 v9, v17, v2, s6
	v_cndmask_b32_e64 v13, v18, v6, s6
	;; [unrolled: 1-line block ×4, first 2 shown]
	v_cndmask_b32_e32 v19, v21, v2, vcc_lo
	v_cmp_eq_u32_e64 s3, 3, v84
	v_cndmask_b32_e32 v20, v22, v6, vcc_lo
	v_cndmask_b32_e64 v1, v1, v2, s4
	v_cmp_eq_u32_e32 vcc_lo, 3, v83
	v_cmp_eq_u32_e64 s5, 3, v80
	v_cndmask_b32_e64 v2, v5, v6, s4
	v_cmp_eq_u32_e64 s4, 3, v82
	v_lshrrev_b32_e32 v16, 16, v8
	v_cmp_eq_u32_e64 s6, 4, v80
	v_cndmask_b32_e64 v5, v9, v10, s5
	v_cndmask_b32_e64 v6, v13, v14, s5
	;; [unrolled: 1-line block ×3, first 2 shown]
	v_cmp_eq_u32_e64 s5, 4, v82
	v_cndmask_b32_e64 v13, v18, v14, s4
	v_cndmask_b32_e64 v17, v19, v10, s3
	;; [unrolled: 1-line block ×3, first 2 shown]
	v_cndmask_b32_e32 v1, v1, v10, vcc_lo
	v_cndmask_b32_e32 v2, v2, v14, vcc_lo
	v_cmp_eq_u32_e32 vcc_lo, 4, v84
	v_cmp_eq_u32_e64 s4, 4, v83
	v_lshrrev_b32_e32 v11, 16, v3
	v_cndmask_b32_e64 v5, v5, v3, s6
	v_cndmask_b32_e64 v6, v6, v7, s6
	;; [unrolled: 1-line block ×4, first 2 shown]
	v_cndmask_b32_e32 v13, v17, v3, vcc_lo
	v_cmp_eq_u32_e64 s3, 5, v84
	v_cndmask_b32_e32 v14, v18, v7, vcc_lo
	v_cndmask_b32_e64 v1, v1, v3, s4
	v_cmp_eq_u32_e32 vcc_lo, 5, v83
	v_cmp_eq_u32_e64 s5, 5, v80
	v_cndmask_b32_e64 v2, v2, v7, s4
	v_cmp_eq_u32_e64 s4, 5, v82
	v_cmp_eq_u32_e64 s6, 6, v80
	v_cndmask_b32_e32 v1, v1, v11, vcc_lo
	v_cndmask_b32_e64 v3, v5, v11, s5
	v_cndmask_b32_e64 v5, v6, v15, s5
	;; [unrolled: 1-line block ×3, first 2 shown]
	v_cmp_eq_u32_e64 s5, 6, v82
	v_cndmask_b32_e64 v7, v10, v15, s4
	v_cndmask_b32_e64 v9, v13, v11, s3
	;; [unrolled: 1-line block ×3, first 2 shown]
	v_cndmask_b32_e32 v2, v2, v15, vcc_lo
	v_cmp_eq_u32_e32 vcc_lo, 6, v84
	v_cmp_eq_u32_e64 s3, 6, v83
	v_lshrrev_b32_e32 v12, 16, v4
	v_cndmask_b32_e64 v3, v3, v4, s6
	v_cndmask_b32_e64 v5, v5, v8, s6
	;; [unrolled: 1-line block ×4, first 2 shown]
	v_cndmask_b32_e32 v9, v9, v4, vcc_lo
	v_cmp_eq_u32_e64 s4, 7, v84
	v_cndmask_b32_e32 v10, v10, v8, vcc_lo
	v_cndmask_b32_e64 v1, v1, v4, s3
	v_cmp_eq_u32_e32 vcc_lo, 7, v83
	v_cndmask_b32_e64 v2, v2, v8, s3
	v_cmp_eq_u32_e64 s3, 7, v80
	v_cmp_eq_u32_e64 s5, 7, v82
	v_cndmask_b32_e32 v1, v1, v12, vcc_lo
	s_delay_alu instid0(VALU_DEP_4) | instskip(NEXT) | instid1(VALU_DEP_4)
	v_cndmask_b32_e32 v2, v2, v16, vcc_lo
	v_cndmask_b32_e64 v8, v3, v12, s3
	s_delay_alu instid0(VALU_DEP_4)
	v_cndmask_b32_e64 v6, v6, v12, s5
	v_cndmask_b32_e64 v3, v9, v12, s4
	;; [unrolled: 1-line block ×5, first 2 shown]
	v_cmp_gt_u32_e32 vcc_lo, 32, v0
	v_perm_b32 v4, v2, v1, 0x5040100
	v_perm_b32 v3, v9, v3, 0x5040100
	;; [unrolled: 1-line block ×4, first 2 shown]
	s_and_b32 s2, vcc_lo, s2
	ds_store_b128 v79, v[1:4]
	s_waitcnt lgkmcnt(0)
	s_barrier
	buffer_gl0_inv
	s_and_saveexec_b32 s3, s2
	s_cbranch_execz .LBB187_2
; %bb.17:
	s_load_b64 s[0:1], s[0:1], 0x68
	v_lshlrev_b32_e32 v0, 10, v0
	s_lshl_b32 s4, s35, 6
	v_or_b32_e32 v3, s31, v75
	s_mul_i32 s2, s4, s34
	v_lshlrev_b32_e32 v1, 4, v76
	v_lshlrev_b32_e32 v2, 6, v75
	v_and_b32_e32 v0, 0x3800, v0
	s_mul_i32 s2, s2, s7
	v_mul_lo_u32 v8, v3, s4
	s_ashr_i32 s3, s2, 31
	s_delay_alu instid0(SALU_CYCLE_1)
	s_lshl_b64 s[2:3], s[2:3], 1
	v_or3_b32 v16, v0, v1, v2
	ds_load_b128 v[0:3], v16
	ds_load_b128 v[4:7], v16 offset:128
	v_ashrrev_i32_e32 v9, 31, v8
	s_waitcnt lgkmcnt(0)
	s_add_u32 s2, s0, s2
	s_addc_u32 s3, s1, s3
	s_lshl_b32 s0, s14, 6
	s_delay_alu instid0(SALU_CYCLE_1) | instskip(SKIP_2) | instid1(SALU_CYCLE_1)
	s_ashr_i32 s1, s0, 31
	v_lshlrev_b64 v[9:10], 1, v[8:9]
	s_lshl_b64 s[0:1], s[0:1], 1
	s_add_u32 s0, s2, s0
	s_addc_u32 s1, s3, s1
	s_lshl_b32 s2, s35, 7
	v_add_co_u32 v30, vcc_lo, s0, v73
	v_add_nc_u32_e32 v11, s2, v8
	v_add_co_ci_u32_e32 v31, vcc_lo, s1, v74, vcc_lo
	s_delay_alu instid0(VALU_DEP_3) | instskip(NEXT) | instid1(VALU_DEP_3)
	v_add_co_u32 v9, vcc_lo, v30, v9
	v_add_nc_u32_e32 v8, s2, v11
	s_delay_alu instid0(VALU_DEP_3) | instskip(SKIP_1) | instid1(VALU_DEP_3)
	v_add_co_ci_u32_e32 v10, vcc_lo, v31, v10, vcc_lo
	v_ashrrev_i32_e32 v12, 31, v11
	v_add_nc_u32_e32 v13, s2, v8
	global_store_b128 v[9:10], v[0:3], off
	v_ashrrev_i32_e32 v9, 31, v8
	v_lshlrev_b64 v[11:12], 1, v[11:12]
	v_ashrrev_i32_e32 v14, 31, v13
	v_add_nc_u32_e32 v10, s2, v13
	s_delay_alu instid0(VALU_DEP_4) | instskip(NEXT) | instid1(VALU_DEP_4)
	v_lshlrev_b64 v[2:3], 1, v[8:9]
	v_add_co_u32 v0, vcc_lo, v30, v11
	s_delay_alu instid0(VALU_DEP_4)
	v_lshlrev_b64 v[8:9], 1, v[13:14]
	v_add_co_ci_u32_e32 v1, vcc_lo, v31, v12, vcc_lo
	v_ashrrev_i32_e32 v11, 31, v10
	v_add_co_u32 v22, vcc_lo, v30, v2
	v_add_nc_u32_e32 v20, s2, v10
	v_add_co_ci_u32_e32 v23, vcc_lo, v31, v3, vcc_lo
	v_add_co_u32 v24, vcc_lo, v30, v8
	global_store_b128 v[0:1], v[4:7], off
	v_add_co_ci_u32_e32 v25, vcc_lo, v31, v9, vcc_lo
	ds_load_b128 v[0:3], v16 offset:256
	ds_load_b128 v[4:7], v16 offset:384
	v_lshlrev_b64 v[26:27], 1, v[10:11]
	ds_load_b128 v[8:11], v16 offset:512
	ds_load_b128 v[12:15], v16 offset:640
	;; [unrolled: 1-line block ×3, first 2 shown]
	v_add_nc_u32_e32 v28, s2, v20
	v_ashrrev_i32_e32 v21, 31, v20
	v_add_co_u32 v26, vcc_lo, v30, v26
	s_delay_alu instid0(VALU_DEP_3) | instskip(NEXT) | instid1(VALU_DEP_3)
	v_ashrrev_i32_e32 v29, 31, v28
	v_lshlrev_b64 v[20:21], 1, v[20:21]
	v_add_co_ci_u32_e32 v27, vcc_lo, v31, v27, vcc_lo
	s_delay_alu instid0(VALU_DEP_3) | instskip(NEXT) | instid1(VALU_DEP_3)
	v_lshlrev_b64 v[28:29], 1, v[28:29]
	v_add_co_u32 v20, vcc_lo, v30, v20
	s_delay_alu instid0(VALU_DEP_4) | instskip(NEXT) | instid1(VALU_DEP_3)
	v_add_co_ci_u32_e32 v21, vcc_lo, v31, v21, vcc_lo
	v_add_co_u32 v28, vcc_lo, v30, v28
	s_delay_alu instid0(VALU_DEP_4)
	v_add_co_ci_u32_e32 v29, vcc_lo, v31, v29, vcc_lo
	s_waitcnt lgkmcnt(4)
	global_store_b128 v[22:23], v[0:3], off
	s_waitcnt lgkmcnt(3)
	global_store_b128 v[24:25], v[4:7], off
	;; [unrolled: 2-line block ×5, first 2 shown]
	s_nop 0
	s_sendmsg sendmsg(MSG_DEALLOC_VGPRS)
	s_endpgm
	.section	.rodata,"a",@progbits
	.p2align	6, 0x0
	.amdhsa_kernel _Z39paged_attention_ll4mi_QKV_mfma16_kernelIDF16_DF16_LN4vllm18Fp8KVCacheDataTypeE0EDF16_Li32ELi64ELi256ELb0ELi14EL8MFMAType0EEvPKT_PKT0_S8_ifPKiSA_SA_iPKfiiiPfSD_PS3_PT2_iSC_SC_
		.amdhsa_group_segment_fixed_size 17472
		.amdhsa_private_segment_fixed_size 0
		.amdhsa_kernarg_size 400
		.amdhsa_user_sgpr_count 13
		.amdhsa_user_sgpr_dispatch_ptr 0
		.amdhsa_user_sgpr_queue_ptr 0
		.amdhsa_user_sgpr_kernarg_segment_ptr 1
		.amdhsa_user_sgpr_dispatch_id 0
		.amdhsa_user_sgpr_private_segment_size 0
		.amdhsa_wavefront_size32 1
		.amdhsa_uses_dynamic_stack 0
		.amdhsa_enable_private_segment 0
		.amdhsa_system_sgpr_workgroup_id_x 1
		.amdhsa_system_sgpr_workgroup_id_y 1
		.amdhsa_system_sgpr_workgroup_id_z 1
		.amdhsa_system_sgpr_workgroup_info 0
		.amdhsa_system_vgpr_workitem_id 0
		.amdhsa_next_free_vgpr 154
		.amdhsa_next_free_sgpr 39
		.amdhsa_reserve_vcc 1
		.amdhsa_float_round_mode_32 0
		.amdhsa_float_round_mode_16_64 0
		.amdhsa_float_denorm_mode_32 3
		.amdhsa_float_denorm_mode_16_64 3
		.amdhsa_dx10_clamp 1
		.amdhsa_ieee_mode 1
		.amdhsa_fp16_overflow 0
		.amdhsa_workgroup_processor_mode 1
		.amdhsa_memory_ordered 1
		.amdhsa_forward_progress 0
		.amdhsa_shared_vgpr_count 0
		.amdhsa_exception_fp_ieee_invalid_op 0
		.amdhsa_exception_fp_denorm_src 0
		.amdhsa_exception_fp_ieee_div_zero 0
		.amdhsa_exception_fp_ieee_overflow 0
		.amdhsa_exception_fp_ieee_underflow 0
		.amdhsa_exception_fp_ieee_inexact 0
		.amdhsa_exception_int_div_zero 0
	.end_amdhsa_kernel
	.section	.text._Z39paged_attention_ll4mi_QKV_mfma16_kernelIDF16_DF16_LN4vllm18Fp8KVCacheDataTypeE0EDF16_Li32ELi64ELi256ELb0ELi14EL8MFMAType0EEvPKT_PKT0_S8_ifPKiSA_SA_iPKfiiiPfSD_PS3_PT2_iSC_SC_,"axG",@progbits,_Z39paged_attention_ll4mi_QKV_mfma16_kernelIDF16_DF16_LN4vllm18Fp8KVCacheDataTypeE0EDF16_Li32ELi64ELi256ELb0ELi14EL8MFMAType0EEvPKT_PKT0_S8_ifPKiSA_SA_iPKfiiiPfSD_PS3_PT2_iSC_SC_,comdat
.Lfunc_end187:
	.size	_Z39paged_attention_ll4mi_QKV_mfma16_kernelIDF16_DF16_LN4vllm18Fp8KVCacheDataTypeE0EDF16_Li32ELi64ELi256ELb0ELi14EL8MFMAType0EEvPKT_PKT0_S8_ifPKiSA_SA_iPKfiiiPfSD_PS3_PT2_iSC_SC_, .Lfunc_end187-_Z39paged_attention_ll4mi_QKV_mfma16_kernelIDF16_DF16_LN4vllm18Fp8KVCacheDataTypeE0EDF16_Li32ELi64ELi256ELb0ELi14EL8MFMAType0EEvPKT_PKT0_S8_ifPKiSA_SA_iPKfiiiPfSD_PS3_PT2_iSC_SC_
                                        ; -- End function
	.section	.AMDGPU.csdata,"",@progbits
; Kernel info:
; codeLenInByte = 7364
; NumSgprs: 41
; NumVgprs: 154
; ScratchSize: 0
; MemoryBound: 0
; FloatMode: 240
; IeeeMode: 1
; LDSByteSize: 17472 bytes/workgroup (compile time only)
; SGPRBlocks: 5
; VGPRBlocks: 19
; NumSGPRsForWavesPerEU: 41
; NumVGPRsForWavesPerEU: 154
; Occupancy: 9
; WaveLimiterHint : 1
; COMPUTE_PGM_RSRC2:SCRATCH_EN: 0
; COMPUTE_PGM_RSRC2:USER_SGPR: 13
; COMPUTE_PGM_RSRC2:TRAP_HANDLER: 0
; COMPUTE_PGM_RSRC2:TGID_X_EN: 1
; COMPUTE_PGM_RSRC2:TGID_Y_EN: 1
; COMPUTE_PGM_RSRC2:TGID_Z_EN: 1
; COMPUTE_PGM_RSRC2:TIDIG_COMP_CNT: 0
	.section	.text._Z39paged_attention_ll4mi_QKV_mfma16_kernelIDF16_DF16_LN4vllm18Fp8KVCacheDataTypeE0EDF16_Li32ELi64ELi256ELb0ELi15EL8MFMAType0EEvPKT_PKT0_S8_ifPKiSA_SA_iPKfiiiPfSD_PS3_PT2_iSC_SC_,"axG",@progbits,_Z39paged_attention_ll4mi_QKV_mfma16_kernelIDF16_DF16_LN4vllm18Fp8KVCacheDataTypeE0EDF16_Li32ELi64ELi256ELb0ELi15EL8MFMAType0EEvPKT_PKT0_S8_ifPKiSA_SA_iPKfiiiPfSD_PS3_PT2_iSC_SC_,comdat
	.protected	_Z39paged_attention_ll4mi_QKV_mfma16_kernelIDF16_DF16_LN4vllm18Fp8KVCacheDataTypeE0EDF16_Li32ELi64ELi256ELb0ELi15EL8MFMAType0EEvPKT_PKT0_S8_ifPKiSA_SA_iPKfiiiPfSD_PS3_PT2_iSC_SC_ ; -- Begin function _Z39paged_attention_ll4mi_QKV_mfma16_kernelIDF16_DF16_LN4vllm18Fp8KVCacheDataTypeE0EDF16_Li32ELi64ELi256ELb0ELi15EL8MFMAType0EEvPKT_PKT0_S8_ifPKiSA_SA_iPKfiiiPfSD_PS3_PT2_iSC_SC_
	.globl	_Z39paged_attention_ll4mi_QKV_mfma16_kernelIDF16_DF16_LN4vllm18Fp8KVCacheDataTypeE0EDF16_Li32ELi64ELi256ELb0ELi15EL8MFMAType0EEvPKT_PKT0_S8_ifPKiSA_SA_iPKfiiiPfSD_PS3_PT2_iSC_SC_
	.p2align	8
	.type	_Z39paged_attention_ll4mi_QKV_mfma16_kernelIDF16_DF16_LN4vllm18Fp8KVCacheDataTypeE0EDF16_Li32ELi64ELi256ELb0ELi15EL8MFMAType0EEvPKT_PKT0_S8_ifPKiSA_SA_iPKfiiiPfSD_PS3_PT2_iSC_SC_,@function
_Z39paged_attention_ll4mi_QKV_mfma16_kernelIDF16_DF16_LN4vllm18Fp8KVCacheDataTypeE0EDF16_Li32ELi64ELi256ELb0ELi15EL8MFMAType0EEvPKT_PKT0_S8_ifPKiSA_SA_iPKfiiiPfSD_PS3_PT2_iSC_SC_: ; @_Z39paged_attention_ll4mi_QKV_mfma16_kernelIDF16_DF16_LN4vllm18Fp8KVCacheDataTypeE0EDF16_Li32ELi64ELi256ELb0ELi15EL8MFMAType0EEvPKT_PKT0_S8_ifPKiSA_SA_iPKfiiiPfSD_PS3_PT2_iSC_SC_
; %bb.0:
	s_load_b64 s[2:3], s[0:1], 0x30
	s_mov_b32 s34, s13
	s_waitcnt lgkmcnt(0)
	s_cmp_lg_u64 s[2:3], 0
	s_cselect_b32 s6, -1, 0
	s_ashr_i32 s35, s13, 31
	s_cmp_eq_u64 s[2:3], 0
	s_cbranch_scc1 .LBB188_3
; %bb.1:
	s_lshl_b64 s[4:5], s[34:35], 2
	s_delay_alu instid0(SALU_CYCLE_1) | instskip(SKIP_4) | instid1(SALU_CYCLE_1)
	s_add_u32 s4, s2, s4
	s_addc_u32 s5, s3, s5
	s_load_b64 s[4:5], s[4:5], 0x0
	s_waitcnt lgkmcnt(0)
	s_sub_i32 s4, s5, s4
	s_cmp_eq_u32 s4, 1
	s_cselect_b32 s4, -1, 0
	s_delay_alu instid0(SALU_CYCLE_1)
	s_and_not1_b32 vcc_lo, exec_lo, s4
	s_cbranch_vccz .LBB188_4
.LBB188_2:
	s_nop 0
	s_sendmsg sendmsg(MSG_DEALLOC_VGPRS)
	s_endpgm
.LBB188_3:
.LBB188_4:
	s_load_b64 s[8:9], s[0:1], 0x28
	s_lshl_b64 s[4:5], s[34:35], 2
	s_waitcnt lgkmcnt(0)
	s_add_u32 s8, s8, s4
	s_addc_u32 s9, s9, s5
	s_lshl_b32 s16, s14, 8
	s_load_b32 s18, s[8:9], 0x0
	s_waitcnt lgkmcnt(0)
	s_cmp_ge_i32 s16, s18
	s_cbranch_scc1 .LBB188_2
; %bb.5:
	s_and_not1_b32 vcc_lo, exec_lo, s6
	s_cbranch_vccnz .LBB188_7
; %bb.6:
	s_add_u32 s2, s2, s4
	s_addc_u32 s3, s3, s5
	s_load_b32 s17, s[2:3], 0x0
	s_branch .LBB188_8
.LBB188_7:
	s_mov_b32 s17, s34
.LBB188_8:
	s_clause 0x2
	s_load_b128 s[8:11], s[0:1], 0x8
	s_load_b64 s[12:13], s[0:1], 0x20
	s_load_b128 s[4:7], s[0:1], 0x48
	v_lshrrev_b32_e32 v78, 5, v0
	v_bfe_u32 v75, v0, 4, 1
	v_and_b32_e32 v77, 15, v0
	s_delay_alu instid0(VALU_DEP_2) | instskip(NEXT) | instid1(VALU_DEP_2)
	v_lshl_or_b32 v3, v78, 1, v75
	v_cmp_lt_u32_e64 s3, 7, v77
	v_lshlrev_b32_e32 v1, 3, v77
	v_cmp_gt_u32_e64 s2, 8, v77
	s_delay_alu instid0(VALU_DEP_4) | instskip(NEXT) | instid1(VALU_DEP_4)
	v_cmp_lt_u32_e32 vcc_lo, 14, v3
	s_or_b32 s3, s3, vcc_lo
	s_waitcnt lgkmcnt(0)
	s_and_saveexec_b32 s7, s3
	s_delay_alu instid0(SALU_CYCLE_1)
	s_xor_b32 s3, exec_lo, s7
; %bb.9:
	v_mov_b32_e32 v2, 0
                                        ; implicit-def: $vgpr3
; %bb.10:
	s_or_saveexec_b32 s3, s3
	v_and_b32_e32 v80, 31, v0
	v_and_b32_e32 v76, 1, v0
	s_mul_i32 s33, s15, 15
	s_xor_b32 exec_lo, exec_lo, s3
	s_cbranch_execz .LBB188_12
; %bb.11:
	s_load_b64 s[20:21], s[0:1], 0x0
	v_add_lshl_u32 v4, v3, s33, 6
	s_mul_hi_i32 s23, s17, s4
	s_mul_i32 s22, s17, s4
	v_lshlrev_b32_e32 v2, 1, v1
	s_lshl_b64 s[22:23], s[22:23], 1
	v_ashrrev_i32_e32 v5, 31, v4
	v_lshlrev_b32_e32 v3, 6, v3
	v_lshlrev_b32_e32 v8, 10, v76
	s_delay_alu instid0(VALU_DEP_3) | instskip(SKIP_3) | instid1(VALU_DEP_1)
	v_lshlrev_b64 v[4:5], 1, v[4:5]
	s_waitcnt lgkmcnt(0)
	s_add_u32 s4, s20, s22
	s_addc_u32 s7, s21, s23
	v_add_co_u32 v4, vcc_lo, s4, v4
	s_delay_alu instid0(VALU_DEP_2) | instskip(NEXT) | instid1(VALU_DEP_2)
	v_add_co_ci_u32_e32 v5, vcc_lo, s7, v5, vcc_lo
	v_add_co_u32 v4, vcc_lo, v4, v2
	s_delay_alu instid0(VALU_DEP_2) | instskip(SKIP_3) | instid1(VALU_DEP_1)
	v_add_co_ci_u32_e32 v5, vcc_lo, 0, v5, vcc_lo
	v_lshlrev_b32_e32 v2, 10, v77
	global_load_b128 v[4:7], v[4:5], off
	v_and_b32_e32 v2, 0x3800, v2
	v_or3_b32 v3, v2, v8, v3
	v_mov_b32_e32 v2, 0
	s_waitcnt vmcnt(0)
	ds_store_b128 v3, v[4:7]
.LBB188_12:
	s_or_b32 exec_lo, exec_lo, s3
	v_and_b32_e32 v3, 0xef, v0
	s_add_i32 s3, s18, 31
	s_clause 0x1
	s_load_b32 s4, s[0:1], 0x38
	s_load_b32 s35, s[0:1], 0x98
	s_ashr_i32 s7, s3, 31
	v_add_nc_u32_e32 v3, s16, v3
	s_lshr_b32 s7, s7, 27
	s_load_b32 s19, s[0:1], 0x1c
	s_add_i32 s3, s3, s7
	s_waitcnt lgkmcnt(0)
	v_ashrrev_i32_e32 v4, 31, v3
	v_cmp_gt_i32_e32 vcc_lo, s18, v3
	s_ashr_i32 s3, s3, 5
	s_barrier
	s_add_i32 s3, s3, -1
	v_lshrrev_b32_e32 v5, 27, v4
	v_or_b32_e32 v4, 16, v3
	buffer_gl0_inv
	s_mul_i32 s6, s15, s6
	v_lshlrev_b64 v[73:74], 1, v[1:2]
	v_add_nc_u32_e32 v6, v3, v5
	v_add_nc_u32_e32 v5, v4, v5
	s_mul_i32 s20, s34, s4
	s_delay_alu instid0(SALU_CYCLE_1) | instskip(NEXT) | instid1(VALU_DEP_2)
	s_ashr_i32 s21, s20, 31
	v_ashrrev_i32_e32 v6, 5, v6
	s_delay_alu instid0(VALU_DEP_2) | instskip(SKIP_1) | instid1(SALU_CYCLE_1)
	v_ashrrev_i32_e32 v5, 5, v5
	s_lshl_b64 s[20:21], s[20:21], 2
	s_add_u32 s4, s12, s20
	s_delay_alu instid0(VALU_DEP_2) | instskip(SKIP_3) | instid1(SALU_CYCLE_1)
	v_cndmask_b32_e32 v3, s3, v6, vcc_lo
	v_cmp_gt_i32_e32 vcc_lo, s18, v4
	s_addc_u32 s17, s13, s21
	s_ashr_i32 s7, s6, 31
	s_lshl_b64 s[6:7], s[6:7], 1
	v_cndmask_b32_e32 v5, s3, v5, vcc_lo
	v_ashrrev_i32_e32 v4, 31, v3
	s_add_u32 s15, s8, s6
	s_addc_u32 s28, s9, s7
	s_lshl_b32 s8, s14, 3
	v_ashrrev_i32_e32 v6, 31, v5
	v_lshlrev_b64 v[3:4], 2, v[3:4]
	s_ashr_i32 s9, s8, 31
	s_delay_alu instid0(SALU_CYCLE_1) | instskip(NEXT) | instid1(VALU_DEP_2)
	s_lshl_b64 s[8:9], s[8:9], 2
	v_lshlrev_b64 v[5:6], 2, v[5:6]
	s_add_u32 s8, s4, s8
	s_delay_alu instid0(VALU_DEP_2) | instskip(SKIP_1) | instid1(VALU_DEP_3)
	v_add_co_u32 v3, vcc_lo, s4, v3
	v_add_co_ci_u32_e32 v4, vcc_lo, s17, v4, vcc_lo
	v_add_co_u32 v5, vcc_lo, s4, v5
	s_delay_alu instid0(VALU_DEP_4)
	v_add_co_ci_u32_e32 v6, vcc_lo, s17, v6, vcc_lo
	s_addc_u32 s9, s17, s9
	s_clause 0x1
	global_load_b32 v7, v[3:4], off
	global_load_b32 v8, v[5:6], off
	s_or_b32 s12, s16, 32
	s_delay_alu instid0(SALU_CYCLE_1) | instskip(SKIP_2) | instid1(SALU_CYCLE_1)
	s_ashr_i32 s13, s12, 5
	s_cmp_lt_i32 s12, s18
	s_cselect_b32 s12, s13, s3
	s_ashr_i32 s13, s12, 31
	s_delay_alu instid0(SALU_CYCLE_1) | instskip(NEXT) | instid1(SALU_CYCLE_1)
	s_lshl_b64 s[12:13], s[12:13], 2
	s_add_u32 s12, s4, s12
	s_addc_u32 s13, s17, s13
	s_or_b32 s20, s16, 64
	s_delay_alu instid0(SALU_CYCLE_1) | instskip(SKIP_2) | instid1(SALU_CYCLE_1)
	s_ashr_i32 s21, s20, 5
	s_cmp_lt_i32 s20, s18
	s_cselect_b32 s20, s21, s3
	s_ashr_i32 s21, s20, 31
	s_delay_alu instid0(SALU_CYCLE_1) | instskip(NEXT) | instid1(SALU_CYCLE_1)
	s_lshl_b64 s[20:21], s[20:21], 2
	s_add_u32 s20, s4, s20
	s_addc_u32 s21, s17, s21
	;; [unrolled: 10-line block ×5, first 2 shown]
	s_clause 0x5
	s_load_b32 s29, s[8:9], 0x0
	s_load_b32 s30, s[12:13], 0x0
	;; [unrolled: 1-line block ×6, first 2 shown]
	s_mov_b32 s20, 0
	s_or_b32 s8, s16, 0xc0
	s_mov_b32 s21, s20
	s_mov_b32 s22, s20
	;; [unrolled: 1-line block ×7, first 2 shown]
	s_ashr_i32 s9, s8, 5
	v_mov_b32_e32 v128, s27
	s_cmp_lt_i32 s8, s18
	v_mov_b32_e32 v127, s26
	s_cselect_b32 s8, s9, s3
	v_mov_b32_e32 v126, s25
	s_ashr_i32 s9, s8, 31
	v_mov_b32_e32 v125, s24
	s_lshl_b64 s[8:9], s[8:9], 2
	v_mov_b32_e32 v124, s23
	s_add_u32 s8, s4, s8
	s_addc_u32 s9, s17, s9
	v_mov_b32_e32 v123, s22
	v_mov_b32_e32 v121, s20
	s_waitcnt lgkmcnt(0)
	s_mul_hi_i32 s13, s29, s5
	s_mul_i32 s12, s29, s5
	v_mov_b32_e32 v122, s21
	s_mul_hi_i32 s21, s30, s5
	s_mul_i32 s20, s30, s5
	s_mul_hi_i32 s25, s31, s5
	s_mul_i32 s24, s31, s5
	;; [unrolled: 2-line block ×4, first 2 shown]
	s_waitcnt vmcnt(1)
	v_mad_i64_i32 v[3:4], null, v7, s5, 0
	s_waitcnt vmcnt(0)
	v_mad_i64_i32 v[5:6], null, v8, s5, 0
	s_delay_alu instid0(VALU_DEP_2) | instskip(NEXT) | instid1(VALU_DEP_2)
	v_lshlrev_b64 v[3:4], 1, v[3:4]
	v_lshlrev_b64 v[1:2], 1, v[5:6]
	s_delay_alu instid0(VALU_DEP_2) | instskip(NEXT) | instid1(VALU_DEP_3)
	v_add_co_u32 v3, vcc_lo, s15, v3
	v_add_co_ci_u32_e32 v4, vcc_lo, s28, v4, vcc_lo
	s_delay_alu instid0(VALU_DEP_3) | instskip(NEXT) | instid1(VALU_DEP_4)
	v_add_co_u32 v1, vcc_lo, s15, v1
	v_add_co_ci_u32_e32 v2, vcc_lo, s28, v2, vcc_lo
	s_delay_alu instid0(VALU_DEP_4) | instskip(NEXT) | instid1(VALU_DEP_4)
	v_add_co_u32 v25, vcc_lo, v3, v73
	v_add_co_ci_u32_e32 v26, vcc_lo, v4, v74, vcc_lo
	s_delay_alu instid0(VALU_DEP_4) | instskip(NEXT) | instid1(VALU_DEP_4)
	v_add_co_u32 v27, vcc_lo, v1, v73
	v_add_co_ci_u32_e32 v28, vcc_lo, v2, v74, vcc_lo
	s_clause 0xf
	global_load_b128 v[1:4], v[25:26], off
	global_load_b128 v[5:8], v[25:26], off offset:512
	global_load_b128 v[9:12], v[27:28], off offset:256
	;; [unrolled: 1-line block ×15, first 2 shown]
	v_cmp_ne_u32_e32 vcc_lo, 15, v77
	s_or_b32 s15, s16, 0xe0
	s_delay_alu instid0(SALU_CYCLE_1) | instskip(SKIP_3) | instid1(SALU_CYCLE_1)
	s_ashr_i32 s22, s15, 5
	s_cmp_lt_i32 s15, s18
	v_cndmask_b32_e32 v25, 0, v77, vcc_lo
	s_cselect_b32 s22, s22, s3
	s_ashr_i32 s23, s22, 31
	s_delay_alu instid0(VALU_DEP_1)
	v_lshlrev_b32_e32 v151, 6, v25
	ds_load_b128 v[25:28], v151
	ds_load_b128 v[29:32], v151 offset:1024
	ds_load_b128 v[129:132], v151 offset:2048
	;; [unrolled: 1-line block ×3, first 2 shown]
	s_lshl_b64 s[22:23], s[22:23], 2
	s_delay_alu instid0(SALU_CYCLE_1) | instskip(SKIP_2) | instid1(SALU_CYCLE_1)
	s_add_u32 s22, s4, s22
	s_addc_u32 s23, s17, s23
	s_add_i32 s15, s16, 0x100
	s_ashr_i32 s28, s15, 5
	s_cmp_lt_i32 s15, s18
	s_load_b32 s15, s[8:9], 0x0
	s_cselect_b32 s28, s28, s3
	s_mul_hi_i32 s9, s37, s5
	s_ashr_i32 s29, s28, 31
	s_mul_i32 s8, s37, s5
	s_lshl_b64 s[28:29], s[28:29], 2
	s_delay_alu instid0(SALU_CYCLE_1)
	s_add_u32 s28, s4, s28
	s_addc_u32 s29, s17, s29
	s_add_u32 s3, s10, s6
	s_clause 0x1
	s_load_b32 s4, s[22:23], 0x0
	s_load_b32 s17, s[28:29], 0x0
	s_addc_u32 s28, s11, s7
	s_lshl_b64 s[6:7], s[12:13], 1
	s_lshl_b64 s[10:11], s[20:21], 1
	;; [unrolled: 1-line block ×6, first 2 shown]
	s_waitcnt lgkmcnt(0)
	s_mul_hi_i32 s25, s15, s5
	s_mul_i32 s24, s15, s5
	s_delay_alu instid0(SALU_CYCLE_1)
	s_lshl_b64 s[24:25], s[24:25], 1
	s_waitcnt vmcnt(14)
	v_wmma_f32_16x16x16_f16 v[137:144], v[1:8], v[25:32], v[121:128]
	s_waitcnt vmcnt(12)
	v_wmma_f32_16x16x16_f16 v[121:128], v[9:16], v[25:32], v[121:128]
	s_waitcnt vmcnt(10)
	s_delay_alu instid0(VALU_DEP_2) | instskip(SKIP_1) | instid1(VALU_DEP_2)
	v_wmma_f32_16x16x16_f16 v[137:144], v[17:24], v[129:136], v[137:144]
	s_waitcnt vmcnt(8)
	v_wmma_f32_16x16x16_f16 v[121:128], v[81:88], v[129:136], v[121:128]
	v_mbcnt_lo_u32_b32 v130, -1, 0
	s_delay_alu instid0(VALU_DEP_1) | instskip(SKIP_1) | instid1(VALU_DEP_1)
	v_xor_b32_e32 v131, 16, v130
	v_lshlrev_b32_e32 v79, 6, v77
	v_lshl_or_b32 v33, v78, 10, v79
	s_delay_alu instid0(VALU_DEP_1) | instskip(NEXT) | instid1(VALU_DEP_1)
	v_add_co_u32 v152, s3, s3, v33
	v_add_co_ci_u32_e64 v153, null, s28, 0, s3
	s_delay_alu instid0(VALU_DEP_2) | instskip(NEXT) | instid1(VALU_DEP_2)
	v_add_co_u32 v33, vcc_lo, v152, s6
	v_add_co_ci_u32_e32 v34, vcc_lo, s7, v153, vcc_lo
	v_add_co_u32 v35, vcc_lo, v152, s10
	v_add_co_ci_u32_e32 v36, vcc_lo, s11, v153, vcc_lo
	;; [unrolled: 2-line block ×6, first 2 shown]
	s_mul_hi_i32 s7, s4, s5
	s_mul_i32 s6, s4, s5
	v_add_co_u32 v149, vcc_lo, v152, s24
	s_lshl_b64 s[6:7], s[6:7], 1
	v_add_co_ci_u32_e32 v150, vcc_lo, s25, v153, vcc_lo
	v_add_co_u32 v29, vcc_lo, v152, s6
	v_add_co_ci_u32_e32 v30, vcc_lo, s7, v153, vcc_lo
	s_mul_hi_i32 s7, s17, s5
	s_mul_i32 s6, s17, s5
	s_clause 0x7
	global_load_b128 v[65:68], v[33:34], off
	global_load_b128 v[69:72], v[33:34], off offset:16
	global_load_b128 v[57:60], v[35:36], off
	global_load_b128 v[61:64], v[35:36], off offset:16
	;; [unrolled: 2-line block ×4, first 2 shown]
	s_lshl_b64 s[4:5], s[6:7], 1
	s_clause 0x1
	global_load_b128 v[9:12], v[145:146], off
	global_load_b128 v[13:16], v[145:146], off offset:16
	v_add_co_u32 v21, vcc_lo, v152, s4
	v_add_co_ci_u32_e32 v22, vcc_lo, s5, v153, vcc_lo
	s_clause 0x7
	global_load_b128 v[1:4], v[147:148], off
	global_load_b128 v[5:8], v[147:148], off offset:16
	global_load_b128 v[33:36], v[149:150], off
	global_load_b128 v[37:40], v[149:150], off offset:16
	;; [unrolled: 2-line block ×4, first 2 shown]
	ds_load_b128 v[81:84], v151 offset:4096
	ds_load_b128 v[85:88], v151 offset:5120
	v_cmp_gt_i32_e32 vcc_lo, 32, v131
	v_cndmask_b32_e32 v130, v130, v131, vcc_lo
	s_waitcnt vmcnt(24) lgkmcnt(0)
	v_wmma_f32_16x16x16_f16 v[137:144], v[89:96], v[81:88], v[137:144]
	ds_load_b128 v[89:92], v151 offset:6144
	ds_load_b128 v[93:96], v151 offset:7168
	s_waitcnt vmcnt(22)
	v_wmma_f32_16x16x16_f16 v[121:128], v[97:104], v[81:88], v[121:128]
	s_waitcnt vmcnt(0) lgkmcnt(0)
	s_barrier
	buffer_gl0_inv
	v_wmma_f32_16x16x16_f16 v[137:144], v[105:112], v[89:96], v[137:144]
	v_and_b32_e32 v129, 0xe0, v0
	v_wmma_f32_16x16x16_f16 v[121:128], v[113:120], v[89:96], v[121:128]
	s_delay_alu instid0(VALU_DEP_3) | instskip(NEXT) | instid1(VALU_DEP_2)
	v_mul_f32_e32 v96, s19, v137
	v_dual_mul_f32 v104, s19, v126 :: v_dual_add_nc_u32 v129, s16, v129
	v_mul_f32_e32 v95, s19, v138
	v_dual_mul_f32 v93, s19, v140 :: v_dual_mul_f32 v94, s19, v139
	s_delay_alu instid0(VALU_DEP_3) | instskip(SKIP_3) | instid1(VALU_DEP_4)
	v_or_b32_e32 v129, v129, v75
	v_dual_mul_f32 v91, s19, v142 :: v_dual_mul_f32 v106, s19, v124
	v_dual_mul_f32 v92, s19, v141 :: v_dual_mul_f32 v89, s19, v144
	v_mul_f32_e32 v108, s19, v122
	v_or_b32_e32 v131, 2, v129
	v_or_b32_e32 v132, 4, v129
	;; [unrolled: 1-line block ×3, first 2 shown]
	v_cmp_gt_i32_e32 vcc_lo, s18, v129
	v_or_b32_e32 v82, 8, v129
	v_cmp_gt_i32_e64 s3, s18, v131
	v_or_b32_e32 v83, 10, v129
	v_cmp_gt_i32_e64 s4, s18, v132
	v_cndmask_b32_e32 v96, 0xff7fffff, v96, vcc_lo
	v_cmp_gt_i32_e64 s5, s18, v81
	v_cndmask_b32_e64 v95, 0xff7fffff, v95, s3
	v_or_b32_e32 v84, 12, v129
	v_or_b32_e32 v85, 14, v129
	v_cndmask_b32_e64 v94, 0xff7fffff, v94, s4
	v_cndmask_b32_e64 v81, 0xff7fffff, v93, s5
	v_max3_f32 v93, v96, 0xff7fffff, v95
	v_cmp_gt_i32_e64 s6, s18, v82
	v_cmp_gt_i32_e64 s7, s18, v83
	v_or_b32_e32 v86, 16, v129
	v_or_b32_e32 v87, 18, v129
	v_mul_f32_e32 v90, s19, v143
	v_cndmask_b32_e64 v82, 0xff7fffff, v92, s6
	v_cndmask_b32_e64 v83, 0xff7fffff, v91, s7
	v_max3_f32 v81, v93, v94, v81
	v_cmp_gt_i32_e64 s8, s18, v84
	v_cmp_gt_i32_e64 s9, s18, v85
	v_or_b32_e32 v88, 20, v129
	v_or_b32_e32 v97, 22, v129
	v_mul_f32_e32 v109, s19, v121
	;; [unrolled: 8-line block ×4, first 2 shown]
	v_cndmask_b32_e64 v84, 0xff7fffff, v107, s12
	v_cndmask_b32_e64 v85, 0xff7fffff, v106, s13
	v_max3_f32 v81, v81, v82, v83
	v_cmp_gt_i32_e64 s15, s18, v98
	v_cmp_gt_i32_e64 s16, s18, v99
	v_dual_mul_f32 v102, s19, v128 :: v_dual_mul_f32 v103, s19, v127
	s_delay_alu instid0(VALU_DEP_4) | instskip(NEXT) | instid1(VALU_DEP_4)
	v_max3_f32 v81, v81, v84, v85
	v_cndmask_b32_e64 v82, 0xff7fffff, v105, s15
	s_delay_alu instid0(VALU_DEP_4) | instskip(SKIP_2) | instid1(VALU_DEP_3)
	v_cndmask_b32_e64 v83, 0xff7fffff, v104, s16
	v_cmp_gt_i32_e64 s17, s18, v100
	v_cmp_gt_i32_e64 s18, s18, v101
	v_max3_f32 v81, v81, v82, v83
	s_delay_alu instid0(VALU_DEP_3) | instskip(NEXT) | instid1(VALU_DEP_3)
	v_cndmask_b32_e64 v84, 0xff7fffff, v103, s17
	v_cndmask_b32_e64 v85, 0xff7fffff, v102, s18
	v_lshlrev_b32_e32 v83, 2, v130
	s_delay_alu instid0(VALU_DEP_2) | instskip(SKIP_3) | instid1(VALU_DEP_1)
	v_max3_f32 v81, v81, v84, v85
	ds_bpermute_b32 v82, v83, v81
	s_waitcnt lgkmcnt(0)
	v_max_f32_e32 v82, v82, v82
	v_max_f32_e32 v81, v81, v82
	s_delay_alu instid0(VALU_DEP_1)
	v_fma_f32 v82, s19, v137, -v81
	v_fma_f32 v84, s19, v138, -v81
	;; [unrolled: 1-line block ×5, first 2 shown]
	v_mul_f32_e32 v82, 0x3fb8aa3b, v82
	s_delay_alu instid0(VALU_DEP_4) | instskip(NEXT) | instid1(VALU_DEP_3)
	v_dual_mul_f32 v84, 0x3fb8aa3b, v84 :: v_dual_mul_f32 v89, 0x3fb8aa3b, v87
	v_mul_f32_e32 v86, 0x3fb8aa3b, v86
	s_delay_alu instid0(VALU_DEP_3) | instskip(NEXT) | instid1(VALU_DEP_2)
	v_exp_f32_e32 v82, v82
	v_exp_f32_e32 v84, v84
	s_delay_alu instid0(VALU_DEP_2) | instskip(NEXT) | instid1(VALU_DEP_1)
	v_exp_f32_e32 v92, v89
	v_exp_f32_e32 v86, v86
	v_cndmask_b32_e32 v88, 0, v82, vcc_lo
	s_delay_alu instid0(TRANS32_DEP_3)
	v_cndmask_b32_e64 v87, 0, v84, s3
	s_waitcnt_depctr 0xfff
	v_cndmask_b32_e64 v92, 0, v92, s6
	v_cmp_gt_u32_e64 s3, 16, v80
	v_cndmask_b32_e64 v89, 0, v86, s5
	v_add_f32_e32 v84, 0, v88
	s_delay_alu instid0(VALU_DEP_1) | instskip(NEXT) | instid1(VALU_DEP_1)
	v_dual_add_f32 v84, v84, v87 :: v_dual_mul_f32 v85, 0x3fb8aa3b, v85
	v_exp_f32_e32 v85, v85
	s_waitcnt_depctr 0xfff
	v_cndmask_b32_e64 v90, 0, v85, s4
	s_delay_alu instid0(VALU_DEP_1) | instskip(NEXT) | instid1(VALU_DEP_1)
	v_add_f32_e32 v84, v84, v90
	v_add_f32_e32 v84, v84, v89
	v_fma_f32 v82, s19, v142, -v81
	v_fma_f32 v91, s19, v143, -v81
	;; [unrolled: 1-line block ×5, first 2 shown]
	s_delay_alu instid0(VALU_DEP_4) | instskip(SKIP_1) | instid1(VALU_DEP_4)
	v_dual_mul_f32 v82, 0x3fb8aa3b, v82 :: v_dual_mul_f32 v91, 0x3fb8aa3b, v91
	v_fma_f32 v96, s19, v124, -v81
	v_mul_f32_e32 v86, 0x3fb8aa3b, v86
	v_fma_f32 v99, s19, v127, -v81
	s_delay_alu instid0(VALU_DEP_4) | instskip(SKIP_3) | instid1(VALU_DEP_1)
	v_exp_f32_e32 v82, v82
	v_exp_f32_e32 v93, v91
	v_mul_f32_e32 v97, 0x3fb8aa3b, v96
	v_exp_f32_e32 v86, v86
	v_exp_f32_e32 v97, v97
	v_cndmask_b32_e64 v91, 0, v82, s7
	v_dual_add_f32 v82, v84, v92 :: v_dual_mul_f32 v85, 0x3fb8aa3b, v85
	v_fma_f32 v84, s19, v123, -v81
	v_mul_f32_e32 v95, 0x3fb8aa3b, v94
	s_delay_alu instid0(TRANS32_DEP_3) | instskip(NEXT) | instid1(VALU_DEP_4)
	v_cndmask_b32_e64 v94, 0, v93, s8
	v_add_f32_e32 v82, v82, v91
	v_exp_f32_e32 v85, v85
	v_mul_f32_e32 v84, 0x3fb8aa3b, v84
	v_cndmask_b32_e64 v96, 0, v86, s10
	v_exp_f32_e32 v95, v95
	v_add_f32_e32 v82, v82, v94
	v_fma_f32 v86, s19, v126, -v81
	v_exp_f32_e32 v84, v84
	v_cndmask_b32_e64 v97, 0, v97, s13
	s_delay_alu instid0(TRANS32_DEP_3) | instskip(SKIP_2) | instid1(TRANS32_DEP_2)
	v_cndmask_b32_e64 v93, 0, v85, s9
	v_fma_f32 v85, s19, v125, -v81
	v_mul_f32_e32 v86, 0x3fb8aa3b, v86
	v_cndmask_b32_e64 v95, 0, v95, s11
	s_waitcnt_depctr 0xfff
	v_cndmask_b32_e64 v98, 0, v84, s12
	v_mul_f32_e32 v84, 0x3fb8aa3b, v99
	v_fma_f32 v99, s19, v128, -v81
	v_add_f32_e32 v82, v82, v93
	v_mul_f32_e32 v85, 0x3fb8aa3b, v85
	v_exp_f32_e32 v86, v86
	v_exp_f32_e32 v84, v84
	s_delay_alu instid0(VALU_DEP_1)
	v_exp_f32_e32 v85, v85
	s_waitcnt_depctr 0xfff
	v_cndmask_b32_e64 v102, 0, v84, s17
	v_cndmask_b32_e64 v100, 0, v85, s15
	v_dual_mul_f32 v85, 0x3fb8aa3b, v99 :: v_dual_add_f32 v82, v82, v96
	v_cndmask_b32_e64 v99, 0, v86, s16
	s_delay_alu instid0(VALU_DEP_2) | instskip(NEXT) | instid1(VALU_DEP_2)
	v_exp_f32_e32 v85, v85
	v_add_f32_e32 v82, v82, v95
	s_delay_alu instid0(VALU_DEP_1) | instskip(SKIP_3) | instid1(VALU_DEP_1)
	v_add_f32_e32 v82, v82, v98
	s_waitcnt_depctr 0xfff
	v_cndmask_b32_e64 v101, 0, v85, s18
	v_add_f32_e32 v82, v82, v97
	v_add_f32_e32 v82, v82, v100
	s_delay_alu instid0(VALU_DEP_1) | instskip(NEXT) | instid1(VALU_DEP_1)
	v_add_f32_e32 v82, v82, v99
	v_add_f32_e32 v82, v82, v102
	s_delay_alu instid0(VALU_DEP_1)
	v_add_f32_e32 v82, v82, v101
	ds_bpermute_b32 v83, v83, v82
	s_and_saveexec_b32 s4, s3
	s_cbranch_execz .LBB188_14
; %bb.13:
	v_mul_u32_u24_e32 v80, 0x44, v78
	s_waitcnt lgkmcnt(0)
	v_add_f32_e32 v82, v82, v83
	s_delay_alu instid0(VALU_DEP_2) | instskip(NEXT) | instid1(VALU_DEP_1)
	v_lshl_add_u32 v80, v77, 2, v80
	v_add_nc_u32_e32 v80, 0x4000, v80
	ds_store_2addr_b32 v80, v81, v82 offset1:136
.LBB188_14:
	s_or_b32 exec_lo, exec_lo, s4
	v_lshlrev_b32_e32 v80, 2, v77
	s_load_b32 s36, s[0:1], 0x94
	s_waitcnt lgkmcnt(0)
	s_barrier
	buffer_gl0_inv
	v_add_nc_u32_e32 v84, 0x4000, v80
	v_cmp_eq_u32_e32 vcc_lo, 1, v78
	v_cmp_eq_u32_e64 s4, 2, v78
	v_cmp_eq_u32_e64 s5, 3, v78
	;; [unrolled: 1-line block ×3, first 2 shown]
	ds_load_2addr_b32 v[80:81], v84 offset1:17
	ds_load_2addr_b32 v[82:83], v84 offset0:34 offset1:51
	ds_load_2addr_b32 v[103:104], v84 offset0:68 offset1:85
	;; [unrolled: 1-line block ×3, first 2 shown]
	v_cmp_eq_u32_e64 s7, 7, v78
	s_waitcnt lgkmcnt(3)
	v_max3_f32 v85, v80, 0xff7fffff, v81
	s_waitcnt lgkmcnt(2)
	s_delay_alu instid0(VALU_DEP_1) | instskip(SKIP_1) | instid1(VALU_DEP_1)
	v_max3_f32 v85, v85, v82, v83
	s_waitcnt lgkmcnt(1)
	v_max3_f32 v85, v85, v103, v104
	s_waitcnt lgkmcnt(0)
	s_delay_alu instid0(VALU_DEP_1) | instskip(NEXT) | instid1(VALU_DEP_1)
	v_max3_f32 v85, v85, v105, v106
	v_sub_f32_e32 v103, v103, v85
	ds_load_2addr_b32 v[107:108], v84 offset0:136 offset1:153
	v_sub_f32_e32 v80, v80, v85
	v_dual_sub_f32 v110, v83, v85 :: v_dual_mul_f32 v113, 0x3fb8aa3b, v103
	s_delay_alu instid0(VALU_DEP_2) | instskip(SKIP_3) | instid1(VALU_DEP_1)
	v_dual_sub_f32 v86, v81, v85 :: v_dual_mul_f32 v109, 0x3fb8aa3b, v80
	ds_load_2addr_b32 v[80:81], v84 offset0:170 offset1:187
	v_mul_f32_e32 v86, 0x3fb8aa3b, v86
	v_exp_f32_e32 v109, v109
	v_exp_f32_e32 v112, v86
	v_mul_f32_e32 v110, 0x3fb8aa3b, v110
	s_waitcnt lgkmcnt(1)
	s_waitcnt_depctr 0xfff
	v_fma_f32 v86, v109, v107, 0
	v_sub_f32_e32 v107, v104, v85
	v_sub_f32_e32 v82, v82, v85
	v_exp_f32_e32 v110, v110
	ds_load_2addr_b32 v[103:104], v84 offset0:238 offset1:255
	v_dual_fmac_f32 v86, v112, v108 :: v_dual_mul_f32 v111, 0x3fb8aa3b, v82
	ds_load_2addr_b32 v[82:83], v84 offset0:204 offset1:221
	v_dual_sub_f32 v84, v105, v85 :: v_dual_mul_f32 v105, 0x3fb8aa3b, v107
	v_exp_f32_e32 v107, v113
	v_exp_f32_e32 v111, v111
	s_waitcnt lgkmcnt(0)
	s_delay_alu instid0(VALU_DEP_1)
	v_mul_f32_e32 v84, 0x3fb8aa3b, v84
	v_exp_f32_e32 v105, v105
	s_barrier
	buffer_gl0_inv
	v_fmac_f32_e32 v86, v111, v80
	v_sub_f32_e32 v80, v106, v85
	v_exp_f32_e32 v106, v84
	s_delay_alu instid0(VALU_DEP_2) | instskip(NEXT) | instid1(VALU_DEP_2)
	v_fmac_f32_e32 v86, v110, v81
	v_mul_f32_e32 v80, 0x3fb8aa3b, v80
	s_delay_alu instid0(VALU_DEP_2) | instskip(NEXT) | instid1(VALU_DEP_2)
	v_dual_cndmask_b32 v81, v109, v112 :: v_dual_fmac_f32 v86, v107, v82
	v_exp_f32_e32 v108, v80
	s_delay_alu instid0(VALU_DEP_1) | instskip(SKIP_2) | instid1(VALU_DEP_1)
	v_fmac_f32_e32 v86, v105, v83
	s_waitcnt_depctr 0xfff
	v_fmac_f32_e32 v86, v106, v103
	v_fmac_f32_e32 v86, v108, v104
	s_delay_alu instid0(VALU_DEP_1) | instskip(NEXT) | instid1(VALU_DEP_1)
	v_add_f32_e32 v103, 0x358637bd, v86
	v_div_scale_f32 v104, null, v103, v103, 1.0
	v_div_scale_f32 v109, vcc_lo, 1.0, v103, 1.0
	s_delay_alu instid0(VALU_DEP_2) | instskip(SKIP_2) | instid1(VALU_DEP_1)
	v_rcp_f32_e32 v113, v104
	s_waitcnt_depctr 0xfff
	v_fma_f32 v80, -v104, v113, 1.0
	v_fmac_f32_e32 v113, v80, v113
	v_cndmask_b32_e64 v80, v81, v111, s4
	v_cmp_eq_u32_e64 s4, 4, v78
	v_lshl_or_b32 v81, v78, 11, v79
	s_delay_alu instid0(VALU_DEP_4) | instskip(NEXT) | instid1(VALU_DEP_4)
	v_mul_f32_e32 v111, v109, v113
	v_cndmask_b32_e64 v82, v80, v110, s5
	v_cmp_eq_u32_e64 s5, 6, v78
	s_delay_alu instid0(VALU_DEP_4) | instskip(SKIP_3) | instid1(VALU_DEP_3)
	v_lshl_or_b32 v78, v75, 4, v81
	v_lshlrev_b32_e32 v80, 2, v75
	v_fma_f32 v83, -v104, v111, v109
	v_cndmask_b32_e64 v84, v82, v107, s4
	v_or_b32_e32 v82, 1, v80
	s_delay_alu instid0(VALU_DEP_3) | instskip(NEXT) | instid1(VALU_DEP_3)
	v_fmac_f32_e32 v111, v83, v113
	v_cndmask_b32_e64 v105, v84, v105, s6
	v_or_b32_e32 v84, 2, v80
	v_or_b32_e32 v83, 3, v80
	v_cmp_eq_u32_e64 s4, 1, v80
	v_fma_f32 v104, -v104, v111, v109
	v_cndmask_b32_e64 v105, v105, v106, s5
	v_cmp_eq_u32_e64 s10, 1, v82
	v_cmp_eq_u32_e64 s11, 1, v84
	;; [unrolled: 1-line block ×3, first 2 shown]
	v_div_fmas_f32 v104, v104, v113, v111
	v_cndmask_b32_e64 v105, v105, v108, s7
	v_cmp_eq_u32_e32 vcc_lo, 2, v80
	v_cmp_eq_u32_e64 s13, 2, v82
	v_cmp_eq_u32_e64 s16, 2, v84
	v_div_fixup_f32 v103, v104, v103, 1.0
	v_cmp_eq_u32_e64 s17, 2, v83
	v_cmp_eq_u32_e64 s19, 3, v83
	;; [unrolled: 1-line block ×4, first 2 shown]
	v_mul_f32_e32 v111, v105, v103
	v_cmp_eq_u32_e64 s18, 3, v84
	v_cmp_eq_u32_e64 s23, 4, v83
	;; [unrolled: 1-line block ×4, first 2 shown]
	v_fma_mixlo_f16 v103, v111, v88, 0
	v_fma_mixlo_f16 v104, v111, v90, 0
	;; [unrolled: 1-line block ×8, first 2 shown]
	v_fma_mixhi_f16 v103, v111, v87, 0
	v_fma_mixhi_f16 v104, v111, v89, 0
	;; [unrolled: 1-line block ×8, first 2 shown]
	ds_store_b128 v78, v[103:106]
	ds_store_b128 v78, v[107:110] offset:1024
	s_waitcnt lgkmcnt(0)
	s_barrier
	buffer_gl0_inv
	ds_load_b128 v[87:90], v81
	ds_load_b128 v[91:94], v81 offset:16
	ds_load_b128 v[95:98], v81 offset:1024
	;; [unrolled: 1-line block ×3, first 2 shown]
	v_cmp_eq_u32_e64 s22, 4, v84
	v_cmp_eq_u32_e64 s25, 5, v83
	;; [unrolled: 1-line block ×13, first 2 shown]
	s_waitcnt lgkmcnt(3)
	v_lshrrev_b32_e32 v103, 16, v87
	s_waitcnt lgkmcnt(2)
	v_lshrrev_b32_e32 v107, 16, v91
	;; [unrolled: 2-line block ×4, first 2 shown]
	v_lshrrev_b32_e32 v104, 16, v88
	v_cndmask_b32_e64 v119, v87, v103, s4
	v_cndmask_b32_e64 v120, v91, v107, s4
	;; [unrolled: 1-line block ×8, first 2 shown]
	v_lshrrev_b32_e32 v108, 16, v92
	v_cndmask_b32_e64 v103, v95, v111, s4
	v_cndmask_b32_e64 v107, v99, v115, s4
	;; [unrolled: 1-line block ×5, first 2 shown]
	v_cndmask_b32_e32 v111, v119, v88, vcc_lo
	v_cndmask_b32_e64 v119, v121, v88, s13
	v_cndmask_b32_e64 v121, v123, v88, s16
	;; [unrolled: 1-line block ×4, first 2 shown]
	v_lshrrev_b32_e32 v112, 16, v96
	v_lshrrev_b32_e32 v116, 16, v100
	v_cndmask_b32_e64 v126, v99, v115, s10
	v_cndmask_b32_e64 v128, v99, v115, s11
	;; [unrolled: 1-line block ×3, first 2 shown]
	v_cndmask_b32_e32 v115, v120, v92, vcc_lo
	v_cndmask_b32_e64 v120, v122, v92, s13
	v_cndmask_b32_e64 v122, v124, v92, s16
	v_cndmask_b32_e32 v91, v103, v96, vcc_lo
	v_cndmask_b32_e32 v92, v107, v100, vcc_lo
	v_cndmask_b32_e64 v103, v125, v96, s13
	v_cndmask_b32_e64 v87, v87, v104, s19
	;; [unrolled: 1-line block ×3, first 2 shown]
	v_lshrrev_b32_e32 v105, 16, v89
	v_lshrrev_b32_e32 v109, 16, v93
	v_cndmask_b32_e64 v107, v127, v96, s16
	v_cndmask_b32_e64 v95, v95, v96, s17
	;; [unrolled: 1-line block ×14, first 2 shown]
	v_lshrrev_b32_e32 v113, 16, v97
	v_cndmask_b32_e64 v99, v99, v89, s6
	v_cndmask_b32_e64 v104, v111, v93, s6
	;; [unrolled: 1-line block ×11, first 2 shown]
	v_lshrrev_b32_e32 v106, 16, v90
	v_lshrrev_b32_e32 v110, 16, v94
	v_cndmask_b32_e64 v93, v99, v105, s7
	v_cndmask_b32_e64 v99, v104, v109, s7
	;; [unrolled: 1-line block ×9, first 2 shown]
	v_lshrrev_b32_e32 v114, 16, v98
	v_cndmask_b32_e64 v89, v89, v113, s7
	v_cndmask_b32_e64 v93, v93, v90, s8
	;; [unrolled: 1-line block ×19, first 2 shown]
	v_perm_b32 v90, v88, v87, 0x5040100
	v_cndmask_b32_e64 v87, v126, v100, s13
	v_cndmask_b32_e64 v105, v89, v114, s9
	v_perm_b32 v89, v103, v99, 0x5040100
	v_perm_b32 v88, v104, v94, 0x5040100
	v_cndmask_b32_e64 v94, v107, v112, s18
	v_cndmask_b32_e64 v95, v95, v112, s19
	;; [unrolled: 1-line block ×5, first 2 shown]
	v_lshrrev_b32_e32 v117, 16, v101
	v_cndmask_b32_e64 v94, v94, v97, s22
	v_cndmask_b32_e64 v95, v95, v97, s23
	v_cndmask_b32_e64 v96, v96, v101, s23
	v_cndmask_b32_e64 v97, v99, v101, s22
	v_cndmask_b32_e64 v87, v87, v101, s20
	v_cndmask_b32_e64 v91, v91, v117, s7
	v_cndmask_b32_e64 v94, v94, v113, s24
	v_cndmask_b32_e64 v95, v95, v113, s25
	v_cndmask_b32_e64 v96, v96, v117, s25
	v_cndmask_b32_e64 v97, v97, v117, s24
	v_cndmask_b32_e64 v87, v87, v117, s21
	v_lshrrev_b32_e32 v118, 16, v102
	v_cndmask_b32_e64 v91, v91, v102, s8
	v_cndmask_b32_e64 v94, v94, v98, s27
	;; [unrolled: 1-line block ×12, first 2 shown]
	v_perm_b32 v87, v93, v92, 0x5040100
	v_perm_b32 v94, v95, v94, 0x5040100
	;; [unrolled: 1-line block ×5, first 2 shown]
	s_mul_i32 s8, s35, 15
	s_mov_b32 s4, exec_lo
	ds_store_b128 v78, v[87:90]
	ds_store_b128 v78, v[91:94] offset:1024
	v_cmpx_gt_u32_e32 15, v0
	s_cbranch_execz .LBB188_16
; %bb.15:
	s_mul_i32 s5, s8, s34
	s_load_b128 s[16:19], s[0:1], 0x58
	v_add3_u32 v77, s5, s33, v77
	s_delay_alu instid0(VALU_DEP_1) | instskip(NEXT) | instid1(VALU_DEP_1)
	v_mad_u64_u32 v[87:88], null, v77, s36, s[14:15]
	v_ashrrev_i32_e32 v88, 31, v87
	s_delay_alu instid0(VALU_DEP_1) | instskip(SKIP_1) | instid1(VALU_DEP_1)
	v_lshlrev_b64 v[87:88], 2, v[87:88]
	s_waitcnt lgkmcnt(0)
	v_add_co_u32 v89, vcc_lo, s18, v87
	s_delay_alu instid0(VALU_DEP_2)
	v_add_co_ci_u32_e32 v90, vcc_lo, s19, v88, vcc_lo
	v_add_co_u32 v87, vcc_lo, s16, v87
	v_add_co_ci_u32_e32 v88, vcc_lo, s17, v88, vcc_lo
	global_store_b32 v[89:90], v85, off
	global_store_b32 v[87:88], v86, off
.LBB188_16:
	s_or_b32 exec_lo, exec_lo, s4
	s_waitcnt lgkmcnt(0)
	s_waitcnt_vscnt null, 0x0
	s_barrier
	buffer_gl0_inv
	ds_load_b128 v[93:96], v79
	ds_load_b128 v[97:100], v79 offset:16
	ds_load_b128 v[105:108], v79 offset:1040
	;; [unrolled: 1-line block ×5, first 2 shown]
	v_cmp_eq_u32_e32 vcc_lo, 1, v84
	v_mov_b32_e32 v85, 0
	ds_load_b128 v[121:124], v79 offset:3088
	ds_load_b128 v[117:120], v79 offset:3072
	;; [unrolled: 1-line block ×4, first 2 shown]
	v_cmp_eq_u32_e64 s4, 1, v80
	v_cmp_eq_u32_e64 s5, 1, v83
	;; [unrolled: 1-line block ×3, first 2 shown]
	v_mov_b32_e32 v86, v85
	v_mov_b32_e32 v87, v85
	;; [unrolled: 1-line block ×7, first 2 shown]
	v_cmp_eq_u32_e64 s7, 2, v80
	s_waitcnt lgkmcnt(8)
	s_delay_alu instid0(VALU_DEP_2)
	v_wmma_f32_16x16x16_f16 v[85:92], v[65:72], v[93:100], v[85:92]
	ds_load_b128 v[69:72], v79 offset:5136
	ds_load_b128 v[65:68], v79 offset:5120
	;; [unrolled: 1-line block ×4, first 2 shown]
	s_waitcnt lgkmcnt(10)
	v_wmma_f32_16x16x16_f16 v[85:92], v[57:64], v[101:108], v[85:92]
	s_waitcnt lgkmcnt(8)
	s_delay_alu instid0(VALU_DEP_1)
	v_wmma_f32_16x16x16_f16 v[85:92], v[57:64], v[109:116], v[85:92]
	ds_load_b128 v[61:64], v79 offset:7184
	ds_load_b128 v[57:60], v79 offset:7168
	;; [unrolled: 1-line block ×4, first 2 shown]
	s_waitcnt lgkmcnt(10)
	v_wmma_f32_16x16x16_f16 v[85:92], v[49:56], v[117:124], v[85:92]
	s_waitcnt lgkmcnt(8)
	s_delay_alu instid0(VALU_DEP_1)
	v_wmma_f32_16x16x16_f16 v[85:92], v[49:56], v[125:132], v[85:92]
	ds_load_b128 v[53:56], v79 offset:9232
	ds_load_b128 v[49:52], v79 offset:9216
	s_waitcnt lgkmcnt(8)
	v_wmma_f32_16x16x16_f16 v[85:92], v[41:48], v[65:72], v[85:92]
	ds_load_b128 v[69:72], v79 offset:10256
	ds_load_b128 v[65:68], v79 offset:10240
	s_waitcnt lgkmcnt(8)
	;; [unrolled: 4-line block ×7, first 2 shown]
	s_barrier
	buffer_gl0_inv
	v_wmma_f32_16x16x16_f16 v[85:92], v[33:40], v[41:48], v[85:92]
	s_delay_alu instid0(VALU_DEP_1) | instskip(NEXT) | instid1(VALU_DEP_1)
	v_wmma_f32_16x16x16_f16 v[85:92], v[33:40], v[57:64], v[85:92]
	v_wmma_f32_16x16x16_f16 v[85:92], v[25:32], v[9:16], v[85:92]
	s_delay_alu instid0(VALU_DEP_1) | instskip(NEXT) | instid1(VALU_DEP_1)
	v_wmma_f32_16x16x16_f16 v[85:92], v[25:32], v[49:56], v[85:92]
	v_wmma_f32_16x16x16_f16 v[85:92], v[17:24], v[1:8], v[85:92]
	s_delay_alu instid0(VALU_DEP_1) | instskip(NEXT) | instid1(VALU_DEP_2)
	v_cvt_f16_f32_e32 v1, v85
	v_cvt_f16_f32_e32 v2, v86
	s_delay_alu instid0(VALU_DEP_3) | instskip(NEXT) | instid1(VALU_DEP_4)
	v_cvt_f16_f32_e32 v3, v87
	v_cvt_f16_f32_e32 v4, v88
	;; [unrolled: 1-line block ×6, first 2 shown]
	v_pack_b32_f16 v1, v1, v2
	v_pack_b32_f16 v2, v3, v4
	v_pack_b32_f16 v3, v5, v6
	s_delay_alu instid0(VALU_DEP_4)
	v_pack_b32_f16 v4, v7, v8
	ds_store_b128 v78, v[1:4]
	s_waitcnt lgkmcnt(0)
	s_barrier
	buffer_gl0_inv
	ds_load_b128 v[1:4], v81
	ds_load_b128 v[5:8], v81 offset:16
	s_waitcnt lgkmcnt(1)
	v_lshrrev_b32_e32 v9, 16, v1
	s_waitcnt lgkmcnt(0)
	v_lshrrev_b32_e32 v13, 16, v5
	v_lshrrev_b32_e32 v15, 16, v7
	;; [unrolled: 1-line block ×4, first 2 shown]
	v_cndmask_b32_e64 v17, v1, v9, s4
	v_cndmask_b32_e64 v18, v5, v13, s4
	;; [unrolled: 1-line block ×3, first 2 shown]
	v_cmp_eq_u32_e64 s4, 2, v82
	v_cndmask_b32_e64 v20, v5, v13, s6
	v_cndmask_b32_e32 v21, v1, v9, vcc_lo
	v_cndmask_b32_e32 v22, v5, v13, vcc_lo
	v_cndmask_b32_e64 v1, v1, v9, s5
	v_cndmask_b32_e64 v5, v5, v13, s5
	v_cmp_eq_u32_e32 vcc_lo, 2, v84
	v_cmp_eq_u32_e64 s5, 2, v83
	v_cndmask_b32_e64 v9, v17, v2, s7
	v_cndmask_b32_e64 v13, v18, v6, s7
	;; [unrolled: 1-line block ×4, first 2 shown]
	v_cndmask_b32_e32 v19, v21, v2, vcc_lo
	v_cmp_eq_u32_e64 s4, 3, v84
	v_cndmask_b32_e32 v20, v22, v6, vcc_lo
	v_cndmask_b32_e64 v1, v1, v2, s5
	v_cmp_eq_u32_e32 vcc_lo, 3, v83
	v_cmp_eq_u32_e64 s6, 3, v80
	v_cndmask_b32_e64 v2, v5, v6, s5
	v_cmp_eq_u32_e64 s5, 3, v82
	v_lshrrev_b32_e32 v16, 16, v8
	v_cmp_eq_u32_e64 s7, 4, v80
	v_cndmask_b32_e64 v5, v9, v10, s6
	v_cndmask_b32_e64 v6, v13, v14, s6
	;; [unrolled: 1-line block ×3, first 2 shown]
	v_cmp_eq_u32_e64 s6, 4, v82
	v_cndmask_b32_e64 v13, v18, v14, s5
	v_cndmask_b32_e64 v17, v19, v10, s4
	;; [unrolled: 1-line block ×3, first 2 shown]
	v_cndmask_b32_e32 v1, v1, v10, vcc_lo
	v_cndmask_b32_e32 v2, v2, v14, vcc_lo
	v_cmp_eq_u32_e32 vcc_lo, 4, v84
	v_cmp_eq_u32_e64 s5, 4, v83
	v_lshrrev_b32_e32 v11, 16, v3
	v_cndmask_b32_e64 v5, v5, v3, s7
	v_cndmask_b32_e64 v6, v6, v7, s7
	;; [unrolled: 1-line block ×4, first 2 shown]
	v_cndmask_b32_e32 v13, v17, v3, vcc_lo
	v_cmp_eq_u32_e64 s4, 5, v84
	v_cndmask_b32_e32 v14, v18, v7, vcc_lo
	v_cndmask_b32_e64 v1, v1, v3, s5
	v_cmp_eq_u32_e32 vcc_lo, 5, v83
	v_cmp_eq_u32_e64 s6, 5, v80
	v_cndmask_b32_e64 v2, v2, v7, s5
	v_cmp_eq_u32_e64 s5, 5, v82
	v_cmp_eq_u32_e64 s7, 6, v80
	v_cndmask_b32_e32 v1, v1, v11, vcc_lo
	v_cndmask_b32_e64 v3, v5, v11, s6
	v_cndmask_b32_e64 v5, v6, v15, s6
	;; [unrolled: 1-line block ×3, first 2 shown]
	v_cmp_eq_u32_e64 s6, 6, v82
	v_cndmask_b32_e64 v7, v10, v15, s5
	v_cndmask_b32_e64 v9, v13, v11, s4
	;; [unrolled: 1-line block ×3, first 2 shown]
	v_cndmask_b32_e32 v2, v2, v15, vcc_lo
	v_cmp_eq_u32_e32 vcc_lo, 6, v84
	v_cmp_eq_u32_e64 s4, 6, v83
	v_lshrrev_b32_e32 v12, 16, v4
	v_cndmask_b32_e64 v3, v3, v4, s7
	v_cndmask_b32_e64 v5, v5, v8, s7
	v_cndmask_b32_e64 v6, v6, v4, s6
	v_cndmask_b32_e64 v7, v7, v8, s6
	v_cndmask_b32_e32 v9, v9, v4, vcc_lo
	v_cmp_eq_u32_e64 s5, 7, v84
	v_cndmask_b32_e32 v10, v10, v8, vcc_lo
	v_cndmask_b32_e64 v1, v1, v4, s4
	v_cmp_eq_u32_e32 vcc_lo, 7, v83
	v_cndmask_b32_e64 v2, v2, v8, s4
	v_cmp_eq_u32_e64 s4, 7, v80
	v_cmp_eq_u32_e64 s6, 7, v82
	v_cndmask_b32_e32 v1, v1, v12, vcc_lo
	s_delay_alu instid0(VALU_DEP_4) | instskip(NEXT) | instid1(VALU_DEP_4)
	v_cndmask_b32_e32 v2, v2, v16, vcc_lo
	v_cndmask_b32_e64 v8, v3, v12, s4
	s_delay_alu instid0(VALU_DEP_4)
	v_cndmask_b32_e64 v6, v6, v12, s6
	v_cndmask_b32_e64 v3, v9, v12, s5
	;; [unrolled: 1-line block ×5, first 2 shown]
	v_cmp_gt_u32_e32 vcc_lo, 32, v0
	v_perm_b32 v4, v2, v1, 0x5040100
	v_perm_b32 v3, v9, v3, 0x5040100
	;; [unrolled: 1-line block ×4, first 2 shown]
	s_and_b32 s2, vcc_lo, s2
	ds_store_b128 v78, v[1:4]
	s_waitcnt lgkmcnt(0)
	s_barrier
	buffer_gl0_inv
	s_and_saveexec_b32 s4, s2
	s_cbranch_execz .LBB188_2
; %bb.17:
	s_load_b64 s[4:5], s[0:1], 0x68
	v_add_nc_u32_e32 v20, s33, v75
	v_lshlrev_b32_e32 v0, 10, v0
	v_lshlrev_b32_e32 v1, 4, v76
	s_lshl_b32 s0, s36, 6
	s_delay_alu instid0(SALU_CYCLE_1)
	s_mul_i32 s1, s0, s34
	v_add_nc_u32_e32 v2, 2, v20
	s_mul_i32 s6, s1, s8
	v_and_or_b32 v0, 0x3800, v0, v1
	v_mul_lo_u32 v1, v20, s0
	s_ashr_i32 s7, s6, 31
	v_mul_lo_u32 v11, v2, s0
	s_lshl_b64 s[6:7], s[6:7], 1
	v_add_nc_u32_e32 v3, 4, v20
	v_lshl_or_b32 v21, v75, 6, v0
	v_add_nc_u32_e32 v16, 6, v20
	v_ashrrev_i32_e32 v2, 31, v1
	s_delay_alu instid0(VALU_DEP_4)
	v_mul_lo_u32 v13, v3, s0
	s_waitcnt lgkmcnt(0)
	s_add_u32 s1, s4, s6
	s_addc_u32 s2, s5, s7
	s_lshl_b32 s4, s14, 6
	ds_load_b128 v[3:6], v21
	ds_load_b128 v[7:10], v21 offset:128
	s_ashr_i32 s5, s4, 31
	v_ashrrev_i32_e32 v12, 31, v11
	s_lshl_b64 s[4:5], s[4:5], 1
	v_lshlrev_b64 v[14:15], 1, v[1:2]
	s_add_u32 s1, s1, s4
	s_addc_u32 s2, s2, s5
	v_add_co_u32 v1, vcc_lo, s1, v73
	v_add_co_ci_u32_e32 v2, vcc_lo, s2, v74, vcc_lo
	v_lshlrev_b64 v[11:12], 1, v[11:12]
	s_delay_alu instid0(VALU_DEP_3) | instskip(SKIP_1) | instid1(VALU_DEP_4)
	v_add_co_u32 v18, vcc_lo, v1, v14
	v_mul_lo_u32 v16, v16, s0
	v_add_co_ci_u32_e32 v19, vcc_lo, v2, v15, vcc_lo
	s_delay_alu instid0(VALU_DEP_4)
	v_add_co_u32 v11, vcc_lo, v1, v11
	v_ashrrev_i32_e32 v14, 31, v13
	v_add_co_ci_u32_e32 v12, vcc_lo, v2, v12, vcc_lo
	v_add_nc_u32_e32 v15, 8, v20
	v_ashrrev_i32_e32 v17, 31, v16
	s_waitcnt lgkmcnt(1)
	global_store_b128 v[18:19], v[3:6], off
	v_lshlrev_b64 v[3:4], 1, v[13:14]
	s_waitcnt lgkmcnt(0)
	global_store_b128 v[11:12], v[7:10], off
	v_mul_lo_u32 v11, v15, s0
	v_add_nc_u32_e32 v7, 10, v20
	v_lshlrev_b64 v[5:6], 1, v[16:17]
	v_add_co_u32 v23, vcc_lo, v1, v3
	v_add_nc_u32_e32 v3, 12, v20
	s_delay_alu instid0(VALU_DEP_4)
	v_mul_lo_u32 v25, v7, s0
	v_ashrrev_i32_e32 v12, 31, v11
	v_add_co_ci_u32_e32 v24, vcc_lo, v2, v4, vcc_lo
	v_add_co_u32 v27, vcc_lo, v1, v5
	v_mul_lo_u32 v29, v3, s0
	v_add_co_ci_u32_e32 v28, vcc_lo, v2, v6, vcc_lo
	ds_load_b128 v[3:6], v21 offset:256
	ds_load_b128 v[7:10], v21 offset:384
	v_lshlrev_b64 v[31:32], 1, v[11:12]
	ds_load_b128 v[11:14], v21 offset:512
	ds_load_b128 v[15:18], v21 offset:640
	;; [unrolled: 1-line block ×3, first 2 shown]
	v_ashrrev_i32_e32 v26, 31, v25
	v_ashrrev_i32_e32 v30, 31, v29
	v_add_co_u32 v31, vcc_lo, v1, v31
	s_delay_alu instid0(VALU_DEP_3) | instskip(NEXT) | instid1(VALU_DEP_3)
	v_lshlrev_b64 v[25:26], 1, v[25:26]
	v_lshlrev_b64 v[29:30], 1, v[29:30]
	v_add_co_ci_u32_e32 v32, vcc_lo, v2, v32, vcc_lo
	s_delay_alu instid0(VALU_DEP_3) | instskip(NEXT) | instid1(VALU_DEP_4)
	v_add_co_u32 v25, vcc_lo, v1, v25
	v_add_co_ci_u32_e32 v26, vcc_lo, v2, v26, vcc_lo
	s_delay_alu instid0(VALU_DEP_4)
	v_add_co_u32 v29, vcc_lo, v1, v29
	v_add_co_ci_u32_e32 v30, vcc_lo, v2, v30, vcc_lo
	s_waitcnt lgkmcnt(4)
	global_store_b128 v[23:24], v[3:6], off
	s_waitcnt lgkmcnt(3)
	global_store_b128 v[27:28], v[7:10], off
	;; [unrolled: 2-line block ×5, first 2 shown]
	s_and_b32 exec_lo, exec_lo, s3
	s_cbranch_execz .LBB188_2
; %bb.18:
	ds_load_b128 v[3:6], v0 offset:896
	s_add_i32 s1, s33, 14
	s_delay_alu instid0(SALU_CYCLE_1) | instskip(NEXT) | instid1(SALU_CYCLE_1)
	s_mul_i32 s0, s1, s0
	s_ashr_i32 s1, s0, 31
	s_delay_alu instid0(SALU_CYCLE_1) | instskip(NEXT) | instid1(SALU_CYCLE_1)
	s_lshl_b64 s[0:1], s[0:1], 1
	v_add_co_u32 v0, vcc_lo, v1, s0
	v_add_co_ci_u32_e32 v1, vcc_lo, s1, v2, vcc_lo
	s_waitcnt lgkmcnt(0)
	global_store_b128 v[0:1], v[3:6], off
	s_nop 0
	s_sendmsg sendmsg(MSG_DEALLOC_VGPRS)
	s_endpgm
	.section	.rodata,"a",@progbits
	.p2align	6, 0x0
	.amdhsa_kernel _Z39paged_attention_ll4mi_QKV_mfma16_kernelIDF16_DF16_LN4vllm18Fp8KVCacheDataTypeE0EDF16_Li32ELi64ELi256ELb0ELi15EL8MFMAType0EEvPKT_PKT0_S8_ifPKiSA_SA_iPKfiiiPfSD_PS3_PT2_iSC_SC_
		.amdhsa_group_segment_fixed_size 17472
		.amdhsa_private_segment_fixed_size 0
		.amdhsa_kernarg_size 400
		.amdhsa_user_sgpr_count 13
		.amdhsa_user_sgpr_dispatch_ptr 0
		.amdhsa_user_sgpr_queue_ptr 0
		.amdhsa_user_sgpr_kernarg_segment_ptr 1
		.amdhsa_user_sgpr_dispatch_id 0
		.amdhsa_user_sgpr_private_segment_size 0
		.amdhsa_wavefront_size32 1
		.amdhsa_uses_dynamic_stack 0
		.amdhsa_enable_private_segment 0
		.amdhsa_system_sgpr_workgroup_id_x 1
		.amdhsa_system_sgpr_workgroup_id_y 1
		.amdhsa_system_sgpr_workgroup_id_z 1
		.amdhsa_system_sgpr_workgroup_info 0
		.amdhsa_system_vgpr_workitem_id 0
		.amdhsa_next_free_vgpr 154
		.amdhsa_next_free_sgpr 39
		.amdhsa_reserve_vcc 1
		.amdhsa_float_round_mode_32 0
		.amdhsa_float_round_mode_16_64 0
		.amdhsa_float_denorm_mode_32 3
		.amdhsa_float_denorm_mode_16_64 3
		.amdhsa_dx10_clamp 1
		.amdhsa_ieee_mode 1
		.amdhsa_fp16_overflow 0
		.amdhsa_workgroup_processor_mode 1
		.amdhsa_memory_ordered 1
		.amdhsa_forward_progress 0
		.amdhsa_shared_vgpr_count 0
		.amdhsa_exception_fp_ieee_invalid_op 0
		.amdhsa_exception_fp_denorm_src 0
		.amdhsa_exception_fp_ieee_div_zero 0
		.amdhsa_exception_fp_ieee_overflow 0
		.amdhsa_exception_fp_ieee_underflow 0
		.amdhsa_exception_fp_ieee_inexact 0
		.amdhsa_exception_int_div_zero 0
	.end_amdhsa_kernel
	.section	.text._Z39paged_attention_ll4mi_QKV_mfma16_kernelIDF16_DF16_LN4vllm18Fp8KVCacheDataTypeE0EDF16_Li32ELi64ELi256ELb0ELi15EL8MFMAType0EEvPKT_PKT0_S8_ifPKiSA_SA_iPKfiiiPfSD_PS3_PT2_iSC_SC_,"axG",@progbits,_Z39paged_attention_ll4mi_QKV_mfma16_kernelIDF16_DF16_LN4vllm18Fp8KVCacheDataTypeE0EDF16_Li32ELi64ELi256ELb0ELi15EL8MFMAType0EEvPKT_PKT0_S8_ifPKiSA_SA_iPKfiiiPfSD_PS3_PT2_iSC_SC_,comdat
.Lfunc_end188:
	.size	_Z39paged_attention_ll4mi_QKV_mfma16_kernelIDF16_DF16_LN4vllm18Fp8KVCacheDataTypeE0EDF16_Li32ELi64ELi256ELb0ELi15EL8MFMAType0EEvPKT_PKT0_S8_ifPKiSA_SA_iPKfiiiPfSD_PS3_PT2_iSC_SC_, .Lfunc_end188-_Z39paged_attention_ll4mi_QKV_mfma16_kernelIDF16_DF16_LN4vllm18Fp8KVCacheDataTypeE0EDF16_Li32ELi64ELi256ELb0ELi15EL8MFMAType0EEvPKT_PKT0_S8_ifPKiSA_SA_iPKfiiiPfSD_PS3_PT2_iSC_SC_
                                        ; -- End function
	.section	.AMDGPU.csdata,"",@progbits
; Kernel info:
; codeLenInByte = 7496
; NumSgprs: 41
; NumVgprs: 154
; ScratchSize: 0
; MemoryBound: 0
; FloatMode: 240
; IeeeMode: 1
; LDSByteSize: 17472 bytes/workgroup (compile time only)
; SGPRBlocks: 5
; VGPRBlocks: 19
; NumSGPRsForWavesPerEU: 41
; NumVGPRsForWavesPerEU: 154
; Occupancy: 9
; WaveLimiterHint : 1
; COMPUTE_PGM_RSRC2:SCRATCH_EN: 0
; COMPUTE_PGM_RSRC2:USER_SGPR: 13
; COMPUTE_PGM_RSRC2:TRAP_HANDLER: 0
; COMPUTE_PGM_RSRC2:TGID_X_EN: 1
; COMPUTE_PGM_RSRC2:TGID_Y_EN: 1
; COMPUTE_PGM_RSRC2:TGID_Z_EN: 1
; COMPUTE_PGM_RSRC2:TIDIG_COMP_CNT: 0
	.section	.text._Z39paged_attention_ll4mi_QKV_mfma16_kernelIDF16_DF16_LN4vllm18Fp8KVCacheDataTypeE0EDF16_Li32ELi64ELi256ELb0ELi16EL8MFMAType0EEvPKT_PKT0_S8_ifPKiSA_SA_iPKfiiiPfSD_PS3_PT2_iSC_SC_,"axG",@progbits,_Z39paged_attention_ll4mi_QKV_mfma16_kernelIDF16_DF16_LN4vllm18Fp8KVCacheDataTypeE0EDF16_Li32ELi64ELi256ELb0ELi16EL8MFMAType0EEvPKT_PKT0_S8_ifPKiSA_SA_iPKfiiiPfSD_PS3_PT2_iSC_SC_,comdat
	.protected	_Z39paged_attention_ll4mi_QKV_mfma16_kernelIDF16_DF16_LN4vllm18Fp8KVCacheDataTypeE0EDF16_Li32ELi64ELi256ELb0ELi16EL8MFMAType0EEvPKT_PKT0_S8_ifPKiSA_SA_iPKfiiiPfSD_PS3_PT2_iSC_SC_ ; -- Begin function _Z39paged_attention_ll4mi_QKV_mfma16_kernelIDF16_DF16_LN4vllm18Fp8KVCacheDataTypeE0EDF16_Li32ELi64ELi256ELb0ELi16EL8MFMAType0EEvPKT_PKT0_S8_ifPKiSA_SA_iPKfiiiPfSD_PS3_PT2_iSC_SC_
	.globl	_Z39paged_attention_ll4mi_QKV_mfma16_kernelIDF16_DF16_LN4vllm18Fp8KVCacheDataTypeE0EDF16_Li32ELi64ELi256ELb0ELi16EL8MFMAType0EEvPKT_PKT0_S8_ifPKiSA_SA_iPKfiiiPfSD_PS3_PT2_iSC_SC_
	.p2align	8
	.type	_Z39paged_attention_ll4mi_QKV_mfma16_kernelIDF16_DF16_LN4vllm18Fp8KVCacheDataTypeE0EDF16_Li32ELi64ELi256ELb0ELi16EL8MFMAType0EEvPKT_PKT0_S8_ifPKiSA_SA_iPKfiiiPfSD_PS3_PT2_iSC_SC_,@function
_Z39paged_attention_ll4mi_QKV_mfma16_kernelIDF16_DF16_LN4vllm18Fp8KVCacheDataTypeE0EDF16_Li32ELi64ELi256ELb0ELi16EL8MFMAType0EEvPKT_PKT0_S8_ifPKiSA_SA_iPKfiiiPfSD_PS3_PT2_iSC_SC_: ; @_Z39paged_attention_ll4mi_QKV_mfma16_kernelIDF16_DF16_LN4vllm18Fp8KVCacheDataTypeE0EDF16_Li32ELi64ELi256ELb0ELi16EL8MFMAType0EEvPKT_PKT0_S8_ifPKiSA_SA_iPKfiiiPfSD_PS3_PT2_iSC_SC_
; %bb.0:
	s_load_b64 s[2:3], s[0:1], 0x30
	s_mov_b32 s34, s13
	s_waitcnt lgkmcnt(0)
	s_cmp_lg_u64 s[2:3], 0
	s_cselect_b32 s6, -1, 0
	s_ashr_i32 s35, s13, 31
	s_cmp_eq_u64 s[2:3], 0
	s_cbranch_scc1 .LBB189_3
; %bb.1:
	s_lshl_b64 s[4:5], s[34:35], 2
	s_delay_alu instid0(SALU_CYCLE_1) | instskip(SKIP_4) | instid1(SALU_CYCLE_1)
	s_add_u32 s4, s2, s4
	s_addc_u32 s5, s3, s5
	s_load_b64 s[4:5], s[4:5], 0x0
	s_waitcnt lgkmcnt(0)
	s_sub_i32 s4, s5, s4
	s_cmp_eq_u32 s4, 1
	s_cselect_b32 s4, -1, 0
	s_delay_alu instid0(SALU_CYCLE_1)
	s_and_not1_b32 vcc_lo, exec_lo, s4
	s_cbranch_vccz .LBB189_4
.LBB189_2:
	s_endpgm
.LBB189_3:
.LBB189_4:
	s_load_b64 s[8:9], s[0:1], 0x28
	s_lshl_b64 s[4:5], s[34:35], 2
	s_waitcnt lgkmcnt(0)
	s_add_u32 s8, s8, s4
	s_addc_u32 s9, s9, s5
	s_lshl_b32 s16, s14, 8
	s_load_b32 s18, s[8:9], 0x0
	s_waitcnt lgkmcnt(0)
	s_cmp_ge_i32 s16, s18
	s_cbranch_scc1 .LBB189_2
; %bb.5:
	s_and_not1_b32 vcc_lo, exec_lo, s6
	s_cbranch_vccnz .LBB189_7
; %bb.6:
	s_add_u32 s2, s2, s4
	s_addc_u32 s3, s3, s5
	s_load_b32 s17, s[2:3], 0x0
	s_branch .LBB189_8
.LBB189_7:
	s_mov_b32 s17, s34
.LBB189_8:
	s_clause 0x2
	s_load_b128 s[8:11], s[0:1], 0x8
	s_load_b64 s[12:13], s[0:1], 0x20
	s_load_b128 s[4:7], s[0:1], 0x48
	v_and_b32_e32 v79, 15, v0
	v_cmp_lt_u32_e32 vcc_lo, 0xff, v0
	s_delay_alu instid0(VALU_DEP_2) | instskip(SKIP_2) | instid1(VALU_DEP_3)
	v_cmp_lt_u32_e64 s3, 7, v79
	v_lshlrev_b32_e32 v1, 3, v79
	v_cmp_gt_u32_e64 s2, 8, v79
	s_or_b32 s3, vcc_lo, s3
	s_waitcnt lgkmcnt(0)
	s_and_saveexec_b32 s7, s3
	s_delay_alu instid0(SALU_CYCLE_1)
	s_xor_b32 s3, exec_lo, s7
; %bb.9:
	v_mov_b32_e32 v2, 0
; %bb.10:
	s_or_saveexec_b32 s3, s3
	v_lshrrev_b32_e32 v78, 5, v0
	v_and_b32_e32 v80, 31, v0
	v_and_b32_e32 v76, 1, v0
	v_bfe_u32 v75, v0, 4, 1
	s_lshl_b32 s31, s15, 4
	s_xor_b32 exec_lo, exec_lo, s3
	s_cbranch_execz .LBB189_12
; %bb.11:
	s_delay_alu instid0(VALU_DEP_1)
	v_lshl_or_b32 v7, v78, 1, v75
	s_load_b64 s[20:21], s[0:1], 0x0
	s_mul_hi_i32 s23, s17, s4
	s_mul_i32 s22, s17, s4
	v_lshlrev_b32_e32 v4, 1, v1
	v_or_b32_e32 v2, s31, v7
	s_lshl_b64 s[22:23], s[22:23], 1
	v_lshlrev_b32_e32 v7, 6, v7
	v_lshlrev_b32_e32 v8, 10, v76
	s_delay_alu instid0(VALU_DEP_3) | instskip(NEXT) | instid1(VALU_DEP_1)
	v_lshlrev_b32_e32 v2, 6, v2
	v_ashrrev_i32_e32 v3, 31, v2
	s_delay_alu instid0(VALU_DEP_1) | instskip(SKIP_3) | instid1(VALU_DEP_1)
	v_lshlrev_b64 v[2:3], 1, v[2:3]
	s_waitcnt lgkmcnt(0)
	s_add_u32 s4, s20, s22
	s_addc_u32 s7, s21, s23
	v_add_co_u32 v2, vcc_lo, s4, v2
	s_delay_alu instid0(VALU_DEP_2) | instskip(NEXT) | instid1(VALU_DEP_2)
	v_add_co_ci_u32_e32 v3, vcc_lo, s7, v3, vcc_lo
	v_add_co_u32 v2, vcc_lo, v2, v4
	s_delay_alu instid0(VALU_DEP_2) | instskip(SKIP_2) | instid1(VALU_DEP_1)
	v_add_co_ci_u32_e32 v3, vcc_lo, 0, v3, vcc_lo
	global_load_b128 v[3:6], v[2:3], off
	v_lshlrev_b32_e32 v2, 10, v79
	v_and_b32_e32 v2, 0x3800, v2
	s_delay_alu instid0(VALU_DEP_1)
	v_or3_b32 v7, v2, v8, v7
	v_mov_b32_e32 v2, 0
	s_waitcnt vmcnt(0)
	ds_store_b128 v7, v[3:6]
.LBB189_12:
	s_or_b32 exec_lo, exec_lo, s3
	v_and_b32_e32 v3, 0xef, v0
	s_add_i32 s3, s18, 31
	s_clause 0x1
	s_load_b32 s4, s[0:1], 0x38
	s_load_b32 s33, s[0:1], 0x98
	s_ashr_i32 s7, s3, 31
	v_add_nc_u32_e32 v3, s16, v3
	s_lshr_b32 s7, s7, 27
	s_load_b32 s19, s[0:1], 0x1c
	s_add_i32 s3, s3, s7
	s_waitcnt lgkmcnt(0)
	v_ashrrev_i32_e32 v4, 31, v3
	v_cmp_gt_i32_e32 vcc_lo, s18, v3
	s_ashr_i32 s3, s3, 5
	s_barrier
	s_add_i32 s3, s3, -1
	v_lshrrev_b32_e32 v5, 27, v4
	v_or_b32_e32 v4, 16, v3
	buffer_gl0_inv
	s_mul_i32 s6, s15, s6
	v_lshlrev_b64 v[73:74], 1, v[1:2]
	v_add_nc_u32_e32 v6, v3, v5
	v_add_nc_u32_e32 v5, v4, v5
	s_mul_i32 s20, s34, s4
	s_delay_alu instid0(SALU_CYCLE_1) | instskip(NEXT) | instid1(VALU_DEP_2)
	s_ashr_i32 s21, s20, 31
	v_ashrrev_i32_e32 v6, 5, v6
	s_delay_alu instid0(VALU_DEP_2) | instskip(SKIP_1) | instid1(SALU_CYCLE_1)
	v_ashrrev_i32_e32 v5, 5, v5
	s_lshl_b64 s[20:21], s[20:21], 2
	s_add_u32 s4, s12, s20
	s_delay_alu instid0(VALU_DEP_2) | instskip(SKIP_3) | instid1(SALU_CYCLE_1)
	v_cndmask_b32_e32 v3, s3, v6, vcc_lo
	v_cmp_gt_i32_e32 vcc_lo, s18, v4
	s_addc_u32 s17, s13, s21
	s_ashr_i32 s7, s6, 31
	s_lshl_b64 s[6:7], s[6:7], 1
	v_cndmask_b32_e32 v5, s3, v5, vcc_lo
	v_ashrrev_i32_e32 v4, 31, v3
	s_add_u32 s15, s8, s6
	s_addc_u32 s28, s9, s7
	s_lshl_b32 s8, s14, 3
	v_ashrrev_i32_e32 v6, 31, v5
	v_lshlrev_b64 v[3:4], 2, v[3:4]
	s_ashr_i32 s9, s8, 31
	s_delay_alu instid0(SALU_CYCLE_1) | instskip(NEXT) | instid1(VALU_DEP_2)
	s_lshl_b64 s[8:9], s[8:9], 2
	v_lshlrev_b64 v[5:6], 2, v[5:6]
	s_add_u32 s8, s4, s8
	s_delay_alu instid0(VALU_DEP_2) | instskip(SKIP_1) | instid1(VALU_DEP_3)
	v_add_co_u32 v3, vcc_lo, s4, v3
	v_add_co_ci_u32_e32 v4, vcc_lo, s17, v4, vcc_lo
	v_add_co_u32 v5, vcc_lo, s4, v5
	s_delay_alu instid0(VALU_DEP_4)
	v_add_co_ci_u32_e32 v6, vcc_lo, s17, v6, vcc_lo
	s_addc_u32 s9, s17, s9
	s_clause 0x1
	global_load_b32 v7, v[3:4], off
	global_load_b32 v8, v[5:6], off
	s_or_b32 s12, s16, 32
	s_delay_alu instid0(SALU_CYCLE_1) | instskip(SKIP_2) | instid1(SALU_CYCLE_1)
	s_ashr_i32 s13, s12, 5
	s_cmp_lt_i32 s12, s18
	s_cselect_b32 s12, s13, s3
	s_ashr_i32 s13, s12, 31
	s_delay_alu instid0(SALU_CYCLE_1) | instskip(NEXT) | instid1(SALU_CYCLE_1)
	s_lshl_b64 s[12:13], s[12:13], 2
	s_add_u32 s12, s4, s12
	s_addc_u32 s13, s17, s13
	s_or_b32 s20, s16, 64
	s_delay_alu instid0(SALU_CYCLE_1) | instskip(SKIP_2) | instid1(SALU_CYCLE_1)
	s_ashr_i32 s21, s20, 5
	s_cmp_lt_i32 s20, s18
	s_cselect_b32 s20, s21, s3
	s_ashr_i32 s21, s20, 31
	s_delay_alu instid0(SALU_CYCLE_1) | instskip(NEXT) | instid1(SALU_CYCLE_1)
	s_lshl_b64 s[20:21], s[20:21], 2
	s_add_u32 s20, s4, s20
	s_addc_u32 s21, s17, s21
	;; [unrolled: 10-line block ×5, first 2 shown]
	s_clause 0x5
	s_load_b32 s29, s[8:9], 0x0
	s_load_b32 s30, s[12:13], 0x0
	;; [unrolled: 1-line block ×6, first 2 shown]
	s_or_b32 s8, s16, 0xc0
	s_mov_b32 s20, 0
	s_ashr_i32 s9, s8, 5
	s_cmp_lt_i32 s8, s18
	s_mov_b32 s27, s20
	s_cselect_b32 s8, s9, s3
	s_mov_b32 s21, s20
	s_ashr_i32 s9, s8, 31
	s_mov_b32 s22, s20
	s_lshl_b64 s[8:9], s[8:9], 2
	s_mov_b32 s23, s20
	s_add_u32 s8, s4, s8
	s_mov_b32 s24, s20
	s_mov_b32 s25, s20
	;; [unrolled: 1-line block ×3, first 2 shown]
	s_addc_u32 s9, s17, s9
	v_dual_mov_b32 v128, s27 :: v_dual_lshlrev_b32 v77, 6, v79
	v_dual_mov_b32 v122, s21 :: v_dual_mov_b32 v127, s26
	v_dual_mov_b32 v126, s25 :: v_dual_mov_b32 v125, s24
	;; [unrolled: 1-line block ×3, first 2 shown]
	v_mov_b32_e32 v121, s20
	s_waitcnt lgkmcnt(0)
	s_mul_hi_i32 s13, s29, s5
	s_mul_i32 s12, s29, s5
	s_mul_hi_i32 s21, s30, s5
	s_mul_i32 s20, s30, s5
	s_mul_hi_i32 s25, s35, s5
	s_mul_i32 s24, s35, s5
	s_mul_hi_i32 s27, s36, s5
	s_mul_i32 s26, s36, s5
	s_mul_i32 s36, s38, s5
	s_waitcnt vmcnt(1)
	v_mad_i64_i32 v[3:4], null, v7, s5, 0
	s_waitcnt vmcnt(0)
	v_mad_i64_i32 v[5:6], null, v8, s5, 0
	s_delay_alu instid0(VALU_DEP_2) | instskip(NEXT) | instid1(VALU_DEP_2)
	v_lshlrev_b64 v[3:4], 1, v[3:4]
	v_lshlrev_b64 v[1:2], 1, v[5:6]
	s_delay_alu instid0(VALU_DEP_2) | instskip(NEXT) | instid1(VALU_DEP_3)
	v_add_co_u32 v3, vcc_lo, s15, v3
	v_add_co_ci_u32_e32 v4, vcc_lo, s28, v4, vcc_lo
	s_delay_alu instid0(VALU_DEP_3) | instskip(NEXT) | instid1(VALU_DEP_4)
	v_add_co_u32 v5, vcc_lo, s15, v1
	v_add_co_ci_u32_e32 v6, vcc_lo, s28, v2, vcc_lo
	s_delay_alu instid0(VALU_DEP_4) | instskip(NEXT) | instid1(VALU_DEP_4)
	v_add_co_u32 v1, vcc_lo, v3, v73
	v_add_co_ci_u32_e32 v2, vcc_lo, v4, v74, vcc_lo
	s_delay_alu instid0(VALU_DEP_4) | instskip(NEXT) | instid1(VALU_DEP_4)
	v_add_co_u32 v3, vcc_lo, v5, v73
	v_add_co_ci_u32_e32 v4, vcc_lo, v6, v74, vcc_lo
	s_clause 0xf
	global_load_b128 v[17:20], v[1:2], off
	global_load_b128 v[21:24], v[1:2], off offset:512
	global_load_b128 v[25:28], v[3:4], off offset:256
	;; [unrolled: 1-line block ×15, first 2 shown]
	s_or_b32 s15, s16, 0xe0
	v_lshl_or_b32 v1, v78, 10, v77
	s_ashr_i32 s22, s15, 5
	s_cmp_lt_i32 s15, s18
	ds_load_b128 v[129:132], v77
	ds_load_b128 v[133:136], v77 offset:1024
	s_cselect_b32 s22, s22, s3
	s_delay_alu instid0(SALU_CYCLE_1) | instskip(NEXT) | instid1(SALU_CYCLE_1)
	s_ashr_i32 s23, s22, 31
	s_lshl_b64 s[22:23], s[22:23], 2
	s_delay_alu instid0(SALU_CYCLE_1) | instskip(SKIP_2) | instid1(SALU_CYCLE_1)
	s_add_u32 s22, s4, s22
	s_addc_u32 s23, s17, s23
	s_add_i32 s15, s16, 0x100
	s_ashr_i32 s28, s15, 5
	s_cmp_lt_i32 s15, s18
	s_load_b32 s15, s[8:9], 0x0
	s_cselect_b32 s28, s28, s3
	s_mul_hi_i32 s9, s37, s5
	s_ashr_i32 s29, s28, 31
	s_mul_i32 s8, s37, s5
	s_lshl_b64 s[28:29], s[28:29], 2
	s_mul_hi_i32 s37, s38, s5
	s_add_u32 s28, s4, s28
	s_addc_u32 s29, s17, s29
	s_add_u32 s3, s10, s6
	s_clause 0x1
	s_load_b32 s4, s[22:23], 0x0
	s_load_b32 s17, s[28:29], 0x0
	s_addc_u32 s28, s11, s7
	v_add_co_u32 v147, s3, s3, v1
	s_delay_alu instid0(VALU_DEP_1) | instskip(SKIP_2) | instid1(VALU_DEP_2)
	v_add_co_ci_u32_e64 v148, null, s28, 0, s3
	s_lshl_b64 s[6:7], s[12:13], 1
	s_lshl_b64 s[10:11], s[20:21], 1
	v_add_co_u32 v1, vcc_lo, v147, s6
	s_delay_alu instid0(VALU_DEP_2)
	v_add_co_ci_u32_e32 v2, vcc_lo, s7, v148, vcc_lo
	v_add_co_u32 v3, vcc_lo, v147, s10
	s_lshl_b64 s[12:13], s[24:25], 1
	v_add_co_ci_u32_e32 v4, vcc_lo, s11, v148, vcc_lo
	v_add_co_u32 v5, vcc_lo, v147, s12
	s_lshl_b64 s[20:21], s[26:27], 1
	v_add_co_ci_u32_e32 v6, vcc_lo, s13, v148, vcc_lo
	v_add_co_u32 v7, vcc_lo, v147, s20
	s_lshl_b64 s[8:9], s[8:9], 1
	v_add_co_ci_u32_e32 v8, vcc_lo, s21, v148, vcc_lo
	v_add_co_u32 v13, vcc_lo, v147, s8
	s_lshl_b64 s[22:23], s[36:37], 1
	s_waitcnt lgkmcnt(0)
	s_mul_hi_i32 s25, s15, s5
	s_mul_i32 s24, s15, s5
	v_add_co_ci_u32_e32 v14, vcc_lo, s9, v148, vcc_lo
	v_add_co_u32 v137, vcc_lo, v147, s22
	s_lshl_b64 s[24:25], s[24:25], 1
	v_add_co_ci_u32_e32 v138, vcc_lo, s23, v148, vcc_lo
	v_add_co_u32 v145, vcc_lo, v147, s24
	v_add_co_ci_u32_e32 v146, vcc_lo, s25, v148, vcc_lo
	s_clause 0xb
	global_load_b128 v[65:68], v[1:2], off
	global_load_b128 v[69:72], v[1:2], off offset:16
	global_load_b128 v[57:60], v[3:4], off
	global_load_b128 v[61:64], v[3:4], off offset:16
	;; [unrolled: 2-line block ×6, first 2 shown]
	s_mul_hi_i32 s7, s4, s5
	s_mul_i32 s6, s4, s5
	s_delay_alu instid0(SALU_CYCLE_1)
	s_lshl_b64 s[6:7], s[6:7], 1
	s_waitcnt vmcnt(26)
	v_wmma_f32_16x16x16_f16 v[137:144], v[17:24], v[129:136], v[121:128]
	s_waitcnt vmcnt(24)
	v_wmma_f32_16x16x16_f16 v[121:128], v[25:32], v[129:136], v[121:128]
	s_clause 0x1
	global_load_b128 v[25:28], v[145:146], off
	global_load_b128 v[29:32], v[145:146], off offset:16
	ds_load_b128 v[17:20], v77 offset:2048
	ds_load_b128 v[21:24], v77 offset:3072
	v_add_co_u32 v129, vcc_lo, v147, s6
	v_add_co_ci_u32_e32 v130, vcc_lo, s7, v148, vcc_lo
	s_mul_hi_i32 s7, s17, s5
	s_mul_i32 s6, s17, s5
	s_delay_alu instid0(SALU_CYCLE_1) | instskip(NEXT) | instid1(SALU_CYCLE_1)
	s_lshl_b64 s[4:5], s[6:7], 1
	v_add_co_u32 v131, vcc_lo, v147, s4
	v_add_co_ci_u32_e32 v132, vcc_lo, s5, v148, vcc_lo
	s_waitcnt vmcnt(24) lgkmcnt(0)
	v_wmma_f32_16x16x16_f16 v[137:144], v[33:40], v[17:24], v[137:144]
	s_clause 0x1
	global_load_b128 v[33:36], v[129:130], off
	global_load_b128 v[37:40], v[129:130], off offset:16
	s_waitcnt vmcnt(24)
	v_wmma_f32_16x16x16_f16 v[121:128], v[81:88], v[17:24], v[121:128]
	s_clause 0x1
	global_load_b128 v[17:20], v[131:132], off
	global_load_b128 v[21:24], v[131:132], off offset:16
	ds_load_b128 v[81:84], v77 offset:4096
	ds_load_b128 v[85:88], v77 offset:5120
	v_mbcnt_lo_u32_b32 v130, -1, 0
	s_delay_alu instid0(VALU_DEP_1) | instskip(NEXT) | instid1(VALU_DEP_1)
	v_xor_b32_e32 v131, 16, v130
	v_cmp_gt_i32_e32 vcc_lo, 32, v131
	v_cndmask_b32_e32 v130, v130, v131, vcc_lo
	s_waitcnt vmcnt(24) lgkmcnt(0)
	v_wmma_f32_16x16x16_f16 v[137:144], v[89:96], v[81:88], v[137:144]
	ds_load_b128 v[89:92], v77 offset:6144
	ds_load_b128 v[93:96], v77 offset:7168
	s_waitcnt vmcnt(22)
	v_wmma_f32_16x16x16_f16 v[121:128], v[97:104], v[81:88], v[121:128]
	s_waitcnt vmcnt(0) lgkmcnt(0)
	s_barrier
	buffer_gl0_inv
	v_wmma_f32_16x16x16_f16 v[137:144], v[105:112], v[89:96], v[137:144]
	v_and_b32_e32 v129, 0xe0, v0
	v_wmma_f32_16x16x16_f16 v[121:128], v[113:120], v[89:96], v[121:128]
	s_delay_alu instid0(VALU_DEP_2) | instskip(NEXT) | instid1(VALU_DEP_2)
	v_dual_mul_f32 v94, s19, v139 :: v_dual_add_nc_u32 v129, s16, v129
	v_mul_f32_e32 v102, s19, v128
	v_dual_mul_f32 v89, s19, v144 :: v_dual_mul_f32 v96, s19, v137
	v_mul_f32_e32 v95, s19, v138
	s_delay_alu instid0(VALU_DEP_4) | instskip(SKIP_2) | instid1(VALU_DEP_3)
	v_or_b32_e32 v129, v129, v75
	v_dual_mul_f32 v93, s19, v140 :: v_dual_mul_f32 v104, s19, v126
	v_dual_mul_f32 v91, s19, v142 :: v_dual_mul_f32 v106, s19, v124
	v_or_b32_e32 v131, 2, v129
	v_or_b32_e32 v132, 4, v129
	;; [unrolled: 1-line block ×3, first 2 shown]
	v_cmp_gt_i32_e32 vcc_lo, s18, v129
	v_or_b32_e32 v82, 8, v129
	v_cmp_gt_i32_e64 s3, s18, v131
	v_or_b32_e32 v83, 10, v129
	v_cmp_gt_i32_e64 s4, s18, v132
	v_cndmask_b32_e32 v96, 0xff7fffff, v96, vcc_lo
	v_cmp_gt_i32_e64 s5, s18, v81
	v_cndmask_b32_e64 v95, 0xff7fffff, v95, s3
	v_or_b32_e32 v84, 12, v129
	v_or_b32_e32 v85, 14, v129
	v_mul_f32_e32 v92, s19, v141
	v_cndmask_b32_e64 v94, 0xff7fffff, v94, s4
	v_cndmask_b32_e64 v81, 0xff7fffff, v93, s5
	v_max3_f32 v93, v96, 0xff7fffff, v95
	v_cmp_gt_i32_e64 s6, s18, v82
	v_cmp_gt_i32_e64 s7, s18, v83
	v_or_b32_e32 v86, 16, v129
	v_or_b32_e32 v87, 18, v129
	v_mul_f32_e32 v90, s19, v143
	v_cndmask_b32_e64 v82, 0xff7fffff, v92, s6
	v_cndmask_b32_e64 v83, 0xff7fffff, v91, s7
	v_max3_f32 v81, v93, v94, v81
	v_cmp_gt_i32_e64 s8, s18, v84
	v_cmp_gt_i32_e64 s9, s18, v85
	v_or_b32_e32 v88, 20, v129
	v_or_b32_e32 v97, 22, v129
	v_dual_mul_f32 v103, s19, v127 :: v_dual_mul_f32 v108, s19, v122
	v_mul_f32_e32 v109, s19, v121
	v_cndmask_b32_e64 v84, 0xff7fffff, v90, s8
	v_cndmask_b32_e64 v85, 0xff7fffff, v89, s9
	v_max3_f32 v81, v81, v82, v83
	v_cmp_gt_i32_e64 s10, s18, v86
	v_cmp_gt_i32_e64 s11, s18, v87
	v_or_b32_e32 v98, 24, v129
	v_or_b32_e32 v99, 26, v129
	v_mul_f32_e32 v107, s19, v123
	v_cndmask_b32_e64 v82, 0xff7fffff, v109, s10
	v_cndmask_b32_e64 v83, 0xff7fffff, v108, s11
	v_max3_f32 v81, v81, v84, v85
	v_cmp_gt_i32_e64 s12, s18, v88
	v_cmp_gt_i32_e64 s13, s18, v97
	v_or_b32_e32 v100, 28, v129
	v_or_b32_e32 v101, 30, v129
	v_mul_f32_e32 v105, s19, v125
	v_cndmask_b32_e64 v84, 0xff7fffff, v107, s12
	v_cndmask_b32_e64 v85, 0xff7fffff, v106, s13
	v_max3_f32 v81, v81, v82, v83
	v_cmp_gt_i32_e64 s15, s18, v98
	v_cmp_gt_i32_e64 s16, s18, v99
	;; [unrolled: 1-line block ×4, first 2 shown]
	v_max3_f32 v81, v81, v84, v85
	v_cndmask_b32_e64 v82, 0xff7fffff, v105, s15
	v_cndmask_b32_e64 v83, 0xff7fffff, v104, s16
	;; [unrolled: 1-line block ×4, first 2 shown]
	s_delay_alu instid0(VALU_DEP_3) | instskip(SKIP_1) | instid1(VALU_DEP_2)
	v_max3_f32 v81, v81, v82, v83
	v_lshlrev_b32_e32 v83, 2, v130
	v_max3_f32 v81, v81, v84, v85
	ds_bpermute_b32 v82, v83, v81
	s_waitcnt lgkmcnt(0)
	v_max_f32_e32 v82, v82, v82
	s_delay_alu instid0(VALU_DEP_1) | instskip(NEXT) | instid1(VALU_DEP_1)
	v_max_f32_e32 v81, v81, v82
	v_fma_f32 v82, s19, v137, -v81
	v_fma_f32 v84, s19, v138, -v81
	;; [unrolled: 1-line block ×4, first 2 shown]
	s_delay_alu instid0(VALU_DEP_4) | instskip(NEXT) | instid1(VALU_DEP_3)
	v_mul_f32_e32 v82, 0x3fb8aa3b, v82
	v_dual_mul_f32 v84, 0x3fb8aa3b, v84 :: v_dual_mul_f32 v85, 0x3fb8aa3b, v85
	s_delay_alu instid0(VALU_DEP_3) | instskip(NEXT) | instid1(VALU_DEP_3)
	v_mul_f32_e32 v86, 0x3fb8aa3b, v86
	v_exp_f32_e32 v82, v82
	s_delay_alu instid0(VALU_DEP_2) | instskip(NEXT) | instid1(VALU_DEP_2)
	v_exp_f32_e32 v84, v84
	v_exp_f32_e32 v85, v85
	s_delay_alu instid0(VALU_DEP_1) | instskip(SKIP_1) | instid1(TRANS32_DEP_3)
	v_exp_f32_e32 v90, v86
	v_cndmask_b32_e32 v87, 0, v82, vcc_lo
	v_cndmask_b32_e64 v86, 0, v84, s3
	s_waitcnt_depctr 0xfff
	v_cndmask_b32_e64 v89, 0, v85, s4
	s_mov_b32 s3, exec_lo
	v_add_f32_e32 v84, 0, v87
	s_delay_alu instid0(VALU_DEP_1) | instskip(NEXT) | instid1(VALU_DEP_1)
	v_add_f32_e32 v84, v84, v86
	v_add_f32_e32 v84, v84, v89
	v_fma_f32 v88, s19, v141, -v81
	v_fma_f32 v82, s19, v142, -v81
	;; [unrolled: 1-line block ×5, first 2 shown]
	v_mul_f32_e32 v88, 0x3fb8aa3b, v88
	s_delay_alu instid0(VALU_DEP_4) | instskip(SKIP_1) | instid1(VALU_DEP_4)
	v_dual_mul_f32 v82, 0x3fb8aa3b, v82 :: v_dual_mul_f32 v91, 0x3fb8aa3b, v91
	v_fma_f32 v100, s19, v128, -v81
	v_mul_f32_e32 v97, 0x3fb8aa3b, v95
	s_delay_alu instid0(VALU_DEP_4)
	v_exp_f32_e32 v92, v88
	v_cndmask_b32_e64 v88, 0, v90, s5
	v_fma_f32 v90, s19, v121, -v81
	v_mul_f32_e32 v85, 0x3fb8aa3b, v85
	v_exp_f32_e32 v82, v82
	v_exp_f32_e32 v93, v91
	v_add_f32_e32 v84, v84, v88
	v_mul_f32_e32 v94, 0x3fb8aa3b, v90
	v_exp_f32_e32 v85, v85
	v_exp_f32_e32 v99, v97
	v_cndmask_b32_e64 v91, 0, v92, s6
	v_fma_f32 v92, s19, v122, -v81
	v_exp_f32_e32 v94, v94
	v_fma_f32 v98, s19, v126, -v81
	v_cndmask_b32_e64 v90, 0, v82, s7
	v_cndmask_b32_e64 v93, 0, v93, s8
	v_mul_f32_e32 v92, 0x3fb8aa3b, v92
	s_delay_alu instid0(VALU_DEP_4) | instskip(NEXT) | instid1(VALU_DEP_2)
	v_mul_f32_e32 v98, 0x3fb8aa3b, v98
	v_exp_f32_e32 v96, v92
	v_cndmask_b32_e64 v92, 0, v85, s9
	v_fma_f32 v85, s19, v125, -v81
	v_add_f32_e32 v82, v84, v91
	v_fma_f32 v84, s19, v123, -v81
	v_cndmask_b32_e64 v95, 0, v94, s10
	v_exp_f32_e32 v98, v98
	s_delay_alu instid0(VALU_DEP_3) | instskip(NEXT) | instid1(VALU_DEP_3)
	v_dual_mul_f32 v85, 0x3fb8aa3b, v85 :: v_dual_add_f32 v82, v82, v90
	v_mul_f32_e32 v84, 0x3fb8aa3b, v84
	s_delay_alu instid0(TRANS32_DEP_2) | instskip(SKIP_1) | instid1(VALU_DEP_4)
	v_cndmask_b32_e64 v94, 0, v96, s11
	v_fma_f32 v96, s19, v127, -v81
	v_exp_f32_e32 v85, v85
	s_delay_alu instid0(VALU_DEP_3) | instskip(NEXT) | instid1(TRANS32_DEP_3)
	v_exp_f32_e32 v84, v84
	v_cndmask_b32_e64 v98, 0, v98, s16
	s_waitcnt_depctr 0xfff
	v_cndmask_b32_e64 v97, 0, v84, s12
	v_mul_f32_e32 v84, 0x3fb8aa3b, v96
	v_cndmask_b32_e64 v96, 0, v99, s13
	v_cndmask_b32_e64 v99, 0, v85, s15
	v_dual_mul_f32 v85, 0x3fb8aa3b, v100 :: v_dual_add_f32 v82, v82, v93
	s_delay_alu instid0(VALU_DEP_4) | instskip(NEXT) | instid1(VALU_DEP_1)
	v_exp_f32_e32 v84, v84
	v_exp_f32_e32 v85, v85
	s_delay_alu instid0(VALU_DEP_1) | instskip(NEXT) | instid1(VALU_DEP_1)
	v_add_f32_e32 v82, v82, v92
	v_add_f32_e32 v82, v82, v95
	s_waitcnt_depctr 0xfff
	v_cndmask_b32_e64 v101, 0, v84, s17
	v_cndmask_b32_e64 v100, 0, v85, s18
	v_add_f32_e32 v82, v82, v94
	s_delay_alu instid0(VALU_DEP_1) | instskip(NEXT) | instid1(VALU_DEP_1)
	v_add_f32_e32 v82, v82, v97
	v_add_f32_e32 v82, v82, v96
	s_delay_alu instid0(VALU_DEP_1) | instskip(NEXT) | instid1(VALU_DEP_1)
	v_add_f32_e32 v82, v82, v99
	;; [unrolled: 3-line block ×3, first 2 shown]
	v_add_f32_e32 v82, v82, v100
	ds_bpermute_b32 v83, v83, v82
	v_cmpx_gt_u32_e32 16, v80
	s_cbranch_execz .LBB189_14
; %bb.13:
	v_mul_u32_u24_e32 v80, 0x44, v78
	s_waitcnt lgkmcnt(0)
	v_add_f32_e32 v82, v82, v83
	s_delay_alu instid0(VALU_DEP_2) | instskip(NEXT) | instid1(VALU_DEP_1)
	v_lshl_add_u32 v80, v79, 2, v80
	v_add_nc_u32_e32 v80, 0x4000, v80
	ds_store_2addr_b32 v80, v81, v82 offset1:136
.LBB189_14:
	s_or_b32 exec_lo, exec_lo, s3
	v_lshlrev_b32_e32 v79, 2, v79
	s_load_b32 s35, s[0:1], 0x94
	s_waitcnt lgkmcnt(0)
	s_barrier
	buffer_gl0_inv
	v_add_nc_u32_e32 v83, 0x4000, v79
	v_cmp_eq_u32_e32 vcc_lo, 1, v78
	v_cmp_eq_u32_e64 s3, 2, v78
	v_cmp_eq_u32_e64 s4, 3, v78
	;; [unrolled: 1-line block ×3, first 2 shown]
	ds_load_2addr_b32 v[79:80], v83 offset1:17
	ds_load_2addr_b32 v[81:82], v83 offset0:34 offset1:51
	ds_load_2addr_b32 v[102:103], v83 offset0:68 offset1:85
	;; [unrolled: 1-line block ×3, first 2 shown]
	v_cmp_eq_u32_e64 s6, 7, v78
	s_waitcnt lgkmcnt(3)
	v_max3_f32 v84, v79, 0xff7fffff, v80
	s_waitcnt lgkmcnt(2)
	s_delay_alu instid0(VALU_DEP_1) | instskip(SKIP_1) | instid1(VALU_DEP_1)
	v_max3_f32 v84, v84, v81, v82
	s_waitcnt lgkmcnt(1)
	v_max3_f32 v84, v84, v102, v103
	s_waitcnt lgkmcnt(0)
	s_delay_alu instid0(VALU_DEP_1) | instskip(NEXT) | instid1(VALU_DEP_1)
	v_max3_f32 v84, v84, v104, v105
	v_sub_f32_e32 v102, v102, v84
	ds_load_2addr_b32 v[106:107], v83 offset0:136 offset1:153
	v_sub_f32_e32 v79, v79, v84
	v_dual_sub_f32 v109, v82, v84 :: v_dual_mul_f32 v112, 0x3fb8aa3b, v102
	s_delay_alu instid0(VALU_DEP_2) | instskip(SKIP_3) | instid1(VALU_DEP_1)
	v_dual_sub_f32 v85, v80, v84 :: v_dual_mul_f32 v108, 0x3fb8aa3b, v79
	ds_load_2addr_b32 v[79:80], v83 offset0:170 offset1:187
	v_mul_f32_e32 v85, 0x3fb8aa3b, v85
	v_exp_f32_e32 v108, v108
	v_exp_f32_e32 v111, v85
	v_mul_f32_e32 v109, 0x3fb8aa3b, v109
	s_waitcnt lgkmcnt(1)
	s_waitcnt_depctr 0xfff
	v_fma_f32 v85, v108, v106, 0
	v_sub_f32_e32 v106, v103, v84
	v_sub_f32_e32 v81, v81, v84
	v_exp_f32_e32 v109, v109
	ds_load_2addr_b32 v[102:103], v83 offset0:238 offset1:255
	v_dual_fmac_f32 v85, v111, v107 :: v_dual_mul_f32 v110, 0x3fb8aa3b, v81
	ds_load_2addr_b32 v[81:82], v83 offset0:204 offset1:221
	v_dual_sub_f32 v83, v104, v84 :: v_dual_mul_f32 v104, 0x3fb8aa3b, v106
	v_exp_f32_e32 v106, v112
	v_exp_f32_e32 v110, v110
	s_waitcnt lgkmcnt(0)
	s_delay_alu instid0(VALU_DEP_1)
	v_mul_f32_e32 v83, 0x3fb8aa3b, v83
	v_exp_f32_e32 v104, v104
	s_barrier
	buffer_gl0_inv
	v_fmac_f32_e32 v85, v110, v79
	v_sub_f32_e32 v79, v105, v84
	v_exp_f32_e32 v105, v83
	s_delay_alu instid0(VALU_DEP_2) | instskip(NEXT) | instid1(VALU_DEP_2)
	v_fmac_f32_e32 v85, v109, v80
	v_mul_f32_e32 v79, 0x3fb8aa3b, v79
	s_delay_alu instid0(VALU_DEP_2) | instskip(NEXT) | instid1(VALU_DEP_2)
	v_dual_cndmask_b32 v80, v108, v111 :: v_dual_fmac_f32 v85, v106, v81
	v_exp_f32_e32 v107, v79
	s_delay_alu instid0(VALU_DEP_1) | instskip(SKIP_2) | instid1(VALU_DEP_1)
	v_fmac_f32_e32 v85, v104, v82
	s_waitcnt_depctr 0xfff
	v_fmac_f32_e32 v85, v105, v102
	v_fmac_f32_e32 v85, v107, v103
	s_delay_alu instid0(VALU_DEP_1) | instskip(NEXT) | instid1(VALU_DEP_1)
	v_add_f32_e32 v102, 0x358637bd, v85
	v_div_scale_f32 v103, null, v102, v102, 1.0
	v_div_scale_f32 v108, vcc_lo, 1.0, v102, 1.0
	s_delay_alu instid0(VALU_DEP_2) | instskip(SKIP_2) | instid1(VALU_DEP_1)
	v_rcp_f32_e32 v112, v103
	s_waitcnt_depctr 0xfff
	v_fma_f32 v79, -v103, v112, 1.0
	v_fmac_f32_e32 v112, v79, v112
	v_cndmask_b32_e64 v79, v80, v110, s3
	v_cmp_eq_u32_e64 s3, 4, v78
	v_lshl_or_b32 v80, v78, 11, v77
	s_delay_alu instid0(VALU_DEP_4) | instskip(NEXT) | instid1(VALU_DEP_4)
	v_mul_f32_e32 v110, v108, v112
	v_cndmask_b32_e64 v81, v79, v109, s4
	v_cmp_eq_u32_e64 s4, 6, v78
	s_delay_alu instid0(VALU_DEP_4) | instskip(SKIP_3) | instid1(VALU_DEP_3)
	v_lshl_or_b32 v78, v75, 4, v80
	v_lshlrev_b32_e32 v79, 2, v75
	v_fma_f32 v82, -v103, v110, v108
	v_cndmask_b32_e64 v83, v81, v106, s3
	v_or_b32_e32 v81, 1, v79
	s_delay_alu instid0(VALU_DEP_3) | instskip(NEXT) | instid1(VALU_DEP_3)
	v_fmac_f32_e32 v110, v82, v112
	v_cndmask_b32_e64 v104, v83, v104, s5
	v_or_b32_e32 v83, 2, v79
	v_or_b32_e32 v82, 3, v79
	v_cmp_eq_u32_e64 s3, 1, v79
	v_fma_f32 v103, -v103, v110, v108
	v_cndmask_b32_e64 v104, v104, v105, s4
	v_cmp_eq_u32_e64 s9, 1, v81
	v_cmp_eq_u32_e64 s10, 1, v83
	;; [unrolled: 1-line block ×3, first 2 shown]
	v_div_fmas_f32 v103, v103, v112, v110
	v_cndmask_b32_e64 v104, v104, v107, s6
	v_cmp_eq_u32_e32 vcc_lo, 2, v79
	v_cmp_eq_u32_e64 s12, 2, v81
	v_cmp_eq_u32_e64 s15, 2, v83
	v_div_fixup_f32 v102, v103, v102, 1.0
	v_cmp_eq_u32_e64 s16, 2, v82
	v_cmp_eq_u32_e64 s18, 3, v82
	v_cmp_eq_u32_e64 s4, 3, v79
	v_cmp_eq_u32_e64 s13, 3, v81
	v_mul_f32_e32 v110, v104, v102
	v_cmp_eq_u32_e64 s17, 3, v83
	v_cmp_eq_u32_e64 s22, 4, v82
	;; [unrolled: 1-line block ×4, first 2 shown]
	v_fma_mixlo_f16 v102, v110, v87, 0
	v_fma_mixlo_f16 v103, v110, v89, 0
	;; [unrolled: 1-line block ×8, first 2 shown]
	v_fma_mixhi_f16 v102, v110, v86, 0
	v_fma_mixhi_f16 v103, v110, v88, 0
	;; [unrolled: 1-line block ×8, first 2 shown]
	ds_store_b128 v78, v[102:105]
	ds_store_b128 v78, v[106:109] offset:1024
	s_waitcnt lgkmcnt(0)
	s_barrier
	buffer_gl0_inv
	ds_load_b128 v[86:89], v80
	ds_load_b128 v[90:93], v80 offset:16
	ds_load_b128 v[94:97], v80 offset:1024
	;; [unrolled: 1-line block ×3, first 2 shown]
	v_cmp_eq_u32_e64 s21, 4, v83
	v_cmp_eq_u32_e64 s24, 5, v82
	;; [unrolled: 1-line block ×13, first 2 shown]
	s_waitcnt lgkmcnt(3)
	v_lshrrev_b32_e32 v102, 16, v86
	s_waitcnt lgkmcnt(2)
	v_lshrrev_b32_e32 v106, 16, v90
	;; [unrolled: 2-line block ×4, first 2 shown]
	v_lshrrev_b32_e32 v103, 16, v87
	v_cndmask_b32_e64 v118, v86, v102, s3
	v_cndmask_b32_e64 v119, v90, v106, s3
	;; [unrolled: 1-line block ×8, first 2 shown]
	v_lshrrev_b32_e32 v107, 16, v91
	v_cndmask_b32_e64 v102, v94, v110, s3
	v_cndmask_b32_e64 v106, v98, v114, s3
	;; [unrolled: 1-line block ×5, first 2 shown]
	v_cndmask_b32_e32 v110, v118, v87, vcc_lo
	v_cndmask_b32_e64 v118, v120, v87, s12
	v_cndmask_b32_e64 v120, v122, v87, s15
	;; [unrolled: 1-line block ×4, first 2 shown]
	v_lshrrev_b32_e32 v111, 16, v95
	v_lshrrev_b32_e32 v115, 16, v99
	v_cndmask_b32_e64 v125, v98, v114, s9
	v_cndmask_b32_e64 v127, v98, v114, s10
	v_cndmask_b32_e64 v98, v98, v114, s11
	v_cndmask_b32_e32 v114, v119, v91, vcc_lo
	v_cndmask_b32_e64 v119, v121, v91, s12
	v_cndmask_b32_e64 v121, v123, v91, s15
	v_cndmask_b32_e32 v90, v102, v95, vcc_lo
	v_cndmask_b32_e32 v91, v106, v99, vcc_lo
	v_cndmask_b32_e64 v102, v124, v95, s12
	v_cndmask_b32_e64 v86, v86, v103, s18
	;; [unrolled: 1-line block ×3, first 2 shown]
	v_lshrrev_b32_e32 v104, 16, v88
	v_lshrrev_b32_e32 v108, 16, v92
	v_cndmask_b32_e64 v106, v126, v95, s15
	v_cndmask_b32_e64 v94, v94, v95, s16
	;; [unrolled: 1-line block ×14, first 2 shown]
	v_lshrrev_b32_e32 v112, 16, v96
	v_cndmask_b32_e64 v98, v98, v88, s5
	v_cndmask_b32_e64 v103, v110, v92, s5
	;; [unrolled: 1-line block ×11, first 2 shown]
	v_lshrrev_b32_e32 v105, 16, v89
	v_lshrrev_b32_e32 v109, 16, v93
	v_cndmask_b32_e64 v92, v98, v104, s6
	v_cndmask_b32_e64 v98, v103, v108, s6
	;; [unrolled: 1-line block ×9, first 2 shown]
	v_lshrrev_b32_e32 v113, 16, v97
	v_cndmask_b32_e64 v88, v88, v112, s6
	v_cndmask_b32_e64 v92, v92, v89, s7
	;; [unrolled: 1-line block ×19, first 2 shown]
	v_perm_b32 v89, v87, v86, 0x5040100
	v_cndmask_b32_e64 v86, v125, v99, s12
	v_cndmask_b32_e64 v104, v88, v113, s8
	v_perm_b32 v88, v102, v98, 0x5040100
	v_perm_b32 v87, v103, v93, 0x5040100
	v_cndmask_b32_e64 v93, v106, v111, s17
	v_cndmask_b32_e64 v94, v94, v111, s18
	;; [unrolled: 1-line block ×5, first 2 shown]
	v_lshrrev_b32_e32 v116, 16, v100
	v_cndmask_b32_e64 v93, v93, v96, s21
	v_cndmask_b32_e64 v94, v94, v96, s22
	;; [unrolled: 1-line block ×11, first 2 shown]
	v_lshrrev_b32_e32 v117, 16, v101
	v_cndmask_b32_e64 v90, v90, v101, s7
	v_cndmask_b32_e64 v93, v93, v97, s26
	;; [unrolled: 1-line block ×12, first 2 shown]
	v_perm_b32 v86, v92, v91, 0x5040100
	v_perm_b32 v93, v94, v93, 0x5040100
	;; [unrolled: 1-line block ×5, first 2 shown]
	s_lshl_b32 s7, s33, 4
	s_mov_b32 s3, exec_lo
	ds_store_b128 v78, v[86:89]
	ds_store_b128 v78, v[90:93] offset:1024
	v_cmpx_gt_u32_e32 16, v0
	s_cbranch_execz .LBB189_16
; %bb.15:
	v_or_b32_e32 v86, s31, v0
	s_load_b128 s[8:11], s[0:1], 0x58
	s_delay_alu instid0(VALU_DEP_1) | instskip(NEXT) | instid1(VALU_DEP_1)
	v_mad_u64_u32 v[87:88], null, s7, s34, v[86:87]
	v_mad_u64_u32 v[88:89], null, v87, s35, s[14:15]
	s_delay_alu instid0(VALU_DEP_1) | instskip(NEXT) | instid1(VALU_DEP_1)
	v_ashrrev_i32_e32 v89, 31, v88
	v_lshlrev_b64 v[86:87], 2, v[88:89]
	s_waitcnt lgkmcnt(0)
	s_delay_alu instid0(VALU_DEP_1) | instskip(NEXT) | instid1(VALU_DEP_2)
	v_add_co_u32 v88, vcc_lo, s10, v86
	v_add_co_ci_u32_e32 v89, vcc_lo, s11, v87, vcc_lo
	v_add_co_u32 v86, vcc_lo, s8, v86
	v_add_co_ci_u32_e32 v87, vcc_lo, s9, v87, vcc_lo
	global_store_b32 v[88:89], v84, off
	global_store_b32 v[86:87], v85, off
.LBB189_16:
	s_or_b32 exec_lo, exec_lo, s3
	s_waitcnt lgkmcnt(0)
	s_waitcnt_vscnt null, 0x0
	s_barrier
	buffer_gl0_inv
	ds_load_b128 v[92:95], v77
	ds_load_b128 v[96:99], v77 offset:16
	ds_load_b128 v[104:107], v77 offset:1040
	;; [unrolled: 1-line block ×5, first 2 shown]
	v_cmp_eq_u32_e32 vcc_lo, 1, v83
	v_mov_b32_e32 v84, 0
	ds_load_b128 v[120:123], v77 offset:3088
	ds_load_b128 v[116:119], v77 offset:3072
	;; [unrolled: 1-line block ×4, first 2 shown]
	v_cmp_eq_u32_e64 s3, 1, v79
	v_cmp_eq_u32_e64 s4, 1, v82
	v_cmp_eq_u32_e64 s5, 1, v81
	v_mov_b32_e32 v85, v84
	v_mov_b32_e32 v86, v84
	;; [unrolled: 1-line block ×7, first 2 shown]
	v_cmp_eq_u32_e64 s6, 2, v79
	s_waitcnt lgkmcnt(8)
	s_delay_alu instid0(VALU_DEP_2)
	v_wmma_f32_16x16x16_f16 v[84:91], v[65:72], v[92:99], v[84:91]
	ds_load_b128 v[69:72], v77 offset:5136
	ds_load_b128 v[65:68], v77 offset:5120
	;; [unrolled: 1-line block ×4, first 2 shown]
	s_waitcnt lgkmcnt(10)
	v_wmma_f32_16x16x16_f16 v[84:91], v[57:64], v[100:107], v[84:91]
	s_waitcnt lgkmcnt(8)
	s_delay_alu instid0(VALU_DEP_1)
	v_wmma_f32_16x16x16_f16 v[84:91], v[57:64], v[108:115], v[84:91]
	ds_load_b128 v[61:64], v77 offset:7184
	ds_load_b128 v[57:60], v77 offset:7168
	;; [unrolled: 1-line block ×4, first 2 shown]
	s_waitcnt lgkmcnt(10)
	v_wmma_f32_16x16x16_f16 v[84:91], v[49:56], v[116:123], v[84:91]
	s_waitcnt lgkmcnt(8)
	s_delay_alu instid0(VALU_DEP_1)
	v_wmma_f32_16x16x16_f16 v[84:91], v[49:56], v[124:131], v[84:91]
	ds_load_b128 v[53:56], v77 offset:9232
	ds_load_b128 v[49:52], v77 offset:9216
	s_waitcnt lgkmcnt(8)
	v_wmma_f32_16x16x16_f16 v[84:91], v[41:48], v[65:72], v[84:91]
	ds_load_b128 v[69:72], v77 offset:10256
	ds_load_b128 v[65:68], v77 offset:10240
	s_waitcnt lgkmcnt(8)
	;; [unrolled: 4-line block ×7, first 2 shown]
	s_barrier
	buffer_gl0_inv
	v_wmma_f32_16x16x16_f16 v[84:91], v[25:32], v[41:48], v[84:91]
	s_delay_alu instid0(VALU_DEP_1) | instskip(NEXT) | instid1(VALU_DEP_1)
	v_wmma_f32_16x16x16_f16 v[84:91], v[25:32], v[57:64], v[84:91]
	v_wmma_f32_16x16x16_f16 v[84:91], v[33:40], v[9:16], v[84:91]
	s_delay_alu instid0(VALU_DEP_1) | instskip(NEXT) | instid1(VALU_DEP_1)
	v_wmma_f32_16x16x16_f16 v[84:91], v[33:40], v[49:56], v[84:91]
	v_wmma_f32_16x16x16_f16 v[84:91], v[17:24], v[1:8], v[84:91]
	s_delay_alu instid0(VALU_DEP_1) | instskip(NEXT) | instid1(VALU_DEP_2)
	v_cvt_f16_f32_e32 v1, v84
	v_cvt_f16_f32_e32 v2, v85
	s_delay_alu instid0(VALU_DEP_3) | instskip(NEXT) | instid1(VALU_DEP_4)
	v_cvt_f16_f32_e32 v3, v86
	v_cvt_f16_f32_e32 v4, v87
	;; [unrolled: 1-line block ×6, first 2 shown]
	v_pack_b32_f16 v1, v1, v2
	v_pack_b32_f16 v2, v3, v4
	;; [unrolled: 1-line block ×3, first 2 shown]
	s_delay_alu instid0(VALU_DEP_4)
	v_pack_b32_f16 v4, v7, v8
	ds_store_b128 v78, v[1:4]
	s_waitcnt lgkmcnt(0)
	s_barrier
	buffer_gl0_inv
	ds_load_b128 v[1:4], v80
	ds_load_b128 v[5:8], v80 offset:16
	s_waitcnt lgkmcnt(1)
	v_lshrrev_b32_e32 v9, 16, v1
	s_waitcnt lgkmcnt(0)
	v_lshrrev_b32_e32 v13, 16, v5
	v_lshrrev_b32_e32 v10, 16, v2
	;; [unrolled: 1-line block ×4, first 2 shown]
	v_cndmask_b32_e64 v17, v1, v9, s3
	v_cndmask_b32_e64 v18, v5, v13, s3
	;; [unrolled: 1-line block ×3, first 2 shown]
	v_cmp_eq_u32_e64 s3, 2, v81
	v_cndmask_b32_e64 v20, v5, v13, s5
	v_cndmask_b32_e32 v21, v1, v9, vcc_lo
	v_cndmask_b32_e32 v22, v5, v13, vcc_lo
	v_cndmask_b32_e64 v1, v1, v9, s4
	v_cndmask_b32_e64 v5, v5, v13, s4
	v_cmp_eq_u32_e32 vcc_lo, 2, v83
	v_cmp_eq_u32_e64 s4, 2, v82
	v_cndmask_b32_e64 v9, v17, v2, s6
	v_cndmask_b32_e64 v13, v18, v6, s6
	;; [unrolled: 1-line block ×4, first 2 shown]
	v_cndmask_b32_e32 v19, v21, v2, vcc_lo
	v_cmp_eq_u32_e64 s3, 3, v83
	v_cndmask_b32_e32 v20, v22, v6, vcc_lo
	v_cndmask_b32_e64 v1, v1, v2, s4
	v_cmp_eq_u32_e32 vcc_lo, 3, v82
	v_cmp_eq_u32_e64 s5, 3, v79
	v_cndmask_b32_e64 v2, v5, v6, s4
	v_cmp_eq_u32_e64 s4, 3, v81
	v_cmp_eq_u32_e64 s6, 4, v79
	v_cndmask_b32_e32 v1, v1, v10, vcc_lo
	v_cndmask_b32_e64 v5, v9, v10, s5
	v_cndmask_b32_e64 v6, v13, v14, s5
	;; [unrolled: 1-line block ×3, first 2 shown]
	v_cmp_eq_u32_e64 s5, 4, v81
	v_cndmask_b32_e64 v13, v18, v14, s4
	v_cndmask_b32_e64 v17, v19, v10, s3
	;; [unrolled: 1-line block ×3, first 2 shown]
	v_cndmask_b32_e32 v2, v2, v14, vcc_lo
	v_cmp_eq_u32_e32 vcc_lo, 4, v83
	v_cmp_eq_u32_e64 s4, 4, v82
	v_lshrrev_b32_e32 v15, 16, v7
	v_cndmask_b32_e64 v5, v5, v3, s6
	v_cndmask_b32_e64 v6, v6, v7, s6
	v_cndmask_b32_e32 v14, v18, v7, vcc_lo
	v_cndmask_b32_e64 v9, v9, v3, s5
	v_cndmask_b32_e64 v10, v13, v7, s5
	v_cndmask_b32_e32 v13, v17, v3, vcc_lo
	v_cmp_eq_u32_e64 s3, 5, v83
	v_cndmask_b32_e64 v1, v1, v3, s4
	v_cmp_eq_u32_e32 vcc_lo, 5, v82
	v_cmp_eq_u32_e64 s5, 5, v79
	v_cndmask_b32_e64 v2, v2, v7, s4
	v_cmp_eq_u32_e64 s4, 5, v81
	v_cmp_eq_u32_e64 s6, 6, v79
	v_lshrrev_b32_e32 v12, 16, v4
	v_cndmask_b32_e64 v3, v5, v11, s5
	v_cndmask_b32_e64 v5, v6, v15, s5
	;; [unrolled: 1-line block ×3, first 2 shown]
	v_cmp_eq_u32_e64 s5, 6, v81
	v_cndmask_b32_e64 v7, v10, v15, s4
	v_cndmask_b32_e64 v9, v13, v11, s3
	;; [unrolled: 1-line block ×3, first 2 shown]
	v_cndmask_b32_e32 v1, v1, v11, vcc_lo
	v_cndmask_b32_e32 v2, v2, v15, vcc_lo
	v_cmp_eq_u32_e32 vcc_lo, 6, v83
	v_cmp_eq_u32_e64 s3, 6, v82
	v_lshrrev_b32_e32 v16, 16, v8
	v_cndmask_b32_e64 v3, v3, v4, s6
	v_cndmask_b32_e64 v5, v5, v8, s6
	v_cndmask_b32_e32 v9, v9, v4, vcc_lo
	v_cndmask_b32_e64 v6, v6, v4, s5
	v_cndmask_b32_e64 v7, v7, v8, s5
	v_cmp_eq_u32_e64 s4, 7, v83
	v_cndmask_b32_e32 v10, v10, v8, vcc_lo
	v_cndmask_b32_e64 v1, v1, v4, s3
	v_cmp_eq_u32_e32 vcc_lo, 7, v82
	v_cndmask_b32_e64 v2, v2, v8, s3
	v_cmp_eq_u32_e64 s3, 7, v79
	v_cmp_eq_u32_e64 s5, 7, v81
	v_cndmask_b32_e32 v1, v1, v12, vcc_lo
	s_delay_alu instid0(VALU_DEP_4) | instskip(NEXT) | instid1(VALU_DEP_4)
	v_cndmask_b32_e32 v2, v2, v16, vcc_lo
	v_cndmask_b32_e64 v8, v3, v12, s3
	s_delay_alu instid0(VALU_DEP_4)
	v_cndmask_b32_e64 v6, v6, v12, s5
	v_cndmask_b32_e64 v3, v9, v12, s4
	v_cndmask_b32_e64 v9, v10, v16, s4
	v_cndmask_b32_e64 v7, v7, v16, s5
	v_cndmask_b32_e64 v5, v5, v16, s3
	v_cmp_gt_u32_e32 vcc_lo, 32, v0
	v_perm_b32 v4, v2, v1, 0x5040100
	v_perm_b32 v3, v9, v3, 0x5040100
	;; [unrolled: 1-line block ×4, first 2 shown]
	s_and_b32 s2, vcc_lo, s2
	ds_store_b128 v78, v[1:4]
	s_waitcnt lgkmcnt(0)
	s_barrier
	buffer_gl0_inv
	s_and_saveexec_b32 s3, s2
	s_cbranch_execz .LBB189_2
; %bb.17:
	s_load_b64 s[0:1], s[0:1], 0x68
	v_lshlrev_b32_e32 v0, 10, v0
	s_lshl_b32 s4, s35, 6
	v_or_b32_e32 v23, s31, v75
	s_mul_i32 s2, s4, s34
	v_lshlrev_b32_e32 v1, 4, v76
	v_lshlrev_b32_e32 v2, 6, v75
	s_mul_i32 s2, s2, s7
	v_and_b32_e32 v0, 0x3800, v0
	v_mul_lo_u32 v8, v23, s4
	s_ashr_i32 s3, s2, 31
	v_or_b32_e32 v3, 2, v23
	s_lshl_b64 s[2:3], s[2:3], 1
	v_or3_b32 v27, v0, v1, v2
	v_or_b32_e32 v11, 4, v23
	v_or_b32_e32 v18, 6, v23
	v_mul_lo_u32 v10, v3, s4
	v_ashrrev_i32_e32 v9, 31, v8
	ds_load_b128 v[0:3], v27
	ds_load_b128 v[4:7], v27 offset:128
	v_mul_lo_u32 v12, v11, s4
	s_waitcnt lgkmcnt(0)
	s_add_u32 s2, s0, s2
	s_addc_u32 s3, s1, s3
	s_lshl_b32 s0, s14, 6
	v_lshlrev_b64 v[8:9], 1, v[8:9]
	s_ashr_i32 s1, s0, 31
	v_ashrrev_i32_e32 v11, 31, v10
	s_lshl_b64 s[0:1], s[0:1], 1
	v_ashrrev_i32_e32 v13, 31, v12
	s_add_u32 s0, s2, s0
	s_addc_u32 s1, s3, s1
	v_add_co_u32 v30, vcc_lo, s0, v73
	v_add_co_ci_u32_e32 v31, vcc_lo, s1, v74, vcc_lo
	v_lshlrev_b64 v[16:17], 1, v[10:11]
	s_delay_alu instid0(VALU_DEP_3) | instskip(NEXT) | instid1(VALU_DEP_3)
	v_add_co_u32 v14, vcc_lo, v30, v8
	v_add_co_ci_u32_e32 v15, vcc_lo, v31, v9, vcc_lo
	ds_load_b128 v[8:11], v27 offset:256
	v_mul_lo_u32 v18, v18, s4
	v_or_b32_e32 v19, 8, v23
	v_add_co_u32 v16, vcc_lo, v30, v16
	global_store_b128 v[14:15], v[0:3], off
	v_lshlrev_b64 v[0:1], 1, v[12:13]
	v_add_co_ci_u32_e32 v17, vcc_lo, v31, v17, vcc_lo
	v_mul_lo_u32 v12, v19, s4
	v_ashrrev_i32_e32 v19, 31, v18
	v_or_b32_e32 v14, 10, v23
	global_store_b128 v[16:17], v[4:7], off
	v_add_co_u32 v4, vcc_lo, v30, v0
	v_add_co_ci_u32_e32 v5, vcc_lo, v31, v1, vcc_lo
	ds_load_b128 v[0:3], v27 offset:384
	v_ashrrev_i32_e32 v13, 31, v12
	v_lshlrev_b64 v[6:7], 1, v[18:19]
	v_mul_lo_u32 v14, v14, s4
	s_waitcnt lgkmcnt(1)
	global_store_b128 v[4:5], v[8:11], off
	v_or_b32_e32 v8, 12, v23
	v_lshlrev_b64 v[4:5], 1, v[12:13]
	v_add_co_u32 v20, vcc_lo, v30, v6
	v_or_b32_e32 v6, 14, v23
	v_ashrrev_i32_e32 v15, 31, v14
	v_mul_lo_u32 v22, v8, s4
	v_add_co_ci_u32_e32 v21, vcc_lo, v31, v7, vcc_lo
	v_add_co_u32 v24, vcc_lo, v30, v4
	v_mul_lo_u32 v26, v6, s4
	v_add_co_ci_u32_e32 v25, vcc_lo, v31, v5, vcc_lo
	v_lshlrev_b64 v[28:29], 1, v[14:15]
	ds_load_b128 v[4:7], v27 offset:512
	ds_load_b128 v[8:11], v27 offset:640
	;; [unrolled: 1-line block ×4, first 2 shown]
	v_ashrrev_i32_e32 v23, 31, v22
	v_ashrrev_i32_e32 v27, 31, v26
	v_add_co_u32 v28, vcc_lo, v30, v28
	s_delay_alu instid0(VALU_DEP_3) | instskip(SKIP_1) | instid1(VALU_DEP_4)
	v_lshlrev_b64 v[22:23], 1, v[22:23]
	v_add_co_ci_u32_e32 v29, vcc_lo, v31, v29, vcc_lo
	v_lshlrev_b64 v[26:27], 1, v[26:27]
	s_delay_alu instid0(VALU_DEP_3) | instskip(NEXT) | instid1(VALU_DEP_4)
	v_add_co_u32 v22, vcc_lo, v30, v22
	v_add_co_ci_u32_e32 v23, vcc_lo, v31, v23, vcc_lo
	s_delay_alu instid0(VALU_DEP_3) | instskip(NEXT) | instid1(VALU_DEP_4)
	v_add_co_u32 v26, vcc_lo, v30, v26
	v_add_co_ci_u32_e32 v27, vcc_lo, v31, v27, vcc_lo
	s_waitcnt lgkmcnt(4)
	global_store_b128 v[20:21], v[0:3], off
	s_waitcnt lgkmcnt(3)
	global_store_b128 v[24:25], v[4:7], off
	;; [unrolled: 2-line block ×5, first 2 shown]
	s_nop 0
	s_sendmsg sendmsg(MSG_DEALLOC_VGPRS)
	s_endpgm
	.section	.rodata,"a",@progbits
	.p2align	6, 0x0
	.amdhsa_kernel _Z39paged_attention_ll4mi_QKV_mfma16_kernelIDF16_DF16_LN4vllm18Fp8KVCacheDataTypeE0EDF16_Li32ELi64ELi256ELb0ELi16EL8MFMAType0EEvPKT_PKT0_S8_ifPKiSA_SA_iPKfiiiPfSD_PS3_PT2_iSC_SC_
		.amdhsa_group_segment_fixed_size 17472
		.amdhsa_private_segment_fixed_size 0
		.amdhsa_kernarg_size 400
		.amdhsa_user_sgpr_count 13
		.amdhsa_user_sgpr_dispatch_ptr 0
		.amdhsa_user_sgpr_queue_ptr 0
		.amdhsa_user_sgpr_kernarg_segment_ptr 1
		.amdhsa_user_sgpr_dispatch_id 0
		.amdhsa_user_sgpr_private_segment_size 0
		.amdhsa_wavefront_size32 1
		.amdhsa_uses_dynamic_stack 0
		.amdhsa_enable_private_segment 0
		.amdhsa_system_sgpr_workgroup_id_x 1
		.amdhsa_system_sgpr_workgroup_id_y 1
		.amdhsa_system_sgpr_workgroup_id_z 1
		.amdhsa_system_sgpr_workgroup_info 0
		.amdhsa_system_vgpr_workitem_id 0
		.amdhsa_next_free_vgpr 149
		.amdhsa_next_free_sgpr 39
		.amdhsa_reserve_vcc 1
		.amdhsa_float_round_mode_32 0
		.amdhsa_float_round_mode_16_64 0
		.amdhsa_float_denorm_mode_32 3
		.amdhsa_float_denorm_mode_16_64 3
		.amdhsa_dx10_clamp 1
		.amdhsa_ieee_mode 1
		.amdhsa_fp16_overflow 0
		.amdhsa_workgroup_processor_mode 1
		.amdhsa_memory_ordered 1
		.amdhsa_forward_progress 0
		.amdhsa_shared_vgpr_count 0
		.amdhsa_exception_fp_ieee_invalid_op 0
		.amdhsa_exception_fp_denorm_src 0
		.amdhsa_exception_fp_ieee_div_zero 0
		.amdhsa_exception_fp_ieee_overflow 0
		.amdhsa_exception_fp_ieee_underflow 0
		.amdhsa_exception_fp_ieee_inexact 0
		.amdhsa_exception_int_div_zero 0
	.end_amdhsa_kernel
	.section	.text._Z39paged_attention_ll4mi_QKV_mfma16_kernelIDF16_DF16_LN4vllm18Fp8KVCacheDataTypeE0EDF16_Li32ELi64ELi256ELb0ELi16EL8MFMAType0EEvPKT_PKT0_S8_ifPKiSA_SA_iPKfiiiPfSD_PS3_PT2_iSC_SC_,"axG",@progbits,_Z39paged_attention_ll4mi_QKV_mfma16_kernelIDF16_DF16_LN4vllm18Fp8KVCacheDataTypeE0EDF16_Li32ELi64ELi256ELb0ELi16EL8MFMAType0EEvPKT_PKT0_S8_ifPKiSA_SA_iPKfiiiPfSD_PS3_PT2_iSC_SC_,comdat
.Lfunc_end189:
	.size	_Z39paged_attention_ll4mi_QKV_mfma16_kernelIDF16_DF16_LN4vllm18Fp8KVCacheDataTypeE0EDF16_Li32ELi64ELi256ELb0ELi16EL8MFMAType0EEvPKT_PKT0_S8_ifPKiSA_SA_iPKfiiiPfSD_PS3_PT2_iSC_SC_, .Lfunc_end189-_Z39paged_attention_ll4mi_QKV_mfma16_kernelIDF16_DF16_LN4vllm18Fp8KVCacheDataTypeE0EDF16_Li32ELi64ELi256ELb0ELi16EL8MFMAType0EEvPKT_PKT0_S8_ifPKiSA_SA_iPKfiiiPfSD_PS3_PT2_iSC_SC_
                                        ; -- End function
	.section	.AMDGPU.csdata,"",@progbits
; Kernel info:
; codeLenInByte = 7432
; NumSgprs: 41
; NumVgprs: 149
; ScratchSize: 0
; MemoryBound: 0
; FloatMode: 240
; IeeeMode: 1
; LDSByteSize: 17472 bytes/workgroup (compile time only)
; SGPRBlocks: 5
; VGPRBlocks: 18
; NumSGPRsForWavesPerEU: 41
; NumVGPRsForWavesPerEU: 149
; Occupancy: 9
; WaveLimiterHint : 1
; COMPUTE_PGM_RSRC2:SCRATCH_EN: 0
; COMPUTE_PGM_RSRC2:USER_SGPR: 13
; COMPUTE_PGM_RSRC2:TRAP_HANDLER: 0
; COMPUTE_PGM_RSRC2:TGID_X_EN: 1
; COMPUTE_PGM_RSRC2:TGID_Y_EN: 1
; COMPUTE_PGM_RSRC2:TGID_Z_EN: 1
; COMPUTE_PGM_RSRC2:TIDIG_COMP_CNT: 0
	.section	.text._Z39paged_attention_ll4mi_QKV_mfma16_kernelIDF16_DF16_LN4vllm18Fp8KVCacheDataTypeE0EDF16_Li32ELi64ELi256ELb0ELi1EL8MFMAType0EEvPKT_PKT0_S8_ifPKiSA_SA_iPKfiiiPfSD_PS3_PT2_iSC_SC_,"axG",@progbits,_Z39paged_attention_ll4mi_QKV_mfma16_kernelIDF16_DF16_LN4vllm18Fp8KVCacheDataTypeE0EDF16_Li32ELi64ELi256ELb0ELi1EL8MFMAType0EEvPKT_PKT0_S8_ifPKiSA_SA_iPKfiiiPfSD_PS3_PT2_iSC_SC_,comdat
	.protected	_Z39paged_attention_ll4mi_QKV_mfma16_kernelIDF16_DF16_LN4vllm18Fp8KVCacheDataTypeE0EDF16_Li32ELi64ELi256ELb0ELi1EL8MFMAType0EEvPKT_PKT0_S8_ifPKiSA_SA_iPKfiiiPfSD_PS3_PT2_iSC_SC_ ; -- Begin function _Z39paged_attention_ll4mi_QKV_mfma16_kernelIDF16_DF16_LN4vllm18Fp8KVCacheDataTypeE0EDF16_Li32ELi64ELi256ELb0ELi1EL8MFMAType0EEvPKT_PKT0_S8_ifPKiSA_SA_iPKfiiiPfSD_PS3_PT2_iSC_SC_
	.globl	_Z39paged_attention_ll4mi_QKV_mfma16_kernelIDF16_DF16_LN4vllm18Fp8KVCacheDataTypeE0EDF16_Li32ELi64ELi256ELb0ELi1EL8MFMAType0EEvPKT_PKT0_S8_ifPKiSA_SA_iPKfiiiPfSD_PS3_PT2_iSC_SC_
	.p2align	8
	.type	_Z39paged_attention_ll4mi_QKV_mfma16_kernelIDF16_DF16_LN4vllm18Fp8KVCacheDataTypeE0EDF16_Li32ELi64ELi256ELb0ELi1EL8MFMAType0EEvPKT_PKT0_S8_ifPKiSA_SA_iPKfiiiPfSD_PS3_PT2_iSC_SC_,@function
_Z39paged_attention_ll4mi_QKV_mfma16_kernelIDF16_DF16_LN4vllm18Fp8KVCacheDataTypeE0EDF16_Li32ELi64ELi256ELb0ELi1EL8MFMAType0EEvPKT_PKT0_S8_ifPKiSA_SA_iPKfiiiPfSD_PS3_PT2_iSC_SC_: ; @_Z39paged_attention_ll4mi_QKV_mfma16_kernelIDF16_DF16_LN4vllm18Fp8KVCacheDataTypeE0EDF16_Li32ELi64ELi256ELb0ELi1EL8MFMAType0EEvPKT_PKT0_S8_ifPKiSA_SA_iPKfiiiPfSD_PS3_PT2_iSC_SC_
; %bb.0:
	s_load_b64 s[4:5], s[0:1], 0x30
	s_mov_b32 s34, s13
	s_waitcnt lgkmcnt(0)
	s_cmp_lg_u64 s[4:5], 0
	s_cselect_b32 s6, -1, 0
	s_ashr_i32 s35, s13, 31
	s_cmp_eq_u64 s[4:5], 0
	s_cbranch_scc1 .LBB190_3
; %bb.1:
	s_lshl_b64 s[2:3], s[34:35], 2
	s_delay_alu instid0(SALU_CYCLE_1) | instskip(SKIP_4) | instid1(SALU_CYCLE_1)
	s_add_u32 s2, s4, s2
	s_addc_u32 s3, s5, s3
	s_load_b64 s[2:3], s[2:3], 0x0
	s_waitcnt lgkmcnt(0)
	s_sub_i32 s2, s3, s2
	s_cmp_eq_u32 s2, 1
	s_cselect_b32 s2, -1, 0
	s_delay_alu instid0(SALU_CYCLE_1)
	s_and_not1_b32 vcc_lo, exec_lo, s2
	s_cbranch_vccz .LBB190_4
.LBB190_2:
	s_endpgm
.LBB190_3:
.LBB190_4:
	s_load_b64 s[2:3], s[0:1], 0x28
	s_lshl_b64 s[8:9], s[34:35], 2
	s_waitcnt lgkmcnt(0)
	s_add_u32 s2, s2, s8
	s_addc_u32 s3, s3, s9
	s_lshl_b32 s12, s14, 8
	s_load_b32 s33, s[2:3], 0x0
	s_waitcnt lgkmcnt(0)
	s_cmp_ge_i32 s12, s33
	s_cbranch_scc1 .LBB190_2
; %bb.5:
	s_clause 0x1
	s_load_b128 s[56:59], s[0:1], 0x8
	s_load_b64 s[2:3], s[0:1], 0x20
	s_and_not1_b32 vcc_lo, exec_lo, s6
	s_mov_b64 s[6:7], s[34:35]
	s_cbranch_vccnz .LBB190_7
; %bb.6:
	s_add_u32 s4, s4, s8
	s_addc_u32 s5, s5, s9
	s_load_b32 s6, s[4:5], 0x0
.LBB190_7:
	s_load_b128 s[52:55], s[0:1], 0x48
	v_and_b32_e32 v113, 15, v0
	s_mov_b32 s13, exec_lo
                                        ; implicit-def: $sgpr36
                                        ; implicit-def: $sgpr24
                                        ; implicit-def: $sgpr4
                                        ; implicit-def: $sgpr16
	s_delay_alu instid0(VALU_DEP_1)
	v_cmpx_eq_u32_e32 0, v113
	s_cbranch_execz .LBB190_9
; %bb.8:
	s_load_b64 s[4:5], s[0:1], 0x0
	s_waitcnt lgkmcnt(0)
	s_mul_hi_i32 s7, s6, s52
	s_mul_i32 s6, s6, s52
	s_delay_alu instid0(SALU_CYCLE_1) | instskip(NEXT) | instid1(SALU_CYCLE_1)
	s_lshl_b64 s[6:7], s[6:7], 1
	s_add_u32 s6, s4, s6
	s_addc_u32 s7, s5, s7
	s_lshl_b32 s4, s15, 6
	s_delay_alu instid0(SALU_CYCLE_1) | instskip(NEXT) | instid1(SALU_CYCLE_1)
	s_ashr_i32 s5, s4, 31
	s_lshl_b64 s[4:5], s[4:5], 1
	s_delay_alu instid0(SALU_CYCLE_1)
	s_add_u32 s16, s6, s4
	s_addc_u32 s17, s7, s5
	s_clause 0x3
	s_load_b256 s[36:43], s[16:17], 0x0
	s_load_b256 s[24:31], s[16:17], 0x20
	;; [unrolled: 1-line block ×4, first 2 shown]
.LBB190_9:
	s_or_b32 exec_lo, exec_lo, s13
	v_and_b32_e32 v1, 0xef, v0
	s_waitcnt lgkmcnt(0)
	v_dual_mov_b32 v33, s36 :: v_dual_mov_b32 v40, s43
	v_mov_b32_e32 v34, s37
	s_add_i32 s13, s33, 31
	v_dual_mov_b32 v36, s39 :: v_dual_add_nc_u32 v1, s12, v1
	s_ashr_i32 s35, s13, 31
	s_load_b32 s44, s[0:1], 0x38
	s_lshr_b32 s35, s35, 27
	s_delay_alu instid0(VALU_DEP_1)
	v_ashrrev_i32_e32 v2, 31, v1
	v_or_b32_e32 v3, 16, v1
	s_add_i32 s13, s13, s35
	s_load_b32 s35, s[0:1], 0x1c
	s_ashr_i32 s13, s13, 5
	v_lshrrev_b32_e32 v2, 27, v2
	s_add_i32 s13, s13, -1
	v_cmp_gt_i32_e32 vcc_lo, s33, v1
	v_dual_mov_b32 v123, s31 :: v_dual_mov_b32 v118, s26
	s_delay_alu instid0(VALU_DEP_3) | instskip(SKIP_2) | instid1(VALU_DEP_3)
	v_dual_mov_b32 v35, s38 :: v_dual_add_nc_u32 v4, v1, v2
	v_dual_mov_b32 v37, s40 :: v_dual_mov_b32 v122, s30
	v_dual_mov_b32 v39, s42 :: v_dual_mov_b32 v120, s28
	v_ashrrev_i32_e32 v4, 5, v4
	v_add_nc_u32_e32 v2, v3, v2
	s_waitcnt lgkmcnt(0)
	s_mul_i32 s44, s34, s44
	v_dual_mov_b32 v121, s29 :: v_dual_mov_b32 v116, s24
	v_cndmask_b32_e32 v1, s13, v4, vcc_lo
	v_ashrrev_i32_e32 v2, 5, v2
	v_cmp_gt_i32_e32 vcc_lo, s33, v3
	s_ashr_i32 s45, s44, 31
	v_lshlrev_b32_e32 v114, 6, v113
	s_lshl_b64 s[44:45], s[44:45], 2
	v_lshrrev_b32_e32 v115, 5, v0
	v_cndmask_b32_e32 v3, s13, v2, vcc_lo
	v_ashrrev_i32_e32 v2, 31, v1
	s_add_u32 s52, s2, s44
	s_addc_u32 s55, s3, s45
	s_mul_i32 s2, s15, s54
	v_ashrrev_i32_e32 v4, 31, v3
	v_lshlrev_b64 v[1:2], 2, v[1:2]
	s_ashr_i32 s3, s2, 31
	v_mov_b32_e32 v38, s41
	s_lshl_b64 s[2:3], s[2:3], 1
	v_lshlrev_b64 v[3:4], 2, v[3:4]
	s_add_u32 s63, s56, s2
	v_add_co_u32 v1, vcc_lo, s52, v1
	v_add_co_ci_u32_e32 v2, vcc_lo, s55, v2, vcc_lo
	s_delay_alu instid0(VALU_DEP_3) | instskip(NEXT) | instid1(VALU_DEP_4)
	v_add_co_u32 v3, vcc_lo, s52, v3
	v_add_co_ci_u32_e32 v4, vcc_lo, s55, v4, vcc_lo
	s_clause 0x1
	global_load_b32 v5, v[1:2], off
	global_load_b32 v6, v[3:4], off
	s_addc_u32 s68, s57, s3
	s_lshl_b32 s44, s14, 3
	s_delay_alu instid0(SALU_CYCLE_1) | instskip(NEXT) | instid1(SALU_CYCLE_1)
	s_ashr_i32 s45, s44, 31
	s_lshl_b64 s[44:45], s[44:45], 2
	s_delay_alu instid0(SALU_CYCLE_1) | instskip(SKIP_2) | instid1(SALU_CYCLE_1)
	s_add_u32 s44, s52, s44
	s_addc_u32 s45, s55, s45
	s_or_b32 s46, s12, 32
	s_ashr_i32 s47, s46, 5
	s_cmp_lt_i32 s46, s33
	s_cselect_b32 s46, s47, s13
	s_delay_alu instid0(SALU_CYCLE_1) | instskip(NEXT) | instid1(SALU_CYCLE_1)
	s_ashr_i32 s47, s46, 31
	s_lshl_b64 s[46:47], s[46:47], 2
	s_delay_alu instid0(SALU_CYCLE_1) | instskip(SKIP_2) | instid1(SALU_CYCLE_1)
	s_add_u32 s46, s52, s46
	s_addc_u32 s47, s55, s47
	s_or_b32 s48, s12, 64
	s_ashr_i32 s49, s48, 5
	s_cmp_lt_i32 s48, s33
	s_cselect_b32 s48, s49, s13
	;; [unrolled: 10-line block ×5, first 2 shown]
	s_delay_alu instid0(SALU_CYCLE_1) | instskip(NEXT) | instid1(SALU_CYCLE_1)
	s_ashr_i32 s57, s56, 31
	s_lshl_b64 s[56:57], s[56:57], 2
	s_delay_alu instid0(SALU_CYCLE_1)
	s_add_u32 s66, s52, s56
	s_addc_u32 s67, s55, s57
	s_clause 0x5
	s_load_b32 s62, s[44:45], 0x0
	s_load_b32 s61, s[46:47], 0x0
	;; [unrolled: 1-line block ×6, first 2 shown]
	s_mov_b32 s44, 0
	s_delay_alu instid0(SALU_CYCLE_1)
	s_mov_b32 s45, s44
	s_mov_b32 s46, s44
	;; [unrolled: 1-line block ×7, first 2 shown]
	v_mov_b32_e32 v119, s27
	v_mov_b32_e32 v117, s25
	s_or_b32 s24, s12, 0xc0
	v_dual_mov_b32 v131, s51 :: v_dual_mov_b32 v126, s46
	s_ashr_i32 s25, s24, 5
	s_cmp_lt_i32 s24, s33
	v_mov_b32_e32 v130, s50
	s_cselect_b32 s24, s25, s13
	v_dual_mov_b32 v129, s49 :: v_dual_mov_b32 v124, s44
	s_ashr_i32 s25, s24, 31
	v_mov_b32_e32 v128, s48
	s_lshl_b64 s[24:25], s[24:25], 2
	v_mov_b32_e32 v127, s47
	s_add_u32 s24, s52, s24
	s_addc_u32 s25, s55, s25
	s_or_b32 s28, s12, 0xe0
	v_mov_b32_e32 v125, s45
	s_ashr_i32 s30, s28, 5
	s_cmp_lt_i32 s28, s33
	s_waitcnt lgkmcnt(0)
	s_mul_hi_i32 s27, s62, s53
	s_cselect_b32 s30, s30, s13
	s_mul_i32 s26, s62, s53
	s_ashr_i32 s31, s30, 31
	s_mul_hi_i32 s29, s61, s53
	s_lshl_b64 s[30:31], s[30:31], 2
	s_mul_i32 s28, s61, s53
	s_add_u32 s30, s52, s30
	s_addc_u32 s31, s55, s31
	s_add_i32 s40, s12, 0x100
	s_mul_hi_i32 s37, s60, s53
	s_mul_i32 s36, s60, s53
	s_mul_hi_i32 s39, s57, s53
	s_mul_i32 s38, s57, s53
	;; [unrolled: 2-line block ×3, first 2 shown]
	s_ashr_i32 s41, s40, 5
	s_cmp_lt_i32 s40, s33
	s_cselect_b32 s40, s41, s13
	s_delay_alu instid0(SALU_CYCLE_1) | instskip(NEXT) | instid1(SALU_CYCLE_1)
	s_ashr_i32 s41, s40, 31
	s_lshl_b64 s[40:41], s[40:41], 2
	s_delay_alu instid0(SALU_CYCLE_1)
	s_add_u32 s40, s52, s40
	s_addc_u32 s41, s55, s41
	s_add_u32 s13, s58, s2
	s_waitcnt vmcnt(1)
	v_mad_i64_i32 v[1:2], null, v5, s53, 0
	s_waitcnt vmcnt(0)
	v_mad_i64_i32 v[3:4], null, v6, s53, 0
	v_lshlrev_b32_e32 v5, 4, v113
	s_delay_alu instid0(VALU_DEP_3) | instskip(NEXT) | instid1(VALU_DEP_3)
	v_lshlrev_b64 v[1:2], 1, v[1:2]
	v_lshlrev_b64 v[3:4], 1, v[3:4]
	s_delay_alu instid0(VALU_DEP_2) | instskip(NEXT) | instid1(VALU_DEP_3)
	v_add_co_u32 v1, vcc_lo, s63, v1
	v_add_co_ci_u32_e32 v2, vcc_lo, s68, v2, vcc_lo
	s_delay_alu instid0(VALU_DEP_3) | instskip(NEXT) | instid1(VALU_DEP_4)
	v_add_co_u32 v3, vcc_lo, s63, v3
	v_add_co_ci_u32_e32 v4, vcc_lo, s68, v4, vcc_lo
	s_delay_alu instid0(VALU_DEP_4) | instskip(NEXT) | instid1(VALU_DEP_4)
	v_add_co_u32 v17, vcc_lo, v1, v5
	v_add_co_ci_u32_e32 v18, vcc_lo, 0, v2, vcc_lo
	s_delay_alu instid0(VALU_DEP_4) | instskip(NEXT) | instid1(VALU_DEP_4)
	v_add_co_u32 v19, vcc_lo, v3, v5
	v_add_co_ci_u32_e32 v20, vcc_lo, 0, v4, vcc_lo
	s_clause 0xf
	global_load_b128 v[1:4], v[17:18], off
	global_load_b128 v[5:8], v[17:18], off offset:512
	global_load_b128 v[9:12], v[19:20], off offset:256
	;; [unrolled: 1-line block ×15, first 2 shown]
	v_lshl_or_b32 v17, v115, 10, v114
	s_clause 0x2
	s_load_b32 s44, s[24:25], 0x0
	s_load_b32 s45, s[30:31], 0x0
	;; [unrolled: 1-line block ×3, first 2 shown]
	s_addc_u32 s41, s59, s3
	s_lshl_b64 s[2:3], s[26:27], 1
	v_add_co_u32 v144, s13, s13, v17
	s_delay_alu instid0(VALU_DEP_1) | instskip(SKIP_1) | instid1(VALU_DEP_2)
	v_add_co_ci_u32_e64 v145, null, s41, 0, s13
	s_lshl_b64 s[26:27], s[28:29], 1
	v_add_co_u32 v17, vcc_lo, v144, s2
	s_delay_alu instid0(VALU_DEP_2)
	v_add_co_ci_u32_e32 v18, vcc_lo, s3, v145, vcc_lo
	v_add_co_u32 v19, vcc_lo, v144, s26
	s_lshl_b64 s[28:29], s[36:37], 1
	v_add_co_ci_u32_e32 v20, vcc_lo, s27, v145, vcc_lo
	v_add_co_u32 v21, vcc_lo, v144, s28
	s_lshl_b64 s[30:31], s[38:39], 1
	s_mul_hi_i32 s25, s56, s53
	s_mul_i32 s24, s56, s53
	v_add_co_ci_u32_e32 v22, vcc_lo, s29, v145, vcc_lo
	v_add_co_u32 v23, vcc_lo, v144, s30
	s_lshl_b64 s[24:25], s[24:25], 1
	v_add_co_ci_u32_e32 v24, vcc_lo, s31, v145, vcc_lo
	v_add_co_u32 v132, vcc_lo, v144, s24
	s_lshl_b64 s[36:37], s[42:43], 1
	s_waitcnt lgkmcnt(0)
	s_mul_hi_i32 s39, s44, s53
	s_mul_i32 s38, s44, s53
	v_add_co_ci_u32_e32 v133, vcc_lo, s25, v145, vcc_lo
	v_add_co_u32 v140, vcc_lo, v144, s36
	s_lshl_b64 s[38:39], s[38:39], 1
	v_add_co_ci_u32_e32 v141, vcc_lo, s37, v145, vcc_lo
	s_mul_hi_i32 s3, s45, s53
	s_mul_i32 s2, s45, s53
	v_add_co_u32 v142, vcc_lo, v144, s38
	s_lshl_b64 s[2:3], s[2:3], 1
	v_add_co_ci_u32_e32 v143, vcc_lo, s39, v145, vcc_lo
	s_clause 0x9
	global_load_b128 v[65:68], v[17:18], off
	global_load_b128 v[69:72], v[17:18], off offset:16
	global_load_b128 v[57:60], v[19:20], off
	global_load_b128 v[61:64], v[19:20], off offset:16
	;; [unrolled: 2-line block ×5, first 2 shown]
	s_mul_hi_i32 s25, s40, s53
	s_mul_i32 s24, s40, s53
	s_waitcnt vmcnt(24)
	v_wmma_f32_16x16x16_f16 v[132:139], v[1:8], v[33:40], v[124:131]
	s_waitcnt vmcnt(22)
	v_wmma_f32_16x16x16_f16 v[124:131], v[9:16], v[33:40], v[124:131]
	v_add_co_u32 v37, vcc_lo, v144, s2
	v_add_co_ci_u32_e32 v38, vcc_lo, s3, v145, vcc_lo
	s_lshl_b64 s[2:3], s[24:25], 1
	s_clause 0x1
	global_load_b128 v[9:12], v[140:141], off
	global_load_b128 v[13:16], v[140:141], off offset:16
	v_add_co_u32 v140, vcc_lo, v144, s2
	v_add_co_ci_u32_e32 v141, vcc_lo, s3, v145, vcc_lo
	s_clause 0x1
	global_load_b128 v[1:4], v[142:143], off
	global_load_b128 v[5:8], v[142:143], off offset:16
	s_waitcnt vmcnt(24)
	v_wmma_f32_16x16x16_f16 v[132:139], v[25:32], v[116:123], v[132:139]
	s_clause 0x3
	global_load_b128 v[33:36], v[37:38], off
	global_load_b128 v[37:40], v[37:38], off offset:16
	global_load_b128 v[25:28], v[140:141], off
	global_load_b128 v[29:32], v[140:141], off offset:16
	s_waitcnt vmcnt(26)
	v_wmma_f32_16x16x16_f16 v[124:131], v[105:112], v[116:123], v[124:131]
	v_and_b32_e32 v106, 0xe0, v0
	v_mbcnt_lo_u32_b32 v107, -1, 0
	v_dual_mov_b32 v123, s11 :: v_dual_mov_b32 v122, s10
	v_dual_mov_b32 v121, s9 :: v_dual_mov_b32 v120, s8
	v_dual_mov_b32 v119, s7 :: v_dual_mov_b32 v118, s6
	v_dual_mov_b32 v117, s5 :: v_dual_mov_b32 v116, s4
	v_bfe_u32 v105, v0, 4, 1
	v_add_nc_u32_e32 v106, s12, v106
	v_xor_b32_e32 v108, 16, v107
	s_waitcnt vmcnt(0)
	v_wmma_f32_16x16x16_f16 v[132:139], v[97:104], v[116:123], v[132:139]
	v_dual_mov_b32 v104, s23 :: v_dual_mov_b32 v103, s22
	v_or_b32_e32 v106, v106, v105
	v_dual_mov_b32 v102, s21 :: v_dual_mov_b32 v101, s20
	v_dual_mov_b32 v100, s19 :: v_dual_mov_b32 v99, s18
	;; [unrolled: 1-line block ×3, first 2 shown]
	v_cmp_gt_i32_e32 vcc_lo, 32, v108
	v_wmma_f32_16x16x16_f16 v[124:131], v[89:96], v[116:123], v[124:131]
	v_or_b32_e32 v109, 4, v106
	v_or_b32_e32 v110, 6, v106
	v_wmma_f32_16x16x16_f16 v[132:139], v[81:88], v[97:104], v[132:139]
	v_cndmask_b32_e32 v107, v107, v108, vcc_lo
	v_or_b32_e32 v108, 2, v106
	v_wmma_f32_16x16x16_f16 v[124:131], v[73:80], v[97:104], v[124:131]
	v_cmp_gt_i32_e32 vcc_lo, s33, v106
	v_dual_mul_f32 v74, s35, v138 :: v_dual_mul_f32 v77, s35, v135
	v_dual_mul_f32 v80, s35, v132 :: v_dual_mul_f32 v79, s35, v133
	s_delay_alu instid0(VALU_DEP_4)
	v_mul_f32_e32 v84, s35, v131
	v_cmp_gt_i32_e64 s2, s33, v108
	v_or_b32_e32 v111, 8, v106
	v_or_b32_e32 v112, 10, v106
	v_dual_mul_f32 v75, s35, v137 :: v_dual_mul_f32 v78, s35, v134
	v_cndmask_b32_e32 v80, 0xff7fffff, v80, vcc_lo
	v_cndmask_b32_e64 v79, 0xff7fffff, v79, s2
	v_cmp_gt_i32_e64 s3, s33, v109
	v_cmp_gt_i32_e64 s4, s33, v110
	v_or_b32_e32 v89, 12, v106
	v_or_b32_e32 v90, 14, v106
	v_dual_mul_f32 v73, s35, v139 :: v_dual_mul_f32 v76, s35, v136
	v_cndmask_b32_e64 v78, 0xff7fffff, v78, s3
	v_cndmask_b32_e64 v77, 0xff7fffff, v77, s4
	v_max3_f32 v79, v80, 0xff7fffff, v79
	v_cmp_gt_i32_e64 s5, s33, v111
	v_cmp_gt_i32_e64 s6, s33, v112
	v_or_b32_e32 v91, 16, v106
	v_or_b32_e32 v92, 18, v106
	v_max3_f32 v77, v79, v78, v77
	v_cndmask_b32_e64 v76, 0xff7fffff, v76, s5
	v_cndmask_b32_e64 v75, 0xff7fffff, v75, s6
	v_cmp_gt_i32_e64 s7, s33, v89
	v_cmp_gt_i32_e64 s8, s33, v90
	v_or_b32_e32 v93, 20, v106
	v_or_b32_e32 v94, 22, v106
	;; [unrolled: 1-line block ×3, first 2 shown]
	v_dual_mul_f32 v96, s35, v126 :: v_dual_mul_f32 v97, s35, v125
	v_mul_f32_e32 v98, s35, v124
	v_cndmask_b32_e64 v74, 0xff7fffff, v74, s7
	v_cndmask_b32_e64 v73, 0xff7fffff, v73, s8
	v_max3_f32 v75, v77, v76, v75
	v_cmp_gt_i32_e64 s9, s33, v91
	v_cmp_gt_i32_e64 s10, s33, v92
	v_or_b32_e32 v95, 24, v106
	v_dual_mul_f32 v87, s35, v128 :: v_dual_mul_f32 v88, s35, v127
	v_max3_f32 v73, v75, v74, v73
	s_delay_alu instid0(VALU_DEP_4)
	v_cndmask_b32_e64 v77, 0xff7fffff, v97, s10
	v_cmp_gt_i32_e64 s11, s33, v93
	v_cmp_gt_i32_e64 s12, s33, v94
	;; [unrolled: 1-line block ×3, first 2 shown]
	v_lshlrev_b32_e32 v81, 2, v107
	v_cndmask_b32_e64 v76, 0xff7fffff, v98, s9
	v_or_b32_e32 v82, 28, v106
	v_or_b32_e32 v83, 30, v106
	v_dual_mul_f32 v85, s35, v130 :: v_dual_mul_f32 v86, s35, v129
	v_cndmask_b32_e64 v74, 0xff7fffff, v96, s11
	v_cndmask_b32_e64 v75, 0xff7fffff, v88, s12
	v_max3_f32 v73, v73, v76, v77
	v_cmp_gt_i32_e64 s13, s33, v95
	v_cndmask_b32_e64 v77, 0xff7fffff, v86, s16
	v_cmp_gt_i32_e64 s17, s33, v82
	v_cmp_gt_i32_e64 s18, s33, v83
	v_max3_f32 v73, v73, v74, v75
	v_cndmask_b32_e64 v76, 0xff7fffff, v87, s13
	s_barrier
	v_cndmask_b32_e64 v74, 0xff7fffff, v85, s17
	v_cndmask_b32_e64 v75, 0xff7fffff, v84, s18
	buffer_gl0_inv
	v_max3_f32 v73, v73, v76, v77
	s_delay_alu instid0(VALU_DEP_1) | instskip(SKIP_3) | instid1(VALU_DEP_1)
	v_max3_f32 v73, v73, v74, v75
	ds_bpermute_b32 v74, v81, v73
	s_waitcnt lgkmcnt(0)
	v_max_f32_e32 v74, v74, v74
	v_max_f32_e32 v73, v73, v74
	s_delay_alu instid0(VALU_DEP_1) | instskip(SKIP_4) | instid1(VALU_DEP_4)
	v_fma_f32 v74, s35, v132, -v73
	v_fma_f32 v77, s35, v135, -v73
	;; [unrolled: 1-line block ×5, first 2 shown]
	v_dual_mul_f32 v74, 0x3fb8aa3b, v74 :: v_dual_mul_f32 v79, 0x3fb8aa3b, v77
	s_delay_alu instid0(VALU_DEP_4) | instskip(SKIP_1) | instid1(VALU_DEP_3)
	v_mul_f32_e32 v75, 0x3fb8aa3b, v75
	v_fma_f32 v83, s35, v138, -v73
	v_exp_f32_e32 v74, v74
	v_mul_f32_e32 v76, 0x3fb8aa3b, v76
	s_delay_alu instid0(VALU_DEP_3) | instskip(SKIP_1) | instid1(TRANS32_DEP_3)
	v_exp_f32_e32 v75, v75
	v_exp_f32_e32 v82, v79
	v_cndmask_b32_e32 v77, 0, v74, vcc_lo
	s_delay_alu instid0(VALU_DEP_2) | instskip(SKIP_2) | instid1(TRANS32_DEP_3)
	v_exp_f32_e32 v80, v76
	v_fma_f32 v74, s35, v137, -v73
	v_mul_f32_e32 v78, 0x3fb8aa3b, v78
	v_cndmask_b32_e64 v76, 0, v75, s2
	s_delay_alu instid0(VALU_DEP_3) | instskip(NEXT) | instid1(VALU_DEP_3)
	v_dual_add_f32 v75, 0, v77 :: v_dual_mul_f32 v74, 0x3fb8aa3b, v74
	v_exp_f32_e32 v84, v78
	s_delay_alu instid0(TRANS32_DEP_3) | instskip(NEXT) | instid1(VALU_DEP_2)
	v_cndmask_b32_e64 v78, 0, v82, s4
	v_add_f32_e32 v75, v75, v76
	s_delay_alu instid0(TRANS32_DEP_2) | instskip(SKIP_4) | instid1(VALU_DEP_3)
	v_cndmask_b32_e64 v79, 0, v80, s3
	v_fma_f32 v80, s35, v139, -v73
	v_mul_f32_e32 v83, 0x3fb8aa3b, v83
	v_exp_f32_e32 v74, v74
	v_fma_f32 v82, s35, v124, -v73
	v_dual_add_f32 v75, v75, v79 :: v_dual_mul_f32 v80, 0x3fb8aa3b, v80
	s_delay_alu instid0(VALU_DEP_3) | instskip(SKIP_1) | instid1(VALU_DEP_3)
	v_exp_f32_e32 v83, v83
	v_cndmask_b32_e64 v87, 0, v84, s5
	v_mul_f32_e32 v82, 0x3fb8aa3b, v82
	v_fma_f32 v84, s35, v125, -v73
	v_exp_f32_e32 v85, v80
	v_add_f32_e32 v75, v75, v78
	s_delay_alu instid0(TRANS32_DEP_3)
	v_cndmask_b32_e64 v80, 0, v74, s6
	v_exp_f32_e32 v82, v82
	v_mul_f32_e32 v84, 0x3fb8aa3b, v84
	s_mov_b32 s3, exec_lo
	v_cndmask_b32_e64 v89, 0, v83, s7
	v_fma_f32 v83, s35, v127, -v73
	s_delay_alu instid0(VALU_DEP_3) | instskip(NEXT) | instid1(TRANS32_DEP_3)
	v_exp_f32_e32 v84, v84
	v_cndmask_b32_e64 v88, 0, v85, s8
	v_fma_f32 v85, s35, v128, -v73
	v_add_f32_e32 v74, v75, v87
	v_fma_f32 v75, s35, v126, -v73
	v_mul_f32_e32 v83, 0x3fb8aa3b, v83
	v_cndmask_b32_e64 v91, 0, v82, s9
	s_delay_alu instid0(VALU_DEP_4) | instskip(NEXT) | instid1(VALU_DEP_4)
	v_dual_mul_f32 v85, 0x3fb8aa3b, v85 :: v_dual_add_f32 v74, v74, v80
	v_mul_f32_e32 v75, 0x3fb8aa3b, v75
	s_delay_alu instid0(VALU_DEP_4)
	v_exp_f32_e32 v83, v83
	v_fma_f32 v82, s35, v129, -v73
	v_cndmask_b32_e64 v90, 0, v84, s10
	v_add_f32_e32 v74, v74, v89
	v_exp_f32_e32 v75, v75
	v_fma_f32 v84, s35, v130, -v73
	v_mul_f32_e32 v82, 0x3fb8aa3b, v82
	v_exp_f32_e32 v85, v85
	s_delay_alu instid0(TRANS32_DEP_3) | instskip(SKIP_3) | instid1(TRANS32_DEP_3)
	v_cndmask_b32_e64 v92, 0, v83, s12
	v_fma_f32 v83, s35, v131, -v73
	v_add_f32_e32 v74, v74, v88
	v_exp_f32_e32 v82, v82
	v_cndmask_b32_e64 v93, 0, v75, s11
	v_mul_f32_e32 v75, 0x3fb8aa3b, v84
	v_mul_f32_e32 v83, 0x3fb8aa3b, v83
	v_add_f32_e32 v74, v74, v91
	s_delay_alu instid0(TRANS32_DEP_2) | instskip(NEXT) | instid1(VALU_DEP_4)
	v_cndmask_b32_e64 v95, 0, v85, s13
	v_exp_f32_e32 v75, v75
	s_delay_alu instid0(VALU_DEP_2) | instskip(NEXT) | instid1(TRANS32_DEP_2)
	v_add_f32_e32 v74, v74, v90
	v_cndmask_b32_e64 v94, 0, v82, s16
	v_exp_f32_e32 v82, v83
	s_delay_alu instid0(VALU_DEP_2) | instskip(SKIP_4) | instid1(VALU_DEP_2)
	v_add_f32_e32 v74, v74, v93
	s_waitcnt_depctr 0xfff
	v_cndmask_b32_e64 v97, 0, v75, s17
	v_add_f32_e32 v74, v74, v92
	v_cndmask_b32_e64 v96, 0, v82, s18
	v_add_f32_e32 v74, v74, v95
	s_delay_alu instid0(VALU_DEP_1) | instskip(NEXT) | instid1(VALU_DEP_1)
	v_add_f32_e32 v74, v74, v94
	v_add_f32_e32 v74, v74, v97
	s_delay_alu instid0(VALU_DEP_1) | instskip(SKIP_2) | instid1(VALU_DEP_1)
	v_add_f32_e32 v74, v74, v96
	ds_bpermute_b32 v75, v81, v74
	v_and_b32_e32 v81, 31, v0
	v_cmp_lt_u32_e64 s2, 15, v81
	v_cmpx_gt_u32_e32 16, v81
	s_cbranch_execz .LBB190_11
; %bb.10:
	v_mul_u32_u24_e32 v81, 0x44, v115
	s_delay_alu instid0(VALU_DEP_1) | instskip(SKIP_1) | instid1(VALU_DEP_1)
	v_lshl_add_u32 v81, v113, 2, v81
	s_waitcnt lgkmcnt(0)
	v_dual_add_f32 v74, v74, v75 :: v_dual_add_nc_u32 v75, 0x4000, v81
	ds_store_2addr_b32 v75, v73, v74 offset1:136
.LBB190_11:
	s_or_b32 exec_lo, exec_lo, s3
	v_lshlrev_b32_e32 v73, 2, v113
	s_load_b64 s[36:37], s[0:1], 0x94
	s_waitcnt lgkmcnt(0)
	s_barrier
	buffer_gl0_inv
	v_add_nc_u32_e32 v73, 0x4000, v73
	v_cmp_eq_u32_e32 vcc_lo, 1, v115
	v_cmp_eq_u32_e64 s3, 2, v115
	v_cmp_eq_u32_e64 s4, 3, v115
	;; [unrolled: 1-line block ×3, first 2 shown]
	ds_load_2addr_b32 v[81:82], v73 offset1:17
	ds_load_2addr_b32 v[83:84], v73 offset0:34 offset1:51
	ds_load_2addr_b32 v[85:86], v73 offset0:68 offset1:85
	;; [unrolled: 1-line block ×4, first 2 shown]
	v_cmp_eq_u32_e64 s7, 5, v115
	v_cmp_eq_u32_e64 s5, 6, v115
	s_waitcnt lgkmcnt(4)
	v_max3_f32 v74, v81, 0xff7fffff, v82
	s_waitcnt lgkmcnt(3)
	s_delay_alu instid0(VALU_DEP_1) | instskip(SKIP_1) | instid1(VALU_DEP_1)
	v_max3_f32 v74, v74, v83, v84
	s_waitcnt lgkmcnt(2)
	v_max3_f32 v74, v74, v85, v86
	s_waitcnt lgkmcnt(1)
	s_delay_alu instid0(VALU_DEP_1) | instskip(NEXT) | instid1(VALU_DEP_1)
	v_max3_f32 v74, v74, v98, v99
	v_sub_f32_e32 v83, v83, v74
	v_sub_f32_e32 v75, v81, v74
	;; [unrolled: 1-line block ×3, first 2 shown]
	s_delay_alu instid0(VALU_DEP_3) | instskip(NEXT) | instid1(VALU_DEP_2)
	v_dual_sub_f32 v85, v85, v74 :: v_dual_mul_f32 v104, 0x3fb8aa3b, v83
	v_dual_mul_f32 v75, 0x3fb8aa3b, v75 :: v_dual_mul_f32 v102, 0x3fb8aa3b, v102
	s_delay_alu instid0(VALU_DEP_2) | instskip(NEXT) | instid1(VALU_DEP_1)
	v_exp_f32_e32 v104, v104
	v_exp_f32_e32 v103, v75
	v_sub_f32_e32 v75, v84, v74
	s_delay_alu instid0(VALU_DEP_2) | instskip(NEXT) | instid1(VALU_DEP_1)
	v_exp_f32_e32 v102, v102
	v_mul_f32_e32 v106, 0x3fb8aa3b, v75
	s_waitcnt lgkmcnt(0)
	s_waitcnt_depctr 0xfff
	v_fma_f32 v75, v103, v100, 0
	v_sub_f32_e32 v100, v86, v74
	ds_load_2addr_b32 v[81:82], v73 offset0:170 offset1:187
	v_exp_f32_e32 v106, v106
	ds_load_2addr_b32 v[83:84], v73 offset0:204 offset1:221
	v_fmac_f32_e32 v75, v102, v101
	s_waitcnt lgkmcnt(1)
	s_delay_alu instid0(VALU_DEP_1) | instskip(SKIP_1) | instid1(VALU_DEP_2)
	v_fmac_f32_e32 v75, v104, v81
	v_sub_f32_e32 v81, v99, v74
	v_dual_fmac_f32 v75, v106, v82 :: v_dual_lshlrev_b32 v82, 2, v105
	v_mul_f32_e32 v107, 0x3fb8aa3b, v85
	ds_load_2addr_b32 v[85:86], v73 offset0:238 offset1:255
	v_dual_sub_f32 v73, v98, v74 :: v_dual_mul_f32 v98, 0x3fb8aa3b, v100
	v_mul_f32_e32 v81, 0x3fb8aa3b, v81
	v_exp_f32_e32 v100, v107
	s_waitcnt lgkmcnt(0)
	s_delay_alu instid0(VALU_DEP_2)
	v_mul_f32_e32 v73, 0x3fb8aa3b, v73
	v_exp_f32_e32 v98, v98
	v_exp_f32_e32 v101, v81
	v_cndmask_b32_e32 v81, v103, v102, vcc_lo
	s_barrier
	v_exp_f32_e32 v99, v73
	buffer_gl0_inv
	v_cmp_eq_u32_e64 s8, 7, v82
	v_fmac_f32_e32 v75, v100, v83
	v_lshl_or_b32 v83, v115, 11, v114
	s_delay_alu instid0(VALU_DEP_2) | instskip(NEXT) | instid1(VALU_DEP_1)
	v_fmac_f32_e32 v75, v98, v84
	v_fmac_f32_e32 v75, v99, v85
	s_delay_alu instid0(VALU_DEP_1) | instskip(SKIP_1) | instid1(VALU_DEP_2)
	v_fmac_f32_e32 v75, v101, v86
	v_or_b32_e32 v86, 2, v82
	v_add_f32_e32 v107, 0x358637bd, v75
	s_delay_alu instid0(VALU_DEP_2)
	v_cmp_eq_u32_e64 s10, 1, v86
	v_cmp_eq_u32_e64 s16, 2, v86
	;; [unrolled: 1-line block ×4, first 2 shown]
	v_div_scale_f32 v108, null, v107, v107, 1.0
	v_div_scale_f32 v102, vcc_lo, 1.0, v107, 1.0
	v_cmp_eq_u32_e64 s24, 5, v86
	s_delay_alu instid0(VALU_DEP_3) | instskip(SKIP_4) | instid1(VALU_DEP_1)
	v_rcp_f32_e32 v109, v108
	v_cmp_eq_u32_e64 s27, 6, v86
	v_cmp_eq_u32_e64 s29, 7, v86
	s_waitcnt_depctr 0xfff
	v_fma_f32 v73, -v108, v109, 1.0
	v_fmac_f32_e32 v109, v73, v109
	v_cndmask_b32_e64 v73, v81, v104, s3
	v_cmp_eq_u32_e64 s3, 7, v115
	v_lshl_or_b32 v81, v105, 4, v83
	s_delay_alu instid0(VALU_DEP_4) | instskip(NEXT) | instid1(VALU_DEP_4)
	v_mul_f32_e32 v103, v102, v109
	v_cndmask_b32_e64 v73, v73, v106, s4
	v_cmp_eq_u32_e64 s4, 1, v82
	s_delay_alu instid0(VALU_DEP_3) | instskip(NEXT) | instid1(VALU_DEP_3)
	v_fma_f32 v84, -v108, v103, v102
	v_cndmask_b32_e64 v85, v73, v100, s6
	v_cmp_eq_u32_e64 s6, 4, v82
	v_mov_b32_e32 v73, 0
	s_delay_alu instid0(VALU_DEP_4) | instskip(NEXT) | instid1(VALU_DEP_4)
	v_fmac_f32_e32 v103, v84, v109
	v_cndmask_b32_e64 v98, v85, v98, s7
	v_or_b32_e32 v84, 1, v82
	v_or_b32_e32 v85, 3, v82
	v_cmp_eq_u32_e64 s7, 6, v82
	v_fma_f32 v100, -v108, v103, v102
	v_cndmask_b32_e64 v98, v98, v99, s5
	v_cmp_eq_u32_e64 s9, 1, v84
	v_cmp_eq_u32_e64 s11, 1, v85
	;; [unrolled: 1-line block ×3, first 2 shown]
	v_div_fmas_f32 v99, v100, v109, v103
	v_cndmask_b32_e64 v98, v98, v101, s3
	v_cmp_eq_u32_e32 vcc_lo, 2, v82
	v_cmp_eq_u32_e64 s17, 2, v85
	v_cmp_eq_u32_e64 s5, 3, v82
	v_div_fixup_f32 v99, v99, v107, 1.0
	v_cmp_eq_u32_e64 s13, 3, v84
	v_cmp_eq_u32_e64 s19, 3, v85
	v_cmp_eq_u32_e64 s20, 4, v84
	v_cmp_eq_u32_e64 s23, 4, v85
	v_mul_f32_e32 v102, v98, v99
	v_cmp_eq_u32_e64 s3, 5, v82
	v_cmp_eq_u32_e64 s21, 5, v84
	;; [unrolled: 1-line block ×4, first 2 shown]
	v_fma_mixlo_f16 v98, v102, v77, 0
	v_fma_mixlo_f16 v99, v102, v79, 0
	;; [unrolled: 1-line block ×8, first 2 shown]
	v_fma_mixhi_f16 v98, v102, v76, 0
	v_fma_mixhi_f16 v99, v102, v78, 0
	;; [unrolled: 1-line block ×8, first 2 shown]
	ds_store_b128 v81, v[98:101]
	ds_store_b128 v81, v[106:109] offset:1024
	s_waitcnt lgkmcnt(0)
	s_barrier
	buffer_gl0_inv
	ds_load_b128 v[76:79], v83
	ds_load_b128 v[87:90], v83 offset:16
	ds_load_b128 v[91:94], v83 offset:1024
	;; [unrolled: 1-line block ×3, first 2 shown]
	v_cmp_eq_u32_e64 s28, 6, v85
	v_cmp_eq_u32_e64 s30, 7, v85
	;; [unrolled: 1-line block ×3, first 2 shown]
	s_waitcnt lgkmcnt(3)
	v_lshrrev_b32_e32 v80, 16, v76
	s_waitcnt lgkmcnt(2)
	v_lshrrev_b32_e32 v102, 16, v87
	;; [unrolled: 2-line block ×4, first 2 shown]
	v_lshrrev_b32_e32 v99, 16, v77
	v_cndmask_b32_e64 v117, v76, v80, s4
	v_cndmask_b32_e64 v118, v87, v102, s4
	;; [unrolled: 1-line block ×7, first 2 shown]
	v_lshrrev_b32_e32 v103, 16, v88
	v_cndmask_b32_e64 v122, v87, v102, s10
	v_cndmask_b32_e64 v87, v91, v107, s4
	;; [unrolled: 1-line block ×9, first 2 shown]
	v_cndmask_b32_e32 v107, v117, v77, vcc_lo
	v_cndmask_b32_e32 v111, v118, v88, vcc_lo
	v_cndmask_b32_e64 v117, v119, v77, s12
	v_cndmask_b32_e64 v118, v120, v88, s12
	;; [unrolled: 1-line block ×5, first 2 shown]
	v_lshrrev_b32_e32 v108, 16, v92
	v_lshrrev_b32_e32 v112, 16, v96
	v_cndmask_b32_e64 v120, v122, v88, s16
	v_cndmask_b32_e32 v80, v87, v92, vcc_lo
	v_cndmask_b32_e32 v87, v102, v96, vcc_lo
	v_cndmask_b32_e64 v88, v123, v92, s12
	v_cndmask_b32_e64 v102, v125, v92, s16
	;; [unrolled: 1-line block ×10, first 2 shown]
	v_lshrrev_b32_e32 v100, 16, v78
	v_lshrrev_b32_e32 v104, 16, v89
	v_cndmask_b32_e64 v118, v119, v99, s18
	v_cndmask_b32_e64 v119, v120, v103, s18
	;; [unrolled: 1-line block ×11, first 2 shown]
	v_lshrrev_b32_e32 v109, 16, v93
	v_cndmask_b32_e64 v111, v118, v78, s22
	v_cndmask_b32_e64 v117, v119, v89, s22
	;; [unrolled: 1-line block ×11, first 2 shown]
	v_lshrrev_b32_e32 v101, 16, v79
	v_lshrrev_b32_e32 v106, 16, v90
	v_cndmask_b32_e64 v103, v111, v100, s24
	v_cndmask_b32_e64 v107, v117, v104, s24
	;; [unrolled: 1-line block ×9, first 2 shown]
	v_lshrrev_b32_e32 v110, 16, v94
	v_cndmask_b32_e64 v78, v78, v109, s3
	v_cndmask_b32_e64 v100, v103, v79, s27
	;; [unrolled: 1-line block ×14, first 2 shown]
	v_perm_b32 v79, v77, v76, 0x5040100
	v_perm_b32 v77, v99, v89, 0x5040100
	v_cndmask_b32_e64 v76, v126, v96, s16
	v_cndmask_b32_e64 v89, v124, v96, s12
	;; [unrolled: 1-line block ×3, first 2 shown]
	v_perm_b32 v78, v95, v90, 0x5040100
	v_cndmask_b32_e64 v90, v102, v108, s18
	v_cndmask_b32_e64 v91, v91, v108, s19
	v_cndmask_b32_e64 v92, v92, v112, s19
	v_cndmask_b32_e64 v76, v76, v112, s18
	v_cndmask_b32_e64 v89, v89, v112, s13
	v_lshrrev_b32_e32 v115, 16, v97
	v_cndmask_b32_e64 v90, v90, v93, s22
	v_cndmask_b32_e64 v91, v91, v93, s23
	;; [unrolled: 1-line block ×11, first 2 shown]
	v_lshrrev_b32_e32 v116, 16, v98
	v_cndmask_b32_e64 v80, v80, v98, s7
	v_cndmask_b32_e64 v90, v90, v94, s27
	;; [unrolled: 1-line block ×12, first 2 shown]
	v_perm_b32 v76, v88, v87, 0x5040100
	v_perm_b32 v90, v91, v90, 0x5040100
	;; [unrolled: 1-line block ×5, first 2 shown]
	s_mov_b32 s3, exec_lo
	ds_store_b128 v81, v[76:79]
	ds_store_b128 v81, v[87:90] offset:1024
	v_cmpx_eq_u32_e32 0, v0
	s_cbranch_execz .LBB190_13
; %bb.12:
	s_load_b128 s[4:7], s[0:1], 0x58
	s_mul_i32 s8, s37, s34
	s_delay_alu instid0(SALU_CYCLE_1) | instskip(NEXT) | instid1(SALU_CYCLE_1)
	s_add_i32 s8, s8, s15
	s_mul_i32 s8, s8, s36
	s_delay_alu instid0(SALU_CYCLE_1) | instskip(NEXT) | instid1(SALU_CYCLE_1)
	s_add_i32 s8, s8, s14
	s_ashr_i32 s9, s8, 31
	s_delay_alu instid0(SALU_CYCLE_1)
	s_lshl_b64 s[8:9], s[8:9], 2
	s_waitcnt lgkmcnt(0)
	s_add_u32 s6, s6, s8
	s_addc_u32 s7, s7, s9
	s_add_u32 s4, s4, s8
	s_addc_u32 s5, s5, s9
	s_clause 0x1
	global_store_b32 v73, v74, s[6:7]
	global_store_b32 v73, v75, s[4:5]
.LBB190_13:
	s_or_b32 exec_lo, exec_lo, s3
	s_waitcnt lgkmcnt(0)
	s_waitcnt_vscnt null, 0x0
	s_barrier
	buffer_gl0_inv
	ds_load_b128 v[87:90], v114
	ds_load_b128 v[91:94], v114 offset:16
	ds_load_b128 v[99:102], v114 offset:1040
	;; [unrolled: 1-line block ×5, first 2 shown]
	v_mov_b32_e32 v74, v73
	v_mov_b32_e32 v75, v73
	;; [unrolled: 1-line block ×7, first 2 shown]
	ds_load_b128 v[127:130], v114 offset:3088
	ds_load_b128 v[123:126], v114 offset:3072
	;; [unrolled: 1-line block ×4, first 2 shown]
	v_cmp_eq_u32_e32 vcc_lo, 1, v86
	v_cmp_eq_u32_e64 s3, 1, v82
	v_cmp_eq_u32_e64 s4, 1, v85
	;; [unrolled: 1-line block ×4, first 2 shown]
	s_waitcnt lgkmcnt(8)
	v_wmma_f32_16x16x16_f16 v[73:80], v[65:72], v[87:94], v[73:80]
	ds_load_b128 v[69:72], v114 offset:5136
	ds_load_b128 v[65:68], v114 offset:5120
	;; [unrolled: 1-line block ×4, first 2 shown]
	s_waitcnt lgkmcnt(10)
	v_wmma_f32_16x16x16_f16 v[73:80], v[57:64], v[95:102], v[73:80]
	s_waitcnt lgkmcnt(8)
	s_delay_alu instid0(VALU_DEP_1)
	v_wmma_f32_16x16x16_f16 v[73:80], v[57:64], v[115:122], v[73:80]
	ds_load_b128 v[61:64], v114 offset:7184
	ds_load_b128 v[57:60], v114 offset:7168
	;; [unrolled: 1-line block ×4, first 2 shown]
	s_waitcnt lgkmcnt(10)
	v_wmma_f32_16x16x16_f16 v[73:80], v[49:56], v[123:130], v[73:80]
	s_waitcnt lgkmcnt(8)
	s_delay_alu instid0(VALU_DEP_1)
	v_wmma_f32_16x16x16_f16 v[73:80], v[49:56], v[131:138], v[73:80]
	ds_load_b128 v[53:56], v114 offset:9232
	ds_load_b128 v[49:52], v114 offset:9216
	s_waitcnt lgkmcnt(8)
	v_wmma_f32_16x16x16_f16 v[73:80], v[41:48], v[65:72], v[73:80]
	ds_load_b128 v[69:72], v114 offset:10256
	ds_load_b128 v[65:68], v114 offset:10240
	s_waitcnt lgkmcnt(8)
	;; [unrolled: 4-line block ×7, first 2 shown]
	s_barrier
	buffer_gl0_inv
	v_wmma_f32_16x16x16_f16 v[73:80], v[1:8], v[41:48], v[73:80]
	s_delay_alu instid0(VALU_DEP_1) | instskip(NEXT) | instid1(VALU_DEP_1)
	v_wmma_f32_16x16x16_f16 v[73:80], v[1:8], v[57:64], v[73:80]
	v_wmma_f32_16x16x16_f16 v[73:80], v[33:40], v[17:24], v[73:80]
	s_delay_alu instid0(VALU_DEP_1) | instskip(NEXT) | instid1(VALU_DEP_1)
	v_wmma_f32_16x16x16_f16 v[73:80], v[33:40], v[49:56], v[73:80]
	v_wmma_f32_16x16x16_f16 v[73:80], v[25:32], v[9:16], v[73:80]
	s_delay_alu instid0(VALU_DEP_1) | instskip(NEXT) | instid1(VALU_DEP_2)
	v_cvt_f16_f32_e32 v1, v73
	v_cvt_f16_f32_e32 v2, v74
	s_delay_alu instid0(VALU_DEP_3) | instskip(NEXT) | instid1(VALU_DEP_4)
	v_cvt_f16_f32_e32 v3, v75
	v_cvt_f16_f32_e32 v4, v76
	;; [unrolled: 1-line block ×6, first 2 shown]
	v_pack_b32_f16 v1, v1, v2
	v_pack_b32_f16 v2, v3, v4
	v_pack_b32_f16 v3, v5, v6
	s_delay_alu instid0(VALU_DEP_4)
	v_pack_b32_f16 v4, v7, v8
	ds_store_b128 v81, v[1:4]
	s_waitcnt lgkmcnt(0)
	s_barrier
	buffer_gl0_inv
	ds_load_b128 v[1:4], v83
	ds_load_b128 v[5:8], v83 offset:16
	s_waitcnt lgkmcnt(1)
	v_lshrrev_b32_e32 v9, 16, v1
	s_waitcnt lgkmcnt(0)
	v_lshrrev_b32_e32 v13, 16, v5
	v_lshrrev_b32_e32 v15, 16, v7
	;; [unrolled: 1-line block ×4, first 2 shown]
	v_cndmask_b32_e64 v17, v1, v9, s3
	v_cndmask_b32_e64 v18, v5, v13, s3
	;; [unrolled: 1-line block ×3, first 2 shown]
	v_cmp_eq_u32_e64 s3, 2, v84
	v_cndmask_b32_e64 v20, v5, v13, s5
	v_cndmask_b32_e32 v21, v1, v9, vcc_lo
	v_cndmask_b32_e32 v22, v5, v13, vcc_lo
	v_cndmask_b32_e64 v1, v1, v9, s4
	v_cndmask_b32_e64 v5, v5, v13, s4
	v_cmp_eq_u32_e32 vcc_lo, 2, v86
	v_cmp_eq_u32_e64 s4, 2, v85
	v_cndmask_b32_e64 v9, v17, v2, s6
	v_cndmask_b32_e64 v13, v18, v6, s6
	;; [unrolled: 1-line block ×4, first 2 shown]
	v_cndmask_b32_e32 v19, v21, v2, vcc_lo
	v_cmp_eq_u32_e64 s3, 3, v86
	v_cndmask_b32_e32 v20, v22, v6, vcc_lo
	v_cndmask_b32_e64 v1, v1, v2, s4
	v_cmp_eq_u32_e32 vcc_lo, 3, v85
	v_cmp_eq_u32_e64 s5, 3, v82
	v_cndmask_b32_e64 v2, v5, v6, s4
	v_cmp_eq_u32_e64 s4, 3, v84
	v_lshrrev_b32_e32 v16, 16, v8
	v_cmp_eq_u32_e64 s6, 4, v82
	v_cndmask_b32_e64 v5, v9, v10, s5
	v_cndmask_b32_e64 v6, v13, v14, s5
	;; [unrolled: 1-line block ×3, first 2 shown]
	v_cmp_eq_u32_e64 s5, 4, v84
	v_cndmask_b32_e64 v13, v18, v14, s4
	v_cndmask_b32_e64 v17, v19, v10, s3
	;; [unrolled: 1-line block ×3, first 2 shown]
	v_cndmask_b32_e32 v1, v1, v10, vcc_lo
	v_cndmask_b32_e32 v2, v2, v14, vcc_lo
	v_cmp_eq_u32_e32 vcc_lo, 4, v86
	v_cmp_eq_u32_e64 s4, 4, v85
	v_lshrrev_b32_e32 v11, 16, v3
	v_cndmask_b32_e64 v5, v5, v3, s6
	v_cndmask_b32_e64 v6, v6, v7, s6
	;; [unrolled: 1-line block ×4, first 2 shown]
	v_cndmask_b32_e32 v13, v17, v3, vcc_lo
	v_cmp_eq_u32_e64 s3, 5, v86
	v_cndmask_b32_e32 v14, v18, v7, vcc_lo
	v_cndmask_b32_e64 v1, v1, v3, s4
	v_cmp_eq_u32_e32 vcc_lo, 5, v85
	v_cmp_eq_u32_e64 s5, 5, v82
	v_cndmask_b32_e64 v2, v2, v7, s4
	v_cmp_eq_u32_e64 s4, 5, v84
	v_cmp_eq_u32_e64 s6, 6, v82
	v_cndmask_b32_e32 v1, v1, v11, vcc_lo
	v_cndmask_b32_e64 v3, v5, v11, s5
	v_cndmask_b32_e64 v5, v6, v15, s5
	;; [unrolled: 1-line block ×6, first 2 shown]
	v_cndmask_b32_e32 v2, v2, v15, vcc_lo
	v_cmp_eq_u32_e32 vcc_lo, 6, v86
	v_cmp_eq_u32_e64 s3, 6, v85
	v_cmp_eq_u32_e64 s5, 6, v84
	v_lshrrev_b32_e32 v12, 16, v4
	v_cndmask_b32_e64 v3, v3, v4, s6
	v_cndmask_b32_e64 v5, v5, v8, s6
	v_cndmask_b32_e32 v9, v9, v4, vcc_lo
	v_cndmask_b32_e32 v10, v10, v8, vcc_lo
	v_cndmask_b32_e64 v1, v1, v4, s3
	v_cmp_eq_u32_e32 vcc_lo, 7, v85
	v_cndmask_b32_e64 v2, v2, v8, s3
	v_cmp_eq_u32_e64 s3, 7, v82
	v_cndmask_b32_e64 v6, v6, v4, s5
	v_cndmask_b32_e64 v7, v7, v8, s5
	v_cmp_eq_u32_e64 s4, 7, v86
	v_cndmask_b32_e32 v2, v2, v16, vcc_lo
	v_cmp_eq_u32_e64 s5, 7, v84
	v_cndmask_b32_e64 v8, v3, v12, s3
	v_cndmask_b32_e32 v1, v1, v12, vcc_lo
	v_cndmask_b32_e64 v5, v5, v16, s3
	v_cmp_lt_u32_e32 vcc_lo, 31, v0
	v_cmp_lt_u32_e64 s3, 7, v113
	v_cndmask_b32_e64 v6, v6, v12, s5
	v_cndmask_b32_e64 v3, v9, v12, s4
	;; [unrolled: 1-line block ×4, first 2 shown]
	s_or_b32 s3, vcc_lo, s3
	v_perm_b32 v4, v2, v1, 0x5040100
	v_perm_b32 v1, v5, v8, 0x5040100
	v_perm_b32 v3, v9, v3, 0x5040100
	v_perm_b32 v2, v7, v6, 0x5040100
	s_or_b32 s2, s2, s3
	s_delay_alu instid0(SALU_CYCLE_1)
	s_xor_b32 s2, s2, -1
	ds_store_b128 v81, v[1:4]
	s_waitcnt lgkmcnt(0)
	s_barrier
	buffer_gl0_inv
	s_and_saveexec_b32 s3, s2
	s_cbranch_execz .LBB190_2
; %bb.14:
	s_load_b64 s[0:1], s[0:1], 0x68
	v_lshlrev_b32_e32 v1, 10, v0
	v_and_b32_e32 v0, 1, v0
	v_lshlrev_b32_e32 v2, 6, v105
	s_lshl_b32 s4, s36, 6
	v_lshlrev_b32_e32 v4, 3, v113
	v_and_b32_e32 v1, 0x3800, v1
	v_lshlrev_b32_e32 v0, 4, v0
	s_mul_i32 s2, s4, s34
	s_delay_alu instid0(SALU_CYCLE_1) | instskip(SKIP_1) | instid1(VALU_DEP_2)
	s_mul_i32 s2, s2, s37
	v_lshlrev_b32_e32 v4, 1, v4
	v_or3_b32 v0, v1, v2, v0
	s_ashr_i32 s3, s2, 31
	s_delay_alu instid0(SALU_CYCLE_1)
	s_lshl_b64 s[2:3], s[2:3], 1
	ds_load_b128 v[0:3], v0
	s_waitcnt lgkmcnt(0)
	s_add_u32 s5, s0, s2
	s_addc_u32 s3, s1, s3
	s_lshl_b32 s0, s14, 6
	s_mul_i32 s2, s4, s15
	s_ashr_i32 s1, s0, 31
	s_delay_alu instid0(SALU_CYCLE_1) | instskip(NEXT) | instid1(SALU_CYCLE_1)
	s_lshl_b64 s[0:1], s[0:1], 1
	s_add_u32 s4, s5, s0
	s_addc_u32 s5, s3, s1
	s_ashr_i32 s3, s2, 31
	s_delay_alu instid0(SALU_CYCLE_1) | instskip(NEXT) | instid1(SALU_CYCLE_1)
	s_lshl_b64 s[0:1], s[2:3], 1
	s_add_u32 s0, s4, s0
	s_addc_u32 s1, s5, s1
	global_store_b128 v4, v[0:3], s[0:1]
	s_nop 0
	s_sendmsg sendmsg(MSG_DEALLOC_VGPRS)
	s_endpgm
	.section	.rodata,"a",@progbits
	.p2align	6, 0x0
	.amdhsa_kernel _Z39paged_attention_ll4mi_QKV_mfma16_kernelIDF16_DF16_LN4vllm18Fp8KVCacheDataTypeE0EDF16_Li32ELi64ELi256ELb0ELi1EL8MFMAType0EEvPKT_PKT0_S8_ifPKiSA_SA_iPKfiiiPfSD_PS3_PT2_iSC_SC_
		.amdhsa_group_segment_fixed_size 17472
		.amdhsa_private_segment_fixed_size 0
		.amdhsa_kernarg_size 400
		.amdhsa_user_sgpr_count 13
		.amdhsa_user_sgpr_dispatch_ptr 0
		.amdhsa_user_sgpr_queue_ptr 0
		.amdhsa_user_sgpr_kernarg_segment_ptr 1
		.amdhsa_user_sgpr_dispatch_id 0
		.amdhsa_user_sgpr_private_segment_size 0
		.amdhsa_wavefront_size32 1
		.amdhsa_uses_dynamic_stack 0
		.amdhsa_enable_private_segment 0
		.amdhsa_system_sgpr_workgroup_id_x 1
		.amdhsa_system_sgpr_workgroup_id_y 1
		.amdhsa_system_sgpr_workgroup_id_z 1
		.amdhsa_system_sgpr_workgroup_info 0
		.amdhsa_system_vgpr_workitem_id 0
		.amdhsa_next_free_vgpr 146
		.amdhsa_next_free_sgpr 69
		.amdhsa_reserve_vcc 1
		.amdhsa_float_round_mode_32 0
		.amdhsa_float_round_mode_16_64 0
		.amdhsa_float_denorm_mode_32 3
		.amdhsa_float_denorm_mode_16_64 3
		.amdhsa_dx10_clamp 1
		.amdhsa_ieee_mode 1
		.amdhsa_fp16_overflow 0
		.amdhsa_workgroup_processor_mode 1
		.amdhsa_memory_ordered 1
		.amdhsa_forward_progress 0
		.amdhsa_shared_vgpr_count 0
		.amdhsa_exception_fp_ieee_invalid_op 0
		.amdhsa_exception_fp_denorm_src 0
		.amdhsa_exception_fp_ieee_div_zero 0
		.amdhsa_exception_fp_ieee_overflow 0
		.amdhsa_exception_fp_ieee_underflow 0
		.amdhsa_exception_fp_ieee_inexact 0
		.amdhsa_exception_int_div_zero 0
	.end_amdhsa_kernel
	.section	.text._Z39paged_attention_ll4mi_QKV_mfma16_kernelIDF16_DF16_LN4vllm18Fp8KVCacheDataTypeE0EDF16_Li32ELi64ELi256ELb0ELi1EL8MFMAType0EEvPKT_PKT0_S8_ifPKiSA_SA_iPKfiiiPfSD_PS3_PT2_iSC_SC_,"axG",@progbits,_Z39paged_attention_ll4mi_QKV_mfma16_kernelIDF16_DF16_LN4vllm18Fp8KVCacheDataTypeE0EDF16_Li32ELi64ELi256ELb0ELi1EL8MFMAType0EEvPKT_PKT0_S8_ifPKiSA_SA_iPKfiiiPfSD_PS3_PT2_iSC_SC_,comdat
.Lfunc_end190:
	.size	_Z39paged_attention_ll4mi_QKV_mfma16_kernelIDF16_DF16_LN4vllm18Fp8KVCacheDataTypeE0EDF16_Li32ELi64ELi256ELb0ELi1EL8MFMAType0EEvPKT_PKT0_S8_ifPKiSA_SA_iPKfiiiPfSD_PS3_PT2_iSC_SC_, .Lfunc_end190-_Z39paged_attention_ll4mi_QKV_mfma16_kernelIDF16_DF16_LN4vllm18Fp8KVCacheDataTypeE0EDF16_Li32ELi64ELi256ELb0ELi1EL8MFMAType0EEvPKT_PKT0_S8_ifPKiSA_SA_iPKfiiiPfSD_PS3_PT2_iSC_SC_
                                        ; -- End function
	.section	.AMDGPU.csdata,"",@progbits
; Kernel info:
; codeLenInByte = 6924
; NumSgprs: 71
; NumVgprs: 146
; ScratchSize: 0
; MemoryBound: 1
; FloatMode: 240
; IeeeMode: 1
; LDSByteSize: 17472 bytes/workgroup (compile time only)
; SGPRBlocks: 8
; VGPRBlocks: 18
; NumSGPRsForWavesPerEU: 71
; NumVGPRsForWavesPerEU: 146
; Occupancy: 9
; WaveLimiterHint : 1
; COMPUTE_PGM_RSRC2:SCRATCH_EN: 0
; COMPUTE_PGM_RSRC2:USER_SGPR: 13
; COMPUTE_PGM_RSRC2:TRAP_HANDLER: 0
; COMPUTE_PGM_RSRC2:TGID_X_EN: 1
; COMPUTE_PGM_RSRC2:TGID_Y_EN: 1
; COMPUTE_PGM_RSRC2:TGID_Z_EN: 1
; COMPUTE_PGM_RSRC2:TIDIG_COMP_CNT: 0
	.section	.text._Z39paged_attention_ll4mi_QKV_mfma16_kernelIDF16_DF16_LN4vllm18Fp8KVCacheDataTypeE0EDF16_Li32ELi64ELi256ELb0ELi2EL8MFMAType0EEvPKT_PKT0_S8_ifPKiSA_SA_iPKfiiiPfSD_PS3_PT2_iSC_SC_,"axG",@progbits,_Z39paged_attention_ll4mi_QKV_mfma16_kernelIDF16_DF16_LN4vllm18Fp8KVCacheDataTypeE0EDF16_Li32ELi64ELi256ELb0ELi2EL8MFMAType0EEvPKT_PKT0_S8_ifPKiSA_SA_iPKfiiiPfSD_PS3_PT2_iSC_SC_,comdat
	.protected	_Z39paged_attention_ll4mi_QKV_mfma16_kernelIDF16_DF16_LN4vllm18Fp8KVCacheDataTypeE0EDF16_Li32ELi64ELi256ELb0ELi2EL8MFMAType0EEvPKT_PKT0_S8_ifPKiSA_SA_iPKfiiiPfSD_PS3_PT2_iSC_SC_ ; -- Begin function _Z39paged_attention_ll4mi_QKV_mfma16_kernelIDF16_DF16_LN4vllm18Fp8KVCacheDataTypeE0EDF16_Li32ELi64ELi256ELb0ELi2EL8MFMAType0EEvPKT_PKT0_S8_ifPKiSA_SA_iPKfiiiPfSD_PS3_PT2_iSC_SC_
	.globl	_Z39paged_attention_ll4mi_QKV_mfma16_kernelIDF16_DF16_LN4vllm18Fp8KVCacheDataTypeE0EDF16_Li32ELi64ELi256ELb0ELi2EL8MFMAType0EEvPKT_PKT0_S8_ifPKiSA_SA_iPKfiiiPfSD_PS3_PT2_iSC_SC_
	.p2align	8
	.type	_Z39paged_attention_ll4mi_QKV_mfma16_kernelIDF16_DF16_LN4vllm18Fp8KVCacheDataTypeE0EDF16_Li32ELi64ELi256ELb0ELi2EL8MFMAType0EEvPKT_PKT0_S8_ifPKiSA_SA_iPKfiiiPfSD_PS3_PT2_iSC_SC_,@function
_Z39paged_attention_ll4mi_QKV_mfma16_kernelIDF16_DF16_LN4vllm18Fp8KVCacheDataTypeE0EDF16_Li32ELi64ELi256ELb0ELi2EL8MFMAType0EEvPKT_PKT0_S8_ifPKiSA_SA_iPKfiiiPfSD_PS3_PT2_iSC_SC_: ; @_Z39paged_attention_ll4mi_QKV_mfma16_kernelIDF16_DF16_LN4vllm18Fp8KVCacheDataTypeE0EDF16_Li32ELi64ELi256ELb0ELi2EL8MFMAType0EEvPKT_PKT0_S8_ifPKiSA_SA_iPKfiiiPfSD_PS3_PT2_iSC_SC_
; %bb.0:
	s_load_b64 s[2:3], s[0:1], 0x30
	s_mov_b32 s30, s13
	s_waitcnt lgkmcnt(0)
	s_cmp_lg_u64 s[2:3], 0
	s_cselect_b32 s6, -1, 0
	s_ashr_i32 s31, s13, 31
	s_cmp_eq_u64 s[2:3], 0
	s_cbranch_scc1 .LBB191_3
; %bb.1:
	s_lshl_b64 s[4:5], s[30:31], 2
	s_delay_alu instid0(SALU_CYCLE_1) | instskip(SKIP_4) | instid1(SALU_CYCLE_1)
	s_add_u32 s4, s2, s4
	s_addc_u32 s5, s3, s5
	s_load_b64 s[4:5], s[4:5], 0x0
	s_waitcnt lgkmcnt(0)
	s_sub_i32 s4, s5, s4
	s_cmp_eq_u32 s4, 1
	s_cselect_b32 s4, -1, 0
	s_delay_alu instid0(SALU_CYCLE_1)
	s_and_not1_b32 vcc_lo, exec_lo, s4
	s_cbranch_vccz .LBB191_4
.LBB191_2:
	s_endpgm
.LBB191_3:
.LBB191_4:
	s_load_b64 s[8:9], s[0:1], 0x28
	s_lshl_b64 s[4:5], s[30:31], 2
	s_waitcnt lgkmcnt(0)
	s_add_u32 s8, s8, s4
	s_addc_u32 s9, s9, s5
	s_lshl_b32 s16, s14, 8
	s_load_b32 s17, s[8:9], 0x0
	s_waitcnt lgkmcnt(0)
	s_cmp_ge_i32 s16, s17
	s_cbranch_scc1 .LBB191_2
; %bb.5:
	s_and_not1_b32 vcc_lo, exec_lo, s6
	s_cbranch_vccnz .LBB191_7
; %bb.6:
	s_add_u32 s2, s2, s4
	s_addc_u32 s3, s3, s5
	s_load_b32 s3, s[2:3], 0x0
	s_branch .LBB191_8
.LBB191_7:
	s_mov_b32 s3, s30
.LBB191_8:
	s_clause 0x2
	s_load_b128 s[8:11], s[0:1], 0x8
	s_load_b64 s[12:13], s[0:1], 0x20
	s_load_b128 s[4:7], s[0:1], 0x48
	v_and_b32_e32 v80, 15, v0
	v_cmp_gt_u32_e32 vcc_lo, 32, v0
	v_bfe_u32 v78, v0, 4, 1
	s_lshl_b32 s33, s15, 1
	s_delay_alu instid0(VALU_DEP_3) | instskip(SKIP_1) | instid1(VALU_DEP_2)
	v_cmp_gt_u32_e64 s2, 8, v80
	v_lshlrev_b32_e32 v1, 3, v80
	s_and_b32 s31, vcc_lo, s2
	s_delay_alu instid0(SALU_CYCLE_1) | instskip(SKIP_2) | instid1(SALU_CYCLE_1)
	s_xor_b32 s2, s31, -1
	s_waitcnt lgkmcnt(0)
	s_and_saveexec_b32 s7, s2
	s_xor_b32 s2, exec_lo, s7
; %bb.9:
	v_mov_b32_e32 v2, 0
; %bb.10:
	s_or_saveexec_b32 s2, s2
	v_and_b32_e32 v81, 31, v0
	v_and_b32_e32 v77, 1, v0
	v_or_b32_e32 v76, s33, v78
	v_lshlrev_b32_e32 v75, 6, v78
	s_xor_b32 exec_lo, exec_lo, s2
	s_cbranch_execz .LBB191_12
; %bb.11:
	s_load_b64 s[18:19], s[0:1], 0x0
	v_lshlrev_b32_e32 v2, 6, v76
	s_mul_hi_i32 s21, s3, s4
	s_mul_i32 s20, s3, s4
	v_lshlrev_b32_e32 v4, 1, v1
	s_lshl_b64 s[20:21], s[20:21], 1
	v_ashrrev_i32_e32 v3, 31, v2
	v_lshlrev_b32_e32 v7, 10, v77
	s_delay_alu instid0(VALU_DEP_2) | instskip(SKIP_3) | instid1(VALU_DEP_1)
	v_lshlrev_b64 v[2:3], 1, v[2:3]
	s_waitcnt lgkmcnt(0)
	s_add_u32 s3, s18, s20
	s_addc_u32 s4, s19, s21
	v_add_co_u32 v2, vcc_lo, s3, v2
	s_delay_alu instid0(VALU_DEP_2) | instskip(NEXT) | instid1(VALU_DEP_2)
	v_add_co_ci_u32_e32 v3, vcc_lo, s4, v3, vcc_lo
	v_add_co_u32 v2, vcc_lo, v2, v4
	s_delay_alu instid0(VALU_DEP_2) | instskip(SKIP_2) | instid1(VALU_DEP_1)
	v_add_co_ci_u32_e32 v3, vcc_lo, 0, v3, vcc_lo
	global_load_b128 v[3:6], v[2:3], off
	v_lshlrev_b32_e32 v2, 10, v80
	v_and_b32_e32 v2, 0x3800, v2
	s_delay_alu instid0(VALU_DEP_1)
	v_or3_b32 v7, v2, v7, v75
	v_mov_b32_e32 v2, 0
	s_waitcnt vmcnt(0)
	ds_store_b128 v7, v[3:6]
.LBB191_12:
	s_or_b32 exec_lo, exec_lo, s2
	v_and_b32_e32 v3, 0xef, v0
	s_add_i32 s3, s17, 31
	s_clause 0x1
	s_load_b32 s2, s[0:1], 0x38
	s_load_b32 s34, s[0:1], 0x98
	s_ashr_i32 s4, s3, 31
	v_add_nc_u32_e32 v3, s16, v3
	s_lshr_b32 s4, s4, 27
	s_load_b32 s18, s[0:1], 0x1c
	s_add_i32 s3, s3, s4
	s_waitcnt lgkmcnt(0)
	v_ashrrev_i32_e32 v4, 31, v3
	v_cmp_gt_i32_e32 vcc_lo, s17, v3
	s_ashr_i32 s4, s3, 5
	s_barrier
	s_add_i32 s4, s4, -1
	v_lshrrev_b32_e32 v5, 27, v4
	v_or_b32_e32 v4, 16, v3
	buffer_gl0_inv
	v_lshlrev_b64 v[73:74], 1, v[1:2]
	v_lshrrev_b32_e32 v82, 5, v0
	v_add_nc_u32_e32 v6, v3, v5
	v_add_nc_u32_e32 v5, v4, v5
	s_mul_i32 s2, s30, s2
	s_delay_alu instid0(SALU_CYCLE_1) | instskip(NEXT) | instid1(VALU_DEP_2)
	s_ashr_i32 s3, s2, 31
	v_ashrrev_i32_e32 v6, 5, v6
	s_delay_alu instid0(VALU_DEP_2) | instskip(SKIP_1) | instid1(SALU_CYCLE_1)
	v_ashrrev_i32_e32 v5, 5, v5
	s_lshl_b64 s[2:3], s[2:3], 2
	s_add_u32 s19, s12, s2
	s_delay_alu instid0(VALU_DEP_2) | instskip(SKIP_3) | instid1(SALU_CYCLE_1)
	v_cndmask_b32_e32 v3, s4, v6, vcc_lo
	v_cmp_gt_i32_e32 vcc_lo, s17, v4
	s_addc_u32 s35, s13, s3
	s_mul_i32 s2, s15, s6
	s_ashr_i32 s3, s2, 31
	v_cndmask_b32_e32 v5, s4, v5, vcc_lo
	v_ashrrev_i32_e32 v4, 31, v3
	s_lshl_b64 s[2:3], s[2:3], 1
	s_delay_alu instid0(SALU_CYCLE_1) | instskip(NEXT) | instid1(VALU_DEP_2)
	s_add_u32 s15, s8, s2
	v_ashrrev_i32_e32 v6, 31, v5
	s_delay_alu instid0(VALU_DEP_2) | instskip(SKIP_2) | instid1(VALU_DEP_2)
	v_lshlrev_b64 v[3:4], 2, v[3:4]
	s_addc_u32 s26, s9, s3
	s_lshl_b32 s6, s14, 3
	v_lshlrev_b64 v[5:6], 2, v[5:6]
	s_ashr_i32 s7, s6, 31
	s_delay_alu instid0(VALU_DEP_2) | instskip(SKIP_1) | instid1(VALU_DEP_3)
	v_add_co_u32 v3, vcc_lo, s19, v3
	v_add_co_ci_u32_e32 v4, vcc_lo, s35, v4, vcc_lo
	v_add_co_u32 v5, vcc_lo, s19, v5
	s_delay_alu instid0(VALU_DEP_4)
	v_add_co_ci_u32_e32 v6, vcc_lo, s35, v6, vcc_lo
	s_lshl_b64 s[6:7], s[6:7], 2
	s_clause 0x1
	global_load_b32 v7, v[3:4], off
	global_load_b32 v8, v[5:6], off
	s_add_u32 s6, s19, s6
	s_addc_u32 s7, s35, s7
	s_or_b32 s8, s16, 32
	s_delay_alu instid0(SALU_CYCLE_1) | instskip(SKIP_2) | instid1(SALU_CYCLE_1)
	s_ashr_i32 s9, s8, 5
	s_cmp_lt_i32 s8, s17
	s_cselect_b32 s8, s9, s4
	s_ashr_i32 s9, s8, 31
	s_delay_alu instid0(SALU_CYCLE_1) | instskip(NEXT) | instid1(SALU_CYCLE_1)
	s_lshl_b64 s[8:9], s[8:9], 2
	s_add_u32 s8, s19, s8
	s_addc_u32 s9, s35, s9
	s_or_b32 s12, s16, 64
	s_delay_alu instid0(SALU_CYCLE_1) | instskip(SKIP_2) | instid1(SALU_CYCLE_1)
	s_ashr_i32 s13, s12, 5
	s_cmp_lt_i32 s12, s17
	s_cselect_b32 s12, s13, s4
	s_ashr_i32 s13, s12, 31
	s_delay_alu instid0(SALU_CYCLE_1) | instskip(NEXT) | instid1(SALU_CYCLE_1)
	s_lshl_b64 s[12:13], s[12:13], 2
	;; [unrolled: 10-line block ×5, first 2 shown]
	s_add_u32 s24, s19, s24
	s_addc_u32 s25, s35, s25
	s_clause 0x5
	s_load_b32 s28, s[6:7], 0x0
	s_load_b32 s29, s[8:9], 0x0
	;; [unrolled: 1-line block ×6, first 2 shown]
	s_mov_b32 s20, 0
	s_or_b32 s6, s16, 0xc0
	s_mov_b32 s21, s20
	s_mov_b32 s22, s20
	;; [unrolled: 1-line block ×6, first 2 shown]
	s_ashr_i32 s7, s6, 5
	s_cmp_lt_i32 s6, s17
	s_cselect_b32 s6, s7, s4
	s_delay_alu instid0(SALU_CYCLE_1)
	s_ashr_i32 s7, s6, 31
	s_waitcnt lgkmcnt(0)
	s_mul_hi_i32 s9, s28, s5
	s_lshl_b64 s[6:7], s[6:7], 2
	s_mul_i32 s8, s28, s5
	s_add_u32 s6, s19, s6
	s_addc_u32 s7, s35, s7
	s_or_b32 s12, s16, 0xe0
	s_mul_hi_i32 s13, s29, s5
	s_mul_i32 s28, s39, s5
	s_waitcnt vmcnt(1)
	v_mad_i64_i32 v[3:4], null, v7, s5, 0
	s_waitcnt vmcnt(0)
	v_mad_i64_i32 v[5:6], null, v8, s5, 0
	s_delay_alu instid0(VALU_DEP_2) | instskip(NEXT) | instid1(VALU_DEP_2)
	v_lshlrev_b64 v[3:4], 1, v[3:4]
	v_lshlrev_b64 v[1:2], 1, v[5:6]
	s_delay_alu instid0(VALU_DEP_2) | instskip(NEXT) | instid1(VALU_DEP_3)
	v_add_co_u32 v3, vcc_lo, s15, v3
	v_add_co_ci_u32_e32 v4, vcc_lo, s26, v4, vcc_lo
	s_delay_alu instid0(VALU_DEP_3) | instskip(NEXT) | instid1(VALU_DEP_4)
	v_add_co_u32 v1, vcc_lo, s15, v1
	v_add_co_ci_u32_e32 v2, vcc_lo, s26, v2, vcc_lo
	s_delay_alu instid0(VALU_DEP_4) | instskip(NEXT) | instid1(VALU_DEP_4)
	v_add_co_u32 v25, vcc_lo, v3, v73
	v_add_co_ci_u32_e32 v26, vcc_lo, v4, v74, vcc_lo
	s_delay_alu instid0(VALU_DEP_4) | instskip(NEXT) | instid1(VALU_DEP_4)
	v_add_co_u32 v27, vcc_lo, v1, v73
	v_add_co_ci_u32_e32 v28, vcc_lo, v2, v74, vcc_lo
	s_clause 0xf
	global_load_b128 v[1:4], v[25:26], off
	global_load_b128 v[5:8], v[25:26], off offset:512
	global_load_b128 v[9:12], v[27:28], off offset:256
	;; [unrolled: 1-line block ×15, first 2 shown]
	s_mov_b32 s26, s20
	v_dual_mov_b32 v130, s27 :: v_dual_lshlrev_b32 v153, 6, v77
	v_mov_b32_e32 v124, s21
	ds_load_b128 v[25:28], v153
	ds_load_b128 v[29:32], v153 offset:1024
	ds_load_b128 v[131:134], v153 offset:2048
	;; [unrolled: 1-line block ×3, first 2 shown]
	v_dual_mov_b32 v129, s26 :: v_dual_mov_b32 v128, s25
	v_dual_mov_b32 v127, s24 :: v_dual_mov_b32 v126, s23
	v_mov_b32_e32 v125, s22
	v_mov_b32_e32 v123, s20
	s_ashr_i32 s15, s12, 5
	s_cmp_lt_i32 s12, s17
	s_mul_i32 s12, s29, s5
	s_cselect_b32 s20, s15, s4
	s_mul_hi_i32 s23, s36, s5
	s_ashr_i32 s21, s20, 31
	s_mul_i32 s22, s36, s5
	s_lshl_b64 s[20:21], s[20:21], 2
	s_mul_hi_i32 s25, s37, s5
	s_add_u32 s20, s19, s20
	s_addc_u32 s21, s35, s21
	s_add_i32 s15, s16, 0x100
	s_mul_i32 s24, s37, s5
	s_ashr_i32 s26, s15, 5
	s_cmp_lt_i32 s15, s17
	s_load_b32 s15, s[6:7], 0x0
	s_cselect_b32 s26, s26, s4
	s_mul_hi_i32 s7, s38, s5
	s_ashr_i32 s27, s26, 31
	s_mul_i32 s6, s38, s5
	s_lshl_b64 s[26:27], s[26:27], 2
	s_mul_hi_i32 s29, s39, s5
	s_add_u32 s26, s19, s26
	s_addc_u32 s27, s35, s27
	s_add_u32 s4, s10, s2
	s_clause 0x1
	s_load_b32 s19, s[20:21], 0x0
	s_load_b32 s26, s[26:27], 0x0
	s_addc_u32 s27, s11, s3
	s_lshl_b64 s[2:3], s[8:9], 1
	s_lshl_b64 s[8:9], s[12:13], 1
	;; [unrolled: 1-line block ×6, first 2 shown]
	s_waitcnt lgkmcnt(0)
	s_mul_hi_i32 s23, s15, s5
	s_mul_i32 s22, s15, s5
	s_delay_alu instid0(SALU_CYCLE_1)
	s_lshl_b64 s[22:23], s[22:23], 1
	s_waitcnt vmcnt(14)
	v_wmma_f32_16x16x16_f16 v[139:146], v[1:8], v[25:32], v[123:130]
	s_waitcnt vmcnt(12)
	v_wmma_f32_16x16x16_f16 v[123:130], v[9:16], v[25:32], v[123:130]
	s_waitcnt vmcnt(10)
	s_delay_alu instid0(VALU_DEP_2) | instskip(SKIP_1) | instid1(VALU_DEP_2)
	v_wmma_f32_16x16x16_f16 v[139:146], v[17:24], v[131:138], v[139:146]
	s_waitcnt vmcnt(8)
	v_wmma_f32_16x16x16_f16 v[123:130], v[83:90], v[131:138], v[123:130]
	v_mbcnt_lo_u32_b32 v132, -1, 0
	s_delay_alu instid0(VALU_DEP_1) | instskip(SKIP_1) | instid1(VALU_DEP_1)
	v_xor_b32_e32 v133, 16, v132
	v_lshlrev_b32_e32 v79, 6, v80
	v_lshl_or_b32 v33, v82, 10, v79
	s_delay_alu instid0(VALU_DEP_1) | instskip(NEXT) | instid1(VALU_DEP_1)
	v_add_co_u32 v154, s4, s4, v33
	v_add_co_ci_u32_e64 v155, null, s27, 0, s4
	s_delay_alu instid0(VALU_DEP_2) | instskip(NEXT) | instid1(VALU_DEP_2)
	v_add_co_u32 v33, vcc_lo, v154, s2
	v_add_co_ci_u32_e32 v34, vcc_lo, s3, v155, vcc_lo
	v_add_co_u32 v35, vcc_lo, v154, s8
	v_add_co_ci_u32_e32 v36, vcc_lo, s9, v155, vcc_lo
	;; [unrolled: 2-line block ×6, first 2 shown]
	s_mul_hi_i32 s3, s19, s5
	s_mul_i32 s2, s19, s5
	v_add_co_u32 v151, vcc_lo, v154, s22
	s_lshl_b64 s[2:3], s[2:3], 1
	v_add_co_ci_u32_e32 v152, vcc_lo, s23, v155, vcc_lo
	v_add_co_u32 v29, vcc_lo, v154, s2
	v_add_co_ci_u32_e32 v30, vcc_lo, s3, v155, vcc_lo
	s_mul_hi_i32 s3, s26, s5
	s_mul_i32 s2, s26, s5
	s_clause 0x7
	global_load_b128 v[65:68], v[33:34], off
	global_load_b128 v[69:72], v[33:34], off offset:16
	global_load_b128 v[57:60], v[35:36], off
	global_load_b128 v[61:64], v[35:36], off offset:16
	;; [unrolled: 2-line block ×4, first 2 shown]
	s_lshl_b64 s[2:3], s[2:3], 1
	s_clause 0x1
	global_load_b128 v[9:12], v[147:148], off
	global_load_b128 v[13:16], v[147:148], off offset:16
	v_add_co_u32 v21, vcc_lo, v154, s2
	v_add_co_ci_u32_e32 v22, vcc_lo, s3, v155, vcc_lo
	s_clause 0x7
	global_load_b128 v[1:4], v[149:150], off
	global_load_b128 v[5:8], v[149:150], off offset:16
	global_load_b128 v[33:36], v[151:152], off
	global_load_b128 v[37:40], v[151:152], off offset:16
	;; [unrolled: 2-line block ×4, first 2 shown]
	ds_load_b128 v[83:86], v153 offset:4096
	ds_load_b128 v[87:90], v153 offset:5120
	v_cmp_gt_i32_e32 vcc_lo, 32, v133
	v_cndmask_b32_e32 v132, v132, v133, vcc_lo
	s_waitcnt vmcnt(24) lgkmcnt(0)
	v_wmma_f32_16x16x16_f16 v[139:146], v[91:98], v[83:90], v[139:146]
	ds_load_b128 v[91:94], v153 offset:6144
	ds_load_b128 v[95:98], v153 offset:7168
	s_waitcnt vmcnt(22)
	v_wmma_f32_16x16x16_f16 v[123:130], v[99:106], v[83:90], v[123:130]
	s_waitcnt vmcnt(0) lgkmcnt(0)
	s_barrier
	buffer_gl0_inv
	v_wmma_f32_16x16x16_f16 v[139:146], v[107:114], v[91:98], v[139:146]
	v_and_b32_e32 v131, 0xe0, v0
	v_wmma_f32_16x16x16_f16 v[123:130], v[115:122], v[91:98], v[123:130]
	s_delay_alu instid0(VALU_DEP_3) | instskip(NEXT) | instid1(VALU_DEP_2)
	v_mul_f32_e32 v98, s18, v139
	v_dual_mul_f32 v106, s18, v129 :: v_dual_add_nc_u32 v131, s16, v131
	v_mul_f32_e32 v97, s18, v140
	s_delay_alu instid0(VALU_DEP_4) | instskip(NEXT) | instid1(VALU_DEP_3)
	v_dual_mul_f32 v95, s18, v142 :: v_dual_mul_f32 v112, s18, v123
	v_or_b32_e32 v131, v131, v78
	v_dual_mul_f32 v96, s18, v141 :: v_dual_mul_f32 v93, s18, v144
	v_mul_f32_e32 v110, s18, v125
	v_mul_f32_e32 v94, s18, v143
	s_delay_alu instid0(VALU_DEP_4)
	v_or_b32_e32 v133, 2, v131
	v_or_b32_e32 v83, 4, v131
	;; [unrolled: 1-line block ×3, first 2 shown]
	v_cmp_gt_i32_e32 vcc_lo, s17, v131
	v_or_b32_e32 v85, 8, v131
	v_cmp_gt_i32_e64 s2, s17, v133
	v_or_b32_e32 v86, 10, v131
	v_cmp_gt_i32_e64 s3, s17, v83
	v_cndmask_b32_e32 v98, 0xff7fffff, v98, vcc_lo
	v_cmp_gt_i32_e64 s4, s17, v84
	v_cndmask_b32_e64 v97, 0xff7fffff, v97, s2
	v_or_b32_e32 v87, 12, v131
	v_or_b32_e32 v88, 14, v131
	v_cndmask_b32_e64 v83, 0xff7fffff, v96, s3
	v_cndmask_b32_e64 v84, 0xff7fffff, v95, s4
	v_max3_f32 v95, v98, 0xff7fffff, v97
	v_cmp_gt_i32_e64 s5, s17, v85
	v_cmp_gt_i32_e64 s6, s17, v86
	v_or_b32_e32 v89, 16, v131
	v_or_b32_e32 v90, 18, v131
	v_dual_mul_f32 v91, s18, v146 :: v_dual_mul_f32 v108, s18, v127
	v_mul_f32_e32 v92, s18, v145
	v_cndmask_b32_e64 v85, 0xff7fffff, v94, s5
	v_cndmask_b32_e64 v86, 0xff7fffff, v93, s6
	v_max3_f32 v83, v95, v83, v84
	v_cmp_gt_i32_e64 s7, s17, v87
	v_cmp_gt_i32_e64 s8, s17, v88
	v_or_b32_e32 v99, 20, v131
	v_or_b32_e32 v100, 22, v131
	v_mul_f32_e32 v111, s18, v124
	v_cndmask_b32_e64 v84, 0xff7fffff, v92, s7
	v_cndmask_b32_e64 v87, 0xff7fffff, v91, s8
	v_max3_f32 v83, v83, v85, v86
	v_cmp_gt_i32_e64 s9, s17, v89
	v_cmp_gt_i32_e64 s10, s17, v90
	v_or_b32_e32 v101, 24, v131
	v_or_b32_e32 v102, 26, v131
	;; [unrolled: 8-line block ×3, first 2 shown]
	v_mul_f32_e32 v107, s18, v128
	v_cndmask_b32_e64 v84, 0xff7fffff, v110, s11
	v_cndmask_b32_e64 v87, 0xff7fffff, v109, s12
	v_max3_f32 v83, v83, v85, v86
	v_cmp_gt_i32_e64 s13, s17, v101
	v_cmp_gt_i32_e64 s15, s17, v102
	v_mul_f32_e32 v105, s18, v130
	v_cmp_gt_i32_e64 s16, s17, v103
	v_max3_f32 v83, v83, v84, v87
	v_cndmask_b32_e64 v85, 0xff7fffff, v108, s13
	v_cndmask_b32_e64 v86, 0xff7fffff, v107, s15
	v_cmp_gt_i32_e64 s17, s17, v104
	v_cndmask_b32_e64 v84, 0xff7fffff, v106, s16
	s_delay_alu instid0(VALU_DEP_3) | instskip(NEXT) | instid1(VALU_DEP_3)
	v_max3_f32 v83, v83, v85, v86
	v_cndmask_b32_e64 v87, 0xff7fffff, v105, s17
	v_lshlrev_b32_e32 v85, 2, v132
	s_delay_alu instid0(VALU_DEP_2) | instskip(SKIP_3) | instid1(VALU_DEP_1)
	v_max3_f32 v83, v83, v84, v87
	ds_bpermute_b32 v84, v85, v83
	s_waitcnt lgkmcnt(0)
	v_max_f32_e32 v84, v84, v84
	v_max_f32_e32 v83, v83, v84
	s_delay_alu instid0(VALU_DEP_1)
	v_fma_f32 v84, s18, v139, -v83
	v_fma_f32 v86, s18, v140, -v83
	;; [unrolled: 1-line block ×5, first 2 shown]
	v_mul_f32_e32 v84, 0x3fb8aa3b, v84
	v_mul_f32_e32 v86, 0x3fb8aa3b, v86
	s_delay_alu instid0(VALU_DEP_3) | instskip(NEXT) | instid1(VALU_DEP_3)
	v_dual_mul_f32 v90, 0x3fb8aa3b, v88 :: v_dual_mul_f32 v89, 0x3fb8aa3b, v89
	v_exp_f32_e32 v84, v84
	v_mul_f32_e32 v87, 0x3fb8aa3b, v87
	s_delay_alu instid0(VALU_DEP_3) | instskip(NEXT) | instid1(VALU_DEP_2)
	v_exp_f32_e32 v86, v86
	v_exp_f32_e32 v92, v90
	;; [unrolled: 1-line block ×3, first 2 shown]
	v_cndmask_b32_e32 v88, 0, v84, vcc_lo
	v_exp_f32_e32 v91, v87
	v_cndmask_b32_e64 v87, 0, v86, s2
	s_delay_alu instid0(TRANS32_DEP_3) | instskip(SKIP_4) | instid1(VALU_DEP_1)
	v_cndmask_b32_e64 v89, 0, v92, s4
	s_waitcnt_depctr 0xfff
	v_cndmask_b32_e64 v92, 0, v94, s5
	v_add_f32_e32 v86, 0, v88
	s_mov_b32 s2, exec_lo
	v_add_f32_e32 v86, v86, v87
	v_cndmask_b32_e64 v90, 0, v91, s3
	s_delay_alu instid0(VALU_DEP_1) | instskip(NEXT) | instid1(VALU_DEP_1)
	v_add_f32_e32 v86, v86, v90
	v_add_f32_e32 v86, v86, v89
	v_fma_f32 v84, s18, v144, -v83
	v_fma_f32 v93, s18, v145, -v83
	;; [unrolled: 1-line block ×5, first 2 shown]
	s_delay_alu instid0(VALU_DEP_4) | instskip(NEXT) | instid1(VALU_DEP_4)
	v_dual_mul_f32 v84, 0x3fb8aa3b, v84 :: v_dual_mul_f32 v93, 0x3fb8aa3b, v93
	v_mul_f32_e32 v91, 0x3fb8aa3b, v91
	v_fma_f32 v98, s18, v126, -v83
	v_fma_f32 v99, s18, v127, -v83
	s_delay_alu instid0(VALU_DEP_4) | instskip(SKIP_2) | instid1(VALU_DEP_2)
	v_exp_f32_e32 v84, v84
	v_fma_f32 v100, s18, v128, -v83
	v_exp_f32_e32 v96, v91
	v_dual_mul_f32 v98, 0x3fb8aa3b, v98 :: v_dual_mul_f32 v99, 0x3fb8aa3b, v99
	s_delay_alu instid0(VALU_DEP_2) | instskip(NEXT) | instid1(VALU_DEP_2)
	v_mul_f32_e32 v100, 0x3fb8aa3b, v100
	v_exp_f32_e32 v101, v98
	s_delay_alu instid0(VALU_DEP_2)
	v_exp_f32_e32 v99, v99
	v_cndmask_b32_e64 v91, 0, v84, s6
	v_add_f32_e32 v84, v86, v92
	v_exp_f32_e32 v93, v93
	v_fma_f32 v86, s18, v125, -v83
	v_mul_f32_e32 v97, 0x3fb8aa3b, v94
	v_exp_f32_e32 v102, v100
	v_add_f32_e32 v84, v84, v91
	s_delay_alu instid0(VALU_DEP_3) | instskip(NEXT) | instid1(VALU_DEP_3)
	v_mul_f32_e32 v86, 0x3fb8aa3b, v86
	v_exp_f32_e32 v97, v97
	v_cndmask_b32_e64 v100, 0, v99, s13
	s_delay_alu instid0(TRANS32_DEP_3) | instskip(SKIP_3) | instid1(TRANS32_DEP_3)
	v_cndmask_b32_e64 v94, 0, v93, s7
	v_mul_f32_e32 v95, 0x3fb8aa3b, v95
	v_cndmask_b32_e64 v93, 0, v96, s8
	v_exp_f32_e32 v86, v86
	v_cndmask_b32_e64 v99, 0, v102, s15
	v_add_f32_e32 v84, v84, v94
	v_exp_f32_e32 v95, v95
	s_delay_alu instid0(VALU_DEP_1)
	v_add_f32_e32 v84, v84, v93
	s_waitcnt_depctr 0xfff
	v_cndmask_b32_e64 v98, 0, v86, s11
	v_cndmask_b32_e64 v96, 0, v95, s9
	;; [unrolled: 1-line block ×3, first 2 shown]
	v_fma_f32 v97, s18, v129, -v83
	s_delay_alu instid0(VALU_DEP_1) | instskip(SKIP_3) | instid1(VALU_DEP_4)
	v_mul_f32_e32 v86, 0x3fb8aa3b, v97
	v_cndmask_b32_e64 v97, 0, v101, s12
	v_fma_f32 v101, s18, v130, -v83
	v_add_f32_e32 v84, v84, v96
	v_exp_f32_e32 v86, v86
	s_delay_alu instid0(VALU_DEP_1) | instskip(NEXT) | instid1(VALU_DEP_1)
	v_dual_mul_f32 v101, 0x3fb8aa3b, v101 :: v_dual_add_f32 v84, v84, v95
	v_exp_f32_e32 v101, v101
	s_delay_alu instid0(VALU_DEP_1) | instskip(SKIP_4) | instid1(VALU_DEP_2)
	v_add_f32_e32 v84, v84, v98
	s_waitcnt_depctr 0xfff
	v_cndmask_b32_e64 v102, 0, v86, s16
	v_add_f32_e32 v84, v84, v97
	v_cndmask_b32_e64 v101, 0, v101, s17
	v_add_f32_e32 v84, v84, v100
	s_delay_alu instid0(VALU_DEP_1) | instskip(NEXT) | instid1(VALU_DEP_1)
	v_add_f32_e32 v84, v84, v99
	v_add_f32_e32 v84, v84, v102
	s_delay_alu instid0(VALU_DEP_1)
	v_add_f32_e32 v84, v84, v101
	ds_bpermute_b32 v85, v85, v84
	v_cmpx_gt_u32_e32 16, v81
	s_cbranch_execz .LBB191_14
; %bb.13:
	v_mul_u32_u24_e32 v81, 0x44, v82
	s_waitcnt lgkmcnt(0)
	v_add_f32_e32 v84, v84, v85
	s_delay_alu instid0(VALU_DEP_2) | instskip(NEXT) | instid1(VALU_DEP_1)
	v_lshl_add_u32 v81, v80, 2, v81
	v_add_nc_u32_e32 v81, 0x4000, v81
	ds_store_2addr_b32 v81, v83, v84 offset1:136
.LBB191_14:
	s_or_b32 exec_lo, exec_lo, s2
	v_lshlrev_b32_e32 v80, 2, v80
	s_load_b32 s35, s[0:1], 0x94
	s_waitcnt lgkmcnt(0)
	s_barrier
	buffer_gl0_inv
	v_add_nc_u32_e32 v109, 0x4000, v80
	v_cmp_eq_u32_e32 vcc_lo, 1, v82
	v_cmp_eq_u32_e64 s2, 2, v82
	v_cmp_eq_u32_e64 s3, 3, v82
	;; [unrolled: 1-line block ×3, first 2 shown]
	ds_load_2addr_b32 v[80:81], v109 offset1:17
	ds_load_2addr_b32 v[83:84], v109 offset0:34 offset1:51
	ds_load_2addr_b32 v[103:104], v109 offset0:68 offset1:85
	;; [unrolled: 1-line block ×3, first 2 shown]
	v_cmp_eq_u32_e64 s5, 7, v82
	s_waitcnt lgkmcnt(3)
	v_max3_f32 v85, v80, 0xff7fffff, v81
	s_waitcnt lgkmcnt(2)
	s_delay_alu instid0(VALU_DEP_1) | instskip(SKIP_1) | instid1(VALU_DEP_1)
	v_max3_f32 v85, v85, v83, v84
	s_waitcnt lgkmcnt(1)
	v_max3_f32 v85, v85, v103, v104
	s_waitcnt lgkmcnt(0)
	s_delay_alu instid0(VALU_DEP_1) | instskip(NEXT) | instid1(VALU_DEP_1)
	v_max3_f32 v85, v85, v105, v106
	v_sub_f32_e32 v80, v80, v85
	ds_load_2addr_b32 v[107:108], v109 offset0:136 offset1:153
	v_sub_f32_e32 v83, v83, v85
	v_sub_f32_e32 v111, v84, v85
	;; [unrolled: 1-line block ×3, first 2 shown]
	v_mul_f32_e32 v110, 0x3fb8aa3b, v80
	ds_load_2addr_b32 v[80:81], v109 offset0:170 offset1:187
	v_mul_f32_e32 v112, 0x3fb8aa3b, v83
	ds_load_2addr_b32 v[83:84], v109 offset0:204 offset1:221
	v_dual_mul_f32 v111, 0x3fb8aa3b, v111 :: v_dual_mul_f32 v86, 0x3fb8aa3b, v86
	v_sub_f32_e32 v103, v103, v85
	v_exp_f32_e32 v110, v110
	v_sub_f32_e32 v105, v105, v85
	s_delay_alu instid0(VALU_DEP_3) | instskip(SKIP_1) | instid1(VALU_DEP_1)
	v_exp_f32_e32 v111, v111
	v_exp_f32_e32 v113, v86
	v_dual_mul_f32 v114, 0x3fb8aa3b, v103 :: v_dual_mul_f32 v105, 0x3fb8aa3b, v105
	s_waitcnt lgkmcnt(2)
	s_delay_alu instid0(TRANS32_DEP_3)
	v_fma_f32 v86, v110, v107, 0
	v_sub_f32_e32 v107, v104, v85
	v_exp_f32_e32 v112, v112
	ds_load_2addr_b32 v[103:104], v109 offset0:238 offset1:255
	s_waitcnt lgkmcnt(0)
	v_dual_fmac_f32 v86, v113, v108 :: v_dual_mul_f32 v107, 0x3fb8aa3b, v107
	v_exp_f32_e32 v108, v114
	s_barrier
	buffer_gl0_inv
	v_exp_f32_e32 v105, v105
	v_fmac_f32_e32 v86, v112, v80
	v_sub_f32_e32 v80, v106, v85
	v_exp_f32_e32 v106, v107
	s_delay_alu instid0(VALU_DEP_2) | instskip(NEXT) | instid1(VALU_DEP_2)
	v_fmac_f32_e32 v86, v111, v81
	v_dual_mul_f32 v80, 0x3fb8aa3b, v80 :: v_dual_cndmask_b32 v81, v110, v113
	s_delay_alu instid0(VALU_DEP_2) | instskip(NEXT) | instid1(VALU_DEP_2)
	v_fmac_f32_e32 v86, v108, v83
	v_exp_f32_e32 v107, v80
	s_waitcnt_depctr 0xfff
	v_fmac_f32_e32 v86, v106, v84
	s_delay_alu instid0(VALU_DEP_1) | instskip(NEXT) | instid1(VALU_DEP_1)
	v_fmac_f32_e32 v86, v105, v103
	v_fmac_f32_e32 v86, v107, v104
	s_delay_alu instid0(VALU_DEP_1) | instskip(NEXT) | instid1(VALU_DEP_1)
	v_add_f32_e32 v103, 0x358637bd, v86
	v_div_scale_f32 v104, null, v103, v103, 1.0
	v_div_scale_f32 v110, vcc_lo, 1.0, v103, 1.0
	s_delay_alu instid0(VALU_DEP_2) | instskip(SKIP_2) | instid1(VALU_DEP_1)
	v_rcp_f32_e32 v109, v104
	s_waitcnt_depctr 0xfff
	v_fma_f32 v80, -v104, v109, 1.0
	v_fmac_f32_e32 v109, v80, v109
	v_cndmask_b32_e64 v80, v81, v112, s2
	v_cmp_eq_u32_e64 s2, 4, v82
	v_lshl_or_b32 v81, v82, 11, v79
	s_delay_alu instid0(VALU_DEP_4) | instskip(NEXT) | instid1(VALU_DEP_4)
	v_mul_f32_e32 v112, v110, v109
	v_cndmask_b32_e64 v83, v80, v111, s3
	v_cmp_eq_u32_e64 s3, 6, v82
	v_lshlrev_b32_e32 v80, 2, v78
	v_lshl_or_b32 v78, v78, 4, v81
	v_fma_f32 v84, -v104, v112, v110
	v_cndmask_b32_e64 v83, v83, v108, s2
	s_delay_alu instid0(VALU_DEP_4) | instskip(SKIP_1) | instid1(VALU_DEP_4)
	v_or_b32_e32 v82, 1, v80
	v_cmp_eq_u32_e64 s2, 1, v80
	v_fmac_f32_e32 v112, v84, v109
	s_delay_alu instid0(VALU_DEP_4)
	v_cndmask_b32_e64 v106, v83, v106, s4
	v_or_b32_e32 v84, 2, v80
	v_or_b32_e32 v83, 3, v80
	v_cmp_eq_u32_e64 s8, 1, v82
	v_fma_f32 v104, -v104, v112, v110
	v_cndmask_b32_e64 v105, v106, v105, s3
	v_cmp_eq_u32_e64 s9, 1, v84
	v_cmp_eq_u32_e64 s10, 1, v83
	;; [unrolled: 1-line block ×3, first 2 shown]
	v_div_fmas_f32 v104, v104, v109, v112
	v_cndmask_b32_e64 v105, v105, v107, s5
	v_cmp_eq_u32_e32 vcc_lo, 2, v80
	v_cmp_eq_u32_e64 s13, 2, v84
	v_cmp_eq_u32_e64 s15, 2, v83
	v_div_fixup_f32 v103, v104, v103, 1.0
	v_cmp_eq_u32_e64 s17, 3, v83
	v_cmp_eq_u32_e64 s3, 3, v80
	;; [unrolled: 1-line block ×4, first 2 shown]
	v_mul_f32_e32 v111, v105, v103
	v_cmp_eq_u32_e64 s21, 4, v83
	v_cmp_eq_u32_e64 s4, 4, v80
	;; [unrolled: 1-line block ×4, first 2 shown]
	v_fma_mixlo_f16 v103, v111, v88, 0
	v_fma_mixlo_f16 v104, v111, v90, 0
	;; [unrolled: 1-line block ×8, first 2 shown]
	v_fma_mixhi_f16 v103, v111, v87, 0
	v_fma_mixhi_f16 v104, v111, v89, 0
	;; [unrolled: 1-line block ×8, first 2 shown]
	ds_store_b128 v78, v[103:106]
	ds_store_b128 v78, v[107:110] offset:1024
	s_waitcnt lgkmcnt(0)
	s_barrier
	buffer_gl0_inv
	ds_load_b128 v[87:90], v81
	ds_load_b128 v[91:94], v81 offset:16
	ds_load_b128 v[95:98], v81 offset:1024
	ds_load_b128 v[99:102], v81 offset:1040
	v_cmp_eq_u32_e64 s23, 5, v83
	v_cmp_eq_u32_e64 s5, 5, v80
	;; [unrolled: 1-line block ×12, first 2 shown]
	s_waitcnt lgkmcnt(3)
	v_lshrrev_b32_e32 v103, 16, v87
	s_waitcnt lgkmcnt(2)
	v_lshrrev_b32_e32 v107, 16, v91
	;; [unrolled: 2-line block ×4, first 2 shown]
	v_lshrrev_b32_e32 v104, 16, v88
	v_cndmask_b32_e64 v119, v87, v103, s2
	v_cndmask_b32_e64 v120, v91, v107, s2
	;; [unrolled: 1-line block ×8, first 2 shown]
	v_lshrrev_b32_e32 v108, 16, v92
	v_cndmask_b32_e64 v103, v95, v111, s2
	v_cndmask_b32_e64 v107, v99, v115, s2
	;; [unrolled: 1-line block ×5, first 2 shown]
	v_cndmask_b32_e32 v111, v119, v88, vcc_lo
	v_cndmask_b32_e64 v119, v121, v88, s11
	v_cndmask_b32_e64 v121, v123, v88, s13
	;; [unrolled: 1-line block ×4, first 2 shown]
	v_lshrrev_b32_e32 v112, 16, v96
	v_lshrrev_b32_e32 v116, 16, v100
	v_cndmask_b32_e64 v126, v99, v115, s8
	v_cndmask_b32_e64 v128, v99, v115, s9
	;; [unrolled: 1-line block ×3, first 2 shown]
	v_cndmask_b32_e32 v115, v120, v92, vcc_lo
	v_cndmask_b32_e64 v120, v122, v92, s11
	v_cndmask_b32_e64 v122, v124, v92, s13
	v_cndmask_b32_e32 v91, v103, v96, vcc_lo
	v_cndmask_b32_e32 v92, v107, v100, vcc_lo
	v_cndmask_b32_e64 v103, v125, v96, s11
	v_cndmask_b32_e64 v87, v87, v104, s17
	;; [unrolled: 1-line block ×3, first 2 shown]
	v_lshrrev_b32_e32 v105, 16, v89
	v_lshrrev_b32_e32 v109, 16, v93
	v_cndmask_b32_e64 v107, v127, v96, s13
	v_cndmask_b32_e64 v95, v95, v96, s15
	;; [unrolled: 1-line block ×14, first 2 shown]
	v_lshrrev_b32_e32 v113, 16, v97
	v_cndmask_b32_e64 v99, v99, v89, s4
	v_cndmask_b32_e64 v104, v111, v93, s4
	;; [unrolled: 1-line block ×11, first 2 shown]
	v_lshrrev_b32_e32 v106, 16, v90
	v_lshrrev_b32_e32 v110, 16, v94
	v_cndmask_b32_e64 v93, v99, v105, s5
	v_cndmask_b32_e64 v99, v104, v109, s5
	;; [unrolled: 1-line block ×9, first 2 shown]
	v_lshrrev_b32_e32 v114, 16, v98
	v_cndmask_b32_e64 v89, v89, v113, s5
	v_cndmask_b32_e64 v93, v93, v90, s6
	;; [unrolled: 1-line block ×19, first 2 shown]
	v_perm_b32 v90, v88, v87, 0x5040100
	v_cndmask_b32_e64 v87, v126, v100, s11
	v_cndmask_b32_e64 v105, v89, v114, s7
	v_perm_b32 v89, v103, v99, 0x5040100
	v_perm_b32 v88, v104, v94, 0x5040100
	v_cndmask_b32_e64 v94, v107, v112, s16
	v_cndmask_b32_e64 v95, v95, v112, s17
	;; [unrolled: 1-line block ×5, first 2 shown]
	v_lshrrev_b32_e32 v117, 16, v101
	v_cndmask_b32_e64 v94, v94, v97, s20
	v_cndmask_b32_e64 v95, v95, v97, s21
	;; [unrolled: 1-line block ×11, first 2 shown]
	v_lshrrev_b32_e32 v118, 16, v102
	v_cndmask_b32_e64 v91, v91, v102, s6
	v_cndmask_b32_e64 v94, v94, v98, s25
	;; [unrolled: 1-line block ×12, first 2 shown]
	v_perm_b32 v87, v93, v92, 0x5040100
	v_perm_b32 v94, v95, v94, 0x5040100
	;; [unrolled: 1-line block ×5, first 2 shown]
	s_lshl_b32 s6, s34, 1
	s_mov_b32 s2, exec_lo
	ds_store_b128 v78, v[87:90]
	ds_store_b128 v78, v[91:94] offset:1024
	v_cmpx_gt_u32_e32 2, v0
	s_cbranch_execz .LBB191_16
; %bb.15:
	v_or_b32_e32 v87, s33, v0
	s_load_b128 s[8:11], s[0:1], 0x58
	s_delay_alu instid0(VALU_DEP_1) | instskip(NEXT) | instid1(VALU_DEP_1)
	v_mad_u64_u32 v[88:89], null, s6, s30, v[87:88]
	v_mad_u64_u32 v[89:90], null, v88, s35, s[14:15]
	s_delay_alu instid0(VALU_DEP_1) | instskip(NEXT) | instid1(VALU_DEP_1)
	v_ashrrev_i32_e32 v90, 31, v89
	v_lshlrev_b64 v[87:88], 2, v[89:90]
	s_waitcnt lgkmcnt(0)
	s_delay_alu instid0(VALU_DEP_1) | instskip(NEXT) | instid1(VALU_DEP_2)
	v_add_co_u32 v89, vcc_lo, s10, v87
	v_add_co_ci_u32_e32 v90, vcc_lo, s11, v88, vcc_lo
	v_add_co_u32 v87, vcc_lo, s8, v87
	v_add_co_ci_u32_e32 v88, vcc_lo, s9, v88, vcc_lo
	global_store_b32 v[89:90], v85, off
	global_store_b32 v[87:88], v86, off
.LBB191_16:
	s_or_b32 exec_lo, exec_lo, s2
	s_waitcnt lgkmcnt(0)
	s_waitcnt_vscnt null, 0x0
	s_barrier
	buffer_gl0_inv
	ds_load_b128 v[93:96], v79
	ds_load_b128 v[97:100], v79 offset:16
	ds_load_b128 v[105:108], v79 offset:1040
	;; [unrolled: 1-line block ×5, first 2 shown]
	v_cmp_eq_u32_e32 vcc_lo, 1, v84
	v_mov_b32_e32 v85, 0
	ds_load_b128 v[121:124], v79 offset:3088
	ds_load_b128 v[117:120], v79 offset:3072
	;; [unrolled: 1-line block ×4, first 2 shown]
	v_cmp_eq_u32_e64 s2, 1, v80
	v_cmp_eq_u32_e64 s3, 1, v83
	;; [unrolled: 1-line block ×3, first 2 shown]
	v_mov_b32_e32 v86, v85
	v_mov_b32_e32 v87, v85
	;; [unrolled: 1-line block ×7, first 2 shown]
	v_cmp_eq_u32_e64 s5, 2, v80
	s_waitcnt lgkmcnt(8)
	s_delay_alu instid0(VALU_DEP_2)
	v_wmma_f32_16x16x16_f16 v[85:92], v[65:72], v[93:100], v[85:92]
	ds_load_b128 v[69:72], v79 offset:5136
	ds_load_b128 v[65:68], v79 offset:5120
	ds_load_b128 v[97:100], v79 offset:6160
	ds_load_b128 v[93:96], v79 offset:6144
	s_waitcnt lgkmcnt(10)
	v_wmma_f32_16x16x16_f16 v[85:92], v[57:64], v[101:108], v[85:92]
	s_waitcnt lgkmcnt(8)
	s_delay_alu instid0(VALU_DEP_1)
	v_wmma_f32_16x16x16_f16 v[85:92], v[57:64], v[109:116], v[85:92]
	ds_load_b128 v[61:64], v79 offset:7184
	ds_load_b128 v[57:60], v79 offset:7168
	;; [unrolled: 1-line block ×4, first 2 shown]
	s_waitcnt lgkmcnt(10)
	v_wmma_f32_16x16x16_f16 v[85:92], v[49:56], v[117:124], v[85:92]
	s_waitcnt lgkmcnt(8)
	s_delay_alu instid0(VALU_DEP_1)
	v_wmma_f32_16x16x16_f16 v[85:92], v[49:56], v[125:132], v[85:92]
	ds_load_b128 v[53:56], v79 offset:9232
	ds_load_b128 v[49:52], v79 offset:9216
	s_waitcnt lgkmcnt(8)
	v_wmma_f32_16x16x16_f16 v[85:92], v[41:48], v[65:72], v[85:92]
	ds_load_b128 v[69:72], v79 offset:10256
	ds_load_b128 v[65:68], v79 offset:10240
	s_waitcnt lgkmcnt(8)
	;; [unrolled: 4-line block ×7, first 2 shown]
	s_barrier
	buffer_gl0_inv
	v_wmma_f32_16x16x16_f16 v[85:92], v[33:40], v[41:48], v[85:92]
	s_delay_alu instid0(VALU_DEP_1) | instskip(NEXT) | instid1(VALU_DEP_1)
	v_wmma_f32_16x16x16_f16 v[85:92], v[33:40], v[57:64], v[85:92]
	v_wmma_f32_16x16x16_f16 v[85:92], v[25:32], v[9:16], v[85:92]
	s_delay_alu instid0(VALU_DEP_1) | instskip(NEXT) | instid1(VALU_DEP_1)
	v_wmma_f32_16x16x16_f16 v[85:92], v[25:32], v[49:56], v[85:92]
	v_wmma_f32_16x16x16_f16 v[85:92], v[17:24], v[1:8], v[85:92]
	s_delay_alu instid0(VALU_DEP_1) | instskip(NEXT) | instid1(VALU_DEP_2)
	v_cvt_f16_f32_e32 v1, v85
	v_cvt_f16_f32_e32 v2, v86
	s_delay_alu instid0(VALU_DEP_3) | instskip(NEXT) | instid1(VALU_DEP_4)
	v_cvt_f16_f32_e32 v3, v87
	v_cvt_f16_f32_e32 v4, v88
	;; [unrolled: 1-line block ×6, first 2 shown]
	v_pack_b32_f16 v1, v1, v2
	v_pack_b32_f16 v2, v3, v4
	;; [unrolled: 1-line block ×3, first 2 shown]
	s_delay_alu instid0(VALU_DEP_4)
	v_pack_b32_f16 v4, v7, v8
	ds_store_b128 v78, v[1:4]
	s_waitcnt lgkmcnt(0)
	s_barrier
	buffer_gl0_inv
	ds_load_b128 v[1:4], v81
	ds_load_b128 v[5:8], v81 offset:16
	s_waitcnt lgkmcnt(1)
	v_lshrrev_b32_e32 v9, 16, v1
	s_waitcnt lgkmcnt(0)
	v_lshrrev_b32_e32 v13, 16, v5
	v_lshrrev_b32_e32 v15, 16, v7
	;; [unrolled: 1-line block ×4, first 2 shown]
	v_cndmask_b32_e64 v17, v1, v9, s2
	v_cndmask_b32_e64 v18, v5, v13, s2
	;; [unrolled: 1-line block ×3, first 2 shown]
	v_cmp_eq_u32_e64 s2, 2, v82
	v_cndmask_b32_e64 v20, v5, v13, s4
	v_cndmask_b32_e32 v21, v1, v9, vcc_lo
	v_cndmask_b32_e32 v22, v5, v13, vcc_lo
	v_cndmask_b32_e64 v1, v1, v9, s3
	v_cndmask_b32_e64 v5, v5, v13, s3
	v_cmp_eq_u32_e32 vcc_lo, 2, v84
	v_cmp_eq_u32_e64 s3, 2, v83
	v_cndmask_b32_e64 v9, v17, v2, s5
	v_cndmask_b32_e64 v13, v18, v6, s5
	;; [unrolled: 1-line block ×4, first 2 shown]
	v_cndmask_b32_e32 v19, v21, v2, vcc_lo
	v_cmp_eq_u32_e64 s2, 3, v84
	v_cndmask_b32_e32 v20, v22, v6, vcc_lo
	v_cndmask_b32_e64 v1, v1, v2, s3
	v_cmp_eq_u32_e32 vcc_lo, 3, v83
	v_cmp_eq_u32_e64 s4, 3, v80
	v_cndmask_b32_e64 v2, v5, v6, s3
	v_cmp_eq_u32_e64 s3, 3, v82
	v_lshrrev_b32_e32 v16, 16, v8
	v_cmp_eq_u32_e64 s5, 4, v80
	v_cndmask_b32_e64 v5, v9, v10, s4
	v_cndmask_b32_e64 v6, v13, v14, s4
	;; [unrolled: 1-line block ×3, first 2 shown]
	v_cmp_eq_u32_e64 s4, 4, v82
	v_cndmask_b32_e64 v13, v18, v14, s3
	v_cndmask_b32_e64 v17, v19, v10, s2
	;; [unrolled: 1-line block ×3, first 2 shown]
	v_cndmask_b32_e32 v1, v1, v10, vcc_lo
	v_cndmask_b32_e32 v2, v2, v14, vcc_lo
	v_cmp_eq_u32_e32 vcc_lo, 4, v84
	v_cmp_eq_u32_e64 s3, 4, v83
	v_lshrrev_b32_e32 v11, 16, v3
	v_cndmask_b32_e64 v5, v5, v3, s5
	v_cndmask_b32_e64 v6, v6, v7, s5
	;; [unrolled: 1-line block ×4, first 2 shown]
	v_cndmask_b32_e32 v13, v17, v3, vcc_lo
	v_cmp_eq_u32_e64 s2, 5, v84
	v_cndmask_b32_e32 v14, v18, v7, vcc_lo
	v_cndmask_b32_e64 v1, v1, v3, s3
	v_cmp_eq_u32_e32 vcc_lo, 5, v83
	v_cmp_eq_u32_e64 s4, 5, v80
	v_cndmask_b32_e64 v2, v2, v7, s3
	v_cmp_eq_u32_e64 s3, 5, v82
	v_cmp_eq_u32_e64 s5, 6, v80
	v_cndmask_b32_e32 v1, v1, v11, vcc_lo
	v_cndmask_b32_e64 v3, v5, v11, s4
	v_cndmask_b32_e64 v5, v6, v15, s4
	;; [unrolled: 1-line block ×3, first 2 shown]
	v_cmp_eq_u32_e64 s4, 6, v82
	v_cndmask_b32_e64 v7, v10, v15, s3
	v_cndmask_b32_e64 v9, v13, v11, s2
	;; [unrolled: 1-line block ×3, first 2 shown]
	v_cndmask_b32_e32 v2, v2, v15, vcc_lo
	v_cmp_eq_u32_e32 vcc_lo, 6, v84
	v_cmp_eq_u32_e64 s2, 6, v83
	v_lshrrev_b32_e32 v12, 16, v4
	v_cndmask_b32_e64 v3, v3, v4, s5
	v_cndmask_b32_e64 v5, v5, v8, s5
	;; [unrolled: 1-line block ×4, first 2 shown]
	v_cndmask_b32_e32 v9, v9, v4, vcc_lo
	v_cmp_eq_u32_e64 s3, 7, v84
	v_cndmask_b32_e32 v10, v10, v8, vcc_lo
	v_cndmask_b32_e64 v1, v1, v4, s2
	v_cmp_eq_u32_e32 vcc_lo, 7, v83
	v_cndmask_b32_e64 v2, v2, v8, s2
	v_cmp_eq_u32_e64 s2, 7, v80
	v_cmp_eq_u32_e64 s4, 7, v82
	v_cndmask_b32_e32 v1, v1, v12, vcc_lo
	s_delay_alu instid0(VALU_DEP_4) | instskip(NEXT) | instid1(VALU_DEP_4)
	v_cndmask_b32_e32 v2, v2, v16, vcc_lo
	v_cndmask_b32_e64 v8, v3, v12, s2
	s_delay_alu instid0(VALU_DEP_4)
	v_cndmask_b32_e64 v6, v6, v12, s4
	v_cndmask_b32_e64 v3, v9, v12, s3
	v_cndmask_b32_e64 v9, v10, v16, s3
	v_cndmask_b32_e64 v7, v7, v16, s4
	v_cndmask_b32_e64 v5, v5, v16, s2
	v_perm_b32 v4, v2, v1, 0x5040100
	s_delay_alu instid0(VALU_DEP_4) | instskip(NEXT) | instid1(VALU_DEP_4)
	v_perm_b32 v3, v9, v3, 0x5040100
	v_perm_b32 v2, v7, v6, 0x5040100
	s_delay_alu instid0(VALU_DEP_4)
	v_perm_b32 v1, v5, v8, 0x5040100
	ds_store_b128 v78, v[1:4]
	s_waitcnt lgkmcnt(0)
	s_barrier
	buffer_gl0_inv
	s_and_saveexec_b32 s2, s31
	s_cbranch_execz .LBB191_2
; %bb.17:
	s_load_b64 s[0:1], s[0:1], 0x68
	v_lshlrev_b32_e32 v0, 10, v0
	s_lshl_b32 s2, s35, 6
	v_lshlrev_b32_e32 v1, 4, v77
	v_mul_lo_u32 v4, s2, v76
	s_mul_i32 s3, s2, s30
	v_and_b32_e32 v0, 0x3800, v0
	s_mul_i32 s2, s3, s6
	s_delay_alu instid0(SALU_CYCLE_1) | instskip(NEXT) | instid1(VALU_DEP_1)
	s_ashr_i32 s3, s2, 31
	v_or3_b32 v0, v0, v75, v1
	s_lshl_b64 s[2:3], s[2:3], 1
	s_delay_alu instid0(VALU_DEP_3)
	v_ashrrev_i32_e32 v5, 31, v4
	ds_load_b128 v[0:3], v0
	v_lshlrev_b64 v[4:5], 1, v[4:5]
	s_waitcnt lgkmcnt(0)
	s_add_u32 s2, s0, s2
	s_addc_u32 s3, s1, s3
	s_lshl_b32 s0, s14, 6
	s_delay_alu instid0(SALU_CYCLE_1) | instskip(NEXT) | instid1(SALU_CYCLE_1)
	s_ashr_i32 s1, s0, 31
	s_lshl_b64 s[0:1], s[0:1], 1
	s_delay_alu instid0(SALU_CYCLE_1) | instskip(SKIP_3) | instid1(VALU_DEP_2)
	s_add_u32 s0, s2, s0
	s_addc_u32 s1, s3, s1
	v_add_co_u32 v4, vcc_lo, s0, v4
	v_add_co_ci_u32_e32 v5, vcc_lo, s1, v5, vcc_lo
	v_add_co_u32 v4, vcc_lo, v4, v73
	s_delay_alu instid0(VALU_DEP_2)
	v_add_co_ci_u32_e32 v5, vcc_lo, v5, v74, vcc_lo
	global_store_b128 v[4:5], v[0:3], off
	s_nop 0
	s_sendmsg sendmsg(MSG_DEALLOC_VGPRS)
	s_endpgm
	.section	.rodata,"a",@progbits
	.p2align	6, 0x0
	.amdhsa_kernel _Z39paged_attention_ll4mi_QKV_mfma16_kernelIDF16_DF16_LN4vllm18Fp8KVCacheDataTypeE0EDF16_Li32ELi64ELi256ELb0ELi2EL8MFMAType0EEvPKT_PKT0_S8_ifPKiSA_SA_iPKfiiiPfSD_PS3_PT2_iSC_SC_
		.amdhsa_group_segment_fixed_size 17472
		.amdhsa_private_segment_fixed_size 0
		.amdhsa_kernarg_size 400
		.amdhsa_user_sgpr_count 13
		.amdhsa_user_sgpr_dispatch_ptr 0
		.amdhsa_user_sgpr_queue_ptr 0
		.amdhsa_user_sgpr_kernarg_segment_ptr 1
		.amdhsa_user_sgpr_dispatch_id 0
		.amdhsa_user_sgpr_private_segment_size 0
		.amdhsa_wavefront_size32 1
		.amdhsa_uses_dynamic_stack 0
		.amdhsa_enable_private_segment 0
		.amdhsa_system_sgpr_workgroup_id_x 1
		.amdhsa_system_sgpr_workgroup_id_y 1
		.amdhsa_system_sgpr_workgroup_id_z 1
		.amdhsa_system_sgpr_workgroup_info 0
		.amdhsa_system_vgpr_workitem_id 0
		.amdhsa_next_free_vgpr 156
		.amdhsa_next_free_sgpr 40
		.amdhsa_reserve_vcc 1
		.amdhsa_float_round_mode_32 0
		.amdhsa_float_round_mode_16_64 0
		.amdhsa_float_denorm_mode_32 3
		.amdhsa_float_denorm_mode_16_64 3
		.amdhsa_dx10_clamp 1
		.amdhsa_ieee_mode 1
		.amdhsa_fp16_overflow 0
		.amdhsa_workgroup_processor_mode 1
		.amdhsa_memory_ordered 1
		.amdhsa_forward_progress 0
		.amdhsa_shared_vgpr_count 0
		.amdhsa_exception_fp_ieee_invalid_op 0
		.amdhsa_exception_fp_denorm_src 0
		.amdhsa_exception_fp_ieee_div_zero 0
		.amdhsa_exception_fp_ieee_overflow 0
		.amdhsa_exception_fp_ieee_underflow 0
		.amdhsa_exception_fp_ieee_inexact 0
		.amdhsa_exception_int_div_zero 0
	.end_amdhsa_kernel
	.section	.text._Z39paged_attention_ll4mi_QKV_mfma16_kernelIDF16_DF16_LN4vllm18Fp8KVCacheDataTypeE0EDF16_Li32ELi64ELi256ELb0ELi2EL8MFMAType0EEvPKT_PKT0_S8_ifPKiSA_SA_iPKfiiiPfSD_PS3_PT2_iSC_SC_,"axG",@progbits,_Z39paged_attention_ll4mi_QKV_mfma16_kernelIDF16_DF16_LN4vllm18Fp8KVCacheDataTypeE0EDF16_Li32ELi64ELi256ELb0ELi2EL8MFMAType0EEvPKT_PKT0_S8_ifPKiSA_SA_iPKfiiiPfSD_PS3_PT2_iSC_SC_,comdat
.Lfunc_end191:
	.size	_Z39paged_attention_ll4mi_QKV_mfma16_kernelIDF16_DF16_LN4vllm18Fp8KVCacheDataTypeE0EDF16_Li32ELi64ELi256ELb0ELi2EL8MFMAType0EEvPKT_PKT0_S8_ifPKiSA_SA_iPKfiiiPfSD_PS3_PT2_iSC_SC_, .Lfunc_end191-_Z39paged_attention_ll4mi_QKV_mfma16_kernelIDF16_DF16_LN4vllm18Fp8KVCacheDataTypeE0EDF16_Li32ELi64ELi256ELb0ELi2EL8MFMAType0EEvPKT_PKT0_S8_ifPKiSA_SA_iPKfiiiPfSD_PS3_PT2_iSC_SC_
                                        ; -- End function
	.section	.AMDGPU.csdata,"",@progbits
; Kernel info:
; codeLenInByte = 7008
; NumSgprs: 42
; NumVgprs: 156
; ScratchSize: 0
; MemoryBound: 0
; FloatMode: 240
; IeeeMode: 1
; LDSByteSize: 17472 bytes/workgroup (compile time only)
; SGPRBlocks: 5
; VGPRBlocks: 19
; NumSGPRsForWavesPerEU: 42
; NumVGPRsForWavesPerEU: 156
; Occupancy: 9
; WaveLimiterHint : 1
; COMPUTE_PGM_RSRC2:SCRATCH_EN: 0
; COMPUTE_PGM_RSRC2:USER_SGPR: 13
; COMPUTE_PGM_RSRC2:TRAP_HANDLER: 0
; COMPUTE_PGM_RSRC2:TGID_X_EN: 1
; COMPUTE_PGM_RSRC2:TGID_Y_EN: 1
; COMPUTE_PGM_RSRC2:TGID_Z_EN: 1
; COMPUTE_PGM_RSRC2:TIDIG_COMP_CNT: 0
	.section	.text._Z39paged_attention_ll4mi_QKV_mfma16_kernelIDF16_DF16_LN4vllm18Fp8KVCacheDataTypeE0EDF16_Li32ELi64ELi256ELb0ELi3EL8MFMAType0EEvPKT_PKT0_S8_ifPKiSA_SA_iPKfiiiPfSD_PS3_PT2_iSC_SC_,"axG",@progbits,_Z39paged_attention_ll4mi_QKV_mfma16_kernelIDF16_DF16_LN4vllm18Fp8KVCacheDataTypeE0EDF16_Li32ELi64ELi256ELb0ELi3EL8MFMAType0EEvPKT_PKT0_S8_ifPKiSA_SA_iPKfiiiPfSD_PS3_PT2_iSC_SC_,comdat
	.protected	_Z39paged_attention_ll4mi_QKV_mfma16_kernelIDF16_DF16_LN4vllm18Fp8KVCacheDataTypeE0EDF16_Li32ELi64ELi256ELb0ELi3EL8MFMAType0EEvPKT_PKT0_S8_ifPKiSA_SA_iPKfiiiPfSD_PS3_PT2_iSC_SC_ ; -- Begin function _Z39paged_attention_ll4mi_QKV_mfma16_kernelIDF16_DF16_LN4vllm18Fp8KVCacheDataTypeE0EDF16_Li32ELi64ELi256ELb0ELi3EL8MFMAType0EEvPKT_PKT0_S8_ifPKiSA_SA_iPKfiiiPfSD_PS3_PT2_iSC_SC_
	.globl	_Z39paged_attention_ll4mi_QKV_mfma16_kernelIDF16_DF16_LN4vllm18Fp8KVCacheDataTypeE0EDF16_Li32ELi64ELi256ELb0ELi3EL8MFMAType0EEvPKT_PKT0_S8_ifPKiSA_SA_iPKfiiiPfSD_PS3_PT2_iSC_SC_
	.p2align	8
	.type	_Z39paged_attention_ll4mi_QKV_mfma16_kernelIDF16_DF16_LN4vllm18Fp8KVCacheDataTypeE0EDF16_Li32ELi64ELi256ELb0ELi3EL8MFMAType0EEvPKT_PKT0_S8_ifPKiSA_SA_iPKfiiiPfSD_PS3_PT2_iSC_SC_,@function
_Z39paged_attention_ll4mi_QKV_mfma16_kernelIDF16_DF16_LN4vllm18Fp8KVCacheDataTypeE0EDF16_Li32ELi64ELi256ELb0ELi3EL8MFMAType0EEvPKT_PKT0_S8_ifPKiSA_SA_iPKfiiiPfSD_PS3_PT2_iSC_SC_: ; @_Z39paged_attention_ll4mi_QKV_mfma16_kernelIDF16_DF16_LN4vllm18Fp8KVCacheDataTypeE0EDF16_Li32ELi64ELi256ELb0ELi3EL8MFMAType0EEvPKT_PKT0_S8_ifPKiSA_SA_iPKfiiiPfSD_PS3_PT2_iSC_SC_
; %bb.0:
	s_load_b64 s[2:3], s[0:1], 0x30
	s_mov_b32 s34, s13
	s_waitcnt lgkmcnt(0)
	s_cmp_lg_u64 s[2:3], 0
	s_cselect_b32 s6, -1, 0
	s_ashr_i32 s35, s13, 31
	s_cmp_eq_u64 s[2:3], 0
	s_cbranch_scc1 .LBB192_3
; %bb.1:
	s_lshl_b64 s[4:5], s[34:35], 2
	s_delay_alu instid0(SALU_CYCLE_1) | instskip(SKIP_4) | instid1(SALU_CYCLE_1)
	s_add_u32 s4, s2, s4
	s_addc_u32 s5, s3, s5
	s_load_b64 s[4:5], s[4:5], 0x0
	s_waitcnt lgkmcnt(0)
	s_sub_i32 s4, s5, s4
	s_cmp_eq_u32 s4, 1
	s_cselect_b32 s4, -1, 0
	s_delay_alu instid0(SALU_CYCLE_1)
	s_and_not1_b32 vcc_lo, exec_lo, s4
	s_cbranch_vccz .LBB192_4
.LBB192_2:
	s_nop 0
	s_sendmsg sendmsg(MSG_DEALLOC_VGPRS)
	s_endpgm
.LBB192_3:
.LBB192_4:
	s_load_b64 s[8:9], s[0:1], 0x28
	s_lshl_b64 s[4:5], s[34:35], 2
	s_waitcnt lgkmcnt(0)
	s_add_u32 s8, s8, s4
	s_addc_u32 s9, s9, s5
	s_lshl_b32 s16, s14, 8
	s_load_b32 s18, s[8:9], 0x0
	s_waitcnt lgkmcnt(0)
	s_cmp_ge_i32 s16, s18
	s_cbranch_scc1 .LBB192_2
; %bb.5:
	s_and_not1_b32 vcc_lo, exec_lo, s6
	s_cbranch_vccnz .LBB192_7
; %bb.6:
	s_add_u32 s2, s2, s4
	s_addc_u32 s3, s3, s5
	s_load_b32 s17, s[2:3], 0x0
	s_branch .LBB192_8
.LBB192_7:
	s_mov_b32 s17, s34
.LBB192_8:
	s_clause 0x2
	s_load_b128 s[8:11], s[0:1], 0x8
	s_load_b64 s[12:13], s[0:1], 0x20
	s_load_b128 s[4:7], s[0:1], 0x48
	v_lshrrev_b32_e32 v78, 5, v0
	v_bfe_u32 v75, v0, 4, 1
	v_and_b32_e32 v77, 15, v0
	s_delay_alu instid0(VALU_DEP_2) | instskip(NEXT) | instid1(VALU_DEP_2)
	v_lshl_or_b32 v3, v78, 1, v75
	v_cmp_lt_u32_e64 s3, 7, v77
	v_lshlrev_b32_e32 v1, 3, v77
	v_cmp_gt_u32_e64 s2, 8, v77
	s_delay_alu instid0(VALU_DEP_4) | instskip(NEXT) | instid1(VALU_DEP_4)
	v_cmp_lt_u32_e32 vcc_lo, 2, v3
	s_or_b32 s3, s3, vcc_lo
	s_waitcnt lgkmcnt(0)
	s_and_saveexec_b32 s7, s3
	s_delay_alu instid0(SALU_CYCLE_1)
	s_xor_b32 s3, exec_lo, s7
; %bb.9:
	v_mov_b32_e32 v2, 0
                                        ; implicit-def: $vgpr3
; %bb.10:
	s_or_saveexec_b32 s3, s3
	v_and_b32_e32 v80, 31, v0
	v_and_b32_e32 v76, 1, v0
	s_mul_i32 s33, s15, 3
	s_xor_b32 exec_lo, exec_lo, s3
	s_cbranch_execz .LBB192_12
; %bb.11:
	s_load_b64 s[20:21], s[0:1], 0x0
	v_add_lshl_u32 v4, v3, s33, 6
	s_mul_hi_i32 s23, s17, s4
	s_mul_i32 s22, s17, s4
	v_lshlrev_b32_e32 v2, 1, v1
	s_lshl_b64 s[22:23], s[22:23], 1
	v_ashrrev_i32_e32 v5, 31, v4
	v_lshlrev_b32_e32 v3, 6, v3
	v_lshlrev_b32_e32 v8, 10, v76
	s_delay_alu instid0(VALU_DEP_3) | instskip(SKIP_3) | instid1(VALU_DEP_1)
	v_lshlrev_b64 v[4:5], 1, v[4:5]
	s_waitcnt lgkmcnt(0)
	s_add_u32 s4, s20, s22
	s_addc_u32 s7, s21, s23
	v_add_co_u32 v4, vcc_lo, s4, v4
	s_delay_alu instid0(VALU_DEP_2) | instskip(NEXT) | instid1(VALU_DEP_2)
	v_add_co_ci_u32_e32 v5, vcc_lo, s7, v5, vcc_lo
	v_add_co_u32 v4, vcc_lo, v4, v2
	s_delay_alu instid0(VALU_DEP_2) | instskip(SKIP_3) | instid1(VALU_DEP_1)
	v_add_co_ci_u32_e32 v5, vcc_lo, 0, v5, vcc_lo
	v_lshlrev_b32_e32 v2, 10, v77
	global_load_b128 v[4:7], v[4:5], off
	v_and_b32_e32 v2, 0x3800, v2
	v_or3_b32 v3, v2, v8, v3
	v_mov_b32_e32 v2, 0
	s_waitcnt vmcnt(0)
	ds_store_b128 v3, v[4:7]
.LBB192_12:
	s_or_b32 exec_lo, exec_lo, s3
	v_and_b32_e32 v3, 0xef, v0
	s_add_i32 s3, s18, 31
	s_clause 0x1
	s_load_b32 s4, s[0:1], 0x38
	s_load_b32 s35, s[0:1], 0x98
	s_ashr_i32 s7, s3, 31
	v_add_nc_u32_e32 v3, s16, v3
	s_lshr_b32 s7, s7, 27
	s_load_b32 s19, s[0:1], 0x1c
	s_add_i32 s3, s3, s7
	s_waitcnt lgkmcnt(0)
	v_ashrrev_i32_e32 v4, 31, v3
	v_cmp_gt_i32_e32 vcc_lo, s18, v3
	s_ashr_i32 s3, s3, 5
	s_barrier
	s_add_i32 s3, s3, -1
	v_lshrrev_b32_e32 v5, 27, v4
	v_or_b32_e32 v4, 16, v3
	buffer_gl0_inv
	s_mul_i32 s6, s15, s6
	v_lshlrev_b64 v[73:74], 1, v[1:2]
	v_add_nc_u32_e32 v6, v3, v5
	v_add_nc_u32_e32 v5, v4, v5
	s_mul_i32 s20, s34, s4
	s_delay_alu instid0(SALU_CYCLE_1) | instskip(NEXT) | instid1(VALU_DEP_2)
	s_ashr_i32 s21, s20, 31
	v_ashrrev_i32_e32 v6, 5, v6
	s_delay_alu instid0(VALU_DEP_2) | instskip(SKIP_1) | instid1(SALU_CYCLE_1)
	v_ashrrev_i32_e32 v5, 5, v5
	s_lshl_b64 s[20:21], s[20:21], 2
	s_add_u32 s4, s12, s20
	s_delay_alu instid0(VALU_DEP_2) | instskip(SKIP_3) | instid1(SALU_CYCLE_1)
	v_cndmask_b32_e32 v3, s3, v6, vcc_lo
	v_cmp_gt_i32_e32 vcc_lo, s18, v4
	s_addc_u32 s17, s13, s21
	s_ashr_i32 s7, s6, 31
	s_lshl_b64 s[6:7], s[6:7], 1
	v_cndmask_b32_e32 v5, s3, v5, vcc_lo
	v_ashrrev_i32_e32 v4, 31, v3
	s_add_u32 s15, s8, s6
	s_addc_u32 s28, s9, s7
	s_lshl_b32 s8, s14, 3
	v_ashrrev_i32_e32 v6, 31, v5
	v_lshlrev_b64 v[3:4], 2, v[3:4]
	s_ashr_i32 s9, s8, 31
	s_delay_alu instid0(SALU_CYCLE_1) | instskip(NEXT) | instid1(VALU_DEP_2)
	s_lshl_b64 s[8:9], s[8:9], 2
	v_lshlrev_b64 v[5:6], 2, v[5:6]
	s_add_u32 s8, s4, s8
	s_delay_alu instid0(VALU_DEP_2) | instskip(SKIP_1) | instid1(VALU_DEP_3)
	v_add_co_u32 v3, vcc_lo, s4, v3
	v_add_co_ci_u32_e32 v4, vcc_lo, s17, v4, vcc_lo
	v_add_co_u32 v5, vcc_lo, s4, v5
	s_delay_alu instid0(VALU_DEP_4)
	v_add_co_ci_u32_e32 v6, vcc_lo, s17, v6, vcc_lo
	s_addc_u32 s9, s17, s9
	s_clause 0x1
	global_load_b32 v7, v[3:4], off
	global_load_b32 v8, v[5:6], off
	s_or_b32 s12, s16, 32
	s_delay_alu instid0(SALU_CYCLE_1) | instskip(SKIP_2) | instid1(SALU_CYCLE_1)
	s_ashr_i32 s13, s12, 5
	s_cmp_lt_i32 s12, s18
	s_cselect_b32 s12, s13, s3
	s_ashr_i32 s13, s12, 31
	s_delay_alu instid0(SALU_CYCLE_1) | instskip(NEXT) | instid1(SALU_CYCLE_1)
	s_lshl_b64 s[12:13], s[12:13], 2
	s_add_u32 s12, s4, s12
	s_addc_u32 s13, s17, s13
	s_or_b32 s20, s16, 64
	s_delay_alu instid0(SALU_CYCLE_1) | instskip(SKIP_2) | instid1(SALU_CYCLE_1)
	s_ashr_i32 s21, s20, 5
	s_cmp_lt_i32 s20, s18
	s_cselect_b32 s20, s21, s3
	s_ashr_i32 s21, s20, 31
	s_delay_alu instid0(SALU_CYCLE_1) | instskip(NEXT) | instid1(SALU_CYCLE_1)
	s_lshl_b64 s[20:21], s[20:21], 2
	s_add_u32 s20, s4, s20
	s_addc_u32 s21, s17, s21
	;; [unrolled: 10-line block ×5, first 2 shown]
	s_clause 0x5
	s_load_b32 s29, s[8:9], 0x0
	s_load_b32 s30, s[12:13], 0x0
	;; [unrolled: 1-line block ×6, first 2 shown]
	s_or_b32 s8, s16, 0xc0
	s_mov_b32 s20, 0
	s_ashr_i32 s9, s8, 5
	s_cmp_lt_i32 s8, s18
	s_mov_b32 s27, s20
	s_cselect_b32 s8, s9, s3
	s_mov_b32 s21, s20
	s_ashr_i32 s9, s8, 31
	s_mov_b32 s22, s20
	s_lshl_b64 s[8:9], s[8:9], 2
	s_mov_b32 s23, s20
	s_add_u32 s8, s4, s8
	s_mov_b32 s24, s20
	s_mov_b32 s25, s20
	;; [unrolled: 1-line block ×3, first 2 shown]
	s_addc_u32 s9, s17, s9
	v_dual_mov_b32 v128, s27 :: v_dual_lshlrev_b32 v79, 6, v77
	v_dual_mov_b32 v122, s21 :: v_dual_mov_b32 v127, s26
	v_dual_mov_b32 v126, s25 :: v_dual_mov_b32 v125, s24
	;; [unrolled: 1-line block ×3, first 2 shown]
	v_mov_b32_e32 v121, s20
	s_waitcnt lgkmcnt(0)
	s_mul_hi_i32 s13, s29, s5
	s_mul_i32 s12, s29, s5
	v_lshl_or_b32 v33, v78, 10, v79
	s_mul_hi_i32 s21, s30, s5
	s_mul_i32 s20, s30, s5
	s_mul_hi_i32 s25, s31, s5
	s_mul_i32 s24, s31, s5
	;; [unrolled: 2-line block ×4, first 2 shown]
	s_waitcnt vmcnt(1)
	v_mad_i64_i32 v[3:4], null, v7, s5, 0
	s_waitcnt vmcnt(0)
	v_mad_i64_i32 v[5:6], null, v8, s5, 0
	s_delay_alu instid0(VALU_DEP_2) | instskip(NEXT) | instid1(VALU_DEP_2)
	v_lshlrev_b64 v[3:4], 1, v[3:4]
	v_lshlrev_b64 v[1:2], 1, v[5:6]
	s_delay_alu instid0(VALU_DEP_2) | instskip(NEXT) | instid1(VALU_DEP_3)
	v_add_co_u32 v3, vcc_lo, s15, v3
	v_add_co_ci_u32_e32 v4, vcc_lo, s28, v4, vcc_lo
	s_delay_alu instid0(VALU_DEP_3) | instskip(NEXT) | instid1(VALU_DEP_4)
	v_add_co_u32 v1, vcc_lo, s15, v1
	v_add_co_ci_u32_e32 v2, vcc_lo, s28, v2, vcc_lo
	s_delay_alu instid0(VALU_DEP_4) | instskip(NEXT) | instid1(VALU_DEP_4)
	v_add_co_u32 v25, vcc_lo, v3, v73
	v_add_co_ci_u32_e32 v26, vcc_lo, v4, v74, vcc_lo
	s_delay_alu instid0(VALU_DEP_4) | instskip(NEXT) | instid1(VALU_DEP_4)
	v_add_co_u32 v27, vcc_lo, v1, v73
	v_add_co_ci_u32_e32 v28, vcc_lo, v2, v74, vcc_lo
	s_clause 0xf
	global_load_b128 v[1:4], v[25:26], off
	global_load_b128 v[5:8], v[25:26], off offset:512
	global_load_b128 v[9:12], v[27:28], off offset:256
	;; [unrolled: 1-line block ×15, first 2 shown]
	v_mul_lo_u16 v25, 0x56, v77
	s_or_b32 s15, s16, 0xe0
	s_delay_alu instid0(SALU_CYCLE_1) | instskip(SKIP_1) | instid1(VALU_DEP_1)
	s_ashr_i32 s22, s15, 5
	s_cmp_lt_i32 s15, s18
	v_lshrrev_b16 v25, 8, v25
	s_cselect_b32 s22, s22, s3
	s_delay_alu instid0(SALU_CYCLE_1) | instskip(NEXT) | instid1(VALU_DEP_1)
	s_ashr_i32 s23, s22, 31
	v_mul_lo_u16 v25, v25, 3
	s_lshl_b64 s[22:23], s[22:23], 2
	s_delay_alu instid0(SALU_CYCLE_1) | instskip(SKIP_1) | instid1(VALU_DEP_1)
	s_add_u32 s22, s4, s22
	s_addc_u32 s23, s17, s23
	v_sub_nc_u16 v25, v77, v25
	s_add_i32 s15, s16, 0x100
	s_delay_alu instid0(SALU_CYCLE_1) | instskip(SKIP_1) | instid1(VALU_DEP_1)
	s_ashr_i32 s28, s15, 5
	s_cmp_lt_i32 s15, s18
	v_and_b32_e32 v25, 0xff, v25
	s_cselect_b32 s28, s28, s3
	s_delay_alu instid0(SALU_CYCLE_1) | instskip(NEXT) | instid1(VALU_DEP_1)
	s_ashr_i32 s29, s28, 31
	v_lshlrev_b32_e32 v151, 6, v25
	s_lshl_b64 s[28:29], s[28:29], 2
	ds_load_b128 v[25:28], v151
	ds_load_b128 v[29:32], v151 offset:1024
	s_add_u32 s28, s4, s28
	s_addc_u32 s29, s17, s29
	s_add_u32 s3, s10, s6
	ds_load_b128 v[129:132], v151 offset:2048
	ds_load_b128 v[133:136], v151 offset:3072
	s_clause 0x2
	s_load_b32 s15, s[8:9], 0x0
	s_load_b32 s4, s[22:23], 0x0
	s_load_b32 s17, s[28:29], 0x0
	s_addc_u32 s28, s11, s7
	v_add_co_u32 v152, s3, s3, v33
	s_delay_alu instid0(VALU_DEP_1) | instskip(SKIP_2) | instid1(VALU_DEP_2)
	v_add_co_ci_u32_e64 v153, null, s28, 0, s3
	s_lshl_b64 s[6:7], s[12:13], 1
	s_lshl_b64 s[10:11], s[20:21], 1
	v_add_co_u32 v33, vcc_lo, v152, s6
	s_delay_alu instid0(VALU_DEP_2)
	v_add_co_ci_u32_e32 v34, vcc_lo, s7, v153, vcc_lo
	v_add_co_u32 v35, vcc_lo, v152, s10
	s_lshl_b64 s[12:13], s[24:25], 1
	v_add_co_ci_u32_e32 v36, vcc_lo, s11, v153, vcc_lo
	v_add_co_u32 v37, vcc_lo, v152, s12
	s_lshl_b64 s[20:21], s[26:27], 1
	s_mul_hi_i32 s9, s37, s5
	s_mul_i32 s8, s37, s5
	v_add_co_ci_u32_e32 v38, vcc_lo, s13, v153, vcc_lo
	v_add_co_u32 v39, vcc_lo, v152, s20
	s_lshl_b64 s[8:9], s[8:9], 1
	v_add_co_ci_u32_e32 v40, vcc_lo, s21, v153, vcc_lo
	v_add_co_u32 v145, vcc_lo, v152, s8
	s_lshl_b64 s[22:23], s[30:31], 1
	s_waitcnt lgkmcnt(0)
	s_mul_hi_i32 s25, s15, s5
	s_mul_i32 s24, s15, s5
	v_add_co_ci_u32_e32 v146, vcc_lo, s9, v153, vcc_lo
	v_add_co_u32 v147, vcc_lo, v152, s22
	s_lshl_b64 s[24:25], s[24:25], 1
	v_add_co_ci_u32_e32 v148, vcc_lo, s23, v153, vcc_lo
	s_mul_hi_i32 s7, s4, s5
	s_mul_i32 s6, s4, s5
	v_add_co_u32 v149, vcc_lo, v152, s24
	s_lshl_b64 s[6:7], s[6:7], 1
	v_add_co_ci_u32_e32 v150, vcc_lo, s25, v153, vcc_lo
	s_clause 0x7
	global_load_b128 v[65:68], v[33:34], off
	global_load_b128 v[69:72], v[33:34], off offset:16
	global_load_b128 v[57:60], v[35:36], off
	global_load_b128 v[61:64], v[35:36], off offset:16
	;; [unrolled: 2-line block ×4, first 2 shown]
	s_waitcnt vmcnt(22)
	v_wmma_f32_16x16x16_f16 v[137:144], v[1:8], v[25:32], v[121:128]
	s_waitcnt vmcnt(20)
	v_wmma_f32_16x16x16_f16 v[121:128], v[9:16], v[25:32], v[121:128]
	v_add_co_u32 v29, vcc_lo, v152, s6
	v_add_co_ci_u32_e32 v30, vcc_lo, s7, v153, vcc_lo
	s_mul_hi_i32 s7, s17, s5
	s_mul_i32 s6, s17, s5
	s_waitcnt vmcnt(18)
	v_wmma_f32_16x16x16_f16 v[137:144], v[17:24], v[129:136], v[137:144]
	s_lshl_b64 s[4:5], s[6:7], 1
	s_clause 0x1
	global_load_b128 v[9:12], v[145:146], off
	global_load_b128 v[13:16], v[145:146], off offset:16
	v_add_co_u32 v21, vcc_lo, v152, s4
	v_add_co_ci_u32_e32 v22, vcc_lo, s5, v153, vcc_lo
	s_clause 0x7
	global_load_b128 v[1:4], v[147:148], off
	global_load_b128 v[5:8], v[147:148], off offset:16
	global_load_b128 v[33:36], v[149:150], off
	global_load_b128 v[37:40], v[149:150], off offset:16
	;; [unrolled: 2-line block ×4, first 2 shown]
	s_waitcnt vmcnt(26)
	v_wmma_f32_16x16x16_f16 v[121:128], v[81:88], v[129:136], v[121:128]
	ds_load_b128 v[81:84], v151 offset:4096
	ds_load_b128 v[85:88], v151 offset:5120
	v_mbcnt_lo_u32_b32 v130, -1, 0
	s_delay_alu instid0(VALU_DEP_1) | instskip(NEXT) | instid1(VALU_DEP_1)
	v_xor_b32_e32 v131, 16, v130
	v_cmp_gt_i32_e32 vcc_lo, 32, v131
	v_cndmask_b32_e32 v130, v130, v131, vcc_lo
	s_waitcnt vmcnt(24) lgkmcnt(0)
	v_wmma_f32_16x16x16_f16 v[137:144], v[89:96], v[81:88], v[137:144]
	ds_load_b128 v[89:92], v151 offset:6144
	ds_load_b128 v[93:96], v151 offset:7168
	s_waitcnt vmcnt(22)
	v_wmma_f32_16x16x16_f16 v[121:128], v[97:104], v[81:88], v[121:128]
	s_waitcnt vmcnt(0) lgkmcnt(0)
	s_barrier
	buffer_gl0_inv
	v_wmma_f32_16x16x16_f16 v[137:144], v[105:112], v[89:96], v[137:144]
	v_and_b32_e32 v129, 0xe0, v0
	v_wmma_f32_16x16x16_f16 v[121:128], v[113:120], v[89:96], v[121:128]
	s_delay_alu instid0(VALU_DEP_3) | instskip(NEXT) | instid1(VALU_DEP_2)
	v_mul_f32_e32 v96, s19, v137
	v_dual_mul_f32 v104, s19, v126 :: v_dual_add_nc_u32 v129, s16, v129
	v_mul_f32_e32 v95, s19, v138
	v_dual_mul_f32 v93, s19, v140 :: v_dual_mul_f32 v94, s19, v139
	s_delay_alu instid0(VALU_DEP_3) | instskip(SKIP_3) | instid1(VALU_DEP_4)
	v_or_b32_e32 v129, v129, v75
	v_dual_mul_f32 v91, s19, v142 :: v_dual_mul_f32 v106, s19, v124
	v_dual_mul_f32 v92, s19, v141 :: v_dual_mul_f32 v89, s19, v144
	v_mul_f32_e32 v108, s19, v122
	v_or_b32_e32 v131, 2, v129
	v_or_b32_e32 v132, 4, v129
	;; [unrolled: 1-line block ×3, first 2 shown]
	v_cmp_gt_i32_e32 vcc_lo, s18, v129
	v_or_b32_e32 v82, 8, v129
	v_cmp_gt_i32_e64 s3, s18, v131
	v_or_b32_e32 v83, 10, v129
	v_cmp_gt_i32_e64 s4, s18, v132
	v_cndmask_b32_e32 v96, 0xff7fffff, v96, vcc_lo
	v_cmp_gt_i32_e64 s5, s18, v81
	v_cndmask_b32_e64 v95, 0xff7fffff, v95, s3
	v_or_b32_e32 v84, 12, v129
	v_or_b32_e32 v85, 14, v129
	v_cndmask_b32_e64 v94, 0xff7fffff, v94, s4
	v_cndmask_b32_e64 v81, 0xff7fffff, v93, s5
	v_max3_f32 v93, v96, 0xff7fffff, v95
	v_cmp_gt_i32_e64 s6, s18, v82
	v_cmp_gt_i32_e64 s7, s18, v83
	v_or_b32_e32 v86, 16, v129
	v_or_b32_e32 v87, 18, v129
	v_mul_f32_e32 v90, s19, v143
	v_cndmask_b32_e64 v82, 0xff7fffff, v92, s6
	v_cndmask_b32_e64 v83, 0xff7fffff, v91, s7
	v_max3_f32 v81, v93, v94, v81
	v_cmp_gt_i32_e64 s8, s18, v84
	v_cmp_gt_i32_e64 s9, s18, v85
	v_or_b32_e32 v88, 20, v129
	v_or_b32_e32 v97, 22, v129
	v_mul_f32_e32 v109, s19, v121
	;; [unrolled: 8-line block ×4, first 2 shown]
	v_cndmask_b32_e64 v84, 0xff7fffff, v107, s12
	v_cndmask_b32_e64 v85, 0xff7fffff, v106, s13
	v_max3_f32 v81, v81, v82, v83
	v_cmp_gt_i32_e64 s15, s18, v98
	v_cmp_gt_i32_e64 s16, s18, v99
	v_dual_mul_f32 v102, s19, v128 :: v_dual_mul_f32 v103, s19, v127
	s_delay_alu instid0(VALU_DEP_4) | instskip(NEXT) | instid1(VALU_DEP_4)
	v_max3_f32 v81, v81, v84, v85
	v_cndmask_b32_e64 v82, 0xff7fffff, v105, s15
	s_delay_alu instid0(VALU_DEP_4) | instskip(SKIP_2) | instid1(VALU_DEP_3)
	v_cndmask_b32_e64 v83, 0xff7fffff, v104, s16
	v_cmp_gt_i32_e64 s17, s18, v100
	v_cmp_gt_i32_e64 s18, s18, v101
	v_max3_f32 v81, v81, v82, v83
	s_delay_alu instid0(VALU_DEP_3) | instskip(NEXT) | instid1(VALU_DEP_3)
	v_cndmask_b32_e64 v84, 0xff7fffff, v103, s17
	v_cndmask_b32_e64 v85, 0xff7fffff, v102, s18
	v_lshlrev_b32_e32 v83, 2, v130
	s_delay_alu instid0(VALU_DEP_2) | instskip(SKIP_3) | instid1(VALU_DEP_1)
	v_max3_f32 v81, v81, v84, v85
	ds_bpermute_b32 v82, v83, v81
	s_waitcnt lgkmcnt(0)
	v_max_f32_e32 v82, v82, v82
	v_max_f32_e32 v81, v81, v82
	s_delay_alu instid0(VALU_DEP_1)
	v_fma_f32 v82, s19, v137, -v81
	v_fma_f32 v84, s19, v138, -v81
	v_fma_f32 v87, s19, v141, -v81
	v_fma_f32 v85, s19, v139, -v81
	v_fma_f32 v86, s19, v140, -v81
	v_mul_f32_e32 v82, 0x3fb8aa3b, v82
	s_delay_alu instid0(VALU_DEP_4) | instskip(NEXT) | instid1(VALU_DEP_3)
	v_dual_mul_f32 v84, 0x3fb8aa3b, v84 :: v_dual_mul_f32 v89, 0x3fb8aa3b, v87
	v_mul_f32_e32 v86, 0x3fb8aa3b, v86
	s_delay_alu instid0(VALU_DEP_3) | instskip(NEXT) | instid1(VALU_DEP_2)
	v_exp_f32_e32 v82, v82
	v_exp_f32_e32 v84, v84
	s_delay_alu instid0(VALU_DEP_2) | instskip(NEXT) | instid1(VALU_DEP_1)
	v_exp_f32_e32 v92, v89
	v_exp_f32_e32 v86, v86
	v_cndmask_b32_e32 v88, 0, v82, vcc_lo
	s_delay_alu instid0(TRANS32_DEP_3)
	v_cndmask_b32_e64 v87, 0, v84, s3
	s_waitcnt_depctr 0xfff
	v_cndmask_b32_e64 v92, 0, v92, s6
	v_cmp_gt_u32_e64 s3, 16, v80
	v_cndmask_b32_e64 v89, 0, v86, s5
	v_add_f32_e32 v84, 0, v88
	s_delay_alu instid0(VALU_DEP_1) | instskip(NEXT) | instid1(VALU_DEP_1)
	v_dual_add_f32 v84, v84, v87 :: v_dual_mul_f32 v85, 0x3fb8aa3b, v85
	v_exp_f32_e32 v85, v85
	s_waitcnt_depctr 0xfff
	v_cndmask_b32_e64 v90, 0, v85, s4
	s_delay_alu instid0(VALU_DEP_1) | instskip(NEXT) | instid1(VALU_DEP_1)
	v_add_f32_e32 v84, v84, v90
	v_add_f32_e32 v84, v84, v89
	v_fma_f32 v82, s19, v142, -v81
	v_fma_f32 v91, s19, v143, -v81
	;; [unrolled: 1-line block ×5, first 2 shown]
	s_delay_alu instid0(VALU_DEP_4) | instskip(SKIP_1) | instid1(VALU_DEP_4)
	v_dual_mul_f32 v82, 0x3fb8aa3b, v82 :: v_dual_mul_f32 v91, 0x3fb8aa3b, v91
	v_fma_f32 v96, s19, v124, -v81
	v_mul_f32_e32 v86, 0x3fb8aa3b, v86
	v_fma_f32 v99, s19, v127, -v81
	s_delay_alu instid0(VALU_DEP_4) | instskip(SKIP_3) | instid1(VALU_DEP_1)
	v_exp_f32_e32 v82, v82
	v_exp_f32_e32 v93, v91
	v_mul_f32_e32 v97, 0x3fb8aa3b, v96
	v_exp_f32_e32 v86, v86
	v_exp_f32_e32 v97, v97
	v_cndmask_b32_e64 v91, 0, v82, s7
	v_dual_add_f32 v82, v84, v92 :: v_dual_mul_f32 v85, 0x3fb8aa3b, v85
	v_fma_f32 v84, s19, v123, -v81
	v_mul_f32_e32 v95, 0x3fb8aa3b, v94
	s_delay_alu instid0(TRANS32_DEP_3) | instskip(NEXT) | instid1(VALU_DEP_4)
	v_cndmask_b32_e64 v94, 0, v93, s8
	v_add_f32_e32 v82, v82, v91
	v_exp_f32_e32 v85, v85
	v_mul_f32_e32 v84, 0x3fb8aa3b, v84
	v_cndmask_b32_e64 v96, 0, v86, s10
	v_exp_f32_e32 v95, v95
	v_add_f32_e32 v82, v82, v94
	v_fma_f32 v86, s19, v126, -v81
	v_exp_f32_e32 v84, v84
	v_cndmask_b32_e64 v97, 0, v97, s13
	s_delay_alu instid0(TRANS32_DEP_3) | instskip(SKIP_2) | instid1(TRANS32_DEP_2)
	v_cndmask_b32_e64 v93, 0, v85, s9
	v_fma_f32 v85, s19, v125, -v81
	v_mul_f32_e32 v86, 0x3fb8aa3b, v86
	v_cndmask_b32_e64 v95, 0, v95, s11
	s_waitcnt_depctr 0xfff
	v_cndmask_b32_e64 v98, 0, v84, s12
	v_mul_f32_e32 v84, 0x3fb8aa3b, v99
	v_fma_f32 v99, s19, v128, -v81
	v_add_f32_e32 v82, v82, v93
	v_mul_f32_e32 v85, 0x3fb8aa3b, v85
	v_exp_f32_e32 v86, v86
	v_exp_f32_e32 v84, v84
	s_delay_alu instid0(VALU_DEP_1)
	v_exp_f32_e32 v85, v85
	s_waitcnt_depctr 0xfff
	v_cndmask_b32_e64 v102, 0, v84, s17
	v_cndmask_b32_e64 v100, 0, v85, s15
	v_dual_mul_f32 v85, 0x3fb8aa3b, v99 :: v_dual_add_f32 v82, v82, v96
	v_cndmask_b32_e64 v99, 0, v86, s16
	s_delay_alu instid0(VALU_DEP_2) | instskip(NEXT) | instid1(VALU_DEP_2)
	v_exp_f32_e32 v85, v85
	v_add_f32_e32 v82, v82, v95
	s_delay_alu instid0(VALU_DEP_1) | instskip(SKIP_3) | instid1(VALU_DEP_1)
	v_add_f32_e32 v82, v82, v98
	s_waitcnt_depctr 0xfff
	v_cndmask_b32_e64 v101, 0, v85, s18
	v_add_f32_e32 v82, v82, v97
	v_add_f32_e32 v82, v82, v100
	s_delay_alu instid0(VALU_DEP_1) | instskip(NEXT) | instid1(VALU_DEP_1)
	v_add_f32_e32 v82, v82, v99
	v_add_f32_e32 v82, v82, v102
	s_delay_alu instid0(VALU_DEP_1)
	v_add_f32_e32 v82, v82, v101
	ds_bpermute_b32 v83, v83, v82
	s_and_saveexec_b32 s4, s3
	s_cbranch_execz .LBB192_14
; %bb.13:
	v_mul_u32_u24_e32 v80, 0x44, v78
	s_waitcnt lgkmcnt(0)
	v_add_f32_e32 v82, v82, v83
	s_delay_alu instid0(VALU_DEP_2) | instskip(NEXT) | instid1(VALU_DEP_1)
	v_lshl_add_u32 v80, v77, 2, v80
	v_add_nc_u32_e32 v80, 0x4000, v80
	ds_store_2addr_b32 v80, v81, v82 offset1:136
.LBB192_14:
	s_or_b32 exec_lo, exec_lo, s4
	v_lshlrev_b32_e32 v80, 2, v77
	s_load_b32 s36, s[0:1], 0x94
	s_waitcnt lgkmcnt(0)
	s_barrier
	buffer_gl0_inv
	v_add_nc_u32_e32 v84, 0x4000, v80
	v_cmp_eq_u32_e32 vcc_lo, 1, v78
	v_cmp_eq_u32_e64 s4, 2, v78
	v_cmp_eq_u32_e64 s5, 3, v78
	;; [unrolled: 1-line block ×3, first 2 shown]
	ds_load_2addr_b32 v[80:81], v84 offset1:17
	ds_load_2addr_b32 v[82:83], v84 offset0:34 offset1:51
	ds_load_2addr_b32 v[103:104], v84 offset0:68 offset1:85
	;; [unrolled: 1-line block ×3, first 2 shown]
	v_cmp_eq_u32_e64 s7, 7, v78
	s_waitcnt lgkmcnt(3)
	v_max3_f32 v85, v80, 0xff7fffff, v81
	s_waitcnt lgkmcnt(2)
	s_delay_alu instid0(VALU_DEP_1) | instskip(SKIP_1) | instid1(VALU_DEP_1)
	v_max3_f32 v85, v85, v82, v83
	s_waitcnt lgkmcnt(1)
	v_max3_f32 v85, v85, v103, v104
	s_waitcnt lgkmcnt(0)
	s_delay_alu instid0(VALU_DEP_1) | instskip(NEXT) | instid1(VALU_DEP_1)
	v_max3_f32 v85, v85, v105, v106
	v_sub_f32_e32 v103, v103, v85
	ds_load_2addr_b32 v[107:108], v84 offset0:136 offset1:153
	v_sub_f32_e32 v80, v80, v85
	v_dual_sub_f32 v110, v83, v85 :: v_dual_mul_f32 v113, 0x3fb8aa3b, v103
	s_delay_alu instid0(VALU_DEP_2) | instskip(SKIP_3) | instid1(VALU_DEP_1)
	v_dual_sub_f32 v86, v81, v85 :: v_dual_mul_f32 v109, 0x3fb8aa3b, v80
	ds_load_2addr_b32 v[80:81], v84 offset0:170 offset1:187
	v_mul_f32_e32 v86, 0x3fb8aa3b, v86
	v_exp_f32_e32 v109, v109
	v_exp_f32_e32 v112, v86
	v_mul_f32_e32 v110, 0x3fb8aa3b, v110
	s_waitcnt lgkmcnt(1)
	s_waitcnt_depctr 0xfff
	v_fma_f32 v86, v109, v107, 0
	v_sub_f32_e32 v107, v104, v85
	v_sub_f32_e32 v82, v82, v85
	v_exp_f32_e32 v110, v110
	ds_load_2addr_b32 v[103:104], v84 offset0:238 offset1:255
	v_dual_fmac_f32 v86, v112, v108 :: v_dual_mul_f32 v111, 0x3fb8aa3b, v82
	ds_load_2addr_b32 v[82:83], v84 offset0:204 offset1:221
	v_dual_sub_f32 v84, v105, v85 :: v_dual_mul_f32 v105, 0x3fb8aa3b, v107
	v_exp_f32_e32 v107, v113
	v_exp_f32_e32 v111, v111
	s_waitcnt lgkmcnt(0)
	s_delay_alu instid0(VALU_DEP_1)
	v_mul_f32_e32 v84, 0x3fb8aa3b, v84
	v_exp_f32_e32 v105, v105
	s_barrier
	buffer_gl0_inv
	v_fmac_f32_e32 v86, v111, v80
	v_sub_f32_e32 v80, v106, v85
	v_exp_f32_e32 v106, v84
	s_delay_alu instid0(VALU_DEP_2) | instskip(NEXT) | instid1(VALU_DEP_2)
	v_fmac_f32_e32 v86, v110, v81
	v_mul_f32_e32 v80, 0x3fb8aa3b, v80
	s_delay_alu instid0(VALU_DEP_2) | instskip(NEXT) | instid1(VALU_DEP_2)
	v_dual_cndmask_b32 v81, v109, v112 :: v_dual_fmac_f32 v86, v107, v82
	v_exp_f32_e32 v108, v80
	s_delay_alu instid0(VALU_DEP_1) | instskip(SKIP_2) | instid1(VALU_DEP_1)
	v_fmac_f32_e32 v86, v105, v83
	s_waitcnt_depctr 0xfff
	v_fmac_f32_e32 v86, v106, v103
	v_fmac_f32_e32 v86, v108, v104
	s_delay_alu instid0(VALU_DEP_1) | instskip(NEXT) | instid1(VALU_DEP_1)
	v_add_f32_e32 v103, 0x358637bd, v86
	v_div_scale_f32 v104, null, v103, v103, 1.0
	v_div_scale_f32 v109, vcc_lo, 1.0, v103, 1.0
	s_delay_alu instid0(VALU_DEP_2) | instskip(SKIP_2) | instid1(VALU_DEP_1)
	v_rcp_f32_e32 v113, v104
	s_waitcnt_depctr 0xfff
	v_fma_f32 v80, -v104, v113, 1.0
	v_fmac_f32_e32 v113, v80, v113
	v_cndmask_b32_e64 v80, v81, v111, s4
	v_cmp_eq_u32_e64 s4, 4, v78
	v_lshl_or_b32 v81, v78, 11, v79
	s_delay_alu instid0(VALU_DEP_4) | instskip(NEXT) | instid1(VALU_DEP_4)
	v_mul_f32_e32 v111, v109, v113
	v_cndmask_b32_e64 v82, v80, v110, s5
	v_cmp_eq_u32_e64 s5, 6, v78
	s_delay_alu instid0(VALU_DEP_4) | instskip(SKIP_3) | instid1(VALU_DEP_3)
	v_lshl_or_b32 v78, v75, 4, v81
	v_lshlrev_b32_e32 v80, 2, v75
	v_fma_f32 v83, -v104, v111, v109
	v_cndmask_b32_e64 v84, v82, v107, s4
	v_or_b32_e32 v82, 1, v80
	s_delay_alu instid0(VALU_DEP_3) | instskip(NEXT) | instid1(VALU_DEP_3)
	v_fmac_f32_e32 v111, v83, v113
	v_cndmask_b32_e64 v105, v84, v105, s6
	v_or_b32_e32 v84, 2, v80
	v_or_b32_e32 v83, 3, v80
	v_cmp_eq_u32_e64 s4, 1, v80
	v_fma_f32 v104, -v104, v111, v109
	v_cndmask_b32_e64 v105, v105, v106, s5
	v_cmp_eq_u32_e64 s10, 1, v82
	v_cmp_eq_u32_e64 s11, 1, v84
	;; [unrolled: 1-line block ×3, first 2 shown]
	v_div_fmas_f32 v104, v104, v113, v111
	v_cndmask_b32_e64 v105, v105, v108, s7
	v_cmp_eq_u32_e32 vcc_lo, 2, v80
	v_cmp_eq_u32_e64 s13, 2, v82
	v_cmp_eq_u32_e64 s16, 2, v84
	v_div_fixup_f32 v103, v104, v103, 1.0
	v_cmp_eq_u32_e64 s17, 2, v83
	v_cmp_eq_u32_e64 s19, 3, v83
	;; [unrolled: 1-line block ×4, first 2 shown]
	v_mul_f32_e32 v111, v105, v103
	v_cmp_eq_u32_e64 s18, 3, v84
	v_cmp_eq_u32_e64 s23, 4, v83
	;; [unrolled: 1-line block ×4, first 2 shown]
	v_fma_mixlo_f16 v103, v111, v88, 0
	v_fma_mixlo_f16 v104, v111, v90, 0
	v_fma_mixlo_f16 v105, v111, v92, 0
	v_fma_mixlo_f16 v106, v111, v94, 0
	v_fma_mixlo_f16 v107, v111, v96, 0
	v_fma_mixlo_f16 v108, v111, v98, 0
	v_fma_mixlo_f16 v109, v111, v100, 0
	v_fma_mixlo_f16 v110, v111, v102, 0
	v_fma_mixhi_f16 v103, v111, v87, 0
	v_fma_mixhi_f16 v104, v111, v89, 0
	;; [unrolled: 1-line block ×8, first 2 shown]
	ds_store_b128 v78, v[103:106]
	ds_store_b128 v78, v[107:110] offset:1024
	s_waitcnt lgkmcnt(0)
	s_barrier
	buffer_gl0_inv
	ds_load_b128 v[87:90], v81
	ds_load_b128 v[91:94], v81 offset:16
	ds_load_b128 v[95:98], v81 offset:1024
	;; [unrolled: 1-line block ×3, first 2 shown]
	v_cmp_eq_u32_e64 s22, 4, v84
	v_cmp_eq_u32_e64 s25, 5, v83
	;; [unrolled: 1-line block ×13, first 2 shown]
	s_waitcnt lgkmcnt(3)
	v_lshrrev_b32_e32 v103, 16, v87
	s_waitcnt lgkmcnt(2)
	v_lshrrev_b32_e32 v107, 16, v91
	;; [unrolled: 2-line block ×4, first 2 shown]
	v_lshrrev_b32_e32 v104, 16, v88
	v_cndmask_b32_e64 v119, v87, v103, s4
	v_cndmask_b32_e64 v120, v91, v107, s4
	v_cndmask_b32_e64 v121, v87, v103, s10
	v_cndmask_b32_e64 v122, v91, v107, s10
	v_cndmask_b32_e64 v123, v87, v103, s11
	v_cndmask_b32_e64 v124, v91, v107, s11
	v_cndmask_b32_e64 v87, v87, v103, s12
	v_cndmask_b32_e64 v91, v91, v107, s12
	v_lshrrev_b32_e32 v108, 16, v92
	v_cndmask_b32_e64 v103, v95, v111, s4
	v_cndmask_b32_e64 v107, v99, v115, s4
	;; [unrolled: 1-line block ×5, first 2 shown]
	v_cndmask_b32_e32 v111, v119, v88, vcc_lo
	v_cndmask_b32_e64 v119, v121, v88, s13
	v_cndmask_b32_e64 v121, v123, v88, s16
	v_cndmask_b32_e64 v87, v87, v88, s17
	v_cndmask_b32_e64 v88, v91, v92, s17
	v_lshrrev_b32_e32 v112, 16, v96
	v_lshrrev_b32_e32 v116, 16, v100
	v_cndmask_b32_e64 v126, v99, v115, s10
	v_cndmask_b32_e64 v128, v99, v115, s11
	;; [unrolled: 1-line block ×3, first 2 shown]
	v_cndmask_b32_e32 v115, v120, v92, vcc_lo
	v_cndmask_b32_e64 v120, v122, v92, s13
	v_cndmask_b32_e64 v122, v124, v92, s16
	v_cndmask_b32_e32 v91, v103, v96, vcc_lo
	v_cndmask_b32_e32 v92, v107, v100, vcc_lo
	v_cndmask_b32_e64 v103, v125, v96, s13
	v_cndmask_b32_e64 v87, v87, v104, s19
	;; [unrolled: 1-line block ×3, first 2 shown]
	v_lshrrev_b32_e32 v105, 16, v89
	v_lshrrev_b32_e32 v109, 16, v93
	v_cndmask_b32_e64 v107, v127, v96, s16
	v_cndmask_b32_e64 v95, v95, v96, s17
	;; [unrolled: 1-line block ×14, first 2 shown]
	v_lshrrev_b32_e32 v113, 16, v97
	v_cndmask_b32_e64 v99, v99, v89, s6
	v_cndmask_b32_e64 v104, v111, v93, s6
	;; [unrolled: 1-line block ×11, first 2 shown]
	v_lshrrev_b32_e32 v106, 16, v90
	v_lshrrev_b32_e32 v110, 16, v94
	v_cndmask_b32_e64 v93, v99, v105, s7
	v_cndmask_b32_e64 v99, v104, v109, s7
	;; [unrolled: 1-line block ×9, first 2 shown]
	v_lshrrev_b32_e32 v114, 16, v98
	v_cndmask_b32_e64 v89, v89, v113, s7
	v_cndmask_b32_e64 v93, v93, v90, s8
	;; [unrolled: 1-line block ×19, first 2 shown]
	v_perm_b32 v90, v88, v87, 0x5040100
	v_cndmask_b32_e64 v87, v126, v100, s13
	v_cndmask_b32_e64 v105, v89, v114, s9
	v_perm_b32 v89, v103, v99, 0x5040100
	v_perm_b32 v88, v104, v94, 0x5040100
	v_cndmask_b32_e64 v94, v107, v112, s18
	v_cndmask_b32_e64 v95, v95, v112, s19
	;; [unrolled: 1-line block ×5, first 2 shown]
	v_lshrrev_b32_e32 v117, 16, v101
	v_cndmask_b32_e64 v94, v94, v97, s22
	v_cndmask_b32_e64 v95, v95, v97, s23
	;; [unrolled: 1-line block ×11, first 2 shown]
	v_lshrrev_b32_e32 v118, 16, v102
	v_cndmask_b32_e64 v91, v91, v102, s8
	v_cndmask_b32_e64 v94, v94, v98, s27
	;; [unrolled: 1-line block ×12, first 2 shown]
	v_perm_b32 v87, v93, v92, 0x5040100
	v_perm_b32 v94, v95, v94, 0x5040100
	;; [unrolled: 1-line block ×5, first 2 shown]
	s_mul_i32 s8, s35, 3
	s_mov_b32 s4, exec_lo
	ds_store_b128 v78, v[87:90]
	ds_store_b128 v78, v[91:94] offset:1024
	v_cmpx_gt_u32_e32 3, v0
	s_cbranch_execz .LBB192_16
; %bb.15:
	s_mul_i32 s5, s8, s34
	s_load_b128 s[16:19], s[0:1], 0x58
	v_add3_u32 v77, s5, s33, v77
	s_delay_alu instid0(VALU_DEP_1) | instskip(NEXT) | instid1(VALU_DEP_1)
	v_mad_u64_u32 v[87:88], null, v77, s36, s[14:15]
	v_ashrrev_i32_e32 v88, 31, v87
	s_delay_alu instid0(VALU_DEP_1) | instskip(SKIP_1) | instid1(VALU_DEP_1)
	v_lshlrev_b64 v[87:88], 2, v[87:88]
	s_waitcnt lgkmcnt(0)
	v_add_co_u32 v89, vcc_lo, s18, v87
	s_delay_alu instid0(VALU_DEP_2)
	v_add_co_ci_u32_e32 v90, vcc_lo, s19, v88, vcc_lo
	v_add_co_u32 v87, vcc_lo, s16, v87
	v_add_co_ci_u32_e32 v88, vcc_lo, s17, v88, vcc_lo
	global_store_b32 v[89:90], v85, off
	global_store_b32 v[87:88], v86, off
.LBB192_16:
	s_or_b32 exec_lo, exec_lo, s4
	s_waitcnt lgkmcnt(0)
	s_waitcnt_vscnt null, 0x0
	s_barrier
	buffer_gl0_inv
	ds_load_b128 v[93:96], v79
	ds_load_b128 v[97:100], v79 offset:16
	ds_load_b128 v[105:108], v79 offset:1040
	;; [unrolled: 1-line block ×5, first 2 shown]
	v_cmp_eq_u32_e32 vcc_lo, 1, v84
	v_mov_b32_e32 v85, 0
	ds_load_b128 v[121:124], v79 offset:3088
	ds_load_b128 v[117:120], v79 offset:3072
	ds_load_b128 v[129:132], v79 offset:4112
	ds_load_b128 v[125:128], v79 offset:4096
	v_cmp_eq_u32_e64 s4, 1, v80
	v_cmp_eq_u32_e64 s5, 1, v83
	;; [unrolled: 1-line block ×3, first 2 shown]
	v_mov_b32_e32 v86, v85
	v_mov_b32_e32 v87, v85
	;; [unrolled: 1-line block ×7, first 2 shown]
	v_cmp_eq_u32_e64 s7, 2, v80
	s_waitcnt lgkmcnt(8)
	s_delay_alu instid0(VALU_DEP_2)
	v_wmma_f32_16x16x16_f16 v[85:92], v[65:72], v[93:100], v[85:92]
	ds_load_b128 v[69:72], v79 offset:5136
	ds_load_b128 v[65:68], v79 offset:5120
	;; [unrolled: 1-line block ×4, first 2 shown]
	s_waitcnt lgkmcnt(10)
	v_wmma_f32_16x16x16_f16 v[85:92], v[57:64], v[101:108], v[85:92]
	s_waitcnt lgkmcnt(8)
	s_delay_alu instid0(VALU_DEP_1)
	v_wmma_f32_16x16x16_f16 v[85:92], v[57:64], v[109:116], v[85:92]
	ds_load_b128 v[61:64], v79 offset:7184
	ds_load_b128 v[57:60], v79 offset:7168
	ds_load_b128 v[105:108], v79 offset:8208
	ds_load_b128 v[101:104], v79 offset:8192
	s_waitcnt lgkmcnt(10)
	v_wmma_f32_16x16x16_f16 v[85:92], v[49:56], v[117:124], v[85:92]
	s_waitcnt lgkmcnt(8)
	s_delay_alu instid0(VALU_DEP_1)
	v_wmma_f32_16x16x16_f16 v[85:92], v[49:56], v[125:132], v[85:92]
	ds_load_b128 v[53:56], v79 offset:9232
	ds_load_b128 v[49:52], v79 offset:9216
	s_waitcnt lgkmcnt(8)
	v_wmma_f32_16x16x16_f16 v[85:92], v[41:48], v[65:72], v[85:92]
	ds_load_b128 v[69:72], v79 offset:10256
	ds_load_b128 v[65:68], v79 offset:10240
	s_waitcnt lgkmcnt(8)
	;; [unrolled: 4-line block ×7, first 2 shown]
	s_barrier
	buffer_gl0_inv
	v_wmma_f32_16x16x16_f16 v[85:92], v[33:40], v[41:48], v[85:92]
	s_delay_alu instid0(VALU_DEP_1) | instskip(NEXT) | instid1(VALU_DEP_1)
	v_wmma_f32_16x16x16_f16 v[85:92], v[33:40], v[57:64], v[85:92]
	v_wmma_f32_16x16x16_f16 v[85:92], v[25:32], v[9:16], v[85:92]
	s_delay_alu instid0(VALU_DEP_1) | instskip(NEXT) | instid1(VALU_DEP_1)
	v_wmma_f32_16x16x16_f16 v[85:92], v[25:32], v[49:56], v[85:92]
	v_wmma_f32_16x16x16_f16 v[85:92], v[17:24], v[1:8], v[85:92]
	s_delay_alu instid0(VALU_DEP_1) | instskip(NEXT) | instid1(VALU_DEP_2)
	v_cvt_f16_f32_e32 v1, v85
	v_cvt_f16_f32_e32 v2, v86
	s_delay_alu instid0(VALU_DEP_3) | instskip(NEXT) | instid1(VALU_DEP_4)
	v_cvt_f16_f32_e32 v3, v87
	v_cvt_f16_f32_e32 v4, v88
	;; [unrolled: 1-line block ×6, first 2 shown]
	v_pack_b32_f16 v1, v1, v2
	v_pack_b32_f16 v2, v3, v4
	;; [unrolled: 1-line block ×3, first 2 shown]
	s_delay_alu instid0(VALU_DEP_4)
	v_pack_b32_f16 v4, v7, v8
	ds_store_b128 v78, v[1:4]
	s_waitcnt lgkmcnt(0)
	s_barrier
	buffer_gl0_inv
	ds_load_b128 v[1:4], v81
	ds_load_b128 v[5:8], v81 offset:16
	s_waitcnt lgkmcnt(1)
	v_lshrrev_b32_e32 v9, 16, v1
	s_waitcnt lgkmcnt(0)
	v_lshrrev_b32_e32 v13, 16, v5
	v_lshrrev_b32_e32 v15, 16, v7
	;; [unrolled: 1-line block ×4, first 2 shown]
	v_cndmask_b32_e64 v17, v1, v9, s4
	v_cndmask_b32_e64 v18, v5, v13, s4
	;; [unrolled: 1-line block ×3, first 2 shown]
	v_cmp_eq_u32_e64 s4, 2, v82
	v_cndmask_b32_e64 v20, v5, v13, s6
	v_cndmask_b32_e32 v21, v1, v9, vcc_lo
	v_cndmask_b32_e32 v22, v5, v13, vcc_lo
	v_cndmask_b32_e64 v1, v1, v9, s5
	v_cndmask_b32_e64 v5, v5, v13, s5
	v_cmp_eq_u32_e32 vcc_lo, 2, v84
	v_cmp_eq_u32_e64 s5, 2, v83
	v_cndmask_b32_e64 v9, v17, v2, s7
	v_cndmask_b32_e64 v13, v18, v6, s7
	;; [unrolled: 1-line block ×4, first 2 shown]
	v_cndmask_b32_e32 v19, v21, v2, vcc_lo
	v_cmp_eq_u32_e64 s4, 3, v84
	v_cndmask_b32_e32 v20, v22, v6, vcc_lo
	v_cndmask_b32_e64 v1, v1, v2, s5
	v_cmp_eq_u32_e32 vcc_lo, 3, v83
	v_cmp_eq_u32_e64 s6, 3, v80
	v_cndmask_b32_e64 v2, v5, v6, s5
	v_cmp_eq_u32_e64 s5, 3, v82
	v_lshrrev_b32_e32 v16, 16, v8
	v_cmp_eq_u32_e64 s7, 4, v80
	v_cndmask_b32_e64 v5, v9, v10, s6
	v_cndmask_b32_e64 v6, v13, v14, s6
	;; [unrolled: 1-line block ×3, first 2 shown]
	v_cmp_eq_u32_e64 s6, 4, v82
	v_cndmask_b32_e64 v13, v18, v14, s5
	v_cndmask_b32_e64 v17, v19, v10, s4
	;; [unrolled: 1-line block ×3, first 2 shown]
	v_cndmask_b32_e32 v1, v1, v10, vcc_lo
	v_cndmask_b32_e32 v2, v2, v14, vcc_lo
	v_cmp_eq_u32_e32 vcc_lo, 4, v84
	v_cmp_eq_u32_e64 s5, 4, v83
	v_lshrrev_b32_e32 v11, 16, v3
	v_cndmask_b32_e64 v5, v5, v3, s7
	v_cndmask_b32_e64 v6, v6, v7, s7
	;; [unrolled: 1-line block ×4, first 2 shown]
	v_cndmask_b32_e32 v13, v17, v3, vcc_lo
	v_cmp_eq_u32_e64 s4, 5, v84
	v_cndmask_b32_e32 v14, v18, v7, vcc_lo
	v_cndmask_b32_e64 v1, v1, v3, s5
	v_cmp_eq_u32_e32 vcc_lo, 5, v83
	v_cmp_eq_u32_e64 s6, 5, v80
	v_cndmask_b32_e64 v2, v2, v7, s5
	v_cmp_eq_u32_e64 s5, 5, v82
	v_cmp_eq_u32_e64 s7, 6, v80
	v_cndmask_b32_e32 v1, v1, v11, vcc_lo
	v_cndmask_b32_e64 v3, v5, v11, s6
	v_cndmask_b32_e64 v5, v6, v15, s6
	;; [unrolled: 1-line block ×3, first 2 shown]
	v_cmp_eq_u32_e64 s6, 6, v82
	v_cndmask_b32_e64 v7, v10, v15, s5
	v_cndmask_b32_e64 v9, v13, v11, s4
	;; [unrolled: 1-line block ×3, first 2 shown]
	v_cndmask_b32_e32 v2, v2, v15, vcc_lo
	v_cmp_eq_u32_e32 vcc_lo, 6, v84
	v_cmp_eq_u32_e64 s4, 6, v83
	v_lshrrev_b32_e32 v12, 16, v4
	v_cndmask_b32_e64 v3, v3, v4, s7
	v_cndmask_b32_e64 v5, v5, v8, s7
	;; [unrolled: 1-line block ×4, first 2 shown]
	v_cndmask_b32_e32 v9, v9, v4, vcc_lo
	v_cmp_eq_u32_e64 s5, 7, v84
	v_cndmask_b32_e32 v10, v10, v8, vcc_lo
	v_cndmask_b32_e64 v1, v1, v4, s4
	v_cmp_eq_u32_e32 vcc_lo, 7, v83
	v_cndmask_b32_e64 v2, v2, v8, s4
	v_cmp_eq_u32_e64 s4, 7, v80
	v_cmp_eq_u32_e64 s6, 7, v82
	v_cndmask_b32_e32 v1, v1, v12, vcc_lo
	s_delay_alu instid0(VALU_DEP_4) | instskip(NEXT) | instid1(VALU_DEP_4)
	v_cndmask_b32_e32 v2, v2, v16, vcc_lo
	v_cndmask_b32_e64 v8, v3, v12, s4
	s_delay_alu instid0(VALU_DEP_4)
	v_cndmask_b32_e64 v6, v6, v12, s6
	v_cndmask_b32_e64 v3, v9, v12, s5
	;; [unrolled: 1-line block ×5, first 2 shown]
	v_cmp_gt_u32_e32 vcc_lo, 32, v0
	v_perm_b32 v4, v2, v1, 0x5040100
	v_perm_b32 v3, v9, v3, 0x5040100
	;; [unrolled: 1-line block ×4, first 2 shown]
	s_and_b32 s2, vcc_lo, s2
	ds_store_b128 v78, v[1:4]
	s_waitcnt lgkmcnt(0)
	s_barrier
	buffer_gl0_inv
	s_and_saveexec_b32 s4, s2
	s_cbranch_execz .LBB192_2
; %bb.17:
	s_load_b64 s[4:5], s[0:1], 0x68
	v_lshlrev_b32_e32 v0, 10, v0
	v_lshlrev_b32_e32 v2, 4, v76
	v_add_nc_u32_e32 v1, s33, v75
	s_lshl_b32 s0, s36, 6
	s_delay_alu instid0(SALU_CYCLE_1) | instskip(NEXT) | instid1(VALU_DEP_2)
	s_mul_i32 s1, s0, s34
	v_and_or_b32 v0, 0x3800, v0, v2
	s_mul_i32 s6, s1, s8
	v_mul_lo_u32 v1, v1, s0
	s_ashr_i32 s7, s6, 31
	s_delay_alu instid0(VALU_DEP_2) | instskip(SKIP_1) | instid1(VALU_DEP_2)
	v_lshl_or_b32 v3, v75, 6, v0
	s_lshl_b64 s[6:7], s[6:7], 1
	v_ashrrev_i32_e32 v2, 31, v1
	ds_load_b128 v[3:6], v3
	s_waitcnt lgkmcnt(0)
	s_add_u32 s1, s4, s6
	s_addc_u32 s2, s5, s7
	s_lshl_b32 s4, s14, 6
	v_lshlrev_b64 v[7:8], 1, v[1:2]
	s_ashr_i32 s5, s4, 31
	s_delay_alu instid0(SALU_CYCLE_1) | instskip(NEXT) | instid1(SALU_CYCLE_1)
	s_lshl_b64 s[4:5], s[4:5], 1
	s_add_u32 s1, s1, s4
	s_addc_u32 s2, s2, s5
	v_add_co_u32 v1, vcc_lo, s1, v73
	v_add_co_ci_u32_e32 v2, vcc_lo, s2, v74, vcc_lo
	s_delay_alu instid0(VALU_DEP_2) | instskip(NEXT) | instid1(VALU_DEP_2)
	v_add_co_u32 v7, vcc_lo, v1, v7
	v_add_co_ci_u32_e32 v8, vcc_lo, v2, v8, vcc_lo
	global_store_b128 v[7:8], v[3:6], off
	s_and_b32 exec_lo, exec_lo, s3
	s_cbranch_execz .LBB192_2
; %bb.18:
	ds_load_b128 v[3:6], v0 offset:128
	s_add_i32 s1, s33, 2
	s_delay_alu instid0(SALU_CYCLE_1) | instskip(NEXT) | instid1(SALU_CYCLE_1)
	s_mul_i32 s0, s1, s0
	s_ashr_i32 s1, s0, 31
	s_delay_alu instid0(SALU_CYCLE_1) | instskip(NEXT) | instid1(SALU_CYCLE_1)
	s_lshl_b64 s[0:1], s[0:1], 1
	v_add_co_u32 v0, vcc_lo, v1, s0
	v_add_co_ci_u32_e32 v1, vcc_lo, s1, v2, vcc_lo
	s_waitcnt lgkmcnt(0)
	global_store_b128 v[0:1], v[3:6], off
	s_nop 0
	s_sendmsg sendmsg(MSG_DEALLOC_VGPRS)
	s_endpgm
	.section	.rodata,"a",@progbits
	.p2align	6, 0x0
	.amdhsa_kernel _Z39paged_attention_ll4mi_QKV_mfma16_kernelIDF16_DF16_LN4vllm18Fp8KVCacheDataTypeE0EDF16_Li32ELi64ELi256ELb0ELi3EL8MFMAType0EEvPKT_PKT0_S8_ifPKiSA_SA_iPKfiiiPfSD_PS3_PT2_iSC_SC_
		.amdhsa_group_segment_fixed_size 17472
		.amdhsa_private_segment_fixed_size 0
		.amdhsa_kernarg_size 400
		.amdhsa_user_sgpr_count 13
		.amdhsa_user_sgpr_dispatch_ptr 0
		.amdhsa_user_sgpr_queue_ptr 0
		.amdhsa_user_sgpr_kernarg_segment_ptr 1
		.amdhsa_user_sgpr_dispatch_id 0
		.amdhsa_user_sgpr_private_segment_size 0
		.amdhsa_wavefront_size32 1
		.amdhsa_uses_dynamic_stack 0
		.amdhsa_enable_private_segment 0
		.amdhsa_system_sgpr_workgroup_id_x 1
		.amdhsa_system_sgpr_workgroup_id_y 1
		.amdhsa_system_sgpr_workgroup_id_z 1
		.amdhsa_system_sgpr_workgroup_info 0
		.amdhsa_system_vgpr_workitem_id 0
		.amdhsa_next_free_vgpr 154
		.amdhsa_next_free_sgpr 39
		.amdhsa_reserve_vcc 1
		.amdhsa_float_round_mode_32 0
		.amdhsa_float_round_mode_16_64 0
		.amdhsa_float_denorm_mode_32 3
		.amdhsa_float_denorm_mode_16_64 3
		.amdhsa_dx10_clamp 1
		.amdhsa_ieee_mode 1
		.amdhsa_fp16_overflow 0
		.amdhsa_workgroup_processor_mode 1
		.amdhsa_memory_ordered 1
		.amdhsa_forward_progress 0
		.amdhsa_shared_vgpr_count 0
		.amdhsa_exception_fp_ieee_invalid_op 0
		.amdhsa_exception_fp_denorm_src 0
		.amdhsa_exception_fp_ieee_div_zero 0
		.amdhsa_exception_fp_ieee_overflow 0
		.amdhsa_exception_fp_ieee_underflow 0
		.amdhsa_exception_fp_ieee_inexact 0
		.amdhsa_exception_int_div_zero 0
	.end_amdhsa_kernel
	.section	.text._Z39paged_attention_ll4mi_QKV_mfma16_kernelIDF16_DF16_LN4vllm18Fp8KVCacheDataTypeE0EDF16_Li32ELi64ELi256ELb0ELi3EL8MFMAType0EEvPKT_PKT0_S8_ifPKiSA_SA_iPKfiiiPfSD_PS3_PT2_iSC_SC_,"axG",@progbits,_Z39paged_attention_ll4mi_QKV_mfma16_kernelIDF16_DF16_LN4vllm18Fp8KVCacheDataTypeE0EDF16_Li32ELi64ELi256ELb0ELi3EL8MFMAType0EEvPKT_PKT0_S8_ifPKiSA_SA_iPKfiiiPfSD_PS3_PT2_iSC_SC_,comdat
.Lfunc_end192:
	.size	_Z39paged_attention_ll4mi_QKV_mfma16_kernelIDF16_DF16_LN4vllm18Fp8KVCacheDataTypeE0EDF16_Li32ELi64ELi256ELb0ELi3EL8MFMAType0EEvPKT_PKT0_S8_ifPKiSA_SA_iPKfiiiPfSD_PS3_PT2_iSC_SC_, .Lfunc_end192-_Z39paged_attention_ll4mi_QKV_mfma16_kernelIDF16_DF16_LN4vllm18Fp8KVCacheDataTypeE0EDF16_Li32ELi64ELi256ELb0ELi3EL8MFMAType0EEvPKT_PKT0_S8_ifPKiSA_SA_iPKfiiiPfSD_PS3_PT2_iSC_SC_
                                        ; -- End function
	.section	.AMDGPU.csdata,"",@progbits
; Kernel info:
; codeLenInByte = 7172
; NumSgprs: 41
; NumVgprs: 154
; ScratchSize: 0
; MemoryBound: 0
; FloatMode: 240
; IeeeMode: 1
; LDSByteSize: 17472 bytes/workgroup (compile time only)
; SGPRBlocks: 5
; VGPRBlocks: 19
; NumSGPRsForWavesPerEU: 41
; NumVGPRsForWavesPerEU: 154
; Occupancy: 9
; WaveLimiterHint : 1
; COMPUTE_PGM_RSRC2:SCRATCH_EN: 0
; COMPUTE_PGM_RSRC2:USER_SGPR: 13
; COMPUTE_PGM_RSRC2:TRAP_HANDLER: 0
; COMPUTE_PGM_RSRC2:TGID_X_EN: 1
; COMPUTE_PGM_RSRC2:TGID_Y_EN: 1
; COMPUTE_PGM_RSRC2:TGID_Z_EN: 1
; COMPUTE_PGM_RSRC2:TIDIG_COMP_CNT: 0
	.section	.text._Z39paged_attention_ll4mi_QKV_mfma16_kernelIDF16_DF16_LN4vllm18Fp8KVCacheDataTypeE0EDF16_Li32ELi64ELi256ELb0ELi4EL8MFMAType0EEvPKT_PKT0_S8_ifPKiSA_SA_iPKfiiiPfSD_PS3_PT2_iSC_SC_,"axG",@progbits,_Z39paged_attention_ll4mi_QKV_mfma16_kernelIDF16_DF16_LN4vllm18Fp8KVCacheDataTypeE0EDF16_Li32ELi64ELi256ELb0ELi4EL8MFMAType0EEvPKT_PKT0_S8_ifPKiSA_SA_iPKfiiiPfSD_PS3_PT2_iSC_SC_,comdat
	.protected	_Z39paged_attention_ll4mi_QKV_mfma16_kernelIDF16_DF16_LN4vllm18Fp8KVCacheDataTypeE0EDF16_Li32ELi64ELi256ELb0ELi4EL8MFMAType0EEvPKT_PKT0_S8_ifPKiSA_SA_iPKfiiiPfSD_PS3_PT2_iSC_SC_ ; -- Begin function _Z39paged_attention_ll4mi_QKV_mfma16_kernelIDF16_DF16_LN4vllm18Fp8KVCacheDataTypeE0EDF16_Li32ELi64ELi256ELb0ELi4EL8MFMAType0EEvPKT_PKT0_S8_ifPKiSA_SA_iPKfiiiPfSD_PS3_PT2_iSC_SC_
	.globl	_Z39paged_attention_ll4mi_QKV_mfma16_kernelIDF16_DF16_LN4vllm18Fp8KVCacheDataTypeE0EDF16_Li32ELi64ELi256ELb0ELi4EL8MFMAType0EEvPKT_PKT0_S8_ifPKiSA_SA_iPKfiiiPfSD_PS3_PT2_iSC_SC_
	.p2align	8
	.type	_Z39paged_attention_ll4mi_QKV_mfma16_kernelIDF16_DF16_LN4vllm18Fp8KVCacheDataTypeE0EDF16_Li32ELi64ELi256ELb0ELi4EL8MFMAType0EEvPKT_PKT0_S8_ifPKiSA_SA_iPKfiiiPfSD_PS3_PT2_iSC_SC_,@function
_Z39paged_attention_ll4mi_QKV_mfma16_kernelIDF16_DF16_LN4vllm18Fp8KVCacheDataTypeE0EDF16_Li32ELi64ELi256ELb0ELi4EL8MFMAType0EEvPKT_PKT0_S8_ifPKiSA_SA_iPKfiiiPfSD_PS3_PT2_iSC_SC_: ; @_Z39paged_attention_ll4mi_QKV_mfma16_kernelIDF16_DF16_LN4vllm18Fp8KVCacheDataTypeE0EDF16_Li32ELi64ELi256ELb0ELi4EL8MFMAType0EEvPKT_PKT0_S8_ifPKiSA_SA_iPKfiiiPfSD_PS3_PT2_iSC_SC_
; %bb.0:
	s_load_b64 s[2:3], s[0:1], 0x30
	s_mov_b32 s34, s13
	s_waitcnt lgkmcnt(0)
	s_cmp_lg_u64 s[2:3], 0
	s_cselect_b32 s6, -1, 0
	s_ashr_i32 s35, s13, 31
	s_cmp_eq_u64 s[2:3], 0
	s_cbranch_scc1 .LBB193_3
; %bb.1:
	s_lshl_b64 s[4:5], s[34:35], 2
	s_delay_alu instid0(SALU_CYCLE_1) | instskip(SKIP_4) | instid1(SALU_CYCLE_1)
	s_add_u32 s4, s2, s4
	s_addc_u32 s5, s3, s5
	s_load_b64 s[4:5], s[4:5], 0x0
	s_waitcnt lgkmcnt(0)
	s_sub_i32 s4, s5, s4
	s_cmp_eq_u32 s4, 1
	s_cselect_b32 s4, -1, 0
	s_delay_alu instid0(SALU_CYCLE_1)
	s_and_not1_b32 vcc_lo, exec_lo, s4
	s_cbranch_vccz .LBB193_4
.LBB193_2:
	s_endpgm
.LBB193_3:
.LBB193_4:
	s_load_b64 s[8:9], s[0:1], 0x28
	s_lshl_b64 s[4:5], s[34:35], 2
	s_waitcnt lgkmcnt(0)
	s_add_u32 s8, s8, s4
	s_addc_u32 s9, s9, s5
	s_lshl_b32 s16, s14, 8
	s_load_b32 s18, s[8:9], 0x0
	s_waitcnt lgkmcnt(0)
	s_cmp_ge_i32 s16, s18
	s_cbranch_scc1 .LBB193_2
; %bb.5:
	s_and_not1_b32 vcc_lo, exec_lo, s6
	s_cbranch_vccnz .LBB193_7
; %bb.6:
	s_add_u32 s2, s2, s4
	s_addc_u32 s3, s3, s5
	s_load_b32 s17, s[2:3], 0x0
	s_branch .LBB193_8
.LBB193_7:
	s_mov_b32 s17, s34
.LBB193_8:
	s_clause 0x2
	s_load_b128 s[8:11], s[0:1], 0x8
	s_load_b64 s[12:13], s[0:1], 0x20
	s_load_b128 s[4:7], s[0:1], 0x48
	v_and_b32_e32 v79, 15, v0
	v_cmp_lt_u32_e32 vcc_lo, 63, v0
	s_delay_alu instid0(VALU_DEP_2) | instskip(SKIP_2) | instid1(VALU_DEP_3)
	v_cmp_lt_u32_e64 s3, 7, v79
	v_lshlrev_b32_e32 v1, 3, v79
	v_cmp_gt_u32_e64 s2, 8, v79
	s_or_b32 s3, vcc_lo, s3
	s_waitcnt lgkmcnt(0)
	s_and_saveexec_b32 s7, s3
	s_delay_alu instid0(SALU_CYCLE_1)
	s_xor_b32 s3, exec_lo, s7
; %bb.9:
	v_mov_b32_e32 v2, 0
; %bb.10:
	s_or_saveexec_b32 s3, s3
	v_lshrrev_b32_e32 v78, 5, v0
	v_and_b32_e32 v80, 31, v0
	v_and_b32_e32 v76, 1, v0
	v_bfe_u32 v75, v0, 4, 1
	s_lshl_b32 s31, s15, 2
	s_xor_b32 exec_lo, exec_lo, s3
	s_cbranch_execz .LBB193_12
; %bb.11:
	s_delay_alu instid0(VALU_DEP_1)
	v_lshl_or_b32 v7, v78, 1, v75
	s_load_b64 s[20:21], s[0:1], 0x0
	s_mul_hi_i32 s23, s17, s4
	s_mul_i32 s22, s17, s4
	v_lshlrev_b32_e32 v4, 1, v1
	v_or_b32_e32 v2, s31, v7
	s_lshl_b64 s[22:23], s[22:23], 1
	v_lshlrev_b32_e32 v7, 6, v7
	v_lshlrev_b32_e32 v8, 10, v76
	s_delay_alu instid0(VALU_DEP_3) | instskip(NEXT) | instid1(VALU_DEP_1)
	v_lshlrev_b32_e32 v2, 6, v2
	v_ashrrev_i32_e32 v3, 31, v2
	s_delay_alu instid0(VALU_DEP_1) | instskip(SKIP_3) | instid1(VALU_DEP_1)
	v_lshlrev_b64 v[2:3], 1, v[2:3]
	s_waitcnt lgkmcnt(0)
	s_add_u32 s4, s20, s22
	s_addc_u32 s7, s21, s23
	v_add_co_u32 v2, vcc_lo, s4, v2
	s_delay_alu instid0(VALU_DEP_2) | instskip(NEXT) | instid1(VALU_DEP_2)
	v_add_co_ci_u32_e32 v3, vcc_lo, s7, v3, vcc_lo
	v_add_co_u32 v2, vcc_lo, v2, v4
	s_delay_alu instid0(VALU_DEP_2) | instskip(SKIP_2) | instid1(VALU_DEP_1)
	v_add_co_ci_u32_e32 v3, vcc_lo, 0, v3, vcc_lo
	global_load_b128 v[3:6], v[2:3], off
	v_lshlrev_b32_e32 v2, 10, v79
	v_and_b32_e32 v2, 0x3800, v2
	s_delay_alu instid0(VALU_DEP_1)
	v_or3_b32 v7, v2, v8, v7
	v_mov_b32_e32 v2, 0
	s_waitcnt vmcnt(0)
	ds_store_b128 v7, v[3:6]
.LBB193_12:
	s_or_b32 exec_lo, exec_lo, s3
	v_and_b32_e32 v3, 0xef, v0
	s_add_i32 s3, s18, 31
	s_clause 0x1
	s_load_b32 s4, s[0:1], 0x38
	s_load_b32 s33, s[0:1], 0x98
	s_ashr_i32 s7, s3, 31
	v_add_nc_u32_e32 v3, s16, v3
	s_lshr_b32 s7, s7, 27
	s_load_b32 s19, s[0:1], 0x1c
	s_add_i32 s3, s3, s7
	s_waitcnt lgkmcnt(0)
	v_ashrrev_i32_e32 v4, 31, v3
	v_cmp_gt_i32_e32 vcc_lo, s18, v3
	s_ashr_i32 s3, s3, 5
	s_barrier
	s_add_i32 s3, s3, -1
	v_lshrrev_b32_e32 v5, 27, v4
	v_or_b32_e32 v4, 16, v3
	buffer_gl0_inv
	s_mul_i32 s6, s15, s6
	v_lshlrev_b64 v[73:74], 1, v[1:2]
	v_add_nc_u32_e32 v6, v3, v5
	v_add_nc_u32_e32 v5, v4, v5
	s_mul_i32 s20, s34, s4
	v_lshlrev_b32_e32 v77, 6, v79
	s_ashr_i32 s21, s20, 31
	v_ashrrev_i32_e32 v6, 5, v6
	v_ashrrev_i32_e32 v5, 5, v5
	s_lshl_b64 s[20:21], s[20:21], 2
	v_lshl_or_b32 v33, v78, 10, v77
	s_add_u32 s4, s12, s20
	v_cndmask_b32_e32 v3, s3, v6, vcc_lo
	v_cmp_gt_i32_e32 vcc_lo, s18, v4
	s_addc_u32 s17, s13, s21
	s_ashr_i32 s7, s6, 31
	s_delay_alu instid0(SALU_CYCLE_1)
	s_lshl_b64 s[6:7], s[6:7], 1
	v_cndmask_b32_e32 v5, s3, v5, vcc_lo
	v_ashrrev_i32_e32 v4, 31, v3
	s_add_u32 s15, s8, s6
	s_addc_u32 s28, s9, s7
	s_lshl_b32 s8, s14, 3
	v_ashrrev_i32_e32 v6, 31, v5
	v_lshlrev_b64 v[3:4], 2, v[3:4]
	s_ashr_i32 s9, s8, 31
	s_delay_alu instid0(SALU_CYCLE_1) | instskip(NEXT) | instid1(VALU_DEP_2)
	s_lshl_b64 s[8:9], s[8:9], 2
	v_lshlrev_b64 v[5:6], 2, v[5:6]
	s_add_u32 s8, s4, s8
	s_delay_alu instid0(VALU_DEP_2) | instskip(SKIP_1) | instid1(VALU_DEP_3)
	v_add_co_u32 v3, vcc_lo, s4, v3
	v_add_co_ci_u32_e32 v4, vcc_lo, s17, v4, vcc_lo
	v_add_co_u32 v5, vcc_lo, s4, v5
	s_delay_alu instid0(VALU_DEP_4)
	v_add_co_ci_u32_e32 v6, vcc_lo, s17, v6, vcc_lo
	s_addc_u32 s9, s17, s9
	s_clause 0x1
	global_load_b32 v7, v[3:4], off
	global_load_b32 v8, v[5:6], off
	s_or_b32 s12, s16, 32
	s_delay_alu instid0(SALU_CYCLE_1) | instskip(SKIP_2) | instid1(SALU_CYCLE_1)
	s_ashr_i32 s13, s12, 5
	s_cmp_lt_i32 s12, s18
	s_cselect_b32 s12, s13, s3
	s_ashr_i32 s13, s12, 31
	s_delay_alu instid0(SALU_CYCLE_1) | instskip(NEXT) | instid1(SALU_CYCLE_1)
	s_lshl_b64 s[12:13], s[12:13], 2
	s_add_u32 s12, s4, s12
	s_addc_u32 s13, s17, s13
	s_or_b32 s20, s16, 64
	s_delay_alu instid0(SALU_CYCLE_1) | instskip(SKIP_2) | instid1(SALU_CYCLE_1)
	s_ashr_i32 s21, s20, 5
	s_cmp_lt_i32 s20, s18
	s_cselect_b32 s20, s21, s3
	s_ashr_i32 s21, s20, 31
	s_delay_alu instid0(SALU_CYCLE_1) | instskip(NEXT) | instid1(SALU_CYCLE_1)
	s_lshl_b64 s[20:21], s[20:21], 2
	s_add_u32 s20, s4, s20
	s_addc_u32 s21, s17, s21
	;; [unrolled: 10-line block ×5, first 2 shown]
	s_clause 0x5
	s_load_b32 s29, s[8:9], 0x0
	s_load_b32 s30, s[12:13], 0x0
	;; [unrolled: 1-line block ×6, first 2 shown]
	s_or_b32 s8, s16, 0xc0
	s_mov_b32 s20, 0
	s_ashr_i32 s9, s8, 5
	s_cmp_lt_i32 s8, s18
	s_mov_b32 s27, s20
	s_cselect_b32 s8, s9, s3
	s_mov_b32 s21, s20
	s_ashr_i32 s9, s8, 31
	s_mov_b32 s22, s20
	s_lshl_b64 s[8:9], s[8:9], 2
	s_mov_b32 s23, s20
	s_add_u32 s8, s4, s8
	s_mov_b32 s24, s20
	s_mov_b32 s25, s20
	;; [unrolled: 1-line block ×3, first 2 shown]
	s_addc_u32 s9, s17, s9
	v_dual_mov_b32 v128, s27 :: v_dual_mov_b32 v127, s26
	v_dual_mov_b32 v126, s25 :: v_dual_mov_b32 v125, s24
	v_dual_mov_b32 v124, s23 :: v_dual_mov_b32 v123, s22
	v_mov_b32_e32 v121, s20
	s_waitcnt lgkmcnt(0)
	s_mul_hi_i32 s13, s29, s5
	s_mul_i32 s12, s29, s5
	v_mov_b32_e32 v122, s21
	s_mul_hi_i32 s21, s30, s5
	s_mul_i32 s20, s30, s5
	s_mul_hi_i32 s25, s35, s5
	s_mul_i32 s24, s35, s5
	;; [unrolled: 2-line block ×3, first 2 shown]
	s_mul_i32 s36, s38, s5
	s_waitcnt vmcnt(1)
	v_mad_i64_i32 v[3:4], null, v7, s5, 0
	s_waitcnt vmcnt(0)
	v_mad_i64_i32 v[5:6], null, v8, s5, 0
	s_delay_alu instid0(VALU_DEP_2) | instskip(NEXT) | instid1(VALU_DEP_2)
	v_lshlrev_b64 v[3:4], 1, v[3:4]
	v_lshlrev_b64 v[1:2], 1, v[5:6]
	s_delay_alu instid0(VALU_DEP_2) | instskip(NEXT) | instid1(VALU_DEP_3)
	v_add_co_u32 v3, vcc_lo, s15, v3
	v_add_co_ci_u32_e32 v4, vcc_lo, s28, v4, vcc_lo
	s_delay_alu instid0(VALU_DEP_3) | instskip(NEXT) | instid1(VALU_DEP_4)
	v_add_co_u32 v1, vcc_lo, s15, v1
	v_add_co_ci_u32_e32 v2, vcc_lo, s28, v2, vcc_lo
	s_delay_alu instid0(VALU_DEP_4) | instskip(NEXT) | instid1(VALU_DEP_4)
	v_add_co_u32 v25, vcc_lo, v3, v73
	v_add_co_ci_u32_e32 v26, vcc_lo, v4, v74, vcc_lo
	s_delay_alu instid0(VALU_DEP_4) | instskip(NEXT) | instid1(VALU_DEP_4)
	v_add_co_u32 v27, vcc_lo, v1, v73
	v_add_co_ci_u32_e32 v28, vcc_lo, v2, v74, vcc_lo
	s_clause 0xf
	global_load_b128 v[1:4], v[25:26], off
	global_load_b128 v[5:8], v[25:26], off offset:512
	global_load_b128 v[9:12], v[27:28], off offset:256
	;; [unrolled: 1-line block ×15, first 2 shown]
	s_or_b32 s15, s16, 0xe0
	v_and_b32_e32 v25, 3, v0
	s_ashr_i32 s22, s15, 5
	s_cmp_lt_i32 s15, s18
	s_cselect_b32 s22, s22, s3
	s_delay_alu instid0(VALU_DEP_1)
	v_lshlrev_b32_e32 v151, 6, v25
	s_ashr_i32 s23, s22, 31
	ds_load_b128 v[25:28], v151
	ds_load_b128 v[29:32], v151 offset:1024
	s_lshl_b64 s[22:23], s[22:23], 2
	ds_load_b128 v[129:132], v151 offset:2048
	ds_load_b128 v[133:136], v151 offset:3072
	s_add_u32 s22, s4, s22
	s_addc_u32 s23, s17, s23
	s_add_i32 s15, s16, 0x100
	s_delay_alu instid0(SALU_CYCLE_1)
	s_ashr_i32 s28, s15, 5
	s_cmp_lt_i32 s15, s18
	s_load_b32 s15, s[8:9], 0x0
	s_cselect_b32 s28, s28, s3
	s_mul_hi_i32 s9, s37, s5
	s_ashr_i32 s29, s28, 31
	s_mul_i32 s8, s37, s5
	s_lshl_b64 s[28:29], s[28:29], 2
	s_mul_hi_i32 s37, s38, s5
	s_add_u32 s28, s4, s28
	s_addc_u32 s29, s17, s29
	s_add_u32 s3, s10, s6
	s_clause 0x1
	s_load_b32 s4, s[22:23], 0x0
	s_load_b32 s17, s[28:29], 0x0
	s_addc_u32 s28, s11, s7
	v_add_co_u32 v152, s3, s3, v33
	s_delay_alu instid0(VALU_DEP_1) | instskip(SKIP_2) | instid1(VALU_DEP_2)
	v_add_co_ci_u32_e64 v153, null, s28, 0, s3
	s_lshl_b64 s[6:7], s[12:13], 1
	s_lshl_b64 s[10:11], s[20:21], 1
	v_add_co_u32 v33, vcc_lo, v152, s6
	s_delay_alu instid0(VALU_DEP_2)
	v_add_co_ci_u32_e32 v34, vcc_lo, s7, v153, vcc_lo
	v_add_co_u32 v35, vcc_lo, v152, s10
	s_lshl_b64 s[12:13], s[24:25], 1
	v_add_co_ci_u32_e32 v36, vcc_lo, s11, v153, vcc_lo
	v_add_co_u32 v37, vcc_lo, v152, s12
	s_lshl_b64 s[20:21], s[26:27], 1
	v_add_co_ci_u32_e32 v38, vcc_lo, s13, v153, vcc_lo
	v_add_co_u32 v39, vcc_lo, v152, s20
	s_lshl_b64 s[8:9], s[8:9], 1
	v_add_co_ci_u32_e32 v40, vcc_lo, s21, v153, vcc_lo
	v_add_co_u32 v145, vcc_lo, v152, s8
	s_lshl_b64 s[22:23], s[36:37], 1
	s_waitcnt lgkmcnt(0)
	s_mul_hi_i32 s25, s15, s5
	s_mul_i32 s24, s15, s5
	v_add_co_ci_u32_e32 v146, vcc_lo, s9, v153, vcc_lo
	v_add_co_u32 v147, vcc_lo, v152, s22
	s_lshl_b64 s[24:25], s[24:25], 1
	v_add_co_ci_u32_e32 v148, vcc_lo, s23, v153, vcc_lo
	s_mul_hi_i32 s7, s4, s5
	s_mul_i32 s6, s4, s5
	v_add_co_u32 v149, vcc_lo, v152, s24
	s_lshl_b64 s[6:7], s[6:7], 1
	v_add_co_ci_u32_e32 v150, vcc_lo, s25, v153, vcc_lo
	s_clause 0x7
	global_load_b128 v[65:68], v[33:34], off
	global_load_b128 v[69:72], v[33:34], off offset:16
	global_load_b128 v[57:60], v[35:36], off
	global_load_b128 v[61:64], v[35:36], off offset:16
	;; [unrolled: 2-line block ×4, first 2 shown]
	s_waitcnt vmcnt(22)
	v_wmma_f32_16x16x16_f16 v[137:144], v[1:8], v[25:32], v[121:128]
	s_waitcnt vmcnt(20)
	v_wmma_f32_16x16x16_f16 v[121:128], v[9:16], v[25:32], v[121:128]
	v_add_co_u32 v29, vcc_lo, v152, s6
	v_add_co_ci_u32_e32 v30, vcc_lo, s7, v153, vcc_lo
	s_mul_hi_i32 s7, s17, s5
	s_mul_i32 s6, s17, s5
	s_waitcnt vmcnt(18)
	v_wmma_f32_16x16x16_f16 v[137:144], v[17:24], v[129:136], v[137:144]
	s_lshl_b64 s[4:5], s[6:7], 1
	s_clause 0x1
	global_load_b128 v[9:12], v[145:146], off
	global_load_b128 v[13:16], v[145:146], off offset:16
	v_add_co_u32 v21, vcc_lo, v152, s4
	v_add_co_ci_u32_e32 v22, vcc_lo, s5, v153, vcc_lo
	s_clause 0x7
	global_load_b128 v[1:4], v[147:148], off
	global_load_b128 v[5:8], v[147:148], off offset:16
	global_load_b128 v[33:36], v[149:150], off
	global_load_b128 v[37:40], v[149:150], off offset:16
	;; [unrolled: 2-line block ×4, first 2 shown]
	s_waitcnt vmcnt(26)
	v_wmma_f32_16x16x16_f16 v[121:128], v[81:88], v[129:136], v[121:128]
	ds_load_b128 v[81:84], v151 offset:4096
	ds_load_b128 v[85:88], v151 offset:5120
	v_mbcnt_lo_u32_b32 v130, -1, 0
	s_delay_alu instid0(VALU_DEP_1) | instskip(NEXT) | instid1(VALU_DEP_1)
	v_xor_b32_e32 v131, 16, v130
	v_cmp_gt_i32_e32 vcc_lo, 32, v131
	v_cndmask_b32_e32 v130, v130, v131, vcc_lo
	s_waitcnt vmcnt(24) lgkmcnt(0)
	v_wmma_f32_16x16x16_f16 v[137:144], v[89:96], v[81:88], v[137:144]
	ds_load_b128 v[89:92], v151 offset:6144
	ds_load_b128 v[93:96], v151 offset:7168
	s_waitcnt vmcnt(22)
	v_wmma_f32_16x16x16_f16 v[121:128], v[97:104], v[81:88], v[121:128]
	s_waitcnt vmcnt(0) lgkmcnt(0)
	s_barrier
	buffer_gl0_inv
	v_wmma_f32_16x16x16_f16 v[137:144], v[105:112], v[89:96], v[137:144]
	v_and_b32_e32 v129, 0xe0, v0
	v_wmma_f32_16x16x16_f16 v[121:128], v[113:120], v[89:96], v[121:128]
	s_delay_alu instid0(VALU_DEP_3) | instskip(NEXT) | instid1(VALU_DEP_2)
	v_mul_f32_e32 v96, s19, v137
	v_dual_mul_f32 v104, s19, v126 :: v_dual_add_nc_u32 v129, s16, v129
	v_mul_f32_e32 v95, s19, v138
	v_dual_mul_f32 v93, s19, v140 :: v_dual_mul_f32 v94, s19, v139
	s_delay_alu instid0(VALU_DEP_3) | instskip(SKIP_3) | instid1(VALU_DEP_4)
	v_or_b32_e32 v129, v129, v75
	v_dual_mul_f32 v91, s19, v142 :: v_dual_mul_f32 v106, s19, v124
	v_dual_mul_f32 v92, s19, v141 :: v_dual_mul_f32 v89, s19, v144
	v_mul_f32_e32 v108, s19, v122
	v_or_b32_e32 v131, 2, v129
	v_or_b32_e32 v132, 4, v129
	;; [unrolled: 1-line block ×3, first 2 shown]
	v_cmp_gt_i32_e32 vcc_lo, s18, v129
	v_or_b32_e32 v82, 8, v129
	v_cmp_gt_i32_e64 s3, s18, v131
	v_or_b32_e32 v83, 10, v129
	v_cmp_gt_i32_e64 s4, s18, v132
	v_cndmask_b32_e32 v96, 0xff7fffff, v96, vcc_lo
	v_cmp_gt_i32_e64 s5, s18, v81
	v_cndmask_b32_e64 v95, 0xff7fffff, v95, s3
	v_or_b32_e32 v84, 12, v129
	v_or_b32_e32 v85, 14, v129
	v_cndmask_b32_e64 v94, 0xff7fffff, v94, s4
	v_cndmask_b32_e64 v81, 0xff7fffff, v93, s5
	v_max3_f32 v93, v96, 0xff7fffff, v95
	v_cmp_gt_i32_e64 s6, s18, v82
	v_cmp_gt_i32_e64 s7, s18, v83
	v_or_b32_e32 v86, 16, v129
	v_or_b32_e32 v87, 18, v129
	v_mul_f32_e32 v90, s19, v143
	v_cndmask_b32_e64 v82, 0xff7fffff, v92, s6
	v_cndmask_b32_e64 v83, 0xff7fffff, v91, s7
	v_max3_f32 v81, v93, v94, v81
	v_cmp_gt_i32_e64 s8, s18, v84
	v_cmp_gt_i32_e64 s9, s18, v85
	v_or_b32_e32 v88, 20, v129
	v_or_b32_e32 v97, 22, v129
	v_mul_f32_e32 v109, s19, v121
	;; [unrolled: 8-line block ×4, first 2 shown]
	v_cndmask_b32_e64 v84, 0xff7fffff, v107, s12
	v_cndmask_b32_e64 v85, 0xff7fffff, v106, s13
	v_max3_f32 v81, v81, v82, v83
	v_cmp_gt_i32_e64 s15, s18, v98
	v_cmp_gt_i32_e64 s16, s18, v99
	v_dual_mul_f32 v102, s19, v128 :: v_dual_mul_f32 v103, s19, v127
	s_delay_alu instid0(VALU_DEP_4) | instskip(NEXT) | instid1(VALU_DEP_4)
	v_max3_f32 v81, v81, v84, v85
	v_cndmask_b32_e64 v82, 0xff7fffff, v105, s15
	s_delay_alu instid0(VALU_DEP_4) | instskip(SKIP_2) | instid1(VALU_DEP_3)
	v_cndmask_b32_e64 v83, 0xff7fffff, v104, s16
	v_cmp_gt_i32_e64 s17, s18, v100
	v_cmp_gt_i32_e64 s18, s18, v101
	v_max3_f32 v81, v81, v82, v83
	s_delay_alu instid0(VALU_DEP_3) | instskip(NEXT) | instid1(VALU_DEP_3)
	v_cndmask_b32_e64 v84, 0xff7fffff, v103, s17
	v_cndmask_b32_e64 v85, 0xff7fffff, v102, s18
	v_lshlrev_b32_e32 v83, 2, v130
	s_delay_alu instid0(VALU_DEP_2) | instskip(SKIP_3) | instid1(VALU_DEP_1)
	v_max3_f32 v81, v81, v84, v85
	ds_bpermute_b32 v82, v83, v81
	s_waitcnt lgkmcnt(0)
	v_max_f32_e32 v82, v82, v82
	v_max_f32_e32 v81, v81, v82
	s_delay_alu instid0(VALU_DEP_1) | instskip(SKIP_3) | instid1(VALU_DEP_4)
	v_fma_f32 v82, s19, v137, -v81
	v_fma_f32 v84, s19, v138, -v81
	v_fma_f32 v85, s19, v139, -v81
	v_fma_f32 v86, s19, v140, -v81
	v_mul_f32_e32 v82, 0x3fb8aa3b, v82
	s_delay_alu instid0(VALU_DEP_3) | instskip(NEXT) | instid1(VALU_DEP_3)
	v_dual_mul_f32 v84, 0x3fb8aa3b, v84 :: v_dual_mul_f32 v85, 0x3fb8aa3b, v85
	v_mul_f32_e32 v86, 0x3fb8aa3b, v86
	s_delay_alu instid0(VALU_DEP_3) | instskip(NEXT) | instid1(VALU_DEP_2)
	v_exp_f32_e32 v82, v82
	v_exp_f32_e32 v84, v84
	s_delay_alu instid0(VALU_DEP_2) | instskip(NEXT) | instid1(VALU_DEP_1)
	v_exp_f32_e32 v85, v85
	v_exp_f32_e32 v90, v86
	v_cndmask_b32_e32 v87, 0, v82, vcc_lo
	s_delay_alu instid0(TRANS32_DEP_3) | instskip(SKIP_4) | instid1(VALU_DEP_1)
	v_cndmask_b32_e64 v86, 0, v84, s3
	s_waitcnt_depctr 0xfff
	v_cndmask_b32_e64 v89, 0, v85, s4
	s_mov_b32 s3, exec_lo
	v_add_f32_e32 v84, 0, v87
	v_add_f32_e32 v84, v84, v86
	s_delay_alu instid0(VALU_DEP_1)
	v_add_f32_e32 v84, v84, v89
	v_fma_f32 v88, s19, v141, -v81
	v_fma_f32 v91, s19, v143, -v81
	;; [unrolled: 1-line block ×5, first 2 shown]
	v_mul_f32_e32 v88, 0x3fb8aa3b, v88
	v_fma_f32 v100, s19, v128, -v81
	v_mul_f32_e32 v82, 0x3fb8aa3b, v82
	v_fma_f32 v98, s19, v126, -v81
	v_mul_f32_e32 v97, 0x3fb8aa3b, v95
	v_exp_f32_e32 v92, v88
	v_cndmask_b32_e64 v88, 0, v90, s5
	v_fma_f32 v90, s19, v121, -v81
	v_mul_f32_e32 v91, 0x3fb8aa3b, v91
	v_exp_f32_e32 v82, v82
	v_exp_f32_e32 v99, v97
	v_add_f32_e32 v84, v84, v88
	v_mul_f32_e32 v94, 0x3fb8aa3b, v90
	v_exp_f32_e32 v93, v91
	v_mul_f32_e32 v98, 0x3fb8aa3b, v98
	v_cndmask_b32_e64 v91, 0, v92, s6
	v_fma_f32 v92, s19, v122, -v81
	v_mul_f32_e32 v85, 0x3fb8aa3b, v85
	v_exp_f32_e32 v94, v94
	v_cndmask_b32_e64 v90, 0, v82, s7
	v_add_f32_e32 v82, v84, v91
	v_mul_f32_e32 v92, 0x3fb8aa3b, v92
	v_exp_f32_e32 v85, v85
	v_fma_f32 v84, s19, v123, -v81
	v_cndmask_b32_e64 v93, 0, v93, s8
	v_add_f32_e32 v82, v82, v90
	v_exp_f32_e32 v96, v92
	v_exp_f32_e32 v98, v98
	v_cndmask_b32_e64 v95, 0, v94, s10
	s_delay_alu instid0(VALU_DEP_2) | instskip(NEXT) | instid1(TRANS32_DEP_3)
	v_add_f32_e32 v82, v82, v93
	v_cndmask_b32_e64 v92, 0, v85, s9
	v_fma_f32 v85, s19, v125, -v81
	v_mul_f32_e32 v84, 0x3fb8aa3b, v84
	s_delay_alu instid0(TRANS32_DEP_2) | instskip(SKIP_1) | instid1(VALU_DEP_4)
	v_cndmask_b32_e64 v94, 0, v96, s11
	v_fma_f32 v96, s19, v127, -v81
	v_mul_f32_e32 v85, 0x3fb8aa3b, v85
	s_delay_alu instid0(VALU_DEP_4) | instskip(SKIP_1) | instid1(VALU_DEP_2)
	v_exp_f32_e32 v84, v84
	v_cndmask_b32_e64 v98, 0, v98, s16
	v_exp_f32_e32 v85, v85
	s_waitcnt_depctr 0xfff
	v_cndmask_b32_e64 v97, 0, v84, s12
	v_mul_f32_e32 v84, 0x3fb8aa3b, v96
	v_cndmask_b32_e64 v96, 0, v99, s13
	v_cndmask_b32_e64 v99, 0, v85, s15
	v_mul_f32_e32 v85, 0x3fb8aa3b, v100
	v_add_f32_e32 v82, v82, v92
	v_exp_f32_e32 v84, v84
	s_delay_alu instid0(VALU_DEP_2) | instskip(NEXT) | instid1(VALU_DEP_1)
	v_exp_f32_e32 v85, v85
	v_add_f32_e32 v82, v82, v95
	s_delay_alu instid0(VALU_DEP_1) | instskip(SKIP_4) | instid1(VALU_DEP_1)
	v_add_f32_e32 v82, v82, v94
	s_waitcnt_depctr 0xfff
	v_cndmask_b32_e64 v101, 0, v84, s17
	v_cndmask_b32_e64 v100, 0, v85, s18
	v_add_f32_e32 v82, v82, v97
	v_add_f32_e32 v82, v82, v96
	s_delay_alu instid0(VALU_DEP_1) | instskip(NEXT) | instid1(VALU_DEP_1)
	v_add_f32_e32 v82, v82, v99
	v_add_f32_e32 v82, v82, v98
	s_delay_alu instid0(VALU_DEP_1) | instskip(NEXT) | instid1(VALU_DEP_1)
	v_add_f32_e32 v82, v82, v101
	v_add_f32_e32 v82, v82, v100
	ds_bpermute_b32 v83, v83, v82
	v_cmpx_gt_u32_e32 16, v80
	s_cbranch_execz .LBB193_14
; %bb.13:
	v_mul_u32_u24_e32 v80, 0x44, v78
	s_waitcnt lgkmcnt(0)
	v_add_f32_e32 v82, v82, v83
	s_delay_alu instid0(VALU_DEP_2) | instskip(NEXT) | instid1(VALU_DEP_1)
	v_lshl_add_u32 v80, v79, 2, v80
	v_add_nc_u32_e32 v80, 0x4000, v80
	ds_store_2addr_b32 v80, v81, v82 offset1:136
.LBB193_14:
	s_or_b32 exec_lo, exec_lo, s3
	v_lshlrev_b32_e32 v79, 2, v79
	s_load_b32 s35, s[0:1], 0x94
	s_waitcnt lgkmcnt(0)
	s_barrier
	buffer_gl0_inv
	v_add_nc_u32_e32 v83, 0x4000, v79
	v_cmp_eq_u32_e32 vcc_lo, 1, v78
	v_cmp_eq_u32_e64 s3, 2, v78
	v_cmp_eq_u32_e64 s4, 3, v78
	;; [unrolled: 1-line block ×3, first 2 shown]
	ds_load_2addr_b32 v[79:80], v83 offset1:17
	ds_load_2addr_b32 v[81:82], v83 offset0:34 offset1:51
	ds_load_2addr_b32 v[102:103], v83 offset0:68 offset1:85
	ds_load_2addr_b32 v[104:105], v83 offset0:102 offset1:119
	v_cmp_eq_u32_e64 s6, 7, v78
	s_waitcnt lgkmcnt(3)
	v_max3_f32 v84, v79, 0xff7fffff, v80
	s_waitcnt lgkmcnt(2)
	s_delay_alu instid0(VALU_DEP_1) | instskip(SKIP_1) | instid1(VALU_DEP_1)
	v_max3_f32 v84, v84, v81, v82
	s_waitcnt lgkmcnt(1)
	v_max3_f32 v84, v84, v102, v103
	s_waitcnt lgkmcnt(0)
	s_delay_alu instid0(VALU_DEP_1) | instskip(NEXT) | instid1(VALU_DEP_1)
	v_max3_f32 v84, v84, v104, v105
	v_sub_f32_e32 v102, v102, v84
	ds_load_2addr_b32 v[106:107], v83 offset0:136 offset1:153
	v_sub_f32_e32 v79, v79, v84
	v_dual_sub_f32 v109, v82, v84 :: v_dual_mul_f32 v112, 0x3fb8aa3b, v102
	s_delay_alu instid0(VALU_DEP_2) | instskip(SKIP_3) | instid1(VALU_DEP_1)
	v_dual_sub_f32 v85, v80, v84 :: v_dual_mul_f32 v108, 0x3fb8aa3b, v79
	ds_load_2addr_b32 v[79:80], v83 offset0:170 offset1:187
	v_mul_f32_e32 v85, 0x3fb8aa3b, v85
	v_exp_f32_e32 v108, v108
	v_exp_f32_e32 v111, v85
	v_mul_f32_e32 v109, 0x3fb8aa3b, v109
	s_waitcnt lgkmcnt(1)
	s_waitcnt_depctr 0xfff
	v_fma_f32 v85, v108, v106, 0
	v_sub_f32_e32 v106, v103, v84
	v_sub_f32_e32 v81, v81, v84
	v_exp_f32_e32 v109, v109
	ds_load_2addr_b32 v[102:103], v83 offset0:238 offset1:255
	v_dual_fmac_f32 v85, v111, v107 :: v_dual_mul_f32 v110, 0x3fb8aa3b, v81
	ds_load_2addr_b32 v[81:82], v83 offset0:204 offset1:221
	v_dual_sub_f32 v83, v104, v84 :: v_dual_mul_f32 v104, 0x3fb8aa3b, v106
	v_exp_f32_e32 v106, v112
	v_exp_f32_e32 v110, v110
	s_waitcnt lgkmcnt(0)
	s_delay_alu instid0(VALU_DEP_1)
	v_mul_f32_e32 v83, 0x3fb8aa3b, v83
	v_exp_f32_e32 v104, v104
	s_barrier
	buffer_gl0_inv
	v_fmac_f32_e32 v85, v110, v79
	v_sub_f32_e32 v79, v105, v84
	v_exp_f32_e32 v105, v83
	s_delay_alu instid0(VALU_DEP_2) | instskip(NEXT) | instid1(VALU_DEP_2)
	v_fmac_f32_e32 v85, v109, v80
	v_mul_f32_e32 v79, 0x3fb8aa3b, v79
	s_delay_alu instid0(VALU_DEP_2) | instskip(NEXT) | instid1(VALU_DEP_2)
	v_dual_cndmask_b32 v80, v108, v111 :: v_dual_fmac_f32 v85, v106, v81
	v_exp_f32_e32 v107, v79
	s_delay_alu instid0(VALU_DEP_1) | instskip(SKIP_2) | instid1(VALU_DEP_1)
	v_fmac_f32_e32 v85, v104, v82
	s_waitcnt_depctr 0xfff
	v_fmac_f32_e32 v85, v105, v102
	v_fmac_f32_e32 v85, v107, v103
	s_delay_alu instid0(VALU_DEP_1) | instskip(NEXT) | instid1(VALU_DEP_1)
	v_add_f32_e32 v102, 0x358637bd, v85
	v_div_scale_f32 v103, null, v102, v102, 1.0
	v_div_scale_f32 v108, vcc_lo, 1.0, v102, 1.0
	s_delay_alu instid0(VALU_DEP_2) | instskip(SKIP_2) | instid1(VALU_DEP_1)
	v_rcp_f32_e32 v112, v103
	s_waitcnt_depctr 0xfff
	v_fma_f32 v79, -v103, v112, 1.0
	v_fmac_f32_e32 v112, v79, v112
	v_cndmask_b32_e64 v79, v80, v110, s3
	v_cmp_eq_u32_e64 s3, 4, v78
	v_lshl_or_b32 v80, v78, 11, v77
	s_delay_alu instid0(VALU_DEP_4) | instskip(NEXT) | instid1(VALU_DEP_4)
	v_mul_f32_e32 v110, v108, v112
	v_cndmask_b32_e64 v81, v79, v109, s4
	v_cmp_eq_u32_e64 s4, 6, v78
	s_delay_alu instid0(VALU_DEP_4) | instskip(SKIP_3) | instid1(VALU_DEP_3)
	v_lshl_or_b32 v78, v75, 4, v80
	v_lshlrev_b32_e32 v79, 2, v75
	v_fma_f32 v82, -v103, v110, v108
	v_cndmask_b32_e64 v83, v81, v106, s3
	v_or_b32_e32 v81, 1, v79
	s_delay_alu instid0(VALU_DEP_3) | instskip(NEXT) | instid1(VALU_DEP_3)
	v_fmac_f32_e32 v110, v82, v112
	v_cndmask_b32_e64 v104, v83, v104, s5
	v_or_b32_e32 v83, 2, v79
	v_or_b32_e32 v82, 3, v79
	v_cmp_eq_u32_e64 s3, 1, v79
	v_fma_f32 v103, -v103, v110, v108
	v_cndmask_b32_e64 v104, v104, v105, s4
	v_cmp_eq_u32_e64 s9, 1, v81
	v_cmp_eq_u32_e64 s10, 1, v83
	;; [unrolled: 1-line block ×3, first 2 shown]
	v_div_fmas_f32 v103, v103, v112, v110
	v_cndmask_b32_e64 v104, v104, v107, s6
	v_cmp_eq_u32_e32 vcc_lo, 2, v79
	v_cmp_eq_u32_e64 s12, 2, v81
	v_cmp_eq_u32_e64 s15, 2, v83
	v_div_fixup_f32 v102, v103, v102, 1.0
	v_cmp_eq_u32_e64 s16, 2, v82
	v_cmp_eq_u32_e64 s18, 3, v82
	;; [unrolled: 1-line block ×4, first 2 shown]
	v_mul_f32_e32 v110, v104, v102
	v_cmp_eq_u32_e64 s17, 3, v83
	v_cmp_eq_u32_e64 s22, 4, v82
	;; [unrolled: 1-line block ×4, first 2 shown]
	v_fma_mixlo_f16 v102, v110, v87, 0
	v_fma_mixlo_f16 v103, v110, v89, 0
	;; [unrolled: 1-line block ×8, first 2 shown]
	v_fma_mixhi_f16 v102, v110, v86, 0
	v_fma_mixhi_f16 v103, v110, v88, 0
	;; [unrolled: 1-line block ×8, first 2 shown]
	ds_store_b128 v78, v[102:105]
	ds_store_b128 v78, v[106:109] offset:1024
	s_waitcnt lgkmcnt(0)
	s_barrier
	buffer_gl0_inv
	ds_load_b128 v[86:89], v80
	ds_load_b128 v[90:93], v80 offset:16
	ds_load_b128 v[94:97], v80 offset:1024
	;; [unrolled: 1-line block ×3, first 2 shown]
	v_cmp_eq_u32_e64 s21, 4, v83
	v_cmp_eq_u32_e64 s24, 5, v82
	;; [unrolled: 1-line block ×13, first 2 shown]
	s_waitcnt lgkmcnt(3)
	v_lshrrev_b32_e32 v102, 16, v86
	s_waitcnt lgkmcnt(2)
	v_lshrrev_b32_e32 v106, 16, v90
	;; [unrolled: 2-line block ×4, first 2 shown]
	v_lshrrev_b32_e32 v103, 16, v87
	v_cndmask_b32_e64 v118, v86, v102, s3
	v_cndmask_b32_e64 v119, v90, v106, s3
	;; [unrolled: 1-line block ×8, first 2 shown]
	v_lshrrev_b32_e32 v107, 16, v91
	v_cndmask_b32_e64 v102, v94, v110, s3
	v_cndmask_b32_e64 v106, v98, v114, s3
	;; [unrolled: 1-line block ×5, first 2 shown]
	v_cndmask_b32_e32 v110, v118, v87, vcc_lo
	v_cndmask_b32_e64 v118, v120, v87, s12
	v_cndmask_b32_e64 v120, v122, v87, s15
	;; [unrolled: 1-line block ×4, first 2 shown]
	v_lshrrev_b32_e32 v111, 16, v95
	v_lshrrev_b32_e32 v115, 16, v99
	v_cndmask_b32_e64 v125, v98, v114, s9
	v_cndmask_b32_e64 v127, v98, v114, s10
	v_cndmask_b32_e64 v98, v98, v114, s11
	v_cndmask_b32_e32 v114, v119, v91, vcc_lo
	v_cndmask_b32_e64 v119, v121, v91, s12
	v_cndmask_b32_e64 v121, v123, v91, s15
	v_cndmask_b32_e32 v90, v102, v95, vcc_lo
	v_cndmask_b32_e32 v91, v106, v99, vcc_lo
	v_cndmask_b32_e64 v102, v124, v95, s12
	v_cndmask_b32_e64 v86, v86, v103, s18
	;; [unrolled: 1-line block ×3, first 2 shown]
	v_lshrrev_b32_e32 v104, 16, v88
	v_lshrrev_b32_e32 v108, 16, v92
	v_cndmask_b32_e64 v106, v126, v95, s15
	v_cndmask_b32_e64 v94, v94, v95, s16
	;; [unrolled: 1-line block ×14, first 2 shown]
	v_lshrrev_b32_e32 v112, 16, v96
	v_cndmask_b32_e64 v98, v98, v88, s5
	v_cndmask_b32_e64 v103, v110, v92, s5
	;; [unrolled: 1-line block ×11, first 2 shown]
	v_lshrrev_b32_e32 v105, 16, v89
	v_lshrrev_b32_e32 v109, 16, v93
	v_cndmask_b32_e64 v92, v98, v104, s6
	v_cndmask_b32_e64 v98, v103, v108, s6
	;; [unrolled: 1-line block ×9, first 2 shown]
	v_lshrrev_b32_e32 v113, 16, v97
	v_cndmask_b32_e64 v88, v88, v112, s6
	v_cndmask_b32_e64 v92, v92, v89, s7
	;; [unrolled: 1-line block ×19, first 2 shown]
	v_perm_b32 v89, v87, v86, 0x5040100
	v_cndmask_b32_e64 v86, v125, v99, s12
	v_cndmask_b32_e64 v104, v88, v113, s8
	v_perm_b32 v88, v102, v98, 0x5040100
	v_perm_b32 v87, v103, v93, 0x5040100
	v_cndmask_b32_e64 v93, v106, v111, s17
	v_cndmask_b32_e64 v94, v94, v111, s18
	;; [unrolled: 1-line block ×5, first 2 shown]
	v_lshrrev_b32_e32 v116, 16, v100
	v_cndmask_b32_e64 v93, v93, v96, s21
	v_cndmask_b32_e64 v94, v94, v96, s22
	;; [unrolled: 1-line block ×11, first 2 shown]
	v_lshrrev_b32_e32 v117, 16, v101
	v_cndmask_b32_e64 v90, v90, v101, s7
	v_cndmask_b32_e64 v93, v93, v97, s26
	;; [unrolled: 1-line block ×12, first 2 shown]
	v_perm_b32 v86, v92, v91, 0x5040100
	v_perm_b32 v93, v94, v93, 0x5040100
	v_perm_b32 v92, v95, v97, 0x5040100
	v_perm_b32 v91, v96, v105, 0x5040100
	v_perm_b32 v90, v90, v104, 0x5040100
	s_lshl_b32 s7, s33, 2
	s_mov_b32 s3, exec_lo
	ds_store_b128 v78, v[86:89]
	ds_store_b128 v78, v[90:93] offset:1024
	v_cmpx_gt_u32_e32 4, v0
	s_cbranch_execz .LBB193_16
; %bb.15:
	v_or_b32_e32 v86, s31, v0
	s_load_b128 s[8:11], s[0:1], 0x58
	s_delay_alu instid0(VALU_DEP_1) | instskip(NEXT) | instid1(VALU_DEP_1)
	v_mad_u64_u32 v[87:88], null, s7, s34, v[86:87]
	v_mad_u64_u32 v[88:89], null, v87, s35, s[14:15]
	s_delay_alu instid0(VALU_DEP_1) | instskip(NEXT) | instid1(VALU_DEP_1)
	v_ashrrev_i32_e32 v89, 31, v88
	v_lshlrev_b64 v[86:87], 2, v[88:89]
	s_waitcnt lgkmcnt(0)
	s_delay_alu instid0(VALU_DEP_1) | instskip(NEXT) | instid1(VALU_DEP_2)
	v_add_co_u32 v88, vcc_lo, s10, v86
	v_add_co_ci_u32_e32 v89, vcc_lo, s11, v87, vcc_lo
	v_add_co_u32 v86, vcc_lo, s8, v86
	v_add_co_ci_u32_e32 v87, vcc_lo, s9, v87, vcc_lo
	global_store_b32 v[88:89], v84, off
	global_store_b32 v[86:87], v85, off
.LBB193_16:
	s_or_b32 exec_lo, exec_lo, s3
	s_waitcnt lgkmcnt(0)
	s_waitcnt_vscnt null, 0x0
	s_barrier
	buffer_gl0_inv
	ds_load_b128 v[92:95], v77
	ds_load_b128 v[96:99], v77 offset:16
	ds_load_b128 v[104:107], v77 offset:1040
	;; [unrolled: 1-line block ×5, first 2 shown]
	v_cmp_eq_u32_e32 vcc_lo, 1, v83
	v_mov_b32_e32 v84, 0
	ds_load_b128 v[120:123], v77 offset:3088
	ds_load_b128 v[116:119], v77 offset:3072
	;; [unrolled: 1-line block ×4, first 2 shown]
	v_cmp_eq_u32_e64 s3, 1, v79
	v_cmp_eq_u32_e64 s4, 1, v82
	;; [unrolled: 1-line block ×3, first 2 shown]
	v_mov_b32_e32 v85, v84
	v_mov_b32_e32 v86, v84
	;; [unrolled: 1-line block ×7, first 2 shown]
	v_cmp_eq_u32_e64 s6, 2, v79
	s_waitcnt lgkmcnt(8)
	s_delay_alu instid0(VALU_DEP_2)
	v_wmma_f32_16x16x16_f16 v[84:91], v[65:72], v[92:99], v[84:91]
	ds_load_b128 v[69:72], v77 offset:5136
	ds_load_b128 v[65:68], v77 offset:5120
	;; [unrolled: 1-line block ×4, first 2 shown]
	s_waitcnt lgkmcnt(10)
	v_wmma_f32_16x16x16_f16 v[84:91], v[57:64], v[100:107], v[84:91]
	s_waitcnt lgkmcnt(8)
	s_delay_alu instid0(VALU_DEP_1)
	v_wmma_f32_16x16x16_f16 v[84:91], v[57:64], v[108:115], v[84:91]
	ds_load_b128 v[61:64], v77 offset:7184
	ds_load_b128 v[57:60], v77 offset:7168
	;; [unrolled: 1-line block ×4, first 2 shown]
	s_waitcnt lgkmcnt(10)
	v_wmma_f32_16x16x16_f16 v[84:91], v[49:56], v[116:123], v[84:91]
	s_waitcnt lgkmcnt(8)
	s_delay_alu instid0(VALU_DEP_1)
	v_wmma_f32_16x16x16_f16 v[84:91], v[49:56], v[124:131], v[84:91]
	ds_load_b128 v[53:56], v77 offset:9232
	ds_load_b128 v[49:52], v77 offset:9216
	s_waitcnt lgkmcnt(8)
	v_wmma_f32_16x16x16_f16 v[84:91], v[41:48], v[65:72], v[84:91]
	ds_load_b128 v[69:72], v77 offset:10256
	ds_load_b128 v[65:68], v77 offset:10240
	s_waitcnt lgkmcnt(8)
	;; [unrolled: 4-line block ×7, first 2 shown]
	s_barrier
	buffer_gl0_inv
	v_wmma_f32_16x16x16_f16 v[84:91], v[33:40], v[41:48], v[84:91]
	s_delay_alu instid0(VALU_DEP_1) | instskip(NEXT) | instid1(VALU_DEP_1)
	v_wmma_f32_16x16x16_f16 v[84:91], v[33:40], v[57:64], v[84:91]
	v_wmma_f32_16x16x16_f16 v[84:91], v[25:32], v[9:16], v[84:91]
	s_delay_alu instid0(VALU_DEP_1) | instskip(NEXT) | instid1(VALU_DEP_1)
	v_wmma_f32_16x16x16_f16 v[84:91], v[25:32], v[49:56], v[84:91]
	v_wmma_f32_16x16x16_f16 v[84:91], v[17:24], v[1:8], v[84:91]
	s_delay_alu instid0(VALU_DEP_1) | instskip(NEXT) | instid1(VALU_DEP_2)
	v_cvt_f16_f32_e32 v1, v84
	v_cvt_f16_f32_e32 v2, v85
	s_delay_alu instid0(VALU_DEP_3) | instskip(NEXT) | instid1(VALU_DEP_4)
	v_cvt_f16_f32_e32 v3, v86
	v_cvt_f16_f32_e32 v4, v87
	;; [unrolled: 1-line block ×6, first 2 shown]
	v_pack_b32_f16 v1, v1, v2
	v_pack_b32_f16 v2, v3, v4
	;; [unrolled: 1-line block ×3, first 2 shown]
	s_delay_alu instid0(VALU_DEP_4)
	v_pack_b32_f16 v4, v7, v8
	ds_store_b128 v78, v[1:4]
	s_waitcnt lgkmcnt(0)
	s_barrier
	buffer_gl0_inv
	ds_load_b128 v[1:4], v80
	ds_load_b128 v[5:8], v80 offset:16
	s_waitcnt lgkmcnt(1)
	v_lshrrev_b32_e32 v9, 16, v1
	s_waitcnt lgkmcnt(0)
	v_lshrrev_b32_e32 v13, 16, v5
	v_lshrrev_b32_e32 v10, 16, v2
	v_lshrrev_b32_e32 v14, 16, v6
	v_lshrrev_b32_e32 v11, 16, v3
	v_cndmask_b32_e64 v17, v1, v9, s3
	v_cndmask_b32_e64 v18, v5, v13, s3
	;; [unrolled: 1-line block ×3, first 2 shown]
	v_cmp_eq_u32_e64 s3, 2, v81
	v_cndmask_b32_e64 v20, v5, v13, s5
	v_cndmask_b32_e32 v21, v1, v9, vcc_lo
	v_cndmask_b32_e32 v22, v5, v13, vcc_lo
	v_cndmask_b32_e64 v1, v1, v9, s4
	v_cndmask_b32_e64 v5, v5, v13, s4
	v_cmp_eq_u32_e32 vcc_lo, 2, v83
	v_cmp_eq_u32_e64 s4, 2, v82
	v_cndmask_b32_e64 v9, v17, v2, s6
	v_cndmask_b32_e64 v13, v18, v6, s6
	;; [unrolled: 1-line block ×4, first 2 shown]
	v_cndmask_b32_e32 v19, v21, v2, vcc_lo
	v_cmp_eq_u32_e64 s3, 3, v83
	v_cndmask_b32_e32 v20, v22, v6, vcc_lo
	v_cndmask_b32_e64 v1, v1, v2, s4
	v_cmp_eq_u32_e32 vcc_lo, 3, v82
	v_cmp_eq_u32_e64 s5, 3, v79
	v_cndmask_b32_e64 v2, v5, v6, s4
	v_cmp_eq_u32_e64 s4, 3, v81
	v_cmp_eq_u32_e64 s6, 4, v79
	v_cndmask_b32_e32 v1, v1, v10, vcc_lo
	v_cndmask_b32_e64 v5, v9, v10, s5
	v_cndmask_b32_e64 v6, v13, v14, s5
	;; [unrolled: 1-line block ×3, first 2 shown]
	v_cmp_eq_u32_e64 s5, 4, v81
	v_cndmask_b32_e64 v13, v18, v14, s4
	v_cndmask_b32_e64 v17, v19, v10, s3
	;; [unrolled: 1-line block ×3, first 2 shown]
	v_cndmask_b32_e32 v2, v2, v14, vcc_lo
	v_cmp_eq_u32_e32 vcc_lo, 4, v83
	v_cmp_eq_u32_e64 s4, 4, v82
	v_lshrrev_b32_e32 v15, 16, v7
	v_cndmask_b32_e64 v5, v5, v3, s6
	v_cndmask_b32_e64 v6, v6, v7, s6
	v_cndmask_b32_e32 v14, v18, v7, vcc_lo
	v_cndmask_b32_e64 v9, v9, v3, s5
	v_cndmask_b32_e64 v10, v13, v7, s5
	v_cndmask_b32_e32 v13, v17, v3, vcc_lo
	v_cmp_eq_u32_e64 s3, 5, v83
	v_cndmask_b32_e64 v1, v1, v3, s4
	v_cmp_eq_u32_e32 vcc_lo, 5, v82
	v_cmp_eq_u32_e64 s5, 5, v79
	v_cndmask_b32_e64 v2, v2, v7, s4
	v_cmp_eq_u32_e64 s4, 5, v81
	v_cmp_eq_u32_e64 s6, 6, v79
	v_lshrrev_b32_e32 v12, 16, v4
	v_cndmask_b32_e64 v3, v5, v11, s5
	v_cndmask_b32_e64 v5, v6, v15, s5
	;; [unrolled: 1-line block ×3, first 2 shown]
	v_cmp_eq_u32_e64 s5, 6, v81
	v_cndmask_b32_e64 v7, v10, v15, s4
	v_cndmask_b32_e64 v9, v13, v11, s3
	;; [unrolled: 1-line block ×3, first 2 shown]
	v_cndmask_b32_e32 v1, v1, v11, vcc_lo
	v_cndmask_b32_e32 v2, v2, v15, vcc_lo
	v_cmp_eq_u32_e32 vcc_lo, 6, v83
	v_cmp_eq_u32_e64 s3, 6, v82
	v_lshrrev_b32_e32 v16, 16, v8
	v_cndmask_b32_e64 v3, v3, v4, s6
	v_cndmask_b32_e64 v5, v5, v8, s6
	v_cndmask_b32_e32 v9, v9, v4, vcc_lo
	v_cndmask_b32_e64 v6, v6, v4, s5
	v_cndmask_b32_e64 v7, v7, v8, s5
	v_cmp_eq_u32_e64 s4, 7, v83
	v_cndmask_b32_e32 v10, v10, v8, vcc_lo
	v_cndmask_b32_e64 v1, v1, v4, s3
	v_cmp_eq_u32_e32 vcc_lo, 7, v82
	v_cndmask_b32_e64 v2, v2, v8, s3
	v_cmp_eq_u32_e64 s3, 7, v79
	v_cmp_eq_u32_e64 s5, 7, v81
	v_cndmask_b32_e32 v1, v1, v12, vcc_lo
	s_delay_alu instid0(VALU_DEP_4) | instskip(NEXT) | instid1(VALU_DEP_4)
	v_cndmask_b32_e32 v2, v2, v16, vcc_lo
	v_cndmask_b32_e64 v8, v3, v12, s3
	s_delay_alu instid0(VALU_DEP_4)
	v_cndmask_b32_e64 v6, v6, v12, s5
	v_cndmask_b32_e64 v3, v9, v12, s4
	v_cndmask_b32_e64 v9, v10, v16, s4
	v_cndmask_b32_e64 v7, v7, v16, s5
	v_cndmask_b32_e64 v5, v5, v16, s3
	v_cmp_gt_u32_e32 vcc_lo, 32, v0
	v_perm_b32 v4, v2, v1, 0x5040100
	v_perm_b32 v3, v9, v3, 0x5040100
	;; [unrolled: 1-line block ×4, first 2 shown]
	s_and_b32 s2, vcc_lo, s2
	ds_store_b128 v78, v[1:4]
	s_waitcnt lgkmcnt(0)
	s_barrier
	buffer_gl0_inv
	s_and_saveexec_b32 s3, s2
	s_cbranch_execz .LBB193_2
; %bb.17:
	s_load_b64 s[0:1], s[0:1], 0x68
	v_lshlrev_b32_e32 v0, 10, v0
	v_or_b32_e32 v1, s31, v75
	s_lshl_b32 s4, s35, 6
	v_lshlrev_b32_e32 v2, 4, v76
	s_mul_i32 s2, s4, s34
	v_lshlrev_b32_e32 v3, 6, v75
	v_mul_lo_u32 v8, v1, s4
	v_and_b32_e32 v0, 0x3800, v0
	v_or_b32_e32 v1, 2, v1
	s_mul_i32 s2, s2, s7
	s_delay_alu instid0(SALU_CYCLE_1) | instskip(NEXT) | instid1(VALU_DEP_2)
	s_ashr_i32 s3, s2, 31
	v_or3_b32 v4, v0, v2, v3
	s_lshl_b64 s[2:3], s[2:3], 1
	v_mul_lo_u32 v10, v1, s4
	v_ashrrev_i32_e32 v9, 31, v8
	ds_load_b128 v[0:3], v4
	ds_load_b128 v[4:7], v4 offset:128
	s_waitcnt lgkmcnt(0)
	s_add_u32 s2, s0, s2
	s_addc_u32 s3, s1, s3
	s_lshl_b32 s0, s14, 6
	v_ashrrev_i32_e32 v11, 31, v10
	s_ashr_i32 s1, s0, 31
	v_lshlrev_b64 v[8:9], 1, v[8:9]
	s_lshl_b64 s[0:1], s[0:1], 1
	s_delay_alu instid0(SALU_CYCLE_1) | instskip(SKIP_4) | instid1(VALU_DEP_3)
	s_add_u32 s0, s2, s0
	s_addc_u32 s1, s3, s1
	v_add_co_u32 v12, vcc_lo, s0, v73
	v_add_co_ci_u32_e32 v13, vcc_lo, s1, v74, vcc_lo
	v_lshlrev_b64 v[10:11], 1, v[10:11]
	v_add_co_u32 v8, vcc_lo, v12, v8
	s_delay_alu instid0(VALU_DEP_3) | instskip(NEXT) | instid1(VALU_DEP_3)
	v_add_co_ci_u32_e32 v9, vcc_lo, v13, v9, vcc_lo
	v_add_co_u32 v10, vcc_lo, v12, v10
	s_delay_alu instid0(VALU_DEP_4)
	v_add_co_ci_u32_e32 v11, vcc_lo, v13, v11, vcc_lo
	s_clause 0x1
	global_store_b128 v[8:9], v[0:3], off
	global_store_b128 v[10:11], v[4:7], off
	s_nop 0
	s_sendmsg sendmsg(MSG_DEALLOC_VGPRS)
	s_endpgm
	.section	.rodata,"a",@progbits
	.p2align	6, 0x0
	.amdhsa_kernel _Z39paged_attention_ll4mi_QKV_mfma16_kernelIDF16_DF16_LN4vllm18Fp8KVCacheDataTypeE0EDF16_Li32ELi64ELi256ELb0ELi4EL8MFMAType0EEvPKT_PKT0_S8_ifPKiSA_SA_iPKfiiiPfSD_PS3_PT2_iSC_SC_
		.amdhsa_group_segment_fixed_size 17472
		.amdhsa_private_segment_fixed_size 0
		.amdhsa_kernarg_size 400
		.amdhsa_user_sgpr_count 13
		.amdhsa_user_sgpr_dispatch_ptr 0
		.amdhsa_user_sgpr_queue_ptr 0
		.amdhsa_user_sgpr_kernarg_segment_ptr 1
		.amdhsa_user_sgpr_dispatch_id 0
		.amdhsa_user_sgpr_private_segment_size 0
		.amdhsa_wavefront_size32 1
		.amdhsa_uses_dynamic_stack 0
		.amdhsa_enable_private_segment 0
		.amdhsa_system_sgpr_workgroup_id_x 1
		.amdhsa_system_sgpr_workgroup_id_y 1
		.amdhsa_system_sgpr_workgroup_id_z 1
		.amdhsa_system_sgpr_workgroup_info 0
		.amdhsa_system_vgpr_workitem_id 0
		.amdhsa_next_free_vgpr 154
		.amdhsa_next_free_sgpr 39
		.amdhsa_reserve_vcc 1
		.amdhsa_float_round_mode_32 0
		.amdhsa_float_round_mode_16_64 0
		.amdhsa_float_denorm_mode_32 3
		.amdhsa_float_denorm_mode_16_64 3
		.amdhsa_dx10_clamp 1
		.amdhsa_ieee_mode 1
		.amdhsa_fp16_overflow 0
		.amdhsa_workgroup_processor_mode 1
		.amdhsa_memory_ordered 1
		.amdhsa_forward_progress 0
		.amdhsa_shared_vgpr_count 0
		.amdhsa_exception_fp_ieee_invalid_op 0
		.amdhsa_exception_fp_denorm_src 0
		.amdhsa_exception_fp_ieee_div_zero 0
		.amdhsa_exception_fp_ieee_overflow 0
		.amdhsa_exception_fp_ieee_underflow 0
		.amdhsa_exception_fp_ieee_inexact 0
		.amdhsa_exception_int_div_zero 0
	.end_amdhsa_kernel
	.section	.text._Z39paged_attention_ll4mi_QKV_mfma16_kernelIDF16_DF16_LN4vllm18Fp8KVCacheDataTypeE0EDF16_Li32ELi64ELi256ELb0ELi4EL8MFMAType0EEvPKT_PKT0_S8_ifPKiSA_SA_iPKfiiiPfSD_PS3_PT2_iSC_SC_,"axG",@progbits,_Z39paged_attention_ll4mi_QKV_mfma16_kernelIDF16_DF16_LN4vllm18Fp8KVCacheDataTypeE0EDF16_Li32ELi64ELi256ELb0ELi4EL8MFMAType0EEvPKT_PKT0_S8_ifPKiSA_SA_iPKfiiiPfSD_PS3_PT2_iSC_SC_,comdat
.Lfunc_end193:
	.size	_Z39paged_attention_ll4mi_QKV_mfma16_kernelIDF16_DF16_LN4vllm18Fp8KVCacheDataTypeE0EDF16_Li32ELi64ELi256ELb0ELi4EL8MFMAType0EEvPKT_PKT0_S8_ifPKiSA_SA_iPKfiiiPfSD_PS3_PT2_iSC_SC_, .Lfunc_end193-_Z39paged_attention_ll4mi_QKV_mfma16_kernelIDF16_DF16_LN4vllm18Fp8KVCacheDataTypeE0EDF16_Li32ELi64ELi256ELb0ELi4EL8MFMAType0EEvPKT_PKT0_S8_ifPKiSA_SA_iPKfiiiPfSD_PS3_PT2_iSC_SC_
                                        ; -- End function
	.section	.AMDGPU.csdata,"",@progbits
; Kernel info:
; codeLenInByte = 7084
; NumSgprs: 41
; NumVgprs: 154
; ScratchSize: 0
; MemoryBound: 0
; FloatMode: 240
; IeeeMode: 1
; LDSByteSize: 17472 bytes/workgroup (compile time only)
; SGPRBlocks: 5
; VGPRBlocks: 19
; NumSGPRsForWavesPerEU: 41
; NumVGPRsForWavesPerEU: 154
; Occupancy: 9
; WaveLimiterHint : 1
; COMPUTE_PGM_RSRC2:SCRATCH_EN: 0
; COMPUTE_PGM_RSRC2:USER_SGPR: 13
; COMPUTE_PGM_RSRC2:TRAP_HANDLER: 0
; COMPUTE_PGM_RSRC2:TGID_X_EN: 1
; COMPUTE_PGM_RSRC2:TGID_Y_EN: 1
; COMPUTE_PGM_RSRC2:TGID_Z_EN: 1
; COMPUTE_PGM_RSRC2:TIDIG_COMP_CNT: 0
	.section	.text._Z38paged_attention_ll4mi_QKV_mfma4_kernelIDF16_DF16_LN4vllm18Fp8KVCacheDataTypeE0EhLi16ELi128ELi256ELb1ELi1EEvPKT_PKT0_S7_ifPKiS9_S9_iPKfiiiPfSC_PS2_PT2_iSB_SB_,"axG",@progbits,_Z38paged_attention_ll4mi_QKV_mfma4_kernelIDF16_DF16_LN4vllm18Fp8KVCacheDataTypeE0EhLi16ELi128ELi256ELb1ELi1EEvPKT_PKT0_S7_ifPKiS9_S9_iPKfiiiPfSC_PS2_PT2_iSB_SB_,comdat
	.protected	_Z38paged_attention_ll4mi_QKV_mfma4_kernelIDF16_DF16_LN4vllm18Fp8KVCacheDataTypeE0EhLi16ELi128ELi256ELb1ELi1EEvPKT_PKT0_S7_ifPKiS9_S9_iPKfiiiPfSC_PS2_PT2_iSB_SB_ ; -- Begin function _Z38paged_attention_ll4mi_QKV_mfma4_kernelIDF16_DF16_LN4vllm18Fp8KVCacheDataTypeE0EhLi16ELi128ELi256ELb1ELi1EEvPKT_PKT0_S7_ifPKiS9_S9_iPKfiiiPfSC_PS2_PT2_iSB_SB_
	.globl	_Z38paged_attention_ll4mi_QKV_mfma4_kernelIDF16_DF16_LN4vllm18Fp8KVCacheDataTypeE0EhLi16ELi128ELi256ELb1ELi1EEvPKT_PKT0_S7_ifPKiS9_S9_iPKfiiiPfSC_PS2_PT2_iSB_SB_
	.p2align	8
	.type	_Z38paged_attention_ll4mi_QKV_mfma4_kernelIDF16_DF16_LN4vllm18Fp8KVCacheDataTypeE0EhLi16ELi128ELi256ELb1ELi1EEvPKT_PKT0_S7_ifPKiS9_S9_iPKfiiiPfSC_PS2_PT2_iSB_SB_,@function
_Z38paged_attention_ll4mi_QKV_mfma4_kernelIDF16_DF16_LN4vllm18Fp8KVCacheDataTypeE0EhLi16ELi128ELi256ELb1ELi1EEvPKT_PKT0_S7_ifPKiS9_S9_iPKfiiiPfSC_PS2_PT2_iSB_SB_: ; @_Z38paged_attention_ll4mi_QKV_mfma4_kernelIDF16_DF16_LN4vllm18Fp8KVCacheDataTypeE0EhLi16ELi128ELi256ELb1ELi1EEvPKT_PKT0_S7_ifPKiS9_S9_iPKfiiiPfSC_PS2_PT2_iSB_SB_
; %bb.0:
	s_add_u32 s8, s0, 0x90
	s_addc_u32 s9, s1, 0
	s_getpc_b64 s[0:1]
	s_add_u32 s0, s0, __PRETTY_FUNCTION__._Z38paged_attention_ll4mi_QKV_mfma4_kernelIDF16_DF16_LN4vllm18Fp8KVCacheDataTypeE0EhLi16ELi128ELi256ELb1ELi1EEvPKT_PKT0_S7_ifPKiS9_S9_iPKfiiiPfSC_PS2_PT2_iSB_SB_@rel32@lo+4
	s_addc_u32 s1, s1, __PRETTY_FUNCTION__._Z38paged_attention_ll4mi_QKV_mfma4_kernelIDF16_DF16_LN4vllm18Fp8KVCacheDataTypeE0EhLi16ELi128ELi256ELb1ELi1EEvPKT_PKT0_S7_ifPKiS9_S9_iPKfiiiPfSC_PS2_PT2_iSB_SB_@rel32@hi+12
	s_delay_alu instid0(SALU_CYCLE_1) | instskip(SKIP_4) | instid1(SALU_CYCLE_1)
	v_dual_mov_b32 v0, s0 :: v_dual_mov_b32 v1, s1
	s_mov_b32 s32, 0
	s_getpc_b64 s[2:3]
	s_add_u32 s2, s2, __assert_fail@rel32@lo+4
	s_addc_u32 s3, s3, __assert_fail@rel32@hi+12
	s_swappc_b64 s[30:31], s[2:3]
	.section	.rodata,"a",@progbits
	.p2align	6, 0x0
	.amdhsa_kernel _Z38paged_attention_ll4mi_QKV_mfma4_kernelIDF16_DF16_LN4vllm18Fp8KVCacheDataTypeE0EhLi16ELi128ELi256ELb1ELi1EEvPKT_PKT0_S7_ifPKiS9_S9_iPKfiiiPfSC_PS2_PT2_iSB_SB_
		.amdhsa_group_segment_fixed_size 0
		.amdhsa_private_segment_fixed_size 64
		.amdhsa_kernarg_size 400
		.amdhsa_user_sgpr_count 15
		.amdhsa_user_sgpr_dispatch_ptr 0
		.amdhsa_user_sgpr_queue_ptr 0
		.amdhsa_user_sgpr_kernarg_segment_ptr 1
		.amdhsa_user_sgpr_dispatch_id 0
		.amdhsa_user_sgpr_private_segment_size 0
		.amdhsa_wavefront_size32 1
		.amdhsa_uses_dynamic_stack 0
		.amdhsa_enable_private_segment 1
		.amdhsa_system_sgpr_workgroup_id_x 1
		.amdhsa_system_sgpr_workgroup_id_y 0
		.amdhsa_system_sgpr_workgroup_id_z 0
		.amdhsa_system_sgpr_workgroup_info 0
		.amdhsa_system_vgpr_workitem_id 0
		.amdhsa_next_free_vgpr 41
		.amdhsa_next_free_sgpr 34
		.amdhsa_reserve_vcc 1
		.amdhsa_float_round_mode_32 0
		.amdhsa_float_round_mode_16_64 0
		.amdhsa_float_denorm_mode_32 3
		.amdhsa_float_denorm_mode_16_64 3
		.amdhsa_dx10_clamp 1
		.amdhsa_ieee_mode 1
		.amdhsa_fp16_overflow 0
		.amdhsa_workgroup_processor_mode 1
		.amdhsa_memory_ordered 1
		.amdhsa_forward_progress 0
		.amdhsa_shared_vgpr_count 0
		.amdhsa_exception_fp_ieee_invalid_op 0
		.amdhsa_exception_fp_denorm_src 0
		.amdhsa_exception_fp_ieee_div_zero 0
		.amdhsa_exception_fp_ieee_overflow 0
		.amdhsa_exception_fp_ieee_underflow 0
		.amdhsa_exception_fp_ieee_inexact 0
		.amdhsa_exception_int_div_zero 0
	.end_amdhsa_kernel
	.section	.text._Z38paged_attention_ll4mi_QKV_mfma4_kernelIDF16_DF16_LN4vllm18Fp8KVCacheDataTypeE0EhLi16ELi128ELi256ELb1ELi1EEvPKT_PKT0_S7_ifPKiS9_S9_iPKfiiiPfSC_PS2_PT2_iSB_SB_,"axG",@progbits,_Z38paged_attention_ll4mi_QKV_mfma4_kernelIDF16_DF16_LN4vllm18Fp8KVCacheDataTypeE0EhLi16ELi128ELi256ELb1ELi1EEvPKT_PKT0_S7_ifPKiS9_S9_iPKfiiiPfSC_PS2_PT2_iSB_SB_,comdat
.Lfunc_end194:
	.size	_Z38paged_attention_ll4mi_QKV_mfma4_kernelIDF16_DF16_LN4vllm18Fp8KVCacheDataTypeE0EhLi16ELi128ELi256ELb1ELi1EEvPKT_PKT0_S7_ifPKiS9_S9_iPKfiiiPfSC_PS2_PT2_iSB_SB_, .Lfunc_end194-_Z38paged_attention_ll4mi_QKV_mfma4_kernelIDF16_DF16_LN4vllm18Fp8KVCacheDataTypeE0EhLi16ELi128ELi256ELb1ELi1EEvPKT_PKT0_S7_ifPKiS9_S9_iPKfiiiPfSC_PS2_PT2_iSB_SB_
                                        ; -- End function
	.section	.AMDGPU.csdata,"",@progbits
; Kernel info:
; codeLenInByte = 72
; NumSgprs: 36
; NumVgprs: 41
; ScratchSize: 64
; MemoryBound: 0
; FloatMode: 240
; IeeeMode: 1
; LDSByteSize: 0 bytes/workgroup (compile time only)
; SGPRBlocks: 4
; VGPRBlocks: 5
; NumSGPRsForWavesPerEU: 36
; NumVGPRsForWavesPerEU: 41
; Occupancy: 16
; WaveLimiterHint : 1
; COMPUTE_PGM_RSRC2:SCRATCH_EN: 1
; COMPUTE_PGM_RSRC2:USER_SGPR: 15
; COMPUTE_PGM_RSRC2:TRAP_HANDLER: 0
; COMPUTE_PGM_RSRC2:TGID_X_EN: 1
; COMPUTE_PGM_RSRC2:TGID_Y_EN: 0
; COMPUTE_PGM_RSRC2:TGID_Z_EN: 0
; COMPUTE_PGM_RSRC2:TIDIG_COMP_CNT: 0
	.section	.text._Z38paged_attention_ll4mi_QKV_mfma4_kernelIDF16_DF16_LN4vllm18Fp8KVCacheDataTypeE0EhLi16ELi128ELi256ELb1ELi2EEvPKT_PKT0_S7_ifPKiS9_S9_iPKfiiiPfSC_PS2_PT2_iSB_SB_,"axG",@progbits,_Z38paged_attention_ll4mi_QKV_mfma4_kernelIDF16_DF16_LN4vllm18Fp8KVCacheDataTypeE0EhLi16ELi128ELi256ELb1ELi2EEvPKT_PKT0_S7_ifPKiS9_S9_iPKfiiiPfSC_PS2_PT2_iSB_SB_,comdat
	.protected	_Z38paged_attention_ll4mi_QKV_mfma4_kernelIDF16_DF16_LN4vllm18Fp8KVCacheDataTypeE0EhLi16ELi128ELi256ELb1ELi2EEvPKT_PKT0_S7_ifPKiS9_S9_iPKfiiiPfSC_PS2_PT2_iSB_SB_ ; -- Begin function _Z38paged_attention_ll4mi_QKV_mfma4_kernelIDF16_DF16_LN4vllm18Fp8KVCacheDataTypeE0EhLi16ELi128ELi256ELb1ELi2EEvPKT_PKT0_S7_ifPKiS9_S9_iPKfiiiPfSC_PS2_PT2_iSB_SB_
	.globl	_Z38paged_attention_ll4mi_QKV_mfma4_kernelIDF16_DF16_LN4vllm18Fp8KVCacheDataTypeE0EhLi16ELi128ELi256ELb1ELi2EEvPKT_PKT0_S7_ifPKiS9_S9_iPKfiiiPfSC_PS2_PT2_iSB_SB_
	.p2align	8
	.type	_Z38paged_attention_ll4mi_QKV_mfma4_kernelIDF16_DF16_LN4vllm18Fp8KVCacheDataTypeE0EhLi16ELi128ELi256ELb1ELi2EEvPKT_PKT0_S7_ifPKiS9_S9_iPKfiiiPfSC_PS2_PT2_iSB_SB_,@function
_Z38paged_attention_ll4mi_QKV_mfma4_kernelIDF16_DF16_LN4vllm18Fp8KVCacheDataTypeE0EhLi16ELi128ELi256ELb1ELi2EEvPKT_PKT0_S7_ifPKiS9_S9_iPKfiiiPfSC_PS2_PT2_iSB_SB_: ; @_Z38paged_attention_ll4mi_QKV_mfma4_kernelIDF16_DF16_LN4vllm18Fp8KVCacheDataTypeE0EhLi16ELi128ELi256ELb1ELi2EEvPKT_PKT0_S7_ifPKiS9_S9_iPKfiiiPfSC_PS2_PT2_iSB_SB_
; %bb.0:
	s_add_u32 s8, s0, 0x90
	s_addc_u32 s9, s1, 0
	s_getpc_b64 s[0:1]
	s_add_u32 s0, s0, __PRETTY_FUNCTION__._Z38paged_attention_ll4mi_QKV_mfma4_kernelIDF16_DF16_LN4vllm18Fp8KVCacheDataTypeE0EhLi16ELi128ELi256ELb1ELi2EEvPKT_PKT0_S7_ifPKiS9_S9_iPKfiiiPfSC_PS2_PT2_iSB_SB_@rel32@lo+4
	s_addc_u32 s1, s1, __PRETTY_FUNCTION__._Z38paged_attention_ll4mi_QKV_mfma4_kernelIDF16_DF16_LN4vllm18Fp8KVCacheDataTypeE0EhLi16ELi128ELi256ELb1ELi2EEvPKT_PKT0_S7_ifPKiS9_S9_iPKfiiiPfSC_PS2_PT2_iSB_SB_@rel32@hi+12
	s_delay_alu instid0(SALU_CYCLE_1) | instskip(SKIP_4) | instid1(SALU_CYCLE_1)
	v_dual_mov_b32 v0, s0 :: v_dual_mov_b32 v1, s1
	s_mov_b32 s32, 0
	s_getpc_b64 s[2:3]
	s_add_u32 s2, s2, __assert_fail@rel32@lo+4
	s_addc_u32 s3, s3, __assert_fail@rel32@hi+12
	s_swappc_b64 s[30:31], s[2:3]
	.section	.rodata,"a",@progbits
	.p2align	6, 0x0
	.amdhsa_kernel _Z38paged_attention_ll4mi_QKV_mfma4_kernelIDF16_DF16_LN4vllm18Fp8KVCacheDataTypeE0EhLi16ELi128ELi256ELb1ELi2EEvPKT_PKT0_S7_ifPKiS9_S9_iPKfiiiPfSC_PS2_PT2_iSB_SB_
		.amdhsa_group_segment_fixed_size 0
		.amdhsa_private_segment_fixed_size 64
		.amdhsa_kernarg_size 400
		.amdhsa_user_sgpr_count 15
		.amdhsa_user_sgpr_dispatch_ptr 0
		.amdhsa_user_sgpr_queue_ptr 0
		.amdhsa_user_sgpr_kernarg_segment_ptr 1
		.amdhsa_user_sgpr_dispatch_id 0
		.amdhsa_user_sgpr_private_segment_size 0
		.amdhsa_wavefront_size32 1
		.amdhsa_uses_dynamic_stack 0
		.amdhsa_enable_private_segment 1
		.amdhsa_system_sgpr_workgroup_id_x 1
		.amdhsa_system_sgpr_workgroup_id_y 0
		.amdhsa_system_sgpr_workgroup_id_z 0
		.amdhsa_system_sgpr_workgroup_info 0
		.amdhsa_system_vgpr_workitem_id 0
		.amdhsa_next_free_vgpr 41
		.amdhsa_next_free_sgpr 34
		.amdhsa_reserve_vcc 1
		.amdhsa_float_round_mode_32 0
		.amdhsa_float_round_mode_16_64 0
		.amdhsa_float_denorm_mode_32 3
		.amdhsa_float_denorm_mode_16_64 3
		.amdhsa_dx10_clamp 1
		.amdhsa_ieee_mode 1
		.amdhsa_fp16_overflow 0
		.amdhsa_workgroup_processor_mode 1
		.amdhsa_memory_ordered 1
		.amdhsa_forward_progress 0
		.amdhsa_shared_vgpr_count 0
		.amdhsa_exception_fp_ieee_invalid_op 0
		.amdhsa_exception_fp_denorm_src 0
		.amdhsa_exception_fp_ieee_div_zero 0
		.amdhsa_exception_fp_ieee_overflow 0
		.amdhsa_exception_fp_ieee_underflow 0
		.amdhsa_exception_fp_ieee_inexact 0
		.amdhsa_exception_int_div_zero 0
	.end_amdhsa_kernel
	.section	.text._Z38paged_attention_ll4mi_QKV_mfma4_kernelIDF16_DF16_LN4vllm18Fp8KVCacheDataTypeE0EhLi16ELi128ELi256ELb1ELi2EEvPKT_PKT0_S7_ifPKiS9_S9_iPKfiiiPfSC_PS2_PT2_iSB_SB_,"axG",@progbits,_Z38paged_attention_ll4mi_QKV_mfma4_kernelIDF16_DF16_LN4vllm18Fp8KVCacheDataTypeE0EhLi16ELi128ELi256ELb1ELi2EEvPKT_PKT0_S7_ifPKiS9_S9_iPKfiiiPfSC_PS2_PT2_iSB_SB_,comdat
.Lfunc_end195:
	.size	_Z38paged_attention_ll4mi_QKV_mfma4_kernelIDF16_DF16_LN4vllm18Fp8KVCacheDataTypeE0EhLi16ELi128ELi256ELb1ELi2EEvPKT_PKT0_S7_ifPKiS9_S9_iPKfiiiPfSC_PS2_PT2_iSB_SB_, .Lfunc_end195-_Z38paged_attention_ll4mi_QKV_mfma4_kernelIDF16_DF16_LN4vllm18Fp8KVCacheDataTypeE0EhLi16ELi128ELi256ELb1ELi2EEvPKT_PKT0_S7_ifPKiS9_S9_iPKfiiiPfSC_PS2_PT2_iSB_SB_
                                        ; -- End function
	.section	.AMDGPU.csdata,"",@progbits
; Kernel info:
; codeLenInByte = 72
; NumSgprs: 36
; NumVgprs: 41
; ScratchSize: 64
; MemoryBound: 0
; FloatMode: 240
; IeeeMode: 1
; LDSByteSize: 0 bytes/workgroup (compile time only)
; SGPRBlocks: 4
; VGPRBlocks: 5
; NumSGPRsForWavesPerEU: 36
; NumVGPRsForWavesPerEU: 41
; Occupancy: 16
; WaveLimiterHint : 1
; COMPUTE_PGM_RSRC2:SCRATCH_EN: 1
; COMPUTE_PGM_RSRC2:USER_SGPR: 15
; COMPUTE_PGM_RSRC2:TRAP_HANDLER: 0
; COMPUTE_PGM_RSRC2:TGID_X_EN: 1
; COMPUTE_PGM_RSRC2:TGID_Y_EN: 0
; COMPUTE_PGM_RSRC2:TGID_Z_EN: 0
; COMPUTE_PGM_RSRC2:TIDIG_COMP_CNT: 0
	.section	.text._Z38paged_attention_ll4mi_QKV_mfma4_kernelIDF16_DF16_LN4vllm18Fp8KVCacheDataTypeE0EhLi16ELi128ELi256ELb1ELi3EEvPKT_PKT0_S7_ifPKiS9_S9_iPKfiiiPfSC_PS2_PT2_iSB_SB_,"axG",@progbits,_Z38paged_attention_ll4mi_QKV_mfma4_kernelIDF16_DF16_LN4vllm18Fp8KVCacheDataTypeE0EhLi16ELi128ELi256ELb1ELi3EEvPKT_PKT0_S7_ifPKiS9_S9_iPKfiiiPfSC_PS2_PT2_iSB_SB_,comdat
	.protected	_Z38paged_attention_ll4mi_QKV_mfma4_kernelIDF16_DF16_LN4vllm18Fp8KVCacheDataTypeE0EhLi16ELi128ELi256ELb1ELi3EEvPKT_PKT0_S7_ifPKiS9_S9_iPKfiiiPfSC_PS2_PT2_iSB_SB_ ; -- Begin function _Z38paged_attention_ll4mi_QKV_mfma4_kernelIDF16_DF16_LN4vllm18Fp8KVCacheDataTypeE0EhLi16ELi128ELi256ELb1ELi3EEvPKT_PKT0_S7_ifPKiS9_S9_iPKfiiiPfSC_PS2_PT2_iSB_SB_
	.globl	_Z38paged_attention_ll4mi_QKV_mfma4_kernelIDF16_DF16_LN4vllm18Fp8KVCacheDataTypeE0EhLi16ELi128ELi256ELb1ELi3EEvPKT_PKT0_S7_ifPKiS9_S9_iPKfiiiPfSC_PS2_PT2_iSB_SB_
	.p2align	8
	.type	_Z38paged_attention_ll4mi_QKV_mfma4_kernelIDF16_DF16_LN4vllm18Fp8KVCacheDataTypeE0EhLi16ELi128ELi256ELb1ELi3EEvPKT_PKT0_S7_ifPKiS9_S9_iPKfiiiPfSC_PS2_PT2_iSB_SB_,@function
_Z38paged_attention_ll4mi_QKV_mfma4_kernelIDF16_DF16_LN4vllm18Fp8KVCacheDataTypeE0EhLi16ELi128ELi256ELb1ELi3EEvPKT_PKT0_S7_ifPKiS9_S9_iPKfiiiPfSC_PS2_PT2_iSB_SB_: ; @_Z38paged_attention_ll4mi_QKV_mfma4_kernelIDF16_DF16_LN4vllm18Fp8KVCacheDataTypeE0EhLi16ELi128ELi256ELb1ELi3EEvPKT_PKT0_S7_ifPKiS9_S9_iPKfiiiPfSC_PS2_PT2_iSB_SB_
; %bb.0:
	s_add_u32 s8, s0, 0x90
	s_addc_u32 s9, s1, 0
	s_getpc_b64 s[0:1]
	s_add_u32 s0, s0, __PRETTY_FUNCTION__._Z38paged_attention_ll4mi_QKV_mfma4_kernelIDF16_DF16_LN4vllm18Fp8KVCacheDataTypeE0EhLi16ELi128ELi256ELb1ELi3EEvPKT_PKT0_S7_ifPKiS9_S9_iPKfiiiPfSC_PS2_PT2_iSB_SB_@rel32@lo+4
	s_addc_u32 s1, s1, __PRETTY_FUNCTION__._Z38paged_attention_ll4mi_QKV_mfma4_kernelIDF16_DF16_LN4vllm18Fp8KVCacheDataTypeE0EhLi16ELi128ELi256ELb1ELi3EEvPKT_PKT0_S7_ifPKiS9_S9_iPKfiiiPfSC_PS2_PT2_iSB_SB_@rel32@hi+12
	s_delay_alu instid0(SALU_CYCLE_1) | instskip(SKIP_4) | instid1(SALU_CYCLE_1)
	v_dual_mov_b32 v0, s0 :: v_dual_mov_b32 v1, s1
	s_mov_b32 s32, 0
	s_getpc_b64 s[2:3]
	s_add_u32 s2, s2, __assert_fail@rel32@lo+4
	s_addc_u32 s3, s3, __assert_fail@rel32@hi+12
	s_swappc_b64 s[30:31], s[2:3]
	.section	.rodata,"a",@progbits
	.p2align	6, 0x0
	.amdhsa_kernel _Z38paged_attention_ll4mi_QKV_mfma4_kernelIDF16_DF16_LN4vllm18Fp8KVCacheDataTypeE0EhLi16ELi128ELi256ELb1ELi3EEvPKT_PKT0_S7_ifPKiS9_S9_iPKfiiiPfSC_PS2_PT2_iSB_SB_
		.amdhsa_group_segment_fixed_size 0
		.amdhsa_private_segment_fixed_size 64
		.amdhsa_kernarg_size 400
		.amdhsa_user_sgpr_count 15
		.amdhsa_user_sgpr_dispatch_ptr 0
		.amdhsa_user_sgpr_queue_ptr 0
		.amdhsa_user_sgpr_kernarg_segment_ptr 1
		.amdhsa_user_sgpr_dispatch_id 0
		.amdhsa_user_sgpr_private_segment_size 0
		.amdhsa_wavefront_size32 1
		.amdhsa_uses_dynamic_stack 0
		.amdhsa_enable_private_segment 1
		.amdhsa_system_sgpr_workgroup_id_x 1
		.amdhsa_system_sgpr_workgroup_id_y 0
		.amdhsa_system_sgpr_workgroup_id_z 0
		.amdhsa_system_sgpr_workgroup_info 0
		.amdhsa_system_vgpr_workitem_id 0
		.amdhsa_next_free_vgpr 41
		.amdhsa_next_free_sgpr 34
		.amdhsa_reserve_vcc 1
		.amdhsa_float_round_mode_32 0
		.amdhsa_float_round_mode_16_64 0
		.amdhsa_float_denorm_mode_32 3
		.amdhsa_float_denorm_mode_16_64 3
		.amdhsa_dx10_clamp 1
		.amdhsa_ieee_mode 1
		.amdhsa_fp16_overflow 0
		.amdhsa_workgroup_processor_mode 1
		.amdhsa_memory_ordered 1
		.amdhsa_forward_progress 0
		.amdhsa_shared_vgpr_count 0
		.amdhsa_exception_fp_ieee_invalid_op 0
		.amdhsa_exception_fp_denorm_src 0
		.amdhsa_exception_fp_ieee_div_zero 0
		.amdhsa_exception_fp_ieee_overflow 0
		.amdhsa_exception_fp_ieee_underflow 0
		.amdhsa_exception_fp_ieee_inexact 0
		.amdhsa_exception_int_div_zero 0
	.end_amdhsa_kernel
	.section	.text._Z38paged_attention_ll4mi_QKV_mfma4_kernelIDF16_DF16_LN4vllm18Fp8KVCacheDataTypeE0EhLi16ELi128ELi256ELb1ELi3EEvPKT_PKT0_S7_ifPKiS9_S9_iPKfiiiPfSC_PS2_PT2_iSB_SB_,"axG",@progbits,_Z38paged_attention_ll4mi_QKV_mfma4_kernelIDF16_DF16_LN4vllm18Fp8KVCacheDataTypeE0EhLi16ELi128ELi256ELb1ELi3EEvPKT_PKT0_S7_ifPKiS9_S9_iPKfiiiPfSC_PS2_PT2_iSB_SB_,comdat
.Lfunc_end196:
	.size	_Z38paged_attention_ll4mi_QKV_mfma4_kernelIDF16_DF16_LN4vllm18Fp8KVCacheDataTypeE0EhLi16ELi128ELi256ELb1ELi3EEvPKT_PKT0_S7_ifPKiS9_S9_iPKfiiiPfSC_PS2_PT2_iSB_SB_, .Lfunc_end196-_Z38paged_attention_ll4mi_QKV_mfma4_kernelIDF16_DF16_LN4vllm18Fp8KVCacheDataTypeE0EhLi16ELi128ELi256ELb1ELi3EEvPKT_PKT0_S7_ifPKiS9_S9_iPKfiiiPfSC_PS2_PT2_iSB_SB_
                                        ; -- End function
	.section	.AMDGPU.csdata,"",@progbits
; Kernel info:
; codeLenInByte = 72
; NumSgprs: 36
; NumVgprs: 41
; ScratchSize: 64
; MemoryBound: 0
; FloatMode: 240
; IeeeMode: 1
; LDSByteSize: 0 bytes/workgroup (compile time only)
; SGPRBlocks: 4
; VGPRBlocks: 5
; NumSGPRsForWavesPerEU: 36
; NumVGPRsForWavesPerEU: 41
; Occupancy: 16
; WaveLimiterHint : 1
; COMPUTE_PGM_RSRC2:SCRATCH_EN: 1
; COMPUTE_PGM_RSRC2:USER_SGPR: 15
; COMPUTE_PGM_RSRC2:TRAP_HANDLER: 0
; COMPUTE_PGM_RSRC2:TGID_X_EN: 1
; COMPUTE_PGM_RSRC2:TGID_Y_EN: 0
; COMPUTE_PGM_RSRC2:TGID_Z_EN: 0
; COMPUTE_PGM_RSRC2:TIDIG_COMP_CNT: 0
	.section	.text._Z38paged_attention_ll4mi_QKV_mfma4_kernelIDF16_DF16_LN4vllm18Fp8KVCacheDataTypeE0EhLi16ELi128ELi256ELb1ELi4EEvPKT_PKT0_S7_ifPKiS9_S9_iPKfiiiPfSC_PS2_PT2_iSB_SB_,"axG",@progbits,_Z38paged_attention_ll4mi_QKV_mfma4_kernelIDF16_DF16_LN4vllm18Fp8KVCacheDataTypeE0EhLi16ELi128ELi256ELb1ELi4EEvPKT_PKT0_S7_ifPKiS9_S9_iPKfiiiPfSC_PS2_PT2_iSB_SB_,comdat
	.protected	_Z38paged_attention_ll4mi_QKV_mfma4_kernelIDF16_DF16_LN4vllm18Fp8KVCacheDataTypeE0EhLi16ELi128ELi256ELb1ELi4EEvPKT_PKT0_S7_ifPKiS9_S9_iPKfiiiPfSC_PS2_PT2_iSB_SB_ ; -- Begin function _Z38paged_attention_ll4mi_QKV_mfma4_kernelIDF16_DF16_LN4vllm18Fp8KVCacheDataTypeE0EhLi16ELi128ELi256ELb1ELi4EEvPKT_PKT0_S7_ifPKiS9_S9_iPKfiiiPfSC_PS2_PT2_iSB_SB_
	.globl	_Z38paged_attention_ll4mi_QKV_mfma4_kernelIDF16_DF16_LN4vllm18Fp8KVCacheDataTypeE0EhLi16ELi128ELi256ELb1ELi4EEvPKT_PKT0_S7_ifPKiS9_S9_iPKfiiiPfSC_PS2_PT2_iSB_SB_
	.p2align	8
	.type	_Z38paged_attention_ll4mi_QKV_mfma4_kernelIDF16_DF16_LN4vllm18Fp8KVCacheDataTypeE0EhLi16ELi128ELi256ELb1ELi4EEvPKT_PKT0_S7_ifPKiS9_S9_iPKfiiiPfSC_PS2_PT2_iSB_SB_,@function
_Z38paged_attention_ll4mi_QKV_mfma4_kernelIDF16_DF16_LN4vllm18Fp8KVCacheDataTypeE0EhLi16ELi128ELi256ELb1ELi4EEvPKT_PKT0_S7_ifPKiS9_S9_iPKfiiiPfSC_PS2_PT2_iSB_SB_: ; @_Z38paged_attention_ll4mi_QKV_mfma4_kernelIDF16_DF16_LN4vllm18Fp8KVCacheDataTypeE0EhLi16ELi128ELi256ELb1ELi4EEvPKT_PKT0_S7_ifPKiS9_S9_iPKfiiiPfSC_PS2_PT2_iSB_SB_
; %bb.0:
	s_add_u32 s8, s0, 0x90
	s_addc_u32 s9, s1, 0
	s_getpc_b64 s[0:1]
	s_add_u32 s0, s0, __PRETTY_FUNCTION__._Z38paged_attention_ll4mi_QKV_mfma4_kernelIDF16_DF16_LN4vllm18Fp8KVCacheDataTypeE0EhLi16ELi128ELi256ELb1ELi4EEvPKT_PKT0_S7_ifPKiS9_S9_iPKfiiiPfSC_PS2_PT2_iSB_SB_@rel32@lo+4
	s_addc_u32 s1, s1, __PRETTY_FUNCTION__._Z38paged_attention_ll4mi_QKV_mfma4_kernelIDF16_DF16_LN4vllm18Fp8KVCacheDataTypeE0EhLi16ELi128ELi256ELb1ELi4EEvPKT_PKT0_S7_ifPKiS9_S9_iPKfiiiPfSC_PS2_PT2_iSB_SB_@rel32@hi+12
	s_delay_alu instid0(SALU_CYCLE_1) | instskip(SKIP_4) | instid1(SALU_CYCLE_1)
	v_dual_mov_b32 v0, s0 :: v_dual_mov_b32 v1, s1
	s_mov_b32 s32, 0
	s_getpc_b64 s[2:3]
	s_add_u32 s2, s2, __assert_fail@rel32@lo+4
	s_addc_u32 s3, s3, __assert_fail@rel32@hi+12
	s_swappc_b64 s[30:31], s[2:3]
	.section	.rodata,"a",@progbits
	.p2align	6, 0x0
	.amdhsa_kernel _Z38paged_attention_ll4mi_QKV_mfma4_kernelIDF16_DF16_LN4vllm18Fp8KVCacheDataTypeE0EhLi16ELi128ELi256ELb1ELi4EEvPKT_PKT0_S7_ifPKiS9_S9_iPKfiiiPfSC_PS2_PT2_iSB_SB_
		.amdhsa_group_segment_fixed_size 0
		.amdhsa_private_segment_fixed_size 64
		.amdhsa_kernarg_size 400
		.amdhsa_user_sgpr_count 15
		.amdhsa_user_sgpr_dispatch_ptr 0
		.amdhsa_user_sgpr_queue_ptr 0
		.amdhsa_user_sgpr_kernarg_segment_ptr 1
		.amdhsa_user_sgpr_dispatch_id 0
		.amdhsa_user_sgpr_private_segment_size 0
		.amdhsa_wavefront_size32 1
		.amdhsa_uses_dynamic_stack 0
		.amdhsa_enable_private_segment 1
		.amdhsa_system_sgpr_workgroup_id_x 1
		.amdhsa_system_sgpr_workgroup_id_y 0
		.amdhsa_system_sgpr_workgroup_id_z 0
		.amdhsa_system_sgpr_workgroup_info 0
		.amdhsa_system_vgpr_workitem_id 0
		.amdhsa_next_free_vgpr 41
		.amdhsa_next_free_sgpr 34
		.amdhsa_reserve_vcc 1
		.amdhsa_float_round_mode_32 0
		.amdhsa_float_round_mode_16_64 0
		.amdhsa_float_denorm_mode_32 3
		.amdhsa_float_denorm_mode_16_64 3
		.amdhsa_dx10_clamp 1
		.amdhsa_ieee_mode 1
		.amdhsa_fp16_overflow 0
		.amdhsa_workgroup_processor_mode 1
		.amdhsa_memory_ordered 1
		.amdhsa_forward_progress 0
		.amdhsa_shared_vgpr_count 0
		.amdhsa_exception_fp_ieee_invalid_op 0
		.amdhsa_exception_fp_denorm_src 0
		.amdhsa_exception_fp_ieee_div_zero 0
		.amdhsa_exception_fp_ieee_overflow 0
		.amdhsa_exception_fp_ieee_underflow 0
		.amdhsa_exception_fp_ieee_inexact 0
		.amdhsa_exception_int_div_zero 0
	.end_amdhsa_kernel
	.section	.text._Z38paged_attention_ll4mi_QKV_mfma4_kernelIDF16_DF16_LN4vllm18Fp8KVCacheDataTypeE0EhLi16ELi128ELi256ELb1ELi4EEvPKT_PKT0_S7_ifPKiS9_S9_iPKfiiiPfSC_PS2_PT2_iSB_SB_,"axG",@progbits,_Z38paged_attention_ll4mi_QKV_mfma4_kernelIDF16_DF16_LN4vllm18Fp8KVCacheDataTypeE0EhLi16ELi128ELi256ELb1ELi4EEvPKT_PKT0_S7_ifPKiS9_S9_iPKfiiiPfSC_PS2_PT2_iSB_SB_,comdat
.Lfunc_end197:
	.size	_Z38paged_attention_ll4mi_QKV_mfma4_kernelIDF16_DF16_LN4vllm18Fp8KVCacheDataTypeE0EhLi16ELi128ELi256ELb1ELi4EEvPKT_PKT0_S7_ifPKiS9_S9_iPKfiiiPfSC_PS2_PT2_iSB_SB_, .Lfunc_end197-_Z38paged_attention_ll4mi_QKV_mfma4_kernelIDF16_DF16_LN4vllm18Fp8KVCacheDataTypeE0EhLi16ELi128ELi256ELb1ELi4EEvPKT_PKT0_S7_ifPKiS9_S9_iPKfiiiPfSC_PS2_PT2_iSB_SB_
                                        ; -- End function
	.section	.AMDGPU.csdata,"",@progbits
; Kernel info:
; codeLenInByte = 72
; NumSgprs: 36
; NumVgprs: 41
; ScratchSize: 64
; MemoryBound: 0
; FloatMode: 240
; IeeeMode: 1
; LDSByteSize: 0 bytes/workgroup (compile time only)
; SGPRBlocks: 4
; VGPRBlocks: 5
; NumSGPRsForWavesPerEU: 36
; NumVGPRsForWavesPerEU: 41
; Occupancy: 16
; WaveLimiterHint : 1
; COMPUTE_PGM_RSRC2:SCRATCH_EN: 1
; COMPUTE_PGM_RSRC2:USER_SGPR: 15
; COMPUTE_PGM_RSRC2:TRAP_HANDLER: 0
; COMPUTE_PGM_RSRC2:TGID_X_EN: 1
; COMPUTE_PGM_RSRC2:TGID_Y_EN: 0
; COMPUTE_PGM_RSRC2:TGID_Z_EN: 0
; COMPUTE_PGM_RSRC2:TIDIG_COMP_CNT: 0
	.section	.text._Z39paged_attention_ll4mi_QKV_mfma16_kernelIDF16_DF16_LN4vllm18Fp8KVCacheDataTypeE0EhLi16ELi128ELi256ELb1ELi5EL8MFMAType0EEvPKT_PKT0_S8_ifPKiSA_SA_iPKfiiiPfSD_PS3_PT2_iSC_SC_,"axG",@progbits,_Z39paged_attention_ll4mi_QKV_mfma16_kernelIDF16_DF16_LN4vllm18Fp8KVCacheDataTypeE0EhLi16ELi128ELi256ELb1ELi5EL8MFMAType0EEvPKT_PKT0_S8_ifPKiSA_SA_iPKfiiiPfSD_PS3_PT2_iSC_SC_,comdat
	.protected	_Z39paged_attention_ll4mi_QKV_mfma16_kernelIDF16_DF16_LN4vllm18Fp8KVCacheDataTypeE0EhLi16ELi128ELi256ELb1ELi5EL8MFMAType0EEvPKT_PKT0_S8_ifPKiSA_SA_iPKfiiiPfSD_PS3_PT2_iSC_SC_ ; -- Begin function _Z39paged_attention_ll4mi_QKV_mfma16_kernelIDF16_DF16_LN4vllm18Fp8KVCacheDataTypeE0EhLi16ELi128ELi256ELb1ELi5EL8MFMAType0EEvPKT_PKT0_S8_ifPKiSA_SA_iPKfiiiPfSD_PS3_PT2_iSC_SC_
	.globl	_Z39paged_attention_ll4mi_QKV_mfma16_kernelIDF16_DF16_LN4vllm18Fp8KVCacheDataTypeE0EhLi16ELi128ELi256ELb1ELi5EL8MFMAType0EEvPKT_PKT0_S8_ifPKiSA_SA_iPKfiiiPfSD_PS3_PT2_iSC_SC_
	.p2align	8
	.type	_Z39paged_attention_ll4mi_QKV_mfma16_kernelIDF16_DF16_LN4vllm18Fp8KVCacheDataTypeE0EhLi16ELi128ELi256ELb1ELi5EL8MFMAType0EEvPKT_PKT0_S8_ifPKiSA_SA_iPKfiiiPfSD_PS3_PT2_iSC_SC_,@function
_Z39paged_attention_ll4mi_QKV_mfma16_kernelIDF16_DF16_LN4vllm18Fp8KVCacheDataTypeE0EhLi16ELi128ELi256ELb1ELi5EL8MFMAType0EEvPKT_PKT0_S8_ifPKiSA_SA_iPKfiiiPfSD_PS3_PT2_iSC_SC_: ; @_Z39paged_attention_ll4mi_QKV_mfma16_kernelIDF16_DF16_LN4vllm18Fp8KVCacheDataTypeE0EhLi16ELi128ELi256ELb1ELi5EL8MFMAType0EEvPKT_PKT0_S8_ifPKiSA_SA_iPKfiiiPfSD_PS3_PT2_iSC_SC_
; %bb.0:
	s_load_b64 s[4:5], s[0:1], 0x30
	s_mov_b32 s34, s13
	s_waitcnt lgkmcnt(0)
	s_cmp_lg_u64 s[4:5], 0
	s_cselect_b32 s8, -1, 0
	s_ashr_i32 s35, s13, 31
	s_cmp_eq_u64 s[4:5], 0
	s_cbranch_scc1 .LBB198_3
; %bb.1:
	s_lshl_b64 s[2:3], s[34:35], 2
	s_delay_alu instid0(SALU_CYCLE_1) | instskip(SKIP_4) | instid1(SALU_CYCLE_1)
	s_add_u32 s2, s4, s2
	s_addc_u32 s3, s5, s3
	s_load_b64 s[2:3], s[2:3], 0x0
	s_waitcnt lgkmcnt(0)
	s_sub_i32 s2, s3, s2
	s_cmp_eq_u32 s2, 1
	s_cselect_b32 s2, -1, 0
	s_delay_alu instid0(SALU_CYCLE_1)
	s_and_not1_b32 vcc_lo, exec_lo, s2
	s_cbranch_vccz .LBB198_4
.LBB198_2:
	s_nop 0
	s_sendmsg sendmsg(MSG_DEALLOC_VGPRS)
	s_endpgm
.LBB198_3:
.LBB198_4:
	s_load_b64 s[2:3], s[0:1], 0x28
	s_lshl_b64 s[6:7], s[34:35], 2
	s_waitcnt lgkmcnt(0)
	s_add_u32 s2, s2, s6
	s_addc_u32 s3, s3, s7
	s_lshl_b32 s29, s14, 8
	s_load_b32 s28, s[2:3], 0x0
	s_waitcnt lgkmcnt(0)
	s_cmp_ge_i32 s29, s28
	s_cbranch_scc1 .LBB198_2
; %bb.5:
	s_clause 0x1
	s_load_b128 s[20:23], s[0:1], 0x8
	s_load_b64 s[2:3], s[0:1], 0x20
	s_and_not1_b32 vcc_lo, exec_lo, s8
	s_cbranch_vccnz .LBB198_7
; %bb.6:
	s_add_u32 s4, s4, s6
	s_addc_u32 s5, s5, s7
	s_load_b32 s5, s[4:5], 0x0
	s_branch .LBB198_8
.LBB198_7:
	s_mov_b32 s5, s34
.LBB198_8:
	s_load_b128 s[16:19], s[0:1], 0x48
	v_and_b32_e32 v140, 15, v0
	v_lshrrev_b32_e32 v141, 5, v0
	v_bfe_u32 v138, v0, 4, 1
	v_and_b32_e32 v142, 31, v0
	v_and_b32_e32 v139, 1, v0
	v_lshlrev_b32_e32 v2, 3, v140
	s_mul_i32 s31, s15, 5
	v_lshl_or_b32 v1, v141, 1, v138
	s_mov_b32 s4, exec_lo
	s_delay_alu instid0(VALU_DEP_2) | instskip(NEXT) | instid1(VALU_DEP_2)
	v_lshlrev_b32_e32 v137, 1, v2
	v_cmpx_gt_u32_e32 5, v1
	s_cbranch_execz .LBB198_10
; %bb.9:
	s_load_b64 s[6:7], s[0:1], 0x0
	v_add_lshl_u32 v2, v1, s31, 7
	s_waitcnt lgkmcnt(0)
	s_mul_hi_i32 s9, s5, s16
	s_mul_i32 s8, s5, s16
	v_lshlrev_b32_e32 v6, 10, v140
	s_lshl_b64 s[8:9], s[8:9], 1
	v_ashrrev_i32_e32 v3, 31, v2
	v_lshlrev_b32_e32 v1, 6, v1
	v_lshlrev_b32_e32 v7, 10, v139
	v_and_b32_e32 v6, 0x3800, v6
	s_delay_alu instid0(VALU_DEP_4) | instskip(NEXT) | instid1(VALU_DEP_2)
	v_lshlrev_b64 v[2:3], 1, v[2:3]
	v_or3_b32 v1, v6, v7, v1
	s_add_u32 s5, s6, s8
	s_addc_u32 s6, s7, s9
	s_delay_alu instid0(VALU_DEP_2) | instskip(NEXT) | instid1(VALU_DEP_3)
	v_add_co_u32 v2, vcc_lo, s5, v2
	v_add_co_ci_u32_e32 v3, vcc_lo, s6, v3, vcc_lo
	s_delay_alu instid0(VALU_DEP_2) | instskip(NEXT) | instid1(VALU_DEP_2)
	v_add_co_u32 v2, vcc_lo, v2, v137
	v_add_co_ci_u32_e32 v3, vcc_lo, 0, v3, vcc_lo
	global_load_b128 v[2:5], v[2:3], off
	s_waitcnt vmcnt(0)
	ds_store_b128 v1, v[2:5]
.LBB198_10:
	s_or_b32 exec_lo, exec_lo, s4
	v_and_b32_e32 v1, 0xef, v0
	s_waitcnt lgkmcnt(0)
	s_add_i32 s5, s28, 15
	s_clause 0x1
	s_load_b32 s4, s[0:1], 0x38
	s_load_b32 s33, s[0:1], 0x98
	s_ashr_i32 s6, s5, 31
	v_add_nc_u32_e32 v1, s29, v1
	s_lshr_b32 s6, s6, 28
	s_load_b32 s30, s[0:1], 0x1c
	s_add_i32 s5, s5, s6
	s_waitcnt lgkmcnt(0)
	v_ashrrev_i32_e32 v2, 31, v1
	v_cmp_gt_i32_e32 vcc_lo, s28, v1
	s_ashr_i32 s16, s5, 4
	s_barrier
	s_add_i32 s16, s16, -1
	v_lshrrev_b32_e32 v3, 28, v2
	v_or_b32_e32 v2, 16, v1
	buffer_gl0_inv
	v_mul_lo_u16 v105, v140, 52
	v_lshlrev_b32_e32 v106, 5, v140
	v_add_nc_u32_e32 v4, v1, v3
	v_add_nc_u32_e32 v3, v2, v3
	s_mul_i32 s4, s34, s4
	v_lshrrev_b16 v105, 8, v105
	s_ashr_i32 s5, s4, 31
	v_ashrrev_i32_e32 v4, 4, v4
	v_ashrrev_i32_e32 v3, 4, v3
	s_lshl_b64 s[4:5], s[4:5], 2
	v_mul_lo_u16 v105, v105, 5
	s_add_u32 s35, s2, s4
	v_cndmask_b32_e32 v1, s16, v4, vcc_lo
	v_cmp_gt_i32_e32 vcc_lo, s28, v2
	s_addc_u32 s36, s3, s5
	s_mul_i32 s2, s15, s18
	v_sub_nc_u16 v105, v140, v105
	v_ashrrev_i32_e32 v2, 31, v1
	v_cndmask_b32_e32 v3, s16, v3, vcc_lo
	s_ashr_i32 s3, s2, 31
	v_lshl_or_b32 v125, v141, 9, v106
	s_lshl_b64 s[2:3], s[2:3], 1
	v_lshlrev_b64 v[1:2], 2, v[1:2]
	v_ashrrev_i32_e32 v4, 31, v3
	s_add_u32 s24, s20, s2
	s_addc_u32 s25, s21, s3
	s_lshl_b32 s4, s14, 4
	v_and_b32_e32 v105, 0xff, v105
	v_lshlrev_b64 v[3:4], 2, v[3:4]
	v_add_co_u32 v1, vcc_lo, s35, v1
	v_add_co_ci_u32_e32 v2, vcc_lo, s36, v2, vcc_lo
	s_ashr_i32 s5, s4, 31
	s_delay_alu instid0(VALU_DEP_3) | instskip(NEXT) | instid1(VALU_DEP_4)
	v_add_co_u32 v3, vcc_lo, s35, v3
	v_add_co_ci_u32_e32 v4, vcc_lo, s36, v4, vcc_lo
	s_lshl_b64 s[4:5], s[4:5], 2
	s_clause 0x1
	global_load_b32 v5, v[1:2], off
	global_load_b32 v6, v[3:4], off
	s_add_u32 s4, s35, s4
	s_addc_u32 s5, s36, s5
	s_or_b32 s6, s29, 16
	v_lshlrev_b32_e32 v3, 4, v0
	s_ashr_i32 s7, s6, 4
	s_cmp_lt_i32 s6, s28
	v_lshlrev_b32_e32 v215, 6, v105
	s_cselect_b32 s6, s7, s16
	s_delay_alu instid0(SALU_CYCLE_1) | instskip(NEXT) | instid1(SALU_CYCLE_1)
	s_ashr_i32 s7, s6, 31
	s_lshl_b64 s[6:7], s[6:7], 2
	s_delay_alu instid0(SALU_CYCLE_1) | instskip(SKIP_2) | instid1(SALU_CYCLE_1)
	s_add_u32 s6, s35, s6
	s_addc_u32 s7, s36, s7
	s_or_b32 s8, s29, 32
	s_ashr_i32 s9, s8, 4
	s_cmp_lt_i32 s8, s28
	s_cselect_b32 s8, s9, s16
	s_delay_alu instid0(SALU_CYCLE_1) | instskip(NEXT) | instid1(SALU_CYCLE_1)
	s_ashr_i32 s9, s8, 31
	s_lshl_b64 s[8:9], s[8:9], 2
	s_delay_alu instid0(SALU_CYCLE_1) | instskip(SKIP_2) | instid1(SALU_CYCLE_1)
	s_add_u32 s8, s35, s8
	s_addc_u32 s9, s36, s9
	s_or_b32 s10, s29, 48
	s_ashr_i32 s11, s10, 4
	s_cmp_lt_i32 s10, s28
	;; [unrolled: 10-line block ×4, first 2 shown]
	s_cselect_b32 s12, s13, s16
	s_delay_alu instid0(SALU_CYCLE_1) | instskip(NEXT) | instid1(SALU_CYCLE_1)
	s_ashr_i32 s13, s12, 31
	s_lshl_b64 s[12:13], s[12:13], 2
	s_delay_alu instid0(SALU_CYCLE_1)
	s_add_u32 s20, s35, s12
	s_addc_u32 s21, s36, s13
	s_clause 0x5
	s_load_b32 s39, s[4:5], 0x0
	s_load_b32 s38, s[6:7], 0x0
	;; [unrolled: 1-line block ×6, first 2 shown]
	s_waitcnt vmcnt(1)
	v_mad_i64_i32 v[1:2], null, v5, s17, 0
	v_and_b32_e32 v5, 0xf0, v3
	s_waitcnt vmcnt(0)
	v_mad_i64_i32 v[3:4], null, v6, s17, 0
	s_delay_alu instid0(VALU_DEP_2) | instskip(NEXT) | instid1(VALU_DEP_4)
	v_add_co_u32 v5, s4, s24, v5
	v_lshlrev_b64 v[1:2], 1, v[1:2]
	v_add_co_ci_u32_e64 v6, null, s25, 0, s4
	s_delay_alu instid0(VALU_DEP_4) | instskip(SKIP_1) | instid1(VALU_DEP_3)
	v_lshlrev_b64 v[3:4], 1, v[3:4]
	s_or_b32 s4, s29, 0x60
	v_add_co_u32 v121, vcc_lo, v5, v1
	s_delay_alu instid0(VALU_DEP_3) | instskip(NEXT) | instid1(VALU_DEP_3)
	v_add_co_ci_u32_e32 v122, vcc_lo, v6, v2, vcc_lo
	v_add_co_u32 v123, vcc_lo, v5, v3
	s_delay_alu instid0(VALU_DEP_4)
	v_add_co_ci_u32_e32 v124, vcc_lo, v6, v4, vcc_lo
	s_clause 0x19
	global_load_b128 v[89:92], v[121:122], off
	global_load_b128 v[93:96], v[121:122], off offset:256
	global_load_b128 v[97:100], v[123:124], off
	global_load_b128 v[101:104], v[123:124], off offset:256
	global_load_b128 v[81:84], v[121:122], off offset:512
	;; [unrolled: 1-line block ×23, first 2 shown]
	s_ashr_i32 s5, s4, 4
	s_cmp_lt_i32 s4, s28
	ds_load_b128 v[105:108], v215
	ds_load_b128 v[109:112], v215 offset:1024
	s_cselect_b32 s4, s5, s16
	ds_load_b128 v[113:116], v215 offset:2048
	ds_load_b128 v[117:120], v215 offset:3072
	s_ashr_i32 s5, s4, 31
	ds_load_b128 v[143:146], v215 offset:4096
	ds_load_b128 v[147:150], v215 offset:5120
	s_lshl_b64 s[6:7], s[4:5], 2
	ds_load_b128 v[151:154], v215 offset:6144
	ds_load_b128 v[155:158], v215 offset:7168
	s_add_u32 s18, s35, s6
	s_addc_u32 s19, s36, s7
	s_or_b32 s5, s29, 0x70
	ds_load_b128 v[159:162], v215 offset:8192
	ds_load_b128 v[163:166], v215 offset:9216
	s_ashr_i32 s6, s5, 4
	s_cmp_lt_i32 s5, s28
	s_clause 0x1
	global_load_b128 v[167:170], v[123:124], off offset:3072
	global_load_b128 v[171:174], v[123:124], off offset:3328
	s_cselect_b32 s8, s6, s16
	s_mov_b32 s4, 0
	s_ashr_i32 s9, s8, 31
	s_mov_b32 s5, s4
	s_lshl_b64 s[8:9], s[8:9], 2
	s_mov_b32 s6, s4
	s_add_u32 s20, s35, s8
	s_addc_u32 s21, s36, s9
	s_clause 0x1
	s_load_b32 s41, s[18:19], 0x0
	s_load_b32 s46, s[20:21], 0x0
	s_clause 0x3
	global_load_b128 v[175:178], v[121:122], off offset:3584
	global_load_b128 v[179:182], v[121:122], off offset:3840
	;; [unrolled: 1-line block ×4, first 2 shown]
	s_or_b32 s8, s29, 0x80
	s_mov_b32 s7, s4
	s_ashr_i32 s9, s8, 4
	s_cmp_lt_i32 s8, s28
	s_mov_b32 s8, s4
	s_cselect_b32 s10, s9, s16
	s_mov_b32 s9, s4
	s_ashr_i32 s11, s10, 31
	s_delay_alu instid0(SALU_CYCLE_1)
	s_lshl_b64 s[24:25], s[10:11], 2
	s_mov_b32 s10, s4
	s_add_u32 s24, s35, s24
	s_addc_u32 s25, s36, s25
	s_or_b32 s11, s29, 0x90
	s_load_b32 s47, s[24:25], 0x0
	s_ashr_i32 s26, s11, 4
	s_cmp_lt_i32 s11, s28
	s_mov_b32 s11, s4
	s_cselect_b32 s26, s26, s16
	v_mov_b32_e32 v136, s11
	s_ashr_i32 s27, s26, 31
	v_dual_mov_b32 v135, s10 :: v_dual_mov_b32 v134, s9
	v_dual_mov_b32 v133, s8 :: v_dual_mov_b32 v132, s7
	;; [unrolled: 1-line block ×3, first 2 shown]
	v_mov_b32_e32 v129, s4
	s_lshl_b64 s[4:5], s[26:27], 2
	s_waitcnt lgkmcnt(0)
	s_mul_hi_i32 s7, s38, s17
	s_add_u32 s26, s35, s4
	s_addc_u32 s27, s36, s5
	s_or_b32 s4, s29, 0xa0
	s_load_b32 s40, s[26:27], 0x0
	s_ashr_i32 s5, s4, 4
	s_cmp_lt_i32 s4, s28
	s_cselect_b32 s4, s5, s16
	s_delay_alu instid0(SALU_CYCLE_1) | instskip(NEXT) | instid1(SALU_CYCLE_1)
	s_ashr_i32 s5, s4, 31
	s_lshl_b64 s[4:5], s[4:5], 2
	s_delay_alu instid0(SALU_CYCLE_1)
	s_add_u32 s42, s35, s4
	s_addc_u32 s43, s36, s5
	s_or_b32 s4, s29, 0xb0
	s_mul_hi_i32 s5, s39, s17
	s_ashr_i32 s6, s4, 4
	s_cmp_lt_i32 s4, s28
	s_mul_i32 s4, s39, s17
	s_cselect_b32 s8, s6, s16
	s_mul_i32 s6, s38, s17
	s_ashr_i32 s9, s8, 31
	s_delay_alu instid0(SALU_CYCLE_1)
	s_lshl_b64 s[10:11], s[8:9], 2
	s_mul_hi_i32 s9, s37, s17
	s_add_u32 s44, s35, s10
	s_addc_u32 s45, s36, s11
	s_or_b32 s10, s29, 0xc0
	s_mul_i32 s8, s37, s17
	s_ashr_i32 s37, s10, 4
	s_cmp_lt_i32 s10, s28
	s_mul_hi_i32 s11, s13, s17
	s_cselect_b32 s38, s37, s16
	s_mul_i32 s10, s13, s17
	s_ashr_i32 s39, s38, 31
	s_mul_hi_i32 s13, s12, s17
	s_lshl_b64 s[38:39], s[38:39], 2
	s_mul_i32 s12, s12, s17
	s_add_u32 s20, s35, s38
	s_addc_u32 s21, s36, s39
	s_load_b32 s39, s[42:43], 0x0
	s_or_b32 s18, s29, 0xd0
	s_mul_hi_i32 s27, s47, s17
	s_ashr_i32 s19, s18, 4
	s_cmp_lt_i32 s18, s28
	s_mul_i32 s18, s15, s17
	s_cselect_b32 s24, s19, s16
	s_mul_hi_i32 s19, s15, s17
	s_ashr_i32 s25, s24, 31
	s_mul_i32 s26, s47, s17
	s_lshl_b64 s[24:25], s[24:25], 2
	s_delay_alu instid0(SALU_CYCLE_1)
	s_add_u32 s24, s35, s24
	s_addc_u32 s25, s36, s25
	s_or_b32 s42, s29, 0xe0
	s_clause 0x2
	s_load_b32 s38, s[44:45], 0x0
	s_load_b32 s37, s[20:21], 0x0
	;; [unrolled: 1-line block ×3, first 2 shown]
	s_ashr_i32 s43, s42, 4
	s_cmp_lt_i32 s42, s28
	s_mul_hi_i32 s25, s46, s17
	s_cselect_b32 s42, s43, s16
	s_mul_i32 s24, s46, s17
	s_ashr_i32 s43, s42, 31
	s_mul_hi_i32 s21, s41, s17
	s_lshl_b64 s[42:43], s[42:43], 2
	s_mul_i32 s20, s41, s17
	s_add_u32 s42, s35, s42
	s_addc_u32 s43, s36, s43
	s_or_b32 s46, s29, 0xf0
	s_waitcnt lgkmcnt(0)
	s_mul_hi_i32 s41, s40, s17
	s_ashr_i32 s47, s46, 4
	s_cmp_lt_i32 s46, s28
	s_mul_i32 s40, s40, s17
	s_cselect_b32 s46, s47, s16
	s_mul_hi_i32 s45, s39, s17
	s_ashr_i32 s47, s46, 31
	s_mul_hi_i32 s51, s15, s17
	s_lshl_b64 s[46:47], s[46:47], 2
	s_mul_i32 s50, s15, s17
	s_add_u32 s46, s35, s46
	s_addc_u32 s47, s36, s47
	s_add_u32 s15, s22, s2
	s_addc_u32 s16, s23, s3
	v_add_co_u32 v216, s15, s15, v125
	s_delay_alu instid0(VALU_DEP_1) | instskip(SKIP_2) | instid1(VALU_DEP_2)
	v_add_co_ci_u32_e64 v217, null, s16, 0, s15
	s_lshl_b64 s[2:3], s[4:5], 1
	s_lshl_b64 s[4:5], s[6:7], 1
	v_add_co_u32 v125, vcc_lo, v216, s2
	s_delay_alu instid0(VALU_DEP_2)
	v_add_co_ci_u32_e32 v126, vcc_lo, s3, v217, vcc_lo
	v_add_co_u32 v199, vcc_lo, v216, s4
	s_lshl_b64 s[6:7], s[8:9], 1
	v_add_co_ci_u32_e32 v200, vcc_lo, s5, v217, vcc_lo
	s_lshl_b64 s[8:9], s[10:11], 1
	s_lshl_b64 s[10:11], s[12:13], 1
	;; [unrolled: 1-line block ×7, first 2 shown]
	s_mul_i32 s44, s39, s17
	s_mul_hi_i32 s39, s38, s17
	s_lshl_b64 s[26:27], s[44:45], 1
	s_mul_i32 s38, s38, s17
	s_mul_hi_i32 s49, s37, s17
	s_mul_i32 s48, s37, s17
	s_lshl_b64 s[36:37], s[38:39], 1
	s_lshl_b64 s[38:39], s[48:49], 1
	s_clause 0x1
	s_load_b32 s15, s[42:43], 0x0
	s_load_b32 s16, s[46:47], 0x0
	s_lshl_b64 s[40:41], s[50:51], 1
	s_waitcnt lgkmcnt(0)
	s_mul_hi_i32 s3, s15, s17
	s_mul_i32 s2, s15, s17
	s_mul_hi_i32 s5, s16, s17
	s_lshl_b64 s[2:3], s[2:3], 1
	s_mul_i32 s4, s16, s17
	s_waitcnt vmcnt(30)
	v_wmma_f32_16x16x16_f16 v[191:198], v[89:96], v[105:112], v[129:136]
	v_add_co_u32 v89, vcc_lo, v216, s6
	v_add_co_ci_u32_e32 v90, vcc_lo, s7, v217, vcc_lo
	v_add_co_u32 v91, vcc_lo, v216, s8
	v_add_co_ci_u32_e32 v92, vcc_lo, s9, v217, vcc_lo
	;; [unrolled: 2-line block ×5, first 2 shown]
	v_add_co_u32 v205, vcc_lo, v216, s20
	s_waitcnt vmcnt(28)
	v_wmma_f32_16x16x16_f16 v[129:136], v[97:104], v[105:112], v[129:136]
	v_add_co_ci_u32_e32 v206, vcc_lo, s21, v217, vcc_lo
	v_add_co_u32 v207, vcc_lo, v216, s22
	v_add_co_ci_u32_e32 v208, vcc_lo, s23, v217, vcc_lo
	v_add_co_u32 v209, vcc_lo, v216, s24
	s_waitcnt vmcnt(26)
	v_wmma_f32_16x16x16_f16 v[191:198], v[81:88], v[113:120], v[191:198]
	s_waitcnt vmcnt(24)
	v_wmma_f32_16x16x16_f16 v[129:136], v[73:80], v[113:120], v[129:136]
	v_add_co_ci_u32_e32 v210, vcc_lo, s25, v217, vcc_lo
	v_add_co_u32 v211, vcc_lo, v216, s26
	v_add_co_ci_u32_e32 v212, vcc_lo, s27, v217, vcc_lo
	v_add_co_u32 v213, vcc_lo, v216, s36
	s_waitcnt vmcnt(22)
	v_wmma_f32_16x16x16_f16 v[191:198], v[65:72], v[143:150], v[191:198]
	s_waitcnt vmcnt(20)
	v_wmma_f32_16x16x16_f16 v[129:136], v[57:64], v[143:150], v[129:136]
	v_add_co_ci_u32_e32 v214, vcc_lo, s37, v217, vcc_lo
	v_add_co_u32 v143, vcc_lo, v216, s38
	s_waitcnt vmcnt(18)
	v_wmma_f32_16x16x16_f16 v[191:198], v[49:56], v[151:158], v[191:198]
	s_waitcnt vmcnt(16)
	v_wmma_f32_16x16x16_f16 v[129:136], v[25:32], v[151:158], v[129:136]
	v_add_co_ci_u32_e32 v144, vcc_lo, s39, v217, vcc_lo
	s_clause 0x15
	global_load_b128 v[121:124], v[125:126], off
	global_load_b128 v[125:128], v[125:126], off offset:16
	global_load_b128 v[113:116], v[199:200], off
	global_load_b128 v[117:120], v[199:200], off offset:16
	;; [unrolled: 2-line block ×11, first 2 shown]
	s_waitcnt vmcnt(36)
	v_wmma_f32_16x16x16_f16 v[191:198], v[1:8], v[159:166], v[191:198]
	s_clause 0x1
	global_load_b128 v[1:4], v[213:214], off
	global_load_b128 v[5:8], v[213:214], off offset:16
	s_waitcnt vmcnt(36)
	v_wmma_f32_16x16x16_f16 v[129:136], v[9:16], v[159:166], v[129:136]
	s_clause 0x1
	global_load_b128 v[9:12], v[143:144], off
	global_load_b128 v[13:16], v[143:144], off offset:16
	ds_load_b128 v[143:146], v215 offset:10240
	ds_load_b128 v[147:150], v215 offset:11264
	;; [unrolled: 1-line block ×4, first 2 shown]
	v_add_co_u32 v199, vcc_lo, v216, s40
	v_add_co_ci_u32_e32 v200, vcc_lo, s41, v217, vcc_lo
	v_add_co_u32 v159, vcc_lo, v216, s2
	v_add_co_ci_u32_e32 v160, vcc_lo, s3, v217, vcc_lo
	s_lshl_b64 s[2:3], s[4:5], 1
	s_delay_alu instid0(SALU_CYCLE_1)
	v_add_co_u32 v161, vcc_lo, v216, s2
	v_add_co_ci_u32_e32 v162, vcc_lo, s3, v217, vcc_lo
	s_waitcnt vmcnt(36) lgkmcnt(2)
	v_wmma_f32_16x16x16_f16 v[191:198], v[41:48], v[143:150], v[191:198]
	s_waitcnt vmcnt(34)
	v_wmma_f32_16x16x16_f16 v[129:136], v[33:40], v[143:150], v[129:136]
	s_clause 0x3
	global_load_b128 v[33:36], v[199:200], off
	global_load_b128 v[37:40], v[199:200], off offset:16
	global_load_b128 v[41:44], v[159:160], off
	global_load_b128 v[45:48], v[159:160], off offset:16
	v_and_b32_e32 v143, 0xe0, v0
	v_mbcnt_lo_u32_b32 v159, -1, 0
	s_waitcnt vmcnt(36) lgkmcnt(0)
	v_wmma_f32_16x16x16_f16 v[191:198], v[17:24], v[151:158], v[191:198]
	s_clause 0x1
	global_load_b128 v[17:20], v[161:162], off
	global_load_b128 v[21:24], v[161:162], off offset:16
	s_waitcnt vmcnt(36)
	v_wmma_f32_16x16x16_f16 v[129:136], v[167:174], v[151:158], v[129:136]
	v_add_nc_u32_e32 v160, s29, v143
	ds_load_b128 v[143:146], v215 offset:14336
	ds_load_b128 v[147:150], v215 offset:15360
	v_xor_b32_e32 v151, 16, v159
	s_waitcnt vmcnt(0) lgkmcnt(0)
	s_barrier
	v_or_b32_e32 v152, v160, v138
	buffer_gl0_inv
	v_cmp_gt_i32_e32 vcc_lo, 32, v151
	v_or_b32_e32 v153, 2, v152
	v_or_b32_e32 v154, 4, v152
	;; [unrolled: 1-line block ×5, first 2 shown]
	v_cmp_gt_i32_e64 s2, s28, v153
	v_cmp_gt_i32_e64 s3, s28, v154
	;; [unrolled: 1-line block ×3, first 2 shown]
	v_or_b32_e32 v158, 12, v152
	v_cmp_gt_i32_e64 s5, s28, v156
	v_cmp_gt_i32_e64 s6, s28, v157
	v_wmma_f32_16x16x16_f16 v[191:198], v[175:182], v[143:150], v[191:198]
	v_wmma_f32_16x16x16_f16 v[129:136], v[183:190], v[143:150], v[129:136]
	v_cndmask_b32_e32 v151, v159, v151, vcc_lo
	v_cmp_gt_i32_e32 vcc_lo, s28, v152
	v_or_b32_e32 v159, 14, v152
	v_dual_mul_f32 v149, s30, v192 :: v_dual_mul_f32 v150, s30, v191
	v_dual_mul_f32 v147, s30, v194 :: v_dual_mul_f32 v148, s30, v193
	;; [unrolled: 1-line block ×3, first 2 shown]
	s_delay_alu instid0(VALU_DEP_3) | instskip(NEXT) | instid1(VALU_DEP_4)
	v_cndmask_b32_e32 v150, 0xff7fffff, v150, vcc_lo
	v_cndmask_b32_e64 v149, 0xff7fffff, v149, s2
	v_mul_f32_e32 v146, s30, v195
	v_cndmask_b32_e64 v148, 0xff7fffff, v148, s3
	v_cndmask_b32_e64 v147, 0xff7fffff, v147, s4
	v_or_b32_e32 v160, 16, v152
	v_max3_f32 v149, v150, 0xff7fffff, v149
	v_or_b32_e32 v161, 18, v152
	v_dual_mul_f32 v143, s30, v198 :: v_dual_mul_f32 v144, s30, v197
	v_cndmask_b32_e64 v146, 0xff7fffff, v146, s5
	v_cndmask_b32_e64 v145, 0xff7fffff, v145, s6
	v_max3_f32 v147, v149, v148, v147
	v_cmp_gt_i32_e64 s7, s28, v158
	v_cmp_gt_i32_e64 s8, s28, v159
	v_or_b32_e32 v162, 20, v152
	v_or_b32_e32 v163, 22, v152
	v_mul_f32_e32 v175, s30, v129
	v_cndmask_b32_e64 v144, 0xff7fffff, v144, s7
	v_cndmask_b32_e64 v143, 0xff7fffff, v143, s8
	v_max3_f32 v145, v147, v146, v145
	v_cmp_gt_i32_e64 s9, s28, v160
	v_cmp_gt_i32_e64 s10, s28, v161
	v_or_b32_e32 v164, 24, v152
	v_or_b32_e32 v165, 26, v152
	v_dual_mul_f32 v172, s30, v132 :: v_dual_mul_f32 v173, s30, v131
	v_cndmask_b32_e64 v146, 0xff7fffff, v175, s9
	v_cndmask_b32_e64 v147, 0xff7fffff, v174, s10
	v_max3_f32 v143, v145, v144, v143
	v_cmp_gt_i32_e64 s11, s28, v162
	v_cmp_gt_i32_e64 s12, s28, v163
	v_or_b32_e32 v166, 28, v152
	v_or_b32_e32 v167, 30, v152
	v_dual_mul_f32 v170, s30, v134 :: v_dual_mul_f32 v171, s30, v133
	v_cndmask_b32_e64 v144, 0xff7fffff, v173, s11
	v_cndmask_b32_e64 v145, 0xff7fffff, v172, s12
	v_max3_f32 v143, v143, v146, v147
	v_cmp_gt_i32_e64 s13, s28, v164
	v_cmp_gt_i32_e64 s15, s28, v165
	v_dual_mul_f32 v168, s30, v136 :: v_dual_mul_f32 v169, s30, v135
	s_delay_alu instid0(VALU_DEP_4) | instskip(NEXT) | instid1(VALU_DEP_4)
	v_max3_f32 v143, v143, v144, v145
	v_cndmask_b32_e64 v146, 0xff7fffff, v171, s13
	s_delay_alu instid0(VALU_DEP_4) | instskip(SKIP_3) | instid1(VALU_DEP_4)
	v_cndmask_b32_e64 v147, 0xff7fffff, v170, s15
	v_cmp_gt_i32_e64 s16, s28, v166
	v_cmp_gt_i32_e64 s17, s28, v167
	v_lshlrev_b32_e32 v160, 2, v151
	v_max3_f32 v143, v143, v146, v147
	s_delay_alu instid0(VALU_DEP_4) | instskip(NEXT) | instid1(VALU_DEP_4)
	v_cndmask_b32_e64 v144, 0xff7fffff, v169, s16
	v_cndmask_b32_e64 v145, 0xff7fffff, v168, s17
	s_delay_alu instid0(VALU_DEP_1) | instskip(SKIP_3) | instid1(VALU_DEP_1)
	v_max3_f32 v143, v143, v144, v145
	ds_bpermute_b32 v144, v160, v143
	s_waitcnt lgkmcnt(0)
	v_max_f32_e32 v144, v144, v144
	v_max_f32_e32 v159, v143, v144
	s_delay_alu instid0(VALU_DEP_1) | instskip(SKIP_4) | instid1(VALU_DEP_4)
	v_fma_f32 v145, s30, v193, -v159
	v_fma_f32 v146, s30, v194, -v159
	;; [unrolled: 1-line block ×5, first 2 shown]
	v_dual_mul_f32 v145, 0x3fb8aa3b, v145 :: v_dual_mul_f32 v146, 0x3fb8aa3b, v146
	s_delay_alu instid0(VALU_DEP_4) | instskip(SKIP_1) | instid1(VALU_DEP_4)
	v_mul_f32_e32 v132, 0x3fb8aa3b, v132
	v_fma_f32 v148, s30, v195, -v159
	v_mul_f32_e32 v144, 0x3fb8aa3b, v144
	s_delay_alu instid0(VALU_DEP_4)
	v_exp_f32_e32 v145, v145
	v_exp_f32_e32 v150, v146
	v_fma_f32 v149, s30, v196, -v159
	v_mul_f32_e32 v148, 0x3fb8aa3b, v148
	v_exp_f32_e32 v147, v144
	v_fma_f32 v134, s30, v134, -v159
	v_fma_f32 v151, s30, v197, -v159
	v_mul_f32_e32 v149, 0x3fb8aa3b, v149
	v_exp_f32_e32 v148, v148
	v_fma_f32 v152, s30, v198, -v159
	v_cndmask_b32_e64 v146, 0, v145, s3
	v_cndmask_b32_e64 v145, 0, v150, s4
	v_dual_mul_f32 v143, 0x3fb8aa3b, v143 :: v_dual_mul_f32 v134, 0x3fb8aa3b, v134
	v_mul_f32_e32 v151, 0x3fb8aa3b, v151
	v_exp_f32_e32 v149, v149
	v_fma_f32 v129, s30, v129, -v159
	s_delay_alu instid0(VALU_DEP_3)
	v_exp_f32_e32 v143, v143
	v_mul_f32_e32 v150, 0x3fb8aa3b, v152
	v_exp_f32_e32 v151, v151
	v_cndmask_b32_e64 v148, 0, v148, s5
	v_fma_f32 v130, s30, v130, -v159
	v_mul_f32_e32 v129, 0x3fb8aa3b, v129
	v_exp_f32_e32 v153, v150
	v_fma_f32 v131, s30, v131, -v159
	v_fma_f32 v133, s30, v133, -v159
	v_mul_f32_e32 v130, 0x3fb8aa3b, v130
	v_cndmask_b32_e32 v144, 0, v143, vcc_lo
	v_cndmask_b32_e64 v143, 0, v147, s2
	v_exp_f32_e32 v129, v129
	v_cndmask_b32_e64 v150, 0, v151, s7
	v_mul_f32_e32 v131, 0x3fb8aa3b, v131
	v_add_f32_e32 v147, 0, v144
	v_exp_f32_e32 v130, v130
	v_mul_f32_e32 v133, 0x3fb8aa3b, v133
	v_exp_f32_e32 v132, v132
	v_exp_f32_e32 v131, v131
	v_add_f32_e32 v147, v147, v143
	v_cmp_gt_u32_e64 s2, 16, v142
	v_exp_f32_e32 v133, v133
	s_delay_alu instid0(VALU_DEP_2)
	v_add_f32_e32 v147, v147, v146
	s_waitcnt_depctr 0xfff
	v_cndmask_b32_e64 v154, 0, v131, s11
	v_add_f32_e32 v152, v147, v145
	v_cndmask_b32_e64 v147, 0, v149, s6
	v_exp_f32_e32 v131, v134
	v_cndmask_b32_e64 v156, 0, v133, s13
	s_delay_alu instid0(VALU_DEP_3) | instskip(SKIP_1) | instid1(VALU_DEP_2)
	v_add_f32_e32 v149, v152, v148
	v_cndmask_b32_e64 v152, 0, v129, s9
	v_add_f32_e32 v151, v149, v147
	v_cndmask_b32_e64 v149, 0, v153, s8
	v_cndmask_b32_e64 v153, 0, v132, s12
	v_fma_f32 v132, s30, v136, -v159
	s_delay_alu instid0(TRANS32_DEP_1) | instskip(NEXT) | instid1(VALU_DEP_2)
	v_cndmask_b32_e64 v155, 0, v131, s15
	v_dual_add_f32 v151, v151, v150 :: v_dual_mul_f32 v132, 0x3fb8aa3b, v132
	s_delay_alu instid0(VALU_DEP_1) | instskip(SKIP_2) | instid1(VALU_DEP_4)
	v_add_f32_e32 v129, v151, v149
	v_cndmask_b32_e64 v151, 0, v130, s10
	v_fma_f32 v130, s30, v135, -v159
	v_exp_f32_e32 v131, v132
	s_delay_alu instid0(VALU_DEP_1) | instskip(NEXT) | instid1(VALU_DEP_1)
	v_dual_add_f32 v129, v129, v152 :: v_dual_mul_f32 v130, 0x3fb8aa3b, v130
	v_add_f32_e32 v129, v129, v151
	s_delay_alu instid0(VALU_DEP_2) | instskip(SKIP_3) | instid1(VALU_DEP_1)
	v_exp_f32_e32 v130, v130
	s_waitcnt_depctr 0xfff
	v_cndmask_b32_e64 v157, 0, v131, s17
	v_add_f32_e32 v129, v129, v154
	v_add_f32_e32 v129, v129, v153
	v_cndmask_b32_e64 v158, 0, v130, s16
	s_delay_alu instid0(VALU_DEP_2) | instskip(NEXT) | instid1(VALU_DEP_1)
	v_add_f32_e32 v129, v129, v156
	v_add_f32_e32 v129, v129, v155
	s_delay_alu instid0(VALU_DEP_1) | instskip(NEXT) | instid1(VALU_DEP_1)
	v_add_f32_e32 v129, v129, v158
	v_add_f32_e32 v129, v129, v157
	ds_bpermute_b32 v130, v160, v129
	s_and_saveexec_b32 s3, s2
	s_cbranch_execz .LBB198_12
; %bb.11:
	v_mul_u32_u24_e32 v131, 0x44, v141
	s_delay_alu instid0(VALU_DEP_1) | instskip(SKIP_1) | instid1(VALU_DEP_1)
	v_lshl_add_u32 v131, v140, 2, v131
	s_waitcnt lgkmcnt(0)
	v_dual_add_f32 v129, v129, v130 :: v_dual_add_nc_u32 v130, 0x4000, v131
	ds_store_2addr_b32 v130, v159, v129 offset1:136
.LBB198_12:
	s_or_b32 exec_lo, exec_lo, s3
	v_lshlrev_b32_e32 v129, 2, v140
	s_load_b32 s35, s[0:1], 0x94
	s_waitcnt lgkmcnt(0)
	s_barrier
	buffer_gl0_inv
	v_add_nc_u32_e32 v135, 0x4000, v129
	v_cmp_eq_u32_e32 vcc_lo, 1, v141
	v_cmp_eq_u32_e64 s3, 2, v141
	v_cmp_eq_u32_e64 s4, 3, v141
	v_cmp_eq_u32_e64 s5, 4, v141
	ds_load_2addr_b32 v[129:130], v135 offset1:17
	ds_load_2addr_b32 v[131:132], v135 offset0:34 offset1:51
	ds_load_2addr_b32 v[133:134], v135 offset0:68 offset1:85
	;; [unrolled: 1-line block ×3, first 2 shown]
	v_cmp_eq_u32_e64 s6, 5, v141
	v_cmp_eq_u32_e64 s7, 7, v141
	s_waitcnt lgkmcnt(3)
	v_max3_f32 v136, v129, 0xff7fffff, v130
	s_waitcnt lgkmcnt(2)
	s_delay_alu instid0(VALU_DEP_1) | instskip(SKIP_1) | instid1(VALU_DEP_1)
	v_max3_f32 v136, v136, v131, v132
	s_waitcnt lgkmcnt(1)
	v_max3_f32 v136, v136, v133, v134
	s_waitcnt lgkmcnt(0)
	s_delay_alu instid0(VALU_DEP_1) | instskip(NEXT) | instid1(VALU_DEP_1)
	v_max3_f32 v136, v136, v159, v160
	v_sub_f32_e32 v142, v130, v136
	ds_load_2addr_b32 v[161:162], v135 offset0:136 offset1:153
	v_sub_f32_e32 v164, v132, v136
	v_mul_f32_e32 v142, 0x3fb8aa3b, v142
	s_delay_alu instid0(VALU_DEP_2) | instskip(NEXT) | instid1(VALU_DEP_2)
	v_mul_f32_e32 v164, 0x3fb8aa3b, v164
	v_exp_f32_e32 v166, v142
	v_sub_f32_e32 v129, v129, v136
	s_delay_alu instid0(VALU_DEP_2) | instskip(NEXT) | instid1(VALU_DEP_1)
	v_exp_f32_e32 v164, v164
	v_mul_f32_e32 v163, 0x3fb8aa3b, v129
	ds_load_2addr_b32 v[129:130], v135 offset0:170 offset1:187
	v_exp_f32_e32 v163, v163
	s_waitcnt lgkmcnt(1)
	s_waitcnt_depctr 0xfff
	v_fma_f32 v142, v163, v161, 0
	v_sub_f32_e32 v161, v134, v136
	s_delay_alu instid0(VALU_DEP_2) | instskip(NEXT) | instid1(VALU_DEP_1)
	v_dual_fmac_f32 v142, v166, v162 :: v_dual_sub_f32 v131, v131, v136
	v_mul_f32_e32 v165, 0x3fb8aa3b, v131
	ds_load_2addr_b32 v[131:132], v135 offset0:204 offset1:221
	v_exp_f32_e32 v165, v165
	s_waitcnt lgkmcnt(1)
	s_waitcnt_depctr 0xfff
	v_fmac_f32_e32 v142, v165, v129
	v_sub_f32_e32 v133, v133, v136
	v_sub_f32_e32 v129, v160, v136
	s_delay_alu instid0(VALU_DEP_2) | instskip(NEXT) | instid1(VALU_DEP_2)
	v_dual_fmac_f32 v142, v164, v130 :: v_dual_mul_f32 v167, 0x3fb8aa3b, v133
	v_mul_f32_e32 v129, 0x3fb8aa3b, v129
	ds_load_2addr_b32 v[133:134], v135 offset0:238 offset1:255
	v_cndmask_b32_e32 v130, v163, v166, vcc_lo
	s_waitcnt lgkmcnt(0)
	s_barrier
	v_exp_f32_e32 v162, v129
	v_sub_f32_e32 v135, v159, v136
	v_mul_f32_e32 v159, 0x3fb8aa3b, v161
	v_exp_f32_e32 v161, v167
	buffer_gl0_inv
	v_exp_f32_e32 v159, v159
	v_fmac_f32_e32 v142, v161, v131
	s_waitcnt_depctr 0xfff
	v_dual_mul_f32 v135, 0x3fb8aa3b, v135 :: v_dual_fmac_f32 v142, v159, v132
	s_delay_alu instid0(VALU_DEP_1) | instskip(SKIP_2) | instid1(VALU_DEP_1)
	v_exp_f32_e32 v160, v135
	s_waitcnt_depctr 0xfff
	v_dual_fmac_f32 v142, v160, v133 :: v_dual_lshlrev_b32 v133, 6, v140
	v_fmac_f32_e32 v142, v162, v134
	s_delay_alu instid0(VALU_DEP_2) | instskip(NEXT) | instid1(VALU_DEP_2)
	v_lshl_or_b32 v135, v141, 11, v133
	v_add_f32_e32 v134, 0x358637bd, v142
	s_delay_alu instid0(VALU_DEP_1) | instskip(SKIP_1) | instid1(VALU_DEP_2)
	v_div_scale_f32 v167, null, v134, v134, 1.0
	v_div_scale_f32 v163, vcc_lo, 1.0, v134, 1.0
	v_rcp_f32_e32 v168, v167
	s_waitcnt_depctr 0xfff
	v_fma_f32 v129, -v167, v168, 1.0
	s_delay_alu instid0(VALU_DEP_1) | instskip(SKIP_2) | instid1(VALU_DEP_2)
	v_fmac_f32_e32 v168, v129, v168
	v_cndmask_b32_e64 v129, v130, v165, s3
	v_cmp_eq_u32_e64 s3, 6, v141
	v_cndmask_b32_e64 v130, v129, v164, s4
	v_lshlrev_b32_e32 v129, 2, v138
	v_mul_f32_e32 v165, v163, v168
	s_delay_alu instid0(VALU_DEP_3) | instskip(NEXT) | instid1(VALU_DEP_3)
	v_cndmask_b32_e64 v161, v130, v161, s5
	v_or_b32_e32 v130, 1, v129
	s_delay_alu instid0(VALU_DEP_3)
	v_fma_f32 v131, -v167, v165, v163
	v_or_b32_e32 v132, 2, v129
	v_cmp_eq_u32_e64 s4, 1, v129
	v_cndmask_b32_e64 v141, v161, v159, s6
	v_cmp_eq_u32_e64 s9, 1, v130
	v_fmac_f32_e32 v165, v131, v168
	v_or_b32_e32 v131, 3, v129
	v_cmp_eq_u32_e64 s10, 1, v132
	v_cndmask_b32_e64 v141, v141, v160, s3
	v_cmp_eq_u32_e64 s5, 2, v129
	v_fma_f32 v159, -v167, v165, v163
	v_cmp_eq_u32_e64 s11, 1, v131
	v_cmp_eq_u32_e64 s16, 2, v131
	v_cndmask_b32_e64 v141, v141, v162, s7
	v_cmp_eq_u32_e64 s12, 2, v130
	v_div_fmas_f32 v159, v159, v168, v165
	v_cmp_eq_u32_e64 s18, 3, v131
	v_cmp_eq_u32_e32 vcc_lo, 3, v129
	v_cmp_eq_u32_e64 s13, 3, v130
	v_cmp_eq_u32_e64 s15, 2, v132
	v_div_fixup_f32 v159, v159, v134, 1.0
	v_lshl_or_b32 v134, v138, 4, v135
	v_cmp_eq_u32_e64 s22, 4, v131
	v_cmp_eq_u32_e64 s3, 4, v129
	v_cmp_eq_u32_e64 s17, 3, v132
	v_mul_f32_e32 v141, v141, v159
	v_cmp_eq_u32_e64 s19, 4, v130
	v_cmp_eq_u32_e64 s24, 5, v131
	;; [unrolled: 1-line block ×4, first 2 shown]
	v_fma_mixlo_f16 v159, v141, v144, 0
	v_fma_mixlo_f16 v160, v141, v146, 0
	;; [unrolled: 1-line block ×8, first 2 shown]
	v_fma_mixhi_f16 v159, v141, v143, 0
	v_fma_mixhi_f16 v160, v141, v145, 0
	;; [unrolled: 1-line block ×8, first 2 shown]
	ds_store_b128 v134, v[159:162]
	ds_store_b128 v134, v[163:166] offset:1024
	s_waitcnt lgkmcnt(0)
	s_barrier
	buffer_gl0_inv
	ds_load_b128 v[143:146], v135
	ds_load_b128 v[147:150], v135 offset:16
	ds_load_b128 v[151:154], v135 offset:1024
	;; [unrolled: 1-line block ×3, first 2 shown]
	v_cmp_eq_u32_e64 s21, 4, v132
	v_cmp_eq_u32_e64 s27, 6, v131
	v_cmp_eq_u32_e64 s7, 6, v129
	v_cmp_eq_u32_e64 s23, 5, v132
	v_cmp_eq_u32_e64 s25, 6, v130
	v_cmp_eq_u32_e64 s29, 7, v131
	v_cmp_eq_u32_e64 s8, 7, v129
	v_cmp_eq_u32_e64 s26, 6, v132
	v_cmp_eq_u32_e64 s30, 7, v130
	v_cmp_eq_u32_e64 s28, 7, v132
	s_waitcnt lgkmcnt(3)
	v_lshrrev_b32_e32 v141, 16, v143
	s_waitcnt lgkmcnt(2)
	v_lshrrev_b32_e32 v162, 16, v147
	v_lshrrev_b32_e32 v159, 16, v144
	;; [unrolled: 1-line block ×3, first 2 shown]
	s_waitcnt lgkmcnt(1)
	v_lshrrev_b32_e32 v166, 16, v151
	v_cndmask_b32_e64 v174, v143, v141, s4
	v_cndmask_b32_e64 v176, v143, v141, s9
	;; [unrolled: 1-line block ×5, first 2 shown]
	s_waitcnt lgkmcnt(0)
	v_lshrrev_b32_e32 v170, 16, v155
	v_cndmask_b32_e64 v175, v147, v162, s4
	v_cndmask_b32_e64 v177, v147, v162, s9
	;; [unrolled: 1-line block ×19, first 2 shown]
	v_lshrrev_b32_e32 v160, 16, v145
	v_lshrrev_b32_e32 v164, 16, v149
	;; [unrolled: 1-line block ×4, first 2 shown]
	v_cndmask_b32_e64 v176, v178, v144, s15
	v_cndmask_b32_e64 v177, v179, v148, s15
	;; [unrolled: 1-line block ×8, first 2 shown]
	v_cndmask_b32_e32 v155, v166, v159, vcc_lo
	v_cndmask_b32_e32 v166, v170, v163, vcc_lo
	v_cndmask_b32_e64 v170, v174, v159, s13
	v_cndmask_b32_e64 v174, v175, v163, s13
	;; [unrolled: 1-line block ×6, first 2 shown]
	v_cndmask_b32_e32 v144, v144, v167, vcc_lo
	v_cndmask_b32_e32 v147, v147, v171, vcc_lo
	v_cndmask_b32_e64 v148, v148, v167, s13
	v_cndmask_b32_e64 v155, v155, v145, s3
	;; [unrolled: 1-line block ×7, first 2 shown]
	v_lshrrev_b32_e32 v161, 16, v146
	v_lshrrev_b32_e32 v165, 16, v150
	v_lshrrev_b32_e32 v168, 16, v153
	v_lshrrev_b32_e32 v172, 16, v157
	v_cndmask_b32_e64 v170, v175, v145, s21
	v_cndmask_b32_e64 v174, v176, v149, s21
	v_cndmask_b32_e64 v144, v144, v153, s3
	v_cndmask_b32_e64 v145, v147, v157, s3
	v_cndmask_b32_e64 v147, v148, v153, s19
	v_cndmask_b32_e64 v148, v155, v160, s6
	v_cndmask_b32_e64 v149, v159, v164, s6
	v_cndmask_b32_e64 v155, v163, v160, s20
	v_cndmask_b32_e64 v159, v166, v164, s20
	v_cndmask_b32_e64 v141, v141, v146, s27
	v_cndmask_b32_e64 v143, v143, v150, s27
	v_cndmask_b32_e64 v163, v170, v160, s23
	v_cndmask_b32_e64 v166, v174, v164, s23
	v_cndmask_b32_e64 v144, v144, v168, s6
	v_cndmask_b32_e64 v145, v145, v172, s6
	v_cndmask_b32_e64 v147, v147, v168, s20
	v_cndmask_b32_e64 v148, v148, v146, s7
	v_cndmask_b32_e64 v149, v149, v150, s7
	v_cndmask_b32_e64 v155, v155, v146, s25
	v_cndmask_b32_e64 v159, v159, v150, s25
	v_cndmask_b32_e64 v141, v141, v161, s29
	v_cndmask_b32_e64 v143, v143, v165, s29
	v_lshrrev_b32_e32 v169, 16, v154
	v_cndmask_b32_e64 v160, v163, v146, s26
	v_cndmask_b32_e64 v163, v166, v150, s26
	;; [unrolled: 1-line block ×9, first 2 shown]
	v_perm_b32 v146, v143, v141, 0x5040100
	v_cndmask_b32_e64 v141, v183, v156, s15
	v_cndmask_b32_e64 v143, v181, v156, s12
	;; [unrolled: 1-line block ×4, first 2 shown]
	v_perm_b32 v144, v159, v149, 0x5040100
	v_cndmask_b32_e64 v149, v162, v167, s17
	v_cndmask_b32_e64 v151, v151, v167, s18
	;; [unrolled: 1-line block ×15, first 2 shown]
	v_lshrrev_b32_e32 v173, 16, v158
	v_cndmask_b32_e64 v149, v149, v154, s26
	v_cndmask_b32_e64 v151, v151, v154, s27
	;; [unrolled: 1-line block ×13, first 2 shown]
	v_perm_b32 v145, v160, v155, 0x5040100
	v_perm_b32 v143, v148, v147, 0x5040100
	;; [unrolled: 1-line block ×6, first 2 shown]
	s_mul_i32 s7, s33, 5
	s_mov_b32 s3, exec_lo
	ds_store_b128 v134, v[143:146]
	ds_store_b128 v134, v[147:150] offset:1024
	v_cmpx_gt_u32_e32 5, v0
	s_cbranch_execz .LBB198_14
; %bb.13:
	s_mul_i32 s4, s7, s34
	s_load_b128 s[8:11], s[0:1], 0x58
	v_add3_u32 v143, s4, s31, v140
	s_delay_alu instid0(VALU_DEP_1) | instskip(NEXT) | instid1(VALU_DEP_1)
	v_mad_u64_u32 v[140:141], null, v143, s35, s[14:15]
	v_ashrrev_i32_e32 v141, 31, v140
	s_delay_alu instid0(VALU_DEP_1) | instskip(SKIP_1) | instid1(VALU_DEP_1)
	v_lshlrev_b64 v[140:141], 2, v[140:141]
	s_waitcnt lgkmcnt(0)
	v_add_co_u32 v143, vcc_lo, s10, v140
	s_delay_alu instid0(VALU_DEP_2)
	v_add_co_ci_u32_e32 v144, vcc_lo, s11, v141, vcc_lo
	v_add_co_u32 v140, vcc_lo, s8, v140
	v_add_co_ci_u32_e32 v141, vcc_lo, s9, v141, vcc_lo
	global_store_b32 v[143:144], v136, off
	global_store_b32 v[140:141], v142, off
.LBB198_14:
	s_or_b32 exec_lo, exec_lo, s3
	s_waitcnt lgkmcnt(0)
	s_waitcnt_vscnt null, 0x0
	s_barrier
	buffer_gl0_inv
	ds_load_b128 v[148:151], v133
	ds_load_b128 v[152:155], v133 offset:16
	ds_load_b128 v[160:163], v133 offset:1040
	;; [unrolled: 1-line block ×5, first 2 shown]
	v_cmp_eq_u32_e32 vcc_lo, 1, v132
	v_mov_b32_e32 v140, 0
	ds_load_b128 v[176:179], v133 offset:3088
	ds_load_b128 v[172:175], v133 offset:3072
	;; [unrolled: 1-line block ×4, first 2 shown]
	v_cmp_eq_u32_e64 s3, 1, v129
	v_cmp_eq_u32_e64 s4, 1, v131
	;; [unrolled: 1-line block ×3, first 2 shown]
	v_mov_b32_e32 v141, v140
	v_mov_b32_e32 v142, v140
	;; [unrolled: 1-line block ×7, first 2 shown]
	v_cmp_eq_u32_e64 s6, 2, v129
	s_waitcnt lgkmcnt(8)
	s_delay_alu instid0(VALU_DEP_2)
	v_wmma_f32_16x16x16_f16 v[140:147], v[121:128], v[148:155], v[140:147]
	ds_load_b128 v[125:128], v133 offset:5136
	ds_load_b128 v[121:124], v133 offset:5120
	s_waitcnt lgkmcnt(8)
	v_wmma_f32_16x16x16_f16 v[140:147], v[113:120], v[156:163], v[140:147]
	ds_load_b128 v[117:120], v133 offset:6160
	ds_load_b128 v[113:116], v133 offset:6144
	s_waitcnt lgkmcnt(8)
	;; [unrolled: 4-line block ×11, first 2 shown]
	s_barrier
	buffer_gl0_inv
	v_wmma_f32_16x16x16_f16 v[140:147], v[1:8], v[73:80], v[140:147]
	s_delay_alu instid0(VALU_DEP_1) | instskip(NEXT) | instid1(VALU_DEP_1)
	v_wmma_f32_16x16x16_f16 v[140:147], v[9:16], v[65:72], v[140:147]
	v_wmma_f32_16x16x16_f16 v[140:147], v[33:40], v[57:64], v[140:147]
	s_delay_alu instid0(VALU_DEP_1) | instskip(NEXT) | instid1(VALU_DEP_1)
	v_wmma_f32_16x16x16_f16 v[140:147], v[41:48], v[49:56], v[140:147]
	v_wmma_f32_16x16x16_f16 v[140:147], v[17:24], v[25:32], v[140:147]
	s_delay_alu instid0(VALU_DEP_1) | instskip(NEXT) | instid1(VALU_DEP_2)
	v_cvt_f16_f32_e64 v1, v140
	v_cvt_f16_f32_e64 v2, v141
	s_delay_alu instid0(VALU_DEP_3) | instskip(NEXT) | instid1(VALU_DEP_4)
	v_cvt_f16_f32_e64 v3, v142
	v_cvt_f16_f32_e64 v4, v143
	;; [unrolled: 1-line block ×6, first 2 shown]
	v_pack_b32_f16 v1, v1, v2
	v_pack_b32_f16 v2, v3, v4
	v_pack_b32_f16 v3, v5, v6
	s_delay_alu instid0(VALU_DEP_4)
	v_pack_b32_f16 v4, v7, v8
	ds_store_b128 v134, v[1:4]
	s_waitcnt lgkmcnt(0)
	s_barrier
	buffer_gl0_inv
	ds_load_b128 v[1:4], v135
	ds_load_b128 v[5:8], v135 offset:16
	s_waitcnt lgkmcnt(1)
	v_lshrrev_b32_e32 v9, 16, v1
	s_waitcnt lgkmcnt(0)
	v_lshrrev_b32_e32 v13, 16, v5
	v_lshrrev_b32_e32 v10, 16, v2
	;; [unrolled: 1-line block ×4, first 2 shown]
	v_cndmask_b32_e64 v17, v1, v9, s3
	v_cndmask_b32_e64 v18, v5, v13, s3
	;; [unrolled: 1-line block ×3, first 2 shown]
	v_cmp_eq_u32_e64 s3, 2, v130
	v_cndmask_b32_e64 v20, v5, v13, s5
	v_cndmask_b32_e32 v21, v1, v9, vcc_lo
	v_cndmask_b32_e32 v22, v5, v13, vcc_lo
	v_cndmask_b32_e64 v1, v1, v9, s4
	v_cndmask_b32_e64 v5, v5, v13, s4
	v_cmp_eq_u32_e32 vcc_lo, 2, v132
	v_cmp_eq_u32_e64 s4, 2, v131
	v_cndmask_b32_e64 v9, v17, v2, s6
	v_cndmask_b32_e64 v13, v18, v6, s6
	;; [unrolled: 1-line block ×4, first 2 shown]
	v_cndmask_b32_e32 v19, v21, v2, vcc_lo
	v_cmp_eq_u32_e64 s3, 3, v132
	v_cndmask_b32_e32 v20, v22, v6, vcc_lo
	v_cndmask_b32_e64 v1, v1, v2, s4
	v_cmp_eq_u32_e32 vcc_lo, 3, v131
	v_cmp_eq_u32_e64 s5, 3, v129
	v_cndmask_b32_e64 v2, v5, v6, s4
	v_cmp_eq_u32_e64 s4, 3, v130
	v_cmp_eq_u32_e64 s6, 4, v129
	v_cndmask_b32_e32 v1, v1, v10, vcc_lo
	v_cndmask_b32_e64 v5, v9, v10, s5
	v_cndmask_b32_e64 v6, v13, v14, s5
	;; [unrolled: 1-line block ×3, first 2 shown]
	v_cmp_eq_u32_e64 s5, 4, v130
	v_cndmask_b32_e64 v13, v18, v14, s4
	v_cndmask_b32_e64 v17, v19, v10, s3
	v_cndmask_b32_e64 v18, v20, v14, s3
	v_cndmask_b32_e32 v2, v2, v14, vcc_lo
	v_cmp_eq_u32_e32 vcc_lo, 4, v132
	v_cmp_eq_u32_e64 s4, 4, v131
	v_lshrrev_b32_e32 v15, 16, v7
	v_cndmask_b32_e64 v5, v5, v3, s6
	v_cndmask_b32_e64 v6, v6, v7, s6
	v_cndmask_b32_e32 v14, v18, v7, vcc_lo
	v_cndmask_b32_e64 v9, v9, v3, s5
	v_cndmask_b32_e64 v10, v13, v7, s5
	v_cndmask_b32_e32 v13, v17, v3, vcc_lo
	v_cmp_eq_u32_e64 s3, 5, v132
	v_cndmask_b32_e64 v1, v1, v3, s4
	v_cmp_eq_u32_e32 vcc_lo, 5, v131
	v_cmp_eq_u32_e64 s5, 5, v129
	v_cndmask_b32_e64 v2, v2, v7, s4
	v_cmp_eq_u32_e64 s4, 5, v130
	v_cmp_eq_u32_e64 s6, 6, v129
	v_lshrrev_b32_e32 v12, 16, v4
	v_cndmask_b32_e64 v3, v5, v11, s5
	v_cndmask_b32_e64 v5, v6, v15, s5
	;; [unrolled: 1-line block ×3, first 2 shown]
	v_cmp_eq_u32_e64 s5, 6, v130
	v_cndmask_b32_e64 v7, v10, v15, s4
	v_cndmask_b32_e64 v9, v13, v11, s3
	;; [unrolled: 1-line block ×3, first 2 shown]
	v_cndmask_b32_e32 v1, v1, v11, vcc_lo
	v_cndmask_b32_e32 v2, v2, v15, vcc_lo
	v_cmp_eq_u32_e32 vcc_lo, 6, v132
	v_cmp_eq_u32_e64 s3, 6, v131
	v_lshrrev_b32_e32 v16, 16, v8
	v_cndmask_b32_e64 v3, v3, v4, s6
	v_cndmask_b32_e64 v5, v5, v8, s6
	v_cndmask_b32_e32 v9, v9, v4, vcc_lo
	v_cndmask_b32_e64 v6, v6, v4, s5
	v_cndmask_b32_e64 v7, v7, v8, s5
	v_cmp_eq_u32_e64 s4, 7, v132
	v_cndmask_b32_e32 v10, v10, v8, vcc_lo
	v_cndmask_b32_e64 v1, v1, v4, s3
	v_cmp_eq_u32_e32 vcc_lo, 7, v131
	v_cndmask_b32_e64 v2, v2, v8, s3
	v_cmp_eq_u32_e64 s3, 7, v129
	v_cmp_eq_u32_e64 s5, 7, v130
	v_cndmask_b32_e32 v1, v1, v12, vcc_lo
	s_delay_alu instid0(VALU_DEP_4) | instskip(NEXT) | instid1(VALU_DEP_4)
	v_cndmask_b32_e32 v2, v2, v16, vcc_lo
	v_cndmask_b32_e64 v8, v3, v12, s3
	s_delay_alu instid0(VALU_DEP_4)
	v_cndmask_b32_e64 v6, v6, v12, s5
	v_cndmask_b32_e64 v3, v9, v12, s4
	;; [unrolled: 1-line block ×5, first 2 shown]
	v_perm_b32 v4, v2, v1, 0x5040100
	s_mov_b32 s3, exec_lo
	v_perm_b32 v3, v9, v3, 0x5040100
	v_perm_b32 v2, v7, v6, 0x5040100
	;; [unrolled: 1-line block ×3, first 2 shown]
	ds_store_b128 v134, v[1:4]
	s_waitcnt lgkmcnt(0)
	s_barrier
	buffer_gl0_inv
	v_cmpx_gt_u32_e32 32, v0
	s_cbranch_execz .LBB198_2
; %bb.15:
	s_load_b64 s[4:5], s[0:1], 0x68
	v_lshlrev_b32_e32 v0, 10, v0
	v_add_nc_u32_e32 v2, s31, v138
	v_lshlrev_b32_e32 v3, 4, v139
	s_lshl_b32 s0, s35, 7
	s_delay_alu instid0(SALU_CYCLE_1) | instskip(NEXT) | instid1(VALU_DEP_2)
	s_mul_i32 s1, s0, s34
	v_mul_lo_u32 v1, v2, s0
	s_delay_alu instid0(VALU_DEP_2) | instskip(SKIP_2) | instid1(SALU_CYCLE_1)
	v_and_or_b32 v0, 0x3800, v0, v3
	v_add_nc_u32_e32 v2, 2, v2
	s_mul_i32 s6, s1, s7
	s_ashr_i32 s7, s6, 31
	s_delay_alu instid0(VALU_DEP_2)
	v_lshl_or_b32 v7, v138, 6, v0
	s_lshl_b64 s[6:7], s[6:7], 1
	v_mul_lo_u32 v11, v2, s0
	v_ashrrev_i32_e32 v2, 31, v1
	ds_load_b128 v[3:6], v7
	ds_load_b128 v[7:10], v7 offset:128
	s_waitcnt lgkmcnt(0)
	s_add_u32 s1, s4, s6
	s_addc_u32 s3, s5, s7
	s_lshl_b32 s4, s14, 7
	v_ashrrev_i32_e32 v12, 31, v11
	s_ashr_i32 s5, s4, 31
	v_lshlrev_b64 v[13:14], 1, v[1:2]
	s_lshl_b64 s[4:5], s[4:5], 1
	s_delay_alu instid0(SALU_CYCLE_1) | instskip(SKIP_2) | instid1(VALU_DEP_1)
	s_add_u32 s1, s1, s4
	s_addc_u32 s3, s3, s5
	v_add_co_u32 v1, s1, s1, v137
	v_add_co_ci_u32_e64 v2, null, s3, 0, s1
	v_lshlrev_b64 v[11:12], 1, v[11:12]
	s_delay_alu instid0(VALU_DEP_3) | instskip(NEXT) | instid1(VALU_DEP_3)
	v_add_co_u32 v13, vcc_lo, v1, v13
	v_add_co_ci_u32_e32 v14, vcc_lo, v2, v14, vcc_lo
	s_delay_alu instid0(VALU_DEP_3) | instskip(NEXT) | instid1(VALU_DEP_4)
	v_add_co_u32 v11, vcc_lo, v1, v11
	v_add_co_ci_u32_e32 v12, vcc_lo, v2, v12, vcc_lo
	s_clause 0x1
	global_store_b128 v[13:14], v[3:6], off
	global_store_b128 v[11:12], v[7:10], off
	s_and_b32 exec_lo, exec_lo, s2
	s_cbranch_execz .LBB198_2
; %bb.16:
	ds_load_b128 v[3:6], v0 offset:256
	s_add_i32 s1, s31, 4
	s_delay_alu instid0(SALU_CYCLE_1) | instskip(NEXT) | instid1(SALU_CYCLE_1)
	s_mul_i32 s0, s1, s0
	s_ashr_i32 s1, s0, 31
	s_delay_alu instid0(SALU_CYCLE_1) | instskip(NEXT) | instid1(SALU_CYCLE_1)
	s_lshl_b64 s[0:1], s[0:1], 1
	v_add_co_u32 v0, vcc_lo, v1, s0
	v_add_co_ci_u32_e32 v1, vcc_lo, s1, v2, vcc_lo
	s_waitcnt lgkmcnt(0)
	global_store_b128 v[0:1], v[3:6], off
	s_nop 0
	s_sendmsg sendmsg(MSG_DEALLOC_VGPRS)
	s_endpgm
	.section	.rodata,"a",@progbits
	.p2align	6, 0x0
	.amdhsa_kernel _Z39paged_attention_ll4mi_QKV_mfma16_kernelIDF16_DF16_LN4vllm18Fp8KVCacheDataTypeE0EhLi16ELi128ELi256ELb1ELi5EL8MFMAType0EEvPKT_PKT0_S8_ifPKiSA_SA_iPKfiiiPfSD_PS3_PT2_iSC_SC_
		.amdhsa_group_segment_fixed_size 17472
		.amdhsa_private_segment_fixed_size 0
		.amdhsa_kernarg_size 400
		.amdhsa_user_sgpr_count 13
		.amdhsa_user_sgpr_dispatch_ptr 0
		.amdhsa_user_sgpr_queue_ptr 0
		.amdhsa_user_sgpr_kernarg_segment_ptr 1
		.amdhsa_user_sgpr_dispatch_id 0
		.amdhsa_user_sgpr_private_segment_size 0
		.amdhsa_wavefront_size32 1
		.amdhsa_uses_dynamic_stack 0
		.amdhsa_enable_private_segment 0
		.amdhsa_system_sgpr_workgroup_id_x 1
		.amdhsa_system_sgpr_workgroup_id_y 1
		.amdhsa_system_sgpr_workgroup_id_z 1
		.amdhsa_system_sgpr_workgroup_info 0
		.amdhsa_system_vgpr_workitem_id 0
		.amdhsa_next_free_vgpr 218
		.amdhsa_next_free_sgpr 52
		.amdhsa_reserve_vcc 1
		.amdhsa_float_round_mode_32 0
		.amdhsa_float_round_mode_16_64 0
		.amdhsa_float_denorm_mode_32 3
		.amdhsa_float_denorm_mode_16_64 3
		.amdhsa_dx10_clamp 1
		.amdhsa_ieee_mode 1
		.amdhsa_fp16_overflow 0
		.amdhsa_workgroup_processor_mode 1
		.amdhsa_memory_ordered 1
		.amdhsa_forward_progress 0
		.amdhsa_shared_vgpr_count 0
		.amdhsa_exception_fp_ieee_invalid_op 0
		.amdhsa_exception_fp_denorm_src 0
		.amdhsa_exception_fp_ieee_div_zero 0
		.amdhsa_exception_fp_ieee_overflow 0
		.amdhsa_exception_fp_ieee_underflow 0
		.amdhsa_exception_fp_ieee_inexact 0
		.amdhsa_exception_int_div_zero 0
	.end_amdhsa_kernel
	.section	.text._Z39paged_attention_ll4mi_QKV_mfma16_kernelIDF16_DF16_LN4vllm18Fp8KVCacheDataTypeE0EhLi16ELi128ELi256ELb1ELi5EL8MFMAType0EEvPKT_PKT0_S8_ifPKiSA_SA_iPKfiiiPfSD_PS3_PT2_iSC_SC_,"axG",@progbits,_Z39paged_attention_ll4mi_QKV_mfma16_kernelIDF16_DF16_LN4vllm18Fp8KVCacheDataTypeE0EhLi16ELi128ELi256ELb1ELi5EL8MFMAType0EEvPKT_PKT0_S8_ifPKiSA_SA_iPKfiiiPfSD_PS3_PT2_iSC_SC_,comdat
.Lfunc_end198:
	.size	_Z39paged_attention_ll4mi_QKV_mfma16_kernelIDF16_DF16_LN4vllm18Fp8KVCacheDataTypeE0EhLi16ELi128ELi256ELb1ELi5EL8MFMAType0EEvPKT_PKT0_S8_ifPKiSA_SA_iPKfiiiPfSD_PS3_PT2_iSC_SC_, .Lfunc_end198-_Z39paged_attention_ll4mi_QKV_mfma16_kernelIDF16_DF16_LN4vllm18Fp8KVCacheDataTypeE0EhLi16ELi128ELi256ELb1ELi5EL8MFMAType0EEvPKT_PKT0_S8_ifPKiSA_SA_iPKfiiiPfSD_PS3_PT2_iSC_SC_
                                        ; -- End function
	.section	.AMDGPU.csdata,"",@progbits
; Kernel info:
; codeLenInByte = 8060
; NumSgprs: 54
; NumVgprs: 218
; ScratchSize: 0
; MemoryBound: 0
; FloatMode: 240
; IeeeMode: 1
; LDSByteSize: 17472 bytes/workgroup (compile time only)
; SGPRBlocks: 6
; VGPRBlocks: 27
; NumSGPRsForWavesPerEU: 54
; NumVGPRsForWavesPerEU: 218
; Occupancy: 6
; WaveLimiterHint : 1
; COMPUTE_PGM_RSRC2:SCRATCH_EN: 0
; COMPUTE_PGM_RSRC2:USER_SGPR: 13
; COMPUTE_PGM_RSRC2:TRAP_HANDLER: 0
; COMPUTE_PGM_RSRC2:TGID_X_EN: 1
; COMPUTE_PGM_RSRC2:TGID_Y_EN: 1
; COMPUTE_PGM_RSRC2:TGID_Z_EN: 1
; COMPUTE_PGM_RSRC2:TIDIG_COMP_CNT: 0
	.section	.text._Z39paged_attention_ll4mi_QKV_mfma16_kernelIDF16_DF16_LN4vllm18Fp8KVCacheDataTypeE0EhLi16ELi128ELi256ELb1ELi6EL8MFMAType0EEvPKT_PKT0_S8_ifPKiSA_SA_iPKfiiiPfSD_PS3_PT2_iSC_SC_,"axG",@progbits,_Z39paged_attention_ll4mi_QKV_mfma16_kernelIDF16_DF16_LN4vllm18Fp8KVCacheDataTypeE0EhLi16ELi128ELi256ELb1ELi6EL8MFMAType0EEvPKT_PKT0_S8_ifPKiSA_SA_iPKfiiiPfSD_PS3_PT2_iSC_SC_,comdat
	.protected	_Z39paged_attention_ll4mi_QKV_mfma16_kernelIDF16_DF16_LN4vllm18Fp8KVCacheDataTypeE0EhLi16ELi128ELi256ELb1ELi6EL8MFMAType0EEvPKT_PKT0_S8_ifPKiSA_SA_iPKfiiiPfSD_PS3_PT2_iSC_SC_ ; -- Begin function _Z39paged_attention_ll4mi_QKV_mfma16_kernelIDF16_DF16_LN4vllm18Fp8KVCacheDataTypeE0EhLi16ELi128ELi256ELb1ELi6EL8MFMAType0EEvPKT_PKT0_S8_ifPKiSA_SA_iPKfiiiPfSD_PS3_PT2_iSC_SC_
	.globl	_Z39paged_attention_ll4mi_QKV_mfma16_kernelIDF16_DF16_LN4vllm18Fp8KVCacheDataTypeE0EhLi16ELi128ELi256ELb1ELi6EL8MFMAType0EEvPKT_PKT0_S8_ifPKiSA_SA_iPKfiiiPfSD_PS3_PT2_iSC_SC_
	.p2align	8
	.type	_Z39paged_attention_ll4mi_QKV_mfma16_kernelIDF16_DF16_LN4vllm18Fp8KVCacheDataTypeE0EhLi16ELi128ELi256ELb1ELi6EL8MFMAType0EEvPKT_PKT0_S8_ifPKiSA_SA_iPKfiiiPfSD_PS3_PT2_iSC_SC_,@function
_Z39paged_attention_ll4mi_QKV_mfma16_kernelIDF16_DF16_LN4vllm18Fp8KVCacheDataTypeE0EhLi16ELi128ELi256ELb1ELi6EL8MFMAType0EEvPKT_PKT0_S8_ifPKiSA_SA_iPKfiiiPfSD_PS3_PT2_iSC_SC_: ; @_Z39paged_attention_ll4mi_QKV_mfma16_kernelIDF16_DF16_LN4vllm18Fp8KVCacheDataTypeE0EhLi16ELi128ELi256ELb1ELi6EL8MFMAType0EEvPKT_PKT0_S8_ifPKiSA_SA_iPKfiiiPfSD_PS3_PT2_iSC_SC_
; %bb.0:
	s_load_b64 s[4:5], s[0:1], 0x30
	s_mov_b32 s30, s13
	s_waitcnt lgkmcnt(0)
	s_cmp_lg_u64 s[4:5], 0
	s_cselect_b32 s8, -1, 0
	s_ashr_i32 s31, s13, 31
	s_cmp_eq_u64 s[4:5], 0
	s_cbranch_scc1 .LBB199_3
; %bb.1:
	s_lshl_b64 s[2:3], s[30:31], 2
	s_delay_alu instid0(SALU_CYCLE_1) | instskip(SKIP_4) | instid1(SALU_CYCLE_1)
	s_add_u32 s2, s4, s2
	s_addc_u32 s3, s5, s3
	s_load_b64 s[2:3], s[2:3], 0x0
	s_waitcnt lgkmcnt(0)
	s_sub_i32 s2, s3, s2
	s_cmp_eq_u32 s2, 1
	s_cselect_b32 s2, -1, 0
	s_delay_alu instid0(SALU_CYCLE_1)
	s_and_not1_b32 vcc_lo, exec_lo, s2
	s_cbranch_vccz .LBB199_4
.LBB199_2:
	s_endpgm
.LBB199_3:
.LBB199_4:
	s_load_b64 s[2:3], s[0:1], 0x28
	s_lshl_b64 s[6:7], s[30:31], 2
	s_waitcnt lgkmcnt(0)
	s_add_u32 s2, s2, s6
	s_addc_u32 s3, s3, s7
	s_lshl_b32 s29, s14, 8
	s_load_b32 s28, s[2:3], 0x0
	s_waitcnt lgkmcnt(0)
	s_cmp_ge_i32 s29, s28
	s_cbranch_scc1 .LBB199_2
; %bb.5:
	s_clause 0x1
	s_load_b128 s[20:23], s[0:1], 0x8
	s_load_b64 s[2:3], s[0:1], 0x20
	s_and_not1_b32 vcc_lo, exec_lo, s8
	s_cbranch_vccnz .LBB199_7
; %bb.6:
	s_add_u32 s4, s4, s6
	s_addc_u32 s5, s5, s7
	s_load_b32 s5, s[4:5], 0x0
	s_branch .LBB199_8
.LBB199_7:
	s_mov_b32 s5, s30
.LBB199_8:
	s_load_b128 s[16:19], s[0:1], 0x48
	v_and_b32_e32 v140, 15, v0
	v_lshrrev_b32_e32 v141, 5, v0
	v_and_b32_e32 v142, 31, v0
	v_and_b32_e32 v139, 1, v0
	v_bfe_u32 v138, v0, 4, 1
	v_lshlrev_b32_e32 v1, 3, v140
	s_mul_i32 s31, s15, 6
	s_mov_b32 s4, exec_lo
	s_delay_alu instid0(VALU_DEP_1)
	v_lshlrev_b32_e32 v137, 1, v1
	v_cmpx_gt_u32_e32 0x60, v0
	s_cbranch_execz .LBB199_10
; %bb.9:
	s_load_b64 s[6:7], s[0:1], 0x0
	v_lshl_or_b32 v5, v141, 1, v138
	s_waitcnt lgkmcnt(0)
	s_mul_hi_i32 s9, s5, s16
	s_mul_i32 s8, s5, s16
	v_lshlrev_b32_e32 v6, 10, v140
	s_lshl_b64 s[8:9], s[8:9], 1
	v_add_lshl_u32 v1, v5, s31, 7
	v_lshlrev_b32_e32 v5, 6, v5
	v_lshlrev_b32_e32 v7, 10, v139
	v_and_b32_e32 v6, 0x3800, v6
	s_delay_alu instid0(VALU_DEP_4) | instskip(NEXT) | instid1(VALU_DEP_2)
	v_ashrrev_i32_e32 v2, 31, v1
	v_or3_b32 v5, v6, v7, v5
	s_delay_alu instid0(VALU_DEP_2) | instskip(SKIP_2) | instid1(VALU_DEP_1)
	v_lshlrev_b64 v[1:2], 1, v[1:2]
	s_add_u32 s5, s6, s8
	s_addc_u32 s6, s7, s9
	v_add_co_u32 v1, vcc_lo, s5, v1
	s_delay_alu instid0(VALU_DEP_2) | instskip(NEXT) | instid1(VALU_DEP_2)
	v_add_co_ci_u32_e32 v2, vcc_lo, s6, v2, vcc_lo
	v_add_co_u32 v1, vcc_lo, v1, v137
	s_delay_alu instid0(VALU_DEP_2)
	v_add_co_ci_u32_e32 v2, vcc_lo, 0, v2, vcc_lo
	global_load_b128 v[1:4], v[1:2], off
	s_waitcnt vmcnt(0)
	ds_store_b128 v5, v[1:4]
.LBB199_10:
	s_or_b32 exec_lo, exec_lo, s4
	v_and_b32_e32 v1, 0xef, v0
	s_waitcnt lgkmcnt(0)
	s_add_i32 s5, s28, 15
	s_clause 0x1
	s_load_b32 s4, s[0:1], 0x38
	s_load_b32 s33, s[0:1], 0x98
	s_ashr_i32 s6, s5, 31
	v_add_nc_u32_e32 v1, s29, v1
	s_lshr_b32 s6, s6, 28
	s_load_b32 s34, s[0:1], 0x1c
	s_add_i32 s5, s5, s6
	s_waitcnt lgkmcnt(0)
	v_ashrrev_i32_e32 v2, 31, v1
	v_cmp_gt_i32_e32 vcc_lo, s28, v1
	s_ashr_i32 s16, s5, 4
	s_barrier
	s_add_i32 s16, s16, -1
	v_lshrrev_b32_e32 v3, 28, v2
	v_or_b32_e32 v2, 16, v1
	buffer_gl0_inv
	v_mul_lo_u16 v105, v140, 43
	v_lshlrev_b32_e32 v106, 5, v140
	v_add_nc_u32_e32 v4, v1, v3
	v_add_nc_u32_e32 v3, v2, v3
	s_mul_i32 s4, s30, s4
	v_lshrrev_b16 v105, 8, v105
	s_ashr_i32 s5, s4, 31
	v_ashrrev_i32_e32 v4, 4, v4
	v_ashrrev_i32_e32 v3, 4, v3
	s_lshl_b64 s[4:5], s[4:5], 2
	v_mul_lo_u16 v105, v105, 6
	s_add_u32 s35, s2, s4
	v_cndmask_b32_e32 v1, s16, v4, vcc_lo
	v_cmp_gt_i32_e32 vcc_lo, s28, v2
	s_addc_u32 s36, s3, s5
	s_mul_i32 s2, s15, s18
	v_sub_nc_u16 v105, v140, v105
	v_ashrrev_i32_e32 v2, 31, v1
	v_cndmask_b32_e32 v3, s16, v3, vcc_lo
	s_ashr_i32 s3, s2, 31
	v_lshl_or_b32 v125, v141, 9, v106
	s_lshl_b64 s[2:3], s[2:3], 1
	v_lshlrev_b64 v[1:2], 2, v[1:2]
	v_ashrrev_i32_e32 v4, 31, v3
	s_add_u32 s24, s20, s2
	s_addc_u32 s25, s21, s3
	s_lshl_b32 s4, s14, 4
	v_and_b32_e32 v105, 0xff, v105
	v_lshlrev_b64 v[3:4], 2, v[3:4]
	v_add_co_u32 v1, vcc_lo, s35, v1
	v_add_co_ci_u32_e32 v2, vcc_lo, s36, v2, vcc_lo
	s_ashr_i32 s5, s4, 31
	s_delay_alu instid0(VALU_DEP_3) | instskip(NEXT) | instid1(VALU_DEP_4)
	v_add_co_u32 v3, vcc_lo, s35, v3
	v_add_co_ci_u32_e32 v4, vcc_lo, s36, v4, vcc_lo
	s_lshl_b64 s[4:5], s[4:5], 2
	s_clause 0x1
	global_load_b32 v5, v[1:2], off
	global_load_b32 v6, v[3:4], off
	s_add_u32 s4, s35, s4
	s_addc_u32 s5, s36, s5
	s_or_b32 s6, s29, 16
	v_lshlrev_b32_e32 v3, 4, v0
	s_ashr_i32 s7, s6, 4
	s_cmp_lt_i32 s6, s28
	v_lshlrev_b32_e32 v215, 6, v105
	s_cselect_b32 s6, s7, s16
	s_delay_alu instid0(SALU_CYCLE_1) | instskip(NEXT) | instid1(SALU_CYCLE_1)
	s_ashr_i32 s7, s6, 31
	s_lshl_b64 s[6:7], s[6:7], 2
	s_delay_alu instid0(SALU_CYCLE_1) | instskip(SKIP_2) | instid1(SALU_CYCLE_1)
	s_add_u32 s6, s35, s6
	s_addc_u32 s7, s36, s7
	s_or_b32 s8, s29, 32
	s_ashr_i32 s9, s8, 4
	s_cmp_lt_i32 s8, s28
	s_cselect_b32 s8, s9, s16
	s_delay_alu instid0(SALU_CYCLE_1) | instskip(NEXT) | instid1(SALU_CYCLE_1)
	s_ashr_i32 s9, s8, 31
	s_lshl_b64 s[8:9], s[8:9], 2
	s_delay_alu instid0(SALU_CYCLE_1) | instskip(SKIP_2) | instid1(SALU_CYCLE_1)
	s_add_u32 s8, s35, s8
	s_addc_u32 s9, s36, s9
	s_or_b32 s10, s29, 48
	s_ashr_i32 s11, s10, 4
	s_cmp_lt_i32 s10, s28
	;; [unrolled: 10-line block ×4, first 2 shown]
	s_cselect_b32 s12, s13, s16
	s_delay_alu instid0(SALU_CYCLE_1) | instskip(NEXT) | instid1(SALU_CYCLE_1)
	s_ashr_i32 s13, s12, 31
	s_lshl_b64 s[12:13], s[12:13], 2
	s_delay_alu instid0(SALU_CYCLE_1)
	s_add_u32 s20, s35, s12
	s_addc_u32 s21, s36, s13
	s_clause 0x5
	s_load_b32 s39, s[4:5], 0x0
	s_load_b32 s38, s[6:7], 0x0
	;; [unrolled: 1-line block ×6, first 2 shown]
	s_waitcnt vmcnt(1)
	v_mad_i64_i32 v[1:2], null, v5, s17, 0
	v_and_b32_e32 v5, 0xf0, v3
	s_waitcnt vmcnt(0)
	v_mad_i64_i32 v[3:4], null, v6, s17, 0
	s_delay_alu instid0(VALU_DEP_2) | instskip(NEXT) | instid1(VALU_DEP_4)
	v_add_co_u32 v5, s4, s24, v5
	v_lshlrev_b64 v[1:2], 1, v[1:2]
	v_add_co_ci_u32_e64 v6, null, s25, 0, s4
	s_delay_alu instid0(VALU_DEP_4) | instskip(SKIP_1) | instid1(VALU_DEP_3)
	v_lshlrev_b64 v[3:4], 1, v[3:4]
	s_or_b32 s4, s29, 0x60
	v_add_co_u32 v121, vcc_lo, v5, v1
	s_delay_alu instid0(VALU_DEP_3) | instskip(NEXT) | instid1(VALU_DEP_3)
	v_add_co_ci_u32_e32 v122, vcc_lo, v6, v2, vcc_lo
	v_add_co_u32 v123, vcc_lo, v5, v3
	s_delay_alu instid0(VALU_DEP_4)
	v_add_co_ci_u32_e32 v124, vcc_lo, v6, v4, vcc_lo
	s_clause 0x19
	global_load_b128 v[89:92], v[121:122], off
	global_load_b128 v[93:96], v[121:122], off offset:256
	global_load_b128 v[97:100], v[123:124], off
	global_load_b128 v[101:104], v[123:124], off offset:256
	global_load_b128 v[81:84], v[121:122], off offset:512
	global_load_b128 v[85:88], v[121:122], off offset:768
	global_load_b128 v[73:76], v[123:124], off offset:512
	global_load_b128 v[77:80], v[123:124], off offset:768
	global_load_b128 v[65:68], v[121:122], off offset:1024
	global_load_b128 v[69:72], v[121:122], off offset:1280
	global_load_b128 v[57:60], v[123:124], off offset:1024
	global_load_b128 v[61:64], v[123:124], off offset:1280
	global_load_b128 v[49:52], v[121:122], off offset:1536
	global_load_b128 v[53:56], v[121:122], off offset:1792
	global_load_b128 v[25:28], v[123:124], off offset:1536
	global_load_b128 v[29:32], v[123:124], off offset:1792
	global_load_b128 v[1:4], v[121:122], off offset:2048
	global_load_b128 v[5:8], v[121:122], off offset:2304
	global_load_b128 v[9:12], v[123:124], off offset:2048
	global_load_b128 v[13:16], v[123:124], off offset:2304
	global_load_b128 v[41:44], v[121:122], off offset:2560
	global_load_b128 v[45:48], v[121:122], off offset:2816
	global_load_b128 v[33:36], v[123:124], off offset:2560
	global_load_b128 v[37:40], v[123:124], off offset:2816
	global_load_b128 v[17:20], v[121:122], off offset:3072
	global_load_b128 v[21:24], v[121:122], off offset:3328
	s_ashr_i32 s5, s4, 4
	s_cmp_lt_i32 s4, s28
	ds_load_b128 v[105:108], v215
	ds_load_b128 v[109:112], v215 offset:1024
	s_cselect_b32 s4, s5, s16
	ds_load_b128 v[113:116], v215 offset:2048
	ds_load_b128 v[117:120], v215 offset:3072
	s_ashr_i32 s5, s4, 31
	ds_load_b128 v[143:146], v215 offset:4096
	ds_load_b128 v[147:150], v215 offset:5120
	s_lshl_b64 s[6:7], s[4:5], 2
	ds_load_b128 v[151:154], v215 offset:6144
	ds_load_b128 v[155:158], v215 offset:7168
	s_add_u32 s18, s35, s6
	s_addc_u32 s19, s36, s7
	s_or_b32 s5, s29, 0x70
	ds_load_b128 v[159:162], v215 offset:8192
	ds_load_b128 v[163:166], v215 offset:9216
	s_ashr_i32 s6, s5, 4
	s_cmp_lt_i32 s5, s28
	s_clause 0x1
	global_load_b128 v[167:170], v[123:124], off offset:3072
	global_load_b128 v[171:174], v[123:124], off offset:3328
	s_cselect_b32 s8, s6, s16
	s_mov_b32 s4, 0
	s_ashr_i32 s9, s8, 31
	s_mov_b32 s5, s4
	s_lshl_b64 s[8:9], s[8:9], 2
	s_mov_b32 s6, s4
	s_add_u32 s20, s35, s8
	s_addc_u32 s21, s36, s9
	s_clause 0x1
	s_load_b32 s41, s[18:19], 0x0
	s_load_b32 s46, s[20:21], 0x0
	s_clause 0x3
	global_load_b128 v[175:178], v[121:122], off offset:3584
	global_load_b128 v[179:182], v[121:122], off offset:3840
	;; [unrolled: 1-line block ×4, first 2 shown]
	s_or_b32 s8, s29, 0x80
	s_mov_b32 s7, s4
	s_ashr_i32 s9, s8, 4
	s_cmp_lt_i32 s8, s28
	s_mov_b32 s8, s4
	s_cselect_b32 s10, s9, s16
	s_mov_b32 s9, s4
	s_ashr_i32 s11, s10, 31
	s_delay_alu instid0(SALU_CYCLE_1)
	s_lshl_b64 s[24:25], s[10:11], 2
	s_mov_b32 s10, s4
	s_add_u32 s24, s35, s24
	s_addc_u32 s25, s36, s25
	s_or_b32 s11, s29, 0x90
	s_load_b32 s47, s[24:25], 0x0
	s_ashr_i32 s26, s11, 4
	s_cmp_lt_i32 s11, s28
	s_mov_b32 s11, s4
	s_cselect_b32 s26, s26, s16
	v_mov_b32_e32 v136, s11
	s_ashr_i32 s27, s26, 31
	v_dual_mov_b32 v135, s10 :: v_dual_mov_b32 v134, s9
	v_dual_mov_b32 v133, s8 :: v_dual_mov_b32 v132, s7
	;; [unrolled: 1-line block ×3, first 2 shown]
	v_mov_b32_e32 v129, s4
	s_lshl_b64 s[4:5], s[26:27], 2
	s_waitcnt lgkmcnt(0)
	s_mul_hi_i32 s7, s38, s17
	s_add_u32 s26, s35, s4
	s_addc_u32 s27, s36, s5
	s_or_b32 s4, s29, 0xa0
	s_load_b32 s40, s[26:27], 0x0
	s_ashr_i32 s5, s4, 4
	s_cmp_lt_i32 s4, s28
	s_cselect_b32 s4, s5, s16
	s_delay_alu instid0(SALU_CYCLE_1) | instskip(NEXT) | instid1(SALU_CYCLE_1)
	s_ashr_i32 s5, s4, 31
	s_lshl_b64 s[4:5], s[4:5], 2
	s_delay_alu instid0(SALU_CYCLE_1)
	s_add_u32 s42, s35, s4
	s_addc_u32 s43, s36, s5
	s_or_b32 s4, s29, 0xb0
	s_mul_hi_i32 s5, s39, s17
	s_ashr_i32 s6, s4, 4
	s_cmp_lt_i32 s4, s28
	s_mul_i32 s4, s39, s17
	s_cselect_b32 s8, s6, s16
	s_mul_i32 s6, s38, s17
	s_ashr_i32 s9, s8, 31
	s_delay_alu instid0(SALU_CYCLE_1)
	s_lshl_b64 s[10:11], s[8:9], 2
	s_mul_hi_i32 s9, s37, s17
	s_add_u32 s44, s35, s10
	s_addc_u32 s45, s36, s11
	s_or_b32 s10, s29, 0xc0
	s_mul_i32 s8, s37, s17
	s_ashr_i32 s37, s10, 4
	s_cmp_lt_i32 s10, s28
	s_mul_hi_i32 s11, s13, s17
	s_cselect_b32 s38, s37, s16
	s_mul_i32 s10, s13, s17
	s_ashr_i32 s39, s38, 31
	s_mul_hi_i32 s13, s12, s17
	s_lshl_b64 s[38:39], s[38:39], 2
	s_mul_i32 s12, s12, s17
	s_add_u32 s20, s35, s38
	s_addc_u32 s21, s36, s39
	s_load_b32 s39, s[42:43], 0x0
	s_or_b32 s18, s29, 0xd0
	s_mul_hi_i32 s27, s47, s17
	s_ashr_i32 s19, s18, 4
	s_cmp_lt_i32 s18, s28
	s_mul_i32 s18, s15, s17
	s_cselect_b32 s24, s19, s16
	s_mul_hi_i32 s19, s15, s17
	s_ashr_i32 s25, s24, 31
	s_mul_i32 s26, s47, s17
	s_lshl_b64 s[24:25], s[24:25], 2
	s_delay_alu instid0(SALU_CYCLE_1)
	s_add_u32 s24, s35, s24
	s_addc_u32 s25, s36, s25
	s_or_b32 s42, s29, 0xe0
	s_clause 0x2
	s_load_b32 s38, s[44:45], 0x0
	s_load_b32 s37, s[20:21], 0x0
	;; [unrolled: 1-line block ×3, first 2 shown]
	s_ashr_i32 s43, s42, 4
	s_cmp_lt_i32 s42, s28
	s_mul_hi_i32 s25, s46, s17
	s_cselect_b32 s42, s43, s16
	s_mul_i32 s24, s46, s17
	s_ashr_i32 s43, s42, 31
	s_mul_hi_i32 s21, s41, s17
	s_lshl_b64 s[42:43], s[42:43], 2
	s_mul_i32 s20, s41, s17
	s_add_u32 s42, s35, s42
	s_addc_u32 s43, s36, s43
	s_or_b32 s46, s29, 0xf0
	s_waitcnt lgkmcnt(0)
	s_mul_hi_i32 s41, s40, s17
	s_ashr_i32 s47, s46, 4
	s_cmp_lt_i32 s46, s28
	s_mul_i32 s40, s40, s17
	s_cselect_b32 s46, s47, s16
	s_mul_hi_i32 s45, s39, s17
	s_ashr_i32 s47, s46, 31
	s_mul_hi_i32 s51, s15, s17
	s_lshl_b64 s[46:47], s[46:47], 2
	s_mul_i32 s50, s15, s17
	s_add_u32 s46, s35, s46
	s_addc_u32 s47, s36, s47
	s_add_u32 s15, s22, s2
	s_addc_u32 s16, s23, s3
	v_add_co_u32 v216, s15, s15, v125
	s_delay_alu instid0(VALU_DEP_1) | instskip(SKIP_2) | instid1(VALU_DEP_2)
	v_add_co_ci_u32_e64 v217, null, s16, 0, s15
	s_lshl_b64 s[2:3], s[4:5], 1
	s_lshl_b64 s[4:5], s[6:7], 1
	v_add_co_u32 v125, vcc_lo, v216, s2
	s_delay_alu instid0(VALU_DEP_2)
	v_add_co_ci_u32_e32 v126, vcc_lo, s3, v217, vcc_lo
	v_add_co_u32 v199, vcc_lo, v216, s4
	s_lshl_b64 s[6:7], s[8:9], 1
	v_add_co_ci_u32_e32 v200, vcc_lo, s5, v217, vcc_lo
	s_lshl_b64 s[8:9], s[10:11], 1
	s_lshl_b64 s[10:11], s[12:13], 1
	;; [unrolled: 1-line block ×7, first 2 shown]
	s_mul_i32 s44, s39, s17
	s_mul_hi_i32 s39, s38, s17
	s_lshl_b64 s[26:27], s[44:45], 1
	s_mul_i32 s38, s38, s17
	s_mul_hi_i32 s49, s37, s17
	s_mul_i32 s48, s37, s17
	s_lshl_b64 s[36:37], s[38:39], 1
	s_lshl_b64 s[38:39], s[48:49], 1
	s_clause 0x1
	s_load_b32 s15, s[42:43], 0x0
	s_load_b32 s16, s[46:47], 0x0
	s_lshl_b64 s[40:41], s[50:51], 1
	s_waitcnt lgkmcnt(0)
	s_mul_hi_i32 s3, s15, s17
	s_mul_i32 s2, s15, s17
	s_mul_hi_i32 s5, s16, s17
	s_lshl_b64 s[2:3], s[2:3], 1
	s_mul_i32 s4, s16, s17
	s_waitcnt vmcnt(30)
	v_wmma_f32_16x16x16_f16 v[191:198], v[89:96], v[105:112], v[129:136]
	v_add_co_u32 v89, vcc_lo, v216, s6
	v_add_co_ci_u32_e32 v90, vcc_lo, s7, v217, vcc_lo
	v_add_co_u32 v91, vcc_lo, v216, s8
	v_add_co_ci_u32_e32 v92, vcc_lo, s9, v217, vcc_lo
	;; [unrolled: 2-line block ×5, first 2 shown]
	v_add_co_u32 v205, vcc_lo, v216, s20
	s_waitcnt vmcnt(28)
	v_wmma_f32_16x16x16_f16 v[129:136], v[97:104], v[105:112], v[129:136]
	v_add_co_ci_u32_e32 v206, vcc_lo, s21, v217, vcc_lo
	v_add_co_u32 v207, vcc_lo, v216, s22
	v_add_co_ci_u32_e32 v208, vcc_lo, s23, v217, vcc_lo
	v_add_co_u32 v209, vcc_lo, v216, s24
	s_waitcnt vmcnt(26)
	v_wmma_f32_16x16x16_f16 v[191:198], v[81:88], v[113:120], v[191:198]
	s_waitcnt vmcnt(24)
	v_wmma_f32_16x16x16_f16 v[129:136], v[73:80], v[113:120], v[129:136]
	v_add_co_ci_u32_e32 v210, vcc_lo, s25, v217, vcc_lo
	v_add_co_u32 v211, vcc_lo, v216, s26
	v_add_co_ci_u32_e32 v212, vcc_lo, s27, v217, vcc_lo
	v_add_co_u32 v213, vcc_lo, v216, s36
	s_waitcnt vmcnt(22)
	v_wmma_f32_16x16x16_f16 v[191:198], v[65:72], v[143:150], v[191:198]
	s_waitcnt vmcnt(20)
	v_wmma_f32_16x16x16_f16 v[129:136], v[57:64], v[143:150], v[129:136]
	v_add_co_ci_u32_e32 v214, vcc_lo, s37, v217, vcc_lo
	v_add_co_u32 v143, vcc_lo, v216, s38
	s_waitcnt vmcnt(18)
	v_wmma_f32_16x16x16_f16 v[191:198], v[49:56], v[151:158], v[191:198]
	s_waitcnt vmcnt(16)
	v_wmma_f32_16x16x16_f16 v[129:136], v[25:32], v[151:158], v[129:136]
	v_add_co_ci_u32_e32 v144, vcc_lo, s39, v217, vcc_lo
	s_clause 0x15
	global_load_b128 v[121:124], v[125:126], off
	global_load_b128 v[125:128], v[125:126], off offset:16
	global_load_b128 v[113:116], v[199:200], off
	global_load_b128 v[117:120], v[199:200], off offset:16
	;; [unrolled: 2-line block ×11, first 2 shown]
	s_waitcnt vmcnt(36)
	v_wmma_f32_16x16x16_f16 v[191:198], v[1:8], v[159:166], v[191:198]
	s_clause 0x1
	global_load_b128 v[1:4], v[213:214], off
	global_load_b128 v[5:8], v[213:214], off offset:16
	s_waitcnt vmcnt(36)
	v_wmma_f32_16x16x16_f16 v[129:136], v[9:16], v[159:166], v[129:136]
	s_clause 0x1
	global_load_b128 v[9:12], v[143:144], off
	global_load_b128 v[13:16], v[143:144], off offset:16
	ds_load_b128 v[143:146], v215 offset:10240
	ds_load_b128 v[147:150], v215 offset:11264
	;; [unrolled: 1-line block ×4, first 2 shown]
	v_add_co_u32 v199, vcc_lo, v216, s40
	v_add_co_ci_u32_e32 v200, vcc_lo, s41, v217, vcc_lo
	v_add_co_u32 v159, vcc_lo, v216, s2
	v_add_co_ci_u32_e32 v160, vcc_lo, s3, v217, vcc_lo
	s_lshl_b64 s[2:3], s[4:5], 1
	s_delay_alu instid0(SALU_CYCLE_1)
	v_add_co_u32 v161, vcc_lo, v216, s2
	v_add_co_ci_u32_e32 v162, vcc_lo, s3, v217, vcc_lo
	s_waitcnt vmcnt(36) lgkmcnt(2)
	v_wmma_f32_16x16x16_f16 v[191:198], v[41:48], v[143:150], v[191:198]
	s_waitcnt vmcnt(34)
	v_wmma_f32_16x16x16_f16 v[129:136], v[33:40], v[143:150], v[129:136]
	s_clause 0x3
	global_load_b128 v[33:36], v[199:200], off
	global_load_b128 v[37:40], v[199:200], off offset:16
	global_load_b128 v[41:44], v[159:160], off
	global_load_b128 v[45:48], v[159:160], off offset:16
	v_and_b32_e32 v143, 0xe0, v0
	v_mbcnt_lo_u32_b32 v159, -1, 0
	s_waitcnt vmcnt(36) lgkmcnt(0)
	v_wmma_f32_16x16x16_f16 v[191:198], v[17:24], v[151:158], v[191:198]
	s_clause 0x1
	global_load_b128 v[17:20], v[161:162], off
	global_load_b128 v[21:24], v[161:162], off offset:16
	s_waitcnt vmcnt(36)
	v_wmma_f32_16x16x16_f16 v[129:136], v[167:174], v[151:158], v[129:136]
	v_add_nc_u32_e32 v160, s29, v143
	ds_load_b128 v[143:146], v215 offset:14336
	ds_load_b128 v[147:150], v215 offset:15360
	v_xor_b32_e32 v151, 16, v159
	s_waitcnt vmcnt(0) lgkmcnt(0)
	s_barrier
	v_or_b32_e32 v152, v160, v138
	buffer_gl0_inv
	v_cmp_gt_i32_e32 vcc_lo, 32, v151
	v_or_b32_e32 v153, 2, v152
	v_or_b32_e32 v154, 4, v152
	;; [unrolled: 1-line block ×5, first 2 shown]
	v_cmp_gt_i32_e64 s2, s28, v153
	v_cmp_gt_i32_e64 s3, s28, v154
	;; [unrolled: 1-line block ×3, first 2 shown]
	v_or_b32_e32 v158, 12, v152
	v_cmp_gt_i32_e64 s5, s28, v156
	v_cmp_gt_i32_e64 s6, s28, v157
	v_wmma_f32_16x16x16_f16 v[191:198], v[175:182], v[143:150], v[191:198]
	v_wmma_f32_16x16x16_f16 v[129:136], v[183:190], v[143:150], v[129:136]
	v_cndmask_b32_e32 v151, v159, v151, vcc_lo
	v_cmp_gt_i32_e32 vcc_lo, s28, v152
	v_or_b32_e32 v159, 14, v152
	v_dual_mul_f32 v149, s34, v192 :: v_dual_mul_f32 v150, s34, v191
	v_dual_mul_f32 v147, s34, v194 :: v_dual_mul_f32 v148, s34, v193
	;; [unrolled: 1-line block ×3, first 2 shown]
	s_delay_alu instid0(VALU_DEP_3) | instskip(NEXT) | instid1(VALU_DEP_4)
	v_cndmask_b32_e32 v150, 0xff7fffff, v150, vcc_lo
	v_cndmask_b32_e64 v149, 0xff7fffff, v149, s2
	v_mul_f32_e32 v146, s34, v195
	v_cndmask_b32_e64 v148, 0xff7fffff, v148, s3
	v_cndmask_b32_e64 v147, 0xff7fffff, v147, s4
	v_or_b32_e32 v160, 16, v152
	v_max3_f32 v149, v150, 0xff7fffff, v149
	v_or_b32_e32 v161, 18, v152
	v_dual_mul_f32 v143, s34, v198 :: v_dual_mul_f32 v144, s34, v197
	v_cndmask_b32_e64 v146, 0xff7fffff, v146, s5
	v_cndmask_b32_e64 v145, 0xff7fffff, v145, s6
	v_max3_f32 v147, v149, v148, v147
	v_cmp_gt_i32_e64 s7, s28, v158
	v_cmp_gt_i32_e64 s8, s28, v159
	v_or_b32_e32 v162, 20, v152
	v_or_b32_e32 v163, 22, v152
	v_mul_f32_e32 v175, s34, v129
	v_cndmask_b32_e64 v144, 0xff7fffff, v144, s7
	v_cndmask_b32_e64 v143, 0xff7fffff, v143, s8
	v_max3_f32 v145, v147, v146, v145
	v_cmp_gt_i32_e64 s9, s28, v160
	v_cmp_gt_i32_e64 s10, s28, v161
	v_or_b32_e32 v164, 24, v152
	v_or_b32_e32 v165, 26, v152
	v_dual_mul_f32 v172, s34, v132 :: v_dual_mul_f32 v173, s34, v131
	v_cndmask_b32_e64 v146, 0xff7fffff, v175, s9
	v_cndmask_b32_e64 v147, 0xff7fffff, v174, s10
	v_max3_f32 v143, v145, v144, v143
	v_cmp_gt_i32_e64 s11, s28, v162
	v_cmp_gt_i32_e64 s12, s28, v163
	v_or_b32_e32 v166, 28, v152
	v_or_b32_e32 v167, 30, v152
	v_dual_mul_f32 v170, s34, v134 :: v_dual_mul_f32 v171, s34, v133
	v_cndmask_b32_e64 v144, 0xff7fffff, v173, s11
	v_cndmask_b32_e64 v145, 0xff7fffff, v172, s12
	v_max3_f32 v143, v143, v146, v147
	v_cmp_gt_i32_e64 s13, s28, v164
	v_cmp_gt_i32_e64 s15, s28, v165
	v_dual_mul_f32 v168, s34, v136 :: v_dual_mul_f32 v169, s34, v135
	s_delay_alu instid0(VALU_DEP_4) | instskip(NEXT) | instid1(VALU_DEP_4)
	v_max3_f32 v143, v143, v144, v145
	v_cndmask_b32_e64 v146, 0xff7fffff, v171, s13
	s_delay_alu instid0(VALU_DEP_4) | instskip(SKIP_3) | instid1(VALU_DEP_4)
	v_cndmask_b32_e64 v147, 0xff7fffff, v170, s15
	v_cmp_gt_i32_e64 s16, s28, v166
	v_cmp_gt_i32_e64 s17, s28, v167
	v_lshlrev_b32_e32 v160, 2, v151
	v_max3_f32 v143, v143, v146, v147
	s_delay_alu instid0(VALU_DEP_4) | instskip(NEXT) | instid1(VALU_DEP_4)
	v_cndmask_b32_e64 v144, 0xff7fffff, v169, s16
	v_cndmask_b32_e64 v145, 0xff7fffff, v168, s17
	s_delay_alu instid0(VALU_DEP_1) | instskip(SKIP_3) | instid1(VALU_DEP_1)
	v_max3_f32 v143, v143, v144, v145
	ds_bpermute_b32 v144, v160, v143
	s_waitcnt lgkmcnt(0)
	v_max_f32_e32 v144, v144, v144
	v_max_f32_e32 v159, v143, v144
	s_delay_alu instid0(VALU_DEP_1) | instskip(SKIP_4) | instid1(VALU_DEP_4)
	v_fma_f32 v145, s34, v193, -v159
	v_fma_f32 v146, s34, v194, -v159
	v_fma_f32 v132, s34, v132, -v159
	v_fma_f32 v143, s34, v191, -v159
	v_fma_f32 v144, s34, v192, -v159
	v_dual_mul_f32 v145, 0x3fb8aa3b, v145 :: v_dual_mul_f32 v146, 0x3fb8aa3b, v146
	s_delay_alu instid0(VALU_DEP_4) | instskip(SKIP_1) | instid1(VALU_DEP_4)
	v_mul_f32_e32 v132, 0x3fb8aa3b, v132
	v_fma_f32 v148, s34, v195, -v159
	v_mul_f32_e32 v144, 0x3fb8aa3b, v144
	s_delay_alu instid0(VALU_DEP_4)
	v_exp_f32_e32 v145, v145
	v_exp_f32_e32 v150, v146
	v_fma_f32 v149, s34, v196, -v159
	v_mul_f32_e32 v148, 0x3fb8aa3b, v148
	v_exp_f32_e32 v147, v144
	v_fma_f32 v134, s34, v134, -v159
	v_fma_f32 v151, s34, v197, -v159
	v_mul_f32_e32 v149, 0x3fb8aa3b, v149
	v_exp_f32_e32 v148, v148
	v_fma_f32 v152, s34, v198, -v159
	v_cndmask_b32_e64 v146, 0, v145, s3
	v_cndmask_b32_e64 v145, 0, v150, s4
	v_dual_mul_f32 v143, 0x3fb8aa3b, v143 :: v_dual_mul_f32 v134, 0x3fb8aa3b, v134
	v_mul_f32_e32 v151, 0x3fb8aa3b, v151
	v_exp_f32_e32 v149, v149
	v_fma_f32 v129, s34, v129, -v159
	s_delay_alu instid0(VALU_DEP_3)
	v_exp_f32_e32 v143, v143
	v_mul_f32_e32 v150, 0x3fb8aa3b, v152
	v_exp_f32_e32 v151, v151
	v_cndmask_b32_e64 v148, 0, v148, s5
	v_fma_f32 v130, s34, v130, -v159
	v_mul_f32_e32 v129, 0x3fb8aa3b, v129
	v_exp_f32_e32 v153, v150
	v_fma_f32 v131, s34, v131, -v159
	v_fma_f32 v133, s34, v133, -v159
	v_mul_f32_e32 v130, 0x3fb8aa3b, v130
	v_cndmask_b32_e32 v144, 0, v143, vcc_lo
	v_cndmask_b32_e64 v143, 0, v147, s2
	v_exp_f32_e32 v129, v129
	v_cndmask_b32_e64 v150, 0, v151, s7
	v_mul_f32_e32 v131, 0x3fb8aa3b, v131
	v_add_f32_e32 v147, 0, v144
	v_exp_f32_e32 v130, v130
	v_mul_f32_e32 v133, 0x3fb8aa3b, v133
	v_exp_f32_e32 v132, v132
	v_exp_f32_e32 v131, v131
	v_add_f32_e32 v147, v147, v143
	s_mov_b32 s2, exec_lo
	v_exp_f32_e32 v133, v133
	s_delay_alu instid0(VALU_DEP_1)
	v_add_f32_e32 v147, v147, v146
	s_waitcnt_depctr 0xfff
	v_cndmask_b32_e64 v154, 0, v131, s11
	v_add_f32_e32 v152, v147, v145
	v_cndmask_b32_e64 v147, 0, v149, s6
	v_exp_f32_e32 v131, v134
	v_cndmask_b32_e64 v156, 0, v133, s13
	s_delay_alu instid0(VALU_DEP_3) | instskip(SKIP_1) | instid1(VALU_DEP_2)
	v_add_f32_e32 v149, v152, v148
	v_cndmask_b32_e64 v152, 0, v129, s9
	v_add_f32_e32 v151, v149, v147
	v_cndmask_b32_e64 v149, 0, v153, s8
	v_cndmask_b32_e64 v153, 0, v132, s12
	v_fma_f32 v132, s34, v136, -v159
	s_delay_alu instid0(TRANS32_DEP_1) | instskip(NEXT) | instid1(VALU_DEP_2)
	v_cndmask_b32_e64 v155, 0, v131, s15
	v_dual_add_f32 v151, v151, v150 :: v_dual_mul_f32 v132, 0x3fb8aa3b, v132
	s_delay_alu instid0(VALU_DEP_1) | instskip(SKIP_2) | instid1(VALU_DEP_4)
	v_add_f32_e32 v129, v151, v149
	v_cndmask_b32_e64 v151, 0, v130, s10
	v_fma_f32 v130, s34, v135, -v159
	v_exp_f32_e32 v131, v132
	s_delay_alu instid0(VALU_DEP_1) | instskip(NEXT) | instid1(VALU_DEP_1)
	v_dual_add_f32 v129, v129, v152 :: v_dual_mul_f32 v130, 0x3fb8aa3b, v130
	v_add_f32_e32 v129, v129, v151
	s_delay_alu instid0(VALU_DEP_2) | instskip(SKIP_3) | instid1(VALU_DEP_1)
	v_exp_f32_e32 v130, v130
	s_waitcnt_depctr 0xfff
	v_cndmask_b32_e64 v157, 0, v131, s17
	v_add_f32_e32 v129, v129, v154
	v_add_f32_e32 v129, v129, v153
	v_cndmask_b32_e64 v158, 0, v130, s16
	s_delay_alu instid0(VALU_DEP_2) | instskip(NEXT) | instid1(VALU_DEP_1)
	v_add_f32_e32 v129, v129, v156
	v_add_f32_e32 v129, v129, v155
	s_delay_alu instid0(VALU_DEP_1) | instskip(NEXT) | instid1(VALU_DEP_1)
	v_add_f32_e32 v129, v129, v158
	v_add_f32_e32 v129, v129, v157
	ds_bpermute_b32 v130, v160, v129
	v_cmpx_gt_u32_e32 16, v142
	s_cbranch_execz .LBB199_12
; %bb.11:
	v_mul_u32_u24_e32 v131, 0x44, v141
	s_delay_alu instid0(VALU_DEP_1) | instskip(SKIP_1) | instid1(VALU_DEP_1)
	v_lshl_add_u32 v131, v140, 2, v131
	s_waitcnt lgkmcnt(0)
	v_dual_add_f32 v129, v129, v130 :: v_dual_add_nc_u32 v130, 0x4000, v131
	ds_store_2addr_b32 v130, v159, v129 offset1:136
.LBB199_12:
	s_or_b32 exec_lo, exec_lo, s2
	v_lshlrev_b32_e32 v129, 2, v140
	s_load_b32 s34, s[0:1], 0x94
	s_waitcnt lgkmcnt(0)
	s_barrier
	buffer_gl0_inv
	v_add_nc_u32_e32 v135, 0x4000, v129
	v_cmp_eq_u32_e32 vcc_lo, 1, v141
	v_cmp_eq_u32_e64 s2, 2, v141
	v_cmp_eq_u32_e64 s3, 3, v141
	;; [unrolled: 1-line block ×3, first 2 shown]
	ds_load_2addr_b32 v[129:130], v135 offset1:17
	ds_load_2addr_b32 v[131:132], v135 offset0:34 offset1:51
	ds_load_2addr_b32 v[133:134], v135 offset0:68 offset1:85
	;; [unrolled: 1-line block ×3, first 2 shown]
	v_cmp_eq_u32_e64 s5, 5, v141
	v_cmp_eq_u32_e64 s6, 7, v141
	s_waitcnt lgkmcnt(3)
	v_max3_f32 v136, v129, 0xff7fffff, v130
	s_waitcnt lgkmcnt(2)
	s_delay_alu instid0(VALU_DEP_1) | instskip(SKIP_1) | instid1(VALU_DEP_1)
	v_max3_f32 v136, v136, v131, v132
	s_waitcnt lgkmcnt(1)
	v_max3_f32 v136, v136, v133, v134
	s_waitcnt lgkmcnt(0)
	s_delay_alu instid0(VALU_DEP_1) | instskip(NEXT) | instid1(VALU_DEP_1)
	v_max3_f32 v136, v136, v159, v160
	v_sub_f32_e32 v142, v130, v136
	ds_load_2addr_b32 v[161:162], v135 offset0:136 offset1:153
	v_sub_f32_e32 v164, v132, v136
	v_mul_f32_e32 v142, 0x3fb8aa3b, v142
	s_delay_alu instid0(VALU_DEP_2) | instskip(NEXT) | instid1(VALU_DEP_2)
	v_mul_f32_e32 v164, 0x3fb8aa3b, v164
	v_exp_f32_e32 v166, v142
	v_sub_f32_e32 v129, v129, v136
	s_delay_alu instid0(VALU_DEP_2) | instskip(NEXT) | instid1(VALU_DEP_1)
	v_exp_f32_e32 v164, v164
	v_mul_f32_e32 v163, 0x3fb8aa3b, v129
	ds_load_2addr_b32 v[129:130], v135 offset0:170 offset1:187
	v_exp_f32_e32 v163, v163
	s_waitcnt lgkmcnt(1)
	s_waitcnt_depctr 0xfff
	v_fma_f32 v142, v163, v161, 0
	v_sub_f32_e32 v161, v134, v136
	s_delay_alu instid0(VALU_DEP_2) | instskip(NEXT) | instid1(VALU_DEP_1)
	v_dual_fmac_f32 v142, v166, v162 :: v_dual_sub_f32 v131, v131, v136
	v_mul_f32_e32 v165, 0x3fb8aa3b, v131
	ds_load_2addr_b32 v[131:132], v135 offset0:204 offset1:221
	v_exp_f32_e32 v165, v165
	s_waitcnt lgkmcnt(1)
	s_waitcnt_depctr 0xfff
	v_fmac_f32_e32 v142, v165, v129
	v_sub_f32_e32 v133, v133, v136
	v_sub_f32_e32 v129, v160, v136
	s_delay_alu instid0(VALU_DEP_2) | instskip(NEXT) | instid1(VALU_DEP_2)
	v_dual_fmac_f32 v142, v164, v130 :: v_dual_mul_f32 v167, 0x3fb8aa3b, v133
	v_mul_f32_e32 v129, 0x3fb8aa3b, v129
	ds_load_2addr_b32 v[133:134], v135 offset0:238 offset1:255
	v_cndmask_b32_e32 v130, v163, v166, vcc_lo
	s_waitcnt lgkmcnt(0)
	s_barrier
	v_exp_f32_e32 v162, v129
	v_sub_f32_e32 v135, v159, v136
	v_mul_f32_e32 v159, 0x3fb8aa3b, v161
	v_exp_f32_e32 v161, v167
	buffer_gl0_inv
	v_exp_f32_e32 v159, v159
	v_fmac_f32_e32 v142, v161, v131
	s_waitcnt_depctr 0xfff
	v_dual_mul_f32 v135, 0x3fb8aa3b, v135 :: v_dual_fmac_f32 v142, v159, v132
	s_delay_alu instid0(VALU_DEP_1) | instskip(SKIP_2) | instid1(VALU_DEP_1)
	v_exp_f32_e32 v160, v135
	s_waitcnt_depctr 0xfff
	v_dual_fmac_f32 v142, v160, v133 :: v_dual_lshlrev_b32 v133, 6, v140
	v_fmac_f32_e32 v142, v162, v134
	s_delay_alu instid0(VALU_DEP_2) | instskip(NEXT) | instid1(VALU_DEP_2)
	v_lshl_or_b32 v135, v141, 11, v133
	v_add_f32_e32 v134, 0x358637bd, v142
	s_delay_alu instid0(VALU_DEP_1) | instskip(SKIP_1) | instid1(VALU_DEP_2)
	v_div_scale_f32 v167, null, v134, v134, 1.0
	v_div_scale_f32 v163, vcc_lo, 1.0, v134, 1.0
	v_rcp_f32_e32 v168, v167
	s_waitcnt_depctr 0xfff
	v_fma_f32 v129, -v167, v168, 1.0
	s_delay_alu instid0(VALU_DEP_1) | instskip(SKIP_2) | instid1(VALU_DEP_2)
	v_fmac_f32_e32 v168, v129, v168
	v_cndmask_b32_e64 v129, v130, v165, s2
	v_cmp_eq_u32_e64 s2, 6, v141
	v_cndmask_b32_e64 v130, v129, v164, s3
	v_lshlrev_b32_e32 v129, 2, v138
	v_mul_f32_e32 v165, v163, v168
	s_delay_alu instid0(VALU_DEP_3) | instskip(NEXT) | instid1(VALU_DEP_3)
	v_cndmask_b32_e64 v161, v130, v161, s4
	v_or_b32_e32 v130, 1, v129
	s_delay_alu instid0(VALU_DEP_3)
	v_fma_f32 v131, -v167, v165, v163
	v_or_b32_e32 v132, 2, v129
	v_cmp_eq_u32_e64 s3, 1, v129
	v_cndmask_b32_e64 v141, v161, v159, s5
	v_cmp_eq_u32_e64 s8, 1, v130
	v_fmac_f32_e32 v165, v131, v168
	v_or_b32_e32 v131, 3, v129
	v_cmp_eq_u32_e64 s9, 1, v132
	v_cndmask_b32_e64 v141, v141, v160, s2
	v_cmp_eq_u32_e64 s4, 2, v129
	v_fma_f32 v159, -v167, v165, v163
	v_cmp_eq_u32_e64 s10, 1, v131
	v_cmp_eq_u32_e64 s15, 2, v131
	v_cndmask_b32_e64 v141, v141, v162, s6
	v_cmp_eq_u32_e64 s11, 2, v130
	v_div_fmas_f32 v159, v159, v168, v165
	v_cmp_eq_u32_e64 s17, 3, v131
	v_cmp_eq_u32_e32 vcc_lo, 3, v129
	v_cmp_eq_u32_e64 s12, 3, v130
	v_cmp_eq_u32_e64 s13, 2, v132
	v_div_fixup_f32 v159, v159, v134, 1.0
	v_lshl_or_b32 v134, v138, 4, v135
	v_cmp_eq_u32_e64 s21, 4, v131
	v_cmp_eq_u32_e64 s2, 4, v129
	v_cmp_eq_u32_e64 s16, 3, v132
	v_mul_f32_e32 v141, v141, v159
	v_cmp_eq_u32_e64 s18, 4, v130
	v_cmp_eq_u32_e64 s23, 5, v131
	;; [unrolled: 1-line block ×4, first 2 shown]
	v_fma_mixlo_f16 v159, v141, v144, 0
	v_fma_mixlo_f16 v160, v141, v146, 0
	;; [unrolled: 1-line block ×8, first 2 shown]
	v_fma_mixhi_f16 v159, v141, v143, 0
	v_fma_mixhi_f16 v160, v141, v145, 0
	;; [unrolled: 1-line block ×8, first 2 shown]
	ds_store_b128 v134, v[159:162]
	ds_store_b128 v134, v[163:166] offset:1024
	s_waitcnt lgkmcnt(0)
	s_barrier
	buffer_gl0_inv
	ds_load_b128 v[143:146], v135
	ds_load_b128 v[147:150], v135 offset:16
	ds_load_b128 v[151:154], v135 offset:1024
	ds_load_b128 v[155:158], v135 offset:1040
	v_cmp_eq_u32_e64 s20, 4, v132
	v_cmp_eq_u32_e64 s26, 6, v131
	;; [unrolled: 1-line block ×10, first 2 shown]
	s_waitcnt lgkmcnt(3)
	v_lshrrev_b32_e32 v141, 16, v143
	s_waitcnt lgkmcnt(2)
	v_lshrrev_b32_e32 v162, 16, v147
	v_lshrrev_b32_e32 v159, 16, v144
	;; [unrolled: 1-line block ×3, first 2 shown]
	s_waitcnt lgkmcnt(1)
	v_lshrrev_b32_e32 v166, 16, v151
	v_cndmask_b32_e64 v174, v143, v141, s3
	v_cndmask_b32_e64 v176, v143, v141, s8
	;; [unrolled: 1-line block ×5, first 2 shown]
	s_waitcnt lgkmcnt(0)
	v_lshrrev_b32_e32 v170, 16, v155
	v_cndmask_b32_e64 v175, v147, v162, s3
	v_cndmask_b32_e64 v177, v147, v162, s8
	;; [unrolled: 1-line block ×19, first 2 shown]
	v_lshrrev_b32_e32 v160, 16, v145
	v_lshrrev_b32_e32 v164, 16, v149
	;; [unrolled: 1-line block ×4, first 2 shown]
	v_cndmask_b32_e64 v176, v178, v144, s13
	v_cndmask_b32_e64 v177, v179, v148, s13
	;; [unrolled: 1-line block ×8, first 2 shown]
	v_cndmask_b32_e32 v155, v166, v159, vcc_lo
	v_cndmask_b32_e32 v166, v170, v163, vcc_lo
	v_cndmask_b32_e64 v170, v174, v159, s12
	v_cndmask_b32_e64 v174, v175, v163, s12
	;; [unrolled: 1-line block ×6, first 2 shown]
	v_cndmask_b32_e32 v144, v144, v167, vcc_lo
	v_cndmask_b32_e32 v147, v147, v171, vcc_lo
	v_cndmask_b32_e64 v148, v148, v167, s12
	v_cndmask_b32_e64 v155, v155, v145, s2
	;; [unrolled: 1-line block ×7, first 2 shown]
	v_lshrrev_b32_e32 v161, 16, v146
	v_lshrrev_b32_e32 v165, 16, v150
	v_lshrrev_b32_e32 v168, 16, v153
	v_lshrrev_b32_e32 v172, 16, v157
	v_cndmask_b32_e64 v170, v175, v145, s20
	v_cndmask_b32_e64 v174, v176, v149, s20
	;; [unrolled: 1-line block ×22, first 2 shown]
	v_lshrrev_b32_e32 v169, 16, v154
	v_cndmask_b32_e64 v160, v163, v146, s25
	v_cndmask_b32_e64 v163, v166, v150, s25
	;; [unrolled: 1-line block ×9, first 2 shown]
	v_perm_b32 v146, v143, v141, 0x5040100
	v_cndmask_b32_e64 v141, v183, v156, s13
	v_cndmask_b32_e64 v143, v181, v156, s11
	;; [unrolled: 1-line block ×4, first 2 shown]
	v_perm_b32 v144, v159, v149, 0x5040100
	v_cndmask_b32_e64 v149, v162, v167, s16
	v_cndmask_b32_e64 v151, v151, v167, s17
	;; [unrolled: 1-line block ×15, first 2 shown]
	v_lshrrev_b32_e32 v173, 16, v158
	v_cndmask_b32_e64 v149, v149, v154, s25
	v_cndmask_b32_e64 v151, v151, v154, s26
	;; [unrolled: 1-line block ×13, first 2 shown]
	v_perm_b32 v145, v160, v155, 0x5040100
	v_perm_b32 v143, v148, v147, 0x5040100
	;; [unrolled: 1-line block ×6, first 2 shown]
	s_mul_i32 s6, s33, 6
	s_mov_b32 s2, exec_lo
	ds_store_b128 v134, v[143:146]
	ds_store_b128 v134, v[147:150] offset:1024
	v_cmpx_gt_u32_e32 6, v0
	s_cbranch_execz .LBB199_14
; %bb.13:
	s_mul_i32 s3, s6, s30
	s_load_b128 s[8:11], s[0:1], 0x58
	v_add3_u32 v143, s3, s31, v140
	s_delay_alu instid0(VALU_DEP_1) | instskip(NEXT) | instid1(VALU_DEP_1)
	v_mad_u64_u32 v[140:141], null, v143, s34, s[14:15]
	v_ashrrev_i32_e32 v141, 31, v140
	s_delay_alu instid0(VALU_DEP_1) | instskip(SKIP_1) | instid1(VALU_DEP_1)
	v_lshlrev_b64 v[140:141], 2, v[140:141]
	s_waitcnt lgkmcnt(0)
	v_add_co_u32 v143, vcc_lo, s10, v140
	s_delay_alu instid0(VALU_DEP_2)
	v_add_co_ci_u32_e32 v144, vcc_lo, s11, v141, vcc_lo
	v_add_co_u32 v140, vcc_lo, s8, v140
	v_add_co_ci_u32_e32 v141, vcc_lo, s9, v141, vcc_lo
	global_store_b32 v[143:144], v136, off
	global_store_b32 v[140:141], v142, off
.LBB199_14:
	s_or_b32 exec_lo, exec_lo, s2
	s_waitcnt lgkmcnt(0)
	s_waitcnt_vscnt null, 0x0
	s_barrier
	buffer_gl0_inv
	ds_load_b128 v[148:151], v133
	ds_load_b128 v[152:155], v133 offset:16
	ds_load_b128 v[160:163], v133 offset:1040
	ds_load_b128 v[156:159], v133 offset:1024
	ds_load_b128 v[168:171], v133 offset:2064
	ds_load_b128 v[164:167], v133 offset:2048
	v_cmp_eq_u32_e32 vcc_lo, 1, v132
	v_mov_b32_e32 v140, 0
	ds_load_b128 v[176:179], v133 offset:3088
	ds_load_b128 v[172:175], v133 offset:3072
	;; [unrolled: 1-line block ×4, first 2 shown]
	v_cmp_eq_u32_e64 s2, 1, v129
	v_cmp_eq_u32_e64 s3, 1, v131
	v_cmp_eq_u32_e64 s4, 1, v130
	v_mov_b32_e32 v141, v140
	v_mov_b32_e32 v142, v140
	;; [unrolled: 1-line block ×7, first 2 shown]
	v_cmp_eq_u32_e64 s5, 2, v129
	s_waitcnt lgkmcnt(8)
	s_delay_alu instid0(VALU_DEP_2)
	v_wmma_f32_16x16x16_f16 v[140:147], v[121:128], v[148:155], v[140:147]
	ds_load_b128 v[125:128], v133 offset:5136
	ds_load_b128 v[121:124], v133 offset:5120
	s_waitcnt lgkmcnt(8)
	v_wmma_f32_16x16x16_f16 v[140:147], v[113:120], v[156:163], v[140:147]
	ds_load_b128 v[117:120], v133 offset:6160
	ds_load_b128 v[113:116], v133 offset:6144
	s_waitcnt lgkmcnt(8)
	;; [unrolled: 4-line block ×11, first 2 shown]
	s_barrier
	buffer_gl0_inv
	v_wmma_f32_16x16x16_f16 v[140:147], v[1:8], v[73:80], v[140:147]
	s_delay_alu instid0(VALU_DEP_1) | instskip(NEXT) | instid1(VALU_DEP_1)
	v_wmma_f32_16x16x16_f16 v[140:147], v[9:16], v[65:72], v[140:147]
	v_wmma_f32_16x16x16_f16 v[140:147], v[33:40], v[57:64], v[140:147]
	s_delay_alu instid0(VALU_DEP_1) | instskip(NEXT) | instid1(VALU_DEP_1)
	v_wmma_f32_16x16x16_f16 v[140:147], v[41:48], v[49:56], v[140:147]
	v_wmma_f32_16x16x16_f16 v[140:147], v[17:24], v[25:32], v[140:147]
	s_delay_alu instid0(VALU_DEP_1) | instskip(NEXT) | instid1(VALU_DEP_2)
	v_cvt_f16_f32_e64 v1, v140
	v_cvt_f16_f32_e64 v2, v141
	s_delay_alu instid0(VALU_DEP_3) | instskip(NEXT) | instid1(VALU_DEP_4)
	v_cvt_f16_f32_e64 v3, v142
	v_cvt_f16_f32_e64 v4, v143
	;; [unrolled: 1-line block ×6, first 2 shown]
	v_pack_b32_f16 v1, v1, v2
	v_pack_b32_f16 v2, v3, v4
	;; [unrolled: 1-line block ×3, first 2 shown]
	s_delay_alu instid0(VALU_DEP_4)
	v_pack_b32_f16 v4, v7, v8
	ds_store_b128 v134, v[1:4]
	s_waitcnt lgkmcnt(0)
	s_barrier
	buffer_gl0_inv
	ds_load_b128 v[1:4], v135
	ds_load_b128 v[5:8], v135 offset:16
	s_waitcnt lgkmcnt(1)
	v_lshrrev_b32_e32 v9, 16, v1
	s_waitcnt lgkmcnt(0)
	v_lshrrev_b32_e32 v13, 16, v5
	v_lshrrev_b32_e32 v10, 16, v2
	v_lshrrev_b32_e32 v14, 16, v6
	v_lshrrev_b32_e32 v11, 16, v3
	v_cndmask_b32_e64 v17, v1, v9, s2
	v_cndmask_b32_e64 v18, v5, v13, s2
	;; [unrolled: 1-line block ×3, first 2 shown]
	v_cmp_eq_u32_e64 s2, 2, v130
	v_cndmask_b32_e64 v20, v5, v13, s4
	v_cndmask_b32_e32 v21, v1, v9, vcc_lo
	v_cndmask_b32_e32 v22, v5, v13, vcc_lo
	v_cndmask_b32_e64 v1, v1, v9, s3
	v_cndmask_b32_e64 v5, v5, v13, s3
	v_cmp_eq_u32_e32 vcc_lo, 2, v132
	v_cmp_eq_u32_e64 s3, 2, v131
	v_cndmask_b32_e64 v9, v17, v2, s5
	v_cndmask_b32_e64 v13, v18, v6, s5
	;; [unrolled: 1-line block ×4, first 2 shown]
	v_cndmask_b32_e32 v19, v21, v2, vcc_lo
	v_cmp_eq_u32_e64 s2, 3, v132
	v_cndmask_b32_e32 v20, v22, v6, vcc_lo
	v_cndmask_b32_e64 v1, v1, v2, s3
	v_cmp_eq_u32_e32 vcc_lo, 3, v131
	v_cmp_eq_u32_e64 s4, 3, v129
	v_cndmask_b32_e64 v2, v5, v6, s3
	v_cmp_eq_u32_e64 s3, 3, v130
	v_cmp_eq_u32_e64 s5, 4, v129
	v_cndmask_b32_e32 v1, v1, v10, vcc_lo
	v_cndmask_b32_e64 v5, v9, v10, s4
	v_cndmask_b32_e64 v6, v13, v14, s4
	;; [unrolled: 1-line block ×3, first 2 shown]
	v_cmp_eq_u32_e64 s4, 4, v130
	v_cndmask_b32_e64 v13, v18, v14, s3
	v_cndmask_b32_e64 v17, v19, v10, s2
	;; [unrolled: 1-line block ×3, first 2 shown]
	v_cndmask_b32_e32 v2, v2, v14, vcc_lo
	v_cmp_eq_u32_e32 vcc_lo, 4, v132
	v_cmp_eq_u32_e64 s3, 4, v131
	v_lshrrev_b32_e32 v15, 16, v7
	v_cndmask_b32_e64 v5, v5, v3, s5
	v_cndmask_b32_e64 v6, v6, v7, s5
	v_cndmask_b32_e32 v14, v18, v7, vcc_lo
	v_cndmask_b32_e64 v9, v9, v3, s4
	v_cndmask_b32_e64 v10, v13, v7, s4
	v_cndmask_b32_e32 v13, v17, v3, vcc_lo
	v_cmp_eq_u32_e64 s2, 5, v132
	v_cndmask_b32_e64 v1, v1, v3, s3
	v_cmp_eq_u32_e32 vcc_lo, 5, v131
	v_cmp_eq_u32_e64 s4, 5, v129
	v_cndmask_b32_e64 v2, v2, v7, s3
	v_cmp_eq_u32_e64 s3, 5, v130
	v_cmp_eq_u32_e64 s5, 6, v129
	v_lshrrev_b32_e32 v12, 16, v4
	v_cndmask_b32_e64 v3, v5, v11, s4
	v_cndmask_b32_e64 v5, v6, v15, s4
	;; [unrolled: 1-line block ×3, first 2 shown]
	v_cmp_eq_u32_e64 s4, 6, v130
	v_cndmask_b32_e64 v7, v10, v15, s3
	v_cndmask_b32_e64 v9, v13, v11, s2
	;; [unrolled: 1-line block ×3, first 2 shown]
	v_cndmask_b32_e32 v1, v1, v11, vcc_lo
	v_cndmask_b32_e32 v2, v2, v15, vcc_lo
	v_cmp_eq_u32_e32 vcc_lo, 6, v132
	v_cmp_eq_u32_e64 s2, 6, v131
	v_lshrrev_b32_e32 v16, 16, v8
	v_cndmask_b32_e64 v3, v3, v4, s5
	v_cndmask_b32_e64 v5, v5, v8, s5
	v_cndmask_b32_e32 v9, v9, v4, vcc_lo
	v_cndmask_b32_e64 v6, v6, v4, s4
	v_cndmask_b32_e64 v7, v7, v8, s4
	v_cmp_eq_u32_e64 s3, 7, v132
	v_cndmask_b32_e32 v10, v10, v8, vcc_lo
	v_cndmask_b32_e64 v1, v1, v4, s2
	v_cmp_eq_u32_e32 vcc_lo, 7, v131
	v_cndmask_b32_e64 v2, v2, v8, s2
	v_cmp_eq_u32_e64 s2, 7, v129
	v_cmp_eq_u32_e64 s4, 7, v130
	v_cndmask_b32_e32 v1, v1, v12, vcc_lo
	s_delay_alu instid0(VALU_DEP_4) | instskip(NEXT) | instid1(VALU_DEP_4)
	v_cndmask_b32_e32 v2, v2, v16, vcc_lo
	v_cndmask_b32_e64 v8, v3, v12, s2
	s_delay_alu instid0(VALU_DEP_4)
	v_cndmask_b32_e64 v6, v6, v12, s4
	v_cndmask_b32_e64 v3, v9, v12, s3
	;; [unrolled: 1-line block ×5, first 2 shown]
	v_perm_b32 v4, v2, v1, 0x5040100
	s_mov_b32 s2, exec_lo
	v_perm_b32 v3, v9, v3, 0x5040100
	v_perm_b32 v2, v7, v6, 0x5040100
	;; [unrolled: 1-line block ×3, first 2 shown]
	ds_store_b128 v134, v[1:4]
	s_waitcnt lgkmcnt(0)
	s_barrier
	buffer_gl0_inv
	v_cmpx_gt_u32_e32 32, v0
	s_cbranch_execz .LBB199_2
; %bb.15:
	s_load_b64 s[0:1], s[0:1], 0x68
	s_lshl_b32 s4, s34, 7
	v_or_b32_e32 v3, s31, v138
	s_mul_i32 s2, s4, s30
	v_lshlrev_b32_e32 v0, 10, v0
	s_mul_i32 s2, s2, s6
	v_lshlrev_b32_e32 v1, 4, v139
	s_ashr_i32 s3, s2, 31
	v_mul_lo_u32 v12, v3, s4
	s_lshl_b64 s[2:3], s[2:3], 1
	v_lshlrev_b32_e32 v2, 6, v138
	v_and_b32_e32 v0, 0x3800, v0
	s_delay_alu instid0(VALU_DEP_1) | instskip(NEXT) | instid1(VALU_DEP_4)
	v_or3_b32 v8, v0, v1, v2
	v_ashrrev_i32_e32 v13, 31, v12
	ds_load_b128 v[0:3], v8
	ds_load_b128 v[4:7], v8 offset:128
	ds_load_b128 v[8:11], v8 offset:256
	s_waitcnt lgkmcnt(0)
	s_add_u32 s2, s0, s2
	s_addc_u32 s3, s1, s3
	s_lshl_b32 s0, s14, 7
	s_delay_alu instid0(SALU_CYCLE_1) | instskip(NEXT) | instid1(SALU_CYCLE_1)
	s_ashr_i32 s1, s0, 31
	s_lshl_b64 s[0:1], s[0:1], 1
	s_delay_alu instid0(SALU_CYCLE_1)
	s_add_u32 s0, s2, s0
	s_addc_u32 s1, s3, s1
	s_lshl_b32 s2, s34, 8
	v_add_co_u32 v18, s0, s0, v137
	v_add_nc_u32_e32 v14, s2, v12
	v_lshlrev_b64 v[12:13], 1, v[12:13]
	v_add_co_ci_u32_e64 v19, null, s1, 0, s0
	s_delay_alu instid0(VALU_DEP_3) | instskip(SKIP_1) | instid1(VALU_DEP_4)
	v_add_nc_u32_e32 v16, s2, v14
	v_ashrrev_i32_e32 v15, 31, v14
	v_add_co_u32 v12, vcc_lo, v18, v12
	s_delay_alu instid0(VALU_DEP_4) | instskip(NEXT) | instid1(VALU_DEP_4)
	v_add_co_ci_u32_e32 v13, vcc_lo, v19, v13, vcc_lo
	v_ashrrev_i32_e32 v17, 31, v16
	s_delay_alu instid0(VALU_DEP_4) | instskip(NEXT) | instid1(VALU_DEP_2)
	v_lshlrev_b64 v[14:15], 1, v[14:15]
	v_lshlrev_b64 v[16:17], 1, v[16:17]
	s_delay_alu instid0(VALU_DEP_2) | instskip(NEXT) | instid1(VALU_DEP_3)
	v_add_co_u32 v14, vcc_lo, v18, v14
	v_add_co_ci_u32_e32 v15, vcc_lo, v19, v15, vcc_lo
	s_delay_alu instid0(VALU_DEP_3) | instskip(NEXT) | instid1(VALU_DEP_4)
	v_add_co_u32 v16, vcc_lo, v18, v16
	v_add_co_ci_u32_e32 v17, vcc_lo, v19, v17, vcc_lo
	s_clause 0x2
	global_store_b128 v[12:13], v[0:3], off
	global_store_b128 v[14:15], v[4:7], off
	;; [unrolled: 1-line block ×3, first 2 shown]
	s_nop 0
	s_sendmsg sendmsg(MSG_DEALLOC_VGPRS)
	s_endpgm
	.section	.rodata,"a",@progbits
	.p2align	6, 0x0
	.amdhsa_kernel _Z39paged_attention_ll4mi_QKV_mfma16_kernelIDF16_DF16_LN4vllm18Fp8KVCacheDataTypeE0EhLi16ELi128ELi256ELb1ELi6EL8MFMAType0EEvPKT_PKT0_S8_ifPKiSA_SA_iPKfiiiPfSD_PS3_PT2_iSC_SC_
		.amdhsa_group_segment_fixed_size 17472
		.amdhsa_private_segment_fixed_size 0
		.amdhsa_kernarg_size 400
		.amdhsa_user_sgpr_count 13
		.amdhsa_user_sgpr_dispatch_ptr 0
		.amdhsa_user_sgpr_queue_ptr 0
		.amdhsa_user_sgpr_kernarg_segment_ptr 1
		.amdhsa_user_sgpr_dispatch_id 0
		.amdhsa_user_sgpr_private_segment_size 0
		.amdhsa_wavefront_size32 1
		.amdhsa_uses_dynamic_stack 0
		.amdhsa_enable_private_segment 0
		.amdhsa_system_sgpr_workgroup_id_x 1
		.amdhsa_system_sgpr_workgroup_id_y 1
		.amdhsa_system_sgpr_workgroup_id_z 1
		.amdhsa_system_sgpr_workgroup_info 0
		.amdhsa_system_vgpr_workitem_id 0
		.amdhsa_next_free_vgpr 218
		.amdhsa_next_free_sgpr 52
		.amdhsa_reserve_vcc 1
		.amdhsa_float_round_mode_32 0
		.amdhsa_float_round_mode_16_64 0
		.amdhsa_float_denorm_mode_32 3
		.amdhsa_float_denorm_mode_16_64 3
		.amdhsa_dx10_clamp 1
		.amdhsa_ieee_mode 1
		.amdhsa_fp16_overflow 0
		.amdhsa_workgroup_processor_mode 1
		.amdhsa_memory_ordered 1
		.amdhsa_forward_progress 0
		.amdhsa_shared_vgpr_count 0
		.amdhsa_exception_fp_ieee_invalid_op 0
		.amdhsa_exception_fp_denorm_src 0
		.amdhsa_exception_fp_ieee_div_zero 0
		.amdhsa_exception_fp_ieee_overflow 0
		.amdhsa_exception_fp_ieee_underflow 0
		.amdhsa_exception_fp_ieee_inexact 0
		.amdhsa_exception_int_div_zero 0
	.end_amdhsa_kernel
	.section	.text._Z39paged_attention_ll4mi_QKV_mfma16_kernelIDF16_DF16_LN4vllm18Fp8KVCacheDataTypeE0EhLi16ELi128ELi256ELb1ELi6EL8MFMAType0EEvPKT_PKT0_S8_ifPKiSA_SA_iPKfiiiPfSD_PS3_PT2_iSC_SC_,"axG",@progbits,_Z39paged_attention_ll4mi_QKV_mfma16_kernelIDF16_DF16_LN4vllm18Fp8KVCacheDataTypeE0EhLi16ELi128ELi256ELb1ELi6EL8MFMAType0EEvPKT_PKT0_S8_ifPKiSA_SA_iPKfiiiPfSD_PS3_PT2_iSC_SC_,comdat
.Lfunc_end199:
	.size	_Z39paged_attention_ll4mi_QKV_mfma16_kernelIDF16_DF16_LN4vllm18Fp8KVCacheDataTypeE0EhLi16ELi128ELi256ELb1ELi6EL8MFMAType0EEvPKT_PKT0_S8_ifPKiSA_SA_iPKfiiiPfSD_PS3_PT2_iSC_SC_, .Lfunc_end199-_Z39paged_attention_ll4mi_QKV_mfma16_kernelIDF16_DF16_LN4vllm18Fp8KVCacheDataTypeE0EhLi16ELi128ELi256ELb1ELi6EL8MFMAType0EEvPKT_PKT0_S8_ifPKiSA_SA_iPKfiiiPfSD_PS3_PT2_iSC_SC_
                                        ; -- End function
	.section	.AMDGPU.csdata,"",@progbits
; Kernel info:
; codeLenInByte = 8040
; NumSgprs: 54
; NumVgprs: 218
; ScratchSize: 0
; MemoryBound: 0
; FloatMode: 240
; IeeeMode: 1
; LDSByteSize: 17472 bytes/workgroup (compile time only)
; SGPRBlocks: 6
; VGPRBlocks: 27
; NumSGPRsForWavesPerEU: 54
; NumVGPRsForWavesPerEU: 218
; Occupancy: 6
; WaveLimiterHint : 1
; COMPUTE_PGM_RSRC2:SCRATCH_EN: 0
; COMPUTE_PGM_RSRC2:USER_SGPR: 13
; COMPUTE_PGM_RSRC2:TRAP_HANDLER: 0
; COMPUTE_PGM_RSRC2:TGID_X_EN: 1
; COMPUTE_PGM_RSRC2:TGID_Y_EN: 1
; COMPUTE_PGM_RSRC2:TGID_Z_EN: 1
; COMPUTE_PGM_RSRC2:TIDIG_COMP_CNT: 0
	.section	.text._Z39paged_attention_ll4mi_QKV_mfma16_kernelIDF16_DF16_LN4vllm18Fp8KVCacheDataTypeE0EhLi16ELi128ELi256ELb1ELi7EL8MFMAType0EEvPKT_PKT0_S8_ifPKiSA_SA_iPKfiiiPfSD_PS3_PT2_iSC_SC_,"axG",@progbits,_Z39paged_attention_ll4mi_QKV_mfma16_kernelIDF16_DF16_LN4vllm18Fp8KVCacheDataTypeE0EhLi16ELi128ELi256ELb1ELi7EL8MFMAType0EEvPKT_PKT0_S8_ifPKiSA_SA_iPKfiiiPfSD_PS3_PT2_iSC_SC_,comdat
	.protected	_Z39paged_attention_ll4mi_QKV_mfma16_kernelIDF16_DF16_LN4vllm18Fp8KVCacheDataTypeE0EhLi16ELi128ELi256ELb1ELi7EL8MFMAType0EEvPKT_PKT0_S8_ifPKiSA_SA_iPKfiiiPfSD_PS3_PT2_iSC_SC_ ; -- Begin function _Z39paged_attention_ll4mi_QKV_mfma16_kernelIDF16_DF16_LN4vllm18Fp8KVCacheDataTypeE0EhLi16ELi128ELi256ELb1ELi7EL8MFMAType0EEvPKT_PKT0_S8_ifPKiSA_SA_iPKfiiiPfSD_PS3_PT2_iSC_SC_
	.globl	_Z39paged_attention_ll4mi_QKV_mfma16_kernelIDF16_DF16_LN4vllm18Fp8KVCacheDataTypeE0EhLi16ELi128ELi256ELb1ELi7EL8MFMAType0EEvPKT_PKT0_S8_ifPKiSA_SA_iPKfiiiPfSD_PS3_PT2_iSC_SC_
	.p2align	8
	.type	_Z39paged_attention_ll4mi_QKV_mfma16_kernelIDF16_DF16_LN4vllm18Fp8KVCacheDataTypeE0EhLi16ELi128ELi256ELb1ELi7EL8MFMAType0EEvPKT_PKT0_S8_ifPKiSA_SA_iPKfiiiPfSD_PS3_PT2_iSC_SC_,@function
_Z39paged_attention_ll4mi_QKV_mfma16_kernelIDF16_DF16_LN4vllm18Fp8KVCacheDataTypeE0EhLi16ELi128ELi256ELb1ELi7EL8MFMAType0EEvPKT_PKT0_S8_ifPKiSA_SA_iPKfiiiPfSD_PS3_PT2_iSC_SC_: ; @_Z39paged_attention_ll4mi_QKV_mfma16_kernelIDF16_DF16_LN4vllm18Fp8KVCacheDataTypeE0EhLi16ELi128ELi256ELb1ELi7EL8MFMAType0EEvPKT_PKT0_S8_ifPKiSA_SA_iPKfiiiPfSD_PS3_PT2_iSC_SC_
; %bb.0:
	s_load_b64 s[4:5], s[0:1], 0x30
	s_mov_b32 s34, s13
	s_waitcnt lgkmcnt(0)
	s_cmp_lg_u64 s[4:5], 0
	s_cselect_b32 s8, -1, 0
	s_ashr_i32 s35, s13, 31
	s_cmp_eq_u64 s[4:5], 0
	s_cbranch_scc1 .LBB200_3
; %bb.1:
	s_lshl_b64 s[2:3], s[34:35], 2
	s_delay_alu instid0(SALU_CYCLE_1) | instskip(SKIP_4) | instid1(SALU_CYCLE_1)
	s_add_u32 s2, s4, s2
	s_addc_u32 s3, s5, s3
	s_load_b64 s[2:3], s[2:3], 0x0
	s_waitcnt lgkmcnt(0)
	s_sub_i32 s2, s3, s2
	s_cmp_eq_u32 s2, 1
	s_cselect_b32 s2, -1, 0
	s_delay_alu instid0(SALU_CYCLE_1)
	s_and_not1_b32 vcc_lo, exec_lo, s2
	s_cbranch_vccz .LBB200_4
.LBB200_2:
	s_nop 0
	s_sendmsg sendmsg(MSG_DEALLOC_VGPRS)
	s_endpgm
.LBB200_3:
.LBB200_4:
	s_load_b64 s[2:3], s[0:1], 0x28
	s_lshl_b64 s[6:7], s[34:35], 2
	s_waitcnt lgkmcnt(0)
	s_add_u32 s2, s2, s6
	s_addc_u32 s3, s3, s7
	s_lshl_b32 s29, s14, 8
	s_load_b32 s28, s[2:3], 0x0
	s_waitcnt lgkmcnt(0)
	s_cmp_ge_i32 s29, s28
	s_cbranch_scc1 .LBB200_2
; %bb.5:
	s_clause 0x1
	s_load_b128 s[20:23], s[0:1], 0x8
	s_load_b64 s[2:3], s[0:1], 0x20
	s_and_not1_b32 vcc_lo, exec_lo, s8
	s_cbranch_vccnz .LBB200_7
; %bb.6:
	s_add_u32 s4, s4, s6
	s_addc_u32 s5, s5, s7
	s_load_b32 s5, s[4:5], 0x0
	s_branch .LBB200_8
.LBB200_7:
	s_mov_b32 s5, s34
.LBB200_8:
	s_load_b128 s[16:19], s[0:1], 0x48
	v_and_b32_e32 v140, 15, v0
	v_lshrrev_b32_e32 v141, 5, v0
	v_bfe_u32 v138, v0, 4, 1
	v_and_b32_e32 v142, 31, v0
	v_and_b32_e32 v139, 1, v0
	v_lshlrev_b32_e32 v2, 3, v140
	s_mul_i32 s31, s15, 7
	v_lshl_or_b32 v1, v141, 1, v138
	s_mov_b32 s4, exec_lo
	s_delay_alu instid0(VALU_DEP_2) | instskip(NEXT) | instid1(VALU_DEP_2)
	v_lshlrev_b32_e32 v137, 1, v2
	v_cmpx_gt_u32_e32 7, v1
	s_cbranch_execz .LBB200_10
; %bb.9:
	s_load_b64 s[6:7], s[0:1], 0x0
	v_add_lshl_u32 v2, v1, s31, 7
	s_waitcnt lgkmcnt(0)
	s_mul_hi_i32 s9, s5, s16
	s_mul_i32 s8, s5, s16
	v_lshlrev_b32_e32 v6, 10, v140
	s_lshl_b64 s[8:9], s[8:9], 1
	v_ashrrev_i32_e32 v3, 31, v2
	v_lshlrev_b32_e32 v1, 6, v1
	v_lshlrev_b32_e32 v7, 10, v139
	v_and_b32_e32 v6, 0x3800, v6
	s_delay_alu instid0(VALU_DEP_4) | instskip(NEXT) | instid1(VALU_DEP_2)
	v_lshlrev_b64 v[2:3], 1, v[2:3]
	v_or3_b32 v1, v6, v7, v1
	s_add_u32 s5, s6, s8
	s_addc_u32 s6, s7, s9
	s_delay_alu instid0(VALU_DEP_2) | instskip(NEXT) | instid1(VALU_DEP_3)
	v_add_co_u32 v2, vcc_lo, s5, v2
	v_add_co_ci_u32_e32 v3, vcc_lo, s6, v3, vcc_lo
	s_delay_alu instid0(VALU_DEP_2) | instskip(NEXT) | instid1(VALU_DEP_2)
	v_add_co_u32 v2, vcc_lo, v2, v137
	v_add_co_ci_u32_e32 v3, vcc_lo, 0, v3, vcc_lo
	global_load_b128 v[2:5], v[2:3], off
	s_waitcnt vmcnt(0)
	ds_store_b128 v1, v[2:5]
.LBB200_10:
	s_or_b32 exec_lo, exec_lo, s4
	v_and_b32_e32 v1, 0xef, v0
	s_waitcnt lgkmcnt(0)
	s_add_i32 s5, s28, 15
	s_clause 0x1
	s_load_b32 s4, s[0:1], 0x38
	s_load_b32 s33, s[0:1], 0x98
	s_ashr_i32 s6, s5, 31
	v_add_nc_u32_e32 v1, s29, v1
	s_lshr_b32 s6, s6, 28
	s_load_b32 s30, s[0:1], 0x1c
	s_add_i32 s5, s5, s6
	s_waitcnt lgkmcnt(0)
	v_ashrrev_i32_e32 v2, 31, v1
	v_cmp_gt_i32_e32 vcc_lo, s28, v1
	s_ashr_i32 s16, s5, 4
	s_barrier
	s_add_i32 s16, s16, -1
	v_lshrrev_b32_e32 v3, 28, v2
	v_or_b32_e32 v2, 16, v1
	buffer_gl0_inv
	v_mul_lo_u16 v105, v140, 37
	v_lshlrev_b32_e32 v106, 5, v140
	v_add_nc_u32_e32 v4, v1, v3
	v_add_nc_u32_e32 v3, v2, v3
	s_mul_i32 s4, s34, s4
	v_lshrrev_b16 v105, 8, v105
	s_ashr_i32 s5, s4, 31
	v_ashrrev_i32_e32 v4, 4, v4
	v_ashrrev_i32_e32 v3, 4, v3
	s_lshl_b64 s[4:5], s[4:5], 2
	v_mul_lo_u16 v105, v105, 7
	s_add_u32 s35, s2, s4
	v_cndmask_b32_e32 v1, s16, v4, vcc_lo
	v_cmp_gt_i32_e32 vcc_lo, s28, v2
	s_addc_u32 s36, s3, s5
	s_mul_i32 s2, s15, s18
	v_sub_nc_u16 v105, v140, v105
	v_ashrrev_i32_e32 v2, 31, v1
	v_cndmask_b32_e32 v3, s16, v3, vcc_lo
	s_ashr_i32 s3, s2, 31
	v_lshl_or_b32 v125, v141, 9, v106
	s_lshl_b64 s[2:3], s[2:3], 1
	v_lshlrev_b64 v[1:2], 2, v[1:2]
	v_ashrrev_i32_e32 v4, 31, v3
	s_add_u32 s24, s20, s2
	s_addc_u32 s25, s21, s3
	s_lshl_b32 s4, s14, 4
	v_and_b32_e32 v105, 0xff, v105
	v_lshlrev_b64 v[3:4], 2, v[3:4]
	v_add_co_u32 v1, vcc_lo, s35, v1
	v_add_co_ci_u32_e32 v2, vcc_lo, s36, v2, vcc_lo
	s_ashr_i32 s5, s4, 31
	s_delay_alu instid0(VALU_DEP_3) | instskip(NEXT) | instid1(VALU_DEP_4)
	v_add_co_u32 v3, vcc_lo, s35, v3
	v_add_co_ci_u32_e32 v4, vcc_lo, s36, v4, vcc_lo
	s_lshl_b64 s[4:5], s[4:5], 2
	s_clause 0x1
	global_load_b32 v5, v[1:2], off
	global_load_b32 v6, v[3:4], off
	s_add_u32 s4, s35, s4
	s_addc_u32 s5, s36, s5
	s_or_b32 s6, s29, 16
	v_lshlrev_b32_e32 v3, 4, v0
	s_ashr_i32 s7, s6, 4
	s_cmp_lt_i32 s6, s28
	v_lshlrev_b32_e32 v215, 6, v105
	s_cselect_b32 s6, s7, s16
	s_delay_alu instid0(SALU_CYCLE_1) | instskip(NEXT) | instid1(SALU_CYCLE_1)
	s_ashr_i32 s7, s6, 31
	s_lshl_b64 s[6:7], s[6:7], 2
	s_delay_alu instid0(SALU_CYCLE_1) | instskip(SKIP_2) | instid1(SALU_CYCLE_1)
	s_add_u32 s6, s35, s6
	s_addc_u32 s7, s36, s7
	s_or_b32 s8, s29, 32
	s_ashr_i32 s9, s8, 4
	s_cmp_lt_i32 s8, s28
	s_cselect_b32 s8, s9, s16
	s_delay_alu instid0(SALU_CYCLE_1) | instskip(NEXT) | instid1(SALU_CYCLE_1)
	s_ashr_i32 s9, s8, 31
	s_lshl_b64 s[8:9], s[8:9], 2
	s_delay_alu instid0(SALU_CYCLE_1) | instskip(SKIP_2) | instid1(SALU_CYCLE_1)
	s_add_u32 s8, s35, s8
	s_addc_u32 s9, s36, s9
	s_or_b32 s10, s29, 48
	s_ashr_i32 s11, s10, 4
	s_cmp_lt_i32 s10, s28
	;; [unrolled: 10-line block ×4, first 2 shown]
	s_cselect_b32 s12, s13, s16
	s_delay_alu instid0(SALU_CYCLE_1) | instskip(NEXT) | instid1(SALU_CYCLE_1)
	s_ashr_i32 s13, s12, 31
	s_lshl_b64 s[12:13], s[12:13], 2
	s_delay_alu instid0(SALU_CYCLE_1)
	s_add_u32 s20, s35, s12
	s_addc_u32 s21, s36, s13
	s_clause 0x5
	s_load_b32 s39, s[4:5], 0x0
	s_load_b32 s38, s[6:7], 0x0
	;; [unrolled: 1-line block ×6, first 2 shown]
	s_waitcnt vmcnt(1)
	v_mad_i64_i32 v[1:2], null, v5, s17, 0
	v_and_b32_e32 v5, 0xf0, v3
	s_waitcnt vmcnt(0)
	v_mad_i64_i32 v[3:4], null, v6, s17, 0
	s_delay_alu instid0(VALU_DEP_2) | instskip(NEXT) | instid1(VALU_DEP_4)
	v_add_co_u32 v5, s4, s24, v5
	v_lshlrev_b64 v[1:2], 1, v[1:2]
	v_add_co_ci_u32_e64 v6, null, s25, 0, s4
	s_delay_alu instid0(VALU_DEP_4) | instskip(SKIP_1) | instid1(VALU_DEP_3)
	v_lshlrev_b64 v[3:4], 1, v[3:4]
	s_or_b32 s4, s29, 0x60
	v_add_co_u32 v121, vcc_lo, v5, v1
	s_delay_alu instid0(VALU_DEP_3) | instskip(NEXT) | instid1(VALU_DEP_3)
	v_add_co_ci_u32_e32 v122, vcc_lo, v6, v2, vcc_lo
	v_add_co_u32 v123, vcc_lo, v5, v3
	s_delay_alu instid0(VALU_DEP_4)
	v_add_co_ci_u32_e32 v124, vcc_lo, v6, v4, vcc_lo
	s_clause 0x19
	global_load_b128 v[89:92], v[121:122], off
	global_load_b128 v[93:96], v[121:122], off offset:256
	global_load_b128 v[97:100], v[123:124], off
	global_load_b128 v[101:104], v[123:124], off offset:256
	global_load_b128 v[81:84], v[121:122], off offset:512
	;; [unrolled: 1-line block ×23, first 2 shown]
	s_ashr_i32 s5, s4, 4
	s_cmp_lt_i32 s4, s28
	ds_load_b128 v[105:108], v215
	ds_load_b128 v[109:112], v215 offset:1024
	s_cselect_b32 s4, s5, s16
	ds_load_b128 v[113:116], v215 offset:2048
	ds_load_b128 v[117:120], v215 offset:3072
	s_ashr_i32 s5, s4, 31
	ds_load_b128 v[143:146], v215 offset:4096
	ds_load_b128 v[147:150], v215 offset:5120
	s_lshl_b64 s[6:7], s[4:5], 2
	ds_load_b128 v[151:154], v215 offset:6144
	ds_load_b128 v[155:158], v215 offset:7168
	s_add_u32 s18, s35, s6
	s_addc_u32 s19, s36, s7
	s_or_b32 s5, s29, 0x70
	ds_load_b128 v[159:162], v215 offset:8192
	ds_load_b128 v[163:166], v215 offset:9216
	s_ashr_i32 s6, s5, 4
	s_cmp_lt_i32 s5, s28
	s_clause 0x1
	global_load_b128 v[167:170], v[123:124], off offset:3072
	global_load_b128 v[171:174], v[123:124], off offset:3328
	s_cselect_b32 s8, s6, s16
	s_mov_b32 s4, 0
	s_ashr_i32 s9, s8, 31
	s_mov_b32 s5, s4
	s_lshl_b64 s[8:9], s[8:9], 2
	s_mov_b32 s6, s4
	s_add_u32 s20, s35, s8
	s_addc_u32 s21, s36, s9
	s_clause 0x1
	s_load_b32 s41, s[18:19], 0x0
	s_load_b32 s46, s[20:21], 0x0
	s_clause 0x3
	global_load_b128 v[175:178], v[121:122], off offset:3584
	global_load_b128 v[179:182], v[121:122], off offset:3840
	;; [unrolled: 1-line block ×4, first 2 shown]
	s_or_b32 s8, s29, 0x80
	s_mov_b32 s7, s4
	s_ashr_i32 s9, s8, 4
	s_cmp_lt_i32 s8, s28
	s_mov_b32 s8, s4
	s_cselect_b32 s10, s9, s16
	s_mov_b32 s9, s4
	s_ashr_i32 s11, s10, 31
	s_delay_alu instid0(SALU_CYCLE_1)
	s_lshl_b64 s[24:25], s[10:11], 2
	s_mov_b32 s10, s4
	s_add_u32 s24, s35, s24
	s_addc_u32 s25, s36, s25
	s_or_b32 s11, s29, 0x90
	s_load_b32 s47, s[24:25], 0x0
	s_ashr_i32 s26, s11, 4
	s_cmp_lt_i32 s11, s28
	s_mov_b32 s11, s4
	s_cselect_b32 s26, s26, s16
	v_mov_b32_e32 v136, s11
	s_ashr_i32 s27, s26, 31
	v_dual_mov_b32 v135, s10 :: v_dual_mov_b32 v134, s9
	v_dual_mov_b32 v133, s8 :: v_dual_mov_b32 v132, s7
	;; [unrolled: 1-line block ×3, first 2 shown]
	v_mov_b32_e32 v129, s4
	s_lshl_b64 s[4:5], s[26:27], 2
	s_waitcnt lgkmcnt(0)
	s_mul_hi_i32 s7, s38, s17
	s_add_u32 s26, s35, s4
	s_addc_u32 s27, s36, s5
	s_or_b32 s4, s29, 0xa0
	s_load_b32 s40, s[26:27], 0x0
	s_ashr_i32 s5, s4, 4
	s_cmp_lt_i32 s4, s28
	s_cselect_b32 s4, s5, s16
	s_delay_alu instid0(SALU_CYCLE_1) | instskip(NEXT) | instid1(SALU_CYCLE_1)
	s_ashr_i32 s5, s4, 31
	s_lshl_b64 s[4:5], s[4:5], 2
	s_delay_alu instid0(SALU_CYCLE_1)
	s_add_u32 s42, s35, s4
	s_addc_u32 s43, s36, s5
	s_or_b32 s4, s29, 0xb0
	s_mul_hi_i32 s5, s39, s17
	s_ashr_i32 s6, s4, 4
	s_cmp_lt_i32 s4, s28
	s_mul_i32 s4, s39, s17
	s_cselect_b32 s8, s6, s16
	s_mul_i32 s6, s38, s17
	s_ashr_i32 s9, s8, 31
	s_delay_alu instid0(SALU_CYCLE_1)
	s_lshl_b64 s[10:11], s[8:9], 2
	s_mul_hi_i32 s9, s37, s17
	s_add_u32 s44, s35, s10
	s_addc_u32 s45, s36, s11
	s_or_b32 s10, s29, 0xc0
	s_mul_i32 s8, s37, s17
	s_ashr_i32 s37, s10, 4
	s_cmp_lt_i32 s10, s28
	s_mul_hi_i32 s11, s13, s17
	s_cselect_b32 s38, s37, s16
	s_mul_i32 s10, s13, s17
	s_ashr_i32 s39, s38, 31
	s_mul_hi_i32 s13, s12, s17
	s_lshl_b64 s[38:39], s[38:39], 2
	s_mul_i32 s12, s12, s17
	s_add_u32 s20, s35, s38
	s_addc_u32 s21, s36, s39
	s_load_b32 s39, s[42:43], 0x0
	s_or_b32 s18, s29, 0xd0
	s_mul_hi_i32 s27, s47, s17
	s_ashr_i32 s19, s18, 4
	s_cmp_lt_i32 s18, s28
	s_mul_i32 s18, s15, s17
	s_cselect_b32 s24, s19, s16
	s_mul_hi_i32 s19, s15, s17
	s_ashr_i32 s25, s24, 31
	s_mul_i32 s26, s47, s17
	s_lshl_b64 s[24:25], s[24:25], 2
	s_delay_alu instid0(SALU_CYCLE_1)
	s_add_u32 s24, s35, s24
	s_addc_u32 s25, s36, s25
	s_or_b32 s42, s29, 0xe0
	s_clause 0x2
	s_load_b32 s38, s[44:45], 0x0
	s_load_b32 s37, s[20:21], 0x0
	;; [unrolled: 1-line block ×3, first 2 shown]
	s_ashr_i32 s43, s42, 4
	s_cmp_lt_i32 s42, s28
	s_mul_hi_i32 s25, s46, s17
	s_cselect_b32 s42, s43, s16
	s_mul_i32 s24, s46, s17
	s_ashr_i32 s43, s42, 31
	s_mul_hi_i32 s21, s41, s17
	s_lshl_b64 s[42:43], s[42:43], 2
	s_mul_i32 s20, s41, s17
	s_add_u32 s42, s35, s42
	s_addc_u32 s43, s36, s43
	s_or_b32 s46, s29, 0xf0
	s_waitcnt lgkmcnt(0)
	s_mul_hi_i32 s41, s40, s17
	s_ashr_i32 s47, s46, 4
	s_cmp_lt_i32 s46, s28
	s_mul_i32 s40, s40, s17
	s_cselect_b32 s46, s47, s16
	s_mul_hi_i32 s45, s39, s17
	s_ashr_i32 s47, s46, 31
	s_mul_hi_i32 s51, s15, s17
	s_lshl_b64 s[46:47], s[46:47], 2
	s_mul_i32 s50, s15, s17
	s_add_u32 s46, s35, s46
	s_addc_u32 s47, s36, s47
	s_add_u32 s15, s22, s2
	s_addc_u32 s16, s23, s3
	v_add_co_u32 v216, s15, s15, v125
	s_delay_alu instid0(VALU_DEP_1) | instskip(SKIP_2) | instid1(VALU_DEP_2)
	v_add_co_ci_u32_e64 v217, null, s16, 0, s15
	s_lshl_b64 s[2:3], s[4:5], 1
	s_lshl_b64 s[4:5], s[6:7], 1
	v_add_co_u32 v125, vcc_lo, v216, s2
	s_delay_alu instid0(VALU_DEP_2)
	v_add_co_ci_u32_e32 v126, vcc_lo, s3, v217, vcc_lo
	v_add_co_u32 v199, vcc_lo, v216, s4
	s_lshl_b64 s[6:7], s[8:9], 1
	v_add_co_ci_u32_e32 v200, vcc_lo, s5, v217, vcc_lo
	s_lshl_b64 s[8:9], s[10:11], 1
	s_lshl_b64 s[10:11], s[12:13], 1
	;; [unrolled: 1-line block ×7, first 2 shown]
	s_mul_i32 s44, s39, s17
	s_mul_hi_i32 s39, s38, s17
	s_lshl_b64 s[26:27], s[44:45], 1
	s_mul_i32 s38, s38, s17
	s_mul_hi_i32 s49, s37, s17
	s_mul_i32 s48, s37, s17
	s_lshl_b64 s[36:37], s[38:39], 1
	s_lshl_b64 s[38:39], s[48:49], 1
	s_clause 0x1
	s_load_b32 s15, s[42:43], 0x0
	s_load_b32 s16, s[46:47], 0x0
	s_lshl_b64 s[40:41], s[50:51], 1
	s_waitcnt lgkmcnt(0)
	s_mul_hi_i32 s3, s15, s17
	s_mul_i32 s2, s15, s17
	s_mul_hi_i32 s5, s16, s17
	s_lshl_b64 s[2:3], s[2:3], 1
	s_mul_i32 s4, s16, s17
	s_waitcnt vmcnt(30)
	v_wmma_f32_16x16x16_f16 v[191:198], v[89:96], v[105:112], v[129:136]
	v_add_co_u32 v89, vcc_lo, v216, s6
	v_add_co_ci_u32_e32 v90, vcc_lo, s7, v217, vcc_lo
	v_add_co_u32 v91, vcc_lo, v216, s8
	v_add_co_ci_u32_e32 v92, vcc_lo, s9, v217, vcc_lo
	v_add_co_u32 v93, vcc_lo, v216, s10
	v_add_co_ci_u32_e32 v94, vcc_lo, s11, v217, vcc_lo
	v_add_co_u32 v201, vcc_lo, v216, s12
	v_add_co_ci_u32_e32 v202, vcc_lo, s13, v217, vcc_lo
	v_add_co_u32 v203, vcc_lo, v216, s18
	v_add_co_ci_u32_e32 v204, vcc_lo, s19, v217, vcc_lo
	v_add_co_u32 v205, vcc_lo, v216, s20
	s_waitcnt vmcnt(28)
	v_wmma_f32_16x16x16_f16 v[129:136], v[97:104], v[105:112], v[129:136]
	v_add_co_ci_u32_e32 v206, vcc_lo, s21, v217, vcc_lo
	v_add_co_u32 v207, vcc_lo, v216, s22
	v_add_co_ci_u32_e32 v208, vcc_lo, s23, v217, vcc_lo
	v_add_co_u32 v209, vcc_lo, v216, s24
	s_waitcnt vmcnt(26)
	v_wmma_f32_16x16x16_f16 v[191:198], v[81:88], v[113:120], v[191:198]
	s_waitcnt vmcnt(24)
	v_wmma_f32_16x16x16_f16 v[129:136], v[73:80], v[113:120], v[129:136]
	v_add_co_ci_u32_e32 v210, vcc_lo, s25, v217, vcc_lo
	v_add_co_u32 v211, vcc_lo, v216, s26
	v_add_co_ci_u32_e32 v212, vcc_lo, s27, v217, vcc_lo
	v_add_co_u32 v213, vcc_lo, v216, s36
	s_waitcnt vmcnt(22)
	v_wmma_f32_16x16x16_f16 v[191:198], v[65:72], v[143:150], v[191:198]
	s_waitcnt vmcnt(20)
	v_wmma_f32_16x16x16_f16 v[129:136], v[57:64], v[143:150], v[129:136]
	v_add_co_ci_u32_e32 v214, vcc_lo, s37, v217, vcc_lo
	v_add_co_u32 v143, vcc_lo, v216, s38
	s_waitcnt vmcnt(18)
	v_wmma_f32_16x16x16_f16 v[191:198], v[49:56], v[151:158], v[191:198]
	s_waitcnt vmcnt(16)
	v_wmma_f32_16x16x16_f16 v[129:136], v[25:32], v[151:158], v[129:136]
	v_add_co_ci_u32_e32 v144, vcc_lo, s39, v217, vcc_lo
	s_clause 0x15
	global_load_b128 v[121:124], v[125:126], off
	global_load_b128 v[125:128], v[125:126], off offset:16
	global_load_b128 v[113:116], v[199:200], off
	global_load_b128 v[117:120], v[199:200], off offset:16
	;; [unrolled: 2-line block ×11, first 2 shown]
	s_waitcnt vmcnt(36)
	v_wmma_f32_16x16x16_f16 v[191:198], v[1:8], v[159:166], v[191:198]
	s_clause 0x1
	global_load_b128 v[1:4], v[213:214], off
	global_load_b128 v[5:8], v[213:214], off offset:16
	s_waitcnt vmcnt(36)
	v_wmma_f32_16x16x16_f16 v[129:136], v[9:16], v[159:166], v[129:136]
	s_clause 0x1
	global_load_b128 v[9:12], v[143:144], off
	global_load_b128 v[13:16], v[143:144], off offset:16
	ds_load_b128 v[143:146], v215 offset:10240
	ds_load_b128 v[147:150], v215 offset:11264
	ds_load_b128 v[151:154], v215 offset:12288
	ds_load_b128 v[155:158], v215 offset:13312
	v_add_co_u32 v199, vcc_lo, v216, s40
	v_add_co_ci_u32_e32 v200, vcc_lo, s41, v217, vcc_lo
	v_add_co_u32 v159, vcc_lo, v216, s2
	v_add_co_ci_u32_e32 v160, vcc_lo, s3, v217, vcc_lo
	s_lshl_b64 s[2:3], s[4:5], 1
	s_delay_alu instid0(SALU_CYCLE_1)
	v_add_co_u32 v161, vcc_lo, v216, s2
	v_add_co_ci_u32_e32 v162, vcc_lo, s3, v217, vcc_lo
	s_waitcnt vmcnt(36) lgkmcnt(2)
	v_wmma_f32_16x16x16_f16 v[191:198], v[41:48], v[143:150], v[191:198]
	s_waitcnt vmcnt(34)
	v_wmma_f32_16x16x16_f16 v[129:136], v[33:40], v[143:150], v[129:136]
	s_clause 0x3
	global_load_b128 v[33:36], v[199:200], off
	global_load_b128 v[37:40], v[199:200], off offset:16
	global_load_b128 v[41:44], v[159:160], off
	global_load_b128 v[45:48], v[159:160], off offset:16
	v_and_b32_e32 v143, 0xe0, v0
	v_mbcnt_lo_u32_b32 v159, -1, 0
	s_waitcnt vmcnt(36) lgkmcnt(0)
	v_wmma_f32_16x16x16_f16 v[191:198], v[17:24], v[151:158], v[191:198]
	s_clause 0x1
	global_load_b128 v[17:20], v[161:162], off
	global_load_b128 v[21:24], v[161:162], off offset:16
	s_waitcnt vmcnt(36)
	v_wmma_f32_16x16x16_f16 v[129:136], v[167:174], v[151:158], v[129:136]
	v_add_nc_u32_e32 v160, s29, v143
	ds_load_b128 v[143:146], v215 offset:14336
	ds_load_b128 v[147:150], v215 offset:15360
	v_xor_b32_e32 v151, 16, v159
	s_waitcnt vmcnt(0) lgkmcnt(0)
	s_barrier
	v_or_b32_e32 v152, v160, v138
	buffer_gl0_inv
	v_cmp_gt_i32_e32 vcc_lo, 32, v151
	v_or_b32_e32 v153, 2, v152
	v_or_b32_e32 v154, 4, v152
	v_or_b32_e32 v155, 6, v152
	v_or_b32_e32 v156, 8, v152
	v_or_b32_e32 v157, 10, v152
	v_cmp_gt_i32_e64 s2, s28, v153
	v_cmp_gt_i32_e64 s3, s28, v154
	;; [unrolled: 1-line block ×3, first 2 shown]
	v_or_b32_e32 v158, 12, v152
	v_cmp_gt_i32_e64 s5, s28, v156
	v_cmp_gt_i32_e64 s6, s28, v157
	v_wmma_f32_16x16x16_f16 v[191:198], v[175:182], v[143:150], v[191:198]
	v_wmma_f32_16x16x16_f16 v[129:136], v[183:190], v[143:150], v[129:136]
	v_cndmask_b32_e32 v151, v159, v151, vcc_lo
	v_cmp_gt_i32_e32 vcc_lo, s28, v152
	v_or_b32_e32 v159, 14, v152
	v_dual_mul_f32 v149, s30, v192 :: v_dual_mul_f32 v150, s30, v191
	v_dual_mul_f32 v147, s30, v194 :: v_dual_mul_f32 v148, s30, v193
	;; [unrolled: 1-line block ×3, first 2 shown]
	s_delay_alu instid0(VALU_DEP_3) | instskip(NEXT) | instid1(VALU_DEP_4)
	v_cndmask_b32_e32 v150, 0xff7fffff, v150, vcc_lo
	v_cndmask_b32_e64 v149, 0xff7fffff, v149, s2
	v_mul_f32_e32 v146, s30, v195
	v_cndmask_b32_e64 v148, 0xff7fffff, v148, s3
	v_cndmask_b32_e64 v147, 0xff7fffff, v147, s4
	v_or_b32_e32 v160, 16, v152
	v_max3_f32 v149, v150, 0xff7fffff, v149
	v_or_b32_e32 v161, 18, v152
	v_dual_mul_f32 v143, s30, v198 :: v_dual_mul_f32 v144, s30, v197
	v_cndmask_b32_e64 v146, 0xff7fffff, v146, s5
	v_cndmask_b32_e64 v145, 0xff7fffff, v145, s6
	v_max3_f32 v147, v149, v148, v147
	v_cmp_gt_i32_e64 s7, s28, v158
	v_cmp_gt_i32_e64 s8, s28, v159
	v_or_b32_e32 v162, 20, v152
	v_or_b32_e32 v163, 22, v152
	v_mul_f32_e32 v175, s30, v129
	v_cndmask_b32_e64 v144, 0xff7fffff, v144, s7
	v_cndmask_b32_e64 v143, 0xff7fffff, v143, s8
	v_max3_f32 v145, v147, v146, v145
	v_cmp_gt_i32_e64 s9, s28, v160
	v_cmp_gt_i32_e64 s10, s28, v161
	v_or_b32_e32 v164, 24, v152
	v_or_b32_e32 v165, 26, v152
	v_dual_mul_f32 v172, s30, v132 :: v_dual_mul_f32 v173, s30, v131
	v_cndmask_b32_e64 v146, 0xff7fffff, v175, s9
	v_cndmask_b32_e64 v147, 0xff7fffff, v174, s10
	v_max3_f32 v143, v145, v144, v143
	v_cmp_gt_i32_e64 s11, s28, v162
	v_cmp_gt_i32_e64 s12, s28, v163
	v_or_b32_e32 v166, 28, v152
	v_or_b32_e32 v167, 30, v152
	v_dual_mul_f32 v170, s30, v134 :: v_dual_mul_f32 v171, s30, v133
	v_cndmask_b32_e64 v144, 0xff7fffff, v173, s11
	v_cndmask_b32_e64 v145, 0xff7fffff, v172, s12
	v_max3_f32 v143, v143, v146, v147
	v_cmp_gt_i32_e64 s13, s28, v164
	v_cmp_gt_i32_e64 s15, s28, v165
	v_dual_mul_f32 v168, s30, v136 :: v_dual_mul_f32 v169, s30, v135
	s_delay_alu instid0(VALU_DEP_4) | instskip(NEXT) | instid1(VALU_DEP_4)
	v_max3_f32 v143, v143, v144, v145
	v_cndmask_b32_e64 v146, 0xff7fffff, v171, s13
	s_delay_alu instid0(VALU_DEP_4) | instskip(SKIP_3) | instid1(VALU_DEP_4)
	v_cndmask_b32_e64 v147, 0xff7fffff, v170, s15
	v_cmp_gt_i32_e64 s16, s28, v166
	v_cmp_gt_i32_e64 s17, s28, v167
	v_lshlrev_b32_e32 v160, 2, v151
	v_max3_f32 v143, v143, v146, v147
	s_delay_alu instid0(VALU_DEP_4) | instskip(NEXT) | instid1(VALU_DEP_4)
	v_cndmask_b32_e64 v144, 0xff7fffff, v169, s16
	v_cndmask_b32_e64 v145, 0xff7fffff, v168, s17
	s_delay_alu instid0(VALU_DEP_1) | instskip(SKIP_3) | instid1(VALU_DEP_1)
	v_max3_f32 v143, v143, v144, v145
	ds_bpermute_b32 v144, v160, v143
	s_waitcnt lgkmcnt(0)
	v_max_f32_e32 v144, v144, v144
	v_max_f32_e32 v159, v143, v144
	s_delay_alu instid0(VALU_DEP_1) | instskip(SKIP_4) | instid1(VALU_DEP_4)
	v_fma_f32 v145, s30, v193, -v159
	v_fma_f32 v146, s30, v194, -v159
	;; [unrolled: 1-line block ×5, first 2 shown]
	v_dual_mul_f32 v145, 0x3fb8aa3b, v145 :: v_dual_mul_f32 v146, 0x3fb8aa3b, v146
	s_delay_alu instid0(VALU_DEP_4) | instskip(SKIP_1) | instid1(VALU_DEP_4)
	v_mul_f32_e32 v132, 0x3fb8aa3b, v132
	v_fma_f32 v148, s30, v195, -v159
	v_mul_f32_e32 v144, 0x3fb8aa3b, v144
	s_delay_alu instid0(VALU_DEP_4)
	v_exp_f32_e32 v145, v145
	v_exp_f32_e32 v150, v146
	v_fma_f32 v149, s30, v196, -v159
	v_mul_f32_e32 v148, 0x3fb8aa3b, v148
	v_exp_f32_e32 v147, v144
	v_fma_f32 v134, s30, v134, -v159
	v_fma_f32 v151, s30, v197, -v159
	v_mul_f32_e32 v149, 0x3fb8aa3b, v149
	v_exp_f32_e32 v148, v148
	v_fma_f32 v152, s30, v198, -v159
	v_cndmask_b32_e64 v146, 0, v145, s3
	v_cndmask_b32_e64 v145, 0, v150, s4
	v_dual_mul_f32 v143, 0x3fb8aa3b, v143 :: v_dual_mul_f32 v134, 0x3fb8aa3b, v134
	v_mul_f32_e32 v151, 0x3fb8aa3b, v151
	v_exp_f32_e32 v149, v149
	v_fma_f32 v129, s30, v129, -v159
	s_delay_alu instid0(VALU_DEP_3)
	v_exp_f32_e32 v143, v143
	v_mul_f32_e32 v150, 0x3fb8aa3b, v152
	v_exp_f32_e32 v151, v151
	v_cndmask_b32_e64 v148, 0, v148, s5
	v_fma_f32 v130, s30, v130, -v159
	v_mul_f32_e32 v129, 0x3fb8aa3b, v129
	v_exp_f32_e32 v153, v150
	v_fma_f32 v131, s30, v131, -v159
	v_fma_f32 v133, s30, v133, -v159
	v_mul_f32_e32 v130, 0x3fb8aa3b, v130
	v_cndmask_b32_e32 v144, 0, v143, vcc_lo
	v_cndmask_b32_e64 v143, 0, v147, s2
	v_exp_f32_e32 v129, v129
	v_cndmask_b32_e64 v150, 0, v151, s7
	v_mul_f32_e32 v131, 0x3fb8aa3b, v131
	v_add_f32_e32 v147, 0, v144
	v_exp_f32_e32 v130, v130
	v_mul_f32_e32 v133, 0x3fb8aa3b, v133
	v_exp_f32_e32 v132, v132
	v_exp_f32_e32 v131, v131
	v_add_f32_e32 v147, v147, v143
	v_cmp_gt_u32_e64 s2, 16, v142
	v_exp_f32_e32 v133, v133
	s_delay_alu instid0(VALU_DEP_2)
	v_add_f32_e32 v147, v147, v146
	s_waitcnt_depctr 0xfff
	v_cndmask_b32_e64 v154, 0, v131, s11
	v_add_f32_e32 v152, v147, v145
	v_cndmask_b32_e64 v147, 0, v149, s6
	v_exp_f32_e32 v131, v134
	v_cndmask_b32_e64 v156, 0, v133, s13
	s_delay_alu instid0(VALU_DEP_3) | instskip(SKIP_1) | instid1(VALU_DEP_2)
	v_add_f32_e32 v149, v152, v148
	v_cndmask_b32_e64 v152, 0, v129, s9
	v_add_f32_e32 v151, v149, v147
	v_cndmask_b32_e64 v149, 0, v153, s8
	v_cndmask_b32_e64 v153, 0, v132, s12
	v_fma_f32 v132, s30, v136, -v159
	s_delay_alu instid0(TRANS32_DEP_1) | instskip(NEXT) | instid1(VALU_DEP_2)
	v_cndmask_b32_e64 v155, 0, v131, s15
	v_dual_add_f32 v151, v151, v150 :: v_dual_mul_f32 v132, 0x3fb8aa3b, v132
	s_delay_alu instid0(VALU_DEP_1) | instskip(SKIP_2) | instid1(VALU_DEP_4)
	v_add_f32_e32 v129, v151, v149
	v_cndmask_b32_e64 v151, 0, v130, s10
	v_fma_f32 v130, s30, v135, -v159
	v_exp_f32_e32 v131, v132
	s_delay_alu instid0(VALU_DEP_1) | instskip(NEXT) | instid1(VALU_DEP_1)
	v_dual_add_f32 v129, v129, v152 :: v_dual_mul_f32 v130, 0x3fb8aa3b, v130
	v_add_f32_e32 v129, v129, v151
	s_delay_alu instid0(VALU_DEP_2) | instskip(SKIP_3) | instid1(VALU_DEP_1)
	v_exp_f32_e32 v130, v130
	s_waitcnt_depctr 0xfff
	v_cndmask_b32_e64 v157, 0, v131, s17
	v_add_f32_e32 v129, v129, v154
	v_add_f32_e32 v129, v129, v153
	v_cndmask_b32_e64 v158, 0, v130, s16
	s_delay_alu instid0(VALU_DEP_2) | instskip(NEXT) | instid1(VALU_DEP_1)
	v_add_f32_e32 v129, v129, v156
	v_add_f32_e32 v129, v129, v155
	s_delay_alu instid0(VALU_DEP_1) | instskip(NEXT) | instid1(VALU_DEP_1)
	v_add_f32_e32 v129, v129, v158
	v_add_f32_e32 v129, v129, v157
	ds_bpermute_b32 v130, v160, v129
	s_and_saveexec_b32 s3, s2
	s_cbranch_execz .LBB200_12
; %bb.11:
	v_mul_u32_u24_e32 v131, 0x44, v141
	s_delay_alu instid0(VALU_DEP_1) | instskip(SKIP_1) | instid1(VALU_DEP_1)
	v_lshl_add_u32 v131, v140, 2, v131
	s_waitcnt lgkmcnt(0)
	v_dual_add_f32 v129, v129, v130 :: v_dual_add_nc_u32 v130, 0x4000, v131
	ds_store_2addr_b32 v130, v159, v129 offset1:136
.LBB200_12:
	s_or_b32 exec_lo, exec_lo, s3
	v_lshlrev_b32_e32 v129, 2, v140
	s_load_b32 s35, s[0:1], 0x94
	s_waitcnt lgkmcnt(0)
	s_barrier
	buffer_gl0_inv
	v_add_nc_u32_e32 v135, 0x4000, v129
	v_cmp_eq_u32_e32 vcc_lo, 1, v141
	v_cmp_eq_u32_e64 s3, 2, v141
	v_cmp_eq_u32_e64 s4, 3, v141
	;; [unrolled: 1-line block ×3, first 2 shown]
	ds_load_2addr_b32 v[129:130], v135 offset1:17
	ds_load_2addr_b32 v[131:132], v135 offset0:34 offset1:51
	ds_load_2addr_b32 v[133:134], v135 offset0:68 offset1:85
	;; [unrolled: 1-line block ×3, first 2 shown]
	v_cmp_eq_u32_e64 s6, 5, v141
	v_cmp_eq_u32_e64 s7, 7, v141
	s_waitcnt lgkmcnt(3)
	v_max3_f32 v136, v129, 0xff7fffff, v130
	s_waitcnt lgkmcnt(2)
	s_delay_alu instid0(VALU_DEP_1) | instskip(SKIP_1) | instid1(VALU_DEP_1)
	v_max3_f32 v136, v136, v131, v132
	s_waitcnt lgkmcnt(1)
	v_max3_f32 v136, v136, v133, v134
	s_waitcnt lgkmcnt(0)
	s_delay_alu instid0(VALU_DEP_1) | instskip(NEXT) | instid1(VALU_DEP_1)
	v_max3_f32 v136, v136, v159, v160
	v_sub_f32_e32 v142, v130, v136
	ds_load_2addr_b32 v[161:162], v135 offset0:136 offset1:153
	v_sub_f32_e32 v164, v132, v136
	v_mul_f32_e32 v142, 0x3fb8aa3b, v142
	s_delay_alu instid0(VALU_DEP_2) | instskip(NEXT) | instid1(VALU_DEP_2)
	v_mul_f32_e32 v164, 0x3fb8aa3b, v164
	v_exp_f32_e32 v166, v142
	v_sub_f32_e32 v129, v129, v136
	s_delay_alu instid0(VALU_DEP_2) | instskip(NEXT) | instid1(VALU_DEP_1)
	v_exp_f32_e32 v164, v164
	v_mul_f32_e32 v163, 0x3fb8aa3b, v129
	ds_load_2addr_b32 v[129:130], v135 offset0:170 offset1:187
	v_exp_f32_e32 v163, v163
	s_waitcnt lgkmcnt(1)
	s_waitcnt_depctr 0xfff
	v_fma_f32 v142, v163, v161, 0
	v_sub_f32_e32 v161, v134, v136
	s_delay_alu instid0(VALU_DEP_2) | instskip(NEXT) | instid1(VALU_DEP_1)
	v_dual_fmac_f32 v142, v166, v162 :: v_dual_sub_f32 v131, v131, v136
	v_mul_f32_e32 v165, 0x3fb8aa3b, v131
	ds_load_2addr_b32 v[131:132], v135 offset0:204 offset1:221
	v_exp_f32_e32 v165, v165
	s_waitcnt lgkmcnt(1)
	s_waitcnt_depctr 0xfff
	v_fmac_f32_e32 v142, v165, v129
	v_sub_f32_e32 v133, v133, v136
	v_sub_f32_e32 v129, v160, v136
	s_delay_alu instid0(VALU_DEP_2) | instskip(NEXT) | instid1(VALU_DEP_2)
	v_dual_fmac_f32 v142, v164, v130 :: v_dual_mul_f32 v167, 0x3fb8aa3b, v133
	v_mul_f32_e32 v129, 0x3fb8aa3b, v129
	ds_load_2addr_b32 v[133:134], v135 offset0:238 offset1:255
	v_cndmask_b32_e32 v130, v163, v166, vcc_lo
	s_waitcnt lgkmcnt(0)
	s_barrier
	v_exp_f32_e32 v162, v129
	v_sub_f32_e32 v135, v159, v136
	v_mul_f32_e32 v159, 0x3fb8aa3b, v161
	v_exp_f32_e32 v161, v167
	buffer_gl0_inv
	v_exp_f32_e32 v159, v159
	v_fmac_f32_e32 v142, v161, v131
	s_waitcnt_depctr 0xfff
	v_dual_mul_f32 v135, 0x3fb8aa3b, v135 :: v_dual_fmac_f32 v142, v159, v132
	s_delay_alu instid0(VALU_DEP_1) | instskip(SKIP_2) | instid1(VALU_DEP_1)
	v_exp_f32_e32 v160, v135
	s_waitcnt_depctr 0xfff
	v_dual_fmac_f32 v142, v160, v133 :: v_dual_lshlrev_b32 v133, 6, v140
	v_fmac_f32_e32 v142, v162, v134
	s_delay_alu instid0(VALU_DEP_2) | instskip(NEXT) | instid1(VALU_DEP_2)
	v_lshl_or_b32 v135, v141, 11, v133
	v_add_f32_e32 v134, 0x358637bd, v142
	s_delay_alu instid0(VALU_DEP_1) | instskip(SKIP_1) | instid1(VALU_DEP_2)
	v_div_scale_f32 v167, null, v134, v134, 1.0
	v_div_scale_f32 v163, vcc_lo, 1.0, v134, 1.0
	v_rcp_f32_e32 v168, v167
	s_waitcnt_depctr 0xfff
	v_fma_f32 v129, -v167, v168, 1.0
	s_delay_alu instid0(VALU_DEP_1) | instskip(SKIP_2) | instid1(VALU_DEP_2)
	v_fmac_f32_e32 v168, v129, v168
	v_cndmask_b32_e64 v129, v130, v165, s3
	v_cmp_eq_u32_e64 s3, 6, v141
	v_cndmask_b32_e64 v130, v129, v164, s4
	v_lshlrev_b32_e32 v129, 2, v138
	v_mul_f32_e32 v165, v163, v168
	s_delay_alu instid0(VALU_DEP_3) | instskip(NEXT) | instid1(VALU_DEP_3)
	v_cndmask_b32_e64 v161, v130, v161, s5
	v_or_b32_e32 v130, 1, v129
	s_delay_alu instid0(VALU_DEP_3)
	v_fma_f32 v131, -v167, v165, v163
	v_or_b32_e32 v132, 2, v129
	v_cmp_eq_u32_e64 s4, 1, v129
	v_cndmask_b32_e64 v141, v161, v159, s6
	v_cmp_eq_u32_e64 s9, 1, v130
	v_fmac_f32_e32 v165, v131, v168
	v_or_b32_e32 v131, 3, v129
	v_cmp_eq_u32_e64 s10, 1, v132
	v_cndmask_b32_e64 v141, v141, v160, s3
	v_cmp_eq_u32_e64 s5, 2, v129
	v_fma_f32 v159, -v167, v165, v163
	v_cmp_eq_u32_e64 s11, 1, v131
	v_cmp_eq_u32_e64 s16, 2, v131
	v_cndmask_b32_e64 v141, v141, v162, s7
	v_cmp_eq_u32_e64 s12, 2, v130
	v_div_fmas_f32 v159, v159, v168, v165
	v_cmp_eq_u32_e64 s18, 3, v131
	v_cmp_eq_u32_e32 vcc_lo, 3, v129
	v_cmp_eq_u32_e64 s13, 3, v130
	v_cmp_eq_u32_e64 s15, 2, v132
	v_div_fixup_f32 v159, v159, v134, 1.0
	v_lshl_or_b32 v134, v138, 4, v135
	v_cmp_eq_u32_e64 s22, 4, v131
	v_cmp_eq_u32_e64 s3, 4, v129
	;; [unrolled: 1-line block ×3, first 2 shown]
	v_mul_f32_e32 v141, v141, v159
	v_cmp_eq_u32_e64 s19, 4, v130
	v_cmp_eq_u32_e64 s24, 5, v131
	;; [unrolled: 1-line block ×4, first 2 shown]
	v_fma_mixlo_f16 v159, v141, v144, 0
	v_fma_mixlo_f16 v160, v141, v146, 0
	;; [unrolled: 1-line block ×8, first 2 shown]
	v_fma_mixhi_f16 v159, v141, v143, 0
	v_fma_mixhi_f16 v160, v141, v145, 0
	v_fma_mixhi_f16 v161, v141, v147, 0
	v_fma_mixhi_f16 v162, v141, v149, 0
	v_fma_mixhi_f16 v163, v141, v151, 0
	v_fma_mixhi_f16 v164, v141, v153, 0
	v_fma_mixhi_f16 v165, v141, v155, 0
	v_fma_mixhi_f16 v166, v141, v157, 0
	ds_store_b128 v134, v[159:162]
	ds_store_b128 v134, v[163:166] offset:1024
	s_waitcnt lgkmcnt(0)
	s_barrier
	buffer_gl0_inv
	ds_load_b128 v[143:146], v135
	ds_load_b128 v[147:150], v135 offset:16
	ds_load_b128 v[151:154], v135 offset:1024
	;; [unrolled: 1-line block ×3, first 2 shown]
	v_cmp_eq_u32_e64 s21, 4, v132
	v_cmp_eq_u32_e64 s27, 6, v131
	;; [unrolled: 1-line block ×10, first 2 shown]
	s_waitcnt lgkmcnt(3)
	v_lshrrev_b32_e32 v141, 16, v143
	s_waitcnt lgkmcnt(2)
	v_lshrrev_b32_e32 v162, 16, v147
	v_lshrrev_b32_e32 v159, 16, v144
	;; [unrolled: 1-line block ×3, first 2 shown]
	s_waitcnt lgkmcnt(1)
	v_lshrrev_b32_e32 v166, 16, v151
	v_cndmask_b32_e64 v174, v143, v141, s4
	v_cndmask_b32_e64 v176, v143, v141, s9
	;; [unrolled: 1-line block ×5, first 2 shown]
	s_waitcnt lgkmcnt(0)
	v_lshrrev_b32_e32 v170, 16, v155
	v_cndmask_b32_e64 v175, v147, v162, s4
	v_cndmask_b32_e64 v177, v147, v162, s9
	;; [unrolled: 1-line block ×19, first 2 shown]
	v_lshrrev_b32_e32 v160, 16, v145
	v_lshrrev_b32_e32 v164, 16, v149
	;; [unrolled: 1-line block ×4, first 2 shown]
	v_cndmask_b32_e64 v176, v178, v144, s15
	v_cndmask_b32_e64 v177, v179, v148, s15
	;; [unrolled: 1-line block ×8, first 2 shown]
	v_cndmask_b32_e32 v155, v166, v159, vcc_lo
	v_cndmask_b32_e32 v166, v170, v163, vcc_lo
	v_cndmask_b32_e64 v170, v174, v159, s13
	v_cndmask_b32_e64 v174, v175, v163, s13
	;; [unrolled: 1-line block ×6, first 2 shown]
	v_cndmask_b32_e32 v144, v144, v167, vcc_lo
	v_cndmask_b32_e32 v147, v147, v171, vcc_lo
	v_cndmask_b32_e64 v148, v148, v167, s13
	v_cndmask_b32_e64 v155, v155, v145, s3
	v_cndmask_b32_e64 v159, v166, v149, s3
	v_cndmask_b32_e64 v163, v170, v145, s19
	v_cndmask_b32_e64 v166, v174, v149, s19
	v_cndmask_b32_e64 v141, v141, v160, s24
	v_cndmask_b32_e64 v143, v143, v164, s24
	v_lshrrev_b32_e32 v161, 16, v146
	v_lshrrev_b32_e32 v165, 16, v150
	;; [unrolled: 1-line block ×4, first 2 shown]
	v_cndmask_b32_e64 v170, v175, v145, s21
	v_cndmask_b32_e64 v174, v176, v149, s21
	;; [unrolled: 1-line block ×22, first 2 shown]
	v_lshrrev_b32_e32 v169, 16, v154
	v_cndmask_b32_e64 v160, v163, v146, s26
	v_cndmask_b32_e64 v163, v166, v150, s26
	;; [unrolled: 1-line block ×9, first 2 shown]
	v_perm_b32 v146, v143, v141, 0x5040100
	v_cndmask_b32_e64 v141, v183, v156, s15
	v_cndmask_b32_e64 v143, v181, v156, s12
	;; [unrolled: 1-line block ×4, first 2 shown]
	v_perm_b32 v144, v159, v149, 0x5040100
	v_cndmask_b32_e64 v149, v162, v167, s17
	v_cndmask_b32_e64 v151, v151, v167, s18
	;; [unrolled: 1-line block ×15, first 2 shown]
	v_lshrrev_b32_e32 v173, 16, v158
	v_cndmask_b32_e64 v149, v149, v154, s26
	v_cndmask_b32_e64 v151, v151, v154, s27
	;; [unrolled: 1-line block ×13, first 2 shown]
	v_perm_b32 v145, v160, v155, 0x5040100
	v_perm_b32 v143, v148, v147, 0x5040100
	;; [unrolled: 1-line block ×6, first 2 shown]
	s_mul_i32 s7, s33, 7
	s_mov_b32 s3, exec_lo
	ds_store_b128 v134, v[143:146]
	ds_store_b128 v134, v[147:150] offset:1024
	v_cmpx_gt_u32_e32 7, v0
	s_cbranch_execz .LBB200_14
; %bb.13:
	s_mul_i32 s4, s7, s34
	s_load_b128 s[8:11], s[0:1], 0x58
	v_add3_u32 v143, s4, s31, v140
	s_delay_alu instid0(VALU_DEP_1) | instskip(NEXT) | instid1(VALU_DEP_1)
	v_mad_u64_u32 v[140:141], null, v143, s35, s[14:15]
	v_ashrrev_i32_e32 v141, 31, v140
	s_delay_alu instid0(VALU_DEP_1) | instskip(SKIP_1) | instid1(VALU_DEP_1)
	v_lshlrev_b64 v[140:141], 2, v[140:141]
	s_waitcnt lgkmcnt(0)
	v_add_co_u32 v143, vcc_lo, s10, v140
	s_delay_alu instid0(VALU_DEP_2)
	v_add_co_ci_u32_e32 v144, vcc_lo, s11, v141, vcc_lo
	v_add_co_u32 v140, vcc_lo, s8, v140
	v_add_co_ci_u32_e32 v141, vcc_lo, s9, v141, vcc_lo
	global_store_b32 v[143:144], v136, off
	global_store_b32 v[140:141], v142, off
.LBB200_14:
	s_or_b32 exec_lo, exec_lo, s3
	s_waitcnt lgkmcnt(0)
	s_waitcnt_vscnt null, 0x0
	s_barrier
	buffer_gl0_inv
	ds_load_b128 v[148:151], v133
	ds_load_b128 v[152:155], v133 offset:16
	ds_load_b128 v[160:163], v133 offset:1040
	;; [unrolled: 1-line block ×5, first 2 shown]
	v_cmp_eq_u32_e32 vcc_lo, 1, v132
	v_mov_b32_e32 v140, 0
	ds_load_b128 v[176:179], v133 offset:3088
	ds_load_b128 v[172:175], v133 offset:3072
	;; [unrolled: 1-line block ×4, first 2 shown]
	v_cmp_eq_u32_e64 s3, 1, v129
	v_cmp_eq_u32_e64 s4, 1, v131
	;; [unrolled: 1-line block ×3, first 2 shown]
	v_mov_b32_e32 v141, v140
	v_mov_b32_e32 v142, v140
	v_mov_b32_e32 v143, v140
	v_mov_b32_e32 v144, v140
	v_mov_b32_e32 v145, v140
	v_mov_b32_e32 v146, v140
	v_mov_b32_e32 v147, v140
	v_cmp_eq_u32_e64 s6, 2, v129
	s_waitcnt lgkmcnt(8)
	s_delay_alu instid0(VALU_DEP_2)
	v_wmma_f32_16x16x16_f16 v[140:147], v[121:128], v[148:155], v[140:147]
	ds_load_b128 v[125:128], v133 offset:5136
	ds_load_b128 v[121:124], v133 offset:5120
	s_waitcnt lgkmcnt(8)
	v_wmma_f32_16x16x16_f16 v[140:147], v[113:120], v[156:163], v[140:147]
	ds_load_b128 v[117:120], v133 offset:6160
	ds_load_b128 v[113:116], v133 offset:6144
	s_waitcnt lgkmcnt(8)
	;; [unrolled: 4-line block ×11, first 2 shown]
	s_barrier
	buffer_gl0_inv
	v_wmma_f32_16x16x16_f16 v[140:147], v[1:8], v[73:80], v[140:147]
	s_delay_alu instid0(VALU_DEP_1) | instskip(NEXT) | instid1(VALU_DEP_1)
	v_wmma_f32_16x16x16_f16 v[140:147], v[9:16], v[65:72], v[140:147]
	v_wmma_f32_16x16x16_f16 v[140:147], v[33:40], v[57:64], v[140:147]
	s_delay_alu instid0(VALU_DEP_1) | instskip(NEXT) | instid1(VALU_DEP_1)
	v_wmma_f32_16x16x16_f16 v[140:147], v[41:48], v[49:56], v[140:147]
	v_wmma_f32_16x16x16_f16 v[140:147], v[17:24], v[25:32], v[140:147]
	s_delay_alu instid0(VALU_DEP_1) | instskip(NEXT) | instid1(VALU_DEP_2)
	v_cvt_f16_f32_e64 v1, v140
	v_cvt_f16_f32_e64 v2, v141
	s_delay_alu instid0(VALU_DEP_3) | instskip(NEXT) | instid1(VALU_DEP_4)
	v_cvt_f16_f32_e64 v3, v142
	v_cvt_f16_f32_e64 v4, v143
	;; [unrolled: 1-line block ×6, first 2 shown]
	v_pack_b32_f16 v1, v1, v2
	v_pack_b32_f16 v2, v3, v4
	;; [unrolled: 1-line block ×3, first 2 shown]
	s_delay_alu instid0(VALU_DEP_4)
	v_pack_b32_f16 v4, v7, v8
	ds_store_b128 v134, v[1:4]
	s_waitcnt lgkmcnt(0)
	s_barrier
	buffer_gl0_inv
	ds_load_b128 v[1:4], v135
	ds_load_b128 v[5:8], v135 offset:16
	s_waitcnt lgkmcnt(1)
	v_lshrrev_b32_e32 v9, 16, v1
	s_waitcnt lgkmcnt(0)
	v_lshrrev_b32_e32 v13, 16, v5
	v_lshrrev_b32_e32 v10, 16, v2
	;; [unrolled: 1-line block ×4, first 2 shown]
	v_cndmask_b32_e64 v17, v1, v9, s3
	v_cndmask_b32_e64 v18, v5, v13, s3
	;; [unrolled: 1-line block ×3, first 2 shown]
	v_cmp_eq_u32_e64 s3, 2, v130
	v_cndmask_b32_e64 v20, v5, v13, s5
	v_cndmask_b32_e32 v21, v1, v9, vcc_lo
	v_cndmask_b32_e32 v22, v5, v13, vcc_lo
	v_cndmask_b32_e64 v1, v1, v9, s4
	v_cndmask_b32_e64 v5, v5, v13, s4
	v_cmp_eq_u32_e32 vcc_lo, 2, v132
	v_cmp_eq_u32_e64 s4, 2, v131
	v_cndmask_b32_e64 v9, v17, v2, s6
	v_cndmask_b32_e64 v13, v18, v6, s6
	;; [unrolled: 1-line block ×4, first 2 shown]
	v_cndmask_b32_e32 v19, v21, v2, vcc_lo
	v_cmp_eq_u32_e64 s3, 3, v132
	v_cndmask_b32_e32 v20, v22, v6, vcc_lo
	v_cndmask_b32_e64 v1, v1, v2, s4
	v_cmp_eq_u32_e32 vcc_lo, 3, v131
	v_cmp_eq_u32_e64 s5, 3, v129
	v_cndmask_b32_e64 v2, v5, v6, s4
	v_cmp_eq_u32_e64 s4, 3, v130
	v_cmp_eq_u32_e64 s6, 4, v129
	v_cndmask_b32_e32 v1, v1, v10, vcc_lo
	v_cndmask_b32_e64 v5, v9, v10, s5
	v_cndmask_b32_e64 v6, v13, v14, s5
	;; [unrolled: 1-line block ×3, first 2 shown]
	v_cmp_eq_u32_e64 s5, 4, v130
	v_cndmask_b32_e64 v13, v18, v14, s4
	v_cndmask_b32_e64 v17, v19, v10, s3
	;; [unrolled: 1-line block ×3, first 2 shown]
	v_cndmask_b32_e32 v2, v2, v14, vcc_lo
	v_cmp_eq_u32_e32 vcc_lo, 4, v132
	v_cmp_eq_u32_e64 s4, 4, v131
	v_lshrrev_b32_e32 v15, 16, v7
	v_cndmask_b32_e64 v5, v5, v3, s6
	v_cndmask_b32_e64 v6, v6, v7, s6
	v_cndmask_b32_e32 v14, v18, v7, vcc_lo
	v_cndmask_b32_e64 v9, v9, v3, s5
	v_cndmask_b32_e64 v10, v13, v7, s5
	v_cndmask_b32_e32 v13, v17, v3, vcc_lo
	v_cmp_eq_u32_e64 s3, 5, v132
	v_cndmask_b32_e64 v1, v1, v3, s4
	v_cmp_eq_u32_e32 vcc_lo, 5, v131
	v_cmp_eq_u32_e64 s5, 5, v129
	v_cndmask_b32_e64 v2, v2, v7, s4
	v_cmp_eq_u32_e64 s4, 5, v130
	v_cmp_eq_u32_e64 s6, 6, v129
	v_lshrrev_b32_e32 v12, 16, v4
	v_cndmask_b32_e64 v3, v5, v11, s5
	v_cndmask_b32_e64 v5, v6, v15, s5
	;; [unrolled: 1-line block ×3, first 2 shown]
	v_cmp_eq_u32_e64 s5, 6, v130
	v_cndmask_b32_e64 v7, v10, v15, s4
	v_cndmask_b32_e64 v9, v13, v11, s3
	;; [unrolled: 1-line block ×3, first 2 shown]
	v_cndmask_b32_e32 v1, v1, v11, vcc_lo
	v_cndmask_b32_e32 v2, v2, v15, vcc_lo
	v_cmp_eq_u32_e32 vcc_lo, 6, v132
	v_cmp_eq_u32_e64 s3, 6, v131
	v_lshrrev_b32_e32 v16, 16, v8
	v_cndmask_b32_e64 v3, v3, v4, s6
	v_cndmask_b32_e64 v5, v5, v8, s6
	v_cndmask_b32_e32 v9, v9, v4, vcc_lo
	v_cndmask_b32_e64 v6, v6, v4, s5
	v_cndmask_b32_e64 v7, v7, v8, s5
	v_cmp_eq_u32_e64 s4, 7, v132
	v_cndmask_b32_e32 v10, v10, v8, vcc_lo
	v_cndmask_b32_e64 v1, v1, v4, s3
	v_cmp_eq_u32_e32 vcc_lo, 7, v131
	v_cndmask_b32_e64 v2, v2, v8, s3
	v_cmp_eq_u32_e64 s3, 7, v129
	v_cmp_eq_u32_e64 s5, 7, v130
	v_cndmask_b32_e32 v1, v1, v12, vcc_lo
	s_delay_alu instid0(VALU_DEP_4) | instskip(NEXT) | instid1(VALU_DEP_4)
	v_cndmask_b32_e32 v2, v2, v16, vcc_lo
	v_cndmask_b32_e64 v8, v3, v12, s3
	s_delay_alu instid0(VALU_DEP_4)
	v_cndmask_b32_e64 v6, v6, v12, s5
	v_cndmask_b32_e64 v3, v9, v12, s4
	;; [unrolled: 1-line block ×5, first 2 shown]
	v_perm_b32 v4, v2, v1, 0x5040100
	s_mov_b32 s3, exec_lo
	v_perm_b32 v3, v9, v3, 0x5040100
	v_perm_b32 v2, v7, v6, 0x5040100
	;; [unrolled: 1-line block ×3, first 2 shown]
	ds_store_b128 v134, v[1:4]
	s_waitcnt lgkmcnt(0)
	s_barrier
	buffer_gl0_inv
	v_cmpx_gt_u32_e32 32, v0
	s_cbranch_execz .LBB200_2
; %bb.15:
	s_load_b64 s[4:5], s[0:1], 0x68
	v_lshlrev_b32_e32 v0, 10, v0
	v_add_nc_u32_e32 v2, s31, v138
	v_lshlrev_b32_e32 v3, 4, v139
	s_lshl_b32 s0, s35, 7
	s_delay_alu instid0(SALU_CYCLE_1) | instskip(NEXT) | instid1(VALU_DEP_2)
	s_mul_i32 s1, s0, s34
	v_mul_lo_u32 v1, v2, s0
	s_delay_alu instid0(VALU_DEP_2)
	v_and_or_b32 v0, 0x3800, v0, v3
	v_add_nc_u32_e32 v3, 2, v2
	s_mul_i32 s6, s1, s7
	v_add_nc_u32_e32 v4, 4, v2
	s_ashr_i32 s7, s6, 31
	v_lshl_or_b32 v11, v138, 6, v0
	s_lshl_b64 s[6:7], s[6:7], 1
	v_mul_lo_u32 v15, v3, s0
	v_mul_lo_u32 v17, v4, s0
	v_ashrrev_i32_e32 v2, 31, v1
	ds_load_b128 v[3:6], v11
	ds_load_b128 v[7:10], v11 offset:128
	ds_load_b128 v[11:14], v11 offset:256
	s_waitcnt lgkmcnt(0)
	s_add_u32 s1, s4, s6
	s_addc_u32 s3, s5, s7
	s_lshl_b32 s4, s14, 7
	v_ashrrev_i32_e32 v16, 31, v15
	s_ashr_i32 s5, s4, 31
	v_lshlrev_b64 v[19:20], 1, v[1:2]
	s_lshl_b64 s[4:5], s[4:5], 1
	v_ashrrev_i32_e32 v18, 31, v17
	s_add_u32 s1, s1, s4
	s_addc_u32 s3, s3, s5
	v_add_co_u32 v1, s1, s1, v137
	s_delay_alu instid0(VALU_DEP_1) | instskip(SKIP_1) | instid1(VALU_DEP_3)
	v_add_co_ci_u32_e64 v2, null, s3, 0, s1
	v_lshlrev_b64 v[15:16], 1, v[15:16]
	v_add_co_u32 v19, vcc_lo, v1, v19
	v_lshlrev_b64 v[17:18], 1, v[17:18]
	s_delay_alu instid0(VALU_DEP_4) | instskip(NEXT) | instid1(VALU_DEP_4)
	v_add_co_ci_u32_e32 v20, vcc_lo, v2, v20, vcc_lo
	v_add_co_u32 v15, vcc_lo, v1, v15
	v_add_co_ci_u32_e32 v16, vcc_lo, v2, v16, vcc_lo
	s_delay_alu instid0(VALU_DEP_4)
	v_add_co_u32 v17, vcc_lo, v1, v17
	v_add_co_ci_u32_e32 v18, vcc_lo, v2, v18, vcc_lo
	s_clause 0x2
	global_store_b128 v[19:20], v[3:6], off
	global_store_b128 v[15:16], v[7:10], off
	global_store_b128 v[17:18], v[11:14], off
	s_and_b32 exec_lo, exec_lo, s2
	s_cbranch_execz .LBB200_2
; %bb.16:
	ds_load_b128 v[3:6], v0 offset:384
	s_add_i32 s1, s31, 6
	s_delay_alu instid0(SALU_CYCLE_1) | instskip(NEXT) | instid1(SALU_CYCLE_1)
	s_mul_i32 s0, s1, s0
	s_ashr_i32 s1, s0, 31
	s_delay_alu instid0(SALU_CYCLE_1) | instskip(NEXT) | instid1(SALU_CYCLE_1)
	s_lshl_b64 s[0:1], s[0:1], 1
	v_add_co_u32 v0, vcc_lo, v1, s0
	v_add_co_ci_u32_e32 v1, vcc_lo, s1, v2, vcc_lo
	s_waitcnt lgkmcnt(0)
	global_store_b128 v[0:1], v[3:6], off
	s_nop 0
	s_sendmsg sendmsg(MSG_DEALLOC_VGPRS)
	s_endpgm
	.section	.rodata,"a",@progbits
	.p2align	6, 0x0
	.amdhsa_kernel _Z39paged_attention_ll4mi_QKV_mfma16_kernelIDF16_DF16_LN4vllm18Fp8KVCacheDataTypeE0EhLi16ELi128ELi256ELb1ELi7EL8MFMAType0EEvPKT_PKT0_S8_ifPKiSA_SA_iPKfiiiPfSD_PS3_PT2_iSC_SC_
		.amdhsa_group_segment_fixed_size 17472
		.amdhsa_private_segment_fixed_size 0
		.amdhsa_kernarg_size 400
		.amdhsa_user_sgpr_count 13
		.amdhsa_user_sgpr_dispatch_ptr 0
		.amdhsa_user_sgpr_queue_ptr 0
		.amdhsa_user_sgpr_kernarg_segment_ptr 1
		.amdhsa_user_sgpr_dispatch_id 0
		.amdhsa_user_sgpr_private_segment_size 0
		.amdhsa_wavefront_size32 1
		.amdhsa_uses_dynamic_stack 0
		.amdhsa_enable_private_segment 0
		.amdhsa_system_sgpr_workgroup_id_x 1
		.amdhsa_system_sgpr_workgroup_id_y 1
		.amdhsa_system_sgpr_workgroup_id_z 1
		.amdhsa_system_sgpr_workgroup_info 0
		.amdhsa_system_vgpr_workitem_id 0
		.amdhsa_next_free_vgpr 218
		.amdhsa_next_free_sgpr 52
		.amdhsa_reserve_vcc 1
		.amdhsa_float_round_mode_32 0
		.amdhsa_float_round_mode_16_64 0
		.amdhsa_float_denorm_mode_32 3
		.amdhsa_float_denorm_mode_16_64 3
		.amdhsa_dx10_clamp 1
		.amdhsa_ieee_mode 1
		.amdhsa_fp16_overflow 0
		.amdhsa_workgroup_processor_mode 1
		.amdhsa_memory_ordered 1
		.amdhsa_forward_progress 0
		.amdhsa_shared_vgpr_count 0
		.amdhsa_exception_fp_ieee_invalid_op 0
		.amdhsa_exception_fp_denorm_src 0
		.amdhsa_exception_fp_ieee_div_zero 0
		.amdhsa_exception_fp_ieee_overflow 0
		.amdhsa_exception_fp_ieee_underflow 0
		.amdhsa_exception_fp_ieee_inexact 0
		.amdhsa_exception_int_div_zero 0
	.end_amdhsa_kernel
	.section	.text._Z39paged_attention_ll4mi_QKV_mfma16_kernelIDF16_DF16_LN4vllm18Fp8KVCacheDataTypeE0EhLi16ELi128ELi256ELb1ELi7EL8MFMAType0EEvPKT_PKT0_S8_ifPKiSA_SA_iPKfiiiPfSD_PS3_PT2_iSC_SC_,"axG",@progbits,_Z39paged_attention_ll4mi_QKV_mfma16_kernelIDF16_DF16_LN4vllm18Fp8KVCacheDataTypeE0EhLi16ELi128ELi256ELb1ELi7EL8MFMAType0EEvPKT_PKT0_S8_ifPKiSA_SA_iPKfiiiPfSD_PS3_PT2_iSC_SC_,comdat
.Lfunc_end200:
	.size	_Z39paged_attention_ll4mi_QKV_mfma16_kernelIDF16_DF16_LN4vllm18Fp8KVCacheDataTypeE0EhLi16ELi128ELi256ELb1ELi7EL8MFMAType0EEvPKT_PKT0_S8_ifPKiSA_SA_iPKfiiiPfSD_PS3_PT2_iSC_SC_, .Lfunc_end200-_Z39paged_attention_ll4mi_QKV_mfma16_kernelIDF16_DF16_LN4vllm18Fp8KVCacheDataTypeE0EhLi16ELi128ELi256ELb1ELi7EL8MFMAType0EEvPKT_PKT0_S8_ifPKiSA_SA_iPKfiiiPfSD_PS3_PT2_iSC_SC_
                                        ; -- End function
	.section	.AMDGPU.csdata,"",@progbits
; Kernel info:
; codeLenInByte = 8108
; NumSgprs: 54
; NumVgprs: 218
; ScratchSize: 0
; MemoryBound: 0
; FloatMode: 240
; IeeeMode: 1
; LDSByteSize: 17472 bytes/workgroup (compile time only)
; SGPRBlocks: 6
; VGPRBlocks: 27
; NumSGPRsForWavesPerEU: 54
; NumVGPRsForWavesPerEU: 218
; Occupancy: 6
; WaveLimiterHint : 1
; COMPUTE_PGM_RSRC2:SCRATCH_EN: 0
; COMPUTE_PGM_RSRC2:USER_SGPR: 13
; COMPUTE_PGM_RSRC2:TRAP_HANDLER: 0
; COMPUTE_PGM_RSRC2:TGID_X_EN: 1
; COMPUTE_PGM_RSRC2:TGID_Y_EN: 1
; COMPUTE_PGM_RSRC2:TGID_Z_EN: 1
; COMPUTE_PGM_RSRC2:TIDIG_COMP_CNT: 0
	.section	.text._Z39paged_attention_ll4mi_QKV_mfma16_kernelIDF16_DF16_LN4vllm18Fp8KVCacheDataTypeE0EhLi16ELi128ELi256ELb1ELi8EL8MFMAType0EEvPKT_PKT0_S8_ifPKiSA_SA_iPKfiiiPfSD_PS3_PT2_iSC_SC_,"axG",@progbits,_Z39paged_attention_ll4mi_QKV_mfma16_kernelIDF16_DF16_LN4vllm18Fp8KVCacheDataTypeE0EhLi16ELi128ELi256ELb1ELi8EL8MFMAType0EEvPKT_PKT0_S8_ifPKiSA_SA_iPKfiiiPfSD_PS3_PT2_iSC_SC_,comdat
	.protected	_Z39paged_attention_ll4mi_QKV_mfma16_kernelIDF16_DF16_LN4vllm18Fp8KVCacheDataTypeE0EhLi16ELi128ELi256ELb1ELi8EL8MFMAType0EEvPKT_PKT0_S8_ifPKiSA_SA_iPKfiiiPfSD_PS3_PT2_iSC_SC_ ; -- Begin function _Z39paged_attention_ll4mi_QKV_mfma16_kernelIDF16_DF16_LN4vllm18Fp8KVCacheDataTypeE0EhLi16ELi128ELi256ELb1ELi8EL8MFMAType0EEvPKT_PKT0_S8_ifPKiSA_SA_iPKfiiiPfSD_PS3_PT2_iSC_SC_
	.globl	_Z39paged_attention_ll4mi_QKV_mfma16_kernelIDF16_DF16_LN4vllm18Fp8KVCacheDataTypeE0EhLi16ELi128ELi256ELb1ELi8EL8MFMAType0EEvPKT_PKT0_S8_ifPKiSA_SA_iPKfiiiPfSD_PS3_PT2_iSC_SC_
	.p2align	8
	.type	_Z39paged_attention_ll4mi_QKV_mfma16_kernelIDF16_DF16_LN4vllm18Fp8KVCacheDataTypeE0EhLi16ELi128ELi256ELb1ELi8EL8MFMAType0EEvPKT_PKT0_S8_ifPKiSA_SA_iPKfiiiPfSD_PS3_PT2_iSC_SC_,@function
_Z39paged_attention_ll4mi_QKV_mfma16_kernelIDF16_DF16_LN4vllm18Fp8KVCacheDataTypeE0EhLi16ELi128ELi256ELb1ELi8EL8MFMAType0EEvPKT_PKT0_S8_ifPKiSA_SA_iPKfiiiPfSD_PS3_PT2_iSC_SC_: ; @_Z39paged_attention_ll4mi_QKV_mfma16_kernelIDF16_DF16_LN4vllm18Fp8KVCacheDataTypeE0EhLi16ELi128ELi256ELb1ELi8EL8MFMAType0EEvPKT_PKT0_S8_ifPKiSA_SA_iPKfiiiPfSD_PS3_PT2_iSC_SC_
; %bb.0:
	s_load_b64 s[4:5], s[0:1], 0x30
	s_mov_b32 s30, s13
	s_waitcnt lgkmcnt(0)
	s_cmp_lg_u64 s[4:5], 0
	s_cselect_b32 s12, -1, 0
	s_ashr_i32 s31, s13, 31
	s_cmp_eq_u64 s[4:5], 0
	s_cbranch_scc1 .LBB201_3
; %bb.1:
	s_lshl_b64 s[2:3], s[30:31], 2
	s_delay_alu instid0(SALU_CYCLE_1) | instskip(SKIP_4) | instid1(SALU_CYCLE_1)
	s_add_u32 s2, s4, s2
	s_addc_u32 s3, s5, s3
	s_load_b64 s[2:3], s[2:3], 0x0
	s_waitcnt lgkmcnt(0)
	s_sub_i32 s2, s3, s2
	s_cmp_eq_u32 s2, 1
	s_cselect_b32 s2, -1, 0
	s_delay_alu instid0(SALU_CYCLE_1)
	s_and_not1_b32 vcc_lo, exec_lo, s2
	s_cbranch_vccz .LBB201_4
.LBB201_2:
	s_endpgm
.LBB201_3:
.LBB201_4:
	s_load_b64 s[2:3], s[0:1], 0x28
	s_lshl_b64 s[6:7], s[30:31], 2
	s_waitcnt lgkmcnt(0)
	s_add_u32 s2, s2, s6
	s_addc_u32 s3, s3, s7
	s_lshl_b32 s29, s14, 8
	s_load_b32 s28, s[2:3], 0x0
	s_waitcnt lgkmcnt(0)
	s_cmp_ge_i32 s29, s28
	s_cbranch_scc1 .LBB201_2
; %bb.5:
	s_clause 0x1
	s_load_b128 s[8:11], s[0:1], 0x8
	s_load_b64 s[2:3], s[0:1], 0x20
	s_and_not1_b32 vcc_lo, exec_lo, s12
	s_cbranch_vccnz .LBB201_7
; %bb.6:
	s_add_u32 s4, s4, s6
	s_addc_u32 s5, s5, s7
	s_load_b32 s12, s[4:5], 0x0
	s_branch .LBB201_8
.LBB201_7:
	s_mov_b32 s12, s30
.LBB201_8:
	s_load_b128 s[4:7], s[0:1], 0x48
	v_and_b32_e32 v141, 15, v0
	v_lshrrev_b32_e32 v140, 5, v0
	v_and_b32_e32 v142, 31, v0
	v_and_b32_e32 v139, 1, v0
	v_bfe_u32 v138, v0, 4, 1
	v_lshlrev_b32_e32 v1, 3, v141
	s_lshl_b32 s31, s15, 3
	s_waitcnt lgkmcnt(0)
	s_mov_b32 s7, exec_lo
	s_delay_alu instid0(VALU_DEP_1)
	v_lshlrev_b32_e32 v137, 1, v1
	v_cmpx_gt_u32_e32 0x80, v0
	s_cbranch_execz .LBB201_10
; %bb.9:
	v_lshl_or_b32 v5, v140, 1, v138
	s_load_b64 s[16:17], s[0:1], 0x0
	s_mul_hi_i32 s13, s12, s4
	s_mul_i32 s12, s12, s4
	v_lshlrev_b32_e32 v6, 10, v141
	v_or_b32_e32 v1, s31, v5
	s_lshl_b64 s[12:13], s[12:13], 1
	v_lshlrev_b32_e32 v5, 6, v5
	v_lshlrev_b32_e32 v7, 10, v139
	v_and_b32_e32 v6, 0x3800, v6
	v_lshlrev_b32_e32 v1, 7, v1
	s_delay_alu instid0(VALU_DEP_2) | instskip(NEXT) | instid1(VALU_DEP_2)
	v_or3_b32 v5, v6, v7, v5
	v_ashrrev_i32_e32 v2, 31, v1
	s_delay_alu instid0(VALU_DEP_1) | instskip(SKIP_3) | instid1(VALU_DEP_1)
	v_lshlrev_b64 v[1:2], 1, v[1:2]
	s_waitcnt lgkmcnt(0)
	s_add_u32 s4, s16, s12
	s_addc_u32 s12, s17, s13
	v_add_co_u32 v1, vcc_lo, s4, v1
	s_delay_alu instid0(VALU_DEP_2) | instskip(NEXT) | instid1(VALU_DEP_2)
	v_add_co_ci_u32_e32 v2, vcc_lo, s12, v2, vcc_lo
	v_add_co_u32 v1, vcc_lo, v1, v137
	s_delay_alu instid0(VALU_DEP_2)
	v_add_co_ci_u32_e32 v2, vcc_lo, 0, v2, vcc_lo
	global_load_b128 v[1:4], v[1:2], off
	s_waitcnt vmcnt(0)
	ds_store_b128 v5, v[1:4]
.LBB201_10:
	s_or_b32 exec_lo, exec_lo, s7
	s_mov_b32 s40, 0
	s_add_i32 s4, s28, 15
	s_mov_b32 s41, s40
	s_mov_b32 s42, s40
	;; [unrolled: 1-line block ×7, first 2 shown]
	s_delay_alu instid0(SALU_CYCLE_1)
	v_dual_mov_b32 v136, s47 :: v_dual_and_b32 v1, 0xef, v0
	v_mov_b32_e32 v134, s45
	s_clause 0x1
	s_load_b32 s7, s[0:1], 0x38
	s_load_b32 s33, s[0:1], 0x98
	v_add_nc_u32_e32 v1, s29, v1
	s_ashr_i32 s12, s4, 31
	s_load_b32 s34, s[0:1], 0x1c
	s_lshr_b32 s12, s12, 28
	s_waitcnt lgkmcnt(0)
	v_ashrrev_i32_e32 v2, 31, v1
	s_add_i32 s4, s4, s12
	v_cmp_gt_i32_e32 vcc_lo, s28, v1
	v_mov_b32_e32 v135, s46
	s_ashr_i32 s4, s4, 4
	v_lshrrev_b32_e32 v3, 28, v2
	v_or_b32_e32 v2, 16, v1
	s_add_i32 s4, s4, -1
	v_mov_b32_e32 v132, s43
	s_barrier
	v_add_nc_u32_e32 v4, v1, v3
	v_add_nc_u32_e32 v3, v2, v3
	buffer_gl0_inv
	v_lshlrev_b32_e32 v106, 5, v141
	s_mul_i32 s12, s30, s7
	v_ashrrev_i32_e32 v4, 4, v4
	v_ashrrev_i32_e32 v3, 4, v3
	s_ashr_i32 s13, s12, 31
	v_and_b32_e32 v105, 7, v0
	s_lshl_b64 s[12:13], s[12:13], 2
	v_cndmask_b32_e32 v1, s4, v4, vcc_lo
	v_cmp_gt_i32_e32 vcc_lo, s28, v2
	s_add_u32 s35, s2, s12
	s_addc_u32 s36, s3, s13
	s_mul_i32 s2, s15, s6
	v_ashrrev_i32_e32 v2, 31, v1
	v_cndmask_b32_e32 v3, s4, v3, vcc_lo
	s_ashr_i32 s3, s2, 31
	v_lshlrev_b32_e32 v215, 6, v105
	s_lshl_b64 s[2:3], s[2:3], 1
	v_lshlrev_b64 v[1:2], 2, v[1:2]
	v_ashrrev_i32_e32 v4, 31, v3
	s_add_u32 s22, s8, s2
	s_addc_u32 s23, s9, s3
	s_lshl_b32 s6, s14, 4
	v_lshl_or_b32 v125, v140, 9, v106
	v_lshlrev_b64 v[3:4], 2, v[3:4]
	v_add_co_u32 v1, vcc_lo, s35, v1
	v_add_co_ci_u32_e32 v2, vcc_lo, s36, v2, vcc_lo
	s_ashr_i32 s7, s6, 31
	s_delay_alu instid0(VALU_DEP_3) | instskip(NEXT) | instid1(VALU_DEP_4)
	v_add_co_u32 v3, vcc_lo, s35, v3
	v_add_co_ci_u32_e32 v4, vcc_lo, s36, v4, vcc_lo
	s_clause 0x1
	global_load_b32 v5, v[1:2], off
	global_load_b32 v6, v[3:4], off
	s_lshl_b64 s[6:7], s[6:7], 2
	v_dual_mov_b32 v130, s41 :: v_dual_lshlrev_b32 v3, 4, v0
	s_add_u32 s6, s35, s6
	s_addc_u32 s7, s36, s7
	s_or_b32 s8, s29, 16
	v_mov_b32_e32 v133, s44
	s_ashr_i32 s9, s8, 4
	s_cmp_lt_i32 s8, s28
	v_mov_b32_e32 v131, s42
	s_cselect_b32 s8, s9, s4
	v_mov_b32_e32 v129, s40
	s_ashr_i32 s9, s8, 31
	s_delay_alu instid0(SALU_CYCLE_1) | instskip(NEXT) | instid1(SALU_CYCLE_1)
	s_lshl_b64 s[8:9], s[8:9], 2
	s_add_u32 s8, s35, s8
	s_addc_u32 s9, s36, s9
	s_or_b32 s12, s29, 32
	s_delay_alu instid0(SALU_CYCLE_1) | instskip(SKIP_2) | instid1(SALU_CYCLE_1)
	s_ashr_i32 s13, s12, 4
	s_cmp_lt_i32 s12, s28
	s_cselect_b32 s12, s13, s4
	s_ashr_i32 s13, s12, 31
	s_delay_alu instid0(SALU_CYCLE_1) | instskip(NEXT) | instid1(SALU_CYCLE_1)
	s_lshl_b64 s[12:13], s[12:13], 2
	s_add_u32 s12, s35, s12
	s_addc_u32 s13, s36, s13
	s_or_b32 s15, s29, 48
	s_delay_alu instid0(SALU_CYCLE_1) | instskip(SKIP_2) | instid1(SALU_CYCLE_1)
	s_ashr_i32 s16, s15, 4
	s_cmp_lt_i32 s15, s28
	s_cselect_b32 s16, s16, s4
	;; [unrolled: 10-line block ×4, first 2 shown]
	s_ashr_i32 s21, s20, 31
	s_delay_alu instid0(SALU_CYCLE_1) | instskip(NEXT) | instid1(SALU_CYCLE_1)
	s_lshl_b64 s[20:21], s[20:21], 2
	s_add_u32 s20, s35, s20
	s_addc_u32 s21, s36, s21
	s_clause 0x5
	s_load_b32 s6, s[6:7], 0x0
	s_load_b32 s8, s[8:9], 0x0
	;; [unrolled: 1-line block ×6, first 2 shown]
	s_waitcnt vmcnt(1)
	v_mad_i64_i32 v[1:2], null, v5, s5, 0
	v_and_b32_e32 v5, 0xf0, v3
	s_waitcnt vmcnt(0)
	v_mad_i64_i32 v[3:4], null, v6, s5, 0
	s_delay_alu instid0(VALU_DEP_2) | instskip(NEXT) | instid1(VALU_DEP_4)
	v_add_co_u32 v5, s7, s22, v5
	v_lshlrev_b64 v[1:2], 1, v[1:2]
	v_add_co_ci_u32_e64 v6, null, s23, 0, s7
	s_delay_alu instid0(VALU_DEP_4) | instskip(SKIP_1) | instid1(VALU_DEP_3)
	v_lshlrev_b64 v[3:4], 1, v[3:4]
	s_or_b32 s7, s29, 0x60
	v_add_co_u32 v121, vcc_lo, v5, v1
	s_delay_alu instid0(VALU_DEP_3) | instskip(NEXT) | instid1(VALU_DEP_3)
	v_add_co_ci_u32_e32 v122, vcc_lo, v6, v2, vcc_lo
	v_add_co_u32 v123, vcc_lo, v5, v3
	s_delay_alu instid0(VALU_DEP_4)
	v_add_co_ci_u32_e32 v124, vcc_lo, v6, v4, vcc_lo
	s_clause 0x19
	global_load_b128 v[89:92], v[121:122], off
	global_load_b128 v[93:96], v[121:122], off offset:256
	global_load_b128 v[97:100], v[123:124], off
	global_load_b128 v[101:104], v[123:124], off offset:256
	global_load_b128 v[81:84], v[121:122], off offset:512
	;; [unrolled: 1-line block ×23, first 2 shown]
	s_ashr_i32 s9, s7, 4
	s_cmp_lt_i32 s7, s28
	ds_load_b128 v[105:108], v215
	ds_load_b128 v[109:112], v215 offset:1024
	s_cselect_b32 s20, s9, s4
	ds_load_b128 v[113:116], v215 offset:2048
	ds_load_b128 v[117:120], v215 offset:3072
	s_ashr_i32 s21, s20, 31
	ds_load_b128 v[143:146], v215 offset:4096
	ds_load_b128 v[147:150], v215 offset:5120
	s_lshl_b64 s[20:21], s[20:21], 2
	ds_load_b128 v[151:154], v215 offset:6144
	ds_load_b128 v[155:158], v215 offset:7168
	s_add_u32 s20, s35, s20
	s_addc_u32 s21, s36, s21
	s_or_b32 s7, s29, 0x70
	ds_load_b128 v[159:162], v215 offset:8192
	ds_load_b128 v[163:166], v215 offset:9216
	s_ashr_i32 s9, s7, 4
	s_cmp_lt_i32 s7, s28
	s_clause 0x1
	global_load_b128 v[167:170], v[123:124], off offset:3072
	global_load_b128 v[171:174], v[123:124], off offset:3328
	s_cselect_b32 s22, s9, s4
	s_delay_alu instid0(SALU_CYCLE_1) | instskip(NEXT) | instid1(SALU_CYCLE_1)
	s_ashr_i32 s23, s22, 31
	s_lshl_b64 s[22:23], s[22:23], 2
	s_delay_alu instid0(SALU_CYCLE_1)
	s_add_u32 s22, s35, s22
	s_addc_u32 s23, s36, s23
	s_clause 0x1
	s_load_b32 s44, s[20:21], 0x0
	s_load_b32 s45, s[22:23], 0x0
	s_clause 0x3
	global_load_b128 v[175:178], v[121:122], off offset:3584
	global_load_b128 v[179:182], v[121:122], off offset:3840
	;; [unrolled: 1-line block ×4, first 2 shown]
	s_or_b32 s7, s29, 0x80
	s_delay_alu instid0(SALU_CYCLE_1) | instskip(SKIP_2) | instid1(SALU_CYCLE_1)
	s_ashr_i32 s9, s7, 4
	s_cmp_lt_i32 s7, s28
	s_cselect_b32 s24, s9, s4
	s_ashr_i32 s25, s24, 31
	s_delay_alu instid0(SALU_CYCLE_1) | instskip(NEXT) | instid1(SALU_CYCLE_1)
	s_lshl_b64 s[24:25], s[24:25], 2
	s_add_u32 s24, s35, s24
	s_addc_u32 s25, s36, s25
	s_or_b32 s7, s29, 0x90
	s_delay_alu instid0(SALU_CYCLE_1) | instskip(SKIP_2) | instid1(SALU_CYCLE_1)
	s_ashr_i32 s9, s7, 4
	s_cmp_lt_i32 s7, s28
	s_cselect_b32 s26, s9, s4
	s_ashr_i32 s27, s26, 31
	s_delay_alu instid0(SALU_CYCLE_1) | instskip(NEXT) | instid1(SALU_CYCLE_1)
	s_lshl_b64 s[26:27], s[26:27], 2
	s_add_u32 s26, s35, s26
	s_addc_u32 s27, s36, s27
	s_or_b32 s7, s29, 0xa0
	s_delay_alu instid0(SALU_CYCLE_1)
	s_ashr_i32 s9, s7, 4
	s_cmp_lt_i32 s7, s28
	s_waitcnt lgkmcnt(0)
	s_mul_hi_i32 s7, s6, s5
	s_cselect_b32 s38, s9, s4
	s_mul_i32 s6, s6, s5
	s_ashr_i32 s39, s38, 31
	s_delay_alu instid0(SALU_CYCLE_1) | instskip(NEXT) | instid1(SALU_CYCLE_1)
	s_lshl_b64 s[38:39], s[38:39], 2
	s_add_u32 s38, s35, s38
	s_addc_u32 s39, s36, s39
	s_or_b32 s9, s29, 0xb0
	s_load_b32 s39, s[38:39], 0x0
	s_ashr_i32 s13, s9, 4
	s_cmp_lt_i32 s9, s28
	s_mul_hi_i32 s9, s8, s5
	s_cselect_b32 s40, s13, s4
	s_mul_i32 s8, s8, s5
	s_ashr_i32 s41, s40, 31
	s_mul_hi_i32 s13, s12, s5
	s_lshl_b64 s[40:41], s[40:41], 2
	s_mul_i32 s12, s12, s5
	s_add_u32 s42, s35, s40
	s_addc_u32 s43, s36, s41
	s_or_b32 s17, s29, 0xc0
	s_delay_alu instid0(SALU_CYCLE_1)
	s_ashr_i32 s19, s17, 4
	s_cmp_lt_i32 s17, s28
	s_mul_hi_i32 s17, s16, s5
	s_cselect_b32 s40, s19, s4
	s_mul_i32 s16, s16, s5
	s_ashr_i32 s41, s40, 31
	s_mul_hi_i32 s19, s18, s5
	s_lshl_b64 s[40:41], s[40:41], 2
	s_mul_i32 s18, s18, s5
	s_add_u32 s22, s35, s40
	s_addc_u32 s23, s36, s41
	s_or_b32 s20, s29, 0xd0
	s_clause 0x1
	s_load_b32 s41, s[24:25], 0x0
	s_load_b32 s40, s[26:27], 0x0
	s_ashr_i32 s21, s20, 4
	s_cmp_lt_i32 s20, s28
	s_mul_i32 s20, s15, s5
	s_cselect_b32 s24, s21, s4
	s_mul_hi_i32 s21, s15, s5
	s_ashr_i32 s25, s24, 31
	s_delay_alu instid0(SALU_CYCLE_1) | instskip(NEXT) | instid1(SALU_CYCLE_1)
	s_lshl_b64 s[24:25], s[24:25], 2
	s_add_u32 s24, s35, s24
	s_addc_u32 s25, s36, s25
	s_or_b32 s46, s29, 0xe0
	s_clause 0x2
	s_load_b32 s38, s[42:43], 0x0
	s_load_b32 s37, s[22:23], 0x0
	;; [unrolled: 1-line block ×3, first 2 shown]
	s_ashr_i32 s47, s46, 4
	s_cmp_lt_i32 s46, s28
	s_mul_hi_i32 s23, s44, s5
	s_cselect_b32 s42, s47, s4
	s_mul_i32 s22, s44, s5
	s_ashr_i32 s43, s42, 31
	s_mul_hi_i32 s25, s45, s5
	s_lshl_b64 s[42:43], s[42:43], 2
	s_mul_i32 s24, s45, s5
	s_add_u32 s42, s35, s42
	s_addc_u32 s43, s36, s43
	s_or_b32 s46, s29, 0xf0
	s_waitcnt lgkmcnt(0)
	s_mul_hi_i32 s27, s41, s5
	s_ashr_i32 s47, s46, 4
	s_cmp_lt_i32 s46, s28
	s_mul_i32 s26, s41, s5
	s_cselect_b32 s46, s47, s4
	s_mul_hi_i32 s41, s40, s5
	s_ashr_i32 s47, s46, 31
	s_mul_hi_i32 s51, s15, s5
	s_lshl_b64 s[46:47], s[46:47], 2
	s_mul_i32 s50, s15, s5
	s_add_u32 s46, s35, s46
	s_addc_u32 s47, s36, s47
	s_add_u32 s4, s10, s2
	s_addc_u32 s15, s11, s3
	v_add_co_u32 v216, s4, s4, v125
	s_delay_alu instid0(VALU_DEP_1) | instskip(SKIP_2) | instid1(VALU_DEP_2)
	v_add_co_ci_u32_e64 v217, null, s15, 0, s4
	s_lshl_b64 s[2:3], s[6:7], 1
	s_lshl_b64 s[6:7], s[8:9], 1
	v_add_co_u32 v125, vcc_lo, v216, s2
	s_delay_alu instid0(VALU_DEP_2)
	v_add_co_ci_u32_e32 v126, vcc_lo, s3, v217, vcc_lo
	v_add_co_u32 v199, vcc_lo, v216, s6
	s_lshl_b64 s[8:9], s[12:13], 1
	v_add_co_ci_u32_e32 v200, vcc_lo, s7, v217, vcc_lo
	s_lshl_b64 s[10:11], s[16:17], 1
	s_lshl_b64 s[12:13], s[18:19], 1
	;; [unrolled: 1-line block ×6, first 2 shown]
	s_mul_i32 s40, s40, s5
	s_mul_hi_i32 s45, s39, s5
	s_lshl_b64 s[24:25], s[40:41], 1
	s_mul_i32 s44, s39, s5
	s_mul_hi_i32 s39, s38, s5
	s_lshl_b64 s[26:27], s[44:45], 1
	s_mul_i32 s38, s38, s5
	s_mul_hi_i32 s49, s37, s5
	s_mul_i32 s48, s37, s5
	s_lshl_b64 s[36:37], s[38:39], 1
	s_lshl_b64 s[38:39], s[48:49], 1
	s_clause 0x1
	s_load_b32 s4, s[42:43], 0x0
	s_load_b32 s15, s[46:47], 0x0
	s_lshl_b64 s[40:41], s[50:51], 1
	s_waitcnt lgkmcnt(0)
	s_mul_hi_i32 s3, s4, s5
	s_mul_i32 s2, s4, s5
	s_mul_hi_i32 s7, s15, s5
	s_lshl_b64 s[2:3], s[2:3], 1
	s_mul_i32 s6, s15, s5
	s_waitcnt vmcnt(30)
	v_wmma_f32_16x16x16_f16 v[191:198], v[89:96], v[105:112], v[129:136]
	v_add_co_u32 v89, vcc_lo, v216, s8
	v_add_co_ci_u32_e32 v90, vcc_lo, s9, v217, vcc_lo
	v_add_co_u32 v91, vcc_lo, v216, s10
	v_add_co_ci_u32_e32 v92, vcc_lo, s11, v217, vcc_lo
	;; [unrolled: 2-line block ×5, first 2 shown]
	v_add_co_u32 v205, vcc_lo, v216, s20
	s_waitcnt vmcnt(28)
	v_wmma_f32_16x16x16_f16 v[129:136], v[97:104], v[105:112], v[129:136]
	v_add_co_ci_u32_e32 v206, vcc_lo, s21, v217, vcc_lo
	v_add_co_u32 v207, vcc_lo, v216, s22
	v_add_co_ci_u32_e32 v208, vcc_lo, s23, v217, vcc_lo
	v_add_co_u32 v209, vcc_lo, v216, s24
	s_waitcnt vmcnt(26)
	v_wmma_f32_16x16x16_f16 v[191:198], v[81:88], v[113:120], v[191:198]
	s_waitcnt vmcnt(24)
	v_wmma_f32_16x16x16_f16 v[129:136], v[73:80], v[113:120], v[129:136]
	v_add_co_ci_u32_e32 v210, vcc_lo, s25, v217, vcc_lo
	v_add_co_u32 v211, vcc_lo, v216, s26
	v_add_co_ci_u32_e32 v212, vcc_lo, s27, v217, vcc_lo
	v_add_co_u32 v213, vcc_lo, v216, s36
	s_waitcnt vmcnt(22)
	v_wmma_f32_16x16x16_f16 v[191:198], v[65:72], v[143:150], v[191:198]
	s_waitcnt vmcnt(20)
	v_wmma_f32_16x16x16_f16 v[129:136], v[57:64], v[143:150], v[129:136]
	v_add_co_ci_u32_e32 v214, vcc_lo, s37, v217, vcc_lo
	v_add_co_u32 v143, vcc_lo, v216, s38
	s_waitcnt vmcnt(18)
	v_wmma_f32_16x16x16_f16 v[191:198], v[49:56], v[151:158], v[191:198]
	s_waitcnt vmcnt(16)
	v_wmma_f32_16x16x16_f16 v[129:136], v[25:32], v[151:158], v[129:136]
	v_add_co_ci_u32_e32 v144, vcc_lo, s39, v217, vcc_lo
	s_clause 0x15
	global_load_b128 v[121:124], v[125:126], off
	global_load_b128 v[125:128], v[125:126], off offset:16
	global_load_b128 v[113:116], v[199:200], off
	global_load_b128 v[117:120], v[199:200], off offset:16
	global_load_b128 v[105:108], v[89:90], off
	global_load_b128 v[109:112], v[89:90], off offset:16
	global_load_b128 v[97:100], v[91:92], off
	global_load_b128 v[101:104], v[91:92], off offset:16
	global_load_b128 v[89:92], v[93:94], off
	global_load_b128 v[93:96], v[93:94], off offset:16
	global_load_b128 v[81:84], v[201:202], off
	global_load_b128 v[85:88], v[201:202], off offset:16
	global_load_b128 v[73:76], v[203:204], off
	global_load_b128 v[77:80], v[203:204], off offset:16
	global_load_b128 v[65:68], v[205:206], off
	global_load_b128 v[69:72], v[205:206], off offset:16
	global_load_b128 v[57:60], v[207:208], off
	global_load_b128 v[61:64], v[207:208], off offset:16
	global_load_b128 v[49:52], v[209:210], off
	global_load_b128 v[53:56], v[209:210], off offset:16
	global_load_b128 v[25:28], v[211:212], off
	global_load_b128 v[29:32], v[211:212], off offset:16
	s_waitcnt vmcnt(36)
	v_wmma_f32_16x16x16_f16 v[191:198], v[1:8], v[159:166], v[191:198]
	s_clause 0x1
	global_load_b128 v[1:4], v[213:214], off
	global_load_b128 v[5:8], v[213:214], off offset:16
	s_waitcnt vmcnt(36)
	v_wmma_f32_16x16x16_f16 v[129:136], v[9:16], v[159:166], v[129:136]
	s_clause 0x1
	global_load_b128 v[9:12], v[143:144], off
	global_load_b128 v[13:16], v[143:144], off offset:16
	ds_load_b128 v[143:146], v215 offset:10240
	ds_load_b128 v[147:150], v215 offset:11264
	;; [unrolled: 1-line block ×4, first 2 shown]
	v_add_co_u32 v199, vcc_lo, v216, s40
	v_add_co_ci_u32_e32 v200, vcc_lo, s41, v217, vcc_lo
	v_add_co_u32 v159, vcc_lo, v216, s2
	v_add_co_ci_u32_e32 v160, vcc_lo, s3, v217, vcc_lo
	s_lshl_b64 s[2:3], s[6:7], 1
	s_delay_alu instid0(SALU_CYCLE_1)
	v_add_co_u32 v161, vcc_lo, v216, s2
	v_add_co_ci_u32_e32 v162, vcc_lo, s3, v217, vcc_lo
	s_waitcnt vmcnt(36) lgkmcnt(2)
	v_wmma_f32_16x16x16_f16 v[191:198], v[41:48], v[143:150], v[191:198]
	s_waitcnt vmcnt(34)
	v_wmma_f32_16x16x16_f16 v[129:136], v[33:40], v[143:150], v[129:136]
	s_clause 0x3
	global_load_b128 v[33:36], v[199:200], off
	global_load_b128 v[37:40], v[199:200], off offset:16
	global_load_b128 v[41:44], v[159:160], off
	global_load_b128 v[45:48], v[159:160], off offset:16
	v_and_b32_e32 v143, 0xe0, v0
	v_mbcnt_lo_u32_b32 v159, -1, 0
	s_waitcnt vmcnt(36) lgkmcnt(0)
	v_wmma_f32_16x16x16_f16 v[191:198], v[17:24], v[151:158], v[191:198]
	s_clause 0x1
	global_load_b128 v[17:20], v[161:162], off
	global_load_b128 v[21:24], v[161:162], off offset:16
	s_waitcnt vmcnt(36)
	v_wmma_f32_16x16x16_f16 v[129:136], v[167:174], v[151:158], v[129:136]
	v_add_nc_u32_e32 v160, s29, v143
	ds_load_b128 v[143:146], v215 offset:14336
	ds_load_b128 v[147:150], v215 offset:15360
	v_xor_b32_e32 v151, 16, v159
	s_waitcnt vmcnt(0) lgkmcnt(0)
	s_barrier
	v_or_b32_e32 v152, v160, v138
	buffer_gl0_inv
	v_cmp_gt_i32_e32 vcc_lo, 32, v151
	v_or_b32_e32 v153, 2, v152
	v_or_b32_e32 v154, 4, v152
	v_or_b32_e32 v155, 6, v152
	v_or_b32_e32 v156, 8, v152
	v_or_b32_e32 v157, 10, v152
	v_cmp_gt_i32_e64 s2, s28, v153
	v_cmp_gt_i32_e64 s3, s28, v154
	;; [unrolled: 1-line block ×3, first 2 shown]
	v_or_b32_e32 v158, 12, v152
	v_cmp_gt_i32_e64 s5, s28, v156
	v_cmp_gt_i32_e64 s6, s28, v157
	v_wmma_f32_16x16x16_f16 v[191:198], v[175:182], v[143:150], v[191:198]
	v_wmma_f32_16x16x16_f16 v[129:136], v[183:190], v[143:150], v[129:136]
	v_cndmask_b32_e32 v151, v159, v151, vcc_lo
	v_cmp_gt_i32_e32 vcc_lo, s28, v152
	v_or_b32_e32 v159, 14, v152
	v_dual_mul_f32 v149, s34, v192 :: v_dual_mul_f32 v150, s34, v191
	v_dual_mul_f32 v147, s34, v194 :: v_dual_mul_f32 v148, s34, v193
	;; [unrolled: 1-line block ×3, first 2 shown]
	s_delay_alu instid0(VALU_DEP_3) | instskip(NEXT) | instid1(VALU_DEP_4)
	v_cndmask_b32_e32 v150, 0xff7fffff, v150, vcc_lo
	v_cndmask_b32_e64 v149, 0xff7fffff, v149, s2
	v_mul_f32_e32 v146, s34, v195
	v_cndmask_b32_e64 v148, 0xff7fffff, v148, s3
	v_cndmask_b32_e64 v147, 0xff7fffff, v147, s4
	v_or_b32_e32 v160, 16, v152
	v_max3_f32 v149, v150, 0xff7fffff, v149
	v_or_b32_e32 v161, 18, v152
	v_mul_f32_e32 v144, s34, v197
	v_dual_mul_f32 v172, s34, v132 :: v_dual_mul_f32 v143, s34, v198
	v_cndmask_b32_e64 v146, 0xff7fffff, v146, s5
	v_cndmask_b32_e64 v145, 0xff7fffff, v145, s6
	v_max3_f32 v147, v149, v148, v147
	v_cmp_gt_i32_e64 s7, s28, v158
	v_cmp_gt_i32_e64 s8, s28, v159
	v_or_b32_e32 v162, 20, v152
	v_or_b32_e32 v163, 22, v152
	v_mul_f32_e32 v175, s34, v129
	v_cndmask_b32_e64 v144, 0xff7fffff, v144, s7
	v_max3_f32 v145, v147, v146, v145
	v_cmp_gt_i32_e64 s9, s28, v160
	v_cmp_gt_i32_e64 s10, s28, v161
	v_lshlrev_b32_e32 v160, 2, v151
	v_cndmask_b32_e64 v143, 0xff7fffff, v143, s8
	v_or_b32_e32 v164, 24, v152
	v_or_b32_e32 v165, 26, v152
	v_mul_f32_e32 v173, s34, v131
	v_cndmask_b32_e64 v146, 0xff7fffff, v175, s9
	v_cndmask_b32_e64 v147, 0xff7fffff, v174, s10
	v_max3_f32 v143, v145, v144, v143
	v_cmp_gt_i32_e64 s11, s28, v162
	v_cmp_gt_i32_e64 s12, s28, v163
	v_or_b32_e32 v166, 28, v152
	v_or_b32_e32 v167, 30, v152
	v_dual_mul_f32 v170, s34, v134 :: v_dual_mul_f32 v171, s34, v133
	v_cndmask_b32_e64 v144, 0xff7fffff, v173, s11
	v_cndmask_b32_e64 v145, 0xff7fffff, v172, s12
	v_max3_f32 v143, v143, v146, v147
	v_cmp_gt_i32_e64 s13, s28, v164
	v_cmp_gt_i32_e64 s15, s28, v165
	v_dual_mul_f32 v168, s34, v136 :: v_dual_mul_f32 v169, s34, v135
	s_delay_alu instid0(VALU_DEP_4) | instskip(NEXT) | instid1(VALU_DEP_4)
	v_max3_f32 v143, v143, v144, v145
	v_cndmask_b32_e64 v146, 0xff7fffff, v171, s13
	s_delay_alu instid0(VALU_DEP_4) | instskip(SKIP_2) | instid1(VALU_DEP_3)
	v_cndmask_b32_e64 v147, 0xff7fffff, v170, s15
	v_cmp_gt_i32_e64 s16, s28, v166
	v_cmp_gt_i32_e64 s17, s28, v167
	v_max3_f32 v143, v143, v146, v147
	s_delay_alu instid0(VALU_DEP_3) | instskip(NEXT) | instid1(VALU_DEP_3)
	v_cndmask_b32_e64 v144, 0xff7fffff, v169, s16
	v_cndmask_b32_e64 v145, 0xff7fffff, v168, s17
	s_delay_alu instid0(VALU_DEP_1) | instskip(SKIP_3) | instid1(VALU_DEP_1)
	v_max3_f32 v143, v143, v144, v145
	ds_bpermute_b32 v144, v160, v143
	s_waitcnt lgkmcnt(0)
	v_max_f32_e32 v144, v144, v144
	v_max_f32_e32 v159, v143, v144
	s_delay_alu instid0(VALU_DEP_1) | instskip(SKIP_4) | instid1(VALU_DEP_4)
	v_fma_f32 v145, s34, v193, -v159
	v_fma_f32 v146, s34, v194, -v159
	;; [unrolled: 1-line block ×5, first 2 shown]
	v_dual_mul_f32 v145, 0x3fb8aa3b, v145 :: v_dual_mul_f32 v146, 0x3fb8aa3b, v146
	s_delay_alu instid0(VALU_DEP_4) | instskip(SKIP_1) | instid1(VALU_DEP_4)
	v_mul_f32_e32 v132, 0x3fb8aa3b, v132
	v_fma_f32 v148, s34, v195, -v159
	v_mul_f32_e32 v144, 0x3fb8aa3b, v144
	s_delay_alu instid0(VALU_DEP_4)
	v_exp_f32_e32 v145, v145
	v_exp_f32_e32 v150, v146
	v_fma_f32 v149, s34, v196, -v159
	v_mul_f32_e32 v148, 0x3fb8aa3b, v148
	v_exp_f32_e32 v147, v144
	v_fma_f32 v134, s34, v134, -v159
	v_fma_f32 v151, s34, v197, -v159
	v_mul_f32_e32 v149, 0x3fb8aa3b, v149
	v_exp_f32_e32 v148, v148
	v_fma_f32 v152, s34, v198, -v159
	v_cndmask_b32_e64 v146, 0, v145, s3
	v_cndmask_b32_e64 v145, 0, v150, s4
	v_dual_mul_f32 v143, 0x3fb8aa3b, v143 :: v_dual_mul_f32 v134, 0x3fb8aa3b, v134
	v_mul_f32_e32 v151, 0x3fb8aa3b, v151
	v_exp_f32_e32 v149, v149
	v_fma_f32 v129, s34, v129, -v159
	s_delay_alu instid0(VALU_DEP_3)
	v_exp_f32_e32 v143, v143
	v_mul_f32_e32 v150, 0x3fb8aa3b, v152
	v_exp_f32_e32 v151, v151
	v_cndmask_b32_e64 v148, 0, v148, s5
	v_fma_f32 v130, s34, v130, -v159
	v_mul_f32_e32 v129, 0x3fb8aa3b, v129
	v_exp_f32_e32 v153, v150
	v_fma_f32 v131, s34, v131, -v159
	v_fma_f32 v133, s34, v133, -v159
	v_mul_f32_e32 v130, 0x3fb8aa3b, v130
	v_cndmask_b32_e32 v144, 0, v143, vcc_lo
	v_cndmask_b32_e64 v143, 0, v147, s2
	v_exp_f32_e32 v129, v129
	v_cndmask_b32_e64 v150, 0, v151, s7
	v_mul_f32_e32 v131, 0x3fb8aa3b, v131
	v_add_f32_e32 v147, 0, v144
	v_exp_f32_e32 v130, v130
	v_mul_f32_e32 v133, 0x3fb8aa3b, v133
	v_exp_f32_e32 v132, v132
	v_exp_f32_e32 v131, v131
	v_add_f32_e32 v147, v147, v143
	s_mov_b32 s2, exec_lo
	v_exp_f32_e32 v133, v133
	s_delay_alu instid0(VALU_DEP_1)
	v_add_f32_e32 v147, v147, v146
	s_waitcnt_depctr 0xfff
	v_cndmask_b32_e64 v154, 0, v131, s11
	v_add_f32_e32 v152, v147, v145
	v_cndmask_b32_e64 v147, 0, v149, s6
	v_exp_f32_e32 v131, v134
	v_cndmask_b32_e64 v156, 0, v133, s13
	s_delay_alu instid0(VALU_DEP_3) | instskip(SKIP_1) | instid1(VALU_DEP_2)
	v_add_f32_e32 v149, v152, v148
	v_cndmask_b32_e64 v152, 0, v129, s9
	v_add_f32_e32 v151, v149, v147
	v_cndmask_b32_e64 v149, 0, v153, s8
	v_cndmask_b32_e64 v153, 0, v132, s12
	v_fma_f32 v132, s34, v136, -v159
	s_delay_alu instid0(TRANS32_DEP_1) | instskip(NEXT) | instid1(VALU_DEP_2)
	v_cndmask_b32_e64 v155, 0, v131, s15
	v_dual_add_f32 v151, v151, v150 :: v_dual_mul_f32 v132, 0x3fb8aa3b, v132
	s_delay_alu instid0(VALU_DEP_1) | instskip(SKIP_2) | instid1(VALU_DEP_4)
	v_add_f32_e32 v129, v151, v149
	v_cndmask_b32_e64 v151, 0, v130, s10
	v_fma_f32 v130, s34, v135, -v159
	v_exp_f32_e32 v131, v132
	s_delay_alu instid0(VALU_DEP_1) | instskip(NEXT) | instid1(VALU_DEP_1)
	v_dual_add_f32 v129, v129, v152 :: v_dual_mul_f32 v130, 0x3fb8aa3b, v130
	v_add_f32_e32 v129, v129, v151
	s_delay_alu instid0(VALU_DEP_2) | instskip(SKIP_3) | instid1(VALU_DEP_1)
	v_exp_f32_e32 v130, v130
	s_waitcnt_depctr 0xfff
	v_cndmask_b32_e64 v157, 0, v131, s17
	v_add_f32_e32 v129, v129, v154
	v_add_f32_e32 v129, v129, v153
	v_cndmask_b32_e64 v158, 0, v130, s16
	s_delay_alu instid0(VALU_DEP_2) | instskip(NEXT) | instid1(VALU_DEP_1)
	v_add_f32_e32 v129, v129, v156
	v_add_f32_e32 v129, v129, v155
	s_delay_alu instid0(VALU_DEP_1) | instskip(NEXT) | instid1(VALU_DEP_1)
	v_add_f32_e32 v129, v129, v158
	v_add_f32_e32 v129, v129, v157
	ds_bpermute_b32 v130, v160, v129
	v_cmpx_gt_u32_e32 16, v142
	s_cbranch_execz .LBB201_12
; %bb.11:
	v_mul_u32_u24_e32 v131, 0x44, v140
	s_delay_alu instid0(VALU_DEP_1) | instskip(SKIP_1) | instid1(VALU_DEP_1)
	v_lshl_add_u32 v131, v141, 2, v131
	s_waitcnt lgkmcnt(0)
	v_dual_add_f32 v129, v129, v130 :: v_dual_add_nc_u32 v130, 0x4000, v131
	ds_store_2addr_b32 v130, v159, v129 offset1:136
.LBB201_12:
	s_or_b32 exec_lo, exec_lo, s2
	v_lshlrev_b32_e32 v129, 2, v141
	s_load_b32 s34, s[0:1], 0x94
	s_waitcnt lgkmcnt(0)
	s_barrier
	buffer_gl0_inv
	v_add_nc_u32_e32 v135, 0x4000, v129
	v_cmp_eq_u32_e32 vcc_lo, 1, v140
	v_cmp_eq_u32_e64 s2, 2, v140
	v_cmp_eq_u32_e64 s3, 3, v140
	;; [unrolled: 1-line block ×3, first 2 shown]
	ds_load_2addr_b32 v[129:130], v135 offset1:17
	ds_load_2addr_b32 v[131:132], v135 offset0:34 offset1:51
	ds_load_2addr_b32 v[133:134], v135 offset0:68 offset1:85
	;; [unrolled: 1-line block ×3, first 2 shown]
	v_cmp_eq_u32_e64 s5, 5, v140
	v_cmp_eq_u32_e64 s6, 7, v140
	s_waitcnt lgkmcnt(3)
	v_max3_f32 v136, v129, 0xff7fffff, v130
	s_waitcnt lgkmcnt(2)
	s_delay_alu instid0(VALU_DEP_1) | instskip(SKIP_1) | instid1(VALU_DEP_1)
	v_max3_f32 v136, v136, v131, v132
	s_waitcnt lgkmcnt(1)
	v_max3_f32 v136, v136, v133, v134
	s_waitcnt lgkmcnt(0)
	s_delay_alu instid0(VALU_DEP_1) | instskip(NEXT) | instid1(VALU_DEP_1)
	v_max3_f32 v136, v136, v159, v160
	v_sub_f32_e32 v164, v132, v136
	ds_load_2addr_b32 v[161:162], v135 offset0:136 offset1:153
	v_sub_f32_e32 v142, v130, v136
	v_sub_f32_e32 v129, v129, v136
	v_mul_f32_e32 v164, 0x3fb8aa3b, v164
	s_delay_alu instid0(VALU_DEP_2)
	v_dual_mul_f32 v142, 0x3fb8aa3b, v142 :: v_dual_mul_f32 v163, 0x3fb8aa3b, v129
	ds_load_2addr_b32 v[129:130], v135 offset0:170 offset1:187
	v_exp_f32_e32 v164, v164
	v_exp_f32_e32 v166, v142
	;; [unrolled: 1-line block ×3, first 2 shown]
	s_waitcnt lgkmcnt(1)
	s_waitcnt_depctr 0xfff
	v_fma_f32 v142, v163, v161, 0
	s_delay_alu instid0(VALU_DEP_1) | instskip(NEXT) | instid1(VALU_DEP_1)
	v_dual_sub_f32 v131, v131, v136 :: v_dual_fmac_f32 v142, v166, v162
	v_mul_f32_e32 v165, 0x3fb8aa3b, v131
	ds_load_2addr_b32 v[131:132], v135 offset0:204 offset1:221
	v_exp_f32_e32 v165, v165
	s_waitcnt lgkmcnt(1)
	s_waitcnt_depctr 0xfff
	v_dual_sub_f32 v161, v134, v136 :: v_dual_fmac_f32 v142, v165, v129
	v_sub_f32_e32 v129, v160, v136
	s_delay_alu instid0(VALU_DEP_1) | instskip(SKIP_1) | instid1(VALU_DEP_2)
	v_dual_fmac_f32 v142, v164, v130 :: v_dual_mul_f32 v129, 0x3fb8aa3b, v129
	v_cndmask_b32_e32 v130, v163, v166, vcc_lo
	v_exp_f32_e32 v162, v129
	v_sub_f32_e32 v133, v133, v136
	s_delay_alu instid0(VALU_DEP_1)
	v_mul_f32_e32 v167, 0x3fb8aa3b, v133
	ds_load_2addr_b32 v[133:134], v135 offset0:238 offset1:255
	v_sub_f32_e32 v135, v159, v136
	v_mul_f32_e32 v159, 0x3fb8aa3b, v161
	s_waitcnt lgkmcnt(0)
	v_exp_f32_e32 v161, v167
	s_barrier
	buffer_gl0_inv
	v_exp_f32_e32 v159, v159
	v_fmac_f32_e32 v142, v161, v131
	s_waitcnt_depctr 0xfff
	v_dual_mul_f32 v135, 0x3fb8aa3b, v135 :: v_dual_fmac_f32 v142, v159, v132
	s_delay_alu instid0(VALU_DEP_1) | instskip(SKIP_2) | instid1(VALU_DEP_1)
	v_exp_f32_e32 v160, v135
	s_waitcnt_depctr 0xfff
	v_fmac_f32_e32 v142, v160, v133
	v_dual_fmac_f32 v142, v162, v134 :: v_dual_lshlrev_b32 v133, 6, v141
	s_delay_alu instid0(VALU_DEP_1) | instskip(NEXT) | instid1(VALU_DEP_2)
	v_lshl_or_b32 v135, v140, 11, v133
	v_add_f32_e32 v134, 0x358637bd, v142
	s_delay_alu instid0(VALU_DEP_1) | instskip(SKIP_1) | instid1(VALU_DEP_2)
	v_div_scale_f32 v167, null, v134, v134, 1.0
	v_div_scale_f32 v163, vcc_lo, 1.0, v134, 1.0
	v_rcp_f32_e32 v168, v167
	s_waitcnt_depctr 0xfff
	v_fma_f32 v129, -v167, v168, 1.0
	s_delay_alu instid0(VALU_DEP_1) | instskip(SKIP_2) | instid1(VALU_DEP_2)
	v_fmac_f32_e32 v168, v129, v168
	v_cndmask_b32_e64 v129, v130, v165, s2
	v_cmp_eq_u32_e64 s2, 6, v140
	v_cndmask_b32_e64 v130, v129, v164, s3
	v_lshlrev_b32_e32 v129, 2, v138
	s_delay_alu instid0(VALU_DEP_2) | instskip(NEXT) | instid1(VALU_DEP_2)
	v_cndmask_b32_e64 v141, v130, v161, s4
	v_or_b32_e32 v130, 1, v129
	v_or_b32_e32 v132, 2, v129
	v_cmp_eq_u32_e64 s3, 1, v129
	v_cmp_eq_u32_e64 s4, 2, v129
	v_cndmask_b32_e64 v140, v141, v159, s5
	v_cmp_eq_u32_e64 s8, 1, v130
	v_cmp_eq_u32_e64 s9, 1, v132
	;; [unrolled: 1-line block ×4, first 2 shown]
	v_cndmask_b32_e64 v140, v140, v160, s2
	v_cmp_eq_u32_e64 s12, 3, v130
	v_cmp_eq_u32_e64 s16, 3, v132
	;; [unrolled: 1-line block ×4, first 2 shown]
	v_cndmask_b32_e64 v140, v140, v162, s6
	v_mul_f32_e32 v165, v163, v168
	v_cmp_eq_u32_e64 s5, 5, v129
	v_cmp_eq_u32_e64 s19, 5, v130
	;; [unrolled: 1-line block ×4, first 2 shown]
	v_fma_f32 v131, -v167, v165, v163
	v_cmp_eq_u32_e64 s24, 6, v130
	v_cmp_eq_u32_e64 s6, 6, v129
	;; [unrolled: 1-line block ×4, first 2 shown]
	v_fmac_f32_e32 v165, v131, v168
	v_or_b32_e32 v131, 3, v129
	v_cmp_eq_u32_e64 s7, 7, v129
	v_cmp_eq_u32_e64 s27, 7, v132
	s_delay_alu instid0(VALU_DEP_4) | instskip(NEXT) | instid1(VALU_DEP_4)
	v_fma_f32 v141, -v167, v165, v163
	v_cmp_eq_u32_e64 s10, 1, v131
	v_cmp_eq_u32_e64 s15, 2, v131
	;; [unrolled: 1-line block ×4, first 2 shown]
	v_div_fmas_f32 v141, v141, v168, v165
	v_cmp_eq_u32_e32 vcc_lo, 3, v129
	v_cmp_eq_u32_e64 s23, 5, v131
	v_cmp_eq_u32_e64 s26, 6, v131
	;; [unrolled: 1-line block ×3, first 2 shown]
	v_div_fixup_f32 v141, v141, v134, 1.0
	v_lshl_or_b32 v134, v138, 4, v135
	s_delay_alu instid0(VALU_DEP_2) | instskip(NEXT) | instid1(VALU_DEP_1)
	v_mul_f32_e32 v140, v140, v141
	v_fma_mixlo_f16 v159, v140, v144, 0
	v_fma_mixlo_f16 v160, v140, v146, 0
	;; [unrolled: 1-line block ×8, first 2 shown]
	v_fma_mixhi_f16 v159, v140, v143, 0
	v_fma_mixhi_f16 v160, v140, v145, 0
	;; [unrolled: 1-line block ×8, first 2 shown]
	ds_store_b128 v134, v[159:162]
	ds_store_b128 v134, v[163:166] offset:1024
	s_waitcnt lgkmcnt(0)
	s_barrier
	buffer_gl0_inv
	ds_load_b128 v[143:146], v135
	ds_load_b128 v[147:150], v135 offset:16
	ds_load_b128 v[151:154], v135 offset:1024
	;; [unrolled: 1-line block ×3, first 2 shown]
	s_waitcnt lgkmcnt(3)
	v_lshrrev_b32_e32 v140, 16, v143
	s_waitcnt lgkmcnt(2)
	v_lshrrev_b32_e32 v161, 16, v147
	;; [unrolled: 2-line block ×4, first 2 shown]
	v_lshrrev_b32_e32 v141, 16, v144
	v_cndmask_b32_e64 v173, v143, v140, s3
	v_cndmask_b32_e64 v174, v147, v161, s3
	;; [unrolled: 1-line block ×7, first 2 shown]
	v_lshrrev_b32_e32 v162, 16, v148
	v_cndmask_b32_e64 v178, v147, v161, s9
	v_cndmask_b32_e64 v147, v151, v165, s3
	;; [unrolled: 1-line block ×16, first 2 shown]
	v_lshrrev_b32_e32 v166, 16, v152
	v_cndmask_b32_e64 v176, v178, v148, s13
	v_cndmask_b32_e64 v144, v147, v152, s4
	;; [unrolled: 1-line block ×7, first 2 shown]
	v_cndmask_b32_e32 v155, v165, v141, vcc_lo
	v_cndmask_b32_e32 v165, v169, v162, vcc_lo
	v_cndmask_b32_e64 v169, v173, v141, s12
	v_cndmask_b32_e64 v173, v174, v162, s12
	;; [unrolled: 1-line block ×5, first 2 shown]
	v_lshrrev_b32_e32 v159, 16, v145
	v_lshrrev_b32_e32 v163, 16, v149
	;; [unrolled: 1-line block ×3, first 2 shown]
	v_cndmask_b32_e64 v140, v140, v145, s21
	v_cndmask_b32_e64 v141, v141, v149, s21
	;; [unrolled: 1-line block ×3, first 2 shown]
	v_cndmask_b32_e32 v143, v144, v166, vcc_lo
	v_cndmask_b32_e32 v144, v147, v170, vcc_lo
	v_cndmask_b32_e64 v147, v148, v166, s12
	v_cndmask_b32_e64 v148, v155, v145, s2
	;; [unrolled: 1-line block ×7, first 2 shown]
	v_lshrrev_b32_e32 v160, 16, v146
	v_lshrrev_b32_e32 v164, 16, v150
	;; [unrolled: 1-line block ×4, first 2 shown]
	v_cndmask_b32_e64 v169, v174, v145, s20
	v_cndmask_b32_e64 v173, v175, v149, s20
	;; [unrolled: 1-line block ×20, first 2 shown]
	v_lshrrev_b32_e32 v168, 16, v154
	v_cndmask_b32_e64 v147, v147, v146, s6
	v_cndmask_b32_e64 v148, v148, v150, s6
	;; [unrolled: 1-line block ×9, first 2 shown]
	v_perm_b32 v146, v141, v140, 0x5040100
	v_cndmask_b32_e64 v140, v182, v156, s13
	v_cndmask_b32_e64 v141, v180, v156, s11
	;; [unrolled: 1-line block ×7, first 2 shown]
	v_perm_b32 v144, v155, v149, 0x5040100
	v_cndmask_b32_e64 v143, v161, v166, s16
	v_cndmask_b32_e64 v149, v151, v166, s17
	;; [unrolled: 1-line block ×15, first 2 shown]
	v_lshrrev_b32_e32 v172, 16, v158
	v_cndmask_b32_e64 v143, v143, v154, s25
	v_cndmask_b32_e64 v149, v149, v154, s26
	;; [unrolled: 1-line block ×12, first 2 shown]
	v_perm_b32 v145, v159, v145, 0x5040100
	v_perm_b32 v143, v148, v147, 0x5040100
	;; [unrolled: 1-line block ×6, first 2 shown]
	s_lshl_b32 s6, s33, 3
	s_mov_b32 s2, exec_lo
	ds_store_b128 v134, v[143:146]
	ds_store_b128 v134, v[147:150] offset:1024
	v_cmpx_gt_u32_e32 8, v0
	s_cbranch_execz .LBB201_14
; %bb.13:
	v_or_b32_e32 v140, s31, v0
	s_load_b128 s[8:11], s[0:1], 0x58
	s_delay_alu instid0(VALU_DEP_1) | instskip(NEXT) | instid1(VALU_DEP_1)
	v_mad_u64_u32 v[143:144], null, s6, s30, v[140:141]
	v_mad_u64_u32 v[140:141], null, v143, s34, s[14:15]
	s_delay_alu instid0(VALU_DEP_1) | instskip(NEXT) | instid1(VALU_DEP_1)
	v_ashrrev_i32_e32 v141, 31, v140
	v_lshlrev_b64 v[140:141], 2, v[140:141]
	s_waitcnt lgkmcnt(0)
	s_delay_alu instid0(VALU_DEP_1) | instskip(NEXT) | instid1(VALU_DEP_2)
	v_add_co_u32 v143, vcc_lo, s10, v140
	v_add_co_ci_u32_e32 v144, vcc_lo, s11, v141, vcc_lo
	v_add_co_u32 v140, vcc_lo, s8, v140
	v_add_co_ci_u32_e32 v141, vcc_lo, s9, v141, vcc_lo
	global_store_b32 v[143:144], v136, off
	global_store_b32 v[140:141], v142, off
.LBB201_14:
	s_or_b32 exec_lo, exec_lo, s2
	s_waitcnt lgkmcnt(0)
	s_waitcnt_vscnt null, 0x0
	s_barrier
	buffer_gl0_inv
	ds_load_b128 v[148:151], v133
	ds_load_b128 v[152:155], v133 offset:16
	ds_load_b128 v[160:163], v133 offset:1040
	;; [unrolled: 1-line block ×5, first 2 shown]
	v_cmp_eq_u32_e32 vcc_lo, 1, v132
	v_mov_b32_e32 v140, 0
	ds_load_b128 v[176:179], v133 offset:3088
	ds_load_b128 v[172:175], v133 offset:3072
	;; [unrolled: 1-line block ×4, first 2 shown]
	v_cmp_eq_u32_e64 s2, 1, v129
	v_cmp_eq_u32_e64 s3, 1, v131
	;; [unrolled: 1-line block ×3, first 2 shown]
	v_mov_b32_e32 v141, v140
	v_mov_b32_e32 v142, v140
	;; [unrolled: 1-line block ×7, first 2 shown]
	v_cmp_eq_u32_e64 s5, 2, v129
	s_waitcnt lgkmcnt(8)
	s_delay_alu instid0(VALU_DEP_2)
	v_wmma_f32_16x16x16_f16 v[140:147], v[121:128], v[148:155], v[140:147]
	ds_load_b128 v[125:128], v133 offset:5136
	ds_load_b128 v[121:124], v133 offset:5120
	s_waitcnt lgkmcnt(8)
	v_wmma_f32_16x16x16_f16 v[140:147], v[113:120], v[156:163], v[140:147]
	ds_load_b128 v[117:120], v133 offset:6160
	ds_load_b128 v[113:116], v133 offset:6144
	s_waitcnt lgkmcnt(8)
	;; [unrolled: 4-line block ×11, first 2 shown]
	s_barrier
	buffer_gl0_inv
	v_wmma_f32_16x16x16_f16 v[140:147], v[1:8], v[73:80], v[140:147]
	s_delay_alu instid0(VALU_DEP_1) | instskip(NEXT) | instid1(VALU_DEP_1)
	v_wmma_f32_16x16x16_f16 v[140:147], v[9:16], v[65:72], v[140:147]
	v_wmma_f32_16x16x16_f16 v[140:147], v[33:40], v[57:64], v[140:147]
	s_delay_alu instid0(VALU_DEP_1) | instskip(NEXT) | instid1(VALU_DEP_1)
	v_wmma_f32_16x16x16_f16 v[140:147], v[41:48], v[49:56], v[140:147]
	v_wmma_f32_16x16x16_f16 v[140:147], v[17:24], v[25:32], v[140:147]
	s_delay_alu instid0(VALU_DEP_1) | instskip(NEXT) | instid1(VALU_DEP_2)
	v_cvt_f16_f32_e64 v1, v140
	v_cvt_f16_f32_e64 v2, v141
	s_delay_alu instid0(VALU_DEP_3) | instskip(NEXT) | instid1(VALU_DEP_4)
	v_cvt_f16_f32_e64 v3, v142
	v_cvt_f16_f32_e64 v4, v143
	;; [unrolled: 1-line block ×6, first 2 shown]
	v_pack_b32_f16 v1, v1, v2
	v_pack_b32_f16 v2, v3, v4
	;; [unrolled: 1-line block ×3, first 2 shown]
	s_delay_alu instid0(VALU_DEP_4)
	v_pack_b32_f16 v4, v7, v8
	ds_store_b128 v134, v[1:4]
	s_waitcnt lgkmcnt(0)
	s_barrier
	buffer_gl0_inv
	ds_load_b128 v[1:4], v135
	ds_load_b128 v[5:8], v135 offset:16
	s_waitcnt lgkmcnt(1)
	v_lshrrev_b32_e32 v9, 16, v1
	s_waitcnt lgkmcnt(0)
	v_lshrrev_b32_e32 v13, 16, v5
	v_lshrrev_b32_e32 v10, 16, v2
	;; [unrolled: 1-line block ×4, first 2 shown]
	v_cndmask_b32_e64 v17, v1, v9, s2
	v_cndmask_b32_e64 v18, v5, v13, s2
	;; [unrolled: 1-line block ×3, first 2 shown]
	v_cmp_eq_u32_e64 s2, 2, v130
	v_cndmask_b32_e64 v20, v5, v13, s4
	v_cndmask_b32_e32 v21, v1, v9, vcc_lo
	v_cndmask_b32_e32 v22, v5, v13, vcc_lo
	v_cndmask_b32_e64 v1, v1, v9, s3
	v_cndmask_b32_e64 v5, v5, v13, s3
	v_cmp_eq_u32_e32 vcc_lo, 2, v132
	v_cmp_eq_u32_e64 s3, 2, v131
	v_cndmask_b32_e64 v9, v17, v2, s5
	v_cndmask_b32_e64 v13, v18, v6, s5
	;; [unrolled: 1-line block ×4, first 2 shown]
	v_cndmask_b32_e32 v19, v21, v2, vcc_lo
	v_cmp_eq_u32_e64 s2, 3, v132
	v_cndmask_b32_e32 v20, v22, v6, vcc_lo
	v_cndmask_b32_e64 v1, v1, v2, s3
	v_cmp_eq_u32_e32 vcc_lo, 3, v131
	v_cmp_eq_u32_e64 s4, 3, v129
	v_cndmask_b32_e64 v2, v5, v6, s3
	v_cmp_eq_u32_e64 s3, 3, v130
	v_cmp_eq_u32_e64 s5, 4, v129
	v_cndmask_b32_e32 v1, v1, v10, vcc_lo
	v_cndmask_b32_e64 v5, v9, v10, s4
	v_cndmask_b32_e64 v6, v13, v14, s4
	;; [unrolled: 1-line block ×3, first 2 shown]
	v_cmp_eq_u32_e64 s4, 4, v130
	v_cndmask_b32_e64 v13, v18, v14, s3
	v_cndmask_b32_e64 v17, v19, v10, s2
	;; [unrolled: 1-line block ×3, first 2 shown]
	v_cndmask_b32_e32 v2, v2, v14, vcc_lo
	v_cmp_eq_u32_e32 vcc_lo, 4, v132
	v_cmp_eq_u32_e64 s3, 4, v131
	v_lshrrev_b32_e32 v15, 16, v7
	v_cndmask_b32_e64 v5, v5, v3, s5
	v_cndmask_b32_e64 v6, v6, v7, s5
	v_cndmask_b32_e32 v14, v18, v7, vcc_lo
	v_cndmask_b32_e64 v9, v9, v3, s4
	v_cndmask_b32_e64 v10, v13, v7, s4
	v_cndmask_b32_e32 v13, v17, v3, vcc_lo
	v_cmp_eq_u32_e64 s2, 5, v132
	v_cndmask_b32_e64 v1, v1, v3, s3
	v_cmp_eq_u32_e32 vcc_lo, 5, v131
	v_cmp_eq_u32_e64 s4, 5, v129
	v_cndmask_b32_e64 v2, v2, v7, s3
	v_cmp_eq_u32_e64 s3, 5, v130
	v_cmp_eq_u32_e64 s5, 6, v129
	v_lshrrev_b32_e32 v12, 16, v4
	v_cndmask_b32_e64 v3, v5, v11, s4
	v_cndmask_b32_e64 v5, v6, v15, s4
	;; [unrolled: 1-line block ×3, first 2 shown]
	v_cmp_eq_u32_e64 s4, 6, v130
	v_cndmask_b32_e64 v7, v10, v15, s3
	v_cndmask_b32_e64 v9, v13, v11, s2
	;; [unrolled: 1-line block ×3, first 2 shown]
	v_cndmask_b32_e32 v1, v1, v11, vcc_lo
	v_cndmask_b32_e32 v2, v2, v15, vcc_lo
	v_cmp_eq_u32_e32 vcc_lo, 6, v132
	v_cmp_eq_u32_e64 s2, 6, v131
	v_lshrrev_b32_e32 v16, 16, v8
	v_cndmask_b32_e64 v3, v3, v4, s5
	v_cndmask_b32_e64 v5, v5, v8, s5
	v_cndmask_b32_e32 v9, v9, v4, vcc_lo
	v_cndmask_b32_e64 v6, v6, v4, s4
	v_cndmask_b32_e64 v7, v7, v8, s4
	v_cmp_eq_u32_e64 s3, 7, v132
	v_cndmask_b32_e32 v10, v10, v8, vcc_lo
	v_cndmask_b32_e64 v1, v1, v4, s2
	v_cmp_eq_u32_e32 vcc_lo, 7, v131
	v_cndmask_b32_e64 v2, v2, v8, s2
	v_cmp_eq_u32_e64 s2, 7, v129
	v_cmp_eq_u32_e64 s4, 7, v130
	v_cndmask_b32_e32 v1, v1, v12, vcc_lo
	s_delay_alu instid0(VALU_DEP_4) | instskip(NEXT) | instid1(VALU_DEP_4)
	v_cndmask_b32_e32 v2, v2, v16, vcc_lo
	v_cndmask_b32_e64 v8, v3, v12, s2
	s_delay_alu instid0(VALU_DEP_4)
	v_cndmask_b32_e64 v6, v6, v12, s4
	v_cndmask_b32_e64 v3, v9, v12, s3
	;; [unrolled: 1-line block ×5, first 2 shown]
	v_perm_b32 v4, v2, v1, 0x5040100
	s_mov_b32 s2, exec_lo
	v_perm_b32 v3, v9, v3, 0x5040100
	v_perm_b32 v2, v7, v6, 0x5040100
	;; [unrolled: 1-line block ×3, first 2 shown]
	ds_store_b128 v134, v[1:4]
	s_waitcnt lgkmcnt(0)
	s_barrier
	buffer_gl0_inv
	v_cmpx_gt_u32_e32 32, v0
	s_cbranch_execz .LBB201_2
; %bb.15:
	s_load_b64 s[0:1], s[0:1], 0x68
	s_lshl_b32 s4, s34, 7
	v_or_b32_e32 v2, s31, v138
	s_mul_i32 s2, s4, s30
	v_lshlrev_b32_e32 v1, 10, v0
	s_mul_i32 s2, s2, s6
	v_lshlrev_b32_e32 v3, 4, v139
	v_mul_lo_u32 v0, v2, s4
	s_ashr_i32 s3, s2, 31
	v_lshlrev_b32_e32 v4, 6, v138
	v_and_b32_e32 v1, 0x3800, v1
	v_or_b32_e32 v5, 2, v2
	s_lshl_b64 s[2:3], s[2:3], 1
	v_or_b32_e32 v6, 4, v2
	v_or_b32_e32 v7, 6, v2
	v_or3_b32 v12, v1, v3, v4
	v_ashrrev_i32_e32 v1, 31, v0
	v_mul_lo_u32 v2, v5, s4
	v_mul_lo_u32 v16, v6, s4
	;; [unrolled: 1-line block ×3, first 2 shown]
	s_waitcnt lgkmcnt(0)
	s_add_u32 s2, s0, s2
	s_addc_u32 s3, s1, s3
	s_lshl_b32 s0, s14, 7
	v_lshlrev_b64 v[0:1], 1, v[0:1]
	s_ashr_i32 s1, s0, 31
	v_ashrrev_i32_e32 v3, 31, v2
	s_lshl_b64 s[0:1], s[0:1], 1
	v_ashrrev_i32_e32 v17, 31, v16
	s_add_u32 s0, s2, s0
	s_addc_u32 s1, s3, s1
	v_add_co_u32 v24, s0, s0, v137
	s_delay_alu instid0(VALU_DEP_1) | instskip(SKIP_1) | instid1(VALU_DEP_3)
	v_add_co_ci_u32_e64 v25, null, s1, 0, s0
	v_lshlrev_b64 v[22:23], 1, v[2:3]
	v_add_co_u32 v18, vcc_lo, v24, v0
	s_delay_alu instid0(VALU_DEP_3)
	v_add_co_ci_u32_e32 v19, vcc_lo, v25, v1, vcc_lo
	ds_load_b128 v[0:3], v12
	ds_load_b128 v[4:7], v12 offset:128
	ds_load_b128 v[8:11], v12 offset:256
	;; [unrolled: 1-line block ×3, first 2 shown]
	v_ashrrev_i32_e32 v21, 31, v20
	v_lshlrev_b64 v[16:17], 1, v[16:17]
	v_add_co_u32 v22, vcc_lo, v24, v22
	v_add_co_ci_u32_e32 v23, vcc_lo, v25, v23, vcc_lo
	s_delay_alu instid0(VALU_DEP_4) | instskip(NEXT) | instid1(VALU_DEP_4)
	v_lshlrev_b64 v[20:21], 1, v[20:21]
	v_add_co_u32 v16, vcc_lo, v24, v16
	v_add_co_ci_u32_e32 v17, vcc_lo, v25, v17, vcc_lo
	s_delay_alu instid0(VALU_DEP_3) | instskip(NEXT) | instid1(VALU_DEP_4)
	v_add_co_u32 v20, vcc_lo, v24, v20
	v_add_co_ci_u32_e32 v21, vcc_lo, v25, v21, vcc_lo
	s_waitcnt lgkmcnt(3)
	global_store_b128 v[18:19], v[0:3], off
	s_waitcnt lgkmcnt(2)
	global_store_b128 v[22:23], v[4:7], off
	s_waitcnt lgkmcnt(1)
	global_store_b128 v[16:17], v[8:11], off
	s_waitcnt lgkmcnt(0)
	global_store_b128 v[20:21], v[12:15], off
	s_nop 0
	s_sendmsg sendmsg(MSG_DEALLOC_VGPRS)
	s_endpgm
	.section	.rodata,"a",@progbits
	.p2align	6, 0x0
	.amdhsa_kernel _Z39paged_attention_ll4mi_QKV_mfma16_kernelIDF16_DF16_LN4vllm18Fp8KVCacheDataTypeE0EhLi16ELi128ELi256ELb1ELi8EL8MFMAType0EEvPKT_PKT0_S8_ifPKiSA_SA_iPKfiiiPfSD_PS3_PT2_iSC_SC_
		.amdhsa_group_segment_fixed_size 17472
		.amdhsa_private_segment_fixed_size 0
		.amdhsa_kernarg_size 400
		.amdhsa_user_sgpr_count 13
		.amdhsa_user_sgpr_dispatch_ptr 0
		.amdhsa_user_sgpr_queue_ptr 0
		.amdhsa_user_sgpr_kernarg_segment_ptr 1
		.amdhsa_user_sgpr_dispatch_id 0
		.amdhsa_user_sgpr_private_segment_size 0
		.amdhsa_wavefront_size32 1
		.amdhsa_uses_dynamic_stack 0
		.amdhsa_enable_private_segment 0
		.amdhsa_system_sgpr_workgroup_id_x 1
		.amdhsa_system_sgpr_workgroup_id_y 1
		.amdhsa_system_sgpr_workgroup_id_z 1
		.amdhsa_system_sgpr_workgroup_info 0
		.amdhsa_system_vgpr_workitem_id 0
		.amdhsa_next_free_vgpr 218
		.amdhsa_next_free_sgpr 52
		.amdhsa_reserve_vcc 1
		.amdhsa_float_round_mode_32 0
		.amdhsa_float_round_mode_16_64 0
		.amdhsa_float_denorm_mode_32 3
		.amdhsa_float_denorm_mode_16_64 3
		.amdhsa_dx10_clamp 1
		.amdhsa_ieee_mode 1
		.amdhsa_fp16_overflow 0
		.amdhsa_workgroup_processor_mode 1
		.amdhsa_memory_ordered 1
		.amdhsa_forward_progress 0
		.amdhsa_shared_vgpr_count 0
		.amdhsa_exception_fp_ieee_invalid_op 0
		.amdhsa_exception_fp_denorm_src 0
		.amdhsa_exception_fp_ieee_div_zero 0
		.amdhsa_exception_fp_ieee_overflow 0
		.amdhsa_exception_fp_ieee_underflow 0
		.amdhsa_exception_fp_ieee_inexact 0
		.amdhsa_exception_int_div_zero 0
	.end_amdhsa_kernel
	.section	.text._Z39paged_attention_ll4mi_QKV_mfma16_kernelIDF16_DF16_LN4vllm18Fp8KVCacheDataTypeE0EhLi16ELi128ELi256ELb1ELi8EL8MFMAType0EEvPKT_PKT0_S8_ifPKiSA_SA_iPKfiiiPfSD_PS3_PT2_iSC_SC_,"axG",@progbits,_Z39paged_attention_ll4mi_QKV_mfma16_kernelIDF16_DF16_LN4vllm18Fp8KVCacheDataTypeE0EhLi16ELi128ELi256ELb1ELi8EL8MFMAType0EEvPKT_PKT0_S8_ifPKiSA_SA_iPKfiiiPfSD_PS3_PT2_iSC_SC_,comdat
.Lfunc_end201:
	.size	_Z39paged_attention_ll4mi_QKV_mfma16_kernelIDF16_DF16_LN4vllm18Fp8KVCacheDataTypeE0EhLi16ELi128ELi256ELb1ELi8EL8MFMAType0EEvPKT_PKT0_S8_ifPKiSA_SA_iPKfiiiPfSD_PS3_PT2_iSC_SC_, .Lfunc_end201-_Z39paged_attention_ll4mi_QKV_mfma16_kernelIDF16_DF16_LN4vllm18Fp8KVCacheDataTypeE0EhLi16ELi128ELi256ELb1ELi8EL8MFMAType0EEvPKT_PKT0_S8_ifPKiSA_SA_iPKfiiiPfSD_PS3_PT2_iSC_SC_
                                        ; -- End function
	.section	.AMDGPU.csdata,"",@progbits
; Kernel info:
; codeLenInByte = 8088
; NumSgprs: 54
; NumVgprs: 218
; ScratchSize: 0
; MemoryBound: 0
; FloatMode: 240
; IeeeMode: 1
; LDSByteSize: 17472 bytes/workgroup (compile time only)
; SGPRBlocks: 6
; VGPRBlocks: 27
; NumSGPRsForWavesPerEU: 54
; NumVGPRsForWavesPerEU: 218
; Occupancy: 6
; WaveLimiterHint : 1
; COMPUTE_PGM_RSRC2:SCRATCH_EN: 0
; COMPUTE_PGM_RSRC2:USER_SGPR: 13
; COMPUTE_PGM_RSRC2:TRAP_HANDLER: 0
; COMPUTE_PGM_RSRC2:TGID_X_EN: 1
; COMPUTE_PGM_RSRC2:TGID_Y_EN: 1
; COMPUTE_PGM_RSRC2:TGID_Z_EN: 1
; COMPUTE_PGM_RSRC2:TIDIG_COMP_CNT: 0
	.section	.text._Z39paged_attention_ll4mi_QKV_mfma16_kernelIDF16_DF16_LN4vllm18Fp8KVCacheDataTypeE0EhLi16ELi128ELi256ELb1ELi9EL8MFMAType0EEvPKT_PKT0_S8_ifPKiSA_SA_iPKfiiiPfSD_PS3_PT2_iSC_SC_,"axG",@progbits,_Z39paged_attention_ll4mi_QKV_mfma16_kernelIDF16_DF16_LN4vllm18Fp8KVCacheDataTypeE0EhLi16ELi128ELi256ELb1ELi9EL8MFMAType0EEvPKT_PKT0_S8_ifPKiSA_SA_iPKfiiiPfSD_PS3_PT2_iSC_SC_,comdat
	.protected	_Z39paged_attention_ll4mi_QKV_mfma16_kernelIDF16_DF16_LN4vllm18Fp8KVCacheDataTypeE0EhLi16ELi128ELi256ELb1ELi9EL8MFMAType0EEvPKT_PKT0_S8_ifPKiSA_SA_iPKfiiiPfSD_PS3_PT2_iSC_SC_ ; -- Begin function _Z39paged_attention_ll4mi_QKV_mfma16_kernelIDF16_DF16_LN4vllm18Fp8KVCacheDataTypeE0EhLi16ELi128ELi256ELb1ELi9EL8MFMAType0EEvPKT_PKT0_S8_ifPKiSA_SA_iPKfiiiPfSD_PS3_PT2_iSC_SC_
	.globl	_Z39paged_attention_ll4mi_QKV_mfma16_kernelIDF16_DF16_LN4vllm18Fp8KVCacheDataTypeE0EhLi16ELi128ELi256ELb1ELi9EL8MFMAType0EEvPKT_PKT0_S8_ifPKiSA_SA_iPKfiiiPfSD_PS3_PT2_iSC_SC_
	.p2align	8
	.type	_Z39paged_attention_ll4mi_QKV_mfma16_kernelIDF16_DF16_LN4vllm18Fp8KVCacheDataTypeE0EhLi16ELi128ELi256ELb1ELi9EL8MFMAType0EEvPKT_PKT0_S8_ifPKiSA_SA_iPKfiiiPfSD_PS3_PT2_iSC_SC_,@function
_Z39paged_attention_ll4mi_QKV_mfma16_kernelIDF16_DF16_LN4vllm18Fp8KVCacheDataTypeE0EhLi16ELi128ELi256ELb1ELi9EL8MFMAType0EEvPKT_PKT0_S8_ifPKiSA_SA_iPKfiiiPfSD_PS3_PT2_iSC_SC_: ; @_Z39paged_attention_ll4mi_QKV_mfma16_kernelIDF16_DF16_LN4vllm18Fp8KVCacheDataTypeE0EhLi16ELi128ELi256ELb1ELi9EL8MFMAType0EEvPKT_PKT0_S8_ifPKiSA_SA_iPKfiiiPfSD_PS3_PT2_iSC_SC_
; %bb.0:
	s_load_b64 s[4:5], s[0:1], 0x30
	s_mov_b32 s34, s13
	s_waitcnt lgkmcnt(0)
	s_cmp_lg_u64 s[4:5], 0
	s_cselect_b32 s8, -1, 0
	s_ashr_i32 s35, s13, 31
	s_cmp_eq_u64 s[4:5], 0
	s_cbranch_scc1 .LBB202_3
; %bb.1:
	s_lshl_b64 s[2:3], s[34:35], 2
	s_delay_alu instid0(SALU_CYCLE_1) | instskip(SKIP_4) | instid1(SALU_CYCLE_1)
	s_add_u32 s2, s4, s2
	s_addc_u32 s3, s5, s3
	s_load_b64 s[2:3], s[2:3], 0x0
	s_waitcnt lgkmcnt(0)
	s_sub_i32 s2, s3, s2
	s_cmp_eq_u32 s2, 1
	s_cselect_b32 s2, -1, 0
	s_delay_alu instid0(SALU_CYCLE_1)
	s_and_not1_b32 vcc_lo, exec_lo, s2
	s_cbranch_vccz .LBB202_4
.LBB202_2:
	s_nop 0
	s_sendmsg sendmsg(MSG_DEALLOC_VGPRS)
	s_endpgm
.LBB202_3:
.LBB202_4:
	s_load_b64 s[2:3], s[0:1], 0x28
	s_lshl_b64 s[6:7], s[34:35], 2
	s_waitcnt lgkmcnt(0)
	s_add_u32 s2, s2, s6
	s_addc_u32 s3, s3, s7
	s_lshl_b32 s29, s14, 8
	s_load_b32 s28, s[2:3], 0x0
	s_waitcnt lgkmcnt(0)
	s_cmp_ge_i32 s29, s28
	s_cbranch_scc1 .LBB202_2
; %bb.5:
	s_clause 0x1
	s_load_b128 s[20:23], s[0:1], 0x8
	s_load_b64 s[2:3], s[0:1], 0x20
	s_and_not1_b32 vcc_lo, exec_lo, s8
	s_cbranch_vccnz .LBB202_7
; %bb.6:
	s_add_u32 s4, s4, s6
	s_addc_u32 s5, s5, s7
	s_load_b32 s5, s[4:5], 0x0
	s_branch .LBB202_8
.LBB202_7:
	s_mov_b32 s5, s34
.LBB202_8:
	s_load_b128 s[16:19], s[0:1], 0x48
	v_and_b32_e32 v140, 15, v0
	v_lshrrev_b32_e32 v141, 5, v0
	v_bfe_u32 v138, v0, 4, 1
	v_and_b32_e32 v142, 31, v0
	v_and_b32_e32 v139, 1, v0
	v_lshlrev_b32_e32 v2, 3, v140
	s_mul_i32 s31, s15, 9
	v_lshl_or_b32 v1, v141, 1, v138
	s_mov_b32 s4, exec_lo
	s_delay_alu instid0(VALU_DEP_2) | instskip(NEXT) | instid1(VALU_DEP_2)
	v_lshlrev_b32_e32 v137, 1, v2
	v_cmpx_gt_u32_e32 9, v1
	s_cbranch_execz .LBB202_10
; %bb.9:
	s_load_b64 s[6:7], s[0:1], 0x0
	v_add_lshl_u32 v2, v1, s31, 7
	s_waitcnt lgkmcnt(0)
	s_mul_hi_i32 s9, s5, s16
	s_mul_i32 s8, s5, s16
	v_lshlrev_b32_e32 v6, 10, v140
	s_lshl_b64 s[8:9], s[8:9], 1
	v_ashrrev_i32_e32 v3, 31, v2
	v_lshlrev_b32_e32 v1, 6, v1
	v_lshlrev_b32_e32 v7, 10, v139
	v_and_b32_e32 v6, 0x3800, v6
	s_delay_alu instid0(VALU_DEP_4) | instskip(NEXT) | instid1(VALU_DEP_2)
	v_lshlrev_b64 v[2:3], 1, v[2:3]
	v_or3_b32 v1, v6, v7, v1
	s_add_u32 s5, s6, s8
	s_addc_u32 s6, s7, s9
	s_delay_alu instid0(VALU_DEP_2) | instskip(NEXT) | instid1(VALU_DEP_3)
	v_add_co_u32 v2, vcc_lo, s5, v2
	v_add_co_ci_u32_e32 v3, vcc_lo, s6, v3, vcc_lo
	s_delay_alu instid0(VALU_DEP_2) | instskip(NEXT) | instid1(VALU_DEP_2)
	v_add_co_u32 v2, vcc_lo, v2, v137
	v_add_co_ci_u32_e32 v3, vcc_lo, 0, v3, vcc_lo
	global_load_b128 v[2:5], v[2:3], off
	s_waitcnt vmcnt(0)
	ds_store_b128 v1, v[2:5]
.LBB202_10:
	s_or_b32 exec_lo, exec_lo, s4
	v_and_b32_e32 v1, 0xef, v0
	s_waitcnt lgkmcnt(0)
	s_add_i32 s5, s28, 15
	s_clause 0x1
	s_load_b32 s4, s[0:1], 0x38
	s_load_b32 s33, s[0:1], 0x98
	s_ashr_i32 s6, s5, 31
	v_add_nc_u32_e32 v1, s29, v1
	s_lshr_b32 s6, s6, 28
	s_load_b32 s30, s[0:1], 0x1c
	s_add_i32 s5, s5, s6
	s_waitcnt lgkmcnt(0)
	v_ashrrev_i32_e32 v2, 31, v1
	v_cmp_gt_i32_e32 vcc_lo, s28, v1
	s_ashr_i32 s16, s5, 4
	s_barrier
	s_add_i32 s16, s16, -1
	v_lshrrev_b32_e32 v3, 28, v2
	v_or_b32_e32 v2, 16, v1
	buffer_gl0_inv
	v_add_nc_u32_e32 v105, -9, v140
	v_lshlrev_b32_e32 v106, 5, v140
	v_add_nc_u32_e32 v4, v1, v3
	v_add_nc_u32_e32 v3, v2, v3
	s_mul_i32 s4, s34, s4
	s_delay_alu instid0(SALU_CYCLE_1) | instskip(NEXT) | instid1(VALU_DEP_2)
	s_ashr_i32 s5, s4, 31
	v_ashrrev_i32_e32 v4, 4, v4
	s_delay_alu instid0(VALU_DEP_2)
	v_ashrrev_i32_e32 v3, 4, v3
	s_lshl_b64 s[4:5], s[4:5], 2
	v_lshl_or_b32 v125, v141, 9, v106
	s_add_u32 s35, s2, s4
	v_cndmask_b32_e32 v1, s16, v4, vcc_lo
	v_cmp_gt_i32_e32 vcc_lo, s28, v2
	s_addc_u32 s36, s3, s5
	s_mul_i32 s2, s15, s18
	s_delay_alu instid0(VALU_DEP_2) | instskip(SKIP_2) | instid1(SALU_CYCLE_1)
	v_ashrrev_i32_e32 v2, 31, v1
	v_cndmask_b32_e32 v3, s16, v3, vcc_lo
	s_ashr_i32 s3, s2, 31
	s_lshl_b64 s[2:3], s[2:3], 1
	s_delay_alu instid0(VALU_DEP_2) | instskip(NEXT) | instid1(VALU_DEP_2)
	v_lshlrev_b64 v[1:2], 2, v[1:2]
	v_ashrrev_i32_e32 v4, 31, v3
	s_add_u32 s24, s20, s2
	s_addc_u32 s25, s21, s3
	s_lshl_b32 s4, s14, 4
	s_delay_alu instid0(VALU_DEP_1) | instskip(SKIP_3) | instid1(VALU_DEP_3)
	v_lshlrev_b64 v[3:4], 2, v[3:4]
	v_add_co_u32 v1, vcc_lo, s35, v1
	v_add_co_ci_u32_e32 v2, vcc_lo, s36, v2, vcc_lo
	s_ashr_i32 s5, s4, 31
	v_add_co_u32 v3, vcc_lo, s35, v3
	s_delay_alu instid0(VALU_DEP_4)
	v_add_co_ci_u32_e32 v4, vcc_lo, s36, v4, vcc_lo
	s_lshl_b64 s[4:5], s[4:5], 2
	s_clause 0x1
	global_load_b32 v5, v[1:2], off
	global_load_b32 v6, v[3:4], off
	s_add_u32 s4, s35, s4
	s_addc_u32 s5, s36, s5
	s_or_b32 s6, s29, 16
	v_lshlrev_b32_e32 v3, 4, v0
	s_ashr_i32 s7, s6, 4
	s_cmp_lt_i32 s6, s28
	s_cselect_b32 s6, s7, s16
	s_delay_alu instid0(SALU_CYCLE_1) | instskip(NEXT) | instid1(SALU_CYCLE_1)
	s_ashr_i32 s7, s6, 31
	s_lshl_b64 s[6:7], s[6:7], 2
	s_delay_alu instid0(SALU_CYCLE_1) | instskip(SKIP_2) | instid1(SALU_CYCLE_1)
	s_add_u32 s6, s35, s6
	s_addc_u32 s7, s36, s7
	s_or_b32 s8, s29, 32
	s_ashr_i32 s9, s8, 4
	s_cmp_lt_i32 s8, s28
	s_cselect_b32 s8, s9, s16
	s_delay_alu instid0(SALU_CYCLE_1) | instskip(NEXT) | instid1(SALU_CYCLE_1)
	s_ashr_i32 s9, s8, 31
	s_lshl_b64 s[8:9], s[8:9], 2
	s_delay_alu instid0(SALU_CYCLE_1) | instskip(SKIP_2) | instid1(SALU_CYCLE_1)
	s_add_u32 s8, s35, s8
	s_addc_u32 s9, s36, s9
	s_or_b32 s10, s29, 48
	;; [unrolled: 10-line block ×4, first 2 shown]
	s_ashr_i32 s13, s12, 4
	s_cmp_lt_i32 s12, s28
	s_cselect_b32 s12, s13, s16
	s_delay_alu instid0(SALU_CYCLE_1) | instskip(NEXT) | instid1(SALU_CYCLE_1)
	s_ashr_i32 s13, s12, 31
	s_lshl_b64 s[12:13], s[12:13], 2
	s_delay_alu instid0(SALU_CYCLE_1)
	s_add_u32 s20, s35, s12
	s_addc_u32 s21, s36, s13
	s_clause 0x5
	s_load_b32 s37, s[4:5], 0x0
	s_load_b32 s27, s[6:7], 0x0
	;; [unrolled: 1-line block ×6, first 2 shown]
	s_waitcnt vmcnt(1)
	v_mad_i64_i32 v[1:2], null, v5, s17, 0
	v_and_b32_e32 v5, 0xf0, v3
	s_waitcnt vmcnt(0)
	v_mad_i64_i32 v[3:4], null, v6, s17, 0
	s_delay_alu instid0(VALU_DEP_2) | instskip(NEXT) | instid1(VALU_DEP_4)
	v_add_co_u32 v5, s4, s24, v5
	v_lshlrev_b64 v[1:2], 1, v[1:2]
	v_add_co_ci_u32_e64 v6, null, s25, 0, s4
	s_delay_alu instid0(VALU_DEP_4) | instskip(SKIP_1) | instid1(VALU_DEP_3)
	v_lshlrev_b64 v[3:4], 1, v[3:4]
	s_or_b32 s4, s29, 0x60
	v_add_co_u32 v121, vcc_lo, v5, v1
	s_delay_alu instid0(VALU_DEP_3) | instskip(NEXT) | instid1(VALU_DEP_3)
	v_add_co_ci_u32_e32 v122, vcc_lo, v6, v2, vcc_lo
	v_add_co_u32 v123, vcc_lo, v5, v3
	s_delay_alu instid0(VALU_DEP_4)
	v_add_co_ci_u32_e32 v124, vcc_lo, v6, v4, vcc_lo
	s_clause 0x19
	global_load_b128 v[89:92], v[121:122], off
	global_load_b128 v[93:96], v[121:122], off offset:256
	global_load_b128 v[97:100], v[123:124], off
	global_load_b128 v[101:104], v[123:124], off offset:256
	global_load_b128 v[81:84], v[121:122], off offset:512
	;; [unrolled: 1-line block ×23, first 2 shown]
	s_ashr_i32 s5, s4, 4
	s_cmp_lt_i32 s4, s28
	v_cmp_gt_u32_e32 vcc_lo, 9, v140
	s_cselect_b32 s4, s5, s16
	s_delay_alu instid0(SALU_CYCLE_1) | instskip(NEXT) | instid1(SALU_CYCLE_1)
	s_ashr_i32 s5, s4, 31
	s_lshl_b64 s[4:5], s[4:5], 2
	v_cndmask_b32_e32 v105, v105, v140, vcc_lo
	s_add_u32 s18, s35, s4
	s_addc_u32 s19, s36, s5
	s_or_b32 s4, s29, 0x70
	s_delay_alu instid0(SALU_CYCLE_1)
	s_ashr_i32 s5, s4, 4
	s_cmp_lt_i32 s4, s28
	v_lshlrev_b32_e32 v215, 6, v105
	s_cselect_b32 s6, s5, s16
	ds_load_b128 v[105:108], v215
	ds_load_b128 v[109:112], v215 offset:1024
	s_ashr_i32 s7, s6, 31
	ds_load_b128 v[113:116], v215 offset:2048
	ds_load_b128 v[117:120], v215 offset:3072
	;; [unrolled: 1-line block ×8, first 2 shown]
	s_clause 0x1
	global_load_b128 v[167:170], v[123:124], off offset:3072
	global_load_b128 v[171:174], v[123:124], off offset:3328
	s_lshl_b64 s[6:7], s[6:7], 2
	s_mov_b32 s4, 0
	s_add_u32 s20, s35, s6
	s_addc_u32 s21, s36, s7
	s_clause 0x1
	s_load_b32 s41, s[18:19], 0x0
	s_load_b32 s46, s[20:21], 0x0
	s_clause 0x3
	global_load_b128 v[175:178], v[121:122], off offset:3584
	global_load_b128 v[179:182], v[121:122], off offset:3840
	global_load_b128 v[183:186], v[123:124], off offset:3584
	global_load_b128 v[187:190], v[123:124], off offset:3840
	s_or_b32 s7, s29, 0x80
	s_mov_b32 s5, s4
	s_ashr_i32 s8, s7, 4
	s_cmp_lt_i32 s7, s28
	s_mov_b32 s6, s4
	s_cselect_b32 s10, s8, s16
	s_mov_b32 s7, s4
	s_ashr_i32 s11, s10, 31
	s_mov_b32 s8, s4
	s_lshl_b64 s[24:25], s[10:11], 2
	s_mov_b32 s9, s4
	s_add_u32 s24, s35, s24
	s_addc_u32 s25, s36, s25
	s_or_b32 s11, s29, 0x90
	s_mov_b32 s10, s4
	s_ashr_i32 s38, s11, 4
	s_cmp_lt_i32 s11, s28
	s_mov_b32 s11, s4
	s_cselect_b32 s38, s38, s16
	v_mov_b32_e32 v136, s11
	s_ashr_i32 s39, s38, 31
	v_dual_mov_b32 v135, s10 :: v_dual_mov_b32 v134, s9
	v_dual_mov_b32 v133, s8 :: v_dual_mov_b32 v132, s7
	;; [unrolled: 1-line block ×3, first 2 shown]
	v_mov_b32_e32 v129, s4
	s_lshl_b64 s[4:5], s[38:39], 2
	s_waitcnt lgkmcnt(0)
	s_mul_hi_i32 s7, s27, s17
	s_add_u32 s38, s35, s4
	s_addc_u32 s39, s36, s5
	s_or_b32 s4, s29, 0xa0
	s_load_b32 s40, s[38:39], 0x0
	s_ashr_i32 s5, s4, 4
	s_cmp_lt_i32 s4, s28
	s_cselect_b32 s4, s5, s16
	s_delay_alu instid0(SALU_CYCLE_1) | instskip(NEXT) | instid1(SALU_CYCLE_1)
	s_ashr_i32 s5, s4, 31
	s_lshl_b64 s[4:5], s[4:5], 2
	s_delay_alu instid0(SALU_CYCLE_1)
	s_add_u32 s42, s35, s4
	s_addc_u32 s43, s36, s5
	s_or_b32 s4, s29, 0xb0
	s_load_b32 s39, s[42:43], 0x0
	s_ashr_i32 s6, s4, 4
	s_cmp_lt_i32 s4, s28
	s_mul_hi_i32 s5, s37, s17
	s_cselect_b32 s8, s6, s16
	s_mul_i32 s6, s27, s17
	s_ashr_i32 s9, s8, 31
	s_mul_i32 s4, s37, s17
	s_lshl_b64 s[10:11], s[8:9], 2
	s_mul_hi_i32 s9, s26, s17
	s_add_u32 s44, s35, s10
	s_addc_u32 s45, s36, s11
	s_or_b32 s10, s29, 0xc0
	s_mul_i32 s8, s26, s17
	s_ashr_i32 s26, s10, 4
	s_cmp_lt_i32 s10, s28
	s_mul_hi_i32 s11, s13, s17
	s_cselect_b32 s26, s26, s16
	s_mul_i32 s10, s13, s17
	s_ashr_i32 s27, s26, 31
	s_mul_hi_i32 s13, s12, s17
	s_lshl_b64 s[26:27], s[26:27], 2
	s_mul_i32 s12, s12, s17
	s_add_u32 s20, s35, s26
	s_addc_u32 s21, s36, s27
	s_or_b32 s18, s29, 0xd0
	s_load_b32 s26, s[24:25], 0x0
	s_ashr_i32 s19, s18, 4
	s_cmp_lt_i32 s18, s28
	s_mul_i32 s18, s15, s17
	s_cselect_b32 s24, s19, s16
	s_mul_hi_i32 s19, s15, s17
	s_ashr_i32 s25, s24, 31
	s_delay_alu instid0(SALU_CYCLE_1) | instskip(NEXT) | instid1(SALU_CYCLE_1)
	s_lshl_b64 s[24:25], s[24:25], 2
	s_add_u32 s24, s35, s24
	s_addc_u32 s25, s36, s25
	s_or_b32 s42, s29, 0xe0
	s_clause 0x2
	s_load_b32 s38, s[44:45], 0x0
	s_load_b32 s37, s[20:21], 0x0
	;; [unrolled: 1-line block ×3, first 2 shown]
	s_ashr_i32 s43, s42, 4
	s_cmp_lt_i32 s42, s28
	s_mul_hi_i32 s25, s46, s17
	s_cselect_b32 s42, s43, s16
	s_mul_i32 s24, s46, s17
	s_ashr_i32 s43, s42, 31
	s_mul_hi_i32 s21, s41, s17
	s_lshl_b64 s[42:43], s[42:43], 2
	s_mul_i32 s20, s41, s17
	s_add_u32 s42, s35, s42
	s_addc_u32 s43, s36, s43
	s_or_b32 s46, s29, 0xf0
	s_waitcnt lgkmcnt(0)
	s_mul_hi_i32 s27, s26, s17
	s_ashr_i32 s47, s46, 4
	s_cmp_lt_i32 s46, s28
	s_mul_i32 s26, s26, s17
	s_cselect_b32 s46, s47, s16
	s_mul_hi_i32 s41, s40, s17
	s_ashr_i32 s47, s46, 31
	s_mul_hi_i32 s51, s15, s17
	s_lshl_b64 s[46:47], s[46:47], 2
	s_mul_i32 s50, s15, s17
	s_add_u32 s46, s35, s46
	s_addc_u32 s47, s36, s47
	s_add_u32 s15, s22, s2
	s_addc_u32 s16, s23, s3
	v_add_co_u32 v216, s15, s15, v125
	s_delay_alu instid0(VALU_DEP_1) | instskip(SKIP_2) | instid1(VALU_DEP_2)
	v_add_co_ci_u32_e64 v217, null, s16, 0, s15
	s_lshl_b64 s[2:3], s[4:5], 1
	s_lshl_b64 s[4:5], s[6:7], 1
	v_add_co_u32 v125, vcc_lo, v216, s2
	s_delay_alu instid0(VALU_DEP_2)
	v_add_co_ci_u32_e32 v126, vcc_lo, s3, v217, vcc_lo
	v_add_co_u32 v199, vcc_lo, v216, s4
	s_lshl_b64 s[6:7], s[8:9], 1
	v_add_co_ci_u32_e32 v200, vcc_lo, s5, v217, vcc_lo
	s_lshl_b64 s[8:9], s[10:11], 1
	s_lshl_b64 s[10:11], s[12:13], 1
	;; [unrolled: 1-line block ×6, first 2 shown]
	s_mul_i32 s40, s40, s17
	s_mul_hi_i32 s45, s39, s17
	s_lshl_b64 s[24:25], s[40:41], 1
	s_mul_i32 s44, s39, s17
	s_mul_hi_i32 s39, s38, s17
	s_lshl_b64 s[26:27], s[44:45], 1
	s_mul_i32 s38, s38, s17
	s_mul_hi_i32 s49, s37, s17
	s_mul_i32 s48, s37, s17
	s_lshl_b64 s[36:37], s[38:39], 1
	s_lshl_b64 s[38:39], s[48:49], 1
	s_clause 0x1
	s_load_b32 s15, s[42:43], 0x0
	s_load_b32 s16, s[46:47], 0x0
	s_lshl_b64 s[40:41], s[50:51], 1
	s_waitcnt lgkmcnt(0)
	s_mul_hi_i32 s3, s15, s17
	s_mul_i32 s2, s15, s17
	s_mul_hi_i32 s5, s16, s17
	s_lshl_b64 s[2:3], s[2:3], 1
	s_mul_i32 s4, s16, s17
	s_waitcnt vmcnt(30)
	v_wmma_f32_16x16x16_f16 v[191:198], v[89:96], v[105:112], v[129:136]
	v_add_co_u32 v89, vcc_lo, v216, s6
	v_add_co_ci_u32_e32 v90, vcc_lo, s7, v217, vcc_lo
	v_add_co_u32 v91, vcc_lo, v216, s8
	v_add_co_ci_u32_e32 v92, vcc_lo, s9, v217, vcc_lo
	;; [unrolled: 2-line block ×5, first 2 shown]
	v_add_co_u32 v205, vcc_lo, v216, s20
	s_waitcnt vmcnt(28)
	v_wmma_f32_16x16x16_f16 v[129:136], v[97:104], v[105:112], v[129:136]
	v_add_co_ci_u32_e32 v206, vcc_lo, s21, v217, vcc_lo
	v_add_co_u32 v207, vcc_lo, v216, s22
	v_add_co_ci_u32_e32 v208, vcc_lo, s23, v217, vcc_lo
	v_add_co_u32 v209, vcc_lo, v216, s24
	s_waitcnt vmcnt(26)
	v_wmma_f32_16x16x16_f16 v[191:198], v[81:88], v[113:120], v[191:198]
	s_waitcnt vmcnt(24)
	v_wmma_f32_16x16x16_f16 v[129:136], v[73:80], v[113:120], v[129:136]
	v_add_co_ci_u32_e32 v210, vcc_lo, s25, v217, vcc_lo
	v_add_co_u32 v211, vcc_lo, v216, s26
	v_add_co_ci_u32_e32 v212, vcc_lo, s27, v217, vcc_lo
	v_add_co_u32 v213, vcc_lo, v216, s36
	s_waitcnt vmcnt(22)
	v_wmma_f32_16x16x16_f16 v[191:198], v[65:72], v[143:150], v[191:198]
	s_waitcnt vmcnt(20)
	v_wmma_f32_16x16x16_f16 v[129:136], v[57:64], v[143:150], v[129:136]
	v_add_co_ci_u32_e32 v214, vcc_lo, s37, v217, vcc_lo
	v_add_co_u32 v143, vcc_lo, v216, s38
	s_waitcnt vmcnt(18)
	v_wmma_f32_16x16x16_f16 v[191:198], v[49:56], v[151:158], v[191:198]
	s_waitcnt vmcnt(16)
	v_wmma_f32_16x16x16_f16 v[129:136], v[25:32], v[151:158], v[129:136]
	v_add_co_ci_u32_e32 v144, vcc_lo, s39, v217, vcc_lo
	s_clause 0x15
	global_load_b128 v[121:124], v[125:126], off
	global_load_b128 v[125:128], v[125:126], off offset:16
	global_load_b128 v[113:116], v[199:200], off
	global_load_b128 v[117:120], v[199:200], off offset:16
	;; [unrolled: 2-line block ×11, first 2 shown]
	s_waitcnt vmcnt(36)
	v_wmma_f32_16x16x16_f16 v[191:198], v[1:8], v[159:166], v[191:198]
	s_clause 0x1
	global_load_b128 v[1:4], v[213:214], off
	global_load_b128 v[5:8], v[213:214], off offset:16
	s_waitcnt vmcnt(36)
	v_wmma_f32_16x16x16_f16 v[129:136], v[9:16], v[159:166], v[129:136]
	s_clause 0x1
	global_load_b128 v[9:12], v[143:144], off
	global_load_b128 v[13:16], v[143:144], off offset:16
	ds_load_b128 v[143:146], v215 offset:10240
	ds_load_b128 v[147:150], v215 offset:11264
	;; [unrolled: 1-line block ×4, first 2 shown]
	v_add_co_u32 v199, vcc_lo, v216, s40
	v_add_co_ci_u32_e32 v200, vcc_lo, s41, v217, vcc_lo
	v_add_co_u32 v159, vcc_lo, v216, s2
	v_add_co_ci_u32_e32 v160, vcc_lo, s3, v217, vcc_lo
	s_lshl_b64 s[2:3], s[4:5], 1
	s_delay_alu instid0(SALU_CYCLE_1)
	v_add_co_u32 v161, vcc_lo, v216, s2
	v_add_co_ci_u32_e32 v162, vcc_lo, s3, v217, vcc_lo
	s_waitcnt vmcnt(36) lgkmcnt(2)
	v_wmma_f32_16x16x16_f16 v[191:198], v[33:40], v[143:150], v[191:198]
	s_waitcnt vmcnt(34)
	v_wmma_f32_16x16x16_f16 v[129:136], v[41:48], v[143:150], v[129:136]
	s_clause 0x3
	global_load_b128 v[33:36], v[199:200], off
	global_load_b128 v[37:40], v[199:200], off offset:16
	global_load_b128 v[41:44], v[159:160], off
	global_load_b128 v[45:48], v[159:160], off offset:16
	v_and_b32_e32 v143, 0xe0, v0
	v_mbcnt_lo_u32_b32 v159, -1, 0
	s_waitcnt vmcnt(36) lgkmcnt(0)
	v_wmma_f32_16x16x16_f16 v[191:198], v[17:24], v[151:158], v[191:198]
	s_clause 0x1
	global_load_b128 v[17:20], v[161:162], off
	global_load_b128 v[21:24], v[161:162], off offset:16
	s_waitcnt vmcnt(36)
	v_wmma_f32_16x16x16_f16 v[129:136], v[167:174], v[151:158], v[129:136]
	v_add_nc_u32_e32 v160, s29, v143
	ds_load_b128 v[143:146], v215 offset:14336
	ds_load_b128 v[147:150], v215 offset:15360
	v_xor_b32_e32 v151, 16, v159
	s_waitcnt vmcnt(0) lgkmcnt(0)
	s_barrier
	v_or_b32_e32 v152, v160, v138
	buffer_gl0_inv
	v_cmp_gt_i32_e32 vcc_lo, 32, v151
	v_or_b32_e32 v153, 2, v152
	v_or_b32_e32 v154, 4, v152
	;; [unrolled: 1-line block ×5, first 2 shown]
	v_cmp_gt_i32_e64 s2, s28, v153
	v_cmp_gt_i32_e64 s3, s28, v154
	;; [unrolled: 1-line block ×3, first 2 shown]
	v_or_b32_e32 v158, 12, v152
	v_cmp_gt_i32_e64 s5, s28, v156
	v_cmp_gt_i32_e64 s6, s28, v157
	v_wmma_f32_16x16x16_f16 v[191:198], v[175:182], v[143:150], v[191:198]
	v_wmma_f32_16x16x16_f16 v[129:136], v[183:190], v[143:150], v[129:136]
	v_cndmask_b32_e32 v151, v159, v151, vcc_lo
	v_cmp_gt_i32_e32 vcc_lo, s28, v152
	v_or_b32_e32 v159, 14, v152
	v_dual_mul_f32 v149, s30, v192 :: v_dual_mul_f32 v150, s30, v191
	v_dual_mul_f32 v147, s30, v194 :: v_dual_mul_f32 v148, s30, v193
	v_mul_f32_e32 v145, s30, v196
	s_delay_alu instid0(VALU_DEP_3) | instskip(NEXT) | instid1(VALU_DEP_4)
	v_cndmask_b32_e64 v149, 0xff7fffff, v149, s2
	v_cndmask_b32_e32 v150, 0xff7fffff, v150, vcc_lo
	v_mul_f32_e32 v146, s30, v195
	v_cndmask_b32_e64 v148, 0xff7fffff, v148, s3
	v_cndmask_b32_e64 v147, 0xff7fffff, v147, s4
	v_or_b32_e32 v160, 16, v152
	v_max3_f32 v149, v150, 0xff7fffff, v149
	v_or_b32_e32 v161, 18, v152
	v_dual_mul_f32 v143, s30, v198 :: v_dual_mul_f32 v144, s30, v197
	v_cndmask_b32_e64 v146, 0xff7fffff, v146, s5
	v_cndmask_b32_e64 v145, 0xff7fffff, v145, s6
	v_max3_f32 v147, v149, v148, v147
	v_cmp_gt_i32_e64 s7, s28, v158
	v_cmp_gt_i32_e64 s8, s28, v159
	v_or_b32_e32 v162, 20, v152
	v_or_b32_e32 v163, 22, v152
	v_dual_mul_f32 v174, s30, v130 :: v_dual_mul_f32 v175, s30, v129
	v_cndmask_b32_e64 v144, 0xff7fffff, v144, s7
	v_cndmask_b32_e64 v143, 0xff7fffff, v143, s8
	v_max3_f32 v145, v147, v146, v145
	v_cmp_gt_i32_e64 s9, s28, v160
	v_cmp_gt_i32_e64 s10, s28, v161
	v_or_b32_e32 v164, 24, v152
	;; [unrolled: 8-line block ×3, first 2 shown]
	v_or_b32_e32 v167, 30, v152
	v_dual_mul_f32 v170, s30, v134 :: v_dual_mul_f32 v171, s30, v133
	v_cndmask_b32_e64 v144, 0xff7fffff, v173, s11
	v_cndmask_b32_e64 v145, 0xff7fffff, v172, s12
	v_max3_f32 v143, v143, v146, v147
	v_cmp_gt_i32_e64 s13, s28, v164
	v_cmp_gt_i32_e64 s15, s28, v165
	v_dual_mul_f32 v168, s30, v136 :: v_dual_mul_f32 v169, s30, v135
	s_delay_alu instid0(VALU_DEP_4) | instskip(NEXT) | instid1(VALU_DEP_4)
	v_max3_f32 v143, v143, v144, v145
	v_cndmask_b32_e64 v146, 0xff7fffff, v171, s13
	s_delay_alu instid0(VALU_DEP_4) | instskip(SKIP_3) | instid1(VALU_DEP_4)
	v_cndmask_b32_e64 v147, 0xff7fffff, v170, s15
	v_cmp_gt_i32_e64 s16, s28, v166
	v_cmp_gt_i32_e64 s17, s28, v167
	v_lshlrev_b32_e32 v160, 2, v151
	v_max3_f32 v143, v143, v146, v147
	s_delay_alu instid0(VALU_DEP_4) | instskip(NEXT) | instid1(VALU_DEP_4)
	v_cndmask_b32_e64 v144, 0xff7fffff, v169, s16
	v_cndmask_b32_e64 v145, 0xff7fffff, v168, s17
	s_delay_alu instid0(VALU_DEP_1) | instskip(SKIP_3) | instid1(VALU_DEP_1)
	v_max3_f32 v143, v143, v144, v145
	ds_bpermute_b32 v144, v160, v143
	s_waitcnt lgkmcnt(0)
	v_max_f32_e32 v144, v144, v144
	v_max_f32_e32 v159, v143, v144
	s_delay_alu instid0(VALU_DEP_1) | instskip(SKIP_4) | instid1(VALU_DEP_4)
	v_fma_f32 v143, s30, v191, -v159
	v_fma_f32 v144, s30, v192, -v159
	;; [unrolled: 1-line block ×5, first 2 shown]
	v_dual_mul_f32 v143, 0x3fb8aa3b, v143 :: v_dual_mul_f32 v144, 0x3fb8aa3b, v144
	s_delay_alu instid0(VALU_DEP_4) | instskip(SKIP_2) | instid1(VALU_DEP_4)
	v_mul_f32_e32 v132, 0x3fb8aa3b, v132
	v_fma_f32 v134, s30, v134, -v159
	v_mul_f32_e32 v145, 0x3fb8aa3b, v145
	v_exp_f32_e32 v143, v143
	v_exp_f32_e32 v147, v144
	v_fma_f32 v148, s30, v195, -v159
	v_mul_f32_e32 v134, 0x3fb8aa3b, v134
	v_mul_f32_e32 v146, 0x3fb8aa3b, v146
	v_exp_f32_e32 v145, v145
	v_fma_f32 v149, s30, v196, -v159
	v_mul_f32_e32 v148, 0x3fb8aa3b, v148
	v_fma_f32 v151, s30, v197, -v159
	v_exp_f32_e32 v150, v146
	v_cndmask_b32_e32 v144, 0, v143, vcc_lo
	v_cndmask_b32_e64 v143, 0, v147, s2
	v_mul_f32_e32 v149, 0x3fb8aa3b, v149
	v_exp_f32_e32 v148, v148
	v_fma_f32 v152, s30, v198, -v159
	v_add_f32_e32 v147, 0, v144
	v_cndmask_b32_e64 v146, 0, v145, s3
	v_mul_f32_e32 v151, 0x3fb8aa3b, v151
	v_exp_f32_e32 v149, v149
	v_cndmask_b32_e64 v145, 0, v150, s4
	v_add_f32_e32 v147, v147, v143
	v_fma_f32 v129, s30, v129, -v159
	v_mul_f32_e32 v150, 0x3fb8aa3b, v152
	v_exp_f32_e32 v151, v151
	v_cndmask_b32_e64 v148, 0, v148, s5
	v_add_f32_e32 v147, v147, v146
	v_fma_f32 v130, s30, v130, -v159
	v_mul_f32_e32 v129, 0x3fb8aa3b, v129
	v_exp_f32_e32 v153, v150
	v_fma_f32 v131, s30, v131, -v159
	v_add_f32_e32 v152, v147, v145
	v_cndmask_b32_e64 v147, 0, v149, s6
	v_mul_f32_e32 v130, 0x3fb8aa3b, v130
	v_exp_f32_e32 v129, v129
	v_cndmask_b32_e64 v150, 0, v151, s7
	v_add_f32_e32 v149, v152, v148
	v_mul_f32_e32 v131, 0x3fb8aa3b, v131
	v_exp_f32_e32 v130, v130
	v_fma_f32 v133, s30, v133, -v159
	v_exp_f32_e32 v132, v132
	v_add_f32_e32 v151, v149, v147
	v_cndmask_b32_e64 v149, 0, v153, s8
	v_exp_f32_e32 v131, v131
	v_cndmask_b32_e64 v152, 0, v129, s9
	v_mul_f32_e32 v133, 0x3fb8aa3b, v133
	v_add_f32_e32 v151, v151, v150
	v_cmp_gt_u32_e64 s2, 16, v142
	s_delay_alu instid0(VALU_DEP_3) | instskip(NEXT) | instid1(VALU_DEP_2)
	v_exp_f32_e32 v133, v133
	v_add_f32_e32 v129, v151, v149
	v_cndmask_b32_e64 v151, 0, v130, s10
	v_fma_f32 v130, s30, v135, -v159
	s_delay_alu instid0(TRANS32_DEP_2)
	v_cndmask_b32_e64 v154, 0, v131, s11
	v_exp_f32_e32 v131, v134
	v_add_f32_e32 v129, v129, v152
	v_cndmask_b32_e64 v153, 0, v132, s12
	v_mul_f32_e32 v130, 0x3fb8aa3b, v130
	v_fma_f32 v132, s30, v136, -v159
	v_cndmask_b32_e64 v156, 0, v133, s13
	v_add_f32_e32 v129, v129, v151
	s_delay_alu instid0(VALU_DEP_4) | instskip(NEXT) | instid1(VALU_DEP_3)
	v_exp_f32_e32 v130, v130
	v_mul_f32_e32 v132, 0x3fb8aa3b, v132
	s_delay_alu instid0(TRANS32_DEP_2) | instskip(NEXT) | instid1(VALU_DEP_3)
	v_cndmask_b32_e64 v155, 0, v131, s15
	v_add_f32_e32 v129, v129, v154
	s_delay_alu instid0(VALU_DEP_3) | instskip(NEXT) | instid1(VALU_DEP_1)
	v_exp_f32_e32 v131, v132
	v_add_f32_e32 v129, v129, v153
	s_waitcnt_depctr 0xfff
	v_cndmask_b32_e64 v158, 0, v130, s16
	v_add_f32_e32 v129, v129, v156
	v_cndmask_b32_e64 v157, 0, v131, s17
	s_delay_alu instid0(VALU_DEP_2) | instskip(NEXT) | instid1(VALU_DEP_1)
	v_add_f32_e32 v129, v129, v155
	v_add_f32_e32 v129, v129, v158
	s_delay_alu instid0(VALU_DEP_1)
	v_add_f32_e32 v129, v129, v157
	ds_bpermute_b32 v130, v160, v129
	s_and_saveexec_b32 s3, s2
	s_cbranch_execz .LBB202_12
; %bb.11:
	v_mul_u32_u24_e32 v131, 0x44, v141
	s_delay_alu instid0(VALU_DEP_1) | instskip(SKIP_1) | instid1(VALU_DEP_1)
	v_lshl_add_u32 v131, v140, 2, v131
	s_waitcnt lgkmcnt(0)
	v_dual_add_f32 v129, v129, v130 :: v_dual_add_nc_u32 v130, 0x4000, v131
	ds_store_2addr_b32 v130, v159, v129 offset1:136
.LBB202_12:
	s_or_b32 exec_lo, exec_lo, s3
	v_lshlrev_b32_e32 v129, 2, v140
	s_load_b32 s35, s[0:1], 0x94
	s_waitcnt lgkmcnt(0)
	s_barrier
	buffer_gl0_inv
	v_add_nc_u32_e32 v135, 0x4000, v129
	v_cmp_eq_u32_e32 vcc_lo, 1, v141
	v_cmp_eq_u32_e64 s3, 2, v141
	v_cmp_eq_u32_e64 s4, 3, v141
	;; [unrolled: 1-line block ×3, first 2 shown]
	ds_load_2addr_b32 v[129:130], v135 offset1:17
	ds_load_2addr_b32 v[131:132], v135 offset0:34 offset1:51
	ds_load_2addr_b32 v[133:134], v135 offset0:68 offset1:85
	;; [unrolled: 1-line block ×3, first 2 shown]
	v_cmp_eq_u32_e64 s6, 5, v141
	v_cmp_eq_u32_e64 s7, 7, v141
	s_waitcnt lgkmcnt(3)
	v_max3_f32 v136, v129, 0xff7fffff, v130
	s_waitcnt lgkmcnt(2)
	s_delay_alu instid0(VALU_DEP_1) | instskip(SKIP_1) | instid1(VALU_DEP_1)
	v_max3_f32 v136, v136, v131, v132
	s_waitcnt lgkmcnt(1)
	v_max3_f32 v136, v136, v133, v134
	s_waitcnt lgkmcnt(0)
	s_delay_alu instid0(VALU_DEP_1) | instskip(NEXT) | instid1(VALU_DEP_1)
	v_max3_f32 v136, v136, v159, v160
	v_sub_f32_e32 v142, v130, v136
	ds_load_2addr_b32 v[161:162], v135 offset0:136 offset1:153
	v_sub_f32_e32 v164, v132, v136
	v_mul_f32_e32 v142, 0x3fb8aa3b, v142
	s_delay_alu instid0(VALU_DEP_2) | instskip(NEXT) | instid1(VALU_DEP_2)
	v_mul_f32_e32 v164, 0x3fb8aa3b, v164
	v_exp_f32_e32 v166, v142
	v_sub_f32_e32 v129, v129, v136
	s_delay_alu instid0(VALU_DEP_2) | instskip(NEXT) | instid1(VALU_DEP_1)
	v_exp_f32_e32 v164, v164
	v_mul_f32_e32 v163, 0x3fb8aa3b, v129
	ds_load_2addr_b32 v[129:130], v135 offset0:170 offset1:187
	v_exp_f32_e32 v163, v163
	s_waitcnt lgkmcnt(1)
	s_waitcnt_depctr 0xfff
	v_fma_f32 v142, v163, v161, 0
	v_sub_f32_e32 v161, v134, v136
	s_delay_alu instid0(VALU_DEP_2) | instskip(NEXT) | instid1(VALU_DEP_1)
	v_dual_fmac_f32 v142, v166, v162 :: v_dual_sub_f32 v131, v131, v136
	v_mul_f32_e32 v165, 0x3fb8aa3b, v131
	ds_load_2addr_b32 v[131:132], v135 offset0:204 offset1:221
	v_exp_f32_e32 v165, v165
	s_waitcnt lgkmcnt(1)
	s_waitcnt_depctr 0xfff
	v_fmac_f32_e32 v142, v165, v129
	v_sub_f32_e32 v133, v133, v136
	v_sub_f32_e32 v129, v160, v136
	s_delay_alu instid0(VALU_DEP_2) | instskip(NEXT) | instid1(VALU_DEP_2)
	v_dual_fmac_f32 v142, v164, v130 :: v_dual_mul_f32 v167, 0x3fb8aa3b, v133
	v_mul_f32_e32 v129, 0x3fb8aa3b, v129
	ds_load_2addr_b32 v[133:134], v135 offset0:238 offset1:255
	v_cndmask_b32_e32 v130, v163, v166, vcc_lo
	s_waitcnt lgkmcnt(0)
	s_barrier
	v_exp_f32_e32 v162, v129
	v_sub_f32_e32 v135, v159, v136
	v_mul_f32_e32 v159, 0x3fb8aa3b, v161
	v_exp_f32_e32 v161, v167
	buffer_gl0_inv
	v_exp_f32_e32 v159, v159
	v_fmac_f32_e32 v142, v161, v131
	s_waitcnt_depctr 0xfff
	v_dual_mul_f32 v135, 0x3fb8aa3b, v135 :: v_dual_fmac_f32 v142, v159, v132
	s_delay_alu instid0(VALU_DEP_1) | instskip(SKIP_2) | instid1(VALU_DEP_1)
	v_exp_f32_e32 v160, v135
	s_waitcnt_depctr 0xfff
	v_dual_fmac_f32 v142, v160, v133 :: v_dual_lshlrev_b32 v133, 6, v140
	v_fmac_f32_e32 v142, v162, v134
	s_delay_alu instid0(VALU_DEP_2) | instskip(NEXT) | instid1(VALU_DEP_2)
	v_lshl_or_b32 v135, v141, 11, v133
	v_add_f32_e32 v134, 0x358637bd, v142
	s_delay_alu instid0(VALU_DEP_1) | instskip(SKIP_1) | instid1(VALU_DEP_2)
	v_div_scale_f32 v167, null, v134, v134, 1.0
	v_div_scale_f32 v163, vcc_lo, 1.0, v134, 1.0
	v_rcp_f32_e32 v168, v167
	s_waitcnt_depctr 0xfff
	v_fma_f32 v129, -v167, v168, 1.0
	s_delay_alu instid0(VALU_DEP_1) | instskip(SKIP_2) | instid1(VALU_DEP_2)
	v_fmac_f32_e32 v168, v129, v168
	v_cndmask_b32_e64 v129, v130, v165, s3
	v_cmp_eq_u32_e64 s3, 6, v141
	v_cndmask_b32_e64 v130, v129, v164, s4
	v_lshlrev_b32_e32 v129, 2, v138
	v_mul_f32_e32 v165, v163, v168
	s_delay_alu instid0(VALU_DEP_3) | instskip(NEXT) | instid1(VALU_DEP_3)
	v_cndmask_b32_e64 v161, v130, v161, s5
	v_or_b32_e32 v130, 1, v129
	s_delay_alu instid0(VALU_DEP_3)
	v_fma_f32 v131, -v167, v165, v163
	v_or_b32_e32 v132, 2, v129
	v_cmp_eq_u32_e64 s4, 1, v129
	v_cndmask_b32_e64 v141, v161, v159, s6
	v_cmp_eq_u32_e64 s9, 1, v130
	v_fmac_f32_e32 v165, v131, v168
	v_or_b32_e32 v131, 3, v129
	v_cmp_eq_u32_e64 s10, 1, v132
	v_cndmask_b32_e64 v141, v141, v160, s3
	v_cmp_eq_u32_e64 s5, 2, v129
	v_fma_f32 v159, -v167, v165, v163
	v_cmp_eq_u32_e64 s11, 1, v131
	v_cmp_eq_u32_e64 s16, 2, v131
	v_cndmask_b32_e64 v141, v141, v162, s7
	v_cmp_eq_u32_e64 s12, 2, v130
	v_div_fmas_f32 v159, v159, v168, v165
	v_cmp_eq_u32_e64 s18, 3, v131
	v_cmp_eq_u32_e32 vcc_lo, 3, v129
	v_cmp_eq_u32_e64 s13, 3, v130
	v_cmp_eq_u32_e64 s15, 2, v132
	v_div_fixup_f32 v159, v159, v134, 1.0
	v_lshl_or_b32 v134, v138, 4, v135
	v_cmp_eq_u32_e64 s22, 4, v131
	v_cmp_eq_u32_e64 s3, 4, v129
	;; [unrolled: 1-line block ×3, first 2 shown]
	v_mul_f32_e32 v141, v141, v159
	v_cmp_eq_u32_e64 s19, 4, v130
	v_cmp_eq_u32_e64 s24, 5, v131
	;; [unrolled: 1-line block ×4, first 2 shown]
	v_fma_mixlo_f16 v159, v141, v144, 0
	v_fma_mixlo_f16 v160, v141, v146, 0
	;; [unrolled: 1-line block ×8, first 2 shown]
	v_fma_mixhi_f16 v159, v141, v143, 0
	v_fma_mixhi_f16 v160, v141, v145, 0
	;; [unrolled: 1-line block ×8, first 2 shown]
	ds_store_b128 v134, v[159:162]
	ds_store_b128 v134, v[163:166] offset:1024
	s_waitcnt lgkmcnt(0)
	s_barrier
	buffer_gl0_inv
	ds_load_b128 v[143:146], v135
	ds_load_b128 v[147:150], v135 offset:16
	ds_load_b128 v[151:154], v135 offset:1024
	;; [unrolled: 1-line block ×3, first 2 shown]
	v_cmp_eq_u32_e64 s21, 4, v132
	v_cmp_eq_u32_e64 s27, 6, v131
	;; [unrolled: 1-line block ×10, first 2 shown]
	s_waitcnt lgkmcnt(3)
	v_lshrrev_b32_e32 v141, 16, v143
	s_waitcnt lgkmcnt(2)
	v_lshrrev_b32_e32 v162, 16, v147
	v_lshrrev_b32_e32 v159, 16, v144
	;; [unrolled: 1-line block ×3, first 2 shown]
	s_waitcnt lgkmcnt(1)
	v_lshrrev_b32_e32 v166, 16, v151
	v_cndmask_b32_e64 v174, v143, v141, s4
	v_cndmask_b32_e64 v176, v143, v141, s9
	;; [unrolled: 1-line block ×5, first 2 shown]
	s_waitcnt lgkmcnt(0)
	v_lshrrev_b32_e32 v170, 16, v155
	v_cndmask_b32_e64 v175, v147, v162, s4
	v_cndmask_b32_e64 v177, v147, v162, s9
	;; [unrolled: 1-line block ×19, first 2 shown]
	v_lshrrev_b32_e32 v160, 16, v145
	v_lshrrev_b32_e32 v164, 16, v149
	;; [unrolled: 1-line block ×4, first 2 shown]
	v_cndmask_b32_e64 v176, v178, v144, s15
	v_cndmask_b32_e64 v177, v179, v148, s15
	;; [unrolled: 1-line block ×8, first 2 shown]
	v_cndmask_b32_e32 v155, v166, v159, vcc_lo
	v_cndmask_b32_e32 v166, v170, v163, vcc_lo
	v_cndmask_b32_e64 v170, v174, v159, s13
	v_cndmask_b32_e64 v174, v175, v163, s13
	;; [unrolled: 1-line block ×6, first 2 shown]
	v_cndmask_b32_e32 v144, v144, v167, vcc_lo
	v_cndmask_b32_e32 v147, v147, v171, vcc_lo
	v_cndmask_b32_e64 v148, v148, v167, s13
	v_cndmask_b32_e64 v155, v155, v145, s3
	;; [unrolled: 1-line block ×7, first 2 shown]
	v_lshrrev_b32_e32 v161, 16, v146
	v_lshrrev_b32_e32 v165, 16, v150
	v_lshrrev_b32_e32 v168, 16, v153
	v_lshrrev_b32_e32 v172, 16, v157
	v_cndmask_b32_e64 v170, v175, v145, s21
	v_cndmask_b32_e64 v174, v176, v149, s21
	;; [unrolled: 1-line block ×22, first 2 shown]
	v_lshrrev_b32_e32 v169, 16, v154
	v_cndmask_b32_e64 v160, v163, v146, s26
	v_cndmask_b32_e64 v163, v166, v150, s26
	;; [unrolled: 1-line block ×9, first 2 shown]
	v_perm_b32 v146, v143, v141, 0x5040100
	v_cndmask_b32_e64 v141, v183, v156, s15
	v_cndmask_b32_e64 v143, v181, v156, s12
	;; [unrolled: 1-line block ×4, first 2 shown]
	v_perm_b32 v144, v159, v149, 0x5040100
	v_cndmask_b32_e64 v149, v162, v167, s17
	v_cndmask_b32_e64 v151, v151, v167, s18
	;; [unrolled: 1-line block ×15, first 2 shown]
	v_lshrrev_b32_e32 v173, 16, v158
	v_cndmask_b32_e64 v149, v149, v154, s26
	v_cndmask_b32_e64 v151, v151, v154, s27
	;; [unrolled: 1-line block ×13, first 2 shown]
	v_perm_b32 v145, v160, v155, 0x5040100
	v_perm_b32 v143, v148, v147, 0x5040100
	;; [unrolled: 1-line block ×6, first 2 shown]
	s_mul_i32 s7, s33, 9
	s_mov_b32 s3, exec_lo
	ds_store_b128 v134, v[143:146]
	ds_store_b128 v134, v[147:150] offset:1024
	v_cmpx_gt_u32_e32 9, v0
	s_cbranch_execz .LBB202_14
; %bb.13:
	s_mul_i32 s4, s7, s34
	s_load_b128 s[8:11], s[0:1], 0x58
	v_add3_u32 v143, s4, s31, v140
	s_delay_alu instid0(VALU_DEP_1) | instskip(NEXT) | instid1(VALU_DEP_1)
	v_mad_u64_u32 v[140:141], null, v143, s35, s[14:15]
	v_ashrrev_i32_e32 v141, 31, v140
	s_delay_alu instid0(VALU_DEP_1) | instskip(SKIP_1) | instid1(VALU_DEP_1)
	v_lshlrev_b64 v[140:141], 2, v[140:141]
	s_waitcnt lgkmcnt(0)
	v_add_co_u32 v143, vcc_lo, s10, v140
	s_delay_alu instid0(VALU_DEP_2)
	v_add_co_ci_u32_e32 v144, vcc_lo, s11, v141, vcc_lo
	v_add_co_u32 v140, vcc_lo, s8, v140
	v_add_co_ci_u32_e32 v141, vcc_lo, s9, v141, vcc_lo
	global_store_b32 v[143:144], v136, off
	global_store_b32 v[140:141], v142, off
.LBB202_14:
	s_or_b32 exec_lo, exec_lo, s3
	s_waitcnt lgkmcnt(0)
	s_waitcnt_vscnt null, 0x0
	s_barrier
	buffer_gl0_inv
	ds_load_b128 v[148:151], v133
	ds_load_b128 v[152:155], v133 offset:16
	ds_load_b128 v[160:163], v133 offset:1040
	ds_load_b128 v[156:159], v133 offset:1024
	ds_load_b128 v[168:171], v133 offset:2064
	ds_load_b128 v[164:167], v133 offset:2048
	v_cmp_eq_u32_e32 vcc_lo, 1, v132
	v_mov_b32_e32 v140, 0
	ds_load_b128 v[176:179], v133 offset:3088
	ds_load_b128 v[172:175], v133 offset:3072
	;; [unrolled: 1-line block ×4, first 2 shown]
	v_cmp_eq_u32_e64 s3, 1, v129
	v_cmp_eq_u32_e64 s4, 1, v131
	;; [unrolled: 1-line block ×3, first 2 shown]
	v_mov_b32_e32 v141, v140
	v_mov_b32_e32 v142, v140
	;; [unrolled: 1-line block ×7, first 2 shown]
	v_cmp_eq_u32_e64 s6, 2, v129
	s_waitcnt lgkmcnt(8)
	s_delay_alu instid0(VALU_DEP_2)
	v_wmma_f32_16x16x16_f16 v[140:147], v[121:128], v[148:155], v[140:147]
	ds_load_b128 v[125:128], v133 offset:5136
	ds_load_b128 v[121:124], v133 offset:5120
	s_waitcnt lgkmcnt(8)
	v_wmma_f32_16x16x16_f16 v[140:147], v[113:120], v[156:163], v[140:147]
	ds_load_b128 v[117:120], v133 offset:6160
	ds_load_b128 v[113:116], v133 offset:6144
	s_waitcnt lgkmcnt(8)
	;; [unrolled: 4-line block ×11, first 2 shown]
	s_barrier
	buffer_gl0_inv
	v_wmma_f32_16x16x16_f16 v[140:147], v[1:8], v[73:80], v[140:147]
	s_delay_alu instid0(VALU_DEP_1) | instskip(NEXT) | instid1(VALU_DEP_1)
	v_wmma_f32_16x16x16_f16 v[140:147], v[9:16], v[65:72], v[140:147]
	v_wmma_f32_16x16x16_f16 v[140:147], v[33:40], v[57:64], v[140:147]
	s_delay_alu instid0(VALU_DEP_1) | instskip(NEXT) | instid1(VALU_DEP_1)
	v_wmma_f32_16x16x16_f16 v[140:147], v[41:48], v[49:56], v[140:147]
	v_wmma_f32_16x16x16_f16 v[140:147], v[17:24], v[25:32], v[140:147]
	s_delay_alu instid0(VALU_DEP_1) | instskip(NEXT) | instid1(VALU_DEP_2)
	v_cvt_f16_f32_e64 v1, v140
	v_cvt_f16_f32_e64 v2, v141
	s_delay_alu instid0(VALU_DEP_3) | instskip(NEXT) | instid1(VALU_DEP_4)
	v_cvt_f16_f32_e64 v3, v142
	v_cvt_f16_f32_e64 v4, v143
	;; [unrolled: 1-line block ×6, first 2 shown]
	v_pack_b32_f16 v1, v1, v2
	v_pack_b32_f16 v2, v3, v4
	;; [unrolled: 1-line block ×3, first 2 shown]
	s_delay_alu instid0(VALU_DEP_4)
	v_pack_b32_f16 v4, v7, v8
	ds_store_b128 v134, v[1:4]
	s_waitcnt lgkmcnt(0)
	s_barrier
	buffer_gl0_inv
	ds_load_b128 v[1:4], v135
	ds_load_b128 v[5:8], v135 offset:16
	s_waitcnt lgkmcnt(1)
	v_lshrrev_b32_e32 v9, 16, v1
	s_waitcnt lgkmcnt(0)
	v_lshrrev_b32_e32 v13, 16, v5
	v_lshrrev_b32_e32 v10, 16, v2
	;; [unrolled: 1-line block ×4, first 2 shown]
	v_cndmask_b32_e64 v17, v1, v9, s3
	v_cndmask_b32_e64 v18, v5, v13, s3
	;; [unrolled: 1-line block ×3, first 2 shown]
	v_cmp_eq_u32_e64 s3, 2, v130
	v_cndmask_b32_e64 v20, v5, v13, s5
	v_cndmask_b32_e32 v21, v1, v9, vcc_lo
	v_cndmask_b32_e32 v22, v5, v13, vcc_lo
	v_cndmask_b32_e64 v1, v1, v9, s4
	v_cndmask_b32_e64 v5, v5, v13, s4
	v_cmp_eq_u32_e32 vcc_lo, 2, v132
	v_cmp_eq_u32_e64 s4, 2, v131
	v_cndmask_b32_e64 v9, v17, v2, s6
	v_cndmask_b32_e64 v13, v18, v6, s6
	;; [unrolled: 1-line block ×4, first 2 shown]
	v_cndmask_b32_e32 v19, v21, v2, vcc_lo
	v_cmp_eq_u32_e64 s3, 3, v132
	v_cndmask_b32_e32 v20, v22, v6, vcc_lo
	v_cndmask_b32_e64 v1, v1, v2, s4
	v_cmp_eq_u32_e32 vcc_lo, 3, v131
	v_cmp_eq_u32_e64 s5, 3, v129
	v_cndmask_b32_e64 v2, v5, v6, s4
	v_cmp_eq_u32_e64 s4, 3, v130
	v_cmp_eq_u32_e64 s6, 4, v129
	v_cndmask_b32_e32 v1, v1, v10, vcc_lo
	v_cndmask_b32_e64 v5, v9, v10, s5
	v_cndmask_b32_e64 v6, v13, v14, s5
	;; [unrolled: 1-line block ×3, first 2 shown]
	v_cmp_eq_u32_e64 s5, 4, v130
	v_cndmask_b32_e64 v13, v18, v14, s4
	v_cndmask_b32_e64 v17, v19, v10, s3
	;; [unrolled: 1-line block ×3, first 2 shown]
	v_cndmask_b32_e32 v2, v2, v14, vcc_lo
	v_cmp_eq_u32_e32 vcc_lo, 4, v132
	v_cmp_eq_u32_e64 s4, 4, v131
	v_lshrrev_b32_e32 v15, 16, v7
	v_cndmask_b32_e64 v5, v5, v3, s6
	v_cndmask_b32_e64 v6, v6, v7, s6
	v_cndmask_b32_e32 v14, v18, v7, vcc_lo
	v_cndmask_b32_e64 v9, v9, v3, s5
	v_cndmask_b32_e64 v10, v13, v7, s5
	v_cndmask_b32_e32 v13, v17, v3, vcc_lo
	v_cmp_eq_u32_e64 s3, 5, v132
	v_cndmask_b32_e64 v1, v1, v3, s4
	v_cmp_eq_u32_e32 vcc_lo, 5, v131
	v_cmp_eq_u32_e64 s5, 5, v129
	v_cndmask_b32_e64 v2, v2, v7, s4
	v_cmp_eq_u32_e64 s4, 5, v130
	v_cmp_eq_u32_e64 s6, 6, v129
	v_lshrrev_b32_e32 v12, 16, v4
	v_cndmask_b32_e64 v3, v5, v11, s5
	v_cndmask_b32_e64 v5, v6, v15, s5
	;; [unrolled: 1-line block ×3, first 2 shown]
	v_cmp_eq_u32_e64 s5, 6, v130
	v_cndmask_b32_e64 v7, v10, v15, s4
	v_cndmask_b32_e64 v9, v13, v11, s3
	;; [unrolled: 1-line block ×3, first 2 shown]
	v_cndmask_b32_e32 v1, v1, v11, vcc_lo
	v_cndmask_b32_e32 v2, v2, v15, vcc_lo
	v_cmp_eq_u32_e32 vcc_lo, 6, v132
	v_cmp_eq_u32_e64 s3, 6, v131
	v_lshrrev_b32_e32 v16, 16, v8
	v_cndmask_b32_e64 v3, v3, v4, s6
	v_cndmask_b32_e64 v5, v5, v8, s6
	v_cndmask_b32_e32 v9, v9, v4, vcc_lo
	v_cndmask_b32_e64 v6, v6, v4, s5
	v_cndmask_b32_e64 v7, v7, v8, s5
	v_cmp_eq_u32_e64 s4, 7, v132
	v_cndmask_b32_e32 v10, v10, v8, vcc_lo
	v_cndmask_b32_e64 v1, v1, v4, s3
	v_cmp_eq_u32_e32 vcc_lo, 7, v131
	v_cndmask_b32_e64 v2, v2, v8, s3
	v_cmp_eq_u32_e64 s3, 7, v129
	v_cmp_eq_u32_e64 s5, 7, v130
	v_cndmask_b32_e32 v1, v1, v12, vcc_lo
	s_delay_alu instid0(VALU_DEP_4) | instskip(NEXT) | instid1(VALU_DEP_4)
	v_cndmask_b32_e32 v2, v2, v16, vcc_lo
	v_cndmask_b32_e64 v8, v3, v12, s3
	s_delay_alu instid0(VALU_DEP_4)
	v_cndmask_b32_e64 v6, v6, v12, s5
	v_cndmask_b32_e64 v3, v9, v12, s4
	;; [unrolled: 1-line block ×5, first 2 shown]
	v_perm_b32 v4, v2, v1, 0x5040100
	s_mov_b32 s3, exec_lo
	v_perm_b32 v3, v9, v3, 0x5040100
	v_perm_b32 v2, v7, v6, 0x5040100
	;; [unrolled: 1-line block ×3, first 2 shown]
	ds_store_b128 v134, v[1:4]
	s_waitcnt lgkmcnt(0)
	s_barrier
	buffer_gl0_inv
	v_cmpx_gt_u32_e32 32, v0
	s_cbranch_execz .LBB202_2
; %bb.15:
	s_load_b64 s[4:5], s[0:1], 0x68
	v_lshlrev_b32_e32 v0, 10, v0
	v_lshlrev_b32_e32 v1, 4, v139
	s_lshl_b32 s0, s35, 7
	v_add_nc_u32_e32 v2, s31, v138
	s_mul_i32 s1, s0, s34
	s_delay_alu instid0(SALU_CYCLE_1) | instskip(SKIP_1) | instid1(VALU_DEP_2)
	s_mul_i32 s6, s1, s7
	v_and_or_b32 v0, 0x3800, v0, v1
	v_mul_lo_u32 v1, v2, s0
	s_ashr_i32 s7, s6, 31
	v_add_nc_u32_e32 v3, 2, v2
	s_lshl_b64 s[6:7], s[6:7], 1
	v_add_nc_u32_e32 v4, 4, v2
	v_add_nc_u32_e32 v5, 6, v2
	v_lshl_or_b32 v15, v138, 6, v0
	v_mul_lo_u32 v3, v3, s0
	v_ashrrev_i32_e32 v2, 31, v1
	v_mul_lo_u32 v19, v4, s0
	v_mul_lo_u32 v21, v5, s0
	s_waitcnt lgkmcnt(0)
	s_add_u32 s1, s4, s6
	s_addc_u32 s3, s5, s7
	s_lshl_b32 s4, s14, 7
	v_lshlrev_b64 v[5:6], 1, v[1:2]
	s_ashr_i32 s5, s4, 31
	v_ashrrev_i32_e32 v4, 31, v3
	s_lshl_b64 s[4:5], s[4:5], 1
	v_ashrrev_i32_e32 v20, 31, v19
	s_add_u32 s1, s1, s4
	s_addc_u32 s3, s3, s5
	v_add_co_u32 v1, s1, s1, v137
	s_delay_alu instid0(VALU_DEP_1) | instskip(SKIP_1) | instid1(VALU_DEP_3)
	v_add_co_ci_u32_e64 v2, null, s3, 0, s1
	v_lshlrev_b64 v[25:26], 1, v[3:4]
	v_add_co_u32 v23, vcc_lo, v1, v5
	s_delay_alu instid0(VALU_DEP_3)
	v_add_co_ci_u32_e32 v24, vcc_lo, v2, v6, vcc_lo
	ds_load_b128 v[3:6], v15
	ds_load_b128 v[7:10], v15 offset:128
	ds_load_b128 v[11:14], v15 offset:256
	ds_load_b128 v[15:18], v15 offset:384
	v_ashrrev_i32_e32 v22, 31, v21
	v_lshlrev_b64 v[19:20], 1, v[19:20]
	v_add_co_u32 v25, vcc_lo, v1, v25
	v_add_co_ci_u32_e32 v26, vcc_lo, v2, v26, vcc_lo
	s_delay_alu instid0(VALU_DEP_4) | instskip(NEXT) | instid1(VALU_DEP_4)
	v_lshlrev_b64 v[21:22], 1, v[21:22]
	v_add_co_u32 v19, vcc_lo, v1, v19
	v_add_co_ci_u32_e32 v20, vcc_lo, v2, v20, vcc_lo
	s_delay_alu instid0(VALU_DEP_3) | instskip(NEXT) | instid1(VALU_DEP_4)
	v_add_co_u32 v21, vcc_lo, v1, v21
	v_add_co_ci_u32_e32 v22, vcc_lo, v2, v22, vcc_lo
	s_waitcnt lgkmcnt(3)
	global_store_b128 v[23:24], v[3:6], off
	s_waitcnt lgkmcnt(2)
	global_store_b128 v[25:26], v[7:10], off
	;; [unrolled: 2-line block ×4, first 2 shown]
	s_and_b32 exec_lo, exec_lo, s2
	s_cbranch_execz .LBB202_2
; %bb.16:
	ds_load_b128 v[3:6], v0 offset:512
	s_add_i32 s1, s31, 8
	s_delay_alu instid0(SALU_CYCLE_1) | instskip(NEXT) | instid1(SALU_CYCLE_1)
	s_mul_i32 s0, s1, s0
	s_ashr_i32 s1, s0, 31
	s_delay_alu instid0(SALU_CYCLE_1) | instskip(NEXT) | instid1(SALU_CYCLE_1)
	s_lshl_b64 s[0:1], s[0:1], 1
	v_add_co_u32 v0, vcc_lo, v1, s0
	v_add_co_ci_u32_e32 v1, vcc_lo, s1, v2, vcc_lo
	s_waitcnt lgkmcnt(0)
	global_store_b128 v[0:1], v[3:6], off
	s_nop 0
	s_sendmsg sendmsg(MSG_DEALLOC_VGPRS)
	s_endpgm
	.section	.rodata,"a",@progbits
	.p2align	6, 0x0
	.amdhsa_kernel _Z39paged_attention_ll4mi_QKV_mfma16_kernelIDF16_DF16_LN4vllm18Fp8KVCacheDataTypeE0EhLi16ELi128ELi256ELb1ELi9EL8MFMAType0EEvPKT_PKT0_S8_ifPKiSA_SA_iPKfiiiPfSD_PS3_PT2_iSC_SC_
		.amdhsa_group_segment_fixed_size 17472
		.amdhsa_private_segment_fixed_size 0
		.amdhsa_kernarg_size 400
		.amdhsa_user_sgpr_count 13
		.amdhsa_user_sgpr_dispatch_ptr 0
		.amdhsa_user_sgpr_queue_ptr 0
		.amdhsa_user_sgpr_kernarg_segment_ptr 1
		.amdhsa_user_sgpr_dispatch_id 0
		.amdhsa_user_sgpr_private_segment_size 0
		.amdhsa_wavefront_size32 1
		.amdhsa_uses_dynamic_stack 0
		.amdhsa_enable_private_segment 0
		.amdhsa_system_sgpr_workgroup_id_x 1
		.amdhsa_system_sgpr_workgroup_id_y 1
		.amdhsa_system_sgpr_workgroup_id_z 1
		.amdhsa_system_sgpr_workgroup_info 0
		.amdhsa_system_vgpr_workitem_id 0
		.amdhsa_next_free_vgpr 218
		.amdhsa_next_free_sgpr 52
		.amdhsa_reserve_vcc 1
		.amdhsa_float_round_mode_32 0
		.amdhsa_float_round_mode_16_64 0
		.amdhsa_float_denorm_mode_32 3
		.amdhsa_float_denorm_mode_16_64 3
		.amdhsa_dx10_clamp 1
		.amdhsa_ieee_mode 1
		.amdhsa_fp16_overflow 0
		.amdhsa_workgroup_processor_mode 1
		.amdhsa_memory_ordered 1
		.amdhsa_forward_progress 0
		.amdhsa_shared_vgpr_count 0
		.amdhsa_exception_fp_ieee_invalid_op 0
		.amdhsa_exception_fp_denorm_src 0
		.amdhsa_exception_fp_ieee_div_zero 0
		.amdhsa_exception_fp_ieee_overflow 0
		.amdhsa_exception_fp_ieee_underflow 0
		.amdhsa_exception_fp_ieee_inexact 0
		.amdhsa_exception_int_div_zero 0
	.end_amdhsa_kernel
	.section	.text._Z39paged_attention_ll4mi_QKV_mfma16_kernelIDF16_DF16_LN4vllm18Fp8KVCacheDataTypeE0EhLi16ELi128ELi256ELb1ELi9EL8MFMAType0EEvPKT_PKT0_S8_ifPKiSA_SA_iPKfiiiPfSD_PS3_PT2_iSC_SC_,"axG",@progbits,_Z39paged_attention_ll4mi_QKV_mfma16_kernelIDF16_DF16_LN4vllm18Fp8KVCacheDataTypeE0EhLi16ELi128ELi256ELb1ELi9EL8MFMAType0EEvPKT_PKT0_S8_ifPKiSA_SA_iPKfiiiPfSD_PS3_PT2_iSC_SC_,comdat
.Lfunc_end202:
	.size	_Z39paged_attention_ll4mi_QKV_mfma16_kernelIDF16_DF16_LN4vllm18Fp8KVCacheDataTypeE0EhLi16ELi128ELi256ELb1ELi9EL8MFMAType0EEvPKT_PKT0_S8_ifPKiSA_SA_iPKfiiiPfSD_PS3_PT2_iSC_SC_, .Lfunc_end202-_Z39paged_attention_ll4mi_QKV_mfma16_kernelIDF16_DF16_LN4vllm18Fp8KVCacheDataTypeE0EhLi16ELi128ELi256ELb1ELi9EL8MFMAType0EEvPKT_PKT0_S8_ifPKiSA_SA_iPKfiiiPfSD_PS3_PT2_iSC_SC_
                                        ; -- End function
	.section	.AMDGPU.csdata,"",@progbits
; Kernel info:
; codeLenInByte = 8152
; NumSgprs: 54
; NumVgprs: 218
; ScratchSize: 0
; MemoryBound: 0
; FloatMode: 240
; IeeeMode: 1
; LDSByteSize: 17472 bytes/workgroup (compile time only)
; SGPRBlocks: 6
; VGPRBlocks: 27
; NumSGPRsForWavesPerEU: 54
; NumVGPRsForWavesPerEU: 218
; Occupancy: 6
; WaveLimiterHint : 1
; COMPUTE_PGM_RSRC2:SCRATCH_EN: 0
; COMPUTE_PGM_RSRC2:USER_SGPR: 13
; COMPUTE_PGM_RSRC2:TRAP_HANDLER: 0
; COMPUTE_PGM_RSRC2:TGID_X_EN: 1
; COMPUTE_PGM_RSRC2:TGID_Y_EN: 1
; COMPUTE_PGM_RSRC2:TGID_Z_EN: 1
; COMPUTE_PGM_RSRC2:TIDIG_COMP_CNT: 0
	.section	.text._Z39paged_attention_ll4mi_QKV_mfma16_kernelIDF16_DF16_LN4vllm18Fp8KVCacheDataTypeE0EhLi16ELi128ELi256ELb1ELi10EL8MFMAType0EEvPKT_PKT0_S8_ifPKiSA_SA_iPKfiiiPfSD_PS3_PT2_iSC_SC_,"axG",@progbits,_Z39paged_attention_ll4mi_QKV_mfma16_kernelIDF16_DF16_LN4vllm18Fp8KVCacheDataTypeE0EhLi16ELi128ELi256ELb1ELi10EL8MFMAType0EEvPKT_PKT0_S8_ifPKiSA_SA_iPKfiiiPfSD_PS3_PT2_iSC_SC_,comdat
	.protected	_Z39paged_attention_ll4mi_QKV_mfma16_kernelIDF16_DF16_LN4vllm18Fp8KVCacheDataTypeE0EhLi16ELi128ELi256ELb1ELi10EL8MFMAType0EEvPKT_PKT0_S8_ifPKiSA_SA_iPKfiiiPfSD_PS3_PT2_iSC_SC_ ; -- Begin function _Z39paged_attention_ll4mi_QKV_mfma16_kernelIDF16_DF16_LN4vllm18Fp8KVCacheDataTypeE0EhLi16ELi128ELi256ELb1ELi10EL8MFMAType0EEvPKT_PKT0_S8_ifPKiSA_SA_iPKfiiiPfSD_PS3_PT2_iSC_SC_
	.globl	_Z39paged_attention_ll4mi_QKV_mfma16_kernelIDF16_DF16_LN4vllm18Fp8KVCacheDataTypeE0EhLi16ELi128ELi256ELb1ELi10EL8MFMAType0EEvPKT_PKT0_S8_ifPKiSA_SA_iPKfiiiPfSD_PS3_PT2_iSC_SC_
	.p2align	8
	.type	_Z39paged_attention_ll4mi_QKV_mfma16_kernelIDF16_DF16_LN4vllm18Fp8KVCacheDataTypeE0EhLi16ELi128ELi256ELb1ELi10EL8MFMAType0EEvPKT_PKT0_S8_ifPKiSA_SA_iPKfiiiPfSD_PS3_PT2_iSC_SC_,@function
_Z39paged_attention_ll4mi_QKV_mfma16_kernelIDF16_DF16_LN4vllm18Fp8KVCacheDataTypeE0EhLi16ELi128ELi256ELb1ELi10EL8MFMAType0EEvPKT_PKT0_S8_ifPKiSA_SA_iPKfiiiPfSD_PS3_PT2_iSC_SC_: ; @_Z39paged_attention_ll4mi_QKV_mfma16_kernelIDF16_DF16_LN4vllm18Fp8KVCacheDataTypeE0EhLi16ELi128ELi256ELb1ELi10EL8MFMAType0EEvPKT_PKT0_S8_ifPKiSA_SA_iPKfiiiPfSD_PS3_PT2_iSC_SC_
; %bb.0:
	s_load_b64 s[4:5], s[0:1], 0x30
	s_mov_b32 s30, s13
	s_waitcnt lgkmcnt(0)
	s_cmp_lg_u64 s[4:5], 0
	s_cselect_b32 s8, -1, 0
	s_ashr_i32 s31, s13, 31
	s_cmp_eq_u64 s[4:5], 0
	s_cbranch_scc1 .LBB203_3
; %bb.1:
	s_lshl_b64 s[2:3], s[30:31], 2
	s_delay_alu instid0(SALU_CYCLE_1) | instskip(SKIP_4) | instid1(SALU_CYCLE_1)
	s_add_u32 s2, s4, s2
	s_addc_u32 s3, s5, s3
	s_load_b64 s[2:3], s[2:3], 0x0
	s_waitcnt lgkmcnt(0)
	s_sub_i32 s2, s3, s2
	s_cmp_eq_u32 s2, 1
	s_cselect_b32 s2, -1, 0
	s_delay_alu instid0(SALU_CYCLE_1)
	s_and_not1_b32 vcc_lo, exec_lo, s2
	s_cbranch_vccz .LBB203_4
.LBB203_2:
	s_endpgm
.LBB203_3:
.LBB203_4:
	s_load_b64 s[2:3], s[0:1], 0x28
	s_lshl_b64 s[6:7], s[30:31], 2
	s_waitcnt lgkmcnt(0)
	s_add_u32 s2, s2, s6
	s_addc_u32 s3, s3, s7
	s_lshl_b32 s29, s14, 8
	s_load_b32 s28, s[2:3], 0x0
	s_waitcnt lgkmcnt(0)
	s_cmp_ge_i32 s29, s28
	s_cbranch_scc1 .LBB203_2
; %bb.5:
	s_clause 0x1
	s_load_b128 s[20:23], s[0:1], 0x8
	s_load_b64 s[2:3], s[0:1], 0x20
	s_and_not1_b32 vcc_lo, exec_lo, s8
	s_cbranch_vccnz .LBB203_7
; %bb.6:
	s_add_u32 s4, s4, s6
	s_addc_u32 s5, s5, s7
	s_load_b32 s5, s[4:5], 0x0
	s_branch .LBB203_8
.LBB203_7:
	s_mov_b32 s5, s30
.LBB203_8:
	s_load_b128 s[16:19], s[0:1], 0x48
	v_and_b32_e32 v140, 15, v0
	v_lshrrev_b32_e32 v141, 5, v0
	v_and_b32_e32 v142, 31, v0
	v_and_b32_e32 v139, 1, v0
	v_bfe_u32 v138, v0, 4, 1
	v_lshlrev_b32_e32 v1, 3, v140
	s_mul_i32 s31, s15, 10
	s_mov_b32 s4, exec_lo
	s_delay_alu instid0(VALU_DEP_1)
	v_lshlrev_b32_e32 v137, 1, v1
	v_cmpx_gt_u32_e32 0xa0, v0
	s_cbranch_execz .LBB203_10
; %bb.9:
	s_load_b64 s[6:7], s[0:1], 0x0
	v_lshl_or_b32 v5, v141, 1, v138
	s_waitcnt lgkmcnt(0)
	s_mul_hi_i32 s9, s5, s16
	s_mul_i32 s8, s5, s16
	v_lshlrev_b32_e32 v6, 10, v140
	s_lshl_b64 s[8:9], s[8:9], 1
	v_add_lshl_u32 v1, v5, s31, 7
	v_lshlrev_b32_e32 v5, 6, v5
	v_lshlrev_b32_e32 v7, 10, v139
	v_and_b32_e32 v6, 0x3800, v6
	s_delay_alu instid0(VALU_DEP_4) | instskip(NEXT) | instid1(VALU_DEP_2)
	v_ashrrev_i32_e32 v2, 31, v1
	v_or3_b32 v5, v6, v7, v5
	s_delay_alu instid0(VALU_DEP_2) | instskip(SKIP_2) | instid1(VALU_DEP_1)
	v_lshlrev_b64 v[1:2], 1, v[1:2]
	s_add_u32 s5, s6, s8
	s_addc_u32 s6, s7, s9
	v_add_co_u32 v1, vcc_lo, s5, v1
	s_delay_alu instid0(VALU_DEP_2) | instskip(NEXT) | instid1(VALU_DEP_2)
	v_add_co_ci_u32_e32 v2, vcc_lo, s6, v2, vcc_lo
	v_add_co_u32 v1, vcc_lo, v1, v137
	s_delay_alu instid0(VALU_DEP_2)
	v_add_co_ci_u32_e32 v2, vcc_lo, 0, v2, vcc_lo
	global_load_b128 v[1:4], v[1:2], off
	s_waitcnt vmcnt(0)
	ds_store_b128 v5, v[1:4]
.LBB203_10:
	s_or_b32 exec_lo, exec_lo, s4
	v_and_b32_e32 v1, 0xef, v0
	s_waitcnt lgkmcnt(0)
	s_add_i32 s5, s28, 15
	s_clause 0x1
	s_load_b32 s4, s[0:1], 0x38
	s_load_b32 s33, s[0:1], 0x98
	s_ashr_i32 s6, s5, 31
	v_add_nc_u32_e32 v1, s29, v1
	s_lshr_b32 s6, s6, 28
	s_load_b32 s34, s[0:1], 0x1c
	s_add_i32 s5, s5, s6
	s_waitcnt lgkmcnt(0)
	v_ashrrev_i32_e32 v2, 31, v1
	v_cmp_gt_i32_e32 vcc_lo, s28, v1
	s_ashr_i32 s16, s5, 4
	s_barrier
	s_add_i32 s16, s16, -1
	v_lshrrev_b32_e32 v3, 28, v2
	v_or_b32_e32 v2, 16, v1
	buffer_gl0_inv
	v_add_nc_u32_e32 v105, -10, v140
	v_lshlrev_b32_e32 v106, 5, v140
	v_add_nc_u32_e32 v4, v1, v3
	v_add_nc_u32_e32 v3, v2, v3
	s_mul_i32 s4, s30, s4
	s_delay_alu instid0(SALU_CYCLE_1) | instskip(NEXT) | instid1(VALU_DEP_2)
	s_ashr_i32 s5, s4, 31
	v_ashrrev_i32_e32 v4, 4, v4
	s_delay_alu instid0(VALU_DEP_2)
	v_ashrrev_i32_e32 v3, 4, v3
	s_lshl_b64 s[4:5], s[4:5], 2
	v_lshl_or_b32 v125, v141, 9, v106
	s_add_u32 s35, s2, s4
	v_cndmask_b32_e32 v1, s16, v4, vcc_lo
	v_cmp_gt_i32_e32 vcc_lo, s28, v2
	s_addc_u32 s36, s3, s5
	s_mul_i32 s2, s15, s18
	s_delay_alu instid0(VALU_DEP_2) | instskip(SKIP_2) | instid1(SALU_CYCLE_1)
	v_ashrrev_i32_e32 v2, 31, v1
	v_cndmask_b32_e32 v3, s16, v3, vcc_lo
	s_ashr_i32 s3, s2, 31
	s_lshl_b64 s[2:3], s[2:3], 1
	s_delay_alu instid0(VALU_DEP_2) | instskip(NEXT) | instid1(VALU_DEP_2)
	v_lshlrev_b64 v[1:2], 2, v[1:2]
	v_ashrrev_i32_e32 v4, 31, v3
	s_add_u32 s24, s20, s2
	s_addc_u32 s25, s21, s3
	s_lshl_b32 s4, s14, 4
	s_delay_alu instid0(VALU_DEP_1) | instskip(SKIP_3) | instid1(VALU_DEP_3)
	v_lshlrev_b64 v[3:4], 2, v[3:4]
	v_add_co_u32 v1, vcc_lo, s35, v1
	v_add_co_ci_u32_e32 v2, vcc_lo, s36, v2, vcc_lo
	s_ashr_i32 s5, s4, 31
	v_add_co_u32 v3, vcc_lo, s35, v3
	s_delay_alu instid0(VALU_DEP_4)
	v_add_co_ci_u32_e32 v4, vcc_lo, s36, v4, vcc_lo
	s_lshl_b64 s[4:5], s[4:5], 2
	s_clause 0x1
	global_load_b32 v5, v[1:2], off
	global_load_b32 v6, v[3:4], off
	s_add_u32 s4, s35, s4
	s_addc_u32 s5, s36, s5
	s_or_b32 s6, s29, 16
	v_lshlrev_b32_e32 v3, 4, v0
	s_ashr_i32 s7, s6, 4
	s_cmp_lt_i32 s6, s28
	s_cselect_b32 s6, s7, s16
	s_delay_alu instid0(SALU_CYCLE_1) | instskip(NEXT) | instid1(SALU_CYCLE_1)
	s_ashr_i32 s7, s6, 31
	s_lshl_b64 s[6:7], s[6:7], 2
	s_delay_alu instid0(SALU_CYCLE_1) | instskip(SKIP_2) | instid1(SALU_CYCLE_1)
	s_add_u32 s6, s35, s6
	s_addc_u32 s7, s36, s7
	s_or_b32 s8, s29, 32
	s_ashr_i32 s9, s8, 4
	s_cmp_lt_i32 s8, s28
	s_cselect_b32 s8, s9, s16
	s_delay_alu instid0(SALU_CYCLE_1) | instskip(NEXT) | instid1(SALU_CYCLE_1)
	s_ashr_i32 s9, s8, 31
	s_lshl_b64 s[8:9], s[8:9], 2
	s_delay_alu instid0(SALU_CYCLE_1) | instskip(SKIP_2) | instid1(SALU_CYCLE_1)
	s_add_u32 s8, s35, s8
	s_addc_u32 s9, s36, s9
	s_or_b32 s10, s29, 48
	;; [unrolled: 10-line block ×4, first 2 shown]
	s_ashr_i32 s13, s12, 4
	s_cmp_lt_i32 s12, s28
	s_cselect_b32 s12, s13, s16
	s_delay_alu instid0(SALU_CYCLE_1) | instskip(NEXT) | instid1(SALU_CYCLE_1)
	s_ashr_i32 s13, s12, 31
	s_lshl_b64 s[12:13], s[12:13], 2
	s_delay_alu instid0(SALU_CYCLE_1)
	s_add_u32 s20, s35, s12
	s_addc_u32 s21, s36, s13
	s_clause 0x5
	s_load_b32 s37, s[4:5], 0x0
	s_load_b32 s27, s[6:7], 0x0
	;; [unrolled: 1-line block ×6, first 2 shown]
	s_waitcnt vmcnt(1)
	v_mad_i64_i32 v[1:2], null, v5, s17, 0
	v_and_b32_e32 v5, 0xf0, v3
	s_waitcnt vmcnt(0)
	v_mad_i64_i32 v[3:4], null, v6, s17, 0
	s_delay_alu instid0(VALU_DEP_2) | instskip(NEXT) | instid1(VALU_DEP_4)
	v_add_co_u32 v5, s4, s24, v5
	v_lshlrev_b64 v[1:2], 1, v[1:2]
	v_add_co_ci_u32_e64 v6, null, s25, 0, s4
	s_delay_alu instid0(VALU_DEP_4) | instskip(SKIP_1) | instid1(VALU_DEP_3)
	v_lshlrev_b64 v[3:4], 1, v[3:4]
	s_or_b32 s4, s29, 0x60
	v_add_co_u32 v121, vcc_lo, v5, v1
	s_delay_alu instid0(VALU_DEP_3) | instskip(NEXT) | instid1(VALU_DEP_3)
	v_add_co_ci_u32_e32 v122, vcc_lo, v6, v2, vcc_lo
	v_add_co_u32 v123, vcc_lo, v5, v3
	s_delay_alu instid0(VALU_DEP_4)
	v_add_co_ci_u32_e32 v124, vcc_lo, v6, v4, vcc_lo
	s_clause 0x19
	global_load_b128 v[89:92], v[121:122], off
	global_load_b128 v[93:96], v[121:122], off offset:256
	global_load_b128 v[97:100], v[123:124], off
	global_load_b128 v[101:104], v[123:124], off offset:256
	global_load_b128 v[81:84], v[121:122], off offset:512
	;; [unrolled: 1-line block ×23, first 2 shown]
	s_ashr_i32 s5, s4, 4
	s_cmp_lt_i32 s4, s28
	v_cmp_gt_u32_e32 vcc_lo, 10, v140
	s_cselect_b32 s4, s5, s16
	s_delay_alu instid0(SALU_CYCLE_1) | instskip(NEXT) | instid1(SALU_CYCLE_1)
	s_ashr_i32 s5, s4, 31
	s_lshl_b64 s[4:5], s[4:5], 2
	v_cndmask_b32_e32 v105, v105, v140, vcc_lo
	s_add_u32 s18, s35, s4
	s_addc_u32 s19, s36, s5
	s_or_b32 s4, s29, 0x70
	s_delay_alu instid0(SALU_CYCLE_1)
	s_ashr_i32 s5, s4, 4
	s_cmp_lt_i32 s4, s28
	v_lshlrev_b32_e32 v215, 6, v105
	s_cselect_b32 s6, s5, s16
	ds_load_b128 v[105:108], v215
	ds_load_b128 v[109:112], v215 offset:1024
	s_ashr_i32 s7, s6, 31
	ds_load_b128 v[113:116], v215 offset:2048
	ds_load_b128 v[117:120], v215 offset:3072
	;; [unrolled: 1-line block ×8, first 2 shown]
	s_clause 0x1
	global_load_b128 v[167:170], v[123:124], off offset:3072
	global_load_b128 v[171:174], v[123:124], off offset:3328
	s_lshl_b64 s[6:7], s[6:7], 2
	s_mov_b32 s4, 0
	s_add_u32 s20, s35, s6
	s_addc_u32 s21, s36, s7
	s_clause 0x1
	s_load_b32 s41, s[18:19], 0x0
	s_load_b32 s46, s[20:21], 0x0
	s_clause 0x3
	global_load_b128 v[175:178], v[121:122], off offset:3584
	global_load_b128 v[179:182], v[121:122], off offset:3840
	global_load_b128 v[183:186], v[123:124], off offset:3584
	global_load_b128 v[187:190], v[123:124], off offset:3840
	s_or_b32 s7, s29, 0x80
	s_mov_b32 s5, s4
	s_ashr_i32 s8, s7, 4
	s_cmp_lt_i32 s7, s28
	s_mov_b32 s6, s4
	s_cselect_b32 s10, s8, s16
	s_mov_b32 s7, s4
	s_ashr_i32 s11, s10, 31
	s_mov_b32 s8, s4
	s_lshl_b64 s[24:25], s[10:11], 2
	s_mov_b32 s9, s4
	s_add_u32 s24, s35, s24
	s_addc_u32 s25, s36, s25
	s_or_b32 s11, s29, 0x90
	s_mov_b32 s10, s4
	s_ashr_i32 s38, s11, 4
	s_cmp_lt_i32 s11, s28
	s_mov_b32 s11, s4
	s_cselect_b32 s38, s38, s16
	v_mov_b32_e32 v136, s11
	s_ashr_i32 s39, s38, 31
	v_dual_mov_b32 v135, s10 :: v_dual_mov_b32 v134, s9
	v_dual_mov_b32 v133, s8 :: v_dual_mov_b32 v132, s7
	;; [unrolled: 1-line block ×3, first 2 shown]
	v_mov_b32_e32 v129, s4
	s_lshl_b64 s[4:5], s[38:39], 2
	s_waitcnt lgkmcnt(0)
	s_mul_hi_i32 s7, s27, s17
	s_add_u32 s38, s35, s4
	s_addc_u32 s39, s36, s5
	s_or_b32 s4, s29, 0xa0
	s_load_b32 s40, s[38:39], 0x0
	s_ashr_i32 s5, s4, 4
	s_cmp_lt_i32 s4, s28
	s_cselect_b32 s4, s5, s16
	s_delay_alu instid0(SALU_CYCLE_1) | instskip(NEXT) | instid1(SALU_CYCLE_1)
	s_ashr_i32 s5, s4, 31
	s_lshl_b64 s[4:5], s[4:5], 2
	s_delay_alu instid0(SALU_CYCLE_1)
	s_add_u32 s42, s35, s4
	s_addc_u32 s43, s36, s5
	s_or_b32 s4, s29, 0xb0
	s_load_b32 s39, s[42:43], 0x0
	s_ashr_i32 s6, s4, 4
	s_cmp_lt_i32 s4, s28
	s_mul_hi_i32 s5, s37, s17
	s_cselect_b32 s8, s6, s16
	s_mul_i32 s6, s27, s17
	s_ashr_i32 s9, s8, 31
	s_mul_i32 s4, s37, s17
	s_lshl_b64 s[10:11], s[8:9], 2
	s_mul_hi_i32 s9, s26, s17
	s_add_u32 s44, s35, s10
	s_addc_u32 s45, s36, s11
	s_or_b32 s10, s29, 0xc0
	s_mul_i32 s8, s26, s17
	s_ashr_i32 s26, s10, 4
	s_cmp_lt_i32 s10, s28
	s_mul_hi_i32 s11, s13, s17
	s_cselect_b32 s26, s26, s16
	s_mul_i32 s10, s13, s17
	s_ashr_i32 s27, s26, 31
	s_mul_hi_i32 s13, s12, s17
	s_lshl_b64 s[26:27], s[26:27], 2
	s_mul_i32 s12, s12, s17
	s_add_u32 s20, s35, s26
	s_addc_u32 s21, s36, s27
	s_or_b32 s18, s29, 0xd0
	s_load_b32 s26, s[24:25], 0x0
	s_ashr_i32 s19, s18, 4
	s_cmp_lt_i32 s18, s28
	s_mul_i32 s18, s15, s17
	s_cselect_b32 s24, s19, s16
	s_mul_hi_i32 s19, s15, s17
	s_ashr_i32 s25, s24, 31
	s_delay_alu instid0(SALU_CYCLE_1) | instskip(NEXT) | instid1(SALU_CYCLE_1)
	s_lshl_b64 s[24:25], s[24:25], 2
	s_add_u32 s24, s35, s24
	s_addc_u32 s25, s36, s25
	s_or_b32 s42, s29, 0xe0
	s_clause 0x2
	s_load_b32 s38, s[44:45], 0x0
	s_load_b32 s37, s[20:21], 0x0
	;; [unrolled: 1-line block ×3, first 2 shown]
	s_ashr_i32 s43, s42, 4
	s_cmp_lt_i32 s42, s28
	s_mul_hi_i32 s25, s46, s17
	s_cselect_b32 s42, s43, s16
	s_mul_i32 s24, s46, s17
	s_ashr_i32 s43, s42, 31
	s_mul_hi_i32 s21, s41, s17
	s_lshl_b64 s[42:43], s[42:43], 2
	s_mul_i32 s20, s41, s17
	s_add_u32 s42, s35, s42
	s_addc_u32 s43, s36, s43
	s_or_b32 s46, s29, 0xf0
	s_waitcnt lgkmcnt(0)
	s_mul_hi_i32 s27, s26, s17
	s_ashr_i32 s47, s46, 4
	s_cmp_lt_i32 s46, s28
	s_mul_i32 s26, s26, s17
	s_cselect_b32 s46, s47, s16
	s_mul_hi_i32 s41, s40, s17
	s_ashr_i32 s47, s46, 31
	s_mul_hi_i32 s51, s15, s17
	s_lshl_b64 s[46:47], s[46:47], 2
	s_mul_i32 s50, s15, s17
	s_add_u32 s46, s35, s46
	s_addc_u32 s47, s36, s47
	s_add_u32 s15, s22, s2
	s_addc_u32 s16, s23, s3
	v_add_co_u32 v216, s15, s15, v125
	s_delay_alu instid0(VALU_DEP_1) | instskip(SKIP_2) | instid1(VALU_DEP_2)
	v_add_co_ci_u32_e64 v217, null, s16, 0, s15
	s_lshl_b64 s[2:3], s[4:5], 1
	s_lshl_b64 s[4:5], s[6:7], 1
	v_add_co_u32 v125, vcc_lo, v216, s2
	s_delay_alu instid0(VALU_DEP_2)
	v_add_co_ci_u32_e32 v126, vcc_lo, s3, v217, vcc_lo
	v_add_co_u32 v199, vcc_lo, v216, s4
	s_lshl_b64 s[6:7], s[8:9], 1
	v_add_co_ci_u32_e32 v200, vcc_lo, s5, v217, vcc_lo
	s_lshl_b64 s[8:9], s[10:11], 1
	s_lshl_b64 s[10:11], s[12:13], 1
	;; [unrolled: 1-line block ×6, first 2 shown]
	s_mul_i32 s40, s40, s17
	s_mul_hi_i32 s45, s39, s17
	s_lshl_b64 s[24:25], s[40:41], 1
	s_mul_i32 s44, s39, s17
	s_mul_hi_i32 s39, s38, s17
	s_lshl_b64 s[26:27], s[44:45], 1
	s_mul_i32 s38, s38, s17
	s_mul_hi_i32 s49, s37, s17
	s_mul_i32 s48, s37, s17
	s_lshl_b64 s[36:37], s[38:39], 1
	s_lshl_b64 s[38:39], s[48:49], 1
	s_clause 0x1
	s_load_b32 s15, s[42:43], 0x0
	s_load_b32 s16, s[46:47], 0x0
	s_lshl_b64 s[40:41], s[50:51], 1
	s_waitcnt lgkmcnt(0)
	s_mul_hi_i32 s3, s15, s17
	s_mul_i32 s2, s15, s17
	s_mul_hi_i32 s5, s16, s17
	s_lshl_b64 s[2:3], s[2:3], 1
	s_mul_i32 s4, s16, s17
	s_waitcnt vmcnt(30)
	v_wmma_f32_16x16x16_f16 v[191:198], v[89:96], v[105:112], v[129:136]
	v_add_co_u32 v89, vcc_lo, v216, s6
	v_add_co_ci_u32_e32 v90, vcc_lo, s7, v217, vcc_lo
	v_add_co_u32 v91, vcc_lo, v216, s8
	v_add_co_ci_u32_e32 v92, vcc_lo, s9, v217, vcc_lo
	;; [unrolled: 2-line block ×5, first 2 shown]
	v_add_co_u32 v205, vcc_lo, v216, s20
	s_waitcnt vmcnt(28)
	v_wmma_f32_16x16x16_f16 v[129:136], v[97:104], v[105:112], v[129:136]
	v_add_co_ci_u32_e32 v206, vcc_lo, s21, v217, vcc_lo
	v_add_co_u32 v207, vcc_lo, v216, s22
	v_add_co_ci_u32_e32 v208, vcc_lo, s23, v217, vcc_lo
	v_add_co_u32 v209, vcc_lo, v216, s24
	s_waitcnt vmcnt(26)
	v_wmma_f32_16x16x16_f16 v[191:198], v[81:88], v[113:120], v[191:198]
	s_waitcnt vmcnt(24)
	v_wmma_f32_16x16x16_f16 v[129:136], v[73:80], v[113:120], v[129:136]
	v_add_co_ci_u32_e32 v210, vcc_lo, s25, v217, vcc_lo
	v_add_co_u32 v211, vcc_lo, v216, s26
	v_add_co_ci_u32_e32 v212, vcc_lo, s27, v217, vcc_lo
	v_add_co_u32 v213, vcc_lo, v216, s36
	s_waitcnt vmcnt(22)
	v_wmma_f32_16x16x16_f16 v[191:198], v[65:72], v[143:150], v[191:198]
	s_waitcnt vmcnt(20)
	v_wmma_f32_16x16x16_f16 v[129:136], v[57:64], v[143:150], v[129:136]
	v_add_co_ci_u32_e32 v214, vcc_lo, s37, v217, vcc_lo
	v_add_co_u32 v143, vcc_lo, v216, s38
	s_waitcnt vmcnt(18)
	v_wmma_f32_16x16x16_f16 v[191:198], v[49:56], v[151:158], v[191:198]
	s_waitcnt vmcnt(16)
	v_wmma_f32_16x16x16_f16 v[129:136], v[25:32], v[151:158], v[129:136]
	v_add_co_ci_u32_e32 v144, vcc_lo, s39, v217, vcc_lo
	s_clause 0x15
	global_load_b128 v[121:124], v[125:126], off
	global_load_b128 v[125:128], v[125:126], off offset:16
	global_load_b128 v[113:116], v[199:200], off
	global_load_b128 v[117:120], v[199:200], off offset:16
	global_load_b128 v[105:108], v[89:90], off
	global_load_b128 v[109:112], v[89:90], off offset:16
	global_load_b128 v[97:100], v[91:92], off
	global_load_b128 v[101:104], v[91:92], off offset:16
	global_load_b128 v[89:92], v[93:94], off
	global_load_b128 v[93:96], v[93:94], off offset:16
	global_load_b128 v[81:84], v[201:202], off
	global_load_b128 v[85:88], v[201:202], off offset:16
	global_load_b128 v[73:76], v[203:204], off
	global_load_b128 v[77:80], v[203:204], off offset:16
	global_load_b128 v[65:68], v[205:206], off
	global_load_b128 v[69:72], v[205:206], off offset:16
	global_load_b128 v[57:60], v[207:208], off
	global_load_b128 v[61:64], v[207:208], off offset:16
	global_load_b128 v[49:52], v[209:210], off
	global_load_b128 v[53:56], v[209:210], off offset:16
	global_load_b128 v[25:28], v[211:212], off
	global_load_b128 v[29:32], v[211:212], off offset:16
	s_waitcnt vmcnt(36)
	v_wmma_f32_16x16x16_f16 v[191:198], v[1:8], v[159:166], v[191:198]
	s_clause 0x1
	global_load_b128 v[1:4], v[213:214], off
	global_load_b128 v[5:8], v[213:214], off offset:16
	s_waitcnt vmcnt(36)
	v_wmma_f32_16x16x16_f16 v[129:136], v[9:16], v[159:166], v[129:136]
	s_clause 0x1
	global_load_b128 v[9:12], v[143:144], off
	global_load_b128 v[13:16], v[143:144], off offset:16
	ds_load_b128 v[143:146], v215 offset:10240
	ds_load_b128 v[147:150], v215 offset:11264
	;; [unrolled: 1-line block ×4, first 2 shown]
	v_add_co_u32 v199, vcc_lo, v216, s40
	v_add_co_ci_u32_e32 v200, vcc_lo, s41, v217, vcc_lo
	v_add_co_u32 v159, vcc_lo, v216, s2
	v_add_co_ci_u32_e32 v160, vcc_lo, s3, v217, vcc_lo
	s_lshl_b64 s[2:3], s[4:5], 1
	s_delay_alu instid0(SALU_CYCLE_1)
	v_add_co_u32 v161, vcc_lo, v216, s2
	v_add_co_ci_u32_e32 v162, vcc_lo, s3, v217, vcc_lo
	s_waitcnt vmcnt(36) lgkmcnt(2)
	v_wmma_f32_16x16x16_f16 v[191:198], v[33:40], v[143:150], v[191:198]
	s_waitcnt vmcnt(34)
	v_wmma_f32_16x16x16_f16 v[129:136], v[41:48], v[143:150], v[129:136]
	s_clause 0x3
	global_load_b128 v[33:36], v[199:200], off
	global_load_b128 v[37:40], v[199:200], off offset:16
	global_load_b128 v[41:44], v[159:160], off
	global_load_b128 v[45:48], v[159:160], off offset:16
	v_and_b32_e32 v143, 0xe0, v0
	v_mbcnt_lo_u32_b32 v159, -1, 0
	s_waitcnt vmcnt(36) lgkmcnt(0)
	v_wmma_f32_16x16x16_f16 v[191:198], v[17:24], v[151:158], v[191:198]
	s_clause 0x1
	global_load_b128 v[17:20], v[161:162], off
	global_load_b128 v[21:24], v[161:162], off offset:16
	s_waitcnt vmcnt(36)
	v_wmma_f32_16x16x16_f16 v[129:136], v[167:174], v[151:158], v[129:136]
	v_add_nc_u32_e32 v160, s29, v143
	ds_load_b128 v[143:146], v215 offset:14336
	ds_load_b128 v[147:150], v215 offset:15360
	v_xor_b32_e32 v151, 16, v159
	s_waitcnt vmcnt(0) lgkmcnt(0)
	s_barrier
	v_or_b32_e32 v152, v160, v138
	buffer_gl0_inv
	v_cmp_gt_i32_e32 vcc_lo, 32, v151
	v_or_b32_e32 v153, 2, v152
	v_or_b32_e32 v154, 4, v152
	;; [unrolled: 1-line block ×5, first 2 shown]
	v_cmp_gt_i32_e64 s2, s28, v153
	v_cmp_gt_i32_e64 s3, s28, v154
	;; [unrolled: 1-line block ×3, first 2 shown]
	v_or_b32_e32 v158, 12, v152
	v_cmp_gt_i32_e64 s5, s28, v156
	v_cmp_gt_i32_e64 s6, s28, v157
	v_wmma_f32_16x16x16_f16 v[191:198], v[175:182], v[143:150], v[191:198]
	v_wmma_f32_16x16x16_f16 v[129:136], v[183:190], v[143:150], v[129:136]
	v_cndmask_b32_e32 v151, v159, v151, vcc_lo
	v_cmp_gt_i32_e32 vcc_lo, s28, v152
	v_or_b32_e32 v159, 14, v152
	v_dual_mul_f32 v149, s34, v192 :: v_dual_mul_f32 v150, s34, v191
	v_dual_mul_f32 v147, s34, v194 :: v_dual_mul_f32 v148, s34, v193
	v_mul_f32_e32 v145, s34, v196
	s_delay_alu instid0(VALU_DEP_3) | instskip(NEXT) | instid1(VALU_DEP_4)
	v_cndmask_b32_e64 v149, 0xff7fffff, v149, s2
	v_cndmask_b32_e32 v150, 0xff7fffff, v150, vcc_lo
	v_mul_f32_e32 v146, s34, v195
	v_cndmask_b32_e64 v148, 0xff7fffff, v148, s3
	v_cndmask_b32_e64 v147, 0xff7fffff, v147, s4
	v_or_b32_e32 v160, 16, v152
	v_max3_f32 v149, v150, 0xff7fffff, v149
	v_or_b32_e32 v161, 18, v152
	v_dual_mul_f32 v143, s34, v198 :: v_dual_mul_f32 v144, s34, v197
	v_cndmask_b32_e64 v146, 0xff7fffff, v146, s5
	v_cndmask_b32_e64 v145, 0xff7fffff, v145, s6
	v_max3_f32 v147, v149, v148, v147
	v_cmp_gt_i32_e64 s7, s28, v158
	v_cmp_gt_i32_e64 s8, s28, v159
	v_or_b32_e32 v162, 20, v152
	v_or_b32_e32 v163, 22, v152
	v_dual_mul_f32 v174, s34, v130 :: v_dual_mul_f32 v175, s34, v129
	v_cndmask_b32_e64 v144, 0xff7fffff, v144, s7
	v_cndmask_b32_e64 v143, 0xff7fffff, v143, s8
	v_max3_f32 v145, v147, v146, v145
	v_cmp_gt_i32_e64 s9, s28, v160
	v_cmp_gt_i32_e64 s10, s28, v161
	v_or_b32_e32 v164, 24, v152
	v_or_b32_e32 v165, 26, v152
	v_dual_mul_f32 v172, s34, v132 :: v_dual_mul_f32 v173, s34, v131
	v_cndmask_b32_e64 v146, 0xff7fffff, v175, s9
	v_cndmask_b32_e64 v147, 0xff7fffff, v174, s10
	v_max3_f32 v143, v145, v144, v143
	v_cmp_gt_i32_e64 s11, s28, v162
	v_cmp_gt_i32_e64 s12, s28, v163
	v_or_b32_e32 v166, 28, v152
	v_or_b32_e32 v167, 30, v152
	v_dual_mul_f32 v170, s34, v134 :: v_dual_mul_f32 v171, s34, v133
	v_cndmask_b32_e64 v144, 0xff7fffff, v173, s11
	v_cndmask_b32_e64 v145, 0xff7fffff, v172, s12
	v_max3_f32 v143, v143, v146, v147
	v_cmp_gt_i32_e64 s13, s28, v164
	v_cmp_gt_i32_e64 s15, s28, v165
	v_dual_mul_f32 v168, s34, v136 :: v_dual_mul_f32 v169, s34, v135
	s_delay_alu instid0(VALU_DEP_4) | instskip(NEXT) | instid1(VALU_DEP_4)
	v_max3_f32 v143, v143, v144, v145
	v_cndmask_b32_e64 v146, 0xff7fffff, v171, s13
	s_delay_alu instid0(VALU_DEP_4) | instskip(SKIP_3) | instid1(VALU_DEP_4)
	v_cndmask_b32_e64 v147, 0xff7fffff, v170, s15
	v_cmp_gt_i32_e64 s16, s28, v166
	v_cmp_gt_i32_e64 s17, s28, v167
	v_lshlrev_b32_e32 v160, 2, v151
	v_max3_f32 v143, v143, v146, v147
	s_delay_alu instid0(VALU_DEP_4) | instskip(NEXT) | instid1(VALU_DEP_4)
	v_cndmask_b32_e64 v144, 0xff7fffff, v169, s16
	v_cndmask_b32_e64 v145, 0xff7fffff, v168, s17
	s_delay_alu instid0(VALU_DEP_1) | instskip(SKIP_3) | instid1(VALU_DEP_1)
	v_max3_f32 v143, v143, v144, v145
	ds_bpermute_b32 v144, v160, v143
	s_waitcnt lgkmcnt(0)
	v_max_f32_e32 v144, v144, v144
	v_max_f32_e32 v159, v143, v144
	s_delay_alu instid0(VALU_DEP_1) | instskip(SKIP_4) | instid1(VALU_DEP_4)
	v_fma_f32 v143, s34, v191, -v159
	v_fma_f32 v144, s34, v192, -v159
	;; [unrolled: 1-line block ×5, first 2 shown]
	v_dual_mul_f32 v143, 0x3fb8aa3b, v143 :: v_dual_mul_f32 v144, 0x3fb8aa3b, v144
	s_delay_alu instid0(VALU_DEP_4) | instskip(SKIP_2) | instid1(VALU_DEP_4)
	v_mul_f32_e32 v132, 0x3fb8aa3b, v132
	v_fma_f32 v134, s34, v134, -v159
	v_mul_f32_e32 v145, 0x3fb8aa3b, v145
	v_exp_f32_e32 v143, v143
	v_exp_f32_e32 v147, v144
	v_fma_f32 v148, s34, v195, -v159
	v_mul_f32_e32 v134, 0x3fb8aa3b, v134
	v_mul_f32_e32 v146, 0x3fb8aa3b, v146
	v_exp_f32_e32 v145, v145
	v_fma_f32 v149, s34, v196, -v159
	v_mul_f32_e32 v148, 0x3fb8aa3b, v148
	v_fma_f32 v151, s34, v197, -v159
	v_exp_f32_e32 v150, v146
	v_cndmask_b32_e32 v144, 0, v143, vcc_lo
	v_cndmask_b32_e64 v143, 0, v147, s2
	v_mul_f32_e32 v149, 0x3fb8aa3b, v149
	v_exp_f32_e32 v148, v148
	v_fma_f32 v152, s34, v198, -v159
	v_add_f32_e32 v147, 0, v144
	v_cndmask_b32_e64 v146, 0, v145, s3
	v_mul_f32_e32 v151, 0x3fb8aa3b, v151
	v_exp_f32_e32 v149, v149
	v_cndmask_b32_e64 v145, 0, v150, s4
	v_add_f32_e32 v147, v147, v143
	v_fma_f32 v129, s34, v129, -v159
	v_mul_f32_e32 v150, 0x3fb8aa3b, v152
	v_exp_f32_e32 v151, v151
	v_cndmask_b32_e64 v148, 0, v148, s5
	v_add_f32_e32 v147, v147, v146
	v_fma_f32 v130, s34, v130, -v159
	v_mul_f32_e32 v129, 0x3fb8aa3b, v129
	v_exp_f32_e32 v153, v150
	v_fma_f32 v131, s34, v131, -v159
	v_add_f32_e32 v152, v147, v145
	v_cndmask_b32_e64 v147, 0, v149, s6
	v_mul_f32_e32 v130, 0x3fb8aa3b, v130
	v_exp_f32_e32 v129, v129
	v_cndmask_b32_e64 v150, 0, v151, s7
	v_add_f32_e32 v149, v152, v148
	v_mul_f32_e32 v131, 0x3fb8aa3b, v131
	v_exp_f32_e32 v130, v130
	v_fma_f32 v133, s34, v133, -v159
	v_exp_f32_e32 v132, v132
	v_add_f32_e32 v151, v149, v147
	v_cndmask_b32_e64 v149, 0, v153, s8
	v_exp_f32_e32 v131, v131
	v_cndmask_b32_e64 v152, 0, v129, s9
	v_mul_f32_e32 v133, 0x3fb8aa3b, v133
	v_add_f32_e32 v151, v151, v150
	s_mov_b32 s2, exec_lo
	s_delay_alu instid0(VALU_DEP_2) | instskip(NEXT) | instid1(VALU_DEP_1)
	v_exp_f32_e32 v133, v133
	v_add_f32_e32 v129, v151, v149
	v_cndmask_b32_e64 v151, 0, v130, s10
	v_fma_f32 v130, s34, v135, -v159
	s_delay_alu instid0(TRANS32_DEP_2)
	v_cndmask_b32_e64 v154, 0, v131, s11
	v_exp_f32_e32 v131, v134
	v_add_f32_e32 v129, v129, v152
	v_cndmask_b32_e64 v153, 0, v132, s12
	v_mul_f32_e32 v130, 0x3fb8aa3b, v130
	v_fma_f32 v132, s34, v136, -v159
	v_cndmask_b32_e64 v156, 0, v133, s13
	v_add_f32_e32 v129, v129, v151
	s_delay_alu instid0(VALU_DEP_4) | instskip(NEXT) | instid1(VALU_DEP_3)
	v_exp_f32_e32 v130, v130
	v_mul_f32_e32 v132, 0x3fb8aa3b, v132
	s_delay_alu instid0(TRANS32_DEP_2) | instskip(NEXT) | instid1(VALU_DEP_3)
	v_cndmask_b32_e64 v155, 0, v131, s15
	v_add_f32_e32 v129, v129, v154
	s_delay_alu instid0(VALU_DEP_3) | instskip(NEXT) | instid1(VALU_DEP_1)
	v_exp_f32_e32 v131, v132
	v_add_f32_e32 v129, v129, v153
	s_waitcnt_depctr 0xfff
	v_cndmask_b32_e64 v158, 0, v130, s16
	v_add_f32_e32 v129, v129, v156
	v_cndmask_b32_e64 v157, 0, v131, s17
	s_delay_alu instid0(VALU_DEP_2) | instskip(NEXT) | instid1(VALU_DEP_1)
	v_add_f32_e32 v129, v129, v155
	v_add_f32_e32 v129, v129, v158
	s_delay_alu instid0(VALU_DEP_1)
	v_add_f32_e32 v129, v129, v157
	ds_bpermute_b32 v130, v160, v129
	v_cmpx_gt_u32_e32 16, v142
	s_cbranch_execz .LBB203_12
; %bb.11:
	v_mul_u32_u24_e32 v131, 0x44, v141
	s_delay_alu instid0(VALU_DEP_1) | instskip(SKIP_1) | instid1(VALU_DEP_1)
	v_lshl_add_u32 v131, v140, 2, v131
	s_waitcnt lgkmcnt(0)
	v_dual_add_f32 v129, v129, v130 :: v_dual_add_nc_u32 v130, 0x4000, v131
	ds_store_2addr_b32 v130, v159, v129 offset1:136
.LBB203_12:
	s_or_b32 exec_lo, exec_lo, s2
	v_lshlrev_b32_e32 v129, 2, v140
	s_load_b32 s34, s[0:1], 0x94
	s_waitcnt lgkmcnt(0)
	s_barrier
	buffer_gl0_inv
	v_add_nc_u32_e32 v135, 0x4000, v129
	v_cmp_eq_u32_e32 vcc_lo, 1, v141
	v_cmp_eq_u32_e64 s2, 2, v141
	v_cmp_eq_u32_e64 s3, 3, v141
	;; [unrolled: 1-line block ×3, first 2 shown]
	ds_load_2addr_b32 v[129:130], v135 offset1:17
	ds_load_2addr_b32 v[131:132], v135 offset0:34 offset1:51
	ds_load_2addr_b32 v[133:134], v135 offset0:68 offset1:85
	;; [unrolled: 1-line block ×3, first 2 shown]
	v_cmp_eq_u32_e64 s5, 5, v141
	v_cmp_eq_u32_e64 s6, 7, v141
	s_waitcnt lgkmcnt(3)
	v_max3_f32 v136, v129, 0xff7fffff, v130
	s_waitcnt lgkmcnt(2)
	s_delay_alu instid0(VALU_DEP_1) | instskip(SKIP_1) | instid1(VALU_DEP_1)
	v_max3_f32 v136, v136, v131, v132
	s_waitcnt lgkmcnt(1)
	v_max3_f32 v136, v136, v133, v134
	s_waitcnt lgkmcnt(0)
	s_delay_alu instid0(VALU_DEP_1) | instskip(NEXT) | instid1(VALU_DEP_1)
	v_max3_f32 v136, v136, v159, v160
	v_sub_f32_e32 v142, v130, v136
	ds_load_2addr_b32 v[161:162], v135 offset0:136 offset1:153
	v_sub_f32_e32 v164, v132, v136
	v_mul_f32_e32 v142, 0x3fb8aa3b, v142
	s_delay_alu instid0(VALU_DEP_2) | instskip(NEXT) | instid1(VALU_DEP_2)
	v_mul_f32_e32 v164, 0x3fb8aa3b, v164
	v_exp_f32_e32 v166, v142
	v_sub_f32_e32 v129, v129, v136
	s_delay_alu instid0(VALU_DEP_2) | instskip(NEXT) | instid1(VALU_DEP_1)
	v_exp_f32_e32 v164, v164
	v_mul_f32_e32 v163, 0x3fb8aa3b, v129
	ds_load_2addr_b32 v[129:130], v135 offset0:170 offset1:187
	v_exp_f32_e32 v163, v163
	s_waitcnt lgkmcnt(1)
	s_waitcnt_depctr 0xfff
	v_fma_f32 v142, v163, v161, 0
	v_sub_f32_e32 v161, v134, v136
	s_delay_alu instid0(VALU_DEP_2) | instskip(NEXT) | instid1(VALU_DEP_1)
	v_dual_fmac_f32 v142, v166, v162 :: v_dual_sub_f32 v131, v131, v136
	v_mul_f32_e32 v165, 0x3fb8aa3b, v131
	ds_load_2addr_b32 v[131:132], v135 offset0:204 offset1:221
	v_exp_f32_e32 v165, v165
	s_waitcnt lgkmcnt(1)
	s_waitcnt_depctr 0xfff
	v_fmac_f32_e32 v142, v165, v129
	v_sub_f32_e32 v133, v133, v136
	v_sub_f32_e32 v129, v160, v136
	s_delay_alu instid0(VALU_DEP_2) | instskip(NEXT) | instid1(VALU_DEP_2)
	v_dual_fmac_f32 v142, v164, v130 :: v_dual_mul_f32 v167, 0x3fb8aa3b, v133
	v_mul_f32_e32 v129, 0x3fb8aa3b, v129
	ds_load_2addr_b32 v[133:134], v135 offset0:238 offset1:255
	v_cndmask_b32_e32 v130, v163, v166, vcc_lo
	s_waitcnt lgkmcnt(0)
	s_barrier
	v_exp_f32_e32 v162, v129
	v_sub_f32_e32 v135, v159, v136
	v_mul_f32_e32 v159, 0x3fb8aa3b, v161
	v_exp_f32_e32 v161, v167
	buffer_gl0_inv
	v_exp_f32_e32 v159, v159
	v_fmac_f32_e32 v142, v161, v131
	s_waitcnt_depctr 0xfff
	v_dual_mul_f32 v135, 0x3fb8aa3b, v135 :: v_dual_fmac_f32 v142, v159, v132
	s_delay_alu instid0(VALU_DEP_1) | instskip(SKIP_2) | instid1(VALU_DEP_1)
	v_exp_f32_e32 v160, v135
	s_waitcnt_depctr 0xfff
	v_dual_fmac_f32 v142, v160, v133 :: v_dual_lshlrev_b32 v133, 6, v140
	v_fmac_f32_e32 v142, v162, v134
	s_delay_alu instid0(VALU_DEP_2) | instskip(NEXT) | instid1(VALU_DEP_2)
	v_lshl_or_b32 v135, v141, 11, v133
	v_add_f32_e32 v134, 0x358637bd, v142
	s_delay_alu instid0(VALU_DEP_1) | instskip(SKIP_1) | instid1(VALU_DEP_2)
	v_div_scale_f32 v167, null, v134, v134, 1.0
	v_div_scale_f32 v163, vcc_lo, 1.0, v134, 1.0
	v_rcp_f32_e32 v168, v167
	s_waitcnt_depctr 0xfff
	v_fma_f32 v129, -v167, v168, 1.0
	s_delay_alu instid0(VALU_DEP_1) | instskip(SKIP_2) | instid1(VALU_DEP_2)
	v_fmac_f32_e32 v168, v129, v168
	v_cndmask_b32_e64 v129, v130, v165, s2
	v_cmp_eq_u32_e64 s2, 6, v141
	v_cndmask_b32_e64 v130, v129, v164, s3
	v_lshlrev_b32_e32 v129, 2, v138
	v_mul_f32_e32 v165, v163, v168
	s_delay_alu instid0(VALU_DEP_3) | instskip(NEXT) | instid1(VALU_DEP_3)
	v_cndmask_b32_e64 v161, v130, v161, s4
	v_or_b32_e32 v130, 1, v129
	s_delay_alu instid0(VALU_DEP_3)
	v_fma_f32 v131, -v167, v165, v163
	v_or_b32_e32 v132, 2, v129
	v_cmp_eq_u32_e64 s3, 1, v129
	v_cndmask_b32_e64 v141, v161, v159, s5
	v_cmp_eq_u32_e64 s8, 1, v130
	v_fmac_f32_e32 v165, v131, v168
	v_or_b32_e32 v131, 3, v129
	v_cmp_eq_u32_e64 s9, 1, v132
	v_cndmask_b32_e64 v141, v141, v160, s2
	v_cmp_eq_u32_e64 s4, 2, v129
	v_fma_f32 v159, -v167, v165, v163
	v_cmp_eq_u32_e64 s10, 1, v131
	v_cmp_eq_u32_e64 s15, 2, v131
	v_cndmask_b32_e64 v141, v141, v162, s6
	v_cmp_eq_u32_e64 s11, 2, v130
	v_div_fmas_f32 v159, v159, v168, v165
	v_cmp_eq_u32_e64 s17, 3, v131
	v_cmp_eq_u32_e32 vcc_lo, 3, v129
	v_cmp_eq_u32_e64 s12, 3, v130
	v_cmp_eq_u32_e64 s13, 2, v132
	v_div_fixup_f32 v159, v159, v134, 1.0
	v_lshl_or_b32 v134, v138, 4, v135
	v_cmp_eq_u32_e64 s21, 4, v131
	v_cmp_eq_u32_e64 s2, 4, v129
	;; [unrolled: 1-line block ×3, first 2 shown]
	v_mul_f32_e32 v141, v141, v159
	v_cmp_eq_u32_e64 s18, 4, v130
	v_cmp_eq_u32_e64 s23, 5, v131
	;; [unrolled: 1-line block ×4, first 2 shown]
	v_fma_mixlo_f16 v159, v141, v144, 0
	v_fma_mixlo_f16 v160, v141, v146, 0
	;; [unrolled: 1-line block ×8, first 2 shown]
	v_fma_mixhi_f16 v159, v141, v143, 0
	v_fma_mixhi_f16 v160, v141, v145, 0
	v_fma_mixhi_f16 v161, v141, v147, 0
	v_fma_mixhi_f16 v162, v141, v149, 0
	v_fma_mixhi_f16 v163, v141, v151, 0
	v_fma_mixhi_f16 v164, v141, v153, 0
	v_fma_mixhi_f16 v165, v141, v155, 0
	v_fma_mixhi_f16 v166, v141, v157, 0
	ds_store_b128 v134, v[159:162]
	ds_store_b128 v134, v[163:166] offset:1024
	s_waitcnt lgkmcnt(0)
	s_barrier
	buffer_gl0_inv
	ds_load_b128 v[143:146], v135
	ds_load_b128 v[147:150], v135 offset:16
	ds_load_b128 v[151:154], v135 offset:1024
	;; [unrolled: 1-line block ×3, first 2 shown]
	v_cmp_eq_u32_e64 s20, 4, v132
	v_cmp_eq_u32_e64 s26, 6, v131
	;; [unrolled: 1-line block ×10, first 2 shown]
	s_waitcnt lgkmcnt(3)
	v_lshrrev_b32_e32 v141, 16, v143
	s_waitcnt lgkmcnt(2)
	v_lshrrev_b32_e32 v162, 16, v147
	v_lshrrev_b32_e32 v159, 16, v144
	;; [unrolled: 1-line block ×3, first 2 shown]
	s_waitcnt lgkmcnt(1)
	v_lshrrev_b32_e32 v166, 16, v151
	v_cndmask_b32_e64 v174, v143, v141, s3
	v_cndmask_b32_e64 v176, v143, v141, s8
	;; [unrolled: 1-line block ×5, first 2 shown]
	s_waitcnt lgkmcnt(0)
	v_lshrrev_b32_e32 v170, 16, v155
	v_cndmask_b32_e64 v175, v147, v162, s3
	v_cndmask_b32_e64 v177, v147, v162, s8
	;; [unrolled: 1-line block ×19, first 2 shown]
	v_lshrrev_b32_e32 v160, 16, v145
	v_lshrrev_b32_e32 v164, 16, v149
	;; [unrolled: 1-line block ×4, first 2 shown]
	v_cndmask_b32_e64 v176, v178, v144, s13
	v_cndmask_b32_e64 v177, v179, v148, s13
	;; [unrolled: 1-line block ×8, first 2 shown]
	v_cndmask_b32_e32 v155, v166, v159, vcc_lo
	v_cndmask_b32_e32 v166, v170, v163, vcc_lo
	v_cndmask_b32_e64 v170, v174, v159, s12
	v_cndmask_b32_e64 v174, v175, v163, s12
	;; [unrolled: 1-line block ×6, first 2 shown]
	v_cndmask_b32_e32 v144, v144, v167, vcc_lo
	v_cndmask_b32_e32 v147, v147, v171, vcc_lo
	v_cndmask_b32_e64 v148, v148, v167, s12
	v_cndmask_b32_e64 v155, v155, v145, s2
	;; [unrolled: 1-line block ×7, first 2 shown]
	v_lshrrev_b32_e32 v161, 16, v146
	v_lshrrev_b32_e32 v165, 16, v150
	;; [unrolled: 1-line block ×4, first 2 shown]
	v_cndmask_b32_e64 v170, v175, v145, s20
	v_cndmask_b32_e64 v174, v176, v149, s20
	;; [unrolled: 1-line block ×22, first 2 shown]
	v_lshrrev_b32_e32 v169, 16, v154
	v_cndmask_b32_e64 v160, v163, v146, s25
	v_cndmask_b32_e64 v163, v166, v150, s25
	;; [unrolled: 1-line block ×9, first 2 shown]
	v_perm_b32 v146, v143, v141, 0x5040100
	v_cndmask_b32_e64 v141, v183, v156, s13
	v_cndmask_b32_e64 v143, v181, v156, s11
	v_cndmask_b32_e64 v155, v160, v161, s27
	v_cndmask_b32_e64 v161, v144, v169, s7
	v_perm_b32 v144, v159, v149, 0x5040100
	v_cndmask_b32_e64 v149, v162, v167, s16
	v_cndmask_b32_e64 v151, v151, v167, s17
	v_cndmask_b32_e64 v152, v152, v171, s17
	v_cndmask_b32_e64 v141, v141, v171, s16
	v_cndmask_b32_e64 v143, v143, v171, s12
	v_cndmask_b32_e64 v149, v149, v153, s20
	v_cndmask_b32_e64 v151, v151, v153, s21
	v_cndmask_b32_e64 v152, v152, v157, s21
	v_cndmask_b32_e64 v141, v141, v157, s20
	v_cndmask_b32_e64 v143, v143, v157, s18
	v_cndmask_b32_e64 v149, v149, v168, s22
	v_cndmask_b32_e64 v151, v151, v168, s23
	v_cndmask_b32_e64 v152, v152, v172, s23
	v_cndmask_b32_e64 v141, v141, v172, s22
	v_cndmask_b32_e64 v143, v143, v172, s19
	v_lshrrev_b32_e32 v173, 16, v158
	v_cndmask_b32_e64 v149, v149, v154, s25
	v_cndmask_b32_e64 v151, v151, v154, s26
	;; [unrolled: 1-line block ×13, first 2 shown]
	v_perm_b32 v145, v160, v155, 0x5040100
	v_perm_b32 v143, v148, v147, 0x5040100
	;; [unrolled: 1-line block ×6, first 2 shown]
	s_mul_i32 s6, s33, 10
	s_mov_b32 s2, exec_lo
	ds_store_b128 v134, v[143:146]
	ds_store_b128 v134, v[147:150] offset:1024
	v_cmpx_gt_u32_e32 10, v0
	s_cbranch_execz .LBB203_14
; %bb.13:
	s_mul_i32 s3, s6, s30
	s_load_b128 s[8:11], s[0:1], 0x58
	v_add3_u32 v143, s3, s31, v140
	s_delay_alu instid0(VALU_DEP_1) | instskip(NEXT) | instid1(VALU_DEP_1)
	v_mad_u64_u32 v[140:141], null, v143, s34, s[14:15]
	v_ashrrev_i32_e32 v141, 31, v140
	s_delay_alu instid0(VALU_DEP_1) | instskip(SKIP_1) | instid1(VALU_DEP_1)
	v_lshlrev_b64 v[140:141], 2, v[140:141]
	s_waitcnt lgkmcnt(0)
	v_add_co_u32 v143, vcc_lo, s10, v140
	s_delay_alu instid0(VALU_DEP_2)
	v_add_co_ci_u32_e32 v144, vcc_lo, s11, v141, vcc_lo
	v_add_co_u32 v140, vcc_lo, s8, v140
	v_add_co_ci_u32_e32 v141, vcc_lo, s9, v141, vcc_lo
	global_store_b32 v[143:144], v136, off
	global_store_b32 v[140:141], v142, off
.LBB203_14:
	s_or_b32 exec_lo, exec_lo, s2
	s_waitcnt lgkmcnt(0)
	s_waitcnt_vscnt null, 0x0
	s_barrier
	buffer_gl0_inv
	ds_load_b128 v[148:151], v133
	ds_load_b128 v[152:155], v133 offset:16
	ds_load_b128 v[160:163], v133 offset:1040
	;; [unrolled: 1-line block ×5, first 2 shown]
	v_cmp_eq_u32_e32 vcc_lo, 1, v132
	v_mov_b32_e32 v140, 0
	ds_load_b128 v[176:179], v133 offset:3088
	ds_load_b128 v[172:175], v133 offset:3072
	;; [unrolled: 1-line block ×4, first 2 shown]
	v_cmp_eq_u32_e64 s2, 1, v129
	v_cmp_eq_u32_e64 s3, 1, v131
	;; [unrolled: 1-line block ×3, first 2 shown]
	v_mov_b32_e32 v141, v140
	v_mov_b32_e32 v142, v140
	;; [unrolled: 1-line block ×7, first 2 shown]
	v_cmp_eq_u32_e64 s5, 2, v129
	s_waitcnt lgkmcnt(8)
	s_delay_alu instid0(VALU_DEP_2)
	v_wmma_f32_16x16x16_f16 v[140:147], v[121:128], v[148:155], v[140:147]
	ds_load_b128 v[125:128], v133 offset:5136
	ds_load_b128 v[121:124], v133 offset:5120
	s_waitcnt lgkmcnt(8)
	v_wmma_f32_16x16x16_f16 v[140:147], v[113:120], v[156:163], v[140:147]
	ds_load_b128 v[117:120], v133 offset:6160
	ds_load_b128 v[113:116], v133 offset:6144
	s_waitcnt lgkmcnt(8)
	;; [unrolled: 4-line block ×11, first 2 shown]
	s_barrier
	buffer_gl0_inv
	v_wmma_f32_16x16x16_f16 v[140:147], v[1:8], v[73:80], v[140:147]
	s_delay_alu instid0(VALU_DEP_1) | instskip(NEXT) | instid1(VALU_DEP_1)
	v_wmma_f32_16x16x16_f16 v[140:147], v[9:16], v[65:72], v[140:147]
	v_wmma_f32_16x16x16_f16 v[140:147], v[33:40], v[57:64], v[140:147]
	s_delay_alu instid0(VALU_DEP_1) | instskip(NEXT) | instid1(VALU_DEP_1)
	v_wmma_f32_16x16x16_f16 v[140:147], v[41:48], v[49:56], v[140:147]
	v_wmma_f32_16x16x16_f16 v[140:147], v[17:24], v[25:32], v[140:147]
	s_delay_alu instid0(VALU_DEP_1) | instskip(NEXT) | instid1(VALU_DEP_2)
	v_cvt_f16_f32_e64 v1, v140
	v_cvt_f16_f32_e64 v2, v141
	s_delay_alu instid0(VALU_DEP_3) | instskip(NEXT) | instid1(VALU_DEP_4)
	v_cvt_f16_f32_e64 v3, v142
	v_cvt_f16_f32_e64 v4, v143
	;; [unrolled: 1-line block ×6, first 2 shown]
	v_pack_b32_f16 v1, v1, v2
	v_pack_b32_f16 v2, v3, v4
	;; [unrolled: 1-line block ×3, first 2 shown]
	s_delay_alu instid0(VALU_DEP_4)
	v_pack_b32_f16 v4, v7, v8
	ds_store_b128 v134, v[1:4]
	s_waitcnt lgkmcnt(0)
	s_barrier
	buffer_gl0_inv
	ds_load_b128 v[1:4], v135
	ds_load_b128 v[5:8], v135 offset:16
	s_waitcnt lgkmcnt(1)
	v_lshrrev_b32_e32 v9, 16, v1
	s_waitcnt lgkmcnt(0)
	v_lshrrev_b32_e32 v13, 16, v5
	v_lshrrev_b32_e32 v10, 16, v2
	;; [unrolled: 1-line block ×4, first 2 shown]
	v_cndmask_b32_e64 v17, v1, v9, s2
	v_cndmask_b32_e64 v18, v5, v13, s2
	;; [unrolled: 1-line block ×3, first 2 shown]
	v_cmp_eq_u32_e64 s2, 2, v130
	v_cndmask_b32_e64 v20, v5, v13, s4
	v_cndmask_b32_e32 v21, v1, v9, vcc_lo
	v_cndmask_b32_e32 v22, v5, v13, vcc_lo
	v_cndmask_b32_e64 v1, v1, v9, s3
	v_cndmask_b32_e64 v5, v5, v13, s3
	v_cmp_eq_u32_e32 vcc_lo, 2, v132
	v_cmp_eq_u32_e64 s3, 2, v131
	v_cndmask_b32_e64 v9, v17, v2, s5
	v_cndmask_b32_e64 v13, v18, v6, s5
	;; [unrolled: 1-line block ×4, first 2 shown]
	v_cndmask_b32_e32 v19, v21, v2, vcc_lo
	v_cmp_eq_u32_e64 s2, 3, v132
	v_cndmask_b32_e32 v20, v22, v6, vcc_lo
	v_cndmask_b32_e64 v1, v1, v2, s3
	v_cmp_eq_u32_e32 vcc_lo, 3, v131
	v_cmp_eq_u32_e64 s4, 3, v129
	v_cndmask_b32_e64 v2, v5, v6, s3
	v_cmp_eq_u32_e64 s3, 3, v130
	v_cmp_eq_u32_e64 s5, 4, v129
	v_cndmask_b32_e32 v1, v1, v10, vcc_lo
	v_cndmask_b32_e64 v5, v9, v10, s4
	v_cndmask_b32_e64 v6, v13, v14, s4
	;; [unrolled: 1-line block ×3, first 2 shown]
	v_cmp_eq_u32_e64 s4, 4, v130
	v_cndmask_b32_e64 v13, v18, v14, s3
	v_cndmask_b32_e64 v17, v19, v10, s2
	;; [unrolled: 1-line block ×3, first 2 shown]
	v_cndmask_b32_e32 v2, v2, v14, vcc_lo
	v_cmp_eq_u32_e32 vcc_lo, 4, v132
	v_cmp_eq_u32_e64 s3, 4, v131
	v_lshrrev_b32_e32 v15, 16, v7
	v_cndmask_b32_e64 v5, v5, v3, s5
	v_cndmask_b32_e64 v6, v6, v7, s5
	v_cndmask_b32_e32 v14, v18, v7, vcc_lo
	v_cndmask_b32_e64 v9, v9, v3, s4
	v_cndmask_b32_e64 v10, v13, v7, s4
	v_cndmask_b32_e32 v13, v17, v3, vcc_lo
	v_cmp_eq_u32_e64 s2, 5, v132
	v_cndmask_b32_e64 v1, v1, v3, s3
	v_cmp_eq_u32_e32 vcc_lo, 5, v131
	v_cmp_eq_u32_e64 s4, 5, v129
	v_cndmask_b32_e64 v2, v2, v7, s3
	v_cmp_eq_u32_e64 s3, 5, v130
	v_cmp_eq_u32_e64 s5, 6, v129
	v_lshrrev_b32_e32 v12, 16, v4
	v_cndmask_b32_e64 v3, v5, v11, s4
	v_cndmask_b32_e64 v5, v6, v15, s4
	;; [unrolled: 1-line block ×3, first 2 shown]
	v_cmp_eq_u32_e64 s4, 6, v130
	v_cndmask_b32_e64 v7, v10, v15, s3
	v_cndmask_b32_e64 v9, v13, v11, s2
	;; [unrolled: 1-line block ×3, first 2 shown]
	v_cndmask_b32_e32 v1, v1, v11, vcc_lo
	v_cndmask_b32_e32 v2, v2, v15, vcc_lo
	v_cmp_eq_u32_e32 vcc_lo, 6, v132
	v_cmp_eq_u32_e64 s2, 6, v131
	v_lshrrev_b32_e32 v16, 16, v8
	v_cndmask_b32_e64 v3, v3, v4, s5
	v_cndmask_b32_e64 v5, v5, v8, s5
	v_cndmask_b32_e32 v9, v9, v4, vcc_lo
	v_cndmask_b32_e64 v6, v6, v4, s4
	v_cndmask_b32_e64 v7, v7, v8, s4
	v_cmp_eq_u32_e64 s3, 7, v132
	v_cndmask_b32_e32 v10, v10, v8, vcc_lo
	v_cndmask_b32_e64 v1, v1, v4, s2
	v_cmp_eq_u32_e32 vcc_lo, 7, v131
	v_cndmask_b32_e64 v2, v2, v8, s2
	v_cmp_eq_u32_e64 s2, 7, v129
	v_cmp_eq_u32_e64 s4, 7, v130
	v_cndmask_b32_e32 v1, v1, v12, vcc_lo
	s_delay_alu instid0(VALU_DEP_4) | instskip(NEXT) | instid1(VALU_DEP_4)
	v_cndmask_b32_e32 v2, v2, v16, vcc_lo
	v_cndmask_b32_e64 v8, v3, v12, s2
	s_delay_alu instid0(VALU_DEP_4)
	v_cndmask_b32_e64 v6, v6, v12, s4
	v_cndmask_b32_e64 v3, v9, v12, s3
	v_cndmask_b32_e64 v9, v10, v16, s3
	v_cndmask_b32_e64 v7, v7, v16, s4
	v_cndmask_b32_e64 v5, v5, v16, s2
	v_perm_b32 v4, v2, v1, 0x5040100
	s_mov_b32 s2, exec_lo
	v_perm_b32 v3, v9, v3, 0x5040100
	v_perm_b32 v2, v7, v6, 0x5040100
	;; [unrolled: 1-line block ×3, first 2 shown]
	ds_store_b128 v134, v[1:4]
	s_waitcnt lgkmcnt(0)
	s_barrier
	buffer_gl0_inv
	v_cmpx_gt_u32_e32 32, v0
	s_cbranch_execz .LBB203_2
; %bb.15:
	s_load_b64 s[0:1], s[0:1], 0x68
	s_lshl_b32 s4, s34, 7
	v_or_b32_e32 v2, s31, v138
	s_mul_i32 s2, s4, s30
	v_lshlrev_b32_e32 v0, 10, v0
	s_mul_i32 s2, s2, s6
	v_lshlrev_b32_e32 v1, 4, v139
	s_ashr_i32 s3, s2, 31
	v_mul_lo_u32 v20, v2, s4
	s_lshl_b64 s[2:3], s[2:3], 1
	v_lshlrev_b32_e32 v3, 6, v138
	v_and_b32_e32 v0, 0x3800, v0
	s_delay_alu instid0(VALU_DEP_1) | instskip(NEXT) | instid1(VALU_DEP_4)
	v_or3_b32 v16, v0, v1, v3
	v_ashrrev_i32_e32 v21, 31, v20
	ds_load_b128 v[0:3], v16
	ds_load_b128 v[4:7], v16 offset:128
	s_waitcnt lgkmcnt(0)
	s_add_u32 s2, s0, s2
	s_addc_u32 s3, s1, s3
	s_lshl_b32 s0, s14, 7
	ds_load_b128 v[8:11], v16 offset:256
	ds_load_b128 v[12:15], v16 offset:384
	;; [unrolled: 1-line block ×3, first 2 shown]
	s_ashr_i32 s1, s0, 31
	s_delay_alu instid0(SALU_CYCLE_1) | instskip(NEXT) | instid1(SALU_CYCLE_1)
	s_lshl_b64 s[0:1], s[0:1], 1
	s_add_u32 s0, s2, s0
	s_addc_u32 s1, s3, s1
	s_lshl_b32 s2, s34, 8
	v_add_co_u32 v30, s0, s0, v137
	v_add_nc_u32_e32 v22, s2, v20
	v_lshlrev_b64 v[20:21], 1, v[20:21]
	v_add_co_ci_u32_e64 v31, null, s1, 0, s0
	s_delay_alu instid0(VALU_DEP_3) | instskip(SKIP_1) | instid1(VALU_DEP_4)
	v_add_nc_u32_e32 v24, s2, v22
	v_ashrrev_i32_e32 v23, 31, v22
	v_add_co_u32 v20, vcc_lo, v30, v20
	s_delay_alu instid0(VALU_DEP_4) | instskip(NEXT) | instid1(VALU_DEP_4)
	v_add_co_ci_u32_e32 v21, vcc_lo, v31, v21, vcc_lo
	v_add_nc_u32_e32 v26, s2, v24
	v_ashrrev_i32_e32 v25, 31, v24
	v_lshlrev_b64 v[22:23], 1, v[22:23]
	s_delay_alu instid0(VALU_DEP_3) | instskip(SKIP_1) | instid1(VALU_DEP_4)
	v_add_nc_u32_e32 v28, s2, v26
	v_ashrrev_i32_e32 v27, 31, v26
	v_lshlrev_b64 v[24:25], 1, v[24:25]
	s_delay_alu instid0(VALU_DEP_4) | instskip(NEXT) | instid1(VALU_DEP_4)
	v_add_co_u32 v22, vcc_lo, v30, v22
	v_ashrrev_i32_e32 v29, 31, v28
	s_delay_alu instid0(VALU_DEP_4) | instskip(SKIP_2) | instid1(VALU_DEP_4)
	v_lshlrev_b64 v[26:27], 1, v[26:27]
	v_add_co_ci_u32_e32 v23, vcc_lo, v31, v23, vcc_lo
	v_add_co_u32 v24, vcc_lo, v30, v24
	v_lshlrev_b64 v[28:29], 1, v[28:29]
	v_add_co_ci_u32_e32 v25, vcc_lo, v31, v25, vcc_lo
	v_add_co_u32 v26, vcc_lo, v30, v26
	v_add_co_ci_u32_e32 v27, vcc_lo, v31, v27, vcc_lo
	s_delay_alu instid0(VALU_DEP_4)
	v_add_co_u32 v28, vcc_lo, v30, v28
	v_add_co_ci_u32_e32 v29, vcc_lo, v31, v29, vcc_lo
	s_clause 0x1
	global_store_b128 v[20:21], v[0:3], off
	global_store_b128 v[22:23], v[4:7], off
	s_waitcnt lgkmcnt(2)
	global_store_b128 v[24:25], v[8:11], off
	s_waitcnt lgkmcnt(1)
	;; [unrolled: 2-line block ×3, first 2 shown]
	global_store_b128 v[28:29], v[16:19], off
	s_nop 0
	s_sendmsg sendmsg(MSG_DEALLOC_VGPRS)
	s_endpgm
	.section	.rodata,"a",@progbits
	.p2align	6, 0x0
	.amdhsa_kernel _Z39paged_attention_ll4mi_QKV_mfma16_kernelIDF16_DF16_LN4vllm18Fp8KVCacheDataTypeE0EhLi16ELi128ELi256ELb1ELi10EL8MFMAType0EEvPKT_PKT0_S8_ifPKiSA_SA_iPKfiiiPfSD_PS3_PT2_iSC_SC_
		.amdhsa_group_segment_fixed_size 17472
		.amdhsa_private_segment_fixed_size 0
		.amdhsa_kernarg_size 400
		.amdhsa_user_sgpr_count 13
		.amdhsa_user_sgpr_dispatch_ptr 0
		.amdhsa_user_sgpr_queue_ptr 0
		.amdhsa_user_sgpr_kernarg_segment_ptr 1
		.amdhsa_user_sgpr_dispatch_id 0
		.amdhsa_user_sgpr_private_segment_size 0
		.amdhsa_wavefront_size32 1
		.amdhsa_uses_dynamic_stack 0
		.amdhsa_enable_private_segment 0
		.amdhsa_system_sgpr_workgroup_id_x 1
		.amdhsa_system_sgpr_workgroup_id_y 1
		.amdhsa_system_sgpr_workgroup_id_z 1
		.amdhsa_system_sgpr_workgroup_info 0
		.amdhsa_system_vgpr_workitem_id 0
		.amdhsa_next_free_vgpr 218
		.amdhsa_next_free_sgpr 52
		.amdhsa_reserve_vcc 1
		.amdhsa_float_round_mode_32 0
		.amdhsa_float_round_mode_16_64 0
		.amdhsa_float_denorm_mode_32 3
		.amdhsa_float_denorm_mode_16_64 3
		.amdhsa_dx10_clamp 1
		.amdhsa_ieee_mode 1
		.amdhsa_fp16_overflow 0
		.amdhsa_workgroup_processor_mode 1
		.amdhsa_memory_ordered 1
		.amdhsa_forward_progress 0
		.amdhsa_shared_vgpr_count 0
		.amdhsa_exception_fp_ieee_invalid_op 0
		.amdhsa_exception_fp_denorm_src 0
		.amdhsa_exception_fp_ieee_div_zero 0
		.amdhsa_exception_fp_ieee_overflow 0
		.amdhsa_exception_fp_ieee_underflow 0
		.amdhsa_exception_fp_ieee_inexact 0
		.amdhsa_exception_int_div_zero 0
	.end_amdhsa_kernel
	.section	.text._Z39paged_attention_ll4mi_QKV_mfma16_kernelIDF16_DF16_LN4vllm18Fp8KVCacheDataTypeE0EhLi16ELi128ELi256ELb1ELi10EL8MFMAType0EEvPKT_PKT0_S8_ifPKiSA_SA_iPKfiiiPfSD_PS3_PT2_iSC_SC_,"axG",@progbits,_Z39paged_attention_ll4mi_QKV_mfma16_kernelIDF16_DF16_LN4vllm18Fp8KVCacheDataTypeE0EhLi16ELi128ELi256ELb1ELi10EL8MFMAType0EEvPKT_PKT0_S8_ifPKiSA_SA_iPKfiiiPfSD_PS3_PT2_iSC_SC_,comdat
.Lfunc_end203:
	.size	_Z39paged_attention_ll4mi_QKV_mfma16_kernelIDF16_DF16_LN4vllm18Fp8KVCacheDataTypeE0EhLi16ELi128ELi256ELb1ELi10EL8MFMAType0EEvPKT_PKT0_S8_ifPKiSA_SA_iPKfiiiPfSD_PS3_PT2_iSC_SC_, .Lfunc_end203-_Z39paged_attention_ll4mi_QKV_mfma16_kernelIDF16_DF16_LN4vllm18Fp8KVCacheDataTypeE0EhLi16ELi128ELi256ELb1ELi10EL8MFMAType0EEvPKT_PKT0_S8_ifPKiSA_SA_iPKfiiiPfSD_PS3_PT2_iSC_SC_
                                        ; -- End function
	.section	.AMDGPU.csdata,"",@progbits
; Kernel info:
; codeLenInByte = 8120
; NumSgprs: 54
; NumVgprs: 218
; ScratchSize: 0
; MemoryBound: 0
; FloatMode: 240
; IeeeMode: 1
; LDSByteSize: 17472 bytes/workgroup (compile time only)
; SGPRBlocks: 6
; VGPRBlocks: 27
; NumSGPRsForWavesPerEU: 54
; NumVGPRsForWavesPerEU: 218
; Occupancy: 6
; WaveLimiterHint : 1
; COMPUTE_PGM_RSRC2:SCRATCH_EN: 0
; COMPUTE_PGM_RSRC2:USER_SGPR: 13
; COMPUTE_PGM_RSRC2:TRAP_HANDLER: 0
; COMPUTE_PGM_RSRC2:TGID_X_EN: 1
; COMPUTE_PGM_RSRC2:TGID_Y_EN: 1
; COMPUTE_PGM_RSRC2:TGID_Z_EN: 1
; COMPUTE_PGM_RSRC2:TIDIG_COMP_CNT: 0
	.section	.text._Z39paged_attention_ll4mi_QKV_mfma16_kernelIDF16_DF16_LN4vllm18Fp8KVCacheDataTypeE0EhLi16ELi128ELi256ELb1ELi11EL8MFMAType0EEvPKT_PKT0_S8_ifPKiSA_SA_iPKfiiiPfSD_PS3_PT2_iSC_SC_,"axG",@progbits,_Z39paged_attention_ll4mi_QKV_mfma16_kernelIDF16_DF16_LN4vllm18Fp8KVCacheDataTypeE0EhLi16ELi128ELi256ELb1ELi11EL8MFMAType0EEvPKT_PKT0_S8_ifPKiSA_SA_iPKfiiiPfSD_PS3_PT2_iSC_SC_,comdat
	.protected	_Z39paged_attention_ll4mi_QKV_mfma16_kernelIDF16_DF16_LN4vllm18Fp8KVCacheDataTypeE0EhLi16ELi128ELi256ELb1ELi11EL8MFMAType0EEvPKT_PKT0_S8_ifPKiSA_SA_iPKfiiiPfSD_PS3_PT2_iSC_SC_ ; -- Begin function _Z39paged_attention_ll4mi_QKV_mfma16_kernelIDF16_DF16_LN4vllm18Fp8KVCacheDataTypeE0EhLi16ELi128ELi256ELb1ELi11EL8MFMAType0EEvPKT_PKT0_S8_ifPKiSA_SA_iPKfiiiPfSD_PS3_PT2_iSC_SC_
	.globl	_Z39paged_attention_ll4mi_QKV_mfma16_kernelIDF16_DF16_LN4vllm18Fp8KVCacheDataTypeE0EhLi16ELi128ELi256ELb1ELi11EL8MFMAType0EEvPKT_PKT0_S8_ifPKiSA_SA_iPKfiiiPfSD_PS3_PT2_iSC_SC_
	.p2align	8
	.type	_Z39paged_attention_ll4mi_QKV_mfma16_kernelIDF16_DF16_LN4vllm18Fp8KVCacheDataTypeE0EhLi16ELi128ELi256ELb1ELi11EL8MFMAType0EEvPKT_PKT0_S8_ifPKiSA_SA_iPKfiiiPfSD_PS3_PT2_iSC_SC_,@function
_Z39paged_attention_ll4mi_QKV_mfma16_kernelIDF16_DF16_LN4vllm18Fp8KVCacheDataTypeE0EhLi16ELi128ELi256ELb1ELi11EL8MFMAType0EEvPKT_PKT0_S8_ifPKiSA_SA_iPKfiiiPfSD_PS3_PT2_iSC_SC_: ; @_Z39paged_attention_ll4mi_QKV_mfma16_kernelIDF16_DF16_LN4vllm18Fp8KVCacheDataTypeE0EhLi16ELi128ELi256ELb1ELi11EL8MFMAType0EEvPKT_PKT0_S8_ifPKiSA_SA_iPKfiiiPfSD_PS3_PT2_iSC_SC_
; %bb.0:
	s_load_b64 s[4:5], s[0:1], 0x30
	s_mov_b32 s34, s13
	s_waitcnt lgkmcnt(0)
	s_cmp_lg_u64 s[4:5], 0
	s_cselect_b32 s8, -1, 0
	s_ashr_i32 s35, s13, 31
	s_cmp_eq_u64 s[4:5], 0
	s_cbranch_scc1 .LBB204_3
; %bb.1:
	s_lshl_b64 s[2:3], s[34:35], 2
	s_delay_alu instid0(SALU_CYCLE_1) | instskip(SKIP_4) | instid1(SALU_CYCLE_1)
	s_add_u32 s2, s4, s2
	s_addc_u32 s3, s5, s3
	s_load_b64 s[2:3], s[2:3], 0x0
	s_waitcnt lgkmcnt(0)
	s_sub_i32 s2, s3, s2
	s_cmp_eq_u32 s2, 1
	s_cselect_b32 s2, -1, 0
	s_delay_alu instid0(SALU_CYCLE_1)
	s_and_not1_b32 vcc_lo, exec_lo, s2
	s_cbranch_vccz .LBB204_4
.LBB204_2:
	s_nop 0
	s_sendmsg sendmsg(MSG_DEALLOC_VGPRS)
	s_endpgm
.LBB204_3:
.LBB204_4:
	s_load_b64 s[2:3], s[0:1], 0x28
	s_lshl_b64 s[6:7], s[34:35], 2
	s_waitcnt lgkmcnt(0)
	s_add_u32 s2, s2, s6
	s_addc_u32 s3, s3, s7
	s_lshl_b32 s29, s14, 8
	s_load_b32 s28, s[2:3], 0x0
	s_waitcnt lgkmcnt(0)
	s_cmp_ge_i32 s29, s28
	s_cbranch_scc1 .LBB204_2
; %bb.5:
	s_clause 0x1
	s_load_b128 s[20:23], s[0:1], 0x8
	s_load_b64 s[2:3], s[0:1], 0x20
	s_and_not1_b32 vcc_lo, exec_lo, s8
	s_cbranch_vccnz .LBB204_7
; %bb.6:
	s_add_u32 s4, s4, s6
	s_addc_u32 s5, s5, s7
	s_load_b32 s5, s[4:5], 0x0
	s_branch .LBB204_8
.LBB204_7:
	s_mov_b32 s5, s34
.LBB204_8:
	s_load_b128 s[16:19], s[0:1], 0x48
	v_and_b32_e32 v140, 15, v0
	v_lshrrev_b32_e32 v141, 5, v0
	v_bfe_u32 v138, v0, 4, 1
	v_and_b32_e32 v142, 31, v0
	v_and_b32_e32 v139, 1, v0
	v_lshlrev_b32_e32 v2, 3, v140
	s_mul_i32 s31, s15, 11
	v_lshl_or_b32 v1, v141, 1, v138
	s_mov_b32 s4, exec_lo
	s_delay_alu instid0(VALU_DEP_2) | instskip(NEXT) | instid1(VALU_DEP_2)
	v_lshlrev_b32_e32 v137, 1, v2
	v_cmpx_gt_u32_e32 11, v1
	s_cbranch_execz .LBB204_10
; %bb.9:
	s_load_b64 s[6:7], s[0:1], 0x0
	v_add_lshl_u32 v2, v1, s31, 7
	s_waitcnt lgkmcnt(0)
	s_mul_hi_i32 s9, s5, s16
	s_mul_i32 s8, s5, s16
	v_lshlrev_b32_e32 v6, 10, v140
	s_lshl_b64 s[8:9], s[8:9], 1
	v_ashrrev_i32_e32 v3, 31, v2
	v_lshlrev_b32_e32 v1, 6, v1
	v_lshlrev_b32_e32 v7, 10, v139
	v_and_b32_e32 v6, 0x3800, v6
	s_delay_alu instid0(VALU_DEP_4) | instskip(NEXT) | instid1(VALU_DEP_2)
	v_lshlrev_b64 v[2:3], 1, v[2:3]
	v_or3_b32 v1, v6, v7, v1
	s_add_u32 s5, s6, s8
	s_addc_u32 s6, s7, s9
	s_delay_alu instid0(VALU_DEP_2) | instskip(NEXT) | instid1(VALU_DEP_3)
	v_add_co_u32 v2, vcc_lo, s5, v2
	v_add_co_ci_u32_e32 v3, vcc_lo, s6, v3, vcc_lo
	s_delay_alu instid0(VALU_DEP_2) | instskip(NEXT) | instid1(VALU_DEP_2)
	v_add_co_u32 v2, vcc_lo, v2, v137
	v_add_co_ci_u32_e32 v3, vcc_lo, 0, v3, vcc_lo
	global_load_b128 v[2:5], v[2:3], off
	s_waitcnt vmcnt(0)
	ds_store_b128 v1, v[2:5]
.LBB204_10:
	s_or_b32 exec_lo, exec_lo, s4
	v_and_b32_e32 v1, 0xef, v0
	s_waitcnt lgkmcnt(0)
	s_add_i32 s5, s28, 15
	s_clause 0x1
	s_load_b32 s4, s[0:1], 0x38
	s_load_b32 s33, s[0:1], 0x98
	s_ashr_i32 s6, s5, 31
	v_add_nc_u32_e32 v1, s29, v1
	s_lshr_b32 s6, s6, 28
	s_load_b32 s30, s[0:1], 0x1c
	s_add_i32 s5, s5, s6
	s_waitcnt lgkmcnt(0)
	v_ashrrev_i32_e32 v2, 31, v1
	v_cmp_gt_i32_e32 vcc_lo, s28, v1
	s_ashr_i32 s16, s5, 4
	s_barrier
	s_add_i32 s16, s16, -1
	v_lshrrev_b32_e32 v3, 28, v2
	v_or_b32_e32 v2, 16, v1
	buffer_gl0_inv
	v_add_nc_u32_e32 v105, -11, v140
	v_lshlrev_b32_e32 v106, 5, v140
	v_add_nc_u32_e32 v4, v1, v3
	v_add_nc_u32_e32 v3, v2, v3
	s_mul_i32 s4, s34, s4
	s_delay_alu instid0(SALU_CYCLE_1) | instskip(NEXT) | instid1(VALU_DEP_2)
	s_ashr_i32 s5, s4, 31
	v_ashrrev_i32_e32 v4, 4, v4
	s_delay_alu instid0(VALU_DEP_2)
	v_ashrrev_i32_e32 v3, 4, v3
	s_lshl_b64 s[4:5], s[4:5], 2
	v_lshl_or_b32 v125, v141, 9, v106
	s_add_u32 s35, s2, s4
	v_cndmask_b32_e32 v1, s16, v4, vcc_lo
	v_cmp_gt_i32_e32 vcc_lo, s28, v2
	s_addc_u32 s36, s3, s5
	s_mul_i32 s2, s15, s18
	s_delay_alu instid0(VALU_DEP_2) | instskip(SKIP_2) | instid1(SALU_CYCLE_1)
	v_ashrrev_i32_e32 v2, 31, v1
	v_cndmask_b32_e32 v3, s16, v3, vcc_lo
	s_ashr_i32 s3, s2, 31
	s_lshl_b64 s[2:3], s[2:3], 1
	s_delay_alu instid0(VALU_DEP_2) | instskip(NEXT) | instid1(VALU_DEP_2)
	v_lshlrev_b64 v[1:2], 2, v[1:2]
	v_ashrrev_i32_e32 v4, 31, v3
	s_add_u32 s24, s20, s2
	s_addc_u32 s25, s21, s3
	s_lshl_b32 s4, s14, 4
	s_delay_alu instid0(VALU_DEP_1) | instskip(SKIP_3) | instid1(VALU_DEP_3)
	v_lshlrev_b64 v[3:4], 2, v[3:4]
	v_add_co_u32 v1, vcc_lo, s35, v1
	v_add_co_ci_u32_e32 v2, vcc_lo, s36, v2, vcc_lo
	s_ashr_i32 s5, s4, 31
	v_add_co_u32 v3, vcc_lo, s35, v3
	s_delay_alu instid0(VALU_DEP_4)
	v_add_co_ci_u32_e32 v4, vcc_lo, s36, v4, vcc_lo
	s_lshl_b64 s[4:5], s[4:5], 2
	s_clause 0x1
	global_load_b32 v5, v[1:2], off
	global_load_b32 v6, v[3:4], off
	s_add_u32 s4, s35, s4
	s_addc_u32 s5, s36, s5
	s_or_b32 s6, s29, 16
	v_lshlrev_b32_e32 v3, 4, v0
	s_ashr_i32 s7, s6, 4
	s_cmp_lt_i32 s6, s28
	s_cselect_b32 s6, s7, s16
	s_delay_alu instid0(SALU_CYCLE_1) | instskip(NEXT) | instid1(SALU_CYCLE_1)
	s_ashr_i32 s7, s6, 31
	s_lshl_b64 s[6:7], s[6:7], 2
	s_delay_alu instid0(SALU_CYCLE_1) | instskip(SKIP_2) | instid1(SALU_CYCLE_1)
	s_add_u32 s6, s35, s6
	s_addc_u32 s7, s36, s7
	s_or_b32 s8, s29, 32
	s_ashr_i32 s9, s8, 4
	s_cmp_lt_i32 s8, s28
	s_cselect_b32 s8, s9, s16
	s_delay_alu instid0(SALU_CYCLE_1) | instskip(NEXT) | instid1(SALU_CYCLE_1)
	s_ashr_i32 s9, s8, 31
	s_lshl_b64 s[8:9], s[8:9], 2
	s_delay_alu instid0(SALU_CYCLE_1) | instskip(SKIP_2) | instid1(SALU_CYCLE_1)
	s_add_u32 s8, s35, s8
	s_addc_u32 s9, s36, s9
	s_or_b32 s10, s29, 48
	s_ashr_i32 s11, s10, 4
	s_cmp_lt_i32 s10, s28
	s_cselect_b32 s10, s11, s16
	s_delay_alu instid0(SALU_CYCLE_1) | instskip(NEXT) | instid1(SALU_CYCLE_1)
	s_ashr_i32 s11, s10, 31
	s_lshl_b64 s[10:11], s[10:11], 2
	s_delay_alu instid0(SALU_CYCLE_1) | instskip(SKIP_2) | instid1(SALU_CYCLE_1)
	s_add_u32 s10, s35, s10
	s_addc_u32 s11, s36, s11
	s_or_b32 s12, s29, 64
	s_ashr_i32 s13, s12, 4
	s_cmp_lt_i32 s12, s28
	s_cselect_b32 s12, s13, s16
	s_delay_alu instid0(SALU_CYCLE_1) | instskip(NEXT) | instid1(SALU_CYCLE_1)
	s_ashr_i32 s13, s12, 31
	s_lshl_b64 s[12:13], s[12:13], 2
	s_delay_alu instid0(SALU_CYCLE_1) | instskip(SKIP_2) | instid1(SALU_CYCLE_1)
	s_add_u32 s18, s35, s12
	s_addc_u32 s19, s36, s13
	s_or_b32 s12, s29, 0x50
	s_ashr_i32 s13, s12, 4
	s_cmp_lt_i32 s12, s28
	s_cselect_b32 s12, s13, s16
	s_delay_alu instid0(SALU_CYCLE_1) | instskip(NEXT) | instid1(SALU_CYCLE_1)
	s_ashr_i32 s13, s12, 31
	s_lshl_b64 s[12:13], s[12:13], 2
	s_delay_alu instid0(SALU_CYCLE_1)
	s_add_u32 s20, s35, s12
	s_addc_u32 s21, s36, s13
	s_clause 0x5
	s_load_b32 s37, s[4:5], 0x0
	s_load_b32 s27, s[6:7], 0x0
	;; [unrolled: 1-line block ×6, first 2 shown]
	s_waitcnt vmcnt(1)
	v_mad_i64_i32 v[1:2], null, v5, s17, 0
	v_and_b32_e32 v5, 0xf0, v3
	s_waitcnt vmcnt(0)
	v_mad_i64_i32 v[3:4], null, v6, s17, 0
	s_delay_alu instid0(VALU_DEP_2) | instskip(NEXT) | instid1(VALU_DEP_4)
	v_add_co_u32 v5, s4, s24, v5
	v_lshlrev_b64 v[1:2], 1, v[1:2]
	v_add_co_ci_u32_e64 v6, null, s25, 0, s4
	s_delay_alu instid0(VALU_DEP_4) | instskip(SKIP_1) | instid1(VALU_DEP_3)
	v_lshlrev_b64 v[3:4], 1, v[3:4]
	s_or_b32 s4, s29, 0x60
	v_add_co_u32 v121, vcc_lo, v5, v1
	s_delay_alu instid0(VALU_DEP_3) | instskip(NEXT) | instid1(VALU_DEP_3)
	v_add_co_ci_u32_e32 v122, vcc_lo, v6, v2, vcc_lo
	v_add_co_u32 v123, vcc_lo, v5, v3
	s_delay_alu instid0(VALU_DEP_4)
	v_add_co_ci_u32_e32 v124, vcc_lo, v6, v4, vcc_lo
	s_clause 0x19
	global_load_b128 v[89:92], v[121:122], off
	global_load_b128 v[93:96], v[121:122], off offset:256
	global_load_b128 v[97:100], v[123:124], off
	global_load_b128 v[101:104], v[123:124], off offset:256
	global_load_b128 v[81:84], v[121:122], off offset:512
	;; [unrolled: 1-line block ×23, first 2 shown]
	s_ashr_i32 s5, s4, 4
	s_cmp_lt_i32 s4, s28
	v_cmp_gt_u32_e32 vcc_lo, 11, v140
	s_cselect_b32 s4, s5, s16
	s_delay_alu instid0(SALU_CYCLE_1) | instskip(NEXT) | instid1(SALU_CYCLE_1)
	s_ashr_i32 s5, s4, 31
	s_lshl_b64 s[4:5], s[4:5], 2
	v_cndmask_b32_e32 v105, v105, v140, vcc_lo
	s_add_u32 s18, s35, s4
	s_addc_u32 s19, s36, s5
	s_or_b32 s4, s29, 0x70
	s_delay_alu instid0(SALU_CYCLE_1)
	s_ashr_i32 s5, s4, 4
	s_cmp_lt_i32 s4, s28
	v_lshlrev_b32_e32 v215, 6, v105
	s_cselect_b32 s6, s5, s16
	ds_load_b128 v[105:108], v215
	ds_load_b128 v[109:112], v215 offset:1024
	s_ashr_i32 s7, s6, 31
	ds_load_b128 v[113:116], v215 offset:2048
	ds_load_b128 v[117:120], v215 offset:3072
	;; [unrolled: 1-line block ×8, first 2 shown]
	s_clause 0x1
	global_load_b128 v[167:170], v[123:124], off offset:3072
	global_load_b128 v[171:174], v[123:124], off offset:3328
	s_lshl_b64 s[6:7], s[6:7], 2
	s_mov_b32 s4, 0
	s_add_u32 s20, s35, s6
	s_addc_u32 s21, s36, s7
	s_clause 0x1
	s_load_b32 s41, s[18:19], 0x0
	s_load_b32 s46, s[20:21], 0x0
	s_clause 0x3
	global_load_b128 v[175:178], v[121:122], off offset:3584
	global_load_b128 v[179:182], v[121:122], off offset:3840
	global_load_b128 v[183:186], v[123:124], off offset:3584
	global_load_b128 v[187:190], v[123:124], off offset:3840
	s_or_b32 s7, s29, 0x80
	s_mov_b32 s5, s4
	s_ashr_i32 s8, s7, 4
	s_cmp_lt_i32 s7, s28
	s_mov_b32 s6, s4
	s_cselect_b32 s10, s8, s16
	s_mov_b32 s7, s4
	s_ashr_i32 s11, s10, 31
	s_mov_b32 s8, s4
	s_lshl_b64 s[24:25], s[10:11], 2
	s_mov_b32 s9, s4
	s_add_u32 s24, s35, s24
	s_addc_u32 s25, s36, s25
	s_or_b32 s11, s29, 0x90
	s_mov_b32 s10, s4
	s_ashr_i32 s38, s11, 4
	s_cmp_lt_i32 s11, s28
	s_mov_b32 s11, s4
	s_cselect_b32 s38, s38, s16
	v_mov_b32_e32 v136, s11
	s_ashr_i32 s39, s38, 31
	v_dual_mov_b32 v135, s10 :: v_dual_mov_b32 v134, s9
	v_dual_mov_b32 v133, s8 :: v_dual_mov_b32 v132, s7
	;; [unrolled: 1-line block ×3, first 2 shown]
	v_mov_b32_e32 v129, s4
	s_lshl_b64 s[4:5], s[38:39], 2
	s_waitcnt lgkmcnt(0)
	s_mul_hi_i32 s7, s27, s17
	s_add_u32 s38, s35, s4
	s_addc_u32 s39, s36, s5
	s_or_b32 s4, s29, 0xa0
	s_load_b32 s40, s[38:39], 0x0
	s_ashr_i32 s5, s4, 4
	s_cmp_lt_i32 s4, s28
	s_cselect_b32 s4, s5, s16
	s_delay_alu instid0(SALU_CYCLE_1) | instskip(NEXT) | instid1(SALU_CYCLE_1)
	s_ashr_i32 s5, s4, 31
	s_lshl_b64 s[4:5], s[4:5], 2
	s_delay_alu instid0(SALU_CYCLE_1)
	s_add_u32 s42, s35, s4
	s_addc_u32 s43, s36, s5
	s_or_b32 s4, s29, 0xb0
	s_load_b32 s39, s[42:43], 0x0
	s_ashr_i32 s6, s4, 4
	s_cmp_lt_i32 s4, s28
	s_mul_hi_i32 s5, s37, s17
	s_cselect_b32 s8, s6, s16
	s_mul_i32 s6, s27, s17
	s_ashr_i32 s9, s8, 31
	s_mul_i32 s4, s37, s17
	s_lshl_b64 s[10:11], s[8:9], 2
	s_mul_hi_i32 s9, s26, s17
	s_add_u32 s44, s35, s10
	s_addc_u32 s45, s36, s11
	s_or_b32 s10, s29, 0xc0
	s_mul_i32 s8, s26, s17
	s_ashr_i32 s26, s10, 4
	s_cmp_lt_i32 s10, s28
	s_mul_hi_i32 s11, s13, s17
	s_cselect_b32 s26, s26, s16
	s_mul_i32 s10, s13, s17
	s_ashr_i32 s27, s26, 31
	s_mul_hi_i32 s13, s12, s17
	s_lshl_b64 s[26:27], s[26:27], 2
	s_mul_i32 s12, s12, s17
	s_add_u32 s20, s35, s26
	s_addc_u32 s21, s36, s27
	s_or_b32 s18, s29, 0xd0
	s_load_b32 s26, s[24:25], 0x0
	s_ashr_i32 s19, s18, 4
	s_cmp_lt_i32 s18, s28
	s_mul_i32 s18, s15, s17
	s_cselect_b32 s24, s19, s16
	s_mul_hi_i32 s19, s15, s17
	s_ashr_i32 s25, s24, 31
	s_delay_alu instid0(SALU_CYCLE_1) | instskip(NEXT) | instid1(SALU_CYCLE_1)
	s_lshl_b64 s[24:25], s[24:25], 2
	s_add_u32 s24, s35, s24
	s_addc_u32 s25, s36, s25
	s_or_b32 s42, s29, 0xe0
	s_clause 0x2
	s_load_b32 s38, s[44:45], 0x0
	s_load_b32 s37, s[20:21], 0x0
	;; [unrolled: 1-line block ×3, first 2 shown]
	s_ashr_i32 s43, s42, 4
	s_cmp_lt_i32 s42, s28
	s_mul_hi_i32 s25, s46, s17
	s_cselect_b32 s42, s43, s16
	s_mul_i32 s24, s46, s17
	s_ashr_i32 s43, s42, 31
	s_mul_hi_i32 s21, s41, s17
	s_lshl_b64 s[42:43], s[42:43], 2
	s_mul_i32 s20, s41, s17
	s_add_u32 s42, s35, s42
	s_addc_u32 s43, s36, s43
	s_or_b32 s46, s29, 0xf0
	s_waitcnt lgkmcnt(0)
	s_mul_hi_i32 s27, s26, s17
	s_ashr_i32 s47, s46, 4
	s_cmp_lt_i32 s46, s28
	s_mul_i32 s26, s26, s17
	s_cselect_b32 s46, s47, s16
	s_mul_hi_i32 s41, s40, s17
	s_ashr_i32 s47, s46, 31
	s_mul_hi_i32 s51, s15, s17
	s_lshl_b64 s[46:47], s[46:47], 2
	s_mul_i32 s50, s15, s17
	s_add_u32 s46, s35, s46
	s_addc_u32 s47, s36, s47
	s_add_u32 s15, s22, s2
	s_addc_u32 s16, s23, s3
	v_add_co_u32 v216, s15, s15, v125
	s_delay_alu instid0(VALU_DEP_1) | instskip(SKIP_2) | instid1(VALU_DEP_2)
	v_add_co_ci_u32_e64 v217, null, s16, 0, s15
	s_lshl_b64 s[2:3], s[4:5], 1
	s_lshl_b64 s[4:5], s[6:7], 1
	v_add_co_u32 v125, vcc_lo, v216, s2
	s_delay_alu instid0(VALU_DEP_2)
	v_add_co_ci_u32_e32 v126, vcc_lo, s3, v217, vcc_lo
	v_add_co_u32 v199, vcc_lo, v216, s4
	s_lshl_b64 s[6:7], s[8:9], 1
	v_add_co_ci_u32_e32 v200, vcc_lo, s5, v217, vcc_lo
	s_lshl_b64 s[8:9], s[10:11], 1
	s_lshl_b64 s[10:11], s[12:13], 1
	;; [unrolled: 1-line block ×6, first 2 shown]
	s_mul_i32 s40, s40, s17
	s_mul_hi_i32 s45, s39, s17
	s_lshl_b64 s[24:25], s[40:41], 1
	s_mul_i32 s44, s39, s17
	s_mul_hi_i32 s39, s38, s17
	s_lshl_b64 s[26:27], s[44:45], 1
	s_mul_i32 s38, s38, s17
	s_mul_hi_i32 s49, s37, s17
	s_mul_i32 s48, s37, s17
	s_lshl_b64 s[36:37], s[38:39], 1
	s_lshl_b64 s[38:39], s[48:49], 1
	s_clause 0x1
	s_load_b32 s15, s[42:43], 0x0
	s_load_b32 s16, s[46:47], 0x0
	s_lshl_b64 s[40:41], s[50:51], 1
	s_waitcnt lgkmcnt(0)
	s_mul_hi_i32 s3, s15, s17
	s_mul_i32 s2, s15, s17
	s_mul_hi_i32 s5, s16, s17
	s_lshl_b64 s[2:3], s[2:3], 1
	s_mul_i32 s4, s16, s17
	s_waitcnt vmcnt(30)
	v_wmma_f32_16x16x16_f16 v[191:198], v[89:96], v[105:112], v[129:136]
	v_add_co_u32 v89, vcc_lo, v216, s6
	v_add_co_ci_u32_e32 v90, vcc_lo, s7, v217, vcc_lo
	v_add_co_u32 v91, vcc_lo, v216, s8
	v_add_co_ci_u32_e32 v92, vcc_lo, s9, v217, vcc_lo
	;; [unrolled: 2-line block ×5, first 2 shown]
	v_add_co_u32 v205, vcc_lo, v216, s20
	s_waitcnt vmcnt(28)
	v_wmma_f32_16x16x16_f16 v[129:136], v[97:104], v[105:112], v[129:136]
	v_add_co_ci_u32_e32 v206, vcc_lo, s21, v217, vcc_lo
	v_add_co_u32 v207, vcc_lo, v216, s22
	v_add_co_ci_u32_e32 v208, vcc_lo, s23, v217, vcc_lo
	v_add_co_u32 v209, vcc_lo, v216, s24
	s_waitcnt vmcnt(26)
	v_wmma_f32_16x16x16_f16 v[191:198], v[81:88], v[113:120], v[191:198]
	s_waitcnt vmcnt(24)
	v_wmma_f32_16x16x16_f16 v[129:136], v[73:80], v[113:120], v[129:136]
	v_add_co_ci_u32_e32 v210, vcc_lo, s25, v217, vcc_lo
	v_add_co_u32 v211, vcc_lo, v216, s26
	v_add_co_ci_u32_e32 v212, vcc_lo, s27, v217, vcc_lo
	v_add_co_u32 v213, vcc_lo, v216, s36
	s_waitcnt vmcnt(22)
	v_wmma_f32_16x16x16_f16 v[191:198], v[65:72], v[143:150], v[191:198]
	s_waitcnt vmcnt(20)
	v_wmma_f32_16x16x16_f16 v[129:136], v[57:64], v[143:150], v[129:136]
	v_add_co_ci_u32_e32 v214, vcc_lo, s37, v217, vcc_lo
	v_add_co_u32 v143, vcc_lo, v216, s38
	s_waitcnt vmcnt(18)
	v_wmma_f32_16x16x16_f16 v[191:198], v[49:56], v[151:158], v[191:198]
	s_waitcnt vmcnt(16)
	v_wmma_f32_16x16x16_f16 v[129:136], v[25:32], v[151:158], v[129:136]
	v_add_co_ci_u32_e32 v144, vcc_lo, s39, v217, vcc_lo
	s_clause 0x15
	global_load_b128 v[121:124], v[125:126], off
	global_load_b128 v[125:128], v[125:126], off offset:16
	global_load_b128 v[113:116], v[199:200], off
	global_load_b128 v[117:120], v[199:200], off offset:16
	;; [unrolled: 2-line block ×11, first 2 shown]
	s_waitcnt vmcnt(36)
	v_wmma_f32_16x16x16_f16 v[191:198], v[1:8], v[159:166], v[191:198]
	s_clause 0x1
	global_load_b128 v[1:4], v[213:214], off
	global_load_b128 v[5:8], v[213:214], off offset:16
	s_waitcnt vmcnt(36)
	v_wmma_f32_16x16x16_f16 v[129:136], v[9:16], v[159:166], v[129:136]
	s_clause 0x1
	global_load_b128 v[9:12], v[143:144], off
	global_load_b128 v[13:16], v[143:144], off offset:16
	ds_load_b128 v[143:146], v215 offset:10240
	ds_load_b128 v[147:150], v215 offset:11264
	ds_load_b128 v[151:154], v215 offset:12288
	ds_load_b128 v[155:158], v215 offset:13312
	v_add_co_u32 v199, vcc_lo, v216, s40
	v_add_co_ci_u32_e32 v200, vcc_lo, s41, v217, vcc_lo
	v_add_co_u32 v159, vcc_lo, v216, s2
	v_add_co_ci_u32_e32 v160, vcc_lo, s3, v217, vcc_lo
	s_lshl_b64 s[2:3], s[4:5], 1
	s_delay_alu instid0(SALU_CYCLE_1)
	v_add_co_u32 v161, vcc_lo, v216, s2
	v_add_co_ci_u32_e32 v162, vcc_lo, s3, v217, vcc_lo
	s_waitcnt vmcnt(36) lgkmcnt(2)
	v_wmma_f32_16x16x16_f16 v[191:198], v[33:40], v[143:150], v[191:198]
	s_waitcnt vmcnt(34)
	v_wmma_f32_16x16x16_f16 v[129:136], v[41:48], v[143:150], v[129:136]
	s_clause 0x3
	global_load_b128 v[33:36], v[199:200], off
	global_load_b128 v[37:40], v[199:200], off offset:16
	global_load_b128 v[41:44], v[159:160], off
	global_load_b128 v[45:48], v[159:160], off offset:16
	v_and_b32_e32 v143, 0xe0, v0
	v_mbcnt_lo_u32_b32 v159, -1, 0
	s_waitcnt vmcnt(36) lgkmcnt(0)
	v_wmma_f32_16x16x16_f16 v[191:198], v[17:24], v[151:158], v[191:198]
	s_clause 0x1
	global_load_b128 v[17:20], v[161:162], off
	global_load_b128 v[21:24], v[161:162], off offset:16
	s_waitcnt vmcnt(36)
	v_wmma_f32_16x16x16_f16 v[129:136], v[167:174], v[151:158], v[129:136]
	v_add_nc_u32_e32 v160, s29, v143
	ds_load_b128 v[143:146], v215 offset:14336
	ds_load_b128 v[147:150], v215 offset:15360
	v_xor_b32_e32 v151, 16, v159
	s_waitcnt vmcnt(0) lgkmcnt(0)
	s_barrier
	v_or_b32_e32 v152, v160, v138
	buffer_gl0_inv
	v_cmp_gt_i32_e32 vcc_lo, 32, v151
	v_or_b32_e32 v153, 2, v152
	v_or_b32_e32 v154, 4, v152
	;; [unrolled: 1-line block ×5, first 2 shown]
	v_cmp_gt_i32_e64 s2, s28, v153
	v_cmp_gt_i32_e64 s3, s28, v154
	;; [unrolled: 1-line block ×3, first 2 shown]
	v_or_b32_e32 v158, 12, v152
	v_cmp_gt_i32_e64 s5, s28, v156
	v_cmp_gt_i32_e64 s6, s28, v157
	v_wmma_f32_16x16x16_f16 v[191:198], v[175:182], v[143:150], v[191:198]
	v_wmma_f32_16x16x16_f16 v[129:136], v[183:190], v[143:150], v[129:136]
	v_cndmask_b32_e32 v151, v159, v151, vcc_lo
	v_cmp_gt_i32_e32 vcc_lo, s28, v152
	v_or_b32_e32 v159, 14, v152
	v_dual_mul_f32 v149, s30, v192 :: v_dual_mul_f32 v150, s30, v191
	v_dual_mul_f32 v147, s30, v194 :: v_dual_mul_f32 v148, s30, v193
	v_mul_f32_e32 v145, s30, v196
	s_delay_alu instid0(VALU_DEP_3) | instskip(NEXT) | instid1(VALU_DEP_4)
	v_cndmask_b32_e64 v149, 0xff7fffff, v149, s2
	v_cndmask_b32_e32 v150, 0xff7fffff, v150, vcc_lo
	v_mul_f32_e32 v146, s30, v195
	v_cndmask_b32_e64 v148, 0xff7fffff, v148, s3
	v_cndmask_b32_e64 v147, 0xff7fffff, v147, s4
	v_or_b32_e32 v160, 16, v152
	v_max3_f32 v149, v150, 0xff7fffff, v149
	v_or_b32_e32 v161, 18, v152
	v_dual_mul_f32 v143, s30, v198 :: v_dual_mul_f32 v144, s30, v197
	v_cndmask_b32_e64 v146, 0xff7fffff, v146, s5
	v_cndmask_b32_e64 v145, 0xff7fffff, v145, s6
	v_max3_f32 v147, v149, v148, v147
	v_cmp_gt_i32_e64 s7, s28, v158
	v_cmp_gt_i32_e64 s8, s28, v159
	v_or_b32_e32 v162, 20, v152
	v_or_b32_e32 v163, 22, v152
	v_dual_mul_f32 v174, s30, v130 :: v_dual_mul_f32 v175, s30, v129
	v_cndmask_b32_e64 v144, 0xff7fffff, v144, s7
	v_cndmask_b32_e64 v143, 0xff7fffff, v143, s8
	v_max3_f32 v145, v147, v146, v145
	v_cmp_gt_i32_e64 s9, s28, v160
	v_cmp_gt_i32_e64 s10, s28, v161
	v_or_b32_e32 v164, 24, v152
	;; [unrolled: 8-line block ×3, first 2 shown]
	v_or_b32_e32 v167, 30, v152
	v_dual_mul_f32 v170, s30, v134 :: v_dual_mul_f32 v171, s30, v133
	v_cndmask_b32_e64 v144, 0xff7fffff, v173, s11
	v_cndmask_b32_e64 v145, 0xff7fffff, v172, s12
	v_max3_f32 v143, v143, v146, v147
	v_cmp_gt_i32_e64 s13, s28, v164
	v_cmp_gt_i32_e64 s15, s28, v165
	v_dual_mul_f32 v168, s30, v136 :: v_dual_mul_f32 v169, s30, v135
	s_delay_alu instid0(VALU_DEP_4) | instskip(NEXT) | instid1(VALU_DEP_4)
	v_max3_f32 v143, v143, v144, v145
	v_cndmask_b32_e64 v146, 0xff7fffff, v171, s13
	s_delay_alu instid0(VALU_DEP_4) | instskip(SKIP_3) | instid1(VALU_DEP_4)
	v_cndmask_b32_e64 v147, 0xff7fffff, v170, s15
	v_cmp_gt_i32_e64 s16, s28, v166
	v_cmp_gt_i32_e64 s17, s28, v167
	v_lshlrev_b32_e32 v160, 2, v151
	v_max3_f32 v143, v143, v146, v147
	s_delay_alu instid0(VALU_DEP_4) | instskip(NEXT) | instid1(VALU_DEP_4)
	v_cndmask_b32_e64 v144, 0xff7fffff, v169, s16
	v_cndmask_b32_e64 v145, 0xff7fffff, v168, s17
	s_delay_alu instid0(VALU_DEP_1) | instskip(SKIP_3) | instid1(VALU_DEP_1)
	v_max3_f32 v143, v143, v144, v145
	ds_bpermute_b32 v144, v160, v143
	s_waitcnt lgkmcnt(0)
	v_max_f32_e32 v144, v144, v144
	v_max_f32_e32 v159, v143, v144
	s_delay_alu instid0(VALU_DEP_1) | instskip(SKIP_4) | instid1(VALU_DEP_4)
	v_fma_f32 v143, s30, v191, -v159
	v_fma_f32 v144, s30, v192, -v159
	;; [unrolled: 1-line block ×5, first 2 shown]
	v_dual_mul_f32 v143, 0x3fb8aa3b, v143 :: v_dual_mul_f32 v144, 0x3fb8aa3b, v144
	s_delay_alu instid0(VALU_DEP_4) | instskip(SKIP_2) | instid1(VALU_DEP_4)
	v_mul_f32_e32 v132, 0x3fb8aa3b, v132
	v_fma_f32 v134, s30, v134, -v159
	v_mul_f32_e32 v145, 0x3fb8aa3b, v145
	v_exp_f32_e32 v143, v143
	v_exp_f32_e32 v147, v144
	v_fma_f32 v148, s30, v195, -v159
	v_mul_f32_e32 v134, 0x3fb8aa3b, v134
	v_mul_f32_e32 v146, 0x3fb8aa3b, v146
	v_exp_f32_e32 v145, v145
	v_fma_f32 v149, s30, v196, -v159
	v_mul_f32_e32 v148, 0x3fb8aa3b, v148
	v_fma_f32 v151, s30, v197, -v159
	v_exp_f32_e32 v150, v146
	v_cndmask_b32_e32 v144, 0, v143, vcc_lo
	v_cndmask_b32_e64 v143, 0, v147, s2
	v_mul_f32_e32 v149, 0x3fb8aa3b, v149
	v_exp_f32_e32 v148, v148
	v_fma_f32 v152, s30, v198, -v159
	v_add_f32_e32 v147, 0, v144
	v_cndmask_b32_e64 v146, 0, v145, s3
	v_mul_f32_e32 v151, 0x3fb8aa3b, v151
	v_exp_f32_e32 v149, v149
	v_cndmask_b32_e64 v145, 0, v150, s4
	v_add_f32_e32 v147, v147, v143
	v_fma_f32 v129, s30, v129, -v159
	v_mul_f32_e32 v150, 0x3fb8aa3b, v152
	v_exp_f32_e32 v151, v151
	v_cndmask_b32_e64 v148, 0, v148, s5
	v_add_f32_e32 v147, v147, v146
	v_fma_f32 v130, s30, v130, -v159
	v_mul_f32_e32 v129, 0x3fb8aa3b, v129
	v_exp_f32_e32 v153, v150
	v_fma_f32 v131, s30, v131, -v159
	v_add_f32_e32 v152, v147, v145
	v_cndmask_b32_e64 v147, 0, v149, s6
	v_mul_f32_e32 v130, 0x3fb8aa3b, v130
	v_exp_f32_e32 v129, v129
	v_cndmask_b32_e64 v150, 0, v151, s7
	v_add_f32_e32 v149, v152, v148
	v_mul_f32_e32 v131, 0x3fb8aa3b, v131
	v_exp_f32_e32 v130, v130
	v_fma_f32 v133, s30, v133, -v159
	v_exp_f32_e32 v132, v132
	v_add_f32_e32 v151, v149, v147
	v_cndmask_b32_e64 v149, 0, v153, s8
	v_exp_f32_e32 v131, v131
	v_cndmask_b32_e64 v152, 0, v129, s9
	v_mul_f32_e32 v133, 0x3fb8aa3b, v133
	v_add_f32_e32 v151, v151, v150
	v_cmp_gt_u32_e64 s2, 16, v142
	s_delay_alu instid0(VALU_DEP_3) | instskip(NEXT) | instid1(VALU_DEP_2)
	v_exp_f32_e32 v133, v133
	v_add_f32_e32 v129, v151, v149
	v_cndmask_b32_e64 v151, 0, v130, s10
	v_fma_f32 v130, s30, v135, -v159
	s_delay_alu instid0(TRANS32_DEP_2)
	v_cndmask_b32_e64 v154, 0, v131, s11
	v_exp_f32_e32 v131, v134
	v_add_f32_e32 v129, v129, v152
	v_cndmask_b32_e64 v153, 0, v132, s12
	v_mul_f32_e32 v130, 0x3fb8aa3b, v130
	v_fma_f32 v132, s30, v136, -v159
	v_cndmask_b32_e64 v156, 0, v133, s13
	v_add_f32_e32 v129, v129, v151
	s_delay_alu instid0(VALU_DEP_4) | instskip(NEXT) | instid1(VALU_DEP_3)
	v_exp_f32_e32 v130, v130
	v_mul_f32_e32 v132, 0x3fb8aa3b, v132
	s_delay_alu instid0(TRANS32_DEP_2) | instskip(NEXT) | instid1(VALU_DEP_3)
	v_cndmask_b32_e64 v155, 0, v131, s15
	v_add_f32_e32 v129, v129, v154
	s_delay_alu instid0(VALU_DEP_3) | instskip(NEXT) | instid1(VALU_DEP_1)
	v_exp_f32_e32 v131, v132
	v_add_f32_e32 v129, v129, v153
	s_waitcnt_depctr 0xfff
	v_cndmask_b32_e64 v158, 0, v130, s16
	v_add_f32_e32 v129, v129, v156
	v_cndmask_b32_e64 v157, 0, v131, s17
	s_delay_alu instid0(VALU_DEP_2) | instskip(NEXT) | instid1(VALU_DEP_1)
	v_add_f32_e32 v129, v129, v155
	v_add_f32_e32 v129, v129, v158
	s_delay_alu instid0(VALU_DEP_1)
	v_add_f32_e32 v129, v129, v157
	ds_bpermute_b32 v130, v160, v129
	s_and_saveexec_b32 s3, s2
	s_cbranch_execz .LBB204_12
; %bb.11:
	v_mul_u32_u24_e32 v131, 0x44, v141
	s_delay_alu instid0(VALU_DEP_1) | instskip(SKIP_1) | instid1(VALU_DEP_1)
	v_lshl_add_u32 v131, v140, 2, v131
	s_waitcnt lgkmcnt(0)
	v_dual_add_f32 v129, v129, v130 :: v_dual_add_nc_u32 v130, 0x4000, v131
	ds_store_2addr_b32 v130, v159, v129 offset1:136
.LBB204_12:
	s_or_b32 exec_lo, exec_lo, s3
	v_lshlrev_b32_e32 v129, 2, v140
	s_load_b32 s35, s[0:1], 0x94
	s_waitcnt lgkmcnt(0)
	s_barrier
	buffer_gl0_inv
	v_add_nc_u32_e32 v135, 0x4000, v129
	v_cmp_eq_u32_e32 vcc_lo, 1, v141
	v_cmp_eq_u32_e64 s3, 2, v141
	v_cmp_eq_u32_e64 s4, 3, v141
	v_cmp_eq_u32_e64 s5, 4, v141
	ds_load_2addr_b32 v[129:130], v135 offset1:17
	ds_load_2addr_b32 v[131:132], v135 offset0:34 offset1:51
	ds_load_2addr_b32 v[133:134], v135 offset0:68 offset1:85
	;; [unrolled: 1-line block ×3, first 2 shown]
	v_cmp_eq_u32_e64 s6, 5, v141
	v_cmp_eq_u32_e64 s7, 7, v141
	s_waitcnt lgkmcnt(3)
	v_max3_f32 v136, v129, 0xff7fffff, v130
	s_waitcnt lgkmcnt(2)
	s_delay_alu instid0(VALU_DEP_1) | instskip(SKIP_1) | instid1(VALU_DEP_1)
	v_max3_f32 v136, v136, v131, v132
	s_waitcnt lgkmcnt(1)
	v_max3_f32 v136, v136, v133, v134
	s_waitcnt lgkmcnt(0)
	s_delay_alu instid0(VALU_DEP_1) | instskip(NEXT) | instid1(VALU_DEP_1)
	v_max3_f32 v136, v136, v159, v160
	v_sub_f32_e32 v142, v130, v136
	ds_load_2addr_b32 v[161:162], v135 offset0:136 offset1:153
	v_sub_f32_e32 v164, v132, v136
	v_mul_f32_e32 v142, 0x3fb8aa3b, v142
	s_delay_alu instid0(VALU_DEP_2) | instskip(NEXT) | instid1(VALU_DEP_2)
	v_mul_f32_e32 v164, 0x3fb8aa3b, v164
	v_exp_f32_e32 v166, v142
	v_sub_f32_e32 v129, v129, v136
	s_delay_alu instid0(VALU_DEP_2) | instskip(NEXT) | instid1(VALU_DEP_1)
	v_exp_f32_e32 v164, v164
	v_mul_f32_e32 v163, 0x3fb8aa3b, v129
	ds_load_2addr_b32 v[129:130], v135 offset0:170 offset1:187
	v_exp_f32_e32 v163, v163
	s_waitcnt lgkmcnt(1)
	s_waitcnt_depctr 0xfff
	v_fma_f32 v142, v163, v161, 0
	v_sub_f32_e32 v161, v134, v136
	s_delay_alu instid0(VALU_DEP_2) | instskip(NEXT) | instid1(VALU_DEP_1)
	v_dual_fmac_f32 v142, v166, v162 :: v_dual_sub_f32 v131, v131, v136
	v_mul_f32_e32 v165, 0x3fb8aa3b, v131
	ds_load_2addr_b32 v[131:132], v135 offset0:204 offset1:221
	v_exp_f32_e32 v165, v165
	s_waitcnt lgkmcnt(1)
	s_waitcnt_depctr 0xfff
	v_fmac_f32_e32 v142, v165, v129
	v_sub_f32_e32 v133, v133, v136
	v_sub_f32_e32 v129, v160, v136
	s_delay_alu instid0(VALU_DEP_2) | instskip(NEXT) | instid1(VALU_DEP_2)
	v_dual_fmac_f32 v142, v164, v130 :: v_dual_mul_f32 v167, 0x3fb8aa3b, v133
	v_mul_f32_e32 v129, 0x3fb8aa3b, v129
	ds_load_2addr_b32 v[133:134], v135 offset0:238 offset1:255
	v_cndmask_b32_e32 v130, v163, v166, vcc_lo
	s_waitcnt lgkmcnt(0)
	s_barrier
	v_exp_f32_e32 v162, v129
	v_sub_f32_e32 v135, v159, v136
	v_mul_f32_e32 v159, 0x3fb8aa3b, v161
	v_exp_f32_e32 v161, v167
	buffer_gl0_inv
	v_exp_f32_e32 v159, v159
	v_fmac_f32_e32 v142, v161, v131
	s_waitcnt_depctr 0xfff
	v_dual_mul_f32 v135, 0x3fb8aa3b, v135 :: v_dual_fmac_f32 v142, v159, v132
	s_delay_alu instid0(VALU_DEP_1) | instskip(SKIP_2) | instid1(VALU_DEP_1)
	v_exp_f32_e32 v160, v135
	s_waitcnt_depctr 0xfff
	v_dual_fmac_f32 v142, v160, v133 :: v_dual_lshlrev_b32 v133, 6, v140
	v_fmac_f32_e32 v142, v162, v134
	s_delay_alu instid0(VALU_DEP_2) | instskip(NEXT) | instid1(VALU_DEP_2)
	v_lshl_or_b32 v135, v141, 11, v133
	v_add_f32_e32 v134, 0x358637bd, v142
	s_delay_alu instid0(VALU_DEP_1) | instskip(SKIP_1) | instid1(VALU_DEP_2)
	v_div_scale_f32 v167, null, v134, v134, 1.0
	v_div_scale_f32 v163, vcc_lo, 1.0, v134, 1.0
	v_rcp_f32_e32 v168, v167
	s_waitcnt_depctr 0xfff
	v_fma_f32 v129, -v167, v168, 1.0
	s_delay_alu instid0(VALU_DEP_1) | instskip(SKIP_2) | instid1(VALU_DEP_2)
	v_fmac_f32_e32 v168, v129, v168
	v_cndmask_b32_e64 v129, v130, v165, s3
	v_cmp_eq_u32_e64 s3, 6, v141
	v_cndmask_b32_e64 v130, v129, v164, s4
	v_lshlrev_b32_e32 v129, 2, v138
	v_mul_f32_e32 v165, v163, v168
	s_delay_alu instid0(VALU_DEP_3) | instskip(NEXT) | instid1(VALU_DEP_3)
	v_cndmask_b32_e64 v161, v130, v161, s5
	v_or_b32_e32 v130, 1, v129
	s_delay_alu instid0(VALU_DEP_3)
	v_fma_f32 v131, -v167, v165, v163
	v_or_b32_e32 v132, 2, v129
	v_cmp_eq_u32_e64 s4, 1, v129
	v_cndmask_b32_e64 v141, v161, v159, s6
	v_cmp_eq_u32_e64 s9, 1, v130
	v_fmac_f32_e32 v165, v131, v168
	v_or_b32_e32 v131, 3, v129
	v_cmp_eq_u32_e64 s10, 1, v132
	v_cndmask_b32_e64 v141, v141, v160, s3
	v_cmp_eq_u32_e64 s5, 2, v129
	v_fma_f32 v159, -v167, v165, v163
	v_cmp_eq_u32_e64 s11, 1, v131
	v_cmp_eq_u32_e64 s16, 2, v131
	v_cndmask_b32_e64 v141, v141, v162, s7
	v_cmp_eq_u32_e64 s12, 2, v130
	v_div_fmas_f32 v159, v159, v168, v165
	v_cmp_eq_u32_e64 s18, 3, v131
	v_cmp_eq_u32_e32 vcc_lo, 3, v129
	v_cmp_eq_u32_e64 s13, 3, v130
	v_cmp_eq_u32_e64 s15, 2, v132
	v_div_fixup_f32 v159, v159, v134, 1.0
	v_lshl_or_b32 v134, v138, 4, v135
	v_cmp_eq_u32_e64 s22, 4, v131
	v_cmp_eq_u32_e64 s3, 4, v129
	;; [unrolled: 1-line block ×3, first 2 shown]
	v_mul_f32_e32 v141, v141, v159
	v_cmp_eq_u32_e64 s19, 4, v130
	v_cmp_eq_u32_e64 s24, 5, v131
	;; [unrolled: 1-line block ×4, first 2 shown]
	v_fma_mixlo_f16 v159, v141, v144, 0
	v_fma_mixlo_f16 v160, v141, v146, 0
	;; [unrolled: 1-line block ×8, first 2 shown]
	v_fma_mixhi_f16 v159, v141, v143, 0
	v_fma_mixhi_f16 v160, v141, v145, 0
	;; [unrolled: 1-line block ×8, first 2 shown]
	ds_store_b128 v134, v[159:162]
	ds_store_b128 v134, v[163:166] offset:1024
	s_waitcnt lgkmcnt(0)
	s_barrier
	buffer_gl0_inv
	ds_load_b128 v[143:146], v135
	ds_load_b128 v[147:150], v135 offset:16
	ds_load_b128 v[151:154], v135 offset:1024
	;; [unrolled: 1-line block ×3, first 2 shown]
	v_cmp_eq_u32_e64 s21, 4, v132
	v_cmp_eq_u32_e64 s27, 6, v131
	;; [unrolled: 1-line block ×10, first 2 shown]
	s_waitcnt lgkmcnt(3)
	v_lshrrev_b32_e32 v141, 16, v143
	s_waitcnt lgkmcnt(2)
	v_lshrrev_b32_e32 v162, 16, v147
	v_lshrrev_b32_e32 v159, 16, v144
	;; [unrolled: 1-line block ×3, first 2 shown]
	s_waitcnt lgkmcnt(1)
	v_lshrrev_b32_e32 v166, 16, v151
	v_cndmask_b32_e64 v174, v143, v141, s4
	v_cndmask_b32_e64 v176, v143, v141, s9
	;; [unrolled: 1-line block ×5, first 2 shown]
	s_waitcnt lgkmcnt(0)
	v_lshrrev_b32_e32 v170, 16, v155
	v_cndmask_b32_e64 v175, v147, v162, s4
	v_cndmask_b32_e64 v177, v147, v162, s9
	;; [unrolled: 1-line block ×19, first 2 shown]
	v_lshrrev_b32_e32 v160, 16, v145
	v_lshrrev_b32_e32 v164, 16, v149
	;; [unrolled: 1-line block ×4, first 2 shown]
	v_cndmask_b32_e64 v176, v178, v144, s15
	v_cndmask_b32_e64 v177, v179, v148, s15
	v_cndmask_b32_e64 v144, v147, v152, s5
	v_cndmask_b32_e64 v147, v162, v156, s5
	v_cndmask_b32_e64 v148, v180, v152, s12
	v_cndmask_b32_e64 v162, v182, v152, s15
	v_cndmask_b32_e64 v151, v151, v152, s16
	v_cndmask_b32_e64 v152, v155, v156, s16
	v_cndmask_b32_e32 v155, v166, v159, vcc_lo
	v_cndmask_b32_e32 v166, v170, v163, vcc_lo
	v_cndmask_b32_e64 v170, v174, v159, s13
	v_cndmask_b32_e64 v174, v175, v163, s13
	;; [unrolled: 1-line block ×6, first 2 shown]
	v_cndmask_b32_e32 v144, v144, v167, vcc_lo
	v_cndmask_b32_e32 v147, v147, v171, vcc_lo
	v_cndmask_b32_e64 v148, v148, v167, s13
	v_cndmask_b32_e64 v155, v155, v145, s3
	;; [unrolled: 1-line block ×7, first 2 shown]
	v_lshrrev_b32_e32 v161, 16, v146
	v_lshrrev_b32_e32 v165, 16, v150
	;; [unrolled: 1-line block ×4, first 2 shown]
	v_cndmask_b32_e64 v170, v175, v145, s21
	v_cndmask_b32_e64 v174, v176, v149, s21
	;; [unrolled: 1-line block ×22, first 2 shown]
	v_lshrrev_b32_e32 v169, 16, v154
	v_cndmask_b32_e64 v160, v163, v146, s26
	v_cndmask_b32_e64 v163, v166, v150, s26
	;; [unrolled: 1-line block ×9, first 2 shown]
	v_perm_b32 v146, v143, v141, 0x5040100
	v_cndmask_b32_e64 v141, v183, v156, s15
	v_cndmask_b32_e64 v143, v181, v156, s12
	;; [unrolled: 1-line block ×4, first 2 shown]
	v_perm_b32 v144, v159, v149, 0x5040100
	v_cndmask_b32_e64 v149, v162, v167, s17
	v_cndmask_b32_e64 v151, v151, v167, s18
	;; [unrolled: 1-line block ×15, first 2 shown]
	v_lshrrev_b32_e32 v173, 16, v158
	v_cndmask_b32_e64 v149, v149, v154, s26
	v_cndmask_b32_e64 v151, v151, v154, s27
	;; [unrolled: 1-line block ×13, first 2 shown]
	v_perm_b32 v145, v160, v155, 0x5040100
	v_perm_b32 v143, v148, v147, 0x5040100
	;; [unrolled: 1-line block ×6, first 2 shown]
	s_mul_i32 s7, s33, 11
	s_mov_b32 s3, exec_lo
	ds_store_b128 v134, v[143:146]
	ds_store_b128 v134, v[147:150] offset:1024
	v_cmpx_gt_u32_e32 11, v0
	s_cbranch_execz .LBB204_14
; %bb.13:
	s_mul_i32 s4, s7, s34
	s_load_b128 s[8:11], s[0:1], 0x58
	v_add3_u32 v143, s4, s31, v140
	s_delay_alu instid0(VALU_DEP_1) | instskip(NEXT) | instid1(VALU_DEP_1)
	v_mad_u64_u32 v[140:141], null, v143, s35, s[14:15]
	v_ashrrev_i32_e32 v141, 31, v140
	s_delay_alu instid0(VALU_DEP_1) | instskip(SKIP_1) | instid1(VALU_DEP_1)
	v_lshlrev_b64 v[140:141], 2, v[140:141]
	s_waitcnt lgkmcnt(0)
	v_add_co_u32 v143, vcc_lo, s10, v140
	s_delay_alu instid0(VALU_DEP_2)
	v_add_co_ci_u32_e32 v144, vcc_lo, s11, v141, vcc_lo
	v_add_co_u32 v140, vcc_lo, s8, v140
	v_add_co_ci_u32_e32 v141, vcc_lo, s9, v141, vcc_lo
	global_store_b32 v[143:144], v136, off
	global_store_b32 v[140:141], v142, off
.LBB204_14:
	s_or_b32 exec_lo, exec_lo, s3
	s_waitcnt lgkmcnt(0)
	s_waitcnt_vscnt null, 0x0
	s_barrier
	buffer_gl0_inv
	ds_load_b128 v[148:151], v133
	ds_load_b128 v[152:155], v133 offset:16
	ds_load_b128 v[160:163], v133 offset:1040
	;; [unrolled: 1-line block ×5, first 2 shown]
	v_cmp_eq_u32_e32 vcc_lo, 1, v132
	v_mov_b32_e32 v140, 0
	ds_load_b128 v[176:179], v133 offset:3088
	ds_load_b128 v[172:175], v133 offset:3072
	;; [unrolled: 1-line block ×4, first 2 shown]
	v_cmp_eq_u32_e64 s3, 1, v129
	v_cmp_eq_u32_e64 s4, 1, v131
	;; [unrolled: 1-line block ×3, first 2 shown]
	v_mov_b32_e32 v141, v140
	v_mov_b32_e32 v142, v140
	;; [unrolled: 1-line block ×7, first 2 shown]
	v_cmp_eq_u32_e64 s6, 2, v129
	s_waitcnt lgkmcnt(8)
	s_delay_alu instid0(VALU_DEP_2)
	v_wmma_f32_16x16x16_f16 v[140:147], v[121:128], v[148:155], v[140:147]
	ds_load_b128 v[125:128], v133 offset:5136
	ds_load_b128 v[121:124], v133 offset:5120
	s_waitcnt lgkmcnt(8)
	v_wmma_f32_16x16x16_f16 v[140:147], v[113:120], v[156:163], v[140:147]
	ds_load_b128 v[117:120], v133 offset:6160
	ds_load_b128 v[113:116], v133 offset:6144
	s_waitcnt lgkmcnt(8)
	;; [unrolled: 4-line block ×11, first 2 shown]
	s_barrier
	buffer_gl0_inv
	v_wmma_f32_16x16x16_f16 v[140:147], v[1:8], v[73:80], v[140:147]
	s_delay_alu instid0(VALU_DEP_1) | instskip(NEXT) | instid1(VALU_DEP_1)
	v_wmma_f32_16x16x16_f16 v[140:147], v[9:16], v[65:72], v[140:147]
	v_wmma_f32_16x16x16_f16 v[140:147], v[33:40], v[57:64], v[140:147]
	s_delay_alu instid0(VALU_DEP_1) | instskip(NEXT) | instid1(VALU_DEP_1)
	v_wmma_f32_16x16x16_f16 v[140:147], v[41:48], v[49:56], v[140:147]
	v_wmma_f32_16x16x16_f16 v[140:147], v[17:24], v[25:32], v[140:147]
	s_delay_alu instid0(VALU_DEP_1) | instskip(NEXT) | instid1(VALU_DEP_2)
	v_cvt_f16_f32_e64 v1, v140
	v_cvt_f16_f32_e64 v2, v141
	s_delay_alu instid0(VALU_DEP_3) | instskip(NEXT) | instid1(VALU_DEP_4)
	v_cvt_f16_f32_e64 v3, v142
	v_cvt_f16_f32_e64 v4, v143
	;; [unrolled: 1-line block ×6, first 2 shown]
	v_pack_b32_f16 v1, v1, v2
	v_pack_b32_f16 v2, v3, v4
	;; [unrolled: 1-line block ×3, first 2 shown]
	s_delay_alu instid0(VALU_DEP_4)
	v_pack_b32_f16 v4, v7, v8
	ds_store_b128 v134, v[1:4]
	s_waitcnt lgkmcnt(0)
	s_barrier
	buffer_gl0_inv
	ds_load_b128 v[1:4], v135
	ds_load_b128 v[5:8], v135 offset:16
	s_waitcnt lgkmcnt(1)
	v_lshrrev_b32_e32 v9, 16, v1
	s_waitcnt lgkmcnt(0)
	v_lshrrev_b32_e32 v13, 16, v5
	v_lshrrev_b32_e32 v10, 16, v2
	;; [unrolled: 1-line block ×4, first 2 shown]
	v_cndmask_b32_e64 v17, v1, v9, s3
	v_cndmask_b32_e64 v18, v5, v13, s3
	;; [unrolled: 1-line block ×3, first 2 shown]
	v_cmp_eq_u32_e64 s3, 2, v130
	v_cndmask_b32_e64 v20, v5, v13, s5
	v_cndmask_b32_e32 v21, v1, v9, vcc_lo
	v_cndmask_b32_e32 v22, v5, v13, vcc_lo
	v_cndmask_b32_e64 v1, v1, v9, s4
	v_cndmask_b32_e64 v5, v5, v13, s4
	v_cmp_eq_u32_e32 vcc_lo, 2, v132
	v_cmp_eq_u32_e64 s4, 2, v131
	v_cndmask_b32_e64 v9, v17, v2, s6
	v_cndmask_b32_e64 v13, v18, v6, s6
	;; [unrolled: 1-line block ×4, first 2 shown]
	v_cndmask_b32_e32 v19, v21, v2, vcc_lo
	v_cmp_eq_u32_e64 s3, 3, v132
	v_cndmask_b32_e32 v20, v22, v6, vcc_lo
	v_cndmask_b32_e64 v1, v1, v2, s4
	v_cmp_eq_u32_e32 vcc_lo, 3, v131
	v_cmp_eq_u32_e64 s5, 3, v129
	v_cndmask_b32_e64 v2, v5, v6, s4
	v_cmp_eq_u32_e64 s4, 3, v130
	v_cmp_eq_u32_e64 s6, 4, v129
	v_cndmask_b32_e32 v1, v1, v10, vcc_lo
	v_cndmask_b32_e64 v5, v9, v10, s5
	v_cndmask_b32_e64 v6, v13, v14, s5
	v_cndmask_b32_e64 v9, v17, v10, s4
	v_cmp_eq_u32_e64 s5, 4, v130
	v_cndmask_b32_e64 v13, v18, v14, s4
	v_cndmask_b32_e64 v17, v19, v10, s3
	v_cndmask_b32_e64 v18, v20, v14, s3
	v_cndmask_b32_e32 v2, v2, v14, vcc_lo
	v_cmp_eq_u32_e32 vcc_lo, 4, v132
	v_cmp_eq_u32_e64 s4, 4, v131
	v_lshrrev_b32_e32 v15, 16, v7
	v_cndmask_b32_e64 v5, v5, v3, s6
	v_cndmask_b32_e64 v6, v6, v7, s6
	v_cndmask_b32_e32 v14, v18, v7, vcc_lo
	v_cndmask_b32_e64 v9, v9, v3, s5
	v_cndmask_b32_e64 v10, v13, v7, s5
	v_cndmask_b32_e32 v13, v17, v3, vcc_lo
	v_cmp_eq_u32_e64 s3, 5, v132
	v_cndmask_b32_e64 v1, v1, v3, s4
	v_cmp_eq_u32_e32 vcc_lo, 5, v131
	v_cmp_eq_u32_e64 s5, 5, v129
	v_cndmask_b32_e64 v2, v2, v7, s4
	v_cmp_eq_u32_e64 s4, 5, v130
	v_cmp_eq_u32_e64 s6, 6, v129
	v_lshrrev_b32_e32 v12, 16, v4
	v_cndmask_b32_e64 v3, v5, v11, s5
	v_cndmask_b32_e64 v5, v6, v15, s5
	;; [unrolled: 1-line block ×3, first 2 shown]
	v_cmp_eq_u32_e64 s5, 6, v130
	v_cndmask_b32_e64 v7, v10, v15, s4
	v_cndmask_b32_e64 v9, v13, v11, s3
	;; [unrolled: 1-line block ×3, first 2 shown]
	v_cndmask_b32_e32 v1, v1, v11, vcc_lo
	v_cndmask_b32_e32 v2, v2, v15, vcc_lo
	v_cmp_eq_u32_e32 vcc_lo, 6, v132
	v_cmp_eq_u32_e64 s3, 6, v131
	v_lshrrev_b32_e32 v16, 16, v8
	v_cndmask_b32_e64 v3, v3, v4, s6
	v_cndmask_b32_e64 v5, v5, v8, s6
	v_cndmask_b32_e32 v9, v9, v4, vcc_lo
	v_cndmask_b32_e64 v6, v6, v4, s5
	v_cndmask_b32_e64 v7, v7, v8, s5
	v_cmp_eq_u32_e64 s4, 7, v132
	v_cndmask_b32_e32 v10, v10, v8, vcc_lo
	v_cndmask_b32_e64 v1, v1, v4, s3
	v_cmp_eq_u32_e32 vcc_lo, 7, v131
	v_cndmask_b32_e64 v2, v2, v8, s3
	v_cmp_eq_u32_e64 s3, 7, v129
	v_cmp_eq_u32_e64 s5, 7, v130
	v_cndmask_b32_e32 v1, v1, v12, vcc_lo
	s_delay_alu instid0(VALU_DEP_4) | instskip(NEXT) | instid1(VALU_DEP_4)
	v_cndmask_b32_e32 v2, v2, v16, vcc_lo
	v_cndmask_b32_e64 v8, v3, v12, s3
	s_delay_alu instid0(VALU_DEP_4)
	v_cndmask_b32_e64 v6, v6, v12, s5
	v_cndmask_b32_e64 v3, v9, v12, s4
	;; [unrolled: 1-line block ×5, first 2 shown]
	v_perm_b32 v4, v2, v1, 0x5040100
	s_mov_b32 s3, exec_lo
	v_perm_b32 v3, v9, v3, 0x5040100
	v_perm_b32 v2, v7, v6, 0x5040100
	;; [unrolled: 1-line block ×3, first 2 shown]
	ds_store_b128 v134, v[1:4]
	s_waitcnt lgkmcnt(0)
	s_barrier
	buffer_gl0_inv
	v_cmpx_gt_u32_e32 32, v0
	s_cbranch_execz .LBB204_2
; %bb.15:
	s_load_b64 s[4:5], s[0:1], 0x68
	v_lshlrev_b32_e32 v0, 10, v0
	v_lshlrev_b32_e32 v1, 4, v139
	s_lshl_b32 s0, s35, 7
	v_add_nc_u32_e32 v7, s31, v138
	s_mul_i32 s1, s0, s34
	s_delay_alu instid0(SALU_CYCLE_1) | instskip(SKIP_1) | instid1(VALU_DEP_2)
	s_mul_i32 s6, s1, s7
	v_and_or_b32 v0, 0x3800, v0, v1
	v_mul_lo_u32 v1, v7, s0
	v_add_nc_u32_e32 v2, 2, v7
	s_ashr_i32 s7, s6, 31
	v_add_nc_u32_e32 v4, 4, v7
	s_lshl_b64 s[6:7], s[6:7], 1
	v_add_nc_u32_e32 v8, 6, v7
	v_mul_lo_u32 v3, v2, s0
	v_lshl_or_b32 v19, v138, 6, v0
	v_ashrrev_i32_e32 v2, 31, v1
	v_mul_lo_u32 v11, v4, s0
	v_mul_lo_u32 v25, v8, s0
	s_waitcnt lgkmcnt(0)
	s_add_u32 s1, s4, s6
	s_addc_u32 s3, s5, s7
	s_lshl_b32 s4, s14, 7
	v_lshlrev_b64 v[5:6], 1, v[1:2]
	s_ashr_i32 s5, s4, 31
	v_ashrrev_i32_e32 v4, 31, v3
	s_lshl_b64 s[4:5], s[4:5], 1
	v_ashrrev_i32_e32 v12, 31, v11
	s_add_u32 s1, s1, s4
	s_addc_u32 s3, s3, s5
	v_add_co_u32 v1, s1, s1, v137
	s_delay_alu instid0(VALU_DEP_1) | instskip(SKIP_1) | instid1(VALU_DEP_3)
	v_add_co_ci_u32_e64 v2, null, s3, 0, s1
	v_lshlrev_b64 v[3:4], 1, v[3:4]
	v_add_co_u32 v23, vcc_lo, v1, v5
	v_add_nc_u32_e32 v5, 8, v7
	s_delay_alu instid0(VALU_DEP_4) | instskip(NEXT) | instid1(VALU_DEP_4)
	v_add_co_ci_u32_e32 v24, vcc_lo, v2, v6, vcc_lo
	v_add_co_u32 v27, vcc_lo, v1, v3
	s_delay_alu instid0(VALU_DEP_3)
	v_mul_lo_u32 v29, v5, s0
	v_add_co_ci_u32_e32 v28, vcc_lo, v2, v4, vcc_lo
	ds_load_b128 v[3:6], v19
	ds_load_b128 v[7:10], v19 offset:128
	v_lshlrev_b64 v[31:32], 1, v[11:12]
	ds_load_b128 v[11:14], v19 offset:256
	ds_load_b128 v[15:18], v19 offset:384
	;; [unrolled: 1-line block ×3, first 2 shown]
	v_ashrrev_i32_e32 v26, 31, v25
	v_ashrrev_i32_e32 v30, 31, v29
	v_add_co_u32 v31, vcc_lo, v1, v31
	s_delay_alu instid0(VALU_DEP_3) | instskip(NEXT) | instid1(VALU_DEP_3)
	v_lshlrev_b64 v[25:26], 1, v[25:26]
	v_lshlrev_b64 v[29:30], 1, v[29:30]
	v_add_co_ci_u32_e32 v32, vcc_lo, v2, v32, vcc_lo
	s_delay_alu instid0(VALU_DEP_3) | instskip(NEXT) | instid1(VALU_DEP_4)
	v_add_co_u32 v25, vcc_lo, v1, v25
	v_add_co_ci_u32_e32 v26, vcc_lo, v2, v26, vcc_lo
	s_delay_alu instid0(VALU_DEP_4)
	v_add_co_u32 v29, vcc_lo, v1, v29
	v_add_co_ci_u32_e32 v30, vcc_lo, v2, v30, vcc_lo
	s_waitcnt lgkmcnt(4)
	global_store_b128 v[23:24], v[3:6], off
	s_waitcnt lgkmcnt(3)
	global_store_b128 v[27:28], v[7:10], off
	;; [unrolled: 2-line block ×5, first 2 shown]
	s_and_b32 exec_lo, exec_lo, s2
	s_cbranch_execz .LBB204_2
; %bb.16:
	ds_load_b128 v[3:6], v0 offset:640
	s_add_i32 s1, s31, 10
	s_delay_alu instid0(SALU_CYCLE_1) | instskip(NEXT) | instid1(SALU_CYCLE_1)
	s_mul_i32 s0, s1, s0
	s_ashr_i32 s1, s0, 31
	s_delay_alu instid0(SALU_CYCLE_1) | instskip(NEXT) | instid1(SALU_CYCLE_1)
	s_lshl_b64 s[0:1], s[0:1], 1
	v_add_co_u32 v0, vcc_lo, v1, s0
	v_add_co_ci_u32_e32 v1, vcc_lo, s1, v2, vcc_lo
	s_waitcnt lgkmcnt(0)
	global_store_b128 v[0:1], v[3:6], off
	s_nop 0
	s_sendmsg sendmsg(MSG_DEALLOC_VGPRS)
	s_endpgm
	.section	.rodata,"a",@progbits
	.p2align	6, 0x0
	.amdhsa_kernel _Z39paged_attention_ll4mi_QKV_mfma16_kernelIDF16_DF16_LN4vllm18Fp8KVCacheDataTypeE0EhLi16ELi128ELi256ELb1ELi11EL8MFMAType0EEvPKT_PKT0_S8_ifPKiSA_SA_iPKfiiiPfSD_PS3_PT2_iSC_SC_
		.amdhsa_group_segment_fixed_size 17472
		.amdhsa_private_segment_fixed_size 0
		.amdhsa_kernarg_size 400
		.amdhsa_user_sgpr_count 13
		.amdhsa_user_sgpr_dispatch_ptr 0
		.amdhsa_user_sgpr_queue_ptr 0
		.amdhsa_user_sgpr_kernarg_segment_ptr 1
		.amdhsa_user_sgpr_dispatch_id 0
		.amdhsa_user_sgpr_private_segment_size 0
		.amdhsa_wavefront_size32 1
		.amdhsa_uses_dynamic_stack 0
		.amdhsa_enable_private_segment 0
		.amdhsa_system_sgpr_workgroup_id_x 1
		.amdhsa_system_sgpr_workgroup_id_y 1
		.amdhsa_system_sgpr_workgroup_id_z 1
		.amdhsa_system_sgpr_workgroup_info 0
		.amdhsa_system_vgpr_workitem_id 0
		.amdhsa_next_free_vgpr 218
		.amdhsa_next_free_sgpr 52
		.amdhsa_reserve_vcc 1
		.amdhsa_float_round_mode_32 0
		.amdhsa_float_round_mode_16_64 0
		.amdhsa_float_denorm_mode_32 3
		.amdhsa_float_denorm_mode_16_64 3
		.amdhsa_dx10_clamp 1
		.amdhsa_ieee_mode 1
		.amdhsa_fp16_overflow 0
		.amdhsa_workgroup_processor_mode 1
		.amdhsa_memory_ordered 1
		.amdhsa_forward_progress 0
		.amdhsa_shared_vgpr_count 0
		.amdhsa_exception_fp_ieee_invalid_op 0
		.amdhsa_exception_fp_denorm_src 0
		.amdhsa_exception_fp_ieee_div_zero 0
		.amdhsa_exception_fp_ieee_overflow 0
		.amdhsa_exception_fp_ieee_underflow 0
		.amdhsa_exception_fp_ieee_inexact 0
		.amdhsa_exception_int_div_zero 0
	.end_amdhsa_kernel
	.section	.text._Z39paged_attention_ll4mi_QKV_mfma16_kernelIDF16_DF16_LN4vllm18Fp8KVCacheDataTypeE0EhLi16ELi128ELi256ELb1ELi11EL8MFMAType0EEvPKT_PKT0_S8_ifPKiSA_SA_iPKfiiiPfSD_PS3_PT2_iSC_SC_,"axG",@progbits,_Z39paged_attention_ll4mi_QKV_mfma16_kernelIDF16_DF16_LN4vllm18Fp8KVCacheDataTypeE0EhLi16ELi128ELi256ELb1ELi11EL8MFMAType0EEvPKT_PKT0_S8_ifPKiSA_SA_iPKfiiiPfSD_PS3_PT2_iSC_SC_,comdat
.Lfunc_end204:
	.size	_Z39paged_attention_ll4mi_QKV_mfma16_kernelIDF16_DF16_LN4vllm18Fp8KVCacheDataTypeE0EhLi16ELi128ELi256ELb1ELi11EL8MFMAType0EEvPKT_PKT0_S8_ifPKiSA_SA_iPKfiiiPfSD_PS3_PT2_iSC_SC_, .Lfunc_end204-_Z39paged_attention_ll4mi_QKV_mfma16_kernelIDF16_DF16_LN4vllm18Fp8KVCacheDataTypeE0EhLi16ELi128ELi256ELb1ELi11EL8MFMAType0EEvPKT_PKT0_S8_ifPKiSA_SA_iPKfiiiPfSD_PS3_PT2_iSC_SC_
                                        ; -- End function
	.section	.AMDGPU.csdata,"",@progbits
; Kernel info:
; codeLenInByte = 8216
; NumSgprs: 54
; NumVgprs: 218
; ScratchSize: 0
; MemoryBound: 0
; FloatMode: 240
; IeeeMode: 1
; LDSByteSize: 17472 bytes/workgroup (compile time only)
; SGPRBlocks: 6
; VGPRBlocks: 27
; NumSGPRsForWavesPerEU: 54
; NumVGPRsForWavesPerEU: 218
; Occupancy: 6
; WaveLimiterHint : 1
; COMPUTE_PGM_RSRC2:SCRATCH_EN: 0
; COMPUTE_PGM_RSRC2:USER_SGPR: 13
; COMPUTE_PGM_RSRC2:TRAP_HANDLER: 0
; COMPUTE_PGM_RSRC2:TGID_X_EN: 1
; COMPUTE_PGM_RSRC2:TGID_Y_EN: 1
; COMPUTE_PGM_RSRC2:TGID_Z_EN: 1
; COMPUTE_PGM_RSRC2:TIDIG_COMP_CNT: 0
	.section	.text._Z39paged_attention_ll4mi_QKV_mfma16_kernelIDF16_DF16_LN4vllm18Fp8KVCacheDataTypeE0EhLi16ELi128ELi256ELb1ELi12EL8MFMAType0EEvPKT_PKT0_S8_ifPKiSA_SA_iPKfiiiPfSD_PS3_PT2_iSC_SC_,"axG",@progbits,_Z39paged_attention_ll4mi_QKV_mfma16_kernelIDF16_DF16_LN4vllm18Fp8KVCacheDataTypeE0EhLi16ELi128ELi256ELb1ELi12EL8MFMAType0EEvPKT_PKT0_S8_ifPKiSA_SA_iPKfiiiPfSD_PS3_PT2_iSC_SC_,comdat
	.protected	_Z39paged_attention_ll4mi_QKV_mfma16_kernelIDF16_DF16_LN4vllm18Fp8KVCacheDataTypeE0EhLi16ELi128ELi256ELb1ELi12EL8MFMAType0EEvPKT_PKT0_S8_ifPKiSA_SA_iPKfiiiPfSD_PS3_PT2_iSC_SC_ ; -- Begin function _Z39paged_attention_ll4mi_QKV_mfma16_kernelIDF16_DF16_LN4vllm18Fp8KVCacheDataTypeE0EhLi16ELi128ELi256ELb1ELi12EL8MFMAType0EEvPKT_PKT0_S8_ifPKiSA_SA_iPKfiiiPfSD_PS3_PT2_iSC_SC_
	.globl	_Z39paged_attention_ll4mi_QKV_mfma16_kernelIDF16_DF16_LN4vllm18Fp8KVCacheDataTypeE0EhLi16ELi128ELi256ELb1ELi12EL8MFMAType0EEvPKT_PKT0_S8_ifPKiSA_SA_iPKfiiiPfSD_PS3_PT2_iSC_SC_
	.p2align	8
	.type	_Z39paged_attention_ll4mi_QKV_mfma16_kernelIDF16_DF16_LN4vllm18Fp8KVCacheDataTypeE0EhLi16ELi128ELi256ELb1ELi12EL8MFMAType0EEvPKT_PKT0_S8_ifPKiSA_SA_iPKfiiiPfSD_PS3_PT2_iSC_SC_,@function
_Z39paged_attention_ll4mi_QKV_mfma16_kernelIDF16_DF16_LN4vllm18Fp8KVCacheDataTypeE0EhLi16ELi128ELi256ELb1ELi12EL8MFMAType0EEvPKT_PKT0_S8_ifPKiSA_SA_iPKfiiiPfSD_PS3_PT2_iSC_SC_: ; @_Z39paged_attention_ll4mi_QKV_mfma16_kernelIDF16_DF16_LN4vllm18Fp8KVCacheDataTypeE0EhLi16ELi128ELi256ELb1ELi12EL8MFMAType0EEvPKT_PKT0_S8_ifPKiSA_SA_iPKfiiiPfSD_PS3_PT2_iSC_SC_
; %bb.0:
	s_load_b64 s[4:5], s[0:1], 0x30
	s_mov_b32 s30, s13
	s_waitcnt lgkmcnt(0)
	s_cmp_lg_u64 s[4:5], 0
	s_cselect_b32 s8, -1, 0
	s_ashr_i32 s31, s13, 31
	s_cmp_eq_u64 s[4:5], 0
	s_cbranch_scc1 .LBB205_3
; %bb.1:
	s_lshl_b64 s[2:3], s[30:31], 2
	s_delay_alu instid0(SALU_CYCLE_1) | instskip(SKIP_4) | instid1(SALU_CYCLE_1)
	s_add_u32 s2, s4, s2
	s_addc_u32 s3, s5, s3
	s_load_b64 s[2:3], s[2:3], 0x0
	s_waitcnt lgkmcnt(0)
	s_sub_i32 s2, s3, s2
	s_cmp_eq_u32 s2, 1
	s_cselect_b32 s2, -1, 0
	s_delay_alu instid0(SALU_CYCLE_1)
	s_and_not1_b32 vcc_lo, exec_lo, s2
	s_cbranch_vccz .LBB205_4
.LBB205_2:
	s_endpgm
.LBB205_3:
.LBB205_4:
	s_load_b64 s[2:3], s[0:1], 0x28
	s_lshl_b64 s[6:7], s[30:31], 2
	s_waitcnt lgkmcnt(0)
	s_add_u32 s2, s2, s6
	s_addc_u32 s3, s3, s7
	s_lshl_b32 s29, s14, 8
	s_load_b32 s28, s[2:3], 0x0
	s_waitcnt lgkmcnt(0)
	s_cmp_ge_i32 s29, s28
	s_cbranch_scc1 .LBB205_2
; %bb.5:
	s_clause 0x1
	s_load_b128 s[20:23], s[0:1], 0x8
	s_load_b64 s[2:3], s[0:1], 0x20
	s_and_not1_b32 vcc_lo, exec_lo, s8
	s_cbranch_vccnz .LBB205_7
; %bb.6:
	s_add_u32 s4, s4, s6
	s_addc_u32 s5, s5, s7
	s_load_b32 s5, s[4:5], 0x0
	s_branch .LBB205_8
.LBB205_7:
	s_mov_b32 s5, s30
.LBB205_8:
	s_load_b128 s[16:19], s[0:1], 0x48
	v_and_b32_e32 v140, 15, v0
	v_lshrrev_b32_e32 v141, 5, v0
	v_and_b32_e32 v142, 31, v0
	v_and_b32_e32 v139, 1, v0
	v_bfe_u32 v138, v0, 4, 1
	v_lshlrev_b32_e32 v1, 3, v140
	s_mul_i32 s31, s15, 12
	s_mov_b32 s4, exec_lo
	s_delay_alu instid0(VALU_DEP_1)
	v_lshlrev_b32_e32 v137, 1, v1
	v_cmpx_gt_u32_e32 0xc0, v0
	s_cbranch_execz .LBB205_10
; %bb.9:
	s_load_b64 s[6:7], s[0:1], 0x0
	v_lshl_or_b32 v5, v141, 1, v138
	s_waitcnt lgkmcnt(0)
	s_mul_hi_i32 s9, s5, s16
	s_mul_i32 s8, s5, s16
	v_lshlrev_b32_e32 v6, 10, v140
	s_lshl_b64 s[8:9], s[8:9], 1
	v_add_lshl_u32 v1, v5, s31, 7
	v_lshlrev_b32_e32 v5, 6, v5
	v_lshlrev_b32_e32 v7, 10, v139
	v_and_b32_e32 v6, 0x3800, v6
	s_delay_alu instid0(VALU_DEP_4) | instskip(NEXT) | instid1(VALU_DEP_2)
	v_ashrrev_i32_e32 v2, 31, v1
	v_or3_b32 v5, v6, v7, v5
	s_delay_alu instid0(VALU_DEP_2) | instskip(SKIP_2) | instid1(VALU_DEP_1)
	v_lshlrev_b64 v[1:2], 1, v[1:2]
	s_add_u32 s5, s6, s8
	s_addc_u32 s6, s7, s9
	v_add_co_u32 v1, vcc_lo, s5, v1
	s_delay_alu instid0(VALU_DEP_2) | instskip(NEXT) | instid1(VALU_DEP_2)
	v_add_co_ci_u32_e32 v2, vcc_lo, s6, v2, vcc_lo
	v_add_co_u32 v1, vcc_lo, v1, v137
	s_delay_alu instid0(VALU_DEP_2)
	v_add_co_ci_u32_e32 v2, vcc_lo, 0, v2, vcc_lo
	global_load_b128 v[1:4], v[1:2], off
	s_waitcnt vmcnt(0)
	ds_store_b128 v5, v[1:4]
.LBB205_10:
	s_or_b32 exec_lo, exec_lo, s4
	v_and_b32_e32 v1, 0xef, v0
	s_waitcnt lgkmcnt(0)
	s_add_i32 s5, s28, 15
	s_clause 0x1
	s_load_b32 s4, s[0:1], 0x38
	s_load_b32 s33, s[0:1], 0x98
	s_ashr_i32 s6, s5, 31
	v_add_nc_u32_e32 v1, s29, v1
	s_lshr_b32 s6, s6, 28
	s_load_b32 s34, s[0:1], 0x1c
	s_add_i32 s5, s5, s6
	s_waitcnt lgkmcnt(0)
	v_ashrrev_i32_e32 v2, 31, v1
	v_cmp_gt_i32_e32 vcc_lo, s28, v1
	s_ashr_i32 s16, s5, 4
	s_barrier
	s_add_i32 s16, s16, -1
	v_lshrrev_b32_e32 v3, 28, v2
	v_or_b32_e32 v2, 16, v1
	buffer_gl0_inv
	v_add_nc_u32_e32 v105, -12, v140
	v_lshlrev_b32_e32 v106, 5, v140
	v_add_nc_u32_e32 v4, v1, v3
	v_add_nc_u32_e32 v3, v2, v3
	s_mul_i32 s4, s30, s4
	s_delay_alu instid0(SALU_CYCLE_1) | instskip(NEXT) | instid1(VALU_DEP_2)
	s_ashr_i32 s5, s4, 31
	v_ashrrev_i32_e32 v4, 4, v4
	s_delay_alu instid0(VALU_DEP_2)
	v_ashrrev_i32_e32 v3, 4, v3
	s_lshl_b64 s[4:5], s[4:5], 2
	v_lshl_or_b32 v125, v141, 9, v106
	s_add_u32 s35, s2, s4
	v_cndmask_b32_e32 v1, s16, v4, vcc_lo
	v_cmp_gt_i32_e32 vcc_lo, s28, v2
	s_addc_u32 s36, s3, s5
	s_mul_i32 s2, s15, s18
	s_delay_alu instid0(VALU_DEP_2) | instskip(SKIP_2) | instid1(SALU_CYCLE_1)
	v_ashrrev_i32_e32 v2, 31, v1
	v_cndmask_b32_e32 v3, s16, v3, vcc_lo
	s_ashr_i32 s3, s2, 31
	s_lshl_b64 s[2:3], s[2:3], 1
	s_delay_alu instid0(VALU_DEP_2) | instskip(NEXT) | instid1(VALU_DEP_2)
	v_lshlrev_b64 v[1:2], 2, v[1:2]
	v_ashrrev_i32_e32 v4, 31, v3
	s_add_u32 s24, s20, s2
	s_addc_u32 s25, s21, s3
	s_lshl_b32 s4, s14, 4
	s_delay_alu instid0(VALU_DEP_1) | instskip(SKIP_3) | instid1(VALU_DEP_3)
	v_lshlrev_b64 v[3:4], 2, v[3:4]
	v_add_co_u32 v1, vcc_lo, s35, v1
	v_add_co_ci_u32_e32 v2, vcc_lo, s36, v2, vcc_lo
	s_ashr_i32 s5, s4, 31
	v_add_co_u32 v3, vcc_lo, s35, v3
	s_delay_alu instid0(VALU_DEP_4)
	v_add_co_ci_u32_e32 v4, vcc_lo, s36, v4, vcc_lo
	s_lshl_b64 s[4:5], s[4:5], 2
	s_clause 0x1
	global_load_b32 v5, v[1:2], off
	global_load_b32 v6, v[3:4], off
	s_add_u32 s4, s35, s4
	s_addc_u32 s5, s36, s5
	s_or_b32 s6, s29, 16
	v_lshlrev_b32_e32 v3, 4, v0
	s_ashr_i32 s7, s6, 4
	s_cmp_lt_i32 s6, s28
	s_cselect_b32 s6, s7, s16
	s_delay_alu instid0(SALU_CYCLE_1) | instskip(NEXT) | instid1(SALU_CYCLE_1)
	s_ashr_i32 s7, s6, 31
	s_lshl_b64 s[6:7], s[6:7], 2
	s_delay_alu instid0(SALU_CYCLE_1) | instskip(SKIP_2) | instid1(SALU_CYCLE_1)
	s_add_u32 s6, s35, s6
	s_addc_u32 s7, s36, s7
	s_or_b32 s8, s29, 32
	s_ashr_i32 s9, s8, 4
	s_cmp_lt_i32 s8, s28
	s_cselect_b32 s8, s9, s16
	s_delay_alu instid0(SALU_CYCLE_1) | instskip(NEXT) | instid1(SALU_CYCLE_1)
	s_ashr_i32 s9, s8, 31
	s_lshl_b64 s[8:9], s[8:9], 2
	s_delay_alu instid0(SALU_CYCLE_1) | instskip(SKIP_2) | instid1(SALU_CYCLE_1)
	s_add_u32 s8, s35, s8
	s_addc_u32 s9, s36, s9
	s_or_b32 s10, s29, 48
	;; [unrolled: 10-line block ×4, first 2 shown]
	s_ashr_i32 s13, s12, 4
	s_cmp_lt_i32 s12, s28
	s_cselect_b32 s12, s13, s16
	s_delay_alu instid0(SALU_CYCLE_1) | instskip(NEXT) | instid1(SALU_CYCLE_1)
	s_ashr_i32 s13, s12, 31
	s_lshl_b64 s[12:13], s[12:13], 2
	s_delay_alu instid0(SALU_CYCLE_1)
	s_add_u32 s20, s35, s12
	s_addc_u32 s21, s36, s13
	s_clause 0x5
	s_load_b32 s37, s[4:5], 0x0
	s_load_b32 s27, s[6:7], 0x0
	;; [unrolled: 1-line block ×6, first 2 shown]
	s_waitcnt vmcnt(1)
	v_mad_i64_i32 v[1:2], null, v5, s17, 0
	v_and_b32_e32 v5, 0xf0, v3
	s_waitcnt vmcnt(0)
	v_mad_i64_i32 v[3:4], null, v6, s17, 0
	s_delay_alu instid0(VALU_DEP_2) | instskip(NEXT) | instid1(VALU_DEP_4)
	v_add_co_u32 v5, s4, s24, v5
	v_lshlrev_b64 v[1:2], 1, v[1:2]
	v_add_co_ci_u32_e64 v6, null, s25, 0, s4
	s_delay_alu instid0(VALU_DEP_4) | instskip(SKIP_1) | instid1(VALU_DEP_3)
	v_lshlrev_b64 v[3:4], 1, v[3:4]
	s_or_b32 s4, s29, 0x60
	v_add_co_u32 v121, vcc_lo, v5, v1
	s_delay_alu instid0(VALU_DEP_3) | instskip(NEXT) | instid1(VALU_DEP_3)
	v_add_co_ci_u32_e32 v122, vcc_lo, v6, v2, vcc_lo
	v_add_co_u32 v123, vcc_lo, v5, v3
	s_delay_alu instid0(VALU_DEP_4)
	v_add_co_ci_u32_e32 v124, vcc_lo, v6, v4, vcc_lo
	s_clause 0x19
	global_load_b128 v[89:92], v[121:122], off
	global_load_b128 v[93:96], v[121:122], off offset:256
	global_load_b128 v[97:100], v[123:124], off
	global_load_b128 v[101:104], v[123:124], off offset:256
	global_load_b128 v[81:84], v[121:122], off offset:512
	;; [unrolled: 1-line block ×23, first 2 shown]
	s_ashr_i32 s5, s4, 4
	s_cmp_lt_i32 s4, s28
	v_cmp_gt_u32_e32 vcc_lo, 12, v140
	s_cselect_b32 s4, s5, s16
	s_delay_alu instid0(SALU_CYCLE_1) | instskip(NEXT) | instid1(SALU_CYCLE_1)
	s_ashr_i32 s5, s4, 31
	s_lshl_b64 s[4:5], s[4:5], 2
	v_cndmask_b32_e32 v105, v105, v140, vcc_lo
	s_add_u32 s18, s35, s4
	s_addc_u32 s19, s36, s5
	s_or_b32 s4, s29, 0x70
	s_delay_alu instid0(SALU_CYCLE_1)
	s_ashr_i32 s5, s4, 4
	s_cmp_lt_i32 s4, s28
	v_lshlrev_b32_e32 v215, 6, v105
	s_cselect_b32 s6, s5, s16
	ds_load_b128 v[105:108], v215
	ds_load_b128 v[109:112], v215 offset:1024
	s_ashr_i32 s7, s6, 31
	ds_load_b128 v[113:116], v215 offset:2048
	ds_load_b128 v[117:120], v215 offset:3072
	;; [unrolled: 1-line block ×8, first 2 shown]
	s_clause 0x1
	global_load_b128 v[167:170], v[123:124], off offset:3072
	global_load_b128 v[171:174], v[123:124], off offset:3328
	s_lshl_b64 s[6:7], s[6:7], 2
	s_mov_b32 s4, 0
	s_add_u32 s20, s35, s6
	s_addc_u32 s21, s36, s7
	s_clause 0x1
	s_load_b32 s41, s[18:19], 0x0
	s_load_b32 s46, s[20:21], 0x0
	s_clause 0x3
	global_load_b128 v[175:178], v[121:122], off offset:3584
	global_load_b128 v[179:182], v[121:122], off offset:3840
	;; [unrolled: 1-line block ×4, first 2 shown]
	s_or_b32 s7, s29, 0x80
	s_mov_b32 s5, s4
	s_ashr_i32 s8, s7, 4
	s_cmp_lt_i32 s7, s28
	s_mov_b32 s6, s4
	s_cselect_b32 s10, s8, s16
	s_mov_b32 s7, s4
	s_ashr_i32 s11, s10, 31
	s_mov_b32 s8, s4
	s_lshl_b64 s[24:25], s[10:11], 2
	s_mov_b32 s9, s4
	s_add_u32 s24, s35, s24
	s_addc_u32 s25, s36, s25
	s_or_b32 s11, s29, 0x90
	s_mov_b32 s10, s4
	s_ashr_i32 s38, s11, 4
	s_cmp_lt_i32 s11, s28
	s_mov_b32 s11, s4
	s_cselect_b32 s38, s38, s16
	v_mov_b32_e32 v136, s11
	s_ashr_i32 s39, s38, 31
	v_dual_mov_b32 v135, s10 :: v_dual_mov_b32 v134, s9
	v_dual_mov_b32 v133, s8 :: v_dual_mov_b32 v132, s7
	;; [unrolled: 1-line block ×3, first 2 shown]
	v_mov_b32_e32 v129, s4
	s_lshl_b64 s[4:5], s[38:39], 2
	s_waitcnt lgkmcnt(0)
	s_mul_hi_i32 s7, s27, s17
	s_add_u32 s38, s35, s4
	s_addc_u32 s39, s36, s5
	s_or_b32 s4, s29, 0xa0
	s_load_b32 s40, s[38:39], 0x0
	s_ashr_i32 s5, s4, 4
	s_cmp_lt_i32 s4, s28
	s_cselect_b32 s4, s5, s16
	s_delay_alu instid0(SALU_CYCLE_1) | instskip(NEXT) | instid1(SALU_CYCLE_1)
	s_ashr_i32 s5, s4, 31
	s_lshl_b64 s[4:5], s[4:5], 2
	s_delay_alu instid0(SALU_CYCLE_1)
	s_add_u32 s42, s35, s4
	s_addc_u32 s43, s36, s5
	s_or_b32 s4, s29, 0xb0
	s_load_b32 s39, s[42:43], 0x0
	s_ashr_i32 s6, s4, 4
	s_cmp_lt_i32 s4, s28
	s_mul_hi_i32 s5, s37, s17
	s_cselect_b32 s8, s6, s16
	s_mul_i32 s6, s27, s17
	s_ashr_i32 s9, s8, 31
	s_mul_i32 s4, s37, s17
	s_lshl_b64 s[10:11], s[8:9], 2
	s_mul_hi_i32 s9, s26, s17
	s_add_u32 s44, s35, s10
	s_addc_u32 s45, s36, s11
	s_or_b32 s10, s29, 0xc0
	s_mul_i32 s8, s26, s17
	s_ashr_i32 s26, s10, 4
	s_cmp_lt_i32 s10, s28
	s_mul_hi_i32 s11, s13, s17
	s_cselect_b32 s26, s26, s16
	s_mul_i32 s10, s13, s17
	s_ashr_i32 s27, s26, 31
	s_mul_hi_i32 s13, s12, s17
	s_lshl_b64 s[26:27], s[26:27], 2
	s_mul_i32 s12, s12, s17
	s_add_u32 s20, s35, s26
	s_addc_u32 s21, s36, s27
	s_or_b32 s18, s29, 0xd0
	s_load_b32 s26, s[24:25], 0x0
	s_ashr_i32 s19, s18, 4
	s_cmp_lt_i32 s18, s28
	s_mul_i32 s18, s15, s17
	s_cselect_b32 s24, s19, s16
	s_mul_hi_i32 s19, s15, s17
	s_ashr_i32 s25, s24, 31
	s_delay_alu instid0(SALU_CYCLE_1) | instskip(NEXT) | instid1(SALU_CYCLE_1)
	s_lshl_b64 s[24:25], s[24:25], 2
	s_add_u32 s24, s35, s24
	s_addc_u32 s25, s36, s25
	s_or_b32 s42, s29, 0xe0
	s_clause 0x2
	s_load_b32 s38, s[44:45], 0x0
	s_load_b32 s37, s[20:21], 0x0
	s_load_b32 s15, s[24:25], 0x0
	s_ashr_i32 s43, s42, 4
	s_cmp_lt_i32 s42, s28
	s_mul_hi_i32 s25, s46, s17
	s_cselect_b32 s42, s43, s16
	s_mul_i32 s24, s46, s17
	s_ashr_i32 s43, s42, 31
	s_mul_hi_i32 s21, s41, s17
	s_lshl_b64 s[42:43], s[42:43], 2
	s_mul_i32 s20, s41, s17
	s_add_u32 s42, s35, s42
	s_addc_u32 s43, s36, s43
	s_or_b32 s46, s29, 0xf0
	s_waitcnt lgkmcnt(0)
	s_mul_hi_i32 s27, s26, s17
	s_ashr_i32 s47, s46, 4
	s_cmp_lt_i32 s46, s28
	s_mul_i32 s26, s26, s17
	s_cselect_b32 s46, s47, s16
	s_mul_hi_i32 s41, s40, s17
	s_ashr_i32 s47, s46, 31
	s_mul_hi_i32 s51, s15, s17
	s_lshl_b64 s[46:47], s[46:47], 2
	s_mul_i32 s50, s15, s17
	s_add_u32 s46, s35, s46
	s_addc_u32 s47, s36, s47
	s_add_u32 s15, s22, s2
	s_addc_u32 s16, s23, s3
	v_add_co_u32 v216, s15, s15, v125
	s_delay_alu instid0(VALU_DEP_1) | instskip(SKIP_2) | instid1(VALU_DEP_2)
	v_add_co_ci_u32_e64 v217, null, s16, 0, s15
	s_lshl_b64 s[2:3], s[4:5], 1
	s_lshl_b64 s[4:5], s[6:7], 1
	v_add_co_u32 v125, vcc_lo, v216, s2
	s_delay_alu instid0(VALU_DEP_2)
	v_add_co_ci_u32_e32 v126, vcc_lo, s3, v217, vcc_lo
	v_add_co_u32 v199, vcc_lo, v216, s4
	s_lshl_b64 s[6:7], s[8:9], 1
	v_add_co_ci_u32_e32 v200, vcc_lo, s5, v217, vcc_lo
	s_lshl_b64 s[8:9], s[10:11], 1
	s_lshl_b64 s[10:11], s[12:13], 1
	;; [unrolled: 1-line block ×6, first 2 shown]
	s_mul_i32 s40, s40, s17
	s_mul_hi_i32 s45, s39, s17
	s_lshl_b64 s[24:25], s[40:41], 1
	s_mul_i32 s44, s39, s17
	s_mul_hi_i32 s39, s38, s17
	s_lshl_b64 s[26:27], s[44:45], 1
	s_mul_i32 s38, s38, s17
	s_mul_hi_i32 s49, s37, s17
	s_mul_i32 s48, s37, s17
	s_lshl_b64 s[36:37], s[38:39], 1
	s_lshl_b64 s[38:39], s[48:49], 1
	s_clause 0x1
	s_load_b32 s15, s[42:43], 0x0
	s_load_b32 s16, s[46:47], 0x0
	s_lshl_b64 s[40:41], s[50:51], 1
	s_waitcnt lgkmcnt(0)
	s_mul_hi_i32 s3, s15, s17
	s_mul_i32 s2, s15, s17
	s_mul_hi_i32 s5, s16, s17
	s_lshl_b64 s[2:3], s[2:3], 1
	s_mul_i32 s4, s16, s17
	s_waitcnt vmcnt(30)
	v_wmma_f32_16x16x16_f16 v[191:198], v[89:96], v[105:112], v[129:136]
	v_add_co_u32 v89, vcc_lo, v216, s6
	v_add_co_ci_u32_e32 v90, vcc_lo, s7, v217, vcc_lo
	v_add_co_u32 v91, vcc_lo, v216, s8
	v_add_co_ci_u32_e32 v92, vcc_lo, s9, v217, vcc_lo
	;; [unrolled: 2-line block ×5, first 2 shown]
	v_add_co_u32 v205, vcc_lo, v216, s20
	s_waitcnt vmcnt(28)
	v_wmma_f32_16x16x16_f16 v[129:136], v[97:104], v[105:112], v[129:136]
	v_add_co_ci_u32_e32 v206, vcc_lo, s21, v217, vcc_lo
	v_add_co_u32 v207, vcc_lo, v216, s22
	v_add_co_ci_u32_e32 v208, vcc_lo, s23, v217, vcc_lo
	v_add_co_u32 v209, vcc_lo, v216, s24
	s_waitcnt vmcnt(26)
	v_wmma_f32_16x16x16_f16 v[191:198], v[81:88], v[113:120], v[191:198]
	s_waitcnt vmcnt(24)
	v_wmma_f32_16x16x16_f16 v[129:136], v[73:80], v[113:120], v[129:136]
	v_add_co_ci_u32_e32 v210, vcc_lo, s25, v217, vcc_lo
	v_add_co_u32 v211, vcc_lo, v216, s26
	v_add_co_ci_u32_e32 v212, vcc_lo, s27, v217, vcc_lo
	v_add_co_u32 v213, vcc_lo, v216, s36
	s_waitcnt vmcnt(22)
	v_wmma_f32_16x16x16_f16 v[191:198], v[65:72], v[143:150], v[191:198]
	s_waitcnt vmcnt(20)
	v_wmma_f32_16x16x16_f16 v[129:136], v[57:64], v[143:150], v[129:136]
	v_add_co_ci_u32_e32 v214, vcc_lo, s37, v217, vcc_lo
	v_add_co_u32 v143, vcc_lo, v216, s38
	s_waitcnt vmcnt(18)
	v_wmma_f32_16x16x16_f16 v[191:198], v[49:56], v[151:158], v[191:198]
	s_waitcnt vmcnt(16)
	v_wmma_f32_16x16x16_f16 v[129:136], v[25:32], v[151:158], v[129:136]
	v_add_co_ci_u32_e32 v144, vcc_lo, s39, v217, vcc_lo
	s_clause 0x15
	global_load_b128 v[121:124], v[125:126], off
	global_load_b128 v[125:128], v[125:126], off offset:16
	global_load_b128 v[113:116], v[199:200], off
	global_load_b128 v[117:120], v[199:200], off offset:16
	;; [unrolled: 2-line block ×11, first 2 shown]
	s_waitcnt vmcnt(36)
	v_wmma_f32_16x16x16_f16 v[191:198], v[1:8], v[159:166], v[191:198]
	s_clause 0x1
	global_load_b128 v[1:4], v[213:214], off
	global_load_b128 v[5:8], v[213:214], off offset:16
	s_waitcnt vmcnt(36)
	v_wmma_f32_16x16x16_f16 v[129:136], v[9:16], v[159:166], v[129:136]
	s_clause 0x1
	global_load_b128 v[9:12], v[143:144], off
	global_load_b128 v[13:16], v[143:144], off offset:16
	ds_load_b128 v[143:146], v215 offset:10240
	ds_load_b128 v[147:150], v215 offset:11264
	;; [unrolled: 1-line block ×4, first 2 shown]
	v_add_co_u32 v199, vcc_lo, v216, s40
	v_add_co_ci_u32_e32 v200, vcc_lo, s41, v217, vcc_lo
	v_add_co_u32 v159, vcc_lo, v216, s2
	v_add_co_ci_u32_e32 v160, vcc_lo, s3, v217, vcc_lo
	s_lshl_b64 s[2:3], s[4:5], 1
	s_delay_alu instid0(SALU_CYCLE_1)
	v_add_co_u32 v161, vcc_lo, v216, s2
	v_add_co_ci_u32_e32 v162, vcc_lo, s3, v217, vcc_lo
	s_waitcnt vmcnt(36) lgkmcnt(2)
	v_wmma_f32_16x16x16_f16 v[191:198], v[33:40], v[143:150], v[191:198]
	s_waitcnt vmcnt(34)
	v_wmma_f32_16x16x16_f16 v[129:136], v[41:48], v[143:150], v[129:136]
	s_clause 0x3
	global_load_b128 v[33:36], v[199:200], off
	global_load_b128 v[37:40], v[199:200], off offset:16
	global_load_b128 v[41:44], v[159:160], off
	global_load_b128 v[45:48], v[159:160], off offset:16
	v_and_b32_e32 v143, 0xe0, v0
	v_mbcnt_lo_u32_b32 v159, -1, 0
	s_waitcnt vmcnt(36) lgkmcnt(0)
	v_wmma_f32_16x16x16_f16 v[191:198], v[17:24], v[151:158], v[191:198]
	s_clause 0x1
	global_load_b128 v[17:20], v[161:162], off
	global_load_b128 v[21:24], v[161:162], off offset:16
	s_waitcnt vmcnt(36)
	v_wmma_f32_16x16x16_f16 v[129:136], v[167:174], v[151:158], v[129:136]
	v_add_nc_u32_e32 v160, s29, v143
	ds_load_b128 v[143:146], v215 offset:14336
	ds_load_b128 v[147:150], v215 offset:15360
	v_xor_b32_e32 v151, 16, v159
	s_waitcnt vmcnt(0) lgkmcnt(0)
	s_barrier
	v_or_b32_e32 v152, v160, v138
	buffer_gl0_inv
	v_cmp_gt_i32_e32 vcc_lo, 32, v151
	v_or_b32_e32 v153, 2, v152
	v_or_b32_e32 v154, 4, v152
	;; [unrolled: 1-line block ×5, first 2 shown]
	v_cmp_gt_i32_e64 s2, s28, v153
	v_cmp_gt_i32_e64 s3, s28, v154
	;; [unrolled: 1-line block ×3, first 2 shown]
	v_or_b32_e32 v158, 12, v152
	v_cmp_gt_i32_e64 s5, s28, v156
	v_cmp_gt_i32_e64 s6, s28, v157
	v_wmma_f32_16x16x16_f16 v[191:198], v[175:182], v[143:150], v[191:198]
	v_wmma_f32_16x16x16_f16 v[129:136], v[183:190], v[143:150], v[129:136]
	v_cndmask_b32_e32 v151, v159, v151, vcc_lo
	v_cmp_gt_i32_e32 vcc_lo, s28, v152
	v_or_b32_e32 v159, 14, v152
	v_dual_mul_f32 v149, s34, v192 :: v_dual_mul_f32 v150, s34, v191
	v_dual_mul_f32 v147, s34, v194 :: v_dual_mul_f32 v148, s34, v193
	v_mul_f32_e32 v145, s34, v196
	s_delay_alu instid0(VALU_DEP_3) | instskip(NEXT) | instid1(VALU_DEP_4)
	v_cndmask_b32_e64 v149, 0xff7fffff, v149, s2
	v_cndmask_b32_e32 v150, 0xff7fffff, v150, vcc_lo
	v_mul_f32_e32 v146, s34, v195
	v_cndmask_b32_e64 v148, 0xff7fffff, v148, s3
	v_cndmask_b32_e64 v147, 0xff7fffff, v147, s4
	v_or_b32_e32 v160, 16, v152
	v_max3_f32 v149, v150, 0xff7fffff, v149
	v_or_b32_e32 v161, 18, v152
	v_dual_mul_f32 v143, s34, v198 :: v_dual_mul_f32 v144, s34, v197
	v_cndmask_b32_e64 v146, 0xff7fffff, v146, s5
	v_cndmask_b32_e64 v145, 0xff7fffff, v145, s6
	v_max3_f32 v147, v149, v148, v147
	v_cmp_gt_i32_e64 s7, s28, v158
	v_cmp_gt_i32_e64 s8, s28, v159
	v_or_b32_e32 v162, 20, v152
	v_or_b32_e32 v163, 22, v152
	v_dual_mul_f32 v174, s34, v130 :: v_dual_mul_f32 v175, s34, v129
	v_cndmask_b32_e64 v144, 0xff7fffff, v144, s7
	v_cndmask_b32_e64 v143, 0xff7fffff, v143, s8
	v_max3_f32 v145, v147, v146, v145
	v_cmp_gt_i32_e64 s9, s28, v160
	v_cmp_gt_i32_e64 s10, s28, v161
	v_or_b32_e32 v164, 24, v152
	;; [unrolled: 8-line block ×3, first 2 shown]
	v_or_b32_e32 v167, 30, v152
	v_dual_mul_f32 v170, s34, v134 :: v_dual_mul_f32 v171, s34, v133
	v_cndmask_b32_e64 v144, 0xff7fffff, v173, s11
	v_cndmask_b32_e64 v145, 0xff7fffff, v172, s12
	v_max3_f32 v143, v143, v146, v147
	v_cmp_gt_i32_e64 s13, s28, v164
	v_cmp_gt_i32_e64 s15, s28, v165
	v_dual_mul_f32 v168, s34, v136 :: v_dual_mul_f32 v169, s34, v135
	s_delay_alu instid0(VALU_DEP_4) | instskip(NEXT) | instid1(VALU_DEP_4)
	v_max3_f32 v143, v143, v144, v145
	v_cndmask_b32_e64 v146, 0xff7fffff, v171, s13
	s_delay_alu instid0(VALU_DEP_4) | instskip(SKIP_3) | instid1(VALU_DEP_4)
	v_cndmask_b32_e64 v147, 0xff7fffff, v170, s15
	v_cmp_gt_i32_e64 s16, s28, v166
	v_cmp_gt_i32_e64 s17, s28, v167
	v_lshlrev_b32_e32 v160, 2, v151
	v_max3_f32 v143, v143, v146, v147
	s_delay_alu instid0(VALU_DEP_4) | instskip(NEXT) | instid1(VALU_DEP_4)
	v_cndmask_b32_e64 v144, 0xff7fffff, v169, s16
	v_cndmask_b32_e64 v145, 0xff7fffff, v168, s17
	s_delay_alu instid0(VALU_DEP_1) | instskip(SKIP_3) | instid1(VALU_DEP_1)
	v_max3_f32 v143, v143, v144, v145
	ds_bpermute_b32 v144, v160, v143
	s_waitcnt lgkmcnt(0)
	v_max_f32_e32 v144, v144, v144
	v_max_f32_e32 v159, v143, v144
	s_delay_alu instid0(VALU_DEP_1) | instskip(SKIP_4) | instid1(VALU_DEP_4)
	v_fma_f32 v143, s34, v191, -v159
	v_fma_f32 v144, s34, v192, -v159
	;; [unrolled: 1-line block ×5, first 2 shown]
	v_dual_mul_f32 v143, 0x3fb8aa3b, v143 :: v_dual_mul_f32 v144, 0x3fb8aa3b, v144
	s_delay_alu instid0(VALU_DEP_4) | instskip(SKIP_2) | instid1(VALU_DEP_4)
	v_mul_f32_e32 v132, 0x3fb8aa3b, v132
	v_fma_f32 v134, s34, v134, -v159
	v_mul_f32_e32 v145, 0x3fb8aa3b, v145
	v_exp_f32_e32 v143, v143
	v_exp_f32_e32 v147, v144
	v_fma_f32 v148, s34, v195, -v159
	v_mul_f32_e32 v134, 0x3fb8aa3b, v134
	v_mul_f32_e32 v146, 0x3fb8aa3b, v146
	v_exp_f32_e32 v145, v145
	v_fma_f32 v149, s34, v196, -v159
	v_mul_f32_e32 v148, 0x3fb8aa3b, v148
	v_fma_f32 v151, s34, v197, -v159
	v_exp_f32_e32 v150, v146
	v_cndmask_b32_e32 v144, 0, v143, vcc_lo
	v_cndmask_b32_e64 v143, 0, v147, s2
	v_mul_f32_e32 v149, 0x3fb8aa3b, v149
	v_exp_f32_e32 v148, v148
	v_fma_f32 v152, s34, v198, -v159
	v_add_f32_e32 v147, 0, v144
	v_cndmask_b32_e64 v146, 0, v145, s3
	v_mul_f32_e32 v151, 0x3fb8aa3b, v151
	v_exp_f32_e32 v149, v149
	v_cndmask_b32_e64 v145, 0, v150, s4
	v_add_f32_e32 v147, v147, v143
	v_fma_f32 v129, s34, v129, -v159
	v_mul_f32_e32 v150, 0x3fb8aa3b, v152
	v_exp_f32_e32 v151, v151
	v_cndmask_b32_e64 v148, 0, v148, s5
	v_add_f32_e32 v147, v147, v146
	v_fma_f32 v130, s34, v130, -v159
	v_mul_f32_e32 v129, 0x3fb8aa3b, v129
	v_exp_f32_e32 v153, v150
	v_fma_f32 v131, s34, v131, -v159
	v_add_f32_e32 v152, v147, v145
	v_cndmask_b32_e64 v147, 0, v149, s6
	v_mul_f32_e32 v130, 0x3fb8aa3b, v130
	v_exp_f32_e32 v129, v129
	v_cndmask_b32_e64 v150, 0, v151, s7
	v_add_f32_e32 v149, v152, v148
	v_mul_f32_e32 v131, 0x3fb8aa3b, v131
	v_exp_f32_e32 v130, v130
	v_fma_f32 v133, s34, v133, -v159
	v_exp_f32_e32 v132, v132
	v_add_f32_e32 v151, v149, v147
	v_cndmask_b32_e64 v149, 0, v153, s8
	v_exp_f32_e32 v131, v131
	v_cndmask_b32_e64 v152, 0, v129, s9
	v_mul_f32_e32 v133, 0x3fb8aa3b, v133
	v_add_f32_e32 v151, v151, v150
	s_mov_b32 s2, exec_lo
	s_delay_alu instid0(VALU_DEP_2) | instskip(NEXT) | instid1(VALU_DEP_1)
	v_exp_f32_e32 v133, v133
	v_add_f32_e32 v129, v151, v149
	v_cndmask_b32_e64 v151, 0, v130, s10
	v_fma_f32 v130, s34, v135, -v159
	s_delay_alu instid0(TRANS32_DEP_2)
	v_cndmask_b32_e64 v154, 0, v131, s11
	v_exp_f32_e32 v131, v134
	v_add_f32_e32 v129, v129, v152
	v_cndmask_b32_e64 v153, 0, v132, s12
	v_mul_f32_e32 v130, 0x3fb8aa3b, v130
	v_fma_f32 v132, s34, v136, -v159
	v_cndmask_b32_e64 v156, 0, v133, s13
	v_add_f32_e32 v129, v129, v151
	s_delay_alu instid0(VALU_DEP_4) | instskip(NEXT) | instid1(VALU_DEP_3)
	v_exp_f32_e32 v130, v130
	v_mul_f32_e32 v132, 0x3fb8aa3b, v132
	s_delay_alu instid0(TRANS32_DEP_2) | instskip(NEXT) | instid1(VALU_DEP_3)
	v_cndmask_b32_e64 v155, 0, v131, s15
	v_add_f32_e32 v129, v129, v154
	s_delay_alu instid0(VALU_DEP_3) | instskip(NEXT) | instid1(VALU_DEP_1)
	v_exp_f32_e32 v131, v132
	v_add_f32_e32 v129, v129, v153
	s_waitcnt_depctr 0xfff
	v_cndmask_b32_e64 v158, 0, v130, s16
	v_add_f32_e32 v129, v129, v156
	v_cndmask_b32_e64 v157, 0, v131, s17
	s_delay_alu instid0(VALU_DEP_2) | instskip(NEXT) | instid1(VALU_DEP_1)
	v_add_f32_e32 v129, v129, v155
	v_add_f32_e32 v129, v129, v158
	s_delay_alu instid0(VALU_DEP_1)
	v_add_f32_e32 v129, v129, v157
	ds_bpermute_b32 v130, v160, v129
	v_cmpx_gt_u32_e32 16, v142
	s_cbranch_execz .LBB205_12
; %bb.11:
	v_mul_u32_u24_e32 v131, 0x44, v141
	s_delay_alu instid0(VALU_DEP_1) | instskip(SKIP_1) | instid1(VALU_DEP_1)
	v_lshl_add_u32 v131, v140, 2, v131
	s_waitcnt lgkmcnt(0)
	v_dual_add_f32 v129, v129, v130 :: v_dual_add_nc_u32 v130, 0x4000, v131
	ds_store_2addr_b32 v130, v159, v129 offset1:136
.LBB205_12:
	s_or_b32 exec_lo, exec_lo, s2
	v_lshlrev_b32_e32 v129, 2, v140
	s_load_b32 s34, s[0:1], 0x94
	s_waitcnt lgkmcnt(0)
	s_barrier
	buffer_gl0_inv
	v_add_nc_u32_e32 v135, 0x4000, v129
	v_cmp_eq_u32_e32 vcc_lo, 1, v141
	v_cmp_eq_u32_e64 s2, 2, v141
	v_cmp_eq_u32_e64 s3, 3, v141
	v_cmp_eq_u32_e64 s4, 4, v141
	ds_load_2addr_b32 v[129:130], v135 offset1:17
	ds_load_2addr_b32 v[131:132], v135 offset0:34 offset1:51
	ds_load_2addr_b32 v[133:134], v135 offset0:68 offset1:85
	;; [unrolled: 1-line block ×3, first 2 shown]
	v_cmp_eq_u32_e64 s5, 5, v141
	v_cmp_eq_u32_e64 s6, 7, v141
	s_waitcnt lgkmcnt(3)
	v_max3_f32 v136, v129, 0xff7fffff, v130
	s_waitcnt lgkmcnt(2)
	s_delay_alu instid0(VALU_DEP_1) | instskip(SKIP_1) | instid1(VALU_DEP_1)
	v_max3_f32 v136, v136, v131, v132
	s_waitcnt lgkmcnt(1)
	v_max3_f32 v136, v136, v133, v134
	s_waitcnt lgkmcnt(0)
	s_delay_alu instid0(VALU_DEP_1) | instskip(NEXT) | instid1(VALU_DEP_1)
	v_max3_f32 v136, v136, v159, v160
	v_sub_f32_e32 v142, v130, v136
	ds_load_2addr_b32 v[161:162], v135 offset0:136 offset1:153
	v_sub_f32_e32 v164, v132, v136
	v_mul_f32_e32 v142, 0x3fb8aa3b, v142
	s_delay_alu instid0(VALU_DEP_2) | instskip(NEXT) | instid1(VALU_DEP_2)
	v_mul_f32_e32 v164, 0x3fb8aa3b, v164
	v_exp_f32_e32 v166, v142
	v_sub_f32_e32 v129, v129, v136
	s_delay_alu instid0(VALU_DEP_2) | instskip(NEXT) | instid1(VALU_DEP_1)
	v_exp_f32_e32 v164, v164
	v_mul_f32_e32 v163, 0x3fb8aa3b, v129
	ds_load_2addr_b32 v[129:130], v135 offset0:170 offset1:187
	v_exp_f32_e32 v163, v163
	s_waitcnt lgkmcnt(1)
	s_waitcnt_depctr 0xfff
	v_fma_f32 v142, v163, v161, 0
	v_sub_f32_e32 v161, v134, v136
	s_delay_alu instid0(VALU_DEP_2) | instskip(NEXT) | instid1(VALU_DEP_1)
	v_dual_fmac_f32 v142, v166, v162 :: v_dual_sub_f32 v131, v131, v136
	v_mul_f32_e32 v165, 0x3fb8aa3b, v131
	ds_load_2addr_b32 v[131:132], v135 offset0:204 offset1:221
	v_exp_f32_e32 v165, v165
	s_waitcnt lgkmcnt(1)
	s_waitcnt_depctr 0xfff
	v_fmac_f32_e32 v142, v165, v129
	v_sub_f32_e32 v133, v133, v136
	v_sub_f32_e32 v129, v160, v136
	s_delay_alu instid0(VALU_DEP_2) | instskip(NEXT) | instid1(VALU_DEP_2)
	v_dual_fmac_f32 v142, v164, v130 :: v_dual_mul_f32 v167, 0x3fb8aa3b, v133
	v_mul_f32_e32 v129, 0x3fb8aa3b, v129
	ds_load_2addr_b32 v[133:134], v135 offset0:238 offset1:255
	v_cndmask_b32_e32 v130, v163, v166, vcc_lo
	s_waitcnt lgkmcnt(0)
	s_barrier
	v_exp_f32_e32 v162, v129
	v_sub_f32_e32 v135, v159, v136
	v_mul_f32_e32 v159, 0x3fb8aa3b, v161
	v_exp_f32_e32 v161, v167
	buffer_gl0_inv
	v_exp_f32_e32 v159, v159
	v_fmac_f32_e32 v142, v161, v131
	s_waitcnt_depctr 0xfff
	v_dual_mul_f32 v135, 0x3fb8aa3b, v135 :: v_dual_fmac_f32 v142, v159, v132
	s_delay_alu instid0(VALU_DEP_1) | instskip(SKIP_2) | instid1(VALU_DEP_1)
	v_exp_f32_e32 v160, v135
	s_waitcnt_depctr 0xfff
	v_dual_fmac_f32 v142, v160, v133 :: v_dual_lshlrev_b32 v133, 6, v140
	v_fmac_f32_e32 v142, v162, v134
	s_delay_alu instid0(VALU_DEP_2) | instskip(NEXT) | instid1(VALU_DEP_2)
	v_lshl_or_b32 v135, v141, 11, v133
	v_add_f32_e32 v134, 0x358637bd, v142
	s_delay_alu instid0(VALU_DEP_1) | instskip(SKIP_1) | instid1(VALU_DEP_2)
	v_div_scale_f32 v167, null, v134, v134, 1.0
	v_div_scale_f32 v163, vcc_lo, 1.0, v134, 1.0
	v_rcp_f32_e32 v168, v167
	s_waitcnt_depctr 0xfff
	v_fma_f32 v129, -v167, v168, 1.0
	s_delay_alu instid0(VALU_DEP_1) | instskip(SKIP_2) | instid1(VALU_DEP_2)
	v_fmac_f32_e32 v168, v129, v168
	v_cndmask_b32_e64 v129, v130, v165, s2
	v_cmp_eq_u32_e64 s2, 6, v141
	v_cndmask_b32_e64 v130, v129, v164, s3
	v_lshlrev_b32_e32 v129, 2, v138
	v_mul_f32_e32 v165, v163, v168
	s_delay_alu instid0(VALU_DEP_3) | instskip(NEXT) | instid1(VALU_DEP_3)
	v_cndmask_b32_e64 v161, v130, v161, s4
	v_or_b32_e32 v130, 1, v129
	s_delay_alu instid0(VALU_DEP_3)
	v_fma_f32 v131, -v167, v165, v163
	v_or_b32_e32 v132, 2, v129
	v_cmp_eq_u32_e64 s3, 1, v129
	v_cndmask_b32_e64 v141, v161, v159, s5
	v_cmp_eq_u32_e64 s8, 1, v130
	v_fmac_f32_e32 v165, v131, v168
	v_or_b32_e32 v131, 3, v129
	v_cmp_eq_u32_e64 s9, 1, v132
	v_cndmask_b32_e64 v141, v141, v160, s2
	v_cmp_eq_u32_e64 s4, 2, v129
	v_fma_f32 v159, -v167, v165, v163
	v_cmp_eq_u32_e64 s10, 1, v131
	v_cmp_eq_u32_e64 s15, 2, v131
	v_cndmask_b32_e64 v141, v141, v162, s6
	v_cmp_eq_u32_e64 s11, 2, v130
	v_div_fmas_f32 v159, v159, v168, v165
	v_cmp_eq_u32_e64 s17, 3, v131
	v_cmp_eq_u32_e32 vcc_lo, 3, v129
	v_cmp_eq_u32_e64 s12, 3, v130
	v_cmp_eq_u32_e64 s13, 2, v132
	v_div_fixup_f32 v159, v159, v134, 1.0
	v_lshl_or_b32 v134, v138, 4, v135
	v_cmp_eq_u32_e64 s21, 4, v131
	v_cmp_eq_u32_e64 s2, 4, v129
	;; [unrolled: 1-line block ×3, first 2 shown]
	v_mul_f32_e32 v141, v141, v159
	v_cmp_eq_u32_e64 s18, 4, v130
	v_cmp_eq_u32_e64 s23, 5, v131
	;; [unrolled: 1-line block ×4, first 2 shown]
	v_fma_mixlo_f16 v159, v141, v144, 0
	v_fma_mixlo_f16 v160, v141, v146, 0
	;; [unrolled: 1-line block ×8, first 2 shown]
	v_fma_mixhi_f16 v159, v141, v143, 0
	v_fma_mixhi_f16 v160, v141, v145, 0
	;; [unrolled: 1-line block ×8, first 2 shown]
	ds_store_b128 v134, v[159:162]
	ds_store_b128 v134, v[163:166] offset:1024
	s_waitcnt lgkmcnt(0)
	s_barrier
	buffer_gl0_inv
	ds_load_b128 v[143:146], v135
	ds_load_b128 v[147:150], v135 offset:16
	ds_load_b128 v[151:154], v135 offset:1024
	;; [unrolled: 1-line block ×3, first 2 shown]
	v_cmp_eq_u32_e64 s20, 4, v132
	v_cmp_eq_u32_e64 s26, 6, v131
	;; [unrolled: 1-line block ×10, first 2 shown]
	s_waitcnt lgkmcnt(3)
	v_lshrrev_b32_e32 v141, 16, v143
	s_waitcnt lgkmcnt(2)
	v_lshrrev_b32_e32 v162, 16, v147
	v_lshrrev_b32_e32 v159, 16, v144
	;; [unrolled: 1-line block ×3, first 2 shown]
	s_waitcnt lgkmcnt(1)
	v_lshrrev_b32_e32 v166, 16, v151
	v_cndmask_b32_e64 v174, v143, v141, s3
	v_cndmask_b32_e64 v176, v143, v141, s8
	;; [unrolled: 1-line block ×5, first 2 shown]
	s_waitcnt lgkmcnt(0)
	v_lshrrev_b32_e32 v170, 16, v155
	v_cndmask_b32_e64 v175, v147, v162, s3
	v_cndmask_b32_e64 v177, v147, v162, s8
	;; [unrolled: 1-line block ×19, first 2 shown]
	v_lshrrev_b32_e32 v160, 16, v145
	v_lshrrev_b32_e32 v164, 16, v149
	;; [unrolled: 1-line block ×4, first 2 shown]
	v_cndmask_b32_e64 v176, v178, v144, s13
	v_cndmask_b32_e64 v177, v179, v148, s13
	;; [unrolled: 1-line block ×8, first 2 shown]
	v_cndmask_b32_e32 v155, v166, v159, vcc_lo
	v_cndmask_b32_e32 v166, v170, v163, vcc_lo
	v_cndmask_b32_e64 v170, v174, v159, s12
	v_cndmask_b32_e64 v174, v175, v163, s12
	;; [unrolled: 1-line block ×6, first 2 shown]
	v_cndmask_b32_e32 v144, v144, v167, vcc_lo
	v_cndmask_b32_e32 v147, v147, v171, vcc_lo
	v_cndmask_b32_e64 v148, v148, v167, s12
	v_cndmask_b32_e64 v155, v155, v145, s2
	v_cndmask_b32_e64 v159, v166, v149, s2
	v_cndmask_b32_e64 v163, v170, v145, s18
	v_cndmask_b32_e64 v166, v174, v149, s18
	v_cndmask_b32_e64 v141, v141, v160, s23
	v_cndmask_b32_e64 v143, v143, v164, s23
	v_lshrrev_b32_e32 v161, 16, v146
	v_lshrrev_b32_e32 v165, 16, v150
	;; [unrolled: 1-line block ×4, first 2 shown]
	v_cndmask_b32_e64 v170, v175, v145, s20
	v_cndmask_b32_e64 v174, v176, v149, s20
	;; [unrolled: 1-line block ×22, first 2 shown]
	v_lshrrev_b32_e32 v169, 16, v154
	v_cndmask_b32_e64 v160, v163, v146, s25
	v_cndmask_b32_e64 v163, v166, v150, s25
	;; [unrolled: 1-line block ×9, first 2 shown]
	v_perm_b32 v146, v143, v141, 0x5040100
	v_cndmask_b32_e64 v141, v183, v156, s13
	v_cndmask_b32_e64 v143, v181, v156, s11
	;; [unrolled: 1-line block ×4, first 2 shown]
	v_perm_b32 v144, v159, v149, 0x5040100
	v_cndmask_b32_e64 v149, v162, v167, s16
	v_cndmask_b32_e64 v151, v151, v167, s17
	;; [unrolled: 1-line block ×15, first 2 shown]
	v_lshrrev_b32_e32 v173, 16, v158
	v_cndmask_b32_e64 v149, v149, v154, s25
	v_cndmask_b32_e64 v151, v151, v154, s26
	;; [unrolled: 1-line block ×13, first 2 shown]
	v_perm_b32 v145, v160, v155, 0x5040100
	v_perm_b32 v143, v148, v147, 0x5040100
	v_perm_b32 v150, v152, v151, 0x5040100
	v_perm_b32 v149, v141, v149, 0x5040100
	v_perm_b32 v148, v153, v163, 0x5040100
	v_perm_b32 v147, v154, v161, 0x5040100
	s_mul_i32 s6, s33, 12
	s_mov_b32 s2, exec_lo
	ds_store_b128 v134, v[143:146]
	ds_store_b128 v134, v[147:150] offset:1024
	v_cmpx_gt_u32_e32 12, v0
	s_cbranch_execz .LBB205_14
; %bb.13:
	s_mul_i32 s3, s6, s30
	s_load_b128 s[8:11], s[0:1], 0x58
	v_add3_u32 v143, s3, s31, v140
	s_delay_alu instid0(VALU_DEP_1) | instskip(NEXT) | instid1(VALU_DEP_1)
	v_mad_u64_u32 v[140:141], null, v143, s34, s[14:15]
	v_ashrrev_i32_e32 v141, 31, v140
	s_delay_alu instid0(VALU_DEP_1) | instskip(SKIP_1) | instid1(VALU_DEP_1)
	v_lshlrev_b64 v[140:141], 2, v[140:141]
	s_waitcnt lgkmcnt(0)
	v_add_co_u32 v143, vcc_lo, s10, v140
	s_delay_alu instid0(VALU_DEP_2)
	v_add_co_ci_u32_e32 v144, vcc_lo, s11, v141, vcc_lo
	v_add_co_u32 v140, vcc_lo, s8, v140
	v_add_co_ci_u32_e32 v141, vcc_lo, s9, v141, vcc_lo
	global_store_b32 v[143:144], v136, off
	global_store_b32 v[140:141], v142, off
.LBB205_14:
	s_or_b32 exec_lo, exec_lo, s2
	s_waitcnt lgkmcnt(0)
	s_waitcnt_vscnt null, 0x0
	s_barrier
	buffer_gl0_inv
	ds_load_b128 v[148:151], v133
	ds_load_b128 v[152:155], v133 offset:16
	ds_load_b128 v[160:163], v133 offset:1040
	;; [unrolled: 1-line block ×5, first 2 shown]
	v_cmp_eq_u32_e32 vcc_lo, 1, v132
	v_mov_b32_e32 v140, 0
	ds_load_b128 v[176:179], v133 offset:3088
	ds_load_b128 v[172:175], v133 offset:3072
	ds_load_b128 v[184:187], v133 offset:4112
	ds_load_b128 v[180:183], v133 offset:4096
	v_cmp_eq_u32_e64 s2, 1, v129
	v_cmp_eq_u32_e64 s3, 1, v131
	;; [unrolled: 1-line block ×3, first 2 shown]
	v_mov_b32_e32 v141, v140
	v_mov_b32_e32 v142, v140
	;; [unrolled: 1-line block ×7, first 2 shown]
	v_cmp_eq_u32_e64 s5, 2, v129
	s_waitcnt lgkmcnt(8)
	s_delay_alu instid0(VALU_DEP_2)
	v_wmma_f32_16x16x16_f16 v[140:147], v[121:128], v[148:155], v[140:147]
	ds_load_b128 v[125:128], v133 offset:5136
	ds_load_b128 v[121:124], v133 offset:5120
	s_waitcnt lgkmcnt(8)
	v_wmma_f32_16x16x16_f16 v[140:147], v[113:120], v[156:163], v[140:147]
	ds_load_b128 v[117:120], v133 offset:6160
	ds_load_b128 v[113:116], v133 offset:6144
	s_waitcnt lgkmcnt(8)
	;; [unrolled: 4-line block ×11, first 2 shown]
	s_barrier
	buffer_gl0_inv
	v_wmma_f32_16x16x16_f16 v[140:147], v[1:8], v[73:80], v[140:147]
	s_delay_alu instid0(VALU_DEP_1) | instskip(NEXT) | instid1(VALU_DEP_1)
	v_wmma_f32_16x16x16_f16 v[140:147], v[9:16], v[65:72], v[140:147]
	v_wmma_f32_16x16x16_f16 v[140:147], v[33:40], v[57:64], v[140:147]
	s_delay_alu instid0(VALU_DEP_1) | instskip(NEXT) | instid1(VALU_DEP_1)
	v_wmma_f32_16x16x16_f16 v[140:147], v[41:48], v[49:56], v[140:147]
	v_wmma_f32_16x16x16_f16 v[140:147], v[17:24], v[25:32], v[140:147]
	s_delay_alu instid0(VALU_DEP_1) | instskip(NEXT) | instid1(VALU_DEP_2)
	v_cvt_f16_f32_e64 v1, v140
	v_cvt_f16_f32_e64 v2, v141
	s_delay_alu instid0(VALU_DEP_3) | instskip(NEXT) | instid1(VALU_DEP_4)
	v_cvt_f16_f32_e64 v3, v142
	v_cvt_f16_f32_e64 v4, v143
	;; [unrolled: 1-line block ×6, first 2 shown]
	v_pack_b32_f16 v1, v1, v2
	v_pack_b32_f16 v2, v3, v4
	;; [unrolled: 1-line block ×3, first 2 shown]
	s_delay_alu instid0(VALU_DEP_4)
	v_pack_b32_f16 v4, v7, v8
	ds_store_b128 v134, v[1:4]
	s_waitcnt lgkmcnt(0)
	s_barrier
	buffer_gl0_inv
	ds_load_b128 v[1:4], v135
	ds_load_b128 v[5:8], v135 offset:16
	s_waitcnt lgkmcnt(1)
	v_lshrrev_b32_e32 v9, 16, v1
	s_waitcnt lgkmcnt(0)
	v_lshrrev_b32_e32 v13, 16, v5
	v_lshrrev_b32_e32 v10, 16, v2
	;; [unrolled: 1-line block ×4, first 2 shown]
	v_cndmask_b32_e64 v17, v1, v9, s2
	v_cndmask_b32_e64 v18, v5, v13, s2
	;; [unrolled: 1-line block ×3, first 2 shown]
	v_cmp_eq_u32_e64 s2, 2, v130
	v_cndmask_b32_e64 v20, v5, v13, s4
	v_cndmask_b32_e32 v21, v1, v9, vcc_lo
	v_cndmask_b32_e32 v22, v5, v13, vcc_lo
	v_cndmask_b32_e64 v1, v1, v9, s3
	v_cndmask_b32_e64 v5, v5, v13, s3
	v_cmp_eq_u32_e32 vcc_lo, 2, v132
	v_cmp_eq_u32_e64 s3, 2, v131
	v_cndmask_b32_e64 v9, v17, v2, s5
	v_cndmask_b32_e64 v13, v18, v6, s5
	;; [unrolled: 1-line block ×4, first 2 shown]
	v_cndmask_b32_e32 v19, v21, v2, vcc_lo
	v_cmp_eq_u32_e64 s2, 3, v132
	v_cndmask_b32_e32 v20, v22, v6, vcc_lo
	v_cndmask_b32_e64 v1, v1, v2, s3
	v_cmp_eq_u32_e32 vcc_lo, 3, v131
	v_cmp_eq_u32_e64 s4, 3, v129
	v_cndmask_b32_e64 v2, v5, v6, s3
	v_cmp_eq_u32_e64 s3, 3, v130
	v_cmp_eq_u32_e64 s5, 4, v129
	v_cndmask_b32_e32 v1, v1, v10, vcc_lo
	v_cndmask_b32_e64 v5, v9, v10, s4
	v_cndmask_b32_e64 v6, v13, v14, s4
	;; [unrolled: 1-line block ×3, first 2 shown]
	v_cmp_eq_u32_e64 s4, 4, v130
	v_cndmask_b32_e64 v13, v18, v14, s3
	v_cndmask_b32_e64 v17, v19, v10, s2
	;; [unrolled: 1-line block ×3, first 2 shown]
	v_cndmask_b32_e32 v2, v2, v14, vcc_lo
	v_cmp_eq_u32_e32 vcc_lo, 4, v132
	v_cmp_eq_u32_e64 s3, 4, v131
	v_lshrrev_b32_e32 v15, 16, v7
	v_cndmask_b32_e64 v5, v5, v3, s5
	v_cndmask_b32_e64 v6, v6, v7, s5
	v_cndmask_b32_e32 v14, v18, v7, vcc_lo
	v_cndmask_b32_e64 v9, v9, v3, s4
	v_cndmask_b32_e64 v10, v13, v7, s4
	v_cndmask_b32_e32 v13, v17, v3, vcc_lo
	v_cmp_eq_u32_e64 s2, 5, v132
	v_cndmask_b32_e64 v1, v1, v3, s3
	v_cmp_eq_u32_e32 vcc_lo, 5, v131
	v_cmp_eq_u32_e64 s4, 5, v129
	v_cndmask_b32_e64 v2, v2, v7, s3
	v_cmp_eq_u32_e64 s3, 5, v130
	v_cmp_eq_u32_e64 s5, 6, v129
	v_lshrrev_b32_e32 v12, 16, v4
	v_cndmask_b32_e64 v3, v5, v11, s4
	v_cndmask_b32_e64 v5, v6, v15, s4
	v_cndmask_b32_e64 v6, v9, v11, s3
	v_cmp_eq_u32_e64 s4, 6, v130
	v_cndmask_b32_e64 v7, v10, v15, s3
	v_cndmask_b32_e64 v9, v13, v11, s2
	;; [unrolled: 1-line block ×3, first 2 shown]
	v_cndmask_b32_e32 v1, v1, v11, vcc_lo
	v_cndmask_b32_e32 v2, v2, v15, vcc_lo
	v_cmp_eq_u32_e32 vcc_lo, 6, v132
	v_cmp_eq_u32_e64 s2, 6, v131
	v_lshrrev_b32_e32 v16, 16, v8
	v_cndmask_b32_e64 v3, v3, v4, s5
	v_cndmask_b32_e64 v5, v5, v8, s5
	v_cndmask_b32_e32 v9, v9, v4, vcc_lo
	v_cndmask_b32_e64 v6, v6, v4, s4
	v_cndmask_b32_e64 v7, v7, v8, s4
	v_cmp_eq_u32_e64 s3, 7, v132
	v_cndmask_b32_e32 v10, v10, v8, vcc_lo
	v_cndmask_b32_e64 v1, v1, v4, s2
	v_cmp_eq_u32_e32 vcc_lo, 7, v131
	v_cndmask_b32_e64 v2, v2, v8, s2
	v_cmp_eq_u32_e64 s2, 7, v129
	v_cmp_eq_u32_e64 s4, 7, v130
	v_cndmask_b32_e32 v1, v1, v12, vcc_lo
	s_delay_alu instid0(VALU_DEP_4) | instskip(NEXT) | instid1(VALU_DEP_4)
	v_cndmask_b32_e32 v2, v2, v16, vcc_lo
	v_cndmask_b32_e64 v8, v3, v12, s2
	s_delay_alu instid0(VALU_DEP_4)
	v_cndmask_b32_e64 v6, v6, v12, s4
	v_cndmask_b32_e64 v3, v9, v12, s3
	;; [unrolled: 1-line block ×5, first 2 shown]
	v_perm_b32 v4, v2, v1, 0x5040100
	s_mov_b32 s2, exec_lo
	v_perm_b32 v3, v9, v3, 0x5040100
	v_perm_b32 v2, v7, v6, 0x5040100
	;; [unrolled: 1-line block ×3, first 2 shown]
	ds_store_b128 v134, v[1:4]
	s_waitcnt lgkmcnt(0)
	s_barrier
	buffer_gl0_inv
	v_cmpx_gt_u32_e32 32, v0
	s_cbranch_execz .LBB205_2
; %bb.15:
	s_load_b64 s[0:1], s[0:1], 0x68
	v_lshlrev_b32_e32 v0, 10, v0
	s_lshl_b32 s4, s34, 7
	v_or_b32_e32 v3, s31, v138
	s_mul_i32 s2, s4, s30
	v_lshlrev_b32_e32 v1, 4, v139
	s_mul_i32 s2, s2, s6
	v_lshlrev_b32_e32 v2, 6, v138
	v_and_b32_e32 v0, 0x3800, v0
	s_ashr_i32 s3, s2, 31
	v_mul_lo_u32 v4, v3, s4
	s_lshl_b64 s[2:3], s[2:3], 1
	s_delay_alu instid0(VALU_DEP_2) | instskip(NEXT) | instid1(VALU_DEP_2)
	v_or3_b32 v16, v0, v1, v2
	v_ashrrev_i32_e32 v5, 31, v4
	ds_load_b128 v[0:3], v16
	s_waitcnt lgkmcnt(0)
	s_add_u32 s2, s0, s2
	s_addc_u32 s3, s1, s3
	s_lshl_b32 s0, s14, 7
	v_lshlrev_b64 v[5:6], 1, v[4:5]
	s_ashr_i32 s1, s0, 31
	s_delay_alu instid0(SALU_CYCLE_1) | instskip(NEXT) | instid1(SALU_CYCLE_1)
	s_lshl_b64 s[0:1], s[0:1], 1
	s_add_u32 s0, s2, s0
	s_addc_u32 s1, s3, s1
	s_lshl_b32 s2, s34, 8
	v_add_co_u32 v30, s0, s0, v137
	v_add_nc_u32_e32 v8, s2, v4
	v_add_co_ci_u32_e64 v31, null, s1, 0, s0
	s_delay_alu instid0(VALU_DEP_3) | instskip(NEXT) | instid1(VALU_DEP_3)
	v_add_co_u32 v12, vcc_lo, v30, v5
	v_add_nc_u32_e32 v10, s2, v8
	v_ashrrev_i32_e32 v9, 31, v8
	s_delay_alu instid0(VALU_DEP_4)
	v_add_co_ci_u32_e32 v13, vcc_lo, v31, v6, vcc_lo
	ds_load_b128 v[4:7], v16 offset:128
	v_ashrrev_i32_e32 v11, 31, v10
	v_lshlrev_b64 v[8:9], 1, v[8:9]
	v_add_nc_u32_e32 v14, s2, v10
	global_store_b128 v[12:13], v[0:3], off
	v_lshlrev_b64 v[0:1], 1, v[10:11]
	v_ashrrev_i32_e32 v15, 31, v14
	v_add_co_u32 v22, vcc_lo, v30, v8
	v_add_nc_u32_e32 v20, s2, v14
	v_add_co_ci_u32_e32 v23, vcc_lo, v31, v9, vcc_lo
	v_add_co_u32 v26, vcc_lo, v30, v0
	v_lshlrev_b64 v[24:25], 1, v[14:15]
	v_add_co_ci_u32_e32 v27, vcc_lo, v31, v1, vcc_lo
	ds_load_b128 v[0:3], v16 offset:256
	ds_load_b128 v[8:11], v16 offset:384
	;; [unrolled: 1-line block ×4, first 2 shown]
	v_add_nc_u32_e32 v28, s2, v20
	v_ashrrev_i32_e32 v21, 31, v20
	v_add_co_u32 v24, vcc_lo, v30, v24
	v_add_co_ci_u32_e32 v25, vcc_lo, v31, v25, vcc_lo
	s_delay_alu instid0(VALU_DEP_4) | instskip(NEXT) | instid1(VALU_DEP_4)
	v_ashrrev_i32_e32 v29, 31, v28
	v_lshlrev_b64 v[20:21], 1, v[20:21]
	s_delay_alu instid0(VALU_DEP_2) | instskip(NEXT) | instid1(VALU_DEP_2)
	v_lshlrev_b64 v[28:29], 1, v[28:29]
	v_add_co_u32 v20, vcc_lo, v30, v20
	s_delay_alu instid0(VALU_DEP_3) | instskip(NEXT) | instid1(VALU_DEP_3)
	v_add_co_ci_u32_e32 v21, vcc_lo, v31, v21, vcc_lo
	v_add_co_u32 v28, vcc_lo, v30, v28
	s_delay_alu instid0(VALU_DEP_4)
	v_add_co_ci_u32_e32 v29, vcc_lo, v31, v29, vcc_lo
	s_waitcnt lgkmcnt(4)
	global_store_b128 v[22:23], v[4:7], off
	s_waitcnt lgkmcnt(3)
	global_store_b128 v[26:27], v[0:3], off
	;; [unrolled: 2-line block ×5, first 2 shown]
	s_nop 0
	s_sendmsg sendmsg(MSG_DEALLOC_VGPRS)
	s_endpgm
	.section	.rodata,"a",@progbits
	.p2align	6, 0x0
	.amdhsa_kernel _Z39paged_attention_ll4mi_QKV_mfma16_kernelIDF16_DF16_LN4vllm18Fp8KVCacheDataTypeE0EhLi16ELi128ELi256ELb1ELi12EL8MFMAType0EEvPKT_PKT0_S8_ifPKiSA_SA_iPKfiiiPfSD_PS3_PT2_iSC_SC_
		.amdhsa_group_segment_fixed_size 17472
		.amdhsa_private_segment_fixed_size 0
		.amdhsa_kernarg_size 400
		.amdhsa_user_sgpr_count 13
		.amdhsa_user_sgpr_dispatch_ptr 0
		.amdhsa_user_sgpr_queue_ptr 0
		.amdhsa_user_sgpr_kernarg_segment_ptr 1
		.amdhsa_user_sgpr_dispatch_id 0
		.amdhsa_user_sgpr_private_segment_size 0
		.amdhsa_wavefront_size32 1
		.amdhsa_uses_dynamic_stack 0
		.amdhsa_enable_private_segment 0
		.amdhsa_system_sgpr_workgroup_id_x 1
		.amdhsa_system_sgpr_workgroup_id_y 1
		.amdhsa_system_sgpr_workgroup_id_z 1
		.amdhsa_system_sgpr_workgroup_info 0
		.amdhsa_system_vgpr_workitem_id 0
		.amdhsa_next_free_vgpr 218
		.amdhsa_next_free_sgpr 52
		.amdhsa_reserve_vcc 1
		.amdhsa_float_round_mode_32 0
		.amdhsa_float_round_mode_16_64 0
		.amdhsa_float_denorm_mode_32 3
		.amdhsa_float_denorm_mode_16_64 3
		.amdhsa_dx10_clamp 1
		.amdhsa_ieee_mode 1
		.amdhsa_fp16_overflow 0
		.amdhsa_workgroup_processor_mode 1
		.amdhsa_memory_ordered 1
		.amdhsa_forward_progress 0
		.amdhsa_shared_vgpr_count 0
		.amdhsa_exception_fp_ieee_invalid_op 0
		.amdhsa_exception_fp_denorm_src 0
		.amdhsa_exception_fp_ieee_div_zero 0
		.amdhsa_exception_fp_ieee_overflow 0
		.amdhsa_exception_fp_ieee_underflow 0
		.amdhsa_exception_fp_ieee_inexact 0
		.amdhsa_exception_int_div_zero 0
	.end_amdhsa_kernel
	.section	.text._Z39paged_attention_ll4mi_QKV_mfma16_kernelIDF16_DF16_LN4vllm18Fp8KVCacheDataTypeE0EhLi16ELi128ELi256ELb1ELi12EL8MFMAType0EEvPKT_PKT0_S8_ifPKiSA_SA_iPKfiiiPfSD_PS3_PT2_iSC_SC_,"axG",@progbits,_Z39paged_attention_ll4mi_QKV_mfma16_kernelIDF16_DF16_LN4vllm18Fp8KVCacheDataTypeE0EhLi16ELi128ELi256ELb1ELi12EL8MFMAType0EEvPKT_PKT0_S8_ifPKiSA_SA_iPKfiiiPfSD_PS3_PT2_iSC_SC_,comdat
.Lfunc_end205:
	.size	_Z39paged_attention_ll4mi_QKV_mfma16_kernelIDF16_DF16_LN4vllm18Fp8KVCacheDataTypeE0EhLi16ELi128ELi256ELb1ELi12EL8MFMAType0EEvPKT_PKT0_S8_ifPKiSA_SA_iPKfiiiPfSD_PS3_PT2_iSC_SC_, .Lfunc_end205-_Z39paged_attention_ll4mi_QKV_mfma16_kernelIDF16_DF16_LN4vllm18Fp8KVCacheDataTypeE0EhLi16ELi128ELi256ELb1ELi12EL8MFMAType0EEvPKT_PKT0_S8_ifPKiSA_SA_iPKfiiiPfSD_PS3_PT2_iSC_SC_
                                        ; -- End function
	.section	.AMDGPU.csdata,"",@progbits
; Kernel info:
; codeLenInByte = 8168
; NumSgprs: 54
; NumVgprs: 218
; ScratchSize: 0
; MemoryBound: 0
; FloatMode: 240
; IeeeMode: 1
; LDSByteSize: 17472 bytes/workgroup (compile time only)
; SGPRBlocks: 6
; VGPRBlocks: 27
; NumSGPRsForWavesPerEU: 54
; NumVGPRsForWavesPerEU: 218
; Occupancy: 6
; WaveLimiterHint : 1
; COMPUTE_PGM_RSRC2:SCRATCH_EN: 0
; COMPUTE_PGM_RSRC2:USER_SGPR: 13
; COMPUTE_PGM_RSRC2:TRAP_HANDLER: 0
; COMPUTE_PGM_RSRC2:TGID_X_EN: 1
; COMPUTE_PGM_RSRC2:TGID_Y_EN: 1
; COMPUTE_PGM_RSRC2:TGID_Z_EN: 1
; COMPUTE_PGM_RSRC2:TIDIG_COMP_CNT: 0
	.section	.text._Z39paged_attention_ll4mi_QKV_mfma16_kernelIDF16_DF16_LN4vllm18Fp8KVCacheDataTypeE0EhLi16ELi128ELi256ELb1ELi13EL8MFMAType0EEvPKT_PKT0_S8_ifPKiSA_SA_iPKfiiiPfSD_PS3_PT2_iSC_SC_,"axG",@progbits,_Z39paged_attention_ll4mi_QKV_mfma16_kernelIDF16_DF16_LN4vllm18Fp8KVCacheDataTypeE0EhLi16ELi128ELi256ELb1ELi13EL8MFMAType0EEvPKT_PKT0_S8_ifPKiSA_SA_iPKfiiiPfSD_PS3_PT2_iSC_SC_,comdat
	.protected	_Z39paged_attention_ll4mi_QKV_mfma16_kernelIDF16_DF16_LN4vllm18Fp8KVCacheDataTypeE0EhLi16ELi128ELi256ELb1ELi13EL8MFMAType0EEvPKT_PKT0_S8_ifPKiSA_SA_iPKfiiiPfSD_PS3_PT2_iSC_SC_ ; -- Begin function _Z39paged_attention_ll4mi_QKV_mfma16_kernelIDF16_DF16_LN4vllm18Fp8KVCacheDataTypeE0EhLi16ELi128ELi256ELb1ELi13EL8MFMAType0EEvPKT_PKT0_S8_ifPKiSA_SA_iPKfiiiPfSD_PS3_PT2_iSC_SC_
	.globl	_Z39paged_attention_ll4mi_QKV_mfma16_kernelIDF16_DF16_LN4vllm18Fp8KVCacheDataTypeE0EhLi16ELi128ELi256ELb1ELi13EL8MFMAType0EEvPKT_PKT0_S8_ifPKiSA_SA_iPKfiiiPfSD_PS3_PT2_iSC_SC_
	.p2align	8
	.type	_Z39paged_attention_ll4mi_QKV_mfma16_kernelIDF16_DF16_LN4vllm18Fp8KVCacheDataTypeE0EhLi16ELi128ELi256ELb1ELi13EL8MFMAType0EEvPKT_PKT0_S8_ifPKiSA_SA_iPKfiiiPfSD_PS3_PT2_iSC_SC_,@function
_Z39paged_attention_ll4mi_QKV_mfma16_kernelIDF16_DF16_LN4vllm18Fp8KVCacheDataTypeE0EhLi16ELi128ELi256ELb1ELi13EL8MFMAType0EEvPKT_PKT0_S8_ifPKiSA_SA_iPKfiiiPfSD_PS3_PT2_iSC_SC_: ; @_Z39paged_attention_ll4mi_QKV_mfma16_kernelIDF16_DF16_LN4vllm18Fp8KVCacheDataTypeE0EhLi16ELi128ELi256ELb1ELi13EL8MFMAType0EEvPKT_PKT0_S8_ifPKiSA_SA_iPKfiiiPfSD_PS3_PT2_iSC_SC_
; %bb.0:
	s_load_b64 s[4:5], s[0:1], 0x30
	s_mov_b32 s34, s13
	s_waitcnt lgkmcnt(0)
	s_cmp_lg_u64 s[4:5], 0
	s_cselect_b32 s8, -1, 0
	s_ashr_i32 s35, s13, 31
	s_cmp_eq_u64 s[4:5], 0
	s_cbranch_scc1 .LBB206_3
; %bb.1:
	s_lshl_b64 s[2:3], s[34:35], 2
	s_delay_alu instid0(SALU_CYCLE_1) | instskip(SKIP_4) | instid1(SALU_CYCLE_1)
	s_add_u32 s2, s4, s2
	s_addc_u32 s3, s5, s3
	s_load_b64 s[2:3], s[2:3], 0x0
	s_waitcnt lgkmcnt(0)
	s_sub_i32 s2, s3, s2
	s_cmp_eq_u32 s2, 1
	s_cselect_b32 s2, -1, 0
	s_delay_alu instid0(SALU_CYCLE_1)
	s_and_not1_b32 vcc_lo, exec_lo, s2
	s_cbranch_vccz .LBB206_4
.LBB206_2:
	s_nop 0
	s_sendmsg sendmsg(MSG_DEALLOC_VGPRS)
	s_endpgm
.LBB206_3:
.LBB206_4:
	s_load_b64 s[2:3], s[0:1], 0x28
	s_lshl_b64 s[6:7], s[34:35], 2
	s_waitcnt lgkmcnt(0)
	s_add_u32 s2, s2, s6
	s_addc_u32 s3, s3, s7
	s_lshl_b32 s29, s14, 8
	s_load_b32 s28, s[2:3], 0x0
	s_waitcnt lgkmcnt(0)
	s_cmp_ge_i32 s29, s28
	s_cbranch_scc1 .LBB206_2
; %bb.5:
	s_clause 0x1
	s_load_b128 s[20:23], s[0:1], 0x8
	s_load_b64 s[2:3], s[0:1], 0x20
	s_and_not1_b32 vcc_lo, exec_lo, s8
	s_cbranch_vccnz .LBB206_7
; %bb.6:
	s_add_u32 s4, s4, s6
	s_addc_u32 s5, s5, s7
	s_load_b32 s5, s[4:5], 0x0
	s_branch .LBB206_8
.LBB206_7:
	s_mov_b32 s5, s34
.LBB206_8:
	s_load_b128 s[16:19], s[0:1], 0x48
	v_and_b32_e32 v140, 15, v0
	v_lshrrev_b32_e32 v141, 5, v0
	v_bfe_u32 v138, v0, 4, 1
	v_and_b32_e32 v142, 31, v0
	v_and_b32_e32 v139, 1, v0
	v_lshlrev_b32_e32 v2, 3, v140
	s_mul_i32 s31, s15, 13
	v_lshl_or_b32 v1, v141, 1, v138
	s_mov_b32 s4, exec_lo
	s_delay_alu instid0(VALU_DEP_2) | instskip(NEXT) | instid1(VALU_DEP_2)
	v_lshlrev_b32_e32 v137, 1, v2
	v_cmpx_gt_u32_e32 13, v1
	s_cbranch_execz .LBB206_10
; %bb.9:
	s_load_b64 s[6:7], s[0:1], 0x0
	v_add_lshl_u32 v2, v1, s31, 7
	s_waitcnt lgkmcnt(0)
	s_mul_hi_i32 s9, s5, s16
	s_mul_i32 s8, s5, s16
	v_lshlrev_b32_e32 v6, 10, v140
	s_lshl_b64 s[8:9], s[8:9], 1
	v_ashrrev_i32_e32 v3, 31, v2
	v_lshlrev_b32_e32 v1, 6, v1
	v_lshlrev_b32_e32 v7, 10, v139
	v_and_b32_e32 v6, 0x3800, v6
	s_delay_alu instid0(VALU_DEP_4) | instskip(NEXT) | instid1(VALU_DEP_2)
	v_lshlrev_b64 v[2:3], 1, v[2:3]
	v_or3_b32 v1, v6, v7, v1
	s_add_u32 s5, s6, s8
	s_addc_u32 s6, s7, s9
	s_delay_alu instid0(VALU_DEP_2) | instskip(NEXT) | instid1(VALU_DEP_3)
	v_add_co_u32 v2, vcc_lo, s5, v2
	v_add_co_ci_u32_e32 v3, vcc_lo, s6, v3, vcc_lo
	s_delay_alu instid0(VALU_DEP_2) | instskip(NEXT) | instid1(VALU_DEP_2)
	v_add_co_u32 v2, vcc_lo, v2, v137
	v_add_co_ci_u32_e32 v3, vcc_lo, 0, v3, vcc_lo
	global_load_b128 v[2:5], v[2:3], off
	s_waitcnt vmcnt(0)
	ds_store_b128 v1, v[2:5]
.LBB206_10:
	s_or_b32 exec_lo, exec_lo, s4
	v_and_b32_e32 v1, 0xef, v0
	s_waitcnt lgkmcnt(0)
	s_add_i32 s5, s28, 15
	s_clause 0x1
	s_load_b32 s4, s[0:1], 0x38
	s_load_b32 s33, s[0:1], 0x98
	s_ashr_i32 s6, s5, 31
	v_add_nc_u32_e32 v1, s29, v1
	s_lshr_b32 s6, s6, 28
	s_load_b32 s30, s[0:1], 0x1c
	s_add_i32 s5, s5, s6
	s_waitcnt lgkmcnt(0)
	v_ashrrev_i32_e32 v2, 31, v1
	v_cmp_gt_i32_e32 vcc_lo, s28, v1
	s_ashr_i32 s16, s5, 4
	s_barrier
	s_add_i32 s16, s16, -1
	v_lshrrev_b32_e32 v3, 28, v2
	v_or_b32_e32 v2, 16, v1
	buffer_gl0_inv
	v_add_nc_u32_e32 v105, -13, v140
	v_lshlrev_b32_e32 v106, 5, v140
	v_add_nc_u32_e32 v4, v1, v3
	v_add_nc_u32_e32 v3, v2, v3
	s_mul_i32 s4, s34, s4
	s_delay_alu instid0(SALU_CYCLE_1) | instskip(NEXT) | instid1(VALU_DEP_2)
	s_ashr_i32 s5, s4, 31
	v_ashrrev_i32_e32 v4, 4, v4
	s_delay_alu instid0(VALU_DEP_2)
	v_ashrrev_i32_e32 v3, 4, v3
	s_lshl_b64 s[4:5], s[4:5], 2
	v_lshl_or_b32 v125, v141, 9, v106
	s_add_u32 s35, s2, s4
	v_cndmask_b32_e32 v1, s16, v4, vcc_lo
	v_cmp_gt_i32_e32 vcc_lo, s28, v2
	s_addc_u32 s36, s3, s5
	s_mul_i32 s2, s15, s18
	s_delay_alu instid0(VALU_DEP_2) | instskip(SKIP_2) | instid1(SALU_CYCLE_1)
	v_ashrrev_i32_e32 v2, 31, v1
	v_cndmask_b32_e32 v3, s16, v3, vcc_lo
	s_ashr_i32 s3, s2, 31
	s_lshl_b64 s[2:3], s[2:3], 1
	s_delay_alu instid0(VALU_DEP_2) | instskip(NEXT) | instid1(VALU_DEP_2)
	v_lshlrev_b64 v[1:2], 2, v[1:2]
	v_ashrrev_i32_e32 v4, 31, v3
	s_add_u32 s24, s20, s2
	s_addc_u32 s25, s21, s3
	s_lshl_b32 s4, s14, 4
	s_delay_alu instid0(VALU_DEP_1) | instskip(SKIP_3) | instid1(VALU_DEP_3)
	v_lshlrev_b64 v[3:4], 2, v[3:4]
	v_add_co_u32 v1, vcc_lo, s35, v1
	v_add_co_ci_u32_e32 v2, vcc_lo, s36, v2, vcc_lo
	s_ashr_i32 s5, s4, 31
	v_add_co_u32 v3, vcc_lo, s35, v3
	s_delay_alu instid0(VALU_DEP_4)
	v_add_co_ci_u32_e32 v4, vcc_lo, s36, v4, vcc_lo
	s_lshl_b64 s[4:5], s[4:5], 2
	s_clause 0x1
	global_load_b32 v5, v[1:2], off
	global_load_b32 v6, v[3:4], off
	s_add_u32 s4, s35, s4
	s_addc_u32 s5, s36, s5
	s_or_b32 s6, s29, 16
	v_lshlrev_b32_e32 v3, 4, v0
	s_ashr_i32 s7, s6, 4
	s_cmp_lt_i32 s6, s28
	s_cselect_b32 s6, s7, s16
	s_delay_alu instid0(SALU_CYCLE_1) | instskip(NEXT) | instid1(SALU_CYCLE_1)
	s_ashr_i32 s7, s6, 31
	s_lshl_b64 s[6:7], s[6:7], 2
	s_delay_alu instid0(SALU_CYCLE_1) | instskip(SKIP_2) | instid1(SALU_CYCLE_1)
	s_add_u32 s6, s35, s6
	s_addc_u32 s7, s36, s7
	s_or_b32 s8, s29, 32
	s_ashr_i32 s9, s8, 4
	s_cmp_lt_i32 s8, s28
	s_cselect_b32 s8, s9, s16
	s_delay_alu instid0(SALU_CYCLE_1) | instskip(NEXT) | instid1(SALU_CYCLE_1)
	s_ashr_i32 s9, s8, 31
	s_lshl_b64 s[8:9], s[8:9], 2
	s_delay_alu instid0(SALU_CYCLE_1) | instskip(SKIP_2) | instid1(SALU_CYCLE_1)
	s_add_u32 s8, s35, s8
	s_addc_u32 s9, s36, s9
	s_or_b32 s10, s29, 48
	;; [unrolled: 10-line block ×4, first 2 shown]
	s_ashr_i32 s13, s12, 4
	s_cmp_lt_i32 s12, s28
	s_cselect_b32 s12, s13, s16
	s_delay_alu instid0(SALU_CYCLE_1) | instskip(NEXT) | instid1(SALU_CYCLE_1)
	s_ashr_i32 s13, s12, 31
	s_lshl_b64 s[12:13], s[12:13], 2
	s_delay_alu instid0(SALU_CYCLE_1)
	s_add_u32 s20, s35, s12
	s_addc_u32 s21, s36, s13
	s_clause 0x5
	s_load_b32 s37, s[4:5], 0x0
	s_load_b32 s27, s[6:7], 0x0
	;; [unrolled: 1-line block ×6, first 2 shown]
	s_waitcnt vmcnt(1)
	v_mad_i64_i32 v[1:2], null, v5, s17, 0
	v_and_b32_e32 v5, 0xf0, v3
	s_waitcnt vmcnt(0)
	v_mad_i64_i32 v[3:4], null, v6, s17, 0
	s_delay_alu instid0(VALU_DEP_2) | instskip(NEXT) | instid1(VALU_DEP_4)
	v_add_co_u32 v5, s4, s24, v5
	v_lshlrev_b64 v[1:2], 1, v[1:2]
	v_add_co_ci_u32_e64 v6, null, s25, 0, s4
	s_delay_alu instid0(VALU_DEP_4) | instskip(SKIP_1) | instid1(VALU_DEP_3)
	v_lshlrev_b64 v[3:4], 1, v[3:4]
	s_or_b32 s4, s29, 0x60
	v_add_co_u32 v121, vcc_lo, v5, v1
	s_delay_alu instid0(VALU_DEP_3) | instskip(NEXT) | instid1(VALU_DEP_3)
	v_add_co_ci_u32_e32 v122, vcc_lo, v6, v2, vcc_lo
	v_add_co_u32 v123, vcc_lo, v5, v3
	s_delay_alu instid0(VALU_DEP_4)
	v_add_co_ci_u32_e32 v124, vcc_lo, v6, v4, vcc_lo
	s_clause 0x19
	global_load_b128 v[89:92], v[121:122], off
	global_load_b128 v[93:96], v[121:122], off offset:256
	global_load_b128 v[97:100], v[123:124], off
	global_load_b128 v[101:104], v[123:124], off offset:256
	global_load_b128 v[81:84], v[121:122], off offset:512
	global_load_b128 v[85:88], v[121:122], off offset:768
	global_load_b128 v[73:76], v[123:124], off offset:512
	global_load_b128 v[77:80], v[123:124], off offset:768
	global_load_b128 v[65:68], v[121:122], off offset:1024
	global_load_b128 v[69:72], v[121:122], off offset:1280
	global_load_b128 v[57:60], v[123:124], off offset:1024
	global_load_b128 v[61:64], v[123:124], off offset:1280
	global_load_b128 v[49:52], v[121:122], off offset:1536
	global_load_b128 v[53:56], v[121:122], off offset:1792
	global_load_b128 v[25:28], v[123:124], off offset:1536
	global_load_b128 v[29:32], v[123:124], off offset:1792
	global_load_b128 v[1:4], v[121:122], off offset:2048
	global_load_b128 v[5:8], v[121:122], off offset:2304
	global_load_b128 v[9:12], v[123:124], off offset:2048
	global_load_b128 v[13:16], v[123:124], off offset:2304
	global_load_b128 v[33:36], v[121:122], off offset:2560
	global_load_b128 v[37:40], v[121:122], off offset:2816
	global_load_b128 v[41:44], v[123:124], off offset:2560
	global_load_b128 v[45:48], v[123:124], off offset:2816
	global_load_b128 v[17:20], v[121:122], off offset:3072
	global_load_b128 v[21:24], v[121:122], off offset:3328
	s_ashr_i32 s5, s4, 4
	s_cmp_lt_i32 s4, s28
	v_cmp_gt_u32_e32 vcc_lo, 13, v140
	s_cselect_b32 s4, s5, s16
	s_delay_alu instid0(SALU_CYCLE_1) | instskip(NEXT) | instid1(SALU_CYCLE_1)
	s_ashr_i32 s5, s4, 31
	s_lshl_b64 s[4:5], s[4:5], 2
	v_cndmask_b32_e32 v105, v105, v140, vcc_lo
	s_add_u32 s18, s35, s4
	s_addc_u32 s19, s36, s5
	s_or_b32 s4, s29, 0x70
	s_delay_alu instid0(SALU_CYCLE_1)
	s_ashr_i32 s5, s4, 4
	s_cmp_lt_i32 s4, s28
	v_lshlrev_b32_e32 v215, 6, v105
	s_cselect_b32 s6, s5, s16
	ds_load_b128 v[105:108], v215
	ds_load_b128 v[109:112], v215 offset:1024
	s_ashr_i32 s7, s6, 31
	ds_load_b128 v[113:116], v215 offset:2048
	ds_load_b128 v[117:120], v215 offset:3072
	;; [unrolled: 1-line block ×8, first 2 shown]
	s_clause 0x1
	global_load_b128 v[167:170], v[123:124], off offset:3072
	global_load_b128 v[171:174], v[123:124], off offset:3328
	s_lshl_b64 s[6:7], s[6:7], 2
	s_mov_b32 s4, 0
	s_add_u32 s20, s35, s6
	s_addc_u32 s21, s36, s7
	s_clause 0x1
	s_load_b32 s41, s[18:19], 0x0
	s_load_b32 s46, s[20:21], 0x0
	s_clause 0x3
	global_load_b128 v[175:178], v[121:122], off offset:3584
	global_load_b128 v[179:182], v[121:122], off offset:3840
	;; [unrolled: 1-line block ×4, first 2 shown]
	s_or_b32 s7, s29, 0x80
	s_mov_b32 s5, s4
	s_ashr_i32 s8, s7, 4
	s_cmp_lt_i32 s7, s28
	s_mov_b32 s6, s4
	s_cselect_b32 s10, s8, s16
	s_mov_b32 s7, s4
	s_ashr_i32 s11, s10, 31
	s_mov_b32 s8, s4
	s_lshl_b64 s[24:25], s[10:11], 2
	s_mov_b32 s9, s4
	s_add_u32 s24, s35, s24
	s_addc_u32 s25, s36, s25
	s_or_b32 s11, s29, 0x90
	s_mov_b32 s10, s4
	s_ashr_i32 s38, s11, 4
	s_cmp_lt_i32 s11, s28
	s_mov_b32 s11, s4
	s_cselect_b32 s38, s38, s16
	v_mov_b32_e32 v136, s11
	s_ashr_i32 s39, s38, 31
	v_dual_mov_b32 v135, s10 :: v_dual_mov_b32 v134, s9
	v_dual_mov_b32 v133, s8 :: v_dual_mov_b32 v132, s7
	;; [unrolled: 1-line block ×3, first 2 shown]
	v_mov_b32_e32 v129, s4
	s_lshl_b64 s[4:5], s[38:39], 2
	s_waitcnt lgkmcnt(0)
	s_mul_hi_i32 s7, s27, s17
	s_add_u32 s38, s35, s4
	s_addc_u32 s39, s36, s5
	s_or_b32 s4, s29, 0xa0
	s_load_b32 s40, s[38:39], 0x0
	s_ashr_i32 s5, s4, 4
	s_cmp_lt_i32 s4, s28
	s_cselect_b32 s4, s5, s16
	s_delay_alu instid0(SALU_CYCLE_1) | instskip(NEXT) | instid1(SALU_CYCLE_1)
	s_ashr_i32 s5, s4, 31
	s_lshl_b64 s[4:5], s[4:5], 2
	s_delay_alu instid0(SALU_CYCLE_1)
	s_add_u32 s42, s35, s4
	s_addc_u32 s43, s36, s5
	s_or_b32 s4, s29, 0xb0
	s_load_b32 s39, s[42:43], 0x0
	s_ashr_i32 s6, s4, 4
	s_cmp_lt_i32 s4, s28
	s_mul_hi_i32 s5, s37, s17
	s_cselect_b32 s8, s6, s16
	s_mul_i32 s6, s27, s17
	s_ashr_i32 s9, s8, 31
	s_mul_i32 s4, s37, s17
	s_lshl_b64 s[10:11], s[8:9], 2
	s_mul_hi_i32 s9, s26, s17
	s_add_u32 s44, s35, s10
	s_addc_u32 s45, s36, s11
	s_or_b32 s10, s29, 0xc0
	s_mul_i32 s8, s26, s17
	s_ashr_i32 s26, s10, 4
	s_cmp_lt_i32 s10, s28
	s_mul_hi_i32 s11, s13, s17
	s_cselect_b32 s26, s26, s16
	s_mul_i32 s10, s13, s17
	s_ashr_i32 s27, s26, 31
	s_mul_hi_i32 s13, s12, s17
	s_lshl_b64 s[26:27], s[26:27], 2
	s_mul_i32 s12, s12, s17
	s_add_u32 s20, s35, s26
	s_addc_u32 s21, s36, s27
	s_or_b32 s18, s29, 0xd0
	s_load_b32 s26, s[24:25], 0x0
	s_ashr_i32 s19, s18, 4
	s_cmp_lt_i32 s18, s28
	s_mul_i32 s18, s15, s17
	s_cselect_b32 s24, s19, s16
	s_mul_hi_i32 s19, s15, s17
	s_ashr_i32 s25, s24, 31
	s_delay_alu instid0(SALU_CYCLE_1) | instskip(NEXT) | instid1(SALU_CYCLE_1)
	s_lshl_b64 s[24:25], s[24:25], 2
	s_add_u32 s24, s35, s24
	s_addc_u32 s25, s36, s25
	s_or_b32 s42, s29, 0xe0
	s_clause 0x2
	s_load_b32 s38, s[44:45], 0x0
	s_load_b32 s37, s[20:21], 0x0
	;; [unrolled: 1-line block ×3, first 2 shown]
	s_ashr_i32 s43, s42, 4
	s_cmp_lt_i32 s42, s28
	s_mul_hi_i32 s25, s46, s17
	s_cselect_b32 s42, s43, s16
	s_mul_i32 s24, s46, s17
	s_ashr_i32 s43, s42, 31
	s_mul_hi_i32 s21, s41, s17
	s_lshl_b64 s[42:43], s[42:43], 2
	s_mul_i32 s20, s41, s17
	s_add_u32 s42, s35, s42
	s_addc_u32 s43, s36, s43
	s_or_b32 s46, s29, 0xf0
	s_waitcnt lgkmcnt(0)
	s_mul_hi_i32 s27, s26, s17
	s_ashr_i32 s47, s46, 4
	s_cmp_lt_i32 s46, s28
	s_mul_i32 s26, s26, s17
	s_cselect_b32 s46, s47, s16
	s_mul_hi_i32 s41, s40, s17
	s_ashr_i32 s47, s46, 31
	s_mul_hi_i32 s51, s15, s17
	s_lshl_b64 s[46:47], s[46:47], 2
	s_mul_i32 s50, s15, s17
	s_add_u32 s46, s35, s46
	s_addc_u32 s47, s36, s47
	s_add_u32 s15, s22, s2
	s_addc_u32 s16, s23, s3
	v_add_co_u32 v216, s15, s15, v125
	s_delay_alu instid0(VALU_DEP_1) | instskip(SKIP_2) | instid1(VALU_DEP_2)
	v_add_co_ci_u32_e64 v217, null, s16, 0, s15
	s_lshl_b64 s[2:3], s[4:5], 1
	s_lshl_b64 s[4:5], s[6:7], 1
	v_add_co_u32 v125, vcc_lo, v216, s2
	s_delay_alu instid0(VALU_DEP_2)
	v_add_co_ci_u32_e32 v126, vcc_lo, s3, v217, vcc_lo
	v_add_co_u32 v199, vcc_lo, v216, s4
	s_lshl_b64 s[6:7], s[8:9], 1
	v_add_co_ci_u32_e32 v200, vcc_lo, s5, v217, vcc_lo
	s_lshl_b64 s[8:9], s[10:11], 1
	s_lshl_b64 s[10:11], s[12:13], 1
	;; [unrolled: 1-line block ×6, first 2 shown]
	s_mul_i32 s40, s40, s17
	s_mul_hi_i32 s45, s39, s17
	s_lshl_b64 s[24:25], s[40:41], 1
	s_mul_i32 s44, s39, s17
	s_mul_hi_i32 s39, s38, s17
	s_lshl_b64 s[26:27], s[44:45], 1
	s_mul_i32 s38, s38, s17
	s_mul_hi_i32 s49, s37, s17
	s_mul_i32 s48, s37, s17
	s_lshl_b64 s[36:37], s[38:39], 1
	s_lshl_b64 s[38:39], s[48:49], 1
	s_clause 0x1
	s_load_b32 s15, s[42:43], 0x0
	s_load_b32 s16, s[46:47], 0x0
	s_lshl_b64 s[40:41], s[50:51], 1
	s_waitcnt lgkmcnt(0)
	s_mul_hi_i32 s3, s15, s17
	s_mul_i32 s2, s15, s17
	s_mul_hi_i32 s5, s16, s17
	s_lshl_b64 s[2:3], s[2:3], 1
	s_mul_i32 s4, s16, s17
	s_waitcnt vmcnt(30)
	v_wmma_f32_16x16x16_f16 v[191:198], v[89:96], v[105:112], v[129:136]
	v_add_co_u32 v89, vcc_lo, v216, s6
	v_add_co_ci_u32_e32 v90, vcc_lo, s7, v217, vcc_lo
	v_add_co_u32 v91, vcc_lo, v216, s8
	v_add_co_ci_u32_e32 v92, vcc_lo, s9, v217, vcc_lo
	;; [unrolled: 2-line block ×5, first 2 shown]
	v_add_co_u32 v205, vcc_lo, v216, s20
	s_waitcnt vmcnt(28)
	v_wmma_f32_16x16x16_f16 v[129:136], v[97:104], v[105:112], v[129:136]
	v_add_co_ci_u32_e32 v206, vcc_lo, s21, v217, vcc_lo
	v_add_co_u32 v207, vcc_lo, v216, s22
	v_add_co_ci_u32_e32 v208, vcc_lo, s23, v217, vcc_lo
	v_add_co_u32 v209, vcc_lo, v216, s24
	s_waitcnt vmcnt(26)
	v_wmma_f32_16x16x16_f16 v[191:198], v[81:88], v[113:120], v[191:198]
	s_waitcnt vmcnt(24)
	v_wmma_f32_16x16x16_f16 v[129:136], v[73:80], v[113:120], v[129:136]
	v_add_co_ci_u32_e32 v210, vcc_lo, s25, v217, vcc_lo
	v_add_co_u32 v211, vcc_lo, v216, s26
	v_add_co_ci_u32_e32 v212, vcc_lo, s27, v217, vcc_lo
	v_add_co_u32 v213, vcc_lo, v216, s36
	s_waitcnt vmcnt(22)
	v_wmma_f32_16x16x16_f16 v[191:198], v[65:72], v[143:150], v[191:198]
	s_waitcnt vmcnt(20)
	v_wmma_f32_16x16x16_f16 v[129:136], v[57:64], v[143:150], v[129:136]
	v_add_co_ci_u32_e32 v214, vcc_lo, s37, v217, vcc_lo
	v_add_co_u32 v143, vcc_lo, v216, s38
	s_waitcnt vmcnt(18)
	v_wmma_f32_16x16x16_f16 v[191:198], v[49:56], v[151:158], v[191:198]
	s_waitcnt vmcnt(16)
	v_wmma_f32_16x16x16_f16 v[129:136], v[25:32], v[151:158], v[129:136]
	v_add_co_ci_u32_e32 v144, vcc_lo, s39, v217, vcc_lo
	s_clause 0x15
	global_load_b128 v[121:124], v[125:126], off
	global_load_b128 v[125:128], v[125:126], off offset:16
	global_load_b128 v[113:116], v[199:200], off
	global_load_b128 v[117:120], v[199:200], off offset:16
	;; [unrolled: 2-line block ×11, first 2 shown]
	s_waitcnt vmcnt(36)
	v_wmma_f32_16x16x16_f16 v[191:198], v[1:8], v[159:166], v[191:198]
	s_clause 0x1
	global_load_b128 v[1:4], v[213:214], off
	global_load_b128 v[5:8], v[213:214], off offset:16
	s_waitcnt vmcnt(36)
	v_wmma_f32_16x16x16_f16 v[129:136], v[9:16], v[159:166], v[129:136]
	s_clause 0x1
	global_load_b128 v[9:12], v[143:144], off
	global_load_b128 v[13:16], v[143:144], off offset:16
	ds_load_b128 v[143:146], v215 offset:10240
	ds_load_b128 v[147:150], v215 offset:11264
	;; [unrolled: 1-line block ×4, first 2 shown]
	v_add_co_u32 v199, vcc_lo, v216, s40
	v_add_co_ci_u32_e32 v200, vcc_lo, s41, v217, vcc_lo
	v_add_co_u32 v159, vcc_lo, v216, s2
	v_add_co_ci_u32_e32 v160, vcc_lo, s3, v217, vcc_lo
	s_lshl_b64 s[2:3], s[4:5], 1
	s_delay_alu instid0(SALU_CYCLE_1)
	v_add_co_u32 v161, vcc_lo, v216, s2
	v_add_co_ci_u32_e32 v162, vcc_lo, s3, v217, vcc_lo
	s_waitcnt vmcnt(36) lgkmcnt(2)
	v_wmma_f32_16x16x16_f16 v[191:198], v[33:40], v[143:150], v[191:198]
	s_waitcnt vmcnt(34)
	v_wmma_f32_16x16x16_f16 v[129:136], v[41:48], v[143:150], v[129:136]
	s_clause 0x3
	global_load_b128 v[33:36], v[199:200], off
	global_load_b128 v[37:40], v[199:200], off offset:16
	global_load_b128 v[41:44], v[159:160], off
	global_load_b128 v[45:48], v[159:160], off offset:16
	v_and_b32_e32 v143, 0xe0, v0
	v_mbcnt_lo_u32_b32 v159, -1, 0
	s_waitcnt vmcnt(36) lgkmcnt(0)
	v_wmma_f32_16x16x16_f16 v[191:198], v[17:24], v[151:158], v[191:198]
	s_clause 0x1
	global_load_b128 v[17:20], v[161:162], off
	global_load_b128 v[21:24], v[161:162], off offset:16
	s_waitcnt vmcnt(36)
	v_wmma_f32_16x16x16_f16 v[129:136], v[167:174], v[151:158], v[129:136]
	v_add_nc_u32_e32 v160, s29, v143
	ds_load_b128 v[143:146], v215 offset:14336
	ds_load_b128 v[147:150], v215 offset:15360
	v_xor_b32_e32 v151, 16, v159
	s_waitcnt vmcnt(0) lgkmcnt(0)
	s_barrier
	v_or_b32_e32 v152, v160, v138
	buffer_gl0_inv
	v_cmp_gt_i32_e32 vcc_lo, 32, v151
	v_or_b32_e32 v153, 2, v152
	v_or_b32_e32 v154, 4, v152
	;; [unrolled: 1-line block ×5, first 2 shown]
	v_cmp_gt_i32_e64 s2, s28, v153
	v_cmp_gt_i32_e64 s3, s28, v154
	;; [unrolled: 1-line block ×3, first 2 shown]
	v_or_b32_e32 v158, 12, v152
	v_cmp_gt_i32_e64 s5, s28, v156
	v_cmp_gt_i32_e64 s6, s28, v157
	v_wmma_f32_16x16x16_f16 v[191:198], v[175:182], v[143:150], v[191:198]
	v_wmma_f32_16x16x16_f16 v[129:136], v[183:190], v[143:150], v[129:136]
	v_cndmask_b32_e32 v151, v159, v151, vcc_lo
	v_cmp_gt_i32_e32 vcc_lo, s28, v152
	v_or_b32_e32 v159, 14, v152
	v_dual_mul_f32 v149, s30, v192 :: v_dual_mul_f32 v150, s30, v191
	v_dual_mul_f32 v147, s30, v194 :: v_dual_mul_f32 v148, s30, v193
	v_mul_f32_e32 v145, s30, v196
	s_delay_alu instid0(VALU_DEP_3) | instskip(NEXT) | instid1(VALU_DEP_4)
	v_cndmask_b32_e64 v149, 0xff7fffff, v149, s2
	v_cndmask_b32_e32 v150, 0xff7fffff, v150, vcc_lo
	v_mul_f32_e32 v146, s30, v195
	v_cndmask_b32_e64 v148, 0xff7fffff, v148, s3
	v_cndmask_b32_e64 v147, 0xff7fffff, v147, s4
	v_or_b32_e32 v160, 16, v152
	v_max3_f32 v149, v150, 0xff7fffff, v149
	v_or_b32_e32 v161, 18, v152
	v_dual_mul_f32 v143, s30, v198 :: v_dual_mul_f32 v144, s30, v197
	v_cndmask_b32_e64 v146, 0xff7fffff, v146, s5
	v_cndmask_b32_e64 v145, 0xff7fffff, v145, s6
	v_max3_f32 v147, v149, v148, v147
	v_cmp_gt_i32_e64 s7, s28, v158
	v_cmp_gt_i32_e64 s8, s28, v159
	v_or_b32_e32 v162, 20, v152
	v_or_b32_e32 v163, 22, v152
	v_dual_mul_f32 v174, s30, v130 :: v_dual_mul_f32 v175, s30, v129
	v_cndmask_b32_e64 v144, 0xff7fffff, v144, s7
	v_cndmask_b32_e64 v143, 0xff7fffff, v143, s8
	v_max3_f32 v145, v147, v146, v145
	v_cmp_gt_i32_e64 s9, s28, v160
	v_cmp_gt_i32_e64 s10, s28, v161
	v_or_b32_e32 v164, 24, v152
	;; [unrolled: 8-line block ×3, first 2 shown]
	v_or_b32_e32 v167, 30, v152
	v_dual_mul_f32 v170, s30, v134 :: v_dual_mul_f32 v171, s30, v133
	v_cndmask_b32_e64 v144, 0xff7fffff, v173, s11
	v_cndmask_b32_e64 v145, 0xff7fffff, v172, s12
	v_max3_f32 v143, v143, v146, v147
	v_cmp_gt_i32_e64 s13, s28, v164
	v_cmp_gt_i32_e64 s15, s28, v165
	v_dual_mul_f32 v168, s30, v136 :: v_dual_mul_f32 v169, s30, v135
	s_delay_alu instid0(VALU_DEP_4) | instskip(NEXT) | instid1(VALU_DEP_4)
	v_max3_f32 v143, v143, v144, v145
	v_cndmask_b32_e64 v146, 0xff7fffff, v171, s13
	s_delay_alu instid0(VALU_DEP_4) | instskip(SKIP_3) | instid1(VALU_DEP_4)
	v_cndmask_b32_e64 v147, 0xff7fffff, v170, s15
	v_cmp_gt_i32_e64 s16, s28, v166
	v_cmp_gt_i32_e64 s17, s28, v167
	v_lshlrev_b32_e32 v160, 2, v151
	v_max3_f32 v143, v143, v146, v147
	s_delay_alu instid0(VALU_DEP_4) | instskip(NEXT) | instid1(VALU_DEP_4)
	v_cndmask_b32_e64 v144, 0xff7fffff, v169, s16
	v_cndmask_b32_e64 v145, 0xff7fffff, v168, s17
	s_delay_alu instid0(VALU_DEP_1) | instskip(SKIP_3) | instid1(VALU_DEP_1)
	v_max3_f32 v143, v143, v144, v145
	ds_bpermute_b32 v144, v160, v143
	s_waitcnt lgkmcnt(0)
	v_max_f32_e32 v144, v144, v144
	v_max_f32_e32 v159, v143, v144
	s_delay_alu instid0(VALU_DEP_1) | instskip(SKIP_4) | instid1(VALU_DEP_4)
	v_fma_f32 v143, s30, v191, -v159
	v_fma_f32 v144, s30, v192, -v159
	;; [unrolled: 1-line block ×5, first 2 shown]
	v_dual_mul_f32 v143, 0x3fb8aa3b, v143 :: v_dual_mul_f32 v144, 0x3fb8aa3b, v144
	s_delay_alu instid0(VALU_DEP_4) | instskip(SKIP_2) | instid1(VALU_DEP_4)
	v_mul_f32_e32 v132, 0x3fb8aa3b, v132
	v_fma_f32 v134, s30, v134, -v159
	v_mul_f32_e32 v145, 0x3fb8aa3b, v145
	v_exp_f32_e32 v143, v143
	v_exp_f32_e32 v147, v144
	v_fma_f32 v148, s30, v195, -v159
	v_mul_f32_e32 v134, 0x3fb8aa3b, v134
	v_mul_f32_e32 v146, 0x3fb8aa3b, v146
	v_exp_f32_e32 v145, v145
	v_fma_f32 v149, s30, v196, -v159
	v_mul_f32_e32 v148, 0x3fb8aa3b, v148
	v_fma_f32 v151, s30, v197, -v159
	v_exp_f32_e32 v150, v146
	v_cndmask_b32_e32 v144, 0, v143, vcc_lo
	v_cndmask_b32_e64 v143, 0, v147, s2
	v_mul_f32_e32 v149, 0x3fb8aa3b, v149
	v_exp_f32_e32 v148, v148
	v_fma_f32 v152, s30, v198, -v159
	v_add_f32_e32 v147, 0, v144
	v_cndmask_b32_e64 v146, 0, v145, s3
	v_mul_f32_e32 v151, 0x3fb8aa3b, v151
	v_exp_f32_e32 v149, v149
	v_cndmask_b32_e64 v145, 0, v150, s4
	v_add_f32_e32 v147, v147, v143
	v_fma_f32 v129, s30, v129, -v159
	v_mul_f32_e32 v150, 0x3fb8aa3b, v152
	v_exp_f32_e32 v151, v151
	v_cndmask_b32_e64 v148, 0, v148, s5
	v_add_f32_e32 v147, v147, v146
	v_fma_f32 v130, s30, v130, -v159
	v_mul_f32_e32 v129, 0x3fb8aa3b, v129
	v_exp_f32_e32 v153, v150
	v_fma_f32 v131, s30, v131, -v159
	v_add_f32_e32 v152, v147, v145
	v_cndmask_b32_e64 v147, 0, v149, s6
	v_mul_f32_e32 v130, 0x3fb8aa3b, v130
	v_exp_f32_e32 v129, v129
	v_cndmask_b32_e64 v150, 0, v151, s7
	v_add_f32_e32 v149, v152, v148
	v_mul_f32_e32 v131, 0x3fb8aa3b, v131
	v_exp_f32_e32 v130, v130
	v_fma_f32 v133, s30, v133, -v159
	v_exp_f32_e32 v132, v132
	v_add_f32_e32 v151, v149, v147
	v_cndmask_b32_e64 v149, 0, v153, s8
	v_exp_f32_e32 v131, v131
	v_cndmask_b32_e64 v152, 0, v129, s9
	v_mul_f32_e32 v133, 0x3fb8aa3b, v133
	v_add_f32_e32 v151, v151, v150
	v_cmp_gt_u32_e64 s2, 16, v142
	s_delay_alu instid0(VALU_DEP_3) | instskip(NEXT) | instid1(VALU_DEP_2)
	v_exp_f32_e32 v133, v133
	v_add_f32_e32 v129, v151, v149
	v_cndmask_b32_e64 v151, 0, v130, s10
	v_fma_f32 v130, s30, v135, -v159
	s_delay_alu instid0(TRANS32_DEP_2)
	v_cndmask_b32_e64 v154, 0, v131, s11
	v_exp_f32_e32 v131, v134
	v_add_f32_e32 v129, v129, v152
	v_cndmask_b32_e64 v153, 0, v132, s12
	v_mul_f32_e32 v130, 0x3fb8aa3b, v130
	v_fma_f32 v132, s30, v136, -v159
	v_cndmask_b32_e64 v156, 0, v133, s13
	v_add_f32_e32 v129, v129, v151
	s_delay_alu instid0(VALU_DEP_4) | instskip(NEXT) | instid1(VALU_DEP_3)
	v_exp_f32_e32 v130, v130
	v_mul_f32_e32 v132, 0x3fb8aa3b, v132
	s_delay_alu instid0(TRANS32_DEP_2) | instskip(NEXT) | instid1(VALU_DEP_3)
	v_cndmask_b32_e64 v155, 0, v131, s15
	v_add_f32_e32 v129, v129, v154
	s_delay_alu instid0(VALU_DEP_3) | instskip(NEXT) | instid1(VALU_DEP_1)
	v_exp_f32_e32 v131, v132
	v_add_f32_e32 v129, v129, v153
	s_waitcnt_depctr 0xfff
	v_cndmask_b32_e64 v158, 0, v130, s16
	v_add_f32_e32 v129, v129, v156
	v_cndmask_b32_e64 v157, 0, v131, s17
	s_delay_alu instid0(VALU_DEP_2) | instskip(NEXT) | instid1(VALU_DEP_1)
	v_add_f32_e32 v129, v129, v155
	v_add_f32_e32 v129, v129, v158
	s_delay_alu instid0(VALU_DEP_1)
	v_add_f32_e32 v129, v129, v157
	ds_bpermute_b32 v130, v160, v129
	s_and_saveexec_b32 s3, s2
	s_cbranch_execz .LBB206_12
; %bb.11:
	v_mul_u32_u24_e32 v131, 0x44, v141
	s_delay_alu instid0(VALU_DEP_1) | instskip(SKIP_1) | instid1(VALU_DEP_1)
	v_lshl_add_u32 v131, v140, 2, v131
	s_waitcnt lgkmcnt(0)
	v_dual_add_f32 v129, v129, v130 :: v_dual_add_nc_u32 v130, 0x4000, v131
	ds_store_2addr_b32 v130, v159, v129 offset1:136
.LBB206_12:
	s_or_b32 exec_lo, exec_lo, s3
	v_lshlrev_b32_e32 v129, 2, v140
	s_load_b32 s35, s[0:1], 0x94
	s_waitcnt lgkmcnt(0)
	s_barrier
	buffer_gl0_inv
	v_add_nc_u32_e32 v135, 0x4000, v129
	v_cmp_eq_u32_e32 vcc_lo, 1, v141
	v_cmp_eq_u32_e64 s3, 2, v141
	v_cmp_eq_u32_e64 s4, 3, v141
	;; [unrolled: 1-line block ×3, first 2 shown]
	ds_load_2addr_b32 v[129:130], v135 offset1:17
	ds_load_2addr_b32 v[131:132], v135 offset0:34 offset1:51
	ds_load_2addr_b32 v[133:134], v135 offset0:68 offset1:85
	;; [unrolled: 1-line block ×3, first 2 shown]
	v_cmp_eq_u32_e64 s6, 5, v141
	v_cmp_eq_u32_e64 s7, 7, v141
	s_waitcnt lgkmcnt(3)
	v_max3_f32 v136, v129, 0xff7fffff, v130
	s_waitcnt lgkmcnt(2)
	s_delay_alu instid0(VALU_DEP_1) | instskip(SKIP_1) | instid1(VALU_DEP_1)
	v_max3_f32 v136, v136, v131, v132
	s_waitcnt lgkmcnt(1)
	v_max3_f32 v136, v136, v133, v134
	s_waitcnt lgkmcnt(0)
	s_delay_alu instid0(VALU_DEP_1) | instskip(NEXT) | instid1(VALU_DEP_1)
	v_max3_f32 v136, v136, v159, v160
	v_sub_f32_e32 v142, v130, v136
	ds_load_2addr_b32 v[161:162], v135 offset0:136 offset1:153
	v_sub_f32_e32 v164, v132, v136
	v_mul_f32_e32 v142, 0x3fb8aa3b, v142
	s_delay_alu instid0(VALU_DEP_2) | instskip(NEXT) | instid1(VALU_DEP_2)
	v_mul_f32_e32 v164, 0x3fb8aa3b, v164
	v_exp_f32_e32 v166, v142
	v_sub_f32_e32 v129, v129, v136
	s_delay_alu instid0(VALU_DEP_2) | instskip(NEXT) | instid1(VALU_DEP_1)
	v_exp_f32_e32 v164, v164
	v_mul_f32_e32 v163, 0x3fb8aa3b, v129
	ds_load_2addr_b32 v[129:130], v135 offset0:170 offset1:187
	v_exp_f32_e32 v163, v163
	s_waitcnt lgkmcnt(1)
	s_waitcnt_depctr 0xfff
	v_fma_f32 v142, v163, v161, 0
	v_sub_f32_e32 v161, v134, v136
	s_delay_alu instid0(VALU_DEP_2) | instskip(NEXT) | instid1(VALU_DEP_1)
	v_dual_fmac_f32 v142, v166, v162 :: v_dual_sub_f32 v131, v131, v136
	v_mul_f32_e32 v165, 0x3fb8aa3b, v131
	ds_load_2addr_b32 v[131:132], v135 offset0:204 offset1:221
	v_exp_f32_e32 v165, v165
	s_waitcnt lgkmcnt(1)
	s_waitcnt_depctr 0xfff
	v_fmac_f32_e32 v142, v165, v129
	v_sub_f32_e32 v133, v133, v136
	v_sub_f32_e32 v129, v160, v136
	s_delay_alu instid0(VALU_DEP_2) | instskip(NEXT) | instid1(VALU_DEP_2)
	v_dual_fmac_f32 v142, v164, v130 :: v_dual_mul_f32 v167, 0x3fb8aa3b, v133
	v_mul_f32_e32 v129, 0x3fb8aa3b, v129
	ds_load_2addr_b32 v[133:134], v135 offset0:238 offset1:255
	v_cndmask_b32_e32 v130, v163, v166, vcc_lo
	s_waitcnt lgkmcnt(0)
	s_barrier
	v_exp_f32_e32 v162, v129
	v_sub_f32_e32 v135, v159, v136
	v_mul_f32_e32 v159, 0x3fb8aa3b, v161
	v_exp_f32_e32 v161, v167
	buffer_gl0_inv
	v_exp_f32_e32 v159, v159
	v_fmac_f32_e32 v142, v161, v131
	s_waitcnt_depctr 0xfff
	v_dual_mul_f32 v135, 0x3fb8aa3b, v135 :: v_dual_fmac_f32 v142, v159, v132
	s_delay_alu instid0(VALU_DEP_1) | instskip(SKIP_2) | instid1(VALU_DEP_1)
	v_exp_f32_e32 v160, v135
	s_waitcnt_depctr 0xfff
	v_dual_fmac_f32 v142, v160, v133 :: v_dual_lshlrev_b32 v133, 6, v140
	v_fmac_f32_e32 v142, v162, v134
	s_delay_alu instid0(VALU_DEP_2) | instskip(NEXT) | instid1(VALU_DEP_2)
	v_lshl_or_b32 v135, v141, 11, v133
	v_add_f32_e32 v134, 0x358637bd, v142
	s_delay_alu instid0(VALU_DEP_1) | instskip(SKIP_1) | instid1(VALU_DEP_2)
	v_div_scale_f32 v167, null, v134, v134, 1.0
	v_div_scale_f32 v163, vcc_lo, 1.0, v134, 1.0
	v_rcp_f32_e32 v168, v167
	s_waitcnt_depctr 0xfff
	v_fma_f32 v129, -v167, v168, 1.0
	s_delay_alu instid0(VALU_DEP_1) | instskip(SKIP_2) | instid1(VALU_DEP_2)
	v_fmac_f32_e32 v168, v129, v168
	v_cndmask_b32_e64 v129, v130, v165, s3
	v_cmp_eq_u32_e64 s3, 6, v141
	v_cndmask_b32_e64 v130, v129, v164, s4
	v_lshlrev_b32_e32 v129, 2, v138
	v_mul_f32_e32 v165, v163, v168
	s_delay_alu instid0(VALU_DEP_3) | instskip(NEXT) | instid1(VALU_DEP_3)
	v_cndmask_b32_e64 v161, v130, v161, s5
	v_or_b32_e32 v130, 1, v129
	s_delay_alu instid0(VALU_DEP_3)
	v_fma_f32 v131, -v167, v165, v163
	v_or_b32_e32 v132, 2, v129
	v_cmp_eq_u32_e64 s4, 1, v129
	v_cndmask_b32_e64 v141, v161, v159, s6
	v_cmp_eq_u32_e64 s9, 1, v130
	v_fmac_f32_e32 v165, v131, v168
	v_or_b32_e32 v131, 3, v129
	v_cmp_eq_u32_e64 s10, 1, v132
	v_cndmask_b32_e64 v141, v141, v160, s3
	v_cmp_eq_u32_e64 s5, 2, v129
	v_fma_f32 v159, -v167, v165, v163
	v_cmp_eq_u32_e64 s11, 1, v131
	v_cmp_eq_u32_e64 s16, 2, v131
	v_cndmask_b32_e64 v141, v141, v162, s7
	v_cmp_eq_u32_e64 s12, 2, v130
	v_div_fmas_f32 v159, v159, v168, v165
	v_cmp_eq_u32_e64 s18, 3, v131
	v_cmp_eq_u32_e32 vcc_lo, 3, v129
	v_cmp_eq_u32_e64 s13, 3, v130
	v_cmp_eq_u32_e64 s15, 2, v132
	v_div_fixup_f32 v159, v159, v134, 1.0
	v_lshl_or_b32 v134, v138, 4, v135
	v_cmp_eq_u32_e64 s22, 4, v131
	v_cmp_eq_u32_e64 s3, 4, v129
	;; [unrolled: 1-line block ×3, first 2 shown]
	v_mul_f32_e32 v141, v141, v159
	v_cmp_eq_u32_e64 s19, 4, v130
	v_cmp_eq_u32_e64 s24, 5, v131
	;; [unrolled: 1-line block ×4, first 2 shown]
	v_fma_mixlo_f16 v159, v141, v144, 0
	v_fma_mixlo_f16 v160, v141, v146, 0
	;; [unrolled: 1-line block ×8, first 2 shown]
	v_fma_mixhi_f16 v159, v141, v143, 0
	v_fma_mixhi_f16 v160, v141, v145, 0
	v_fma_mixhi_f16 v161, v141, v147, 0
	v_fma_mixhi_f16 v162, v141, v149, 0
	v_fma_mixhi_f16 v163, v141, v151, 0
	v_fma_mixhi_f16 v164, v141, v153, 0
	v_fma_mixhi_f16 v165, v141, v155, 0
	v_fma_mixhi_f16 v166, v141, v157, 0
	ds_store_b128 v134, v[159:162]
	ds_store_b128 v134, v[163:166] offset:1024
	s_waitcnt lgkmcnt(0)
	s_barrier
	buffer_gl0_inv
	ds_load_b128 v[143:146], v135
	ds_load_b128 v[147:150], v135 offset:16
	ds_load_b128 v[151:154], v135 offset:1024
	;; [unrolled: 1-line block ×3, first 2 shown]
	v_cmp_eq_u32_e64 s21, 4, v132
	v_cmp_eq_u32_e64 s27, 6, v131
	;; [unrolled: 1-line block ×10, first 2 shown]
	s_waitcnt lgkmcnt(3)
	v_lshrrev_b32_e32 v141, 16, v143
	s_waitcnt lgkmcnt(2)
	v_lshrrev_b32_e32 v162, 16, v147
	v_lshrrev_b32_e32 v159, 16, v144
	;; [unrolled: 1-line block ×3, first 2 shown]
	s_waitcnt lgkmcnt(1)
	v_lshrrev_b32_e32 v166, 16, v151
	v_cndmask_b32_e64 v174, v143, v141, s4
	v_cndmask_b32_e64 v176, v143, v141, s9
	;; [unrolled: 1-line block ×5, first 2 shown]
	s_waitcnt lgkmcnt(0)
	v_lshrrev_b32_e32 v170, 16, v155
	v_cndmask_b32_e64 v175, v147, v162, s4
	v_cndmask_b32_e64 v177, v147, v162, s9
	;; [unrolled: 1-line block ×19, first 2 shown]
	v_lshrrev_b32_e32 v160, 16, v145
	v_lshrrev_b32_e32 v164, 16, v149
	;; [unrolled: 1-line block ×4, first 2 shown]
	v_cndmask_b32_e64 v176, v178, v144, s15
	v_cndmask_b32_e64 v177, v179, v148, s15
	;; [unrolled: 1-line block ×8, first 2 shown]
	v_cndmask_b32_e32 v155, v166, v159, vcc_lo
	v_cndmask_b32_e32 v166, v170, v163, vcc_lo
	v_cndmask_b32_e64 v170, v174, v159, s13
	v_cndmask_b32_e64 v174, v175, v163, s13
	;; [unrolled: 1-line block ×6, first 2 shown]
	v_cndmask_b32_e32 v144, v144, v167, vcc_lo
	v_cndmask_b32_e32 v147, v147, v171, vcc_lo
	v_cndmask_b32_e64 v148, v148, v167, s13
	v_cndmask_b32_e64 v155, v155, v145, s3
	;; [unrolled: 1-line block ×7, first 2 shown]
	v_lshrrev_b32_e32 v161, 16, v146
	v_lshrrev_b32_e32 v165, 16, v150
	;; [unrolled: 1-line block ×4, first 2 shown]
	v_cndmask_b32_e64 v170, v175, v145, s21
	v_cndmask_b32_e64 v174, v176, v149, s21
	;; [unrolled: 1-line block ×22, first 2 shown]
	v_lshrrev_b32_e32 v169, 16, v154
	v_cndmask_b32_e64 v160, v163, v146, s26
	v_cndmask_b32_e64 v163, v166, v150, s26
	v_cndmask_b32_e64 v144, v144, v154, s7
	v_cndmask_b32_e64 v150, v145, v158, s7
	v_cndmask_b32_e64 v145, v147, v154, s25
	v_cndmask_b32_e64 v147, v148, v161, s8
	v_cndmask_b32_e64 v148, v149, v165, s8
	v_cndmask_b32_e64 v149, v155, v161, s30
	v_cndmask_b32_e64 v159, v159, v165, s30
	v_perm_b32 v146, v143, v141, 0x5040100
	v_cndmask_b32_e64 v141, v183, v156, s15
	v_cndmask_b32_e64 v143, v181, v156, s12
	;; [unrolled: 1-line block ×4, first 2 shown]
	v_perm_b32 v144, v159, v149, 0x5040100
	v_cndmask_b32_e64 v149, v162, v167, s17
	v_cndmask_b32_e64 v151, v151, v167, s18
	;; [unrolled: 1-line block ×15, first 2 shown]
	v_lshrrev_b32_e32 v173, 16, v158
	v_cndmask_b32_e64 v149, v149, v154, s26
	v_cndmask_b32_e64 v151, v151, v154, s27
	;; [unrolled: 1-line block ×13, first 2 shown]
	v_perm_b32 v145, v160, v155, 0x5040100
	v_perm_b32 v143, v148, v147, 0x5040100
	;; [unrolled: 1-line block ×6, first 2 shown]
	s_mul_i32 s7, s33, 13
	s_mov_b32 s3, exec_lo
	ds_store_b128 v134, v[143:146]
	ds_store_b128 v134, v[147:150] offset:1024
	v_cmpx_gt_u32_e32 13, v0
	s_cbranch_execz .LBB206_14
; %bb.13:
	s_mul_i32 s4, s7, s34
	s_load_b128 s[8:11], s[0:1], 0x58
	v_add3_u32 v143, s4, s31, v140
	s_delay_alu instid0(VALU_DEP_1) | instskip(NEXT) | instid1(VALU_DEP_1)
	v_mad_u64_u32 v[140:141], null, v143, s35, s[14:15]
	v_ashrrev_i32_e32 v141, 31, v140
	s_delay_alu instid0(VALU_DEP_1) | instskip(SKIP_1) | instid1(VALU_DEP_1)
	v_lshlrev_b64 v[140:141], 2, v[140:141]
	s_waitcnt lgkmcnt(0)
	v_add_co_u32 v143, vcc_lo, s10, v140
	s_delay_alu instid0(VALU_DEP_2)
	v_add_co_ci_u32_e32 v144, vcc_lo, s11, v141, vcc_lo
	v_add_co_u32 v140, vcc_lo, s8, v140
	v_add_co_ci_u32_e32 v141, vcc_lo, s9, v141, vcc_lo
	global_store_b32 v[143:144], v136, off
	global_store_b32 v[140:141], v142, off
.LBB206_14:
	s_or_b32 exec_lo, exec_lo, s3
	s_waitcnt lgkmcnt(0)
	s_waitcnt_vscnt null, 0x0
	s_barrier
	buffer_gl0_inv
	ds_load_b128 v[148:151], v133
	ds_load_b128 v[152:155], v133 offset:16
	ds_load_b128 v[160:163], v133 offset:1040
	ds_load_b128 v[156:159], v133 offset:1024
	ds_load_b128 v[168:171], v133 offset:2064
	ds_load_b128 v[164:167], v133 offset:2048
	v_cmp_eq_u32_e32 vcc_lo, 1, v132
	v_mov_b32_e32 v140, 0
	ds_load_b128 v[176:179], v133 offset:3088
	ds_load_b128 v[172:175], v133 offset:3072
	;; [unrolled: 1-line block ×4, first 2 shown]
	v_cmp_eq_u32_e64 s3, 1, v129
	v_cmp_eq_u32_e64 s4, 1, v131
	;; [unrolled: 1-line block ×3, first 2 shown]
	v_mov_b32_e32 v141, v140
	v_mov_b32_e32 v142, v140
	v_mov_b32_e32 v143, v140
	v_mov_b32_e32 v144, v140
	v_mov_b32_e32 v145, v140
	v_mov_b32_e32 v146, v140
	v_mov_b32_e32 v147, v140
	v_cmp_eq_u32_e64 s6, 2, v129
	s_waitcnt lgkmcnt(8)
	s_delay_alu instid0(VALU_DEP_2)
	v_wmma_f32_16x16x16_f16 v[140:147], v[121:128], v[148:155], v[140:147]
	ds_load_b128 v[125:128], v133 offset:5136
	ds_load_b128 v[121:124], v133 offset:5120
	s_waitcnt lgkmcnt(8)
	v_wmma_f32_16x16x16_f16 v[140:147], v[113:120], v[156:163], v[140:147]
	ds_load_b128 v[117:120], v133 offset:6160
	ds_load_b128 v[113:116], v133 offset:6144
	s_waitcnt lgkmcnt(8)
	;; [unrolled: 4-line block ×11, first 2 shown]
	s_barrier
	buffer_gl0_inv
	v_wmma_f32_16x16x16_f16 v[140:147], v[1:8], v[73:80], v[140:147]
	s_delay_alu instid0(VALU_DEP_1) | instskip(NEXT) | instid1(VALU_DEP_1)
	v_wmma_f32_16x16x16_f16 v[140:147], v[9:16], v[65:72], v[140:147]
	v_wmma_f32_16x16x16_f16 v[140:147], v[33:40], v[57:64], v[140:147]
	s_delay_alu instid0(VALU_DEP_1) | instskip(NEXT) | instid1(VALU_DEP_1)
	v_wmma_f32_16x16x16_f16 v[140:147], v[41:48], v[49:56], v[140:147]
	v_wmma_f32_16x16x16_f16 v[140:147], v[17:24], v[25:32], v[140:147]
	s_delay_alu instid0(VALU_DEP_1) | instskip(NEXT) | instid1(VALU_DEP_2)
	v_cvt_f16_f32_e64 v1, v140
	v_cvt_f16_f32_e64 v2, v141
	s_delay_alu instid0(VALU_DEP_3) | instskip(NEXT) | instid1(VALU_DEP_4)
	v_cvt_f16_f32_e64 v3, v142
	v_cvt_f16_f32_e64 v4, v143
	;; [unrolled: 1-line block ×6, first 2 shown]
	v_pack_b32_f16 v1, v1, v2
	v_pack_b32_f16 v2, v3, v4
	;; [unrolled: 1-line block ×3, first 2 shown]
	s_delay_alu instid0(VALU_DEP_4)
	v_pack_b32_f16 v4, v7, v8
	ds_store_b128 v134, v[1:4]
	s_waitcnt lgkmcnt(0)
	s_barrier
	buffer_gl0_inv
	ds_load_b128 v[1:4], v135
	ds_load_b128 v[5:8], v135 offset:16
	s_waitcnt lgkmcnt(1)
	v_lshrrev_b32_e32 v9, 16, v1
	s_waitcnt lgkmcnt(0)
	v_lshrrev_b32_e32 v13, 16, v5
	v_lshrrev_b32_e32 v10, 16, v2
	v_lshrrev_b32_e32 v14, 16, v6
	v_lshrrev_b32_e32 v11, 16, v3
	v_cndmask_b32_e64 v17, v1, v9, s3
	v_cndmask_b32_e64 v18, v5, v13, s3
	;; [unrolled: 1-line block ×3, first 2 shown]
	v_cmp_eq_u32_e64 s3, 2, v130
	v_cndmask_b32_e64 v20, v5, v13, s5
	v_cndmask_b32_e32 v21, v1, v9, vcc_lo
	v_cndmask_b32_e32 v22, v5, v13, vcc_lo
	v_cndmask_b32_e64 v1, v1, v9, s4
	v_cndmask_b32_e64 v5, v5, v13, s4
	v_cmp_eq_u32_e32 vcc_lo, 2, v132
	v_cmp_eq_u32_e64 s4, 2, v131
	v_cndmask_b32_e64 v9, v17, v2, s6
	v_cndmask_b32_e64 v13, v18, v6, s6
	;; [unrolled: 1-line block ×4, first 2 shown]
	v_cndmask_b32_e32 v19, v21, v2, vcc_lo
	v_cmp_eq_u32_e64 s3, 3, v132
	v_cndmask_b32_e32 v20, v22, v6, vcc_lo
	v_cndmask_b32_e64 v1, v1, v2, s4
	v_cmp_eq_u32_e32 vcc_lo, 3, v131
	v_cmp_eq_u32_e64 s5, 3, v129
	v_cndmask_b32_e64 v2, v5, v6, s4
	v_cmp_eq_u32_e64 s4, 3, v130
	v_cmp_eq_u32_e64 s6, 4, v129
	v_cndmask_b32_e32 v1, v1, v10, vcc_lo
	v_cndmask_b32_e64 v5, v9, v10, s5
	v_cndmask_b32_e64 v6, v13, v14, s5
	;; [unrolled: 1-line block ×3, first 2 shown]
	v_cmp_eq_u32_e64 s5, 4, v130
	v_cndmask_b32_e64 v13, v18, v14, s4
	v_cndmask_b32_e64 v17, v19, v10, s3
	v_cndmask_b32_e64 v18, v20, v14, s3
	v_cndmask_b32_e32 v2, v2, v14, vcc_lo
	v_cmp_eq_u32_e32 vcc_lo, 4, v132
	v_cmp_eq_u32_e64 s4, 4, v131
	v_lshrrev_b32_e32 v15, 16, v7
	v_cndmask_b32_e64 v5, v5, v3, s6
	v_cndmask_b32_e64 v6, v6, v7, s6
	v_cndmask_b32_e32 v14, v18, v7, vcc_lo
	v_cndmask_b32_e64 v9, v9, v3, s5
	v_cndmask_b32_e64 v10, v13, v7, s5
	v_cndmask_b32_e32 v13, v17, v3, vcc_lo
	v_cmp_eq_u32_e64 s3, 5, v132
	v_cndmask_b32_e64 v1, v1, v3, s4
	v_cmp_eq_u32_e32 vcc_lo, 5, v131
	v_cmp_eq_u32_e64 s5, 5, v129
	v_cndmask_b32_e64 v2, v2, v7, s4
	v_cmp_eq_u32_e64 s4, 5, v130
	v_cmp_eq_u32_e64 s6, 6, v129
	v_lshrrev_b32_e32 v12, 16, v4
	v_cndmask_b32_e64 v3, v5, v11, s5
	v_cndmask_b32_e64 v5, v6, v15, s5
	v_cndmask_b32_e64 v6, v9, v11, s4
	v_cmp_eq_u32_e64 s5, 6, v130
	v_cndmask_b32_e64 v7, v10, v15, s4
	v_cndmask_b32_e64 v9, v13, v11, s3
	;; [unrolled: 1-line block ×3, first 2 shown]
	v_cndmask_b32_e32 v1, v1, v11, vcc_lo
	v_cndmask_b32_e32 v2, v2, v15, vcc_lo
	v_cmp_eq_u32_e32 vcc_lo, 6, v132
	v_cmp_eq_u32_e64 s3, 6, v131
	v_lshrrev_b32_e32 v16, 16, v8
	v_cndmask_b32_e64 v3, v3, v4, s6
	v_cndmask_b32_e64 v5, v5, v8, s6
	v_cndmask_b32_e32 v9, v9, v4, vcc_lo
	v_cndmask_b32_e64 v6, v6, v4, s5
	v_cndmask_b32_e64 v7, v7, v8, s5
	v_cmp_eq_u32_e64 s4, 7, v132
	v_cndmask_b32_e32 v10, v10, v8, vcc_lo
	v_cndmask_b32_e64 v1, v1, v4, s3
	v_cmp_eq_u32_e32 vcc_lo, 7, v131
	v_cndmask_b32_e64 v2, v2, v8, s3
	v_cmp_eq_u32_e64 s3, 7, v129
	v_cmp_eq_u32_e64 s5, 7, v130
	v_cndmask_b32_e32 v1, v1, v12, vcc_lo
	s_delay_alu instid0(VALU_DEP_4) | instskip(NEXT) | instid1(VALU_DEP_4)
	v_cndmask_b32_e32 v2, v2, v16, vcc_lo
	v_cndmask_b32_e64 v8, v3, v12, s3
	s_delay_alu instid0(VALU_DEP_4)
	v_cndmask_b32_e64 v6, v6, v12, s5
	v_cndmask_b32_e64 v3, v9, v12, s4
	;; [unrolled: 1-line block ×5, first 2 shown]
	v_perm_b32 v4, v2, v1, 0x5040100
	s_mov_b32 s3, exec_lo
	v_perm_b32 v3, v9, v3, 0x5040100
	v_perm_b32 v2, v7, v6, 0x5040100
	;; [unrolled: 1-line block ×3, first 2 shown]
	ds_store_b128 v134, v[1:4]
	s_waitcnt lgkmcnt(0)
	s_barrier
	buffer_gl0_inv
	v_cmpx_gt_u32_e32 32, v0
	s_cbranch_execz .LBB206_2
; %bb.15:
	s_load_b64 s[4:5], s[0:1], 0x68
	v_lshlrev_b32_e32 v0, 10, v0
	v_lshlrev_b32_e32 v1, 4, v139
	s_lshl_b32 s0, s35, 7
	v_add_nc_u32_e32 v18, s31, v138
	s_mul_i32 s1, s0, s34
	s_delay_alu instid0(VALU_DEP_2) | instskip(SKIP_1) | instid1(VALU_DEP_2)
	v_and_or_b32 v0, 0x3800, v0, v1
	s_mul_i32 s6, s1, s7
	v_mul_lo_u32 v1, v18, s0
	s_ashr_i32 s7, s6, 31
	v_add_nc_u32_e32 v2, 2, v18
	v_lshl_or_b32 v19, v138, 6, v0
	s_lshl_b64 s[6:7], s[6:7], 1
	v_add_nc_u32_e32 v8, 4, v18
	v_add_nc_u32_e32 v15, 6, v18
	v_mul_lo_u32 v7, v2, s0
	ds_load_b128 v[3:6], v19
	v_ashrrev_i32_e32 v2, 31, v1
	v_mul_lo_u32 v11, v8, s0
	s_waitcnt lgkmcnt(0)
	s_add_u32 s1, s4, s6
	s_addc_u32 s3, s5, s7
	s_lshl_b32 s4, s14, 7
	v_lshlrev_b64 v[9:10], 1, v[1:2]
	s_ashr_i32 s5, s4, 31
	v_ashrrev_i32_e32 v8, 31, v7
	s_lshl_b64 s[4:5], s[4:5], 1
	v_ashrrev_i32_e32 v12, 31, v11
	s_add_u32 s1, s1, s4
	s_addc_u32 s3, s3, s5
	v_add_co_u32 v1, s1, s1, v137
	s_delay_alu instid0(VALU_DEP_1) | instskip(SKIP_1) | instid1(VALU_DEP_3)
	v_add_co_ci_u32_e64 v2, null, s3, 0, s1
	v_mul_lo_u32 v15, v15, s0
	v_add_co_u32 v13, vcc_lo, v1, v9
	s_delay_alu instid0(VALU_DEP_3)
	v_add_co_ci_u32_e32 v14, vcc_lo, v2, v10, vcc_lo
	v_lshlrev_b64 v[16:17], 1, v[7:8]
	ds_load_b128 v[7:10], v19 offset:128
	global_store_b128 v[13:14], v[3:6], off
	v_add_nc_u32_e32 v5, 8, v18
	v_lshlrev_b64 v[3:4], 1, v[11:12]
	v_add_co_u32 v23, vcc_lo, v1, v16
	v_ashrrev_i32_e32 v16, 31, v15
	s_delay_alu instid0(VALU_DEP_4) | instskip(SKIP_3) | instid1(VALU_DEP_3)
	v_mul_lo_u32 v25, v5, s0
	v_add_nc_u32_e32 v5, 10, v18
	v_add_co_ci_u32_e32 v24, vcc_lo, v2, v17, vcc_lo
	v_add_co_u32 v27, vcc_lo, v1, v3
	v_mul_lo_u32 v29, v5, s0
	v_add_co_ci_u32_e32 v28, vcc_lo, v2, v4, vcc_lo
	v_lshlrev_b64 v[31:32], 1, v[15:16]
	ds_load_b128 v[3:6], v19 offset:256
	ds_load_b128 v[11:14], v19 offset:384
	;; [unrolled: 1-line block ×4, first 2 shown]
	v_ashrrev_i32_e32 v26, 31, v25
	v_ashrrev_i32_e32 v30, 31, v29
	v_add_co_u32 v31, vcc_lo, v1, v31
	s_delay_alu instid0(VALU_DEP_3) | instskip(SKIP_1) | instid1(VALU_DEP_4)
	v_lshlrev_b64 v[25:26], 1, v[25:26]
	v_add_co_ci_u32_e32 v32, vcc_lo, v2, v32, vcc_lo
	v_lshlrev_b64 v[29:30], 1, v[29:30]
	s_delay_alu instid0(VALU_DEP_3) | instskip(NEXT) | instid1(VALU_DEP_4)
	v_add_co_u32 v25, vcc_lo, v1, v25
	v_add_co_ci_u32_e32 v26, vcc_lo, v2, v26, vcc_lo
	s_delay_alu instid0(VALU_DEP_3) | instskip(NEXT) | instid1(VALU_DEP_4)
	v_add_co_u32 v29, vcc_lo, v1, v29
	v_add_co_ci_u32_e32 v30, vcc_lo, v2, v30, vcc_lo
	s_waitcnt lgkmcnt(4)
	global_store_b128 v[23:24], v[7:10], off
	s_waitcnt lgkmcnt(3)
	global_store_b128 v[27:28], v[3:6], off
	;; [unrolled: 2-line block ×5, first 2 shown]
	s_and_b32 exec_lo, exec_lo, s2
	s_cbranch_execz .LBB206_2
; %bb.16:
	ds_load_b128 v[3:6], v0 offset:768
	s_add_i32 s1, s31, 12
	s_delay_alu instid0(SALU_CYCLE_1) | instskip(NEXT) | instid1(SALU_CYCLE_1)
	s_mul_i32 s0, s1, s0
	s_ashr_i32 s1, s0, 31
	s_delay_alu instid0(SALU_CYCLE_1) | instskip(NEXT) | instid1(SALU_CYCLE_1)
	s_lshl_b64 s[0:1], s[0:1], 1
	v_add_co_u32 v0, vcc_lo, v1, s0
	v_add_co_ci_u32_e32 v1, vcc_lo, s1, v2, vcc_lo
	s_waitcnt lgkmcnt(0)
	global_store_b128 v[0:1], v[3:6], off
	s_nop 0
	s_sendmsg sendmsg(MSG_DEALLOC_VGPRS)
	s_endpgm
	.section	.rodata,"a",@progbits
	.p2align	6, 0x0
	.amdhsa_kernel _Z39paged_attention_ll4mi_QKV_mfma16_kernelIDF16_DF16_LN4vllm18Fp8KVCacheDataTypeE0EhLi16ELi128ELi256ELb1ELi13EL8MFMAType0EEvPKT_PKT0_S8_ifPKiSA_SA_iPKfiiiPfSD_PS3_PT2_iSC_SC_
		.amdhsa_group_segment_fixed_size 17472
		.amdhsa_private_segment_fixed_size 0
		.amdhsa_kernarg_size 400
		.amdhsa_user_sgpr_count 13
		.amdhsa_user_sgpr_dispatch_ptr 0
		.amdhsa_user_sgpr_queue_ptr 0
		.amdhsa_user_sgpr_kernarg_segment_ptr 1
		.amdhsa_user_sgpr_dispatch_id 0
		.amdhsa_user_sgpr_private_segment_size 0
		.amdhsa_wavefront_size32 1
		.amdhsa_uses_dynamic_stack 0
		.amdhsa_enable_private_segment 0
		.amdhsa_system_sgpr_workgroup_id_x 1
		.amdhsa_system_sgpr_workgroup_id_y 1
		.amdhsa_system_sgpr_workgroup_id_z 1
		.amdhsa_system_sgpr_workgroup_info 0
		.amdhsa_system_vgpr_workitem_id 0
		.amdhsa_next_free_vgpr 218
		.amdhsa_next_free_sgpr 52
		.amdhsa_reserve_vcc 1
		.amdhsa_float_round_mode_32 0
		.amdhsa_float_round_mode_16_64 0
		.amdhsa_float_denorm_mode_32 3
		.amdhsa_float_denorm_mode_16_64 3
		.amdhsa_dx10_clamp 1
		.amdhsa_ieee_mode 1
		.amdhsa_fp16_overflow 0
		.amdhsa_workgroup_processor_mode 1
		.amdhsa_memory_ordered 1
		.amdhsa_forward_progress 0
		.amdhsa_shared_vgpr_count 0
		.amdhsa_exception_fp_ieee_invalid_op 0
		.amdhsa_exception_fp_denorm_src 0
		.amdhsa_exception_fp_ieee_div_zero 0
		.amdhsa_exception_fp_ieee_overflow 0
		.amdhsa_exception_fp_ieee_underflow 0
		.amdhsa_exception_fp_ieee_inexact 0
		.amdhsa_exception_int_div_zero 0
	.end_amdhsa_kernel
	.section	.text._Z39paged_attention_ll4mi_QKV_mfma16_kernelIDF16_DF16_LN4vllm18Fp8KVCacheDataTypeE0EhLi16ELi128ELi256ELb1ELi13EL8MFMAType0EEvPKT_PKT0_S8_ifPKiSA_SA_iPKfiiiPfSD_PS3_PT2_iSC_SC_,"axG",@progbits,_Z39paged_attention_ll4mi_QKV_mfma16_kernelIDF16_DF16_LN4vllm18Fp8KVCacheDataTypeE0EhLi16ELi128ELi256ELb1ELi13EL8MFMAType0EEvPKT_PKT0_S8_ifPKiSA_SA_iPKfiiiPfSD_PS3_PT2_iSC_SC_,comdat
.Lfunc_end206:
	.size	_Z39paged_attention_ll4mi_QKV_mfma16_kernelIDF16_DF16_LN4vllm18Fp8KVCacheDataTypeE0EhLi16ELi128ELi256ELb1ELi13EL8MFMAType0EEvPKT_PKT0_S8_ifPKiSA_SA_iPKfiiiPfSD_PS3_PT2_iSC_SC_, .Lfunc_end206-_Z39paged_attention_ll4mi_QKV_mfma16_kernelIDF16_DF16_LN4vllm18Fp8KVCacheDataTypeE0EhLi16ELi128ELi256ELb1ELi13EL8MFMAType0EEvPKT_PKT0_S8_ifPKiSA_SA_iPKfiiiPfSD_PS3_PT2_iSC_SC_
                                        ; -- End function
	.section	.AMDGPU.csdata,"",@progbits
; Kernel info:
; codeLenInByte = 8268
; NumSgprs: 54
; NumVgprs: 218
; ScratchSize: 0
; MemoryBound: 0
; FloatMode: 240
; IeeeMode: 1
; LDSByteSize: 17472 bytes/workgroup (compile time only)
; SGPRBlocks: 6
; VGPRBlocks: 27
; NumSGPRsForWavesPerEU: 54
; NumVGPRsForWavesPerEU: 218
; Occupancy: 6
; WaveLimiterHint : 1
; COMPUTE_PGM_RSRC2:SCRATCH_EN: 0
; COMPUTE_PGM_RSRC2:USER_SGPR: 13
; COMPUTE_PGM_RSRC2:TRAP_HANDLER: 0
; COMPUTE_PGM_RSRC2:TGID_X_EN: 1
; COMPUTE_PGM_RSRC2:TGID_Y_EN: 1
; COMPUTE_PGM_RSRC2:TGID_Z_EN: 1
; COMPUTE_PGM_RSRC2:TIDIG_COMP_CNT: 0
	.section	.text._Z39paged_attention_ll4mi_QKV_mfma16_kernelIDF16_DF16_LN4vllm18Fp8KVCacheDataTypeE0EhLi16ELi128ELi256ELb1ELi14EL8MFMAType0EEvPKT_PKT0_S8_ifPKiSA_SA_iPKfiiiPfSD_PS3_PT2_iSC_SC_,"axG",@progbits,_Z39paged_attention_ll4mi_QKV_mfma16_kernelIDF16_DF16_LN4vllm18Fp8KVCacheDataTypeE0EhLi16ELi128ELi256ELb1ELi14EL8MFMAType0EEvPKT_PKT0_S8_ifPKiSA_SA_iPKfiiiPfSD_PS3_PT2_iSC_SC_,comdat
	.protected	_Z39paged_attention_ll4mi_QKV_mfma16_kernelIDF16_DF16_LN4vllm18Fp8KVCacheDataTypeE0EhLi16ELi128ELi256ELb1ELi14EL8MFMAType0EEvPKT_PKT0_S8_ifPKiSA_SA_iPKfiiiPfSD_PS3_PT2_iSC_SC_ ; -- Begin function _Z39paged_attention_ll4mi_QKV_mfma16_kernelIDF16_DF16_LN4vllm18Fp8KVCacheDataTypeE0EhLi16ELi128ELi256ELb1ELi14EL8MFMAType0EEvPKT_PKT0_S8_ifPKiSA_SA_iPKfiiiPfSD_PS3_PT2_iSC_SC_
	.globl	_Z39paged_attention_ll4mi_QKV_mfma16_kernelIDF16_DF16_LN4vllm18Fp8KVCacheDataTypeE0EhLi16ELi128ELi256ELb1ELi14EL8MFMAType0EEvPKT_PKT0_S8_ifPKiSA_SA_iPKfiiiPfSD_PS3_PT2_iSC_SC_
	.p2align	8
	.type	_Z39paged_attention_ll4mi_QKV_mfma16_kernelIDF16_DF16_LN4vllm18Fp8KVCacheDataTypeE0EhLi16ELi128ELi256ELb1ELi14EL8MFMAType0EEvPKT_PKT0_S8_ifPKiSA_SA_iPKfiiiPfSD_PS3_PT2_iSC_SC_,@function
_Z39paged_attention_ll4mi_QKV_mfma16_kernelIDF16_DF16_LN4vllm18Fp8KVCacheDataTypeE0EhLi16ELi128ELi256ELb1ELi14EL8MFMAType0EEvPKT_PKT0_S8_ifPKiSA_SA_iPKfiiiPfSD_PS3_PT2_iSC_SC_: ; @_Z39paged_attention_ll4mi_QKV_mfma16_kernelIDF16_DF16_LN4vllm18Fp8KVCacheDataTypeE0EhLi16ELi128ELi256ELb1ELi14EL8MFMAType0EEvPKT_PKT0_S8_ifPKiSA_SA_iPKfiiiPfSD_PS3_PT2_iSC_SC_
; %bb.0:
	s_load_b64 s[4:5], s[0:1], 0x30
	s_mov_b32 s30, s13
	s_waitcnt lgkmcnt(0)
	s_cmp_lg_u64 s[4:5], 0
	s_cselect_b32 s8, -1, 0
	s_ashr_i32 s31, s13, 31
	s_cmp_eq_u64 s[4:5], 0
	s_cbranch_scc1 .LBB207_3
; %bb.1:
	s_lshl_b64 s[2:3], s[30:31], 2
	s_delay_alu instid0(SALU_CYCLE_1) | instskip(SKIP_4) | instid1(SALU_CYCLE_1)
	s_add_u32 s2, s4, s2
	s_addc_u32 s3, s5, s3
	s_load_b64 s[2:3], s[2:3], 0x0
	s_waitcnt lgkmcnt(0)
	s_sub_i32 s2, s3, s2
	s_cmp_eq_u32 s2, 1
	s_cselect_b32 s2, -1, 0
	s_delay_alu instid0(SALU_CYCLE_1)
	s_and_not1_b32 vcc_lo, exec_lo, s2
	s_cbranch_vccz .LBB207_4
.LBB207_2:
	s_endpgm
.LBB207_3:
.LBB207_4:
	s_load_b64 s[2:3], s[0:1], 0x28
	s_lshl_b64 s[6:7], s[30:31], 2
	s_waitcnt lgkmcnt(0)
	s_add_u32 s2, s2, s6
	s_addc_u32 s3, s3, s7
	s_lshl_b32 s29, s14, 8
	s_load_b32 s28, s[2:3], 0x0
	s_waitcnt lgkmcnt(0)
	s_cmp_ge_i32 s29, s28
	s_cbranch_scc1 .LBB207_2
; %bb.5:
	s_clause 0x1
	s_load_b128 s[20:23], s[0:1], 0x8
	s_load_b64 s[2:3], s[0:1], 0x20
	s_and_not1_b32 vcc_lo, exec_lo, s8
	s_cbranch_vccnz .LBB207_7
; %bb.6:
	s_add_u32 s4, s4, s6
	s_addc_u32 s5, s5, s7
	s_load_b32 s5, s[4:5], 0x0
	s_branch .LBB207_8
.LBB207_7:
	s_mov_b32 s5, s30
.LBB207_8:
	s_load_b128 s[16:19], s[0:1], 0x48
	v_and_b32_e32 v140, 15, v0
	v_lshrrev_b32_e32 v141, 5, v0
	v_and_b32_e32 v142, 31, v0
	v_and_b32_e32 v139, 1, v0
	v_bfe_u32 v138, v0, 4, 1
	v_lshlrev_b32_e32 v1, 3, v140
	s_mul_i32 s31, s15, 14
	s_mov_b32 s4, exec_lo
	s_delay_alu instid0(VALU_DEP_1)
	v_lshlrev_b32_e32 v137, 1, v1
	v_cmpx_gt_u32_e32 0xe0, v0
	s_cbranch_execz .LBB207_10
; %bb.9:
	s_load_b64 s[6:7], s[0:1], 0x0
	v_lshl_or_b32 v5, v141, 1, v138
	s_waitcnt lgkmcnt(0)
	s_mul_hi_i32 s9, s5, s16
	s_mul_i32 s8, s5, s16
	v_lshlrev_b32_e32 v6, 10, v140
	s_lshl_b64 s[8:9], s[8:9], 1
	v_add_lshl_u32 v1, v5, s31, 7
	v_lshlrev_b32_e32 v5, 6, v5
	v_lshlrev_b32_e32 v7, 10, v139
	v_and_b32_e32 v6, 0x3800, v6
	s_delay_alu instid0(VALU_DEP_4) | instskip(NEXT) | instid1(VALU_DEP_2)
	v_ashrrev_i32_e32 v2, 31, v1
	v_or3_b32 v5, v6, v7, v5
	s_delay_alu instid0(VALU_DEP_2) | instskip(SKIP_2) | instid1(VALU_DEP_1)
	v_lshlrev_b64 v[1:2], 1, v[1:2]
	s_add_u32 s5, s6, s8
	s_addc_u32 s6, s7, s9
	v_add_co_u32 v1, vcc_lo, s5, v1
	s_delay_alu instid0(VALU_DEP_2) | instskip(NEXT) | instid1(VALU_DEP_2)
	v_add_co_ci_u32_e32 v2, vcc_lo, s6, v2, vcc_lo
	v_add_co_u32 v1, vcc_lo, v1, v137
	s_delay_alu instid0(VALU_DEP_2)
	v_add_co_ci_u32_e32 v2, vcc_lo, 0, v2, vcc_lo
	global_load_b128 v[1:4], v[1:2], off
	s_waitcnt vmcnt(0)
	ds_store_b128 v5, v[1:4]
.LBB207_10:
	s_or_b32 exec_lo, exec_lo, s4
	v_and_b32_e32 v1, 0xef, v0
	s_waitcnt lgkmcnt(0)
	s_add_i32 s5, s28, 15
	s_clause 0x1
	s_load_b32 s4, s[0:1], 0x38
	s_load_b32 s33, s[0:1], 0x98
	s_ashr_i32 s6, s5, 31
	v_add_nc_u32_e32 v1, s29, v1
	s_lshr_b32 s6, s6, 28
	s_load_b32 s34, s[0:1], 0x1c
	s_add_i32 s5, s5, s6
	s_waitcnt lgkmcnt(0)
	v_ashrrev_i32_e32 v2, 31, v1
	v_cmp_gt_i32_e32 vcc_lo, s28, v1
	s_ashr_i32 s16, s5, 4
	s_barrier
	s_add_i32 s16, s16, -1
	v_lshrrev_b32_e32 v3, 28, v2
	v_or_b32_e32 v2, 16, v1
	buffer_gl0_inv
	v_add_nc_u32_e32 v105, -14, v140
	v_lshlrev_b32_e32 v106, 5, v140
	v_add_nc_u32_e32 v4, v1, v3
	v_add_nc_u32_e32 v3, v2, v3
	s_mul_i32 s4, s30, s4
	s_delay_alu instid0(SALU_CYCLE_1) | instskip(NEXT) | instid1(VALU_DEP_2)
	s_ashr_i32 s5, s4, 31
	v_ashrrev_i32_e32 v4, 4, v4
	s_delay_alu instid0(VALU_DEP_2)
	v_ashrrev_i32_e32 v3, 4, v3
	s_lshl_b64 s[4:5], s[4:5], 2
	v_lshl_or_b32 v125, v141, 9, v106
	s_add_u32 s35, s2, s4
	v_cndmask_b32_e32 v1, s16, v4, vcc_lo
	v_cmp_gt_i32_e32 vcc_lo, s28, v2
	s_addc_u32 s36, s3, s5
	s_mul_i32 s2, s15, s18
	s_delay_alu instid0(VALU_DEP_2) | instskip(SKIP_2) | instid1(SALU_CYCLE_1)
	v_ashrrev_i32_e32 v2, 31, v1
	v_cndmask_b32_e32 v3, s16, v3, vcc_lo
	s_ashr_i32 s3, s2, 31
	s_lshl_b64 s[2:3], s[2:3], 1
	s_delay_alu instid0(VALU_DEP_2) | instskip(NEXT) | instid1(VALU_DEP_2)
	v_lshlrev_b64 v[1:2], 2, v[1:2]
	v_ashrrev_i32_e32 v4, 31, v3
	s_add_u32 s24, s20, s2
	s_addc_u32 s25, s21, s3
	s_lshl_b32 s4, s14, 4
	s_delay_alu instid0(VALU_DEP_1) | instskip(SKIP_3) | instid1(VALU_DEP_3)
	v_lshlrev_b64 v[3:4], 2, v[3:4]
	v_add_co_u32 v1, vcc_lo, s35, v1
	v_add_co_ci_u32_e32 v2, vcc_lo, s36, v2, vcc_lo
	s_ashr_i32 s5, s4, 31
	v_add_co_u32 v3, vcc_lo, s35, v3
	s_delay_alu instid0(VALU_DEP_4)
	v_add_co_ci_u32_e32 v4, vcc_lo, s36, v4, vcc_lo
	s_lshl_b64 s[4:5], s[4:5], 2
	s_clause 0x1
	global_load_b32 v5, v[1:2], off
	global_load_b32 v6, v[3:4], off
	s_add_u32 s4, s35, s4
	s_addc_u32 s5, s36, s5
	s_or_b32 s6, s29, 16
	v_lshlrev_b32_e32 v3, 4, v0
	s_ashr_i32 s7, s6, 4
	s_cmp_lt_i32 s6, s28
	s_cselect_b32 s6, s7, s16
	s_delay_alu instid0(SALU_CYCLE_1) | instskip(NEXT) | instid1(SALU_CYCLE_1)
	s_ashr_i32 s7, s6, 31
	s_lshl_b64 s[6:7], s[6:7], 2
	s_delay_alu instid0(SALU_CYCLE_1) | instskip(SKIP_2) | instid1(SALU_CYCLE_1)
	s_add_u32 s6, s35, s6
	s_addc_u32 s7, s36, s7
	s_or_b32 s8, s29, 32
	s_ashr_i32 s9, s8, 4
	s_cmp_lt_i32 s8, s28
	s_cselect_b32 s8, s9, s16
	s_delay_alu instid0(SALU_CYCLE_1) | instskip(NEXT) | instid1(SALU_CYCLE_1)
	s_ashr_i32 s9, s8, 31
	s_lshl_b64 s[8:9], s[8:9], 2
	s_delay_alu instid0(SALU_CYCLE_1) | instskip(SKIP_2) | instid1(SALU_CYCLE_1)
	s_add_u32 s8, s35, s8
	s_addc_u32 s9, s36, s9
	s_or_b32 s10, s29, 48
	;; [unrolled: 10-line block ×4, first 2 shown]
	s_ashr_i32 s13, s12, 4
	s_cmp_lt_i32 s12, s28
	s_cselect_b32 s12, s13, s16
	s_delay_alu instid0(SALU_CYCLE_1) | instskip(NEXT) | instid1(SALU_CYCLE_1)
	s_ashr_i32 s13, s12, 31
	s_lshl_b64 s[12:13], s[12:13], 2
	s_delay_alu instid0(SALU_CYCLE_1)
	s_add_u32 s20, s35, s12
	s_addc_u32 s21, s36, s13
	s_clause 0x5
	s_load_b32 s37, s[4:5], 0x0
	s_load_b32 s27, s[6:7], 0x0
	s_load_b32 s26, s[8:9], 0x0
	s_load_b32 s13, s[10:11], 0x0
	s_load_b32 s12, s[18:19], 0x0
	s_load_b32 s15, s[20:21], 0x0
	s_waitcnt vmcnt(1)
	v_mad_i64_i32 v[1:2], null, v5, s17, 0
	v_and_b32_e32 v5, 0xf0, v3
	s_waitcnt vmcnt(0)
	v_mad_i64_i32 v[3:4], null, v6, s17, 0
	s_delay_alu instid0(VALU_DEP_2) | instskip(NEXT) | instid1(VALU_DEP_4)
	v_add_co_u32 v5, s4, s24, v5
	v_lshlrev_b64 v[1:2], 1, v[1:2]
	v_add_co_ci_u32_e64 v6, null, s25, 0, s4
	s_delay_alu instid0(VALU_DEP_4) | instskip(SKIP_1) | instid1(VALU_DEP_3)
	v_lshlrev_b64 v[3:4], 1, v[3:4]
	s_or_b32 s4, s29, 0x60
	v_add_co_u32 v121, vcc_lo, v5, v1
	s_delay_alu instid0(VALU_DEP_3) | instskip(NEXT) | instid1(VALU_DEP_3)
	v_add_co_ci_u32_e32 v122, vcc_lo, v6, v2, vcc_lo
	v_add_co_u32 v123, vcc_lo, v5, v3
	s_delay_alu instid0(VALU_DEP_4)
	v_add_co_ci_u32_e32 v124, vcc_lo, v6, v4, vcc_lo
	s_clause 0x19
	global_load_b128 v[89:92], v[121:122], off
	global_load_b128 v[93:96], v[121:122], off offset:256
	global_load_b128 v[97:100], v[123:124], off
	global_load_b128 v[101:104], v[123:124], off offset:256
	global_load_b128 v[81:84], v[121:122], off offset:512
	;; [unrolled: 1-line block ×23, first 2 shown]
	s_ashr_i32 s5, s4, 4
	s_cmp_lt_i32 s4, s28
	v_cmp_gt_u32_e32 vcc_lo, 14, v140
	s_cselect_b32 s4, s5, s16
	s_delay_alu instid0(SALU_CYCLE_1) | instskip(NEXT) | instid1(SALU_CYCLE_1)
	s_ashr_i32 s5, s4, 31
	s_lshl_b64 s[4:5], s[4:5], 2
	v_cndmask_b32_e32 v105, v105, v140, vcc_lo
	s_add_u32 s18, s35, s4
	s_addc_u32 s19, s36, s5
	s_or_b32 s4, s29, 0x70
	s_delay_alu instid0(SALU_CYCLE_1)
	s_ashr_i32 s5, s4, 4
	s_cmp_lt_i32 s4, s28
	v_lshlrev_b32_e32 v215, 6, v105
	s_cselect_b32 s6, s5, s16
	ds_load_b128 v[105:108], v215
	ds_load_b128 v[109:112], v215 offset:1024
	s_ashr_i32 s7, s6, 31
	ds_load_b128 v[113:116], v215 offset:2048
	ds_load_b128 v[117:120], v215 offset:3072
	;; [unrolled: 1-line block ×8, first 2 shown]
	s_clause 0x1
	global_load_b128 v[167:170], v[123:124], off offset:3072
	global_load_b128 v[171:174], v[123:124], off offset:3328
	s_lshl_b64 s[6:7], s[6:7], 2
	s_mov_b32 s4, 0
	s_add_u32 s20, s35, s6
	s_addc_u32 s21, s36, s7
	s_clause 0x1
	s_load_b32 s41, s[18:19], 0x0
	s_load_b32 s46, s[20:21], 0x0
	s_clause 0x3
	global_load_b128 v[175:178], v[121:122], off offset:3584
	global_load_b128 v[179:182], v[121:122], off offset:3840
	;; [unrolled: 1-line block ×4, first 2 shown]
	s_or_b32 s7, s29, 0x80
	s_mov_b32 s5, s4
	s_ashr_i32 s8, s7, 4
	s_cmp_lt_i32 s7, s28
	s_mov_b32 s6, s4
	s_cselect_b32 s10, s8, s16
	s_mov_b32 s7, s4
	s_ashr_i32 s11, s10, 31
	s_mov_b32 s8, s4
	s_lshl_b64 s[24:25], s[10:11], 2
	s_mov_b32 s9, s4
	s_add_u32 s24, s35, s24
	s_addc_u32 s25, s36, s25
	s_or_b32 s11, s29, 0x90
	s_mov_b32 s10, s4
	s_ashr_i32 s38, s11, 4
	s_cmp_lt_i32 s11, s28
	s_mov_b32 s11, s4
	s_cselect_b32 s38, s38, s16
	v_mov_b32_e32 v136, s11
	s_ashr_i32 s39, s38, 31
	v_dual_mov_b32 v135, s10 :: v_dual_mov_b32 v134, s9
	v_dual_mov_b32 v133, s8 :: v_dual_mov_b32 v132, s7
	;; [unrolled: 1-line block ×3, first 2 shown]
	v_mov_b32_e32 v129, s4
	s_lshl_b64 s[4:5], s[38:39], 2
	s_waitcnt lgkmcnt(0)
	s_mul_hi_i32 s7, s27, s17
	s_add_u32 s38, s35, s4
	s_addc_u32 s39, s36, s5
	s_or_b32 s4, s29, 0xa0
	s_load_b32 s40, s[38:39], 0x0
	s_ashr_i32 s5, s4, 4
	s_cmp_lt_i32 s4, s28
	s_cselect_b32 s4, s5, s16
	s_delay_alu instid0(SALU_CYCLE_1) | instskip(NEXT) | instid1(SALU_CYCLE_1)
	s_ashr_i32 s5, s4, 31
	s_lshl_b64 s[4:5], s[4:5], 2
	s_delay_alu instid0(SALU_CYCLE_1)
	s_add_u32 s42, s35, s4
	s_addc_u32 s43, s36, s5
	s_or_b32 s4, s29, 0xb0
	s_load_b32 s39, s[42:43], 0x0
	s_ashr_i32 s6, s4, 4
	s_cmp_lt_i32 s4, s28
	s_mul_hi_i32 s5, s37, s17
	s_cselect_b32 s8, s6, s16
	s_mul_i32 s6, s27, s17
	s_ashr_i32 s9, s8, 31
	s_mul_i32 s4, s37, s17
	s_lshl_b64 s[10:11], s[8:9], 2
	s_mul_hi_i32 s9, s26, s17
	s_add_u32 s44, s35, s10
	s_addc_u32 s45, s36, s11
	s_or_b32 s10, s29, 0xc0
	s_mul_i32 s8, s26, s17
	s_ashr_i32 s26, s10, 4
	s_cmp_lt_i32 s10, s28
	s_mul_hi_i32 s11, s13, s17
	s_cselect_b32 s26, s26, s16
	s_mul_i32 s10, s13, s17
	s_ashr_i32 s27, s26, 31
	s_mul_hi_i32 s13, s12, s17
	s_lshl_b64 s[26:27], s[26:27], 2
	s_mul_i32 s12, s12, s17
	s_add_u32 s20, s35, s26
	s_addc_u32 s21, s36, s27
	s_or_b32 s18, s29, 0xd0
	s_load_b32 s26, s[24:25], 0x0
	s_ashr_i32 s19, s18, 4
	s_cmp_lt_i32 s18, s28
	s_mul_i32 s18, s15, s17
	s_cselect_b32 s24, s19, s16
	s_mul_hi_i32 s19, s15, s17
	s_ashr_i32 s25, s24, 31
	s_delay_alu instid0(SALU_CYCLE_1) | instskip(NEXT) | instid1(SALU_CYCLE_1)
	s_lshl_b64 s[24:25], s[24:25], 2
	s_add_u32 s24, s35, s24
	s_addc_u32 s25, s36, s25
	s_or_b32 s42, s29, 0xe0
	s_clause 0x2
	s_load_b32 s38, s[44:45], 0x0
	s_load_b32 s37, s[20:21], 0x0
	;; [unrolled: 1-line block ×3, first 2 shown]
	s_ashr_i32 s43, s42, 4
	s_cmp_lt_i32 s42, s28
	s_mul_hi_i32 s25, s46, s17
	s_cselect_b32 s42, s43, s16
	s_mul_i32 s24, s46, s17
	s_ashr_i32 s43, s42, 31
	s_mul_hi_i32 s21, s41, s17
	s_lshl_b64 s[42:43], s[42:43], 2
	s_mul_i32 s20, s41, s17
	s_add_u32 s42, s35, s42
	s_addc_u32 s43, s36, s43
	s_or_b32 s46, s29, 0xf0
	s_waitcnt lgkmcnt(0)
	s_mul_hi_i32 s27, s26, s17
	s_ashr_i32 s47, s46, 4
	s_cmp_lt_i32 s46, s28
	s_mul_i32 s26, s26, s17
	s_cselect_b32 s46, s47, s16
	s_mul_hi_i32 s41, s40, s17
	s_ashr_i32 s47, s46, 31
	s_mul_hi_i32 s51, s15, s17
	s_lshl_b64 s[46:47], s[46:47], 2
	s_mul_i32 s50, s15, s17
	s_add_u32 s46, s35, s46
	s_addc_u32 s47, s36, s47
	s_add_u32 s15, s22, s2
	s_addc_u32 s16, s23, s3
	v_add_co_u32 v216, s15, s15, v125
	s_delay_alu instid0(VALU_DEP_1) | instskip(SKIP_2) | instid1(VALU_DEP_2)
	v_add_co_ci_u32_e64 v217, null, s16, 0, s15
	s_lshl_b64 s[2:3], s[4:5], 1
	s_lshl_b64 s[4:5], s[6:7], 1
	v_add_co_u32 v125, vcc_lo, v216, s2
	s_delay_alu instid0(VALU_DEP_2)
	v_add_co_ci_u32_e32 v126, vcc_lo, s3, v217, vcc_lo
	v_add_co_u32 v199, vcc_lo, v216, s4
	s_lshl_b64 s[6:7], s[8:9], 1
	v_add_co_ci_u32_e32 v200, vcc_lo, s5, v217, vcc_lo
	s_lshl_b64 s[8:9], s[10:11], 1
	s_lshl_b64 s[10:11], s[12:13], 1
	;; [unrolled: 1-line block ×6, first 2 shown]
	s_mul_i32 s40, s40, s17
	s_mul_hi_i32 s45, s39, s17
	s_lshl_b64 s[24:25], s[40:41], 1
	s_mul_i32 s44, s39, s17
	s_mul_hi_i32 s39, s38, s17
	s_lshl_b64 s[26:27], s[44:45], 1
	s_mul_i32 s38, s38, s17
	s_mul_hi_i32 s49, s37, s17
	s_mul_i32 s48, s37, s17
	s_lshl_b64 s[36:37], s[38:39], 1
	s_lshl_b64 s[38:39], s[48:49], 1
	s_clause 0x1
	s_load_b32 s15, s[42:43], 0x0
	s_load_b32 s16, s[46:47], 0x0
	s_lshl_b64 s[40:41], s[50:51], 1
	s_waitcnt lgkmcnt(0)
	s_mul_hi_i32 s3, s15, s17
	s_mul_i32 s2, s15, s17
	s_mul_hi_i32 s5, s16, s17
	s_lshl_b64 s[2:3], s[2:3], 1
	s_mul_i32 s4, s16, s17
	s_waitcnt vmcnt(30)
	v_wmma_f32_16x16x16_f16 v[191:198], v[89:96], v[105:112], v[129:136]
	v_add_co_u32 v89, vcc_lo, v216, s6
	v_add_co_ci_u32_e32 v90, vcc_lo, s7, v217, vcc_lo
	v_add_co_u32 v91, vcc_lo, v216, s8
	v_add_co_ci_u32_e32 v92, vcc_lo, s9, v217, vcc_lo
	;; [unrolled: 2-line block ×5, first 2 shown]
	v_add_co_u32 v205, vcc_lo, v216, s20
	s_waitcnt vmcnt(28)
	v_wmma_f32_16x16x16_f16 v[129:136], v[97:104], v[105:112], v[129:136]
	v_add_co_ci_u32_e32 v206, vcc_lo, s21, v217, vcc_lo
	v_add_co_u32 v207, vcc_lo, v216, s22
	v_add_co_ci_u32_e32 v208, vcc_lo, s23, v217, vcc_lo
	v_add_co_u32 v209, vcc_lo, v216, s24
	s_waitcnt vmcnt(26)
	v_wmma_f32_16x16x16_f16 v[191:198], v[81:88], v[113:120], v[191:198]
	s_waitcnt vmcnt(24)
	v_wmma_f32_16x16x16_f16 v[129:136], v[73:80], v[113:120], v[129:136]
	v_add_co_ci_u32_e32 v210, vcc_lo, s25, v217, vcc_lo
	v_add_co_u32 v211, vcc_lo, v216, s26
	v_add_co_ci_u32_e32 v212, vcc_lo, s27, v217, vcc_lo
	v_add_co_u32 v213, vcc_lo, v216, s36
	s_waitcnt vmcnt(22)
	v_wmma_f32_16x16x16_f16 v[191:198], v[65:72], v[143:150], v[191:198]
	s_waitcnt vmcnt(20)
	v_wmma_f32_16x16x16_f16 v[129:136], v[57:64], v[143:150], v[129:136]
	v_add_co_ci_u32_e32 v214, vcc_lo, s37, v217, vcc_lo
	v_add_co_u32 v143, vcc_lo, v216, s38
	s_waitcnt vmcnt(18)
	v_wmma_f32_16x16x16_f16 v[191:198], v[49:56], v[151:158], v[191:198]
	s_waitcnt vmcnt(16)
	v_wmma_f32_16x16x16_f16 v[129:136], v[25:32], v[151:158], v[129:136]
	v_add_co_ci_u32_e32 v144, vcc_lo, s39, v217, vcc_lo
	s_clause 0x15
	global_load_b128 v[121:124], v[125:126], off
	global_load_b128 v[125:128], v[125:126], off offset:16
	global_load_b128 v[113:116], v[199:200], off
	global_load_b128 v[117:120], v[199:200], off offset:16
	;; [unrolled: 2-line block ×11, first 2 shown]
	s_waitcnt vmcnt(36)
	v_wmma_f32_16x16x16_f16 v[191:198], v[1:8], v[159:166], v[191:198]
	s_clause 0x1
	global_load_b128 v[1:4], v[213:214], off
	global_load_b128 v[5:8], v[213:214], off offset:16
	s_waitcnt vmcnt(36)
	v_wmma_f32_16x16x16_f16 v[129:136], v[9:16], v[159:166], v[129:136]
	s_clause 0x1
	global_load_b128 v[9:12], v[143:144], off
	global_load_b128 v[13:16], v[143:144], off offset:16
	ds_load_b128 v[143:146], v215 offset:10240
	ds_load_b128 v[147:150], v215 offset:11264
	;; [unrolled: 1-line block ×4, first 2 shown]
	v_add_co_u32 v199, vcc_lo, v216, s40
	v_add_co_ci_u32_e32 v200, vcc_lo, s41, v217, vcc_lo
	v_add_co_u32 v159, vcc_lo, v216, s2
	v_add_co_ci_u32_e32 v160, vcc_lo, s3, v217, vcc_lo
	s_lshl_b64 s[2:3], s[4:5], 1
	s_delay_alu instid0(SALU_CYCLE_1)
	v_add_co_u32 v161, vcc_lo, v216, s2
	v_add_co_ci_u32_e32 v162, vcc_lo, s3, v217, vcc_lo
	s_waitcnt vmcnt(36) lgkmcnt(2)
	v_wmma_f32_16x16x16_f16 v[191:198], v[33:40], v[143:150], v[191:198]
	s_waitcnt vmcnt(34)
	v_wmma_f32_16x16x16_f16 v[129:136], v[41:48], v[143:150], v[129:136]
	s_clause 0x3
	global_load_b128 v[33:36], v[199:200], off
	global_load_b128 v[37:40], v[199:200], off offset:16
	global_load_b128 v[41:44], v[159:160], off
	global_load_b128 v[45:48], v[159:160], off offset:16
	v_and_b32_e32 v143, 0xe0, v0
	v_mbcnt_lo_u32_b32 v159, -1, 0
	s_waitcnt vmcnt(36) lgkmcnt(0)
	v_wmma_f32_16x16x16_f16 v[191:198], v[17:24], v[151:158], v[191:198]
	s_clause 0x1
	global_load_b128 v[17:20], v[161:162], off
	global_load_b128 v[21:24], v[161:162], off offset:16
	s_waitcnt vmcnt(36)
	v_wmma_f32_16x16x16_f16 v[129:136], v[167:174], v[151:158], v[129:136]
	v_add_nc_u32_e32 v160, s29, v143
	ds_load_b128 v[143:146], v215 offset:14336
	ds_load_b128 v[147:150], v215 offset:15360
	v_xor_b32_e32 v151, 16, v159
	s_waitcnt vmcnt(0) lgkmcnt(0)
	s_barrier
	v_or_b32_e32 v152, v160, v138
	buffer_gl0_inv
	v_cmp_gt_i32_e32 vcc_lo, 32, v151
	v_or_b32_e32 v153, 2, v152
	v_or_b32_e32 v154, 4, v152
	;; [unrolled: 1-line block ×5, first 2 shown]
	v_cmp_gt_i32_e64 s2, s28, v153
	v_cmp_gt_i32_e64 s3, s28, v154
	v_cmp_gt_i32_e64 s4, s28, v155
	v_or_b32_e32 v158, 12, v152
	v_cmp_gt_i32_e64 s5, s28, v156
	v_cmp_gt_i32_e64 s6, s28, v157
	v_wmma_f32_16x16x16_f16 v[191:198], v[175:182], v[143:150], v[191:198]
	v_wmma_f32_16x16x16_f16 v[129:136], v[183:190], v[143:150], v[129:136]
	v_cndmask_b32_e32 v151, v159, v151, vcc_lo
	v_cmp_gt_i32_e32 vcc_lo, s28, v152
	v_or_b32_e32 v159, 14, v152
	v_dual_mul_f32 v149, s34, v192 :: v_dual_mul_f32 v150, s34, v191
	v_dual_mul_f32 v147, s34, v194 :: v_dual_mul_f32 v148, s34, v193
	v_mul_f32_e32 v145, s34, v196
	s_delay_alu instid0(VALU_DEP_3) | instskip(NEXT) | instid1(VALU_DEP_4)
	v_cndmask_b32_e64 v149, 0xff7fffff, v149, s2
	v_cndmask_b32_e32 v150, 0xff7fffff, v150, vcc_lo
	v_mul_f32_e32 v146, s34, v195
	v_cndmask_b32_e64 v148, 0xff7fffff, v148, s3
	v_cndmask_b32_e64 v147, 0xff7fffff, v147, s4
	v_or_b32_e32 v160, 16, v152
	v_max3_f32 v149, v150, 0xff7fffff, v149
	v_or_b32_e32 v161, 18, v152
	v_dual_mul_f32 v143, s34, v198 :: v_dual_mul_f32 v144, s34, v197
	v_cndmask_b32_e64 v146, 0xff7fffff, v146, s5
	v_cndmask_b32_e64 v145, 0xff7fffff, v145, s6
	v_max3_f32 v147, v149, v148, v147
	v_cmp_gt_i32_e64 s7, s28, v158
	v_cmp_gt_i32_e64 s8, s28, v159
	v_or_b32_e32 v162, 20, v152
	v_or_b32_e32 v163, 22, v152
	v_dual_mul_f32 v174, s34, v130 :: v_dual_mul_f32 v175, s34, v129
	v_cndmask_b32_e64 v144, 0xff7fffff, v144, s7
	v_cndmask_b32_e64 v143, 0xff7fffff, v143, s8
	v_max3_f32 v145, v147, v146, v145
	v_cmp_gt_i32_e64 s9, s28, v160
	v_cmp_gt_i32_e64 s10, s28, v161
	v_or_b32_e32 v164, 24, v152
	v_or_b32_e32 v165, 26, v152
	v_dual_mul_f32 v172, s34, v132 :: v_dual_mul_f32 v173, s34, v131
	v_cndmask_b32_e64 v146, 0xff7fffff, v175, s9
	v_cndmask_b32_e64 v147, 0xff7fffff, v174, s10
	v_max3_f32 v143, v145, v144, v143
	v_cmp_gt_i32_e64 s11, s28, v162
	v_cmp_gt_i32_e64 s12, s28, v163
	v_or_b32_e32 v166, 28, v152
	v_or_b32_e32 v167, 30, v152
	v_dual_mul_f32 v170, s34, v134 :: v_dual_mul_f32 v171, s34, v133
	v_cndmask_b32_e64 v144, 0xff7fffff, v173, s11
	v_cndmask_b32_e64 v145, 0xff7fffff, v172, s12
	v_max3_f32 v143, v143, v146, v147
	v_cmp_gt_i32_e64 s13, s28, v164
	v_cmp_gt_i32_e64 s15, s28, v165
	v_dual_mul_f32 v168, s34, v136 :: v_dual_mul_f32 v169, s34, v135
	s_delay_alu instid0(VALU_DEP_4) | instskip(NEXT) | instid1(VALU_DEP_4)
	v_max3_f32 v143, v143, v144, v145
	v_cndmask_b32_e64 v146, 0xff7fffff, v171, s13
	s_delay_alu instid0(VALU_DEP_4) | instskip(SKIP_3) | instid1(VALU_DEP_4)
	v_cndmask_b32_e64 v147, 0xff7fffff, v170, s15
	v_cmp_gt_i32_e64 s16, s28, v166
	v_cmp_gt_i32_e64 s17, s28, v167
	v_lshlrev_b32_e32 v160, 2, v151
	v_max3_f32 v143, v143, v146, v147
	s_delay_alu instid0(VALU_DEP_4) | instskip(NEXT) | instid1(VALU_DEP_4)
	v_cndmask_b32_e64 v144, 0xff7fffff, v169, s16
	v_cndmask_b32_e64 v145, 0xff7fffff, v168, s17
	s_delay_alu instid0(VALU_DEP_1) | instskip(SKIP_3) | instid1(VALU_DEP_1)
	v_max3_f32 v143, v143, v144, v145
	ds_bpermute_b32 v144, v160, v143
	s_waitcnt lgkmcnt(0)
	v_max_f32_e32 v144, v144, v144
	v_max_f32_e32 v159, v143, v144
	s_delay_alu instid0(VALU_DEP_1) | instskip(SKIP_4) | instid1(VALU_DEP_4)
	v_fma_f32 v143, s34, v191, -v159
	v_fma_f32 v144, s34, v192, -v159
	;; [unrolled: 1-line block ×5, first 2 shown]
	v_dual_mul_f32 v143, 0x3fb8aa3b, v143 :: v_dual_mul_f32 v144, 0x3fb8aa3b, v144
	s_delay_alu instid0(VALU_DEP_4) | instskip(SKIP_2) | instid1(VALU_DEP_4)
	v_mul_f32_e32 v132, 0x3fb8aa3b, v132
	v_fma_f32 v134, s34, v134, -v159
	v_mul_f32_e32 v145, 0x3fb8aa3b, v145
	v_exp_f32_e32 v143, v143
	v_exp_f32_e32 v147, v144
	v_fma_f32 v148, s34, v195, -v159
	v_mul_f32_e32 v134, 0x3fb8aa3b, v134
	v_mul_f32_e32 v146, 0x3fb8aa3b, v146
	v_exp_f32_e32 v145, v145
	v_fma_f32 v149, s34, v196, -v159
	v_mul_f32_e32 v148, 0x3fb8aa3b, v148
	v_fma_f32 v151, s34, v197, -v159
	v_exp_f32_e32 v150, v146
	v_cndmask_b32_e32 v144, 0, v143, vcc_lo
	v_cndmask_b32_e64 v143, 0, v147, s2
	v_mul_f32_e32 v149, 0x3fb8aa3b, v149
	v_exp_f32_e32 v148, v148
	v_fma_f32 v152, s34, v198, -v159
	v_add_f32_e32 v147, 0, v144
	v_cndmask_b32_e64 v146, 0, v145, s3
	v_mul_f32_e32 v151, 0x3fb8aa3b, v151
	v_exp_f32_e32 v149, v149
	v_cndmask_b32_e64 v145, 0, v150, s4
	v_add_f32_e32 v147, v147, v143
	v_fma_f32 v129, s34, v129, -v159
	v_mul_f32_e32 v150, 0x3fb8aa3b, v152
	v_exp_f32_e32 v151, v151
	v_cndmask_b32_e64 v148, 0, v148, s5
	v_add_f32_e32 v147, v147, v146
	v_fma_f32 v130, s34, v130, -v159
	v_mul_f32_e32 v129, 0x3fb8aa3b, v129
	v_exp_f32_e32 v153, v150
	v_fma_f32 v131, s34, v131, -v159
	v_add_f32_e32 v152, v147, v145
	v_cndmask_b32_e64 v147, 0, v149, s6
	v_mul_f32_e32 v130, 0x3fb8aa3b, v130
	v_exp_f32_e32 v129, v129
	v_cndmask_b32_e64 v150, 0, v151, s7
	v_add_f32_e32 v149, v152, v148
	v_mul_f32_e32 v131, 0x3fb8aa3b, v131
	v_exp_f32_e32 v130, v130
	v_fma_f32 v133, s34, v133, -v159
	v_exp_f32_e32 v132, v132
	v_add_f32_e32 v151, v149, v147
	v_cndmask_b32_e64 v149, 0, v153, s8
	v_exp_f32_e32 v131, v131
	v_cndmask_b32_e64 v152, 0, v129, s9
	v_mul_f32_e32 v133, 0x3fb8aa3b, v133
	v_add_f32_e32 v151, v151, v150
	s_mov_b32 s2, exec_lo
	s_delay_alu instid0(VALU_DEP_2) | instskip(NEXT) | instid1(VALU_DEP_1)
	v_exp_f32_e32 v133, v133
	v_add_f32_e32 v129, v151, v149
	v_cndmask_b32_e64 v151, 0, v130, s10
	v_fma_f32 v130, s34, v135, -v159
	s_delay_alu instid0(TRANS32_DEP_2)
	v_cndmask_b32_e64 v154, 0, v131, s11
	v_exp_f32_e32 v131, v134
	v_add_f32_e32 v129, v129, v152
	v_cndmask_b32_e64 v153, 0, v132, s12
	v_mul_f32_e32 v130, 0x3fb8aa3b, v130
	v_fma_f32 v132, s34, v136, -v159
	v_cndmask_b32_e64 v156, 0, v133, s13
	v_add_f32_e32 v129, v129, v151
	s_delay_alu instid0(VALU_DEP_4) | instskip(NEXT) | instid1(VALU_DEP_3)
	v_exp_f32_e32 v130, v130
	v_mul_f32_e32 v132, 0x3fb8aa3b, v132
	s_delay_alu instid0(TRANS32_DEP_2) | instskip(NEXT) | instid1(VALU_DEP_3)
	v_cndmask_b32_e64 v155, 0, v131, s15
	v_add_f32_e32 v129, v129, v154
	s_delay_alu instid0(VALU_DEP_3) | instskip(NEXT) | instid1(VALU_DEP_1)
	v_exp_f32_e32 v131, v132
	v_add_f32_e32 v129, v129, v153
	s_waitcnt_depctr 0xfff
	v_cndmask_b32_e64 v158, 0, v130, s16
	v_add_f32_e32 v129, v129, v156
	v_cndmask_b32_e64 v157, 0, v131, s17
	s_delay_alu instid0(VALU_DEP_2) | instskip(NEXT) | instid1(VALU_DEP_1)
	v_add_f32_e32 v129, v129, v155
	v_add_f32_e32 v129, v129, v158
	s_delay_alu instid0(VALU_DEP_1)
	v_add_f32_e32 v129, v129, v157
	ds_bpermute_b32 v130, v160, v129
	v_cmpx_gt_u32_e32 16, v142
	s_cbranch_execz .LBB207_12
; %bb.11:
	v_mul_u32_u24_e32 v131, 0x44, v141
	s_delay_alu instid0(VALU_DEP_1) | instskip(SKIP_1) | instid1(VALU_DEP_1)
	v_lshl_add_u32 v131, v140, 2, v131
	s_waitcnt lgkmcnt(0)
	v_dual_add_f32 v129, v129, v130 :: v_dual_add_nc_u32 v130, 0x4000, v131
	ds_store_2addr_b32 v130, v159, v129 offset1:136
.LBB207_12:
	s_or_b32 exec_lo, exec_lo, s2
	v_lshlrev_b32_e32 v129, 2, v140
	s_load_b32 s34, s[0:1], 0x94
	s_waitcnt lgkmcnt(0)
	s_barrier
	buffer_gl0_inv
	v_add_nc_u32_e32 v135, 0x4000, v129
	v_cmp_eq_u32_e32 vcc_lo, 1, v141
	v_cmp_eq_u32_e64 s2, 2, v141
	v_cmp_eq_u32_e64 s3, 3, v141
	;; [unrolled: 1-line block ×3, first 2 shown]
	ds_load_2addr_b32 v[129:130], v135 offset1:17
	ds_load_2addr_b32 v[131:132], v135 offset0:34 offset1:51
	ds_load_2addr_b32 v[133:134], v135 offset0:68 offset1:85
	;; [unrolled: 1-line block ×3, first 2 shown]
	v_cmp_eq_u32_e64 s5, 5, v141
	v_cmp_eq_u32_e64 s6, 7, v141
	s_waitcnt lgkmcnt(3)
	v_max3_f32 v136, v129, 0xff7fffff, v130
	s_waitcnt lgkmcnt(2)
	s_delay_alu instid0(VALU_DEP_1) | instskip(SKIP_1) | instid1(VALU_DEP_1)
	v_max3_f32 v136, v136, v131, v132
	s_waitcnt lgkmcnt(1)
	v_max3_f32 v136, v136, v133, v134
	s_waitcnt lgkmcnt(0)
	s_delay_alu instid0(VALU_DEP_1) | instskip(NEXT) | instid1(VALU_DEP_1)
	v_max3_f32 v136, v136, v159, v160
	v_sub_f32_e32 v142, v130, v136
	ds_load_2addr_b32 v[161:162], v135 offset0:136 offset1:153
	v_sub_f32_e32 v164, v132, v136
	v_mul_f32_e32 v142, 0x3fb8aa3b, v142
	s_delay_alu instid0(VALU_DEP_2) | instskip(NEXT) | instid1(VALU_DEP_2)
	v_mul_f32_e32 v164, 0x3fb8aa3b, v164
	v_exp_f32_e32 v166, v142
	v_sub_f32_e32 v129, v129, v136
	s_delay_alu instid0(VALU_DEP_2) | instskip(NEXT) | instid1(VALU_DEP_1)
	v_exp_f32_e32 v164, v164
	v_mul_f32_e32 v163, 0x3fb8aa3b, v129
	ds_load_2addr_b32 v[129:130], v135 offset0:170 offset1:187
	v_exp_f32_e32 v163, v163
	s_waitcnt lgkmcnt(1)
	s_waitcnt_depctr 0xfff
	v_fma_f32 v142, v163, v161, 0
	v_sub_f32_e32 v161, v134, v136
	s_delay_alu instid0(VALU_DEP_2) | instskip(NEXT) | instid1(VALU_DEP_1)
	v_dual_fmac_f32 v142, v166, v162 :: v_dual_sub_f32 v131, v131, v136
	v_mul_f32_e32 v165, 0x3fb8aa3b, v131
	ds_load_2addr_b32 v[131:132], v135 offset0:204 offset1:221
	v_exp_f32_e32 v165, v165
	s_waitcnt lgkmcnt(1)
	s_waitcnt_depctr 0xfff
	v_fmac_f32_e32 v142, v165, v129
	v_sub_f32_e32 v133, v133, v136
	v_sub_f32_e32 v129, v160, v136
	s_delay_alu instid0(VALU_DEP_2) | instskip(NEXT) | instid1(VALU_DEP_2)
	v_dual_fmac_f32 v142, v164, v130 :: v_dual_mul_f32 v167, 0x3fb8aa3b, v133
	v_mul_f32_e32 v129, 0x3fb8aa3b, v129
	ds_load_2addr_b32 v[133:134], v135 offset0:238 offset1:255
	v_cndmask_b32_e32 v130, v163, v166, vcc_lo
	s_waitcnt lgkmcnt(0)
	s_barrier
	v_exp_f32_e32 v162, v129
	v_sub_f32_e32 v135, v159, v136
	v_mul_f32_e32 v159, 0x3fb8aa3b, v161
	v_exp_f32_e32 v161, v167
	buffer_gl0_inv
	v_exp_f32_e32 v159, v159
	v_fmac_f32_e32 v142, v161, v131
	s_waitcnt_depctr 0xfff
	v_dual_mul_f32 v135, 0x3fb8aa3b, v135 :: v_dual_fmac_f32 v142, v159, v132
	s_delay_alu instid0(VALU_DEP_1) | instskip(SKIP_2) | instid1(VALU_DEP_1)
	v_exp_f32_e32 v160, v135
	s_waitcnt_depctr 0xfff
	v_dual_fmac_f32 v142, v160, v133 :: v_dual_lshlrev_b32 v133, 6, v140
	v_fmac_f32_e32 v142, v162, v134
	s_delay_alu instid0(VALU_DEP_2) | instskip(NEXT) | instid1(VALU_DEP_2)
	v_lshl_or_b32 v135, v141, 11, v133
	v_add_f32_e32 v134, 0x358637bd, v142
	s_delay_alu instid0(VALU_DEP_1) | instskip(SKIP_1) | instid1(VALU_DEP_2)
	v_div_scale_f32 v167, null, v134, v134, 1.0
	v_div_scale_f32 v163, vcc_lo, 1.0, v134, 1.0
	v_rcp_f32_e32 v168, v167
	s_waitcnt_depctr 0xfff
	v_fma_f32 v129, -v167, v168, 1.0
	s_delay_alu instid0(VALU_DEP_1) | instskip(SKIP_2) | instid1(VALU_DEP_2)
	v_fmac_f32_e32 v168, v129, v168
	v_cndmask_b32_e64 v129, v130, v165, s2
	v_cmp_eq_u32_e64 s2, 6, v141
	v_cndmask_b32_e64 v130, v129, v164, s3
	v_lshlrev_b32_e32 v129, 2, v138
	v_mul_f32_e32 v165, v163, v168
	s_delay_alu instid0(VALU_DEP_3) | instskip(NEXT) | instid1(VALU_DEP_3)
	v_cndmask_b32_e64 v161, v130, v161, s4
	v_or_b32_e32 v130, 1, v129
	s_delay_alu instid0(VALU_DEP_3)
	v_fma_f32 v131, -v167, v165, v163
	v_or_b32_e32 v132, 2, v129
	v_cmp_eq_u32_e64 s3, 1, v129
	v_cndmask_b32_e64 v141, v161, v159, s5
	v_cmp_eq_u32_e64 s8, 1, v130
	v_fmac_f32_e32 v165, v131, v168
	v_or_b32_e32 v131, 3, v129
	v_cmp_eq_u32_e64 s9, 1, v132
	v_cndmask_b32_e64 v141, v141, v160, s2
	v_cmp_eq_u32_e64 s4, 2, v129
	v_fma_f32 v159, -v167, v165, v163
	v_cmp_eq_u32_e64 s10, 1, v131
	v_cmp_eq_u32_e64 s15, 2, v131
	v_cndmask_b32_e64 v141, v141, v162, s6
	v_cmp_eq_u32_e64 s11, 2, v130
	v_div_fmas_f32 v159, v159, v168, v165
	v_cmp_eq_u32_e64 s17, 3, v131
	v_cmp_eq_u32_e32 vcc_lo, 3, v129
	v_cmp_eq_u32_e64 s12, 3, v130
	v_cmp_eq_u32_e64 s13, 2, v132
	v_div_fixup_f32 v159, v159, v134, 1.0
	v_lshl_or_b32 v134, v138, 4, v135
	v_cmp_eq_u32_e64 s21, 4, v131
	v_cmp_eq_u32_e64 s2, 4, v129
	;; [unrolled: 1-line block ×3, first 2 shown]
	v_mul_f32_e32 v141, v141, v159
	v_cmp_eq_u32_e64 s18, 4, v130
	v_cmp_eq_u32_e64 s23, 5, v131
	;; [unrolled: 1-line block ×4, first 2 shown]
	v_fma_mixlo_f16 v159, v141, v144, 0
	v_fma_mixlo_f16 v160, v141, v146, 0
	;; [unrolled: 1-line block ×8, first 2 shown]
	v_fma_mixhi_f16 v159, v141, v143, 0
	v_fma_mixhi_f16 v160, v141, v145, 0
	;; [unrolled: 1-line block ×8, first 2 shown]
	ds_store_b128 v134, v[159:162]
	ds_store_b128 v134, v[163:166] offset:1024
	s_waitcnt lgkmcnt(0)
	s_barrier
	buffer_gl0_inv
	ds_load_b128 v[143:146], v135
	ds_load_b128 v[147:150], v135 offset:16
	ds_load_b128 v[151:154], v135 offset:1024
	;; [unrolled: 1-line block ×3, first 2 shown]
	v_cmp_eq_u32_e64 s20, 4, v132
	v_cmp_eq_u32_e64 s26, 6, v131
	;; [unrolled: 1-line block ×10, first 2 shown]
	s_waitcnt lgkmcnt(3)
	v_lshrrev_b32_e32 v141, 16, v143
	s_waitcnt lgkmcnt(2)
	v_lshrrev_b32_e32 v162, 16, v147
	v_lshrrev_b32_e32 v159, 16, v144
	;; [unrolled: 1-line block ×3, first 2 shown]
	s_waitcnt lgkmcnt(1)
	v_lshrrev_b32_e32 v166, 16, v151
	v_cndmask_b32_e64 v174, v143, v141, s3
	v_cndmask_b32_e64 v176, v143, v141, s8
	;; [unrolled: 1-line block ×5, first 2 shown]
	s_waitcnt lgkmcnt(0)
	v_lshrrev_b32_e32 v170, 16, v155
	v_cndmask_b32_e64 v175, v147, v162, s3
	v_cndmask_b32_e64 v177, v147, v162, s8
	;; [unrolled: 1-line block ×19, first 2 shown]
	v_lshrrev_b32_e32 v160, 16, v145
	v_lshrrev_b32_e32 v164, 16, v149
	;; [unrolled: 1-line block ×4, first 2 shown]
	v_cndmask_b32_e64 v176, v178, v144, s13
	v_cndmask_b32_e64 v177, v179, v148, s13
	v_cndmask_b32_e64 v144, v147, v152, s4
	v_cndmask_b32_e64 v147, v162, v156, s4
	v_cndmask_b32_e64 v148, v180, v152, s11
	v_cndmask_b32_e64 v162, v182, v152, s13
	v_cndmask_b32_e64 v151, v151, v152, s15
	v_cndmask_b32_e64 v152, v155, v156, s15
	v_cndmask_b32_e32 v155, v166, v159, vcc_lo
	v_cndmask_b32_e32 v166, v170, v163, vcc_lo
	v_cndmask_b32_e64 v170, v174, v159, s12
	v_cndmask_b32_e64 v174, v175, v163, s12
	v_cndmask_b32_e64 v141, v141, v145, s21
	v_cndmask_b32_e64 v143, v143, v149, s21
	v_cndmask_b32_e64 v175, v176, v159, s16
	v_cndmask_b32_e64 v176, v177, v163, s16
	v_cndmask_b32_e32 v144, v144, v167, vcc_lo
	v_cndmask_b32_e32 v147, v147, v171, vcc_lo
	v_cndmask_b32_e64 v148, v148, v167, s12
	v_cndmask_b32_e64 v155, v155, v145, s2
	;; [unrolled: 1-line block ×7, first 2 shown]
	v_lshrrev_b32_e32 v161, 16, v146
	v_lshrrev_b32_e32 v165, 16, v150
	;; [unrolled: 1-line block ×4, first 2 shown]
	v_cndmask_b32_e64 v170, v175, v145, s20
	v_cndmask_b32_e64 v174, v176, v149, s20
	;; [unrolled: 1-line block ×22, first 2 shown]
	v_lshrrev_b32_e32 v169, 16, v154
	v_cndmask_b32_e64 v160, v163, v146, s25
	v_cndmask_b32_e64 v163, v166, v150, s25
	;; [unrolled: 1-line block ×9, first 2 shown]
	v_perm_b32 v146, v143, v141, 0x5040100
	v_cndmask_b32_e64 v141, v183, v156, s13
	v_cndmask_b32_e64 v143, v181, v156, s11
	;; [unrolled: 1-line block ×4, first 2 shown]
	v_perm_b32 v144, v159, v149, 0x5040100
	v_cndmask_b32_e64 v149, v162, v167, s16
	v_cndmask_b32_e64 v151, v151, v167, s17
	;; [unrolled: 1-line block ×15, first 2 shown]
	v_lshrrev_b32_e32 v173, 16, v158
	v_cndmask_b32_e64 v149, v149, v154, s25
	v_cndmask_b32_e64 v151, v151, v154, s26
	;; [unrolled: 1-line block ×13, first 2 shown]
	v_perm_b32 v145, v160, v155, 0x5040100
	v_perm_b32 v143, v148, v147, 0x5040100
	;; [unrolled: 1-line block ×6, first 2 shown]
	s_mul_i32 s6, s33, 14
	s_mov_b32 s2, exec_lo
	ds_store_b128 v134, v[143:146]
	ds_store_b128 v134, v[147:150] offset:1024
	v_cmpx_gt_u32_e32 14, v0
	s_cbranch_execz .LBB207_14
; %bb.13:
	s_mul_i32 s3, s6, s30
	s_load_b128 s[8:11], s[0:1], 0x58
	v_add3_u32 v143, s3, s31, v140
	s_delay_alu instid0(VALU_DEP_1) | instskip(NEXT) | instid1(VALU_DEP_1)
	v_mad_u64_u32 v[140:141], null, v143, s34, s[14:15]
	v_ashrrev_i32_e32 v141, 31, v140
	s_delay_alu instid0(VALU_DEP_1) | instskip(SKIP_1) | instid1(VALU_DEP_1)
	v_lshlrev_b64 v[140:141], 2, v[140:141]
	s_waitcnt lgkmcnt(0)
	v_add_co_u32 v143, vcc_lo, s10, v140
	s_delay_alu instid0(VALU_DEP_2)
	v_add_co_ci_u32_e32 v144, vcc_lo, s11, v141, vcc_lo
	v_add_co_u32 v140, vcc_lo, s8, v140
	v_add_co_ci_u32_e32 v141, vcc_lo, s9, v141, vcc_lo
	global_store_b32 v[143:144], v136, off
	global_store_b32 v[140:141], v142, off
.LBB207_14:
	s_or_b32 exec_lo, exec_lo, s2
	s_waitcnt lgkmcnt(0)
	s_waitcnt_vscnt null, 0x0
	s_barrier
	buffer_gl0_inv
	ds_load_b128 v[148:151], v133
	ds_load_b128 v[152:155], v133 offset:16
	ds_load_b128 v[160:163], v133 offset:1040
	;; [unrolled: 1-line block ×5, first 2 shown]
	v_cmp_eq_u32_e32 vcc_lo, 1, v132
	v_mov_b32_e32 v140, 0
	ds_load_b128 v[176:179], v133 offset:3088
	ds_load_b128 v[172:175], v133 offset:3072
	;; [unrolled: 1-line block ×4, first 2 shown]
	v_cmp_eq_u32_e64 s2, 1, v129
	v_cmp_eq_u32_e64 s3, 1, v131
	;; [unrolled: 1-line block ×3, first 2 shown]
	v_mov_b32_e32 v141, v140
	v_mov_b32_e32 v142, v140
	;; [unrolled: 1-line block ×7, first 2 shown]
	v_cmp_eq_u32_e64 s5, 2, v129
	s_waitcnt lgkmcnt(8)
	s_delay_alu instid0(VALU_DEP_2)
	v_wmma_f32_16x16x16_f16 v[140:147], v[121:128], v[148:155], v[140:147]
	ds_load_b128 v[125:128], v133 offset:5136
	ds_load_b128 v[121:124], v133 offset:5120
	s_waitcnt lgkmcnt(8)
	v_wmma_f32_16x16x16_f16 v[140:147], v[113:120], v[156:163], v[140:147]
	ds_load_b128 v[117:120], v133 offset:6160
	ds_load_b128 v[113:116], v133 offset:6144
	s_waitcnt lgkmcnt(8)
	;; [unrolled: 4-line block ×11, first 2 shown]
	s_barrier
	buffer_gl0_inv
	v_wmma_f32_16x16x16_f16 v[140:147], v[1:8], v[73:80], v[140:147]
	s_delay_alu instid0(VALU_DEP_1) | instskip(NEXT) | instid1(VALU_DEP_1)
	v_wmma_f32_16x16x16_f16 v[140:147], v[9:16], v[65:72], v[140:147]
	v_wmma_f32_16x16x16_f16 v[140:147], v[33:40], v[57:64], v[140:147]
	s_delay_alu instid0(VALU_DEP_1) | instskip(NEXT) | instid1(VALU_DEP_1)
	v_wmma_f32_16x16x16_f16 v[140:147], v[41:48], v[49:56], v[140:147]
	v_wmma_f32_16x16x16_f16 v[140:147], v[17:24], v[25:32], v[140:147]
	s_delay_alu instid0(VALU_DEP_1) | instskip(NEXT) | instid1(VALU_DEP_2)
	v_cvt_f16_f32_e64 v1, v140
	v_cvt_f16_f32_e64 v2, v141
	s_delay_alu instid0(VALU_DEP_3) | instskip(NEXT) | instid1(VALU_DEP_4)
	v_cvt_f16_f32_e64 v3, v142
	v_cvt_f16_f32_e64 v4, v143
	;; [unrolled: 1-line block ×6, first 2 shown]
	v_pack_b32_f16 v1, v1, v2
	v_pack_b32_f16 v2, v3, v4
	;; [unrolled: 1-line block ×3, first 2 shown]
	s_delay_alu instid0(VALU_DEP_4)
	v_pack_b32_f16 v4, v7, v8
	ds_store_b128 v134, v[1:4]
	s_waitcnt lgkmcnt(0)
	s_barrier
	buffer_gl0_inv
	ds_load_b128 v[1:4], v135
	ds_load_b128 v[5:8], v135 offset:16
	s_waitcnt lgkmcnt(1)
	v_lshrrev_b32_e32 v9, 16, v1
	s_waitcnt lgkmcnt(0)
	v_lshrrev_b32_e32 v13, 16, v5
	v_lshrrev_b32_e32 v10, 16, v2
	;; [unrolled: 1-line block ×4, first 2 shown]
	v_cndmask_b32_e64 v17, v1, v9, s2
	v_cndmask_b32_e64 v18, v5, v13, s2
	;; [unrolled: 1-line block ×3, first 2 shown]
	v_cmp_eq_u32_e64 s2, 2, v130
	v_cndmask_b32_e64 v20, v5, v13, s4
	v_cndmask_b32_e32 v21, v1, v9, vcc_lo
	v_cndmask_b32_e32 v22, v5, v13, vcc_lo
	v_cndmask_b32_e64 v1, v1, v9, s3
	v_cndmask_b32_e64 v5, v5, v13, s3
	v_cmp_eq_u32_e32 vcc_lo, 2, v132
	v_cmp_eq_u32_e64 s3, 2, v131
	v_cndmask_b32_e64 v9, v17, v2, s5
	v_cndmask_b32_e64 v13, v18, v6, s5
	v_cndmask_b32_e64 v17, v19, v2, s2
	v_cndmask_b32_e64 v18, v20, v6, s2
	v_cndmask_b32_e32 v19, v21, v2, vcc_lo
	v_cmp_eq_u32_e64 s2, 3, v132
	v_cndmask_b32_e32 v20, v22, v6, vcc_lo
	v_cndmask_b32_e64 v1, v1, v2, s3
	v_cmp_eq_u32_e32 vcc_lo, 3, v131
	v_cmp_eq_u32_e64 s4, 3, v129
	v_cndmask_b32_e64 v2, v5, v6, s3
	v_cmp_eq_u32_e64 s3, 3, v130
	v_cmp_eq_u32_e64 s5, 4, v129
	v_cndmask_b32_e32 v1, v1, v10, vcc_lo
	v_cndmask_b32_e64 v5, v9, v10, s4
	v_cndmask_b32_e64 v6, v13, v14, s4
	v_cndmask_b32_e64 v9, v17, v10, s3
	v_cmp_eq_u32_e64 s4, 4, v130
	v_cndmask_b32_e64 v13, v18, v14, s3
	v_cndmask_b32_e64 v17, v19, v10, s2
	;; [unrolled: 1-line block ×3, first 2 shown]
	v_cndmask_b32_e32 v2, v2, v14, vcc_lo
	v_cmp_eq_u32_e32 vcc_lo, 4, v132
	v_cmp_eq_u32_e64 s3, 4, v131
	v_lshrrev_b32_e32 v15, 16, v7
	v_cndmask_b32_e64 v5, v5, v3, s5
	v_cndmask_b32_e64 v6, v6, v7, s5
	v_cndmask_b32_e32 v14, v18, v7, vcc_lo
	v_cndmask_b32_e64 v9, v9, v3, s4
	v_cndmask_b32_e64 v10, v13, v7, s4
	v_cndmask_b32_e32 v13, v17, v3, vcc_lo
	v_cmp_eq_u32_e64 s2, 5, v132
	v_cndmask_b32_e64 v1, v1, v3, s3
	v_cmp_eq_u32_e32 vcc_lo, 5, v131
	v_cmp_eq_u32_e64 s4, 5, v129
	v_cndmask_b32_e64 v2, v2, v7, s3
	v_cmp_eq_u32_e64 s3, 5, v130
	v_cmp_eq_u32_e64 s5, 6, v129
	v_lshrrev_b32_e32 v12, 16, v4
	v_cndmask_b32_e64 v3, v5, v11, s4
	v_cndmask_b32_e64 v5, v6, v15, s4
	;; [unrolled: 1-line block ×3, first 2 shown]
	v_cmp_eq_u32_e64 s4, 6, v130
	v_cndmask_b32_e64 v7, v10, v15, s3
	v_cndmask_b32_e64 v9, v13, v11, s2
	;; [unrolled: 1-line block ×3, first 2 shown]
	v_cndmask_b32_e32 v1, v1, v11, vcc_lo
	v_cndmask_b32_e32 v2, v2, v15, vcc_lo
	v_cmp_eq_u32_e32 vcc_lo, 6, v132
	v_cmp_eq_u32_e64 s2, 6, v131
	v_lshrrev_b32_e32 v16, 16, v8
	v_cndmask_b32_e64 v3, v3, v4, s5
	v_cndmask_b32_e64 v5, v5, v8, s5
	v_cndmask_b32_e32 v9, v9, v4, vcc_lo
	v_cndmask_b32_e64 v6, v6, v4, s4
	v_cndmask_b32_e64 v7, v7, v8, s4
	v_cmp_eq_u32_e64 s3, 7, v132
	v_cndmask_b32_e32 v10, v10, v8, vcc_lo
	v_cndmask_b32_e64 v1, v1, v4, s2
	v_cmp_eq_u32_e32 vcc_lo, 7, v131
	v_cndmask_b32_e64 v2, v2, v8, s2
	v_cmp_eq_u32_e64 s2, 7, v129
	v_cmp_eq_u32_e64 s4, 7, v130
	v_cndmask_b32_e32 v1, v1, v12, vcc_lo
	s_delay_alu instid0(VALU_DEP_4) | instskip(NEXT) | instid1(VALU_DEP_4)
	v_cndmask_b32_e32 v2, v2, v16, vcc_lo
	v_cndmask_b32_e64 v8, v3, v12, s2
	s_delay_alu instid0(VALU_DEP_4)
	v_cndmask_b32_e64 v6, v6, v12, s4
	v_cndmask_b32_e64 v3, v9, v12, s3
	;; [unrolled: 1-line block ×5, first 2 shown]
	v_perm_b32 v4, v2, v1, 0x5040100
	s_mov_b32 s2, exec_lo
	v_perm_b32 v3, v9, v3, 0x5040100
	v_perm_b32 v2, v7, v6, 0x5040100
	;; [unrolled: 1-line block ×3, first 2 shown]
	ds_store_b128 v134, v[1:4]
	s_waitcnt lgkmcnt(0)
	s_barrier
	buffer_gl0_inv
	v_cmpx_gt_u32_e32 32, v0
	s_cbranch_execz .LBB207_2
; %bb.15:
	s_load_b64 s[0:1], s[0:1], 0x68
	v_lshlrev_b32_e32 v0, 10, v0
	s_lshl_b32 s4, s34, 7
	v_or_b32_e32 v3, s31, v138
	s_mul_i32 s2, s4, s30
	v_lshlrev_b32_e32 v1, 4, v139
	v_lshlrev_b32_e32 v2, 6, v138
	v_and_b32_e32 v0, 0x3800, v0
	s_mul_i32 s2, s2, s6
	v_mul_lo_u32 v8, v3, s4
	s_ashr_i32 s3, s2, 31
	s_delay_alu instid0(SALU_CYCLE_1)
	s_lshl_b64 s[2:3], s[2:3], 1
	v_or3_b32 v16, v0, v1, v2
	ds_load_b128 v[0:3], v16
	ds_load_b128 v[4:7], v16 offset:128
	v_ashrrev_i32_e32 v9, 31, v8
	s_waitcnt lgkmcnt(0)
	s_add_u32 s2, s0, s2
	s_addc_u32 s3, s1, s3
	s_lshl_b32 s0, s14, 7
	s_delay_alu instid0(SALU_CYCLE_1) | instskip(SKIP_2) | instid1(SALU_CYCLE_1)
	s_ashr_i32 s1, s0, 31
	v_lshlrev_b64 v[9:10], 1, v[8:9]
	s_lshl_b64 s[0:1], s[0:1], 1
	s_add_u32 s0, s2, s0
	s_addc_u32 s1, s3, s1
	s_lshl_b32 s2, s34, 8
	v_add_co_u32 v30, s0, s0, v137
	v_add_nc_u32_e32 v11, s2, v8
	v_add_co_ci_u32_e64 v31, null, s1, 0, s0
	s_delay_alu instid0(VALU_DEP_3) | instskip(NEXT) | instid1(VALU_DEP_3)
	v_add_co_u32 v9, vcc_lo, v30, v9
	v_add_nc_u32_e32 v8, s2, v11
	s_delay_alu instid0(VALU_DEP_3) | instskip(SKIP_1) | instid1(VALU_DEP_3)
	v_add_co_ci_u32_e32 v10, vcc_lo, v31, v10, vcc_lo
	v_ashrrev_i32_e32 v12, 31, v11
	v_add_nc_u32_e32 v13, s2, v8
	global_store_b128 v[9:10], v[0:3], off
	v_ashrrev_i32_e32 v9, 31, v8
	v_lshlrev_b64 v[11:12], 1, v[11:12]
	v_ashrrev_i32_e32 v14, 31, v13
	v_add_nc_u32_e32 v10, s2, v13
	s_delay_alu instid0(VALU_DEP_4) | instskip(NEXT) | instid1(VALU_DEP_4)
	v_lshlrev_b64 v[2:3], 1, v[8:9]
	v_add_co_u32 v0, vcc_lo, v30, v11
	s_delay_alu instid0(VALU_DEP_4)
	v_lshlrev_b64 v[8:9], 1, v[13:14]
	v_add_co_ci_u32_e32 v1, vcc_lo, v31, v12, vcc_lo
	v_ashrrev_i32_e32 v11, 31, v10
	v_add_co_u32 v22, vcc_lo, v30, v2
	v_add_nc_u32_e32 v20, s2, v10
	v_add_co_ci_u32_e32 v23, vcc_lo, v31, v3, vcc_lo
	v_add_co_u32 v24, vcc_lo, v30, v8
	global_store_b128 v[0:1], v[4:7], off
	v_add_co_ci_u32_e32 v25, vcc_lo, v31, v9, vcc_lo
	ds_load_b128 v[0:3], v16 offset:256
	ds_load_b128 v[4:7], v16 offset:384
	v_lshlrev_b64 v[26:27], 1, v[10:11]
	ds_load_b128 v[8:11], v16 offset:512
	ds_load_b128 v[12:15], v16 offset:640
	ds_load_b128 v[16:19], v16 offset:768
	v_add_nc_u32_e32 v28, s2, v20
	v_ashrrev_i32_e32 v21, 31, v20
	v_add_co_u32 v26, vcc_lo, v30, v26
	s_delay_alu instid0(VALU_DEP_3) | instskip(NEXT) | instid1(VALU_DEP_3)
	v_ashrrev_i32_e32 v29, 31, v28
	v_lshlrev_b64 v[20:21], 1, v[20:21]
	v_add_co_ci_u32_e32 v27, vcc_lo, v31, v27, vcc_lo
	s_delay_alu instid0(VALU_DEP_3) | instskip(NEXT) | instid1(VALU_DEP_3)
	v_lshlrev_b64 v[28:29], 1, v[28:29]
	v_add_co_u32 v20, vcc_lo, v30, v20
	s_delay_alu instid0(VALU_DEP_4) | instskip(NEXT) | instid1(VALU_DEP_3)
	v_add_co_ci_u32_e32 v21, vcc_lo, v31, v21, vcc_lo
	v_add_co_u32 v28, vcc_lo, v30, v28
	s_delay_alu instid0(VALU_DEP_4)
	v_add_co_ci_u32_e32 v29, vcc_lo, v31, v29, vcc_lo
	s_waitcnt lgkmcnt(4)
	global_store_b128 v[22:23], v[0:3], off
	s_waitcnt lgkmcnt(3)
	global_store_b128 v[24:25], v[4:7], off
	s_waitcnt lgkmcnt(2)
	global_store_b128 v[26:27], v[8:11], off
	s_waitcnt lgkmcnt(1)
	global_store_b128 v[20:21], v[12:15], off
	s_waitcnt lgkmcnt(0)
	global_store_b128 v[28:29], v[16:19], off
	s_nop 0
	s_sendmsg sendmsg(MSG_DEALLOC_VGPRS)
	s_endpgm
	.section	.rodata,"a",@progbits
	.p2align	6, 0x0
	.amdhsa_kernel _Z39paged_attention_ll4mi_QKV_mfma16_kernelIDF16_DF16_LN4vllm18Fp8KVCacheDataTypeE0EhLi16ELi128ELi256ELb1ELi14EL8MFMAType0EEvPKT_PKT0_S8_ifPKiSA_SA_iPKfiiiPfSD_PS3_PT2_iSC_SC_
		.amdhsa_group_segment_fixed_size 17472
		.amdhsa_private_segment_fixed_size 0
		.amdhsa_kernarg_size 400
		.amdhsa_user_sgpr_count 13
		.amdhsa_user_sgpr_dispatch_ptr 0
		.amdhsa_user_sgpr_queue_ptr 0
		.amdhsa_user_sgpr_kernarg_segment_ptr 1
		.amdhsa_user_sgpr_dispatch_id 0
		.amdhsa_user_sgpr_private_segment_size 0
		.amdhsa_wavefront_size32 1
		.amdhsa_uses_dynamic_stack 0
		.amdhsa_enable_private_segment 0
		.amdhsa_system_sgpr_workgroup_id_x 1
		.amdhsa_system_sgpr_workgroup_id_y 1
		.amdhsa_system_sgpr_workgroup_id_z 1
		.amdhsa_system_sgpr_workgroup_info 0
		.amdhsa_system_vgpr_workitem_id 0
		.amdhsa_next_free_vgpr 218
		.amdhsa_next_free_sgpr 52
		.amdhsa_reserve_vcc 1
		.amdhsa_float_round_mode_32 0
		.amdhsa_float_round_mode_16_64 0
		.amdhsa_float_denorm_mode_32 3
		.amdhsa_float_denorm_mode_16_64 3
		.amdhsa_dx10_clamp 1
		.amdhsa_ieee_mode 1
		.amdhsa_fp16_overflow 0
		.amdhsa_workgroup_processor_mode 1
		.amdhsa_memory_ordered 1
		.amdhsa_forward_progress 0
		.amdhsa_shared_vgpr_count 0
		.amdhsa_exception_fp_ieee_invalid_op 0
		.amdhsa_exception_fp_denorm_src 0
		.amdhsa_exception_fp_ieee_div_zero 0
		.amdhsa_exception_fp_ieee_overflow 0
		.amdhsa_exception_fp_ieee_underflow 0
		.amdhsa_exception_fp_ieee_inexact 0
		.amdhsa_exception_int_div_zero 0
	.end_amdhsa_kernel
	.section	.text._Z39paged_attention_ll4mi_QKV_mfma16_kernelIDF16_DF16_LN4vllm18Fp8KVCacheDataTypeE0EhLi16ELi128ELi256ELb1ELi14EL8MFMAType0EEvPKT_PKT0_S8_ifPKiSA_SA_iPKfiiiPfSD_PS3_PT2_iSC_SC_,"axG",@progbits,_Z39paged_attention_ll4mi_QKV_mfma16_kernelIDF16_DF16_LN4vllm18Fp8KVCacheDataTypeE0EhLi16ELi128ELi256ELb1ELi14EL8MFMAType0EEvPKT_PKT0_S8_ifPKiSA_SA_iPKfiiiPfSD_PS3_PT2_iSC_SC_,comdat
.Lfunc_end207:
	.size	_Z39paged_attention_ll4mi_QKV_mfma16_kernelIDF16_DF16_LN4vllm18Fp8KVCacheDataTypeE0EhLi16ELi128ELi256ELb1ELi14EL8MFMAType0EEvPKT_PKT0_S8_ifPKiSA_SA_iPKfiiiPfSD_PS3_PT2_iSC_SC_, .Lfunc_end207-_Z39paged_attention_ll4mi_QKV_mfma16_kernelIDF16_DF16_LN4vllm18Fp8KVCacheDataTypeE0EhLi16ELi128ELi256ELb1ELi14EL8MFMAType0EEvPKT_PKT0_S8_ifPKiSA_SA_iPKfiiiPfSD_PS3_PT2_iSC_SC_
                                        ; -- End function
	.section	.AMDGPU.csdata,"",@progbits
; Kernel info:
; codeLenInByte = 8220
; NumSgprs: 54
; NumVgprs: 218
; ScratchSize: 0
; MemoryBound: 0
; FloatMode: 240
; IeeeMode: 1
; LDSByteSize: 17472 bytes/workgroup (compile time only)
; SGPRBlocks: 6
; VGPRBlocks: 27
; NumSGPRsForWavesPerEU: 54
; NumVGPRsForWavesPerEU: 218
; Occupancy: 6
; WaveLimiterHint : 1
; COMPUTE_PGM_RSRC2:SCRATCH_EN: 0
; COMPUTE_PGM_RSRC2:USER_SGPR: 13
; COMPUTE_PGM_RSRC2:TRAP_HANDLER: 0
; COMPUTE_PGM_RSRC2:TGID_X_EN: 1
; COMPUTE_PGM_RSRC2:TGID_Y_EN: 1
; COMPUTE_PGM_RSRC2:TGID_Z_EN: 1
; COMPUTE_PGM_RSRC2:TIDIG_COMP_CNT: 0
	.section	.text._Z39paged_attention_ll4mi_QKV_mfma16_kernelIDF16_DF16_LN4vllm18Fp8KVCacheDataTypeE0EhLi16ELi128ELi256ELb1ELi15EL8MFMAType0EEvPKT_PKT0_S8_ifPKiSA_SA_iPKfiiiPfSD_PS3_PT2_iSC_SC_,"axG",@progbits,_Z39paged_attention_ll4mi_QKV_mfma16_kernelIDF16_DF16_LN4vllm18Fp8KVCacheDataTypeE0EhLi16ELi128ELi256ELb1ELi15EL8MFMAType0EEvPKT_PKT0_S8_ifPKiSA_SA_iPKfiiiPfSD_PS3_PT2_iSC_SC_,comdat
	.protected	_Z39paged_attention_ll4mi_QKV_mfma16_kernelIDF16_DF16_LN4vllm18Fp8KVCacheDataTypeE0EhLi16ELi128ELi256ELb1ELi15EL8MFMAType0EEvPKT_PKT0_S8_ifPKiSA_SA_iPKfiiiPfSD_PS3_PT2_iSC_SC_ ; -- Begin function _Z39paged_attention_ll4mi_QKV_mfma16_kernelIDF16_DF16_LN4vllm18Fp8KVCacheDataTypeE0EhLi16ELi128ELi256ELb1ELi15EL8MFMAType0EEvPKT_PKT0_S8_ifPKiSA_SA_iPKfiiiPfSD_PS3_PT2_iSC_SC_
	.globl	_Z39paged_attention_ll4mi_QKV_mfma16_kernelIDF16_DF16_LN4vllm18Fp8KVCacheDataTypeE0EhLi16ELi128ELi256ELb1ELi15EL8MFMAType0EEvPKT_PKT0_S8_ifPKiSA_SA_iPKfiiiPfSD_PS3_PT2_iSC_SC_
	.p2align	8
	.type	_Z39paged_attention_ll4mi_QKV_mfma16_kernelIDF16_DF16_LN4vllm18Fp8KVCacheDataTypeE0EhLi16ELi128ELi256ELb1ELi15EL8MFMAType0EEvPKT_PKT0_S8_ifPKiSA_SA_iPKfiiiPfSD_PS3_PT2_iSC_SC_,@function
_Z39paged_attention_ll4mi_QKV_mfma16_kernelIDF16_DF16_LN4vllm18Fp8KVCacheDataTypeE0EhLi16ELi128ELi256ELb1ELi15EL8MFMAType0EEvPKT_PKT0_S8_ifPKiSA_SA_iPKfiiiPfSD_PS3_PT2_iSC_SC_: ; @_Z39paged_attention_ll4mi_QKV_mfma16_kernelIDF16_DF16_LN4vllm18Fp8KVCacheDataTypeE0EhLi16ELi128ELi256ELb1ELi15EL8MFMAType0EEvPKT_PKT0_S8_ifPKiSA_SA_iPKfiiiPfSD_PS3_PT2_iSC_SC_
; %bb.0:
	s_load_b64 s[4:5], s[0:1], 0x30
	s_mov_b32 s34, s13
	s_waitcnt lgkmcnt(0)
	s_cmp_lg_u64 s[4:5], 0
	s_cselect_b32 s12, -1, 0
	s_ashr_i32 s35, s13, 31
	s_cmp_eq_u64 s[4:5], 0
	s_cbranch_scc1 .LBB208_3
; %bb.1:
	s_lshl_b64 s[2:3], s[34:35], 2
	s_delay_alu instid0(SALU_CYCLE_1) | instskip(SKIP_4) | instid1(SALU_CYCLE_1)
	s_add_u32 s2, s4, s2
	s_addc_u32 s3, s5, s3
	s_load_b64 s[2:3], s[2:3], 0x0
	s_waitcnt lgkmcnt(0)
	s_sub_i32 s2, s3, s2
	s_cmp_eq_u32 s2, 1
	s_cselect_b32 s2, -1, 0
	s_delay_alu instid0(SALU_CYCLE_1)
	s_and_not1_b32 vcc_lo, exec_lo, s2
	s_cbranch_vccz .LBB208_4
.LBB208_2:
	s_nop 0
	s_sendmsg sendmsg(MSG_DEALLOC_VGPRS)
	s_endpgm
.LBB208_3:
.LBB208_4:
	s_load_b64 s[2:3], s[0:1], 0x28
	s_lshl_b64 s[6:7], s[34:35], 2
	s_waitcnt lgkmcnt(0)
	s_add_u32 s2, s2, s6
	s_addc_u32 s3, s3, s7
	s_lshl_b32 s29, s14, 8
	s_load_b32 s28, s[2:3], 0x0
	s_waitcnt lgkmcnt(0)
	s_cmp_ge_i32 s29, s28
	s_cbranch_scc1 .LBB208_2
; %bb.5:
	s_clause 0x1
	s_load_b128 s[8:11], s[0:1], 0x8
	s_load_b64 s[2:3], s[0:1], 0x20
	s_and_not1_b32 vcc_lo, exec_lo, s12
	s_cbranch_vccnz .LBB208_7
; %bb.6:
	s_add_u32 s4, s4, s6
	s_addc_u32 s5, s5, s7
	s_load_b32 s12, s[4:5], 0x0
	s_branch .LBB208_8
.LBB208_7:
	s_mov_b32 s12, s34
.LBB208_8:
	s_load_b128 s[4:7], s[0:1], 0x48
	v_and_b32_e32 v140, 15, v0
	v_lshrrev_b32_e32 v141, 5, v0
	v_bfe_u32 v138, v0, 4, 1
	v_and_b32_e32 v142, 31, v0
	v_and_b32_e32 v139, 1, v0
	v_lshlrev_b32_e32 v2, 3, v140
	s_mul_i32 s31, s15, 15
	v_lshl_or_b32 v1, v141, 1, v138
	s_waitcnt lgkmcnt(0)
	s_mov_b32 s7, exec_lo
	v_lshlrev_b32_e32 v137, 1, v2
	s_delay_alu instid0(VALU_DEP_2)
	v_cmpx_gt_u32_e32 15, v1
	s_cbranch_execz .LBB208_10
; %bb.9:
	s_load_b64 s[16:17], s[0:1], 0x0
	v_add_lshl_u32 v2, v1, s31, 7
	s_mul_hi_i32 s13, s12, s4
	s_mul_i32 s12, s12, s4
	v_lshlrev_b32_e32 v6, 10, v140
	s_lshl_b64 s[12:13], s[12:13], 1
	v_ashrrev_i32_e32 v3, 31, v2
	v_lshlrev_b32_e32 v1, 6, v1
	v_lshlrev_b32_e32 v7, 10, v139
	v_and_b32_e32 v6, 0x3800, v6
	s_delay_alu instid0(VALU_DEP_4) | instskip(NEXT) | instid1(VALU_DEP_2)
	v_lshlrev_b64 v[2:3], 1, v[2:3]
	v_or3_b32 v1, v6, v7, v1
	s_waitcnt lgkmcnt(0)
	s_add_u32 s4, s16, s12
	s_addc_u32 s12, s17, s13
	s_delay_alu instid0(VALU_DEP_2) | instskip(SKIP_1) | instid1(VALU_DEP_2)
	v_add_co_u32 v2, vcc_lo, s4, v2
	v_add_co_ci_u32_e32 v3, vcc_lo, s12, v3, vcc_lo
	v_add_co_u32 v2, vcc_lo, v2, v137
	s_delay_alu instid0(VALU_DEP_2)
	v_add_co_ci_u32_e32 v3, vcc_lo, 0, v3, vcc_lo
	global_load_b128 v[2:5], v[2:3], off
	s_waitcnt vmcnt(0)
	ds_store_b128 v1, v[2:5]
.LBB208_10:
	s_or_b32 exec_lo, exec_lo, s7
	s_mov_b32 s40, 0
	s_add_i32 s4, s28, 15
	s_mov_b32 s41, s40
	s_mov_b32 s42, s40
	;; [unrolled: 1-line block ×7, first 2 shown]
	s_delay_alu instid0(SALU_CYCLE_1)
	v_dual_mov_b32 v136, s47 :: v_dual_and_b32 v1, 0xef, v0
	v_mov_b32_e32 v134, s45
	s_clause 0x1
	s_load_b32 s7, s[0:1], 0x38
	s_load_b32 s33, s[0:1], 0x98
	v_add_nc_u32_e32 v1, s29, v1
	s_ashr_i32 s12, s4, 31
	s_load_b32 s30, s[0:1], 0x1c
	s_lshr_b32 s12, s12, 28
	s_waitcnt lgkmcnt(0)
	v_ashrrev_i32_e32 v2, 31, v1
	s_add_i32 s4, s4, s12
	v_cmp_gt_i32_e32 vcc_lo, s28, v1
	s_ashr_i32 s4, s4, 4
	v_mov_b32_e32 v132, s43
	v_lshrrev_b32_e32 v3, 28, v2
	v_or_b32_e32 v2, 16, v1
	s_add_i32 s4, s4, -1
	s_barrier
	buffer_gl0_inv
	v_add_nc_u32_e32 v4, v1, v3
	v_add_nc_u32_e32 v3, v2, v3
	v_mov_b32_e32 v135, s46
	s_mul_i32 s12, s34, s7
	v_mov_b32_e32 v133, s44
	v_ashrrev_i32_e32 v4, 4, v4
	v_ashrrev_i32_e32 v3, 4, v3
	s_ashr_i32 s13, s12, 31
	v_lshlrev_b32_e32 v106, 5, v140
	s_lshl_b64 s[12:13], s[12:13], 2
	v_cndmask_b32_e32 v1, s4, v4, vcc_lo
	v_cmp_gt_i32_e32 vcc_lo, s28, v2
	s_add_u32 s35, s2, s12
	s_addc_u32 s36, s3, s13
	s_mul_i32 s2, s15, s6
	v_ashrrev_i32_e32 v2, 31, v1
	v_cndmask_b32_e32 v3, s4, v3, vcc_lo
	s_ashr_i32 s3, s2, 31
	v_lshl_or_b32 v125, v141, 9, v106
	s_lshl_b64 s[2:3], s[2:3], 1
	v_lshlrev_b64 v[1:2], 2, v[1:2]
	v_ashrrev_i32_e32 v4, 31, v3
	s_add_u32 s22, s8, s2
	s_addc_u32 s23, s9, s3
	s_lshl_b32 s6, s14, 4
	v_mov_b32_e32 v131, s42
	v_lshlrev_b64 v[3:4], 2, v[3:4]
	v_add_co_u32 v1, vcc_lo, s35, v1
	v_add_co_ci_u32_e32 v2, vcc_lo, s36, v2, vcc_lo
	s_ashr_i32 s7, s6, 31
	s_delay_alu instid0(VALU_DEP_3) | instskip(NEXT) | instid1(VALU_DEP_4)
	v_add_co_u32 v3, vcc_lo, s35, v3
	v_add_co_ci_u32_e32 v4, vcc_lo, s36, v4, vcc_lo
	s_clause 0x1
	global_load_b32 v5, v[1:2], off
	global_load_b32 v6, v[3:4], off
	s_lshl_b64 s[6:7], s[6:7], 2
	v_dual_mov_b32 v130, s41 :: v_dual_lshlrev_b32 v3, 4, v0
	s_add_u32 s6, s35, s6
	s_addc_u32 s7, s36, s7
	s_or_b32 s8, s29, 16
	v_mov_b32_e32 v129, s40
	s_ashr_i32 s9, s8, 4
	s_cmp_lt_i32 s8, s28
	s_cselect_b32 s8, s9, s4
	s_delay_alu instid0(SALU_CYCLE_1) | instskip(NEXT) | instid1(SALU_CYCLE_1)
	s_ashr_i32 s9, s8, 31
	s_lshl_b64 s[8:9], s[8:9], 2
	s_delay_alu instid0(SALU_CYCLE_1) | instskip(SKIP_2) | instid1(SALU_CYCLE_1)
	s_add_u32 s8, s35, s8
	s_addc_u32 s9, s36, s9
	s_or_b32 s12, s29, 32
	s_ashr_i32 s13, s12, 4
	s_cmp_lt_i32 s12, s28
	s_cselect_b32 s12, s13, s4
	s_delay_alu instid0(SALU_CYCLE_1) | instskip(NEXT) | instid1(SALU_CYCLE_1)
	s_ashr_i32 s13, s12, 31
	s_lshl_b64 s[12:13], s[12:13], 2
	s_delay_alu instid0(SALU_CYCLE_1) | instskip(SKIP_2) | instid1(SALU_CYCLE_1)
	s_add_u32 s12, s35, s12
	s_addc_u32 s13, s36, s13
	s_or_b32 s15, s29, 48
	;; [unrolled: 10-line block ×4, first 2 shown]
	s_ashr_i32 s20, s15, 4
	s_cmp_lt_i32 s15, s28
	s_cselect_b32 s20, s20, s4
	s_delay_alu instid0(SALU_CYCLE_1) | instskip(NEXT) | instid1(SALU_CYCLE_1)
	s_ashr_i32 s21, s20, 31
	s_lshl_b64 s[20:21], s[20:21], 2
	s_delay_alu instid0(SALU_CYCLE_1)
	s_add_u32 s20, s35, s20
	s_addc_u32 s21, s36, s21
	s_clause 0x5
	s_load_b32 s6, s[6:7], 0x0
	s_load_b32 s8, s[8:9], 0x0
	;; [unrolled: 1-line block ×6, first 2 shown]
	s_waitcnt vmcnt(1)
	v_mad_i64_i32 v[1:2], null, v5, s5, 0
	v_and_b32_e32 v5, 0xf0, v3
	s_waitcnt vmcnt(0)
	v_mad_i64_i32 v[3:4], null, v6, s5, 0
	s_delay_alu instid0(VALU_DEP_2) | instskip(NEXT) | instid1(VALU_DEP_4)
	v_add_co_u32 v5, s7, s22, v5
	v_lshlrev_b64 v[1:2], 1, v[1:2]
	v_add_co_ci_u32_e64 v6, null, s23, 0, s7
	s_delay_alu instid0(VALU_DEP_4) | instskip(SKIP_1) | instid1(VALU_DEP_3)
	v_lshlrev_b64 v[3:4], 1, v[3:4]
	s_or_b32 s7, s29, 0x60
	v_add_co_u32 v121, vcc_lo, v5, v1
	s_delay_alu instid0(VALU_DEP_3) | instskip(NEXT) | instid1(VALU_DEP_3)
	v_add_co_ci_u32_e32 v122, vcc_lo, v6, v2, vcc_lo
	v_add_co_u32 v123, vcc_lo, v5, v3
	s_delay_alu instid0(VALU_DEP_4)
	v_add_co_ci_u32_e32 v124, vcc_lo, v6, v4, vcc_lo
	s_clause 0x19
	global_load_b128 v[89:92], v[121:122], off
	global_load_b128 v[93:96], v[121:122], off offset:256
	global_load_b128 v[97:100], v[123:124], off
	global_load_b128 v[101:104], v[123:124], off offset:256
	global_load_b128 v[81:84], v[121:122], off offset:512
	global_load_b128 v[85:88], v[121:122], off offset:768
	global_load_b128 v[73:76], v[123:124], off offset:512
	global_load_b128 v[77:80], v[123:124], off offset:768
	global_load_b128 v[65:68], v[121:122], off offset:1024
	global_load_b128 v[69:72], v[121:122], off offset:1280
	global_load_b128 v[57:60], v[123:124], off offset:1024
	global_load_b128 v[61:64], v[123:124], off offset:1280
	global_load_b128 v[49:52], v[121:122], off offset:1536
	global_load_b128 v[53:56], v[121:122], off offset:1792
	global_load_b128 v[25:28], v[123:124], off offset:1536
	global_load_b128 v[29:32], v[123:124], off offset:1792
	global_load_b128 v[1:4], v[121:122], off offset:2048
	global_load_b128 v[5:8], v[121:122], off offset:2304
	global_load_b128 v[9:12], v[123:124], off offset:2048
	global_load_b128 v[13:16], v[123:124], off offset:2304
	global_load_b128 v[33:36], v[121:122], off offset:2560
	global_load_b128 v[37:40], v[121:122], off offset:2816
	global_load_b128 v[41:44], v[123:124], off offset:2560
	global_load_b128 v[45:48], v[123:124], off offset:2816
	global_load_b128 v[17:20], v[121:122], off offset:3072
	global_load_b128 v[21:24], v[121:122], off offset:3328
	s_ashr_i32 s9, s7, 4
	s_cmp_lt_i32 s7, s28
	v_cmp_ne_u32_e32 vcc_lo, 15, v140
	s_cselect_b32 s20, s9, s4
	s_delay_alu instid0(SALU_CYCLE_1) | instskip(NEXT) | instid1(SALU_CYCLE_1)
	s_ashr_i32 s21, s20, 31
	s_lshl_b64 s[20:21], s[20:21], 2
	v_cndmask_b32_e32 v105, 0, v140, vcc_lo
	s_add_u32 s20, s35, s20
	s_addc_u32 s21, s36, s21
	s_or_b32 s7, s29, 0x70
	s_delay_alu instid0(SALU_CYCLE_1)
	s_ashr_i32 s9, s7, 4
	s_cmp_lt_i32 s7, s28
	v_lshlrev_b32_e32 v215, 6, v105
	s_cselect_b32 s22, s9, s4
	ds_load_b128 v[105:108], v215
	ds_load_b128 v[109:112], v215 offset:1024
	s_ashr_i32 s23, s22, 31
	ds_load_b128 v[113:116], v215 offset:2048
	ds_load_b128 v[117:120], v215 offset:3072
	;; [unrolled: 1-line block ×8, first 2 shown]
	s_clause 0x1
	global_load_b128 v[167:170], v[123:124], off offset:3072
	global_load_b128 v[171:174], v[123:124], off offset:3328
	s_lshl_b64 s[22:23], s[22:23], 2
	s_delay_alu instid0(SALU_CYCLE_1)
	s_add_u32 s22, s35, s22
	s_addc_u32 s23, s36, s23
	s_clause 0x1
	s_load_b32 s44, s[20:21], 0x0
	s_load_b32 s45, s[22:23], 0x0
	s_clause 0x3
	global_load_b128 v[175:178], v[121:122], off offset:3584
	global_load_b128 v[179:182], v[121:122], off offset:3840
	;; [unrolled: 1-line block ×4, first 2 shown]
	s_or_b32 s7, s29, 0x80
	s_delay_alu instid0(SALU_CYCLE_1) | instskip(SKIP_2) | instid1(SALU_CYCLE_1)
	s_ashr_i32 s9, s7, 4
	s_cmp_lt_i32 s7, s28
	s_cselect_b32 s24, s9, s4
	s_ashr_i32 s25, s24, 31
	s_delay_alu instid0(SALU_CYCLE_1) | instskip(NEXT) | instid1(SALU_CYCLE_1)
	s_lshl_b64 s[24:25], s[24:25], 2
	s_add_u32 s24, s35, s24
	s_addc_u32 s25, s36, s25
	s_or_b32 s7, s29, 0x90
	s_delay_alu instid0(SALU_CYCLE_1) | instskip(SKIP_2) | instid1(SALU_CYCLE_1)
	s_ashr_i32 s9, s7, 4
	s_cmp_lt_i32 s7, s28
	s_cselect_b32 s26, s9, s4
	s_ashr_i32 s27, s26, 31
	s_delay_alu instid0(SALU_CYCLE_1) | instskip(NEXT) | instid1(SALU_CYCLE_1)
	s_lshl_b64 s[26:27], s[26:27], 2
	s_add_u32 s26, s35, s26
	s_addc_u32 s27, s36, s27
	s_or_b32 s7, s29, 0xa0
	s_delay_alu instid0(SALU_CYCLE_1)
	s_ashr_i32 s9, s7, 4
	s_cmp_lt_i32 s7, s28
	s_waitcnt lgkmcnt(0)
	s_mul_hi_i32 s7, s6, s5
	s_cselect_b32 s38, s9, s4
	s_mul_i32 s6, s6, s5
	s_ashr_i32 s39, s38, 31
	s_delay_alu instid0(SALU_CYCLE_1) | instskip(NEXT) | instid1(SALU_CYCLE_1)
	s_lshl_b64 s[38:39], s[38:39], 2
	s_add_u32 s38, s35, s38
	s_addc_u32 s39, s36, s39
	s_or_b32 s9, s29, 0xb0
	s_load_b32 s39, s[38:39], 0x0
	s_ashr_i32 s13, s9, 4
	s_cmp_lt_i32 s9, s28
	s_mul_hi_i32 s9, s8, s5
	s_cselect_b32 s40, s13, s4
	s_mul_i32 s8, s8, s5
	s_ashr_i32 s41, s40, 31
	s_mul_hi_i32 s13, s12, s5
	s_lshl_b64 s[40:41], s[40:41], 2
	s_mul_i32 s12, s12, s5
	s_add_u32 s42, s35, s40
	s_addc_u32 s43, s36, s41
	s_or_b32 s17, s29, 0xc0
	s_delay_alu instid0(SALU_CYCLE_1)
	s_ashr_i32 s19, s17, 4
	s_cmp_lt_i32 s17, s28
	s_mul_hi_i32 s17, s16, s5
	s_cselect_b32 s40, s19, s4
	s_mul_i32 s16, s16, s5
	s_ashr_i32 s41, s40, 31
	s_mul_hi_i32 s19, s18, s5
	s_lshl_b64 s[40:41], s[40:41], 2
	s_mul_i32 s18, s18, s5
	s_add_u32 s22, s35, s40
	s_addc_u32 s23, s36, s41
	s_or_b32 s20, s29, 0xd0
	s_clause 0x1
	s_load_b32 s41, s[24:25], 0x0
	s_load_b32 s40, s[26:27], 0x0
	s_ashr_i32 s21, s20, 4
	s_cmp_lt_i32 s20, s28
	s_mul_i32 s20, s15, s5
	s_cselect_b32 s24, s21, s4
	s_mul_hi_i32 s21, s15, s5
	s_ashr_i32 s25, s24, 31
	s_delay_alu instid0(SALU_CYCLE_1) | instskip(NEXT) | instid1(SALU_CYCLE_1)
	s_lshl_b64 s[24:25], s[24:25], 2
	s_add_u32 s24, s35, s24
	s_addc_u32 s25, s36, s25
	s_or_b32 s46, s29, 0xe0
	s_clause 0x2
	s_load_b32 s38, s[42:43], 0x0
	s_load_b32 s37, s[22:23], 0x0
	;; [unrolled: 1-line block ×3, first 2 shown]
	s_ashr_i32 s47, s46, 4
	s_cmp_lt_i32 s46, s28
	s_mul_hi_i32 s23, s44, s5
	s_cselect_b32 s42, s47, s4
	s_mul_i32 s22, s44, s5
	s_ashr_i32 s43, s42, 31
	s_mul_hi_i32 s25, s45, s5
	s_lshl_b64 s[42:43], s[42:43], 2
	s_mul_i32 s24, s45, s5
	s_add_u32 s42, s35, s42
	s_addc_u32 s43, s36, s43
	s_or_b32 s46, s29, 0xf0
	s_waitcnt lgkmcnt(0)
	s_mul_hi_i32 s27, s41, s5
	s_ashr_i32 s47, s46, 4
	s_cmp_lt_i32 s46, s28
	s_mul_i32 s26, s41, s5
	s_cselect_b32 s46, s47, s4
	s_mul_hi_i32 s41, s40, s5
	s_ashr_i32 s47, s46, 31
	s_mul_hi_i32 s51, s15, s5
	s_lshl_b64 s[46:47], s[46:47], 2
	s_mul_i32 s50, s15, s5
	s_add_u32 s46, s35, s46
	s_addc_u32 s47, s36, s47
	s_add_u32 s4, s10, s2
	s_addc_u32 s15, s11, s3
	v_add_co_u32 v216, s4, s4, v125
	s_delay_alu instid0(VALU_DEP_1) | instskip(SKIP_2) | instid1(VALU_DEP_2)
	v_add_co_ci_u32_e64 v217, null, s15, 0, s4
	s_lshl_b64 s[2:3], s[6:7], 1
	s_lshl_b64 s[6:7], s[8:9], 1
	v_add_co_u32 v125, vcc_lo, v216, s2
	s_delay_alu instid0(VALU_DEP_2)
	v_add_co_ci_u32_e32 v126, vcc_lo, s3, v217, vcc_lo
	v_add_co_u32 v199, vcc_lo, v216, s6
	s_lshl_b64 s[8:9], s[12:13], 1
	v_add_co_ci_u32_e32 v200, vcc_lo, s7, v217, vcc_lo
	s_lshl_b64 s[10:11], s[16:17], 1
	s_lshl_b64 s[12:13], s[18:19], 1
	s_lshl_b64 s[16:17], s[20:21], 1
	s_lshl_b64 s[18:19], s[22:23], 1
	s_lshl_b64 s[20:21], s[24:25], 1
	s_lshl_b64 s[22:23], s[26:27], 1
	s_mul_i32 s40, s40, s5
	s_mul_hi_i32 s45, s39, s5
	s_lshl_b64 s[24:25], s[40:41], 1
	s_mul_i32 s44, s39, s5
	s_mul_hi_i32 s39, s38, s5
	s_lshl_b64 s[26:27], s[44:45], 1
	s_mul_i32 s38, s38, s5
	s_mul_hi_i32 s49, s37, s5
	s_mul_i32 s48, s37, s5
	s_lshl_b64 s[36:37], s[38:39], 1
	s_lshl_b64 s[38:39], s[48:49], 1
	s_clause 0x1
	s_load_b32 s4, s[42:43], 0x0
	s_load_b32 s15, s[46:47], 0x0
	s_lshl_b64 s[40:41], s[50:51], 1
	s_waitcnt lgkmcnt(0)
	s_mul_hi_i32 s3, s4, s5
	s_mul_i32 s2, s4, s5
	s_mul_hi_i32 s7, s15, s5
	s_lshl_b64 s[2:3], s[2:3], 1
	s_mul_i32 s6, s15, s5
	s_waitcnt vmcnt(30)
	v_wmma_f32_16x16x16_f16 v[191:198], v[89:96], v[105:112], v[129:136]
	v_add_co_u32 v89, vcc_lo, v216, s8
	v_add_co_ci_u32_e32 v90, vcc_lo, s9, v217, vcc_lo
	v_add_co_u32 v91, vcc_lo, v216, s10
	v_add_co_ci_u32_e32 v92, vcc_lo, s11, v217, vcc_lo
	;; [unrolled: 2-line block ×5, first 2 shown]
	v_add_co_u32 v205, vcc_lo, v216, s20
	s_waitcnt vmcnt(28)
	v_wmma_f32_16x16x16_f16 v[129:136], v[97:104], v[105:112], v[129:136]
	v_add_co_ci_u32_e32 v206, vcc_lo, s21, v217, vcc_lo
	v_add_co_u32 v207, vcc_lo, v216, s22
	v_add_co_ci_u32_e32 v208, vcc_lo, s23, v217, vcc_lo
	v_add_co_u32 v209, vcc_lo, v216, s24
	s_waitcnt vmcnt(26)
	v_wmma_f32_16x16x16_f16 v[191:198], v[81:88], v[113:120], v[191:198]
	s_waitcnt vmcnt(24)
	v_wmma_f32_16x16x16_f16 v[129:136], v[73:80], v[113:120], v[129:136]
	v_add_co_ci_u32_e32 v210, vcc_lo, s25, v217, vcc_lo
	v_add_co_u32 v211, vcc_lo, v216, s26
	v_add_co_ci_u32_e32 v212, vcc_lo, s27, v217, vcc_lo
	v_add_co_u32 v213, vcc_lo, v216, s36
	s_waitcnt vmcnt(22)
	v_wmma_f32_16x16x16_f16 v[191:198], v[65:72], v[143:150], v[191:198]
	s_waitcnt vmcnt(20)
	v_wmma_f32_16x16x16_f16 v[129:136], v[57:64], v[143:150], v[129:136]
	v_add_co_ci_u32_e32 v214, vcc_lo, s37, v217, vcc_lo
	v_add_co_u32 v143, vcc_lo, v216, s38
	s_waitcnt vmcnt(18)
	v_wmma_f32_16x16x16_f16 v[191:198], v[49:56], v[151:158], v[191:198]
	s_waitcnt vmcnt(16)
	v_wmma_f32_16x16x16_f16 v[129:136], v[25:32], v[151:158], v[129:136]
	v_add_co_ci_u32_e32 v144, vcc_lo, s39, v217, vcc_lo
	s_clause 0x15
	global_load_b128 v[121:124], v[125:126], off
	global_load_b128 v[125:128], v[125:126], off offset:16
	global_load_b128 v[113:116], v[199:200], off
	global_load_b128 v[117:120], v[199:200], off offset:16
	global_load_b128 v[105:108], v[89:90], off
	global_load_b128 v[109:112], v[89:90], off offset:16
	global_load_b128 v[97:100], v[91:92], off
	global_load_b128 v[101:104], v[91:92], off offset:16
	global_load_b128 v[89:92], v[93:94], off
	global_load_b128 v[93:96], v[93:94], off offset:16
	global_load_b128 v[81:84], v[201:202], off
	global_load_b128 v[85:88], v[201:202], off offset:16
	global_load_b128 v[73:76], v[203:204], off
	global_load_b128 v[77:80], v[203:204], off offset:16
	global_load_b128 v[65:68], v[205:206], off
	global_load_b128 v[69:72], v[205:206], off offset:16
	global_load_b128 v[57:60], v[207:208], off
	global_load_b128 v[61:64], v[207:208], off offset:16
	global_load_b128 v[49:52], v[209:210], off
	global_load_b128 v[53:56], v[209:210], off offset:16
	global_load_b128 v[25:28], v[211:212], off
	global_load_b128 v[29:32], v[211:212], off offset:16
	s_waitcnt vmcnt(36)
	v_wmma_f32_16x16x16_f16 v[191:198], v[1:8], v[159:166], v[191:198]
	s_clause 0x1
	global_load_b128 v[1:4], v[213:214], off
	global_load_b128 v[5:8], v[213:214], off offset:16
	s_waitcnt vmcnt(36)
	v_wmma_f32_16x16x16_f16 v[129:136], v[9:16], v[159:166], v[129:136]
	s_clause 0x1
	global_load_b128 v[9:12], v[143:144], off
	global_load_b128 v[13:16], v[143:144], off offset:16
	ds_load_b128 v[143:146], v215 offset:10240
	ds_load_b128 v[147:150], v215 offset:11264
	;; [unrolled: 1-line block ×4, first 2 shown]
	v_add_co_u32 v199, vcc_lo, v216, s40
	v_add_co_ci_u32_e32 v200, vcc_lo, s41, v217, vcc_lo
	v_add_co_u32 v159, vcc_lo, v216, s2
	v_add_co_ci_u32_e32 v160, vcc_lo, s3, v217, vcc_lo
	s_lshl_b64 s[2:3], s[6:7], 1
	s_delay_alu instid0(SALU_CYCLE_1)
	v_add_co_u32 v161, vcc_lo, v216, s2
	v_add_co_ci_u32_e32 v162, vcc_lo, s3, v217, vcc_lo
	s_waitcnt vmcnt(36) lgkmcnt(2)
	v_wmma_f32_16x16x16_f16 v[191:198], v[33:40], v[143:150], v[191:198]
	s_waitcnt vmcnt(34)
	v_wmma_f32_16x16x16_f16 v[129:136], v[41:48], v[143:150], v[129:136]
	s_clause 0x3
	global_load_b128 v[33:36], v[199:200], off
	global_load_b128 v[37:40], v[199:200], off offset:16
	global_load_b128 v[41:44], v[159:160], off
	global_load_b128 v[45:48], v[159:160], off offset:16
	v_and_b32_e32 v143, 0xe0, v0
	v_mbcnt_lo_u32_b32 v159, -1, 0
	s_waitcnt vmcnt(36) lgkmcnt(0)
	v_wmma_f32_16x16x16_f16 v[191:198], v[17:24], v[151:158], v[191:198]
	s_clause 0x1
	global_load_b128 v[17:20], v[161:162], off
	global_load_b128 v[21:24], v[161:162], off offset:16
	s_waitcnt vmcnt(36)
	v_wmma_f32_16x16x16_f16 v[129:136], v[167:174], v[151:158], v[129:136]
	v_add_nc_u32_e32 v160, s29, v143
	ds_load_b128 v[143:146], v215 offset:14336
	ds_load_b128 v[147:150], v215 offset:15360
	v_xor_b32_e32 v151, 16, v159
	s_waitcnt vmcnt(0) lgkmcnt(0)
	s_barrier
	v_or_b32_e32 v152, v160, v138
	buffer_gl0_inv
	v_cmp_gt_i32_e32 vcc_lo, 32, v151
	v_or_b32_e32 v153, 2, v152
	v_or_b32_e32 v154, 4, v152
	;; [unrolled: 1-line block ×5, first 2 shown]
	v_cmp_gt_i32_e64 s2, s28, v153
	v_cmp_gt_i32_e64 s3, s28, v154
	;; [unrolled: 1-line block ×3, first 2 shown]
	v_or_b32_e32 v158, 12, v152
	v_cmp_gt_i32_e64 s5, s28, v156
	v_cmp_gt_i32_e64 s6, s28, v157
	v_wmma_f32_16x16x16_f16 v[191:198], v[175:182], v[143:150], v[191:198]
	v_wmma_f32_16x16x16_f16 v[129:136], v[183:190], v[143:150], v[129:136]
	v_cndmask_b32_e32 v151, v159, v151, vcc_lo
	v_cmp_gt_i32_e32 vcc_lo, s28, v152
	v_or_b32_e32 v159, 14, v152
	v_dual_mul_f32 v149, s30, v192 :: v_dual_mul_f32 v150, s30, v191
	v_dual_mul_f32 v147, s30, v194 :: v_dual_mul_f32 v148, s30, v193
	;; [unrolled: 1-line block ×3, first 2 shown]
	s_delay_alu instid0(VALU_DEP_3) | instskip(NEXT) | instid1(VALU_DEP_4)
	v_cndmask_b32_e32 v150, 0xff7fffff, v150, vcc_lo
	v_cndmask_b32_e64 v149, 0xff7fffff, v149, s2
	v_mul_f32_e32 v146, s30, v195
	v_cndmask_b32_e64 v148, 0xff7fffff, v148, s3
	v_cndmask_b32_e64 v147, 0xff7fffff, v147, s4
	v_or_b32_e32 v160, 16, v152
	v_max3_f32 v149, v150, 0xff7fffff, v149
	v_or_b32_e32 v161, 18, v152
	v_dual_mul_f32 v143, s30, v198 :: v_dual_mul_f32 v144, s30, v197
	v_cndmask_b32_e64 v146, 0xff7fffff, v146, s5
	v_cndmask_b32_e64 v145, 0xff7fffff, v145, s6
	v_max3_f32 v147, v149, v148, v147
	v_cmp_gt_i32_e64 s7, s28, v158
	v_cmp_gt_i32_e64 s8, s28, v159
	v_or_b32_e32 v162, 20, v152
	v_or_b32_e32 v163, 22, v152
	v_mul_f32_e32 v175, s30, v129
	v_cndmask_b32_e64 v144, 0xff7fffff, v144, s7
	v_cndmask_b32_e64 v143, 0xff7fffff, v143, s8
	v_max3_f32 v145, v147, v146, v145
	v_cmp_gt_i32_e64 s9, s28, v160
	v_cmp_gt_i32_e64 s10, s28, v161
	v_or_b32_e32 v164, 24, v152
	v_or_b32_e32 v165, 26, v152
	v_dual_mul_f32 v172, s30, v132 :: v_dual_mul_f32 v173, s30, v131
	v_cndmask_b32_e64 v146, 0xff7fffff, v175, s9
	v_cndmask_b32_e64 v147, 0xff7fffff, v174, s10
	v_max3_f32 v143, v145, v144, v143
	v_cmp_gt_i32_e64 s11, s28, v162
	v_cmp_gt_i32_e64 s12, s28, v163
	v_or_b32_e32 v166, 28, v152
	v_or_b32_e32 v167, 30, v152
	v_dual_mul_f32 v170, s30, v134 :: v_dual_mul_f32 v171, s30, v133
	v_cndmask_b32_e64 v144, 0xff7fffff, v173, s11
	v_cndmask_b32_e64 v145, 0xff7fffff, v172, s12
	v_max3_f32 v143, v143, v146, v147
	v_cmp_gt_i32_e64 s13, s28, v164
	v_cmp_gt_i32_e64 s15, s28, v165
	v_dual_mul_f32 v168, s30, v136 :: v_dual_mul_f32 v169, s30, v135
	s_delay_alu instid0(VALU_DEP_4) | instskip(NEXT) | instid1(VALU_DEP_4)
	v_max3_f32 v143, v143, v144, v145
	v_cndmask_b32_e64 v146, 0xff7fffff, v171, s13
	s_delay_alu instid0(VALU_DEP_4) | instskip(SKIP_3) | instid1(VALU_DEP_4)
	v_cndmask_b32_e64 v147, 0xff7fffff, v170, s15
	v_cmp_gt_i32_e64 s16, s28, v166
	v_cmp_gt_i32_e64 s17, s28, v167
	v_lshlrev_b32_e32 v160, 2, v151
	v_max3_f32 v143, v143, v146, v147
	s_delay_alu instid0(VALU_DEP_4) | instskip(NEXT) | instid1(VALU_DEP_4)
	v_cndmask_b32_e64 v144, 0xff7fffff, v169, s16
	v_cndmask_b32_e64 v145, 0xff7fffff, v168, s17
	s_delay_alu instid0(VALU_DEP_1) | instskip(SKIP_3) | instid1(VALU_DEP_1)
	v_max3_f32 v143, v143, v144, v145
	ds_bpermute_b32 v144, v160, v143
	s_waitcnt lgkmcnt(0)
	v_max_f32_e32 v144, v144, v144
	v_max_f32_e32 v159, v143, v144
	s_delay_alu instid0(VALU_DEP_1) | instskip(SKIP_4) | instid1(VALU_DEP_4)
	v_fma_f32 v145, s30, v193, -v159
	v_fma_f32 v146, s30, v194, -v159
	v_fma_f32 v132, s30, v132, -v159
	v_fma_f32 v143, s30, v191, -v159
	v_fma_f32 v144, s30, v192, -v159
	v_dual_mul_f32 v145, 0x3fb8aa3b, v145 :: v_dual_mul_f32 v146, 0x3fb8aa3b, v146
	s_delay_alu instid0(VALU_DEP_4) | instskip(SKIP_1) | instid1(VALU_DEP_4)
	v_mul_f32_e32 v132, 0x3fb8aa3b, v132
	v_fma_f32 v148, s30, v195, -v159
	v_mul_f32_e32 v144, 0x3fb8aa3b, v144
	s_delay_alu instid0(VALU_DEP_4)
	v_exp_f32_e32 v145, v145
	v_exp_f32_e32 v150, v146
	v_fma_f32 v149, s30, v196, -v159
	v_mul_f32_e32 v148, 0x3fb8aa3b, v148
	v_exp_f32_e32 v147, v144
	v_fma_f32 v134, s30, v134, -v159
	v_fma_f32 v151, s30, v197, -v159
	v_mul_f32_e32 v149, 0x3fb8aa3b, v149
	v_exp_f32_e32 v148, v148
	v_fma_f32 v152, s30, v198, -v159
	v_cndmask_b32_e64 v146, 0, v145, s3
	v_cndmask_b32_e64 v145, 0, v150, s4
	v_dual_mul_f32 v143, 0x3fb8aa3b, v143 :: v_dual_mul_f32 v134, 0x3fb8aa3b, v134
	v_mul_f32_e32 v151, 0x3fb8aa3b, v151
	v_exp_f32_e32 v149, v149
	v_fma_f32 v129, s30, v129, -v159
	s_delay_alu instid0(VALU_DEP_3)
	v_exp_f32_e32 v143, v143
	v_mul_f32_e32 v150, 0x3fb8aa3b, v152
	v_exp_f32_e32 v151, v151
	v_cndmask_b32_e64 v148, 0, v148, s5
	v_fma_f32 v130, s30, v130, -v159
	v_mul_f32_e32 v129, 0x3fb8aa3b, v129
	v_exp_f32_e32 v153, v150
	v_fma_f32 v131, s30, v131, -v159
	v_fma_f32 v133, s30, v133, -v159
	v_mul_f32_e32 v130, 0x3fb8aa3b, v130
	v_cndmask_b32_e32 v144, 0, v143, vcc_lo
	v_cndmask_b32_e64 v143, 0, v147, s2
	v_exp_f32_e32 v129, v129
	v_cndmask_b32_e64 v150, 0, v151, s7
	v_mul_f32_e32 v131, 0x3fb8aa3b, v131
	v_add_f32_e32 v147, 0, v144
	v_exp_f32_e32 v130, v130
	v_mul_f32_e32 v133, 0x3fb8aa3b, v133
	v_exp_f32_e32 v132, v132
	v_exp_f32_e32 v131, v131
	v_add_f32_e32 v147, v147, v143
	v_cmp_gt_u32_e64 s2, 16, v142
	v_exp_f32_e32 v133, v133
	s_delay_alu instid0(VALU_DEP_2)
	v_add_f32_e32 v147, v147, v146
	s_waitcnt_depctr 0xfff
	v_cndmask_b32_e64 v154, 0, v131, s11
	v_add_f32_e32 v152, v147, v145
	v_cndmask_b32_e64 v147, 0, v149, s6
	v_exp_f32_e32 v131, v134
	v_cndmask_b32_e64 v156, 0, v133, s13
	s_delay_alu instid0(VALU_DEP_3) | instskip(SKIP_1) | instid1(VALU_DEP_2)
	v_add_f32_e32 v149, v152, v148
	v_cndmask_b32_e64 v152, 0, v129, s9
	v_add_f32_e32 v151, v149, v147
	v_cndmask_b32_e64 v149, 0, v153, s8
	v_cndmask_b32_e64 v153, 0, v132, s12
	v_fma_f32 v132, s30, v136, -v159
	s_delay_alu instid0(TRANS32_DEP_1) | instskip(NEXT) | instid1(VALU_DEP_2)
	v_cndmask_b32_e64 v155, 0, v131, s15
	v_dual_add_f32 v151, v151, v150 :: v_dual_mul_f32 v132, 0x3fb8aa3b, v132
	s_delay_alu instid0(VALU_DEP_1) | instskip(SKIP_2) | instid1(VALU_DEP_4)
	v_add_f32_e32 v129, v151, v149
	v_cndmask_b32_e64 v151, 0, v130, s10
	v_fma_f32 v130, s30, v135, -v159
	v_exp_f32_e32 v131, v132
	s_delay_alu instid0(VALU_DEP_1) | instskip(NEXT) | instid1(VALU_DEP_1)
	v_dual_add_f32 v129, v129, v152 :: v_dual_mul_f32 v130, 0x3fb8aa3b, v130
	v_add_f32_e32 v129, v129, v151
	s_delay_alu instid0(VALU_DEP_2) | instskip(SKIP_3) | instid1(VALU_DEP_1)
	v_exp_f32_e32 v130, v130
	s_waitcnt_depctr 0xfff
	v_cndmask_b32_e64 v157, 0, v131, s17
	v_add_f32_e32 v129, v129, v154
	v_add_f32_e32 v129, v129, v153
	v_cndmask_b32_e64 v158, 0, v130, s16
	s_delay_alu instid0(VALU_DEP_2) | instskip(NEXT) | instid1(VALU_DEP_1)
	v_add_f32_e32 v129, v129, v156
	v_add_f32_e32 v129, v129, v155
	s_delay_alu instid0(VALU_DEP_1) | instskip(NEXT) | instid1(VALU_DEP_1)
	v_add_f32_e32 v129, v129, v158
	v_add_f32_e32 v129, v129, v157
	ds_bpermute_b32 v130, v160, v129
	s_and_saveexec_b32 s3, s2
	s_cbranch_execz .LBB208_12
; %bb.11:
	v_mul_u32_u24_e32 v131, 0x44, v141
	s_delay_alu instid0(VALU_DEP_1) | instskip(SKIP_1) | instid1(VALU_DEP_1)
	v_lshl_add_u32 v131, v140, 2, v131
	s_waitcnt lgkmcnt(0)
	v_dual_add_f32 v129, v129, v130 :: v_dual_add_nc_u32 v130, 0x4000, v131
	ds_store_2addr_b32 v130, v159, v129 offset1:136
.LBB208_12:
	s_or_b32 exec_lo, exec_lo, s3
	v_lshlrev_b32_e32 v129, 2, v140
	s_load_b32 s35, s[0:1], 0x94
	s_waitcnt lgkmcnt(0)
	s_barrier
	buffer_gl0_inv
	v_add_nc_u32_e32 v135, 0x4000, v129
	v_cmp_eq_u32_e32 vcc_lo, 1, v141
	v_cmp_eq_u32_e64 s3, 2, v141
	v_cmp_eq_u32_e64 s4, 3, v141
	;; [unrolled: 1-line block ×3, first 2 shown]
	ds_load_2addr_b32 v[129:130], v135 offset1:17
	ds_load_2addr_b32 v[131:132], v135 offset0:34 offset1:51
	ds_load_2addr_b32 v[133:134], v135 offset0:68 offset1:85
	;; [unrolled: 1-line block ×3, first 2 shown]
	v_cmp_eq_u32_e64 s6, 5, v141
	v_cmp_eq_u32_e64 s7, 7, v141
	s_waitcnt lgkmcnt(3)
	v_max3_f32 v136, v129, 0xff7fffff, v130
	s_waitcnt lgkmcnt(2)
	s_delay_alu instid0(VALU_DEP_1) | instskip(SKIP_1) | instid1(VALU_DEP_1)
	v_max3_f32 v136, v136, v131, v132
	s_waitcnt lgkmcnt(1)
	v_max3_f32 v136, v136, v133, v134
	s_waitcnt lgkmcnt(0)
	s_delay_alu instid0(VALU_DEP_1) | instskip(NEXT) | instid1(VALU_DEP_1)
	v_max3_f32 v136, v136, v159, v160
	v_sub_f32_e32 v142, v130, v136
	ds_load_2addr_b32 v[161:162], v135 offset0:136 offset1:153
	v_sub_f32_e32 v164, v132, v136
	v_mul_f32_e32 v142, 0x3fb8aa3b, v142
	s_delay_alu instid0(VALU_DEP_2) | instskip(NEXT) | instid1(VALU_DEP_2)
	v_mul_f32_e32 v164, 0x3fb8aa3b, v164
	v_exp_f32_e32 v166, v142
	v_sub_f32_e32 v129, v129, v136
	s_delay_alu instid0(VALU_DEP_2) | instskip(NEXT) | instid1(VALU_DEP_1)
	v_exp_f32_e32 v164, v164
	v_mul_f32_e32 v163, 0x3fb8aa3b, v129
	ds_load_2addr_b32 v[129:130], v135 offset0:170 offset1:187
	v_exp_f32_e32 v163, v163
	s_waitcnt lgkmcnt(1)
	s_waitcnt_depctr 0xfff
	v_fma_f32 v142, v163, v161, 0
	v_sub_f32_e32 v161, v134, v136
	s_delay_alu instid0(VALU_DEP_2) | instskip(NEXT) | instid1(VALU_DEP_1)
	v_dual_fmac_f32 v142, v166, v162 :: v_dual_sub_f32 v131, v131, v136
	v_mul_f32_e32 v165, 0x3fb8aa3b, v131
	ds_load_2addr_b32 v[131:132], v135 offset0:204 offset1:221
	v_exp_f32_e32 v165, v165
	s_waitcnt lgkmcnt(1)
	s_waitcnt_depctr 0xfff
	v_fmac_f32_e32 v142, v165, v129
	v_sub_f32_e32 v133, v133, v136
	v_sub_f32_e32 v129, v160, v136
	s_delay_alu instid0(VALU_DEP_2) | instskip(NEXT) | instid1(VALU_DEP_2)
	v_dual_fmac_f32 v142, v164, v130 :: v_dual_mul_f32 v167, 0x3fb8aa3b, v133
	v_mul_f32_e32 v129, 0x3fb8aa3b, v129
	ds_load_2addr_b32 v[133:134], v135 offset0:238 offset1:255
	v_cndmask_b32_e32 v130, v163, v166, vcc_lo
	s_waitcnt lgkmcnt(0)
	s_barrier
	v_exp_f32_e32 v162, v129
	v_sub_f32_e32 v135, v159, v136
	v_mul_f32_e32 v159, 0x3fb8aa3b, v161
	v_exp_f32_e32 v161, v167
	buffer_gl0_inv
	v_exp_f32_e32 v159, v159
	v_fmac_f32_e32 v142, v161, v131
	s_waitcnt_depctr 0xfff
	v_dual_mul_f32 v135, 0x3fb8aa3b, v135 :: v_dual_fmac_f32 v142, v159, v132
	s_delay_alu instid0(VALU_DEP_1) | instskip(SKIP_2) | instid1(VALU_DEP_1)
	v_exp_f32_e32 v160, v135
	s_waitcnt_depctr 0xfff
	v_dual_fmac_f32 v142, v160, v133 :: v_dual_lshlrev_b32 v133, 6, v140
	v_fmac_f32_e32 v142, v162, v134
	s_delay_alu instid0(VALU_DEP_2) | instskip(NEXT) | instid1(VALU_DEP_2)
	v_lshl_or_b32 v135, v141, 11, v133
	v_add_f32_e32 v134, 0x358637bd, v142
	s_delay_alu instid0(VALU_DEP_1) | instskip(SKIP_1) | instid1(VALU_DEP_2)
	v_div_scale_f32 v167, null, v134, v134, 1.0
	v_div_scale_f32 v163, vcc_lo, 1.0, v134, 1.0
	v_rcp_f32_e32 v168, v167
	s_waitcnt_depctr 0xfff
	v_fma_f32 v129, -v167, v168, 1.0
	s_delay_alu instid0(VALU_DEP_1) | instskip(SKIP_2) | instid1(VALU_DEP_2)
	v_fmac_f32_e32 v168, v129, v168
	v_cndmask_b32_e64 v129, v130, v165, s3
	v_cmp_eq_u32_e64 s3, 6, v141
	v_cndmask_b32_e64 v130, v129, v164, s4
	v_lshlrev_b32_e32 v129, 2, v138
	v_mul_f32_e32 v165, v163, v168
	s_delay_alu instid0(VALU_DEP_3) | instskip(NEXT) | instid1(VALU_DEP_3)
	v_cndmask_b32_e64 v161, v130, v161, s5
	v_or_b32_e32 v130, 1, v129
	s_delay_alu instid0(VALU_DEP_3)
	v_fma_f32 v131, -v167, v165, v163
	v_or_b32_e32 v132, 2, v129
	v_cmp_eq_u32_e64 s4, 1, v129
	v_cndmask_b32_e64 v141, v161, v159, s6
	v_cmp_eq_u32_e64 s9, 1, v130
	v_fmac_f32_e32 v165, v131, v168
	v_or_b32_e32 v131, 3, v129
	v_cmp_eq_u32_e64 s10, 1, v132
	v_cndmask_b32_e64 v141, v141, v160, s3
	v_cmp_eq_u32_e64 s5, 2, v129
	v_fma_f32 v159, -v167, v165, v163
	v_cmp_eq_u32_e64 s11, 1, v131
	v_cmp_eq_u32_e64 s16, 2, v131
	v_cndmask_b32_e64 v141, v141, v162, s7
	v_cmp_eq_u32_e64 s12, 2, v130
	v_div_fmas_f32 v159, v159, v168, v165
	v_cmp_eq_u32_e64 s18, 3, v131
	v_cmp_eq_u32_e32 vcc_lo, 3, v129
	v_cmp_eq_u32_e64 s13, 3, v130
	v_cmp_eq_u32_e64 s15, 2, v132
	v_div_fixup_f32 v159, v159, v134, 1.0
	v_lshl_or_b32 v134, v138, 4, v135
	v_cmp_eq_u32_e64 s22, 4, v131
	v_cmp_eq_u32_e64 s3, 4, v129
	;; [unrolled: 1-line block ×3, first 2 shown]
	v_mul_f32_e32 v141, v141, v159
	v_cmp_eq_u32_e64 s19, 4, v130
	v_cmp_eq_u32_e64 s24, 5, v131
	;; [unrolled: 1-line block ×4, first 2 shown]
	v_fma_mixlo_f16 v159, v141, v144, 0
	v_fma_mixlo_f16 v160, v141, v146, 0
	;; [unrolled: 1-line block ×8, first 2 shown]
	v_fma_mixhi_f16 v159, v141, v143, 0
	v_fma_mixhi_f16 v160, v141, v145, 0
	;; [unrolled: 1-line block ×8, first 2 shown]
	ds_store_b128 v134, v[159:162]
	ds_store_b128 v134, v[163:166] offset:1024
	s_waitcnt lgkmcnt(0)
	s_barrier
	buffer_gl0_inv
	ds_load_b128 v[143:146], v135
	ds_load_b128 v[147:150], v135 offset:16
	ds_load_b128 v[151:154], v135 offset:1024
	;; [unrolled: 1-line block ×3, first 2 shown]
	v_cmp_eq_u32_e64 s21, 4, v132
	v_cmp_eq_u32_e64 s27, 6, v131
	;; [unrolled: 1-line block ×10, first 2 shown]
	s_waitcnt lgkmcnt(3)
	v_lshrrev_b32_e32 v141, 16, v143
	s_waitcnt lgkmcnt(2)
	v_lshrrev_b32_e32 v162, 16, v147
	v_lshrrev_b32_e32 v159, 16, v144
	;; [unrolled: 1-line block ×3, first 2 shown]
	s_waitcnt lgkmcnt(1)
	v_lshrrev_b32_e32 v166, 16, v151
	v_cndmask_b32_e64 v174, v143, v141, s4
	v_cndmask_b32_e64 v176, v143, v141, s9
	v_cndmask_b32_e64 v178, v143, v141, s10
	v_cndmask_b32_e64 v141, v143, v141, s11
	v_cndmask_b32_e64 v143, v147, v162, s11
	s_waitcnt lgkmcnt(0)
	v_lshrrev_b32_e32 v170, 16, v155
	v_cndmask_b32_e64 v175, v147, v162, s4
	v_cndmask_b32_e64 v177, v147, v162, s9
	;; [unrolled: 1-line block ×19, first 2 shown]
	v_lshrrev_b32_e32 v160, 16, v145
	v_lshrrev_b32_e32 v164, 16, v149
	;; [unrolled: 1-line block ×4, first 2 shown]
	v_cndmask_b32_e64 v176, v178, v144, s15
	v_cndmask_b32_e64 v177, v179, v148, s15
	;; [unrolled: 1-line block ×8, first 2 shown]
	v_cndmask_b32_e32 v155, v166, v159, vcc_lo
	v_cndmask_b32_e32 v166, v170, v163, vcc_lo
	v_cndmask_b32_e64 v170, v174, v159, s13
	v_cndmask_b32_e64 v174, v175, v163, s13
	;; [unrolled: 1-line block ×6, first 2 shown]
	v_cndmask_b32_e32 v144, v144, v167, vcc_lo
	v_cndmask_b32_e32 v147, v147, v171, vcc_lo
	v_cndmask_b32_e64 v148, v148, v167, s13
	v_cndmask_b32_e64 v155, v155, v145, s3
	;; [unrolled: 1-line block ×7, first 2 shown]
	v_lshrrev_b32_e32 v161, 16, v146
	v_lshrrev_b32_e32 v165, 16, v150
	;; [unrolled: 1-line block ×4, first 2 shown]
	v_cndmask_b32_e64 v170, v175, v145, s21
	v_cndmask_b32_e64 v174, v176, v149, s21
	;; [unrolled: 1-line block ×22, first 2 shown]
	v_lshrrev_b32_e32 v169, 16, v154
	v_cndmask_b32_e64 v160, v163, v146, s26
	v_cndmask_b32_e64 v163, v166, v150, s26
	;; [unrolled: 1-line block ×9, first 2 shown]
	v_perm_b32 v146, v143, v141, 0x5040100
	v_cndmask_b32_e64 v141, v183, v156, s15
	v_cndmask_b32_e64 v143, v181, v156, s12
	;; [unrolled: 1-line block ×4, first 2 shown]
	v_perm_b32 v144, v159, v149, 0x5040100
	v_cndmask_b32_e64 v149, v162, v167, s17
	v_cndmask_b32_e64 v151, v151, v167, s18
	;; [unrolled: 1-line block ×15, first 2 shown]
	v_lshrrev_b32_e32 v173, 16, v158
	v_cndmask_b32_e64 v149, v149, v154, s26
	v_cndmask_b32_e64 v151, v151, v154, s27
	;; [unrolled: 1-line block ×13, first 2 shown]
	v_perm_b32 v145, v160, v155, 0x5040100
	v_perm_b32 v143, v148, v147, 0x5040100
	;; [unrolled: 1-line block ×6, first 2 shown]
	s_mul_i32 s7, s33, 15
	s_mov_b32 s3, exec_lo
	ds_store_b128 v134, v[143:146]
	ds_store_b128 v134, v[147:150] offset:1024
	v_cmpx_gt_u32_e32 15, v0
	s_cbranch_execz .LBB208_14
; %bb.13:
	s_mul_i32 s4, s7, s34
	s_load_b128 s[8:11], s[0:1], 0x58
	v_add3_u32 v143, s4, s31, v140
	s_delay_alu instid0(VALU_DEP_1) | instskip(NEXT) | instid1(VALU_DEP_1)
	v_mad_u64_u32 v[140:141], null, v143, s35, s[14:15]
	v_ashrrev_i32_e32 v141, 31, v140
	s_delay_alu instid0(VALU_DEP_1) | instskip(SKIP_1) | instid1(VALU_DEP_1)
	v_lshlrev_b64 v[140:141], 2, v[140:141]
	s_waitcnt lgkmcnt(0)
	v_add_co_u32 v143, vcc_lo, s10, v140
	s_delay_alu instid0(VALU_DEP_2)
	v_add_co_ci_u32_e32 v144, vcc_lo, s11, v141, vcc_lo
	v_add_co_u32 v140, vcc_lo, s8, v140
	v_add_co_ci_u32_e32 v141, vcc_lo, s9, v141, vcc_lo
	global_store_b32 v[143:144], v136, off
	global_store_b32 v[140:141], v142, off
.LBB208_14:
	s_or_b32 exec_lo, exec_lo, s3
	s_waitcnt lgkmcnt(0)
	s_waitcnt_vscnt null, 0x0
	s_barrier
	buffer_gl0_inv
	ds_load_b128 v[148:151], v133
	ds_load_b128 v[152:155], v133 offset:16
	ds_load_b128 v[160:163], v133 offset:1040
	;; [unrolled: 1-line block ×5, first 2 shown]
	v_cmp_eq_u32_e32 vcc_lo, 1, v132
	v_mov_b32_e32 v140, 0
	ds_load_b128 v[176:179], v133 offset:3088
	ds_load_b128 v[172:175], v133 offset:3072
	ds_load_b128 v[184:187], v133 offset:4112
	ds_load_b128 v[180:183], v133 offset:4096
	v_cmp_eq_u32_e64 s3, 1, v129
	v_cmp_eq_u32_e64 s4, 1, v131
	;; [unrolled: 1-line block ×3, first 2 shown]
	v_mov_b32_e32 v141, v140
	v_mov_b32_e32 v142, v140
	;; [unrolled: 1-line block ×7, first 2 shown]
	v_cmp_eq_u32_e64 s6, 2, v129
	s_waitcnt lgkmcnt(8)
	s_delay_alu instid0(VALU_DEP_2)
	v_wmma_f32_16x16x16_f16 v[140:147], v[121:128], v[148:155], v[140:147]
	ds_load_b128 v[125:128], v133 offset:5136
	ds_load_b128 v[121:124], v133 offset:5120
	s_waitcnt lgkmcnt(8)
	v_wmma_f32_16x16x16_f16 v[140:147], v[113:120], v[156:163], v[140:147]
	ds_load_b128 v[117:120], v133 offset:6160
	ds_load_b128 v[113:116], v133 offset:6144
	s_waitcnt lgkmcnt(8)
	;; [unrolled: 4-line block ×11, first 2 shown]
	s_barrier
	buffer_gl0_inv
	v_wmma_f32_16x16x16_f16 v[140:147], v[1:8], v[73:80], v[140:147]
	s_delay_alu instid0(VALU_DEP_1) | instskip(NEXT) | instid1(VALU_DEP_1)
	v_wmma_f32_16x16x16_f16 v[140:147], v[9:16], v[65:72], v[140:147]
	v_wmma_f32_16x16x16_f16 v[140:147], v[33:40], v[57:64], v[140:147]
	s_delay_alu instid0(VALU_DEP_1) | instskip(NEXT) | instid1(VALU_DEP_1)
	v_wmma_f32_16x16x16_f16 v[140:147], v[41:48], v[49:56], v[140:147]
	v_wmma_f32_16x16x16_f16 v[140:147], v[17:24], v[25:32], v[140:147]
	s_delay_alu instid0(VALU_DEP_1) | instskip(NEXT) | instid1(VALU_DEP_2)
	v_cvt_f16_f32_e64 v1, v140
	v_cvt_f16_f32_e64 v2, v141
	s_delay_alu instid0(VALU_DEP_3) | instskip(NEXT) | instid1(VALU_DEP_4)
	v_cvt_f16_f32_e64 v3, v142
	v_cvt_f16_f32_e64 v4, v143
	;; [unrolled: 1-line block ×6, first 2 shown]
	v_pack_b32_f16 v1, v1, v2
	v_pack_b32_f16 v2, v3, v4
	;; [unrolled: 1-line block ×3, first 2 shown]
	s_delay_alu instid0(VALU_DEP_4)
	v_pack_b32_f16 v4, v7, v8
	ds_store_b128 v134, v[1:4]
	s_waitcnt lgkmcnt(0)
	s_barrier
	buffer_gl0_inv
	ds_load_b128 v[1:4], v135
	ds_load_b128 v[5:8], v135 offset:16
	s_waitcnt lgkmcnt(1)
	v_lshrrev_b32_e32 v9, 16, v1
	s_waitcnt lgkmcnt(0)
	v_lshrrev_b32_e32 v13, 16, v5
	v_lshrrev_b32_e32 v10, 16, v2
	;; [unrolled: 1-line block ×4, first 2 shown]
	v_cndmask_b32_e64 v17, v1, v9, s3
	v_cndmask_b32_e64 v18, v5, v13, s3
	;; [unrolled: 1-line block ×3, first 2 shown]
	v_cmp_eq_u32_e64 s3, 2, v130
	v_cndmask_b32_e64 v20, v5, v13, s5
	v_cndmask_b32_e32 v21, v1, v9, vcc_lo
	v_cndmask_b32_e32 v22, v5, v13, vcc_lo
	v_cndmask_b32_e64 v1, v1, v9, s4
	v_cndmask_b32_e64 v5, v5, v13, s4
	v_cmp_eq_u32_e32 vcc_lo, 2, v132
	v_cmp_eq_u32_e64 s4, 2, v131
	v_cndmask_b32_e64 v9, v17, v2, s6
	v_cndmask_b32_e64 v13, v18, v6, s6
	v_cndmask_b32_e64 v17, v19, v2, s3
	v_cndmask_b32_e64 v18, v20, v6, s3
	v_cndmask_b32_e32 v19, v21, v2, vcc_lo
	v_cmp_eq_u32_e64 s3, 3, v132
	v_cndmask_b32_e32 v20, v22, v6, vcc_lo
	v_cndmask_b32_e64 v1, v1, v2, s4
	v_cmp_eq_u32_e32 vcc_lo, 3, v131
	v_cmp_eq_u32_e64 s5, 3, v129
	v_cndmask_b32_e64 v2, v5, v6, s4
	v_cmp_eq_u32_e64 s4, 3, v130
	v_cmp_eq_u32_e64 s6, 4, v129
	v_cndmask_b32_e32 v1, v1, v10, vcc_lo
	v_cndmask_b32_e64 v5, v9, v10, s5
	v_cndmask_b32_e64 v6, v13, v14, s5
	;; [unrolled: 1-line block ×3, first 2 shown]
	v_cmp_eq_u32_e64 s5, 4, v130
	v_cndmask_b32_e64 v13, v18, v14, s4
	v_cndmask_b32_e64 v17, v19, v10, s3
	;; [unrolled: 1-line block ×3, first 2 shown]
	v_cndmask_b32_e32 v2, v2, v14, vcc_lo
	v_cmp_eq_u32_e32 vcc_lo, 4, v132
	v_cmp_eq_u32_e64 s4, 4, v131
	v_lshrrev_b32_e32 v15, 16, v7
	v_cndmask_b32_e64 v5, v5, v3, s6
	v_cndmask_b32_e64 v6, v6, v7, s6
	v_cndmask_b32_e32 v14, v18, v7, vcc_lo
	v_cndmask_b32_e64 v9, v9, v3, s5
	v_cndmask_b32_e64 v10, v13, v7, s5
	v_cndmask_b32_e32 v13, v17, v3, vcc_lo
	v_cmp_eq_u32_e64 s3, 5, v132
	v_cndmask_b32_e64 v1, v1, v3, s4
	v_cmp_eq_u32_e32 vcc_lo, 5, v131
	v_cmp_eq_u32_e64 s5, 5, v129
	v_cndmask_b32_e64 v2, v2, v7, s4
	v_cmp_eq_u32_e64 s4, 5, v130
	v_cmp_eq_u32_e64 s6, 6, v129
	v_lshrrev_b32_e32 v12, 16, v4
	v_cndmask_b32_e64 v3, v5, v11, s5
	v_cndmask_b32_e64 v5, v6, v15, s5
	;; [unrolled: 1-line block ×3, first 2 shown]
	v_cmp_eq_u32_e64 s5, 6, v130
	v_cndmask_b32_e64 v7, v10, v15, s4
	v_cndmask_b32_e64 v9, v13, v11, s3
	;; [unrolled: 1-line block ×3, first 2 shown]
	v_cndmask_b32_e32 v1, v1, v11, vcc_lo
	v_cndmask_b32_e32 v2, v2, v15, vcc_lo
	v_cmp_eq_u32_e32 vcc_lo, 6, v132
	v_cmp_eq_u32_e64 s3, 6, v131
	v_lshrrev_b32_e32 v16, 16, v8
	v_cndmask_b32_e64 v3, v3, v4, s6
	v_cndmask_b32_e64 v5, v5, v8, s6
	v_cndmask_b32_e32 v9, v9, v4, vcc_lo
	v_cndmask_b32_e64 v6, v6, v4, s5
	v_cndmask_b32_e64 v7, v7, v8, s5
	v_cmp_eq_u32_e64 s4, 7, v132
	v_cndmask_b32_e32 v10, v10, v8, vcc_lo
	v_cndmask_b32_e64 v1, v1, v4, s3
	v_cmp_eq_u32_e32 vcc_lo, 7, v131
	v_cndmask_b32_e64 v2, v2, v8, s3
	v_cmp_eq_u32_e64 s3, 7, v129
	v_cmp_eq_u32_e64 s5, 7, v130
	v_cndmask_b32_e32 v1, v1, v12, vcc_lo
	s_delay_alu instid0(VALU_DEP_4) | instskip(NEXT) | instid1(VALU_DEP_4)
	v_cndmask_b32_e32 v2, v2, v16, vcc_lo
	v_cndmask_b32_e64 v8, v3, v12, s3
	s_delay_alu instid0(VALU_DEP_4)
	v_cndmask_b32_e64 v6, v6, v12, s5
	v_cndmask_b32_e64 v3, v9, v12, s4
	;; [unrolled: 1-line block ×5, first 2 shown]
	v_perm_b32 v4, v2, v1, 0x5040100
	s_mov_b32 s3, exec_lo
	v_perm_b32 v3, v9, v3, 0x5040100
	v_perm_b32 v2, v7, v6, 0x5040100
	;; [unrolled: 1-line block ×3, first 2 shown]
	ds_store_b128 v134, v[1:4]
	s_waitcnt lgkmcnt(0)
	s_barrier
	buffer_gl0_inv
	v_cmpx_gt_u32_e32 32, v0
	s_cbranch_execz .LBB208_2
; %bb.15:
	s_load_b64 s[4:5], s[0:1], 0x68
	v_add_nc_u32_e32 v20, s31, v138
	v_lshlrev_b32_e32 v0, 10, v0
	v_lshlrev_b32_e32 v1, 4, v139
	s_lshl_b32 s0, s35, 7
	s_delay_alu instid0(SALU_CYCLE_1)
	s_mul_i32 s1, s0, s34
	v_add_nc_u32_e32 v2, 2, v20
	s_mul_i32 s6, s1, s7
	v_and_or_b32 v0, 0x3800, v0, v1
	v_mul_lo_u32 v1, v20, s0
	s_ashr_i32 s7, s6, 31
	v_mul_lo_u32 v11, v2, s0
	s_lshl_b64 s[6:7], s[6:7], 1
	v_add_nc_u32_e32 v3, 4, v20
	v_lshl_or_b32 v21, v138, 6, v0
	v_add_nc_u32_e32 v16, 6, v20
	v_ashrrev_i32_e32 v2, 31, v1
	s_delay_alu instid0(VALU_DEP_4)
	v_mul_lo_u32 v13, v3, s0
	s_waitcnt lgkmcnt(0)
	s_add_u32 s1, s4, s6
	s_addc_u32 s3, s5, s7
	s_lshl_b32 s4, s14, 7
	ds_load_b128 v[3:6], v21
	ds_load_b128 v[7:10], v21 offset:128
	s_ashr_i32 s5, s4, 31
	v_ashrrev_i32_e32 v12, 31, v11
	s_lshl_b64 s[4:5], s[4:5], 1
	v_lshlrev_b64 v[14:15], 1, v[1:2]
	s_add_u32 s1, s1, s4
	s_addc_u32 s3, s3, s5
	v_add_co_u32 v1, s1, s1, v137
	s_delay_alu instid0(VALU_DEP_1) | instskip(SKIP_1) | instid1(VALU_DEP_3)
	v_add_co_ci_u32_e64 v2, null, s3, 0, s1
	v_lshlrev_b64 v[11:12], 1, v[11:12]
	v_add_co_u32 v18, vcc_lo, v1, v14
	v_mul_lo_u32 v16, v16, s0
	s_delay_alu instid0(VALU_DEP_4) | instskip(NEXT) | instid1(VALU_DEP_4)
	v_add_co_ci_u32_e32 v19, vcc_lo, v2, v15, vcc_lo
	v_add_co_u32 v11, vcc_lo, v1, v11
	v_ashrrev_i32_e32 v14, 31, v13
	v_add_co_ci_u32_e32 v12, vcc_lo, v2, v12, vcc_lo
	v_add_nc_u32_e32 v15, 8, v20
	v_ashrrev_i32_e32 v17, 31, v16
	s_waitcnt lgkmcnt(1)
	global_store_b128 v[18:19], v[3:6], off
	v_lshlrev_b64 v[3:4], 1, v[13:14]
	s_waitcnt lgkmcnt(0)
	global_store_b128 v[11:12], v[7:10], off
	v_mul_lo_u32 v11, v15, s0
	v_add_nc_u32_e32 v7, 10, v20
	v_lshlrev_b64 v[5:6], 1, v[16:17]
	v_add_co_u32 v23, vcc_lo, v1, v3
	v_add_nc_u32_e32 v3, 12, v20
	s_delay_alu instid0(VALU_DEP_4)
	v_mul_lo_u32 v25, v7, s0
	v_ashrrev_i32_e32 v12, 31, v11
	v_add_co_ci_u32_e32 v24, vcc_lo, v2, v4, vcc_lo
	v_add_co_u32 v27, vcc_lo, v1, v5
	v_mul_lo_u32 v29, v3, s0
	v_add_co_ci_u32_e32 v28, vcc_lo, v2, v6, vcc_lo
	ds_load_b128 v[3:6], v21 offset:256
	ds_load_b128 v[7:10], v21 offset:384
	v_lshlrev_b64 v[31:32], 1, v[11:12]
	ds_load_b128 v[11:14], v21 offset:512
	ds_load_b128 v[15:18], v21 offset:640
	;; [unrolled: 1-line block ×3, first 2 shown]
	v_ashrrev_i32_e32 v26, 31, v25
	v_ashrrev_i32_e32 v30, 31, v29
	v_add_co_u32 v31, vcc_lo, v1, v31
	s_delay_alu instid0(VALU_DEP_3) | instskip(NEXT) | instid1(VALU_DEP_3)
	v_lshlrev_b64 v[25:26], 1, v[25:26]
	v_lshlrev_b64 v[29:30], 1, v[29:30]
	v_add_co_ci_u32_e32 v32, vcc_lo, v2, v32, vcc_lo
	s_delay_alu instid0(VALU_DEP_3) | instskip(NEXT) | instid1(VALU_DEP_4)
	v_add_co_u32 v25, vcc_lo, v1, v25
	v_add_co_ci_u32_e32 v26, vcc_lo, v2, v26, vcc_lo
	s_delay_alu instid0(VALU_DEP_4)
	v_add_co_u32 v29, vcc_lo, v1, v29
	v_add_co_ci_u32_e32 v30, vcc_lo, v2, v30, vcc_lo
	s_waitcnt lgkmcnt(4)
	global_store_b128 v[23:24], v[3:6], off
	s_waitcnt lgkmcnt(3)
	global_store_b128 v[27:28], v[7:10], off
	;; [unrolled: 2-line block ×5, first 2 shown]
	s_and_b32 exec_lo, exec_lo, s2
	s_cbranch_execz .LBB208_2
; %bb.16:
	ds_load_b128 v[3:6], v0 offset:896
	s_add_i32 s1, s31, 14
	s_delay_alu instid0(SALU_CYCLE_1) | instskip(NEXT) | instid1(SALU_CYCLE_1)
	s_mul_i32 s0, s1, s0
	s_ashr_i32 s1, s0, 31
	s_delay_alu instid0(SALU_CYCLE_1) | instskip(NEXT) | instid1(SALU_CYCLE_1)
	s_lshl_b64 s[0:1], s[0:1], 1
	v_add_co_u32 v0, vcc_lo, v1, s0
	v_add_co_ci_u32_e32 v1, vcc_lo, s1, v2, vcc_lo
	s_waitcnt lgkmcnt(0)
	global_store_b128 v[0:1], v[3:6], off
	s_nop 0
	s_sendmsg sendmsg(MSG_DEALLOC_VGPRS)
	s_endpgm
	.section	.rodata,"a",@progbits
	.p2align	6, 0x0
	.amdhsa_kernel _Z39paged_attention_ll4mi_QKV_mfma16_kernelIDF16_DF16_LN4vllm18Fp8KVCacheDataTypeE0EhLi16ELi128ELi256ELb1ELi15EL8MFMAType0EEvPKT_PKT0_S8_ifPKiSA_SA_iPKfiiiPfSD_PS3_PT2_iSC_SC_
		.amdhsa_group_segment_fixed_size 17472
		.amdhsa_private_segment_fixed_size 0
		.amdhsa_kernarg_size 400
		.amdhsa_user_sgpr_count 13
		.amdhsa_user_sgpr_dispatch_ptr 0
		.amdhsa_user_sgpr_queue_ptr 0
		.amdhsa_user_sgpr_kernarg_segment_ptr 1
		.amdhsa_user_sgpr_dispatch_id 0
		.amdhsa_user_sgpr_private_segment_size 0
		.amdhsa_wavefront_size32 1
		.amdhsa_uses_dynamic_stack 0
		.amdhsa_enable_private_segment 0
		.amdhsa_system_sgpr_workgroup_id_x 1
		.amdhsa_system_sgpr_workgroup_id_y 1
		.amdhsa_system_sgpr_workgroup_id_z 1
		.amdhsa_system_sgpr_workgroup_info 0
		.amdhsa_system_vgpr_workitem_id 0
		.amdhsa_next_free_vgpr 218
		.amdhsa_next_free_sgpr 52
		.amdhsa_reserve_vcc 1
		.amdhsa_float_round_mode_32 0
		.amdhsa_float_round_mode_16_64 0
		.amdhsa_float_denorm_mode_32 3
		.amdhsa_float_denorm_mode_16_64 3
		.amdhsa_dx10_clamp 1
		.amdhsa_ieee_mode 1
		.amdhsa_fp16_overflow 0
		.amdhsa_workgroup_processor_mode 1
		.amdhsa_memory_ordered 1
		.amdhsa_forward_progress 0
		.amdhsa_shared_vgpr_count 0
		.amdhsa_exception_fp_ieee_invalid_op 0
		.amdhsa_exception_fp_denorm_src 0
		.amdhsa_exception_fp_ieee_div_zero 0
		.amdhsa_exception_fp_ieee_overflow 0
		.amdhsa_exception_fp_ieee_underflow 0
		.amdhsa_exception_fp_ieee_inexact 0
		.amdhsa_exception_int_div_zero 0
	.end_amdhsa_kernel
	.section	.text._Z39paged_attention_ll4mi_QKV_mfma16_kernelIDF16_DF16_LN4vllm18Fp8KVCacheDataTypeE0EhLi16ELi128ELi256ELb1ELi15EL8MFMAType0EEvPKT_PKT0_S8_ifPKiSA_SA_iPKfiiiPfSD_PS3_PT2_iSC_SC_,"axG",@progbits,_Z39paged_attention_ll4mi_QKV_mfma16_kernelIDF16_DF16_LN4vllm18Fp8KVCacheDataTypeE0EhLi16ELi128ELi256ELb1ELi15EL8MFMAType0EEvPKT_PKT0_S8_ifPKiSA_SA_iPKfiiiPfSD_PS3_PT2_iSC_SC_,comdat
.Lfunc_end208:
	.size	_Z39paged_attention_ll4mi_QKV_mfma16_kernelIDF16_DF16_LN4vllm18Fp8KVCacheDataTypeE0EhLi16ELi128ELi256ELb1ELi15EL8MFMAType0EEvPKT_PKT0_S8_ifPKiSA_SA_iPKfiiiPfSD_PS3_PT2_iSC_SC_, .Lfunc_end208-_Z39paged_attention_ll4mi_QKV_mfma16_kernelIDF16_DF16_LN4vllm18Fp8KVCacheDataTypeE0EhLi16ELi128ELi256ELb1ELi15EL8MFMAType0EEvPKT_PKT0_S8_ifPKiSA_SA_iPKfiiiPfSD_PS3_PT2_iSC_SC_
                                        ; -- End function
	.section	.AMDGPU.csdata,"",@progbits
; Kernel info:
; codeLenInByte = 8352
; NumSgprs: 54
; NumVgprs: 218
; ScratchSize: 0
; MemoryBound: 0
; FloatMode: 240
; IeeeMode: 1
; LDSByteSize: 17472 bytes/workgroup (compile time only)
; SGPRBlocks: 6
; VGPRBlocks: 27
; NumSGPRsForWavesPerEU: 54
; NumVGPRsForWavesPerEU: 218
; Occupancy: 6
; WaveLimiterHint : 1
; COMPUTE_PGM_RSRC2:SCRATCH_EN: 0
; COMPUTE_PGM_RSRC2:USER_SGPR: 13
; COMPUTE_PGM_RSRC2:TRAP_HANDLER: 0
; COMPUTE_PGM_RSRC2:TGID_X_EN: 1
; COMPUTE_PGM_RSRC2:TGID_Y_EN: 1
; COMPUTE_PGM_RSRC2:TGID_Z_EN: 1
; COMPUTE_PGM_RSRC2:TIDIG_COMP_CNT: 0
	.section	.text._Z39paged_attention_ll4mi_QKV_mfma16_kernelIDF16_DF16_LN4vllm18Fp8KVCacheDataTypeE0EhLi16ELi128ELi256ELb1ELi16EL8MFMAType0EEvPKT_PKT0_S8_ifPKiSA_SA_iPKfiiiPfSD_PS3_PT2_iSC_SC_,"axG",@progbits,_Z39paged_attention_ll4mi_QKV_mfma16_kernelIDF16_DF16_LN4vllm18Fp8KVCacheDataTypeE0EhLi16ELi128ELi256ELb1ELi16EL8MFMAType0EEvPKT_PKT0_S8_ifPKiSA_SA_iPKfiiiPfSD_PS3_PT2_iSC_SC_,comdat
	.protected	_Z39paged_attention_ll4mi_QKV_mfma16_kernelIDF16_DF16_LN4vllm18Fp8KVCacheDataTypeE0EhLi16ELi128ELi256ELb1ELi16EL8MFMAType0EEvPKT_PKT0_S8_ifPKiSA_SA_iPKfiiiPfSD_PS3_PT2_iSC_SC_ ; -- Begin function _Z39paged_attention_ll4mi_QKV_mfma16_kernelIDF16_DF16_LN4vllm18Fp8KVCacheDataTypeE0EhLi16ELi128ELi256ELb1ELi16EL8MFMAType0EEvPKT_PKT0_S8_ifPKiSA_SA_iPKfiiiPfSD_PS3_PT2_iSC_SC_
	.globl	_Z39paged_attention_ll4mi_QKV_mfma16_kernelIDF16_DF16_LN4vllm18Fp8KVCacheDataTypeE0EhLi16ELi128ELi256ELb1ELi16EL8MFMAType0EEvPKT_PKT0_S8_ifPKiSA_SA_iPKfiiiPfSD_PS3_PT2_iSC_SC_
	.p2align	8
	.type	_Z39paged_attention_ll4mi_QKV_mfma16_kernelIDF16_DF16_LN4vllm18Fp8KVCacheDataTypeE0EhLi16ELi128ELi256ELb1ELi16EL8MFMAType0EEvPKT_PKT0_S8_ifPKiSA_SA_iPKfiiiPfSD_PS3_PT2_iSC_SC_,@function
_Z39paged_attention_ll4mi_QKV_mfma16_kernelIDF16_DF16_LN4vllm18Fp8KVCacheDataTypeE0EhLi16ELi128ELi256ELb1ELi16EL8MFMAType0EEvPKT_PKT0_S8_ifPKiSA_SA_iPKfiiiPfSD_PS3_PT2_iSC_SC_: ; @_Z39paged_attention_ll4mi_QKV_mfma16_kernelIDF16_DF16_LN4vllm18Fp8KVCacheDataTypeE0EhLi16ELi128ELi256ELb1ELi16EL8MFMAType0EEvPKT_PKT0_S8_ifPKiSA_SA_iPKfiiiPfSD_PS3_PT2_iSC_SC_
; %bb.0:
	s_load_b64 s[4:5], s[0:1], 0x30
	s_mov_b32 s30, s13
	s_waitcnt lgkmcnt(0)
	s_cmp_lg_u64 s[4:5], 0
	s_cselect_b32 s12, -1, 0
	s_ashr_i32 s31, s13, 31
	s_cmp_eq_u64 s[4:5], 0
	s_cbranch_scc1 .LBB209_3
; %bb.1:
	s_lshl_b64 s[2:3], s[30:31], 2
	s_delay_alu instid0(SALU_CYCLE_1) | instskip(SKIP_4) | instid1(SALU_CYCLE_1)
	s_add_u32 s2, s4, s2
	s_addc_u32 s3, s5, s3
	s_load_b64 s[2:3], s[2:3], 0x0
	s_waitcnt lgkmcnt(0)
	s_sub_i32 s2, s3, s2
	s_cmp_eq_u32 s2, 1
	s_cselect_b32 s2, -1, 0
	s_delay_alu instid0(SALU_CYCLE_1)
	s_and_not1_b32 vcc_lo, exec_lo, s2
	s_cbranch_vccz .LBB209_4
.LBB209_2:
	s_endpgm
.LBB209_3:
.LBB209_4:
	s_load_b64 s[2:3], s[0:1], 0x28
	s_lshl_b64 s[6:7], s[30:31], 2
	s_waitcnt lgkmcnt(0)
	s_add_u32 s2, s2, s6
	s_addc_u32 s3, s3, s7
	s_lshl_b32 s29, s14, 8
	s_load_b32 s28, s[2:3], 0x0
	s_waitcnt lgkmcnt(0)
	s_cmp_ge_i32 s29, s28
	s_cbranch_scc1 .LBB209_2
; %bb.5:
	s_clause 0x1
	s_load_b128 s[8:11], s[0:1], 0x8
	s_load_b64 s[2:3], s[0:1], 0x20
	s_and_not1_b32 vcc_lo, exec_lo, s12
	s_cbranch_vccnz .LBB209_7
; %bb.6:
	s_add_u32 s4, s4, s6
	s_addc_u32 s5, s5, s7
	s_load_b32 s12, s[4:5], 0x0
	s_branch .LBB209_8
.LBB209_7:
	s_mov_b32 s12, s30
.LBB209_8:
	s_load_b128 s[4:7], s[0:1], 0x48
	v_and_b32_e32 v141, 15, v0
	v_lshrrev_b32_e32 v140, 5, v0
	v_and_b32_e32 v143, 31, v0
	v_and_b32_e32 v139, 1, v0
	v_bfe_u32 v138, v0, 4, 1
	v_lshlrev_b32_e32 v1, 3, v141
	s_lshl_b32 s31, s15, 4
	s_waitcnt lgkmcnt(0)
	s_mov_b32 s7, exec_lo
	s_delay_alu instid0(VALU_DEP_1)
	v_lshlrev_b32_e32 v137, 1, v1
	v_cmpx_gt_u32_e32 0x100, v0
	s_cbranch_execz .LBB209_10
; %bb.9:
	v_lshl_or_b32 v5, v140, 1, v138
	s_load_b64 s[16:17], s[0:1], 0x0
	s_mul_hi_i32 s13, s12, s4
	s_mul_i32 s12, s12, s4
	v_lshlrev_b32_e32 v6, 10, v141
	v_or_b32_e32 v1, s31, v5
	s_lshl_b64 s[12:13], s[12:13], 1
	v_lshlrev_b32_e32 v5, 6, v5
	v_lshlrev_b32_e32 v7, 10, v139
	v_and_b32_e32 v6, 0x3800, v6
	v_lshlrev_b32_e32 v1, 7, v1
	s_delay_alu instid0(VALU_DEP_2) | instskip(NEXT) | instid1(VALU_DEP_2)
	v_or3_b32 v5, v6, v7, v5
	v_ashrrev_i32_e32 v2, 31, v1
	s_delay_alu instid0(VALU_DEP_1) | instskip(SKIP_3) | instid1(VALU_DEP_1)
	v_lshlrev_b64 v[1:2], 1, v[1:2]
	s_waitcnt lgkmcnt(0)
	s_add_u32 s4, s16, s12
	s_addc_u32 s12, s17, s13
	v_add_co_u32 v1, vcc_lo, s4, v1
	s_delay_alu instid0(VALU_DEP_2) | instskip(NEXT) | instid1(VALU_DEP_2)
	v_add_co_ci_u32_e32 v2, vcc_lo, s12, v2, vcc_lo
	v_add_co_u32 v1, vcc_lo, v1, v137
	s_delay_alu instid0(VALU_DEP_2)
	v_add_co_ci_u32_e32 v2, vcc_lo, 0, v2, vcc_lo
	global_load_b128 v[1:4], v[1:2], off
	s_waitcnt vmcnt(0)
	ds_store_b128 v5, v[1:4]
.LBB209_10:
	s_or_b32 exec_lo, exec_lo, s7
	s_mov_b32 s40, 0
	s_add_i32 s4, s28, 15
	s_mov_b32 s41, s40
	s_mov_b32 s42, s40
	;; [unrolled: 1-line block ×7, first 2 shown]
	s_delay_alu instid0(SALU_CYCLE_1)
	v_dual_mov_b32 v136, s47 :: v_dual_and_b32 v1, 0xef, v0
	v_mov_b32_e32 v134, s45
	s_clause 0x1
	s_load_b32 s7, s[0:1], 0x38
	s_load_b32 s33, s[0:1], 0x98
	v_add_nc_u32_e32 v1, s29, v1
	s_ashr_i32 s12, s4, 31
	s_load_b32 s34, s[0:1], 0x1c
	s_lshr_b32 s12, s12, 28
	s_waitcnt lgkmcnt(0)
	v_ashrrev_i32_e32 v2, 31, v1
	s_add_i32 s4, s4, s12
	v_cmp_gt_i32_e32 vcc_lo, s28, v1
	v_mov_b32_e32 v135, s46
	s_ashr_i32 s4, s4, 4
	v_lshrrev_b32_e32 v3, 28, v2
	v_or_b32_e32 v2, 16, v1
	s_add_i32 s4, s4, -1
	v_mov_b32_e32 v132, s43
	s_barrier
	v_add_nc_u32_e32 v4, v1, v3
	v_add_nc_u32_e32 v3, v2, v3
	buffer_gl0_inv
	v_lshlrev_b32_e32 v142, 6, v141
	s_mul_i32 s12, s30, s7
	v_ashrrev_i32_e32 v4, 4, v4
	v_ashrrev_i32_e32 v3, 4, v3
	s_ashr_i32 s13, s12, 31
	v_mov_b32_e32 v133, s44
	s_lshl_b64 s[12:13], s[12:13], 2
	v_cndmask_b32_e32 v1, s4, v4, vcc_lo
	v_cmp_gt_i32_e32 vcc_lo, s28, v2
	s_add_u32 s35, s2, s12
	s_addc_u32 s36, s3, s13
	s_mul_i32 s2, s15, s6
	v_ashrrev_i32_e32 v2, 31, v1
	v_cndmask_b32_e32 v3, s4, v3, vcc_lo
	s_ashr_i32 s3, s2, 31
	v_mov_b32_e32 v131, s42
	s_lshl_b64 s[2:3], s[2:3], 1
	v_lshlrev_b64 v[1:2], 2, v[1:2]
	v_ashrrev_i32_e32 v4, 31, v3
	s_add_u32 s22, s8, s2
	s_addc_u32 s23, s9, s3
	s_lshl_b32 s6, s14, 4
	v_mov_b32_e32 v129, s40
	v_lshlrev_b64 v[3:4], 2, v[3:4]
	v_add_co_u32 v1, vcc_lo, s35, v1
	v_add_co_ci_u32_e32 v2, vcc_lo, s36, v2, vcc_lo
	s_ashr_i32 s7, s6, 31
	s_delay_alu instid0(VALU_DEP_3) | instskip(NEXT) | instid1(VALU_DEP_4)
	v_add_co_u32 v3, vcc_lo, s35, v3
	v_add_co_ci_u32_e32 v4, vcc_lo, s36, v4, vcc_lo
	s_clause 0x1
	global_load_b32 v5, v[1:2], off
	global_load_b32 v6, v[3:4], off
	s_lshl_b64 s[6:7], s[6:7], 2
	v_dual_mov_b32 v130, s41 :: v_dual_lshlrev_b32 v3, 4, v0
	s_add_u32 s6, s35, s6
	s_addc_u32 s7, s36, s7
	s_or_b32 s8, s29, 16
	v_lshlrev_b32_e32 v125, 5, v141
	s_ashr_i32 s9, s8, 4
	s_cmp_lt_i32 s8, s28
	s_cselect_b32 s8, s9, s4
	s_delay_alu instid0(VALU_DEP_1) | instskip(SKIP_1) | instid1(SALU_CYCLE_1)
	v_lshl_or_b32 v125, v140, 9, v125
	s_ashr_i32 s9, s8, 31
	s_lshl_b64 s[8:9], s[8:9], 2
	s_delay_alu instid0(SALU_CYCLE_1) | instskip(SKIP_2) | instid1(SALU_CYCLE_1)
	s_add_u32 s8, s35, s8
	s_addc_u32 s9, s36, s9
	s_or_b32 s12, s29, 32
	s_ashr_i32 s13, s12, 4
	s_cmp_lt_i32 s12, s28
	s_cselect_b32 s12, s13, s4
	s_delay_alu instid0(SALU_CYCLE_1) | instskip(NEXT) | instid1(SALU_CYCLE_1)
	s_ashr_i32 s13, s12, 31
	s_lshl_b64 s[12:13], s[12:13], 2
	s_delay_alu instid0(SALU_CYCLE_1) | instskip(SKIP_2) | instid1(SALU_CYCLE_1)
	s_add_u32 s12, s35, s12
	s_addc_u32 s13, s36, s13
	s_or_b32 s15, s29, 48
	s_ashr_i32 s16, s15, 4
	s_cmp_lt_i32 s15, s28
	s_cselect_b32 s16, s16, s4
	s_delay_alu instid0(SALU_CYCLE_1) | instskip(NEXT) | instid1(SALU_CYCLE_1)
	;; [unrolled: 10-line block ×4, first 2 shown]
	s_ashr_i32 s21, s20, 31
	s_lshl_b64 s[20:21], s[20:21], 2
	s_delay_alu instid0(SALU_CYCLE_1)
	s_add_u32 s20, s35, s20
	s_addc_u32 s21, s36, s21
	s_clause 0x5
	s_load_b32 s6, s[6:7], 0x0
	s_load_b32 s8, s[8:9], 0x0
	;; [unrolled: 1-line block ×6, first 2 shown]
	s_waitcnt vmcnt(1)
	v_mad_i64_i32 v[1:2], null, v5, s5, 0
	v_and_b32_e32 v5, 0xf0, v3
	s_waitcnt vmcnt(0)
	v_mad_i64_i32 v[3:4], null, v6, s5, 0
	s_delay_alu instid0(VALU_DEP_2) | instskip(NEXT) | instid1(VALU_DEP_4)
	v_add_co_u32 v5, s7, s22, v5
	v_lshlrev_b64 v[1:2], 1, v[1:2]
	v_add_co_ci_u32_e64 v6, null, s23, 0, s7
	s_delay_alu instid0(VALU_DEP_4) | instskip(SKIP_1) | instid1(VALU_DEP_3)
	v_lshlrev_b64 v[3:4], 1, v[3:4]
	s_or_b32 s7, s29, 0x60
	v_add_co_u32 v121, vcc_lo, v5, v1
	s_delay_alu instid0(VALU_DEP_3) | instskip(NEXT) | instid1(VALU_DEP_3)
	v_add_co_ci_u32_e32 v122, vcc_lo, v6, v2, vcc_lo
	v_add_co_u32 v123, vcc_lo, v5, v3
	s_delay_alu instid0(VALU_DEP_4)
	v_add_co_ci_u32_e32 v124, vcc_lo, v6, v4, vcc_lo
	s_clause 0x19
	global_load_b128 v[89:92], v[121:122], off
	global_load_b128 v[93:96], v[121:122], off offset:256
	global_load_b128 v[97:100], v[123:124], off
	global_load_b128 v[101:104], v[123:124], off offset:256
	global_load_b128 v[81:84], v[121:122], off offset:512
	;; [unrolled: 1-line block ×23, first 2 shown]
	s_ashr_i32 s9, s7, 4
	s_cmp_lt_i32 s7, s28
	ds_load_b128 v[105:108], v142
	ds_load_b128 v[109:112], v142 offset:1024
	s_cselect_b32 s20, s9, s4
	ds_load_b128 v[113:116], v142 offset:2048
	ds_load_b128 v[117:120], v142 offset:3072
	s_ashr_i32 s21, s20, 31
	ds_load_b128 v[144:147], v142 offset:4096
	ds_load_b128 v[148:151], v142 offset:5120
	s_lshl_b64 s[20:21], s[20:21], 2
	ds_load_b128 v[152:155], v142 offset:6144
	ds_load_b128 v[156:159], v142 offset:7168
	s_add_u32 s20, s35, s20
	s_addc_u32 s21, s36, s21
	s_or_b32 s7, s29, 0x70
	ds_load_b128 v[160:163], v142 offset:8192
	ds_load_b128 v[164:167], v142 offset:9216
	s_ashr_i32 s9, s7, 4
	s_cmp_lt_i32 s7, s28
	s_clause 0x1
	global_load_b128 v[168:171], v[123:124], off offset:3072
	global_load_b128 v[172:175], v[123:124], off offset:3328
	s_cselect_b32 s22, s9, s4
	s_delay_alu instid0(SALU_CYCLE_1) | instskip(NEXT) | instid1(SALU_CYCLE_1)
	s_ashr_i32 s23, s22, 31
	s_lshl_b64 s[22:23], s[22:23], 2
	s_delay_alu instid0(SALU_CYCLE_1)
	s_add_u32 s22, s35, s22
	s_addc_u32 s23, s36, s23
	s_clause 0x1
	s_load_b32 s44, s[20:21], 0x0
	s_load_b32 s45, s[22:23], 0x0
	s_clause 0x3
	global_load_b128 v[176:179], v[121:122], off offset:3584
	global_load_b128 v[180:183], v[121:122], off offset:3840
	;; [unrolled: 1-line block ×4, first 2 shown]
	s_or_b32 s7, s29, 0x80
	s_delay_alu instid0(SALU_CYCLE_1) | instskip(SKIP_2) | instid1(SALU_CYCLE_1)
	s_ashr_i32 s9, s7, 4
	s_cmp_lt_i32 s7, s28
	s_cselect_b32 s24, s9, s4
	s_ashr_i32 s25, s24, 31
	s_delay_alu instid0(SALU_CYCLE_1) | instskip(NEXT) | instid1(SALU_CYCLE_1)
	s_lshl_b64 s[24:25], s[24:25], 2
	s_add_u32 s24, s35, s24
	s_addc_u32 s25, s36, s25
	s_or_b32 s7, s29, 0x90
	s_delay_alu instid0(SALU_CYCLE_1) | instskip(SKIP_2) | instid1(SALU_CYCLE_1)
	s_ashr_i32 s9, s7, 4
	s_cmp_lt_i32 s7, s28
	s_cselect_b32 s26, s9, s4
	s_ashr_i32 s27, s26, 31
	s_delay_alu instid0(SALU_CYCLE_1) | instskip(NEXT) | instid1(SALU_CYCLE_1)
	s_lshl_b64 s[26:27], s[26:27], 2
	s_add_u32 s26, s35, s26
	s_addc_u32 s27, s36, s27
	s_or_b32 s7, s29, 0xa0
	s_delay_alu instid0(SALU_CYCLE_1)
	s_ashr_i32 s9, s7, 4
	s_cmp_lt_i32 s7, s28
	s_waitcnt lgkmcnt(0)
	s_mul_hi_i32 s7, s6, s5
	s_cselect_b32 s38, s9, s4
	s_mul_i32 s6, s6, s5
	s_ashr_i32 s39, s38, 31
	s_delay_alu instid0(SALU_CYCLE_1) | instskip(NEXT) | instid1(SALU_CYCLE_1)
	s_lshl_b64 s[38:39], s[38:39], 2
	s_add_u32 s38, s35, s38
	s_addc_u32 s39, s36, s39
	s_or_b32 s9, s29, 0xb0
	s_load_b32 s39, s[38:39], 0x0
	s_ashr_i32 s13, s9, 4
	s_cmp_lt_i32 s9, s28
	s_mul_hi_i32 s9, s8, s5
	s_cselect_b32 s40, s13, s4
	s_mul_i32 s8, s8, s5
	s_ashr_i32 s41, s40, 31
	s_mul_hi_i32 s13, s12, s5
	s_lshl_b64 s[40:41], s[40:41], 2
	s_mul_i32 s12, s12, s5
	s_add_u32 s42, s35, s40
	s_addc_u32 s43, s36, s41
	s_or_b32 s17, s29, 0xc0
	s_delay_alu instid0(SALU_CYCLE_1)
	s_ashr_i32 s19, s17, 4
	s_cmp_lt_i32 s17, s28
	s_mul_hi_i32 s17, s16, s5
	s_cselect_b32 s40, s19, s4
	s_mul_i32 s16, s16, s5
	s_ashr_i32 s41, s40, 31
	s_mul_hi_i32 s19, s18, s5
	s_lshl_b64 s[40:41], s[40:41], 2
	s_mul_i32 s18, s18, s5
	s_add_u32 s22, s35, s40
	s_addc_u32 s23, s36, s41
	s_or_b32 s20, s29, 0xd0
	s_clause 0x1
	s_load_b32 s41, s[24:25], 0x0
	s_load_b32 s40, s[26:27], 0x0
	s_ashr_i32 s21, s20, 4
	s_cmp_lt_i32 s20, s28
	s_mul_i32 s20, s15, s5
	s_cselect_b32 s24, s21, s4
	s_mul_hi_i32 s21, s15, s5
	s_ashr_i32 s25, s24, 31
	s_delay_alu instid0(SALU_CYCLE_1) | instskip(NEXT) | instid1(SALU_CYCLE_1)
	s_lshl_b64 s[24:25], s[24:25], 2
	s_add_u32 s24, s35, s24
	s_addc_u32 s25, s36, s25
	s_or_b32 s46, s29, 0xe0
	s_clause 0x2
	s_load_b32 s38, s[42:43], 0x0
	s_load_b32 s37, s[22:23], 0x0
	;; [unrolled: 1-line block ×3, first 2 shown]
	s_ashr_i32 s47, s46, 4
	s_cmp_lt_i32 s46, s28
	s_mul_hi_i32 s23, s44, s5
	s_cselect_b32 s42, s47, s4
	s_mul_i32 s22, s44, s5
	s_ashr_i32 s43, s42, 31
	s_mul_hi_i32 s25, s45, s5
	s_lshl_b64 s[42:43], s[42:43], 2
	s_mul_i32 s24, s45, s5
	s_add_u32 s42, s35, s42
	s_addc_u32 s43, s36, s43
	s_or_b32 s46, s29, 0xf0
	s_waitcnt lgkmcnt(0)
	s_mul_hi_i32 s27, s41, s5
	s_ashr_i32 s47, s46, 4
	s_cmp_lt_i32 s46, s28
	s_mul_i32 s26, s41, s5
	s_cselect_b32 s46, s47, s4
	s_mul_hi_i32 s41, s40, s5
	s_ashr_i32 s47, s46, 31
	s_mul_hi_i32 s51, s15, s5
	s_lshl_b64 s[46:47], s[46:47], 2
	s_mul_i32 s50, s15, s5
	s_add_u32 s46, s35, s46
	s_addc_u32 s47, s36, s47
	s_add_u32 s4, s10, s2
	s_addc_u32 s15, s11, s3
	v_add_co_u32 v216, s4, s4, v125
	s_delay_alu instid0(VALU_DEP_1) | instskip(SKIP_2) | instid1(VALU_DEP_2)
	v_add_co_ci_u32_e64 v217, null, s15, 0, s4
	s_lshl_b64 s[2:3], s[6:7], 1
	s_lshl_b64 s[6:7], s[8:9], 1
	v_add_co_u32 v125, vcc_lo, v216, s2
	s_delay_alu instid0(VALU_DEP_2)
	v_add_co_ci_u32_e32 v126, vcc_lo, s3, v217, vcc_lo
	v_add_co_u32 v200, vcc_lo, v216, s6
	s_lshl_b64 s[8:9], s[12:13], 1
	v_add_co_ci_u32_e32 v201, vcc_lo, s7, v217, vcc_lo
	s_lshl_b64 s[10:11], s[16:17], 1
	s_lshl_b64 s[12:13], s[18:19], 1
	;; [unrolled: 1-line block ×6, first 2 shown]
	s_mul_i32 s40, s40, s5
	s_mul_hi_i32 s45, s39, s5
	s_lshl_b64 s[24:25], s[40:41], 1
	s_mul_i32 s44, s39, s5
	s_mul_hi_i32 s39, s38, s5
	s_lshl_b64 s[26:27], s[44:45], 1
	s_mul_i32 s38, s38, s5
	s_mul_hi_i32 s49, s37, s5
	s_mul_i32 s48, s37, s5
	s_lshl_b64 s[36:37], s[38:39], 1
	s_lshl_b64 s[38:39], s[48:49], 1
	s_clause 0x1
	s_load_b32 s4, s[42:43], 0x0
	s_load_b32 s15, s[46:47], 0x0
	s_lshl_b64 s[40:41], s[50:51], 1
	s_waitcnt lgkmcnt(0)
	s_mul_hi_i32 s3, s4, s5
	s_mul_i32 s2, s4, s5
	s_mul_hi_i32 s7, s15, s5
	s_lshl_b64 s[2:3], s[2:3], 1
	s_mul_i32 s6, s15, s5
	s_waitcnt vmcnt(30)
	v_wmma_f32_16x16x16_f16 v[192:199], v[89:96], v[105:112], v[129:136]
	v_add_co_u32 v89, vcc_lo, v216, s8
	v_add_co_ci_u32_e32 v90, vcc_lo, s9, v217, vcc_lo
	v_add_co_u32 v91, vcc_lo, v216, s10
	v_add_co_ci_u32_e32 v92, vcc_lo, s11, v217, vcc_lo
	;; [unrolled: 2-line block ×5, first 2 shown]
	v_add_co_u32 v206, vcc_lo, v216, s20
	s_waitcnt vmcnt(28)
	v_wmma_f32_16x16x16_f16 v[129:136], v[97:104], v[105:112], v[129:136]
	v_add_co_ci_u32_e32 v207, vcc_lo, s21, v217, vcc_lo
	v_add_co_u32 v208, vcc_lo, v216, s22
	v_add_co_ci_u32_e32 v209, vcc_lo, s23, v217, vcc_lo
	v_add_co_u32 v210, vcc_lo, v216, s24
	s_waitcnt vmcnt(26)
	v_wmma_f32_16x16x16_f16 v[192:199], v[81:88], v[113:120], v[192:199]
	s_waitcnt vmcnt(24)
	v_wmma_f32_16x16x16_f16 v[129:136], v[73:80], v[113:120], v[129:136]
	v_add_co_ci_u32_e32 v211, vcc_lo, s25, v217, vcc_lo
	v_add_co_u32 v212, vcc_lo, v216, s26
	v_add_co_ci_u32_e32 v213, vcc_lo, s27, v217, vcc_lo
	v_add_co_u32 v214, vcc_lo, v216, s36
	s_waitcnt vmcnt(22)
	v_wmma_f32_16x16x16_f16 v[192:199], v[65:72], v[144:151], v[192:199]
	s_waitcnt vmcnt(20)
	v_wmma_f32_16x16x16_f16 v[129:136], v[57:64], v[144:151], v[129:136]
	v_add_co_ci_u32_e32 v215, vcc_lo, s37, v217, vcc_lo
	v_add_co_u32 v144, vcc_lo, v216, s38
	s_waitcnt vmcnt(18)
	v_wmma_f32_16x16x16_f16 v[192:199], v[49:56], v[152:159], v[192:199]
	s_waitcnt vmcnt(16)
	v_wmma_f32_16x16x16_f16 v[129:136], v[25:32], v[152:159], v[129:136]
	v_add_co_ci_u32_e32 v145, vcc_lo, s39, v217, vcc_lo
	s_clause 0x15
	global_load_b128 v[121:124], v[125:126], off
	global_load_b128 v[125:128], v[125:126], off offset:16
	global_load_b128 v[113:116], v[200:201], off
	global_load_b128 v[117:120], v[200:201], off offset:16
	;; [unrolled: 2-line block ×11, first 2 shown]
	s_waitcnt vmcnt(36)
	v_wmma_f32_16x16x16_f16 v[192:199], v[1:8], v[160:167], v[192:199]
	s_clause 0x1
	global_load_b128 v[1:4], v[214:215], off
	global_load_b128 v[5:8], v[214:215], off offset:16
	s_waitcnt vmcnt(36)
	v_wmma_f32_16x16x16_f16 v[129:136], v[9:16], v[160:167], v[129:136]
	s_clause 0x1
	global_load_b128 v[9:12], v[144:145], off
	global_load_b128 v[13:16], v[144:145], off offset:16
	ds_load_b128 v[144:147], v142 offset:10240
	ds_load_b128 v[148:151], v142 offset:11264
	;; [unrolled: 1-line block ×4, first 2 shown]
	v_add_co_u32 v200, vcc_lo, v216, s40
	v_add_co_ci_u32_e32 v201, vcc_lo, s41, v217, vcc_lo
	v_add_co_u32 v160, vcc_lo, v216, s2
	v_add_co_ci_u32_e32 v161, vcc_lo, s3, v217, vcc_lo
	s_lshl_b64 s[2:3], s[6:7], 1
	s_delay_alu instid0(SALU_CYCLE_1)
	v_add_co_u32 v162, vcc_lo, v216, s2
	v_add_co_ci_u32_e32 v163, vcc_lo, s3, v217, vcc_lo
	s_waitcnt vmcnt(36) lgkmcnt(2)
	v_wmma_f32_16x16x16_f16 v[192:199], v[41:48], v[144:151], v[192:199]
	s_waitcnt vmcnt(34)
	v_wmma_f32_16x16x16_f16 v[129:136], v[33:40], v[144:151], v[129:136]
	s_clause 0x3
	global_load_b128 v[33:36], v[200:201], off
	global_load_b128 v[37:40], v[200:201], off offset:16
	global_load_b128 v[41:44], v[160:161], off
	global_load_b128 v[45:48], v[160:161], off offset:16
	v_and_b32_e32 v144, 0xe0, v0
	v_mbcnt_lo_u32_b32 v160, -1, 0
	s_waitcnt vmcnt(36) lgkmcnt(0)
	v_wmma_f32_16x16x16_f16 v[192:199], v[17:24], v[152:159], v[192:199]
	s_clause 0x1
	global_load_b128 v[17:20], v[162:163], off
	global_load_b128 v[21:24], v[162:163], off offset:16
	s_waitcnt vmcnt(36)
	v_wmma_f32_16x16x16_f16 v[129:136], v[168:175], v[152:159], v[129:136]
	v_add_nc_u32_e32 v161, s29, v144
	ds_load_b128 v[144:147], v142 offset:14336
	ds_load_b128 v[148:151], v142 offset:15360
	v_xor_b32_e32 v152, 16, v160
	s_waitcnt vmcnt(0) lgkmcnt(0)
	s_barrier
	buffer_gl0_inv
	v_cmp_gt_i32_e32 vcc_lo, 32, v152
	v_cndmask_b32_e32 v152, v160, v152, vcc_lo
	v_wmma_f32_16x16x16_f16 v[192:199], v[176:183], v[144:151], v[192:199]
	v_wmma_f32_16x16x16_f16 v[129:136], v[184:191], v[144:151], v[129:136]
	s_delay_alu instid0(VALU_DEP_2) | instskip(SKIP_1) | instid1(VALU_DEP_3)
	v_mul_f32_e32 v150, s34, v193
	v_or_b32_e32 v153, v161, v138
	v_dual_mul_f32 v151, s34, v192 :: v_dual_mul_f32 v176, s34, v129
	v_dual_mul_f32 v148, s34, v195 :: v_dual_mul_f32 v149, s34, v194
	v_mul_f32_e32 v174, s34, v131
	s_delay_alu instid0(VALU_DEP_4)
	v_or_b32_e32 v154, 2, v153
	v_or_b32_e32 v155, 4, v153
	;; [unrolled: 1-line block ×3, first 2 shown]
	v_cmp_gt_i32_e32 vcc_lo, s28, v153
	v_or_b32_e32 v157, 8, v153
	v_cmp_gt_i32_e64 s2, s28, v154
	v_or_b32_e32 v158, 10, v153
	v_cmp_gt_i32_e64 s3, s28, v155
	v_cndmask_b32_e32 v151, 0xff7fffff, v151, vcc_lo
	v_cmp_gt_i32_e64 s4, s28, v156
	v_cndmask_b32_e64 v150, 0xff7fffff, v150, s2
	v_or_b32_e32 v159, 12, v153
	v_or_b32_e32 v160, 14, v153
	v_dual_mul_f32 v146, s34, v197 :: v_dual_mul_f32 v147, s34, v196
	v_mul_f32_e32 v172, s34, v133
	v_cndmask_b32_e64 v149, 0xff7fffff, v149, s3
	v_cndmask_b32_e64 v148, 0xff7fffff, v148, s4
	v_max3_f32 v150, v151, 0xff7fffff, v150
	v_cmp_gt_i32_e64 s5, s28, v157
	v_cmp_gt_i32_e64 s6, s28, v158
	v_or_b32_e32 v161, 16, v153
	v_or_b32_e32 v162, 18, v153
	v_dual_mul_f32 v144, s34, v199 :: v_dual_mul_f32 v145, s34, v198
	v_mul_f32_e32 v170, s34, v135
	v_cndmask_b32_e64 v147, 0xff7fffff, v147, s5
	v_cndmask_b32_e64 v146, 0xff7fffff, v146, s6
	v_max3_f32 v148, v150, v149, v148
	v_cmp_gt_i32_e64 s7, s28, v159
	v_cmp_gt_i32_e64 s8, s28, v160
	v_or_b32_e32 v163, 20, v153
	v_or_b32_e32 v164, 22, v153
	v_mul_f32_e32 v175, s34, v130
	v_cndmask_b32_e64 v145, 0xff7fffff, v145, s7
	v_cndmask_b32_e64 v144, 0xff7fffff, v144, s8
	v_max3_f32 v146, v148, v147, v146
	v_cmp_gt_i32_e64 s9, s28, v161
	v_cmp_gt_i32_e64 s10, s28, v162
	v_or_b32_e32 v165, 24, v153
	v_or_b32_e32 v166, 26, v153
	;; [unrolled: 8-line block ×3, first 2 shown]
	v_mul_f32_e32 v171, s34, v134
	v_cndmask_b32_e64 v145, 0xff7fffff, v174, s11
	v_cndmask_b32_e64 v146, 0xff7fffff, v173, s12
	v_max3_f32 v144, v144, v147, v148
	v_cmp_gt_i32_e64 s13, s28, v165
	v_cmp_gt_i32_e64 s15, s28, v166
	v_mul_f32_e32 v169, s34, v136
	v_cmp_gt_i32_e64 s16, s28, v167
	v_max3_f32 v144, v144, v145, v146
	v_cndmask_b32_e64 v147, 0xff7fffff, v172, s13
	v_cndmask_b32_e64 v148, 0xff7fffff, v171, s15
	v_cmp_gt_i32_e64 s17, s28, v168
	v_cndmask_b32_e64 v145, 0xff7fffff, v170, s16
	v_lshlrev_b32_e32 v161, 2, v152
	s_delay_alu instid0(VALU_DEP_4) | instskip(NEXT) | instid1(VALU_DEP_4)
	v_max3_f32 v144, v144, v147, v148
	v_cndmask_b32_e64 v146, 0xff7fffff, v169, s17
	s_delay_alu instid0(VALU_DEP_1) | instskip(SKIP_3) | instid1(VALU_DEP_1)
	v_max3_f32 v144, v144, v145, v146
	ds_bpermute_b32 v145, v161, v144
	s_waitcnt lgkmcnt(0)
	v_max_f32_e32 v145, v145, v145
	v_max_f32_e32 v160, v144, v145
	s_delay_alu instid0(VALU_DEP_1) | instskip(SKIP_4) | instid1(VALU_DEP_4)
	v_fma_f32 v146, s34, v194, -v160
	v_fma_f32 v147, s34, v195, -v160
	;; [unrolled: 1-line block ×5, first 2 shown]
	v_dual_mul_f32 v146, 0x3fb8aa3b, v146 :: v_dual_mul_f32 v147, 0x3fb8aa3b, v147
	v_fma_f32 v145, s34, v193, -v160
	v_mul_f32_e32 v144, 0x3fb8aa3b, v144
	s_delay_alu instid0(VALU_DEP_4) | instskip(NEXT) | instid1(VALU_DEP_4)
	v_mul_f32_e32 v130, 0x3fb8aa3b, v130
	v_exp_f32_e32 v146, v146
	v_exp_f32_e32 v151, v147
	v_mul_f32_e32 v152, 0x3fb8aa3b, v152
	v_exp_f32_e32 v144, v144
	v_fma_f32 v153, s34, v199, -v160
	v_fma_f32 v132, s34, v132, -v160
	;; [unrolled: 1-line block ×3, first 2 shown]
	v_exp_f32_e32 v152, v152
	v_fma_f32 v149, s34, v196, -v160
	v_fma_f32 v129, s34, v129, -v160
	v_cndmask_b32_e64 v147, 0, v146, s3
	v_mul_f32_e32 v145, 0x3fb8aa3b, v145
	v_cndmask_b32_e64 v146, 0, v151, s4
	v_dual_mul_f32 v151, 0x3fb8aa3b, v153 :: v_dual_mul_f32 v132, 0x3fb8aa3b, v132
	v_mul_f32_e32 v150, 0x3fb8aa3b, v150
	s_delay_alu instid0(VALU_DEP_4) | instskip(SKIP_1) | instid1(VALU_DEP_3)
	v_exp_f32_e32 v148, v145
	v_fma_f32 v134, s34, v134, -v160
	v_exp_f32_e32 v154, v151
	v_cndmask_b32_e64 v151, 0, v152, s7
	v_cndmask_b32_e32 v145, 0, v144, vcc_lo
	v_exp_f32_e32 v150, v150
	v_dual_mul_f32 v129, 0x3fb8aa3b, v129 :: v_dual_mul_f32 v134, 0x3fb8aa3b, v134
	v_exp_f32_e32 v130, v130
	v_fma_f32 v131, s34, v131, -v160
	v_cndmask_b32_e64 v144, 0, v148, s2
	v_add_f32_e32 v148, 0, v145
	v_exp_f32_e32 v129, v129
	v_fma_f32 v133, s34, v133, -v160
	v_exp_f32_e32 v132, v132
	s_mov_b32 s2, exec_lo
	s_delay_alu instid0(VALU_DEP_1) | instskip(NEXT) | instid1(VALU_DEP_1)
	v_dual_add_f32 v148, v148, v144 :: v_dual_mul_f32 v133, 0x3fb8aa3b, v133
	v_add_f32_e32 v148, v148, v147
	s_delay_alu instid0(VALU_DEP_2) | instskip(NEXT) | instid1(VALU_DEP_1)
	v_exp_f32_e32 v133, v133
	v_add_f32_e32 v153, v148, v146
	v_cndmask_b32_e64 v148, 0, v150, s6
	v_mul_f32_e32 v149, 0x3fb8aa3b, v149
	s_delay_alu instid0(VALU_DEP_1) | instskip(SKIP_3) | instid1(VALU_DEP_1)
	v_exp_f32_e32 v149, v149
	s_waitcnt_depctr 0xfff
	v_cndmask_b32_e64 v157, 0, v133, s13
	v_cndmask_b32_e64 v149, 0, v149, s5
	v_add_f32_e32 v150, v153, v149
	v_cndmask_b32_e64 v153, 0, v129, s9
	s_delay_alu instid0(VALU_DEP_2) | instskip(SKIP_3) | instid1(VALU_DEP_4)
	v_add_f32_e32 v152, v150, v148
	v_cndmask_b32_e64 v150, 0, v154, s8
	v_cndmask_b32_e64 v154, 0, v132, s12
	v_fma_f32 v132, s34, v136, -v160
	v_add_f32_e32 v152, v152, v151
	s_delay_alu instid0(VALU_DEP_1) | instskip(SKIP_3) | instid1(VALU_DEP_2)
	v_dual_mul_f32 v132, 0x3fb8aa3b, v132 :: v_dual_add_f32 v129, v152, v150
	v_cndmask_b32_e64 v152, 0, v130, s10
	v_fma_f32 v130, s34, v135, -v160
	v_mul_f32_e32 v131, 0x3fb8aa3b, v131
	v_dual_add_f32 v129, v129, v153 :: v_dual_mul_f32 v130, 0x3fb8aa3b, v130
	s_delay_alu instid0(VALU_DEP_2) | instskip(NEXT) | instid1(VALU_DEP_1)
	v_exp_f32_e32 v131, v131
	v_add_f32_e32 v129, v129, v152
	s_delay_alu instid0(VALU_DEP_2) | instskip(SKIP_4) | instid1(VALU_DEP_2)
	v_exp_f32_e32 v130, v130
	s_waitcnt_depctr 0xfff
	v_cndmask_b32_e64 v155, 0, v131, s11
	v_exp_f32_e32 v131, v134
	v_cndmask_b32_e64 v159, 0, v130, s16
	v_add_f32_e32 v129, v129, v155
	s_delay_alu instid0(VALU_DEP_1) | instskip(SKIP_4) | instid1(VALU_DEP_1)
	v_add_f32_e32 v129, v129, v154
	s_waitcnt_depctr 0xfff
	v_cndmask_b32_e64 v156, 0, v131, s15
	v_exp_f32_e32 v131, v132
	v_add_f32_e32 v129, v129, v157
	v_add_f32_e32 v129, v129, v156
	s_waitcnt_depctr 0xfff
	v_cndmask_b32_e64 v158, 0, v131, s17
	v_add_f32_e32 v129, v129, v159
	s_delay_alu instid0(VALU_DEP_1)
	v_add_f32_e32 v129, v129, v158
	ds_bpermute_b32 v130, v161, v129
	v_cmpx_gt_u32_e32 16, v143
	s_cbranch_execz .LBB209_12
; %bb.11:
	v_mul_u32_u24_e32 v131, 0x44, v140
	s_delay_alu instid0(VALU_DEP_1) | instskip(SKIP_1) | instid1(VALU_DEP_1)
	v_lshl_add_u32 v131, v141, 2, v131
	s_waitcnt lgkmcnt(0)
	v_dual_add_f32 v129, v129, v130 :: v_dual_add_nc_u32 v130, 0x4000, v131
	ds_store_2addr_b32 v130, v160, v129 offset1:136
.LBB209_12:
	s_or_b32 exec_lo, exec_lo, s2
	v_lshlrev_b32_e32 v129, 2, v141
	s_load_b32 s34, s[0:1], 0x94
	s_waitcnt lgkmcnt(0)
	s_barrier
	buffer_gl0_inv
	v_add_nc_u32_e32 v141, 0x4000, v129
	v_cmp_eq_u32_e32 vcc_lo, 1, v140
	v_cmp_eq_u32_e64 s2, 2, v140
	v_cmp_eq_u32_e64 s3, 3, v140
	;; [unrolled: 1-line block ×3, first 2 shown]
	ds_load_2addr_b32 v[129:130], v141 offset1:17
	ds_load_2addr_b32 v[131:132], v141 offset0:34 offset1:51
	ds_load_2addr_b32 v[133:134], v141 offset0:68 offset1:85
	;; [unrolled: 1-line block ×3, first 2 shown]
	v_cmp_eq_u32_e64 s5, 7, v140
	s_waitcnt lgkmcnt(3)
	v_max3_f32 v135, v129, 0xff7fffff, v130
	s_waitcnt lgkmcnt(2)
	s_delay_alu instid0(VALU_DEP_1) | instskip(SKIP_1) | instid1(VALU_DEP_1)
	v_max3_f32 v135, v135, v131, v132
	s_waitcnt lgkmcnt(1)
	v_max3_f32 v135, v135, v133, v134
	s_waitcnt lgkmcnt(0)
	s_delay_alu instid0(VALU_DEP_1) | instskip(NEXT) | instid1(VALU_DEP_1)
	v_max3_f32 v135, v135, v160, v161
	v_sub_f32_e32 v164, v132, v135
	ds_load_2addr_b32 v[162:163], v141 offset0:136 offset1:153
	v_sub_f32_e32 v136, v130, v135
	v_dual_sub_f32 v129, v129, v135 :: v_dual_mul_f32 v164, 0x3fb8aa3b, v164
	s_delay_alu instid0(VALU_DEP_1)
	v_dual_mul_f32 v136, 0x3fb8aa3b, v136 :: v_dual_mul_f32 v143, 0x3fb8aa3b, v129
	ds_load_2addr_b32 v[129:130], v141 offset0:170 offset1:187
	v_exp_f32_e32 v164, v164
	v_exp_f32_e32 v166, v136
	;; [unrolled: 1-line block ×3, first 2 shown]
	s_waitcnt lgkmcnt(1)
	s_waitcnt_depctr 0xfff
	v_fma_f32 v136, v143, v162, 0
	v_sub_f32_e32 v162, v134, v135
	v_sub_f32_e32 v131, v131, v135
	s_delay_alu instid0(VALU_DEP_1) | instskip(SKIP_3) | instid1(VALU_DEP_1)
	v_mul_f32_e32 v165, 0x3fb8aa3b, v131
	ds_load_2addr_b32 v[131:132], v141 offset0:204 offset1:221
	v_sub_f32_e32 v133, v133, v135
	v_exp_f32_e32 v165, v165
	v_mul_f32_e32 v167, 0x3fb8aa3b, v133
	ds_load_2addr_b32 v[133:134], v141 offset0:238 offset1:255
	v_sub_f32_e32 v141, v160, v135
	v_fmac_f32_e32 v136, v166, v163
	v_mul_f32_e32 v160, 0x3fb8aa3b, v162
	v_exp_f32_e32 v162, v167
	s_waitcnt lgkmcnt(0)
	v_mul_f32_e32 v141, 0x3fb8aa3b, v141
	v_fmac_f32_e32 v136, v165, v129
	v_sub_f32_e32 v129, v161, v135
	v_exp_f32_e32 v160, v160
	s_barrier
	v_exp_f32_e32 v141, v141
	v_fmac_f32_e32 v136, v164, v130
	v_dual_cndmask_b32 v130, v143, v166 :: v_dual_mul_f32 v129, 0x3fb8aa3b, v129
	buffer_gl0_inv
	v_fmac_f32_e32 v136, v162, v131
	v_lshl_or_b32 v131, v140, 11, v142
	v_exp_f32_e32 v161, v129
	s_delay_alu instid0(VALU_DEP_2) | instskip(NEXT) | instid1(VALU_DEP_1)
	v_fmac_f32_e32 v136, v160, v132
	v_fmac_f32_e32 v136, v141, v133
	s_waitcnt_depctr 0xfff
	v_fmac_f32_e32 v136, v161, v134
	s_delay_alu instid0(VALU_DEP_1) | instskip(NEXT) | instid1(VALU_DEP_1)
	v_add_f32_e32 v163, 0x358637bd, v136
	v_div_scale_f32 v167, null, v163, v163, 1.0
	s_delay_alu instid0(VALU_DEP_1) | instskip(SKIP_2) | instid1(VALU_DEP_1)
	v_rcp_f32_e32 v168, v167
	s_waitcnt_depctr 0xfff
	v_fma_f32 v129, -v167, v168, 1.0
	v_fmac_f32_e32 v168, v129, v168
	v_cndmask_b32_e64 v129, v130, v165, s2
	v_lshlrev_b32_e32 v130, 2, v138
	v_div_scale_f32 v143, vcc_lo, 1.0, v163, 1.0
	v_cmp_eq_u32_e64 s2, 4, v140
	s_delay_alu instid0(VALU_DEP_4) | instskip(SKIP_1) | instid1(VALU_DEP_4)
	v_cndmask_b32_e64 v129, v129, v164, s3
	v_cmp_eq_u32_e64 s3, 6, v140
	v_mul_f32_e32 v165, v143, v168
	v_or_b32_e32 v134, 2, v130
	v_cmp_eq_u32_e64 s6, 6, v130
	v_cndmask_b32_e64 v133, v129, v162, s2
	v_lshl_or_b32 v129, v138, 4, v131
	v_fma_f32 v132, -v167, v165, v143
	v_cmp_eq_u32_e64 s2, 1, v130
	v_cmp_eq_u32_e64 s9, 1, v134
	v_cndmask_b32_e64 v140, v133, v160, s4
	v_or_b32_e32 v133, 3, v130
	v_fmac_f32_e32 v165, v132, v168
	v_or_b32_e32 v132, 1, v130
	v_cmp_eq_u32_e64 s13, 2, v134
	v_cndmask_b32_e64 v140, v140, v141, s3
	v_cmp_eq_u32_e64 s10, 1, v133
	v_fma_f32 v143, -v167, v165, v143
	v_cmp_eq_u32_e64 s8, 1, v132
	v_cmp_eq_u32_e64 s11, 2, v132
	v_cndmask_b32_e64 v140, v140, v161, s5
	v_cmp_eq_u32_e64 s15, 2, v133
	v_div_fmas_f32 v141, v143, v168, v165
	v_cmp_eq_u32_e32 vcc_lo, 2, v130
	v_cmp_eq_u32_e64 s3, 3, v130
	v_cmp_eq_u32_e64 s12, 3, v132
	;; [unrolled: 1-line block ×3, first 2 shown]
	v_div_fixup_f32 v141, v141, v163, 1.0
	v_cmp_eq_u32_e64 s17, 3, v133
	v_cmp_eq_u32_e64 s21, 4, v133
	;; [unrolled: 1-line block ×4, first 2 shown]
	v_mul_f32_e32 v140, v140, v141
	v_cmp_eq_u32_e64 s23, 5, v133
	v_cmp_eq_u32_e64 s5, 5, v130
	;; [unrolled: 1-line block ×4, first 2 shown]
	v_fma_mixlo_f16 v160, v140, v145, 0
	v_fma_mixlo_f16 v161, v140, v147, 0
	;; [unrolled: 1-line block ×8, first 2 shown]
	v_fma_mixhi_f16 v160, v140, v144, 0
	v_fma_mixhi_f16 v161, v140, v146, 0
	;; [unrolled: 1-line block ×8, first 2 shown]
	ds_store_b128 v129, v[160:163]
	ds_store_b128 v129, v[164:167] offset:1024
	s_waitcnt lgkmcnt(0)
	s_barrier
	buffer_gl0_inv
	ds_load_b128 v[143:146], v131
	ds_load_b128 v[147:150], v131 offset:16
	ds_load_b128 v[151:154], v131 offset:1024
	;; [unrolled: 1-line block ×3, first 2 shown]
	v_cmp_eq_u32_e64 s26, 6, v133
	v_cmp_eq_u32_e64 s22, 5, v134
	v_cmp_eq_u32_e64 s24, 6, v132
	v_cmp_eq_u32_e64 s28, 7, v133
	v_cmp_eq_u32_e64 s25, 6, v134
	v_cmp_eq_u32_e64 s29, 7, v132
	v_cmp_eq_u32_e64 s7, 7, v130
	v_cmp_eq_u32_e64 s27, 7, v134
	s_waitcnt lgkmcnt(3)
	v_lshrrev_b32_e32 v140, 16, v143
	s_waitcnt lgkmcnt(2)
	v_lshrrev_b32_e32 v161, 16, v147
	;; [unrolled: 2-line block ×4, first 2 shown]
	v_lshrrev_b32_e32 v141, 16, v144
	v_cndmask_b32_e64 v173, v143, v140, s2
	v_cndmask_b32_e64 v174, v147, v161, s2
	;; [unrolled: 1-line block ×7, first 2 shown]
	v_lshrrev_b32_e32 v162, 16, v148
	v_cndmask_b32_e64 v178, v147, v161, s9
	v_cndmask_b32_e64 v147, v151, v165, s2
	v_cndmask_b32_e64 v161, v155, v169, s2
	v_cndmask_b32_e64 v179, v151, v165, s8
	v_cndmask_b32_e64 v180, v155, v169, s8
	v_cndmask_b32_e64 v181, v151, v165, s9
	v_cndmask_b32_e64 v182, v155, v169, s9
	v_cndmask_b32_e64 v151, v151, v165, s10
	v_cndmask_b32_e64 v155, v155, v169, s10
	v_cndmask_b32_e32 v165, v173, v144, vcc_lo
	v_cndmask_b32_e32 v169, v174, v148, vcc_lo
	v_cndmask_b32_e64 v173, v175, v144, s11
	v_cndmask_b32_e64 v174, v176, v148, s11
	;; [unrolled: 1-line block ×5, first 2 shown]
	v_lshrrev_b32_e32 v166, 16, v152
	v_cndmask_b32_e64 v176, v178, v148, s13
	v_cndmask_b32_e32 v144, v147, v152, vcc_lo
	v_cndmask_b32_e32 v147, v161, v156, vcc_lo
	v_cndmask_b32_e64 v148, v179, v152, s11
	v_cndmask_b32_e64 v161, v181, v152, s13
	;; [unrolled: 1-line block ×11, first 2 shown]
	v_lshrrev_b32_e32 v159, 16, v145
	v_lshrrev_b32_e32 v163, 16, v149
	;; [unrolled: 1-line block ×3, first 2 shown]
	v_cndmask_b32_e64 v140, v140, v145, s21
	v_cndmask_b32_e64 v141, v141, v149, s21
	;; [unrolled: 1-line block ×12, first 2 shown]
	v_lshrrev_b32_e32 v160, 16, v146
	v_lshrrev_b32_e32 v164, 16, v150
	;; [unrolled: 1-line block ×4, first 2 shown]
	v_cndmask_b32_e64 v169, v174, v145, s20
	v_cndmask_b32_e64 v173, v175, v149, s20
	;; [unrolled: 1-line block ×20, first 2 shown]
	v_lshrrev_b32_e32 v168, 16, v154
	v_cndmask_b32_e64 v177, v182, v156, s13
	v_cndmask_b32_e64 v147, v147, v146, s6
	;; [unrolled: 1-line block ×10, first 2 shown]
	v_perm_b32 v146, v141, v140, 0x5040100
	v_cndmask_b32_e64 v140, v180, v156, s11
	v_cndmask_b32_e64 v147, v147, v160, s7
	v_cndmask_b32_e64 v145, v159, v160, s27
	v_cndmask_b32_e64 v159, v162, v164, s27
	v_cndmask_b32_e64 v160, v143, v168, s7
	v_cndmask_b32_e64 v162, v144, v168, s29
	v_perm_b32 v144, v155, v149, 0x5040100
	v_cndmask_b32_e64 v141, v161, v166, s16
	v_cndmask_b32_e64 v143, v151, v166, s17
	;; [unrolled: 1-line block ×15, first 2 shown]
	v_lshrrev_b32_e32 v172, 16, v158
	v_cndmask_b32_e64 v141, v141, v154, s25
	v_cndmask_b32_e64 v143, v143, v154, s26
	;; [unrolled: 1-line block ×12, first 2 shown]
	v_perm_b32 v145, v159, v145, 0x5040100
	v_perm_b32 v143, v148, v147, 0x5040100
	;; [unrolled: 1-line block ×6, first 2 shown]
	s_lshl_b32 s6, s33, 4
	s_mov_b32 s2, exec_lo
	ds_store_b128 v129, v[143:146]
	ds_store_b128 v129, v[147:150] offset:1024
	v_cmpx_gt_u32_e32 16, v0
	s_cbranch_execz .LBB209_14
; %bb.13:
	v_or_b32_e32 v140, s31, v0
	s_load_b128 s[8:11], s[0:1], 0x58
	s_delay_alu instid0(VALU_DEP_1) | instskip(NEXT) | instid1(VALU_DEP_1)
	v_mad_u64_u32 v[143:144], null, s6, s30, v[140:141]
	v_mad_u64_u32 v[140:141], null, v143, s34, s[14:15]
	s_delay_alu instid0(VALU_DEP_1) | instskip(NEXT) | instid1(VALU_DEP_1)
	v_ashrrev_i32_e32 v141, 31, v140
	v_lshlrev_b64 v[140:141], 2, v[140:141]
	s_waitcnt lgkmcnt(0)
	s_delay_alu instid0(VALU_DEP_1) | instskip(NEXT) | instid1(VALU_DEP_2)
	v_add_co_u32 v143, vcc_lo, s10, v140
	v_add_co_ci_u32_e32 v144, vcc_lo, s11, v141, vcc_lo
	v_add_co_u32 v140, vcc_lo, s8, v140
	v_add_co_ci_u32_e32 v141, vcc_lo, s9, v141, vcc_lo
	global_store_b32 v[143:144], v135, off
	global_store_b32 v[140:141], v136, off
.LBB209_14:
	s_or_b32 exec_lo, exec_lo, s2
	s_waitcnt lgkmcnt(0)
	s_waitcnt_vscnt null, 0x0
	s_barrier
	buffer_gl0_inv
	ds_load_b128 v[151:154], v142
	ds_load_b128 v[155:158], v142 offset:16
	ds_load_b128 v[163:166], v142 offset:1040
	;; [unrolled: 1-line block ×5, first 2 shown]
	v_cmp_eq_u32_e32 vcc_lo, 1, v134
	v_mov_b32_e32 v143, 0
	ds_load_b128 v[179:182], v142 offset:3088
	ds_load_b128 v[175:178], v142 offset:3072
	;; [unrolled: 1-line block ×4, first 2 shown]
	v_cmp_eq_u32_e64 s2, 1, v130
	v_cmp_eq_u32_e64 s3, 1, v133
	;; [unrolled: 1-line block ×3, first 2 shown]
	v_mov_b32_e32 v144, v143
	v_mov_b32_e32 v145, v143
	;; [unrolled: 1-line block ×7, first 2 shown]
	v_cmp_eq_u32_e64 s5, 2, v130
	s_waitcnt lgkmcnt(8)
	s_delay_alu instid0(VALU_DEP_2)
	v_wmma_f32_16x16x16_f16 v[143:150], v[121:128], v[151:158], v[143:150]
	ds_load_b128 v[125:128], v142 offset:5136
	ds_load_b128 v[121:124], v142 offset:5120
	s_waitcnt lgkmcnt(8)
	v_wmma_f32_16x16x16_f16 v[143:150], v[113:120], v[159:166], v[143:150]
	ds_load_b128 v[117:120], v142 offset:6160
	ds_load_b128 v[113:116], v142 offset:6144
	s_waitcnt lgkmcnt(8)
	;; [unrolled: 4-line block ×11, first 2 shown]
	s_barrier
	buffer_gl0_inv
	v_wmma_f32_16x16x16_f16 v[143:150], v[1:8], v[73:80], v[143:150]
	s_delay_alu instid0(VALU_DEP_1) | instskip(NEXT) | instid1(VALU_DEP_1)
	v_wmma_f32_16x16x16_f16 v[143:150], v[9:16], v[65:72], v[143:150]
	v_wmma_f32_16x16x16_f16 v[143:150], v[33:40], v[57:64], v[143:150]
	s_delay_alu instid0(VALU_DEP_1) | instskip(NEXT) | instid1(VALU_DEP_1)
	v_wmma_f32_16x16x16_f16 v[143:150], v[41:48], v[49:56], v[143:150]
	v_wmma_f32_16x16x16_f16 v[143:150], v[17:24], v[25:32], v[143:150]
	s_delay_alu instid0(VALU_DEP_1) | instskip(NEXT) | instid1(VALU_DEP_2)
	v_cvt_f16_f32_e64 v1, v143
	v_cvt_f16_f32_e64 v2, v144
	s_delay_alu instid0(VALU_DEP_3) | instskip(NEXT) | instid1(VALU_DEP_4)
	v_cvt_f16_f32_e64 v3, v145
	v_cvt_f16_f32_e64 v4, v146
	;; [unrolled: 1-line block ×6, first 2 shown]
	v_pack_b32_f16 v1, v1, v2
	v_pack_b32_f16 v2, v3, v4
	v_pack_b32_f16 v3, v5, v6
	s_delay_alu instid0(VALU_DEP_4)
	v_pack_b32_f16 v4, v7, v8
	ds_store_b128 v129, v[1:4]
	s_waitcnt lgkmcnt(0)
	s_barrier
	buffer_gl0_inv
	ds_load_b128 v[1:4], v131
	ds_load_b128 v[5:8], v131 offset:16
	s_waitcnt lgkmcnt(1)
	v_lshrrev_b32_e32 v9, 16, v1
	s_waitcnt lgkmcnt(0)
	v_lshrrev_b32_e32 v13, 16, v5
	v_lshrrev_b32_e32 v10, 16, v2
	v_lshrrev_b32_e32 v14, 16, v6
	v_lshrrev_b32_e32 v11, 16, v3
	v_cndmask_b32_e64 v17, v1, v9, s2
	v_cndmask_b32_e64 v18, v5, v13, s2
	;; [unrolled: 1-line block ×3, first 2 shown]
	v_cmp_eq_u32_e64 s2, 2, v132
	v_cndmask_b32_e64 v20, v5, v13, s4
	v_cndmask_b32_e32 v21, v1, v9, vcc_lo
	v_cndmask_b32_e32 v22, v5, v13, vcc_lo
	v_cndmask_b32_e64 v1, v1, v9, s3
	v_cndmask_b32_e64 v5, v5, v13, s3
	v_cmp_eq_u32_e32 vcc_lo, 2, v134
	v_cmp_eq_u32_e64 s3, 2, v133
	v_cndmask_b32_e64 v9, v17, v2, s5
	v_cndmask_b32_e64 v13, v18, v6, s5
	v_cndmask_b32_e64 v17, v19, v2, s2
	v_cndmask_b32_e64 v18, v20, v6, s2
	v_cndmask_b32_e32 v19, v21, v2, vcc_lo
	v_cmp_eq_u32_e64 s2, 3, v134
	v_cndmask_b32_e32 v20, v22, v6, vcc_lo
	v_cndmask_b32_e64 v1, v1, v2, s3
	v_cmp_eq_u32_e32 vcc_lo, 3, v133
	v_cmp_eq_u32_e64 s4, 3, v130
	v_cndmask_b32_e64 v2, v5, v6, s3
	v_cmp_eq_u32_e64 s3, 3, v132
	v_cmp_eq_u32_e64 s5, 4, v130
	v_cndmask_b32_e32 v1, v1, v10, vcc_lo
	v_cndmask_b32_e64 v5, v9, v10, s4
	v_cndmask_b32_e64 v6, v13, v14, s4
	;; [unrolled: 1-line block ×3, first 2 shown]
	v_cmp_eq_u32_e64 s4, 4, v132
	v_cndmask_b32_e64 v13, v18, v14, s3
	v_cndmask_b32_e64 v17, v19, v10, s2
	;; [unrolled: 1-line block ×3, first 2 shown]
	v_cndmask_b32_e32 v2, v2, v14, vcc_lo
	v_cmp_eq_u32_e32 vcc_lo, 4, v134
	v_cmp_eq_u32_e64 s3, 4, v133
	v_lshrrev_b32_e32 v15, 16, v7
	v_cndmask_b32_e64 v5, v5, v3, s5
	v_cndmask_b32_e64 v6, v6, v7, s5
	;; [unrolled: 1-line block ×4, first 2 shown]
	v_cndmask_b32_e32 v13, v17, v3, vcc_lo
	v_cmp_eq_u32_e64 s2, 5, v134
	v_cndmask_b32_e32 v14, v18, v7, vcc_lo
	v_cndmask_b32_e64 v1, v1, v3, s3
	v_cmp_eq_u32_e32 vcc_lo, 5, v133
	v_cmp_eq_u32_e64 s4, 5, v130
	v_cndmask_b32_e64 v2, v2, v7, s3
	v_cmp_eq_u32_e64 s3, 5, v132
	v_cmp_eq_u32_e64 s5, 6, v130
	v_lshrrev_b32_e32 v12, 16, v4
	v_cndmask_b32_e64 v3, v5, v11, s4
	v_cndmask_b32_e64 v5, v6, v15, s4
	;; [unrolled: 1-line block ×3, first 2 shown]
	v_cmp_eq_u32_e64 s4, 6, v132
	v_cndmask_b32_e64 v7, v10, v15, s3
	v_cndmask_b32_e64 v9, v13, v11, s2
	;; [unrolled: 1-line block ×3, first 2 shown]
	v_cndmask_b32_e32 v1, v1, v11, vcc_lo
	v_cndmask_b32_e32 v2, v2, v15, vcc_lo
	v_cmp_eq_u32_e32 vcc_lo, 6, v134
	v_cmp_eq_u32_e64 s2, 6, v133
	v_lshrrev_b32_e32 v16, 16, v8
	v_cndmask_b32_e64 v3, v3, v4, s5
	v_cndmask_b32_e64 v5, v5, v8, s5
	v_cndmask_b32_e32 v9, v9, v4, vcc_lo
	v_cndmask_b32_e64 v6, v6, v4, s4
	v_cndmask_b32_e64 v7, v7, v8, s4
	v_cmp_eq_u32_e64 s3, 7, v134
	v_cndmask_b32_e32 v10, v10, v8, vcc_lo
	v_cndmask_b32_e64 v1, v1, v4, s2
	v_cmp_eq_u32_e32 vcc_lo, 7, v133
	v_cndmask_b32_e64 v2, v2, v8, s2
	v_cmp_eq_u32_e64 s2, 7, v130
	v_cmp_eq_u32_e64 s4, 7, v132
	v_cndmask_b32_e32 v1, v1, v12, vcc_lo
	s_delay_alu instid0(VALU_DEP_4) | instskip(NEXT) | instid1(VALU_DEP_4)
	v_cndmask_b32_e32 v2, v2, v16, vcc_lo
	v_cndmask_b32_e64 v8, v3, v12, s2
	s_delay_alu instid0(VALU_DEP_4)
	v_cndmask_b32_e64 v6, v6, v12, s4
	v_cndmask_b32_e64 v3, v9, v12, s3
	;; [unrolled: 1-line block ×5, first 2 shown]
	v_perm_b32 v4, v2, v1, 0x5040100
	s_mov_b32 s2, exec_lo
	v_perm_b32 v3, v9, v3, 0x5040100
	v_perm_b32 v2, v7, v6, 0x5040100
	;; [unrolled: 1-line block ×3, first 2 shown]
	ds_store_b128 v129, v[1:4]
	s_waitcnt lgkmcnt(0)
	s_barrier
	buffer_gl0_inv
	v_cmpx_gt_u32_e32 32, v0
	s_cbranch_execz .LBB209_2
; %bb.15:
	s_load_b64 s[0:1], s[0:1], 0x68
	v_lshlrev_b32_e32 v0, 10, v0
	s_lshl_b32 s4, s34, 7
	v_or_b32_e32 v23, s31, v138
	s_mul_i32 s2, s4, s30
	v_lshlrev_b32_e32 v1, 4, v139
	v_lshlrev_b32_e32 v2, 6, v138
	s_mul_i32 s2, s2, s6
	v_and_b32_e32 v0, 0x3800, v0
	v_mul_lo_u32 v8, v23, s4
	s_ashr_i32 s3, s2, 31
	v_or_b32_e32 v3, 2, v23
	s_lshl_b64 s[2:3], s[2:3], 1
	v_or3_b32 v27, v0, v1, v2
	v_or_b32_e32 v11, 4, v23
	v_or_b32_e32 v18, 6, v23
	v_mul_lo_u32 v10, v3, s4
	v_ashrrev_i32_e32 v9, 31, v8
	ds_load_b128 v[0:3], v27
	ds_load_b128 v[4:7], v27 offset:128
	v_mul_lo_u32 v12, v11, s4
	s_waitcnt lgkmcnt(0)
	s_add_u32 s2, s0, s2
	s_addc_u32 s3, s1, s3
	s_lshl_b32 s0, s14, 7
	v_lshlrev_b64 v[8:9], 1, v[8:9]
	s_ashr_i32 s1, s0, 31
	v_ashrrev_i32_e32 v11, 31, v10
	s_lshl_b64 s[0:1], s[0:1], 1
	v_ashrrev_i32_e32 v13, 31, v12
	s_add_u32 s0, s2, s0
	s_addc_u32 s1, s3, s1
	v_add_co_u32 v30, s0, s0, v137
	s_delay_alu instid0(VALU_DEP_1) | instskip(SKIP_1) | instid1(VALU_DEP_3)
	v_add_co_ci_u32_e64 v31, null, s1, 0, s0
	v_lshlrev_b64 v[16:17], 1, v[10:11]
	v_add_co_u32 v14, vcc_lo, v30, v8
	s_delay_alu instid0(VALU_DEP_3)
	v_add_co_ci_u32_e32 v15, vcc_lo, v31, v9, vcc_lo
	ds_load_b128 v[8:11], v27 offset:256
	v_mul_lo_u32 v18, v18, s4
	v_or_b32_e32 v19, 8, v23
	v_add_co_u32 v16, vcc_lo, v30, v16
	global_store_b128 v[14:15], v[0:3], off
	v_lshlrev_b64 v[0:1], 1, v[12:13]
	v_add_co_ci_u32_e32 v17, vcc_lo, v31, v17, vcc_lo
	v_mul_lo_u32 v12, v19, s4
	v_ashrrev_i32_e32 v19, 31, v18
	v_or_b32_e32 v14, 10, v23
	global_store_b128 v[16:17], v[4:7], off
	v_add_co_u32 v4, vcc_lo, v30, v0
	v_add_co_ci_u32_e32 v5, vcc_lo, v31, v1, vcc_lo
	ds_load_b128 v[0:3], v27 offset:384
	v_ashrrev_i32_e32 v13, 31, v12
	v_lshlrev_b64 v[6:7], 1, v[18:19]
	v_mul_lo_u32 v14, v14, s4
	s_waitcnt lgkmcnt(1)
	global_store_b128 v[4:5], v[8:11], off
	v_or_b32_e32 v8, 12, v23
	v_lshlrev_b64 v[4:5], 1, v[12:13]
	v_add_co_u32 v20, vcc_lo, v30, v6
	v_or_b32_e32 v6, 14, v23
	v_ashrrev_i32_e32 v15, 31, v14
	v_mul_lo_u32 v22, v8, s4
	v_add_co_ci_u32_e32 v21, vcc_lo, v31, v7, vcc_lo
	v_add_co_u32 v24, vcc_lo, v30, v4
	v_mul_lo_u32 v26, v6, s4
	v_add_co_ci_u32_e32 v25, vcc_lo, v31, v5, vcc_lo
	v_lshlrev_b64 v[28:29], 1, v[14:15]
	ds_load_b128 v[4:7], v27 offset:512
	ds_load_b128 v[8:11], v27 offset:640
	;; [unrolled: 1-line block ×4, first 2 shown]
	v_ashrrev_i32_e32 v23, 31, v22
	v_ashrrev_i32_e32 v27, 31, v26
	v_add_co_u32 v28, vcc_lo, v30, v28
	s_delay_alu instid0(VALU_DEP_3) | instskip(SKIP_1) | instid1(VALU_DEP_4)
	v_lshlrev_b64 v[22:23], 1, v[22:23]
	v_add_co_ci_u32_e32 v29, vcc_lo, v31, v29, vcc_lo
	v_lshlrev_b64 v[26:27], 1, v[26:27]
	s_delay_alu instid0(VALU_DEP_3) | instskip(NEXT) | instid1(VALU_DEP_4)
	v_add_co_u32 v22, vcc_lo, v30, v22
	v_add_co_ci_u32_e32 v23, vcc_lo, v31, v23, vcc_lo
	s_delay_alu instid0(VALU_DEP_3) | instskip(NEXT) | instid1(VALU_DEP_4)
	v_add_co_u32 v26, vcc_lo, v30, v26
	v_add_co_ci_u32_e32 v27, vcc_lo, v31, v27, vcc_lo
	s_waitcnt lgkmcnt(4)
	global_store_b128 v[20:21], v[0:3], off
	s_waitcnt lgkmcnt(3)
	global_store_b128 v[24:25], v[4:7], off
	;; [unrolled: 2-line block ×5, first 2 shown]
	s_nop 0
	s_sendmsg sendmsg(MSG_DEALLOC_VGPRS)
	s_endpgm
	.section	.rodata,"a",@progbits
	.p2align	6, 0x0
	.amdhsa_kernel _Z39paged_attention_ll4mi_QKV_mfma16_kernelIDF16_DF16_LN4vllm18Fp8KVCacheDataTypeE0EhLi16ELi128ELi256ELb1ELi16EL8MFMAType0EEvPKT_PKT0_S8_ifPKiSA_SA_iPKfiiiPfSD_PS3_PT2_iSC_SC_
		.amdhsa_group_segment_fixed_size 17472
		.amdhsa_private_segment_fixed_size 0
		.amdhsa_kernarg_size 400
		.amdhsa_user_sgpr_count 13
		.amdhsa_user_sgpr_dispatch_ptr 0
		.amdhsa_user_sgpr_queue_ptr 0
		.amdhsa_user_sgpr_kernarg_segment_ptr 1
		.amdhsa_user_sgpr_dispatch_id 0
		.amdhsa_user_sgpr_private_segment_size 0
		.amdhsa_wavefront_size32 1
		.amdhsa_uses_dynamic_stack 0
		.amdhsa_enable_private_segment 0
		.amdhsa_system_sgpr_workgroup_id_x 1
		.amdhsa_system_sgpr_workgroup_id_y 1
		.amdhsa_system_sgpr_workgroup_id_z 1
		.amdhsa_system_sgpr_workgroup_info 0
		.amdhsa_system_vgpr_workitem_id 0
		.amdhsa_next_free_vgpr 218
		.amdhsa_next_free_sgpr 52
		.amdhsa_reserve_vcc 1
		.amdhsa_float_round_mode_32 0
		.amdhsa_float_round_mode_16_64 0
		.amdhsa_float_denorm_mode_32 3
		.amdhsa_float_denorm_mode_16_64 3
		.amdhsa_dx10_clamp 1
		.amdhsa_ieee_mode 1
		.amdhsa_fp16_overflow 0
		.amdhsa_workgroup_processor_mode 1
		.amdhsa_memory_ordered 1
		.amdhsa_forward_progress 0
		.amdhsa_shared_vgpr_count 0
		.amdhsa_exception_fp_ieee_invalid_op 0
		.amdhsa_exception_fp_denorm_src 0
		.amdhsa_exception_fp_ieee_div_zero 0
		.amdhsa_exception_fp_ieee_overflow 0
		.amdhsa_exception_fp_ieee_underflow 0
		.amdhsa_exception_fp_ieee_inexact 0
		.amdhsa_exception_int_div_zero 0
	.end_amdhsa_kernel
	.section	.text._Z39paged_attention_ll4mi_QKV_mfma16_kernelIDF16_DF16_LN4vllm18Fp8KVCacheDataTypeE0EhLi16ELi128ELi256ELb1ELi16EL8MFMAType0EEvPKT_PKT0_S8_ifPKiSA_SA_iPKfiiiPfSD_PS3_PT2_iSC_SC_,"axG",@progbits,_Z39paged_attention_ll4mi_QKV_mfma16_kernelIDF16_DF16_LN4vllm18Fp8KVCacheDataTypeE0EhLi16ELi128ELi256ELb1ELi16EL8MFMAType0EEvPKT_PKT0_S8_ifPKiSA_SA_iPKfiiiPfSD_PS3_PT2_iSC_SC_,comdat
.Lfunc_end209:
	.size	_Z39paged_attention_ll4mi_QKV_mfma16_kernelIDF16_DF16_LN4vllm18Fp8KVCacheDataTypeE0EhLi16ELi128ELi256ELb1ELi16EL8MFMAType0EEvPKT_PKT0_S8_ifPKiSA_SA_iPKfiiiPfSD_PS3_PT2_iSC_SC_, .Lfunc_end209-_Z39paged_attention_ll4mi_QKV_mfma16_kernelIDF16_DF16_LN4vllm18Fp8KVCacheDataTypeE0EhLi16ELi128ELi256ELb1ELi16EL8MFMAType0EEvPKT_PKT0_S8_ifPKiSA_SA_iPKfiiiPfSD_PS3_PT2_iSC_SC_
                                        ; -- End function
	.section	.AMDGPU.csdata,"",@progbits
; Kernel info:
; codeLenInByte = 8272
; NumSgprs: 54
; NumVgprs: 218
; ScratchSize: 0
; MemoryBound: 0
; FloatMode: 240
; IeeeMode: 1
; LDSByteSize: 17472 bytes/workgroup (compile time only)
; SGPRBlocks: 6
; VGPRBlocks: 27
; NumSGPRsForWavesPerEU: 54
; NumVGPRsForWavesPerEU: 218
; Occupancy: 6
; WaveLimiterHint : 1
; COMPUTE_PGM_RSRC2:SCRATCH_EN: 0
; COMPUTE_PGM_RSRC2:USER_SGPR: 13
; COMPUTE_PGM_RSRC2:TRAP_HANDLER: 0
; COMPUTE_PGM_RSRC2:TGID_X_EN: 1
; COMPUTE_PGM_RSRC2:TGID_Y_EN: 1
; COMPUTE_PGM_RSRC2:TGID_Z_EN: 1
; COMPUTE_PGM_RSRC2:TIDIG_COMP_CNT: 0
	.section	.text._Z35paged_attention_ll4mi_reduce_kernelIDF16_hLi128ELi128ELi256ELi1EEvPT0_PKfS3_PKT_PKiS8_iS3_,"axG",@progbits,_Z35paged_attention_ll4mi_reduce_kernelIDF16_hLi128ELi128ELi256ELi1EEvPT0_PKfS3_PKT_PKiS8_iS3_,comdat
	.protected	_Z35paged_attention_ll4mi_reduce_kernelIDF16_hLi128ELi128ELi256ELi1EEvPT0_PKfS3_PKT_PKiS8_iS3_ ; -- Begin function _Z35paged_attention_ll4mi_reduce_kernelIDF16_hLi128ELi128ELi256ELi1EEvPT0_PKfS3_PKT_PKiS8_iS3_
	.globl	_Z35paged_attention_ll4mi_reduce_kernelIDF16_hLi128ELi128ELi256ELi1EEvPT0_PKfS3_PKT_PKiS8_iS3_
	.p2align	8
	.type	_Z35paged_attention_ll4mi_reduce_kernelIDF16_hLi128ELi128ELi256ELi1EEvPT0_PKfS3_PKT_PKiS8_iS3_,@function
_Z35paged_attention_ll4mi_reduce_kernelIDF16_hLi128ELi128ELi256ELi1EEvPT0_PKfS3_PKT_PKiS8_iS3_: ; @_Z35paged_attention_ll4mi_reduce_kernelIDF16_hLi128ELi128ELi256ELi1EEvPT0_PKfS3_PKT_PKiS8_iS3_
; %bb.0:
	s_load_b64 s[16:17], s[0:1], 0x28
	s_mov_b32 s12, s15
	s_waitcnt lgkmcnt(0)
	s_cmp_lg_u64 s[16:17], 0
	s_cselect_b32 s15, -1, 0
	s_delay_alu instid0(SALU_CYCLE_1)
	s_and_b32 vcc_lo, exec_lo, s15
	s_cbranch_vccz .LBB210_16
; %bb.1:
	s_add_i32 s2, s12, 1
	s_mov_b32 s3, 0
	s_delay_alu instid0(SALU_CYCLE_1) | instskip(SKIP_4) | instid1(SALU_CYCLE_1)
	s_lshl_b64 s[4:5], s[2:3], 2
	s_mov_b32 s13, s3
	s_add_u32 s4, s16, s4
	s_addc_u32 s5, s17, s5
	s_lshl_b64 s[6:7], s[12:13], 2
	s_add_u32 s6, s16, s6
	s_addc_u32 s7, s17, s7
	s_clause 0x1
	s_load_b32 s2, s[4:5], 0x0
	s_load_b32 s4, s[6:7], 0x0
	s_waitcnt lgkmcnt(0)
	s_sub_i32 s2, s2, s4
	s_delay_alu instid0(SALU_CYCLE_1)
	s_cmp_eq_u32 s2, 1
	s_cselect_b32 s2, -1, 0
	s_cbranch_execnz .LBB210_3
.LBB210_2:
	s_mov_b32 s13, 0
	s_mov_b32 s2, -1
.LBB210_3:
	s_delay_alu instid0(SALU_CYCLE_1)
	s_and_not1_b32 vcc_lo, exec_lo, s2
	s_cbranch_vccz .LBB210_5
; %bb.4:
	s_endpgm
.LBB210_5:
	s_clause 0x1
	s_load_b128 s[4:7], s[0:1], 0x18
	s_load_b32 s8, s[0:1], 0x30
	s_lshl_b64 s[18:19], s[12:13], 2
	s_waitcnt lgkmcnt(0)
	s_add_u32 s2, s6, s18
	s_addc_u32 s3, s7, s19
	s_mov_b32 s7, exec_lo
	s_load_b32 s23, s[2:3], 0x0
	s_load_b32 s22, s[0:1], 0x40
	s_waitcnt lgkmcnt(0)
	s_add_i32 s3, s23, 0xff
	s_delay_alu instid0(SALU_CYCLE_1) | instskip(NEXT) | instid1(SALU_CYCLE_1)
	s_ashr_i32 s2, s3, 31
	s_lshr_b32 s6, s2, 24
	s_mul_i32 s2, s12, s8
	s_add_i32 s3, s3, s6
	s_mul_i32 s6, s14, s8
	v_cmpx_lt_u32_e32 31, v0
	s_xor_b32 s7, exec_lo, s7
	s_delay_alu instid0(SALU_CYCLE_1)
	s_or_saveexec_b32 s24, s7
	v_mov_b32_e32 v1, s6
	s_ashr_i32 s3, s3, 8
	s_mul_i32 s20, s2, s22
	s_xor_b32 exec_lo, exec_lo, s24
	s_cbranch_execz .LBB210_9
; %bb.6:
	s_load_b128 s[8:11], s[0:1], 0x8
	s_mov_b32 s21, 0
	v_cmp_gt_i32_e32 vcc_lo, s3, v0
	s_lshl_b64 s[26:27], s[20:21], 2
	s_mov_b32 s7, s21
	s_waitcnt lgkmcnt(0)
	s_add_u32 s2, s10, s26
	s_addc_u32 s21, s11, s27
	s_lshl_b64 s[10:11], s[6:7], 2
	s_delay_alu instid0(SALU_CYCLE_1) | instskip(SKIP_2) | instid1(SALU_CYCLE_1)
	s_add_u32 s2, s2, s10
	s_addc_u32 s7, s21, s11
	s_add_i32 s21, s3, -1
	v_cndmask_b32_e32 v1, s21, v0, vcc_lo
	s_delay_alu instid0(VALU_DEP_1) | instskip(NEXT) | instid1(VALU_DEP_1)
	v_ashrrev_i32_e32 v2, 31, v1
	v_lshlrev_b64 v[1:2], 2, v[1:2]
	s_delay_alu instid0(VALU_DEP_1) | instskip(NEXT) | instid1(VALU_DEP_1)
	v_add_co_u32 v3, s2, s2, v1
	v_add_co_ci_u32_e64 v4, s2, s7, v2, s2
	s_add_u32 s2, s8, s26
	s_addc_u32 s7, s9, s27
	s_add_u32 s2, s2, s10
	global_load_b32 v3, v[3:4], off
	s_addc_u32 s7, s7, s11
	v_add_co_u32 v1, s2, s2, v1
	s_delay_alu instid0(VALU_DEP_1) | instskip(SKIP_2) | instid1(VALU_DEP_1)
	v_add_co_ci_u32_e64 v2, s2, s7, v2, s2
	global_load_b32 v1, v[1:2], off
	v_mbcnt_lo_u32_b32 v2, -1, 0
	v_xor_b32_e32 v4, 16, v2
	v_xor_b32_e32 v6, 8, v2
	;; [unrolled: 1-line block ×5, first 2 shown]
	v_cmp_gt_i32_e64 s2, 32, v4
	s_delay_alu instid0(VALU_DEP_1) | instskip(SKIP_1) | instid1(VALU_DEP_2)
	v_cndmask_b32_e64 v4, v2, v4, s2
	v_cmp_gt_i32_e64 s2, 32, v6
	v_lshlrev_b32_e32 v4, 2, v4
	s_delay_alu instid0(VALU_DEP_2) | instskip(SKIP_1) | instid1(VALU_DEP_2)
	v_cndmask_b32_e64 v6, v2, v6, s2
	v_cmp_gt_i32_e64 s2, 32, v8
	v_lshlrev_b32_e32 v6, 2, v6
	s_delay_alu instid0(VALU_DEP_2) | instskip(SKIP_1) | instid1(VALU_DEP_2)
	;; [unrolled: 4-line block ×3, first 2 shown]
	v_cndmask_b32_e64 v9, v2, v9, s2
	v_cmp_gt_i32_e64 s2, 32, v10
	v_lshlrev_b32_e32 v9, 2, v9
	s_delay_alu instid0(VALU_DEP_2) | instskip(SKIP_1) | instid1(VALU_DEP_1)
	v_cndmask_b32_e64 v2, v2, v10, s2
	s_waitcnt vmcnt(1)
	v_dual_max_f32 v7, v3, v3 :: v_dual_lshlrev_b32 v2, 2, v2
	ds_bpermute_b32 v5, v4, v3
	s_waitcnt lgkmcnt(0)
	v_max_f32_e32 v5, v5, v5
	s_delay_alu instid0(VALU_DEP_1) | instskip(SKIP_3) | instid1(VALU_DEP_1)
	v_max_f32_e32 v5, v7, v5
	ds_bpermute_b32 v7, v6, v5
	s_waitcnt lgkmcnt(0)
	v_max_f32_e32 v7, v7, v7
	v_max_f32_e32 v5, v5, v7
	ds_bpermute_b32 v7, v8, v5
	s_waitcnt lgkmcnt(0)
	v_max_f32_e32 v7, v7, v7
	s_delay_alu instid0(VALU_DEP_1) | instskip(SKIP_3) | instid1(VALU_DEP_1)
	v_max_f32_e32 v5, v5, v7
	ds_bpermute_b32 v7, v9, v5
	s_waitcnt lgkmcnt(0)
	v_max_f32_e32 v7, v7, v7
	v_max_f32_e32 v5, v5, v7
	ds_bpermute_b32 v7, v2, v5
	s_waitcnt lgkmcnt(0)
	v_max_f32_e32 v7, v7, v7
	s_delay_alu instid0(VALU_DEP_1) | instskip(NEXT) | instid1(VALU_DEP_1)
	v_max_f32_e32 v5, v5, v7
	v_sub_f32_e32 v3, v3, v5
	s_delay_alu instid0(VALU_DEP_1) | instskip(SKIP_1) | instid1(VALU_DEP_2)
	v_mul_f32_e32 v5, 0x3fb8aa3b, v3
	v_cmp_ngt_f32_e64 s2, 0xc2ce8ed0, v3
	v_fma_f32 v7, 0x3fb8aa3b, v3, -v5
	v_rndne_f32_e32 v10, v5
	s_delay_alu instid0(VALU_DEP_2) | instskip(NEXT) | instid1(VALU_DEP_2)
	v_fmamk_f32 v7, v3, 0x32a5705f, v7
	v_sub_f32_e32 v5, v5, v10
	s_delay_alu instid0(VALU_DEP_1) | instskip(SKIP_1) | instid1(VALU_DEP_2)
	v_add_f32_e32 v5, v5, v7
	v_cvt_i32_f32_e32 v7, v10
	v_exp_f32_e32 v5, v5
	s_waitcnt_depctr 0xfff
	v_ldexp_f32 v5, v5, v7
	s_delay_alu instid0(VALU_DEP_1) | instskip(SKIP_1) | instid1(VALU_DEP_1)
	v_cndmask_b32_e64 v5, 0, v5, s2
	v_cmp_nlt_f32_e64 s2, 0x42b17218, v3
	v_cndmask_b32_e64 v3, 0x7f800000, v5, s2
	s_mov_b32 s2, exec_lo
	s_delay_alu instid0(VALU_DEP_1) | instskip(SKIP_1) | instid1(VALU_DEP_1)
	v_cndmask_b32_e32 v3, 0, v3, vcc_lo
	s_waitcnt vmcnt(0)
	v_mul_f32_e32 v3, v3, v1
	ds_bpermute_b32 v1, v4, v3
	s_waitcnt lgkmcnt(0)
	v_add_f32_e32 v1, v3, v1
	ds_bpermute_b32 v4, v6, v1
	s_waitcnt lgkmcnt(0)
	v_add_f32_e32 v1, v1, v4
	;; [unrolled: 3-line block ×4, first 2 shown]
	v_lshlrev_b32_e32 v4, 2, v0
	ds_bpermute_b32 v2, v2, v1
	ds_store_b32 v4, v3
	v_cmpx_eq_u32_e32 0, v0
	s_cbranch_execz .LBB210_8
; %bb.7:
	s_waitcnt lgkmcnt(1)
	v_dual_add_f32 v1, v1, v2 :: v_dual_mov_b32 v2, 0
	ds_store_b32 v2, v1 offset:128
.LBB210_8:
	s_or_b32 exec_lo, exec_lo, s2
	v_mov_b32_e32 v1, s6
.LBB210_9:
	s_or_b32 exec_lo, exec_lo, s24
	s_lshl_b32 s6, s20, 7
	s_mov_b32 s7, 0
	s_waitcnt lgkmcnt(1)
	v_dual_mov_b32 v2, 0 :: v_dual_lshlrev_b32 v1, 7, v1
	s_lshl_b64 s[6:7], s[6:7], 1
	v_dual_mov_b32 v31, 0 :: v_dual_mov_b32 v32, 0
	s_add_u32 s9, s4, s6
	s_addc_u32 s33, s5, s7
	s_lshl_b32 s8, s3, 7
	v_lshlrev_b64 v[3:4], 1, v[1:2]
	s_addk_i32 s8, 0xff80
	s_cmp_lt_i32 s23, 1
	v_lshlrev_b32_e32 v1, 1, v0
	s_cselect_b32 s2, s8, 0
	v_dual_mov_b32 v33, 0 :: v_dual_mov_b32 v34, 0
	s_ashr_i32 s3, s2, 31
	v_add_co_u32 v3, vcc_lo, s9, v3
	s_lshl_b64 s[2:3], s[2:3], 1
	s_cmpk_lt_i32 s23, 0x101
	v_add_co_ci_u32_e32 v4, vcc_lo, s33, v4, vcc_lo
	s_cselect_b32 s4, s8, 0x80
	v_add_co_u32 v10, vcc_lo, v3, v1
	s_ashr_i32 s5, s4, 31
	s_delay_alu instid0(VALU_DEP_2)
	v_add_co_ci_u32_e32 v11, vcc_lo, 0, v4, vcc_lo
	s_lshl_b64 s[4:5], s[4:5], 1
	s_cmpk_lt_i32 s23, 0x201
	v_add_co_u32 v3, vcc_lo, v10, s2
	s_cselect_b32 s6, s8, 0x100
	v_add_co_ci_u32_e32 v4, vcc_lo, s3, v11, vcc_lo
	s_ashr_i32 s7, s6, 31
	v_add_co_u32 v6, vcc_lo, v10, s4
	s_lshl_b64 s[6:7], s[6:7], 1
	s_cmpk_lt_i32 s23, 0x301
	v_add_co_ci_u32_e32 v7, vcc_lo, s5, v11, vcc_lo
	s_cselect_b32 s10, s8, 0x180
	v_add_co_u32 v8, vcc_lo, v10, s6
	s_ashr_i32 s11, s10, 31
	v_add_co_ci_u32_e32 v9, vcc_lo, s7, v11, vcc_lo
	s_lshl_b64 s[10:11], s[10:11], 1
	s_cmpk_lt_i32 s23, 0x401
	v_add_co_u32 v12, vcc_lo, v10, s10
	s_cselect_b32 s20, s8, 0x200
	v_add_co_ci_u32_e32 v13, vcc_lo, s11, v11, vcc_lo
	s_ashr_i32 s21, s20, 31
	v_mov_b32_e32 v35, 0
	s_lshl_b64 s[20:21], s[20:21], 1
	s_cmpk_lt_i32 s23, 0x501
	v_add_co_u32 v14, vcc_lo, v10, s20
	s_cselect_b32 s24, s8, 0x280
	v_add_co_ci_u32_e32 v15, vcc_lo, s21, v11, vcc_lo
	s_ashr_i32 s25, s24, 31
	v_mov_b32_e32 v30, 0
	s_lshl_b64 s[24:25], s[24:25], 1
	s_cmpk_lt_i32 s23, 0x601
	v_add_co_u32 v16, vcc_lo, v10, s24
	s_cselect_b32 s26, s8, 0x300
	v_add_co_ci_u32_e32 v17, vcc_lo, s25, v11, vcc_lo
	s_ashr_i32 s27, s26, 31
	s_delay_alu instid0(SALU_CYCLE_1)
	s_lshl_b64 s[26:27], s[26:27], 1
	s_cmpk_lt_i32 s23, 0x701
	v_add_co_u32 v18, vcc_lo, v10, s26
	s_cselect_b32 s28, s8, 0x380
	v_add_co_ci_u32_e32 v19, vcc_lo, s27, v11, vcc_lo
	s_ashr_i32 s29, s28, 31
	s_delay_alu instid0(SALU_CYCLE_1)
	s_lshl_b64 s[28:29], s[28:29], 1
	s_cmpk_lt_i32 s23, 0x801
	v_add_co_u32 v20, vcc_lo, v10, s28
	s_cselect_b32 s30, s8, 0x400
	v_add_co_ci_u32_e32 v21, vcc_lo, s29, v11, vcc_lo
	s_ashr_i32 s31, s30, 31
	s_clause 0x7
	global_load_u16 v5, v[3:4], off
	global_load_u16 v6, v[6:7], off
	;; [unrolled: 1-line block ×8, first 2 shown]
	s_lshl_b64 s[30:31], s[30:31], 1
	s_cmpk_lt_i32 s23, 0x901
	v_add_co_u32 v12, vcc_lo, v10, s30
	s_cselect_b32 s34, s8, 0x480
	v_add_co_ci_u32_e32 v13, vcc_lo, s31, v11, vcc_lo
	s_ashr_i32 s35, s34, 31
	s_delay_alu instid0(SALU_CYCLE_1)
	s_lshl_b64 s[34:35], s[34:35], 1
	s_cmpk_lt_i32 s23, 0xa01
	v_add_co_u32 v14, vcc_lo, v10, s34
	s_cselect_b32 s36, s8, 0x500
	v_add_co_ci_u32_e32 v15, vcc_lo, s35, v11, vcc_lo
	s_ashr_i32 s37, s36, 31
	s_delay_alu instid0(SALU_CYCLE_1)
	;; [unrolled: 7-line block ×7, first 2 shown]
	s_lshl_b64 s[2:3], s[4:5], 1
	s_cmpk_gt_i32 s23, 0x1000
	v_add_co_u32 v28, vcc_lo, v10, s2
	v_add_co_ci_u32_e32 v29, vcc_lo, s3, v11, vcc_lo
	s_clause 0x7
	global_load_u16 v16, v[12:13], off
	global_load_u16 v17, v[14:15], off
	;; [unrolled: 1-line block ×8, first 2 shown]
	v_dual_mov_b32 v20, 0 :: v_dual_mov_b32 v21, 0
	v_dual_mov_b32 v22, 0 :: v_dual_mov_b32 v23, 0
	;; [unrolled: 1-line block ×5, first 2 shown]
	s_cselect_b32 s4, -1, 0
	s_cmpk_lt_i32 s23, 0x1001
	s_waitcnt vmcnt(0) lgkmcnt(0)
	s_barrier
	buffer_gl0_inv
	s_cbranch_scc1 .LBB210_11
; %bb.10:
	s_cmpk_lt_u32 s23, 0x1101
	v_add_co_u32 v20, vcc_lo, 0x1000, v10
	s_cselect_b32 s2, s8, 0x880
	v_add_co_ci_u32_e32 v21, vcc_lo, 0, v11, vcc_lo
	s_ashr_i32 s3, s2, 31
	s_delay_alu instid0(SALU_CYCLE_1)
	s_lshl_b64 s[2:3], s[2:3], 1
	s_cmpk_lt_u32 s23, 0x1201
	v_add_co_u32 v22, vcc_lo, v10, s2
	s_cselect_b32 s6, s8, 0x900
	v_add_co_ci_u32_e32 v23, vcc_lo, s3, v11, vcc_lo
	s_ashr_i32 s7, s6, 31
	s_delay_alu instid0(SALU_CYCLE_1)
	s_lshl_b64 s[6:7], s[6:7], 1
	;; [unrolled: 7-line block ×7, first 2 shown]
	s_cmpk_lt_u32 s23, 0x1801
	v_add_co_u32 v34, vcc_lo, v10, s28
	s_cselect_b32 s30, s8, 0xc00
	v_add_co_ci_u32_e32 v35, vcc_lo, s29, v11, vcc_lo
	s_ashr_i32 s31, s30, 31
	s_clause 0x7
	global_load_u16 v36, v[20:21], off
	global_load_u16 v37, v[22:23], off
	;; [unrolled: 1-line block ×8, first 2 shown]
	s_lshl_b64 s[30:31], s[30:31], 1
	s_cmpk_lt_u32 s23, 0x1901
	v_add_co_u32 v20, vcc_lo, v10, s30
	s_cselect_b32 s34, s8, 0xc80
	v_add_co_ci_u32_e32 v21, vcc_lo, s31, v11, vcc_lo
	s_ashr_i32 s35, s34, 31
	s_delay_alu instid0(SALU_CYCLE_1)
	s_lshl_b64 s[34:35], s[34:35], 1
	s_cmpk_lt_u32 s23, 0x1a01
	v_add_co_u32 v22, vcc_lo, v10, s34
	s_cselect_b32 s36, s8, 0xd00
	v_add_co_ci_u32_e32 v23, vcc_lo, s35, v11, vcc_lo
	s_ashr_i32 s37, s36, 31
	s_delay_alu instid0(SALU_CYCLE_1)
	;; [unrolled: 7-line block ×6, first 2 shown]
	s_lshl_b64 s[2:3], s[20:21], 1
	s_cmpk_lt_u32 s23, 0x1f01
	v_add_co_u32 v32, vcc_lo, v10, s2
	s_cselect_b32 s6, s8, 0xf80
	v_add_co_ci_u32_e32 v33, vcc_lo, s3, v11, vcc_lo
	s_ashr_i32 s7, s6, 31
	s_delay_alu instid0(SALU_CYCLE_1) | instskip(NEXT) | instid1(SALU_CYCLE_1)
	s_lshl_b64 s[2:3], s[6:7], 1
	v_add_co_u32 v10, vcc_lo, v10, s2
	v_add_co_ci_u32_e32 v11, vcc_lo, s3, v11, vcc_lo
	s_clause 0x7
	global_load_u16 v20, v[20:21], off
	global_load_u16 v21, v[22:23], off
	;; [unrolled: 1-line block ×8, first 2 shown]
	s_waitcnt vmcnt(15)
	v_cvt_f32_f16_e32 v35, v36
	s_waitcnt vmcnt(14)
	v_cvt_f32_f16_e32 v34, v37
	s_waitcnt vmcnt(13)
	v_cvt_f32_f16_e32 v33, v38
	s_waitcnt vmcnt(12)
	v_cvt_f32_f16_e32 v32, v39
	s_waitcnt vmcnt(11)
	v_cvt_f32_f16_e32 v31, v40
	s_waitcnt vmcnt(10)
	v_cvt_f32_f16_e32 v30, v41
	s_waitcnt vmcnt(9)
	v_cvt_f32_f16_e32 v29, v42
	s_waitcnt vmcnt(8)
	v_cvt_f32_f16_e32 v28, v43
	s_waitcnt vmcnt(7)
	v_cvt_f32_f16_e32 v27, v20
	s_waitcnt vmcnt(6)
	v_cvt_f32_f16_e32 v26, v21
	s_waitcnt vmcnt(5)
	v_cvt_f32_f16_e32 v25, v22
	s_waitcnt vmcnt(4)
	v_cvt_f32_f16_e32 v24, v23
	s_waitcnt vmcnt(3)
	v_cvt_f32_f16_e32 v23, v44
	s_waitcnt vmcnt(2)
	v_cvt_f32_f16_e32 v22, v45
	s_waitcnt vmcnt(1)
	v_cvt_f32_f16_e32 v21, v46
	s_waitcnt vmcnt(0)
	v_cvt_f32_f16_e32 v20, v10
.LBB210_11:
	ds_load_b128 v[36:39], v2
	ds_load_b128 v[40:43], v2 offset:16
	s_load_b64 s[0:1], s[0:1], 0x0
	s_and_not1_b32 vcc_lo, exec_lo, s4
	s_waitcnt lgkmcnt(0)
	v_fma_mix_f32 v5, v36, v5, 0 op_sel_hi:[0,1,0]
	s_delay_alu instid0(VALU_DEP_1) | instskip(NEXT) | instid1(VALU_DEP_1)
	v_fma_mix_f32 v5, v37, v6, v5 op_sel_hi:[0,1,0]
	v_fma_mix_f32 v5, v38, v7, v5 op_sel_hi:[0,1,0]
	s_delay_alu instid0(VALU_DEP_1) | instskip(SKIP_4) | instid1(VALU_DEP_1)
	v_fma_mix_f32 v5, v39, v8, v5 op_sel_hi:[0,1,0]
	ds_load_b128 v[36:39], v2 offset:48
	v_fma_mix_f32 v9, v40, v9, v5 op_sel_hi:[0,1,0]
	ds_load_b128 v[5:8], v2 offset:32
	v_fma_mix_f32 v1, v41, v1, v9 op_sel_hi:[0,1,0]
	v_fma_mix_f32 v1, v42, v3, v1 op_sel_hi:[0,1,0]
	s_delay_alu instid0(VALU_DEP_1) | instskip(SKIP_1) | instid1(VALU_DEP_1)
	v_fma_mix_f32 v1, v43, v4, v1 op_sel_hi:[0,1,0]
	s_waitcnt lgkmcnt(0)
	v_fma_mix_f32 v1, v5, v16, v1 op_sel_hi:[0,1,0]
	s_delay_alu instid0(VALU_DEP_1) | instskip(NEXT) | instid1(VALU_DEP_1)
	v_fma_mix_f32 v1, v6, v17, v1 op_sel_hi:[0,1,0]
	v_fma_mix_f32 v1, v7, v18, v1 op_sel_hi:[0,1,0]
	s_delay_alu instid0(VALU_DEP_1) | instskip(NEXT) | instid1(VALU_DEP_1)
	v_fma_mix_f32 v1, v8, v19, v1 op_sel_hi:[0,1,0]
	;; [unrolled: 3-line block ×3, first 2 shown]
	v_fma_mix_f32 v1, v38, v12, v1 op_sel_hi:[0,1,0]
	s_delay_alu instid0(VALU_DEP_1)
	v_fma_mix_f32 v1, v39, v13, v1 op_sel_hi:[0,1,0]
	s_cbranch_vccnz .LBB210_13
; %bb.12:
	ds_load_b128 v[3:6], v2 offset:64
	ds_load_b128 v[7:10], v2 offset:80
	s_waitcnt lgkmcnt(1)
	v_fmac_f32_e32 v1, v3, v35
	s_delay_alu instid0(VALU_DEP_1) | instskip(NEXT) | instid1(VALU_DEP_1)
	v_fmac_f32_e32 v1, v4, v34
	v_fmac_f32_e32 v1, v5, v33
	s_delay_alu instid0(VALU_DEP_1) | instskip(SKIP_3) | instid1(VALU_DEP_1)
	v_fmac_f32_e32 v1, v6, v32
	ds_load_b128 v[3:6], v2 offset:96
	s_waitcnt lgkmcnt(1)
	v_fmac_f32_e32 v1, v7, v31
	v_fmac_f32_e32 v1, v8, v30
	s_delay_alu instid0(VALU_DEP_1) | instskip(NEXT) | instid1(VALU_DEP_1)
	v_fmac_f32_e32 v1, v9, v29
	v_fmac_f32_e32 v1, v10, v28
	ds_load_b128 v[7:10], v2 offset:112
	s_waitcnt lgkmcnt(1)
	v_fmac_f32_e32 v1, v3, v27
	s_delay_alu instid0(VALU_DEP_1) | instskip(NEXT) | instid1(VALU_DEP_1)
	v_fmac_f32_e32 v1, v4, v26
	v_fmac_f32_e32 v1, v5, v25
	s_delay_alu instid0(VALU_DEP_1) | instskip(SKIP_1) | instid1(VALU_DEP_1)
	v_fmac_f32_e32 v1, v6, v24
	s_waitcnt lgkmcnt(0)
	v_fmac_f32_e32 v1, v7, v23
	s_delay_alu instid0(VALU_DEP_1) | instskip(NEXT) | instid1(VALU_DEP_1)
	v_fmac_f32_e32 v1, v8, v22
	v_fmac_f32_e32 v1, v9, v21
	s_delay_alu instid0(VALU_DEP_1)
	v_fmac_f32_e32 v1, v10, v20
.LBB210_13:
	ds_load_b32 v2, v2 offset:128
	s_and_not1_b32 vcc_lo, exec_lo, s15
	s_cbranch_vccnz .LBB210_15
; %bb.14:
	s_add_u32 s2, s16, s18
	s_addc_u32 s3, s17, s19
	s_mov_b32 s13, 0
	s_load_b32 s12, s[2:3], 0x0
.LBB210_15:
	s_waitcnt lgkmcnt(0)
	v_add_f32_e32 v2, 0x358637bd, v2
	s_mul_i32 s3, s22, s13
	s_mul_hi_u32 s4, s22, s12
	s_mul_i32 s2, s22, s12
	s_add_i32 s3, s4, s3
	v_div_scale_f32 v3, null, v2, v2, 1.0
	v_div_scale_f32 v6, vcc_lo, 1.0, v2, 1.0
	s_lshl_b64 s[2:3], s[2:3], 7
	s_delay_alu instid0(VALU_DEP_2) | instskip(SKIP_4) | instid1(SALU_CYCLE_1)
	v_rcp_f32_e32 v4, v3
	s_mov_b32 s15, 0
	s_add_u32 s2, s0, s2
	s_addc_u32 s3, s1, s3
	s_lshl_b64 s[0:1], s[14:15], 7
	s_add_u32 s0, s2, s0
	s_addc_u32 s1, s3, s1
	v_add_co_u32 v0, s0, s0, v0
	s_waitcnt_depctr 0xfff
	v_fma_f32 v5, -v3, v4, 1.0
	s_delay_alu instid0(VALU_DEP_1) | instskip(NEXT) | instid1(VALU_DEP_1)
	v_fmac_f32_e32 v4, v5, v4
	v_mul_f32_e32 v5, v6, v4
	s_delay_alu instid0(VALU_DEP_1) | instskip(NEXT) | instid1(VALU_DEP_1)
	v_fma_f32 v7, -v3, v5, v6
	v_fmac_f32_e32 v5, v7, v4
	s_delay_alu instid0(VALU_DEP_1) | instskip(NEXT) | instid1(VALU_DEP_1)
	v_fma_f32 v3, -v3, v5, v6
	v_div_fmas_f32 v3, v3, v4, v5
	s_delay_alu instid0(VALU_DEP_1) | instskip(NEXT) | instid1(VALU_DEP_1)
	v_div_fixup_f32 v2, v3, v2, 1.0
	v_fma_mixlo_f16 v1, v1, v2, 0
	s_delay_alu instid0(VALU_DEP_1)
	v_cvt_i16_f16_e32 v2, v1
	v_add_co_ci_u32_e64 v1, null, s1, 0, s0
	global_store_b8 v[0:1], v2, off
	s_nop 0
	s_sendmsg sendmsg(MSG_DEALLOC_VGPRS)
	s_endpgm
.LBB210_16:
	s_mov_b32 s2, 0
	s_branch .LBB210_2
	.section	.rodata,"a",@progbits
	.p2align	6, 0x0
	.amdhsa_kernel _Z35paged_attention_ll4mi_reduce_kernelIDF16_hLi128ELi128ELi256ELi1EEvPT0_PKfS3_PKT_PKiS8_iS3_
		.amdhsa_group_segment_fixed_size 132
		.amdhsa_private_segment_fixed_size 0
		.amdhsa_kernarg_size 320
		.amdhsa_user_sgpr_count 14
		.amdhsa_user_sgpr_dispatch_ptr 0
		.amdhsa_user_sgpr_queue_ptr 0
		.amdhsa_user_sgpr_kernarg_segment_ptr 1
		.amdhsa_user_sgpr_dispatch_id 0
		.amdhsa_user_sgpr_private_segment_size 0
		.amdhsa_wavefront_size32 1
		.amdhsa_uses_dynamic_stack 0
		.amdhsa_enable_private_segment 0
		.amdhsa_system_sgpr_workgroup_id_x 1
		.amdhsa_system_sgpr_workgroup_id_y 1
		.amdhsa_system_sgpr_workgroup_id_z 0
		.amdhsa_system_sgpr_workgroup_info 0
		.amdhsa_system_vgpr_workitem_id 0
		.amdhsa_next_free_vgpr 47
		.amdhsa_next_free_sgpr 38
		.amdhsa_reserve_vcc 1
		.amdhsa_float_round_mode_32 0
		.amdhsa_float_round_mode_16_64 0
		.amdhsa_float_denorm_mode_32 3
		.amdhsa_float_denorm_mode_16_64 3
		.amdhsa_dx10_clamp 1
		.amdhsa_ieee_mode 1
		.amdhsa_fp16_overflow 0
		.amdhsa_workgroup_processor_mode 1
		.amdhsa_memory_ordered 1
		.amdhsa_forward_progress 0
		.amdhsa_shared_vgpr_count 0
		.amdhsa_exception_fp_ieee_invalid_op 0
		.amdhsa_exception_fp_denorm_src 0
		.amdhsa_exception_fp_ieee_div_zero 0
		.amdhsa_exception_fp_ieee_overflow 0
		.amdhsa_exception_fp_ieee_underflow 0
		.amdhsa_exception_fp_ieee_inexact 0
		.amdhsa_exception_int_div_zero 0
	.end_amdhsa_kernel
	.section	.text._Z35paged_attention_ll4mi_reduce_kernelIDF16_hLi128ELi128ELi256ELi1EEvPT0_PKfS3_PKT_PKiS8_iS3_,"axG",@progbits,_Z35paged_attention_ll4mi_reduce_kernelIDF16_hLi128ELi128ELi256ELi1EEvPT0_PKfS3_PKT_PKiS8_iS3_,comdat
.Lfunc_end210:
	.size	_Z35paged_attention_ll4mi_reduce_kernelIDF16_hLi128ELi128ELi256ELi1EEvPT0_PKfS3_PKT_PKiS8_iS3_, .Lfunc_end210-_Z35paged_attention_ll4mi_reduce_kernelIDF16_hLi128ELi128ELi256ELi1EEvPT0_PKfS3_PKT_PKiS8_iS3_
                                        ; -- End function
	.section	.AMDGPU.csdata,"",@progbits
; Kernel info:
; codeLenInByte = 3228
; NumSgprs: 40
; NumVgprs: 47
; ScratchSize: 0
; MemoryBound: 0
; FloatMode: 240
; IeeeMode: 1
; LDSByteSize: 132 bytes/workgroup (compile time only)
; SGPRBlocks: 4
; VGPRBlocks: 5
; NumSGPRsForWavesPerEU: 40
; NumVGPRsForWavesPerEU: 47
; Occupancy: 16
; WaveLimiterHint : 1
; COMPUTE_PGM_RSRC2:SCRATCH_EN: 0
; COMPUTE_PGM_RSRC2:USER_SGPR: 14
; COMPUTE_PGM_RSRC2:TRAP_HANDLER: 0
; COMPUTE_PGM_RSRC2:TGID_X_EN: 1
; COMPUTE_PGM_RSRC2:TGID_Y_EN: 1
; COMPUTE_PGM_RSRC2:TGID_Z_EN: 0
; COMPUTE_PGM_RSRC2:TIDIG_COMP_CNT: 0
	.section	.text._Z35paged_attention_ll4mi_reduce_kernelIDF16_hLi128ELi128ELi256ELi2EEvPT0_PKfS3_PKT_PKiS8_iS3_,"axG",@progbits,_Z35paged_attention_ll4mi_reduce_kernelIDF16_hLi128ELi128ELi256ELi2EEvPT0_PKfS3_PKT_PKiS8_iS3_,comdat
	.protected	_Z35paged_attention_ll4mi_reduce_kernelIDF16_hLi128ELi128ELi256ELi2EEvPT0_PKfS3_PKT_PKiS8_iS3_ ; -- Begin function _Z35paged_attention_ll4mi_reduce_kernelIDF16_hLi128ELi128ELi256ELi2EEvPT0_PKfS3_PKT_PKiS8_iS3_
	.globl	_Z35paged_attention_ll4mi_reduce_kernelIDF16_hLi128ELi128ELi256ELi2EEvPT0_PKfS3_PKT_PKiS8_iS3_
	.p2align	8
	.type	_Z35paged_attention_ll4mi_reduce_kernelIDF16_hLi128ELi128ELi256ELi2EEvPT0_PKfS3_PKT_PKiS8_iS3_,@function
_Z35paged_attention_ll4mi_reduce_kernelIDF16_hLi128ELi128ELi256ELi2EEvPT0_PKfS3_PKT_PKiS8_iS3_: ; @_Z35paged_attention_ll4mi_reduce_kernelIDF16_hLi128ELi128ELi256ELi2EEvPT0_PKfS3_PKT_PKiS8_iS3_
; %bb.0:
	s_load_b64 s[12:13], s[0:1], 0x28
	s_mov_b32 s2, s15
	s_waitcnt lgkmcnt(0)
	s_cmp_lg_u64 s[12:13], 0
	s_cselect_b32 s15, -1, 0
	s_delay_alu instid0(SALU_CYCLE_1)
	s_and_b32 vcc_lo, exec_lo, s15
	s_cbranch_vccz .LBB211_16
; %bb.1:
	s_add_i32 s4, s2, 1
	s_mov_b32 s5, 0
	s_delay_alu instid0(SALU_CYCLE_1) | instskip(SKIP_4) | instid1(SALU_CYCLE_1)
	s_lshl_b64 s[6:7], s[4:5], 2
	s_mov_b32 s3, s5
	s_add_u32 s6, s12, s6
	s_addc_u32 s7, s13, s7
	s_lshl_b64 s[8:9], s[2:3], 2
	s_add_u32 s8, s12, s8
	s_addc_u32 s9, s13, s9
	s_clause 0x1
	s_load_b32 s4, s[6:7], 0x0
	s_load_b32 s6, s[8:9], 0x0
	s_waitcnt lgkmcnt(0)
	s_sub_i32 s4, s4, s6
	s_delay_alu instid0(SALU_CYCLE_1)
	s_cmp_eq_u32 s4, 1
	s_cselect_b32 s4, -1, 0
	s_cbranch_execnz .LBB211_3
.LBB211_2:
	s_mov_b32 s3, 0
	s_mov_b32 s4, -1
.LBB211_3:
	s_delay_alu instid0(SALU_CYCLE_1)
	s_and_not1_b32 vcc_lo, exec_lo, s4
	s_cbranch_vccz .LBB211_5
; %bb.4:
	s_endpgm
.LBB211_5:
	s_clause 0x1
	s_load_b128 s[4:7], s[0:1], 0x18
	s_load_b32 s9, s[0:1], 0x30
	s_lshl_b64 s[16:17], s[2:3], 2
	s_waitcnt lgkmcnt(0)
	s_add_u32 s6, s6, s16
	s_addc_u32 s7, s7, s17
	s_load_b32 s20, s[6:7], 0x0
	s_load_b32 s33, s[0:1], 0x40
	s_mul_i32 s7, s2, s9
	s_waitcnt lgkmcnt(0)
	s_add_i32 s50, s20, 0xff
	s_delay_alu instid0(SALU_CYCLE_1) | instskip(NEXT) | instid1(SALU_CYCLE_1)
	s_ashr_i32 s6, s50, 31
	s_lshr_b32 s6, s6, 24
	s_delay_alu instid0(SALU_CYCLE_1) | instskip(SKIP_4) | instid1(SALU_CYCLE_1)
	s_add_i32 s8, s50, s6
	s_mul_i32 s6, s14, s9
	s_mov_b32 s9, exec_lo
	v_cmpx_lt_u32_e32 31, v0
	s_xor_b32 s9, exec_lo, s9
	s_or_saveexec_b32 s22, s9
	v_mov_b32_e32 v1, s6
	s_ashr_i32 s21, s8, 8
	s_mul_i32 s18, s7, s33
	s_xor_b32 exec_lo, exec_lo, s22
	s_cbranch_execz .LBB211_9
; %bb.6:
	v_or_b32_e32 v1, 32, v0
	s_load_b128 s[8:11], s[0:1], 0x8
	s_add_i32 s7, s21, -1
	s_mov_b32 s19, 0
	s_delay_alu instid0(SALU_CYCLE_1) | instskip(SKIP_3) | instid1(VALU_DEP_2)
	s_lshl_b64 s[24:25], s[18:19], 2
	v_cmp_gt_i32_e32 vcc_lo, s21, v1
	v_cndmask_b32_e32 v1, s7, v1, vcc_lo
	v_cmp_gt_i32_e32 vcc_lo, s21, v0
	v_ashrrev_i32_e32 v2, 31, v1
	v_cndmask_b32_e32 v3, s7, v0, vcc_lo
	s_mov_b32 s7, s19
	s_delay_alu instid0(VALU_DEP_2) | instskip(NEXT) | instid1(VALU_DEP_2)
	v_lshlrev_b64 v[1:2], 2, v[1:2]
	v_ashrrev_i32_e32 v4, 31, v3
	s_waitcnt lgkmcnt(0)
	s_add_u32 s19, s10, s24
	s_addc_u32 s23, s11, s25
	s_lshl_b64 s[10:11], s[6:7], 2
	v_lshlrev_b64 v[3:4], 2, v[3:4]
	s_add_u32 s7, s19, s10
	s_addc_u32 s19, s23, s11
	v_add_co_u32 v5, vcc_lo, s7, v1
	v_add_co_ci_u32_e32 v6, vcc_lo, s19, v2, vcc_lo
	s_delay_alu instid0(VALU_DEP_3)
	v_add_co_u32 v7, vcc_lo, s7, v3
	v_add_co_ci_u32_e32 v8, vcc_lo, s19, v4, vcc_lo
	s_clause 0x1
	global_load_b32 v5, v[5:6], off
	global_load_b32 v6, v[7:8], off
	s_add_u32 s7, s8, s24
	s_addc_u32 s8, s9, s25
	s_add_u32 s7, s7, s10
	s_addc_u32 s8, s8, s11
	v_add_co_u32 v3, vcc_lo, s7, v3
	v_add_co_ci_u32_e32 v4, vcc_lo, s8, v4, vcc_lo
	v_add_co_u32 v1, vcc_lo, s7, v1
	v_add_co_ci_u32_e32 v2, vcc_lo, s8, v2, vcc_lo
	s_clause 0x1
	global_load_b32 v3, v[3:4], off
	global_load_b32 v1, v[1:2], off
	v_mbcnt_lo_u32_b32 v2, -1, 0
	s_mov_b32 s7, exec_lo
	s_delay_alu instid0(VALU_DEP_1)
	v_xor_b32_e32 v4, 16, v2
	v_xor_b32_e32 v9, 8, v2
	v_xor_b32_e32 v10, 4, v2
	v_xor_b32_e32 v11, 2, v2
	v_xor_b32_e32 v12, 1, v2
	v_cmp_gt_i32_e32 vcc_lo, 32, v4
	v_cndmask_b32_e32 v4, v2, v4, vcc_lo
	v_cmp_gt_i32_e32 vcc_lo, 32, v9
	s_waitcnt vmcnt(2)
	v_dual_max_f32 v7, v5, v5 :: v_dual_max_f32 v8, v6, v6
	s_delay_alu instid0(VALU_DEP_1)
	v_dual_max_f32 v7, v8, v7 :: v_dual_lshlrev_b32 v4, 2, v4
	ds_bpermute_b32 v8, v4, v7
	v_cndmask_b32_e32 v9, v2, v9, vcc_lo
	v_cmp_gt_i32_e32 vcc_lo, 32, v10
	v_cndmask_b32_e32 v10, v2, v10, vcc_lo
	v_cmp_gt_i32_e32 vcc_lo, 32, v11
	s_delay_alu instid0(VALU_DEP_2) | instskip(SKIP_1) | instid1(VALU_DEP_2)
	v_dual_cndmask_b32 v11, v2, v11 :: v_dual_lshlrev_b32 v10, 2, v10
	v_cmp_gt_i32_e32 vcc_lo, 32, v12
	v_dual_cndmask_b32 v2, v2, v12 :: v_dual_lshlrev_b32 v11, 2, v11
	s_waitcnt lgkmcnt(0)
	v_dual_max_f32 v8, v8, v8 :: v_dual_lshlrev_b32 v9, 2, v9
	s_delay_alu instid0(VALU_DEP_1) | instskip(SKIP_3) | instid1(VALU_DEP_1)
	v_dual_max_f32 v7, v7, v8 :: v_dual_lshlrev_b32 v2, 2, v2
	ds_bpermute_b32 v8, v9, v7
	s_waitcnt lgkmcnt(0)
	v_max_f32_e32 v8, v8, v8
	v_max_f32_e32 v7, v7, v8
	ds_bpermute_b32 v8, v10, v7
	s_waitcnt lgkmcnt(0)
	v_max_f32_e32 v8, v8, v8
	s_delay_alu instid0(VALU_DEP_1) | instskip(SKIP_3) | instid1(VALU_DEP_1)
	v_max_f32_e32 v7, v7, v8
	ds_bpermute_b32 v8, v11, v7
	s_waitcnt lgkmcnt(0)
	v_max_f32_e32 v8, v8, v8
	v_max_f32_e32 v7, v7, v8
	ds_bpermute_b32 v8, v2, v7
	s_waitcnt lgkmcnt(0)
	v_max_f32_e32 v8, v8, v8
	s_delay_alu instid0(VALU_DEP_1) | instskip(NEXT) | instid1(VALU_DEP_1)
	v_max_f32_e32 v7, v7, v8
	v_sub_f32_e32 v5, v5, v7
	s_delay_alu instid0(VALU_DEP_1) | instskip(NEXT) | instid1(VALU_DEP_1)
	v_mul_f32_e32 v8, 0x3fb8aa3b, v5
	v_rndne_f32_e32 v15, v8
	v_fma_f32 v14, 0x3fb8aa3b, v5, -v8
	s_delay_alu instid0(VALU_DEP_2) | instskip(SKIP_1) | instid1(VALU_DEP_3)
	v_sub_f32_e32 v8, v8, v15
	v_sub_f32_e32 v6, v6, v7
	v_fmac_f32_e32 v14, 0x32a5705f, v5
	s_delay_alu instid0(VALU_DEP_2) | instskip(NEXT) | instid1(VALU_DEP_1)
	v_mul_f32_e32 v7, 0x3fb8aa3b, v6
	v_fma_f32 v12, 0x3fb8aa3b, v6, -v7
	v_rndne_f32_e32 v13, v7
	s_delay_alu instid0(VALU_DEP_1) | instskip(NEXT) | instid1(VALU_DEP_1)
	v_dual_fmac_f32 v12, 0x32a5705f, v6 :: v_dual_sub_f32 v7, v7, v13
	v_add_f32_e32 v7, v7, v12
	v_cvt_i32_f32_e32 v12, v13
	v_cmp_ngt_f32_e32 vcc_lo, 0xc2ce8ed0, v6
	v_cvt_i32_f32_e32 v13, v15
	s_delay_alu instid0(VALU_DEP_4) | instskip(SKIP_4) | instid1(VALU_DEP_3)
	v_exp_f32_e32 v7, v7
	s_waitcnt_depctr 0xfff
	v_ldexp_f32 v7, v7, v12
	v_add_f32_e32 v8, v8, v14
	v_sub_nc_u32_e32 v12, s21, v0
	v_cndmask_b32_e32 v7, 0, v7, vcc_lo
	s_delay_alu instid0(VALU_DEP_3) | instskip(SKIP_3) | instid1(VALU_DEP_1)
	v_exp_f32_e32 v8, v8
	v_cmp_ngt_f32_e32 vcc_lo, 0xc2ce8ed0, v5
	s_waitcnt_depctr 0xfff
	v_ldexp_f32 v8, v8, v13
	v_cndmask_b32_e32 v8, 0, v8, vcc_lo
	v_cmp_nlt_f32_e32 vcc_lo, 0x42b17218, v6
	v_dual_cndmask_b32 v6, 0x7f800000, v7 :: v_dual_lshlrev_b32 v7, 2, v0
	v_cmp_nlt_f32_e32 vcc_lo, 0x42b17218, v5
	s_delay_alu instid0(VALU_DEP_4) | instskip(SKIP_1) | instid1(VALU_DEP_4)
	v_cndmask_b32_e32 v5, 0x7f800000, v8, vcc_lo
	v_cmp_lt_i32_e32 vcc_lo, 0, v12
	v_cndmask_b32_e32 v6, 0, v6, vcc_lo
	v_cmp_lt_i32_e32 vcc_lo, 32, v12
	s_delay_alu instid0(VALU_DEP_4) | instskip(SKIP_1) | instid1(VALU_DEP_1)
	v_cndmask_b32_e32 v5, 0, v5, vcc_lo
	s_waitcnt vmcnt(0)
	v_dual_mul_f32 v3, v3, v6 :: v_dual_mul_f32 v6, v1, v5
	ds_store_2addr_b32 v7, v3, v6 offset1:32
	v_fmac_f32_e32 v3, v1, v5
	ds_bpermute_b32 v1, v4, v3
	s_waitcnt lgkmcnt(0)
	v_add_f32_e32 v1, v3, v1
	ds_bpermute_b32 v3, v9, v1
	s_waitcnt lgkmcnt(0)
	v_add_f32_e32 v1, v1, v3
	ds_bpermute_b32 v3, v10, v1
	s_waitcnt lgkmcnt(0)
	v_add_f32_e32 v1, v1, v3
	ds_bpermute_b32 v3, v11, v1
	s_waitcnt lgkmcnt(0)
	v_add_f32_e32 v1, v1, v3
	ds_bpermute_b32 v2, v2, v1
	v_cmpx_eq_u32_e32 0, v0
	s_cbranch_execz .LBB211_8
; %bb.7:
	s_waitcnt lgkmcnt(0)
	v_dual_add_f32 v1, v1, v2 :: v_dual_mov_b32 v2, 0
	ds_store_b32 v2, v1 offset:256
.LBB211_8:
	s_or_b32 exec_lo, exec_lo, s7
	v_mov_b32_e32 v1, s6
.LBB211_9:
	s_or_b32 exec_lo, exec_lo, s22
	s_lshl_b32 s6, s18, 7
	s_mov_b32 s7, 0
	s_waitcnt lgkmcnt(0)
	v_dual_mov_b32 v2, 0 :: v_dual_lshlrev_b32 v1, 7, v1
	s_lshl_b64 s[6:7], s[6:7], 1
	v_dual_mov_b32 v29, 0 :: v_dual_mov_b32 v30, 0
	s_add_u32 s34, s4, s6
	s_addc_u32 s35, s5, s7
	s_lshl_b32 s51, s21, 7
	v_lshlrev_b64 v[3:4], 1, v[1:2]
	s_addk_i32 s51, 0xff80
	s_cmpk_lt_i32 s50, 0x100
	v_lshlrev_b32_e32 v1, 1, v0
	s_cselect_b32 s4, s51, 0
	v_dual_mov_b32 v31, 0 :: v_dual_mov_b32 v32, 0
	s_ashr_i32 s5, s4, 31
	v_add_co_u32 v3, vcc_lo, s34, v3
	s_lshl_b64 s[4:5], s[4:5], 1
	s_cmpk_lt_i32 s50, 0x200
	v_add_co_ci_u32_e32 v4, vcc_lo, s35, v4, vcc_lo
	s_cselect_b32 s6, s51, 0x80
	v_add_co_u32 v1, vcc_lo, v3, v1
	s_ashr_i32 s7, s6, 31
	s_delay_alu instid0(VALU_DEP_2)
	v_add_co_ci_u32_e32 v3, vcc_lo, 0, v4, vcc_lo
	s_lshl_b64 s[6:7], s[6:7], 1
	s_cmpk_lt_i32 s50, 0x300
	v_add_co_u32 v4, vcc_lo, v1, s4
	s_cselect_b32 s8, s51, 0x100
	v_add_co_ci_u32_e32 v5, vcc_lo, s5, v3, vcc_lo
	s_ashr_i32 s9, s8, 31
	v_add_co_u32 v8, vcc_lo, v1, s6
	s_lshl_b64 s[8:9], s[8:9], 1
	s_cmpk_lt_i32 s50, 0x400
	v_add_co_ci_u32_e32 v9, vcc_lo, s7, v3, vcc_lo
	s_cselect_b32 s10, s51, 0x180
	v_add_co_u32 v10, vcc_lo, v1, s8
	s_ashr_i32 s11, s10, 31
	v_add_co_ci_u32_e32 v11, vcc_lo, s9, v3, vcc_lo
	s_lshl_b64 s[10:11], s[10:11], 1
	s_cmpk_lt_i32 s50, 0x500
	v_add_co_u32 v12, vcc_lo, v1, s10
	s_cselect_b32 s18, s51, 0x200
	v_add_co_ci_u32_e32 v13, vcc_lo, s11, v3, vcc_lo
	s_ashr_i32 s19, s18, 31
	v_dual_mov_b32 v33, 0 :: v_dual_mov_b32 v34, 0
	s_lshl_b64 s[18:19], s[18:19], 1
	s_cmpk_lt_i32 s50, 0x600
	v_add_co_u32 v14, vcc_lo, v1, s18
	s_cselect_b32 s22, s51, 0x280
	v_add_co_ci_u32_e32 v15, vcc_lo, s19, v3, vcc_lo
	s_ashr_i32 s23, s22, 31
	v_mov_b32_e32 v35, 0
	s_lshl_b64 s[22:23], s[22:23], 1
	s_cmpk_lt_i32 s50, 0x700
	v_add_co_u32 v16, vcc_lo, v1, s22
	s_cselect_b32 s24, s51, 0x300
	v_add_co_ci_u32_e32 v17, vcc_lo, s23, v3, vcc_lo
	s_ashr_i32 s25, s24, 31
	s_delay_alu instid0(SALU_CYCLE_1)
	s_lshl_b64 s[24:25], s[24:25], 1
	s_cmpk_lt_i32 s50, 0x800
	v_add_co_u32 v18, vcc_lo, v1, s24
	s_cselect_b32 s26, s51, 0x380
	v_add_co_ci_u32_e32 v19, vcc_lo, s25, v3, vcc_lo
	s_ashr_i32 s27, s26, 31
	s_delay_alu instid0(SALU_CYCLE_1)
	s_lshl_b64 s[26:27], s[26:27], 1
	s_cmpk_lt_i32 s50, 0x900
	v_add_co_u32 v20, vcc_lo, v1, s26
	s_cselect_b32 s28, s51, 0x400
	v_add_co_ci_u32_e32 v21, vcc_lo, s27, v3, vcc_lo
	s_ashr_i32 s29, s28, 31
	s_clause 0x7
	global_load_u16 v7, v[4:5], off
	global_load_u16 v8, v[8:9], off
	;; [unrolled: 1-line block ×8, first 2 shown]
	s_lshl_b64 s[28:29], s[28:29], 1
	s_cmpk_lt_i32 s50, 0xa00
	v_add_co_u32 v12, vcc_lo, v1, s28
	s_cselect_b32 s30, s51, 0x480
	v_add_co_ci_u32_e32 v13, vcc_lo, s29, v3, vcc_lo
	s_ashr_i32 s31, s30, 31
	s_delay_alu instid0(SALU_CYCLE_1)
	s_lshl_b64 s[30:31], s[30:31], 1
	s_cmpk_lt_i32 s50, 0xb00
	v_add_co_u32 v15, vcc_lo, v1, s30
	s_cselect_b32 s34, s51, 0x500
	v_add_co_ci_u32_e32 v16, vcc_lo, s31, v3, vcc_lo
	s_ashr_i32 s35, s34, 31
	s_delay_alu instid0(SALU_CYCLE_1)
	;; [unrolled: 7-line block ×7, first 2 shown]
	s_lshl_b64 s[4:5], s[6:7], 1
	s_cmpk_gt_i32 s20, 0x1000
	v_add_co_u32 v27, vcc_lo, v1, s4
	v_add_co_ci_u32_e32 v28, vcc_lo, s5, v3, vcc_lo
	s_clause 0x7
	global_load_u16 v14, v[12:13], off
	global_load_u16 v15, v[15:16], off
	;; [unrolled: 1-line block ×8, first 2 shown]
	v_dual_mov_b32 v20, 0 :: v_dual_mov_b32 v21, 0
	v_dual_mov_b32 v22, 0 :: v_dual_mov_b32 v23, 0
	;; [unrolled: 1-line block ×4, first 2 shown]
	v_mov_b32_e32 v28, 0
	s_cselect_b32 s8, -1, 0
	s_cmpk_lt_i32 s20, 0x1001
	s_waitcnt vmcnt(0)
	s_barrier
	buffer_gl0_inv
	s_cbranch_scc1 .LBB211_11
; %bb.10:
	s_cmpk_lt_i32 s50, 0x1100
	s_cselect_b32 s4, s51, 0x800
	s_delay_alu instid0(SALU_CYCLE_1) | instskip(NEXT) | instid1(SALU_CYCLE_1)
	s_ashr_i32 s5, s4, 31
	s_lshl_b64 s[4:5], s[4:5], 1
	s_cmpk_lt_i32 s50, 0x1200
	v_add_co_u32 v20, vcc_lo, v1, s4
	s_cselect_b32 s6, s51, 0x880
	v_add_co_ci_u32_e32 v21, vcc_lo, s5, v3, vcc_lo
	s_ashr_i32 s7, s6, 31
	s_delay_alu instid0(SALU_CYCLE_1)
	s_lshl_b64 s[6:7], s[6:7], 1
	s_cmpk_lt_i32 s50, 0x1300
	v_add_co_u32 v22, vcc_lo, v1, s6
	s_cselect_b32 s10, s51, 0x900
	v_add_co_ci_u32_e32 v23, vcc_lo, s7, v3, vcc_lo
	s_ashr_i32 s11, s10, 31
	s_delay_alu instid0(SALU_CYCLE_1)
	;; [unrolled: 7-line block ×7, first 2 shown]
	s_lshl_b64 s[28:29], s[28:29], 1
	s_cmpk_lt_i32 s50, 0x1900
	v_add_co_u32 v34, vcc_lo, v1, s28
	s_cselect_b32 s30, s51, 0xc00
	v_add_co_ci_u32_e32 v35, vcc_lo, s29, v3, vcc_lo
	s_ashr_i32 s31, s30, 31
	s_clause 0x7
	global_load_u16 v36, v[20:21], off
	global_load_u16 v37, v[22:23], off
	;; [unrolled: 1-line block ×8, first 2 shown]
	s_lshl_b64 s[30:31], s[30:31], 1
	s_cmpk_lt_i32 s50, 0x1a00
	v_add_co_u32 v20, vcc_lo, v1, s30
	s_cselect_b32 s34, s51, 0xc80
	v_add_co_ci_u32_e32 v21, vcc_lo, s31, v3, vcc_lo
	s_ashr_i32 s35, s34, 31
	s_delay_alu instid0(SALU_CYCLE_1)
	s_lshl_b64 s[34:35], s[34:35], 1
	s_cmpk_lt_i32 s50, 0x1b00
	v_add_co_u32 v22, vcc_lo, v1, s34
	s_cselect_b32 s36, s51, 0xd00
	v_add_co_ci_u32_e32 v23, vcc_lo, s35, v3, vcc_lo
	s_ashr_i32 s37, s36, 31
	s_delay_alu instid0(SALU_CYCLE_1)
	s_lshl_b64 s[4:5], s[36:37], 1
	s_cmpk_lt_i32 s50, 0x1c00
	v_add_co_u32 v24, vcc_lo, v1, s4
	s_cselect_b32 s6, s51, 0xd80
	v_add_co_ci_u32_e32 v25, vcc_lo, s5, v3, vcc_lo
	s_ashr_i32 s7, s6, 31
	s_delay_alu instid0(SALU_CYCLE_1)
	s_lshl_b64 s[6:7], s[6:7], 1
	s_cmpk_lt_i32 s50, 0x1d00
	v_add_co_u32 v26, vcc_lo, v1, s6
	s_cselect_b32 s10, s51, 0xe00
	v_add_co_ci_u32_e32 v27, vcc_lo, s7, v3, vcc_lo
	s_ashr_i32 s11, s10, 31
	s_delay_alu instid0(SALU_CYCLE_1)
	s_lshl_b64 s[10:11], s[10:11], 1
	s_cmpk_lt_i32 s50, 0x1e00
	v_add_co_u32 v28, vcc_lo, v1, s10
	s_cselect_b32 s18, s51, 0xe80
	v_add_co_ci_u32_e32 v29, vcc_lo, s11, v3, vcc_lo
	s_ashr_i32 s19, s18, 31
	s_delay_alu instid0(SALU_CYCLE_1)
	s_lshl_b64 s[18:19], s[18:19], 1
	s_cmpk_lt_i32 s50, 0x1f00
	v_add_co_u32 v30, vcc_lo, v1, s18
	s_cselect_b32 s22, s51, 0xf00
	v_add_co_ci_u32_e32 v31, vcc_lo, s19, v3, vcc_lo
	s_ashr_i32 s23, s22, 31
	s_delay_alu instid0(SALU_CYCLE_1)
	s_lshl_b64 s[4:5], s[22:23], 1
	s_cmpk_lt_i32 s50, 0x2000
	v_add_co_u32 v32, vcc_lo, v1, s4
	s_cselect_b32 s6, s51, 0xf80
	v_add_co_ci_u32_e32 v33, vcc_lo, s5, v3, vcc_lo
	s_ashr_i32 s7, s6, 31
	s_delay_alu instid0(SALU_CYCLE_1) | instskip(NEXT) | instid1(SALU_CYCLE_1)
	s_lshl_b64 s[4:5], s[6:7], 1
	v_add_co_u32 v34, vcc_lo, v1, s4
	v_add_co_ci_u32_e32 v35, vcc_lo, s5, v3, vcc_lo
	s_clause 0x7
	global_load_u16 v20, v[20:21], off
	global_load_u16 v21, v[22:23], off
	;; [unrolled: 1-line block ×8, first 2 shown]
	s_waitcnt vmcnt(15)
	v_cvt_f32_f16_e32 v35, v36
	s_waitcnt vmcnt(14)
	v_cvt_f32_f16_e32 v34, v37
	;; [unrolled: 2-line block ×16, first 2 shown]
.LBB211_11:
	ds_load_b128 v[36:39], v2
	ds_load_b128 v[40:43], v2 offset:16
	s_and_not1_b32 vcc_lo, exec_lo, s8
	s_waitcnt lgkmcnt(1)
	v_fma_mix_f32 v7, v36, v7, 0 op_sel_hi:[0,1,0]
	s_delay_alu instid0(VALU_DEP_1) | instskip(NEXT) | instid1(VALU_DEP_1)
	v_fma_mix_f32 v7, v37, v8, v7 op_sel_hi:[0,1,0]
	v_fma_mix_f32 v7, v38, v9, v7 op_sel_hi:[0,1,0]
	s_delay_alu instid0(VALU_DEP_1)
	v_fma_mix_f32 v7, v39, v10, v7 op_sel_hi:[0,1,0]
	ds_load_b128 v[36:39], v2 offset:48
	s_waitcnt lgkmcnt(1)
	v_fma_mix_f32 v11, v40, v11, v7 op_sel_hi:[0,1,0]
	ds_load_b128 v[7:10], v2 offset:32
	v_fma_mix_f32 v4, v41, v4, v11 op_sel_hi:[0,1,0]
	s_delay_alu instid0(VALU_DEP_1) | instskip(NEXT) | instid1(VALU_DEP_1)
	v_fma_mix_f32 v4, v42, v5, v4 op_sel_hi:[0,1,0]
	v_fma_mix_f32 v4, v43, v6, v4 op_sel_hi:[0,1,0]
	s_waitcnt lgkmcnt(0)
	s_delay_alu instid0(VALU_DEP_1) | instskip(NEXT) | instid1(VALU_DEP_1)
	v_fma_mix_f32 v4, v7, v14, v4 op_sel_hi:[0,1,0]
	v_fma_mix_f32 v4, v8, v15, v4 op_sel_hi:[0,1,0]
	s_delay_alu instid0(VALU_DEP_1) | instskip(NEXT) | instid1(VALU_DEP_1)
	v_fma_mix_f32 v4, v9, v16, v4 op_sel_hi:[0,1,0]
	v_fma_mix_f32 v4, v10, v17, v4 op_sel_hi:[0,1,0]
	;; [unrolled: 3-line block ×4, first 2 shown]
	s_cbranch_vccz .LBB211_17
; %bb.12:
	s_load_b64 s[0:1], s[0:1], 0x0
	s_cmpk_lt_i32 s20, 0x2001
	s_cbranch_scc0 .LBB211_18
.LBB211_13:
	v_mov_b32_e32 v1, 0
	s_and_not1_b32 vcc_lo, exec_lo, s15
	ds_load_b32 v1, v1 offset:256
	s_cbranch_vccnz .LBB211_15
.LBB211_14:
	s_add_u32 s2, s12, s16
	s_addc_u32 s3, s13, s17
	s_load_b32 s2, s[2:3], 0x0
	s_mov_b32 s3, 0
.LBB211_15:
	s_waitcnt lgkmcnt(0)
	v_add_f32_e32 v1, 0x358637bd, v1
	s_mul_i32 s3, s33, s3
	s_mul_hi_u32 s4, s33, s2
	s_mul_i32 s2, s33, s2
	s_add_i32 s3, s4, s3
	v_div_scale_f32 v2, null, v1, v1, 1.0
	v_div_scale_f32 v6, vcc_lo, 1.0, v1, 1.0
	s_lshl_b64 s[2:3], s[2:3], 7
	s_delay_alu instid0(VALU_DEP_2) | instskip(SKIP_4) | instid1(SALU_CYCLE_1)
	v_rcp_f32_e32 v3, v2
	s_mov_b32 s15, 0
	s_add_u32 s2, s0, s2
	s_addc_u32 s3, s1, s3
	s_lshl_b64 s[0:1], s[14:15], 7
	s_add_u32 s0, s2, s0
	s_addc_u32 s1, s3, s1
	v_add_co_u32 v0, s0, s0, v0
	s_waitcnt_depctr 0xfff
	v_fma_f32 v5, -v2, v3, 1.0
	s_delay_alu instid0(VALU_DEP_1) | instskip(NEXT) | instid1(VALU_DEP_1)
	v_fmac_f32_e32 v3, v5, v3
	v_mul_f32_e32 v5, v6, v3
	s_delay_alu instid0(VALU_DEP_1) | instskip(NEXT) | instid1(VALU_DEP_1)
	v_fma_f32 v7, -v2, v5, v6
	v_fmac_f32_e32 v5, v7, v3
	s_delay_alu instid0(VALU_DEP_1) | instskip(NEXT) | instid1(VALU_DEP_1)
	v_fma_f32 v2, -v2, v5, v6
	v_div_fmas_f32 v2, v2, v3, v5
	s_delay_alu instid0(VALU_DEP_1) | instskip(NEXT) | instid1(VALU_DEP_1)
	v_div_fixup_f32 v1, v2, v1, 1.0
	v_fma_mixlo_f16 v1, v4, v1, 0
	s_delay_alu instid0(VALU_DEP_1)
	v_cvt_i16_f16_e32 v2, v1
	v_add_co_ci_u32_e64 v1, null, s1, 0, s0
	global_store_b8 v[0:1], v2, off
	s_nop 0
	s_sendmsg sendmsg(MSG_DEALLOC_VGPRS)
	s_endpgm
.LBB211_16:
	s_mov_b32 s4, 0
	s_branch .LBB211_2
.LBB211_17:
	ds_load_b128 v[5:8], v2 offset:64
	ds_load_b128 v[9:12], v2 offset:80
	s_waitcnt lgkmcnt(1)
	v_fmac_f32_e32 v4, v5, v35
	s_delay_alu instid0(VALU_DEP_1) | instskip(NEXT) | instid1(VALU_DEP_1)
	v_fmac_f32_e32 v4, v6, v34
	v_fmac_f32_e32 v4, v7, v33
	s_delay_alu instid0(VALU_DEP_1) | instskip(SKIP_3) | instid1(VALU_DEP_1)
	v_fmac_f32_e32 v4, v8, v32
	ds_load_b128 v[5:8], v2 offset:96
	s_waitcnt lgkmcnt(1)
	v_fmac_f32_e32 v4, v9, v31
	v_fmac_f32_e32 v4, v10, v30
	s_delay_alu instid0(VALU_DEP_1) | instskip(NEXT) | instid1(VALU_DEP_1)
	v_fmac_f32_e32 v4, v11, v29
	v_fmac_f32_e32 v4, v12, v28
	ds_load_b128 v[9:12], v2 offset:112
	s_waitcnt lgkmcnt(1)
	v_fmac_f32_e32 v4, v5, v27
	s_delay_alu instid0(VALU_DEP_1) | instskip(NEXT) | instid1(VALU_DEP_1)
	v_fmac_f32_e32 v4, v6, v26
	v_fmac_f32_e32 v4, v7, v25
	s_delay_alu instid0(VALU_DEP_1) | instskip(SKIP_1) | instid1(VALU_DEP_1)
	v_fmac_f32_e32 v4, v8, v24
	s_waitcnt lgkmcnt(0)
	v_fmac_f32_e32 v4, v9, v23
	s_delay_alu instid0(VALU_DEP_1) | instskip(NEXT) | instid1(VALU_DEP_1)
	v_fmac_f32_e32 v4, v10, v22
	v_fmac_f32_e32 v4, v11, v21
	s_delay_alu instid0(VALU_DEP_1)
	v_fmac_f32_e32 v4, v12, v20
	s_load_b64 s[0:1], s[0:1], 0x0
	s_cmpk_lt_i32 s20, 0x2001
	s_cbranch_scc1 .LBB211_13
.LBB211_18:
	s_cmpk_lt_i32 s50, 0x2100
	v_mov_b32_e32 v45, 0
	s_cselect_b32 s4, s51, 0x1000
	s_delay_alu instid0(SALU_CYCLE_1) | instskip(NEXT) | instid1(SALU_CYCLE_1)
	s_ashr_i32 s5, s4, 31
	s_lshl_b64 s[4:5], s[4:5], 1
	s_cmpk_lt_i32 s50, 0x2200
	v_add_co_u32 v5, vcc_lo, v1, s4
	s_cselect_b32 s6, s51, 0x1080
	v_add_co_ci_u32_e32 v6, vcc_lo, s5, v3, vcc_lo
	s_ashr_i32 s7, s6, 31
	s_delay_alu instid0(SALU_CYCLE_1)
	s_lshl_b64 s[6:7], s[6:7], 1
	s_cmpk_lt_i32 s50, 0x2300
	v_add_co_u32 v7, vcc_lo, v1, s6
	s_cselect_b32 s8, s51, 0x1100
	v_add_co_ci_u32_e32 v8, vcc_lo, s7, v3, vcc_lo
	s_ashr_i32 s9, s8, 31
	s_delay_alu instid0(SALU_CYCLE_1)
	;; [unrolled: 7-line block ×7, first 2 shown]
	s_lshl_b64 s[28:29], s[20:21], 1
	s_cmpk_lt_i32 s50, 0x2900
	v_add_co_u32 v19, vcc_lo, v1, s28
	s_cselect_b32 s20, s51, 0x1400
	v_add_co_ci_u32_e32 v20, vcc_lo, s29, v3, vcc_lo
	s_ashr_i32 s21, s20, 31
	s_clause 0x7
	global_load_u16 v21, v[5:6], off
	global_load_u16 v22, v[7:8], off
	;; [unrolled: 1-line block ×8, first 2 shown]
	s_lshl_b64 s[20:21], s[20:21], 1
	s_cmpk_lt_i32 s50, 0x2a00
	v_add_co_u32 v5, vcc_lo, v1, s20
	s_cselect_b32 s26, s51, 0x1480
	v_add_co_ci_u32_e32 v6, vcc_lo, s21, v3, vcc_lo
	s_ashr_i32 s27, s26, 31
	s_delay_alu instid0(SALU_CYCLE_1)
	s_lshl_b64 s[26:27], s[26:27], 1
	s_cmpk_lt_i32 s50, 0x2b00
	v_add_co_u32 v7, vcc_lo, v1, s26
	s_cselect_b32 s30, s51, 0x1500
	v_add_co_ci_u32_e32 v8, vcc_lo, s27, v3, vcc_lo
	s_ashr_i32 s31, s30, 31
	s_delay_alu instid0(SALU_CYCLE_1)
	;; [unrolled: 7-line block ×7, first 2 shown]
	s_lshl_b64 s[46:47], s[38:39], 1
	s_cmpk_lt_i32 s50, 0x3100
	v_add_co_u32 v19, vcc_lo, v1, s46
	s_cselect_b32 s38, s51, 0x1800
	v_add_co_ci_u32_e32 v20, vcc_lo, s47, v3, vcc_lo
	s_ashr_i32 s39, s38, 31
	s_clause 0x7
	global_load_u16 v29, v[5:6], off
	global_load_u16 v30, v[7:8], off
	;; [unrolled: 1-line block ×8, first 2 shown]
	s_lshl_b64 s[38:39], s[38:39], 1
	s_cmpk_lt_i32 s50, 0x3200
	v_add_co_u32 v5, vcc_lo, v1, s38
	s_cselect_b32 s44, s51, 0x1880
	v_add_co_ci_u32_e32 v6, vcc_lo, s39, v3, vcc_lo
	s_ashr_i32 s45, s44, 31
	s_delay_alu instid0(SALU_CYCLE_1)
	s_lshl_b64 s[44:45], s[44:45], 1
	s_cmpk_lt_i32 s50, 0x3300
	v_add_co_u32 v7, vcc_lo, v1, s44
	s_cselect_b32 s48, s51, 0x1900
	v_add_co_ci_u32_e32 v8, vcc_lo, s45, v3, vcc_lo
	s_ashr_i32 s49, s48, 31
	s_delay_alu instid0(SALU_CYCLE_1)
	;; [unrolled: 7-line block ×5, first 2 shown]
	s_lshl_b64 s[8:9], s[8:9], 1
	s_cmpk_lt_i32 s50, 0x3700
	v_add_co_u32 v15, vcc_lo, v1, s8
	s_cselect_b32 s10, s51, 0x1b00
	v_add_co_ci_u32_e32 v16, vcc_lo, s9, v3, vcc_lo
	s_ashr_i32 s11, s10, 31
	s_clause 0x5
	global_load_u16 v19, v[5:6], off
	global_load_u16 v20, v[7:8], off
	;; [unrolled: 1-line block ×6, first 2 shown]
	s_lshl_b64 s[10:11], s[10:11], 1
	s_cmpk_lt_i32 s50, 0x3800
	v_add_co_u32 v5, vcc_lo, v1, s10
	s_cselect_b32 s18, s51, 0x1b80
	v_add_co_ci_u32_e32 v6, vcc_lo, s11, v3, vcc_lo
	s_ashr_i32 s19, s18, 31
	s_delay_alu instid0(SALU_CYCLE_1)
	s_lshl_b64 s[18:19], s[18:19], 1
	s_cmpk_lt_i32 s50, 0x3900
	v_add_co_u32 v7, vcc_lo, v1, s18
	s_cselect_b32 s20, s51, 0x1c00
	v_add_co_ci_u32_e32 v8, vcc_lo, s19, v3, vcc_lo
	s_ashr_i32 s21, s20, 31
	global_load_u16 v16, v[5:6], off
	s_lshl_b64 s[20:21], s[20:21], 1
	global_load_u16 v38, v[7:8], off
	s_cmpk_lt_i32 s50, 0x3a00
	v_add_co_u32 v9, vcc_lo, v1, s20
	s_cselect_b32 s22, s51, 0x1c80
	v_add_co_ci_u32_e32 v10, vcc_lo, s21, v3, vcc_lo
	s_ashr_i32 s23, s22, 31
	s_delay_alu instid0(SALU_CYCLE_1)
	s_lshl_b64 s[22:23], s[22:23], 1
	s_cmpk_lt_i32 s50, 0x3b00
	v_add_co_u32 v11, vcc_lo, v1, s22
	s_cselect_b32 s4, s51, 0x1d00
	v_add_co_ci_u32_e32 v12, vcc_lo, s23, v3, vcc_lo
	s_ashr_i32 s5, s4, 31
	s_delay_alu instid0(SALU_CYCLE_1)
	s_lshl_b64 s[4:5], s[4:5], 1
	s_cmpk_lt_i32 s50, 0x3c00
	v_add_co_u32 v13, vcc_lo, v1, s4
	s_cselect_b32 s6, s51, 0x1d80
	v_add_co_ci_u32_e32 v14, vcc_lo, s5, v3, vcc_lo
	s_ashr_i32 s7, s6, 31
	s_clause 0x2
	global_load_u16 v39, v[9:10], off
	global_load_u16 v40, v[11:12], off
	;; [unrolled: 1-line block ×3, first 2 shown]
	s_lshl_b64 s[6:7], s[6:7], 1
	s_cmpk_lt_i32 s50, 0x3d00
	v_add_co_u32 v5, vcc_lo, v1, s6
	s_cselect_b32 s8, s51, 0x1e00
	v_add_co_ci_u32_e32 v6, vcc_lo, s7, v3, vcc_lo
	s_ashr_i32 s9, s8, 31
	s_delay_alu instid0(SALU_CYCLE_1)
	s_lshl_b64 s[4:5], s[8:9], 1
	s_cmpk_lt_i32 s50, 0x3e00
	v_add_co_u32 v7, vcc_lo, v1, s4
	s_cselect_b32 s8, s51, 0x1e80
	v_add_co_ci_u32_e32 v8, vcc_lo, s5, v3, vcc_lo
	s_ashr_i32 s9, s8, 31
	global_load_u16 v14, v[5:6], off
	s_lshl_b64 s[8:9], s[8:9], 1
	s_cmpk_lt_i32 s50, 0x3f00
	v_add_co_u32 v9, vcc_lo, v1, s8
	s_cselect_b32 s6, s51, 0x1f00
	v_add_co_ci_u32_e32 v10, vcc_lo, s9, v3, vcc_lo
	s_ashr_i32 s7, s6, 31
	s_clause 0x1
	global_load_u16 v41, v[7:8], off
	global_load_u16 v42, v[9:10], off
	s_lshl_b64 s[4:5], s[6:7], 1
	s_cmpk_lt_i32 s50, 0x4000
	v_add_co_u32 v5, vcc_lo, v1, s4
	s_cselect_b32 s6, s51, 0x1f80
	v_add_co_ci_u32_e32 v6, vcc_lo, s5, v3, vcc_lo
	s_ashr_i32 s7, s6, 31
	s_delay_alu instid0(SALU_CYCLE_1) | instskip(NEXT) | instid1(SALU_CYCLE_1)
	s_lshl_b64 s[4:5], s[6:7], 1
	v_add_co_u32 v1, vcc_lo, v1, s4
	v_add_co_ci_u32_e32 v2, vcc_lo, s5, v3, vcc_lo
	s_clause 0x1
	global_load_u16 v43, v[5:6], off
	global_load_u16 v44, v[1:2], off
	ds_load_b128 v[5:8], v45 offset:128
	ds_load_b128 v[9:12], v45 offset:144
	s_waitcnt vmcnt(31) lgkmcnt(0)
	v_fma_mix_f32 v1, v5, v21, v4 op_sel_hi:[0,1,0]
	s_waitcnt vmcnt(30)
	s_delay_alu instid0(VALU_DEP_1) | instskip(SKIP_1) | instid1(VALU_DEP_1)
	v_fma_mix_f32 v1, v6, v22, v1 op_sel_hi:[0,1,0]
	s_waitcnt vmcnt(29)
	v_fma_mix_f32 v1, v7, v23, v1 op_sel_hi:[0,1,0]
	s_waitcnt vmcnt(28)
	s_delay_alu instid0(VALU_DEP_1) | instskip(SKIP_1) | instid1(VALU_DEP_1)
	v_fma_mix_f32 v1, v8, v24, v1 op_sel_hi:[0,1,0]
	s_waitcnt vmcnt(27)
	v_fma_mix_f32 v5, v9, v25, v1 op_sel_hi:[0,1,0]
	ds_load_b128 v[1:4], v45 offset:160
	s_waitcnt vmcnt(26)
	v_fma_mix_f32 v5, v10, v26, v5 op_sel_hi:[0,1,0]
	s_waitcnt vmcnt(25)
	s_delay_alu instid0(VALU_DEP_1) | instskip(SKIP_1) | instid1(VALU_DEP_1)
	v_fma_mix_f32 v5, v11, v27, v5 op_sel_hi:[0,1,0]
	s_waitcnt vmcnt(24)
	v_fma_mix_f32 v9, v12, v28, v5 op_sel_hi:[0,1,0]
	ds_load_b128 v[5:8], v45 offset:176
	s_waitcnt vmcnt(23) lgkmcnt(1)
	v_fma_mix_f32 v1, v1, v29, v9 op_sel_hi:[0,1,0]
	s_waitcnt vmcnt(22)
	s_delay_alu instid0(VALU_DEP_1) | instskip(SKIP_1) | instid1(VALU_DEP_1)
	v_fma_mix_f32 v1, v2, v30, v1 op_sel_hi:[0,1,0]
	s_waitcnt vmcnt(21)
	v_fma_mix_f32 v1, v3, v31, v1 op_sel_hi:[0,1,0]
	s_waitcnt vmcnt(20)
	s_delay_alu instid0(VALU_DEP_1) | instskip(SKIP_1) | instid1(VALU_DEP_1)
	v_fma_mix_f32 v1, v4, v32, v1 op_sel_hi:[0,1,0]
	s_waitcnt vmcnt(19) lgkmcnt(0)
	v_fma_mix_f32 v5, v5, v33, v1 op_sel_hi:[0,1,0]
	ds_load_b128 v[1:4], v45 offset:192
	s_waitcnt vmcnt(18)
	v_fma_mix_f32 v5, v6, v34, v5 op_sel_hi:[0,1,0]
	s_waitcnt vmcnt(17)
	s_delay_alu instid0(VALU_DEP_1) | instskip(SKIP_1) | instid1(VALU_DEP_1)
	v_fma_mix_f32 v5, v7, v17, v5 op_sel_hi:[0,1,0]
	s_waitcnt vmcnt(16)
	v_fma_mix_f32 v9, v8, v18, v5 op_sel_hi:[0,1,0]
	ds_load_b128 v[5:8], v45 offset:208
	s_waitcnt vmcnt(15) lgkmcnt(1)
	v_fma_mix_f32 v1, v1, v19, v9 op_sel_hi:[0,1,0]
	s_waitcnt vmcnt(14)
	s_delay_alu instid0(VALU_DEP_1) | instskip(SKIP_1) | instid1(VALU_DEP_1)
	v_fma_mix_f32 v1, v2, v20, v1 op_sel_hi:[0,1,0]
	s_waitcnt vmcnt(13)
	v_fma_mix_f32 v1, v3, v35, v1 op_sel_hi:[0,1,0]
	s_waitcnt vmcnt(12)
	s_delay_alu instid0(VALU_DEP_1) | instskip(SKIP_1) | instid1(VALU_DEP_1)
	v_fma_mix_f32 v1, v4, v36, v1 op_sel_hi:[0,1,0]
	s_waitcnt vmcnt(11) lgkmcnt(0)
	;; [unrolled: 21-line block ×3, first 2 shown]
	v_fma_mix_f32 v1, v5, v41, v1 op_sel_hi:[0,1,0]
	s_waitcnt vmcnt(2)
	s_delay_alu instid0(VALU_DEP_1) | instskip(SKIP_1) | instid1(VALU_DEP_1)
	v_fma_mix_f32 v1, v6, v42, v1 op_sel_hi:[0,1,0]
	s_waitcnt vmcnt(1)
	v_fma_mix_f32 v1, v7, v43, v1 op_sel_hi:[0,1,0]
	s_waitcnt vmcnt(0)
	s_delay_alu instid0(VALU_DEP_1)
	v_fma_mix_f32 v4, v8, v44, v1 op_sel_hi:[0,1,0]
	v_mov_b32_e32 v1, 0
	s_and_not1_b32 vcc_lo, exec_lo, s15
	ds_load_b32 v1, v1 offset:256
	s_cbranch_vccz .LBB211_14
	s_branch .LBB211_15
	.section	.rodata,"a",@progbits
	.p2align	6, 0x0
	.amdhsa_kernel _Z35paged_attention_ll4mi_reduce_kernelIDF16_hLi128ELi128ELi256ELi2EEvPT0_PKfS3_PKT_PKiS8_iS3_
		.amdhsa_group_segment_fixed_size 260
		.amdhsa_private_segment_fixed_size 0
		.amdhsa_kernarg_size 320
		.amdhsa_user_sgpr_count 14
		.amdhsa_user_sgpr_dispatch_ptr 0
		.amdhsa_user_sgpr_queue_ptr 0
		.amdhsa_user_sgpr_kernarg_segment_ptr 1
		.amdhsa_user_sgpr_dispatch_id 0
		.amdhsa_user_sgpr_private_segment_size 0
		.amdhsa_wavefront_size32 1
		.amdhsa_uses_dynamic_stack 0
		.amdhsa_enable_private_segment 0
		.amdhsa_system_sgpr_workgroup_id_x 1
		.amdhsa_system_sgpr_workgroup_id_y 1
		.amdhsa_system_sgpr_workgroup_id_z 0
		.amdhsa_system_sgpr_workgroup_info 0
		.amdhsa_system_vgpr_workitem_id 0
		.amdhsa_next_free_vgpr 48
		.amdhsa_next_free_sgpr 52
		.amdhsa_reserve_vcc 1
		.amdhsa_float_round_mode_32 0
		.amdhsa_float_round_mode_16_64 0
		.amdhsa_float_denorm_mode_32 3
		.amdhsa_float_denorm_mode_16_64 3
		.amdhsa_dx10_clamp 1
		.amdhsa_ieee_mode 1
		.amdhsa_fp16_overflow 0
		.amdhsa_workgroup_processor_mode 1
		.amdhsa_memory_ordered 1
		.amdhsa_forward_progress 0
		.amdhsa_shared_vgpr_count 0
		.amdhsa_exception_fp_ieee_invalid_op 0
		.amdhsa_exception_fp_denorm_src 0
		.amdhsa_exception_fp_ieee_div_zero 0
		.amdhsa_exception_fp_ieee_overflow 0
		.amdhsa_exception_fp_ieee_underflow 0
		.amdhsa_exception_fp_ieee_inexact 0
		.amdhsa_exception_int_div_zero 0
	.end_amdhsa_kernel
	.section	.text._Z35paged_attention_ll4mi_reduce_kernelIDF16_hLi128ELi128ELi256ELi2EEvPT0_PKfS3_PKT_PKiS8_iS3_,"axG",@progbits,_Z35paged_attention_ll4mi_reduce_kernelIDF16_hLi128ELi128ELi256ELi2EEvPT0_PKfS3_PKT_PKiS8_iS3_,comdat
.Lfunc_end211:
	.size	_Z35paged_attention_ll4mi_reduce_kernelIDF16_hLi128ELi128ELi256ELi2EEvPT0_PKfS3_PKT_PKiS8_iS3_, .Lfunc_end211-_Z35paged_attention_ll4mi_reduce_kernelIDF16_hLi128ELi128ELi256ELi2EEvPT0_PKfS3_PKT_PKiS8_iS3_
                                        ; -- End function
	.section	.AMDGPU.csdata,"",@progbits
; Kernel info:
; codeLenInByte = 5344
; NumSgprs: 54
; NumVgprs: 48
; ScratchSize: 0
; MemoryBound: 0
; FloatMode: 240
; IeeeMode: 1
; LDSByteSize: 260 bytes/workgroup (compile time only)
; SGPRBlocks: 6
; VGPRBlocks: 5
; NumSGPRsForWavesPerEU: 54
; NumVGPRsForWavesPerEU: 48
; Occupancy: 16
; WaveLimiterHint : 0
; COMPUTE_PGM_RSRC2:SCRATCH_EN: 0
; COMPUTE_PGM_RSRC2:USER_SGPR: 14
; COMPUTE_PGM_RSRC2:TRAP_HANDLER: 0
; COMPUTE_PGM_RSRC2:TGID_X_EN: 1
; COMPUTE_PGM_RSRC2:TGID_Y_EN: 1
; COMPUTE_PGM_RSRC2:TGID_Z_EN: 0
; COMPUTE_PGM_RSRC2:TIDIG_COMP_CNT: 0
	.section	.text._Z35paged_attention_ll4mi_reduce_kernelIDF16_hLi128ELi128ELi256ELi3EEvPT0_PKfS3_PKT_PKiS8_iS3_,"axG",@progbits,_Z35paged_attention_ll4mi_reduce_kernelIDF16_hLi128ELi128ELi256ELi3EEvPT0_PKfS3_PKT_PKiS8_iS3_,comdat
	.protected	_Z35paged_attention_ll4mi_reduce_kernelIDF16_hLi128ELi128ELi256ELi3EEvPT0_PKfS3_PKT_PKiS8_iS3_ ; -- Begin function _Z35paged_attention_ll4mi_reduce_kernelIDF16_hLi128ELi128ELi256ELi3EEvPT0_PKfS3_PKT_PKiS8_iS3_
	.globl	_Z35paged_attention_ll4mi_reduce_kernelIDF16_hLi128ELi128ELi256ELi3EEvPT0_PKfS3_PKT_PKiS8_iS3_
	.p2align	8
	.type	_Z35paged_attention_ll4mi_reduce_kernelIDF16_hLi128ELi128ELi256ELi3EEvPT0_PKfS3_PKT_PKiS8_iS3_,@function
_Z35paged_attention_ll4mi_reduce_kernelIDF16_hLi128ELi128ELi256ELi3EEvPT0_PKfS3_PKT_PKiS8_iS3_: ; @_Z35paged_attention_ll4mi_reduce_kernelIDF16_hLi128ELi128ELi256ELi3EEvPT0_PKfS3_PKT_PKiS8_iS3_
; %bb.0:
	s_load_b64 s[12:13], s[0:1], 0x28
	s_mov_b32 s2, s15
	s_waitcnt lgkmcnt(0)
	s_cmp_lg_u64 s[12:13], 0
	s_cselect_b32 s15, -1, 0
	s_delay_alu instid0(SALU_CYCLE_1)
	s_and_b32 vcc_lo, exec_lo, s15
	s_cbranch_vccz .LBB212_17
; %bb.1:
	s_add_i32 s4, s2, 1
	s_mov_b32 s5, 0
	s_delay_alu instid0(SALU_CYCLE_1) | instskip(SKIP_4) | instid1(SALU_CYCLE_1)
	s_lshl_b64 s[6:7], s[4:5], 2
	s_mov_b32 s3, s5
	s_add_u32 s6, s12, s6
	s_addc_u32 s7, s13, s7
	s_lshl_b64 s[8:9], s[2:3], 2
	s_add_u32 s8, s12, s8
	s_addc_u32 s9, s13, s9
	s_clause 0x1
	s_load_b32 s4, s[6:7], 0x0
	s_load_b32 s6, s[8:9], 0x0
	s_waitcnt lgkmcnt(0)
	s_sub_i32 s4, s4, s6
	s_delay_alu instid0(SALU_CYCLE_1)
	s_cmp_eq_u32 s4, 1
	s_cselect_b32 s4, -1, 0
	s_cbranch_execnz .LBB212_3
.LBB212_2:
	s_mov_b32 s3, 0
	s_mov_b32 s4, -1
.LBB212_3:
	s_delay_alu instid0(SALU_CYCLE_1)
	s_and_not1_b32 vcc_lo, exec_lo, s4
	s_cbranch_vccz .LBB212_5
; %bb.4:
	s_endpgm
.LBB212_5:
	s_clause 0x1
	s_load_b128 s[4:7], s[0:1], 0x18
	s_load_b32 s9, s[0:1], 0x30
	s_lshl_b64 s[16:17], s[2:3], 2
	s_waitcnt lgkmcnt(0)
	s_add_u32 s6, s6, s16
	s_addc_u32 s7, s7, s17
	s_load_b32 s20, s[6:7], 0x0
	s_load_b32 s33, s[0:1], 0x40
	s_mul_i32 s7, s2, s9
	s_waitcnt lgkmcnt(0)
	s_add_i32 s48, s20, 0xff
	s_delay_alu instid0(SALU_CYCLE_1) | instskip(NEXT) | instid1(SALU_CYCLE_1)
	s_ashr_i32 s6, s48, 31
	s_lshr_b32 s6, s6, 24
	s_delay_alu instid0(SALU_CYCLE_1) | instskip(SKIP_4) | instid1(SALU_CYCLE_1)
	s_add_i32 s8, s48, s6
	s_mul_i32 s6, s14, s9
	s_mov_b32 s9, exec_lo
	v_cmpx_lt_u32_e32 31, v0
	s_xor_b32 s9, exec_lo, s9
	s_or_saveexec_b32 s22, s9
	v_mov_b32_e32 v1, s6
	s_ashr_i32 s21, s8, 8
	s_mul_i32 s18, s7, s33
	s_xor_b32 exec_lo, exec_lo, s22
	s_cbranch_execz .LBB212_9
; %bb.6:
	s_load_b128 s[8:11], s[0:1], 0x8
	v_or_b32_e32 v2, 32, v0
	v_cmp_gt_i32_e32 vcc_lo, s21, v0
	s_add_i32 s7, s21, -1
	v_or_b32_e32 v4, 64, v0
	s_mov_b32 s19, 0
	v_cndmask_b32_e32 v1, s7, v0, vcc_lo
	v_cmp_gt_i32_e32 vcc_lo, s21, v2
	s_lshl_b64 s[24:25], s[18:19], 2
	v_cndmask_b32_e32 v3, s7, v2, vcc_lo
	v_cmp_gt_i32_e32 vcc_lo, s21, v4
	v_ashrrev_i32_e32 v2, 31, v1
	v_cndmask_b32_e32 v5, s7, v4, vcc_lo
	s_delay_alu instid0(VALU_DEP_4) | instskip(SKIP_1) | instid1(VALU_DEP_3)
	v_ashrrev_i32_e32 v4, 31, v3
	s_mov_b32 s7, s19
	v_lshlrev_b64 v[1:2], 2, v[1:2]
	s_waitcnt lgkmcnt(0)
	s_add_u32 s19, s10, s24
	v_ashrrev_i32_e32 v6, 31, v5
	s_addc_u32 s23, s11, s25
	s_lshl_b64 s[10:11], s[6:7], 2
	v_lshlrev_b64 v[3:4], 2, v[3:4]
	s_add_u32 s7, s19, s10
	s_addc_u32 s19, s23, s11
	v_add_co_u32 v7, vcc_lo, s7, v1
	v_lshlrev_b64 v[5:6], 2, v[5:6]
	v_add_co_ci_u32_e32 v8, vcc_lo, s19, v2, vcc_lo
	v_add_co_u32 v9, vcc_lo, s7, v3
	v_add_co_ci_u32_e32 v10, vcc_lo, s19, v4, vcc_lo
	s_delay_alu instid0(VALU_DEP_4)
	v_add_co_u32 v11, vcc_lo, s7, v5
	v_add_co_ci_u32_e32 v12, vcc_lo, s19, v6, vcc_lo
	s_clause 0x2
	global_load_b32 v7, v[7:8], off
	global_load_b32 v8, v[9:10], off
	;; [unrolled: 1-line block ×3, first 2 shown]
	s_add_u32 s7, s8, s24
	s_addc_u32 s8, s9, s25
	s_add_u32 s7, s7, s10
	s_addc_u32 s8, s8, s11
	v_add_co_u32 v1, vcc_lo, s7, v1
	v_add_co_ci_u32_e32 v2, vcc_lo, s8, v2, vcc_lo
	v_add_co_u32 v3, vcc_lo, s7, v3
	v_add_co_ci_u32_e32 v4, vcc_lo, s8, v4, vcc_lo
	;; [unrolled: 2-line block ×3, first 2 shown]
	s_clause 0x2
	global_load_b32 v1, v[1:2], off
	global_load_b32 v2, v[3:4], off
	;; [unrolled: 1-line block ×3, first 2 shown]
	v_mbcnt_lo_u32_b32 v4, -1, 0
	s_mov_b32 s7, exec_lo
	s_delay_alu instid0(VALU_DEP_1)
	v_xor_b32_e32 v5, 16, v4
	v_xor_b32_e32 v11, 8, v4
	;; [unrolled: 1-line block ×5, first 2 shown]
	v_cmp_gt_i32_e32 vcc_lo, 32, v5
	v_cndmask_b32_e32 v5, v4, v5, vcc_lo
	v_cmp_gt_i32_e32 vcc_lo, 32, v11
	v_cndmask_b32_e32 v11, v4, v11, vcc_lo
	v_cmp_gt_i32_e32 vcc_lo, 32, v12
	s_delay_alu instid0(VALU_DEP_4) | instskip(NEXT) | instid1(VALU_DEP_3)
	v_lshlrev_b32_e32 v5, 2, v5
	v_dual_cndmask_b32 v12, v4, v12 :: v_dual_lshlrev_b32 v11, 2, v11
	v_cmp_gt_i32_e32 vcc_lo, 32, v13
	s_delay_alu instid0(VALU_DEP_2)
	v_lshlrev_b32_e32 v12, 2, v12
	s_waitcnt vmcnt(3)
	v_max3_f32 v6, v7, v8, v9
	ds_bpermute_b32 v10, v5, v6
	s_waitcnt lgkmcnt(0)
	v_max_f32_e32 v10, v10, v10
	s_delay_alu instid0(VALU_DEP_1) | instskip(SKIP_3) | instid1(VALU_DEP_1)
	v_max_f32_e32 v6, v6, v10
	ds_bpermute_b32 v10, v11, v6
	s_waitcnt lgkmcnt(0)
	v_max_f32_e32 v10, v10, v10
	v_max_f32_e32 v6, v6, v10
	ds_bpermute_b32 v10, v12, v6
	s_waitcnt lgkmcnt(0)
	v_dual_max_f32 v10, v10, v10 :: v_dual_cndmask_b32 v13, v4, v13
	v_cmp_gt_i32_e32 vcc_lo, 32, v14
	s_delay_alu instid0(VALU_DEP_2)
	v_dual_max_f32 v6, v6, v10 :: v_dual_lshlrev_b32 v13, 2, v13
	v_cndmask_b32_e32 v4, v4, v14, vcc_lo
	ds_bpermute_b32 v10, v13, v6
	v_lshlrev_b32_e32 v4, 2, v4
	s_waitcnt lgkmcnt(0)
	v_max_f32_e32 v10, v10, v10
	s_delay_alu instid0(VALU_DEP_1) | instskip(SKIP_3) | instid1(VALU_DEP_1)
	v_max_f32_e32 v6, v6, v10
	ds_bpermute_b32 v10, v4, v6
	s_waitcnt lgkmcnt(0)
	v_max_f32_e32 v10, v10, v10
	v_max_f32_e32 v6, v6, v10
	s_delay_alu instid0(VALU_DEP_1) | instskip(NEXT) | instid1(VALU_DEP_1)
	v_sub_f32_e32 v8, v8, v6
	v_mul_f32_e32 v10, 0x3fb8aa3b, v8
	s_delay_alu instid0(VALU_DEP_1) | instskip(SKIP_1) | instid1(VALU_DEP_2)
	v_fma_f32 v17, 0x3fb8aa3b, v8, -v10
	v_rndne_f32_e32 v18, v10
	v_fmac_f32_e32 v17, 0x32a5705f, v8
	v_sub_f32_e32 v7, v7, v6
	s_delay_alu instid0(VALU_DEP_1) | instskip(SKIP_1) | instid1(VALU_DEP_1)
	v_cmp_ngt_f32_e32 vcc_lo, 0xc2ce8ed0, v7
	v_dual_sub_f32 v6, v9, v6 :: v_dual_mul_f32 v9, 0x3fb8aa3b, v7
	v_fma_f32 v15, 0x3fb8aa3b, v7, -v9
	v_rndne_f32_e32 v16, v9
	s_delay_alu instid0(VALU_DEP_2) | instskip(NEXT) | instid1(VALU_DEP_2)
	v_fmac_f32_e32 v15, 0x32a5705f, v7
	v_sub_f32_e32 v9, v9, v16
	s_delay_alu instid0(VALU_DEP_1) | instskip(SKIP_2) | instid1(VALU_DEP_3)
	v_add_f32_e32 v9, v9, v15
	v_cvt_i32_f32_e32 v15, v16
	v_cvt_i32_f32_e32 v16, v18
	v_exp_f32_e32 v9, v9
	s_waitcnt_depctr 0xfff
	v_ldexp_f32 v9, v9, v15
	v_sub_nc_u32_e32 v15, s21, v0
	s_delay_alu instid0(VALU_DEP_2) | instskip(SKIP_2) | instid1(VALU_DEP_3)
	v_dual_cndmask_b32 v9, 0, v9 :: v_dual_mul_f32 v14, 0x3fb8aa3b, v6
	v_sub_f32_e32 v10, v10, v18
	v_cmp_ngt_f32_e32 vcc_lo, 0xc2ce8ed0, v8
	v_fma_f32 v19, 0x3fb8aa3b, v6, -v14
	v_rndne_f32_e32 v20, v14
	s_delay_alu instid0(VALU_DEP_2) | instskip(NEXT) | instid1(VALU_DEP_2)
	v_dual_add_f32 v10, v10, v17 :: v_dual_fmac_f32 v19, 0x32a5705f, v6
	v_sub_f32_e32 v14, v14, v20
	s_delay_alu instid0(VALU_DEP_2) | instskip(SKIP_1) | instid1(VALU_DEP_2)
	v_exp_f32_e32 v10, v10
	v_cvt_i32_f32_e32 v17, v20
	v_add_f32_e32 v14, v14, v19
	s_delay_alu instid0(VALU_DEP_1) | instskip(SKIP_2) | instid1(VALU_DEP_1)
	v_exp_f32_e32 v14, v14
	s_waitcnt_depctr 0xfff
	v_ldexp_f32 v10, v10, v16
	v_cndmask_b32_e32 v10, 0, v10, vcc_lo
	v_cmp_ngt_f32_e32 vcc_lo, 0xc2ce8ed0, v6
	v_ldexp_f32 v14, v14, v17
	s_delay_alu instid0(VALU_DEP_1)
	v_cndmask_b32_e32 v14, 0, v14, vcc_lo
	v_cmp_nlt_f32_e32 vcc_lo, 0x42b17218, v7
	v_cndmask_b32_e32 v7, 0x7f800000, v9, vcc_lo
	v_cmp_nlt_f32_e32 vcc_lo, 0x42b17218, v8
	;; [unrolled: 2-line block ×3, first 2 shown]
	v_cndmask_b32_e32 v6, 0x7f800000, v14, vcc_lo
	v_cmp_lt_i32_e32 vcc_lo, 0, v15
	v_cndmask_b32_e32 v7, 0, v7, vcc_lo
	v_cmp_lt_i32_e32 vcc_lo, 32, v15
	s_waitcnt vmcnt(2)
	s_delay_alu instid0(VALU_DEP_2) | instskip(SKIP_2) | instid1(VALU_DEP_2)
	v_dual_mul_f32 v7, v1, v7 :: v_dual_cndmask_b32 v8, 0, v8
	v_cmp_lt_i32_e32 vcc_lo, 64, v15
	s_waitcnt vmcnt(1)
	v_mul_f32_e32 v8, v2, v8
	s_delay_alu instid0(VALU_DEP_1) | instskip(SKIP_1) | instid1(VALU_DEP_1)
	v_dual_cndmask_b32 v6, 0, v6 :: v_dual_add_f32 v1, v7, v8
	s_waitcnt vmcnt(0)
	v_mul_f32_e32 v3, v3, v6
	s_delay_alu instid0(VALU_DEP_1)
	v_add_f32_e32 v1, v1, v3
	ds_bpermute_b32 v2, v5, v1
	s_waitcnt lgkmcnt(0)
	v_add_f32_e32 v1, v1, v2
	ds_bpermute_b32 v2, v11, v1
	s_waitcnt lgkmcnt(0)
	v_add_f32_e32 v1, v1, v2
	ds_bpermute_b32 v2, v12, v1
	s_waitcnt lgkmcnt(0)
	v_add_f32_e32 v1, v1, v2
	ds_bpermute_b32 v2, v13, v1
	s_waitcnt lgkmcnt(0)
	v_add_f32_e32 v1, v1, v2
	ds_bpermute_b32 v2, v4, v1
	v_lshlrev_b32_e32 v4, 2, v0
	ds_store_2addr_b32 v4, v7, v8 offset1:32
	ds_store_b32 v4, v3 offset:256
	v_cmpx_eq_u32_e32 0, v0
	s_cbranch_execz .LBB212_8
; %bb.7:
	s_waitcnt lgkmcnt(2)
	v_dual_add_f32 v1, v1, v2 :: v_dual_mov_b32 v2, 0
	ds_store_b32 v2, v1 offset:384
.LBB212_8:
	s_or_b32 exec_lo, exec_lo, s7
	v_mov_b32_e32 v1, s6
.LBB212_9:
	s_or_b32 exec_lo, exec_lo, s22
	s_lshl_b32 s6, s18, 7
	s_mov_b32 s7, 0
	s_waitcnt lgkmcnt(2)
	v_dual_mov_b32 v2, 0 :: v_dual_lshlrev_b32 v1, 7, v1
	s_lshl_b64 s[6:7], s[6:7], 1
	v_dual_mov_b32 v29, 0 :: v_dual_mov_b32 v30, 0
	s_add_u32 s34, s4, s6
	s_addc_u32 s35, s5, s7
	s_lshl_b32 s49, s21, 7
	v_lshlrev_b64 v[3:4], 1, v[1:2]
	s_addk_i32 s49, 0xff80
	s_cmpk_lt_i32 s48, 0x100
	v_lshlrev_b32_e32 v1, 1, v0
	s_cselect_b32 s4, s49, 0
	v_dual_mov_b32 v31, 0 :: v_dual_mov_b32 v32, 0
	s_ashr_i32 s5, s4, 31
	v_add_co_u32 v3, vcc_lo, s34, v3
	s_lshl_b64 s[4:5], s[4:5], 1
	s_cmpk_lt_i32 s48, 0x200
	v_add_co_ci_u32_e32 v4, vcc_lo, s35, v4, vcc_lo
	s_cselect_b32 s6, s49, 0x80
	v_add_co_u32 v1, vcc_lo, v3, v1
	s_ashr_i32 s7, s6, 31
	s_delay_alu instid0(VALU_DEP_2)
	v_add_co_ci_u32_e32 v3, vcc_lo, 0, v4, vcc_lo
	s_lshl_b64 s[6:7], s[6:7], 1
	s_cmpk_lt_i32 s48, 0x300
	v_add_co_u32 v4, vcc_lo, v1, s4
	s_cselect_b32 s8, s49, 0x100
	v_add_co_ci_u32_e32 v5, vcc_lo, s5, v3, vcc_lo
	s_ashr_i32 s9, s8, 31
	v_add_co_u32 v8, vcc_lo, v1, s6
	s_lshl_b64 s[8:9], s[8:9], 1
	s_cmpk_lt_i32 s48, 0x400
	v_add_co_ci_u32_e32 v9, vcc_lo, s7, v3, vcc_lo
	s_cselect_b32 s10, s49, 0x180
	v_add_co_u32 v10, vcc_lo, v1, s8
	s_ashr_i32 s11, s10, 31
	v_add_co_ci_u32_e32 v11, vcc_lo, s9, v3, vcc_lo
	s_lshl_b64 s[10:11], s[10:11], 1
	s_cmpk_lt_i32 s48, 0x500
	v_add_co_u32 v12, vcc_lo, v1, s10
	s_cselect_b32 s18, s49, 0x200
	v_add_co_ci_u32_e32 v13, vcc_lo, s11, v3, vcc_lo
	s_ashr_i32 s19, s18, 31
	v_dual_mov_b32 v33, 0 :: v_dual_mov_b32 v34, 0
	s_lshl_b64 s[18:19], s[18:19], 1
	s_cmpk_lt_i32 s48, 0x600
	v_add_co_u32 v14, vcc_lo, v1, s18
	s_cselect_b32 s22, s49, 0x280
	v_add_co_ci_u32_e32 v15, vcc_lo, s19, v3, vcc_lo
	s_ashr_i32 s23, s22, 31
	v_mov_b32_e32 v35, 0
	s_lshl_b64 s[22:23], s[22:23], 1
	s_cmpk_lt_i32 s48, 0x700
	v_add_co_u32 v16, vcc_lo, v1, s22
	s_cselect_b32 s24, s49, 0x300
	v_add_co_ci_u32_e32 v17, vcc_lo, s23, v3, vcc_lo
	s_ashr_i32 s25, s24, 31
	s_delay_alu instid0(SALU_CYCLE_1)
	s_lshl_b64 s[24:25], s[24:25], 1
	s_cmpk_lt_i32 s48, 0x800
	v_add_co_u32 v18, vcc_lo, v1, s24
	s_cselect_b32 s26, s49, 0x380
	v_add_co_ci_u32_e32 v19, vcc_lo, s25, v3, vcc_lo
	s_ashr_i32 s27, s26, 31
	s_delay_alu instid0(SALU_CYCLE_1)
	s_lshl_b64 s[26:27], s[26:27], 1
	s_cmpk_lt_i32 s48, 0x900
	v_add_co_u32 v20, vcc_lo, v1, s26
	s_cselect_b32 s28, s49, 0x400
	v_add_co_ci_u32_e32 v21, vcc_lo, s27, v3, vcc_lo
	s_ashr_i32 s29, s28, 31
	s_clause 0x7
	global_load_u16 v7, v[4:5], off
	global_load_u16 v8, v[8:9], off
	;; [unrolled: 1-line block ×8, first 2 shown]
	s_lshl_b64 s[28:29], s[28:29], 1
	s_cmpk_lt_i32 s48, 0xa00
	v_add_co_u32 v12, vcc_lo, v1, s28
	s_cselect_b32 s30, s49, 0x480
	v_add_co_ci_u32_e32 v13, vcc_lo, s29, v3, vcc_lo
	s_ashr_i32 s31, s30, 31
	s_delay_alu instid0(SALU_CYCLE_1)
	s_lshl_b64 s[30:31], s[30:31], 1
	s_cmpk_lt_i32 s48, 0xb00
	v_add_co_u32 v15, vcc_lo, v1, s30
	s_cselect_b32 s34, s49, 0x500
	v_add_co_ci_u32_e32 v16, vcc_lo, s31, v3, vcc_lo
	s_ashr_i32 s35, s34, 31
	s_delay_alu instid0(SALU_CYCLE_1)
	s_lshl_b64 s[4:5], s[34:35], 1
	s_cmpk_lt_i32 s48, 0xc00
	v_add_co_u32 v17, vcc_lo, v1, s4
	s_cselect_b32 s6, s49, 0x580
	v_add_co_ci_u32_e32 v18, vcc_lo, s5, v3, vcc_lo
	s_ashr_i32 s7, s6, 31
	s_delay_alu instid0(SALU_CYCLE_1)
	s_lshl_b64 s[6:7], s[6:7], 1
	s_cmpk_lt_i32 s48, 0xd00
	v_add_co_u32 v19, vcc_lo, v1, s6
	s_cselect_b32 s8, s49, 0x600
	v_add_co_ci_u32_e32 v20, vcc_lo, s7, v3, vcc_lo
	s_ashr_i32 s9, s8, 31
	s_delay_alu instid0(SALU_CYCLE_1)
	s_lshl_b64 s[8:9], s[8:9], 1
	s_cmpk_lt_i32 s48, 0xe00
	v_add_co_u32 v21, vcc_lo, v1, s8
	s_cselect_b32 s10, s49, 0x680
	v_add_co_ci_u32_e32 v22, vcc_lo, s9, v3, vcc_lo
	s_ashr_i32 s11, s10, 31
	s_delay_alu instid0(SALU_CYCLE_1)
	s_lshl_b64 s[10:11], s[10:11], 1
	s_cmpk_lt_i32 s48, 0xf00
	v_add_co_u32 v23, vcc_lo, v1, s10
	s_cselect_b32 s18, s49, 0x700
	v_add_co_ci_u32_e32 v24, vcc_lo, s11, v3, vcc_lo
	s_ashr_i32 s19, s18, 31
	s_delay_alu instid0(SALU_CYCLE_1)
	s_lshl_b64 s[4:5], s[18:19], 1
	s_cmpk_lt_i32 s48, 0x1000
	v_add_co_u32 v25, vcc_lo, v1, s4
	s_cselect_b32 s6, s49, 0x780
	v_add_co_ci_u32_e32 v26, vcc_lo, s5, v3, vcc_lo
	s_ashr_i32 s7, s6, 31
	s_delay_alu instid0(SALU_CYCLE_1)
	s_lshl_b64 s[4:5], s[6:7], 1
	s_cmpk_gt_i32 s20, 0x1000
	v_add_co_u32 v27, vcc_lo, v1, s4
	v_add_co_ci_u32_e32 v28, vcc_lo, s5, v3, vcc_lo
	s_clause 0x7
	global_load_u16 v14, v[12:13], off
	global_load_u16 v15, v[15:16], off
	;; [unrolled: 1-line block ×8, first 2 shown]
	v_dual_mov_b32 v20, 0 :: v_dual_mov_b32 v21, 0
	v_dual_mov_b32 v22, 0 :: v_dual_mov_b32 v23, 0
	;; [unrolled: 1-line block ×4, first 2 shown]
	v_mov_b32_e32 v28, 0
	s_cselect_b32 s8, -1, 0
	s_cmpk_lt_i32 s20, 0x1001
	s_waitcnt vmcnt(0) lgkmcnt(0)
	s_barrier
	buffer_gl0_inv
	s_cbranch_scc1 .LBB212_11
; %bb.10:
	s_cmpk_lt_i32 s48, 0x1100
	s_cselect_b32 s4, s49, 0x800
	s_delay_alu instid0(SALU_CYCLE_1) | instskip(NEXT) | instid1(SALU_CYCLE_1)
	s_ashr_i32 s5, s4, 31
	s_lshl_b64 s[4:5], s[4:5], 1
	s_cmpk_lt_i32 s48, 0x1200
	v_add_co_u32 v20, vcc_lo, v1, s4
	s_cselect_b32 s6, s49, 0x880
	v_add_co_ci_u32_e32 v21, vcc_lo, s5, v3, vcc_lo
	s_ashr_i32 s7, s6, 31
	s_delay_alu instid0(SALU_CYCLE_1)
	s_lshl_b64 s[6:7], s[6:7], 1
	s_cmpk_lt_i32 s48, 0x1300
	v_add_co_u32 v22, vcc_lo, v1, s6
	s_cselect_b32 s10, s49, 0x900
	v_add_co_ci_u32_e32 v23, vcc_lo, s7, v3, vcc_lo
	s_ashr_i32 s11, s10, 31
	s_delay_alu instid0(SALU_CYCLE_1)
	;; [unrolled: 7-line block ×7, first 2 shown]
	s_lshl_b64 s[26:27], s[26:27], 1
	s_cmpk_lt_i32 s48, 0x1900
	v_add_co_u32 v34, vcc_lo, v1, s26
	s_cselect_b32 s28, s49, 0xc00
	v_add_co_ci_u32_e32 v35, vcc_lo, s27, v3, vcc_lo
	s_ashr_i32 s29, s28, 31
	s_clause 0x7
	global_load_u16 v36, v[20:21], off
	global_load_u16 v37, v[22:23], off
	;; [unrolled: 1-line block ×8, first 2 shown]
	s_lshl_b64 s[28:29], s[28:29], 1
	s_cmpk_lt_i32 s48, 0x1a00
	v_add_co_u32 v20, vcc_lo, v1, s28
	s_cselect_b32 s30, s49, 0xc80
	v_add_co_ci_u32_e32 v21, vcc_lo, s29, v3, vcc_lo
	s_ashr_i32 s31, s30, 31
	s_delay_alu instid0(SALU_CYCLE_1)
	s_lshl_b64 s[30:31], s[30:31], 1
	s_cmpk_lt_i32 s48, 0x1b00
	v_add_co_u32 v22, vcc_lo, v1, s30
	s_cselect_b32 s34, s49, 0xd00
	v_add_co_ci_u32_e32 v23, vcc_lo, s31, v3, vcc_lo
	s_ashr_i32 s35, s34, 31
	s_delay_alu instid0(SALU_CYCLE_1)
	;; [unrolled: 7-line block ×6, first 2 shown]
	s_lshl_b64 s[4:5], s[20:21], 1
	s_cmpk_lt_i32 s48, 0x2000
	v_add_co_u32 v32, vcc_lo, v1, s4
	s_cselect_b32 s6, s49, 0xf80
	v_add_co_ci_u32_e32 v33, vcc_lo, s5, v3, vcc_lo
	s_ashr_i32 s7, s6, 31
	s_delay_alu instid0(SALU_CYCLE_1) | instskip(NEXT) | instid1(SALU_CYCLE_1)
	s_lshl_b64 s[4:5], s[6:7], 1
	v_add_co_u32 v34, vcc_lo, v1, s4
	v_add_co_ci_u32_e32 v35, vcc_lo, s5, v3, vcc_lo
	s_clause 0x7
	global_load_u16 v20, v[20:21], off
	global_load_u16 v21, v[22:23], off
	;; [unrolled: 1-line block ×8, first 2 shown]
	s_waitcnt vmcnt(15)
	v_cvt_f32_f16_e32 v35, v36
	s_waitcnt vmcnt(14)
	v_cvt_f32_f16_e32 v34, v37
	;; [unrolled: 2-line block ×16, first 2 shown]
.LBB212_11:
	ds_load_b128 v[36:39], v2
	ds_load_b128 v[40:43], v2 offset:16
	s_and_not1_b32 vcc_lo, exec_lo, s8
	s_waitcnt lgkmcnt(1)
	v_fma_mix_f32 v7, v36, v7, 0 op_sel_hi:[0,1,0]
	s_delay_alu instid0(VALU_DEP_1) | instskip(NEXT) | instid1(VALU_DEP_1)
	v_fma_mix_f32 v7, v37, v8, v7 op_sel_hi:[0,1,0]
	v_fma_mix_f32 v7, v38, v9, v7 op_sel_hi:[0,1,0]
	s_delay_alu instid0(VALU_DEP_1)
	v_fma_mix_f32 v7, v39, v10, v7 op_sel_hi:[0,1,0]
	ds_load_b128 v[36:39], v2 offset:48
	s_waitcnt lgkmcnt(1)
	v_fma_mix_f32 v11, v40, v11, v7 op_sel_hi:[0,1,0]
	ds_load_b128 v[7:10], v2 offset:32
	v_fma_mix_f32 v4, v41, v4, v11 op_sel_hi:[0,1,0]
	s_delay_alu instid0(VALU_DEP_1) | instskip(NEXT) | instid1(VALU_DEP_1)
	v_fma_mix_f32 v4, v42, v5, v4 op_sel_hi:[0,1,0]
	v_fma_mix_f32 v4, v43, v6, v4 op_sel_hi:[0,1,0]
	s_waitcnt lgkmcnt(0)
	s_delay_alu instid0(VALU_DEP_1) | instskip(NEXT) | instid1(VALU_DEP_1)
	v_fma_mix_f32 v4, v7, v14, v4 op_sel_hi:[0,1,0]
	v_fma_mix_f32 v4, v8, v15, v4 op_sel_hi:[0,1,0]
	s_delay_alu instid0(VALU_DEP_1) | instskip(NEXT) | instid1(VALU_DEP_1)
	v_fma_mix_f32 v4, v9, v16, v4 op_sel_hi:[0,1,0]
	v_fma_mix_f32 v4, v10, v17, v4 op_sel_hi:[0,1,0]
	;; [unrolled: 3-line block ×4, first 2 shown]
	s_cbranch_vccz .LBB212_18
; %bb.12:
	s_cmpk_lt_i32 s48, 0x2100
	s_cbranch_scc0 .LBB212_19
.LBB212_13:
	s_load_b64 s[0:1], s[0:1], 0x0
	s_cmpk_lt_i32 s48, 0x4100
	s_cbranch_scc0 .LBB212_20
.LBB212_14:
	v_mov_b32_e32 v1, 0
	s_and_not1_b32 vcc_lo, exec_lo, s15
	ds_load_b32 v1, v1 offset:384
	s_cbranch_vccnz .LBB212_16
.LBB212_15:
	s_add_u32 s2, s12, s16
	s_addc_u32 s3, s13, s17
	s_load_b32 s2, s[2:3], 0x0
	s_mov_b32 s3, 0
.LBB212_16:
	s_waitcnt lgkmcnt(0)
	v_add_f32_e32 v1, 0x358637bd, v1
	s_mul_i32 s3, s33, s3
	s_mul_hi_u32 s4, s33, s2
	s_mul_i32 s2, s33, s2
	s_add_i32 s3, s4, s3
	v_div_scale_f32 v2, null, v1, v1, 1.0
	v_div_scale_f32 v6, vcc_lo, 1.0, v1, 1.0
	s_lshl_b64 s[2:3], s[2:3], 7
	s_delay_alu instid0(VALU_DEP_2) | instskip(SKIP_4) | instid1(SALU_CYCLE_1)
	v_rcp_f32_e32 v3, v2
	s_mov_b32 s15, 0
	s_add_u32 s2, s0, s2
	s_addc_u32 s3, s1, s3
	s_lshl_b64 s[0:1], s[14:15], 7
	s_add_u32 s0, s2, s0
	s_addc_u32 s1, s3, s1
	v_add_co_u32 v0, s0, s0, v0
	s_waitcnt_depctr 0xfff
	v_fma_f32 v5, -v2, v3, 1.0
	s_delay_alu instid0(VALU_DEP_1) | instskip(NEXT) | instid1(VALU_DEP_1)
	v_fmac_f32_e32 v3, v5, v3
	v_mul_f32_e32 v5, v6, v3
	s_delay_alu instid0(VALU_DEP_1) | instskip(NEXT) | instid1(VALU_DEP_1)
	v_fma_f32 v7, -v2, v5, v6
	v_fmac_f32_e32 v5, v7, v3
	s_delay_alu instid0(VALU_DEP_1) | instskip(NEXT) | instid1(VALU_DEP_1)
	v_fma_f32 v2, -v2, v5, v6
	v_div_fmas_f32 v2, v2, v3, v5
	s_delay_alu instid0(VALU_DEP_1) | instskip(NEXT) | instid1(VALU_DEP_1)
	v_div_fixup_f32 v1, v2, v1, 1.0
	v_fma_mixlo_f16 v1, v4, v1, 0
	s_delay_alu instid0(VALU_DEP_1)
	v_cvt_i16_f16_e32 v2, v1
	v_add_co_ci_u32_e64 v1, null, s1, 0, s0
	global_store_b8 v[0:1], v2, off
	s_nop 0
	s_sendmsg sendmsg(MSG_DEALLOC_VGPRS)
	s_endpgm
.LBB212_17:
	s_mov_b32 s4, 0
	s_branch .LBB212_2
.LBB212_18:
	ds_load_b128 v[5:8], v2 offset:64
	ds_load_b128 v[9:12], v2 offset:80
	s_waitcnt lgkmcnt(1)
	v_fmac_f32_e32 v4, v5, v35
	s_delay_alu instid0(VALU_DEP_1) | instskip(NEXT) | instid1(VALU_DEP_1)
	v_fmac_f32_e32 v4, v6, v34
	v_fmac_f32_e32 v4, v7, v33
	s_delay_alu instid0(VALU_DEP_1) | instskip(SKIP_3) | instid1(VALU_DEP_1)
	v_fmac_f32_e32 v4, v8, v32
	ds_load_b128 v[5:8], v2 offset:96
	s_waitcnt lgkmcnt(1)
	v_fmac_f32_e32 v4, v9, v31
	v_fmac_f32_e32 v4, v10, v30
	s_delay_alu instid0(VALU_DEP_1) | instskip(NEXT) | instid1(VALU_DEP_1)
	v_fmac_f32_e32 v4, v11, v29
	v_fmac_f32_e32 v4, v12, v28
	ds_load_b128 v[9:12], v2 offset:112
	s_waitcnt lgkmcnt(1)
	v_fmac_f32_e32 v4, v5, v27
	s_delay_alu instid0(VALU_DEP_1) | instskip(NEXT) | instid1(VALU_DEP_1)
	v_fmac_f32_e32 v4, v6, v26
	v_fmac_f32_e32 v4, v7, v25
	s_delay_alu instid0(VALU_DEP_1) | instskip(SKIP_1) | instid1(VALU_DEP_1)
	v_fmac_f32_e32 v4, v8, v24
	s_waitcnt lgkmcnt(0)
	v_fmac_f32_e32 v4, v9, v23
	s_delay_alu instid0(VALU_DEP_1) | instskip(NEXT) | instid1(VALU_DEP_1)
	v_fmac_f32_e32 v4, v10, v22
	v_fmac_f32_e32 v4, v11, v21
	s_delay_alu instid0(VALU_DEP_1)
	v_fmac_f32_e32 v4, v12, v20
	s_cmpk_lt_i32 s48, 0x2100
	s_cbranch_scc1 .LBB212_13
.LBB212_19:
	s_cmpk_lt_u32 s48, 0x2200
	v_add_co_u32 v5, vcc_lo, 0x2000, v1
	s_cselect_b32 s4, s49, 0x1080
	v_add_co_ci_u32_e32 v6, vcc_lo, 0, v3, vcc_lo
	s_ashr_i32 s5, s4, 31
	v_mov_b32_e32 v44, 0
	s_lshl_b64 s[4:5], s[4:5], 1
	s_cmpk_lt_u32 s48, 0x2300
	v_add_co_u32 v7, vcc_lo, v1, s4
	s_cselect_b32 s6, s49, 0x1100
	v_add_co_ci_u32_e32 v8, vcc_lo, s5, v3, vcc_lo
	s_ashr_i32 s7, s6, 31
	s_delay_alu instid0(SALU_CYCLE_1)
	s_lshl_b64 s[6:7], s[6:7], 1
	s_cmpk_lt_u32 s48, 0x2400
	v_add_co_u32 v9, vcc_lo, v1, s6
	s_cselect_b32 s8, s49, 0x1180
	v_add_co_ci_u32_e32 v10, vcc_lo, s7, v3, vcc_lo
	s_ashr_i32 s9, s8, 31
	s_delay_alu instid0(SALU_CYCLE_1)
	;; [unrolled: 7-line block ×6, first 2 shown]
	s_lshl_b64 s[26:27], s[18:19], 1
	s_cmpk_lt_u32 s48, 0x2900
	v_add_co_u32 v19, vcc_lo, v1, s26
	s_cselect_b32 s18, s49, 0x1400
	v_add_co_ci_u32_e32 v20, vcc_lo, s27, v3, vcc_lo
	s_ashr_i32 s19, s18, 31
	s_clause 0x7
	global_load_u16 v2, v[5:6], off
	global_load_u16 v21, v[7:8], off
	;; [unrolled: 1-line block ×8, first 2 shown]
	s_lshl_b64 s[18:19], s[18:19], 1
	s_cmpk_lt_u32 s48, 0x2a00
	v_add_co_u32 v5, vcc_lo, v1, s18
	s_cselect_b32 s24, s49, 0x1480
	v_add_co_ci_u32_e32 v6, vcc_lo, s19, v3, vcc_lo
	s_ashr_i32 s25, s24, 31
	s_delay_alu instid0(SALU_CYCLE_1)
	s_lshl_b64 s[24:25], s[24:25], 1
	s_cmpk_lt_u32 s48, 0x2b00
	v_add_co_u32 v7, vcc_lo, v1, s24
	s_cselect_b32 s28, s49, 0x1500
	v_add_co_ci_u32_e32 v8, vcc_lo, s25, v3, vcc_lo
	s_ashr_i32 s29, s28, 31
	s_delay_alu instid0(SALU_CYCLE_1)
	;; [unrolled: 7-line block ×7, first 2 shown]
	s_lshl_b64 s[44:45], s[36:37], 1
	s_cmpk_lt_u32 s48, 0x3100
	v_add_co_u32 v19, vcc_lo, v1, s44
	s_cselect_b32 s36, s49, 0x1800
	v_add_co_ci_u32_e32 v20, vcc_lo, s45, v3, vcc_lo
	s_ashr_i32 s37, s36, 31
	s_clause 0x7
	global_load_u16 v28, v[5:6], off
	global_load_u16 v29, v[7:8], off
	;; [unrolled: 1-line block ×8, first 2 shown]
	s_lshl_b64 s[36:37], s[36:37], 1
	s_cmpk_lt_u32 s48, 0x3200
	v_add_co_u32 v5, vcc_lo, v1, s36
	s_cselect_b32 s42, s49, 0x1880
	v_add_co_ci_u32_e32 v6, vcc_lo, s37, v3, vcc_lo
	s_ashr_i32 s43, s42, 31
	s_delay_alu instid0(SALU_CYCLE_1)
	s_lshl_b64 s[42:43], s[42:43], 1
	s_cmpk_lt_u32 s48, 0x3300
	v_add_co_u32 v7, vcc_lo, v1, s42
	s_cselect_b32 s46, s49, 0x1900
	v_add_co_ci_u32_e32 v8, vcc_lo, s43, v3, vcc_lo
	s_ashr_i32 s47, s46, 31
	s_delay_alu instid0(SALU_CYCLE_1)
	;; [unrolled: 7-line block ×5, first 2 shown]
	s_lshl_b64 s[8:9], s[8:9], 1
	s_cmpk_lt_u32 s48, 0x3700
	v_add_co_u32 v15, vcc_lo, v1, s8
	s_cselect_b32 s10, s49, 0x1b00
	v_add_co_ci_u32_e32 v16, vcc_lo, s9, v3, vcc_lo
	s_ashr_i32 s11, s10, 31
	s_clause 0x5
	global_load_u16 v19, v[5:6], off
	global_load_u16 v20, v[7:8], off
	;; [unrolled: 1-line block ×6, first 2 shown]
	s_lshl_b64 s[10:11], s[10:11], 1
	s_cmpk_lt_u32 s48, 0x3800
	v_add_co_u32 v5, vcc_lo, v1, s10
	s_cselect_b32 s18, s49, 0x1b80
	v_add_co_ci_u32_e32 v6, vcc_lo, s11, v3, vcc_lo
	s_ashr_i32 s19, s18, 31
	s_delay_alu instid0(SALU_CYCLE_1)
	s_lshl_b64 s[18:19], s[18:19], 1
	s_cmpk_lt_u32 s48, 0x3900
	v_add_co_u32 v7, vcc_lo, v1, s18
	s_cselect_b32 s20, s49, 0x1c00
	v_add_co_ci_u32_e32 v8, vcc_lo, s19, v3, vcc_lo
	s_ashr_i32 s21, s20, 31
	global_load_u16 v16, v[5:6], off
	s_lshl_b64 s[20:21], s[20:21], 1
	global_load_u16 v37, v[7:8], off
	s_cmpk_lt_u32 s48, 0x3a00
	v_add_co_u32 v9, vcc_lo, v1, s20
	s_cselect_b32 s22, s49, 0x1c80
	v_add_co_ci_u32_e32 v10, vcc_lo, s21, v3, vcc_lo
	s_ashr_i32 s23, s22, 31
	s_delay_alu instid0(SALU_CYCLE_1)
	s_lshl_b64 s[22:23], s[22:23], 1
	s_cmpk_lt_u32 s48, 0x3b00
	v_add_co_u32 v11, vcc_lo, v1, s22
	s_cselect_b32 s4, s49, 0x1d00
	v_add_co_ci_u32_e32 v12, vcc_lo, s23, v3, vcc_lo
	s_ashr_i32 s5, s4, 31
	s_delay_alu instid0(SALU_CYCLE_1)
	s_lshl_b64 s[4:5], s[4:5], 1
	s_cmpk_lt_u32 s48, 0x3c00
	v_add_co_u32 v13, vcc_lo, v1, s4
	s_cselect_b32 s6, s49, 0x1d80
	v_add_co_ci_u32_e32 v14, vcc_lo, s5, v3, vcc_lo
	s_ashr_i32 s7, s6, 31
	s_clause 0x2
	global_load_u16 v38, v[9:10], off
	global_load_u16 v39, v[11:12], off
	;; [unrolled: 1-line block ×3, first 2 shown]
	s_lshl_b64 s[6:7], s[6:7], 1
	s_cmpk_lt_u32 s48, 0x3d00
	v_add_co_u32 v5, vcc_lo, v1, s6
	s_cselect_b32 s8, s49, 0x1e00
	v_add_co_ci_u32_e32 v6, vcc_lo, s7, v3, vcc_lo
	s_ashr_i32 s9, s8, 31
	s_delay_alu instid0(SALU_CYCLE_1)
	s_lshl_b64 s[4:5], s[8:9], 1
	s_cmpk_lt_u32 s48, 0x3e00
	v_add_co_u32 v7, vcc_lo, v1, s4
	s_cselect_b32 s8, s49, 0x1e80
	v_add_co_ci_u32_e32 v8, vcc_lo, s5, v3, vcc_lo
	s_ashr_i32 s9, s8, 31
	global_load_u16 v14, v[5:6], off
	s_lshl_b64 s[8:9], s[8:9], 1
	s_cmpk_lt_u32 s48, 0x3f00
	v_add_co_u32 v9, vcc_lo, v1, s8
	s_cselect_b32 s6, s49, 0x1f00
	v_add_co_ci_u32_e32 v10, vcc_lo, s9, v3, vcc_lo
	s_ashr_i32 s7, s6, 31
	s_clause 0x1
	global_load_u16 v40, v[7:8], off
	global_load_u16 v41, v[9:10], off
	s_lshl_b64 s[4:5], s[6:7], 1
	s_cmpk_lt_u32 s48, 0x4000
	v_add_co_u32 v5, vcc_lo, v1, s4
	s_cselect_b32 s6, s49, 0x1f80
	v_add_co_ci_u32_e32 v6, vcc_lo, s5, v3, vcc_lo
	s_ashr_i32 s7, s6, 31
	s_delay_alu instid0(SALU_CYCLE_1) | instskip(NEXT) | instid1(SALU_CYCLE_1)
	s_lshl_b64 s[4:5], s[6:7], 1
	v_add_co_u32 v7, vcc_lo, v1, s4
	v_add_co_ci_u32_e32 v8, vcc_lo, s5, v3, vcc_lo
	s_clause 0x1
	global_load_u16 v42, v[5:6], off
	global_load_u16 v43, v[7:8], off
	ds_load_b128 v[5:8], v44 offset:128
	ds_load_b128 v[9:12], v44 offset:144
	s_waitcnt vmcnt(31) lgkmcnt(1)
	v_fma_mix_f32 v2, v5, v2, v4 op_sel_hi:[0,1,0]
	s_waitcnt vmcnt(30)
	s_delay_alu instid0(VALU_DEP_1) | instskip(SKIP_1) | instid1(VALU_DEP_1)
	v_fma_mix_f32 v2, v6, v21, v2 op_sel_hi:[0,1,0]
	s_waitcnt vmcnt(29)
	v_fma_mix_f32 v2, v7, v22, v2 op_sel_hi:[0,1,0]
	ds_load_b128 v[4:7], v44 offset:160
	s_waitcnt vmcnt(28)
	v_fma_mix_f32 v2, v8, v23, v2 op_sel_hi:[0,1,0]
	s_waitcnt vmcnt(27) lgkmcnt(1)
	s_delay_alu instid0(VALU_DEP_1) | instskip(SKIP_1) | instid1(VALU_DEP_1)
	v_fma_mix_f32 v2, v9, v24, v2 op_sel_hi:[0,1,0]
	s_waitcnt vmcnt(26)
	v_fma_mix_f32 v2, v10, v25, v2 op_sel_hi:[0,1,0]
	s_waitcnt vmcnt(25)
	s_delay_alu instid0(VALU_DEP_1) | instskip(SKIP_4) | instid1(VALU_DEP_1)
	v_fma_mix_f32 v2, v11, v26, v2 op_sel_hi:[0,1,0]
	ds_load_b128 v[8:11], v44 offset:176
	s_waitcnt vmcnt(24)
	v_fma_mix_f32 v2, v12, v27, v2 op_sel_hi:[0,1,0]
	s_waitcnt vmcnt(23) lgkmcnt(1)
	v_fma_mix_f32 v2, v4, v28, v2 op_sel_hi:[0,1,0]
	s_waitcnt vmcnt(22)
	s_delay_alu instid0(VALU_DEP_1) | instskip(SKIP_1) | instid1(VALU_DEP_1)
	v_fma_mix_f32 v2, v5, v29, v2 op_sel_hi:[0,1,0]
	s_waitcnt vmcnt(21)
	v_fma_mix_f32 v2, v6, v30, v2 op_sel_hi:[0,1,0]
	s_waitcnt vmcnt(20)
	s_delay_alu instid0(VALU_DEP_1) | instskip(SKIP_4) | instid1(VALU_DEP_1)
	v_fma_mix_f32 v2, v7, v31, v2 op_sel_hi:[0,1,0]
	ds_load_b128 v[4:7], v44 offset:192
	s_waitcnt vmcnt(19) lgkmcnt(1)
	v_fma_mix_f32 v2, v8, v32, v2 op_sel_hi:[0,1,0]
	s_waitcnt vmcnt(18)
	v_fma_mix_f32 v2, v9, v33, v2 op_sel_hi:[0,1,0]
	s_waitcnt vmcnt(17)
	s_delay_alu instid0(VALU_DEP_1) | instskip(SKIP_1) | instid1(VALU_DEP_1)
	v_fma_mix_f32 v2, v10, v17, v2 op_sel_hi:[0,1,0]
	s_waitcnt vmcnt(16)
	v_fma_mix_f32 v2, v11, v18, v2 op_sel_hi:[0,1,0]
	ds_load_b128 v[8:11], v44 offset:208
	s_waitcnt vmcnt(15) lgkmcnt(1)
	v_fma_mix_f32 v2, v4, v19, v2 op_sel_hi:[0,1,0]
	s_waitcnt vmcnt(14)
	s_delay_alu instid0(VALU_DEP_1) | instskip(SKIP_1) | instid1(VALU_DEP_1)
	v_fma_mix_f32 v2, v5, v20, v2 op_sel_hi:[0,1,0]
	s_waitcnt vmcnt(13)
	v_fma_mix_f32 v2, v6, v34, v2 op_sel_hi:[0,1,0]
	s_waitcnt vmcnt(12)
	s_delay_alu instid0(VALU_DEP_1) | instskip(SKIP_4) | instid1(VALU_DEP_1)
	v_fma_mix_f32 v2, v7, v35, v2 op_sel_hi:[0,1,0]
	ds_load_b128 v[4:7], v44 offset:224
	s_waitcnt vmcnt(11) lgkmcnt(1)
	v_fma_mix_f32 v2, v8, v36, v2 op_sel_hi:[0,1,0]
	s_waitcnt vmcnt(10)
	v_fma_mix_f32 v2, v9, v15, v2 op_sel_hi:[0,1,0]
	s_waitcnt vmcnt(9)
	s_delay_alu instid0(VALU_DEP_1) | instskip(SKIP_1) | instid1(VALU_DEP_1)
	v_fma_mix_f32 v2, v10, v16, v2 op_sel_hi:[0,1,0]
	s_waitcnt vmcnt(8)
	v_fma_mix_f32 v2, v11, v37, v2 op_sel_hi:[0,1,0]
	ds_load_b128 v[8:11], v44 offset:240
	s_waitcnt vmcnt(7) lgkmcnt(1)
	v_fma_mix_f32 v2, v4, v38, v2 op_sel_hi:[0,1,0]
	s_waitcnt vmcnt(6)
	s_delay_alu instid0(VALU_DEP_1) | instskip(SKIP_1) | instid1(VALU_DEP_1)
	v_fma_mix_f32 v2, v5, v39, v2 op_sel_hi:[0,1,0]
	s_waitcnt vmcnt(5)
	v_fma_mix_f32 v2, v6, v13, v2 op_sel_hi:[0,1,0]
	s_waitcnt vmcnt(4)
	s_delay_alu instid0(VALU_DEP_1) | instskip(SKIP_1) | instid1(VALU_DEP_1)
	v_fma_mix_f32 v2, v7, v14, v2 op_sel_hi:[0,1,0]
	s_waitcnt vmcnt(3) lgkmcnt(0)
	v_fma_mix_f32 v2, v8, v40, v2 op_sel_hi:[0,1,0]
	s_waitcnt vmcnt(2)
	s_delay_alu instid0(VALU_DEP_1) | instskip(SKIP_1) | instid1(VALU_DEP_1)
	v_fma_mix_f32 v2, v9, v41, v2 op_sel_hi:[0,1,0]
	s_waitcnt vmcnt(1)
	v_fma_mix_f32 v2, v10, v42, v2 op_sel_hi:[0,1,0]
	s_waitcnt vmcnt(0)
	s_delay_alu instid0(VALU_DEP_1)
	v_fma_mix_f32 v4, v11, v43, v2 op_sel_hi:[0,1,0]
	s_load_b64 s[0:1], s[0:1], 0x0
	s_cmpk_lt_i32 s48, 0x4100
	s_cbranch_scc1 .LBB212_14
.LBB212_20:
	s_cmpk_lt_u32 s48, 0x4200
	v_add_co_u32 v5, vcc_lo, 0x4000, v1
	s_cselect_b32 s4, s49, 0x2080
	v_add_co_ci_u32_e32 v6, vcc_lo, 0, v3, vcc_lo
	s_ashr_i32 s5, s4, 31
	v_mov_b32_e32 v45, 0
	s_lshl_b64 s[4:5], s[4:5], 1
	s_cmpk_lt_u32 s48, 0x4300
	v_add_co_u32 v7, vcc_lo, v1, s4
	s_cselect_b32 s6, s49, 0x2100
	v_add_co_ci_u32_e32 v8, vcc_lo, s5, v3, vcc_lo
	s_ashr_i32 s7, s6, 31
	s_delay_alu instid0(SALU_CYCLE_1)
	s_lshl_b64 s[6:7], s[6:7], 1
	s_cmpk_lt_u32 s48, 0x4400
	v_add_co_u32 v9, vcc_lo, v1, s6
	s_cselect_b32 s8, s49, 0x2180
	v_add_co_ci_u32_e32 v10, vcc_lo, s7, v3, vcc_lo
	s_ashr_i32 s9, s8, 31
	s_delay_alu instid0(SALU_CYCLE_1)
	;; [unrolled: 7-line block ×6, first 2 shown]
	s_lshl_b64 s[26:27], s[18:19], 1
	s_cmpk_lt_u32 s48, 0x4900
	v_add_co_u32 v19, vcc_lo, v1, s26
	s_cselect_b32 s18, s49, 0x2400
	v_add_co_ci_u32_e32 v20, vcc_lo, s27, v3, vcc_lo
	s_ashr_i32 s19, s18, 31
	s_clause 0x7
	global_load_u16 v21, v[5:6], off
	global_load_u16 v22, v[7:8], off
	;; [unrolled: 1-line block ×8, first 2 shown]
	s_lshl_b64 s[18:19], s[18:19], 1
	s_cmpk_lt_u32 s48, 0x4a00
	v_add_co_u32 v5, vcc_lo, v1, s18
	s_cselect_b32 s24, s49, 0x2480
	v_add_co_ci_u32_e32 v6, vcc_lo, s19, v3, vcc_lo
	s_ashr_i32 s25, s24, 31
	s_delay_alu instid0(SALU_CYCLE_1)
	s_lshl_b64 s[24:25], s[24:25], 1
	s_cmpk_lt_u32 s48, 0x4b00
	v_add_co_u32 v7, vcc_lo, v1, s24
	s_cselect_b32 s28, s49, 0x2500
	v_add_co_ci_u32_e32 v8, vcc_lo, s25, v3, vcc_lo
	s_ashr_i32 s29, s28, 31
	s_delay_alu instid0(SALU_CYCLE_1)
	;; [unrolled: 7-line block ×7, first 2 shown]
	s_lshl_b64 s[44:45], s[36:37], 1
	s_cmpk_lt_u32 s48, 0x5100
	v_add_co_u32 v19, vcc_lo, v1, s44
	s_cselect_b32 s36, s49, 0x2800
	v_add_co_ci_u32_e32 v20, vcc_lo, s45, v3, vcc_lo
	s_ashr_i32 s37, s36, 31
	s_clause 0x7
	global_load_u16 v29, v[5:6], off
	global_load_u16 v30, v[7:8], off
	;; [unrolled: 1-line block ×8, first 2 shown]
	s_lshl_b64 s[36:37], s[36:37], 1
	s_cmpk_lt_u32 s48, 0x5200
	v_add_co_u32 v5, vcc_lo, v1, s36
	s_cselect_b32 s42, s49, 0x2880
	v_add_co_ci_u32_e32 v6, vcc_lo, s37, v3, vcc_lo
	s_ashr_i32 s43, s42, 31
	s_delay_alu instid0(SALU_CYCLE_1)
	s_lshl_b64 s[42:43], s[42:43], 1
	s_cmpk_lt_u32 s48, 0x5300
	v_add_co_u32 v7, vcc_lo, v1, s42
	s_cselect_b32 s46, s49, 0x2900
	v_add_co_ci_u32_e32 v8, vcc_lo, s43, v3, vcc_lo
	s_ashr_i32 s47, s46, 31
	s_delay_alu instid0(SALU_CYCLE_1)
	;; [unrolled: 7-line block ×5, first 2 shown]
	s_lshl_b64 s[8:9], s[8:9], 1
	s_cmpk_lt_u32 s48, 0x5700
	v_add_co_u32 v15, vcc_lo, v1, s8
	s_cselect_b32 s10, s49, 0x2b00
	v_add_co_ci_u32_e32 v16, vcc_lo, s9, v3, vcc_lo
	s_ashr_i32 s11, s10, 31
	s_clause 0x5
	global_load_u16 v19, v[5:6], off
	global_load_u16 v20, v[7:8], off
	;; [unrolled: 1-line block ×6, first 2 shown]
	s_lshl_b64 s[10:11], s[10:11], 1
	s_cmpk_lt_u32 s48, 0x5800
	v_add_co_u32 v5, vcc_lo, v1, s10
	s_cselect_b32 s18, s49, 0x2b80
	v_add_co_ci_u32_e32 v6, vcc_lo, s11, v3, vcc_lo
	s_ashr_i32 s19, s18, 31
	s_delay_alu instid0(SALU_CYCLE_1)
	s_lshl_b64 s[18:19], s[18:19], 1
	s_cmpk_lt_u32 s48, 0x5900
	v_add_co_u32 v7, vcc_lo, v1, s18
	s_cselect_b32 s20, s49, 0x2c00
	v_add_co_ci_u32_e32 v8, vcc_lo, s19, v3, vcc_lo
	s_ashr_i32 s21, s20, 31
	global_load_u16 v16, v[5:6], off
	s_lshl_b64 s[20:21], s[20:21], 1
	global_load_u16 v38, v[7:8], off
	s_cmpk_lt_u32 s48, 0x5a00
	v_add_co_u32 v9, vcc_lo, v1, s20
	s_cselect_b32 s22, s49, 0x2c80
	v_add_co_ci_u32_e32 v10, vcc_lo, s21, v3, vcc_lo
	s_ashr_i32 s23, s22, 31
	s_delay_alu instid0(SALU_CYCLE_1)
	s_lshl_b64 s[22:23], s[22:23], 1
	s_cmpk_lt_u32 s48, 0x5b00
	v_add_co_u32 v11, vcc_lo, v1, s22
	s_cselect_b32 s4, s49, 0x2d00
	v_add_co_ci_u32_e32 v12, vcc_lo, s23, v3, vcc_lo
	s_ashr_i32 s5, s4, 31
	s_delay_alu instid0(SALU_CYCLE_1)
	s_lshl_b64 s[4:5], s[4:5], 1
	s_cmpk_lt_u32 s48, 0x5c00
	v_add_co_u32 v13, vcc_lo, v1, s4
	s_cselect_b32 s6, s49, 0x2d80
	v_add_co_ci_u32_e32 v14, vcc_lo, s5, v3, vcc_lo
	s_ashr_i32 s7, s6, 31
	s_clause 0x2
	global_load_u16 v39, v[9:10], off
	global_load_u16 v40, v[11:12], off
	;; [unrolled: 1-line block ×3, first 2 shown]
	s_lshl_b64 s[6:7], s[6:7], 1
	s_cmpk_lt_u32 s48, 0x5d00
	v_add_co_u32 v5, vcc_lo, v1, s6
	s_cselect_b32 s8, s49, 0x2e00
	v_add_co_ci_u32_e32 v6, vcc_lo, s7, v3, vcc_lo
	s_ashr_i32 s9, s8, 31
	s_delay_alu instid0(SALU_CYCLE_1)
	s_lshl_b64 s[4:5], s[8:9], 1
	s_cmpk_lt_u32 s48, 0x5e00
	v_add_co_u32 v7, vcc_lo, v1, s4
	s_cselect_b32 s8, s49, 0x2e80
	v_add_co_ci_u32_e32 v8, vcc_lo, s5, v3, vcc_lo
	s_ashr_i32 s9, s8, 31
	global_load_u16 v14, v[5:6], off
	s_lshl_b64 s[8:9], s[8:9], 1
	s_cmpk_lt_u32 s48, 0x5f00
	v_add_co_u32 v9, vcc_lo, v1, s8
	s_cselect_b32 s6, s49, 0x2f00
	v_add_co_ci_u32_e32 v10, vcc_lo, s9, v3, vcc_lo
	s_ashr_i32 s7, s6, 31
	s_clause 0x1
	global_load_u16 v41, v[7:8], off
	global_load_u16 v42, v[9:10], off
	s_lshl_b64 s[4:5], s[6:7], 1
	s_cmpk_lt_u32 s48, 0x6000
	v_add_co_u32 v5, vcc_lo, v1, s4
	s_cselect_b32 s6, s49, 0x2f80
	v_add_co_ci_u32_e32 v6, vcc_lo, s5, v3, vcc_lo
	s_ashr_i32 s7, s6, 31
	s_delay_alu instid0(SALU_CYCLE_1) | instskip(NEXT) | instid1(SALU_CYCLE_1)
	s_lshl_b64 s[4:5], s[6:7], 1
	v_add_co_u32 v1, vcc_lo, v1, s4
	v_add_co_ci_u32_e32 v2, vcc_lo, s5, v3, vcc_lo
	s_clause 0x1
	global_load_u16 v43, v[5:6], off
	global_load_u16 v44, v[1:2], off
	ds_load_b128 v[5:8], v45 offset:256
	ds_load_b128 v[9:12], v45 offset:272
	s_waitcnt vmcnt(31) lgkmcnt(0)
	v_fma_mix_f32 v1, v5, v21, v4 op_sel_hi:[0,1,0]
	s_waitcnt vmcnt(30)
	s_delay_alu instid0(VALU_DEP_1) | instskip(SKIP_1) | instid1(VALU_DEP_1)
	v_fma_mix_f32 v1, v6, v22, v1 op_sel_hi:[0,1,0]
	s_waitcnt vmcnt(29)
	v_fma_mix_f32 v1, v7, v23, v1 op_sel_hi:[0,1,0]
	s_waitcnt vmcnt(28)
	s_delay_alu instid0(VALU_DEP_1) | instskip(SKIP_1) | instid1(VALU_DEP_1)
	v_fma_mix_f32 v1, v8, v24, v1 op_sel_hi:[0,1,0]
	s_waitcnt vmcnt(27)
	v_fma_mix_f32 v5, v9, v25, v1 op_sel_hi:[0,1,0]
	ds_load_b128 v[1:4], v45 offset:288
	s_waitcnt vmcnt(26)
	v_fma_mix_f32 v5, v10, v26, v5 op_sel_hi:[0,1,0]
	s_waitcnt vmcnt(25)
	s_delay_alu instid0(VALU_DEP_1) | instskip(SKIP_1) | instid1(VALU_DEP_1)
	v_fma_mix_f32 v5, v11, v27, v5 op_sel_hi:[0,1,0]
	s_waitcnt vmcnt(24)
	v_fma_mix_f32 v9, v12, v28, v5 op_sel_hi:[0,1,0]
	ds_load_b128 v[5:8], v45 offset:304
	s_waitcnt vmcnt(23) lgkmcnt(1)
	v_fma_mix_f32 v1, v1, v29, v9 op_sel_hi:[0,1,0]
	s_waitcnt vmcnt(22)
	s_delay_alu instid0(VALU_DEP_1) | instskip(SKIP_1) | instid1(VALU_DEP_1)
	v_fma_mix_f32 v1, v2, v30, v1 op_sel_hi:[0,1,0]
	s_waitcnt vmcnt(21)
	v_fma_mix_f32 v1, v3, v31, v1 op_sel_hi:[0,1,0]
	s_waitcnt vmcnt(20)
	s_delay_alu instid0(VALU_DEP_1) | instskip(SKIP_1) | instid1(VALU_DEP_1)
	v_fma_mix_f32 v1, v4, v32, v1 op_sel_hi:[0,1,0]
	s_waitcnt vmcnt(19) lgkmcnt(0)
	v_fma_mix_f32 v5, v5, v33, v1 op_sel_hi:[0,1,0]
	ds_load_b128 v[1:4], v45 offset:320
	s_waitcnt vmcnt(18)
	v_fma_mix_f32 v5, v6, v34, v5 op_sel_hi:[0,1,0]
	s_waitcnt vmcnt(17)
	s_delay_alu instid0(VALU_DEP_1) | instskip(SKIP_1) | instid1(VALU_DEP_1)
	v_fma_mix_f32 v5, v7, v17, v5 op_sel_hi:[0,1,0]
	s_waitcnt vmcnt(16)
	v_fma_mix_f32 v9, v8, v18, v5 op_sel_hi:[0,1,0]
	ds_load_b128 v[5:8], v45 offset:336
	s_waitcnt vmcnt(15) lgkmcnt(1)
	v_fma_mix_f32 v1, v1, v19, v9 op_sel_hi:[0,1,0]
	s_waitcnt vmcnt(14)
	s_delay_alu instid0(VALU_DEP_1) | instskip(SKIP_1) | instid1(VALU_DEP_1)
	v_fma_mix_f32 v1, v2, v20, v1 op_sel_hi:[0,1,0]
	s_waitcnt vmcnt(13)
	v_fma_mix_f32 v1, v3, v35, v1 op_sel_hi:[0,1,0]
	s_waitcnt vmcnt(12)
	s_delay_alu instid0(VALU_DEP_1) | instskip(SKIP_1) | instid1(VALU_DEP_1)
	v_fma_mix_f32 v1, v4, v36, v1 op_sel_hi:[0,1,0]
	s_waitcnt vmcnt(11) lgkmcnt(0)
	;; [unrolled: 21-line block ×3, first 2 shown]
	v_fma_mix_f32 v1, v5, v41, v1 op_sel_hi:[0,1,0]
	s_waitcnt vmcnt(2)
	s_delay_alu instid0(VALU_DEP_1) | instskip(SKIP_1) | instid1(VALU_DEP_1)
	v_fma_mix_f32 v1, v6, v42, v1 op_sel_hi:[0,1,0]
	s_waitcnt vmcnt(1)
	v_fma_mix_f32 v1, v7, v43, v1 op_sel_hi:[0,1,0]
	s_waitcnt vmcnt(0)
	s_delay_alu instid0(VALU_DEP_1)
	v_fma_mix_f32 v4, v8, v44, v1 op_sel_hi:[0,1,0]
	v_mov_b32_e32 v1, 0
	s_and_not1_b32 vcc_lo, exec_lo, s15
	ds_load_b32 v1, v1 offset:384
	s_cbranch_vccz .LBB212_15
	s_branch .LBB212_16
	.section	.rodata,"a",@progbits
	.p2align	6, 0x0
	.amdhsa_kernel _Z35paged_attention_ll4mi_reduce_kernelIDF16_hLi128ELi128ELi256ELi3EEvPT0_PKfS3_PKT_PKiS8_iS3_
		.amdhsa_group_segment_fixed_size 388
		.amdhsa_private_segment_fixed_size 0
		.amdhsa_kernarg_size 320
		.amdhsa_user_sgpr_count 14
		.amdhsa_user_sgpr_dispatch_ptr 0
		.amdhsa_user_sgpr_queue_ptr 0
		.amdhsa_user_sgpr_kernarg_segment_ptr 1
		.amdhsa_user_sgpr_dispatch_id 0
		.amdhsa_user_sgpr_private_segment_size 0
		.amdhsa_wavefront_size32 1
		.amdhsa_uses_dynamic_stack 0
		.amdhsa_enable_private_segment 0
		.amdhsa_system_sgpr_workgroup_id_x 1
		.amdhsa_system_sgpr_workgroup_id_y 1
		.amdhsa_system_sgpr_workgroup_id_z 0
		.amdhsa_system_sgpr_workgroup_info 0
		.amdhsa_system_vgpr_workitem_id 0
		.amdhsa_next_free_vgpr 48
		.amdhsa_next_free_sgpr 52
		.amdhsa_reserve_vcc 1
		.amdhsa_float_round_mode_32 0
		.amdhsa_float_round_mode_16_64 0
		.amdhsa_float_denorm_mode_32 3
		.amdhsa_float_denorm_mode_16_64 3
		.amdhsa_dx10_clamp 1
		.amdhsa_ieee_mode 1
		.amdhsa_fp16_overflow 0
		.amdhsa_workgroup_processor_mode 1
		.amdhsa_memory_ordered 1
		.amdhsa_forward_progress 0
		.amdhsa_shared_vgpr_count 0
		.amdhsa_exception_fp_ieee_invalid_op 0
		.amdhsa_exception_fp_denorm_src 0
		.amdhsa_exception_fp_ieee_div_zero 0
		.amdhsa_exception_fp_ieee_overflow 0
		.amdhsa_exception_fp_ieee_underflow 0
		.amdhsa_exception_fp_ieee_inexact 0
		.amdhsa_exception_int_div_zero 0
	.end_amdhsa_kernel
	.section	.text._Z35paged_attention_ll4mi_reduce_kernelIDF16_hLi128ELi128ELi256ELi3EEvPT0_PKfS3_PKT_PKiS8_iS3_,"axG",@progbits,_Z35paged_attention_ll4mi_reduce_kernelIDF16_hLi128ELi128ELi256ELi3EEvPT0_PKfS3_PKT_PKiS8_iS3_,comdat
.Lfunc_end212:
	.size	_Z35paged_attention_ll4mi_reduce_kernelIDF16_hLi128ELi128ELi256ELi3EEvPT0_PKfS3_PKT_PKiS8_iS3_, .Lfunc_end212-_Z35paged_attention_ll4mi_reduce_kernelIDF16_hLi128ELi128ELi256ELi3EEvPT0_PKfS3_PKT_PKiS8_iS3_
                                        ; -- End function
	.section	.AMDGPU.csdata,"",@progbits
; Kernel info:
; codeLenInByte = 7416
; NumSgprs: 54
; NumVgprs: 48
; ScratchSize: 0
; MemoryBound: 0
; FloatMode: 240
; IeeeMode: 1
; LDSByteSize: 388 bytes/workgroup (compile time only)
; SGPRBlocks: 6
; VGPRBlocks: 5
; NumSGPRsForWavesPerEU: 54
; NumVGPRsForWavesPerEU: 48
; Occupancy: 16
; WaveLimiterHint : 0
; COMPUTE_PGM_RSRC2:SCRATCH_EN: 0
; COMPUTE_PGM_RSRC2:USER_SGPR: 14
; COMPUTE_PGM_RSRC2:TRAP_HANDLER: 0
; COMPUTE_PGM_RSRC2:TGID_X_EN: 1
; COMPUTE_PGM_RSRC2:TGID_Y_EN: 1
; COMPUTE_PGM_RSRC2:TGID_Z_EN: 0
; COMPUTE_PGM_RSRC2:TIDIG_COMP_CNT: 0
	.section	.text._Z35paged_attention_ll4mi_reduce_kernelIDF16_hLi128ELi128ELi256ELi4EEvPT0_PKfS3_PKT_PKiS8_iS3_,"axG",@progbits,_Z35paged_attention_ll4mi_reduce_kernelIDF16_hLi128ELi128ELi256ELi4EEvPT0_PKfS3_PKT_PKiS8_iS3_,comdat
	.protected	_Z35paged_attention_ll4mi_reduce_kernelIDF16_hLi128ELi128ELi256ELi4EEvPT0_PKfS3_PKT_PKiS8_iS3_ ; -- Begin function _Z35paged_attention_ll4mi_reduce_kernelIDF16_hLi128ELi128ELi256ELi4EEvPT0_PKfS3_PKT_PKiS8_iS3_
	.globl	_Z35paged_attention_ll4mi_reduce_kernelIDF16_hLi128ELi128ELi256ELi4EEvPT0_PKfS3_PKT_PKiS8_iS3_
	.p2align	8
	.type	_Z35paged_attention_ll4mi_reduce_kernelIDF16_hLi128ELi128ELi256ELi4EEvPT0_PKfS3_PKT_PKiS8_iS3_,@function
_Z35paged_attention_ll4mi_reduce_kernelIDF16_hLi128ELi128ELi256ELi4EEvPT0_PKfS3_PKT_PKiS8_iS3_: ; @_Z35paged_attention_ll4mi_reduce_kernelIDF16_hLi128ELi128ELi256ELi4EEvPT0_PKfS3_PKT_PKiS8_iS3_
; %bb.0:
	s_load_b64 s[12:13], s[0:1], 0x28
	s_mov_b32 s2, s15
	s_waitcnt lgkmcnt(0)
	s_cmp_lg_u64 s[12:13], 0
	s_cselect_b32 s15, -1, 0
	s_delay_alu instid0(SALU_CYCLE_1)
	s_and_b32 vcc_lo, exec_lo, s15
	s_cbranch_vccz .LBB213_18
; %bb.1:
	s_add_i32 s4, s2, 1
	s_mov_b32 s5, 0
	s_delay_alu instid0(SALU_CYCLE_1) | instskip(SKIP_4) | instid1(SALU_CYCLE_1)
	s_lshl_b64 s[6:7], s[4:5], 2
	s_mov_b32 s3, s5
	s_add_u32 s6, s12, s6
	s_addc_u32 s7, s13, s7
	s_lshl_b64 s[8:9], s[2:3], 2
	s_add_u32 s8, s12, s8
	s_addc_u32 s9, s13, s9
	s_clause 0x1
	s_load_b32 s4, s[6:7], 0x0
	s_load_b32 s6, s[8:9], 0x0
	s_waitcnt lgkmcnt(0)
	s_sub_i32 s4, s4, s6
	s_delay_alu instid0(SALU_CYCLE_1)
	s_cmp_eq_u32 s4, 1
	s_cselect_b32 s4, -1, 0
	s_cbranch_execnz .LBB213_3
.LBB213_2:
	s_mov_b32 s3, 0
	s_mov_b32 s4, -1
.LBB213_3:
	s_delay_alu instid0(SALU_CYCLE_1)
	s_and_not1_b32 vcc_lo, exec_lo, s4
	s_cbranch_vccz .LBB213_5
; %bb.4:
	s_endpgm
.LBB213_5:
	s_clause 0x1
	s_load_b128 s[4:7], s[0:1], 0x18
	s_load_b32 s9, s[0:1], 0x30
	s_lshl_b64 s[16:17], s[2:3], 2
	s_waitcnt lgkmcnt(0)
	s_add_u32 s6, s6, s16
	s_addc_u32 s7, s7, s17
	s_load_b32 s20, s[6:7], 0x0
	s_load_b32 s33, s[0:1], 0x40
	s_mul_i32 s7, s2, s9
	s_waitcnt lgkmcnt(0)
	s_add_i32 s48, s20, 0xff
	s_delay_alu instid0(SALU_CYCLE_1) | instskip(NEXT) | instid1(SALU_CYCLE_1)
	s_ashr_i32 s6, s48, 31
	s_lshr_b32 s6, s6, 24
	s_delay_alu instid0(SALU_CYCLE_1) | instskip(SKIP_4) | instid1(SALU_CYCLE_1)
	s_add_i32 s8, s48, s6
	s_mul_i32 s6, s14, s9
	s_mov_b32 s9, exec_lo
	v_cmpx_lt_u32_e32 31, v0
	s_xor_b32 s9, exec_lo, s9
	s_or_saveexec_b32 s22, s9
	v_mov_b32_e32 v1, s6
	s_ashr_i32 s21, s8, 8
	s_mul_i32 s18, s7, s33
	s_xor_b32 exec_lo, exec_lo, s22
	s_cbranch_execz .LBB213_9
; %bb.6:
	s_load_b128 s[8:11], s[0:1], 0x8
	v_or_b32_e32 v2, 32, v0
	v_cmp_gt_i32_e32 vcc_lo, s21, v0
	s_add_i32 s23, s21, -1
	v_or_b32_e32 v4, 64, v0
	v_or_b32_e32 v6, 0x60, v0
	s_mov_b32 s19, 0
	v_cndmask_b32_e32 v1, s23, v0, vcc_lo
	v_cmp_gt_i32_e32 vcc_lo, s21, v2
	s_lshl_b64 s[24:25], s[18:19], 2
	s_mov_b32 s7, s19
	v_cndmask_b32_e32 v3, s23, v2, vcc_lo
	v_cmp_gt_i32_e32 vcc_lo, s21, v4
	v_ashrrev_i32_e32 v2, 31, v1
	v_cndmask_b32_e32 v5, s23, v4, vcc_lo
	v_cmp_gt_i32_e32 vcc_lo, s21, v6
	v_ashrrev_i32_e32 v4, 31, v3
	s_delay_alu instid0(VALU_DEP_4)
	v_lshlrev_b64 v[1:2], 2, v[1:2]
	s_waitcnt lgkmcnt(0)
	s_add_u32 s19, s10, s24
	v_cndmask_b32_e32 v7, s23, v6, vcc_lo
	s_addc_u32 s23, s11, s25
	s_lshl_b64 s[10:11], s[6:7], 2
	v_lshlrev_b64 v[3:4], 2, v[3:4]
	s_add_u32 s7, s19, s10
	v_ashrrev_i32_e32 v6, 31, v5
	s_addc_u32 s19, s23, s11
	v_add_co_u32 v9, vcc_lo, s7, v1
	v_add_co_ci_u32_e32 v10, vcc_lo, s19, v2, vcc_lo
	v_ashrrev_i32_e32 v8, 31, v7
	v_add_co_u32 v11, vcc_lo, s7, v3
	v_lshlrev_b64 v[5:6], 2, v[5:6]
	v_add_co_ci_u32_e32 v12, vcc_lo, s19, v4, vcc_lo
	s_delay_alu instid0(VALU_DEP_4)
	v_lshlrev_b64 v[7:8], 2, v[7:8]
	s_clause 0x1
	global_load_b32 v13, v[9:10], off
	global_load_b32 v14, v[11:12], off
	v_add_co_u32 v9, vcc_lo, s7, v5
	v_add_co_ci_u32_e32 v10, vcc_lo, s19, v6, vcc_lo
	v_add_co_u32 v11, vcc_lo, s7, v7
	v_add_co_ci_u32_e32 v12, vcc_lo, s19, v8, vcc_lo
	s_clause 0x1
	global_load_b32 v9, v[9:10], off
	global_load_b32 v10, v[11:12], off
	s_add_u32 s7, s8, s24
	s_addc_u32 s8, s9, s25
	s_add_u32 s7, s7, s10
	s_addc_u32 s8, s8, s11
	v_add_co_u32 v1, vcc_lo, s7, v1
	v_add_co_ci_u32_e32 v2, vcc_lo, s8, v2, vcc_lo
	v_add_co_u32 v3, vcc_lo, s7, v3
	v_add_co_ci_u32_e32 v4, vcc_lo, s8, v4, vcc_lo
	;; [unrolled: 2-line block ×3, first 2 shown]
	s_clause 0x2
	global_load_b32 v11, v[1:2], off
	global_load_b32 v3, v[3:4], off
	;; [unrolled: 1-line block ×3, first 2 shown]
	v_add_co_u32 v1, vcc_lo, s7, v7
	v_add_co_ci_u32_e32 v2, vcc_lo, s8, v8, vcc_lo
	s_mov_b32 s7, exec_lo
	global_load_b32 v5, v[1:2], off
	v_mbcnt_lo_u32_b32 v1, -1, 0
	s_delay_alu instid0(VALU_DEP_1)
	v_xor_b32_e32 v2, 16, v1
	v_xor_b32_e32 v8, 8, v1
	;; [unrolled: 1-line block ×5, first 2 shown]
	v_cmp_gt_i32_e32 vcc_lo, 32, v2
	v_cndmask_b32_e32 v2, v1, v2, vcc_lo
	v_cmp_gt_i32_e32 vcc_lo, 32, v8
	s_delay_alu instid0(VALU_DEP_2) | instskip(SKIP_2) | instid1(VALU_DEP_2)
	v_lshlrev_b32_e32 v2, 2, v2
	v_cndmask_b32_e32 v8, v1, v8, vcc_lo
	v_cmp_gt_i32_e32 vcc_lo, 32, v12
	v_lshlrev_b32_e32 v8, 2, v8
	v_cndmask_b32_e32 v12, v1, v12, vcc_lo
	v_cmp_gt_i32_e32 vcc_lo, 32, v15
	s_delay_alu instid0(VALU_DEP_2) | instskip(SKIP_2) | instid1(VALU_DEP_1)
	v_dual_cndmask_b32 v15, v1, v15 :: v_dual_lshlrev_b32 v12, 2, v12
	v_cmp_gt_i32_e32 vcc_lo, 32, v16
	v_cndmask_b32_e32 v1, v1, v16, vcc_lo
	v_lshlrev_b32_e32 v16, 2, v1
	s_delay_alu instid0(VALU_DEP_4) | instskip(SKIP_2) | instid1(VALU_DEP_1)
	v_lshlrev_b32_e32 v15, 2, v15
	s_waitcnt vmcnt(6)
	v_dual_max_f32 v7, v13, v13 :: v_dual_max_f32 v6, v14, v14
	v_max_f32_e32 v6, v7, v6
	s_waitcnt vmcnt(4)
	s_delay_alu instid0(VALU_DEP_1) | instskip(SKIP_3) | instid1(VALU_DEP_1)
	v_max3_f32 v6, v6, v9, v10
	ds_bpermute_b32 v7, v2, v6
	s_waitcnt lgkmcnt(0)
	v_max_f32_e32 v7, v7, v7
	v_max_f32_e32 v6, v6, v7
	ds_bpermute_b32 v7, v8, v6
	s_waitcnt lgkmcnt(0)
	v_max_f32_e32 v7, v7, v7
	s_delay_alu instid0(VALU_DEP_1) | instskip(SKIP_3) | instid1(VALU_DEP_1)
	v_max_f32_e32 v6, v6, v7
	ds_bpermute_b32 v7, v12, v6
	s_waitcnt lgkmcnt(0)
	v_max_f32_e32 v7, v7, v7
	v_max_f32_e32 v6, v6, v7
	ds_bpermute_b32 v7, v15, v6
	s_waitcnt lgkmcnt(0)
	v_max_f32_e32 v7, v7, v7
	s_delay_alu instid0(VALU_DEP_1) | instskip(SKIP_3) | instid1(VALU_DEP_1)
	v_max_f32_e32 v1, v6, v7
	ds_bpermute_b32 v6, v16, v1
	s_waitcnt lgkmcnt(0)
	v_max_f32_e32 v6, v6, v6
	v_max_f32_e32 v1, v1, v6
	s_delay_alu instid0(VALU_DEP_1) | instskip(SKIP_1) | instid1(VALU_DEP_2)
	v_sub_f32_e32 v9, v9, v1
	v_sub_f32_e32 v7, v14, v1
	v_mul_f32_e32 v14, 0x3fb8aa3b, v9
	v_sub_f32_e32 v6, v13, v1
	v_sub_f32_e32 v1, v10, v1
	s_delay_alu instid0(VALU_DEP_3) | instskip(NEXT) | instid1(VALU_DEP_3)
	v_fma_f32 v22, 0x3fb8aa3b, v9, -v14
	v_mul_f32_e32 v10, 0x3fb8aa3b, v6
	v_rndne_f32_e32 v23, v14
	v_cmp_ngt_f32_e32 vcc_lo, 0xc2ce8ed0, v6
	s_delay_alu instid0(VALU_DEP_3) | instskip(SKIP_1) | instid1(VALU_DEP_2)
	v_fma_f32 v18, 0x3fb8aa3b, v6, -v10
	v_rndne_f32_e32 v19, v10
	v_fmac_f32_e32 v18, 0x32a5705f, v6
	s_delay_alu instid0(VALU_DEP_2) | instskip(NEXT) | instid1(VALU_DEP_1)
	v_sub_f32_e32 v10, v10, v19
	v_dual_mul_f32 v13, 0x3fb8aa3b, v7 :: v_dual_add_f32 v10, v10, v18
	s_delay_alu instid0(VALU_DEP_1) | instskip(SKIP_2) | instid1(VALU_DEP_4)
	v_fma_f32 v20, 0x3fb8aa3b, v7, -v13
	v_rndne_f32_e32 v21, v13
	v_cvt_i32_f32_e32 v18, v19
	v_exp_f32_e32 v10, v10
	s_delay_alu instid0(VALU_DEP_3) | instskip(SKIP_4) | instid1(VALU_DEP_4)
	v_fmac_f32_e32 v20, 0x32a5705f, v7
	v_mul_f32_e32 v17, 0x3fb8aa3b, v1
	v_sub_f32_e32 v13, v13, v21
	v_fmac_f32_e32 v22, 0x32a5705f, v9
	v_cvt_i32_f32_e32 v19, v21
	v_rndne_f32_e32 v25, v17
	s_delay_alu instid0(VALU_DEP_4) | instskip(SKIP_1) | instid1(TRANS32_DEP_1)
	v_dual_add_f32 v13, v13, v20 :: v_dual_sub_f32 v14, v14, v23
	v_fma_f32 v24, 0x3fb8aa3b, v1, -v17
	v_ldexp_f32 v10, v10, v18
	s_delay_alu instid0(VALU_DEP_4) | instskip(NEXT) | instid1(VALU_DEP_4)
	v_sub_f32_e32 v17, v17, v25
	v_exp_f32_e32 v13, v13
	v_add_f32_e32 v14, v14, v22
	v_cvt_i32_f32_e32 v20, v23
	v_sub_nc_u32_e32 v22, s21, v0
	v_cvt_i32_f32_e32 v21, v25
	s_delay_alu instid0(VALU_DEP_4)
	v_exp_f32_e32 v14, v14
	s_waitcnt_depctr 0xfff
	v_ldexp_f32 v13, v13, v19
	v_cndmask_b32_e32 v10, 0, v10, vcc_lo
	v_cmp_ngt_f32_e32 vcc_lo, 0xc2ce8ed0, v7
	v_ldexp_f32 v14, v14, v20
	s_delay_alu instid0(VALU_DEP_4) | instskip(SKIP_1) | instid1(VALU_DEP_3)
	v_cndmask_b32_e32 v13, 0, v13, vcc_lo
	v_cmp_ngt_f32_e32 vcc_lo, 0xc2ce8ed0, v9
	v_cndmask_b32_e32 v14, 0, v14, vcc_lo
	v_cmp_nlt_f32_e32 vcc_lo, 0x42b17218, v6
	v_cndmask_b32_e32 v6, 0x7f800000, v10, vcc_lo
	v_cmp_nlt_f32_e32 vcc_lo, 0x42b17218, v7
	;; [unrolled: 2-line block ×3, first 2 shown]
	v_cndmask_b32_e32 v9, 0x7f800000, v14, vcc_lo
	v_cmp_lt_i32_e32 vcc_lo, 0, v22
	v_cndmask_b32_e32 v6, 0, v6, vcc_lo
	v_cmp_lt_i32_e32 vcc_lo, 32, v22
	s_waitcnt vmcnt(3)
	s_delay_alu instid0(VALU_DEP_2) | instskip(SKIP_2) | instid1(VALU_DEP_2)
	v_mul_f32_e32 v6, v11, v6
	v_dual_fmac_f32 v24, 0x32a5705f, v1 :: v_dual_cndmask_b32 v7, 0, v7
	v_cmp_lt_i32_e32 vcc_lo, 64, v22
	v_add_f32_e32 v17, v17, v24
	s_waitcnt vmcnt(2)
	s_delay_alu instid0(VALU_DEP_3) | instskip(SKIP_3) | instid1(VALU_DEP_3)
	v_mul_f32_e32 v3, v3, v7
	v_cndmask_b32_e32 v9, 0, v9, vcc_lo
	v_cmp_ngt_f32_e32 vcc_lo, 0xc2ce8ed0, v1
	v_exp_f32_e32 v17, v17
	v_add_f32_e32 v7, v6, v3
	s_waitcnt_depctr 0xfff
	v_ldexp_f32 v17, v17, v21
	s_delay_alu instid0(VALU_DEP_1) | instskip(SKIP_2) | instid1(VALU_DEP_2)
	v_cndmask_b32_e32 v10, 0, v17, vcc_lo
	v_cmp_nlt_f32_e32 vcc_lo, 0x42b17218, v1
	s_waitcnt vmcnt(1)
	v_dual_mul_f32 v4, v4, v9 :: v_dual_cndmask_b32 v1, 0x7f800000, v10
	v_cmp_lt_i32_e32 vcc_lo, 0x60, v22
	s_delay_alu instid0(VALU_DEP_2) | instskip(NEXT) | instid1(VALU_DEP_3)
	v_cndmask_b32_e32 v9, 0, v1, vcc_lo
	v_add_f32_e32 v1, v7, v4
	v_lshlrev_b32_e32 v7, 2, v0
	s_waitcnt vmcnt(0)
	s_delay_alu instid0(VALU_DEP_2)
	v_fmac_f32_e32 v1, v5, v9
	v_mul_f32_e32 v5, v5, v9
	ds_store_2addr_b32 v7, v6, v3 offset1:32
	ds_store_2addr_b32 v7, v4, v5 offset0:64 offset1:96
	ds_bpermute_b32 v2, v2, v1
	s_waitcnt lgkmcnt(0)
	v_add_f32_e32 v1, v1, v2
	ds_bpermute_b32 v2, v8, v1
	s_waitcnt lgkmcnt(0)
	v_add_f32_e32 v1, v1, v2
	;; [unrolled: 3-line block ×4, first 2 shown]
	ds_bpermute_b32 v2, v16, v1
	v_cmpx_eq_u32_e32 0, v0
	s_cbranch_execz .LBB213_8
; %bb.7:
	s_waitcnt lgkmcnt(0)
	v_dual_add_f32 v1, v1, v2 :: v_dual_mov_b32 v2, 0
	ds_store_b32 v2, v1 offset:512
.LBB213_8:
	s_or_b32 exec_lo, exec_lo, s7
	v_mov_b32_e32 v1, s6
.LBB213_9:
	s_or_b32 exec_lo, exec_lo, s22
	s_lshl_b32 s6, s18, 7
	s_mov_b32 s7, 0
	s_waitcnt lgkmcnt(0)
	v_dual_mov_b32 v2, 0 :: v_dual_lshlrev_b32 v1, 7, v1
	s_lshl_b64 s[6:7], s[6:7], 1
	v_dual_mov_b32 v29, 0 :: v_dual_mov_b32 v30, 0
	s_add_u32 s34, s4, s6
	s_addc_u32 s35, s5, s7
	s_lshl_b32 s49, s21, 7
	v_lshlrev_b64 v[3:4], 1, v[1:2]
	s_addk_i32 s49, 0xff80
	s_cmpk_lt_i32 s48, 0x100
	v_lshlrev_b32_e32 v1, 1, v0
	s_cselect_b32 s4, s49, 0
	v_dual_mov_b32 v31, 0 :: v_dual_mov_b32 v32, 0
	s_ashr_i32 s5, s4, 31
	v_add_co_u32 v3, vcc_lo, s34, v3
	s_lshl_b64 s[4:5], s[4:5], 1
	s_cmpk_lt_i32 s48, 0x200
	v_add_co_ci_u32_e32 v4, vcc_lo, s35, v4, vcc_lo
	s_cselect_b32 s6, s49, 0x80
	v_add_co_u32 v1, vcc_lo, v3, v1
	s_ashr_i32 s7, s6, 31
	s_delay_alu instid0(VALU_DEP_2)
	v_add_co_ci_u32_e32 v3, vcc_lo, 0, v4, vcc_lo
	s_lshl_b64 s[6:7], s[6:7], 1
	s_cmpk_lt_i32 s48, 0x300
	v_add_co_u32 v4, vcc_lo, v1, s4
	s_cselect_b32 s8, s49, 0x100
	v_add_co_ci_u32_e32 v5, vcc_lo, s5, v3, vcc_lo
	s_ashr_i32 s9, s8, 31
	v_add_co_u32 v8, vcc_lo, v1, s6
	s_lshl_b64 s[8:9], s[8:9], 1
	s_cmpk_lt_i32 s48, 0x400
	v_add_co_ci_u32_e32 v9, vcc_lo, s7, v3, vcc_lo
	s_cselect_b32 s10, s49, 0x180
	v_add_co_u32 v10, vcc_lo, v1, s8
	s_ashr_i32 s11, s10, 31
	v_add_co_ci_u32_e32 v11, vcc_lo, s9, v3, vcc_lo
	s_lshl_b64 s[10:11], s[10:11], 1
	s_cmpk_lt_i32 s48, 0x500
	v_add_co_u32 v12, vcc_lo, v1, s10
	s_cselect_b32 s18, s49, 0x200
	v_add_co_ci_u32_e32 v13, vcc_lo, s11, v3, vcc_lo
	s_ashr_i32 s19, s18, 31
	v_dual_mov_b32 v33, 0 :: v_dual_mov_b32 v34, 0
	s_lshl_b64 s[18:19], s[18:19], 1
	s_cmpk_lt_i32 s48, 0x600
	v_add_co_u32 v14, vcc_lo, v1, s18
	s_cselect_b32 s22, s49, 0x280
	v_add_co_ci_u32_e32 v15, vcc_lo, s19, v3, vcc_lo
	s_ashr_i32 s23, s22, 31
	v_mov_b32_e32 v35, 0
	s_lshl_b64 s[22:23], s[22:23], 1
	s_cmpk_lt_i32 s48, 0x700
	v_add_co_u32 v16, vcc_lo, v1, s22
	s_cselect_b32 s24, s49, 0x300
	v_add_co_ci_u32_e32 v17, vcc_lo, s23, v3, vcc_lo
	s_ashr_i32 s25, s24, 31
	s_delay_alu instid0(SALU_CYCLE_1)
	s_lshl_b64 s[24:25], s[24:25], 1
	s_cmpk_lt_i32 s48, 0x800
	v_add_co_u32 v18, vcc_lo, v1, s24
	s_cselect_b32 s26, s49, 0x380
	v_add_co_ci_u32_e32 v19, vcc_lo, s25, v3, vcc_lo
	s_ashr_i32 s27, s26, 31
	s_delay_alu instid0(SALU_CYCLE_1)
	s_lshl_b64 s[26:27], s[26:27], 1
	s_cmpk_lt_i32 s48, 0x900
	v_add_co_u32 v20, vcc_lo, v1, s26
	s_cselect_b32 s28, s49, 0x400
	v_add_co_ci_u32_e32 v21, vcc_lo, s27, v3, vcc_lo
	s_ashr_i32 s29, s28, 31
	s_clause 0x7
	global_load_u16 v7, v[4:5], off
	global_load_u16 v8, v[8:9], off
	;; [unrolled: 1-line block ×8, first 2 shown]
	s_lshl_b64 s[28:29], s[28:29], 1
	s_cmpk_lt_i32 s48, 0xa00
	v_add_co_u32 v12, vcc_lo, v1, s28
	s_cselect_b32 s30, s49, 0x480
	v_add_co_ci_u32_e32 v13, vcc_lo, s29, v3, vcc_lo
	s_ashr_i32 s31, s30, 31
	s_delay_alu instid0(SALU_CYCLE_1)
	s_lshl_b64 s[30:31], s[30:31], 1
	s_cmpk_lt_i32 s48, 0xb00
	v_add_co_u32 v15, vcc_lo, v1, s30
	s_cselect_b32 s34, s49, 0x500
	v_add_co_ci_u32_e32 v16, vcc_lo, s31, v3, vcc_lo
	s_ashr_i32 s35, s34, 31
	s_delay_alu instid0(SALU_CYCLE_1)
	;; [unrolled: 7-line block ×7, first 2 shown]
	s_lshl_b64 s[4:5], s[6:7], 1
	s_cmpk_gt_i32 s20, 0x1000
	v_add_co_u32 v27, vcc_lo, v1, s4
	v_add_co_ci_u32_e32 v28, vcc_lo, s5, v3, vcc_lo
	s_clause 0x7
	global_load_u16 v14, v[12:13], off
	global_load_u16 v15, v[15:16], off
	;; [unrolled: 1-line block ×8, first 2 shown]
	v_dual_mov_b32 v20, 0 :: v_dual_mov_b32 v21, 0
	v_dual_mov_b32 v22, 0 :: v_dual_mov_b32 v23, 0
	;; [unrolled: 1-line block ×4, first 2 shown]
	v_mov_b32_e32 v28, 0
	s_cselect_b32 s8, -1, 0
	s_cmpk_lt_i32 s20, 0x1001
	s_waitcnt vmcnt(0)
	s_barrier
	buffer_gl0_inv
	s_cbranch_scc1 .LBB213_11
; %bb.10:
	s_cmpk_lt_i32 s48, 0x1100
	s_cselect_b32 s4, s49, 0x800
	s_delay_alu instid0(SALU_CYCLE_1) | instskip(NEXT) | instid1(SALU_CYCLE_1)
	s_ashr_i32 s5, s4, 31
	s_lshl_b64 s[4:5], s[4:5], 1
	s_cmpk_lt_i32 s48, 0x1200
	v_add_co_u32 v20, vcc_lo, v1, s4
	s_cselect_b32 s6, s49, 0x880
	v_add_co_ci_u32_e32 v21, vcc_lo, s5, v3, vcc_lo
	s_ashr_i32 s7, s6, 31
	s_delay_alu instid0(SALU_CYCLE_1)
	s_lshl_b64 s[6:7], s[6:7], 1
	s_cmpk_lt_i32 s48, 0x1300
	v_add_co_u32 v22, vcc_lo, v1, s6
	s_cselect_b32 s10, s49, 0x900
	v_add_co_ci_u32_e32 v23, vcc_lo, s7, v3, vcc_lo
	s_ashr_i32 s11, s10, 31
	s_delay_alu instid0(SALU_CYCLE_1)
	;; [unrolled: 7-line block ×7, first 2 shown]
	s_lshl_b64 s[26:27], s[26:27], 1
	s_cmpk_lt_i32 s48, 0x1900
	v_add_co_u32 v34, vcc_lo, v1, s26
	s_cselect_b32 s28, s49, 0xc00
	v_add_co_ci_u32_e32 v35, vcc_lo, s27, v3, vcc_lo
	s_ashr_i32 s29, s28, 31
	s_clause 0x7
	global_load_u16 v36, v[20:21], off
	global_load_u16 v37, v[22:23], off
	;; [unrolled: 1-line block ×8, first 2 shown]
	s_lshl_b64 s[28:29], s[28:29], 1
	s_cmpk_lt_i32 s48, 0x1a00
	v_add_co_u32 v20, vcc_lo, v1, s28
	s_cselect_b32 s30, s49, 0xc80
	v_add_co_ci_u32_e32 v21, vcc_lo, s29, v3, vcc_lo
	s_ashr_i32 s31, s30, 31
	s_delay_alu instid0(SALU_CYCLE_1)
	s_lshl_b64 s[30:31], s[30:31], 1
	s_cmpk_lt_i32 s48, 0x1b00
	v_add_co_u32 v22, vcc_lo, v1, s30
	s_cselect_b32 s34, s49, 0xd00
	v_add_co_ci_u32_e32 v23, vcc_lo, s31, v3, vcc_lo
	s_ashr_i32 s35, s34, 31
	s_delay_alu instid0(SALU_CYCLE_1)
	;; [unrolled: 7-line block ×6, first 2 shown]
	s_lshl_b64 s[4:5], s[20:21], 1
	s_cmpk_lt_i32 s48, 0x2000
	v_add_co_u32 v32, vcc_lo, v1, s4
	s_cselect_b32 s6, s49, 0xf80
	v_add_co_ci_u32_e32 v33, vcc_lo, s5, v3, vcc_lo
	s_ashr_i32 s7, s6, 31
	s_delay_alu instid0(SALU_CYCLE_1) | instskip(NEXT) | instid1(SALU_CYCLE_1)
	s_lshl_b64 s[4:5], s[6:7], 1
	v_add_co_u32 v34, vcc_lo, v1, s4
	v_add_co_ci_u32_e32 v35, vcc_lo, s5, v3, vcc_lo
	s_clause 0x7
	global_load_u16 v20, v[20:21], off
	global_load_u16 v21, v[22:23], off
	;; [unrolled: 1-line block ×8, first 2 shown]
	s_waitcnt vmcnt(15)
	v_cvt_f32_f16_e32 v35, v36
	s_waitcnt vmcnt(14)
	v_cvt_f32_f16_e32 v34, v37
	;; [unrolled: 2-line block ×16, first 2 shown]
.LBB213_11:
	ds_load_b128 v[36:39], v2
	ds_load_b128 v[40:43], v2 offset:16
	s_and_not1_b32 vcc_lo, exec_lo, s8
	s_waitcnt lgkmcnt(1)
	v_fma_mix_f32 v7, v36, v7, 0 op_sel_hi:[0,1,0]
	s_delay_alu instid0(VALU_DEP_1) | instskip(NEXT) | instid1(VALU_DEP_1)
	v_fma_mix_f32 v7, v37, v8, v7 op_sel_hi:[0,1,0]
	v_fma_mix_f32 v7, v38, v9, v7 op_sel_hi:[0,1,0]
	s_delay_alu instid0(VALU_DEP_1)
	v_fma_mix_f32 v7, v39, v10, v7 op_sel_hi:[0,1,0]
	ds_load_b128 v[36:39], v2 offset:48
	s_waitcnt lgkmcnt(1)
	v_fma_mix_f32 v11, v40, v11, v7 op_sel_hi:[0,1,0]
	ds_load_b128 v[7:10], v2 offset:32
	v_fma_mix_f32 v4, v41, v4, v11 op_sel_hi:[0,1,0]
	s_delay_alu instid0(VALU_DEP_1) | instskip(NEXT) | instid1(VALU_DEP_1)
	v_fma_mix_f32 v4, v42, v5, v4 op_sel_hi:[0,1,0]
	v_fma_mix_f32 v4, v43, v6, v4 op_sel_hi:[0,1,0]
	s_waitcnt lgkmcnt(0)
	s_delay_alu instid0(VALU_DEP_1) | instskip(NEXT) | instid1(VALU_DEP_1)
	v_fma_mix_f32 v4, v7, v14, v4 op_sel_hi:[0,1,0]
	v_fma_mix_f32 v4, v8, v15, v4 op_sel_hi:[0,1,0]
	s_delay_alu instid0(VALU_DEP_1) | instskip(NEXT) | instid1(VALU_DEP_1)
	v_fma_mix_f32 v4, v9, v16, v4 op_sel_hi:[0,1,0]
	v_fma_mix_f32 v4, v10, v17, v4 op_sel_hi:[0,1,0]
	;; [unrolled: 3-line block ×4, first 2 shown]
	s_cbranch_vccz .LBB213_19
; %bb.12:
	s_cmpk_lt_i32 s48, 0x2100
	s_cbranch_scc0 .LBB213_20
.LBB213_13:
	s_cmpk_lt_i32 s48, 0x4100
	s_cbranch_scc0 .LBB213_21
.LBB213_14:
	s_load_b64 s[0:1], s[0:1], 0x0
	s_cmpk_lt_i32 s48, 0x6100
	s_cbranch_scc0 .LBB213_22
.LBB213_15:
	v_mov_b32_e32 v1, 0
	s_and_not1_b32 vcc_lo, exec_lo, s15
	ds_load_b32 v1, v1 offset:512
	s_cbranch_vccnz .LBB213_17
.LBB213_16:
	s_add_u32 s2, s12, s16
	s_addc_u32 s3, s13, s17
	s_load_b32 s2, s[2:3], 0x0
	s_mov_b32 s3, 0
.LBB213_17:
	s_waitcnt lgkmcnt(0)
	v_add_f32_e32 v1, 0x358637bd, v1
	s_mul_i32 s3, s33, s3
	s_mul_hi_u32 s4, s33, s2
	s_mul_i32 s2, s33, s2
	s_add_i32 s3, s4, s3
	v_div_scale_f32 v2, null, v1, v1, 1.0
	v_div_scale_f32 v6, vcc_lo, 1.0, v1, 1.0
	s_lshl_b64 s[2:3], s[2:3], 7
	s_delay_alu instid0(VALU_DEP_2) | instskip(SKIP_4) | instid1(SALU_CYCLE_1)
	v_rcp_f32_e32 v3, v2
	s_mov_b32 s15, 0
	s_add_u32 s2, s0, s2
	s_addc_u32 s3, s1, s3
	s_lshl_b64 s[0:1], s[14:15], 7
	s_add_u32 s0, s2, s0
	s_addc_u32 s1, s3, s1
	v_add_co_u32 v0, s0, s0, v0
	s_waitcnt_depctr 0xfff
	v_fma_f32 v5, -v2, v3, 1.0
	s_delay_alu instid0(VALU_DEP_1) | instskip(NEXT) | instid1(VALU_DEP_1)
	v_fmac_f32_e32 v3, v5, v3
	v_mul_f32_e32 v5, v6, v3
	s_delay_alu instid0(VALU_DEP_1) | instskip(NEXT) | instid1(VALU_DEP_1)
	v_fma_f32 v7, -v2, v5, v6
	v_fmac_f32_e32 v5, v7, v3
	s_delay_alu instid0(VALU_DEP_1) | instskip(NEXT) | instid1(VALU_DEP_1)
	v_fma_f32 v2, -v2, v5, v6
	v_div_fmas_f32 v2, v2, v3, v5
	s_delay_alu instid0(VALU_DEP_1) | instskip(NEXT) | instid1(VALU_DEP_1)
	v_div_fixup_f32 v1, v2, v1, 1.0
	v_fma_mixlo_f16 v1, v4, v1, 0
	s_delay_alu instid0(VALU_DEP_1)
	v_cvt_i16_f16_e32 v2, v1
	v_add_co_ci_u32_e64 v1, null, s1, 0, s0
	global_store_b8 v[0:1], v2, off
	s_nop 0
	s_sendmsg sendmsg(MSG_DEALLOC_VGPRS)
	s_endpgm
.LBB213_18:
	s_mov_b32 s4, 0
	s_branch .LBB213_2
.LBB213_19:
	ds_load_b128 v[5:8], v2 offset:64
	ds_load_b128 v[9:12], v2 offset:80
	s_waitcnt lgkmcnt(1)
	v_fmac_f32_e32 v4, v5, v35
	s_delay_alu instid0(VALU_DEP_1) | instskip(NEXT) | instid1(VALU_DEP_1)
	v_fmac_f32_e32 v4, v6, v34
	v_fmac_f32_e32 v4, v7, v33
	s_delay_alu instid0(VALU_DEP_1) | instskip(SKIP_3) | instid1(VALU_DEP_1)
	v_fmac_f32_e32 v4, v8, v32
	ds_load_b128 v[5:8], v2 offset:96
	s_waitcnt lgkmcnt(1)
	v_fmac_f32_e32 v4, v9, v31
	v_fmac_f32_e32 v4, v10, v30
	s_delay_alu instid0(VALU_DEP_1) | instskip(NEXT) | instid1(VALU_DEP_1)
	v_fmac_f32_e32 v4, v11, v29
	v_fmac_f32_e32 v4, v12, v28
	ds_load_b128 v[9:12], v2 offset:112
	s_waitcnt lgkmcnt(1)
	v_fmac_f32_e32 v4, v5, v27
	s_delay_alu instid0(VALU_DEP_1) | instskip(NEXT) | instid1(VALU_DEP_1)
	v_fmac_f32_e32 v4, v6, v26
	v_fmac_f32_e32 v4, v7, v25
	s_delay_alu instid0(VALU_DEP_1) | instskip(SKIP_1) | instid1(VALU_DEP_1)
	v_fmac_f32_e32 v4, v8, v24
	s_waitcnt lgkmcnt(0)
	v_fmac_f32_e32 v4, v9, v23
	s_delay_alu instid0(VALU_DEP_1) | instskip(NEXT) | instid1(VALU_DEP_1)
	v_fmac_f32_e32 v4, v10, v22
	v_fmac_f32_e32 v4, v11, v21
	s_delay_alu instid0(VALU_DEP_1)
	v_fmac_f32_e32 v4, v12, v20
	s_cmpk_lt_i32 s48, 0x2100
	s_cbranch_scc1 .LBB213_13
.LBB213_20:
	s_cmpk_lt_u32 s48, 0x2200
	v_add_co_u32 v5, vcc_lo, 0x2000, v1
	s_cselect_b32 s4, s49, 0x1080
	v_add_co_ci_u32_e32 v6, vcc_lo, 0, v3, vcc_lo
	s_ashr_i32 s5, s4, 31
	v_mov_b32_e32 v44, 0
	s_lshl_b64 s[4:5], s[4:5], 1
	s_cmpk_lt_u32 s48, 0x2300
	v_add_co_u32 v7, vcc_lo, v1, s4
	s_cselect_b32 s6, s49, 0x1100
	v_add_co_ci_u32_e32 v8, vcc_lo, s5, v3, vcc_lo
	s_ashr_i32 s7, s6, 31
	s_delay_alu instid0(SALU_CYCLE_1)
	s_lshl_b64 s[6:7], s[6:7], 1
	s_cmpk_lt_u32 s48, 0x2400
	v_add_co_u32 v9, vcc_lo, v1, s6
	s_cselect_b32 s8, s49, 0x1180
	v_add_co_ci_u32_e32 v10, vcc_lo, s7, v3, vcc_lo
	s_ashr_i32 s9, s8, 31
	s_delay_alu instid0(SALU_CYCLE_1)
	;; [unrolled: 7-line block ×6, first 2 shown]
	s_lshl_b64 s[26:27], s[18:19], 1
	s_cmpk_lt_u32 s48, 0x2900
	v_add_co_u32 v19, vcc_lo, v1, s26
	s_cselect_b32 s18, s49, 0x1400
	v_add_co_ci_u32_e32 v20, vcc_lo, s27, v3, vcc_lo
	s_ashr_i32 s19, s18, 31
	s_clause 0x7
	global_load_u16 v2, v[5:6], off
	global_load_u16 v21, v[7:8], off
	;; [unrolled: 1-line block ×8, first 2 shown]
	s_lshl_b64 s[18:19], s[18:19], 1
	s_cmpk_lt_u32 s48, 0x2a00
	v_add_co_u32 v5, vcc_lo, v1, s18
	s_cselect_b32 s24, s49, 0x1480
	v_add_co_ci_u32_e32 v6, vcc_lo, s19, v3, vcc_lo
	s_ashr_i32 s25, s24, 31
	s_delay_alu instid0(SALU_CYCLE_1)
	s_lshl_b64 s[24:25], s[24:25], 1
	s_cmpk_lt_u32 s48, 0x2b00
	v_add_co_u32 v7, vcc_lo, v1, s24
	s_cselect_b32 s28, s49, 0x1500
	v_add_co_ci_u32_e32 v8, vcc_lo, s25, v3, vcc_lo
	s_ashr_i32 s29, s28, 31
	s_delay_alu instid0(SALU_CYCLE_1)
	;; [unrolled: 7-line block ×7, first 2 shown]
	s_lshl_b64 s[44:45], s[36:37], 1
	s_cmpk_lt_u32 s48, 0x3100
	v_add_co_u32 v19, vcc_lo, v1, s44
	s_cselect_b32 s36, s49, 0x1800
	v_add_co_ci_u32_e32 v20, vcc_lo, s45, v3, vcc_lo
	s_ashr_i32 s37, s36, 31
	s_clause 0x7
	global_load_u16 v28, v[5:6], off
	global_load_u16 v29, v[7:8], off
	;; [unrolled: 1-line block ×8, first 2 shown]
	s_lshl_b64 s[36:37], s[36:37], 1
	s_cmpk_lt_u32 s48, 0x3200
	v_add_co_u32 v5, vcc_lo, v1, s36
	s_cselect_b32 s42, s49, 0x1880
	v_add_co_ci_u32_e32 v6, vcc_lo, s37, v3, vcc_lo
	s_ashr_i32 s43, s42, 31
	s_delay_alu instid0(SALU_CYCLE_1)
	s_lshl_b64 s[42:43], s[42:43], 1
	s_cmpk_lt_u32 s48, 0x3300
	v_add_co_u32 v7, vcc_lo, v1, s42
	s_cselect_b32 s46, s49, 0x1900
	v_add_co_ci_u32_e32 v8, vcc_lo, s43, v3, vcc_lo
	s_ashr_i32 s47, s46, 31
	s_delay_alu instid0(SALU_CYCLE_1)
	;; [unrolled: 7-line block ×5, first 2 shown]
	s_lshl_b64 s[8:9], s[8:9], 1
	s_cmpk_lt_u32 s48, 0x3700
	v_add_co_u32 v15, vcc_lo, v1, s8
	s_cselect_b32 s10, s49, 0x1b00
	v_add_co_ci_u32_e32 v16, vcc_lo, s9, v3, vcc_lo
	s_ashr_i32 s11, s10, 31
	s_clause 0x5
	global_load_u16 v19, v[5:6], off
	global_load_u16 v20, v[7:8], off
	;; [unrolled: 1-line block ×6, first 2 shown]
	s_lshl_b64 s[10:11], s[10:11], 1
	s_cmpk_lt_u32 s48, 0x3800
	v_add_co_u32 v5, vcc_lo, v1, s10
	s_cselect_b32 s18, s49, 0x1b80
	v_add_co_ci_u32_e32 v6, vcc_lo, s11, v3, vcc_lo
	s_ashr_i32 s19, s18, 31
	s_delay_alu instid0(SALU_CYCLE_1)
	s_lshl_b64 s[18:19], s[18:19], 1
	s_cmpk_lt_u32 s48, 0x3900
	v_add_co_u32 v7, vcc_lo, v1, s18
	s_cselect_b32 s20, s49, 0x1c00
	v_add_co_ci_u32_e32 v8, vcc_lo, s19, v3, vcc_lo
	s_ashr_i32 s21, s20, 31
	global_load_u16 v16, v[5:6], off
	s_lshl_b64 s[20:21], s[20:21], 1
	global_load_u16 v37, v[7:8], off
	s_cmpk_lt_u32 s48, 0x3a00
	v_add_co_u32 v9, vcc_lo, v1, s20
	s_cselect_b32 s22, s49, 0x1c80
	v_add_co_ci_u32_e32 v10, vcc_lo, s21, v3, vcc_lo
	s_ashr_i32 s23, s22, 31
	s_delay_alu instid0(SALU_CYCLE_1)
	s_lshl_b64 s[22:23], s[22:23], 1
	s_cmpk_lt_u32 s48, 0x3b00
	v_add_co_u32 v11, vcc_lo, v1, s22
	s_cselect_b32 s4, s49, 0x1d00
	v_add_co_ci_u32_e32 v12, vcc_lo, s23, v3, vcc_lo
	s_ashr_i32 s5, s4, 31
	s_delay_alu instid0(SALU_CYCLE_1)
	s_lshl_b64 s[4:5], s[4:5], 1
	s_cmpk_lt_u32 s48, 0x3c00
	v_add_co_u32 v13, vcc_lo, v1, s4
	s_cselect_b32 s6, s49, 0x1d80
	v_add_co_ci_u32_e32 v14, vcc_lo, s5, v3, vcc_lo
	s_ashr_i32 s7, s6, 31
	s_clause 0x2
	global_load_u16 v38, v[9:10], off
	global_load_u16 v39, v[11:12], off
	;; [unrolled: 1-line block ×3, first 2 shown]
	s_lshl_b64 s[6:7], s[6:7], 1
	s_cmpk_lt_u32 s48, 0x3d00
	v_add_co_u32 v5, vcc_lo, v1, s6
	s_cselect_b32 s8, s49, 0x1e00
	v_add_co_ci_u32_e32 v6, vcc_lo, s7, v3, vcc_lo
	s_ashr_i32 s9, s8, 31
	s_delay_alu instid0(SALU_CYCLE_1)
	s_lshl_b64 s[4:5], s[8:9], 1
	s_cmpk_lt_u32 s48, 0x3e00
	v_add_co_u32 v7, vcc_lo, v1, s4
	s_cselect_b32 s8, s49, 0x1e80
	v_add_co_ci_u32_e32 v8, vcc_lo, s5, v3, vcc_lo
	s_ashr_i32 s9, s8, 31
	global_load_u16 v14, v[5:6], off
	s_lshl_b64 s[8:9], s[8:9], 1
	s_cmpk_lt_u32 s48, 0x3f00
	v_add_co_u32 v9, vcc_lo, v1, s8
	s_cselect_b32 s6, s49, 0x1f00
	v_add_co_ci_u32_e32 v10, vcc_lo, s9, v3, vcc_lo
	s_ashr_i32 s7, s6, 31
	s_clause 0x1
	global_load_u16 v40, v[7:8], off
	global_load_u16 v41, v[9:10], off
	s_lshl_b64 s[4:5], s[6:7], 1
	s_cmpk_lt_u32 s48, 0x4000
	v_add_co_u32 v5, vcc_lo, v1, s4
	s_cselect_b32 s6, s49, 0x1f80
	v_add_co_ci_u32_e32 v6, vcc_lo, s5, v3, vcc_lo
	s_ashr_i32 s7, s6, 31
	s_delay_alu instid0(SALU_CYCLE_1) | instskip(NEXT) | instid1(SALU_CYCLE_1)
	s_lshl_b64 s[4:5], s[6:7], 1
	v_add_co_u32 v7, vcc_lo, v1, s4
	v_add_co_ci_u32_e32 v8, vcc_lo, s5, v3, vcc_lo
	s_clause 0x1
	global_load_u16 v42, v[5:6], off
	global_load_u16 v43, v[7:8], off
	ds_load_b128 v[5:8], v44 offset:128
	ds_load_b128 v[9:12], v44 offset:144
	s_waitcnt vmcnt(31) lgkmcnt(1)
	v_fma_mix_f32 v2, v5, v2, v4 op_sel_hi:[0,1,0]
	s_waitcnt vmcnt(30)
	s_delay_alu instid0(VALU_DEP_1) | instskip(SKIP_1) | instid1(VALU_DEP_1)
	v_fma_mix_f32 v2, v6, v21, v2 op_sel_hi:[0,1,0]
	s_waitcnt vmcnt(29)
	v_fma_mix_f32 v2, v7, v22, v2 op_sel_hi:[0,1,0]
	ds_load_b128 v[4:7], v44 offset:160
	s_waitcnt vmcnt(28)
	v_fma_mix_f32 v2, v8, v23, v2 op_sel_hi:[0,1,0]
	s_waitcnt vmcnt(27) lgkmcnt(1)
	s_delay_alu instid0(VALU_DEP_1) | instskip(SKIP_1) | instid1(VALU_DEP_1)
	v_fma_mix_f32 v2, v9, v24, v2 op_sel_hi:[0,1,0]
	s_waitcnt vmcnt(26)
	v_fma_mix_f32 v2, v10, v25, v2 op_sel_hi:[0,1,0]
	s_waitcnt vmcnt(25)
	s_delay_alu instid0(VALU_DEP_1) | instskip(SKIP_4) | instid1(VALU_DEP_1)
	v_fma_mix_f32 v2, v11, v26, v2 op_sel_hi:[0,1,0]
	ds_load_b128 v[8:11], v44 offset:176
	s_waitcnt vmcnt(24)
	v_fma_mix_f32 v2, v12, v27, v2 op_sel_hi:[0,1,0]
	s_waitcnt vmcnt(23) lgkmcnt(1)
	v_fma_mix_f32 v2, v4, v28, v2 op_sel_hi:[0,1,0]
	s_waitcnt vmcnt(22)
	s_delay_alu instid0(VALU_DEP_1) | instskip(SKIP_1) | instid1(VALU_DEP_1)
	v_fma_mix_f32 v2, v5, v29, v2 op_sel_hi:[0,1,0]
	s_waitcnt vmcnt(21)
	v_fma_mix_f32 v2, v6, v30, v2 op_sel_hi:[0,1,0]
	s_waitcnt vmcnt(20)
	s_delay_alu instid0(VALU_DEP_1) | instskip(SKIP_4) | instid1(VALU_DEP_1)
	v_fma_mix_f32 v2, v7, v31, v2 op_sel_hi:[0,1,0]
	ds_load_b128 v[4:7], v44 offset:192
	s_waitcnt vmcnt(19) lgkmcnt(1)
	v_fma_mix_f32 v2, v8, v32, v2 op_sel_hi:[0,1,0]
	s_waitcnt vmcnt(18)
	v_fma_mix_f32 v2, v9, v33, v2 op_sel_hi:[0,1,0]
	s_waitcnt vmcnt(17)
	s_delay_alu instid0(VALU_DEP_1) | instskip(SKIP_1) | instid1(VALU_DEP_1)
	v_fma_mix_f32 v2, v10, v17, v2 op_sel_hi:[0,1,0]
	s_waitcnt vmcnt(16)
	v_fma_mix_f32 v2, v11, v18, v2 op_sel_hi:[0,1,0]
	ds_load_b128 v[8:11], v44 offset:208
	s_waitcnt vmcnt(15) lgkmcnt(1)
	v_fma_mix_f32 v2, v4, v19, v2 op_sel_hi:[0,1,0]
	s_waitcnt vmcnt(14)
	s_delay_alu instid0(VALU_DEP_1) | instskip(SKIP_1) | instid1(VALU_DEP_1)
	v_fma_mix_f32 v2, v5, v20, v2 op_sel_hi:[0,1,0]
	s_waitcnt vmcnt(13)
	v_fma_mix_f32 v2, v6, v34, v2 op_sel_hi:[0,1,0]
	s_waitcnt vmcnt(12)
	s_delay_alu instid0(VALU_DEP_1) | instskip(SKIP_4) | instid1(VALU_DEP_1)
	v_fma_mix_f32 v2, v7, v35, v2 op_sel_hi:[0,1,0]
	ds_load_b128 v[4:7], v44 offset:224
	s_waitcnt vmcnt(11) lgkmcnt(1)
	v_fma_mix_f32 v2, v8, v36, v2 op_sel_hi:[0,1,0]
	s_waitcnt vmcnt(10)
	v_fma_mix_f32 v2, v9, v15, v2 op_sel_hi:[0,1,0]
	s_waitcnt vmcnt(9)
	s_delay_alu instid0(VALU_DEP_1) | instskip(SKIP_1) | instid1(VALU_DEP_1)
	v_fma_mix_f32 v2, v10, v16, v2 op_sel_hi:[0,1,0]
	s_waitcnt vmcnt(8)
	v_fma_mix_f32 v2, v11, v37, v2 op_sel_hi:[0,1,0]
	ds_load_b128 v[8:11], v44 offset:240
	s_waitcnt vmcnt(7) lgkmcnt(1)
	v_fma_mix_f32 v2, v4, v38, v2 op_sel_hi:[0,1,0]
	s_waitcnt vmcnt(6)
	s_delay_alu instid0(VALU_DEP_1) | instskip(SKIP_1) | instid1(VALU_DEP_1)
	v_fma_mix_f32 v2, v5, v39, v2 op_sel_hi:[0,1,0]
	s_waitcnt vmcnt(5)
	v_fma_mix_f32 v2, v6, v13, v2 op_sel_hi:[0,1,0]
	s_waitcnt vmcnt(4)
	s_delay_alu instid0(VALU_DEP_1) | instskip(SKIP_1) | instid1(VALU_DEP_1)
	v_fma_mix_f32 v2, v7, v14, v2 op_sel_hi:[0,1,0]
	s_waitcnt vmcnt(3) lgkmcnt(0)
	v_fma_mix_f32 v2, v8, v40, v2 op_sel_hi:[0,1,0]
	s_waitcnt vmcnt(2)
	s_delay_alu instid0(VALU_DEP_1) | instskip(SKIP_1) | instid1(VALU_DEP_1)
	v_fma_mix_f32 v2, v9, v41, v2 op_sel_hi:[0,1,0]
	s_waitcnt vmcnt(1)
	v_fma_mix_f32 v2, v10, v42, v2 op_sel_hi:[0,1,0]
	s_waitcnt vmcnt(0)
	s_delay_alu instid0(VALU_DEP_1)
	v_fma_mix_f32 v4, v11, v43, v2 op_sel_hi:[0,1,0]
	s_cmpk_lt_i32 s48, 0x4100
	s_cbranch_scc1 .LBB213_14
.LBB213_21:
	s_cmpk_lt_u32 s48, 0x4200
	v_add_co_u32 v5, vcc_lo, 0x4000, v1
	s_cselect_b32 s4, s49, 0x2080
	v_add_co_ci_u32_e32 v6, vcc_lo, 0, v3, vcc_lo
	s_ashr_i32 s5, s4, 31
	v_mov_b32_e32 v44, 0
	s_lshl_b64 s[4:5], s[4:5], 1
	s_cmpk_lt_u32 s48, 0x4300
	v_add_co_u32 v7, vcc_lo, v1, s4
	s_cselect_b32 s6, s49, 0x2100
	v_add_co_ci_u32_e32 v8, vcc_lo, s5, v3, vcc_lo
	s_ashr_i32 s7, s6, 31
	s_delay_alu instid0(SALU_CYCLE_1)
	s_lshl_b64 s[6:7], s[6:7], 1
	s_cmpk_lt_u32 s48, 0x4400
	v_add_co_u32 v9, vcc_lo, v1, s6
	s_cselect_b32 s8, s49, 0x2180
	v_add_co_ci_u32_e32 v10, vcc_lo, s7, v3, vcc_lo
	s_ashr_i32 s9, s8, 31
	s_delay_alu instid0(SALU_CYCLE_1)
	;; [unrolled: 7-line block ×6, first 2 shown]
	s_lshl_b64 s[26:27], s[18:19], 1
	s_cmpk_lt_u32 s48, 0x4900
	v_add_co_u32 v19, vcc_lo, v1, s26
	s_cselect_b32 s18, s49, 0x2400
	v_add_co_ci_u32_e32 v20, vcc_lo, s27, v3, vcc_lo
	s_ashr_i32 s19, s18, 31
	s_clause 0x7
	global_load_u16 v2, v[5:6], off
	global_load_u16 v21, v[7:8], off
	;; [unrolled: 1-line block ×8, first 2 shown]
	s_lshl_b64 s[18:19], s[18:19], 1
	s_cmpk_lt_u32 s48, 0x4a00
	v_add_co_u32 v5, vcc_lo, v1, s18
	s_cselect_b32 s24, s49, 0x2480
	v_add_co_ci_u32_e32 v6, vcc_lo, s19, v3, vcc_lo
	s_ashr_i32 s25, s24, 31
	s_delay_alu instid0(SALU_CYCLE_1)
	s_lshl_b64 s[24:25], s[24:25], 1
	s_cmpk_lt_u32 s48, 0x4b00
	v_add_co_u32 v7, vcc_lo, v1, s24
	s_cselect_b32 s28, s49, 0x2500
	v_add_co_ci_u32_e32 v8, vcc_lo, s25, v3, vcc_lo
	s_ashr_i32 s29, s28, 31
	s_delay_alu instid0(SALU_CYCLE_1)
	;; [unrolled: 7-line block ×7, first 2 shown]
	s_lshl_b64 s[44:45], s[36:37], 1
	s_cmpk_lt_u32 s48, 0x5100
	v_add_co_u32 v19, vcc_lo, v1, s44
	s_cselect_b32 s36, s49, 0x2800
	v_add_co_ci_u32_e32 v20, vcc_lo, s45, v3, vcc_lo
	s_ashr_i32 s37, s36, 31
	s_clause 0x7
	global_load_u16 v28, v[5:6], off
	global_load_u16 v29, v[7:8], off
	;; [unrolled: 1-line block ×8, first 2 shown]
	s_lshl_b64 s[36:37], s[36:37], 1
	s_cmpk_lt_u32 s48, 0x5200
	v_add_co_u32 v5, vcc_lo, v1, s36
	s_cselect_b32 s42, s49, 0x2880
	v_add_co_ci_u32_e32 v6, vcc_lo, s37, v3, vcc_lo
	s_ashr_i32 s43, s42, 31
	s_delay_alu instid0(SALU_CYCLE_1)
	s_lshl_b64 s[42:43], s[42:43], 1
	s_cmpk_lt_u32 s48, 0x5300
	v_add_co_u32 v7, vcc_lo, v1, s42
	s_cselect_b32 s46, s49, 0x2900
	v_add_co_ci_u32_e32 v8, vcc_lo, s43, v3, vcc_lo
	s_ashr_i32 s47, s46, 31
	s_delay_alu instid0(SALU_CYCLE_1)
	;; [unrolled: 7-line block ×5, first 2 shown]
	s_lshl_b64 s[8:9], s[8:9], 1
	s_cmpk_lt_u32 s48, 0x5700
	v_add_co_u32 v15, vcc_lo, v1, s8
	s_cselect_b32 s10, s49, 0x2b00
	v_add_co_ci_u32_e32 v16, vcc_lo, s9, v3, vcc_lo
	s_ashr_i32 s11, s10, 31
	s_clause 0x5
	global_load_u16 v19, v[5:6], off
	global_load_u16 v20, v[7:8], off
	;; [unrolled: 1-line block ×6, first 2 shown]
	s_lshl_b64 s[10:11], s[10:11], 1
	s_cmpk_lt_u32 s48, 0x5800
	v_add_co_u32 v5, vcc_lo, v1, s10
	s_cselect_b32 s18, s49, 0x2b80
	v_add_co_ci_u32_e32 v6, vcc_lo, s11, v3, vcc_lo
	s_ashr_i32 s19, s18, 31
	s_delay_alu instid0(SALU_CYCLE_1)
	s_lshl_b64 s[18:19], s[18:19], 1
	s_cmpk_lt_u32 s48, 0x5900
	v_add_co_u32 v7, vcc_lo, v1, s18
	s_cselect_b32 s20, s49, 0x2c00
	v_add_co_ci_u32_e32 v8, vcc_lo, s19, v3, vcc_lo
	s_ashr_i32 s21, s20, 31
	global_load_u16 v16, v[5:6], off
	s_lshl_b64 s[20:21], s[20:21], 1
	global_load_u16 v37, v[7:8], off
	s_cmpk_lt_u32 s48, 0x5a00
	v_add_co_u32 v9, vcc_lo, v1, s20
	s_cselect_b32 s22, s49, 0x2c80
	v_add_co_ci_u32_e32 v10, vcc_lo, s21, v3, vcc_lo
	s_ashr_i32 s23, s22, 31
	s_delay_alu instid0(SALU_CYCLE_1)
	s_lshl_b64 s[22:23], s[22:23], 1
	s_cmpk_lt_u32 s48, 0x5b00
	v_add_co_u32 v11, vcc_lo, v1, s22
	s_cselect_b32 s4, s49, 0x2d00
	v_add_co_ci_u32_e32 v12, vcc_lo, s23, v3, vcc_lo
	s_ashr_i32 s5, s4, 31
	s_delay_alu instid0(SALU_CYCLE_1)
	s_lshl_b64 s[4:5], s[4:5], 1
	s_cmpk_lt_u32 s48, 0x5c00
	v_add_co_u32 v13, vcc_lo, v1, s4
	s_cselect_b32 s6, s49, 0x2d80
	v_add_co_ci_u32_e32 v14, vcc_lo, s5, v3, vcc_lo
	s_ashr_i32 s7, s6, 31
	s_clause 0x2
	global_load_u16 v38, v[9:10], off
	global_load_u16 v39, v[11:12], off
	;; [unrolled: 1-line block ×3, first 2 shown]
	s_lshl_b64 s[6:7], s[6:7], 1
	s_cmpk_lt_u32 s48, 0x5d00
	v_add_co_u32 v5, vcc_lo, v1, s6
	s_cselect_b32 s8, s49, 0x2e00
	v_add_co_ci_u32_e32 v6, vcc_lo, s7, v3, vcc_lo
	s_ashr_i32 s9, s8, 31
	s_delay_alu instid0(SALU_CYCLE_1)
	s_lshl_b64 s[4:5], s[8:9], 1
	s_cmpk_lt_u32 s48, 0x5e00
	v_add_co_u32 v7, vcc_lo, v1, s4
	s_cselect_b32 s8, s49, 0x2e80
	v_add_co_ci_u32_e32 v8, vcc_lo, s5, v3, vcc_lo
	s_ashr_i32 s9, s8, 31
	global_load_u16 v14, v[5:6], off
	s_lshl_b64 s[8:9], s[8:9], 1
	s_cmpk_lt_u32 s48, 0x5f00
	v_add_co_u32 v9, vcc_lo, v1, s8
	s_cselect_b32 s6, s49, 0x2f00
	v_add_co_ci_u32_e32 v10, vcc_lo, s9, v3, vcc_lo
	s_ashr_i32 s7, s6, 31
	s_clause 0x1
	global_load_u16 v40, v[7:8], off
	global_load_u16 v41, v[9:10], off
	s_lshl_b64 s[4:5], s[6:7], 1
	s_cmpk_lt_u32 s48, 0x6000
	v_add_co_u32 v5, vcc_lo, v1, s4
	s_cselect_b32 s6, s49, 0x2f80
	v_add_co_ci_u32_e32 v6, vcc_lo, s5, v3, vcc_lo
	s_ashr_i32 s7, s6, 31
	s_delay_alu instid0(SALU_CYCLE_1) | instskip(NEXT) | instid1(SALU_CYCLE_1)
	s_lshl_b64 s[4:5], s[6:7], 1
	v_add_co_u32 v7, vcc_lo, v1, s4
	v_add_co_ci_u32_e32 v8, vcc_lo, s5, v3, vcc_lo
	s_clause 0x1
	global_load_u16 v42, v[5:6], off
	global_load_u16 v43, v[7:8], off
	ds_load_b128 v[5:8], v44 offset:256
	ds_load_b128 v[9:12], v44 offset:272
	s_waitcnt vmcnt(31) lgkmcnt(1)
	v_fma_mix_f32 v2, v5, v2, v4 op_sel_hi:[0,1,0]
	s_waitcnt vmcnt(30)
	s_delay_alu instid0(VALU_DEP_1) | instskip(SKIP_1) | instid1(VALU_DEP_1)
	v_fma_mix_f32 v2, v6, v21, v2 op_sel_hi:[0,1,0]
	s_waitcnt vmcnt(29)
	v_fma_mix_f32 v2, v7, v22, v2 op_sel_hi:[0,1,0]
	ds_load_b128 v[4:7], v44 offset:288
	s_waitcnt vmcnt(28)
	v_fma_mix_f32 v2, v8, v23, v2 op_sel_hi:[0,1,0]
	s_waitcnt vmcnt(27) lgkmcnt(1)
	s_delay_alu instid0(VALU_DEP_1) | instskip(SKIP_1) | instid1(VALU_DEP_1)
	v_fma_mix_f32 v2, v9, v24, v2 op_sel_hi:[0,1,0]
	s_waitcnt vmcnt(26)
	v_fma_mix_f32 v2, v10, v25, v2 op_sel_hi:[0,1,0]
	s_waitcnt vmcnt(25)
	s_delay_alu instid0(VALU_DEP_1) | instskip(SKIP_4) | instid1(VALU_DEP_1)
	v_fma_mix_f32 v2, v11, v26, v2 op_sel_hi:[0,1,0]
	ds_load_b128 v[8:11], v44 offset:304
	s_waitcnt vmcnt(24)
	v_fma_mix_f32 v2, v12, v27, v2 op_sel_hi:[0,1,0]
	s_waitcnt vmcnt(23) lgkmcnt(1)
	v_fma_mix_f32 v2, v4, v28, v2 op_sel_hi:[0,1,0]
	s_waitcnt vmcnt(22)
	s_delay_alu instid0(VALU_DEP_1) | instskip(SKIP_1) | instid1(VALU_DEP_1)
	v_fma_mix_f32 v2, v5, v29, v2 op_sel_hi:[0,1,0]
	s_waitcnt vmcnt(21)
	v_fma_mix_f32 v2, v6, v30, v2 op_sel_hi:[0,1,0]
	s_waitcnt vmcnt(20)
	s_delay_alu instid0(VALU_DEP_1) | instskip(SKIP_4) | instid1(VALU_DEP_1)
	v_fma_mix_f32 v2, v7, v31, v2 op_sel_hi:[0,1,0]
	ds_load_b128 v[4:7], v44 offset:320
	s_waitcnt vmcnt(19) lgkmcnt(1)
	v_fma_mix_f32 v2, v8, v32, v2 op_sel_hi:[0,1,0]
	s_waitcnt vmcnt(18)
	v_fma_mix_f32 v2, v9, v33, v2 op_sel_hi:[0,1,0]
	s_waitcnt vmcnt(17)
	s_delay_alu instid0(VALU_DEP_1) | instskip(SKIP_1) | instid1(VALU_DEP_1)
	v_fma_mix_f32 v2, v10, v17, v2 op_sel_hi:[0,1,0]
	s_waitcnt vmcnt(16)
	v_fma_mix_f32 v2, v11, v18, v2 op_sel_hi:[0,1,0]
	ds_load_b128 v[8:11], v44 offset:336
	s_waitcnt vmcnt(15) lgkmcnt(1)
	v_fma_mix_f32 v2, v4, v19, v2 op_sel_hi:[0,1,0]
	s_waitcnt vmcnt(14)
	s_delay_alu instid0(VALU_DEP_1) | instskip(SKIP_1) | instid1(VALU_DEP_1)
	v_fma_mix_f32 v2, v5, v20, v2 op_sel_hi:[0,1,0]
	s_waitcnt vmcnt(13)
	v_fma_mix_f32 v2, v6, v34, v2 op_sel_hi:[0,1,0]
	s_waitcnt vmcnt(12)
	s_delay_alu instid0(VALU_DEP_1) | instskip(SKIP_4) | instid1(VALU_DEP_1)
	v_fma_mix_f32 v2, v7, v35, v2 op_sel_hi:[0,1,0]
	ds_load_b128 v[4:7], v44 offset:352
	s_waitcnt vmcnt(11) lgkmcnt(1)
	v_fma_mix_f32 v2, v8, v36, v2 op_sel_hi:[0,1,0]
	s_waitcnt vmcnt(10)
	v_fma_mix_f32 v2, v9, v15, v2 op_sel_hi:[0,1,0]
	s_waitcnt vmcnt(9)
	s_delay_alu instid0(VALU_DEP_1) | instskip(SKIP_1) | instid1(VALU_DEP_1)
	v_fma_mix_f32 v2, v10, v16, v2 op_sel_hi:[0,1,0]
	s_waitcnt vmcnt(8)
	v_fma_mix_f32 v2, v11, v37, v2 op_sel_hi:[0,1,0]
	ds_load_b128 v[8:11], v44 offset:368
	s_waitcnt vmcnt(7) lgkmcnt(1)
	v_fma_mix_f32 v2, v4, v38, v2 op_sel_hi:[0,1,0]
	s_waitcnt vmcnt(6)
	s_delay_alu instid0(VALU_DEP_1) | instskip(SKIP_1) | instid1(VALU_DEP_1)
	v_fma_mix_f32 v2, v5, v39, v2 op_sel_hi:[0,1,0]
	s_waitcnt vmcnt(5)
	v_fma_mix_f32 v2, v6, v13, v2 op_sel_hi:[0,1,0]
	s_waitcnt vmcnt(4)
	s_delay_alu instid0(VALU_DEP_1) | instskip(SKIP_1) | instid1(VALU_DEP_1)
	v_fma_mix_f32 v2, v7, v14, v2 op_sel_hi:[0,1,0]
	s_waitcnt vmcnt(3) lgkmcnt(0)
	v_fma_mix_f32 v2, v8, v40, v2 op_sel_hi:[0,1,0]
	s_waitcnt vmcnt(2)
	s_delay_alu instid0(VALU_DEP_1) | instskip(SKIP_1) | instid1(VALU_DEP_1)
	v_fma_mix_f32 v2, v9, v41, v2 op_sel_hi:[0,1,0]
	s_waitcnt vmcnt(1)
	v_fma_mix_f32 v2, v10, v42, v2 op_sel_hi:[0,1,0]
	s_waitcnt vmcnt(0)
	s_delay_alu instid0(VALU_DEP_1)
	v_fma_mix_f32 v4, v11, v43, v2 op_sel_hi:[0,1,0]
	s_load_b64 s[0:1], s[0:1], 0x0
	s_cmpk_lt_i32 s48, 0x6100
	s_cbranch_scc1 .LBB213_15
.LBB213_22:
	s_cmpk_lt_u32 s48, 0x6200
	v_add_co_u32 v5, vcc_lo, 0x6000, v1
	s_cselect_b32 s4, s49, 0x3080
	v_add_co_ci_u32_e32 v6, vcc_lo, 0, v3, vcc_lo
	s_ashr_i32 s5, s4, 31
	v_mov_b32_e32 v45, 0
	s_lshl_b64 s[4:5], s[4:5], 1
	s_cmpk_lt_u32 s48, 0x6300
	v_add_co_u32 v7, vcc_lo, v1, s4
	s_cselect_b32 s6, s49, 0x3100
	v_add_co_ci_u32_e32 v8, vcc_lo, s5, v3, vcc_lo
	s_ashr_i32 s7, s6, 31
	s_delay_alu instid0(SALU_CYCLE_1)
	s_lshl_b64 s[6:7], s[6:7], 1
	s_cmpk_lt_u32 s48, 0x6400
	v_add_co_u32 v9, vcc_lo, v1, s6
	s_cselect_b32 s8, s49, 0x3180
	v_add_co_ci_u32_e32 v10, vcc_lo, s7, v3, vcc_lo
	s_ashr_i32 s9, s8, 31
	s_delay_alu instid0(SALU_CYCLE_1)
	;; [unrolled: 7-line block ×6, first 2 shown]
	s_lshl_b64 s[26:27], s[18:19], 1
	s_cmpk_lt_u32 s48, 0x6900
	v_add_co_u32 v19, vcc_lo, v1, s26
	s_cselect_b32 s18, s49, 0x3400
	v_add_co_ci_u32_e32 v20, vcc_lo, s27, v3, vcc_lo
	s_ashr_i32 s19, s18, 31
	s_clause 0x7
	global_load_u16 v21, v[5:6], off
	global_load_u16 v22, v[7:8], off
	;; [unrolled: 1-line block ×8, first 2 shown]
	s_lshl_b64 s[18:19], s[18:19], 1
	s_cmpk_lt_u32 s48, 0x6a00
	v_add_co_u32 v5, vcc_lo, v1, s18
	s_cselect_b32 s24, s49, 0x3480
	v_add_co_ci_u32_e32 v6, vcc_lo, s19, v3, vcc_lo
	s_ashr_i32 s25, s24, 31
	s_delay_alu instid0(SALU_CYCLE_1)
	s_lshl_b64 s[24:25], s[24:25], 1
	s_cmpk_lt_u32 s48, 0x6b00
	v_add_co_u32 v7, vcc_lo, v1, s24
	s_cselect_b32 s28, s49, 0x3500
	v_add_co_ci_u32_e32 v8, vcc_lo, s25, v3, vcc_lo
	s_ashr_i32 s29, s28, 31
	s_delay_alu instid0(SALU_CYCLE_1)
	;; [unrolled: 7-line block ×7, first 2 shown]
	s_lshl_b64 s[44:45], s[36:37], 1
	s_cmpk_lt_u32 s48, 0x7100
	v_add_co_u32 v19, vcc_lo, v1, s44
	s_cselect_b32 s36, s49, 0x3800
	v_add_co_ci_u32_e32 v20, vcc_lo, s45, v3, vcc_lo
	s_ashr_i32 s37, s36, 31
	s_clause 0x7
	global_load_u16 v29, v[5:6], off
	global_load_u16 v30, v[7:8], off
	;; [unrolled: 1-line block ×8, first 2 shown]
	s_lshl_b64 s[36:37], s[36:37], 1
	s_cmpk_lt_u32 s48, 0x7200
	v_add_co_u32 v5, vcc_lo, v1, s36
	s_cselect_b32 s42, s49, 0x3880
	v_add_co_ci_u32_e32 v6, vcc_lo, s37, v3, vcc_lo
	s_ashr_i32 s43, s42, 31
	s_delay_alu instid0(SALU_CYCLE_1)
	s_lshl_b64 s[42:43], s[42:43], 1
	s_cmpk_lt_u32 s48, 0x7300
	v_add_co_u32 v7, vcc_lo, v1, s42
	s_cselect_b32 s46, s49, 0x3900
	v_add_co_ci_u32_e32 v8, vcc_lo, s43, v3, vcc_lo
	s_ashr_i32 s47, s46, 31
	s_delay_alu instid0(SALU_CYCLE_1)
	;; [unrolled: 7-line block ×5, first 2 shown]
	s_lshl_b64 s[8:9], s[8:9], 1
	s_cmpk_lt_u32 s48, 0x7700
	v_add_co_u32 v15, vcc_lo, v1, s8
	s_cselect_b32 s10, s49, 0x3b00
	v_add_co_ci_u32_e32 v16, vcc_lo, s9, v3, vcc_lo
	s_ashr_i32 s11, s10, 31
	s_clause 0x5
	global_load_u16 v19, v[5:6], off
	global_load_u16 v20, v[7:8], off
	;; [unrolled: 1-line block ×6, first 2 shown]
	s_lshl_b64 s[10:11], s[10:11], 1
	s_cmpk_lt_u32 s48, 0x7800
	v_add_co_u32 v5, vcc_lo, v1, s10
	s_cselect_b32 s18, s49, 0x3b80
	v_add_co_ci_u32_e32 v6, vcc_lo, s11, v3, vcc_lo
	s_ashr_i32 s19, s18, 31
	s_delay_alu instid0(SALU_CYCLE_1)
	s_lshl_b64 s[18:19], s[18:19], 1
	s_cmpk_lt_u32 s48, 0x7900
	v_add_co_u32 v7, vcc_lo, v1, s18
	s_cselect_b32 s20, s49, 0x3c00
	v_add_co_ci_u32_e32 v8, vcc_lo, s19, v3, vcc_lo
	s_ashr_i32 s21, s20, 31
	global_load_u16 v16, v[5:6], off
	s_lshl_b64 s[20:21], s[20:21], 1
	global_load_u16 v38, v[7:8], off
	s_cmpk_lt_u32 s48, 0x7a00
	v_add_co_u32 v9, vcc_lo, v1, s20
	s_cselect_b32 s22, s49, 0x3c80
	v_add_co_ci_u32_e32 v10, vcc_lo, s21, v3, vcc_lo
	s_ashr_i32 s23, s22, 31
	s_delay_alu instid0(SALU_CYCLE_1)
	s_lshl_b64 s[22:23], s[22:23], 1
	s_cmpk_lt_u32 s48, 0x7b00
	v_add_co_u32 v11, vcc_lo, v1, s22
	s_cselect_b32 s4, s49, 0x3d00
	v_add_co_ci_u32_e32 v12, vcc_lo, s23, v3, vcc_lo
	s_ashr_i32 s5, s4, 31
	s_delay_alu instid0(SALU_CYCLE_1)
	s_lshl_b64 s[4:5], s[4:5], 1
	s_cmpk_lt_u32 s48, 0x7c00
	v_add_co_u32 v13, vcc_lo, v1, s4
	s_cselect_b32 s6, s49, 0x3d80
	v_add_co_ci_u32_e32 v14, vcc_lo, s5, v3, vcc_lo
	s_ashr_i32 s7, s6, 31
	s_clause 0x2
	global_load_u16 v39, v[9:10], off
	global_load_u16 v40, v[11:12], off
	;; [unrolled: 1-line block ×3, first 2 shown]
	s_lshl_b64 s[6:7], s[6:7], 1
	s_cmpk_lt_u32 s48, 0x7d00
	v_add_co_u32 v5, vcc_lo, v1, s6
	s_cselect_b32 s8, s49, 0x3e00
	v_add_co_ci_u32_e32 v6, vcc_lo, s7, v3, vcc_lo
	s_ashr_i32 s9, s8, 31
	s_delay_alu instid0(SALU_CYCLE_1)
	s_lshl_b64 s[4:5], s[8:9], 1
	s_cmpk_lt_u32 s48, 0x7e00
	v_add_co_u32 v7, vcc_lo, v1, s4
	s_cselect_b32 s8, s49, 0x3e80
	v_add_co_ci_u32_e32 v8, vcc_lo, s5, v3, vcc_lo
	s_ashr_i32 s9, s8, 31
	global_load_u16 v14, v[5:6], off
	s_lshl_b64 s[8:9], s[8:9], 1
	s_cmpk_lt_u32 s48, 0x7f00
	v_add_co_u32 v9, vcc_lo, v1, s8
	s_cselect_b32 s6, s49, 0x3f00
	v_add_co_ci_u32_e32 v10, vcc_lo, s9, v3, vcc_lo
	s_ashr_i32 s7, s6, 31
	s_clause 0x1
	global_load_u16 v41, v[7:8], off
	global_load_u16 v42, v[9:10], off
	s_lshl_b64 s[4:5], s[6:7], 1
	s_cmpk_lt_u32 s48, 0x8000
	v_add_co_u32 v5, vcc_lo, v1, s4
	s_cselect_b32 s6, s49, 0x3f80
	v_add_co_ci_u32_e32 v6, vcc_lo, s5, v3, vcc_lo
	s_ashr_i32 s7, s6, 31
	s_delay_alu instid0(SALU_CYCLE_1) | instskip(NEXT) | instid1(SALU_CYCLE_1)
	s_lshl_b64 s[4:5], s[6:7], 1
	v_add_co_u32 v1, vcc_lo, v1, s4
	v_add_co_ci_u32_e32 v2, vcc_lo, s5, v3, vcc_lo
	s_clause 0x1
	global_load_u16 v43, v[5:6], off
	global_load_u16 v44, v[1:2], off
	ds_load_b128 v[5:8], v45 offset:384
	ds_load_b128 v[9:12], v45 offset:400
	s_waitcnt vmcnt(31) lgkmcnt(0)
	v_fma_mix_f32 v1, v5, v21, v4 op_sel_hi:[0,1,0]
	s_waitcnt vmcnt(30)
	s_delay_alu instid0(VALU_DEP_1) | instskip(SKIP_1) | instid1(VALU_DEP_1)
	v_fma_mix_f32 v1, v6, v22, v1 op_sel_hi:[0,1,0]
	s_waitcnt vmcnt(29)
	v_fma_mix_f32 v1, v7, v23, v1 op_sel_hi:[0,1,0]
	s_waitcnt vmcnt(28)
	s_delay_alu instid0(VALU_DEP_1) | instskip(SKIP_1) | instid1(VALU_DEP_1)
	v_fma_mix_f32 v1, v8, v24, v1 op_sel_hi:[0,1,0]
	s_waitcnt vmcnt(27)
	v_fma_mix_f32 v5, v9, v25, v1 op_sel_hi:[0,1,0]
	ds_load_b128 v[1:4], v45 offset:416
	s_waitcnt vmcnt(26)
	v_fma_mix_f32 v5, v10, v26, v5 op_sel_hi:[0,1,0]
	s_waitcnt vmcnt(25)
	s_delay_alu instid0(VALU_DEP_1) | instskip(SKIP_1) | instid1(VALU_DEP_1)
	v_fma_mix_f32 v5, v11, v27, v5 op_sel_hi:[0,1,0]
	s_waitcnt vmcnt(24)
	v_fma_mix_f32 v9, v12, v28, v5 op_sel_hi:[0,1,0]
	ds_load_b128 v[5:8], v45 offset:432
	s_waitcnt vmcnt(23) lgkmcnt(1)
	v_fma_mix_f32 v1, v1, v29, v9 op_sel_hi:[0,1,0]
	s_waitcnt vmcnt(22)
	s_delay_alu instid0(VALU_DEP_1) | instskip(SKIP_1) | instid1(VALU_DEP_1)
	v_fma_mix_f32 v1, v2, v30, v1 op_sel_hi:[0,1,0]
	s_waitcnt vmcnt(21)
	v_fma_mix_f32 v1, v3, v31, v1 op_sel_hi:[0,1,0]
	s_waitcnt vmcnt(20)
	s_delay_alu instid0(VALU_DEP_1) | instskip(SKIP_1) | instid1(VALU_DEP_1)
	v_fma_mix_f32 v1, v4, v32, v1 op_sel_hi:[0,1,0]
	s_waitcnt vmcnt(19) lgkmcnt(0)
	v_fma_mix_f32 v5, v5, v33, v1 op_sel_hi:[0,1,0]
	ds_load_b128 v[1:4], v45 offset:448
	s_waitcnt vmcnt(18)
	v_fma_mix_f32 v5, v6, v34, v5 op_sel_hi:[0,1,0]
	s_waitcnt vmcnt(17)
	s_delay_alu instid0(VALU_DEP_1) | instskip(SKIP_1) | instid1(VALU_DEP_1)
	v_fma_mix_f32 v5, v7, v17, v5 op_sel_hi:[0,1,0]
	s_waitcnt vmcnt(16)
	v_fma_mix_f32 v9, v8, v18, v5 op_sel_hi:[0,1,0]
	ds_load_b128 v[5:8], v45 offset:464
	s_waitcnt vmcnt(15) lgkmcnt(1)
	v_fma_mix_f32 v1, v1, v19, v9 op_sel_hi:[0,1,0]
	s_waitcnt vmcnt(14)
	s_delay_alu instid0(VALU_DEP_1) | instskip(SKIP_1) | instid1(VALU_DEP_1)
	v_fma_mix_f32 v1, v2, v20, v1 op_sel_hi:[0,1,0]
	s_waitcnt vmcnt(13)
	v_fma_mix_f32 v1, v3, v35, v1 op_sel_hi:[0,1,0]
	s_waitcnt vmcnt(12)
	s_delay_alu instid0(VALU_DEP_1) | instskip(SKIP_1) | instid1(VALU_DEP_1)
	v_fma_mix_f32 v1, v4, v36, v1 op_sel_hi:[0,1,0]
	s_waitcnt vmcnt(11) lgkmcnt(0)
	;; [unrolled: 21-line block ×3, first 2 shown]
	v_fma_mix_f32 v1, v5, v41, v1 op_sel_hi:[0,1,0]
	s_waitcnt vmcnt(2)
	s_delay_alu instid0(VALU_DEP_1) | instskip(SKIP_1) | instid1(VALU_DEP_1)
	v_fma_mix_f32 v1, v6, v42, v1 op_sel_hi:[0,1,0]
	s_waitcnt vmcnt(1)
	v_fma_mix_f32 v1, v7, v43, v1 op_sel_hi:[0,1,0]
	s_waitcnt vmcnt(0)
	s_delay_alu instid0(VALU_DEP_1)
	v_fma_mix_f32 v4, v8, v44, v1 op_sel_hi:[0,1,0]
	v_mov_b32_e32 v1, 0
	s_and_not1_b32 vcc_lo, exec_lo, s15
	ds_load_b32 v1, v1 offset:512
	s_cbranch_vccz .LBB213_16
	s_branch .LBB213_17
	.section	.rodata,"a",@progbits
	.p2align	6, 0x0
	.amdhsa_kernel _Z35paged_attention_ll4mi_reduce_kernelIDF16_hLi128ELi128ELi256ELi4EEvPT0_PKfS3_PKT_PKiS8_iS3_
		.amdhsa_group_segment_fixed_size 516
		.amdhsa_private_segment_fixed_size 0
		.amdhsa_kernarg_size 320
		.amdhsa_user_sgpr_count 14
		.amdhsa_user_sgpr_dispatch_ptr 0
		.amdhsa_user_sgpr_queue_ptr 0
		.amdhsa_user_sgpr_kernarg_segment_ptr 1
		.amdhsa_user_sgpr_dispatch_id 0
		.amdhsa_user_sgpr_private_segment_size 0
		.amdhsa_wavefront_size32 1
		.amdhsa_uses_dynamic_stack 0
		.amdhsa_enable_private_segment 0
		.amdhsa_system_sgpr_workgroup_id_x 1
		.amdhsa_system_sgpr_workgroup_id_y 1
		.amdhsa_system_sgpr_workgroup_id_z 0
		.amdhsa_system_sgpr_workgroup_info 0
		.amdhsa_system_vgpr_workitem_id 0
		.amdhsa_next_free_vgpr 48
		.amdhsa_next_free_sgpr 52
		.amdhsa_reserve_vcc 1
		.amdhsa_float_round_mode_32 0
		.amdhsa_float_round_mode_16_64 0
		.amdhsa_float_denorm_mode_32 3
		.amdhsa_float_denorm_mode_16_64 3
		.amdhsa_dx10_clamp 1
		.amdhsa_ieee_mode 1
		.amdhsa_fp16_overflow 0
		.amdhsa_workgroup_processor_mode 1
		.amdhsa_memory_ordered 1
		.amdhsa_forward_progress 0
		.amdhsa_shared_vgpr_count 0
		.amdhsa_exception_fp_ieee_invalid_op 0
		.amdhsa_exception_fp_denorm_src 0
		.amdhsa_exception_fp_ieee_div_zero 0
		.amdhsa_exception_fp_ieee_overflow 0
		.amdhsa_exception_fp_ieee_underflow 0
		.amdhsa_exception_fp_ieee_inexact 0
		.amdhsa_exception_int_div_zero 0
	.end_amdhsa_kernel
	.section	.text._Z35paged_attention_ll4mi_reduce_kernelIDF16_hLi128ELi128ELi256ELi4EEvPT0_PKfS3_PKT_PKiS8_iS3_,"axG",@progbits,_Z35paged_attention_ll4mi_reduce_kernelIDF16_hLi128ELi128ELi256ELi4EEvPT0_PKfS3_PKT_PKiS8_iS3_,comdat
.Lfunc_end213:
	.size	_Z35paged_attention_ll4mi_reduce_kernelIDF16_hLi128ELi128ELi256ELi4EEvPT0_PKfS3_PKT_PKiS8_iS3_, .Lfunc_end213-_Z35paged_attention_ll4mi_reduce_kernelIDF16_hLi128ELi128ELi256ELi4EEvPT0_PKfS3_PKT_PKiS8_iS3_
                                        ; -- End function
	.section	.AMDGPU.csdata,"",@progbits
; Kernel info:
; codeLenInByte = 9528
; NumSgprs: 54
; NumVgprs: 48
; ScratchSize: 0
; MemoryBound: 0
; FloatMode: 240
; IeeeMode: 1
; LDSByteSize: 516 bytes/workgroup (compile time only)
; SGPRBlocks: 6
; VGPRBlocks: 5
; NumSGPRsForWavesPerEU: 54
; NumVGPRsForWavesPerEU: 48
; Occupancy: 16
; WaveLimiterHint : 0
; COMPUTE_PGM_RSRC2:SCRATCH_EN: 0
; COMPUTE_PGM_RSRC2:USER_SGPR: 14
; COMPUTE_PGM_RSRC2:TRAP_HANDLER: 0
; COMPUTE_PGM_RSRC2:TGID_X_EN: 1
; COMPUTE_PGM_RSRC2:TGID_Y_EN: 1
; COMPUTE_PGM_RSRC2:TGID_Z_EN: 0
; COMPUTE_PGM_RSRC2:TIDIG_COMP_CNT: 0
	.section	.text._Z35paged_attention_ll4mi_reduce_kernelIDF16_hLi128ELi128ELi256ELi5EEvPT0_PKfS3_PKT_PKiS8_iS3_,"axG",@progbits,_Z35paged_attention_ll4mi_reduce_kernelIDF16_hLi128ELi128ELi256ELi5EEvPT0_PKfS3_PKT_PKiS8_iS3_,comdat
	.protected	_Z35paged_attention_ll4mi_reduce_kernelIDF16_hLi128ELi128ELi256ELi5EEvPT0_PKfS3_PKT_PKiS8_iS3_ ; -- Begin function _Z35paged_attention_ll4mi_reduce_kernelIDF16_hLi128ELi128ELi256ELi5EEvPT0_PKfS3_PKT_PKiS8_iS3_
	.globl	_Z35paged_attention_ll4mi_reduce_kernelIDF16_hLi128ELi128ELi256ELi5EEvPT0_PKfS3_PKT_PKiS8_iS3_
	.p2align	8
	.type	_Z35paged_attention_ll4mi_reduce_kernelIDF16_hLi128ELi128ELi256ELi5EEvPT0_PKfS3_PKT_PKiS8_iS3_,@function
_Z35paged_attention_ll4mi_reduce_kernelIDF16_hLi128ELi128ELi256ELi5EEvPT0_PKfS3_PKT_PKiS8_iS3_: ; @_Z35paged_attention_ll4mi_reduce_kernelIDF16_hLi128ELi128ELi256ELi5EEvPT0_PKfS3_PKT_PKiS8_iS3_
; %bb.0:
	s_load_b64 s[12:13], s[0:1], 0x28
	s_mov_b32 s2, s15
	s_waitcnt lgkmcnt(0)
	s_cmp_lg_u64 s[12:13], 0
	s_cselect_b32 s15, -1, 0
	s_delay_alu instid0(SALU_CYCLE_1)
	s_and_b32 vcc_lo, exec_lo, s15
	s_cbranch_vccz .LBB214_19
; %bb.1:
	s_add_i32 s4, s2, 1
	s_mov_b32 s5, 0
	s_delay_alu instid0(SALU_CYCLE_1) | instskip(SKIP_4) | instid1(SALU_CYCLE_1)
	s_lshl_b64 s[6:7], s[4:5], 2
	s_mov_b32 s3, s5
	s_add_u32 s6, s12, s6
	s_addc_u32 s7, s13, s7
	s_lshl_b64 s[8:9], s[2:3], 2
	s_add_u32 s8, s12, s8
	s_addc_u32 s9, s13, s9
	s_clause 0x1
	s_load_b32 s4, s[6:7], 0x0
	s_load_b32 s6, s[8:9], 0x0
	s_waitcnt lgkmcnt(0)
	s_sub_i32 s4, s4, s6
	s_delay_alu instid0(SALU_CYCLE_1)
	s_cmp_eq_u32 s4, 1
	s_cselect_b32 s4, -1, 0
	s_cbranch_execnz .LBB214_3
.LBB214_2:
	s_mov_b32 s3, 0
	s_mov_b32 s4, -1
.LBB214_3:
	s_delay_alu instid0(SALU_CYCLE_1)
	s_and_not1_b32 vcc_lo, exec_lo, s4
	s_cbranch_vccz .LBB214_5
; %bb.4:
	s_endpgm
.LBB214_5:
	s_clause 0x1
	s_load_b128 s[4:7], s[0:1], 0x18
	s_load_b32 s9, s[0:1], 0x30
	s_lshl_b64 s[16:17], s[2:3], 2
	s_waitcnt lgkmcnt(0)
	s_add_u32 s6, s6, s16
	s_addc_u32 s7, s7, s17
	s_load_b32 s22, s[6:7], 0x0
	s_load_b32 s33, s[0:1], 0x40
	s_mul_i32 s7, s2, s9
	s_waitcnt lgkmcnt(0)
	s_add_i32 s48, s22, 0xff
	s_delay_alu instid0(SALU_CYCLE_1) | instskip(NEXT) | instid1(SALU_CYCLE_1)
	s_ashr_i32 s6, s48, 31
	s_lshr_b32 s6, s6, 24
	s_delay_alu instid0(SALU_CYCLE_1) | instskip(SKIP_4) | instid1(SALU_CYCLE_1)
	s_add_i32 s8, s48, s6
	s_mul_i32 s6, s14, s9
	s_mov_b32 s9, exec_lo
	v_cmpx_lt_u32_e32 31, v0
	s_xor_b32 s9, exec_lo, s9
	s_or_saveexec_b32 s24, s9
	v_mov_b32_e32 v1, s6
	s_ashr_i32 s23, s8, 8
	s_mul_i32 s18, s7, s33
	s_xor_b32 exec_lo, exec_lo, s24
	s_cbranch_execz .LBB214_9
; %bb.6:
	v_or_b32_e32 v2, 32, v0
	v_cmp_gt_i32_e32 vcc_lo, s23, v0
	s_add_i32 s25, s23, -1
	s_load_b128 s[8:11], s[0:1], 0x8
	v_or_b32_e32 v4, 64, v0
	v_or_b32_e32 v6, 0x60, v0
	v_cndmask_b32_e32 v1, s25, v0, vcc_lo
	v_cmp_gt_i32_e32 vcc_lo, s23, v2
	v_or_b32_e32 v8, 0x80, v0
	s_mov_b32 s19, 0
	s_delay_alu instid0(SALU_CYCLE_1)
	s_lshl_b64 s[20:21], s[18:19], 2
	v_cndmask_b32_e32 v3, s25, v2, vcc_lo
	v_cmp_gt_i32_e32 vcc_lo, s23, v4
	v_ashrrev_i32_e32 v2, 31, v1
	s_mov_b32 s7, s19
	v_cndmask_b32_e32 v5, s25, v4, vcc_lo
	v_cmp_gt_i32_e32 vcc_lo, s23, v6
	v_ashrrev_i32_e32 v4, 31, v3
	v_lshlrev_b64 v[1:2], 2, v[1:2]
	s_waitcnt lgkmcnt(0)
	s_add_u32 s19, s10, s20
	v_cndmask_b32_e32 v7, s25, v6, vcc_lo
	v_cmp_gt_i32_e32 vcc_lo, s23, v8
	v_ashrrev_i32_e32 v6, 31, v5
	v_lshlrev_b64 v[3:4], 2, v[3:4]
	v_cndmask_b32_e32 v9, s25, v8, vcc_lo
	s_addc_u32 s25, s11, s21
	s_lshl_b64 s[10:11], s[6:7], 2
	v_ashrrev_i32_e32 v8, 31, v7
	s_add_u32 s7, s19, s10
	s_addc_u32 s19, s25, s11
	v_add_co_u32 v11, vcc_lo, s7, v1
	v_lshlrev_b64 v[5:6], 2, v[5:6]
	v_ashrrev_i32_e32 v10, 31, v9
	v_add_co_ci_u32_e32 v12, vcc_lo, s19, v2, vcc_lo
	v_add_co_u32 v13, vcc_lo, s7, v3
	v_lshlrev_b64 v[7:8], 2, v[7:8]
	v_add_co_ci_u32_e32 v14, vcc_lo, s19, v4, vcc_lo
	v_add_co_u32 v15, vcc_lo, s7, v5
	v_lshlrev_b64 v[9:10], 2, v[9:10]
	v_add_co_ci_u32_e32 v16, vcc_lo, s19, v6, vcc_lo
	v_add_co_u32 v17, vcc_lo, s7, v7
	v_add_co_ci_u32_e32 v18, vcc_lo, s19, v8, vcc_lo
	s_delay_alu instid0(VALU_DEP_4)
	v_add_co_u32 v19, vcc_lo, s7, v9
	v_add_co_ci_u32_e32 v20, vcc_lo, s19, v10, vcc_lo
	s_clause 0x4
	global_load_b32 v11, v[11:12], off
	global_load_b32 v12, v[13:14], off
	;; [unrolled: 1-line block ×5, first 2 shown]
	s_add_u32 s7, s8, s20
	s_addc_u32 s8, s9, s21
	s_add_u32 s7, s7, s10
	s_addc_u32 s8, s8, s11
	v_add_co_u32 v1, vcc_lo, s7, v1
	v_add_co_ci_u32_e32 v2, vcc_lo, s8, v2, vcc_lo
	v_add_co_u32 v3, vcc_lo, s7, v3
	v_add_co_ci_u32_e32 v4, vcc_lo, s8, v4, vcc_lo
	;; [unrolled: 2-line block ×4, first 2 shown]
	s_clause 0x3
	global_load_b32 v16, v[1:2], off
	global_load_b32 v3, v[3:4], off
	global_load_b32 v4, v[5:6], off
	global_load_b32 v5, v[7:8], off
	v_add_co_u32 v1, vcc_lo, s7, v9
	v_add_co_ci_u32_e32 v2, vcc_lo, s8, v10, vcc_lo
	s_mov_b32 s7, exec_lo
	global_load_b32 v1, v[1:2], off
	v_mbcnt_lo_u32_b32 v2, -1, 0
	s_delay_alu instid0(VALU_DEP_1)
	v_xor_b32_e32 v6, 16, v2
	v_xor_b32_e32 v9, 8, v2
	;; [unrolled: 1-line block ×5, first 2 shown]
	v_cmp_gt_i32_e32 vcc_lo, 32, v6
	v_cndmask_b32_e32 v6, v2, v6, vcc_lo
	v_cmp_gt_i32_e32 vcc_lo, 32, v9
	v_cndmask_b32_e32 v9, v2, v9, vcc_lo
	v_cmp_gt_i32_e32 vcc_lo, 32, v10
	s_delay_alu instid0(VALU_DEP_2) | instskip(SKIP_3) | instid1(VALU_DEP_2)
	v_lshlrev_b32_e32 v9, 2, v9
	v_lshlrev_b32_e32 v6, 2, v6
	v_cndmask_b32_e32 v10, v2, v10, vcc_lo
	v_cmp_gt_i32_e32 vcc_lo, 32, v17
	v_dual_cndmask_b32 v17, v2, v17 :: v_dual_lshlrev_b32 v10, 2, v10
	v_cmp_gt_i32_e32 vcc_lo, 32, v18
	s_delay_alu instid0(VALU_DEP_2) | instskip(NEXT) | instid1(VALU_DEP_1)
	v_dual_cndmask_b32 v2, v2, v18 :: v_dual_lshlrev_b32 v17, 2, v17
	v_lshlrev_b32_e32 v2, 2, v2
	s_waitcnt vmcnt(7)
	v_max3_f32 v7, v11, v12, v13
	s_waitcnt vmcnt(5)
	s_delay_alu instid0(VALU_DEP_1) | instskip(SKIP_3) | instid1(VALU_DEP_1)
	v_max3_f32 v7, v7, v14, v15
	ds_bpermute_b32 v8, v6, v7
	s_waitcnt lgkmcnt(0)
	v_max_f32_e32 v8, v8, v8
	v_max_f32_e32 v7, v7, v8
	ds_bpermute_b32 v8, v9, v7
	s_waitcnt lgkmcnt(0)
	v_max_f32_e32 v8, v8, v8
	s_delay_alu instid0(VALU_DEP_1) | instskip(SKIP_3) | instid1(VALU_DEP_1)
	v_max_f32_e32 v7, v7, v8
	ds_bpermute_b32 v8, v10, v7
	s_waitcnt lgkmcnt(0)
	v_max_f32_e32 v8, v8, v8
	v_max_f32_e32 v7, v7, v8
	ds_bpermute_b32 v8, v17, v7
	s_waitcnt lgkmcnt(0)
	v_max_f32_e32 v8, v8, v8
	s_delay_alu instid0(VALU_DEP_1) | instskip(SKIP_3) | instid1(VALU_DEP_1)
	v_max_f32_e32 v7, v7, v8
	ds_bpermute_b32 v8, v2, v7
	s_waitcnt lgkmcnt(0)
	v_max_f32_e32 v8, v8, v8
	v_max_f32_e32 v7, v7, v8
	v_sub_nc_u32_e32 v8, s23, v0
	s_delay_alu instid0(VALU_DEP_2) | instskip(NEXT) | instid1(VALU_DEP_1)
	v_sub_f32_e32 v12, v12, v7
	v_mul_f32_e32 v18, 0x3fb8aa3b, v12
	s_delay_alu instid0(VALU_DEP_1) | instskip(SKIP_1) | instid1(VALU_DEP_2)
	v_rndne_f32_e32 v25, v18
	v_fma_f32 v24, 0x3fb8aa3b, v12, -v18
	v_sub_f32_e32 v18, v18, v25
	v_sub_f32_e32 v14, v14, v7
	s_delay_alu instid0(VALU_DEP_1) | instskip(NEXT) | instid1(VALU_DEP_1)
	v_mul_f32_e32 v20, 0x3fb8aa3b, v14
	v_fma_f32 v28, 0x3fb8aa3b, v14, -v20
	v_sub_f32_e32 v13, v13, v7
	v_rndne_f32_e32 v29, v20
	s_delay_alu instid0(VALU_DEP_3) | instskip(NEXT) | instid1(VALU_DEP_3)
	v_fmac_f32_e32 v28, 0x32a5705f, v14
	v_mul_f32_e32 v19, 0x3fb8aa3b, v13
	v_dual_sub_f32 v11, v11, v7 :: v_dual_fmac_f32 v24, 0x32a5705f, v12
	s_delay_alu instid0(VALU_DEP_4) | instskip(NEXT) | instid1(VALU_DEP_3)
	v_sub_f32_e32 v20, v20, v29
	v_fma_f32 v26, 0x3fb8aa3b, v13, -v19
	v_sub_f32_e32 v7, v15, v7
	s_delay_alu instid0(VALU_DEP_4)
	v_mul_f32_e32 v15, 0x3fb8aa3b, v11
	v_rndne_f32_e32 v27, v19
	v_add_f32_e32 v18, v18, v24
	v_fmac_f32_e32 v26, 0x32a5705f, v13
	v_mul_f32_e32 v21, 0x3fb8aa3b, v7
	v_fma_f32 v22, 0x3fb8aa3b, v11, -v15
	v_rndne_f32_e32 v23, v15
	v_dual_sub_f32 v19, v19, v27 :: v_dual_add_f32 v20, v20, v28
	s_delay_alu instid0(VALU_DEP_4) | instskip(NEXT) | instid1(VALU_DEP_4)
	v_fma_f32 v30, 0x3fb8aa3b, v7, -v21
	v_fmac_f32_e32 v22, 0x32a5705f, v11
	s_delay_alu instid0(VALU_DEP_4) | instskip(NEXT) | instid1(VALU_DEP_4)
	v_sub_f32_e32 v15, v15, v23
	v_add_f32_e32 v19, v19, v26
	v_exp_f32_e32 v18, v18
	v_fmac_f32_e32 v30, 0x32a5705f, v7
	v_cmp_ngt_f32_e32 vcc_lo, 0xc2ce8ed0, v11
	v_add_f32_e32 v15, v15, v22
	v_cvt_i32_f32_e32 v22, v23
	v_exp_f32_e32 v19, v19
	v_cvt_i32_f32_e32 v23, v25
	v_rndne_f32_e32 v31, v21
	v_exp_f32_e32 v15, v15
	v_exp_f32_e32 v20, v20
	v_cvt_i32_f32_e32 v24, v27
	v_ldexp_f32 v18, v18, v23
	v_cvt_i32_f32_e32 v25, v29
	v_cvt_i32_f32_e32 v26, v31
	s_delay_alu instid0(TRANS32_DEP_3) | instid1(VALU_DEP_4)
	v_ldexp_f32 v19, v19, v24
	s_delay_alu instid0(TRANS32_DEP_2)
	v_ldexp_f32 v15, v15, v22
	s_delay_alu instid0(TRANS32_DEP_1) | instid1(VALU_DEP_4)
	v_ldexp_f32 v20, v20, v25
	s_delay_alu instid0(VALU_DEP_2)
	v_cndmask_b32_e32 v15, 0, v15, vcc_lo
	v_cmp_ngt_f32_e32 vcc_lo, 0xc2ce8ed0, v12
	v_dual_sub_f32 v21, v21, v31 :: v_dual_cndmask_b32 v18, 0, v18
	v_cmp_ngt_f32_e32 vcc_lo, 0xc2ce8ed0, v13
	v_cndmask_b32_e32 v19, 0, v19, vcc_lo
	v_cmp_ngt_f32_e32 vcc_lo, 0xc2ce8ed0, v14
	s_delay_alu instid0(VALU_DEP_4) | instskip(NEXT) | instid1(VALU_DEP_1)
	v_dual_add_f32 v21, v21, v30 :: v_dual_cndmask_b32 v20, 0, v20
	v_exp_f32_e32 v21, v21
	v_cmp_ngt_f32_e32 vcc_lo, 0xc2ce8ed0, v7
	s_waitcnt_depctr 0xfff
	v_ldexp_f32 v21, v21, v26
	s_delay_alu instid0(VALU_DEP_1)
	v_cndmask_b32_e32 v21, 0, v21, vcc_lo
	v_cmp_nlt_f32_e32 vcc_lo, 0x42b17218, v11
	v_cndmask_b32_e32 v11, 0x7f800000, v15, vcc_lo
	v_cmp_nlt_f32_e32 vcc_lo, 0x42b17218, v12
	;; [unrolled: 2-line block ×3, first 2 shown]
	v_cndmask_b32_e32 v13, 0x7f800000, v19, vcc_lo
	v_cmp_lt_i32_e32 vcc_lo, 0, v8
	v_cndmask_b32_e32 v11, 0, v11, vcc_lo
	v_cmp_lt_i32_e32 vcc_lo, 32, v8
	s_waitcnt vmcnt(4)
	s_delay_alu instid0(VALU_DEP_2) | instskip(SKIP_2) | instid1(VALU_DEP_2)
	v_dual_mul_f32 v11, v16, v11 :: v_dual_cndmask_b32 v12, 0, v12
	v_cmp_lt_i32_e32 vcc_lo, 64, v8
	s_waitcnt vmcnt(3)
	v_mul_f32_e32 v3, v3, v12
	v_cndmask_b32_e32 v13, 0, v13, vcc_lo
	v_cmp_nlt_f32_e32 vcc_lo, 0x42b17218, v14
	s_waitcnt vmcnt(2)
	s_delay_alu instid0(VALU_DEP_2) | instskip(SKIP_2) | instid1(VALU_DEP_2)
	v_mul_f32_e32 v4, v4, v13
	v_dual_cndmask_b32 v14, 0x7f800000, v20 :: v_dual_add_f32 v13, v11, v3
	v_cmp_lt_i32_e32 vcc_lo, 0x60, v8
	v_cndmask_b32_e32 v12, 0, v14, vcc_lo
	v_cmp_nlt_f32_e32 vcc_lo, 0x42b17218, v7
	s_waitcnt vmcnt(1)
	s_delay_alu instid0(VALU_DEP_2) | instskip(SKIP_2) | instid1(VALU_DEP_2)
	v_mul_f32_e32 v5, v5, v12
	v_cndmask_b32_e32 v7, 0x7f800000, v21, vcc_lo
	v_cmp_lt_i32_e32 vcc_lo, 0x80, v8
	v_dual_add_f32 v8, v13, v4 :: v_dual_cndmask_b32 v7, 0, v7
	s_waitcnt vmcnt(0)
	s_delay_alu instid0(VALU_DEP_1) | instskip(NEXT) | instid1(VALU_DEP_2)
	v_mul_f32_e32 v7, v1, v7
	v_add_f32_e32 v1, v8, v5
	s_delay_alu instid0(VALU_DEP_1)
	v_add_f32_e32 v1, v1, v7
	ds_bpermute_b32 v6, v6, v1
	s_waitcnt lgkmcnt(0)
	v_add_f32_e32 v1, v1, v6
	ds_bpermute_b32 v6, v9, v1
	s_waitcnt lgkmcnt(0)
	;; [unrolled: 3-line block ×4, first 2 shown]
	v_dual_add_f32 v1, v1, v6 :: v_dual_lshlrev_b32 v6, 2, v0
	ds_store_2addr_b32 v6, v11, v3 offset1:32
	ds_store_2addr_b32 v6, v4, v5 offset0:64 offset1:96
	ds_store_b32 v6, v7 offset:512
	ds_bpermute_b32 v2, v2, v1
	v_cmpx_eq_u32_e32 0, v0
	s_cbranch_execz .LBB214_8
; %bb.7:
	s_waitcnt lgkmcnt(0)
	v_dual_add_f32 v1, v1, v2 :: v_dual_mov_b32 v2, 0
	ds_store_b32 v2, v1 offset:640
.LBB214_8:
	s_or_b32 exec_lo, exec_lo, s7
	v_mov_b32_e32 v1, s6
.LBB214_9:
	s_or_b32 exec_lo, exec_lo, s24
	s_lshl_b32 s6, s18, 7
	s_mov_b32 s7, 0
	s_waitcnt lgkmcnt(0)
	v_dual_mov_b32 v2, 0 :: v_dual_lshlrev_b32 v1, 7, v1
	s_lshl_b64 s[6:7], s[6:7], 1
	v_dual_mov_b32 v29, 0 :: v_dual_mov_b32 v30, 0
	s_add_u32 s34, s4, s6
	s_addc_u32 s35, s5, s7
	s_lshl_b32 s49, s23, 7
	v_lshlrev_b64 v[3:4], 1, v[1:2]
	s_addk_i32 s49, 0xff80
	s_cmpk_lt_i32 s48, 0x100
	v_lshlrev_b32_e32 v1, 1, v0
	s_cselect_b32 s4, s49, 0
	v_dual_mov_b32 v31, 0 :: v_dual_mov_b32 v32, 0
	s_ashr_i32 s5, s4, 31
	v_add_co_u32 v3, vcc_lo, s34, v3
	s_lshl_b64 s[4:5], s[4:5], 1
	s_cmpk_lt_i32 s48, 0x200
	v_add_co_ci_u32_e32 v4, vcc_lo, s35, v4, vcc_lo
	s_cselect_b32 s6, s49, 0x80
	v_add_co_u32 v1, vcc_lo, v3, v1
	s_ashr_i32 s7, s6, 31
	s_delay_alu instid0(VALU_DEP_2)
	v_add_co_ci_u32_e32 v3, vcc_lo, 0, v4, vcc_lo
	s_lshl_b64 s[6:7], s[6:7], 1
	s_cmpk_lt_i32 s48, 0x300
	v_add_co_u32 v4, vcc_lo, v1, s4
	s_cselect_b32 s8, s49, 0x100
	v_add_co_ci_u32_e32 v5, vcc_lo, s5, v3, vcc_lo
	s_ashr_i32 s9, s8, 31
	v_add_co_u32 v8, vcc_lo, v1, s6
	s_lshl_b64 s[8:9], s[8:9], 1
	s_cmpk_lt_i32 s48, 0x400
	v_add_co_ci_u32_e32 v9, vcc_lo, s7, v3, vcc_lo
	s_cselect_b32 s10, s49, 0x180
	v_add_co_u32 v10, vcc_lo, v1, s8
	s_ashr_i32 s11, s10, 31
	v_add_co_ci_u32_e32 v11, vcc_lo, s9, v3, vcc_lo
	s_lshl_b64 s[10:11], s[10:11], 1
	s_cmpk_lt_i32 s48, 0x500
	v_add_co_u32 v12, vcc_lo, v1, s10
	s_cselect_b32 s18, s49, 0x200
	v_add_co_ci_u32_e32 v13, vcc_lo, s11, v3, vcc_lo
	s_ashr_i32 s19, s18, 31
	v_dual_mov_b32 v33, 0 :: v_dual_mov_b32 v34, 0
	s_lshl_b64 s[18:19], s[18:19], 1
	s_cmpk_lt_i32 s48, 0x600
	v_add_co_u32 v14, vcc_lo, v1, s18
	s_cselect_b32 s20, s49, 0x280
	v_add_co_ci_u32_e32 v15, vcc_lo, s19, v3, vcc_lo
	s_ashr_i32 s21, s20, 31
	v_mov_b32_e32 v35, 0
	s_lshl_b64 s[20:21], s[20:21], 1
	s_cmpk_lt_i32 s48, 0x700
	v_add_co_u32 v16, vcc_lo, v1, s20
	s_cselect_b32 s24, s49, 0x300
	v_add_co_ci_u32_e32 v17, vcc_lo, s21, v3, vcc_lo
	s_ashr_i32 s25, s24, 31
	s_delay_alu instid0(SALU_CYCLE_1)
	s_lshl_b64 s[24:25], s[24:25], 1
	s_cmpk_lt_i32 s48, 0x800
	v_add_co_u32 v18, vcc_lo, v1, s24
	s_cselect_b32 s26, s49, 0x380
	v_add_co_ci_u32_e32 v19, vcc_lo, s25, v3, vcc_lo
	s_ashr_i32 s27, s26, 31
	s_delay_alu instid0(SALU_CYCLE_1)
	s_lshl_b64 s[26:27], s[26:27], 1
	s_cmpk_lt_i32 s48, 0x900
	v_add_co_u32 v20, vcc_lo, v1, s26
	s_cselect_b32 s28, s49, 0x400
	v_add_co_ci_u32_e32 v21, vcc_lo, s27, v3, vcc_lo
	s_ashr_i32 s29, s28, 31
	s_clause 0x7
	global_load_u16 v7, v[4:5], off
	global_load_u16 v8, v[8:9], off
	global_load_u16 v9, v[10:11], off
	global_load_u16 v10, v[12:13], off
	global_load_u16 v11, v[14:15], off
	global_load_u16 v4, v[16:17], off
	global_load_u16 v5, v[18:19], off
	global_load_u16 v6, v[20:21], off
	s_lshl_b64 s[28:29], s[28:29], 1
	s_cmpk_lt_i32 s48, 0xa00
	v_add_co_u32 v12, vcc_lo, v1, s28
	s_cselect_b32 s30, s49, 0x480
	v_add_co_ci_u32_e32 v13, vcc_lo, s29, v3, vcc_lo
	s_ashr_i32 s31, s30, 31
	s_delay_alu instid0(SALU_CYCLE_1)
	s_lshl_b64 s[30:31], s[30:31], 1
	s_cmpk_lt_i32 s48, 0xb00
	v_add_co_u32 v15, vcc_lo, v1, s30
	s_cselect_b32 s34, s49, 0x500
	v_add_co_ci_u32_e32 v16, vcc_lo, s31, v3, vcc_lo
	s_ashr_i32 s35, s34, 31
	s_delay_alu instid0(SALU_CYCLE_1)
	;; [unrolled: 7-line block ×7, first 2 shown]
	s_lshl_b64 s[4:5], s[6:7], 1
	s_cmpk_gt_i32 s22, 0x1000
	v_add_co_u32 v27, vcc_lo, v1, s4
	v_add_co_ci_u32_e32 v28, vcc_lo, s5, v3, vcc_lo
	s_clause 0x7
	global_load_u16 v14, v[12:13], off
	global_load_u16 v15, v[15:16], off
	;; [unrolled: 1-line block ×8, first 2 shown]
	v_dual_mov_b32 v20, 0 :: v_dual_mov_b32 v21, 0
	v_dual_mov_b32 v22, 0 :: v_dual_mov_b32 v23, 0
	;; [unrolled: 1-line block ×4, first 2 shown]
	v_mov_b32_e32 v28, 0
	s_cselect_b32 s8, -1, 0
	s_cmpk_lt_i32 s22, 0x1001
	s_waitcnt vmcnt(0)
	s_barrier
	buffer_gl0_inv
	s_cbranch_scc1 .LBB214_11
; %bb.10:
	s_cmpk_lt_i32 s48, 0x1100
	s_cselect_b32 s4, s49, 0x800
	s_delay_alu instid0(SALU_CYCLE_1) | instskip(NEXT) | instid1(SALU_CYCLE_1)
	s_ashr_i32 s5, s4, 31
	s_lshl_b64 s[4:5], s[4:5], 1
	s_cmpk_lt_i32 s48, 0x1200
	v_add_co_u32 v20, vcc_lo, v1, s4
	s_cselect_b32 s6, s49, 0x880
	v_add_co_ci_u32_e32 v21, vcc_lo, s5, v3, vcc_lo
	s_ashr_i32 s7, s6, 31
	s_delay_alu instid0(SALU_CYCLE_1)
	s_lshl_b64 s[6:7], s[6:7], 1
	s_cmpk_lt_i32 s48, 0x1300
	v_add_co_u32 v22, vcc_lo, v1, s6
	s_cselect_b32 s10, s49, 0x900
	v_add_co_ci_u32_e32 v23, vcc_lo, s7, v3, vcc_lo
	s_ashr_i32 s11, s10, 31
	s_delay_alu instid0(SALU_CYCLE_1)
	s_lshl_b64 s[10:11], s[10:11], 1
	s_cmpk_lt_i32 s48, 0x1400
	v_add_co_u32 v24, vcc_lo, v1, s10
	s_cselect_b32 s18, s49, 0x980
	v_add_co_ci_u32_e32 v25, vcc_lo, s11, v3, vcc_lo
	s_ashr_i32 s19, s18, 31
	s_delay_alu instid0(SALU_CYCLE_1)
	s_lshl_b64 s[18:19], s[18:19], 1
	s_cmpk_lt_i32 s48, 0x1500
	v_add_co_u32 v26, vcc_lo, v1, s18
	s_cselect_b32 s20, s49, 0xa00
	v_add_co_ci_u32_e32 v27, vcc_lo, s19, v3, vcc_lo
	s_ashr_i32 s21, s20, 31
	s_delay_alu instid0(SALU_CYCLE_1)
	s_lshl_b64 s[20:21], s[20:21], 1
	s_cmpk_lt_i32 s48, 0x1600
	v_add_co_u32 v28, vcc_lo, v1, s20
	s_cselect_b32 s22, s49, 0xa80
	v_add_co_ci_u32_e32 v29, vcc_lo, s21, v3, vcc_lo
	s_ashr_i32 s23, s22, 31
	s_delay_alu instid0(SALU_CYCLE_1)
	s_lshl_b64 s[22:23], s[22:23], 1
	s_cmpk_lt_i32 s48, 0x1700
	v_add_co_u32 v30, vcc_lo, v1, s22
	s_cselect_b32 s24, s49, 0xb00
	v_add_co_ci_u32_e32 v31, vcc_lo, s23, v3, vcc_lo
	s_ashr_i32 s25, s24, 31
	s_delay_alu instid0(SALU_CYCLE_1)
	s_lshl_b64 s[24:25], s[24:25], 1
	s_cmpk_lt_i32 s48, 0x1800
	v_add_co_u32 v32, vcc_lo, v1, s24
	s_cselect_b32 s26, s49, 0xb80
	v_add_co_ci_u32_e32 v33, vcc_lo, s25, v3, vcc_lo
	s_ashr_i32 s27, s26, 31
	s_delay_alu instid0(SALU_CYCLE_1)
	s_lshl_b64 s[26:27], s[26:27], 1
	s_cmpk_lt_i32 s48, 0x1900
	v_add_co_u32 v34, vcc_lo, v1, s26
	s_cselect_b32 s28, s49, 0xc00
	v_add_co_ci_u32_e32 v35, vcc_lo, s27, v3, vcc_lo
	s_ashr_i32 s29, s28, 31
	s_clause 0x7
	global_load_u16 v36, v[20:21], off
	global_load_u16 v37, v[22:23], off
	;; [unrolled: 1-line block ×8, first 2 shown]
	s_lshl_b64 s[28:29], s[28:29], 1
	s_cmpk_lt_i32 s48, 0x1a00
	v_add_co_u32 v20, vcc_lo, v1, s28
	s_cselect_b32 s30, s49, 0xc80
	v_add_co_ci_u32_e32 v21, vcc_lo, s29, v3, vcc_lo
	s_ashr_i32 s31, s30, 31
	s_delay_alu instid0(SALU_CYCLE_1)
	s_lshl_b64 s[30:31], s[30:31], 1
	s_cmpk_lt_i32 s48, 0x1b00
	v_add_co_u32 v22, vcc_lo, v1, s30
	s_cselect_b32 s34, s49, 0xd00
	v_add_co_ci_u32_e32 v23, vcc_lo, s31, v3, vcc_lo
	s_ashr_i32 s35, s34, 31
	s_delay_alu instid0(SALU_CYCLE_1)
	;; [unrolled: 7-line block ×6, first 2 shown]
	s_lshl_b64 s[4:5], s[20:21], 1
	s_cmpk_lt_i32 s48, 0x2000
	v_add_co_u32 v32, vcc_lo, v1, s4
	s_cselect_b32 s6, s49, 0xf80
	v_add_co_ci_u32_e32 v33, vcc_lo, s5, v3, vcc_lo
	s_ashr_i32 s7, s6, 31
	s_delay_alu instid0(SALU_CYCLE_1) | instskip(NEXT) | instid1(SALU_CYCLE_1)
	s_lshl_b64 s[4:5], s[6:7], 1
	v_add_co_u32 v34, vcc_lo, v1, s4
	v_add_co_ci_u32_e32 v35, vcc_lo, s5, v3, vcc_lo
	s_clause 0x7
	global_load_u16 v20, v[20:21], off
	global_load_u16 v21, v[22:23], off
	;; [unrolled: 1-line block ×8, first 2 shown]
	s_waitcnt vmcnt(15)
	v_cvt_f32_f16_e32 v35, v36
	s_waitcnt vmcnt(14)
	v_cvt_f32_f16_e32 v34, v37
	;; [unrolled: 2-line block ×16, first 2 shown]
.LBB214_11:
	ds_load_b128 v[36:39], v2
	ds_load_b128 v[40:43], v2 offset:16
	s_and_not1_b32 vcc_lo, exec_lo, s8
	s_waitcnt lgkmcnt(1)
	v_fma_mix_f32 v7, v36, v7, 0 op_sel_hi:[0,1,0]
	s_delay_alu instid0(VALU_DEP_1) | instskip(NEXT) | instid1(VALU_DEP_1)
	v_fma_mix_f32 v7, v37, v8, v7 op_sel_hi:[0,1,0]
	v_fma_mix_f32 v7, v38, v9, v7 op_sel_hi:[0,1,0]
	s_delay_alu instid0(VALU_DEP_1)
	v_fma_mix_f32 v7, v39, v10, v7 op_sel_hi:[0,1,0]
	ds_load_b128 v[36:39], v2 offset:48
	s_waitcnt lgkmcnt(1)
	v_fma_mix_f32 v11, v40, v11, v7 op_sel_hi:[0,1,0]
	ds_load_b128 v[7:10], v2 offset:32
	v_fma_mix_f32 v4, v41, v4, v11 op_sel_hi:[0,1,0]
	s_delay_alu instid0(VALU_DEP_1) | instskip(NEXT) | instid1(VALU_DEP_1)
	v_fma_mix_f32 v4, v42, v5, v4 op_sel_hi:[0,1,0]
	v_fma_mix_f32 v4, v43, v6, v4 op_sel_hi:[0,1,0]
	s_waitcnt lgkmcnt(0)
	s_delay_alu instid0(VALU_DEP_1) | instskip(NEXT) | instid1(VALU_DEP_1)
	v_fma_mix_f32 v4, v7, v14, v4 op_sel_hi:[0,1,0]
	v_fma_mix_f32 v4, v8, v15, v4 op_sel_hi:[0,1,0]
	s_delay_alu instid0(VALU_DEP_1) | instskip(NEXT) | instid1(VALU_DEP_1)
	v_fma_mix_f32 v4, v9, v16, v4 op_sel_hi:[0,1,0]
	v_fma_mix_f32 v4, v10, v17, v4 op_sel_hi:[0,1,0]
	;; [unrolled: 3-line block ×4, first 2 shown]
	s_cbranch_vccz .LBB214_20
; %bb.12:
	s_cmpk_lt_i32 s48, 0x2100
	s_cbranch_scc0 .LBB214_21
.LBB214_13:
	s_cmpk_lt_i32 s48, 0x4100
	s_cbranch_scc0 .LBB214_22
.LBB214_14:
	s_cmpk_lt_i32 s48, 0x6100
	s_cbranch_scc0 .LBB214_23
.LBB214_15:
	s_load_b64 s[0:1], s[0:1], 0x0
	s_cmp_lt_i32 s48, 0x8100
	s_cbranch_scc0 .LBB214_24
.LBB214_16:
	v_mov_b32_e32 v1, 0
	s_and_not1_b32 vcc_lo, exec_lo, s15
	ds_load_b32 v1, v1 offset:640
	s_cbranch_vccnz .LBB214_18
.LBB214_17:
	s_add_u32 s2, s12, s16
	s_addc_u32 s3, s13, s17
	s_load_b32 s2, s[2:3], 0x0
	s_mov_b32 s3, 0
.LBB214_18:
	s_waitcnt lgkmcnt(0)
	v_add_f32_e32 v1, 0x358637bd, v1
	s_mul_i32 s3, s33, s3
	s_mul_hi_u32 s4, s33, s2
	s_mul_i32 s2, s33, s2
	s_add_i32 s3, s4, s3
	v_div_scale_f32 v2, null, v1, v1, 1.0
	v_div_scale_f32 v6, vcc_lo, 1.0, v1, 1.0
	s_lshl_b64 s[2:3], s[2:3], 7
	s_delay_alu instid0(VALU_DEP_2) | instskip(SKIP_4) | instid1(SALU_CYCLE_1)
	v_rcp_f32_e32 v3, v2
	s_mov_b32 s15, 0
	s_add_u32 s2, s0, s2
	s_addc_u32 s3, s1, s3
	s_lshl_b64 s[0:1], s[14:15], 7
	s_add_u32 s0, s2, s0
	s_addc_u32 s1, s3, s1
	v_add_co_u32 v0, s0, s0, v0
	s_waitcnt_depctr 0xfff
	v_fma_f32 v5, -v2, v3, 1.0
	s_delay_alu instid0(VALU_DEP_1) | instskip(NEXT) | instid1(VALU_DEP_1)
	v_fmac_f32_e32 v3, v5, v3
	v_mul_f32_e32 v5, v6, v3
	s_delay_alu instid0(VALU_DEP_1) | instskip(NEXT) | instid1(VALU_DEP_1)
	v_fma_f32 v7, -v2, v5, v6
	v_fmac_f32_e32 v5, v7, v3
	s_delay_alu instid0(VALU_DEP_1) | instskip(NEXT) | instid1(VALU_DEP_1)
	v_fma_f32 v2, -v2, v5, v6
	v_div_fmas_f32 v2, v2, v3, v5
	s_delay_alu instid0(VALU_DEP_1) | instskip(NEXT) | instid1(VALU_DEP_1)
	v_div_fixup_f32 v1, v2, v1, 1.0
	v_fma_mixlo_f16 v1, v4, v1, 0
	s_delay_alu instid0(VALU_DEP_1)
	v_cvt_i16_f16_e32 v2, v1
	v_add_co_ci_u32_e64 v1, null, s1, 0, s0
	global_store_b8 v[0:1], v2, off
	s_nop 0
	s_sendmsg sendmsg(MSG_DEALLOC_VGPRS)
	s_endpgm
.LBB214_19:
	s_mov_b32 s4, 0
	s_branch .LBB214_2
.LBB214_20:
	ds_load_b128 v[5:8], v2 offset:64
	ds_load_b128 v[9:12], v2 offset:80
	s_waitcnt lgkmcnt(1)
	v_fmac_f32_e32 v4, v5, v35
	s_delay_alu instid0(VALU_DEP_1) | instskip(NEXT) | instid1(VALU_DEP_1)
	v_fmac_f32_e32 v4, v6, v34
	v_fmac_f32_e32 v4, v7, v33
	s_delay_alu instid0(VALU_DEP_1) | instskip(SKIP_3) | instid1(VALU_DEP_1)
	v_fmac_f32_e32 v4, v8, v32
	ds_load_b128 v[5:8], v2 offset:96
	s_waitcnt lgkmcnt(1)
	v_fmac_f32_e32 v4, v9, v31
	v_fmac_f32_e32 v4, v10, v30
	s_delay_alu instid0(VALU_DEP_1) | instskip(NEXT) | instid1(VALU_DEP_1)
	v_fmac_f32_e32 v4, v11, v29
	v_fmac_f32_e32 v4, v12, v28
	ds_load_b128 v[9:12], v2 offset:112
	s_waitcnt lgkmcnt(1)
	v_fmac_f32_e32 v4, v5, v27
	s_delay_alu instid0(VALU_DEP_1) | instskip(NEXT) | instid1(VALU_DEP_1)
	v_fmac_f32_e32 v4, v6, v26
	v_fmac_f32_e32 v4, v7, v25
	s_delay_alu instid0(VALU_DEP_1) | instskip(SKIP_1) | instid1(VALU_DEP_1)
	v_fmac_f32_e32 v4, v8, v24
	s_waitcnt lgkmcnt(0)
	v_fmac_f32_e32 v4, v9, v23
	s_delay_alu instid0(VALU_DEP_1) | instskip(NEXT) | instid1(VALU_DEP_1)
	v_fmac_f32_e32 v4, v10, v22
	v_fmac_f32_e32 v4, v11, v21
	s_delay_alu instid0(VALU_DEP_1)
	v_fmac_f32_e32 v4, v12, v20
	s_cmpk_lt_i32 s48, 0x2100
	s_cbranch_scc1 .LBB214_13
.LBB214_21:
	s_cmpk_lt_i32 s48, 0x2200
	v_add_co_u32 v5, vcc_lo, 0x2000, v1
	s_cselect_b32 s4, s49, 0x1080
	v_add_co_ci_u32_e32 v6, vcc_lo, 0, v3, vcc_lo
	s_ashr_i32 s5, s4, 31
	v_mov_b32_e32 v44, 0
	s_lshl_b64 s[4:5], s[4:5], 1
	s_cmpk_lt_i32 s48, 0x2300
	v_add_co_u32 v7, vcc_lo, v1, s4
	s_cselect_b32 s6, s49, 0x1100
	v_add_co_ci_u32_e32 v8, vcc_lo, s5, v3, vcc_lo
	s_ashr_i32 s7, s6, 31
	s_delay_alu instid0(SALU_CYCLE_1)
	s_lshl_b64 s[6:7], s[6:7], 1
	s_cmpk_lt_i32 s48, 0x2400
	v_add_co_u32 v9, vcc_lo, v1, s6
	s_cselect_b32 s8, s49, 0x1180
	v_add_co_ci_u32_e32 v10, vcc_lo, s7, v3, vcc_lo
	s_ashr_i32 s9, s8, 31
	s_delay_alu instid0(SALU_CYCLE_1)
	;; [unrolled: 7-line block ×6, first 2 shown]
	s_lshl_b64 s[26:27], s[18:19], 1
	s_cmpk_lt_i32 s48, 0x2900
	v_add_co_u32 v19, vcc_lo, v1, s26
	s_cselect_b32 s18, s49, 0x1400
	v_add_co_ci_u32_e32 v20, vcc_lo, s27, v3, vcc_lo
	s_ashr_i32 s19, s18, 31
	s_clause 0x7
	global_load_u16 v2, v[5:6], off
	global_load_u16 v21, v[7:8], off
	;; [unrolled: 1-line block ×8, first 2 shown]
	s_lshl_b64 s[18:19], s[18:19], 1
	s_cmpk_lt_i32 s48, 0x2a00
	v_add_co_u32 v5, vcc_lo, v1, s18
	s_cselect_b32 s24, s49, 0x1480
	v_add_co_ci_u32_e32 v6, vcc_lo, s19, v3, vcc_lo
	s_ashr_i32 s25, s24, 31
	s_delay_alu instid0(SALU_CYCLE_1)
	s_lshl_b64 s[24:25], s[24:25], 1
	s_cmpk_lt_i32 s48, 0x2b00
	v_add_co_u32 v7, vcc_lo, v1, s24
	s_cselect_b32 s28, s49, 0x1500
	v_add_co_ci_u32_e32 v8, vcc_lo, s25, v3, vcc_lo
	s_ashr_i32 s29, s28, 31
	s_delay_alu instid0(SALU_CYCLE_1)
	;; [unrolled: 7-line block ×7, first 2 shown]
	s_lshl_b64 s[44:45], s[36:37], 1
	s_cmpk_lt_i32 s48, 0x3100
	v_add_co_u32 v19, vcc_lo, v1, s44
	s_cselect_b32 s36, s49, 0x1800
	v_add_co_ci_u32_e32 v20, vcc_lo, s45, v3, vcc_lo
	s_ashr_i32 s37, s36, 31
	s_clause 0x7
	global_load_u16 v28, v[5:6], off
	global_load_u16 v29, v[7:8], off
	;; [unrolled: 1-line block ×8, first 2 shown]
	s_lshl_b64 s[36:37], s[36:37], 1
	s_cmpk_lt_i32 s48, 0x3200
	v_add_co_u32 v5, vcc_lo, v1, s36
	s_cselect_b32 s42, s49, 0x1880
	v_add_co_ci_u32_e32 v6, vcc_lo, s37, v3, vcc_lo
	s_ashr_i32 s43, s42, 31
	s_delay_alu instid0(SALU_CYCLE_1)
	s_lshl_b64 s[42:43], s[42:43], 1
	s_cmpk_lt_i32 s48, 0x3300
	v_add_co_u32 v7, vcc_lo, v1, s42
	s_cselect_b32 s46, s49, 0x1900
	v_add_co_ci_u32_e32 v8, vcc_lo, s43, v3, vcc_lo
	s_ashr_i32 s47, s46, 31
	s_delay_alu instid0(SALU_CYCLE_1)
	;; [unrolled: 7-line block ×5, first 2 shown]
	s_lshl_b64 s[8:9], s[8:9], 1
	s_cmpk_lt_i32 s48, 0x3700
	v_add_co_u32 v15, vcc_lo, v1, s8
	s_cselect_b32 s10, s49, 0x1b00
	v_add_co_ci_u32_e32 v16, vcc_lo, s9, v3, vcc_lo
	s_ashr_i32 s11, s10, 31
	s_clause 0x5
	global_load_u16 v19, v[5:6], off
	global_load_u16 v20, v[7:8], off
	;; [unrolled: 1-line block ×6, first 2 shown]
	s_lshl_b64 s[10:11], s[10:11], 1
	s_cmpk_lt_i32 s48, 0x3800
	v_add_co_u32 v5, vcc_lo, v1, s10
	s_cselect_b32 s18, s49, 0x1b80
	v_add_co_ci_u32_e32 v6, vcc_lo, s11, v3, vcc_lo
	s_ashr_i32 s19, s18, 31
	s_delay_alu instid0(SALU_CYCLE_1)
	s_lshl_b64 s[18:19], s[18:19], 1
	s_cmpk_lt_i32 s48, 0x3900
	v_add_co_u32 v7, vcc_lo, v1, s18
	s_cselect_b32 s20, s49, 0x1c00
	v_add_co_ci_u32_e32 v8, vcc_lo, s19, v3, vcc_lo
	s_ashr_i32 s21, s20, 31
	global_load_u16 v16, v[5:6], off
	s_lshl_b64 s[20:21], s[20:21], 1
	global_load_u16 v37, v[7:8], off
	s_cmpk_lt_i32 s48, 0x3a00
	v_add_co_u32 v9, vcc_lo, v1, s20
	s_cselect_b32 s22, s49, 0x1c80
	v_add_co_ci_u32_e32 v10, vcc_lo, s21, v3, vcc_lo
	s_ashr_i32 s23, s22, 31
	s_delay_alu instid0(SALU_CYCLE_1)
	s_lshl_b64 s[22:23], s[22:23], 1
	s_cmpk_lt_i32 s48, 0x3b00
	v_add_co_u32 v11, vcc_lo, v1, s22
	s_cselect_b32 s4, s49, 0x1d00
	v_add_co_ci_u32_e32 v12, vcc_lo, s23, v3, vcc_lo
	s_ashr_i32 s5, s4, 31
	s_delay_alu instid0(SALU_CYCLE_1)
	s_lshl_b64 s[4:5], s[4:5], 1
	s_cmpk_lt_i32 s48, 0x3c00
	v_add_co_u32 v13, vcc_lo, v1, s4
	s_cselect_b32 s6, s49, 0x1d80
	v_add_co_ci_u32_e32 v14, vcc_lo, s5, v3, vcc_lo
	s_ashr_i32 s7, s6, 31
	s_clause 0x2
	global_load_u16 v38, v[9:10], off
	global_load_u16 v39, v[11:12], off
	;; [unrolled: 1-line block ×3, first 2 shown]
	s_lshl_b64 s[6:7], s[6:7], 1
	s_cmpk_lt_i32 s48, 0x3d00
	v_add_co_u32 v5, vcc_lo, v1, s6
	s_cselect_b32 s8, s49, 0x1e00
	v_add_co_ci_u32_e32 v6, vcc_lo, s7, v3, vcc_lo
	s_ashr_i32 s9, s8, 31
	s_delay_alu instid0(SALU_CYCLE_1)
	s_lshl_b64 s[4:5], s[8:9], 1
	s_cmpk_lt_i32 s48, 0x3e00
	v_add_co_u32 v7, vcc_lo, v1, s4
	s_cselect_b32 s8, s49, 0x1e80
	v_add_co_ci_u32_e32 v8, vcc_lo, s5, v3, vcc_lo
	s_ashr_i32 s9, s8, 31
	global_load_u16 v14, v[5:6], off
	s_lshl_b64 s[8:9], s[8:9], 1
	s_cmpk_lt_i32 s48, 0x3f00
	v_add_co_u32 v9, vcc_lo, v1, s8
	s_cselect_b32 s6, s49, 0x1f00
	v_add_co_ci_u32_e32 v10, vcc_lo, s9, v3, vcc_lo
	s_ashr_i32 s7, s6, 31
	s_clause 0x1
	global_load_u16 v40, v[7:8], off
	global_load_u16 v41, v[9:10], off
	s_lshl_b64 s[4:5], s[6:7], 1
	s_cmpk_lt_i32 s48, 0x4000
	v_add_co_u32 v5, vcc_lo, v1, s4
	s_cselect_b32 s6, s49, 0x1f80
	v_add_co_ci_u32_e32 v6, vcc_lo, s5, v3, vcc_lo
	s_ashr_i32 s7, s6, 31
	s_delay_alu instid0(SALU_CYCLE_1) | instskip(NEXT) | instid1(SALU_CYCLE_1)
	s_lshl_b64 s[4:5], s[6:7], 1
	v_add_co_u32 v7, vcc_lo, v1, s4
	v_add_co_ci_u32_e32 v8, vcc_lo, s5, v3, vcc_lo
	s_clause 0x1
	global_load_u16 v42, v[5:6], off
	global_load_u16 v43, v[7:8], off
	ds_load_b128 v[5:8], v44 offset:128
	ds_load_b128 v[9:12], v44 offset:144
	s_waitcnt vmcnt(31) lgkmcnt(1)
	v_fma_mix_f32 v2, v5, v2, v4 op_sel_hi:[0,1,0]
	s_waitcnt vmcnt(30)
	s_delay_alu instid0(VALU_DEP_1) | instskip(SKIP_1) | instid1(VALU_DEP_1)
	v_fma_mix_f32 v2, v6, v21, v2 op_sel_hi:[0,1,0]
	s_waitcnt vmcnt(29)
	v_fma_mix_f32 v2, v7, v22, v2 op_sel_hi:[0,1,0]
	ds_load_b128 v[4:7], v44 offset:160
	s_waitcnt vmcnt(28)
	v_fma_mix_f32 v2, v8, v23, v2 op_sel_hi:[0,1,0]
	s_waitcnt vmcnt(27) lgkmcnt(1)
	s_delay_alu instid0(VALU_DEP_1) | instskip(SKIP_1) | instid1(VALU_DEP_1)
	v_fma_mix_f32 v2, v9, v24, v2 op_sel_hi:[0,1,0]
	s_waitcnt vmcnt(26)
	v_fma_mix_f32 v2, v10, v25, v2 op_sel_hi:[0,1,0]
	s_waitcnt vmcnt(25)
	s_delay_alu instid0(VALU_DEP_1) | instskip(SKIP_4) | instid1(VALU_DEP_1)
	v_fma_mix_f32 v2, v11, v26, v2 op_sel_hi:[0,1,0]
	ds_load_b128 v[8:11], v44 offset:176
	s_waitcnt vmcnt(24)
	v_fma_mix_f32 v2, v12, v27, v2 op_sel_hi:[0,1,0]
	s_waitcnt vmcnt(23) lgkmcnt(1)
	v_fma_mix_f32 v2, v4, v28, v2 op_sel_hi:[0,1,0]
	s_waitcnt vmcnt(22)
	s_delay_alu instid0(VALU_DEP_1) | instskip(SKIP_1) | instid1(VALU_DEP_1)
	v_fma_mix_f32 v2, v5, v29, v2 op_sel_hi:[0,1,0]
	s_waitcnt vmcnt(21)
	v_fma_mix_f32 v2, v6, v30, v2 op_sel_hi:[0,1,0]
	s_waitcnt vmcnt(20)
	s_delay_alu instid0(VALU_DEP_1) | instskip(SKIP_4) | instid1(VALU_DEP_1)
	v_fma_mix_f32 v2, v7, v31, v2 op_sel_hi:[0,1,0]
	ds_load_b128 v[4:7], v44 offset:192
	s_waitcnt vmcnt(19) lgkmcnt(1)
	v_fma_mix_f32 v2, v8, v32, v2 op_sel_hi:[0,1,0]
	s_waitcnt vmcnt(18)
	v_fma_mix_f32 v2, v9, v33, v2 op_sel_hi:[0,1,0]
	s_waitcnt vmcnt(17)
	s_delay_alu instid0(VALU_DEP_1) | instskip(SKIP_1) | instid1(VALU_DEP_1)
	v_fma_mix_f32 v2, v10, v17, v2 op_sel_hi:[0,1,0]
	s_waitcnt vmcnt(16)
	v_fma_mix_f32 v2, v11, v18, v2 op_sel_hi:[0,1,0]
	ds_load_b128 v[8:11], v44 offset:208
	s_waitcnt vmcnt(15) lgkmcnt(1)
	v_fma_mix_f32 v2, v4, v19, v2 op_sel_hi:[0,1,0]
	s_waitcnt vmcnt(14)
	s_delay_alu instid0(VALU_DEP_1) | instskip(SKIP_1) | instid1(VALU_DEP_1)
	v_fma_mix_f32 v2, v5, v20, v2 op_sel_hi:[0,1,0]
	s_waitcnt vmcnt(13)
	v_fma_mix_f32 v2, v6, v34, v2 op_sel_hi:[0,1,0]
	s_waitcnt vmcnt(12)
	s_delay_alu instid0(VALU_DEP_1) | instskip(SKIP_4) | instid1(VALU_DEP_1)
	v_fma_mix_f32 v2, v7, v35, v2 op_sel_hi:[0,1,0]
	ds_load_b128 v[4:7], v44 offset:224
	s_waitcnt vmcnt(11) lgkmcnt(1)
	v_fma_mix_f32 v2, v8, v36, v2 op_sel_hi:[0,1,0]
	s_waitcnt vmcnt(10)
	v_fma_mix_f32 v2, v9, v15, v2 op_sel_hi:[0,1,0]
	s_waitcnt vmcnt(9)
	s_delay_alu instid0(VALU_DEP_1) | instskip(SKIP_1) | instid1(VALU_DEP_1)
	v_fma_mix_f32 v2, v10, v16, v2 op_sel_hi:[0,1,0]
	s_waitcnt vmcnt(8)
	v_fma_mix_f32 v2, v11, v37, v2 op_sel_hi:[0,1,0]
	ds_load_b128 v[8:11], v44 offset:240
	s_waitcnt vmcnt(7) lgkmcnt(1)
	v_fma_mix_f32 v2, v4, v38, v2 op_sel_hi:[0,1,0]
	s_waitcnt vmcnt(6)
	s_delay_alu instid0(VALU_DEP_1) | instskip(SKIP_1) | instid1(VALU_DEP_1)
	v_fma_mix_f32 v2, v5, v39, v2 op_sel_hi:[0,1,0]
	s_waitcnt vmcnt(5)
	v_fma_mix_f32 v2, v6, v13, v2 op_sel_hi:[0,1,0]
	s_waitcnt vmcnt(4)
	s_delay_alu instid0(VALU_DEP_1) | instskip(SKIP_1) | instid1(VALU_DEP_1)
	v_fma_mix_f32 v2, v7, v14, v2 op_sel_hi:[0,1,0]
	s_waitcnt vmcnt(3) lgkmcnt(0)
	v_fma_mix_f32 v2, v8, v40, v2 op_sel_hi:[0,1,0]
	s_waitcnt vmcnt(2)
	s_delay_alu instid0(VALU_DEP_1) | instskip(SKIP_1) | instid1(VALU_DEP_1)
	v_fma_mix_f32 v2, v9, v41, v2 op_sel_hi:[0,1,0]
	s_waitcnt vmcnt(1)
	v_fma_mix_f32 v2, v10, v42, v2 op_sel_hi:[0,1,0]
	s_waitcnt vmcnt(0)
	s_delay_alu instid0(VALU_DEP_1)
	v_fma_mix_f32 v4, v11, v43, v2 op_sel_hi:[0,1,0]
	s_cmpk_lt_i32 s48, 0x4100
	s_cbranch_scc1 .LBB214_14
.LBB214_22:
	s_cmpk_lt_i32 s48, 0x4200
	v_add_co_u32 v5, vcc_lo, 0x4000, v1
	s_cselect_b32 s4, s49, 0x2080
	v_add_co_ci_u32_e32 v6, vcc_lo, 0, v3, vcc_lo
	s_ashr_i32 s5, s4, 31
	v_mov_b32_e32 v44, 0
	s_lshl_b64 s[4:5], s[4:5], 1
	s_cmpk_lt_i32 s48, 0x4300
	v_add_co_u32 v7, vcc_lo, v1, s4
	s_cselect_b32 s6, s49, 0x2100
	v_add_co_ci_u32_e32 v8, vcc_lo, s5, v3, vcc_lo
	s_ashr_i32 s7, s6, 31
	s_delay_alu instid0(SALU_CYCLE_1)
	s_lshl_b64 s[6:7], s[6:7], 1
	s_cmpk_lt_i32 s48, 0x4400
	v_add_co_u32 v9, vcc_lo, v1, s6
	s_cselect_b32 s8, s49, 0x2180
	v_add_co_ci_u32_e32 v10, vcc_lo, s7, v3, vcc_lo
	s_ashr_i32 s9, s8, 31
	s_delay_alu instid0(SALU_CYCLE_1)
	;; [unrolled: 7-line block ×6, first 2 shown]
	s_lshl_b64 s[26:27], s[18:19], 1
	s_cmpk_lt_i32 s48, 0x4900
	v_add_co_u32 v19, vcc_lo, v1, s26
	s_cselect_b32 s18, s49, 0x2400
	v_add_co_ci_u32_e32 v20, vcc_lo, s27, v3, vcc_lo
	s_ashr_i32 s19, s18, 31
	s_clause 0x7
	global_load_u16 v2, v[5:6], off
	global_load_u16 v21, v[7:8], off
	;; [unrolled: 1-line block ×8, first 2 shown]
	s_lshl_b64 s[18:19], s[18:19], 1
	s_cmpk_lt_i32 s48, 0x4a00
	v_add_co_u32 v5, vcc_lo, v1, s18
	s_cselect_b32 s24, s49, 0x2480
	v_add_co_ci_u32_e32 v6, vcc_lo, s19, v3, vcc_lo
	s_ashr_i32 s25, s24, 31
	s_delay_alu instid0(SALU_CYCLE_1)
	s_lshl_b64 s[24:25], s[24:25], 1
	s_cmpk_lt_i32 s48, 0x4b00
	v_add_co_u32 v7, vcc_lo, v1, s24
	s_cselect_b32 s28, s49, 0x2500
	v_add_co_ci_u32_e32 v8, vcc_lo, s25, v3, vcc_lo
	s_ashr_i32 s29, s28, 31
	s_delay_alu instid0(SALU_CYCLE_1)
	;; [unrolled: 7-line block ×7, first 2 shown]
	s_lshl_b64 s[44:45], s[36:37], 1
	s_cmpk_lt_i32 s48, 0x5100
	v_add_co_u32 v19, vcc_lo, v1, s44
	s_cselect_b32 s36, s49, 0x2800
	v_add_co_ci_u32_e32 v20, vcc_lo, s45, v3, vcc_lo
	s_ashr_i32 s37, s36, 31
	s_clause 0x7
	global_load_u16 v28, v[5:6], off
	global_load_u16 v29, v[7:8], off
	;; [unrolled: 1-line block ×8, first 2 shown]
	s_lshl_b64 s[36:37], s[36:37], 1
	s_cmpk_lt_i32 s48, 0x5200
	v_add_co_u32 v5, vcc_lo, v1, s36
	s_cselect_b32 s42, s49, 0x2880
	v_add_co_ci_u32_e32 v6, vcc_lo, s37, v3, vcc_lo
	s_ashr_i32 s43, s42, 31
	s_delay_alu instid0(SALU_CYCLE_1)
	s_lshl_b64 s[42:43], s[42:43], 1
	s_cmpk_lt_i32 s48, 0x5300
	v_add_co_u32 v7, vcc_lo, v1, s42
	s_cselect_b32 s46, s49, 0x2900
	v_add_co_ci_u32_e32 v8, vcc_lo, s43, v3, vcc_lo
	s_ashr_i32 s47, s46, 31
	s_delay_alu instid0(SALU_CYCLE_1)
	;; [unrolled: 7-line block ×5, first 2 shown]
	s_lshl_b64 s[8:9], s[8:9], 1
	s_cmpk_lt_i32 s48, 0x5700
	v_add_co_u32 v15, vcc_lo, v1, s8
	s_cselect_b32 s10, s49, 0x2b00
	v_add_co_ci_u32_e32 v16, vcc_lo, s9, v3, vcc_lo
	s_ashr_i32 s11, s10, 31
	s_clause 0x5
	global_load_u16 v19, v[5:6], off
	global_load_u16 v20, v[7:8], off
	global_load_u16 v34, v[9:10], off
	global_load_u16 v35, v[11:12], off
	global_load_u16 v36, v[13:14], off
	global_load_u16 v15, v[15:16], off
	s_lshl_b64 s[10:11], s[10:11], 1
	s_cmpk_lt_i32 s48, 0x5800
	v_add_co_u32 v5, vcc_lo, v1, s10
	s_cselect_b32 s18, s49, 0x2b80
	v_add_co_ci_u32_e32 v6, vcc_lo, s11, v3, vcc_lo
	s_ashr_i32 s19, s18, 31
	s_delay_alu instid0(SALU_CYCLE_1)
	s_lshl_b64 s[18:19], s[18:19], 1
	s_cmpk_lt_i32 s48, 0x5900
	v_add_co_u32 v7, vcc_lo, v1, s18
	s_cselect_b32 s20, s49, 0x2c00
	v_add_co_ci_u32_e32 v8, vcc_lo, s19, v3, vcc_lo
	s_ashr_i32 s21, s20, 31
	global_load_u16 v16, v[5:6], off
	s_lshl_b64 s[20:21], s[20:21], 1
	global_load_u16 v37, v[7:8], off
	s_cmpk_lt_i32 s48, 0x5a00
	v_add_co_u32 v9, vcc_lo, v1, s20
	s_cselect_b32 s22, s49, 0x2c80
	v_add_co_ci_u32_e32 v10, vcc_lo, s21, v3, vcc_lo
	s_ashr_i32 s23, s22, 31
	s_delay_alu instid0(SALU_CYCLE_1)
	s_lshl_b64 s[22:23], s[22:23], 1
	s_cmpk_lt_i32 s48, 0x5b00
	v_add_co_u32 v11, vcc_lo, v1, s22
	s_cselect_b32 s4, s49, 0x2d00
	v_add_co_ci_u32_e32 v12, vcc_lo, s23, v3, vcc_lo
	s_ashr_i32 s5, s4, 31
	s_delay_alu instid0(SALU_CYCLE_1)
	s_lshl_b64 s[4:5], s[4:5], 1
	s_cmpk_lt_i32 s48, 0x5c00
	v_add_co_u32 v13, vcc_lo, v1, s4
	s_cselect_b32 s6, s49, 0x2d80
	v_add_co_ci_u32_e32 v14, vcc_lo, s5, v3, vcc_lo
	s_ashr_i32 s7, s6, 31
	s_clause 0x2
	global_load_u16 v38, v[9:10], off
	global_load_u16 v39, v[11:12], off
	global_load_u16 v13, v[13:14], off
	s_lshl_b64 s[6:7], s[6:7], 1
	s_cmpk_lt_i32 s48, 0x5d00
	v_add_co_u32 v5, vcc_lo, v1, s6
	s_cselect_b32 s8, s49, 0x2e00
	v_add_co_ci_u32_e32 v6, vcc_lo, s7, v3, vcc_lo
	s_ashr_i32 s9, s8, 31
	s_delay_alu instid0(SALU_CYCLE_1)
	s_lshl_b64 s[4:5], s[8:9], 1
	s_cmpk_lt_i32 s48, 0x5e00
	v_add_co_u32 v7, vcc_lo, v1, s4
	s_cselect_b32 s8, s49, 0x2e80
	v_add_co_ci_u32_e32 v8, vcc_lo, s5, v3, vcc_lo
	s_ashr_i32 s9, s8, 31
	global_load_u16 v14, v[5:6], off
	s_lshl_b64 s[8:9], s[8:9], 1
	s_cmpk_lt_i32 s48, 0x5f00
	v_add_co_u32 v9, vcc_lo, v1, s8
	s_cselect_b32 s6, s49, 0x2f00
	v_add_co_ci_u32_e32 v10, vcc_lo, s9, v3, vcc_lo
	s_ashr_i32 s7, s6, 31
	s_clause 0x1
	global_load_u16 v40, v[7:8], off
	global_load_u16 v41, v[9:10], off
	s_lshl_b64 s[4:5], s[6:7], 1
	s_cmpk_lt_i32 s48, 0x6000
	v_add_co_u32 v5, vcc_lo, v1, s4
	s_cselect_b32 s6, s49, 0x2f80
	v_add_co_ci_u32_e32 v6, vcc_lo, s5, v3, vcc_lo
	s_ashr_i32 s7, s6, 31
	s_delay_alu instid0(SALU_CYCLE_1) | instskip(NEXT) | instid1(SALU_CYCLE_1)
	s_lshl_b64 s[4:5], s[6:7], 1
	v_add_co_u32 v7, vcc_lo, v1, s4
	v_add_co_ci_u32_e32 v8, vcc_lo, s5, v3, vcc_lo
	s_clause 0x1
	global_load_u16 v42, v[5:6], off
	global_load_u16 v43, v[7:8], off
	ds_load_b128 v[5:8], v44 offset:256
	ds_load_b128 v[9:12], v44 offset:272
	s_waitcnt vmcnt(31) lgkmcnt(1)
	v_fma_mix_f32 v2, v5, v2, v4 op_sel_hi:[0,1,0]
	s_waitcnt vmcnt(30)
	s_delay_alu instid0(VALU_DEP_1) | instskip(SKIP_1) | instid1(VALU_DEP_1)
	v_fma_mix_f32 v2, v6, v21, v2 op_sel_hi:[0,1,0]
	s_waitcnt vmcnt(29)
	v_fma_mix_f32 v2, v7, v22, v2 op_sel_hi:[0,1,0]
	ds_load_b128 v[4:7], v44 offset:288
	s_waitcnt vmcnt(28)
	v_fma_mix_f32 v2, v8, v23, v2 op_sel_hi:[0,1,0]
	s_waitcnt vmcnt(27) lgkmcnt(1)
	s_delay_alu instid0(VALU_DEP_1) | instskip(SKIP_1) | instid1(VALU_DEP_1)
	v_fma_mix_f32 v2, v9, v24, v2 op_sel_hi:[0,1,0]
	s_waitcnt vmcnt(26)
	v_fma_mix_f32 v2, v10, v25, v2 op_sel_hi:[0,1,0]
	s_waitcnt vmcnt(25)
	s_delay_alu instid0(VALU_DEP_1) | instskip(SKIP_4) | instid1(VALU_DEP_1)
	v_fma_mix_f32 v2, v11, v26, v2 op_sel_hi:[0,1,0]
	ds_load_b128 v[8:11], v44 offset:304
	s_waitcnt vmcnt(24)
	v_fma_mix_f32 v2, v12, v27, v2 op_sel_hi:[0,1,0]
	s_waitcnt vmcnt(23) lgkmcnt(1)
	v_fma_mix_f32 v2, v4, v28, v2 op_sel_hi:[0,1,0]
	s_waitcnt vmcnt(22)
	s_delay_alu instid0(VALU_DEP_1) | instskip(SKIP_1) | instid1(VALU_DEP_1)
	v_fma_mix_f32 v2, v5, v29, v2 op_sel_hi:[0,1,0]
	s_waitcnt vmcnt(21)
	v_fma_mix_f32 v2, v6, v30, v2 op_sel_hi:[0,1,0]
	s_waitcnt vmcnt(20)
	s_delay_alu instid0(VALU_DEP_1) | instskip(SKIP_4) | instid1(VALU_DEP_1)
	v_fma_mix_f32 v2, v7, v31, v2 op_sel_hi:[0,1,0]
	ds_load_b128 v[4:7], v44 offset:320
	s_waitcnt vmcnt(19) lgkmcnt(1)
	v_fma_mix_f32 v2, v8, v32, v2 op_sel_hi:[0,1,0]
	s_waitcnt vmcnt(18)
	v_fma_mix_f32 v2, v9, v33, v2 op_sel_hi:[0,1,0]
	s_waitcnt vmcnt(17)
	s_delay_alu instid0(VALU_DEP_1) | instskip(SKIP_1) | instid1(VALU_DEP_1)
	v_fma_mix_f32 v2, v10, v17, v2 op_sel_hi:[0,1,0]
	s_waitcnt vmcnt(16)
	v_fma_mix_f32 v2, v11, v18, v2 op_sel_hi:[0,1,0]
	ds_load_b128 v[8:11], v44 offset:336
	s_waitcnt vmcnt(15) lgkmcnt(1)
	v_fma_mix_f32 v2, v4, v19, v2 op_sel_hi:[0,1,0]
	s_waitcnt vmcnt(14)
	s_delay_alu instid0(VALU_DEP_1) | instskip(SKIP_1) | instid1(VALU_DEP_1)
	v_fma_mix_f32 v2, v5, v20, v2 op_sel_hi:[0,1,0]
	s_waitcnt vmcnt(13)
	v_fma_mix_f32 v2, v6, v34, v2 op_sel_hi:[0,1,0]
	s_waitcnt vmcnt(12)
	s_delay_alu instid0(VALU_DEP_1) | instskip(SKIP_4) | instid1(VALU_DEP_1)
	v_fma_mix_f32 v2, v7, v35, v2 op_sel_hi:[0,1,0]
	ds_load_b128 v[4:7], v44 offset:352
	s_waitcnt vmcnt(11) lgkmcnt(1)
	v_fma_mix_f32 v2, v8, v36, v2 op_sel_hi:[0,1,0]
	s_waitcnt vmcnt(10)
	v_fma_mix_f32 v2, v9, v15, v2 op_sel_hi:[0,1,0]
	s_waitcnt vmcnt(9)
	s_delay_alu instid0(VALU_DEP_1) | instskip(SKIP_1) | instid1(VALU_DEP_1)
	v_fma_mix_f32 v2, v10, v16, v2 op_sel_hi:[0,1,0]
	s_waitcnt vmcnt(8)
	v_fma_mix_f32 v2, v11, v37, v2 op_sel_hi:[0,1,0]
	ds_load_b128 v[8:11], v44 offset:368
	s_waitcnt vmcnt(7) lgkmcnt(1)
	v_fma_mix_f32 v2, v4, v38, v2 op_sel_hi:[0,1,0]
	s_waitcnt vmcnt(6)
	s_delay_alu instid0(VALU_DEP_1) | instskip(SKIP_1) | instid1(VALU_DEP_1)
	v_fma_mix_f32 v2, v5, v39, v2 op_sel_hi:[0,1,0]
	s_waitcnt vmcnt(5)
	v_fma_mix_f32 v2, v6, v13, v2 op_sel_hi:[0,1,0]
	s_waitcnt vmcnt(4)
	s_delay_alu instid0(VALU_DEP_1) | instskip(SKIP_1) | instid1(VALU_DEP_1)
	v_fma_mix_f32 v2, v7, v14, v2 op_sel_hi:[0,1,0]
	s_waitcnt vmcnt(3) lgkmcnt(0)
	v_fma_mix_f32 v2, v8, v40, v2 op_sel_hi:[0,1,0]
	s_waitcnt vmcnt(2)
	s_delay_alu instid0(VALU_DEP_1) | instskip(SKIP_1) | instid1(VALU_DEP_1)
	v_fma_mix_f32 v2, v9, v41, v2 op_sel_hi:[0,1,0]
	s_waitcnt vmcnt(1)
	v_fma_mix_f32 v2, v10, v42, v2 op_sel_hi:[0,1,0]
	s_waitcnt vmcnt(0)
	s_delay_alu instid0(VALU_DEP_1)
	v_fma_mix_f32 v4, v11, v43, v2 op_sel_hi:[0,1,0]
	s_cmpk_lt_i32 s48, 0x6100
	s_cbranch_scc1 .LBB214_15
.LBB214_23:
	s_cmpk_lt_i32 s48, 0x6200
	v_add_co_u32 v5, vcc_lo, 0x6000, v1
	s_cselect_b32 s4, s49, 0x3080
	v_add_co_ci_u32_e32 v6, vcc_lo, 0, v3, vcc_lo
	s_ashr_i32 s5, s4, 31
	v_mov_b32_e32 v44, 0
	s_lshl_b64 s[4:5], s[4:5], 1
	s_cmpk_lt_i32 s48, 0x6300
	v_add_co_u32 v7, vcc_lo, v1, s4
	s_cselect_b32 s6, s49, 0x3100
	v_add_co_ci_u32_e32 v8, vcc_lo, s5, v3, vcc_lo
	s_ashr_i32 s7, s6, 31
	s_delay_alu instid0(SALU_CYCLE_1)
	s_lshl_b64 s[6:7], s[6:7], 1
	s_cmpk_lt_i32 s48, 0x6400
	v_add_co_u32 v9, vcc_lo, v1, s6
	s_cselect_b32 s8, s49, 0x3180
	v_add_co_ci_u32_e32 v10, vcc_lo, s7, v3, vcc_lo
	s_ashr_i32 s9, s8, 31
	s_delay_alu instid0(SALU_CYCLE_1)
	;; [unrolled: 7-line block ×6, first 2 shown]
	s_lshl_b64 s[26:27], s[18:19], 1
	s_cmpk_lt_i32 s48, 0x6900
	v_add_co_u32 v19, vcc_lo, v1, s26
	s_cselect_b32 s18, s49, 0x3400
	v_add_co_ci_u32_e32 v20, vcc_lo, s27, v3, vcc_lo
	s_ashr_i32 s19, s18, 31
	s_clause 0x7
	global_load_u16 v2, v[5:6], off
	global_load_u16 v21, v[7:8], off
	;; [unrolled: 1-line block ×8, first 2 shown]
	s_lshl_b64 s[18:19], s[18:19], 1
	s_cmpk_lt_i32 s48, 0x6a00
	v_add_co_u32 v5, vcc_lo, v1, s18
	s_cselect_b32 s24, s49, 0x3480
	v_add_co_ci_u32_e32 v6, vcc_lo, s19, v3, vcc_lo
	s_ashr_i32 s25, s24, 31
	s_delay_alu instid0(SALU_CYCLE_1)
	s_lshl_b64 s[24:25], s[24:25], 1
	s_cmpk_lt_i32 s48, 0x6b00
	v_add_co_u32 v7, vcc_lo, v1, s24
	s_cselect_b32 s28, s49, 0x3500
	v_add_co_ci_u32_e32 v8, vcc_lo, s25, v3, vcc_lo
	s_ashr_i32 s29, s28, 31
	s_delay_alu instid0(SALU_CYCLE_1)
	;; [unrolled: 7-line block ×7, first 2 shown]
	s_lshl_b64 s[44:45], s[36:37], 1
	s_cmpk_lt_i32 s48, 0x7100
	v_add_co_u32 v19, vcc_lo, v1, s44
	s_cselect_b32 s36, s49, 0x3800
	v_add_co_ci_u32_e32 v20, vcc_lo, s45, v3, vcc_lo
	s_ashr_i32 s37, s36, 31
	s_clause 0x7
	global_load_u16 v28, v[5:6], off
	global_load_u16 v29, v[7:8], off
	;; [unrolled: 1-line block ×8, first 2 shown]
	s_lshl_b64 s[36:37], s[36:37], 1
	s_cmpk_lt_i32 s48, 0x7200
	v_add_co_u32 v5, vcc_lo, v1, s36
	s_cselect_b32 s42, s49, 0x3880
	v_add_co_ci_u32_e32 v6, vcc_lo, s37, v3, vcc_lo
	s_ashr_i32 s43, s42, 31
	s_delay_alu instid0(SALU_CYCLE_1)
	s_lshl_b64 s[42:43], s[42:43], 1
	s_cmpk_lt_i32 s48, 0x7300
	v_add_co_u32 v7, vcc_lo, v1, s42
	s_cselect_b32 s46, s49, 0x3900
	v_add_co_ci_u32_e32 v8, vcc_lo, s43, v3, vcc_lo
	s_ashr_i32 s47, s46, 31
	s_delay_alu instid0(SALU_CYCLE_1)
	s_lshl_b64 s[46:47], s[46:47], 1
	s_cmpk_lt_i32 s48, 0x7400
	v_add_co_u32 v9, vcc_lo, v1, s46
	s_cselect_b32 s50, s49, 0x3980
	v_add_co_ci_u32_e32 v10, vcc_lo, s47, v3, vcc_lo
	s_ashr_i32 s51, s50, 31
	s_delay_alu instid0(SALU_CYCLE_1)
	s_lshl_b64 s[4:5], s[50:51], 1
	s_cmpk_lt_i32 s48, 0x7500
	v_add_co_u32 v11, vcc_lo, v1, s4
	s_cselect_b32 s6, s49, 0x3a00
	v_add_co_ci_u32_e32 v12, vcc_lo, s5, v3, vcc_lo
	s_ashr_i32 s7, s6, 31
	s_delay_alu instid0(SALU_CYCLE_1)
	s_lshl_b64 s[6:7], s[6:7], 1
	s_cmpk_lt_i32 s48, 0x7600
	v_add_co_u32 v13, vcc_lo, v1, s6
	s_cselect_b32 s8, s49, 0x3a80
	v_add_co_ci_u32_e32 v14, vcc_lo, s7, v3, vcc_lo
	s_ashr_i32 s9, s8, 31
	s_delay_alu instid0(SALU_CYCLE_1)
	s_lshl_b64 s[8:9], s[8:9], 1
	s_cmpk_lt_i32 s48, 0x7700
	v_add_co_u32 v15, vcc_lo, v1, s8
	s_cselect_b32 s10, s49, 0x3b00
	v_add_co_ci_u32_e32 v16, vcc_lo, s9, v3, vcc_lo
	s_ashr_i32 s11, s10, 31
	s_clause 0x5
	global_load_u16 v19, v[5:6], off
	global_load_u16 v20, v[7:8], off
	;; [unrolled: 1-line block ×6, first 2 shown]
	s_lshl_b64 s[10:11], s[10:11], 1
	s_cmpk_lt_i32 s48, 0x7800
	v_add_co_u32 v5, vcc_lo, v1, s10
	s_cselect_b32 s18, s49, 0x3b80
	v_add_co_ci_u32_e32 v6, vcc_lo, s11, v3, vcc_lo
	s_ashr_i32 s19, s18, 31
	s_delay_alu instid0(SALU_CYCLE_1)
	s_lshl_b64 s[18:19], s[18:19], 1
	s_cmpk_lt_i32 s48, 0x7900
	v_add_co_u32 v7, vcc_lo, v1, s18
	s_cselect_b32 s20, s49, 0x3c00
	v_add_co_ci_u32_e32 v8, vcc_lo, s19, v3, vcc_lo
	s_ashr_i32 s21, s20, 31
	global_load_u16 v16, v[5:6], off
	s_lshl_b64 s[20:21], s[20:21], 1
	global_load_u16 v37, v[7:8], off
	s_cmpk_lt_i32 s48, 0x7a00
	v_add_co_u32 v9, vcc_lo, v1, s20
	s_cselect_b32 s22, s49, 0x3c80
	v_add_co_ci_u32_e32 v10, vcc_lo, s21, v3, vcc_lo
	s_ashr_i32 s23, s22, 31
	s_delay_alu instid0(SALU_CYCLE_1)
	s_lshl_b64 s[22:23], s[22:23], 1
	s_cmpk_lt_i32 s48, 0x7b00
	v_add_co_u32 v11, vcc_lo, v1, s22
	s_cselect_b32 s4, s49, 0x3d00
	v_add_co_ci_u32_e32 v12, vcc_lo, s23, v3, vcc_lo
	s_ashr_i32 s5, s4, 31
	s_delay_alu instid0(SALU_CYCLE_1)
	s_lshl_b64 s[4:5], s[4:5], 1
	s_cmpk_lt_i32 s48, 0x7c00
	v_add_co_u32 v13, vcc_lo, v1, s4
	s_cselect_b32 s6, s49, 0x3d80
	v_add_co_ci_u32_e32 v14, vcc_lo, s5, v3, vcc_lo
	s_ashr_i32 s7, s6, 31
	s_clause 0x2
	global_load_u16 v38, v[9:10], off
	global_load_u16 v39, v[11:12], off
	;; [unrolled: 1-line block ×3, first 2 shown]
	s_lshl_b64 s[6:7], s[6:7], 1
	s_cmpk_lt_i32 s48, 0x7d00
	v_add_co_u32 v5, vcc_lo, v1, s6
	s_cselect_b32 s8, s49, 0x3e00
	v_add_co_ci_u32_e32 v6, vcc_lo, s7, v3, vcc_lo
	s_ashr_i32 s9, s8, 31
	s_delay_alu instid0(SALU_CYCLE_1)
	s_lshl_b64 s[4:5], s[8:9], 1
	s_cmpk_lt_i32 s48, 0x7e00
	v_add_co_u32 v7, vcc_lo, v1, s4
	s_cselect_b32 s8, s49, 0x3e80
	v_add_co_ci_u32_e32 v8, vcc_lo, s5, v3, vcc_lo
	s_ashr_i32 s9, s8, 31
	global_load_u16 v14, v[5:6], off
	s_lshl_b64 s[8:9], s[8:9], 1
	s_cmpk_lt_i32 s48, 0x7f00
	v_add_co_u32 v9, vcc_lo, v1, s8
	s_cselect_b32 s6, s49, 0x3f00
	v_add_co_ci_u32_e32 v10, vcc_lo, s9, v3, vcc_lo
	s_ashr_i32 s7, s6, 31
	s_clause 0x1
	global_load_u16 v40, v[7:8], off
	global_load_u16 v41, v[9:10], off
	s_lshl_b64 s[4:5], s[6:7], 1
	s_cmp_lt_i32 s48, 0x8000
	v_add_co_u32 v5, vcc_lo, v1, s4
	s_cselect_b32 s6, s49, 0x3f80
	v_add_co_ci_u32_e32 v6, vcc_lo, s5, v3, vcc_lo
	s_ashr_i32 s7, s6, 31
	s_delay_alu instid0(SALU_CYCLE_1) | instskip(NEXT) | instid1(SALU_CYCLE_1)
	s_lshl_b64 s[4:5], s[6:7], 1
	v_add_co_u32 v7, vcc_lo, v1, s4
	v_add_co_ci_u32_e32 v8, vcc_lo, s5, v3, vcc_lo
	s_clause 0x1
	global_load_u16 v42, v[5:6], off
	global_load_u16 v43, v[7:8], off
	ds_load_b128 v[5:8], v44 offset:384
	ds_load_b128 v[9:12], v44 offset:400
	s_waitcnt vmcnt(31) lgkmcnt(1)
	v_fma_mix_f32 v2, v5, v2, v4 op_sel_hi:[0,1,0]
	s_waitcnt vmcnt(30)
	s_delay_alu instid0(VALU_DEP_1) | instskip(SKIP_1) | instid1(VALU_DEP_1)
	v_fma_mix_f32 v2, v6, v21, v2 op_sel_hi:[0,1,0]
	s_waitcnt vmcnt(29)
	v_fma_mix_f32 v2, v7, v22, v2 op_sel_hi:[0,1,0]
	ds_load_b128 v[4:7], v44 offset:416
	s_waitcnt vmcnt(28)
	v_fma_mix_f32 v2, v8, v23, v2 op_sel_hi:[0,1,0]
	s_waitcnt vmcnt(27) lgkmcnt(1)
	s_delay_alu instid0(VALU_DEP_1) | instskip(SKIP_1) | instid1(VALU_DEP_1)
	v_fma_mix_f32 v2, v9, v24, v2 op_sel_hi:[0,1,0]
	s_waitcnt vmcnt(26)
	v_fma_mix_f32 v2, v10, v25, v2 op_sel_hi:[0,1,0]
	s_waitcnt vmcnt(25)
	s_delay_alu instid0(VALU_DEP_1) | instskip(SKIP_4) | instid1(VALU_DEP_1)
	v_fma_mix_f32 v2, v11, v26, v2 op_sel_hi:[0,1,0]
	ds_load_b128 v[8:11], v44 offset:432
	s_waitcnt vmcnt(24)
	v_fma_mix_f32 v2, v12, v27, v2 op_sel_hi:[0,1,0]
	s_waitcnt vmcnt(23) lgkmcnt(1)
	v_fma_mix_f32 v2, v4, v28, v2 op_sel_hi:[0,1,0]
	s_waitcnt vmcnt(22)
	s_delay_alu instid0(VALU_DEP_1) | instskip(SKIP_1) | instid1(VALU_DEP_1)
	v_fma_mix_f32 v2, v5, v29, v2 op_sel_hi:[0,1,0]
	s_waitcnt vmcnt(21)
	v_fma_mix_f32 v2, v6, v30, v2 op_sel_hi:[0,1,0]
	s_waitcnt vmcnt(20)
	s_delay_alu instid0(VALU_DEP_1) | instskip(SKIP_4) | instid1(VALU_DEP_1)
	v_fma_mix_f32 v2, v7, v31, v2 op_sel_hi:[0,1,0]
	ds_load_b128 v[4:7], v44 offset:448
	s_waitcnt vmcnt(19) lgkmcnt(1)
	v_fma_mix_f32 v2, v8, v32, v2 op_sel_hi:[0,1,0]
	s_waitcnt vmcnt(18)
	v_fma_mix_f32 v2, v9, v33, v2 op_sel_hi:[0,1,0]
	s_waitcnt vmcnt(17)
	s_delay_alu instid0(VALU_DEP_1) | instskip(SKIP_1) | instid1(VALU_DEP_1)
	v_fma_mix_f32 v2, v10, v17, v2 op_sel_hi:[0,1,0]
	s_waitcnt vmcnt(16)
	v_fma_mix_f32 v2, v11, v18, v2 op_sel_hi:[0,1,0]
	ds_load_b128 v[8:11], v44 offset:464
	s_waitcnt vmcnt(15) lgkmcnt(1)
	v_fma_mix_f32 v2, v4, v19, v2 op_sel_hi:[0,1,0]
	s_waitcnt vmcnt(14)
	s_delay_alu instid0(VALU_DEP_1) | instskip(SKIP_1) | instid1(VALU_DEP_1)
	v_fma_mix_f32 v2, v5, v20, v2 op_sel_hi:[0,1,0]
	s_waitcnt vmcnt(13)
	v_fma_mix_f32 v2, v6, v34, v2 op_sel_hi:[0,1,0]
	s_waitcnt vmcnt(12)
	s_delay_alu instid0(VALU_DEP_1) | instskip(SKIP_4) | instid1(VALU_DEP_1)
	v_fma_mix_f32 v2, v7, v35, v2 op_sel_hi:[0,1,0]
	ds_load_b128 v[4:7], v44 offset:480
	s_waitcnt vmcnt(11) lgkmcnt(1)
	v_fma_mix_f32 v2, v8, v36, v2 op_sel_hi:[0,1,0]
	s_waitcnt vmcnt(10)
	v_fma_mix_f32 v2, v9, v15, v2 op_sel_hi:[0,1,0]
	s_waitcnt vmcnt(9)
	s_delay_alu instid0(VALU_DEP_1) | instskip(SKIP_1) | instid1(VALU_DEP_1)
	v_fma_mix_f32 v2, v10, v16, v2 op_sel_hi:[0,1,0]
	s_waitcnt vmcnt(8)
	v_fma_mix_f32 v2, v11, v37, v2 op_sel_hi:[0,1,0]
	ds_load_b128 v[8:11], v44 offset:496
	s_waitcnt vmcnt(7) lgkmcnt(1)
	v_fma_mix_f32 v2, v4, v38, v2 op_sel_hi:[0,1,0]
	s_waitcnt vmcnt(6)
	s_delay_alu instid0(VALU_DEP_1) | instskip(SKIP_1) | instid1(VALU_DEP_1)
	v_fma_mix_f32 v2, v5, v39, v2 op_sel_hi:[0,1,0]
	s_waitcnt vmcnt(5)
	v_fma_mix_f32 v2, v6, v13, v2 op_sel_hi:[0,1,0]
	s_waitcnt vmcnt(4)
	s_delay_alu instid0(VALU_DEP_1) | instskip(SKIP_1) | instid1(VALU_DEP_1)
	v_fma_mix_f32 v2, v7, v14, v2 op_sel_hi:[0,1,0]
	s_waitcnt vmcnt(3) lgkmcnt(0)
	v_fma_mix_f32 v2, v8, v40, v2 op_sel_hi:[0,1,0]
	s_waitcnt vmcnt(2)
	s_delay_alu instid0(VALU_DEP_1) | instskip(SKIP_1) | instid1(VALU_DEP_1)
	v_fma_mix_f32 v2, v9, v41, v2 op_sel_hi:[0,1,0]
	s_waitcnt vmcnt(1)
	v_fma_mix_f32 v2, v10, v42, v2 op_sel_hi:[0,1,0]
	s_waitcnt vmcnt(0)
	s_delay_alu instid0(VALU_DEP_1)
	v_fma_mix_f32 v4, v11, v43, v2 op_sel_hi:[0,1,0]
	s_load_b64 s[0:1], s[0:1], 0x0
	s_cmp_lt_i32 s48, 0x8100
	s_cbranch_scc1 .LBB214_16
.LBB214_24:
	s_cmp_lt_i32 s48, 0x8200
	v_add_co_u32 v5, vcc_lo, 0x8000, v1
	s_cselect_b32 s4, s49, 0x4080
	v_add_co_ci_u32_e32 v6, vcc_lo, 0, v3, vcc_lo
	s_ashr_i32 s5, s4, 31
	v_mov_b32_e32 v45, 0
	s_lshl_b64 s[4:5], s[4:5], 1
	s_cmp_lt_i32 s48, 0x8300
	v_add_co_u32 v7, vcc_lo, v1, s4
	s_cselect_b32 s6, s49, 0x4100
	v_add_co_ci_u32_e32 v8, vcc_lo, s5, v3, vcc_lo
	s_ashr_i32 s7, s6, 31
	s_delay_alu instid0(SALU_CYCLE_1)
	s_lshl_b64 s[6:7], s[6:7], 1
	s_cmp_lt_i32 s48, 0x8400
	v_add_co_u32 v9, vcc_lo, v1, s6
	s_cselect_b32 s8, s49, 0x4180
	v_add_co_ci_u32_e32 v10, vcc_lo, s7, v3, vcc_lo
	s_ashr_i32 s9, s8, 31
	s_delay_alu instid0(SALU_CYCLE_1)
	;; [unrolled: 7-line block ×6, first 2 shown]
	s_lshl_b64 s[26:27], s[18:19], 1
	s_cmp_lt_i32 s48, 0x8900
	v_add_co_u32 v19, vcc_lo, v1, s26
	s_cselect_b32 s18, s49, 0x4400
	v_add_co_ci_u32_e32 v20, vcc_lo, s27, v3, vcc_lo
	s_ashr_i32 s19, s18, 31
	s_clause 0x7
	global_load_u16 v21, v[5:6], off
	global_load_u16 v22, v[7:8], off
	;; [unrolled: 1-line block ×8, first 2 shown]
	s_lshl_b64 s[18:19], s[18:19], 1
	s_cmp_lt_i32 s48, 0x8a00
	v_add_co_u32 v5, vcc_lo, v1, s18
	s_cselect_b32 s24, s49, 0x4480
	v_add_co_ci_u32_e32 v6, vcc_lo, s19, v3, vcc_lo
	s_ashr_i32 s25, s24, 31
	s_delay_alu instid0(SALU_CYCLE_1)
	s_lshl_b64 s[24:25], s[24:25], 1
	s_cmp_lt_i32 s48, 0x8b00
	v_add_co_u32 v7, vcc_lo, v1, s24
	s_cselect_b32 s28, s49, 0x4500
	v_add_co_ci_u32_e32 v8, vcc_lo, s25, v3, vcc_lo
	s_ashr_i32 s29, s28, 31
	s_delay_alu instid0(SALU_CYCLE_1)
	;; [unrolled: 7-line block ×7, first 2 shown]
	s_lshl_b64 s[44:45], s[36:37], 1
	s_cmp_lt_i32 s48, 0x9100
	v_add_co_u32 v19, vcc_lo, v1, s44
	s_cselect_b32 s36, s49, 0x4800
	v_add_co_ci_u32_e32 v20, vcc_lo, s45, v3, vcc_lo
	s_ashr_i32 s37, s36, 31
	s_clause 0x7
	global_load_u16 v29, v[5:6], off
	global_load_u16 v30, v[7:8], off
	;; [unrolled: 1-line block ×8, first 2 shown]
	s_lshl_b64 s[36:37], s[36:37], 1
	s_cmp_lt_i32 s48, 0x9200
	v_add_co_u32 v5, vcc_lo, v1, s36
	s_cselect_b32 s42, s49, 0x4880
	v_add_co_ci_u32_e32 v6, vcc_lo, s37, v3, vcc_lo
	s_ashr_i32 s43, s42, 31
	s_delay_alu instid0(SALU_CYCLE_1)
	s_lshl_b64 s[42:43], s[42:43], 1
	s_cmp_lt_i32 s48, 0x9300
	v_add_co_u32 v7, vcc_lo, v1, s42
	s_cselect_b32 s46, s49, 0x4900
	v_add_co_ci_u32_e32 v8, vcc_lo, s43, v3, vcc_lo
	s_ashr_i32 s47, s46, 31
	s_delay_alu instid0(SALU_CYCLE_1)
	;; [unrolled: 7-line block ×5, first 2 shown]
	s_lshl_b64 s[8:9], s[8:9], 1
	s_cmp_lt_i32 s48, 0x9700
	v_add_co_u32 v15, vcc_lo, v1, s8
	s_cselect_b32 s10, s49, 0x4b00
	v_add_co_ci_u32_e32 v16, vcc_lo, s9, v3, vcc_lo
	s_ashr_i32 s11, s10, 31
	s_clause 0x5
	global_load_u16 v19, v[5:6], off
	global_load_u16 v20, v[7:8], off
	;; [unrolled: 1-line block ×6, first 2 shown]
	s_lshl_b64 s[10:11], s[10:11], 1
	s_cmp_lt_i32 s48, 0x9800
	v_add_co_u32 v5, vcc_lo, v1, s10
	s_cselect_b32 s18, s49, 0x4b80
	v_add_co_ci_u32_e32 v6, vcc_lo, s11, v3, vcc_lo
	s_ashr_i32 s19, s18, 31
	s_delay_alu instid0(SALU_CYCLE_1)
	s_lshl_b64 s[18:19], s[18:19], 1
	s_cmp_lt_i32 s48, 0x9900
	v_add_co_u32 v7, vcc_lo, v1, s18
	s_cselect_b32 s20, s49, 0x4c00
	v_add_co_ci_u32_e32 v8, vcc_lo, s19, v3, vcc_lo
	s_ashr_i32 s21, s20, 31
	global_load_u16 v16, v[5:6], off
	s_lshl_b64 s[20:21], s[20:21], 1
	global_load_u16 v38, v[7:8], off
	s_cmp_lt_i32 s48, 0x9a00
	v_add_co_u32 v9, vcc_lo, v1, s20
	s_cselect_b32 s22, s49, 0x4c80
	v_add_co_ci_u32_e32 v10, vcc_lo, s21, v3, vcc_lo
	s_ashr_i32 s23, s22, 31
	s_delay_alu instid0(SALU_CYCLE_1)
	s_lshl_b64 s[22:23], s[22:23], 1
	s_cmp_lt_i32 s48, 0x9b00
	v_add_co_u32 v11, vcc_lo, v1, s22
	s_cselect_b32 s4, s49, 0x4d00
	v_add_co_ci_u32_e32 v12, vcc_lo, s23, v3, vcc_lo
	s_ashr_i32 s5, s4, 31
	s_delay_alu instid0(SALU_CYCLE_1)
	s_lshl_b64 s[4:5], s[4:5], 1
	s_cmp_lt_i32 s48, 0x9c00
	v_add_co_u32 v13, vcc_lo, v1, s4
	s_cselect_b32 s6, s49, 0x4d80
	v_add_co_ci_u32_e32 v14, vcc_lo, s5, v3, vcc_lo
	s_ashr_i32 s7, s6, 31
	s_clause 0x2
	global_load_u16 v39, v[9:10], off
	global_load_u16 v40, v[11:12], off
	;; [unrolled: 1-line block ×3, first 2 shown]
	s_lshl_b64 s[6:7], s[6:7], 1
	s_cmp_lt_i32 s48, 0x9d00
	v_add_co_u32 v5, vcc_lo, v1, s6
	s_cselect_b32 s8, s49, 0x4e00
	v_add_co_ci_u32_e32 v6, vcc_lo, s7, v3, vcc_lo
	s_ashr_i32 s9, s8, 31
	s_delay_alu instid0(SALU_CYCLE_1)
	s_lshl_b64 s[4:5], s[8:9], 1
	s_cmp_lt_i32 s48, 0x9e00
	v_add_co_u32 v7, vcc_lo, v1, s4
	s_cselect_b32 s8, s49, 0x4e80
	v_add_co_ci_u32_e32 v8, vcc_lo, s5, v3, vcc_lo
	s_ashr_i32 s9, s8, 31
	global_load_u16 v14, v[5:6], off
	s_lshl_b64 s[8:9], s[8:9], 1
	s_cmp_lt_i32 s48, 0x9f00
	v_add_co_u32 v9, vcc_lo, v1, s8
	s_cselect_b32 s6, s49, 0x4f00
	v_add_co_ci_u32_e32 v10, vcc_lo, s9, v3, vcc_lo
	s_ashr_i32 s7, s6, 31
	s_clause 0x1
	global_load_u16 v41, v[7:8], off
	global_load_u16 v42, v[9:10], off
	s_lshl_b64 s[4:5], s[6:7], 1
	s_cmp_lt_i32 s48, 0xa000
	v_add_co_u32 v5, vcc_lo, v1, s4
	s_cselect_b32 s6, s49, 0x4f80
	v_add_co_ci_u32_e32 v6, vcc_lo, s5, v3, vcc_lo
	s_ashr_i32 s7, s6, 31
	s_delay_alu instid0(SALU_CYCLE_1) | instskip(NEXT) | instid1(SALU_CYCLE_1)
	s_lshl_b64 s[4:5], s[6:7], 1
	v_add_co_u32 v1, vcc_lo, v1, s4
	v_add_co_ci_u32_e32 v2, vcc_lo, s5, v3, vcc_lo
	s_clause 0x1
	global_load_u16 v43, v[5:6], off
	global_load_u16 v44, v[1:2], off
	ds_load_b128 v[5:8], v45 offset:512
	ds_load_b128 v[9:12], v45 offset:528
	s_waitcnt vmcnt(31) lgkmcnt(0)
	v_fma_mix_f32 v1, v5, v21, v4 op_sel_hi:[0,1,0]
	s_waitcnt vmcnt(30)
	s_delay_alu instid0(VALU_DEP_1) | instskip(SKIP_1) | instid1(VALU_DEP_1)
	v_fma_mix_f32 v1, v6, v22, v1 op_sel_hi:[0,1,0]
	s_waitcnt vmcnt(29)
	v_fma_mix_f32 v1, v7, v23, v1 op_sel_hi:[0,1,0]
	s_waitcnt vmcnt(28)
	s_delay_alu instid0(VALU_DEP_1) | instskip(SKIP_1) | instid1(VALU_DEP_1)
	v_fma_mix_f32 v1, v8, v24, v1 op_sel_hi:[0,1,0]
	s_waitcnt vmcnt(27)
	v_fma_mix_f32 v5, v9, v25, v1 op_sel_hi:[0,1,0]
	ds_load_b128 v[1:4], v45 offset:544
	s_waitcnt vmcnt(26)
	v_fma_mix_f32 v5, v10, v26, v5 op_sel_hi:[0,1,0]
	s_waitcnt vmcnt(25)
	s_delay_alu instid0(VALU_DEP_1) | instskip(SKIP_1) | instid1(VALU_DEP_1)
	v_fma_mix_f32 v5, v11, v27, v5 op_sel_hi:[0,1,0]
	s_waitcnt vmcnt(24)
	v_fma_mix_f32 v9, v12, v28, v5 op_sel_hi:[0,1,0]
	ds_load_b128 v[5:8], v45 offset:560
	s_waitcnt vmcnt(23) lgkmcnt(1)
	v_fma_mix_f32 v1, v1, v29, v9 op_sel_hi:[0,1,0]
	s_waitcnt vmcnt(22)
	s_delay_alu instid0(VALU_DEP_1) | instskip(SKIP_1) | instid1(VALU_DEP_1)
	v_fma_mix_f32 v1, v2, v30, v1 op_sel_hi:[0,1,0]
	s_waitcnt vmcnt(21)
	v_fma_mix_f32 v1, v3, v31, v1 op_sel_hi:[0,1,0]
	s_waitcnt vmcnt(20)
	s_delay_alu instid0(VALU_DEP_1) | instskip(SKIP_1) | instid1(VALU_DEP_1)
	v_fma_mix_f32 v1, v4, v32, v1 op_sel_hi:[0,1,0]
	s_waitcnt vmcnt(19) lgkmcnt(0)
	v_fma_mix_f32 v5, v5, v33, v1 op_sel_hi:[0,1,0]
	ds_load_b128 v[1:4], v45 offset:576
	s_waitcnt vmcnt(18)
	v_fma_mix_f32 v5, v6, v34, v5 op_sel_hi:[0,1,0]
	s_waitcnt vmcnt(17)
	s_delay_alu instid0(VALU_DEP_1) | instskip(SKIP_1) | instid1(VALU_DEP_1)
	v_fma_mix_f32 v5, v7, v17, v5 op_sel_hi:[0,1,0]
	s_waitcnt vmcnt(16)
	v_fma_mix_f32 v9, v8, v18, v5 op_sel_hi:[0,1,0]
	ds_load_b128 v[5:8], v45 offset:592
	s_waitcnt vmcnt(15) lgkmcnt(1)
	v_fma_mix_f32 v1, v1, v19, v9 op_sel_hi:[0,1,0]
	s_waitcnt vmcnt(14)
	s_delay_alu instid0(VALU_DEP_1) | instskip(SKIP_1) | instid1(VALU_DEP_1)
	v_fma_mix_f32 v1, v2, v20, v1 op_sel_hi:[0,1,0]
	s_waitcnt vmcnt(13)
	v_fma_mix_f32 v1, v3, v35, v1 op_sel_hi:[0,1,0]
	s_waitcnt vmcnt(12)
	s_delay_alu instid0(VALU_DEP_1) | instskip(SKIP_1) | instid1(VALU_DEP_1)
	v_fma_mix_f32 v1, v4, v36, v1 op_sel_hi:[0,1,0]
	s_waitcnt vmcnt(11) lgkmcnt(0)
	;; [unrolled: 21-line block ×3, first 2 shown]
	v_fma_mix_f32 v1, v5, v41, v1 op_sel_hi:[0,1,0]
	s_waitcnt vmcnt(2)
	s_delay_alu instid0(VALU_DEP_1) | instskip(SKIP_1) | instid1(VALU_DEP_1)
	v_fma_mix_f32 v1, v6, v42, v1 op_sel_hi:[0,1,0]
	s_waitcnt vmcnt(1)
	v_fma_mix_f32 v1, v7, v43, v1 op_sel_hi:[0,1,0]
	s_waitcnt vmcnt(0)
	s_delay_alu instid0(VALU_DEP_1)
	v_fma_mix_f32 v4, v8, v44, v1 op_sel_hi:[0,1,0]
	v_mov_b32_e32 v1, 0
	s_and_not1_b32 vcc_lo, exec_lo, s15
	ds_load_b32 v1, v1 offset:640
	s_cbranch_vccz .LBB214_17
	s_branch .LBB214_18
	.section	.rodata,"a",@progbits
	.p2align	6, 0x0
	.amdhsa_kernel _Z35paged_attention_ll4mi_reduce_kernelIDF16_hLi128ELi128ELi256ELi5EEvPT0_PKfS3_PKT_PKiS8_iS3_
		.amdhsa_group_segment_fixed_size 644
		.amdhsa_private_segment_fixed_size 0
		.amdhsa_kernarg_size 320
		.amdhsa_user_sgpr_count 14
		.amdhsa_user_sgpr_dispatch_ptr 0
		.amdhsa_user_sgpr_queue_ptr 0
		.amdhsa_user_sgpr_kernarg_segment_ptr 1
		.amdhsa_user_sgpr_dispatch_id 0
		.amdhsa_user_sgpr_private_segment_size 0
		.amdhsa_wavefront_size32 1
		.amdhsa_uses_dynamic_stack 0
		.amdhsa_enable_private_segment 0
		.amdhsa_system_sgpr_workgroup_id_x 1
		.amdhsa_system_sgpr_workgroup_id_y 1
		.amdhsa_system_sgpr_workgroup_id_z 0
		.amdhsa_system_sgpr_workgroup_info 0
		.amdhsa_system_vgpr_workitem_id 0
		.amdhsa_next_free_vgpr 48
		.amdhsa_next_free_sgpr 52
		.amdhsa_reserve_vcc 1
		.amdhsa_float_round_mode_32 0
		.amdhsa_float_round_mode_16_64 0
		.amdhsa_float_denorm_mode_32 3
		.amdhsa_float_denorm_mode_16_64 3
		.amdhsa_dx10_clamp 1
		.amdhsa_ieee_mode 1
		.amdhsa_fp16_overflow 0
		.amdhsa_workgroup_processor_mode 1
		.amdhsa_memory_ordered 1
		.amdhsa_forward_progress 0
		.amdhsa_shared_vgpr_count 0
		.amdhsa_exception_fp_ieee_invalid_op 0
		.amdhsa_exception_fp_denorm_src 0
		.amdhsa_exception_fp_ieee_div_zero 0
		.amdhsa_exception_fp_ieee_overflow 0
		.amdhsa_exception_fp_ieee_underflow 0
		.amdhsa_exception_fp_ieee_inexact 0
		.amdhsa_exception_int_div_zero 0
	.end_amdhsa_kernel
	.section	.text._Z35paged_attention_ll4mi_reduce_kernelIDF16_hLi128ELi128ELi256ELi5EEvPT0_PKfS3_PKT_PKiS8_iS3_,"axG",@progbits,_Z35paged_attention_ll4mi_reduce_kernelIDF16_hLi128ELi128ELi256ELi5EEvPT0_PKfS3_PKT_PKiS8_iS3_,comdat
.Lfunc_end214:
	.size	_Z35paged_attention_ll4mi_reduce_kernelIDF16_hLi128ELi128ELi256ELi5EEvPT0_PKfS3_PKT_PKiS8_iS3_, .Lfunc_end214-_Z35paged_attention_ll4mi_reduce_kernelIDF16_hLi128ELi128ELi256ELi5EEvPT0_PKfS3_PKT_PKiS8_iS3_
                                        ; -- End function
	.section	.AMDGPU.csdata,"",@progbits
; Kernel info:
; codeLenInByte = 11752
; NumSgprs: 54
; NumVgprs: 48
; ScratchSize: 0
; MemoryBound: 0
; FloatMode: 240
; IeeeMode: 1
; LDSByteSize: 644 bytes/workgroup (compile time only)
; SGPRBlocks: 6
; VGPRBlocks: 5
; NumSGPRsForWavesPerEU: 54
; NumVGPRsForWavesPerEU: 48
; Occupancy: 16
; WaveLimiterHint : 0
; COMPUTE_PGM_RSRC2:SCRATCH_EN: 0
; COMPUTE_PGM_RSRC2:USER_SGPR: 14
; COMPUTE_PGM_RSRC2:TRAP_HANDLER: 0
; COMPUTE_PGM_RSRC2:TGID_X_EN: 1
; COMPUTE_PGM_RSRC2:TGID_Y_EN: 1
; COMPUTE_PGM_RSRC2:TGID_Z_EN: 0
; COMPUTE_PGM_RSRC2:TIDIG_COMP_CNT: 0
	.section	.text._Z35paged_attention_ll4mi_reduce_kernelIDF16_hLi128ELi128ELi256ELi6EEvPT0_PKfS3_PKT_PKiS8_iS3_,"axG",@progbits,_Z35paged_attention_ll4mi_reduce_kernelIDF16_hLi128ELi128ELi256ELi6EEvPT0_PKfS3_PKT_PKiS8_iS3_,comdat
	.protected	_Z35paged_attention_ll4mi_reduce_kernelIDF16_hLi128ELi128ELi256ELi6EEvPT0_PKfS3_PKT_PKiS8_iS3_ ; -- Begin function _Z35paged_attention_ll4mi_reduce_kernelIDF16_hLi128ELi128ELi256ELi6EEvPT0_PKfS3_PKT_PKiS8_iS3_
	.globl	_Z35paged_attention_ll4mi_reduce_kernelIDF16_hLi128ELi128ELi256ELi6EEvPT0_PKfS3_PKT_PKiS8_iS3_
	.p2align	8
	.type	_Z35paged_attention_ll4mi_reduce_kernelIDF16_hLi128ELi128ELi256ELi6EEvPT0_PKfS3_PKT_PKiS8_iS3_,@function
_Z35paged_attention_ll4mi_reduce_kernelIDF16_hLi128ELi128ELi256ELi6EEvPT0_PKfS3_PKT_PKiS8_iS3_: ; @_Z35paged_attention_ll4mi_reduce_kernelIDF16_hLi128ELi128ELi256ELi6EEvPT0_PKfS3_PKT_PKiS8_iS3_
; %bb.0:
	s_load_b64 s[12:13], s[0:1], 0x28
	s_mov_b32 s2, s15
	s_waitcnt lgkmcnt(0)
	s_cmp_lg_u64 s[12:13], 0
	s_cselect_b32 s15, -1, 0
	s_delay_alu instid0(SALU_CYCLE_1)
	s_and_b32 vcc_lo, exec_lo, s15
	s_cbranch_vccz .LBB215_20
; %bb.1:
	s_add_i32 s4, s2, 1
	s_mov_b32 s5, 0
	s_delay_alu instid0(SALU_CYCLE_1) | instskip(SKIP_4) | instid1(SALU_CYCLE_1)
	s_lshl_b64 s[6:7], s[4:5], 2
	s_mov_b32 s3, s5
	s_add_u32 s6, s12, s6
	s_addc_u32 s7, s13, s7
	s_lshl_b64 s[8:9], s[2:3], 2
	s_add_u32 s8, s12, s8
	s_addc_u32 s9, s13, s9
	s_clause 0x1
	s_load_b32 s4, s[6:7], 0x0
	s_load_b32 s6, s[8:9], 0x0
	s_waitcnt lgkmcnt(0)
	s_sub_i32 s4, s4, s6
	s_delay_alu instid0(SALU_CYCLE_1)
	s_cmp_eq_u32 s4, 1
	s_cselect_b32 s4, -1, 0
	s_cbranch_execnz .LBB215_3
.LBB215_2:
	s_mov_b32 s3, 0
	s_mov_b32 s4, -1
.LBB215_3:
	s_delay_alu instid0(SALU_CYCLE_1)
	s_and_not1_b32 vcc_lo, exec_lo, s4
	s_cbranch_vccz .LBB215_5
; %bb.4:
	s_endpgm
.LBB215_5:
	s_clause 0x1
	s_load_b128 s[4:7], s[0:1], 0x18
	s_load_b32 s9, s[0:1], 0x30
	s_lshl_b64 s[16:17], s[2:3], 2
	s_waitcnt lgkmcnt(0)
	s_add_u32 s6, s6, s16
	s_addc_u32 s7, s7, s17
	s_load_b32 s22, s[6:7], 0x0
	s_load_b32 s33, s[0:1], 0x40
	s_mul_i32 s7, s2, s9
	s_waitcnt lgkmcnt(0)
	s_add_i32 s48, s22, 0xff
	s_delay_alu instid0(SALU_CYCLE_1) | instskip(NEXT) | instid1(SALU_CYCLE_1)
	s_ashr_i32 s6, s48, 31
	s_lshr_b32 s6, s6, 24
	s_delay_alu instid0(SALU_CYCLE_1) | instskip(SKIP_4) | instid1(SALU_CYCLE_1)
	s_add_i32 s8, s48, s6
	s_mul_i32 s6, s14, s9
	s_mov_b32 s9, exec_lo
	v_cmpx_lt_u32_e32 31, v0
	s_xor_b32 s9, exec_lo, s9
	s_or_saveexec_b32 s24, s9
	v_mov_b32_e32 v1, s6
	s_ashr_i32 s23, s8, 8
	s_mul_i32 s18, s7, s33
	s_xor_b32 exec_lo, exec_lo, s24
	s_cbranch_execz .LBB215_9
; %bb.6:
	s_load_b128 s[8:11], s[0:1], 0x8
	v_or_b32_e32 v2, 32, v0
	v_cmp_gt_i32_e32 vcc_lo, s23, v0
	s_add_i32 s25, s23, -1
	v_or_b32_e32 v4, 64, v0
	v_or_b32_e32 v6, 0x60, v0
	;; [unrolled: 1-line block ×3, first 2 shown]
	v_cndmask_b32_e32 v1, s25, v0, vcc_lo
	v_cmp_gt_i32_e32 vcc_lo, s23, v2
	s_mov_b32 s19, 0
	v_or_b32_e32 v14, 0xa0, v0
	s_lshl_b64 s[20:21], s[18:19], 2
	s_mov_b32 s7, s19
	v_cndmask_b32_e32 v3, s25, v2, vcc_lo
	v_cmp_gt_i32_e32 vcc_lo, s23, v4
	v_ashrrev_i32_e32 v2, 31, v1
	v_cndmask_b32_e32 v5, s25, v4, vcc_lo
	v_cmp_gt_i32_e32 vcc_lo, s23, v6
	v_ashrrev_i32_e32 v4, 31, v3
	s_delay_alu instid0(VALU_DEP_4)
	v_lshlrev_b64 v[1:2], 2, v[1:2]
	s_waitcnt lgkmcnt(0)
	s_add_u32 s19, s10, s20
	s_addc_u32 s26, s11, s21
	v_cndmask_b32_e32 v7, s25, v6, vcc_lo
	v_cmp_gt_i32_e32 vcc_lo, s23, v8
	s_lshl_b64 s[10:11], s[6:7], 2
	v_lshlrev_b64 v[3:4], 2, v[3:4]
	s_add_u32 s7, s19, s10
	s_addc_u32 s19, s26, s11
	v_cndmask_b32_e32 v9, s25, v8, vcc_lo
	v_add_co_u32 v10, vcc_lo, s7, v1
	v_add_co_ci_u32_e32 v11, vcc_lo, s19, v2, vcc_lo
	v_add_co_u32 v12, vcc_lo, s7, v3
	v_add_co_ci_u32_e32 v13, vcc_lo, s19, v4, vcc_lo
	v_cmp_gt_i32_e32 vcc_lo, s23, v14
	v_ashrrev_i32_e32 v6, 31, v5
	v_ashrrev_i32_e32 v8, 31, v7
	s_clause 0x1
	global_load_b32 v22, v[10:11], off
	global_load_b32 v23, v[12:13], off
	v_ashrrev_i32_e32 v10, 31, v9
	v_cndmask_b32_e32 v14, s25, v14, vcc_lo
	v_lshlrev_b64 v[5:6], 2, v[5:6]
	v_lshlrev_b64 v[7:8], 2, v[7:8]
	s_delay_alu instid0(VALU_DEP_4) | instskip(NEXT) | instid1(VALU_DEP_4)
	v_lshlrev_b64 v[9:10], 2, v[9:10]
	v_ashrrev_i32_e32 v15, 31, v14
	s_delay_alu instid0(VALU_DEP_4) | instskip(SKIP_2) | instid1(VALU_DEP_4)
	v_add_co_u32 v11, vcc_lo, s7, v5
	v_add_co_ci_u32_e32 v12, vcc_lo, s19, v6, vcc_lo
	v_add_co_u32 v16, vcc_lo, s7, v7
	v_lshlrev_b64 v[13:14], 2, v[14:15]
	v_add_co_ci_u32_e32 v17, vcc_lo, s19, v8, vcc_lo
	v_add_co_u32 v18, vcc_lo, s7, v9
	v_add_co_ci_u32_e32 v19, vcc_lo, s19, v10, vcc_lo
	s_delay_alu instid0(VALU_DEP_4)
	v_add_co_u32 v20, vcc_lo, s7, v13
	v_add_co_ci_u32_e32 v21, vcc_lo, s19, v14, vcc_lo
	s_clause 0x3
	global_load_b32 v11, v[11:12], off
	global_load_b32 v12, v[16:17], off
	;; [unrolled: 1-line block ×4, first 2 shown]
	s_add_u32 s7, s8, s20
	s_addc_u32 s8, s9, s21
	s_add_u32 s7, s7, s10
	s_addc_u32 s8, s8, s11
	v_add_co_u32 v1, vcc_lo, s7, v1
	v_add_co_ci_u32_e32 v2, vcc_lo, s8, v2, vcc_lo
	v_add_co_u32 v3, vcc_lo, s7, v3
	v_add_co_ci_u32_e32 v4, vcc_lo, s8, v4, vcc_lo
	;; [unrolled: 2-line block ×4, first 2 shown]
	s_clause 0x3
	global_load_b32 v17, v[1:2], off
	global_load_b32 v3, v[3:4], off
	;; [unrolled: 1-line block ×4, first 2 shown]
	v_add_co_u32 v1, vcc_lo, s7, v9
	v_add_co_ci_u32_e32 v2, vcc_lo, s8, v10, vcc_lo
	global_load_b32 v6, v[1:2], off
	v_add_co_u32 v1, vcc_lo, s7, v13
	v_add_co_ci_u32_e32 v2, vcc_lo, s8, v14, vcc_lo
	s_mov_b32 s7, exec_lo
	global_load_b32 v7, v[1:2], off
	v_mbcnt_lo_u32_b32 v1, -1, 0
	s_delay_alu instid0(VALU_DEP_1)
	v_xor_b32_e32 v9, 16, v1
	v_xor_b32_e32 v10, 8, v1
	;; [unrolled: 1-line block ×5, first 2 shown]
	v_cmp_gt_i32_e32 vcc_lo, 32, v9
	s_waitcnt vmcnt(11)
	v_max_f32_e32 v8, v22, v22
	s_waitcnt vmcnt(10)
	v_max_f32_e32 v2, v23, v23
	s_delay_alu instid0(VALU_DEP_1) | instskip(SKIP_2) | instid1(VALU_DEP_2)
	v_max_f32_e32 v2, v8, v2
	v_cndmask_b32_e32 v8, v1, v9, vcc_lo
	v_cmp_gt_i32_e32 vcc_lo, 32, v10
	v_lshlrev_b32_e32 v8, 2, v8
	v_cndmask_b32_e32 v10, v1, v10, vcc_lo
	v_cmp_gt_i32_e32 vcc_lo, 32, v13
	v_cndmask_b32_e32 v13, v1, v13, vcc_lo
	v_cmp_gt_i32_e32 vcc_lo, 32, v14
	s_waitcnt vmcnt(8)
	v_max3_f32 v2, v2, v11, v12
	v_cndmask_b32_e32 v14, v1, v14, vcc_lo
	v_cmp_gt_i32_e32 vcc_lo, 32, v18
	s_waitcnt vmcnt(6)
	s_delay_alu instid0(VALU_DEP_3) | instskip(NEXT) | instid1(VALU_DEP_3)
	v_max3_f32 v2, v2, v15, v16
	v_lshlrev_b32_e32 v14, 2, v14
	v_lshlrev_b32_e32 v13, 2, v13
	;; [unrolled: 1-line block ×3, first 2 shown]
	v_cndmask_b32_e32 v1, v1, v18, vcc_lo
	ds_bpermute_b32 v9, v8, v2
	v_lshlrev_b32_e32 v18, 2, v1
	s_waitcnt lgkmcnt(0)
	v_max_f32_e32 v9, v9, v9
	s_delay_alu instid0(VALU_DEP_1) | instskip(SKIP_3) | instid1(VALU_DEP_1)
	v_max_f32_e32 v2, v2, v9
	ds_bpermute_b32 v9, v10, v2
	s_waitcnt lgkmcnt(0)
	v_max_f32_e32 v9, v9, v9
	v_max_f32_e32 v2, v2, v9
	ds_bpermute_b32 v9, v13, v2
	s_waitcnt lgkmcnt(0)
	v_max_f32_e32 v9, v9, v9
	s_delay_alu instid0(VALU_DEP_1) | instskip(SKIP_3) | instid1(VALU_DEP_1)
	v_max_f32_e32 v2, v2, v9
	ds_bpermute_b32 v9, v14, v2
	s_waitcnt lgkmcnt(0)
	v_max_f32_e32 v9, v9, v9
	v_max_f32_e32 v1, v2, v9
	ds_bpermute_b32 v2, v18, v1
	s_waitcnt lgkmcnt(0)
	v_max_f32_e32 v2, v2, v2
	s_delay_alu instid0(VALU_DEP_1) | instskip(SKIP_1) | instid1(VALU_DEP_2)
	v_max_f32_e32 v1, v1, v2
	v_sub_nc_u32_e32 v2, s23, v0
	v_sub_f32_e32 v19, v23, v1
	v_sub_f32_e32 v12, v12, v1
	;; [unrolled: 1-line block ×3, first 2 shown]
	s_delay_alu instid0(VALU_DEP_2) | instskip(NEXT) | instid1(VALU_DEP_2)
	v_dual_sub_f32 v11, v11, v1 :: v_dual_mul_f32 v22, 0x3fb8aa3b, v12
	v_cmp_ngt_f32_e32 vcc_lo, 0xc2ce8ed0, v9
	s_delay_alu instid0(VALU_DEP_2) | instskip(SKIP_3) | instid1(VALU_DEP_1)
	v_rndne_f32_e32 v32, v22
	v_sub_f32_e32 v15, v15, v1
	v_sub_f32_e32 v1, v16, v1
	v_mul_f32_e32 v16, 0x3fb8aa3b, v9
	v_rndne_f32_e32 v26, v16
	v_fma_f32 v25, 0x3fb8aa3b, v9, -v16
	s_delay_alu instid0(VALU_DEP_2) | instskip(SKIP_2) | instid1(VALU_DEP_2)
	v_sub_f32_e32 v16, v16, v26
	v_mul_f32_e32 v20, 0x3fb8aa3b, v19
	v_cvt_i32_f32_e32 v26, v26
	v_fma_f32 v27, 0x3fb8aa3b, v19, -v20
	v_rndne_f32_e32 v28, v20
	s_delay_alu instid0(VALU_DEP_2) | instskip(SKIP_1) | instid1(VALU_DEP_3)
	v_fmac_f32_e32 v27, 0x32a5705f, v19
	v_fma_f32 v31, 0x3fb8aa3b, v12, -v22
	v_sub_f32_e32 v20, v20, v28
	v_dual_sub_f32 v22, v22, v32 :: v_dual_mul_f32 v23, 0x3fb8aa3b, v15
	v_mul_f32_e32 v21, 0x3fb8aa3b, v11
	s_delay_alu instid0(VALU_DEP_3) | instskip(SKIP_1) | instid1(VALU_DEP_4)
	v_dual_fmac_f32 v31, 0x32a5705f, v12 :: v_dual_add_f32 v20, v20, v27
	v_cvt_i32_f32_e32 v28, v28
	v_rndne_f32_e32 v34, v23
	s_delay_alu instid0(VALU_DEP_4) | instskip(NEXT) | instid1(VALU_DEP_4)
	v_fma_f32 v29, 0x3fb8aa3b, v11, -v21
	v_add_f32_e32 v22, v22, v31
	v_mul_f32_e32 v24, 0x3fb8aa3b, v1
	v_fma_f32 v33, 0x3fb8aa3b, v15, -v23
	v_sub_f32_e32 v23, v23, v34
	v_exp_f32_e32 v20, v20
	v_rndne_f32_e32 v30, v21
	v_rndne_f32_e32 v36, v24
	v_fmac_f32_e32 v25, 0x32a5705f, v9
	v_fma_f32 v35, 0x3fb8aa3b, v1, -v24
	v_exp_f32_e32 v22, v22
	s_delay_alu instid0(VALU_DEP_3) | instskip(NEXT) | instid1(VALU_DEP_3)
	v_dual_sub_f32 v21, v21, v30 :: v_dual_sub_f32 v24, v24, v36
	v_dual_fmac_f32 v29, 0x32a5705f, v11 :: v_dual_add_f32 v16, v16, v25
	s_delay_alu instid0(TRANS32_DEP_2)
	v_ldexp_f32 v20, v20, v28
	v_cvt_i32_f32_e32 v25, v30
	v_cvt_i32_f32_e32 v27, v32
	;; [unrolled: 1-line block ×3, first 2 shown]
	v_exp_f32_e32 v16, v16
	s_delay_alu instid0(TRANS32_DEP_2) | instid1(VALU_DEP_2)
	v_ldexp_f32 v22, v22, v27
	s_waitcnt_depctr 0xfff
	v_ldexp_f32 v16, v16, v26
	s_delay_alu instid0(VALU_DEP_1) | instskip(SKIP_2) | instid1(VALU_DEP_1)
	v_dual_fmac_f32 v33, 0x32a5705f, v15 :: v_dual_cndmask_b32 v16, 0, v16
	v_cmp_ngt_f32_e32 vcc_lo, 0xc2ce8ed0, v19
	v_dual_fmac_f32 v35, 0x32a5705f, v1 :: v_dual_cndmask_b32 v20, 0, v20
	v_dual_add_f32 v21, v21, v29 :: v_dual_add_f32 v24, v24, v35
	v_cmp_ngt_f32_e32 vcc_lo, 0xc2ce8ed0, v11
	v_cvt_i32_f32_e32 v29, v34
	s_delay_alu instid0(VALU_DEP_3) | instskip(NEXT) | instid1(VALU_DEP_3)
	v_exp_f32_e32 v21, v21
	v_exp_f32_e32 v24, v24
	s_waitcnt_depctr 0xfff
	v_ldexp_f32 v21, v21, v25
	s_delay_alu instid0(VALU_DEP_1) | instskip(SKIP_2) | instid1(VALU_DEP_1)
	v_cndmask_b32_e32 v21, 0, v21, vcc_lo
	v_cmp_ngt_f32_e32 vcc_lo, 0xc2ce8ed0, v12
	v_dual_add_f32 v23, v23, v33 :: v_dual_cndmask_b32 v22, 0, v22
	v_exp_f32_e32 v23, v23
	v_cmp_ngt_f32_e32 vcc_lo, 0xc2ce8ed0, v15
	s_waitcnt_depctr 0xfff
	v_ldexp_f32 v23, v23, v29
	s_delay_alu instid0(VALU_DEP_1)
	v_cndmask_b32_e32 v23, 0, v23, vcc_lo
	v_cmp_nlt_f32_e32 vcc_lo, 0x42b17218, v9
	v_cndmask_b32_e32 v9, 0x7f800000, v16, vcc_lo
	v_cmp_nlt_f32_e32 vcc_lo, 0x42b17218, v19
	;; [unrolled: 2-line block ×4, first 2 shown]
	v_cndmask_b32_e32 v12, 0x7f800000, v22, vcc_lo
	v_cmp_lt_i32_e32 vcc_lo, 0, v2
	v_cndmask_b32_e32 v9, 0, v9, vcc_lo
	v_cmp_lt_i32_e32 vcc_lo, 32, v2
	s_waitcnt vmcnt(5)
	s_delay_alu instid0(VALU_DEP_2) | instskip(SKIP_2) | instid1(VALU_DEP_2)
	v_dual_mul_f32 v9, v17, v9 :: v_dual_cndmask_b32 v16, 0, v16
	v_cmp_lt_i32_e32 vcc_lo, 64, v2
	s_waitcnt vmcnt(4)
	v_mul_f32_e32 v3, v3, v16
	v_cndmask_b32_e32 v11, 0, v11, vcc_lo
	v_cmp_lt_i32_e32 vcc_lo, 0x60, v2
	s_waitcnt vmcnt(3)
	s_delay_alu instid0(VALU_DEP_2)
	v_mul_f32_e32 v4, v4, v11
	v_cndmask_b32_e32 v12, 0, v12, vcc_lo
	v_cmp_nlt_f32_e32 vcc_lo, 0x42b17218, v15
	v_add_f32_e32 v15, v9, v3
	v_cndmask_b32_e32 v11, 0x7f800000, v23, vcc_lo
	v_cmp_lt_i32_e32 vcc_lo, 0x80, v2
	s_delay_alu instid0(VALU_DEP_3) | instskip(NEXT) | instid1(VALU_DEP_3)
	v_add_f32_e32 v15, v15, v4
	v_cndmask_b32_e32 v11, 0, v11, vcc_lo
	s_waitcnt vmcnt(2)
	v_mul_f32_e32 v5, v5, v12
	v_ldexp_f32 v12, v24, v30
	v_cmp_ngt_f32_e32 vcc_lo, 0xc2ce8ed0, v1
	s_waitcnt vmcnt(1)
	s_delay_alu instid0(VALU_DEP_3) | instskip(NEXT) | instid1(VALU_DEP_3)
	v_dual_mul_f32 v6, v6, v11 :: v_dual_add_f32 v11, v15, v5
	v_cndmask_b32_e32 v12, 0, v12, vcc_lo
	v_cmp_nlt_f32_e32 vcc_lo, 0x42b17218, v1
	s_delay_alu instid0(VALU_DEP_2) | instskip(SKIP_1) | instid1(VALU_DEP_2)
	v_cndmask_b32_e32 v1, 0x7f800000, v12, vcc_lo
	v_cmp_lt_i32_e32 vcc_lo, 0xa0, v2
	v_dual_cndmask_b32 v12, 0, v1 :: v_dual_add_f32 v1, v11, v6
	s_waitcnt vmcnt(0)
	s_delay_alu instid0(VALU_DEP_1)
	v_fmac_f32_e32 v1, v7, v12
	v_mul_f32_e32 v7, v7, v12
	ds_bpermute_b32 v2, v8, v1
	v_lshlrev_b32_e32 v8, 2, v0
	ds_store_2addr_b32 v8, v9, v3 offset1:32
	ds_store_2addr_b32 v8, v4, v5 offset0:64 offset1:96
	ds_store_2addr_b32 v8, v6, v7 offset0:128 offset1:160
	s_waitcnt lgkmcnt(3)
	v_add_f32_e32 v1, v1, v2
	ds_bpermute_b32 v2, v10, v1
	s_waitcnt lgkmcnt(0)
	v_add_f32_e32 v1, v1, v2
	ds_bpermute_b32 v2, v13, v1
	;; [unrolled: 3-line block ×4, first 2 shown]
	v_cmpx_eq_u32_e32 0, v0
	s_cbranch_execz .LBB215_8
; %bb.7:
	s_waitcnt lgkmcnt(0)
	v_dual_add_f32 v1, v1, v2 :: v_dual_mov_b32 v2, 0
	ds_store_b32 v2, v1 offset:768
.LBB215_8:
	s_or_b32 exec_lo, exec_lo, s7
	v_mov_b32_e32 v1, s6
.LBB215_9:
	s_or_b32 exec_lo, exec_lo, s24
	s_lshl_b32 s6, s18, 7
	s_mov_b32 s7, 0
	s_waitcnt lgkmcnt(0)
	v_dual_mov_b32 v2, 0 :: v_dual_lshlrev_b32 v1, 7, v1
	s_lshl_b64 s[6:7], s[6:7], 1
	v_dual_mov_b32 v29, 0 :: v_dual_mov_b32 v30, 0
	s_add_u32 s34, s4, s6
	s_addc_u32 s35, s5, s7
	s_lshl_b32 s49, s23, 7
	v_lshlrev_b64 v[3:4], 1, v[1:2]
	s_addk_i32 s49, 0xff80
	s_cmpk_lt_i32 s48, 0x100
	v_lshlrev_b32_e32 v1, 1, v0
	s_cselect_b32 s4, s49, 0
	v_dual_mov_b32 v31, 0 :: v_dual_mov_b32 v32, 0
	s_ashr_i32 s5, s4, 31
	v_add_co_u32 v3, vcc_lo, s34, v3
	s_lshl_b64 s[4:5], s[4:5], 1
	s_cmpk_lt_i32 s48, 0x200
	v_add_co_ci_u32_e32 v4, vcc_lo, s35, v4, vcc_lo
	s_cselect_b32 s6, s49, 0x80
	v_add_co_u32 v1, vcc_lo, v3, v1
	s_ashr_i32 s7, s6, 31
	s_delay_alu instid0(VALU_DEP_2)
	v_add_co_ci_u32_e32 v3, vcc_lo, 0, v4, vcc_lo
	s_lshl_b64 s[6:7], s[6:7], 1
	s_cmpk_lt_i32 s48, 0x300
	v_add_co_u32 v4, vcc_lo, v1, s4
	s_cselect_b32 s8, s49, 0x100
	v_add_co_ci_u32_e32 v5, vcc_lo, s5, v3, vcc_lo
	s_ashr_i32 s9, s8, 31
	v_add_co_u32 v8, vcc_lo, v1, s6
	s_lshl_b64 s[8:9], s[8:9], 1
	s_cmpk_lt_i32 s48, 0x400
	v_add_co_ci_u32_e32 v9, vcc_lo, s7, v3, vcc_lo
	s_cselect_b32 s10, s49, 0x180
	v_add_co_u32 v10, vcc_lo, v1, s8
	s_ashr_i32 s11, s10, 31
	v_add_co_ci_u32_e32 v11, vcc_lo, s9, v3, vcc_lo
	s_lshl_b64 s[10:11], s[10:11], 1
	s_cmpk_lt_i32 s48, 0x500
	v_add_co_u32 v12, vcc_lo, v1, s10
	s_cselect_b32 s18, s49, 0x200
	v_add_co_ci_u32_e32 v13, vcc_lo, s11, v3, vcc_lo
	s_ashr_i32 s19, s18, 31
	v_dual_mov_b32 v33, 0 :: v_dual_mov_b32 v34, 0
	s_lshl_b64 s[18:19], s[18:19], 1
	s_cmpk_lt_i32 s48, 0x600
	v_add_co_u32 v14, vcc_lo, v1, s18
	s_cselect_b32 s20, s49, 0x280
	v_add_co_ci_u32_e32 v15, vcc_lo, s19, v3, vcc_lo
	s_ashr_i32 s21, s20, 31
	v_mov_b32_e32 v35, 0
	s_lshl_b64 s[20:21], s[20:21], 1
	s_cmpk_lt_i32 s48, 0x700
	v_add_co_u32 v16, vcc_lo, v1, s20
	s_cselect_b32 s24, s49, 0x300
	v_add_co_ci_u32_e32 v17, vcc_lo, s21, v3, vcc_lo
	s_ashr_i32 s25, s24, 31
	s_delay_alu instid0(SALU_CYCLE_1)
	s_lshl_b64 s[24:25], s[24:25], 1
	s_cmpk_lt_i32 s48, 0x800
	v_add_co_u32 v18, vcc_lo, v1, s24
	s_cselect_b32 s26, s49, 0x380
	v_add_co_ci_u32_e32 v19, vcc_lo, s25, v3, vcc_lo
	s_ashr_i32 s27, s26, 31
	s_delay_alu instid0(SALU_CYCLE_1)
	s_lshl_b64 s[26:27], s[26:27], 1
	s_cmpk_lt_i32 s48, 0x900
	v_add_co_u32 v20, vcc_lo, v1, s26
	s_cselect_b32 s28, s49, 0x400
	v_add_co_ci_u32_e32 v21, vcc_lo, s27, v3, vcc_lo
	s_ashr_i32 s29, s28, 31
	s_clause 0x7
	global_load_u16 v7, v[4:5], off
	global_load_u16 v8, v[8:9], off
	;; [unrolled: 1-line block ×8, first 2 shown]
	s_lshl_b64 s[28:29], s[28:29], 1
	s_cmpk_lt_i32 s48, 0xa00
	v_add_co_u32 v12, vcc_lo, v1, s28
	s_cselect_b32 s30, s49, 0x480
	v_add_co_ci_u32_e32 v13, vcc_lo, s29, v3, vcc_lo
	s_ashr_i32 s31, s30, 31
	s_delay_alu instid0(SALU_CYCLE_1)
	s_lshl_b64 s[30:31], s[30:31], 1
	s_cmpk_lt_i32 s48, 0xb00
	v_add_co_u32 v15, vcc_lo, v1, s30
	s_cselect_b32 s34, s49, 0x500
	v_add_co_ci_u32_e32 v16, vcc_lo, s31, v3, vcc_lo
	s_ashr_i32 s35, s34, 31
	s_delay_alu instid0(SALU_CYCLE_1)
	;; [unrolled: 7-line block ×7, first 2 shown]
	s_lshl_b64 s[4:5], s[6:7], 1
	s_cmpk_gt_i32 s22, 0x1000
	v_add_co_u32 v27, vcc_lo, v1, s4
	v_add_co_ci_u32_e32 v28, vcc_lo, s5, v3, vcc_lo
	s_clause 0x7
	global_load_u16 v14, v[12:13], off
	global_load_u16 v15, v[15:16], off
	global_load_u16 v16, v[17:18], off
	global_load_u16 v17, v[19:20], off
	global_load_u16 v18, v[21:22], off
	global_load_u16 v19, v[23:24], off
	global_load_u16 v12, v[25:26], off
	global_load_u16 v13, v[27:28], off
	v_dual_mov_b32 v20, 0 :: v_dual_mov_b32 v21, 0
	v_dual_mov_b32 v22, 0 :: v_dual_mov_b32 v23, 0
	;; [unrolled: 1-line block ×4, first 2 shown]
	v_mov_b32_e32 v28, 0
	s_cselect_b32 s8, -1, 0
	s_cmpk_lt_i32 s22, 0x1001
	s_waitcnt vmcnt(0)
	s_barrier
	buffer_gl0_inv
	s_cbranch_scc1 .LBB215_11
; %bb.10:
	s_cmpk_lt_i32 s48, 0x1100
	s_cselect_b32 s4, s49, 0x800
	s_delay_alu instid0(SALU_CYCLE_1) | instskip(NEXT) | instid1(SALU_CYCLE_1)
	s_ashr_i32 s5, s4, 31
	s_lshl_b64 s[4:5], s[4:5], 1
	s_cmpk_lt_i32 s48, 0x1200
	v_add_co_u32 v20, vcc_lo, v1, s4
	s_cselect_b32 s6, s49, 0x880
	v_add_co_ci_u32_e32 v21, vcc_lo, s5, v3, vcc_lo
	s_ashr_i32 s7, s6, 31
	s_delay_alu instid0(SALU_CYCLE_1)
	s_lshl_b64 s[6:7], s[6:7], 1
	s_cmpk_lt_i32 s48, 0x1300
	v_add_co_u32 v22, vcc_lo, v1, s6
	s_cselect_b32 s10, s49, 0x900
	v_add_co_ci_u32_e32 v23, vcc_lo, s7, v3, vcc_lo
	s_ashr_i32 s11, s10, 31
	s_delay_alu instid0(SALU_CYCLE_1)
	;; [unrolled: 7-line block ×7, first 2 shown]
	s_lshl_b64 s[26:27], s[26:27], 1
	s_cmpk_lt_i32 s48, 0x1900
	v_add_co_u32 v34, vcc_lo, v1, s26
	s_cselect_b32 s28, s49, 0xc00
	v_add_co_ci_u32_e32 v35, vcc_lo, s27, v3, vcc_lo
	s_ashr_i32 s29, s28, 31
	s_clause 0x7
	global_load_u16 v36, v[20:21], off
	global_load_u16 v37, v[22:23], off
	;; [unrolled: 1-line block ×8, first 2 shown]
	s_lshl_b64 s[28:29], s[28:29], 1
	s_cmpk_lt_i32 s48, 0x1a00
	v_add_co_u32 v20, vcc_lo, v1, s28
	s_cselect_b32 s30, s49, 0xc80
	v_add_co_ci_u32_e32 v21, vcc_lo, s29, v3, vcc_lo
	s_ashr_i32 s31, s30, 31
	s_delay_alu instid0(SALU_CYCLE_1)
	s_lshl_b64 s[30:31], s[30:31], 1
	s_cmpk_lt_i32 s48, 0x1b00
	v_add_co_u32 v22, vcc_lo, v1, s30
	s_cselect_b32 s34, s49, 0xd00
	v_add_co_ci_u32_e32 v23, vcc_lo, s31, v3, vcc_lo
	s_ashr_i32 s35, s34, 31
	s_delay_alu instid0(SALU_CYCLE_1)
	;; [unrolled: 7-line block ×6, first 2 shown]
	s_lshl_b64 s[4:5], s[20:21], 1
	s_cmpk_lt_i32 s48, 0x2000
	v_add_co_u32 v32, vcc_lo, v1, s4
	s_cselect_b32 s6, s49, 0xf80
	v_add_co_ci_u32_e32 v33, vcc_lo, s5, v3, vcc_lo
	s_ashr_i32 s7, s6, 31
	s_delay_alu instid0(SALU_CYCLE_1) | instskip(NEXT) | instid1(SALU_CYCLE_1)
	s_lshl_b64 s[4:5], s[6:7], 1
	v_add_co_u32 v34, vcc_lo, v1, s4
	v_add_co_ci_u32_e32 v35, vcc_lo, s5, v3, vcc_lo
	s_clause 0x7
	global_load_u16 v20, v[20:21], off
	global_load_u16 v21, v[22:23], off
	;; [unrolled: 1-line block ×8, first 2 shown]
	s_waitcnt vmcnt(15)
	v_cvt_f32_f16_e32 v35, v36
	s_waitcnt vmcnt(14)
	v_cvt_f32_f16_e32 v34, v37
	;; [unrolled: 2-line block ×16, first 2 shown]
.LBB215_11:
	ds_load_b128 v[36:39], v2
	ds_load_b128 v[40:43], v2 offset:16
	s_and_not1_b32 vcc_lo, exec_lo, s8
	s_waitcnt lgkmcnt(1)
	v_fma_mix_f32 v7, v36, v7, 0 op_sel_hi:[0,1,0]
	s_delay_alu instid0(VALU_DEP_1) | instskip(NEXT) | instid1(VALU_DEP_1)
	v_fma_mix_f32 v7, v37, v8, v7 op_sel_hi:[0,1,0]
	v_fma_mix_f32 v7, v38, v9, v7 op_sel_hi:[0,1,0]
	s_delay_alu instid0(VALU_DEP_1)
	v_fma_mix_f32 v7, v39, v10, v7 op_sel_hi:[0,1,0]
	ds_load_b128 v[36:39], v2 offset:48
	s_waitcnt lgkmcnt(1)
	v_fma_mix_f32 v11, v40, v11, v7 op_sel_hi:[0,1,0]
	ds_load_b128 v[7:10], v2 offset:32
	v_fma_mix_f32 v4, v41, v4, v11 op_sel_hi:[0,1,0]
	s_delay_alu instid0(VALU_DEP_1) | instskip(NEXT) | instid1(VALU_DEP_1)
	v_fma_mix_f32 v4, v42, v5, v4 op_sel_hi:[0,1,0]
	v_fma_mix_f32 v4, v43, v6, v4 op_sel_hi:[0,1,0]
	s_waitcnt lgkmcnt(0)
	s_delay_alu instid0(VALU_DEP_1) | instskip(NEXT) | instid1(VALU_DEP_1)
	v_fma_mix_f32 v4, v7, v14, v4 op_sel_hi:[0,1,0]
	v_fma_mix_f32 v4, v8, v15, v4 op_sel_hi:[0,1,0]
	s_delay_alu instid0(VALU_DEP_1) | instskip(NEXT) | instid1(VALU_DEP_1)
	v_fma_mix_f32 v4, v9, v16, v4 op_sel_hi:[0,1,0]
	v_fma_mix_f32 v4, v10, v17, v4 op_sel_hi:[0,1,0]
	s_delay_alu instid0(VALU_DEP_1) | instskip(NEXT) | instid1(VALU_DEP_1)
	v_fma_mix_f32 v4, v36, v18, v4 op_sel_hi:[0,1,0]
	v_fma_mix_f32 v4, v37, v19, v4 op_sel_hi:[0,1,0]
	s_delay_alu instid0(VALU_DEP_1) | instskip(NEXT) | instid1(VALU_DEP_1)
	v_fma_mix_f32 v4, v38, v12, v4 op_sel_hi:[0,1,0]
	v_fma_mix_f32 v4, v39, v13, v4 op_sel_hi:[0,1,0]
	s_cbranch_vccz .LBB215_21
; %bb.12:
	s_cmpk_lt_i32 s48, 0x2100
	s_cbranch_scc0 .LBB215_22
.LBB215_13:
	s_cmpk_lt_i32 s48, 0x4100
	s_cbranch_scc0 .LBB215_23
.LBB215_14:
	s_cmpk_lt_i32 s48, 0x6100
	s_cbranch_scc0 .LBB215_24
.LBB215_15:
	s_cmp_lt_i32 s48, 0x8100
	s_cbranch_scc0 .LBB215_25
.LBB215_16:
	s_load_b64 s[0:1], s[0:1], 0x0
	s_cmp_lt_i32 s48, 0xa100
	s_cbranch_scc0 .LBB215_26
.LBB215_17:
	v_mov_b32_e32 v1, 0
	s_and_not1_b32 vcc_lo, exec_lo, s15
	ds_load_b32 v1, v1 offset:768
	s_cbranch_vccnz .LBB215_19
.LBB215_18:
	s_add_u32 s2, s12, s16
	s_addc_u32 s3, s13, s17
	s_load_b32 s2, s[2:3], 0x0
	s_mov_b32 s3, 0
.LBB215_19:
	s_waitcnt lgkmcnt(0)
	v_add_f32_e32 v1, 0x358637bd, v1
	s_mul_i32 s3, s33, s3
	s_mul_hi_u32 s4, s33, s2
	s_mul_i32 s2, s33, s2
	s_add_i32 s3, s4, s3
	v_div_scale_f32 v2, null, v1, v1, 1.0
	v_div_scale_f32 v6, vcc_lo, 1.0, v1, 1.0
	s_lshl_b64 s[2:3], s[2:3], 7
	s_delay_alu instid0(VALU_DEP_2) | instskip(SKIP_4) | instid1(SALU_CYCLE_1)
	v_rcp_f32_e32 v3, v2
	s_mov_b32 s15, 0
	s_add_u32 s2, s0, s2
	s_addc_u32 s3, s1, s3
	s_lshl_b64 s[0:1], s[14:15], 7
	s_add_u32 s0, s2, s0
	s_addc_u32 s1, s3, s1
	v_add_co_u32 v0, s0, s0, v0
	s_waitcnt_depctr 0xfff
	v_fma_f32 v5, -v2, v3, 1.0
	s_delay_alu instid0(VALU_DEP_1) | instskip(NEXT) | instid1(VALU_DEP_1)
	v_fmac_f32_e32 v3, v5, v3
	v_mul_f32_e32 v5, v6, v3
	s_delay_alu instid0(VALU_DEP_1) | instskip(NEXT) | instid1(VALU_DEP_1)
	v_fma_f32 v7, -v2, v5, v6
	v_fmac_f32_e32 v5, v7, v3
	s_delay_alu instid0(VALU_DEP_1) | instskip(NEXT) | instid1(VALU_DEP_1)
	v_fma_f32 v2, -v2, v5, v6
	v_div_fmas_f32 v2, v2, v3, v5
	s_delay_alu instid0(VALU_DEP_1) | instskip(NEXT) | instid1(VALU_DEP_1)
	v_div_fixup_f32 v1, v2, v1, 1.0
	v_fma_mixlo_f16 v1, v4, v1, 0
	s_delay_alu instid0(VALU_DEP_1)
	v_cvt_i16_f16_e32 v2, v1
	v_add_co_ci_u32_e64 v1, null, s1, 0, s0
	global_store_b8 v[0:1], v2, off
	s_nop 0
	s_sendmsg sendmsg(MSG_DEALLOC_VGPRS)
	s_endpgm
.LBB215_20:
	s_mov_b32 s4, 0
	s_branch .LBB215_2
.LBB215_21:
	ds_load_b128 v[5:8], v2 offset:64
	ds_load_b128 v[9:12], v2 offset:80
	s_waitcnt lgkmcnt(1)
	v_fmac_f32_e32 v4, v5, v35
	s_delay_alu instid0(VALU_DEP_1) | instskip(NEXT) | instid1(VALU_DEP_1)
	v_fmac_f32_e32 v4, v6, v34
	v_fmac_f32_e32 v4, v7, v33
	s_delay_alu instid0(VALU_DEP_1) | instskip(SKIP_3) | instid1(VALU_DEP_1)
	v_fmac_f32_e32 v4, v8, v32
	ds_load_b128 v[5:8], v2 offset:96
	s_waitcnt lgkmcnt(1)
	v_fmac_f32_e32 v4, v9, v31
	v_fmac_f32_e32 v4, v10, v30
	s_delay_alu instid0(VALU_DEP_1) | instskip(NEXT) | instid1(VALU_DEP_1)
	v_fmac_f32_e32 v4, v11, v29
	v_fmac_f32_e32 v4, v12, v28
	ds_load_b128 v[9:12], v2 offset:112
	s_waitcnt lgkmcnt(1)
	v_fmac_f32_e32 v4, v5, v27
	s_delay_alu instid0(VALU_DEP_1) | instskip(NEXT) | instid1(VALU_DEP_1)
	v_fmac_f32_e32 v4, v6, v26
	v_fmac_f32_e32 v4, v7, v25
	s_delay_alu instid0(VALU_DEP_1) | instskip(SKIP_1) | instid1(VALU_DEP_1)
	v_fmac_f32_e32 v4, v8, v24
	s_waitcnt lgkmcnt(0)
	v_fmac_f32_e32 v4, v9, v23
	s_delay_alu instid0(VALU_DEP_1) | instskip(NEXT) | instid1(VALU_DEP_1)
	v_fmac_f32_e32 v4, v10, v22
	v_fmac_f32_e32 v4, v11, v21
	s_delay_alu instid0(VALU_DEP_1)
	v_fmac_f32_e32 v4, v12, v20
	s_cmpk_lt_i32 s48, 0x2100
	s_cbranch_scc1 .LBB215_13
.LBB215_22:
	s_cmpk_lt_i32 s48, 0x2200
	v_add_co_u32 v5, vcc_lo, 0x2000, v1
	s_cselect_b32 s4, s49, 0x1080
	v_add_co_ci_u32_e32 v6, vcc_lo, 0, v3, vcc_lo
	s_ashr_i32 s5, s4, 31
	v_mov_b32_e32 v44, 0
	s_lshl_b64 s[4:5], s[4:5], 1
	s_cmpk_lt_i32 s48, 0x2300
	v_add_co_u32 v7, vcc_lo, v1, s4
	s_cselect_b32 s6, s49, 0x1100
	v_add_co_ci_u32_e32 v8, vcc_lo, s5, v3, vcc_lo
	s_ashr_i32 s7, s6, 31
	s_delay_alu instid0(SALU_CYCLE_1)
	s_lshl_b64 s[6:7], s[6:7], 1
	s_cmpk_lt_i32 s48, 0x2400
	v_add_co_u32 v9, vcc_lo, v1, s6
	s_cselect_b32 s8, s49, 0x1180
	v_add_co_ci_u32_e32 v10, vcc_lo, s7, v3, vcc_lo
	s_ashr_i32 s9, s8, 31
	s_delay_alu instid0(SALU_CYCLE_1)
	;; [unrolled: 7-line block ×6, first 2 shown]
	s_lshl_b64 s[26:27], s[18:19], 1
	s_cmpk_lt_i32 s48, 0x2900
	v_add_co_u32 v19, vcc_lo, v1, s26
	s_cselect_b32 s18, s49, 0x1400
	v_add_co_ci_u32_e32 v20, vcc_lo, s27, v3, vcc_lo
	s_ashr_i32 s19, s18, 31
	s_clause 0x7
	global_load_u16 v2, v[5:6], off
	global_load_u16 v21, v[7:8], off
	;; [unrolled: 1-line block ×8, first 2 shown]
	s_lshl_b64 s[18:19], s[18:19], 1
	s_cmpk_lt_i32 s48, 0x2a00
	v_add_co_u32 v5, vcc_lo, v1, s18
	s_cselect_b32 s24, s49, 0x1480
	v_add_co_ci_u32_e32 v6, vcc_lo, s19, v3, vcc_lo
	s_ashr_i32 s25, s24, 31
	s_delay_alu instid0(SALU_CYCLE_1)
	s_lshl_b64 s[24:25], s[24:25], 1
	s_cmpk_lt_i32 s48, 0x2b00
	v_add_co_u32 v7, vcc_lo, v1, s24
	s_cselect_b32 s28, s49, 0x1500
	v_add_co_ci_u32_e32 v8, vcc_lo, s25, v3, vcc_lo
	s_ashr_i32 s29, s28, 31
	s_delay_alu instid0(SALU_CYCLE_1)
	;; [unrolled: 7-line block ×7, first 2 shown]
	s_lshl_b64 s[44:45], s[36:37], 1
	s_cmpk_lt_i32 s48, 0x3100
	v_add_co_u32 v19, vcc_lo, v1, s44
	s_cselect_b32 s36, s49, 0x1800
	v_add_co_ci_u32_e32 v20, vcc_lo, s45, v3, vcc_lo
	s_ashr_i32 s37, s36, 31
	s_clause 0x7
	global_load_u16 v28, v[5:6], off
	global_load_u16 v29, v[7:8], off
	;; [unrolled: 1-line block ×8, first 2 shown]
	s_lshl_b64 s[36:37], s[36:37], 1
	s_cmpk_lt_i32 s48, 0x3200
	v_add_co_u32 v5, vcc_lo, v1, s36
	s_cselect_b32 s42, s49, 0x1880
	v_add_co_ci_u32_e32 v6, vcc_lo, s37, v3, vcc_lo
	s_ashr_i32 s43, s42, 31
	s_delay_alu instid0(SALU_CYCLE_1)
	s_lshl_b64 s[42:43], s[42:43], 1
	s_cmpk_lt_i32 s48, 0x3300
	v_add_co_u32 v7, vcc_lo, v1, s42
	s_cselect_b32 s46, s49, 0x1900
	v_add_co_ci_u32_e32 v8, vcc_lo, s43, v3, vcc_lo
	s_ashr_i32 s47, s46, 31
	s_delay_alu instid0(SALU_CYCLE_1)
	s_lshl_b64 s[46:47], s[46:47], 1
	s_cmpk_lt_i32 s48, 0x3400
	v_add_co_u32 v9, vcc_lo, v1, s46
	s_cselect_b32 s50, s49, 0x1980
	v_add_co_ci_u32_e32 v10, vcc_lo, s47, v3, vcc_lo
	s_ashr_i32 s51, s50, 31
	s_delay_alu instid0(SALU_CYCLE_1)
	s_lshl_b64 s[4:5], s[50:51], 1
	s_cmpk_lt_i32 s48, 0x3500
	v_add_co_u32 v11, vcc_lo, v1, s4
	s_cselect_b32 s6, s49, 0x1a00
	v_add_co_ci_u32_e32 v12, vcc_lo, s5, v3, vcc_lo
	s_ashr_i32 s7, s6, 31
	s_delay_alu instid0(SALU_CYCLE_1)
	s_lshl_b64 s[6:7], s[6:7], 1
	s_cmpk_lt_i32 s48, 0x3600
	v_add_co_u32 v13, vcc_lo, v1, s6
	s_cselect_b32 s8, s49, 0x1a80
	v_add_co_ci_u32_e32 v14, vcc_lo, s7, v3, vcc_lo
	s_ashr_i32 s9, s8, 31
	s_delay_alu instid0(SALU_CYCLE_1)
	s_lshl_b64 s[8:9], s[8:9], 1
	s_cmpk_lt_i32 s48, 0x3700
	v_add_co_u32 v15, vcc_lo, v1, s8
	s_cselect_b32 s10, s49, 0x1b00
	v_add_co_ci_u32_e32 v16, vcc_lo, s9, v3, vcc_lo
	s_ashr_i32 s11, s10, 31
	s_clause 0x5
	global_load_u16 v19, v[5:6], off
	global_load_u16 v20, v[7:8], off
	;; [unrolled: 1-line block ×6, first 2 shown]
	s_lshl_b64 s[10:11], s[10:11], 1
	s_cmpk_lt_i32 s48, 0x3800
	v_add_co_u32 v5, vcc_lo, v1, s10
	s_cselect_b32 s18, s49, 0x1b80
	v_add_co_ci_u32_e32 v6, vcc_lo, s11, v3, vcc_lo
	s_ashr_i32 s19, s18, 31
	s_delay_alu instid0(SALU_CYCLE_1)
	s_lshl_b64 s[18:19], s[18:19], 1
	s_cmpk_lt_i32 s48, 0x3900
	v_add_co_u32 v7, vcc_lo, v1, s18
	s_cselect_b32 s20, s49, 0x1c00
	v_add_co_ci_u32_e32 v8, vcc_lo, s19, v3, vcc_lo
	s_ashr_i32 s21, s20, 31
	global_load_u16 v16, v[5:6], off
	s_lshl_b64 s[20:21], s[20:21], 1
	global_load_u16 v37, v[7:8], off
	s_cmpk_lt_i32 s48, 0x3a00
	v_add_co_u32 v9, vcc_lo, v1, s20
	s_cselect_b32 s22, s49, 0x1c80
	v_add_co_ci_u32_e32 v10, vcc_lo, s21, v3, vcc_lo
	s_ashr_i32 s23, s22, 31
	s_delay_alu instid0(SALU_CYCLE_1)
	s_lshl_b64 s[22:23], s[22:23], 1
	s_cmpk_lt_i32 s48, 0x3b00
	v_add_co_u32 v11, vcc_lo, v1, s22
	s_cselect_b32 s4, s49, 0x1d00
	v_add_co_ci_u32_e32 v12, vcc_lo, s23, v3, vcc_lo
	s_ashr_i32 s5, s4, 31
	s_delay_alu instid0(SALU_CYCLE_1)
	s_lshl_b64 s[4:5], s[4:5], 1
	s_cmpk_lt_i32 s48, 0x3c00
	v_add_co_u32 v13, vcc_lo, v1, s4
	s_cselect_b32 s6, s49, 0x1d80
	v_add_co_ci_u32_e32 v14, vcc_lo, s5, v3, vcc_lo
	s_ashr_i32 s7, s6, 31
	s_clause 0x2
	global_load_u16 v38, v[9:10], off
	global_load_u16 v39, v[11:12], off
	;; [unrolled: 1-line block ×3, first 2 shown]
	s_lshl_b64 s[6:7], s[6:7], 1
	s_cmpk_lt_i32 s48, 0x3d00
	v_add_co_u32 v5, vcc_lo, v1, s6
	s_cselect_b32 s8, s49, 0x1e00
	v_add_co_ci_u32_e32 v6, vcc_lo, s7, v3, vcc_lo
	s_ashr_i32 s9, s8, 31
	s_delay_alu instid0(SALU_CYCLE_1)
	s_lshl_b64 s[4:5], s[8:9], 1
	s_cmpk_lt_i32 s48, 0x3e00
	v_add_co_u32 v7, vcc_lo, v1, s4
	s_cselect_b32 s8, s49, 0x1e80
	v_add_co_ci_u32_e32 v8, vcc_lo, s5, v3, vcc_lo
	s_ashr_i32 s9, s8, 31
	global_load_u16 v14, v[5:6], off
	s_lshl_b64 s[8:9], s[8:9], 1
	s_cmpk_lt_i32 s48, 0x3f00
	v_add_co_u32 v9, vcc_lo, v1, s8
	s_cselect_b32 s6, s49, 0x1f00
	v_add_co_ci_u32_e32 v10, vcc_lo, s9, v3, vcc_lo
	s_ashr_i32 s7, s6, 31
	s_clause 0x1
	global_load_u16 v40, v[7:8], off
	global_load_u16 v41, v[9:10], off
	s_lshl_b64 s[4:5], s[6:7], 1
	s_cmpk_lt_i32 s48, 0x4000
	v_add_co_u32 v5, vcc_lo, v1, s4
	s_cselect_b32 s6, s49, 0x1f80
	v_add_co_ci_u32_e32 v6, vcc_lo, s5, v3, vcc_lo
	s_ashr_i32 s7, s6, 31
	s_delay_alu instid0(SALU_CYCLE_1) | instskip(NEXT) | instid1(SALU_CYCLE_1)
	s_lshl_b64 s[4:5], s[6:7], 1
	v_add_co_u32 v7, vcc_lo, v1, s4
	v_add_co_ci_u32_e32 v8, vcc_lo, s5, v3, vcc_lo
	s_clause 0x1
	global_load_u16 v42, v[5:6], off
	global_load_u16 v43, v[7:8], off
	ds_load_b128 v[5:8], v44 offset:128
	ds_load_b128 v[9:12], v44 offset:144
	s_waitcnt vmcnt(31) lgkmcnt(1)
	v_fma_mix_f32 v2, v5, v2, v4 op_sel_hi:[0,1,0]
	s_waitcnt vmcnt(30)
	s_delay_alu instid0(VALU_DEP_1) | instskip(SKIP_1) | instid1(VALU_DEP_1)
	v_fma_mix_f32 v2, v6, v21, v2 op_sel_hi:[0,1,0]
	s_waitcnt vmcnt(29)
	v_fma_mix_f32 v2, v7, v22, v2 op_sel_hi:[0,1,0]
	ds_load_b128 v[4:7], v44 offset:160
	s_waitcnt vmcnt(28)
	v_fma_mix_f32 v2, v8, v23, v2 op_sel_hi:[0,1,0]
	s_waitcnt vmcnt(27) lgkmcnt(1)
	s_delay_alu instid0(VALU_DEP_1) | instskip(SKIP_1) | instid1(VALU_DEP_1)
	v_fma_mix_f32 v2, v9, v24, v2 op_sel_hi:[0,1,0]
	s_waitcnt vmcnt(26)
	v_fma_mix_f32 v2, v10, v25, v2 op_sel_hi:[0,1,0]
	s_waitcnt vmcnt(25)
	s_delay_alu instid0(VALU_DEP_1) | instskip(SKIP_4) | instid1(VALU_DEP_1)
	v_fma_mix_f32 v2, v11, v26, v2 op_sel_hi:[0,1,0]
	ds_load_b128 v[8:11], v44 offset:176
	s_waitcnt vmcnt(24)
	v_fma_mix_f32 v2, v12, v27, v2 op_sel_hi:[0,1,0]
	s_waitcnt vmcnt(23) lgkmcnt(1)
	v_fma_mix_f32 v2, v4, v28, v2 op_sel_hi:[0,1,0]
	s_waitcnt vmcnt(22)
	s_delay_alu instid0(VALU_DEP_1) | instskip(SKIP_1) | instid1(VALU_DEP_1)
	v_fma_mix_f32 v2, v5, v29, v2 op_sel_hi:[0,1,0]
	s_waitcnt vmcnt(21)
	v_fma_mix_f32 v2, v6, v30, v2 op_sel_hi:[0,1,0]
	s_waitcnt vmcnt(20)
	s_delay_alu instid0(VALU_DEP_1) | instskip(SKIP_4) | instid1(VALU_DEP_1)
	v_fma_mix_f32 v2, v7, v31, v2 op_sel_hi:[0,1,0]
	ds_load_b128 v[4:7], v44 offset:192
	s_waitcnt vmcnt(19) lgkmcnt(1)
	v_fma_mix_f32 v2, v8, v32, v2 op_sel_hi:[0,1,0]
	s_waitcnt vmcnt(18)
	v_fma_mix_f32 v2, v9, v33, v2 op_sel_hi:[0,1,0]
	s_waitcnt vmcnt(17)
	s_delay_alu instid0(VALU_DEP_1) | instskip(SKIP_1) | instid1(VALU_DEP_1)
	v_fma_mix_f32 v2, v10, v17, v2 op_sel_hi:[0,1,0]
	s_waitcnt vmcnt(16)
	v_fma_mix_f32 v2, v11, v18, v2 op_sel_hi:[0,1,0]
	ds_load_b128 v[8:11], v44 offset:208
	s_waitcnt vmcnt(15) lgkmcnt(1)
	v_fma_mix_f32 v2, v4, v19, v2 op_sel_hi:[0,1,0]
	s_waitcnt vmcnt(14)
	s_delay_alu instid0(VALU_DEP_1) | instskip(SKIP_1) | instid1(VALU_DEP_1)
	v_fma_mix_f32 v2, v5, v20, v2 op_sel_hi:[0,1,0]
	s_waitcnt vmcnt(13)
	v_fma_mix_f32 v2, v6, v34, v2 op_sel_hi:[0,1,0]
	s_waitcnt vmcnt(12)
	s_delay_alu instid0(VALU_DEP_1) | instskip(SKIP_4) | instid1(VALU_DEP_1)
	v_fma_mix_f32 v2, v7, v35, v2 op_sel_hi:[0,1,0]
	ds_load_b128 v[4:7], v44 offset:224
	s_waitcnt vmcnt(11) lgkmcnt(1)
	v_fma_mix_f32 v2, v8, v36, v2 op_sel_hi:[0,1,0]
	s_waitcnt vmcnt(10)
	v_fma_mix_f32 v2, v9, v15, v2 op_sel_hi:[0,1,0]
	s_waitcnt vmcnt(9)
	s_delay_alu instid0(VALU_DEP_1) | instskip(SKIP_1) | instid1(VALU_DEP_1)
	v_fma_mix_f32 v2, v10, v16, v2 op_sel_hi:[0,1,0]
	s_waitcnt vmcnt(8)
	v_fma_mix_f32 v2, v11, v37, v2 op_sel_hi:[0,1,0]
	ds_load_b128 v[8:11], v44 offset:240
	s_waitcnt vmcnt(7) lgkmcnt(1)
	v_fma_mix_f32 v2, v4, v38, v2 op_sel_hi:[0,1,0]
	s_waitcnt vmcnt(6)
	s_delay_alu instid0(VALU_DEP_1) | instskip(SKIP_1) | instid1(VALU_DEP_1)
	v_fma_mix_f32 v2, v5, v39, v2 op_sel_hi:[0,1,0]
	s_waitcnt vmcnt(5)
	v_fma_mix_f32 v2, v6, v13, v2 op_sel_hi:[0,1,0]
	s_waitcnt vmcnt(4)
	s_delay_alu instid0(VALU_DEP_1) | instskip(SKIP_1) | instid1(VALU_DEP_1)
	v_fma_mix_f32 v2, v7, v14, v2 op_sel_hi:[0,1,0]
	s_waitcnt vmcnt(3) lgkmcnt(0)
	v_fma_mix_f32 v2, v8, v40, v2 op_sel_hi:[0,1,0]
	s_waitcnt vmcnt(2)
	s_delay_alu instid0(VALU_DEP_1) | instskip(SKIP_1) | instid1(VALU_DEP_1)
	v_fma_mix_f32 v2, v9, v41, v2 op_sel_hi:[0,1,0]
	s_waitcnt vmcnt(1)
	v_fma_mix_f32 v2, v10, v42, v2 op_sel_hi:[0,1,0]
	s_waitcnt vmcnt(0)
	s_delay_alu instid0(VALU_DEP_1)
	v_fma_mix_f32 v4, v11, v43, v2 op_sel_hi:[0,1,0]
	s_cmpk_lt_i32 s48, 0x4100
	s_cbranch_scc1 .LBB215_14
.LBB215_23:
	s_cmpk_lt_i32 s48, 0x4200
	v_add_co_u32 v5, vcc_lo, 0x4000, v1
	s_cselect_b32 s4, s49, 0x2080
	v_add_co_ci_u32_e32 v6, vcc_lo, 0, v3, vcc_lo
	s_ashr_i32 s5, s4, 31
	v_mov_b32_e32 v44, 0
	s_lshl_b64 s[4:5], s[4:5], 1
	s_cmpk_lt_i32 s48, 0x4300
	v_add_co_u32 v7, vcc_lo, v1, s4
	s_cselect_b32 s6, s49, 0x2100
	v_add_co_ci_u32_e32 v8, vcc_lo, s5, v3, vcc_lo
	s_ashr_i32 s7, s6, 31
	s_delay_alu instid0(SALU_CYCLE_1)
	s_lshl_b64 s[6:7], s[6:7], 1
	s_cmpk_lt_i32 s48, 0x4400
	v_add_co_u32 v9, vcc_lo, v1, s6
	s_cselect_b32 s8, s49, 0x2180
	v_add_co_ci_u32_e32 v10, vcc_lo, s7, v3, vcc_lo
	s_ashr_i32 s9, s8, 31
	s_delay_alu instid0(SALU_CYCLE_1)
	s_lshl_b64 s[8:9], s[8:9], 1
	s_cmpk_lt_i32 s48, 0x4500
	v_add_co_u32 v11, vcc_lo, v1, s8
	s_cselect_b32 s10, s49, 0x2200
	v_add_co_ci_u32_e32 v12, vcc_lo, s9, v3, vcc_lo
	s_ashr_i32 s11, s10, 31
	s_delay_alu instid0(SALU_CYCLE_1)
	s_lshl_b64 s[10:11], s[10:11], 1
	s_cmpk_lt_i32 s48, 0x4600
	v_add_co_u32 v13, vcc_lo, v1, s10
	s_cselect_b32 s18, s49, 0x2280
	v_add_co_ci_u32_e32 v14, vcc_lo, s11, v3, vcc_lo
	s_ashr_i32 s19, s18, 31
	s_delay_alu instid0(SALU_CYCLE_1)
	s_lshl_b64 s[20:21], s[18:19], 1
	s_cmpk_lt_i32 s48, 0x4700
	v_add_co_u32 v15, vcc_lo, v1, s20
	s_cselect_b32 s18, s49, 0x2300
	v_add_co_ci_u32_e32 v16, vcc_lo, s21, v3, vcc_lo
	s_ashr_i32 s19, s18, 31
	s_delay_alu instid0(SALU_CYCLE_1)
	s_lshl_b64 s[22:23], s[18:19], 1
	s_cmpk_lt_i32 s48, 0x4800
	v_add_co_u32 v17, vcc_lo, v1, s22
	s_cselect_b32 s18, s49, 0x2380
	v_add_co_ci_u32_e32 v18, vcc_lo, s23, v3, vcc_lo
	s_ashr_i32 s19, s18, 31
	s_delay_alu instid0(SALU_CYCLE_1)
	s_lshl_b64 s[26:27], s[18:19], 1
	s_cmpk_lt_i32 s48, 0x4900
	v_add_co_u32 v19, vcc_lo, v1, s26
	s_cselect_b32 s18, s49, 0x2400
	v_add_co_ci_u32_e32 v20, vcc_lo, s27, v3, vcc_lo
	s_ashr_i32 s19, s18, 31
	s_clause 0x7
	global_load_u16 v2, v[5:6], off
	global_load_u16 v21, v[7:8], off
	;; [unrolled: 1-line block ×8, first 2 shown]
	s_lshl_b64 s[18:19], s[18:19], 1
	s_cmpk_lt_i32 s48, 0x4a00
	v_add_co_u32 v5, vcc_lo, v1, s18
	s_cselect_b32 s24, s49, 0x2480
	v_add_co_ci_u32_e32 v6, vcc_lo, s19, v3, vcc_lo
	s_ashr_i32 s25, s24, 31
	s_delay_alu instid0(SALU_CYCLE_1)
	s_lshl_b64 s[24:25], s[24:25], 1
	s_cmpk_lt_i32 s48, 0x4b00
	v_add_co_u32 v7, vcc_lo, v1, s24
	s_cselect_b32 s28, s49, 0x2500
	v_add_co_ci_u32_e32 v8, vcc_lo, s25, v3, vcc_lo
	s_ashr_i32 s29, s28, 31
	s_delay_alu instid0(SALU_CYCLE_1)
	s_lshl_b64 s[28:29], s[28:29], 1
	s_cmpk_lt_i32 s48, 0x4c00
	v_add_co_u32 v9, vcc_lo, v1, s28
	s_cselect_b32 s30, s49, 0x2580
	v_add_co_ci_u32_e32 v10, vcc_lo, s29, v3, vcc_lo
	s_ashr_i32 s31, s30, 31
	s_delay_alu instid0(SALU_CYCLE_1)
	s_lshl_b64 s[30:31], s[30:31], 1
	s_cmpk_lt_i32 s48, 0x4d00
	v_add_co_u32 v11, vcc_lo, v1, s30
	s_cselect_b32 s34, s49, 0x2600
	v_add_co_ci_u32_e32 v12, vcc_lo, s31, v3, vcc_lo
	s_ashr_i32 s35, s34, 31
	s_delay_alu instid0(SALU_CYCLE_1)
	s_lshl_b64 s[34:35], s[34:35], 1
	s_cmpk_lt_i32 s48, 0x4e00
	v_add_co_u32 v13, vcc_lo, v1, s34
	s_cselect_b32 s36, s49, 0x2680
	v_add_co_ci_u32_e32 v14, vcc_lo, s35, v3, vcc_lo
	s_ashr_i32 s37, s36, 31
	s_delay_alu instid0(SALU_CYCLE_1)
	s_lshl_b64 s[38:39], s[36:37], 1
	s_cmpk_lt_i32 s48, 0x4f00
	v_add_co_u32 v15, vcc_lo, v1, s38
	s_cselect_b32 s36, s49, 0x2700
	v_add_co_ci_u32_e32 v16, vcc_lo, s39, v3, vcc_lo
	s_ashr_i32 s37, s36, 31
	s_delay_alu instid0(SALU_CYCLE_1)
	s_lshl_b64 s[40:41], s[36:37], 1
	s_cmpk_lt_i32 s48, 0x5000
	v_add_co_u32 v17, vcc_lo, v1, s40
	s_cselect_b32 s36, s49, 0x2780
	v_add_co_ci_u32_e32 v18, vcc_lo, s41, v3, vcc_lo
	s_ashr_i32 s37, s36, 31
	s_delay_alu instid0(SALU_CYCLE_1)
	s_lshl_b64 s[44:45], s[36:37], 1
	s_cmpk_lt_i32 s48, 0x5100
	v_add_co_u32 v19, vcc_lo, v1, s44
	s_cselect_b32 s36, s49, 0x2800
	v_add_co_ci_u32_e32 v20, vcc_lo, s45, v3, vcc_lo
	s_ashr_i32 s37, s36, 31
	s_clause 0x7
	global_load_u16 v28, v[5:6], off
	global_load_u16 v29, v[7:8], off
	;; [unrolled: 1-line block ×8, first 2 shown]
	s_lshl_b64 s[36:37], s[36:37], 1
	s_cmpk_lt_i32 s48, 0x5200
	v_add_co_u32 v5, vcc_lo, v1, s36
	s_cselect_b32 s42, s49, 0x2880
	v_add_co_ci_u32_e32 v6, vcc_lo, s37, v3, vcc_lo
	s_ashr_i32 s43, s42, 31
	s_delay_alu instid0(SALU_CYCLE_1)
	s_lshl_b64 s[42:43], s[42:43], 1
	s_cmpk_lt_i32 s48, 0x5300
	v_add_co_u32 v7, vcc_lo, v1, s42
	s_cselect_b32 s46, s49, 0x2900
	v_add_co_ci_u32_e32 v8, vcc_lo, s43, v3, vcc_lo
	s_ashr_i32 s47, s46, 31
	s_delay_alu instid0(SALU_CYCLE_1)
	;; [unrolled: 7-line block ×5, first 2 shown]
	s_lshl_b64 s[8:9], s[8:9], 1
	s_cmpk_lt_i32 s48, 0x5700
	v_add_co_u32 v15, vcc_lo, v1, s8
	s_cselect_b32 s10, s49, 0x2b00
	v_add_co_ci_u32_e32 v16, vcc_lo, s9, v3, vcc_lo
	s_ashr_i32 s11, s10, 31
	s_clause 0x5
	global_load_u16 v19, v[5:6], off
	global_load_u16 v20, v[7:8], off
	;; [unrolled: 1-line block ×6, first 2 shown]
	s_lshl_b64 s[10:11], s[10:11], 1
	s_cmpk_lt_i32 s48, 0x5800
	v_add_co_u32 v5, vcc_lo, v1, s10
	s_cselect_b32 s18, s49, 0x2b80
	v_add_co_ci_u32_e32 v6, vcc_lo, s11, v3, vcc_lo
	s_ashr_i32 s19, s18, 31
	s_delay_alu instid0(SALU_CYCLE_1)
	s_lshl_b64 s[18:19], s[18:19], 1
	s_cmpk_lt_i32 s48, 0x5900
	v_add_co_u32 v7, vcc_lo, v1, s18
	s_cselect_b32 s20, s49, 0x2c00
	v_add_co_ci_u32_e32 v8, vcc_lo, s19, v3, vcc_lo
	s_ashr_i32 s21, s20, 31
	global_load_u16 v16, v[5:6], off
	s_lshl_b64 s[20:21], s[20:21], 1
	global_load_u16 v37, v[7:8], off
	s_cmpk_lt_i32 s48, 0x5a00
	v_add_co_u32 v9, vcc_lo, v1, s20
	s_cselect_b32 s22, s49, 0x2c80
	v_add_co_ci_u32_e32 v10, vcc_lo, s21, v3, vcc_lo
	s_ashr_i32 s23, s22, 31
	s_delay_alu instid0(SALU_CYCLE_1)
	s_lshl_b64 s[22:23], s[22:23], 1
	s_cmpk_lt_i32 s48, 0x5b00
	v_add_co_u32 v11, vcc_lo, v1, s22
	s_cselect_b32 s4, s49, 0x2d00
	v_add_co_ci_u32_e32 v12, vcc_lo, s23, v3, vcc_lo
	s_ashr_i32 s5, s4, 31
	s_delay_alu instid0(SALU_CYCLE_1)
	s_lshl_b64 s[4:5], s[4:5], 1
	s_cmpk_lt_i32 s48, 0x5c00
	v_add_co_u32 v13, vcc_lo, v1, s4
	s_cselect_b32 s6, s49, 0x2d80
	v_add_co_ci_u32_e32 v14, vcc_lo, s5, v3, vcc_lo
	s_ashr_i32 s7, s6, 31
	s_clause 0x2
	global_load_u16 v38, v[9:10], off
	global_load_u16 v39, v[11:12], off
	;; [unrolled: 1-line block ×3, first 2 shown]
	s_lshl_b64 s[6:7], s[6:7], 1
	s_cmpk_lt_i32 s48, 0x5d00
	v_add_co_u32 v5, vcc_lo, v1, s6
	s_cselect_b32 s8, s49, 0x2e00
	v_add_co_ci_u32_e32 v6, vcc_lo, s7, v3, vcc_lo
	s_ashr_i32 s9, s8, 31
	s_delay_alu instid0(SALU_CYCLE_1)
	s_lshl_b64 s[4:5], s[8:9], 1
	s_cmpk_lt_i32 s48, 0x5e00
	v_add_co_u32 v7, vcc_lo, v1, s4
	s_cselect_b32 s8, s49, 0x2e80
	v_add_co_ci_u32_e32 v8, vcc_lo, s5, v3, vcc_lo
	s_ashr_i32 s9, s8, 31
	global_load_u16 v14, v[5:6], off
	s_lshl_b64 s[8:9], s[8:9], 1
	s_cmpk_lt_i32 s48, 0x5f00
	v_add_co_u32 v9, vcc_lo, v1, s8
	s_cselect_b32 s6, s49, 0x2f00
	v_add_co_ci_u32_e32 v10, vcc_lo, s9, v3, vcc_lo
	s_ashr_i32 s7, s6, 31
	s_clause 0x1
	global_load_u16 v40, v[7:8], off
	global_load_u16 v41, v[9:10], off
	s_lshl_b64 s[4:5], s[6:7], 1
	s_cmpk_lt_i32 s48, 0x6000
	v_add_co_u32 v5, vcc_lo, v1, s4
	s_cselect_b32 s6, s49, 0x2f80
	v_add_co_ci_u32_e32 v6, vcc_lo, s5, v3, vcc_lo
	s_ashr_i32 s7, s6, 31
	s_delay_alu instid0(SALU_CYCLE_1) | instskip(NEXT) | instid1(SALU_CYCLE_1)
	s_lshl_b64 s[4:5], s[6:7], 1
	v_add_co_u32 v7, vcc_lo, v1, s4
	v_add_co_ci_u32_e32 v8, vcc_lo, s5, v3, vcc_lo
	s_clause 0x1
	global_load_u16 v42, v[5:6], off
	global_load_u16 v43, v[7:8], off
	ds_load_b128 v[5:8], v44 offset:256
	ds_load_b128 v[9:12], v44 offset:272
	s_waitcnt vmcnt(31) lgkmcnt(1)
	v_fma_mix_f32 v2, v5, v2, v4 op_sel_hi:[0,1,0]
	s_waitcnt vmcnt(30)
	s_delay_alu instid0(VALU_DEP_1) | instskip(SKIP_1) | instid1(VALU_DEP_1)
	v_fma_mix_f32 v2, v6, v21, v2 op_sel_hi:[0,1,0]
	s_waitcnt vmcnt(29)
	v_fma_mix_f32 v2, v7, v22, v2 op_sel_hi:[0,1,0]
	ds_load_b128 v[4:7], v44 offset:288
	s_waitcnt vmcnt(28)
	v_fma_mix_f32 v2, v8, v23, v2 op_sel_hi:[0,1,0]
	s_waitcnt vmcnt(27) lgkmcnt(1)
	s_delay_alu instid0(VALU_DEP_1) | instskip(SKIP_1) | instid1(VALU_DEP_1)
	v_fma_mix_f32 v2, v9, v24, v2 op_sel_hi:[0,1,0]
	s_waitcnt vmcnt(26)
	v_fma_mix_f32 v2, v10, v25, v2 op_sel_hi:[0,1,0]
	s_waitcnt vmcnt(25)
	s_delay_alu instid0(VALU_DEP_1) | instskip(SKIP_4) | instid1(VALU_DEP_1)
	v_fma_mix_f32 v2, v11, v26, v2 op_sel_hi:[0,1,0]
	ds_load_b128 v[8:11], v44 offset:304
	s_waitcnt vmcnt(24)
	v_fma_mix_f32 v2, v12, v27, v2 op_sel_hi:[0,1,0]
	s_waitcnt vmcnt(23) lgkmcnt(1)
	v_fma_mix_f32 v2, v4, v28, v2 op_sel_hi:[0,1,0]
	s_waitcnt vmcnt(22)
	s_delay_alu instid0(VALU_DEP_1) | instskip(SKIP_1) | instid1(VALU_DEP_1)
	v_fma_mix_f32 v2, v5, v29, v2 op_sel_hi:[0,1,0]
	s_waitcnt vmcnt(21)
	v_fma_mix_f32 v2, v6, v30, v2 op_sel_hi:[0,1,0]
	s_waitcnt vmcnt(20)
	s_delay_alu instid0(VALU_DEP_1) | instskip(SKIP_4) | instid1(VALU_DEP_1)
	v_fma_mix_f32 v2, v7, v31, v2 op_sel_hi:[0,1,0]
	ds_load_b128 v[4:7], v44 offset:320
	s_waitcnt vmcnt(19) lgkmcnt(1)
	v_fma_mix_f32 v2, v8, v32, v2 op_sel_hi:[0,1,0]
	s_waitcnt vmcnt(18)
	v_fma_mix_f32 v2, v9, v33, v2 op_sel_hi:[0,1,0]
	s_waitcnt vmcnt(17)
	s_delay_alu instid0(VALU_DEP_1) | instskip(SKIP_1) | instid1(VALU_DEP_1)
	v_fma_mix_f32 v2, v10, v17, v2 op_sel_hi:[0,1,0]
	s_waitcnt vmcnt(16)
	v_fma_mix_f32 v2, v11, v18, v2 op_sel_hi:[0,1,0]
	ds_load_b128 v[8:11], v44 offset:336
	s_waitcnt vmcnt(15) lgkmcnt(1)
	v_fma_mix_f32 v2, v4, v19, v2 op_sel_hi:[0,1,0]
	s_waitcnt vmcnt(14)
	s_delay_alu instid0(VALU_DEP_1) | instskip(SKIP_1) | instid1(VALU_DEP_1)
	v_fma_mix_f32 v2, v5, v20, v2 op_sel_hi:[0,1,0]
	s_waitcnt vmcnt(13)
	v_fma_mix_f32 v2, v6, v34, v2 op_sel_hi:[0,1,0]
	s_waitcnt vmcnt(12)
	s_delay_alu instid0(VALU_DEP_1) | instskip(SKIP_4) | instid1(VALU_DEP_1)
	v_fma_mix_f32 v2, v7, v35, v2 op_sel_hi:[0,1,0]
	ds_load_b128 v[4:7], v44 offset:352
	s_waitcnt vmcnt(11) lgkmcnt(1)
	v_fma_mix_f32 v2, v8, v36, v2 op_sel_hi:[0,1,0]
	s_waitcnt vmcnt(10)
	v_fma_mix_f32 v2, v9, v15, v2 op_sel_hi:[0,1,0]
	s_waitcnt vmcnt(9)
	s_delay_alu instid0(VALU_DEP_1) | instskip(SKIP_1) | instid1(VALU_DEP_1)
	v_fma_mix_f32 v2, v10, v16, v2 op_sel_hi:[0,1,0]
	s_waitcnt vmcnt(8)
	v_fma_mix_f32 v2, v11, v37, v2 op_sel_hi:[0,1,0]
	ds_load_b128 v[8:11], v44 offset:368
	s_waitcnt vmcnt(7) lgkmcnt(1)
	v_fma_mix_f32 v2, v4, v38, v2 op_sel_hi:[0,1,0]
	s_waitcnt vmcnt(6)
	s_delay_alu instid0(VALU_DEP_1) | instskip(SKIP_1) | instid1(VALU_DEP_1)
	v_fma_mix_f32 v2, v5, v39, v2 op_sel_hi:[0,1,0]
	s_waitcnt vmcnt(5)
	v_fma_mix_f32 v2, v6, v13, v2 op_sel_hi:[0,1,0]
	s_waitcnt vmcnt(4)
	s_delay_alu instid0(VALU_DEP_1) | instskip(SKIP_1) | instid1(VALU_DEP_1)
	v_fma_mix_f32 v2, v7, v14, v2 op_sel_hi:[0,1,0]
	s_waitcnt vmcnt(3) lgkmcnt(0)
	v_fma_mix_f32 v2, v8, v40, v2 op_sel_hi:[0,1,0]
	s_waitcnt vmcnt(2)
	s_delay_alu instid0(VALU_DEP_1) | instskip(SKIP_1) | instid1(VALU_DEP_1)
	v_fma_mix_f32 v2, v9, v41, v2 op_sel_hi:[0,1,0]
	s_waitcnt vmcnt(1)
	v_fma_mix_f32 v2, v10, v42, v2 op_sel_hi:[0,1,0]
	s_waitcnt vmcnt(0)
	s_delay_alu instid0(VALU_DEP_1)
	v_fma_mix_f32 v4, v11, v43, v2 op_sel_hi:[0,1,0]
	s_cmpk_lt_i32 s48, 0x6100
	s_cbranch_scc1 .LBB215_15
.LBB215_24:
	s_cmpk_lt_i32 s48, 0x6200
	v_add_co_u32 v5, vcc_lo, 0x6000, v1
	s_cselect_b32 s4, s49, 0x3080
	v_add_co_ci_u32_e32 v6, vcc_lo, 0, v3, vcc_lo
	s_ashr_i32 s5, s4, 31
	v_mov_b32_e32 v44, 0
	s_lshl_b64 s[4:5], s[4:5], 1
	s_cmpk_lt_i32 s48, 0x6300
	v_add_co_u32 v7, vcc_lo, v1, s4
	s_cselect_b32 s6, s49, 0x3100
	v_add_co_ci_u32_e32 v8, vcc_lo, s5, v3, vcc_lo
	s_ashr_i32 s7, s6, 31
	s_delay_alu instid0(SALU_CYCLE_1)
	s_lshl_b64 s[6:7], s[6:7], 1
	s_cmpk_lt_i32 s48, 0x6400
	v_add_co_u32 v9, vcc_lo, v1, s6
	s_cselect_b32 s8, s49, 0x3180
	v_add_co_ci_u32_e32 v10, vcc_lo, s7, v3, vcc_lo
	s_ashr_i32 s9, s8, 31
	s_delay_alu instid0(SALU_CYCLE_1)
	;; [unrolled: 7-line block ×6, first 2 shown]
	s_lshl_b64 s[26:27], s[18:19], 1
	s_cmpk_lt_i32 s48, 0x6900
	v_add_co_u32 v19, vcc_lo, v1, s26
	s_cselect_b32 s18, s49, 0x3400
	v_add_co_ci_u32_e32 v20, vcc_lo, s27, v3, vcc_lo
	s_ashr_i32 s19, s18, 31
	s_clause 0x7
	global_load_u16 v2, v[5:6], off
	global_load_u16 v21, v[7:8], off
	;; [unrolled: 1-line block ×8, first 2 shown]
	s_lshl_b64 s[18:19], s[18:19], 1
	s_cmpk_lt_i32 s48, 0x6a00
	v_add_co_u32 v5, vcc_lo, v1, s18
	s_cselect_b32 s24, s49, 0x3480
	v_add_co_ci_u32_e32 v6, vcc_lo, s19, v3, vcc_lo
	s_ashr_i32 s25, s24, 31
	s_delay_alu instid0(SALU_CYCLE_1)
	s_lshl_b64 s[24:25], s[24:25], 1
	s_cmpk_lt_i32 s48, 0x6b00
	v_add_co_u32 v7, vcc_lo, v1, s24
	s_cselect_b32 s28, s49, 0x3500
	v_add_co_ci_u32_e32 v8, vcc_lo, s25, v3, vcc_lo
	s_ashr_i32 s29, s28, 31
	s_delay_alu instid0(SALU_CYCLE_1)
	;; [unrolled: 7-line block ×7, first 2 shown]
	s_lshl_b64 s[44:45], s[36:37], 1
	s_cmpk_lt_i32 s48, 0x7100
	v_add_co_u32 v19, vcc_lo, v1, s44
	s_cselect_b32 s36, s49, 0x3800
	v_add_co_ci_u32_e32 v20, vcc_lo, s45, v3, vcc_lo
	s_ashr_i32 s37, s36, 31
	s_clause 0x7
	global_load_u16 v28, v[5:6], off
	global_load_u16 v29, v[7:8], off
	;; [unrolled: 1-line block ×8, first 2 shown]
	s_lshl_b64 s[36:37], s[36:37], 1
	s_cmpk_lt_i32 s48, 0x7200
	v_add_co_u32 v5, vcc_lo, v1, s36
	s_cselect_b32 s42, s49, 0x3880
	v_add_co_ci_u32_e32 v6, vcc_lo, s37, v3, vcc_lo
	s_ashr_i32 s43, s42, 31
	s_delay_alu instid0(SALU_CYCLE_1)
	s_lshl_b64 s[42:43], s[42:43], 1
	s_cmpk_lt_i32 s48, 0x7300
	v_add_co_u32 v7, vcc_lo, v1, s42
	s_cselect_b32 s46, s49, 0x3900
	v_add_co_ci_u32_e32 v8, vcc_lo, s43, v3, vcc_lo
	s_ashr_i32 s47, s46, 31
	s_delay_alu instid0(SALU_CYCLE_1)
	;; [unrolled: 7-line block ×5, first 2 shown]
	s_lshl_b64 s[8:9], s[8:9], 1
	s_cmpk_lt_i32 s48, 0x7700
	v_add_co_u32 v15, vcc_lo, v1, s8
	s_cselect_b32 s10, s49, 0x3b00
	v_add_co_ci_u32_e32 v16, vcc_lo, s9, v3, vcc_lo
	s_ashr_i32 s11, s10, 31
	s_clause 0x5
	global_load_u16 v19, v[5:6], off
	global_load_u16 v20, v[7:8], off
	;; [unrolled: 1-line block ×6, first 2 shown]
	s_lshl_b64 s[10:11], s[10:11], 1
	s_cmpk_lt_i32 s48, 0x7800
	v_add_co_u32 v5, vcc_lo, v1, s10
	s_cselect_b32 s18, s49, 0x3b80
	v_add_co_ci_u32_e32 v6, vcc_lo, s11, v3, vcc_lo
	s_ashr_i32 s19, s18, 31
	s_delay_alu instid0(SALU_CYCLE_1)
	s_lshl_b64 s[18:19], s[18:19], 1
	s_cmpk_lt_i32 s48, 0x7900
	v_add_co_u32 v7, vcc_lo, v1, s18
	s_cselect_b32 s20, s49, 0x3c00
	v_add_co_ci_u32_e32 v8, vcc_lo, s19, v3, vcc_lo
	s_ashr_i32 s21, s20, 31
	global_load_u16 v16, v[5:6], off
	s_lshl_b64 s[20:21], s[20:21], 1
	global_load_u16 v37, v[7:8], off
	s_cmpk_lt_i32 s48, 0x7a00
	v_add_co_u32 v9, vcc_lo, v1, s20
	s_cselect_b32 s22, s49, 0x3c80
	v_add_co_ci_u32_e32 v10, vcc_lo, s21, v3, vcc_lo
	s_ashr_i32 s23, s22, 31
	s_delay_alu instid0(SALU_CYCLE_1)
	s_lshl_b64 s[22:23], s[22:23], 1
	s_cmpk_lt_i32 s48, 0x7b00
	v_add_co_u32 v11, vcc_lo, v1, s22
	s_cselect_b32 s4, s49, 0x3d00
	v_add_co_ci_u32_e32 v12, vcc_lo, s23, v3, vcc_lo
	s_ashr_i32 s5, s4, 31
	s_delay_alu instid0(SALU_CYCLE_1)
	s_lshl_b64 s[4:5], s[4:5], 1
	s_cmpk_lt_i32 s48, 0x7c00
	v_add_co_u32 v13, vcc_lo, v1, s4
	s_cselect_b32 s6, s49, 0x3d80
	v_add_co_ci_u32_e32 v14, vcc_lo, s5, v3, vcc_lo
	s_ashr_i32 s7, s6, 31
	s_clause 0x2
	global_load_u16 v38, v[9:10], off
	global_load_u16 v39, v[11:12], off
	;; [unrolled: 1-line block ×3, first 2 shown]
	s_lshl_b64 s[6:7], s[6:7], 1
	s_cmpk_lt_i32 s48, 0x7d00
	v_add_co_u32 v5, vcc_lo, v1, s6
	s_cselect_b32 s8, s49, 0x3e00
	v_add_co_ci_u32_e32 v6, vcc_lo, s7, v3, vcc_lo
	s_ashr_i32 s9, s8, 31
	s_delay_alu instid0(SALU_CYCLE_1)
	s_lshl_b64 s[4:5], s[8:9], 1
	s_cmpk_lt_i32 s48, 0x7e00
	v_add_co_u32 v7, vcc_lo, v1, s4
	s_cselect_b32 s8, s49, 0x3e80
	v_add_co_ci_u32_e32 v8, vcc_lo, s5, v3, vcc_lo
	s_ashr_i32 s9, s8, 31
	global_load_u16 v14, v[5:6], off
	s_lshl_b64 s[8:9], s[8:9], 1
	s_cmpk_lt_i32 s48, 0x7f00
	v_add_co_u32 v9, vcc_lo, v1, s8
	s_cselect_b32 s6, s49, 0x3f00
	v_add_co_ci_u32_e32 v10, vcc_lo, s9, v3, vcc_lo
	s_ashr_i32 s7, s6, 31
	s_clause 0x1
	global_load_u16 v40, v[7:8], off
	global_load_u16 v41, v[9:10], off
	s_lshl_b64 s[4:5], s[6:7], 1
	s_cmp_lt_i32 s48, 0x8000
	v_add_co_u32 v5, vcc_lo, v1, s4
	s_cselect_b32 s6, s49, 0x3f80
	v_add_co_ci_u32_e32 v6, vcc_lo, s5, v3, vcc_lo
	s_ashr_i32 s7, s6, 31
	s_delay_alu instid0(SALU_CYCLE_1) | instskip(NEXT) | instid1(SALU_CYCLE_1)
	s_lshl_b64 s[4:5], s[6:7], 1
	v_add_co_u32 v7, vcc_lo, v1, s4
	v_add_co_ci_u32_e32 v8, vcc_lo, s5, v3, vcc_lo
	s_clause 0x1
	global_load_u16 v42, v[5:6], off
	global_load_u16 v43, v[7:8], off
	ds_load_b128 v[5:8], v44 offset:384
	ds_load_b128 v[9:12], v44 offset:400
	s_waitcnt vmcnt(31) lgkmcnt(1)
	v_fma_mix_f32 v2, v5, v2, v4 op_sel_hi:[0,1,0]
	s_waitcnt vmcnt(30)
	s_delay_alu instid0(VALU_DEP_1) | instskip(SKIP_1) | instid1(VALU_DEP_1)
	v_fma_mix_f32 v2, v6, v21, v2 op_sel_hi:[0,1,0]
	s_waitcnt vmcnt(29)
	v_fma_mix_f32 v2, v7, v22, v2 op_sel_hi:[0,1,0]
	ds_load_b128 v[4:7], v44 offset:416
	s_waitcnt vmcnt(28)
	v_fma_mix_f32 v2, v8, v23, v2 op_sel_hi:[0,1,0]
	s_waitcnt vmcnt(27) lgkmcnt(1)
	s_delay_alu instid0(VALU_DEP_1) | instskip(SKIP_1) | instid1(VALU_DEP_1)
	v_fma_mix_f32 v2, v9, v24, v2 op_sel_hi:[0,1,0]
	s_waitcnt vmcnt(26)
	v_fma_mix_f32 v2, v10, v25, v2 op_sel_hi:[0,1,0]
	s_waitcnt vmcnt(25)
	s_delay_alu instid0(VALU_DEP_1) | instskip(SKIP_4) | instid1(VALU_DEP_1)
	v_fma_mix_f32 v2, v11, v26, v2 op_sel_hi:[0,1,0]
	ds_load_b128 v[8:11], v44 offset:432
	s_waitcnt vmcnt(24)
	v_fma_mix_f32 v2, v12, v27, v2 op_sel_hi:[0,1,0]
	s_waitcnt vmcnt(23) lgkmcnt(1)
	v_fma_mix_f32 v2, v4, v28, v2 op_sel_hi:[0,1,0]
	s_waitcnt vmcnt(22)
	s_delay_alu instid0(VALU_DEP_1) | instskip(SKIP_1) | instid1(VALU_DEP_1)
	v_fma_mix_f32 v2, v5, v29, v2 op_sel_hi:[0,1,0]
	s_waitcnt vmcnt(21)
	v_fma_mix_f32 v2, v6, v30, v2 op_sel_hi:[0,1,0]
	s_waitcnt vmcnt(20)
	s_delay_alu instid0(VALU_DEP_1) | instskip(SKIP_4) | instid1(VALU_DEP_1)
	v_fma_mix_f32 v2, v7, v31, v2 op_sel_hi:[0,1,0]
	ds_load_b128 v[4:7], v44 offset:448
	s_waitcnt vmcnt(19) lgkmcnt(1)
	v_fma_mix_f32 v2, v8, v32, v2 op_sel_hi:[0,1,0]
	s_waitcnt vmcnt(18)
	v_fma_mix_f32 v2, v9, v33, v2 op_sel_hi:[0,1,0]
	s_waitcnt vmcnt(17)
	s_delay_alu instid0(VALU_DEP_1) | instskip(SKIP_1) | instid1(VALU_DEP_1)
	v_fma_mix_f32 v2, v10, v17, v2 op_sel_hi:[0,1,0]
	s_waitcnt vmcnt(16)
	v_fma_mix_f32 v2, v11, v18, v2 op_sel_hi:[0,1,0]
	ds_load_b128 v[8:11], v44 offset:464
	s_waitcnt vmcnt(15) lgkmcnt(1)
	v_fma_mix_f32 v2, v4, v19, v2 op_sel_hi:[0,1,0]
	s_waitcnt vmcnt(14)
	s_delay_alu instid0(VALU_DEP_1) | instskip(SKIP_1) | instid1(VALU_DEP_1)
	v_fma_mix_f32 v2, v5, v20, v2 op_sel_hi:[0,1,0]
	s_waitcnt vmcnt(13)
	v_fma_mix_f32 v2, v6, v34, v2 op_sel_hi:[0,1,0]
	s_waitcnt vmcnt(12)
	s_delay_alu instid0(VALU_DEP_1) | instskip(SKIP_4) | instid1(VALU_DEP_1)
	v_fma_mix_f32 v2, v7, v35, v2 op_sel_hi:[0,1,0]
	ds_load_b128 v[4:7], v44 offset:480
	s_waitcnt vmcnt(11) lgkmcnt(1)
	v_fma_mix_f32 v2, v8, v36, v2 op_sel_hi:[0,1,0]
	s_waitcnt vmcnt(10)
	v_fma_mix_f32 v2, v9, v15, v2 op_sel_hi:[0,1,0]
	s_waitcnt vmcnt(9)
	s_delay_alu instid0(VALU_DEP_1) | instskip(SKIP_1) | instid1(VALU_DEP_1)
	v_fma_mix_f32 v2, v10, v16, v2 op_sel_hi:[0,1,0]
	s_waitcnt vmcnt(8)
	v_fma_mix_f32 v2, v11, v37, v2 op_sel_hi:[0,1,0]
	ds_load_b128 v[8:11], v44 offset:496
	s_waitcnt vmcnt(7) lgkmcnt(1)
	v_fma_mix_f32 v2, v4, v38, v2 op_sel_hi:[0,1,0]
	s_waitcnt vmcnt(6)
	s_delay_alu instid0(VALU_DEP_1) | instskip(SKIP_1) | instid1(VALU_DEP_1)
	v_fma_mix_f32 v2, v5, v39, v2 op_sel_hi:[0,1,0]
	s_waitcnt vmcnt(5)
	v_fma_mix_f32 v2, v6, v13, v2 op_sel_hi:[0,1,0]
	s_waitcnt vmcnt(4)
	s_delay_alu instid0(VALU_DEP_1) | instskip(SKIP_1) | instid1(VALU_DEP_1)
	v_fma_mix_f32 v2, v7, v14, v2 op_sel_hi:[0,1,0]
	s_waitcnt vmcnt(3) lgkmcnt(0)
	v_fma_mix_f32 v2, v8, v40, v2 op_sel_hi:[0,1,0]
	s_waitcnt vmcnt(2)
	s_delay_alu instid0(VALU_DEP_1) | instskip(SKIP_1) | instid1(VALU_DEP_1)
	v_fma_mix_f32 v2, v9, v41, v2 op_sel_hi:[0,1,0]
	s_waitcnt vmcnt(1)
	v_fma_mix_f32 v2, v10, v42, v2 op_sel_hi:[0,1,0]
	s_waitcnt vmcnt(0)
	s_delay_alu instid0(VALU_DEP_1)
	v_fma_mix_f32 v4, v11, v43, v2 op_sel_hi:[0,1,0]
	s_cmp_lt_i32 s48, 0x8100
	s_cbranch_scc1 .LBB215_16
.LBB215_25:
	s_cmp_lt_i32 s48, 0x8200
	v_add_co_u32 v5, vcc_lo, 0x8000, v1
	s_cselect_b32 s4, s49, 0x4080
	v_add_co_ci_u32_e32 v6, vcc_lo, 0, v3, vcc_lo
	s_ashr_i32 s5, s4, 31
	v_mov_b32_e32 v44, 0
	s_lshl_b64 s[4:5], s[4:5], 1
	s_cmp_lt_i32 s48, 0x8300
	v_add_co_u32 v7, vcc_lo, v1, s4
	s_cselect_b32 s6, s49, 0x4100
	v_add_co_ci_u32_e32 v8, vcc_lo, s5, v3, vcc_lo
	s_ashr_i32 s7, s6, 31
	s_delay_alu instid0(SALU_CYCLE_1)
	s_lshl_b64 s[6:7], s[6:7], 1
	s_cmp_lt_i32 s48, 0x8400
	v_add_co_u32 v9, vcc_lo, v1, s6
	s_cselect_b32 s8, s49, 0x4180
	v_add_co_ci_u32_e32 v10, vcc_lo, s7, v3, vcc_lo
	s_ashr_i32 s9, s8, 31
	s_delay_alu instid0(SALU_CYCLE_1)
	;; [unrolled: 7-line block ×6, first 2 shown]
	s_lshl_b64 s[26:27], s[18:19], 1
	s_cmp_lt_i32 s48, 0x8900
	v_add_co_u32 v19, vcc_lo, v1, s26
	s_cselect_b32 s18, s49, 0x4400
	v_add_co_ci_u32_e32 v20, vcc_lo, s27, v3, vcc_lo
	s_ashr_i32 s19, s18, 31
	s_clause 0x7
	global_load_u16 v2, v[5:6], off
	global_load_u16 v21, v[7:8], off
	;; [unrolled: 1-line block ×8, first 2 shown]
	s_lshl_b64 s[18:19], s[18:19], 1
	s_cmp_lt_i32 s48, 0x8a00
	v_add_co_u32 v5, vcc_lo, v1, s18
	s_cselect_b32 s24, s49, 0x4480
	v_add_co_ci_u32_e32 v6, vcc_lo, s19, v3, vcc_lo
	s_ashr_i32 s25, s24, 31
	s_delay_alu instid0(SALU_CYCLE_1)
	s_lshl_b64 s[24:25], s[24:25], 1
	s_cmp_lt_i32 s48, 0x8b00
	v_add_co_u32 v7, vcc_lo, v1, s24
	s_cselect_b32 s28, s49, 0x4500
	v_add_co_ci_u32_e32 v8, vcc_lo, s25, v3, vcc_lo
	s_ashr_i32 s29, s28, 31
	s_delay_alu instid0(SALU_CYCLE_1)
	;; [unrolled: 7-line block ×7, first 2 shown]
	s_lshl_b64 s[44:45], s[36:37], 1
	s_cmp_lt_i32 s48, 0x9100
	v_add_co_u32 v19, vcc_lo, v1, s44
	s_cselect_b32 s36, s49, 0x4800
	v_add_co_ci_u32_e32 v20, vcc_lo, s45, v3, vcc_lo
	s_ashr_i32 s37, s36, 31
	s_clause 0x7
	global_load_u16 v28, v[5:6], off
	global_load_u16 v29, v[7:8], off
	;; [unrolled: 1-line block ×8, first 2 shown]
	s_lshl_b64 s[36:37], s[36:37], 1
	s_cmp_lt_i32 s48, 0x9200
	v_add_co_u32 v5, vcc_lo, v1, s36
	s_cselect_b32 s42, s49, 0x4880
	v_add_co_ci_u32_e32 v6, vcc_lo, s37, v3, vcc_lo
	s_ashr_i32 s43, s42, 31
	s_delay_alu instid0(SALU_CYCLE_1)
	s_lshl_b64 s[42:43], s[42:43], 1
	s_cmp_lt_i32 s48, 0x9300
	v_add_co_u32 v7, vcc_lo, v1, s42
	s_cselect_b32 s46, s49, 0x4900
	v_add_co_ci_u32_e32 v8, vcc_lo, s43, v3, vcc_lo
	s_ashr_i32 s47, s46, 31
	s_delay_alu instid0(SALU_CYCLE_1)
	;; [unrolled: 7-line block ×5, first 2 shown]
	s_lshl_b64 s[8:9], s[8:9], 1
	s_cmp_lt_i32 s48, 0x9700
	v_add_co_u32 v15, vcc_lo, v1, s8
	s_cselect_b32 s10, s49, 0x4b00
	v_add_co_ci_u32_e32 v16, vcc_lo, s9, v3, vcc_lo
	s_ashr_i32 s11, s10, 31
	s_clause 0x5
	global_load_u16 v19, v[5:6], off
	global_load_u16 v20, v[7:8], off
	;; [unrolled: 1-line block ×6, first 2 shown]
	s_lshl_b64 s[10:11], s[10:11], 1
	s_cmp_lt_i32 s48, 0x9800
	v_add_co_u32 v5, vcc_lo, v1, s10
	s_cselect_b32 s18, s49, 0x4b80
	v_add_co_ci_u32_e32 v6, vcc_lo, s11, v3, vcc_lo
	s_ashr_i32 s19, s18, 31
	s_delay_alu instid0(SALU_CYCLE_1)
	s_lshl_b64 s[18:19], s[18:19], 1
	s_cmp_lt_i32 s48, 0x9900
	v_add_co_u32 v7, vcc_lo, v1, s18
	s_cselect_b32 s20, s49, 0x4c00
	v_add_co_ci_u32_e32 v8, vcc_lo, s19, v3, vcc_lo
	s_ashr_i32 s21, s20, 31
	global_load_u16 v16, v[5:6], off
	s_lshl_b64 s[20:21], s[20:21], 1
	global_load_u16 v37, v[7:8], off
	s_cmp_lt_i32 s48, 0x9a00
	v_add_co_u32 v9, vcc_lo, v1, s20
	s_cselect_b32 s22, s49, 0x4c80
	v_add_co_ci_u32_e32 v10, vcc_lo, s21, v3, vcc_lo
	s_ashr_i32 s23, s22, 31
	s_delay_alu instid0(SALU_CYCLE_1)
	s_lshl_b64 s[22:23], s[22:23], 1
	s_cmp_lt_i32 s48, 0x9b00
	v_add_co_u32 v11, vcc_lo, v1, s22
	s_cselect_b32 s4, s49, 0x4d00
	v_add_co_ci_u32_e32 v12, vcc_lo, s23, v3, vcc_lo
	s_ashr_i32 s5, s4, 31
	s_delay_alu instid0(SALU_CYCLE_1)
	s_lshl_b64 s[4:5], s[4:5], 1
	s_cmp_lt_i32 s48, 0x9c00
	v_add_co_u32 v13, vcc_lo, v1, s4
	s_cselect_b32 s6, s49, 0x4d80
	v_add_co_ci_u32_e32 v14, vcc_lo, s5, v3, vcc_lo
	s_ashr_i32 s7, s6, 31
	s_clause 0x2
	global_load_u16 v38, v[9:10], off
	global_load_u16 v39, v[11:12], off
	;; [unrolled: 1-line block ×3, first 2 shown]
	s_lshl_b64 s[6:7], s[6:7], 1
	s_cmp_lt_i32 s48, 0x9d00
	v_add_co_u32 v5, vcc_lo, v1, s6
	s_cselect_b32 s8, s49, 0x4e00
	v_add_co_ci_u32_e32 v6, vcc_lo, s7, v3, vcc_lo
	s_ashr_i32 s9, s8, 31
	s_delay_alu instid0(SALU_CYCLE_1)
	s_lshl_b64 s[4:5], s[8:9], 1
	s_cmp_lt_i32 s48, 0x9e00
	v_add_co_u32 v7, vcc_lo, v1, s4
	s_cselect_b32 s8, s49, 0x4e80
	v_add_co_ci_u32_e32 v8, vcc_lo, s5, v3, vcc_lo
	s_ashr_i32 s9, s8, 31
	global_load_u16 v14, v[5:6], off
	s_lshl_b64 s[8:9], s[8:9], 1
	s_cmp_lt_i32 s48, 0x9f00
	v_add_co_u32 v9, vcc_lo, v1, s8
	s_cselect_b32 s6, s49, 0x4f00
	v_add_co_ci_u32_e32 v10, vcc_lo, s9, v3, vcc_lo
	s_ashr_i32 s7, s6, 31
	s_clause 0x1
	global_load_u16 v40, v[7:8], off
	global_load_u16 v41, v[9:10], off
	s_lshl_b64 s[4:5], s[6:7], 1
	s_cmp_lt_i32 s48, 0xa000
	v_add_co_u32 v5, vcc_lo, v1, s4
	s_cselect_b32 s6, s49, 0x4f80
	v_add_co_ci_u32_e32 v6, vcc_lo, s5, v3, vcc_lo
	s_ashr_i32 s7, s6, 31
	s_delay_alu instid0(SALU_CYCLE_1) | instskip(NEXT) | instid1(SALU_CYCLE_1)
	s_lshl_b64 s[4:5], s[6:7], 1
	v_add_co_u32 v7, vcc_lo, v1, s4
	v_add_co_ci_u32_e32 v8, vcc_lo, s5, v3, vcc_lo
	s_clause 0x1
	global_load_u16 v42, v[5:6], off
	global_load_u16 v43, v[7:8], off
	ds_load_b128 v[5:8], v44 offset:512
	ds_load_b128 v[9:12], v44 offset:528
	s_waitcnt vmcnt(31) lgkmcnt(1)
	v_fma_mix_f32 v2, v5, v2, v4 op_sel_hi:[0,1,0]
	s_waitcnt vmcnt(30)
	s_delay_alu instid0(VALU_DEP_1) | instskip(SKIP_1) | instid1(VALU_DEP_1)
	v_fma_mix_f32 v2, v6, v21, v2 op_sel_hi:[0,1,0]
	s_waitcnt vmcnt(29)
	v_fma_mix_f32 v2, v7, v22, v2 op_sel_hi:[0,1,0]
	ds_load_b128 v[4:7], v44 offset:544
	s_waitcnt vmcnt(28)
	v_fma_mix_f32 v2, v8, v23, v2 op_sel_hi:[0,1,0]
	s_waitcnt vmcnt(27) lgkmcnt(1)
	s_delay_alu instid0(VALU_DEP_1) | instskip(SKIP_1) | instid1(VALU_DEP_1)
	v_fma_mix_f32 v2, v9, v24, v2 op_sel_hi:[0,1,0]
	s_waitcnt vmcnt(26)
	v_fma_mix_f32 v2, v10, v25, v2 op_sel_hi:[0,1,0]
	s_waitcnt vmcnt(25)
	s_delay_alu instid0(VALU_DEP_1) | instskip(SKIP_4) | instid1(VALU_DEP_1)
	v_fma_mix_f32 v2, v11, v26, v2 op_sel_hi:[0,1,0]
	ds_load_b128 v[8:11], v44 offset:560
	s_waitcnt vmcnt(24)
	v_fma_mix_f32 v2, v12, v27, v2 op_sel_hi:[0,1,0]
	s_waitcnt vmcnt(23) lgkmcnt(1)
	v_fma_mix_f32 v2, v4, v28, v2 op_sel_hi:[0,1,0]
	s_waitcnt vmcnt(22)
	s_delay_alu instid0(VALU_DEP_1) | instskip(SKIP_1) | instid1(VALU_DEP_1)
	v_fma_mix_f32 v2, v5, v29, v2 op_sel_hi:[0,1,0]
	s_waitcnt vmcnt(21)
	v_fma_mix_f32 v2, v6, v30, v2 op_sel_hi:[0,1,0]
	s_waitcnt vmcnt(20)
	s_delay_alu instid0(VALU_DEP_1) | instskip(SKIP_4) | instid1(VALU_DEP_1)
	v_fma_mix_f32 v2, v7, v31, v2 op_sel_hi:[0,1,0]
	ds_load_b128 v[4:7], v44 offset:576
	s_waitcnt vmcnt(19) lgkmcnt(1)
	v_fma_mix_f32 v2, v8, v32, v2 op_sel_hi:[0,1,0]
	s_waitcnt vmcnt(18)
	v_fma_mix_f32 v2, v9, v33, v2 op_sel_hi:[0,1,0]
	s_waitcnt vmcnt(17)
	s_delay_alu instid0(VALU_DEP_1) | instskip(SKIP_1) | instid1(VALU_DEP_1)
	v_fma_mix_f32 v2, v10, v17, v2 op_sel_hi:[0,1,0]
	s_waitcnt vmcnt(16)
	v_fma_mix_f32 v2, v11, v18, v2 op_sel_hi:[0,1,0]
	ds_load_b128 v[8:11], v44 offset:592
	s_waitcnt vmcnt(15) lgkmcnt(1)
	v_fma_mix_f32 v2, v4, v19, v2 op_sel_hi:[0,1,0]
	s_waitcnt vmcnt(14)
	s_delay_alu instid0(VALU_DEP_1) | instskip(SKIP_1) | instid1(VALU_DEP_1)
	v_fma_mix_f32 v2, v5, v20, v2 op_sel_hi:[0,1,0]
	s_waitcnt vmcnt(13)
	v_fma_mix_f32 v2, v6, v34, v2 op_sel_hi:[0,1,0]
	s_waitcnt vmcnt(12)
	s_delay_alu instid0(VALU_DEP_1) | instskip(SKIP_4) | instid1(VALU_DEP_1)
	v_fma_mix_f32 v2, v7, v35, v2 op_sel_hi:[0,1,0]
	ds_load_b128 v[4:7], v44 offset:608
	s_waitcnt vmcnt(11) lgkmcnt(1)
	v_fma_mix_f32 v2, v8, v36, v2 op_sel_hi:[0,1,0]
	s_waitcnt vmcnt(10)
	v_fma_mix_f32 v2, v9, v15, v2 op_sel_hi:[0,1,0]
	s_waitcnt vmcnt(9)
	s_delay_alu instid0(VALU_DEP_1) | instskip(SKIP_1) | instid1(VALU_DEP_1)
	v_fma_mix_f32 v2, v10, v16, v2 op_sel_hi:[0,1,0]
	s_waitcnt vmcnt(8)
	v_fma_mix_f32 v2, v11, v37, v2 op_sel_hi:[0,1,0]
	ds_load_b128 v[8:11], v44 offset:624
	s_waitcnt vmcnt(7) lgkmcnt(1)
	v_fma_mix_f32 v2, v4, v38, v2 op_sel_hi:[0,1,0]
	s_waitcnt vmcnt(6)
	s_delay_alu instid0(VALU_DEP_1) | instskip(SKIP_1) | instid1(VALU_DEP_1)
	v_fma_mix_f32 v2, v5, v39, v2 op_sel_hi:[0,1,0]
	s_waitcnt vmcnt(5)
	v_fma_mix_f32 v2, v6, v13, v2 op_sel_hi:[0,1,0]
	s_waitcnt vmcnt(4)
	s_delay_alu instid0(VALU_DEP_1) | instskip(SKIP_1) | instid1(VALU_DEP_1)
	v_fma_mix_f32 v2, v7, v14, v2 op_sel_hi:[0,1,0]
	s_waitcnt vmcnt(3) lgkmcnt(0)
	v_fma_mix_f32 v2, v8, v40, v2 op_sel_hi:[0,1,0]
	s_waitcnt vmcnt(2)
	s_delay_alu instid0(VALU_DEP_1) | instskip(SKIP_1) | instid1(VALU_DEP_1)
	v_fma_mix_f32 v2, v9, v41, v2 op_sel_hi:[0,1,0]
	s_waitcnt vmcnt(1)
	v_fma_mix_f32 v2, v10, v42, v2 op_sel_hi:[0,1,0]
	s_waitcnt vmcnt(0)
	s_delay_alu instid0(VALU_DEP_1)
	v_fma_mix_f32 v4, v11, v43, v2 op_sel_hi:[0,1,0]
	s_load_b64 s[0:1], s[0:1], 0x0
	s_cmp_lt_i32 s48, 0xa100
	s_cbranch_scc1 .LBB215_17
.LBB215_26:
	s_cmp_lt_i32 s48, 0xa200
	v_add_co_u32 v5, vcc_lo, 0xa000, v1
	s_cselect_b32 s4, s49, 0x5080
	v_add_co_ci_u32_e32 v6, vcc_lo, 0, v3, vcc_lo
	s_ashr_i32 s5, s4, 31
	v_mov_b32_e32 v45, 0
	s_lshl_b64 s[4:5], s[4:5], 1
	s_cmp_lt_i32 s48, 0xa300
	v_add_co_u32 v7, vcc_lo, v1, s4
	s_cselect_b32 s6, s49, 0x5100
	v_add_co_ci_u32_e32 v8, vcc_lo, s5, v3, vcc_lo
	s_ashr_i32 s7, s6, 31
	s_delay_alu instid0(SALU_CYCLE_1)
	s_lshl_b64 s[6:7], s[6:7], 1
	s_cmp_lt_i32 s48, 0xa400
	v_add_co_u32 v9, vcc_lo, v1, s6
	s_cselect_b32 s8, s49, 0x5180
	v_add_co_ci_u32_e32 v10, vcc_lo, s7, v3, vcc_lo
	s_ashr_i32 s9, s8, 31
	s_delay_alu instid0(SALU_CYCLE_1)
	;; [unrolled: 7-line block ×6, first 2 shown]
	s_lshl_b64 s[26:27], s[18:19], 1
	s_cmp_lt_i32 s48, 0xa900
	v_add_co_u32 v19, vcc_lo, v1, s26
	s_cselect_b32 s18, s49, 0x5400
	v_add_co_ci_u32_e32 v20, vcc_lo, s27, v3, vcc_lo
	s_ashr_i32 s19, s18, 31
	s_clause 0x7
	global_load_u16 v21, v[5:6], off
	global_load_u16 v22, v[7:8], off
	;; [unrolled: 1-line block ×8, first 2 shown]
	s_lshl_b64 s[18:19], s[18:19], 1
	s_cmp_lt_i32 s48, 0xaa00
	v_add_co_u32 v5, vcc_lo, v1, s18
	s_cselect_b32 s24, s49, 0x5480
	v_add_co_ci_u32_e32 v6, vcc_lo, s19, v3, vcc_lo
	s_ashr_i32 s25, s24, 31
	s_delay_alu instid0(SALU_CYCLE_1)
	s_lshl_b64 s[24:25], s[24:25], 1
	s_cmp_lt_i32 s48, 0xab00
	v_add_co_u32 v7, vcc_lo, v1, s24
	s_cselect_b32 s28, s49, 0x5500
	v_add_co_ci_u32_e32 v8, vcc_lo, s25, v3, vcc_lo
	s_ashr_i32 s29, s28, 31
	s_delay_alu instid0(SALU_CYCLE_1)
	;; [unrolled: 7-line block ×7, first 2 shown]
	s_lshl_b64 s[44:45], s[36:37], 1
	s_cmp_lt_i32 s48, 0xb100
	v_add_co_u32 v19, vcc_lo, v1, s44
	s_cselect_b32 s36, s49, 0x5800
	v_add_co_ci_u32_e32 v20, vcc_lo, s45, v3, vcc_lo
	s_ashr_i32 s37, s36, 31
	s_clause 0x7
	global_load_u16 v29, v[5:6], off
	global_load_u16 v30, v[7:8], off
	;; [unrolled: 1-line block ×8, first 2 shown]
	s_lshl_b64 s[36:37], s[36:37], 1
	s_cmp_lt_i32 s48, 0xb200
	v_add_co_u32 v5, vcc_lo, v1, s36
	s_cselect_b32 s42, s49, 0x5880
	v_add_co_ci_u32_e32 v6, vcc_lo, s37, v3, vcc_lo
	s_ashr_i32 s43, s42, 31
	s_delay_alu instid0(SALU_CYCLE_1)
	s_lshl_b64 s[42:43], s[42:43], 1
	s_cmp_lt_i32 s48, 0xb300
	v_add_co_u32 v7, vcc_lo, v1, s42
	s_cselect_b32 s46, s49, 0x5900
	v_add_co_ci_u32_e32 v8, vcc_lo, s43, v3, vcc_lo
	s_ashr_i32 s47, s46, 31
	s_delay_alu instid0(SALU_CYCLE_1)
	;; [unrolled: 7-line block ×5, first 2 shown]
	s_lshl_b64 s[8:9], s[8:9], 1
	s_cmp_lt_i32 s48, 0xb700
	v_add_co_u32 v15, vcc_lo, v1, s8
	s_cselect_b32 s10, s49, 0x5b00
	v_add_co_ci_u32_e32 v16, vcc_lo, s9, v3, vcc_lo
	s_ashr_i32 s11, s10, 31
	s_clause 0x5
	global_load_u16 v19, v[5:6], off
	global_load_u16 v20, v[7:8], off
	;; [unrolled: 1-line block ×6, first 2 shown]
	s_lshl_b64 s[10:11], s[10:11], 1
	s_cmp_lt_i32 s48, 0xb800
	v_add_co_u32 v5, vcc_lo, v1, s10
	s_cselect_b32 s18, s49, 0x5b80
	v_add_co_ci_u32_e32 v6, vcc_lo, s11, v3, vcc_lo
	s_ashr_i32 s19, s18, 31
	s_delay_alu instid0(SALU_CYCLE_1)
	s_lshl_b64 s[18:19], s[18:19], 1
	s_cmp_lt_i32 s48, 0xb900
	v_add_co_u32 v7, vcc_lo, v1, s18
	s_cselect_b32 s20, s49, 0x5c00
	v_add_co_ci_u32_e32 v8, vcc_lo, s19, v3, vcc_lo
	s_ashr_i32 s21, s20, 31
	global_load_u16 v16, v[5:6], off
	s_lshl_b64 s[20:21], s[20:21], 1
	global_load_u16 v38, v[7:8], off
	s_cmp_lt_i32 s48, 0xba00
	v_add_co_u32 v9, vcc_lo, v1, s20
	s_cselect_b32 s22, s49, 0x5c80
	v_add_co_ci_u32_e32 v10, vcc_lo, s21, v3, vcc_lo
	s_ashr_i32 s23, s22, 31
	s_delay_alu instid0(SALU_CYCLE_1)
	s_lshl_b64 s[22:23], s[22:23], 1
	s_cmp_lt_i32 s48, 0xbb00
	v_add_co_u32 v11, vcc_lo, v1, s22
	s_cselect_b32 s4, s49, 0x5d00
	v_add_co_ci_u32_e32 v12, vcc_lo, s23, v3, vcc_lo
	s_ashr_i32 s5, s4, 31
	s_delay_alu instid0(SALU_CYCLE_1)
	s_lshl_b64 s[4:5], s[4:5], 1
	s_cmp_lt_i32 s48, 0xbc00
	v_add_co_u32 v13, vcc_lo, v1, s4
	s_cselect_b32 s6, s49, 0x5d80
	v_add_co_ci_u32_e32 v14, vcc_lo, s5, v3, vcc_lo
	s_ashr_i32 s7, s6, 31
	s_clause 0x2
	global_load_u16 v39, v[9:10], off
	global_load_u16 v40, v[11:12], off
	;; [unrolled: 1-line block ×3, first 2 shown]
	s_lshl_b64 s[6:7], s[6:7], 1
	s_cmp_lt_i32 s48, 0xbd00
	v_add_co_u32 v5, vcc_lo, v1, s6
	s_cselect_b32 s8, s49, 0x5e00
	v_add_co_ci_u32_e32 v6, vcc_lo, s7, v3, vcc_lo
	s_ashr_i32 s9, s8, 31
	s_delay_alu instid0(SALU_CYCLE_1)
	s_lshl_b64 s[4:5], s[8:9], 1
	s_cmp_lt_i32 s48, 0xbe00
	v_add_co_u32 v7, vcc_lo, v1, s4
	s_cselect_b32 s8, s49, 0x5e80
	v_add_co_ci_u32_e32 v8, vcc_lo, s5, v3, vcc_lo
	s_ashr_i32 s9, s8, 31
	global_load_u16 v14, v[5:6], off
	s_lshl_b64 s[8:9], s[8:9], 1
	s_cmp_lt_i32 s48, 0xbf00
	v_add_co_u32 v9, vcc_lo, v1, s8
	s_cselect_b32 s6, s49, 0x5f00
	v_add_co_ci_u32_e32 v10, vcc_lo, s9, v3, vcc_lo
	s_ashr_i32 s7, s6, 31
	s_clause 0x1
	global_load_u16 v41, v[7:8], off
	global_load_u16 v42, v[9:10], off
	s_lshl_b64 s[4:5], s[6:7], 1
	s_cmp_lt_i32 s48, 0xc000
	v_add_co_u32 v5, vcc_lo, v1, s4
	s_cselect_b32 s6, s49, 0x5f80
	v_add_co_ci_u32_e32 v6, vcc_lo, s5, v3, vcc_lo
	s_ashr_i32 s7, s6, 31
	s_delay_alu instid0(SALU_CYCLE_1) | instskip(NEXT) | instid1(SALU_CYCLE_1)
	s_lshl_b64 s[4:5], s[6:7], 1
	v_add_co_u32 v1, vcc_lo, v1, s4
	v_add_co_ci_u32_e32 v2, vcc_lo, s5, v3, vcc_lo
	s_clause 0x1
	global_load_u16 v43, v[5:6], off
	global_load_u16 v44, v[1:2], off
	ds_load_b128 v[5:8], v45 offset:640
	ds_load_b128 v[9:12], v45 offset:656
	s_waitcnt vmcnt(31) lgkmcnt(0)
	v_fma_mix_f32 v1, v5, v21, v4 op_sel_hi:[0,1,0]
	s_waitcnt vmcnt(30)
	s_delay_alu instid0(VALU_DEP_1) | instskip(SKIP_1) | instid1(VALU_DEP_1)
	v_fma_mix_f32 v1, v6, v22, v1 op_sel_hi:[0,1,0]
	s_waitcnt vmcnt(29)
	v_fma_mix_f32 v1, v7, v23, v1 op_sel_hi:[0,1,0]
	s_waitcnt vmcnt(28)
	s_delay_alu instid0(VALU_DEP_1) | instskip(SKIP_1) | instid1(VALU_DEP_1)
	v_fma_mix_f32 v1, v8, v24, v1 op_sel_hi:[0,1,0]
	s_waitcnt vmcnt(27)
	v_fma_mix_f32 v5, v9, v25, v1 op_sel_hi:[0,1,0]
	ds_load_b128 v[1:4], v45 offset:672
	s_waitcnt vmcnt(26)
	v_fma_mix_f32 v5, v10, v26, v5 op_sel_hi:[0,1,0]
	s_waitcnt vmcnt(25)
	s_delay_alu instid0(VALU_DEP_1) | instskip(SKIP_1) | instid1(VALU_DEP_1)
	v_fma_mix_f32 v5, v11, v27, v5 op_sel_hi:[0,1,0]
	s_waitcnt vmcnt(24)
	v_fma_mix_f32 v9, v12, v28, v5 op_sel_hi:[0,1,0]
	ds_load_b128 v[5:8], v45 offset:688
	s_waitcnt vmcnt(23) lgkmcnt(1)
	v_fma_mix_f32 v1, v1, v29, v9 op_sel_hi:[0,1,0]
	s_waitcnt vmcnt(22)
	s_delay_alu instid0(VALU_DEP_1) | instskip(SKIP_1) | instid1(VALU_DEP_1)
	v_fma_mix_f32 v1, v2, v30, v1 op_sel_hi:[0,1,0]
	s_waitcnt vmcnt(21)
	v_fma_mix_f32 v1, v3, v31, v1 op_sel_hi:[0,1,0]
	s_waitcnt vmcnt(20)
	s_delay_alu instid0(VALU_DEP_1) | instskip(SKIP_1) | instid1(VALU_DEP_1)
	v_fma_mix_f32 v1, v4, v32, v1 op_sel_hi:[0,1,0]
	s_waitcnt vmcnt(19) lgkmcnt(0)
	v_fma_mix_f32 v5, v5, v33, v1 op_sel_hi:[0,1,0]
	ds_load_b128 v[1:4], v45 offset:704
	s_waitcnt vmcnt(18)
	v_fma_mix_f32 v5, v6, v34, v5 op_sel_hi:[0,1,0]
	s_waitcnt vmcnt(17)
	s_delay_alu instid0(VALU_DEP_1) | instskip(SKIP_1) | instid1(VALU_DEP_1)
	v_fma_mix_f32 v5, v7, v17, v5 op_sel_hi:[0,1,0]
	s_waitcnt vmcnt(16)
	v_fma_mix_f32 v9, v8, v18, v5 op_sel_hi:[0,1,0]
	ds_load_b128 v[5:8], v45 offset:720
	s_waitcnt vmcnt(15) lgkmcnt(1)
	v_fma_mix_f32 v1, v1, v19, v9 op_sel_hi:[0,1,0]
	s_waitcnt vmcnt(14)
	s_delay_alu instid0(VALU_DEP_1) | instskip(SKIP_1) | instid1(VALU_DEP_1)
	v_fma_mix_f32 v1, v2, v20, v1 op_sel_hi:[0,1,0]
	s_waitcnt vmcnt(13)
	v_fma_mix_f32 v1, v3, v35, v1 op_sel_hi:[0,1,0]
	s_waitcnt vmcnt(12)
	s_delay_alu instid0(VALU_DEP_1) | instskip(SKIP_1) | instid1(VALU_DEP_1)
	v_fma_mix_f32 v1, v4, v36, v1 op_sel_hi:[0,1,0]
	s_waitcnt vmcnt(11) lgkmcnt(0)
	;; [unrolled: 21-line block ×3, first 2 shown]
	v_fma_mix_f32 v1, v5, v41, v1 op_sel_hi:[0,1,0]
	s_waitcnt vmcnt(2)
	s_delay_alu instid0(VALU_DEP_1) | instskip(SKIP_1) | instid1(VALU_DEP_1)
	v_fma_mix_f32 v1, v6, v42, v1 op_sel_hi:[0,1,0]
	s_waitcnt vmcnt(1)
	v_fma_mix_f32 v1, v7, v43, v1 op_sel_hi:[0,1,0]
	s_waitcnt vmcnt(0)
	s_delay_alu instid0(VALU_DEP_1)
	v_fma_mix_f32 v4, v8, v44, v1 op_sel_hi:[0,1,0]
	v_mov_b32_e32 v1, 0
	s_and_not1_b32 vcc_lo, exec_lo, s15
	ds_load_b32 v1, v1 offset:768
	s_cbranch_vccz .LBB215_18
	s_branch .LBB215_19
	.section	.rodata,"a",@progbits
	.p2align	6, 0x0
	.amdhsa_kernel _Z35paged_attention_ll4mi_reduce_kernelIDF16_hLi128ELi128ELi256ELi6EEvPT0_PKfS3_PKT_PKiS8_iS3_
		.amdhsa_group_segment_fixed_size 772
		.amdhsa_private_segment_fixed_size 0
		.amdhsa_kernarg_size 320
		.amdhsa_user_sgpr_count 14
		.amdhsa_user_sgpr_dispatch_ptr 0
		.amdhsa_user_sgpr_queue_ptr 0
		.amdhsa_user_sgpr_kernarg_segment_ptr 1
		.amdhsa_user_sgpr_dispatch_id 0
		.amdhsa_user_sgpr_private_segment_size 0
		.amdhsa_wavefront_size32 1
		.amdhsa_uses_dynamic_stack 0
		.amdhsa_enable_private_segment 0
		.amdhsa_system_sgpr_workgroup_id_x 1
		.amdhsa_system_sgpr_workgroup_id_y 1
		.amdhsa_system_sgpr_workgroup_id_z 0
		.amdhsa_system_sgpr_workgroup_info 0
		.amdhsa_system_vgpr_workitem_id 0
		.amdhsa_next_free_vgpr 48
		.amdhsa_next_free_sgpr 52
		.amdhsa_reserve_vcc 1
		.amdhsa_float_round_mode_32 0
		.amdhsa_float_round_mode_16_64 0
		.amdhsa_float_denorm_mode_32 3
		.amdhsa_float_denorm_mode_16_64 3
		.amdhsa_dx10_clamp 1
		.amdhsa_ieee_mode 1
		.amdhsa_fp16_overflow 0
		.amdhsa_workgroup_processor_mode 1
		.amdhsa_memory_ordered 1
		.amdhsa_forward_progress 0
		.amdhsa_shared_vgpr_count 0
		.amdhsa_exception_fp_ieee_invalid_op 0
		.amdhsa_exception_fp_denorm_src 0
		.amdhsa_exception_fp_ieee_div_zero 0
		.amdhsa_exception_fp_ieee_overflow 0
		.amdhsa_exception_fp_ieee_underflow 0
		.amdhsa_exception_fp_ieee_inexact 0
		.amdhsa_exception_int_div_zero 0
	.end_amdhsa_kernel
	.section	.text._Z35paged_attention_ll4mi_reduce_kernelIDF16_hLi128ELi128ELi256ELi6EEvPT0_PKfS3_PKT_PKiS8_iS3_,"axG",@progbits,_Z35paged_attention_ll4mi_reduce_kernelIDF16_hLi128ELi128ELi256ELi6EEvPT0_PKfS3_PKT_PKiS8_iS3_,comdat
.Lfunc_end215:
	.size	_Z35paged_attention_ll4mi_reduce_kernelIDF16_hLi128ELi128ELi256ELi6EEvPT0_PKfS3_PKT_PKiS8_iS3_, .Lfunc_end215-_Z35paged_attention_ll4mi_reduce_kernelIDF16_hLi128ELi128ELi256ELi6EEvPT0_PKfS3_PKT_PKiS8_iS3_
                                        ; -- End function
	.section	.AMDGPU.csdata,"",@progbits
; Kernel info:
; codeLenInByte = 14004
; NumSgprs: 54
; NumVgprs: 48
; ScratchSize: 0
; MemoryBound: 0
; FloatMode: 240
; IeeeMode: 1
; LDSByteSize: 772 bytes/workgroup (compile time only)
; SGPRBlocks: 6
; VGPRBlocks: 5
; NumSGPRsForWavesPerEU: 54
; NumVGPRsForWavesPerEU: 48
; Occupancy: 16
; WaveLimiterHint : 0
; COMPUTE_PGM_RSRC2:SCRATCH_EN: 0
; COMPUTE_PGM_RSRC2:USER_SGPR: 14
; COMPUTE_PGM_RSRC2:TRAP_HANDLER: 0
; COMPUTE_PGM_RSRC2:TGID_X_EN: 1
; COMPUTE_PGM_RSRC2:TGID_Y_EN: 1
; COMPUTE_PGM_RSRC2:TGID_Z_EN: 0
; COMPUTE_PGM_RSRC2:TIDIG_COMP_CNT: 0
	.section	.text._Z35paged_attention_ll4mi_reduce_kernelIDF16_hLi128ELi128ELi256ELi7EEvPT0_PKfS3_PKT_PKiS8_iS3_,"axG",@progbits,_Z35paged_attention_ll4mi_reduce_kernelIDF16_hLi128ELi128ELi256ELi7EEvPT0_PKfS3_PKT_PKiS8_iS3_,comdat
	.protected	_Z35paged_attention_ll4mi_reduce_kernelIDF16_hLi128ELi128ELi256ELi7EEvPT0_PKfS3_PKT_PKiS8_iS3_ ; -- Begin function _Z35paged_attention_ll4mi_reduce_kernelIDF16_hLi128ELi128ELi256ELi7EEvPT0_PKfS3_PKT_PKiS8_iS3_
	.globl	_Z35paged_attention_ll4mi_reduce_kernelIDF16_hLi128ELi128ELi256ELi7EEvPT0_PKfS3_PKT_PKiS8_iS3_
	.p2align	8
	.type	_Z35paged_attention_ll4mi_reduce_kernelIDF16_hLi128ELi128ELi256ELi7EEvPT0_PKfS3_PKT_PKiS8_iS3_,@function
_Z35paged_attention_ll4mi_reduce_kernelIDF16_hLi128ELi128ELi256ELi7EEvPT0_PKfS3_PKT_PKiS8_iS3_: ; @_Z35paged_attention_ll4mi_reduce_kernelIDF16_hLi128ELi128ELi256ELi7EEvPT0_PKfS3_PKT_PKiS8_iS3_
; %bb.0:
	s_load_b64 s[12:13], s[0:1], 0x28
	s_mov_b32 s2, s15
	s_waitcnt lgkmcnt(0)
	s_cmp_lg_u64 s[12:13], 0
	s_cselect_b32 s15, -1, 0
	s_delay_alu instid0(SALU_CYCLE_1)
	s_and_b32 vcc_lo, exec_lo, s15
	s_cbranch_vccz .LBB216_20
; %bb.1:
	s_add_i32 s4, s2, 1
	s_mov_b32 s5, 0
	s_delay_alu instid0(SALU_CYCLE_1) | instskip(SKIP_4) | instid1(SALU_CYCLE_1)
	s_lshl_b64 s[6:7], s[4:5], 2
	s_mov_b32 s3, s5
	s_add_u32 s6, s12, s6
	s_addc_u32 s7, s13, s7
	s_lshl_b64 s[8:9], s[2:3], 2
	s_add_u32 s8, s12, s8
	s_addc_u32 s9, s13, s9
	s_clause 0x1
	s_load_b32 s4, s[6:7], 0x0
	s_load_b32 s6, s[8:9], 0x0
	s_waitcnt lgkmcnt(0)
	s_sub_i32 s4, s4, s6
	s_delay_alu instid0(SALU_CYCLE_1)
	s_cmp_eq_u32 s4, 1
	s_cselect_b32 s4, -1, 0
	s_cbranch_execnz .LBB216_3
.LBB216_2:
	s_mov_b32 s3, 0
	s_mov_b32 s4, -1
.LBB216_3:
	s_delay_alu instid0(SALU_CYCLE_1)
	s_and_not1_b32 vcc_lo, exec_lo, s4
	s_cbranch_vccz .LBB216_5
; %bb.4:
	s_endpgm
.LBB216_5:
	s_clause 0x1
	s_load_b128 s[4:7], s[0:1], 0x18
	s_load_b32 s9, s[0:1], 0x30
	s_lshl_b64 s[16:17], s[2:3], 2
	s_waitcnt lgkmcnt(0)
	s_add_u32 s6, s6, s16
	s_addc_u32 s7, s7, s17
	s_load_b32 s23, s[6:7], 0x0
	s_load_b32 s33, s[0:1], 0x40
	s_mul_i32 s7, s2, s9
	s_waitcnt lgkmcnt(0)
	s_add_i32 s22, s23, 0xff
	s_delay_alu instid0(SALU_CYCLE_1) | instskip(NEXT) | instid1(SALU_CYCLE_1)
	s_ashr_i32 s6, s22, 31
	s_lshr_b32 s6, s6, 24
	s_delay_alu instid0(SALU_CYCLE_1) | instskip(SKIP_4) | instid1(SALU_CYCLE_1)
	s_add_i32 s8, s22, s6
	s_mul_i32 s6, s14, s9
	s_mov_b32 s9, exec_lo
	v_cmpx_lt_u32_e32 31, v0
	s_xor_b32 s9, exec_lo, s9
	s_or_saveexec_b32 s24, s9
	v_mov_b32_e32 v1, s6
	s_ashr_i32 s40, s8, 8
	s_mul_i32 s18, s7, s33
	s_xor_b32 exec_lo, exec_lo, s24
	s_cbranch_execz .LBB216_9
; %bb.6:
	v_or_b32_e32 v2, 32, v0
	v_cmp_gt_i32_e32 vcc_lo, s40, v0
	s_add_i32 s20, s40, -1
	v_or_b32_e32 v4, 64, v0
	v_or_b32_e32 v6, 0xa0, v0
	s_load_b128 s[8:11], s[0:1], 0x8
	v_cndmask_b32_e32 v1, s20, v0, vcc_lo
	v_cmp_gt_i32_e32 vcc_lo, s40, v2
	s_mov_b32 s19, 0
	s_delay_alu instid0(SALU_CYCLE_1)
	s_mov_b32 s7, s19
	v_cndmask_b32_e32 v3, s20, v2, vcc_lo
	v_or_b32_e32 v2, 0x60, v0
	v_cmp_gt_i32_e32 vcc_lo, s40, v4
	v_cndmask_b32_e32 v5, s20, v4, vcc_lo
	v_or_b32_e32 v4, 0x80, v0
	s_delay_alu instid0(VALU_DEP_4) | instskip(SKIP_1) | instid1(VALU_DEP_3)
	v_cmp_gt_i32_e32 vcc_lo, s40, v2
	v_cndmask_b32_e32 v7, s20, v2, vcc_lo
	v_cmp_gt_i32_e32 vcc_lo, s40, v4
	v_or_b32_e32 v2, 0xc0, v0
	s_delay_alu instid0(VALU_DEP_3) | instskip(SKIP_3) | instid1(VALU_DEP_4)
	v_ashrrev_i32_e32 v8, 31, v7
	v_cndmask_b32_e32 v9, s20, v4, vcc_lo
	v_cmp_gt_i32_e32 vcc_lo, s40, v6
	v_ashrrev_i32_e32 v4, 31, v3
	v_lshlrev_b64 v[7:8], 2, v[7:8]
	s_delay_alu instid0(VALU_DEP_4)
	v_ashrrev_i32_e32 v10, 31, v9
	v_cndmask_b32_e32 v11, s20, v6, vcc_lo
	v_cmp_gt_i32_e32 vcc_lo, s40, v2
	v_ashrrev_i32_e32 v6, 31, v5
	v_lshlrev_b64 v[3:4], 2, v[3:4]
	v_lshlrev_b64 v[9:10], 2, v[9:10]
	v_ashrrev_i32_e32 v12, 31, v11
	v_cndmask_b32_e32 v13, s20, v2, vcc_lo
	v_ashrrev_i32_e32 v2, 31, v1
	s_lshl_b64 s[20:21], s[18:19], 2
	v_lshlrev_b64 v[5:6], 2, v[5:6]
	s_waitcnt lgkmcnt(0)
	s_add_u32 s19, s10, s20
	s_addc_u32 s25, s11, s21
	v_lshlrev_b64 v[1:2], 2, v[1:2]
	s_lshl_b64 s[10:11], s[6:7], 2
	v_lshlrev_b64 v[11:12], 2, v[11:12]
	s_add_u32 s7, s19, s10
	s_addc_u32 s19, s25, s11
	s_delay_alu instid0(VALU_DEP_2)
	v_add_co_u32 v14, vcc_lo, s7, v1
	v_add_co_ci_u32_e32 v15, vcc_lo, s19, v2, vcc_lo
	v_add_co_u32 v16, vcc_lo, s7, v3
	v_add_co_ci_u32_e32 v17, vcc_lo, s19, v4, vcc_lo
	;; [unrolled: 2-line block ×3, first 2 shown]
	s_clause 0x2
	global_load_b32 v23, v[14:15], off
	global_load_b32 v24, v[16:17], off
	;; [unrolled: 1-line block ×3, first 2 shown]
	v_ashrrev_i32_e32 v14, 31, v13
	v_add_co_u32 v15, vcc_lo, s7, v7
	v_add_co_ci_u32_e32 v16, vcc_lo, s19, v8, vcc_lo
	v_add_co_u32 v17, vcc_lo, s7, v9
	s_delay_alu instid0(VALU_DEP_4) | instskip(SKIP_3) | instid1(VALU_DEP_4)
	v_lshlrev_b64 v[13:14], 2, v[13:14]
	v_add_co_ci_u32_e32 v18, vcc_lo, s19, v10, vcc_lo
	v_add_co_u32 v19, vcc_lo, s7, v11
	v_add_co_ci_u32_e32 v20, vcc_lo, s19, v12, vcc_lo
	v_add_co_u32 v21, vcc_lo, s7, v13
	v_add_co_ci_u32_e32 v22, vcc_lo, s19, v14, vcc_lo
	s_clause 0x3
	global_load_b32 v15, v[15:16], off
	global_load_b32 v16, v[17:18], off
	;; [unrolled: 1-line block ×4, first 2 shown]
	s_add_u32 s7, s8, s20
	s_addc_u32 s8, s9, s21
	s_add_u32 s7, s7, s10
	s_addc_u32 s8, s8, s11
	v_add_co_u32 v1, vcc_lo, s7, v1
	v_add_co_ci_u32_e32 v2, vcc_lo, s8, v2, vcc_lo
	v_add_co_u32 v3, vcc_lo, s7, v3
	v_add_co_ci_u32_e32 v4, vcc_lo, s8, v4, vcc_lo
	;; [unrolled: 2-line block ×5, first 2 shown]
	s_clause 0x4
	global_load_b32 v19, v[1:2], off
	global_load_b32 v3, v[3:4], off
	;; [unrolled: 1-line block ×5, first 2 shown]
	v_add_co_u32 v1, vcc_lo, s7, v11
	v_add_co_ci_u32_e32 v2, vcc_lo, s8, v12, vcc_lo
	global_load_b32 v7, v[1:2], off
	v_add_co_u32 v1, vcc_lo, s7, v13
	v_add_co_ci_u32_e32 v2, vcc_lo, s8, v14, vcc_lo
	s_mov_b32 s7, exec_lo
	global_load_b32 v1, v[1:2], off
	v_mbcnt_lo_u32_b32 v2, -1, 0
	s_delay_alu instid0(VALU_DEP_1)
	v_xor_b32_e32 v8, 16, v2
	v_xor_b32_e32 v11, 8, v2
	v_xor_b32_e32 v12, 4, v2
	v_xor_b32_e32 v13, 2, v2
	v_xor_b32_e32 v14, 1, v2
	v_cmp_gt_i32_e32 vcc_lo, 32, v8
	v_cndmask_b32_e32 v8, v2, v8, vcc_lo
	v_cmp_gt_i32_e32 vcc_lo, 32, v11
	v_cndmask_b32_e32 v11, v2, v11, vcc_lo
	;; [unrolled: 2-line block ×4, first 2 shown]
	v_cmp_gt_i32_e32 vcc_lo, 32, v14
	s_delay_alu instid0(VALU_DEP_2) | instskip(NEXT) | instid1(VALU_DEP_1)
	v_dual_cndmask_b32 v2, v2, v14 :: v_dual_lshlrev_b32 v13, 2, v13
	v_lshlrev_b32_e32 v2, 2, v2
	v_lshlrev_b32_e32 v11, 2, v11
	;; [unrolled: 1-line block ×3, first 2 shown]
	s_waitcnt vmcnt(11)
	v_max3_f32 v9, v23, v24, v25
	s_waitcnt vmcnt(9)
	s_delay_alu instid0(VALU_DEP_1) | instskip(SKIP_1) | instid1(VALU_DEP_1)
	v_max3_f32 v9, v9, v15, v16
	s_waitcnt vmcnt(7)
	v_max3_f32 v9, v9, v17, v18
	ds_bpermute_b32 v10, v8, v9
	s_waitcnt lgkmcnt(0)
	v_max_f32_e32 v10, v10, v10
	s_delay_alu instid0(VALU_DEP_1) | instskip(SKIP_3) | instid1(VALU_DEP_1)
	v_max_f32_e32 v9, v9, v10
	ds_bpermute_b32 v10, v11, v9
	s_waitcnt lgkmcnt(0)
	v_max_f32_e32 v10, v10, v10
	v_dual_max_f32 v9, v9, v10 :: v_dual_lshlrev_b32 v12, 2, v12
	ds_bpermute_b32 v10, v12, v9
	s_waitcnt lgkmcnt(0)
	v_max_f32_e32 v10, v10, v10
	s_delay_alu instid0(VALU_DEP_1) | instskip(SKIP_3) | instid1(VALU_DEP_1)
	v_max_f32_e32 v9, v9, v10
	ds_bpermute_b32 v10, v13, v9
	s_waitcnt lgkmcnt(0)
	v_max_f32_e32 v10, v10, v10
	v_max_f32_e32 v9, v9, v10
	ds_bpermute_b32 v10, v2, v9
	s_waitcnt lgkmcnt(0)
	v_max_f32_e32 v10, v10, v10
	s_delay_alu instid0(VALU_DEP_1) | instskip(SKIP_1) | instid1(VALU_DEP_2)
	v_max_f32_e32 v9, v9, v10
	v_sub_nc_u32_e32 v10, s40, v0
	v_sub_f32_e32 v20, v24, v9
	v_sub_f32_e32 v21, v25, v9
	;; [unrolled: 1-line block ×4, first 2 shown]
	s_delay_alu instid0(VALU_DEP_4) | instskip(NEXT) | instid1(VALU_DEP_3)
	v_dual_sub_f32 v17, v17, v9 :: v_dual_mul_f32 v22, 0x3fb8aa3b, v20
	v_mul_f32_e32 v24, 0x3fb8aa3b, v15
	s_delay_alu instid0(VALU_DEP_3) | instskip(NEXT) | instid1(VALU_DEP_3)
	v_cmp_ngt_f32_e32 vcc_lo, 0xc2ce8ed0, v14
	v_rndne_f32_e32 v31, v22
	v_mul_f32_e32 v23, 0x3fb8aa3b, v21
	v_fma_f32 v30, 0x3fb8aa3b, v20, -v22
	v_fma_f32 v34, 0x3fb8aa3b, v15, -v24
	v_rndne_f32_e32 v35, v24
	v_sub_f32_e32 v22, v22, v31
	v_fma_f32 v32, 0x3fb8aa3b, v21, -v23
	v_rndne_f32_e32 v33, v23
	v_fmac_f32_e32 v34, 0x32a5705f, v15
	v_sub_f32_e32 v24, v24, v35
	v_fmac_f32_e32 v30, 0x32a5705f, v20
	v_fmac_f32_e32 v32, 0x32a5705f, v21
	v_sub_f32_e32 v23, v23, v33
	v_sub_f32_e32 v16, v16, v9
	v_dual_sub_f32 v9, v18, v9 :: v_dual_mul_f32 v18, 0x3fb8aa3b, v14
	v_cvt_i32_f32_e32 v31, v31
	s_delay_alu instid0(VALU_DEP_4) | instskip(NEXT) | instid1(VALU_DEP_4)
	v_add_f32_e32 v23, v23, v32
	v_dual_mul_f32 v25, 0x3fb8aa3b, v16 :: v_dual_add_f32 v24, v24, v34
	s_delay_alu instid0(VALU_DEP_4) | instskip(SKIP_1) | instid1(VALU_DEP_4)
	v_fma_f32 v28, 0x3fb8aa3b, v14, -v18
	v_rndne_f32_e32 v29, v18
	v_exp_f32_e32 v23, v23
	s_delay_alu instid0(VALU_DEP_3) | instskip(SKIP_4) | instid1(VALU_DEP_4)
	v_fma_f32 v36, 0x3fb8aa3b, v16, -v25
	v_rndne_f32_e32 v37, v25
	v_fmac_f32_e32 v28, 0x32a5705f, v14
	v_mul_f32_e32 v26, 0x3fb8aa3b, v17
	v_sub_f32_e32 v18, v18, v29
	v_dual_fmac_f32 v36, 0x32a5705f, v16 :: v_dual_sub_f32 v25, v25, v37
	v_cvt_i32_f32_e32 v29, v29
	s_delay_alu instid0(VALU_DEP_4)
	v_rndne_f32_e32 v39, v26
	v_mul_f32_e32 v27, 0x3fb8aa3b, v9
	v_fma_f32 v38, 0x3fb8aa3b, v17, -v26
	v_add_f32_e32 v25, v25, v36
	v_add_f32_e32 v18, v18, v28
	v_sub_f32_e32 v26, v26, v39
	v_rndne_f32_e32 v41, v27
	v_fma_f32 v40, 0x3fb8aa3b, v9, -v27
	v_exp_f32_e32 v25, v25
	v_cvt_i32_f32_e32 v28, v37
	v_exp_f32_e32 v18, v18
	v_sub_f32_e32 v27, v27, v41
	v_cvt_i32_f32_e32 v33, v33
	v_exp_f32_e32 v24, v24
	v_cvt_i32_f32_e32 v35, v35
	v_cvt_i32_f32_e32 v32, v41
	s_delay_alu instid0(VALU_DEP_3) | instskip(NEXT) | instid1(TRANS32_DEP_3)
	v_ldexp_f32 v23, v23, v33
	v_ldexp_f32 v25, v25, v28
	v_add_f32_e32 v22, v22, v30
	s_delay_alu instid0(TRANS32_DEP_2) | instskip(SKIP_1) | instid1(TRANS32_DEP_1)
	v_ldexp_f32 v18, v18, v29
	v_cvt_i32_f32_e32 v30, v39
	v_ldexp_f32 v24, v24, v35
	s_delay_alu instid0(VALU_DEP_4) | instskip(NEXT) | instid1(VALU_DEP_3)
	v_exp_f32_e32 v22, v22
	v_cndmask_b32_e32 v18, 0, v18, vcc_lo
	v_cmp_ngt_f32_e32 vcc_lo, 0xc2ce8ed0, v20
	s_waitcnt_depctr 0xfff
	v_ldexp_f32 v22, v22, v31
	s_delay_alu instid0(VALU_DEP_1) | instskip(SKIP_3) | instid1(VALU_DEP_2)
	v_cndmask_b32_e32 v22, 0, v22, vcc_lo
	v_cmp_ngt_f32_e32 vcc_lo, 0xc2ce8ed0, v21
	v_dual_fmac_f32 v40, 0x32a5705f, v9 :: v_dual_cndmask_b32 v23, 0, v23
	v_cmp_ngt_f32_e32 vcc_lo, 0xc2ce8ed0, v15
	v_dual_fmac_f32 v38, 0x32a5705f, v17 :: v_dual_add_f32 v27, v27, v40
	v_cndmask_b32_e32 v24, 0, v24, vcc_lo
	v_cmp_ngt_f32_e32 vcc_lo, 0xc2ce8ed0, v16
	s_delay_alu instid0(VALU_DEP_3)
	v_exp_f32_e32 v27, v27
	v_cndmask_b32_e32 v25, 0, v25, vcc_lo
	v_cmp_nlt_f32_e32 vcc_lo, 0x42b17218, v14
	v_cndmask_b32_e32 v14, 0x7f800000, v18, vcc_lo
	v_cmp_nlt_f32_e32 vcc_lo, 0x42b17218, v20
	;; [unrolled: 2-line block ×4, first 2 shown]
	v_dual_add_f32 v26, v26, v38 :: v_dual_cndmask_b32 v15, 0x7f800000, v24
	v_cmp_nlt_f32_e32 vcc_lo, 0x42b17218, v16
	s_delay_alu instid0(VALU_DEP_2)
	v_exp_f32_e32 v26, v26
	v_cndmask_b32_e32 v16, 0x7f800000, v25, vcc_lo
	v_cmp_lt_i32_e32 vcc_lo, 0, v10
	v_cndmask_b32_e32 v14, 0, v14, vcc_lo
	v_cmp_lt_i32_e32 vcc_lo, 32, v10
	s_waitcnt_depctr 0xfff
	v_ldexp_f32 v26, v26, v30
	v_cndmask_b32_e32 v18, 0, v18, vcc_lo
	v_cmp_lt_i32_e32 vcc_lo, 64, v10
	v_cndmask_b32_e32 v20, 0, v20, vcc_lo
	v_cmp_lt_i32_e32 vcc_lo, 0x60, v10
	;; [unrolled: 2-line block ×3, first 2 shown]
	s_waitcnt vmcnt(3)
	s_delay_alu instid0(VALU_DEP_2) | instskip(SKIP_2) | instid1(VALU_DEP_2)
	v_dual_mul_f32 v5, v5, v15 :: v_dual_cndmask_b32 v16, 0, v16
	v_cmp_ngt_f32_e32 vcc_lo, 0xc2ce8ed0, v17
	s_waitcnt vmcnt(2)
	v_dual_mul_f32 v6, v6, v16 :: v_dual_cndmask_b32 v15, 0, v26
	v_cmp_nlt_f32_e32 vcc_lo, 0x42b17218, v17
	v_mul_f32_e32 v4, v4, v20
	v_ldexp_f32 v16, v27, v32
	s_delay_alu instid0(VALU_DEP_4) | instskip(SKIP_1) | instid1(VALU_DEP_3)
	v_cndmask_b32_e32 v15, 0x7f800000, v15, vcc_lo
	v_cmp_ngt_f32_e32 vcc_lo, 0xc2ce8ed0, v9
	v_cndmask_b32_e32 v16, 0, v16, vcc_lo
	v_cmp_lt_i32_e32 vcc_lo, 0xa0, v10
	s_delay_alu instid0(VALU_DEP_4) | instskip(SKIP_3) | instid1(VALU_DEP_3)
	v_cndmask_b32_e32 v15, 0, v15, vcc_lo
	v_cmp_nlt_f32_e32 vcc_lo, 0x42b17218, v9
	v_mul_f32_e32 v14, v19, v14
	s_waitcnt vmcnt(1)
	v_mul_f32_e32 v7, v7, v15
	v_cndmask_b32_e32 v9, 0x7f800000, v16, vcc_lo
	v_cmp_lt_i32_e32 vcc_lo, 0xc0, v10
	s_delay_alu instid0(VALU_DEP_2) | instskip(SKIP_2) | instid1(VALU_DEP_1)
	v_cndmask_b32_e32 v9, 0, v9, vcc_lo
	v_mul_f32_e32 v3, v3, v18
	s_waitcnt vmcnt(0)
	v_dual_mul_f32 v9, v1, v9 :: v_dual_add_f32 v18, v14, v3
	s_delay_alu instid0(VALU_DEP_1) | instskip(NEXT) | instid1(VALU_DEP_1)
	v_add_f32_e32 v17, v18, v4
	v_add_f32_e32 v16, v17, v5
	s_delay_alu instid0(VALU_DEP_1) | instskip(NEXT) | instid1(VALU_DEP_1)
	v_add_f32_e32 v10, v16, v6
	v_add_f32_e32 v1, v10, v7
	s_delay_alu instid0(VALU_DEP_1)
	v_add_f32_e32 v1, v1, v9
	ds_bpermute_b32 v8, v8, v1
	s_waitcnt lgkmcnt(0)
	v_add_f32_e32 v1, v1, v8
	ds_bpermute_b32 v8, v11, v1
	s_waitcnt lgkmcnt(0)
	;; [unrolled: 3-line block ×4, first 2 shown]
	v_add_f32_e32 v1, v1, v8
	v_lshlrev_b32_e32 v8, 2, v0
	ds_store_2addr_b32 v8, v14, v3 offset1:32
	ds_store_2addr_b32 v8, v4, v5 offset0:64 offset1:96
	ds_store_2addr_b32 v8, v6, v7 offset0:128 offset1:160
	ds_store_b32 v8, v9 offset:768
	ds_bpermute_b32 v2, v2, v1
	v_cmpx_eq_u32_e32 0, v0
	s_cbranch_execz .LBB216_8
; %bb.7:
	s_waitcnt lgkmcnt(0)
	v_dual_add_f32 v1, v1, v2 :: v_dual_mov_b32 v2, 0
	ds_store_b32 v2, v1 offset:896
.LBB216_8:
	s_or_b32 exec_lo, exec_lo, s7
	v_mov_b32_e32 v1, s6
.LBB216_9:
	s_or_b32 exec_lo, exec_lo, s24
	s_lshl_b32 s6, s18, 7
	s_mov_b32 s7, 0
	s_waitcnt lgkmcnt(0)
	v_dual_mov_b32 v2, 0 :: v_dual_lshlrev_b32 v1, 7, v1
	s_lshl_b64 s[6:7], s[6:7], 1
	v_dual_mov_b32 v29, 0 :: v_dual_mov_b32 v30, 0
	s_add_u32 s34, s4, s6
	s_addc_u32 s35, s5, s7
	s_lshl_b32 s41, s40, 7
	v_lshlrev_b64 v[3:4], 1, v[1:2]
	s_add_i32 s42, s41, 0xffffff80
	s_cmpk_lt_i32 s22, 0x100
	v_lshlrev_b32_e32 v1, 1, v0
	s_cselect_b32 s4, s42, 0
	v_dual_mov_b32 v31, 0 :: v_dual_mov_b32 v32, 0
	s_ashr_i32 s5, s4, 31
	v_add_co_u32 v3, vcc_lo, s34, v3
	s_lshl_b64 s[4:5], s[4:5], 1
	s_cmpk_lt_i32 s22, 0x200
	v_add_co_ci_u32_e32 v4, vcc_lo, s35, v4, vcc_lo
	s_cselect_b32 s6, s42, 0x80
	v_add_co_u32 v1, vcc_lo, v3, v1
	s_ashr_i32 s7, s6, 31
	s_delay_alu instid0(VALU_DEP_2)
	v_add_co_ci_u32_e32 v3, vcc_lo, 0, v4, vcc_lo
	s_lshl_b64 s[6:7], s[6:7], 1
	s_cmpk_lt_i32 s22, 0x300
	v_add_co_u32 v4, vcc_lo, v1, s4
	s_cselect_b32 s8, s42, 0x100
	v_add_co_ci_u32_e32 v5, vcc_lo, s5, v3, vcc_lo
	s_ashr_i32 s9, s8, 31
	v_add_co_u32 v8, vcc_lo, v1, s6
	s_lshl_b64 s[8:9], s[8:9], 1
	s_cmpk_lt_i32 s22, 0x400
	v_add_co_ci_u32_e32 v9, vcc_lo, s7, v3, vcc_lo
	s_cselect_b32 s10, s42, 0x180
	v_add_co_u32 v10, vcc_lo, v1, s8
	s_ashr_i32 s11, s10, 31
	v_add_co_ci_u32_e32 v11, vcc_lo, s9, v3, vcc_lo
	s_lshl_b64 s[10:11], s[10:11], 1
	s_cmpk_lt_i32 s22, 0x500
	v_add_co_u32 v12, vcc_lo, v1, s10
	s_cselect_b32 s18, s42, 0x200
	v_add_co_ci_u32_e32 v13, vcc_lo, s11, v3, vcc_lo
	s_ashr_i32 s19, s18, 31
	v_dual_mov_b32 v33, 0 :: v_dual_mov_b32 v34, 0
	s_lshl_b64 s[18:19], s[18:19], 1
	s_cmpk_lt_i32 s22, 0x600
	v_add_co_u32 v14, vcc_lo, v1, s18
	s_cselect_b32 s20, s42, 0x280
	v_add_co_ci_u32_e32 v15, vcc_lo, s19, v3, vcc_lo
	s_ashr_i32 s21, s20, 31
	v_mov_b32_e32 v35, 0
	s_lshl_b64 s[20:21], s[20:21], 1
	s_cmpk_lt_i32 s22, 0x700
	v_add_co_u32 v16, vcc_lo, v1, s20
	s_cselect_b32 s24, s42, 0x300
	v_add_co_ci_u32_e32 v17, vcc_lo, s21, v3, vcc_lo
	s_ashr_i32 s25, s24, 31
	s_delay_alu instid0(SALU_CYCLE_1)
	s_lshl_b64 s[24:25], s[24:25], 1
	s_cmpk_lt_i32 s22, 0x800
	v_add_co_u32 v18, vcc_lo, v1, s24
	s_cselect_b32 s26, s42, 0x380
	v_add_co_ci_u32_e32 v19, vcc_lo, s25, v3, vcc_lo
	s_ashr_i32 s27, s26, 31
	s_delay_alu instid0(SALU_CYCLE_1)
	s_lshl_b64 s[26:27], s[26:27], 1
	s_cmpk_lt_i32 s22, 0x900
	v_add_co_u32 v20, vcc_lo, v1, s26
	s_cselect_b32 s28, s42, 0x400
	v_add_co_ci_u32_e32 v21, vcc_lo, s27, v3, vcc_lo
	s_ashr_i32 s29, s28, 31
	s_clause 0x7
	global_load_u16 v7, v[4:5], off
	global_load_u16 v8, v[8:9], off
	;; [unrolled: 1-line block ×8, first 2 shown]
	s_lshl_b64 s[28:29], s[28:29], 1
	s_cmpk_lt_i32 s22, 0xa00
	v_add_co_u32 v12, vcc_lo, v1, s28
	s_cselect_b32 s30, s42, 0x480
	v_add_co_ci_u32_e32 v13, vcc_lo, s29, v3, vcc_lo
	s_ashr_i32 s31, s30, 31
	s_delay_alu instid0(SALU_CYCLE_1)
	s_lshl_b64 s[30:31], s[30:31], 1
	s_cmpk_lt_i32 s22, 0xb00
	v_add_co_u32 v15, vcc_lo, v1, s30
	s_cselect_b32 s34, s42, 0x500
	v_add_co_ci_u32_e32 v16, vcc_lo, s31, v3, vcc_lo
	s_ashr_i32 s35, s34, 31
	s_delay_alu instid0(SALU_CYCLE_1)
	;; [unrolled: 7-line block ×7, first 2 shown]
	s_lshl_b64 s[4:5], s[6:7], 1
	s_cmpk_gt_i32 s23, 0x1000
	v_add_co_u32 v27, vcc_lo, v1, s4
	v_add_co_ci_u32_e32 v28, vcc_lo, s5, v3, vcc_lo
	s_clause 0x7
	global_load_u16 v14, v[12:13], off
	global_load_u16 v15, v[15:16], off
	;; [unrolled: 1-line block ×8, first 2 shown]
	v_dual_mov_b32 v20, 0 :: v_dual_mov_b32 v21, 0
	v_dual_mov_b32 v22, 0 :: v_dual_mov_b32 v23, 0
	;; [unrolled: 1-line block ×4, first 2 shown]
	v_mov_b32_e32 v28, 0
	s_cselect_b32 s8, -1, 0
	s_cmpk_lt_i32 s23, 0x1001
	s_waitcnt vmcnt(0)
	s_barrier
	buffer_gl0_inv
	s_cbranch_scc1 .LBB216_11
; %bb.10:
	s_cmpk_lt_i32 s22, 0x1100
	s_cselect_b32 s4, s42, 0x800
	s_delay_alu instid0(SALU_CYCLE_1) | instskip(NEXT) | instid1(SALU_CYCLE_1)
	s_ashr_i32 s5, s4, 31
	s_lshl_b64 s[4:5], s[4:5], 1
	s_cmpk_lt_i32 s22, 0x1200
	v_add_co_u32 v20, vcc_lo, v1, s4
	s_cselect_b32 s6, s42, 0x880
	v_add_co_ci_u32_e32 v21, vcc_lo, s5, v3, vcc_lo
	s_ashr_i32 s7, s6, 31
	s_delay_alu instid0(SALU_CYCLE_1)
	s_lshl_b64 s[6:7], s[6:7], 1
	s_cmpk_lt_i32 s22, 0x1300
	v_add_co_u32 v22, vcc_lo, v1, s6
	s_cselect_b32 s10, s42, 0x900
	v_add_co_ci_u32_e32 v23, vcc_lo, s7, v3, vcc_lo
	s_ashr_i32 s11, s10, 31
	s_delay_alu instid0(SALU_CYCLE_1)
	;; [unrolled: 7-line block ×7, first 2 shown]
	s_lshl_b64 s[28:29], s[28:29], 1
	s_cmpk_lt_i32 s22, 0x1900
	v_add_co_u32 v34, vcc_lo, v1, s28
	s_cselect_b32 s30, s42, 0xc00
	v_add_co_ci_u32_e32 v35, vcc_lo, s29, v3, vcc_lo
	s_ashr_i32 s31, s30, 31
	s_clause 0x7
	global_load_u16 v36, v[20:21], off
	global_load_u16 v37, v[22:23], off
	;; [unrolled: 1-line block ×8, first 2 shown]
	s_lshl_b64 s[30:31], s[30:31], 1
	s_cmpk_lt_i32 s22, 0x1a00
	v_add_co_u32 v20, vcc_lo, v1, s30
	s_cselect_b32 s34, s42, 0xc80
	v_add_co_ci_u32_e32 v21, vcc_lo, s31, v3, vcc_lo
	s_ashr_i32 s35, s34, 31
	s_delay_alu instid0(SALU_CYCLE_1)
	s_lshl_b64 s[34:35], s[34:35], 1
	s_cmpk_lt_i32 s22, 0x1b00
	v_add_co_u32 v22, vcc_lo, v1, s34
	s_cselect_b32 s36, s42, 0xd00
	v_add_co_ci_u32_e32 v23, vcc_lo, s35, v3, vcc_lo
	s_ashr_i32 s37, s36, 31
	s_delay_alu instid0(SALU_CYCLE_1)
	;; [unrolled: 7-line block ×6, first 2 shown]
	s_lshl_b64 s[4:5], s[20:21], 1
	s_cmpk_lt_i32 s22, 0x2000
	v_add_co_u32 v32, vcc_lo, v1, s4
	s_cselect_b32 s6, s42, 0xf80
	v_add_co_ci_u32_e32 v33, vcc_lo, s5, v3, vcc_lo
	s_ashr_i32 s7, s6, 31
	s_delay_alu instid0(SALU_CYCLE_1) | instskip(NEXT) | instid1(SALU_CYCLE_1)
	s_lshl_b64 s[4:5], s[6:7], 1
	v_add_co_u32 v34, vcc_lo, v1, s4
	v_add_co_ci_u32_e32 v35, vcc_lo, s5, v3, vcc_lo
	s_clause 0x7
	global_load_u16 v20, v[20:21], off
	global_load_u16 v21, v[22:23], off
	;; [unrolled: 1-line block ×8, first 2 shown]
	s_waitcnt vmcnt(15)
	v_cvt_f32_f16_e32 v35, v36
	s_waitcnt vmcnt(14)
	v_cvt_f32_f16_e32 v34, v37
	;; [unrolled: 2-line block ×16, first 2 shown]
.LBB216_11:
	ds_load_b128 v[36:39], v2
	ds_load_b128 v[40:43], v2 offset:16
	s_load_b64 s[0:1], s[0:1], 0x0
	s_and_b32 vcc_lo, exec_lo, s8
	s_waitcnt lgkmcnt(0)
	v_fma_mix_f32 v7, v36, v7, 0 op_sel_hi:[0,1,0]
	s_delay_alu instid0(VALU_DEP_1) | instskip(NEXT) | instid1(VALU_DEP_1)
	v_fma_mix_f32 v7, v37, v8, v7 op_sel_hi:[0,1,0]
	v_fma_mix_f32 v7, v38, v9, v7 op_sel_hi:[0,1,0]
	s_delay_alu instid0(VALU_DEP_1) | instskip(SKIP_4) | instid1(VALU_DEP_1)
	v_fma_mix_f32 v7, v39, v10, v7 op_sel_hi:[0,1,0]
	ds_load_b128 v[36:39], v2 offset:48
	v_fma_mix_f32 v11, v40, v11, v7 op_sel_hi:[0,1,0]
	ds_load_b128 v[7:10], v2 offset:32
	v_fma_mix_f32 v4, v41, v4, v11 op_sel_hi:[0,1,0]
	v_fma_mix_f32 v4, v42, v5, v4 op_sel_hi:[0,1,0]
	s_delay_alu instid0(VALU_DEP_1) | instskip(SKIP_1) | instid1(VALU_DEP_1)
	v_fma_mix_f32 v4, v43, v6, v4 op_sel_hi:[0,1,0]
	s_waitcnt lgkmcnt(0)
	v_fma_mix_f32 v4, v7, v14, v4 op_sel_hi:[0,1,0]
	s_delay_alu instid0(VALU_DEP_1) | instskip(NEXT) | instid1(VALU_DEP_1)
	v_fma_mix_f32 v4, v8, v15, v4 op_sel_hi:[0,1,0]
	v_fma_mix_f32 v4, v9, v16, v4 op_sel_hi:[0,1,0]
	s_delay_alu instid0(VALU_DEP_1) | instskip(NEXT) | instid1(VALU_DEP_1)
	v_fma_mix_f32 v4, v10, v17, v4 op_sel_hi:[0,1,0]
	;; [unrolled: 3-line block ×3, first 2 shown]
	v_fma_mix_f32 v4, v38, v13, v4 op_sel_hi:[0,1,0]
	s_delay_alu instid0(VALU_DEP_1)
	v_fma_mix_f32 v4, v39, v19, v4 op_sel_hi:[0,1,0]
	s_cbranch_vccz .LBB216_13
; %bb.12:
	ds_load_b128 v[5:8], v2 offset:64
	ds_load_b128 v[9:12], v2 offset:80
	s_waitcnt lgkmcnt(1)
	v_fmac_f32_e32 v4, v5, v35
	s_delay_alu instid0(VALU_DEP_1) | instskip(NEXT) | instid1(VALU_DEP_1)
	v_fmac_f32_e32 v4, v6, v34
	v_fmac_f32_e32 v4, v7, v33
	s_delay_alu instid0(VALU_DEP_1) | instskip(SKIP_3) | instid1(VALU_DEP_1)
	v_fmac_f32_e32 v4, v8, v32
	ds_load_b128 v[5:8], v2 offset:96
	s_waitcnt lgkmcnt(1)
	v_fmac_f32_e32 v4, v9, v31
	v_fmac_f32_e32 v4, v10, v30
	s_delay_alu instid0(VALU_DEP_1) | instskip(NEXT) | instid1(VALU_DEP_1)
	v_fmac_f32_e32 v4, v11, v29
	v_fmac_f32_e32 v4, v12, v28
	ds_load_b128 v[9:12], v2 offset:112
	s_waitcnt lgkmcnt(1)
	v_fmac_f32_e32 v4, v5, v27
	s_delay_alu instid0(VALU_DEP_1) | instskip(NEXT) | instid1(VALU_DEP_1)
	v_fmac_f32_e32 v4, v6, v26
	v_fmac_f32_e32 v4, v7, v25
	s_delay_alu instid0(VALU_DEP_1) | instskip(SKIP_1) | instid1(VALU_DEP_1)
	v_fmac_f32_e32 v4, v8, v24
	s_waitcnt lgkmcnt(0)
	v_fmac_f32_e32 v4, v9, v23
	s_delay_alu instid0(VALU_DEP_1) | instskip(NEXT) | instid1(VALU_DEP_1)
	v_fmac_f32_e32 v4, v10, v22
	v_fmac_f32_e32 v4, v11, v21
	s_delay_alu instid0(VALU_DEP_1)
	v_fmac_f32_e32 v4, v12, v20
.LBB216_13:
	s_movk_i32 s43, 0x1f80
	s_movk_i32 s44, 0x80
	s_mov_b32 s45, 32
	s_branch .LBB216_15
.LBB216_14:                             ;   in Loop: Header=BB216_15 Depth=1
	s_addk_i32 s43, 0x1000
	s_addk_i32 s44, 0x80
	s_add_i32 s45, s45, 32
	s_cmpk_eq_i32 s43, 0x7f80
	s_cbranch_scc1 .LBB216_17
.LBB216_15:                             ; =>This Inner Loop Header: Depth=1
	s_cmp_le_i32 s40, s45
	s_cbranch_scc1 .LBB216_14
; %bb.16:                               ;   in Loop: Header=BB216_15 Depth=1
	s_add_i32 s4, s43, 0xfffff080
	v_mov_b32_e32 v44, s44
	s_cmp_lt_i32 s4, s41
	s_cselect_b32 s4, s4, s42
	s_add_i32 s6, s43, 0xfffff100
	s_ashr_i32 s5, s4, 31
	s_delay_alu instid0(SALU_CYCLE_1)
	s_lshl_b64 s[4:5], s[4:5], 1
	s_cmp_lt_i32 s6, s41
	v_add_co_u32 v5, vcc_lo, v1, s4
	s_cselect_b32 s6, s6, s42
	s_add_i32 s10, s43, 0xfffff180
	s_ashr_i32 s7, s6, 31
	v_add_co_ci_u32_e32 v6, vcc_lo, s5, v3, vcc_lo
	s_lshl_b64 s[8:9], s[6:7], 1
	s_cmp_lt_i32 s10, s41
	v_add_co_u32 v7, vcc_lo, v1, s8
	s_cselect_b32 s6, s10, s42
	s_add_i32 s10, s43, 0xfffff200
	s_ashr_i32 s7, s6, 31
	v_add_co_ci_u32_e32 v8, vcc_lo, s9, v3, vcc_lo
	;; [unrolled: 7-line block ×8, first 2 shown]
	s_lshl_b64 s[24:25], s[20:21], 1
	s_cmp_lt_i32 s28, s41
	s_clause 0x7
	global_load_u16 v2, v[5:6], off
	global_load_u16 v21, v[7:8], off
	;; [unrolled: 1-line block ×8, first 2 shown]
	s_cselect_b32 s20, s28, s42
	s_add_i32 s28, s43, 0xfffff580
	s_ashr_i32 s21, s20, 31
	v_add_co_u32 v5, vcc_lo, v1, s24
	s_lshl_b64 s[20:21], s[20:21], 1
	s_cmp_lt_i32 s28, s41
	v_add_co_ci_u32_e32 v6, vcc_lo, s25, v3, vcc_lo
	s_cselect_b32 s28, s28, s42
	s_add_i32 s36, s43, 0xfffff600
	s_ashr_i32 s29, s28, 31
	v_add_co_u32 v7, vcc_lo, v1, s20
	s_lshl_b64 s[30:31], s[28:29], 1
	s_cmp_lt_i32 s36, s41
	v_add_co_ci_u32_e32 v8, vcc_lo, s21, v3, vcc_lo
	;; [unrolled: 7-line block ×8, first 2 shown]
	s_cselect_b32 s10, s10, s42
	s_add_i32 s18, s43, 0xfffff980
	s_ashr_i32 s11, s10, 31
	s_clause 0x7
	global_load_u16 v28, v[5:6], off
	global_load_u16 v29, v[7:8], off
	;; [unrolled: 1-line block ×8, first 2 shown]
	s_lshl_b64 s[10:11], s[10:11], 1
	s_cmp_lt_i32 s18, s41
	v_add_co_u32 v5, vcc_lo, v1, s4
	s_cselect_b32 s18, s18, s42
	s_add_i32 s22, s43, 0xfffffa00
	s_ashr_i32 s19, s18, 31
	v_add_co_ci_u32_e32 v6, vcc_lo, s5, v3, vcc_lo
	s_lshl_b64 s[18:19], s[18:19], 1
	s_cmp_lt_i32 s22, s41
	v_add_co_u32 v7, vcc_lo, v1, s10
	s_cselect_b32 s20, s22, s42
	s_add_i32 s22, s43, 0xfffffa80
	s_ashr_i32 s21, s20, 31
	v_add_co_ci_u32_e32 v8, vcc_lo, s11, v3, vcc_lo
	;; [unrolled: 7-line block ×5, first 2 shown]
	s_lshl_b64 s[6:7], s[6:7], 1
	s_cmp_lt_i32 s24, s41
	s_clause 0x4
	global_load_u16 v19, v[5:6], off
	global_load_u16 v20, v[7:8], off
	;; [unrolled: 1-line block ×5, first 2 shown]
	s_cselect_b32 s4, s24, s42
	s_add_i32 s10, s43, 0xfffffc80
	s_ashr_i32 s5, s4, 31
	v_add_co_u32 v5, vcc_lo, v1, s8
	s_lshl_b64 s[4:5], s[4:5], 1
	s_cmp_lt_i32 s10, s41
	v_add_co_ci_u32_e32 v6, vcc_lo, s9, v3, vcc_lo
	s_cselect_b32 s10, s10, s42
	s_add_i32 s18, s43, 0xfffffd00
	s_ashr_i32 s11, s10, 31
	v_add_co_u32 v7, vcc_lo, v1, s6
	s_lshl_b64 s[10:11], s[10:11], 1
	s_cmp_lt_i32 s18, s41
	v_add_co_ci_u32_e32 v8, vcc_lo, s7, v3, vcc_lo
	s_cselect_b32 s18, s18, s42
	s_add_i32 s20, s43, 0xfffffd80
	s_ashr_i32 s19, s18, 31
	v_add_co_u32 v9, vcc_lo, v1, s4
	s_lshl_b64 s[18:19], s[18:19], 1
	s_cmp_lt_i32 s20, s41
	global_load_u16 v37, v[5:6], off
	s_cselect_b32 s8, s20, s42
	s_add_i32 s20, s43, 0xfffffe00
	s_ashr_i32 s9, s8, 31
	v_add_co_ci_u32_e32 v10, vcc_lo, s5, v3, vcc_lo
	s_lshl_b64 s[6:7], s[8:9], 1
	s_cmp_lt_i32 s20, s41
	v_add_co_u32 v11, vcc_lo, v1, s10
	s_cselect_b32 s4, s20, s42
	s_clause 0x1
	global_load_u16 v38, v[7:8], off
	global_load_u16 v39, v[9:10], off
	v_add_co_ci_u32_e32 v12, vcc_lo, s11, v3, vcc_lo
	s_ashr_i32 s5, s4, 31
	s_add_i32 s8, s43, 0xfffffe80
	v_add_co_u32 v13, vcc_lo, v1, s18
	s_lshl_b64 s[4:5], s[4:5], 1
	s_cmp_lt_i32 s8, s41
	v_add_co_ci_u32_e32 v14, vcc_lo, s19, v3, vcc_lo
	v_add_co_u32 v15, vcc_lo, v1, s6
	s_cselect_b32 s8, s8, s42
	v_add_co_ci_u32_e32 v16, vcc_lo, s7, v3, vcc_lo
	s_ashr_i32 s9, s8, 31
	s_add_i32 s10, s43, 0xffffff00
	s_lshl_b64 s[6:7], s[8:9], 1
	s_clause 0x2
	global_load_u16 v40, v[11:12], off
	global_load_u16 v13, v[13:14], off
	;; [unrolled: 1-line block ×3, first 2 shown]
	s_cmp_lt_i32 s10, s41
	v_add_co_u32 v5, vcc_lo, v1, s4
	s_cselect_b32 s8, s10, s42
	s_add_i32 s10, s43, 0xffffff80
	s_ashr_i32 s9, s8, 31
	v_add_co_ci_u32_e32 v6, vcc_lo, s5, v3, vcc_lo
	s_lshl_b64 s[8:9], s[8:9], 1
	s_cmp_lt_i32 s10, s41
	v_add_co_u32 v7, vcc_lo, v1, s6
	s_cselect_b32 s4, s10, s42
	v_add_co_ci_u32_e32 v8, vcc_lo, s7, v3, vcc_lo
	s_ashr_i32 s5, s4, 31
	v_add_co_u32 v9, vcc_lo, v1, s8
	global_load_u16 v15, v[5:6], off
	s_lshl_b64 s[4:5], s[4:5], 1
	v_add_co_ci_u32_e32 v10, vcc_lo, s9, v3, vcc_lo
	s_cmp_lt_i32 s43, s41
	s_clause 0x1
	global_load_u16 v16, v[7:8], off
	global_load_u16 v41, v[9:10], off
	s_cselect_b32 s6, s43, s42
	v_add_co_u32 v5, vcc_lo, v1, s4
	s_ashr_i32 s7, s6, 31
	v_add_co_ci_u32_e32 v6, vcc_lo, s5, v3, vcc_lo
	s_lshl_b64 s[4:5], s[6:7], 1
	s_delay_alu instid0(SALU_CYCLE_1)
	v_add_co_u32 v7, vcc_lo, v1, s4
	v_add_co_ci_u32_e32 v8, vcc_lo, s5, v3, vcc_lo
	s_clause 0x1
	global_load_u16 v42, v[5:6], off
	global_load_u16 v43, v[7:8], off
	ds_load_b128 v[5:8], v44
	ds_load_b128 v[9:12], v44 offset:16
	s_waitcnt vmcnt(31) lgkmcnt(1)
	v_fma_mix_f32 v2, v5, v2, v4 op_sel_hi:[0,1,0]
	s_waitcnt vmcnt(30)
	s_delay_alu instid0(VALU_DEP_1) | instskip(SKIP_1) | instid1(VALU_DEP_1)
	v_fma_mix_f32 v2, v6, v21, v2 op_sel_hi:[0,1,0]
	s_waitcnt vmcnt(29)
	v_fma_mix_f32 v2, v7, v22, v2 op_sel_hi:[0,1,0]
	ds_load_b128 v[4:7], v44 offset:32
	s_waitcnt vmcnt(28)
	v_fma_mix_f32 v2, v8, v23, v2 op_sel_hi:[0,1,0]
	s_waitcnt vmcnt(27) lgkmcnt(1)
	s_delay_alu instid0(VALU_DEP_1) | instskip(SKIP_1) | instid1(VALU_DEP_1)
	v_fma_mix_f32 v2, v9, v24, v2 op_sel_hi:[0,1,0]
	s_waitcnt vmcnt(26)
	v_fma_mix_f32 v2, v10, v25, v2 op_sel_hi:[0,1,0]
	s_waitcnt vmcnt(25)
	s_delay_alu instid0(VALU_DEP_1) | instskip(SKIP_4) | instid1(VALU_DEP_1)
	v_fma_mix_f32 v2, v11, v26, v2 op_sel_hi:[0,1,0]
	ds_load_b128 v[8:11], v44 offset:48
	s_waitcnt vmcnt(24)
	v_fma_mix_f32 v2, v12, v27, v2 op_sel_hi:[0,1,0]
	s_waitcnt vmcnt(23) lgkmcnt(1)
	v_fma_mix_f32 v2, v4, v28, v2 op_sel_hi:[0,1,0]
	s_waitcnt vmcnt(22)
	s_delay_alu instid0(VALU_DEP_1) | instskip(SKIP_1) | instid1(VALU_DEP_1)
	v_fma_mix_f32 v2, v5, v29, v2 op_sel_hi:[0,1,0]
	s_waitcnt vmcnt(21)
	v_fma_mix_f32 v2, v6, v30, v2 op_sel_hi:[0,1,0]
	s_waitcnt vmcnt(20)
	s_delay_alu instid0(VALU_DEP_1) | instskip(SKIP_4) | instid1(VALU_DEP_1)
	v_fma_mix_f32 v2, v7, v31, v2 op_sel_hi:[0,1,0]
	ds_load_b128 v[4:7], v44 offset:64
	s_waitcnt vmcnt(19) lgkmcnt(1)
	v_fma_mix_f32 v2, v8, v32, v2 op_sel_hi:[0,1,0]
	s_waitcnt vmcnt(18)
	v_fma_mix_f32 v2, v9, v33, v2 op_sel_hi:[0,1,0]
	s_waitcnt vmcnt(17)
	s_delay_alu instid0(VALU_DEP_1) | instskip(SKIP_1) | instid1(VALU_DEP_1)
	v_fma_mix_f32 v2, v10, v17, v2 op_sel_hi:[0,1,0]
	s_waitcnt vmcnt(16)
	v_fma_mix_f32 v2, v11, v18, v2 op_sel_hi:[0,1,0]
	ds_load_b128 v[8:11], v44 offset:80
	s_waitcnt vmcnt(15) lgkmcnt(1)
	v_fma_mix_f32 v2, v4, v19, v2 op_sel_hi:[0,1,0]
	s_waitcnt vmcnt(14)
	s_delay_alu instid0(VALU_DEP_1) | instskip(SKIP_1) | instid1(VALU_DEP_1)
	v_fma_mix_f32 v2, v5, v20, v2 op_sel_hi:[0,1,0]
	s_waitcnt vmcnt(13)
	v_fma_mix_f32 v2, v6, v34, v2 op_sel_hi:[0,1,0]
	s_waitcnt vmcnt(12)
	s_delay_alu instid0(VALU_DEP_1) | instskip(SKIP_4) | instid1(VALU_DEP_1)
	v_fma_mix_f32 v2, v7, v35, v2 op_sel_hi:[0,1,0]
	ds_load_b128 v[4:7], v44 offset:96
	s_waitcnt vmcnt(11) lgkmcnt(1)
	v_fma_mix_f32 v2, v8, v36, v2 op_sel_hi:[0,1,0]
	s_waitcnt vmcnt(10)
	v_fma_mix_f32 v2, v9, v37, v2 op_sel_hi:[0,1,0]
	s_waitcnt vmcnt(9)
	s_delay_alu instid0(VALU_DEP_1) | instskip(SKIP_1) | instid1(VALU_DEP_1)
	v_fma_mix_f32 v2, v10, v38, v2 op_sel_hi:[0,1,0]
	s_waitcnt vmcnt(8)
	v_fma_mix_f32 v2, v11, v39, v2 op_sel_hi:[0,1,0]
	ds_load_b128 v[8:11], v44 offset:112
	s_waitcnt vmcnt(7) lgkmcnt(1)
	v_fma_mix_f32 v2, v4, v40, v2 op_sel_hi:[0,1,0]
	s_waitcnt vmcnt(6)
	s_delay_alu instid0(VALU_DEP_1) | instskip(SKIP_1) | instid1(VALU_DEP_1)
	v_fma_mix_f32 v2, v5, v13, v2 op_sel_hi:[0,1,0]
	s_waitcnt vmcnt(5)
	v_fma_mix_f32 v2, v6, v14, v2 op_sel_hi:[0,1,0]
	s_waitcnt vmcnt(4)
	s_delay_alu instid0(VALU_DEP_1) | instskip(SKIP_1) | instid1(VALU_DEP_1)
	v_fma_mix_f32 v2, v7, v15, v2 op_sel_hi:[0,1,0]
	s_waitcnt vmcnt(3) lgkmcnt(0)
	v_fma_mix_f32 v2, v8, v16, v2 op_sel_hi:[0,1,0]
	s_waitcnt vmcnt(2)
	s_delay_alu instid0(VALU_DEP_1) | instskip(SKIP_1) | instid1(VALU_DEP_1)
	v_fma_mix_f32 v2, v9, v41, v2 op_sel_hi:[0,1,0]
	s_waitcnt vmcnt(1)
	v_fma_mix_f32 v2, v10, v42, v2 op_sel_hi:[0,1,0]
	s_waitcnt vmcnt(0)
	s_delay_alu instid0(VALU_DEP_1)
	v_fma_mix_f32 v4, v11, v43, v2 op_sel_hi:[0,1,0]
	s_branch .LBB216_14
.LBB216_17:
	v_mov_b32_e32 v1, 0
	s_and_b32 vcc_lo, exec_lo, s15
	ds_load_b32 v1, v1 offset:896
	s_cbranch_vccz .LBB216_19
; %bb.18:
	s_add_u32 s2, s12, s16
	s_addc_u32 s3, s13, s17
	s_load_b32 s2, s[2:3], 0x0
	s_mov_b32 s3, 0
.LBB216_19:
	s_waitcnt lgkmcnt(0)
	v_add_f32_e32 v1, 0x358637bd, v1
	s_mul_i32 s3, s33, s3
	s_mul_hi_u32 s4, s33, s2
	s_mul_i32 s2, s33, s2
	s_add_i32 s3, s4, s3
	v_div_scale_f32 v2, null, v1, v1, 1.0
	v_div_scale_f32 v6, vcc_lo, 1.0, v1, 1.0
	s_lshl_b64 s[2:3], s[2:3], 7
	s_delay_alu instid0(VALU_DEP_2) | instskip(SKIP_4) | instid1(SALU_CYCLE_1)
	v_rcp_f32_e32 v3, v2
	s_mov_b32 s15, 0
	s_add_u32 s2, s0, s2
	s_addc_u32 s3, s1, s3
	s_lshl_b64 s[0:1], s[14:15], 7
	s_add_u32 s0, s2, s0
	s_addc_u32 s1, s3, s1
	v_add_co_u32 v0, s0, s0, v0
	s_waitcnt_depctr 0xfff
	v_fma_f32 v5, -v2, v3, 1.0
	s_delay_alu instid0(VALU_DEP_1) | instskip(NEXT) | instid1(VALU_DEP_1)
	v_fmac_f32_e32 v3, v5, v3
	v_mul_f32_e32 v5, v6, v3
	s_delay_alu instid0(VALU_DEP_1) | instskip(NEXT) | instid1(VALU_DEP_1)
	v_fma_f32 v7, -v2, v5, v6
	v_fmac_f32_e32 v5, v7, v3
	s_delay_alu instid0(VALU_DEP_1) | instskip(NEXT) | instid1(VALU_DEP_1)
	v_fma_f32 v2, -v2, v5, v6
	v_div_fmas_f32 v2, v2, v3, v5
	s_delay_alu instid0(VALU_DEP_1) | instskip(NEXT) | instid1(VALU_DEP_1)
	v_div_fixup_f32 v1, v2, v1, 1.0
	v_fma_mixlo_f16 v1, v4, v1, 0
	s_delay_alu instid0(VALU_DEP_1)
	v_cvt_i16_f16_e32 v2, v1
	v_add_co_ci_u32_e64 v1, null, s1, 0, s0
	global_store_b8 v[0:1], v2, off
	s_nop 0
	s_sendmsg sendmsg(MSG_DEALLOC_VGPRS)
	s_endpgm
.LBB216_20:
	s_mov_b32 s4, 0
	s_branch .LBB216_2
	.section	.rodata,"a",@progbits
	.p2align	6, 0x0
	.amdhsa_kernel _Z35paged_attention_ll4mi_reduce_kernelIDF16_hLi128ELi128ELi256ELi7EEvPT0_PKfS3_PKT_PKiS8_iS3_
		.amdhsa_group_segment_fixed_size 900
		.amdhsa_private_segment_fixed_size 0
		.amdhsa_kernarg_size 320
		.amdhsa_user_sgpr_count 14
		.amdhsa_user_sgpr_dispatch_ptr 0
		.amdhsa_user_sgpr_queue_ptr 0
		.amdhsa_user_sgpr_kernarg_segment_ptr 1
		.amdhsa_user_sgpr_dispatch_id 0
		.amdhsa_user_sgpr_private_segment_size 0
		.amdhsa_wavefront_size32 1
		.amdhsa_uses_dynamic_stack 0
		.amdhsa_enable_private_segment 0
		.amdhsa_system_sgpr_workgroup_id_x 1
		.amdhsa_system_sgpr_workgroup_id_y 1
		.amdhsa_system_sgpr_workgroup_id_z 0
		.amdhsa_system_sgpr_workgroup_info 0
		.amdhsa_system_vgpr_workitem_id 0
		.amdhsa_next_free_vgpr 48
		.amdhsa_next_free_sgpr 47
		.amdhsa_reserve_vcc 1
		.amdhsa_float_round_mode_32 0
		.amdhsa_float_round_mode_16_64 0
		.amdhsa_float_denorm_mode_32 3
		.amdhsa_float_denorm_mode_16_64 3
		.amdhsa_dx10_clamp 1
		.amdhsa_ieee_mode 1
		.amdhsa_fp16_overflow 0
		.amdhsa_workgroup_processor_mode 1
		.amdhsa_memory_ordered 1
		.amdhsa_forward_progress 0
		.amdhsa_shared_vgpr_count 0
		.amdhsa_exception_fp_ieee_invalid_op 0
		.amdhsa_exception_fp_denorm_src 0
		.amdhsa_exception_fp_ieee_div_zero 0
		.amdhsa_exception_fp_ieee_overflow 0
		.amdhsa_exception_fp_ieee_underflow 0
		.amdhsa_exception_fp_ieee_inexact 0
		.amdhsa_exception_int_div_zero 0
	.end_amdhsa_kernel
	.section	.text._Z35paged_attention_ll4mi_reduce_kernelIDF16_hLi128ELi128ELi256ELi7EEvPT0_PKfS3_PKT_PKiS8_iS3_,"axG",@progbits,_Z35paged_attention_ll4mi_reduce_kernelIDF16_hLi128ELi128ELi256ELi7EEvPT0_PKfS3_PKT_PKiS8_iS3_,comdat
.Lfunc_end216:
	.size	_Z35paged_attention_ll4mi_reduce_kernelIDF16_hLi128ELi128ELi256ELi7EEvPT0_PKfS3_PKT_PKiS8_iS3_, .Lfunc_end216-_Z35paged_attention_ll4mi_reduce_kernelIDF16_hLi128ELi128ELi256ELi7EEvPT0_PKfS3_PKT_PKiS8_iS3_
                                        ; -- End function
	.section	.AMDGPU.csdata,"",@progbits
; Kernel info:
; codeLenInByte = 6364
; NumSgprs: 49
; NumVgprs: 48
; ScratchSize: 0
; MemoryBound: 0
; FloatMode: 240
; IeeeMode: 1
; LDSByteSize: 900 bytes/workgroup (compile time only)
; SGPRBlocks: 6
; VGPRBlocks: 5
; NumSGPRsForWavesPerEU: 49
; NumVGPRsForWavesPerEU: 48
; Occupancy: 16
; WaveLimiterHint : 0
; COMPUTE_PGM_RSRC2:SCRATCH_EN: 0
; COMPUTE_PGM_RSRC2:USER_SGPR: 14
; COMPUTE_PGM_RSRC2:TRAP_HANDLER: 0
; COMPUTE_PGM_RSRC2:TGID_X_EN: 1
; COMPUTE_PGM_RSRC2:TGID_Y_EN: 1
; COMPUTE_PGM_RSRC2:TGID_Z_EN: 0
; COMPUTE_PGM_RSRC2:TIDIG_COMP_CNT: 0
	.section	.text._Z35paged_attention_ll4mi_reduce_kernelIDF16_hLi128ELi128ELi256ELi8EEvPT0_PKfS3_PKT_PKiS8_iS3_,"axG",@progbits,_Z35paged_attention_ll4mi_reduce_kernelIDF16_hLi128ELi128ELi256ELi8EEvPT0_PKfS3_PKT_PKiS8_iS3_,comdat
	.protected	_Z35paged_attention_ll4mi_reduce_kernelIDF16_hLi128ELi128ELi256ELi8EEvPT0_PKfS3_PKT_PKiS8_iS3_ ; -- Begin function _Z35paged_attention_ll4mi_reduce_kernelIDF16_hLi128ELi128ELi256ELi8EEvPT0_PKfS3_PKT_PKiS8_iS3_
	.globl	_Z35paged_attention_ll4mi_reduce_kernelIDF16_hLi128ELi128ELi256ELi8EEvPT0_PKfS3_PKT_PKiS8_iS3_
	.p2align	8
	.type	_Z35paged_attention_ll4mi_reduce_kernelIDF16_hLi128ELi128ELi256ELi8EEvPT0_PKfS3_PKT_PKiS8_iS3_,@function
_Z35paged_attention_ll4mi_reduce_kernelIDF16_hLi128ELi128ELi256ELi8EEvPT0_PKfS3_PKT_PKiS8_iS3_: ; @_Z35paged_attention_ll4mi_reduce_kernelIDF16_hLi128ELi128ELi256ELi8EEvPT0_PKfS3_PKT_PKiS8_iS3_
; %bb.0:
	s_load_b64 s[12:13], s[0:1], 0x28
	s_mov_b32 s2, s15
	s_waitcnt lgkmcnt(0)
	s_cmp_lg_u64 s[12:13], 0
	s_cselect_b32 s15, -1, 0
	s_delay_alu instid0(SALU_CYCLE_1)
	s_and_b32 vcc_lo, exec_lo, s15
	s_cbranch_vccz .LBB217_20
; %bb.1:
	s_add_i32 s4, s2, 1
	s_mov_b32 s5, 0
	s_delay_alu instid0(SALU_CYCLE_1) | instskip(SKIP_4) | instid1(SALU_CYCLE_1)
	s_lshl_b64 s[6:7], s[4:5], 2
	s_mov_b32 s3, s5
	s_add_u32 s6, s12, s6
	s_addc_u32 s7, s13, s7
	s_lshl_b64 s[8:9], s[2:3], 2
	s_add_u32 s8, s12, s8
	s_addc_u32 s9, s13, s9
	s_clause 0x1
	s_load_b32 s4, s[6:7], 0x0
	s_load_b32 s6, s[8:9], 0x0
	s_waitcnt lgkmcnt(0)
	s_sub_i32 s4, s4, s6
	s_delay_alu instid0(SALU_CYCLE_1)
	s_cmp_eq_u32 s4, 1
	s_cselect_b32 s4, -1, 0
	s_cbranch_execnz .LBB217_3
.LBB217_2:
	s_mov_b32 s3, 0
	s_mov_b32 s4, -1
.LBB217_3:
	s_delay_alu instid0(SALU_CYCLE_1)
	s_and_not1_b32 vcc_lo, exec_lo, s4
	s_cbranch_vccz .LBB217_5
; %bb.4:
	s_endpgm
.LBB217_5:
	s_clause 0x1
	s_load_b128 s[4:7], s[0:1], 0x18
	s_load_b32 s9, s[0:1], 0x30
	s_lshl_b64 s[16:17], s[2:3], 2
	s_waitcnt lgkmcnt(0)
	s_add_u32 s6, s6, s16
	s_addc_u32 s7, s7, s17
	s_load_b32 s23, s[6:7], 0x0
	s_load_b32 s33, s[0:1], 0x40
	s_mul_i32 s7, s2, s9
	s_waitcnt lgkmcnt(0)
	s_add_i32 s22, s23, 0xff
	s_delay_alu instid0(SALU_CYCLE_1) | instskip(NEXT) | instid1(SALU_CYCLE_1)
	s_ashr_i32 s6, s22, 31
	s_lshr_b32 s6, s6, 24
	s_delay_alu instid0(SALU_CYCLE_1) | instskip(SKIP_4) | instid1(SALU_CYCLE_1)
	s_add_i32 s8, s22, s6
	s_mul_i32 s6, s14, s9
	s_mov_b32 s9, exec_lo
	v_cmpx_lt_u32_e32 31, v0
	s_xor_b32 s9, exec_lo, s9
	s_or_saveexec_b32 s24, s9
	v_mov_b32_e32 v1, s6
	s_ashr_i32 s40, s8, 8
	s_mul_i32 s18, s7, s33
	s_xor_b32 exec_lo, exec_lo, s24
	s_cbranch_execz .LBB217_9
; %bb.6:
	v_or_b32_e32 v2, 32, v0
	v_cmp_gt_i32_e32 vcc_lo, s40, v0
	s_add_i32 s20, s40, -1
	v_or_b32_e32 v4, 64, v0
	v_or_b32_e32 v6, 0x60, v0
	s_load_b128 s[8:11], s[0:1], 0x8
	v_cndmask_b32_e32 v1, s20, v0, vcc_lo
	v_cmp_gt_i32_e32 vcc_lo, s40, v2
	s_mov_b32 s19, 0
	s_delay_alu instid0(SALU_CYCLE_1)
	s_mov_b32 s7, s19
	v_cndmask_b32_e32 v3, s20, v2, vcc_lo
	v_cmp_gt_i32_e32 vcc_lo, s40, v4
	v_or_b32_e32 v2, 0x80, v0
	v_cndmask_b32_e32 v5, s20, v4, vcc_lo
	v_cmp_gt_i32_e32 vcc_lo, s40, v6
	v_or_b32_e32 v4, 0xa0, v0
	;; [unrolled: 3-line block ×3, first 2 shown]
	s_delay_alu instid0(VALU_DEP_3) | instskip(SKIP_3) | instid1(VALU_DEP_4)
	v_ashrrev_i32_e32 v8, 31, v7
	v_cndmask_b32_e32 v9, s20, v2, vcc_lo
	v_cmp_gt_i32_e32 vcc_lo, s40, v4
	v_or_b32_e32 v2, 0xe0, v0
	v_lshlrev_b64 v[7:8], 2, v[7:8]
	s_delay_alu instid0(VALU_DEP_4) | instskip(SKIP_3) | instid1(VALU_DEP_4)
	v_ashrrev_i32_e32 v10, 31, v9
	v_cndmask_b32_e32 v11, s20, v4, vcc_lo
	v_cmp_gt_i32_e32 vcc_lo, s40, v6
	v_ashrrev_i32_e32 v4, 31, v3
	v_lshlrev_b64 v[9:10], 2, v[9:10]
	s_delay_alu instid0(VALU_DEP_4)
	v_ashrrev_i32_e32 v12, 31, v11
	v_cndmask_b32_e32 v13, s20, v6, vcc_lo
	v_cmp_gt_i32_e32 vcc_lo, s40, v2
	v_ashrrev_i32_e32 v6, 31, v5
	v_lshlrev_b64 v[3:4], 2, v[3:4]
	v_lshlrev_b64 v[11:12], 2, v[11:12]
	v_ashrrev_i32_e32 v14, 31, v13
	v_cndmask_b32_e32 v15, s20, v2, vcc_lo
	v_ashrrev_i32_e32 v2, 31, v1
	s_lshl_b64 s[20:21], s[18:19], 2
	v_lshlrev_b64 v[5:6], 2, v[5:6]
	s_waitcnt lgkmcnt(0)
	s_add_u32 s19, s10, s20
	s_addc_u32 s25, s11, s21
	v_lshlrev_b64 v[1:2], 2, v[1:2]
	s_lshl_b64 s[10:11], s[6:7], 2
	v_lshlrev_b64 v[13:14], 2, v[13:14]
	s_add_u32 s7, s19, s10
	s_addc_u32 s19, s25, s11
	s_delay_alu instid0(VALU_DEP_2)
	v_add_co_u32 v16, vcc_lo, s7, v1
	v_add_co_ci_u32_e32 v17, vcc_lo, s19, v2, vcc_lo
	v_add_co_u32 v18, vcc_lo, s7, v3
	v_add_co_ci_u32_e32 v19, vcc_lo, s19, v4, vcc_lo
	;; [unrolled: 2-line block ×4, first 2 shown]
	s_clause 0x3
	global_load_b32 v25, v[16:17], off
	global_load_b32 v26, v[18:19], off
	;; [unrolled: 1-line block ×4, first 2 shown]
	v_ashrrev_i32_e32 v16, 31, v15
	v_add_co_u32 v17, vcc_lo, s7, v9
	v_add_co_ci_u32_e32 v18, vcc_lo, s19, v10, vcc_lo
	v_add_co_u32 v19, vcc_lo, s7, v11
	s_delay_alu instid0(VALU_DEP_4) | instskip(SKIP_3) | instid1(VALU_DEP_4)
	v_lshlrev_b64 v[15:16], 2, v[15:16]
	v_add_co_ci_u32_e32 v20, vcc_lo, s19, v12, vcc_lo
	v_add_co_u32 v21, vcc_lo, s7, v13
	v_add_co_ci_u32_e32 v22, vcc_lo, s19, v14, vcc_lo
	v_add_co_u32 v23, vcc_lo, s7, v15
	v_add_co_ci_u32_e32 v24, vcc_lo, s19, v16, vcc_lo
	s_clause 0x3
	global_load_b32 v17, v[17:18], off
	global_load_b32 v18, v[19:20], off
	;; [unrolled: 1-line block ×4, first 2 shown]
	s_add_u32 s7, s8, s20
	s_addc_u32 s8, s9, s21
	s_add_u32 s7, s7, s10
	s_addc_u32 s8, s8, s11
	v_add_co_u32 v1, vcc_lo, s7, v1
	v_add_co_ci_u32_e32 v2, vcc_lo, s8, v2, vcc_lo
	v_add_co_u32 v3, vcc_lo, s7, v3
	v_add_co_ci_u32_e32 v4, vcc_lo, s8, v4, vcc_lo
	;; [unrolled: 2-line block ×5, first 2 shown]
	s_clause 0x4
	global_load_b32 v21, v[1:2], off
	global_load_b32 v3, v[3:4], off
	;; [unrolled: 1-line block ×5, first 2 shown]
	v_add_co_u32 v1, vcc_lo, s7, v11
	v_add_co_ci_u32_e32 v2, vcc_lo, s8, v12, vcc_lo
	global_load_b32 v7, v[1:2], off
	v_add_co_u32 v1, vcc_lo, s7, v13
	v_add_co_ci_u32_e32 v2, vcc_lo, s8, v14, vcc_lo
	global_load_b32 v8, v[1:2], off
	v_add_co_u32 v1, vcc_lo, s7, v15
	v_add_co_ci_u32_e32 v2, vcc_lo, s8, v16, vcc_lo
	s_mov_b32 s7, exec_lo
	global_load_b32 v11, v[1:2], off
	v_mbcnt_lo_u32_b32 v1, -1, 0
	s_delay_alu instid0(VALU_DEP_1)
	v_xor_b32_e32 v12, 8, v1
	v_xor_b32_e32 v13, 4, v1
	;; [unrolled: 1-line block ×4, first 2 shown]
	s_waitcnt vmcnt(14)
	v_dual_max_f32 v10, v25, v25 :: v_dual_max_f32 v9, v26, v26
	s_delay_alu instid0(VALU_DEP_1) | instskip(SKIP_2) | instid1(VALU_DEP_2)
	v_max_f32_e32 v2, v10, v9
	v_xor_b32_e32 v9, 16, v1
	s_waitcnt vmcnt(12)
	v_max3_f32 v2, v2, v27, v28
	s_delay_alu instid0(VALU_DEP_2) | instskip(SKIP_4) | instid1(VALU_DEP_3)
	v_cmp_gt_i32_e32 vcc_lo, 32, v9
	v_cndmask_b32_e32 v9, v1, v9, vcc_lo
	v_cmp_gt_i32_e32 vcc_lo, 32, v12
	s_waitcnt vmcnt(10)
	v_max3_f32 v2, v2, v17, v18
	v_dual_cndmask_b32 v12, v1, v12 :: v_dual_lshlrev_b32 v9, 2, v9
	v_cmp_gt_i32_e32 vcc_lo, 32, v13
	s_waitcnt vmcnt(8)
	s_delay_alu instid0(VALU_DEP_3) | instskip(NEXT) | instid1(VALU_DEP_3)
	v_max3_f32 v2, v2, v19, v20
	v_dual_cndmask_b32 v13, v1, v13 :: v_dual_lshlrev_b32 v12, 2, v12
	ds_bpermute_b32 v10, v9, v2
	v_cmp_gt_i32_e32 vcc_lo, 32, v14
	v_dual_cndmask_b32 v14, v1, v14 :: v_dual_lshlrev_b32 v13, 2, v13
	v_cmp_gt_i32_e32 vcc_lo, 32, v15
	s_delay_alu instid0(VALU_DEP_2) | instskip(SKIP_1) | instid1(VALU_DEP_1)
	v_dual_cndmask_b32 v1, v1, v15 :: v_dual_lshlrev_b32 v14, 2, v14
	s_waitcnt lgkmcnt(0)
	v_dual_max_f32 v10, v10, v10 :: v_dual_lshlrev_b32 v15, 2, v1
	s_delay_alu instid0(VALU_DEP_1) | instskip(SKIP_3) | instid1(VALU_DEP_1)
	v_max_f32_e32 v2, v2, v10
	ds_bpermute_b32 v10, v12, v2
	s_waitcnt lgkmcnt(0)
	v_max_f32_e32 v10, v10, v10
	v_max_f32_e32 v2, v2, v10
	ds_bpermute_b32 v10, v13, v2
	s_waitcnt lgkmcnt(0)
	v_max_f32_e32 v10, v10, v10
	s_delay_alu instid0(VALU_DEP_1) | instskip(SKIP_3) | instid1(VALU_DEP_1)
	v_max_f32_e32 v2, v2, v10
	ds_bpermute_b32 v10, v14, v2
	s_waitcnt lgkmcnt(0)
	v_max_f32_e32 v10, v10, v10
	v_max_f32_e32 v1, v2, v10
	ds_bpermute_b32 v2, v15, v1
	s_waitcnt lgkmcnt(0)
	v_max_f32_e32 v2, v2, v2
	s_delay_alu instid0(VALU_DEP_1) | instskip(SKIP_1) | instid1(VALU_DEP_2)
	v_max_f32_e32 v1, v1, v2
	v_sub_nc_u32_e32 v2, s40, v0
	v_sub_f32_e32 v23, v28, v1
	v_sub_f32_e32 v16, v26, v1
	s_delay_alu instid0(VALU_DEP_2)
	v_mul_f32_e32 v26, 0x3fb8aa3b, v23
	v_sub_f32_e32 v10, v25, v1
	v_sub_f32_e32 v22, v27, v1
	;; [unrolled: 1-line block ×4, first 2 shown]
	v_dual_sub_f32 v19, v19, v1 :: v_dual_mul_f32 v24, 0x3fb8aa3b, v16
	s_delay_alu instid0(VALU_DEP_4) | instskip(NEXT) | instid1(VALU_DEP_3)
	v_mul_f32_e32 v25, 0x3fb8aa3b, v22
	v_dual_sub_f32 v1, v20, v1 :: v_dual_mul_f32 v28, 0x3fb8aa3b, v18
	v_mul_f32_e32 v20, 0x3fb8aa3b, v10
	s_delay_alu instid0(VALU_DEP_4)
	v_fma_f32 v33, 0x3fb8aa3b, v16, -v24
	v_rndne_f32_e32 v34, v24
	v_fma_f32 v35, 0x3fb8aa3b, v22, -v25
	v_dual_mul_f32 v29, 0x3fb8aa3b, v19 :: v_dual_mul_f32 v30, 0x3fb8aa3b, v1
	v_fma_f32 v31, 0x3fb8aa3b, v10, -v20
	v_rndne_f32_e32 v32, v20
	v_mul_f32_e32 v27, 0x3fb8aa3b, v17
	v_dual_fmac_f32 v33, 0x32a5705f, v16 :: v_dual_sub_f32 v24, v24, v34
	s_delay_alu instid0(VALU_DEP_3) | instskip(SKIP_2) | instid1(VALU_DEP_4)
	v_dual_fmac_f32 v31, 0x32a5705f, v10 :: v_dual_sub_f32 v20, v20, v32
	v_cvt_i32_f32_e32 v32, v32
	v_fma_f32 v37, 0x3fb8aa3b, v23, -v26
	v_dual_add_f32 v24, v24, v33 :: v_dual_fmac_f32 v35, 0x32a5705f, v22
	s_delay_alu instid0(VALU_DEP_4)
	v_add_f32_e32 v20, v20, v31
	v_fma_f32 v39, 0x3fb8aa3b, v17, -v27
	v_fma_f32 v41, 0x3fb8aa3b, v18, -v28
	v_rndne_f32_e32 v42, v28
	v_fma_f32 v45, 0x3fb8aa3b, v1, -v30
	v_exp_f32_e32 v20, v20
	v_rndne_f32_e32 v46, v30
	v_cmp_ngt_f32_e32 vcc_lo, 0xc2ce8ed0, v10
	v_rndne_f32_e32 v36, v25
	v_fma_f32 v43, 0x3fb8aa3b, v19, -v29
	v_dual_fmac_f32 v37, 0x32a5705f, v23 :: v_dual_sub_f32 v28, v28, v42
	v_dual_fmac_f32 v39, 0x32a5705f, v17 :: v_dual_sub_f32 v30, v30, v46
	v_exp_f32_e32 v24, v24
	s_delay_alu instid0(TRANS32_DEP_2)
	v_ldexp_f32 v20, v20, v32
	v_fmac_f32_e32 v45, 0x32a5705f, v1
	v_rndne_f32_e32 v38, v26
	v_cvt_i32_f32_e32 v34, v34
	v_sub_f32_e32 v25, v25, v36
	v_dual_cndmask_b32 v20, 0, v20 :: v_dual_fmac_f32 v41, 0x32a5705f, v18
	v_dual_add_f32 v30, v30, v45 :: v_dual_fmac_f32 v43, 0x32a5705f, v19
	v_rndne_f32_e32 v40, v27
	v_sub_f32_e32 v26, v26, v38
	s_delay_alu instid0(VALU_DEP_4)
	v_add_f32_e32 v28, v28, v41
	v_ldexp_f32 v24, v24, v34
	v_cmp_ngt_f32_e32 vcc_lo, 0xc2ce8ed0, v16
	v_add_f32_e32 v25, v25, v35
	v_dual_sub_f32 v27, v27, v40 :: v_dual_add_f32 v26, v26, v37
	v_exp_f32_e32 v28, v28
	v_cvt_i32_f32_e32 v31, v42
	v_cndmask_b32_e32 v24, 0, v24, vcc_lo
	v_exp_f32_e32 v25, v25
	v_cvt_i32_f32_e32 v36, v36
	v_exp_f32_e32 v26, v26
	v_cvt_i32_f32_e32 v38, v38
	v_cmp_ngt_f32_e32 vcc_lo, 0xc2ce8ed0, v22
	v_rndne_f32_e32 v44, v29
	v_cvt_i32_f32_e32 v40, v40
	v_ldexp_f32 v28, v28, v31
	v_add_f32_e32 v27, v27, v39
	v_exp_f32_e32 v30, v30
	v_ldexp_f32 v25, v25, v36
	v_cvt_i32_f32_e32 v33, v44
	v_ldexp_f32 v26, v26, v38
	v_exp_f32_e32 v27, v27
	s_delay_alu instid0(VALU_DEP_3) | instskip(SKIP_1) | instid1(VALU_DEP_3)
	v_cndmask_b32_e32 v25, 0, v25, vcc_lo
	v_cmp_ngt_f32_e32 vcc_lo, 0xc2ce8ed0, v23
	v_dual_sub_f32 v29, v29, v44 :: v_dual_cndmask_b32 v26, 0, v26
	v_cmp_ngt_f32_e32 vcc_lo, 0xc2ce8ed0, v17
	s_waitcnt_depctr 0xfff
	v_ldexp_f32 v27, v27, v40
	s_delay_alu instid0(VALU_DEP_1)
	v_cndmask_b32_e32 v27, 0, v27, vcc_lo
	v_cmp_ngt_f32_e32 vcc_lo, 0xc2ce8ed0, v18
	v_cndmask_b32_e32 v28, 0, v28, vcc_lo
	v_cmp_nlt_f32_e32 vcc_lo, 0x42b17218, v10
	v_dual_add_f32 v29, v29, v43 :: v_dual_cndmask_b32 v10, 0x7f800000, v20
	v_cmp_nlt_f32_e32 vcc_lo, 0x42b17218, v16
	s_delay_alu instid0(VALU_DEP_2)
	v_exp_f32_e32 v29, v29
	v_cndmask_b32_e32 v16, 0x7f800000, v24, vcc_lo
	v_cmp_nlt_f32_e32 vcc_lo, 0x42b17218, v22
	v_cndmask_b32_e32 v20, 0x7f800000, v25, vcc_lo
	v_cmp_nlt_f32_e32 vcc_lo, 0x42b17218, v23
	s_waitcnt_depctr 0xfff
	v_ldexp_f32 v29, v29, v33
	v_cndmask_b32_e32 v22, 0x7f800000, v26, vcc_lo
	v_cmp_nlt_f32_e32 vcc_lo, 0x42b17218, v17
	v_cndmask_b32_e32 v17, 0x7f800000, v27, vcc_lo
	v_cmp_lt_i32_e32 vcc_lo, 0, v2
	v_cndmask_b32_e32 v10, 0, v10, vcc_lo
	v_cmp_lt_i32_e32 vcc_lo, 32, v2
	s_waitcnt vmcnt(7)
	s_delay_alu instid0(VALU_DEP_2) | instskip(SKIP_3) | instid1(VALU_DEP_2)
	v_mul_f32_e32 v10, v21, v10
	v_cndmask_b32_e32 v16, 0, v16, vcc_lo
	v_cmp_lt_i32_e32 vcc_lo, 64, v2
	s_waitcnt vmcnt(6)
	v_mul_f32_e32 v3, v3, v16
	v_cndmask_b32_e32 v20, 0, v20, vcc_lo
	v_cmp_lt_i32_e32 vcc_lo, 0x60, v2
	v_cndmask_b32_e32 v22, 0, v22, vcc_lo
	v_cmp_lt_i32_e32 vcc_lo, 0x80, v2
	v_cndmask_b32_e32 v17, 0, v17, vcc_lo
	v_cmp_nlt_f32_e32 vcc_lo, 0x42b17218, v18
	s_waitcnt vmcnt(3)
	s_delay_alu instid0(VALU_DEP_2) | instskip(SKIP_2) | instid1(VALU_DEP_2)
	v_mul_f32_e32 v6, v6, v17
	v_dual_mul_f32 v4, v4, v20 :: v_dual_add_f32 v17, v10, v3
	v_cvt_i32_f32_e32 v20, v46
	v_add_f32_e32 v17, v17, v4
	v_dual_mul_f32 v5, v5, v22 :: v_dual_cndmask_b32 v16, 0x7f800000, v28
	v_cmp_ngt_f32_e32 vcc_lo, 0xc2ce8ed0, v19
	s_delay_alu instid0(VALU_DEP_2)
	v_add_f32_e32 v17, v17, v5
	v_cndmask_b32_e32 v18, 0, v29, vcc_lo
	v_cmp_lt_i32_e32 vcc_lo, 0xa0, v2
	v_cndmask_b32_e32 v16, 0, v16, vcc_lo
	v_cmp_nlt_f32_e32 vcc_lo, 0x42b17218, v19
	s_waitcnt vmcnt(2)
	s_delay_alu instid0(VALU_DEP_2) | instskip(SKIP_3) | instid1(VALU_DEP_4)
	v_dual_mul_f32 v7, v7, v16 :: v_dual_cndmask_b32 v18, 0x7f800000, v18
	v_cmp_lt_i32_e32 vcc_lo, 0xc0, v2
	v_ldexp_f32 v16, v30, v20
	v_add_f32_e32 v17, v17, v6
	v_cndmask_b32_e32 v18, 0, v18, vcc_lo
	v_cmp_ngt_f32_e32 vcc_lo, 0xc2ce8ed0, v1
	s_delay_alu instid0(VALU_DEP_4) | instskip(SKIP_2) | instid1(VALU_DEP_2)
	v_cndmask_b32_e32 v16, 0, v16, vcc_lo
	v_cmp_nlt_f32_e32 vcc_lo, 0x42b17218, v1
	s_waitcnt vmcnt(1)
	v_dual_mul_f32 v8, v8, v18 :: v_dual_cndmask_b32 v1, 0x7f800000, v16
	v_add_f32_e32 v16, v17, v7
	v_cmp_lt_i32_e32 vcc_lo, 0xe0, v2
	s_delay_alu instid0(VALU_DEP_3) | instskip(NEXT) | instid1(VALU_DEP_3)
	v_cndmask_b32_e32 v17, 0, v1, vcc_lo
	v_add_f32_e32 v1, v16, v8
	s_waitcnt vmcnt(0)
	s_delay_alu instid0(VALU_DEP_1)
	v_fmac_f32_e32 v1, v11, v17
	v_mul_f32_e32 v11, v11, v17
	ds_bpermute_b32 v2, v9, v1
	v_lshlrev_b32_e32 v9, 2, v0
	ds_store_2addr_b32 v9, v10, v3 offset1:32
	ds_store_2addr_b32 v9, v4, v5 offset0:64 offset1:96
	ds_store_2addr_b32 v9, v6, v7 offset0:128 offset1:160
	;; [unrolled: 1-line block ×3, first 2 shown]
	s_waitcnt lgkmcnt(4)
	v_add_f32_e32 v1, v1, v2
	ds_bpermute_b32 v2, v12, v1
	s_waitcnt lgkmcnt(0)
	v_add_f32_e32 v1, v1, v2
	ds_bpermute_b32 v2, v13, v1
	;; [unrolled: 3-line block ×4, first 2 shown]
	v_cmpx_eq_u32_e32 0, v0
	s_cbranch_execz .LBB217_8
; %bb.7:
	s_waitcnt lgkmcnt(0)
	v_dual_add_f32 v1, v1, v2 :: v_dual_mov_b32 v2, 0
	ds_store_b32 v2, v1 offset:1024
.LBB217_8:
	s_or_b32 exec_lo, exec_lo, s7
	v_mov_b32_e32 v1, s6
.LBB217_9:
	s_or_b32 exec_lo, exec_lo, s24
	s_lshl_b32 s6, s18, 7
	s_mov_b32 s7, 0
	s_waitcnt lgkmcnt(0)
	v_dual_mov_b32 v2, 0 :: v_dual_lshlrev_b32 v1, 7, v1
	s_lshl_b64 s[6:7], s[6:7], 1
	v_dual_mov_b32 v29, 0 :: v_dual_mov_b32 v30, 0
	s_add_u32 s34, s4, s6
	s_addc_u32 s35, s5, s7
	s_lshl_b32 s41, s40, 7
	v_lshlrev_b64 v[3:4], 1, v[1:2]
	s_add_i32 s42, s41, 0xffffff80
	s_cmpk_lt_i32 s22, 0x100
	v_lshlrev_b32_e32 v1, 1, v0
	s_cselect_b32 s4, s42, 0
	v_dual_mov_b32 v31, 0 :: v_dual_mov_b32 v32, 0
	s_ashr_i32 s5, s4, 31
	v_add_co_u32 v3, vcc_lo, s34, v3
	s_lshl_b64 s[4:5], s[4:5], 1
	s_cmpk_lt_i32 s22, 0x200
	v_add_co_ci_u32_e32 v4, vcc_lo, s35, v4, vcc_lo
	s_cselect_b32 s6, s42, 0x80
	v_add_co_u32 v1, vcc_lo, v3, v1
	s_ashr_i32 s7, s6, 31
	s_delay_alu instid0(VALU_DEP_2)
	v_add_co_ci_u32_e32 v3, vcc_lo, 0, v4, vcc_lo
	s_lshl_b64 s[6:7], s[6:7], 1
	s_cmpk_lt_i32 s22, 0x300
	v_add_co_u32 v4, vcc_lo, v1, s4
	s_cselect_b32 s8, s42, 0x100
	v_add_co_ci_u32_e32 v5, vcc_lo, s5, v3, vcc_lo
	s_ashr_i32 s9, s8, 31
	v_add_co_u32 v8, vcc_lo, v1, s6
	s_lshl_b64 s[8:9], s[8:9], 1
	s_cmpk_lt_i32 s22, 0x400
	v_add_co_ci_u32_e32 v9, vcc_lo, s7, v3, vcc_lo
	s_cselect_b32 s10, s42, 0x180
	v_add_co_u32 v10, vcc_lo, v1, s8
	s_ashr_i32 s11, s10, 31
	v_add_co_ci_u32_e32 v11, vcc_lo, s9, v3, vcc_lo
	s_lshl_b64 s[10:11], s[10:11], 1
	s_cmpk_lt_i32 s22, 0x500
	v_add_co_u32 v12, vcc_lo, v1, s10
	s_cselect_b32 s18, s42, 0x200
	v_add_co_ci_u32_e32 v13, vcc_lo, s11, v3, vcc_lo
	s_ashr_i32 s19, s18, 31
	v_dual_mov_b32 v33, 0 :: v_dual_mov_b32 v34, 0
	s_lshl_b64 s[18:19], s[18:19], 1
	s_cmpk_lt_i32 s22, 0x600
	v_add_co_u32 v14, vcc_lo, v1, s18
	s_cselect_b32 s20, s42, 0x280
	v_add_co_ci_u32_e32 v15, vcc_lo, s19, v3, vcc_lo
	s_ashr_i32 s21, s20, 31
	v_mov_b32_e32 v35, 0
	s_lshl_b64 s[20:21], s[20:21], 1
	s_cmpk_lt_i32 s22, 0x700
	v_add_co_u32 v16, vcc_lo, v1, s20
	s_cselect_b32 s24, s42, 0x300
	v_add_co_ci_u32_e32 v17, vcc_lo, s21, v3, vcc_lo
	s_ashr_i32 s25, s24, 31
	s_delay_alu instid0(SALU_CYCLE_1)
	s_lshl_b64 s[24:25], s[24:25], 1
	s_cmpk_lt_i32 s22, 0x800
	v_add_co_u32 v18, vcc_lo, v1, s24
	s_cselect_b32 s26, s42, 0x380
	v_add_co_ci_u32_e32 v19, vcc_lo, s25, v3, vcc_lo
	s_ashr_i32 s27, s26, 31
	s_delay_alu instid0(SALU_CYCLE_1)
	s_lshl_b64 s[26:27], s[26:27], 1
	s_cmpk_lt_i32 s22, 0x900
	v_add_co_u32 v20, vcc_lo, v1, s26
	s_cselect_b32 s28, s42, 0x400
	v_add_co_ci_u32_e32 v21, vcc_lo, s27, v3, vcc_lo
	s_ashr_i32 s29, s28, 31
	s_clause 0x7
	global_load_u16 v7, v[4:5], off
	global_load_u16 v8, v[8:9], off
	;; [unrolled: 1-line block ×8, first 2 shown]
	s_lshl_b64 s[28:29], s[28:29], 1
	s_cmpk_lt_i32 s22, 0xa00
	v_add_co_u32 v12, vcc_lo, v1, s28
	s_cselect_b32 s30, s42, 0x480
	v_add_co_ci_u32_e32 v13, vcc_lo, s29, v3, vcc_lo
	s_ashr_i32 s31, s30, 31
	s_delay_alu instid0(SALU_CYCLE_1)
	s_lshl_b64 s[30:31], s[30:31], 1
	s_cmpk_lt_i32 s22, 0xb00
	v_add_co_u32 v15, vcc_lo, v1, s30
	s_cselect_b32 s34, s42, 0x500
	v_add_co_ci_u32_e32 v16, vcc_lo, s31, v3, vcc_lo
	s_ashr_i32 s35, s34, 31
	s_delay_alu instid0(SALU_CYCLE_1)
	s_lshl_b64 s[4:5], s[34:35], 1
	s_cmpk_lt_i32 s22, 0xc00
	v_add_co_u32 v17, vcc_lo, v1, s4
	s_cselect_b32 s6, s42, 0x580
	v_add_co_ci_u32_e32 v18, vcc_lo, s5, v3, vcc_lo
	s_ashr_i32 s7, s6, 31
	s_delay_alu instid0(SALU_CYCLE_1)
	s_lshl_b64 s[6:7], s[6:7], 1
	s_cmpk_lt_i32 s22, 0xd00
	v_add_co_u32 v19, vcc_lo, v1, s6
	s_cselect_b32 s8, s42, 0x600
	v_add_co_ci_u32_e32 v20, vcc_lo, s7, v3, vcc_lo
	s_ashr_i32 s9, s8, 31
	s_delay_alu instid0(SALU_CYCLE_1)
	s_lshl_b64 s[8:9], s[8:9], 1
	s_cmpk_lt_i32 s22, 0xe00
	v_add_co_u32 v21, vcc_lo, v1, s8
	s_cselect_b32 s10, s42, 0x680
	v_add_co_ci_u32_e32 v22, vcc_lo, s9, v3, vcc_lo
	s_ashr_i32 s11, s10, 31
	s_delay_alu instid0(SALU_CYCLE_1)
	s_lshl_b64 s[10:11], s[10:11], 1
	s_cmpk_lt_i32 s22, 0xf00
	v_add_co_u32 v23, vcc_lo, v1, s10
	s_cselect_b32 s18, s42, 0x700
	v_add_co_ci_u32_e32 v24, vcc_lo, s11, v3, vcc_lo
	s_ashr_i32 s19, s18, 31
	s_delay_alu instid0(SALU_CYCLE_1)
	s_lshl_b64 s[4:5], s[18:19], 1
	s_cmpk_lt_i32 s22, 0x1000
	v_add_co_u32 v25, vcc_lo, v1, s4
	s_cselect_b32 s6, s42, 0x780
	v_add_co_ci_u32_e32 v26, vcc_lo, s5, v3, vcc_lo
	s_ashr_i32 s7, s6, 31
	s_delay_alu instid0(SALU_CYCLE_1)
	s_lshl_b64 s[4:5], s[6:7], 1
	s_cmpk_gt_i32 s23, 0x1000
	v_add_co_u32 v27, vcc_lo, v1, s4
	v_add_co_ci_u32_e32 v28, vcc_lo, s5, v3, vcc_lo
	s_clause 0x7
	global_load_u16 v14, v[12:13], off
	global_load_u16 v15, v[15:16], off
	;; [unrolled: 1-line block ×8, first 2 shown]
	v_dual_mov_b32 v20, 0 :: v_dual_mov_b32 v21, 0
	v_dual_mov_b32 v22, 0 :: v_dual_mov_b32 v23, 0
	;; [unrolled: 1-line block ×4, first 2 shown]
	v_mov_b32_e32 v28, 0
	s_cselect_b32 s8, -1, 0
	s_cmpk_lt_i32 s23, 0x1001
	s_waitcnt vmcnt(0)
	s_barrier
	buffer_gl0_inv
	s_cbranch_scc1 .LBB217_11
; %bb.10:
	s_cmpk_lt_i32 s22, 0x1100
	s_cselect_b32 s4, s42, 0x800
	s_delay_alu instid0(SALU_CYCLE_1) | instskip(NEXT) | instid1(SALU_CYCLE_1)
	s_ashr_i32 s5, s4, 31
	s_lshl_b64 s[4:5], s[4:5], 1
	s_cmpk_lt_i32 s22, 0x1200
	v_add_co_u32 v20, vcc_lo, v1, s4
	s_cselect_b32 s6, s42, 0x880
	v_add_co_ci_u32_e32 v21, vcc_lo, s5, v3, vcc_lo
	s_ashr_i32 s7, s6, 31
	s_delay_alu instid0(SALU_CYCLE_1)
	s_lshl_b64 s[6:7], s[6:7], 1
	s_cmpk_lt_i32 s22, 0x1300
	v_add_co_u32 v22, vcc_lo, v1, s6
	s_cselect_b32 s10, s42, 0x900
	v_add_co_ci_u32_e32 v23, vcc_lo, s7, v3, vcc_lo
	s_ashr_i32 s11, s10, 31
	s_delay_alu instid0(SALU_CYCLE_1)
	;; [unrolled: 7-line block ×7, first 2 shown]
	s_lshl_b64 s[28:29], s[28:29], 1
	s_cmpk_lt_i32 s22, 0x1900
	v_add_co_u32 v34, vcc_lo, v1, s28
	s_cselect_b32 s30, s42, 0xc00
	v_add_co_ci_u32_e32 v35, vcc_lo, s29, v3, vcc_lo
	s_ashr_i32 s31, s30, 31
	s_clause 0x7
	global_load_u16 v36, v[20:21], off
	global_load_u16 v37, v[22:23], off
	;; [unrolled: 1-line block ×8, first 2 shown]
	s_lshl_b64 s[30:31], s[30:31], 1
	s_cmpk_lt_i32 s22, 0x1a00
	v_add_co_u32 v20, vcc_lo, v1, s30
	s_cselect_b32 s34, s42, 0xc80
	v_add_co_ci_u32_e32 v21, vcc_lo, s31, v3, vcc_lo
	s_ashr_i32 s35, s34, 31
	s_delay_alu instid0(SALU_CYCLE_1)
	s_lshl_b64 s[34:35], s[34:35], 1
	s_cmpk_lt_i32 s22, 0x1b00
	v_add_co_u32 v22, vcc_lo, v1, s34
	s_cselect_b32 s36, s42, 0xd00
	v_add_co_ci_u32_e32 v23, vcc_lo, s35, v3, vcc_lo
	s_ashr_i32 s37, s36, 31
	s_delay_alu instid0(SALU_CYCLE_1)
	;; [unrolled: 7-line block ×6, first 2 shown]
	s_lshl_b64 s[4:5], s[20:21], 1
	s_cmpk_lt_i32 s22, 0x2000
	v_add_co_u32 v32, vcc_lo, v1, s4
	s_cselect_b32 s6, s42, 0xf80
	v_add_co_ci_u32_e32 v33, vcc_lo, s5, v3, vcc_lo
	s_ashr_i32 s7, s6, 31
	s_delay_alu instid0(SALU_CYCLE_1) | instskip(NEXT) | instid1(SALU_CYCLE_1)
	s_lshl_b64 s[4:5], s[6:7], 1
	v_add_co_u32 v34, vcc_lo, v1, s4
	v_add_co_ci_u32_e32 v35, vcc_lo, s5, v3, vcc_lo
	s_clause 0x7
	global_load_u16 v20, v[20:21], off
	global_load_u16 v21, v[22:23], off
	global_load_u16 v22, v[24:25], off
	global_load_u16 v23, v[26:27], off
	global_load_u16 v44, v[28:29], off
	global_load_u16 v45, v[30:31], off
	global_load_u16 v46, v[32:33], off
	global_load_u16 v47, v[34:35], off
	s_waitcnt vmcnt(15)
	v_cvt_f32_f16_e32 v35, v36
	s_waitcnt vmcnt(14)
	v_cvt_f32_f16_e32 v34, v37
	;; [unrolled: 2-line block ×16, first 2 shown]
.LBB217_11:
	ds_load_b128 v[36:39], v2
	ds_load_b128 v[40:43], v2 offset:16
	s_load_b64 s[0:1], s[0:1], 0x0
	s_and_b32 vcc_lo, exec_lo, s8
	s_waitcnt lgkmcnt(0)
	v_fma_mix_f32 v7, v36, v7, 0 op_sel_hi:[0,1,0]
	s_delay_alu instid0(VALU_DEP_1) | instskip(NEXT) | instid1(VALU_DEP_1)
	v_fma_mix_f32 v7, v37, v8, v7 op_sel_hi:[0,1,0]
	v_fma_mix_f32 v7, v38, v9, v7 op_sel_hi:[0,1,0]
	s_delay_alu instid0(VALU_DEP_1) | instskip(SKIP_4) | instid1(VALU_DEP_1)
	v_fma_mix_f32 v7, v39, v10, v7 op_sel_hi:[0,1,0]
	ds_load_b128 v[36:39], v2 offset:48
	v_fma_mix_f32 v11, v40, v11, v7 op_sel_hi:[0,1,0]
	ds_load_b128 v[7:10], v2 offset:32
	v_fma_mix_f32 v4, v41, v4, v11 op_sel_hi:[0,1,0]
	v_fma_mix_f32 v4, v42, v5, v4 op_sel_hi:[0,1,0]
	s_delay_alu instid0(VALU_DEP_1) | instskip(SKIP_1) | instid1(VALU_DEP_1)
	v_fma_mix_f32 v4, v43, v6, v4 op_sel_hi:[0,1,0]
	s_waitcnt lgkmcnt(0)
	v_fma_mix_f32 v4, v7, v14, v4 op_sel_hi:[0,1,0]
	s_delay_alu instid0(VALU_DEP_1) | instskip(NEXT) | instid1(VALU_DEP_1)
	v_fma_mix_f32 v4, v8, v15, v4 op_sel_hi:[0,1,0]
	v_fma_mix_f32 v4, v9, v16, v4 op_sel_hi:[0,1,0]
	s_delay_alu instid0(VALU_DEP_1) | instskip(NEXT) | instid1(VALU_DEP_1)
	v_fma_mix_f32 v4, v10, v17, v4 op_sel_hi:[0,1,0]
	;; [unrolled: 3-line block ×3, first 2 shown]
	v_fma_mix_f32 v4, v38, v13, v4 op_sel_hi:[0,1,0]
	s_delay_alu instid0(VALU_DEP_1)
	v_fma_mix_f32 v4, v39, v19, v4 op_sel_hi:[0,1,0]
	s_cbranch_vccz .LBB217_13
; %bb.12:
	ds_load_b128 v[5:8], v2 offset:64
	ds_load_b128 v[9:12], v2 offset:80
	s_waitcnt lgkmcnt(1)
	v_fmac_f32_e32 v4, v5, v35
	s_delay_alu instid0(VALU_DEP_1) | instskip(NEXT) | instid1(VALU_DEP_1)
	v_fmac_f32_e32 v4, v6, v34
	v_fmac_f32_e32 v4, v7, v33
	s_delay_alu instid0(VALU_DEP_1) | instskip(SKIP_3) | instid1(VALU_DEP_1)
	v_fmac_f32_e32 v4, v8, v32
	ds_load_b128 v[5:8], v2 offset:96
	s_waitcnt lgkmcnt(1)
	v_fmac_f32_e32 v4, v9, v31
	v_fmac_f32_e32 v4, v10, v30
	s_delay_alu instid0(VALU_DEP_1) | instskip(NEXT) | instid1(VALU_DEP_1)
	v_fmac_f32_e32 v4, v11, v29
	v_fmac_f32_e32 v4, v12, v28
	ds_load_b128 v[9:12], v2 offset:112
	s_waitcnt lgkmcnt(1)
	v_fmac_f32_e32 v4, v5, v27
	s_delay_alu instid0(VALU_DEP_1) | instskip(NEXT) | instid1(VALU_DEP_1)
	v_fmac_f32_e32 v4, v6, v26
	v_fmac_f32_e32 v4, v7, v25
	s_delay_alu instid0(VALU_DEP_1) | instskip(SKIP_1) | instid1(VALU_DEP_1)
	v_fmac_f32_e32 v4, v8, v24
	s_waitcnt lgkmcnt(0)
	v_fmac_f32_e32 v4, v9, v23
	s_delay_alu instid0(VALU_DEP_1) | instskip(NEXT) | instid1(VALU_DEP_1)
	v_fmac_f32_e32 v4, v10, v22
	v_fmac_f32_e32 v4, v11, v21
	s_delay_alu instid0(VALU_DEP_1)
	v_fmac_f32_e32 v4, v12, v20
.LBB217_13:
	s_movk_i32 s43, 0x1f80
	s_movk_i32 s44, 0x80
	s_mov_b32 s45, 32
	s_branch .LBB217_15
.LBB217_14:                             ;   in Loop: Header=BB217_15 Depth=1
	s_addk_i32 s43, 0x1000
	s_addk_i32 s44, 0x80
	s_add_i32 s45, s45, 32
	s_cmpk_eq_u32 s43, 0x8f80
	s_cbranch_scc1 .LBB217_17
.LBB217_15:                             ; =>This Inner Loop Header: Depth=1
	s_cmp_le_i32 s40, s45
	s_cbranch_scc1 .LBB217_14
; %bb.16:                               ;   in Loop: Header=BB217_15 Depth=1
	s_add_i32 s4, s43, 0xfffff080
	v_mov_b32_e32 v44, s44
	s_cmp_lt_i32 s4, s41
	s_cselect_b32 s4, s4, s42
	s_add_i32 s6, s43, 0xfffff100
	s_ashr_i32 s5, s4, 31
	s_delay_alu instid0(SALU_CYCLE_1)
	s_lshl_b64 s[4:5], s[4:5], 1
	s_cmp_lt_i32 s6, s41
	v_add_co_u32 v5, vcc_lo, v1, s4
	s_cselect_b32 s6, s6, s42
	s_add_i32 s10, s43, 0xfffff180
	s_ashr_i32 s7, s6, 31
	v_add_co_ci_u32_e32 v6, vcc_lo, s5, v3, vcc_lo
	s_lshl_b64 s[8:9], s[6:7], 1
	s_cmp_lt_i32 s10, s41
	v_add_co_u32 v7, vcc_lo, v1, s8
	s_cselect_b32 s6, s10, s42
	s_add_i32 s10, s43, 0xfffff200
	s_ashr_i32 s7, s6, 31
	v_add_co_ci_u32_e32 v8, vcc_lo, s9, v3, vcc_lo
	;; [unrolled: 7-line block ×8, first 2 shown]
	s_lshl_b64 s[24:25], s[20:21], 1
	s_cmp_lt_i32 s28, s41
	s_clause 0x7
	global_load_u16 v2, v[5:6], off
	global_load_u16 v21, v[7:8], off
	;; [unrolled: 1-line block ×8, first 2 shown]
	s_cselect_b32 s20, s28, s42
	s_add_i32 s28, s43, 0xfffff580
	s_ashr_i32 s21, s20, 31
	v_add_co_u32 v5, vcc_lo, v1, s24
	s_lshl_b64 s[20:21], s[20:21], 1
	s_cmp_lt_i32 s28, s41
	v_add_co_ci_u32_e32 v6, vcc_lo, s25, v3, vcc_lo
	s_cselect_b32 s28, s28, s42
	s_add_i32 s36, s43, 0xfffff600
	s_ashr_i32 s29, s28, 31
	v_add_co_u32 v7, vcc_lo, v1, s20
	s_lshl_b64 s[30:31], s[28:29], 1
	s_cmp_lt_i32 s36, s41
	v_add_co_ci_u32_e32 v8, vcc_lo, s21, v3, vcc_lo
	;; [unrolled: 7-line block ×8, first 2 shown]
	s_cselect_b32 s10, s10, s42
	s_add_i32 s18, s43, 0xfffff980
	s_ashr_i32 s11, s10, 31
	s_clause 0x7
	global_load_u16 v28, v[5:6], off
	global_load_u16 v29, v[7:8], off
	;; [unrolled: 1-line block ×8, first 2 shown]
	s_lshl_b64 s[10:11], s[10:11], 1
	s_cmp_lt_i32 s18, s41
	v_add_co_u32 v5, vcc_lo, v1, s4
	s_cselect_b32 s18, s18, s42
	s_add_i32 s22, s43, 0xfffffa00
	s_ashr_i32 s19, s18, 31
	v_add_co_ci_u32_e32 v6, vcc_lo, s5, v3, vcc_lo
	s_lshl_b64 s[18:19], s[18:19], 1
	s_cmp_lt_i32 s22, s41
	v_add_co_u32 v7, vcc_lo, v1, s10
	s_cselect_b32 s20, s22, s42
	s_add_i32 s22, s43, 0xfffffa80
	s_ashr_i32 s21, s20, 31
	v_add_co_ci_u32_e32 v8, vcc_lo, s11, v3, vcc_lo
	;; [unrolled: 7-line block ×5, first 2 shown]
	s_lshl_b64 s[6:7], s[6:7], 1
	s_cmp_lt_i32 s24, s41
	s_clause 0x4
	global_load_u16 v19, v[5:6], off
	global_load_u16 v20, v[7:8], off
	;; [unrolled: 1-line block ×5, first 2 shown]
	s_cselect_b32 s4, s24, s42
	s_add_i32 s10, s43, 0xfffffc80
	s_ashr_i32 s5, s4, 31
	v_add_co_u32 v5, vcc_lo, v1, s8
	s_lshl_b64 s[4:5], s[4:5], 1
	s_cmp_lt_i32 s10, s41
	v_add_co_ci_u32_e32 v6, vcc_lo, s9, v3, vcc_lo
	s_cselect_b32 s10, s10, s42
	s_add_i32 s18, s43, 0xfffffd00
	s_ashr_i32 s11, s10, 31
	v_add_co_u32 v7, vcc_lo, v1, s6
	s_lshl_b64 s[10:11], s[10:11], 1
	s_cmp_lt_i32 s18, s41
	v_add_co_ci_u32_e32 v8, vcc_lo, s7, v3, vcc_lo
	s_cselect_b32 s18, s18, s42
	s_add_i32 s20, s43, 0xfffffd80
	s_ashr_i32 s19, s18, 31
	v_add_co_u32 v9, vcc_lo, v1, s4
	s_lshl_b64 s[18:19], s[18:19], 1
	s_cmp_lt_i32 s20, s41
	global_load_u16 v37, v[5:6], off
	s_cselect_b32 s8, s20, s42
	s_add_i32 s20, s43, 0xfffffe00
	s_ashr_i32 s9, s8, 31
	v_add_co_ci_u32_e32 v10, vcc_lo, s5, v3, vcc_lo
	s_lshl_b64 s[6:7], s[8:9], 1
	s_cmp_lt_i32 s20, s41
	v_add_co_u32 v11, vcc_lo, v1, s10
	s_cselect_b32 s4, s20, s42
	s_clause 0x1
	global_load_u16 v38, v[7:8], off
	global_load_u16 v39, v[9:10], off
	v_add_co_ci_u32_e32 v12, vcc_lo, s11, v3, vcc_lo
	s_ashr_i32 s5, s4, 31
	s_add_i32 s8, s43, 0xfffffe80
	v_add_co_u32 v13, vcc_lo, v1, s18
	s_lshl_b64 s[4:5], s[4:5], 1
	s_cmp_lt_i32 s8, s41
	v_add_co_ci_u32_e32 v14, vcc_lo, s19, v3, vcc_lo
	v_add_co_u32 v15, vcc_lo, v1, s6
	s_cselect_b32 s8, s8, s42
	v_add_co_ci_u32_e32 v16, vcc_lo, s7, v3, vcc_lo
	s_ashr_i32 s9, s8, 31
	s_add_i32 s10, s43, 0xffffff00
	s_lshl_b64 s[6:7], s[8:9], 1
	s_clause 0x2
	global_load_u16 v40, v[11:12], off
	global_load_u16 v13, v[13:14], off
	;; [unrolled: 1-line block ×3, first 2 shown]
	s_cmp_lt_i32 s10, s41
	v_add_co_u32 v5, vcc_lo, v1, s4
	s_cselect_b32 s8, s10, s42
	s_add_i32 s10, s43, 0xffffff80
	s_ashr_i32 s9, s8, 31
	v_add_co_ci_u32_e32 v6, vcc_lo, s5, v3, vcc_lo
	s_lshl_b64 s[8:9], s[8:9], 1
	s_cmp_lt_i32 s10, s41
	v_add_co_u32 v7, vcc_lo, v1, s6
	s_cselect_b32 s4, s10, s42
	v_add_co_ci_u32_e32 v8, vcc_lo, s7, v3, vcc_lo
	s_ashr_i32 s5, s4, 31
	v_add_co_u32 v9, vcc_lo, v1, s8
	global_load_u16 v15, v[5:6], off
	s_lshl_b64 s[4:5], s[4:5], 1
	v_add_co_ci_u32_e32 v10, vcc_lo, s9, v3, vcc_lo
	s_cmp_lt_i32 s43, s41
	s_clause 0x1
	global_load_u16 v16, v[7:8], off
	global_load_u16 v41, v[9:10], off
	s_cselect_b32 s6, s43, s42
	v_add_co_u32 v5, vcc_lo, v1, s4
	s_ashr_i32 s7, s6, 31
	v_add_co_ci_u32_e32 v6, vcc_lo, s5, v3, vcc_lo
	s_lshl_b64 s[4:5], s[6:7], 1
	s_delay_alu instid0(SALU_CYCLE_1)
	v_add_co_u32 v7, vcc_lo, v1, s4
	v_add_co_ci_u32_e32 v8, vcc_lo, s5, v3, vcc_lo
	s_clause 0x1
	global_load_u16 v42, v[5:6], off
	global_load_u16 v43, v[7:8], off
	ds_load_b128 v[5:8], v44
	ds_load_b128 v[9:12], v44 offset:16
	s_waitcnt vmcnt(31) lgkmcnt(1)
	v_fma_mix_f32 v2, v5, v2, v4 op_sel_hi:[0,1,0]
	s_waitcnt vmcnt(30)
	s_delay_alu instid0(VALU_DEP_1) | instskip(SKIP_1) | instid1(VALU_DEP_1)
	v_fma_mix_f32 v2, v6, v21, v2 op_sel_hi:[0,1,0]
	s_waitcnt vmcnt(29)
	v_fma_mix_f32 v2, v7, v22, v2 op_sel_hi:[0,1,0]
	ds_load_b128 v[4:7], v44 offset:32
	s_waitcnt vmcnt(28)
	v_fma_mix_f32 v2, v8, v23, v2 op_sel_hi:[0,1,0]
	s_waitcnt vmcnt(27) lgkmcnt(1)
	s_delay_alu instid0(VALU_DEP_1) | instskip(SKIP_1) | instid1(VALU_DEP_1)
	v_fma_mix_f32 v2, v9, v24, v2 op_sel_hi:[0,1,0]
	s_waitcnt vmcnt(26)
	v_fma_mix_f32 v2, v10, v25, v2 op_sel_hi:[0,1,0]
	s_waitcnt vmcnt(25)
	s_delay_alu instid0(VALU_DEP_1) | instskip(SKIP_4) | instid1(VALU_DEP_1)
	v_fma_mix_f32 v2, v11, v26, v2 op_sel_hi:[0,1,0]
	ds_load_b128 v[8:11], v44 offset:48
	s_waitcnt vmcnt(24)
	v_fma_mix_f32 v2, v12, v27, v2 op_sel_hi:[0,1,0]
	s_waitcnt vmcnt(23) lgkmcnt(1)
	v_fma_mix_f32 v2, v4, v28, v2 op_sel_hi:[0,1,0]
	s_waitcnt vmcnt(22)
	s_delay_alu instid0(VALU_DEP_1) | instskip(SKIP_1) | instid1(VALU_DEP_1)
	v_fma_mix_f32 v2, v5, v29, v2 op_sel_hi:[0,1,0]
	s_waitcnt vmcnt(21)
	v_fma_mix_f32 v2, v6, v30, v2 op_sel_hi:[0,1,0]
	s_waitcnt vmcnt(20)
	s_delay_alu instid0(VALU_DEP_1) | instskip(SKIP_4) | instid1(VALU_DEP_1)
	v_fma_mix_f32 v2, v7, v31, v2 op_sel_hi:[0,1,0]
	ds_load_b128 v[4:7], v44 offset:64
	s_waitcnt vmcnt(19) lgkmcnt(1)
	v_fma_mix_f32 v2, v8, v32, v2 op_sel_hi:[0,1,0]
	s_waitcnt vmcnt(18)
	v_fma_mix_f32 v2, v9, v33, v2 op_sel_hi:[0,1,0]
	s_waitcnt vmcnt(17)
	s_delay_alu instid0(VALU_DEP_1) | instskip(SKIP_1) | instid1(VALU_DEP_1)
	v_fma_mix_f32 v2, v10, v17, v2 op_sel_hi:[0,1,0]
	s_waitcnt vmcnt(16)
	v_fma_mix_f32 v2, v11, v18, v2 op_sel_hi:[0,1,0]
	ds_load_b128 v[8:11], v44 offset:80
	s_waitcnt vmcnt(15) lgkmcnt(1)
	v_fma_mix_f32 v2, v4, v19, v2 op_sel_hi:[0,1,0]
	s_waitcnt vmcnt(14)
	s_delay_alu instid0(VALU_DEP_1) | instskip(SKIP_1) | instid1(VALU_DEP_1)
	v_fma_mix_f32 v2, v5, v20, v2 op_sel_hi:[0,1,0]
	s_waitcnt vmcnt(13)
	v_fma_mix_f32 v2, v6, v34, v2 op_sel_hi:[0,1,0]
	s_waitcnt vmcnt(12)
	s_delay_alu instid0(VALU_DEP_1) | instskip(SKIP_4) | instid1(VALU_DEP_1)
	v_fma_mix_f32 v2, v7, v35, v2 op_sel_hi:[0,1,0]
	ds_load_b128 v[4:7], v44 offset:96
	s_waitcnt vmcnt(11) lgkmcnt(1)
	v_fma_mix_f32 v2, v8, v36, v2 op_sel_hi:[0,1,0]
	s_waitcnt vmcnt(10)
	v_fma_mix_f32 v2, v9, v37, v2 op_sel_hi:[0,1,0]
	s_waitcnt vmcnt(9)
	s_delay_alu instid0(VALU_DEP_1) | instskip(SKIP_1) | instid1(VALU_DEP_1)
	v_fma_mix_f32 v2, v10, v38, v2 op_sel_hi:[0,1,0]
	s_waitcnt vmcnt(8)
	v_fma_mix_f32 v2, v11, v39, v2 op_sel_hi:[0,1,0]
	ds_load_b128 v[8:11], v44 offset:112
	s_waitcnt vmcnt(7) lgkmcnt(1)
	v_fma_mix_f32 v2, v4, v40, v2 op_sel_hi:[0,1,0]
	s_waitcnt vmcnt(6)
	s_delay_alu instid0(VALU_DEP_1) | instskip(SKIP_1) | instid1(VALU_DEP_1)
	v_fma_mix_f32 v2, v5, v13, v2 op_sel_hi:[0,1,0]
	s_waitcnt vmcnt(5)
	v_fma_mix_f32 v2, v6, v14, v2 op_sel_hi:[0,1,0]
	s_waitcnt vmcnt(4)
	s_delay_alu instid0(VALU_DEP_1) | instskip(SKIP_1) | instid1(VALU_DEP_1)
	v_fma_mix_f32 v2, v7, v15, v2 op_sel_hi:[0,1,0]
	s_waitcnt vmcnt(3) lgkmcnt(0)
	v_fma_mix_f32 v2, v8, v16, v2 op_sel_hi:[0,1,0]
	s_waitcnt vmcnt(2)
	s_delay_alu instid0(VALU_DEP_1) | instskip(SKIP_1) | instid1(VALU_DEP_1)
	v_fma_mix_f32 v2, v9, v41, v2 op_sel_hi:[0,1,0]
	s_waitcnt vmcnt(1)
	v_fma_mix_f32 v2, v10, v42, v2 op_sel_hi:[0,1,0]
	s_waitcnt vmcnt(0)
	s_delay_alu instid0(VALU_DEP_1)
	v_fma_mix_f32 v4, v11, v43, v2 op_sel_hi:[0,1,0]
	s_branch .LBB217_14
.LBB217_17:
	v_mov_b32_e32 v1, 0
	s_and_b32 vcc_lo, exec_lo, s15
	ds_load_b32 v1, v1 offset:1024
	s_cbranch_vccz .LBB217_19
; %bb.18:
	s_add_u32 s2, s12, s16
	s_addc_u32 s3, s13, s17
	s_load_b32 s2, s[2:3], 0x0
	s_mov_b32 s3, 0
.LBB217_19:
	s_waitcnt lgkmcnt(0)
	v_add_f32_e32 v1, 0x358637bd, v1
	s_mul_i32 s3, s33, s3
	s_mul_hi_u32 s4, s33, s2
	s_mul_i32 s2, s33, s2
	s_add_i32 s3, s4, s3
	v_div_scale_f32 v2, null, v1, v1, 1.0
	v_div_scale_f32 v6, vcc_lo, 1.0, v1, 1.0
	s_lshl_b64 s[2:3], s[2:3], 7
	s_delay_alu instid0(VALU_DEP_2) | instskip(SKIP_4) | instid1(SALU_CYCLE_1)
	v_rcp_f32_e32 v3, v2
	s_mov_b32 s15, 0
	s_add_u32 s2, s0, s2
	s_addc_u32 s3, s1, s3
	s_lshl_b64 s[0:1], s[14:15], 7
	s_add_u32 s0, s2, s0
	s_addc_u32 s1, s3, s1
	v_add_co_u32 v0, s0, s0, v0
	s_waitcnt_depctr 0xfff
	v_fma_f32 v5, -v2, v3, 1.0
	s_delay_alu instid0(VALU_DEP_1) | instskip(NEXT) | instid1(VALU_DEP_1)
	v_fmac_f32_e32 v3, v5, v3
	v_mul_f32_e32 v5, v6, v3
	s_delay_alu instid0(VALU_DEP_1) | instskip(NEXT) | instid1(VALU_DEP_1)
	v_fma_f32 v7, -v2, v5, v6
	v_fmac_f32_e32 v5, v7, v3
	s_delay_alu instid0(VALU_DEP_1) | instskip(NEXT) | instid1(VALU_DEP_1)
	v_fma_f32 v2, -v2, v5, v6
	v_div_fmas_f32 v2, v2, v3, v5
	s_delay_alu instid0(VALU_DEP_1) | instskip(NEXT) | instid1(VALU_DEP_1)
	v_div_fixup_f32 v1, v2, v1, 1.0
	v_fma_mixlo_f16 v1, v4, v1, 0
	s_delay_alu instid0(VALU_DEP_1)
	v_cvt_i16_f16_e32 v2, v1
	v_add_co_ci_u32_e64 v1, null, s1, 0, s0
	global_store_b8 v[0:1], v2, off
	s_nop 0
	s_sendmsg sendmsg(MSG_DEALLOC_VGPRS)
	s_endpgm
.LBB217_20:
	s_mov_b32 s4, 0
	s_branch .LBB217_2
	.section	.rodata,"a",@progbits
	.p2align	6, 0x0
	.amdhsa_kernel _Z35paged_attention_ll4mi_reduce_kernelIDF16_hLi128ELi128ELi256ELi8EEvPT0_PKfS3_PKT_PKiS8_iS3_
		.amdhsa_group_segment_fixed_size 1028
		.amdhsa_private_segment_fixed_size 0
		.amdhsa_kernarg_size 320
		.amdhsa_user_sgpr_count 14
		.amdhsa_user_sgpr_dispatch_ptr 0
		.amdhsa_user_sgpr_queue_ptr 0
		.amdhsa_user_sgpr_kernarg_segment_ptr 1
		.amdhsa_user_sgpr_dispatch_id 0
		.amdhsa_user_sgpr_private_segment_size 0
		.amdhsa_wavefront_size32 1
		.amdhsa_uses_dynamic_stack 0
		.amdhsa_enable_private_segment 0
		.amdhsa_system_sgpr_workgroup_id_x 1
		.amdhsa_system_sgpr_workgroup_id_y 1
		.amdhsa_system_sgpr_workgroup_id_z 0
		.amdhsa_system_sgpr_workgroup_info 0
		.amdhsa_system_vgpr_workitem_id 0
		.amdhsa_next_free_vgpr 48
		.amdhsa_next_free_sgpr 47
		.amdhsa_reserve_vcc 1
		.amdhsa_float_round_mode_32 0
		.amdhsa_float_round_mode_16_64 0
		.amdhsa_float_denorm_mode_32 3
		.amdhsa_float_denorm_mode_16_64 3
		.amdhsa_dx10_clamp 1
		.amdhsa_ieee_mode 1
		.amdhsa_fp16_overflow 0
		.amdhsa_workgroup_processor_mode 1
		.amdhsa_memory_ordered 1
		.amdhsa_forward_progress 0
		.amdhsa_shared_vgpr_count 0
		.amdhsa_exception_fp_ieee_invalid_op 0
		.amdhsa_exception_fp_denorm_src 0
		.amdhsa_exception_fp_ieee_div_zero 0
		.amdhsa_exception_fp_ieee_overflow 0
		.amdhsa_exception_fp_ieee_underflow 0
		.amdhsa_exception_fp_ieee_inexact 0
		.amdhsa_exception_int_div_zero 0
	.end_amdhsa_kernel
	.section	.text._Z35paged_attention_ll4mi_reduce_kernelIDF16_hLi128ELi128ELi256ELi8EEvPT0_PKfS3_PKT_PKiS8_iS3_,"axG",@progbits,_Z35paged_attention_ll4mi_reduce_kernelIDF16_hLi128ELi128ELi256ELi8EEvPT0_PKfS3_PKT_PKiS8_iS3_,comdat
.Lfunc_end217:
	.size	_Z35paged_attention_ll4mi_reduce_kernelIDF16_hLi128ELi128ELi256ELi8EEvPT0_PKfS3_PKT_PKiS8_iS3_, .Lfunc_end217-_Z35paged_attention_ll4mi_reduce_kernelIDF16_hLi128ELi128ELi256ELi8EEvPT0_PKfS3_PKT_PKiS8_iS3_
                                        ; -- End function
	.section	.AMDGPU.csdata,"",@progbits
; Kernel info:
; codeLenInByte = 6560
; NumSgprs: 49
; NumVgprs: 48
; ScratchSize: 0
; MemoryBound: 0
; FloatMode: 240
; IeeeMode: 1
; LDSByteSize: 1028 bytes/workgroup (compile time only)
; SGPRBlocks: 6
; VGPRBlocks: 5
; NumSGPRsForWavesPerEU: 49
; NumVGPRsForWavesPerEU: 48
; Occupancy: 16
; WaveLimiterHint : 0
; COMPUTE_PGM_RSRC2:SCRATCH_EN: 0
; COMPUTE_PGM_RSRC2:USER_SGPR: 14
; COMPUTE_PGM_RSRC2:TRAP_HANDLER: 0
; COMPUTE_PGM_RSRC2:TGID_X_EN: 1
; COMPUTE_PGM_RSRC2:TGID_Y_EN: 1
; COMPUTE_PGM_RSRC2:TGID_Z_EN: 0
; COMPUTE_PGM_RSRC2:TIDIG_COMP_CNT: 0
	.section	.text._Z39paged_attention_ll4mi_QKV_mfma16_kernelIDF16_DF16_LN4vllm18Fp8KVCacheDataTypeE0EhLi16ELi128ELi256ELb1ELi1EL8MFMAType0EEvPKT_PKT0_S8_ifPKiSA_SA_iPKfiiiPfSD_PS3_PT2_iSC_SC_,"axG",@progbits,_Z39paged_attention_ll4mi_QKV_mfma16_kernelIDF16_DF16_LN4vllm18Fp8KVCacheDataTypeE0EhLi16ELi128ELi256ELb1ELi1EL8MFMAType0EEvPKT_PKT0_S8_ifPKiSA_SA_iPKfiiiPfSD_PS3_PT2_iSC_SC_,comdat
	.protected	_Z39paged_attention_ll4mi_QKV_mfma16_kernelIDF16_DF16_LN4vllm18Fp8KVCacheDataTypeE0EhLi16ELi128ELi256ELb1ELi1EL8MFMAType0EEvPKT_PKT0_S8_ifPKiSA_SA_iPKfiiiPfSD_PS3_PT2_iSC_SC_ ; -- Begin function _Z39paged_attention_ll4mi_QKV_mfma16_kernelIDF16_DF16_LN4vllm18Fp8KVCacheDataTypeE0EhLi16ELi128ELi256ELb1ELi1EL8MFMAType0EEvPKT_PKT0_S8_ifPKiSA_SA_iPKfiiiPfSD_PS3_PT2_iSC_SC_
	.globl	_Z39paged_attention_ll4mi_QKV_mfma16_kernelIDF16_DF16_LN4vllm18Fp8KVCacheDataTypeE0EhLi16ELi128ELi256ELb1ELi1EL8MFMAType0EEvPKT_PKT0_S8_ifPKiSA_SA_iPKfiiiPfSD_PS3_PT2_iSC_SC_
	.p2align	8
	.type	_Z39paged_attention_ll4mi_QKV_mfma16_kernelIDF16_DF16_LN4vllm18Fp8KVCacheDataTypeE0EhLi16ELi128ELi256ELb1ELi1EL8MFMAType0EEvPKT_PKT0_S8_ifPKiSA_SA_iPKfiiiPfSD_PS3_PT2_iSC_SC_,@function
_Z39paged_attention_ll4mi_QKV_mfma16_kernelIDF16_DF16_LN4vllm18Fp8KVCacheDataTypeE0EhLi16ELi128ELi256ELb1ELi1EL8MFMAType0EEvPKT_PKT0_S8_ifPKiSA_SA_iPKfiiiPfSD_PS3_PT2_iSC_SC_: ; @_Z39paged_attention_ll4mi_QKV_mfma16_kernelIDF16_DF16_LN4vllm18Fp8KVCacheDataTypeE0EhLi16ELi128ELi256ELb1ELi1EL8MFMAType0EEvPKT_PKT0_S8_ifPKiSA_SA_iPKfiiiPfSD_PS3_PT2_iSC_SC_
; %bb.0:
	s_load_b64 s[4:5], s[0:1], 0x30
	s_mov_b32 s34, s13
	s_waitcnt lgkmcnt(0)
	s_cmp_lg_u64 s[4:5], 0
	s_cselect_b32 s6, -1, 0
	s_ashr_i32 s35, s13, 31
	s_cmp_eq_u64 s[4:5], 0
	s_cbranch_scc1 .LBB218_3
; %bb.1:
	s_lshl_b64 s[2:3], s[34:35], 2
	s_delay_alu instid0(SALU_CYCLE_1) | instskip(SKIP_4) | instid1(SALU_CYCLE_1)
	s_add_u32 s2, s4, s2
	s_addc_u32 s3, s5, s3
	s_load_b64 s[2:3], s[2:3], 0x0
	s_waitcnt lgkmcnt(0)
	s_sub_i32 s2, s3, s2
	s_cmp_eq_u32 s2, 1
	s_cselect_b32 s2, -1, 0
	s_delay_alu instid0(SALU_CYCLE_1)
	s_and_not1_b32 vcc_lo, exec_lo, s2
	s_cbranch_vccz .LBB218_4
.LBB218_2:
	s_endpgm
.LBB218_3:
.LBB218_4:
	s_load_b64 s[2:3], s[0:1], 0x28
	s_lshl_b64 s[8:9], s[34:35], 2
	s_waitcnt lgkmcnt(0)
	s_add_u32 s2, s2, s8
	s_addc_u32 s3, s3, s9
	s_lshl_b32 s84, s14, 8
	s_load_b32 s33, s[2:3], 0x0
	s_waitcnt lgkmcnt(0)
	s_cmp_ge_i32 s84, s33
	s_cbranch_scc1 .LBB218_2
; %bb.5:
	s_clause 0x1
	s_load_b128 s[80:83], s[0:1], 0x8
	s_load_b64 s[2:3], s[0:1], 0x20
	s_and_not1_b32 vcc_lo, exec_lo, s6
	s_mov_b64 s[6:7], s[34:35]
	s_cbranch_vccnz .LBB218_7
; %bb.6:
	s_add_u32 s4, s4, s8
	s_addc_u32 s5, s5, s9
	s_load_b32 s6, s[4:5], 0x0
.LBB218_7:
	s_load_b128 s[76:79], s[0:1], 0x48
	v_and_b32_e32 v137, 15, v0
	s_mov_b32 s12, exec_lo
                                        ; implicit-def: $sgpr68
                                        ; implicit-def: $sgpr60
                                        ; implicit-def: $sgpr24
                                        ; implicit-def: $sgpr44
                                        ; implicit-def: $sgpr52
                                        ; implicit-def: $sgpr36
                                        ; implicit-def: $sgpr16
                                        ; implicit-def: $sgpr4
	s_delay_alu instid0(VALU_DEP_1)
	v_cmpx_eq_u32_e32 0, v137
	s_cbranch_execz .LBB218_9
; %bb.8:
	s_load_b64 s[4:5], s[0:1], 0x0
	s_waitcnt lgkmcnt(0)
	s_mul_hi_i32 s7, s6, s76
	s_mul_i32 s6, s6, s76
	s_delay_alu instid0(SALU_CYCLE_1) | instskip(NEXT) | instid1(SALU_CYCLE_1)
	s_lshl_b64 s[6:7], s[6:7], 1
	s_add_u32 s6, s4, s6
	s_addc_u32 s7, s5, s7
	s_lshl_b32 s4, s15, 7
	s_delay_alu instid0(SALU_CYCLE_1) | instskip(NEXT) | instid1(SALU_CYCLE_1)
	s_ashr_i32 s5, s4, 31
	s_lshl_b64 s[4:5], s[4:5], 1
	s_delay_alu instid0(SALU_CYCLE_1)
	s_add_u32 s4, s6, s4
	s_addc_u32 s5, s7, s5
	s_clause 0x7
	s_load_b256 s[68:75], s[4:5], 0x0
	s_load_b256 s[60:67], s[4:5], 0x20
	;; [unrolled: 1-line block ×8, first 2 shown]
.LBB218_9:
	s_or_b32 exec_lo, exec_lo, s12
	s_waitcnt lgkmcnt(0)
	v_dual_mov_b32 v112, s75 :: v_dual_and_b32 v1, 0xef, v0
	s_add_i32 s76, s33, 15
	s_clause 0x1
	s_load_b32 s13, s[0:1], 0x38
	s_load_b32 s35, s[0:1], 0x1c
	v_dual_mov_b32 v111, s74 :: v_dual_add_nc_u32 v2, s84, v1
	s_mul_i32 s12, s15, s78
	s_ashr_i32 s78, s76, 31
	v_mov_b32_e32 v109, s72
	s_delay_alu instid0(VALU_DEP_2)
	v_ashrrev_i32_e32 v1, 31, v2
	v_cmp_gt_i32_e32 vcc_lo, s33, v2
	s_lshr_b32 s79, s78, 28
	v_mov_b32_e32 v107, s70
	s_add_i32 s76, s76, s79
	v_lshrrev_b32_e32 v3, 28, v1
	s_ashr_i32 s86, s76, 4
	v_mov_b32_e32 v105, s68
	s_add_i32 s86, s86, -1
	v_lshrrev_b32_e32 v140, 5, v0
	v_dual_mov_b32 v110, s73 :: v_dual_add_nc_u32 v1, v2, v3
	v_or_b32_e32 v2, 16, v2
	s_waitcnt lgkmcnt(0)
	s_mul_i32 s78, s34, s13
	v_mov_b32_e32 v108, s71
	v_ashrrev_i32_e32 v1, 4, v1
	s_ashr_i32 s79, s78, 31
	v_add_nc_u32_e32 v3, v2, v3
	s_lshl_b64 s[78:79], s[78:79], 2
	v_mov_b32_e32 v106, s69
	v_cndmask_b32_e32 v1, s86, v1, vcc_lo
	v_cmp_gt_i32_e32 vcc_lo, s33, v2
	v_ashrrev_i32_e32 v3, 4, v3
	s_add_u32 s76, s2, s78
	s_addc_u32 s85, s3, s79
	v_ashrrev_i32_e32 v2, 31, v1
	s_ashr_i32 s13, s12, 31
	v_cndmask_b32_e32 v3, s86, v3, vcc_lo
	s_lshl_b64 s[2:3], s[12:13], 1
	s_mov_b32 s68, 0
	v_lshlrev_b64 v[1:2], 2, v[1:2]
	s_add_u32 s96, s80, s2
	v_ashrrev_i32_e32 v4, 31, v3
	s_addc_u32 s97, s81, s3
	s_lshl_b32 s12, s14, 4
	s_mov_b32 s69, s68
	v_add_co_u32 v1, vcc_lo, s76, v1
	v_lshlrev_b64 v[3:4], 2, v[3:4]
	v_add_co_ci_u32_e32 v2, vcc_lo, s85, v2, vcc_lo
	s_ashr_i32 s13, s12, 31
	s_mov_b32 s72, s68
	s_lshl_b64 s[12:13], s[12:13], 2
	s_delay_alu instid0(VALU_DEP_2)
	v_add_co_u32 v3, vcc_lo, s76, v3
	v_add_co_ci_u32_e32 v4, vcc_lo, s85, v4, vcc_lo
	s_clause 0x1
	global_load_b32 v5, v[1:2], off
	global_load_b32 v6, v[3:4], off
	s_add_u32 s12, s76, s12
	s_addc_u32 s13, s85, s13
	s_or_b32 s78, s84, 16
	v_lshlrev_b32_e32 v3, 4, v0
	s_ashr_i32 s79, s78, 4
	s_cmp_lt_i32 s78, s33
	s_mov_b32 s73, s68
	s_cselect_b32 s78, s79, s86
	s_mov_b32 s74, s68
	s_ashr_i32 s79, s78, 31
	s_mov_b32 s75, s68
	s_lshl_b64 s[78:79], s[78:79], 2
	v_mov_b32_e32 v104, s67
	s_add_u32 s78, s76, s78
	s_addc_u32 s79, s85, s79
	s_or_b32 s80, s84, 32
	v_dual_mov_b32 v103, s66 :: v_dual_mov_b32 v148, s31
	s_ashr_i32 s81, s80, 4
	s_cmp_lt_i32 s80, s33
	v_mov_b32_e32 v102, s65
	s_cselect_b32 s80, s81, s86
	v_dual_mov_b32 v101, s64 :: v_dual_mov_b32 v146, s29
	s_ashr_i32 s81, s80, 31
	v_mov_b32_e32 v100, s63
	s_lshl_b64 s[80:81], s[80:81], 2
	v_dual_mov_b32 v99, s62 :: v_dual_mov_b32 v144, s27
	s_add_u32 s80, s76, s80
	s_addc_u32 s81, s85, s81
	s_or_b32 s87, s84, 48
	v_mov_b32_e32 v98, s61
	s_ashr_i32 s88, s87, 4
	s_cmp_lt_i32 s87, s33
	v_dual_mov_b32 v97, s60 :: v_dual_mov_b32 v142, s25
	s_cselect_b32 s88, s88, s86
	v_dual_mov_b32 v147, s30 :: v_dual_mov_b32 v156, s51
	s_ashr_i32 s89, s88, 31
	v_dual_mov_b32 v145, s28 :: v_dual_mov_b32 v154, s49
	s_lshl_b64 s[88:89], s[88:89], 2
	v_dual_mov_b32 v143, s26 :: v_dual_mov_b32 v152, s47
	s_add_u32 s90, s76, s88
	s_addc_u32 s91, s85, s89
	s_or_b32 s87, s84, 64
	v_dual_mov_b32 v141, s24 :: v_dual_mov_b32 v150, s45
	s_ashr_i32 s88, s87, 4
	s_cmp_lt_i32 s87, s33
	v_dual_mov_b32 v155, s50 :: v_dual_mov_b32 v164, s59
	s_cselect_b32 s88, s88, s86
	v_dual_mov_b32 v153, s48 :: v_dual_mov_b32 v162, s57
	s_ashr_i32 s89, s88, 31
	v_dual_mov_b32 v151, s46 :: v_dual_mov_b32 v160, s55
	s_lshl_b64 s[88:89], s[88:89], 2
	v_dual_mov_b32 v149, s44 :: v_dual_mov_b32 v158, s53
	s_add_u32 s92, s76, s88
	s_addc_u32 s93, s85, s89
	s_or_b32 s87, s84, 0x50
	v_dual_mov_b32 v163, s58 :: v_dual_mov_b32 v188, s43
	s_ashr_i32 s88, s87, 4
	s_cmp_lt_i32 s87, s33
	v_dual_mov_b32 v161, s56 :: v_dual_mov_b32 v186, s41
	s_cselect_b32 s88, s88, s86
	v_dual_mov_b32 v159, s54 :: v_dual_mov_b32 v184, s39
	s_ashr_i32 s89, s88, 31
	v_dual_mov_b32 v157, s52 :: v_dual_mov_b32 v182, s37
	s_lshl_b64 s[88:89], s[88:89], 2
	v_mov_b32_e32 v181, s36
	s_add_u32 s94, s76, s88
	s_addc_u32 s95, s85, s89
	s_clause 0x5
	s_load_b32 s12, s[12:13], 0x0
	s_load_b32 s89, s[78:79], 0x0
	;; [unrolled: 1-line block ×6, first 2 shown]
	s_waitcnt lgkmcnt(0)
	s_mul_hi_i32 s29, s87, s77
	s_waitcnt vmcnt(1)
	v_mad_i64_i32 v[1:2], null, v5, s77, 0
	v_and_b32_e32 v5, 0xf0, v3
	s_waitcnt vmcnt(0)
	v_mad_i64_i32 v[3:4], null, v6, s77, 0
	s_delay_alu instid0(VALU_DEP_2) | instskip(NEXT) | instid1(VALU_DEP_4)
	v_add_co_u32 v5, s13, s96, v5
	v_lshlrev_b64 v[1:2], 1, v[1:2]
	v_add_co_ci_u32_e64 v6, null, s97, 0, s13
	s_delay_alu instid0(VALU_DEP_4) | instskip(SKIP_1) | instid1(VALU_DEP_3)
	v_lshlrev_b64 v[3:4], 1, v[3:4]
	s_or_b32 s13, s84, 0x60
	v_add_co_u32 v113, vcc_lo, v5, v1
	s_delay_alu instid0(VALU_DEP_3) | instskip(NEXT) | instid1(VALU_DEP_3)
	v_add_co_ci_u32_e32 v114, vcc_lo, v6, v2, vcc_lo
	v_add_co_u32 v115, vcc_lo, v5, v3
	s_delay_alu instid0(VALU_DEP_4)
	v_add_co_ci_u32_e32 v116, vcc_lo, v6, v4, vcc_lo
	s_clause 0x1f
	global_load_b128 v[81:84], v[113:114], off
	global_load_b128 v[85:88], v[113:114], off offset:256
	global_load_b128 v[89:92], v[115:116], off
	global_load_b128 v[93:96], v[115:116], off offset:256
	global_load_b128 v[73:76], v[113:114], off offset:512
	;; [unrolled: 1-line block ×29, first 2 shown]
	s_ashr_i32 s78, s13, 4
	s_cmp_lt_i32 s13, s33
	s_cselect_b32 s78, s78, s86
	s_delay_alu instid0(SALU_CYCLE_1) | instskip(NEXT) | instid1(SALU_CYCLE_1)
	s_ashr_i32 s79, s78, 31
	s_lshl_b64 s[78:79], s[78:79], 2
	s_delay_alu instid0(SALU_CYCLE_1)
	s_add_u32 s78, s76, s78
	s_addc_u32 s79, s85, s79
	s_or_b32 s13, s84, 0x70
	s_load_b32 s49, s[78:79], 0x0
	s_ashr_i32 s90, s13, 4
	s_cmp_lt_i32 s13, s33
	s_cselect_b32 s90, s90, s86
	s_delay_alu instid0(SALU_CYCLE_1) | instskip(NEXT) | instid1(SALU_CYCLE_1)
	s_ashr_i32 s91, s90, 31
	s_lshl_b64 s[70:71], s[90:91], 2
	s_delay_alu instid0(SALU_CYCLE_1)
	s_add_u32 s60, s76, s70
	s_addc_u32 s61, s85, s71
	s_or_b32 s13, s84, 0x80
	s_load_b32 s50, s[60:61], 0x0
	s_ashr_i32 s24, s13, 4
	s_cmp_lt_i32 s13, s33
	s_mov_b32 s70, s68
	s_cselect_b32 s24, s24, s86
	s_mov_b32 s71, s68
	s_ashr_i32 s25, s24, 31
	v_mov_b32_e32 v187, s42
	s_lshl_b64 s[24:25], s[24:25], 2
	v_mov_b32_e32 v185, s40
	s_add_u32 s44, s76, s24
	s_addc_u32 s45, s85, s25
	s_or_b32 s13, s84, 0x90
	v_mov_b32_e32 v183, s38
	s_ashr_i32 s24, s13, 4
	s_cmp_lt_i32 s13, s33
	s_load_b32 s51, s[44:45], 0x0
	s_cselect_b32 s24, s24, s86
	v_dual_mov_b32 v136, s75 :: v_dual_lshlrev_b32 v117, 5, v137
	s_ashr_i32 s25, s24, 31
	v_mov_b32_e32 v135, s74
	s_lshl_b64 s[24:25], s[24:25], 2
	s_delay_alu instid0(VALU_DEP_2)
	v_lshl_or_b32 v113, v140, 9, v117
	s_add_u32 s36, s76, s24
	s_addc_u32 s37, s85, s25
	s_or_b32 s13, s84, 0xa0
	s_load_b32 s48, s[36:37], 0x0
	s_ashr_i32 s24, s13, 4
	s_cmp_lt_i32 s13, s33
	v_mov_b32_e32 v134, s73
	s_cselect_b32 s24, s24, s86
	v_mov_b32_e32 v133, s72
	s_ashr_i32 s25, s24, 31
	v_mov_b32_e32 v132, s71
	s_lshl_b64 s[24:25], s[24:25], 2
	v_mov_b32_e32 v131, s70
	s_add_u32 s38, s76, s24
	s_addc_u32 s39, s85, s25
	s_or_b32 s13, s84, 0xb0
	s_load_b32 s47, s[38:39], 0x0
	s_ashr_i32 s24, s13, 4
	s_cmp_lt_i32 s13, s33
	s_mul_hi_i32 s13, s12, s77
	s_cselect_b32 s26, s24, s86
	s_mul_i32 s12, s12, s77
	s_ashr_i32 s27, s26, 31
	s_mul_hi_i32 s25, s89, s77
	s_lshl_b64 s[26:27], s[26:27], 2
	s_mul_i32 s24, s89, s77
	s_add_u32 s40, s76, s26
	s_addc_u32 s41, s85, s27
	s_or_b32 s26, s84, 0xc0
	s_mul_hi_i32 s27, s88, s77
	s_ashr_i32 s28, s26, 4
	s_cmp_lt_i32 s26, s33
	s_mul_i32 s26, s88, s77
	s_cselect_b32 s30, s28, s86
	s_mul_i32 s28, s87, s77
	s_ashr_i32 s31, s30, 31
	s_mul_hi_i32 s37, s80, s77
	s_lshl_b64 s[42:43], s[30:31], 2
	s_mul_hi_i32 s31, s81, s77
	s_add_u32 s42, s76, s42
	s_addc_u32 s43, s85, s43
	s_or_b32 s30, s84, 0xd0
	s_mul_i32 s36, s80, s77
	s_ashr_i32 s46, s30, 4
	s_cmp_lt_i32 s30, s33
	s_mul_i32 s30, s81, s77
	s_cselect_b32 s44, s46, s86
	v_mov_b32_e32 v130, s69
	s_ashr_i32 s45, s44, 31
	v_mov_b32_e32 v129, s68
	s_lshl_b64 s[44:45], s[44:45], 2
	s_delay_alu instid0(SALU_CYCLE_1)
	s_add_u32 s38, s76, s44
	s_addc_u32 s39, s85, s45
	s_or_b32 s52, s84, 0xe0
	s_clause 0x2
	s_load_b32 s46, s[40:41], 0x0
	s_load_b32 s45, s[42:43], 0x0
	;; [unrolled: 1-line block ×3, first 2 shown]
	s_ashr_i32 s53, s52, 4
	s_cmp_lt_i32 s52, s33
	s_waitcnt lgkmcnt(0)
	s_mul_hi_i32 s41, s50, s77
	s_mul_i32 s40, s50, s77
	s_cselect_b32 s50, s53, s86
	s_mul_hi_i32 s43, s51, s77
	s_mul_i32 s42, s51, s77
	s_ashr_i32 s51, s50, 31
	s_mul_hi_i32 s39, s49, s77
	s_lshl_b64 s[50:51], s[50:51], 2
	s_mul_i32 s38, s49, s77
	s_add_u32 s50, s76, s50
	s_addc_u32 s51, s85, s51
	s_or_b32 s54, s84, 0xf0
	s_mul_hi_i32 s49, s48, s77
	s_ashr_i32 s55, s54, 4
	s_cmp_lt_i32 s54, s33
	s_mul_i32 s48, s48, s77
	s_cselect_b32 s54, s55, s86
	s_mul_hi_i32 s53, s47, s77
	s_ashr_i32 s55, s54, 31
	s_mul_i32 s52, s47, s77
	s_lshl_b64 s[54:55], s[54:55], 2
	s_mul_hi_i32 s57, s45, s77
	s_add_u32 s54, s76, s54
	s_addc_u32 s55, s85, s55
	s_mul_i32 s56, s45, s77
	s_add_u32 s58, s82, s2
	s_addc_u32 s59, s83, s3
	s_lshl_b64 s[2:3], s[12:13], 1
	s_lshl_b64 s[12:13], s[24:25], 1
	;; [unrolled: 1-line block ×12, first 2 shown]
	v_add_co_u32 v225, s56, s58, v113
	s_delay_alu instid0(VALU_DEP_1)
	v_add_co_ci_u32_e64 v226, null, s59, 0, s56
	s_clause 0x1
	s_load_b32 s50, s[50:51], 0x0
	s_load_b32 s51, s[54:55], 0x0
	s_mul_hi_i32 s47, s46, s77
	s_mul_i32 s46, s46, s77
	s_mul_hi_i32 s45, s44, s77
	s_lshl_b64 s[46:47], s[46:47], 1
	s_mul_i32 s44, s44, s77
	s_delay_alu instid0(SALU_CYCLE_1)
	s_lshl_b64 s[44:45], s[44:45], 1
	s_waitcnt vmcnt(30)
	v_wmma_f32_16x16x16_f16 v[205:212], v[81:88], v[105:112], v[129:136]
	v_add_co_u32 v81, vcc_lo, v225, s2
	v_add_co_ci_u32_e32 v82, vcc_lo, s3, v226, vcc_lo
	v_add_co_u32 v83, vcc_lo, v225, s12
	v_add_co_ci_u32_e32 v84, vcc_lo, s13, v226, vcc_lo
	;; [unrolled: 2-line block ×4, first 2 shown]
	s_waitcnt vmcnt(28)
	v_wmma_f32_16x16x16_f16 v[129:136], v[89:96], v[105:112], v[129:136]
	v_add_co_u32 v93, vcc_lo, v225, s28
	v_add_co_ci_u32_e32 v94, vcc_lo, s29, v226, vcc_lo
	v_add_co_u32 v138, vcc_lo, v225, s30
	v_add_co_ci_u32_e32 v139, vcc_lo, s31, v226, vcc_lo
	v_add_co_u32 v213, vcc_lo, v225, s36
	v_add_co_ci_u32_e32 v214, vcc_lo, s37, v226, vcc_lo
	v_add_co_u32 v215, vcc_lo, v225, s38
	v_add_co_ci_u32_e32 v216, vcc_lo, s39, v226, vcc_lo
	v_add_co_u32 v217, vcc_lo, v225, s40
	s_waitcnt vmcnt(26)
	v_wmma_f32_16x16x16_f16 v[205:212], v[73:80], v[97:104], v[205:212]
	v_add_co_ci_u32_e32 v218, vcc_lo, s41, v226, vcc_lo
	v_add_co_u32 v219, vcc_lo, v225, s42
	v_add_co_ci_u32_e32 v220, vcc_lo, s43, v226, vcc_lo
	v_add_co_u32 v221, vcc_lo, v225, s48
	s_waitcnt vmcnt(24)
	v_wmma_f32_16x16x16_f16 v[129:136], v[65:72], v[97:104], v[129:136]
	s_waitcnt vmcnt(22)
	v_wmma_f32_16x16x16_f16 v[205:212], v[57:64], v[141:148], v[205:212]
	v_add_co_ci_u32_e32 v222, vcc_lo, s49, v226, vcc_lo
	v_add_co_u32 v223, vcc_lo, v225, s46
	v_add_co_ci_u32_e32 v224, vcc_lo, s47, v226, vcc_lo
	s_waitcnt vmcnt(20)
	v_wmma_f32_16x16x16_f16 v[129:136], v[49:56], v[141:148], v[129:136]
	s_waitcnt vmcnt(18)
	v_wmma_f32_16x16x16_f16 v[205:212], v[41:48], v[149:156], v[205:212]
	v_add_co_u32 v41, vcc_lo, v225, s52
	v_add_co_ci_u32_e32 v42, vcc_lo, s53, v226, vcc_lo
	s_waitcnt lgkmcnt(0)
	s_mul_hi_i32 s3, s50, s77
	s_mul_i32 s2, s50, s77
	v_add_co_u32 v43, vcc_lo, v225, s44
	s_lshl_b64 s[2:3], s[2:3], 1
	s_waitcnt vmcnt(16)
	v_wmma_f32_16x16x16_f16 v[129:136], v[33:40], v[149:156], v[129:136]
	v_add_co_ci_u32_e32 v44, vcc_lo, s45, v226, vcc_lo
	s_mul_hi_i32 s13, s51, s77
	s_mul_i32 s12, s51, s77
	v_add_co_u32 v45, vcc_lo, v225, s2
	v_add_co_ci_u32_e32 v46, vcc_lo, s3, v226, vcc_lo
	s_lshl_b64 s[2:3], s[12:13], 1
	s_clause 0xb
	global_load_b128 v[121:124], v[81:82], off
	global_load_b128 v[125:128], v[81:82], off offset:16
	global_load_b128 v[113:116], v[83:84], off
	global_load_b128 v[117:120], v[83:84], off offset:16
	;; [unrolled: 2-line block ×6, first 2 shown]
	s_waitcnt vmcnt(26)
	v_wmma_f32_16x16x16_f16 v[205:212], v[9:16], v[157:164], v[205:212]
	s_waitcnt vmcnt(24)
	v_wmma_f32_16x16x16_f16 v[129:136], v[1:8], v[157:164], v[129:136]
	v_add_co_u32 v138, vcc_lo, v225, s2
	v_add_co_ci_u32_e32 v139, vcc_lo, s3, v226, vcc_lo
	s_clause 0xd
	global_load_b128 v[73:76], v[213:214], off
	global_load_b128 v[77:80], v[213:214], off offset:16
	global_load_b128 v[65:68], v[215:216], off
	global_load_b128 v[69:72], v[215:216], off offset:16
	;; [unrolled: 2-line block ×7, first 2 shown]
	v_mov_b32_e32 v148, s23
	s_waitcnt vmcnt(36)
	v_wmma_f32_16x16x16_f16 v[205:212], v[25:32], v[181:188], v[205:212]
	s_clause 0x1
	global_load_b128 v[25:28], v[43:44], off
	global_load_b128 v[29:32], v[43:44], off offset:16
	s_waitcnt vmcnt(36)
	v_wmma_f32_16x16x16_f16 v[129:136], v[17:24], v[181:188], v[129:136]
	s_clause 0x3
	global_load_b128 v[41:44], v[45:46], off
	global_load_b128 v[45:48], v[45:46], off offset:16
	global_load_b128 v[17:20], v[138:139], off
	global_load_b128 v[21:24], v[138:139], off offset:16
	v_dual_mov_b32 v147, s22 :: v_dual_mov_b32 v146, s21
	v_dual_mov_b32 v145, s20 :: v_dual_mov_b32 v144, s19
	;; [unrolled: 1-line block ×3, first 2 shown]
	v_mov_b32_e32 v141, s16
	v_mbcnt_lo_u32_b32 v149, -1, 0
	v_bfe_u32 v138, v0, 4, 1
	s_waitcnt vmcnt(0)
	s_barrier
	v_wmma_f32_16x16x16_f16 v[205:212], v[165:172], v[141:148], v[205:212]
	v_wmma_f32_16x16x16_f16 v[129:136], v[173:180], v[141:148], v[129:136]
	v_dual_mov_b32 v148, s11 :: v_dual_mov_b32 v147, s10
	v_dual_mov_b32 v146, s9 :: v_dual_mov_b32 v145, s8
	;; [unrolled: 1-line block ×4, first 2 shown]
	v_xor_b32_e32 v150, 16, v149
	buffer_gl0_inv
	v_wmma_f32_16x16x16_f16 v[129:136], v[197:204], v[141:148], v[129:136]
	v_cmp_gt_i32_e32 vcc_lo, 32, v150
	s_delay_alu instid0(VALU_DEP_2) | instskip(NEXT) | instid1(VALU_DEP_3)
	v_mul_f32_e32 v170, s35, v131
	v_mul_f32_e32 v166, s35, v135
	s_delay_alu instid0(VALU_DEP_4) | instskip(SKIP_3) | instid1(VALU_DEP_3)
	v_mul_f32_e32 v168, s35, v133
	v_wmma_f32_16x16x16_f16 v[205:212], v[189:196], v[141:148], v[205:212]
	v_and_b32_e32 v139, 0xe0, v0
	v_dual_cndmask_b32 v149, v149, v150 :: v_dual_mul_f32 v172, s35, v129
	v_dual_mul_f32 v171, s35, v130 :: v_dual_mul_f32 v144, s35, v209
	s_delay_alu instid0(VALU_DEP_3) | instskip(SKIP_2) | instid1(VALU_DEP_3)
	v_dual_mul_f32 v148, s35, v205 :: v_dual_add_nc_u32 v139, s84, v139
	v_mul_f32_e32 v147, s35, v206
	v_dual_mul_f32 v145, s35, v208 :: v_dual_mul_f32 v146, s35, v207
	v_or_b32_e32 v139, v139, v138
	v_mul_f32_e32 v143, s35, v210
	v_dual_mul_f32 v141, s35, v212 :: v_dual_mul_f32 v142, s35, v211
	v_mul_f32_e32 v169, s35, v132
	s_delay_alu instid0(VALU_DEP_4)
	v_or_b32_e32 v150, 2, v139
	v_or_b32_e32 v151, 4, v139
	v_or_b32_e32 v152, 6, v139
	v_cmp_gt_i32_e32 vcc_lo, s33, v139
	v_or_b32_e32 v153, 8, v139
	v_cmp_gt_i32_e64 s2, s33, v150
	v_or_b32_e32 v154, 10, v139
	v_or_b32_e32 v155, 12, v139
	;; [unrolled: 1-line block ×11, first 2 shown]
	v_cndmask_b32_e32 v139, 0xff7fffff, v148, vcc_lo
	v_cndmask_b32_e64 v147, 0xff7fffff, v147, s2
	v_cmp_gt_i32_e64 s3, s33, v151
	v_cmp_gt_i32_e64 s4, s33, v152
	;; [unrolled: 1-line block ×4, first 2 shown]
	v_max3_f32 v139, v139, 0xff7fffff, v147
	v_cndmask_b32_e64 v146, 0xff7fffff, v146, s3
	v_cndmask_b32_e64 v145, 0xff7fffff, v145, s4
	;; [unrolled: 1-line block ×4, first 2 shown]
	v_cmp_gt_i32_e64 s7, s33, v155
	v_cmp_gt_i32_e64 s8, s33, v156
	v_max3_f32 v139, v139, v146, v145
	v_cmp_gt_i32_e64 s9, s33, v157
	v_cmp_gt_i32_e64 s10, s33, v158
	v_cndmask_b32_e64 v142, 0xff7fffff, v142, s7
	v_cndmask_b32_e64 v141, 0xff7fffff, v141, s8
	v_max3_f32 v139, v139, v144, v143
	v_cndmask_b32_e64 v143, 0xff7fffff, v172, s9
	v_cndmask_b32_e64 v144, 0xff7fffff, v171, s10
	v_cmp_gt_i32_e64 s11, s33, v159
	v_cmp_gt_i32_e64 s12, s33, v160
	v_max3_f32 v139, v139, v142, v141
	v_mul_f32_e32 v167, s35, v134
	v_cmp_gt_i32_e64 s13, s33, v161
	v_cndmask_b32_e64 v141, 0xff7fffff, v170, s11
	v_cndmask_b32_e64 v142, 0xff7fffff, v169, s12
	v_max3_f32 v139, v139, v143, v144
	v_cmp_gt_i32_e64 s16, s33, v162
	v_mul_f32_e32 v165, s35, v136
	v_cndmask_b32_e64 v143, 0xff7fffff, v168, s13
	v_cmp_gt_i32_e64 s17, s33, v163
	v_max3_f32 v139, v139, v141, v142
	v_cndmask_b32_e64 v144, 0xff7fffff, v167, s16
	v_cmp_gt_i32_e64 s18, s33, v164
	s_delay_alu instid0(VALU_DEP_4) | instskip(NEXT) | instid1(VALU_DEP_3)
	v_cndmask_b32_e64 v141, 0xff7fffff, v166, s17
	v_max3_f32 v139, v139, v143, v144
	s_delay_alu instid0(VALU_DEP_3) | instskip(SKIP_1) | instid1(VALU_DEP_2)
	v_cndmask_b32_e64 v142, 0xff7fffff, v165, s18
	v_lshlrev_b32_e32 v143, 2, v149
	v_max3_f32 v139, v139, v141, v142
	ds_bpermute_b32 v141, v143, v139
	s_waitcnt lgkmcnt(0)
	v_max_f32_e32 v141, v141, v141
	s_delay_alu instid0(VALU_DEP_1) | instskip(NEXT) | instid1(VALU_DEP_1)
	v_max_f32_e32 v139, v139, v141
	v_fma_f32 v141, s35, v205, -v139
	v_fma_f32 v142, s35, v206, -v139
	;; [unrolled: 1-line block ×5, first 2 shown]
	s_delay_alu instid0(VALU_DEP_4) | instskip(NEXT) | instid1(VALU_DEP_3)
	v_dual_mul_f32 v141, 0x3fb8aa3b, v141 :: v_dual_mul_f32 v142, 0x3fb8aa3b, v142
	v_dual_mul_f32 v144, 0x3fb8aa3b, v144 :: v_dual_mul_f32 v145, 0x3fb8aa3b, v145
	s_delay_alu instid0(VALU_DEP_3) | instskip(NEXT) | instid1(VALU_DEP_3)
	v_mul_f32_e32 v148, 0x3fb8aa3b, v146
	v_exp_f32_e32 v141, v141
	s_delay_alu instid0(VALU_DEP_3) | instskip(NEXT) | instid1(VALU_DEP_2)
	v_exp_f32_e32 v142, v142
	v_exp_f32_e32 v144, v144
	;; [unrolled: 1-line block ×3, first 2 shown]
	v_fma_f32 v150, s35, v211, -v139
	v_exp_f32_e32 v151, v148
	v_fma_f32 v129, s35, v129, -v139
	v_fma_f32 v130, s35, v130, -v139
	;; [unrolled: 1-line block ×3, first 2 shown]
	v_dual_mul_f32 v150, 0x3fb8aa3b, v150 :: v_dual_cndmask_b32 v147, 0, v141
	v_fma_f32 v141, s35, v210, -v139
	v_cndmask_b32_e64 v146, 0, v142, s2
	v_cndmask_b32_e64 v149, 0, v144, s3
	v_fma_f32 v144, s35, v212, -v139
	s_delay_alu instid0(VALU_DEP_4) | instskip(SKIP_2) | instid1(VALU_DEP_3)
	v_dual_add_f32 v142, 0, v147 :: v_dual_mul_f32 v141, 0x3fb8aa3b, v141
	v_cndmask_b32_e64 v148, 0, v145, s4
	v_exp_f32_e32 v145, v150
	v_mul_f32_e32 v144, 0x3fb8aa3b, v144
	s_delay_alu instid0(VALU_DEP_3)
	v_add_f32_e32 v142, v142, v146
	v_exp_f32_e32 v141, v141
	v_cndmask_b32_e64 v151, 0, v151, s5
	v_mul_f32_e32 v129, 0x3fb8aa3b, v129
	v_exp_f32_e32 v144, v144
	v_add_f32_e32 v142, v142, v149
	v_mul_f32_e32 v130, 0x3fb8aa3b, v130
	s_mov_b32 s3, exec_lo
	v_exp_f32_e32 v129, v129
	v_cndmask_b32_e64 v152, 0, v145, s7
	v_add_f32_e32 v142, v142, v148
	v_cndmask_b32_e64 v150, 0, v141, s6
	v_exp_f32_e32 v130, v130
	s_delay_alu instid0(VALU_DEP_2) | instskip(SKIP_2) | instid1(TRANS32_DEP_2)
	v_add_f32_e32 v141, v142, v151
	v_fma_f32 v142, s35, v132, -v139
	v_cndmask_b32_e64 v132, 0, v144, s8
	v_cndmask_b32_e64 v153, 0, v129, s9
	s_delay_alu instid0(VALU_DEP_4) | instskip(NEXT) | instid1(VALU_DEP_1)
	v_add_f32_e32 v141, v141, v150
	v_dual_mul_f32 v142, 0x3fb8aa3b, v142 :: v_dual_add_f32 v141, v141, v152
	s_delay_alu instid0(VALU_DEP_1) | instskip(NEXT) | instid1(VALU_DEP_1)
	v_exp_f32_e32 v142, v142
	v_add_f32_e32 v129, v141, v132
	v_mul_f32_e32 v141, 0x3fb8aa3b, v133
	v_cndmask_b32_e64 v133, 0, v130, s10
	v_fma_f32 v130, s35, v135, -v139
	s_delay_alu instid0(VALU_DEP_4) | instskip(NEXT) | instid1(VALU_DEP_4)
	v_add_f32_e32 v129, v129, v153
	v_exp_f32_e32 v141, v141
	s_delay_alu instid0(VALU_DEP_2)
	v_mul_f32_e32 v130, 0x3fb8aa3b, v130
	v_fma_f32 v131, s35, v131, -v139
	v_fma_f32 v134, s35, v134, -v139
	v_add_f32_e32 v129, v129, v133
	v_fma_f32 v136, s35, v136, -v139
	v_exp_f32_e32 v130, v130
	s_delay_alu instid0(VALU_DEP_3) | instskip(NEXT) | instid1(TRANS32_DEP_2)
	v_dual_mul_f32 v131, 0x3fb8aa3b, v131 :: v_dual_mul_f32 v134, 0x3fb8aa3b, v134
	v_cndmask_b32_e64 v154, 0, v141, s13
	s_delay_alu instid0(VALU_DEP_3) | instskip(NEXT) | instid1(VALU_DEP_3)
	v_mul_f32_e32 v141, 0x3fb8aa3b, v136
	v_exp_f32_e32 v131, v131
	s_waitcnt_depctr 0xfff
	v_cndmask_b32_e64 v156, 0, v130, s17
	v_cndmask_b32_e64 v135, 0, v131, s11
	v_exp_f32_e32 v131, v134
	v_cndmask_b32_e64 v134, 0, v142, s12
	s_delay_alu instid0(VALU_DEP_2) | instskip(NEXT) | instid1(VALU_DEP_1)
	v_add_f32_e32 v129, v129, v135
	v_add_f32_e32 v129, v129, v134
	s_waitcnt_depctr 0xfff
	v_cndmask_b32_e64 v136, 0, v131, s16
	v_exp_f32_e32 v131, v141
	v_add_f32_e32 v129, v129, v154
	s_delay_alu instid0(VALU_DEP_1) | instskip(SKIP_4) | instid1(VALU_DEP_2)
	v_add_f32_e32 v129, v129, v136
	s_waitcnt_depctr 0xfff
	v_cndmask_b32_e64 v155, 0, v131, s18
	v_and_b32_e32 v131, 31, v0
	v_add_f32_e32 v129, v129, v156
	v_cmp_lt_u32_e64 s2, 15, v131
	s_delay_alu instid0(VALU_DEP_2)
	v_add_f32_e32 v129, v129, v155
	ds_bpermute_b32 v130, v143, v129
	v_cmpx_gt_u32_e32 16, v131
	s_cbranch_execz .LBB218_11
; %bb.10:
	v_mul_u32_u24_e32 v131, 0x44, v140
	s_delay_alu instid0(VALU_DEP_1) | instskip(SKIP_1) | instid1(VALU_DEP_1)
	v_lshl_add_u32 v131, v137, 2, v131
	s_waitcnt lgkmcnt(0)
	v_dual_add_f32 v129, v129, v130 :: v_dual_add_nc_u32 v130, 0x4000, v131
	ds_store_2addr_b32 v130, v139, v129 offset1:136
.LBB218_11:
	s_or_b32 exec_lo, exec_lo, s3
	v_lshlrev_b32_e32 v129, 2, v137
	s_load_b64 s[36:37], s[0:1], 0x94
	s_waitcnt lgkmcnt(0)
	s_barrier
	buffer_gl0_inv
	v_add_nc_u32_e32 v129, 0x4000, v129
	v_cmp_eq_u32_e32 vcc_lo, 1, v140
	v_cmp_eq_u32_e64 s3, 2, v140
	v_cmp_eq_u32_e64 s5, 3, v140
	;; [unrolled: 1-line block ×3, first 2 shown]
	ds_load_2addr_b32 v[141:142], v129 offset1:17
	ds_load_2addr_b32 v[143:144], v129 offset0:34 offset1:51
	ds_load_2addr_b32 v[157:158], v129 offset0:68 offset1:85
	;; [unrolled: 1-line block ×4, first 2 shown]
	v_cmp_eq_u32_e64 s7, 5, v140
	v_cmp_eq_u32_e64 s4, 6, v140
	s_waitcnt lgkmcnt(4)
	v_max3_f32 v130, v141, 0xff7fffff, v142
	s_waitcnt lgkmcnt(3)
	s_delay_alu instid0(VALU_DEP_1) | instskip(SKIP_1) | instid1(VALU_DEP_1)
	v_max3_f32 v130, v130, v143, v144
	s_waitcnt lgkmcnt(2)
	v_max3_f32 v130, v130, v157, v158
	s_waitcnt lgkmcnt(1)
	s_delay_alu instid0(VALU_DEP_1) | instskip(NEXT) | instid1(VALU_DEP_1)
	v_max3_f32 v130, v130, v159, v160
	v_sub_f32_e32 v131, v141, v130
	v_sub_f32_e32 v139, v142, v130
	ds_load_2addr_b32 v[141:142], v129 offset0:170 offset1:187
	v_sub_f32_e32 v143, v143, v130
	v_sub_f32_e32 v157, v157, v130
	v_mul_f32_e32 v131, 0x3fb8aa3b, v131
	v_mul_f32_e32 v139, 0x3fb8aa3b, v139
	s_delay_alu instid0(VALU_DEP_4) | instskip(NEXT) | instid1(VALU_DEP_4)
	v_mul_f32_e32 v163, 0x3fb8aa3b, v143
	v_mul_f32_e32 v165, 0x3fb8aa3b, v157
	s_delay_alu instid0(VALU_DEP_4)
	v_exp_f32_e32 v145, v131
	v_sub_f32_e32 v131, v144, v130
	v_exp_f32_e32 v139, v139
	ds_load_2addr_b32 v[143:144], v129 offset0:204 offset1:221
	v_exp_f32_e32 v163, v163
	v_mul_f32_e32 v164, 0x3fb8aa3b, v131
	s_waitcnt lgkmcnt(2)
	v_fma_f32 v131, v145, v161, 0
	v_sub_f32_e32 v161, v158, v130
	s_delay_alu instid0(VALU_DEP_3)
	v_exp_f32_e32 v164, v164
	ds_load_2addr_b32 v[157:158], v129 offset0:238 offset1:255
	v_sub_f32_e32 v129, v159, v130
	v_fmac_f32_e32 v131, v139, v162
	v_mul_f32_e32 v159, 0x3fb8aa3b, v161
	v_exp_f32_e32 v161, v165
	v_cndmask_b32_e32 v139, v145, v139, vcc_lo
	v_mul_f32_e32 v129, 0x3fb8aa3b, v129
	s_waitcnt lgkmcnt(2)
	v_fmac_f32_e32 v131, v163, v141
	v_sub_f32_e32 v141, v160, v130
	v_exp_f32_e32 v159, v159
	s_waitcnt lgkmcnt(0)
	v_exp_f32_e32 v160, v129
	v_fmac_f32_e32 v131, v164, v142
	v_mul_f32_e32 v141, 0x3fb8aa3b, v141
	s_barrier
	buffer_gl0_inv
	v_fmac_f32_e32 v131, v161, v143
	v_exp_f32_e32 v162, v141
	v_lshlrev_b32_e32 v143, 6, v137
	s_delay_alu instid0(VALU_DEP_2) | instskip(NEXT) | instid1(VALU_DEP_2)
	v_fmac_f32_e32 v131, v159, v144
	v_lshl_or_b32 v145, v140, 11, v143
	s_delay_alu instid0(VALU_DEP_2) | instskip(SKIP_2) | instid1(VALU_DEP_1)
	v_fmac_f32_e32 v131, v160, v157
	s_waitcnt_depctr 0xfff
	v_fmac_f32_e32 v131, v162, v158
	v_add_f32_e32 v144, 0x358637bd, v131
	s_delay_alu instid0(VALU_DEP_1) | instskip(SKIP_1) | instid1(VALU_DEP_2)
	v_div_scale_f32 v157, null, v144, v144, 1.0
	v_div_scale_f32 v165, vcc_lo, 1.0, v144, 1.0
	v_rcp_f32_e32 v158, v157
	s_waitcnt_depctr 0xfff
	v_fma_f32 v129, -v157, v158, 1.0
	s_delay_alu instid0(VALU_DEP_1) | instskip(SKIP_3) | instid1(VALU_DEP_4)
	v_fmac_f32_e32 v158, v129, v158
	v_cndmask_b32_e64 v129, v139, v163, s3
	v_cmp_eq_u32_e64 s3, 7, v140
	v_lshlrev_b32_e32 v139, 2, v138
	v_mul_f32_e32 v163, v165, v158
	s_delay_alu instid0(VALU_DEP_4) | instskip(SKIP_1) | instid1(VALU_DEP_4)
	v_cndmask_b32_e64 v141, v129, v164, s5
	v_mov_b32_e32 v129, 0
	v_or_b32_e32 v140, 1, v139
	v_cmp_eq_u32_e64 s5, 1, v139
	v_fma_f32 v142, -v157, v163, v165
	v_cndmask_b32_e64 v141, v141, v161, s6
	v_cmp_eq_u32_e64 s6, 2, v139
	v_cmp_eq_u32_e64 s9, 1, v140
	v_cmp_eq_u32_e64 s12, 2, v140
	v_fmac_f32_e32 v163, v142, v158
	v_cndmask_b32_e64 v159, v141, v159, s7
	v_or_b32_e32 v142, 2, v139
	v_or_b32_e32 v141, 3, v139
	v_cmp_eq_u32_e64 s13, 3, v140
	v_fma_f32 v157, -v157, v163, v165
	v_cndmask_b32_e64 v159, v159, v160, s4
	v_cmp_eq_u32_e64 s10, 1, v142
	v_cmp_eq_u32_e64 s11, 1, v141
	v_cmp_eq_u32_e64 s16, 2, v142
	v_div_fmas_f32 v157, v157, v158, v163
	v_cndmask_b32_e64 v158, v159, v162, s3
	v_cmp_eq_u32_e64 s17, 2, v141
	v_cmp_eq_u32_e32 vcc_lo, 3, v139
	v_cmp_eq_u32_e64 s18, 3, v142
	v_div_fixup_f32 v157, v157, v144, 1.0
	v_lshl_or_b32 v144, v138, 4, v145
	v_cmp_eq_u32_e64 s19, 3, v141
	v_cmp_eq_u32_e64 s4, 4, v139
	;; [unrolled: 1-line block ×3, first 2 shown]
	v_mul_f32_e32 v161, v158, v157
	v_cmp_eq_u32_e64 s22, 4, v142
	v_cmp_eq_u32_e64 s23, 4, v141
	;; [unrolled: 1-line block ×4, first 2 shown]
	v_fma_mixlo_f16 v157, v161, v147, 0
	v_fma_mixlo_f16 v158, v161, v149, 0
	;; [unrolled: 1-line block ×8, first 2 shown]
	v_fma_mixhi_f16 v157, v161, v146, 0
	v_fma_mixhi_f16 v158, v161, v148, 0
	;; [unrolled: 1-line block ×8, first 2 shown]
	ds_store_b128 v144, v[157:160]
	ds_store_b128 v144, v[151:154] offset:1024
	s_waitcnt lgkmcnt(0)
	s_barrier
	buffer_gl0_inv
	ds_load_b128 v[132:135], v145
	ds_load_b128 v[146:149], v145 offset:16
	ds_load_b128 v[150:153], v145 offset:1024
	;; [unrolled: 1-line block ×3, first 2 shown]
	v_cmp_eq_u32_e64 s24, 5, v142
	v_cmp_eq_u32_e64 s25, 5, v141
	;; [unrolled: 1-line block ×10, first 2 shown]
	s_waitcnt lgkmcnt(3)
	v_lshrrev_b32_e32 v136, 16, v132
	s_waitcnt lgkmcnt(2)
	v_lshrrev_b32_e32 v161, 16, v146
	;; [unrolled: 2-line block ×4, first 2 shown]
	v_lshrrev_b32_e32 v158, 16, v133
	v_cndmask_b32_e64 v173, v132, v136, s5
	v_cndmask_b32_e64 v174, v146, v161, s5
	;; [unrolled: 1-line block ×8, first 2 shown]
	v_lshrrev_b32_e32 v162, 16, v147
	v_cndmask_b32_e64 v146, v150, v165, s5
	v_cndmask_b32_e64 v161, v154, v169, s5
	;; [unrolled: 1-line block ×16, first 2 shown]
	v_lshrrev_b32_e32 v166, 16, v151
	v_lshrrev_b32_e32 v170, 16, v155
	v_cndmask_b32_e64 v136, v146, v151, s6
	v_cndmask_b32_e64 v146, v161, v155, s6
	;; [unrolled: 1-line block ×5, first 2 shown]
	v_cndmask_b32_e32 v151, v165, v158, vcc_lo
	v_cndmask_b32_e32 v165, v169, v162, vcc_lo
	v_cndmask_b32_e64 v169, v173, v158, s13
	v_cndmask_b32_e64 v173, v174, v162, s13
	;; [unrolled: 1-line block ×6, first 2 shown]
	v_lshrrev_b32_e32 v159, 16, v134
	v_lshrrev_b32_e32 v163, 16, v148
	v_cndmask_b32_e32 v136, v136, v166, vcc_lo
	v_cndmask_b32_e32 v146, v146, v170, vcc_lo
	v_cndmask_b32_e64 v147, v147, v166, s13
	v_cndmask_b32_e64 v151, v151, v134, s4
	;; [unrolled: 1-line block ×9, first 2 shown]
	v_lshrrev_b32_e32 v167, 16, v152
	v_cndmask_b32_e64 v134, v136, v152, s4
	v_cndmask_b32_e64 v136, v146, v156, s4
	;; [unrolled: 1-line block ×11, first 2 shown]
	v_lshrrev_b32_e32 v160, 16, v135
	v_lshrrev_b32_e32 v164, 16, v149
	v_cndmask_b32_e64 v134, v134, v167, s7
	v_cndmask_b32_e64 v146, v146, v167, s21
	;; [unrolled: 1-line block ×10, first 2 shown]
	v_lshrrev_b32_e32 v168, 16, v153
	v_cndmask_b32_e64 v134, v134, v153, s3
	v_cndmask_b32_e64 v135, v146, v153, s26
	;; [unrolled: 1-line block ×12, first 2 shown]
	v_perm_b32 v135, v133, v132, 0x5040100
	v_perm_b32 v134, v151, v149, 0x5040100
	;; [unrolled: 1-line block ×3, first 2 shown]
	v_cndmask_b32_e64 v132, v154, v155, s17
	v_cndmask_b32_e64 v148, v182, v155, s16
	;; [unrolled: 1-line block ×8, first 2 shown]
	v_lshrrev_b32_e32 v171, 16, v156
	v_cndmask_b32_e64 v151, v151, v152, s22
	v_cndmask_b32_e64 v150, v150, v152, s23
	;; [unrolled: 1-line block ×11, first 2 shown]
	v_lshrrev_b32_e32 v172, 16, v157
	v_cndmask_b32_e64 v136, v136, v157, s3
	v_cndmask_b32_e64 v151, v151, v153, s27
	;; [unrolled: 1-line block ×12, first 2 shown]
	v_perm_b32 v132, v147, v146, 0x5040100
	v_perm_b32 v149, v152, v150, 0x5040100
	;; [unrolled: 1-line block ×5, first 2 shown]
	s_mov_b32 s3, exec_lo
	ds_store_b128 v144, v[132:135]
	ds_store_b128 v144, v[146:149] offset:1024
	v_cmpx_eq_u32_e32 0, v0
	s_cbranch_execz .LBB218_13
; %bb.12:
	s_load_b128 s[4:7], s[0:1], 0x58
	s_mul_i32 s8, s37, s34
	s_delay_alu instid0(SALU_CYCLE_1) | instskip(NEXT) | instid1(SALU_CYCLE_1)
	s_add_i32 s8, s8, s15
	s_mul_i32 s8, s8, s36
	s_delay_alu instid0(SALU_CYCLE_1) | instskip(NEXT) | instid1(SALU_CYCLE_1)
	s_add_i32 s8, s8, s14
	s_ashr_i32 s9, s8, 31
	s_delay_alu instid0(SALU_CYCLE_1)
	s_lshl_b64 s[8:9], s[8:9], 2
	s_waitcnt lgkmcnt(0)
	s_add_u32 s6, s6, s8
	s_addc_u32 s7, s7, s9
	s_add_u32 s4, s4, s8
	s_addc_u32 s5, s5, s9
	s_clause 0x1
	global_store_b32 v129, v130, s[6:7]
	global_store_b32 v129, v131, s[4:5]
.LBB218_13:
	s_or_b32 exec_lo, exec_lo, s3
	s_waitcnt lgkmcnt(0)
	s_waitcnt_vscnt null, 0x0
	s_barrier
	buffer_gl0_inv
	ds_load_b128 v[146:149], v143
	ds_load_b128 v[150:153], v143 offset:16
	ds_load_b128 v[158:161], v143 offset:1040
	;; [unrolled: 1-line block ×5, first 2 shown]
	v_mov_b32_e32 v130, v129
	v_mov_b32_e32 v131, v129
	;; [unrolled: 1-line block ×7, first 2 shown]
	ds_load_b128 v[174:177], v143 offset:3088
	ds_load_b128 v[170:173], v143 offset:3072
	;; [unrolled: 1-line block ×4, first 2 shown]
	v_cmp_eq_u32_e32 vcc_lo, 1, v142
	v_cmp_eq_u32_e64 s3, 1, v139
	v_cmp_eq_u32_e64 s4, 1, v141
	;; [unrolled: 1-line block ×4, first 2 shown]
	s_xor_b32 s2, s2, -1
	s_waitcnt lgkmcnt(8)
	v_wmma_f32_16x16x16_f16 v[129:136], v[121:128], v[146:153], v[129:136]
	ds_load_b128 v[125:128], v143 offset:5136
	ds_load_b128 v[121:124], v143 offset:5120
	s_waitcnt lgkmcnt(8)
	v_wmma_f32_16x16x16_f16 v[129:136], v[113:120], v[154:161], v[129:136]
	ds_load_b128 v[117:120], v143 offset:6160
	ds_load_b128 v[113:116], v143 offset:6144
	;; [unrolled: 4-line block ×11, first 2 shown]
	s_waitcnt lgkmcnt(0)
	s_barrier
	buffer_gl0_inv
	v_wmma_f32_16x16x16_f16 v[129:136], v[1:8], v[73:80], v[129:136]
	s_delay_alu instid0(VALU_DEP_1) | instskip(NEXT) | instid1(VALU_DEP_1)
	v_wmma_f32_16x16x16_f16 v[129:136], v[9:16], v[65:72], v[129:136]
	v_wmma_f32_16x16x16_f16 v[129:136], v[25:32], v[57:64], v[129:136]
	s_delay_alu instid0(VALU_DEP_1) | instskip(NEXT) | instid1(VALU_DEP_1)
	v_wmma_f32_16x16x16_f16 v[129:136], v[41:48], v[49:56], v[129:136]
	v_wmma_f32_16x16x16_f16 v[129:136], v[17:24], v[33:40], v[129:136]
	s_delay_alu instid0(VALU_DEP_1) | instskip(NEXT) | instid1(VALU_DEP_2)
	v_cvt_f16_f32_e64 v1, v129
	v_cvt_f16_f32_e64 v2, v130
	s_delay_alu instid0(VALU_DEP_3) | instskip(NEXT) | instid1(VALU_DEP_4)
	v_cvt_f16_f32_e64 v3, v131
	v_cvt_f16_f32_e64 v4, v132
	;; [unrolled: 1-line block ×6, first 2 shown]
	v_pack_b32_f16 v1, v1, v2
	v_pack_b32_f16 v2, v3, v4
	;; [unrolled: 1-line block ×3, first 2 shown]
	s_delay_alu instid0(VALU_DEP_4)
	v_pack_b32_f16 v4, v7, v8
	ds_store_b128 v144, v[1:4]
	s_waitcnt lgkmcnt(0)
	s_barrier
	buffer_gl0_inv
	ds_load_b128 v[1:4], v145
	ds_load_b128 v[5:8], v145 offset:16
	s_waitcnt lgkmcnt(1)
	v_lshrrev_b32_e32 v9, 16, v1
	s_waitcnt lgkmcnt(0)
	v_lshrrev_b32_e32 v13, 16, v5
	v_lshrrev_b32_e32 v15, 16, v7
	;; [unrolled: 1-line block ×4, first 2 shown]
	v_cndmask_b32_e64 v17, v1, v9, s3
	v_cndmask_b32_e64 v18, v5, v13, s3
	;; [unrolled: 1-line block ×3, first 2 shown]
	v_cmp_eq_u32_e64 s3, 2, v140
	v_cndmask_b32_e64 v20, v5, v13, s5
	v_cndmask_b32_e32 v21, v1, v9, vcc_lo
	v_cndmask_b32_e32 v22, v5, v13, vcc_lo
	v_cndmask_b32_e64 v1, v1, v9, s4
	v_cndmask_b32_e64 v5, v5, v13, s4
	v_cmp_eq_u32_e32 vcc_lo, 2, v142
	v_cmp_eq_u32_e64 s4, 2, v141
	v_cndmask_b32_e64 v9, v17, v2, s6
	v_cndmask_b32_e64 v13, v18, v6, s6
	;; [unrolled: 1-line block ×4, first 2 shown]
	v_cndmask_b32_e32 v19, v21, v2, vcc_lo
	v_cmp_eq_u32_e64 s3, 3, v142
	v_cndmask_b32_e32 v20, v22, v6, vcc_lo
	v_cndmask_b32_e64 v1, v1, v2, s4
	v_cmp_eq_u32_e32 vcc_lo, 3, v141
	v_cmp_eq_u32_e64 s5, 3, v139
	v_cndmask_b32_e64 v2, v5, v6, s4
	v_cmp_eq_u32_e64 s4, 3, v140
	v_lshrrev_b32_e32 v16, 16, v8
	v_cmp_eq_u32_e64 s6, 4, v139
	v_cndmask_b32_e64 v5, v9, v10, s5
	v_cndmask_b32_e64 v6, v13, v14, s5
	;; [unrolled: 1-line block ×3, first 2 shown]
	v_cmp_eq_u32_e64 s5, 4, v140
	v_cndmask_b32_e64 v13, v18, v14, s4
	v_cndmask_b32_e64 v17, v19, v10, s3
	v_cndmask_b32_e64 v18, v20, v14, s3
	v_cndmask_b32_e32 v1, v1, v10, vcc_lo
	v_cndmask_b32_e32 v2, v2, v14, vcc_lo
	v_cmp_eq_u32_e32 vcc_lo, 4, v142
	v_cmp_eq_u32_e64 s4, 4, v141
	v_lshrrev_b32_e32 v11, 16, v3
	v_cndmask_b32_e64 v5, v5, v3, s6
	v_cndmask_b32_e64 v6, v6, v7, s6
	;; [unrolled: 1-line block ×4, first 2 shown]
	v_cndmask_b32_e32 v13, v17, v3, vcc_lo
	v_cmp_eq_u32_e64 s3, 5, v142
	v_cndmask_b32_e32 v14, v18, v7, vcc_lo
	v_cndmask_b32_e64 v1, v1, v3, s4
	v_cmp_eq_u32_e32 vcc_lo, 5, v141
	v_cmp_eq_u32_e64 s5, 5, v139
	v_cndmask_b32_e64 v2, v2, v7, s4
	v_cmp_eq_u32_e64 s4, 5, v140
	v_cmp_eq_u32_e64 s6, 6, v139
	v_cndmask_b32_e32 v1, v1, v11, vcc_lo
	v_cndmask_b32_e64 v3, v5, v11, s5
	v_cndmask_b32_e64 v5, v6, v15, s5
	;; [unrolled: 1-line block ×3, first 2 shown]
	v_cmp_eq_u32_e64 s5, 6, v140
	v_cndmask_b32_e64 v7, v10, v15, s4
	v_cndmask_b32_e64 v9, v13, v11, s3
	;; [unrolled: 1-line block ×3, first 2 shown]
	v_cndmask_b32_e32 v2, v2, v15, vcc_lo
	v_cmp_eq_u32_e32 vcc_lo, 6, v142
	v_cmp_eq_u32_e64 s3, 6, v141
	v_lshrrev_b32_e32 v12, 16, v4
	v_cndmask_b32_e64 v3, v3, v4, s6
	v_cndmask_b32_e64 v5, v5, v8, s6
	;; [unrolled: 1-line block ×4, first 2 shown]
	v_cndmask_b32_e32 v9, v9, v4, vcc_lo
	v_cmp_eq_u32_e64 s4, 7, v142
	v_cndmask_b32_e32 v10, v10, v8, vcc_lo
	v_cndmask_b32_e64 v1, v1, v4, s3
	v_cmp_eq_u32_e32 vcc_lo, 7, v141
	v_cndmask_b32_e64 v2, v2, v8, s3
	v_cmp_eq_u32_e64 s3, 7, v139
	v_cmp_eq_u32_e64 s5, 7, v140
	v_cndmask_b32_e32 v1, v1, v12, vcc_lo
	s_delay_alu instid0(VALU_DEP_4) | instskip(NEXT) | instid1(VALU_DEP_4)
	v_cndmask_b32_e32 v2, v2, v16, vcc_lo
	v_cndmask_b32_e64 v8, v3, v12, s3
	s_delay_alu instid0(VALU_DEP_4)
	v_cndmask_b32_e64 v6, v6, v12, s5
	v_cndmask_b32_e64 v3, v9, v12, s4
	;; [unrolled: 1-line block ×5, first 2 shown]
	v_cmp_gt_u32_e32 vcc_lo, 32, v0
	v_perm_b32 v4, v2, v1, 0x5040100
	v_perm_b32 v3, v9, v3, 0x5040100
	;; [unrolled: 1-line block ×4, first 2 shown]
	s_and_b32 s2, vcc_lo, s2
	ds_store_b128 v144, v[1:4]
	s_waitcnt lgkmcnt(0)
	s_barrier
	buffer_gl0_inv
	s_and_saveexec_b32 s3, s2
	s_cbranch_execz .LBB218_2
; %bb.14:
	s_load_b64 s[0:1], s[0:1], 0x68
	v_lshlrev_b32_e32 v1, 10, v0
	v_and_b32_e32 v0, 1, v0
	v_lshlrev_b32_e32 v2, 6, v138
	s_lshl_b32 s4, s36, 7
	v_lshlrev_b32_e32 v4, 4, v137
	v_and_b32_e32 v1, 0x3800, v1
	v_lshlrev_b32_e32 v0, 4, v0
	s_mul_i32 s2, s4, s34
	s_delay_alu instid0(SALU_CYCLE_1) | instskip(NEXT) | instid1(VALU_DEP_1)
	s_mul_i32 s2, s2, s37
	v_or3_b32 v0, v1, v2, v0
	s_ashr_i32 s3, s2, 31
	s_delay_alu instid0(SALU_CYCLE_1)
	s_lshl_b64 s[2:3], s[2:3], 1
	ds_load_b128 v[0:3], v0
	s_waitcnt lgkmcnt(0)
	s_add_u32 s5, s0, s2
	s_addc_u32 s3, s1, s3
	s_lshl_b32 s0, s14, 7
	s_mul_i32 s2, s4, s15
	s_ashr_i32 s1, s0, 31
	s_delay_alu instid0(SALU_CYCLE_1) | instskip(NEXT) | instid1(SALU_CYCLE_1)
	s_lshl_b64 s[0:1], s[0:1], 1
	s_add_u32 s4, s5, s0
	s_addc_u32 s5, s3, s1
	s_ashr_i32 s3, s2, 31
	s_delay_alu instid0(SALU_CYCLE_1) | instskip(NEXT) | instid1(SALU_CYCLE_1)
	s_lshl_b64 s[0:1], s[2:3], 1
	s_add_u32 s0, s4, s0
	s_addc_u32 s1, s5, s1
	global_store_b128 v4, v[0:3], s[0:1]
	s_nop 0
	s_sendmsg sendmsg(MSG_DEALLOC_VGPRS)
	s_endpgm
	.section	.rodata,"a",@progbits
	.p2align	6, 0x0
	.amdhsa_kernel _Z39paged_attention_ll4mi_QKV_mfma16_kernelIDF16_DF16_LN4vllm18Fp8KVCacheDataTypeE0EhLi16ELi128ELi256ELb1ELi1EL8MFMAType0EEvPKT_PKT0_S8_ifPKiSA_SA_iPKfiiiPfSD_PS3_PT2_iSC_SC_
		.amdhsa_group_segment_fixed_size 17472
		.amdhsa_private_segment_fixed_size 0
		.amdhsa_kernarg_size 400
		.amdhsa_user_sgpr_count 13
		.amdhsa_user_sgpr_dispatch_ptr 0
		.amdhsa_user_sgpr_queue_ptr 0
		.amdhsa_user_sgpr_kernarg_segment_ptr 1
		.amdhsa_user_sgpr_dispatch_id 0
		.amdhsa_user_sgpr_private_segment_size 0
		.amdhsa_wavefront_size32 1
		.amdhsa_uses_dynamic_stack 0
		.amdhsa_enable_private_segment 0
		.amdhsa_system_sgpr_workgroup_id_x 1
		.amdhsa_system_sgpr_workgroup_id_y 1
		.amdhsa_system_sgpr_workgroup_id_z 1
		.amdhsa_system_sgpr_workgroup_info 0
		.amdhsa_system_vgpr_workitem_id 0
		.amdhsa_next_free_vgpr 227
		.amdhsa_next_free_sgpr 98
		.amdhsa_reserve_vcc 1
		.amdhsa_float_round_mode_32 0
		.amdhsa_float_round_mode_16_64 0
		.amdhsa_float_denorm_mode_32 3
		.amdhsa_float_denorm_mode_16_64 3
		.amdhsa_dx10_clamp 1
		.amdhsa_ieee_mode 1
		.amdhsa_fp16_overflow 0
		.amdhsa_workgroup_processor_mode 1
		.amdhsa_memory_ordered 1
		.amdhsa_forward_progress 0
		.amdhsa_shared_vgpr_count 0
		.amdhsa_exception_fp_ieee_invalid_op 0
		.amdhsa_exception_fp_denorm_src 0
		.amdhsa_exception_fp_ieee_div_zero 0
		.amdhsa_exception_fp_ieee_overflow 0
		.amdhsa_exception_fp_ieee_underflow 0
		.amdhsa_exception_fp_ieee_inexact 0
		.amdhsa_exception_int_div_zero 0
	.end_amdhsa_kernel
	.section	.text._Z39paged_attention_ll4mi_QKV_mfma16_kernelIDF16_DF16_LN4vllm18Fp8KVCacheDataTypeE0EhLi16ELi128ELi256ELb1ELi1EL8MFMAType0EEvPKT_PKT0_S8_ifPKiSA_SA_iPKfiiiPfSD_PS3_PT2_iSC_SC_,"axG",@progbits,_Z39paged_attention_ll4mi_QKV_mfma16_kernelIDF16_DF16_LN4vllm18Fp8KVCacheDataTypeE0EhLi16ELi128ELi256ELb1ELi1EL8MFMAType0EEvPKT_PKT0_S8_ifPKiSA_SA_iPKfiiiPfSD_PS3_PT2_iSC_SC_,comdat
.Lfunc_end218:
	.size	_Z39paged_attention_ll4mi_QKV_mfma16_kernelIDF16_DF16_LN4vllm18Fp8KVCacheDataTypeE0EhLi16ELi128ELi256ELb1ELi1EL8MFMAType0EEvPKT_PKT0_S8_ifPKiSA_SA_iPKfiiiPfSD_PS3_PT2_iSC_SC_, .Lfunc_end218-_Z39paged_attention_ll4mi_QKV_mfma16_kernelIDF16_DF16_LN4vllm18Fp8KVCacheDataTypeE0EhLi16ELi128ELi256ELb1ELi1EL8MFMAType0EEvPKT_PKT0_S8_ifPKiSA_SA_iPKfiiiPfSD_PS3_PT2_iSC_SC_
                                        ; -- End function
	.section	.AMDGPU.csdata,"",@progbits
; Kernel info:
; codeLenInByte = 7864
; NumSgprs: 100
; NumVgprs: 227
; ScratchSize: 0
; MemoryBound: 1
; FloatMode: 240
; IeeeMode: 1
; LDSByteSize: 17472 bytes/workgroup (compile time only)
; SGPRBlocks: 12
; VGPRBlocks: 28
; NumSGPRsForWavesPerEU: 100
; NumVGPRsForWavesPerEU: 227
; Occupancy: 6
; WaveLimiterHint : 1
; COMPUTE_PGM_RSRC2:SCRATCH_EN: 0
; COMPUTE_PGM_RSRC2:USER_SGPR: 13
; COMPUTE_PGM_RSRC2:TRAP_HANDLER: 0
; COMPUTE_PGM_RSRC2:TGID_X_EN: 1
; COMPUTE_PGM_RSRC2:TGID_Y_EN: 1
; COMPUTE_PGM_RSRC2:TGID_Z_EN: 1
; COMPUTE_PGM_RSRC2:TIDIG_COMP_CNT: 0
	.section	.text._Z39paged_attention_ll4mi_QKV_mfma16_kernelIDF16_DF16_LN4vllm18Fp8KVCacheDataTypeE0EhLi16ELi128ELi256ELb1ELi2EL8MFMAType0EEvPKT_PKT0_S8_ifPKiSA_SA_iPKfiiiPfSD_PS3_PT2_iSC_SC_,"axG",@progbits,_Z39paged_attention_ll4mi_QKV_mfma16_kernelIDF16_DF16_LN4vllm18Fp8KVCacheDataTypeE0EhLi16ELi128ELi256ELb1ELi2EL8MFMAType0EEvPKT_PKT0_S8_ifPKiSA_SA_iPKfiiiPfSD_PS3_PT2_iSC_SC_,comdat
	.protected	_Z39paged_attention_ll4mi_QKV_mfma16_kernelIDF16_DF16_LN4vllm18Fp8KVCacheDataTypeE0EhLi16ELi128ELi256ELb1ELi2EL8MFMAType0EEvPKT_PKT0_S8_ifPKiSA_SA_iPKfiiiPfSD_PS3_PT2_iSC_SC_ ; -- Begin function _Z39paged_attention_ll4mi_QKV_mfma16_kernelIDF16_DF16_LN4vllm18Fp8KVCacheDataTypeE0EhLi16ELi128ELi256ELb1ELi2EL8MFMAType0EEvPKT_PKT0_S8_ifPKiSA_SA_iPKfiiiPfSD_PS3_PT2_iSC_SC_
	.globl	_Z39paged_attention_ll4mi_QKV_mfma16_kernelIDF16_DF16_LN4vllm18Fp8KVCacheDataTypeE0EhLi16ELi128ELi256ELb1ELi2EL8MFMAType0EEvPKT_PKT0_S8_ifPKiSA_SA_iPKfiiiPfSD_PS3_PT2_iSC_SC_
	.p2align	8
	.type	_Z39paged_attention_ll4mi_QKV_mfma16_kernelIDF16_DF16_LN4vllm18Fp8KVCacheDataTypeE0EhLi16ELi128ELi256ELb1ELi2EL8MFMAType0EEvPKT_PKT0_S8_ifPKiSA_SA_iPKfiiiPfSD_PS3_PT2_iSC_SC_,@function
_Z39paged_attention_ll4mi_QKV_mfma16_kernelIDF16_DF16_LN4vllm18Fp8KVCacheDataTypeE0EhLi16ELi128ELi256ELb1ELi2EL8MFMAType0EEvPKT_PKT0_S8_ifPKiSA_SA_iPKfiiiPfSD_PS3_PT2_iSC_SC_: ; @_Z39paged_attention_ll4mi_QKV_mfma16_kernelIDF16_DF16_LN4vllm18Fp8KVCacheDataTypeE0EhLi16ELi128ELi256ELb1ELi2EL8MFMAType0EEvPKT_PKT0_S8_ifPKiSA_SA_iPKfiiiPfSD_PS3_PT2_iSC_SC_
; %bb.0:
	s_load_b64 s[2:3], s[0:1], 0x30
	s_mov_b32 s34, s13
	s_waitcnt lgkmcnt(0)
	s_cmp_lg_u64 s[2:3], 0
	s_cselect_b32 s8, -1, 0
	s_ashr_i32 s35, s13, 31
	s_cmp_eq_u64 s[2:3], 0
	s_cbranch_scc1 .LBB219_3
; %bb.1:
	s_lshl_b64 s[4:5], s[34:35], 2
	s_delay_alu instid0(SALU_CYCLE_1) | instskip(SKIP_4) | instid1(SALU_CYCLE_1)
	s_add_u32 s4, s2, s4
	s_addc_u32 s5, s3, s5
	s_load_b64 s[4:5], s[4:5], 0x0
	s_waitcnt lgkmcnt(0)
	s_sub_i32 s4, s5, s4
	s_cmp_eq_u32 s4, 1
	s_cselect_b32 s4, -1, 0
	s_delay_alu instid0(SALU_CYCLE_1)
	s_and_not1_b32 vcc_lo, exec_lo, s4
	s_cbranch_vccz .LBB219_4
.LBB219_2:
	s_endpgm
.LBB219_3:
.LBB219_4:
	s_load_b64 s[4:5], s[0:1], 0x28
	s_lshl_b64 s[6:7], s[34:35], 2
	s_waitcnt lgkmcnt(0)
	s_add_u32 s4, s4, s6
	s_addc_u32 s5, s5, s7
	s_lshl_b32 s35, s14, 8
	s_load_b32 s30, s[4:5], 0x0
	s_waitcnt lgkmcnt(0)
	s_cmp_ge_i32 s35, s30
	s_cbranch_scc1 .LBB219_2
; %bb.5:
	s_clause 0x1
	s_load_b128 s[20:23], s[0:1], 0x8
	s_load_b64 s[4:5], s[0:1], 0x20
	s_and_not1_b32 vcc_lo, exec_lo, s8
	s_cbranch_vccnz .LBB219_7
; %bb.6:
	s_add_u32 s2, s2, s6
	s_addc_u32 s3, s3, s7
	s_load_b32 s3, s[2:3], 0x0
	s_branch .LBB219_8
.LBB219_7:
	s_mov_b32 s3, s34
.LBB219_8:
	s_load_b128 s[16:19], s[0:1], 0x48
	v_and_b32_e32 v150, 15, v0
	v_bfe_u32 v149, v0, 4, 1
	s_lshl_b32 s31, s15, 1
	v_and_b32_e32 v151, 31, v0
	v_and_b32_e32 v148, 1, v0
	v_lshlrev_b32_e32 v1, 3, v150
	v_cmp_gt_u32_e64 s2, 32, v0
	v_or_b32_e32 v147, s31, v149
	v_lshlrev_b32_e32 v146, 6, v149
	s_delay_alu instid0(VALU_DEP_4) | instskip(NEXT) | instid1(VALU_DEP_4)
	v_lshlrev_b32_e32 v145, 1, v1
	s_and_saveexec_b32 s6, s2
	s_cbranch_execz .LBB219_10
; %bb.9:
	s_load_b64 s[8:9], s[0:1], 0x0
	v_lshlrev_b32_e32 v1, 7, v147
	s_waitcnt lgkmcnt(0)
	s_mul_hi_i32 s11, s3, s16
	s_mul_i32 s10, s3, s16
	v_lshlrev_b32_e32 v5, 10, v150
	s_lshl_b64 s[10:11], s[10:11], 1
	v_ashrrev_i32_e32 v2, 31, v1
	v_lshlrev_b32_e32 v6, 10, v148
	s_delay_alu instid0(VALU_DEP_3) | instskip(NEXT) | instid1(VALU_DEP_3)
	v_and_b32_e32 v5, 0x3800, v5
	v_lshlrev_b64 v[1:2], 1, v[1:2]
	s_delay_alu instid0(VALU_DEP_2) | instskip(SKIP_2) | instid1(VALU_DEP_2)
	v_or3_b32 v5, v5, v6, v146
	s_add_u32 s3, s8, s10
	s_addc_u32 s7, s9, s11
	v_add_co_u32 v1, vcc_lo, s3, v1
	s_delay_alu instid0(VALU_DEP_3) | instskip(NEXT) | instid1(VALU_DEP_2)
	v_add_co_ci_u32_e32 v2, vcc_lo, s7, v2, vcc_lo
	v_add_co_u32 v1, vcc_lo, v1, v145
	s_delay_alu instid0(VALU_DEP_2)
	v_add_co_ci_u32_e32 v2, vcc_lo, 0, v2, vcc_lo
	global_load_b128 v[1:4], v[1:2], off
	s_waitcnt vmcnt(0)
	ds_store_b128 v5, v[1:4]
.LBB219_10:
	s_or_b32 exec_lo, exec_lo, s6
	v_and_b32_e32 v1, 0xef, v0
	s_waitcnt lgkmcnt(0)
	s_add_i32 s3, s30, 15
	s_clause 0x1
	s_load_b32 s6, s[0:1], 0x38
	s_load_b32 s33, s[0:1], 0x98
	s_ashr_i32 s7, s3, 31
	v_add_nc_u32_e32 v1, s35, v1
	s_lshr_b32 s7, s7, 28
	s_load_b32 s36, s[0:1], 0x1c
	s_add_i32 s3, s3, s7
	s_waitcnt lgkmcnt(0)
	v_ashrrev_i32_e32 v2, 31, v1
	v_cmp_gt_i32_e32 vcc_lo, s30, v1
	s_ashr_i32 s3, s3, 4
	s_barrier
	s_add_i32 s3, s3, -1
	v_lshrrev_b32_e32 v3, 28, v2
	v_or_b32_e32 v2, 16, v1
	buffer_gl0_inv
	v_lshlrev_b32_e32 v153, 6, v148
	v_lshrrev_b32_e32 v152, 5, v0
	v_add_nc_u32_e32 v4, v1, v3
	v_add_nc_u32_e32 v3, v2, v3
	s_mul_i32 s6, s34, s6
	v_lshlrev_b32_e32 v125, 5, v150
	s_ashr_i32 s7, s6, 31
	v_ashrrev_i32_e32 v4, 4, v4
	v_ashrrev_i32_e32 v3, 4, v3
	s_lshl_b64 s[6:7], s[6:7], 2
	s_delay_alu instid0(SALU_CYCLE_1) | instskip(NEXT) | instid1(VALU_DEP_2)
	s_add_u32 s16, s4, s6
	v_cndmask_b32_e32 v1, s3, v4, vcc_lo
	v_cmp_gt_i32_e32 vcc_lo, s30, v2
	s_addc_u32 s37, s5, s7
	s_mul_i32 s4, s15, s18
	s_delay_alu instid0(SALU_CYCLE_1) | instskip(SKIP_3) | instid1(SALU_CYCLE_1)
	s_ashr_i32 s5, s4, 31
	v_cndmask_b32_e32 v3, s3, v3, vcc_lo
	v_ashrrev_i32_e32 v2, 31, v1
	s_lshl_b64 s[12:13], s[4:5], 1
	s_add_u32 s26, s20, s12
	s_delay_alu instid0(VALU_DEP_2) | instskip(NEXT) | instid1(VALU_DEP_2)
	v_ashrrev_i32_e32 v4, 31, v3
	v_lshlrev_b64 v[1:2], 2, v[1:2]
	s_addc_u32 s27, s21, s13
	s_lshl_b32 s4, s14, 4
	s_delay_alu instid0(VALU_DEP_2) | instskip(SKIP_1) | instid1(VALU_DEP_2)
	v_lshlrev_b64 v[3:4], 2, v[3:4]
	s_ashr_i32 s5, s4, 31
	v_add_co_u32 v1, vcc_lo, s16, v1
	v_add_co_ci_u32_e32 v2, vcc_lo, s37, v2, vcc_lo
	s_delay_alu instid0(VALU_DEP_3) | instskip(NEXT) | instid1(VALU_DEP_4)
	v_add_co_u32 v3, vcc_lo, s16, v3
	v_add_co_ci_u32_e32 v4, vcc_lo, s37, v4, vcc_lo
	s_lshl_b64 s[4:5], s[4:5], 2
	s_clause 0x1
	global_load_b32 v5, v[1:2], off
	global_load_b32 v6, v[3:4], off
	s_add_u32 s4, s16, s4
	s_addc_u32 s5, s37, s5
	s_or_b32 s6, s35, 16
	v_lshlrev_b32_e32 v3, 4, v0
	s_ashr_i32 s7, s6, 4
	s_cmp_lt_i32 s6, s30
	s_cselect_b32 s6, s7, s3
	s_delay_alu instid0(SALU_CYCLE_1) | instskip(NEXT) | instid1(SALU_CYCLE_1)
	s_ashr_i32 s7, s6, 31
	s_lshl_b64 s[6:7], s[6:7], 2
	s_delay_alu instid0(SALU_CYCLE_1) | instskip(SKIP_2) | instid1(SALU_CYCLE_1)
	s_add_u32 s6, s16, s6
	s_addc_u32 s7, s37, s7
	s_or_b32 s8, s35, 32
	s_ashr_i32 s9, s8, 4
	s_cmp_lt_i32 s8, s30
	s_cselect_b32 s8, s9, s3
	s_delay_alu instid0(SALU_CYCLE_1) | instskip(NEXT) | instid1(SALU_CYCLE_1)
	s_ashr_i32 s9, s8, 31
	s_lshl_b64 s[8:9], s[8:9], 2
	s_delay_alu instid0(SALU_CYCLE_1) | instskip(SKIP_2) | instid1(SALU_CYCLE_1)
	s_add_u32 s8, s16, s8
	s_addc_u32 s9, s37, s9
	s_or_b32 s10, s35, 48
	;; [unrolled: 10-line block ×4, first 2 shown]
	s_ashr_i32 s18, s15, 4
	s_cmp_lt_i32 s15, s30
	s_cselect_b32 s18, s18, s3
	s_delay_alu instid0(SALU_CYCLE_1) | instskip(NEXT) | instid1(SALU_CYCLE_1)
	s_ashr_i32 s19, s18, 31
	s_lshl_b64 s[18:19], s[18:19], 2
	s_delay_alu instid0(SALU_CYCLE_1)
	s_add_u32 s24, s16, s18
	s_addc_u32 s25, s37, s19
	s_clause 0x5
	s_load_b32 s38, s[4:5], 0x0
	s_load_b32 s29, s[6:7], 0x0
	;; [unrolled: 1-line block ×6, first 2 shown]
	s_waitcnt vmcnt(1)
	v_mad_i64_i32 v[1:2], null, v5, s17, 0
	v_and_b32_e32 v5, 0xf0, v3
	s_waitcnt vmcnt(0)
	v_mad_i64_i32 v[3:4], null, v6, s17, 0
	s_delay_alu instid0(VALU_DEP_2) | instskip(NEXT) | instid1(VALU_DEP_4)
	v_add_co_u32 v5, s4, s26, v5
	v_lshlrev_b64 v[1:2], 1, v[1:2]
	v_add_co_ci_u32_e64 v6, null, s27, 0, s4
	s_delay_alu instid0(VALU_DEP_4) | instskip(SKIP_1) | instid1(VALU_DEP_3)
	v_lshlrev_b64 v[3:4], 1, v[3:4]
	s_or_b32 s4, s35, 0x60
	v_add_co_u32 v121, vcc_lo, v5, v1
	s_delay_alu instid0(VALU_DEP_3) | instskip(NEXT) | instid1(VALU_DEP_3)
	v_add_co_ci_u32_e32 v122, vcc_lo, v6, v2, vcc_lo
	v_add_co_u32 v123, vcc_lo, v5, v3
	s_delay_alu instid0(VALU_DEP_4)
	v_add_co_ci_u32_e32 v124, vcc_lo, v6, v4, vcc_lo
	s_clause 0x1b
	global_load_b128 v[89:92], v[121:122], off
	global_load_b128 v[93:96], v[121:122], off offset:256
	global_load_b128 v[97:100], v[123:124], off
	global_load_b128 v[101:104], v[123:124], off offset:256
	global_load_b128 v[81:84], v[121:122], off offset:512
	;; [unrolled: 1-line block ×25, first 2 shown]
	ds_load_b128 v[105:108], v153
	ds_load_b128 v[109:112], v153 offset:1024
	ds_load_b128 v[113:116], v153 offset:2048
	;; [unrolled: 1-line block ×9, first 2 shown]
	s_clause 0x3
	global_load_b128 v[186:189], v[121:122], off offset:3584
	global_load_b128 v[190:193], v[121:122], off offset:3840
	;; [unrolled: 1-line block ×4, first 2 shown]
	s_ashr_i32 s5, s4, 4
	s_cmp_lt_i32 s4, s30
	ds_load_b128 v[202:205], v153 offset:10240
	ds_load_b128 v[206:209], v153 offset:11264
	s_cselect_b32 s4, s5, s3
	ds_load_b128 v[210:213], v153 offset:12288
	ds_load_b128 v[214:217], v153 offset:13312
	s_ashr_i32 s5, s4, 31
	s_delay_alu instid0(SALU_CYCLE_1) | instskip(NEXT) | instid1(SALU_CYCLE_1)
	s_lshl_b64 s[4:5], s[4:5], 2
	s_add_u32 s20, s16, s4
	s_addc_u32 s21, s37, s5
	s_or_b32 s4, s35, 0x70
	s_load_b32 s45, s[20:21], 0x0
	s_ashr_i32 s5, s4, 4
	s_cmp_lt_i32 s4, s30
	s_mov_b32 s4, 0
	s_cselect_b32 s6, s5, s3
	s_mov_b32 s5, s4
	s_ashr_i32 s7, s6, 31
	s_mov_b32 s9, s4
	s_lshl_b64 s[6:7], s[6:7], 2
	s_delay_alu instid0(SALU_CYCLE_1)
	s_add_u32 s24, s16, s6
	s_addc_u32 s25, s37, s7
	s_or_b32 s7, s35, 0x80
	s_load_b32 s46, s[24:25], 0x0
	s_ashr_i32 s8, s7, 4
	s_cmp_lt_i32 s7, s30
	s_mov_b32 s6, s4
	s_cselect_b32 s10, s8, s3
	s_mov_b32 s7, s4
	s_ashr_i32 s11, s10, 31
	s_mov_b32 s8, s4
	s_lshl_b64 s[26:27], s[10:11], 2
	s_mov_b32 s11, s4
	s_add_u32 s26, s16, s26
	s_addc_u32 s27, s37, s27
	s_or_b32 s39, s35, 0x90
	s_mov_b32 s10, s4
	s_ashr_i32 s40, s39, 4
	s_cmp_lt_i32 s39, s30
	v_dual_mov_b32 v136, s11 :: v_dual_mov_b32 v135, s10
	v_dual_mov_b32 v134, s9 :: v_dual_mov_b32 v133, s8
	;; [unrolled: 1-line block ×4, first 2 shown]
	s_cselect_b32 s4, s40, s3
	s_waitcnt lgkmcnt(0)
	s_mul_hi_i32 s7, s29, s17
	s_ashr_i32 s5, s4, 31
	s_mul_hi_i32 s11, s19, s17
	s_lshl_b64 s[4:5], s[4:5], 2
	s_delay_alu instid0(SALU_CYCLE_1)
	s_add_u32 s40, s16, s4
	s_addc_u32 s41, s37, s5
	s_or_b32 s4, s35, 0xa0
	s_load_b32 s41, s[40:41], 0x0
	s_ashr_i32 s5, s4, 4
	s_cmp_lt_i32 s4, s30
	s_mul_hi_i32 s21, s15, s17
	s_cselect_b32 s4, s5, s3
	s_delay_alu instid0(SALU_CYCLE_1) | instskip(NEXT) | instid1(SALU_CYCLE_1)
	s_ashr_i32 s5, s4, 31
	s_lshl_b64 s[4:5], s[4:5], 2
	s_delay_alu instid0(SALU_CYCLE_1)
	s_add_u32 s42, s16, s4
	s_addc_u32 s43, s37, s5
	s_or_b32 s4, s35, 0xb0
	s_mul_hi_i32 s5, s38, s17
	s_ashr_i32 s6, s4, 4
	s_cmp_lt_i32 s4, s30
	s_mul_i32 s4, s38, s17
	s_cselect_b32 s8, s6, s3
	s_mul_i32 s6, s29, s17
	s_ashr_i32 s9, s8, 31
	s_load_b32 s40, s[42:43], 0x0
	s_lshl_b64 s[8:9], s[8:9], 2
	s_waitcnt lgkmcnt(0)
	s_mul_hi_i32 s43, s41, s17
	s_add_u32 s38, s16, s8
	s_addc_u32 s39, s37, s9
	s_or_b32 s8, s35, 0xc0
	s_mul_hi_i32 s9, s28, s17
	s_ashr_i32 s10, s8, 4
	s_cmp_lt_i32 s8, s30
	s_mul_i32 s8, s28, s17
	s_cselect_b32 s28, s10, s3
	s_mul_i32 s10, s19, s17
	s_ashr_i32 s29, s28, 31
	s_mul_hi_i32 s19, s18, s17
	s_lshl_b64 s[28:29], s[28:29], 2
	s_mul_i32 s18, s18, s17
	s_add_u32 s28, s16, s28
	s_addc_u32 s29, s37, s29
	s_or_b32 s44, s35, 0xd0
	s_delay_alu instid0(SALU_CYCLE_1)
	s_ashr_i32 s20, s44, 4
	s_cmp_lt_i32 s44, s30
	s_load_b32 s44, s[26:27], 0x0
	s_cselect_b32 s24, s20, s3
	s_mul_i32 s20, s15, s17
	s_ashr_i32 s25, s24, 31
	s_mul_hi_i32 s27, s46, s17
	s_lshl_b64 s[24:25], s[24:25], 2
	s_mul_i32 s26, s46, s17
	s_add_u32 s24, s16, s24
	s_addc_u32 s25, s37, s25
	s_or_b32 s42, s35, 0xe0
	s_clause 0x2
	s_load_b32 s39, s[38:39], 0x0
	s_load_b32 s38, s[28:29], 0x0
	;; [unrolled: 1-line block ×3, first 2 shown]
	s_ashr_i32 s47, s42, 4
	s_cmp_lt_i32 s42, s30
	s_mul_hi_i32 s25, s45, s17
	s_mul_i32 s24, s45, s17
	s_mul_i32 s42, s41, s17
	s_mul_hi_i32 s41, s40, s17
	s_mul_i32 s40, s40, s17
	s_waitcnt lgkmcnt(0)
	s_mul_hi_i32 s29, s44, s17
	s_mul_i32 s28, s44, s17
	s_cselect_b32 s44, s47, s3
	s_delay_alu instid0(SALU_CYCLE_1) | instskip(NEXT) | instid1(SALU_CYCLE_1)
	s_ashr_i32 s45, s44, 31
	s_lshl_b64 s[44:45], s[44:45], 2
	s_delay_alu instid0(SALU_CYCLE_1)
	s_add_u32 s44, s16, s44
	s_addc_u32 s45, s37, s45
	s_or_b32 s46, s35, 0xf0
	s_mul_hi_i32 s51, s15, s17
	s_ashr_i32 s48, s46, 4
	s_cmp_lt_i32 s46, s30
	s_mul_i32 s50, s15, s17
	s_cselect_b32 s48, s48, s3
	s_mul_hi_i32 s47, s39, s17
	s_ashr_i32 s49, s48, 31
	s_mul_i32 s46, s39, s17
	s_lshl_b64 s[48:49], s[48:49], 2
	s_mul_hi_i32 s39, s38, s17
	s_add_u32 s48, s16, s48
	s_addc_u32 s49, s37, s49
	s_add_u32 s3, s22, s12
	s_addc_u32 s15, s23, s13
	s_lshl_b64 s[4:5], s[4:5], 1
	s_lshl_b64 s[6:7], s[6:7], 1
	;; [unrolled: 1-line block ×12, first 2 shown]
	s_mul_i32 s38, s38, s17
	s_delay_alu instid0(SALU_CYCLE_1)
	s_lshl_b64 s[38:39], s[38:39], 1
	s_waitcnt vmcnt(30)
	v_wmma_f32_16x16x16_f16 v[137:144], v[89:96], v[105:112], v[129:136]
	v_lshl_or_b32 v89, v152, 9, v125
	s_waitcnt vmcnt(28)
	v_wmma_f32_16x16x16_f16 v[129:136], v[97:104], v[105:112], v[129:136]
	s_waitcnt vmcnt(26)
	v_wmma_f32_16x16x16_f16 v[137:144], v[81:88], v[113:120], v[137:144]
	v_add_co_u32 v228, s3, s3, v89
	s_delay_alu instid0(VALU_DEP_1) | instskip(SKIP_2) | instid1(VALU_DEP_3)
	v_add_co_ci_u32_e64 v229, null, s15, 0, s3
	s_waitcnt vmcnt(24)
	v_wmma_f32_16x16x16_f16 v[129:136], v[73:80], v[113:120], v[129:136]
	v_add_co_u32 v89, vcc_lo, v228, s4
	s_delay_alu instid0(VALU_DEP_3)
	v_add_co_ci_u32_e32 v90, vcc_lo, s5, v229, vcc_lo
	v_add_co_u32 v81, vcc_lo, v228, s6
	v_add_co_ci_u32_e32 v82, vcc_lo, s7, v229, vcc_lo
	v_add_co_u32 v83, vcc_lo, v228, s8
	;; [unrolled: 2-line block ×7, first 2 shown]
	v_add_co_ci_u32_e32 v219, vcc_lo, s23, v229, vcc_lo
	s_clause 0x1
	s_load_b32 s3, s[44:45], 0x0
	s_load_b32 s15, s[48:49], 0x0
	v_add_co_u32 v220, vcc_lo, v228, s24
	v_add_co_ci_u32_e32 v221, vcc_lo, s25, v229, vcc_lo
	v_add_co_u32 v222, vcc_lo, v228, s26
	s_waitcnt vmcnt(22)
	v_wmma_f32_16x16x16_f16 v[137:144], v[65:72], v[162:169], v[137:144]
	v_add_co_ci_u32_e32 v223, vcc_lo, s27, v229, vcc_lo
	v_add_co_u32 v224, vcc_lo, v228, s28
	s_waitcnt vmcnt(20)
	v_wmma_f32_16x16x16_f16 v[129:136], v[57:64], v[162:169], v[129:136]
	;; [unrolled: 4-line block ×3, first 2 shown]
	v_add_co_ci_u32_e32 v227, vcc_lo, s41, v229, vcc_lo
	s_waitcnt vmcnt(16)
	v_wmma_f32_16x16x16_f16 v[129:136], v[41:48], v[170:177], v[129:136]
	v_add_co_u32 v41, vcc_lo, v228, s38
	s_waitcnt vmcnt(14)
	v_wmma_f32_16x16x16_f16 v[137:144], v[25:32], v[178:185], v[137:144]
	v_add_co_ci_u32_e32 v42, vcc_lo, s39, v229, vcc_lo
	s_lshl_b64 s[4:5], s[50:51], 1
	s_clause 0x11
	global_load_b128 v[121:124], v[89:90], off
	global_load_b128 v[125:128], v[89:90], off offset:16
	global_load_b128 v[113:116], v[81:82], off
	global_load_b128 v[117:120], v[81:82], off offset:16
	global_load_b128 v[105:108], v[83:84], off
	global_load_b128 v[109:112], v[83:84], off offset:16
	global_load_b128 v[97:100], v[85:86], off
	global_load_b128 v[101:104], v[85:86], off offset:16
	global_load_b128 v[89:92], v[87:88], off
	global_load_b128 v[93:96], v[87:88], off offset:16
	global_load_b128 v[81:84], v[73:74], off
	global_load_b128 v[85:88], v[73:74], off offset:16
	global_load_b128 v[73:76], v[77:78], off
	global_load_b128 v[77:80], v[77:78], off offset:16
	global_load_b128 v[65:68], v[218:219], off
	global_load_b128 v[69:72], v[218:219], off offset:16
	global_load_b128 v[57:60], v[220:221], off
	global_load_b128 v[61:64], v[220:221], off offset:16
	s_waitcnt vmcnt(30)
	v_wmma_f32_16x16x16_f16 v[129:136], v[1:8], v[178:185], v[129:136]
	s_clause 0x5
	global_load_b128 v[49:52], v[222:223], off
	global_load_b128 v[53:56], v[222:223], off offset:16
	global_load_b128 v[25:28], v[224:225], off
	global_load_b128 v[29:32], v[224:225], off offset:16
	;; [unrolled: 2-line block ×3, first 2 shown]
	s_waitcnt lgkmcnt(0)
	s_mul_hi_i32 s7, s3, s17
	s_mul_i32 s6, s3, s17
	s_waitcnt vmcnt(34)
	v_wmma_f32_16x16x16_f16 v[137:144], v[9:16], v[202:209], v[137:144]
	s_clause 0x1
	global_load_b128 v[9:12], v[41:42], off
	global_load_b128 v[13:16], v[41:42], off offset:16
	v_add_co_u32 v41, vcc_lo, v228, s4
	v_add_co_ci_u32_e32 v42, vcc_lo, s5, v229, vcc_lo
	s_lshl_b64 s[4:5], s[6:7], 1
	s_mul_hi_i32 s7, s15, s17
	s_mul_i32 s6, s15, s17
	v_add_co_u32 v45, vcc_lo, v228, s4
	v_add_co_ci_u32_e32 v46, vcc_lo, s5, v229, vcc_lo
	s_lshl_b64 s[4:5], s[6:7], 1
	s_waitcnt vmcnt(34)
	v_wmma_f32_16x16x16_f16 v[129:136], v[33:40], v[202:209], v[129:136]
	v_add_co_u32 v162, vcc_lo, v228, s4
	v_add_co_ci_u32_e32 v163, vcc_lo, s5, v229, vcc_lo
	s_clause 0x3
	global_load_b128 v[33:36], v[41:42], off
	global_load_b128 v[37:40], v[41:42], off offset:16
	global_load_b128 v[41:44], v[45:46], off
	global_load_b128 v[45:48], v[45:46], off offset:16
	s_waitcnt vmcnt(36)
	v_wmma_f32_16x16x16_f16 v[137:144], v[17:24], v[210:217], v[137:144]
	s_clause 0x1
	global_load_b128 v[17:20], v[162:163], off
	global_load_b128 v[21:24], v[162:163], off offset:16
	s_waitcnt vmcnt(36)
	v_wmma_f32_16x16x16_f16 v[129:136], v[154:161], v[210:217], v[129:136]
	ds_load_b128 v[154:157], v153 offset:14336
	ds_load_b128 v[158:161], v153 offset:15360
	v_and_b32_e32 v162, 0xe0, v0
	v_mbcnt_lo_u32_b32 v163, -1, 0
	s_waitcnt vmcnt(0) lgkmcnt(0)
	s_barrier
	buffer_gl0_inv
	v_add_nc_u32_e32 v162, s35, v162
	v_xor_b32_e32 v153, 16, v163
	s_delay_alu instid0(VALU_DEP_2) | instskip(NEXT) | instid1(VALU_DEP_2)
	v_or_b32_e32 v162, v162, v149
	v_cmp_gt_i32_e32 vcc_lo, 32, v153
	s_delay_alu instid0(VALU_DEP_2)
	v_or_b32_e32 v164, 4, v162
	v_or_b32_e32 v165, 6, v162
	;; [unrolled: 1-line block ×4, first 2 shown]
	v_wmma_f32_16x16x16_f16 v[137:144], v[186:193], v[154:161], v[137:144]
	v_wmma_f32_16x16x16_f16 v[129:136], v[194:201], v[154:161], v[129:136]
	v_cndmask_b32_e32 v153, v163, v153, vcc_lo
	v_or_b32_e32 v163, 2, v162
	v_cmp_gt_i32_e32 vcc_lo, s30, v162
	v_mul_f32_e32 v160, s36, v138
	v_dual_mul_f32 v178, s36, v136 :: v_dual_mul_f32 v161, s36, v137
	s_delay_alu instid0(VALU_DEP_4) | instskip(SKIP_2) | instid1(VALU_DEP_4)
	v_cmp_gt_i32_e64 s3, s30, v163
	v_dual_mul_f32 v158, s36, v140 :: v_dual_mul_f32 v159, s36, v139
	v_mul_f32_e32 v184, s36, v130
	v_cndmask_b32_e32 v161, 0xff7fffff, v161, vcc_lo
	s_delay_alu instid0(VALU_DEP_4)
	v_cndmask_b32_e64 v160, 0xff7fffff, v160, s3
	v_cmp_gt_i32_e64 s4, s30, v164
	v_cmp_gt_i32_e64 s5, s30, v165
	v_or_b32_e32 v168, 12, v162
	v_or_b32_e32 v169, 14, v162
	v_dual_mul_f32 v156, s36, v142 :: v_dual_mul_f32 v157, s36, v141
	v_mul_f32_e32 v182, s36, v132
	v_cndmask_b32_e64 v159, 0xff7fffff, v159, s4
	v_cndmask_b32_e64 v158, 0xff7fffff, v158, s5
	v_max3_f32 v160, v161, 0xff7fffff, v160
	v_cmp_gt_i32_e64 s6, s30, v166
	v_cmp_gt_i32_e64 s7, s30, v167
	v_or_b32_e32 v170, 16, v162
	v_or_b32_e32 v171, 18, v162
	v_dual_mul_f32 v154, s36, v144 :: v_dual_mul_f32 v155, s36, v143
	v_mul_f32_e32 v180, s36, v134
	v_cndmask_b32_e64 v157, 0xff7fffff, v157, s6
	v_cndmask_b32_e64 v156, 0xff7fffff, v156, s7
	v_max3_f32 v158, v160, v159, v158
	v_cmp_gt_i32_e64 s8, s30, v168
	v_cmp_gt_i32_e64 s9, s30, v169
	v_or_b32_e32 v172, 20, v162
	v_or_b32_e32 v173, 22, v162
	v_mul_f32_e32 v185, s36, v129
	v_cndmask_b32_e64 v155, 0xff7fffff, v155, s8
	v_cndmask_b32_e64 v154, 0xff7fffff, v154, s9
	v_max3_f32 v156, v158, v157, v156
	v_cmp_gt_i32_e64 s10, s30, v170
	v_cmp_gt_i32_e64 s11, s30, v171
	v_or_b32_e32 v174, 24, v162
	v_or_b32_e32 v175, 26, v162
	;; [unrolled: 8-line block ×3, first 2 shown]
	v_mul_f32_e32 v181, s36, v133
	v_cndmask_b32_e64 v155, 0xff7fffff, v183, s12
	v_cndmask_b32_e64 v156, 0xff7fffff, v182, s13
	v_max3_f32 v154, v154, v157, v158
	v_cmp_gt_i32_e64 s15, s30, v174
	v_cmp_gt_i32_e64 s16, s30, v175
	v_mul_f32_e32 v179, s36, v135
	v_cmp_gt_i32_e64 s17, s30, v176
	v_max3_f32 v154, v154, v155, v156
	v_cndmask_b32_e64 v157, 0xff7fffff, v181, s15
	v_cndmask_b32_e64 v158, 0xff7fffff, v180, s16
	v_cmp_gt_i32_e64 s18, s30, v177
	v_cndmask_b32_e64 v155, 0xff7fffff, v179, s17
	v_lshlrev_b32_e32 v163, 2, v153
	s_delay_alu instid0(VALU_DEP_4) | instskip(NEXT) | instid1(VALU_DEP_4)
	v_max3_f32 v154, v154, v157, v158
	v_cndmask_b32_e64 v156, 0xff7fffff, v178, s18
	s_delay_alu instid0(VALU_DEP_1) | instskip(SKIP_3) | instid1(VALU_DEP_1)
	v_max3_f32 v153, v154, v155, v156
	ds_bpermute_b32 v154, v163, v153
	s_waitcnt lgkmcnt(0)
	v_max_f32_e32 v154, v154, v154
	v_max_f32_e32 v162, v153, v154
	s_delay_alu instid0(VALU_DEP_1) | instskip(SKIP_4) | instid1(VALU_DEP_4)
	v_fma_f32 v137, s36, v137, -v162
	v_fma_f32 v138, s36, v138, -v162
	;; [unrolled: 1-line block ×5, first 2 shown]
	v_dual_mul_f32 v137, 0x3fb8aa3b, v137 :: v_dual_mul_f32 v138, 0x3fb8aa3b, v138
	s_delay_alu instid0(VALU_DEP_3) | instskip(SKIP_1) | instid1(VALU_DEP_3)
	v_dual_mul_f32 v132, 0x3fb8aa3b, v132 :: v_dual_mul_f32 v139, 0x3fb8aa3b, v139
	v_fma_f32 v141, s36, v141, -v162
	v_exp_f32_e32 v137, v137
	s_delay_alu instid0(VALU_DEP_3)
	v_exp_f32_e32 v138, v138
	v_mul_f32_e32 v140, 0x3fb8aa3b, v140
	v_exp_f32_e32 v153, v139
	v_fma_f32 v134, s36, v134, -v162
	v_exp_f32_e32 v132, v132
	v_mul_f32_e32 v141, 0x3fb8aa3b, v141
	v_exp_f32_e32 v140, v140
	v_fma_f32 v143, s36, v143, -v162
	v_dual_mul_f32 v134, 0x3fb8aa3b, v134 :: v_dual_cndmask_b32 v139, 0, v137
	v_fma_f32 v137, s36, v142, -v162
	v_cndmask_b32_e64 v138, 0, v138, s3
	v_exp_f32_e32 v154, v141
	v_cndmask_b32_e64 v141, 0, v153, s4
	v_add_f32_e32 v142, 0, v139
	v_cndmask_b32_e64 v156, 0, v132, s13
	v_fma_f32 v132, s36, v136, -v162
	v_mul_f32_e32 v137, 0x3fb8aa3b, v137
	v_fma_f32 v144, s36, v144, -v162
	v_dual_add_f32 v142, v142, v138 :: v_dual_mul_f32 v143, 0x3fb8aa3b, v143
	s_delay_alu instid0(VALU_DEP_4) | instskip(NEXT) | instid1(VALU_DEP_4)
	v_mul_f32_e32 v132, 0x3fb8aa3b, v132
	v_exp_f32_e32 v137, v137
	v_cndmask_b32_e64 v140, 0, v140, s5
	s_delay_alu instid0(VALU_DEP_3)
	v_add_f32_e32 v142, v142, v141
	v_fma_f32 v129, s36, v129, -v162
	v_mul_f32_e32 v144, 0x3fb8aa3b, v144
	v_exp_f32_e32 v153, v143
	v_cndmask_b32_e64 v143, 0, v154, s6
	v_add_f32_e32 v154, v142, v140
	v_fma_f32 v130, s36, v130, -v162
	v_mul_f32_e32 v129, 0x3fb8aa3b, v129
	v_exp_f32_e32 v144, v144
	v_cndmask_b32_e64 v142, 0, v137, s7
	;; [unrolled: 5-line block ×3, first 2 shown]
	v_add_f32_e32 v137, v137, v142
	v_mul_f32_e32 v131, 0x3fb8aa3b, v131
	v_exp_f32_e32 v130, v130
	v_cndmask_b32_e64 v144, 0, v144, s9
	v_fma_f32 v133, s36, v133, -v162
	v_add_f32_e32 v137, v137, v153
	v_exp_f32_e32 v131, v131
	s_mov_b32 s3, exec_lo
	v_cndmask_b32_e64 v155, 0, v129, s10
	v_mul_f32_e32 v133, 0x3fb8aa3b, v133
	v_add_f32_e32 v129, v137, v144
	s_delay_alu instid0(TRANS32_DEP_2) | instskip(SKIP_1) | instid1(VALU_DEP_4)
	v_cndmask_b32_e64 v154, 0, v130, s11
	v_fma_f32 v130, s36, v135, -v162
	v_exp_f32_e32 v133, v133
	s_delay_alu instid0(VALU_DEP_3) | instskip(NEXT) | instid1(TRANS32_DEP_2)
	v_add_f32_e32 v129, v129, v155
	v_cndmask_b32_e64 v157, 0, v131, s12
	v_exp_f32_e32 v131, v134
	v_mul_f32_e32 v130, 0x3fb8aa3b, v130
	s_delay_alu instid0(VALU_DEP_3) | instskip(NEXT) | instid1(VALU_DEP_2)
	v_add_f32_e32 v129, v129, v154
	v_exp_f32_e32 v130, v130
	s_delay_alu instid0(TRANS32_DEP_3) | instskip(NEXT) | instid1(VALU_DEP_2)
	v_cndmask_b32_e64 v159, 0, v133, s15
	v_add_f32_e32 v129, v129, v157
	s_waitcnt_depctr 0xfff
	v_cndmask_b32_e64 v158, 0, v131, s16
	v_exp_f32_e32 v131, v132
	v_add_f32_e32 v129, v129, v156
	v_cndmask_b32_e64 v161, 0, v130, s17
	s_delay_alu instid0(VALU_DEP_2) | instskip(SKIP_3) | instid1(VALU_DEP_1)
	v_add_f32_e32 v129, v129, v159
	s_waitcnt_depctr 0xfff
	v_cndmask_b32_e64 v160, 0, v131, s18
	v_add_f32_e32 v129, v129, v158
	v_add_f32_e32 v129, v129, v161
	s_delay_alu instid0(VALU_DEP_1)
	v_add_f32_e32 v129, v129, v160
	ds_bpermute_b32 v130, v163, v129
	v_cmpx_gt_u32_e32 16, v151
	s_cbranch_execz .LBB219_12
; %bb.11:
	v_mul_u32_u24_e32 v131, 0x44, v152
	s_delay_alu instid0(VALU_DEP_1) | instskip(SKIP_1) | instid1(VALU_DEP_1)
	v_lshl_add_u32 v131, v150, 2, v131
	s_waitcnt lgkmcnt(0)
	v_dual_add_f32 v129, v129, v130 :: v_dual_add_nc_u32 v130, 0x4000, v131
	ds_store_2addr_b32 v130, v162, v129 offset1:136
.LBB219_12:
	s_or_b32 exec_lo, exec_lo, s3
	v_lshlrev_b32_e32 v129, 2, v150
	s_load_b32 s35, s[0:1], 0x94
	s_waitcnt lgkmcnt(0)
	s_barrier
	buffer_gl0_inv
	v_add_nc_u32_e32 v135, 0x4000, v129
	v_cmp_eq_u32_e32 vcc_lo, 1, v152
	v_cmp_eq_u32_e64 s3, 2, v152
	v_cmp_eq_u32_e64 s4, 3, v152
	;; [unrolled: 1-line block ×3, first 2 shown]
	ds_load_2addr_b32 v[129:130], v135 offset1:17
	ds_load_2addr_b32 v[131:132], v135 offset0:34 offset1:51
	ds_load_2addr_b32 v[133:134], v135 offset0:68 offset1:85
	;; [unrolled: 1-line block ×4, first 2 shown]
	v_cmp_eq_u32_e64 s6, 5, v152
	v_cmp_eq_u32_e64 s7, 7, v152
	s_waitcnt lgkmcnt(4)
	v_max3_f32 v136, v129, 0xff7fffff, v130
	s_waitcnt lgkmcnt(3)
	s_delay_alu instid0(VALU_DEP_1) | instskip(SKIP_1) | instid1(VALU_DEP_1)
	v_max3_f32 v136, v136, v131, v132
	s_waitcnt lgkmcnt(2)
	v_max3_f32 v136, v136, v133, v134
	s_waitcnt lgkmcnt(1)
	s_delay_alu instid0(VALU_DEP_1) | instskip(NEXT) | instid1(VALU_DEP_1)
	v_max3_f32 v136, v136, v162, v163
	v_sub_f32_e32 v166, v132, v136
	v_sub_f32_e32 v129, v129, v136
	;; [unrolled: 1-line block ×4, first 2 shown]
	s_delay_alu instid0(VALU_DEP_4) | instskip(NEXT) | instid1(VALU_DEP_4)
	v_dual_sub_f32 v133, v133, v136 :: v_dual_mul_f32 v166, 0x3fb8aa3b, v166
	v_mul_f32_e32 v151, 0x3fb8aa3b, v129
	s_delay_alu instid0(VALU_DEP_3) | instskip(NEXT) | instid1(VALU_DEP_3)
	v_mul_f32_e32 v167, 0x3fb8aa3b, v131
	v_mul_f32_e32 v169, 0x3fb8aa3b, v133
	s_delay_alu instid0(VALU_DEP_4) | instskip(NEXT) | instid1(VALU_DEP_3)
	v_exp_f32_e32 v166, v166
	v_exp_f32_e32 v151, v151
	v_mul_f32_e32 v137, 0x3fb8aa3b, v137
	v_exp_f32_e32 v167, v167
	s_delay_alu instid0(VALU_DEP_1) | instskip(SKIP_1) | instid1(TRANS32_DEP_3)
	v_exp_f32_e32 v168, v137
	s_waitcnt lgkmcnt(0)
	v_fma_f32 v137, v151, v164, 0
	v_sub_f32_e32 v164, v134, v136
	ds_load_2addr_b32 v[129:130], v135 offset0:170 offset1:187
	ds_load_2addr_b32 v[131:132], v135 offset0:204 offset1:221
	;; [unrolled: 1-line block ×3, first 2 shown]
	v_sub_f32_e32 v135, v162, v136
	v_dual_fmac_f32 v137, v168, v165 :: v_dual_mul_f32 v162, 0x3fb8aa3b, v164
	v_exp_f32_e32 v164, v169
	s_waitcnt lgkmcnt(0)
	s_delay_alu instid0(VALU_DEP_2)
	v_mul_f32_e32 v135, 0x3fb8aa3b, v135
	s_barrier
	v_exp_f32_e32 v162, v162
	buffer_gl0_inv
	v_exp_f32_e32 v135, v135
	v_fmac_f32_e32 v137, v167, v129
	v_sub_f32_e32 v129, v163, v136
	s_delay_alu instid0(VALU_DEP_2) | instskip(NEXT) | instid1(VALU_DEP_2)
	v_dual_fmac_f32 v137, v166, v130 :: v_dual_cndmask_b32 v130, v151, v168
	v_mul_f32_e32 v129, 0x3fb8aa3b, v129
	s_delay_alu instid0(VALU_DEP_2) | instskip(NEXT) | instid1(VALU_DEP_2)
	v_fmac_f32_e32 v137, v164, v131
	v_exp_f32_e32 v163, v129
	s_delay_alu instid0(VALU_DEP_1)
	v_fmac_f32_e32 v137, v162, v132
	s_delay_alu instid0(TRANS32_DEP_2) | instid1(VALU_DEP_1)
	v_fmac_f32_e32 v137, v135, v133
	v_lshlrev_b32_e32 v133, 6, v150
	s_waitcnt_depctr 0xfff
	v_fmac_f32_e32 v137, v163, v134
	v_lshl_or_b32 v134, v152, 11, v133
	s_delay_alu instid0(VALU_DEP_2) | instskip(NEXT) | instid1(VALU_DEP_1)
	v_add_f32_e32 v165, 0x358637bd, v137
	v_div_scale_f32 v169, null, v165, v165, 1.0
	v_div_scale_f32 v151, vcc_lo, 1.0, v165, 1.0
	s_delay_alu instid0(VALU_DEP_2) | instskip(SKIP_2) | instid1(VALU_DEP_1)
	v_rcp_f32_e32 v170, v169
	s_waitcnt_depctr 0xfff
	v_fma_f32 v129, -v169, v170, 1.0
	v_fmac_f32_e32 v170, v129, v170
	v_cndmask_b32_e64 v129, v130, v167, s3
	v_cmp_eq_u32_e64 s3, 6, v152
	s_delay_alu instid0(VALU_DEP_3) | instskip(NEXT) | instid1(VALU_DEP_3)
	v_mul_f32_e32 v167, v151, v170
	v_cndmask_b32_e64 v130, v129, v166, s4
	v_lshlrev_b32_e32 v129, 2, v149
	s_delay_alu instid0(VALU_DEP_3) | instskip(NEXT) | instid1(VALU_DEP_3)
	v_fma_f32 v131, -v169, v167, v151
	v_cndmask_b32_e64 v150, v130, v164, s5
	s_delay_alu instid0(VALU_DEP_3)
	v_or_b32_e32 v130, 1, v129
	v_or_b32_e32 v132, 2, v129
	v_cmp_eq_u32_e64 s4, 1, v129
	v_fmac_f32_e32 v167, v131, v170
	v_cndmask_b32_e64 v150, v150, v162, s6
	v_or_b32_e32 v131, 3, v129
	v_cmp_eq_u32_e64 s9, 1, v130
	v_cmp_eq_u32_e64 s10, 1, v132
	v_fma_f32 v151, -v169, v167, v151
	v_cndmask_b32_e64 v135, v150, v135, s3
	v_cmp_eq_u32_e64 s11, 1, v131
	v_cmp_eq_u32_e64 s5, 2, v129
	v_cmp_eq_u32_e64 s12, 2, v130
	v_div_fmas_f32 v150, v151, v170, v167
	v_cndmask_b32_e64 v151, v135, v163, s7
	v_lshl_or_b32 v135, v149, 4, v134
	v_cmp_eq_u32_e64 s15, 2, v132
	v_cmp_eq_u32_e64 s16, 2, v131
	v_div_fixup_f32 v150, v150, v165, 1.0
	v_cmp_eq_u32_e32 vcc_lo, 3, v129
	v_cmp_eq_u32_e64 s13, 3, v130
	v_cmp_eq_u32_e64 s18, 3, v131
	;; [unrolled: 1-line block ×3, first 2 shown]
	v_mul_f32_e32 v166, v151, v150
	v_cmp_eq_u32_e64 s17, 3, v132
	v_cmp_eq_u32_e64 s19, 4, v130
	;; [unrolled: 1-line block ×4, first 2 shown]
	v_fma_mixlo_f16 v149, v166, v139, 0
	v_fma_mixlo_f16 v150, v166, v141, 0
	;; [unrolled: 1-line block ×8, first 2 shown]
	v_fma_mixhi_f16 v149, v166, v138, 0
	v_fma_mixhi_f16 v150, v166, v140, 0
	;; [unrolled: 1-line block ×8, first 2 shown]
	ds_store_b128 v135, v[149:152]
	ds_store_b128 v135, v[162:165] offset:1024
	s_waitcnt lgkmcnt(0)
	s_barrier
	buffer_gl0_inv
	ds_load_b128 v[138:141], v134
	ds_load_b128 v[149:152], v134 offset:16
	ds_load_b128 v[153:156], v134 offset:1024
	;; [unrolled: 1-line block ×3, first 2 shown]
	v_cmp_eq_u32_e64 s20, 5, v130
	v_cmp_eq_u32_e64 s21, 4, v132
	;; [unrolled: 1-line block ×12, first 2 shown]
	s_waitcnt lgkmcnt(3)
	v_lshrrev_b32_e32 v142, 16, v138
	s_waitcnt lgkmcnt(2)
	v_lshrrev_b32_e32 v162, 16, v149
	;; [unrolled: 2-line block ×4, first 2 shown]
	v_lshrrev_b32_e32 v143, 16, v139
	v_cndmask_b32_e64 v174, v138, v142, s4
	v_cndmask_b32_e64 v175, v149, v162, s4
	;; [unrolled: 1-line block ×7, first 2 shown]
	v_lshrrev_b32_e32 v163, 16, v150
	v_cndmask_b32_e64 v179, v149, v162, s10
	v_cndmask_b32_e64 v149, v153, v166, s4
	;; [unrolled: 1-line block ×16, first 2 shown]
	v_lshrrev_b32_e32 v167, 16, v154
	v_lshrrev_b32_e32 v171, 16, v158
	v_cndmask_b32_e64 v177, v179, v150, s15
	v_cndmask_b32_e64 v142, v149, v154, s5
	;; [unrolled: 1-line block ×7, first 2 shown]
	v_cndmask_b32_e32 v157, v166, v143, vcc_lo
	v_cndmask_b32_e32 v166, v170, v163, vcc_lo
	v_cndmask_b32_e64 v170, v174, v143, s13
	v_cndmask_b32_e64 v174, v175, v163, s13
	;; [unrolled: 1-line block ×4, first 2 shown]
	v_lshrrev_b32_e32 v144, 16, v140
	v_lshrrev_b32_e32 v164, 16, v151
	v_cndmask_b32_e64 v175, v176, v143, s17
	v_cndmask_b32_e64 v176, v177, v163, s17
	v_cndmask_b32_e32 v142, v142, v167, vcc_lo
	v_cndmask_b32_e32 v143, v149, v171, vcc_lo
	v_cndmask_b32_e64 v149, v150, v167, s13
	v_cndmask_b32_e64 v150, v157, v140, s3
	;; [unrolled: 1-line block ×7, first 2 shown]
	v_lshrrev_b32_e32 v168, 16, v155
	v_cndmask_b32_e64 v170, v175, v140, s21
	v_cndmask_b32_e64 v174, v176, v151, s21
	;; [unrolled: 1-line block ×11, first 2 shown]
	v_lshrrev_b32_e32 v161, 16, v141
	v_lshrrev_b32_e32 v165, 16, v152
	v_cndmask_b32_e64 v163, v170, v144, s23
	v_cndmask_b32_e64 v166, v174, v164, s23
	;; [unrolled: 1-line block ×9, first 2 shown]
	v_lshrrev_b32_e32 v169, 16, v156
	v_cndmask_b32_e64 v140, v140, v168, s6
	v_cndmask_b32_e64 v157, v163, v141, s26
	v_cndmask_b32_e64 v163, v166, v152, s26
	v_cndmask_b32_e64 v141, v143, v156, s25
	v_cndmask_b32_e64 v143, v144, v161, s8
	v_cndmask_b32_e64 v144, v149, v165, s8
	v_cndmask_b32_e64 v149, v150, v161, s30
	v_cndmask_b32_e64 v138, v138, v161, s29
	v_cndmask_b32_e64 v139, v139, v165, s29
	v_cndmask_b32_e64 v151, v151, v165, s30
	v_cndmask_b32_e64 v140, v140, v156, s7
	v_cndmask_b32_e64 v150, v157, v161, s28
	v_cndmask_b32_e64 v152, v163, v165, s28
	v_cndmask_b32_e64 v161, v141, v169, s30
	v_perm_b32 v141, v139, v138, 0x5040100
	v_perm_b32 v139, v151, v149, 0x5040100
	v_cndmask_b32_e64 v138, v183, v158, s15
	v_cndmask_b32_e64 v149, v181, v158, s12
	;; [unrolled: 1-line block ×3, first 2 shown]
	v_perm_b32 v140, v152, v150, 0x5040100
	v_cndmask_b32_e64 v150, v162, v167, s17
	v_cndmask_b32_e64 v151, v153, v167, s18
	;; [unrolled: 1-line block ×5, first 2 shown]
	v_lshrrev_b32_e32 v172, 16, v159
	v_cndmask_b32_e64 v150, v150, v155, s21
	v_cndmask_b32_e64 v151, v151, v155, s22
	;; [unrolled: 1-line block ×11, first 2 shown]
	v_lshrrev_b32_e32 v173, 16, v160
	v_cndmask_b32_e64 v142, v142, v160, s7
	v_cndmask_b32_e64 v150, v150, v156, s26
	;; [unrolled: 1-line block ×12, first 2 shown]
	v_perm_b32 v138, v144, v143, 0x5040100
	v_perm_b32 v152, v152, v151, 0x5040100
	v_perm_b32 v151, v153, v150, 0x5040100
	v_perm_b32 v150, v149, v161, 0x5040100
	v_perm_b32 v149, v142, v157, 0x5040100
	s_lshl_b32 s7, s33, 1
	s_mov_b32 s3, exec_lo
	ds_store_b128 v135, v[138:141]
	ds_store_b128 v135, v[149:152] offset:1024
	v_cmpx_gt_u32_e32 2, v0
	s_cbranch_execz .LBB219_14
; %bb.13:
	v_or_b32_e32 v138, s31, v0
	s_load_b128 s[8:11], s[0:1], 0x58
	s_delay_alu instid0(VALU_DEP_1) | instskip(NEXT) | instid1(VALU_DEP_1)
	v_mad_u64_u32 v[139:140], null, s7, s34, v[138:139]
	v_mad_u64_u32 v[140:141], null, v139, s35, s[14:15]
	s_delay_alu instid0(VALU_DEP_1) | instskip(NEXT) | instid1(VALU_DEP_1)
	v_ashrrev_i32_e32 v141, 31, v140
	v_lshlrev_b64 v[138:139], 2, v[140:141]
	s_waitcnt lgkmcnt(0)
	s_delay_alu instid0(VALU_DEP_1) | instskip(NEXT) | instid1(VALU_DEP_2)
	v_add_co_u32 v140, vcc_lo, s10, v138
	v_add_co_ci_u32_e32 v141, vcc_lo, s11, v139, vcc_lo
	v_add_co_u32 v138, vcc_lo, s8, v138
	v_add_co_ci_u32_e32 v139, vcc_lo, s9, v139, vcc_lo
	global_store_b32 v[140:141], v136, off
	global_store_b32 v[138:139], v137, off
.LBB219_14:
	s_or_b32 exec_lo, exec_lo, s3
	s_waitcnt lgkmcnt(0)
	s_waitcnt_vscnt null, 0x0
	s_barrier
	buffer_gl0_inv
	ds_load_b128 v[149:152], v133
	ds_load_b128 v[153:156], v133 offset:16
	ds_load_b128 v[161:164], v133 offset:1040
	;; [unrolled: 1-line block ×5, first 2 shown]
	v_cmp_eq_u32_e32 vcc_lo, 1, v132
	v_mov_b32_e32 v136, 0
	ds_load_b128 v[177:180], v133 offset:3088
	ds_load_b128 v[173:176], v133 offset:3072
	;; [unrolled: 1-line block ×4, first 2 shown]
	v_cmp_eq_u32_e64 s3, 1, v129
	v_cmp_eq_u32_e64 s4, 1, v131
	;; [unrolled: 1-line block ×3, first 2 shown]
	v_mov_b32_e32 v137, v136
	v_mov_b32_e32 v138, v136
	;; [unrolled: 1-line block ×7, first 2 shown]
	v_cmp_eq_u32_e64 s6, 2, v129
	s_waitcnt lgkmcnt(8)
	s_delay_alu instid0(VALU_DEP_2)
	v_wmma_f32_16x16x16_f16 v[136:143], v[121:128], v[149:156], v[136:143]
	ds_load_b128 v[125:128], v133 offset:5136
	ds_load_b128 v[121:124], v133 offset:5120
	s_waitcnt lgkmcnt(8)
	v_wmma_f32_16x16x16_f16 v[136:143], v[113:120], v[157:164], v[136:143]
	ds_load_b128 v[117:120], v133 offset:6160
	ds_load_b128 v[113:116], v133 offset:6144
	s_waitcnt lgkmcnt(8)
	;; [unrolled: 4-line block ×11, first 2 shown]
	s_barrier
	buffer_gl0_inv
	v_wmma_f32_16x16x16_f16 v[136:143], v[1:8], v[73:80], v[136:143]
	s_delay_alu instid0(VALU_DEP_1) | instskip(NEXT) | instid1(VALU_DEP_1)
	v_wmma_f32_16x16x16_f16 v[136:143], v[9:16], v[65:72], v[136:143]
	v_wmma_f32_16x16x16_f16 v[136:143], v[33:40], v[57:64], v[136:143]
	s_delay_alu instid0(VALU_DEP_1) | instskip(NEXT) | instid1(VALU_DEP_1)
	v_wmma_f32_16x16x16_f16 v[136:143], v[41:48], v[49:56], v[136:143]
	v_wmma_f32_16x16x16_f16 v[136:143], v[17:24], v[25:32], v[136:143]
	s_delay_alu instid0(VALU_DEP_1) | instskip(NEXT) | instid1(VALU_DEP_2)
	v_cvt_f16_f32_e64 v1, v136
	v_cvt_f16_f32_e64 v2, v137
	s_delay_alu instid0(VALU_DEP_3) | instskip(NEXT) | instid1(VALU_DEP_4)
	v_cvt_f16_f32_e64 v3, v138
	v_cvt_f16_f32_e64 v4, v139
	v_cvt_f16_f32_e64 v5, v140
	v_cvt_f16_f32_e64 v6, v141
	v_cvt_f16_f32_e64 v7, v142
	v_cvt_f16_f32_e64 v8, v143
	v_pack_b32_f16 v1, v1, v2
	v_pack_b32_f16 v2, v3, v4
	;; [unrolled: 1-line block ×3, first 2 shown]
	s_delay_alu instid0(VALU_DEP_4)
	v_pack_b32_f16 v4, v7, v8
	ds_store_b128 v135, v[1:4]
	s_waitcnt lgkmcnt(0)
	s_barrier
	buffer_gl0_inv
	ds_load_b128 v[1:4], v134
	ds_load_b128 v[5:8], v134 offset:16
	s_waitcnt lgkmcnt(1)
	v_lshrrev_b32_e32 v9, 16, v1
	s_waitcnt lgkmcnt(0)
	v_lshrrev_b32_e32 v13, 16, v5
	v_lshrrev_b32_e32 v10, 16, v2
	;; [unrolled: 1-line block ×4, first 2 shown]
	v_cndmask_b32_e64 v17, v1, v9, s3
	v_cndmask_b32_e64 v18, v5, v13, s3
	;; [unrolled: 1-line block ×3, first 2 shown]
	v_cmp_eq_u32_e64 s3, 2, v130
	v_cndmask_b32_e64 v20, v5, v13, s5
	v_cndmask_b32_e32 v21, v1, v9, vcc_lo
	v_cndmask_b32_e32 v22, v5, v13, vcc_lo
	v_cndmask_b32_e64 v1, v1, v9, s4
	v_cndmask_b32_e64 v5, v5, v13, s4
	v_cmp_eq_u32_e32 vcc_lo, 2, v132
	v_cmp_eq_u32_e64 s4, 2, v131
	v_cndmask_b32_e64 v9, v17, v2, s6
	v_cndmask_b32_e64 v13, v18, v6, s6
	;; [unrolled: 1-line block ×4, first 2 shown]
	v_cndmask_b32_e32 v19, v21, v2, vcc_lo
	v_cmp_eq_u32_e64 s3, 3, v132
	v_cndmask_b32_e32 v20, v22, v6, vcc_lo
	v_cndmask_b32_e64 v1, v1, v2, s4
	v_cmp_eq_u32_e32 vcc_lo, 3, v131
	v_cmp_eq_u32_e64 s5, 3, v129
	v_cndmask_b32_e64 v2, v5, v6, s4
	v_cmp_eq_u32_e64 s4, 3, v130
	v_cmp_eq_u32_e64 s6, 4, v129
	v_cndmask_b32_e32 v1, v1, v10, vcc_lo
	v_cndmask_b32_e64 v5, v9, v10, s5
	v_cndmask_b32_e64 v6, v13, v14, s5
	;; [unrolled: 1-line block ×3, first 2 shown]
	v_cmp_eq_u32_e64 s5, 4, v130
	v_cndmask_b32_e64 v13, v18, v14, s4
	v_cndmask_b32_e64 v17, v19, v10, s3
	;; [unrolled: 1-line block ×3, first 2 shown]
	v_cndmask_b32_e32 v2, v2, v14, vcc_lo
	v_cmp_eq_u32_e32 vcc_lo, 4, v132
	v_cmp_eq_u32_e64 s4, 4, v131
	v_lshrrev_b32_e32 v15, 16, v7
	v_cndmask_b32_e64 v5, v5, v3, s6
	v_cndmask_b32_e64 v6, v6, v7, s6
	v_cndmask_b32_e32 v14, v18, v7, vcc_lo
	v_cndmask_b32_e64 v9, v9, v3, s5
	v_cndmask_b32_e64 v10, v13, v7, s5
	v_cndmask_b32_e32 v13, v17, v3, vcc_lo
	v_cmp_eq_u32_e64 s3, 5, v132
	v_cndmask_b32_e64 v1, v1, v3, s4
	v_cmp_eq_u32_e32 vcc_lo, 5, v131
	v_cmp_eq_u32_e64 s5, 5, v129
	v_cndmask_b32_e64 v2, v2, v7, s4
	v_cmp_eq_u32_e64 s4, 5, v130
	v_cmp_eq_u32_e64 s6, 6, v129
	v_lshrrev_b32_e32 v12, 16, v4
	v_cndmask_b32_e64 v3, v5, v11, s5
	v_cndmask_b32_e64 v5, v6, v15, s5
	;; [unrolled: 1-line block ×3, first 2 shown]
	v_cmp_eq_u32_e64 s5, 6, v130
	v_cndmask_b32_e64 v7, v10, v15, s4
	v_cndmask_b32_e64 v9, v13, v11, s3
	;; [unrolled: 1-line block ×3, first 2 shown]
	v_cndmask_b32_e32 v1, v1, v11, vcc_lo
	v_cndmask_b32_e32 v2, v2, v15, vcc_lo
	v_cmp_eq_u32_e32 vcc_lo, 6, v132
	v_cmp_eq_u32_e64 s3, 6, v131
	v_lshrrev_b32_e32 v16, 16, v8
	v_cndmask_b32_e64 v3, v3, v4, s6
	v_cndmask_b32_e64 v5, v5, v8, s6
	v_cndmask_b32_e32 v9, v9, v4, vcc_lo
	v_cndmask_b32_e64 v6, v6, v4, s5
	v_cndmask_b32_e64 v7, v7, v8, s5
	v_cmp_eq_u32_e64 s4, 7, v132
	v_cndmask_b32_e32 v10, v10, v8, vcc_lo
	v_cndmask_b32_e64 v1, v1, v4, s3
	v_cmp_eq_u32_e32 vcc_lo, 7, v131
	v_cndmask_b32_e64 v2, v2, v8, s3
	v_cmp_eq_u32_e64 s3, 7, v129
	v_cmp_eq_u32_e64 s5, 7, v130
	v_cndmask_b32_e32 v1, v1, v12, vcc_lo
	s_delay_alu instid0(VALU_DEP_4) | instskip(NEXT) | instid1(VALU_DEP_4)
	v_cndmask_b32_e32 v2, v2, v16, vcc_lo
	v_cndmask_b32_e64 v8, v3, v12, s3
	s_delay_alu instid0(VALU_DEP_4)
	v_cndmask_b32_e64 v6, v6, v12, s5
	v_cndmask_b32_e64 v3, v9, v12, s4
	;; [unrolled: 1-line block ×5, first 2 shown]
	v_perm_b32 v4, v2, v1, 0x5040100
	s_delay_alu instid0(VALU_DEP_4) | instskip(NEXT) | instid1(VALU_DEP_4)
	v_perm_b32 v3, v9, v3, 0x5040100
	v_perm_b32 v2, v7, v6, 0x5040100
	s_delay_alu instid0(VALU_DEP_4)
	v_perm_b32 v1, v5, v8, 0x5040100
	ds_store_b128 v135, v[1:4]
	s_waitcnt lgkmcnt(0)
	s_barrier
	buffer_gl0_inv
	s_and_saveexec_b32 s3, s2
	s_cbranch_execz .LBB219_2
; %bb.15:
	s_load_b64 s[0:1], s[0:1], 0x68
	v_lshlrev_b32_e32 v0, 10, v0
	s_lshl_b32 s2, s35, 7
	v_lshlrev_b32_e32 v1, 4, v148
	v_mul_lo_u32 v4, s2, v147
	s_mul_i32 s3, s2, s34
	v_and_b32_e32 v0, 0x3800, v0
	s_mul_i32 s2, s3, s7
	s_delay_alu instid0(SALU_CYCLE_1) | instskip(NEXT) | instid1(VALU_DEP_1)
	s_ashr_i32 s3, s2, 31
	v_or3_b32 v0, v0, v146, v1
	s_lshl_b64 s[2:3], s[2:3], 1
	s_delay_alu instid0(VALU_DEP_3)
	v_ashrrev_i32_e32 v5, 31, v4
	ds_load_b128 v[0:3], v0
	v_lshlrev_b64 v[4:5], 1, v[4:5]
	s_waitcnt lgkmcnt(0)
	s_add_u32 s2, s0, s2
	s_addc_u32 s3, s1, s3
	s_lshl_b32 s0, s14, 7
	s_delay_alu instid0(SALU_CYCLE_1) | instskip(NEXT) | instid1(SALU_CYCLE_1)
	s_ashr_i32 s1, s0, 31
	s_lshl_b64 s[0:1], s[0:1], 1
	s_delay_alu instid0(SALU_CYCLE_1) | instskip(SKIP_3) | instid1(VALU_DEP_2)
	s_add_u32 s0, s2, s0
	s_addc_u32 s1, s3, s1
	v_add_co_u32 v4, vcc_lo, s0, v4
	v_add_co_ci_u32_e32 v5, vcc_lo, s1, v5, vcc_lo
	v_add_co_u32 v4, vcc_lo, v4, v145
	s_delay_alu instid0(VALU_DEP_2)
	v_add_co_ci_u32_e32 v5, vcc_lo, 0, v5, vcc_lo
	global_store_b128 v[4:5], v[0:3], off
	s_nop 0
	s_sendmsg sendmsg(MSG_DEALLOC_VGPRS)
	s_endpgm
	.section	.rodata,"a",@progbits
	.p2align	6, 0x0
	.amdhsa_kernel _Z39paged_attention_ll4mi_QKV_mfma16_kernelIDF16_DF16_LN4vllm18Fp8KVCacheDataTypeE0EhLi16ELi128ELi256ELb1ELi2EL8MFMAType0EEvPKT_PKT0_S8_ifPKiSA_SA_iPKfiiiPfSD_PS3_PT2_iSC_SC_
		.amdhsa_group_segment_fixed_size 17472
		.amdhsa_private_segment_fixed_size 0
		.amdhsa_kernarg_size 400
		.amdhsa_user_sgpr_count 13
		.amdhsa_user_sgpr_dispatch_ptr 0
		.amdhsa_user_sgpr_queue_ptr 0
		.amdhsa_user_sgpr_kernarg_segment_ptr 1
		.amdhsa_user_sgpr_dispatch_id 0
		.amdhsa_user_sgpr_private_segment_size 0
		.amdhsa_wavefront_size32 1
		.amdhsa_uses_dynamic_stack 0
		.amdhsa_enable_private_segment 0
		.amdhsa_system_sgpr_workgroup_id_x 1
		.amdhsa_system_sgpr_workgroup_id_y 1
		.amdhsa_system_sgpr_workgroup_id_z 1
		.amdhsa_system_sgpr_workgroup_info 0
		.amdhsa_system_vgpr_workitem_id 0
		.amdhsa_next_free_vgpr 230
		.amdhsa_next_free_sgpr 52
		.amdhsa_reserve_vcc 1
		.amdhsa_float_round_mode_32 0
		.amdhsa_float_round_mode_16_64 0
		.amdhsa_float_denorm_mode_32 3
		.amdhsa_float_denorm_mode_16_64 3
		.amdhsa_dx10_clamp 1
		.amdhsa_ieee_mode 1
		.amdhsa_fp16_overflow 0
		.amdhsa_workgroup_processor_mode 1
		.amdhsa_memory_ordered 1
		.amdhsa_forward_progress 0
		.amdhsa_shared_vgpr_count 0
		.amdhsa_exception_fp_ieee_invalid_op 0
		.amdhsa_exception_fp_denorm_src 0
		.amdhsa_exception_fp_ieee_div_zero 0
		.amdhsa_exception_fp_ieee_overflow 0
		.amdhsa_exception_fp_ieee_underflow 0
		.amdhsa_exception_fp_ieee_inexact 0
		.amdhsa_exception_int_div_zero 0
	.end_amdhsa_kernel
	.section	.text._Z39paged_attention_ll4mi_QKV_mfma16_kernelIDF16_DF16_LN4vllm18Fp8KVCacheDataTypeE0EhLi16ELi128ELi256ELb1ELi2EL8MFMAType0EEvPKT_PKT0_S8_ifPKiSA_SA_iPKfiiiPfSD_PS3_PT2_iSC_SC_,"axG",@progbits,_Z39paged_attention_ll4mi_QKV_mfma16_kernelIDF16_DF16_LN4vllm18Fp8KVCacheDataTypeE0EhLi16ELi128ELi256ELb1ELi2EL8MFMAType0EEvPKT_PKT0_S8_ifPKiSA_SA_iPKfiiiPfSD_PS3_PT2_iSC_SC_,comdat
.Lfunc_end219:
	.size	_Z39paged_attention_ll4mi_QKV_mfma16_kernelIDF16_DF16_LN4vllm18Fp8KVCacheDataTypeE0EhLi16ELi128ELi256ELb1ELi2EL8MFMAType0EEvPKT_PKT0_S8_ifPKiSA_SA_iPKfiiiPfSD_PS3_PT2_iSC_SC_, .Lfunc_end219-_Z39paged_attention_ll4mi_QKV_mfma16_kernelIDF16_DF16_LN4vllm18Fp8KVCacheDataTypeE0EhLi16ELi128ELi256ELb1ELi2EL8MFMAType0EEvPKT_PKT0_S8_ifPKiSA_SA_iPKfiiiPfSD_PS3_PT2_iSC_SC_
                                        ; -- End function
	.section	.AMDGPU.csdata,"",@progbits
; Kernel info:
; codeLenInByte = 7900
; NumSgprs: 54
; NumVgprs: 230
; ScratchSize: 0
; MemoryBound: 0
; FloatMode: 240
; IeeeMode: 1
; LDSByteSize: 17472 bytes/workgroup (compile time only)
; SGPRBlocks: 6
; VGPRBlocks: 28
; NumSGPRsForWavesPerEU: 54
; NumVGPRsForWavesPerEU: 230
; Occupancy: 6
; WaveLimiterHint : 1
; COMPUTE_PGM_RSRC2:SCRATCH_EN: 0
; COMPUTE_PGM_RSRC2:USER_SGPR: 13
; COMPUTE_PGM_RSRC2:TRAP_HANDLER: 0
; COMPUTE_PGM_RSRC2:TGID_X_EN: 1
; COMPUTE_PGM_RSRC2:TGID_Y_EN: 1
; COMPUTE_PGM_RSRC2:TGID_Z_EN: 1
; COMPUTE_PGM_RSRC2:TIDIG_COMP_CNT: 0
	.section	.text._Z39paged_attention_ll4mi_QKV_mfma16_kernelIDF16_DF16_LN4vllm18Fp8KVCacheDataTypeE0EhLi16ELi128ELi256ELb1ELi3EL8MFMAType0EEvPKT_PKT0_S8_ifPKiSA_SA_iPKfiiiPfSD_PS3_PT2_iSC_SC_,"axG",@progbits,_Z39paged_attention_ll4mi_QKV_mfma16_kernelIDF16_DF16_LN4vllm18Fp8KVCacheDataTypeE0EhLi16ELi128ELi256ELb1ELi3EL8MFMAType0EEvPKT_PKT0_S8_ifPKiSA_SA_iPKfiiiPfSD_PS3_PT2_iSC_SC_,comdat
	.protected	_Z39paged_attention_ll4mi_QKV_mfma16_kernelIDF16_DF16_LN4vllm18Fp8KVCacheDataTypeE0EhLi16ELi128ELi256ELb1ELi3EL8MFMAType0EEvPKT_PKT0_S8_ifPKiSA_SA_iPKfiiiPfSD_PS3_PT2_iSC_SC_ ; -- Begin function _Z39paged_attention_ll4mi_QKV_mfma16_kernelIDF16_DF16_LN4vllm18Fp8KVCacheDataTypeE0EhLi16ELi128ELi256ELb1ELi3EL8MFMAType0EEvPKT_PKT0_S8_ifPKiSA_SA_iPKfiiiPfSD_PS3_PT2_iSC_SC_
	.globl	_Z39paged_attention_ll4mi_QKV_mfma16_kernelIDF16_DF16_LN4vllm18Fp8KVCacheDataTypeE0EhLi16ELi128ELi256ELb1ELi3EL8MFMAType0EEvPKT_PKT0_S8_ifPKiSA_SA_iPKfiiiPfSD_PS3_PT2_iSC_SC_
	.p2align	8
	.type	_Z39paged_attention_ll4mi_QKV_mfma16_kernelIDF16_DF16_LN4vllm18Fp8KVCacheDataTypeE0EhLi16ELi128ELi256ELb1ELi3EL8MFMAType0EEvPKT_PKT0_S8_ifPKiSA_SA_iPKfiiiPfSD_PS3_PT2_iSC_SC_,@function
_Z39paged_attention_ll4mi_QKV_mfma16_kernelIDF16_DF16_LN4vllm18Fp8KVCacheDataTypeE0EhLi16ELi128ELi256ELb1ELi3EL8MFMAType0EEvPKT_PKT0_S8_ifPKiSA_SA_iPKfiiiPfSD_PS3_PT2_iSC_SC_: ; @_Z39paged_attention_ll4mi_QKV_mfma16_kernelIDF16_DF16_LN4vllm18Fp8KVCacheDataTypeE0EhLi16ELi128ELi256ELb1ELi3EL8MFMAType0EEvPKT_PKT0_S8_ifPKiSA_SA_iPKfiiiPfSD_PS3_PT2_iSC_SC_
; %bb.0:
	s_load_b64 s[4:5], s[0:1], 0x30
	s_mov_b32 s34, s13
	s_waitcnt lgkmcnt(0)
	s_cmp_lg_u64 s[4:5], 0
	s_cselect_b32 s8, -1, 0
	s_ashr_i32 s35, s13, 31
	s_cmp_eq_u64 s[4:5], 0
	s_cbranch_scc1 .LBB220_3
; %bb.1:
	s_lshl_b64 s[2:3], s[34:35], 2
	s_delay_alu instid0(SALU_CYCLE_1) | instskip(SKIP_4) | instid1(SALU_CYCLE_1)
	s_add_u32 s2, s4, s2
	s_addc_u32 s3, s5, s3
	s_load_b64 s[2:3], s[2:3], 0x0
	s_waitcnt lgkmcnt(0)
	s_sub_i32 s2, s3, s2
	s_cmp_eq_u32 s2, 1
	s_cselect_b32 s2, -1, 0
	s_delay_alu instid0(SALU_CYCLE_1)
	s_and_not1_b32 vcc_lo, exec_lo, s2
	s_cbranch_vccz .LBB220_4
.LBB220_2:
	s_nop 0
	s_sendmsg sendmsg(MSG_DEALLOC_VGPRS)
	s_endpgm
.LBB220_3:
.LBB220_4:
	s_load_b64 s[2:3], s[0:1], 0x28
	s_lshl_b64 s[6:7], s[34:35], 2
	s_waitcnt lgkmcnt(0)
	s_add_u32 s2, s2, s6
	s_addc_u32 s3, s3, s7
	s_lshl_b32 s29, s14, 8
	s_load_b32 s28, s[2:3], 0x0
	s_waitcnt lgkmcnt(0)
	s_cmp_ge_i32 s29, s28
	s_cbranch_scc1 .LBB220_2
; %bb.5:
	s_clause 0x1
	s_load_b128 s[20:23], s[0:1], 0x8
	s_load_b64 s[2:3], s[0:1], 0x20
	s_and_not1_b32 vcc_lo, exec_lo, s8
	s_cbranch_vccnz .LBB220_7
; %bb.6:
	s_add_u32 s4, s4, s6
	s_addc_u32 s5, s5, s7
	s_load_b32 s5, s[4:5], 0x0
	s_branch .LBB220_8
.LBB220_7:
	s_mov_b32 s5, s34
.LBB220_8:
	s_load_b128 s[16:19], s[0:1], 0x48
	v_and_b32_e32 v140, 15, v0
	v_lshrrev_b32_e32 v141, 5, v0
	v_bfe_u32 v138, v0, 4, 1
	v_and_b32_e32 v142, 31, v0
	v_and_b32_e32 v139, 1, v0
	v_lshlrev_b32_e32 v2, 3, v140
	s_mul_i32 s31, s15, 3
	v_lshl_or_b32 v1, v141, 1, v138
	s_mov_b32 s4, exec_lo
	s_delay_alu instid0(VALU_DEP_2) | instskip(NEXT) | instid1(VALU_DEP_2)
	v_lshlrev_b32_e32 v137, 1, v2
	v_cmpx_gt_u32_e32 3, v1
	s_cbranch_execz .LBB220_10
; %bb.9:
	s_load_b64 s[6:7], s[0:1], 0x0
	v_add_lshl_u32 v2, v1, s31, 7
	s_waitcnt lgkmcnt(0)
	s_mul_hi_i32 s9, s5, s16
	s_mul_i32 s8, s5, s16
	v_lshlrev_b32_e32 v6, 10, v140
	s_lshl_b64 s[8:9], s[8:9], 1
	v_ashrrev_i32_e32 v3, 31, v2
	v_lshlrev_b32_e32 v1, 6, v1
	v_lshlrev_b32_e32 v7, 10, v139
	v_and_b32_e32 v6, 0x3800, v6
	s_delay_alu instid0(VALU_DEP_4) | instskip(NEXT) | instid1(VALU_DEP_2)
	v_lshlrev_b64 v[2:3], 1, v[2:3]
	v_or3_b32 v1, v6, v7, v1
	s_add_u32 s5, s6, s8
	s_addc_u32 s6, s7, s9
	s_delay_alu instid0(VALU_DEP_2) | instskip(NEXT) | instid1(VALU_DEP_3)
	v_add_co_u32 v2, vcc_lo, s5, v2
	v_add_co_ci_u32_e32 v3, vcc_lo, s6, v3, vcc_lo
	s_delay_alu instid0(VALU_DEP_2) | instskip(NEXT) | instid1(VALU_DEP_2)
	v_add_co_u32 v2, vcc_lo, v2, v137
	v_add_co_ci_u32_e32 v3, vcc_lo, 0, v3, vcc_lo
	global_load_b128 v[2:5], v[2:3], off
	s_waitcnt vmcnt(0)
	ds_store_b128 v1, v[2:5]
.LBB220_10:
	s_or_b32 exec_lo, exec_lo, s4
	v_and_b32_e32 v1, 0xef, v0
	s_waitcnt lgkmcnt(0)
	s_add_i32 s5, s28, 15
	s_clause 0x1
	s_load_b32 s4, s[0:1], 0x38
	s_load_b32 s33, s[0:1], 0x98
	s_ashr_i32 s6, s5, 31
	v_add_nc_u32_e32 v1, s29, v1
	s_lshr_b32 s6, s6, 28
	s_load_b32 s30, s[0:1], 0x1c
	s_add_i32 s5, s5, s6
	s_waitcnt lgkmcnt(0)
	v_ashrrev_i32_e32 v2, 31, v1
	v_cmp_gt_i32_e32 vcc_lo, s28, v1
	s_ashr_i32 s16, s5, 4
	s_barrier
	s_add_i32 s16, s16, -1
	v_lshrrev_b32_e32 v3, 28, v2
	v_or_b32_e32 v2, 16, v1
	buffer_gl0_inv
	v_mul_lo_u16 v105, 0x56, v140
	v_lshlrev_b32_e32 v106, 5, v140
	v_add_nc_u32_e32 v4, v1, v3
	v_add_nc_u32_e32 v3, v2, v3
	s_mul_i32 s4, s34, s4
	v_lshrrev_b16 v105, 8, v105
	s_ashr_i32 s5, s4, 31
	v_ashrrev_i32_e32 v4, 4, v4
	v_ashrrev_i32_e32 v3, 4, v3
	s_lshl_b64 s[4:5], s[4:5], 2
	v_mul_lo_u16 v105, v105, 3
	s_add_u32 s35, s2, s4
	v_cndmask_b32_e32 v1, s16, v4, vcc_lo
	v_cmp_gt_i32_e32 vcc_lo, s28, v2
	s_addc_u32 s36, s3, s5
	s_mul_i32 s2, s15, s18
	v_sub_nc_u16 v105, v140, v105
	v_ashrrev_i32_e32 v2, 31, v1
	v_cndmask_b32_e32 v3, s16, v3, vcc_lo
	s_ashr_i32 s3, s2, 31
	v_lshl_or_b32 v125, v141, 9, v106
	s_lshl_b64 s[2:3], s[2:3], 1
	v_lshlrev_b64 v[1:2], 2, v[1:2]
	v_ashrrev_i32_e32 v4, 31, v3
	s_add_u32 s24, s20, s2
	s_addc_u32 s25, s21, s3
	s_lshl_b32 s4, s14, 4
	v_and_b32_e32 v105, 0xff, v105
	v_lshlrev_b64 v[3:4], 2, v[3:4]
	v_add_co_u32 v1, vcc_lo, s35, v1
	v_add_co_ci_u32_e32 v2, vcc_lo, s36, v2, vcc_lo
	s_ashr_i32 s5, s4, 31
	s_delay_alu instid0(VALU_DEP_3) | instskip(NEXT) | instid1(VALU_DEP_4)
	v_add_co_u32 v3, vcc_lo, s35, v3
	v_add_co_ci_u32_e32 v4, vcc_lo, s36, v4, vcc_lo
	s_lshl_b64 s[4:5], s[4:5], 2
	s_clause 0x1
	global_load_b32 v5, v[1:2], off
	global_load_b32 v6, v[3:4], off
	s_add_u32 s4, s35, s4
	s_addc_u32 s5, s36, s5
	s_or_b32 s6, s29, 16
	v_lshlrev_b32_e32 v3, 4, v0
	s_ashr_i32 s7, s6, 4
	s_cmp_lt_i32 s6, s28
	v_lshlrev_b32_e32 v215, 6, v105
	s_cselect_b32 s6, s7, s16
	s_delay_alu instid0(SALU_CYCLE_1) | instskip(NEXT) | instid1(SALU_CYCLE_1)
	s_ashr_i32 s7, s6, 31
	s_lshl_b64 s[6:7], s[6:7], 2
	s_delay_alu instid0(SALU_CYCLE_1) | instskip(SKIP_2) | instid1(SALU_CYCLE_1)
	s_add_u32 s6, s35, s6
	s_addc_u32 s7, s36, s7
	s_or_b32 s8, s29, 32
	s_ashr_i32 s9, s8, 4
	s_cmp_lt_i32 s8, s28
	s_cselect_b32 s8, s9, s16
	s_delay_alu instid0(SALU_CYCLE_1) | instskip(NEXT) | instid1(SALU_CYCLE_1)
	s_ashr_i32 s9, s8, 31
	s_lshl_b64 s[8:9], s[8:9], 2
	s_delay_alu instid0(SALU_CYCLE_1) | instskip(SKIP_2) | instid1(SALU_CYCLE_1)
	s_add_u32 s8, s35, s8
	s_addc_u32 s9, s36, s9
	s_or_b32 s10, s29, 48
	s_ashr_i32 s11, s10, 4
	s_cmp_lt_i32 s10, s28
	;; [unrolled: 10-line block ×4, first 2 shown]
	s_cselect_b32 s12, s13, s16
	s_delay_alu instid0(SALU_CYCLE_1) | instskip(NEXT) | instid1(SALU_CYCLE_1)
	s_ashr_i32 s13, s12, 31
	s_lshl_b64 s[12:13], s[12:13], 2
	s_delay_alu instid0(SALU_CYCLE_1)
	s_add_u32 s20, s35, s12
	s_addc_u32 s21, s36, s13
	s_clause 0x5
	s_load_b32 s39, s[4:5], 0x0
	s_load_b32 s38, s[6:7], 0x0
	;; [unrolled: 1-line block ×6, first 2 shown]
	s_waitcnt vmcnt(1)
	v_mad_i64_i32 v[1:2], null, v5, s17, 0
	v_and_b32_e32 v5, 0xf0, v3
	s_waitcnt vmcnt(0)
	v_mad_i64_i32 v[3:4], null, v6, s17, 0
	s_delay_alu instid0(VALU_DEP_2) | instskip(NEXT) | instid1(VALU_DEP_4)
	v_add_co_u32 v5, s4, s24, v5
	v_lshlrev_b64 v[1:2], 1, v[1:2]
	v_add_co_ci_u32_e64 v6, null, s25, 0, s4
	s_delay_alu instid0(VALU_DEP_4) | instskip(SKIP_1) | instid1(VALU_DEP_3)
	v_lshlrev_b64 v[3:4], 1, v[3:4]
	s_or_b32 s4, s29, 0x60
	v_add_co_u32 v121, vcc_lo, v5, v1
	s_delay_alu instid0(VALU_DEP_3) | instskip(NEXT) | instid1(VALU_DEP_3)
	v_add_co_ci_u32_e32 v122, vcc_lo, v6, v2, vcc_lo
	v_add_co_u32 v123, vcc_lo, v5, v3
	s_delay_alu instid0(VALU_DEP_4)
	v_add_co_ci_u32_e32 v124, vcc_lo, v6, v4, vcc_lo
	s_clause 0x19
	global_load_b128 v[89:92], v[121:122], off
	global_load_b128 v[93:96], v[121:122], off offset:256
	global_load_b128 v[97:100], v[123:124], off
	global_load_b128 v[101:104], v[123:124], off offset:256
	global_load_b128 v[81:84], v[121:122], off offset:512
	;; [unrolled: 1-line block ×23, first 2 shown]
	s_ashr_i32 s5, s4, 4
	s_cmp_lt_i32 s4, s28
	ds_load_b128 v[105:108], v215
	ds_load_b128 v[109:112], v215 offset:1024
	s_cselect_b32 s4, s5, s16
	ds_load_b128 v[113:116], v215 offset:2048
	ds_load_b128 v[117:120], v215 offset:3072
	s_ashr_i32 s5, s4, 31
	ds_load_b128 v[143:146], v215 offset:4096
	ds_load_b128 v[147:150], v215 offset:5120
	s_lshl_b64 s[6:7], s[4:5], 2
	ds_load_b128 v[151:154], v215 offset:6144
	ds_load_b128 v[155:158], v215 offset:7168
	s_add_u32 s18, s35, s6
	s_addc_u32 s19, s36, s7
	s_or_b32 s5, s29, 0x70
	ds_load_b128 v[159:162], v215 offset:8192
	ds_load_b128 v[163:166], v215 offset:9216
	s_ashr_i32 s6, s5, 4
	s_cmp_lt_i32 s5, s28
	s_clause 0x1
	global_load_b128 v[167:170], v[123:124], off offset:3072
	global_load_b128 v[171:174], v[123:124], off offset:3328
	s_cselect_b32 s8, s6, s16
	s_mov_b32 s4, 0
	s_ashr_i32 s9, s8, 31
	s_mov_b32 s5, s4
	s_lshl_b64 s[8:9], s[8:9], 2
	s_mov_b32 s6, s4
	s_add_u32 s20, s35, s8
	s_addc_u32 s21, s36, s9
	s_clause 0x1
	s_load_b32 s41, s[18:19], 0x0
	s_load_b32 s46, s[20:21], 0x0
	s_clause 0x3
	global_load_b128 v[175:178], v[121:122], off offset:3584
	global_load_b128 v[179:182], v[121:122], off offset:3840
	;; [unrolled: 1-line block ×4, first 2 shown]
	s_or_b32 s8, s29, 0x80
	s_mov_b32 s7, s4
	s_ashr_i32 s9, s8, 4
	s_cmp_lt_i32 s8, s28
	s_mov_b32 s8, s4
	s_cselect_b32 s10, s9, s16
	s_mov_b32 s9, s4
	s_ashr_i32 s11, s10, 31
	s_delay_alu instid0(SALU_CYCLE_1)
	s_lshl_b64 s[24:25], s[10:11], 2
	s_mov_b32 s10, s4
	s_add_u32 s24, s35, s24
	s_addc_u32 s25, s36, s25
	s_or_b32 s11, s29, 0x90
	s_load_b32 s47, s[24:25], 0x0
	s_ashr_i32 s26, s11, 4
	s_cmp_lt_i32 s11, s28
	s_mov_b32 s11, s4
	s_cselect_b32 s26, s26, s16
	v_mov_b32_e32 v136, s11
	s_ashr_i32 s27, s26, 31
	v_dual_mov_b32 v135, s10 :: v_dual_mov_b32 v134, s9
	v_dual_mov_b32 v133, s8 :: v_dual_mov_b32 v132, s7
	;; [unrolled: 1-line block ×3, first 2 shown]
	v_mov_b32_e32 v129, s4
	s_lshl_b64 s[4:5], s[26:27], 2
	s_waitcnt lgkmcnt(0)
	s_mul_hi_i32 s7, s38, s17
	s_add_u32 s26, s35, s4
	s_addc_u32 s27, s36, s5
	s_or_b32 s4, s29, 0xa0
	s_load_b32 s40, s[26:27], 0x0
	s_ashr_i32 s5, s4, 4
	s_cmp_lt_i32 s4, s28
	s_cselect_b32 s4, s5, s16
	s_delay_alu instid0(SALU_CYCLE_1) | instskip(NEXT) | instid1(SALU_CYCLE_1)
	s_ashr_i32 s5, s4, 31
	s_lshl_b64 s[4:5], s[4:5], 2
	s_delay_alu instid0(SALU_CYCLE_1)
	s_add_u32 s42, s35, s4
	s_addc_u32 s43, s36, s5
	s_or_b32 s4, s29, 0xb0
	s_mul_hi_i32 s5, s39, s17
	s_ashr_i32 s6, s4, 4
	s_cmp_lt_i32 s4, s28
	s_mul_i32 s4, s39, s17
	s_cselect_b32 s8, s6, s16
	s_mul_i32 s6, s38, s17
	s_ashr_i32 s9, s8, 31
	s_delay_alu instid0(SALU_CYCLE_1)
	s_lshl_b64 s[10:11], s[8:9], 2
	s_mul_hi_i32 s9, s37, s17
	s_add_u32 s44, s35, s10
	s_addc_u32 s45, s36, s11
	s_or_b32 s10, s29, 0xc0
	s_mul_i32 s8, s37, s17
	s_ashr_i32 s37, s10, 4
	s_cmp_lt_i32 s10, s28
	s_mul_hi_i32 s11, s13, s17
	s_cselect_b32 s38, s37, s16
	s_mul_i32 s10, s13, s17
	s_ashr_i32 s39, s38, 31
	s_mul_hi_i32 s13, s12, s17
	s_lshl_b64 s[38:39], s[38:39], 2
	s_mul_i32 s12, s12, s17
	s_add_u32 s20, s35, s38
	s_addc_u32 s21, s36, s39
	s_load_b32 s39, s[42:43], 0x0
	s_or_b32 s18, s29, 0xd0
	s_mul_hi_i32 s27, s47, s17
	s_ashr_i32 s19, s18, 4
	s_cmp_lt_i32 s18, s28
	s_mul_i32 s18, s15, s17
	s_cselect_b32 s24, s19, s16
	s_mul_hi_i32 s19, s15, s17
	s_ashr_i32 s25, s24, 31
	s_mul_i32 s26, s47, s17
	s_lshl_b64 s[24:25], s[24:25], 2
	s_delay_alu instid0(SALU_CYCLE_1)
	s_add_u32 s24, s35, s24
	s_addc_u32 s25, s36, s25
	s_or_b32 s42, s29, 0xe0
	s_clause 0x2
	s_load_b32 s38, s[44:45], 0x0
	s_load_b32 s37, s[20:21], 0x0
	;; [unrolled: 1-line block ×3, first 2 shown]
	s_ashr_i32 s43, s42, 4
	s_cmp_lt_i32 s42, s28
	s_mul_hi_i32 s25, s46, s17
	s_cselect_b32 s42, s43, s16
	s_mul_i32 s24, s46, s17
	s_ashr_i32 s43, s42, 31
	s_mul_hi_i32 s21, s41, s17
	s_lshl_b64 s[42:43], s[42:43], 2
	s_mul_i32 s20, s41, s17
	s_add_u32 s42, s35, s42
	s_addc_u32 s43, s36, s43
	s_or_b32 s46, s29, 0xf0
	s_waitcnt lgkmcnt(0)
	s_mul_hi_i32 s41, s40, s17
	s_ashr_i32 s47, s46, 4
	s_cmp_lt_i32 s46, s28
	s_mul_i32 s40, s40, s17
	s_cselect_b32 s46, s47, s16
	s_mul_hi_i32 s45, s39, s17
	s_ashr_i32 s47, s46, 31
	s_mul_hi_i32 s51, s15, s17
	s_lshl_b64 s[46:47], s[46:47], 2
	s_mul_i32 s50, s15, s17
	s_add_u32 s46, s35, s46
	s_addc_u32 s47, s36, s47
	s_add_u32 s15, s22, s2
	s_addc_u32 s16, s23, s3
	v_add_co_u32 v216, s15, s15, v125
	s_delay_alu instid0(VALU_DEP_1) | instskip(SKIP_2) | instid1(VALU_DEP_2)
	v_add_co_ci_u32_e64 v217, null, s16, 0, s15
	s_lshl_b64 s[2:3], s[4:5], 1
	s_lshl_b64 s[4:5], s[6:7], 1
	v_add_co_u32 v125, vcc_lo, v216, s2
	s_delay_alu instid0(VALU_DEP_2)
	v_add_co_ci_u32_e32 v126, vcc_lo, s3, v217, vcc_lo
	v_add_co_u32 v199, vcc_lo, v216, s4
	s_lshl_b64 s[6:7], s[8:9], 1
	v_add_co_ci_u32_e32 v200, vcc_lo, s5, v217, vcc_lo
	s_lshl_b64 s[8:9], s[10:11], 1
	s_lshl_b64 s[10:11], s[12:13], 1
	;; [unrolled: 1-line block ×7, first 2 shown]
	s_mul_i32 s44, s39, s17
	s_mul_hi_i32 s39, s38, s17
	s_lshl_b64 s[26:27], s[44:45], 1
	s_mul_i32 s38, s38, s17
	s_mul_hi_i32 s49, s37, s17
	s_mul_i32 s48, s37, s17
	s_lshl_b64 s[36:37], s[38:39], 1
	s_lshl_b64 s[38:39], s[48:49], 1
	s_clause 0x1
	s_load_b32 s15, s[42:43], 0x0
	s_load_b32 s16, s[46:47], 0x0
	s_lshl_b64 s[40:41], s[50:51], 1
	s_waitcnt lgkmcnt(0)
	s_mul_hi_i32 s3, s15, s17
	s_mul_i32 s2, s15, s17
	s_mul_hi_i32 s5, s16, s17
	s_lshl_b64 s[2:3], s[2:3], 1
	s_mul_i32 s4, s16, s17
	s_waitcnt vmcnt(30)
	v_wmma_f32_16x16x16_f16 v[191:198], v[89:96], v[105:112], v[129:136]
	v_add_co_u32 v89, vcc_lo, v216, s6
	v_add_co_ci_u32_e32 v90, vcc_lo, s7, v217, vcc_lo
	v_add_co_u32 v91, vcc_lo, v216, s8
	v_add_co_ci_u32_e32 v92, vcc_lo, s9, v217, vcc_lo
	;; [unrolled: 2-line block ×5, first 2 shown]
	v_add_co_u32 v205, vcc_lo, v216, s20
	s_waitcnt vmcnt(28)
	v_wmma_f32_16x16x16_f16 v[129:136], v[97:104], v[105:112], v[129:136]
	v_add_co_ci_u32_e32 v206, vcc_lo, s21, v217, vcc_lo
	v_add_co_u32 v207, vcc_lo, v216, s22
	v_add_co_ci_u32_e32 v208, vcc_lo, s23, v217, vcc_lo
	v_add_co_u32 v209, vcc_lo, v216, s24
	s_waitcnt vmcnt(26)
	v_wmma_f32_16x16x16_f16 v[191:198], v[81:88], v[113:120], v[191:198]
	s_waitcnt vmcnt(24)
	v_wmma_f32_16x16x16_f16 v[129:136], v[73:80], v[113:120], v[129:136]
	v_add_co_ci_u32_e32 v210, vcc_lo, s25, v217, vcc_lo
	v_add_co_u32 v211, vcc_lo, v216, s26
	v_add_co_ci_u32_e32 v212, vcc_lo, s27, v217, vcc_lo
	v_add_co_u32 v213, vcc_lo, v216, s36
	s_waitcnt vmcnt(22)
	v_wmma_f32_16x16x16_f16 v[191:198], v[65:72], v[143:150], v[191:198]
	s_waitcnt vmcnt(20)
	v_wmma_f32_16x16x16_f16 v[129:136], v[57:64], v[143:150], v[129:136]
	v_add_co_ci_u32_e32 v214, vcc_lo, s37, v217, vcc_lo
	v_add_co_u32 v143, vcc_lo, v216, s38
	s_waitcnt vmcnt(18)
	v_wmma_f32_16x16x16_f16 v[191:198], v[49:56], v[151:158], v[191:198]
	s_waitcnt vmcnt(16)
	v_wmma_f32_16x16x16_f16 v[129:136], v[25:32], v[151:158], v[129:136]
	v_add_co_ci_u32_e32 v144, vcc_lo, s39, v217, vcc_lo
	s_clause 0x15
	global_load_b128 v[121:124], v[125:126], off
	global_load_b128 v[125:128], v[125:126], off offset:16
	global_load_b128 v[113:116], v[199:200], off
	global_load_b128 v[117:120], v[199:200], off offset:16
	;; [unrolled: 2-line block ×11, first 2 shown]
	s_waitcnt vmcnt(36)
	v_wmma_f32_16x16x16_f16 v[191:198], v[1:8], v[159:166], v[191:198]
	s_clause 0x1
	global_load_b128 v[1:4], v[213:214], off
	global_load_b128 v[5:8], v[213:214], off offset:16
	s_waitcnt vmcnt(36)
	v_wmma_f32_16x16x16_f16 v[129:136], v[9:16], v[159:166], v[129:136]
	s_clause 0x1
	global_load_b128 v[9:12], v[143:144], off
	global_load_b128 v[13:16], v[143:144], off offset:16
	ds_load_b128 v[143:146], v215 offset:10240
	ds_load_b128 v[147:150], v215 offset:11264
	;; [unrolled: 1-line block ×4, first 2 shown]
	v_add_co_u32 v199, vcc_lo, v216, s40
	v_add_co_ci_u32_e32 v200, vcc_lo, s41, v217, vcc_lo
	v_add_co_u32 v159, vcc_lo, v216, s2
	v_add_co_ci_u32_e32 v160, vcc_lo, s3, v217, vcc_lo
	s_lshl_b64 s[2:3], s[4:5], 1
	s_delay_alu instid0(SALU_CYCLE_1)
	v_add_co_u32 v161, vcc_lo, v216, s2
	v_add_co_ci_u32_e32 v162, vcc_lo, s3, v217, vcc_lo
	s_waitcnt vmcnt(36) lgkmcnt(2)
	v_wmma_f32_16x16x16_f16 v[191:198], v[41:48], v[143:150], v[191:198]
	s_waitcnt vmcnt(34)
	v_wmma_f32_16x16x16_f16 v[129:136], v[33:40], v[143:150], v[129:136]
	s_clause 0x3
	global_load_b128 v[33:36], v[199:200], off
	global_load_b128 v[37:40], v[199:200], off offset:16
	global_load_b128 v[41:44], v[159:160], off
	global_load_b128 v[45:48], v[159:160], off offset:16
	v_and_b32_e32 v143, 0xe0, v0
	v_mbcnt_lo_u32_b32 v159, -1, 0
	s_waitcnt vmcnt(36) lgkmcnt(0)
	v_wmma_f32_16x16x16_f16 v[191:198], v[17:24], v[151:158], v[191:198]
	s_clause 0x1
	global_load_b128 v[17:20], v[161:162], off
	global_load_b128 v[21:24], v[161:162], off offset:16
	s_waitcnt vmcnt(36)
	v_wmma_f32_16x16x16_f16 v[129:136], v[167:174], v[151:158], v[129:136]
	v_add_nc_u32_e32 v160, s29, v143
	ds_load_b128 v[143:146], v215 offset:14336
	ds_load_b128 v[147:150], v215 offset:15360
	v_xor_b32_e32 v151, 16, v159
	s_waitcnt vmcnt(0) lgkmcnt(0)
	s_barrier
	v_or_b32_e32 v152, v160, v138
	buffer_gl0_inv
	v_cmp_gt_i32_e32 vcc_lo, 32, v151
	v_or_b32_e32 v153, 2, v152
	v_or_b32_e32 v154, 4, v152
	;; [unrolled: 1-line block ×5, first 2 shown]
	v_cmp_gt_i32_e64 s2, s28, v153
	v_cmp_gt_i32_e64 s3, s28, v154
	;; [unrolled: 1-line block ×3, first 2 shown]
	v_or_b32_e32 v158, 12, v152
	v_cmp_gt_i32_e64 s5, s28, v156
	v_cmp_gt_i32_e64 s6, s28, v157
	v_wmma_f32_16x16x16_f16 v[191:198], v[175:182], v[143:150], v[191:198]
	v_wmma_f32_16x16x16_f16 v[129:136], v[183:190], v[143:150], v[129:136]
	v_cndmask_b32_e32 v151, v159, v151, vcc_lo
	v_cmp_gt_i32_e32 vcc_lo, s28, v152
	v_or_b32_e32 v159, 14, v152
	v_dual_mul_f32 v149, s30, v192 :: v_dual_mul_f32 v150, s30, v191
	v_dual_mul_f32 v147, s30, v194 :: v_dual_mul_f32 v148, s30, v193
	;; [unrolled: 1-line block ×3, first 2 shown]
	s_delay_alu instid0(VALU_DEP_3) | instskip(NEXT) | instid1(VALU_DEP_4)
	v_cndmask_b32_e32 v150, 0xff7fffff, v150, vcc_lo
	v_cndmask_b32_e64 v149, 0xff7fffff, v149, s2
	v_mul_f32_e32 v146, s30, v195
	v_cndmask_b32_e64 v148, 0xff7fffff, v148, s3
	v_cndmask_b32_e64 v147, 0xff7fffff, v147, s4
	v_or_b32_e32 v160, 16, v152
	v_max3_f32 v149, v150, 0xff7fffff, v149
	v_or_b32_e32 v161, 18, v152
	v_dual_mul_f32 v143, s30, v198 :: v_dual_mul_f32 v144, s30, v197
	v_cndmask_b32_e64 v146, 0xff7fffff, v146, s5
	v_cndmask_b32_e64 v145, 0xff7fffff, v145, s6
	v_max3_f32 v147, v149, v148, v147
	v_cmp_gt_i32_e64 s7, s28, v158
	v_cmp_gt_i32_e64 s8, s28, v159
	v_or_b32_e32 v162, 20, v152
	v_or_b32_e32 v163, 22, v152
	v_mul_f32_e32 v175, s30, v129
	v_cndmask_b32_e64 v144, 0xff7fffff, v144, s7
	v_cndmask_b32_e64 v143, 0xff7fffff, v143, s8
	v_max3_f32 v145, v147, v146, v145
	v_cmp_gt_i32_e64 s9, s28, v160
	v_cmp_gt_i32_e64 s10, s28, v161
	v_or_b32_e32 v164, 24, v152
	v_or_b32_e32 v165, 26, v152
	v_dual_mul_f32 v172, s30, v132 :: v_dual_mul_f32 v173, s30, v131
	v_cndmask_b32_e64 v146, 0xff7fffff, v175, s9
	v_cndmask_b32_e64 v147, 0xff7fffff, v174, s10
	v_max3_f32 v143, v145, v144, v143
	v_cmp_gt_i32_e64 s11, s28, v162
	v_cmp_gt_i32_e64 s12, s28, v163
	v_or_b32_e32 v166, 28, v152
	v_or_b32_e32 v167, 30, v152
	v_dual_mul_f32 v170, s30, v134 :: v_dual_mul_f32 v171, s30, v133
	v_cndmask_b32_e64 v144, 0xff7fffff, v173, s11
	v_cndmask_b32_e64 v145, 0xff7fffff, v172, s12
	v_max3_f32 v143, v143, v146, v147
	v_cmp_gt_i32_e64 s13, s28, v164
	v_cmp_gt_i32_e64 s15, s28, v165
	v_dual_mul_f32 v168, s30, v136 :: v_dual_mul_f32 v169, s30, v135
	s_delay_alu instid0(VALU_DEP_4) | instskip(NEXT) | instid1(VALU_DEP_4)
	v_max3_f32 v143, v143, v144, v145
	v_cndmask_b32_e64 v146, 0xff7fffff, v171, s13
	s_delay_alu instid0(VALU_DEP_4) | instskip(SKIP_3) | instid1(VALU_DEP_4)
	v_cndmask_b32_e64 v147, 0xff7fffff, v170, s15
	v_cmp_gt_i32_e64 s16, s28, v166
	v_cmp_gt_i32_e64 s17, s28, v167
	v_lshlrev_b32_e32 v160, 2, v151
	v_max3_f32 v143, v143, v146, v147
	s_delay_alu instid0(VALU_DEP_4) | instskip(NEXT) | instid1(VALU_DEP_4)
	v_cndmask_b32_e64 v144, 0xff7fffff, v169, s16
	v_cndmask_b32_e64 v145, 0xff7fffff, v168, s17
	s_delay_alu instid0(VALU_DEP_1) | instskip(SKIP_3) | instid1(VALU_DEP_1)
	v_max3_f32 v143, v143, v144, v145
	ds_bpermute_b32 v144, v160, v143
	s_waitcnt lgkmcnt(0)
	v_max_f32_e32 v144, v144, v144
	v_max_f32_e32 v159, v143, v144
	s_delay_alu instid0(VALU_DEP_1) | instskip(SKIP_4) | instid1(VALU_DEP_4)
	v_fma_f32 v145, s30, v193, -v159
	v_fma_f32 v146, s30, v194, -v159
	;; [unrolled: 1-line block ×5, first 2 shown]
	v_dual_mul_f32 v145, 0x3fb8aa3b, v145 :: v_dual_mul_f32 v146, 0x3fb8aa3b, v146
	s_delay_alu instid0(VALU_DEP_4) | instskip(SKIP_1) | instid1(VALU_DEP_4)
	v_mul_f32_e32 v132, 0x3fb8aa3b, v132
	v_fma_f32 v148, s30, v195, -v159
	v_mul_f32_e32 v144, 0x3fb8aa3b, v144
	s_delay_alu instid0(VALU_DEP_4)
	v_exp_f32_e32 v145, v145
	v_exp_f32_e32 v150, v146
	v_fma_f32 v149, s30, v196, -v159
	v_mul_f32_e32 v148, 0x3fb8aa3b, v148
	v_exp_f32_e32 v147, v144
	v_fma_f32 v134, s30, v134, -v159
	v_fma_f32 v151, s30, v197, -v159
	v_mul_f32_e32 v149, 0x3fb8aa3b, v149
	v_exp_f32_e32 v148, v148
	v_fma_f32 v152, s30, v198, -v159
	v_cndmask_b32_e64 v146, 0, v145, s3
	v_cndmask_b32_e64 v145, 0, v150, s4
	v_dual_mul_f32 v143, 0x3fb8aa3b, v143 :: v_dual_mul_f32 v134, 0x3fb8aa3b, v134
	v_mul_f32_e32 v151, 0x3fb8aa3b, v151
	v_exp_f32_e32 v149, v149
	v_fma_f32 v129, s30, v129, -v159
	s_delay_alu instid0(VALU_DEP_3)
	v_exp_f32_e32 v143, v143
	v_mul_f32_e32 v150, 0x3fb8aa3b, v152
	v_exp_f32_e32 v151, v151
	v_cndmask_b32_e64 v148, 0, v148, s5
	v_fma_f32 v130, s30, v130, -v159
	v_mul_f32_e32 v129, 0x3fb8aa3b, v129
	v_exp_f32_e32 v153, v150
	v_fma_f32 v131, s30, v131, -v159
	v_fma_f32 v133, s30, v133, -v159
	v_mul_f32_e32 v130, 0x3fb8aa3b, v130
	v_cndmask_b32_e32 v144, 0, v143, vcc_lo
	v_cndmask_b32_e64 v143, 0, v147, s2
	v_exp_f32_e32 v129, v129
	v_cndmask_b32_e64 v150, 0, v151, s7
	v_mul_f32_e32 v131, 0x3fb8aa3b, v131
	v_add_f32_e32 v147, 0, v144
	v_exp_f32_e32 v130, v130
	v_mul_f32_e32 v133, 0x3fb8aa3b, v133
	v_exp_f32_e32 v132, v132
	v_exp_f32_e32 v131, v131
	v_add_f32_e32 v147, v147, v143
	v_cmp_gt_u32_e64 s2, 16, v142
	v_exp_f32_e32 v133, v133
	s_delay_alu instid0(VALU_DEP_2)
	v_add_f32_e32 v147, v147, v146
	s_waitcnt_depctr 0xfff
	v_cndmask_b32_e64 v154, 0, v131, s11
	v_add_f32_e32 v152, v147, v145
	v_cndmask_b32_e64 v147, 0, v149, s6
	v_exp_f32_e32 v131, v134
	v_cndmask_b32_e64 v156, 0, v133, s13
	s_delay_alu instid0(VALU_DEP_3) | instskip(SKIP_1) | instid1(VALU_DEP_2)
	v_add_f32_e32 v149, v152, v148
	v_cndmask_b32_e64 v152, 0, v129, s9
	v_add_f32_e32 v151, v149, v147
	v_cndmask_b32_e64 v149, 0, v153, s8
	v_cndmask_b32_e64 v153, 0, v132, s12
	v_fma_f32 v132, s30, v136, -v159
	s_delay_alu instid0(TRANS32_DEP_1) | instskip(NEXT) | instid1(VALU_DEP_2)
	v_cndmask_b32_e64 v155, 0, v131, s15
	v_dual_add_f32 v151, v151, v150 :: v_dual_mul_f32 v132, 0x3fb8aa3b, v132
	s_delay_alu instid0(VALU_DEP_1) | instskip(SKIP_2) | instid1(VALU_DEP_4)
	v_add_f32_e32 v129, v151, v149
	v_cndmask_b32_e64 v151, 0, v130, s10
	v_fma_f32 v130, s30, v135, -v159
	v_exp_f32_e32 v131, v132
	s_delay_alu instid0(VALU_DEP_1) | instskip(NEXT) | instid1(VALU_DEP_1)
	v_dual_add_f32 v129, v129, v152 :: v_dual_mul_f32 v130, 0x3fb8aa3b, v130
	v_add_f32_e32 v129, v129, v151
	s_delay_alu instid0(VALU_DEP_2) | instskip(SKIP_3) | instid1(VALU_DEP_1)
	v_exp_f32_e32 v130, v130
	s_waitcnt_depctr 0xfff
	v_cndmask_b32_e64 v157, 0, v131, s17
	v_add_f32_e32 v129, v129, v154
	v_add_f32_e32 v129, v129, v153
	v_cndmask_b32_e64 v158, 0, v130, s16
	s_delay_alu instid0(VALU_DEP_2) | instskip(NEXT) | instid1(VALU_DEP_1)
	v_add_f32_e32 v129, v129, v156
	v_add_f32_e32 v129, v129, v155
	s_delay_alu instid0(VALU_DEP_1) | instskip(NEXT) | instid1(VALU_DEP_1)
	v_add_f32_e32 v129, v129, v158
	v_add_f32_e32 v129, v129, v157
	ds_bpermute_b32 v130, v160, v129
	s_and_saveexec_b32 s3, s2
	s_cbranch_execz .LBB220_12
; %bb.11:
	v_mul_u32_u24_e32 v131, 0x44, v141
	s_delay_alu instid0(VALU_DEP_1) | instskip(SKIP_1) | instid1(VALU_DEP_1)
	v_lshl_add_u32 v131, v140, 2, v131
	s_waitcnt lgkmcnt(0)
	v_dual_add_f32 v129, v129, v130 :: v_dual_add_nc_u32 v130, 0x4000, v131
	ds_store_2addr_b32 v130, v159, v129 offset1:136
.LBB220_12:
	s_or_b32 exec_lo, exec_lo, s3
	v_lshlrev_b32_e32 v129, 2, v140
	s_load_b32 s35, s[0:1], 0x94
	s_waitcnt lgkmcnt(0)
	s_barrier
	buffer_gl0_inv
	v_add_nc_u32_e32 v135, 0x4000, v129
	v_cmp_eq_u32_e32 vcc_lo, 1, v141
	v_cmp_eq_u32_e64 s3, 2, v141
	v_cmp_eq_u32_e64 s4, 3, v141
	;; [unrolled: 1-line block ×3, first 2 shown]
	ds_load_2addr_b32 v[129:130], v135 offset1:17
	ds_load_2addr_b32 v[131:132], v135 offset0:34 offset1:51
	ds_load_2addr_b32 v[133:134], v135 offset0:68 offset1:85
	;; [unrolled: 1-line block ×3, first 2 shown]
	v_cmp_eq_u32_e64 s6, 5, v141
	v_cmp_eq_u32_e64 s7, 7, v141
	s_waitcnt lgkmcnt(3)
	v_max3_f32 v136, v129, 0xff7fffff, v130
	s_waitcnt lgkmcnt(2)
	s_delay_alu instid0(VALU_DEP_1) | instskip(SKIP_1) | instid1(VALU_DEP_1)
	v_max3_f32 v136, v136, v131, v132
	s_waitcnt lgkmcnt(1)
	v_max3_f32 v136, v136, v133, v134
	s_waitcnt lgkmcnt(0)
	s_delay_alu instid0(VALU_DEP_1) | instskip(NEXT) | instid1(VALU_DEP_1)
	v_max3_f32 v136, v136, v159, v160
	v_sub_f32_e32 v142, v130, v136
	ds_load_2addr_b32 v[161:162], v135 offset0:136 offset1:153
	v_sub_f32_e32 v164, v132, v136
	v_mul_f32_e32 v142, 0x3fb8aa3b, v142
	s_delay_alu instid0(VALU_DEP_2) | instskip(NEXT) | instid1(VALU_DEP_2)
	v_mul_f32_e32 v164, 0x3fb8aa3b, v164
	v_exp_f32_e32 v166, v142
	v_sub_f32_e32 v129, v129, v136
	s_delay_alu instid0(VALU_DEP_2) | instskip(NEXT) | instid1(VALU_DEP_1)
	v_exp_f32_e32 v164, v164
	v_mul_f32_e32 v163, 0x3fb8aa3b, v129
	ds_load_2addr_b32 v[129:130], v135 offset0:170 offset1:187
	v_exp_f32_e32 v163, v163
	s_waitcnt lgkmcnt(1)
	s_waitcnt_depctr 0xfff
	v_fma_f32 v142, v163, v161, 0
	v_sub_f32_e32 v161, v134, v136
	s_delay_alu instid0(VALU_DEP_2) | instskip(NEXT) | instid1(VALU_DEP_1)
	v_dual_fmac_f32 v142, v166, v162 :: v_dual_sub_f32 v131, v131, v136
	v_mul_f32_e32 v165, 0x3fb8aa3b, v131
	ds_load_2addr_b32 v[131:132], v135 offset0:204 offset1:221
	v_exp_f32_e32 v165, v165
	s_waitcnt lgkmcnt(1)
	s_waitcnt_depctr 0xfff
	v_fmac_f32_e32 v142, v165, v129
	v_sub_f32_e32 v133, v133, v136
	v_sub_f32_e32 v129, v160, v136
	s_delay_alu instid0(VALU_DEP_2) | instskip(NEXT) | instid1(VALU_DEP_2)
	v_dual_fmac_f32 v142, v164, v130 :: v_dual_mul_f32 v167, 0x3fb8aa3b, v133
	v_mul_f32_e32 v129, 0x3fb8aa3b, v129
	ds_load_2addr_b32 v[133:134], v135 offset0:238 offset1:255
	v_cndmask_b32_e32 v130, v163, v166, vcc_lo
	s_waitcnt lgkmcnt(0)
	s_barrier
	v_exp_f32_e32 v162, v129
	v_sub_f32_e32 v135, v159, v136
	v_mul_f32_e32 v159, 0x3fb8aa3b, v161
	v_exp_f32_e32 v161, v167
	buffer_gl0_inv
	v_exp_f32_e32 v159, v159
	v_fmac_f32_e32 v142, v161, v131
	s_waitcnt_depctr 0xfff
	v_dual_mul_f32 v135, 0x3fb8aa3b, v135 :: v_dual_fmac_f32 v142, v159, v132
	s_delay_alu instid0(VALU_DEP_1) | instskip(SKIP_2) | instid1(VALU_DEP_1)
	v_exp_f32_e32 v160, v135
	s_waitcnt_depctr 0xfff
	v_dual_fmac_f32 v142, v160, v133 :: v_dual_lshlrev_b32 v133, 6, v140
	v_fmac_f32_e32 v142, v162, v134
	s_delay_alu instid0(VALU_DEP_2) | instskip(NEXT) | instid1(VALU_DEP_2)
	v_lshl_or_b32 v135, v141, 11, v133
	v_add_f32_e32 v134, 0x358637bd, v142
	s_delay_alu instid0(VALU_DEP_1) | instskip(SKIP_1) | instid1(VALU_DEP_2)
	v_div_scale_f32 v167, null, v134, v134, 1.0
	v_div_scale_f32 v163, vcc_lo, 1.0, v134, 1.0
	v_rcp_f32_e32 v168, v167
	s_waitcnt_depctr 0xfff
	v_fma_f32 v129, -v167, v168, 1.0
	s_delay_alu instid0(VALU_DEP_1) | instskip(SKIP_2) | instid1(VALU_DEP_2)
	v_fmac_f32_e32 v168, v129, v168
	v_cndmask_b32_e64 v129, v130, v165, s3
	v_cmp_eq_u32_e64 s3, 6, v141
	v_cndmask_b32_e64 v130, v129, v164, s4
	v_lshlrev_b32_e32 v129, 2, v138
	v_mul_f32_e32 v165, v163, v168
	s_delay_alu instid0(VALU_DEP_3) | instskip(NEXT) | instid1(VALU_DEP_3)
	v_cndmask_b32_e64 v161, v130, v161, s5
	v_or_b32_e32 v130, 1, v129
	s_delay_alu instid0(VALU_DEP_3)
	v_fma_f32 v131, -v167, v165, v163
	v_or_b32_e32 v132, 2, v129
	v_cmp_eq_u32_e64 s4, 1, v129
	v_cndmask_b32_e64 v141, v161, v159, s6
	v_cmp_eq_u32_e64 s9, 1, v130
	v_fmac_f32_e32 v165, v131, v168
	v_or_b32_e32 v131, 3, v129
	v_cmp_eq_u32_e64 s10, 1, v132
	v_cndmask_b32_e64 v141, v141, v160, s3
	v_cmp_eq_u32_e64 s5, 2, v129
	v_fma_f32 v159, -v167, v165, v163
	v_cmp_eq_u32_e64 s11, 1, v131
	v_cmp_eq_u32_e64 s16, 2, v131
	v_cndmask_b32_e64 v141, v141, v162, s7
	v_cmp_eq_u32_e64 s12, 2, v130
	v_div_fmas_f32 v159, v159, v168, v165
	v_cmp_eq_u32_e64 s18, 3, v131
	v_cmp_eq_u32_e32 vcc_lo, 3, v129
	v_cmp_eq_u32_e64 s13, 3, v130
	v_cmp_eq_u32_e64 s15, 2, v132
	v_div_fixup_f32 v159, v159, v134, 1.0
	v_lshl_or_b32 v134, v138, 4, v135
	v_cmp_eq_u32_e64 s22, 4, v131
	v_cmp_eq_u32_e64 s3, 4, v129
	v_cmp_eq_u32_e64 s17, 3, v132
	v_mul_f32_e32 v141, v141, v159
	v_cmp_eq_u32_e64 s19, 4, v130
	v_cmp_eq_u32_e64 s24, 5, v131
	;; [unrolled: 1-line block ×4, first 2 shown]
	v_fma_mixlo_f16 v159, v141, v144, 0
	v_fma_mixlo_f16 v160, v141, v146, 0
	;; [unrolled: 1-line block ×8, first 2 shown]
	v_fma_mixhi_f16 v159, v141, v143, 0
	v_fma_mixhi_f16 v160, v141, v145, 0
	;; [unrolled: 1-line block ×8, first 2 shown]
	ds_store_b128 v134, v[159:162]
	ds_store_b128 v134, v[163:166] offset:1024
	s_waitcnt lgkmcnt(0)
	s_barrier
	buffer_gl0_inv
	ds_load_b128 v[143:146], v135
	ds_load_b128 v[147:150], v135 offset:16
	ds_load_b128 v[151:154], v135 offset:1024
	ds_load_b128 v[155:158], v135 offset:1040
	v_cmp_eq_u32_e64 s21, 4, v132
	v_cmp_eq_u32_e64 s27, 6, v131
	;; [unrolled: 1-line block ×10, first 2 shown]
	s_waitcnt lgkmcnt(3)
	v_lshrrev_b32_e32 v141, 16, v143
	s_waitcnt lgkmcnt(2)
	v_lshrrev_b32_e32 v162, 16, v147
	v_lshrrev_b32_e32 v159, 16, v144
	;; [unrolled: 1-line block ×3, first 2 shown]
	s_waitcnt lgkmcnt(1)
	v_lshrrev_b32_e32 v166, 16, v151
	v_cndmask_b32_e64 v174, v143, v141, s4
	v_cndmask_b32_e64 v176, v143, v141, s9
	;; [unrolled: 1-line block ×5, first 2 shown]
	s_waitcnt lgkmcnt(0)
	v_lshrrev_b32_e32 v170, 16, v155
	v_cndmask_b32_e64 v175, v147, v162, s4
	v_cndmask_b32_e64 v177, v147, v162, s9
	;; [unrolled: 1-line block ×19, first 2 shown]
	v_lshrrev_b32_e32 v160, 16, v145
	v_lshrrev_b32_e32 v164, 16, v149
	;; [unrolled: 1-line block ×4, first 2 shown]
	v_cndmask_b32_e64 v176, v178, v144, s15
	v_cndmask_b32_e64 v177, v179, v148, s15
	v_cndmask_b32_e64 v144, v147, v152, s5
	v_cndmask_b32_e64 v147, v162, v156, s5
	v_cndmask_b32_e64 v148, v180, v152, s12
	v_cndmask_b32_e64 v162, v182, v152, s15
	v_cndmask_b32_e64 v151, v151, v152, s16
	v_cndmask_b32_e64 v152, v155, v156, s16
	v_cndmask_b32_e32 v155, v166, v159, vcc_lo
	v_cndmask_b32_e32 v166, v170, v163, vcc_lo
	v_cndmask_b32_e64 v170, v174, v159, s13
	v_cndmask_b32_e64 v174, v175, v163, s13
	;; [unrolled: 1-line block ×6, first 2 shown]
	v_cndmask_b32_e32 v144, v144, v167, vcc_lo
	v_cndmask_b32_e32 v147, v147, v171, vcc_lo
	v_cndmask_b32_e64 v148, v148, v167, s13
	v_cndmask_b32_e64 v155, v155, v145, s3
	;; [unrolled: 1-line block ×7, first 2 shown]
	v_lshrrev_b32_e32 v161, 16, v146
	v_lshrrev_b32_e32 v165, 16, v150
	;; [unrolled: 1-line block ×4, first 2 shown]
	v_cndmask_b32_e64 v170, v175, v145, s21
	v_cndmask_b32_e64 v174, v176, v149, s21
	;; [unrolled: 1-line block ×22, first 2 shown]
	v_lshrrev_b32_e32 v169, 16, v154
	v_cndmask_b32_e64 v160, v163, v146, s26
	v_cndmask_b32_e64 v163, v166, v150, s26
	;; [unrolled: 1-line block ×9, first 2 shown]
	v_perm_b32 v146, v143, v141, 0x5040100
	v_cndmask_b32_e64 v141, v183, v156, s15
	v_cndmask_b32_e64 v143, v181, v156, s12
	;; [unrolled: 1-line block ×4, first 2 shown]
	v_perm_b32 v144, v159, v149, 0x5040100
	v_cndmask_b32_e64 v149, v162, v167, s17
	v_cndmask_b32_e64 v151, v151, v167, s18
	;; [unrolled: 1-line block ×15, first 2 shown]
	v_lshrrev_b32_e32 v173, 16, v158
	v_cndmask_b32_e64 v149, v149, v154, s26
	v_cndmask_b32_e64 v151, v151, v154, s27
	;; [unrolled: 1-line block ×13, first 2 shown]
	v_perm_b32 v145, v160, v155, 0x5040100
	v_perm_b32 v143, v148, v147, 0x5040100
	;; [unrolled: 1-line block ×6, first 2 shown]
	s_mul_i32 s7, s33, 3
	s_mov_b32 s3, exec_lo
	ds_store_b128 v134, v[143:146]
	ds_store_b128 v134, v[147:150] offset:1024
	v_cmpx_gt_u32_e32 3, v0
	s_cbranch_execz .LBB220_14
; %bb.13:
	s_mul_i32 s4, s7, s34
	s_load_b128 s[8:11], s[0:1], 0x58
	v_add3_u32 v143, s4, s31, v140
	s_delay_alu instid0(VALU_DEP_1) | instskip(NEXT) | instid1(VALU_DEP_1)
	v_mad_u64_u32 v[140:141], null, v143, s35, s[14:15]
	v_ashrrev_i32_e32 v141, 31, v140
	s_delay_alu instid0(VALU_DEP_1) | instskip(SKIP_1) | instid1(VALU_DEP_1)
	v_lshlrev_b64 v[140:141], 2, v[140:141]
	s_waitcnt lgkmcnt(0)
	v_add_co_u32 v143, vcc_lo, s10, v140
	s_delay_alu instid0(VALU_DEP_2)
	v_add_co_ci_u32_e32 v144, vcc_lo, s11, v141, vcc_lo
	v_add_co_u32 v140, vcc_lo, s8, v140
	v_add_co_ci_u32_e32 v141, vcc_lo, s9, v141, vcc_lo
	global_store_b32 v[143:144], v136, off
	global_store_b32 v[140:141], v142, off
.LBB220_14:
	s_or_b32 exec_lo, exec_lo, s3
	s_waitcnt lgkmcnt(0)
	s_waitcnt_vscnt null, 0x0
	s_barrier
	buffer_gl0_inv
	ds_load_b128 v[148:151], v133
	ds_load_b128 v[152:155], v133 offset:16
	ds_load_b128 v[160:163], v133 offset:1040
	;; [unrolled: 1-line block ×5, first 2 shown]
	v_cmp_eq_u32_e32 vcc_lo, 1, v132
	v_mov_b32_e32 v140, 0
	ds_load_b128 v[176:179], v133 offset:3088
	ds_load_b128 v[172:175], v133 offset:3072
	;; [unrolled: 1-line block ×4, first 2 shown]
	v_cmp_eq_u32_e64 s3, 1, v129
	v_cmp_eq_u32_e64 s4, 1, v131
	;; [unrolled: 1-line block ×3, first 2 shown]
	v_mov_b32_e32 v141, v140
	v_mov_b32_e32 v142, v140
	;; [unrolled: 1-line block ×7, first 2 shown]
	v_cmp_eq_u32_e64 s6, 2, v129
	s_waitcnt lgkmcnt(8)
	s_delay_alu instid0(VALU_DEP_2)
	v_wmma_f32_16x16x16_f16 v[140:147], v[121:128], v[148:155], v[140:147]
	ds_load_b128 v[125:128], v133 offset:5136
	ds_load_b128 v[121:124], v133 offset:5120
	s_waitcnt lgkmcnt(8)
	v_wmma_f32_16x16x16_f16 v[140:147], v[113:120], v[156:163], v[140:147]
	ds_load_b128 v[117:120], v133 offset:6160
	ds_load_b128 v[113:116], v133 offset:6144
	s_waitcnt lgkmcnt(8)
	;; [unrolled: 4-line block ×11, first 2 shown]
	s_barrier
	buffer_gl0_inv
	v_wmma_f32_16x16x16_f16 v[140:147], v[1:8], v[73:80], v[140:147]
	s_delay_alu instid0(VALU_DEP_1) | instskip(NEXT) | instid1(VALU_DEP_1)
	v_wmma_f32_16x16x16_f16 v[140:147], v[9:16], v[65:72], v[140:147]
	v_wmma_f32_16x16x16_f16 v[140:147], v[33:40], v[57:64], v[140:147]
	s_delay_alu instid0(VALU_DEP_1) | instskip(NEXT) | instid1(VALU_DEP_1)
	v_wmma_f32_16x16x16_f16 v[140:147], v[41:48], v[49:56], v[140:147]
	v_wmma_f32_16x16x16_f16 v[140:147], v[17:24], v[25:32], v[140:147]
	s_delay_alu instid0(VALU_DEP_1) | instskip(NEXT) | instid1(VALU_DEP_2)
	v_cvt_f16_f32_e64 v1, v140
	v_cvt_f16_f32_e64 v2, v141
	s_delay_alu instid0(VALU_DEP_3) | instskip(NEXT) | instid1(VALU_DEP_4)
	v_cvt_f16_f32_e64 v3, v142
	v_cvt_f16_f32_e64 v4, v143
	;; [unrolled: 1-line block ×6, first 2 shown]
	v_pack_b32_f16 v1, v1, v2
	v_pack_b32_f16 v2, v3, v4
	;; [unrolled: 1-line block ×3, first 2 shown]
	s_delay_alu instid0(VALU_DEP_4)
	v_pack_b32_f16 v4, v7, v8
	ds_store_b128 v134, v[1:4]
	s_waitcnt lgkmcnt(0)
	s_barrier
	buffer_gl0_inv
	ds_load_b128 v[1:4], v135
	ds_load_b128 v[5:8], v135 offset:16
	s_waitcnt lgkmcnt(1)
	v_lshrrev_b32_e32 v9, 16, v1
	s_waitcnt lgkmcnt(0)
	v_lshrrev_b32_e32 v13, 16, v5
	v_lshrrev_b32_e32 v10, 16, v2
	;; [unrolled: 1-line block ×4, first 2 shown]
	v_cndmask_b32_e64 v17, v1, v9, s3
	v_cndmask_b32_e64 v18, v5, v13, s3
	;; [unrolled: 1-line block ×3, first 2 shown]
	v_cmp_eq_u32_e64 s3, 2, v130
	v_cndmask_b32_e64 v20, v5, v13, s5
	v_cndmask_b32_e32 v21, v1, v9, vcc_lo
	v_cndmask_b32_e32 v22, v5, v13, vcc_lo
	v_cndmask_b32_e64 v1, v1, v9, s4
	v_cndmask_b32_e64 v5, v5, v13, s4
	v_cmp_eq_u32_e32 vcc_lo, 2, v132
	v_cmp_eq_u32_e64 s4, 2, v131
	v_cndmask_b32_e64 v9, v17, v2, s6
	v_cndmask_b32_e64 v13, v18, v6, s6
	;; [unrolled: 1-line block ×4, first 2 shown]
	v_cndmask_b32_e32 v19, v21, v2, vcc_lo
	v_cmp_eq_u32_e64 s3, 3, v132
	v_cndmask_b32_e32 v20, v22, v6, vcc_lo
	v_cndmask_b32_e64 v1, v1, v2, s4
	v_cmp_eq_u32_e32 vcc_lo, 3, v131
	v_cmp_eq_u32_e64 s5, 3, v129
	v_cndmask_b32_e64 v2, v5, v6, s4
	v_cmp_eq_u32_e64 s4, 3, v130
	v_cmp_eq_u32_e64 s6, 4, v129
	v_cndmask_b32_e32 v1, v1, v10, vcc_lo
	v_cndmask_b32_e64 v5, v9, v10, s5
	v_cndmask_b32_e64 v6, v13, v14, s5
	;; [unrolled: 1-line block ×3, first 2 shown]
	v_cmp_eq_u32_e64 s5, 4, v130
	v_cndmask_b32_e64 v13, v18, v14, s4
	v_cndmask_b32_e64 v17, v19, v10, s3
	;; [unrolled: 1-line block ×3, first 2 shown]
	v_cndmask_b32_e32 v2, v2, v14, vcc_lo
	v_cmp_eq_u32_e32 vcc_lo, 4, v132
	v_cmp_eq_u32_e64 s4, 4, v131
	v_lshrrev_b32_e32 v15, 16, v7
	v_cndmask_b32_e64 v5, v5, v3, s6
	v_cndmask_b32_e64 v6, v6, v7, s6
	v_cndmask_b32_e32 v14, v18, v7, vcc_lo
	v_cndmask_b32_e64 v9, v9, v3, s5
	v_cndmask_b32_e64 v10, v13, v7, s5
	v_cndmask_b32_e32 v13, v17, v3, vcc_lo
	v_cmp_eq_u32_e64 s3, 5, v132
	v_cndmask_b32_e64 v1, v1, v3, s4
	v_cmp_eq_u32_e32 vcc_lo, 5, v131
	v_cmp_eq_u32_e64 s5, 5, v129
	v_cndmask_b32_e64 v2, v2, v7, s4
	v_cmp_eq_u32_e64 s4, 5, v130
	v_cmp_eq_u32_e64 s6, 6, v129
	v_lshrrev_b32_e32 v12, 16, v4
	v_cndmask_b32_e64 v3, v5, v11, s5
	v_cndmask_b32_e64 v5, v6, v15, s5
	;; [unrolled: 1-line block ×3, first 2 shown]
	v_cmp_eq_u32_e64 s5, 6, v130
	v_cndmask_b32_e64 v7, v10, v15, s4
	v_cndmask_b32_e64 v9, v13, v11, s3
	;; [unrolled: 1-line block ×3, first 2 shown]
	v_cndmask_b32_e32 v1, v1, v11, vcc_lo
	v_cndmask_b32_e32 v2, v2, v15, vcc_lo
	v_cmp_eq_u32_e32 vcc_lo, 6, v132
	v_cmp_eq_u32_e64 s3, 6, v131
	v_lshrrev_b32_e32 v16, 16, v8
	v_cndmask_b32_e64 v3, v3, v4, s6
	v_cndmask_b32_e64 v5, v5, v8, s6
	v_cndmask_b32_e32 v9, v9, v4, vcc_lo
	v_cndmask_b32_e64 v6, v6, v4, s5
	v_cndmask_b32_e64 v7, v7, v8, s5
	v_cmp_eq_u32_e64 s4, 7, v132
	v_cndmask_b32_e32 v10, v10, v8, vcc_lo
	v_cndmask_b32_e64 v1, v1, v4, s3
	v_cmp_eq_u32_e32 vcc_lo, 7, v131
	v_cndmask_b32_e64 v2, v2, v8, s3
	v_cmp_eq_u32_e64 s3, 7, v129
	v_cmp_eq_u32_e64 s5, 7, v130
	v_cndmask_b32_e32 v1, v1, v12, vcc_lo
	s_delay_alu instid0(VALU_DEP_4) | instskip(NEXT) | instid1(VALU_DEP_4)
	v_cndmask_b32_e32 v2, v2, v16, vcc_lo
	v_cndmask_b32_e64 v8, v3, v12, s3
	s_delay_alu instid0(VALU_DEP_4)
	v_cndmask_b32_e64 v6, v6, v12, s5
	v_cndmask_b32_e64 v3, v9, v12, s4
	;; [unrolled: 1-line block ×5, first 2 shown]
	v_perm_b32 v4, v2, v1, 0x5040100
	s_mov_b32 s3, exec_lo
	v_perm_b32 v3, v9, v3, 0x5040100
	v_perm_b32 v2, v7, v6, 0x5040100
	;; [unrolled: 1-line block ×3, first 2 shown]
	ds_store_b128 v134, v[1:4]
	s_waitcnt lgkmcnt(0)
	s_barrier
	buffer_gl0_inv
	v_cmpx_gt_u32_e32 32, v0
	s_cbranch_execz .LBB220_2
; %bb.15:
	s_load_b64 s[4:5], s[0:1], 0x68
	v_lshlrev_b32_e32 v0, 10, v0
	v_lshlrev_b32_e32 v2, 4, v139
	v_add_nc_u32_e32 v1, s31, v138
	s_lshl_b32 s0, s35, 7
	s_delay_alu instid0(SALU_CYCLE_1) | instskip(NEXT) | instid1(VALU_DEP_2)
	s_mul_i32 s1, s0, s34
	v_and_or_b32 v0, 0x3800, v0, v2
	s_mul_i32 s6, s1, s7
	v_mul_lo_u32 v1, v1, s0
	s_ashr_i32 s7, s6, 31
	s_delay_alu instid0(VALU_DEP_2) | instskip(SKIP_1) | instid1(VALU_DEP_2)
	v_lshl_or_b32 v3, v138, 6, v0
	s_lshl_b64 s[6:7], s[6:7], 1
	v_ashrrev_i32_e32 v2, 31, v1
	ds_load_b128 v[3:6], v3
	s_waitcnt lgkmcnt(0)
	s_add_u32 s1, s4, s6
	s_addc_u32 s3, s5, s7
	s_lshl_b32 s4, s14, 7
	v_lshlrev_b64 v[7:8], 1, v[1:2]
	s_ashr_i32 s5, s4, 31
	s_delay_alu instid0(SALU_CYCLE_1) | instskip(NEXT) | instid1(SALU_CYCLE_1)
	s_lshl_b64 s[4:5], s[4:5], 1
	s_add_u32 s1, s1, s4
	s_addc_u32 s3, s3, s5
	v_add_co_u32 v1, s1, s1, v137
	s_delay_alu instid0(VALU_DEP_1) | instskip(NEXT) | instid1(VALU_DEP_2)
	v_add_co_ci_u32_e64 v2, null, s3, 0, s1
	v_add_co_u32 v7, vcc_lo, v1, v7
	s_delay_alu instid0(VALU_DEP_2)
	v_add_co_ci_u32_e32 v8, vcc_lo, v2, v8, vcc_lo
	global_store_b128 v[7:8], v[3:6], off
	s_and_b32 exec_lo, exec_lo, s2
	s_cbranch_execz .LBB220_2
; %bb.16:
	ds_load_b128 v[3:6], v0 offset:128
	s_add_i32 s1, s31, 2
	s_delay_alu instid0(SALU_CYCLE_1) | instskip(NEXT) | instid1(SALU_CYCLE_1)
	s_mul_i32 s0, s1, s0
	s_ashr_i32 s1, s0, 31
	s_delay_alu instid0(SALU_CYCLE_1) | instskip(NEXT) | instid1(SALU_CYCLE_1)
	s_lshl_b64 s[0:1], s[0:1], 1
	v_add_co_u32 v0, vcc_lo, v1, s0
	v_add_co_ci_u32_e32 v1, vcc_lo, s1, v2, vcc_lo
	s_waitcnt lgkmcnt(0)
	global_store_b128 v[0:1], v[3:6], off
	s_nop 0
	s_sendmsg sendmsg(MSG_DEALLOC_VGPRS)
	s_endpgm
	.section	.rodata,"a",@progbits
	.p2align	6, 0x0
	.amdhsa_kernel _Z39paged_attention_ll4mi_QKV_mfma16_kernelIDF16_DF16_LN4vllm18Fp8KVCacheDataTypeE0EhLi16ELi128ELi256ELb1ELi3EL8MFMAType0EEvPKT_PKT0_S8_ifPKiSA_SA_iPKfiiiPfSD_PS3_PT2_iSC_SC_
		.amdhsa_group_segment_fixed_size 17472
		.amdhsa_private_segment_fixed_size 0
		.amdhsa_kernarg_size 400
		.amdhsa_user_sgpr_count 13
		.amdhsa_user_sgpr_dispatch_ptr 0
		.amdhsa_user_sgpr_queue_ptr 0
		.amdhsa_user_sgpr_kernarg_segment_ptr 1
		.amdhsa_user_sgpr_dispatch_id 0
		.amdhsa_user_sgpr_private_segment_size 0
		.amdhsa_wavefront_size32 1
		.amdhsa_uses_dynamic_stack 0
		.amdhsa_enable_private_segment 0
		.amdhsa_system_sgpr_workgroup_id_x 1
		.amdhsa_system_sgpr_workgroup_id_y 1
		.amdhsa_system_sgpr_workgroup_id_z 1
		.amdhsa_system_sgpr_workgroup_info 0
		.amdhsa_system_vgpr_workitem_id 0
		.amdhsa_next_free_vgpr 218
		.amdhsa_next_free_sgpr 52
		.amdhsa_reserve_vcc 1
		.amdhsa_float_round_mode_32 0
		.amdhsa_float_round_mode_16_64 0
		.amdhsa_float_denorm_mode_32 3
		.amdhsa_float_denorm_mode_16_64 3
		.amdhsa_dx10_clamp 1
		.amdhsa_ieee_mode 1
		.amdhsa_fp16_overflow 0
		.amdhsa_workgroup_processor_mode 1
		.amdhsa_memory_ordered 1
		.amdhsa_forward_progress 0
		.amdhsa_shared_vgpr_count 0
		.amdhsa_exception_fp_ieee_invalid_op 0
		.amdhsa_exception_fp_denorm_src 0
		.amdhsa_exception_fp_ieee_div_zero 0
		.amdhsa_exception_fp_ieee_overflow 0
		.amdhsa_exception_fp_ieee_underflow 0
		.amdhsa_exception_fp_ieee_inexact 0
		.amdhsa_exception_int_div_zero 0
	.end_amdhsa_kernel
	.section	.text._Z39paged_attention_ll4mi_QKV_mfma16_kernelIDF16_DF16_LN4vllm18Fp8KVCacheDataTypeE0EhLi16ELi128ELi256ELb1ELi3EL8MFMAType0EEvPKT_PKT0_S8_ifPKiSA_SA_iPKfiiiPfSD_PS3_PT2_iSC_SC_,"axG",@progbits,_Z39paged_attention_ll4mi_QKV_mfma16_kernelIDF16_DF16_LN4vllm18Fp8KVCacheDataTypeE0EhLi16ELi128ELi256ELb1ELi3EL8MFMAType0EEvPKT_PKT0_S8_ifPKiSA_SA_iPKfiiiPfSD_PS3_PT2_iSC_SC_,comdat
.Lfunc_end220:
	.size	_Z39paged_attention_ll4mi_QKV_mfma16_kernelIDF16_DF16_LN4vllm18Fp8KVCacheDataTypeE0EhLi16ELi128ELi256ELb1ELi3EL8MFMAType0EEvPKT_PKT0_S8_ifPKiSA_SA_iPKfiiiPfSD_PS3_PT2_iSC_SC_, .Lfunc_end220-_Z39paged_attention_ll4mi_QKV_mfma16_kernelIDF16_DF16_LN4vllm18Fp8KVCacheDataTypeE0EhLi16ELi128ELi256ELb1ELi3EL8MFMAType0EEvPKT_PKT0_S8_ifPKiSA_SA_iPKfiiiPfSD_PS3_PT2_iSC_SC_
                                        ; -- End function
	.section	.AMDGPU.csdata,"",@progbits
; Kernel info:
; codeLenInByte = 8004
; NumSgprs: 54
; NumVgprs: 218
; ScratchSize: 0
; MemoryBound: 0
; FloatMode: 240
; IeeeMode: 1
; LDSByteSize: 17472 bytes/workgroup (compile time only)
; SGPRBlocks: 6
; VGPRBlocks: 27
; NumSGPRsForWavesPerEU: 54
; NumVGPRsForWavesPerEU: 218
; Occupancy: 6
; WaveLimiterHint : 1
; COMPUTE_PGM_RSRC2:SCRATCH_EN: 0
; COMPUTE_PGM_RSRC2:USER_SGPR: 13
; COMPUTE_PGM_RSRC2:TRAP_HANDLER: 0
; COMPUTE_PGM_RSRC2:TGID_X_EN: 1
; COMPUTE_PGM_RSRC2:TGID_Y_EN: 1
; COMPUTE_PGM_RSRC2:TGID_Z_EN: 1
; COMPUTE_PGM_RSRC2:TIDIG_COMP_CNT: 0
	.section	.text._Z39paged_attention_ll4mi_QKV_mfma16_kernelIDF16_DF16_LN4vllm18Fp8KVCacheDataTypeE0EhLi16ELi128ELi256ELb1ELi4EL8MFMAType0EEvPKT_PKT0_S8_ifPKiSA_SA_iPKfiiiPfSD_PS3_PT2_iSC_SC_,"axG",@progbits,_Z39paged_attention_ll4mi_QKV_mfma16_kernelIDF16_DF16_LN4vllm18Fp8KVCacheDataTypeE0EhLi16ELi128ELi256ELb1ELi4EL8MFMAType0EEvPKT_PKT0_S8_ifPKiSA_SA_iPKfiiiPfSD_PS3_PT2_iSC_SC_,comdat
	.protected	_Z39paged_attention_ll4mi_QKV_mfma16_kernelIDF16_DF16_LN4vllm18Fp8KVCacheDataTypeE0EhLi16ELi128ELi256ELb1ELi4EL8MFMAType0EEvPKT_PKT0_S8_ifPKiSA_SA_iPKfiiiPfSD_PS3_PT2_iSC_SC_ ; -- Begin function _Z39paged_attention_ll4mi_QKV_mfma16_kernelIDF16_DF16_LN4vllm18Fp8KVCacheDataTypeE0EhLi16ELi128ELi256ELb1ELi4EL8MFMAType0EEvPKT_PKT0_S8_ifPKiSA_SA_iPKfiiiPfSD_PS3_PT2_iSC_SC_
	.globl	_Z39paged_attention_ll4mi_QKV_mfma16_kernelIDF16_DF16_LN4vllm18Fp8KVCacheDataTypeE0EhLi16ELi128ELi256ELb1ELi4EL8MFMAType0EEvPKT_PKT0_S8_ifPKiSA_SA_iPKfiiiPfSD_PS3_PT2_iSC_SC_
	.p2align	8
	.type	_Z39paged_attention_ll4mi_QKV_mfma16_kernelIDF16_DF16_LN4vllm18Fp8KVCacheDataTypeE0EhLi16ELi128ELi256ELb1ELi4EL8MFMAType0EEvPKT_PKT0_S8_ifPKiSA_SA_iPKfiiiPfSD_PS3_PT2_iSC_SC_,@function
_Z39paged_attention_ll4mi_QKV_mfma16_kernelIDF16_DF16_LN4vllm18Fp8KVCacheDataTypeE0EhLi16ELi128ELi256ELb1ELi4EL8MFMAType0EEvPKT_PKT0_S8_ifPKiSA_SA_iPKfiiiPfSD_PS3_PT2_iSC_SC_: ; @_Z39paged_attention_ll4mi_QKV_mfma16_kernelIDF16_DF16_LN4vllm18Fp8KVCacheDataTypeE0EhLi16ELi128ELi256ELb1ELi4EL8MFMAType0EEvPKT_PKT0_S8_ifPKiSA_SA_iPKfiiiPfSD_PS3_PT2_iSC_SC_
; %bb.0:
	s_load_b64 s[4:5], s[0:1], 0x30
	s_mov_b32 s30, s13
	s_waitcnt lgkmcnt(0)
	s_cmp_lg_u64 s[4:5], 0
	s_cselect_b32 s12, -1, 0
	s_ashr_i32 s31, s13, 31
	s_cmp_eq_u64 s[4:5], 0
	s_cbranch_scc1 .LBB221_3
; %bb.1:
	s_lshl_b64 s[2:3], s[30:31], 2
	s_delay_alu instid0(SALU_CYCLE_1) | instskip(SKIP_4) | instid1(SALU_CYCLE_1)
	s_add_u32 s2, s4, s2
	s_addc_u32 s3, s5, s3
	s_load_b64 s[2:3], s[2:3], 0x0
	s_waitcnt lgkmcnt(0)
	s_sub_i32 s2, s3, s2
	s_cmp_eq_u32 s2, 1
	s_cselect_b32 s2, -1, 0
	s_delay_alu instid0(SALU_CYCLE_1)
	s_and_not1_b32 vcc_lo, exec_lo, s2
	s_cbranch_vccz .LBB221_4
.LBB221_2:
	s_endpgm
.LBB221_3:
.LBB221_4:
	s_load_b64 s[2:3], s[0:1], 0x28
	s_lshl_b64 s[6:7], s[30:31], 2
	s_waitcnt lgkmcnt(0)
	s_add_u32 s2, s2, s6
	s_addc_u32 s3, s3, s7
	s_lshl_b32 s29, s14, 8
	s_load_b32 s28, s[2:3], 0x0
	s_waitcnt lgkmcnt(0)
	s_cmp_ge_i32 s29, s28
	s_cbranch_scc1 .LBB221_2
; %bb.5:
	s_clause 0x1
	s_load_b128 s[8:11], s[0:1], 0x8
	s_load_b64 s[2:3], s[0:1], 0x20
	s_and_not1_b32 vcc_lo, exec_lo, s12
	s_cbranch_vccnz .LBB221_7
; %bb.6:
	s_add_u32 s4, s4, s6
	s_addc_u32 s5, s5, s7
	s_load_b32 s12, s[4:5], 0x0
	s_branch .LBB221_8
.LBB221_7:
	s_mov_b32 s12, s30
.LBB221_8:
	s_load_b128 s[4:7], s[0:1], 0x48
	v_and_b32_e32 v141, 15, v0
	v_lshrrev_b32_e32 v140, 5, v0
	v_and_b32_e32 v142, 31, v0
	v_and_b32_e32 v139, 1, v0
	v_bfe_u32 v138, v0, 4, 1
	v_lshlrev_b32_e32 v1, 3, v141
	s_lshl_b32 s31, s15, 2
	s_waitcnt lgkmcnt(0)
	s_mov_b32 s7, exec_lo
	s_delay_alu instid0(VALU_DEP_1)
	v_lshlrev_b32_e32 v137, 1, v1
	v_cmpx_gt_u32_e32 64, v0
	s_cbranch_execz .LBB221_10
; %bb.9:
	v_lshl_or_b32 v5, v140, 1, v138
	s_load_b64 s[16:17], s[0:1], 0x0
	s_mul_hi_i32 s13, s12, s4
	s_mul_i32 s12, s12, s4
	v_lshlrev_b32_e32 v6, 10, v141
	v_or_b32_e32 v1, s31, v5
	s_lshl_b64 s[12:13], s[12:13], 1
	v_lshlrev_b32_e32 v5, 6, v5
	v_lshlrev_b32_e32 v7, 10, v139
	v_and_b32_e32 v6, 0x3800, v6
	v_lshlrev_b32_e32 v1, 7, v1
	s_delay_alu instid0(VALU_DEP_2) | instskip(NEXT) | instid1(VALU_DEP_2)
	v_or3_b32 v5, v6, v7, v5
	v_ashrrev_i32_e32 v2, 31, v1
	s_delay_alu instid0(VALU_DEP_1) | instskip(SKIP_3) | instid1(VALU_DEP_1)
	v_lshlrev_b64 v[1:2], 1, v[1:2]
	s_waitcnt lgkmcnt(0)
	s_add_u32 s4, s16, s12
	s_addc_u32 s12, s17, s13
	v_add_co_u32 v1, vcc_lo, s4, v1
	s_delay_alu instid0(VALU_DEP_2) | instskip(NEXT) | instid1(VALU_DEP_2)
	v_add_co_ci_u32_e32 v2, vcc_lo, s12, v2, vcc_lo
	v_add_co_u32 v1, vcc_lo, v1, v137
	s_delay_alu instid0(VALU_DEP_2)
	v_add_co_ci_u32_e32 v2, vcc_lo, 0, v2, vcc_lo
	global_load_b128 v[1:4], v[1:2], off
	s_waitcnt vmcnt(0)
	ds_store_b128 v5, v[1:4]
.LBB221_10:
	s_or_b32 exec_lo, exec_lo, s7
	s_mov_b32 s40, 0
	s_add_i32 s4, s28, 15
	s_mov_b32 s41, s40
	s_mov_b32 s42, s40
	;; [unrolled: 1-line block ×7, first 2 shown]
	s_delay_alu instid0(SALU_CYCLE_1)
	v_dual_mov_b32 v136, s47 :: v_dual_and_b32 v1, 0xef, v0
	v_mov_b32_e32 v134, s45
	s_clause 0x1
	s_load_b32 s7, s[0:1], 0x38
	s_load_b32 s33, s[0:1], 0x98
	v_add_nc_u32_e32 v1, s29, v1
	s_ashr_i32 s12, s4, 31
	s_load_b32 s34, s[0:1], 0x1c
	s_lshr_b32 s12, s12, 28
	s_waitcnt lgkmcnt(0)
	v_ashrrev_i32_e32 v2, 31, v1
	s_add_i32 s4, s4, s12
	v_cmp_gt_i32_e32 vcc_lo, s28, v1
	v_mov_b32_e32 v135, s46
	s_ashr_i32 s4, s4, 4
	v_lshrrev_b32_e32 v3, 28, v2
	v_or_b32_e32 v2, 16, v1
	s_add_i32 s4, s4, -1
	v_mov_b32_e32 v132, s43
	s_barrier
	v_add_nc_u32_e32 v4, v1, v3
	v_add_nc_u32_e32 v3, v2, v3
	buffer_gl0_inv
	v_lshlrev_b32_e32 v106, 5, v141
	s_mul_i32 s12, s30, s7
	v_ashrrev_i32_e32 v4, 4, v4
	v_ashrrev_i32_e32 v3, 4, v3
	s_ashr_i32 s13, s12, 31
	v_and_b32_e32 v105, 3, v0
	s_lshl_b64 s[12:13], s[12:13], 2
	v_cndmask_b32_e32 v1, s4, v4, vcc_lo
	v_cmp_gt_i32_e32 vcc_lo, s28, v2
	s_add_u32 s35, s2, s12
	s_addc_u32 s36, s3, s13
	s_mul_i32 s2, s15, s6
	v_ashrrev_i32_e32 v2, 31, v1
	v_cndmask_b32_e32 v3, s4, v3, vcc_lo
	s_ashr_i32 s3, s2, 31
	v_lshlrev_b32_e32 v215, 6, v105
	s_lshl_b64 s[2:3], s[2:3], 1
	v_lshlrev_b64 v[1:2], 2, v[1:2]
	v_ashrrev_i32_e32 v4, 31, v3
	s_add_u32 s22, s8, s2
	s_addc_u32 s23, s9, s3
	s_lshl_b32 s6, s14, 4
	v_lshl_or_b32 v125, v140, 9, v106
	v_lshlrev_b64 v[3:4], 2, v[3:4]
	v_add_co_u32 v1, vcc_lo, s35, v1
	v_add_co_ci_u32_e32 v2, vcc_lo, s36, v2, vcc_lo
	s_ashr_i32 s7, s6, 31
	s_delay_alu instid0(VALU_DEP_3) | instskip(NEXT) | instid1(VALU_DEP_4)
	v_add_co_u32 v3, vcc_lo, s35, v3
	v_add_co_ci_u32_e32 v4, vcc_lo, s36, v4, vcc_lo
	s_clause 0x1
	global_load_b32 v5, v[1:2], off
	global_load_b32 v6, v[3:4], off
	s_lshl_b64 s[6:7], s[6:7], 2
	v_dual_mov_b32 v130, s41 :: v_dual_lshlrev_b32 v3, 4, v0
	s_add_u32 s6, s35, s6
	s_addc_u32 s7, s36, s7
	s_or_b32 s8, s29, 16
	v_mov_b32_e32 v133, s44
	s_ashr_i32 s9, s8, 4
	s_cmp_lt_i32 s8, s28
	v_mov_b32_e32 v131, s42
	s_cselect_b32 s8, s9, s4
	v_mov_b32_e32 v129, s40
	s_ashr_i32 s9, s8, 31
	s_delay_alu instid0(SALU_CYCLE_1) | instskip(NEXT) | instid1(SALU_CYCLE_1)
	s_lshl_b64 s[8:9], s[8:9], 2
	s_add_u32 s8, s35, s8
	s_addc_u32 s9, s36, s9
	s_or_b32 s12, s29, 32
	s_delay_alu instid0(SALU_CYCLE_1) | instskip(SKIP_2) | instid1(SALU_CYCLE_1)
	s_ashr_i32 s13, s12, 4
	s_cmp_lt_i32 s12, s28
	s_cselect_b32 s12, s13, s4
	s_ashr_i32 s13, s12, 31
	s_delay_alu instid0(SALU_CYCLE_1) | instskip(NEXT) | instid1(SALU_CYCLE_1)
	s_lshl_b64 s[12:13], s[12:13], 2
	s_add_u32 s12, s35, s12
	s_addc_u32 s13, s36, s13
	s_or_b32 s15, s29, 48
	s_delay_alu instid0(SALU_CYCLE_1) | instskip(SKIP_2) | instid1(SALU_CYCLE_1)
	s_ashr_i32 s16, s15, 4
	s_cmp_lt_i32 s15, s28
	s_cselect_b32 s16, s16, s4
	s_ashr_i32 s17, s16, 31
	s_delay_alu instid0(SALU_CYCLE_1) | instskip(NEXT) | instid1(SALU_CYCLE_1)
	s_lshl_b64 s[16:17], s[16:17], 2
	s_add_u32 s16, s35, s16
	s_addc_u32 s17, s36, s17
	s_or_b32 s15, s29, 64
	s_delay_alu instid0(SALU_CYCLE_1) | instskip(SKIP_2) | instid1(SALU_CYCLE_1)
	s_ashr_i32 s18, s15, 4
	s_cmp_lt_i32 s15, s28
	s_cselect_b32 s18, s18, s4
	s_ashr_i32 s19, s18, 31
	s_delay_alu instid0(SALU_CYCLE_1) | instskip(NEXT) | instid1(SALU_CYCLE_1)
	s_lshl_b64 s[18:19], s[18:19], 2
	s_add_u32 s18, s35, s18
	s_addc_u32 s19, s36, s19
	s_or_b32 s15, s29, 0x50
	s_delay_alu instid0(SALU_CYCLE_1) | instskip(SKIP_2) | instid1(SALU_CYCLE_1)
	s_ashr_i32 s20, s15, 4
	s_cmp_lt_i32 s15, s28
	s_cselect_b32 s20, s20, s4
	s_ashr_i32 s21, s20, 31
	s_delay_alu instid0(SALU_CYCLE_1) | instskip(NEXT) | instid1(SALU_CYCLE_1)
	s_lshl_b64 s[20:21], s[20:21], 2
	s_add_u32 s20, s35, s20
	s_addc_u32 s21, s36, s21
	s_clause 0x5
	s_load_b32 s6, s[6:7], 0x0
	s_load_b32 s8, s[8:9], 0x0
	;; [unrolled: 1-line block ×6, first 2 shown]
	s_waitcnt vmcnt(1)
	v_mad_i64_i32 v[1:2], null, v5, s5, 0
	v_and_b32_e32 v5, 0xf0, v3
	s_waitcnt vmcnt(0)
	v_mad_i64_i32 v[3:4], null, v6, s5, 0
	s_delay_alu instid0(VALU_DEP_2) | instskip(NEXT) | instid1(VALU_DEP_4)
	v_add_co_u32 v5, s7, s22, v5
	v_lshlrev_b64 v[1:2], 1, v[1:2]
	v_add_co_ci_u32_e64 v6, null, s23, 0, s7
	s_delay_alu instid0(VALU_DEP_4) | instskip(SKIP_1) | instid1(VALU_DEP_3)
	v_lshlrev_b64 v[3:4], 1, v[3:4]
	s_or_b32 s7, s29, 0x60
	v_add_co_u32 v121, vcc_lo, v5, v1
	s_delay_alu instid0(VALU_DEP_3) | instskip(NEXT) | instid1(VALU_DEP_3)
	v_add_co_ci_u32_e32 v122, vcc_lo, v6, v2, vcc_lo
	v_add_co_u32 v123, vcc_lo, v5, v3
	s_delay_alu instid0(VALU_DEP_4)
	v_add_co_ci_u32_e32 v124, vcc_lo, v6, v4, vcc_lo
	s_clause 0x19
	global_load_b128 v[89:92], v[121:122], off
	global_load_b128 v[93:96], v[121:122], off offset:256
	global_load_b128 v[97:100], v[123:124], off
	global_load_b128 v[101:104], v[123:124], off offset:256
	global_load_b128 v[81:84], v[121:122], off offset:512
	global_load_b128 v[85:88], v[121:122], off offset:768
	global_load_b128 v[73:76], v[123:124], off offset:512
	global_load_b128 v[77:80], v[123:124], off offset:768
	global_load_b128 v[65:68], v[121:122], off offset:1024
	global_load_b128 v[69:72], v[121:122], off offset:1280
	global_load_b128 v[57:60], v[123:124], off offset:1024
	global_load_b128 v[61:64], v[123:124], off offset:1280
	global_load_b128 v[49:52], v[121:122], off offset:1536
	global_load_b128 v[53:56], v[121:122], off offset:1792
	global_load_b128 v[25:28], v[123:124], off offset:1536
	global_load_b128 v[29:32], v[123:124], off offset:1792
	global_load_b128 v[1:4], v[121:122], off offset:2048
	global_load_b128 v[5:8], v[121:122], off offset:2304
	global_load_b128 v[9:12], v[123:124], off offset:2048
	global_load_b128 v[13:16], v[123:124], off offset:2304
	global_load_b128 v[41:44], v[121:122], off offset:2560
	global_load_b128 v[45:48], v[121:122], off offset:2816
	global_load_b128 v[33:36], v[123:124], off offset:2560
	global_load_b128 v[37:40], v[123:124], off offset:2816
	global_load_b128 v[17:20], v[121:122], off offset:3072
	global_load_b128 v[21:24], v[121:122], off offset:3328
	s_ashr_i32 s9, s7, 4
	s_cmp_lt_i32 s7, s28
	ds_load_b128 v[105:108], v215
	ds_load_b128 v[109:112], v215 offset:1024
	s_cselect_b32 s20, s9, s4
	ds_load_b128 v[113:116], v215 offset:2048
	ds_load_b128 v[117:120], v215 offset:3072
	s_ashr_i32 s21, s20, 31
	ds_load_b128 v[143:146], v215 offset:4096
	ds_load_b128 v[147:150], v215 offset:5120
	s_lshl_b64 s[20:21], s[20:21], 2
	ds_load_b128 v[151:154], v215 offset:6144
	ds_load_b128 v[155:158], v215 offset:7168
	s_add_u32 s20, s35, s20
	s_addc_u32 s21, s36, s21
	s_or_b32 s7, s29, 0x70
	ds_load_b128 v[159:162], v215 offset:8192
	ds_load_b128 v[163:166], v215 offset:9216
	s_ashr_i32 s9, s7, 4
	s_cmp_lt_i32 s7, s28
	s_clause 0x1
	global_load_b128 v[167:170], v[123:124], off offset:3072
	global_load_b128 v[171:174], v[123:124], off offset:3328
	s_cselect_b32 s22, s9, s4
	s_delay_alu instid0(SALU_CYCLE_1) | instskip(NEXT) | instid1(SALU_CYCLE_1)
	s_ashr_i32 s23, s22, 31
	s_lshl_b64 s[22:23], s[22:23], 2
	s_delay_alu instid0(SALU_CYCLE_1)
	s_add_u32 s22, s35, s22
	s_addc_u32 s23, s36, s23
	s_clause 0x1
	s_load_b32 s44, s[20:21], 0x0
	s_load_b32 s45, s[22:23], 0x0
	s_clause 0x3
	global_load_b128 v[175:178], v[121:122], off offset:3584
	global_load_b128 v[179:182], v[121:122], off offset:3840
	global_load_b128 v[183:186], v[123:124], off offset:3584
	global_load_b128 v[187:190], v[123:124], off offset:3840
	s_or_b32 s7, s29, 0x80
	s_delay_alu instid0(SALU_CYCLE_1) | instskip(SKIP_2) | instid1(SALU_CYCLE_1)
	s_ashr_i32 s9, s7, 4
	s_cmp_lt_i32 s7, s28
	s_cselect_b32 s24, s9, s4
	s_ashr_i32 s25, s24, 31
	s_delay_alu instid0(SALU_CYCLE_1) | instskip(NEXT) | instid1(SALU_CYCLE_1)
	s_lshl_b64 s[24:25], s[24:25], 2
	s_add_u32 s24, s35, s24
	s_addc_u32 s25, s36, s25
	s_or_b32 s7, s29, 0x90
	s_delay_alu instid0(SALU_CYCLE_1) | instskip(SKIP_2) | instid1(SALU_CYCLE_1)
	s_ashr_i32 s9, s7, 4
	s_cmp_lt_i32 s7, s28
	s_cselect_b32 s26, s9, s4
	s_ashr_i32 s27, s26, 31
	s_delay_alu instid0(SALU_CYCLE_1) | instskip(NEXT) | instid1(SALU_CYCLE_1)
	s_lshl_b64 s[26:27], s[26:27], 2
	s_add_u32 s26, s35, s26
	s_addc_u32 s27, s36, s27
	s_or_b32 s7, s29, 0xa0
	s_delay_alu instid0(SALU_CYCLE_1)
	s_ashr_i32 s9, s7, 4
	s_cmp_lt_i32 s7, s28
	s_waitcnt lgkmcnt(0)
	s_mul_hi_i32 s7, s6, s5
	s_cselect_b32 s38, s9, s4
	s_mul_i32 s6, s6, s5
	s_ashr_i32 s39, s38, 31
	s_delay_alu instid0(SALU_CYCLE_1) | instskip(NEXT) | instid1(SALU_CYCLE_1)
	s_lshl_b64 s[38:39], s[38:39], 2
	s_add_u32 s38, s35, s38
	s_addc_u32 s39, s36, s39
	s_or_b32 s9, s29, 0xb0
	s_load_b32 s39, s[38:39], 0x0
	s_ashr_i32 s13, s9, 4
	s_cmp_lt_i32 s9, s28
	s_mul_hi_i32 s9, s8, s5
	s_cselect_b32 s40, s13, s4
	s_mul_i32 s8, s8, s5
	s_ashr_i32 s41, s40, 31
	s_mul_hi_i32 s13, s12, s5
	s_lshl_b64 s[40:41], s[40:41], 2
	s_mul_i32 s12, s12, s5
	s_add_u32 s42, s35, s40
	s_addc_u32 s43, s36, s41
	s_or_b32 s17, s29, 0xc0
	s_delay_alu instid0(SALU_CYCLE_1)
	s_ashr_i32 s19, s17, 4
	s_cmp_lt_i32 s17, s28
	s_mul_hi_i32 s17, s16, s5
	s_cselect_b32 s40, s19, s4
	s_mul_i32 s16, s16, s5
	s_ashr_i32 s41, s40, 31
	s_mul_hi_i32 s19, s18, s5
	s_lshl_b64 s[40:41], s[40:41], 2
	s_mul_i32 s18, s18, s5
	s_add_u32 s22, s35, s40
	s_addc_u32 s23, s36, s41
	s_or_b32 s20, s29, 0xd0
	s_clause 0x1
	s_load_b32 s41, s[24:25], 0x0
	s_load_b32 s40, s[26:27], 0x0
	s_ashr_i32 s21, s20, 4
	s_cmp_lt_i32 s20, s28
	s_mul_i32 s20, s15, s5
	s_cselect_b32 s24, s21, s4
	s_mul_hi_i32 s21, s15, s5
	s_ashr_i32 s25, s24, 31
	s_delay_alu instid0(SALU_CYCLE_1) | instskip(NEXT) | instid1(SALU_CYCLE_1)
	s_lshl_b64 s[24:25], s[24:25], 2
	s_add_u32 s24, s35, s24
	s_addc_u32 s25, s36, s25
	s_or_b32 s46, s29, 0xe0
	s_clause 0x2
	s_load_b32 s38, s[42:43], 0x0
	s_load_b32 s37, s[22:23], 0x0
	;; [unrolled: 1-line block ×3, first 2 shown]
	s_ashr_i32 s47, s46, 4
	s_cmp_lt_i32 s46, s28
	s_mul_hi_i32 s23, s44, s5
	s_cselect_b32 s42, s47, s4
	s_mul_i32 s22, s44, s5
	s_ashr_i32 s43, s42, 31
	s_mul_hi_i32 s25, s45, s5
	s_lshl_b64 s[42:43], s[42:43], 2
	s_mul_i32 s24, s45, s5
	s_add_u32 s42, s35, s42
	s_addc_u32 s43, s36, s43
	s_or_b32 s46, s29, 0xf0
	s_waitcnt lgkmcnt(0)
	s_mul_hi_i32 s27, s41, s5
	s_ashr_i32 s47, s46, 4
	s_cmp_lt_i32 s46, s28
	s_mul_i32 s26, s41, s5
	s_cselect_b32 s46, s47, s4
	s_mul_hi_i32 s41, s40, s5
	s_ashr_i32 s47, s46, 31
	s_mul_hi_i32 s51, s15, s5
	s_lshl_b64 s[46:47], s[46:47], 2
	s_mul_i32 s50, s15, s5
	s_add_u32 s46, s35, s46
	s_addc_u32 s47, s36, s47
	s_add_u32 s4, s10, s2
	s_addc_u32 s15, s11, s3
	v_add_co_u32 v216, s4, s4, v125
	s_delay_alu instid0(VALU_DEP_1) | instskip(SKIP_2) | instid1(VALU_DEP_2)
	v_add_co_ci_u32_e64 v217, null, s15, 0, s4
	s_lshl_b64 s[2:3], s[6:7], 1
	s_lshl_b64 s[6:7], s[8:9], 1
	v_add_co_u32 v125, vcc_lo, v216, s2
	s_delay_alu instid0(VALU_DEP_2)
	v_add_co_ci_u32_e32 v126, vcc_lo, s3, v217, vcc_lo
	v_add_co_u32 v199, vcc_lo, v216, s6
	s_lshl_b64 s[8:9], s[12:13], 1
	v_add_co_ci_u32_e32 v200, vcc_lo, s7, v217, vcc_lo
	s_lshl_b64 s[10:11], s[16:17], 1
	s_lshl_b64 s[12:13], s[18:19], 1
	;; [unrolled: 1-line block ×6, first 2 shown]
	s_mul_i32 s40, s40, s5
	s_mul_hi_i32 s45, s39, s5
	s_lshl_b64 s[24:25], s[40:41], 1
	s_mul_i32 s44, s39, s5
	s_mul_hi_i32 s39, s38, s5
	s_lshl_b64 s[26:27], s[44:45], 1
	s_mul_i32 s38, s38, s5
	s_mul_hi_i32 s49, s37, s5
	s_mul_i32 s48, s37, s5
	s_lshl_b64 s[36:37], s[38:39], 1
	s_lshl_b64 s[38:39], s[48:49], 1
	s_clause 0x1
	s_load_b32 s4, s[42:43], 0x0
	s_load_b32 s15, s[46:47], 0x0
	s_lshl_b64 s[40:41], s[50:51], 1
	s_waitcnt lgkmcnt(0)
	s_mul_hi_i32 s3, s4, s5
	s_mul_i32 s2, s4, s5
	s_mul_hi_i32 s7, s15, s5
	s_lshl_b64 s[2:3], s[2:3], 1
	s_mul_i32 s6, s15, s5
	s_waitcnt vmcnt(30)
	v_wmma_f32_16x16x16_f16 v[191:198], v[89:96], v[105:112], v[129:136]
	v_add_co_u32 v89, vcc_lo, v216, s8
	v_add_co_ci_u32_e32 v90, vcc_lo, s9, v217, vcc_lo
	v_add_co_u32 v91, vcc_lo, v216, s10
	v_add_co_ci_u32_e32 v92, vcc_lo, s11, v217, vcc_lo
	;; [unrolled: 2-line block ×5, first 2 shown]
	v_add_co_u32 v205, vcc_lo, v216, s20
	s_waitcnt vmcnt(28)
	v_wmma_f32_16x16x16_f16 v[129:136], v[97:104], v[105:112], v[129:136]
	v_add_co_ci_u32_e32 v206, vcc_lo, s21, v217, vcc_lo
	v_add_co_u32 v207, vcc_lo, v216, s22
	v_add_co_ci_u32_e32 v208, vcc_lo, s23, v217, vcc_lo
	v_add_co_u32 v209, vcc_lo, v216, s24
	s_waitcnt vmcnt(26)
	v_wmma_f32_16x16x16_f16 v[191:198], v[81:88], v[113:120], v[191:198]
	s_waitcnt vmcnt(24)
	v_wmma_f32_16x16x16_f16 v[129:136], v[73:80], v[113:120], v[129:136]
	v_add_co_ci_u32_e32 v210, vcc_lo, s25, v217, vcc_lo
	v_add_co_u32 v211, vcc_lo, v216, s26
	v_add_co_ci_u32_e32 v212, vcc_lo, s27, v217, vcc_lo
	v_add_co_u32 v213, vcc_lo, v216, s36
	s_waitcnt vmcnt(22)
	v_wmma_f32_16x16x16_f16 v[191:198], v[65:72], v[143:150], v[191:198]
	s_waitcnt vmcnt(20)
	v_wmma_f32_16x16x16_f16 v[129:136], v[57:64], v[143:150], v[129:136]
	v_add_co_ci_u32_e32 v214, vcc_lo, s37, v217, vcc_lo
	v_add_co_u32 v143, vcc_lo, v216, s38
	s_waitcnt vmcnt(18)
	v_wmma_f32_16x16x16_f16 v[191:198], v[49:56], v[151:158], v[191:198]
	s_waitcnt vmcnt(16)
	v_wmma_f32_16x16x16_f16 v[129:136], v[25:32], v[151:158], v[129:136]
	v_add_co_ci_u32_e32 v144, vcc_lo, s39, v217, vcc_lo
	s_clause 0x15
	global_load_b128 v[121:124], v[125:126], off
	global_load_b128 v[125:128], v[125:126], off offset:16
	global_load_b128 v[113:116], v[199:200], off
	global_load_b128 v[117:120], v[199:200], off offset:16
	;; [unrolled: 2-line block ×11, first 2 shown]
	s_waitcnt vmcnt(36)
	v_wmma_f32_16x16x16_f16 v[191:198], v[1:8], v[159:166], v[191:198]
	s_clause 0x1
	global_load_b128 v[1:4], v[213:214], off
	global_load_b128 v[5:8], v[213:214], off offset:16
	s_waitcnt vmcnt(36)
	v_wmma_f32_16x16x16_f16 v[129:136], v[9:16], v[159:166], v[129:136]
	s_clause 0x1
	global_load_b128 v[9:12], v[143:144], off
	global_load_b128 v[13:16], v[143:144], off offset:16
	ds_load_b128 v[143:146], v215 offset:10240
	ds_load_b128 v[147:150], v215 offset:11264
	ds_load_b128 v[151:154], v215 offset:12288
	ds_load_b128 v[155:158], v215 offset:13312
	v_add_co_u32 v199, vcc_lo, v216, s40
	v_add_co_ci_u32_e32 v200, vcc_lo, s41, v217, vcc_lo
	v_add_co_u32 v159, vcc_lo, v216, s2
	v_add_co_ci_u32_e32 v160, vcc_lo, s3, v217, vcc_lo
	s_lshl_b64 s[2:3], s[6:7], 1
	s_delay_alu instid0(SALU_CYCLE_1)
	v_add_co_u32 v161, vcc_lo, v216, s2
	v_add_co_ci_u32_e32 v162, vcc_lo, s3, v217, vcc_lo
	s_waitcnt vmcnt(36) lgkmcnt(2)
	v_wmma_f32_16x16x16_f16 v[191:198], v[41:48], v[143:150], v[191:198]
	s_waitcnt vmcnt(34)
	v_wmma_f32_16x16x16_f16 v[129:136], v[33:40], v[143:150], v[129:136]
	s_clause 0x3
	global_load_b128 v[33:36], v[199:200], off
	global_load_b128 v[37:40], v[199:200], off offset:16
	global_load_b128 v[41:44], v[159:160], off
	global_load_b128 v[45:48], v[159:160], off offset:16
	v_and_b32_e32 v143, 0xe0, v0
	v_mbcnt_lo_u32_b32 v159, -1, 0
	s_waitcnt vmcnt(36) lgkmcnt(0)
	v_wmma_f32_16x16x16_f16 v[191:198], v[17:24], v[151:158], v[191:198]
	s_clause 0x1
	global_load_b128 v[17:20], v[161:162], off
	global_load_b128 v[21:24], v[161:162], off offset:16
	s_waitcnt vmcnt(36)
	v_wmma_f32_16x16x16_f16 v[129:136], v[167:174], v[151:158], v[129:136]
	v_add_nc_u32_e32 v160, s29, v143
	ds_load_b128 v[143:146], v215 offset:14336
	ds_load_b128 v[147:150], v215 offset:15360
	v_xor_b32_e32 v151, 16, v159
	s_waitcnt vmcnt(0) lgkmcnt(0)
	s_barrier
	v_or_b32_e32 v152, v160, v138
	buffer_gl0_inv
	v_cmp_gt_i32_e32 vcc_lo, 32, v151
	v_or_b32_e32 v153, 2, v152
	v_or_b32_e32 v154, 4, v152
	;; [unrolled: 1-line block ×5, first 2 shown]
	v_cmp_gt_i32_e64 s2, s28, v153
	v_cmp_gt_i32_e64 s3, s28, v154
	;; [unrolled: 1-line block ×3, first 2 shown]
	v_or_b32_e32 v158, 12, v152
	v_cmp_gt_i32_e64 s5, s28, v156
	v_cmp_gt_i32_e64 s6, s28, v157
	v_wmma_f32_16x16x16_f16 v[191:198], v[175:182], v[143:150], v[191:198]
	v_wmma_f32_16x16x16_f16 v[129:136], v[183:190], v[143:150], v[129:136]
	v_cndmask_b32_e32 v151, v159, v151, vcc_lo
	v_cmp_gt_i32_e32 vcc_lo, s28, v152
	v_or_b32_e32 v159, 14, v152
	v_dual_mul_f32 v149, s34, v192 :: v_dual_mul_f32 v150, s34, v191
	v_dual_mul_f32 v147, s34, v194 :: v_dual_mul_f32 v148, s34, v193
	;; [unrolled: 1-line block ×3, first 2 shown]
	s_delay_alu instid0(VALU_DEP_3) | instskip(NEXT) | instid1(VALU_DEP_4)
	v_cndmask_b32_e32 v150, 0xff7fffff, v150, vcc_lo
	v_cndmask_b32_e64 v149, 0xff7fffff, v149, s2
	v_mul_f32_e32 v146, s34, v195
	v_cndmask_b32_e64 v148, 0xff7fffff, v148, s3
	v_cndmask_b32_e64 v147, 0xff7fffff, v147, s4
	v_or_b32_e32 v160, 16, v152
	v_max3_f32 v149, v150, 0xff7fffff, v149
	v_or_b32_e32 v161, 18, v152
	v_mul_f32_e32 v144, s34, v197
	v_dual_mul_f32 v172, s34, v132 :: v_dual_mul_f32 v143, s34, v198
	v_cndmask_b32_e64 v146, 0xff7fffff, v146, s5
	v_cndmask_b32_e64 v145, 0xff7fffff, v145, s6
	v_max3_f32 v147, v149, v148, v147
	v_cmp_gt_i32_e64 s7, s28, v158
	v_cmp_gt_i32_e64 s8, s28, v159
	v_or_b32_e32 v162, 20, v152
	v_or_b32_e32 v163, 22, v152
	v_mul_f32_e32 v175, s34, v129
	v_cndmask_b32_e64 v144, 0xff7fffff, v144, s7
	v_max3_f32 v145, v147, v146, v145
	v_cmp_gt_i32_e64 s9, s28, v160
	v_cmp_gt_i32_e64 s10, s28, v161
	v_lshlrev_b32_e32 v160, 2, v151
	v_cndmask_b32_e64 v143, 0xff7fffff, v143, s8
	v_or_b32_e32 v164, 24, v152
	v_or_b32_e32 v165, 26, v152
	v_mul_f32_e32 v173, s34, v131
	v_cndmask_b32_e64 v146, 0xff7fffff, v175, s9
	v_cndmask_b32_e64 v147, 0xff7fffff, v174, s10
	v_max3_f32 v143, v145, v144, v143
	v_cmp_gt_i32_e64 s11, s28, v162
	v_cmp_gt_i32_e64 s12, s28, v163
	v_or_b32_e32 v166, 28, v152
	v_or_b32_e32 v167, 30, v152
	v_dual_mul_f32 v170, s34, v134 :: v_dual_mul_f32 v171, s34, v133
	v_cndmask_b32_e64 v144, 0xff7fffff, v173, s11
	v_cndmask_b32_e64 v145, 0xff7fffff, v172, s12
	v_max3_f32 v143, v143, v146, v147
	v_cmp_gt_i32_e64 s13, s28, v164
	v_cmp_gt_i32_e64 s15, s28, v165
	v_dual_mul_f32 v168, s34, v136 :: v_dual_mul_f32 v169, s34, v135
	s_delay_alu instid0(VALU_DEP_4) | instskip(NEXT) | instid1(VALU_DEP_4)
	v_max3_f32 v143, v143, v144, v145
	v_cndmask_b32_e64 v146, 0xff7fffff, v171, s13
	s_delay_alu instid0(VALU_DEP_4) | instskip(SKIP_2) | instid1(VALU_DEP_3)
	v_cndmask_b32_e64 v147, 0xff7fffff, v170, s15
	v_cmp_gt_i32_e64 s16, s28, v166
	v_cmp_gt_i32_e64 s17, s28, v167
	v_max3_f32 v143, v143, v146, v147
	s_delay_alu instid0(VALU_DEP_3) | instskip(NEXT) | instid1(VALU_DEP_3)
	v_cndmask_b32_e64 v144, 0xff7fffff, v169, s16
	v_cndmask_b32_e64 v145, 0xff7fffff, v168, s17
	s_delay_alu instid0(VALU_DEP_1) | instskip(SKIP_3) | instid1(VALU_DEP_1)
	v_max3_f32 v143, v143, v144, v145
	ds_bpermute_b32 v144, v160, v143
	s_waitcnt lgkmcnt(0)
	v_max_f32_e32 v144, v144, v144
	v_max_f32_e32 v159, v143, v144
	s_delay_alu instid0(VALU_DEP_1) | instskip(SKIP_4) | instid1(VALU_DEP_4)
	v_fma_f32 v145, s34, v193, -v159
	v_fma_f32 v146, s34, v194, -v159
	;; [unrolled: 1-line block ×5, first 2 shown]
	v_dual_mul_f32 v145, 0x3fb8aa3b, v145 :: v_dual_mul_f32 v146, 0x3fb8aa3b, v146
	s_delay_alu instid0(VALU_DEP_4) | instskip(SKIP_1) | instid1(VALU_DEP_4)
	v_mul_f32_e32 v132, 0x3fb8aa3b, v132
	v_fma_f32 v148, s34, v195, -v159
	v_mul_f32_e32 v144, 0x3fb8aa3b, v144
	s_delay_alu instid0(VALU_DEP_4)
	v_exp_f32_e32 v145, v145
	v_exp_f32_e32 v150, v146
	v_fma_f32 v149, s34, v196, -v159
	v_mul_f32_e32 v148, 0x3fb8aa3b, v148
	v_exp_f32_e32 v147, v144
	v_fma_f32 v134, s34, v134, -v159
	v_fma_f32 v151, s34, v197, -v159
	v_mul_f32_e32 v149, 0x3fb8aa3b, v149
	v_exp_f32_e32 v148, v148
	v_fma_f32 v152, s34, v198, -v159
	v_cndmask_b32_e64 v146, 0, v145, s3
	v_cndmask_b32_e64 v145, 0, v150, s4
	v_dual_mul_f32 v143, 0x3fb8aa3b, v143 :: v_dual_mul_f32 v134, 0x3fb8aa3b, v134
	v_mul_f32_e32 v151, 0x3fb8aa3b, v151
	v_exp_f32_e32 v149, v149
	v_fma_f32 v129, s34, v129, -v159
	s_delay_alu instid0(VALU_DEP_3)
	v_exp_f32_e32 v143, v143
	v_mul_f32_e32 v150, 0x3fb8aa3b, v152
	v_exp_f32_e32 v151, v151
	v_cndmask_b32_e64 v148, 0, v148, s5
	v_fma_f32 v130, s34, v130, -v159
	v_mul_f32_e32 v129, 0x3fb8aa3b, v129
	v_exp_f32_e32 v153, v150
	v_fma_f32 v131, s34, v131, -v159
	v_fma_f32 v133, s34, v133, -v159
	v_mul_f32_e32 v130, 0x3fb8aa3b, v130
	v_cndmask_b32_e32 v144, 0, v143, vcc_lo
	v_cndmask_b32_e64 v143, 0, v147, s2
	v_exp_f32_e32 v129, v129
	v_cndmask_b32_e64 v150, 0, v151, s7
	v_mul_f32_e32 v131, 0x3fb8aa3b, v131
	v_add_f32_e32 v147, 0, v144
	v_exp_f32_e32 v130, v130
	v_mul_f32_e32 v133, 0x3fb8aa3b, v133
	v_exp_f32_e32 v132, v132
	v_exp_f32_e32 v131, v131
	v_add_f32_e32 v147, v147, v143
	s_mov_b32 s2, exec_lo
	v_exp_f32_e32 v133, v133
	s_delay_alu instid0(VALU_DEP_1)
	v_add_f32_e32 v147, v147, v146
	s_waitcnt_depctr 0xfff
	v_cndmask_b32_e64 v154, 0, v131, s11
	v_add_f32_e32 v152, v147, v145
	v_cndmask_b32_e64 v147, 0, v149, s6
	v_exp_f32_e32 v131, v134
	v_cndmask_b32_e64 v156, 0, v133, s13
	s_delay_alu instid0(VALU_DEP_3) | instskip(SKIP_1) | instid1(VALU_DEP_2)
	v_add_f32_e32 v149, v152, v148
	v_cndmask_b32_e64 v152, 0, v129, s9
	v_add_f32_e32 v151, v149, v147
	v_cndmask_b32_e64 v149, 0, v153, s8
	v_cndmask_b32_e64 v153, 0, v132, s12
	v_fma_f32 v132, s34, v136, -v159
	s_delay_alu instid0(TRANS32_DEP_1) | instskip(NEXT) | instid1(VALU_DEP_2)
	v_cndmask_b32_e64 v155, 0, v131, s15
	v_dual_add_f32 v151, v151, v150 :: v_dual_mul_f32 v132, 0x3fb8aa3b, v132
	s_delay_alu instid0(VALU_DEP_1) | instskip(SKIP_2) | instid1(VALU_DEP_4)
	v_add_f32_e32 v129, v151, v149
	v_cndmask_b32_e64 v151, 0, v130, s10
	v_fma_f32 v130, s34, v135, -v159
	v_exp_f32_e32 v131, v132
	s_delay_alu instid0(VALU_DEP_1) | instskip(NEXT) | instid1(VALU_DEP_1)
	v_dual_add_f32 v129, v129, v152 :: v_dual_mul_f32 v130, 0x3fb8aa3b, v130
	v_add_f32_e32 v129, v129, v151
	s_delay_alu instid0(VALU_DEP_2) | instskip(SKIP_3) | instid1(VALU_DEP_1)
	v_exp_f32_e32 v130, v130
	s_waitcnt_depctr 0xfff
	v_cndmask_b32_e64 v157, 0, v131, s17
	v_add_f32_e32 v129, v129, v154
	v_add_f32_e32 v129, v129, v153
	v_cndmask_b32_e64 v158, 0, v130, s16
	s_delay_alu instid0(VALU_DEP_2) | instskip(NEXT) | instid1(VALU_DEP_1)
	v_add_f32_e32 v129, v129, v156
	v_add_f32_e32 v129, v129, v155
	s_delay_alu instid0(VALU_DEP_1) | instskip(NEXT) | instid1(VALU_DEP_1)
	v_add_f32_e32 v129, v129, v158
	v_add_f32_e32 v129, v129, v157
	ds_bpermute_b32 v130, v160, v129
	v_cmpx_gt_u32_e32 16, v142
	s_cbranch_execz .LBB221_12
; %bb.11:
	v_mul_u32_u24_e32 v131, 0x44, v140
	s_delay_alu instid0(VALU_DEP_1) | instskip(SKIP_1) | instid1(VALU_DEP_1)
	v_lshl_add_u32 v131, v141, 2, v131
	s_waitcnt lgkmcnt(0)
	v_dual_add_f32 v129, v129, v130 :: v_dual_add_nc_u32 v130, 0x4000, v131
	ds_store_2addr_b32 v130, v159, v129 offset1:136
.LBB221_12:
	s_or_b32 exec_lo, exec_lo, s2
	v_lshlrev_b32_e32 v129, 2, v141
	s_load_b32 s34, s[0:1], 0x94
	s_waitcnt lgkmcnt(0)
	s_barrier
	buffer_gl0_inv
	v_add_nc_u32_e32 v135, 0x4000, v129
	v_cmp_eq_u32_e32 vcc_lo, 1, v140
	v_cmp_eq_u32_e64 s2, 2, v140
	v_cmp_eq_u32_e64 s3, 3, v140
	;; [unrolled: 1-line block ×3, first 2 shown]
	ds_load_2addr_b32 v[129:130], v135 offset1:17
	ds_load_2addr_b32 v[131:132], v135 offset0:34 offset1:51
	ds_load_2addr_b32 v[133:134], v135 offset0:68 offset1:85
	;; [unrolled: 1-line block ×3, first 2 shown]
	v_cmp_eq_u32_e64 s5, 5, v140
	v_cmp_eq_u32_e64 s6, 7, v140
	s_waitcnt lgkmcnt(3)
	v_max3_f32 v136, v129, 0xff7fffff, v130
	s_waitcnt lgkmcnt(2)
	s_delay_alu instid0(VALU_DEP_1) | instskip(SKIP_1) | instid1(VALU_DEP_1)
	v_max3_f32 v136, v136, v131, v132
	s_waitcnt lgkmcnt(1)
	v_max3_f32 v136, v136, v133, v134
	s_waitcnt lgkmcnt(0)
	s_delay_alu instid0(VALU_DEP_1) | instskip(NEXT) | instid1(VALU_DEP_1)
	v_max3_f32 v136, v136, v159, v160
	v_sub_f32_e32 v164, v132, v136
	ds_load_2addr_b32 v[161:162], v135 offset0:136 offset1:153
	v_sub_f32_e32 v142, v130, v136
	v_sub_f32_e32 v129, v129, v136
	v_mul_f32_e32 v164, 0x3fb8aa3b, v164
	s_delay_alu instid0(VALU_DEP_2)
	v_dual_mul_f32 v142, 0x3fb8aa3b, v142 :: v_dual_mul_f32 v163, 0x3fb8aa3b, v129
	ds_load_2addr_b32 v[129:130], v135 offset0:170 offset1:187
	v_exp_f32_e32 v164, v164
	v_exp_f32_e32 v166, v142
	;; [unrolled: 1-line block ×3, first 2 shown]
	s_waitcnt lgkmcnt(1)
	s_waitcnt_depctr 0xfff
	v_fma_f32 v142, v163, v161, 0
	s_delay_alu instid0(VALU_DEP_1) | instskip(NEXT) | instid1(VALU_DEP_1)
	v_dual_sub_f32 v131, v131, v136 :: v_dual_fmac_f32 v142, v166, v162
	v_mul_f32_e32 v165, 0x3fb8aa3b, v131
	ds_load_2addr_b32 v[131:132], v135 offset0:204 offset1:221
	v_exp_f32_e32 v165, v165
	s_waitcnt lgkmcnt(1)
	s_waitcnt_depctr 0xfff
	v_dual_sub_f32 v161, v134, v136 :: v_dual_fmac_f32 v142, v165, v129
	v_sub_f32_e32 v129, v160, v136
	s_delay_alu instid0(VALU_DEP_1) | instskip(SKIP_1) | instid1(VALU_DEP_2)
	v_dual_fmac_f32 v142, v164, v130 :: v_dual_mul_f32 v129, 0x3fb8aa3b, v129
	v_cndmask_b32_e32 v130, v163, v166, vcc_lo
	v_exp_f32_e32 v162, v129
	v_sub_f32_e32 v133, v133, v136
	s_delay_alu instid0(VALU_DEP_1)
	v_mul_f32_e32 v167, 0x3fb8aa3b, v133
	ds_load_2addr_b32 v[133:134], v135 offset0:238 offset1:255
	v_sub_f32_e32 v135, v159, v136
	v_mul_f32_e32 v159, 0x3fb8aa3b, v161
	s_waitcnt lgkmcnt(0)
	v_exp_f32_e32 v161, v167
	s_barrier
	buffer_gl0_inv
	v_exp_f32_e32 v159, v159
	v_fmac_f32_e32 v142, v161, v131
	s_waitcnt_depctr 0xfff
	v_dual_mul_f32 v135, 0x3fb8aa3b, v135 :: v_dual_fmac_f32 v142, v159, v132
	s_delay_alu instid0(VALU_DEP_1) | instskip(SKIP_2) | instid1(VALU_DEP_1)
	v_exp_f32_e32 v160, v135
	s_waitcnt_depctr 0xfff
	v_fmac_f32_e32 v142, v160, v133
	v_dual_fmac_f32 v142, v162, v134 :: v_dual_lshlrev_b32 v133, 6, v141
	s_delay_alu instid0(VALU_DEP_1) | instskip(NEXT) | instid1(VALU_DEP_2)
	v_lshl_or_b32 v135, v140, 11, v133
	v_add_f32_e32 v134, 0x358637bd, v142
	s_delay_alu instid0(VALU_DEP_1) | instskip(SKIP_1) | instid1(VALU_DEP_2)
	v_div_scale_f32 v167, null, v134, v134, 1.0
	v_div_scale_f32 v163, vcc_lo, 1.0, v134, 1.0
	v_rcp_f32_e32 v168, v167
	s_waitcnt_depctr 0xfff
	v_fma_f32 v129, -v167, v168, 1.0
	s_delay_alu instid0(VALU_DEP_1) | instskip(SKIP_2) | instid1(VALU_DEP_2)
	v_fmac_f32_e32 v168, v129, v168
	v_cndmask_b32_e64 v129, v130, v165, s2
	v_cmp_eq_u32_e64 s2, 6, v140
	v_cndmask_b32_e64 v130, v129, v164, s3
	v_lshlrev_b32_e32 v129, 2, v138
	s_delay_alu instid0(VALU_DEP_2) | instskip(NEXT) | instid1(VALU_DEP_2)
	v_cndmask_b32_e64 v141, v130, v161, s4
	v_or_b32_e32 v130, 1, v129
	v_or_b32_e32 v132, 2, v129
	v_cmp_eq_u32_e64 s3, 1, v129
	v_cmp_eq_u32_e64 s4, 2, v129
	v_cndmask_b32_e64 v140, v141, v159, s5
	v_cmp_eq_u32_e64 s8, 1, v130
	v_cmp_eq_u32_e64 s9, 1, v132
	;; [unrolled: 1-line block ×4, first 2 shown]
	v_cndmask_b32_e64 v140, v140, v160, s2
	v_cmp_eq_u32_e64 s12, 3, v130
	v_cmp_eq_u32_e64 s16, 3, v132
	;; [unrolled: 1-line block ×4, first 2 shown]
	v_cndmask_b32_e64 v140, v140, v162, s6
	v_mul_f32_e32 v165, v163, v168
	v_cmp_eq_u32_e64 s5, 5, v129
	v_cmp_eq_u32_e64 s19, 5, v130
	;; [unrolled: 1-line block ×4, first 2 shown]
	v_fma_f32 v131, -v167, v165, v163
	v_cmp_eq_u32_e64 s24, 6, v130
	v_cmp_eq_u32_e64 s6, 6, v129
	;; [unrolled: 1-line block ×4, first 2 shown]
	v_fmac_f32_e32 v165, v131, v168
	v_or_b32_e32 v131, 3, v129
	v_cmp_eq_u32_e64 s7, 7, v129
	v_cmp_eq_u32_e64 s27, 7, v132
	s_delay_alu instid0(VALU_DEP_4) | instskip(NEXT) | instid1(VALU_DEP_4)
	v_fma_f32 v141, -v167, v165, v163
	v_cmp_eq_u32_e64 s10, 1, v131
	v_cmp_eq_u32_e64 s15, 2, v131
	;; [unrolled: 1-line block ×4, first 2 shown]
	v_div_fmas_f32 v141, v141, v168, v165
	v_cmp_eq_u32_e32 vcc_lo, 3, v129
	v_cmp_eq_u32_e64 s23, 5, v131
	v_cmp_eq_u32_e64 s26, 6, v131
	;; [unrolled: 1-line block ×3, first 2 shown]
	v_div_fixup_f32 v141, v141, v134, 1.0
	v_lshl_or_b32 v134, v138, 4, v135
	s_delay_alu instid0(VALU_DEP_2) | instskip(NEXT) | instid1(VALU_DEP_1)
	v_mul_f32_e32 v140, v140, v141
	v_fma_mixlo_f16 v159, v140, v144, 0
	v_fma_mixlo_f16 v160, v140, v146, 0
	;; [unrolled: 1-line block ×8, first 2 shown]
	v_fma_mixhi_f16 v159, v140, v143, 0
	v_fma_mixhi_f16 v160, v140, v145, 0
	;; [unrolled: 1-line block ×8, first 2 shown]
	ds_store_b128 v134, v[159:162]
	ds_store_b128 v134, v[163:166] offset:1024
	s_waitcnt lgkmcnt(0)
	s_barrier
	buffer_gl0_inv
	ds_load_b128 v[143:146], v135
	ds_load_b128 v[147:150], v135 offset:16
	ds_load_b128 v[151:154], v135 offset:1024
	;; [unrolled: 1-line block ×3, first 2 shown]
	s_waitcnt lgkmcnt(3)
	v_lshrrev_b32_e32 v140, 16, v143
	s_waitcnt lgkmcnt(2)
	v_lshrrev_b32_e32 v161, 16, v147
	;; [unrolled: 2-line block ×4, first 2 shown]
	v_lshrrev_b32_e32 v141, 16, v144
	v_cndmask_b32_e64 v173, v143, v140, s3
	v_cndmask_b32_e64 v174, v147, v161, s3
	;; [unrolled: 1-line block ×7, first 2 shown]
	v_lshrrev_b32_e32 v162, 16, v148
	v_cndmask_b32_e64 v178, v147, v161, s9
	v_cndmask_b32_e64 v147, v151, v165, s3
	;; [unrolled: 1-line block ×16, first 2 shown]
	v_lshrrev_b32_e32 v166, 16, v152
	v_cndmask_b32_e64 v176, v178, v148, s13
	v_cndmask_b32_e64 v144, v147, v152, s4
	;; [unrolled: 1-line block ×7, first 2 shown]
	v_cndmask_b32_e32 v155, v165, v141, vcc_lo
	v_cndmask_b32_e32 v165, v169, v162, vcc_lo
	v_cndmask_b32_e64 v169, v173, v141, s12
	v_cndmask_b32_e64 v173, v174, v162, s12
	v_cndmask_b32_e64 v174, v175, v141, s16
	v_cndmask_b32_e64 v140, v140, v141, s17
	v_cndmask_b32_e64 v141, v143, v162, s17
	v_lshrrev_b32_e32 v159, 16, v145
	v_lshrrev_b32_e32 v163, 16, v149
	;; [unrolled: 1-line block ×3, first 2 shown]
	v_cndmask_b32_e64 v140, v140, v145, s21
	v_cndmask_b32_e64 v141, v141, v149, s21
	;; [unrolled: 1-line block ×3, first 2 shown]
	v_cndmask_b32_e32 v143, v144, v166, vcc_lo
	v_cndmask_b32_e32 v144, v147, v170, vcc_lo
	v_cndmask_b32_e64 v147, v148, v166, s12
	v_cndmask_b32_e64 v148, v155, v145, s2
	v_cndmask_b32_e64 v155, v165, v149, s2
	v_cndmask_b32_e64 v162, v169, v145, s18
	v_cndmask_b32_e64 v165, v173, v149, s18
	v_cndmask_b32_e64 v140, v140, v159, s23
	v_cndmask_b32_e64 v141, v141, v163, s23
	v_lshrrev_b32_e32 v160, 16, v146
	v_lshrrev_b32_e32 v164, 16, v150
	;; [unrolled: 1-line block ×4, first 2 shown]
	v_cndmask_b32_e64 v169, v174, v145, s20
	v_cndmask_b32_e64 v173, v175, v149, s20
	;; [unrolled: 1-line block ×20, first 2 shown]
	v_lshrrev_b32_e32 v168, 16, v154
	v_cndmask_b32_e64 v147, v147, v146, s6
	v_cndmask_b32_e64 v148, v148, v150, s6
	;; [unrolled: 1-line block ×9, first 2 shown]
	v_perm_b32 v146, v141, v140, 0x5040100
	v_cndmask_b32_e64 v140, v182, v156, s13
	v_cndmask_b32_e64 v141, v180, v156, s11
	;; [unrolled: 1-line block ×7, first 2 shown]
	v_perm_b32 v144, v155, v149, 0x5040100
	v_cndmask_b32_e64 v143, v161, v166, s16
	v_cndmask_b32_e64 v149, v151, v166, s17
	;; [unrolled: 1-line block ×15, first 2 shown]
	v_lshrrev_b32_e32 v172, 16, v158
	v_cndmask_b32_e64 v143, v143, v154, s25
	v_cndmask_b32_e64 v149, v149, v154, s26
	;; [unrolled: 1-line block ×12, first 2 shown]
	v_perm_b32 v145, v159, v145, 0x5040100
	v_perm_b32 v143, v148, v147, 0x5040100
	;; [unrolled: 1-line block ×6, first 2 shown]
	s_lshl_b32 s6, s33, 2
	s_mov_b32 s2, exec_lo
	ds_store_b128 v134, v[143:146]
	ds_store_b128 v134, v[147:150] offset:1024
	v_cmpx_gt_u32_e32 4, v0
	s_cbranch_execz .LBB221_14
; %bb.13:
	v_or_b32_e32 v140, s31, v0
	s_load_b128 s[8:11], s[0:1], 0x58
	s_delay_alu instid0(VALU_DEP_1) | instskip(NEXT) | instid1(VALU_DEP_1)
	v_mad_u64_u32 v[143:144], null, s6, s30, v[140:141]
	v_mad_u64_u32 v[140:141], null, v143, s34, s[14:15]
	s_delay_alu instid0(VALU_DEP_1) | instskip(NEXT) | instid1(VALU_DEP_1)
	v_ashrrev_i32_e32 v141, 31, v140
	v_lshlrev_b64 v[140:141], 2, v[140:141]
	s_waitcnt lgkmcnt(0)
	s_delay_alu instid0(VALU_DEP_1) | instskip(NEXT) | instid1(VALU_DEP_2)
	v_add_co_u32 v143, vcc_lo, s10, v140
	v_add_co_ci_u32_e32 v144, vcc_lo, s11, v141, vcc_lo
	v_add_co_u32 v140, vcc_lo, s8, v140
	v_add_co_ci_u32_e32 v141, vcc_lo, s9, v141, vcc_lo
	global_store_b32 v[143:144], v136, off
	global_store_b32 v[140:141], v142, off
.LBB221_14:
	s_or_b32 exec_lo, exec_lo, s2
	s_waitcnt lgkmcnt(0)
	s_waitcnt_vscnt null, 0x0
	s_barrier
	buffer_gl0_inv
	ds_load_b128 v[148:151], v133
	ds_load_b128 v[152:155], v133 offset:16
	ds_load_b128 v[160:163], v133 offset:1040
	;; [unrolled: 1-line block ×5, first 2 shown]
	v_cmp_eq_u32_e32 vcc_lo, 1, v132
	v_mov_b32_e32 v140, 0
	ds_load_b128 v[176:179], v133 offset:3088
	ds_load_b128 v[172:175], v133 offset:3072
	ds_load_b128 v[184:187], v133 offset:4112
	ds_load_b128 v[180:183], v133 offset:4096
	v_cmp_eq_u32_e64 s2, 1, v129
	v_cmp_eq_u32_e64 s3, 1, v131
	;; [unrolled: 1-line block ×3, first 2 shown]
	v_mov_b32_e32 v141, v140
	v_mov_b32_e32 v142, v140
	;; [unrolled: 1-line block ×7, first 2 shown]
	v_cmp_eq_u32_e64 s5, 2, v129
	s_waitcnt lgkmcnt(8)
	s_delay_alu instid0(VALU_DEP_2)
	v_wmma_f32_16x16x16_f16 v[140:147], v[121:128], v[148:155], v[140:147]
	ds_load_b128 v[125:128], v133 offset:5136
	ds_load_b128 v[121:124], v133 offset:5120
	s_waitcnt lgkmcnt(8)
	v_wmma_f32_16x16x16_f16 v[140:147], v[113:120], v[156:163], v[140:147]
	ds_load_b128 v[117:120], v133 offset:6160
	ds_load_b128 v[113:116], v133 offset:6144
	s_waitcnt lgkmcnt(8)
	;; [unrolled: 4-line block ×11, first 2 shown]
	s_barrier
	buffer_gl0_inv
	v_wmma_f32_16x16x16_f16 v[140:147], v[1:8], v[73:80], v[140:147]
	s_delay_alu instid0(VALU_DEP_1) | instskip(NEXT) | instid1(VALU_DEP_1)
	v_wmma_f32_16x16x16_f16 v[140:147], v[9:16], v[65:72], v[140:147]
	v_wmma_f32_16x16x16_f16 v[140:147], v[33:40], v[57:64], v[140:147]
	s_delay_alu instid0(VALU_DEP_1) | instskip(NEXT) | instid1(VALU_DEP_1)
	v_wmma_f32_16x16x16_f16 v[140:147], v[41:48], v[49:56], v[140:147]
	v_wmma_f32_16x16x16_f16 v[140:147], v[17:24], v[25:32], v[140:147]
	s_delay_alu instid0(VALU_DEP_1) | instskip(NEXT) | instid1(VALU_DEP_2)
	v_cvt_f16_f32_e64 v1, v140
	v_cvt_f16_f32_e64 v2, v141
	s_delay_alu instid0(VALU_DEP_3) | instskip(NEXT) | instid1(VALU_DEP_4)
	v_cvt_f16_f32_e64 v3, v142
	v_cvt_f16_f32_e64 v4, v143
	;; [unrolled: 1-line block ×6, first 2 shown]
	v_pack_b32_f16 v1, v1, v2
	v_pack_b32_f16 v2, v3, v4
	;; [unrolled: 1-line block ×3, first 2 shown]
	s_delay_alu instid0(VALU_DEP_4)
	v_pack_b32_f16 v4, v7, v8
	ds_store_b128 v134, v[1:4]
	s_waitcnt lgkmcnt(0)
	s_barrier
	buffer_gl0_inv
	ds_load_b128 v[1:4], v135
	ds_load_b128 v[5:8], v135 offset:16
	s_waitcnt lgkmcnt(1)
	v_lshrrev_b32_e32 v9, 16, v1
	s_waitcnt lgkmcnt(0)
	v_lshrrev_b32_e32 v13, 16, v5
	v_lshrrev_b32_e32 v10, 16, v2
	;; [unrolled: 1-line block ×4, first 2 shown]
	v_cndmask_b32_e64 v17, v1, v9, s2
	v_cndmask_b32_e64 v18, v5, v13, s2
	v_cndmask_b32_e64 v19, v1, v9, s4
	v_cmp_eq_u32_e64 s2, 2, v130
	v_cndmask_b32_e64 v20, v5, v13, s4
	v_cndmask_b32_e32 v21, v1, v9, vcc_lo
	v_cndmask_b32_e32 v22, v5, v13, vcc_lo
	v_cndmask_b32_e64 v1, v1, v9, s3
	v_cndmask_b32_e64 v5, v5, v13, s3
	v_cmp_eq_u32_e32 vcc_lo, 2, v132
	v_cmp_eq_u32_e64 s3, 2, v131
	v_cndmask_b32_e64 v9, v17, v2, s5
	v_cndmask_b32_e64 v13, v18, v6, s5
	;; [unrolled: 1-line block ×4, first 2 shown]
	v_cndmask_b32_e32 v19, v21, v2, vcc_lo
	v_cmp_eq_u32_e64 s2, 3, v132
	v_cndmask_b32_e32 v20, v22, v6, vcc_lo
	v_cndmask_b32_e64 v1, v1, v2, s3
	v_cmp_eq_u32_e32 vcc_lo, 3, v131
	v_cmp_eq_u32_e64 s4, 3, v129
	v_cndmask_b32_e64 v2, v5, v6, s3
	v_cmp_eq_u32_e64 s3, 3, v130
	v_cmp_eq_u32_e64 s5, 4, v129
	v_cndmask_b32_e32 v1, v1, v10, vcc_lo
	v_cndmask_b32_e64 v5, v9, v10, s4
	v_cndmask_b32_e64 v6, v13, v14, s4
	;; [unrolled: 1-line block ×3, first 2 shown]
	v_cmp_eq_u32_e64 s4, 4, v130
	v_cndmask_b32_e64 v13, v18, v14, s3
	v_cndmask_b32_e64 v17, v19, v10, s2
	;; [unrolled: 1-line block ×3, first 2 shown]
	v_cndmask_b32_e32 v2, v2, v14, vcc_lo
	v_cmp_eq_u32_e32 vcc_lo, 4, v132
	v_cmp_eq_u32_e64 s3, 4, v131
	v_lshrrev_b32_e32 v15, 16, v7
	v_cndmask_b32_e64 v5, v5, v3, s5
	v_cndmask_b32_e64 v6, v6, v7, s5
	v_cndmask_b32_e32 v14, v18, v7, vcc_lo
	v_cndmask_b32_e64 v9, v9, v3, s4
	v_cndmask_b32_e64 v10, v13, v7, s4
	v_cndmask_b32_e32 v13, v17, v3, vcc_lo
	v_cmp_eq_u32_e64 s2, 5, v132
	v_cndmask_b32_e64 v1, v1, v3, s3
	v_cmp_eq_u32_e32 vcc_lo, 5, v131
	v_cmp_eq_u32_e64 s4, 5, v129
	v_cndmask_b32_e64 v2, v2, v7, s3
	v_cmp_eq_u32_e64 s3, 5, v130
	v_cmp_eq_u32_e64 s5, 6, v129
	v_lshrrev_b32_e32 v12, 16, v4
	v_cndmask_b32_e64 v3, v5, v11, s4
	v_cndmask_b32_e64 v5, v6, v15, s4
	;; [unrolled: 1-line block ×3, first 2 shown]
	v_cmp_eq_u32_e64 s4, 6, v130
	v_cndmask_b32_e64 v7, v10, v15, s3
	v_cndmask_b32_e64 v9, v13, v11, s2
	;; [unrolled: 1-line block ×3, first 2 shown]
	v_cndmask_b32_e32 v1, v1, v11, vcc_lo
	v_cndmask_b32_e32 v2, v2, v15, vcc_lo
	v_cmp_eq_u32_e32 vcc_lo, 6, v132
	v_cmp_eq_u32_e64 s2, 6, v131
	v_lshrrev_b32_e32 v16, 16, v8
	v_cndmask_b32_e64 v3, v3, v4, s5
	v_cndmask_b32_e64 v5, v5, v8, s5
	v_cndmask_b32_e32 v9, v9, v4, vcc_lo
	v_cndmask_b32_e64 v6, v6, v4, s4
	v_cndmask_b32_e64 v7, v7, v8, s4
	v_cmp_eq_u32_e64 s3, 7, v132
	v_cndmask_b32_e32 v10, v10, v8, vcc_lo
	v_cndmask_b32_e64 v1, v1, v4, s2
	v_cmp_eq_u32_e32 vcc_lo, 7, v131
	v_cndmask_b32_e64 v2, v2, v8, s2
	v_cmp_eq_u32_e64 s2, 7, v129
	v_cmp_eq_u32_e64 s4, 7, v130
	v_cndmask_b32_e32 v1, v1, v12, vcc_lo
	s_delay_alu instid0(VALU_DEP_4) | instskip(NEXT) | instid1(VALU_DEP_4)
	v_cndmask_b32_e32 v2, v2, v16, vcc_lo
	v_cndmask_b32_e64 v8, v3, v12, s2
	s_delay_alu instid0(VALU_DEP_4)
	v_cndmask_b32_e64 v6, v6, v12, s4
	v_cndmask_b32_e64 v3, v9, v12, s3
	;; [unrolled: 1-line block ×5, first 2 shown]
	v_perm_b32 v4, v2, v1, 0x5040100
	s_mov_b32 s2, exec_lo
	v_perm_b32 v3, v9, v3, 0x5040100
	v_perm_b32 v2, v7, v6, 0x5040100
	;; [unrolled: 1-line block ×3, first 2 shown]
	ds_store_b128 v134, v[1:4]
	s_waitcnt lgkmcnt(0)
	s_barrier
	buffer_gl0_inv
	v_cmpx_gt_u32_e32 32, v0
	s_cbranch_execz .LBB221_2
; %bb.15:
	s_load_b64 s[0:1], s[0:1], 0x68
	v_lshlrev_b32_e32 v0, 10, v0
	v_or_b32_e32 v1, s31, v138
	s_lshl_b32 s4, s34, 7
	v_lshlrev_b32_e32 v2, 4, v139
	s_mul_i32 s2, s4, s30
	v_lshlrev_b32_e32 v3, 6, v138
	v_mul_lo_u32 v8, v1, s4
	v_and_b32_e32 v0, 0x3800, v0
	v_or_b32_e32 v1, 2, v1
	s_mul_i32 s2, s2, s6
	s_delay_alu instid0(SALU_CYCLE_1) | instskip(NEXT) | instid1(VALU_DEP_2)
	s_ashr_i32 s3, s2, 31
	v_or3_b32 v4, v0, v2, v3
	s_lshl_b64 s[2:3], s[2:3], 1
	v_mul_lo_u32 v10, v1, s4
	v_ashrrev_i32_e32 v9, 31, v8
	ds_load_b128 v[0:3], v4
	ds_load_b128 v[4:7], v4 offset:128
	s_waitcnt lgkmcnt(0)
	s_add_u32 s2, s0, s2
	s_addc_u32 s3, s1, s3
	s_lshl_b32 s0, s14, 7
	v_ashrrev_i32_e32 v11, 31, v10
	s_ashr_i32 s1, s0, 31
	v_lshlrev_b64 v[8:9], 1, v[8:9]
	s_lshl_b64 s[0:1], s[0:1], 1
	s_delay_alu instid0(SALU_CYCLE_1) | instskip(SKIP_2) | instid1(VALU_DEP_1)
	s_add_u32 s0, s2, s0
	s_addc_u32 s1, s3, s1
	v_add_co_u32 v12, s0, s0, v137
	v_add_co_ci_u32_e64 v13, null, s1, 0, s0
	v_lshlrev_b64 v[10:11], 1, v[10:11]
	s_delay_alu instid0(VALU_DEP_3) | instskip(NEXT) | instid1(VALU_DEP_3)
	v_add_co_u32 v8, vcc_lo, v12, v8
	v_add_co_ci_u32_e32 v9, vcc_lo, v13, v9, vcc_lo
	s_delay_alu instid0(VALU_DEP_3) | instskip(NEXT) | instid1(VALU_DEP_4)
	v_add_co_u32 v10, vcc_lo, v12, v10
	v_add_co_ci_u32_e32 v11, vcc_lo, v13, v11, vcc_lo
	s_clause 0x1
	global_store_b128 v[8:9], v[0:3], off
	global_store_b128 v[10:11], v[4:7], off
	s_nop 0
	s_sendmsg sendmsg(MSG_DEALLOC_VGPRS)
	s_endpgm
	.section	.rodata,"a",@progbits
	.p2align	6, 0x0
	.amdhsa_kernel _Z39paged_attention_ll4mi_QKV_mfma16_kernelIDF16_DF16_LN4vllm18Fp8KVCacheDataTypeE0EhLi16ELi128ELi256ELb1ELi4EL8MFMAType0EEvPKT_PKT0_S8_ifPKiSA_SA_iPKfiiiPfSD_PS3_PT2_iSC_SC_
		.amdhsa_group_segment_fixed_size 17472
		.amdhsa_private_segment_fixed_size 0
		.amdhsa_kernarg_size 400
		.amdhsa_user_sgpr_count 13
		.amdhsa_user_sgpr_dispatch_ptr 0
		.amdhsa_user_sgpr_queue_ptr 0
		.amdhsa_user_sgpr_kernarg_segment_ptr 1
		.amdhsa_user_sgpr_dispatch_id 0
		.amdhsa_user_sgpr_private_segment_size 0
		.amdhsa_wavefront_size32 1
		.amdhsa_uses_dynamic_stack 0
		.amdhsa_enable_private_segment 0
		.amdhsa_system_sgpr_workgroup_id_x 1
		.amdhsa_system_sgpr_workgroup_id_y 1
		.amdhsa_system_sgpr_workgroup_id_z 1
		.amdhsa_system_sgpr_workgroup_info 0
		.amdhsa_system_vgpr_workitem_id 0
		.amdhsa_next_free_vgpr 218
		.amdhsa_next_free_sgpr 52
		.amdhsa_reserve_vcc 1
		.amdhsa_float_round_mode_32 0
		.amdhsa_float_round_mode_16_64 0
		.amdhsa_float_denorm_mode_32 3
		.amdhsa_float_denorm_mode_16_64 3
		.amdhsa_dx10_clamp 1
		.amdhsa_ieee_mode 1
		.amdhsa_fp16_overflow 0
		.amdhsa_workgroup_processor_mode 1
		.amdhsa_memory_ordered 1
		.amdhsa_forward_progress 0
		.amdhsa_shared_vgpr_count 0
		.amdhsa_exception_fp_ieee_invalid_op 0
		.amdhsa_exception_fp_denorm_src 0
		.amdhsa_exception_fp_ieee_div_zero 0
		.amdhsa_exception_fp_ieee_overflow 0
		.amdhsa_exception_fp_ieee_underflow 0
		.amdhsa_exception_fp_ieee_inexact 0
		.amdhsa_exception_int_div_zero 0
	.end_amdhsa_kernel
	.section	.text._Z39paged_attention_ll4mi_QKV_mfma16_kernelIDF16_DF16_LN4vllm18Fp8KVCacheDataTypeE0EhLi16ELi128ELi256ELb1ELi4EL8MFMAType0EEvPKT_PKT0_S8_ifPKiSA_SA_iPKfiiiPfSD_PS3_PT2_iSC_SC_,"axG",@progbits,_Z39paged_attention_ll4mi_QKV_mfma16_kernelIDF16_DF16_LN4vllm18Fp8KVCacheDataTypeE0EhLi16ELi128ELi256ELb1ELi4EL8MFMAType0EEvPKT_PKT0_S8_ifPKiSA_SA_iPKfiiiPfSD_PS3_PT2_iSC_SC_,comdat
.Lfunc_end221:
	.size	_Z39paged_attention_ll4mi_QKV_mfma16_kernelIDF16_DF16_LN4vllm18Fp8KVCacheDataTypeE0EhLi16ELi128ELi256ELb1ELi4EL8MFMAType0EEvPKT_PKT0_S8_ifPKiSA_SA_iPKfiiiPfSD_PS3_PT2_iSC_SC_, .Lfunc_end221-_Z39paged_attention_ll4mi_QKV_mfma16_kernelIDF16_DF16_LN4vllm18Fp8KVCacheDataTypeE0EhLi16ELi128ELi256ELb1ELi4EL8MFMAType0EEvPKT_PKT0_S8_ifPKiSA_SA_iPKfiiiPfSD_PS3_PT2_iSC_SC_
                                        ; -- End function
	.section	.AMDGPU.csdata,"",@progbits
; Kernel info:
; codeLenInByte = 7968
; NumSgprs: 54
; NumVgprs: 218
; ScratchSize: 0
; MemoryBound: 0
; FloatMode: 240
; IeeeMode: 1
; LDSByteSize: 17472 bytes/workgroup (compile time only)
; SGPRBlocks: 6
; VGPRBlocks: 27
; NumSGPRsForWavesPerEU: 54
; NumVGPRsForWavesPerEU: 218
; Occupancy: 6
; WaveLimiterHint : 1
; COMPUTE_PGM_RSRC2:SCRATCH_EN: 0
; COMPUTE_PGM_RSRC2:USER_SGPR: 13
; COMPUTE_PGM_RSRC2:TRAP_HANDLER: 0
; COMPUTE_PGM_RSRC2:TGID_X_EN: 1
; COMPUTE_PGM_RSRC2:TGID_Y_EN: 1
; COMPUTE_PGM_RSRC2:TGID_Z_EN: 1
; COMPUTE_PGM_RSRC2:TIDIG_COMP_CNT: 0
	.section	.text._Z35paged_attention_ll4mi_reduce_kernelIDF16_hLi128ELi128ELi256ELi9EEvPT0_PKfS3_PKT_PKiS8_iS3_,"axG",@progbits,_Z35paged_attention_ll4mi_reduce_kernelIDF16_hLi128ELi128ELi256ELi9EEvPT0_PKfS3_PKT_PKiS8_iS3_,comdat
	.protected	_Z35paged_attention_ll4mi_reduce_kernelIDF16_hLi128ELi128ELi256ELi9EEvPT0_PKfS3_PKT_PKiS8_iS3_ ; -- Begin function _Z35paged_attention_ll4mi_reduce_kernelIDF16_hLi128ELi128ELi256ELi9EEvPT0_PKfS3_PKT_PKiS8_iS3_
	.globl	_Z35paged_attention_ll4mi_reduce_kernelIDF16_hLi128ELi128ELi256ELi9EEvPT0_PKfS3_PKT_PKiS8_iS3_
	.p2align	8
	.type	_Z35paged_attention_ll4mi_reduce_kernelIDF16_hLi128ELi128ELi256ELi9EEvPT0_PKfS3_PKT_PKiS8_iS3_,@function
_Z35paged_attention_ll4mi_reduce_kernelIDF16_hLi128ELi128ELi256ELi9EEvPT0_PKfS3_PKT_PKiS8_iS3_: ; @_Z35paged_attention_ll4mi_reduce_kernelIDF16_hLi128ELi128ELi256ELi9EEvPT0_PKfS3_PKT_PKiS8_iS3_
; %bb.0:
	s_load_b64 s[12:13], s[0:1], 0x28
	s_mov_b32 s2, s15
	s_waitcnt lgkmcnt(0)
	s_cmp_lg_u64 s[12:13], 0
	s_cselect_b32 s15, -1, 0
	s_delay_alu instid0(SALU_CYCLE_1)
	s_and_b32 vcc_lo, exec_lo, s15
	s_cbranch_vccz .LBB222_20
; %bb.1:
	s_add_i32 s4, s2, 1
	s_mov_b32 s5, 0
	s_delay_alu instid0(SALU_CYCLE_1) | instskip(SKIP_4) | instid1(SALU_CYCLE_1)
	s_lshl_b64 s[6:7], s[4:5], 2
	s_mov_b32 s3, s5
	s_add_u32 s6, s12, s6
	s_addc_u32 s7, s13, s7
	s_lshl_b64 s[8:9], s[2:3], 2
	s_add_u32 s8, s12, s8
	s_addc_u32 s9, s13, s9
	s_clause 0x1
	s_load_b32 s4, s[6:7], 0x0
	s_load_b32 s6, s[8:9], 0x0
	s_waitcnt lgkmcnt(0)
	s_sub_i32 s4, s4, s6
	s_delay_alu instid0(SALU_CYCLE_1)
	s_cmp_eq_u32 s4, 1
	s_cselect_b32 s4, -1, 0
	s_cbranch_execnz .LBB222_3
.LBB222_2:
	s_mov_b32 s3, 0
	s_mov_b32 s4, -1
.LBB222_3:
	s_delay_alu instid0(SALU_CYCLE_1)
	s_and_not1_b32 vcc_lo, exec_lo, s4
	s_cbranch_vccz .LBB222_5
; %bb.4:
	s_endpgm
.LBB222_5:
	s_clause 0x1
	s_load_b128 s[4:7], s[0:1], 0x18
	s_load_b32 s9, s[0:1], 0x30
	s_lshl_b64 s[16:17], s[2:3], 2
	s_waitcnt lgkmcnt(0)
	s_add_u32 s6, s6, s16
	s_addc_u32 s7, s7, s17
	s_load_b32 s23, s[6:7], 0x0
	s_load_b32 s33, s[0:1], 0x40
	s_mul_i32 s7, s2, s9
	s_waitcnt lgkmcnt(0)
	s_add_i32 s22, s23, 0xff
	s_delay_alu instid0(SALU_CYCLE_1) | instskip(NEXT) | instid1(SALU_CYCLE_1)
	s_ashr_i32 s6, s22, 31
	s_lshr_b32 s6, s6, 24
	s_delay_alu instid0(SALU_CYCLE_1) | instskip(SKIP_4) | instid1(SALU_CYCLE_1)
	s_add_i32 s8, s22, s6
	s_mul_i32 s6, s14, s9
	s_mov_b32 s9, exec_lo
	v_cmpx_lt_u32_e32 31, v0
	s_xor_b32 s9, exec_lo, s9
	s_or_saveexec_b32 s24, s9
	v_mov_b32_e32 v1, s6
	s_ashr_i32 s40, s8, 8
	s_mul_i32 s18, s7, s33
	s_xor_b32 exec_lo, exec_lo, s24
	s_cbranch_execz .LBB222_9
; %bb.6:
	v_or_b32_e32 v2, 32, v0
	v_cmp_gt_i32_e32 vcc_lo, s40, v0
	s_add_i32 s20, s40, -1
	v_or_b32_e32 v4, 64, v0
	v_or_b32_e32 v6, 0x60, v0
	s_load_b128 s[8:11], s[0:1], 0x8
	v_cndmask_b32_e32 v1, s20, v0, vcc_lo
	v_cmp_gt_i32_e32 vcc_lo, s40, v2
	s_mov_b32 s19, 0
	s_delay_alu instid0(SALU_CYCLE_1)
	s_mov_b32 s7, s19
	v_cndmask_b32_e32 v3, s20, v2, vcc_lo
	v_cmp_gt_i32_e32 vcc_lo, s40, v4
	v_or_b32_e32 v2, 0x80, v0
	v_cndmask_b32_e32 v5, s20, v4, vcc_lo
	v_cmp_gt_i32_e32 vcc_lo, s40, v6
	v_or_b32_e32 v4, 0xa0, v0
	;; [unrolled: 3-line block ×3, first 2 shown]
	s_delay_alu instid0(VALU_DEP_3) | instskip(SKIP_3) | instid1(VALU_DEP_4)
	v_ashrrev_i32_e32 v8, 31, v7
	v_cndmask_b32_e32 v9, s20, v2, vcc_lo
	v_or_b32_e32 v2, 0xc0, v0
	v_cmp_gt_i32_e32 vcc_lo, s40, v4
	v_lshlrev_b64 v[7:8], 2, v[7:8]
	s_delay_alu instid0(VALU_DEP_4) | instskip(SKIP_3) | instid1(VALU_DEP_4)
	v_ashrrev_i32_e32 v10, 31, v9
	v_cndmask_b32_e32 v11, s20, v4, vcc_lo
	v_cmp_gt_i32_e32 vcc_lo, s40, v2
	v_or_b32_e32 v4, 0x100, v0
	v_lshlrev_b64 v[9:10], 2, v[9:10]
	s_delay_alu instid0(VALU_DEP_4) | instskip(SKIP_3) | instid1(VALU_DEP_4)
	v_ashrrev_i32_e32 v12, 31, v11
	v_cndmask_b32_e32 v13, s20, v2, vcc_lo
	v_cmp_gt_i32_e32 vcc_lo, s40, v6
	v_ashrrev_i32_e32 v2, 31, v1
	v_lshlrev_b64 v[11:12], 2, v[11:12]
	s_delay_alu instid0(VALU_DEP_4)
	v_ashrrev_i32_e32 v14, 31, v13
	v_cndmask_b32_e32 v15, s20, v6, vcc_lo
	v_cmp_gt_i32_e32 vcc_lo, s40, v4
	v_lshlrev_b64 v[1:2], 2, v[1:2]
	v_ashrrev_i32_e32 v6, 31, v5
	v_lshlrev_b64 v[13:14], 2, v[13:14]
	v_ashrrev_i32_e32 v16, 31, v15
	v_cndmask_b32_e32 v17, s20, v4, vcc_lo
	v_ashrrev_i32_e32 v4, 31, v3
	s_lshl_b64 s[20:21], s[18:19], 2
	v_lshlrev_b64 v[5:6], 2, v[5:6]
	s_waitcnt lgkmcnt(0)
	s_add_u32 s19, s10, s20
	s_addc_u32 s25, s11, s21
	s_lshl_b64 s[10:11], s[6:7], 2
	v_lshlrev_b64 v[3:4], 2, v[3:4]
	s_add_u32 s7, s19, s10
	s_addc_u32 s19, s25, s11
	v_add_co_u32 v18, vcc_lo, s7, v1
	v_add_co_ci_u32_e32 v19, vcc_lo, s19, v2, vcc_lo
	s_delay_alu instid0(VALU_DEP_3)
	v_add_co_u32 v20, vcc_lo, s7, v3
	v_add_co_ci_u32_e32 v21, vcc_lo, s19, v4, vcc_lo
	v_add_co_u32 v22, vcc_lo, s7, v5
	v_add_co_ci_u32_e32 v23, vcc_lo, s19, v6, vcc_lo
	v_add_co_u32 v24, vcc_lo, s7, v7
	v_add_co_ci_u32_e32 v25, vcc_lo, s19, v8, vcc_lo
	v_add_co_u32 v26, vcc_lo, s7, v9
	v_add_co_ci_u32_e32 v27, vcc_lo, s19, v10, vcc_lo
	s_clause 0x4
	global_load_b32 v28, v[18:19], off
	global_load_b32 v29, v[20:21], off
	;; [unrolled: 1-line block ×5, first 2 shown]
	v_ashrrev_i32_e32 v18, 31, v17
	v_add_co_u32 v19, vcc_lo, s7, v11
	v_lshlrev_b64 v[15:16], 2, v[15:16]
	v_add_co_ci_u32_e32 v20, vcc_lo, s19, v12, vcc_lo
	v_add_co_u32 v21, vcc_lo, s7, v13
	v_lshlrev_b64 v[17:18], 2, v[17:18]
	v_add_co_ci_u32_e32 v22, vcc_lo, s19, v14, vcc_lo
	v_add_co_u32 v23, vcc_lo, s7, v15
	v_add_co_ci_u32_e32 v24, vcc_lo, s19, v16, vcc_lo
	s_delay_alu instid0(VALU_DEP_4)
	v_add_co_u32 v25, vcc_lo, s7, v17
	v_add_co_ci_u32_e32 v26, vcc_lo, s19, v18, vcc_lo
	s_clause 0x3
	global_load_b32 v19, v[19:20], off
	global_load_b32 v20, v[21:22], off
	;; [unrolled: 1-line block ×4, first 2 shown]
	s_add_u32 s7, s8, s20
	s_addc_u32 s8, s9, s21
	s_add_u32 s7, s7, s10
	s_addc_u32 s8, s8, s11
	v_add_co_u32 v1, vcc_lo, s7, v1
	v_add_co_ci_u32_e32 v2, vcc_lo, s8, v2, vcc_lo
	v_add_co_u32 v3, vcc_lo, s7, v3
	v_add_co_ci_u32_e32 v4, vcc_lo, s8, v4, vcc_lo
	;; [unrolled: 2-line block ×6, first 2 shown]
	s_clause 0x5
	global_load_b32 v23, v[1:2], off
	global_load_b32 v3, v[3:4], off
	;; [unrolled: 1-line block ×6, first 2 shown]
	v_add_co_u32 v1, vcc_lo, s7, v13
	v_add_co_ci_u32_e32 v2, vcc_lo, s8, v14, vcc_lo
	v_mbcnt_lo_u32_b32 v9, -1, 0
	global_load_b32 v8, v[1:2], off
	v_add_co_u32 v1, vcc_lo, s7, v15
	v_add_co_ci_u32_e32 v2, vcc_lo, s8, v16, vcc_lo
	v_xor_b32_e32 v11, 16, v9
	v_xor_b32_e32 v13, 8, v9
	;; [unrolled: 1-line block ×3, first 2 shown]
	global_load_b32 v12, v[1:2], off
	v_add_co_u32 v1, vcc_lo, s7, v17
	v_add_co_ci_u32_e32 v2, vcc_lo, s8, v18, vcc_lo
	v_cmp_gt_i32_e32 vcc_lo, 32, v11
	v_xor_b32_e32 v15, 2, v9
	v_xor_b32_e32 v16, 1, v9
	global_load_b32 v1, v[1:2], off
	s_mov_b32 s7, exec_lo
	v_cndmask_b32_e32 v11, v9, v11, vcc_lo
	v_cmp_gt_i32_e32 vcc_lo, 32, v13
	s_delay_alu instid0(VALU_DEP_2) | instskip(SKIP_1) | instid1(VALU_DEP_2)
	v_dual_cndmask_b32 v13, v9, v13 :: v_dual_lshlrev_b32 v2, 2, v11
	v_cmp_gt_i32_e32 vcc_lo, 32, v14
	v_dual_cndmask_b32 v14, v9, v14 :: v_dual_lshlrev_b32 v13, 2, v13
	v_cmp_gt_i32_e32 vcc_lo, 32, v15
	s_delay_alu instid0(VALU_DEP_2) | instskip(SKIP_1) | instid1(VALU_DEP_2)
	v_dual_cndmask_b32 v15, v9, v15 :: v_dual_lshlrev_b32 v14, 2, v14
	v_cmp_gt_i32_e32 vcc_lo, 32, v16
	v_lshlrev_b32_e32 v15, 2, v15
	v_cndmask_b32_e32 v9, v9, v16, vcc_lo
	s_delay_alu instid0(VALU_DEP_1) | instskip(SKIP_3) | instid1(VALU_DEP_1)
	v_lshlrev_b32_e32 v9, 2, v9
	s_waitcnt vmcnt(15)
	v_max3_f32 v10, v28, v29, v30
	s_waitcnt vmcnt(13)
	v_max3_f32 v10, v10, v31, v27
	s_waitcnt vmcnt(11)
	s_delay_alu instid0(VALU_DEP_1) | instskip(SKIP_1) | instid1(VALU_DEP_1)
	v_max3_f32 v10, v10, v19, v20
	s_waitcnt vmcnt(9)
	v_max3_f32 v10, v10, v21, v22
	ds_bpermute_b32 v11, v2, v10
	s_waitcnt lgkmcnt(0)
	v_max_f32_e32 v11, v11, v11
	s_delay_alu instid0(VALU_DEP_1) | instskip(SKIP_3) | instid1(VALU_DEP_1)
	v_max_f32_e32 v10, v10, v11
	ds_bpermute_b32 v11, v13, v10
	s_waitcnt lgkmcnt(0)
	v_max_f32_e32 v11, v11, v11
	v_max_f32_e32 v10, v10, v11
	ds_bpermute_b32 v11, v14, v10
	s_waitcnt lgkmcnt(0)
	v_max_f32_e32 v11, v11, v11
	s_delay_alu instid0(VALU_DEP_1) | instskip(SKIP_3) | instid1(VALU_DEP_1)
	v_max_f32_e32 v10, v10, v11
	ds_bpermute_b32 v11, v15, v10
	s_waitcnt lgkmcnt(0)
	v_max_f32_e32 v11, v11, v11
	v_max_f32_e32 v10, v10, v11
	ds_bpermute_b32 v11, v9, v10
	s_waitcnt lgkmcnt(0)
	v_max_f32_e32 v11, v11, v11
	s_delay_alu instid0(VALU_DEP_1) | instskip(SKIP_1) | instid1(VALU_DEP_2)
	v_max_f32_e32 v10, v10, v11
	v_sub_nc_u32_e32 v11, s40, v0
	v_sub_f32_e32 v24, v31, v10
	v_sub_f32_e32 v16, v28, v10
	;; [unrolled: 1-line block ×5, first 2 shown]
	v_mul_f32_e32 v28, 0x3fb8aa3b, v24
	v_cmp_ngt_f32_e32 vcc_lo, 0xc2ce8ed0, v16
	v_mul_f32_e32 v26, 0x3fb8aa3b, v17
	s_delay_alu instid0(VALU_DEP_3)
	v_fma_f32 v40, 0x3fb8aa3b, v24, -v28
	v_sub_f32_e32 v25, v27, v10
	v_rndne_f32_e32 v41, v28
	v_sub_f32_e32 v19, v19, v10
	v_fma_f32 v36, 0x3fb8aa3b, v17, -v26
	v_fmac_f32_e32 v40, 0x32a5705f, v24
	v_mul_f32_e32 v29, 0x3fb8aa3b, v25
	v_sub_f32_e32 v28, v28, v41
	v_mul_f32_e32 v30, 0x3fb8aa3b, v19
	v_rndne_f32_e32 v37, v26
	v_cvt_i32_f32_e32 v41, v41
	v_fma_f32 v42, 0x3fb8aa3b, v25, -v29
	v_sub_f32_e32 v21, v21, v10
	v_sub_f32_e32 v10, v22, v10
	v_mul_f32_e32 v22, 0x3fb8aa3b, v16
	v_rndne_f32_e32 v45, v30
	v_fmac_f32_e32 v42, 0x32a5705f, v25
	v_dual_mul_f32 v27, 0x3fb8aa3b, v18 :: v_dual_mul_f32 v32, 0x3fb8aa3b, v21
	s_delay_alu instid0(VALU_DEP_4)
	v_fma_f32 v34, 0x3fb8aa3b, v16, -v22
	v_rndne_f32_e32 v35, v22
	v_fma_f32 v44, 0x3fb8aa3b, v19, -v30
	v_sub_f32_e32 v30, v30, v45
	v_fma_f32 v38, 0x3fb8aa3b, v18, -v27
	v_rndne_f32_e32 v39, v27
	v_fmac_f32_e32 v34, 0x32a5705f, v16
	v_sub_f32_e32 v22, v22, v35
	v_rndne_f32_e32 v49, v32
	v_dual_mul_f32 v31, 0x3fb8aa3b, v20 :: v_dual_sub_f32 v26, v26, v37
	v_fmac_f32_e32 v36, 0x32a5705f, v17
	v_dual_fmac_f32 v38, 0x32a5705f, v18 :: v_dual_sub_f32 v27, v27, v39
	v_add_f32_e32 v22, v22, v34
	v_rndne_f32_e32 v43, v29
	s_delay_alu instid0(VALU_DEP_4)
	v_dual_mul_f32 v33, 0x3fb8aa3b, v10 :: v_dual_add_f32 v26, v26, v36
	v_fma_f32 v48, 0x3fb8aa3b, v21, -v32
	v_dual_fmac_f32 v44, 0x32a5705f, v19 :: v_dual_add_f32 v27, v27, v38
	v_sub_f32_e32 v32, v32, v49
	v_fma_f32 v46, 0x3fb8aa3b, v20, -v31
	v_sub_f32_e32 v29, v29, v43
	v_exp_f32_e32 v22, v22
	v_rndne_f32_e32 v47, v31
	v_cvt_i32_f32_e32 v35, v35
	v_fmac_f32_e32 v46, 0x32a5705f, v20
	v_dual_add_f32 v28, v28, v40 :: v_dual_add_f32 v29, v29, v42
	v_exp_f32_e32 v26, v26
	v_exp_f32_e32 v27, v27
	v_cvt_i32_f32_e32 v37, v37
	v_cvt_i32_f32_e32 v39, v39
	v_dual_sub_f32 v31, v31, v47 :: v_dual_fmac_f32 v48, 0x32a5705f, v21
	v_exp_f32_e32 v29, v29
	v_ldexp_f32 v22, v22, v35
	v_cvt_i32_f32_e32 v43, v43
	s_delay_alu instid0(VALU_DEP_3)
	v_dual_add_f32 v30, v30, v44 :: v_dual_add_f32 v31, v31, v46
	v_exp_f32_e32 v28, v28
	v_ldexp_f32 v26, v26, v37
	v_ldexp_f32 v27, v27, v39
	v_cndmask_b32_e32 v22, 0, v22, vcc_lo
	v_cmp_ngt_f32_e32 vcc_lo, 0xc2ce8ed0, v17
	v_exp_f32_e32 v31, v31
	v_ldexp_f32 v29, v29, v43
	v_exp_f32_e32 v30, v30
	v_cvt_i32_f32_e32 v34, v47
	v_cndmask_b32_e32 v26, 0, v26, vcc_lo
	v_cmp_ngt_f32_e32 vcc_lo, 0xc2ce8ed0, v18
	v_ldexp_f32 v28, v28, v41
	v_cvt_i32_f32_e32 v45, v45
	v_fma_f32 v50, 0x3fb8aa3b, v10, -v33
	v_rndne_f32_e32 v51, v33
	v_cndmask_b32_e32 v27, 0, v27, vcc_lo
	v_cmp_ngt_f32_e32 vcc_lo, 0xc2ce8ed0, v24
	v_ldexp_f32 v31, v31, v34
	v_ldexp_f32 v30, v30, v45
	v_dual_fmac_f32 v50, 0x32a5705f, v10 :: v_dual_sub_f32 v33, v33, v51
	v_cndmask_b32_e32 v28, 0, v28, vcc_lo
	v_cmp_ngt_f32_e32 vcc_lo, 0xc2ce8ed0, v25
	s_delay_alu instid0(VALU_DEP_3) | instskip(SKIP_2) | instid1(VALU_DEP_3)
	v_dual_add_f32 v32, v32, v48 :: v_dual_add_f32 v33, v33, v50
	v_cndmask_b32_e32 v29, 0, v29, vcc_lo
	v_cmp_ngt_f32_e32 vcc_lo, 0xc2ce8ed0, v19
	v_exp_f32_e32 v32, v32
	v_cndmask_b32_e32 v30, 0, v30, vcc_lo
	v_cmp_ngt_f32_e32 vcc_lo, 0xc2ce8ed0, v20
	v_cndmask_b32_e32 v31, 0, v31, vcc_lo
	v_cmp_nlt_f32_e32 vcc_lo, 0x42b17218, v16
	v_cndmask_b32_e32 v16, 0x7f800000, v22, vcc_lo
	v_cmp_nlt_f32_e32 vcc_lo, 0x42b17218, v17
	;; [unrolled: 2-line block ×6, first 2 shown]
	v_cndmask_b32_e32 v19, 0x7f800000, v30, vcc_lo
	v_cmp_lt_i32_e32 vcc_lo, 0, v11
	v_cndmask_b32_e32 v16, 0, v16, vcc_lo
	v_cmp_lt_i32_e32 vcc_lo, 32, v11
	s_waitcnt vmcnt(8)
	s_delay_alu instid0(VALU_DEP_2) | instskip(SKIP_2) | instid1(VALU_DEP_2)
	v_dual_mul_f32 v16, v23, v16 :: v_dual_cndmask_b32 v17, 0, v17
	v_cmp_lt_i32_e32 vcc_lo, 64, v11
	s_waitcnt vmcnt(7)
	v_mul_f32_e32 v3, v3, v17
	v_cvt_i32_f32_e32 v17, v49
	s_delay_alu instid0(VALU_DEP_1) | instskip(SKIP_3) | instid1(VALU_DEP_2)
	v_ldexp_f32 v17, v32, v17
	v_cndmask_b32_e32 v18, 0, v18, vcc_lo
	v_cmp_lt_i32_e32 vcc_lo, 0x60, v11
	s_waitcnt vmcnt(6)
	v_mul_f32_e32 v4, v4, v18
	v_cndmask_b32_e32 v22, 0, v22, vcc_lo
	v_cmp_lt_i32_e32 vcc_lo, 0x80, v11
	s_waitcnt vmcnt(5)
	s_delay_alu instid0(VALU_DEP_2) | instskip(SKIP_3) | instid1(VALU_DEP_3)
	v_dual_mul_f32 v5, v5, v22 :: v_dual_cndmask_b32 v24, 0, v24
	v_cmp_lt_i32_e32 vcc_lo, 0xa0, v11
	v_cvt_i32_f32_e32 v22, v51
	s_waitcnt vmcnt(4)
	v_dual_mul_f32 v6, v6, v24 :: v_dual_cndmask_b32 v19, 0, v19
	v_cmp_nlt_f32_e32 vcc_lo, 0x42b17218, v20
	s_waitcnt vmcnt(3)
	s_delay_alu instid0(VALU_DEP_2) | instskip(SKIP_3) | instid1(VALU_DEP_2)
	v_mul_f32_e32 v7, v7, v19
	v_cndmask_b32_e32 v18, 0x7f800000, v31, vcc_lo
	v_cmp_lt_i32_e32 vcc_lo, 0xc0, v11
	v_exp_f32_e32 v19, v33
	v_cndmask_b32_e32 v18, 0, v18, vcc_lo
	v_cmp_ngt_f32_e32 vcc_lo, 0xc2ce8ed0, v21
	s_waitcnt vmcnt(2)
	s_delay_alu instid0(VALU_DEP_2)
	v_dual_mul_f32 v8, v8, v18 :: v_dual_cndmask_b32 v17, 0, v17
	v_cmp_nlt_f32_e32 vcc_lo, 0x42b17218, v21
	s_waitcnt_depctr 0xfff
	v_ldexp_f32 v18, v19, v22
	v_dual_add_f32 v20, v16, v3 :: v_dual_cndmask_b32 v17, 0x7f800000, v17
	v_cmp_ngt_f32_e32 vcc_lo, 0xc2ce8ed0, v10
	s_delay_alu instid0(VALU_DEP_3) | instskip(SKIP_1) | instid1(VALU_DEP_4)
	v_cndmask_b32_e32 v18, 0, v18, vcc_lo
	v_cmp_lt_i32_e32 vcc_lo, 0xe0, v11
	v_cndmask_b32_e32 v17, 0, v17, vcc_lo
	v_cmp_nlt_f32_e32 vcc_lo, 0x42b17218, v10
	s_waitcnt vmcnt(1)
	s_delay_alu instid0(VALU_DEP_2) | instskip(SKIP_2) | instid1(VALU_DEP_2)
	v_mul_f32_e32 v12, v12, v17
	v_cndmask_b32_e32 v10, 0x7f800000, v18, vcc_lo
	v_cmp_lt_i32_e32 vcc_lo, 0x100, v11
	v_cndmask_b32_e32 v10, 0, v10, vcc_lo
	s_waitcnt vmcnt(0)
	s_delay_alu instid0(VALU_DEP_1) | instskip(SKIP_1) | instid1(VALU_DEP_1)
	v_mul_f32_e32 v10, v1, v10
	v_add_f32_e32 v20, v20, v4
	v_add_f32_e32 v19, v20, v5
	s_delay_alu instid0(VALU_DEP_1) | instskip(NEXT) | instid1(VALU_DEP_1)
	v_add_f32_e32 v19, v19, v6
	v_add_f32_e32 v18, v19, v7
	s_delay_alu instid0(VALU_DEP_1) | instskip(NEXT) | instid1(VALU_DEP_1)
	v_add_f32_e32 v11, v18, v8
	v_add_f32_e32 v1, v11, v12
	s_delay_alu instid0(VALU_DEP_1)
	v_add_f32_e32 v1, v1, v10
	ds_bpermute_b32 v2, v2, v1
	s_waitcnt lgkmcnt(0)
	v_add_f32_e32 v1, v1, v2
	ds_bpermute_b32 v2, v13, v1
	s_waitcnt lgkmcnt(0)
	;; [unrolled: 3-line block ×4, first 2 shown]
	v_add_f32_e32 v1, v1, v2
	ds_bpermute_b32 v2, v9, v1
	v_lshlrev_b32_e32 v9, 2, v0
	ds_store_2addr_b32 v9, v16, v3 offset1:32
	ds_store_2addr_b32 v9, v4, v5 offset0:64 offset1:96
	ds_store_2addr_b32 v9, v6, v7 offset0:128 offset1:160
	;; [unrolled: 1-line block ×3, first 2 shown]
	ds_store_b32 v9, v10 offset:1024
	v_cmpx_eq_u32_e32 0, v0
	s_cbranch_execz .LBB222_8
; %bb.7:
	s_waitcnt lgkmcnt(5)
	v_dual_add_f32 v1, v1, v2 :: v_dual_mov_b32 v2, 0
	ds_store_b32 v2, v1 offset:1152
.LBB222_8:
	s_or_b32 exec_lo, exec_lo, s7
	v_mov_b32_e32 v1, s6
.LBB222_9:
	s_or_b32 exec_lo, exec_lo, s24
	s_lshl_b32 s6, s18, 7
	s_mov_b32 s7, 0
	s_waitcnt lgkmcnt(5)
	v_dual_mov_b32 v2, 0 :: v_dual_lshlrev_b32 v1, 7, v1
	s_lshl_b64 s[6:7], s[6:7], 1
	v_dual_mov_b32 v29, 0 :: v_dual_mov_b32 v30, 0
	s_add_u32 s34, s4, s6
	s_addc_u32 s35, s5, s7
	s_lshl_b32 s41, s40, 7
	v_lshlrev_b64 v[3:4], 1, v[1:2]
	s_add_i32 s42, s41, 0xffffff80
	s_cmpk_lt_i32 s22, 0x100
	v_lshlrev_b32_e32 v1, 1, v0
	s_cselect_b32 s4, s42, 0
	v_dual_mov_b32 v31, 0 :: v_dual_mov_b32 v32, 0
	s_ashr_i32 s5, s4, 31
	v_add_co_u32 v3, vcc_lo, s34, v3
	s_lshl_b64 s[4:5], s[4:5], 1
	s_cmpk_lt_i32 s22, 0x200
	v_add_co_ci_u32_e32 v4, vcc_lo, s35, v4, vcc_lo
	s_cselect_b32 s6, s42, 0x80
	v_add_co_u32 v1, vcc_lo, v3, v1
	s_ashr_i32 s7, s6, 31
	s_delay_alu instid0(VALU_DEP_2)
	v_add_co_ci_u32_e32 v3, vcc_lo, 0, v4, vcc_lo
	s_lshl_b64 s[6:7], s[6:7], 1
	s_cmpk_lt_i32 s22, 0x300
	v_add_co_u32 v4, vcc_lo, v1, s4
	s_cselect_b32 s8, s42, 0x100
	v_add_co_ci_u32_e32 v5, vcc_lo, s5, v3, vcc_lo
	s_ashr_i32 s9, s8, 31
	v_add_co_u32 v8, vcc_lo, v1, s6
	s_lshl_b64 s[8:9], s[8:9], 1
	s_cmpk_lt_i32 s22, 0x400
	v_add_co_ci_u32_e32 v9, vcc_lo, s7, v3, vcc_lo
	s_cselect_b32 s10, s42, 0x180
	v_add_co_u32 v10, vcc_lo, v1, s8
	s_ashr_i32 s11, s10, 31
	v_add_co_ci_u32_e32 v11, vcc_lo, s9, v3, vcc_lo
	s_lshl_b64 s[10:11], s[10:11], 1
	s_cmpk_lt_i32 s22, 0x500
	v_add_co_u32 v12, vcc_lo, v1, s10
	s_cselect_b32 s18, s42, 0x200
	v_add_co_ci_u32_e32 v13, vcc_lo, s11, v3, vcc_lo
	s_ashr_i32 s19, s18, 31
	v_dual_mov_b32 v33, 0 :: v_dual_mov_b32 v34, 0
	s_lshl_b64 s[18:19], s[18:19], 1
	s_cmpk_lt_i32 s22, 0x600
	v_add_co_u32 v14, vcc_lo, v1, s18
	s_cselect_b32 s20, s42, 0x280
	v_add_co_ci_u32_e32 v15, vcc_lo, s19, v3, vcc_lo
	s_ashr_i32 s21, s20, 31
	v_mov_b32_e32 v35, 0
	s_lshl_b64 s[20:21], s[20:21], 1
	s_cmpk_lt_i32 s22, 0x700
	v_add_co_u32 v16, vcc_lo, v1, s20
	s_cselect_b32 s24, s42, 0x300
	v_add_co_ci_u32_e32 v17, vcc_lo, s21, v3, vcc_lo
	s_ashr_i32 s25, s24, 31
	s_delay_alu instid0(SALU_CYCLE_1)
	s_lshl_b64 s[24:25], s[24:25], 1
	s_cmpk_lt_i32 s22, 0x800
	v_add_co_u32 v18, vcc_lo, v1, s24
	s_cselect_b32 s26, s42, 0x380
	v_add_co_ci_u32_e32 v19, vcc_lo, s25, v3, vcc_lo
	s_ashr_i32 s27, s26, 31
	s_delay_alu instid0(SALU_CYCLE_1)
	s_lshl_b64 s[26:27], s[26:27], 1
	s_cmpk_lt_i32 s22, 0x900
	v_add_co_u32 v20, vcc_lo, v1, s26
	s_cselect_b32 s28, s42, 0x400
	v_add_co_ci_u32_e32 v21, vcc_lo, s27, v3, vcc_lo
	s_ashr_i32 s29, s28, 31
	s_clause 0x7
	global_load_u16 v7, v[4:5], off
	global_load_u16 v8, v[8:9], off
	;; [unrolled: 1-line block ×8, first 2 shown]
	s_lshl_b64 s[28:29], s[28:29], 1
	s_cmpk_lt_i32 s22, 0xa00
	v_add_co_u32 v12, vcc_lo, v1, s28
	s_cselect_b32 s30, s42, 0x480
	v_add_co_ci_u32_e32 v13, vcc_lo, s29, v3, vcc_lo
	s_ashr_i32 s31, s30, 31
	s_delay_alu instid0(SALU_CYCLE_1)
	s_lshl_b64 s[30:31], s[30:31], 1
	s_cmpk_lt_i32 s22, 0xb00
	v_add_co_u32 v15, vcc_lo, v1, s30
	s_cselect_b32 s34, s42, 0x500
	v_add_co_ci_u32_e32 v16, vcc_lo, s31, v3, vcc_lo
	s_ashr_i32 s35, s34, 31
	s_delay_alu instid0(SALU_CYCLE_1)
	s_lshl_b64 s[4:5], s[34:35], 1
	s_cmpk_lt_i32 s22, 0xc00
	v_add_co_u32 v17, vcc_lo, v1, s4
	s_cselect_b32 s6, s42, 0x580
	v_add_co_ci_u32_e32 v18, vcc_lo, s5, v3, vcc_lo
	s_ashr_i32 s7, s6, 31
	s_delay_alu instid0(SALU_CYCLE_1)
	s_lshl_b64 s[6:7], s[6:7], 1
	s_cmpk_lt_i32 s22, 0xd00
	v_add_co_u32 v19, vcc_lo, v1, s6
	s_cselect_b32 s8, s42, 0x600
	v_add_co_ci_u32_e32 v20, vcc_lo, s7, v3, vcc_lo
	s_ashr_i32 s9, s8, 31
	s_delay_alu instid0(SALU_CYCLE_1)
	s_lshl_b64 s[8:9], s[8:9], 1
	s_cmpk_lt_i32 s22, 0xe00
	v_add_co_u32 v21, vcc_lo, v1, s8
	s_cselect_b32 s10, s42, 0x680
	v_add_co_ci_u32_e32 v22, vcc_lo, s9, v3, vcc_lo
	s_ashr_i32 s11, s10, 31
	s_delay_alu instid0(SALU_CYCLE_1)
	s_lshl_b64 s[10:11], s[10:11], 1
	s_cmpk_lt_i32 s22, 0xf00
	v_add_co_u32 v23, vcc_lo, v1, s10
	s_cselect_b32 s18, s42, 0x700
	v_add_co_ci_u32_e32 v24, vcc_lo, s11, v3, vcc_lo
	s_ashr_i32 s19, s18, 31
	s_delay_alu instid0(SALU_CYCLE_1)
	s_lshl_b64 s[4:5], s[18:19], 1
	s_cmpk_lt_i32 s22, 0x1000
	v_add_co_u32 v25, vcc_lo, v1, s4
	s_cselect_b32 s6, s42, 0x780
	v_add_co_ci_u32_e32 v26, vcc_lo, s5, v3, vcc_lo
	s_ashr_i32 s7, s6, 31
	s_delay_alu instid0(SALU_CYCLE_1)
	s_lshl_b64 s[4:5], s[6:7], 1
	s_cmpk_gt_i32 s23, 0x1000
	v_add_co_u32 v27, vcc_lo, v1, s4
	v_add_co_ci_u32_e32 v28, vcc_lo, s5, v3, vcc_lo
	s_clause 0x7
	global_load_u16 v14, v[12:13], off
	global_load_u16 v15, v[15:16], off
	global_load_u16 v16, v[17:18], off
	global_load_u16 v17, v[19:20], off
	global_load_u16 v18, v[21:22], off
	global_load_u16 v12, v[23:24], off
	global_load_u16 v13, v[25:26], off
	global_load_u16 v19, v[27:28], off
	v_dual_mov_b32 v20, 0 :: v_dual_mov_b32 v21, 0
	v_dual_mov_b32 v22, 0 :: v_dual_mov_b32 v23, 0
	;; [unrolled: 1-line block ×4, first 2 shown]
	v_mov_b32_e32 v28, 0
	s_cselect_b32 s8, -1, 0
	s_cmpk_lt_i32 s23, 0x1001
	s_waitcnt vmcnt(0) lgkmcnt(0)
	s_barrier
	buffer_gl0_inv
	s_cbranch_scc1 .LBB222_11
; %bb.10:
	s_cmpk_lt_i32 s22, 0x1100
	s_cselect_b32 s4, s42, 0x800
	s_delay_alu instid0(SALU_CYCLE_1) | instskip(NEXT) | instid1(SALU_CYCLE_1)
	s_ashr_i32 s5, s4, 31
	s_lshl_b64 s[4:5], s[4:5], 1
	s_cmpk_lt_i32 s22, 0x1200
	v_add_co_u32 v20, vcc_lo, v1, s4
	s_cselect_b32 s6, s42, 0x880
	v_add_co_ci_u32_e32 v21, vcc_lo, s5, v3, vcc_lo
	s_ashr_i32 s7, s6, 31
	s_delay_alu instid0(SALU_CYCLE_1)
	s_lshl_b64 s[6:7], s[6:7], 1
	s_cmpk_lt_i32 s22, 0x1300
	v_add_co_u32 v22, vcc_lo, v1, s6
	s_cselect_b32 s10, s42, 0x900
	v_add_co_ci_u32_e32 v23, vcc_lo, s7, v3, vcc_lo
	s_ashr_i32 s11, s10, 31
	s_delay_alu instid0(SALU_CYCLE_1)
	;; [unrolled: 7-line block ×7, first 2 shown]
	s_lshl_b64 s[28:29], s[28:29], 1
	s_cmpk_lt_i32 s22, 0x1900
	v_add_co_u32 v34, vcc_lo, v1, s28
	s_cselect_b32 s30, s42, 0xc00
	v_add_co_ci_u32_e32 v35, vcc_lo, s29, v3, vcc_lo
	s_ashr_i32 s31, s30, 31
	s_clause 0x7
	global_load_u16 v36, v[20:21], off
	global_load_u16 v37, v[22:23], off
	;; [unrolled: 1-line block ×8, first 2 shown]
	s_lshl_b64 s[30:31], s[30:31], 1
	s_cmpk_lt_i32 s22, 0x1a00
	v_add_co_u32 v20, vcc_lo, v1, s30
	s_cselect_b32 s34, s42, 0xc80
	v_add_co_ci_u32_e32 v21, vcc_lo, s31, v3, vcc_lo
	s_ashr_i32 s35, s34, 31
	s_delay_alu instid0(SALU_CYCLE_1)
	s_lshl_b64 s[34:35], s[34:35], 1
	s_cmpk_lt_i32 s22, 0x1b00
	v_add_co_u32 v22, vcc_lo, v1, s34
	s_cselect_b32 s36, s42, 0xd00
	v_add_co_ci_u32_e32 v23, vcc_lo, s35, v3, vcc_lo
	s_ashr_i32 s37, s36, 31
	s_delay_alu instid0(SALU_CYCLE_1)
	;; [unrolled: 7-line block ×6, first 2 shown]
	s_lshl_b64 s[4:5], s[20:21], 1
	s_cmpk_lt_i32 s22, 0x2000
	v_add_co_u32 v32, vcc_lo, v1, s4
	s_cselect_b32 s6, s42, 0xf80
	v_add_co_ci_u32_e32 v33, vcc_lo, s5, v3, vcc_lo
	s_ashr_i32 s7, s6, 31
	s_delay_alu instid0(SALU_CYCLE_1) | instskip(NEXT) | instid1(SALU_CYCLE_1)
	s_lshl_b64 s[4:5], s[6:7], 1
	v_add_co_u32 v34, vcc_lo, v1, s4
	v_add_co_ci_u32_e32 v35, vcc_lo, s5, v3, vcc_lo
	s_clause 0x7
	global_load_u16 v20, v[20:21], off
	global_load_u16 v21, v[22:23], off
	;; [unrolled: 1-line block ×8, first 2 shown]
	s_waitcnt vmcnt(15)
	v_cvt_f32_f16_e32 v35, v36
	s_waitcnt vmcnt(14)
	v_cvt_f32_f16_e32 v34, v37
	;; [unrolled: 2-line block ×16, first 2 shown]
.LBB222_11:
	ds_load_b128 v[36:39], v2
	ds_load_b128 v[40:43], v2 offset:16
	s_load_b64 s[0:1], s[0:1], 0x0
	s_and_b32 vcc_lo, exec_lo, s8
	s_waitcnt lgkmcnt(0)
	v_fma_mix_f32 v7, v36, v7, 0 op_sel_hi:[0,1,0]
	s_delay_alu instid0(VALU_DEP_1) | instskip(NEXT) | instid1(VALU_DEP_1)
	v_fma_mix_f32 v7, v37, v8, v7 op_sel_hi:[0,1,0]
	v_fma_mix_f32 v7, v38, v9, v7 op_sel_hi:[0,1,0]
	s_delay_alu instid0(VALU_DEP_1) | instskip(SKIP_4) | instid1(VALU_DEP_1)
	v_fma_mix_f32 v7, v39, v10, v7 op_sel_hi:[0,1,0]
	ds_load_b128 v[36:39], v2 offset:48
	v_fma_mix_f32 v11, v40, v11, v7 op_sel_hi:[0,1,0]
	ds_load_b128 v[7:10], v2 offset:32
	v_fma_mix_f32 v4, v41, v4, v11 op_sel_hi:[0,1,0]
	v_fma_mix_f32 v4, v42, v5, v4 op_sel_hi:[0,1,0]
	s_delay_alu instid0(VALU_DEP_1) | instskip(SKIP_1) | instid1(VALU_DEP_1)
	v_fma_mix_f32 v4, v43, v6, v4 op_sel_hi:[0,1,0]
	s_waitcnt lgkmcnt(0)
	v_fma_mix_f32 v4, v7, v14, v4 op_sel_hi:[0,1,0]
	s_delay_alu instid0(VALU_DEP_1) | instskip(NEXT) | instid1(VALU_DEP_1)
	v_fma_mix_f32 v4, v8, v15, v4 op_sel_hi:[0,1,0]
	v_fma_mix_f32 v4, v9, v16, v4 op_sel_hi:[0,1,0]
	s_delay_alu instid0(VALU_DEP_1) | instskip(NEXT) | instid1(VALU_DEP_1)
	v_fma_mix_f32 v4, v10, v17, v4 op_sel_hi:[0,1,0]
	;; [unrolled: 3-line block ×3, first 2 shown]
	v_fma_mix_f32 v4, v38, v13, v4 op_sel_hi:[0,1,0]
	s_delay_alu instid0(VALU_DEP_1)
	v_fma_mix_f32 v4, v39, v19, v4 op_sel_hi:[0,1,0]
	s_cbranch_vccz .LBB222_13
; %bb.12:
	ds_load_b128 v[5:8], v2 offset:64
	ds_load_b128 v[9:12], v2 offset:80
	s_waitcnt lgkmcnt(1)
	v_fmac_f32_e32 v4, v5, v35
	s_delay_alu instid0(VALU_DEP_1) | instskip(NEXT) | instid1(VALU_DEP_1)
	v_fmac_f32_e32 v4, v6, v34
	v_fmac_f32_e32 v4, v7, v33
	s_delay_alu instid0(VALU_DEP_1) | instskip(SKIP_3) | instid1(VALU_DEP_1)
	v_fmac_f32_e32 v4, v8, v32
	ds_load_b128 v[5:8], v2 offset:96
	s_waitcnt lgkmcnt(1)
	v_fmac_f32_e32 v4, v9, v31
	v_fmac_f32_e32 v4, v10, v30
	s_delay_alu instid0(VALU_DEP_1) | instskip(NEXT) | instid1(VALU_DEP_1)
	v_fmac_f32_e32 v4, v11, v29
	v_fmac_f32_e32 v4, v12, v28
	ds_load_b128 v[9:12], v2 offset:112
	s_waitcnt lgkmcnt(1)
	v_fmac_f32_e32 v4, v5, v27
	s_delay_alu instid0(VALU_DEP_1) | instskip(NEXT) | instid1(VALU_DEP_1)
	v_fmac_f32_e32 v4, v6, v26
	v_fmac_f32_e32 v4, v7, v25
	s_delay_alu instid0(VALU_DEP_1) | instskip(SKIP_1) | instid1(VALU_DEP_1)
	v_fmac_f32_e32 v4, v8, v24
	s_waitcnt lgkmcnt(0)
	v_fmac_f32_e32 v4, v9, v23
	s_delay_alu instid0(VALU_DEP_1) | instskip(NEXT) | instid1(VALU_DEP_1)
	v_fmac_f32_e32 v4, v10, v22
	v_fmac_f32_e32 v4, v11, v21
	s_delay_alu instid0(VALU_DEP_1)
	v_fmac_f32_e32 v4, v12, v20
.LBB222_13:
	s_movk_i32 s43, 0x1f80
	s_movk_i32 s44, 0x80
	s_mov_b32 s45, 32
	s_branch .LBB222_15
.LBB222_14:                             ;   in Loop: Header=BB222_15 Depth=1
	s_addk_i32 s43, 0x1000
	s_addk_i32 s44, 0x80
	s_add_i32 s45, s45, 32
	s_cmpk_eq_u32 s43, 0x9f80
	s_cbranch_scc1 .LBB222_17
.LBB222_15:                             ; =>This Inner Loop Header: Depth=1
	s_cmp_le_i32 s40, s45
	s_cbranch_scc1 .LBB222_14
; %bb.16:                               ;   in Loop: Header=BB222_15 Depth=1
	s_add_i32 s4, s43, 0xfffff080
	v_mov_b32_e32 v44, s44
	s_cmp_lt_i32 s4, s41
	s_cselect_b32 s4, s4, s42
	s_add_i32 s6, s43, 0xfffff100
	s_ashr_i32 s5, s4, 31
	s_delay_alu instid0(SALU_CYCLE_1)
	s_lshl_b64 s[4:5], s[4:5], 1
	s_cmp_lt_i32 s6, s41
	v_add_co_u32 v5, vcc_lo, v1, s4
	s_cselect_b32 s6, s6, s42
	s_add_i32 s10, s43, 0xfffff180
	s_ashr_i32 s7, s6, 31
	v_add_co_ci_u32_e32 v6, vcc_lo, s5, v3, vcc_lo
	s_lshl_b64 s[8:9], s[6:7], 1
	s_cmp_lt_i32 s10, s41
	v_add_co_u32 v7, vcc_lo, v1, s8
	s_cselect_b32 s6, s10, s42
	s_add_i32 s10, s43, 0xfffff200
	s_ashr_i32 s7, s6, 31
	v_add_co_ci_u32_e32 v8, vcc_lo, s9, v3, vcc_lo
	;; [unrolled: 7-line block ×8, first 2 shown]
	s_lshl_b64 s[24:25], s[20:21], 1
	s_cmp_lt_i32 s28, s41
	s_clause 0x7
	global_load_u16 v2, v[5:6], off
	global_load_u16 v21, v[7:8], off
	;; [unrolled: 1-line block ×8, first 2 shown]
	s_cselect_b32 s20, s28, s42
	s_add_i32 s28, s43, 0xfffff580
	s_ashr_i32 s21, s20, 31
	v_add_co_u32 v5, vcc_lo, v1, s24
	s_lshl_b64 s[20:21], s[20:21], 1
	s_cmp_lt_i32 s28, s41
	v_add_co_ci_u32_e32 v6, vcc_lo, s25, v3, vcc_lo
	s_cselect_b32 s28, s28, s42
	s_add_i32 s36, s43, 0xfffff600
	s_ashr_i32 s29, s28, 31
	v_add_co_u32 v7, vcc_lo, v1, s20
	s_lshl_b64 s[30:31], s[28:29], 1
	s_cmp_lt_i32 s36, s41
	v_add_co_ci_u32_e32 v8, vcc_lo, s21, v3, vcc_lo
	;; [unrolled: 7-line block ×8, first 2 shown]
	s_cselect_b32 s10, s10, s42
	s_add_i32 s18, s43, 0xfffff980
	s_ashr_i32 s11, s10, 31
	s_clause 0x7
	global_load_u16 v28, v[5:6], off
	global_load_u16 v29, v[7:8], off
	;; [unrolled: 1-line block ×8, first 2 shown]
	s_lshl_b64 s[10:11], s[10:11], 1
	s_cmp_lt_i32 s18, s41
	v_add_co_u32 v5, vcc_lo, v1, s4
	s_cselect_b32 s18, s18, s42
	s_add_i32 s22, s43, 0xfffffa00
	s_ashr_i32 s19, s18, 31
	v_add_co_ci_u32_e32 v6, vcc_lo, s5, v3, vcc_lo
	s_lshl_b64 s[18:19], s[18:19], 1
	s_cmp_lt_i32 s22, s41
	v_add_co_u32 v7, vcc_lo, v1, s10
	s_cselect_b32 s20, s22, s42
	s_add_i32 s22, s43, 0xfffffa80
	s_ashr_i32 s21, s20, 31
	v_add_co_ci_u32_e32 v8, vcc_lo, s11, v3, vcc_lo
	;; [unrolled: 7-line block ×5, first 2 shown]
	s_lshl_b64 s[6:7], s[6:7], 1
	s_cmp_lt_i32 s24, s41
	s_clause 0x4
	global_load_u16 v19, v[5:6], off
	global_load_u16 v20, v[7:8], off
	;; [unrolled: 1-line block ×5, first 2 shown]
	s_cselect_b32 s4, s24, s42
	s_add_i32 s10, s43, 0xfffffc80
	s_ashr_i32 s5, s4, 31
	v_add_co_u32 v5, vcc_lo, v1, s8
	s_lshl_b64 s[4:5], s[4:5], 1
	s_cmp_lt_i32 s10, s41
	v_add_co_ci_u32_e32 v6, vcc_lo, s9, v3, vcc_lo
	s_cselect_b32 s10, s10, s42
	s_add_i32 s18, s43, 0xfffffd00
	s_ashr_i32 s11, s10, 31
	v_add_co_u32 v7, vcc_lo, v1, s6
	s_lshl_b64 s[10:11], s[10:11], 1
	s_cmp_lt_i32 s18, s41
	v_add_co_ci_u32_e32 v8, vcc_lo, s7, v3, vcc_lo
	s_cselect_b32 s18, s18, s42
	s_add_i32 s20, s43, 0xfffffd80
	s_ashr_i32 s19, s18, 31
	v_add_co_u32 v9, vcc_lo, v1, s4
	s_lshl_b64 s[18:19], s[18:19], 1
	s_cmp_lt_i32 s20, s41
	global_load_u16 v37, v[5:6], off
	s_cselect_b32 s8, s20, s42
	s_add_i32 s20, s43, 0xfffffe00
	s_ashr_i32 s9, s8, 31
	v_add_co_ci_u32_e32 v10, vcc_lo, s5, v3, vcc_lo
	s_lshl_b64 s[6:7], s[8:9], 1
	s_cmp_lt_i32 s20, s41
	v_add_co_u32 v11, vcc_lo, v1, s10
	s_cselect_b32 s4, s20, s42
	s_clause 0x1
	global_load_u16 v38, v[7:8], off
	global_load_u16 v39, v[9:10], off
	v_add_co_ci_u32_e32 v12, vcc_lo, s11, v3, vcc_lo
	s_ashr_i32 s5, s4, 31
	s_add_i32 s8, s43, 0xfffffe80
	v_add_co_u32 v13, vcc_lo, v1, s18
	s_lshl_b64 s[4:5], s[4:5], 1
	s_cmp_lt_i32 s8, s41
	v_add_co_ci_u32_e32 v14, vcc_lo, s19, v3, vcc_lo
	v_add_co_u32 v15, vcc_lo, v1, s6
	s_cselect_b32 s8, s8, s42
	v_add_co_ci_u32_e32 v16, vcc_lo, s7, v3, vcc_lo
	s_ashr_i32 s9, s8, 31
	s_add_i32 s10, s43, 0xffffff00
	s_lshl_b64 s[6:7], s[8:9], 1
	s_clause 0x2
	global_load_u16 v40, v[11:12], off
	global_load_u16 v13, v[13:14], off
	;; [unrolled: 1-line block ×3, first 2 shown]
	s_cmp_lt_i32 s10, s41
	v_add_co_u32 v5, vcc_lo, v1, s4
	s_cselect_b32 s8, s10, s42
	s_add_i32 s10, s43, 0xffffff80
	s_ashr_i32 s9, s8, 31
	v_add_co_ci_u32_e32 v6, vcc_lo, s5, v3, vcc_lo
	s_lshl_b64 s[8:9], s[8:9], 1
	s_cmp_lt_i32 s10, s41
	v_add_co_u32 v7, vcc_lo, v1, s6
	s_cselect_b32 s4, s10, s42
	v_add_co_ci_u32_e32 v8, vcc_lo, s7, v3, vcc_lo
	s_ashr_i32 s5, s4, 31
	v_add_co_u32 v9, vcc_lo, v1, s8
	global_load_u16 v15, v[5:6], off
	s_lshl_b64 s[4:5], s[4:5], 1
	v_add_co_ci_u32_e32 v10, vcc_lo, s9, v3, vcc_lo
	s_cmp_lt_i32 s43, s41
	s_clause 0x1
	global_load_u16 v16, v[7:8], off
	global_load_u16 v41, v[9:10], off
	s_cselect_b32 s6, s43, s42
	v_add_co_u32 v5, vcc_lo, v1, s4
	s_ashr_i32 s7, s6, 31
	v_add_co_ci_u32_e32 v6, vcc_lo, s5, v3, vcc_lo
	s_lshl_b64 s[4:5], s[6:7], 1
	s_delay_alu instid0(SALU_CYCLE_1)
	v_add_co_u32 v7, vcc_lo, v1, s4
	v_add_co_ci_u32_e32 v8, vcc_lo, s5, v3, vcc_lo
	s_clause 0x1
	global_load_u16 v42, v[5:6], off
	global_load_u16 v43, v[7:8], off
	ds_load_b128 v[5:8], v44
	ds_load_b128 v[9:12], v44 offset:16
	s_waitcnt vmcnt(31) lgkmcnt(1)
	v_fma_mix_f32 v2, v5, v2, v4 op_sel_hi:[0,1,0]
	s_waitcnt vmcnt(30)
	s_delay_alu instid0(VALU_DEP_1) | instskip(SKIP_1) | instid1(VALU_DEP_1)
	v_fma_mix_f32 v2, v6, v21, v2 op_sel_hi:[0,1,0]
	s_waitcnt vmcnt(29)
	v_fma_mix_f32 v2, v7, v22, v2 op_sel_hi:[0,1,0]
	ds_load_b128 v[4:7], v44 offset:32
	s_waitcnt vmcnt(28)
	v_fma_mix_f32 v2, v8, v23, v2 op_sel_hi:[0,1,0]
	s_waitcnt vmcnt(27) lgkmcnt(1)
	s_delay_alu instid0(VALU_DEP_1) | instskip(SKIP_1) | instid1(VALU_DEP_1)
	v_fma_mix_f32 v2, v9, v24, v2 op_sel_hi:[0,1,0]
	s_waitcnt vmcnt(26)
	v_fma_mix_f32 v2, v10, v25, v2 op_sel_hi:[0,1,0]
	s_waitcnt vmcnt(25)
	s_delay_alu instid0(VALU_DEP_1) | instskip(SKIP_4) | instid1(VALU_DEP_1)
	v_fma_mix_f32 v2, v11, v26, v2 op_sel_hi:[0,1,0]
	ds_load_b128 v[8:11], v44 offset:48
	s_waitcnt vmcnt(24)
	v_fma_mix_f32 v2, v12, v27, v2 op_sel_hi:[0,1,0]
	s_waitcnt vmcnt(23) lgkmcnt(1)
	v_fma_mix_f32 v2, v4, v28, v2 op_sel_hi:[0,1,0]
	s_waitcnt vmcnt(22)
	s_delay_alu instid0(VALU_DEP_1) | instskip(SKIP_1) | instid1(VALU_DEP_1)
	v_fma_mix_f32 v2, v5, v29, v2 op_sel_hi:[0,1,0]
	s_waitcnt vmcnt(21)
	v_fma_mix_f32 v2, v6, v30, v2 op_sel_hi:[0,1,0]
	s_waitcnt vmcnt(20)
	s_delay_alu instid0(VALU_DEP_1) | instskip(SKIP_4) | instid1(VALU_DEP_1)
	v_fma_mix_f32 v2, v7, v31, v2 op_sel_hi:[0,1,0]
	ds_load_b128 v[4:7], v44 offset:64
	s_waitcnt vmcnt(19) lgkmcnt(1)
	v_fma_mix_f32 v2, v8, v32, v2 op_sel_hi:[0,1,0]
	s_waitcnt vmcnt(18)
	v_fma_mix_f32 v2, v9, v33, v2 op_sel_hi:[0,1,0]
	s_waitcnt vmcnt(17)
	s_delay_alu instid0(VALU_DEP_1) | instskip(SKIP_1) | instid1(VALU_DEP_1)
	v_fma_mix_f32 v2, v10, v17, v2 op_sel_hi:[0,1,0]
	s_waitcnt vmcnt(16)
	v_fma_mix_f32 v2, v11, v18, v2 op_sel_hi:[0,1,0]
	ds_load_b128 v[8:11], v44 offset:80
	s_waitcnt vmcnt(15) lgkmcnt(1)
	v_fma_mix_f32 v2, v4, v19, v2 op_sel_hi:[0,1,0]
	s_waitcnt vmcnt(14)
	s_delay_alu instid0(VALU_DEP_1) | instskip(SKIP_1) | instid1(VALU_DEP_1)
	v_fma_mix_f32 v2, v5, v20, v2 op_sel_hi:[0,1,0]
	s_waitcnt vmcnt(13)
	v_fma_mix_f32 v2, v6, v34, v2 op_sel_hi:[0,1,0]
	s_waitcnt vmcnt(12)
	s_delay_alu instid0(VALU_DEP_1) | instskip(SKIP_4) | instid1(VALU_DEP_1)
	v_fma_mix_f32 v2, v7, v35, v2 op_sel_hi:[0,1,0]
	ds_load_b128 v[4:7], v44 offset:96
	s_waitcnt vmcnt(11) lgkmcnt(1)
	v_fma_mix_f32 v2, v8, v36, v2 op_sel_hi:[0,1,0]
	s_waitcnt vmcnt(10)
	v_fma_mix_f32 v2, v9, v37, v2 op_sel_hi:[0,1,0]
	s_waitcnt vmcnt(9)
	s_delay_alu instid0(VALU_DEP_1) | instskip(SKIP_1) | instid1(VALU_DEP_1)
	v_fma_mix_f32 v2, v10, v38, v2 op_sel_hi:[0,1,0]
	s_waitcnt vmcnt(8)
	v_fma_mix_f32 v2, v11, v39, v2 op_sel_hi:[0,1,0]
	ds_load_b128 v[8:11], v44 offset:112
	s_waitcnt vmcnt(7) lgkmcnt(1)
	v_fma_mix_f32 v2, v4, v40, v2 op_sel_hi:[0,1,0]
	s_waitcnt vmcnt(6)
	s_delay_alu instid0(VALU_DEP_1) | instskip(SKIP_1) | instid1(VALU_DEP_1)
	v_fma_mix_f32 v2, v5, v13, v2 op_sel_hi:[0,1,0]
	s_waitcnt vmcnt(5)
	v_fma_mix_f32 v2, v6, v14, v2 op_sel_hi:[0,1,0]
	s_waitcnt vmcnt(4)
	s_delay_alu instid0(VALU_DEP_1) | instskip(SKIP_1) | instid1(VALU_DEP_1)
	v_fma_mix_f32 v2, v7, v15, v2 op_sel_hi:[0,1,0]
	s_waitcnt vmcnt(3) lgkmcnt(0)
	v_fma_mix_f32 v2, v8, v16, v2 op_sel_hi:[0,1,0]
	s_waitcnt vmcnt(2)
	s_delay_alu instid0(VALU_DEP_1) | instskip(SKIP_1) | instid1(VALU_DEP_1)
	v_fma_mix_f32 v2, v9, v41, v2 op_sel_hi:[0,1,0]
	s_waitcnt vmcnt(1)
	v_fma_mix_f32 v2, v10, v42, v2 op_sel_hi:[0,1,0]
	s_waitcnt vmcnt(0)
	s_delay_alu instid0(VALU_DEP_1)
	v_fma_mix_f32 v4, v11, v43, v2 op_sel_hi:[0,1,0]
	s_branch .LBB222_14
.LBB222_17:
	v_mov_b32_e32 v1, 0
	s_and_b32 vcc_lo, exec_lo, s15
	ds_load_b32 v1, v1 offset:1152
	s_cbranch_vccz .LBB222_19
; %bb.18:
	s_add_u32 s2, s12, s16
	s_addc_u32 s3, s13, s17
	s_load_b32 s2, s[2:3], 0x0
	s_mov_b32 s3, 0
.LBB222_19:
	s_waitcnt lgkmcnt(0)
	v_add_f32_e32 v1, 0x358637bd, v1
	s_mul_i32 s3, s33, s3
	s_mul_hi_u32 s4, s33, s2
	s_mul_i32 s2, s33, s2
	s_add_i32 s3, s4, s3
	v_div_scale_f32 v2, null, v1, v1, 1.0
	v_div_scale_f32 v6, vcc_lo, 1.0, v1, 1.0
	s_lshl_b64 s[2:3], s[2:3], 7
	s_delay_alu instid0(VALU_DEP_2) | instskip(SKIP_4) | instid1(SALU_CYCLE_1)
	v_rcp_f32_e32 v3, v2
	s_mov_b32 s15, 0
	s_add_u32 s2, s0, s2
	s_addc_u32 s3, s1, s3
	s_lshl_b64 s[0:1], s[14:15], 7
	s_add_u32 s0, s2, s0
	s_addc_u32 s1, s3, s1
	v_add_co_u32 v0, s0, s0, v0
	s_waitcnt_depctr 0xfff
	v_fma_f32 v5, -v2, v3, 1.0
	s_delay_alu instid0(VALU_DEP_1) | instskip(NEXT) | instid1(VALU_DEP_1)
	v_fmac_f32_e32 v3, v5, v3
	v_mul_f32_e32 v5, v6, v3
	s_delay_alu instid0(VALU_DEP_1) | instskip(NEXT) | instid1(VALU_DEP_1)
	v_fma_f32 v7, -v2, v5, v6
	v_fmac_f32_e32 v5, v7, v3
	s_delay_alu instid0(VALU_DEP_1) | instskip(NEXT) | instid1(VALU_DEP_1)
	v_fma_f32 v2, -v2, v5, v6
	v_div_fmas_f32 v2, v2, v3, v5
	s_delay_alu instid0(VALU_DEP_1) | instskip(NEXT) | instid1(VALU_DEP_1)
	v_div_fixup_f32 v1, v2, v1, 1.0
	v_fma_mixlo_f16 v1, v4, v1, 0
	s_delay_alu instid0(VALU_DEP_1)
	v_cvt_i16_f16_e32 v2, v1
	v_add_co_ci_u32_e64 v1, null, s1, 0, s0
	global_store_b8 v[0:1], v2, off
	s_nop 0
	s_sendmsg sendmsg(MSG_DEALLOC_VGPRS)
	s_endpgm
.LBB222_20:
	s_mov_b32 s4, 0
	s_branch .LBB222_2
	.section	.rodata,"a",@progbits
	.p2align	6, 0x0
	.amdhsa_kernel _Z35paged_attention_ll4mi_reduce_kernelIDF16_hLi128ELi128ELi256ELi9EEvPT0_PKfS3_PKT_PKiS8_iS3_
		.amdhsa_group_segment_fixed_size 1156
		.amdhsa_private_segment_fixed_size 0
		.amdhsa_kernarg_size 320
		.amdhsa_user_sgpr_count 14
		.amdhsa_user_sgpr_dispatch_ptr 0
		.amdhsa_user_sgpr_queue_ptr 0
		.amdhsa_user_sgpr_kernarg_segment_ptr 1
		.amdhsa_user_sgpr_dispatch_id 0
		.amdhsa_user_sgpr_private_segment_size 0
		.amdhsa_wavefront_size32 1
		.amdhsa_uses_dynamic_stack 0
		.amdhsa_enable_private_segment 0
		.amdhsa_system_sgpr_workgroup_id_x 1
		.amdhsa_system_sgpr_workgroup_id_y 1
		.amdhsa_system_sgpr_workgroup_id_z 0
		.amdhsa_system_sgpr_workgroup_info 0
		.amdhsa_system_vgpr_workitem_id 0
		.amdhsa_next_free_vgpr 52
		.amdhsa_next_free_sgpr 47
		.amdhsa_reserve_vcc 1
		.amdhsa_float_round_mode_32 0
		.amdhsa_float_round_mode_16_64 0
		.amdhsa_float_denorm_mode_32 3
		.amdhsa_float_denorm_mode_16_64 3
		.amdhsa_dx10_clamp 1
		.amdhsa_ieee_mode 1
		.amdhsa_fp16_overflow 0
		.amdhsa_workgroup_processor_mode 1
		.amdhsa_memory_ordered 1
		.amdhsa_forward_progress 0
		.amdhsa_shared_vgpr_count 0
		.amdhsa_exception_fp_ieee_invalid_op 0
		.amdhsa_exception_fp_denorm_src 0
		.amdhsa_exception_fp_ieee_div_zero 0
		.amdhsa_exception_fp_ieee_overflow 0
		.amdhsa_exception_fp_ieee_underflow 0
		.amdhsa_exception_fp_ieee_inexact 0
		.amdhsa_exception_int_div_zero 0
	.end_amdhsa_kernel
	.section	.text._Z35paged_attention_ll4mi_reduce_kernelIDF16_hLi128ELi128ELi256ELi9EEvPT0_PKfS3_PKT_PKiS8_iS3_,"axG",@progbits,_Z35paged_attention_ll4mi_reduce_kernelIDF16_hLi128ELi128ELi256ELi9EEvPT0_PKfS3_PKT_PKiS8_iS3_,comdat
.Lfunc_end222:
	.size	_Z35paged_attention_ll4mi_reduce_kernelIDF16_hLi128ELi128ELi256ELi9EEvPT0_PKfS3_PKT_PKiS8_iS3_, .Lfunc_end222-_Z35paged_attention_ll4mi_reduce_kernelIDF16_hLi128ELi128ELi256ELi9EEvPT0_PKfS3_PKT_PKiS8_iS3_
                                        ; -- End function
	.section	.AMDGPU.csdata,"",@progbits
; Kernel info:
; codeLenInByte = 6744
; NumSgprs: 49
; NumVgprs: 52
; ScratchSize: 0
; MemoryBound: 0
; FloatMode: 240
; IeeeMode: 1
; LDSByteSize: 1156 bytes/workgroup (compile time only)
; SGPRBlocks: 6
; VGPRBlocks: 6
; NumSGPRsForWavesPerEU: 49
; NumVGPRsForWavesPerEU: 52
; Occupancy: 16
; WaveLimiterHint : 0
; COMPUTE_PGM_RSRC2:SCRATCH_EN: 0
; COMPUTE_PGM_RSRC2:USER_SGPR: 14
; COMPUTE_PGM_RSRC2:TRAP_HANDLER: 0
; COMPUTE_PGM_RSRC2:TGID_X_EN: 1
; COMPUTE_PGM_RSRC2:TGID_Y_EN: 1
; COMPUTE_PGM_RSRC2:TGID_Z_EN: 0
; COMPUTE_PGM_RSRC2:TIDIG_COMP_CNT: 0
	.section	.text._Z35paged_attention_ll4mi_reduce_kernelIDF16_hLi128ELi128ELi256ELi10EEvPT0_PKfS3_PKT_PKiS8_iS3_,"axG",@progbits,_Z35paged_attention_ll4mi_reduce_kernelIDF16_hLi128ELi128ELi256ELi10EEvPT0_PKfS3_PKT_PKiS8_iS3_,comdat
	.protected	_Z35paged_attention_ll4mi_reduce_kernelIDF16_hLi128ELi128ELi256ELi10EEvPT0_PKfS3_PKT_PKiS8_iS3_ ; -- Begin function _Z35paged_attention_ll4mi_reduce_kernelIDF16_hLi128ELi128ELi256ELi10EEvPT0_PKfS3_PKT_PKiS8_iS3_
	.globl	_Z35paged_attention_ll4mi_reduce_kernelIDF16_hLi128ELi128ELi256ELi10EEvPT0_PKfS3_PKT_PKiS8_iS3_
	.p2align	8
	.type	_Z35paged_attention_ll4mi_reduce_kernelIDF16_hLi128ELi128ELi256ELi10EEvPT0_PKfS3_PKT_PKiS8_iS3_,@function
_Z35paged_attention_ll4mi_reduce_kernelIDF16_hLi128ELi128ELi256ELi10EEvPT0_PKfS3_PKT_PKiS8_iS3_: ; @_Z35paged_attention_ll4mi_reduce_kernelIDF16_hLi128ELi128ELi256ELi10EEvPT0_PKfS3_PKT_PKiS8_iS3_
; %bb.0:
	s_load_b64 s[12:13], s[0:1], 0x28
	s_mov_b32 s2, s15
	s_waitcnt lgkmcnt(0)
	s_cmp_lg_u64 s[12:13], 0
	s_cselect_b32 s15, -1, 0
	s_delay_alu instid0(SALU_CYCLE_1)
	s_and_b32 vcc_lo, exec_lo, s15
	s_cbranch_vccz .LBB223_20
; %bb.1:
	s_add_i32 s4, s2, 1
	s_mov_b32 s5, 0
	s_delay_alu instid0(SALU_CYCLE_1) | instskip(SKIP_4) | instid1(SALU_CYCLE_1)
	s_lshl_b64 s[6:7], s[4:5], 2
	s_mov_b32 s3, s5
	s_add_u32 s6, s12, s6
	s_addc_u32 s7, s13, s7
	s_lshl_b64 s[8:9], s[2:3], 2
	s_add_u32 s8, s12, s8
	s_addc_u32 s9, s13, s9
	s_clause 0x1
	s_load_b32 s4, s[6:7], 0x0
	s_load_b32 s6, s[8:9], 0x0
	s_waitcnt lgkmcnt(0)
	s_sub_i32 s4, s4, s6
	s_delay_alu instid0(SALU_CYCLE_1)
	s_cmp_eq_u32 s4, 1
	s_cselect_b32 s4, -1, 0
	s_cbranch_execnz .LBB223_3
.LBB223_2:
	s_mov_b32 s3, 0
	s_mov_b32 s4, -1
.LBB223_3:
	s_delay_alu instid0(SALU_CYCLE_1)
	s_and_not1_b32 vcc_lo, exec_lo, s4
	s_cbranch_vccz .LBB223_5
; %bb.4:
	s_endpgm
.LBB223_5:
	s_clause 0x1
	s_load_b128 s[4:7], s[0:1], 0x18
	s_load_b32 s9, s[0:1], 0x30
	s_lshl_b64 s[16:17], s[2:3], 2
	s_waitcnt lgkmcnt(0)
	s_add_u32 s6, s6, s16
	s_addc_u32 s7, s7, s17
	s_load_b32 s23, s[6:7], 0x0
	s_load_b32 s33, s[0:1], 0x40
	s_mul_i32 s7, s2, s9
	s_waitcnt lgkmcnt(0)
	s_add_i32 s22, s23, 0xff
	s_delay_alu instid0(SALU_CYCLE_1) | instskip(NEXT) | instid1(SALU_CYCLE_1)
	s_ashr_i32 s6, s22, 31
	s_lshr_b32 s6, s6, 24
	s_delay_alu instid0(SALU_CYCLE_1) | instskip(SKIP_4) | instid1(SALU_CYCLE_1)
	s_add_i32 s8, s22, s6
	s_mul_i32 s6, s14, s9
	s_mov_b32 s9, exec_lo
	v_cmpx_lt_u32_e32 31, v0
	s_xor_b32 s9, exec_lo, s9
	s_or_saveexec_b32 s24, s9
	v_mov_b32_e32 v1, s6
	s_ashr_i32 s40, s8, 8
	s_mul_i32 s18, s7, s33
	s_xor_b32 exec_lo, exec_lo, s24
	s_cbranch_execz .LBB223_9
; %bb.6:
	v_or_b32_e32 v2, 32, v0
	v_cmp_gt_i32_e32 vcc_lo, s40, v0
	s_add_i32 s25, s40, -1
	v_or_b32_e32 v4, 64, v0
	v_or_b32_e32 v6, 0x60, v0
	s_load_b128 s[8:11], s[0:1], 0x8
	v_cndmask_b32_e32 v1, s25, v0, vcc_lo
	v_cmp_gt_i32_e32 vcc_lo, s40, v2
	s_mov_b32 s19, 0
	v_or_b32_e32 v10, 0x120, v0
	s_lshl_b64 s[20:21], s[18:19], 2
	s_mov_b32 s7, s19
	v_cndmask_b32_e32 v3, s25, v2, vcc_lo
	v_cmp_gt_i32_e32 vcc_lo, s40, v4
	v_or_b32_e32 v2, 0x80, v0
	v_cndmask_b32_e32 v5, s25, v4, vcc_lo
	v_cmp_gt_i32_e32 vcc_lo, s40, v6
	v_or_b32_e32 v4, 0xa0, v0
	;; [unrolled: 3-line block ×3, first 2 shown]
	s_waitcnt lgkmcnt(0)
	s_add_u32 s19, s10, s20
	s_addc_u32 s26, s11, s21
	s_lshl_b64 s[10:11], s[6:7], 2
	v_cndmask_b32_e32 v9, s25, v2, vcc_lo
	v_or_b32_e32 v2, 0xc0, v0
	v_cmp_gt_i32_e32 vcc_lo, s40, v4
	s_add_u32 s7, s19, s10
	s_addc_u32 s19, s26, s11
	v_ashrrev_i32_e32 v8, 31, v7
	v_cndmask_b32_e32 v11, s25, v4, vcc_lo
	v_cmp_gt_i32_e32 vcc_lo, s40, v2
	v_or_b32_e32 v4, 0x100, v0
	s_delay_alu instid0(VALU_DEP_4) | instskip(NEXT) | instid1(VALU_DEP_4)
	v_lshlrev_b64 v[7:8], 2, v[7:8]
	v_ashrrev_i32_e32 v12, 31, v11
	v_cndmask_b32_e32 v13, s25, v2, vcc_lo
	v_cmp_gt_i32_e32 vcc_lo, s40, v6
	v_ashrrev_i32_e32 v2, 31, v1
	s_delay_alu instid0(VALU_DEP_4) | instskip(NEXT) | instid1(VALU_DEP_4)
	v_lshlrev_b64 v[11:12], 2, v[11:12]
	v_ashrrev_i32_e32 v14, 31, v13
	v_cndmask_b32_e32 v15, s25, v6, vcc_lo
	v_cmp_gt_i32_e32 vcc_lo, s40, v4
	v_lshlrev_b64 v[1:2], 2, v[1:2]
	v_ashrrev_i32_e32 v6, 31, v5
	v_lshlrev_b64 v[13:14], 2, v[13:14]
	v_ashrrev_i32_e32 v16, 31, v15
	v_cndmask_b32_e32 v17, s25, v4, vcc_lo
	v_ashrrev_i32_e32 v4, 31, v3
	v_add_co_u32 v18, vcc_lo, s7, v1
	v_add_co_ci_u32_e32 v19, vcc_lo, s19, v2, vcc_lo
	s_delay_alu instid0(VALU_DEP_3) | instskip(SKIP_2) | instid1(VALU_DEP_3)
	v_lshlrev_b64 v[3:4], 2, v[3:4]
	v_lshlrev_b64 v[5:6], 2, v[5:6]
	;; [unrolled: 1-line block ×3, first 2 shown]
	v_add_co_u32 v20, vcc_lo, s7, v3
	s_delay_alu instid0(VALU_DEP_4)
	v_add_co_ci_u32_e32 v21, vcc_lo, s19, v4, vcc_lo
	v_cmp_gt_i32_e32 vcc_lo, s40, v10
	s_clause 0x1
	global_load_b32 v34, v[18:19], off
	global_load_b32 v35, v[20:21], off
	v_ashrrev_i32_e32 v18, 31, v17
	v_cndmask_b32_e32 v22, s25, v10, vcc_lo
	v_ashrrev_i32_e32 v10, 31, v9
	v_add_co_u32 v19, vcc_lo, s7, v5
	v_add_co_ci_u32_e32 v20, vcc_lo, s19, v6, vcc_lo
	s_delay_alu instid0(VALU_DEP_3) | instskip(SKIP_3) | instid1(VALU_DEP_4)
	v_lshlrev_b64 v[9:10], 2, v[9:10]
	v_add_co_u32 v24, vcc_lo, s7, v7
	v_add_co_ci_u32_e32 v25, vcc_lo, s19, v8, vcc_lo
	v_ashrrev_i32_e32 v23, 31, v22
	v_add_co_u32 v26, vcc_lo, s7, v9
	v_add_co_ci_u32_e32 v27, vcc_lo, s19, v10, vcc_lo
	v_add_co_u32 v28, vcc_lo, s7, v11
	v_add_co_ci_u32_e32 v29, vcc_lo, s19, v12, vcc_lo
	;; [unrolled: 2-line block ×3, first 2 shown]
	v_lshlrev_b64 v[17:18], 2, v[17:18]
	v_add_co_u32 v32, vcc_lo, s7, v15
	v_add_co_ci_u32_e32 v33, vcc_lo, s19, v16, vcc_lo
	s_clause 0x5
	global_load_b32 v36, v[19:20], off
	global_load_b32 v25, v[24:25], off
	;; [unrolled: 1-line block ×6, first 2 shown]
	v_lshlrev_b64 v[19:20], 2, v[22:23]
	v_add_co_u32 v21, vcc_lo, s7, v17
	v_add_co_ci_u32_e32 v22, vcc_lo, s19, v18, vcc_lo
	s_delay_alu instid0(VALU_DEP_3) | instskip(NEXT) | instid1(VALU_DEP_4)
	v_add_co_u32 v23, vcc_lo, s7, v19
	v_add_co_ci_u32_e32 v24, vcc_lo, s19, v20, vcc_lo
	s_clause 0x1
	global_load_b32 v21, v[21:22], off
	global_load_b32 v22, v[23:24], off
	s_add_u32 s7, s8, s20
	s_addc_u32 s8, s9, s21
	s_add_u32 s7, s7, s10
	s_addc_u32 s8, s8, s11
	v_add_co_u32 v1, vcc_lo, s7, v1
	v_add_co_ci_u32_e32 v2, vcc_lo, s8, v2, vcc_lo
	v_add_co_u32 v3, vcc_lo, s7, v3
	v_add_co_ci_u32_e32 v4, vcc_lo, s8, v4, vcc_lo
	;; [unrolled: 2-line block ×4, first 2 shown]
	s_clause 0x1
	global_load_b32 v30, v[1:2], off
	global_load_b32 v31, v[3:4], off
	v_add_co_u32 v9, vcc_lo, s7, v9
	v_mbcnt_lo_u32_b32 v23, -1, 0
	s_clause 0x1
	global_load_b32 v5, v[5:6], off
	global_load_b32 v7, v[7:8], off
	v_add_co_ci_u32_e32 v10, vcc_lo, s8, v10, vcc_lo
	v_add_co_u32 v1, vcc_lo, s7, v11
	v_add_co_ci_u32_e32 v2, vcc_lo, s8, v12, vcc_lo
	v_xor_b32_e32 v24, 16, v23
	s_waitcnt vmcnt(12)
	v_dual_max_f32 v4, v34, v34 :: v_dual_max_f32 v3, v35, v35
	s_delay_alu instid0(VALU_DEP_1)
	v_max_f32_e32 v6, v4, v3
	v_add_co_u32 v3, vcc_lo, s7, v13
	v_add_co_ci_u32_e32 v4, vcc_lo, s8, v14, vcc_lo
	v_cmp_gt_i32_e32 vcc_lo, 32, v24
	s_clause 0x2
	global_load_b32 v9, v[9:10], off
	global_load_b32 v10, v[1:2], off
	;; [unrolled: 1-line block ×3, first 2 shown]
	v_xor_b32_e32 v13, 8, v23
	v_cndmask_b32_e32 v8, v23, v24, vcc_lo
	v_add_co_u32 v1, vcc_lo, s7, v15
	v_add_co_ci_u32_e32 v2, vcc_lo, s8, v16, vcc_lo
	v_xor_b32_e32 v15, 1, v23
	s_waitcnt vmcnt(13)
	v_max3_f32 v6, v6, v36, v25
	s_waitcnt vmcnt(11)
	s_delay_alu instid0(VALU_DEP_1)
	v_max3_f32 v4, v6, v26, v27
	v_lshlrev_b32_e32 v6, 2, v8
	global_load_b32 v8, v[1:2], off
	v_add_co_u32 v1, vcc_lo, s7, v17
	s_waitcnt vmcnt(10)
	v_max3_f32 v4, v4, v28, v29
	v_add_co_ci_u32_e32 v2, vcc_lo, s8, v18, vcc_lo
	global_load_b32 v12, v[1:2], off
	s_waitcnt vmcnt(9)
	v_max3_f32 v4, v4, v21, v22
	v_add_co_u32 v1, vcc_lo, s7, v19
	v_add_co_ci_u32_e32 v2, vcc_lo, s8, v20, vcc_lo
	ds_bpermute_b32 v11, v6, v4
	v_cmp_gt_i32_e32 vcc_lo, 32, v13
	s_mov_b32 s7, exec_lo
	global_load_b32 v14, v[1:2], off
	v_cndmask_b32_e32 v1, v23, v13, vcc_lo
	v_xor_b32_e32 v13, 2, v23
	s_waitcnt lgkmcnt(0)
	s_delay_alu instid0(VALU_DEP_2) | instskip(SKIP_1) | instid1(VALU_DEP_2)
	v_dual_max_f32 v2, v11, v11 :: v_dual_lshlrev_b32 v1, 2, v1
	v_xor_b32_e32 v11, 4, v23
	v_max_f32_e32 v2, v4, v2
	s_delay_alu instid0(VALU_DEP_2) | instskip(SKIP_3) | instid1(VALU_DEP_2)
	v_cmp_gt_i32_e32 vcc_lo, 32, v11
	ds_bpermute_b32 v4, v1, v2
	v_cndmask_b32_e32 v11, v23, v11, vcc_lo
	v_cmp_gt_i32_e32 vcc_lo, 32, v13
	v_lshlrev_b32_e32 v11, 2, v11
	v_cndmask_b32_e32 v13, v23, v13, vcc_lo
	v_cmp_gt_i32_e32 vcc_lo, 32, v15
	s_delay_alu instid0(VALU_DEP_2) | instskip(SKIP_2) | instid1(VALU_DEP_1)
	v_lshlrev_b32_e32 v13, 2, v13
	v_cndmask_b32_e32 v15, v23, v15, vcc_lo
	s_waitcnt lgkmcnt(0)
	v_dual_max_f32 v4, v4, v4 :: v_dual_lshlrev_b32 v15, 2, v15
	s_delay_alu instid0(VALU_DEP_1) | instskip(SKIP_3) | instid1(VALU_DEP_1)
	v_max_f32_e32 v2, v2, v4
	ds_bpermute_b32 v4, v11, v2
	s_waitcnt lgkmcnt(0)
	v_max_f32_e32 v4, v4, v4
	v_max_f32_e32 v2, v2, v4
	ds_bpermute_b32 v4, v13, v2
	s_waitcnt lgkmcnt(0)
	v_max_f32_e32 v4, v4, v4
	s_delay_alu instid0(VALU_DEP_1) | instskip(SKIP_3) | instid1(VALU_DEP_1)
	v_max_f32_e32 v2, v2, v4
	ds_bpermute_b32 v4, v15, v2
	s_waitcnt lgkmcnt(0)
	v_max_f32_e32 v4, v4, v4
	v_max_f32_e32 v2, v2, v4
	v_sub_nc_u32_e32 v4, s40, v0
	s_delay_alu instid0(VALU_DEP_2)
	v_sub_f32_e32 v20, v26, v2
	v_sub_f32_e32 v16, v34, v2
	;; [unrolled: 1-line block ×9, first 2 shown]
	v_dual_mul_f32 v29, 0x3fb8aa3b, v20 :: v_dual_sub_f32 v2, v22, v2
	s_delay_alu instid0(VALU_DEP_4)
	v_mul_f32_e32 v33, 0x3fb8aa3b, v24
	v_mul_f32_e32 v22, 0x3fb8aa3b, v16
	;; [unrolled: 1-line block ×4, first 2 shown]
	v_fma_f32 v45, 0x3fb8aa3b, v20, -v29
	v_rndne_f32_e32 v46, v29
	v_fma_f32 v37, 0x3fb8aa3b, v16, -v22
	v_rndne_f32_e32 v38, v22
	;; [unrolled: 2-line block ×3, first 2 shown]
	v_mul_f32_e32 v27, 0x3fb8aa3b, v18
	s_delay_alu instid0(VALU_DEP_4) | instskip(SKIP_1) | instid1(VALU_DEP_4)
	v_dual_fmac_f32 v37, 0x32a5705f, v16 :: v_dual_sub_f32 v22, v22, v38
	v_rndne_f32_e32 v44, v28
	v_dual_fmac_f32 v39, 0x32a5705f, v17 :: v_dual_sub_f32 v26, v26, v40
	s_delay_alu instid0(VALU_DEP_3) | instskip(SKIP_1) | instid1(VALU_DEP_4)
	v_dual_fmac_f32 v45, 0x32a5705f, v20 :: v_dual_add_f32 v22, v22, v37
	v_fma_f32 v43, 0x3fb8aa3b, v19, -v28
	v_dual_sub_f32 v28, v28, v44 :: v_dual_sub_f32 v29, v29, v46
	s_delay_alu instid0(VALU_DEP_4) | instskip(NEXT) | instid1(VALU_DEP_4)
	v_add_f32_e32 v26, v26, v39
	v_exp_f32_e32 v22, v22
	v_mul_f32_e32 v32, 0x3fb8aa3b, v23
	v_mul_f32_e32 v34, 0x3fb8aa3b, v25
	v_fma_f32 v41, 0x3fb8aa3b, v18, -v27
	v_rndne_f32_e32 v42, v27
	v_cvt_i32_f32_e32 v38, v38
	v_exp_f32_e32 v26, v26
	v_dual_mul_f32 v35, 0x3fb8aa3b, v21 :: v_dual_mul_f32 v36, 0x3fb8aa3b, v2
	v_fma_f32 v47, 0x3fb8aa3b, v23, -v32
	v_rndne_f32_e32 v48, v32
	v_rndne_f32_e32 v52, v34
	v_cvt_i32_f32_e32 v40, v40
	v_fmac_f32_e32 v41, 0x32a5705f, v18
	v_sub_f32_e32 v27, v27, v42
	v_ldexp_f32 v22, v22, v38
	v_cmp_ngt_f32_e32 vcc_lo, 0xc2ce8ed0, v16
	v_fma_f32 v49, 0x3fb8aa3b, v24, -v33
	v_fma_f32 v51, 0x3fb8aa3b, v25, -v34
	v_sub_f32_e32 v34, v34, v52
	v_rndne_f32_e32 v56, v36
	v_fmac_f32_e32 v43, 0x32a5705f, v19
	v_dual_fmac_f32 v47, 0x32a5705f, v23 :: v_dual_cndmask_b32 v22, 0, v22
	v_sub_f32_e32 v32, v32, v48
	v_ldexp_f32 v26, v26, v40
	v_cmp_ngt_f32_e32 vcc_lo, 0xc2ce8ed0, v17
	v_add_f32_e32 v27, v27, v41
	v_fma_f32 v55, 0x3fb8aa3b, v2, -v36
	v_sub_f32_e32 v36, v36, v56
	v_dual_fmac_f32 v49, 0x32a5705f, v24 :: v_dual_add_f32 v28, v28, v43
	v_cndmask_b32_e32 v26, 0, v26, vcc_lo
	v_exp_f32_e32 v27, v27
	v_rndne_f32_e32 v50, v33
	v_cvt_i32_f32_e32 v42, v42
	v_add_f32_e32 v29, v29, v45
	v_exp_f32_e32 v28, v28
	v_cvt_i32_f32_e32 v44, v44
	v_dual_sub_f32 v33, v33, v50 :: v_dual_add_f32 v32, v32, v47
	s_delay_alu instid0(VALU_DEP_3) | instskip(SKIP_1) | instid1(TRANS32_DEP_3)
	v_exp_f32_e32 v29, v29
	v_cmp_ngt_f32_e32 vcc_lo, 0xc2ce8ed0, v18
	v_ldexp_f32 v27, v27, v42
	v_rndne_f32_e32 v54, v35
	v_cvt_i32_f32_e32 v46, v46
	v_exp_f32_e32 v32, v32
	s_delay_alu instid0(TRANS32_DEP_3)
	v_ldexp_f32 v28, v28, v44
	v_cndmask_b32_e32 v27, 0, v27, vcc_lo
	v_cmp_ngt_f32_e32 vcc_lo, 0xc2ce8ed0, v19
	v_fma_f32 v53, 0x3fb8aa3b, v21, -v35
	v_cvt_i32_f32_e32 v48, v48
	v_sub_f32_e32 v35, v35, v54
	v_ldexp_f32 v29, v29, v46
	v_cndmask_b32_e32 v28, 0, v28, vcc_lo
	v_cmp_ngt_f32_e32 vcc_lo, 0xc2ce8ed0, v20
	v_ldexp_f32 v32, v32, v48
	v_add_f32_e32 v33, v33, v49
	v_cvt_i32_f32_e32 v50, v50
	v_cvt_i32_f32_e32 v52, v52
	v_cndmask_b32_e32 v29, 0, v29, vcc_lo
	v_cmp_ngt_f32_e32 vcc_lo, 0xc2ce8ed0, v23
	v_fmac_f32_e32 v55, 0x32a5705f, v2
	v_exp_f32_e32 v33, v33
	v_cvt_i32_f32_e32 v54, v54
	v_dual_cndmask_b32 v32, 0, v32 :: v_dual_fmac_f32 v51, 0x32a5705f, v25
	s_delay_alu instid0(VALU_DEP_3) | instskip(SKIP_1) | instid1(VALU_DEP_3)
	v_dual_add_f32 v36, v36, v55 :: v_dual_fmac_f32 v53, 0x32a5705f, v21
	v_cmp_ngt_f32_e32 vcc_lo, 0xc2ce8ed0, v24
	v_add_f32_e32 v34, v34, v51
	s_waitcnt_depctr 0xfff
	v_ldexp_f32 v33, v33, v50
	v_exp_f32_e32 v36, v36
	v_exp_f32_e32 v34, v34
	s_delay_alu instid0(VALU_DEP_1) | instskip(SKIP_3) | instid1(VALU_DEP_1)
	v_cndmask_b32_e32 v33, 0, v33, vcc_lo
	v_cmp_ngt_f32_e32 vcc_lo, 0xc2ce8ed0, v25
	s_waitcnt_depctr 0xfff
	v_ldexp_f32 v34, v34, v52
	v_cndmask_b32_e32 v34, 0, v34, vcc_lo
	v_cmp_nlt_f32_e32 vcc_lo, 0x42b17218, v16
	v_cndmask_b32_e32 v16, 0x7f800000, v22, vcc_lo
	v_cmp_nlt_f32_e32 vcc_lo, 0x42b17218, v17
	;; [unrolled: 2-line block ×3, first 2 shown]
	v_dual_add_f32 v35, v35, v53 :: v_dual_cndmask_b32 v18, 0x7f800000, v27
	v_cmp_nlt_f32_e32 vcc_lo, 0x42b17218, v19
	s_delay_alu instid0(VALU_DEP_2)
	v_exp_f32_e32 v35, v35
	v_cndmask_b32_e32 v19, 0x7f800000, v28, vcc_lo
	v_cmp_nlt_f32_e32 vcc_lo, 0x42b17218, v20
	v_cndmask_b32_e32 v20, 0x7f800000, v29, vcc_lo
	v_cmp_nlt_f32_e32 vcc_lo, 0x42b17218, v23
	s_waitcnt_depctr 0xfff
	v_ldexp_f32 v35, v35, v54
	v_cndmask_b32_e32 v22, 0x7f800000, v32, vcc_lo
	v_cmp_lt_i32_e32 vcc_lo, 0, v4
	v_cndmask_b32_e32 v16, 0, v16, vcc_lo
	v_cmp_lt_i32_e32 vcc_lo, 32, v4
	s_waitcnt vmcnt(9)
	s_delay_alu instid0(VALU_DEP_2) | instskip(SKIP_2) | instid1(VALU_DEP_2)
	v_dual_mul_f32 v16, v30, v16 :: v_dual_cndmask_b32 v17, 0, v17
	v_cmp_nlt_f32_e32 vcc_lo, 0x42b17218, v24
	s_waitcnt vmcnt(8)
	v_mul_f32_e32 v17, v31, v17
	v_cndmask_b32_e32 v23, 0x7f800000, v33, vcc_lo
	v_cmp_lt_i32_e32 vcc_lo, 64, v4
	v_cndmask_b32_e32 v18, 0, v18, vcc_lo
	v_cmp_lt_i32_e32 vcc_lo, 0x60, v4
	s_waitcnt vmcnt(7)
	s_delay_alu instid0(VALU_DEP_2) | instskip(SKIP_2) | instid1(VALU_DEP_3)
	v_dual_mul_f32 v5, v5, v18 :: v_dual_add_f32 v18, v16, v17
	v_cndmask_b32_e32 v19, 0, v19, vcc_lo
	v_cmp_lt_i32_e32 vcc_lo, 0x80, v4
	v_add_f32_e32 v18, v18, v5
	v_cndmask_b32_e32 v20, 0, v20, vcc_lo
	v_cmp_lt_i32_e32 vcc_lo, 0xa0, v4
	s_waitcnt vmcnt(6)
	v_dual_cndmask_b32 v22, 0, v22 :: v_dual_mul_f32 v7, v7, v19
	v_cmp_lt_i32_e32 vcc_lo, 0xc0, v4
	s_waitcnt vmcnt(4)
	s_delay_alu instid0(VALU_DEP_2) | instskip(NEXT) | instid1(VALU_DEP_3)
	v_dual_mul_f32 v9, v9, v20 :: v_dual_mul_f32 v10, v10, v22
	v_add_f32_e32 v18, v18, v7
	v_cndmask_b32_e32 v23, 0, v23, vcc_lo
	v_cmp_nlt_f32_e32 vcc_lo, 0x42b17218, v25
	v_cvt_i32_f32_e32 v22, v56
	s_waitcnt vmcnt(3)
	s_delay_alu instid0(VALU_DEP_3) | instskip(NEXT) | instid1(VALU_DEP_1)
	v_dual_add_f32 v18, v18, v9 :: v_dual_mul_f32 v3, v3, v23
	v_add_f32_e32 v18, v18, v10
	v_cndmask_b32_e32 v19, 0x7f800000, v34, vcc_lo
	v_cmp_ngt_f32_e32 vcc_lo, 0xc2ce8ed0, v21
	s_delay_alu instid0(VALU_DEP_3) | instskip(SKIP_4) | instid1(VALU_DEP_4)
	v_add_f32_e32 v18, v18, v3
	v_cndmask_b32_e32 v20, 0, v35, vcc_lo
	v_cmp_lt_i32_e32 vcc_lo, 0xe0, v4
	v_cndmask_b32_e32 v19, 0, v19, vcc_lo
	v_cmp_nlt_f32_e32 vcc_lo, 0x42b17218, v21
	v_cndmask_b32_e32 v20, 0x7f800000, v20, vcc_lo
	v_cmp_lt_i32_e32 vcc_lo, 0x100, v4
	s_delay_alu instid0(VALU_DEP_2)
	v_cndmask_b32_e32 v20, 0, v20, vcc_lo
	s_waitcnt vmcnt(2)
	v_mul_f32_e32 v8, v8, v19
	v_ldexp_f32 v19, v36, v22
	v_cmp_ngt_f32_e32 vcc_lo, 0xc2ce8ed0, v2
	s_waitcnt vmcnt(1)
	v_mul_f32_e32 v12, v12, v20
	s_delay_alu instid0(VALU_DEP_3) | instskip(SKIP_1) | instid1(VALU_DEP_2)
	v_dual_add_f32 v18, v18, v8 :: v_dual_cndmask_b32 v19, 0, v19
	v_cmp_nlt_f32_e32 vcc_lo, 0x42b17218, v2
	v_cndmask_b32_e32 v2, 0x7f800000, v19, vcc_lo
	v_cmp_lt_i32_e32 vcc_lo, 0x120, v4
	s_delay_alu instid0(VALU_DEP_2) | instskip(SKIP_2) | instid1(VALU_DEP_1)
	v_cndmask_b32_e32 v4, 0, v2, vcc_lo
	v_add_f32_e32 v2, v18, v12
	s_waitcnt vmcnt(0)
	v_fmac_f32_e32 v2, v14, v4
	v_mul_f32_e32 v4, v14, v4
	ds_bpermute_b32 v6, v6, v2
	s_waitcnt lgkmcnt(0)
	v_add_f32_e32 v2, v2, v6
	v_lshlrev_b32_e32 v6, 2, v0
	ds_bpermute_b32 v1, v1, v2
	ds_store_2addr_b32 v6, v16, v17 offset1:32
	s_waitcnt lgkmcnt(1)
	v_add_f32_e32 v1, v2, v1
	ds_bpermute_b32 v2, v11, v1
	v_add_nc_u32_e32 v11, 0x400, v6
	s_waitcnt lgkmcnt(0)
	v_add_f32_e32 v1, v1, v2
	ds_store_2addr_b32 v6, v5, v7 offset0:64 offset1:96
	ds_store_2addr_b32 v6, v9, v10 offset0:128 offset1:160
	;; [unrolled: 1-line block ×3, first 2 shown]
	ds_store_2addr_b32 v11, v12, v4 offset1:32
	ds_bpermute_b32 v2, v13, v1
	s_waitcnt lgkmcnt(0)
	v_add_f32_e32 v1, v1, v2
	ds_bpermute_b32 v2, v15, v1
	v_cmpx_eq_u32_e32 0, v0
	s_cbranch_execz .LBB223_8
; %bb.7:
	s_waitcnt lgkmcnt(0)
	v_dual_add_f32 v1, v1, v2 :: v_dual_mov_b32 v2, 0
	ds_store_b32 v2, v1 offset:1280
.LBB223_8:
	s_or_b32 exec_lo, exec_lo, s7
	v_mov_b32_e32 v1, s6
.LBB223_9:
	s_or_b32 exec_lo, exec_lo, s24
	s_lshl_b32 s6, s18, 7
	s_mov_b32 s7, 0
	s_waitcnt lgkmcnt(0)
	v_dual_mov_b32 v2, 0 :: v_dual_lshlrev_b32 v1, 7, v1
	s_lshl_b64 s[6:7], s[6:7], 1
	v_dual_mov_b32 v29, 0 :: v_dual_mov_b32 v30, 0
	s_add_u32 s34, s4, s6
	s_addc_u32 s35, s5, s7
	s_lshl_b32 s41, s40, 7
	v_lshlrev_b64 v[3:4], 1, v[1:2]
	s_add_i32 s42, s41, 0xffffff80
	s_cmpk_lt_i32 s22, 0x100
	v_lshlrev_b32_e32 v1, 1, v0
	s_cselect_b32 s4, s42, 0
	v_dual_mov_b32 v31, 0 :: v_dual_mov_b32 v32, 0
	s_ashr_i32 s5, s4, 31
	v_add_co_u32 v3, vcc_lo, s34, v3
	s_lshl_b64 s[4:5], s[4:5], 1
	s_cmpk_lt_i32 s22, 0x200
	v_add_co_ci_u32_e32 v4, vcc_lo, s35, v4, vcc_lo
	s_cselect_b32 s6, s42, 0x80
	v_add_co_u32 v1, vcc_lo, v3, v1
	s_ashr_i32 s7, s6, 31
	s_delay_alu instid0(VALU_DEP_2)
	v_add_co_ci_u32_e32 v3, vcc_lo, 0, v4, vcc_lo
	s_lshl_b64 s[6:7], s[6:7], 1
	s_cmpk_lt_i32 s22, 0x300
	v_add_co_u32 v4, vcc_lo, v1, s4
	s_cselect_b32 s8, s42, 0x100
	v_add_co_ci_u32_e32 v5, vcc_lo, s5, v3, vcc_lo
	s_ashr_i32 s9, s8, 31
	v_add_co_u32 v8, vcc_lo, v1, s6
	s_lshl_b64 s[8:9], s[8:9], 1
	s_cmpk_lt_i32 s22, 0x400
	v_add_co_ci_u32_e32 v9, vcc_lo, s7, v3, vcc_lo
	s_cselect_b32 s10, s42, 0x180
	v_add_co_u32 v10, vcc_lo, v1, s8
	s_ashr_i32 s11, s10, 31
	v_add_co_ci_u32_e32 v11, vcc_lo, s9, v3, vcc_lo
	s_lshl_b64 s[10:11], s[10:11], 1
	s_cmpk_lt_i32 s22, 0x500
	v_add_co_u32 v12, vcc_lo, v1, s10
	s_cselect_b32 s18, s42, 0x200
	v_add_co_ci_u32_e32 v13, vcc_lo, s11, v3, vcc_lo
	s_ashr_i32 s19, s18, 31
	v_dual_mov_b32 v33, 0 :: v_dual_mov_b32 v34, 0
	s_lshl_b64 s[18:19], s[18:19], 1
	s_cmpk_lt_i32 s22, 0x600
	v_add_co_u32 v14, vcc_lo, v1, s18
	s_cselect_b32 s20, s42, 0x280
	v_add_co_ci_u32_e32 v15, vcc_lo, s19, v3, vcc_lo
	s_ashr_i32 s21, s20, 31
	v_mov_b32_e32 v35, 0
	s_lshl_b64 s[20:21], s[20:21], 1
	s_cmpk_lt_i32 s22, 0x700
	v_add_co_u32 v16, vcc_lo, v1, s20
	s_cselect_b32 s24, s42, 0x300
	v_add_co_ci_u32_e32 v17, vcc_lo, s21, v3, vcc_lo
	s_ashr_i32 s25, s24, 31
	s_delay_alu instid0(SALU_CYCLE_1)
	s_lshl_b64 s[24:25], s[24:25], 1
	s_cmpk_lt_i32 s22, 0x800
	v_add_co_u32 v18, vcc_lo, v1, s24
	s_cselect_b32 s26, s42, 0x380
	v_add_co_ci_u32_e32 v19, vcc_lo, s25, v3, vcc_lo
	s_ashr_i32 s27, s26, 31
	s_delay_alu instid0(SALU_CYCLE_1)
	s_lshl_b64 s[26:27], s[26:27], 1
	s_cmpk_lt_i32 s22, 0x900
	v_add_co_u32 v20, vcc_lo, v1, s26
	s_cselect_b32 s28, s42, 0x400
	v_add_co_ci_u32_e32 v21, vcc_lo, s27, v3, vcc_lo
	s_ashr_i32 s29, s28, 31
	s_clause 0x7
	global_load_u16 v7, v[4:5], off
	global_load_u16 v8, v[8:9], off
	;; [unrolled: 1-line block ×8, first 2 shown]
	s_lshl_b64 s[28:29], s[28:29], 1
	s_cmpk_lt_i32 s22, 0xa00
	v_add_co_u32 v12, vcc_lo, v1, s28
	s_cselect_b32 s30, s42, 0x480
	v_add_co_ci_u32_e32 v13, vcc_lo, s29, v3, vcc_lo
	s_ashr_i32 s31, s30, 31
	s_delay_alu instid0(SALU_CYCLE_1)
	s_lshl_b64 s[30:31], s[30:31], 1
	s_cmpk_lt_i32 s22, 0xb00
	v_add_co_u32 v15, vcc_lo, v1, s30
	s_cselect_b32 s34, s42, 0x500
	v_add_co_ci_u32_e32 v16, vcc_lo, s31, v3, vcc_lo
	s_ashr_i32 s35, s34, 31
	s_delay_alu instid0(SALU_CYCLE_1)
	;; [unrolled: 7-line block ×7, first 2 shown]
	s_lshl_b64 s[4:5], s[6:7], 1
	s_cmpk_gt_i32 s23, 0x1000
	v_add_co_u32 v27, vcc_lo, v1, s4
	v_add_co_ci_u32_e32 v28, vcc_lo, s5, v3, vcc_lo
	s_clause 0x7
	global_load_u16 v14, v[12:13], off
	global_load_u16 v15, v[15:16], off
	;; [unrolled: 1-line block ×8, first 2 shown]
	v_dual_mov_b32 v20, 0 :: v_dual_mov_b32 v21, 0
	v_dual_mov_b32 v22, 0 :: v_dual_mov_b32 v23, 0
	v_dual_mov_b32 v24, 0 :: v_dual_mov_b32 v25, 0
	v_dual_mov_b32 v26, 0 :: v_dual_mov_b32 v27, 0
	v_mov_b32_e32 v28, 0
	s_cselect_b32 s8, -1, 0
	s_cmpk_lt_i32 s23, 0x1001
	s_waitcnt vmcnt(0)
	s_barrier
	buffer_gl0_inv
	s_cbranch_scc1 .LBB223_11
; %bb.10:
	s_cmpk_lt_i32 s22, 0x1100
	s_cselect_b32 s4, s42, 0x800
	s_delay_alu instid0(SALU_CYCLE_1) | instskip(NEXT) | instid1(SALU_CYCLE_1)
	s_ashr_i32 s5, s4, 31
	s_lshl_b64 s[4:5], s[4:5], 1
	s_cmpk_lt_i32 s22, 0x1200
	v_add_co_u32 v20, vcc_lo, v1, s4
	s_cselect_b32 s6, s42, 0x880
	v_add_co_ci_u32_e32 v21, vcc_lo, s5, v3, vcc_lo
	s_ashr_i32 s7, s6, 31
	s_delay_alu instid0(SALU_CYCLE_1)
	s_lshl_b64 s[6:7], s[6:7], 1
	s_cmpk_lt_i32 s22, 0x1300
	v_add_co_u32 v22, vcc_lo, v1, s6
	s_cselect_b32 s10, s42, 0x900
	v_add_co_ci_u32_e32 v23, vcc_lo, s7, v3, vcc_lo
	s_ashr_i32 s11, s10, 31
	s_delay_alu instid0(SALU_CYCLE_1)
	;; [unrolled: 7-line block ×7, first 2 shown]
	s_lshl_b64 s[28:29], s[28:29], 1
	s_cmpk_lt_i32 s22, 0x1900
	v_add_co_u32 v34, vcc_lo, v1, s28
	s_cselect_b32 s30, s42, 0xc00
	v_add_co_ci_u32_e32 v35, vcc_lo, s29, v3, vcc_lo
	s_ashr_i32 s31, s30, 31
	s_clause 0x7
	global_load_u16 v36, v[20:21], off
	global_load_u16 v37, v[22:23], off
	;; [unrolled: 1-line block ×8, first 2 shown]
	s_lshl_b64 s[30:31], s[30:31], 1
	s_cmpk_lt_i32 s22, 0x1a00
	v_add_co_u32 v20, vcc_lo, v1, s30
	s_cselect_b32 s34, s42, 0xc80
	v_add_co_ci_u32_e32 v21, vcc_lo, s31, v3, vcc_lo
	s_ashr_i32 s35, s34, 31
	s_delay_alu instid0(SALU_CYCLE_1)
	s_lshl_b64 s[34:35], s[34:35], 1
	s_cmpk_lt_i32 s22, 0x1b00
	v_add_co_u32 v22, vcc_lo, v1, s34
	s_cselect_b32 s36, s42, 0xd00
	v_add_co_ci_u32_e32 v23, vcc_lo, s35, v3, vcc_lo
	s_ashr_i32 s37, s36, 31
	s_delay_alu instid0(SALU_CYCLE_1)
	;; [unrolled: 7-line block ×6, first 2 shown]
	s_lshl_b64 s[4:5], s[20:21], 1
	s_cmpk_lt_i32 s22, 0x2000
	v_add_co_u32 v32, vcc_lo, v1, s4
	s_cselect_b32 s6, s42, 0xf80
	v_add_co_ci_u32_e32 v33, vcc_lo, s5, v3, vcc_lo
	s_ashr_i32 s7, s6, 31
	s_delay_alu instid0(SALU_CYCLE_1) | instskip(NEXT) | instid1(SALU_CYCLE_1)
	s_lshl_b64 s[4:5], s[6:7], 1
	v_add_co_u32 v34, vcc_lo, v1, s4
	v_add_co_ci_u32_e32 v35, vcc_lo, s5, v3, vcc_lo
	s_clause 0x7
	global_load_u16 v20, v[20:21], off
	global_load_u16 v21, v[22:23], off
	;; [unrolled: 1-line block ×8, first 2 shown]
	s_waitcnt vmcnt(15)
	v_cvt_f32_f16_e32 v35, v36
	s_waitcnt vmcnt(14)
	v_cvt_f32_f16_e32 v34, v37
	;; [unrolled: 2-line block ×16, first 2 shown]
.LBB223_11:
	ds_load_b128 v[36:39], v2
	ds_load_b128 v[40:43], v2 offset:16
	s_load_b64 s[0:1], s[0:1], 0x0
	s_and_b32 vcc_lo, exec_lo, s8
	s_waitcnt lgkmcnt(0)
	v_fma_mix_f32 v7, v36, v7, 0 op_sel_hi:[0,1,0]
	s_delay_alu instid0(VALU_DEP_1) | instskip(NEXT) | instid1(VALU_DEP_1)
	v_fma_mix_f32 v7, v37, v8, v7 op_sel_hi:[0,1,0]
	v_fma_mix_f32 v7, v38, v9, v7 op_sel_hi:[0,1,0]
	s_delay_alu instid0(VALU_DEP_1) | instskip(SKIP_4) | instid1(VALU_DEP_1)
	v_fma_mix_f32 v7, v39, v10, v7 op_sel_hi:[0,1,0]
	ds_load_b128 v[36:39], v2 offset:48
	v_fma_mix_f32 v11, v40, v11, v7 op_sel_hi:[0,1,0]
	ds_load_b128 v[7:10], v2 offset:32
	v_fma_mix_f32 v4, v41, v4, v11 op_sel_hi:[0,1,0]
	v_fma_mix_f32 v4, v42, v5, v4 op_sel_hi:[0,1,0]
	s_delay_alu instid0(VALU_DEP_1) | instskip(SKIP_1) | instid1(VALU_DEP_1)
	v_fma_mix_f32 v4, v43, v6, v4 op_sel_hi:[0,1,0]
	s_waitcnt lgkmcnt(0)
	v_fma_mix_f32 v4, v7, v14, v4 op_sel_hi:[0,1,0]
	s_delay_alu instid0(VALU_DEP_1) | instskip(NEXT) | instid1(VALU_DEP_1)
	v_fma_mix_f32 v4, v8, v15, v4 op_sel_hi:[0,1,0]
	v_fma_mix_f32 v4, v9, v16, v4 op_sel_hi:[0,1,0]
	s_delay_alu instid0(VALU_DEP_1) | instskip(NEXT) | instid1(VALU_DEP_1)
	v_fma_mix_f32 v4, v10, v17, v4 op_sel_hi:[0,1,0]
	;; [unrolled: 3-line block ×3, first 2 shown]
	v_fma_mix_f32 v4, v38, v13, v4 op_sel_hi:[0,1,0]
	s_delay_alu instid0(VALU_DEP_1)
	v_fma_mix_f32 v4, v39, v19, v4 op_sel_hi:[0,1,0]
	s_cbranch_vccz .LBB223_13
; %bb.12:
	ds_load_b128 v[5:8], v2 offset:64
	ds_load_b128 v[9:12], v2 offset:80
	s_waitcnt lgkmcnt(1)
	v_fmac_f32_e32 v4, v5, v35
	s_delay_alu instid0(VALU_DEP_1) | instskip(NEXT) | instid1(VALU_DEP_1)
	v_fmac_f32_e32 v4, v6, v34
	v_fmac_f32_e32 v4, v7, v33
	s_delay_alu instid0(VALU_DEP_1) | instskip(SKIP_3) | instid1(VALU_DEP_1)
	v_fmac_f32_e32 v4, v8, v32
	ds_load_b128 v[5:8], v2 offset:96
	s_waitcnt lgkmcnt(1)
	v_fmac_f32_e32 v4, v9, v31
	v_fmac_f32_e32 v4, v10, v30
	s_delay_alu instid0(VALU_DEP_1) | instskip(NEXT) | instid1(VALU_DEP_1)
	v_fmac_f32_e32 v4, v11, v29
	v_fmac_f32_e32 v4, v12, v28
	ds_load_b128 v[9:12], v2 offset:112
	s_waitcnt lgkmcnt(1)
	v_fmac_f32_e32 v4, v5, v27
	s_delay_alu instid0(VALU_DEP_1) | instskip(NEXT) | instid1(VALU_DEP_1)
	v_fmac_f32_e32 v4, v6, v26
	v_fmac_f32_e32 v4, v7, v25
	s_delay_alu instid0(VALU_DEP_1) | instskip(SKIP_1) | instid1(VALU_DEP_1)
	v_fmac_f32_e32 v4, v8, v24
	s_waitcnt lgkmcnt(0)
	v_fmac_f32_e32 v4, v9, v23
	s_delay_alu instid0(VALU_DEP_1) | instskip(NEXT) | instid1(VALU_DEP_1)
	v_fmac_f32_e32 v4, v10, v22
	v_fmac_f32_e32 v4, v11, v21
	s_delay_alu instid0(VALU_DEP_1)
	v_fmac_f32_e32 v4, v12, v20
.LBB223_13:
	s_movk_i32 s43, 0x1f80
	s_movk_i32 s44, 0x80
	s_mov_b32 s45, 32
	s_branch .LBB223_15
.LBB223_14:                             ;   in Loop: Header=BB223_15 Depth=1
	s_addk_i32 s43, 0x1000
	s_addk_i32 s44, 0x80
	s_add_i32 s45, s45, 32
	s_cmpk_eq_u32 s43, 0xaf80
	s_cbranch_scc1 .LBB223_17
.LBB223_15:                             ; =>This Inner Loop Header: Depth=1
	s_cmp_le_i32 s40, s45
	s_cbranch_scc1 .LBB223_14
; %bb.16:                               ;   in Loop: Header=BB223_15 Depth=1
	s_add_i32 s4, s43, 0xfffff080
	v_mov_b32_e32 v44, s44
	s_cmp_lt_i32 s4, s41
	s_cselect_b32 s4, s4, s42
	s_add_i32 s6, s43, 0xfffff100
	s_ashr_i32 s5, s4, 31
	s_delay_alu instid0(SALU_CYCLE_1)
	s_lshl_b64 s[4:5], s[4:5], 1
	s_cmp_lt_i32 s6, s41
	v_add_co_u32 v5, vcc_lo, v1, s4
	s_cselect_b32 s6, s6, s42
	s_add_i32 s10, s43, 0xfffff180
	s_ashr_i32 s7, s6, 31
	v_add_co_ci_u32_e32 v6, vcc_lo, s5, v3, vcc_lo
	s_lshl_b64 s[8:9], s[6:7], 1
	s_cmp_lt_i32 s10, s41
	v_add_co_u32 v7, vcc_lo, v1, s8
	s_cselect_b32 s6, s10, s42
	s_add_i32 s10, s43, 0xfffff200
	s_ashr_i32 s7, s6, 31
	v_add_co_ci_u32_e32 v8, vcc_lo, s9, v3, vcc_lo
	;; [unrolled: 7-line block ×8, first 2 shown]
	s_lshl_b64 s[24:25], s[20:21], 1
	s_cmp_lt_i32 s28, s41
	s_clause 0x7
	global_load_u16 v2, v[5:6], off
	global_load_u16 v21, v[7:8], off
	;; [unrolled: 1-line block ×8, first 2 shown]
	s_cselect_b32 s20, s28, s42
	s_add_i32 s28, s43, 0xfffff580
	s_ashr_i32 s21, s20, 31
	v_add_co_u32 v5, vcc_lo, v1, s24
	s_lshl_b64 s[20:21], s[20:21], 1
	s_cmp_lt_i32 s28, s41
	v_add_co_ci_u32_e32 v6, vcc_lo, s25, v3, vcc_lo
	s_cselect_b32 s28, s28, s42
	s_add_i32 s36, s43, 0xfffff600
	s_ashr_i32 s29, s28, 31
	v_add_co_u32 v7, vcc_lo, v1, s20
	s_lshl_b64 s[30:31], s[28:29], 1
	s_cmp_lt_i32 s36, s41
	v_add_co_ci_u32_e32 v8, vcc_lo, s21, v3, vcc_lo
	;; [unrolled: 7-line block ×8, first 2 shown]
	s_cselect_b32 s10, s10, s42
	s_add_i32 s18, s43, 0xfffff980
	s_ashr_i32 s11, s10, 31
	s_clause 0x7
	global_load_u16 v28, v[5:6], off
	global_load_u16 v29, v[7:8], off
	;; [unrolled: 1-line block ×8, first 2 shown]
	s_lshl_b64 s[10:11], s[10:11], 1
	s_cmp_lt_i32 s18, s41
	v_add_co_u32 v5, vcc_lo, v1, s4
	s_cselect_b32 s18, s18, s42
	s_add_i32 s22, s43, 0xfffffa00
	s_ashr_i32 s19, s18, 31
	v_add_co_ci_u32_e32 v6, vcc_lo, s5, v3, vcc_lo
	s_lshl_b64 s[18:19], s[18:19], 1
	s_cmp_lt_i32 s22, s41
	v_add_co_u32 v7, vcc_lo, v1, s10
	s_cselect_b32 s20, s22, s42
	s_add_i32 s22, s43, 0xfffffa80
	s_ashr_i32 s21, s20, 31
	v_add_co_ci_u32_e32 v8, vcc_lo, s11, v3, vcc_lo
	;; [unrolled: 7-line block ×5, first 2 shown]
	s_lshl_b64 s[6:7], s[6:7], 1
	s_cmp_lt_i32 s24, s41
	s_clause 0x4
	global_load_u16 v19, v[5:6], off
	global_load_u16 v20, v[7:8], off
	;; [unrolled: 1-line block ×5, first 2 shown]
	s_cselect_b32 s4, s24, s42
	s_add_i32 s10, s43, 0xfffffc80
	s_ashr_i32 s5, s4, 31
	v_add_co_u32 v5, vcc_lo, v1, s8
	s_lshl_b64 s[4:5], s[4:5], 1
	s_cmp_lt_i32 s10, s41
	v_add_co_ci_u32_e32 v6, vcc_lo, s9, v3, vcc_lo
	s_cselect_b32 s10, s10, s42
	s_add_i32 s18, s43, 0xfffffd00
	s_ashr_i32 s11, s10, 31
	v_add_co_u32 v7, vcc_lo, v1, s6
	s_lshl_b64 s[10:11], s[10:11], 1
	s_cmp_lt_i32 s18, s41
	v_add_co_ci_u32_e32 v8, vcc_lo, s7, v3, vcc_lo
	s_cselect_b32 s18, s18, s42
	s_add_i32 s20, s43, 0xfffffd80
	s_ashr_i32 s19, s18, 31
	v_add_co_u32 v9, vcc_lo, v1, s4
	s_lshl_b64 s[18:19], s[18:19], 1
	s_cmp_lt_i32 s20, s41
	global_load_u16 v37, v[5:6], off
	s_cselect_b32 s8, s20, s42
	s_add_i32 s20, s43, 0xfffffe00
	s_ashr_i32 s9, s8, 31
	v_add_co_ci_u32_e32 v10, vcc_lo, s5, v3, vcc_lo
	s_lshl_b64 s[6:7], s[8:9], 1
	s_cmp_lt_i32 s20, s41
	v_add_co_u32 v11, vcc_lo, v1, s10
	s_cselect_b32 s4, s20, s42
	s_clause 0x1
	global_load_u16 v38, v[7:8], off
	global_load_u16 v39, v[9:10], off
	v_add_co_ci_u32_e32 v12, vcc_lo, s11, v3, vcc_lo
	s_ashr_i32 s5, s4, 31
	s_add_i32 s8, s43, 0xfffffe80
	v_add_co_u32 v13, vcc_lo, v1, s18
	s_lshl_b64 s[4:5], s[4:5], 1
	s_cmp_lt_i32 s8, s41
	v_add_co_ci_u32_e32 v14, vcc_lo, s19, v3, vcc_lo
	v_add_co_u32 v15, vcc_lo, v1, s6
	s_cselect_b32 s8, s8, s42
	v_add_co_ci_u32_e32 v16, vcc_lo, s7, v3, vcc_lo
	s_ashr_i32 s9, s8, 31
	s_add_i32 s10, s43, 0xffffff00
	s_lshl_b64 s[6:7], s[8:9], 1
	s_clause 0x2
	global_load_u16 v40, v[11:12], off
	global_load_u16 v13, v[13:14], off
	;; [unrolled: 1-line block ×3, first 2 shown]
	s_cmp_lt_i32 s10, s41
	v_add_co_u32 v5, vcc_lo, v1, s4
	s_cselect_b32 s8, s10, s42
	s_add_i32 s10, s43, 0xffffff80
	s_ashr_i32 s9, s8, 31
	v_add_co_ci_u32_e32 v6, vcc_lo, s5, v3, vcc_lo
	s_lshl_b64 s[8:9], s[8:9], 1
	s_cmp_lt_i32 s10, s41
	v_add_co_u32 v7, vcc_lo, v1, s6
	s_cselect_b32 s4, s10, s42
	v_add_co_ci_u32_e32 v8, vcc_lo, s7, v3, vcc_lo
	s_ashr_i32 s5, s4, 31
	v_add_co_u32 v9, vcc_lo, v1, s8
	global_load_u16 v15, v[5:6], off
	s_lshl_b64 s[4:5], s[4:5], 1
	v_add_co_ci_u32_e32 v10, vcc_lo, s9, v3, vcc_lo
	s_cmp_lt_i32 s43, s41
	s_clause 0x1
	global_load_u16 v16, v[7:8], off
	global_load_u16 v41, v[9:10], off
	s_cselect_b32 s6, s43, s42
	v_add_co_u32 v5, vcc_lo, v1, s4
	s_ashr_i32 s7, s6, 31
	v_add_co_ci_u32_e32 v6, vcc_lo, s5, v3, vcc_lo
	s_lshl_b64 s[4:5], s[6:7], 1
	s_delay_alu instid0(SALU_CYCLE_1)
	v_add_co_u32 v7, vcc_lo, v1, s4
	v_add_co_ci_u32_e32 v8, vcc_lo, s5, v3, vcc_lo
	s_clause 0x1
	global_load_u16 v42, v[5:6], off
	global_load_u16 v43, v[7:8], off
	ds_load_b128 v[5:8], v44
	ds_load_b128 v[9:12], v44 offset:16
	s_waitcnt vmcnt(31) lgkmcnt(1)
	v_fma_mix_f32 v2, v5, v2, v4 op_sel_hi:[0,1,0]
	s_waitcnt vmcnt(30)
	s_delay_alu instid0(VALU_DEP_1) | instskip(SKIP_1) | instid1(VALU_DEP_1)
	v_fma_mix_f32 v2, v6, v21, v2 op_sel_hi:[0,1,0]
	s_waitcnt vmcnt(29)
	v_fma_mix_f32 v2, v7, v22, v2 op_sel_hi:[0,1,0]
	ds_load_b128 v[4:7], v44 offset:32
	s_waitcnt vmcnt(28)
	v_fma_mix_f32 v2, v8, v23, v2 op_sel_hi:[0,1,0]
	s_waitcnt vmcnt(27) lgkmcnt(1)
	s_delay_alu instid0(VALU_DEP_1) | instskip(SKIP_1) | instid1(VALU_DEP_1)
	v_fma_mix_f32 v2, v9, v24, v2 op_sel_hi:[0,1,0]
	s_waitcnt vmcnt(26)
	v_fma_mix_f32 v2, v10, v25, v2 op_sel_hi:[0,1,0]
	s_waitcnt vmcnt(25)
	s_delay_alu instid0(VALU_DEP_1) | instskip(SKIP_4) | instid1(VALU_DEP_1)
	v_fma_mix_f32 v2, v11, v26, v2 op_sel_hi:[0,1,0]
	ds_load_b128 v[8:11], v44 offset:48
	s_waitcnt vmcnt(24)
	v_fma_mix_f32 v2, v12, v27, v2 op_sel_hi:[0,1,0]
	s_waitcnt vmcnt(23) lgkmcnt(1)
	v_fma_mix_f32 v2, v4, v28, v2 op_sel_hi:[0,1,0]
	s_waitcnt vmcnt(22)
	s_delay_alu instid0(VALU_DEP_1) | instskip(SKIP_1) | instid1(VALU_DEP_1)
	v_fma_mix_f32 v2, v5, v29, v2 op_sel_hi:[0,1,0]
	s_waitcnt vmcnt(21)
	v_fma_mix_f32 v2, v6, v30, v2 op_sel_hi:[0,1,0]
	s_waitcnt vmcnt(20)
	s_delay_alu instid0(VALU_DEP_1) | instskip(SKIP_4) | instid1(VALU_DEP_1)
	v_fma_mix_f32 v2, v7, v31, v2 op_sel_hi:[0,1,0]
	ds_load_b128 v[4:7], v44 offset:64
	s_waitcnt vmcnt(19) lgkmcnt(1)
	v_fma_mix_f32 v2, v8, v32, v2 op_sel_hi:[0,1,0]
	s_waitcnt vmcnt(18)
	v_fma_mix_f32 v2, v9, v33, v2 op_sel_hi:[0,1,0]
	s_waitcnt vmcnt(17)
	s_delay_alu instid0(VALU_DEP_1) | instskip(SKIP_1) | instid1(VALU_DEP_1)
	v_fma_mix_f32 v2, v10, v17, v2 op_sel_hi:[0,1,0]
	s_waitcnt vmcnt(16)
	v_fma_mix_f32 v2, v11, v18, v2 op_sel_hi:[0,1,0]
	ds_load_b128 v[8:11], v44 offset:80
	s_waitcnt vmcnt(15) lgkmcnt(1)
	v_fma_mix_f32 v2, v4, v19, v2 op_sel_hi:[0,1,0]
	s_waitcnt vmcnt(14)
	s_delay_alu instid0(VALU_DEP_1) | instskip(SKIP_1) | instid1(VALU_DEP_1)
	v_fma_mix_f32 v2, v5, v20, v2 op_sel_hi:[0,1,0]
	s_waitcnt vmcnt(13)
	v_fma_mix_f32 v2, v6, v34, v2 op_sel_hi:[0,1,0]
	s_waitcnt vmcnt(12)
	s_delay_alu instid0(VALU_DEP_1) | instskip(SKIP_4) | instid1(VALU_DEP_1)
	v_fma_mix_f32 v2, v7, v35, v2 op_sel_hi:[0,1,0]
	ds_load_b128 v[4:7], v44 offset:96
	s_waitcnt vmcnt(11) lgkmcnt(1)
	v_fma_mix_f32 v2, v8, v36, v2 op_sel_hi:[0,1,0]
	s_waitcnt vmcnt(10)
	v_fma_mix_f32 v2, v9, v37, v2 op_sel_hi:[0,1,0]
	s_waitcnt vmcnt(9)
	s_delay_alu instid0(VALU_DEP_1) | instskip(SKIP_1) | instid1(VALU_DEP_1)
	v_fma_mix_f32 v2, v10, v38, v2 op_sel_hi:[0,1,0]
	s_waitcnt vmcnt(8)
	v_fma_mix_f32 v2, v11, v39, v2 op_sel_hi:[0,1,0]
	ds_load_b128 v[8:11], v44 offset:112
	s_waitcnt vmcnt(7) lgkmcnt(1)
	v_fma_mix_f32 v2, v4, v40, v2 op_sel_hi:[0,1,0]
	s_waitcnt vmcnt(6)
	s_delay_alu instid0(VALU_DEP_1) | instskip(SKIP_1) | instid1(VALU_DEP_1)
	v_fma_mix_f32 v2, v5, v13, v2 op_sel_hi:[0,1,0]
	s_waitcnt vmcnt(5)
	v_fma_mix_f32 v2, v6, v14, v2 op_sel_hi:[0,1,0]
	s_waitcnt vmcnt(4)
	s_delay_alu instid0(VALU_DEP_1) | instskip(SKIP_1) | instid1(VALU_DEP_1)
	v_fma_mix_f32 v2, v7, v15, v2 op_sel_hi:[0,1,0]
	s_waitcnt vmcnt(3) lgkmcnt(0)
	v_fma_mix_f32 v2, v8, v16, v2 op_sel_hi:[0,1,0]
	s_waitcnt vmcnt(2)
	s_delay_alu instid0(VALU_DEP_1) | instskip(SKIP_1) | instid1(VALU_DEP_1)
	v_fma_mix_f32 v2, v9, v41, v2 op_sel_hi:[0,1,0]
	s_waitcnt vmcnt(1)
	v_fma_mix_f32 v2, v10, v42, v2 op_sel_hi:[0,1,0]
	s_waitcnt vmcnt(0)
	s_delay_alu instid0(VALU_DEP_1)
	v_fma_mix_f32 v4, v11, v43, v2 op_sel_hi:[0,1,0]
	s_branch .LBB223_14
.LBB223_17:
	v_mov_b32_e32 v1, 0
	s_and_b32 vcc_lo, exec_lo, s15
	ds_load_b32 v1, v1 offset:1280
	s_cbranch_vccz .LBB223_19
; %bb.18:
	s_add_u32 s2, s12, s16
	s_addc_u32 s3, s13, s17
	s_load_b32 s2, s[2:3], 0x0
	s_mov_b32 s3, 0
.LBB223_19:
	s_waitcnt lgkmcnt(0)
	v_add_f32_e32 v1, 0x358637bd, v1
	s_mul_i32 s3, s33, s3
	s_mul_hi_u32 s4, s33, s2
	s_mul_i32 s2, s33, s2
	s_add_i32 s3, s4, s3
	v_div_scale_f32 v2, null, v1, v1, 1.0
	v_div_scale_f32 v6, vcc_lo, 1.0, v1, 1.0
	s_lshl_b64 s[2:3], s[2:3], 7
	s_delay_alu instid0(VALU_DEP_2) | instskip(SKIP_4) | instid1(SALU_CYCLE_1)
	v_rcp_f32_e32 v3, v2
	s_mov_b32 s15, 0
	s_add_u32 s2, s0, s2
	s_addc_u32 s3, s1, s3
	s_lshl_b64 s[0:1], s[14:15], 7
	s_add_u32 s0, s2, s0
	s_addc_u32 s1, s3, s1
	v_add_co_u32 v0, s0, s0, v0
	s_waitcnt_depctr 0xfff
	v_fma_f32 v5, -v2, v3, 1.0
	s_delay_alu instid0(VALU_DEP_1) | instskip(NEXT) | instid1(VALU_DEP_1)
	v_fmac_f32_e32 v3, v5, v3
	v_mul_f32_e32 v5, v6, v3
	s_delay_alu instid0(VALU_DEP_1) | instskip(NEXT) | instid1(VALU_DEP_1)
	v_fma_f32 v7, -v2, v5, v6
	v_fmac_f32_e32 v5, v7, v3
	s_delay_alu instid0(VALU_DEP_1) | instskip(NEXT) | instid1(VALU_DEP_1)
	v_fma_f32 v2, -v2, v5, v6
	v_div_fmas_f32 v2, v2, v3, v5
	s_delay_alu instid0(VALU_DEP_1) | instskip(NEXT) | instid1(VALU_DEP_1)
	v_div_fixup_f32 v1, v2, v1, 1.0
	v_fma_mixlo_f16 v1, v4, v1, 0
	s_delay_alu instid0(VALU_DEP_1)
	v_cvt_i16_f16_e32 v2, v1
	v_add_co_ci_u32_e64 v1, null, s1, 0, s0
	global_store_b8 v[0:1], v2, off
	s_nop 0
	s_sendmsg sendmsg(MSG_DEALLOC_VGPRS)
	s_endpgm
.LBB223_20:
	s_mov_b32 s4, 0
	s_branch .LBB223_2
	.section	.rodata,"a",@progbits
	.p2align	6, 0x0
	.amdhsa_kernel _Z35paged_attention_ll4mi_reduce_kernelIDF16_hLi128ELi128ELi256ELi10EEvPT0_PKfS3_PKT_PKiS8_iS3_
		.amdhsa_group_segment_fixed_size 1284
		.amdhsa_private_segment_fixed_size 0
		.amdhsa_kernarg_size 320
		.amdhsa_user_sgpr_count 14
		.amdhsa_user_sgpr_dispatch_ptr 0
		.amdhsa_user_sgpr_queue_ptr 0
		.amdhsa_user_sgpr_kernarg_segment_ptr 1
		.amdhsa_user_sgpr_dispatch_id 0
		.amdhsa_user_sgpr_private_segment_size 0
		.amdhsa_wavefront_size32 1
		.amdhsa_uses_dynamic_stack 0
		.amdhsa_enable_private_segment 0
		.amdhsa_system_sgpr_workgroup_id_x 1
		.amdhsa_system_sgpr_workgroup_id_y 1
		.amdhsa_system_sgpr_workgroup_id_z 0
		.amdhsa_system_sgpr_workgroup_info 0
		.amdhsa_system_vgpr_workitem_id 0
		.amdhsa_next_free_vgpr 57
		.amdhsa_next_free_sgpr 47
		.amdhsa_reserve_vcc 1
		.amdhsa_float_round_mode_32 0
		.amdhsa_float_round_mode_16_64 0
		.amdhsa_float_denorm_mode_32 3
		.amdhsa_float_denorm_mode_16_64 3
		.amdhsa_dx10_clamp 1
		.amdhsa_ieee_mode 1
		.amdhsa_fp16_overflow 0
		.amdhsa_workgroup_processor_mode 1
		.amdhsa_memory_ordered 1
		.amdhsa_forward_progress 0
		.amdhsa_shared_vgpr_count 0
		.amdhsa_exception_fp_ieee_invalid_op 0
		.amdhsa_exception_fp_denorm_src 0
		.amdhsa_exception_fp_ieee_div_zero 0
		.amdhsa_exception_fp_ieee_overflow 0
		.amdhsa_exception_fp_ieee_underflow 0
		.amdhsa_exception_fp_ieee_inexact 0
		.amdhsa_exception_int_div_zero 0
	.end_amdhsa_kernel
	.section	.text._Z35paged_attention_ll4mi_reduce_kernelIDF16_hLi128ELi128ELi256ELi10EEvPT0_PKfS3_PKT_PKiS8_iS3_,"axG",@progbits,_Z35paged_attention_ll4mi_reduce_kernelIDF16_hLi128ELi128ELi256ELi10EEvPT0_PKfS3_PKT_PKiS8_iS3_,comdat
.Lfunc_end223:
	.size	_Z35paged_attention_ll4mi_reduce_kernelIDF16_hLi128ELi128ELi256ELi10EEvPT0_PKfS3_PKT_PKiS8_iS3_, .Lfunc_end223-_Z35paged_attention_ll4mi_reduce_kernelIDF16_hLi128ELi128ELi256ELi10EEvPT0_PKfS3_PKT_PKiS8_iS3_
                                        ; -- End function
	.section	.AMDGPU.csdata,"",@progbits
; Kernel info:
; codeLenInByte = 6968
; NumSgprs: 49
; NumVgprs: 57
; ScratchSize: 0
; MemoryBound: 0
; FloatMode: 240
; IeeeMode: 1
; LDSByteSize: 1284 bytes/workgroup (compile time only)
; SGPRBlocks: 6
; VGPRBlocks: 7
; NumSGPRsForWavesPerEU: 49
; NumVGPRsForWavesPerEU: 57
; Occupancy: 16
; WaveLimiterHint : 0
; COMPUTE_PGM_RSRC2:SCRATCH_EN: 0
; COMPUTE_PGM_RSRC2:USER_SGPR: 14
; COMPUTE_PGM_RSRC2:TRAP_HANDLER: 0
; COMPUTE_PGM_RSRC2:TGID_X_EN: 1
; COMPUTE_PGM_RSRC2:TGID_Y_EN: 1
; COMPUTE_PGM_RSRC2:TGID_Z_EN: 0
; COMPUTE_PGM_RSRC2:TIDIG_COMP_CNT: 0
	.section	.text._Z35paged_attention_ll4mi_reduce_kernelIDF16_hLi128ELi128ELi256ELi11EEvPT0_PKfS3_PKT_PKiS8_iS3_,"axG",@progbits,_Z35paged_attention_ll4mi_reduce_kernelIDF16_hLi128ELi128ELi256ELi11EEvPT0_PKfS3_PKT_PKiS8_iS3_,comdat
	.protected	_Z35paged_attention_ll4mi_reduce_kernelIDF16_hLi128ELi128ELi256ELi11EEvPT0_PKfS3_PKT_PKiS8_iS3_ ; -- Begin function _Z35paged_attention_ll4mi_reduce_kernelIDF16_hLi128ELi128ELi256ELi11EEvPT0_PKfS3_PKT_PKiS8_iS3_
	.globl	_Z35paged_attention_ll4mi_reduce_kernelIDF16_hLi128ELi128ELi256ELi11EEvPT0_PKfS3_PKT_PKiS8_iS3_
	.p2align	8
	.type	_Z35paged_attention_ll4mi_reduce_kernelIDF16_hLi128ELi128ELi256ELi11EEvPT0_PKfS3_PKT_PKiS8_iS3_,@function
_Z35paged_attention_ll4mi_reduce_kernelIDF16_hLi128ELi128ELi256ELi11EEvPT0_PKfS3_PKT_PKiS8_iS3_: ; @_Z35paged_attention_ll4mi_reduce_kernelIDF16_hLi128ELi128ELi256ELi11EEvPT0_PKfS3_PKT_PKiS8_iS3_
; %bb.0:
	s_load_b64 s[12:13], s[0:1], 0x28
	s_mov_b32 s2, s15
	s_waitcnt lgkmcnt(0)
	s_cmp_lg_u64 s[12:13], 0
	s_cselect_b32 s15, -1, 0
	s_delay_alu instid0(SALU_CYCLE_1)
	s_and_b32 vcc_lo, exec_lo, s15
	s_cbranch_vccz .LBB224_20
; %bb.1:
	s_add_i32 s4, s2, 1
	s_mov_b32 s5, 0
	s_delay_alu instid0(SALU_CYCLE_1) | instskip(SKIP_4) | instid1(SALU_CYCLE_1)
	s_lshl_b64 s[6:7], s[4:5], 2
	s_mov_b32 s3, s5
	s_add_u32 s6, s12, s6
	s_addc_u32 s7, s13, s7
	s_lshl_b64 s[8:9], s[2:3], 2
	s_add_u32 s8, s12, s8
	s_addc_u32 s9, s13, s9
	s_clause 0x1
	s_load_b32 s4, s[6:7], 0x0
	s_load_b32 s6, s[8:9], 0x0
	s_waitcnt lgkmcnt(0)
	s_sub_i32 s4, s4, s6
	s_delay_alu instid0(SALU_CYCLE_1)
	s_cmp_eq_u32 s4, 1
	s_cselect_b32 s4, -1, 0
	s_cbranch_execnz .LBB224_3
.LBB224_2:
	s_mov_b32 s3, 0
	s_mov_b32 s4, -1
.LBB224_3:
	s_delay_alu instid0(SALU_CYCLE_1)
	s_and_not1_b32 vcc_lo, exec_lo, s4
	s_cbranch_vccz .LBB224_5
; %bb.4:
	s_endpgm
.LBB224_5:
	s_clause 0x1
	s_load_b128 s[4:7], s[0:1], 0x18
	s_load_b32 s9, s[0:1], 0x30
	s_lshl_b64 s[16:17], s[2:3], 2
	s_waitcnt lgkmcnt(0)
	s_add_u32 s6, s6, s16
	s_addc_u32 s7, s7, s17
	s_load_b32 s23, s[6:7], 0x0
	s_load_b32 s33, s[0:1], 0x40
	s_mul_i32 s7, s2, s9
	s_waitcnt lgkmcnt(0)
	s_add_i32 s22, s23, 0xff
	s_delay_alu instid0(SALU_CYCLE_1) | instskip(NEXT) | instid1(SALU_CYCLE_1)
	s_ashr_i32 s6, s22, 31
	s_lshr_b32 s6, s6, 24
	s_delay_alu instid0(SALU_CYCLE_1) | instskip(SKIP_4) | instid1(SALU_CYCLE_1)
	s_add_i32 s8, s22, s6
	s_mul_i32 s6, s14, s9
	s_mov_b32 s9, exec_lo
	v_cmpx_lt_u32_e32 31, v0
	s_xor_b32 s9, exec_lo, s9
	s_or_saveexec_b32 s24, s9
	v_mov_b32_e32 v1, s6
	s_ashr_i32 s40, s8, 8
	s_mul_i32 s18, s7, s33
	s_xor_b32 exec_lo, exec_lo, s24
	s_cbranch_execz .LBB224_9
; %bb.6:
	v_or_b32_e32 v2, 32, v0
	v_cmp_gt_i32_e32 vcc_lo, s40, v0
	s_add_i32 s20, s40, -1
	v_or_b32_e32 v4, 64, v0
	v_or_b32_e32 v6, 0xa0, v0
	s_load_b128 s[8:11], s[0:1], 0x8
	v_cndmask_b32_e32 v1, s20, v0, vcc_lo
	v_cmp_gt_i32_e32 vcc_lo, s40, v2
	s_mov_b32 s19, 0
	s_delay_alu instid0(SALU_CYCLE_1)
	s_mov_b32 s7, s19
	v_cndmask_b32_e32 v3, s20, v2, vcc_lo
	v_or_b32_e32 v2, 0x60, v0
	v_cmp_gt_i32_e32 vcc_lo, s40, v4
	v_cndmask_b32_e32 v5, s20, v4, vcc_lo
	v_or_b32_e32 v4, 0x80, v0
	s_delay_alu instid0(VALU_DEP_4) | instskip(SKIP_1) | instid1(VALU_DEP_3)
	v_cmp_gt_i32_e32 vcc_lo, s40, v2
	v_cndmask_b32_e32 v7, s20, v2, vcc_lo
	v_cmp_gt_i32_e32 vcc_lo, s40, v4
	v_or_b32_e32 v2, 0xc0, v0
	s_delay_alu instid0(VALU_DEP_3) | instskip(SKIP_3) | instid1(VALU_DEP_4)
	v_ashrrev_i32_e32 v8, 31, v7
	v_cndmask_b32_e32 v9, s20, v4, vcc_lo
	v_cmp_gt_i32_e32 vcc_lo, s40, v6
	v_or_b32_e32 v4, 0xe0, v0
	v_lshlrev_b64 v[7:8], 2, v[7:8]
	s_delay_alu instid0(VALU_DEP_4) | instskip(SKIP_3) | instid1(VALU_DEP_4)
	v_ashrrev_i32_e32 v10, 31, v9
	v_cndmask_b32_e32 v11, s20, v6, vcc_lo
	v_cmp_gt_i32_e32 vcc_lo, s40, v2
	v_or_b32_e32 v6, 0x120, v0
	v_lshlrev_b64 v[9:10], 2, v[9:10]
	s_delay_alu instid0(VALU_DEP_4) | instskip(SKIP_3) | instid1(VALU_DEP_4)
	v_ashrrev_i32_e32 v12, 31, v11
	v_cndmask_b32_e32 v13, s20, v2, vcc_lo
	v_or_b32_e32 v2, 0x100, v0
	v_cmp_gt_i32_e32 vcc_lo, s40, v4
	v_lshlrev_b64 v[11:12], 2, v[11:12]
	s_delay_alu instid0(VALU_DEP_4) | instskip(SKIP_3) | instid1(VALU_DEP_4)
	v_ashrrev_i32_e32 v14, 31, v13
	v_cndmask_b32_e32 v15, s20, v4, vcc_lo
	v_cmp_gt_i32_e32 vcc_lo, s40, v2
	v_or_b32_e32 v4, 0x140, v0
	v_lshlrev_b64 v[13:14], 2, v[13:14]
	s_delay_alu instid0(VALU_DEP_4) | instskip(SKIP_3) | instid1(VALU_DEP_4)
	v_ashrrev_i32_e32 v16, 31, v15
	v_cndmask_b32_e32 v17, s20, v2, vcc_lo
	v_cmp_gt_i32_e32 vcc_lo, s40, v6
	v_ashrrev_i32_e32 v2, 31, v1
	v_lshlrev_b64 v[15:16], 2, v[15:16]
	s_delay_alu instid0(VALU_DEP_4)
	v_ashrrev_i32_e32 v18, 31, v17
	v_cndmask_b32_e32 v19, s20, v6, vcc_lo
	v_cmp_gt_i32_e32 vcc_lo, s40, v4
	v_lshlrev_b64 v[1:2], 2, v[1:2]
	v_ashrrev_i32_e32 v6, 31, v5
	v_lshlrev_b64 v[17:18], 2, v[17:18]
	v_ashrrev_i32_e32 v20, 31, v19
	v_cndmask_b32_e32 v21, s20, v4, vcc_lo
	v_ashrrev_i32_e32 v4, 31, v3
	s_lshl_b64 s[20:21], s[18:19], 2
	v_lshlrev_b64 v[5:6], 2, v[5:6]
	s_waitcnt lgkmcnt(0)
	s_add_u32 s19, s10, s20
	s_addc_u32 s25, s11, s21
	s_lshl_b64 s[10:11], s[6:7], 2
	v_lshlrev_b64 v[3:4], 2, v[3:4]
	s_add_u32 s7, s19, s10
	s_addc_u32 s19, s25, s11
	v_add_co_u32 v22, vcc_lo, s7, v1
	v_add_co_ci_u32_e32 v23, vcc_lo, s19, v2, vcc_lo
	s_delay_alu instid0(VALU_DEP_3)
	v_add_co_u32 v24, vcc_lo, s7, v3
	v_add_co_ci_u32_e32 v25, vcc_lo, s19, v4, vcc_lo
	v_add_co_u32 v26, vcc_lo, s7, v5
	v_add_co_ci_u32_e32 v27, vcc_lo, s19, v6, vcc_lo
	;; [unrolled: 2-line block ×5, first 2 shown]
	v_add_co_u32 v34, vcc_lo, s7, v13
	s_clause 0x2
	global_load_b32 v38, v[22:23], off
	global_load_b32 v39, v[24:25], off
	;; [unrolled: 1-line block ×3, first 2 shown]
	v_ashrrev_i32_e32 v22, 31, v21
	v_add_co_ci_u32_e32 v35, vcc_lo, s19, v14, vcc_lo
	v_add_co_u32 v36, vcc_lo, s7, v15
	v_lshlrev_b64 v[19:20], 2, v[19:20]
	v_add_co_ci_u32_e32 v37, vcc_lo, s19, v16, vcc_lo
	v_add_co_u32 v23, vcc_lo, s7, v17
	v_lshlrev_b64 v[21:22], 2, v[21:22]
	s_clause 0x4
	global_load_b32 v29, v[28:29], off
	global_load_b32 v30, v[30:31], off
	;; [unrolled: 1-line block ×5, first 2 shown]
	v_add_co_ci_u32_e32 v24, vcc_lo, s19, v18, vcc_lo
	v_add_co_u32 v25, vcc_lo, s7, v19
	v_add_co_ci_u32_e32 v26, vcc_lo, s19, v20, vcc_lo
	v_add_co_u32 v27, vcc_lo, s7, v21
	v_add_co_ci_u32_e32 v28, vcc_lo, s19, v22, vcc_lo
	s_clause 0x2
	global_load_b32 v23, v[23:24], off
	global_load_b32 v24, v[25:26], off
	;; [unrolled: 1-line block ×3, first 2 shown]
	s_add_u32 s7, s8, s20
	s_addc_u32 s8, s9, s21
	s_add_u32 s7, s7, s10
	s_addc_u32 s8, s8, s11
	v_add_co_u32 v1, vcc_lo, s7, v1
	v_add_co_ci_u32_e32 v2, vcc_lo, s8, v2, vcc_lo
	v_add_co_u32 v3, vcc_lo, s7, v3
	v_add_co_ci_u32_e32 v4, vcc_lo, s8, v4, vcc_lo
	;; [unrolled: 2-line block ×8, first 2 shown]
	s_clause 0x7
	global_load_b32 v34, v[1:2], off
	global_load_b32 v3, v[3:4], off
	;; [unrolled: 1-line block ×8, first 2 shown]
	v_mbcnt_lo_u32_b32 v26, -1, 0
	s_delay_alu instid0(VALU_DEP_1) | instskip(SKIP_2) | instid1(VALU_DEP_3)
	v_xor_b32_e32 v27, 16, v26
	v_xor_b32_e32 v14, 8, v26
	;; [unrolled: 1-line block ×3, first 2 shown]
	v_cmp_gt_i32_e32 vcc_lo, 32, v27
	v_cndmask_b32_e32 v1, v26, v27, vcc_lo
	s_delay_alu instid0(VALU_DEP_1)
	v_lshlrev_b32_e32 v10, 2, v1
	v_add_co_u32 v1, vcc_lo, s7, v17
	v_xor_b32_e32 v17, 1, v26
	s_waitcnt vmcnt(16)
	v_max3_f32 v28, v38, v39, v40
	s_waitcnt vmcnt(14)
	s_delay_alu instid0(VALU_DEP_1) | instskip(SKIP_1) | instid1(VALU_DEP_1)
	v_max3_f32 v28, v28, v29, v30
	s_waitcnt vmcnt(12)
	v_max3_f32 v28, v28, v31, v32
	s_waitcnt vmcnt(10)
	s_delay_alu instid0(VALU_DEP_1) | instskip(SKIP_1) | instid1(VALU_DEP_1)
	v_max3_f32 v2, v28, v33, v23
	s_waitcnt vmcnt(8)
	v_max3_f32 v11, v2, v24, v25
	v_add_co_ci_u32_e32 v2, vcc_lo, s8, v18, vcc_lo
	ds_bpermute_b32 v12, v10, v11
	global_load_b32 v13, v[1:2], off
	v_add_co_u32 v1, vcc_lo, s7, v19
	v_add_co_ci_u32_e32 v2, vcc_lo, s8, v20, vcc_lo
	v_cmp_gt_i32_e32 vcc_lo, 32, v14
	global_load_b32 v15, v[1:2], off
	s_waitcnt lgkmcnt(0)
	v_max_f32_e32 v12, v12, v12
	v_cndmask_b32_e32 v14, v26, v14, vcc_lo
	v_add_co_u32 v1, vcc_lo, s7, v21
	v_add_co_ci_u32_e32 v2, vcc_lo, s8, v22, vcc_lo
	s_delay_alu instid0(VALU_DEP_3)
	v_dual_max_f32 v11, v11, v12 :: v_dual_lshlrev_b32 v14, 2, v14
	v_xor_b32_e32 v12, 4, v26
	global_load_b32 v1, v[1:2], off
	s_mov_b32 s7, exec_lo
	ds_bpermute_b32 v2, v14, v11
	v_cmp_gt_i32_e32 vcc_lo, 32, v12
	v_cndmask_b32_e32 v12, v26, v12, vcc_lo
	v_cmp_gt_i32_e32 vcc_lo, 32, v16
	s_delay_alu instid0(VALU_DEP_2) | instskip(SKIP_2) | instid1(VALU_DEP_2)
	v_lshlrev_b32_e32 v12, 2, v12
	v_cndmask_b32_e32 v16, v26, v16, vcc_lo
	v_cmp_gt_i32_e32 vcc_lo, 32, v17
	v_dual_cndmask_b32 v17, v26, v17 :: v_dual_lshlrev_b32 v16, 2, v16
	s_waitcnt lgkmcnt(0)
	s_delay_alu instid0(VALU_DEP_1) | instskip(NEXT) | instid1(VALU_DEP_1)
	v_dual_max_f32 v2, v2, v2 :: v_dual_lshlrev_b32 v17, 2, v17
	v_max_f32_e32 v2, v11, v2
	ds_bpermute_b32 v11, v12, v2
	s_waitcnt lgkmcnt(0)
	v_max_f32_e32 v11, v11, v11
	s_delay_alu instid0(VALU_DEP_1) | instskip(SKIP_3) | instid1(VALU_DEP_1)
	v_max_f32_e32 v2, v2, v11
	ds_bpermute_b32 v11, v16, v2
	s_waitcnt lgkmcnt(0)
	v_max_f32_e32 v11, v11, v11
	v_max_f32_e32 v2, v2, v11
	ds_bpermute_b32 v11, v17, v2
	s_waitcnt lgkmcnt(0)
	v_max_f32_e32 v11, v11, v11
	s_delay_alu instid0(VALU_DEP_1) | instskip(SKIP_1) | instid1(VALU_DEP_2)
	v_max_f32_e32 v2, v2, v11
	v_sub_nc_u32_e32 v11, s40, v0
	v_sub_f32_e32 v28, v33, v2
	v_sub_f32_e32 v20, v40, v2
	;; [unrolled: 1-line block ×4, first 2 shown]
	s_delay_alu instid0(VALU_DEP_4)
	v_dual_sub_f32 v21, v29, v2 :: v_dual_mul_f32 v36, 0x3fb8aa3b, v28
	v_sub_f32_e32 v22, v30, v2
	v_mul_f32_e32 v30, 0x3fb8aa3b, v20
	v_dual_sub_f32 v24, v24, v2 :: v_dual_mul_f32 v29, 0x3fb8aa3b, v19
	v_sub_f32_e32 v26, v31, v2
	v_sub_f32_e32 v27, v32, v2
	s_delay_alu instid0(VALU_DEP_4) | instskip(NEXT) | instid1(VALU_DEP_4)
	v_fma_f32 v44, 0x3fb8aa3b, v20, -v30
	v_mul_f32_e32 v38, 0x3fb8aa3b, v24
	v_fma_f32 v42, 0x3fb8aa3b, v19, -v29
	v_sub_f32_e32 v23, v23, v2
	v_dual_sub_f32 v2, v25, v2 :: v_dual_mul_f32 v31, 0x3fb8aa3b, v21
	v_rndne_f32_e32 v43, v29
	v_rndne_f32_e32 v45, v30
	v_mul_f32_e32 v25, 0x3fb8aa3b, v18
	v_fmac_f32_e32 v42, 0x32a5705f, v19
	s_delay_alu instid0(VALU_DEP_4) | instskip(NEXT) | instid1(VALU_DEP_4)
	v_dual_fmac_f32 v44, 0x32a5705f, v20 :: v_dual_sub_f32 v29, v29, v43
	v_dual_sub_f32 v30, v30, v45 :: v_dual_mul_f32 v37, 0x3fb8aa3b, v23
	s_delay_alu instid0(VALU_DEP_4) | instskip(SKIP_2) | instid1(VALU_DEP_4)
	v_fma_f32 v40, 0x3fb8aa3b, v18, -v25
	v_rndne_f32_e32 v41, v25
	v_dual_mul_f32 v32, 0x3fb8aa3b, v22 :: v_dual_mul_f32 v35, 0x3fb8aa3b, v27
	v_add_f32_e32 v30, v30, v44
	v_fma_f32 v56, 0x3fb8aa3b, v23, -v37
	s_delay_alu instid0(VALU_DEP_4) | instskip(NEXT) | instid1(VALU_DEP_4)
	v_dual_fmac_f32 v40, 0x32a5705f, v18 :: v_dual_sub_f32 v25, v25, v41
	v_fma_f32 v48, 0x3fb8aa3b, v22, -v32
	v_rndne_f32_e32 v49, v32
	v_mul_f32_e32 v33, 0x3fb8aa3b, v26
	v_fma_f32 v54, 0x3fb8aa3b, v28, -v36
	v_dual_fmac_f32 v56, 0x32a5705f, v23 :: v_dual_add_f32 v25, v25, v40
	v_fma_f32 v46, 0x3fb8aa3b, v21, -v31
	v_rndne_f32_e32 v47, v31
	v_rndne_f32_e32 v53, v35
	v_sub_f32_e32 v32, v32, v49
	v_fma_f32 v50, 0x3fb8aa3b, v26, -v33
	v_rndne_f32_e32 v51, v33
	v_fmac_f32_e32 v48, 0x32a5705f, v22
	v_dual_fmac_f32 v54, 0x32a5705f, v28 :: v_dual_add_f32 v29, v29, v42
	v_exp_f32_e32 v25, v25
	v_fma_f32 v52, 0x3fb8aa3b, v27, -v35
	v_rndne_f32_e32 v55, v36
	v_fma_f32 v58, 0x3fb8aa3b, v24, -v38
	v_cvt_i32_f32_e32 v41, v41
	v_dual_fmac_f32 v46, 0x32a5705f, v21 :: v_dual_sub_f32 v31, v31, v47
	v_dual_fmac_f32 v50, 0x32a5705f, v26 :: v_dual_sub_f32 v35, v35, v53
	v_dual_sub_f32 v33, v33, v51 :: v_dual_add_f32 v32, v32, v48
	v_exp_f32_e32 v29, v29
	v_exp_f32_e32 v30, v30
	v_dual_mul_f32 v39, 0x3fb8aa3b, v2 :: v_dual_sub_f32 v36, v36, v55
	v_rndne_f32_e32 v57, v37
	v_cvt_i32_f32_e32 v43, v43
	v_cvt_i32_f32_e32 v45, v45
	v_fmac_f32_e32 v52, 0x32a5705f, v27
	v_dual_fmac_f32 v58, 0x32a5705f, v24 :: v_dual_add_f32 v31, v31, v46
	v_add_f32_e32 v33, v33, v50
	v_exp_f32_e32 v32, v32
	v_ldexp_f32 v25, v25, v41
	v_cmp_ngt_f32_e32 vcc_lo, 0xc2ce8ed0, v18
	v_cvt_i32_f32_e32 v49, v49
	v_sub_f32_e32 v37, v37, v57
	v_dual_add_f32 v35, v35, v52 :: v_dual_add_f32 v36, v36, v54
	v_exp_f32_e32 v31, v31
	v_ldexp_f32 v29, v29, v43
	v_ldexp_f32 v30, v30, v45
	v_cndmask_b32_e32 v25, 0, v25, vcc_lo
	v_cmp_ngt_f32_e32 vcc_lo, 0xc2ce8ed0, v19
	v_cvt_i32_f32_e32 v47, v47
	v_exp_f32_e32 v36, v36
	v_ldexp_f32 v32, v32, v49
	v_cvt_i32_f32_e32 v55, v55
	v_cndmask_b32_e32 v29, 0, v29, vcc_lo
	v_cmp_ngt_f32_e32 vcc_lo, 0xc2ce8ed0, v20
	v_exp_f32_e32 v33, v33
	v_ldexp_f32 v31, v31, v47
	v_cvt_i32_f32_e32 v51, v51
	v_exp_f32_e32 v35, v35
	v_cndmask_b32_e32 v30, 0, v30, vcc_lo
	v_cmp_ngt_f32_e32 vcc_lo, 0xc2ce8ed0, v21
	v_ldexp_f32 v36, v36, v55
	v_cvt_i32_f32_e32 v53, v53
	v_rndne_f32_e32 v59, v38
	v_add_f32_e32 v37, v37, v56
	v_cndmask_b32_e32 v31, 0, v31, vcc_lo
	v_cmp_ngt_f32_e32 vcc_lo, 0xc2ce8ed0, v22
	v_ldexp_f32 v33, v33, v51
	v_ldexp_f32 v35, v35, v53
	v_sub_f32_e32 v38, v38, v59
	v_fma_f32 v60, 0x3fb8aa3b, v2, -v39
	v_cndmask_b32_e32 v32, 0, v32, vcc_lo
	v_cmp_ngt_f32_e32 vcc_lo, 0xc2ce8ed0, v26
	v_exp_f32_e32 v37, v37
	v_rndne_f32_e32 v61, v39
	v_cvt_i32_f32_e32 v57, v57
	v_dual_fmac_f32 v60, 0x32a5705f, v2 :: v_dual_cndmask_b32 v33, 0, v33
	v_cmp_ngt_f32_e32 vcc_lo, 0xc2ce8ed0, v27
	v_cndmask_b32_e32 v35, 0, v35, vcc_lo
	v_cmp_ngt_f32_e32 vcc_lo, 0xc2ce8ed0, v28
	v_cndmask_b32_e32 v36, 0, v36, vcc_lo
	v_cmp_nlt_f32_e32 vcc_lo, 0x42b17218, v18
	v_cndmask_b32_e32 v18, 0x7f800000, v25, vcc_lo
	v_cmp_nlt_f32_e32 vcc_lo, 0x42b17218, v19
	;; [unrolled: 2-line block ×8, first 2 shown]
	v_cndmask_b32_e32 v27, 0x7f800000, v36, vcc_lo
	v_cmp_lt_i32_e32 vcc_lo, 0, v11
	v_cndmask_b32_e32 v18, 0, v18, vcc_lo
	v_cmp_lt_i32_e32 vcc_lo, 32, v11
	s_waitcnt vmcnt(10)
	s_delay_alu instid0(VALU_DEP_2) | instskip(SKIP_4) | instid1(VALU_DEP_2)
	v_dual_mul_f32 v18, v34, v18 :: v_dual_cndmask_b32 v19, 0, v19
	v_cmp_lt_i32_e32 vcc_lo, 64, v11
	v_cndmask_b32_e32 v20, 0, v20, vcc_lo
	v_cmp_lt_i32_e32 vcc_lo, 0x60, v11
	s_waitcnt vmcnt(8)
	v_dual_mul_f32 v4, v4, v20 :: v_dual_cndmask_b32 v21, 0, v21
	v_cmp_lt_i32_e32 vcc_lo, 0x80, v11
	v_ldexp_f32 v20, v37, v57
	v_cndmask_b32_e32 v22, 0, v22, vcc_lo
	v_cmp_lt_i32_e32 vcc_lo, 0xa0, v11
	v_mul_f32_e32 v3, v3, v19
	v_add_f32_e32 v19, v38, v58
	s_waitcnt vmcnt(6)
	v_dual_mul_f32 v6, v6, v22 :: v_dual_cndmask_b32 v25, 0, v25
	v_cmp_lt_i32_e32 vcc_lo, 0xc0, v11
	v_add_f32_e32 v22, v18, v3
	v_exp_f32_e32 v19, v19
	s_waitcnt vmcnt(5)
	v_dual_mul_f32 v7, v7, v25 :: v_dual_cndmask_b32 v26, 0, v26
	v_cmp_lt_i32_e32 vcc_lo, 0xe0, v11
	v_mul_f32_e32 v5, v5, v21
	v_dual_sub_f32 v21, v39, v61 :: v_dual_add_f32 v22, v22, v4
	s_waitcnt vmcnt(4)
	v_dual_mul_f32 v8, v8, v26 :: v_dual_cndmask_b32 v27, 0, v27
	v_cmp_ngt_f32_e32 vcc_lo, 0xc2ce8ed0, v23
	s_delay_alu instid0(VALU_DEP_3)
	v_dual_add_f32 v21, v21, v60 :: v_dual_add_f32 v22, v22, v5
	v_cvt_i32_f32_e32 v25, v59
	s_waitcnt vmcnt(3)
	v_dual_cndmask_b32 v20, 0, v20 :: v_dual_mul_f32 v9, v9, v27
	v_cmp_nlt_f32_e32 vcc_lo, 0x42b17218, v23
	v_exp_f32_e32 v21, v21
	v_add_f32_e32 v22, v22, v6
	v_ldexp_f32 v19, v19, v25
	v_cvt_i32_f32_e32 v23, v61
	v_cndmask_b32_e32 v20, 0x7f800000, v20, vcc_lo
	v_cmp_lt_i32_e32 vcc_lo, 0x100, v11
	s_delay_alu instid0(VALU_DEP_2) | instskip(SKIP_3) | instid1(VALU_DEP_3)
	v_cndmask_b32_e32 v20, 0, v20, vcc_lo
	v_cmp_ngt_f32_e32 vcc_lo, 0xc2ce8ed0, v24
	v_cndmask_b32_e32 v19, 0, v19, vcc_lo
	s_waitcnt vmcnt(2)
	v_mul_f32_e32 v13, v13, v20
	v_ldexp_f32 v20, v21, v23
	v_add_f32_e32 v21, v22, v7
	v_cmp_nlt_f32_e32 vcc_lo, 0x42b17218, v24
	s_delay_alu instid0(VALU_DEP_2) | instskip(SKIP_4) | instid1(VALU_DEP_4)
	v_add_f32_e32 v21, v21, v8
	v_cndmask_b32_e32 v19, 0x7f800000, v19, vcc_lo
	v_cmp_ngt_f32_e32 vcc_lo, 0xc2ce8ed0, v2
	v_cndmask_b32_e32 v20, 0, v20, vcc_lo
	v_cmp_lt_i32_e32 vcc_lo, 0x120, v11
	v_cndmask_b32_e32 v19, 0, v19, vcc_lo
	v_cmp_nlt_f32_e32 vcc_lo, 0x42b17218, v2
	s_waitcnt vmcnt(1)
	s_delay_alu instid0(VALU_DEP_2) | instskip(SKIP_1) | instid1(VALU_DEP_2)
	v_dual_mul_f32 v15, v15, v19 :: v_dual_cndmask_b32 v2, 0x7f800000, v20
	v_cmp_lt_i32_e32 vcc_lo, 0x140, v11
	v_cndmask_b32_e32 v2, 0, v2, vcc_lo
	v_add_f32_e32 v20, v21, v9
	s_waitcnt vmcnt(0)
	s_delay_alu instid0(VALU_DEP_2) | instskip(NEXT) | instid1(VALU_DEP_2)
	v_mul_f32_e32 v19, v1, v2
	v_add_f32_e32 v11, v20, v13
	s_delay_alu instid0(VALU_DEP_1) | instskip(NEXT) | instid1(VALU_DEP_1)
	v_add_f32_e32 v1, v11, v15
	v_add_f32_e32 v1, v1, v19
	ds_bpermute_b32 v2, v10, v1
	v_lshlrev_b32_e32 v10, 2, v0
	ds_store_2addr_b32 v10, v18, v3 offset1:32
	v_add_nc_u32_e32 v3, 0x400, v10
	ds_store_2addr_b32 v10, v4, v5 offset0:64 offset1:96
	ds_store_2addr_b32 v10, v6, v7 offset0:128 offset1:160
	;; [unrolled: 1-line block ×3, first 2 shown]
	ds_store_2addr_b32 v3, v13, v15 offset1:32
	ds_store_b32 v10, v19 offset:1280
	s_waitcnt lgkmcnt(6)
	v_add_f32_e32 v1, v1, v2
	ds_bpermute_b32 v2, v14, v1
	s_waitcnt lgkmcnt(0)
	v_add_f32_e32 v1, v1, v2
	ds_bpermute_b32 v2, v12, v1
	;; [unrolled: 3-line block ×4, first 2 shown]
	v_cmpx_eq_u32_e32 0, v0
	s_cbranch_execz .LBB224_8
; %bb.7:
	s_waitcnt lgkmcnt(0)
	v_dual_add_f32 v1, v1, v2 :: v_dual_mov_b32 v2, 0
	ds_store_b32 v2, v1 offset:1408
.LBB224_8:
	s_or_b32 exec_lo, exec_lo, s7
	v_mov_b32_e32 v1, s6
.LBB224_9:
	s_or_b32 exec_lo, exec_lo, s24
	s_lshl_b32 s6, s18, 7
	s_mov_b32 s7, 0
	s_waitcnt lgkmcnt(0)
	v_dual_mov_b32 v2, 0 :: v_dual_lshlrev_b32 v1, 7, v1
	s_lshl_b64 s[6:7], s[6:7], 1
	v_dual_mov_b32 v29, 0 :: v_dual_mov_b32 v30, 0
	s_add_u32 s34, s4, s6
	s_addc_u32 s35, s5, s7
	s_lshl_b32 s41, s40, 7
	v_lshlrev_b64 v[3:4], 1, v[1:2]
	s_add_i32 s42, s41, 0xffffff80
	s_cmpk_lt_i32 s22, 0x100
	v_lshlrev_b32_e32 v1, 1, v0
	s_cselect_b32 s4, s42, 0
	v_dual_mov_b32 v31, 0 :: v_dual_mov_b32 v32, 0
	s_ashr_i32 s5, s4, 31
	v_add_co_u32 v3, vcc_lo, s34, v3
	s_lshl_b64 s[4:5], s[4:5], 1
	s_cmpk_lt_i32 s22, 0x200
	v_add_co_ci_u32_e32 v4, vcc_lo, s35, v4, vcc_lo
	s_cselect_b32 s6, s42, 0x80
	v_add_co_u32 v1, vcc_lo, v3, v1
	s_ashr_i32 s7, s6, 31
	s_delay_alu instid0(VALU_DEP_2)
	v_add_co_ci_u32_e32 v3, vcc_lo, 0, v4, vcc_lo
	s_lshl_b64 s[6:7], s[6:7], 1
	s_cmpk_lt_i32 s22, 0x300
	v_add_co_u32 v4, vcc_lo, v1, s4
	s_cselect_b32 s8, s42, 0x100
	v_add_co_ci_u32_e32 v5, vcc_lo, s5, v3, vcc_lo
	s_ashr_i32 s9, s8, 31
	v_add_co_u32 v8, vcc_lo, v1, s6
	s_lshl_b64 s[8:9], s[8:9], 1
	s_cmpk_lt_i32 s22, 0x400
	v_add_co_ci_u32_e32 v9, vcc_lo, s7, v3, vcc_lo
	s_cselect_b32 s10, s42, 0x180
	v_add_co_u32 v10, vcc_lo, v1, s8
	s_ashr_i32 s11, s10, 31
	v_add_co_ci_u32_e32 v11, vcc_lo, s9, v3, vcc_lo
	s_lshl_b64 s[10:11], s[10:11], 1
	s_cmpk_lt_i32 s22, 0x500
	v_add_co_u32 v12, vcc_lo, v1, s10
	s_cselect_b32 s18, s42, 0x200
	v_add_co_ci_u32_e32 v13, vcc_lo, s11, v3, vcc_lo
	s_ashr_i32 s19, s18, 31
	v_dual_mov_b32 v33, 0 :: v_dual_mov_b32 v34, 0
	s_lshl_b64 s[18:19], s[18:19], 1
	s_cmpk_lt_i32 s22, 0x600
	v_add_co_u32 v14, vcc_lo, v1, s18
	s_cselect_b32 s20, s42, 0x280
	v_add_co_ci_u32_e32 v15, vcc_lo, s19, v3, vcc_lo
	s_ashr_i32 s21, s20, 31
	v_mov_b32_e32 v35, 0
	s_lshl_b64 s[20:21], s[20:21], 1
	s_cmpk_lt_i32 s22, 0x700
	v_add_co_u32 v16, vcc_lo, v1, s20
	s_cselect_b32 s24, s42, 0x300
	v_add_co_ci_u32_e32 v17, vcc_lo, s21, v3, vcc_lo
	s_ashr_i32 s25, s24, 31
	s_delay_alu instid0(SALU_CYCLE_1)
	s_lshl_b64 s[24:25], s[24:25], 1
	s_cmpk_lt_i32 s22, 0x800
	v_add_co_u32 v18, vcc_lo, v1, s24
	s_cselect_b32 s26, s42, 0x380
	v_add_co_ci_u32_e32 v19, vcc_lo, s25, v3, vcc_lo
	s_ashr_i32 s27, s26, 31
	s_delay_alu instid0(SALU_CYCLE_1)
	s_lshl_b64 s[26:27], s[26:27], 1
	s_cmpk_lt_i32 s22, 0x900
	v_add_co_u32 v20, vcc_lo, v1, s26
	s_cselect_b32 s28, s42, 0x400
	v_add_co_ci_u32_e32 v21, vcc_lo, s27, v3, vcc_lo
	s_ashr_i32 s29, s28, 31
	s_clause 0x7
	global_load_u16 v7, v[4:5], off
	global_load_u16 v8, v[8:9], off
	;; [unrolled: 1-line block ×8, first 2 shown]
	s_lshl_b64 s[28:29], s[28:29], 1
	s_cmpk_lt_i32 s22, 0xa00
	v_add_co_u32 v12, vcc_lo, v1, s28
	s_cselect_b32 s30, s42, 0x480
	v_add_co_ci_u32_e32 v13, vcc_lo, s29, v3, vcc_lo
	s_ashr_i32 s31, s30, 31
	s_delay_alu instid0(SALU_CYCLE_1)
	s_lshl_b64 s[30:31], s[30:31], 1
	s_cmpk_lt_i32 s22, 0xb00
	v_add_co_u32 v15, vcc_lo, v1, s30
	s_cselect_b32 s34, s42, 0x500
	v_add_co_ci_u32_e32 v16, vcc_lo, s31, v3, vcc_lo
	s_ashr_i32 s35, s34, 31
	s_delay_alu instid0(SALU_CYCLE_1)
	;; [unrolled: 7-line block ×7, first 2 shown]
	s_lshl_b64 s[4:5], s[6:7], 1
	s_cmpk_gt_i32 s23, 0x1000
	v_add_co_u32 v27, vcc_lo, v1, s4
	v_add_co_ci_u32_e32 v28, vcc_lo, s5, v3, vcc_lo
	s_clause 0x7
	global_load_u16 v14, v[12:13], off
	global_load_u16 v15, v[15:16], off
	global_load_u16 v16, v[17:18], off
	global_load_u16 v17, v[19:20], off
	global_load_u16 v18, v[21:22], off
	global_load_u16 v12, v[23:24], off
	global_load_u16 v13, v[25:26], off
	global_load_u16 v19, v[27:28], off
	v_dual_mov_b32 v20, 0 :: v_dual_mov_b32 v21, 0
	v_dual_mov_b32 v22, 0 :: v_dual_mov_b32 v23, 0
	;; [unrolled: 1-line block ×4, first 2 shown]
	v_mov_b32_e32 v28, 0
	s_cselect_b32 s8, -1, 0
	s_cmpk_lt_i32 s23, 0x1001
	s_waitcnt vmcnt(0)
	s_barrier
	buffer_gl0_inv
	s_cbranch_scc1 .LBB224_11
; %bb.10:
	s_cmpk_lt_i32 s22, 0x1100
	s_cselect_b32 s4, s42, 0x800
	s_delay_alu instid0(SALU_CYCLE_1) | instskip(NEXT) | instid1(SALU_CYCLE_1)
	s_ashr_i32 s5, s4, 31
	s_lshl_b64 s[4:5], s[4:5], 1
	s_cmpk_lt_i32 s22, 0x1200
	v_add_co_u32 v20, vcc_lo, v1, s4
	s_cselect_b32 s6, s42, 0x880
	v_add_co_ci_u32_e32 v21, vcc_lo, s5, v3, vcc_lo
	s_ashr_i32 s7, s6, 31
	s_delay_alu instid0(SALU_CYCLE_1)
	s_lshl_b64 s[6:7], s[6:7], 1
	s_cmpk_lt_i32 s22, 0x1300
	v_add_co_u32 v22, vcc_lo, v1, s6
	s_cselect_b32 s10, s42, 0x900
	v_add_co_ci_u32_e32 v23, vcc_lo, s7, v3, vcc_lo
	s_ashr_i32 s11, s10, 31
	s_delay_alu instid0(SALU_CYCLE_1)
	;; [unrolled: 7-line block ×7, first 2 shown]
	s_lshl_b64 s[28:29], s[28:29], 1
	s_cmpk_lt_i32 s22, 0x1900
	v_add_co_u32 v34, vcc_lo, v1, s28
	s_cselect_b32 s30, s42, 0xc00
	v_add_co_ci_u32_e32 v35, vcc_lo, s29, v3, vcc_lo
	s_ashr_i32 s31, s30, 31
	s_clause 0x7
	global_load_u16 v36, v[20:21], off
	global_load_u16 v37, v[22:23], off
	;; [unrolled: 1-line block ×8, first 2 shown]
	s_lshl_b64 s[30:31], s[30:31], 1
	s_cmpk_lt_i32 s22, 0x1a00
	v_add_co_u32 v20, vcc_lo, v1, s30
	s_cselect_b32 s34, s42, 0xc80
	v_add_co_ci_u32_e32 v21, vcc_lo, s31, v3, vcc_lo
	s_ashr_i32 s35, s34, 31
	s_delay_alu instid0(SALU_CYCLE_1)
	s_lshl_b64 s[34:35], s[34:35], 1
	s_cmpk_lt_i32 s22, 0x1b00
	v_add_co_u32 v22, vcc_lo, v1, s34
	s_cselect_b32 s36, s42, 0xd00
	v_add_co_ci_u32_e32 v23, vcc_lo, s35, v3, vcc_lo
	s_ashr_i32 s37, s36, 31
	s_delay_alu instid0(SALU_CYCLE_1)
	;; [unrolled: 7-line block ×6, first 2 shown]
	s_lshl_b64 s[4:5], s[20:21], 1
	s_cmpk_lt_i32 s22, 0x2000
	v_add_co_u32 v32, vcc_lo, v1, s4
	s_cselect_b32 s6, s42, 0xf80
	v_add_co_ci_u32_e32 v33, vcc_lo, s5, v3, vcc_lo
	s_ashr_i32 s7, s6, 31
	s_delay_alu instid0(SALU_CYCLE_1) | instskip(NEXT) | instid1(SALU_CYCLE_1)
	s_lshl_b64 s[4:5], s[6:7], 1
	v_add_co_u32 v34, vcc_lo, v1, s4
	v_add_co_ci_u32_e32 v35, vcc_lo, s5, v3, vcc_lo
	s_clause 0x7
	global_load_u16 v20, v[20:21], off
	global_load_u16 v21, v[22:23], off
	;; [unrolled: 1-line block ×8, first 2 shown]
	s_waitcnt vmcnt(15)
	v_cvt_f32_f16_e32 v35, v36
	s_waitcnt vmcnt(14)
	v_cvt_f32_f16_e32 v34, v37
	;; [unrolled: 2-line block ×16, first 2 shown]
.LBB224_11:
	ds_load_b128 v[36:39], v2
	ds_load_b128 v[40:43], v2 offset:16
	s_load_b64 s[0:1], s[0:1], 0x0
	s_and_b32 vcc_lo, exec_lo, s8
	s_waitcnt lgkmcnt(0)
	v_fma_mix_f32 v7, v36, v7, 0 op_sel_hi:[0,1,0]
	s_delay_alu instid0(VALU_DEP_1) | instskip(NEXT) | instid1(VALU_DEP_1)
	v_fma_mix_f32 v7, v37, v8, v7 op_sel_hi:[0,1,0]
	v_fma_mix_f32 v7, v38, v9, v7 op_sel_hi:[0,1,0]
	s_delay_alu instid0(VALU_DEP_1) | instskip(SKIP_4) | instid1(VALU_DEP_1)
	v_fma_mix_f32 v7, v39, v10, v7 op_sel_hi:[0,1,0]
	ds_load_b128 v[36:39], v2 offset:48
	v_fma_mix_f32 v11, v40, v11, v7 op_sel_hi:[0,1,0]
	ds_load_b128 v[7:10], v2 offset:32
	v_fma_mix_f32 v4, v41, v4, v11 op_sel_hi:[0,1,0]
	v_fma_mix_f32 v4, v42, v5, v4 op_sel_hi:[0,1,0]
	s_delay_alu instid0(VALU_DEP_1) | instskip(SKIP_1) | instid1(VALU_DEP_1)
	v_fma_mix_f32 v4, v43, v6, v4 op_sel_hi:[0,1,0]
	s_waitcnt lgkmcnt(0)
	v_fma_mix_f32 v4, v7, v14, v4 op_sel_hi:[0,1,0]
	s_delay_alu instid0(VALU_DEP_1) | instskip(NEXT) | instid1(VALU_DEP_1)
	v_fma_mix_f32 v4, v8, v15, v4 op_sel_hi:[0,1,0]
	v_fma_mix_f32 v4, v9, v16, v4 op_sel_hi:[0,1,0]
	s_delay_alu instid0(VALU_DEP_1) | instskip(NEXT) | instid1(VALU_DEP_1)
	v_fma_mix_f32 v4, v10, v17, v4 op_sel_hi:[0,1,0]
	;; [unrolled: 3-line block ×3, first 2 shown]
	v_fma_mix_f32 v4, v38, v13, v4 op_sel_hi:[0,1,0]
	s_delay_alu instid0(VALU_DEP_1)
	v_fma_mix_f32 v4, v39, v19, v4 op_sel_hi:[0,1,0]
	s_cbranch_vccz .LBB224_13
; %bb.12:
	ds_load_b128 v[5:8], v2 offset:64
	ds_load_b128 v[9:12], v2 offset:80
	s_waitcnt lgkmcnt(1)
	v_fmac_f32_e32 v4, v5, v35
	s_delay_alu instid0(VALU_DEP_1) | instskip(NEXT) | instid1(VALU_DEP_1)
	v_fmac_f32_e32 v4, v6, v34
	v_fmac_f32_e32 v4, v7, v33
	s_delay_alu instid0(VALU_DEP_1) | instskip(SKIP_3) | instid1(VALU_DEP_1)
	v_fmac_f32_e32 v4, v8, v32
	ds_load_b128 v[5:8], v2 offset:96
	s_waitcnt lgkmcnt(1)
	v_fmac_f32_e32 v4, v9, v31
	v_fmac_f32_e32 v4, v10, v30
	s_delay_alu instid0(VALU_DEP_1) | instskip(NEXT) | instid1(VALU_DEP_1)
	v_fmac_f32_e32 v4, v11, v29
	v_fmac_f32_e32 v4, v12, v28
	ds_load_b128 v[9:12], v2 offset:112
	s_waitcnt lgkmcnt(1)
	v_fmac_f32_e32 v4, v5, v27
	s_delay_alu instid0(VALU_DEP_1) | instskip(NEXT) | instid1(VALU_DEP_1)
	v_fmac_f32_e32 v4, v6, v26
	v_fmac_f32_e32 v4, v7, v25
	s_delay_alu instid0(VALU_DEP_1) | instskip(SKIP_1) | instid1(VALU_DEP_1)
	v_fmac_f32_e32 v4, v8, v24
	s_waitcnt lgkmcnt(0)
	v_fmac_f32_e32 v4, v9, v23
	s_delay_alu instid0(VALU_DEP_1) | instskip(NEXT) | instid1(VALU_DEP_1)
	v_fmac_f32_e32 v4, v10, v22
	v_fmac_f32_e32 v4, v11, v21
	s_delay_alu instid0(VALU_DEP_1)
	v_fmac_f32_e32 v4, v12, v20
.LBB224_13:
	s_movk_i32 s43, 0x1f80
	s_movk_i32 s44, 0x80
	s_mov_b32 s45, 32
	s_branch .LBB224_15
.LBB224_14:                             ;   in Loop: Header=BB224_15 Depth=1
	s_addk_i32 s43, 0x1000
	s_addk_i32 s44, 0x80
	s_add_i32 s45, s45, 32
	s_cmpk_eq_u32 s43, 0xbf80
	s_cbranch_scc1 .LBB224_17
.LBB224_15:                             ; =>This Inner Loop Header: Depth=1
	s_cmp_le_i32 s40, s45
	s_cbranch_scc1 .LBB224_14
; %bb.16:                               ;   in Loop: Header=BB224_15 Depth=1
	s_add_i32 s4, s43, 0xfffff080
	v_mov_b32_e32 v44, s44
	s_cmp_lt_i32 s4, s41
	s_cselect_b32 s4, s4, s42
	s_add_i32 s6, s43, 0xfffff100
	s_ashr_i32 s5, s4, 31
	s_delay_alu instid0(SALU_CYCLE_1)
	s_lshl_b64 s[4:5], s[4:5], 1
	s_cmp_lt_i32 s6, s41
	v_add_co_u32 v5, vcc_lo, v1, s4
	s_cselect_b32 s6, s6, s42
	s_add_i32 s10, s43, 0xfffff180
	s_ashr_i32 s7, s6, 31
	v_add_co_ci_u32_e32 v6, vcc_lo, s5, v3, vcc_lo
	s_lshl_b64 s[8:9], s[6:7], 1
	s_cmp_lt_i32 s10, s41
	v_add_co_u32 v7, vcc_lo, v1, s8
	s_cselect_b32 s6, s10, s42
	s_add_i32 s10, s43, 0xfffff200
	s_ashr_i32 s7, s6, 31
	v_add_co_ci_u32_e32 v8, vcc_lo, s9, v3, vcc_lo
	;; [unrolled: 7-line block ×8, first 2 shown]
	s_lshl_b64 s[24:25], s[20:21], 1
	s_cmp_lt_i32 s28, s41
	s_clause 0x7
	global_load_u16 v2, v[5:6], off
	global_load_u16 v21, v[7:8], off
	;; [unrolled: 1-line block ×8, first 2 shown]
	s_cselect_b32 s20, s28, s42
	s_add_i32 s28, s43, 0xfffff580
	s_ashr_i32 s21, s20, 31
	v_add_co_u32 v5, vcc_lo, v1, s24
	s_lshl_b64 s[20:21], s[20:21], 1
	s_cmp_lt_i32 s28, s41
	v_add_co_ci_u32_e32 v6, vcc_lo, s25, v3, vcc_lo
	s_cselect_b32 s28, s28, s42
	s_add_i32 s36, s43, 0xfffff600
	s_ashr_i32 s29, s28, 31
	v_add_co_u32 v7, vcc_lo, v1, s20
	s_lshl_b64 s[30:31], s[28:29], 1
	s_cmp_lt_i32 s36, s41
	v_add_co_ci_u32_e32 v8, vcc_lo, s21, v3, vcc_lo
	;; [unrolled: 7-line block ×8, first 2 shown]
	s_cselect_b32 s10, s10, s42
	s_add_i32 s18, s43, 0xfffff980
	s_ashr_i32 s11, s10, 31
	s_clause 0x7
	global_load_u16 v28, v[5:6], off
	global_load_u16 v29, v[7:8], off
	;; [unrolled: 1-line block ×8, first 2 shown]
	s_lshl_b64 s[10:11], s[10:11], 1
	s_cmp_lt_i32 s18, s41
	v_add_co_u32 v5, vcc_lo, v1, s4
	s_cselect_b32 s18, s18, s42
	s_add_i32 s22, s43, 0xfffffa00
	s_ashr_i32 s19, s18, 31
	v_add_co_ci_u32_e32 v6, vcc_lo, s5, v3, vcc_lo
	s_lshl_b64 s[18:19], s[18:19], 1
	s_cmp_lt_i32 s22, s41
	v_add_co_u32 v7, vcc_lo, v1, s10
	s_cselect_b32 s20, s22, s42
	s_add_i32 s22, s43, 0xfffffa80
	s_ashr_i32 s21, s20, 31
	v_add_co_ci_u32_e32 v8, vcc_lo, s11, v3, vcc_lo
	;; [unrolled: 7-line block ×5, first 2 shown]
	s_lshl_b64 s[6:7], s[6:7], 1
	s_cmp_lt_i32 s24, s41
	s_clause 0x4
	global_load_u16 v19, v[5:6], off
	global_load_u16 v20, v[7:8], off
	;; [unrolled: 1-line block ×5, first 2 shown]
	s_cselect_b32 s4, s24, s42
	s_add_i32 s10, s43, 0xfffffc80
	s_ashr_i32 s5, s4, 31
	v_add_co_u32 v5, vcc_lo, v1, s8
	s_lshl_b64 s[4:5], s[4:5], 1
	s_cmp_lt_i32 s10, s41
	v_add_co_ci_u32_e32 v6, vcc_lo, s9, v3, vcc_lo
	s_cselect_b32 s10, s10, s42
	s_add_i32 s18, s43, 0xfffffd00
	s_ashr_i32 s11, s10, 31
	v_add_co_u32 v7, vcc_lo, v1, s6
	s_lshl_b64 s[10:11], s[10:11], 1
	s_cmp_lt_i32 s18, s41
	v_add_co_ci_u32_e32 v8, vcc_lo, s7, v3, vcc_lo
	s_cselect_b32 s18, s18, s42
	s_add_i32 s20, s43, 0xfffffd80
	s_ashr_i32 s19, s18, 31
	v_add_co_u32 v9, vcc_lo, v1, s4
	s_lshl_b64 s[18:19], s[18:19], 1
	s_cmp_lt_i32 s20, s41
	global_load_u16 v37, v[5:6], off
	s_cselect_b32 s8, s20, s42
	s_add_i32 s20, s43, 0xfffffe00
	s_ashr_i32 s9, s8, 31
	v_add_co_ci_u32_e32 v10, vcc_lo, s5, v3, vcc_lo
	s_lshl_b64 s[6:7], s[8:9], 1
	s_cmp_lt_i32 s20, s41
	v_add_co_u32 v11, vcc_lo, v1, s10
	s_cselect_b32 s4, s20, s42
	s_clause 0x1
	global_load_u16 v38, v[7:8], off
	global_load_u16 v39, v[9:10], off
	v_add_co_ci_u32_e32 v12, vcc_lo, s11, v3, vcc_lo
	s_ashr_i32 s5, s4, 31
	s_add_i32 s8, s43, 0xfffffe80
	v_add_co_u32 v13, vcc_lo, v1, s18
	s_lshl_b64 s[4:5], s[4:5], 1
	s_cmp_lt_i32 s8, s41
	v_add_co_ci_u32_e32 v14, vcc_lo, s19, v3, vcc_lo
	v_add_co_u32 v15, vcc_lo, v1, s6
	s_cselect_b32 s8, s8, s42
	v_add_co_ci_u32_e32 v16, vcc_lo, s7, v3, vcc_lo
	s_ashr_i32 s9, s8, 31
	s_add_i32 s10, s43, 0xffffff00
	s_lshl_b64 s[6:7], s[8:9], 1
	s_clause 0x2
	global_load_u16 v40, v[11:12], off
	global_load_u16 v13, v[13:14], off
	;; [unrolled: 1-line block ×3, first 2 shown]
	s_cmp_lt_i32 s10, s41
	v_add_co_u32 v5, vcc_lo, v1, s4
	s_cselect_b32 s8, s10, s42
	s_add_i32 s10, s43, 0xffffff80
	s_ashr_i32 s9, s8, 31
	v_add_co_ci_u32_e32 v6, vcc_lo, s5, v3, vcc_lo
	s_lshl_b64 s[8:9], s[8:9], 1
	s_cmp_lt_i32 s10, s41
	v_add_co_u32 v7, vcc_lo, v1, s6
	s_cselect_b32 s4, s10, s42
	v_add_co_ci_u32_e32 v8, vcc_lo, s7, v3, vcc_lo
	s_ashr_i32 s5, s4, 31
	v_add_co_u32 v9, vcc_lo, v1, s8
	global_load_u16 v15, v[5:6], off
	s_lshl_b64 s[4:5], s[4:5], 1
	v_add_co_ci_u32_e32 v10, vcc_lo, s9, v3, vcc_lo
	s_cmp_lt_i32 s43, s41
	s_clause 0x1
	global_load_u16 v16, v[7:8], off
	global_load_u16 v41, v[9:10], off
	s_cselect_b32 s6, s43, s42
	v_add_co_u32 v5, vcc_lo, v1, s4
	s_ashr_i32 s7, s6, 31
	v_add_co_ci_u32_e32 v6, vcc_lo, s5, v3, vcc_lo
	s_lshl_b64 s[4:5], s[6:7], 1
	s_delay_alu instid0(SALU_CYCLE_1)
	v_add_co_u32 v7, vcc_lo, v1, s4
	v_add_co_ci_u32_e32 v8, vcc_lo, s5, v3, vcc_lo
	s_clause 0x1
	global_load_u16 v42, v[5:6], off
	global_load_u16 v43, v[7:8], off
	ds_load_b128 v[5:8], v44
	ds_load_b128 v[9:12], v44 offset:16
	s_waitcnt vmcnt(31) lgkmcnt(1)
	v_fma_mix_f32 v2, v5, v2, v4 op_sel_hi:[0,1,0]
	s_waitcnt vmcnt(30)
	s_delay_alu instid0(VALU_DEP_1) | instskip(SKIP_1) | instid1(VALU_DEP_1)
	v_fma_mix_f32 v2, v6, v21, v2 op_sel_hi:[0,1,0]
	s_waitcnt vmcnt(29)
	v_fma_mix_f32 v2, v7, v22, v2 op_sel_hi:[0,1,0]
	ds_load_b128 v[4:7], v44 offset:32
	s_waitcnt vmcnt(28)
	v_fma_mix_f32 v2, v8, v23, v2 op_sel_hi:[0,1,0]
	s_waitcnt vmcnt(27) lgkmcnt(1)
	s_delay_alu instid0(VALU_DEP_1) | instskip(SKIP_1) | instid1(VALU_DEP_1)
	v_fma_mix_f32 v2, v9, v24, v2 op_sel_hi:[0,1,0]
	s_waitcnt vmcnt(26)
	v_fma_mix_f32 v2, v10, v25, v2 op_sel_hi:[0,1,0]
	s_waitcnt vmcnt(25)
	s_delay_alu instid0(VALU_DEP_1) | instskip(SKIP_4) | instid1(VALU_DEP_1)
	v_fma_mix_f32 v2, v11, v26, v2 op_sel_hi:[0,1,0]
	ds_load_b128 v[8:11], v44 offset:48
	s_waitcnt vmcnt(24)
	v_fma_mix_f32 v2, v12, v27, v2 op_sel_hi:[0,1,0]
	s_waitcnt vmcnt(23) lgkmcnt(1)
	v_fma_mix_f32 v2, v4, v28, v2 op_sel_hi:[0,1,0]
	s_waitcnt vmcnt(22)
	s_delay_alu instid0(VALU_DEP_1) | instskip(SKIP_1) | instid1(VALU_DEP_1)
	v_fma_mix_f32 v2, v5, v29, v2 op_sel_hi:[0,1,0]
	s_waitcnt vmcnt(21)
	v_fma_mix_f32 v2, v6, v30, v2 op_sel_hi:[0,1,0]
	s_waitcnt vmcnt(20)
	s_delay_alu instid0(VALU_DEP_1) | instskip(SKIP_4) | instid1(VALU_DEP_1)
	v_fma_mix_f32 v2, v7, v31, v2 op_sel_hi:[0,1,0]
	ds_load_b128 v[4:7], v44 offset:64
	s_waitcnt vmcnt(19) lgkmcnt(1)
	v_fma_mix_f32 v2, v8, v32, v2 op_sel_hi:[0,1,0]
	s_waitcnt vmcnt(18)
	v_fma_mix_f32 v2, v9, v33, v2 op_sel_hi:[0,1,0]
	s_waitcnt vmcnt(17)
	s_delay_alu instid0(VALU_DEP_1) | instskip(SKIP_1) | instid1(VALU_DEP_1)
	v_fma_mix_f32 v2, v10, v17, v2 op_sel_hi:[0,1,0]
	s_waitcnt vmcnt(16)
	v_fma_mix_f32 v2, v11, v18, v2 op_sel_hi:[0,1,0]
	ds_load_b128 v[8:11], v44 offset:80
	s_waitcnt vmcnt(15) lgkmcnt(1)
	v_fma_mix_f32 v2, v4, v19, v2 op_sel_hi:[0,1,0]
	s_waitcnt vmcnt(14)
	s_delay_alu instid0(VALU_DEP_1) | instskip(SKIP_1) | instid1(VALU_DEP_1)
	v_fma_mix_f32 v2, v5, v20, v2 op_sel_hi:[0,1,0]
	s_waitcnt vmcnt(13)
	v_fma_mix_f32 v2, v6, v34, v2 op_sel_hi:[0,1,0]
	s_waitcnt vmcnt(12)
	s_delay_alu instid0(VALU_DEP_1) | instskip(SKIP_4) | instid1(VALU_DEP_1)
	v_fma_mix_f32 v2, v7, v35, v2 op_sel_hi:[0,1,0]
	ds_load_b128 v[4:7], v44 offset:96
	s_waitcnt vmcnt(11) lgkmcnt(1)
	v_fma_mix_f32 v2, v8, v36, v2 op_sel_hi:[0,1,0]
	s_waitcnt vmcnt(10)
	v_fma_mix_f32 v2, v9, v37, v2 op_sel_hi:[0,1,0]
	s_waitcnt vmcnt(9)
	s_delay_alu instid0(VALU_DEP_1) | instskip(SKIP_1) | instid1(VALU_DEP_1)
	v_fma_mix_f32 v2, v10, v38, v2 op_sel_hi:[0,1,0]
	s_waitcnt vmcnt(8)
	v_fma_mix_f32 v2, v11, v39, v2 op_sel_hi:[0,1,0]
	ds_load_b128 v[8:11], v44 offset:112
	s_waitcnt vmcnt(7) lgkmcnt(1)
	v_fma_mix_f32 v2, v4, v40, v2 op_sel_hi:[0,1,0]
	s_waitcnt vmcnt(6)
	s_delay_alu instid0(VALU_DEP_1) | instskip(SKIP_1) | instid1(VALU_DEP_1)
	v_fma_mix_f32 v2, v5, v13, v2 op_sel_hi:[0,1,0]
	s_waitcnt vmcnt(5)
	v_fma_mix_f32 v2, v6, v14, v2 op_sel_hi:[0,1,0]
	s_waitcnt vmcnt(4)
	s_delay_alu instid0(VALU_DEP_1) | instskip(SKIP_1) | instid1(VALU_DEP_1)
	v_fma_mix_f32 v2, v7, v15, v2 op_sel_hi:[0,1,0]
	s_waitcnt vmcnt(3) lgkmcnt(0)
	v_fma_mix_f32 v2, v8, v16, v2 op_sel_hi:[0,1,0]
	s_waitcnt vmcnt(2)
	s_delay_alu instid0(VALU_DEP_1) | instskip(SKIP_1) | instid1(VALU_DEP_1)
	v_fma_mix_f32 v2, v9, v41, v2 op_sel_hi:[0,1,0]
	s_waitcnt vmcnt(1)
	v_fma_mix_f32 v2, v10, v42, v2 op_sel_hi:[0,1,0]
	s_waitcnt vmcnt(0)
	s_delay_alu instid0(VALU_DEP_1)
	v_fma_mix_f32 v4, v11, v43, v2 op_sel_hi:[0,1,0]
	s_branch .LBB224_14
.LBB224_17:
	v_mov_b32_e32 v1, 0
	s_and_b32 vcc_lo, exec_lo, s15
	ds_load_b32 v1, v1 offset:1408
	s_cbranch_vccz .LBB224_19
; %bb.18:
	s_add_u32 s2, s12, s16
	s_addc_u32 s3, s13, s17
	s_load_b32 s2, s[2:3], 0x0
	s_mov_b32 s3, 0
.LBB224_19:
	s_waitcnt lgkmcnt(0)
	v_add_f32_e32 v1, 0x358637bd, v1
	s_mul_i32 s3, s33, s3
	s_mul_hi_u32 s4, s33, s2
	s_mul_i32 s2, s33, s2
	s_add_i32 s3, s4, s3
	v_div_scale_f32 v2, null, v1, v1, 1.0
	v_div_scale_f32 v6, vcc_lo, 1.0, v1, 1.0
	s_lshl_b64 s[2:3], s[2:3], 7
	s_delay_alu instid0(VALU_DEP_2) | instskip(SKIP_4) | instid1(SALU_CYCLE_1)
	v_rcp_f32_e32 v3, v2
	s_mov_b32 s15, 0
	s_add_u32 s2, s0, s2
	s_addc_u32 s3, s1, s3
	s_lshl_b64 s[0:1], s[14:15], 7
	s_add_u32 s0, s2, s0
	s_addc_u32 s1, s3, s1
	v_add_co_u32 v0, s0, s0, v0
	s_waitcnt_depctr 0xfff
	v_fma_f32 v5, -v2, v3, 1.0
	s_delay_alu instid0(VALU_DEP_1) | instskip(NEXT) | instid1(VALU_DEP_1)
	v_fmac_f32_e32 v3, v5, v3
	v_mul_f32_e32 v5, v6, v3
	s_delay_alu instid0(VALU_DEP_1) | instskip(NEXT) | instid1(VALU_DEP_1)
	v_fma_f32 v7, -v2, v5, v6
	v_fmac_f32_e32 v5, v7, v3
	s_delay_alu instid0(VALU_DEP_1) | instskip(NEXT) | instid1(VALU_DEP_1)
	v_fma_f32 v2, -v2, v5, v6
	v_div_fmas_f32 v2, v2, v3, v5
	s_delay_alu instid0(VALU_DEP_1) | instskip(NEXT) | instid1(VALU_DEP_1)
	v_div_fixup_f32 v1, v2, v1, 1.0
	v_fma_mixlo_f16 v1, v4, v1, 0
	s_delay_alu instid0(VALU_DEP_1)
	v_cvt_i16_f16_e32 v2, v1
	v_add_co_ci_u32_e64 v1, null, s1, 0, s0
	global_store_b8 v[0:1], v2, off
	s_nop 0
	s_sendmsg sendmsg(MSG_DEALLOC_VGPRS)
	s_endpgm
.LBB224_20:
	s_mov_b32 s4, 0
	s_branch .LBB224_2
	.section	.rodata,"a",@progbits
	.p2align	6, 0x0
	.amdhsa_kernel _Z35paged_attention_ll4mi_reduce_kernelIDF16_hLi128ELi128ELi256ELi11EEvPT0_PKfS3_PKT_PKiS8_iS3_
		.amdhsa_group_segment_fixed_size 1412
		.amdhsa_private_segment_fixed_size 0
		.amdhsa_kernarg_size 320
		.amdhsa_user_sgpr_count 14
		.amdhsa_user_sgpr_dispatch_ptr 0
		.amdhsa_user_sgpr_queue_ptr 0
		.amdhsa_user_sgpr_kernarg_segment_ptr 1
		.amdhsa_user_sgpr_dispatch_id 0
		.amdhsa_user_sgpr_private_segment_size 0
		.amdhsa_wavefront_size32 1
		.amdhsa_uses_dynamic_stack 0
		.amdhsa_enable_private_segment 0
		.amdhsa_system_sgpr_workgroup_id_x 1
		.amdhsa_system_sgpr_workgroup_id_y 1
		.amdhsa_system_sgpr_workgroup_id_z 0
		.amdhsa_system_sgpr_workgroup_info 0
		.amdhsa_system_vgpr_workitem_id 0
		.amdhsa_next_free_vgpr 62
		.amdhsa_next_free_sgpr 47
		.amdhsa_reserve_vcc 1
		.amdhsa_float_round_mode_32 0
		.amdhsa_float_round_mode_16_64 0
		.amdhsa_float_denorm_mode_32 3
		.amdhsa_float_denorm_mode_16_64 3
		.amdhsa_dx10_clamp 1
		.amdhsa_ieee_mode 1
		.amdhsa_fp16_overflow 0
		.amdhsa_workgroup_processor_mode 1
		.amdhsa_memory_ordered 1
		.amdhsa_forward_progress 0
		.amdhsa_shared_vgpr_count 0
		.amdhsa_exception_fp_ieee_invalid_op 0
		.amdhsa_exception_fp_denorm_src 0
		.amdhsa_exception_fp_ieee_div_zero 0
		.amdhsa_exception_fp_ieee_overflow 0
		.amdhsa_exception_fp_ieee_underflow 0
		.amdhsa_exception_fp_ieee_inexact 0
		.amdhsa_exception_int_div_zero 0
	.end_amdhsa_kernel
	.section	.text._Z35paged_attention_ll4mi_reduce_kernelIDF16_hLi128ELi128ELi256ELi11EEvPT0_PKfS3_PKT_PKiS8_iS3_,"axG",@progbits,_Z35paged_attention_ll4mi_reduce_kernelIDF16_hLi128ELi128ELi256ELi11EEvPT0_PKfS3_PKT_PKiS8_iS3_,comdat
.Lfunc_end224:
	.size	_Z35paged_attention_ll4mi_reduce_kernelIDF16_hLi128ELi128ELi256ELi11EEvPT0_PKfS3_PKT_PKiS8_iS3_, .Lfunc_end224-_Z35paged_attention_ll4mi_reduce_kernelIDF16_hLi128ELi128ELi256ELi11EEvPT0_PKfS3_PKT_PKiS8_iS3_
                                        ; -- End function
	.section	.AMDGPU.csdata,"",@progbits
; Kernel info:
; codeLenInByte = 7124
; NumSgprs: 49
; NumVgprs: 62
; ScratchSize: 0
; MemoryBound: 0
; FloatMode: 240
; IeeeMode: 1
; LDSByteSize: 1412 bytes/workgroup (compile time only)
; SGPRBlocks: 6
; VGPRBlocks: 7
; NumSGPRsForWavesPerEU: 49
; NumVGPRsForWavesPerEU: 62
; Occupancy: 16
; WaveLimiterHint : 0
; COMPUTE_PGM_RSRC2:SCRATCH_EN: 0
; COMPUTE_PGM_RSRC2:USER_SGPR: 14
; COMPUTE_PGM_RSRC2:TRAP_HANDLER: 0
; COMPUTE_PGM_RSRC2:TGID_X_EN: 1
; COMPUTE_PGM_RSRC2:TGID_Y_EN: 1
; COMPUTE_PGM_RSRC2:TGID_Z_EN: 0
; COMPUTE_PGM_RSRC2:TIDIG_COMP_CNT: 0
	.section	.text._Z35paged_attention_ll4mi_reduce_kernelIDF16_hLi128ELi128ELi256ELi12EEvPT0_PKfS3_PKT_PKiS8_iS3_,"axG",@progbits,_Z35paged_attention_ll4mi_reduce_kernelIDF16_hLi128ELi128ELi256ELi12EEvPT0_PKfS3_PKT_PKiS8_iS3_,comdat
	.protected	_Z35paged_attention_ll4mi_reduce_kernelIDF16_hLi128ELi128ELi256ELi12EEvPT0_PKfS3_PKT_PKiS8_iS3_ ; -- Begin function _Z35paged_attention_ll4mi_reduce_kernelIDF16_hLi128ELi128ELi256ELi12EEvPT0_PKfS3_PKT_PKiS8_iS3_
	.globl	_Z35paged_attention_ll4mi_reduce_kernelIDF16_hLi128ELi128ELi256ELi12EEvPT0_PKfS3_PKT_PKiS8_iS3_
	.p2align	8
	.type	_Z35paged_attention_ll4mi_reduce_kernelIDF16_hLi128ELi128ELi256ELi12EEvPT0_PKfS3_PKT_PKiS8_iS3_,@function
_Z35paged_attention_ll4mi_reduce_kernelIDF16_hLi128ELi128ELi256ELi12EEvPT0_PKfS3_PKT_PKiS8_iS3_: ; @_Z35paged_attention_ll4mi_reduce_kernelIDF16_hLi128ELi128ELi256ELi12EEvPT0_PKfS3_PKT_PKiS8_iS3_
; %bb.0:
	s_load_b64 s[12:13], s[0:1], 0x28
	s_mov_b32 s2, s15
	s_waitcnt lgkmcnt(0)
	s_cmp_lg_u64 s[12:13], 0
	s_cselect_b32 s15, -1, 0
	s_delay_alu instid0(SALU_CYCLE_1)
	s_and_b32 vcc_lo, exec_lo, s15
	s_cbranch_vccz .LBB225_20
; %bb.1:
	s_add_i32 s4, s2, 1
	s_mov_b32 s5, 0
	s_delay_alu instid0(SALU_CYCLE_1) | instskip(SKIP_4) | instid1(SALU_CYCLE_1)
	s_lshl_b64 s[6:7], s[4:5], 2
	s_mov_b32 s3, s5
	s_add_u32 s6, s12, s6
	s_addc_u32 s7, s13, s7
	s_lshl_b64 s[8:9], s[2:3], 2
	s_add_u32 s8, s12, s8
	s_addc_u32 s9, s13, s9
	s_clause 0x1
	s_load_b32 s4, s[6:7], 0x0
	s_load_b32 s6, s[8:9], 0x0
	s_waitcnt lgkmcnt(0)
	s_sub_i32 s4, s4, s6
	s_delay_alu instid0(SALU_CYCLE_1)
	s_cmp_eq_u32 s4, 1
	s_cselect_b32 s4, -1, 0
	s_cbranch_execnz .LBB225_3
.LBB225_2:
	s_mov_b32 s3, 0
	s_mov_b32 s4, -1
.LBB225_3:
	s_delay_alu instid0(SALU_CYCLE_1)
	s_and_not1_b32 vcc_lo, exec_lo, s4
	s_cbranch_vccz .LBB225_5
; %bb.4:
	s_endpgm
.LBB225_5:
	s_clause 0x1
	s_load_b128 s[4:7], s[0:1], 0x18
	s_load_b32 s9, s[0:1], 0x30
	s_lshl_b64 s[16:17], s[2:3], 2
	s_waitcnt lgkmcnt(0)
	s_add_u32 s6, s6, s16
	s_addc_u32 s7, s7, s17
	s_load_b32 s23, s[6:7], 0x0
	s_load_b32 s33, s[0:1], 0x40
	s_mul_i32 s7, s2, s9
	s_waitcnt lgkmcnt(0)
	s_add_i32 s22, s23, 0xff
	s_delay_alu instid0(SALU_CYCLE_1) | instskip(NEXT) | instid1(SALU_CYCLE_1)
	s_ashr_i32 s6, s22, 31
	s_lshr_b32 s6, s6, 24
	s_delay_alu instid0(SALU_CYCLE_1) | instskip(SKIP_4) | instid1(SALU_CYCLE_1)
	s_add_i32 s8, s22, s6
	s_mul_i32 s6, s14, s9
	s_mov_b32 s9, exec_lo
	v_cmpx_lt_u32_e32 31, v0
	s_xor_b32 s9, exec_lo, s9
	s_or_saveexec_b32 s24, s9
	v_mov_b32_e32 v1, s6
	s_ashr_i32 s40, s8, 8
	s_mul_i32 s18, s7, s33
	s_xor_b32 exec_lo, exec_lo, s24
	s_cbranch_execz .LBB225_9
; %bb.6:
	v_or_b32_e32 v2, 32, v0
	v_cmp_gt_i32_e32 vcc_lo, s40, v0
	s_add_i32 s20, s40, -1
	v_or_b32_e32 v4, 64, v0
	v_or_b32_e32 v6, 0x60, v0
	s_load_b128 s[8:11], s[0:1], 0x8
	v_cndmask_b32_e32 v1, s20, v0, vcc_lo
	v_cmp_gt_i32_e32 vcc_lo, s40, v2
	s_mov_b32 s19, 0
	s_delay_alu instid0(SALU_CYCLE_1)
	s_mov_b32 s7, s19
	v_cndmask_b32_e32 v3, s20, v2, vcc_lo
	v_cmp_gt_i32_e32 vcc_lo, s40, v4
	v_or_b32_e32 v2, 0x80, v0
	v_cndmask_b32_e32 v5, s20, v4, vcc_lo
	v_cmp_gt_i32_e32 vcc_lo, s40, v6
	v_or_b32_e32 v4, 0xa0, v0
	;; [unrolled: 3-line block ×3, first 2 shown]
	s_delay_alu instid0(VALU_DEP_3) | instskip(SKIP_3) | instid1(VALU_DEP_3)
	v_ashrrev_i32_e32 v8, 31, v7
	v_cndmask_b32_e32 v9, s20, v2, vcc_lo
	v_cmp_gt_i32_e32 vcc_lo, s40, v4
	v_or_b32_e32 v2, 0xe0, v0
	v_ashrrev_i32_e32 v10, 31, v9
	v_cndmask_b32_e32 v11, s20, v4, vcc_lo
	v_cmp_gt_i32_e32 vcc_lo, s40, v6
	v_or_b32_e32 v4, 0x100, v0
	s_delay_alu instid0(VALU_DEP_3) | instskip(SKIP_3) | instid1(VALU_DEP_3)
	v_ashrrev_i32_e32 v12, 31, v11
	v_cndmask_b32_e32 v13, s20, v6, vcc_lo
	v_cmp_gt_i32_e32 vcc_lo, s40, v2
	v_or_b32_e32 v6, 0x140, v0
	v_ashrrev_i32_e32 v14, 31, v13
	v_cndmask_b32_e32 v15, s20, v2, vcc_lo
	v_or_b32_e32 v2, 0x120, v0
	v_cmp_gt_i32_e32 vcc_lo, s40, v4
	s_delay_alu instid0(VALU_DEP_3) | instskip(SKIP_1) | instid1(VALU_DEP_4)
	v_ashrrev_i32_e32 v16, 31, v15
	v_cndmask_b32_e32 v17, s20, v4, vcc_lo
	v_cmp_gt_i32_e32 vcc_lo, s40, v2
	v_or_b32_e32 v4, 0x160, v0
	s_delay_alu instid0(VALU_DEP_3) | instskip(SKIP_3) | instid1(VALU_DEP_3)
	v_ashrrev_i32_e32 v18, 31, v17
	v_cndmask_b32_e32 v19, s20, v2, vcc_lo
	v_cmp_gt_i32_e32 vcc_lo, s40, v6
	v_ashrrev_i32_e32 v2, 31, v1
	v_ashrrev_i32_e32 v20, 31, v19
	v_cndmask_b32_e32 v21, s20, v6, vcc_lo
	v_cmp_gt_i32_e32 vcc_lo, s40, v4
	s_delay_alu instid0(VALU_DEP_4) | instskip(SKIP_1) | instid1(VALU_DEP_4)
	v_lshlrev_b64 v[25:26], 2, v[1:2]
	v_ashrrev_i32_e32 v6, 31, v5
	v_ashrrev_i32_e32 v22, 31, v21
	v_cndmask_b32_e32 v23, s20, v4, vcc_lo
	v_ashrrev_i32_e32 v4, 31, v3
	s_lshl_b64 s[20:21], s[18:19], 2
	s_waitcnt lgkmcnt(0)
	s_add_u32 s19, s10, s20
	s_addc_u32 s25, s11, s21
	s_lshl_b64 s[10:11], s[6:7], 2
	v_lshlrev_b64 v[2:3], 2, v[3:4]
	s_add_u32 s7, s19, s10
	s_addc_u32 s19, s25, s11
	v_add_co_u32 v27, vcc_lo, s7, v25
	v_lshlrev_b64 v[4:5], 2, v[5:6]
	v_add_co_ci_u32_e32 v28, vcc_lo, s19, v26, vcc_lo
	v_add_co_u32 v29, vcc_lo, s7, v2
	v_lshlrev_b64 v[6:7], 2, v[7:8]
	v_add_co_ci_u32_e32 v30, vcc_lo, s19, v3, vcc_lo
	;; [unrolled: 3-line block ×4, first 2 shown]
	s_clause 0x3
	global_load_b32 v39, v[27:28], off
	global_load_b32 v40, v[29:30], off
	;; [unrolled: 1-line block ×4, first 2 shown]
	v_add_co_u32 v27, vcc_lo, s7, v8
	v_lshlrev_b64 v[12:13], 2, v[13:14]
	v_add_co_ci_u32_e32 v28, vcc_lo, s19, v9, vcc_lo
	v_add_co_u32 v29, vcc_lo, s7, v10
	v_lshlrev_b64 v[14:15], 2, v[15:16]
	v_add_co_ci_u32_e32 v30, vcc_lo, s19, v11, vcc_lo
	;; [unrolled: 3-line block ×4, first 2 shown]
	v_ashrrev_i32_e32 v24, 31, v23
	v_add_co_u32 v35, vcc_lo, s7, v16
	v_lshlrev_b64 v[20:21], 2, v[21:22]
	v_add_co_ci_u32_e32 v36, vcc_lo, s19, v17, vcc_lo
	v_add_co_u32 v37, vcc_lo, s7, v18
	v_lshlrev_b64 v[22:23], 2, v[23:24]
	v_add_co_ci_u32_e32 v38, vcc_lo, s19, v19, vcc_lo
	s_clause 0x5
	global_load_b32 v43, v[27:28], off
	global_load_b32 v44, v[29:30], off
	;; [unrolled: 1-line block ×6, first 2 shown]
	v_add_co_u32 v27, vcc_lo, s7, v20
	v_add_co_ci_u32_e32 v28, vcc_lo, s19, v21, vcc_lo
	v_add_co_u32 v29, vcc_lo, s7, v22
	v_add_co_ci_u32_e32 v30, vcc_lo, s19, v23, vcc_lo
	s_clause 0x1
	global_load_b32 v27, v[27:28], off
	global_load_b32 v28, v[29:30], off
	v_mbcnt_lo_u32_b32 v29, -1, 0
	s_add_u32 s7, s8, s20
	s_addc_u32 s8, s9, s21
	s_add_u32 s7, s7, s10
	s_addc_u32 s8, s8, s11
	v_xor_b32_e32 v1, 16, v29
	v_xor_b32_e32 v24, 8, v29
	s_delay_alu instid0(VALU_DEP_2) | instskip(SKIP_1) | instid1(VALU_DEP_3)
	v_cmp_gt_i32_e32 vcc_lo, 32, v1
	v_cndmask_b32_e32 v1, v29, v1, vcc_lo
	v_cmp_gt_i32_e32 vcc_lo, 32, v24
	s_delay_alu instid0(VALU_DEP_2) | instskip(SKIP_2) | instid1(VALU_DEP_1)
	v_dual_cndmask_b32 v30, v29, v24 :: v_dual_lshlrev_b32 v1, 2, v1
	s_waitcnt vmcnt(10)
	v_dual_max_f32 v35, v39, v39 :: v_dual_max_f32 v24, v40, v40
	v_max_f32_e32 v35, v35, v24
	v_add_co_u32 v24, vcc_lo, s7, v25
	v_add_co_ci_u32_e32 v25, vcc_lo, s8, v26, vcc_lo
	s_waitcnt vmcnt(8)
	s_delay_alu instid0(VALU_DEP_3)
	v_max3_f32 v26, v35, v41, v42
	v_add_co_u32 v2, vcc_lo, s7, v2
	v_add_co_ci_u32_e32 v3, vcc_lo, s8, v3, vcc_lo
	v_add_co_u32 v4, vcc_lo, s7, v4
	v_add_co_ci_u32_e32 v5, vcc_lo, s8, v5, vcc_lo
	v_add_co_u32 v6, vcc_lo, s7, v6
	v_add_co_ci_u32_e32 v7, vcc_lo, s8, v7, vcc_lo
	s_clause 0x1
	global_load_b32 v24, v[24:25], off
	global_load_b32 v25, v[2:3], off
	v_add_co_u32 v2, vcc_lo, s7, v8
	v_add_co_ci_u32_e32 v3, vcc_lo, s8, v9, vcc_lo
	global_load_b32 v35, v[4:5], off
	v_add_co_u32 v4, vcc_lo, s7, v10
	s_waitcnt vmcnt(9)
	v_max3_f32 v26, v26, v43, v44
	v_add_co_ci_u32_e32 v5, vcc_lo, s8, v11, vcc_lo
	global_load_b32 v10, v[6:7], off
	v_add_co_u32 v6, vcc_lo, s7, v12
	s_waitcnt vmcnt(8)
	v_max3_f32 v26, v26, v31, v32
	v_add_co_ci_u32_e32 v7, vcc_lo, s8, v13, vcc_lo
	s_clause 0x1
	global_load_b32 v12, v[2:3], off
	global_load_b32 v4, v[4:5], off
	s_waitcnt vmcnt(8)
	v_max3_f32 v26, v26, v33, v34
	v_add_co_u32 v2, vcc_lo, s7, v14
	v_add_co_ci_u32_e32 v3, vcc_lo, s8, v15, vcc_lo
	s_waitcnt vmcnt(6)
	s_delay_alu instid0(VALU_DEP_3)
	v_max3_f32 v26, v26, v27, v28
	v_add_co_u32 v8, vcc_lo, s7, v16
	v_add_co_ci_u32_e32 v9, vcc_lo, s8, v17, vcc_lo
	ds_bpermute_b32 v11, v1, v26
	s_clause 0x2
	global_load_b32 v6, v[6:7], off
	global_load_b32 v7, v[2:3], off
	;; [unrolled: 1-line block ×3, first 2 shown]
	v_lshlrev_b32_e32 v5, 2, v30
	v_add_co_u32 v2, vcc_lo, s7, v18
	v_add_co_ci_u32_e32 v3, vcc_lo, s8, v19, vcc_lo
	v_xor_b32_e32 v15, 4, v29
	v_xor_b32_e32 v16, 1, v29
	s_waitcnt lgkmcnt(0)
	v_max_f32_e32 v9, v11, v11
	global_load_b32 v11, v[2:3], off
	v_add_co_u32 v2, vcc_lo, s7, v20
	v_add_co_ci_u32_e32 v3, vcc_lo, s8, v21, vcc_lo
	v_max_f32_e32 v9, v26, v9
	global_load_b32 v14, v[2:3], off
	v_add_co_u32 v2, vcc_lo, s7, v22
	ds_bpermute_b32 v13, v5, v9
	v_add_co_ci_u32_e32 v3, vcc_lo, s8, v23, vcc_lo
	v_cmp_gt_i32_e32 vcc_lo, 32, v15
	s_mov_b32 s7, exec_lo
	global_load_b32 v3, v[2:3], off
	v_cndmask_b32_e32 v15, v29, v15, vcc_lo
	s_waitcnt lgkmcnt(0)
	s_delay_alu instid0(VALU_DEP_1) | instskip(SKIP_1) | instid1(VALU_DEP_2)
	v_dual_max_f32 v2, v13, v13 :: v_dual_lshlrev_b32 v13, 2, v15
	v_xor_b32_e32 v15, 2, v29
	v_max_f32_e32 v2, v9, v2
	s_delay_alu instid0(VALU_DEP_2) | instskip(SKIP_3) | instid1(VALU_DEP_2)
	v_cmp_gt_i32_e32 vcc_lo, 32, v15
	ds_bpermute_b32 v9, v13, v2
	v_cndmask_b32_e32 v15, v29, v15, vcc_lo
	v_cmp_gt_i32_e32 vcc_lo, 32, v16
	v_dual_cndmask_b32 v16, v29, v16 :: v_dual_lshlrev_b32 v15, 2, v15
	s_waitcnt lgkmcnt(0)
	s_delay_alu instid0(VALU_DEP_1) | instskip(NEXT) | instid1(VALU_DEP_1)
	v_dual_max_f32 v9, v9, v9 :: v_dual_lshlrev_b32 v16, 2, v16
	v_max_f32_e32 v2, v2, v9
	ds_bpermute_b32 v9, v15, v2
	s_waitcnt lgkmcnt(0)
	v_max_f32_e32 v9, v9, v9
	s_delay_alu instid0(VALU_DEP_1) | instskip(SKIP_3) | instid1(VALU_DEP_1)
	v_max_f32_e32 v2, v2, v9
	ds_bpermute_b32 v9, v16, v2
	s_waitcnt lgkmcnt(0)
	v_max_f32_e32 v9, v9, v9
	v_max_f32_e32 v2, v2, v9
	v_sub_nc_u32_e32 v9, s40, v0
	s_delay_alu instid0(VALU_DEP_2)
	v_sub_f32_e32 v21, v43, v2
	v_sub_f32_e32 v30, v34, v2
	;; [unrolled: 1-line block ×5, first 2 shown]
	v_mul_f32_e32 v34, 0x3fb8aa3b, v21
	v_sub_f32_e32 v18, v40, v2
	v_mul_f32_e32 v36, 0x3fb8aa3b, v22
	v_mul_f32_e32 v32, 0x3fb8aa3b, v19
	;; [unrolled: 1-line block ×3, first 2 shown]
	v_fma_f32 v51, 0x3fb8aa3b, v21, -v34
	v_rndne_f32_e32 v52, v34
	v_mul_f32_e32 v40, 0x3fb8aa3b, v30
	v_fma_f32 v53, 0x3fb8aa3b, v22, -v36
	v_rndne_f32_e32 v54, v36
	s_delay_alu instid0(VALU_DEP_4)
	v_dual_fmac_f32 v51, 0x32a5705f, v21 :: v_dual_sub_f32 v34, v34, v52
	v_sub_f32_e32 v20, v42, v2
	v_fma_f32 v47, 0x3fb8aa3b, v19, -v32
	v_rndne_f32_e32 v48, v32
	v_fma_f32 v57, 0x3fb8aa3b, v26, -v38
	v_add_f32_e32 v34, v34, v51
	v_rndne_f32_e32 v58, v38
	v_fma_f32 v61, 0x3fb8aa3b, v30, -v40
	v_rndne_f32_e32 v62, v40
	v_cvt_i32_f32_e32 v52, v52
	v_exp_f32_e32 v34, v34
	v_fmac_f32_e32 v53, 0x32a5705f, v22
	v_sub_f32_e32 v36, v36, v54
	v_sub_f32_e32 v23, v31, v2
	v_dual_sub_f32 v17, v39, v2 :: v_dual_sub_f32 v32, v32, v48
	v_fmac_f32_e32 v57, 0x32a5705f, v26
	v_sub_f32_e32 v38, v38, v58
	v_sub_f32_e32 v29, v33, v2
	v_dual_mul_f32 v33, 0x3fb8aa3b, v20 :: v_dual_sub_f32 v40, v40, v62
	v_fmac_f32_e32 v61, 0x32a5705f, v30
	v_sub_f32_e32 v27, v27, v2
	v_sub_f32_e32 v2, v28, v2
	v_dual_add_f32 v36, v36, v53 :: v_dual_mul_f32 v37, 0x3fb8aa3b, v23
	v_ldexp_f32 v34, v34, v52
	v_fmac_f32_e32 v47, 0x32a5705f, v19
	s_delay_alu instid0(VALU_DEP_4)
	v_mul_f32_e32 v42, 0x3fb8aa3b, v2
	v_mul_f32_e32 v28, 0x3fb8aa3b, v17
	v_add_f32_e32 v40, v40, v61
	v_cvt_i32_f32_e32 v48, v48
	v_add_f32_e32 v32, v32, v47
	v_fma_f32 v65, 0x3fb8aa3b, v2, -v42
	v_rndne_f32_e32 v66, v42
	v_fma_f32 v43, 0x3fb8aa3b, v17, -v28
	v_rndne_f32_e32 v44, v28
	v_exp_f32_e32 v32, v32
	v_fmac_f32_e32 v65, 0x32a5705f, v2
	v_sub_f32_e32 v42, v42, v66
	v_dual_mul_f32 v31, 0x3fb8aa3b, v18 :: v_dual_add_f32 v38, v38, v57
	v_mul_f32_e32 v39, 0x3fb8aa3b, v29
	v_exp_f32_e32 v36, v36
	v_exp_f32_e32 v40, v40
	v_sub_f32_e32 v28, v28, v44
	v_cvt_i32_f32_e32 v54, v54
	v_cvt_i32_f32_e32 v62, v62
	v_add_f32_e32 v42, v42, v65
	v_fma_f32 v45, 0x3fb8aa3b, v18, -v31
	v_rndne_f32_e32 v46, v31
	v_ldexp_f32 v32, v32, v48
	v_fmac_f32_e32 v43, 0x32a5705f, v17
	v_ldexp_f32 v36, v36, v54
	v_fmac_f32_e32 v45, 0x32a5705f, v18
	v_ldexp_f32 v40, v40, v62
	s_delay_alu instid0(VALU_DEP_4) | instskip(SKIP_3) | instid1(VALU_DEP_3)
	v_dual_sub_f32 v31, v31, v46 :: v_dual_add_f32 v28, v28, v43
	v_cvt_i32_f32_e32 v44, v44
	v_cvt_i32_f32_e32 v46, v46
	v_exp_f32_e32 v38, v38
	v_add_f32_e32 v31, v31, v45
	v_exp_f32_e32 v28, v28
	v_cmp_ngt_f32_e32 vcc_lo, 0xc2ce8ed0, v17
	v_fma_f32 v49, 0x3fb8aa3b, v20, -v33
	v_rndne_f32_e32 v50, v33
	v_exp_f32_e32 v31, v31
	v_cvt_i32_f32_e32 v58, v58
	v_fma_f32 v55, 0x3fb8aa3b, v23, -v37
	v_rndne_f32_e32 v56, v37
	v_fma_f32 v59, 0x3fb8aa3b, v29, -v39
	v_rndne_f32_e32 v60, v39
	v_ldexp_f32 v28, v28, v44
	v_mul_f32_e32 v41, 0x3fb8aa3b, v27
	v_ldexp_f32 v38, v38, v58
	v_fmac_f32_e32 v49, 0x32a5705f, v20
	v_ldexp_f32 v31, v31, v46
	v_cndmask_b32_e32 v28, 0, v28, vcc_lo
	v_cmp_ngt_f32_e32 vcc_lo, 0xc2ce8ed0, v18
	v_fmac_f32_e32 v55, 0x32a5705f, v23
	v_fmac_f32_e32 v59, 0x32a5705f, v29
	v_rndne_f32_e32 v64, v41
	v_fma_f32 v63, 0x3fb8aa3b, v27, -v41
	v_cndmask_b32_e32 v31, 0, v31, vcc_lo
	v_sub_f32_e32 v33, v33, v50
	v_cvt_i32_f32_e32 v50, v50
	v_cmp_ngt_f32_e32 vcc_lo, 0xc2ce8ed0, v19
	v_exp_f32_e32 v42, v42
	s_delay_alu instid0(VALU_DEP_3) | instskip(SKIP_1) | instid1(VALU_DEP_2)
	v_dual_add_f32 v33, v33, v49 :: v_dual_cndmask_b32 v32, 0, v32
	v_cmp_ngt_f32_e32 vcc_lo, 0xc2ce8ed0, v20
	v_exp_f32_e32 v33, v33
	s_waitcnt_depctr 0xfff
	v_ldexp_f32 v33, v33, v50
	s_delay_alu instid0(VALU_DEP_1) | instskip(SKIP_3) | instid1(VALU_DEP_3)
	v_cndmask_b32_e32 v33, 0, v33, vcc_lo
	v_sub_f32_e32 v37, v37, v56
	v_cmp_ngt_f32_e32 vcc_lo, 0xc2ce8ed0, v21
	v_cvt_i32_f32_e32 v56, v56
	v_dual_add_f32 v37, v37, v55 :: v_dual_cndmask_b32 v34, 0, v34
	v_cmp_ngt_f32_e32 vcc_lo, 0xc2ce8ed0, v22
	s_delay_alu instid0(VALU_DEP_2) | instskip(SKIP_4) | instid1(VALU_DEP_1)
	v_exp_f32_e32 v37, v37
	v_cndmask_b32_e32 v36, 0, v36, vcc_lo
	v_cmp_ngt_f32_e32 vcc_lo, 0xc2ce8ed0, v23
	s_waitcnt_depctr 0xfff
	v_ldexp_f32 v37, v37, v56
	v_cndmask_b32_e32 v37, 0, v37, vcc_lo
	v_cmp_ngt_f32_e32 vcc_lo, 0xc2ce8ed0, v26
	v_dual_cndmask_b32 v38, 0, v38 :: v_dual_sub_f32 v39, v39, v60
	v_cvt_i32_f32_e32 v60, v60
	v_cmp_ngt_f32_e32 vcc_lo, 0xc2ce8ed0, v29
	s_delay_alu instid0(VALU_DEP_3) | instskip(NEXT) | instid1(VALU_DEP_1)
	v_add_f32_e32 v39, v39, v59
	v_exp_f32_e32 v39, v39
	s_waitcnt_depctr 0xfff
	v_ldexp_f32 v39, v39, v60
	s_delay_alu instid0(VALU_DEP_1)
	v_cndmask_b32_e32 v39, 0, v39, vcc_lo
	v_cmp_ngt_f32_e32 vcc_lo, 0xc2ce8ed0, v30
	v_cndmask_b32_e32 v40, 0, v40, vcc_lo
	v_cmp_nlt_f32_e32 vcc_lo, 0x42b17218, v17
	v_cndmask_b32_e32 v17, 0x7f800000, v28, vcc_lo
	v_cmp_nlt_f32_e32 vcc_lo, 0x42b17218, v18
	;; [unrolled: 2-line block ×6, first 2 shown]
	v_cndmask_b32_e32 v22, 0x7f800000, v36, vcc_lo
	v_cmp_lt_i32_e32 vcc_lo, 0, v9
	v_cndmask_b32_e32 v17, 0, v17, vcc_lo
	v_cmp_lt_i32_e32 vcc_lo, 32, v9
	s_waitcnt vmcnt(11)
	s_delay_alu instid0(VALU_DEP_2) | instskip(SKIP_2) | instid1(VALU_DEP_2)
	v_dual_mul_f32 v17, v24, v17 :: v_dual_cndmask_b32 v18, 0, v18
	v_cmp_nlt_f32_e32 vcc_lo, 0x42b17218, v23
	s_waitcnt vmcnt(10)
	v_dual_mul_f32 v18, v25, v18 :: v_dual_cndmask_b32 v23, 0x7f800000, v37
	v_cmp_lt_i32_e32 vcc_lo, 64, v9
	v_cndmask_b32_e32 v19, 0, v19, vcc_lo
	v_cmp_nlt_f32_e32 vcc_lo, 0x42b17218, v26
	v_cndmask_b32_e32 v24, 0x7f800000, v38, vcc_lo
	v_cmp_lt_i32_e32 vcc_lo, 0x60, v9
	v_cndmask_b32_e32 v20, 0, v20, vcc_lo
	v_cmp_nlt_f32_e32 vcc_lo, 0x42b17218, v29
	v_sub_f32_e32 v41, v41, v64
	v_cvt_i32_f32_e32 v64, v64
	s_waitcnt vmcnt(8)
	v_mul_f32_e32 v10, v10, v20
	v_cndmask_b32_e32 v26, 0x7f800000, v39, vcc_lo
	v_cmp_lt_i32_e32 vcc_lo, 0x80, v9
	v_cndmask_b32_e32 v21, 0, v21, vcc_lo
	v_cmp_lt_i32_e32 vcc_lo, 0xa0, v9
	s_waitcnt vmcnt(7)
	s_delay_alu instid0(VALU_DEP_2) | instskip(SKIP_3) | instid1(VALU_DEP_2)
	v_dual_fmac_f32 v63, 0x32a5705f, v27 :: v_dual_mul_f32 v12, v12, v21
	v_cndmask_b32_e32 v22, 0, v22, vcc_lo
	v_cmp_lt_i32_e32 vcc_lo, 0xc0, v9
	s_waitcnt vmcnt(6)
	v_dual_mul_f32 v4, v4, v22 :: v_dual_cndmask_b32 v23, 0, v23
	v_cmp_lt_i32_e32 vcc_lo, 0xe0, v9
	s_waitcnt vmcnt(5)
	s_delay_alu instid0(VALU_DEP_2) | instskip(SKIP_3) | instid1(VALU_DEP_3)
	v_dual_mul_f32 v6, v6, v23 :: v_dual_cndmask_b32 v21, 0, v24
	v_cmp_lt_i32_e32 vcc_lo, 0x100, v9
	v_cvt_i32_f32_e32 v23, v66
	s_waitcnt vmcnt(4)
	v_dual_mul_f32 v7, v7, v21 :: v_dual_cndmask_b32 v24, 0, v26
	v_cmp_nlt_f32_e32 vcc_lo, 0x42b17218, v30
	s_waitcnt vmcnt(3)
	s_delay_alu instid0(VALU_DEP_2) | instskip(SKIP_1) | instid1(VALU_DEP_2)
	v_dual_add_f32 v41, v41, v63 :: v_dual_mul_f32 v8, v8, v24
	v_cndmask_b32_e32 v22, 0x7f800000, v40, vcc_lo
	v_exp_f32_e32 v41, v41
	v_cmp_ngt_f32_e32 vcc_lo, 0xc2ce8ed0, v27
	s_waitcnt_depctr 0xfff
	v_ldexp_f32 v41, v41, v64
	s_delay_alu instid0(VALU_DEP_1) | instskip(SKIP_4) | instid1(VALU_DEP_2)
	v_cndmask_b32_e32 v21, 0, v41, vcc_lo
	v_cmp_lt_i32_e32 vcc_lo, 0x120, v9
	v_cndmask_b32_e32 v22, 0, v22, vcc_lo
	v_cmp_nlt_f32_e32 vcc_lo, 0x42b17218, v27
	s_waitcnt vmcnt(2)
	v_mul_f32_e32 v11, v11, v22
	v_cndmask_b32_e32 v21, 0x7f800000, v21, vcc_lo
	v_cmp_lt_i32_e32 vcc_lo, 0x140, v9
	v_ldexp_f32 v22, v42, v23
	s_delay_alu instid0(VALU_DEP_3) | instskip(SKIP_2) | instid1(VALU_DEP_2)
	v_cndmask_b32_e32 v21, 0, v21, vcc_lo
	v_cmp_ngt_f32_e32 vcc_lo, 0xc2ce8ed0, v2
	s_waitcnt vmcnt(1)
	v_mul_f32_e32 v14, v14, v21
	v_cndmask_b32_e32 v22, 0, v22, vcc_lo
	v_cmp_nlt_f32_e32 vcc_lo, 0x42b17218, v2
	s_delay_alu instid0(VALU_DEP_2) | instskip(SKIP_1) | instid1(VALU_DEP_2)
	v_dual_mul_f32 v19, v35, v19 :: v_dual_cndmask_b32 v2, 0x7f800000, v22
	v_cmp_lt_i32_e32 vcc_lo, 0x160, v9
	v_cndmask_b32_e32 v9, 0, v2, vcc_lo
	v_add_f32_e32 v25, v17, v18
	s_delay_alu instid0(VALU_DEP_1) | instskip(NEXT) | instid1(VALU_DEP_1)
	v_add_f32_e32 v20, v25, v19
	v_add_f32_e32 v20, v20, v10
	s_delay_alu instid0(VALU_DEP_1) | instskip(NEXT) | instid1(VALU_DEP_1)
	v_add_f32_e32 v20, v20, v12
	;; [unrolled: 3-line block ×4, first 2 shown]
	v_add_f32_e32 v20, v20, v11
	s_delay_alu instid0(VALU_DEP_1) | instskip(SKIP_1) | instid1(VALU_DEP_1)
	v_add_f32_e32 v2, v20, v14
	s_waitcnt vmcnt(0)
	v_fmac_f32_e32 v2, v3, v9
	v_mul_f32_e32 v3, v3, v9
	ds_bpermute_b32 v1, v1, v2
	s_waitcnt lgkmcnt(0)
	v_add_f32_e32 v1, v2, v1
	ds_bpermute_b32 v2, v5, v1
	v_lshlrev_b32_e32 v5, 2, v0
	s_delay_alu instid0(VALU_DEP_1)
	v_add_nc_u32_e32 v9, 0x400, v5
	ds_store_2addr_b32 v5, v17, v18 offset1:32
	ds_store_2addr_b32 v5, v19, v10 offset0:64 offset1:96
	ds_store_2addr_b32 v5, v12, v4 offset0:128 offset1:160
	;; [unrolled: 1-line block ×3, first 2 shown]
	ds_store_2addr_b32 v9, v8, v11 offset1:32
	ds_store_2addr_b32 v9, v14, v3 offset0:64 offset1:96
	s_waitcnt lgkmcnt(6)
	v_add_f32_e32 v1, v1, v2
	ds_bpermute_b32 v2, v13, v1
	s_waitcnt lgkmcnt(0)
	v_add_f32_e32 v1, v1, v2
	ds_bpermute_b32 v2, v15, v1
	;; [unrolled: 3-line block ×3, first 2 shown]
	v_cmpx_eq_u32_e32 0, v0
	s_cbranch_execz .LBB225_8
; %bb.7:
	s_waitcnt lgkmcnt(0)
	v_dual_add_f32 v1, v1, v2 :: v_dual_mov_b32 v2, 0
	ds_store_b32 v2, v1 offset:1536
.LBB225_8:
	s_or_b32 exec_lo, exec_lo, s7
	v_mov_b32_e32 v1, s6
.LBB225_9:
	s_or_b32 exec_lo, exec_lo, s24
	s_lshl_b32 s6, s18, 7
	s_mov_b32 s7, 0
	s_waitcnt lgkmcnt(0)
	v_dual_mov_b32 v2, 0 :: v_dual_lshlrev_b32 v1, 7, v1
	s_lshl_b64 s[6:7], s[6:7], 1
	v_dual_mov_b32 v29, 0 :: v_dual_mov_b32 v30, 0
	s_add_u32 s34, s4, s6
	s_addc_u32 s35, s5, s7
	s_lshl_b32 s41, s40, 7
	v_lshlrev_b64 v[3:4], 1, v[1:2]
	s_add_i32 s42, s41, 0xffffff80
	s_cmpk_lt_i32 s22, 0x100
	v_lshlrev_b32_e32 v1, 1, v0
	s_cselect_b32 s4, s42, 0
	v_dual_mov_b32 v31, 0 :: v_dual_mov_b32 v32, 0
	s_ashr_i32 s5, s4, 31
	v_add_co_u32 v3, vcc_lo, s34, v3
	s_lshl_b64 s[4:5], s[4:5], 1
	s_cmpk_lt_i32 s22, 0x200
	v_add_co_ci_u32_e32 v4, vcc_lo, s35, v4, vcc_lo
	s_cselect_b32 s6, s42, 0x80
	v_add_co_u32 v1, vcc_lo, v3, v1
	s_ashr_i32 s7, s6, 31
	s_delay_alu instid0(VALU_DEP_2)
	v_add_co_ci_u32_e32 v3, vcc_lo, 0, v4, vcc_lo
	s_lshl_b64 s[6:7], s[6:7], 1
	s_cmpk_lt_i32 s22, 0x300
	v_add_co_u32 v4, vcc_lo, v1, s4
	s_cselect_b32 s8, s42, 0x100
	v_add_co_ci_u32_e32 v5, vcc_lo, s5, v3, vcc_lo
	s_ashr_i32 s9, s8, 31
	v_add_co_u32 v8, vcc_lo, v1, s6
	s_lshl_b64 s[8:9], s[8:9], 1
	s_cmpk_lt_i32 s22, 0x400
	v_add_co_ci_u32_e32 v9, vcc_lo, s7, v3, vcc_lo
	s_cselect_b32 s10, s42, 0x180
	v_add_co_u32 v10, vcc_lo, v1, s8
	s_ashr_i32 s11, s10, 31
	v_add_co_ci_u32_e32 v11, vcc_lo, s9, v3, vcc_lo
	s_lshl_b64 s[10:11], s[10:11], 1
	s_cmpk_lt_i32 s22, 0x500
	v_add_co_u32 v12, vcc_lo, v1, s10
	s_cselect_b32 s18, s42, 0x200
	v_add_co_ci_u32_e32 v13, vcc_lo, s11, v3, vcc_lo
	s_ashr_i32 s19, s18, 31
	v_dual_mov_b32 v33, 0 :: v_dual_mov_b32 v34, 0
	s_lshl_b64 s[18:19], s[18:19], 1
	s_cmpk_lt_i32 s22, 0x600
	v_add_co_u32 v14, vcc_lo, v1, s18
	s_cselect_b32 s20, s42, 0x280
	v_add_co_ci_u32_e32 v15, vcc_lo, s19, v3, vcc_lo
	s_ashr_i32 s21, s20, 31
	v_mov_b32_e32 v35, 0
	s_lshl_b64 s[20:21], s[20:21], 1
	s_cmpk_lt_i32 s22, 0x700
	v_add_co_u32 v16, vcc_lo, v1, s20
	s_cselect_b32 s24, s42, 0x300
	v_add_co_ci_u32_e32 v17, vcc_lo, s21, v3, vcc_lo
	s_ashr_i32 s25, s24, 31
	s_delay_alu instid0(SALU_CYCLE_1)
	s_lshl_b64 s[24:25], s[24:25], 1
	s_cmpk_lt_i32 s22, 0x800
	v_add_co_u32 v18, vcc_lo, v1, s24
	s_cselect_b32 s26, s42, 0x380
	v_add_co_ci_u32_e32 v19, vcc_lo, s25, v3, vcc_lo
	s_ashr_i32 s27, s26, 31
	s_delay_alu instid0(SALU_CYCLE_1)
	s_lshl_b64 s[26:27], s[26:27], 1
	s_cmpk_lt_i32 s22, 0x900
	v_add_co_u32 v20, vcc_lo, v1, s26
	s_cselect_b32 s28, s42, 0x400
	v_add_co_ci_u32_e32 v21, vcc_lo, s27, v3, vcc_lo
	s_ashr_i32 s29, s28, 31
	s_clause 0x7
	global_load_u16 v7, v[4:5], off
	global_load_u16 v8, v[8:9], off
	;; [unrolled: 1-line block ×8, first 2 shown]
	s_lshl_b64 s[28:29], s[28:29], 1
	s_cmpk_lt_i32 s22, 0xa00
	v_add_co_u32 v12, vcc_lo, v1, s28
	s_cselect_b32 s30, s42, 0x480
	v_add_co_ci_u32_e32 v13, vcc_lo, s29, v3, vcc_lo
	s_ashr_i32 s31, s30, 31
	s_delay_alu instid0(SALU_CYCLE_1)
	s_lshl_b64 s[30:31], s[30:31], 1
	s_cmpk_lt_i32 s22, 0xb00
	v_add_co_u32 v15, vcc_lo, v1, s30
	s_cselect_b32 s34, s42, 0x500
	v_add_co_ci_u32_e32 v16, vcc_lo, s31, v3, vcc_lo
	s_ashr_i32 s35, s34, 31
	s_delay_alu instid0(SALU_CYCLE_1)
	;; [unrolled: 7-line block ×7, first 2 shown]
	s_lshl_b64 s[4:5], s[6:7], 1
	s_cmpk_gt_i32 s23, 0x1000
	v_add_co_u32 v27, vcc_lo, v1, s4
	v_add_co_ci_u32_e32 v28, vcc_lo, s5, v3, vcc_lo
	s_clause 0x7
	global_load_u16 v14, v[12:13], off
	global_load_u16 v15, v[15:16], off
	;; [unrolled: 1-line block ×8, first 2 shown]
	v_dual_mov_b32 v20, 0 :: v_dual_mov_b32 v21, 0
	v_dual_mov_b32 v22, 0 :: v_dual_mov_b32 v23, 0
	;; [unrolled: 1-line block ×4, first 2 shown]
	v_mov_b32_e32 v28, 0
	s_cselect_b32 s8, -1, 0
	s_cmpk_lt_i32 s23, 0x1001
	s_waitcnt vmcnt(0)
	s_barrier
	buffer_gl0_inv
	s_cbranch_scc1 .LBB225_11
; %bb.10:
	s_cmpk_lt_i32 s22, 0x1100
	s_cselect_b32 s4, s42, 0x800
	s_delay_alu instid0(SALU_CYCLE_1) | instskip(NEXT) | instid1(SALU_CYCLE_1)
	s_ashr_i32 s5, s4, 31
	s_lshl_b64 s[4:5], s[4:5], 1
	s_cmpk_lt_i32 s22, 0x1200
	v_add_co_u32 v20, vcc_lo, v1, s4
	s_cselect_b32 s6, s42, 0x880
	v_add_co_ci_u32_e32 v21, vcc_lo, s5, v3, vcc_lo
	s_ashr_i32 s7, s6, 31
	s_delay_alu instid0(SALU_CYCLE_1)
	s_lshl_b64 s[6:7], s[6:7], 1
	s_cmpk_lt_i32 s22, 0x1300
	v_add_co_u32 v22, vcc_lo, v1, s6
	s_cselect_b32 s10, s42, 0x900
	v_add_co_ci_u32_e32 v23, vcc_lo, s7, v3, vcc_lo
	s_ashr_i32 s11, s10, 31
	s_delay_alu instid0(SALU_CYCLE_1)
	;; [unrolled: 7-line block ×7, first 2 shown]
	s_lshl_b64 s[28:29], s[28:29], 1
	s_cmpk_lt_i32 s22, 0x1900
	v_add_co_u32 v34, vcc_lo, v1, s28
	s_cselect_b32 s30, s42, 0xc00
	v_add_co_ci_u32_e32 v35, vcc_lo, s29, v3, vcc_lo
	s_ashr_i32 s31, s30, 31
	s_clause 0x7
	global_load_u16 v36, v[20:21], off
	global_load_u16 v37, v[22:23], off
	;; [unrolled: 1-line block ×8, first 2 shown]
	s_lshl_b64 s[30:31], s[30:31], 1
	s_cmpk_lt_i32 s22, 0x1a00
	v_add_co_u32 v20, vcc_lo, v1, s30
	s_cselect_b32 s34, s42, 0xc80
	v_add_co_ci_u32_e32 v21, vcc_lo, s31, v3, vcc_lo
	s_ashr_i32 s35, s34, 31
	s_delay_alu instid0(SALU_CYCLE_1)
	s_lshl_b64 s[34:35], s[34:35], 1
	s_cmpk_lt_i32 s22, 0x1b00
	v_add_co_u32 v22, vcc_lo, v1, s34
	s_cselect_b32 s36, s42, 0xd00
	v_add_co_ci_u32_e32 v23, vcc_lo, s35, v3, vcc_lo
	s_ashr_i32 s37, s36, 31
	s_delay_alu instid0(SALU_CYCLE_1)
	;; [unrolled: 7-line block ×6, first 2 shown]
	s_lshl_b64 s[4:5], s[20:21], 1
	s_cmpk_lt_i32 s22, 0x2000
	v_add_co_u32 v32, vcc_lo, v1, s4
	s_cselect_b32 s6, s42, 0xf80
	v_add_co_ci_u32_e32 v33, vcc_lo, s5, v3, vcc_lo
	s_ashr_i32 s7, s6, 31
	s_delay_alu instid0(SALU_CYCLE_1) | instskip(NEXT) | instid1(SALU_CYCLE_1)
	s_lshl_b64 s[4:5], s[6:7], 1
	v_add_co_u32 v34, vcc_lo, v1, s4
	v_add_co_ci_u32_e32 v35, vcc_lo, s5, v3, vcc_lo
	s_clause 0x7
	global_load_u16 v20, v[20:21], off
	global_load_u16 v21, v[22:23], off
	;; [unrolled: 1-line block ×8, first 2 shown]
	s_waitcnt vmcnt(15)
	v_cvt_f32_f16_e32 v35, v36
	s_waitcnt vmcnt(14)
	v_cvt_f32_f16_e32 v34, v37
	;; [unrolled: 2-line block ×16, first 2 shown]
.LBB225_11:
	ds_load_b128 v[36:39], v2
	ds_load_b128 v[40:43], v2 offset:16
	s_load_b64 s[0:1], s[0:1], 0x0
	s_and_b32 vcc_lo, exec_lo, s8
	s_waitcnt lgkmcnt(0)
	v_fma_mix_f32 v7, v36, v7, 0 op_sel_hi:[0,1,0]
	s_delay_alu instid0(VALU_DEP_1) | instskip(NEXT) | instid1(VALU_DEP_1)
	v_fma_mix_f32 v7, v37, v8, v7 op_sel_hi:[0,1,0]
	v_fma_mix_f32 v7, v38, v9, v7 op_sel_hi:[0,1,0]
	s_delay_alu instid0(VALU_DEP_1) | instskip(SKIP_4) | instid1(VALU_DEP_1)
	v_fma_mix_f32 v7, v39, v10, v7 op_sel_hi:[0,1,0]
	ds_load_b128 v[36:39], v2 offset:48
	v_fma_mix_f32 v11, v40, v11, v7 op_sel_hi:[0,1,0]
	ds_load_b128 v[7:10], v2 offset:32
	v_fma_mix_f32 v4, v41, v4, v11 op_sel_hi:[0,1,0]
	v_fma_mix_f32 v4, v42, v5, v4 op_sel_hi:[0,1,0]
	s_delay_alu instid0(VALU_DEP_1) | instskip(SKIP_1) | instid1(VALU_DEP_1)
	v_fma_mix_f32 v4, v43, v6, v4 op_sel_hi:[0,1,0]
	s_waitcnt lgkmcnt(0)
	v_fma_mix_f32 v4, v7, v14, v4 op_sel_hi:[0,1,0]
	s_delay_alu instid0(VALU_DEP_1) | instskip(NEXT) | instid1(VALU_DEP_1)
	v_fma_mix_f32 v4, v8, v15, v4 op_sel_hi:[0,1,0]
	v_fma_mix_f32 v4, v9, v16, v4 op_sel_hi:[0,1,0]
	s_delay_alu instid0(VALU_DEP_1) | instskip(NEXT) | instid1(VALU_DEP_1)
	v_fma_mix_f32 v4, v10, v17, v4 op_sel_hi:[0,1,0]
	;; [unrolled: 3-line block ×3, first 2 shown]
	v_fma_mix_f32 v4, v38, v13, v4 op_sel_hi:[0,1,0]
	s_delay_alu instid0(VALU_DEP_1)
	v_fma_mix_f32 v4, v39, v19, v4 op_sel_hi:[0,1,0]
	s_cbranch_vccz .LBB225_13
; %bb.12:
	ds_load_b128 v[5:8], v2 offset:64
	ds_load_b128 v[9:12], v2 offset:80
	s_waitcnt lgkmcnt(1)
	v_fmac_f32_e32 v4, v5, v35
	s_delay_alu instid0(VALU_DEP_1) | instskip(NEXT) | instid1(VALU_DEP_1)
	v_fmac_f32_e32 v4, v6, v34
	v_fmac_f32_e32 v4, v7, v33
	s_delay_alu instid0(VALU_DEP_1) | instskip(SKIP_3) | instid1(VALU_DEP_1)
	v_fmac_f32_e32 v4, v8, v32
	ds_load_b128 v[5:8], v2 offset:96
	s_waitcnt lgkmcnt(1)
	v_fmac_f32_e32 v4, v9, v31
	v_fmac_f32_e32 v4, v10, v30
	s_delay_alu instid0(VALU_DEP_1) | instskip(NEXT) | instid1(VALU_DEP_1)
	v_fmac_f32_e32 v4, v11, v29
	v_fmac_f32_e32 v4, v12, v28
	ds_load_b128 v[9:12], v2 offset:112
	s_waitcnt lgkmcnt(1)
	v_fmac_f32_e32 v4, v5, v27
	s_delay_alu instid0(VALU_DEP_1) | instskip(NEXT) | instid1(VALU_DEP_1)
	v_fmac_f32_e32 v4, v6, v26
	v_fmac_f32_e32 v4, v7, v25
	s_delay_alu instid0(VALU_DEP_1) | instskip(SKIP_1) | instid1(VALU_DEP_1)
	v_fmac_f32_e32 v4, v8, v24
	s_waitcnt lgkmcnt(0)
	v_fmac_f32_e32 v4, v9, v23
	s_delay_alu instid0(VALU_DEP_1) | instskip(NEXT) | instid1(VALU_DEP_1)
	v_fmac_f32_e32 v4, v10, v22
	v_fmac_f32_e32 v4, v11, v21
	s_delay_alu instid0(VALU_DEP_1)
	v_fmac_f32_e32 v4, v12, v20
.LBB225_13:
	s_movk_i32 s43, 0x1f80
	s_movk_i32 s44, 0x80
	s_mov_b32 s45, 32
	s_branch .LBB225_15
.LBB225_14:                             ;   in Loop: Header=BB225_15 Depth=1
	s_addk_i32 s43, 0x1000
	s_addk_i32 s44, 0x80
	s_add_i32 s45, s45, 32
	s_cmpk_eq_u32 s43, 0xcf80
	s_cbranch_scc1 .LBB225_17
.LBB225_15:                             ; =>This Inner Loop Header: Depth=1
	s_cmp_le_i32 s40, s45
	s_cbranch_scc1 .LBB225_14
; %bb.16:                               ;   in Loop: Header=BB225_15 Depth=1
	s_add_i32 s4, s43, 0xfffff080
	v_mov_b32_e32 v44, s44
	s_cmp_lt_i32 s4, s41
	s_cselect_b32 s4, s4, s42
	s_add_i32 s6, s43, 0xfffff100
	s_ashr_i32 s5, s4, 31
	s_delay_alu instid0(SALU_CYCLE_1)
	s_lshl_b64 s[4:5], s[4:5], 1
	s_cmp_lt_i32 s6, s41
	v_add_co_u32 v5, vcc_lo, v1, s4
	s_cselect_b32 s6, s6, s42
	s_add_i32 s10, s43, 0xfffff180
	s_ashr_i32 s7, s6, 31
	v_add_co_ci_u32_e32 v6, vcc_lo, s5, v3, vcc_lo
	s_lshl_b64 s[8:9], s[6:7], 1
	s_cmp_lt_i32 s10, s41
	v_add_co_u32 v7, vcc_lo, v1, s8
	s_cselect_b32 s6, s10, s42
	s_add_i32 s10, s43, 0xfffff200
	s_ashr_i32 s7, s6, 31
	v_add_co_ci_u32_e32 v8, vcc_lo, s9, v3, vcc_lo
	;; [unrolled: 7-line block ×8, first 2 shown]
	s_lshl_b64 s[24:25], s[20:21], 1
	s_cmp_lt_i32 s28, s41
	s_clause 0x7
	global_load_u16 v2, v[5:6], off
	global_load_u16 v21, v[7:8], off
	;; [unrolled: 1-line block ×8, first 2 shown]
	s_cselect_b32 s20, s28, s42
	s_add_i32 s28, s43, 0xfffff580
	s_ashr_i32 s21, s20, 31
	v_add_co_u32 v5, vcc_lo, v1, s24
	s_lshl_b64 s[20:21], s[20:21], 1
	s_cmp_lt_i32 s28, s41
	v_add_co_ci_u32_e32 v6, vcc_lo, s25, v3, vcc_lo
	s_cselect_b32 s28, s28, s42
	s_add_i32 s36, s43, 0xfffff600
	s_ashr_i32 s29, s28, 31
	v_add_co_u32 v7, vcc_lo, v1, s20
	s_lshl_b64 s[30:31], s[28:29], 1
	s_cmp_lt_i32 s36, s41
	v_add_co_ci_u32_e32 v8, vcc_lo, s21, v3, vcc_lo
	;; [unrolled: 7-line block ×8, first 2 shown]
	s_cselect_b32 s10, s10, s42
	s_add_i32 s18, s43, 0xfffff980
	s_ashr_i32 s11, s10, 31
	s_clause 0x7
	global_load_u16 v28, v[5:6], off
	global_load_u16 v29, v[7:8], off
	global_load_u16 v30, v[9:10], off
	global_load_u16 v31, v[11:12], off
	global_load_u16 v32, v[13:14], off
	global_load_u16 v33, v[15:16], off
	global_load_u16 v17, v[17:18], off
	global_load_u16 v18, v[19:20], off
	s_lshl_b64 s[10:11], s[10:11], 1
	s_cmp_lt_i32 s18, s41
	v_add_co_u32 v5, vcc_lo, v1, s4
	s_cselect_b32 s18, s18, s42
	s_add_i32 s22, s43, 0xfffffa00
	s_ashr_i32 s19, s18, 31
	v_add_co_ci_u32_e32 v6, vcc_lo, s5, v3, vcc_lo
	s_lshl_b64 s[18:19], s[18:19], 1
	s_cmp_lt_i32 s22, s41
	v_add_co_u32 v7, vcc_lo, v1, s10
	s_cselect_b32 s20, s22, s42
	s_add_i32 s22, s43, 0xfffffa80
	s_ashr_i32 s21, s20, 31
	v_add_co_ci_u32_e32 v8, vcc_lo, s11, v3, vcc_lo
	;; [unrolled: 7-line block ×5, first 2 shown]
	s_lshl_b64 s[6:7], s[6:7], 1
	s_cmp_lt_i32 s24, s41
	s_clause 0x4
	global_load_u16 v19, v[5:6], off
	global_load_u16 v20, v[7:8], off
	;; [unrolled: 1-line block ×5, first 2 shown]
	s_cselect_b32 s4, s24, s42
	s_add_i32 s10, s43, 0xfffffc80
	s_ashr_i32 s5, s4, 31
	v_add_co_u32 v5, vcc_lo, v1, s8
	s_lshl_b64 s[4:5], s[4:5], 1
	s_cmp_lt_i32 s10, s41
	v_add_co_ci_u32_e32 v6, vcc_lo, s9, v3, vcc_lo
	s_cselect_b32 s10, s10, s42
	s_add_i32 s18, s43, 0xfffffd00
	s_ashr_i32 s11, s10, 31
	v_add_co_u32 v7, vcc_lo, v1, s6
	s_lshl_b64 s[10:11], s[10:11], 1
	s_cmp_lt_i32 s18, s41
	v_add_co_ci_u32_e32 v8, vcc_lo, s7, v3, vcc_lo
	s_cselect_b32 s18, s18, s42
	s_add_i32 s20, s43, 0xfffffd80
	s_ashr_i32 s19, s18, 31
	v_add_co_u32 v9, vcc_lo, v1, s4
	s_lshl_b64 s[18:19], s[18:19], 1
	s_cmp_lt_i32 s20, s41
	global_load_u16 v37, v[5:6], off
	s_cselect_b32 s8, s20, s42
	s_add_i32 s20, s43, 0xfffffe00
	s_ashr_i32 s9, s8, 31
	v_add_co_ci_u32_e32 v10, vcc_lo, s5, v3, vcc_lo
	s_lshl_b64 s[6:7], s[8:9], 1
	s_cmp_lt_i32 s20, s41
	v_add_co_u32 v11, vcc_lo, v1, s10
	s_cselect_b32 s4, s20, s42
	s_clause 0x1
	global_load_u16 v38, v[7:8], off
	global_load_u16 v39, v[9:10], off
	v_add_co_ci_u32_e32 v12, vcc_lo, s11, v3, vcc_lo
	s_ashr_i32 s5, s4, 31
	s_add_i32 s8, s43, 0xfffffe80
	v_add_co_u32 v13, vcc_lo, v1, s18
	s_lshl_b64 s[4:5], s[4:5], 1
	s_cmp_lt_i32 s8, s41
	v_add_co_ci_u32_e32 v14, vcc_lo, s19, v3, vcc_lo
	v_add_co_u32 v15, vcc_lo, v1, s6
	s_cselect_b32 s8, s8, s42
	v_add_co_ci_u32_e32 v16, vcc_lo, s7, v3, vcc_lo
	s_ashr_i32 s9, s8, 31
	s_add_i32 s10, s43, 0xffffff00
	s_lshl_b64 s[6:7], s[8:9], 1
	s_clause 0x2
	global_load_u16 v40, v[11:12], off
	global_load_u16 v13, v[13:14], off
	;; [unrolled: 1-line block ×3, first 2 shown]
	s_cmp_lt_i32 s10, s41
	v_add_co_u32 v5, vcc_lo, v1, s4
	s_cselect_b32 s8, s10, s42
	s_add_i32 s10, s43, 0xffffff80
	s_ashr_i32 s9, s8, 31
	v_add_co_ci_u32_e32 v6, vcc_lo, s5, v3, vcc_lo
	s_lshl_b64 s[8:9], s[8:9], 1
	s_cmp_lt_i32 s10, s41
	v_add_co_u32 v7, vcc_lo, v1, s6
	s_cselect_b32 s4, s10, s42
	v_add_co_ci_u32_e32 v8, vcc_lo, s7, v3, vcc_lo
	s_ashr_i32 s5, s4, 31
	v_add_co_u32 v9, vcc_lo, v1, s8
	global_load_u16 v15, v[5:6], off
	s_lshl_b64 s[4:5], s[4:5], 1
	v_add_co_ci_u32_e32 v10, vcc_lo, s9, v3, vcc_lo
	s_cmp_lt_i32 s43, s41
	s_clause 0x1
	global_load_u16 v16, v[7:8], off
	global_load_u16 v41, v[9:10], off
	s_cselect_b32 s6, s43, s42
	v_add_co_u32 v5, vcc_lo, v1, s4
	s_ashr_i32 s7, s6, 31
	v_add_co_ci_u32_e32 v6, vcc_lo, s5, v3, vcc_lo
	s_lshl_b64 s[4:5], s[6:7], 1
	s_delay_alu instid0(SALU_CYCLE_1)
	v_add_co_u32 v7, vcc_lo, v1, s4
	v_add_co_ci_u32_e32 v8, vcc_lo, s5, v3, vcc_lo
	s_clause 0x1
	global_load_u16 v42, v[5:6], off
	global_load_u16 v43, v[7:8], off
	ds_load_b128 v[5:8], v44
	ds_load_b128 v[9:12], v44 offset:16
	s_waitcnt vmcnt(31) lgkmcnt(1)
	v_fma_mix_f32 v2, v5, v2, v4 op_sel_hi:[0,1,0]
	s_waitcnt vmcnt(30)
	s_delay_alu instid0(VALU_DEP_1) | instskip(SKIP_1) | instid1(VALU_DEP_1)
	v_fma_mix_f32 v2, v6, v21, v2 op_sel_hi:[0,1,0]
	s_waitcnt vmcnt(29)
	v_fma_mix_f32 v2, v7, v22, v2 op_sel_hi:[0,1,0]
	ds_load_b128 v[4:7], v44 offset:32
	s_waitcnt vmcnt(28)
	v_fma_mix_f32 v2, v8, v23, v2 op_sel_hi:[0,1,0]
	s_waitcnt vmcnt(27) lgkmcnt(1)
	s_delay_alu instid0(VALU_DEP_1) | instskip(SKIP_1) | instid1(VALU_DEP_1)
	v_fma_mix_f32 v2, v9, v24, v2 op_sel_hi:[0,1,0]
	s_waitcnt vmcnt(26)
	v_fma_mix_f32 v2, v10, v25, v2 op_sel_hi:[0,1,0]
	s_waitcnt vmcnt(25)
	s_delay_alu instid0(VALU_DEP_1) | instskip(SKIP_4) | instid1(VALU_DEP_1)
	v_fma_mix_f32 v2, v11, v26, v2 op_sel_hi:[0,1,0]
	ds_load_b128 v[8:11], v44 offset:48
	s_waitcnt vmcnt(24)
	v_fma_mix_f32 v2, v12, v27, v2 op_sel_hi:[0,1,0]
	s_waitcnt vmcnt(23) lgkmcnt(1)
	v_fma_mix_f32 v2, v4, v28, v2 op_sel_hi:[0,1,0]
	s_waitcnt vmcnt(22)
	s_delay_alu instid0(VALU_DEP_1) | instskip(SKIP_1) | instid1(VALU_DEP_1)
	v_fma_mix_f32 v2, v5, v29, v2 op_sel_hi:[0,1,0]
	s_waitcnt vmcnt(21)
	v_fma_mix_f32 v2, v6, v30, v2 op_sel_hi:[0,1,0]
	s_waitcnt vmcnt(20)
	s_delay_alu instid0(VALU_DEP_1) | instskip(SKIP_4) | instid1(VALU_DEP_1)
	v_fma_mix_f32 v2, v7, v31, v2 op_sel_hi:[0,1,0]
	ds_load_b128 v[4:7], v44 offset:64
	s_waitcnt vmcnt(19) lgkmcnt(1)
	v_fma_mix_f32 v2, v8, v32, v2 op_sel_hi:[0,1,0]
	s_waitcnt vmcnt(18)
	v_fma_mix_f32 v2, v9, v33, v2 op_sel_hi:[0,1,0]
	s_waitcnt vmcnt(17)
	s_delay_alu instid0(VALU_DEP_1) | instskip(SKIP_1) | instid1(VALU_DEP_1)
	v_fma_mix_f32 v2, v10, v17, v2 op_sel_hi:[0,1,0]
	s_waitcnt vmcnt(16)
	v_fma_mix_f32 v2, v11, v18, v2 op_sel_hi:[0,1,0]
	ds_load_b128 v[8:11], v44 offset:80
	s_waitcnt vmcnt(15) lgkmcnt(1)
	v_fma_mix_f32 v2, v4, v19, v2 op_sel_hi:[0,1,0]
	s_waitcnt vmcnt(14)
	s_delay_alu instid0(VALU_DEP_1) | instskip(SKIP_1) | instid1(VALU_DEP_1)
	v_fma_mix_f32 v2, v5, v20, v2 op_sel_hi:[0,1,0]
	s_waitcnt vmcnt(13)
	v_fma_mix_f32 v2, v6, v34, v2 op_sel_hi:[0,1,0]
	s_waitcnt vmcnt(12)
	s_delay_alu instid0(VALU_DEP_1) | instskip(SKIP_4) | instid1(VALU_DEP_1)
	v_fma_mix_f32 v2, v7, v35, v2 op_sel_hi:[0,1,0]
	ds_load_b128 v[4:7], v44 offset:96
	s_waitcnt vmcnt(11) lgkmcnt(1)
	v_fma_mix_f32 v2, v8, v36, v2 op_sel_hi:[0,1,0]
	s_waitcnt vmcnt(10)
	v_fma_mix_f32 v2, v9, v37, v2 op_sel_hi:[0,1,0]
	s_waitcnt vmcnt(9)
	s_delay_alu instid0(VALU_DEP_1) | instskip(SKIP_1) | instid1(VALU_DEP_1)
	v_fma_mix_f32 v2, v10, v38, v2 op_sel_hi:[0,1,0]
	s_waitcnt vmcnt(8)
	v_fma_mix_f32 v2, v11, v39, v2 op_sel_hi:[0,1,0]
	ds_load_b128 v[8:11], v44 offset:112
	s_waitcnt vmcnt(7) lgkmcnt(1)
	v_fma_mix_f32 v2, v4, v40, v2 op_sel_hi:[0,1,0]
	s_waitcnt vmcnt(6)
	s_delay_alu instid0(VALU_DEP_1) | instskip(SKIP_1) | instid1(VALU_DEP_1)
	v_fma_mix_f32 v2, v5, v13, v2 op_sel_hi:[0,1,0]
	s_waitcnt vmcnt(5)
	v_fma_mix_f32 v2, v6, v14, v2 op_sel_hi:[0,1,0]
	s_waitcnt vmcnt(4)
	s_delay_alu instid0(VALU_DEP_1) | instskip(SKIP_1) | instid1(VALU_DEP_1)
	v_fma_mix_f32 v2, v7, v15, v2 op_sel_hi:[0,1,0]
	s_waitcnt vmcnt(3) lgkmcnt(0)
	v_fma_mix_f32 v2, v8, v16, v2 op_sel_hi:[0,1,0]
	s_waitcnt vmcnt(2)
	s_delay_alu instid0(VALU_DEP_1) | instskip(SKIP_1) | instid1(VALU_DEP_1)
	v_fma_mix_f32 v2, v9, v41, v2 op_sel_hi:[0,1,0]
	s_waitcnt vmcnt(1)
	v_fma_mix_f32 v2, v10, v42, v2 op_sel_hi:[0,1,0]
	s_waitcnt vmcnt(0)
	s_delay_alu instid0(VALU_DEP_1)
	v_fma_mix_f32 v4, v11, v43, v2 op_sel_hi:[0,1,0]
	s_branch .LBB225_14
.LBB225_17:
	v_mov_b32_e32 v1, 0
	s_and_b32 vcc_lo, exec_lo, s15
	ds_load_b32 v1, v1 offset:1536
	s_cbranch_vccz .LBB225_19
; %bb.18:
	s_add_u32 s2, s12, s16
	s_addc_u32 s3, s13, s17
	s_load_b32 s2, s[2:3], 0x0
	s_mov_b32 s3, 0
.LBB225_19:
	s_waitcnt lgkmcnt(0)
	v_add_f32_e32 v1, 0x358637bd, v1
	s_mul_i32 s3, s33, s3
	s_mul_hi_u32 s4, s33, s2
	s_mul_i32 s2, s33, s2
	s_add_i32 s3, s4, s3
	v_div_scale_f32 v2, null, v1, v1, 1.0
	v_div_scale_f32 v6, vcc_lo, 1.0, v1, 1.0
	s_lshl_b64 s[2:3], s[2:3], 7
	s_delay_alu instid0(VALU_DEP_2) | instskip(SKIP_4) | instid1(SALU_CYCLE_1)
	v_rcp_f32_e32 v3, v2
	s_mov_b32 s15, 0
	s_add_u32 s2, s0, s2
	s_addc_u32 s3, s1, s3
	s_lshl_b64 s[0:1], s[14:15], 7
	s_add_u32 s0, s2, s0
	s_addc_u32 s1, s3, s1
	v_add_co_u32 v0, s0, s0, v0
	s_waitcnt_depctr 0xfff
	v_fma_f32 v5, -v2, v3, 1.0
	s_delay_alu instid0(VALU_DEP_1) | instskip(NEXT) | instid1(VALU_DEP_1)
	v_fmac_f32_e32 v3, v5, v3
	v_mul_f32_e32 v5, v6, v3
	s_delay_alu instid0(VALU_DEP_1) | instskip(NEXT) | instid1(VALU_DEP_1)
	v_fma_f32 v7, -v2, v5, v6
	v_fmac_f32_e32 v5, v7, v3
	s_delay_alu instid0(VALU_DEP_1) | instskip(NEXT) | instid1(VALU_DEP_1)
	v_fma_f32 v2, -v2, v5, v6
	v_div_fmas_f32 v2, v2, v3, v5
	s_delay_alu instid0(VALU_DEP_1) | instskip(NEXT) | instid1(VALU_DEP_1)
	v_div_fixup_f32 v1, v2, v1, 1.0
	v_fma_mixlo_f16 v1, v4, v1, 0
	s_delay_alu instid0(VALU_DEP_1)
	v_cvt_i16_f16_e32 v2, v1
	v_add_co_ci_u32_e64 v1, null, s1, 0, s0
	global_store_b8 v[0:1], v2, off
	s_nop 0
	s_sendmsg sendmsg(MSG_DEALLOC_VGPRS)
	s_endpgm
.LBB225_20:
	s_mov_b32 s4, 0
	s_branch .LBB225_2
	.section	.rodata,"a",@progbits
	.p2align	6, 0x0
	.amdhsa_kernel _Z35paged_attention_ll4mi_reduce_kernelIDF16_hLi128ELi128ELi256ELi12EEvPT0_PKfS3_PKT_PKiS8_iS3_
		.amdhsa_group_segment_fixed_size 1540
		.amdhsa_private_segment_fixed_size 0
		.amdhsa_kernarg_size 320
		.amdhsa_user_sgpr_count 14
		.amdhsa_user_sgpr_dispatch_ptr 0
		.amdhsa_user_sgpr_queue_ptr 0
		.amdhsa_user_sgpr_kernarg_segment_ptr 1
		.amdhsa_user_sgpr_dispatch_id 0
		.amdhsa_user_sgpr_private_segment_size 0
		.amdhsa_wavefront_size32 1
		.amdhsa_uses_dynamic_stack 0
		.amdhsa_enable_private_segment 0
		.amdhsa_system_sgpr_workgroup_id_x 1
		.amdhsa_system_sgpr_workgroup_id_y 1
		.amdhsa_system_sgpr_workgroup_id_z 0
		.amdhsa_system_sgpr_workgroup_info 0
		.amdhsa_system_vgpr_workitem_id 0
		.amdhsa_next_free_vgpr 67
		.amdhsa_next_free_sgpr 47
		.amdhsa_reserve_vcc 1
		.amdhsa_float_round_mode_32 0
		.amdhsa_float_round_mode_16_64 0
		.amdhsa_float_denorm_mode_32 3
		.amdhsa_float_denorm_mode_16_64 3
		.amdhsa_dx10_clamp 1
		.amdhsa_ieee_mode 1
		.amdhsa_fp16_overflow 0
		.amdhsa_workgroup_processor_mode 1
		.amdhsa_memory_ordered 1
		.amdhsa_forward_progress 0
		.amdhsa_shared_vgpr_count 0
		.amdhsa_exception_fp_ieee_invalid_op 0
		.amdhsa_exception_fp_denorm_src 0
		.amdhsa_exception_fp_ieee_div_zero 0
		.amdhsa_exception_fp_ieee_overflow 0
		.amdhsa_exception_fp_ieee_underflow 0
		.amdhsa_exception_fp_ieee_inexact 0
		.amdhsa_exception_int_div_zero 0
	.end_amdhsa_kernel
	.section	.text._Z35paged_attention_ll4mi_reduce_kernelIDF16_hLi128ELi128ELi256ELi12EEvPT0_PKfS3_PKT_PKiS8_iS3_,"axG",@progbits,_Z35paged_attention_ll4mi_reduce_kernelIDF16_hLi128ELi128ELi256ELi12EEvPT0_PKfS3_PKT_PKiS8_iS3_,comdat
.Lfunc_end225:
	.size	_Z35paged_attention_ll4mi_reduce_kernelIDF16_hLi128ELi128ELi256ELi12EEvPT0_PKfS3_PKT_PKiS8_iS3_, .Lfunc_end225-_Z35paged_attention_ll4mi_reduce_kernelIDF16_hLi128ELi128ELi256ELi12EEvPT0_PKfS3_PKT_PKiS8_iS3_
                                        ; -- End function
	.section	.AMDGPU.csdata,"",@progbits
; Kernel info:
; codeLenInByte = 7376
; NumSgprs: 49
; NumVgprs: 67
; ScratchSize: 0
; MemoryBound: 0
; FloatMode: 240
; IeeeMode: 1
; LDSByteSize: 1540 bytes/workgroup (compile time only)
; SGPRBlocks: 6
; VGPRBlocks: 8
; NumSGPRsForWavesPerEU: 49
; NumVGPRsForWavesPerEU: 67
; Occupancy: 16
; WaveLimiterHint : 0
; COMPUTE_PGM_RSRC2:SCRATCH_EN: 0
; COMPUTE_PGM_RSRC2:USER_SGPR: 14
; COMPUTE_PGM_RSRC2:TRAP_HANDLER: 0
; COMPUTE_PGM_RSRC2:TGID_X_EN: 1
; COMPUTE_PGM_RSRC2:TGID_Y_EN: 1
; COMPUTE_PGM_RSRC2:TGID_Z_EN: 0
; COMPUTE_PGM_RSRC2:TIDIG_COMP_CNT: 0
	.section	.text._Z35paged_attention_ll4mi_reduce_kernelIDF16_hLi128ELi128ELi256ELi13EEvPT0_PKfS3_PKT_PKiS8_iS3_,"axG",@progbits,_Z35paged_attention_ll4mi_reduce_kernelIDF16_hLi128ELi128ELi256ELi13EEvPT0_PKfS3_PKT_PKiS8_iS3_,comdat
	.protected	_Z35paged_attention_ll4mi_reduce_kernelIDF16_hLi128ELi128ELi256ELi13EEvPT0_PKfS3_PKT_PKiS8_iS3_ ; -- Begin function _Z35paged_attention_ll4mi_reduce_kernelIDF16_hLi128ELi128ELi256ELi13EEvPT0_PKfS3_PKT_PKiS8_iS3_
	.globl	_Z35paged_attention_ll4mi_reduce_kernelIDF16_hLi128ELi128ELi256ELi13EEvPT0_PKfS3_PKT_PKiS8_iS3_
	.p2align	8
	.type	_Z35paged_attention_ll4mi_reduce_kernelIDF16_hLi128ELi128ELi256ELi13EEvPT0_PKfS3_PKT_PKiS8_iS3_,@function
_Z35paged_attention_ll4mi_reduce_kernelIDF16_hLi128ELi128ELi256ELi13EEvPT0_PKfS3_PKT_PKiS8_iS3_: ; @_Z35paged_attention_ll4mi_reduce_kernelIDF16_hLi128ELi128ELi256ELi13EEvPT0_PKfS3_PKT_PKiS8_iS3_
; %bb.0:
	s_load_b64 s[12:13], s[0:1], 0x28
	s_mov_b32 s2, s15
	s_waitcnt lgkmcnt(0)
	s_cmp_lg_u64 s[12:13], 0
	s_cselect_b32 s15, -1, 0
	s_delay_alu instid0(SALU_CYCLE_1)
	s_and_b32 vcc_lo, exec_lo, s15
	s_cbranch_vccz .LBB226_20
; %bb.1:
	s_add_i32 s4, s2, 1
	s_mov_b32 s5, 0
	s_delay_alu instid0(SALU_CYCLE_1) | instskip(SKIP_4) | instid1(SALU_CYCLE_1)
	s_lshl_b64 s[6:7], s[4:5], 2
	s_mov_b32 s3, s5
	s_add_u32 s6, s12, s6
	s_addc_u32 s7, s13, s7
	s_lshl_b64 s[8:9], s[2:3], 2
	s_add_u32 s8, s12, s8
	s_addc_u32 s9, s13, s9
	s_clause 0x1
	s_load_b32 s4, s[6:7], 0x0
	s_load_b32 s6, s[8:9], 0x0
	s_waitcnt lgkmcnt(0)
	s_sub_i32 s4, s4, s6
	s_delay_alu instid0(SALU_CYCLE_1)
	s_cmp_eq_u32 s4, 1
	s_cselect_b32 s4, -1, 0
	s_cbranch_execnz .LBB226_3
.LBB226_2:
	s_mov_b32 s3, 0
	s_mov_b32 s4, -1
.LBB226_3:
	s_delay_alu instid0(SALU_CYCLE_1)
	s_and_not1_b32 vcc_lo, exec_lo, s4
	s_cbranch_vccz .LBB226_5
; %bb.4:
	s_endpgm
.LBB226_5:
	s_clause 0x1
	s_load_b128 s[4:7], s[0:1], 0x18
	s_load_b32 s9, s[0:1], 0x30
	s_lshl_b64 s[16:17], s[2:3], 2
	s_waitcnt lgkmcnt(0)
	s_add_u32 s6, s6, s16
	s_addc_u32 s7, s7, s17
	s_load_b32 s23, s[6:7], 0x0
	s_load_b32 s33, s[0:1], 0x40
	s_mul_i32 s7, s2, s9
	s_waitcnt lgkmcnt(0)
	s_add_i32 s22, s23, 0xff
	s_delay_alu instid0(SALU_CYCLE_1) | instskip(NEXT) | instid1(SALU_CYCLE_1)
	s_ashr_i32 s6, s22, 31
	s_lshr_b32 s6, s6, 24
	s_delay_alu instid0(SALU_CYCLE_1) | instskip(SKIP_4) | instid1(SALU_CYCLE_1)
	s_add_i32 s8, s22, s6
	s_mul_i32 s6, s14, s9
	s_mov_b32 s9, exec_lo
	v_cmpx_lt_u32_e32 31, v0
	s_xor_b32 s9, exec_lo, s9
	s_or_saveexec_b32 s24, s9
	v_mov_b32_e32 v1, s6
	s_ashr_i32 s40, s8, 8
	s_mul_i32 s18, s7, s33
	s_xor_b32 exec_lo, exec_lo, s24
	s_cbranch_execz .LBB226_9
; %bb.6:
	v_or_b32_e32 v2, 32, v0
	v_cmp_gt_i32_e32 vcc_lo, s40, v0
	s_add_i32 s20, s40, -1
	v_or_b32_e32 v4, 64, v0
	v_or_b32_e32 v6, 0x60, v0
	s_load_b128 s[8:11], s[0:1], 0x8
	v_cndmask_b32_e32 v1, s20, v0, vcc_lo
	v_cmp_gt_i32_e32 vcc_lo, s40, v2
	s_mov_b32 s19, 0
	s_delay_alu instid0(SALU_CYCLE_1)
	s_mov_b32 s7, s19
	v_cndmask_b32_e32 v3, s20, v2, vcc_lo
	v_cmp_gt_i32_e32 vcc_lo, s40, v4
	v_or_b32_e32 v2, 0x80, v0
	v_cndmask_b32_e32 v5, s20, v4, vcc_lo
	v_cmp_gt_i32_e32 vcc_lo, s40, v6
	v_or_b32_e32 v4, 0xa0, v0
	;; [unrolled: 3-line block ×3, first 2 shown]
	s_delay_alu instid0(VALU_DEP_3) | instskip(SKIP_3) | instid1(VALU_DEP_3)
	v_ashrrev_i32_e32 v8, 31, v7
	v_cndmask_b32_e32 v9, s20, v2, vcc_lo
	v_or_b32_e32 v2, 0xc0, v0
	v_cmp_gt_i32_e32 vcc_lo, s40, v4
	v_ashrrev_i32_e32 v10, 31, v9
	v_cndmask_b32_e32 v11, s20, v4, vcc_lo
	s_delay_alu instid0(VALU_DEP_4) | instskip(SKIP_1) | instid1(VALU_DEP_3)
	v_cmp_gt_i32_e32 vcc_lo, s40, v2
	v_or_b32_e32 v4, 0x100, v0
	v_ashrrev_i32_e32 v12, 31, v11
	v_cndmask_b32_e32 v13, s20, v2, vcc_lo
	v_cmp_gt_i32_e32 vcc_lo, s40, v6
	v_or_b32_e32 v2, 0x120, v0
	s_delay_alu instid0(VALU_DEP_3) | instskip(SKIP_3) | instid1(VALU_DEP_3)
	v_ashrrev_i32_e32 v14, 31, v13
	v_cndmask_b32_e32 v15, s20, v6, vcc_lo
	v_cmp_gt_i32_e32 vcc_lo, s40, v4
	v_or_b32_e32 v6, 0x160, v0
	v_ashrrev_i32_e32 v16, 31, v15
	v_cndmask_b32_e32 v17, s20, v4, vcc_lo
	v_or_b32_e32 v4, 0x140, v0
	v_cmp_gt_i32_e32 vcc_lo, s40, v2
	s_delay_alu instid0(VALU_DEP_3) | instskip(SKIP_1) | instid1(VALU_DEP_4)
	v_ashrrev_i32_e32 v18, 31, v17
	v_cndmask_b32_e32 v19, s20, v2, vcc_lo
	v_cmp_gt_i32_e32 vcc_lo, s40, v4
	v_or_b32_e32 v2, 0x180, v0
	s_delay_alu instid0(VALU_DEP_3) | instskip(SKIP_3) | instid1(VALU_DEP_3)
	v_ashrrev_i32_e32 v20, 31, v19
	v_cndmask_b32_e32 v21, s20, v4, vcc_lo
	v_cmp_gt_i32_e32 vcc_lo, s40, v6
	v_ashrrev_i32_e32 v4, 31, v3
	v_ashrrev_i32_e32 v22, 31, v21
	v_cndmask_b32_e32 v23, s20, v6, vcc_lo
	v_cmp_gt_i32_e32 vcc_lo, s40, v2
	v_ashrrev_i32_e32 v6, 31, v5
	s_delay_alu instid0(VALU_DEP_3)
	v_ashrrev_i32_e32 v24, 31, v23
	v_cndmask_b32_e32 v25, s20, v2, vcc_lo
	v_ashrrev_i32_e32 v2, 31, v1
	s_lshl_b64 s[20:21], s[18:19], 2
	s_waitcnt lgkmcnt(0)
	s_add_u32 s19, s10, s20
	s_addc_u32 s25, s11, s21
	v_lshlrev_b64 v[27:28], 2, v[1:2]
	s_lshl_b64 s[10:11], s[6:7], 2
	v_lshlrev_b64 v[2:3], 2, v[3:4]
	s_add_u32 s7, s19, s10
	s_addc_u32 s19, s25, s11
	v_lshlrev_b64 v[4:5], 2, v[5:6]
	v_add_co_u32 v29, vcc_lo, s7, v27
	v_add_co_ci_u32_e32 v30, vcc_lo, s19, v28, vcc_lo
	v_add_co_u32 v31, vcc_lo, s7, v2
	v_lshlrev_b64 v[6:7], 2, v[7:8]
	v_add_co_ci_u32_e32 v32, vcc_lo, s19, v3, vcc_lo
	v_add_co_u32 v33, vcc_lo, s7, v4
	v_lshlrev_b64 v[8:9], 2, v[9:10]
	;; [unrolled: 3-line block ×6, first 2 shown]
	v_add_co_ci_u32_e32 v42, vcc_lo, s19, v13, vcc_lo
	v_add_co_u32 v43, vcc_lo, s7, v14
	v_add_co_ci_u32_e32 v44, vcc_lo, s19, v15, vcc_lo
	v_lshlrev_b64 v[18:19], 2, v[19:20]
	v_add_co_u32 v45, vcc_lo, s7, v16
	v_add_co_ci_u32_e32 v46, vcc_lo, s19, v17, vcc_lo
	s_clause 0x8
	global_load_b32 v47, v[29:30], off
	global_load_b32 v48, v[31:32], off
	global_load_b32 v49, v[33:34], off
	global_load_b32 v50, v[35:36], off
	global_load_b32 v37, v[37:38], off
	global_load_b32 v38, v[39:40], off
	global_load_b32 v39, v[41:42], off
	global_load_b32 v40, v[43:44], off
	global_load_b32 v41, v[45:46], off
	v_lshlrev_b64 v[20:21], 2, v[21:22]
	v_ashrrev_i32_e32 v26, 31, v25
	v_add_co_u32 v29, vcc_lo, s7, v18
	v_lshlrev_b64 v[22:23], 2, v[23:24]
	v_add_co_ci_u32_e32 v30, vcc_lo, s19, v19, vcc_lo
	v_add_co_u32 v31, vcc_lo, s7, v20
	v_lshlrev_b64 v[24:25], 2, v[25:26]
	v_add_co_ci_u32_e32 v32, vcc_lo, s19, v21, vcc_lo
	v_add_co_u32 v33, vcc_lo, s7, v22
	v_add_co_ci_u32_e32 v34, vcc_lo, s19, v23, vcc_lo
	s_delay_alu instid0(VALU_DEP_4)
	v_add_co_u32 v35, vcc_lo, s7, v24
	v_add_co_ci_u32_e32 v36, vcc_lo, s19, v25, vcc_lo
	s_clause 0x3
	global_load_b32 v29, v[29:30], off
	global_load_b32 v30, v[31:32], off
	;; [unrolled: 1-line block ×4, first 2 shown]
	v_mbcnt_lo_u32_b32 v33, -1, 0
	s_add_u32 s7, s8, s20
	s_addc_u32 s8, s9, s21
	s_add_u32 s7, s7, s10
	s_addc_u32 s8, s8, s11
	v_xor_b32_e32 v1, 16, v33
	s_delay_alu instid0(VALU_DEP_1)
	v_cmp_gt_i32_e32 vcc_lo, 32, v1
	v_cndmask_b32_e32 v1, v33, v1, vcc_lo
	v_add_co_u32 v26, vcc_lo, s7, v27
	v_add_co_ci_u32_e32 v27, vcc_lo, s8, v28, vcc_lo
	v_add_co_u32 v2, vcc_lo, s7, v2
	v_add_co_ci_u32_e32 v3, vcc_lo, s8, v3, vcc_lo
	;; [unrolled: 2-line block ×10, first 2 shown]
	s_clause 0x9
	global_load_b32 v26, v[26:27], off
	global_load_b32 v27, v[2:3], off
	;; [unrolled: 1-line block ×10, first 2 shown]
	v_xor_b32_e32 v14, 4, v33
	v_lshlrev_b32_e32 v1, 2, v1
	v_xor_b32_e32 v5, 8, v33
	v_xor_b32_e32 v16, 1, v33
	s_delay_alu instid0(VALU_DEP_2) | instskip(SKIP_1) | instid1(VALU_DEP_1)
	v_cmp_gt_i32_e32 vcc_lo, 32, v5
	v_cndmask_b32_e32 v5, v33, v5, vcc_lo
	v_lshlrev_b32_e32 v6, 2, v5
	s_waitcnt vmcnt(20)
	v_max3_f32 v28, v47, v48, v49
	s_waitcnt vmcnt(18)
	s_delay_alu instid0(VALU_DEP_1) | instskip(SKIP_1) | instid1(VALU_DEP_1)
	v_max3_f32 v28, v28, v50, v37
	s_waitcnt vmcnt(16)
	v_max3_f32 v28, v28, v38, v39
	s_waitcnt vmcnt(14)
	s_delay_alu instid0(VALU_DEP_1) | instskip(SKIP_1) | instid1(VALU_DEP_1)
	v_max3_f32 v28, v28, v40, v41
	s_waitcnt vmcnt(12)
	v_max3_f32 v28, v28, v29, v30
	s_waitcnt vmcnt(10)
	s_delay_alu instid0(VALU_DEP_1) | instskip(SKIP_3) | instid1(VALU_DEP_1)
	v_max3_f32 v28, v28, v31, v32
	ds_bpermute_b32 v34, v1, v28
	s_waitcnt lgkmcnt(0)
	v_max_f32_e32 v7, v34, v34
	v_max_f32_e32 v12, v28, v7
	v_add_co_u32 v7, vcc_lo, s7, v20
	v_add_co_ci_u32_e32 v8, vcc_lo, s8, v21, vcc_lo
	ds_bpermute_b32 v13, v6, v12
	v_cmp_gt_i32_e32 vcc_lo, 32, v14
	global_load_b32 v5, v[7:8], off
	v_cndmask_b32_e32 v14, v33, v14, vcc_lo
	v_add_co_u32 v7, vcc_lo, s7, v22
	v_add_co_ci_u32_e32 v8, vcc_lo, s8, v23, vcc_lo
	s_delay_alu instid0(VALU_DEP_3)
	v_lshlrev_b32_e32 v14, 2, v14
	global_load_b32 v15, v[7:8], off
	v_add_co_u32 v7, vcc_lo, s7, v24
	v_add_co_ci_u32_e32 v8, vcc_lo, s8, v25, vcc_lo
	s_mov_b32 s7, exec_lo
	s_waitcnt lgkmcnt(0)
	v_max_f32_e32 v13, v13, v13
	global_load_b32 v7, v[7:8], off
	v_xor_b32_e32 v8, 2, v33
	v_max_f32_e32 v12, v12, v13
	s_delay_alu instid0(VALU_DEP_2) | instskip(SKIP_3) | instid1(VALU_DEP_2)
	v_cmp_gt_i32_e32 vcc_lo, 32, v8
	ds_bpermute_b32 v13, v14, v12
	v_cndmask_b32_e32 v8, v33, v8, vcc_lo
	v_cmp_gt_i32_e32 vcc_lo, 32, v16
	v_lshlrev_b32_e32 v8, 2, v8
	v_cndmask_b32_e32 v16, v33, v16, vcc_lo
	s_waitcnt lgkmcnt(0)
	s_delay_alu instid0(VALU_DEP_1) | instskip(NEXT) | instid1(VALU_DEP_1)
	v_dual_max_f32 v13, v13, v13 :: v_dual_lshlrev_b32 v16, 2, v16
	v_max_f32_e32 v12, v12, v13
	ds_bpermute_b32 v13, v8, v12
	s_waitcnt lgkmcnt(0)
	v_max_f32_e32 v13, v13, v13
	s_delay_alu instid0(VALU_DEP_1) | instskip(SKIP_3) | instid1(VALU_DEP_1)
	v_max_f32_e32 v12, v12, v13
	ds_bpermute_b32 v13, v16, v12
	s_waitcnt lgkmcnt(0)
	v_max_f32_e32 v13, v13, v13
	v_max_f32_e32 v12, v12, v13
	v_sub_nc_u32_e32 v13, s40, v0
	s_delay_alu instid0(VALU_DEP_2) | instskip(SKIP_3) | instid1(VALU_DEP_4)
	v_sub_f32_e32 v20, v50, v12
	v_sub_f32_e32 v22, v38, v12
	v_sub_f32_e32 v24, v40, v12
	v_sub_f32_e32 v18, v48, v12
	v_mul_f32_e32 v34, 0x3fb8aa3b, v20
	s_delay_alu instid0(VALU_DEP_4) | instskip(NEXT) | instid1(VALU_DEP_4)
	v_mul_f32_e32 v38, 0x3fb8aa3b, v22
	v_mul_f32_e32 v40, 0x3fb8aa3b, v24
	s_delay_alu instid0(VALU_DEP_3) | instskip(SKIP_1) | instid1(VALU_DEP_4)
	v_fma_f32 v51, 0x3fb8aa3b, v20, -v34
	v_rndne_f32_e32 v52, v34
	v_fma_f32 v55, 0x3fb8aa3b, v22, -v38
	v_rndne_f32_e32 v56, v38
	v_fma_f32 v59, 0x3fb8aa3b, v24, -v40
	v_fmac_f32_e32 v51, 0x32a5705f, v20
	v_sub_f32_e32 v34, v34, v52
	v_sub_f32_e32 v19, v49, v12
	v_cvt_i32_f32_e32 v52, v52
	v_dual_fmac_f32 v55, 0x32a5705f, v22 :: v_dual_sub_f32 v38, v38, v56
	s_delay_alu instid0(VALU_DEP_4) | instskip(NEXT) | instid1(VALU_DEP_4)
	v_add_f32_e32 v34, v34, v51
	v_dual_sub_f32 v28, v29, v12 :: v_dual_mul_f32 v33, 0x3fb8aa3b, v19
	s_delay_alu instid0(VALU_DEP_3) | instskip(NEXT) | instid1(VALU_DEP_3)
	v_dual_sub_f32 v21, v37, v12 :: v_dual_add_f32 v38, v38, v55
	v_exp_f32_e32 v34, v34
	v_rndne_f32_e32 v60, v40
	v_fmac_f32_e32 v59, 0x32a5705f, v24
	s_delay_alu instid0(VALU_DEP_3)
	v_mul_f32_e32 v37, 0x3fb8aa3b, v21
	v_fma_f32 v49, 0x3fb8aa3b, v19, -v33
	v_rndne_f32_e32 v50, v33
	v_sub_f32_e32 v40, v40, v60
	v_sub_f32_e32 v23, v39, v12
	v_mul_f32_e32 v42, 0x3fb8aa3b, v28
	v_cvt_i32_f32_e32 v60, v60
	v_ldexp_f32 v34, v34, v52
	v_dual_add_f32 v40, v40, v59 :: v_dual_sub_f32 v29, v30, v12
	v_sub_f32_e32 v30, v31, v12
	v_sub_f32_e32 v17, v47, v12
	v_mul_f32_e32 v39, 0x3fb8aa3b, v23
	v_fma_f32 v63, 0x3fb8aa3b, v28, -v42
	v_rndne_f32_e32 v64, v42
	s_delay_alu instid0(VALU_DEP_4) | instskip(SKIP_1) | instid1(VALU_DEP_4)
	v_dual_mul_f32 v44, 0x3fb8aa3b, v30 :: v_dual_mul_f32 v31, 0x3fb8aa3b, v17
	v_fmac_f32_e32 v49, 0x32a5705f, v19
	v_fmac_f32_e32 v63, 0x32a5705f, v28
	s_delay_alu instid0(VALU_DEP_4)
	v_sub_f32_e32 v42, v42, v64
	v_sub_f32_e32 v25, v41, v12
	v_fma_f32 v45, 0x3fb8aa3b, v17, -v31
	v_rndne_f32_e32 v46, v31
	v_sub_f32_e32 v12, v32, v12
	v_add_f32_e32 v42, v42, v63
	v_mul_f32_e32 v32, 0x3fb8aa3b, v18
	v_fmac_f32_e32 v45, 0x32a5705f, v17
	v_sub_f32_e32 v31, v31, v46
	v_cvt_i32_f32_e32 v46, v46
	v_cmp_ngt_f32_e32 vcc_lo, 0xc2ce8ed0, v17
	v_fma_f32 v47, 0x3fb8aa3b, v18, -v32
	v_rndne_f32_e32 v48, v32
	v_add_f32_e32 v31, v31, v45
	v_mul_f32_e32 v41, 0x3fb8aa3b, v25
	v_exp_f32_e32 v40, v40
	v_fma_f32 v53, 0x3fb8aa3b, v21, -v37
	v_sub_f32_e32 v32, v32, v48
	v_exp_f32_e32 v31, v31
	v_cvt_i32_f32_e32 v48, v48
	v_rndne_f32_e32 v54, v37
	v_fmac_f32_e32 v53, 0x32a5705f, v21
	v_fma_f32 v57, 0x3fb8aa3b, v23, -v39
	v_rndne_f32_e32 v58, v39
	v_fma_f32 v61, 0x3fb8aa3b, v25, -v41
	v_ldexp_f32 v40, v40, v60
	v_sub_f32_e32 v33, v33, v50
	v_cvt_i32_f32_e32 v50, v50
	v_ldexp_f32 v31, v31, v46
	v_fmac_f32_e32 v57, 0x32a5705f, v23
	v_sub_f32_e32 v39, v39, v58
	v_add_f32_e32 v33, v33, v49
	v_rndne_f32_e32 v62, v41
	v_cndmask_b32_e32 v31, 0, v31, vcc_lo
	v_cmp_ngt_f32_e32 vcc_lo, 0xc2ce8ed0, v18
	v_fmac_f32_e32 v47, 0x32a5705f, v18
	v_exp_f32_e32 v33, v33
	v_add_f32_e32 v39, v39, v57
	v_exp_f32_e32 v38, v38
	v_cvt_i32_f32_e32 v56, v56
	v_dual_add_f32 v32, v32, v47 :: v_dual_fmac_f32 v61, 0x32a5705f, v25
	v_sub_f32_e32 v41, v41, v62
	v_exp_f32_e32 v39, v39
	v_cvt_i32_f32_e32 v58, v58
	s_delay_alu instid0(VALU_DEP_3) | instskip(SKIP_2) | instid1(TRANS32_DEP_3)
	v_exp_f32_e32 v32, v32
	v_ldexp_f32 v33, v33, v50
	v_add_f32_e32 v41, v41, v61
	v_ldexp_f32 v38, v38, v56
	v_cvt_i32_f32_e32 v62, v62
	v_exp_f32_e32 v42, v42
	v_cvt_i32_f32_e32 v64, v64
	v_exp_f32_e32 v41, v41
	v_ldexp_f32 v39, v39, v58
	v_fma_f32 v67, 0x3fb8aa3b, v30, -v44
	v_ldexp_f32 v32, v32, v48
	s_delay_alu instid0(VALU_DEP_1) | instskip(SKIP_3) | instid1(TRANS32_DEP_1)
	v_dual_fmac_f32 v67, 0x32a5705f, v30 :: v_dual_cndmask_b32 v32, 0, v32
	v_sub_f32_e32 v37, v37, v54
	v_cmp_ngt_f32_e32 vcc_lo, 0xc2ce8ed0, v19
	v_cvt_i32_f32_e32 v54, v54
	v_ldexp_f32 v41, v41, v62
	v_ldexp_f32 v42, v42, v64
	v_add_f32_e32 v37, v37, v53
	v_cndmask_b32_e32 v33, 0, v33, vcc_lo
	v_cmp_ngt_f32_e32 vcc_lo, 0xc2ce8ed0, v20
	s_delay_alu instid0(VALU_DEP_3) | instskip(SKIP_4) | instid1(VALU_DEP_1)
	v_exp_f32_e32 v37, v37
	v_cndmask_b32_e32 v34, 0, v34, vcc_lo
	v_cmp_ngt_f32_e32 vcc_lo, 0xc2ce8ed0, v21
	s_waitcnt_depctr 0xfff
	v_ldexp_f32 v37, v37, v54
	v_cndmask_b32_e32 v37, 0, v37, vcc_lo
	v_cmp_ngt_f32_e32 vcc_lo, 0xc2ce8ed0, v22
	v_dual_mul_f32 v43, 0x3fb8aa3b, v29 :: v_dual_cndmask_b32 v38, 0, v38
	v_cmp_ngt_f32_e32 vcc_lo, 0xc2ce8ed0, v23
	s_delay_alu instid0(VALU_DEP_2)
	v_fma_f32 v65, 0x3fb8aa3b, v29, -v43
	v_rndne_f32_e32 v66, v43
	v_cndmask_b32_e32 v39, 0, v39, vcc_lo
	v_cmp_ngt_f32_e32 vcc_lo, 0xc2ce8ed0, v24
	v_cndmask_b32_e32 v40, 0, v40, vcc_lo
	v_cmp_ngt_f32_e32 vcc_lo, 0xc2ce8ed0, v25
	v_cndmask_b32_e32 v41, 0, v41, vcc_lo
	v_cmp_ngt_f32_e32 vcc_lo, 0xc2ce8ed0, v28
	v_cndmask_b32_e32 v42, 0, v42, vcc_lo
	v_cmp_nlt_f32_e32 vcc_lo, 0x42b17218, v17
	v_cndmask_b32_e32 v17, 0x7f800000, v31, vcc_lo
	v_cmp_nlt_f32_e32 vcc_lo, 0x42b17218, v18
	v_cndmask_b32_e32 v18, 0x7f800000, v32, vcc_lo
	v_cmp_nlt_f32_e32 vcc_lo, 0x42b17218, v19
	v_cndmask_b32_e32 v19, 0x7f800000, v33, vcc_lo
	v_cmp_nlt_f32_e32 vcc_lo, 0x42b17218, v20
	v_cndmask_b32_e32 v20, 0x7f800000, v34, vcc_lo
	v_cmp_nlt_f32_e32 vcc_lo, 0x42b17218, v21
	v_cndmask_b32_e32 v21, 0x7f800000, v37, vcc_lo
	v_cmp_nlt_f32_e32 vcc_lo, 0x42b17218, v22
	v_cndmask_b32_e32 v22, 0x7f800000, v38, vcc_lo
	v_cmp_nlt_f32_e32 vcc_lo, 0x42b17218, v23
	v_cndmask_b32_e32 v23, 0x7f800000, v39, vcc_lo
	v_cmp_nlt_f32_e32 vcc_lo, 0x42b17218, v24
	v_cndmask_b32_e32 v24, 0x7f800000, v40, vcc_lo
	v_cmp_nlt_f32_e32 vcc_lo, 0x42b17218, v25
	v_cndmask_b32_e32 v25, 0x7f800000, v41, vcc_lo
	v_cmp_nlt_f32_e32 vcc_lo, 0x42b17218, v28
	v_cndmask_b32_e32 v28, 0x7f800000, v42, vcc_lo
	v_cmp_lt_i32_e32 vcc_lo, 0, v13
	v_cndmask_b32_e32 v17, 0, v17, vcc_lo
	v_cmp_lt_i32_e32 vcc_lo, 32, v13
	s_waitcnt vmcnt(12)
	s_delay_alu instid0(VALU_DEP_2) | instskip(SKIP_3) | instid1(VALU_DEP_3)
	v_dual_mul_f32 v17, v26, v17 :: v_dual_cndmask_b32 v18, 0, v18
	v_cmp_lt_i32_e32 vcc_lo, 64, v13
	v_cvt_i32_f32_e32 v26, v66
	s_waitcnt vmcnt(11)
	v_dual_mul_f32 v18, v27, v18 :: v_dual_cndmask_b32 v19, 0, v19
	v_cmp_lt_i32_e32 vcc_lo, 0x60, v13
	v_cndmask_b32_e32 v20, 0, v20, vcc_lo
	v_cmp_lt_i32_e32 vcc_lo, 0x80, v13
	s_waitcnt vmcnt(9)
	s_delay_alu instid0(VALU_DEP_2) | instskip(SKIP_3) | instid1(VALU_DEP_2)
	v_dual_fmac_f32 v65, 0x32a5705f, v29 :: v_dual_mul_f32 v20, v36, v20
	v_cndmask_b32_e32 v21, 0, v21, vcc_lo
	v_cmp_lt_i32_e32 vcc_lo, 0xa0, v13
	s_waitcnt vmcnt(8)
	v_dual_mul_f32 v9, v9, v21 :: v_dual_cndmask_b32 v22, 0, v22
	v_cmp_lt_i32_e32 vcc_lo, 0xc0, v13
	v_rndne_f32_e32 v21, v44
	s_waitcnt vmcnt(7)
	s_delay_alu instid0(VALU_DEP_3) | instskip(SKIP_2) | instid1(VALU_DEP_2)
	v_dual_mul_f32 v10, v10, v22 :: v_dual_cndmask_b32 v23, 0, v23
	v_cmp_lt_i32_e32 vcc_lo, 0xe0, v13
	s_waitcnt vmcnt(6)
	v_dual_mul_f32 v11, v11, v23 :: v_dual_cndmask_b32 v24, 0, v24
	v_sub_f32_e32 v43, v43, v66
	v_cmp_lt_i32_e32 vcc_lo, 0x100, v13
	v_mul_f32_e32 v23, 0x3fb8aa3b, v12
	s_waitcnt vmcnt(5)
	s_delay_alu instid0(VALU_DEP_3) | instskip(SKIP_3) | instid1(VALU_DEP_4)
	v_dual_mul_f32 v2, v2, v24 :: v_dual_add_f32 v43, v43, v65
	v_dual_add_f32 v24, v17, v18 :: v_dual_cndmask_b32 v25, 0, v25
	v_cmp_lt_i32_e32 vcc_lo, 0x120, v13
	v_fma_f32 v27, 0x3fb8aa3b, v12, -v23
	v_exp_f32_e32 v22, v43
	s_waitcnt vmcnt(4)
	v_dual_mul_f32 v3, v3, v25 :: v_dual_cndmask_b32 v28, 0, v28
	v_sub_f32_e32 v25, v44, v21
	v_cmp_ngt_f32_e32 vcc_lo, 0xc2ce8ed0, v29
	v_fmac_f32_e32 v27, 0x32a5705f, v12
	v_cvt_i32_f32_e32 v21, v21
	s_waitcnt vmcnt(3)
	v_mul_f32_e32 v4, v4, v28
	v_rndne_f32_e32 v28, v23
	v_add_f32_e32 v25, v25, v67
	v_ldexp_f32 v22, v22, v26
	s_delay_alu instid0(VALU_DEP_3) | instskip(NEXT) | instid1(VALU_DEP_3)
	v_sub_f32_e32 v23, v23, v28
	v_exp_f32_e32 v25, v25
	s_delay_alu instid0(VALU_DEP_2) | instskip(SKIP_1) | instid1(VALU_DEP_2)
	v_cndmask_b32_e32 v22, 0, v22, vcc_lo
	v_cmp_nlt_f32_e32 vcc_lo, 0x42b17218, v29
	v_dual_add_f32 v23, v23, v27 :: v_dual_cndmask_b32 v22, 0x7f800000, v22
	v_cmp_lt_i32_e32 vcc_lo, 0x140, v13
	s_delay_alu instid0(VALU_DEP_2)
	v_exp_f32_e32 v23, v23
	s_waitcnt_depctr 0xfff
	v_ldexp_f32 v21, v25, v21
	v_cvt_i32_f32_e32 v25, v28
	v_cndmask_b32_e32 v22, 0, v22, vcc_lo
	v_cmp_ngt_f32_e32 vcc_lo, 0xc2ce8ed0, v30
	s_waitcnt vmcnt(2)
	s_delay_alu instid0(VALU_DEP_2) | instskip(SKIP_3) | instid1(VALU_DEP_3)
	v_mul_f32_e32 v5, v5, v22
	v_cndmask_b32_e32 v21, 0, v21, vcc_lo
	v_cmp_nlt_f32_e32 vcc_lo, 0x42b17218, v30
	v_ldexp_f32 v22, v23, v25
	v_cndmask_b32_e32 v21, 0x7f800000, v21, vcc_lo
	v_cmp_ngt_f32_e32 vcc_lo, 0xc2ce8ed0, v12
	s_delay_alu instid0(VALU_DEP_3) | instskip(SKIP_1) | instid1(VALU_DEP_4)
	v_cndmask_b32_e32 v22, 0, v22, vcc_lo
	v_cmp_lt_i32_e32 vcc_lo, 0x160, v13
	v_cndmask_b32_e32 v21, 0, v21, vcc_lo
	v_cmp_nlt_f32_e32 vcc_lo, 0x42b17218, v12
	v_mul_f32_e32 v19, v35, v19
	s_waitcnt vmcnt(1)
	s_delay_alu instid0(VALU_DEP_3) | instskip(NEXT) | instid1(VALU_DEP_2)
	v_dual_mul_f32 v15, v15, v21 :: v_dual_cndmask_b32 v12, 0x7f800000, v22
	v_add_f32_e32 v24, v24, v19
	v_cmp_lt_i32_e32 vcc_lo, 0x180, v13
	s_delay_alu instid0(VALU_DEP_2) | instskip(NEXT) | instid1(VALU_DEP_4)
	v_add_f32_e32 v24, v24, v20
	v_cndmask_b32_e32 v12, 0, v12, vcc_lo
	s_waitcnt vmcnt(0)
	s_delay_alu instid0(VALU_DEP_1) | instskip(NEXT) | instid1(VALU_DEP_1)
	v_dual_add_f32 v24, v24, v9 :: v_dual_mul_f32 v7, v7, v12
	v_add_f32_e32 v24, v24, v10
	s_delay_alu instid0(VALU_DEP_1) | instskip(NEXT) | instid1(VALU_DEP_1)
	v_add_f32_e32 v24, v24, v11
	v_add_f32_e32 v23, v24, v2
	s_delay_alu instid0(VALU_DEP_1) | instskip(NEXT) | instid1(VALU_DEP_1)
	v_add_f32_e32 v23, v23, v3
	;; [unrolled: 3-line block ×3, first 2 shown]
	v_add_f32_e32 v12, v13, v15
	s_delay_alu instid0(VALU_DEP_1)
	v_add_f32_e32 v12, v12, v7
	ds_bpermute_b32 v1, v1, v12
	s_waitcnt lgkmcnt(0)
	v_add_f32_e32 v1, v12, v1
	ds_bpermute_b32 v6, v6, v1
	s_waitcnt lgkmcnt(0)
	v_add_f32_e32 v1, v1, v6
	ds_bpermute_b32 v6, v14, v1
	s_waitcnt lgkmcnt(0)
	v_add_f32_e32 v1, v1, v6
	ds_bpermute_b32 v6, v8, v1
	v_lshlrev_b32_e32 v8, 2, v0
	s_delay_alu instid0(VALU_DEP_1)
	v_add_nc_u32_e32 v12, 0x400, v8
	ds_store_2addr_b32 v8, v17, v18 offset1:32
	ds_store_2addr_b32 v8, v19, v20 offset0:64 offset1:96
	ds_store_2addr_b32 v8, v9, v10 offset0:128 offset1:160
	;; [unrolled: 1-line block ×3, first 2 shown]
	ds_store_2addr_b32 v12, v3, v4 offset1:32
	ds_store_2addr_b32 v12, v5, v15 offset0:64 offset1:96
	ds_store_b32 v8, v7 offset:1536
	s_waitcnt lgkmcnt(7)
	v_add_f32_e32 v1, v1, v6
	ds_bpermute_b32 v6, v16, v1
	v_cmpx_eq_u32_e32 0, v0
	s_cbranch_execz .LBB226_8
; %bb.7:
	s_waitcnt lgkmcnt(0)
	v_dual_add_f32 v1, v1, v6 :: v_dual_mov_b32 v2, 0
	ds_store_b32 v2, v1 offset:1664
.LBB226_8:
	s_or_b32 exec_lo, exec_lo, s7
	v_mov_b32_e32 v1, s6
.LBB226_9:
	s_or_b32 exec_lo, exec_lo, s24
	s_lshl_b32 s6, s18, 7
	s_mov_b32 s7, 0
	s_delay_alu instid0(VALU_DEP_1)
	v_dual_mov_b32 v2, 0 :: v_dual_lshlrev_b32 v1, 7, v1
	s_lshl_b64 s[6:7], s[6:7], 1
	v_dual_mov_b32 v29, 0 :: v_dual_mov_b32 v30, 0
	s_add_u32 s34, s4, s6
	s_addc_u32 s35, s5, s7
	s_lshl_b32 s41, s40, 7
	v_lshlrev_b64 v[3:4], 1, v[1:2]
	s_add_i32 s42, s41, 0xffffff80
	s_cmpk_lt_i32 s22, 0x100
	v_lshlrev_b32_e32 v1, 1, v0
	s_cselect_b32 s4, s42, 0
	v_dual_mov_b32 v31, 0 :: v_dual_mov_b32 v32, 0
	s_ashr_i32 s5, s4, 31
	v_add_co_u32 v3, vcc_lo, s34, v3
	s_lshl_b64 s[4:5], s[4:5], 1
	s_cmpk_lt_i32 s22, 0x200
	v_add_co_ci_u32_e32 v4, vcc_lo, s35, v4, vcc_lo
	s_cselect_b32 s6, s42, 0x80
	v_add_co_u32 v1, vcc_lo, v3, v1
	s_ashr_i32 s7, s6, 31
	s_delay_alu instid0(VALU_DEP_2)
	v_add_co_ci_u32_e32 v3, vcc_lo, 0, v4, vcc_lo
	s_lshl_b64 s[6:7], s[6:7], 1
	s_cmpk_lt_i32 s22, 0x300
	v_add_co_u32 v4, vcc_lo, v1, s4
	s_cselect_b32 s8, s42, 0x100
	v_add_co_ci_u32_e32 v5, vcc_lo, s5, v3, vcc_lo
	s_ashr_i32 s9, s8, 31
	v_add_co_u32 v8, vcc_lo, v1, s6
	s_lshl_b64 s[8:9], s[8:9], 1
	s_cmpk_lt_i32 s22, 0x400
	v_add_co_ci_u32_e32 v9, vcc_lo, s7, v3, vcc_lo
	s_cselect_b32 s10, s42, 0x180
	v_add_co_u32 v10, vcc_lo, v1, s8
	s_ashr_i32 s11, s10, 31
	v_add_co_ci_u32_e32 v11, vcc_lo, s9, v3, vcc_lo
	s_lshl_b64 s[10:11], s[10:11], 1
	s_cmpk_lt_i32 s22, 0x500
	v_add_co_u32 v12, vcc_lo, v1, s10
	s_cselect_b32 s18, s42, 0x200
	v_add_co_ci_u32_e32 v13, vcc_lo, s11, v3, vcc_lo
	s_ashr_i32 s19, s18, 31
	v_dual_mov_b32 v33, 0 :: v_dual_mov_b32 v34, 0
	s_lshl_b64 s[18:19], s[18:19], 1
	s_cmpk_lt_i32 s22, 0x600
	v_add_co_u32 v14, vcc_lo, v1, s18
	s_cselect_b32 s20, s42, 0x280
	v_add_co_ci_u32_e32 v15, vcc_lo, s19, v3, vcc_lo
	s_ashr_i32 s21, s20, 31
	v_mov_b32_e32 v35, 0
	s_lshl_b64 s[20:21], s[20:21], 1
	s_cmpk_lt_i32 s22, 0x700
	v_add_co_u32 v16, vcc_lo, v1, s20
	s_cselect_b32 s24, s42, 0x300
	v_add_co_ci_u32_e32 v17, vcc_lo, s21, v3, vcc_lo
	s_ashr_i32 s25, s24, 31
	s_delay_alu instid0(SALU_CYCLE_1)
	s_lshl_b64 s[24:25], s[24:25], 1
	s_cmpk_lt_i32 s22, 0x800
	v_add_co_u32 v18, vcc_lo, v1, s24
	s_cselect_b32 s26, s42, 0x380
	v_add_co_ci_u32_e32 v19, vcc_lo, s25, v3, vcc_lo
	s_ashr_i32 s27, s26, 31
	s_delay_alu instid0(SALU_CYCLE_1)
	s_lshl_b64 s[26:27], s[26:27], 1
	s_cmpk_lt_i32 s22, 0x900
	v_add_co_u32 v20, vcc_lo, v1, s26
	s_cselect_b32 s28, s42, 0x400
	v_add_co_ci_u32_e32 v21, vcc_lo, s27, v3, vcc_lo
	s_ashr_i32 s29, s28, 31
	s_clause 0x6
	global_load_u16 v7, v[4:5], off
	global_load_u16 v8, v[8:9], off
	;; [unrolled: 1-line block ×7, first 2 shown]
	s_waitcnt lgkmcnt(0)
	global_load_u16 v6, v[20:21], off
	s_lshl_b64 s[28:29], s[28:29], 1
	s_cmpk_lt_i32 s22, 0xa00
	v_add_co_u32 v12, vcc_lo, v1, s28
	s_cselect_b32 s30, s42, 0x480
	v_add_co_ci_u32_e32 v13, vcc_lo, s29, v3, vcc_lo
	s_ashr_i32 s31, s30, 31
	s_delay_alu instid0(SALU_CYCLE_1)
	s_lshl_b64 s[30:31], s[30:31], 1
	s_cmpk_lt_i32 s22, 0xb00
	v_add_co_u32 v15, vcc_lo, v1, s30
	s_cselect_b32 s34, s42, 0x500
	v_add_co_ci_u32_e32 v16, vcc_lo, s31, v3, vcc_lo
	s_ashr_i32 s35, s34, 31
	s_delay_alu instid0(SALU_CYCLE_1)
	;; [unrolled: 7-line block ×7, first 2 shown]
	s_lshl_b64 s[4:5], s[6:7], 1
	s_cmpk_gt_i32 s23, 0x1000
	v_add_co_u32 v27, vcc_lo, v1, s4
	v_add_co_ci_u32_e32 v28, vcc_lo, s5, v3, vcc_lo
	s_clause 0x7
	global_load_u16 v14, v[12:13], off
	global_load_u16 v15, v[15:16], off
	;; [unrolled: 1-line block ×8, first 2 shown]
	v_dual_mov_b32 v20, 0 :: v_dual_mov_b32 v21, 0
	v_dual_mov_b32 v22, 0 :: v_dual_mov_b32 v23, 0
	;; [unrolled: 1-line block ×4, first 2 shown]
	v_mov_b32_e32 v28, 0
	s_cselect_b32 s8, -1, 0
	s_cmpk_lt_i32 s23, 0x1001
	s_waitcnt vmcnt(0)
	s_barrier
	buffer_gl0_inv
	s_cbranch_scc1 .LBB226_11
; %bb.10:
	s_cmpk_lt_i32 s22, 0x1100
	s_cselect_b32 s4, s42, 0x800
	s_delay_alu instid0(SALU_CYCLE_1) | instskip(NEXT) | instid1(SALU_CYCLE_1)
	s_ashr_i32 s5, s4, 31
	s_lshl_b64 s[4:5], s[4:5], 1
	s_cmpk_lt_i32 s22, 0x1200
	v_add_co_u32 v20, vcc_lo, v1, s4
	s_cselect_b32 s6, s42, 0x880
	v_add_co_ci_u32_e32 v21, vcc_lo, s5, v3, vcc_lo
	s_ashr_i32 s7, s6, 31
	s_delay_alu instid0(SALU_CYCLE_1)
	s_lshl_b64 s[6:7], s[6:7], 1
	s_cmpk_lt_i32 s22, 0x1300
	v_add_co_u32 v22, vcc_lo, v1, s6
	s_cselect_b32 s10, s42, 0x900
	v_add_co_ci_u32_e32 v23, vcc_lo, s7, v3, vcc_lo
	s_ashr_i32 s11, s10, 31
	s_delay_alu instid0(SALU_CYCLE_1)
	;; [unrolled: 7-line block ×7, first 2 shown]
	s_lshl_b64 s[28:29], s[28:29], 1
	s_cmpk_lt_i32 s22, 0x1900
	v_add_co_u32 v34, vcc_lo, v1, s28
	s_cselect_b32 s30, s42, 0xc00
	v_add_co_ci_u32_e32 v35, vcc_lo, s29, v3, vcc_lo
	s_ashr_i32 s31, s30, 31
	s_clause 0x7
	global_load_u16 v36, v[20:21], off
	global_load_u16 v37, v[22:23], off
	global_load_u16 v38, v[24:25], off
	global_load_u16 v39, v[26:27], off
	global_load_u16 v40, v[28:29], off
	global_load_u16 v41, v[30:31], off
	global_load_u16 v42, v[32:33], off
	global_load_u16 v43, v[34:35], off
	s_lshl_b64 s[30:31], s[30:31], 1
	s_cmpk_lt_i32 s22, 0x1a00
	v_add_co_u32 v20, vcc_lo, v1, s30
	s_cselect_b32 s34, s42, 0xc80
	v_add_co_ci_u32_e32 v21, vcc_lo, s31, v3, vcc_lo
	s_ashr_i32 s35, s34, 31
	s_delay_alu instid0(SALU_CYCLE_1)
	s_lshl_b64 s[34:35], s[34:35], 1
	s_cmpk_lt_i32 s22, 0x1b00
	v_add_co_u32 v22, vcc_lo, v1, s34
	s_cselect_b32 s36, s42, 0xd00
	v_add_co_ci_u32_e32 v23, vcc_lo, s35, v3, vcc_lo
	s_ashr_i32 s37, s36, 31
	s_delay_alu instid0(SALU_CYCLE_1)
	;; [unrolled: 7-line block ×6, first 2 shown]
	s_lshl_b64 s[4:5], s[20:21], 1
	s_cmpk_lt_i32 s22, 0x2000
	v_add_co_u32 v32, vcc_lo, v1, s4
	s_cselect_b32 s6, s42, 0xf80
	v_add_co_ci_u32_e32 v33, vcc_lo, s5, v3, vcc_lo
	s_ashr_i32 s7, s6, 31
	s_delay_alu instid0(SALU_CYCLE_1) | instskip(NEXT) | instid1(SALU_CYCLE_1)
	s_lshl_b64 s[4:5], s[6:7], 1
	v_add_co_u32 v34, vcc_lo, v1, s4
	v_add_co_ci_u32_e32 v35, vcc_lo, s5, v3, vcc_lo
	s_clause 0x7
	global_load_u16 v20, v[20:21], off
	global_load_u16 v21, v[22:23], off
	;; [unrolled: 1-line block ×8, first 2 shown]
	s_waitcnt vmcnt(15)
	v_cvt_f32_f16_e32 v35, v36
	s_waitcnt vmcnt(14)
	v_cvt_f32_f16_e32 v34, v37
	s_waitcnt vmcnt(13)
	v_cvt_f32_f16_e32 v33, v38
	s_waitcnt vmcnt(12)
	v_cvt_f32_f16_e32 v32, v39
	s_waitcnt vmcnt(11)
	v_cvt_f32_f16_e32 v31, v40
	s_waitcnt vmcnt(10)
	v_cvt_f32_f16_e32 v30, v41
	s_waitcnt vmcnt(9)
	v_cvt_f32_f16_e32 v29, v42
	s_waitcnt vmcnt(8)
	v_cvt_f32_f16_e32 v28, v43
	s_waitcnt vmcnt(7)
	v_cvt_f32_f16_e32 v27, v20
	s_waitcnt vmcnt(6)
	v_cvt_f32_f16_e32 v26, v21
	s_waitcnt vmcnt(5)
	v_cvt_f32_f16_e32 v25, v22
	s_waitcnt vmcnt(4)
	v_cvt_f32_f16_e32 v24, v23
	s_waitcnt vmcnt(3)
	v_cvt_f32_f16_e32 v23, v44
	s_waitcnt vmcnt(2)
	v_cvt_f32_f16_e32 v22, v45
	s_waitcnt vmcnt(1)
	v_cvt_f32_f16_e32 v21, v46
	s_waitcnt vmcnt(0)
	v_cvt_f32_f16_e32 v20, v47
.LBB226_11:
	ds_load_b128 v[36:39], v2
	ds_load_b128 v[40:43], v2 offset:16
	s_load_b64 s[0:1], s[0:1], 0x0
	s_and_b32 vcc_lo, exec_lo, s8
	s_waitcnt lgkmcnt(0)
	v_fma_mix_f32 v7, v36, v7, 0 op_sel_hi:[0,1,0]
	s_delay_alu instid0(VALU_DEP_1) | instskip(NEXT) | instid1(VALU_DEP_1)
	v_fma_mix_f32 v7, v37, v8, v7 op_sel_hi:[0,1,0]
	v_fma_mix_f32 v7, v38, v9, v7 op_sel_hi:[0,1,0]
	s_delay_alu instid0(VALU_DEP_1) | instskip(SKIP_4) | instid1(VALU_DEP_1)
	v_fma_mix_f32 v7, v39, v10, v7 op_sel_hi:[0,1,0]
	ds_load_b128 v[36:39], v2 offset:48
	v_fma_mix_f32 v11, v40, v11, v7 op_sel_hi:[0,1,0]
	ds_load_b128 v[7:10], v2 offset:32
	v_fma_mix_f32 v4, v41, v4, v11 op_sel_hi:[0,1,0]
	v_fma_mix_f32 v4, v42, v5, v4 op_sel_hi:[0,1,0]
	s_delay_alu instid0(VALU_DEP_1) | instskip(SKIP_1) | instid1(VALU_DEP_1)
	v_fma_mix_f32 v4, v43, v6, v4 op_sel_hi:[0,1,0]
	s_waitcnt lgkmcnt(0)
	v_fma_mix_f32 v4, v7, v14, v4 op_sel_hi:[0,1,0]
	s_delay_alu instid0(VALU_DEP_1) | instskip(NEXT) | instid1(VALU_DEP_1)
	v_fma_mix_f32 v4, v8, v15, v4 op_sel_hi:[0,1,0]
	v_fma_mix_f32 v4, v9, v16, v4 op_sel_hi:[0,1,0]
	s_delay_alu instid0(VALU_DEP_1) | instskip(NEXT) | instid1(VALU_DEP_1)
	v_fma_mix_f32 v4, v10, v17, v4 op_sel_hi:[0,1,0]
	;; [unrolled: 3-line block ×3, first 2 shown]
	v_fma_mix_f32 v4, v38, v13, v4 op_sel_hi:[0,1,0]
	s_delay_alu instid0(VALU_DEP_1)
	v_fma_mix_f32 v4, v39, v19, v4 op_sel_hi:[0,1,0]
	s_cbranch_vccz .LBB226_13
; %bb.12:
	ds_load_b128 v[5:8], v2 offset:64
	ds_load_b128 v[9:12], v2 offset:80
	s_waitcnt lgkmcnt(1)
	v_fmac_f32_e32 v4, v5, v35
	s_delay_alu instid0(VALU_DEP_1) | instskip(NEXT) | instid1(VALU_DEP_1)
	v_fmac_f32_e32 v4, v6, v34
	v_fmac_f32_e32 v4, v7, v33
	s_delay_alu instid0(VALU_DEP_1) | instskip(SKIP_3) | instid1(VALU_DEP_1)
	v_fmac_f32_e32 v4, v8, v32
	ds_load_b128 v[5:8], v2 offset:96
	s_waitcnt lgkmcnt(1)
	v_fmac_f32_e32 v4, v9, v31
	v_fmac_f32_e32 v4, v10, v30
	s_delay_alu instid0(VALU_DEP_1) | instskip(NEXT) | instid1(VALU_DEP_1)
	v_fmac_f32_e32 v4, v11, v29
	v_fmac_f32_e32 v4, v12, v28
	ds_load_b128 v[9:12], v2 offset:112
	s_waitcnt lgkmcnt(1)
	v_fmac_f32_e32 v4, v5, v27
	s_delay_alu instid0(VALU_DEP_1) | instskip(NEXT) | instid1(VALU_DEP_1)
	v_fmac_f32_e32 v4, v6, v26
	v_fmac_f32_e32 v4, v7, v25
	s_delay_alu instid0(VALU_DEP_1) | instskip(SKIP_1) | instid1(VALU_DEP_1)
	v_fmac_f32_e32 v4, v8, v24
	s_waitcnt lgkmcnt(0)
	v_fmac_f32_e32 v4, v9, v23
	s_delay_alu instid0(VALU_DEP_1) | instskip(NEXT) | instid1(VALU_DEP_1)
	v_fmac_f32_e32 v4, v10, v22
	v_fmac_f32_e32 v4, v11, v21
	s_delay_alu instid0(VALU_DEP_1)
	v_fmac_f32_e32 v4, v12, v20
.LBB226_13:
	s_movk_i32 s43, 0x1f80
	s_movk_i32 s44, 0x80
	s_mov_b32 s45, 32
	s_branch .LBB226_15
.LBB226_14:                             ;   in Loop: Header=BB226_15 Depth=1
	s_addk_i32 s43, 0x1000
	s_addk_i32 s44, 0x80
	s_add_i32 s45, s45, 32
	s_cmpk_eq_u32 s43, 0xdf80
	s_cbranch_scc1 .LBB226_17
.LBB226_15:                             ; =>This Inner Loop Header: Depth=1
	s_cmp_le_i32 s40, s45
	s_cbranch_scc1 .LBB226_14
; %bb.16:                               ;   in Loop: Header=BB226_15 Depth=1
	s_add_i32 s4, s43, 0xfffff080
	v_mov_b32_e32 v44, s44
	s_cmp_lt_i32 s4, s41
	s_cselect_b32 s4, s4, s42
	s_add_i32 s6, s43, 0xfffff100
	s_ashr_i32 s5, s4, 31
	s_delay_alu instid0(SALU_CYCLE_1)
	s_lshl_b64 s[4:5], s[4:5], 1
	s_cmp_lt_i32 s6, s41
	v_add_co_u32 v5, vcc_lo, v1, s4
	s_cselect_b32 s6, s6, s42
	s_add_i32 s10, s43, 0xfffff180
	s_ashr_i32 s7, s6, 31
	v_add_co_ci_u32_e32 v6, vcc_lo, s5, v3, vcc_lo
	s_lshl_b64 s[8:9], s[6:7], 1
	s_cmp_lt_i32 s10, s41
	v_add_co_u32 v7, vcc_lo, v1, s8
	s_cselect_b32 s6, s10, s42
	s_add_i32 s10, s43, 0xfffff200
	s_ashr_i32 s7, s6, 31
	v_add_co_ci_u32_e32 v8, vcc_lo, s9, v3, vcc_lo
	;; [unrolled: 7-line block ×8, first 2 shown]
	s_lshl_b64 s[24:25], s[20:21], 1
	s_cmp_lt_i32 s28, s41
	s_clause 0x7
	global_load_u16 v2, v[5:6], off
	global_load_u16 v21, v[7:8], off
	;; [unrolled: 1-line block ×8, first 2 shown]
	s_cselect_b32 s20, s28, s42
	s_add_i32 s28, s43, 0xfffff580
	s_ashr_i32 s21, s20, 31
	v_add_co_u32 v5, vcc_lo, v1, s24
	s_lshl_b64 s[20:21], s[20:21], 1
	s_cmp_lt_i32 s28, s41
	v_add_co_ci_u32_e32 v6, vcc_lo, s25, v3, vcc_lo
	s_cselect_b32 s28, s28, s42
	s_add_i32 s36, s43, 0xfffff600
	s_ashr_i32 s29, s28, 31
	v_add_co_u32 v7, vcc_lo, v1, s20
	s_lshl_b64 s[30:31], s[28:29], 1
	s_cmp_lt_i32 s36, s41
	v_add_co_ci_u32_e32 v8, vcc_lo, s21, v3, vcc_lo
	;; [unrolled: 7-line block ×8, first 2 shown]
	s_cselect_b32 s10, s10, s42
	s_add_i32 s18, s43, 0xfffff980
	s_ashr_i32 s11, s10, 31
	s_clause 0x7
	global_load_u16 v28, v[5:6], off
	global_load_u16 v29, v[7:8], off
	;; [unrolled: 1-line block ×8, first 2 shown]
	s_lshl_b64 s[10:11], s[10:11], 1
	s_cmp_lt_i32 s18, s41
	v_add_co_u32 v5, vcc_lo, v1, s4
	s_cselect_b32 s18, s18, s42
	s_add_i32 s22, s43, 0xfffffa00
	s_ashr_i32 s19, s18, 31
	v_add_co_ci_u32_e32 v6, vcc_lo, s5, v3, vcc_lo
	s_lshl_b64 s[18:19], s[18:19], 1
	s_cmp_lt_i32 s22, s41
	v_add_co_u32 v7, vcc_lo, v1, s10
	s_cselect_b32 s20, s22, s42
	s_add_i32 s22, s43, 0xfffffa80
	s_ashr_i32 s21, s20, 31
	v_add_co_ci_u32_e32 v8, vcc_lo, s11, v3, vcc_lo
	;; [unrolled: 7-line block ×5, first 2 shown]
	s_lshl_b64 s[6:7], s[6:7], 1
	s_cmp_lt_i32 s24, s41
	s_clause 0x4
	global_load_u16 v19, v[5:6], off
	global_load_u16 v20, v[7:8], off
	;; [unrolled: 1-line block ×5, first 2 shown]
	s_cselect_b32 s4, s24, s42
	s_add_i32 s10, s43, 0xfffffc80
	s_ashr_i32 s5, s4, 31
	v_add_co_u32 v5, vcc_lo, v1, s8
	s_lshl_b64 s[4:5], s[4:5], 1
	s_cmp_lt_i32 s10, s41
	v_add_co_ci_u32_e32 v6, vcc_lo, s9, v3, vcc_lo
	s_cselect_b32 s10, s10, s42
	s_add_i32 s18, s43, 0xfffffd00
	s_ashr_i32 s11, s10, 31
	v_add_co_u32 v7, vcc_lo, v1, s6
	s_lshl_b64 s[10:11], s[10:11], 1
	s_cmp_lt_i32 s18, s41
	v_add_co_ci_u32_e32 v8, vcc_lo, s7, v3, vcc_lo
	s_cselect_b32 s18, s18, s42
	s_add_i32 s20, s43, 0xfffffd80
	s_ashr_i32 s19, s18, 31
	v_add_co_u32 v9, vcc_lo, v1, s4
	s_lshl_b64 s[18:19], s[18:19], 1
	s_cmp_lt_i32 s20, s41
	global_load_u16 v37, v[5:6], off
	s_cselect_b32 s8, s20, s42
	s_add_i32 s20, s43, 0xfffffe00
	s_ashr_i32 s9, s8, 31
	v_add_co_ci_u32_e32 v10, vcc_lo, s5, v3, vcc_lo
	s_lshl_b64 s[6:7], s[8:9], 1
	s_cmp_lt_i32 s20, s41
	v_add_co_u32 v11, vcc_lo, v1, s10
	s_cselect_b32 s4, s20, s42
	s_clause 0x1
	global_load_u16 v38, v[7:8], off
	global_load_u16 v39, v[9:10], off
	v_add_co_ci_u32_e32 v12, vcc_lo, s11, v3, vcc_lo
	s_ashr_i32 s5, s4, 31
	s_add_i32 s8, s43, 0xfffffe80
	v_add_co_u32 v13, vcc_lo, v1, s18
	s_lshl_b64 s[4:5], s[4:5], 1
	s_cmp_lt_i32 s8, s41
	v_add_co_ci_u32_e32 v14, vcc_lo, s19, v3, vcc_lo
	v_add_co_u32 v15, vcc_lo, v1, s6
	s_cselect_b32 s8, s8, s42
	v_add_co_ci_u32_e32 v16, vcc_lo, s7, v3, vcc_lo
	s_ashr_i32 s9, s8, 31
	s_add_i32 s10, s43, 0xffffff00
	s_lshl_b64 s[6:7], s[8:9], 1
	s_clause 0x2
	global_load_u16 v40, v[11:12], off
	global_load_u16 v13, v[13:14], off
	;; [unrolled: 1-line block ×3, first 2 shown]
	s_cmp_lt_i32 s10, s41
	v_add_co_u32 v5, vcc_lo, v1, s4
	s_cselect_b32 s8, s10, s42
	s_add_i32 s10, s43, 0xffffff80
	s_ashr_i32 s9, s8, 31
	v_add_co_ci_u32_e32 v6, vcc_lo, s5, v3, vcc_lo
	s_lshl_b64 s[8:9], s[8:9], 1
	s_cmp_lt_i32 s10, s41
	v_add_co_u32 v7, vcc_lo, v1, s6
	s_cselect_b32 s4, s10, s42
	v_add_co_ci_u32_e32 v8, vcc_lo, s7, v3, vcc_lo
	s_ashr_i32 s5, s4, 31
	v_add_co_u32 v9, vcc_lo, v1, s8
	global_load_u16 v15, v[5:6], off
	s_lshl_b64 s[4:5], s[4:5], 1
	v_add_co_ci_u32_e32 v10, vcc_lo, s9, v3, vcc_lo
	s_cmp_lt_i32 s43, s41
	s_clause 0x1
	global_load_u16 v16, v[7:8], off
	global_load_u16 v41, v[9:10], off
	s_cselect_b32 s6, s43, s42
	v_add_co_u32 v5, vcc_lo, v1, s4
	s_ashr_i32 s7, s6, 31
	v_add_co_ci_u32_e32 v6, vcc_lo, s5, v3, vcc_lo
	s_lshl_b64 s[4:5], s[6:7], 1
	s_delay_alu instid0(SALU_CYCLE_1)
	v_add_co_u32 v7, vcc_lo, v1, s4
	v_add_co_ci_u32_e32 v8, vcc_lo, s5, v3, vcc_lo
	s_clause 0x1
	global_load_u16 v42, v[5:6], off
	global_load_u16 v43, v[7:8], off
	ds_load_b128 v[5:8], v44
	ds_load_b128 v[9:12], v44 offset:16
	s_waitcnt vmcnt(31) lgkmcnt(1)
	v_fma_mix_f32 v2, v5, v2, v4 op_sel_hi:[0,1,0]
	s_waitcnt vmcnt(30)
	s_delay_alu instid0(VALU_DEP_1) | instskip(SKIP_1) | instid1(VALU_DEP_1)
	v_fma_mix_f32 v2, v6, v21, v2 op_sel_hi:[0,1,0]
	s_waitcnt vmcnt(29)
	v_fma_mix_f32 v2, v7, v22, v2 op_sel_hi:[0,1,0]
	ds_load_b128 v[4:7], v44 offset:32
	s_waitcnt vmcnt(28)
	v_fma_mix_f32 v2, v8, v23, v2 op_sel_hi:[0,1,0]
	s_waitcnt vmcnt(27) lgkmcnt(1)
	s_delay_alu instid0(VALU_DEP_1) | instskip(SKIP_1) | instid1(VALU_DEP_1)
	v_fma_mix_f32 v2, v9, v24, v2 op_sel_hi:[0,1,0]
	s_waitcnt vmcnt(26)
	v_fma_mix_f32 v2, v10, v25, v2 op_sel_hi:[0,1,0]
	s_waitcnt vmcnt(25)
	s_delay_alu instid0(VALU_DEP_1) | instskip(SKIP_4) | instid1(VALU_DEP_1)
	v_fma_mix_f32 v2, v11, v26, v2 op_sel_hi:[0,1,0]
	ds_load_b128 v[8:11], v44 offset:48
	s_waitcnt vmcnt(24)
	v_fma_mix_f32 v2, v12, v27, v2 op_sel_hi:[0,1,0]
	s_waitcnt vmcnt(23) lgkmcnt(1)
	v_fma_mix_f32 v2, v4, v28, v2 op_sel_hi:[0,1,0]
	s_waitcnt vmcnt(22)
	s_delay_alu instid0(VALU_DEP_1) | instskip(SKIP_1) | instid1(VALU_DEP_1)
	v_fma_mix_f32 v2, v5, v29, v2 op_sel_hi:[0,1,0]
	s_waitcnt vmcnt(21)
	v_fma_mix_f32 v2, v6, v30, v2 op_sel_hi:[0,1,0]
	s_waitcnt vmcnt(20)
	s_delay_alu instid0(VALU_DEP_1) | instskip(SKIP_4) | instid1(VALU_DEP_1)
	v_fma_mix_f32 v2, v7, v31, v2 op_sel_hi:[0,1,0]
	ds_load_b128 v[4:7], v44 offset:64
	s_waitcnt vmcnt(19) lgkmcnt(1)
	v_fma_mix_f32 v2, v8, v32, v2 op_sel_hi:[0,1,0]
	s_waitcnt vmcnt(18)
	v_fma_mix_f32 v2, v9, v33, v2 op_sel_hi:[0,1,0]
	s_waitcnt vmcnt(17)
	s_delay_alu instid0(VALU_DEP_1) | instskip(SKIP_1) | instid1(VALU_DEP_1)
	v_fma_mix_f32 v2, v10, v17, v2 op_sel_hi:[0,1,0]
	s_waitcnt vmcnt(16)
	v_fma_mix_f32 v2, v11, v18, v2 op_sel_hi:[0,1,0]
	ds_load_b128 v[8:11], v44 offset:80
	s_waitcnt vmcnt(15) lgkmcnt(1)
	v_fma_mix_f32 v2, v4, v19, v2 op_sel_hi:[0,1,0]
	s_waitcnt vmcnt(14)
	s_delay_alu instid0(VALU_DEP_1) | instskip(SKIP_1) | instid1(VALU_DEP_1)
	v_fma_mix_f32 v2, v5, v20, v2 op_sel_hi:[0,1,0]
	s_waitcnt vmcnt(13)
	v_fma_mix_f32 v2, v6, v34, v2 op_sel_hi:[0,1,0]
	s_waitcnt vmcnt(12)
	s_delay_alu instid0(VALU_DEP_1) | instskip(SKIP_4) | instid1(VALU_DEP_1)
	v_fma_mix_f32 v2, v7, v35, v2 op_sel_hi:[0,1,0]
	ds_load_b128 v[4:7], v44 offset:96
	s_waitcnt vmcnt(11) lgkmcnt(1)
	v_fma_mix_f32 v2, v8, v36, v2 op_sel_hi:[0,1,0]
	s_waitcnt vmcnt(10)
	v_fma_mix_f32 v2, v9, v37, v2 op_sel_hi:[0,1,0]
	s_waitcnt vmcnt(9)
	s_delay_alu instid0(VALU_DEP_1) | instskip(SKIP_1) | instid1(VALU_DEP_1)
	v_fma_mix_f32 v2, v10, v38, v2 op_sel_hi:[0,1,0]
	s_waitcnt vmcnt(8)
	v_fma_mix_f32 v2, v11, v39, v2 op_sel_hi:[0,1,0]
	ds_load_b128 v[8:11], v44 offset:112
	s_waitcnt vmcnt(7) lgkmcnt(1)
	v_fma_mix_f32 v2, v4, v40, v2 op_sel_hi:[0,1,0]
	s_waitcnt vmcnt(6)
	s_delay_alu instid0(VALU_DEP_1) | instskip(SKIP_1) | instid1(VALU_DEP_1)
	v_fma_mix_f32 v2, v5, v13, v2 op_sel_hi:[0,1,0]
	s_waitcnt vmcnt(5)
	v_fma_mix_f32 v2, v6, v14, v2 op_sel_hi:[0,1,0]
	s_waitcnt vmcnt(4)
	s_delay_alu instid0(VALU_DEP_1) | instskip(SKIP_1) | instid1(VALU_DEP_1)
	v_fma_mix_f32 v2, v7, v15, v2 op_sel_hi:[0,1,0]
	s_waitcnt vmcnt(3) lgkmcnt(0)
	v_fma_mix_f32 v2, v8, v16, v2 op_sel_hi:[0,1,0]
	s_waitcnt vmcnt(2)
	s_delay_alu instid0(VALU_DEP_1) | instskip(SKIP_1) | instid1(VALU_DEP_1)
	v_fma_mix_f32 v2, v9, v41, v2 op_sel_hi:[0,1,0]
	s_waitcnt vmcnt(1)
	v_fma_mix_f32 v2, v10, v42, v2 op_sel_hi:[0,1,0]
	s_waitcnt vmcnt(0)
	s_delay_alu instid0(VALU_DEP_1)
	v_fma_mix_f32 v4, v11, v43, v2 op_sel_hi:[0,1,0]
	s_branch .LBB226_14
.LBB226_17:
	v_mov_b32_e32 v1, 0
	s_and_b32 vcc_lo, exec_lo, s15
	ds_load_b32 v1, v1 offset:1664
	s_cbranch_vccz .LBB226_19
; %bb.18:
	s_add_u32 s2, s12, s16
	s_addc_u32 s3, s13, s17
	s_load_b32 s2, s[2:3], 0x0
	s_mov_b32 s3, 0
.LBB226_19:
	s_waitcnt lgkmcnt(0)
	v_add_f32_e32 v1, 0x358637bd, v1
	s_mul_i32 s3, s33, s3
	s_mul_hi_u32 s4, s33, s2
	s_mul_i32 s2, s33, s2
	s_add_i32 s3, s4, s3
	v_div_scale_f32 v2, null, v1, v1, 1.0
	v_div_scale_f32 v6, vcc_lo, 1.0, v1, 1.0
	s_lshl_b64 s[2:3], s[2:3], 7
	s_delay_alu instid0(VALU_DEP_2) | instskip(SKIP_4) | instid1(SALU_CYCLE_1)
	v_rcp_f32_e32 v3, v2
	s_mov_b32 s15, 0
	s_add_u32 s2, s0, s2
	s_addc_u32 s3, s1, s3
	s_lshl_b64 s[0:1], s[14:15], 7
	s_add_u32 s0, s2, s0
	s_addc_u32 s1, s3, s1
	v_add_co_u32 v0, s0, s0, v0
	s_waitcnt_depctr 0xfff
	v_fma_f32 v5, -v2, v3, 1.0
	s_delay_alu instid0(VALU_DEP_1) | instskip(NEXT) | instid1(VALU_DEP_1)
	v_fmac_f32_e32 v3, v5, v3
	v_mul_f32_e32 v5, v6, v3
	s_delay_alu instid0(VALU_DEP_1) | instskip(NEXT) | instid1(VALU_DEP_1)
	v_fma_f32 v7, -v2, v5, v6
	v_fmac_f32_e32 v5, v7, v3
	s_delay_alu instid0(VALU_DEP_1) | instskip(NEXT) | instid1(VALU_DEP_1)
	v_fma_f32 v2, -v2, v5, v6
	v_div_fmas_f32 v2, v2, v3, v5
	s_delay_alu instid0(VALU_DEP_1) | instskip(NEXT) | instid1(VALU_DEP_1)
	v_div_fixup_f32 v1, v2, v1, 1.0
	v_fma_mixlo_f16 v1, v4, v1, 0
	s_delay_alu instid0(VALU_DEP_1)
	v_cvt_i16_f16_e32 v2, v1
	v_add_co_ci_u32_e64 v1, null, s1, 0, s0
	global_store_b8 v[0:1], v2, off
	s_nop 0
	s_sendmsg sendmsg(MSG_DEALLOC_VGPRS)
	s_endpgm
.LBB226_20:
	s_mov_b32 s4, 0
	s_branch .LBB226_2
	.section	.rodata,"a",@progbits
	.p2align	6, 0x0
	.amdhsa_kernel _Z35paged_attention_ll4mi_reduce_kernelIDF16_hLi128ELi128ELi256ELi13EEvPT0_PKfS3_PKT_PKiS8_iS3_
		.amdhsa_group_segment_fixed_size 1668
		.amdhsa_private_segment_fixed_size 0
		.amdhsa_kernarg_size 320
		.amdhsa_user_sgpr_count 14
		.amdhsa_user_sgpr_dispatch_ptr 0
		.amdhsa_user_sgpr_queue_ptr 0
		.amdhsa_user_sgpr_kernarg_segment_ptr 1
		.amdhsa_user_sgpr_dispatch_id 0
		.amdhsa_user_sgpr_private_segment_size 0
		.amdhsa_wavefront_size32 1
		.amdhsa_uses_dynamic_stack 0
		.amdhsa_enable_private_segment 0
		.amdhsa_system_sgpr_workgroup_id_x 1
		.amdhsa_system_sgpr_workgroup_id_y 1
		.amdhsa_system_sgpr_workgroup_id_z 0
		.amdhsa_system_sgpr_workgroup_info 0
		.amdhsa_system_vgpr_workitem_id 0
		.amdhsa_next_free_vgpr 68
		.amdhsa_next_free_sgpr 47
		.amdhsa_reserve_vcc 1
		.amdhsa_float_round_mode_32 0
		.amdhsa_float_round_mode_16_64 0
		.amdhsa_float_denorm_mode_32 3
		.amdhsa_float_denorm_mode_16_64 3
		.amdhsa_dx10_clamp 1
		.amdhsa_ieee_mode 1
		.amdhsa_fp16_overflow 0
		.amdhsa_workgroup_processor_mode 1
		.amdhsa_memory_ordered 1
		.amdhsa_forward_progress 0
		.amdhsa_shared_vgpr_count 0
		.amdhsa_exception_fp_ieee_invalid_op 0
		.amdhsa_exception_fp_denorm_src 0
		.amdhsa_exception_fp_ieee_div_zero 0
		.amdhsa_exception_fp_ieee_overflow 0
		.amdhsa_exception_fp_ieee_underflow 0
		.amdhsa_exception_fp_ieee_inexact 0
		.amdhsa_exception_int_div_zero 0
	.end_amdhsa_kernel
	.section	.text._Z35paged_attention_ll4mi_reduce_kernelIDF16_hLi128ELi128ELi256ELi13EEvPT0_PKfS3_PKT_PKiS8_iS3_,"axG",@progbits,_Z35paged_attention_ll4mi_reduce_kernelIDF16_hLi128ELi128ELi256ELi13EEvPT0_PKfS3_PKT_PKiS8_iS3_,comdat
.Lfunc_end226:
	.size	_Z35paged_attention_ll4mi_reduce_kernelIDF16_hLi128ELi128ELi256ELi13EEvPT0_PKfS3_PKT_PKiS8_iS3_, .Lfunc_end226-_Z35paged_attention_ll4mi_reduce_kernelIDF16_hLi128ELi128ELi256ELi13EEvPT0_PKfS3_PKT_PKiS8_iS3_
                                        ; -- End function
	.section	.AMDGPU.csdata,"",@progbits
; Kernel info:
; codeLenInByte = 7580
; NumSgprs: 49
; NumVgprs: 68
; ScratchSize: 0
; MemoryBound: 0
; FloatMode: 240
; IeeeMode: 1
; LDSByteSize: 1668 bytes/workgroup (compile time only)
; SGPRBlocks: 6
; VGPRBlocks: 8
; NumSGPRsForWavesPerEU: 49
; NumVGPRsForWavesPerEU: 68
; Occupancy: 16
; WaveLimiterHint : 0
; COMPUTE_PGM_RSRC2:SCRATCH_EN: 0
; COMPUTE_PGM_RSRC2:USER_SGPR: 14
; COMPUTE_PGM_RSRC2:TRAP_HANDLER: 0
; COMPUTE_PGM_RSRC2:TGID_X_EN: 1
; COMPUTE_PGM_RSRC2:TGID_Y_EN: 1
; COMPUTE_PGM_RSRC2:TGID_Z_EN: 0
; COMPUTE_PGM_RSRC2:TIDIG_COMP_CNT: 0
	.section	.text._Z35paged_attention_ll4mi_reduce_kernelIDF16_hLi128ELi128ELi256ELi14EEvPT0_PKfS3_PKT_PKiS8_iS3_,"axG",@progbits,_Z35paged_attention_ll4mi_reduce_kernelIDF16_hLi128ELi128ELi256ELi14EEvPT0_PKfS3_PKT_PKiS8_iS3_,comdat
	.protected	_Z35paged_attention_ll4mi_reduce_kernelIDF16_hLi128ELi128ELi256ELi14EEvPT0_PKfS3_PKT_PKiS8_iS3_ ; -- Begin function _Z35paged_attention_ll4mi_reduce_kernelIDF16_hLi128ELi128ELi256ELi14EEvPT0_PKfS3_PKT_PKiS8_iS3_
	.globl	_Z35paged_attention_ll4mi_reduce_kernelIDF16_hLi128ELi128ELi256ELi14EEvPT0_PKfS3_PKT_PKiS8_iS3_
	.p2align	8
	.type	_Z35paged_attention_ll4mi_reduce_kernelIDF16_hLi128ELi128ELi256ELi14EEvPT0_PKfS3_PKT_PKiS8_iS3_,@function
_Z35paged_attention_ll4mi_reduce_kernelIDF16_hLi128ELi128ELi256ELi14EEvPT0_PKfS3_PKT_PKiS8_iS3_: ; @_Z35paged_attention_ll4mi_reduce_kernelIDF16_hLi128ELi128ELi256ELi14EEvPT0_PKfS3_PKT_PKiS8_iS3_
; %bb.0:
	s_load_b64 s[12:13], s[0:1], 0x28
	s_mov_b32 s2, s15
	s_waitcnt lgkmcnt(0)
	s_cmp_lg_u64 s[12:13], 0
	s_cselect_b32 s15, -1, 0
	s_delay_alu instid0(SALU_CYCLE_1)
	s_and_b32 vcc_lo, exec_lo, s15
	s_cbranch_vccz .LBB227_20
; %bb.1:
	s_add_i32 s4, s2, 1
	s_mov_b32 s5, 0
	s_delay_alu instid0(SALU_CYCLE_1) | instskip(SKIP_4) | instid1(SALU_CYCLE_1)
	s_lshl_b64 s[6:7], s[4:5], 2
	s_mov_b32 s3, s5
	s_add_u32 s6, s12, s6
	s_addc_u32 s7, s13, s7
	s_lshl_b64 s[8:9], s[2:3], 2
	s_add_u32 s8, s12, s8
	s_addc_u32 s9, s13, s9
	s_clause 0x1
	s_load_b32 s4, s[6:7], 0x0
	s_load_b32 s6, s[8:9], 0x0
	s_waitcnt lgkmcnt(0)
	s_sub_i32 s4, s4, s6
	s_delay_alu instid0(SALU_CYCLE_1)
	s_cmp_eq_u32 s4, 1
	s_cselect_b32 s4, -1, 0
	s_cbranch_execnz .LBB227_3
.LBB227_2:
	s_mov_b32 s3, 0
	s_mov_b32 s4, -1
.LBB227_3:
	s_delay_alu instid0(SALU_CYCLE_1)
	s_and_not1_b32 vcc_lo, exec_lo, s4
	s_cbranch_vccz .LBB227_5
; %bb.4:
	s_endpgm
.LBB227_5:
	s_clause 0x1
	s_load_b128 s[4:7], s[0:1], 0x18
	s_load_b32 s9, s[0:1], 0x30
	s_lshl_b64 s[16:17], s[2:3], 2
	s_waitcnt lgkmcnt(0)
	s_add_u32 s6, s6, s16
	s_addc_u32 s7, s7, s17
	s_load_b32 s23, s[6:7], 0x0
	s_load_b32 s33, s[0:1], 0x40
	s_mul_i32 s7, s2, s9
	s_waitcnt lgkmcnt(0)
	s_add_i32 s22, s23, 0xff
	s_delay_alu instid0(SALU_CYCLE_1) | instskip(NEXT) | instid1(SALU_CYCLE_1)
	s_ashr_i32 s6, s22, 31
	s_lshr_b32 s6, s6, 24
	s_delay_alu instid0(SALU_CYCLE_1) | instskip(SKIP_4) | instid1(SALU_CYCLE_1)
	s_add_i32 s8, s22, s6
	s_mul_i32 s6, s14, s9
	s_mov_b32 s9, exec_lo
	v_cmpx_lt_u32_e32 31, v0
	s_xor_b32 s9, exec_lo, s9
	s_or_saveexec_b32 s24, s9
	v_mov_b32_e32 v1, s6
	s_ashr_i32 s40, s8, 8
	s_mul_i32 s18, s7, s33
	s_xor_b32 exec_lo, exec_lo, s24
	s_cbranch_execz .LBB227_9
; %bb.6:
	v_or_b32_e32 v2, 32, v0
	v_cmp_gt_i32_e32 vcc_lo, s40, v0
	s_add_i32 s20, s40, -1
	v_or_b32_e32 v4, 64, v0
	v_or_b32_e32 v6, 0x80, v0
	s_load_b128 s[8:11], s[0:1], 0x8
	v_cndmask_b32_e32 v1, s20, v0, vcc_lo
	v_cmp_gt_i32_e32 vcc_lo, s40, v2
	s_mov_b32 s19, 0
	s_delay_alu instid0(SALU_CYCLE_1) | instskip(SKIP_4) | instid1(VALU_DEP_3)
	s_mov_b32 s7, s19
	v_cndmask_b32_e32 v3, s20, v2, vcc_lo
	v_or_b32_e32 v2, 0x60, v0
	v_cmp_gt_i32_e32 vcc_lo, s40, v4
	v_cndmask_b32_e32 v5, s20, v4, vcc_lo
	v_cmp_gt_i32_e32 vcc_lo, s40, v2
	v_or_b32_e32 v4, 0xa0, v0
	v_cndmask_b32_e32 v7, s20, v2, vcc_lo
	v_cmp_gt_i32_e32 vcc_lo, s40, v6
	v_or_b32_e32 v2, 0xc0, v0
	s_delay_alu instid0(VALU_DEP_3) | instskip(SKIP_3) | instid1(VALU_DEP_3)
	v_ashrrev_i32_e32 v8, 31, v7
	v_cndmask_b32_e32 v9, s20, v6, vcc_lo
	v_cmp_gt_i32_e32 vcc_lo, s40, v4
	v_or_b32_e32 v6, 0x100, v0
	v_ashrrev_i32_e32 v10, 31, v9
	v_cndmask_b32_e32 v11, s20, v4, vcc_lo
	v_or_b32_e32 v4, 0xe0, v0
	v_cmp_gt_i32_e32 vcc_lo, s40, v2
	s_delay_alu instid0(VALU_DEP_3) | instskip(SKIP_1) | instid1(VALU_DEP_4)
	v_ashrrev_i32_e32 v12, 31, v11
	v_cndmask_b32_e32 v13, s20, v2, vcc_lo
	v_cmp_gt_i32_e32 vcc_lo, s40, v4
	v_or_b32_e32 v2, 0x120, v0
	s_delay_alu instid0(VALU_DEP_3) | instskip(SKIP_3) | instid1(VALU_DEP_3)
	v_ashrrev_i32_e32 v14, 31, v13
	v_cndmask_b32_e32 v15, s20, v4, vcc_lo
	v_cmp_gt_i32_e32 vcc_lo, s40, v6
	v_or_b32_e32 v4, 0x140, v0
	v_ashrrev_i32_e32 v16, 31, v15
	v_cndmask_b32_e32 v17, s20, v6, vcc_lo
	v_cmp_gt_i32_e32 vcc_lo, s40, v2
	v_or_b32_e32 v6, 0x180, v0
	s_delay_alu instid0(VALU_DEP_3) | instskip(SKIP_3) | instid1(VALU_DEP_3)
	v_ashrrev_i32_e32 v18, 31, v17
	v_cndmask_b32_e32 v19, s20, v2, vcc_lo
	v_or_b32_e32 v2, 0x160, v0
	v_cmp_gt_i32_e32 vcc_lo, s40, v4
	v_ashrrev_i32_e32 v20, 31, v19
	v_cndmask_b32_e32 v21, s20, v4, vcc_lo
	s_delay_alu instid0(VALU_DEP_4) | instskip(SKIP_1) | instid1(VALU_DEP_3)
	v_cmp_gt_i32_e32 vcc_lo, s40, v2
	v_or_b32_e32 v4, 0x1a0, v0
	v_ashrrev_i32_e32 v22, 31, v21
	v_cndmask_b32_e32 v23, s20, v2, vcc_lo
	v_cmp_gt_i32_e32 vcc_lo, s40, v6
	v_ashrrev_i32_e32 v2, 31, v1
	s_delay_alu instid0(VALU_DEP_3) | instskip(SKIP_2) | instid1(VALU_DEP_4)
	v_ashrrev_i32_e32 v24, 31, v23
	v_cndmask_b32_e32 v25, s20, v6, vcc_lo
	v_cmp_gt_i32_e32 vcc_lo, s40, v4
	v_lshlrev_b64 v[29:30], 2, v[1:2]
	v_ashrrev_i32_e32 v6, 31, v5
	s_delay_alu instid0(VALU_DEP_4)
	v_ashrrev_i32_e32 v26, 31, v25
	v_cndmask_b32_e32 v27, s20, v4, vcc_lo
	v_ashrrev_i32_e32 v4, 31, v3
	s_lshl_b64 s[20:21], s[18:19], 2
	s_waitcnt lgkmcnt(0)
	s_add_u32 s19, s10, s20
	s_addc_u32 s25, s11, s21
	s_lshl_b64 s[10:11], s[6:7], 2
	v_lshlrev_b64 v[31:32], 2, v[3:4]
	s_add_u32 s7, s19, s10
	s_addc_u32 s19, s25, s11
	v_add_co_u32 v1, vcc_lo, s7, v29
	v_lshlrev_b64 v[4:5], 2, v[5:6]
	v_add_co_ci_u32_e32 v2, vcc_lo, s19, v30, vcc_lo
	v_add_co_u32 v33, vcc_lo, s7, v31
	v_lshlrev_b64 v[6:7], 2, v[7:8]
	v_add_co_ci_u32_e32 v34, vcc_lo, s19, v32, vcc_lo
	;; [unrolled: 3-line block ×6, first 2 shown]
	v_add_co_u32 v43, vcc_lo, s7, v12
	v_add_co_ci_u32_e32 v44, vcc_lo, s19, v13, vcc_lo
	s_delay_alu instid0(VALU_DEP_4)
	v_add_co_u32 v45, vcc_lo, s7, v14
	v_add_co_ci_u32_e32 v46, vcc_lo, s19, v15, vcc_lo
	s_clause 0x7
	global_load_b32 v47, v[1:2], off
	global_load_b32 v48, v[33:34], off
	;; [unrolled: 1-line block ×8, first 2 shown]
	v_lshlrev_b64 v[16:17], 2, v[17:18]
	v_lshlrev_b64 v[18:19], 2, v[19:20]
	;; [unrolled: 1-line block ×4, first 2 shown]
	v_ashrrev_i32_e32 v28, 31, v27
	v_lshlrev_b64 v[24:25], 2, v[25:26]
	v_add_co_u32 v1, vcc_lo, s7, v16
	v_add_co_ci_u32_e32 v2, vcc_lo, s19, v17, vcc_lo
	v_add_co_u32 v33, vcc_lo, s7, v18
	v_add_co_ci_u32_e32 v34, vcc_lo, s19, v19, vcc_lo
	;; [unrolled: 2-line block ×3, first 2 shown]
	v_add_co_u32 v37, vcc_lo, s7, v22
	v_lshlrev_b64 v[26:27], 2, v[27:28]
	v_add_co_ci_u32_e32 v38, vcc_lo, s19, v23, vcc_lo
	s_clause 0x3
	global_load_b32 v43, v[1:2], off
	global_load_b32 v44, v[33:34], off
	;; [unrolled: 1-line block ×4, first 2 shown]
	v_add_co_u32 v1, vcc_lo, s7, v24
	v_add_co_ci_u32_e32 v2, vcc_lo, s19, v25, vcc_lo
	v_add_co_u32 v33, vcc_lo, s7, v26
	v_add_co_ci_u32_e32 v34, vcc_lo, s19, v27, vcc_lo
	s_clause 0x1
	global_load_b32 v37, v[1:2], off
	global_load_b32 v33, v[33:34], off
	v_mbcnt_lo_u32_b32 v34, -1, 0
	s_add_u32 s7, s8, s20
	s_addc_u32 s8, s9, s21
	s_add_u32 s7, s7, s10
	s_addc_u32 s8, s8, s11
	v_xor_b32_e32 v3, 8, v34
	v_xor_b32_e32 v28, 4, v34
	s_waitcnt vmcnt(12)
	v_dual_max_f32 v2, v47, v47 :: v_dual_max_f32 v1, v48, v48
	s_delay_alu instid0(VALU_DEP_1) | instskip(SKIP_2) | instid1(VALU_DEP_2)
	v_max_f32_e32 v1, v2, v1
	v_xor_b32_e32 v2, 16, v34
	s_waitcnt vmcnt(10)
	v_max3_f32 v1, v1, v49, v50
	s_delay_alu instid0(VALU_DEP_2) | instskip(SKIP_1) | instid1(VALU_DEP_2)
	v_cmp_gt_i32_e32 vcc_lo, 32, v2
	s_waitcnt vmcnt(8)
	v_max3_f32 v1, v1, v39, v40
	v_cndmask_b32_e32 v2, v34, v2, vcc_lo
	v_cmp_gt_i32_e32 vcc_lo, 32, v3
	s_waitcnt vmcnt(6)
	s_delay_alu instid0(VALU_DEP_3) | instskip(NEXT) | instid1(VALU_DEP_3)
	v_max3_f32 v1, v1, v41, v42
	v_dual_cndmask_b32 v38, v34, v3 :: v_dual_lshlrev_b32 v3, 2, v2
	v_cmp_gt_i32_e32 vcc_lo, 32, v28
	s_waitcnt vmcnt(4)
	s_delay_alu instid0(VALU_DEP_3) | instskip(SKIP_2) | instid1(VALU_DEP_2)
	v_max3_f32 v1, v1, v43, v44
	v_cndmask_b32_e32 v28, v34, v28, vcc_lo
	s_waitcnt vmcnt(2)
	v_max3_f32 v45, v1, v35, v36
	v_lshlrev_b32_e32 v1, 2, v38
	s_delay_alu instid0(VALU_DEP_3)
	v_lshlrev_b32_e32 v2, 2, v28
	v_add_co_u32 v28, vcc_lo, s7, v29
	v_add_co_ci_u32_e32 v29, vcc_lo, s8, v30, vcc_lo
	v_add_co_u32 v30, vcc_lo, s7, v31
	s_waitcnt vmcnt(0)
	v_max3_f32 v38, v45, v37, v33
	v_add_co_ci_u32_e32 v31, vcc_lo, s8, v32, vcc_lo
	s_clause 0x1
	global_load_b32 v28, v[28:29], off
	global_load_b32 v29, v[30:31], off
	ds_bpermute_b32 v45, v3, v38
	v_add_co_u32 v4, vcc_lo, s7, v4
	v_add_co_ci_u32_e32 v5, vcc_lo, s8, v5, vcc_lo
	v_add_co_u32 v6, vcc_lo, s7, v6
	v_add_co_ci_u32_e32 v7, vcc_lo, s8, v7, vcc_lo
	;; [unrolled: 2-line block ×3, first 2 shown]
	global_load_b32 v31, v[4:5], off
	v_add_co_u32 v4, vcc_lo, s7, v10
	v_add_co_ci_u32_e32 v5, vcc_lo, s8, v11, vcc_lo
	global_load_b32 v11, v[6:7], off
	v_add_co_u32 v6, vcc_lo, s7, v12
	s_waitcnt lgkmcnt(0)
	v_max_f32_e32 v30, v45, v45
	v_add_co_ci_u32_e32 v7, vcc_lo, s8, v13, vcc_lo
	global_load_b32 v12, v[8:9], off
	v_add_co_u32 v8, vcc_lo, s7, v14
	v_max_f32_e32 v30, v38, v30
	s_clause 0x1
	global_load_b32 v13, v[4:5], off
	global_load_b32 v14, v[6:7], off
	v_add_co_ci_u32_e32 v9, vcc_lo, s8, v15, vcc_lo
	ds_bpermute_b32 v10, v1, v30
	v_add_co_u32 v15, vcc_lo, s7, v16
	v_add_co_ci_u32_e32 v16, vcc_lo, s8, v17, vcc_lo
	v_add_co_u32 v6, vcc_lo, s7, v18
	v_add_co_ci_u32_e32 v7, vcc_lo, s8, v19, vcc_lo
	global_load_b32 v4, v[8:9], off
	v_add_co_u32 v8, vcc_lo, s7, v20
	v_add_co_ci_u32_e32 v9, vcc_lo, s8, v21, vcc_lo
	v_xor_b32_e32 v18, 2, v34
	s_waitcnt lgkmcnt(0)
	v_max_f32_e32 v5, v10, v10
	s_delay_alu instid0(VALU_DEP_1)
	v_max_f32_e32 v17, v30, v5
	s_clause 0x2
	global_load_b32 v5, v[15:16], off
	global_load_b32 v6, v[6:7], off
	;; [unrolled: 1-line block ×3, first 2 shown]
	v_add_co_u32 v8, vcc_lo, s7, v22
	v_add_co_ci_u32_e32 v9, vcc_lo, s8, v23, vcc_lo
	ds_bpermute_b32 v10, v2, v17
	global_load_b32 v16, v[8:9], off
	v_add_co_u32 v8, vcc_lo, s7, v24
	v_add_co_ci_u32_e32 v9, vcc_lo, s8, v25, vcc_lo
	v_cmp_gt_i32_e32 vcc_lo, 32, v18
	global_load_b32 v15, v[8:9], off
	v_cndmask_b32_e32 v8, v34, v18, vcc_lo
	v_add_co_u32 v9, vcc_lo, s7, v26
	s_mov_b32 s7, exec_lo
	s_delay_alu instid0(VALU_DEP_2) | instskip(SKIP_3) | instid1(VALU_DEP_2)
	v_lshlrev_b32_e32 v8, 2, v8
	s_waitcnt lgkmcnt(0)
	v_max_f32_e32 v18, v10, v10
	v_add_co_ci_u32_e32 v10, vcc_lo, s8, v27, vcc_lo
	v_max_f32_e32 v17, v17, v18
	global_load_b32 v9, v[9:10], off
	v_xor_b32_e32 v18, 1, v34
	ds_bpermute_b32 v10, v8, v17
	v_cmp_gt_i32_e32 vcc_lo, 32, v18
	v_cndmask_b32_e32 v18, v34, v18, vcc_lo
	s_waitcnt lgkmcnt(0)
	v_max_f32_e32 v19, v10, v10
	s_delay_alu instid0(VALU_DEP_1) | instskip(SKIP_3) | instid1(VALU_DEP_1)
	v_dual_max_f32 v17, v17, v19 :: v_dual_lshlrev_b32 v10, 2, v18
	ds_bpermute_b32 v18, v10, v17
	s_waitcnt lgkmcnt(0)
	v_max_f32_e32 v18, v18, v18
	v_max_f32_e32 v17, v17, v18
	v_sub_nc_u32_e32 v18, s40, v0
	s_delay_alu instid0(VALU_DEP_2) | instskip(NEXT) | instid1(VALU_DEP_1)
	v_sub_f32_e32 v22, v50, v17
	v_mul_f32_e32 v38, 0x3fb8aa3b, v22
	s_delay_alu instid0(VALU_DEP_1) | instskip(SKIP_1) | instid1(VALU_DEP_2)
	v_rndne_f32_e32 v56, v38
	v_fma_f32 v55, 0x3fb8aa3b, v22, -v38
	v_sub_f32_e32 v38, v38, v56
	v_sub_f32_e32 v26, v42, v17
	;; [unrolled: 1-line block ×6, first 2 shown]
	v_mul_f32_e32 v42, 0x3fb8aa3b, v26
	v_mul_f32_e32 v46, 0x3fb8aa3b, v34
	v_sub_f32_e32 v30, v44, v17
	v_sub_f32_e32 v23, v39, v17
	v_sub_f32_e32 v24, v40, v17
	v_rndne_f32_e32 v64, v42
	v_sub_f32_e32 v35, v37, v17
	v_fma_f32 v71, 0x3fb8aa3b, v34, -v46
	v_rndne_f32_e32 v72, v46
	v_dual_mul_f32 v37, 0x3fb8aa3b, v21 :: v_dual_mul_f32 v44, 0x3fb8aa3b, v30
	v_sub_f32_e32 v19, v47, v17
	s_delay_alu instid0(VALU_DEP_3) | instskip(NEXT) | instid1(VALU_DEP_3)
	v_dual_fmac_f32 v71, 0x32a5705f, v34 :: v_dual_sub_f32 v46, v46, v72
	v_rndne_f32_e32 v54, v37
	v_fma_f32 v53, 0x3fb8aa3b, v21, -v37
	v_mul_f32_e32 v40, 0x3fb8aa3b, v24
	v_rndne_f32_e32 v68, v44
	s_delay_alu instid0(VALU_DEP_4) | instskip(SKIP_1) | instid1(VALU_DEP_4)
	v_dual_add_f32 v46, v46, v71 :: v_dual_sub_f32 v37, v37, v54
	v_sub_f32_e32 v20, v48, v17
	v_fma_f32 v59, 0x3fb8aa3b, v24, -v40
	v_rndne_f32_e32 v60, v40
	s_delay_alu instid0(VALU_DEP_4)
	v_exp_f32_e32 v46, v46
	v_sub_f32_e32 v27, v43, v17
	v_sub_f32_e32 v17, v33, v17
	v_fma_f32 v67, 0x3fb8aa3b, v30, -v44
	v_dual_sub_f32 v44, v44, v68 :: v_dual_mul_f32 v33, 0x3fb8aa3b, v19
	v_cvt_i32_f32_e32 v72, v72
	s_delay_alu instid0(VALU_DEP_4)
	v_mul_f32_e32 v48, 0x3fb8aa3b, v17
	v_sub_f32_e32 v40, v40, v60
	v_mul_f32_e32 v36, 0x3fb8aa3b, v20
	v_rndne_f32_e32 v50, v33
	v_ldexp_f32 v46, v46, v72
	v_fmac_f32_e32 v59, 0x32a5705f, v24
	v_fma_f32 v49, 0x3fb8aa3b, v19, -v33
	v_fma_f32 v63, 0x3fb8aa3b, v26, -v42
	v_sub_f32_e32 v33, v33, v50
	v_cvt_i32_f32_e32 v60, v60
	v_add_f32_e32 v40, v40, v59
	v_fma_f32 v51, 0x3fb8aa3b, v20, -v36
	v_rndne_f32_e32 v52, v36
	v_dual_fmac_f32 v63, 0x32a5705f, v26 :: v_dual_sub_f32 v42, v42, v64
	s_delay_alu instid0(VALU_DEP_4) | instskip(SKIP_4) | instid1(VALU_DEP_4)
	v_exp_f32_e32 v40, v40
	v_fmac_f32_e32 v67, 0x32a5705f, v30
	v_fmac_f32_e32 v51, 0x32a5705f, v20
	v_sub_f32_e32 v36, v36, v52
	v_dual_add_f32 v42, v42, v63 :: v_dual_fmac_f32 v53, 0x32a5705f, v21
	v_dual_add_f32 v44, v44, v67 :: v_dual_mul_f32 v41, 0x3fb8aa3b, v25
	s_delay_alu instid0(VALU_DEP_3) | instskip(SKIP_1) | instid1(TRANS32_DEP_1)
	v_add_f32_e32 v36, v36, v51
	v_fma_f32 v75, 0x3fb8aa3b, v17, -v48
	v_ldexp_f32 v40, v40, v60
	v_fmac_f32_e32 v49, 0x32a5705f, v19
	v_rndne_f32_e32 v76, v48
	v_mul_f32_e32 v39, 0x3fb8aa3b, v23
	v_exp_f32_e32 v42, v42
	v_exp_f32_e32 v44, v44
	v_add_f32_e32 v33, v33, v49
	v_cvt_i32_f32_e32 v50, v50
	v_cvt_i32_f32_e32 v64, v64
	;; [unrolled: 1-line block ×3, first 2 shown]
	v_fmac_f32_e32 v75, 0x32a5705f, v17
	v_exp_f32_e32 v33, v33
	v_sub_f32_e32 v48, v48, v76
	v_fma_f32 v57, 0x3fb8aa3b, v23, -v39
	v_rndne_f32_e32 v58, v39
	v_fmac_f32_e32 v55, 0x32a5705f, v22
	v_add_f32_e32 v37, v37, v53
	v_exp_f32_e32 v36, v36
	v_cvt_i32_f32_e32 v52, v52
	v_dual_add_f32 v48, v48, v75 :: v_dual_mul_f32 v45, 0x3fb8aa3b, v32
	v_add_f32_e32 v38, v38, v55
	v_exp_f32_e32 v37, v37
	v_ldexp_f32 v33, v33, v50
	v_ldexp_f32 v42, v42, v64
	v_fmac_f32_e32 v57, 0x32a5705f, v23
	v_ldexp_f32 v44, v44, v68
	v_sub_f32_e32 v39, v39, v58
	v_cmp_ngt_f32_e32 vcc_lo, 0xc2ce8ed0, v19
	v_cvt_i32_f32_e32 v54, v54
	v_exp_f32_e32 v38, v38
	v_ldexp_f32 v36, v36, v52
	v_add_f32_e32 v39, v39, v57
	v_cndmask_b32_e32 v33, 0, v33, vcc_lo
	v_cmp_ngt_f32_e32 vcc_lo, 0xc2ce8ed0, v20
	v_mul_f32_e32 v43, 0x3fb8aa3b, v27
	v_cvt_i32_f32_e32 v56, v56
	v_exp_f32_e32 v39, v39
	v_ldexp_f32 v37, v37, v54
	v_cndmask_b32_e32 v36, 0, v36, vcc_lo
	v_cmp_ngt_f32_e32 vcc_lo, 0xc2ce8ed0, v21
	v_fma_f32 v61, 0x3fb8aa3b, v25, -v41
	v_rndne_f32_e32 v62, v41
	v_cvt_i32_f32_e32 v58, v58
	v_ldexp_f32 v38, v38, v56
	v_cndmask_b32_e32 v37, 0, v37, vcc_lo
	v_cmp_ngt_f32_e32 vcc_lo, 0xc2ce8ed0, v22
	v_mul_f32_e32 v47, 0x3fb8aa3b, v35
	v_fmac_f32_e32 v61, 0x32a5705f, v25
	v_sub_f32_e32 v41, v41, v62
	v_ldexp_f32 v39, v39, v58
	v_cndmask_b32_e32 v38, 0, v38, vcc_lo
	v_cmp_ngt_f32_e32 vcc_lo, 0xc2ce8ed0, v23
	v_fma_f32 v65, 0x3fb8aa3b, v27, -v43
	v_rndne_f32_e32 v66, v43
	v_add_f32_e32 v41, v41, v61
	v_cvt_i32_f32_e32 v62, v62
	v_cndmask_b32_e32 v39, 0, v39, vcc_lo
	v_cmp_ngt_f32_e32 vcc_lo, 0xc2ce8ed0, v24
	v_fmac_f32_e32 v65, 0x32a5705f, v27
	v_exp_f32_e32 v41, v41
	v_fma_f32 v69, 0x3fb8aa3b, v32, -v45
	v_rndne_f32_e32 v70, v45
	v_dual_cndmask_b32 v40, 0, v40 :: v_dual_sub_f32 v43, v43, v66
	v_cmp_ngt_f32_e32 vcc_lo, 0xc2ce8ed0, v25
	v_cvt_i32_f32_e32 v66, v66
	v_fmac_f32_e32 v69, 0x32a5705f, v32
	v_rndne_f32_e32 v74, v47
	v_add_f32_e32 v43, v43, v65
	s_delay_alu instid0(TRANS32_DEP_1) | instskip(SKIP_2) | instid1(VALU_DEP_3)
	v_ldexp_f32 v41, v41, v62
	v_fma_f32 v73, 0x3fb8aa3b, v35, -v47
	v_exp_f32_e32 v48, v48
	v_exp_f32_e32 v43, v43
	s_delay_alu instid0(VALU_DEP_2)
	v_cndmask_b32_e32 v41, 0, v41, vcc_lo
	v_cmp_ngt_f32_e32 vcc_lo, 0xc2ce8ed0, v26
	v_cndmask_b32_e32 v42, 0, v42, vcc_lo
	v_cmp_ngt_f32_e32 vcc_lo, 0xc2ce8ed0, v27
	s_waitcnt_depctr 0xfff
	v_ldexp_f32 v43, v43, v66
	s_delay_alu instid0(VALU_DEP_1) | instskip(SKIP_4) | instid1(VALU_DEP_3)
	v_cndmask_b32_e32 v43, 0, v43, vcc_lo
	v_cmp_ngt_f32_e32 vcc_lo, 0xc2ce8ed0, v30
	v_dual_cndmask_b32 v44, 0, v44 :: v_dual_sub_f32 v45, v45, v70
	v_cvt_i32_f32_e32 v70, v70
	v_cmp_ngt_f32_e32 vcc_lo, 0xc2ce8ed0, v32
	v_add_f32_e32 v45, v45, v69
	s_delay_alu instid0(VALU_DEP_1) | instskip(SKIP_2) | instid1(VALU_DEP_1)
	v_exp_f32_e32 v45, v45
	s_waitcnt_depctr 0xfff
	v_ldexp_f32 v45, v45, v70
	v_cndmask_b32_e32 v45, 0, v45, vcc_lo
	v_cmp_ngt_f32_e32 vcc_lo, 0xc2ce8ed0, v34
	v_cndmask_b32_e32 v46, 0, v46, vcc_lo
	v_cmp_nlt_f32_e32 vcc_lo, 0x42b17218, v19
	v_cndmask_b32_e32 v19, 0x7f800000, v33, vcc_lo
	v_cmp_nlt_f32_e32 vcc_lo, 0x42b17218, v20
	;; [unrolled: 2-line block ×6, first 2 shown]
	v_cndmask_b32_e32 v24, 0x7f800000, v40, vcc_lo
	v_cmp_lt_i32_e32 vcc_lo, 0, v18
	v_cndmask_b32_e32 v19, 0, v19, vcc_lo
	v_cmp_lt_i32_e32 vcc_lo, 32, v18
	s_waitcnt vmcnt(13)
	s_delay_alu instid0(VALU_DEP_2) | instskip(SKIP_2) | instid1(VALU_DEP_2)
	v_dual_mul_f32 v19, v28, v19 :: v_dual_cndmask_b32 v20, 0, v20
	v_cmp_nlt_f32_e32 vcc_lo, 0x42b17218, v25
	s_waitcnt vmcnt(12)
	v_dual_mul_f32 v20, v29, v20 :: v_dual_cndmask_b32 v25, 0x7f800000, v41
	v_cmp_lt_i32_e32 vcc_lo, 64, v18
	s_delay_alu instid0(VALU_DEP_2) | instskip(SKIP_2) | instid1(VALU_DEP_2)
	v_dual_add_f32 v28, v19, v20 :: v_dual_cndmask_b32 v21, 0, v21
	v_cmp_nlt_f32_e32 vcc_lo, 0x42b17218, v26
	s_waitcnt vmcnt(11)
	v_dual_mul_f32 v21, v31, v21 :: v_dual_cndmask_b32 v26, 0x7f800000, v42
	v_cmp_lt_i32_e32 vcc_lo, 0x60, v18
	v_cndmask_b32_e32 v22, 0, v22, vcc_lo
	v_cmp_nlt_f32_e32 vcc_lo, 0x42b17218, v27
	s_waitcnt vmcnt(10)
	s_delay_alu instid0(VALU_DEP_2) | instskip(SKIP_4) | instid1(VALU_DEP_2)
	v_mul_f32_e32 v11, v11, v22
	v_cndmask_b32_e32 v27, 0x7f800000, v43, vcc_lo
	v_cmp_lt_i32_e32 vcc_lo, 0x80, v18
	v_dual_add_f32 v22, v28, v21 :: v_dual_cndmask_b32 v23, 0, v23
	v_cmp_nlt_f32_e32 vcc_lo, 0x42b17218, v30
	v_dual_sub_f32 v47, v47, v74 :: v_dual_add_f32 v22, v22, v11
	v_cvt_i32_f32_e32 v74, v74
	s_waitcnt vmcnt(9)
	v_mul_f32_e32 v12, v12, v23
	v_cndmask_b32_e32 v28, 0x7f800000, v44, vcc_lo
	v_cmp_lt_i32_e32 vcc_lo, 0xa0, v18
	s_delay_alu instid0(VALU_DEP_3) | instskip(SKIP_3) | instid1(VALU_DEP_2)
	v_dual_fmac_f32 v73, 0x32a5705f, v35 :: v_dual_add_f32 v22, v22, v12
	v_cndmask_b32_e32 v24, 0, v24, vcc_lo
	v_cmp_nlt_f32_e32 vcc_lo, 0x42b17218, v32
	s_waitcnt vmcnt(8)
	v_mul_f32_e32 v13, v13, v24
	v_cndmask_b32_e32 v23, 0x7f800000, v45, vcc_lo
	v_cmp_lt_i32_e32 vcc_lo, 0xc0, v18
	s_delay_alu instid0(VALU_DEP_3) | instskip(SKIP_3) | instid1(VALU_DEP_2)
	v_add_f32_e32 v22, v22, v13
	v_cndmask_b32_e32 v25, 0, v25, vcc_lo
	v_cmp_lt_i32_e32 vcc_lo, 0xe0, v18
	s_waitcnt vmcnt(7)
	v_mul_f32_e32 v14, v14, v25
	v_cndmask_b32_e32 v24, 0, v26, vcc_lo
	v_cmp_lt_i32_e32 vcc_lo, 0x100, v18
	s_delay_alu instid0(VALU_DEP_3) | instskip(SKIP_1) | instid1(VALU_DEP_3)
	v_add_f32_e32 v22, v22, v14
	s_waitcnt vmcnt(6)
	v_mul_f32_e32 v4, v4, v24
	v_cndmask_b32_e32 v26, 0, v27, vcc_lo
	v_cmp_lt_i32_e32 vcc_lo, 0x120, v18
	s_waitcnt vmcnt(5)
	s_delay_alu instid0(VALU_DEP_2) | instskip(SKIP_2) | instid1(VALU_DEP_3)
	v_dual_add_f32 v22, v22, v4 :: v_dual_mul_f32 v5, v5, v26
	v_cndmask_b32_e32 v25, 0, v28, vcc_lo
	v_cmp_lt_i32_e32 vcc_lo, 0x140, v18
	v_add_f32_e32 v22, v22, v5
	s_waitcnt vmcnt(4)
	s_delay_alu instid0(VALU_DEP_3)
	v_dual_mul_f32 v6, v6, v25 :: v_dual_cndmask_b32 v23, 0, v23
	v_cmp_nlt_f32_e32 vcc_lo, 0x42b17218, v34
	v_add_f32_e32 v47, v47, v73
	v_cvt_i32_f32_e32 v25, v76
	s_waitcnt vmcnt(3)
	v_dual_add_f32 v22, v22, v6 :: v_dual_mul_f32 v7, v7, v23
	v_cndmask_b32_e32 v24, 0x7f800000, v46, vcc_lo
	v_exp_f32_e32 v47, v47
	v_cmp_ngt_f32_e32 vcc_lo, 0xc2ce8ed0, v35
	s_delay_alu instid0(VALU_DEP_3) | instskip(SKIP_2) | instid1(VALU_DEP_1)
	v_add_f32_e32 v22, v22, v7
	s_waitcnt_depctr 0xfff
	v_ldexp_f32 v47, v47, v74
	v_cndmask_b32_e32 v23, 0, v47, vcc_lo
	v_cmp_lt_i32_e32 vcc_lo, 0x160, v18
	v_cndmask_b32_e32 v24, 0, v24, vcc_lo
	v_cmp_nlt_f32_e32 vcc_lo, 0x42b17218, v35
	s_waitcnt vmcnt(2)
	s_delay_alu instid0(VALU_DEP_2) | instskip(SKIP_2) | instid1(VALU_DEP_3)
	v_dual_mul_f32 v16, v16, v24 :: v_dual_cndmask_b32 v23, 0x7f800000, v23
	v_cmp_lt_i32_e32 vcc_lo, 0x180, v18
	v_ldexp_f32 v24, v48, v25
	v_dual_add_f32 v22, v22, v16 :: v_dual_cndmask_b32 v23, 0, v23
	v_cmp_ngt_f32_e32 vcc_lo, 0xc2ce8ed0, v17
	s_waitcnt vmcnt(1)
	s_delay_alu instid0(VALU_DEP_2) | instskip(SKIP_1) | instid1(VALU_DEP_2)
	v_dual_mul_f32 v15, v15, v23 :: v_dual_cndmask_b32 v24, 0, v24
	v_cmp_nlt_f32_e32 vcc_lo, 0x42b17218, v17
	v_cndmask_b32_e32 v17, 0x7f800000, v24, vcc_lo
	v_cmp_lt_i32_e32 vcc_lo, 0x1a0, v18
	s_delay_alu instid0(VALU_DEP_2) | instskip(SKIP_1) | instid1(VALU_DEP_1)
	v_dual_add_f32 v18, v22, v15 :: v_dual_cndmask_b32 v17, 0, v17
	s_waitcnt vmcnt(0)
	v_fmac_f32_e32 v18, v9, v17
	ds_bpermute_b32 v3, v3, v18
	s_waitcnt lgkmcnt(0)
	v_add_f32_e32 v3, v18, v3
	ds_bpermute_b32 v1, v1, v3
	s_waitcnt lgkmcnt(0)
	v_add_f32_e32 v1, v3, v1
	v_lshlrev_b32_e32 v3, 2, v0
	ds_bpermute_b32 v2, v2, v1
	ds_store_2addr_b32 v3, v19, v20 offset1:32
	s_waitcnt lgkmcnt(1)
	v_add_f32_e32 v1, v1, v2
	ds_bpermute_b32 v2, v8, v1
	v_dual_mul_f32 v8, v9, v17 :: v_dual_add_nc_u32 v9, 0x400, v3
	ds_store_2addr_b32 v3, v21, v11 offset0:64 offset1:96
	ds_store_2addr_b32 v3, v12, v13 offset0:128 offset1:160
	;; [unrolled: 1-line block ×3, first 2 shown]
	ds_store_2addr_b32 v9, v5, v6 offset1:32
	ds_store_2addr_b32 v9, v7, v16 offset0:64 offset1:96
	ds_store_2addr_b32 v9, v15, v8 offset0:128 offset1:160
	s_waitcnt lgkmcnt(6)
	v_add_f32_e32 v1, v1, v2
	ds_bpermute_b32 v2, v10, v1
	v_cmpx_eq_u32_e32 0, v0
	s_cbranch_execz .LBB227_8
; %bb.7:
	s_waitcnt lgkmcnt(0)
	v_dual_add_f32 v1, v1, v2 :: v_dual_mov_b32 v2, 0
	ds_store_b32 v2, v1 offset:1792
.LBB227_8:
	s_or_b32 exec_lo, exec_lo, s7
	v_mov_b32_e32 v1, s6
.LBB227_9:
	s_or_b32 exec_lo, exec_lo, s24
	s_lshl_b32 s6, s18, 7
	s_mov_b32 s7, 0
	s_waitcnt lgkmcnt(0)
	v_dual_mov_b32 v2, 0 :: v_dual_lshlrev_b32 v1, 7, v1
	s_lshl_b64 s[6:7], s[6:7], 1
	v_dual_mov_b32 v29, 0 :: v_dual_mov_b32 v30, 0
	s_add_u32 s34, s4, s6
	s_addc_u32 s35, s5, s7
	s_lshl_b32 s41, s40, 7
	v_lshlrev_b64 v[3:4], 1, v[1:2]
	s_add_i32 s42, s41, 0xffffff80
	s_cmpk_lt_i32 s22, 0x100
	v_lshlrev_b32_e32 v1, 1, v0
	s_cselect_b32 s4, s42, 0
	v_dual_mov_b32 v31, 0 :: v_dual_mov_b32 v32, 0
	s_ashr_i32 s5, s4, 31
	v_add_co_u32 v3, vcc_lo, s34, v3
	s_lshl_b64 s[4:5], s[4:5], 1
	s_cmpk_lt_i32 s22, 0x200
	v_add_co_ci_u32_e32 v4, vcc_lo, s35, v4, vcc_lo
	s_cselect_b32 s6, s42, 0x80
	v_add_co_u32 v1, vcc_lo, v3, v1
	s_ashr_i32 s7, s6, 31
	s_delay_alu instid0(VALU_DEP_2)
	v_add_co_ci_u32_e32 v3, vcc_lo, 0, v4, vcc_lo
	s_lshl_b64 s[6:7], s[6:7], 1
	s_cmpk_lt_i32 s22, 0x300
	v_add_co_u32 v4, vcc_lo, v1, s4
	s_cselect_b32 s8, s42, 0x100
	v_add_co_ci_u32_e32 v5, vcc_lo, s5, v3, vcc_lo
	s_ashr_i32 s9, s8, 31
	v_add_co_u32 v8, vcc_lo, v1, s6
	s_lshl_b64 s[8:9], s[8:9], 1
	s_cmpk_lt_i32 s22, 0x400
	v_add_co_ci_u32_e32 v9, vcc_lo, s7, v3, vcc_lo
	s_cselect_b32 s10, s42, 0x180
	v_add_co_u32 v10, vcc_lo, v1, s8
	s_ashr_i32 s11, s10, 31
	v_add_co_ci_u32_e32 v11, vcc_lo, s9, v3, vcc_lo
	s_lshl_b64 s[10:11], s[10:11], 1
	s_cmpk_lt_i32 s22, 0x500
	v_add_co_u32 v12, vcc_lo, v1, s10
	s_cselect_b32 s18, s42, 0x200
	v_add_co_ci_u32_e32 v13, vcc_lo, s11, v3, vcc_lo
	s_ashr_i32 s19, s18, 31
	v_dual_mov_b32 v33, 0 :: v_dual_mov_b32 v34, 0
	s_lshl_b64 s[18:19], s[18:19], 1
	s_cmpk_lt_i32 s22, 0x600
	v_add_co_u32 v14, vcc_lo, v1, s18
	s_cselect_b32 s20, s42, 0x280
	v_add_co_ci_u32_e32 v15, vcc_lo, s19, v3, vcc_lo
	s_ashr_i32 s21, s20, 31
	v_mov_b32_e32 v35, 0
	s_lshl_b64 s[20:21], s[20:21], 1
	s_cmpk_lt_i32 s22, 0x700
	v_add_co_u32 v16, vcc_lo, v1, s20
	s_cselect_b32 s24, s42, 0x300
	v_add_co_ci_u32_e32 v17, vcc_lo, s21, v3, vcc_lo
	s_ashr_i32 s25, s24, 31
	s_delay_alu instid0(SALU_CYCLE_1)
	s_lshl_b64 s[24:25], s[24:25], 1
	s_cmpk_lt_i32 s22, 0x800
	v_add_co_u32 v18, vcc_lo, v1, s24
	s_cselect_b32 s26, s42, 0x380
	v_add_co_ci_u32_e32 v19, vcc_lo, s25, v3, vcc_lo
	s_ashr_i32 s27, s26, 31
	s_delay_alu instid0(SALU_CYCLE_1)
	s_lshl_b64 s[26:27], s[26:27], 1
	s_cmpk_lt_i32 s22, 0x900
	v_add_co_u32 v20, vcc_lo, v1, s26
	s_cselect_b32 s28, s42, 0x400
	v_add_co_ci_u32_e32 v21, vcc_lo, s27, v3, vcc_lo
	s_ashr_i32 s29, s28, 31
	s_clause 0x7
	global_load_u16 v7, v[4:5], off
	global_load_u16 v8, v[8:9], off
	;; [unrolled: 1-line block ×8, first 2 shown]
	s_lshl_b64 s[28:29], s[28:29], 1
	s_cmpk_lt_i32 s22, 0xa00
	v_add_co_u32 v12, vcc_lo, v1, s28
	s_cselect_b32 s30, s42, 0x480
	v_add_co_ci_u32_e32 v13, vcc_lo, s29, v3, vcc_lo
	s_ashr_i32 s31, s30, 31
	s_delay_alu instid0(SALU_CYCLE_1)
	s_lshl_b64 s[30:31], s[30:31], 1
	s_cmpk_lt_i32 s22, 0xb00
	v_add_co_u32 v15, vcc_lo, v1, s30
	s_cselect_b32 s34, s42, 0x500
	v_add_co_ci_u32_e32 v16, vcc_lo, s31, v3, vcc_lo
	s_ashr_i32 s35, s34, 31
	s_delay_alu instid0(SALU_CYCLE_1)
	;; [unrolled: 7-line block ×7, first 2 shown]
	s_lshl_b64 s[4:5], s[6:7], 1
	s_cmpk_gt_i32 s23, 0x1000
	v_add_co_u32 v27, vcc_lo, v1, s4
	v_add_co_ci_u32_e32 v28, vcc_lo, s5, v3, vcc_lo
	s_clause 0x7
	global_load_u16 v14, v[12:13], off
	global_load_u16 v15, v[15:16], off
	;; [unrolled: 1-line block ×8, first 2 shown]
	v_dual_mov_b32 v20, 0 :: v_dual_mov_b32 v21, 0
	v_dual_mov_b32 v22, 0 :: v_dual_mov_b32 v23, 0
	;; [unrolled: 1-line block ×4, first 2 shown]
	v_mov_b32_e32 v28, 0
	s_cselect_b32 s8, -1, 0
	s_cmpk_lt_i32 s23, 0x1001
	s_waitcnt vmcnt(0)
	s_barrier
	buffer_gl0_inv
	s_cbranch_scc1 .LBB227_11
; %bb.10:
	s_cmpk_lt_i32 s22, 0x1100
	s_cselect_b32 s4, s42, 0x800
	s_delay_alu instid0(SALU_CYCLE_1) | instskip(NEXT) | instid1(SALU_CYCLE_1)
	s_ashr_i32 s5, s4, 31
	s_lshl_b64 s[4:5], s[4:5], 1
	s_cmpk_lt_i32 s22, 0x1200
	v_add_co_u32 v20, vcc_lo, v1, s4
	s_cselect_b32 s6, s42, 0x880
	v_add_co_ci_u32_e32 v21, vcc_lo, s5, v3, vcc_lo
	s_ashr_i32 s7, s6, 31
	s_delay_alu instid0(SALU_CYCLE_1)
	s_lshl_b64 s[6:7], s[6:7], 1
	s_cmpk_lt_i32 s22, 0x1300
	v_add_co_u32 v22, vcc_lo, v1, s6
	s_cselect_b32 s10, s42, 0x900
	v_add_co_ci_u32_e32 v23, vcc_lo, s7, v3, vcc_lo
	s_ashr_i32 s11, s10, 31
	s_delay_alu instid0(SALU_CYCLE_1)
	;; [unrolled: 7-line block ×7, first 2 shown]
	s_lshl_b64 s[28:29], s[28:29], 1
	s_cmpk_lt_i32 s22, 0x1900
	v_add_co_u32 v34, vcc_lo, v1, s28
	s_cselect_b32 s30, s42, 0xc00
	v_add_co_ci_u32_e32 v35, vcc_lo, s29, v3, vcc_lo
	s_ashr_i32 s31, s30, 31
	s_clause 0x7
	global_load_u16 v36, v[20:21], off
	global_load_u16 v37, v[22:23], off
	;; [unrolled: 1-line block ×8, first 2 shown]
	s_lshl_b64 s[30:31], s[30:31], 1
	s_cmpk_lt_i32 s22, 0x1a00
	v_add_co_u32 v20, vcc_lo, v1, s30
	s_cselect_b32 s34, s42, 0xc80
	v_add_co_ci_u32_e32 v21, vcc_lo, s31, v3, vcc_lo
	s_ashr_i32 s35, s34, 31
	s_delay_alu instid0(SALU_CYCLE_1)
	s_lshl_b64 s[34:35], s[34:35], 1
	s_cmpk_lt_i32 s22, 0x1b00
	v_add_co_u32 v22, vcc_lo, v1, s34
	s_cselect_b32 s36, s42, 0xd00
	v_add_co_ci_u32_e32 v23, vcc_lo, s35, v3, vcc_lo
	s_ashr_i32 s37, s36, 31
	s_delay_alu instid0(SALU_CYCLE_1)
	;; [unrolled: 7-line block ×6, first 2 shown]
	s_lshl_b64 s[4:5], s[20:21], 1
	s_cmpk_lt_i32 s22, 0x2000
	v_add_co_u32 v32, vcc_lo, v1, s4
	s_cselect_b32 s6, s42, 0xf80
	v_add_co_ci_u32_e32 v33, vcc_lo, s5, v3, vcc_lo
	s_ashr_i32 s7, s6, 31
	s_delay_alu instid0(SALU_CYCLE_1) | instskip(NEXT) | instid1(SALU_CYCLE_1)
	s_lshl_b64 s[4:5], s[6:7], 1
	v_add_co_u32 v34, vcc_lo, v1, s4
	v_add_co_ci_u32_e32 v35, vcc_lo, s5, v3, vcc_lo
	s_clause 0x7
	global_load_u16 v20, v[20:21], off
	global_load_u16 v21, v[22:23], off
	;; [unrolled: 1-line block ×8, first 2 shown]
	s_waitcnt vmcnt(15)
	v_cvt_f32_f16_e32 v35, v36
	s_waitcnt vmcnt(14)
	v_cvt_f32_f16_e32 v34, v37
	;; [unrolled: 2-line block ×16, first 2 shown]
.LBB227_11:
	ds_load_b128 v[36:39], v2
	ds_load_b128 v[40:43], v2 offset:16
	s_load_b64 s[0:1], s[0:1], 0x0
	s_and_b32 vcc_lo, exec_lo, s8
	s_waitcnt lgkmcnt(0)
	v_fma_mix_f32 v7, v36, v7, 0 op_sel_hi:[0,1,0]
	s_delay_alu instid0(VALU_DEP_1) | instskip(NEXT) | instid1(VALU_DEP_1)
	v_fma_mix_f32 v7, v37, v8, v7 op_sel_hi:[0,1,0]
	v_fma_mix_f32 v7, v38, v9, v7 op_sel_hi:[0,1,0]
	s_delay_alu instid0(VALU_DEP_1) | instskip(SKIP_4) | instid1(VALU_DEP_1)
	v_fma_mix_f32 v7, v39, v10, v7 op_sel_hi:[0,1,0]
	ds_load_b128 v[36:39], v2 offset:48
	v_fma_mix_f32 v11, v40, v11, v7 op_sel_hi:[0,1,0]
	ds_load_b128 v[7:10], v2 offset:32
	v_fma_mix_f32 v4, v41, v4, v11 op_sel_hi:[0,1,0]
	v_fma_mix_f32 v4, v42, v5, v4 op_sel_hi:[0,1,0]
	s_delay_alu instid0(VALU_DEP_1) | instskip(SKIP_1) | instid1(VALU_DEP_1)
	v_fma_mix_f32 v4, v43, v6, v4 op_sel_hi:[0,1,0]
	s_waitcnt lgkmcnt(0)
	v_fma_mix_f32 v4, v7, v14, v4 op_sel_hi:[0,1,0]
	s_delay_alu instid0(VALU_DEP_1) | instskip(NEXT) | instid1(VALU_DEP_1)
	v_fma_mix_f32 v4, v8, v15, v4 op_sel_hi:[0,1,0]
	v_fma_mix_f32 v4, v9, v16, v4 op_sel_hi:[0,1,0]
	s_delay_alu instid0(VALU_DEP_1) | instskip(NEXT) | instid1(VALU_DEP_1)
	v_fma_mix_f32 v4, v10, v17, v4 op_sel_hi:[0,1,0]
	;; [unrolled: 3-line block ×3, first 2 shown]
	v_fma_mix_f32 v4, v38, v13, v4 op_sel_hi:[0,1,0]
	s_delay_alu instid0(VALU_DEP_1)
	v_fma_mix_f32 v4, v39, v19, v4 op_sel_hi:[0,1,0]
	s_cbranch_vccz .LBB227_13
; %bb.12:
	ds_load_b128 v[5:8], v2 offset:64
	ds_load_b128 v[9:12], v2 offset:80
	s_waitcnt lgkmcnt(1)
	v_fmac_f32_e32 v4, v5, v35
	s_delay_alu instid0(VALU_DEP_1) | instskip(NEXT) | instid1(VALU_DEP_1)
	v_fmac_f32_e32 v4, v6, v34
	v_fmac_f32_e32 v4, v7, v33
	s_delay_alu instid0(VALU_DEP_1) | instskip(SKIP_3) | instid1(VALU_DEP_1)
	v_fmac_f32_e32 v4, v8, v32
	ds_load_b128 v[5:8], v2 offset:96
	s_waitcnt lgkmcnt(1)
	v_fmac_f32_e32 v4, v9, v31
	v_fmac_f32_e32 v4, v10, v30
	s_delay_alu instid0(VALU_DEP_1) | instskip(NEXT) | instid1(VALU_DEP_1)
	v_fmac_f32_e32 v4, v11, v29
	v_fmac_f32_e32 v4, v12, v28
	ds_load_b128 v[9:12], v2 offset:112
	s_waitcnt lgkmcnt(1)
	v_fmac_f32_e32 v4, v5, v27
	s_delay_alu instid0(VALU_DEP_1) | instskip(NEXT) | instid1(VALU_DEP_1)
	v_fmac_f32_e32 v4, v6, v26
	v_fmac_f32_e32 v4, v7, v25
	s_delay_alu instid0(VALU_DEP_1) | instskip(SKIP_1) | instid1(VALU_DEP_1)
	v_fmac_f32_e32 v4, v8, v24
	s_waitcnt lgkmcnt(0)
	v_fmac_f32_e32 v4, v9, v23
	s_delay_alu instid0(VALU_DEP_1) | instskip(NEXT) | instid1(VALU_DEP_1)
	v_fmac_f32_e32 v4, v10, v22
	v_fmac_f32_e32 v4, v11, v21
	s_delay_alu instid0(VALU_DEP_1)
	v_fmac_f32_e32 v4, v12, v20
.LBB227_13:
	s_movk_i32 s43, 0x1f80
	s_movk_i32 s44, 0x80
	s_mov_b32 s45, 32
	s_branch .LBB227_15
.LBB227_14:                             ;   in Loop: Header=BB227_15 Depth=1
	s_addk_i32 s43, 0x1000
	s_addk_i32 s44, 0x80
	s_add_i32 s45, s45, 32
	s_cmpk_eq_u32 s43, 0xef80
	s_cbranch_scc1 .LBB227_17
.LBB227_15:                             ; =>This Inner Loop Header: Depth=1
	s_cmp_le_i32 s40, s45
	s_cbranch_scc1 .LBB227_14
; %bb.16:                               ;   in Loop: Header=BB227_15 Depth=1
	s_add_i32 s4, s43, 0xfffff080
	v_mov_b32_e32 v44, s44
	s_cmp_lt_i32 s4, s41
	s_cselect_b32 s4, s4, s42
	s_add_i32 s6, s43, 0xfffff100
	s_ashr_i32 s5, s4, 31
	s_delay_alu instid0(SALU_CYCLE_1)
	s_lshl_b64 s[4:5], s[4:5], 1
	s_cmp_lt_i32 s6, s41
	v_add_co_u32 v5, vcc_lo, v1, s4
	s_cselect_b32 s6, s6, s42
	s_add_i32 s10, s43, 0xfffff180
	s_ashr_i32 s7, s6, 31
	v_add_co_ci_u32_e32 v6, vcc_lo, s5, v3, vcc_lo
	s_lshl_b64 s[8:9], s[6:7], 1
	s_cmp_lt_i32 s10, s41
	v_add_co_u32 v7, vcc_lo, v1, s8
	s_cselect_b32 s6, s10, s42
	s_add_i32 s10, s43, 0xfffff200
	s_ashr_i32 s7, s6, 31
	v_add_co_ci_u32_e32 v8, vcc_lo, s9, v3, vcc_lo
	;; [unrolled: 7-line block ×8, first 2 shown]
	s_lshl_b64 s[24:25], s[20:21], 1
	s_cmp_lt_i32 s28, s41
	s_clause 0x7
	global_load_u16 v2, v[5:6], off
	global_load_u16 v21, v[7:8], off
	;; [unrolled: 1-line block ×8, first 2 shown]
	s_cselect_b32 s20, s28, s42
	s_add_i32 s28, s43, 0xfffff580
	s_ashr_i32 s21, s20, 31
	v_add_co_u32 v5, vcc_lo, v1, s24
	s_lshl_b64 s[20:21], s[20:21], 1
	s_cmp_lt_i32 s28, s41
	v_add_co_ci_u32_e32 v6, vcc_lo, s25, v3, vcc_lo
	s_cselect_b32 s28, s28, s42
	s_add_i32 s36, s43, 0xfffff600
	s_ashr_i32 s29, s28, 31
	v_add_co_u32 v7, vcc_lo, v1, s20
	s_lshl_b64 s[30:31], s[28:29], 1
	s_cmp_lt_i32 s36, s41
	v_add_co_ci_u32_e32 v8, vcc_lo, s21, v3, vcc_lo
	;; [unrolled: 7-line block ×8, first 2 shown]
	s_cselect_b32 s10, s10, s42
	s_add_i32 s18, s43, 0xfffff980
	s_ashr_i32 s11, s10, 31
	s_clause 0x7
	global_load_u16 v28, v[5:6], off
	global_load_u16 v29, v[7:8], off
	;; [unrolled: 1-line block ×8, first 2 shown]
	s_lshl_b64 s[10:11], s[10:11], 1
	s_cmp_lt_i32 s18, s41
	v_add_co_u32 v5, vcc_lo, v1, s4
	s_cselect_b32 s18, s18, s42
	s_add_i32 s22, s43, 0xfffffa00
	s_ashr_i32 s19, s18, 31
	v_add_co_ci_u32_e32 v6, vcc_lo, s5, v3, vcc_lo
	s_lshl_b64 s[18:19], s[18:19], 1
	s_cmp_lt_i32 s22, s41
	v_add_co_u32 v7, vcc_lo, v1, s10
	s_cselect_b32 s20, s22, s42
	s_add_i32 s22, s43, 0xfffffa80
	s_ashr_i32 s21, s20, 31
	v_add_co_ci_u32_e32 v8, vcc_lo, s11, v3, vcc_lo
	;; [unrolled: 7-line block ×5, first 2 shown]
	s_lshl_b64 s[6:7], s[6:7], 1
	s_cmp_lt_i32 s24, s41
	s_clause 0x4
	global_load_u16 v19, v[5:6], off
	global_load_u16 v20, v[7:8], off
	;; [unrolled: 1-line block ×5, first 2 shown]
	s_cselect_b32 s4, s24, s42
	s_add_i32 s10, s43, 0xfffffc80
	s_ashr_i32 s5, s4, 31
	v_add_co_u32 v5, vcc_lo, v1, s8
	s_lshl_b64 s[4:5], s[4:5], 1
	s_cmp_lt_i32 s10, s41
	v_add_co_ci_u32_e32 v6, vcc_lo, s9, v3, vcc_lo
	s_cselect_b32 s10, s10, s42
	s_add_i32 s18, s43, 0xfffffd00
	s_ashr_i32 s11, s10, 31
	v_add_co_u32 v7, vcc_lo, v1, s6
	s_lshl_b64 s[10:11], s[10:11], 1
	s_cmp_lt_i32 s18, s41
	v_add_co_ci_u32_e32 v8, vcc_lo, s7, v3, vcc_lo
	s_cselect_b32 s18, s18, s42
	s_add_i32 s20, s43, 0xfffffd80
	s_ashr_i32 s19, s18, 31
	v_add_co_u32 v9, vcc_lo, v1, s4
	s_lshl_b64 s[18:19], s[18:19], 1
	s_cmp_lt_i32 s20, s41
	global_load_u16 v37, v[5:6], off
	s_cselect_b32 s8, s20, s42
	s_add_i32 s20, s43, 0xfffffe00
	s_ashr_i32 s9, s8, 31
	v_add_co_ci_u32_e32 v10, vcc_lo, s5, v3, vcc_lo
	s_lshl_b64 s[6:7], s[8:9], 1
	s_cmp_lt_i32 s20, s41
	v_add_co_u32 v11, vcc_lo, v1, s10
	s_cselect_b32 s4, s20, s42
	s_clause 0x1
	global_load_u16 v38, v[7:8], off
	global_load_u16 v39, v[9:10], off
	v_add_co_ci_u32_e32 v12, vcc_lo, s11, v3, vcc_lo
	s_ashr_i32 s5, s4, 31
	s_add_i32 s8, s43, 0xfffffe80
	v_add_co_u32 v13, vcc_lo, v1, s18
	s_lshl_b64 s[4:5], s[4:5], 1
	s_cmp_lt_i32 s8, s41
	v_add_co_ci_u32_e32 v14, vcc_lo, s19, v3, vcc_lo
	v_add_co_u32 v15, vcc_lo, v1, s6
	s_cselect_b32 s8, s8, s42
	v_add_co_ci_u32_e32 v16, vcc_lo, s7, v3, vcc_lo
	s_ashr_i32 s9, s8, 31
	s_add_i32 s10, s43, 0xffffff00
	s_lshl_b64 s[6:7], s[8:9], 1
	s_clause 0x2
	global_load_u16 v40, v[11:12], off
	global_load_u16 v13, v[13:14], off
	;; [unrolled: 1-line block ×3, first 2 shown]
	s_cmp_lt_i32 s10, s41
	v_add_co_u32 v5, vcc_lo, v1, s4
	s_cselect_b32 s8, s10, s42
	s_add_i32 s10, s43, 0xffffff80
	s_ashr_i32 s9, s8, 31
	v_add_co_ci_u32_e32 v6, vcc_lo, s5, v3, vcc_lo
	s_lshl_b64 s[8:9], s[8:9], 1
	s_cmp_lt_i32 s10, s41
	v_add_co_u32 v7, vcc_lo, v1, s6
	s_cselect_b32 s4, s10, s42
	v_add_co_ci_u32_e32 v8, vcc_lo, s7, v3, vcc_lo
	s_ashr_i32 s5, s4, 31
	v_add_co_u32 v9, vcc_lo, v1, s8
	global_load_u16 v15, v[5:6], off
	s_lshl_b64 s[4:5], s[4:5], 1
	v_add_co_ci_u32_e32 v10, vcc_lo, s9, v3, vcc_lo
	s_cmp_lt_i32 s43, s41
	s_clause 0x1
	global_load_u16 v16, v[7:8], off
	global_load_u16 v41, v[9:10], off
	s_cselect_b32 s6, s43, s42
	v_add_co_u32 v5, vcc_lo, v1, s4
	s_ashr_i32 s7, s6, 31
	v_add_co_ci_u32_e32 v6, vcc_lo, s5, v3, vcc_lo
	s_lshl_b64 s[4:5], s[6:7], 1
	s_delay_alu instid0(SALU_CYCLE_1)
	v_add_co_u32 v7, vcc_lo, v1, s4
	v_add_co_ci_u32_e32 v8, vcc_lo, s5, v3, vcc_lo
	s_clause 0x1
	global_load_u16 v42, v[5:6], off
	global_load_u16 v43, v[7:8], off
	ds_load_b128 v[5:8], v44
	ds_load_b128 v[9:12], v44 offset:16
	s_waitcnt vmcnt(31) lgkmcnt(1)
	v_fma_mix_f32 v2, v5, v2, v4 op_sel_hi:[0,1,0]
	s_waitcnt vmcnt(30)
	s_delay_alu instid0(VALU_DEP_1) | instskip(SKIP_1) | instid1(VALU_DEP_1)
	v_fma_mix_f32 v2, v6, v21, v2 op_sel_hi:[0,1,0]
	s_waitcnt vmcnt(29)
	v_fma_mix_f32 v2, v7, v22, v2 op_sel_hi:[0,1,0]
	ds_load_b128 v[4:7], v44 offset:32
	s_waitcnt vmcnt(28)
	v_fma_mix_f32 v2, v8, v23, v2 op_sel_hi:[0,1,0]
	s_waitcnt vmcnt(27) lgkmcnt(1)
	s_delay_alu instid0(VALU_DEP_1) | instskip(SKIP_1) | instid1(VALU_DEP_1)
	v_fma_mix_f32 v2, v9, v24, v2 op_sel_hi:[0,1,0]
	s_waitcnt vmcnt(26)
	v_fma_mix_f32 v2, v10, v25, v2 op_sel_hi:[0,1,0]
	s_waitcnt vmcnt(25)
	s_delay_alu instid0(VALU_DEP_1) | instskip(SKIP_4) | instid1(VALU_DEP_1)
	v_fma_mix_f32 v2, v11, v26, v2 op_sel_hi:[0,1,0]
	ds_load_b128 v[8:11], v44 offset:48
	s_waitcnt vmcnt(24)
	v_fma_mix_f32 v2, v12, v27, v2 op_sel_hi:[0,1,0]
	s_waitcnt vmcnt(23) lgkmcnt(1)
	v_fma_mix_f32 v2, v4, v28, v2 op_sel_hi:[0,1,0]
	s_waitcnt vmcnt(22)
	s_delay_alu instid0(VALU_DEP_1) | instskip(SKIP_1) | instid1(VALU_DEP_1)
	v_fma_mix_f32 v2, v5, v29, v2 op_sel_hi:[0,1,0]
	s_waitcnt vmcnt(21)
	v_fma_mix_f32 v2, v6, v30, v2 op_sel_hi:[0,1,0]
	s_waitcnt vmcnt(20)
	s_delay_alu instid0(VALU_DEP_1) | instskip(SKIP_4) | instid1(VALU_DEP_1)
	v_fma_mix_f32 v2, v7, v31, v2 op_sel_hi:[0,1,0]
	ds_load_b128 v[4:7], v44 offset:64
	s_waitcnt vmcnt(19) lgkmcnt(1)
	v_fma_mix_f32 v2, v8, v32, v2 op_sel_hi:[0,1,0]
	s_waitcnt vmcnt(18)
	v_fma_mix_f32 v2, v9, v33, v2 op_sel_hi:[0,1,0]
	s_waitcnt vmcnt(17)
	s_delay_alu instid0(VALU_DEP_1) | instskip(SKIP_1) | instid1(VALU_DEP_1)
	v_fma_mix_f32 v2, v10, v17, v2 op_sel_hi:[0,1,0]
	s_waitcnt vmcnt(16)
	v_fma_mix_f32 v2, v11, v18, v2 op_sel_hi:[0,1,0]
	ds_load_b128 v[8:11], v44 offset:80
	s_waitcnt vmcnt(15) lgkmcnt(1)
	v_fma_mix_f32 v2, v4, v19, v2 op_sel_hi:[0,1,0]
	s_waitcnt vmcnt(14)
	s_delay_alu instid0(VALU_DEP_1) | instskip(SKIP_1) | instid1(VALU_DEP_1)
	v_fma_mix_f32 v2, v5, v20, v2 op_sel_hi:[0,1,0]
	s_waitcnt vmcnt(13)
	v_fma_mix_f32 v2, v6, v34, v2 op_sel_hi:[0,1,0]
	s_waitcnt vmcnt(12)
	s_delay_alu instid0(VALU_DEP_1) | instskip(SKIP_4) | instid1(VALU_DEP_1)
	v_fma_mix_f32 v2, v7, v35, v2 op_sel_hi:[0,1,0]
	ds_load_b128 v[4:7], v44 offset:96
	s_waitcnt vmcnt(11) lgkmcnt(1)
	v_fma_mix_f32 v2, v8, v36, v2 op_sel_hi:[0,1,0]
	s_waitcnt vmcnt(10)
	v_fma_mix_f32 v2, v9, v37, v2 op_sel_hi:[0,1,0]
	s_waitcnt vmcnt(9)
	s_delay_alu instid0(VALU_DEP_1) | instskip(SKIP_1) | instid1(VALU_DEP_1)
	v_fma_mix_f32 v2, v10, v38, v2 op_sel_hi:[0,1,0]
	s_waitcnt vmcnt(8)
	v_fma_mix_f32 v2, v11, v39, v2 op_sel_hi:[0,1,0]
	ds_load_b128 v[8:11], v44 offset:112
	s_waitcnt vmcnt(7) lgkmcnt(1)
	v_fma_mix_f32 v2, v4, v40, v2 op_sel_hi:[0,1,0]
	s_waitcnt vmcnt(6)
	s_delay_alu instid0(VALU_DEP_1) | instskip(SKIP_1) | instid1(VALU_DEP_1)
	v_fma_mix_f32 v2, v5, v13, v2 op_sel_hi:[0,1,0]
	s_waitcnt vmcnt(5)
	v_fma_mix_f32 v2, v6, v14, v2 op_sel_hi:[0,1,0]
	s_waitcnt vmcnt(4)
	s_delay_alu instid0(VALU_DEP_1) | instskip(SKIP_1) | instid1(VALU_DEP_1)
	v_fma_mix_f32 v2, v7, v15, v2 op_sel_hi:[0,1,0]
	s_waitcnt vmcnt(3) lgkmcnt(0)
	v_fma_mix_f32 v2, v8, v16, v2 op_sel_hi:[0,1,0]
	s_waitcnt vmcnt(2)
	s_delay_alu instid0(VALU_DEP_1) | instskip(SKIP_1) | instid1(VALU_DEP_1)
	v_fma_mix_f32 v2, v9, v41, v2 op_sel_hi:[0,1,0]
	s_waitcnt vmcnt(1)
	v_fma_mix_f32 v2, v10, v42, v2 op_sel_hi:[0,1,0]
	s_waitcnt vmcnt(0)
	s_delay_alu instid0(VALU_DEP_1)
	v_fma_mix_f32 v4, v11, v43, v2 op_sel_hi:[0,1,0]
	s_branch .LBB227_14
.LBB227_17:
	v_mov_b32_e32 v1, 0
	s_and_b32 vcc_lo, exec_lo, s15
	ds_load_b32 v1, v1 offset:1792
	s_cbranch_vccz .LBB227_19
; %bb.18:
	s_add_u32 s2, s12, s16
	s_addc_u32 s3, s13, s17
	s_load_b32 s2, s[2:3], 0x0
	s_mov_b32 s3, 0
.LBB227_19:
	s_waitcnt lgkmcnt(0)
	v_add_f32_e32 v1, 0x358637bd, v1
	s_mul_i32 s3, s33, s3
	s_mul_hi_u32 s4, s33, s2
	s_mul_i32 s2, s33, s2
	s_add_i32 s3, s4, s3
	v_div_scale_f32 v2, null, v1, v1, 1.0
	v_div_scale_f32 v6, vcc_lo, 1.0, v1, 1.0
	s_lshl_b64 s[2:3], s[2:3], 7
	s_delay_alu instid0(VALU_DEP_2) | instskip(SKIP_4) | instid1(SALU_CYCLE_1)
	v_rcp_f32_e32 v3, v2
	s_mov_b32 s15, 0
	s_add_u32 s2, s0, s2
	s_addc_u32 s3, s1, s3
	s_lshl_b64 s[0:1], s[14:15], 7
	s_add_u32 s0, s2, s0
	s_addc_u32 s1, s3, s1
	v_add_co_u32 v0, s0, s0, v0
	s_waitcnt_depctr 0xfff
	v_fma_f32 v5, -v2, v3, 1.0
	s_delay_alu instid0(VALU_DEP_1) | instskip(NEXT) | instid1(VALU_DEP_1)
	v_fmac_f32_e32 v3, v5, v3
	v_mul_f32_e32 v5, v6, v3
	s_delay_alu instid0(VALU_DEP_1) | instskip(NEXT) | instid1(VALU_DEP_1)
	v_fma_f32 v7, -v2, v5, v6
	v_fmac_f32_e32 v5, v7, v3
	s_delay_alu instid0(VALU_DEP_1) | instskip(NEXT) | instid1(VALU_DEP_1)
	v_fma_f32 v2, -v2, v5, v6
	v_div_fmas_f32 v2, v2, v3, v5
	s_delay_alu instid0(VALU_DEP_1) | instskip(NEXT) | instid1(VALU_DEP_1)
	v_div_fixup_f32 v1, v2, v1, 1.0
	v_fma_mixlo_f16 v1, v4, v1, 0
	s_delay_alu instid0(VALU_DEP_1)
	v_cvt_i16_f16_e32 v2, v1
	v_add_co_ci_u32_e64 v1, null, s1, 0, s0
	global_store_b8 v[0:1], v2, off
	s_nop 0
	s_sendmsg sendmsg(MSG_DEALLOC_VGPRS)
	s_endpgm
.LBB227_20:
	s_mov_b32 s4, 0
	s_branch .LBB227_2
	.section	.rodata,"a",@progbits
	.p2align	6, 0x0
	.amdhsa_kernel _Z35paged_attention_ll4mi_reduce_kernelIDF16_hLi128ELi128ELi256ELi14EEvPT0_PKfS3_PKT_PKiS8_iS3_
		.amdhsa_group_segment_fixed_size 1796
		.amdhsa_private_segment_fixed_size 0
		.amdhsa_kernarg_size 320
		.amdhsa_user_sgpr_count 14
		.amdhsa_user_sgpr_dispatch_ptr 0
		.amdhsa_user_sgpr_queue_ptr 0
		.amdhsa_user_sgpr_kernarg_segment_ptr 1
		.amdhsa_user_sgpr_dispatch_id 0
		.amdhsa_user_sgpr_private_segment_size 0
		.amdhsa_wavefront_size32 1
		.amdhsa_uses_dynamic_stack 0
		.amdhsa_enable_private_segment 0
		.amdhsa_system_sgpr_workgroup_id_x 1
		.amdhsa_system_sgpr_workgroup_id_y 1
		.amdhsa_system_sgpr_workgroup_id_z 0
		.amdhsa_system_sgpr_workgroup_info 0
		.amdhsa_system_vgpr_workitem_id 0
		.amdhsa_next_free_vgpr 77
		.amdhsa_next_free_sgpr 47
		.amdhsa_reserve_vcc 1
		.amdhsa_float_round_mode_32 0
		.amdhsa_float_round_mode_16_64 0
		.amdhsa_float_denorm_mode_32 3
		.amdhsa_float_denorm_mode_16_64 3
		.amdhsa_dx10_clamp 1
		.amdhsa_ieee_mode 1
		.amdhsa_fp16_overflow 0
		.amdhsa_workgroup_processor_mode 1
		.amdhsa_memory_ordered 1
		.amdhsa_forward_progress 0
		.amdhsa_shared_vgpr_count 0
		.amdhsa_exception_fp_ieee_invalid_op 0
		.amdhsa_exception_fp_denorm_src 0
		.amdhsa_exception_fp_ieee_div_zero 0
		.amdhsa_exception_fp_ieee_overflow 0
		.amdhsa_exception_fp_ieee_underflow 0
		.amdhsa_exception_fp_ieee_inexact 0
		.amdhsa_exception_int_div_zero 0
	.end_amdhsa_kernel
	.section	.text._Z35paged_attention_ll4mi_reduce_kernelIDF16_hLi128ELi128ELi256ELi14EEvPT0_PKfS3_PKT_PKiS8_iS3_,"axG",@progbits,_Z35paged_attention_ll4mi_reduce_kernelIDF16_hLi128ELi128ELi256ELi14EEvPT0_PKfS3_PKT_PKiS8_iS3_,comdat
.Lfunc_end227:
	.size	_Z35paged_attention_ll4mi_reduce_kernelIDF16_hLi128ELi128ELi256ELi14EEvPT0_PKfS3_PKT_PKiS8_iS3_, .Lfunc_end227-_Z35paged_attention_ll4mi_reduce_kernelIDF16_hLi128ELi128ELi256ELi14EEvPT0_PKfS3_PKT_PKiS8_iS3_
                                        ; -- End function
	.section	.AMDGPU.csdata,"",@progbits
; Kernel info:
; codeLenInByte = 7772
; NumSgprs: 49
; NumVgprs: 77
; ScratchSize: 0
; MemoryBound: 0
; FloatMode: 240
; IeeeMode: 1
; LDSByteSize: 1796 bytes/workgroup (compile time only)
; SGPRBlocks: 6
; VGPRBlocks: 9
; NumSGPRsForWavesPerEU: 49
; NumVGPRsForWavesPerEU: 77
; Occupancy: 16
; WaveLimiterHint : 0
; COMPUTE_PGM_RSRC2:SCRATCH_EN: 0
; COMPUTE_PGM_RSRC2:USER_SGPR: 14
; COMPUTE_PGM_RSRC2:TRAP_HANDLER: 0
; COMPUTE_PGM_RSRC2:TGID_X_EN: 1
; COMPUTE_PGM_RSRC2:TGID_Y_EN: 1
; COMPUTE_PGM_RSRC2:TGID_Z_EN: 0
; COMPUTE_PGM_RSRC2:TIDIG_COMP_CNT: 0
	.section	.text._Z35paged_attention_ll4mi_reduce_kernelIDF16_hLi128ELi128ELi256ELi15EEvPT0_PKfS3_PKT_PKiS8_iS3_,"axG",@progbits,_Z35paged_attention_ll4mi_reduce_kernelIDF16_hLi128ELi128ELi256ELi15EEvPT0_PKfS3_PKT_PKiS8_iS3_,comdat
	.protected	_Z35paged_attention_ll4mi_reduce_kernelIDF16_hLi128ELi128ELi256ELi15EEvPT0_PKfS3_PKT_PKiS8_iS3_ ; -- Begin function _Z35paged_attention_ll4mi_reduce_kernelIDF16_hLi128ELi128ELi256ELi15EEvPT0_PKfS3_PKT_PKiS8_iS3_
	.globl	_Z35paged_attention_ll4mi_reduce_kernelIDF16_hLi128ELi128ELi256ELi15EEvPT0_PKfS3_PKT_PKiS8_iS3_
	.p2align	8
	.type	_Z35paged_attention_ll4mi_reduce_kernelIDF16_hLi128ELi128ELi256ELi15EEvPT0_PKfS3_PKT_PKiS8_iS3_,@function
_Z35paged_attention_ll4mi_reduce_kernelIDF16_hLi128ELi128ELi256ELi15EEvPT0_PKfS3_PKT_PKiS8_iS3_: ; @_Z35paged_attention_ll4mi_reduce_kernelIDF16_hLi128ELi128ELi256ELi15EEvPT0_PKfS3_PKT_PKiS8_iS3_
; %bb.0:
	s_load_b64 s[12:13], s[0:1], 0x28
	s_mov_b32 s2, s15
	s_waitcnt lgkmcnt(0)
	s_cmp_lg_u64 s[12:13], 0
	s_cselect_b32 s15, -1, 0
	s_delay_alu instid0(SALU_CYCLE_1)
	s_and_b32 vcc_lo, exec_lo, s15
	s_cbranch_vccz .LBB228_20
; %bb.1:
	s_add_i32 s4, s2, 1
	s_mov_b32 s5, 0
	s_delay_alu instid0(SALU_CYCLE_1) | instskip(SKIP_4) | instid1(SALU_CYCLE_1)
	s_lshl_b64 s[6:7], s[4:5], 2
	s_mov_b32 s3, s5
	s_add_u32 s6, s12, s6
	s_addc_u32 s7, s13, s7
	s_lshl_b64 s[8:9], s[2:3], 2
	s_add_u32 s8, s12, s8
	s_addc_u32 s9, s13, s9
	s_clause 0x1
	s_load_b32 s4, s[6:7], 0x0
	s_load_b32 s6, s[8:9], 0x0
	s_waitcnt lgkmcnt(0)
	s_sub_i32 s4, s4, s6
	s_delay_alu instid0(SALU_CYCLE_1)
	s_cmp_eq_u32 s4, 1
	s_cselect_b32 s4, -1, 0
	s_cbranch_execnz .LBB228_3
.LBB228_2:
	s_mov_b32 s3, 0
	s_mov_b32 s4, -1
.LBB228_3:
	s_delay_alu instid0(SALU_CYCLE_1)
	s_and_not1_b32 vcc_lo, exec_lo, s4
	s_cbranch_vccz .LBB228_5
; %bb.4:
	s_endpgm
.LBB228_5:
	s_clause 0x1
	s_load_b128 s[4:7], s[0:1], 0x18
	s_load_b32 s9, s[0:1], 0x30
	s_lshl_b64 s[16:17], s[2:3], 2
	s_waitcnt lgkmcnt(0)
	s_add_u32 s6, s6, s16
	s_addc_u32 s7, s7, s17
	s_load_b32 s23, s[6:7], 0x0
	s_load_b32 s33, s[0:1], 0x40
	s_mul_i32 s7, s2, s9
	s_waitcnt lgkmcnt(0)
	s_add_i32 s22, s23, 0xff
	s_delay_alu instid0(SALU_CYCLE_1) | instskip(NEXT) | instid1(SALU_CYCLE_1)
	s_ashr_i32 s6, s22, 31
	s_lshr_b32 s6, s6, 24
	s_delay_alu instid0(SALU_CYCLE_1) | instskip(SKIP_4) | instid1(SALU_CYCLE_1)
	s_add_i32 s8, s22, s6
	s_mul_i32 s6, s14, s9
	s_mov_b32 s9, exec_lo
	v_cmpx_lt_u32_e32 31, v0
	s_xor_b32 s9, exec_lo, s9
	s_or_saveexec_b32 s24, s9
	v_mov_b32_e32 v1, s6
	s_ashr_i32 s40, s8, 8
	s_mul_i32 s18, s7, s33
	s_xor_b32 exec_lo, exec_lo, s24
	s_cbranch_execz .LBB228_9
; %bb.6:
	v_or_b32_e32 v2, 32, v0
	v_cmp_gt_i32_e32 vcc_lo, s40, v0
	s_add_i32 s20, s40, -1
	v_or_b32_e32 v4, 64, v0
	v_or_b32_e32 v6, 0xa0, v0
	s_load_b128 s[8:11], s[0:1], 0x8
	v_cndmask_b32_e32 v1, s20, v0, vcc_lo
	v_cmp_gt_i32_e32 vcc_lo, s40, v2
	s_mov_b32 s19, 0
	s_delay_alu instid0(SALU_CYCLE_1)
	s_mov_b32 s7, s19
	v_cndmask_b32_e32 v3, s20, v2, vcc_lo
	v_or_b32_e32 v2, 0x60, v0
	v_cmp_gt_i32_e32 vcc_lo, s40, v4
	v_cndmask_b32_e32 v5, s20, v4, vcc_lo
	v_or_b32_e32 v4, 0x80, v0
	s_delay_alu instid0(VALU_DEP_4) | instskip(SKIP_1) | instid1(VALU_DEP_3)
	v_cmp_gt_i32_e32 vcc_lo, s40, v2
	v_cndmask_b32_e32 v7, s20, v2, vcc_lo
	v_cmp_gt_i32_e32 vcc_lo, s40, v4
	v_or_b32_e32 v2, 0xc0, v0
	s_delay_alu instid0(VALU_DEP_3) | instskip(SKIP_3) | instid1(VALU_DEP_3)
	v_ashrrev_i32_e32 v8, 31, v7
	v_cndmask_b32_e32 v9, s20, v4, vcc_lo
	v_cmp_gt_i32_e32 vcc_lo, s40, v6
	v_or_b32_e32 v4, 0xe0, v0
	v_ashrrev_i32_e32 v10, 31, v9
	v_cndmask_b32_e32 v11, s20, v6, vcc_lo
	v_cmp_gt_i32_e32 vcc_lo, s40, v2
	v_or_b32_e32 v6, 0x120, v0
	s_delay_alu instid0(VALU_DEP_3) | instskip(SKIP_3) | instid1(VALU_DEP_3)
	v_ashrrev_i32_e32 v12, 31, v11
	v_cndmask_b32_e32 v13, s20, v2, vcc_lo
	v_or_b32_e32 v2, 0x100, v0
	v_cmp_gt_i32_e32 vcc_lo, s40, v4
	v_ashrrev_i32_e32 v14, 31, v13
	v_cndmask_b32_e32 v15, s20, v4, vcc_lo
	s_delay_alu instid0(VALU_DEP_4) | instskip(SKIP_1) | instid1(VALU_DEP_3)
	v_cmp_gt_i32_e32 vcc_lo, s40, v2
	v_or_b32_e32 v4, 0x140, v0
	v_ashrrev_i32_e32 v16, 31, v15
	v_cndmask_b32_e32 v17, s20, v2, vcc_lo
	v_cmp_gt_i32_e32 vcc_lo, s40, v6
	v_or_b32_e32 v2, 0x160, v0
	s_delay_alu instid0(VALU_DEP_3) | instskip(SKIP_3) | instid1(VALU_DEP_3)
	v_ashrrev_i32_e32 v18, 31, v17
	v_cndmask_b32_e32 v19, s20, v6, vcc_lo
	v_cmp_gt_i32_e32 vcc_lo, s40, v4
	v_or_b32_e32 v6, 0x1a0, v0
	v_ashrrev_i32_e32 v20, 31, v19
	v_cndmask_b32_e32 v21, s20, v4, vcc_lo
	v_or_b32_e32 v4, 0x180, v0
	v_cmp_gt_i32_e32 vcc_lo, s40, v2
	s_delay_alu instid0(VALU_DEP_3) | instskip(SKIP_1) | instid1(VALU_DEP_4)
	v_ashrrev_i32_e32 v22, 31, v21
	v_cndmask_b32_e32 v23, s20, v2, vcc_lo
	v_cmp_gt_i32_e32 vcc_lo, s40, v4
	v_or_b32_e32 v2, 0x1c0, v0
	s_delay_alu instid0(VALU_DEP_3) | instskip(SKIP_3) | instid1(VALU_DEP_3)
	v_ashrrev_i32_e32 v24, 31, v23
	v_cndmask_b32_e32 v25, s20, v4, vcc_lo
	v_cmp_gt_i32_e32 vcc_lo, s40, v6
	v_ashrrev_i32_e32 v4, 31, v3
	v_ashrrev_i32_e32 v26, 31, v25
	v_cndmask_b32_e32 v27, s20, v6, vcc_lo
	v_cmp_gt_i32_e32 vcc_lo, s40, v2
	v_ashrrev_i32_e32 v6, 31, v5
	v_lshlrev_b64 v[33:34], 2, v[3:4]
	s_delay_alu instid0(VALU_DEP_4)
	v_ashrrev_i32_e32 v28, 31, v27
	v_cndmask_b32_e32 v29, s20, v2, vcc_lo
	v_ashrrev_i32_e32 v2, 31, v1
	s_lshl_b64 s[20:21], s[18:19], 2
	v_lshlrev_b64 v[4:5], 2, v[5:6]
	s_waitcnt lgkmcnt(0)
	s_add_u32 s19, s10, s20
	s_addc_u32 s25, s11, s21
	v_lshlrev_b64 v[31:32], 2, v[1:2]
	s_lshl_b64 s[10:11], s[6:7], 2
	v_lshlrev_b64 v[6:7], 2, v[7:8]
	s_add_u32 s7, s19, s10
	s_addc_u32 s19, s25, s11
	v_lshlrev_b64 v[8:9], 2, v[9:10]
	v_add_co_u32 v1, vcc_lo, s7, v31
	v_add_co_ci_u32_e32 v2, vcc_lo, s19, v32, vcc_lo
	v_add_co_u32 v35, vcc_lo, s7, v33
	v_add_co_ci_u32_e32 v36, vcc_lo, s19, v34, vcc_lo
	;; [unrolled: 2-line block ×3, first 2 shown]
	v_add_co_u32 v39, vcc_lo, s7, v6
	v_lshlrev_b64 v[10:11], 2, v[11:12]
	v_add_co_ci_u32_e32 v40, vcc_lo, s19, v7, vcc_lo
	v_add_co_u32 v41, vcc_lo, s7, v8
	v_lshlrev_b64 v[12:13], 2, v[13:14]
	v_add_co_ci_u32_e32 v42, vcc_lo, s19, v9, vcc_lo
	;; [unrolled: 3-line block ×5, first 2 shown]
	s_clause 0x7
	global_load_b32 v49, v[1:2], off
	global_load_b32 v50, v[35:36], off
	;; [unrolled: 1-line block ×8, first 2 shown]
	v_add_co_u32 v1, vcc_lo, s7, v16
	v_lshlrev_b64 v[20:21], 2, v[21:22]
	v_add_co_ci_u32_e32 v2, vcc_lo, s19, v17, vcc_lo
	v_add_co_u32 v35, vcc_lo, s7, v18
	v_add_co_ci_u32_e32 v36, vcc_lo, s19, v19, vcc_lo
	v_lshlrev_b64 v[22:23], 2, v[23:24]
	v_add_co_u32 v37, vcc_lo, s7, v20
	v_add_co_ci_u32_e32 v38, vcc_lo, s19, v21, vcc_lo
	v_lshlrev_b64 v[24:25], 2, v[25:26]
	v_ashrrev_i32_e32 v30, 31, v29
	s_clause 0x2
	global_load_b32 v45, v[1:2], off
	global_load_b32 v46, v[35:36], off
	;; [unrolled: 1-line block ×3, first 2 shown]
	v_add_co_u32 v1, vcc_lo, s7, v22
	v_lshlrev_b64 v[26:27], 2, v[27:28]
	v_add_co_ci_u32_e32 v2, vcc_lo, s19, v23, vcc_lo
	v_add_co_u32 v35, vcc_lo, s7, v24
	v_lshlrev_b64 v[28:29], 2, v[29:30]
	v_add_co_ci_u32_e32 v36, vcc_lo, s19, v25, vcc_lo
	v_add_co_u32 v37, vcc_lo, s7, v26
	v_add_co_ci_u32_e32 v38, vcc_lo, s19, v27, vcc_lo
	s_delay_alu instid0(VALU_DEP_4)
	v_add_co_u32 v39, vcc_lo, s7, v28
	v_add_co_ci_u32_e32 v40, vcc_lo, s19, v29, vcc_lo
	s_clause 0x3
	global_load_b32 v48, v[1:2], off
	global_load_b32 v35, v[35:36], off
	;; [unrolled: 1-line block ×4, first 2 shown]
	v_mbcnt_lo_u32_b32 v37, -1, 0
	s_add_u32 s7, s8, s20
	s_addc_u32 s8, s9, s21
	s_add_u32 s7, s7, s10
	s_addc_u32 s8, s8, s11
	v_xor_b32_e32 v1, 16, v37
	v_xor_b32_e32 v2, 8, v37
	s_delay_alu instid0(VALU_DEP_2) | instskip(SKIP_1) | instid1(VALU_DEP_3)
	v_cmp_gt_i32_e32 vcc_lo, 32, v1
	v_cndmask_b32_e32 v1, v37, v1, vcc_lo
	v_cmp_gt_i32_e32 vcc_lo, 32, v2
	v_cndmask_b32_e32 v38, v37, v2, vcc_lo
	s_delay_alu instid0(VALU_DEP_3) | instskip(NEXT) | instid1(VALU_DEP_2)
	v_lshlrev_b32_e32 v2, 2, v1
	v_lshlrev_b32_e32 v1, 2, v38
	s_waitcnt vmcnt(12)
	v_max3_f32 v30, v49, v50, v51
	s_waitcnt vmcnt(10)
	s_delay_alu instid0(VALU_DEP_1) | instskip(SKIP_1) | instid1(VALU_DEP_1)
	v_max3_f32 v30, v30, v52, v41
	s_waitcnt vmcnt(8)
	v_max3_f32 v30, v30, v42, v43
	s_waitcnt vmcnt(6)
	s_delay_alu instid0(VALU_DEP_1) | instskip(SKIP_3) | instid1(VALU_DEP_3)
	v_max3_f32 v38, v30, v44, v45
	v_add_co_u32 v30, vcc_lo, s7, v31
	v_add_co_ci_u32_e32 v31, vcc_lo, s8, v32, vcc_lo
	s_waitcnt vmcnt(4)
	v_max3_f32 v38, v38, v46, v47
	v_add_co_u32 v32, vcc_lo, s7, v33
	v_add_co_ci_u32_e32 v33, vcc_lo, s8, v34, vcc_lo
	v_add_co_u32 v4, vcc_lo, s7, v4
	v_add_co_ci_u32_e32 v5, vcc_lo, s8, v5, vcc_lo
	;; [unrolled: 2-line block ×3, first 2 shown]
	v_add_co_u32 v8, vcc_lo, s7, v8
	s_waitcnt vmcnt(2)
	v_max3_f32 v34, v38, v48, v35
	v_add_co_ci_u32_e32 v9, vcc_lo, s8, v9, vcc_lo
	v_add_co_u32 v10, vcc_lo, s7, v10
	s_waitcnt vmcnt(0)
	s_delay_alu instid0(VALU_DEP_3)
	v_max3_f32 v34, v34, v36, v3
	v_add_co_ci_u32_e32 v11, vcc_lo, s8, v11, vcc_lo
	v_add_co_u32 v12, vcc_lo, s7, v12
	ds_bpermute_b32 v38, v2, v34
	v_add_co_ci_u32_e32 v13, vcc_lo, s8, v13, vcc_lo
	v_add_co_u32 v14, vcc_lo, s7, v14
	v_add_co_ci_u32_e32 v15, vcc_lo, s8, v15, vcc_lo
	v_add_co_u32 v16, vcc_lo, s7, v16
	;; [unrolled: 2-line block ×4, first 2 shown]
	s_clause 0x9
	global_load_b32 v30, v[30:31], off
	global_load_b32 v31, v[32:33], off
	;; [unrolled: 1-line block ×10, first 2 shown]
	v_xor_b32_e32 v10, 4, v37
	v_add_co_ci_u32_e32 v21, vcc_lo, s8, v21, vcc_lo
	s_waitcnt lgkmcnt(0)
	v_max_f32_e32 v38, v38, v38
	v_add_co_u32 v8, vcc_lo, s7, v22
	v_add_co_ci_u32_e32 v9, vcc_lo, s8, v23, vcc_lo
	s_delay_alu instid0(VALU_DEP_3)
	v_max_f32_e32 v34, v34, v38
	v_cmp_gt_i32_e32 vcc_lo, 32, v10
	s_clause 0x1
	global_load_b32 v7, v[20:21], off
	global_load_b32 v8, v[8:9], off
	v_xor_b32_e32 v14, 2, v37
	ds_bpermute_b32 v38, v1, v34
	v_cndmask_b32_e32 v9, v37, v10, vcc_lo
	s_waitcnt lgkmcnt(0)
	s_delay_alu instid0(VALU_DEP_1) | instskip(NEXT) | instid1(VALU_DEP_1)
	v_dual_max_f32 v11, v38, v38 :: v_dual_lshlrev_b32 v10, 2, v9
	v_max_f32_e32 v13, v34, v11
	v_add_co_u32 v11, vcc_lo, s7, v24
	v_add_co_ci_u32_e32 v12, vcc_lo, s8, v25, vcc_lo
	ds_bpermute_b32 v9, v10, v13
	v_cmp_gt_i32_e32 vcc_lo, 32, v14
	s_waitcnt lgkmcnt(0)
	v_max_f32_e32 v15, v9, v9
	global_load_b32 v9, v[11:12], off
	v_max_f32_e32 v16, v13, v15
	v_cndmask_b32_e32 v14, v37, v14, vcc_lo
	v_add_co_u32 v12, vcc_lo, s7, v26
	v_add_co_ci_u32_e32 v13, vcc_lo, s8, v27, vcc_lo
	s_delay_alu instid0(VALU_DEP_3)
	v_lshlrev_b32_e32 v11, 2, v14
	v_add_co_u32 v14, vcc_lo, s7, v28
	v_add_co_ci_u32_e32 v15, vcc_lo, s8, v29, vcc_lo
	ds_bpermute_b32 v17, v11, v16
	global_load_b32 v13, v[12:13], off
	s_mov_b32 s7, exec_lo
	global_load_b32 v14, v[14:15], off
	v_xor_b32_e32 v12, 1, v37
	s_delay_alu instid0(VALU_DEP_1) | instskip(SKIP_2) | instid1(VALU_DEP_1)
	v_cmp_gt_i32_e32 vcc_lo, 32, v12
	v_cndmask_b32_e32 v12, v37, v12, vcc_lo
	s_waitcnt lgkmcnt(0)
	v_dual_max_f32 v15, v17, v17 :: v_dual_lshlrev_b32 v12, 2, v12
	s_delay_alu instid0(VALU_DEP_1) | instskip(SKIP_3) | instid1(VALU_DEP_1)
	v_max_f32_e32 v15, v16, v15
	ds_bpermute_b32 v16, v12, v15
	s_waitcnt lgkmcnt(0)
	v_max_f32_e32 v16, v16, v16
	v_max_f32_e32 v16, v15, v16
	v_sub_nc_u32_e32 v15, s40, v0
	s_delay_alu instid0(VALU_DEP_2)
	v_sub_f32_e32 v20, v52, v16
	v_sub_f32_e32 v26, v46, v16
	;; [unrolled: 1-line block ×5, first 2 shown]
	v_mul_f32_e32 v38, 0x3fb8aa3b, v20
	v_mul_f32_e32 v46, 0x3fb8aa3b, v26
	v_sub_f32_e32 v28, v48, v16
	v_mul_f32_e32 v44, 0x3fb8aa3b, v24
	v_sub_f32_e32 v22, v42, v16
	v_fma_f32 v57, 0x3fb8aa3b, v20, -v38
	v_rndne_f32_e32 v58, v38
	v_mul_f32_e32 v48, 0x3fb8aa3b, v28
	v_rndne_f32_e32 v66, v44
	v_mul_f32_e32 v42, 0x3fb8aa3b, v22
	s_delay_alu instid0(VALU_DEP_4)
	v_dual_fmac_f32 v57, 0x32a5705f, v20 :: v_dual_sub_f32 v38, v38, v58
	v_sub_f32_e32 v29, v35, v16
	v_mul_f32_e32 v35, 0x3fb8aa3b, v17
	v_fma_f32 v73, 0x3fb8aa3b, v28, -v48
	v_rndne_f32_e32 v74, v48
	v_sub_f32_e32 v27, v47, v16
	v_fma_f32 v61, 0x3fb8aa3b, v22, -v42
	v_fma_f32 v50, 0x3fb8aa3b, v17, -v35
	v_sub_f32_e32 v19, v51, v16
	v_dual_fmac_f32 v73, 0x32a5705f, v28 :: v_dual_sub_f32 v48, v48, v74
	v_rndne_f32_e32 v62, v42
	s_delay_alu instid0(VALU_DEP_4) | instskip(NEXT) | instid1(VALU_DEP_4)
	v_fmac_f32_e32 v50, 0x32a5705f, v17
	v_mul_f32_e32 v37, 0x3fb8aa3b, v19
	v_cvt_i32_f32_e32 v74, v74
	v_dual_add_f32 v48, v48, v73 :: v_dual_sub_f32 v23, v43, v16
	v_sub_f32_e32 v42, v42, v62
	s_delay_alu instid0(VALU_DEP_4) | instskip(SKIP_1) | instid1(VALU_DEP_4)
	v_fma_f32 v55, 0x3fb8aa3b, v19, -v37
	v_sub_f32_e32 v34, v36, v16
	v_exp_f32_e32 v48, v48
	v_mul_f32_e32 v36, 0x3fb8aa3b, v18
	v_rndne_f32_e32 v51, v35
	v_fmac_f32_e32 v55, 0x32a5705f, v19
	v_fma_f32 v65, 0x3fb8aa3b, v24, -v44
	v_fma_f32 v69, 0x3fb8aa3b, v26, -v46
	v_rndne_f32_e32 v70, v46
	v_dual_sub_f32 v44, v44, v66 :: v_dual_sub_f32 v25, v45, v16
	v_fma_f32 v52, 0x3fb8aa3b, v18, -v36
	s_delay_alu instid0(TRANS32_DEP_1) | instskip(NEXT) | instid1(VALU_DEP_4)
	v_ldexp_f32 v48, v48, v74
	v_sub_f32_e32 v46, v46, v70
	v_fmac_f32_e32 v61, 0x32a5705f, v22
	v_mul_f32_e32 v43, 0x3fb8aa3b, v23
	v_rndne_f32_e32 v54, v36
	v_fmac_f32_e32 v69, 0x32a5705f, v26
	s_delay_alu instid0(VALU_DEP_4) | instskip(SKIP_3) | instid1(VALU_DEP_4)
	v_dual_sub_f32 v35, v35, v51 :: v_dual_add_f32 v42, v42, v61
	v_dual_sub_f32 v21, v41, v16 :: v_dual_fmac_f32 v52, 0x32a5705f, v18
	v_rndne_f32_e32 v56, v37
	v_sub_f32_e32 v36, v36, v54
	v_exp_f32_e32 v42, v42
	v_cvt_i32_f32_e32 v62, v62
	v_dual_add_f32 v46, v46, v69 :: v_dual_add_f32 v35, v35, v50
	s_delay_alu instid0(VALU_DEP_3) | instskip(SKIP_2) | instid1(VALU_DEP_4)
	v_dual_mul_f32 v41, 0x3fb8aa3b, v21 :: v_dual_add_f32 v36, v36, v52
	v_cvt_i32_f32_e32 v51, v51
	v_cvt_i32_f32_e32 v54, v54
	v_exp_f32_e32 v35, v35
	v_fmac_f32_e32 v65, 0x32a5705f, v24
	s_delay_alu instid0(TRANS32_DEP_2)
	v_ldexp_f32 v42, v42, v62
	v_sub_f32_e32 v37, v37, v56
	v_exp_f32_e32 v36, v36
	v_add_f32_e32 v38, v38, v57
	v_cmp_ngt_f32_e32 vcc_lo, 0xc2ce8ed0, v17
	v_dual_mul_f32 v47, 0x3fb8aa3b, v27 :: v_dual_add_f32 v44, v44, v65
	v_add_f32_e32 v37, v37, v55
	s_delay_alu instid0(TRANS32_DEP_2)
	v_ldexp_f32 v35, v35, v51
	v_cvt_i32_f32_e32 v56, v56
	v_exp_f32_e32 v38, v38
	v_cvt_i32_f32_e32 v58, v58
	v_exp_f32_e32 v37, v37
	v_ldexp_f32 v36, v36, v54
	v_cndmask_b32_e32 v35, 0, v35, vcc_lo
	v_cmp_ngt_f32_e32 vcc_lo, 0xc2ce8ed0, v18
	v_mul_f32_e32 v45, 0x3fb8aa3b, v25
	v_exp_f32_e32 v44, v44
	v_fma_f32 v59, 0x3fb8aa3b, v21, -v41
	v_rndne_f32_e32 v60, v41
	v_cndmask_b32_e32 v36, 0, v36, vcc_lo
	v_cmp_ngt_f32_e32 vcc_lo, 0xc2ce8ed0, v19
	v_ldexp_f32 v37, v37, v56
	v_cvt_i32_f32_e32 v66, v66
	v_ldexp_f32 v38, v38, v58
	v_fma_f32 v63, 0x3fb8aa3b, v23, -v43
	v_rndne_f32_e32 v64, v43
	v_cndmask_b32_e32 v37, 0, v37, vcc_lo
	v_cmp_ngt_f32_e32 vcc_lo, 0xc2ce8ed0, v20
	v_mul_f32_e32 v49, 0x3fb8aa3b, v29
	v_ldexp_f32 v44, v44, v66
	v_fmac_f32_e32 v59, 0x32a5705f, v21
	v_dual_fmac_f32 v63, 0x32a5705f, v23 :: v_dual_cndmask_b32 v38, 0, v38
	v_sub_f32_e32 v41, v41, v60
	v_cvt_i32_f32_e32 v60, v60
	v_cmp_ngt_f32_e32 vcc_lo, 0xc2ce8ed0, v21
	v_fma_f32 v67, 0x3fb8aa3b, v25, -v45
	v_rndne_f32_e32 v68, v45
	v_add_f32_e32 v41, v41, v59
	v_fma_f32 v71, 0x3fb8aa3b, v27, -v47
	v_rndne_f32_e32 v72, v47
	v_fmac_f32_e32 v67, 0x32a5705f, v25
	v_sub_f32_e32 v45, v45, v68
	v_exp_f32_e32 v41, v41
	v_fmac_f32_e32 v71, 0x32a5705f, v27
	v_sub_f32_e32 v47, v47, v72
	v_cvt_i32_f32_e32 v68, v68
	v_add_f32_e32 v45, v45, v67
	v_exp_f32_e32 v46, v46
	v_fma_f32 v75, 0x3fb8aa3b, v29, -v49
	v_add_f32_e32 v47, v47, v71
	v_cvt_i32_f32_e32 v70, v70
	v_exp_f32_e32 v45, v45
	v_ldexp_f32 v41, v41, v60
	v_cvt_i32_f32_e32 v72, v72
	v_exp_f32_e32 v47, v47
	v_fmac_f32_e32 v75, 0x32a5705f, v29
	v_sub_f32_e32 v3, v3, v16
	v_cndmask_b32_e32 v41, 0, v41, vcc_lo
	v_cmp_ngt_f32_e32 vcc_lo, 0xc2ce8ed0, v22
	v_ldexp_f32 v46, v46, v70
	v_rndne_f32_e32 v76, v49
	v_ldexp_f32 v45, v45, v68
	v_dual_cndmask_b32 v42, 0, v42 :: v_dual_sub_f32 v43, v43, v64
	v_cvt_i32_f32_e32 v64, v64
	v_cmp_ngt_f32_e32 vcc_lo, 0xc2ce8ed0, v23
	v_ldexp_f32 v47, v47, v72
	s_delay_alu instid0(VALU_DEP_4) | instskip(NEXT) | instid1(VALU_DEP_1)
	v_add_f32_e32 v43, v43, v63
	v_exp_f32_e32 v43, v43
	s_waitcnt_depctr 0xfff
	v_ldexp_f32 v43, v43, v64
	s_delay_alu instid0(VALU_DEP_1)
	v_cndmask_b32_e32 v43, 0, v43, vcc_lo
	v_cmp_ngt_f32_e32 vcc_lo, 0xc2ce8ed0, v24
	v_cndmask_b32_e32 v44, 0, v44, vcc_lo
	v_cmp_ngt_f32_e32 vcc_lo, 0xc2ce8ed0, v25
	v_cndmask_b32_e32 v45, 0, v45, vcc_lo
	v_cmp_ngt_f32_e32 vcc_lo, 0xc2ce8ed0, v26
	v_cndmask_b32_e32 v46, 0, v46, vcc_lo
	v_cmp_ngt_f32_e32 vcc_lo, 0xc2ce8ed0, v27
	v_cndmask_b32_e32 v47, 0, v47, vcc_lo
	v_cmp_ngt_f32_e32 vcc_lo, 0xc2ce8ed0, v28
	v_cndmask_b32_e32 v48, 0, v48, vcc_lo
	v_cmp_nlt_f32_e32 vcc_lo, 0x42b17218, v17
	v_cndmask_b32_e32 v17, 0x7f800000, v35, vcc_lo
	v_cmp_nlt_f32_e32 vcc_lo, 0x42b17218, v18
	;; [unrolled: 2-line block ×12, first 2 shown]
	v_cndmask_b32_e32 v28, 0x7f800000, v48, vcc_lo
	v_cmp_lt_i32_e32 vcc_lo, 0, v15
	v_cndmask_b32_e32 v17, 0, v17, vcc_lo
	v_cmp_lt_i32_e32 vcc_lo, 32, v15
	;; [unrolled: 2-line block ×3, first 2 shown]
	s_waitcnt vmcnt(13)
	s_delay_alu instid0(VALU_DEP_2) | instskip(SKIP_4) | instid1(VALU_DEP_2)
	v_dual_mul_f32 v18, v31, v18 :: v_dual_cndmask_b32 v19, 0, v19
	v_cmp_lt_i32_e32 vcc_lo, 0x60, v15
	v_cndmask_b32_e32 v20, 0, v20, vcc_lo
	v_cmp_lt_i32_e32 vcc_lo, 0x80, v15
	s_waitcnt vmcnt(11)
	v_dual_mul_f32 v20, v33, v20 :: v_dual_cndmask_b32 v21, 0, v21
	v_cmp_lt_i32_e32 vcc_lo, 0xa0, v15
	v_cndmask_b32_e32 v22, 0, v22, vcc_lo
	v_cmp_lt_i32_e32 vcc_lo, 0xc0, v15
	s_waitcnt vmcnt(9)
	s_delay_alu instid0(VALU_DEP_2) | instskip(SKIP_4) | instid1(VALU_DEP_2)
	v_dual_mul_f32 v22, v40, v22 :: v_dual_cndmask_b32 v23, 0, v23
	v_cmp_lt_i32_e32 vcc_lo, 0xe0, v15
	v_cndmask_b32_e32 v24, 0, v24, vcc_lo
	v_cmp_lt_i32_e32 vcc_lo, 0x100, v15
	s_waitcnt vmcnt(7)
	v_mul_f32_e32 v5, v5, v24
	v_cndmask_b32_e32 v25, 0, v25, vcc_lo
	v_cmp_lt_i32_e32 vcc_lo, 0x120, v15
	s_waitcnt vmcnt(6)
	s_delay_alu instid0(VALU_DEP_2) | instskip(SKIP_3) | instid1(VALU_DEP_2)
	v_mul_f32_e32 v4, v4, v25
	v_cndmask_b32_e32 v26, 0, v26, vcc_lo
	v_cmp_lt_i32_e32 vcc_lo, 0x140, v15
	s_waitcnt vmcnt(5)
	v_dual_sub_f32 v25, v49, v76 :: v_dual_mul_f32 v6, v6, v26
	v_cndmask_b32_e32 v27, 0, v27, vcc_lo
	v_cmp_lt_i32_e32 vcc_lo, 0x160, v15
	s_waitcnt vmcnt(4)
	s_delay_alu instid0(VALU_DEP_2)
	v_dual_mul_f32 v26, 0x3fb8aa3b, v34 :: v_dual_mul_f32 v7, v7, v27
	v_cndmask_b32_e32 v24, 0, v28, vcc_lo
	v_dual_mul_f32 v28, 0x3fb8aa3b, v3 :: v_dual_mul_f32 v17, v30, v17
	v_cvt_i32_f32_e32 v30, v76
	v_cmp_ngt_f32_e32 vcc_lo, 0xc2ce8ed0, v29
	s_waitcnt vmcnt(3)
	v_mul_f32_e32 v8, v8, v24
	v_add_f32_e32 v24, v25, v75
	v_fma_f32 v16, 0x3fb8aa3b, v34, -v26
	v_fma_f32 v31, 0x3fb8aa3b, v3, -v28
	s_delay_alu instid0(VALU_DEP_3) | instskip(NEXT) | instid1(VALU_DEP_1)
	v_exp_f32_e32 v24, v24
	v_dual_fmac_f32 v16, 0x32a5705f, v34 :: v_dual_fmac_f32 v31, 0x32a5705f, v3
	s_waitcnt_depctr 0xfff
	v_ldexp_f32 v24, v24, v30
	s_delay_alu instid0(VALU_DEP_1) | instskip(SKIP_3) | instid1(VALU_DEP_4)
	v_cndmask_b32_e32 v24, 0, v24, vcc_lo
	v_cmp_nlt_f32_e32 vcc_lo, 0x42b17218, v29
	v_mul_f32_e32 v19, v32, v19
	v_rndne_f32_e32 v32, v28
	v_dual_cndmask_b32 v24, 0x7f800000, v24 :: v_dual_add_f32 v27, v17, v18
	v_cmp_lt_i32_e32 vcc_lo, 0x180, v15
	s_delay_alu instid0(VALU_DEP_2) | instskip(SKIP_1) | instid1(VALU_DEP_4)
	v_add_f32_e32 v25, v27, v19
	v_rndne_f32_e32 v27, v26
	v_dual_cndmask_b32 v24, 0, v24 :: v_dual_mul_f32 v21, v39, v21
	v_cmp_ngt_f32_e32 vcc_lo, 0xc2ce8ed0, v34
	s_delay_alu instid0(VALU_DEP_3) | instskip(SKIP_3) | instid1(VALU_DEP_3)
	v_dual_add_f32 v25, v25, v20 :: v_dual_sub_f32 v26, v26, v27
	v_cvt_i32_f32_e32 v27, v27
	s_waitcnt vmcnt(2)
	v_mul_f32_e32 v9, v9, v24
	v_dual_add_f32 v25, v25, v21 :: v_dual_add_f32 v16, v26, v16
	s_delay_alu instid0(VALU_DEP_1) | instskip(NEXT) | instid1(VALU_DEP_2)
	v_dual_sub_f32 v26, v28, v32 :: v_dual_add_f32 v25, v25, v22
	v_exp_f32_e32 v16, v16
	s_delay_alu instid0(VALU_DEP_1) | instskip(NEXT) | instid1(VALU_DEP_1)
	v_add_f32_e32 v26, v26, v31
	v_exp_f32_e32 v26, v26
	s_waitcnt_depctr 0xfff
	v_ldexp_f32 v16, v16, v27
	v_cvt_i32_f32_e32 v27, v32
	s_delay_alu instid0(VALU_DEP_2) | instskip(SKIP_1) | instid1(VALU_DEP_3)
	v_dual_cndmask_b32 v16, 0, v16 :: v_dual_mul_f32 v23, v53, v23
	v_cmp_nlt_f32_e32 vcc_lo, 0x42b17218, v34
	v_ldexp_f32 v24, v26, v27
	s_delay_alu instid0(VALU_DEP_3) | instskip(SKIP_1) | instid1(VALU_DEP_2)
	v_dual_add_f32 v25, v25, v23 :: v_dual_cndmask_b32 v16, 0x7f800000, v16
	v_cmp_ngt_f32_e32 vcc_lo, 0xc2ce8ed0, v3
	v_dual_add_f32 v25, v25, v5 :: v_dual_cndmask_b32 v24, 0, v24
	v_cmp_lt_i32_e32 vcc_lo, 0x1a0, v15
	s_delay_alu instid0(VALU_DEP_2) | instskip(SKIP_2) | instid1(VALU_DEP_3)
	v_add_f32_e32 v25, v25, v4
	v_cndmask_b32_e32 v16, 0, v16, vcc_lo
	v_cmp_nlt_f32_e32 vcc_lo, 0x42b17218, v3
	v_add_f32_e32 v25, v25, v6
	s_waitcnt vmcnt(1)
	s_delay_alu instid0(VALU_DEP_3) | instskip(SKIP_1) | instid1(VALU_DEP_3)
	v_mul_f32_e32 v13, v13, v16
	v_cndmask_b32_e32 v3, 0x7f800000, v24, vcc_lo
	v_add_f32_e32 v25, v25, v7
	v_cmp_lt_i32_e32 vcc_lo, 0x1c0, v15
	s_delay_alu instid0(VALU_DEP_2) | instskip(NEXT) | instid1(VALU_DEP_1)
	v_dual_add_f32 v24, v25, v8 :: v_dual_cndmask_b32 v3, 0, v3
	v_add_f32_e32 v15, v24, v9
	s_waitcnt vmcnt(0)
	s_delay_alu instid0(VALU_DEP_1) | instskip(NEXT) | instid1(VALU_DEP_1)
	v_dual_mul_f32 v3, v14, v3 :: v_dual_add_f32 v14, v15, v13
	v_add_f32_e32 v14, v14, v3
	ds_bpermute_b32 v2, v2, v14
	s_waitcnt lgkmcnt(0)
	v_add_f32_e32 v2, v14, v2
	ds_bpermute_b32 v1, v1, v2
	s_waitcnt lgkmcnt(0)
	v_add_f32_e32 v1, v2, v1
	ds_bpermute_b32 v2, v10, v1
	v_lshlrev_b32_e32 v10, 2, v0
	ds_store_2addr_b32 v10, v17, v18 offset1:32
	s_waitcnt lgkmcnt(1)
	v_add_f32_e32 v1, v1, v2
	ds_bpermute_b32 v2, v11, v1
	v_add_nc_u32_e32 v11, 0x400, v10
	ds_store_2addr_b32 v10, v19, v20 offset0:64 offset1:96
	ds_store_2addr_b32 v10, v21, v22 offset0:128 offset1:160
	;; [unrolled: 1-line block ×3, first 2 shown]
	ds_store_2addr_b32 v11, v4, v6 offset1:32
	ds_store_2addr_b32 v11, v7, v8 offset0:64 offset1:96
	ds_store_2addr_b32 v11, v9, v13 offset0:128 offset1:160
	ds_store_b32 v10, v3 offset:1792
	s_waitcnt lgkmcnt(7)
	v_add_f32_e32 v1, v1, v2
	ds_bpermute_b32 v2, v12, v1
	v_cmpx_eq_u32_e32 0, v0
	s_cbranch_execz .LBB228_8
; %bb.7:
	s_waitcnt lgkmcnt(0)
	v_dual_add_f32 v1, v1, v2 :: v_dual_mov_b32 v2, 0
	ds_store_b32 v2, v1 offset:1920
.LBB228_8:
	s_or_b32 exec_lo, exec_lo, s7
	v_mov_b32_e32 v1, s6
.LBB228_9:
	s_or_b32 exec_lo, exec_lo, s24
	s_lshl_b32 s6, s18, 7
	s_mov_b32 s7, 0
	s_waitcnt lgkmcnt(0)
	v_dual_mov_b32 v2, 0 :: v_dual_lshlrev_b32 v1, 7, v1
	s_lshl_b64 s[6:7], s[6:7], 1
	v_dual_mov_b32 v29, 0 :: v_dual_mov_b32 v30, 0
	s_add_u32 s34, s4, s6
	s_addc_u32 s35, s5, s7
	s_lshl_b32 s41, s40, 7
	v_lshlrev_b64 v[3:4], 1, v[1:2]
	s_add_i32 s42, s41, 0xffffff80
	s_cmpk_lt_i32 s22, 0x100
	v_lshlrev_b32_e32 v1, 1, v0
	s_cselect_b32 s4, s42, 0
	v_dual_mov_b32 v31, 0 :: v_dual_mov_b32 v32, 0
	s_ashr_i32 s5, s4, 31
	v_add_co_u32 v3, vcc_lo, s34, v3
	s_lshl_b64 s[4:5], s[4:5], 1
	s_cmpk_lt_i32 s22, 0x200
	v_add_co_ci_u32_e32 v4, vcc_lo, s35, v4, vcc_lo
	s_cselect_b32 s6, s42, 0x80
	v_add_co_u32 v1, vcc_lo, v3, v1
	s_ashr_i32 s7, s6, 31
	s_delay_alu instid0(VALU_DEP_2)
	v_add_co_ci_u32_e32 v3, vcc_lo, 0, v4, vcc_lo
	s_lshl_b64 s[6:7], s[6:7], 1
	s_cmpk_lt_i32 s22, 0x300
	v_add_co_u32 v4, vcc_lo, v1, s4
	s_cselect_b32 s8, s42, 0x100
	v_add_co_ci_u32_e32 v5, vcc_lo, s5, v3, vcc_lo
	s_ashr_i32 s9, s8, 31
	v_add_co_u32 v8, vcc_lo, v1, s6
	s_lshl_b64 s[8:9], s[8:9], 1
	s_cmpk_lt_i32 s22, 0x400
	v_add_co_ci_u32_e32 v9, vcc_lo, s7, v3, vcc_lo
	s_cselect_b32 s10, s42, 0x180
	v_add_co_u32 v10, vcc_lo, v1, s8
	s_ashr_i32 s11, s10, 31
	v_add_co_ci_u32_e32 v11, vcc_lo, s9, v3, vcc_lo
	s_lshl_b64 s[10:11], s[10:11], 1
	s_cmpk_lt_i32 s22, 0x500
	v_add_co_u32 v12, vcc_lo, v1, s10
	s_cselect_b32 s18, s42, 0x200
	v_add_co_ci_u32_e32 v13, vcc_lo, s11, v3, vcc_lo
	s_ashr_i32 s19, s18, 31
	v_dual_mov_b32 v33, 0 :: v_dual_mov_b32 v34, 0
	s_lshl_b64 s[18:19], s[18:19], 1
	s_cmpk_lt_i32 s22, 0x600
	v_add_co_u32 v14, vcc_lo, v1, s18
	s_cselect_b32 s20, s42, 0x280
	v_add_co_ci_u32_e32 v15, vcc_lo, s19, v3, vcc_lo
	s_ashr_i32 s21, s20, 31
	v_mov_b32_e32 v35, 0
	s_lshl_b64 s[20:21], s[20:21], 1
	s_cmpk_lt_i32 s22, 0x700
	v_add_co_u32 v16, vcc_lo, v1, s20
	s_cselect_b32 s24, s42, 0x300
	v_add_co_ci_u32_e32 v17, vcc_lo, s21, v3, vcc_lo
	s_ashr_i32 s25, s24, 31
	s_delay_alu instid0(SALU_CYCLE_1)
	s_lshl_b64 s[24:25], s[24:25], 1
	s_cmpk_lt_i32 s22, 0x800
	v_add_co_u32 v18, vcc_lo, v1, s24
	s_cselect_b32 s26, s42, 0x380
	v_add_co_ci_u32_e32 v19, vcc_lo, s25, v3, vcc_lo
	s_ashr_i32 s27, s26, 31
	s_delay_alu instid0(SALU_CYCLE_1)
	s_lshl_b64 s[26:27], s[26:27], 1
	s_cmpk_lt_i32 s22, 0x900
	v_add_co_u32 v20, vcc_lo, v1, s26
	s_cselect_b32 s28, s42, 0x400
	v_add_co_ci_u32_e32 v21, vcc_lo, s27, v3, vcc_lo
	s_ashr_i32 s29, s28, 31
	s_clause 0x7
	global_load_u16 v7, v[4:5], off
	global_load_u16 v8, v[8:9], off
	;; [unrolled: 1-line block ×8, first 2 shown]
	s_lshl_b64 s[28:29], s[28:29], 1
	s_cmpk_lt_i32 s22, 0xa00
	v_add_co_u32 v12, vcc_lo, v1, s28
	s_cselect_b32 s30, s42, 0x480
	v_add_co_ci_u32_e32 v13, vcc_lo, s29, v3, vcc_lo
	s_ashr_i32 s31, s30, 31
	s_delay_alu instid0(SALU_CYCLE_1)
	s_lshl_b64 s[30:31], s[30:31], 1
	s_cmpk_lt_i32 s22, 0xb00
	v_add_co_u32 v15, vcc_lo, v1, s30
	s_cselect_b32 s34, s42, 0x500
	v_add_co_ci_u32_e32 v16, vcc_lo, s31, v3, vcc_lo
	s_ashr_i32 s35, s34, 31
	s_delay_alu instid0(SALU_CYCLE_1)
	;; [unrolled: 7-line block ×7, first 2 shown]
	s_lshl_b64 s[4:5], s[6:7], 1
	s_cmpk_gt_i32 s23, 0x1000
	v_add_co_u32 v27, vcc_lo, v1, s4
	v_add_co_ci_u32_e32 v28, vcc_lo, s5, v3, vcc_lo
	s_clause 0x7
	global_load_u16 v14, v[12:13], off
	global_load_u16 v15, v[15:16], off
	;; [unrolled: 1-line block ×8, first 2 shown]
	v_dual_mov_b32 v20, 0 :: v_dual_mov_b32 v21, 0
	v_dual_mov_b32 v22, 0 :: v_dual_mov_b32 v23, 0
	;; [unrolled: 1-line block ×4, first 2 shown]
	v_mov_b32_e32 v28, 0
	s_cselect_b32 s8, -1, 0
	s_cmpk_lt_i32 s23, 0x1001
	s_waitcnt vmcnt(0)
	s_barrier
	buffer_gl0_inv
	s_cbranch_scc1 .LBB228_11
; %bb.10:
	s_cmpk_lt_i32 s22, 0x1100
	s_cselect_b32 s4, s42, 0x800
	s_delay_alu instid0(SALU_CYCLE_1) | instskip(NEXT) | instid1(SALU_CYCLE_1)
	s_ashr_i32 s5, s4, 31
	s_lshl_b64 s[4:5], s[4:5], 1
	s_cmpk_lt_i32 s22, 0x1200
	v_add_co_u32 v20, vcc_lo, v1, s4
	s_cselect_b32 s6, s42, 0x880
	v_add_co_ci_u32_e32 v21, vcc_lo, s5, v3, vcc_lo
	s_ashr_i32 s7, s6, 31
	s_delay_alu instid0(SALU_CYCLE_1)
	s_lshl_b64 s[6:7], s[6:7], 1
	s_cmpk_lt_i32 s22, 0x1300
	v_add_co_u32 v22, vcc_lo, v1, s6
	s_cselect_b32 s10, s42, 0x900
	v_add_co_ci_u32_e32 v23, vcc_lo, s7, v3, vcc_lo
	s_ashr_i32 s11, s10, 31
	s_delay_alu instid0(SALU_CYCLE_1)
	;; [unrolled: 7-line block ×7, first 2 shown]
	s_lshl_b64 s[28:29], s[28:29], 1
	s_cmpk_lt_i32 s22, 0x1900
	v_add_co_u32 v34, vcc_lo, v1, s28
	s_cselect_b32 s30, s42, 0xc00
	v_add_co_ci_u32_e32 v35, vcc_lo, s29, v3, vcc_lo
	s_ashr_i32 s31, s30, 31
	s_clause 0x7
	global_load_u16 v36, v[20:21], off
	global_load_u16 v37, v[22:23], off
	;; [unrolled: 1-line block ×8, first 2 shown]
	s_lshl_b64 s[30:31], s[30:31], 1
	s_cmpk_lt_i32 s22, 0x1a00
	v_add_co_u32 v20, vcc_lo, v1, s30
	s_cselect_b32 s34, s42, 0xc80
	v_add_co_ci_u32_e32 v21, vcc_lo, s31, v3, vcc_lo
	s_ashr_i32 s35, s34, 31
	s_delay_alu instid0(SALU_CYCLE_1)
	s_lshl_b64 s[34:35], s[34:35], 1
	s_cmpk_lt_i32 s22, 0x1b00
	v_add_co_u32 v22, vcc_lo, v1, s34
	s_cselect_b32 s36, s42, 0xd00
	v_add_co_ci_u32_e32 v23, vcc_lo, s35, v3, vcc_lo
	s_ashr_i32 s37, s36, 31
	s_delay_alu instid0(SALU_CYCLE_1)
	;; [unrolled: 7-line block ×6, first 2 shown]
	s_lshl_b64 s[4:5], s[20:21], 1
	s_cmpk_lt_i32 s22, 0x2000
	v_add_co_u32 v32, vcc_lo, v1, s4
	s_cselect_b32 s6, s42, 0xf80
	v_add_co_ci_u32_e32 v33, vcc_lo, s5, v3, vcc_lo
	s_ashr_i32 s7, s6, 31
	s_delay_alu instid0(SALU_CYCLE_1) | instskip(NEXT) | instid1(SALU_CYCLE_1)
	s_lshl_b64 s[4:5], s[6:7], 1
	v_add_co_u32 v34, vcc_lo, v1, s4
	v_add_co_ci_u32_e32 v35, vcc_lo, s5, v3, vcc_lo
	s_clause 0x7
	global_load_u16 v20, v[20:21], off
	global_load_u16 v21, v[22:23], off
	;; [unrolled: 1-line block ×8, first 2 shown]
	s_waitcnt vmcnt(15)
	v_cvt_f32_f16_e32 v35, v36
	s_waitcnt vmcnt(14)
	v_cvt_f32_f16_e32 v34, v37
	;; [unrolled: 2-line block ×16, first 2 shown]
.LBB228_11:
	ds_load_b128 v[36:39], v2
	ds_load_b128 v[40:43], v2 offset:16
	s_load_b64 s[0:1], s[0:1], 0x0
	s_and_b32 vcc_lo, exec_lo, s8
	s_waitcnt lgkmcnt(0)
	v_fma_mix_f32 v7, v36, v7, 0 op_sel_hi:[0,1,0]
	s_delay_alu instid0(VALU_DEP_1) | instskip(NEXT) | instid1(VALU_DEP_1)
	v_fma_mix_f32 v7, v37, v8, v7 op_sel_hi:[0,1,0]
	v_fma_mix_f32 v7, v38, v9, v7 op_sel_hi:[0,1,0]
	s_delay_alu instid0(VALU_DEP_1) | instskip(SKIP_4) | instid1(VALU_DEP_1)
	v_fma_mix_f32 v7, v39, v10, v7 op_sel_hi:[0,1,0]
	ds_load_b128 v[36:39], v2 offset:48
	v_fma_mix_f32 v11, v40, v11, v7 op_sel_hi:[0,1,0]
	ds_load_b128 v[7:10], v2 offset:32
	v_fma_mix_f32 v4, v41, v4, v11 op_sel_hi:[0,1,0]
	v_fma_mix_f32 v4, v42, v5, v4 op_sel_hi:[0,1,0]
	s_delay_alu instid0(VALU_DEP_1) | instskip(SKIP_1) | instid1(VALU_DEP_1)
	v_fma_mix_f32 v4, v43, v6, v4 op_sel_hi:[0,1,0]
	s_waitcnt lgkmcnt(0)
	v_fma_mix_f32 v4, v7, v14, v4 op_sel_hi:[0,1,0]
	s_delay_alu instid0(VALU_DEP_1) | instskip(NEXT) | instid1(VALU_DEP_1)
	v_fma_mix_f32 v4, v8, v15, v4 op_sel_hi:[0,1,0]
	v_fma_mix_f32 v4, v9, v16, v4 op_sel_hi:[0,1,0]
	s_delay_alu instid0(VALU_DEP_1) | instskip(NEXT) | instid1(VALU_DEP_1)
	v_fma_mix_f32 v4, v10, v17, v4 op_sel_hi:[0,1,0]
	;; [unrolled: 3-line block ×3, first 2 shown]
	v_fma_mix_f32 v4, v38, v13, v4 op_sel_hi:[0,1,0]
	s_delay_alu instid0(VALU_DEP_1)
	v_fma_mix_f32 v4, v39, v19, v4 op_sel_hi:[0,1,0]
	s_cbranch_vccz .LBB228_13
; %bb.12:
	ds_load_b128 v[5:8], v2 offset:64
	ds_load_b128 v[9:12], v2 offset:80
	s_waitcnt lgkmcnt(1)
	v_fmac_f32_e32 v4, v5, v35
	s_delay_alu instid0(VALU_DEP_1) | instskip(NEXT) | instid1(VALU_DEP_1)
	v_fmac_f32_e32 v4, v6, v34
	v_fmac_f32_e32 v4, v7, v33
	s_delay_alu instid0(VALU_DEP_1) | instskip(SKIP_3) | instid1(VALU_DEP_1)
	v_fmac_f32_e32 v4, v8, v32
	ds_load_b128 v[5:8], v2 offset:96
	s_waitcnt lgkmcnt(1)
	v_fmac_f32_e32 v4, v9, v31
	v_fmac_f32_e32 v4, v10, v30
	s_delay_alu instid0(VALU_DEP_1) | instskip(NEXT) | instid1(VALU_DEP_1)
	v_fmac_f32_e32 v4, v11, v29
	v_fmac_f32_e32 v4, v12, v28
	ds_load_b128 v[9:12], v2 offset:112
	s_waitcnt lgkmcnt(1)
	v_fmac_f32_e32 v4, v5, v27
	s_delay_alu instid0(VALU_DEP_1) | instskip(NEXT) | instid1(VALU_DEP_1)
	v_fmac_f32_e32 v4, v6, v26
	v_fmac_f32_e32 v4, v7, v25
	s_delay_alu instid0(VALU_DEP_1) | instskip(SKIP_1) | instid1(VALU_DEP_1)
	v_fmac_f32_e32 v4, v8, v24
	s_waitcnt lgkmcnt(0)
	v_fmac_f32_e32 v4, v9, v23
	s_delay_alu instid0(VALU_DEP_1) | instskip(NEXT) | instid1(VALU_DEP_1)
	v_fmac_f32_e32 v4, v10, v22
	v_fmac_f32_e32 v4, v11, v21
	s_delay_alu instid0(VALU_DEP_1)
	v_fmac_f32_e32 v4, v12, v20
.LBB228_13:
	s_movk_i32 s43, 0x1f80
	s_movk_i32 s44, 0x80
	s_mov_b32 s45, 32
	s_branch .LBB228_15
.LBB228_14:                             ;   in Loop: Header=BB228_15 Depth=1
	s_addk_i32 s43, 0x1000
	s_addk_i32 s44, 0x80
	s_add_i32 s45, s45, 32
	s_cmpk_eq_u32 s43, 0xff80
	s_cbranch_scc1 .LBB228_17
.LBB228_15:                             ; =>This Inner Loop Header: Depth=1
	s_cmp_le_i32 s40, s45
	s_cbranch_scc1 .LBB228_14
; %bb.16:                               ;   in Loop: Header=BB228_15 Depth=1
	s_add_i32 s4, s43, 0xfffff080
	v_mov_b32_e32 v44, s44
	s_cmp_lt_i32 s4, s41
	s_cselect_b32 s4, s4, s42
	s_add_i32 s6, s43, 0xfffff100
	s_ashr_i32 s5, s4, 31
	s_delay_alu instid0(SALU_CYCLE_1)
	s_lshl_b64 s[4:5], s[4:5], 1
	s_cmp_lt_i32 s6, s41
	v_add_co_u32 v5, vcc_lo, v1, s4
	s_cselect_b32 s6, s6, s42
	s_add_i32 s10, s43, 0xfffff180
	s_ashr_i32 s7, s6, 31
	v_add_co_ci_u32_e32 v6, vcc_lo, s5, v3, vcc_lo
	s_lshl_b64 s[8:9], s[6:7], 1
	s_cmp_lt_i32 s10, s41
	v_add_co_u32 v7, vcc_lo, v1, s8
	s_cselect_b32 s6, s10, s42
	s_add_i32 s10, s43, 0xfffff200
	s_ashr_i32 s7, s6, 31
	v_add_co_ci_u32_e32 v8, vcc_lo, s9, v3, vcc_lo
	;; [unrolled: 7-line block ×8, first 2 shown]
	s_lshl_b64 s[24:25], s[20:21], 1
	s_cmp_lt_i32 s28, s41
	s_clause 0x7
	global_load_u16 v2, v[5:6], off
	global_load_u16 v21, v[7:8], off
	;; [unrolled: 1-line block ×8, first 2 shown]
	s_cselect_b32 s20, s28, s42
	s_add_i32 s28, s43, 0xfffff580
	s_ashr_i32 s21, s20, 31
	v_add_co_u32 v5, vcc_lo, v1, s24
	s_lshl_b64 s[20:21], s[20:21], 1
	s_cmp_lt_i32 s28, s41
	v_add_co_ci_u32_e32 v6, vcc_lo, s25, v3, vcc_lo
	s_cselect_b32 s28, s28, s42
	s_add_i32 s36, s43, 0xfffff600
	s_ashr_i32 s29, s28, 31
	v_add_co_u32 v7, vcc_lo, v1, s20
	s_lshl_b64 s[30:31], s[28:29], 1
	s_cmp_lt_i32 s36, s41
	v_add_co_ci_u32_e32 v8, vcc_lo, s21, v3, vcc_lo
	;; [unrolled: 7-line block ×8, first 2 shown]
	s_cselect_b32 s10, s10, s42
	s_add_i32 s18, s43, 0xfffff980
	s_ashr_i32 s11, s10, 31
	s_clause 0x7
	global_load_u16 v28, v[5:6], off
	global_load_u16 v29, v[7:8], off
	global_load_u16 v30, v[9:10], off
	global_load_u16 v31, v[11:12], off
	global_load_u16 v32, v[13:14], off
	global_load_u16 v33, v[15:16], off
	global_load_u16 v17, v[17:18], off
	global_load_u16 v18, v[19:20], off
	s_lshl_b64 s[10:11], s[10:11], 1
	s_cmp_lt_i32 s18, s41
	v_add_co_u32 v5, vcc_lo, v1, s4
	s_cselect_b32 s18, s18, s42
	s_add_i32 s22, s43, 0xfffffa00
	s_ashr_i32 s19, s18, 31
	v_add_co_ci_u32_e32 v6, vcc_lo, s5, v3, vcc_lo
	s_lshl_b64 s[18:19], s[18:19], 1
	s_cmp_lt_i32 s22, s41
	v_add_co_u32 v7, vcc_lo, v1, s10
	s_cselect_b32 s20, s22, s42
	s_add_i32 s22, s43, 0xfffffa80
	s_ashr_i32 s21, s20, 31
	v_add_co_ci_u32_e32 v8, vcc_lo, s11, v3, vcc_lo
	;; [unrolled: 7-line block ×5, first 2 shown]
	s_lshl_b64 s[6:7], s[6:7], 1
	s_cmp_lt_i32 s24, s41
	s_clause 0x4
	global_load_u16 v19, v[5:6], off
	global_load_u16 v20, v[7:8], off
	;; [unrolled: 1-line block ×5, first 2 shown]
	s_cselect_b32 s4, s24, s42
	s_add_i32 s10, s43, 0xfffffc80
	s_ashr_i32 s5, s4, 31
	v_add_co_u32 v5, vcc_lo, v1, s8
	s_lshl_b64 s[4:5], s[4:5], 1
	s_cmp_lt_i32 s10, s41
	v_add_co_ci_u32_e32 v6, vcc_lo, s9, v3, vcc_lo
	s_cselect_b32 s10, s10, s42
	s_add_i32 s18, s43, 0xfffffd00
	s_ashr_i32 s11, s10, 31
	v_add_co_u32 v7, vcc_lo, v1, s6
	s_lshl_b64 s[10:11], s[10:11], 1
	s_cmp_lt_i32 s18, s41
	v_add_co_ci_u32_e32 v8, vcc_lo, s7, v3, vcc_lo
	s_cselect_b32 s18, s18, s42
	s_add_i32 s20, s43, 0xfffffd80
	s_ashr_i32 s19, s18, 31
	v_add_co_u32 v9, vcc_lo, v1, s4
	s_lshl_b64 s[18:19], s[18:19], 1
	s_cmp_lt_i32 s20, s41
	global_load_u16 v37, v[5:6], off
	s_cselect_b32 s8, s20, s42
	s_add_i32 s20, s43, 0xfffffe00
	s_ashr_i32 s9, s8, 31
	v_add_co_ci_u32_e32 v10, vcc_lo, s5, v3, vcc_lo
	s_lshl_b64 s[6:7], s[8:9], 1
	s_cmp_lt_i32 s20, s41
	v_add_co_u32 v11, vcc_lo, v1, s10
	s_cselect_b32 s4, s20, s42
	s_clause 0x1
	global_load_u16 v38, v[7:8], off
	global_load_u16 v39, v[9:10], off
	v_add_co_ci_u32_e32 v12, vcc_lo, s11, v3, vcc_lo
	s_ashr_i32 s5, s4, 31
	s_add_i32 s8, s43, 0xfffffe80
	v_add_co_u32 v13, vcc_lo, v1, s18
	s_lshl_b64 s[4:5], s[4:5], 1
	s_cmp_lt_i32 s8, s41
	v_add_co_ci_u32_e32 v14, vcc_lo, s19, v3, vcc_lo
	v_add_co_u32 v15, vcc_lo, v1, s6
	s_cselect_b32 s8, s8, s42
	v_add_co_ci_u32_e32 v16, vcc_lo, s7, v3, vcc_lo
	s_ashr_i32 s9, s8, 31
	s_add_i32 s10, s43, 0xffffff00
	s_lshl_b64 s[6:7], s[8:9], 1
	s_clause 0x2
	global_load_u16 v40, v[11:12], off
	global_load_u16 v13, v[13:14], off
	;; [unrolled: 1-line block ×3, first 2 shown]
	s_cmp_lt_i32 s10, s41
	v_add_co_u32 v5, vcc_lo, v1, s4
	s_cselect_b32 s8, s10, s42
	s_add_i32 s10, s43, 0xffffff80
	s_ashr_i32 s9, s8, 31
	v_add_co_ci_u32_e32 v6, vcc_lo, s5, v3, vcc_lo
	s_lshl_b64 s[8:9], s[8:9], 1
	s_cmp_lt_i32 s10, s41
	v_add_co_u32 v7, vcc_lo, v1, s6
	s_cselect_b32 s4, s10, s42
	v_add_co_ci_u32_e32 v8, vcc_lo, s7, v3, vcc_lo
	s_ashr_i32 s5, s4, 31
	v_add_co_u32 v9, vcc_lo, v1, s8
	global_load_u16 v15, v[5:6], off
	s_lshl_b64 s[4:5], s[4:5], 1
	v_add_co_ci_u32_e32 v10, vcc_lo, s9, v3, vcc_lo
	s_cmp_lt_i32 s43, s41
	s_clause 0x1
	global_load_u16 v16, v[7:8], off
	global_load_u16 v41, v[9:10], off
	s_cselect_b32 s6, s43, s42
	v_add_co_u32 v5, vcc_lo, v1, s4
	s_ashr_i32 s7, s6, 31
	v_add_co_ci_u32_e32 v6, vcc_lo, s5, v3, vcc_lo
	s_lshl_b64 s[4:5], s[6:7], 1
	s_delay_alu instid0(SALU_CYCLE_1)
	v_add_co_u32 v7, vcc_lo, v1, s4
	v_add_co_ci_u32_e32 v8, vcc_lo, s5, v3, vcc_lo
	s_clause 0x1
	global_load_u16 v42, v[5:6], off
	global_load_u16 v43, v[7:8], off
	ds_load_b128 v[5:8], v44
	ds_load_b128 v[9:12], v44 offset:16
	s_waitcnt vmcnt(31) lgkmcnt(1)
	v_fma_mix_f32 v2, v5, v2, v4 op_sel_hi:[0,1,0]
	s_waitcnt vmcnt(30)
	s_delay_alu instid0(VALU_DEP_1) | instskip(SKIP_1) | instid1(VALU_DEP_1)
	v_fma_mix_f32 v2, v6, v21, v2 op_sel_hi:[0,1,0]
	s_waitcnt vmcnt(29)
	v_fma_mix_f32 v2, v7, v22, v2 op_sel_hi:[0,1,0]
	ds_load_b128 v[4:7], v44 offset:32
	s_waitcnt vmcnt(28)
	v_fma_mix_f32 v2, v8, v23, v2 op_sel_hi:[0,1,0]
	s_waitcnt vmcnt(27) lgkmcnt(1)
	s_delay_alu instid0(VALU_DEP_1) | instskip(SKIP_1) | instid1(VALU_DEP_1)
	v_fma_mix_f32 v2, v9, v24, v2 op_sel_hi:[0,1,0]
	s_waitcnt vmcnt(26)
	v_fma_mix_f32 v2, v10, v25, v2 op_sel_hi:[0,1,0]
	s_waitcnt vmcnt(25)
	s_delay_alu instid0(VALU_DEP_1) | instskip(SKIP_4) | instid1(VALU_DEP_1)
	v_fma_mix_f32 v2, v11, v26, v2 op_sel_hi:[0,1,0]
	ds_load_b128 v[8:11], v44 offset:48
	s_waitcnt vmcnt(24)
	v_fma_mix_f32 v2, v12, v27, v2 op_sel_hi:[0,1,0]
	s_waitcnt vmcnt(23) lgkmcnt(1)
	v_fma_mix_f32 v2, v4, v28, v2 op_sel_hi:[0,1,0]
	s_waitcnt vmcnt(22)
	s_delay_alu instid0(VALU_DEP_1) | instskip(SKIP_1) | instid1(VALU_DEP_1)
	v_fma_mix_f32 v2, v5, v29, v2 op_sel_hi:[0,1,0]
	s_waitcnt vmcnt(21)
	v_fma_mix_f32 v2, v6, v30, v2 op_sel_hi:[0,1,0]
	s_waitcnt vmcnt(20)
	s_delay_alu instid0(VALU_DEP_1) | instskip(SKIP_4) | instid1(VALU_DEP_1)
	v_fma_mix_f32 v2, v7, v31, v2 op_sel_hi:[0,1,0]
	ds_load_b128 v[4:7], v44 offset:64
	s_waitcnt vmcnt(19) lgkmcnt(1)
	v_fma_mix_f32 v2, v8, v32, v2 op_sel_hi:[0,1,0]
	s_waitcnt vmcnt(18)
	v_fma_mix_f32 v2, v9, v33, v2 op_sel_hi:[0,1,0]
	s_waitcnt vmcnt(17)
	s_delay_alu instid0(VALU_DEP_1) | instskip(SKIP_1) | instid1(VALU_DEP_1)
	v_fma_mix_f32 v2, v10, v17, v2 op_sel_hi:[0,1,0]
	s_waitcnt vmcnt(16)
	v_fma_mix_f32 v2, v11, v18, v2 op_sel_hi:[0,1,0]
	ds_load_b128 v[8:11], v44 offset:80
	s_waitcnt vmcnt(15) lgkmcnt(1)
	v_fma_mix_f32 v2, v4, v19, v2 op_sel_hi:[0,1,0]
	s_waitcnt vmcnt(14)
	s_delay_alu instid0(VALU_DEP_1) | instskip(SKIP_1) | instid1(VALU_DEP_1)
	v_fma_mix_f32 v2, v5, v20, v2 op_sel_hi:[0,1,0]
	s_waitcnt vmcnt(13)
	v_fma_mix_f32 v2, v6, v34, v2 op_sel_hi:[0,1,0]
	s_waitcnt vmcnt(12)
	s_delay_alu instid0(VALU_DEP_1) | instskip(SKIP_4) | instid1(VALU_DEP_1)
	v_fma_mix_f32 v2, v7, v35, v2 op_sel_hi:[0,1,0]
	ds_load_b128 v[4:7], v44 offset:96
	s_waitcnt vmcnt(11) lgkmcnt(1)
	v_fma_mix_f32 v2, v8, v36, v2 op_sel_hi:[0,1,0]
	s_waitcnt vmcnt(10)
	v_fma_mix_f32 v2, v9, v37, v2 op_sel_hi:[0,1,0]
	s_waitcnt vmcnt(9)
	s_delay_alu instid0(VALU_DEP_1) | instskip(SKIP_1) | instid1(VALU_DEP_1)
	v_fma_mix_f32 v2, v10, v38, v2 op_sel_hi:[0,1,0]
	s_waitcnt vmcnt(8)
	v_fma_mix_f32 v2, v11, v39, v2 op_sel_hi:[0,1,0]
	ds_load_b128 v[8:11], v44 offset:112
	s_waitcnt vmcnt(7) lgkmcnt(1)
	v_fma_mix_f32 v2, v4, v40, v2 op_sel_hi:[0,1,0]
	s_waitcnt vmcnt(6)
	s_delay_alu instid0(VALU_DEP_1) | instskip(SKIP_1) | instid1(VALU_DEP_1)
	v_fma_mix_f32 v2, v5, v13, v2 op_sel_hi:[0,1,0]
	s_waitcnt vmcnt(5)
	v_fma_mix_f32 v2, v6, v14, v2 op_sel_hi:[0,1,0]
	s_waitcnt vmcnt(4)
	s_delay_alu instid0(VALU_DEP_1) | instskip(SKIP_1) | instid1(VALU_DEP_1)
	v_fma_mix_f32 v2, v7, v15, v2 op_sel_hi:[0,1,0]
	s_waitcnt vmcnt(3) lgkmcnt(0)
	v_fma_mix_f32 v2, v8, v16, v2 op_sel_hi:[0,1,0]
	s_waitcnt vmcnt(2)
	s_delay_alu instid0(VALU_DEP_1) | instskip(SKIP_1) | instid1(VALU_DEP_1)
	v_fma_mix_f32 v2, v9, v41, v2 op_sel_hi:[0,1,0]
	s_waitcnt vmcnt(1)
	v_fma_mix_f32 v2, v10, v42, v2 op_sel_hi:[0,1,0]
	s_waitcnt vmcnt(0)
	s_delay_alu instid0(VALU_DEP_1)
	v_fma_mix_f32 v4, v11, v43, v2 op_sel_hi:[0,1,0]
	s_branch .LBB228_14
.LBB228_17:
	v_mov_b32_e32 v1, 0
	s_and_b32 vcc_lo, exec_lo, s15
	ds_load_b32 v1, v1 offset:1920
	s_cbranch_vccz .LBB228_19
; %bb.18:
	s_add_u32 s2, s12, s16
	s_addc_u32 s3, s13, s17
	s_load_b32 s2, s[2:3], 0x0
	s_mov_b32 s3, 0
.LBB228_19:
	s_waitcnt lgkmcnt(0)
	v_add_f32_e32 v1, 0x358637bd, v1
	s_mul_i32 s3, s33, s3
	s_mul_hi_u32 s4, s33, s2
	s_mul_i32 s2, s33, s2
	s_add_i32 s3, s4, s3
	v_div_scale_f32 v2, null, v1, v1, 1.0
	v_div_scale_f32 v6, vcc_lo, 1.0, v1, 1.0
	s_lshl_b64 s[2:3], s[2:3], 7
	s_delay_alu instid0(VALU_DEP_2) | instskip(SKIP_4) | instid1(SALU_CYCLE_1)
	v_rcp_f32_e32 v3, v2
	s_mov_b32 s15, 0
	s_add_u32 s2, s0, s2
	s_addc_u32 s3, s1, s3
	s_lshl_b64 s[0:1], s[14:15], 7
	s_add_u32 s0, s2, s0
	s_addc_u32 s1, s3, s1
	v_add_co_u32 v0, s0, s0, v0
	s_waitcnt_depctr 0xfff
	v_fma_f32 v5, -v2, v3, 1.0
	s_delay_alu instid0(VALU_DEP_1) | instskip(NEXT) | instid1(VALU_DEP_1)
	v_fmac_f32_e32 v3, v5, v3
	v_mul_f32_e32 v5, v6, v3
	s_delay_alu instid0(VALU_DEP_1) | instskip(NEXT) | instid1(VALU_DEP_1)
	v_fma_f32 v7, -v2, v5, v6
	v_fmac_f32_e32 v5, v7, v3
	s_delay_alu instid0(VALU_DEP_1) | instskip(NEXT) | instid1(VALU_DEP_1)
	v_fma_f32 v2, -v2, v5, v6
	v_div_fmas_f32 v2, v2, v3, v5
	s_delay_alu instid0(VALU_DEP_1) | instskip(NEXT) | instid1(VALU_DEP_1)
	v_div_fixup_f32 v1, v2, v1, 1.0
	v_fma_mixlo_f16 v1, v4, v1, 0
	s_delay_alu instid0(VALU_DEP_1)
	v_cvt_i16_f16_e32 v2, v1
	v_add_co_ci_u32_e64 v1, null, s1, 0, s0
	global_store_b8 v[0:1], v2, off
	s_nop 0
	s_sendmsg sendmsg(MSG_DEALLOC_VGPRS)
	s_endpgm
.LBB228_20:
	s_mov_b32 s4, 0
	s_branch .LBB228_2
	.section	.rodata,"a",@progbits
	.p2align	6, 0x0
	.amdhsa_kernel _Z35paged_attention_ll4mi_reduce_kernelIDF16_hLi128ELi128ELi256ELi15EEvPT0_PKfS3_PKT_PKiS8_iS3_
		.amdhsa_group_segment_fixed_size 1924
		.amdhsa_private_segment_fixed_size 0
		.amdhsa_kernarg_size 320
		.amdhsa_user_sgpr_count 14
		.amdhsa_user_sgpr_dispatch_ptr 0
		.amdhsa_user_sgpr_queue_ptr 0
		.amdhsa_user_sgpr_kernarg_segment_ptr 1
		.amdhsa_user_sgpr_dispatch_id 0
		.amdhsa_user_sgpr_private_segment_size 0
		.amdhsa_wavefront_size32 1
		.amdhsa_uses_dynamic_stack 0
		.amdhsa_enable_private_segment 0
		.amdhsa_system_sgpr_workgroup_id_x 1
		.amdhsa_system_sgpr_workgroup_id_y 1
		.amdhsa_system_sgpr_workgroup_id_z 0
		.amdhsa_system_sgpr_workgroup_info 0
		.amdhsa_system_vgpr_workitem_id 0
		.amdhsa_next_free_vgpr 77
		.amdhsa_next_free_sgpr 47
		.amdhsa_reserve_vcc 1
		.amdhsa_float_round_mode_32 0
		.amdhsa_float_round_mode_16_64 0
		.amdhsa_float_denorm_mode_32 3
		.amdhsa_float_denorm_mode_16_64 3
		.amdhsa_dx10_clamp 1
		.amdhsa_ieee_mode 1
		.amdhsa_fp16_overflow 0
		.amdhsa_workgroup_processor_mode 1
		.amdhsa_memory_ordered 1
		.amdhsa_forward_progress 0
		.amdhsa_shared_vgpr_count 0
		.amdhsa_exception_fp_ieee_invalid_op 0
		.amdhsa_exception_fp_denorm_src 0
		.amdhsa_exception_fp_ieee_div_zero 0
		.amdhsa_exception_fp_ieee_overflow 0
		.amdhsa_exception_fp_ieee_underflow 0
		.amdhsa_exception_fp_ieee_inexact 0
		.amdhsa_exception_int_div_zero 0
	.end_amdhsa_kernel
	.section	.text._Z35paged_attention_ll4mi_reduce_kernelIDF16_hLi128ELi128ELi256ELi15EEvPT0_PKfS3_PKT_PKiS8_iS3_,"axG",@progbits,_Z35paged_attention_ll4mi_reduce_kernelIDF16_hLi128ELi128ELi256ELi15EEvPT0_PKfS3_PKT_PKiS8_iS3_,comdat
.Lfunc_end228:
	.size	_Z35paged_attention_ll4mi_reduce_kernelIDF16_hLi128ELi128ELi256ELi15EEvPT0_PKfS3_PKT_PKiS8_iS3_, .Lfunc_end228-_Z35paged_attention_ll4mi_reduce_kernelIDF16_hLi128ELi128ELi256ELi15EEvPT0_PKfS3_PKT_PKiS8_iS3_
                                        ; -- End function
	.section	.AMDGPU.csdata,"",@progbits
; Kernel info:
; codeLenInByte = 7960
; NumSgprs: 49
; NumVgprs: 77
; ScratchSize: 0
; MemoryBound: 0
; FloatMode: 240
; IeeeMode: 1
; LDSByteSize: 1924 bytes/workgroup (compile time only)
; SGPRBlocks: 6
; VGPRBlocks: 9
; NumSGPRsForWavesPerEU: 49
; NumVGPRsForWavesPerEU: 77
; Occupancy: 16
; WaveLimiterHint : 0
; COMPUTE_PGM_RSRC2:SCRATCH_EN: 0
; COMPUTE_PGM_RSRC2:USER_SGPR: 14
; COMPUTE_PGM_RSRC2:TRAP_HANDLER: 0
; COMPUTE_PGM_RSRC2:TGID_X_EN: 1
; COMPUTE_PGM_RSRC2:TGID_Y_EN: 1
; COMPUTE_PGM_RSRC2:TGID_Z_EN: 0
; COMPUTE_PGM_RSRC2:TIDIG_COMP_CNT: 0
	.section	.text._Z35paged_attention_ll4mi_reduce_kernelIDF16_hLi128ELi128ELi256ELi16EEvPT0_PKfS3_PKT_PKiS8_iS3_,"axG",@progbits,_Z35paged_attention_ll4mi_reduce_kernelIDF16_hLi128ELi128ELi256ELi16EEvPT0_PKfS3_PKT_PKiS8_iS3_,comdat
	.protected	_Z35paged_attention_ll4mi_reduce_kernelIDF16_hLi128ELi128ELi256ELi16EEvPT0_PKfS3_PKT_PKiS8_iS3_ ; -- Begin function _Z35paged_attention_ll4mi_reduce_kernelIDF16_hLi128ELi128ELi256ELi16EEvPT0_PKfS3_PKT_PKiS8_iS3_
	.globl	_Z35paged_attention_ll4mi_reduce_kernelIDF16_hLi128ELi128ELi256ELi16EEvPT0_PKfS3_PKT_PKiS8_iS3_
	.p2align	8
	.type	_Z35paged_attention_ll4mi_reduce_kernelIDF16_hLi128ELi128ELi256ELi16EEvPT0_PKfS3_PKT_PKiS8_iS3_,@function
_Z35paged_attention_ll4mi_reduce_kernelIDF16_hLi128ELi128ELi256ELi16EEvPT0_PKfS3_PKT_PKiS8_iS3_: ; @_Z35paged_attention_ll4mi_reduce_kernelIDF16_hLi128ELi128ELi256ELi16EEvPT0_PKfS3_PKT_PKiS8_iS3_
; %bb.0:
	s_load_b64 s[12:13], s[0:1], 0x28
	s_mov_b32 s2, s15
	s_waitcnt lgkmcnt(0)
	s_cmp_lg_u64 s[12:13], 0
	s_cselect_b32 s15, -1, 0
	s_delay_alu instid0(SALU_CYCLE_1)
	s_and_b32 vcc_lo, exec_lo, s15
	s_cbranch_vccz .LBB229_20
; %bb.1:
	s_add_i32 s4, s2, 1
	s_mov_b32 s5, 0
	s_delay_alu instid0(SALU_CYCLE_1) | instskip(SKIP_4) | instid1(SALU_CYCLE_1)
	s_lshl_b64 s[6:7], s[4:5], 2
	s_mov_b32 s3, s5
	s_add_u32 s6, s12, s6
	s_addc_u32 s7, s13, s7
	s_lshl_b64 s[8:9], s[2:3], 2
	s_add_u32 s8, s12, s8
	s_addc_u32 s9, s13, s9
	s_clause 0x1
	s_load_b32 s4, s[6:7], 0x0
	s_load_b32 s6, s[8:9], 0x0
	s_waitcnt lgkmcnt(0)
	s_sub_i32 s4, s4, s6
	s_delay_alu instid0(SALU_CYCLE_1)
	s_cmp_eq_u32 s4, 1
	s_cselect_b32 s4, -1, 0
	s_cbranch_execnz .LBB229_3
.LBB229_2:
	s_mov_b32 s3, 0
	s_mov_b32 s4, -1
.LBB229_3:
	s_delay_alu instid0(SALU_CYCLE_1)
	s_and_not1_b32 vcc_lo, exec_lo, s4
	s_cbranch_vccz .LBB229_5
; %bb.4:
	s_endpgm
.LBB229_5:
	s_clause 0x1
	s_load_b128 s[4:7], s[0:1], 0x18
	s_load_b32 s9, s[0:1], 0x30
	s_lshl_b64 s[16:17], s[2:3], 2
	s_waitcnt lgkmcnt(0)
	s_add_u32 s6, s6, s16
	s_addc_u32 s7, s7, s17
	s_load_b32 s23, s[6:7], 0x0
	s_load_b32 s33, s[0:1], 0x40
	s_mul_i32 s7, s2, s9
	s_waitcnt lgkmcnt(0)
	s_add_i32 s22, s23, 0xff
	s_delay_alu instid0(SALU_CYCLE_1) | instskip(NEXT) | instid1(SALU_CYCLE_1)
	s_ashr_i32 s6, s22, 31
	s_lshr_b32 s6, s6, 24
	s_delay_alu instid0(SALU_CYCLE_1) | instskip(SKIP_4) | instid1(SALU_CYCLE_1)
	s_add_i32 s8, s22, s6
	s_mul_i32 s6, s14, s9
	s_mov_b32 s9, exec_lo
	v_cmpx_lt_u32_e32 31, v0
	s_xor_b32 s9, exec_lo, s9
	s_or_saveexec_b32 s24, s9
	v_mov_b32_e32 v1, s6
	s_ashr_i32 s40, s8, 8
	s_mul_i32 s18, s7, s33
	s_xor_b32 exec_lo, exec_lo, s24
	s_cbranch_execz .LBB229_9
; %bb.6:
	v_or_b32_e32 v2, 32, v0
	v_cmp_gt_i32_e32 vcc_lo, s40, v0
	s_add_i32 s20, s40, -1
	v_or_b32_e32 v4, 64, v0
	v_or_b32_e32 v6, 0x60, v0
	s_load_b128 s[8:11], s[0:1], 0x8
	v_cndmask_b32_e32 v1, s20, v0, vcc_lo
	v_cmp_gt_i32_e32 vcc_lo, s40, v2
	s_mov_b32 s19, 0
	s_delay_alu instid0(SALU_CYCLE_1)
	s_mov_b32 s7, s19
	v_cndmask_b32_e32 v3, s20, v2, vcc_lo
	v_cmp_gt_i32_e32 vcc_lo, s40, v4
	v_or_b32_e32 v2, 0x80, v0
	v_cndmask_b32_e32 v5, s20, v4, vcc_lo
	v_cmp_gt_i32_e32 vcc_lo, s40, v6
	v_or_b32_e32 v4, 0xa0, v0
	;; [unrolled: 3-line block ×3, first 2 shown]
	s_delay_alu instid0(VALU_DEP_3) | instskip(SKIP_3) | instid1(VALU_DEP_4)
	v_ashrrev_i32_e32 v8, 31, v7
	v_cndmask_b32_e32 v9, s20, v2, vcc_lo
	v_cmp_gt_i32_e32 vcc_lo, s40, v4
	v_or_b32_e32 v2, 0xe0, v0
	v_lshlrev_b64 v[7:8], 2, v[7:8]
	s_delay_alu instid0(VALU_DEP_4) | instskip(SKIP_3) | instid1(VALU_DEP_4)
	v_ashrrev_i32_e32 v10, 31, v9
	v_cndmask_b32_e32 v11, s20, v4, vcc_lo
	v_cmp_gt_i32_e32 vcc_lo, s40, v6
	v_or_b32_e32 v4, 0x100, v0
	v_lshlrev_b64 v[9:10], 2, v[9:10]
	s_delay_alu instid0(VALU_DEP_4) | instskip(SKIP_3) | instid1(VALU_DEP_4)
	;; [unrolled: 6-line block ×3, first 2 shown]
	v_ashrrev_i32_e32 v14, 31, v13
	v_cndmask_b32_e32 v15, s20, v2, vcc_lo
	v_or_b32_e32 v2, 0x120, v0
	v_cmp_gt_i32_e32 vcc_lo, s40, v4
	v_lshlrev_b64 v[13:14], 2, v[13:14]
	s_delay_alu instid0(VALU_DEP_4) | instskip(SKIP_3) | instid1(VALU_DEP_4)
	v_ashrrev_i32_e32 v16, 31, v15
	v_cndmask_b32_e32 v17, s20, v4, vcc_lo
	v_cmp_gt_i32_e32 vcc_lo, s40, v2
	v_or_b32_e32 v4, 0x160, v0
	v_lshlrev_b64 v[45:46], 2, v[15:16]
	s_delay_alu instid0(VALU_DEP_4) | instskip(SKIP_3) | instid1(VALU_DEP_4)
	v_ashrrev_i32_e32 v18, 31, v17
	v_cndmask_b32_e32 v19, s20, v2, vcc_lo
	v_cmp_gt_i32_e32 vcc_lo, s40, v6
	v_or_b32_e32 v2, 0x180, v0
	v_lshlrev_b64 v[17:18], 2, v[17:18]
	s_delay_alu instid0(VALU_DEP_4) | instskip(SKIP_3) | instid1(VALU_DEP_3)
	v_ashrrev_i32_e32 v20, 31, v19
	v_cndmask_b32_e32 v21, s20, v6, vcc_lo
	v_cmp_gt_i32_e32 vcc_lo, s40, v4
	v_or_b32_e32 v6, 0x1c0, v0
	v_ashrrev_i32_e32 v22, 31, v21
	v_cndmask_b32_e32 v23, s20, v4, vcc_lo
	v_or_b32_e32 v4, 0x1a0, v0
	v_cmp_gt_i32_e32 vcc_lo, s40, v2
	s_delay_alu instid0(VALU_DEP_3) | instskip(SKIP_1) | instid1(VALU_DEP_4)
	v_ashrrev_i32_e32 v24, 31, v23
	v_cndmask_b32_e32 v25, s20, v2, vcc_lo
	v_cmp_gt_i32_e32 vcc_lo, s40, v4
	v_or_b32_e32 v2, 0x1e0, v0
	s_delay_alu instid0(VALU_DEP_4) | instskip(NEXT) | instid1(VALU_DEP_4)
	v_lshlrev_b64 v[23:24], 2, v[23:24]
	v_ashrrev_i32_e32 v26, 31, v25
	v_cndmask_b32_e32 v27, s20, v4, vcc_lo
	v_cmp_gt_i32_e32 vcc_lo, s40, v6
	v_ashrrev_i32_e32 v4, 31, v3
	s_delay_alu instid0(VALU_DEP_4) | instskip(NEXT) | instid1(VALU_DEP_4)
	v_lshlrev_b64 v[25:26], 2, v[25:26]
	v_ashrrev_i32_e32 v28, 31, v27
	v_cndmask_b32_e32 v29, s20, v6, vcc_lo
	v_cmp_gt_i32_e32 vcc_lo, s40, v2
	v_ashrrev_i32_e32 v6, 31, v5
	v_lshlrev_b64 v[35:36], 2, v[3:4]
	v_lshlrev_b64 v[27:28], 2, v[27:28]
	v_ashrrev_i32_e32 v30, 31, v29
	v_cndmask_b32_e32 v31, s20, v2, vcc_lo
	v_ashrrev_i32_e32 v2, 31, v1
	s_lshl_b64 s[20:21], s[18:19], 2
	v_lshlrev_b64 v[5:6], 2, v[5:6]
	s_waitcnt lgkmcnt(0)
	s_add_u32 s19, s10, s20
	s_addc_u32 s25, s11, s21
	v_lshlrev_b64 v[33:34], 2, v[1:2]
	s_lshl_b64 s[10:11], s[6:7], 2
	v_ashrrev_i32_e32 v32, 31, v31
	s_add_u32 s7, s19, s10
	s_addc_u32 s19, s25, s11
	v_lshlrev_b64 v[29:30], 2, v[29:30]
	v_add_co_u32 v1, vcc_lo, s7, v33
	v_add_co_ci_u32_e32 v2, vcc_lo, s19, v34, vcc_lo
	v_add_co_u32 v3, vcc_lo, s7, v35
	v_add_co_ci_u32_e32 v4, vcc_lo, s19, v36, vcc_lo
	;; [unrolled: 2-line block ×8, first 2 shown]
	s_clause 0x7
	global_load_b32 v49, v[1:2], off
	global_load_b32 v50, v[3:4], off
	global_load_b32 v51, v[37:38], off
	global_load_b32 v52, v[39:40], off
	global_load_b32 v41, v[41:42], off
	global_load_b32 v42, v[43:44], off
	global_load_b32 v43, v[15:16], off
	global_load_b32 v44, v[47:48], off
	v_lshlrev_b64 v[37:38], 2, v[19:20]
	v_add_co_u32 v1, vcc_lo, s7, v17
	v_lshlrev_b64 v[39:40], 2, v[21:22]
	v_add_co_ci_u32_e32 v2, vcc_lo, s19, v18, vcc_lo
	s_delay_alu instid0(VALU_DEP_4) | instskip(SKIP_1) | instid1(VALU_DEP_4)
	v_add_co_u32 v3, vcc_lo, s7, v37
	v_add_co_ci_u32_e32 v4, vcc_lo, s19, v38, vcc_lo
	v_add_co_u32 v15, vcc_lo, s7, v39
	v_add_co_ci_u32_e32 v16, vcc_lo, s19, v40, vcc_lo
	;; [unrolled: 2-line block ×3, first 2 shown]
	s_clause 0x3
	global_load_b32 v47, v[1:2], off
	global_load_b32 v48, v[3:4], off
	global_load_b32 v53, v[15:16], off
	global_load_b32 v54, v[19:20], off
	v_add_co_u32 v1, vcc_lo, s7, v25
	v_add_co_ci_u32_e32 v2, vcc_lo, s19, v26, vcc_lo
	v_add_co_u32 v3, vcc_lo, s7, v27
	v_lshlrev_b64 v[31:32], 2, v[31:32]
	v_add_co_ci_u32_e32 v4, vcc_lo, s19, v28, vcc_lo
	v_add_co_u32 v15, vcc_lo, s7, v29
	v_add_co_ci_u32_e32 v16, vcc_lo, s19, v30, vcc_lo
	s_delay_alu instid0(VALU_DEP_4)
	v_add_co_u32 v19, vcc_lo, s7, v31
	v_add_co_ci_u32_e32 v20, vcc_lo, s19, v32, vcc_lo
	s_clause 0x3
	global_load_b32 v55, v[1:2], off
	global_load_b32 v56, v[3:4], off
	;; [unrolled: 1-line block ×4, first 2 shown]
	v_mbcnt_lo_u32_b32 v19, -1, 0
	s_add_u32 s7, s8, s20
	s_addc_u32 s8, s9, s21
	s_add_u32 s7, s7, s10
	s_addc_u32 s8, s8, s11
	v_xor_b32_e32 v4, 2, v19
	s_waitcnt vmcnt(14)
	v_dual_max_f32 v2, v49, v49 :: v_dual_max_f32 v1, v50, v50
	s_delay_alu instid0(VALU_DEP_1) | instskip(SKIP_1) | instid1(VALU_DEP_1)
	v_max_f32_e32 v1, v2, v1
	v_xor_b32_e32 v2, 16, v19
	v_cmp_gt_i32_e32 vcc_lo, 32, v2
	v_cndmask_b32_e32 v2, v19, v2, vcc_lo
	s_waitcnt vmcnt(12)
	v_max3_f32 v1, v1, v51, v52
	s_waitcnt vmcnt(10)
	s_delay_alu instid0(VALU_DEP_1) | instskip(SKIP_1) | instid1(VALU_DEP_1)
	v_max3_f32 v1, v1, v41, v42
	s_waitcnt vmcnt(8)
	v_max3_f32 v1, v1, v43, v44
	s_waitcnt vmcnt(6)
	s_delay_alu instid0(VALU_DEP_1) | instskip(SKIP_1) | instid1(VALU_DEP_1)
	v_max3_f32 v1, v1, v47, v48
	s_waitcnt vmcnt(4)
	v_max3_f32 v1, v1, v53, v54
	s_waitcnt vmcnt(2)
	s_delay_alu instid0(VALU_DEP_1) | instskip(SKIP_3) | instid1(VALU_DEP_3)
	v_max3_f32 v3, v1, v55, v56
	v_lshlrev_b32_e32 v1, 2, v2
	v_xor_b32_e32 v2, 8, v19
	s_waitcnt vmcnt(0)
	v_max3_f32 v15, v3, v57, v58
	v_xor_b32_e32 v3, 4, v19
	s_delay_alu instid0(VALU_DEP_3)
	v_cmp_gt_i32_e32 vcc_lo, 32, v2
	ds_bpermute_b32 v16, v1, v15
	v_cndmask_b32_e32 v2, v19, v2, vcc_lo
	v_cmp_gt_i32_e32 vcc_lo, 32, v3
	v_cndmask_b32_e32 v3, v19, v3, vcc_lo
	v_cmp_gt_i32_e32 vcc_lo, 32, v4
	s_delay_alu instid0(VALU_DEP_2) | instskip(SKIP_1) | instid1(VALU_DEP_2)
	v_dual_cndmask_b32 v20, v19, v4 :: v_dual_lshlrev_b32 v3, 2, v3
	v_lshlrev_b32_e32 v4, 2, v2
	v_lshlrev_b32_e32 v2, 2, v20
	s_waitcnt lgkmcnt(0)
	v_max_f32_e32 v16, v16, v16
	s_delay_alu instid0(VALU_DEP_1)
	v_max_f32_e32 v59, v15, v16
	v_add_co_u32 v15, vcc_lo, s7, v33
	v_add_co_ci_u32_e32 v16, vcc_lo, s8, v34, vcc_lo
	ds_bpermute_b32 v33, v4, v59
	v_add_co_u32 v21, vcc_lo, s7, v35
	v_add_co_ci_u32_e32 v22, vcc_lo, s8, v36, vcc_lo
	s_clause 0x1
	global_load_b32 v20, v[15:16], off
	global_load_b32 v21, v[21:22], off
	v_add_co_u32 v5, vcc_lo, s7, v5
	v_add_co_ci_u32_e32 v6, vcc_lo, s8, v6, vcc_lo
	v_add_co_u32 v7, vcc_lo, s7, v7
	v_add_co_ci_u32_e32 v8, vcc_lo, s8, v8, vcc_lo
	;; [unrolled: 2-line block ×3, first 2 shown]
	s_waitcnt lgkmcnt(0)
	v_max_f32_e32 v16, v33, v33
	s_clause 0x1
	global_load_b32 v22, v[5:6], off
	global_load_b32 v15, v[7:8], off
	v_add_co_u32 v5, vcc_lo, s7, v11
	v_max_f32_e32 v33, v59, v16
	v_add_co_ci_u32_e32 v6, vcc_lo, s8, v12, vcc_lo
	v_add_co_u32 v7, vcc_lo, s7, v13
	ds_bpermute_b32 v34, v3, v33
	v_add_co_ci_u32_e32 v8, vcc_lo, s8, v14, vcc_lo
	s_clause 0x1
	global_load_b32 v16, v[9:10], off
	global_load_b32 v5, v[5:6], off
	v_add_co_u32 v9, vcc_lo, s7, v45
	v_add_co_ci_u32_e32 v10, vcc_lo, s8, v46, vcc_lo
	v_add_co_u32 v11, vcc_lo, s7, v17
	v_add_co_ci_u32_e32 v12, vcc_lo, s8, v18, vcc_lo
	v_add_co_u32 v13, vcc_lo, s7, v37
	s_clause 0x2
	global_load_b32 v6, v[7:8], off
	global_load_b32 v7, v[9:10], off
	;; [unrolled: 1-line block ×3, first 2 shown]
	v_add_co_ci_u32_e32 v14, vcc_lo, s8, v38, vcc_lo
	s_waitcnt lgkmcnt(0)
	v_max_f32_e32 v10, v34, v34
	v_add_co_u32 v17, vcc_lo, s7, v39
	v_add_co_ci_u32_e32 v18, vcc_lo, s8, v40, vcc_lo
	v_add_co_u32 v11, vcc_lo, s7, v23
	s_delay_alu instid0(VALU_DEP_4)
	v_max_f32_e32 v23, v33, v10
	v_add_co_ci_u32_e32 v12, vcc_lo, s8, v24, vcc_lo
	global_load_b32 v9, v[13:14], off
	v_add_co_u32 v13, vcc_lo, s7, v25
	ds_bpermute_b32 v24, v2, v23
	v_add_co_ci_u32_e32 v14, vcc_lo, s8, v26, vcc_lo
	s_clause 0x2
	global_load_b32 v10, v[17:18], off
	global_load_b32 v11, v[11:12], off
	;; [unrolled: 1-line block ×3, first 2 shown]
	v_add_co_u32 v13, vcc_lo, s7, v27
	v_add_co_ci_u32_e32 v14, vcc_lo, s8, v28, vcc_lo
	v_xor_b32_e32 v18, 1, v19
	global_load_b32 v17, v[13:14], off
	v_add_co_u32 v13, vcc_lo, s7, v29
	v_add_co_ci_u32_e32 v14, vcc_lo, s8, v30, vcc_lo
	v_cmp_gt_i32_e32 vcc_lo, 32, v18
	s_waitcnt lgkmcnt(0)
	v_dual_max_f32 v24, v24, v24 :: v_dual_cndmask_b32 v19, v19, v18
	global_load_b32 v18, v[13:14], off
	v_lshlrev_b32_e32 v13, 2, v19
	v_max_f32_e32 v19, v23, v24
	v_add_co_u32 v23, vcc_lo, s7, v31
	v_add_co_ci_u32_e32 v24, vcc_lo, s8, v32, vcc_lo
	ds_bpermute_b32 v25, v13, v19
	s_mov_b32 s7, exec_lo
	global_load_b32 v14, v[23:24], off
	s_waitcnt lgkmcnt(0)
	v_max_f32_e32 v23, v25, v25
	s_delay_alu instid0(VALU_DEP_1) | instskip(SKIP_1) | instid1(VALU_DEP_2)
	v_max_f32_e32 v23, v19, v23
	v_sub_nc_u32_e32 v19, s40, v0
	v_sub_f32_e32 v29, v42, v23
	s_delay_alu instid0(VALU_DEP_1) | instskip(NEXT) | instid1(VALU_DEP_1)
	v_dual_sub_f32 v31, v44, v23 :: v_dual_mul_f32 v44, 0x3fb8aa3b, v29
	v_rndne_f32_e32 v66, v44
	v_fma_f32 v65, 0x3fb8aa3b, v29, -v44
	s_delay_alu instid0(VALU_DEP_2)
	v_sub_f32_e32 v44, v44, v66
	v_sub_f32_e32 v33, v48, v23
	;; [unrolled: 1-line block ×6, first 2 shown]
	v_mul_f32_e32 v48, 0x3fb8aa3b, v33
	v_sub_f32_e32 v30, v43, v23
	v_sub_f32_e32 v32, v47, v23
	;; [unrolled: 1-line block ×4, first 2 shown]
	v_rndne_f32_e32 v74, v48
	v_sub_f32_e32 v25, v50, v23
	v_mul_f32_e32 v50, 0x3fb8aa3b, v35
	v_sub_f32_e32 v38, v57, v23
	v_cmp_ngt_f32_e32 vcc_lo, 0xc2ce8ed0, v24
	v_cvt_i32_f32_e32 v66, v66
	s_delay_alu instid0(VALU_DEP_4) | instskip(SKIP_1) | instid1(VALU_DEP_2)
	v_rndne_f32_e32 v78, v50
	v_fma_f32 v77, 0x3fb8aa3b, v35, -v50
	v_sub_f32_e32 v50, v50, v78
	v_mul_f32_e32 v46, 0x3fb8aa3b, v31
	v_cvt_i32_f32_e32 v78, v78
	s_delay_alu instid0(VALU_DEP_2) | instskip(SKIP_2) | instid1(VALU_DEP_3)
	v_rndne_f32_e32 v70, v46
	v_sub_f32_e32 v27, v52, v23
	v_fma_f32 v69, 0x3fb8aa3b, v31, -v46
	v_sub_f32_e32 v46, v46, v70
	s_delay_alu instid0(VALU_DEP_3) | instskip(NEXT) | instid1(VALU_DEP_3)
	v_mul_f32_e32 v42, 0x3fb8aa3b, v27
	v_fmac_f32_e32 v69, 0x32a5705f, v31
	v_mul_f32_e32 v39, 0x3fb8aa3b, v24
	v_cvt_i32_f32_e32 v70, v70
	s_delay_alu instid0(VALU_DEP_4) | instskip(NEXT) | instid1(VALU_DEP_4)
	v_fma_f32 v61, 0x3fb8aa3b, v27, -v42
	v_add_f32_e32 v46, v46, v69
	v_rndne_f32_e32 v62, v42
	v_fma_f32 v55, 0x3fb8aa3b, v24, -v39
	s_delay_alu instid0(VALU_DEP_4) | instskip(NEXT) | instid1(VALU_DEP_4)
	v_fmac_f32_e32 v61, 0x32a5705f, v27
	v_exp_f32_e32 v46, v46
	s_delay_alu instid0(VALU_DEP_3) | instskip(SKIP_2) | instid1(VALU_DEP_3)
	v_dual_sub_f32 v42, v42, v62 :: v_dual_sub_f32 v37, v56, v23
	v_rndne_f32_e32 v56, v39
	v_cvt_i32_f32_e32 v62, v62
	v_add_f32_e32 v42, v42, v61
	s_delay_alu instid0(VALU_DEP_4)
	v_mul_f32_e32 v52, 0x3fb8aa3b, v37
	s_waitcnt_depctr 0xfff
	v_ldexp_f32 v46, v46, v70
	v_fmac_f32_e32 v55, 0x32a5705f, v24
	v_rndne_f32_e32 v82, v52
	v_fma_f32 v81, 0x3fb8aa3b, v37, -v52
	v_exp_f32_e32 v42, v42
	s_delay_alu instid0(VALU_DEP_2) | instskip(SKIP_1) | instid1(VALU_DEP_3)
	v_dual_sub_f32 v52, v52, v82 :: v_dual_fmac_f32 v65, 0x32a5705f, v29
	v_sub_f32_e32 v23, v58, v23
	v_fmac_f32_e32 v81, 0x32a5705f, v37
	v_mul_f32_e32 v45, 0x3fb8aa3b, v30
	v_cvt_i32_f32_e32 v82, v82
	v_add_f32_e32 v44, v44, v65
	v_mul_f32_e32 v54, 0x3fb8aa3b, v23
	v_add_f32_e32 v52, v52, v81
	s_delay_alu instid0(TRANS32_DEP_1)
	v_ldexp_f32 v42, v42, v62
	v_fma_f32 v67, 0x3fb8aa3b, v30, -v45
	v_rndne_f32_e32 v68, v45
	v_rndne_f32_e32 v86, v54
	v_fma_f32 v85, 0x3fb8aa3b, v23, -v54
	v_exp_f32_e32 v52, v52
	v_fmac_f32_e32 v67, 0x32a5705f, v30
	v_exp_f32_e32 v44, v44
	v_sub_f32_e32 v54, v54, v86
	v_fma_f32 v73, 0x3fb8aa3b, v33, -v48
	v_sub_f32_e32 v48, v48, v74
	v_mul_f32_e32 v40, 0x3fb8aa3b, v25
	v_cvt_i32_f32_e32 v74, v74
	v_fmac_f32_e32 v85, 0x32a5705f, v23
	v_fmac_f32_e32 v73, 0x32a5705f, v33
	v_mul_f32_e32 v41, 0x3fb8aa3b, v26
	v_fma_f32 v57, 0x3fb8aa3b, v25, -v40
	v_rndne_f32_e32 v58, v40
	v_ldexp_f32 v52, v52, v82
	v_add_f32_e32 v48, v48, v73
	v_fma_f32 v59, 0x3fb8aa3b, v26, -v41
	v_rndne_f32_e32 v60, v41
	v_sub_f32_e32 v40, v40, v58
	v_cvt_i32_f32_e32 v58, v58
	v_exp_f32_e32 v48, v48
	v_fmac_f32_e32 v59, 0x32a5705f, v26
	v_dual_mul_f32 v47, 0x3fb8aa3b, v32 :: v_dual_add_f32 v54, v54, v85
	v_ldexp_f32 v44, v44, v66
	s_delay_alu instid0(VALU_DEP_2) | instskip(SKIP_1) | instid1(VALU_DEP_4)
	v_fma_f32 v71, 0x3fb8aa3b, v32, -v47
	v_rndne_f32_e32 v72, v47
	v_exp_f32_e32 v54, v54
	s_delay_alu instid0(TRANS32_DEP_2) | instskip(SKIP_1) | instid1(VALU_DEP_1)
	v_ldexp_f32 v48, v48, v74
	v_fmac_f32_e32 v57, 0x32a5705f, v25
	v_dual_fmac_f32 v71, 0x32a5705f, v32 :: v_dual_add_f32 v40, v40, v57
	v_fmac_f32_e32 v77, 0x32a5705f, v35
	v_mul_f32_e32 v43, 0x3fb8aa3b, v28
	s_delay_alu instid0(VALU_DEP_3) | instskip(NEXT) | instid1(VALU_DEP_2)
	v_exp_f32_e32 v40, v40
	v_add_f32_e32 v50, v50, v77
	s_delay_alu instid0(VALU_DEP_2) | instskip(SKIP_1) | instid1(VALU_DEP_3)
	v_fma_f32 v63, 0x3fb8aa3b, v28, -v43
	v_rndne_f32_e32 v64, v43
	v_exp_f32_e32 v50, v50
	s_delay_alu instid0(VALU_DEP_2)
	v_fmac_f32_e32 v63, 0x32a5705f, v28
	s_waitcnt_depctr 0xfff
	v_ldexp_f32 v40, v40, v58
	v_ldexp_f32 v50, v50, v78
	v_sub_f32_e32 v39, v39, v56
	v_cvt_i32_f32_e32 v56, v56
	s_delay_alu instid0(VALU_DEP_2) | instskip(NEXT) | instid1(VALU_DEP_1)
	v_add_f32_e32 v39, v39, v55
	v_exp_f32_e32 v39, v39
	s_waitcnt_depctr 0xfff
	v_ldexp_f32 v39, v39, v56
	s_delay_alu instid0(VALU_DEP_1) | instskip(SKIP_4) | instid1(VALU_DEP_4)
	v_cndmask_b32_e32 v39, 0, v39, vcc_lo
	v_sub_f32_e32 v41, v41, v60
	v_cvt_i32_f32_e32 v60, v60
	v_cmp_ngt_f32_e32 vcc_lo, 0xc2ce8ed0, v25
	v_mul_f32_e32 v49, 0x3fb8aa3b, v34
	v_dual_add_f32 v41, v41, v59 :: v_dual_cndmask_b32 v40, 0, v40
	v_cmp_ngt_f32_e32 vcc_lo, 0xc2ce8ed0, v26
	s_delay_alu instid0(VALU_DEP_3) | instskip(NEXT) | instid1(VALU_DEP_3)
	v_fma_f32 v75, 0x3fb8aa3b, v34, -v49
	v_exp_f32_e32 v41, v41
	v_rndne_f32_e32 v76, v49
	s_delay_alu instid0(VALU_DEP_2) | instskip(SKIP_2) | instid1(VALU_DEP_1)
	v_fmac_f32_e32 v75, 0x32a5705f, v34
	s_waitcnt_depctr 0xfff
	v_ldexp_f32 v41, v41, v60
	v_cndmask_b32_e32 v41, 0, v41, vcc_lo
	v_sub_f32_e32 v43, v43, v64
	v_cvt_i32_f32_e32 v64, v64
	v_cmp_ngt_f32_e32 vcc_lo, 0xc2ce8ed0, v27
	v_mul_f32_e32 v51, 0x3fb8aa3b, v36
	s_delay_alu instid0(VALU_DEP_4) | instskip(SKIP_1) | instid1(VALU_DEP_3)
	v_dual_add_f32 v43, v43, v63 :: v_dual_cndmask_b32 v42, 0, v42
	v_cmp_ngt_f32_e32 vcc_lo, 0xc2ce8ed0, v28
	v_fma_f32 v79, 0x3fb8aa3b, v36, -v51
	s_delay_alu instid0(VALU_DEP_3) | instskip(SKIP_1) | instid1(VALU_DEP_2)
	v_exp_f32_e32 v43, v43
	v_rndne_f32_e32 v80, v51
	v_fmac_f32_e32 v79, 0x32a5705f, v36
	s_waitcnt_depctr 0xfff
	v_ldexp_f32 v43, v43, v64
	s_delay_alu instid0(VALU_DEP_1) | instskip(SKIP_4) | instid1(VALU_DEP_4)
	v_cndmask_b32_e32 v43, 0, v43, vcc_lo
	v_sub_f32_e32 v45, v45, v68
	v_cvt_i32_f32_e32 v68, v68
	v_cmp_ngt_f32_e32 vcc_lo, 0xc2ce8ed0, v29
	v_mul_f32_e32 v53, 0x3fb8aa3b, v38
	v_dual_add_f32 v45, v45, v67 :: v_dual_cndmask_b32 v44, 0, v44
	v_cmp_ngt_f32_e32 vcc_lo, 0xc2ce8ed0, v30
	s_delay_alu instid0(VALU_DEP_3) | instskip(NEXT) | instid1(VALU_DEP_3)
	v_rndne_f32_e32 v84, v53
	v_exp_f32_e32 v45, v45
	v_fma_f32 v83, 0x3fb8aa3b, v38, -v53
	s_waitcnt_depctr 0xfff
	v_ldexp_f32 v45, v45, v68
	s_delay_alu instid0(VALU_DEP_1) | instskip(SKIP_3) | instid1(VALU_DEP_3)
	v_cndmask_b32_e32 v45, 0, v45, vcc_lo
	v_sub_f32_e32 v47, v47, v72
	v_cmp_ngt_f32_e32 vcc_lo, 0xc2ce8ed0, v31
	v_cvt_i32_f32_e32 v72, v72
	v_dual_add_f32 v47, v47, v71 :: v_dual_cndmask_b32 v46, 0, v46
	v_sub_f32_e32 v49, v49, v76
	v_cmp_ngt_f32_e32 vcc_lo, 0xc2ce8ed0, v32
	v_cvt_i32_f32_e32 v76, v76
	s_delay_alu instid0(VALU_DEP_4) | instskip(NEXT) | instid1(VALU_DEP_3)
	v_exp_f32_e32 v47, v47
	v_add_f32_e32 v49, v49, v75
	s_delay_alu instid0(VALU_DEP_1) | instskip(SKIP_2) | instid1(VALU_DEP_1)
	v_exp_f32_e32 v49, v49
	s_waitcnt_depctr 0xfff
	v_ldexp_f32 v47, v47, v72
	v_cndmask_b32_e32 v47, 0, v47, vcc_lo
	v_cmp_ngt_f32_e32 vcc_lo, 0xc2ce8ed0, v33
	v_ldexp_f32 v49, v49, v76
	v_cndmask_b32_e32 v48, 0, v48, vcc_lo
	v_cmp_ngt_f32_e32 vcc_lo, 0xc2ce8ed0, v34
	s_delay_alu instid0(VALU_DEP_3) | instskip(SKIP_3) | instid1(VALU_DEP_3)
	v_cndmask_b32_e32 v49, 0, v49, vcc_lo
	v_sub_f32_e32 v51, v51, v80
	v_cvt_i32_f32_e32 v80, v80
	v_cmp_ngt_f32_e32 vcc_lo, 0xc2ce8ed0, v35
	v_dual_add_f32 v51, v51, v79 :: v_dual_cndmask_b32 v50, 0, v50
	v_cmp_ngt_f32_e32 vcc_lo, 0xc2ce8ed0, v36
	s_delay_alu instid0(VALU_DEP_2) | instskip(SKIP_2) | instid1(VALU_DEP_1)
	v_exp_f32_e32 v51, v51
	s_waitcnt_depctr 0xfff
	v_ldexp_f32 v51, v51, v80
	v_cndmask_b32_e32 v51, 0, v51, vcc_lo
	v_cmp_ngt_f32_e32 vcc_lo, 0xc2ce8ed0, v37
	v_cndmask_b32_e32 v52, 0, v52, vcc_lo
	v_cmp_nlt_f32_e32 vcc_lo, 0x42b17218, v24
	v_cndmask_b32_e32 v24, 0x7f800000, v39, vcc_lo
	v_cmp_nlt_f32_e32 vcc_lo, 0x42b17218, v25
	;; [unrolled: 2-line block ×6, first 2 shown]
	v_cndmask_b32_e32 v29, 0x7f800000, v44, vcc_lo
	v_cmp_lt_i32_e32 vcc_lo, 0, v19
	v_cndmask_b32_e32 v24, 0, v24, vcc_lo
	v_cmp_lt_i32_e32 vcc_lo, 32, v19
	s_waitcnt vmcnt(15)
	s_delay_alu instid0(VALU_DEP_2) | instskip(SKIP_2) | instid1(VALU_DEP_2)
	v_dual_mul_f32 v20, v20, v24 :: v_dual_cndmask_b32 v25, 0, v25
	v_cmp_nlt_f32_e32 vcc_lo, 0x42b17218, v30
	s_waitcnt vmcnt(14)
	v_mul_f32_e32 v21, v21, v25
	v_cndmask_b32_e32 v30, 0x7f800000, v45, vcc_lo
	v_cmp_lt_i32_e32 vcc_lo, 64, v19
	v_cndmask_b32_e32 v26, 0, v26, vcc_lo
	v_cmp_nlt_f32_e32 vcc_lo, 0x42b17218, v31
	s_waitcnt vmcnt(13)
	s_delay_alu instid0(VALU_DEP_2)
	v_mul_f32_e32 v22, v22, v26
	v_cndmask_b32_e32 v24, 0x7f800000, v46, vcc_lo
	v_cmp_lt_i32_e32 vcc_lo, 0x60, v19
	v_dual_add_f32 v26, v20, v21 :: v_dual_cndmask_b32 v25, 0, v27
	v_cmp_nlt_f32_e32 vcc_lo, 0x42b17218, v32
	s_waitcnt vmcnt(12)
	s_delay_alu instid0(VALU_DEP_2)
	v_mul_f32_e32 v15, v15, v25
	v_cndmask_b32_e32 v27, 0x7f800000, v47, vcc_lo
	v_cmp_lt_i32_e32 vcc_lo, 0x80, v19
	v_dual_add_f32 v25, v26, v22 :: v_dual_cndmask_b32 v28, 0, v28
	v_cmp_nlt_f32_e32 vcc_lo, 0x42b17218, v33
	s_waitcnt vmcnt(11)
	s_delay_alu instid0(VALU_DEP_2) | instskip(SKIP_2) | instid1(VALU_DEP_3)
	v_dual_add_f32 v25, v25, v15 :: v_dual_mul_f32 v16, v16, v28
	v_cndmask_b32_e32 v26, 0x7f800000, v48, vcc_lo
	v_cmp_lt_i32_e32 vcc_lo, 0xa0, v19
	v_add_f32_e32 v25, v25, v16
	v_cndmask_b32_e32 v29, 0, v29, vcc_lo
	v_cmp_nlt_f32_e32 vcc_lo, 0x42b17218, v34
	s_waitcnt vmcnt(10)
	s_delay_alu instid0(VALU_DEP_2) | instskip(SKIP_2) | instid1(VALU_DEP_3)
	v_mul_f32_e32 v5, v5, v29
	v_cndmask_b32_e32 v28, 0x7f800000, v49, vcc_lo
	v_cmp_lt_i32_e32 vcc_lo, 0xc0, v19
	v_dual_add_f32 v25, v25, v5 :: v_dual_cndmask_b32 v30, 0, v30
	v_cmp_nlt_f32_e32 vcc_lo, 0x42b17218, v35
	s_waitcnt vmcnt(9)
	s_delay_alu instid0(VALU_DEP_2)
	v_mul_f32_e32 v6, v6, v30
	v_cndmask_b32_e32 v29, 0x7f800000, v50, vcc_lo
	v_cmp_lt_i32_e32 vcc_lo, 0xe0, v19
	v_cndmask_b32_e32 v24, 0, v24, vcc_lo
	v_cmp_nlt_f32_e32 vcc_lo, 0x42b17218, v36
	v_sub_f32_e32 v53, v53, v84
	v_cvt_i32_f32_e32 v84, v84
	s_waitcnt vmcnt(8)
	v_dual_mul_f32 v7, v7, v24 :: v_dual_cndmask_b32 v30, 0x7f800000, v51
	v_cmp_lt_i32_e32 vcc_lo, 0x100, v19
	v_dual_add_f32 v24, v25, v6 :: v_dual_cndmask_b32 v27, 0, v27
	v_cmp_lt_i32_e32 vcc_lo, 0x120, v19
	s_delay_alu instid0(VALU_DEP_2) | instskip(SKIP_1) | instid1(VALU_DEP_3)
	v_add_f32_e32 v24, v24, v7
	s_waitcnt vmcnt(7)
	v_dual_mul_f32 v8, v8, v27 :: v_dual_cndmask_b32 v25, 0, v26
	v_cmp_lt_i32_e32 vcc_lo, 0x140, v19
	s_delay_alu instid0(VALU_DEP_2) | instskip(SKIP_1) | instid1(VALU_DEP_3)
	v_dual_fmac_f32 v83, 0x32a5705f, v38 :: v_dual_add_f32 v24, v24, v8
	s_waitcnt vmcnt(6)
	v_dual_mul_f32 v9, v9, v25 :: v_dual_cndmask_b32 v26, 0, v28
	s_delay_alu instid0(VALU_DEP_2) | instskip(SKIP_1) | instid1(VALU_DEP_3)
	v_add_f32_e32 v53, v53, v83
	v_cmp_lt_i32_e32 vcc_lo, 0x160, v19
	v_add_f32_e32 v24, v24, v9
	s_waitcnt vmcnt(5)
	v_mul_f32_e32 v10, v10, v26
	v_exp_f32_e32 v53, v53
	v_cndmask_b32_e32 v27, 0, v29, vcc_lo
	v_cmp_lt_i32_e32 vcc_lo, 0x180, v19
	s_waitcnt vmcnt(4)
	s_delay_alu instid0(VALU_DEP_2) | instskip(SKIP_3) | instid1(TRANS32_DEP_1)
	v_dual_add_f32 v24, v24, v10 :: v_dual_mul_f32 v11, v11, v27
	v_cndmask_b32_e32 v28, 0, v30, vcc_lo
	v_cmp_nlt_f32_e32 vcc_lo, 0x42b17218, v37
	v_cvt_i32_f32_e32 v27, v86
	v_ldexp_f32 v53, v53, v84
	v_add_f32_e32 v24, v24, v11
	s_waitcnt vmcnt(3)
	v_mul_f32_e32 v12, v12, v28
	v_cndmask_b32_e32 v25, 0x7f800000, v52, vcc_lo
	v_cmp_ngt_f32_e32 vcc_lo, 0xc2ce8ed0, v38
	s_delay_alu instid0(VALU_DEP_3)
	v_add_f32_e32 v24, v24, v12
	v_cndmask_b32_e32 v26, 0, v53, vcc_lo
	v_cmp_lt_i32_e32 vcc_lo, 0x1a0, v19
	v_cndmask_b32_e32 v25, 0, v25, vcc_lo
	v_cmp_nlt_f32_e32 vcc_lo, 0x42b17218, v38
	s_waitcnt vmcnt(2)
	s_delay_alu instid0(VALU_DEP_2) | instskip(SKIP_2) | instid1(VALU_DEP_3)
	v_dual_mul_f32 v17, v17, v25 :: v_dual_cndmask_b32 v26, 0x7f800000, v26
	v_cmp_lt_i32_e32 vcc_lo, 0x1c0, v19
	v_ldexp_f32 v25, v54, v27
	v_add_f32_e32 v24, v24, v17
	s_delay_alu instid0(VALU_DEP_4) | instskip(SKIP_2) | instid1(VALU_DEP_2)
	v_cndmask_b32_e32 v26, 0, v26, vcc_lo
	v_cmp_ngt_f32_e32 vcc_lo, 0xc2ce8ed0, v23
	s_waitcnt vmcnt(1)
	v_dual_mul_f32 v18, v18, v26 :: v_dual_cndmask_b32 v25, 0, v25
	v_cmp_nlt_f32_e32 vcc_lo, 0x42b17218, v23
	s_delay_alu instid0(VALU_DEP_2) | instskip(SKIP_1) | instid1(VALU_DEP_2)
	v_cndmask_b32_e32 v23, 0x7f800000, v25, vcc_lo
	v_cmp_lt_i32_e32 vcc_lo, 0x1e0, v19
	v_cndmask_b32_e32 v19, 0, v23, vcc_lo
	v_add_f32_e32 v23, v24, v18
	s_waitcnt vmcnt(0)
	s_delay_alu instid0(VALU_DEP_1)
	v_fmac_f32_e32 v23, v14, v19
	ds_bpermute_b32 v1, v1, v23
	s_waitcnt lgkmcnt(0)
	v_add_f32_e32 v1, v23, v1
	ds_bpermute_b32 v4, v4, v1
	s_waitcnt lgkmcnt(0)
	v_dual_add_f32 v1, v1, v4 :: v_dual_mul_f32 v4, v14, v19
	ds_bpermute_b32 v3, v3, v1
	s_waitcnt lgkmcnt(0)
	v_add_f32_e32 v1, v1, v3
	v_lshlrev_b32_e32 v3, 2, v0
	ds_bpermute_b32 v2, v2, v1
	ds_store_2addr_b32 v3, v20, v21 offset1:32
	s_waitcnt lgkmcnt(1)
	v_add_f32_e32 v1, v1, v2
	ds_bpermute_b32 v2, v13, v1
	v_add_nc_u32_e32 v13, 0x400, v3
	ds_store_2addr_b32 v3, v22, v15 offset0:64 offset1:96
	ds_store_2addr_b32 v3, v16, v5 offset0:128 offset1:160
	;; [unrolled: 1-line block ×3, first 2 shown]
	ds_store_2addr_b32 v13, v8, v9 offset1:32
	ds_store_2addr_b32 v13, v10, v11 offset0:64 offset1:96
	ds_store_2addr_b32 v13, v12, v17 offset0:128 offset1:160
	ds_store_2addr_b32 v13, v18, v4 offset0:192 offset1:224
	v_cmpx_eq_u32_e32 0, v0
	s_cbranch_execz .LBB229_8
; %bb.7:
	s_waitcnt lgkmcnt(7)
	v_dual_add_f32 v1, v1, v2 :: v_dual_mov_b32 v2, 0
	ds_store_b32 v2, v1 offset:2048
.LBB229_8:
	s_or_b32 exec_lo, exec_lo, s7
	v_mov_b32_e32 v1, s6
.LBB229_9:
	s_or_b32 exec_lo, exec_lo, s24
	s_lshl_b32 s6, s18, 7
	s_mov_b32 s7, 0
	s_waitcnt lgkmcnt(7)
	v_dual_mov_b32 v2, 0 :: v_dual_lshlrev_b32 v1, 7, v1
	s_lshl_b64 s[6:7], s[6:7], 1
	v_dual_mov_b32 v29, 0 :: v_dual_mov_b32 v30, 0
	s_add_u32 s34, s4, s6
	s_addc_u32 s35, s5, s7
	s_lshl_b32 s41, s40, 7
	v_lshlrev_b64 v[3:4], 1, v[1:2]
	s_add_i32 s42, s41, 0xffffff80
	s_cmpk_lt_i32 s22, 0x100
	v_lshlrev_b32_e32 v1, 1, v0
	s_cselect_b32 s4, s42, 0
	v_dual_mov_b32 v31, 0 :: v_dual_mov_b32 v32, 0
	s_ashr_i32 s5, s4, 31
	v_add_co_u32 v3, vcc_lo, s34, v3
	s_lshl_b64 s[4:5], s[4:5], 1
	s_cmpk_lt_i32 s22, 0x200
	v_add_co_ci_u32_e32 v4, vcc_lo, s35, v4, vcc_lo
	s_cselect_b32 s6, s42, 0x80
	v_add_co_u32 v1, vcc_lo, v3, v1
	s_ashr_i32 s7, s6, 31
	s_delay_alu instid0(VALU_DEP_2)
	v_add_co_ci_u32_e32 v3, vcc_lo, 0, v4, vcc_lo
	s_lshl_b64 s[6:7], s[6:7], 1
	s_cmpk_lt_i32 s22, 0x300
	v_add_co_u32 v4, vcc_lo, v1, s4
	s_cselect_b32 s8, s42, 0x100
	v_add_co_ci_u32_e32 v5, vcc_lo, s5, v3, vcc_lo
	s_ashr_i32 s9, s8, 31
	v_add_co_u32 v8, vcc_lo, v1, s6
	s_lshl_b64 s[8:9], s[8:9], 1
	s_cmpk_lt_i32 s22, 0x400
	v_add_co_ci_u32_e32 v9, vcc_lo, s7, v3, vcc_lo
	s_cselect_b32 s10, s42, 0x180
	v_add_co_u32 v10, vcc_lo, v1, s8
	s_ashr_i32 s11, s10, 31
	v_add_co_ci_u32_e32 v11, vcc_lo, s9, v3, vcc_lo
	s_lshl_b64 s[10:11], s[10:11], 1
	s_cmpk_lt_i32 s22, 0x500
	v_add_co_u32 v12, vcc_lo, v1, s10
	s_cselect_b32 s18, s42, 0x200
	v_add_co_ci_u32_e32 v13, vcc_lo, s11, v3, vcc_lo
	s_ashr_i32 s19, s18, 31
	v_dual_mov_b32 v33, 0 :: v_dual_mov_b32 v34, 0
	s_lshl_b64 s[18:19], s[18:19], 1
	s_cmpk_lt_i32 s22, 0x600
	v_add_co_u32 v14, vcc_lo, v1, s18
	s_cselect_b32 s20, s42, 0x280
	v_add_co_ci_u32_e32 v15, vcc_lo, s19, v3, vcc_lo
	s_ashr_i32 s21, s20, 31
	v_mov_b32_e32 v35, 0
	s_lshl_b64 s[20:21], s[20:21], 1
	s_cmpk_lt_i32 s22, 0x700
	v_add_co_u32 v16, vcc_lo, v1, s20
	s_cselect_b32 s24, s42, 0x300
	v_add_co_ci_u32_e32 v17, vcc_lo, s21, v3, vcc_lo
	s_ashr_i32 s25, s24, 31
	s_delay_alu instid0(SALU_CYCLE_1)
	s_lshl_b64 s[24:25], s[24:25], 1
	s_cmpk_lt_i32 s22, 0x800
	v_add_co_u32 v18, vcc_lo, v1, s24
	s_cselect_b32 s26, s42, 0x380
	v_add_co_ci_u32_e32 v19, vcc_lo, s25, v3, vcc_lo
	s_ashr_i32 s27, s26, 31
	s_delay_alu instid0(SALU_CYCLE_1)
	s_lshl_b64 s[26:27], s[26:27], 1
	s_cmpk_lt_i32 s22, 0x900
	v_add_co_u32 v20, vcc_lo, v1, s26
	s_cselect_b32 s28, s42, 0x400
	v_add_co_ci_u32_e32 v21, vcc_lo, s27, v3, vcc_lo
	s_ashr_i32 s29, s28, 31
	s_clause 0x7
	global_load_u16 v7, v[4:5], off
	global_load_u16 v8, v[8:9], off
	;; [unrolled: 1-line block ×8, first 2 shown]
	s_lshl_b64 s[28:29], s[28:29], 1
	s_cmpk_lt_i32 s22, 0xa00
	v_add_co_u32 v12, vcc_lo, v1, s28
	s_cselect_b32 s30, s42, 0x480
	v_add_co_ci_u32_e32 v13, vcc_lo, s29, v3, vcc_lo
	s_ashr_i32 s31, s30, 31
	s_delay_alu instid0(SALU_CYCLE_1)
	s_lshl_b64 s[30:31], s[30:31], 1
	s_cmpk_lt_i32 s22, 0xb00
	v_add_co_u32 v15, vcc_lo, v1, s30
	s_cselect_b32 s34, s42, 0x500
	v_add_co_ci_u32_e32 v16, vcc_lo, s31, v3, vcc_lo
	s_ashr_i32 s35, s34, 31
	s_delay_alu instid0(SALU_CYCLE_1)
	;; [unrolled: 7-line block ×7, first 2 shown]
	s_lshl_b64 s[4:5], s[6:7], 1
	s_cmpk_gt_i32 s23, 0x1000
	v_add_co_u32 v27, vcc_lo, v1, s4
	v_add_co_ci_u32_e32 v28, vcc_lo, s5, v3, vcc_lo
	s_clause 0x7
	global_load_u16 v14, v[12:13], off
	global_load_u16 v15, v[15:16], off
	global_load_u16 v16, v[17:18], off
	global_load_u16 v17, v[19:20], off
	global_load_u16 v18, v[21:22], off
	global_load_u16 v12, v[23:24], off
	global_load_u16 v13, v[25:26], off
	global_load_u16 v19, v[27:28], off
	v_dual_mov_b32 v20, 0 :: v_dual_mov_b32 v21, 0
	v_dual_mov_b32 v22, 0 :: v_dual_mov_b32 v23, 0
	;; [unrolled: 1-line block ×4, first 2 shown]
	v_mov_b32_e32 v28, 0
	s_cselect_b32 s8, -1, 0
	s_cmpk_lt_i32 s23, 0x1001
	s_waitcnt vmcnt(0) lgkmcnt(0)
	s_barrier
	buffer_gl0_inv
	s_cbranch_scc1 .LBB229_11
; %bb.10:
	s_cmpk_lt_i32 s22, 0x1100
	s_cselect_b32 s4, s42, 0x800
	s_delay_alu instid0(SALU_CYCLE_1) | instskip(NEXT) | instid1(SALU_CYCLE_1)
	s_ashr_i32 s5, s4, 31
	s_lshl_b64 s[4:5], s[4:5], 1
	s_cmpk_lt_i32 s22, 0x1200
	v_add_co_u32 v20, vcc_lo, v1, s4
	s_cselect_b32 s6, s42, 0x880
	v_add_co_ci_u32_e32 v21, vcc_lo, s5, v3, vcc_lo
	s_ashr_i32 s7, s6, 31
	s_delay_alu instid0(SALU_CYCLE_1)
	s_lshl_b64 s[6:7], s[6:7], 1
	s_cmpk_lt_i32 s22, 0x1300
	v_add_co_u32 v22, vcc_lo, v1, s6
	s_cselect_b32 s10, s42, 0x900
	v_add_co_ci_u32_e32 v23, vcc_lo, s7, v3, vcc_lo
	s_ashr_i32 s11, s10, 31
	s_delay_alu instid0(SALU_CYCLE_1)
	;; [unrolled: 7-line block ×7, first 2 shown]
	s_lshl_b64 s[28:29], s[28:29], 1
	s_cmpk_lt_i32 s22, 0x1900
	v_add_co_u32 v34, vcc_lo, v1, s28
	s_cselect_b32 s30, s42, 0xc00
	v_add_co_ci_u32_e32 v35, vcc_lo, s29, v3, vcc_lo
	s_ashr_i32 s31, s30, 31
	s_clause 0x7
	global_load_u16 v36, v[20:21], off
	global_load_u16 v37, v[22:23], off
	;; [unrolled: 1-line block ×8, first 2 shown]
	s_lshl_b64 s[30:31], s[30:31], 1
	s_cmpk_lt_i32 s22, 0x1a00
	v_add_co_u32 v20, vcc_lo, v1, s30
	s_cselect_b32 s34, s42, 0xc80
	v_add_co_ci_u32_e32 v21, vcc_lo, s31, v3, vcc_lo
	s_ashr_i32 s35, s34, 31
	s_delay_alu instid0(SALU_CYCLE_1)
	s_lshl_b64 s[34:35], s[34:35], 1
	s_cmpk_lt_i32 s22, 0x1b00
	v_add_co_u32 v22, vcc_lo, v1, s34
	s_cselect_b32 s36, s42, 0xd00
	v_add_co_ci_u32_e32 v23, vcc_lo, s35, v3, vcc_lo
	s_ashr_i32 s37, s36, 31
	s_delay_alu instid0(SALU_CYCLE_1)
	;; [unrolled: 7-line block ×6, first 2 shown]
	s_lshl_b64 s[4:5], s[20:21], 1
	s_cmpk_lt_i32 s22, 0x2000
	v_add_co_u32 v32, vcc_lo, v1, s4
	s_cselect_b32 s6, s42, 0xf80
	v_add_co_ci_u32_e32 v33, vcc_lo, s5, v3, vcc_lo
	s_ashr_i32 s7, s6, 31
	s_delay_alu instid0(SALU_CYCLE_1) | instskip(NEXT) | instid1(SALU_CYCLE_1)
	s_lshl_b64 s[4:5], s[6:7], 1
	v_add_co_u32 v34, vcc_lo, v1, s4
	v_add_co_ci_u32_e32 v35, vcc_lo, s5, v3, vcc_lo
	s_clause 0x7
	global_load_u16 v20, v[20:21], off
	global_load_u16 v21, v[22:23], off
	;; [unrolled: 1-line block ×8, first 2 shown]
	s_waitcnt vmcnt(15)
	v_cvt_f32_f16_e32 v35, v36
	s_waitcnt vmcnt(14)
	v_cvt_f32_f16_e32 v34, v37
	;; [unrolled: 2-line block ×16, first 2 shown]
.LBB229_11:
	ds_load_b128 v[36:39], v2
	ds_load_b128 v[40:43], v2 offset:16
	s_load_b64 s[0:1], s[0:1], 0x0
	s_and_b32 vcc_lo, exec_lo, s8
	s_waitcnt lgkmcnt(0)
	v_fma_mix_f32 v7, v36, v7, 0 op_sel_hi:[0,1,0]
	s_delay_alu instid0(VALU_DEP_1) | instskip(NEXT) | instid1(VALU_DEP_1)
	v_fma_mix_f32 v7, v37, v8, v7 op_sel_hi:[0,1,0]
	v_fma_mix_f32 v7, v38, v9, v7 op_sel_hi:[0,1,0]
	s_delay_alu instid0(VALU_DEP_1) | instskip(SKIP_4) | instid1(VALU_DEP_1)
	v_fma_mix_f32 v7, v39, v10, v7 op_sel_hi:[0,1,0]
	ds_load_b128 v[36:39], v2 offset:48
	v_fma_mix_f32 v11, v40, v11, v7 op_sel_hi:[0,1,0]
	ds_load_b128 v[7:10], v2 offset:32
	v_fma_mix_f32 v4, v41, v4, v11 op_sel_hi:[0,1,0]
	v_fma_mix_f32 v4, v42, v5, v4 op_sel_hi:[0,1,0]
	s_delay_alu instid0(VALU_DEP_1) | instskip(SKIP_1) | instid1(VALU_DEP_1)
	v_fma_mix_f32 v4, v43, v6, v4 op_sel_hi:[0,1,0]
	s_waitcnt lgkmcnt(0)
	v_fma_mix_f32 v4, v7, v14, v4 op_sel_hi:[0,1,0]
	s_delay_alu instid0(VALU_DEP_1) | instskip(NEXT) | instid1(VALU_DEP_1)
	v_fma_mix_f32 v4, v8, v15, v4 op_sel_hi:[0,1,0]
	v_fma_mix_f32 v4, v9, v16, v4 op_sel_hi:[0,1,0]
	s_delay_alu instid0(VALU_DEP_1) | instskip(NEXT) | instid1(VALU_DEP_1)
	v_fma_mix_f32 v4, v10, v17, v4 op_sel_hi:[0,1,0]
	;; [unrolled: 3-line block ×3, first 2 shown]
	v_fma_mix_f32 v4, v38, v13, v4 op_sel_hi:[0,1,0]
	s_delay_alu instid0(VALU_DEP_1)
	v_fma_mix_f32 v4, v39, v19, v4 op_sel_hi:[0,1,0]
	s_cbranch_vccz .LBB229_13
; %bb.12:
	ds_load_b128 v[5:8], v2 offset:64
	ds_load_b128 v[9:12], v2 offset:80
	s_waitcnt lgkmcnt(1)
	v_fmac_f32_e32 v4, v5, v35
	s_delay_alu instid0(VALU_DEP_1) | instskip(NEXT) | instid1(VALU_DEP_1)
	v_fmac_f32_e32 v4, v6, v34
	v_fmac_f32_e32 v4, v7, v33
	s_delay_alu instid0(VALU_DEP_1) | instskip(SKIP_3) | instid1(VALU_DEP_1)
	v_fmac_f32_e32 v4, v8, v32
	ds_load_b128 v[5:8], v2 offset:96
	s_waitcnt lgkmcnt(1)
	v_fmac_f32_e32 v4, v9, v31
	v_fmac_f32_e32 v4, v10, v30
	s_delay_alu instid0(VALU_DEP_1) | instskip(NEXT) | instid1(VALU_DEP_1)
	v_fmac_f32_e32 v4, v11, v29
	v_fmac_f32_e32 v4, v12, v28
	ds_load_b128 v[9:12], v2 offset:112
	s_waitcnt lgkmcnt(1)
	v_fmac_f32_e32 v4, v5, v27
	s_delay_alu instid0(VALU_DEP_1) | instskip(NEXT) | instid1(VALU_DEP_1)
	v_fmac_f32_e32 v4, v6, v26
	v_fmac_f32_e32 v4, v7, v25
	s_delay_alu instid0(VALU_DEP_1) | instskip(SKIP_1) | instid1(VALU_DEP_1)
	v_fmac_f32_e32 v4, v8, v24
	s_waitcnt lgkmcnt(0)
	v_fmac_f32_e32 v4, v9, v23
	s_delay_alu instid0(VALU_DEP_1) | instskip(NEXT) | instid1(VALU_DEP_1)
	v_fmac_f32_e32 v4, v10, v22
	v_fmac_f32_e32 v4, v11, v21
	s_delay_alu instid0(VALU_DEP_1)
	v_fmac_f32_e32 v4, v12, v20
.LBB229_13:
	s_movk_i32 s43, 0x1f80
	s_movk_i32 s44, 0x80
	s_mov_b32 s45, 32
	s_branch .LBB229_15
.LBB229_14:                             ;   in Loop: Header=BB229_15 Depth=1
	s_addk_i32 s43, 0x1000
	s_addk_i32 s44, 0x80
	s_add_i32 s45, s45, 32
	s_cmp_eq_u32 s43, 0x10f80
	s_cbranch_scc1 .LBB229_17
.LBB229_15:                             ; =>This Inner Loop Header: Depth=1
	s_cmp_le_i32 s40, s45
	s_cbranch_scc1 .LBB229_14
; %bb.16:                               ;   in Loop: Header=BB229_15 Depth=1
	s_add_i32 s4, s43, 0xfffff080
	v_mov_b32_e32 v44, s44
	s_cmp_lt_i32 s4, s41
	s_cselect_b32 s4, s4, s42
	s_add_i32 s6, s43, 0xfffff100
	s_ashr_i32 s5, s4, 31
	s_delay_alu instid0(SALU_CYCLE_1)
	s_lshl_b64 s[4:5], s[4:5], 1
	s_cmp_lt_i32 s6, s41
	v_add_co_u32 v5, vcc_lo, v1, s4
	s_cselect_b32 s6, s6, s42
	s_add_i32 s10, s43, 0xfffff180
	s_ashr_i32 s7, s6, 31
	v_add_co_ci_u32_e32 v6, vcc_lo, s5, v3, vcc_lo
	s_lshl_b64 s[8:9], s[6:7], 1
	s_cmp_lt_i32 s10, s41
	v_add_co_u32 v7, vcc_lo, v1, s8
	s_cselect_b32 s6, s10, s42
	s_add_i32 s10, s43, 0xfffff200
	s_ashr_i32 s7, s6, 31
	v_add_co_ci_u32_e32 v8, vcc_lo, s9, v3, vcc_lo
	;; [unrolled: 7-line block ×8, first 2 shown]
	s_lshl_b64 s[24:25], s[20:21], 1
	s_cmp_lt_i32 s28, s41
	s_clause 0x7
	global_load_u16 v2, v[5:6], off
	global_load_u16 v21, v[7:8], off
	;; [unrolled: 1-line block ×8, first 2 shown]
	s_cselect_b32 s20, s28, s42
	s_add_i32 s28, s43, 0xfffff580
	s_ashr_i32 s21, s20, 31
	v_add_co_u32 v5, vcc_lo, v1, s24
	s_lshl_b64 s[20:21], s[20:21], 1
	s_cmp_lt_i32 s28, s41
	v_add_co_ci_u32_e32 v6, vcc_lo, s25, v3, vcc_lo
	s_cselect_b32 s28, s28, s42
	s_add_i32 s36, s43, 0xfffff600
	s_ashr_i32 s29, s28, 31
	v_add_co_u32 v7, vcc_lo, v1, s20
	s_lshl_b64 s[30:31], s[28:29], 1
	s_cmp_lt_i32 s36, s41
	v_add_co_ci_u32_e32 v8, vcc_lo, s21, v3, vcc_lo
	;; [unrolled: 7-line block ×8, first 2 shown]
	s_cselect_b32 s10, s10, s42
	s_add_i32 s18, s43, 0xfffff980
	s_ashr_i32 s11, s10, 31
	s_clause 0x7
	global_load_u16 v28, v[5:6], off
	global_load_u16 v29, v[7:8], off
	global_load_u16 v30, v[9:10], off
	global_load_u16 v31, v[11:12], off
	global_load_u16 v32, v[13:14], off
	global_load_u16 v33, v[15:16], off
	global_load_u16 v17, v[17:18], off
	global_load_u16 v18, v[19:20], off
	s_lshl_b64 s[10:11], s[10:11], 1
	s_cmp_lt_i32 s18, s41
	v_add_co_u32 v5, vcc_lo, v1, s4
	s_cselect_b32 s18, s18, s42
	s_add_i32 s22, s43, 0xfffffa00
	s_ashr_i32 s19, s18, 31
	v_add_co_ci_u32_e32 v6, vcc_lo, s5, v3, vcc_lo
	s_lshl_b64 s[18:19], s[18:19], 1
	s_cmp_lt_i32 s22, s41
	v_add_co_u32 v7, vcc_lo, v1, s10
	s_cselect_b32 s20, s22, s42
	s_add_i32 s22, s43, 0xfffffa80
	s_ashr_i32 s21, s20, 31
	v_add_co_ci_u32_e32 v8, vcc_lo, s11, v3, vcc_lo
	;; [unrolled: 7-line block ×5, first 2 shown]
	s_lshl_b64 s[6:7], s[6:7], 1
	s_cmp_lt_i32 s24, s41
	s_clause 0x4
	global_load_u16 v19, v[5:6], off
	global_load_u16 v20, v[7:8], off
	;; [unrolled: 1-line block ×5, first 2 shown]
	s_cselect_b32 s4, s24, s42
	s_add_i32 s10, s43, 0xfffffc80
	s_ashr_i32 s5, s4, 31
	v_add_co_u32 v5, vcc_lo, v1, s8
	s_lshl_b64 s[4:5], s[4:5], 1
	s_cmp_lt_i32 s10, s41
	v_add_co_ci_u32_e32 v6, vcc_lo, s9, v3, vcc_lo
	s_cselect_b32 s10, s10, s42
	s_add_i32 s18, s43, 0xfffffd00
	s_ashr_i32 s11, s10, 31
	v_add_co_u32 v7, vcc_lo, v1, s6
	s_lshl_b64 s[10:11], s[10:11], 1
	s_cmp_lt_i32 s18, s41
	v_add_co_ci_u32_e32 v8, vcc_lo, s7, v3, vcc_lo
	s_cselect_b32 s18, s18, s42
	s_add_i32 s20, s43, 0xfffffd80
	s_ashr_i32 s19, s18, 31
	v_add_co_u32 v9, vcc_lo, v1, s4
	s_lshl_b64 s[18:19], s[18:19], 1
	s_cmp_lt_i32 s20, s41
	global_load_u16 v37, v[5:6], off
	s_cselect_b32 s8, s20, s42
	s_add_i32 s20, s43, 0xfffffe00
	s_ashr_i32 s9, s8, 31
	v_add_co_ci_u32_e32 v10, vcc_lo, s5, v3, vcc_lo
	s_lshl_b64 s[6:7], s[8:9], 1
	s_cmp_lt_i32 s20, s41
	v_add_co_u32 v11, vcc_lo, v1, s10
	s_cselect_b32 s4, s20, s42
	s_clause 0x1
	global_load_u16 v38, v[7:8], off
	global_load_u16 v39, v[9:10], off
	v_add_co_ci_u32_e32 v12, vcc_lo, s11, v3, vcc_lo
	s_ashr_i32 s5, s4, 31
	s_add_i32 s8, s43, 0xfffffe80
	v_add_co_u32 v13, vcc_lo, v1, s18
	s_lshl_b64 s[4:5], s[4:5], 1
	s_cmp_lt_i32 s8, s41
	v_add_co_ci_u32_e32 v14, vcc_lo, s19, v3, vcc_lo
	v_add_co_u32 v15, vcc_lo, v1, s6
	s_cselect_b32 s8, s8, s42
	v_add_co_ci_u32_e32 v16, vcc_lo, s7, v3, vcc_lo
	s_ashr_i32 s9, s8, 31
	s_add_i32 s10, s43, 0xffffff00
	s_lshl_b64 s[6:7], s[8:9], 1
	s_clause 0x2
	global_load_u16 v40, v[11:12], off
	global_load_u16 v13, v[13:14], off
	;; [unrolled: 1-line block ×3, first 2 shown]
	s_cmp_lt_i32 s10, s41
	v_add_co_u32 v5, vcc_lo, v1, s4
	s_cselect_b32 s8, s10, s42
	s_add_i32 s10, s43, 0xffffff80
	s_ashr_i32 s9, s8, 31
	v_add_co_ci_u32_e32 v6, vcc_lo, s5, v3, vcc_lo
	s_lshl_b64 s[8:9], s[8:9], 1
	s_cmp_lt_i32 s10, s41
	v_add_co_u32 v7, vcc_lo, v1, s6
	s_cselect_b32 s4, s10, s42
	v_add_co_ci_u32_e32 v8, vcc_lo, s7, v3, vcc_lo
	s_ashr_i32 s5, s4, 31
	v_add_co_u32 v9, vcc_lo, v1, s8
	global_load_u16 v15, v[5:6], off
	s_lshl_b64 s[4:5], s[4:5], 1
	v_add_co_ci_u32_e32 v10, vcc_lo, s9, v3, vcc_lo
	s_cmp_lt_i32 s43, s41
	s_clause 0x1
	global_load_u16 v16, v[7:8], off
	global_load_u16 v41, v[9:10], off
	s_cselect_b32 s6, s43, s42
	v_add_co_u32 v5, vcc_lo, v1, s4
	s_ashr_i32 s7, s6, 31
	v_add_co_ci_u32_e32 v6, vcc_lo, s5, v3, vcc_lo
	s_lshl_b64 s[4:5], s[6:7], 1
	s_delay_alu instid0(SALU_CYCLE_1)
	v_add_co_u32 v7, vcc_lo, v1, s4
	v_add_co_ci_u32_e32 v8, vcc_lo, s5, v3, vcc_lo
	s_clause 0x1
	global_load_u16 v42, v[5:6], off
	global_load_u16 v43, v[7:8], off
	ds_load_b128 v[5:8], v44
	ds_load_b128 v[9:12], v44 offset:16
	s_waitcnt vmcnt(31) lgkmcnt(1)
	v_fma_mix_f32 v2, v5, v2, v4 op_sel_hi:[0,1,0]
	s_waitcnt vmcnt(30)
	s_delay_alu instid0(VALU_DEP_1) | instskip(SKIP_1) | instid1(VALU_DEP_1)
	v_fma_mix_f32 v2, v6, v21, v2 op_sel_hi:[0,1,0]
	s_waitcnt vmcnt(29)
	v_fma_mix_f32 v2, v7, v22, v2 op_sel_hi:[0,1,0]
	ds_load_b128 v[4:7], v44 offset:32
	s_waitcnt vmcnt(28)
	v_fma_mix_f32 v2, v8, v23, v2 op_sel_hi:[0,1,0]
	s_waitcnt vmcnt(27) lgkmcnt(1)
	s_delay_alu instid0(VALU_DEP_1) | instskip(SKIP_1) | instid1(VALU_DEP_1)
	v_fma_mix_f32 v2, v9, v24, v2 op_sel_hi:[0,1,0]
	s_waitcnt vmcnt(26)
	v_fma_mix_f32 v2, v10, v25, v2 op_sel_hi:[0,1,0]
	s_waitcnt vmcnt(25)
	s_delay_alu instid0(VALU_DEP_1) | instskip(SKIP_4) | instid1(VALU_DEP_1)
	v_fma_mix_f32 v2, v11, v26, v2 op_sel_hi:[0,1,0]
	ds_load_b128 v[8:11], v44 offset:48
	s_waitcnt vmcnt(24)
	v_fma_mix_f32 v2, v12, v27, v2 op_sel_hi:[0,1,0]
	s_waitcnt vmcnt(23) lgkmcnt(1)
	v_fma_mix_f32 v2, v4, v28, v2 op_sel_hi:[0,1,0]
	s_waitcnt vmcnt(22)
	s_delay_alu instid0(VALU_DEP_1) | instskip(SKIP_1) | instid1(VALU_DEP_1)
	v_fma_mix_f32 v2, v5, v29, v2 op_sel_hi:[0,1,0]
	s_waitcnt vmcnt(21)
	v_fma_mix_f32 v2, v6, v30, v2 op_sel_hi:[0,1,0]
	s_waitcnt vmcnt(20)
	s_delay_alu instid0(VALU_DEP_1) | instskip(SKIP_4) | instid1(VALU_DEP_1)
	v_fma_mix_f32 v2, v7, v31, v2 op_sel_hi:[0,1,0]
	ds_load_b128 v[4:7], v44 offset:64
	s_waitcnt vmcnt(19) lgkmcnt(1)
	v_fma_mix_f32 v2, v8, v32, v2 op_sel_hi:[0,1,0]
	s_waitcnt vmcnt(18)
	v_fma_mix_f32 v2, v9, v33, v2 op_sel_hi:[0,1,0]
	s_waitcnt vmcnt(17)
	s_delay_alu instid0(VALU_DEP_1) | instskip(SKIP_1) | instid1(VALU_DEP_1)
	v_fma_mix_f32 v2, v10, v17, v2 op_sel_hi:[0,1,0]
	s_waitcnt vmcnt(16)
	v_fma_mix_f32 v2, v11, v18, v2 op_sel_hi:[0,1,0]
	ds_load_b128 v[8:11], v44 offset:80
	s_waitcnt vmcnt(15) lgkmcnt(1)
	v_fma_mix_f32 v2, v4, v19, v2 op_sel_hi:[0,1,0]
	s_waitcnt vmcnt(14)
	s_delay_alu instid0(VALU_DEP_1) | instskip(SKIP_1) | instid1(VALU_DEP_1)
	v_fma_mix_f32 v2, v5, v20, v2 op_sel_hi:[0,1,0]
	s_waitcnt vmcnt(13)
	v_fma_mix_f32 v2, v6, v34, v2 op_sel_hi:[0,1,0]
	s_waitcnt vmcnt(12)
	s_delay_alu instid0(VALU_DEP_1) | instskip(SKIP_4) | instid1(VALU_DEP_1)
	v_fma_mix_f32 v2, v7, v35, v2 op_sel_hi:[0,1,0]
	ds_load_b128 v[4:7], v44 offset:96
	s_waitcnt vmcnt(11) lgkmcnt(1)
	v_fma_mix_f32 v2, v8, v36, v2 op_sel_hi:[0,1,0]
	s_waitcnt vmcnt(10)
	v_fma_mix_f32 v2, v9, v37, v2 op_sel_hi:[0,1,0]
	s_waitcnt vmcnt(9)
	s_delay_alu instid0(VALU_DEP_1) | instskip(SKIP_1) | instid1(VALU_DEP_1)
	v_fma_mix_f32 v2, v10, v38, v2 op_sel_hi:[0,1,0]
	s_waitcnt vmcnt(8)
	v_fma_mix_f32 v2, v11, v39, v2 op_sel_hi:[0,1,0]
	ds_load_b128 v[8:11], v44 offset:112
	s_waitcnt vmcnt(7) lgkmcnt(1)
	v_fma_mix_f32 v2, v4, v40, v2 op_sel_hi:[0,1,0]
	s_waitcnt vmcnt(6)
	s_delay_alu instid0(VALU_DEP_1) | instskip(SKIP_1) | instid1(VALU_DEP_1)
	v_fma_mix_f32 v2, v5, v13, v2 op_sel_hi:[0,1,0]
	s_waitcnt vmcnt(5)
	v_fma_mix_f32 v2, v6, v14, v2 op_sel_hi:[0,1,0]
	s_waitcnt vmcnt(4)
	s_delay_alu instid0(VALU_DEP_1) | instskip(SKIP_1) | instid1(VALU_DEP_1)
	v_fma_mix_f32 v2, v7, v15, v2 op_sel_hi:[0,1,0]
	s_waitcnt vmcnt(3) lgkmcnt(0)
	v_fma_mix_f32 v2, v8, v16, v2 op_sel_hi:[0,1,0]
	s_waitcnt vmcnt(2)
	s_delay_alu instid0(VALU_DEP_1) | instskip(SKIP_1) | instid1(VALU_DEP_1)
	v_fma_mix_f32 v2, v9, v41, v2 op_sel_hi:[0,1,0]
	s_waitcnt vmcnt(1)
	v_fma_mix_f32 v2, v10, v42, v2 op_sel_hi:[0,1,0]
	s_waitcnt vmcnt(0)
	s_delay_alu instid0(VALU_DEP_1)
	v_fma_mix_f32 v4, v11, v43, v2 op_sel_hi:[0,1,0]
	s_branch .LBB229_14
.LBB229_17:
	v_mov_b32_e32 v1, 0
	s_and_b32 vcc_lo, exec_lo, s15
	ds_load_b32 v1, v1 offset:2048
	s_cbranch_vccz .LBB229_19
; %bb.18:
	s_add_u32 s2, s12, s16
	s_addc_u32 s3, s13, s17
	s_load_b32 s2, s[2:3], 0x0
	s_mov_b32 s3, 0
.LBB229_19:
	s_waitcnt lgkmcnt(0)
	v_add_f32_e32 v1, 0x358637bd, v1
	s_mul_i32 s3, s33, s3
	s_mul_hi_u32 s4, s33, s2
	s_mul_i32 s2, s33, s2
	s_add_i32 s3, s4, s3
	v_div_scale_f32 v2, null, v1, v1, 1.0
	v_div_scale_f32 v6, vcc_lo, 1.0, v1, 1.0
	s_lshl_b64 s[2:3], s[2:3], 7
	s_delay_alu instid0(VALU_DEP_2) | instskip(SKIP_4) | instid1(SALU_CYCLE_1)
	v_rcp_f32_e32 v3, v2
	s_mov_b32 s15, 0
	s_add_u32 s2, s0, s2
	s_addc_u32 s3, s1, s3
	s_lshl_b64 s[0:1], s[14:15], 7
	s_add_u32 s0, s2, s0
	s_addc_u32 s1, s3, s1
	v_add_co_u32 v0, s0, s0, v0
	s_waitcnt_depctr 0xfff
	v_fma_f32 v5, -v2, v3, 1.0
	s_delay_alu instid0(VALU_DEP_1) | instskip(NEXT) | instid1(VALU_DEP_1)
	v_fmac_f32_e32 v3, v5, v3
	v_mul_f32_e32 v5, v6, v3
	s_delay_alu instid0(VALU_DEP_1) | instskip(NEXT) | instid1(VALU_DEP_1)
	v_fma_f32 v7, -v2, v5, v6
	v_fmac_f32_e32 v5, v7, v3
	s_delay_alu instid0(VALU_DEP_1) | instskip(NEXT) | instid1(VALU_DEP_1)
	v_fma_f32 v2, -v2, v5, v6
	v_div_fmas_f32 v2, v2, v3, v5
	s_delay_alu instid0(VALU_DEP_1) | instskip(NEXT) | instid1(VALU_DEP_1)
	v_div_fixup_f32 v1, v2, v1, 1.0
	v_fma_mixlo_f16 v1, v4, v1, 0
	s_delay_alu instid0(VALU_DEP_1)
	v_cvt_i16_f16_e32 v2, v1
	v_add_co_ci_u32_e64 v1, null, s1, 0, s0
	global_store_b8 v[0:1], v2, off
	s_nop 0
	s_sendmsg sendmsg(MSG_DEALLOC_VGPRS)
	s_endpgm
.LBB229_20:
	s_mov_b32 s4, 0
	s_branch .LBB229_2
	.section	.rodata,"a",@progbits
	.p2align	6, 0x0
	.amdhsa_kernel _Z35paged_attention_ll4mi_reduce_kernelIDF16_hLi128ELi128ELi256ELi16EEvPT0_PKfS3_PKT_PKiS8_iS3_
		.amdhsa_group_segment_fixed_size 2052
		.amdhsa_private_segment_fixed_size 0
		.amdhsa_kernarg_size 320
		.amdhsa_user_sgpr_count 14
		.amdhsa_user_sgpr_dispatch_ptr 0
		.amdhsa_user_sgpr_queue_ptr 0
		.amdhsa_user_sgpr_kernarg_segment_ptr 1
		.amdhsa_user_sgpr_dispatch_id 0
		.amdhsa_user_sgpr_private_segment_size 0
		.amdhsa_wavefront_size32 1
		.amdhsa_uses_dynamic_stack 0
		.amdhsa_enable_private_segment 0
		.amdhsa_system_sgpr_workgroup_id_x 1
		.amdhsa_system_sgpr_workgroup_id_y 1
		.amdhsa_system_sgpr_workgroup_id_z 0
		.amdhsa_system_sgpr_workgroup_info 0
		.amdhsa_system_vgpr_workitem_id 0
		.amdhsa_next_free_vgpr 87
		.amdhsa_next_free_sgpr 47
		.amdhsa_reserve_vcc 1
		.amdhsa_float_round_mode_32 0
		.amdhsa_float_round_mode_16_64 0
		.amdhsa_float_denorm_mode_32 3
		.amdhsa_float_denorm_mode_16_64 3
		.amdhsa_dx10_clamp 1
		.amdhsa_ieee_mode 1
		.amdhsa_fp16_overflow 0
		.amdhsa_workgroup_processor_mode 1
		.amdhsa_memory_ordered 1
		.amdhsa_forward_progress 0
		.amdhsa_shared_vgpr_count 0
		.amdhsa_exception_fp_ieee_invalid_op 0
		.amdhsa_exception_fp_denorm_src 0
		.amdhsa_exception_fp_ieee_div_zero 0
		.amdhsa_exception_fp_ieee_overflow 0
		.amdhsa_exception_fp_ieee_underflow 0
		.amdhsa_exception_fp_ieee_inexact 0
		.amdhsa_exception_int_div_zero 0
	.end_amdhsa_kernel
	.section	.text._Z35paged_attention_ll4mi_reduce_kernelIDF16_hLi128ELi128ELi256ELi16EEvPT0_PKfS3_PKT_PKiS8_iS3_,"axG",@progbits,_Z35paged_attention_ll4mi_reduce_kernelIDF16_hLi128ELi128ELi256ELi16EEvPT0_PKfS3_PKT_PKiS8_iS3_,comdat
.Lfunc_end229:
	.size	_Z35paged_attention_ll4mi_reduce_kernelIDF16_hLi128ELi128ELi256ELi16EEvPT0_PKfS3_PKT_PKiS8_iS3_, .Lfunc_end229-_Z35paged_attention_ll4mi_reduce_kernelIDF16_hLi128ELi128ELi256ELi16EEvPT0_PKfS3_PKT_PKiS8_iS3_
                                        ; -- End function
	.section	.AMDGPU.csdata,"",@progbits
; Kernel info:
; codeLenInByte = 8288
; NumSgprs: 49
; NumVgprs: 87
; ScratchSize: 0
; MemoryBound: 0
; FloatMode: 240
; IeeeMode: 1
; LDSByteSize: 2052 bytes/workgroup (compile time only)
; SGPRBlocks: 6
; VGPRBlocks: 10
; NumSGPRsForWavesPerEU: 49
; NumVGPRsForWavesPerEU: 87
; Occupancy: 16
; WaveLimiterHint : 0
; COMPUTE_PGM_RSRC2:SCRATCH_EN: 0
; COMPUTE_PGM_RSRC2:USER_SGPR: 14
; COMPUTE_PGM_RSRC2:TRAP_HANDLER: 0
; COMPUTE_PGM_RSRC2:TGID_X_EN: 1
; COMPUTE_PGM_RSRC2:TGID_Y_EN: 1
; COMPUTE_PGM_RSRC2:TGID_Z_EN: 0
; COMPUTE_PGM_RSRC2:TIDIG_COMP_CNT: 0
	.section	.text._Z38paged_attention_ll4mi_QKV_mfma4_kernelIDF16_DF16_LN4vllm18Fp8KVCacheDataTypeE0EhLi16ELi128ELi256ELb0ELi1EEvPKT_PKT0_S7_ifPKiS9_S9_iPKfiiiPfSC_PS2_PT2_iSB_SB_,"axG",@progbits,_Z38paged_attention_ll4mi_QKV_mfma4_kernelIDF16_DF16_LN4vllm18Fp8KVCacheDataTypeE0EhLi16ELi128ELi256ELb0ELi1EEvPKT_PKT0_S7_ifPKiS9_S9_iPKfiiiPfSC_PS2_PT2_iSB_SB_,comdat
	.protected	_Z38paged_attention_ll4mi_QKV_mfma4_kernelIDF16_DF16_LN4vllm18Fp8KVCacheDataTypeE0EhLi16ELi128ELi256ELb0ELi1EEvPKT_PKT0_S7_ifPKiS9_S9_iPKfiiiPfSC_PS2_PT2_iSB_SB_ ; -- Begin function _Z38paged_attention_ll4mi_QKV_mfma4_kernelIDF16_DF16_LN4vllm18Fp8KVCacheDataTypeE0EhLi16ELi128ELi256ELb0ELi1EEvPKT_PKT0_S7_ifPKiS9_S9_iPKfiiiPfSC_PS2_PT2_iSB_SB_
	.globl	_Z38paged_attention_ll4mi_QKV_mfma4_kernelIDF16_DF16_LN4vllm18Fp8KVCacheDataTypeE0EhLi16ELi128ELi256ELb0ELi1EEvPKT_PKT0_S7_ifPKiS9_S9_iPKfiiiPfSC_PS2_PT2_iSB_SB_
	.p2align	8
	.type	_Z38paged_attention_ll4mi_QKV_mfma4_kernelIDF16_DF16_LN4vllm18Fp8KVCacheDataTypeE0EhLi16ELi128ELi256ELb0ELi1EEvPKT_PKT0_S7_ifPKiS9_S9_iPKfiiiPfSC_PS2_PT2_iSB_SB_,@function
_Z38paged_attention_ll4mi_QKV_mfma4_kernelIDF16_DF16_LN4vllm18Fp8KVCacheDataTypeE0EhLi16ELi128ELi256ELb0ELi1EEvPKT_PKT0_S7_ifPKiS9_S9_iPKfiiiPfSC_PS2_PT2_iSB_SB_: ; @_Z38paged_attention_ll4mi_QKV_mfma4_kernelIDF16_DF16_LN4vllm18Fp8KVCacheDataTypeE0EhLi16ELi128ELi256ELb0ELi1EEvPKT_PKT0_S7_ifPKiS9_S9_iPKfiiiPfSC_PS2_PT2_iSB_SB_
; %bb.0:
	s_add_u32 s8, s0, 0x90
	s_addc_u32 s9, s1, 0
	s_getpc_b64 s[0:1]
	s_add_u32 s0, s0, __PRETTY_FUNCTION__._Z38paged_attention_ll4mi_QKV_mfma4_kernelIDF16_DF16_LN4vllm18Fp8KVCacheDataTypeE0EhLi16ELi128ELi256ELb0ELi1EEvPKT_PKT0_S7_ifPKiS9_S9_iPKfiiiPfSC_PS2_PT2_iSB_SB_@rel32@lo+4
	s_addc_u32 s1, s1, __PRETTY_FUNCTION__._Z38paged_attention_ll4mi_QKV_mfma4_kernelIDF16_DF16_LN4vllm18Fp8KVCacheDataTypeE0EhLi16ELi128ELi256ELb0ELi1EEvPKT_PKT0_S7_ifPKiS9_S9_iPKfiiiPfSC_PS2_PT2_iSB_SB_@rel32@hi+12
	s_delay_alu instid0(SALU_CYCLE_1) | instskip(SKIP_4) | instid1(SALU_CYCLE_1)
	v_dual_mov_b32 v0, s0 :: v_dual_mov_b32 v1, s1
	s_mov_b32 s32, 0
	s_getpc_b64 s[2:3]
	s_add_u32 s2, s2, __assert_fail@rel32@lo+4
	s_addc_u32 s3, s3, __assert_fail@rel32@hi+12
	s_swappc_b64 s[30:31], s[2:3]
	.section	.rodata,"a",@progbits
	.p2align	6, 0x0
	.amdhsa_kernel _Z38paged_attention_ll4mi_QKV_mfma4_kernelIDF16_DF16_LN4vllm18Fp8KVCacheDataTypeE0EhLi16ELi128ELi256ELb0ELi1EEvPKT_PKT0_S7_ifPKiS9_S9_iPKfiiiPfSC_PS2_PT2_iSB_SB_
		.amdhsa_group_segment_fixed_size 0
		.amdhsa_private_segment_fixed_size 64
		.amdhsa_kernarg_size 400
		.amdhsa_user_sgpr_count 15
		.amdhsa_user_sgpr_dispatch_ptr 0
		.amdhsa_user_sgpr_queue_ptr 0
		.amdhsa_user_sgpr_kernarg_segment_ptr 1
		.amdhsa_user_sgpr_dispatch_id 0
		.amdhsa_user_sgpr_private_segment_size 0
		.amdhsa_wavefront_size32 1
		.amdhsa_uses_dynamic_stack 0
		.amdhsa_enable_private_segment 1
		.amdhsa_system_sgpr_workgroup_id_x 1
		.amdhsa_system_sgpr_workgroup_id_y 0
		.amdhsa_system_sgpr_workgroup_id_z 0
		.amdhsa_system_sgpr_workgroup_info 0
		.amdhsa_system_vgpr_workitem_id 0
		.amdhsa_next_free_vgpr 41
		.amdhsa_next_free_sgpr 34
		.amdhsa_reserve_vcc 1
		.amdhsa_float_round_mode_32 0
		.amdhsa_float_round_mode_16_64 0
		.amdhsa_float_denorm_mode_32 3
		.amdhsa_float_denorm_mode_16_64 3
		.amdhsa_dx10_clamp 1
		.amdhsa_ieee_mode 1
		.amdhsa_fp16_overflow 0
		.amdhsa_workgroup_processor_mode 1
		.amdhsa_memory_ordered 1
		.amdhsa_forward_progress 0
		.amdhsa_shared_vgpr_count 0
		.amdhsa_exception_fp_ieee_invalid_op 0
		.amdhsa_exception_fp_denorm_src 0
		.amdhsa_exception_fp_ieee_div_zero 0
		.amdhsa_exception_fp_ieee_overflow 0
		.amdhsa_exception_fp_ieee_underflow 0
		.amdhsa_exception_fp_ieee_inexact 0
		.amdhsa_exception_int_div_zero 0
	.end_amdhsa_kernel
	.section	.text._Z38paged_attention_ll4mi_QKV_mfma4_kernelIDF16_DF16_LN4vllm18Fp8KVCacheDataTypeE0EhLi16ELi128ELi256ELb0ELi1EEvPKT_PKT0_S7_ifPKiS9_S9_iPKfiiiPfSC_PS2_PT2_iSB_SB_,"axG",@progbits,_Z38paged_attention_ll4mi_QKV_mfma4_kernelIDF16_DF16_LN4vllm18Fp8KVCacheDataTypeE0EhLi16ELi128ELi256ELb0ELi1EEvPKT_PKT0_S7_ifPKiS9_S9_iPKfiiiPfSC_PS2_PT2_iSB_SB_,comdat
.Lfunc_end230:
	.size	_Z38paged_attention_ll4mi_QKV_mfma4_kernelIDF16_DF16_LN4vllm18Fp8KVCacheDataTypeE0EhLi16ELi128ELi256ELb0ELi1EEvPKT_PKT0_S7_ifPKiS9_S9_iPKfiiiPfSC_PS2_PT2_iSB_SB_, .Lfunc_end230-_Z38paged_attention_ll4mi_QKV_mfma4_kernelIDF16_DF16_LN4vllm18Fp8KVCacheDataTypeE0EhLi16ELi128ELi256ELb0ELi1EEvPKT_PKT0_S7_ifPKiS9_S9_iPKfiiiPfSC_PS2_PT2_iSB_SB_
                                        ; -- End function
	.section	.AMDGPU.csdata,"",@progbits
; Kernel info:
; codeLenInByte = 72
; NumSgprs: 36
; NumVgprs: 41
; ScratchSize: 64
; MemoryBound: 0
; FloatMode: 240
; IeeeMode: 1
; LDSByteSize: 0 bytes/workgroup (compile time only)
; SGPRBlocks: 4
; VGPRBlocks: 5
; NumSGPRsForWavesPerEU: 36
; NumVGPRsForWavesPerEU: 41
; Occupancy: 16
; WaveLimiterHint : 1
; COMPUTE_PGM_RSRC2:SCRATCH_EN: 1
; COMPUTE_PGM_RSRC2:USER_SGPR: 15
; COMPUTE_PGM_RSRC2:TRAP_HANDLER: 0
; COMPUTE_PGM_RSRC2:TGID_X_EN: 1
; COMPUTE_PGM_RSRC2:TGID_Y_EN: 0
; COMPUTE_PGM_RSRC2:TGID_Z_EN: 0
; COMPUTE_PGM_RSRC2:TIDIG_COMP_CNT: 0
	.section	.text._Z38paged_attention_ll4mi_QKV_mfma4_kernelIDF16_DF16_LN4vllm18Fp8KVCacheDataTypeE0EhLi16ELi128ELi256ELb0ELi2EEvPKT_PKT0_S7_ifPKiS9_S9_iPKfiiiPfSC_PS2_PT2_iSB_SB_,"axG",@progbits,_Z38paged_attention_ll4mi_QKV_mfma4_kernelIDF16_DF16_LN4vllm18Fp8KVCacheDataTypeE0EhLi16ELi128ELi256ELb0ELi2EEvPKT_PKT0_S7_ifPKiS9_S9_iPKfiiiPfSC_PS2_PT2_iSB_SB_,comdat
	.protected	_Z38paged_attention_ll4mi_QKV_mfma4_kernelIDF16_DF16_LN4vllm18Fp8KVCacheDataTypeE0EhLi16ELi128ELi256ELb0ELi2EEvPKT_PKT0_S7_ifPKiS9_S9_iPKfiiiPfSC_PS2_PT2_iSB_SB_ ; -- Begin function _Z38paged_attention_ll4mi_QKV_mfma4_kernelIDF16_DF16_LN4vllm18Fp8KVCacheDataTypeE0EhLi16ELi128ELi256ELb0ELi2EEvPKT_PKT0_S7_ifPKiS9_S9_iPKfiiiPfSC_PS2_PT2_iSB_SB_
	.globl	_Z38paged_attention_ll4mi_QKV_mfma4_kernelIDF16_DF16_LN4vllm18Fp8KVCacheDataTypeE0EhLi16ELi128ELi256ELb0ELi2EEvPKT_PKT0_S7_ifPKiS9_S9_iPKfiiiPfSC_PS2_PT2_iSB_SB_
	.p2align	8
	.type	_Z38paged_attention_ll4mi_QKV_mfma4_kernelIDF16_DF16_LN4vllm18Fp8KVCacheDataTypeE0EhLi16ELi128ELi256ELb0ELi2EEvPKT_PKT0_S7_ifPKiS9_S9_iPKfiiiPfSC_PS2_PT2_iSB_SB_,@function
_Z38paged_attention_ll4mi_QKV_mfma4_kernelIDF16_DF16_LN4vllm18Fp8KVCacheDataTypeE0EhLi16ELi128ELi256ELb0ELi2EEvPKT_PKT0_S7_ifPKiS9_S9_iPKfiiiPfSC_PS2_PT2_iSB_SB_: ; @_Z38paged_attention_ll4mi_QKV_mfma4_kernelIDF16_DF16_LN4vllm18Fp8KVCacheDataTypeE0EhLi16ELi128ELi256ELb0ELi2EEvPKT_PKT0_S7_ifPKiS9_S9_iPKfiiiPfSC_PS2_PT2_iSB_SB_
; %bb.0:
	s_add_u32 s8, s0, 0x90
	s_addc_u32 s9, s1, 0
	s_getpc_b64 s[0:1]
	s_add_u32 s0, s0, __PRETTY_FUNCTION__._Z38paged_attention_ll4mi_QKV_mfma4_kernelIDF16_DF16_LN4vllm18Fp8KVCacheDataTypeE0EhLi16ELi128ELi256ELb0ELi2EEvPKT_PKT0_S7_ifPKiS9_S9_iPKfiiiPfSC_PS2_PT2_iSB_SB_@rel32@lo+4
	s_addc_u32 s1, s1, __PRETTY_FUNCTION__._Z38paged_attention_ll4mi_QKV_mfma4_kernelIDF16_DF16_LN4vllm18Fp8KVCacheDataTypeE0EhLi16ELi128ELi256ELb0ELi2EEvPKT_PKT0_S7_ifPKiS9_S9_iPKfiiiPfSC_PS2_PT2_iSB_SB_@rel32@hi+12
	s_delay_alu instid0(SALU_CYCLE_1) | instskip(SKIP_4) | instid1(SALU_CYCLE_1)
	v_dual_mov_b32 v0, s0 :: v_dual_mov_b32 v1, s1
	s_mov_b32 s32, 0
	s_getpc_b64 s[2:3]
	s_add_u32 s2, s2, __assert_fail@rel32@lo+4
	s_addc_u32 s3, s3, __assert_fail@rel32@hi+12
	s_swappc_b64 s[30:31], s[2:3]
	.section	.rodata,"a",@progbits
	.p2align	6, 0x0
	.amdhsa_kernel _Z38paged_attention_ll4mi_QKV_mfma4_kernelIDF16_DF16_LN4vllm18Fp8KVCacheDataTypeE0EhLi16ELi128ELi256ELb0ELi2EEvPKT_PKT0_S7_ifPKiS9_S9_iPKfiiiPfSC_PS2_PT2_iSB_SB_
		.amdhsa_group_segment_fixed_size 0
		.amdhsa_private_segment_fixed_size 64
		.amdhsa_kernarg_size 400
		.amdhsa_user_sgpr_count 15
		.amdhsa_user_sgpr_dispatch_ptr 0
		.amdhsa_user_sgpr_queue_ptr 0
		.amdhsa_user_sgpr_kernarg_segment_ptr 1
		.amdhsa_user_sgpr_dispatch_id 0
		.amdhsa_user_sgpr_private_segment_size 0
		.amdhsa_wavefront_size32 1
		.amdhsa_uses_dynamic_stack 0
		.amdhsa_enable_private_segment 1
		.amdhsa_system_sgpr_workgroup_id_x 1
		.amdhsa_system_sgpr_workgroup_id_y 0
		.amdhsa_system_sgpr_workgroup_id_z 0
		.amdhsa_system_sgpr_workgroup_info 0
		.amdhsa_system_vgpr_workitem_id 0
		.amdhsa_next_free_vgpr 41
		.amdhsa_next_free_sgpr 34
		.amdhsa_reserve_vcc 1
		.amdhsa_float_round_mode_32 0
		.amdhsa_float_round_mode_16_64 0
		.amdhsa_float_denorm_mode_32 3
		.amdhsa_float_denorm_mode_16_64 3
		.amdhsa_dx10_clamp 1
		.amdhsa_ieee_mode 1
		.amdhsa_fp16_overflow 0
		.amdhsa_workgroup_processor_mode 1
		.amdhsa_memory_ordered 1
		.amdhsa_forward_progress 0
		.amdhsa_shared_vgpr_count 0
		.amdhsa_exception_fp_ieee_invalid_op 0
		.amdhsa_exception_fp_denorm_src 0
		.amdhsa_exception_fp_ieee_div_zero 0
		.amdhsa_exception_fp_ieee_overflow 0
		.amdhsa_exception_fp_ieee_underflow 0
		.amdhsa_exception_fp_ieee_inexact 0
		.amdhsa_exception_int_div_zero 0
	.end_amdhsa_kernel
	.section	.text._Z38paged_attention_ll4mi_QKV_mfma4_kernelIDF16_DF16_LN4vllm18Fp8KVCacheDataTypeE0EhLi16ELi128ELi256ELb0ELi2EEvPKT_PKT0_S7_ifPKiS9_S9_iPKfiiiPfSC_PS2_PT2_iSB_SB_,"axG",@progbits,_Z38paged_attention_ll4mi_QKV_mfma4_kernelIDF16_DF16_LN4vllm18Fp8KVCacheDataTypeE0EhLi16ELi128ELi256ELb0ELi2EEvPKT_PKT0_S7_ifPKiS9_S9_iPKfiiiPfSC_PS2_PT2_iSB_SB_,comdat
.Lfunc_end231:
	.size	_Z38paged_attention_ll4mi_QKV_mfma4_kernelIDF16_DF16_LN4vllm18Fp8KVCacheDataTypeE0EhLi16ELi128ELi256ELb0ELi2EEvPKT_PKT0_S7_ifPKiS9_S9_iPKfiiiPfSC_PS2_PT2_iSB_SB_, .Lfunc_end231-_Z38paged_attention_ll4mi_QKV_mfma4_kernelIDF16_DF16_LN4vllm18Fp8KVCacheDataTypeE0EhLi16ELi128ELi256ELb0ELi2EEvPKT_PKT0_S7_ifPKiS9_S9_iPKfiiiPfSC_PS2_PT2_iSB_SB_
                                        ; -- End function
	.section	.AMDGPU.csdata,"",@progbits
; Kernel info:
; codeLenInByte = 72
; NumSgprs: 36
; NumVgprs: 41
; ScratchSize: 64
; MemoryBound: 0
; FloatMode: 240
; IeeeMode: 1
; LDSByteSize: 0 bytes/workgroup (compile time only)
; SGPRBlocks: 4
; VGPRBlocks: 5
; NumSGPRsForWavesPerEU: 36
; NumVGPRsForWavesPerEU: 41
; Occupancy: 16
; WaveLimiterHint : 1
; COMPUTE_PGM_RSRC2:SCRATCH_EN: 1
; COMPUTE_PGM_RSRC2:USER_SGPR: 15
; COMPUTE_PGM_RSRC2:TRAP_HANDLER: 0
; COMPUTE_PGM_RSRC2:TGID_X_EN: 1
; COMPUTE_PGM_RSRC2:TGID_Y_EN: 0
; COMPUTE_PGM_RSRC2:TGID_Z_EN: 0
; COMPUTE_PGM_RSRC2:TIDIG_COMP_CNT: 0
	.section	.text._Z38paged_attention_ll4mi_QKV_mfma4_kernelIDF16_DF16_LN4vllm18Fp8KVCacheDataTypeE0EhLi16ELi128ELi256ELb0ELi3EEvPKT_PKT0_S7_ifPKiS9_S9_iPKfiiiPfSC_PS2_PT2_iSB_SB_,"axG",@progbits,_Z38paged_attention_ll4mi_QKV_mfma4_kernelIDF16_DF16_LN4vllm18Fp8KVCacheDataTypeE0EhLi16ELi128ELi256ELb0ELi3EEvPKT_PKT0_S7_ifPKiS9_S9_iPKfiiiPfSC_PS2_PT2_iSB_SB_,comdat
	.protected	_Z38paged_attention_ll4mi_QKV_mfma4_kernelIDF16_DF16_LN4vllm18Fp8KVCacheDataTypeE0EhLi16ELi128ELi256ELb0ELi3EEvPKT_PKT0_S7_ifPKiS9_S9_iPKfiiiPfSC_PS2_PT2_iSB_SB_ ; -- Begin function _Z38paged_attention_ll4mi_QKV_mfma4_kernelIDF16_DF16_LN4vllm18Fp8KVCacheDataTypeE0EhLi16ELi128ELi256ELb0ELi3EEvPKT_PKT0_S7_ifPKiS9_S9_iPKfiiiPfSC_PS2_PT2_iSB_SB_
	.globl	_Z38paged_attention_ll4mi_QKV_mfma4_kernelIDF16_DF16_LN4vllm18Fp8KVCacheDataTypeE0EhLi16ELi128ELi256ELb0ELi3EEvPKT_PKT0_S7_ifPKiS9_S9_iPKfiiiPfSC_PS2_PT2_iSB_SB_
	.p2align	8
	.type	_Z38paged_attention_ll4mi_QKV_mfma4_kernelIDF16_DF16_LN4vllm18Fp8KVCacheDataTypeE0EhLi16ELi128ELi256ELb0ELi3EEvPKT_PKT0_S7_ifPKiS9_S9_iPKfiiiPfSC_PS2_PT2_iSB_SB_,@function
_Z38paged_attention_ll4mi_QKV_mfma4_kernelIDF16_DF16_LN4vllm18Fp8KVCacheDataTypeE0EhLi16ELi128ELi256ELb0ELi3EEvPKT_PKT0_S7_ifPKiS9_S9_iPKfiiiPfSC_PS2_PT2_iSB_SB_: ; @_Z38paged_attention_ll4mi_QKV_mfma4_kernelIDF16_DF16_LN4vllm18Fp8KVCacheDataTypeE0EhLi16ELi128ELi256ELb0ELi3EEvPKT_PKT0_S7_ifPKiS9_S9_iPKfiiiPfSC_PS2_PT2_iSB_SB_
; %bb.0:
	s_add_u32 s8, s0, 0x90
	s_addc_u32 s9, s1, 0
	s_getpc_b64 s[0:1]
	s_add_u32 s0, s0, __PRETTY_FUNCTION__._Z38paged_attention_ll4mi_QKV_mfma4_kernelIDF16_DF16_LN4vllm18Fp8KVCacheDataTypeE0EhLi16ELi128ELi256ELb0ELi3EEvPKT_PKT0_S7_ifPKiS9_S9_iPKfiiiPfSC_PS2_PT2_iSB_SB_@rel32@lo+4
	s_addc_u32 s1, s1, __PRETTY_FUNCTION__._Z38paged_attention_ll4mi_QKV_mfma4_kernelIDF16_DF16_LN4vllm18Fp8KVCacheDataTypeE0EhLi16ELi128ELi256ELb0ELi3EEvPKT_PKT0_S7_ifPKiS9_S9_iPKfiiiPfSC_PS2_PT2_iSB_SB_@rel32@hi+12
	s_delay_alu instid0(SALU_CYCLE_1) | instskip(SKIP_4) | instid1(SALU_CYCLE_1)
	v_dual_mov_b32 v0, s0 :: v_dual_mov_b32 v1, s1
	s_mov_b32 s32, 0
	s_getpc_b64 s[2:3]
	s_add_u32 s2, s2, __assert_fail@rel32@lo+4
	s_addc_u32 s3, s3, __assert_fail@rel32@hi+12
	s_swappc_b64 s[30:31], s[2:3]
	.section	.rodata,"a",@progbits
	.p2align	6, 0x0
	.amdhsa_kernel _Z38paged_attention_ll4mi_QKV_mfma4_kernelIDF16_DF16_LN4vllm18Fp8KVCacheDataTypeE0EhLi16ELi128ELi256ELb0ELi3EEvPKT_PKT0_S7_ifPKiS9_S9_iPKfiiiPfSC_PS2_PT2_iSB_SB_
		.amdhsa_group_segment_fixed_size 0
		.amdhsa_private_segment_fixed_size 64
		.amdhsa_kernarg_size 400
		.amdhsa_user_sgpr_count 15
		.amdhsa_user_sgpr_dispatch_ptr 0
		.amdhsa_user_sgpr_queue_ptr 0
		.amdhsa_user_sgpr_kernarg_segment_ptr 1
		.amdhsa_user_sgpr_dispatch_id 0
		.amdhsa_user_sgpr_private_segment_size 0
		.amdhsa_wavefront_size32 1
		.amdhsa_uses_dynamic_stack 0
		.amdhsa_enable_private_segment 1
		.amdhsa_system_sgpr_workgroup_id_x 1
		.amdhsa_system_sgpr_workgroup_id_y 0
		.amdhsa_system_sgpr_workgroup_id_z 0
		.amdhsa_system_sgpr_workgroup_info 0
		.amdhsa_system_vgpr_workitem_id 0
		.amdhsa_next_free_vgpr 41
		.amdhsa_next_free_sgpr 34
		.amdhsa_reserve_vcc 1
		.amdhsa_float_round_mode_32 0
		.amdhsa_float_round_mode_16_64 0
		.amdhsa_float_denorm_mode_32 3
		.amdhsa_float_denorm_mode_16_64 3
		.amdhsa_dx10_clamp 1
		.amdhsa_ieee_mode 1
		.amdhsa_fp16_overflow 0
		.amdhsa_workgroup_processor_mode 1
		.amdhsa_memory_ordered 1
		.amdhsa_forward_progress 0
		.amdhsa_shared_vgpr_count 0
		.amdhsa_exception_fp_ieee_invalid_op 0
		.amdhsa_exception_fp_denorm_src 0
		.amdhsa_exception_fp_ieee_div_zero 0
		.amdhsa_exception_fp_ieee_overflow 0
		.amdhsa_exception_fp_ieee_underflow 0
		.amdhsa_exception_fp_ieee_inexact 0
		.amdhsa_exception_int_div_zero 0
	.end_amdhsa_kernel
	.section	.text._Z38paged_attention_ll4mi_QKV_mfma4_kernelIDF16_DF16_LN4vllm18Fp8KVCacheDataTypeE0EhLi16ELi128ELi256ELb0ELi3EEvPKT_PKT0_S7_ifPKiS9_S9_iPKfiiiPfSC_PS2_PT2_iSB_SB_,"axG",@progbits,_Z38paged_attention_ll4mi_QKV_mfma4_kernelIDF16_DF16_LN4vllm18Fp8KVCacheDataTypeE0EhLi16ELi128ELi256ELb0ELi3EEvPKT_PKT0_S7_ifPKiS9_S9_iPKfiiiPfSC_PS2_PT2_iSB_SB_,comdat
.Lfunc_end232:
	.size	_Z38paged_attention_ll4mi_QKV_mfma4_kernelIDF16_DF16_LN4vllm18Fp8KVCacheDataTypeE0EhLi16ELi128ELi256ELb0ELi3EEvPKT_PKT0_S7_ifPKiS9_S9_iPKfiiiPfSC_PS2_PT2_iSB_SB_, .Lfunc_end232-_Z38paged_attention_ll4mi_QKV_mfma4_kernelIDF16_DF16_LN4vllm18Fp8KVCacheDataTypeE0EhLi16ELi128ELi256ELb0ELi3EEvPKT_PKT0_S7_ifPKiS9_S9_iPKfiiiPfSC_PS2_PT2_iSB_SB_
                                        ; -- End function
	.section	.AMDGPU.csdata,"",@progbits
; Kernel info:
; codeLenInByte = 72
; NumSgprs: 36
; NumVgprs: 41
; ScratchSize: 64
; MemoryBound: 0
; FloatMode: 240
; IeeeMode: 1
; LDSByteSize: 0 bytes/workgroup (compile time only)
; SGPRBlocks: 4
; VGPRBlocks: 5
; NumSGPRsForWavesPerEU: 36
; NumVGPRsForWavesPerEU: 41
; Occupancy: 16
; WaveLimiterHint : 1
; COMPUTE_PGM_RSRC2:SCRATCH_EN: 1
; COMPUTE_PGM_RSRC2:USER_SGPR: 15
; COMPUTE_PGM_RSRC2:TRAP_HANDLER: 0
; COMPUTE_PGM_RSRC2:TGID_X_EN: 1
; COMPUTE_PGM_RSRC2:TGID_Y_EN: 0
; COMPUTE_PGM_RSRC2:TGID_Z_EN: 0
; COMPUTE_PGM_RSRC2:TIDIG_COMP_CNT: 0
	.section	.text._Z38paged_attention_ll4mi_QKV_mfma4_kernelIDF16_DF16_LN4vllm18Fp8KVCacheDataTypeE0EhLi16ELi128ELi256ELb0ELi4EEvPKT_PKT0_S7_ifPKiS9_S9_iPKfiiiPfSC_PS2_PT2_iSB_SB_,"axG",@progbits,_Z38paged_attention_ll4mi_QKV_mfma4_kernelIDF16_DF16_LN4vllm18Fp8KVCacheDataTypeE0EhLi16ELi128ELi256ELb0ELi4EEvPKT_PKT0_S7_ifPKiS9_S9_iPKfiiiPfSC_PS2_PT2_iSB_SB_,comdat
	.protected	_Z38paged_attention_ll4mi_QKV_mfma4_kernelIDF16_DF16_LN4vllm18Fp8KVCacheDataTypeE0EhLi16ELi128ELi256ELb0ELi4EEvPKT_PKT0_S7_ifPKiS9_S9_iPKfiiiPfSC_PS2_PT2_iSB_SB_ ; -- Begin function _Z38paged_attention_ll4mi_QKV_mfma4_kernelIDF16_DF16_LN4vllm18Fp8KVCacheDataTypeE0EhLi16ELi128ELi256ELb0ELi4EEvPKT_PKT0_S7_ifPKiS9_S9_iPKfiiiPfSC_PS2_PT2_iSB_SB_
	.globl	_Z38paged_attention_ll4mi_QKV_mfma4_kernelIDF16_DF16_LN4vllm18Fp8KVCacheDataTypeE0EhLi16ELi128ELi256ELb0ELi4EEvPKT_PKT0_S7_ifPKiS9_S9_iPKfiiiPfSC_PS2_PT2_iSB_SB_
	.p2align	8
	.type	_Z38paged_attention_ll4mi_QKV_mfma4_kernelIDF16_DF16_LN4vllm18Fp8KVCacheDataTypeE0EhLi16ELi128ELi256ELb0ELi4EEvPKT_PKT0_S7_ifPKiS9_S9_iPKfiiiPfSC_PS2_PT2_iSB_SB_,@function
_Z38paged_attention_ll4mi_QKV_mfma4_kernelIDF16_DF16_LN4vllm18Fp8KVCacheDataTypeE0EhLi16ELi128ELi256ELb0ELi4EEvPKT_PKT0_S7_ifPKiS9_S9_iPKfiiiPfSC_PS2_PT2_iSB_SB_: ; @_Z38paged_attention_ll4mi_QKV_mfma4_kernelIDF16_DF16_LN4vllm18Fp8KVCacheDataTypeE0EhLi16ELi128ELi256ELb0ELi4EEvPKT_PKT0_S7_ifPKiS9_S9_iPKfiiiPfSC_PS2_PT2_iSB_SB_
; %bb.0:
	s_add_u32 s8, s0, 0x90
	s_addc_u32 s9, s1, 0
	s_getpc_b64 s[0:1]
	s_add_u32 s0, s0, __PRETTY_FUNCTION__._Z38paged_attention_ll4mi_QKV_mfma4_kernelIDF16_DF16_LN4vllm18Fp8KVCacheDataTypeE0EhLi16ELi128ELi256ELb0ELi4EEvPKT_PKT0_S7_ifPKiS9_S9_iPKfiiiPfSC_PS2_PT2_iSB_SB_@rel32@lo+4
	s_addc_u32 s1, s1, __PRETTY_FUNCTION__._Z38paged_attention_ll4mi_QKV_mfma4_kernelIDF16_DF16_LN4vllm18Fp8KVCacheDataTypeE0EhLi16ELi128ELi256ELb0ELi4EEvPKT_PKT0_S7_ifPKiS9_S9_iPKfiiiPfSC_PS2_PT2_iSB_SB_@rel32@hi+12
	s_delay_alu instid0(SALU_CYCLE_1) | instskip(SKIP_4) | instid1(SALU_CYCLE_1)
	v_dual_mov_b32 v0, s0 :: v_dual_mov_b32 v1, s1
	s_mov_b32 s32, 0
	s_getpc_b64 s[2:3]
	s_add_u32 s2, s2, __assert_fail@rel32@lo+4
	s_addc_u32 s3, s3, __assert_fail@rel32@hi+12
	s_swappc_b64 s[30:31], s[2:3]
	.section	.rodata,"a",@progbits
	.p2align	6, 0x0
	.amdhsa_kernel _Z38paged_attention_ll4mi_QKV_mfma4_kernelIDF16_DF16_LN4vllm18Fp8KVCacheDataTypeE0EhLi16ELi128ELi256ELb0ELi4EEvPKT_PKT0_S7_ifPKiS9_S9_iPKfiiiPfSC_PS2_PT2_iSB_SB_
		.amdhsa_group_segment_fixed_size 0
		.amdhsa_private_segment_fixed_size 64
		.amdhsa_kernarg_size 400
		.amdhsa_user_sgpr_count 15
		.amdhsa_user_sgpr_dispatch_ptr 0
		.amdhsa_user_sgpr_queue_ptr 0
		.amdhsa_user_sgpr_kernarg_segment_ptr 1
		.amdhsa_user_sgpr_dispatch_id 0
		.amdhsa_user_sgpr_private_segment_size 0
		.amdhsa_wavefront_size32 1
		.amdhsa_uses_dynamic_stack 0
		.amdhsa_enable_private_segment 1
		.amdhsa_system_sgpr_workgroup_id_x 1
		.amdhsa_system_sgpr_workgroup_id_y 0
		.amdhsa_system_sgpr_workgroup_id_z 0
		.amdhsa_system_sgpr_workgroup_info 0
		.amdhsa_system_vgpr_workitem_id 0
		.amdhsa_next_free_vgpr 41
		.amdhsa_next_free_sgpr 34
		.amdhsa_reserve_vcc 1
		.amdhsa_float_round_mode_32 0
		.amdhsa_float_round_mode_16_64 0
		.amdhsa_float_denorm_mode_32 3
		.amdhsa_float_denorm_mode_16_64 3
		.amdhsa_dx10_clamp 1
		.amdhsa_ieee_mode 1
		.amdhsa_fp16_overflow 0
		.amdhsa_workgroup_processor_mode 1
		.amdhsa_memory_ordered 1
		.amdhsa_forward_progress 0
		.amdhsa_shared_vgpr_count 0
		.amdhsa_exception_fp_ieee_invalid_op 0
		.amdhsa_exception_fp_denorm_src 0
		.amdhsa_exception_fp_ieee_div_zero 0
		.amdhsa_exception_fp_ieee_overflow 0
		.amdhsa_exception_fp_ieee_underflow 0
		.amdhsa_exception_fp_ieee_inexact 0
		.amdhsa_exception_int_div_zero 0
	.end_amdhsa_kernel
	.section	.text._Z38paged_attention_ll4mi_QKV_mfma4_kernelIDF16_DF16_LN4vllm18Fp8KVCacheDataTypeE0EhLi16ELi128ELi256ELb0ELi4EEvPKT_PKT0_S7_ifPKiS9_S9_iPKfiiiPfSC_PS2_PT2_iSB_SB_,"axG",@progbits,_Z38paged_attention_ll4mi_QKV_mfma4_kernelIDF16_DF16_LN4vllm18Fp8KVCacheDataTypeE0EhLi16ELi128ELi256ELb0ELi4EEvPKT_PKT0_S7_ifPKiS9_S9_iPKfiiiPfSC_PS2_PT2_iSB_SB_,comdat
.Lfunc_end233:
	.size	_Z38paged_attention_ll4mi_QKV_mfma4_kernelIDF16_DF16_LN4vllm18Fp8KVCacheDataTypeE0EhLi16ELi128ELi256ELb0ELi4EEvPKT_PKT0_S7_ifPKiS9_S9_iPKfiiiPfSC_PS2_PT2_iSB_SB_, .Lfunc_end233-_Z38paged_attention_ll4mi_QKV_mfma4_kernelIDF16_DF16_LN4vllm18Fp8KVCacheDataTypeE0EhLi16ELi128ELi256ELb0ELi4EEvPKT_PKT0_S7_ifPKiS9_S9_iPKfiiiPfSC_PS2_PT2_iSB_SB_
                                        ; -- End function
	.section	.AMDGPU.csdata,"",@progbits
; Kernel info:
; codeLenInByte = 72
; NumSgprs: 36
; NumVgprs: 41
; ScratchSize: 64
; MemoryBound: 0
; FloatMode: 240
; IeeeMode: 1
; LDSByteSize: 0 bytes/workgroup (compile time only)
; SGPRBlocks: 4
; VGPRBlocks: 5
; NumSGPRsForWavesPerEU: 36
; NumVGPRsForWavesPerEU: 41
; Occupancy: 16
; WaveLimiterHint : 1
; COMPUTE_PGM_RSRC2:SCRATCH_EN: 1
; COMPUTE_PGM_RSRC2:USER_SGPR: 15
; COMPUTE_PGM_RSRC2:TRAP_HANDLER: 0
; COMPUTE_PGM_RSRC2:TGID_X_EN: 1
; COMPUTE_PGM_RSRC2:TGID_Y_EN: 0
; COMPUTE_PGM_RSRC2:TGID_Z_EN: 0
; COMPUTE_PGM_RSRC2:TIDIG_COMP_CNT: 0
	.section	.text._Z39paged_attention_ll4mi_QKV_mfma16_kernelIDF16_DF16_LN4vllm18Fp8KVCacheDataTypeE0EhLi16ELi128ELi256ELb0ELi5EL8MFMAType0EEvPKT_PKT0_S8_ifPKiSA_SA_iPKfiiiPfSD_PS3_PT2_iSC_SC_,"axG",@progbits,_Z39paged_attention_ll4mi_QKV_mfma16_kernelIDF16_DF16_LN4vllm18Fp8KVCacheDataTypeE0EhLi16ELi128ELi256ELb0ELi5EL8MFMAType0EEvPKT_PKT0_S8_ifPKiSA_SA_iPKfiiiPfSD_PS3_PT2_iSC_SC_,comdat
	.protected	_Z39paged_attention_ll4mi_QKV_mfma16_kernelIDF16_DF16_LN4vllm18Fp8KVCacheDataTypeE0EhLi16ELi128ELi256ELb0ELi5EL8MFMAType0EEvPKT_PKT0_S8_ifPKiSA_SA_iPKfiiiPfSD_PS3_PT2_iSC_SC_ ; -- Begin function _Z39paged_attention_ll4mi_QKV_mfma16_kernelIDF16_DF16_LN4vllm18Fp8KVCacheDataTypeE0EhLi16ELi128ELi256ELb0ELi5EL8MFMAType0EEvPKT_PKT0_S8_ifPKiSA_SA_iPKfiiiPfSD_PS3_PT2_iSC_SC_
	.globl	_Z39paged_attention_ll4mi_QKV_mfma16_kernelIDF16_DF16_LN4vllm18Fp8KVCacheDataTypeE0EhLi16ELi128ELi256ELb0ELi5EL8MFMAType0EEvPKT_PKT0_S8_ifPKiSA_SA_iPKfiiiPfSD_PS3_PT2_iSC_SC_
	.p2align	8
	.type	_Z39paged_attention_ll4mi_QKV_mfma16_kernelIDF16_DF16_LN4vllm18Fp8KVCacheDataTypeE0EhLi16ELi128ELi256ELb0ELi5EL8MFMAType0EEvPKT_PKT0_S8_ifPKiSA_SA_iPKfiiiPfSD_PS3_PT2_iSC_SC_,@function
_Z39paged_attention_ll4mi_QKV_mfma16_kernelIDF16_DF16_LN4vllm18Fp8KVCacheDataTypeE0EhLi16ELi128ELi256ELb0ELi5EL8MFMAType0EEvPKT_PKT0_S8_ifPKiSA_SA_iPKfiiiPfSD_PS3_PT2_iSC_SC_: ; @_Z39paged_attention_ll4mi_QKV_mfma16_kernelIDF16_DF16_LN4vllm18Fp8KVCacheDataTypeE0EhLi16ELi128ELi256ELb0ELi5EL8MFMAType0EEvPKT_PKT0_S8_ifPKiSA_SA_iPKfiiiPfSD_PS3_PT2_iSC_SC_
; %bb.0:
	s_load_b64 s[4:5], s[0:1], 0x30
	s_mov_b32 s34, s13
	s_waitcnt lgkmcnt(0)
	s_cmp_lg_u64 s[4:5], 0
	s_cselect_b32 s8, -1, 0
	s_ashr_i32 s35, s13, 31
	s_cmp_eq_u64 s[4:5], 0
	s_cbranch_scc1 .LBB234_3
; %bb.1:
	s_lshl_b64 s[2:3], s[34:35], 2
	s_delay_alu instid0(SALU_CYCLE_1) | instskip(SKIP_4) | instid1(SALU_CYCLE_1)
	s_add_u32 s2, s4, s2
	s_addc_u32 s3, s5, s3
	s_load_b64 s[2:3], s[2:3], 0x0
	s_waitcnt lgkmcnt(0)
	s_sub_i32 s2, s3, s2
	s_cmp_eq_u32 s2, 1
	s_cselect_b32 s2, -1, 0
	s_delay_alu instid0(SALU_CYCLE_1)
	s_and_not1_b32 vcc_lo, exec_lo, s2
	s_cbranch_vccz .LBB234_4
.LBB234_2:
	s_nop 0
	s_sendmsg sendmsg(MSG_DEALLOC_VGPRS)
	s_endpgm
.LBB234_3:
.LBB234_4:
	s_load_b64 s[2:3], s[0:1], 0x28
	s_lshl_b64 s[6:7], s[34:35], 2
	s_waitcnt lgkmcnt(0)
	s_add_u32 s2, s2, s6
	s_addc_u32 s3, s3, s7
	s_lshl_b32 s29, s14, 8
	s_load_b32 s28, s[2:3], 0x0
	s_waitcnt lgkmcnt(0)
	s_cmp_ge_i32 s29, s28
	s_cbranch_scc1 .LBB234_2
; %bb.5:
	s_clause 0x1
	s_load_b128 s[20:23], s[0:1], 0x8
	s_load_b64 s[2:3], s[0:1], 0x20
	s_and_not1_b32 vcc_lo, exec_lo, s8
	s_cbranch_vccnz .LBB234_7
; %bb.6:
	s_add_u32 s4, s4, s6
	s_addc_u32 s5, s5, s7
	s_load_b32 s5, s[4:5], 0x0
	s_branch .LBB234_8
.LBB234_7:
	s_mov_b32 s5, s34
.LBB234_8:
	s_load_b128 s[16:19], s[0:1], 0x48
	v_and_b32_e32 v140, 15, v0
	v_lshrrev_b32_e32 v141, 5, v0
	v_bfe_u32 v138, v0, 4, 1
	v_and_b32_e32 v142, 31, v0
	v_and_b32_e32 v139, 1, v0
	v_lshlrev_b32_e32 v2, 3, v140
	s_mul_i32 s31, s15, 5
	v_lshl_or_b32 v1, v141, 1, v138
	s_mov_b32 s4, exec_lo
	s_delay_alu instid0(VALU_DEP_2) | instskip(NEXT) | instid1(VALU_DEP_2)
	v_lshlrev_b32_e32 v137, 1, v2
	v_cmpx_gt_u32_e32 5, v1
	s_cbranch_execz .LBB234_10
; %bb.9:
	s_load_b64 s[6:7], s[0:1], 0x0
	v_add_lshl_u32 v2, v1, s31, 7
	s_waitcnt lgkmcnt(0)
	s_mul_hi_i32 s9, s5, s16
	s_mul_i32 s8, s5, s16
	v_lshlrev_b32_e32 v6, 10, v140
	s_lshl_b64 s[8:9], s[8:9], 1
	v_ashrrev_i32_e32 v3, 31, v2
	v_lshlrev_b32_e32 v1, 6, v1
	v_lshlrev_b32_e32 v7, 10, v139
	v_and_b32_e32 v6, 0x3800, v6
	s_delay_alu instid0(VALU_DEP_4) | instskip(NEXT) | instid1(VALU_DEP_2)
	v_lshlrev_b64 v[2:3], 1, v[2:3]
	v_or3_b32 v1, v6, v7, v1
	s_add_u32 s5, s6, s8
	s_addc_u32 s6, s7, s9
	s_delay_alu instid0(VALU_DEP_2) | instskip(NEXT) | instid1(VALU_DEP_3)
	v_add_co_u32 v2, vcc_lo, s5, v2
	v_add_co_ci_u32_e32 v3, vcc_lo, s6, v3, vcc_lo
	s_delay_alu instid0(VALU_DEP_2) | instskip(NEXT) | instid1(VALU_DEP_2)
	v_add_co_u32 v2, vcc_lo, v2, v137
	v_add_co_ci_u32_e32 v3, vcc_lo, 0, v3, vcc_lo
	global_load_b128 v[2:5], v[2:3], off
	s_waitcnt vmcnt(0)
	ds_store_b128 v1, v[2:5]
.LBB234_10:
	s_or_b32 exec_lo, exec_lo, s4
	v_and_b32_e32 v1, 0xef, v0
	s_waitcnt lgkmcnt(0)
	s_add_i32 s5, s28, 15
	s_clause 0x1
	s_load_b32 s4, s[0:1], 0x38
	s_load_b32 s33, s[0:1], 0x98
	s_ashr_i32 s6, s5, 31
	v_add_nc_u32_e32 v1, s29, v1
	s_lshr_b32 s6, s6, 28
	s_load_b32 s30, s[0:1], 0x1c
	s_add_i32 s5, s5, s6
	s_waitcnt lgkmcnt(0)
	v_ashrrev_i32_e32 v2, 31, v1
	v_cmp_gt_i32_e32 vcc_lo, s28, v1
	s_ashr_i32 s16, s5, 4
	s_barrier
	s_add_i32 s16, s16, -1
	v_lshrrev_b32_e32 v3, 28, v2
	v_or_b32_e32 v2, 16, v1
	buffer_gl0_inv
	v_mul_lo_u16 v105, v140, 52
	v_lshlrev_b32_e32 v106, 5, v140
	v_add_nc_u32_e32 v4, v1, v3
	v_add_nc_u32_e32 v3, v2, v3
	s_mul_i32 s4, s34, s4
	v_lshrrev_b16 v105, 8, v105
	s_ashr_i32 s5, s4, 31
	v_ashrrev_i32_e32 v4, 4, v4
	v_ashrrev_i32_e32 v3, 4, v3
	s_lshl_b64 s[4:5], s[4:5], 2
	v_mul_lo_u16 v105, v105, 5
	s_add_u32 s35, s2, s4
	v_cndmask_b32_e32 v1, s16, v4, vcc_lo
	v_cmp_gt_i32_e32 vcc_lo, s28, v2
	s_addc_u32 s36, s3, s5
	s_mul_i32 s2, s15, s18
	v_sub_nc_u16 v105, v140, v105
	v_ashrrev_i32_e32 v2, 31, v1
	v_cndmask_b32_e32 v3, s16, v3, vcc_lo
	s_ashr_i32 s3, s2, 31
	v_lshl_or_b32 v125, v141, 9, v106
	s_lshl_b64 s[2:3], s[2:3], 1
	v_lshlrev_b64 v[1:2], 2, v[1:2]
	v_ashrrev_i32_e32 v4, 31, v3
	s_add_u32 s24, s20, s2
	s_addc_u32 s25, s21, s3
	s_lshl_b32 s4, s14, 4
	v_and_b32_e32 v105, 0xff, v105
	v_lshlrev_b64 v[3:4], 2, v[3:4]
	v_add_co_u32 v1, vcc_lo, s35, v1
	v_add_co_ci_u32_e32 v2, vcc_lo, s36, v2, vcc_lo
	s_ashr_i32 s5, s4, 31
	s_delay_alu instid0(VALU_DEP_3) | instskip(NEXT) | instid1(VALU_DEP_4)
	v_add_co_u32 v3, vcc_lo, s35, v3
	v_add_co_ci_u32_e32 v4, vcc_lo, s36, v4, vcc_lo
	s_lshl_b64 s[4:5], s[4:5], 2
	s_clause 0x1
	global_load_b32 v5, v[1:2], off
	global_load_b32 v6, v[3:4], off
	s_add_u32 s4, s35, s4
	s_addc_u32 s5, s36, s5
	s_or_b32 s6, s29, 16
	v_lshlrev_b32_e32 v3, 4, v0
	s_ashr_i32 s7, s6, 4
	s_cmp_lt_i32 s6, s28
	v_lshlrev_b32_e32 v215, 6, v105
	s_cselect_b32 s6, s7, s16
	s_delay_alu instid0(SALU_CYCLE_1) | instskip(NEXT) | instid1(SALU_CYCLE_1)
	s_ashr_i32 s7, s6, 31
	s_lshl_b64 s[6:7], s[6:7], 2
	s_delay_alu instid0(SALU_CYCLE_1) | instskip(SKIP_2) | instid1(SALU_CYCLE_1)
	s_add_u32 s6, s35, s6
	s_addc_u32 s7, s36, s7
	s_or_b32 s8, s29, 32
	s_ashr_i32 s9, s8, 4
	s_cmp_lt_i32 s8, s28
	s_cselect_b32 s8, s9, s16
	s_delay_alu instid0(SALU_CYCLE_1) | instskip(NEXT) | instid1(SALU_CYCLE_1)
	s_ashr_i32 s9, s8, 31
	s_lshl_b64 s[8:9], s[8:9], 2
	s_delay_alu instid0(SALU_CYCLE_1) | instskip(SKIP_2) | instid1(SALU_CYCLE_1)
	s_add_u32 s8, s35, s8
	s_addc_u32 s9, s36, s9
	s_or_b32 s10, s29, 48
	s_ashr_i32 s11, s10, 4
	s_cmp_lt_i32 s10, s28
	;; [unrolled: 10-line block ×4, first 2 shown]
	s_cselect_b32 s12, s13, s16
	s_delay_alu instid0(SALU_CYCLE_1) | instskip(NEXT) | instid1(SALU_CYCLE_1)
	s_ashr_i32 s13, s12, 31
	s_lshl_b64 s[12:13], s[12:13], 2
	s_delay_alu instid0(SALU_CYCLE_1)
	s_add_u32 s20, s35, s12
	s_addc_u32 s21, s36, s13
	s_clause 0x5
	s_load_b32 s39, s[4:5], 0x0
	s_load_b32 s38, s[6:7], 0x0
	;; [unrolled: 1-line block ×6, first 2 shown]
	s_waitcnt vmcnt(1)
	v_mad_i64_i32 v[1:2], null, v5, s17, 0
	v_and_b32_e32 v5, 0xf0, v3
	s_waitcnt vmcnt(0)
	v_mad_i64_i32 v[3:4], null, v6, s17, 0
	s_delay_alu instid0(VALU_DEP_2) | instskip(NEXT) | instid1(VALU_DEP_4)
	v_add_co_u32 v5, s4, s24, v5
	v_lshlrev_b64 v[1:2], 1, v[1:2]
	v_add_co_ci_u32_e64 v6, null, s25, 0, s4
	s_delay_alu instid0(VALU_DEP_4) | instskip(SKIP_1) | instid1(VALU_DEP_3)
	v_lshlrev_b64 v[3:4], 1, v[3:4]
	s_or_b32 s4, s29, 0x60
	v_add_co_u32 v121, vcc_lo, v5, v1
	s_delay_alu instid0(VALU_DEP_3) | instskip(NEXT) | instid1(VALU_DEP_3)
	v_add_co_ci_u32_e32 v122, vcc_lo, v6, v2, vcc_lo
	v_add_co_u32 v123, vcc_lo, v5, v3
	s_delay_alu instid0(VALU_DEP_4)
	v_add_co_ci_u32_e32 v124, vcc_lo, v6, v4, vcc_lo
	s_clause 0x19
	global_load_b128 v[89:92], v[121:122], off
	global_load_b128 v[93:96], v[121:122], off offset:256
	global_load_b128 v[97:100], v[123:124], off
	global_load_b128 v[101:104], v[123:124], off offset:256
	global_load_b128 v[81:84], v[121:122], off offset:512
	global_load_b128 v[85:88], v[121:122], off offset:768
	global_load_b128 v[73:76], v[123:124], off offset:512
	global_load_b128 v[77:80], v[123:124], off offset:768
	global_load_b128 v[65:68], v[121:122], off offset:1024
	global_load_b128 v[69:72], v[121:122], off offset:1280
	global_load_b128 v[57:60], v[123:124], off offset:1024
	global_load_b128 v[61:64], v[123:124], off offset:1280
	global_load_b128 v[49:52], v[121:122], off offset:1536
	global_load_b128 v[53:56], v[121:122], off offset:1792
	global_load_b128 v[25:28], v[123:124], off offset:1536
	global_load_b128 v[29:32], v[123:124], off offset:1792
	global_load_b128 v[1:4], v[121:122], off offset:2048
	global_load_b128 v[5:8], v[121:122], off offset:2304
	global_load_b128 v[9:12], v[123:124], off offset:2048
	global_load_b128 v[13:16], v[123:124], off offset:2304
	global_load_b128 v[41:44], v[121:122], off offset:2560
	global_load_b128 v[45:48], v[121:122], off offset:2816
	global_load_b128 v[33:36], v[123:124], off offset:2560
	global_load_b128 v[37:40], v[123:124], off offset:2816
	global_load_b128 v[17:20], v[121:122], off offset:3072
	global_load_b128 v[21:24], v[121:122], off offset:3328
	s_ashr_i32 s5, s4, 4
	s_cmp_lt_i32 s4, s28
	ds_load_b128 v[105:108], v215
	ds_load_b128 v[109:112], v215 offset:1024
	s_cselect_b32 s4, s5, s16
	ds_load_b128 v[113:116], v215 offset:2048
	ds_load_b128 v[117:120], v215 offset:3072
	s_ashr_i32 s5, s4, 31
	ds_load_b128 v[143:146], v215 offset:4096
	ds_load_b128 v[147:150], v215 offset:5120
	s_lshl_b64 s[6:7], s[4:5], 2
	ds_load_b128 v[151:154], v215 offset:6144
	ds_load_b128 v[155:158], v215 offset:7168
	s_add_u32 s18, s35, s6
	s_addc_u32 s19, s36, s7
	s_or_b32 s5, s29, 0x70
	ds_load_b128 v[159:162], v215 offset:8192
	ds_load_b128 v[163:166], v215 offset:9216
	s_ashr_i32 s6, s5, 4
	s_cmp_lt_i32 s5, s28
	s_clause 0x1
	global_load_b128 v[167:170], v[123:124], off offset:3072
	global_load_b128 v[171:174], v[123:124], off offset:3328
	s_cselect_b32 s8, s6, s16
	s_mov_b32 s4, 0
	s_ashr_i32 s9, s8, 31
	s_mov_b32 s5, s4
	s_lshl_b64 s[8:9], s[8:9], 2
	s_mov_b32 s6, s4
	s_add_u32 s20, s35, s8
	s_addc_u32 s21, s36, s9
	s_clause 0x1
	s_load_b32 s41, s[18:19], 0x0
	s_load_b32 s46, s[20:21], 0x0
	s_clause 0x3
	global_load_b128 v[175:178], v[121:122], off offset:3584
	global_load_b128 v[179:182], v[121:122], off offset:3840
	;; [unrolled: 1-line block ×4, first 2 shown]
	s_or_b32 s8, s29, 0x80
	s_mov_b32 s7, s4
	s_ashr_i32 s9, s8, 4
	s_cmp_lt_i32 s8, s28
	s_mov_b32 s8, s4
	s_cselect_b32 s10, s9, s16
	s_mov_b32 s9, s4
	s_ashr_i32 s11, s10, 31
	s_delay_alu instid0(SALU_CYCLE_1)
	s_lshl_b64 s[24:25], s[10:11], 2
	s_mov_b32 s10, s4
	s_add_u32 s24, s35, s24
	s_addc_u32 s25, s36, s25
	s_or_b32 s11, s29, 0x90
	s_load_b32 s47, s[24:25], 0x0
	s_ashr_i32 s26, s11, 4
	s_cmp_lt_i32 s11, s28
	s_mov_b32 s11, s4
	s_cselect_b32 s26, s26, s16
	v_mov_b32_e32 v136, s11
	s_ashr_i32 s27, s26, 31
	v_dual_mov_b32 v135, s10 :: v_dual_mov_b32 v134, s9
	v_dual_mov_b32 v133, s8 :: v_dual_mov_b32 v132, s7
	;; [unrolled: 1-line block ×3, first 2 shown]
	v_mov_b32_e32 v129, s4
	s_lshl_b64 s[4:5], s[26:27], 2
	s_waitcnt lgkmcnt(0)
	s_mul_hi_i32 s7, s38, s17
	s_add_u32 s26, s35, s4
	s_addc_u32 s27, s36, s5
	s_or_b32 s4, s29, 0xa0
	s_load_b32 s40, s[26:27], 0x0
	s_ashr_i32 s5, s4, 4
	s_cmp_lt_i32 s4, s28
	s_cselect_b32 s4, s5, s16
	s_delay_alu instid0(SALU_CYCLE_1) | instskip(NEXT) | instid1(SALU_CYCLE_1)
	s_ashr_i32 s5, s4, 31
	s_lshl_b64 s[4:5], s[4:5], 2
	s_delay_alu instid0(SALU_CYCLE_1)
	s_add_u32 s42, s35, s4
	s_addc_u32 s43, s36, s5
	s_or_b32 s4, s29, 0xb0
	s_mul_hi_i32 s5, s39, s17
	s_ashr_i32 s6, s4, 4
	s_cmp_lt_i32 s4, s28
	s_mul_i32 s4, s39, s17
	s_cselect_b32 s8, s6, s16
	s_mul_i32 s6, s38, s17
	s_ashr_i32 s9, s8, 31
	s_delay_alu instid0(SALU_CYCLE_1)
	s_lshl_b64 s[10:11], s[8:9], 2
	s_mul_hi_i32 s9, s37, s17
	s_add_u32 s44, s35, s10
	s_addc_u32 s45, s36, s11
	s_or_b32 s10, s29, 0xc0
	s_mul_i32 s8, s37, s17
	s_ashr_i32 s37, s10, 4
	s_cmp_lt_i32 s10, s28
	s_mul_hi_i32 s11, s13, s17
	s_cselect_b32 s38, s37, s16
	s_mul_i32 s10, s13, s17
	s_ashr_i32 s39, s38, 31
	s_mul_hi_i32 s13, s12, s17
	s_lshl_b64 s[38:39], s[38:39], 2
	s_mul_i32 s12, s12, s17
	s_add_u32 s20, s35, s38
	s_addc_u32 s21, s36, s39
	s_load_b32 s39, s[42:43], 0x0
	s_or_b32 s18, s29, 0xd0
	s_mul_hi_i32 s27, s47, s17
	s_ashr_i32 s19, s18, 4
	s_cmp_lt_i32 s18, s28
	s_mul_i32 s18, s15, s17
	s_cselect_b32 s24, s19, s16
	s_mul_hi_i32 s19, s15, s17
	s_ashr_i32 s25, s24, 31
	s_mul_i32 s26, s47, s17
	s_lshl_b64 s[24:25], s[24:25], 2
	s_delay_alu instid0(SALU_CYCLE_1)
	s_add_u32 s24, s35, s24
	s_addc_u32 s25, s36, s25
	s_or_b32 s42, s29, 0xe0
	s_clause 0x2
	s_load_b32 s38, s[44:45], 0x0
	s_load_b32 s37, s[20:21], 0x0
	s_load_b32 s15, s[24:25], 0x0
	s_ashr_i32 s43, s42, 4
	s_cmp_lt_i32 s42, s28
	s_mul_hi_i32 s25, s46, s17
	s_cselect_b32 s42, s43, s16
	s_mul_i32 s24, s46, s17
	s_ashr_i32 s43, s42, 31
	s_mul_hi_i32 s21, s41, s17
	s_lshl_b64 s[42:43], s[42:43], 2
	s_mul_i32 s20, s41, s17
	s_add_u32 s42, s35, s42
	s_addc_u32 s43, s36, s43
	s_or_b32 s46, s29, 0xf0
	s_waitcnt lgkmcnt(0)
	s_mul_hi_i32 s41, s40, s17
	s_ashr_i32 s47, s46, 4
	s_cmp_lt_i32 s46, s28
	s_mul_i32 s40, s40, s17
	s_cselect_b32 s46, s47, s16
	s_mul_hi_i32 s45, s39, s17
	s_ashr_i32 s47, s46, 31
	s_mul_hi_i32 s51, s15, s17
	s_lshl_b64 s[46:47], s[46:47], 2
	s_mul_i32 s50, s15, s17
	s_add_u32 s46, s35, s46
	s_addc_u32 s47, s36, s47
	s_add_u32 s15, s22, s2
	s_addc_u32 s16, s23, s3
	v_add_co_u32 v216, s15, s15, v125
	s_delay_alu instid0(VALU_DEP_1) | instskip(SKIP_2) | instid1(VALU_DEP_2)
	v_add_co_ci_u32_e64 v217, null, s16, 0, s15
	s_lshl_b64 s[2:3], s[4:5], 1
	s_lshl_b64 s[4:5], s[6:7], 1
	v_add_co_u32 v125, vcc_lo, v216, s2
	s_delay_alu instid0(VALU_DEP_2)
	v_add_co_ci_u32_e32 v126, vcc_lo, s3, v217, vcc_lo
	v_add_co_u32 v199, vcc_lo, v216, s4
	s_lshl_b64 s[6:7], s[8:9], 1
	v_add_co_ci_u32_e32 v200, vcc_lo, s5, v217, vcc_lo
	s_lshl_b64 s[8:9], s[10:11], 1
	s_lshl_b64 s[10:11], s[12:13], 1
	;; [unrolled: 1-line block ×7, first 2 shown]
	s_mul_i32 s44, s39, s17
	s_mul_hi_i32 s39, s38, s17
	s_lshl_b64 s[26:27], s[44:45], 1
	s_mul_i32 s38, s38, s17
	s_mul_hi_i32 s49, s37, s17
	s_mul_i32 s48, s37, s17
	s_lshl_b64 s[36:37], s[38:39], 1
	s_lshl_b64 s[38:39], s[48:49], 1
	s_clause 0x1
	s_load_b32 s15, s[42:43], 0x0
	s_load_b32 s16, s[46:47], 0x0
	s_lshl_b64 s[40:41], s[50:51], 1
	s_waitcnt lgkmcnt(0)
	s_mul_hi_i32 s3, s15, s17
	s_mul_i32 s2, s15, s17
	s_mul_hi_i32 s5, s16, s17
	s_lshl_b64 s[2:3], s[2:3], 1
	s_mul_i32 s4, s16, s17
	s_waitcnt vmcnt(30)
	v_wmma_f32_16x16x16_f16 v[191:198], v[89:96], v[105:112], v[129:136]
	v_add_co_u32 v89, vcc_lo, v216, s6
	v_add_co_ci_u32_e32 v90, vcc_lo, s7, v217, vcc_lo
	v_add_co_u32 v91, vcc_lo, v216, s8
	v_add_co_ci_u32_e32 v92, vcc_lo, s9, v217, vcc_lo
	;; [unrolled: 2-line block ×5, first 2 shown]
	v_add_co_u32 v205, vcc_lo, v216, s20
	s_waitcnt vmcnt(28)
	v_wmma_f32_16x16x16_f16 v[129:136], v[97:104], v[105:112], v[129:136]
	v_add_co_ci_u32_e32 v206, vcc_lo, s21, v217, vcc_lo
	v_add_co_u32 v207, vcc_lo, v216, s22
	v_add_co_ci_u32_e32 v208, vcc_lo, s23, v217, vcc_lo
	v_add_co_u32 v209, vcc_lo, v216, s24
	s_waitcnt vmcnt(26)
	v_wmma_f32_16x16x16_f16 v[191:198], v[81:88], v[113:120], v[191:198]
	s_waitcnt vmcnt(24)
	v_wmma_f32_16x16x16_f16 v[129:136], v[73:80], v[113:120], v[129:136]
	v_add_co_ci_u32_e32 v210, vcc_lo, s25, v217, vcc_lo
	v_add_co_u32 v211, vcc_lo, v216, s26
	v_add_co_ci_u32_e32 v212, vcc_lo, s27, v217, vcc_lo
	v_add_co_u32 v213, vcc_lo, v216, s36
	s_waitcnt vmcnt(22)
	v_wmma_f32_16x16x16_f16 v[191:198], v[65:72], v[143:150], v[191:198]
	s_waitcnt vmcnt(20)
	v_wmma_f32_16x16x16_f16 v[129:136], v[57:64], v[143:150], v[129:136]
	v_add_co_ci_u32_e32 v214, vcc_lo, s37, v217, vcc_lo
	v_add_co_u32 v143, vcc_lo, v216, s38
	s_waitcnt vmcnt(18)
	v_wmma_f32_16x16x16_f16 v[191:198], v[49:56], v[151:158], v[191:198]
	s_waitcnt vmcnt(16)
	v_wmma_f32_16x16x16_f16 v[129:136], v[25:32], v[151:158], v[129:136]
	v_add_co_ci_u32_e32 v144, vcc_lo, s39, v217, vcc_lo
	s_clause 0x15
	global_load_b128 v[121:124], v[125:126], off
	global_load_b128 v[125:128], v[125:126], off offset:16
	global_load_b128 v[113:116], v[199:200], off
	global_load_b128 v[117:120], v[199:200], off offset:16
	;; [unrolled: 2-line block ×11, first 2 shown]
	s_waitcnt vmcnt(36)
	v_wmma_f32_16x16x16_f16 v[191:198], v[1:8], v[159:166], v[191:198]
	s_clause 0x1
	global_load_b128 v[1:4], v[213:214], off
	global_load_b128 v[5:8], v[213:214], off offset:16
	s_waitcnt vmcnt(36)
	v_wmma_f32_16x16x16_f16 v[129:136], v[9:16], v[159:166], v[129:136]
	s_clause 0x1
	global_load_b128 v[9:12], v[143:144], off
	global_load_b128 v[13:16], v[143:144], off offset:16
	ds_load_b128 v[143:146], v215 offset:10240
	ds_load_b128 v[147:150], v215 offset:11264
	;; [unrolled: 1-line block ×4, first 2 shown]
	v_add_co_u32 v199, vcc_lo, v216, s40
	v_add_co_ci_u32_e32 v200, vcc_lo, s41, v217, vcc_lo
	v_add_co_u32 v159, vcc_lo, v216, s2
	v_add_co_ci_u32_e32 v160, vcc_lo, s3, v217, vcc_lo
	s_lshl_b64 s[2:3], s[4:5], 1
	s_delay_alu instid0(SALU_CYCLE_1)
	v_add_co_u32 v161, vcc_lo, v216, s2
	v_add_co_ci_u32_e32 v162, vcc_lo, s3, v217, vcc_lo
	s_waitcnt vmcnt(36) lgkmcnt(2)
	v_wmma_f32_16x16x16_f16 v[191:198], v[41:48], v[143:150], v[191:198]
	s_waitcnt vmcnt(34)
	v_wmma_f32_16x16x16_f16 v[129:136], v[33:40], v[143:150], v[129:136]
	s_clause 0x3
	global_load_b128 v[33:36], v[199:200], off
	global_load_b128 v[37:40], v[199:200], off offset:16
	global_load_b128 v[41:44], v[159:160], off
	global_load_b128 v[45:48], v[159:160], off offset:16
	v_and_b32_e32 v143, 0xe0, v0
	v_mbcnt_lo_u32_b32 v159, -1, 0
	s_waitcnt vmcnt(36) lgkmcnt(0)
	v_wmma_f32_16x16x16_f16 v[191:198], v[17:24], v[151:158], v[191:198]
	s_clause 0x1
	global_load_b128 v[17:20], v[161:162], off
	global_load_b128 v[21:24], v[161:162], off offset:16
	s_waitcnt vmcnt(36)
	v_wmma_f32_16x16x16_f16 v[129:136], v[167:174], v[151:158], v[129:136]
	v_add_nc_u32_e32 v160, s29, v143
	ds_load_b128 v[143:146], v215 offset:14336
	ds_load_b128 v[147:150], v215 offset:15360
	v_xor_b32_e32 v151, 16, v159
	s_waitcnt vmcnt(0) lgkmcnt(0)
	s_barrier
	v_or_b32_e32 v152, v160, v138
	buffer_gl0_inv
	v_cmp_gt_i32_e32 vcc_lo, 32, v151
	v_or_b32_e32 v153, 2, v152
	v_or_b32_e32 v154, 4, v152
	;; [unrolled: 1-line block ×5, first 2 shown]
	v_cmp_gt_i32_e64 s2, s28, v153
	v_cmp_gt_i32_e64 s3, s28, v154
	;; [unrolled: 1-line block ×3, first 2 shown]
	v_or_b32_e32 v158, 12, v152
	v_cmp_gt_i32_e64 s5, s28, v156
	v_cmp_gt_i32_e64 s6, s28, v157
	v_wmma_f32_16x16x16_f16 v[191:198], v[175:182], v[143:150], v[191:198]
	v_wmma_f32_16x16x16_f16 v[129:136], v[183:190], v[143:150], v[129:136]
	v_cndmask_b32_e32 v151, v159, v151, vcc_lo
	v_cmp_gt_i32_e32 vcc_lo, s28, v152
	v_or_b32_e32 v159, 14, v152
	v_dual_mul_f32 v149, s30, v192 :: v_dual_mul_f32 v150, s30, v191
	v_dual_mul_f32 v147, s30, v194 :: v_dual_mul_f32 v148, s30, v193
	;; [unrolled: 1-line block ×3, first 2 shown]
	s_delay_alu instid0(VALU_DEP_3) | instskip(NEXT) | instid1(VALU_DEP_4)
	v_cndmask_b32_e32 v150, 0xff7fffff, v150, vcc_lo
	v_cndmask_b32_e64 v149, 0xff7fffff, v149, s2
	v_mul_f32_e32 v146, s30, v195
	v_cndmask_b32_e64 v148, 0xff7fffff, v148, s3
	v_cndmask_b32_e64 v147, 0xff7fffff, v147, s4
	v_or_b32_e32 v160, 16, v152
	v_max3_f32 v149, v150, 0xff7fffff, v149
	v_or_b32_e32 v161, 18, v152
	v_dual_mul_f32 v143, s30, v198 :: v_dual_mul_f32 v144, s30, v197
	v_cndmask_b32_e64 v146, 0xff7fffff, v146, s5
	v_cndmask_b32_e64 v145, 0xff7fffff, v145, s6
	v_max3_f32 v147, v149, v148, v147
	v_cmp_gt_i32_e64 s7, s28, v158
	v_cmp_gt_i32_e64 s8, s28, v159
	v_or_b32_e32 v162, 20, v152
	v_or_b32_e32 v163, 22, v152
	v_mul_f32_e32 v175, s30, v129
	v_cndmask_b32_e64 v144, 0xff7fffff, v144, s7
	v_cndmask_b32_e64 v143, 0xff7fffff, v143, s8
	v_max3_f32 v145, v147, v146, v145
	v_cmp_gt_i32_e64 s9, s28, v160
	v_cmp_gt_i32_e64 s10, s28, v161
	v_or_b32_e32 v164, 24, v152
	v_or_b32_e32 v165, 26, v152
	v_dual_mul_f32 v172, s30, v132 :: v_dual_mul_f32 v173, s30, v131
	v_cndmask_b32_e64 v146, 0xff7fffff, v175, s9
	v_cndmask_b32_e64 v147, 0xff7fffff, v174, s10
	v_max3_f32 v143, v145, v144, v143
	v_cmp_gt_i32_e64 s11, s28, v162
	v_cmp_gt_i32_e64 s12, s28, v163
	v_or_b32_e32 v166, 28, v152
	v_or_b32_e32 v167, 30, v152
	v_dual_mul_f32 v170, s30, v134 :: v_dual_mul_f32 v171, s30, v133
	v_cndmask_b32_e64 v144, 0xff7fffff, v173, s11
	v_cndmask_b32_e64 v145, 0xff7fffff, v172, s12
	v_max3_f32 v143, v143, v146, v147
	v_cmp_gt_i32_e64 s13, s28, v164
	v_cmp_gt_i32_e64 s15, s28, v165
	v_dual_mul_f32 v168, s30, v136 :: v_dual_mul_f32 v169, s30, v135
	s_delay_alu instid0(VALU_DEP_4) | instskip(NEXT) | instid1(VALU_DEP_4)
	v_max3_f32 v143, v143, v144, v145
	v_cndmask_b32_e64 v146, 0xff7fffff, v171, s13
	s_delay_alu instid0(VALU_DEP_4) | instskip(SKIP_3) | instid1(VALU_DEP_4)
	v_cndmask_b32_e64 v147, 0xff7fffff, v170, s15
	v_cmp_gt_i32_e64 s16, s28, v166
	v_cmp_gt_i32_e64 s17, s28, v167
	v_lshlrev_b32_e32 v160, 2, v151
	v_max3_f32 v143, v143, v146, v147
	s_delay_alu instid0(VALU_DEP_4) | instskip(NEXT) | instid1(VALU_DEP_4)
	v_cndmask_b32_e64 v144, 0xff7fffff, v169, s16
	v_cndmask_b32_e64 v145, 0xff7fffff, v168, s17
	s_delay_alu instid0(VALU_DEP_1) | instskip(SKIP_3) | instid1(VALU_DEP_1)
	v_max3_f32 v143, v143, v144, v145
	ds_bpermute_b32 v144, v160, v143
	s_waitcnt lgkmcnt(0)
	v_max_f32_e32 v144, v144, v144
	v_max_f32_e32 v159, v143, v144
	s_delay_alu instid0(VALU_DEP_1) | instskip(SKIP_4) | instid1(VALU_DEP_4)
	v_fma_f32 v145, s30, v193, -v159
	v_fma_f32 v146, s30, v194, -v159
	;; [unrolled: 1-line block ×5, first 2 shown]
	v_dual_mul_f32 v145, 0x3fb8aa3b, v145 :: v_dual_mul_f32 v146, 0x3fb8aa3b, v146
	s_delay_alu instid0(VALU_DEP_4) | instskip(SKIP_1) | instid1(VALU_DEP_4)
	v_mul_f32_e32 v132, 0x3fb8aa3b, v132
	v_fma_f32 v148, s30, v195, -v159
	v_mul_f32_e32 v144, 0x3fb8aa3b, v144
	s_delay_alu instid0(VALU_DEP_4)
	v_exp_f32_e32 v145, v145
	v_exp_f32_e32 v150, v146
	v_fma_f32 v149, s30, v196, -v159
	v_mul_f32_e32 v148, 0x3fb8aa3b, v148
	v_exp_f32_e32 v147, v144
	v_fma_f32 v134, s30, v134, -v159
	v_fma_f32 v151, s30, v197, -v159
	v_mul_f32_e32 v149, 0x3fb8aa3b, v149
	v_exp_f32_e32 v148, v148
	v_fma_f32 v152, s30, v198, -v159
	v_cndmask_b32_e64 v146, 0, v145, s3
	v_cndmask_b32_e64 v145, 0, v150, s4
	v_dual_mul_f32 v143, 0x3fb8aa3b, v143 :: v_dual_mul_f32 v134, 0x3fb8aa3b, v134
	v_mul_f32_e32 v151, 0x3fb8aa3b, v151
	v_exp_f32_e32 v149, v149
	v_fma_f32 v129, s30, v129, -v159
	s_delay_alu instid0(VALU_DEP_3)
	v_exp_f32_e32 v143, v143
	v_mul_f32_e32 v150, 0x3fb8aa3b, v152
	v_exp_f32_e32 v151, v151
	v_cndmask_b32_e64 v148, 0, v148, s5
	v_fma_f32 v130, s30, v130, -v159
	v_mul_f32_e32 v129, 0x3fb8aa3b, v129
	v_exp_f32_e32 v153, v150
	v_fma_f32 v131, s30, v131, -v159
	v_fma_f32 v133, s30, v133, -v159
	v_mul_f32_e32 v130, 0x3fb8aa3b, v130
	v_cndmask_b32_e32 v144, 0, v143, vcc_lo
	v_cndmask_b32_e64 v143, 0, v147, s2
	v_exp_f32_e32 v129, v129
	v_cndmask_b32_e64 v150, 0, v151, s7
	v_mul_f32_e32 v131, 0x3fb8aa3b, v131
	v_add_f32_e32 v147, 0, v144
	v_exp_f32_e32 v130, v130
	v_mul_f32_e32 v133, 0x3fb8aa3b, v133
	v_exp_f32_e32 v132, v132
	v_exp_f32_e32 v131, v131
	v_add_f32_e32 v147, v147, v143
	v_cmp_gt_u32_e64 s2, 16, v142
	v_exp_f32_e32 v133, v133
	s_delay_alu instid0(VALU_DEP_2)
	v_add_f32_e32 v147, v147, v146
	s_waitcnt_depctr 0xfff
	v_cndmask_b32_e64 v154, 0, v131, s11
	v_add_f32_e32 v152, v147, v145
	v_cndmask_b32_e64 v147, 0, v149, s6
	v_exp_f32_e32 v131, v134
	v_cndmask_b32_e64 v156, 0, v133, s13
	s_delay_alu instid0(VALU_DEP_3) | instskip(SKIP_1) | instid1(VALU_DEP_2)
	v_add_f32_e32 v149, v152, v148
	v_cndmask_b32_e64 v152, 0, v129, s9
	v_add_f32_e32 v151, v149, v147
	v_cndmask_b32_e64 v149, 0, v153, s8
	v_cndmask_b32_e64 v153, 0, v132, s12
	v_fma_f32 v132, s30, v136, -v159
	s_delay_alu instid0(TRANS32_DEP_1) | instskip(NEXT) | instid1(VALU_DEP_2)
	v_cndmask_b32_e64 v155, 0, v131, s15
	v_dual_add_f32 v151, v151, v150 :: v_dual_mul_f32 v132, 0x3fb8aa3b, v132
	s_delay_alu instid0(VALU_DEP_1) | instskip(SKIP_2) | instid1(VALU_DEP_4)
	v_add_f32_e32 v129, v151, v149
	v_cndmask_b32_e64 v151, 0, v130, s10
	v_fma_f32 v130, s30, v135, -v159
	v_exp_f32_e32 v131, v132
	s_delay_alu instid0(VALU_DEP_1) | instskip(NEXT) | instid1(VALU_DEP_1)
	v_dual_add_f32 v129, v129, v152 :: v_dual_mul_f32 v130, 0x3fb8aa3b, v130
	v_add_f32_e32 v129, v129, v151
	s_delay_alu instid0(VALU_DEP_2) | instskip(SKIP_3) | instid1(VALU_DEP_1)
	v_exp_f32_e32 v130, v130
	s_waitcnt_depctr 0xfff
	v_cndmask_b32_e64 v157, 0, v131, s17
	v_add_f32_e32 v129, v129, v154
	v_add_f32_e32 v129, v129, v153
	v_cndmask_b32_e64 v158, 0, v130, s16
	s_delay_alu instid0(VALU_DEP_2) | instskip(NEXT) | instid1(VALU_DEP_1)
	v_add_f32_e32 v129, v129, v156
	v_add_f32_e32 v129, v129, v155
	s_delay_alu instid0(VALU_DEP_1) | instskip(NEXT) | instid1(VALU_DEP_1)
	v_add_f32_e32 v129, v129, v158
	v_add_f32_e32 v129, v129, v157
	ds_bpermute_b32 v130, v160, v129
	s_and_saveexec_b32 s3, s2
	s_cbranch_execz .LBB234_12
; %bb.11:
	v_mul_u32_u24_e32 v131, 0x44, v141
	s_delay_alu instid0(VALU_DEP_1) | instskip(SKIP_1) | instid1(VALU_DEP_1)
	v_lshl_add_u32 v131, v140, 2, v131
	s_waitcnt lgkmcnt(0)
	v_dual_add_f32 v129, v129, v130 :: v_dual_add_nc_u32 v130, 0x4000, v131
	ds_store_2addr_b32 v130, v159, v129 offset1:136
.LBB234_12:
	s_or_b32 exec_lo, exec_lo, s3
	v_lshlrev_b32_e32 v129, 2, v140
	s_load_b32 s35, s[0:1], 0x94
	s_waitcnt lgkmcnt(0)
	s_barrier
	buffer_gl0_inv
	v_add_nc_u32_e32 v135, 0x4000, v129
	v_cmp_eq_u32_e32 vcc_lo, 1, v141
	v_cmp_eq_u32_e64 s3, 2, v141
	v_cmp_eq_u32_e64 s4, 3, v141
	;; [unrolled: 1-line block ×3, first 2 shown]
	ds_load_2addr_b32 v[129:130], v135 offset1:17
	ds_load_2addr_b32 v[131:132], v135 offset0:34 offset1:51
	ds_load_2addr_b32 v[133:134], v135 offset0:68 offset1:85
	;; [unrolled: 1-line block ×3, first 2 shown]
	v_cmp_eq_u32_e64 s6, 5, v141
	v_cmp_eq_u32_e64 s7, 7, v141
	s_waitcnt lgkmcnt(3)
	v_max3_f32 v136, v129, 0xff7fffff, v130
	s_waitcnt lgkmcnt(2)
	s_delay_alu instid0(VALU_DEP_1) | instskip(SKIP_1) | instid1(VALU_DEP_1)
	v_max3_f32 v136, v136, v131, v132
	s_waitcnt lgkmcnt(1)
	v_max3_f32 v136, v136, v133, v134
	s_waitcnt lgkmcnt(0)
	s_delay_alu instid0(VALU_DEP_1) | instskip(NEXT) | instid1(VALU_DEP_1)
	v_max3_f32 v136, v136, v159, v160
	v_sub_f32_e32 v142, v130, v136
	ds_load_2addr_b32 v[161:162], v135 offset0:136 offset1:153
	v_sub_f32_e32 v164, v132, v136
	v_mul_f32_e32 v142, 0x3fb8aa3b, v142
	s_delay_alu instid0(VALU_DEP_2) | instskip(NEXT) | instid1(VALU_DEP_2)
	v_mul_f32_e32 v164, 0x3fb8aa3b, v164
	v_exp_f32_e32 v166, v142
	v_sub_f32_e32 v129, v129, v136
	s_delay_alu instid0(VALU_DEP_2) | instskip(NEXT) | instid1(VALU_DEP_1)
	v_exp_f32_e32 v164, v164
	v_mul_f32_e32 v163, 0x3fb8aa3b, v129
	ds_load_2addr_b32 v[129:130], v135 offset0:170 offset1:187
	v_exp_f32_e32 v163, v163
	s_waitcnt lgkmcnt(1)
	s_waitcnt_depctr 0xfff
	v_fma_f32 v142, v163, v161, 0
	v_sub_f32_e32 v161, v134, v136
	s_delay_alu instid0(VALU_DEP_2) | instskip(NEXT) | instid1(VALU_DEP_1)
	v_dual_fmac_f32 v142, v166, v162 :: v_dual_sub_f32 v131, v131, v136
	v_mul_f32_e32 v165, 0x3fb8aa3b, v131
	ds_load_2addr_b32 v[131:132], v135 offset0:204 offset1:221
	v_exp_f32_e32 v165, v165
	s_waitcnt lgkmcnt(1)
	s_waitcnt_depctr 0xfff
	v_fmac_f32_e32 v142, v165, v129
	v_sub_f32_e32 v133, v133, v136
	v_sub_f32_e32 v129, v160, v136
	s_delay_alu instid0(VALU_DEP_2) | instskip(NEXT) | instid1(VALU_DEP_2)
	v_dual_fmac_f32 v142, v164, v130 :: v_dual_mul_f32 v167, 0x3fb8aa3b, v133
	v_mul_f32_e32 v129, 0x3fb8aa3b, v129
	ds_load_2addr_b32 v[133:134], v135 offset0:238 offset1:255
	v_cndmask_b32_e32 v130, v163, v166, vcc_lo
	s_waitcnt lgkmcnt(0)
	s_barrier
	v_exp_f32_e32 v162, v129
	v_sub_f32_e32 v135, v159, v136
	v_mul_f32_e32 v159, 0x3fb8aa3b, v161
	v_exp_f32_e32 v161, v167
	buffer_gl0_inv
	v_exp_f32_e32 v159, v159
	v_fmac_f32_e32 v142, v161, v131
	s_waitcnt_depctr 0xfff
	v_dual_mul_f32 v135, 0x3fb8aa3b, v135 :: v_dual_fmac_f32 v142, v159, v132
	s_delay_alu instid0(VALU_DEP_1) | instskip(SKIP_2) | instid1(VALU_DEP_1)
	v_exp_f32_e32 v160, v135
	s_waitcnt_depctr 0xfff
	v_dual_fmac_f32 v142, v160, v133 :: v_dual_lshlrev_b32 v133, 6, v140
	v_fmac_f32_e32 v142, v162, v134
	s_delay_alu instid0(VALU_DEP_2) | instskip(NEXT) | instid1(VALU_DEP_2)
	v_lshl_or_b32 v135, v141, 11, v133
	v_add_f32_e32 v134, 0x358637bd, v142
	s_delay_alu instid0(VALU_DEP_1) | instskip(SKIP_1) | instid1(VALU_DEP_2)
	v_div_scale_f32 v167, null, v134, v134, 1.0
	v_div_scale_f32 v163, vcc_lo, 1.0, v134, 1.0
	v_rcp_f32_e32 v168, v167
	s_waitcnt_depctr 0xfff
	v_fma_f32 v129, -v167, v168, 1.0
	s_delay_alu instid0(VALU_DEP_1) | instskip(SKIP_2) | instid1(VALU_DEP_2)
	v_fmac_f32_e32 v168, v129, v168
	v_cndmask_b32_e64 v129, v130, v165, s3
	v_cmp_eq_u32_e64 s3, 6, v141
	v_cndmask_b32_e64 v130, v129, v164, s4
	v_lshlrev_b32_e32 v129, 2, v138
	v_mul_f32_e32 v165, v163, v168
	s_delay_alu instid0(VALU_DEP_3) | instskip(NEXT) | instid1(VALU_DEP_3)
	v_cndmask_b32_e64 v161, v130, v161, s5
	v_or_b32_e32 v130, 1, v129
	s_delay_alu instid0(VALU_DEP_3)
	v_fma_f32 v131, -v167, v165, v163
	v_or_b32_e32 v132, 2, v129
	v_cmp_eq_u32_e64 s4, 1, v129
	v_cndmask_b32_e64 v141, v161, v159, s6
	v_cmp_eq_u32_e64 s9, 1, v130
	v_fmac_f32_e32 v165, v131, v168
	v_or_b32_e32 v131, 3, v129
	v_cmp_eq_u32_e64 s10, 1, v132
	v_cndmask_b32_e64 v141, v141, v160, s3
	v_cmp_eq_u32_e64 s5, 2, v129
	v_fma_f32 v159, -v167, v165, v163
	v_cmp_eq_u32_e64 s11, 1, v131
	v_cmp_eq_u32_e64 s16, 2, v131
	v_cndmask_b32_e64 v141, v141, v162, s7
	v_cmp_eq_u32_e64 s12, 2, v130
	v_div_fmas_f32 v159, v159, v168, v165
	v_cmp_eq_u32_e64 s18, 3, v131
	v_cmp_eq_u32_e32 vcc_lo, 3, v129
	v_cmp_eq_u32_e64 s13, 3, v130
	v_cmp_eq_u32_e64 s15, 2, v132
	v_div_fixup_f32 v159, v159, v134, 1.0
	v_lshl_or_b32 v134, v138, 4, v135
	v_cmp_eq_u32_e64 s22, 4, v131
	v_cmp_eq_u32_e64 s3, 4, v129
	;; [unrolled: 1-line block ×3, first 2 shown]
	v_mul_f32_e32 v141, v141, v159
	v_cmp_eq_u32_e64 s19, 4, v130
	v_cmp_eq_u32_e64 s24, 5, v131
	;; [unrolled: 1-line block ×4, first 2 shown]
	v_fma_mixlo_f16 v159, v141, v144, 0
	v_fma_mixlo_f16 v160, v141, v146, 0
	;; [unrolled: 1-line block ×8, first 2 shown]
	v_fma_mixhi_f16 v159, v141, v143, 0
	v_fma_mixhi_f16 v160, v141, v145, 0
	;; [unrolled: 1-line block ×8, first 2 shown]
	ds_store_b128 v134, v[159:162]
	ds_store_b128 v134, v[163:166] offset:1024
	s_waitcnt lgkmcnt(0)
	s_barrier
	buffer_gl0_inv
	ds_load_b128 v[143:146], v135
	ds_load_b128 v[147:150], v135 offset:16
	ds_load_b128 v[151:154], v135 offset:1024
	;; [unrolled: 1-line block ×3, first 2 shown]
	v_cmp_eq_u32_e64 s21, 4, v132
	v_cmp_eq_u32_e64 s27, 6, v131
	;; [unrolled: 1-line block ×10, first 2 shown]
	s_waitcnt lgkmcnt(3)
	v_lshrrev_b32_e32 v141, 16, v143
	s_waitcnt lgkmcnt(2)
	v_lshrrev_b32_e32 v162, 16, v147
	v_lshrrev_b32_e32 v159, 16, v144
	;; [unrolled: 1-line block ×3, first 2 shown]
	s_waitcnt lgkmcnt(1)
	v_lshrrev_b32_e32 v166, 16, v151
	v_cndmask_b32_e64 v174, v143, v141, s4
	v_cndmask_b32_e64 v176, v143, v141, s9
	;; [unrolled: 1-line block ×5, first 2 shown]
	s_waitcnt lgkmcnt(0)
	v_lshrrev_b32_e32 v170, 16, v155
	v_cndmask_b32_e64 v175, v147, v162, s4
	v_cndmask_b32_e64 v177, v147, v162, s9
	;; [unrolled: 1-line block ×19, first 2 shown]
	v_lshrrev_b32_e32 v160, 16, v145
	v_lshrrev_b32_e32 v164, 16, v149
	;; [unrolled: 1-line block ×4, first 2 shown]
	v_cndmask_b32_e64 v176, v178, v144, s15
	v_cndmask_b32_e64 v177, v179, v148, s15
	;; [unrolled: 1-line block ×8, first 2 shown]
	v_cndmask_b32_e32 v155, v166, v159, vcc_lo
	v_cndmask_b32_e32 v166, v170, v163, vcc_lo
	v_cndmask_b32_e64 v170, v174, v159, s13
	v_cndmask_b32_e64 v174, v175, v163, s13
	;; [unrolled: 1-line block ×6, first 2 shown]
	v_cndmask_b32_e32 v144, v144, v167, vcc_lo
	v_cndmask_b32_e32 v147, v147, v171, vcc_lo
	v_cndmask_b32_e64 v148, v148, v167, s13
	v_cndmask_b32_e64 v155, v155, v145, s3
	;; [unrolled: 1-line block ×7, first 2 shown]
	v_lshrrev_b32_e32 v161, 16, v146
	v_lshrrev_b32_e32 v165, 16, v150
	;; [unrolled: 1-line block ×4, first 2 shown]
	v_cndmask_b32_e64 v170, v175, v145, s21
	v_cndmask_b32_e64 v174, v176, v149, s21
	;; [unrolled: 1-line block ×22, first 2 shown]
	v_lshrrev_b32_e32 v169, 16, v154
	v_cndmask_b32_e64 v160, v163, v146, s26
	v_cndmask_b32_e64 v163, v166, v150, s26
	v_cndmask_b32_e64 v144, v144, v154, s7
	v_cndmask_b32_e64 v150, v145, v158, s7
	v_cndmask_b32_e64 v145, v147, v154, s25
	v_cndmask_b32_e64 v147, v148, v161, s8
	v_cndmask_b32_e64 v148, v149, v165, s8
	v_cndmask_b32_e64 v149, v155, v161, s30
	v_cndmask_b32_e64 v159, v159, v165, s30
	v_perm_b32 v146, v143, v141, 0x5040100
	v_cndmask_b32_e64 v141, v183, v156, s15
	v_cndmask_b32_e64 v143, v181, v156, s12
	;; [unrolled: 1-line block ×4, first 2 shown]
	v_perm_b32 v144, v159, v149, 0x5040100
	v_cndmask_b32_e64 v149, v162, v167, s17
	v_cndmask_b32_e64 v151, v151, v167, s18
	;; [unrolled: 1-line block ×15, first 2 shown]
	v_lshrrev_b32_e32 v173, 16, v158
	v_cndmask_b32_e64 v149, v149, v154, s26
	v_cndmask_b32_e64 v151, v151, v154, s27
	;; [unrolled: 1-line block ×13, first 2 shown]
	v_perm_b32 v145, v160, v155, 0x5040100
	v_perm_b32 v143, v148, v147, 0x5040100
	;; [unrolled: 1-line block ×6, first 2 shown]
	s_mul_i32 s7, s33, 5
	s_mov_b32 s3, exec_lo
	ds_store_b128 v134, v[143:146]
	ds_store_b128 v134, v[147:150] offset:1024
	v_cmpx_gt_u32_e32 5, v0
	s_cbranch_execz .LBB234_14
; %bb.13:
	s_mul_i32 s4, s7, s34
	s_load_b128 s[8:11], s[0:1], 0x58
	v_add3_u32 v143, s4, s31, v140
	s_delay_alu instid0(VALU_DEP_1) | instskip(NEXT) | instid1(VALU_DEP_1)
	v_mad_u64_u32 v[140:141], null, v143, s35, s[14:15]
	v_ashrrev_i32_e32 v141, 31, v140
	s_delay_alu instid0(VALU_DEP_1) | instskip(SKIP_1) | instid1(VALU_DEP_1)
	v_lshlrev_b64 v[140:141], 2, v[140:141]
	s_waitcnt lgkmcnt(0)
	v_add_co_u32 v143, vcc_lo, s10, v140
	s_delay_alu instid0(VALU_DEP_2)
	v_add_co_ci_u32_e32 v144, vcc_lo, s11, v141, vcc_lo
	v_add_co_u32 v140, vcc_lo, s8, v140
	v_add_co_ci_u32_e32 v141, vcc_lo, s9, v141, vcc_lo
	global_store_b32 v[143:144], v136, off
	global_store_b32 v[140:141], v142, off
.LBB234_14:
	s_or_b32 exec_lo, exec_lo, s3
	s_waitcnt lgkmcnt(0)
	s_waitcnt_vscnt null, 0x0
	s_barrier
	buffer_gl0_inv
	ds_load_b128 v[148:151], v133
	ds_load_b128 v[152:155], v133 offset:16
	ds_load_b128 v[160:163], v133 offset:1040
	;; [unrolled: 1-line block ×5, first 2 shown]
	v_cmp_eq_u32_e32 vcc_lo, 1, v132
	v_mov_b32_e32 v140, 0
	ds_load_b128 v[176:179], v133 offset:3088
	ds_load_b128 v[172:175], v133 offset:3072
	;; [unrolled: 1-line block ×4, first 2 shown]
	v_cmp_eq_u32_e64 s3, 1, v129
	v_cmp_eq_u32_e64 s4, 1, v131
	;; [unrolled: 1-line block ×3, first 2 shown]
	v_mov_b32_e32 v141, v140
	v_mov_b32_e32 v142, v140
	;; [unrolled: 1-line block ×7, first 2 shown]
	v_cmp_eq_u32_e64 s6, 2, v129
	s_waitcnt lgkmcnt(8)
	s_delay_alu instid0(VALU_DEP_2)
	v_wmma_f32_16x16x16_f16 v[140:147], v[121:128], v[148:155], v[140:147]
	ds_load_b128 v[125:128], v133 offset:5136
	ds_load_b128 v[121:124], v133 offset:5120
	s_waitcnt lgkmcnt(8)
	v_wmma_f32_16x16x16_f16 v[140:147], v[113:120], v[156:163], v[140:147]
	ds_load_b128 v[117:120], v133 offset:6160
	ds_load_b128 v[113:116], v133 offset:6144
	s_waitcnt lgkmcnt(8)
	;; [unrolled: 4-line block ×11, first 2 shown]
	s_barrier
	buffer_gl0_inv
	v_wmma_f32_16x16x16_f16 v[140:147], v[1:8], v[73:80], v[140:147]
	s_delay_alu instid0(VALU_DEP_1) | instskip(NEXT) | instid1(VALU_DEP_1)
	v_wmma_f32_16x16x16_f16 v[140:147], v[9:16], v[65:72], v[140:147]
	v_wmma_f32_16x16x16_f16 v[140:147], v[33:40], v[57:64], v[140:147]
	s_delay_alu instid0(VALU_DEP_1) | instskip(NEXT) | instid1(VALU_DEP_1)
	v_wmma_f32_16x16x16_f16 v[140:147], v[41:48], v[49:56], v[140:147]
	v_wmma_f32_16x16x16_f16 v[140:147], v[17:24], v[25:32], v[140:147]
	s_delay_alu instid0(VALU_DEP_1) | instskip(NEXT) | instid1(VALU_DEP_2)
	v_cvt_f16_f32_e64 v1, v140
	v_cvt_f16_f32_e64 v2, v141
	s_delay_alu instid0(VALU_DEP_3) | instskip(NEXT) | instid1(VALU_DEP_4)
	v_cvt_f16_f32_e64 v3, v142
	v_cvt_f16_f32_e64 v4, v143
	;; [unrolled: 1-line block ×6, first 2 shown]
	v_pack_b32_f16 v1, v1, v2
	v_pack_b32_f16 v2, v3, v4
	;; [unrolled: 1-line block ×3, first 2 shown]
	s_delay_alu instid0(VALU_DEP_4)
	v_pack_b32_f16 v4, v7, v8
	ds_store_b128 v134, v[1:4]
	s_waitcnt lgkmcnt(0)
	s_barrier
	buffer_gl0_inv
	ds_load_b128 v[1:4], v135
	ds_load_b128 v[5:8], v135 offset:16
	s_waitcnt lgkmcnt(1)
	v_lshrrev_b32_e32 v9, 16, v1
	s_waitcnt lgkmcnt(0)
	v_lshrrev_b32_e32 v13, 16, v5
	v_lshrrev_b32_e32 v10, 16, v2
	;; [unrolled: 1-line block ×4, first 2 shown]
	v_cndmask_b32_e64 v17, v1, v9, s3
	v_cndmask_b32_e64 v18, v5, v13, s3
	;; [unrolled: 1-line block ×3, first 2 shown]
	v_cmp_eq_u32_e64 s3, 2, v130
	v_cndmask_b32_e64 v20, v5, v13, s5
	v_cndmask_b32_e32 v21, v1, v9, vcc_lo
	v_cndmask_b32_e32 v22, v5, v13, vcc_lo
	v_cndmask_b32_e64 v1, v1, v9, s4
	v_cndmask_b32_e64 v5, v5, v13, s4
	v_cmp_eq_u32_e32 vcc_lo, 2, v132
	v_cmp_eq_u32_e64 s4, 2, v131
	v_cndmask_b32_e64 v9, v17, v2, s6
	v_cndmask_b32_e64 v13, v18, v6, s6
	;; [unrolled: 1-line block ×4, first 2 shown]
	v_cndmask_b32_e32 v19, v21, v2, vcc_lo
	v_cmp_eq_u32_e64 s3, 3, v132
	v_cndmask_b32_e32 v20, v22, v6, vcc_lo
	v_cndmask_b32_e64 v1, v1, v2, s4
	v_cmp_eq_u32_e32 vcc_lo, 3, v131
	v_cmp_eq_u32_e64 s5, 3, v129
	v_cndmask_b32_e64 v2, v5, v6, s4
	v_cmp_eq_u32_e64 s4, 3, v130
	v_cmp_eq_u32_e64 s6, 4, v129
	v_cndmask_b32_e32 v1, v1, v10, vcc_lo
	v_cndmask_b32_e64 v5, v9, v10, s5
	v_cndmask_b32_e64 v6, v13, v14, s5
	;; [unrolled: 1-line block ×3, first 2 shown]
	v_cmp_eq_u32_e64 s5, 4, v130
	v_cndmask_b32_e64 v13, v18, v14, s4
	v_cndmask_b32_e64 v17, v19, v10, s3
	;; [unrolled: 1-line block ×3, first 2 shown]
	v_cndmask_b32_e32 v2, v2, v14, vcc_lo
	v_cmp_eq_u32_e32 vcc_lo, 4, v132
	v_cmp_eq_u32_e64 s4, 4, v131
	v_lshrrev_b32_e32 v15, 16, v7
	v_cndmask_b32_e64 v5, v5, v3, s6
	v_cndmask_b32_e64 v6, v6, v7, s6
	v_cndmask_b32_e32 v14, v18, v7, vcc_lo
	v_cndmask_b32_e64 v9, v9, v3, s5
	v_cndmask_b32_e64 v10, v13, v7, s5
	v_cndmask_b32_e32 v13, v17, v3, vcc_lo
	v_cmp_eq_u32_e64 s3, 5, v132
	v_cndmask_b32_e64 v1, v1, v3, s4
	v_cmp_eq_u32_e32 vcc_lo, 5, v131
	v_cmp_eq_u32_e64 s5, 5, v129
	v_cndmask_b32_e64 v2, v2, v7, s4
	v_cmp_eq_u32_e64 s4, 5, v130
	v_cmp_eq_u32_e64 s6, 6, v129
	v_lshrrev_b32_e32 v12, 16, v4
	v_cndmask_b32_e64 v3, v5, v11, s5
	v_cndmask_b32_e64 v5, v6, v15, s5
	;; [unrolled: 1-line block ×3, first 2 shown]
	v_cmp_eq_u32_e64 s5, 6, v130
	v_cndmask_b32_e64 v7, v10, v15, s4
	v_cndmask_b32_e64 v9, v13, v11, s3
	;; [unrolled: 1-line block ×3, first 2 shown]
	v_cndmask_b32_e32 v1, v1, v11, vcc_lo
	v_cndmask_b32_e32 v2, v2, v15, vcc_lo
	v_cmp_eq_u32_e32 vcc_lo, 6, v132
	v_cmp_eq_u32_e64 s3, 6, v131
	v_lshrrev_b32_e32 v16, 16, v8
	v_cndmask_b32_e64 v3, v3, v4, s6
	v_cndmask_b32_e64 v5, v5, v8, s6
	v_cndmask_b32_e32 v9, v9, v4, vcc_lo
	v_cndmask_b32_e64 v6, v6, v4, s5
	v_cndmask_b32_e64 v7, v7, v8, s5
	v_cmp_eq_u32_e64 s4, 7, v132
	v_cndmask_b32_e32 v10, v10, v8, vcc_lo
	v_cndmask_b32_e64 v1, v1, v4, s3
	v_cmp_eq_u32_e32 vcc_lo, 7, v131
	v_cndmask_b32_e64 v2, v2, v8, s3
	v_cmp_eq_u32_e64 s3, 7, v129
	v_cmp_eq_u32_e64 s5, 7, v130
	v_cndmask_b32_e32 v1, v1, v12, vcc_lo
	s_delay_alu instid0(VALU_DEP_4) | instskip(NEXT) | instid1(VALU_DEP_4)
	v_cndmask_b32_e32 v2, v2, v16, vcc_lo
	v_cndmask_b32_e64 v8, v3, v12, s3
	s_delay_alu instid0(VALU_DEP_4)
	v_cndmask_b32_e64 v6, v6, v12, s5
	v_cndmask_b32_e64 v3, v9, v12, s4
	;; [unrolled: 1-line block ×5, first 2 shown]
	v_perm_b32 v4, v2, v1, 0x5040100
	s_mov_b32 s3, exec_lo
	v_perm_b32 v3, v9, v3, 0x5040100
	v_perm_b32 v2, v7, v6, 0x5040100
	v_perm_b32 v1, v5, v8, 0x5040100
	ds_store_b128 v134, v[1:4]
	s_waitcnt lgkmcnt(0)
	s_barrier
	buffer_gl0_inv
	v_cmpx_gt_u32_e32 32, v0
	s_cbranch_execz .LBB234_2
; %bb.15:
	s_load_b64 s[4:5], s[0:1], 0x68
	v_lshlrev_b32_e32 v0, 10, v0
	v_add_nc_u32_e32 v2, s31, v138
	v_lshlrev_b32_e32 v3, 4, v139
	s_lshl_b32 s0, s35, 7
	s_delay_alu instid0(SALU_CYCLE_1) | instskip(NEXT) | instid1(VALU_DEP_2)
	s_mul_i32 s1, s0, s34
	v_mul_lo_u32 v1, v2, s0
	s_delay_alu instid0(VALU_DEP_2) | instskip(SKIP_2) | instid1(SALU_CYCLE_1)
	v_and_or_b32 v0, 0x3800, v0, v3
	v_add_nc_u32_e32 v2, 2, v2
	s_mul_i32 s6, s1, s7
	s_ashr_i32 s7, s6, 31
	s_delay_alu instid0(VALU_DEP_2)
	v_lshl_or_b32 v7, v138, 6, v0
	s_lshl_b64 s[6:7], s[6:7], 1
	v_mul_lo_u32 v11, v2, s0
	v_ashrrev_i32_e32 v2, 31, v1
	ds_load_b128 v[3:6], v7
	ds_load_b128 v[7:10], v7 offset:128
	s_waitcnt lgkmcnt(0)
	s_add_u32 s1, s4, s6
	s_addc_u32 s3, s5, s7
	s_lshl_b32 s4, s14, 7
	v_ashrrev_i32_e32 v12, 31, v11
	s_ashr_i32 s5, s4, 31
	v_lshlrev_b64 v[13:14], 1, v[1:2]
	s_lshl_b64 s[4:5], s[4:5], 1
	s_delay_alu instid0(SALU_CYCLE_1) | instskip(SKIP_2) | instid1(VALU_DEP_1)
	s_add_u32 s1, s1, s4
	s_addc_u32 s3, s3, s5
	v_add_co_u32 v1, s1, s1, v137
	v_add_co_ci_u32_e64 v2, null, s3, 0, s1
	v_lshlrev_b64 v[11:12], 1, v[11:12]
	s_delay_alu instid0(VALU_DEP_3) | instskip(NEXT) | instid1(VALU_DEP_3)
	v_add_co_u32 v13, vcc_lo, v1, v13
	v_add_co_ci_u32_e32 v14, vcc_lo, v2, v14, vcc_lo
	s_delay_alu instid0(VALU_DEP_3) | instskip(NEXT) | instid1(VALU_DEP_4)
	v_add_co_u32 v11, vcc_lo, v1, v11
	v_add_co_ci_u32_e32 v12, vcc_lo, v2, v12, vcc_lo
	s_clause 0x1
	global_store_b128 v[13:14], v[3:6], off
	global_store_b128 v[11:12], v[7:10], off
	s_and_b32 exec_lo, exec_lo, s2
	s_cbranch_execz .LBB234_2
; %bb.16:
	ds_load_b128 v[3:6], v0 offset:256
	s_add_i32 s1, s31, 4
	s_delay_alu instid0(SALU_CYCLE_1) | instskip(NEXT) | instid1(SALU_CYCLE_1)
	s_mul_i32 s0, s1, s0
	s_ashr_i32 s1, s0, 31
	s_delay_alu instid0(SALU_CYCLE_1) | instskip(NEXT) | instid1(SALU_CYCLE_1)
	s_lshl_b64 s[0:1], s[0:1], 1
	v_add_co_u32 v0, vcc_lo, v1, s0
	v_add_co_ci_u32_e32 v1, vcc_lo, s1, v2, vcc_lo
	s_waitcnt lgkmcnt(0)
	global_store_b128 v[0:1], v[3:6], off
	s_nop 0
	s_sendmsg sendmsg(MSG_DEALLOC_VGPRS)
	s_endpgm
	.section	.rodata,"a",@progbits
	.p2align	6, 0x0
	.amdhsa_kernel _Z39paged_attention_ll4mi_QKV_mfma16_kernelIDF16_DF16_LN4vllm18Fp8KVCacheDataTypeE0EhLi16ELi128ELi256ELb0ELi5EL8MFMAType0EEvPKT_PKT0_S8_ifPKiSA_SA_iPKfiiiPfSD_PS3_PT2_iSC_SC_
		.amdhsa_group_segment_fixed_size 17472
		.amdhsa_private_segment_fixed_size 0
		.amdhsa_kernarg_size 400
		.amdhsa_user_sgpr_count 13
		.amdhsa_user_sgpr_dispatch_ptr 0
		.amdhsa_user_sgpr_queue_ptr 0
		.amdhsa_user_sgpr_kernarg_segment_ptr 1
		.amdhsa_user_sgpr_dispatch_id 0
		.amdhsa_user_sgpr_private_segment_size 0
		.amdhsa_wavefront_size32 1
		.amdhsa_uses_dynamic_stack 0
		.amdhsa_enable_private_segment 0
		.amdhsa_system_sgpr_workgroup_id_x 1
		.amdhsa_system_sgpr_workgroup_id_y 1
		.amdhsa_system_sgpr_workgroup_id_z 1
		.amdhsa_system_sgpr_workgroup_info 0
		.amdhsa_system_vgpr_workitem_id 0
		.amdhsa_next_free_vgpr 218
		.amdhsa_next_free_sgpr 52
		.amdhsa_reserve_vcc 1
		.amdhsa_float_round_mode_32 0
		.amdhsa_float_round_mode_16_64 0
		.amdhsa_float_denorm_mode_32 3
		.amdhsa_float_denorm_mode_16_64 3
		.amdhsa_dx10_clamp 1
		.amdhsa_ieee_mode 1
		.amdhsa_fp16_overflow 0
		.amdhsa_workgroup_processor_mode 1
		.amdhsa_memory_ordered 1
		.amdhsa_forward_progress 0
		.amdhsa_shared_vgpr_count 0
		.amdhsa_exception_fp_ieee_invalid_op 0
		.amdhsa_exception_fp_denorm_src 0
		.amdhsa_exception_fp_ieee_div_zero 0
		.amdhsa_exception_fp_ieee_overflow 0
		.amdhsa_exception_fp_ieee_underflow 0
		.amdhsa_exception_fp_ieee_inexact 0
		.amdhsa_exception_int_div_zero 0
	.end_amdhsa_kernel
	.section	.text._Z39paged_attention_ll4mi_QKV_mfma16_kernelIDF16_DF16_LN4vllm18Fp8KVCacheDataTypeE0EhLi16ELi128ELi256ELb0ELi5EL8MFMAType0EEvPKT_PKT0_S8_ifPKiSA_SA_iPKfiiiPfSD_PS3_PT2_iSC_SC_,"axG",@progbits,_Z39paged_attention_ll4mi_QKV_mfma16_kernelIDF16_DF16_LN4vllm18Fp8KVCacheDataTypeE0EhLi16ELi128ELi256ELb0ELi5EL8MFMAType0EEvPKT_PKT0_S8_ifPKiSA_SA_iPKfiiiPfSD_PS3_PT2_iSC_SC_,comdat
.Lfunc_end234:
	.size	_Z39paged_attention_ll4mi_QKV_mfma16_kernelIDF16_DF16_LN4vllm18Fp8KVCacheDataTypeE0EhLi16ELi128ELi256ELb0ELi5EL8MFMAType0EEvPKT_PKT0_S8_ifPKiSA_SA_iPKfiiiPfSD_PS3_PT2_iSC_SC_, .Lfunc_end234-_Z39paged_attention_ll4mi_QKV_mfma16_kernelIDF16_DF16_LN4vllm18Fp8KVCacheDataTypeE0EhLi16ELi128ELi256ELb0ELi5EL8MFMAType0EEvPKT_PKT0_S8_ifPKiSA_SA_iPKfiiiPfSD_PS3_PT2_iSC_SC_
                                        ; -- End function
	.section	.AMDGPU.csdata,"",@progbits
; Kernel info:
; codeLenInByte = 8060
; NumSgprs: 54
; NumVgprs: 218
; ScratchSize: 0
; MemoryBound: 0
; FloatMode: 240
; IeeeMode: 1
; LDSByteSize: 17472 bytes/workgroup (compile time only)
; SGPRBlocks: 6
; VGPRBlocks: 27
; NumSGPRsForWavesPerEU: 54
; NumVGPRsForWavesPerEU: 218
; Occupancy: 6
; WaveLimiterHint : 1
; COMPUTE_PGM_RSRC2:SCRATCH_EN: 0
; COMPUTE_PGM_RSRC2:USER_SGPR: 13
; COMPUTE_PGM_RSRC2:TRAP_HANDLER: 0
; COMPUTE_PGM_RSRC2:TGID_X_EN: 1
; COMPUTE_PGM_RSRC2:TGID_Y_EN: 1
; COMPUTE_PGM_RSRC2:TGID_Z_EN: 1
; COMPUTE_PGM_RSRC2:TIDIG_COMP_CNT: 0
	.section	.text._Z39paged_attention_ll4mi_QKV_mfma16_kernelIDF16_DF16_LN4vllm18Fp8KVCacheDataTypeE0EhLi16ELi128ELi256ELb0ELi6EL8MFMAType0EEvPKT_PKT0_S8_ifPKiSA_SA_iPKfiiiPfSD_PS3_PT2_iSC_SC_,"axG",@progbits,_Z39paged_attention_ll4mi_QKV_mfma16_kernelIDF16_DF16_LN4vllm18Fp8KVCacheDataTypeE0EhLi16ELi128ELi256ELb0ELi6EL8MFMAType0EEvPKT_PKT0_S8_ifPKiSA_SA_iPKfiiiPfSD_PS3_PT2_iSC_SC_,comdat
	.protected	_Z39paged_attention_ll4mi_QKV_mfma16_kernelIDF16_DF16_LN4vllm18Fp8KVCacheDataTypeE0EhLi16ELi128ELi256ELb0ELi6EL8MFMAType0EEvPKT_PKT0_S8_ifPKiSA_SA_iPKfiiiPfSD_PS3_PT2_iSC_SC_ ; -- Begin function _Z39paged_attention_ll4mi_QKV_mfma16_kernelIDF16_DF16_LN4vllm18Fp8KVCacheDataTypeE0EhLi16ELi128ELi256ELb0ELi6EL8MFMAType0EEvPKT_PKT0_S8_ifPKiSA_SA_iPKfiiiPfSD_PS3_PT2_iSC_SC_
	.globl	_Z39paged_attention_ll4mi_QKV_mfma16_kernelIDF16_DF16_LN4vllm18Fp8KVCacheDataTypeE0EhLi16ELi128ELi256ELb0ELi6EL8MFMAType0EEvPKT_PKT0_S8_ifPKiSA_SA_iPKfiiiPfSD_PS3_PT2_iSC_SC_
	.p2align	8
	.type	_Z39paged_attention_ll4mi_QKV_mfma16_kernelIDF16_DF16_LN4vllm18Fp8KVCacheDataTypeE0EhLi16ELi128ELi256ELb0ELi6EL8MFMAType0EEvPKT_PKT0_S8_ifPKiSA_SA_iPKfiiiPfSD_PS3_PT2_iSC_SC_,@function
_Z39paged_attention_ll4mi_QKV_mfma16_kernelIDF16_DF16_LN4vllm18Fp8KVCacheDataTypeE0EhLi16ELi128ELi256ELb0ELi6EL8MFMAType0EEvPKT_PKT0_S8_ifPKiSA_SA_iPKfiiiPfSD_PS3_PT2_iSC_SC_: ; @_Z39paged_attention_ll4mi_QKV_mfma16_kernelIDF16_DF16_LN4vllm18Fp8KVCacheDataTypeE0EhLi16ELi128ELi256ELb0ELi6EL8MFMAType0EEvPKT_PKT0_S8_ifPKiSA_SA_iPKfiiiPfSD_PS3_PT2_iSC_SC_
; %bb.0:
	s_load_b64 s[4:5], s[0:1], 0x30
	s_mov_b32 s30, s13
	s_waitcnt lgkmcnt(0)
	s_cmp_lg_u64 s[4:5], 0
	s_cselect_b32 s8, -1, 0
	s_ashr_i32 s31, s13, 31
	s_cmp_eq_u64 s[4:5], 0
	s_cbranch_scc1 .LBB235_3
; %bb.1:
	s_lshl_b64 s[2:3], s[30:31], 2
	s_delay_alu instid0(SALU_CYCLE_1) | instskip(SKIP_4) | instid1(SALU_CYCLE_1)
	s_add_u32 s2, s4, s2
	s_addc_u32 s3, s5, s3
	s_load_b64 s[2:3], s[2:3], 0x0
	s_waitcnt lgkmcnt(0)
	s_sub_i32 s2, s3, s2
	s_cmp_eq_u32 s2, 1
	s_cselect_b32 s2, -1, 0
	s_delay_alu instid0(SALU_CYCLE_1)
	s_and_not1_b32 vcc_lo, exec_lo, s2
	s_cbranch_vccz .LBB235_4
.LBB235_2:
	s_endpgm
.LBB235_3:
.LBB235_4:
	s_load_b64 s[2:3], s[0:1], 0x28
	s_lshl_b64 s[6:7], s[30:31], 2
	s_waitcnt lgkmcnt(0)
	s_add_u32 s2, s2, s6
	s_addc_u32 s3, s3, s7
	s_lshl_b32 s29, s14, 8
	s_load_b32 s28, s[2:3], 0x0
	s_waitcnt lgkmcnt(0)
	s_cmp_ge_i32 s29, s28
	s_cbranch_scc1 .LBB235_2
; %bb.5:
	s_clause 0x1
	s_load_b128 s[20:23], s[0:1], 0x8
	s_load_b64 s[2:3], s[0:1], 0x20
	s_and_not1_b32 vcc_lo, exec_lo, s8
	s_cbranch_vccnz .LBB235_7
; %bb.6:
	s_add_u32 s4, s4, s6
	s_addc_u32 s5, s5, s7
	s_load_b32 s5, s[4:5], 0x0
	s_branch .LBB235_8
.LBB235_7:
	s_mov_b32 s5, s30
.LBB235_8:
	s_load_b128 s[16:19], s[0:1], 0x48
	v_and_b32_e32 v140, 15, v0
	v_lshrrev_b32_e32 v141, 5, v0
	v_and_b32_e32 v142, 31, v0
	v_and_b32_e32 v139, 1, v0
	v_bfe_u32 v138, v0, 4, 1
	v_lshlrev_b32_e32 v1, 3, v140
	s_mul_i32 s31, s15, 6
	s_mov_b32 s4, exec_lo
	s_delay_alu instid0(VALU_DEP_1)
	v_lshlrev_b32_e32 v137, 1, v1
	v_cmpx_gt_u32_e32 0x60, v0
	s_cbranch_execz .LBB235_10
; %bb.9:
	s_load_b64 s[6:7], s[0:1], 0x0
	v_lshl_or_b32 v5, v141, 1, v138
	s_waitcnt lgkmcnt(0)
	s_mul_hi_i32 s9, s5, s16
	s_mul_i32 s8, s5, s16
	v_lshlrev_b32_e32 v6, 10, v140
	s_lshl_b64 s[8:9], s[8:9], 1
	v_add_lshl_u32 v1, v5, s31, 7
	v_lshlrev_b32_e32 v5, 6, v5
	v_lshlrev_b32_e32 v7, 10, v139
	v_and_b32_e32 v6, 0x3800, v6
	s_delay_alu instid0(VALU_DEP_4) | instskip(NEXT) | instid1(VALU_DEP_2)
	v_ashrrev_i32_e32 v2, 31, v1
	v_or3_b32 v5, v6, v7, v5
	s_delay_alu instid0(VALU_DEP_2) | instskip(SKIP_2) | instid1(VALU_DEP_1)
	v_lshlrev_b64 v[1:2], 1, v[1:2]
	s_add_u32 s5, s6, s8
	s_addc_u32 s6, s7, s9
	v_add_co_u32 v1, vcc_lo, s5, v1
	s_delay_alu instid0(VALU_DEP_2) | instskip(NEXT) | instid1(VALU_DEP_2)
	v_add_co_ci_u32_e32 v2, vcc_lo, s6, v2, vcc_lo
	v_add_co_u32 v1, vcc_lo, v1, v137
	s_delay_alu instid0(VALU_DEP_2)
	v_add_co_ci_u32_e32 v2, vcc_lo, 0, v2, vcc_lo
	global_load_b128 v[1:4], v[1:2], off
	s_waitcnt vmcnt(0)
	ds_store_b128 v5, v[1:4]
.LBB235_10:
	s_or_b32 exec_lo, exec_lo, s4
	v_and_b32_e32 v1, 0xef, v0
	s_waitcnt lgkmcnt(0)
	s_add_i32 s5, s28, 15
	s_clause 0x1
	s_load_b32 s4, s[0:1], 0x38
	s_load_b32 s33, s[0:1], 0x98
	s_ashr_i32 s6, s5, 31
	v_add_nc_u32_e32 v1, s29, v1
	s_lshr_b32 s6, s6, 28
	s_load_b32 s34, s[0:1], 0x1c
	s_add_i32 s5, s5, s6
	s_waitcnt lgkmcnt(0)
	v_ashrrev_i32_e32 v2, 31, v1
	v_cmp_gt_i32_e32 vcc_lo, s28, v1
	s_ashr_i32 s16, s5, 4
	s_barrier
	s_add_i32 s16, s16, -1
	v_lshrrev_b32_e32 v3, 28, v2
	v_or_b32_e32 v2, 16, v1
	buffer_gl0_inv
	v_mul_lo_u16 v105, v140, 43
	v_lshlrev_b32_e32 v106, 5, v140
	v_add_nc_u32_e32 v4, v1, v3
	v_add_nc_u32_e32 v3, v2, v3
	s_mul_i32 s4, s30, s4
	v_lshrrev_b16 v105, 8, v105
	s_ashr_i32 s5, s4, 31
	v_ashrrev_i32_e32 v4, 4, v4
	v_ashrrev_i32_e32 v3, 4, v3
	s_lshl_b64 s[4:5], s[4:5], 2
	v_mul_lo_u16 v105, v105, 6
	s_add_u32 s35, s2, s4
	v_cndmask_b32_e32 v1, s16, v4, vcc_lo
	v_cmp_gt_i32_e32 vcc_lo, s28, v2
	s_addc_u32 s36, s3, s5
	s_mul_i32 s2, s15, s18
	v_sub_nc_u16 v105, v140, v105
	v_ashrrev_i32_e32 v2, 31, v1
	v_cndmask_b32_e32 v3, s16, v3, vcc_lo
	s_ashr_i32 s3, s2, 31
	v_lshl_or_b32 v125, v141, 9, v106
	s_lshl_b64 s[2:3], s[2:3], 1
	v_lshlrev_b64 v[1:2], 2, v[1:2]
	v_ashrrev_i32_e32 v4, 31, v3
	s_add_u32 s24, s20, s2
	s_addc_u32 s25, s21, s3
	s_lshl_b32 s4, s14, 4
	v_and_b32_e32 v105, 0xff, v105
	v_lshlrev_b64 v[3:4], 2, v[3:4]
	v_add_co_u32 v1, vcc_lo, s35, v1
	v_add_co_ci_u32_e32 v2, vcc_lo, s36, v2, vcc_lo
	s_ashr_i32 s5, s4, 31
	s_delay_alu instid0(VALU_DEP_3) | instskip(NEXT) | instid1(VALU_DEP_4)
	v_add_co_u32 v3, vcc_lo, s35, v3
	v_add_co_ci_u32_e32 v4, vcc_lo, s36, v4, vcc_lo
	s_lshl_b64 s[4:5], s[4:5], 2
	s_clause 0x1
	global_load_b32 v5, v[1:2], off
	global_load_b32 v6, v[3:4], off
	s_add_u32 s4, s35, s4
	s_addc_u32 s5, s36, s5
	s_or_b32 s6, s29, 16
	v_lshlrev_b32_e32 v3, 4, v0
	s_ashr_i32 s7, s6, 4
	s_cmp_lt_i32 s6, s28
	v_lshlrev_b32_e32 v215, 6, v105
	s_cselect_b32 s6, s7, s16
	s_delay_alu instid0(SALU_CYCLE_1) | instskip(NEXT) | instid1(SALU_CYCLE_1)
	s_ashr_i32 s7, s6, 31
	s_lshl_b64 s[6:7], s[6:7], 2
	s_delay_alu instid0(SALU_CYCLE_1) | instskip(SKIP_2) | instid1(SALU_CYCLE_1)
	s_add_u32 s6, s35, s6
	s_addc_u32 s7, s36, s7
	s_or_b32 s8, s29, 32
	s_ashr_i32 s9, s8, 4
	s_cmp_lt_i32 s8, s28
	s_cselect_b32 s8, s9, s16
	s_delay_alu instid0(SALU_CYCLE_1) | instskip(NEXT) | instid1(SALU_CYCLE_1)
	s_ashr_i32 s9, s8, 31
	s_lshl_b64 s[8:9], s[8:9], 2
	s_delay_alu instid0(SALU_CYCLE_1) | instskip(SKIP_2) | instid1(SALU_CYCLE_1)
	s_add_u32 s8, s35, s8
	s_addc_u32 s9, s36, s9
	s_or_b32 s10, s29, 48
	s_ashr_i32 s11, s10, 4
	s_cmp_lt_i32 s10, s28
	;; [unrolled: 10-line block ×4, first 2 shown]
	s_cselect_b32 s12, s13, s16
	s_delay_alu instid0(SALU_CYCLE_1) | instskip(NEXT) | instid1(SALU_CYCLE_1)
	s_ashr_i32 s13, s12, 31
	s_lshl_b64 s[12:13], s[12:13], 2
	s_delay_alu instid0(SALU_CYCLE_1)
	s_add_u32 s20, s35, s12
	s_addc_u32 s21, s36, s13
	s_clause 0x5
	s_load_b32 s39, s[4:5], 0x0
	s_load_b32 s38, s[6:7], 0x0
	;; [unrolled: 1-line block ×6, first 2 shown]
	s_waitcnt vmcnt(1)
	v_mad_i64_i32 v[1:2], null, v5, s17, 0
	v_and_b32_e32 v5, 0xf0, v3
	s_waitcnt vmcnt(0)
	v_mad_i64_i32 v[3:4], null, v6, s17, 0
	s_delay_alu instid0(VALU_DEP_2) | instskip(NEXT) | instid1(VALU_DEP_4)
	v_add_co_u32 v5, s4, s24, v5
	v_lshlrev_b64 v[1:2], 1, v[1:2]
	v_add_co_ci_u32_e64 v6, null, s25, 0, s4
	s_delay_alu instid0(VALU_DEP_4) | instskip(SKIP_1) | instid1(VALU_DEP_3)
	v_lshlrev_b64 v[3:4], 1, v[3:4]
	s_or_b32 s4, s29, 0x60
	v_add_co_u32 v121, vcc_lo, v5, v1
	s_delay_alu instid0(VALU_DEP_3) | instskip(NEXT) | instid1(VALU_DEP_3)
	v_add_co_ci_u32_e32 v122, vcc_lo, v6, v2, vcc_lo
	v_add_co_u32 v123, vcc_lo, v5, v3
	s_delay_alu instid0(VALU_DEP_4)
	v_add_co_ci_u32_e32 v124, vcc_lo, v6, v4, vcc_lo
	s_clause 0x19
	global_load_b128 v[89:92], v[121:122], off
	global_load_b128 v[93:96], v[121:122], off offset:256
	global_load_b128 v[97:100], v[123:124], off
	global_load_b128 v[101:104], v[123:124], off offset:256
	global_load_b128 v[81:84], v[121:122], off offset:512
	;; [unrolled: 1-line block ×23, first 2 shown]
	s_ashr_i32 s5, s4, 4
	s_cmp_lt_i32 s4, s28
	ds_load_b128 v[105:108], v215
	ds_load_b128 v[109:112], v215 offset:1024
	s_cselect_b32 s4, s5, s16
	ds_load_b128 v[113:116], v215 offset:2048
	ds_load_b128 v[117:120], v215 offset:3072
	s_ashr_i32 s5, s4, 31
	ds_load_b128 v[143:146], v215 offset:4096
	ds_load_b128 v[147:150], v215 offset:5120
	s_lshl_b64 s[6:7], s[4:5], 2
	ds_load_b128 v[151:154], v215 offset:6144
	ds_load_b128 v[155:158], v215 offset:7168
	s_add_u32 s18, s35, s6
	s_addc_u32 s19, s36, s7
	s_or_b32 s5, s29, 0x70
	ds_load_b128 v[159:162], v215 offset:8192
	ds_load_b128 v[163:166], v215 offset:9216
	s_ashr_i32 s6, s5, 4
	s_cmp_lt_i32 s5, s28
	s_clause 0x1
	global_load_b128 v[167:170], v[123:124], off offset:3072
	global_load_b128 v[171:174], v[123:124], off offset:3328
	s_cselect_b32 s8, s6, s16
	s_mov_b32 s4, 0
	s_ashr_i32 s9, s8, 31
	s_mov_b32 s5, s4
	s_lshl_b64 s[8:9], s[8:9], 2
	s_mov_b32 s6, s4
	s_add_u32 s20, s35, s8
	s_addc_u32 s21, s36, s9
	s_clause 0x1
	s_load_b32 s41, s[18:19], 0x0
	s_load_b32 s46, s[20:21], 0x0
	s_clause 0x3
	global_load_b128 v[175:178], v[121:122], off offset:3584
	global_load_b128 v[179:182], v[121:122], off offset:3840
	global_load_b128 v[183:186], v[123:124], off offset:3584
	global_load_b128 v[187:190], v[123:124], off offset:3840
	s_or_b32 s8, s29, 0x80
	s_mov_b32 s7, s4
	s_ashr_i32 s9, s8, 4
	s_cmp_lt_i32 s8, s28
	s_mov_b32 s8, s4
	s_cselect_b32 s10, s9, s16
	s_mov_b32 s9, s4
	s_ashr_i32 s11, s10, 31
	s_delay_alu instid0(SALU_CYCLE_1)
	s_lshl_b64 s[24:25], s[10:11], 2
	s_mov_b32 s10, s4
	s_add_u32 s24, s35, s24
	s_addc_u32 s25, s36, s25
	s_or_b32 s11, s29, 0x90
	s_load_b32 s47, s[24:25], 0x0
	s_ashr_i32 s26, s11, 4
	s_cmp_lt_i32 s11, s28
	s_mov_b32 s11, s4
	s_cselect_b32 s26, s26, s16
	v_mov_b32_e32 v136, s11
	s_ashr_i32 s27, s26, 31
	v_dual_mov_b32 v135, s10 :: v_dual_mov_b32 v134, s9
	v_dual_mov_b32 v133, s8 :: v_dual_mov_b32 v132, s7
	v_dual_mov_b32 v131, s6 :: v_dual_mov_b32 v130, s5
	v_mov_b32_e32 v129, s4
	s_lshl_b64 s[4:5], s[26:27], 2
	s_waitcnt lgkmcnt(0)
	s_mul_hi_i32 s7, s38, s17
	s_add_u32 s26, s35, s4
	s_addc_u32 s27, s36, s5
	s_or_b32 s4, s29, 0xa0
	s_load_b32 s40, s[26:27], 0x0
	s_ashr_i32 s5, s4, 4
	s_cmp_lt_i32 s4, s28
	s_cselect_b32 s4, s5, s16
	s_delay_alu instid0(SALU_CYCLE_1) | instskip(NEXT) | instid1(SALU_CYCLE_1)
	s_ashr_i32 s5, s4, 31
	s_lshl_b64 s[4:5], s[4:5], 2
	s_delay_alu instid0(SALU_CYCLE_1)
	s_add_u32 s42, s35, s4
	s_addc_u32 s43, s36, s5
	s_or_b32 s4, s29, 0xb0
	s_mul_hi_i32 s5, s39, s17
	s_ashr_i32 s6, s4, 4
	s_cmp_lt_i32 s4, s28
	s_mul_i32 s4, s39, s17
	s_cselect_b32 s8, s6, s16
	s_mul_i32 s6, s38, s17
	s_ashr_i32 s9, s8, 31
	s_delay_alu instid0(SALU_CYCLE_1)
	s_lshl_b64 s[10:11], s[8:9], 2
	s_mul_hi_i32 s9, s37, s17
	s_add_u32 s44, s35, s10
	s_addc_u32 s45, s36, s11
	s_or_b32 s10, s29, 0xc0
	s_mul_i32 s8, s37, s17
	s_ashr_i32 s37, s10, 4
	s_cmp_lt_i32 s10, s28
	s_mul_hi_i32 s11, s13, s17
	s_cselect_b32 s38, s37, s16
	s_mul_i32 s10, s13, s17
	s_ashr_i32 s39, s38, 31
	s_mul_hi_i32 s13, s12, s17
	s_lshl_b64 s[38:39], s[38:39], 2
	s_mul_i32 s12, s12, s17
	s_add_u32 s20, s35, s38
	s_addc_u32 s21, s36, s39
	s_load_b32 s39, s[42:43], 0x0
	s_or_b32 s18, s29, 0xd0
	s_mul_hi_i32 s27, s47, s17
	s_ashr_i32 s19, s18, 4
	s_cmp_lt_i32 s18, s28
	s_mul_i32 s18, s15, s17
	s_cselect_b32 s24, s19, s16
	s_mul_hi_i32 s19, s15, s17
	s_ashr_i32 s25, s24, 31
	s_mul_i32 s26, s47, s17
	s_lshl_b64 s[24:25], s[24:25], 2
	s_delay_alu instid0(SALU_CYCLE_1)
	s_add_u32 s24, s35, s24
	s_addc_u32 s25, s36, s25
	s_or_b32 s42, s29, 0xe0
	s_clause 0x2
	s_load_b32 s38, s[44:45], 0x0
	s_load_b32 s37, s[20:21], 0x0
	;; [unrolled: 1-line block ×3, first 2 shown]
	s_ashr_i32 s43, s42, 4
	s_cmp_lt_i32 s42, s28
	s_mul_hi_i32 s25, s46, s17
	s_cselect_b32 s42, s43, s16
	s_mul_i32 s24, s46, s17
	s_ashr_i32 s43, s42, 31
	s_mul_hi_i32 s21, s41, s17
	s_lshl_b64 s[42:43], s[42:43], 2
	s_mul_i32 s20, s41, s17
	s_add_u32 s42, s35, s42
	s_addc_u32 s43, s36, s43
	s_or_b32 s46, s29, 0xf0
	s_waitcnt lgkmcnt(0)
	s_mul_hi_i32 s41, s40, s17
	s_ashr_i32 s47, s46, 4
	s_cmp_lt_i32 s46, s28
	s_mul_i32 s40, s40, s17
	s_cselect_b32 s46, s47, s16
	s_mul_hi_i32 s45, s39, s17
	s_ashr_i32 s47, s46, 31
	s_mul_hi_i32 s51, s15, s17
	s_lshl_b64 s[46:47], s[46:47], 2
	s_mul_i32 s50, s15, s17
	s_add_u32 s46, s35, s46
	s_addc_u32 s47, s36, s47
	s_add_u32 s15, s22, s2
	s_addc_u32 s16, s23, s3
	v_add_co_u32 v216, s15, s15, v125
	s_delay_alu instid0(VALU_DEP_1) | instskip(SKIP_2) | instid1(VALU_DEP_2)
	v_add_co_ci_u32_e64 v217, null, s16, 0, s15
	s_lshl_b64 s[2:3], s[4:5], 1
	s_lshl_b64 s[4:5], s[6:7], 1
	v_add_co_u32 v125, vcc_lo, v216, s2
	s_delay_alu instid0(VALU_DEP_2)
	v_add_co_ci_u32_e32 v126, vcc_lo, s3, v217, vcc_lo
	v_add_co_u32 v199, vcc_lo, v216, s4
	s_lshl_b64 s[6:7], s[8:9], 1
	v_add_co_ci_u32_e32 v200, vcc_lo, s5, v217, vcc_lo
	s_lshl_b64 s[8:9], s[10:11], 1
	s_lshl_b64 s[10:11], s[12:13], 1
	;; [unrolled: 1-line block ×7, first 2 shown]
	s_mul_i32 s44, s39, s17
	s_mul_hi_i32 s39, s38, s17
	s_lshl_b64 s[26:27], s[44:45], 1
	s_mul_i32 s38, s38, s17
	s_mul_hi_i32 s49, s37, s17
	s_mul_i32 s48, s37, s17
	s_lshl_b64 s[36:37], s[38:39], 1
	s_lshl_b64 s[38:39], s[48:49], 1
	s_clause 0x1
	s_load_b32 s15, s[42:43], 0x0
	s_load_b32 s16, s[46:47], 0x0
	s_lshl_b64 s[40:41], s[50:51], 1
	s_waitcnt lgkmcnt(0)
	s_mul_hi_i32 s3, s15, s17
	s_mul_i32 s2, s15, s17
	s_mul_hi_i32 s5, s16, s17
	s_lshl_b64 s[2:3], s[2:3], 1
	s_mul_i32 s4, s16, s17
	s_waitcnt vmcnt(30)
	v_wmma_f32_16x16x16_f16 v[191:198], v[89:96], v[105:112], v[129:136]
	v_add_co_u32 v89, vcc_lo, v216, s6
	v_add_co_ci_u32_e32 v90, vcc_lo, s7, v217, vcc_lo
	v_add_co_u32 v91, vcc_lo, v216, s8
	v_add_co_ci_u32_e32 v92, vcc_lo, s9, v217, vcc_lo
	;; [unrolled: 2-line block ×5, first 2 shown]
	v_add_co_u32 v205, vcc_lo, v216, s20
	s_waitcnt vmcnt(28)
	v_wmma_f32_16x16x16_f16 v[129:136], v[97:104], v[105:112], v[129:136]
	v_add_co_ci_u32_e32 v206, vcc_lo, s21, v217, vcc_lo
	v_add_co_u32 v207, vcc_lo, v216, s22
	v_add_co_ci_u32_e32 v208, vcc_lo, s23, v217, vcc_lo
	v_add_co_u32 v209, vcc_lo, v216, s24
	s_waitcnt vmcnt(26)
	v_wmma_f32_16x16x16_f16 v[191:198], v[81:88], v[113:120], v[191:198]
	s_waitcnt vmcnt(24)
	v_wmma_f32_16x16x16_f16 v[129:136], v[73:80], v[113:120], v[129:136]
	v_add_co_ci_u32_e32 v210, vcc_lo, s25, v217, vcc_lo
	v_add_co_u32 v211, vcc_lo, v216, s26
	v_add_co_ci_u32_e32 v212, vcc_lo, s27, v217, vcc_lo
	v_add_co_u32 v213, vcc_lo, v216, s36
	s_waitcnt vmcnt(22)
	v_wmma_f32_16x16x16_f16 v[191:198], v[65:72], v[143:150], v[191:198]
	s_waitcnt vmcnt(20)
	v_wmma_f32_16x16x16_f16 v[129:136], v[57:64], v[143:150], v[129:136]
	v_add_co_ci_u32_e32 v214, vcc_lo, s37, v217, vcc_lo
	v_add_co_u32 v143, vcc_lo, v216, s38
	s_waitcnt vmcnt(18)
	v_wmma_f32_16x16x16_f16 v[191:198], v[49:56], v[151:158], v[191:198]
	s_waitcnt vmcnt(16)
	v_wmma_f32_16x16x16_f16 v[129:136], v[25:32], v[151:158], v[129:136]
	v_add_co_ci_u32_e32 v144, vcc_lo, s39, v217, vcc_lo
	s_clause 0x15
	global_load_b128 v[121:124], v[125:126], off
	global_load_b128 v[125:128], v[125:126], off offset:16
	global_load_b128 v[113:116], v[199:200], off
	global_load_b128 v[117:120], v[199:200], off offset:16
	global_load_b128 v[105:108], v[89:90], off
	global_load_b128 v[109:112], v[89:90], off offset:16
	global_load_b128 v[97:100], v[91:92], off
	global_load_b128 v[101:104], v[91:92], off offset:16
	global_load_b128 v[89:92], v[93:94], off
	global_load_b128 v[93:96], v[93:94], off offset:16
	global_load_b128 v[81:84], v[201:202], off
	global_load_b128 v[85:88], v[201:202], off offset:16
	global_load_b128 v[73:76], v[203:204], off
	global_load_b128 v[77:80], v[203:204], off offset:16
	global_load_b128 v[65:68], v[205:206], off
	global_load_b128 v[69:72], v[205:206], off offset:16
	global_load_b128 v[57:60], v[207:208], off
	global_load_b128 v[61:64], v[207:208], off offset:16
	global_load_b128 v[49:52], v[209:210], off
	global_load_b128 v[53:56], v[209:210], off offset:16
	global_load_b128 v[25:28], v[211:212], off
	global_load_b128 v[29:32], v[211:212], off offset:16
	s_waitcnt vmcnt(36)
	v_wmma_f32_16x16x16_f16 v[191:198], v[1:8], v[159:166], v[191:198]
	s_clause 0x1
	global_load_b128 v[1:4], v[213:214], off
	global_load_b128 v[5:8], v[213:214], off offset:16
	s_waitcnt vmcnt(36)
	v_wmma_f32_16x16x16_f16 v[129:136], v[9:16], v[159:166], v[129:136]
	s_clause 0x1
	global_load_b128 v[9:12], v[143:144], off
	global_load_b128 v[13:16], v[143:144], off offset:16
	ds_load_b128 v[143:146], v215 offset:10240
	ds_load_b128 v[147:150], v215 offset:11264
	;; [unrolled: 1-line block ×4, first 2 shown]
	v_add_co_u32 v199, vcc_lo, v216, s40
	v_add_co_ci_u32_e32 v200, vcc_lo, s41, v217, vcc_lo
	v_add_co_u32 v159, vcc_lo, v216, s2
	v_add_co_ci_u32_e32 v160, vcc_lo, s3, v217, vcc_lo
	s_lshl_b64 s[2:3], s[4:5], 1
	s_delay_alu instid0(SALU_CYCLE_1)
	v_add_co_u32 v161, vcc_lo, v216, s2
	v_add_co_ci_u32_e32 v162, vcc_lo, s3, v217, vcc_lo
	s_waitcnt vmcnt(36) lgkmcnt(2)
	v_wmma_f32_16x16x16_f16 v[191:198], v[41:48], v[143:150], v[191:198]
	s_waitcnt vmcnt(34)
	v_wmma_f32_16x16x16_f16 v[129:136], v[33:40], v[143:150], v[129:136]
	s_clause 0x3
	global_load_b128 v[33:36], v[199:200], off
	global_load_b128 v[37:40], v[199:200], off offset:16
	global_load_b128 v[41:44], v[159:160], off
	global_load_b128 v[45:48], v[159:160], off offset:16
	v_and_b32_e32 v143, 0xe0, v0
	v_mbcnt_lo_u32_b32 v159, -1, 0
	s_waitcnt vmcnt(36) lgkmcnt(0)
	v_wmma_f32_16x16x16_f16 v[191:198], v[17:24], v[151:158], v[191:198]
	s_clause 0x1
	global_load_b128 v[17:20], v[161:162], off
	global_load_b128 v[21:24], v[161:162], off offset:16
	s_waitcnt vmcnt(36)
	v_wmma_f32_16x16x16_f16 v[129:136], v[167:174], v[151:158], v[129:136]
	v_add_nc_u32_e32 v160, s29, v143
	ds_load_b128 v[143:146], v215 offset:14336
	ds_load_b128 v[147:150], v215 offset:15360
	v_xor_b32_e32 v151, 16, v159
	s_waitcnt vmcnt(0) lgkmcnt(0)
	s_barrier
	v_or_b32_e32 v152, v160, v138
	buffer_gl0_inv
	v_cmp_gt_i32_e32 vcc_lo, 32, v151
	v_or_b32_e32 v153, 2, v152
	v_or_b32_e32 v154, 4, v152
	v_or_b32_e32 v155, 6, v152
	v_or_b32_e32 v156, 8, v152
	v_or_b32_e32 v157, 10, v152
	v_cmp_gt_i32_e64 s2, s28, v153
	v_cmp_gt_i32_e64 s3, s28, v154
	;; [unrolled: 1-line block ×3, first 2 shown]
	v_or_b32_e32 v158, 12, v152
	v_cmp_gt_i32_e64 s5, s28, v156
	v_cmp_gt_i32_e64 s6, s28, v157
	v_wmma_f32_16x16x16_f16 v[191:198], v[175:182], v[143:150], v[191:198]
	v_wmma_f32_16x16x16_f16 v[129:136], v[183:190], v[143:150], v[129:136]
	v_cndmask_b32_e32 v151, v159, v151, vcc_lo
	v_cmp_gt_i32_e32 vcc_lo, s28, v152
	v_or_b32_e32 v159, 14, v152
	v_dual_mul_f32 v149, s34, v192 :: v_dual_mul_f32 v150, s34, v191
	v_dual_mul_f32 v147, s34, v194 :: v_dual_mul_f32 v148, s34, v193
	;; [unrolled: 1-line block ×3, first 2 shown]
	s_delay_alu instid0(VALU_DEP_3) | instskip(NEXT) | instid1(VALU_DEP_4)
	v_cndmask_b32_e32 v150, 0xff7fffff, v150, vcc_lo
	v_cndmask_b32_e64 v149, 0xff7fffff, v149, s2
	v_mul_f32_e32 v146, s34, v195
	v_cndmask_b32_e64 v148, 0xff7fffff, v148, s3
	v_cndmask_b32_e64 v147, 0xff7fffff, v147, s4
	v_or_b32_e32 v160, 16, v152
	v_max3_f32 v149, v150, 0xff7fffff, v149
	v_or_b32_e32 v161, 18, v152
	v_dual_mul_f32 v143, s34, v198 :: v_dual_mul_f32 v144, s34, v197
	v_cndmask_b32_e64 v146, 0xff7fffff, v146, s5
	v_cndmask_b32_e64 v145, 0xff7fffff, v145, s6
	v_max3_f32 v147, v149, v148, v147
	v_cmp_gt_i32_e64 s7, s28, v158
	v_cmp_gt_i32_e64 s8, s28, v159
	v_or_b32_e32 v162, 20, v152
	v_or_b32_e32 v163, 22, v152
	v_mul_f32_e32 v175, s34, v129
	v_cndmask_b32_e64 v144, 0xff7fffff, v144, s7
	v_cndmask_b32_e64 v143, 0xff7fffff, v143, s8
	v_max3_f32 v145, v147, v146, v145
	v_cmp_gt_i32_e64 s9, s28, v160
	v_cmp_gt_i32_e64 s10, s28, v161
	v_or_b32_e32 v164, 24, v152
	v_or_b32_e32 v165, 26, v152
	v_dual_mul_f32 v172, s34, v132 :: v_dual_mul_f32 v173, s34, v131
	v_cndmask_b32_e64 v146, 0xff7fffff, v175, s9
	v_cndmask_b32_e64 v147, 0xff7fffff, v174, s10
	v_max3_f32 v143, v145, v144, v143
	v_cmp_gt_i32_e64 s11, s28, v162
	v_cmp_gt_i32_e64 s12, s28, v163
	v_or_b32_e32 v166, 28, v152
	v_or_b32_e32 v167, 30, v152
	v_dual_mul_f32 v170, s34, v134 :: v_dual_mul_f32 v171, s34, v133
	v_cndmask_b32_e64 v144, 0xff7fffff, v173, s11
	v_cndmask_b32_e64 v145, 0xff7fffff, v172, s12
	v_max3_f32 v143, v143, v146, v147
	v_cmp_gt_i32_e64 s13, s28, v164
	v_cmp_gt_i32_e64 s15, s28, v165
	v_dual_mul_f32 v168, s34, v136 :: v_dual_mul_f32 v169, s34, v135
	s_delay_alu instid0(VALU_DEP_4) | instskip(NEXT) | instid1(VALU_DEP_4)
	v_max3_f32 v143, v143, v144, v145
	v_cndmask_b32_e64 v146, 0xff7fffff, v171, s13
	s_delay_alu instid0(VALU_DEP_4) | instskip(SKIP_3) | instid1(VALU_DEP_4)
	v_cndmask_b32_e64 v147, 0xff7fffff, v170, s15
	v_cmp_gt_i32_e64 s16, s28, v166
	v_cmp_gt_i32_e64 s17, s28, v167
	v_lshlrev_b32_e32 v160, 2, v151
	v_max3_f32 v143, v143, v146, v147
	s_delay_alu instid0(VALU_DEP_4) | instskip(NEXT) | instid1(VALU_DEP_4)
	v_cndmask_b32_e64 v144, 0xff7fffff, v169, s16
	v_cndmask_b32_e64 v145, 0xff7fffff, v168, s17
	s_delay_alu instid0(VALU_DEP_1) | instskip(SKIP_3) | instid1(VALU_DEP_1)
	v_max3_f32 v143, v143, v144, v145
	ds_bpermute_b32 v144, v160, v143
	s_waitcnt lgkmcnt(0)
	v_max_f32_e32 v144, v144, v144
	v_max_f32_e32 v159, v143, v144
	s_delay_alu instid0(VALU_DEP_1) | instskip(SKIP_4) | instid1(VALU_DEP_4)
	v_fma_f32 v145, s34, v193, -v159
	v_fma_f32 v146, s34, v194, -v159
	;; [unrolled: 1-line block ×5, first 2 shown]
	v_dual_mul_f32 v145, 0x3fb8aa3b, v145 :: v_dual_mul_f32 v146, 0x3fb8aa3b, v146
	s_delay_alu instid0(VALU_DEP_4) | instskip(SKIP_1) | instid1(VALU_DEP_4)
	v_mul_f32_e32 v132, 0x3fb8aa3b, v132
	v_fma_f32 v148, s34, v195, -v159
	v_mul_f32_e32 v144, 0x3fb8aa3b, v144
	s_delay_alu instid0(VALU_DEP_4)
	v_exp_f32_e32 v145, v145
	v_exp_f32_e32 v150, v146
	v_fma_f32 v149, s34, v196, -v159
	v_mul_f32_e32 v148, 0x3fb8aa3b, v148
	v_exp_f32_e32 v147, v144
	v_fma_f32 v134, s34, v134, -v159
	v_fma_f32 v151, s34, v197, -v159
	v_mul_f32_e32 v149, 0x3fb8aa3b, v149
	v_exp_f32_e32 v148, v148
	v_fma_f32 v152, s34, v198, -v159
	v_cndmask_b32_e64 v146, 0, v145, s3
	v_cndmask_b32_e64 v145, 0, v150, s4
	v_dual_mul_f32 v143, 0x3fb8aa3b, v143 :: v_dual_mul_f32 v134, 0x3fb8aa3b, v134
	v_mul_f32_e32 v151, 0x3fb8aa3b, v151
	v_exp_f32_e32 v149, v149
	v_fma_f32 v129, s34, v129, -v159
	s_delay_alu instid0(VALU_DEP_3)
	v_exp_f32_e32 v143, v143
	v_mul_f32_e32 v150, 0x3fb8aa3b, v152
	v_exp_f32_e32 v151, v151
	v_cndmask_b32_e64 v148, 0, v148, s5
	v_fma_f32 v130, s34, v130, -v159
	v_mul_f32_e32 v129, 0x3fb8aa3b, v129
	v_exp_f32_e32 v153, v150
	v_fma_f32 v131, s34, v131, -v159
	v_fma_f32 v133, s34, v133, -v159
	v_mul_f32_e32 v130, 0x3fb8aa3b, v130
	v_cndmask_b32_e32 v144, 0, v143, vcc_lo
	v_cndmask_b32_e64 v143, 0, v147, s2
	v_exp_f32_e32 v129, v129
	v_cndmask_b32_e64 v150, 0, v151, s7
	v_mul_f32_e32 v131, 0x3fb8aa3b, v131
	v_add_f32_e32 v147, 0, v144
	v_exp_f32_e32 v130, v130
	v_mul_f32_e32 v133, 0x3fb8aa3b, v133
	v_exp_f32_e32 v132, v132
	v_exp_f32_e32 v131, v131
	v_add_f32_e32 v147, v147, v143
	s_mov_b32 s2, exec_lo
	v_exp_f32_e32 v133, v133
	s_delay_alu instid0(VALU_DEP_1)
	v_add_f32_e32 v147, v147, v146
	s_waitcnt_depctr 0xfff
	v_cndmask_b32_e64 v154, 0, v131, s11
	v_add_f32_e32 v152, v147, v145
	v_cndmask_b32_e64 v147, 0, v149, s6
	v_exp_f32_e32 v131, v134
	v_cndmask_b32_e64 v156, 0, v133, s13
	s_delay_alu instid0(VALU_DEP_3) | instskip(SKIP_1) | instid1(VALU_DEP_2)
	v_add_f32_e32 v149, v152, v148
	v_cndmask_b32_e64 v152, 0, v129, s9
	v_add_f32_e32 v151, v149, v147
	v_cndmask_b32_e64 v149, 0, v153, s8
	v_cndmask_b32_e64 v153, 0, v132, s12
	v_fma_f32 v132, s34, v136, -v159
	s_delay_alu instid0(TRANS32_DEP_1) | instskip(NEXT) | instid1(VALU_DEP_2)
	v_cndmask_b32_e64 v155, 0, v131, s15
	v_dual_add_f32 v151, v151, v150 :: v_dual_mul_f32 v132, 0x3fb8aa3b, v132
	s_delay_alu instid0(VALU_DEP_1) | instskip(SKIP_2) | instid1(VALU_DEP_4)
	v_add_f32_e32 v129, v151, v149
	v_cndmask_b32_e64 v151, 0, v130, s10
	v_fma_f32 v130, s34, v135, -v159
	v_exp_f32_e32 v131, v132
	s_delay_alu instid0(VALU_DEP_1) | instskip(NEXT) | instid1(VALU_DEP_1)
	v_dual_add_f32 v129, v129, v152 :: v_dual_mul_f32 v130, 0x3fb8aa3b, v130
	v_add_f32_e32 v129, v129, v151
	s_delay_alu instid0(VALU_DEP_2) | instskip(SKIP_3) | instid1(VALU_DEP_1)
	v_exp_f32_e32 v130, v130
	s_waitcnt_depctr 0xfff
	v_cndmask_b32_e64 v157, 0, v131, s17
	v_add_f32_e32 v129, v129, v154
	v_add_f32_e32 v129, v129, v153
	v_cndmask_b32_e64 v158, 0, v130, s16
	s_delay_alu instid0(VALU_DEP_2) | instskip(NEXT) | instid1(VALU_DEP_1)
	v_add_f32_e32 v129, v129, v156
	v_add_f32_e32 v129, v129, v155
	s_delay_alu instid0(VALU_DEP_1) | instskip(NEXT) | instid1(VALU_DEP_1)
	v_add_f32_e32 v129, v129, v158
	v_add_f32_e32 v129, v129, v157
	ds_bpermute_b32 v130, v160, v129
	v_cmpx_gt_u32_e32 16, v142
	s_cbranch_execz .LBB235_12
; %bb.11:
	v_mul_u32_u24_e32 v131, 0x44, v141
	s_delay_alu instid0(VALU_DEP_1) | instskip(SKIP_1) | instid1(VALU_DEP_1)
	v_lshl_add_u32 v131, v140, 2, v131
	s_waitcnt lgkmcnt(0)
	v_dual_add_f32 v129, v129, v130 :: v_dual_add_nc_u32 v130, 0x4000, v131
	ds_store_2addr_b32 v130, v159, v129 offset1:136
.LBB235_12:
	s_or_b32 exec_lo, exec_lo, s2
	v_lshlrev_b32_e32 v129, 2, v140
	s_load_b32 s34, s[0:1], 0x94
	s_waitcnt lgkmcnt(0)
	s_barrier
	buffer_gl0_inv
	v_add_nc_u32_e32 v135, 0x4000, v129
	v_cmp_eq_u32_e32 vcc_lo, 1, v141
	v_cmp_eq_u32_e64 s2, 2, v141
	v_cmp_eq_u32_e64 s3, 3, v141
	;; [unrolled: 1-line block ×3, first 2 shown]
	ds_load_2addr_b32 v[129:130], v135 offset1:17
	ds_load_2addr_b32 v[131:132], v135 offset0:34 offset1:51
	ds_load_2addr_b32 v[133:134], v135 offset0:68 offset1:85
	;; [unrolled: 1-line block ×3, first 2 shown]
	v_cmp_eq_u32_e64 s5, 5, v141
	v_cmp_eq_u32_e64 s6, 7, v141
	s_waitcnt lgkmcnt(3)
	v_max3_f32 v136, v129, 0xff7fffff, v130
	s_waitcnt lgkmcnt(2)
	s_delay_alu instid0(VALU_DEP_1) | instskip(SKIP_1) | instid1(VALU_DEP_1)
	v_max3_f32 v136, v136, v131, v132
	s_waitcnt lgkmcnt(1)
	v_max3_f32 v136, v136, v133, v134
	s_waitcnt lgkmcnt(0)
	s_delay_alu instid0(VALU_DEP_1) | instskip(NEXT) | instid1(VALU_DEP_1)
	v_max3_f32 v136, v136, v159, v160
	v_sub_f32_e32 v142, v130, v136
	ds_load_2addr_b32 v[161:162], v135 offset0:136 offset1:153
	v_sub_f32_e32 v164, v132, v136
	v_mul_f32_e32 v142, 0x3fb8aa3b, v142
	s_delay_alu instid0(VALU_DEP_2) | instskip(NEXT) | instid1(VALU_DEP_2)
	v_mul_f32_e32 v164, 0x3fb8aa3b, v164
	v_exp_f32_e32 v166, v142
	v_sub_f32_e32 v129, v129, v136
	s_delay_alu instid0(VALU_DEP_2) | instskip(NEXT) | instid1(VALU_DEP_1)
	v_exp_f32_e32 v164, v164
	v_mul_f32_e32 v163, 0x3fb8aa3b, v129
	ds_load_2addr_b32 v[129:130], v135 offset0:170 offset1:187
	v_exp_f32_e32 v163, v163
	s_waitcnt lgkmcnt(1)
	s_waitcnt_depctr 0xfff
	v_fma_f32 v142, v163, v161, 0
	v_sub_f32_e32 v161, v134, v136
	s_delay_alu instid0(VALU_DEP_2) | instskip(NEXT) | instid1(VALU_DEP_1)
	v_dual_fmac_f32 v142, v166, v162 :: v_dual_sub_f32 v131, v131, v136
	v_mul_f32_e32 v165, 0x3fb8aa3b, v131
	ds_load_2addr_b32 v[131:132], v135 offset0:204 offset1:221
	v_exp_f32_e32 v165, v165
	s_waitcnt lgkmcnt(1)
	s_waitcnt_depctr 0xfff
	v_fmac_f32_e32 v142, v165, v129
	v_sub_f32_e32 v133, v133, v136
	v_sub_f32_e32 v129, v160, v136
	s_delay_alu instid0(VALU_DEP_2) | instskip(NEXT) | instid1(VALU_DEP_2)
	v_dual_fmac_f32 v142, v164, v130 :: v_dual_mul_f32 v167, 0x3fb8aa3b, v133
	v_mul_f32_e32 v129, 0x3fb8aa3b, v129
	ds_load_2addr_b32 v[133:134], v135 offset0:238 offset1:255
	v_cndmask_b32_e32 v130, v163, v166, vcc_lo
	s_waitcnt lgkmcnt(0)
	s_barrier
	v_exp_f32_e32 v162, v129
	v_sub_f32_e32 v135, v159, v136
	v_mul_f32_e32 v159, 0x3fb8aa3b, v161
	v_exp_f32_e32 v161, v167
	buffer_gl0_inv
	v_exp_f32_e32 v159, v159
	v_fmac_f32_e32 v142, v161, v131
	s_waitcnt_depctr 0xfff
	v_dual_mul_f32 v135, 0x3fb8aa3b, v135 :: v_dual_fmac_f32 v142, v159, v132
	s_delay_alu instid0(VALU_DEP_1) | instskip(SKIP_2) | instid1(VALU_DEP_1)
	v_exp_f32_e32 v160, v135
	s_waitcnt_depctr 0xfff
	v_dual_fmac_f32 v142, v160, v133 :: v_dual_lshlrev_b32 v133, 6, v140
	v_fmac_f32_e32 v142, v162, v134
	s_delay_alu instid0(VALU_DEP_2) | instskip(NEXT) | instid1(VALU_DEP_2)
	v_lshl_or_b32 v135, v141, 11, v133
	v_add_f32_e32 v134, 0x358637bd, v142
	s_delay_alu instid0(VALU_DEP_1) | instskip(SKIP_1) | instid1(VALU_DEP_2)
	v_div_scale_f32 v167, null, v134, v134, 1.0
	v_div_scale_f32 v163, vcc_lo, 1.0, v134, 1.0
	v_rcp_f32_e32 v168, v167
	s_waitcnt_depctr 0xfff
	v_fma_f32 v129, -v167, v168, 1.0
	s_delay_alu instid0(VALU_DEP_1) | instskip(SKIP_2) | instid1(VALU_DEP_2)
	v_fmac_f32_e32 v168, v129, v168
	v_cndmask_b32_e64 v129, v130, v165, s2
	v_cmp_eq_u32_e64 s2, 6, v141
	v_cndmask_b32_e64 v130, v129, v164, s3
	v_lshlrev_b32_e32 v129, 2, v138
	v_mul_f32_e32 v165, v163, v168
	s_delay_alu instid0(VALU_DEP_3) | instskip(NEXT) | instid1(VALU_DEP_3)
	v_cndmask_b32_e64 v161, v130, v161, s4
	v_or_b32_e32 v130, 1, v129
	s_delay_alu instid0(VALU_DEP_3)
	v_fma_f32 v131, -v167, v165, v163
	v_or_b32_e32 v132, 2, v129
	v_cmp_eq_u32_e64 s3, 1, v129
	v_cndmask_b32_e64 v141, v161, v159, s5
	v_cmp_eq_u32_e64 s8, 1, v130
	v_fmac_f32_e32 v165, v131, v168
	v_or_b32_e32 v131, 3, v129
	v_cmp_eq_u32_e64 s9, 1, v132
	v_cndmask_b32_e64 v141, v141, v160, s2
	v_cmp_eq_u32_e64 s4, 2, v129
	v_fma_f32 v159, -v167, v165, v163
	v_cmp_eq_u32_e64 s10, 1, v131
	v_cmp_eq_u32_e64 s15, 2, v131
	v_cndmask_b32_e64 v141, v141, v162, s6
	v_cmp_eq_u32_e64 s11, 2, v130
	v_div_fmas_f32 v159, v159, v168, v165
	v_cmp_eq_u32_e64 s17, 3, v131
	v_cmp_eq_u32_e32 vcc_lo, 3, v129
	v_cmp_eq_u32_e64 s12, 3, v130
	v_cmp_eq_u32_e64 s13, 2, v132
	v_div_fixup_f32 v159, v159, v134, 1.0
	v_lshl_or_b32 v134, v138, 4, v135
	v_cmp_eq_u32_e64 s21, 4, v131
	v_cmp_eq_u32_e64 s2, 4, v129
	;; [unrolled: 1-line block ×3, first 2 shown]
	v_mul_f32_e32 v141, v141, v159
	v_cmp_eq_u32_e64 s18, 4, v130
	v_cmp_eq_u32_e64 s23, 5, v131
	;; [unrolled: 1-line block ×4, first 2 shown]
	v_fma_mixlo_f16 v159, v141, v144, 0
	v_fma_mixlo_f16 v160, v141, v146, 0
	v_fma_mixlo_f16 v161, v141, v148, 0
	v_fma_mixlo_f16 v162, v141, v150, 0
	v_fma_mixlo_f16 v163, v141, v152, 0
	v_fma_mixlo_f16 v164, v141, v154, 0
	v_fma_mixlo_f16 v165, v141, v156, 0
	v_fma_mixlo_f16 v166, v141, v158, 0
	v_fma_mixhi_f16 v159, v141, v143, 0
	v_fma_mixhi_f16 v160, v141, v145, 0
	v_fma_mixhi_f16 v161, v141, v147, 0
	v_fma_mixhi_f16 v162, v141, v149, 0
	v_fma_mixhi_f16 v163, v141, v151, 0
	v_fma_mixhi_f16 v164, v141, v153, 0
	v_fma_mixhi_f16 v165, v141, v155, 0
	v_fma_mixhi_f16 v166, v141, v157, 0
	ds_store_b128 v134, v[159:162]
	ds_store_b128 v134, v[163:166] offset:1024
	s_waitcnt lgkmcnt(0)
	s_barrier
	buffer_gl0_inv
	ds_load_b128 v[143:146], v135
	ds_load_b128 v[147:150], v135 offset:16
	ds_load_b128 v[151:154], v135 offset:1024
	;; [unrolled: 1-line block ×3, first 2 shown]
	v_cmp_eq_u32_e64 s20, 4, v132
	v_cmp_eq_u32_e64 s26, 6, v131
	;; [unrolled: 1-line block ×10, first 2 shown]
	s_waitcnt lgkmcnt(3)
	v_lshrrev_b32_e32 v141, 16, v143
	s_waitcnt lgkmcnt(2)
	v_lshrrev_b32_e32 v162, 16, v147
	v_lshrrev_b32_e32 v159, 16, v144
	;; [unrolled: 1-line block ×3, first 2 shown]
	s_waitcnt lgkmcnt(1)
	v_lshrrev_b32_e32 v166, 16, v151
	v_cndmask_b32_e64 v174, v143, v141, s3
	v_cndmask_b32_e64 v176, v143, v141, s8
	;; [unrolled: 1-line block ×5, first 2 shown]
	s_waitcnt lgkmcnt(0)
	v_lshrrev_b32_e32 v170, 16, v155
	v_cndmask_b32_e64 v175, v147, v162, s3
	v_cndmask_b32_e64 v177, v147, v162, s8
	;; [unrolled: 1-line block ×19, first 2 shown]
	v_lshrrev_b32_e32 v160, 16, v145
	v_lshrrev_b32_e32 v164, 16, v149
	;; [unrolled: 1-line block ×4, first 2 shown]
	v_cndmask_b32_e64 v176, v178, v144, s13
	v_cndmask_b32_e64 v177, v179, v148, s13
	;; [unrolled: 1-line block ×8, first 2 shown]
	v_cndmask_b32_e32 v155, v166, v159, vcc_lo
	v_cndmask_b32_e32 v166, v170, v163, vcc_lo
	v_cndmask_b32_e64 v170, v174, v159, s12
	v_cndmask_b32_e64 v174, v175, v163, s12
	;; [unrolled: 1-line block ×6, first 2 shown]
	v_cndmask_b32_e32 v144, v144, v167, vcc_lo
	v_cndmask_b32_e32 v147, v147, v171, vcc_lo
	v_cndmask_b32_e64 v148, v148, v167, s12
	v_cndmask_b32_e64 v155, v155, v145, s2
	;; [unrolled: 1-line block ×7, first 2 shown]
	v_lshrrev_b32_e32 v161, 16, v146
	v_lshrrev_b32_e32 v165, 16, v150
	;; [unrolled: 1-line block ×4, first 2 shown]
	v_cndmask_b32_e64 v170, v175, v145, s20
	v_cndmask_b32_e64 v174, v176, v149, s20
	;; [unrolled: 1-line block ×22, first 2 shown]
	v_lshrrev_b32_e32 v169, 16, v154
	v_cndmask_b32_e64 v160, v163, v146, s25
	v_cndmask_b32_e64 v163, v166, v150, s25
	v_cndmask_b32_e64 v144, v144, v154, s6
	v_cndmask_b32_e64 v150, v145, v158, s6
	v_cndmask_b32_e64 v145, v147, v154, s24
	v_cndmask_b32_e64 v147, v148, v161, s7
	v_cndmask_b32_e64 v148, v149, v165, s7
	v_cndmask_b32_e64 v149, v155, v161, s29
	v_cndmask_b32_e64 v159, v159, v165, s29
	v_perm_b32 v146, v143, v141, 0x5040100
	v_cndmask_b32_e64 v141, v183, v156, s13
	v_cndmask_b32_e64 v143, v181, v156, s11
	;; [unrolled: 1-line block ×4, first 2 shown]
	v_perm_b32 v144, v159, v149, 0x5040100
	v_cndmask_b32_e64 v149, v162, v167, s16
	v_cndmask_b32_e64 v151, v151, v167, s17
	;; [unrolled: 1-line block ×15, first 2 shown]
	v_lshrrev_b32_e32 v173, 16, v158
	v_cndmask_b32_e64 v149, v149, v154, s25
	v_cndmask_b32_e64 v151, v151, v154, s26
	;; [unrolled: 1-line block ×13, first 2 shown]
	v_perm_b32 v145, v160, v155, 0x5040100
	v_perm_b32 v143, v148, v147, 0x5040100
	;; [unrolled: 1-line block ×6, first 2 shown]
	s_mul_i32 s6, s33, 6
	s_mov_b32 s2, exec_lo
	ds_store_b128 v134, v[143:146]
	ds_store_b128 v134, v[147:150] offset:1024
	v_cmpx_gt_u32_e32 6, v0
	s_cbranch_execz .LBB235_14
; %bb.13:
	s_mul_i32 s3, s6, s30
	s_load_b128 s[8:11], s[0:1], 0x58
	v_add3_u32 v143, s3, s31, v140
	s_delay_alu instid0(VALU_DEP_1) | instskip(NEXT) | instid1(VALU_DEP_1)
	v_mad_u64_u32 v[140:141], null, v143, s34, s[14:15]
	v_ashrrev_i32_e32 v141, 31, v140
	s_delay_alu instid0(VALU_DEP_1) | instskip(SKIP_1) | instid1(VALU_DEP_1)
	v_lshlrev_b64 v[140:141], 2, v[140:141]
	s_waitcnt lgkmcnt(0)
	v_add_co_u32 v143, vcc_lo, s10, v140
	s_delay_alu instid0(VALU_DEP_2)
	v_add_co_ci_u32_e32 v144, vcc_lo, s11, v141, vcc_lo
	v_add_co_u32 v140, vcc_lo, s8, v140
	v_add_co_ci_u32_e32 v141, vcc_lo, s9, v141, vcc_lo
	global_store_b32 v[143:144], v136, off
	global_store_b32 v[140:141], v142, off
.LBB235_14:
	s_or_b32 exec_lo, exec_lo, s2
	s_waitcnt lgkmcnt(0)
	s_waitcnt_vscnt null, 0x0
	s_barrier
	buffer_gl0_inv
	ds_load_b128 v[148:151], v133
	ds_load_b128 v[152:155], v133 offset:16
	ds_load_b128 v[160:163], v133 offset:1040
	;; [unrolled: 1-line block ×5, first 2 shown]
	v_cmp_eq_u32_e32 vcc_lo, 1, v132
	v_mov_b32_e32 v140, 0
	ds_load_b128 v[176:179], v133 offset:3088
	ds_load_b128 v[172:175], v133 offset:3072
	;; [unrolled: 1-line block ×4, first 2 shown]
	v_cmp_eq_u32_e64 s2, 1, v129
	v_cmp_eq_u32_e64 s3, 1, v131
	;; [unrolled: 1-line block ×3, first 2 shown]
	v_mov_b32_e32 v141, v140
	v_mov_b32_e32 v142, v140
	;; [unrolled: 1-line block ×7, first 2 shown]
	v_cmp_eq_u32_e64 s5, 2, v129
	s_waitcnt lgkmcnt(8)
	s_delay_alu instid0(VALU_DEP_2)
	v_wmma_f32_16x16x16_f16 v[140:147], v[121:128], v[148:155], v[140:147]
	ds_load_b128 v[125:128], v133 offset:5136
	ds_load_b128 v[121:124], v133 offset:5120
	s_waitcnt lgkmcnt(8)
	v_wmma_f32_16x16x16_f16 v[140:147], v[113:120], v[156:163], v[140:147]
	ds_load_b128 v[117:120], v133 offset:6160
	ds_load_b128 v[113:116], v133 offset:6144
	s_waitcnt lgkmcnt(8)
	;; [unrolled: 4-line block ×11, first 2 shown]
	s_barrier
	buffer_gl0_inv
	v_wmma_f32_16x16x16_f16 v[140:147], v[1:8], v[73:80], v[140:147]
	s_delay_alu instid0(VALU_DEP_1) | instskip(NEXT) | instid1(VALU_DEP_1)
	v_wmma_f32_16x16x16_f16 v[140:147], v[9:16], v[65:72], v[140:147]
	v_wmma_f32_16x16x16_f16 v[140:147], v[33:40], v[57:64], v[140:147]
	s_delay_alu instid0(VALU_DEP_1) | instskip(NEXT) | instid1(VALU_DEP_1)
	v_wmma_f32_16x16x16_f16 v[140:147], v[41:48], v[49:56], v[140:147]
	v_wmma_f32_16x16x16_f16 v[140:147], v[17:24], v[25:32], v[140:147]
	s_delay_alu instid0(VALU_DEP_1) | instskip(NEXT) | instid1(VALU_DEP_2)
	v_cvt_f16_f32_e64 v1, v140
	v_cvt_f16_f32_e64 v2, v141
	s_delay_alu instid0(VALU_DEP_3) | instskip(NEXT) | instid1(VALU_DEP_4)
	v_cvt_f16_f32_e64 v3, v142
	v_cvt_f16_f32_e64 v4, v143
	;; [unrolled: 1-line block ×6, first 2 shown]
	v_pack_b32_f16 v1, v1, v2
	v_pack_b32_f16 v2, v3, v4
	;; [unrolled: 1-line block ×3, first 2 shown]
	s_delay_alu instid0(VALU_DEP_4)
	v_pack_b32_f16 v4, v7, v8
	ds_store_b128 v134, v[1:4]
	s_waitcnt lgkmcnt(0)
	s_barrier
	buffer_gl0_inv
	ds_load_b128 v[1:4], v135
	ds_load_b128 v[5:8], v135 offset:16
	s_waitcnt lgkmcnt(1)
	v_lshrrev_b32_e32 v9, 16, v1
	s_waitcnt lgkmcnt(0)
	v_lshrrev_b32_e32 v13, 16, v5
	v_lshrrev_b32_e32 v10, 16, v2
	;; [unrolled: 1-line block ×4, first 2 shown]
	v_cndmask_b32_e64 v17, v1, v9, s2
	v_cndmask_b32_e64 v18, v5, v13, s2
	v_cndmask_b32_e64 v19, v1, v9, s4
	v_cmp_eq_u32_e64 s2, 2, v130
	v_cndmask_b32_e64 v20, v5, v13, s4
	v_cndmask_b32_e32 v21, v1, v9, vcc_lo
	v_cndmask_b32_e32 v22, v5, v13, vcc_lo
	v_cndmask_b32_e64 v1, v1, v9, s3
	v_cndmask_b32_e64 v5, v5, v13, s3
	v_cmp_eq_u32_e32 vcc_lo, 2, v132
	v_cmp_eq_u32_e64 s3, 2, v131
	v_cndmask_b32_e64 v9, v17, v2, s5
	v_cndmask_b32_e64 v13, v18, v6, s5
	;; [unrolled: 1-line block ×4, first 2 shown]
	v_cndmask_b32_e32 v19, v21, v2, vcc_lo
	v_cmp_eq_u32_e64 s2, 3, v132
	v_cndmask_b32_e32 v20, v22, v6, vcc_lo
	v_cndmask_b32_e64 v1, v1, v2, s3
	v_cmp_eq_u32_e32 vcc_lo, 3, v131
	v_cmp_eq_u32_e64 s4, 3, v129
	v_cndmask_b32_e64 v2, v5, v6, s3
	v_cmp_eq_u32_e64 s3, 3, v130
	v_cmp_eq_u32_e64 s5, 4, v129
	v_cndmask_b32_e32 v1, v1, v10, vcc_lo
	v_cndmask_b32_e64 v5, v9, v10, s4
	v_cndmask_b32_e64 v6, v13, v14, s4
	;; [unrolled: 1-line block ×3, first 2 shown]
	v_cmp_eq_u32_e64 s4, 4, v130
	v_cndmask_b32_e64 v13, v18, v14, s3
	v_cndmask_b32_e64 v17, v19, v10, s2
	;; [unrolled: 1-line block ×3, first 2 shown]
	v_cndmask_b32_e32 v2, v2, v14, vcc_lo
	v_cmp_eq_u32_e32 vcc_lo, 4, v132
	v_cmp_eq_u32_e64 s3, 4, v131
	v_lshrrev_b32_e32 v15, 16, v7
	v_cndmask_b32_e64 v5, v5, v3, s5
	v_cndmask_b32_e64 v6, v6, v7, s5
	v_cndmask_b32_e32 v14, v18, v7, vcc_lo
	v_cndmask_b32_e64 v9, v9, v3, s4
	v_cndmask_b32_e64 v10, v13, v7, s4
	v_cndmask_b32_e32 v13, v17, v3, vcc_lo
	v_cmp_eq_u32_e64 s2, 5, v132
	v_cndmask_b32_e64 v1, v1, v3, s3
	v_cmp_eq_u32_e32 vcc_lo, 5, v131
	v_cmp_eq_u32_e64 s4, 5, v129
	v_cndmask_b32_e64 v2, v2, v7, s3
	v_cmp_eq_u32_e64 s3, 5, v130
	v_cmp_eq_u32_e64 s5, 6, v129
	v_lshrrev_b32_e32 v12, 16, v4
	v_cndmask_b32_e64 v3, v5, v11, s4
	v_cndmask_b32_e64 v5, v6, v15, s4
	;; [unrolled: 1-line block ×3, first 2 shown]
	v_cmp_eq_u32_e64 s4, 6, v130
	v_cndmask_b32_e64 v7, v10, v15, s3
	v_cndmask_b32_e64 v9, v13, v11, s2
	;; [unrolled: 1-line block ×3, first 2 shown]
	v_cndmask_b32_e32 v1, v1, v11, vcc_lo
	v_cndmask_b32_e32 v2, v2, v15, vcc_lo
	v_cmp_eq_u32_e32 vcc_lo, 6, v132
	v_cmp_eq_u32_e64 s2, 6, v131
	v_lshrrev_b32_e32 v16, 16, v8
	v_cndmask_b32_e64 v3, v3, v4, s5
	v_cndmask_b32_e64 v5, v5, v8, s5
	v_cndmask_b32_e32 v9, v9, v4, vcc_lo
	v_cndmask_b32_e64 v6, v6, v4, s4
	v_cndmask_b32_e64 v7, v7, v8, s4
	v_cmp_eq_u32_e64 s3, 7, v132
	v_cndmask_b32_e32 v10, v10, v8, vcc_lo
	v_cndmask_b32_e64 v1, v1, v4, s2
	v_cmp_eq_u32_e32 vcc_lo, 7, v131
	v_cndmask_b32_e64 v2, v2, v8, s2
	v_cmp_eq_u32_e64 s2, 7, v129
	v_cmp_eq_u32_e64 s4, 7, v130
	v_cndmask_b32_e32 v1, v1, v12, vcc_lo
	s_delay_alu instid0(VALU_DEP_4) | instskip(NEXT) | instid1(VALU_DEP_4)
	v_cndmask_b32_e32 v2, v2, v16, vcc_lo
	v_cndmask_b32_e64 v8, v3, v12, s2
	s_delay_alu instid0(VALU_DEP_4)
	v_cndmask_b32_e64 v6, v6, v12, s4
	v_cndmask_b32_e64 v3, v9, v12, s3
	;; [unrolled: 1-line block ×5, first 2 shown]
	v_perm_b32 v4, v2, v1, 0x5040100
	s_mov_b32 s2, exec_lo
	v_perm_b32 v3, v9, v3, 0x5040100
	v_perm_b32 v2, v7, v6, 0x5040100
	;; [unrolled: 1-line block ×3, first 2 shown]
	ds_store_b128 v134, v[1:4]
	s_waitcnt lgkmcnt(0)
	s_barrier
	buffer_gl0_inv
	v_cmpx_gt_u32_e32 32, v0
	s_cbranch_execz .LBB235_2
; %bb.15:
	s_load_b64 s[0:1], s[0:1], 0x68
	s_lshl_b32 s4, s34, 7
	v_or_b32_e32 v3, s31, v138
	s_mul_i32 s2, s4, s30
	v_lshlrev_b32_e32 v0, 10, v0
	s_mul_i32 s2, s2, s6
	v_lshlrev_b32_e32 v1, 4, v139
	s_ashr_i32 s3, s2, 31
	v_mul_lo_u32 v12, v3, s4
	s_lshl_b64 s[2:3], s[2:3], 1
	v_lshlrev_b32_e32 v2, 6, v138
	v_and_b32_e32 v0, 0x3800, v0
	s_delay_alu instid0(VALU_DEP_1) | instskip(NEXT) | instid1(VALU_DEP_4)
	v_or3_b32 v8, v0, v1, v2
	v_ashrrev_i32_e32 v13, 31, v12
	ds_load_b128 v[0:3], v8
	ds_load_b128 v[4:7], v8 offset:128
	ds_load_b128 v[8:11], v8 offset:256
	s_waitcnt lgkmcnt(0)
	s_add_u32 s2, s0, s2
	s_addc_u32 s3, s1, s3
	s_lshl_b32 s0, s14, 7
	s_delay_alu instid0(SALU_CYCLE_1) | instskip(NEXT) | instid1(SALU_CYCLE_1)
	s_ashr_i32 s1, s0, 31
	s_lshl_b64 s[0:1], s[0:1], 1
	s_delay_alu instid0(SALU_CYCLE_1)
	s_add_u32 s0, s2, s0
	s_addc_u32 s1, s3, s1
	s_lshl_b32 s2, s34, 8
	v_add_co_u32 v18, s0, s0, v137
	v_add_nc_u32_e32 v14, s2, v12
	v_lshlrev_b64 v[12:13], 1, v[12:13]
	v_add_co_ci_u32_e64 v19, null, s1, 0, s0
	s_delay_alu instid0(VALU_DEP_3) | instskip(SKIP_1) | instid1(VALU_DEP_4)
	v_add_nc_u32_e32 v16, s2, v14
	v_ashrrev_i32_e32 v15, 31, v14
	v_add_co_u32 v12, vcc_lo, v18, v12
	s_delay_alu instid0(VALU_DEP_4) | instskip(NEXT) | instid1(VALU_DEP_4)
	v_add_co_ci_u32_e32 v13, vcc_lo, v19, v13, vcc_lo
	v_ashrrev_i32_e32 v17, 31, v16
	s_delay_alu instid0(VALU_DEP_4) | instskip(NEXT) | instid1(VALU_DEP_2)
	v_lshlrev_b64 v[14:15], 1, v[14:15]
	v_lshlrev_b64 v[16:17], 1, v[16:17]
	s_delay_alu instid0(VALU_DEP_2) | instskip(NEXT) | instid1(VALU_DEP_3)
	v_add_co_u32 v14, vcc_lo, v18, v14
	v_add_co_ci_u32_e32 v15, vcc_lo, v19, v15, vcc_lo
	s_delay_alu instid0(VALU_DEP_3) | instskip(NEXT) | instid1(VALU_DEP_4)
	v_add_co_u32 v16, vcc_lo, v18, v16
	v_add_co_ci_u32_e32 v17, vcc_lo, v19, v17, vcc_lo
	s_clause 0x2
	global_store_b128 v[12:13], v[0:3], off
	global_store_b128 v[14:15], v[4:7], off
	;; [unrolled: 1-line block ×3, first 2 shown]
	s_nop 0
	s_sendmsg sendmsg(MSG_DEALLOC_VGPRS)
	s_endpgm
	.section	.rodata,"a",@progbits
	.p2align	6, 0x0
	.amdhsa_kernel _Z39paged_attention_ll4mi_QKV_mfma16_kernelIDF16_DF16_LN4vllm18Fp8KVCacheDataTypeE0EhLi16ELi128ELi256ELb0ELi6EL8MFMAType0EEvPKT_PKT0_S8_ifPKiSA_SA_iPKfiiiPfSD_PS3_PT2_iSC_SC_
		.amdhsa_group_segment_fixed_size 17472
		.amdhsa_private_segment_fixed_size 0
		.amdhsa_kernarg_size 400
		.amdhsa_user_sgpr_count 13
		.amdhsa_user_sgpr_dispatch_ptr 0
		.amdhsa_user_sgpr_queue_ptr 0
		.amdhsa_user_sgpr_kernarg_segment_ptr 1
		.amdhsa_user_sgpr_dispatch_id 0
		.amdhsa_user_sgpr_private_segment_size 0
		.amdhsa_wavefront_size32 1
		.amdhsa_uses_dynamic_stack 0
		.amdhsa_enable_private_segment 0
		.amdhsa_system_sgpr_workgroup_id_x 1
		.amdhsa_system_sgpr_workgroup_id_y 1
		.amdhsa_system_sgpr_workgroup_id_z 1
		.amdhsa_system_sgpr_workgroup_info 0
		.amdhsa_system_vgpr_workitem_id 0
		.amdhsa_next_free_vgpr 218
		.amdhsa_next_free_sgpr 52
		.amdhsa_reserve_vcc 1
		.amdhsa_float_round_mode_32 0
		.amdhsa_float_round_mode_16_64 0
		.amdhsa_float_denorm_mode_32 3
		.amdhsa_float_denorm_mode_16_64 3
		.amdhsa_dx10_clamp 1
		.amdhsa_ieee_mode 1
		.amdhsa_fp16_overflow 0
		.amdhsa_workgroup_processor_mode 1
		.amdhsa_memory_ordered 1
		.amdhsa_forward_progress 0
		.amdhsa_shared_vgpr_count 0
		.amdhsa_exception_fp_ieee_invalid_op 0
		.amdhsa_exception_fp_denorm_src 0
		.amdhsa_exception_fp_ieee_div_zero 0
		.amdhsa_exception_fp_ieee_overflow 0
		.amdhsa_exception_fp_ieee_underflow 0
		.amdhsa_exception_fp_ieee_inexact 0
		.amdhsa_exception_int_div_zero 0
	.end_amdhsa_kernel
	.section	.text._Z39paged_attention_ll4mi_QKV_mfma16_kernelIDF16_DF16_LN4vllm18Fp8KVCacheDataTypeE0EhLi16ELi128ELi256ELb0ELi6EL8MFMAType0EEvPKT_PKT0_S8_ifPKiSA_SA_iPKfiiiPfSD_PS3_PT2_iSC_SC_,"axG",@progbits,_Z39paged_attention_ll4mi_QKV_mfma16_kernelIDF16_DF16_LN4vllm18Fp8KVCacheDataTypeE0EhLi16ELi128ELi256ELb0ELi6EL8MFMAType0EEvPKT_PKT0_S8_ifPKiSA_SA_iPKfiiiPfSD_PS3_PT2_iSC_SC_,comdat
.Lfunc_end235:
	.size	_Z39paged_attention_ll4mi_QKV_mfma16_kernelIDF16_DF16_LN4vllm18Fp8KVCacheDataTypeE0EhLi16ELi128ELi256ELb0ELi6EL8MFMAType0EEvPKT_PKT0_S8_ifPKiSA_SA_iPKfiiiPfSD_PS3_PT2_iSC_SC_, .Lfunc_end235-_Z39paged_attention_ll4mi_QKV_mfma16_kernelIDF16_DF16_LN4vllm18Fp8KVCacheDataTypeE0EhLi16ELi128ELi256ELb0ELi6EL8MFMAType0EEvPKT_PKT0_S8_ifPKiSA_SA_iPKfiiiPfSD_PS3_PT2_iSC_SC_
                                        ; -- End function
	.section	.AMDGPU.csdata,"",@progbits
; Kernel info:
; codeLenInByte = 8040
; NumSgprs: 54
; NumVgprs: 218
; ScratchSize: 0
; MemoryBound: 0
; FloatMode: 240
; IeeeMode: 1
; LDSByteSize: 17472 bytes/workgroup (compile time only)
; SGPRBlocks: 6
; VGPRBlocks: 27
; NumSGPRsForWavesPerEU: 54
; NumVGPRsForWavesPerEU: 218
; Occupancy: 6
; WaveLimiterHint : 1
; COMPUTE_PGM_RSRC2:SCRATCH_EN: 0
; COMPUTE_PGM_RSRC2:USER_SGPR: 13
; COMPUTE_PGM_RSRC2:TRAP_HANDLER: 0
; COMPUTE_PGM_RSRC2:TGID_X_EN: 1
; COMPUTE_PGM_RSRC2:TGID_Y_EN: 1
; COMPUTE_PGM_RSRC2:TGID_Z_EN: 1
; COMPUTE_PGM_RSRC2:TIDIG_COMP_CNT: 0
	.section	.text._Z39paged_attention_ll4mi_QKV_mfma16_kernelIDF16_DF16_LN4vllm18Fp8KVCacheDataTypeE0EhLi16ELi128ELi256ELb0ELi7EL8MFMAType0EEvPKT_PKT0_S8_ifPKiSA_SA_iPKfiiiPfSD_PS3_PT2_iSC_SC_,"axG",@progbits,_Z39paged_attention_ll4mi_QKV_mfma16_kernelIDF16_DF16_LN4vllm18Fp8KVCacheDataTypeE0EhLi16ELi128ELi256ELb0ELi7EL8MFMAType0EEvPKT_PKT0_S8_ifPKiSA_SA_iPKfiiiPfSD_PS3_PT2_iSC_SC_,comdat
	.protected	_Z39paged_attention_ll4mi_QKV_mfma16_kernelIDF16_DF16_LN4vllm18Fp8KVCacheDataTypeE0EhLi16ELi128ELi256ELb0ELi7EL8MFMAType0EEvPKT_PKT0_S8_ifPKiSA_SA_iPKfiiiPfSD_PS3_PT2_iSC_SC_ ; -- Begin function _Z39paged_attention_ll4mi_QKV_mfma16_kernelIDF16_DF16_LN4vllm18Fp8KVCacheDataTypeE0EhLi16ELi128ELi256ELb0ELi7EL8MFMAType0EEvPKT_PKT0_S8_ifPKiSA_SA_iPKfiiiPfSD_PS3_PT2_iSC_SC_
	.globl	_Z39paged_attention_ll4mi_QKV_mfma16_kernelIDF16_DF16_LN4vllm18Fp8KVCacheDataTypeE0EhLi16ELi128ELi256ELb0ELi7EL8MFMAType0EEvPKT_PKT0_S8_ifPKiSA_SA_iPKfiiiPfSD_PS3_PT2_iSC_SC_
	.p2align	8
	.type	_Z39paged_attention_ll4mi_QKV_mfma16_kernelIDF16_DF16_LN4vllm18Fp8KVCacheDataTypeE0EhLi16ELi128ELi256ELb0ELi7EL8MFMAType0EEvPKT_PKT0_S8_ifPKiSA_SA_iPKfiiiPfSD_PS3_PT2_iSC_SC_,@function
_Z39paged_attention_ll4mi_QKV_mfma16_kernelIDF16_DF16_LN4vllm18Fp8KVCacheDataTypeE0EhLi16ELi128ELi256ELb0ELi7EL8MFMAType0EEvPKT_PKT0_S8_ifPKiSA_SA_iPKfiiiPfSD_PS3_PT2_iSC_SC_: ; @_Z39paged_attention_ll4mi_QKV_mfma16_kernelIDF16_DF16_LN4vllm18Fp8KVCacheDataTypeE0EhLi16ELi128ELi256ELb0ELi7EL8MFMAType0EEvPKT_PKT0_S8_ifPKiSA_SA_iPKfiiiPfSD_PS3_PT2_iSC_SC_
; %bb.0:
	s_load_b64 s[4:5], s[0:1], 0x30
	s_mov_b32 s34, s13
	s_waitcnt lgkmcnt(0)
	s_cmp_lg_u64 s[4:5], 0
	s_cselect_b32 s8, -1, 0
	s_ashr_i32 s35, s13, 31
	s_cmp_eq_u64 s[4:5], 0
	s_cbranch_scc1 .LBB236_3
; %bb.1:
	s_lshl_b64 s[2:3], s[34:35], 2
	s_delay_alu instid0(SALU_CYCLE_1) | instskip(SKIP_4) | instid1(SALU_CYCLE_1)
	s_add_u32 s2, s4, s2
	s_addc_u32 s3, s5, s3
	s_load_b64 s[2:3], s[2:3], 0x0
	s_waitcnt lgkmcnt(0)
	s_sub_i32 s2, s3, s2
	s_cmp_eq_u32 s2, 1
	s_cselect_b32 s2, -1, 0
	s_delay_alu instid0(SALU_CYCLE_1)
	s_and_not1_b32 vcc_lo, exec_lo, s2
	s_cbranch_vccz .LBB236_4
.LBB236_2:
	s_nop 0
	s_sendmsg sendmsg(MSG_DEALLOC_VGPRS)
	s_endpgm
.LBB236_3:
.LBB236_4:
	s_load_b64 s[2:3], s[0:1], 0x28
	s_lshl_b64 s[6:7], s[34:35], 2
	s_waitcnt lgkmcnt(0)
	s_add_u32 s2, s2, s6
	s_addc_u32 s3, s3, s7
	s_lshl_b32 s29, s14, 8
	s_load_b32 s28, s[2:3], 0x0
	s_waitcnt lgkmcnt(0)
	s_cmp_ge_i32 s29, s28
	s_cbranch_scc1 .LBB236_2
; %bb.5:
	s_clause 0x1
	s_load_b128 s[20:23], s[0:1], 0x8
	s_load_b64 s[2:3], s[0:1], 0x20
	s_and_not1_b32 vcc_lo, exec_lo, s8
	s_cbranch_vccnz .LBB236_7
; %bb.6:
	s_add_u32 s4, s4, s6
	s_addc_u32 s5, s5, s7
	s_load_b32 s5, s[4:5], 0x0
	s_branch .LBB236_8
.LBB236_7:
	s_mov_b32 s5, s34
.LBB236_8:
	s_load_b128 s[16:19], s[0:1], 0x48
	v_and_b32_e32 v140, 15, v0
	v_lshrrev_b32_e32 v141, 5, v0
	v_bfe_u32 v138, v0, 4, 1
	v_and_b32_e32 v142, 31, v0
	v_and_b32_e32 v139, 1, v0
	v_lshlrev_b32_e32 v2, 3, v140
	s_mul_i32 s31, s15, 7
	v_lshl_or_b32 v1, v141, 1, v138
	s_mov_b32 s4, exec_lo
	s_delay_alu instid0(VALU_DEP_2) | instskip(NEXT) | instid1(VALU_DEP_2)
	v_lshlrev_b32_e32 v137, 1, v2
	v_cmpx_gt_u32_e32 7, v1
	s_cbranch_execz .LBB236_10
; %bb.9:
	s_load_b64 s[6:7], s[0:1], 0x0
	v_add_lshl_u32 v2, v1, s31, 7
	s_waitcnt lgkmcnt(0)
	s_mul_hi_i32 s9, s5, s16
	s_mul_i32 s8, s5, s16
	v_lshlrev_b32_e32 v6, 10, v140
	s_lshl_b64 s[8:9], s[8:9], 1
	v_ashrrev_i32_e32 v3, 31, v2
	v_lshlrev_b32_e32 v1, 6, v1
	v_lshlrev_b32_e32 v7, 10, v139
	v_and_b32_e32 v6, 0x3800, v6
	s_delay_alu instid0(VALU_DEP_4) | instskip(NEXT) | instid1(VALU_DEP_2)
	v_lshlrev_b64 v[2:3], 1, v[2:3]
	v_or3_b32 v1, v6, v7, v1
	s_add_u32 s5, s6, s8
	s_addc_u32 s6, s7, s9
	s_delay_alu instid0(VALU_DEP_2) | instskip(NEXT) | instid1(VALU_DEP_3)
	v_add_co_u32 v2, vcc_lo, s5, v2
	v_add_co_ci_u32_e32 v3, vcc_lo, s6, v3, vcc_lo
	s_delay_alu instid0(VALU_DEP_2) | instskip(NEXT) | instid1(VALU_DEP_2)
	v_add_co_u32 v2, vcc_lo, v2, v137
	v_add_co_ci_u32_e32 v3, vcc_lo, 0, v3, vcc_lo
	global_load_b128 v[2:5], v[2:3], off
	s_waitcnt vmcnt(0)
	ds_store_b128 v1, v[2:5]
.LBB236_10:
	s_or_b32 exec_lo, exec_lo, s4
	v_and_b32_e32 v1, 0xef, v0
	s_waitcnt lgkmcnt(0)
	s_add_i32 s5, s28, 15
	s_clause 0x1
	s_load_b32 s4, s[0:1], 0x38
	s_load_b32 s33, s[0:1], 0x98
	s_ashr_i32 s6, s5, 31
	v_add_nc_u32_e32 v1, s29, v1
	s_lshr_b32 s6, s6, 28
	s_load_b32 s30, s[0:1], 0x1c
	s_add_i32 s5, s5, s6
	s_waitcnt lgkmcnt(0)
	v_ashrrev_i32_e32 v2, 31, v1
	v_cmp_gt_i32_e32 vcc_lo, s28, v1
	s_ashr_i32 s16, s5, 4
	s_barrier
	s_add_i32 s16, s16, -1
	v_lshrrev_b32_e32 v3, 28, v2
	v_or_b32_e32 v2, 16, v1
	buffer_gl0_inv
	v_mul_lo_u16 v105, v140, 37
	v_lshlrev_b32_e32 v106, 5, v140
	v_add_nc_u32_e32 v4, v1, v3
	v_add_nc_u32_e32 v3, v2, v3
	s_mul_i32 s4, s34, s4
	v_lshrrev_b16 v105, 8, v105
	s_ashr_i32 s5, s4, 31
	v_ashrrev_i32_e32 v4, 4, v4
	v_ashrrev_i32_e32 v3, 4, v3
	s_lshl_b64 s[4:5], s[4:5], 2
	v_mul_lo_u16 v105, v105, 7
	s_add_u32 s35, s2, s4
	v_cndmask_b32_e32 v1, s16, v4, vcc_lo
	v_cmp_gt_i32_e32 vcc_lo, s28, v2
	s_addc_u32 s36, s3, s5
	s_mul_i32 s2, s15, s18
	v_sub_nc_u16 v105, v140, v105
	v_ashrrev_i32_e32 v2, 31, v1
	v_cndmask_b32_e32 v3, s16, v3, vcc_lo
	s_ashr_i32 s3, s2, 31
	v_lshl_or_b32 v125, v141, 9, v106
	s_lshl_b64 s[2:3], s[2:3], 1
	v_lshlrev_b64 v[1:2], 2, v[1:2]
	v_ashrrev_i32_e32 v4, 31, v3
	s_add_u32 s24, s20, s2
	s_addc_u32 s25, s21, s3
	s_lshl_b32 s4, s14, 4
	v_and_b32_e32 v105, 0xff, v105
	v_lshlrev_b64 v[3:4], 2, v[3:4]
	v_add_co_u32 v1, vcc_lo, s35, v1
	v_add_co_ci_u32_e32 v2, vcc_lo, s36, v2, vcc_lo
	s_ashr_i32 s5, s4, 31
	s_delay_alu instid0(VALU_DEP_3) | instskip(NEXT) | instid1(VALU_DEP_4)
	v_add_co_u32 v3, vcc_lo, s35, v3
	v_add_co_ci_u32_e32 v4, vcc_lo, s36, v4, vcc_lo
	s_lshl_b64 s[4:5], s[4:5], 2
	s_clause 0x1
	global_load_b32 v5, v[1:2], off
	global_load_b32 v6, v[3:4], off
	s_add_u32 s4, s35, s4
	s_addc_u32 s5, s36, s5
	s_or_b32 s6, s29, 16
	v_lshlrev_b32_e32 v3, 4, v0
	s_ashr_i32 s7, s6, 4
	s_cmp_lt_i32 s6, s28
	v_lshlrev_b32_e32 v215, 6, v105
	s_cselect_b32 s6, s7, s16
	s_delay_alu instid0(SALU_CYCLE_1) | instskip(NEXT) | instid1(SALU_CYCLE_1)
	s_ashr_i32 s7, s6, 31
	s_lshl_b64 s[6:7], s[6:7], 2
	s_delay_alu instid0(SALU_CYCLE_1) | instskip(SKIP_2) | instid1(SALU_CYCLE_1)
	s_add_u32 s6, s35, s6
	s_addc_u32 s7, s36, s7
	s_or_b32 s8, s29, 32
	s_ashr_i32 s9, s8, 4
	s_cmp_lt_i32 s8, s28
	s_cselect_b32 s8, s9, s16
	s_delay_alu instid0(SALU_CYCLE_1) | instskip(NEXT) | instid1(SALU_CYCLE_1)
	s_ashr_i32 s9, s8, 31
	s_lshl_b64 s[8:9], s[8:9], 2
	s_delay_alu instid0(SALU_CYCLE_1) | instskip(SKIP_2) | instid1(SALU_CYCLE_1)
	s_add_u32 s8, s35, s8
	s_addc_u32 s9, s36, s9
	s_or_b32 s10, s29, 48
	s_ashr_i32 s11, s10, 4
	s_cmp_lt_i32 s10, s28
	;; [unrolled: 10-line block ×4, first 2 shown]
	s_cselect_b32 s12, s13, s16
	s_delay_alu instid0(SALU_CYCLE_1) | instskip(NEXT) | instid1(SALU_CYCLE_1)
	s_ashr_i32 s13, s12, 31
	s_lshl_b64 s[12:13], s[12:13], 2
	s_delay_alu instid0(SALU_CYCLE_1)
	s_add_u32 s20, s35, s12
	s_addc_u32 s21, s36, s13
	s_clause 0x5
	s_load_b32 s39, s[4:5], 0x0
	s_load_b32 s38, s[6:7], 0x0
	;; [unrolled: 1-line block ×6, first 2 shown]
	s_waitcnt vmcnt(1)
	v_mad_i64_i32 v[1:2], null, v5, s17, 0
	v_and_b32_e32 v5, 0xf0, v3
	s_waitcnt vmcnt(0)
	v_mad_i64_i32 v[3:4], null, v6, s17, 0
	s_delay_alu instid0(VALU_DEP_2) | instskip(NEXT) | instid1(VALU_DEP_4)
	v_add_co_u32 v5, s4, s24, v5
	v_lshlrev_b64 v[1:2], 1, v[1:2]
	v_add_co_ci_u32_e64 v6, null, s25, 0, s4
	s_delay_alu instid0(VALU_DEP_4) | instskip(SKIP_1) | instid1(VALU_DEP_3)
	v_lshlrev_b64 v[3:4], 1, v[3:4]
	s_or_b32 s4, s29, 0x60
	v_add_co_u32 v121, vcc_lo, v5, v1
	s_delay_alu instid0(VALU_DEP_3) | instskip(NEXT) | instid1(VALU_DEP_3)
	v_add_co_ci_u32_e32 v122, vcc_lo, v6, v2, vcc_lo
	v_add_co_u32 v123, vcc_lo, v5, v3
	s_delay_alu instid0(VALU_DEP_4)
	v_add_co_ci_u32_e32 v124, vcc_lo, v6, v4, vcc_lo
	s_clause 0x19
	global_load_b128 v[89:92], v[121:122], off
	global_load_b128 v[93:96], v[121:122], off offset:256
	global_load_b128 v[97:100], v[123:124], off
	global_load_b128 v[101:104], v[123:124], off offset:256
	global_load_b128 v[81:84], v[121:122], off offset:512
	;; [unrolled: 1-line block ×23, first 2 shown]
	s_ashr_i32 s5, s4, 4
	s_cmp_lt_i32 s4, s28
	ds_load_b128 v[105:108], v215
	ds_load_b128 v[109:112], v215 offset:1024
	s_cselect_b32 s4, s5, s16
	ds_load_b128 v[113:116], v215 offset:2048
	ds_load_b128 v[117:120], v215 offset:3072
	s_ashr_i32 s5, s4, 31
	ds_load_b128 v[143:146], v215 offset:4096
	ds_load_b128 v[147:150], v215 offset:5120
	s_lshl_b64 s[6:7], s[4:5], 2
	ds_load_b128 v[151:154], v215 offset:6144
	ds_load_b128 v[155:158], v215 offset:7168
	s_add_u32 s18, s35, s6
	s_addc_u32 s19, s36, s7
	s_or_b32 s5, s29, 0x70
	ds_load_b128 v[159:162], v215 offset:8192
	ds_load_b128 v[163:166], v215 offset:9216
	s_ashr_i32 s6, s5, 4
	s_cmp_lt_i32 s5, s28
	s_clause 0x1
	global_load_b128 v[167:170], v[123:124], off offset:3072
	global_load_b128 v[171:174], v[123:124], off offset:3328
	s_cselect_b32 s8, s6, s16
	s_mov_b32 s4, 0
	s_ashr_i32 s9, s8, 31
	s_mov_b32 s5, s4
	s_lshl_b64 s[8:9], s[8:9], 2
	s_mov_b32 s6, s4
	s_add_u32 s20, s35, s8
	s_addc_u32 s21, s36, s9
	s_clause 0x1
	s_load_b32 s41, s[18:19], 0x0
	s_load_b32 s46, s[20:21], 0x0
	s_clause 0x3
	global_load_b128 v[175:178], v[121:122], off offset:3584
	global_load_b128 v[179:182], v[121:122], off offset:3840
	;; [unrolled: 1-line block ×4, first 2 shown]
	s_or_b32 s8, s29, 0x80
	s_mov_b32 s7, s4
	s_ashr_i32 s9, s8, 4
	s_cmp_lt_i32 s8, s28
	s_mov_b32 s8, s4
	s_cselect_b32 s10, s9, s16
	s_mov_b32 s9, s4
	s_ashr_i32 s11, s10, 31
	s_delay_alu instid0(SALU_CYCLE_1)
	s_lshl_b64 s[24:25], s[10:11], 2
	s_mov_b32 s10, s4
	s_add_u32 s24, s35, s24
	s_addc_u32 s25, s36, s25
	s_or_b32 s11, s29, 0x90
	s_load_b32 s47, s[24:25], 0x0
	s_ashr_i32 s26, s11, 4
	s_cmp_lt_i32 s11, s28
	s_mov_b32 s11, s4
	s_cselect_b32 s26, s26, s16
	v_mov_b32_e32 v136, s11
	s_ashr_i32 s27, s26, 31
	v_dual_mov_b32 v135, s10 :: v_dual_mov_b32 v134, s9
	v_dual_mov_b32 v133, s8 :: v_dual_mov_b32 v132, s7
	v_dual_mov_b32 v131, s6 :: v_dual_mov_b32 v130, s5
	v_mov_b32_e32 v129, s4
	s_lshl_b64 s[4:5], s[26:27], 2
	s_waitcnt lgkmcnt(0)
	s_mul_hi_i32 s7, s38, s17
	s_add_u32 s26, s35, s4
	s_addc_u32 s27, s36, s5
	s_or_b32 s4, s29, 0xa0
	s_load_b32 s40, s[26:27], 0x0
	s_ashr_i32 s5, s4, 4
	s_cmp_lt_i32 s4, s28
	s_cselect_b32 s4, s5, s16
	s_delay_alu instid0(SALU_CYCLE_1) | instskip(NEXT) | instid1(SALU_CYCLE_1)
	s_ashr_i32 s5, s4, 31
	s_lshl_b64 s[4:5], s[4:5], 2
	s_delay_alu instid0(SALU_CYCLE_1)
	s_add_u32 s42, s35, s4
	s_addc_u32 s43, s36, s5
	s_or_b32 s4, s29, 0xb0
	s_mul_hi_i32 s5, s39, s17
	s_ashr_i32 s6, s4, 4
	s_cmp_lt_i32 s4, s28
	s_mul_i32 s4, s39, s17
	s_cselect_b32 s8, s6, s16
	s_mul_i32 s6, s38, s17
	s_ashr_i32 s9, s8, 31
	s_delay_alu instid0(SALU_CYCLE_1)
	s_lshl_b64 s[10:11], s[8:9], 2
	s_mul_hi_i32 s9, s37, s17
	s_add_u32 s44, s35, s10
	s_addc_u32 s45, s36, s11
	s_or_b32 s10, s29, 0xc0
	s_mul_i32 s8, s37, s17
	s_ashr_i32 s37, s10, 4
	s_cmp_lt_i32 s10, s28
	s_mul_hi_i32 s11, s13, s17
	s_cselect_b32 s38, s37, s16
	s_mul_i32 s10, s13, s17
	s_ashr_i32 s39, s38, 31
	s_mul_hi_i32 s13, s12, s17
	s_lshl_b64 s[38:39], s[38:39], 2
	s_mul_i32 s12, s12, s17
	s_add_u32 s20, s35, s38
	s_addc_u32 s21, s36, s39
	s_load_b32 s39, s[42:43], 0x0
	s_or_b32 s18, s29, 0xd0
	s_mul_hi_i32 s27, s47, s17
	s_ashr_i32 s19, s18, 4
	s_cmp_lt_i32 s18, s28
	s_mul_i32 s18, s15, s17
	s_cselect_b32 s24, s19, s16
	s_mul_hi_i32 s19, s15, s17
	s_ashr_i32 s25, s24, 31
	s_mul_i32 s26, s47, s17
	s_lshl_b64 s[24:25], s[24:25], 2
	s_delay_alu instid0(SALU_CYCLE_1)
	s_add_u32 s24, s35, s24
	s_addc_u32 s25, s36, s25
	s_or_b32 s42, s29, 0xe0
	s_clause 0x2
	s_load_b32 s38, s[44:45], 0x0
	s_load_b32 s37, s[20:21], 0x0
	;; [unrolled: 1-line block ×3, first 2 shown]
	s_ashr_i32 s43, s42, 4
	s_cmp_lt_i32 s42, s28
	s_mul_hi_i32 s25, s46, s17
	s_cselect_b32 s42, s43, s16
	s_mul_i32 s24, s46, s17
	s_ashr_i32 s43, s42, 31
	s_mul_hi_i32 s21, s41, s17
	s_lshl_b64 s[42:43], s[42:43], 2
	s_mul_i32 s20, s41, s17
	s_add_u32 s42, s35, s42
	s_addc_u32 s43, s36, s43
	s_or_b32 s46, s29, 0xf0
	s_waitcnt lgkmcnt(0)
	s_mul_hi_i32 s41, s40, s17
	s_ashr_i32 s47, s46, 4
	s_cmp_lt_i32 s46, s28
	s_mul_i32 s40, s40, s17
	s_cselect_b32 s46, s47, s16
	s_mul_hi_i32 s45, s39, s17
	s_ashr_i32 s47, s46, 31
	s_mul_hi_i32 s51, s15, s17
	s_lshl_b64 s[46:47], s[46:47], 2
	s_mul_i32 s50, s15, s17
	s_add_u32 s46, s35, s46
	s_addc_u32 s47, s36, s47
	s_add_u32 s15, s22, s2
	s_addc_u32 s16, s23, s3
	v_add_co_u32 v216, s15, s15, v125
	s_delay_alu instid0(VALU_DEP_1) | instskip(SKIP_2) | instid1(VALU_DEP_2)
	v_add_co_ci_u32_e64 v217, null, s16, 0, s15
	s_lshl_b64 s[2:3], s[4:5], 1
	s_lshl_b64 s[4:5], s[6:7], 1
	v_add_co_u32 v125, vcc_lo, v216, s2
	s_delay_alu instid0(VALU_DEP_2)
	v_add_co_ci_u32_e32 v126, vcc_lo, s3, v217, vcc_lo
	v_add_co_u32 v199, vcc_lo, v216, s4
	s_lshl_b64 s[6:7], s[8:9], 1
	v_add_co_ci_u32_e32 v200, vcc_lo, s5, v217, vcc_lo
	s_lshl_b64 s[8:9], s[10:11], 1
	s_lshl_b64 s[10:11], s[12:13], 1
	;; [unrolled: 1-line block ×7, first 2 shown]
	s_mul_i32 s44, s39, s17
	s_mul_hi_i32 s39, s38, s17
	s_lshl_b64 s[26:27], s[44:45], 1
	s_mul_i32 s38, s38, s17
	s_mul_hi_i32 s49, s37, s17
	s_mul_i32 s48, s37, s17
	s_lshl_b64 s[36:37], s[38:39], 1
	s_lshl_b64 s[38:39], s[48:49], 1
	s_clause 0x1
	s_load_b32 s15, s[42:43], 0x0
	s_load_b32 s16, s[46:47], 0x0
	s_lshl_b64 s[40:41], s[50:51], 1
	s_waitcnt lgkmcnt(0)
	s_mul_hi_i32 s3, s15, s17
	s_mul_i32 s2, s15, s17
	s_mul_hi_i32 s5, s16, s17
	s_lshl_b64 s[2:3], s[2:3], 1
	s_mul_i32 s4, s16, s17
	s_waitcnt vmcnt(30)
	v_wmma_f32_16x16x16_f16 v[191:198], v[89:96], v[105:112], v[129:136]
	v_add_co_u32 v89, vcc_lo, v216, s6
	v_add_co_ci_u32_e32 v90, vcc_lo, s7, v217, vcc_lo
	v_add_co_u32 v91, vcc_lo, v216, s8
	v_add_co_ci_u32_e32 v92, vcc_lo, s9, v217, vcc_lo
	;; [unrolled: 2-line block ×5, first 2 shown]
	v_add_co_u32 v205, vcc_lo, v216, s20
	s_waitcnt vmcnt(28)
	v_wmma_f32_16x16x16_f16 v[129:136], v[97:104], v[105:112], v[129:136]
	v_add_co_ci_u32_e32 v206, vcc_lo, s21, v217, vcc_lo
	v_add_co_u32 v207, vcc_lo, v216, s22
	v_add_co_ci_u32_e32 v208, vcc_lo, s23, v217, vcc_lo
	v_add_co_u32 v209, vcc_lo, v216, s24
	s_waitcnt vmcnt(26)
	v_wmma_f32_16x16x16_f16 v[191:198], v[81:88], v[113:120], v[191:198]
	s_waitcnt vmcnt(24)
	v_wmma_f32_16x16x16_f16 v[129:136], v[73:80], v[113:120], v[129:136]
	v_add_co_ci_u32_e32 v210, vcc_lo, s25, v217, vcc_lo
	v_add_co_u32 v211, vcc_lo, v216, s26
	v_add_co_ci_u32_e32 v212, vcc_lo, s27, v217, vcc_lo
	v_add_co_u32 v213, vcc_lo, v216, s36
	s_waitcnt vmcnt(22)
	v_wmma_f32_16x16x16_f16 v[191:198], v[65:72], v[143:150], v[191:198]
	s_waitcnt vmcnt(20)
	v_wmma_f32_16x16x16_f16 v[129:136], v[57:64], v[143:150], v[129:136]
	v_add_co_ci_u32_e32 v214, vcc_lo, s37, v217, vcc_lo
	v_add_co_u32 v143, vcc_lo, v216, s38
	s_waitcnt vmcnt(18)
	v_wmma_f32_16x16x16_f16 v[191:198], v[49:56], v[151:158], v[191:198]
	s_waitcnt vmcnt(16)
	v_wmma_f32_16x16x16_f16 v[129:136], v[25:32], v[151:158], v[129:136]
	v_add_co_ci_u32_e32 v144, vcc_lo, s39, v217, vcc_lo
	s_clause 0x15
	global_load_b128 v[121:124], v[125:126], off
	global_load_b128 v[125:128], v[125:126], off offset:16
	global_load_b128 v[113:116], v[199:200], off
	global_load_b128 v[117:120], v[199:200], off offset:16
	;; [unrolled: 2-line block ×11, first 2 shown]
	s_waitcnt vmcnt(36)
	v_wmma_f32_16x16x16_f16 v[191:198], v[1:8], v[159:166], v[191:198]
	s_clause 0x1
	global_load_b128 v[1:4], v[213:214], off
	global_load_b128 v[5:8], v[213:214], off offset:16
	s_waitcnt vmcnt(36)
	v_wmma_f32_16x16x16_f16 v[129:136], v[9:16], v[159:166], v[129:136]
	s_clause 0x1
	global_load_b128 v[9:12], v[143:144], off
	global_load_b128 v[13:16], v[143:144], off offset:16
	ds_load_b128 v[143:146], v215 offset:10240
	ds_load_b128 v[147:150], v215 offset:11264
	;; [unrolled: 1-line block ×4, first 2 shown]
	v_add_co_u32 v199, vcc_lo, v216, s40
	v_add_co_ci_u32_e32 v200, vcc_lo, s41, v217, vcc_lo
	v_add_co_u32 v159, vcc_lo, v216, s2
	v_add_co_ci_u32_e32 v160, vcc_lo, s3, v217, vcc_lo
	s_lshl_b64 s[2:3], s[4:5], 1
	s_delay_alu instid0(SALU_CYCLE_1)
	v_add_co_u32 v161, vcc_lo, v216, s2
	v_add_co_ci_u32_e32 v162, vcc_lo, s3, v217, vcc_lo
	s_waitcnt vmcnt(36) lgkmcnt(2)
	v_wmma_f32_16x16x16_f16 v[191:198], v[41:48], v[143:150], v[191:198]
	s_waitcnt vmcnt(34)
	v_wmma_f32_16x16x16_f16 v[129:136], v[33:40], v[143:150], v[129:136]
	s_clause 0x3
	global_load_b128 v[33:36], v[199:200], off
	global_load_b128 v[37:40], v[199:200], off offset:16
	global_load_b128 v[41:44], v[159:160], off
	global_load_b128 v[45:48], v[159:160], off offset:16
	v_and_b32_e32 v143, 0xe0, v0
	v_mbcnt_lo_u32_b32 v159, -1, 0
	s_waitcnt vmcnt(36) lgkmcnt(0)
	v_wmma_f32_16x16x16_f16 v[191:198], v[17:24], v[151:158], v[191:198]
	s_clause 0x1
	global_load_b128 v[17:20], v[161:162], off
	global_load_b128 v[21:24], v[161:162], off offset:16
	s_waitcnt vmcnt(36)
	v_wmma_f32_16x16x16_f16 v[129:136], v[167:174], v[151:158], v[129:136]
	v_add_nc_u32_e32 v160, s29, v143
	ds_load_b128 v[143:146], v215 offset:14336
	ds_load_b128 v[147:150], v215 offset:15360
	v_xor_b32_e32 v151, 16, v159
	s_waitcnt vmcnt(0) lgkmcnt(0)
	s_barrier
	v_or_b32_e32 v152, v160, v138
	buffer_gl0_inv
	v_cmp_gt_i32_e32 vcc_lo, 32, v151
	v_or_b32_e32 v153, 2, v152
	v_or_b32_e32 v154, 4, v152
	;; [unrolled: 1-line block ×5, first 2 shown]
	v_cmp_gt_i32_e64 s2, s28, v153
	v_cmp_gt_i32_e64 s3, s28, v154
	;; [unrolled: 1-line block ×3, first 2 shown]
	v_or_b32_e32 v158, 12, v152
	v_cmp_gt_i32_e64 s5, s28, v156
	v_cmp_gt_i32_e64 s6, s28, v157
	v_wmma_f32_16x16x16_f16 v[191:198], v[175:182], v[143:150], v[191:198]
	v_wmma_f32_16x16x16_f16 v[129:136], v[183:190], v[143:150], v[129:136]
	v_cndmask_b32_e32 v151, v159, v151, vcc_lo
	v_cmp_gt_i32_e32 vcc_lo, s28, v152
	v_or_b32_e32 v159, 14, v152
	v_dual_mul_f32 v149, s30, v192 :: v_dual_mul_f32 v150, s30, v191
	v_dual_mul_f32 v147, s30, v194 :: v_dual_mul_f32 v148, s30, v193
	;; [unrolled: 1-line block ×3, first 2 shown]
	s_delay_alu instid0(VALU_DEP_3) | instskip(NEXT) | instid1(VALU_DEP_4)
	v_cndmask_b32_e32 v150, 0xff7fffff, v150, vcc_lo
	v_cndmask_b32_e64 v149, 0xff7fffff, v149, s2
	v_mul_f32_e32 v146, s30, v195
	v_cndmask_b32_e64 v148, 0xff7fffff, v148, s3
	v_cndmask_b32_e64 v147, 0xff7fffff, v147, s4
	v_or_b32_e32 v160, 16, v152
	v_max3_f32 v149, v150, 0xff7fffff, v149
	v_or_b32_e32 v161, 18, v152
	v_dual_mul_f32 v143, s30, v198 :: v_dual_mul_f32 v144, s30, v197
	v_cndmask_b32_e64 v146, 0xff7fffff, v146, s5
	v_cndmask_b32_e64 v145, 0xff7fffff, v145, s6
	v_max3_f32 v147, v149, v148, v147
	v_cmp_gt_i32_e64 s7, s28, v158
	v_cmp_gt_i32_e64 s8, s28, v159
	v_or_b32_e32 v162, 20, v152
	v_or_b32_e32 v163, 22, v152
	v_mul_f32_e32 v175, s30, v129
	v_cndmask_b32_e64 v144, 0xff7fffff, v144, s7
	v_cndmask_b32_e64 v143, 0xff7fffff, v143, s8
	v_max3_f32 v145, v147, v146, v145
	v_cmp_gt_i32_e64 s9, s28, v160
	v_cmp_gt_i32_e64 s10, s28, v161
	v_or_b32_e32 v164, 24, v152
	v_or_b32_e32 v165, 26, v152
	v_dual_mul_f32 v172, s30, v132 :: v_dual_mul_f32 v173, s30, v131
	v_cndmask_b32_e64 v146, 0xff7fffff, v175, s9
	v_cndmask_b32_e64 v147, 0xff7fffff, v174, s10
	v_max3_f32 v143, v145, v144, v143
	v_cmp_gt_i32_e64 s11, s28, v162
	v_cmp_gt_i32_e64 s12, s28, v163
	v_or_b32_e32 v166, 28, v152
	v_or_b32_e32 v167, 30, v152
	v_dual_mul_f32 v170, s30, v134 :: v_dual_mul_f32 v171, s30, v133
	v_cndmask_b32_e64 v144, 0xff7fffff, v173, s11
	v_cndmask_b32_e64 v145, 0xff7fffff, v172, s12
	v_max3_f32 v143, v143, v146, v147
	v_cmp_gt_i32_e64 s13, s28, v164
	v_cmp_gt_i32_e64 s15, s28, v165
	v_dual_mul_f32 v168, s30, v136 :: v_dual_mul_f32 v169, s30, v135
	s_delay_alu instid0(VALU_DEP_4) | instskip(NEXT) | instid1(VALU_DEP_4)
	v_max3_f32 v143, v143, v144, v145
	v_cndmask_b32_e64 v146, 0xff7fffff, v171, s13
	s_delay_alu instid0(VALU_DEP_4) | instskip(SKIP_3) | instid1(VALU_DEP_4)
	v_cndmask_b32_e64 v147, 0xff7fffff, v170, s15
	v_cmp_gt_i32_e64 s16, s28, v166
	v_cmp_gt_i32_e64 s17, s28, v167
	v_lshlrev_b32_e32 v160, 2, v151
	v_max3_f32 v143, v143, v146, v147
	s_delay_alu instid0(VALU_DEP_4) | instskip(NEXT) | instid1(VALU_DEP_4)
	v_cndmask_b32_e64 v144, 0xff7fffff, v169, s16
	v_cndmask_b32_e64 v145, 0xff7fffff, v168, s17
	s_delay_alu instid0(VALU_DEP_1) | instskip(SKIP_3) | instid1(VALU_DEP_1)
	v_max3_f32 v143, v143, v144, v145
	ds_bpermute_b32 v144, v160, v143
	s_waitcnt lgkmcnt(0)
	v_max_f32_e32 v144, v144, v144
	v_max_f32_e32 v159, v143, v144
	s_delay_alu instid0(VALU_DEP_1) | instskip(SKIP_4) | instid1(VALU_DEP_4)
	v_fma_f32 v145, s30, v193, -v159
	v_fma_f32 v146, s30, v194, -v159
	;; [unrolled: 1-line block ×5, first 2 shown]
	v_dual_mul_f32 v145, 0x3fb8aa3b, v145 :: v_dual_mul_f32 v146, 0x3fb8aa3b, v146
	s_delay_alu instid0(VALU_DEP_4) | instskip(SKIP_1) | instid1(VALU_DEP_4)
	v_mul_f32_e32 v132, 0x3fb8aa3b, v132
	v_fma_f32 v148, s30, v195, -v159
	v_mul_f32_e32 v144, 0x3fb8aa3b, v144
	s_delay_alu instid0(VALU_DEP_4)
	v_exp_f32_e32 v145, v145
	v_exp_f32_e32 v150, v146
	v_fma_f32 v149, s30, v196, -v159
	v_mul_f32_e32 v148, 0x3fb8aa3b, v148
	v_exp_f32_e32 v147, v144
	v_fma_f32 v134, s30, v134, -v159
	v_fma_f32 v151, s30, v197, -v159
	v_mul_f32_e32 v149, 0x3fb8aa3b, v149
	v_exp_f32_e32 v148, v148
	v_fma_f32 v152, s30, v198, -v159
	v_cndmask_b32_e64 v146, 0, v145, s3
	v_cndmask_b32_e64 v145, 0, v150, s4
	v_dual_mul_f32 v143, 0x3fb8aa3b, v143 :: v_dual_mul_f32 v134, 0x3fb8aa3b, v134
	v_mul_f32_e32 v151, 0x3fb8aa3b, v151
	v_exp_f32_e32 v149, v149
	v_fma_f32 v129, s30, v129, -v159
	s_delay_alu instid0(VALU_DEP_3)
	v_exp_f32_e32 v143, v143
	v_mul_f32_e32 v150, 0x3fb8aa3b, v152
	v_exp_f32_e32 v151, v151
	v_cndmask_b32_e64 v148, 0, v148, s5
	v_fma_f32 v130, s30, v130, -v159
	v_mul_f32_e32 v129, 0x3fb8aa3b, v129
	v_exp_f32_e32 v153, v150
	v_fma_f32 v131, s30, v131, -v159
	v_fma_f32 v133, s30, v133, -v159
	v_mul_f32_e32 v130, 0x3fb8aa3b, v130
	v_cndmask_b32_e32 v144, 0, v143, vcc_lo
	v_cndmask_b32_e64 v143, 0, v147, s2
	v_exp_f32_e32 v129, v129
	v_cndmask_b32_e64 v150, 0, v151, s7
	v_mul_f32_e32 v131, 0x3fb8aa3b, v131
	v_add_f32_e32 v147, 0, v144
	v_exp_f32_e32 v130, v130
	v_mul_f32_e32 v133, 0x3fb8aa3b, v133
	v_exp_f32_e32 v132, v132
	v_exp_f32_e32 v131, v131
	v_add_f32_e32 v147, v147, v143
	v_cmp_gt_u32_e64 s2, 16, v142
	v_exp_f32_e32 v133, v133
	s_delay_alu instid0(VALU_DEP_2)
	v_add_f32_e32 v147, v147, v146
	s_waitcnt_depctr 0xfff
	v_cndmask_b32_e64 v154, 0, v131, s11
	v_add_f32_e32 v152, v147, v145
	v_cndmask_b32_e64 v147, 0, v149, s6
	v_exp_f32_e32 v131, v134
	v_cndmask_b32_e64 v156, 0, v133, s13
	s_delay_alu instid0(VALU_DEP_3) | instskip(SKIP_1) | instid1(VALU_DEP_2)
	v_add_f32_e32 v149, v152, v148
	v_cndmask_b32_e64 v152, 0, v129, s9
	v_add_f32_e32 v151, v149, v147
	v_cndmask_b32_e64 v149, 0, v153, s8
	v_cndmask_b32_e64 v153, 0, v132, s12
	v_fma_f32 v132, s30, v136, -v159
	s_delay_alu instid0(TRANS32_DEP_1) | instskip(NEXT) | instid1(VALU_DEP_2)
	v_cndmask_b32_e64 v155, 0, v131, s15
	v_dual_add_f32 v151, v151, v150 :: v_dual_mul_f32 v132, 0x3fb8aa3b, v132
	s_delay_alu instid0(VALU_DEP_1) | instskip(SKIP_2) | instid1(VALU_DEP_4)
	v_add_f32_e32 v129, v151, v149
	v_cndmask_b32_e64 v151, 0, v130, s10
	v_fma_f32 v130, s30, v135, -v159
	v_exp_f32_e32 v131, v132
	s_delay_alu instid0(VALU_DEP_1) | instskip(NEXT) | instid1(VALU_DEP_1)
	v_dual_add_f32 v129, v129, v152 :: v_dual_mul_f32 v130, 0x3fb8aa3b, v130
	v_add_f32_e32 v129, v129, v151
	s_delay_alu instid0(VALU_DEP_2) | instskip(SKIP_3) | instid1(VALU_DEP_1)
	v_exp_f32_e32 v130, v130
	s_waitcnt_depctr 0xfff
	v_cndmask_b32_e64 v157, 0, v131, s17
	v_add_f32_e32 v129, v129, v154
	v_add_f32_e32 v129, v129, v153
	v_cndmask_b32_e64 v158, 0, v130, s16
	s_delay_alu instid0(VALU_DEP_2) | instskip(NEXT) | instid1(VALU_DEP_1)
	v_add_f32_e32 v129, v129, v156
	v_add_f32_e32 v129, v129, v155
	s_delay_alu instid0(VALU_DEP_1) | instskip(NEXT) | instid1(VALU_DEP_1)
	v_add_f32_e32 v129, v129, v158
	v_add_f32_e32 v129, v129, v157
	ds_bpermute_b32 v130, v160, v129
	s_and_saveexec_b32 s3, s2
	s_cbranch_execz .LBB236_12
; %bb.11:
	v_mul_u32_u24_e32 v131, 0x44, v141
	s_delay_alu instid0(VALU_DEP_1) | instskip(SKIP_1) | instid1(VALU_DEP_1)
	v_lshl_add_u32 v131, v140, 2, v131
	s_waitcnt lgkmcnt(0)
	v_dual_add_f32 v129, v129, v130 :: v_dual_add_nc_u32 v130, 0x4000, v131
	ds_store_2addr_b32 v130, v159, v129 offset1:136
.LBB236_12:
	s_or_b32 exec_lo, exec_lo, s3
	v_lshlrev_b32_e32 v129, 2, v140
	s_load_b32 s35, s[0:1], 0x94
	s_waitcnt lgkmcnt(0)
	s_barrier
	buffer_gl0_inv
	v_add_nc_u32_e32 v135, 0x4000, v129
	v_cmp_eq_u32_e32 vcc_lo, 1, v141
	v_cmp_eq_u32_e64 s3, 2, v141
	v_cmp_eq_u32_e64 s4, 3, v141
	;; [unrolled: 1-line block ×3, first 2 shown]
	ds_load_2addr_b32 v[129:130], v135 offset1:17
	ds_load_2addr_b32 v[131:132], v135 offset0:34 offset1:51
	ds_load_2addr_b32 v[133:134], v135 offset0:68 offset1:85
	;; [unrolled: 1-line block ×3, first 2 shown]
	v_cmp_eq_u32_e64 s6, 5, v141
	v_cmp_eq_u32_e64 s7, 7, v141
	s_waitcnt lgkmcnt(3)
	v_max3_f32 v136, v129, 0xff7fffff, v130
	s_waitcnt lgkmcnt(2)
	s_delay_alu instid0(VALU_DEP_1) | instskip(SKIP_1) | instid1(VALU_DEP_1)
	v_max3_f32 v136, v136, v131, v132
	s_waitcnt lgkmcnt(1)
	v_max3_f32 v136, v136, v133, v134
	s_waitcnt lgkmcnt(0)
	s_delay_alu instid0(VALU_DEP_1) | instskip(NEXT) | instid1(VALU_DEP_1)
	v_max3_f32 v136, v136, v159, v160
	v_sub_f32_e32 v142, v130, v136
	ds_load_2addr_b32 v[161:162], v135 offset0:136 offset1:153
	v_sub_f32_e32 v164, v132, v136
	v_mul_f32_e32 v142, 0x3fb8aa3b, v142
	s_delay_alu instid0(VALU_DEP_2) | instskip(NEXT) | instid1(VALU_DEP_2)
	v_mul_f32_e32 v164, 0x3fb8aa3b, v164
	v_exp_f32_e32 v166, v142
	v_sub_f32_e32 v129, v129, v136
	s_delay_alu instid0(VALU_DEP_2) | instskip(NEXT) | instid1(VALU_DEP_1)
	v_exp_f32_e32 v164, v164
	v_mul_f32_e32 v163, 0x3fb8aa3b, v129
	ds_load_2addr_b32 v[129:130], v135 offset0:170 offset1:187
	v_exp_f32_e32 v163, v163
	s_waitcnt lgkmcnt(1)
	s_waitcnt_depctr 0xfff
	v_fma_f32 v142, v163, v161, 0
	v_sub_f32_e32 v161, v134, v136
	s_delay_alu instid0(VALU_DEP_2) | instskip(NEXT) | instid1(VALU_DEP_1)
	v_dual_fmac_f32 v142, v166, v162 :: v_dual_sub_f32 v131, v131, v136
	v_mul_f32_e32 v165, 0x3fb8aa3b, v131
	ds_load_2addr_b32 v[131:132], v135 offset0:204 offset1:221
	v_exp_f32_e32 v165, v165
	s_waitcnt lgkmcnt(1)
	s_waitcnt_depctr 0xfff
	v_fmac_f32_e32 v142, v165, v129
	v_sub_f32_e32 v133, v133, v136
	v_sub_f32_e32 v129, v160, v136
	s_delay_alu instid0(VALU_DEP_2) | instskip(NEXT) | instid1(VALU_DEP_2)
	v_dual_fmac_f32 v142, v164, v130 :: v_dual_mul_f32 v167, 0x3fb8aa3b, v133
	v_mul_f32_e32 v129, 0x3fb8aa3b, v129
	ds_load_2addr_b32 v[133:134], v135 offset0:238 offset1:255
	v_cndmask_b32_e32 v130, v163, v166, vcc_lo
	s_waitcnt lgkmcnt(0)
	s_barrier
	v_exp_f32_e32 v162, v129
	v_sub_f32_e32 v135, v159, v136
	v_mul_f32_e32 v159, 0x3fb8aa3b, v161
	v_exp_f32_e32 v161, v167
	buffer_gl0_inv
	v_exp_f32_e32 v159, v159
	v_fmac_f32_e32 v142, v161, v131
	s_waitcnt_depctr 0xfff
	v_dual_mul_f32 v135, 0x3fb8aa3b, v135 :: v_dual_fmac_f32 v142, v159, v132
	s_delay_alu instid0(VALU_DEP_1) | instskip(SKIP_2) | instid1(VALU_DEP_1)
	v_exp_f32_e32 v160, v135
	s_waitcnt_depctr 0xfff
	v_dual_fmac_f32 v142, v160, v133 :: v_dual_lshlrev_b32 v133, 6, v140
	v_fmac_f32_e32 v142, v162, v134
	s_delay_alu instid0(VALU_DEP_2) | instskip(NEXT) | instid1(VALU_DEP_2)
	v_lshl_or_b32 v135, v141, 11, v133
	v_add_f32_e32 v134, 0x358637bd, v142
	s_delay_alu instid0(VALU_DEP_1) | instskip(SKIP_1) | instid1(VALU_DEP_2)
	v_div_scale_f32 v167, null, v134, v134, 1.0
	v_div_scale_f32 v163, vcc_lo, 1.0, v134, 1.0
	v_rcp_f32_e32 v168, v167
	s_waitcnt_depctr 0xfff
	v_fma_f32 v129, -v167, v168, 1.0
	s_delay_alu instid0(VALU_DEP_1) | instskip(SKIP_2) | instid1(VALU_DEP_2)
	v_fmac_f32_e32 v168, v129, v168
	v_cndmask_b32_e64 v129, v130, v165, s3
	v_cmp_eq_u32_e64 s3, 6, v141
	v_cndmask_b32_e64 v130, v129, v164, s4
	v_lshlrev_b32_e32 v129, 2, v138
	v_mul_f32_e32 v165, v163, v168
	s_delay_alu instid0(VALU_DEP_3) | instskip(NEXT) | instid1(VALU_DEP_3)
	v_cndmask_b32_e64 v161, v130, v161, s5
	v_or_b32_e32 v130, 1, v129
	s_delay_alu instid0(VALU_DEP_3)
	v_fma_f32 v131, -v167, v165, v163
	v_or_b32_e32 v132, 2, v129
	v_cmp_eq_u32_e64 s4, 1, v129
	v_cndmask_b32_e64 v141, v161, v159, s6
	v_cmp_eq_u32_e64 s9, 1, v130
	v_fmac_f32_e32 v165, v131, v168
	v_or_b32_e32 v131, 3, v129
	v_cmp_eq_u32_e64 s10, 1, v132
	v_cndmask_b32_e64 v141, v141, v160, s3
	v_cmp_eq_u32_e64 s5, 2, v129
	v_fma_f32 v159, -v167, v165, v163
	v_cmp_eq_u32_e64 s11, 1, v131
	v_cmp_eq_u32_e64 s16, 2, v131
	v_cndmask_b32_e64 v141, v141, v162, s7
	v_cmp_eq_u32_e64 s12, 2, v130
	v_div_fmas_f32 v159, v159, v168, v165
	v_cmp_eq_u32_e64 s18, 3, v131
	v_cmp_eq_u32_e32 vcc_lo, 3, v129
	v_cmp_eq_u32_e64 s13, 3, v130
	v_cmp_eq_u32_e64 s15, 2, v132
	v_div_fixup_f32 v159, v159, v134, 1.0
	v_lshl_or_b32 v134, v138, 4, v135
	v_cmp_eq_u32_e64 s22, 4, v131
	v_cmp_eq_u32_e64 s3, 4, v129
	;; [unrolled: 1-line block ×3, first 2 shown]
	v_mul_f32_e32 v141, v141, v159
	v_cmp_eq_u32_e64 s19, 4, v130
	v_cmp_eq_u32_e64 s24, 5, v131
	;; [unrolled: 1-line block ×4, first 2 shown]
	v_fma_mixlo_f16 v159, v141, v144, 0
	v_fma_mixlo_f16 v160, v141, v146, 0
	;; [unrolled: 1-line block ×8, first 2 shown]
	v_fma_mixhi_f16 v159, v141, v143, 0
	v_fma_mixhi_f16 v160, v141, v145, 0
	;; [unrolled: 1-line block ×8, first 2 shown]
	ds_store_b128 v134, v[159:162]
	ds_store_b128 v134, v[163:166] offset:1024
	s_waitcnt lgkmcnt(0)
	s_barrier
	buffer_gl0_inv
	ds_load_b128 v[143:146], v135
	ds_load_b128 v[147:150], v135 offset:16
	ds_load_b128 v[151:154], v135 offset:1024
	;; [unrolled: 1-line block ×3, first 2 shown]
	v_cmp_eq_u32_e64 s21, 4, v132
	v_cmp_eq_u32_e64 s27, 6, v131
	v_cmp_eq_u32_e64 s7, 6, v129
	v_cmp_eq_u32_e64 s23, 5, v132
	v_cmp_eq_u32_e64 s25, 6, v130
	v_cmp_eq_u32_e64 s29, 7, v131
	v_cmp_eq_u32_e64 s8, 7, v129
	v_cmp_eq_u32_e64 s26, 6, v132
	v_cmp_eq_u32_e64 s30, 7, v130
	v_cmp_eq_u32_e64 s28, 7, v132
	s_waitcnt lgkmcnt(3)
	v_lshrrev_b32_e32 v141, 16, v143
	s_waitcnt lgkmcnt(2)
	v_lshrrev_b32_e32 v162, 16, v147
	v_lshrrev_b32_e32 v159, 16, v144
	;; [unrolled: 1-line block ×3, first 2 shown]
	s_waitcnt lgkmcnt(1)
	v_lshrrev_b32_e32 v166, 16, v151
	v_cndmask_b32_e64 v174, v143, v141, s4
	v_cndmask_b32_e64 v176, v143, v141, s9
	;; [unrolled: 1-line block ×5, first 2 shown]
	s_waitcnt lgkmcnt(0)
	v_lshrrev_b32_e32 v170, 16, v155
	v_cndmask_b32_e64 v175, v147, v162, s4
	v_cndmask_b32_e64 v177, v147, v162, s9
	;; [unrolled: 1-line block ×19, first 2 shown]
	v_lshrrev_b32_e32 v160, 16, v145
	v_lshrrev_b32_e32 v164, 16, v149
	;; [unrolled: 1-line block ×4, first 2 shown]
	v_cndmask_b32_e64 v176, v178, v144, s15
	v_cndmask_b32_e64 v177, v179, v148, s15
	v_cndmask_b32_e64 v144, v147, v152, s5
	v_cndmask_b32_e64 v147, v162, v156, s5
	v_cndmask_b32_e64 v148, v180, v152, s12
	v_cndmask_b32_e64 v162, v182, v152, s15
	v_cndmask_b32_e64 v151, v151, v152, s16
	v_cndmask_b32_e64 v152, v155, v156, s16
	v_cndmask_b32_e32 v155, v166, v159, vcc_lo
	v_cndmask_b32_e32 v166, v170, v163, vcc_lo
	v_cndmask_b32_e64 v170, v174, v159, s13
	v_cndmask_b32_e64 v174, v175, v163, s13
	;; [unrolled: 1-line block ×6, first 2 shown]
	v_cndmask_b32_e32 v144, v144, v167, vcc_lo
	v_cndmask_b32_e32 v147, v147, v171, vcc_lo
	v_cndmask_b32_e64 v148, v148, v167, s13
	v_cndmask_b32_e64 v155, v155, v145, s3
	;; [unrolled: 1-line block ×7, first 2 shown]
	v_lshrrev_b32_e32 v161, 16, v146
	v_lshrrev_b32_e32 v165, 16, v150
	;; [unrolled: 1-line block ×4, first 2 shown]
	v_cndmask_b32_e64 v170, v175, v145, s21
	v_cndmask_b32_e64 v174, v176, v149, s21
	;; [unrolled: 1-line block ×22, first 2 shown]
	v_lshrrev_b32_e32 v169, 16, v154
	v_cndmask_b32_e64 v160, v163, v146, s26
	v_cndmask_b32_e64 v163, v166, v150, s26
	;; [unrolled: 1-line block ×9, first 2 shown]
	v_perm_b32 v146, v143, v141, 0x5040100
	v_cndmask_b32_e64 v141, v183, v156, s15
	v_cndmask_b32_e64 v143, v181, v156, s12
	;; [unrolled: 1-line block ×4, first 2 shown]
	v_perm_b32 v144, v159, v149, 0x5040100
	v_cndmask_b32_e64 v149, v162, v167, s17
	v_cndmask_b32_e64 v151, v151, v167, s18
	;; [unrolled: 1-line block ×15, first 2 shown]
	v_lshrrev_b32_e32 v173, 16, v158
	v_cndmask_b32_e64 v149, v149, v154, s26
	v_cndmask_b32_e64 v151, v151, v154, s27
	;; [unrolled: 1-line block ×13, first 2 shown]
	v_perm_b32 v145, v160, v155, 0x5040100
	v_perm_b32 v143, v148, v147, 0x5040100
	;; [unrolled: 1-line block ×6, first 2 shown]
	s_mul_i32 s7, s33, 7
	s_mov_b32 s3, exec_lo
	ds_store_b128 v134, v[143:146]
	ds_store_b128 v134, v[147:150] offset:1024
	v_cmpx_gt_u32_e32 7, v0
	s_cbranch_execz .LBB236_14
; %bb.13:
	s_mul_i32 s4, s7, s34
	s_load_b128 s[8:11], s[0:1], 0x58
	v_add3_u32 v143, s4, s31, v140
	s_delay_alu instid0(VALU_DEP_1) | instskip(NEXT) | instid1(VALU_DEP_1)
	v_mad_u64_u32 v[140:141], null, v143, s35, s[14:15]
	v_ashrrev_i32_e32 v141, 31, v140
	s_delay_alu instid0(VALU_DEP_1) | instskip(SKIP_1) | instid1(VALU_DEP_1)
	v_lshlrev_b64 v[140:141], 2, v[140:141]
	s_waitcnt lgkmcnt(0)
	v_add_co_u32 v143, vcc_lo, s10, v140
	s_delay_alu instid0(VALU_DEP_2)
	v_add_co_ci_u32_e32 v144, vcc_lo, s11, v141, vcc_lo
	v_add_co_u32 v140, vcc_lo, s8, v140
	v_add_co_ci_u32_e32 v141, vcc_lo, s9, v141, vcc_lo
	global_store_b32 v[143:144], v136, off
	global_store_b32 v[140:141], v142, off
.LBB236_14:
	s_or_b32 exec_lo, exec_lo, s3
	s_waitcnt lgkmcnt(0)
	s_waitcnt_vscnt null, 0x0
	s_barrier
	buffer_gl0_inv
	ds_load_b128 v[148:151], v133
	ds_load_b128 v[152:155], v133 offset:16
	ds_load_b128 v[160:163], v133 offset:1040
	;; [unrolled: 1-line block ×5, first 2 shown]
	v_cmp_eq_u32_e32 vcc_lo, 1, v132
	v_mov_b32_e32 v140, 0
	ds_load_b128 v[176:179], v133 offset:3088
	ds_load_b128 v[172:175], v133 offset:3072
	;; [unrolled: 1-line block ×4, first 2 shown]
	v_cmp_eq_u32_e64 s3, 1, v129
	v_cmp_eq_u32_e64 s4, 1, v131
	v_cmp_eq_u32_e64 s5, 1, v130
	v_mov_b32_e32 v141, v140
	v_mov_b32_e32 v142, v140
	;; [unrolled: 1-line block ×7, first 2 shown]
	v_cmp_eq_u32_e64 s6, 2, v129
	s_waitcnt lgkmcnt(8)
	s_delay_alu instid0(VALU_DEP_2)
	v_wmma_f32_16x16x16_f16 v[140:147], v[121:128], v[148:155], v[140:147]
	ds_load_b128 v[125:128], v133 offset:5136
	ds_load_b128 v[121:124], v133 offset:5120
	s_waitcnt lgkmcnt(8)
	v_wmma_f32_16x16x16_f16 v[140:147], v[113:120], v[156:163], v[140:147]
	ds_load_b128 v[117:120], v133 offset:6160
	ds_load_b128 v[113:116], v133 offset:6144
	s_waitcnt lgkmcnt(8)
	;; [unrolled: 4-line block ×11, first 2 shown]
	s_barrier
	buffer_gl0_inv
	v_wmma_f32_16x16x16_f16 v[140:147], v[1:8], v[73:80], v[140:147]
	s_delay_alu instid0(VALU_DEP_1) | instskip(NEXT) | instid1(VALU_DEP_1)
	v_wmma_f32_16x16x16_f16 v[140:147], v[9:16], v[65:72], v[140:147]
	v_wmma_f32_16x16x16_f16 v[140:147], v[33:40], v[57:64], v[140:147]
	s_delay_alu instid0(VALU_DEP_1) | instskip(NEXT) | instid1(VALU_DEP_1)
	v_wmma_f32_16x16x16_f16 v[140:147], v[41:48], v[49:56], v[140:147]
	v_wmma_f32_16x16x16_f16 v[140:147], v[17:24], v[25:32], v[140:147]
	s_delay_alu instid0(VALU_DEP_1) | instskip(NEXT) | instid1(VALU_DEP_2)
	v_cvt_f16_f32_e64 v1, v140
	v_cvt_f16_f32_e64 v2, v141
	s_delay_alu instid0(VALU_DEP_3) | instskip(NEXT) | instid1(VALU_DEP_4)
	v_cvt_f16_f32_e64 v3, v142
	v_cvt_f16_f32_e64 v4, v143
	;; [unrolled: 1-line block ×6, first 2 shown]
	v_pack_b32_f16 v1, v1, v2
	v_pack_b32_f16 v2, v3, v4
	;; [unrolled: 1-line block ×3, first 2 shown]
	s_delay_alu instid0(VALU_DEP_4)
	v_pack_b32_f16 v4, v7, v8
	ds_store_b128 v134, v[1:4]
	s_waitcnt lgkmcnt(0)
	s_barrier
	buffer_gl0_inv
	ds_load_b128 v[1:4], v135
	ds_load_b128 v[5:8], v135 offset:16
	s_waitcnt lgkmcnt(1)
	v_lshrrev_b32_e32 v9, 16, v1
	s_waitcnt lgkmcnt(0)
	v_lshrrev_b32_e32 v13, 16, v5
	v_lshrrev_b32_e32 v10, 16, v2
	;; [unrolled: 1-line block ×4, first 2 shown]
	v_cndmask_b32_e64 v17, v1, v9, s3
	v_cndmask_b32_e64 v18, v5, v13, s3
	;; [unrolled: 1-line block ×3, first 2 shown]
	v_cmp_eq_u32_e64 s3, 2, v130
	v_cndmask_b32_e64 v20, v5, v13, s5
	v_cndmask_b32_e32 v21, v1, v9, vcc_lo
	v_cndmask_b32_e32 v22, v5, v13, vcc_lo
	v_cndmask_b32_e64 v1, v1, v9, s4
	v_cndmask_b32_e64 v5, v5, v13, s4
	v_cmp_eq_u32_e32 vcc_lo, 2, v132
	v_cmp_eq_u32_e64 s4, 2, v131
	v_cndmask_b32_e64 v9, v17, v2, s6
	v_cndmask_b32_e64 v13, v18, v6, s6
	;; [unrolled: 1-line block ×4, first 2 shown]
	v_cndmask_b32_e32 v19, v21, v2, vcc_lo
	v_cmp_eq_u32_e64 s3, 3, v132
	v_cndmask_b32_e32 v20, v22, v6, vcc_lo
	v_cndmask_b32_e64 v1, v1, v2, s4
	v_cmp_eq_u32_e32 vcc_lo, 3, v131
	v_cmp_eq_u32_e64 s5, 3, v129
	v_cndmask_b32_e64 v2, v5, v6, s4
	v_cmp_eq_u32_e64 s4, 3, v130
	v_cmp_eq_u32_e64 s6, 4, v129
	v_cndmask_b32_e32 v1, v1, v10, vcc_lo
	v_cndmask_b32_e64 v5, v9, v10, s5
	v_cndmask_b32_e64 v6, v13, v14, s5
	;; [unrolled: 1-line block ×3, first 2 shown]
	v_cmp_eq_u32_e64 s5, 4, v130
	v_cndmask_b32_e64 v13, v18, v14, s4
	v_cndmask_b32_e64 v17, v19, v10, s3
	;; [unrolled: 1-line block ×3, first 2 shown]
	v_cndmask_b32_e32 v2, v2, v14, vcc_lo
	v_cmp_eq_u32_e32 vcc_lo, 4, v132
	v_cmp_eq_u32_e64 s4, 4, v131
	v_lshrrev_b32_e32 v15, 16, v7
	v_cndmask_b32_e64 v5, v5, v3, s6
	v_cndmask_b32_e64 v6, v6, v7, s6
	v_cndmask_b32_e32 v14, v18, v7, vcc_lo
	v_cndmask_b32_e64 v9, v9, v3, s5
	v_cndmask_b32_e64 v10, v13, v7, s5
	v_cndmask_b32_e32 v13, v17, v3, vcc_lo
	v_cmp_eq_u32_e64 s3, 5, v132
	v_cndmask_b32_e64 v1, v1, v3, s4
	v_cmp_eq_u32_e32 vcc_lo, 5, v131
	v_cmp_eq_u32_e64 s5, 5, v129
	v_cndmask_b32_e64 v2, v2, v7, s4
	v_cmp_eq_u32_e64 s4, 5, v130
	v_cmp_eq_u32_e64 s6, 6, v129
	v_lshrrev_b32_e32 v12, 16, v4
	v_cndmask_b32_e64 v3, v5, v11, s5
	v_cndmask_b32_e64 v5, v6, v15, s5
	;; [unrolled: 1-line block ×3, first 2 shown]
	v_cmp_eq_u32_e64 s5, 6, v130
	v_cndmask_b32_e64 v7, v10, v15, s4
	v_cndmask_b32_e64 v9, v13, v11, s3
	;; [unrolled: 1-line block ×3, first 2 shown]
	v_cndmask_b32_e32 v1, v1, v11, vcc_lo
	v_cndmask_b32_e32 v2, v2, v15, vcc_lo
	v_cmp_eq_u32_e32 vcc_lo, 6, v132
	v_cmp_eq_u32_e64 s3, 6, v131
	v_lshrrev_b32_e32 v16, 16, v8
	v_cndmask_b32_e64 v3, v3, v4, s6
	v_cndmask_b32_e64 v5, v5, v8, s6
	v_cndmask_b32_e32 v9, v9, v4, vcc_lo
	v_cndmask_b32_e64 v6, v6, v4, s5
	v_cndmask_b32_e64 v7, v7, v8, s5
	v_cmp_eq_u32_e64 s4, 7, v132
	v_cndmask_b32_e32 v10, v10, v8, vcc_lo
	v_cndmask_b32_e64 v1, v1, v4, s3
	v_cmp_eq_u32_e32 vcc_lo, 7, v131
	v_cndmask_b32_e64 v2, v2, v8, s3
	v_cmp_eq_u32_e64 s3, 7, v129
	v_cmp_eq_u32_e64 s5, 7, v130
	v_cndmask_b32_e32 v1, v1, v12, vcc_lo
	s_delay_alu instid0(VALU_DEP_4) | instskip(NEXT) | instid1(VALU_DEP_4)
	v_cndmask_b32_e32 v2, v2, v16, vcc_lo
	v_cndmask_b32_e64 v8, v3, v12, s3
	s_delay_alu instid0(VALU_DEP_4)
	v_cndmask_b32_e64 v6, v6, v12, s5
	v_cndmask_b32_e64 v3, v9, v12, s4
	;; [unrolled: 1-line block ×5, first 2 shown]
	v_perm_b32 v4, v2, v1, 0x5040100
	s_mov_b32 s3, exec_lo
	v_perm_b32 v3, v9, v3, 0x5040100
	v_perm_b32 v2, v7, v6, 0x5040100
	;; [unrolled: 1-line block ×3, first 2 shown]
	ds_store_b128 v134, v[1:4]
	s_waitcnt lgkmcnt(0)
	s_barrier
	buffer_gl0_inv
	v_cmpx_gt_u32_e32 32, v0
	s_cbranch_execz .LBB236_2
; %bb.15:
	s_load_b64 s[4:5], s[0:1], 0x68
	v_lshlrev_b32_e32 v0, 10, v0
	v_add_nc_u32_e32 v2, s31, v138
	v_lshlrev_b32_e32 v3, 4, v139
	s_lshl_b32 s0, s35, 7
	s_delay_alu instid0(SALU_CYCLE_1) | instskip(NEXT) | instid1(VALU_DEP_2)
	s_mul_i32 s1, s0, s34
	v_mul_lo_u32 v1, v2, s0
	s_delay_alu instid0(VALU_DEP_2)
	v_and_or_b32 v0, 0x3800, v0, v3
	v_add_nc_u32_e32 v3, 2, v2
	s_mul_i32 s6, s1, s7
	v_add_nc_u32_e32 v4, 4, v2
	s_ashr_i32 s7, s6, 31
	v_lshl_or_b32 v11, v138, 6, v0
	s_lshl_b64 s[6:7], s[6:7], 1
	v_mul_lo_u32 v15, v3, s0
	v_mul_lo_u32 v17, v4, s0
	v_ashrrev_i32_e32 v2, 31, v1
	ds_load_b128 v[3:6], v11
	ds_load_b128 v[7:10], v11 offset:128
	ds_load_b128 v[11:14], v11 offset:256
	s_waitcnt lgkmcnt(0)
	s_add_u32 s1, s4, s6
	s_addc_u32 s3, s5, s7
	s_lshl_b32 s4, s14, 7
	v_ashrrev_i32_e32 v16, 31, v15
	s_ashr_i32 s5, s4, 31
	v_lshlrev_b64 v[19:20], 1, v[1:2]
	s_lshl_b64 s[4:5], s[4:5], 1
	v_ashrrev_i32_e32 v18, 31, v17
	s_add_u32 s1, s1, s4
	s_addc_u32 s3, s3, s5
	v_add_co_u32 v1, s1, s1, v137
	s_delay_alu instid0(VALU_DEP_1) | instskip(SKIP_1) | instid1(VALU_DEP_3)
	v_add_co_ci_u32_e64 v2, null, s3, 0, s1
	v_lshlrev_b64 v[15:16], 1, v[15:16]
	v_add_co_u32 v19, vcc_lo, v1, v19
	v_lshlrev_b64 v[17:18], 1, v[17:18]
	s_delay_alu instid0(VALU_DEP_4) | instskip(NEXT) | instid1(VALU_DEP_4)
	v_add_co_ci_u32_e32 v20, vcc_lo, v2, v20, vcc_lo
	v_add_co_u32 v15, vcc_lo, v1, v15
	v_add_co_ci_u32_e32 v16, vcc_lo, v2, v16, vcc_lo
	s_delay_alu instid0(VALU_DEP_4)
	v_add_co_u32 v17, vcc_lo, v1, v17
	v_add_co_ci_u32_e32 v18, vcc_lo, v2, v18, vcc_lo
	s_clause 0x2
	global_store_b128 v[19:20], v[3:6], off
	global_store_b128 v[15:16], v[7:10], off
	;; [unrolled: 1-line block ×3, first 2 shown]
	s_and_b32 exec_lo, exec_lo, s2
	s_cbranch_execz .LBB236_2
; %bb.16:
	ds_load_b128 v[3:6], v0 offset:384
	s_add_i32 s1, s31, 6
	s_delay_alu instid0(SALU_CYCLE_1) | instskip(NEXT) | instid1(SALU_CYCLE_1)
	s_mul_i32 s0, s1, s0
	s_ashr_i32 s1, s0, 31
	s_delay_alu instid0(SALU_CYCLE_1) | instskip(NEXT) | instid1(SALU_CYCLE_1)
	s_lshl_b64 s[0:1], s[0:1], 1
	v_add_co_u32 v0, vcc_lo, v1, s0
	v_add_co_ci_u32_e32 v1, vcc_lo, s1, v2, vcc_lo
	s_waitcnt lgkmcnt(0)
	global_store_b128 v[0:1], v[3:6], off
	s_nop 0
	s_sendmsg sendmsg(MSG_DEALLOC_VGPRS)
	s_endpgm
	.section	.rodata,"a",@progbits
	.p2align	6, 0x0
	.amdhsa_kernel _Z39paged_attention_ll4mi_QKV_mfma16_kernelIDF16_DF16_LN4vllm18Fp8KVCacheDataTypeE0EhLi16ELi128ELi256ELb0ELi7EL8MFMAType0EEvPKT_PKT0_S8_ifPKiSA_SA_iPKfiiiPfSD_PS3_PT2_iSC_SC_
		.amdhsa_group_segment_fixed_size 17472
		.amdhsa_private_segment_fixed_size 0
		.amdhsa_kernarg_size 400
		.amdhsa_user_sgpr_count 13
		.amdhsa_user_sgpr_dispatch_ptr 0
		.amdhsa_user_sgpr_queue_ptr 0
		.amdhsa_user_sgpr_kernarg_segment_ptr 1
		.amdhsa_user_sgpr_dispatch_id 0
		.amdhsa_user_sgpr_private_segment_size 0
		.amdhsa_wavefront_size32 1
		.amdhsa_uses_dynamic_stack 0
		.amdhsa_enable_private_segment 0
		.amdhsa_system_sgpr_workgroup_id_x 1
		.amdhsa_system_sgpr_workgroup_id_y 1
		.amdhsa_system_sgpr_workgroup_id_z 1
		.amdhsa_system_sgpr_workgroup_info 0
		.amdhsa_system_vgpr_workitem_id 0
		.amdhsa_next_free_vgpr 218
		.amdhsa_next_free_sgpr 52
		.amdhsa_reserve_vcc 1
		.amdhsa_float_round_mode_32 0
		.amdhsa_float_round_mode_16_64 0
		.amdhsa_float_denorm_mode_32 3
		.amdhsa_float_denorm_mode_16_64 3
		.amdhsa_dx10_clamp 1
		.amdhsa_ieee_mode 1
		.amdhsa_fp16_overflow 0
		.amdhsa_workgroup_processor_mode 1
		.amdhsa_memory_ordered 1
		.amdhsa_forward_progress 0
		.amdhsa_shared_vgpr_count 0
		.amdhsa_exception_fp_ieee_invalid_op 0
		.amdhsa_exception_fp_denorm_src 0
		.amdhsa_exception_fp_ieee_div_zero 0
		.amdhsa_exception_fp_ieee_overflow 0
		.amdhsa_exception_fp_ieee_underflow 0
		.amdhsa_exception_fp_ieee_inexact 0
		.amdhsa_exception_int_div_zero 0
	.end_amdhsa_kernel
	.section	.text._Z39paged_attention_ll4mi_QKV_mfma16_kernelIDF16_DF16_LN4vllm18Fp8KVCacheDataTypeE0EhLi16ELi128ELi256ELb0ELi7EL8MFMAType0EEvPKT_PKT0_S8_ifPKiSA_SA_iPKfiiiPfSD_PS3_PT2_iSC_SC_,"axG",@progbits,_Z39paged_attention_ll4mi_QKV_mfma16_kernelIDF16_DF16_LN4vllm18Fp8KVCacheDataTypeE0EhLi16ELi128ELi256ELb0ELi7EL8MFMAType0EEvPKT_PKT0_S8_ifPKiSA_SA_iPKfiiiPfSD_PS3_PT2_iSC_SC_,comdat
.Lfunc_end236:
	.size	_Z39paged_attention_ll4mi_QKV_mfma16_kernelIDF16_DF16_LN4vllm18Fp8KVCacheDataTypeE0EhLi16ELi128ELi256ELb0ELi7EL8MFMAType0EEvPKT_PKT0_S8_ifPKiSA_SA_iPKfiiiPfSD_PS3_PT2_iSC_SC_, .Lfunc_end236-_Z39paged_attention_ll4mi_QKV_mfma16_kernelIDF16_DF16_LN4vllm18Fp8KVCacheDataTypeE0EhLi16ELi128ELi256ELb0ELi7EL8MFMAType0EEvPKT_PKT0_S8_ifPKiSA_SA_iPKfiiiPfSD_PS3_PT2_iSC_SC_
                                        ; -- End function
	.section	.AMDGPU.csdata,"",@progbits
; Kernel info:
; codeLenInByte = 8108
; NumSgprs: 54
; NumVgprs: 218
; ScratchSize: 0
; MemoryBound: 0
; FloatMode: 240
; IeeeMode: 1
; LDSByteSize: 17472 bytes/workgroup (compile time only)
; SGPRBlocks: 6
; VGPRBlocks: 27
; NumSGPRsForWavesPerEU: 54
; NumVGPRsForWavesPerEU: 218
; Occupancy: 6
; WaveLimiterHint : 1
; COMPUTE_PGM_RSRC2:SCRATCH_EN: 0
; COMPUTE_PGM_RSRC2:USER_SGPR: 13
; COMPUTE_PGM_RSRC2:TRAP_HANDLER: 0
; COMPUTE_PGM_RSRC2:TGID_X_EN: 1
; COMPUTE_PGM_RSRC2:TGID_Y_EN: 1
; COMPUTE_PGM_RSRC2:TGID_Z_EN: 1
; COMPUTE_PGM_RSRC2:TIDIG_COMP_CNT: 0
	.section	.text._Z39paged_attention_ll4mi_QKV_mfma16_kernelIDF16_DF16_LN4vllm18Fp8KVCacheDataTypeE0EhLi16ELi128ELi256ELb0ELi8EL8MFMAType0EEvPKT_PKT0_S8_ifPKiSA_SA_iPKfiiiPfSD_PS3_PT2_iSC_SC_,"axG",@progbits,_Z39paged_attention_ll4mi_QKV_mfma16_kernelIDF16_DF16_LN4vllm18Fp8KVCacheDataTypeE0EhLi16ELi128ELi256ELb0ELi8EL8MFMAType0EEvPKT_PKT0_S8_ifPKiSA_SA_iPKfiiiPfSD_PS3_PT2_iSC_SC_,comdat
	.protected	_Z39paged_attention_ll4mi_QKV_mfma16_kernelIDF16_DF16_LN4vllm18Fp8KVCacheDataTypeE0EhLi16ELi128ELi256ELb0ELi8EL8MFMAType0EEvPKT_PKT0_S8_ifPKiSA_SA_iPKfiiiPfSD_PS3_PT2_iSC_SC_ ; -- Begin function _Z39paged_attention_ll4mi_QKV_mfma16_kernelIDF16_DF16_LN4vllm18Fp8KVCacheDataTypeE0EhLi16ELi128ELi256ELb0ELi8EL8MFMAType0EEvPKT_PKT0_S8_ifPKiSA_SA_iPKfiiiPfSD_PS3_PT2_iSC_SC_
	.globl	_Z39paged_attention_ll4mi_QKV_mfma16_kernelIDF16_DF16_LN4vllm18Fp8KVCacheDataTypeE0EhLi16ELi128ELi256ELb0ELi8EL8MFMAType0EEvPKT_PKT0_S8_ifPKiSA_SA_iPKfiiiPfSD_PS3_PT2_iSC_SC_
	.p2align	8
	.type	_Z39paged_attention_ll4mi_QKV_mfma16_kernelIDF16_DF16_LN4vllm18Fp8KVCacheDataTypeE0EhLi16ELi128ELi256ELb0ELi8EL8MFMAType0EEvPKT_PKT0_S8_ifPKiSA_SA_iPKfiiiPfSD_PS3_PT2_iSC_SC_,@function
_Z39paged_attention_ll4mi_QKV_mfma16_kernelIDF16_DF16_LN4vllm18Fp8KVCacheDataTypeE0EhLi16ELi128ELi256ELb0ELi8EL8MFMAType0EEvPKT_PKT0_S8_ifPKiSA_SA_iPKfiiiPfSD_PS3_PT2_iSC_SC_: ; @_Z39paged_attention_ll4mi_QKV_mfma16_kernelIDF16_DF16_LN4vllm18Fp8KVCacheDataTypeE0EhLi16ELi128ELi256ELb0ELi8EL8MFMAType0EEvPKT_PKT0_S8_ifPKiSA_SA_iPKfiiiPfSD_PS3_PT2_iSC_SC_
; %bb.0:
	s_load_b64 s[4:5], s[0:1], 0x30
	s_mov_b32 s30, s13
	s_waitcnt lgkmcnt(0)
	s_cmp_lg_u64 s[4:5], 0
	s_cselect_b32 s12, -1, 0
	s_ashr_i32 s31, s13, 31
	s_cmp_eq_u64 s[4:5], 0
	s_cbranch_scc1 .LBB237_3
; %bb.1:
	s_lshl_b64 s[2:3], s[30:31], 2
	s_delay_alu instid0(SALU_CYCLE_1) | instskip(SKIP_4) | instid1(SALU_CYCLE_1)
	s_add_u32 s2, s4, s2
	s_addc_u32 s3, s5, s3
	s_load_b64 s[2:3], s[2:3], 0x0
	s_waitcnt lgkmcnt(0)
	s_sub_i32 s2, s3, s2
	s_cmp_eq_u32 s2, 1
	s_cselect_b32 s2, -1, 0
	s_delay_alu instid0(SALU_CYCLE_1)
	s_and_not1_b32 vcc_lo, exec_lo, s2
	s_cbranch_vccz .LBB237_4
.LBB237_2:
	s_endpgm
.LBB237_3:
.LBB237_4:
	s_load_b64 s[2:3], s[0:1], 0x28
	s_lshl_b64 s[6:7], s[30:31], 2
	s_waitcnt lgkmcnt(0)
	s_add_u32 s2, s2, s6
	s_addc_u32 s3, s3, s7
	s_lshl_b32 s29, s14, 8
	s_load_b32 s28, s[2:3], 0x0
	s_waitcnt lgkmcnt(0)
	s_cmp_ge_i32 s29, s28
	s_cbranch_scc1 .LBB237_2
; %bb.5:
	s_clause 0x1
	s_load_b128 s[8:11], s[0:1], 0x8
	s_load_b64 s[2:3], s[0:1], 0x20
	s_and_not1_b32 vcc_lo, exec_lo, s12
	s_cbranch_vccnz .LBB237_7
; %bb.6:
	s_add_u32 s4, s4, s6
	s_addc_u32 s5, s5, s7
	s_load_b32 s12, s[4:5], 0x0
	s_branch .LBB237_8
.LBB237_7:
	s_mov_b32 s12, s30
.LBB237_8:
	s_load_b128 s[4:7], s[0:1], 0x48
	v_and_b32_e32 v141, 15, v0
	v_lshrrev_b32_e32 v140, 5, v0
	v_and_b32_e32 v142, 31, v0
	v_and_b32_e32 v139, 1, v0
	v_bfe_u32 v138, v0, 4, 1
	v_lshlrev_b32_e32 v1, 3, v141
	s_lshl_b32 s31, s15, 3
	s_waitcnt lgkmcnt(0)
	s_mov_b32 s7, exec_lo
	s_delay_alu instid0(VALU_DEP_1)
	v_lshlrev_b32_e32 v137, 1, v1
	v_cmpx_gt_u32_e32 0x80, v0
	s_cbranch_execz .LBB237_10
; %bb.9:
	v_lshl_or_b32 v5, v140, 1, v138
	s_load_b64 s[16:17], s[0:1], 0x0
	s_mul_hi_i32 s13, s12, s4
	s_mul_i32 s12, s12, s4
	v_lshlrev_b32_e32 v6, 10, v141
	v_or_b32_e32 v1, s31, v5
	s_lshl_b64 s[12:13], s[12:13], 1
	v_lshlrev_b32_e32 v5, 6, v5
	v_lshlrev_b32_e32 v7, 10, v139
	v_and_b32_e32 v6, 0x3800, v6
	v_lshlrev_b32_e32 v1, 7, v1
	s_delay_alu instid0(VALU_DEP_2) | instskip(NEXT) | instid1(VALU_DEP_2)
	v_or3_b32 v5, v6, v7, v5
	v_ashrrev_i32_e32 v2, 31, v1
	s_delay_alu instid0(VALU_DEP_1) | instskip(SKIP_3) | instid1(VALU_DEP_1)
	v_lshlrev_b64 v[1:2], 1, v[1:2]
	s_waitcnt lgkmcnt(0)
	s_add_u32 s4, s16, s12
	s_addc_u32 s12, s17, s13
	v_add_co_u32 v1, vcc_lo, s4, v1
	s_delay_alu instid0(VALU_DEP_2) | instskip(NEXT) | instid1(VALU_DEP_2)
	v_add_co_ci_u32_e32 v2, vcc_lo, s12, v2, vcc_lo
	v_add_co_u32 v1, vcc_lo, v1, v137
	s_delay_alu instid0(VALU_DEP_2)
	v_add_co_ci_u32_e32 v2, vcc_lo, 0, v2, vcc_lo
	global_load_b128 v[1:4], v[1:2], off
	s_waitcnt vmcnt(0)
	ds_store_b128 v5, v[1:4]
.LBB237_10:
	s_or_b32 exec_lo, exec_lo, s7
	s_mov_b32 s40, 0
	s_add_i32 s4, s28, 15
	s_mov_b32 s41, s40
	s_mov_b32 s42, s40
	;; [unrolled: 1-line block ×7, first 2 shown]
	s_delay_alu instid0(SALU_CYCLE_1)
	v_dual_mov_b32 v136, s47 :: v_dual_and_b32 v1, 0xef, v0
	v_mov_b32_e32 v134, s45
	s_clause 0x1
	s_load_b32 s7, s[0:1], 0x38
	s_load_b32 s33, s[0:1], 0x98
	v_add_nc_u32_e32 v1, s29, v1
	s_ashr_i32 s12, s4, 31
	s_load_b32 s34, s[0:1], 0x1c
	s_lshr_b32 s12, s12, 28
	s_waitcnt lgkmcnt(0)
	v_ashrrev_i32_e32 v2, 31, v1
	s_add_i32 s4, s4, s12
	v_cmp_gt_i32_e32 vcc_lo, s28, v1
	v_mov_b32_e32 v135, s46
	s_ashr_i32 s4, s4, 4
	v_lshrrev_b32_e32 v3, 28, v2
	v_or_b32_e32 v2, 16, v1
	s_add_i32 s4, s4, -1
	v_mov_b32_e32 v132, s43
	s_barrier
	v_add_nc_u32_e32 v4, v1, v3
	v_add_nc_u32_e32 v3, v2, v3
	buffer_gl0_inv
	v_lshlrev_b32_e32 v106, 5, v141
	s_mul_i32 s12, s30, s7
	v_ashrrev_i32_e32 v4, 4, v4
	v_ashrrev_i32_e32 v3, 4, v3
	s_ashr_i32 s13, s12, 31
	v_and_b32_e32 v105, 7, v0
	s_lshl_b64 s[12:13], s[12:13], 2
	v_cndmask_b32_e32 v1, s4, v4, vcc_lo
	v_cmp_gt_i32_e32 vcc_lo, s28, v2
	s_add_u32 s35, s2, s12
	s_addc_u32 s36, s3, s13
	s_mul_i32 s2, s15, s6
	v_ashrrev_i32_e32 v2, 31, v1
	v_cndmask_b32_e32 v3, s4, v3, vcc_lo
	s_ashr_i32 s3, s2, 31
	v_lshlrev_b32_e32 v215, 6, v105
	s_lshl_b64 s[2:3], s[2:3], 1
	v_lshlrev_b64 v[1:2], 2, v[1:2]
	v_ashrrev_i32_e32 v4, 31, v3
	s_add_u32 s22, s8, s2
	s_addc_u32 s23, s9, s3
	s_lshl_b32 s6, s14, 4
	v_lshl_or_b32 v125, v140, 9, v106
	v_lshlrev_b64 v[3:4], 2, v[3:4]
	v_add_co_u32 v1, vcc_lo, s35, v1
	v_add_co_ci_u32_e32 v2, vcc_lo, s36, v2, vcc_lo
	s_ashr_i32 s7, s6, 31
	s_delay_alu instid0(VALU_DEP_3) | instskip(NEXT) | instid1(VALU_DEP_4)
	v_add_co_u32 v3, vcc_lo, s35, v3
	v_add_co_ci_u32_e32 v4, vcc_lo, s36, v4, vcc_lo
	s_clause 0x1
	global_load_b32 v5, v[1:2], off
	global_load_b32 v6, v[3:4], off
	s_lshl_b64 s[6:7], s[6:7], 2
	v_dual_mov_b32 v130, s41 :: v_dual_lshlrev_b32 v3, 4, v0
	s_add_u32 s6, s35, s6
	s_addc_u32 s7, s36, s7
	s_or_b32 s8, s29, 16
	v_mov_b32_e32 v133, s44
	s_ashr_i32 s9, s8, 4
	s_cmp_lt_i32 s8, s28
	v_mov_b32_e32 v131, s42
	s_cselect_b32 s8, s9, s4
	v_mov_b32_e32 v129, s40
	s_ashr_i32 s9, s8, 31
	s_delay_alu instid0(SALU_CYCLE_1) | instskip(NEXT) | instid1(SALU_CYCLE_1)
	s_lshl_b64 s[8:9], s[8:9], 2
	s_add_u32 s8, s35, s8
	s_addc_u32 s9, s36, s9
	s_or_b32 s12, s29, 32
	s_delay_alu instid0(SALU_CYCLE_1) | instskip(SKIP_2) | instid1(SALU_CYCLE_1)
	s_ashr_i32 s13, s12, 4
	s_cmp_lt_i32 s12, s28
	s_cselect_b32 s12, s13, s4
	s_ashr_i32 s13, s12, 31
	s_delay_alu instid0(SALU_CYCLE_1) | instskip(NEXT) | instid1(SALU_CYCLE_1)
	s_lshl_b64 s[12:13], s[12:13], 2
	s_add_u32 s12, s35, s12
	s_addc_u32 s13, s36, s13
	s_or_b32 s15, s29, 48
	s_delay_alu instid0(SALU_CYCLE_1) | instskip(SKIP_2) | instid1(SALU_CYCLE_1)
	s_ashr_i32 s16, s15, 4
	s_cmp_lt_i32 s15, s28
	s_cselect_b32 s16, s16, s4
	;; [unrolled: 10-line block ×4, first 2 shown]
	s_ashr_i32 s21, s20, 31
	s_delay_alu instid0(SALU_CYCLE_1) | instskip(NEXT) | instid1(SALU_CYCLE_1)
	s_lshl_b64 s[20:21], s[20:21], 2
	s_add_u32 s20, s35, s20
	s_addc_u32 s21, s36, s21
	s_clause 0x5
	s_load_b32 s6, s[6:7], 0x0
	s_load_b32 s8, s[8:9], 0x0
	;; [unrolled: 1-line block ×6, first 2 shown]
	s_waitcnt vmcnt(1)
	v_mad_i64_i32 v[1:2], null, v5, s5, 0
	v_and_b32_e32 v5, 0xf0, v3
	s_waitcnt vmcnt(0)
	v_mad_i64_i32 v[3:4], null, v6, s5, 0
	s_delay_alu instid0(VALU_DEP_2) | instskip(NEXT) | instid1(VALU_DEP_4)
	v_add_co_u32 v5, s7, s22, v5
	v_lshlrev_b64 v[1:2], 1, v[1:2]
	v_add_co_ci_u32_e64 v6, null, s23, 0, s7
	s_delay_alu instid0(VALU_DEP_4) | instskip(SKIP_1) | instid1(VALU_DEP_3)
	v_lshlrev_b64 v[3:4], 1, v[3:4]
	s_or_b32 s7, s29, 0x60
	v_add_co_u32 v121, vcc_lo, v5, v1
	s_delay_alu instid0(VALU_DEP_3) | instskip(NEXT) | instid1(VALU_DEP_3)
	v_add_co_ci_u32_e32 v122, vcc_lo, v6, v2, vcc_lo
	v_add_co_u32 v123, vcc_lo, v5, v3
	s_delay_alu instid0(VALU_DEP_4)
	v_add_co_ci_u32_e32 v124, vcc_lo, v6, v4, vcc_lo
	s_clause 0x19
	global_load_b128 v[89:92], v[121:122], off
	global_load_b128 v[93:96], v[121:122], off offset:256
	global_load_b128 v[97:100], v[123:124], off
	global_load_b128 v[101:104], v[123:124], off offset:256
	global_load_b128 v[81:84], v[121:122], off offset:512
	global_load_b128 v[85:88], v[121:122], off offset:768
	global_load_b128 v[73:76], v[123:124], off offset:512
	global_load_b128 v[77:80], v[123:124], off offset:768
	global_load_b128 v[65:68], v[121:122], off offset:1024
	global_load_b128 v[69:72], v[121:122], off offset:1280
	global_load_b128 v[57:60], v[123:124], off offset:1024
	global_load_b128 v[61:64], v[123:124], off offset:1280
	global_load_b128 v[49:52], v[121:122], off offset:1536
	global_load_b128 v[53:56], v[121:122], off offset:1792
	global_load_b128 v[25:28], v[123:124], off offset:1536
	global_load_b128 v[29:32], v[123:124], off offset:1792
	global_load_b128 v[1:4], v[121:122], off offset:2048
	global_load_b128 v[5:8], v[121:122], off offset:2304
	global_load_b128 v[9:12], v[123:124], off offset:2048
	global_load_b128 v[13:16], v[123:124], off offset:2304
	global_load_b128 v[41:44], v[121:122], off offset:2560
	global_load_b128 v[45:48], v[121:122], off offset:2816
	global_load_b128 v[33:36], v[123:124], off offset:2560
	global_load_b128 v[37:40], v[123:124], off offset:2816
	global_load_b128 v[17:20], v[121:122], off offset:3072
	global_load_b128 v[21:24], v[121:122], off offset:3328
	s_ashr_i32 s9, s7, 4
	s_cmp_lt_i32 s7, s28
	ds_load_b128 v[105:108], v215
	ds_load_b128 v[109:112], v215 offset:1024
	s_cselect_b32 s20, s9, s4
	ds_load_b128 v[113:116], v215 offset:2048
	ds_load_b128 v[117:120], v215 offset:3072
	s_ashr_i32 s21, s20, 31
	ds_load_b128 v[143:146], v215 offset:4096
	ds_load_b128 v[147:150], v215 offset:5120
	s_lshl_b64 s[20:21], s[20:21], 2
	ds_load_b128 v[151:154], v215 offset:6144
	ds_load_b128 v[155:158], v215 offset:7168
	s_add_u32 s20, s35, s20
	s_addc_u32 s21, s36, s21
	s_or_b32 s7, s29, 0x70
	ds_load_b128 v[159:162], v215 offset:8192
	ds_load_b128 v[163:166], v215 offset:9216
	s_ashr_i32 s9, s7, 4
	s_cmp_lt_i32 s7, s28
	s_clause 0x1
	global_load_b128 v[167:170], v[123:124], off offset:3072
	global_load_b128 v[171:174], v[123:124], off offset:3328
	s_cselect_b32 s22, s9, s4
	s_delay_alu instid0(SALU_CYCLE_1) | instskip(NEXT) | instid1(SALU_CYCLE_1)
	s_ashr_i32 s23, s22, 31
	s_lshl_b64 s[22:23], s[22:23], 2
	s_delay_alu instid0(SALU_CYCLE_1)
	s_add_u32 s22, s35, s22
	s_addc_u32 s23, s36, s23
	s_clause 0x1
	s_load_b32 s44, s[20:21], 0x0
	s_load_b32 s45, s[22:23], 0x0
	s_clause 0x3
	global_load_b128 v[175:178], v[121:122], off offset:3584
	global_load_b128 v[179:182], v[121:122], off offset:3840
	;; [unrolled: 1-line block ×4, first 2 shown]
	s_or_b32 s7, s29, 0x80
	s_delay_alu instid0(SALU_CYCLE_1) | instskip(SKIP_2) | instid1(SALU_CYCLE_1)
	s_ashr_i32 s9, s7, 4
	s_cmp_lt_i32 s7, s28
	s_cselect_b32 s24, s9, s4
	s_ashr_i32 s25, s24, 31
	s_delay_alu instid0(SALU_CYCLE_1) | instskip(NEXT) | instid1(SALU_CYCLE_1)
	s_lshl_b64 s[24:25], s[24:25], 2
	s_add_u32 s24, s35, s24
	s_addc_u32 s25, s36, s25
	s_or_b32 s7, s29, 0x90
	s_delay_alu instid0(SALU_CYCLE_1) | instskip(SKIP_2) | instid1(SALU_CYCLE_1)
	s_ashr_i32 s9, s7, 4
	s_cmp_lt_i32 s7, s28
	s_cselect_b32 s26, s9, s4
	s_ashr_i32 s27, s26, 31
	s_delay_alu instid0(SALU_CYCLE_1) | instskip(NEXT) | instid1(SALU_CYCLE_1)
	s_lshl_b64 s[26:27], s[26:27], 2
	s_add_u32 s26, s35, s26
	s_addc_u32 s27, s36, s27
	s_or_b32 s7, s29, 0xa0
	s_delay_alu instid0(SALU_CYCLE_1)
	s_ashr_i32 s9, s7, 4
	s_cmp_lt_i32 s7, s28
	s_waitcnt lgkmcnt(0)
	s_mul_hi_i32 s7, s6, s5
	s_cselect_b32 s38, s9, s4
	s_mul_i32 s6, s6, s5
	s_ashr_i32 s39, s38, 31
	s_delay_alu instid0(SALU_CYCLE_1) | instskip(NEXT) | instid1(SALU_CYCLE_1)
	s_lshl_b64 s[38:39], s[38:39], 2
	s_add_u32 s38, s35, s38
	s_addc_u32 s39, s36, s39
	s_or_b32 s9, s29, 0xb0
	s_load_b32 s39, s[38:39], 0x0
	s_ashr_i32 s13, s9, 4
	s_cmp_lt_i32 s9, s28
	s_mul_hi_i32 s9, s8, s5
	s_cselect_b32 s40, s13, s4
	s_mul_i32 s8, s8, s5
	s_ashr_i32 s41, s40, 31
	s_mul_hi_i32 s13, s12, s5
	s_lshl_b64 s[40:41], s[40:41], 2
	s_mul_i32 s12, s12, s5
	s_add_u32 s42, s35, s40
	s_addc_u32 s43, s36, s41
	s_or_b32 s17, s29, 0xc0
	s_delay_alu instid0(SALU_CYCLE_1)
	s_ashr_i32 s19, s17, 4
	s_cmp_lt_i32 s17, s28
	s_mul_hi_i32 s17, s16, s5
	s_cselect_b32 s40, s19, s4
	s_mul_i32 s16, s16, s5
	s_ashr_i32 s41, s40, 31
	s_mul_hi_i32 s19, s18, s5
	s_lshl_b64 s[40:41], s[40:41], 2
	s_mul_i32 s18, s18, s5
	s_add_u32 s22, s35, s40
	s_addc_u32 s23, s36, s41
	s_or_b32 s20, s29, 0xd0
	s_clause 0x1
	s_load_b32 s41, s[24:25], 0x0
	s_load_b32 s40, s[26:27], 0x0
	s_ashr_i32 s21, s20, 4
	s_cmp_lt_i32 s20, s28
	s_mul_i32 s20, s15, s5
	s_cselect_b32 s24, s21, s4
	s_mul_hi_i32 s21, s15, s5
	s_ashr_i32 s25, s24, 31
	s_delay_alu instid0(SALU_CYCLE_1) | instskip(NEXT) | instid1(SALU_CYCLE_1)
	s_lshl_b64 s[24:25], s[24:25], 2
	s_add_u32 s24, s35, s24
	s_addc_u32 s25, s36, s25
	s_or_b32 s46, s29, 0xe0
	s_clause 0x2
	s_load_b32 s38, s[42:43], 0x0
	s_load_b32 s37, s[22:23], 0x0
	;; [unrolled: 1-line block ×3, first 2 shown]
	s_ashr_i32 s47, s46, 4
	s_cmp_lt_i32 s46, s28
	s_mul_hi_i32 s23, s44, s5
	s_cselect_b32 s42, s47, s4
	s_mul_i32 s22, s44, s5
	s_ashr_i32 s43, s42, 31
	s_mul_hi_i32 s25, s45, s5
	s_lshl_b64 s[42:43], s[42:43], 2
	s_mul_i32 s24, s45, s5
	s_add_u32 s42, s35, s42
	s_addc_u32 s43, s36, s43
	s_or_b32 s46, s29, 0xf0
	s_waitcnt lgkmcnt(0)
	s_mul_hi_i32 s27, s41, s5
	s_ashr_i32 s47, s46, 4
	s_cmp_lt_i32 s46, s28
	s_mul_i32 s26, s41, s5
	s_cselect_b32 s46, s47, s4
	s_mul_hi_i32 s41, s40, s5
	s_ashr_i32 s47, s46, 31
	s_mul_hi_i32 s51, s15, s5
	s_lshl_b64 s[46:47], s[46:47], 2
	s_mul_i32 s50, s15, s5
	s_add_u32 s46, s35, s46
	s_addc_u32 s47, s36, s47
	s_add_u32 s4, s10, s2
	s_addc_u32 s15, s11, s3
	v_add_co_u32 v216, s4, s4, v125
	s_delay_alu instid0(VALU_DEP_1) | instskip(SKIP_2) | instid1(VALU_DEP_2)
	v_add_co_ci_u32_e64 v217, null, s15, 0, s4
	s_lshl_b64 s[2:3], s[6:7], 1
	s_lshl_b64 s[6:7], s[8:9], 1
	v_add_co_u32 v125, vcc_lo, v216, s2
	s_delay_alu instid0(VALU_DEP_2)
	v_add_co_ci_u32_e32 v126, vcc_lo, s3, v217, vcc_lo
	v_add_co_u32 v199, vcc_lo, v216, s6
	s_lshl_b64 s[8:9], s[12:13], 1
	v_add_co_ci_u32_e32 v200, vcc_lo, s7, v217, vcc_lo
	s_lshl_b64 s[10:11], s[16:17], 1
	s_lshl_b64 s[12:13], s[18:19], 1
	;; [unrolled: 1-line block ×6, first 2 shown]
	s_mul_i32 s40, s40, s5
	s_mul_hi_i32 s45, s39, s5
	s_lshl_b64 s[24:25], s[40:41], 1
	s_mul_i32 s44, s39, s5
	s_mul_hi_i32 s39, s38, s5
	s_lshl_b64 s[26:27], s[44:45], 1
	s_mul_i32 s38, s38, s5
	s_mul_hi_i32 s49, s37, s5
	s_mul_i32 s48, s37, s5
	s_lshl_b64 s[36:37], s[38:39], 1
	s_lshl_b64 s[38:39], s[48:49], 1
	s_clause 0x1
	s_load_b32 s4, s[42:43], 0x0
	s_load_b32 s15, s[46:47], 0x0
	s_lshl_b64 s[40:41], s[50:51], 1
	s_waitcnt lgkmcnt(0)
	s_mul_hi_i32 s3, s4, s5
	s_mul_i32 s2, s4, s5
	s_mul_hi_i32 s7, s15, s5
	s_lshl_b64 s[2:3], s[2:3], 1
	s_mul_i32 s6, s15, s5
	s_waitcnt vmcnt(30)
	v_wmma_f32_16x16x16_f16 v[191:198], v[89:96], v[105:112], v[129:136]
	v_add_co_u32 v89, vcc_lo, v216, s8
	v_add_co_ci_u32_e32 v90, vcc_lo, s9, v217, vcc_lo
	v_add_co_u32 v91, vcc_lo, v216, s10
	v_add_co_ci_u32_e32 v92, vcc_lo, s11, v217, vcc_lo
	;; [unrolled: 2-line block ×5, first 2 shown]
	v_add_co_u32 v205, vcc_lo, v216, s20
	s_waitcnt vmcnt(28)
	v_wmma_f32_16x16x16_f16 v[129:136], v[97:104], v[105:112], v[129:136]
	v_add_co_ci_u32_e32 v206, vcc_lo, s21, v217, vcc_lo
	v_add_co_u32 v207, vcc_lo, v216, s22
	v_add_co_ci_u32_e32 v208, vcc_lo, s23, v217, vcc_lo
	v_add_co_u32 v209, vcc_lo, v216, s24
	s_waitcnt vmcnt(26)
	v_wmma_f32_16x16x16_f16 v[191:198], v[81:88], v[113:120], v[191:198]
	s_waitcnt vmcnt(24)
	v_wmma_f32_16x16x16_f16 v[129:136], v[73:80], v[113:120], v[129:136]
	v_add_co_ci_u32_e32 v210, vcc_lo, s25, v217, vcc_lo
	v_add_co_u32 v211, vcc_lo, v216, s26
	v_add_co_ci_u32_e32 v212, vcc_lo, s27, v217, vcc_lo
	v_add_co_u32 v213, vcc_lo, v216, s36
	s_waitcnt vmcnt(22)
	v_wmma_f32_16x16x16_f16 v[191:198], v[65:72], v[143:150], v[191:198]
	s_waitcnt vmcnt(20)
	v_wmma_f32_16x16x16_f16 v[129:136], v[57:64], v[143:150], v[129:136]
	v_add_co_ci_u32_e32 v214, vcc_lo, s37, v217, vcc_lo
	v_add_co_u32 v143, vcc_lo, v216, s38
	s_waitcnt vmcnt(18)
	v_wmma_f32_16x16x16_f16 v[191:198], v[49:56], v[151:158], v[191:198]
	s_waitcnt vmcnt(16)
	v_wmma_f32_16x16x16_f16 v[129:136], v[25:32], v[151:158], v[129:136]
	v_add_co_ci_u32_e32 v144, vcc_lo, s39, v217, vcc_lo
	s_clause 0x15
	global_load_b128 v[121:124], v[125:126], off
	global_load_b128 v[125:128], v[125:126], off offset:16
	global_load_b128 v[113:116], v[199:200], off
	global_load_b128 v[117:120], v[199:200], off offset:16
	;; [unrolled: 2-line block ×11, first 2 shown]
	s_waitcnt vmcnt(36)
	v_wmma_f32_16x16x16_f16 v[191:198], v[1:8], v[159:166], v[191:198]
	s_clause 0x1
	global_load_b128 v[1:4], v[213:214], off
	global_load_b128 v[5:8], v[213:214], off offset:16
	s_waitcnt vmcnt(36)
	v_wmma_f32_16x16x16_f16 v[129:136], v[9:16], v[159:166], v[129:136]
	s_clause 0x1
	global_load_b128 v[9:12], v[143:144], off
	global_load_b128 v[13:16], v[143:144], off offset:16
	ds_load_b128 v[143:146], v215 offset:10240
	ds_load_b128 v[147:150], v215 offset:11264
	;; [unrolled: 1-line block ×4, first 2 shown]
	v_add_co_u32 v199, vcc_lo, v216, s40
	v_add_co_ci_u32_e32 v200, vcc_lo, s41, v217, vcc_lo
	v_add_co_u32 v159, vcc_lo, v216, s2
	v_add_co_ci_u32_e32 v160, vcc_lo, s3, v217, vcc_lo
	s_lshl_b64 s[2:3], s[6:7], 1
	s_delay_alu instid0(SALU_CYCLE_1)
	v_add_co_u32 v161, vcc_lo, v216, s2
	v_add_co_ci_u32_e32 v162, vcc_lo, s3, v217, vcc_lo
	s_waitcnt vmcnt(36) lgkmcnt(2)
	v_wmma_f32_16x16x16_f16 v[191:198], v[41:48], v[143:150], v[191:198]
	s_waitcnt vmcnt(34)
	v_wmma_f32_16x16x16_f16 v[129:136], v[33:40], v[143:150], v[129:136]
	s_clause 0x3
	global_load_b128 v[33:36], v[199:200], off
	global_load_b128 v[37:40], v[199:200], off offset:16
	global_load_b128 v[41:44], v[159:160], off
	global_load_b128 v[45:48], v[159:160], off offset:16
	v_and_b32_e32 v143, 0xe0, v0
	v_mbcnt_lo_u32_b32 v159, -1, 0
	s_waitcnt vmcnt(36) lgkmcnt(0)
	v_wmma_f32_16x16x16_f16 v[191:198], v[17:24], v[151:158], v[191:198]
	s_clause 0x1
	global_load_b128 v[17:20], v[161:162], off
	global_load_b128 v[21:24], v[161:162], off offset:16
	s_waitcnt vmcnt(36)
	v_wmma_f32_16x16x16_f16 v[129:136], v[167:174], v[151:158], v[129:136]
	v_add_nc_u32_e32 v160, s29, v143
	ds_load_b128 v[143:146], v215 offset:14336
	ds_load_b128 v[147:150], v215 offset:15360
	v_xor_b32_e32 v151, 16, v159
	s_waitcnt vmcnt(0) lgkmcnt(0)
	s_barrier
	v_or_b32_e32 v152, v160, v138
	buffer_gl0_inv
	v_cmp_gt_i32_e32 vcc_lo, 32, v151
	v_or_b32_e32 v153, 2, v152
	v_or_b32_e32 v154, 4, v152
	;; [unrolled: 1-line block ×5, first 2 shown]
	v_cmp_gt_i32_e64 s2, s28, v153
	v_cmp_gt_i32_e64 s3, s28, v154
	;; [unrolled: 1-line block ×3, first 2 shown]
	v_or_b32_e32 v158, 12, v152
	v_cmp_gt_i32_e64 s5, s28, v156
	v_cmp_gt_i32_e64 s6, s28, v157
	v_wmma_f32_16x16x16_f16 v[191:198], v[175:182], v[143:150], v[191:198]
	v_wmma_f32_16x16x16_f16 v[129:136], v[183:190], v[143:150], v[129:136]
	v_cndmask_b32_e32 v151, v159, v151, vcc_lo
	v_cmp_gt_i32_e32 vcc_lo, s28, v152
	v_or_b32_e32 v159, 14, v152
	v_dual_mul_f32 v149, s34, v192 :: v_dual_mul_f32 v150, s34, v191
	v_dual_mul_f32 v147, s34, v194 :: v_dual_mul_f32 v148, s34, v193
	v_dual_mul_f32 v145, s34, v196 :: v_dual_mul_f32 v174, s34, v130
	s_delay_alu instid0(VALU_DEP_3) | instskip(NEXT) | instid1(VALU_DEP_4)
	v_cndmask_b32_e32 v150, 0xff7fffff, v150, vcc_lo
	v_cndmask_b32_e64 v149, 0xff7fffff, v149, s2
	v_mul_f32_e32 v146, s34, v195
	v_cndmask_b32_e64 v148, 0xff7fffff, v148, s3
	v_cndmask_b32_e64 v147, 0xff7fffff, v147, s4
	v_or_b32_e32 v160, 16, v152
	v_max3_f32 v149, v150, 0xff7fffff, v149
	v_or_b32_e32 v161, 18, v152
	v_mul_f32_e32 v144, s34, v197
	v_dual_mul_f32 v172, s34, v132 :: v_dual_mul_f32 v143, s34, v198
	v_cndmask_b32_e64 v146, 0xff7fffff, v146, s5
	v_cndmask_b32_e64 v145, 0xff7fffff, v145, s6
	v_max3_f32 v147, v149, v148, v147
	v_cmp_gt_i32_e64 s7, s28, v158
	v_cmp_gt_i32_e64 s8, s28, v159
	v_or_b32_e32 v162, 20, v152
	v_or_b32_e32 v163, 22, v152
	v_mul_f32_e32 v175, s34, v129
	v_cndmask_b32_e64 v144, 0xff7fffff, v144, s7
	v_max3_f32 v145, v147, v146, v145
	v_cmp_gt_i32_e64 s9, s28, v160
	v_cmp_gt_i32_e64 s10, s28, v161
	v_lshlrev_b32_e32 v160, 2, v151
	v_cndmask_b32_e64 v143, 0xff7fffff, v143, s8
	v_or_b32_e32 v164, 24, v152
	v_or_b32_e32 v165, 26, v152
	v_mul_f32_e32 v173, s34, v131
	v_cndmask_b32_e64 v146, 0xff7fffff, v175, s9
	v_cndmask_b32_e64 v147, 0xff7fffff, v174, s10
	v_max3_f32 v143, v145, v144, v143
	v_cmp_gt_i32_e64 s11, s28, v162
	v_cmp_gt_i32_e64 s12, s28, v163
	v_or_b32_e32 v166, 28, v152
	v_or_b32_e32 v167, 30, v152
	v_dual_mul_f32 v170, s34, v134 :: v_dual_mul_f32 v171, s34, v133
	v_cndmask_b32_e64 v144, 0xff7fffff, v173, s11
	v_cndmask_b32_e64 v145, 0xff7fffff, v172, s12
	v_max3_f32 v143, v143, v146, v147
	v_cmp_gt_i32_e64 s13, s28, v164
	v_cmp_gt_i32_e64 s15, s28, v165
	v_dual_mul_f32 v168, s34, v136 :: v_dual_mul_f32 v169, s34, v135
	s_delay_alu instid0(VALU_DEP_4) | instskip(NEXT) | instid1(VALU_DEP_4)
	v_max3_f32 v143, v143, v144, v145
	v_cndmask_b32_e64 v146, 0xff7fffff, v171, s13
	s_delay_alu instid0(VALU_DEP_4) | instskip(SKIP_2) | instid1(VALU_DEP_3)
	v_cndmask_b32_e64 v147, 0xff7fffff, v170, s15
	v_cmp_gt_i32_e64 s16, s28, v166
	v_cmp_gt_i32_e64 s17, s28, v167
	v_max3_f32 v143, v143, v146, v147
	s_delay_alu instid0(VALU_DEP_3) | instskip(NEXT) | instid1(VALU_DEP_3)
	v_cndmask_b32_e64 v144, 0xff7fffff, v169, s16
	v_cndmask_b32_e64 v145, 0xff7fffff, v168, s17
	s_delay_alu instid0(VALU_DEP_1) | instskip(SKIP_3) | instid1(VALU_DEP_1)
	v_max3_f32 v143, v143, v144, v145
	ds_bpermute_b32 v144, v160, v143
	s_waitcnt lgkmcnt(0)
	v_max_f32_e32 v144, v144, v144
	v_max_f32_e32 v159, v143, v144
	s_delay_alu instid0(VALU_DEP_1) | instskip(SKIP_4) | instid1(VALU_DEP_4)
	v_fma_f32 v145, s34, v193, -v159
	v_fma_f32 v146, s34, v194, -v159
	;; [unrolled: 1-line block ×5, first 2 shown]
	v_dual_mul_f32 v145, 0x3fb8aa3b, v145 :: v_dual_mul_f32 v146, 0x3fb8aa3b, v146
	s_delay_alu instid0(VALU_DEP_4) | instskip(SKIP_1) | instid1(VALU_DEP_4)
	v_mul_f32_e32 v132, 0x3fb8aa3b, v132
	v_fma_f32 v148, s34, v195, -v159
	v_mul_f32_e32 v144, 0x3fb8aa3b, v144
	s_delay_alu instid0(VALU_DEP_4)
	v_exp_f32_e32 v145, v145
	v_exp_f32_e32 v150, v146
	v_fma_f32 v149, s34, v196, -v159
	v_mul_f32_e32 v148, 0x3fb8aa3b, v148
	v_exp_f32_e32 v147, v144
	v_fma_f32 v134, s34, v134, -v159
	v_fma_f32 v151, s34, v197, -v159
	v_mul_f32_e32 v149, 0x3fb8aa3b, v149
	v_exp_f32_e32 v148, v148
	v_fma_f32 v152, s34, v198, -v159
	v_cndmask_b32_e64 v146, 0, v145, s3
	v_cndmask_b32_e64 v145, 0, v150, s4
	v_dual_mul_f32 v143, 0x3fb8aa3b, v143 :: v_dual_mul_f32 v134, 0x3fb8aa3b, v134
	v_mul_f32_e32 v151, 0x3fb8aa3b, v151
	v_exp_f32_e32 v149, v149
	v_fma_f32 v129, s34, v129, -v159
	s_delay_alu instid0(VALU_DEP_3)
	v_exp_f32_e32 v143, v143
	v_mul_f32_e32 v150, 0x3fb8aa3b, v152
	v_exp_f32_e32 v151, v151
	v_cndmask_b32_e64 v148, 0, v148, s5
	v_fma_f32 v130, s34, v130, -v159
	v_mul_f32_e32 v129, 0x3fb8aa3b, v129
	v_exp_f32_e32 v153, v150
	v_fma_f32 v131, s34, v131, -v159
	v_fma_f32 v133, s34, v133, -v159
	v_mul_f32_e32 v130, 0x3fb8aa3b, v130
	v_cndmask_b32_e32 v144, 0, v143, vcc_lo
	v_cndmask_b32_e64 v143, 0, v147, s2
	v_exp_f32_e32 v129, v129
	v_cndmask_b32_e64 v150, 0, v151, s7
	v_mul_f32_e32 v131, 0x3fb8aa3b, v131
	v_add_f32_e32 v147, 0, v144
	v_exp_f32_e32 v130, v130
	v_mul_f32_e32 v133, 0x3fb8aa3b, v133
	v_exp_f32_e32 v132, v132
	v_exp_f32_e32 v131, v131
	v_add_f32_e32 v147, v147, v143
	s_mov_b32 s2, exec_lo
	v_exp_f32_e32 v133, v133
	s_delay_alu instid0(VALU_DEP_1)
	v_add_f32_e32 v147, v147, v146
	s_waitcnt_depctr 0xfff
	v_cndmask_b32_e64 v154, 0, v131, s11
	v_add_f32_e32 v152, v147, v145
	v_cndmask_b32_e64 v147, 0, v149, s6
	v_exp_f32_e32 v131, v134
	v_cndmask_b32_e64 v156, 0, v133, s13
	s_delay_alu instid0(VALU_DEP_3) | instskip(SKIP_1) | instid1(VALU_DEP_2)
	v_add_f32_e32 v149, v152, v148
	v_cndmask_b32_e64 v152, 0, v129, s9
	v_add_f32_e32 v151, v149, v147
	v_cndmask_b32_e64 v149, 0, v153, s8
	v_cndmask_b32_e64 v153, 0, v132, s12
	v_fma_f32 v132, s34, v136, -v159
	s_delay_alu instid0(TRANS32_DEP_1) | instskip(NEXT) | instid1(VALU_DEP_2)
	v_cndmask_b32_e64 v155, 0, v131, s15
	v_dual_add_f32 v151, v151, v150 :: v_dual_mul_f32 v132, 0x3fb8aa3b, v132
	s_delay_alu instid0(VALU_DEP_1) | instskip(SKIP_2) | instid1(VALU_DEP_4)
	v_add_f32_e32 v129, v151, v149
	v_cndmask_b32_e64 v151, 0, v130, s10
	v_fma_f32 v130, s34, v135, -v159
	v_exp_f32_e32 v131, v132
	s_delay_alu instid0(VALU_DEP_1) | instskip(NEXT) | instid1(VALU_DEP_1)
	v_dual_add_f32 v129, v129, v152 :: v_dual_mul_f32 v130, 0x3fb8aa3b, v130
	v_add_f32_e32 v129, v129, v151
	s_delay_alu instid0(VALU_DEP_2) | instskip(SKIP_3) | instid1(VALU_DEP_1)
	v_exp_f32_e32 v130, v130
	s_waitcnt_depctr 0xfff
	v_cndmask_b32_e64 v157, 0, v131, s17
	v_add_f32_e32 v129, v129, v154
	v_add_f32_e32 v129, v129, v153
	v_cndmask_b32_e64 v158, 0, v130, s16
	s_delay_alu instid0(VALU_DEP_2) | instskip(NEXT) | instid1(VALU_DEP_1)
	v_add_f32_e32 v129, v129, v156
	v_add_f32_e32 v129, v129, v155
	s_delay_alu instid0(VALU_DEP_1) | instskip(NEXT) | instid1(VALU_DEP_1)
	v_add_f32_e32 v129, v129, v158
	v_add_f32_e32 v129, v129, v157
	ds_bpermute_b32 v130, v160, v129
	v_cmpx_gt_u32_e32 16, v142
	s_cbranch_execz .LBB237_12
; %bb.11:
	v_mul_u32_u24_e32 v131, 0x44, v140
	s_delay_alu instid0(VALU_DEP_1) | instskip(SKIP_1) | instid1(VALU_DEP_1)
	v_lshl_add_u32 v131, v141, 2, v131
	s_waitcnt lgkmcnt(0)
	v_dual_add_f32 v129, v129, v130 :: v_dual_add_nc_u32 v130, 0x4000, v131
	ds_store_2addr_b32 v130, v159, v129 offset1:136
.LBB237_12:
	s_or_b32 exec_lo, exec_lo, s2
	v_lshlrev_b32_e32 v129, 2, v141
	s_load_b32 s34, s[0:1], 0x94
	s_waitcnt lgkmcnt(0)
	s_barrier
	buffer_gl0_inv
	v_add_nc_u32_e32 v135, 0x4000, v129
	v_cmp_eq_u32_e32 vcc_lo, 1, v140
	v_cmp_eq_u32_e64 s2, 2, v140
	v_cmp_eq_u32_e64 s3, 3, v140
	;; [unrolled: 1-line block ×3, first 2 shown]
	ds_load_2addr_b32 v[129:130], v135 offset1:17
	ds_load_2addr_b32 v[131:132], v135 offset0:34 offset1:51
	ds_load_2addr_b32 v[133:134], v135 offset0:68 offset1:85
	;; [unrolled: 1-line block ×3, first 2 shown]
	v_cmp_eq_u32_e64 s5, 5, v140
	v_cmp_eq_u32_e64 s6, 7, v140
	s_waitcnt lgkmcnt(3)
	v_max3_f32 v136, v129, 0xff7fffff, v130
	s_waitcnt lgkmcnt(2)
	s_delay_alu instid0(VALU_DEP_1) | instskip(SKIP_1) | instid1(VALU_DEP_1)
	v_max3_f32 v136, v136, v131, v132
	s_waitcnt lgkmcnt(1)
	v_max3_f32 v136, v136, v133, v134
	s_waitcnt lgkmcnt(0)
	s_delay_alu instid0(VALU_DEP_1) | instskip(NEXT) | instid1(VALU_DEP_1)
	v_max3_f32 v136, v136, v159, v160
	v_sub_f32_e32 v164, v132, v136
	ds_load_2addr_b32 v[161:162], v135 offset0:136 offset1:153
	v_sub_f32_e32 v142, v130, v136
	v_sub_f32_e32 v129, v129, v136
	v_mul_f32_e32 v164, 0x3fb8aa3b, v164
	s_delay_alu instid0(VALU_DEP_2)
	v_dual_mul_f32 v142, 0x3fb8aa3b, v142 :: v_dual_mul_f32 v163, 0x3fb8aa3b, v129
	ds_load_2addr_b32 v[129:130], v135 offset0:170 offset1:187
	v_exp_f32_e32 v164, v164
	v_exp_f32_e32 v166, v142
	;; [unrolled: 1-line block ×3, first 2 shown]
	s_waitcnt lgkmcnt(1)
	s_waitcnt_depctr 0xfff
	v_fma_f32 v142, v163, v161, 0
	s_delay_alu instid0(VALU_DEP_1) | instskip(NEXT) | instid1(VALU_DEP_1)
	v_dual_sub_f32 v131, v131, v136 :: v_dual_fmac_f32 v142, v166, v162
	v_mul_f32_e32 v165, 0x3fb8aa3b, v131
	ds_load_2addr_b32 v[131:132], v135 offset0:204 offset1:221
	v_exp_f32_e32 v165, v165
	s_waitcnt lgkmcnt(1)
	s_waitcnt_depctr 0xfff
	v_dual_sub_f32 v161, v134, v136 :: v_dual_fmac_f32 v142, v165, v129
	v_sub_f32_e32 v129, v160, v136
	s_delay_alu instid0(VALU_DEP_1) | instskip(SKIP_1) | instid1(VALU_DEP_2)
	v_dual_fmac_f32 v142, v164, v130 :: v_dual_mul_f32 v129, 0x3fb8aa3b, v129
	v_cndmask_b32_e32 v130, v163, v166, vcc_lo
	v_exp_f32_e32 v162, v129
	v_sub_f32_e32 v133, v133, v136
	s_delay_alu instid0(VALU_DEP_1)
	v_mul_f32_e32 v167, 0x3fb8aa3b, v133
	ds_load_2addr_b32 v[133:134], v135 offset0:238 offset1:255
	v_sub_f32_e32 v135, v159, v136
	v_mul_f32_e32 v159, 0x3fb8aa3b, v161
	s_waitcnt lgkmcnt(0)
	v_exp_f32_e32 v161, v167
	s_barrier
	buffer_gl0_inv
	v_exp_f32_e32 v159, v159
	v_fmac_f32_e32 v142, v161, v131
	s_waitcnt_depctr 0xfff
	v_dual_mul_f32 v135, 0x3fb8aa3b, v135 :: v_dual_fmac_f32 v142, v159, v132
	s_delay_alu instid0(VALU_DEP_1) | instskip(SKIP_2) | instid1(VALU_DEP_1)
	v_exp_f32_e32 v160, v135
	s_waitcnt_depctr 0xfff
	v_fmac_f32_e32 v142, v160, v133
	v_dual_fmac_f32 v142, v162, v134 :: v_dual_lshlrev_b32 v133, 6, v141
	s_delay_alu instid0(VALU_DEP_1) | instskip(NEXT) | instid1(VALU_DEP_2)
	v_lshl_or_b32 v135, v140, 11, v133
	v_add_f32_e32 v134, 0x358637bd, v142
	s_delay_alu instid0(VALU_DEP_1) | instskip(SKIP_1) | instid1(VALU_DEP_2)
	v_div_scale_f32 v167, null, v134, v134, 1.0
	v_div_scale_f32 v163, vcc_lo, 1.0, v134, 1.0
	v_rcp_f32_e32 v168, v167
	s_waitcnt_depctr 0xfff
	v_fma_f32 v129, -v167, v168, 1.0
	s_delay_alu instid0(VALU_DEP_1) | instskip(SKIP_2) | instid1(VALU_DEP_2)
	v_fmac_f32_e32 v168, v129, v168
	v_cndmask_b32_e64 v129, v130, v165, s2
	v_cmp_eq_u32_e64 s2, 6, v140
	v_cndmask_b32_e64 v130, v129, v164, s3
	v_lshlrev_b32_e32 v129, 2, v138
	s_delay_alu instid0(VALU_DEP_2) | instskip(NEXT) | instid1(VALU_DEP_2)
	v_cndmask_b32_e64 v141, v130, v161, s4
	v_or_b32_e32 v130, 1, v129
	v_or_b32_e32 v132, 2, v129
	v_cmp_eq_u32_e64 s3, 1, v129
	v_cmp_eq_u32_e64 s4, 2, v129
	v_cndmask_b32_e64 v140, v141, v159, s5
	v_cmp_eq_u32_e64 s8, 1, v130
	v_cmp_eq_u32_e64 s9, 1, v132
	v_cmp_eq_u32_e64 s11, 2, v130
	v_cmp_eq_u32_e64 s13, 2, v132
	v_cndmask_b32_e64 v140, v140, v160, s2
	v_cmp_eq_u32_e64 s12, 3, v130
	v_cmp_eq_u32_e64 s16, 3, v132
	;; [unrolled: 1-line block ×4, first 2 shown]
	v_cndmask_b32_e64 v140, v140, v162, s6
	v_mul_f32_e32 v165, v163, v168
	v_cmp_eq_u32_e64 s5, 5, v129
	v_cmp_eq_u32_e64 s19, 5, v130
	;; [unrolled: 1-line block ×4, first 2 shown]
	v_fma_f32 v131, -v167, v165, v163
	v_cmp_eq_u32_e64 s24, 6, v130
	v_cmp_eq_u32_e64 s6, 6, v129
	;; [unrolled: 1-line block ×4, first 2 shown]
	v_fmac_f32_e32 v165, v131, v168
	v_or_b32_e32 v131, 3, v129
	v_cmp_eq_u32_e64 s7, 7, v129
	v_cmp_eq_u32_e64 s27, 7, v132
	s_delay_alu instid0(VALU_DEP_4) | instskip(NEXT) | instid1(VALU_DEP_4)
	v_fma_f32 v141, -v167, v165, v163
	v_cmp_eq_u32_e64 s10, 1, v131
	v_cmp_eq_u32_e64 s15, 2, v131
	;; [unrolled: 1-line block ×4, first 2 shown]
	v_div_fmas_f32 v141, v141, v168, v165
	v_cmp_eq_u32_e32 vcc_lo, 3, v129
	v_cmp_eq_u32_e64 s23, 5, v131
	v_cmp_eq_u32_e64 s26, 6, v131
	;; [unrolled: 1-line block ×3, first 2 shown]
	v_div_fixup_f32 v141, v141, v134, 1.0
	v_lshl_or_b32 v134, v138, 4, v135
	s_delay_alu instid0(VALU_DEP_2) | instskip(NEXT) | instid1(VALU_DEP_1)
	v_mul_f32_e32 v140, v140, v141
	v_fma_mixlo_f16 v159, v140, v144, 0
	v_fma_mixlo_f16 v160, v140, v146, 0
	;; [unrolled: 1-line block ×8, first 2 shown]
	v_fma_mixhi_f16 v159, v140, v143, 0
	v_fma_mixhi_f16 v160, v140, v145, 0
	;; [unrolled: 1-line block ×8, first 2 shown]
	ds_store_b128 v134, v[159:162]
	ds_store_b128 v134, v[163:166] offset:1024
	s_waitcnt lgkmcnt(0)
	s_barrier
	buffer_gl0_inv
	ds_load_b128 v[143:146], v135
	ds_load_b128 v[147:150], v135 offset:16
	ds_load_b128 v[151:154], v135 offset:1024
	;; [unrolled: 1-line block ×3, first 2 shown]
	s_waitcnt lgkmcnt(3)
	v_lshrrev_b32_e32 v140, 16, v143
	s_waitcnt lgkmcnt(2)
	v_lshrrev_b32_e32 v161, 16, v147
	s_waitcnt lgkmcnt(1)
	v_lshrrev_b32_e32 v165, 16, v151
	s_waitcnt lgkmcnt(0)
	v_lshrrev_b32_e32 v169, 16, v155
	v_lshrrev_b32_e32 v141, 16, v144
	v_cndmask_b32_e64 v173, v143, v140, s3
	v_cndmask_b32_e64 v174, v147, v161, s3
	;; [unrolled: 1-line block ×7, first 2 shown]
	v_lshrrev_b32_e32 v162, 16, v148
	v_cndmask_b32_e64 v178, v147, v161, s9
	v_cndmask_b32_e64 v147, v151, v165, s3
	;; [unrolled: 1-line block ×16, first 2 shown]
	v_lshrrev_b32_e32 v166, 16, v152
	v_cndmask_b32_e64 v176, v178, v148, s13
	v_cndmask_b32_e64 v144, v147, v152, s4
	;; [unrolled: 1-line block ×7, first 2 shown]
	v_cndmask_b32_e32 v155, v165, v141, vcc_lo
	v_cndmask_b32_e32 v165, v169, v162, vcc_lo
	v_cndmask_b32_e64 v169, v173, v141, s12
	v_cndmask_b32_e64 v173, v174, v162, s12
	v_cndmask_b32_e64 v174, v175, v141, s16
	v_cndmask_b32_e64 v140, v140, v141, s17
	v_cndmask_b32_e64 v141, v143, v162, s17
	v_lshrrev_b32_e32 v159, 16, v145
	v_lshrrev_b32_e32 v163, 16, v149
	;; [unrolled: 1-line block ×3, first 2 shown]
	v_cndmask_b32_e64 v140, v140, v145, s21
	v_cndmask_b32_e64 v141, v141, v149, s21
	;; [unrolled: 1-line block ×3, first 2 shown]
	v_cndmask_b32_e32 v143, v144, v166, vcc_lo
	v_cndmask_b32_e32 v144, v147, v170, vcc_lo
	v_cndmask_b32_e64 v147, v148, v166, s12
	v_cndmask_b32_e64 v148, v155, v145, s2
	;; [unrolled: 1-line block ×7, first 2 shown]
	v_lshrrev_b32_e32 v160, 16, v146
	v_lshrrev_b32_e32 v164, 16, v150
	;; [unrolled: 1-line block ×4, first 2 shown]
	v_cndmask_b32_e64 v169, v174, v145, s20
	v_cndmask_b32_e64 v173, v175, v149, s20
	;; [unrolled: 1-line block ×20, first 2 shown]
	v_lshrrev_b32_e32 v168, 16, v154
	v_cndmask_b32_e64 v147, v147, v146, s6
	v_cndmask_b32_e64 v148, v148, v150, s6
	;; [unrolled: 1-line block ×9, first 2 shown]
	v_perm_b32 v146, v141, v140, 0x5040100
	v_cndmask_b32_e64 v140, v182, v156, s13
	v_cndmask_b32_e64 v141, v180, v156, s11
	;; [unrolled: 1-line block ×7, first 2 shown]
	v_perm_b32 v144, v155, v149, 0x5040100
	v_cndmask_b32_e64 v143, v161, v166, s16
	v_cndmask_b32_e64 v149, v151, v166, s17
	;; [unrolled: 1-line block ×15, first 2 shown]
	v_lshrrev_b32_e32 v172, 16, v158
	v_cndmask_b32_e64 v143, v143, v154, s25
	v_cndmask_b32_e64 v149, v149, v154, s26
	;; [unrolled: 1-line block ×12, first 2 shown]
	v_perm_b32 v145, v159, v145, 0x5040100
	v_perm_b32 v143, v148, v147, 0x5040100
	v_perm_b32 v150, v151, v149, 0x5040100
	v_perm_b32 v149, v140, v152, 0x5040100
	v_perm_b32 v148, v141, v162, 0x5040100
	v_perm_b32 v147, v153, v160, 0x5040100
	s_lshl_b32 s6, s33, 3
	s_mov_b32 s2, exec_lo
	ds_store_b128 v134, v[143:146]
	ds_store_b128 v134, v[147:150] offset:1024
	v_cmpx_gt_u32_e32 8, v0
	s_cbranch_execz .LBB237_14
; %bb.13:
	v_or_b32_e32 v140, s31, v0
	s_load_b128 s[8:11], s[0:1], 0x58
	s_delay_alu instid0(VALU_DEP_1) | instskip(NEXT) | instid1(VALU_DEP_1)
	v_mad_u64_u32 v[143:144], null, s6, s30, v[140:141]
	v_mad_u64_u32 v[140:141], null, v143, s34, s[14:15]
	s_delay_alu instid0(VALU_DEP_1) | instskip(NEXT) | instid1(VALU_DEP_1)
	v_ashrrev_i32_e32 v141, 31, v140
	v_lshlrev_b64 v[140:141], 2, v[140:141]
	s_waitcnt lgkmcnt(0)
	s_delay_alu instid0(VALU_DEP_1) | instskip(NEXT) | instid1(VALU_DEP_2)
	v_add_co_u32 v143, vcc_lo, s10, v140
	v_add_co_ci_u32_e32 v144, vcc_lo, s11, v141, vcc_lo
	v_add_co_u32 v140, vcc_lo, s8, v140
	v_add_co_ci_u32_e32 v141, vcc_lo, s9, v141, vcc_lo
	global_store_b32 v[143:144], v136, off
	global_store_b32 v[140:141], v142, off
.LBB237_14:
	s_or_b32 exec_lo, exec_lo, s2
	s_waitcnt lgkmcnt(0)
	s_waitcnt_vscnt null, 0x0
	s_barrier
	buffer_gl0_inv
	ds_load_b128 v[148:151], v133
	ds_load_b128 v[152:155], v133 offset:16
	ds_load_b128 v[160:163], v133 offset:1040
	;; [unrolled: 1-line block ×5, first 2 shown]
	v_cmp_eq_u32_e32 vcc_lo, 1, v132
	v_mov_b32_e32 v140, 0
	ds_load_b128 v[176:179], v133 offset:3088
	ds_load_b128 v[172:175], v133 offset:3072
	;; [unrolled: 1-line block ×4, first 2 shown]
	v_cmp_eq_u32_e64 s2, 1, v129
	v_cmp_eq_u32_e64 s3, 1, v131
	;; [unrolled: 1-line block ×3, first 2 shown]
	v_mov_b32_e32 v141, v140
	v_mov_b32_e32 v142, v140
	;; [unrolled: 1-line block ×7, first 2 shown]
	v_cmp_eq_u32_e64 s5, 2, v129
	s_waitcnt lgkmcnt(8)
	s_delay_alu instid0(VALU_DEP_2)
	v_wmma_f32_16x16x16_f16 v[140:147], v[121:128], v[148:155], v[140:147]
	ds_load_b128 v[125:128], v133 offset:5136
	ds_load_b128 v[121:124], v133 offset:5120
	s_waitcnt lgkmcnt(8)
	v_wmma_f32_16x16x16_f16 v[140:147], v[113:120], v[156:163], v[140:147]
	ds_load_b128 v[117:120], v133 offset:6160
	ds_load_b128 v[113:116], v133 offset:6144
	s_waitcnt lgkmcnt(8)
	;; [unrolled: 4-line block ×11, first 2 shown]
	s_barrier
	buffer_gl0_inv
	v_wmma_f32_16x16x16_f16 v[140:147], v[1:8], v[73:80], v[140:147]
	s_delay_alu instid0(VALU_DEP_1) | instskip(NEXT) | instid1(VALU_DEP_1)
	v_wmma_f32_16x16x16_f16 v[140:147], v[9:16], v[65:72], v[140:147]
	v_wmma_f32_16x16x16_f16 v[140:147], v[33:40], v[57:64], v[140:147]
	s_delay_alu instid0(VALU_DEP_1) | instskip(NEXT) | instid1(VALU_DEP_1)
	v_wmma_f32_16x16x16_f16 v[140:147], v[41:48], v[49:56], v[140:147]
	v_wmma_f32_16x16x16_f16 v[140:147], v[17:24], v[25:32], v[140:147]
	s_delay_alu instid0(VALU_DEP_1) | instskip(NEXT) | instid1(VALU_DEP_2)
	v_cvt_f16_f32_e64 v1, v140
	v_cvt_f16_f32_e64 v2, v141
	s_delay_alu instid0(VALU_DEP_3) | instskip(NEXT) | instid1(VALU_DEP_4)
	v_cvt_f16_f32_e64 v3, v142
	v_cvt_f16_f32_e64 v4, v143
	;; [unrolled: 1-line block ×6, first 2 shown]
	v_pack_b32_f16 v1, v1, v2
	v_pack_b32_f16 v2, v3, v4
	;; [unrolled: 1-line block ×3, first 2 shown]
	s_delay_alu instid0(VALU_DEP_4)
	v_pack_b32_f16 v4, v7, v8
	ds_store_b128 v134, v[1:4]
	s_waitcnt lgkmcnt(0)
	s_barrier
	buffer_gl0_inv
	ds_load_b128 v[1:4], v135
	ds_load_b128 v[5:8], v135 offset:16
	s_waitcnt lgkmcnt(1)
	v_lshrrev_b32_e32 v9, 16, v1
	s_waitcnt lgkmcnt(0)
	v_lshrrev_b32_e32 v13, 16, v5
	v_lshrrev_b32_e32 v10, 16, v2
	;; [unrolled: 1-line block ×4, first 2 shown]
	v_cndmask_b32_e64 v17, v1, v9, s2
	v_cndmask_b32_e64 v18, v5, v13, s2
	;; [unrolled: 1-line block ×3, first 2 shown]
	v_cmp_eq_u32_e64 s2, 2, v130
	v_cndmask_b32_e64 v20, v5, v13, s4
	v_cndmask_b32_e32 v21, v1, v9, vcc_lo
	v_cndmask_b32_e32 v22, v5, v13, vcc_lo
	v_cndmask_b32_e64 v1, v1, v9, s3
	v_cndmask_b32_e64 v5, v5, v13, s3
	v_cmp_eq_u32_e32 vcc_lo, 2, v132
	v_cmp_eq_u32_e64 s3, 2, v131
	v_cndmask_b32_e64 v9, v17, v2, s5
	v_cndmask_b32_e64 v13, v18, v6, s5
	;; [unrolled: 1-line block ×4, first 2 shown]
	v_cndmask_b32_e32 v19, v21, v2, vcc_lo
	v_cmp_eq_u32_e64 s2, 3, v132
	v_cndmask_b32_e32 v20, v22, v6, vcc_lo
	v_cndmask_b32_e64 v1, v1, v2, s3
	v_cmp_eq_u32_e32 vcc_lo, 3, v131
	v_cmp_eq_u32_e64 s4, 3, v129
	v_cndmask_b32_e64 v2, v5, v6, s3
	v_cmp_eq_u32_e64 s3, 3, v130
	v_cmp_eq_u32_e64 s5, 4, v129
	v_cndmask_b32_e32 v1, v1, v10, vcc_lo
	v_cndmask_b32_e64 v5, v9, v10, s4
	v_cndmask_b32_e64 v6, v13, v14, s4
	v_cndmask_b32_e64 v9, v17, v10, s3
	v_cmp_eq_u32_e64 s4, 4, v130
	v_cndmask_b32_e64 v13, v18, v14, s3
	v_cndmask_b32_e64 v17, v19, v10, s2
	;; [unrolled: 1-line block ×3, first 2 shown]
	v_cndmask_b32_e32 v2, v2, v14, vcc_lo
	v_cmp_eq_u32_e32 vcc_lo, 4, v132
	v_cmp_eq_u32_e64 s3, 4, v131
	v_lshrrev_b32_e32 v15, 16, v7
	v_cndmask_b32_e64 v5, v5, v3, s5
	v_cndmask_b32_e64 v6, v6, v7, s5
	v_cndmask_b32_e32 v14, v18, v7, vcc_lo
	v_cndmask_b32_e64 v9, v9, v3, s4
	v_cndmask_b32_e64 v10, v13, v7, s4
	v_cndmask_b32_e32 v13, v17, v3, vcc_lo
	v_cmp_eq_u32_e64 s2, 5, v132
	v_cndmask_b32_e64 v1, v1, v3, s3
	v_cmp_eq_u32_e32 vcc_lo, 5, v131
	v_cmp_eq_u32_e64 s4, 5, v129
	v_cndmask_b32_e64 v2, v2, v7, s3
	v_cmp_eq_u32_e64 s3, 5, v130
	v_cmp_eq_u32_e64 s5, 6, v129
	v_lshrrev_b32_e32 v12, 16, v4
	v_cndmask_b32_e64 v3, v5, v11, s4
	v_cndmask_b32_e64 v5, v6, v15, s4
	;; [unrolled: 1-line block ×3, first 2 shown]
	v_cmp_eq_u32_e64 s4, 6, v130
	v_cndmask_b32_e64 v7, v10, v15, s3
	v_cndmask_b32_e64 v9, v13, v11, s2
	;; [unrolled: 1-line block ×3, first 2 shown]
	v_cndmask_b32_e32 v1, v1, v11, vcc_lo
	v_cndmask_b32_e32 v2, v2, v15, vcc_lo
	v_cmp_eq_u32_e32 vcc_lo, 6, v132
	v_cmp_eq_u32_e64 s2, 6, v131
	v_lshrrev_b32_e32 v16, 16, v8
	v_cndmask_b32_e64 v3, v3, v4, s5
	v_cndmask_b32_e64 v5, v5, v8, s5
	v_cndmask_b32_e32 v9, v9, v4, vcc_lo
	v_cndmask_b32_e64 v6, v6, v4, s4
	v_cndmask_b32_e64 v7, v7, v8, s4
	v_cmp_eq_u32_e64 s3, 7, v132
	v_cndmask_b32_e32 v10, v10, v8, vcc_lo
	v_cndmask_b32_e64 v1, v1, v4, s2
	v_cmp_eq_u32_e32 vcc_lo, 7, v131
	v_cndmask_b32_e64 v2, v2, v8, s2
	v_cmp_eq_u32_e64 s2, 7, v129
	v_cmp_eq_u32_e64 s4, 7, v130
	v_cndmask_b32_e32 v1, v1, v12, vcc_lo
	s_delay_alu instid0(VALU_DEP_4) | instskip(NEXT) | instid1(VALU_DEP_4)
	v_cndmask_b32_e32 v2, v2, v16, vcc_lo
	v_cndmask_b32_e64 v8, v3, v12, s2
	s_delay_alu instid0(VALU_DEP_4)
	v_cndmask_b32_e64 v6, v6, v12, s4
	v_cndmask_b32_e64 v3, v9, v12, s3
	;; [unrolled: 1-line block ×5, first 2 shown]
	v_perm_b32 v4, v2, v1, 0x5040100
	s_mov_b32 s2, exec_lo
	v_perm_b32 v3, v9, v3, 0x5040100
	v_perm_b32 v2, v7, v6, 0x5040100
	;; [unrolled: 1-line block ×3, first 2 shown]
	ds_store_b128 v134, v[1:4]
	s_waitcnt lgkmcnt(0)
	s_barrier
	buffer_gl0_inv
	v_cmpx_gt_u32_e32 32, v0
	s_cbranch_execz .LBB237_2
; %bb.15:
	s_load_b64 s[0:1], s[0:1], 0x68
	s_lshl_b32 s4, s34, 7
	v_or_b32_e32 v2, s31, v138
	s_mul_i32 s2, s4, s30
	v_lshlrev_b32_e32 v1, 10, v0
	s_mul_i32 s2, s2, s6
	v_lshlrev_b32_e32 v3, 4, v139
	v_mul_lo_u32 v0, v2, s4
	s_ashr_i32 s3, s2, 31
	v_lshlrev_b32_e32 v4, 6, v138
	v_and_b32_e32 v1, 0x3800, v1
	v_or_b32_e32 v5, 2, v2
	s_lshl_b64 s[2:3], s[2:3], 1
	v_or_b32_e32 v6, 4, v2
	v_or_b32_e32 v7, 6, v2
	v_or3_b32 v12, v1, v3, v4
	v_ashrrev_i32_e32 v1, 31, v0
	v_mul_lo_u32 v2, v5, s4
	v_mul_lo_u32 v16, v6, s4
	;; [unrolled: 1-line block ×3, first 2 shown]
	s_waitcnt lgkmcnt(0)
	s_add_u32 s2, s0, s2
	s_addc_u32 s3, s1, s3
	s_lshl_b32 s0, s14, 7
	v_lshlrev_b64 v[0:1], 1, v[0:1]
	s_ashr_i32 s1, s0, 31
	v_ashrrev_i32_e32 v3, 31, v2
	s_lshl_b64 s[0:1], s[0:1], 1
	v_ashrrev_i32_e32 v17, 31, v16
	s_add_u32 s0, s2, s0
	s_addc_u32 s1, s3, s1
	v_add_co_u32 v24, s0, s0, v137
	s_delay_alu instid0(VALU_DEP_1) | instskip(SKIP_1) | instid1(VALU_DEP_3)
	v_add_co_ci_u32_e64 v25, null, s1, 0, s0
	v_lshlrev_b64 v[22:23], 1, v[2:3]
	v_add_co_u32 v18, vcc_lo, v24, v0
	s_delay_alu instid0(VALU_DEP_3)
	v_add_co_ci_u32_e32 v19, vcc_lo, v25, v1, vcc_lo
	ds_load_b128 v[0:3], v12
	ds_load_b128 v[4:7], v12 offset:128
	ds_load_b128 v[8:11], v12 offset:256
	;; [unrolled: 1-line block ×3, first 2 shown]
	v_ashrrev_i32_e32 v21, 31, v20
	v_lshlrev_b64 v[16:17], 1, v[16:17]
	v_add_co_u32 v22, vcc_lo, v24, v22
	v_add_co_ci_u32_e32 v23, vcc_lo, v25, v23, vcc_lo
	s_delay_alu instid0(VALU_DEP_4) | instskip(NEXT) | instid1(VALU_DEP_4)
	v_lshlrev_b64 v[20:21], 1, v[20:21]
	v_add_co_u32 v16, vcc_lo, v24, v16
	v_add_co_ci_u32_e32 v17, vcc_lo, v25, v17, vcc_lo
	s_delay_alu instid0(VALU_DEP_3) | instskip(NEXT) | instid1(VALU_DEP_4)
	v_add_co_u32 v20, vcc_lo, v24, v20
	v_add_co_ci_u32_e32 v21, vcc_lo, v25, v21, vcc_lo
	s_waitcnt lgkmcnt(3)
	global_store_b128 v[18:19], v[0:3], off
	s_waitcnt lgkmcnt(2)
	global_store_b128 v[22:23], v[4:7], off
	s_waitcnt lgkmcnt(1)
	global_store_b128 v[16:17], v[8:11], off
	s_waitcnt lgkmcnt(0)
	global_store_b128 v[20:21], v[12:15], off
	s_nop 0
	s_sendmsg sendmsg(MSG_DEALLOC_VGPRS)
	s_endpgm
	.section	.rodata,"a",@progbits
	.p2align	6, 0x0
	.amdhsa_kernel _Z39paged_attention_ll4mi_QKV_mfma16_kernelIDF16_DF16_LN4vllm18Fp8KVCacheDataTypeE0EhLi16ELi128ELi256ELb0ELi8EL8MFMAType0EEvPKT_PKT0_S8_ifPKiSA_SA_iPKfiiiPfSD_PS3_PT2_iSC_SC_
		.amdhsa_group_segment_fixed_size 17472
		.amdhsa_private_segment_fixed_size 0
		.amdhsa_kernarg_size 400
		.amdhsa_user_sgpr_count 13
		.amdhsa_user_sgpr_dispatch_ptr 0
		.amdhsa_user_sgpr_queue_ptr 0
		.amdhsa_user_sgpr_kernarg_segment_ptr 1
		.amdhsa_user_sgpr_dispatch_id 0
		.amdhsa_user_sgpr_private_segment_size 0
		.amdhsa_wavefront_size32 1
		.amdhsa_uses_dynamic_stack 0
		.amdhsa_enable_private_segment 0
		.amdhsa_system_sgpr_workgroup_id_x 1
		.amdhsa_system_sgpr_workgroup_id_y 1
		.amdhsa_system_sgpr_workgroup_id_z 1
		.amdhsa_system_sgpr_workgroup_info 0
		.amdhsa_system_vgpr_workitem_id 0
		.amdhsa_next_free_vgpr 218
		.amdhsa_next_free_sgpr 52
		.amdhsa_reserve_vcc 1
		.amdhsa_float_round_mode_32 0
		.amdhsa_float_round_mode_16_64 0
		.amdhsa_float_denorm_mode_32 3
		.amdhsa_float_denorm_mode_16_64 3
		.amdhsa_dx10_clamp 1
		.amdhsa_ieee_mode 1
		.amdhsa_fp16_overflow 0
		.amdhsa_workgroup_processor_mode 1
		.amdhsa_memory_ordered 1
		.amdhsa_forward_progress 0
		.amdhsa_shared_vgpr_count 0
		.amdhsa_exception_fp_ieee_invalid_op 0
		.amdhsa_exception_fp_denorm_src 0
		.amdhsa_exception_fp_ieee_div_zero 0
		.amdhsa_exception_fp_ieee_overflow 0
		.amdhsa_exception_fp_ieee_underflow 0
		.amdhsa_exception_fp_ieee_inexact 0
		.amdhsa_exception_int_div_zero 0
	.end_amdhsa_kernel
	.section	.text._Z39paged_attention_ll4mi_QKV_mfma16_kernelIDF16_DF16_LN4vllm18Fp8KVCacheDataTypeE0EhLi16ELi128ELi256ELb0ELi8EL8MFMAType0EEvPKT_PKT0_S8_ifPKiSA_SA_iPKfiiiPfSD_PS3_PT2_iSC_SC_,"axG",@progbits,_Z39paged_attention_ll4mi_QKV_mfma16_kernelIDF16_DF16_LN4vllm18Fp8KVCacheDataTypeE0EhLi16ELi128ELi256ELb0ELi8EL8MFMAType0EEvPKT_PKT0_S8_ifPKiSA_SA_iPKfiiiPfSD_PS3_PT2_iSC_SC_,comdat
.Lfunc_end237:
	.size	_Z39paged_attention_ll4mi_QKV_mfma16_kernelIDF16_DF16_LN4vllm18Fp8KVCacheDataTypeE0EhLi16ELi128ELi256ELb0ELi8EL8MFMAType0EEvPKT_PKT0_S8_ifPKiSA_SA_iPKfiiiPfSD_PS3_PT2_iSC_SC_, .Lfunc_end237-_Z39paged_attention_ll4mi_QKV_mfma16_kernelIDF16_DF16_LN4vllm18Fp8KVCacheDataTypeE0EhLi16ELi128ELi256ELb0ELi8EL8MFMAType0EEvPKT_PKT0_S8_ifPKiSA_SA_iPKfiiiPfSD_PS3_PT2_iSC_SC_
                                        ; -- End function
	.section	.AMDGPU.csdata,"",@progbits
; Kernel info:
; codeLenInByte = 8088
; NumSgprs: 54
; NumVgprs: 218
; ScratchSize: 0
; MemoryBound: 0
; FloatMode: 240
; IeeeMode: 1
; LDSByteSize: 17472 bytes/workgroup (compile time only)
; SGPRBlocks: 6
; VGPRBlocks: 27
; NumSGPRsForWavesPerEU: 54
; NumVGPRsForWavesPerEU: 218
; Occupancy: 6
; WaveLimiterHint : 1
; COMPUTE_PGM_RSRC2:SCRATCH_EN: 0
; COMPUTE_PGM_RSRC2:USER_SGPR: 13
; COMPUTE_PGM_RSRC2:TRAP_HANDLER: 0
; COMPUTE_PGM_RSRC2:TGID_X_EN: 1
; COMPUTE_PGM_RSRC2:TGID_Y_EN: 1
; COMPUTE_PGM_RSRC2:TGID_Z_EN: 1
; COMPUTE_PGM_RSRC2:TIDIG_COMP_CNT: 0
	.section	.text._Z39paged_attention_ll4mi_QKV_mfma16_kernelIDF16_DF16_LN4vllm18Fp8KVCacheDataTypeE0EhLi16ELi128ELi256ELb0ELi9EL8MFMAType0EEvPKT_PKT0_S8_ifPKiSA_SA_iPKfiiiPfSD_PS3_PT2_iSC_SC_,"axG",@progbits,_Z39paged_attention_ll4mi_QKV_mfma16_kernelIDF16_DF16_LN4vllm18Fp8KVCacheDataTypeE0EhLi16ELi128ELi256ELb0ELi9EL8MFMAType0EEvPKT_PKT0_S8_ifPKiSA_SA_iPKfiiiPfSD_PS3_PT2_iSC_SC_,comdat
	.protected	_Z39paged_attention_ll4mi_QKV_mfma16_kernelIDF16_DF16_LN4vllm18Fp8KVCacheDataTypeE0EhLi16ELi128ELi256ELb0ELi9EL8MFMAType0EEvPKT_PKT0_S8_ifPKiSA_SA_iPKfiiiPfSD_PS3_PT2_iSC_SC_ ; -- Begin function _Z39paged_attention_ll4mi_QKV_mfma16_kernelIDF16_DF16_LN4vllm18Fp8KVCacheDataTypeE0EhLi16ELi128ELi256ELb0ELi9EL8MFMAType0EEvPKT_PKT0_S8_ifPKiSA_SA_iPKfiiiPfSD_PS3_PT2_iSC_SC_
	.globl	_Z39paged_attention_ll4mi_QKV_mfma16_kernelIDF16_DF16_LN4vllm18Fp8KVCacheDataTypeE0EhLi16ELi128ELi256ELb0ELi9EL8MFMAType0EEvPKT_PKT0_S8_ifPKiSA_SA_iPKfiiiPfSD_PS3_PT2_iSC_SC_
	.p2align	8
	.type	_Z39paged_attention_ll4mi_QKV_mfma16_kernelIDF16_DF16_LN4vllm18Fp8KVCacheDataTypeE0EhLi16ELi128ELi256ELb0ELi9EL8MFMAType0EEvPKT_PKT0_S8_ifPKiSA_SA_iPKfiiiPfSD_PS3_PT2_iSC_SC_,@function
_Z39paged_attention_ll4mi_QKV_mfma16_kernelIDF16_DF16_LN4vllm18Fp8KVCacheDataTypeE0EhLi16ELi128ELi256ELb0ELi9EL8MFMAType0EEvPKT_PKT0_S8_ifPKiSA_SA_iPKfiiiPfSD_PS3_PT2_iSC_SC_: ; @_Z39paged_attention_ll4mi_QKV_mfma16_kernelIDF16_DF16_LN4vllm18Fp8KVCacheDataTypeE0EhLi16ELi128ELi256ELb0ELi9EL8MFMAType0EEvPKT_PKT0_S8_ifPKiSA_SA_iPKfiiiPfSD_PS3_PT2_iSC_SC_
; %bb.0:
	s_load_b64 s[4:5], s[0:1], 0x30
	s_mov_b32 s34, s13
	s_waitcnt lgkmcnt(0)
	s_cmp_lg_u64 s[4:5], 0
	s_cselect_b32 s8, -1, 0
	s_ashr_i32 s35, s13, 31
	s_cmp_eq_u64 s[4:5], 0
	s_cbranch_scc1 .LBB238_3
; %bb.1:
	s_lshl_b64 s[2:3], s[34:35], 2
	s_delay_alu instid0(SALU_CYCLE_1) | instskip(SKIP_4) | instid1(SALU_CYCLE_1)
	s_add_u32 s2, s4, s2
	s_addc_u32 s3, s5, s3
	s_load_b64 s[2:3], s[2:3], 0x0
	s_waitcnt lgkmcnt(0)
	s_sub_i32 s2, s3, s2
	s_cmp_eq_u32 s2, 1
	s_cselect_b32 s2, -1, 0
	s_delay_alu instid0(SALU_CYCLE_1)
	s_and_not1_b32 vcc_lo, exec_lo, s2
	s_cbranch_vccz .LBB238_4
.LBB238_2:
	s_nop 0
	s_sendmsg sendmsg(MSG_DEALLOC_VGPRS)
	s_endpgm
.LBB238_3:
.LBB238_4:
	s_load_b64 s[2:3], s[0:1], 0x28
	s_lshl_b64 s[6:7], s[34:35], 2
	s_waitcnt lgkmcnt(0)
	s_add_u32 s2, s2, s6
	s_addc_u32 s3, s3, s7
	s_lshl_b32 s29, s14, 8
	s_load_b32 s28, s[2:3], 0x0
	s_waitcnt lgkmcnt(0)
	s_cmp_ge_i32 s29, s28
	s_cbranch_scc1 .LBB238_2
; %bb.5:
	s_clause 0x1
	s_load_b128 s[20:23], s[0:1], 0x8
	s_load_b64 s[2:3], s[0:1], 0x20
	s_and_not1_b32 vcc_lo, exec_lo, s8
	s_cbranch_vccnz .LBB238_7
; %bb.6:
	s_add_u32 s4, s4, s6
	s_addc_u32 s5, s5, s7
	s_load_b32 s5, s[4:5], 0x0
	s_branch .LBB238_8
.LBB238_7:
	s_mov_b32 s5, s34
.LBB238_8:
	s_load_b128 s[16:19], s[0:1], 0x48
	v_and_b32_e32 v140, 15, v0
	v_lshrrev_b32_e32 v141, 5, v0
	v_bfe_u32 v138, v0, 4, 1
	v_and_b32_e32 v142, 31, v0
	v_and_b32_e32 v139, 1, v0
	v_lshlrev_b32_e32 v2, 3, v140
	s_mul_i32 s31, s15, 9
	v_lshl_or_b32 v1, v141, 1, v138
	s_mov_b32 s4, exec_lo
	s_delay_alu instid0(VALU_DEP_2) | instskip(NEXT) | instid1(VALU_DEP_2)
	v_lshlrev_b32_e32 v137, 1, v2
	v_cmpx_gt_u32_e32 9, v1
	s_cbranch_execz .LBB238_10
; %bb.9:
	s_load_b64 s[6:7], s[0:1], 0x0
	v_add_lshl_u32 v2, v1, s31, 7
	s_waitcnt lgkmcnt(0)
	s_mul_hi_i32 s9, s5, s16
	s_mul_i32 s8, s5, s16
	v_lshlrev_b32_e32 v6, 10, v140
	s_lshl_b64 s[8:9], s[8:9], 1
	v_ashrrev_i32_e32 v3, 31, v2
	v_lshlrev_b32_e32 v1, 6, v1
	v_lshlrev_b32_e32 v7, 10, v139
	v_and_b32_e32 v6, 0x3800, v6
	s_delay_alu instid0(VALU_DEP_4) | instskip(NEXT) | instid1(VALU_DEP_2)
	v_lshlrev_b64 v[2:3], 1, v[2:3]
	v_or3_b32 v1, v6, v7, v1
	s_add_u32 s5, s6, s8
	s_addc_u32 s6, s7, s9
	s_delay_alu instid0(VALU_DEP_2) | instskip(NEXT) | instid1(VALU_DEP_3)
	v_add_co_u32 v2, vcc_lo, s5, v2
	v_add_co_ci_u32_e32 v3, vcc_lo, s6, v3, vcc_lo
	s_delay_alu instid0(VALU_DEP_2) | instskip(NEXT) | instid1(VALU_DEP_2)
	v_add_co_u32 v2, vcc_lo, v2, v137
	v_add_co_ci_u32_e32 v3, vcc_lo, 0, v3, vcc_lo
	global_load_b128 v[2:5], v[2:3], off
	s_waitcnt vmcnt(0)
	ds_store_b128 v1, v[2:5]
.LBB238_10:
	s_or_b32 exec_lo, exec_lo, s4
	v_and_b32_e32 v1, 0xef, v0
	s_waitcnt lgkmcnt(0)
	s_add_i32 s5, s28, 15
	s_clause 0x1
	s_load_b32 s4, s[0:1], 0x38
	s_load_b32 s33, s[0:1], 0x98
	s_ashr_i32 s6, s5, 31
	v_add_nc_u32_e32 v1, s29, v1
	s_lshr_b32 s6, s6, 28
	s_load_b32 s30, s[0:1], 0x1c
	s_add_i32 s5, s5, s6
	s_waitcnt lgkmcnt(0)
	v_ashrrev_i32_e32 v2, 31, v1
	v_cmp_gt_i32_e32 vcc_lo, s28, v1
	s_ashr_i32 s16, s5, 4
	s_barrier
	s_add_i32 s16, s16, -1
	v_lshrrev_b32_e32 v3, 28, v2
	v_or_b32_e32 v2, 16, v1
	buffer_gl0_inv
	v_add_nc_u32_e32 v105, -9, v140
	v_lshlrev_b32_e32 v106, 5, v140
	v_add_nc_u32_e32 v4, v1, v3
	v_add_nc_u32_e32 v3, v2, v3
	s_mul_i32 s4, s34, s4
	s_delay_alu instid0(SALU_CYCLE_1) | instskip(NEXT) | instid1(VALU_DEP_2)
	s_ashr_i32 s5, s4, 31
	v_ashrrev_i32_e32 v4, 4, v4
	s_delay_alu instid0(VALU_DEP_2)
	v_ashrrev_i32_e32 v3, 4, v3
	s_lshl_b64 s[4:5], s[4:5], 2
	v_lshl_or_b32 v125, v141, 9, v106
	s_add_u32 s35, s2, s4
	v_cndmask_b32_e32 v1, s16, v4, vcc_lo
	v_cmp_gt_i32_e32 vcc_lo, s28, v2
	s_addc_u32 s36, s3, s5
	s_mul_i32 s2, s15, s18
	s_delay_alu instid0(VALU_DEP_2) | instskip(SKIP_2) | instid1(SALU_CYCLE_1)
	v_ashrrev_i32_e32 v2, 31, v1
	v_cndmask_b32_e32 v3, s16, v3, vcc_lo
	s_ashr_i32 s3, s2, 31
	s_lshl_b64 s[2:3], s[2:3], 1
	s_delay_alu instid0(VALU_DEP_2) | instskip(NEXT) | instid1(VALU_DEP_2)
	v_lshlrev_b64 v[1:2], 2, v[1:2]
	v_ashrrev_i32_e32 v4, 31, v3
	s_add_u32 s24, s20, s2
	s_addc_u32 s25, s21, s3
	s_lshl_b32 s4, s14, 4
	s_delay_alu instid0(VALU_DEP_1) | instskip(SKIP_3) | instid1(VALU_DEP_3)
	v_lshlrev_b64 v[3:4], 2, v[3:4]
	v_add_co_u32 v1, vcc_lo, s35, v1
	v_add_co_ci_u32_e32 v2, vcc_lo, s36, v2, vcc_lo
	s_ashr_i32 s5, s4, 31
	v_add_co_u32 v3, vcc_lo, s35, v3
	s_delay_alu instid0(VALU_DEP_4)
	v_add_co_ci_u32_e32 v4, vcc_lo, s36, v4, vcc_lo
	s_lshl_b64 s[4:5], s[4:5], 2
	s_clause 0x1
	global_load_b32 v5, v[1:2], off
	global_load_b32 v6, v[3:4], off
	s_add_u32 s4, s35, s4
	s_addc_u32 s5, s36, s5
	s_or_b32 s6, s29, 16
	v_lshlrev_b32_e32 v3, 4, v0
	s_ashr_i32 s7, s6, 4
	s_cmp_lt_i32 s6, s28
	s_cselect_b32 s6, s7, s16
	s_delay_alu instid0(SALU_CYCLE_1) | instskip(NEXT) | instid1(SALU_CYCLE_1)
	s_ashr_i32 s7, s6, 31
	s_lshl_b64 s[6:7], s[6:7], 2
	s_delay_alu instid0(SALU_CYCLE_1) | instskip(SKIP_2) | instid1(SALU_CYCLE_1)
	s_add_u32 s6, s35, s6
	s_addc_u32 s7, s36, s7
	s_or_b32 s8, s29, 32
	s_ashr_i32 s9, s8, 4
	s_cmp_lt_i32 s8, s28
	s_cselect_b32 s8, s9, s16
	s_delay_alu instid0(SALU_CYCLE_1) | instskip(NEXT) | instid1(SALU_CYCLE_1)
	s_ashr_i32 s9, s8, 31
	s_lshl_b64 s[8:9], s[8:9], 2
	s_delay_alu instid0(SALU_CYCLE_1) | instskip(SKIP_2) | instid1(SALU_CYCLE_1)
	s_add_u32 s8, s35, s8
	s_addc_u32 s9, s36, s9
	s_or_b32 s10, s29, 48
	;; [unrolled: 10-line block ×4, first 2 shown]
	s_ashr_i32 s13, s12, 4
	s_cmp_lt_i32 s12, s28
	s_cselect_b32 s12, s13, s16
	s_delay_alu instid0(SALU_CYCLE_1) | instskip(NEXT) | instid1(SALU_CYCLE_1)
	s_ashr_i32 s13, s12, 31
	s_lshl_b64 s[12:13], s[12:13], 2
	s_delay_alu instid0(SALU_CYCLE_1)
	s_add_u32 s20, s35, s12
	s_addc_u32 s21, s36, s13
	s_clause 0x5
	s_load_b32 s37, s[4:5], 0x0
	s_load_b32 s27, s[6:7], 0x0
	;; [unrolled: 1-line block ×6, first 2 shown]
	s_waitcnt vmcnt(1)
	v_mad_i64_i32 v[1:2], null, v5, s17, 0
	v_and_b32_e32 v5, 0xf0, v3
	s_waitcnt vmcnt(0)
	v_mad_i64_i32 v[3:4], null, v6, s17, 0
	s_delay_alu instid0(VALU_DEP_2) | instskip(NEXT) | instid1(VALU_DEP_4)
	v_add_co_u32 v5, s4, s24, v5
	v_lshlrev_b64 v[1:2], 1, v[1:2]
	v_add_co_ci_u32_e64 v6, null, s25, 0, s4
	s_delay_alu instid0(VALU_DEP_4) | instskip(SKIP_1) | instid1(VALU_DEP_3)
	v_lshlrev_b64 v[3:4], 1, v[3:4]
	s_or_b32 s4, s29, 0x60
	v_add_co_u32 v121, vcc_lo, v5, v1
	s_delay_alu instid0(VALU_DEP_3) | instskip(NEXT) | instid1(VALU_DEP_3)
	v_add_co_ci_u32_e32 v122, vcc_lo, v6, v2, vcc_lo
	v_add_co_u32 v123, vcc_lo, v5, v3
	s_delay_alu instid0(VALU_DEP_4)
	v_add_co_ci_u32_e32 v124, vcc_lo, v6, v4, vcc_lo
	s_clause 0x19
	global_load_b128 v[89:92], v[121:122], off
	global_load_b128 v[93:96], v[121:122], off offset:256
	global_load_b128 v[97:100], v[123:124], off
	global_load_b128 v[101:104], v[123:124], off offset:256
	global_load_b128 v[81:84], v[121:122], off offset:512
	;; [unrolled: 1-line block ×23, first 2 shown]
	s_ashr_i32 s5, s4, 4
	s_cmp_lt_i32 s4, s28
	v_cmp_gt_u32_e32 vcc_lo, 9, v140
	s_cselect_b32 s4, s5, s16
	s_delay_alu instid0(SALU_CYCLE_1) | instskip(NEXT) | instid1(SALU_CYCLE_1)
	s_ashr_i32 s5, s4, 31
	s_lshl_b64 s[4:5], s[4:5], 2
	v_cndmask_b32_e32 v105, v105, v140, vcc_lo
	s_add_u32 s18, s35, s4
	s_addc_u32 s19, s36, s5
	s_or_b32 s4, s29, 0x70
	s_delay_alu instid0(SALU_CYCLE_1)
	s_ashr_i32 s5, s4, 4
	s_cmp_lt_i32 s4, s28
	v_lshlrev_b32_e32 v215, 6, v105
	s_cselect_b32 s6, s5, s16
	ds_load_b128 v[105:108], v215
	ds_load_b128 v[109:112], v215 offset:1024
	s_ashr_i32 s7, s6, 31
	ds_load_b128 v[113:116], v215 offset:2048
	ds_load_b128 v[117:120], v215 offset:3072
	;; [unrolled: 1-line block ×8, first 2 shown]
	s_clause 0x1
	global_load_b128 v[167:170], v[123:124], off offset:3072
	global_load_b128 v[171:174], v[123:124], off offset:3328
	s_lshl_b64 s[6:7], s[6:7], 2
	s_mov_b32 s4, 0
	s_add_u32 s20, s35, s6
	s_addc_u32 s21, s36, s7
	s_clause 0x1
	s_load_b32 s41, s[18:19], 0x0
	s_load_b32 s46, s[20:21], 0x0
	s_clause 0x3
	global_load_b128 v[175:178], v[121:122], off offset:3584
	global_load_b128 v[179:182], v[121:122], off offset:3840
	global_load_b128 v[183:186], v[123:124], off offset:3584
	global_load_b128 v[187:190], v[123:124], off offset:3840
	s_or_b32 s7, s29, 0x80
	s_mov_b32 s5, s4
	s_ashr_i32 s8, s7, 4
	s_cmp_lt_i32 s7, s28
	s_mov_b32 s6, s4
	s_cselect_b32 s10, s8, s16
	s_mov_b32 s7, s4
	s_ashr_i32 s11, s10, 31
	s_mov_b32 s8, s4
	s_lshl_b64 s[24:25], s[10:11], 2
	s_mov_b32 s9, s4
	s_add_u32 s24, s35, s24
	s_addc_u32 s25, s36, s25
	s_or_b32 s11, s29, 0x90
	s_mov_b32 s10, s4
	s_ashr_i32 s38, s11, 4
	s_cmp_lt_i32 s11, s28
	s_mov_b32 s11, s4
	s_cselect_b32 s38, s38, s16
	v_mov_b32_e32 v136, s11
	s_ashr_i32 s39, s38, 31
	v_dual_mov_b32 v135, s10 :: v_dual_mov_b32 v134, s9
	v_dual_mov_b32 v133, s8 :: v_dual_mov_b32 v132, s7
	;; [unrolled: 1-line block ×3, first 2 shown]
	v_mov_b32_e32 v129, s4
	s_lshl_b64 s[4:5], s[38:39], 2
	s_waitcnt lgkmcnt(0)
	s_mul_hi_i32 s7, s27, s17
	s_add_u32 s38, s35, s4
	s_addc_u32 s39, s36, s5
	s_or_b32 s4, s29, 0xa0
	s_load_b32 s40, s[38:39], 0x0
	s_ashr_i32 s5, s4, 4
	s_cmp_lt_i32 s4, s28
	s_cselect_b32 s4, s5, s16
	s_delay_alu instid0(SALU_CYCLE_1) | instskip(NEXT) | instid1(SALU_CYCLE_1)
	s_ashr_i32 s5, s4, 31
	s_lshl_b64 s[4:5], s[4:5], 2
	s_delay_alu instid0(SALU_CYCLE_1)
	s_add_u32 s42, s35, s4
	s_addc_u32 s43, s36, s5
	s_or_b32 s4, s29, 0xb0
	s_load_b32 s39, s[42:43], 0x0
	s_ashr_i32 s6, s4, 4
	s_cmp_lt_i32 s4, s28
	s_mul_hi_i32 s5, s37, s17
	s_cselect_b32 s8, s6, s16
	s_mul_i32 s6, s27, s17
	s_ashr_i32 s9, s8, 31
	s_mul_i32 s4, s37, s17
	s_lshl_b64 s[10:11], s[8:9], 2
	s_mul_hi_i32 s9, s26, s17
	s_add_u32 s44, s35, s10
	s_addc_u32 s45, s36, s11
	s_or_b32 s10, s29, 0xc0
	s_mul_i32 s8, s26, s17
	s_ashr_i32 s26, s10, 4
	s_cmp_lt_i32 s10, s28
	s_mul_hi_i32 s11, s13, s17
	s_cselect_b32 s26, s26, s16
	s_mul_i32 s10, s13, s17
	s_ashr_i32 s27, s26, 31
	s_mul_hi_i32 s13, s12, s17
	s_lshl_b64 s[26:27], s[26:27], 2
	s_mul_i32 s12, s12, s17
	s_add_u32 s20, s35, s26
	s_addc_u32 s21, s36, s27
	s_or_b32 s18, s29, 0xd0
	s_load_b32 s26, s[24:25], 0x0
	s_ashr_i32 s19, s18, 4
	s_cmp_lt_i32 s18, s28
	s_mul_i32 s18, s15, s17
	s_cselect_b32 s24, s19, s16
	s_mul_hi_i32 s19, s15, s17
	s_ashr_i32 s25, s24, 31
	s_delay_alu instid0(SALU_CYCLE_1) | instskip(NEXT) | instid1(SALU_CYCLE_1)
	s_lshl_b64 s[24:25], s[24:25], 2
	s_add_u32 s24, s35, s24
	s_addc_u32 s25, s36, s25
	s_or_b32 s42, s29, 0xe0
	s_clause 0x2
	s_load_b32 s38, s[44:45], 0x0
	s_load_b32 s37, s[20:21], 0x0
	;; [unrolled: 1-line block ×3, first 2 shown]
	s_ashr_i32 s43, s42, 4
	s_cmp_lt_i32 s42, s28
	s_mul_hi_i32 s25, s46, s17
	s_cselect_b32 s42, s43, s16
	s_mul_i32 s24, s46, s17
	s_ashr_i32 s43, s42, 31
	s_mul_hi_i32 s21, s41, s17
	s_lshl_b64 s[42:43], s[42:43], 2
	s_mul_i32 s20, s41, s17
	s_add_u32 s42, s35, s42
	s_addc_u32 s43, s36, s43
	s_or_b32 s46, s29, 0xf0
	s_waitcnt lgkmcnt(0)
	s_mul_hi_i32 s27, s26, s17
	s_ashr_i32 s47, s46, 4
	s_cmp_lt_i32 s46, s28
	s_mul_i32 s26, s26, s17
	s_cselect_b32 s46, s47, s16
	s_mul_hi_i32 s41, s40, s17
	s_ashr_i32 s47, s46, 31
	s_mul_hi_i32 s51, s15, s17
	s_lshl_b64 s[46:47], s[46:47], 2
	s_mul_i32 s50, s15, s17
	s_add_u32 s46, s35, s46
	s_addc_u32 s47, s36, s47
	s_add_u32 s15, s22, s2
	s_addc_u32 s16, s23, s3
	v_add_co_u32 v216, s15, s15, v125
	s_delay_alu instid0(VALU_DEP_1) | instskip(SKIP_2) | instid1(VALU_DEP_2)
	v_add_co_ci_u32_e64 v217, null, s16, 0, s15
	s_lshl_b64 s[2:3], s[4:5], 1
	s_lshl_b64 s[4:5], s[6:7], 1
	v_add_co_u32 v125, vcc_lo, v216, s2
	s_delay_alu instid0(VALU_DEP_2)
	v_add_co_ci_u32_e32 v126, vcc_lo, s3, v217, vcc_lo
	v_add_co_u32 v199, vcc_lo, v216, s4
	s_lshl_b64 s[6:7], s[8:9], 1
	v_add_co_ci_u32_e32 v200, vcc_lo, s5, v217, vcc_lo
	s_lshl_b64 s[8:9], s[10:11], 1
	s_lshl_b64 s[10:11], s[12:13], 1
	;; [unrolled: 1-line block ×6, first 2 shown]
	s_mul_i32 s40, s40, s17
	s_mul_hi_i32 s45, s39, s17
	s_lshl_b64 s[24:25], s[40:41], 1
	s_mul_i32 s44, s39, s17
	s_mul_hi_i32 s39, s38, s17
	s_lshl_b64 s[26:27], s[44:45], 1
	s_mul_i32 s38, s38, s17
	s_mul_hi_i32 s49, s37, s17
	s_mul_i32 s48, s37, s17
	s_lshl_b64 s[36:37], s[38:39], 1
	s_lshl_b64 s[38:39], s[48:49], 1
	s_clause 0x1
	s_load_b32 s15, s[42:43], 0x0
	s_load_b32 s16, s[46:47], 0x0
	s_lshl_b64 s[40:41], s[50:51], 1
	s_waitcnt lgkmcnt(0)
	s_mul_hi_i32 s3, s15, s17
	s_mul_i32 s2, s15, s17
	s_mul_hi_i32 s5, s16, s17
	s_lshl_b64 s[2:3], s[2:3], 1
	s_mul_i32 s4, s16, s17
	s_waitcnt vmcnt(30)
	v_wmma_f32_16x16x16_f16 v[191:198], v[89:96], v[105:112], v[129:136]
	v_add_co_u32 v89, vcc_lo, v216, s6
	v_add_co_ci_u32_e32 v90, vcc_lo, s7, v217, vcc_lo
	v_add_co_u32 v91, vcc_lo, v216, s8
	v_add_co_ci_u32_e32 v92, vcc_lo, s9, v217, vcc_lo
	;; [unrolled: 2-line block ×5, first 2 shown]
	v_add_co_u32 v205, vcc_lo, v216, s20
	s_waitcnt vmcnt(28)
	v_wmma_f32_16x16x16_f16 v[129:136], v[97:104], v[105:112], v[129:136]
	v_add_co_ci_u32_e32 v206, vcc_lo, s21, v217, vcc_lo
	v_add_co_u32 v207, vcc_lo, v216, s22
	v_add_co_ci_u32_e32 v208, vcc_lo, s23, v217, vcc_lo
	v_add_co_u32 v209, vcc_lo, v216, s24
	s_waitcnt vmcnt(26)
	v_wmma_f32_16x16x16_f16 v[191:198], v[81:88], v[113:120], v[191:198]
	s_waitcnt vmcnt(24)
	v_wmma_f32_16x16x16_f16 v[129:136], v[73:80], v[113:120], v[129:136]
	v_add_co_ci_u32_e32 v210, vcc_lo, s25, v217, vcc_lo
	v_add_co_u32 v211, vcc_lo, v216, s26
	v_add_co_ci_u32_e32 v212, vcc_lo, s27, v217, vcc_lo
	v_add_co_u32 v213, vcc_lo, v216, s36
	s_waitcnt vmcnt(22)
	v_wmma_f32_16x16x16_f16 v[191:198], v[65:72], v[143:150], v[191:198]
	s_waitcnt vmcnt(20)
	v_wmma_f32_16x16x16_f16 v[129:136], v[57:64], v[143:150], v[129:136]
	v_add_co_ci_u32_e32 v214, vcc_lo, s37, v217, vcc_lo
	v_add_co_u32 v143, vcc_lo, v216, s38
	s_waitcnt vmcnt(18)
	v_wmma_f32_16x16x16_f16 v[191:198], v[49:56], v[151:158], v[191:198]
	s_waitcnt vmcnt(16)
	v_wmma_f32_16x16x16_f16 v[129:136], v[25:32], v[151:158], v[129:136]
	v_add_co_ci_u32_e32 v144, vcc_lo, s39, v217, vcc_lo
	s_clause 0x15
	global_load_b128 v[121:124], v[125:126], off
	global_load_b128 v[125:128], v[125:126], off offset:16
	global_load_b128 v[113:116], v[199:200], off
	global_load_b128 v[117:120], v[199:200], off offset:16
	global_load_b128 v[105:108], v[89:90], off
	global_load_b128 v[109:112], v[89:90], off offset:16
	global_load_b128 v[97:100], v[91:92], off
	global_load_b128 v[101:104], v[91:92], off offset:16
	global_load_b128 v[89:92], v[93:94], off
	global_load_b128 v[93:96], v[93:94], off offset:16
	global_load_b128 v[81:84], v[201:202], off
	global_load_b128 v[85:88], v[201:202], off offset:16
	global_load_b128 v[73:76], v[203:204], off
	global_load_b128 v[77:80], v[203:204], off offset:16
	global_load_b128 v[65:68], v[205:206], off
	global_load_b128 v[69:72], v[205:206], off offset:16
	global_load_b128 v[57:60], v[207:208], off
	global_load_b128 v[61:64], v[207:208], off offset:16
	global_load_b128 v[49:52], v[209:210], off
	global_load_b128 v[53:56], v[209:210], off offset:16
	global_load_b128 v[25:28], v[211:212], off
	global_load_b128 v[29:32], v[211:212], off offset:16
	s_waitcnt vmcnt(36)
	v_wmma_f32_16x16x16_f16 v[191:198], v[1:8], v[159:166], v[191:198]
	s_clause 0x1
	global_load_b128 v[1:4], v[213:214], off
	global_load_b128 v[5:8], v[213:214], off offset:16
	s_waitcnt vmcnt(36)
	v_wmma_f32_16x16x16_f16 v[129:136], v[9:16], v[159:166], v[129:136]
	s_clause 0x1
	global_load_b128 v[9:12], v[143:144], off
	global_load_b128 v[13:16], v[143:144], off offset:16
	ds_load_b128 v[143:146], v215 offset:10240
	ds_load_b128 v[147:150], v215 offset:11264
	;; [unrolled: 1-line block ×4, first 2 shown]
	v_add_co_u32 v199, vcc_lo, v216, s40
	v_add_co_ci_u32_e32 v200, vcc_lo, s41, v217, vcc_lo
	v_add_co_u32 v159, vcc_lo, v216, s2
	v_add_co_ci_u32_e32 v160, vcc_lo, s3, v217, vcc_lo
	s_lshl_b64 s[2:3], s[4:5], 1
	s_delay_alu instid0(SALU_CYCLE_1)
	v_add_co_u32 v161, vcc_lo, v216, s2
	v_add_co_ci_u32_e32 v162, vcc_lo, s3, v217, vcc_lo
	s_waitcnt vmcnt(36) lgkmcnt(2)
	v_wmma_f32_16x16x16_f16 v[191:198], v[33:40], v[143:150], v[191:198]
	s_waitcnt vmcnt(34)
	v_wmma_f32_16x16x16_f16 v[129:136], v[41:48], v[143:150], v[129:136]
	s_clause 0x3
	global_load_b128 v[33:36], v[199:200], off
	global_load_b128 v[37:40], v[199:200], off offset:16
	global_load_b128 v[41:44], v[159:160], off
	global_load_b128 v[45:48], v[159:160], off offset:16
	v_and_b32_e32 v143, 0xe0, v0
	v_mbcnt_lo_u32_b32 v159, -1, 0
	s_waitcnt vmcnt(36) lgkmcnt(0)
	v_wmma_f32_16x16x16_f16 v[191:198], v[17:24], v[151:158], v[191:198]
	s_clause 0x1
	global_load_b128 v[17:20], v[161:162], off
	global_load_b128 v[21:24], v[161:162], off offset:16
	s_waitcnt vmcnt(36)
	v_wmma_f32_16x16x16_f16 v[129:136], v[167:174], v[151:158], v[129:136]
	v_add_nc_u32_e32 v160, s29, v143
	ds_load_b128 v[143:146], v215 offset:14336
	ds_load_b128 v[147:150], v215 offset:15360
	v_xor_b32_e32 v151, 16, v159
	s_waitcnt vmcnt(0) lgkmcnt(0)
	s_barrier
	v_or_b32_e32 v152, v160, v138
	buffer_gl0_inv
	v_cmp_gt_i32_e32 vcc_lo, 32, v151
	v_or_b32_e32 v153, 2, v152
	v_or_b32_e32 v154, 4, v152
	;; [unrolled: 1-line block ×5, first 2 shown]
	v_cmp_gt_i32_e64 s2, s28, v153
	v_cmp_gt_i32_e64 s3, s28, v154
	;; [unrolled: 1-line block ×3, first 2 shown]
	v_or_b32_e32 v158, 12, v152
	v_cmp_gt_i32_e64 s5, s28, v156
	v_cmp_gt_i32_e64 s6, s28, v157
	v_wmma_f32_16x16x16_f16 v[191:198], v[175:182], v[143:150], v[191:198]
	v_wmma_f32_16x16x16_f16 v[129:136], v[183:190], v[143:150], v[129:136]
	v_cndmask_b32_e32 v151, v159, v151, vcc_lo
	v_cmp_gt_i32_e32 vcc_lo, s28, v152
	v_or_b32_e32 v159, 14, v152
	v_dual_mul_f32 v149, s30, v192 :: v_dual_mul_f32 v150, s30, v191
	v_dual_mul_f32 v147, s30, v194 :: v_dual_mul_f32 v148, s30, v193
	v_mul_f32_e32 v145, s30, v196
	s_delay_alu instid0(VALU_DEP_3) | instskip(NEXT) | instid1(VALU_DEP_4)
	v_cndmask_b32_e64 v149, 0xff7fffff, v149, s2
	v_cndmask_b32_e32 v150, 0xff7fffff, v150, vcc_lo
	v_mul_f32_e32 v146, s30, v195
	v_cndmask_b32_e64 v148, 0xff7fffff, v148, s3
	v_cndmask_b32_e64 v147, 0xff7fffff, v147, s4
	v_or_b32_e32 v160, 16, v152
	v_max3_f32 v149, v150, 0xff7fffff, v149
	v_or_b32_e32 v161, 18, v152
	v_dual_mul_f32 v143, s30, v198 :: v_dual_mul_f32 v144, s30, v197
	v_cndmask_b32_e64 v146, 0xff7fffff, v146, s5
	v_cndmask_b32_e64 v145, 0xff7fffff, v145, s6
	v_max3_f32 v147, v149, v148, v147
	v_cmp_gt_i32_e64 s7, s28, v158
	v_cmp_gt_i32_e64 s8, s28, v159
	v_or_b32_e32 v162, 20, v152
	v_or_b32_e32 v163, 22, v152
	v_dual_mul_f32 v174, s30, v130 :: v_dual_mul_f32 v175, s30, v129
	v_cndmask_b32_e64 v144, 0xff7fffff, v144, s7
	v_cndmask_b32_e64 v143, 0xff7fffff, v143, s8
	v_max3_f32 v145, v147, v146, v145
	v_cmp_gt_i32_e64 s9, s28, v160
	v_cmp_gt_i32_e64 s10, s28, v161
	v_or_b32_e32 v164, 24, v152
	;; [unrolled: 8-line block ×3, first 2 shown]
	v_or_b32_e32 v167, 30, v152
	v_dual_mul_f32 v170, s30, v134 :: v_dual_mul_f32 v171, s30, v133
	v_cndmask_b32_e64 v144, 0xff7fffff, v173, s11
	v_cndmask_b32_e64 v145, 0xff7fffff, v172, s12
	v_max3_f32 v143, v143, v146, v147
	v_cmp_gt_i32_e64 s13, s28, v164
	v_cmp_gt_i32_e64 s15, s28, v165
	v_dual_mul_f32 v168, s30, v136 :: v_dual_mul_f32 v169, s30, v135
	s_delay_alu instid0(VALU_DEP_4) | instskip(NEXT) | instid1(VALU_DEP_4)
	v_max3_f32 v143, v143, v144, v145
	v_cndmask_b32_e64 v146, 0xff7fffff, v171, s13
	s_delay_alu instid0(VALU_DEP_4) | instskip(SKIP_3) | instid1(VALU_DEP_4)
	v_cndmask_b32_e64 v147, 0xff7fffff, v170, s15
	v_cmp_gt_i32_e64 s16, s28, v166
	v_cmp_gt_i32_e64 s17, s28, v167
	v_lshlrev_b32_e32 v160, 2, v151
	v_max3_f32 v143, v143, v146, v147
	s_delay_alu instid0(VALU_DEP_4) | instskip(NEXT) | instid1(VALU_DEP_4)
	v_cndmask_b32_e64 v144, 0xff7fffff, v169, s16
	v_cndmask_b32_e64 v145, 0xff7fffff, v168, s17
	s_delay_alu instid0(VALU_DEP_1) | instskip(SKIP_3) | instid1(VALU_DEP_1)
	v_max3_f32 v143, v143, v144, v145
	ds_bpermute_b32 v144, v160, v143
	s_waitcnt lgkmcnt(0)
	v_max_f32_e32 v144, v144, v144
	v_max_f32_e32 v159, v143, v144
	s_delay_alu instid0(VALU_DEP_1) | instskip(SKIP_4) | instid1(VALU_DEP_4)
	v_fma_f32 v143, s30, v191, -v159
	v_fma_f32 v144, s30, v192, -v159
	;; [unrolled: 1-line block ×5, first 2 shown]
	v_dual_mul_f32 v143, 0x3fb8aa3b, v143 :: v_dual_mul_f32 v144, 0x3fb8aa3b, v144
	s_delay_alu instid0(VALU_DEP_4) | instskip(SKIP_2) | instid1(VALU_DEP_4)
	v_mul_f32_e32 v132, 0x3fb8aa3b, v132
	v_fma_f32 v134, s30, v134, -v159
	v_mul_f32_e32 v145, 0x3fb8aa3b, v145
	v_exp_f32_e32 v143, v143
	v_exp_f32_e32 v147, v144
	v_fma_f32 v148, s30, v195, -v159
	v_mul_f32_e32 v134, 0x3fb8aa3b, v134
	v_mul_f32_e32 v146, 0x3fb8aa3b, v146
	v_exp_f32_e32 v145, v145
	v_fma_f32 v149, s30, v196, -v159
	v_mul_f32_e32 v148, 0x3fb8aa3b, v148
	v_fma_f32 v151, s30, v197, -v159
	v_exp_f32_e32 v150, v146
	v_cndmask_b32_e32 v144, 0, v143, vcc_lo
	v_cndmask_b32_e64 v143, 0, v147, s2
	v_mul_f32_e32 v149, 0x3fb8aa3b, v149
	v_exp_f32_e32 v148, v148
	v_fma_f32 v152, s30, v198, -v159
	v_add_f32_e32 v147, 0, v144
	v_cndmask_b32_e64 v146, 0, v145, s3
	v_mul_f32_e32 v151, 0x3fb8aa3b, v151
	v_exp_f32_e32 v149, v149
	v_cndmask_b32_e64 v145, 0, v150, s4
	v_add_f32_e32 v147, v147, v143
	v_fma_f32 v129, s30, v129, -v159
	v_mul_f32_e32 v150, 0x3fb8aa3b, v152
	v_exp_f32_e32 v151, v151
	v_cndmask_b32_e64 v148, 0, v148, s5
	v_add_f32_e32 v147, v147, v146
	v_fma_f32 v130, s30, v130, -v159
	v_mul_f32_e32 v129, 0x3fb8aa3b, v129
	v_exp_f32_e32 v153, v150
	v_fma_f32 v131, s30, v131, -v159
	v_add_f32_e32 v152, v147, v145
	v_cndmask_b32_e64 v147, 0, v149, s6
	v_mul_f32_e32 v130, 0x3fb8aa3b, v130
	v_exp_f32_e32 v129, v129
	v_cndmask_b32_e64 v150, 0, v151, s7
	v_add_f32_e32 v149, v152, v148
	v_mul_f32_e32 v131, 0x3fb8aa3b, v131
	v_exp_f32_e32 v130, v130
	v_fma_f32 v133, s30, v133, -v159
	v_exp_f32_e32 v132, v132
	v_add_f32_e32 v151, v149, v147
	v_cndmask_b32_e64 v149, 0, v153, s8
	v_exp_f32_e32 v131, v131
	v_cndmask_b32_e64 v152, 0, v129, s9
	v_mul_f32_e32 v133, 0x3fb8aa3b, v133
	v_add_f32_e32 v151, v151, v150
	v_cmp_gt_u32_e64 s2, 16, v142
	s_delay_alu instid0(VALU_DEP_3) | instskip(NEXT) | instid1(VALU_DEP_2)
	v_exp_f32_e32 v133, v133
	v_add_f32_e32 v129, v151, v149
	v_cndmask_b32_e64 v151, 0, v130, s10
	v_fma_f32 v130, s30, v135, -v159
	s_delay_alu instid0(TRANS32_DEP_2)
	v_cndmask_b32_e64 v154, 0, v131, s11
	v_exp_f32_e32 v131, v134
	v_add_f32_e32 v129, v129, v152
	v_cndmask_b32_e64 v153, 0, v132, s12
	v_mul_f32_e32 v130, 0x3fb8aa3b, v130
	v_fma_f32 v132, s30, v136, -v159
	v_cndmask_b32_e64 v156, 0, v133, s13
	v_add_f32_e32 v129, v129, v151
	s_delay_alu instid0(VALU_DEP_4) | instskip(NEXT) | instid1(VALU_DEP_3)
	v_exp_f32_e32 v130, v130
	v_mul_f32_e32 v132, 0x3fb8aa3b, v132
	s_delay_alu instid0(TRANS32_DEP_2) | instskip(NEXT) | instid1(VALU_DEP_3)
	v_cndmask_b32_e64 v155, 0, v131, s15
	v_add_f32_e32 v129, v129, v154
	s_delay_alu instid0(VALU_DEP_3) | instskip(NEXT) | instid1(VALU_DEP_1)
	v_exp_f32_e32 v131, v132
	v_add_f32_e32 v129, v129, v153
	s_waitcnt_depctr 0xfff
	v_cndmask_b32_e64 v158, 0, v130, s16
	v_add_f32_e32 v129, v129, v156
	v_cndmask_b32_e64 v157, 0, v131, s17
	s_delay_alu instid0(VALU_DEP_2) | instskip(NEXT) | instid1(VALU_DEP_1)
	v_add_f32_e32 v129, v129, v155
	v_add_f32_e32 v129, v129, v158
	s_delay_alu instid0(VALU_DEP_1)
	v_add_f32_e32 v129, v129, v157
	ds_bpermute_b32 v130, v160, v129
	s_and_saveexec_b32 s3, s2
	s_cbranch_execz .LBB238_12
; %bb.11:
	v_mul_u32_u24_e32 v131, 0x44, v141
	s_delay_alu instid0(VALU_DEP_1) | instskip(SKIP_1) | instid1(VALU_DEP_1)
	v_lshl_add_u32 v131, v140, 2, v131
	s_waitcnt lgkmcnt(0)
	v_dual_add_f32 v129, v129, v130 :: v_dual_add_nc_u32 v130, 0x4000, v131
	ds_store_2addr_b32 v130, v159, v129 offset1:136
.LBB238_12:
	s_or_b32 exec_lo, exec_lo, s3
	v_lshlrev_b32_e32 v129, 2, v140
	s_load_b32 s35, s[0:1], 0x94
	s_waitcnt lgkmcnt(0)
	s_barrier
	buffer_gl0_inv
	v_add_nc_u32_e32 v135, 0x4000, v129
	v_cmp_eq_u32_e32 vcc_lo, 1, v141
	v_cmp_eq_u32_e64 s3, 2, v141
	v_cmp_eq_u32_e64 s4, 3, v141
	;; [unrolled: 1-line block ×3, first 2 shown]
	ds_load_2addr_b32 v[129:130], v135 offset1:17
	ds_load_2addr_b32 v[131:132], v135 offset0:34 offset1:51
	ds_load_2addr_b32 v[133:134], v135 offset0:68 offset1:85
	;; [unrolled: 1-line block ×3, first 2 shown]
	v_cmp_eq_u32_e64 s6, 5, v141
	v_cmp_eq_u32_e64 s7, 7, v141
	s_waitcnt lgkmcnt(3)
	v_max3_f32 v136, v129, 0xff7fffff, v130
	s_waitcnt lgkmcnt(2)
	s_delay_alu instid0(VALU_DEP_1) | instskip(SKIP_1) | instid1(VALU_DEP_1)
	v_max3_f32 v136, v136, v131, v132
	s_waitcnt lgkmcnt(1)
	v_max3_f32 v136, v136, v133, v134
	s_waitcnt lgkmcnt(0)
	s_delay_alu instid0(VALU_DEP_1) | instskip(NEXT) | instid1(VALU_DEP_1)
	v_max3_f32 v136, v136, v159, v160
	v_sub_f32_e32 v142, v130, v136
	ds_load_2addr_b32 v[161:162], v135 offset0:136 offset1:153
	v_sub_f32_e32 v164, v132, v136
	v_mul_f32_e32 v142, 0x3fb8aa3b, v142
	s_delay_alu instid0(VALU_DEP_2) | instskip(NEXT) | instid1(VALU_DEP_2)
	v_mul_f32_e32 v164, 0x3fb8aa3b, v164
	v_exp_f32_e32 v166, v142
	v_sub_f32_e32 v129, v129, v136
	s_delay_alu instid0(VALU_DEP_2) | instskip(NEXT) | instid1(VALU_DEP_1)
	v_exp_f32_e32 v164, v164
	v_mul_f32_e32 v163, 0x3fb8aa3b, v129
	ds_load_2addr_b32 v[129:130], v135 offset0:170 offset1:187
	v_exp_f32_e32 v163, v163
	s_waitcnt lgkmcnt(1)
	s_waitcnt_depctr 0xfff
	v_fma_f32 v142, v163, v161, 0
	v_sub_f32_e32 v161, v134, v136
	s_delay_alu instid0(VALU_DEP_2) | instskip(NEXT) | instid1(VALU_DEP_1)
	v_dual_fmac_f32 v142, v166, v162 :: v_dual_sub_f32 v131, v131, v136
	v_mul_f32_e32 v165, 0x3fb8aa3b, v131
	ds_load_2addr_b32 v[131:132], v135 offset0:204 offset1:221
	v_exp_f32_e32 v165, v165
	s_waitcnt lgkmcnt(1)
	s_waitcnt_depctr 0xfff
	v_fmac_f32_e32 v142, v165, v129
	v_sub_f32_e32 v133, v133, v136
	v_sub_f32_e32 v129, v160, v136
	s_delay_alu instid0(VALU_DEP_2) | instskip(NEXT) | instid1(VALU_DEP_2)
	v_dual_fmac_f32 v142, v164, v130 :: v_dual_mul_f32 v167, 0x3fb8aa3b, v133
	v_mul_f32_e32 v129, 0x3fb8aa3b, v129
	ds_load_2addr_b32 v[133:134], v135 offset0:238 offset1:255
	v_cndmask_b32_e32 v130, v163, v166, vcc_lo
	s_waitcnt lgkmcnt(0)
	s_barrier
	v_exp_f32_e32 v162, v129
	v_sub_f32_e32 v135, v159, v136
	v_mul_f32_e32 v159, 0x3fb8aa3b, v161
	v_exp_f32_e32 v161, v167
	buffer_gl0_inv
	v_exp_f32_e32 v159, v159
	v_fmac_f32_e32 v142, v161, v131
	s_waitcnt_depctr 0xfff
	v_dual_mul_f32 v135, 0x3fb8aa3b, v135 :: v_dual_fmac_f32 v142, v159, v132
	s_delay_alu instid0(VALU_DEP_1) | instskip(SKIP_2) | instid1(VALU_DEP_1)
	v_exp_f32_e32 v160, v135
	s_waitcnt_depctr 0xfff
	v_dual_fmac_f32 v142, v160, v133 :: v_dual_lshlrev_b32 v133, 6, v140
	v_fmac_f32_e32 v142, v162, v134
	s_delay_alu instid0(VALU_DEP_2) | instskip(NEXT) | instid1(VALU_DEP_2)
	v_lshl_or_b32 v135, v141, 11, v133
	v_add_f32_e32 v134, 0x358637bd, v142
	s_delay_alu instid0(VALU_DEP_1) | instskip(SKIP_1) | instid1(VALU_DEP_2)
	v_div_scale_f32 v167, null, v134, v134, 1.0
	v_div_scale_f32 v163, vcc_lo, 1.0, v134, 1.0
	v_rcp_f32_e32 v168, v167
	s_waitcnt_depctr 0xfff
	v_fma_f32 v129, -v167, v168, 1.0
	s_delay_alu instid0(VALU_DEP_1) | instskip(SKIP_2) | instid1(VALU_DEP_2)
	v_fmac_f32_e32 v168, v129, v168
	v_cndmask_b32_e64 v129, v130, v165, s3
	v_cmp_eq_u32_e64 s3, 6, v141
	v_cndmask_b32_e64 v130, v129, v164, s4
	v_lshlrev_b32_e32 v129, 2, v138
	v_mul_f32_e32 v165, v163, v168
	s_delay_alu instid0(VALU_DEP_3) | instskip(NEXT) | instid1(VALU_DEP_3)
	v_cndmask_b32_e64 v161, v130, v161, s5
	v_or_b32_e32 v130, 1, v129
	s_delay_alu instid0(VALU_DEP_3)
	v_fma_f32 v131, -v167, v165, v163
	v_or_b32_e32 v132, 2, v129
	v_cmp_eq_u32_e64 s4, 1, v129
	v_cndmask_b32_e64 v141, v161, v159, s6
	v_cmp_eq_u32_e64 s9, 1, v130
	v_fmac_f32_e32 v165, v131, v168
	v_or_b32_e32 v131, 3, v129
	v_cmp_eq_u32_e64 s10, 1, v132
	v_cndmask_b32_e64 v141, v141, v160, s3
	v_cmp_eq_u32_e64 s5, 2, v129
	v_fma_f32 v159, -v167, v165, v163
	v_cmp_eq_u32_e64 s11, 1, v131
	v_cmp_eq_u32_e64 s16, 2, v131
	v_cndmask_b32_e64 v141, v141, v162, s7
	v_cmp_eq_u32_e64 s12, 2, v130
	v_div_fmas_f32 v159, v159, v168, v165
	v_cmp_eq_u32_e64 s18, 3, v131
	v_cmp_eq_u32_e32 vcc_lo, 3, v129
	v_cmp_eq_u32_e64 s13, 3, v130
	v_cmp_eq_u32_e64 s15, 2, v132
	v_div_fixup_f32 v159, v159, v134, 1.0
	v_lshl_or_b32 v134, v138, 4, v135
	v_cmp_eq_u32_e64 s22, 4, v131
	v_cmp_eq_u32_e64 s3, 4, v129
	;; [unrolled: 1-line block ×3, first 2 shown]
	v_mul_f32_e32 v141, v141, v159
	v_cmp_eq_u32_e64 s19, 4, v130
	v_cmp_eq_u32_e64 s24, 5, v131
	;; [unrolled: 1-line block ×4, first 2 shown]
	v_fma_mixlo_f16 v159, v141, v144, 0
	v_fma_mixlo_f16 v160, v141, v146, 0
	;; [unrolled: 1-line block ×8, first 2 shown]
	v_fma_mixhi_f16 v159, v141, v143, 0
	v_fma_mixhi_f16 v160, v141, v145, 0
	;; [unrolled: 1-line block ×8, first 2 shown]
	ds_store_b128 v134, v[159:162]
	ds_store_b128 v134, v[163:166] offset:1024
	s_waitcnt lgkmcnt(0)
	s_barrier
	buffer_gl0_inv
	ds_load_b128 v[143:146], v135
	ds_load_b128 v[147:150], v135 offset:16
	ds_load_b128 v[151:154], v135 offset:1024
	;; [unrolled: 1-line block ×3, first 2 shown]
	v_cmp_eq_u32_e64 s21, 4, v132
	v_cmp_eq_u32_e64 s27, 6, v131
	v_cmp_eq_u32_e64 s7, 6, v129
	v_cmp_eq_u32_e64 s23, 5, v132
	v_cmp_eq_u32_e64 s25, 6, v130
	v_cmp_eq_u32_e64 s29, 7, v131
	v_cmp_eq_u32_e64 s8, 7, v129
	v_cmp_eq_u32_e64 s26, 6, v132
	v_cmp_eq_u32_e64 s30, 7, v130
	v_cmp_eq_u32_e64 s28, 7, v132
	s_waitcnt lgkmcnt(3)
	v_lshrrev_b32_e32 v141, 16, v143
	s_waitcnt lgkmcnt(2)
	v_lshrrev_b32_e32 v162, 16, v147
	v_lshrrev_b32_e32 v159, 16, v144
	;; [unrolled: 1-line block ×3, first 2 shown]
	s_waitcnt lgkmcnt(1)
	v_lshrrev_b32_e32 v166, 16, v151
	v_cndmask_b32_e64 v174, v143, v141, s4
	v_cndmask_b32_e64 v176, v143, v141, s9
	;; [unrolled: 1-line block ×5, first 2 shown]
	s_waitcnt lgkmcnt(0)
	v_lshrrev_b32_e32 v170, 16, v155
	v_cndmask_b32_e64 v175, v147, v162, s4
	v_cndmask_b32_e64 v177, v147, v162, s9
	;; [unrolled: 1-line block ×19, first 2 shown]
	v_lshrrev_b32_e32 v160, 16, v145
	v_lshrrev_b32_e32 v164, 16, v149
	;; [unrolled: 1-line block ×4, first 2 shown]
	v_cndmask_b32_e64 v176, v178, v144, s15
	v_cndmask_b32_e64 v177, v179, v148, s15
	;; [unrolled: 1-line block ×8, first 2 shown]
	v_cndmask_b32_e32 v155, v166, v159, vcc_lo
	v_cndmask_b32_e32 v166, v170, v163, vcc_lo
	v_cndmask_b32_e64 v170, v174, v159, s13
	v_cndmask_b32_e64 v174, v175, v163, s13
	;; [unrolled: 1-line block ×6, first 2 shown]
	v_cndmask_b32_e32 v144, v144, v167, vcc_lo
	v_cndmask_b32_e32 v147, v147, v171, vcc_lo
	v_cndmask_b32_e64 v148, v148, v167, s13
	v_cndmask_b32_e64 v155, v155, v145, s3
	;; [unrolled: 1-line block ×7, first 2 shown]
	v_lshrrev_b32_e32 v161, 16, v146
	v_lshrrev_b32_e32 v165, 16, v150
	;; [unrolled: 1-line block ×4, first 2 shown]
	v_cndmask_b32_e64 v170, v175, v145, s21
	v_cndmask_b32_e64 v174, v176, v149, s21
	;; [unrolled: 1-line block ×22, first 2 shown]
	v_lshrrev_b32_e32 v169, 16, v154
	v_cndmask_b32_e64 v160, v163, v146, s26
	v_cndmask_b32_e64 v163, v166, v150, s26
	;; [unrolled: 1-line block ×9, first 2 shown]
	v_perm_b32 v146, v143, v141, 0x5040100
	v_cndmask_b32_e64 v141, v183, v156, s15
	v_cndmask_b32_e64 v143, v181, v156, s12
	;; [unrolled: 1-line block ×4, first 2 shown]
	v_perm_b32 v144, v159, v149, 0x5040100
	v_cndmask_b32_e64 v149, v162, v167, s17
	v_cndmask_b32_e64 v151, v151, v167, s18
	;; [unrolled: 1-line block ×15, first 2 shown]
	v_lshrrev_b32_e32 v173, 16, v158
	v_cndmask_b32_e64 v149, v149, v154, s26
	v_cndmask_b32_e64 v151, v151, v154, s27
	;; [unrolled: 1-line block ×13, first 2 shown]
	v_perm_b32 v145, v160, v155, 0x5040100
	v_perm_b32 v143, v148, v147, 0x5040100
	;; [unrolled: 1-line block ×6, first 2 shown]
	s_mul_i32 s7, s33, 9
	s_mov_b32 s3, exec_lo
	ds_store_b128 v134, v[143:146]
	ds_store_b128 v134, v[147:150] offset:1024
	v_cmpx_gt_u32_e32 9, v0
	s_cbranch_execz .LBB238_14
; %bb.13:
	s_mul_i32 s4, s7, s34
	s_load_b128 s[8:11], s[0:1], 0x58
	v_add3_u32 v143, s4, s31, v140
	s_delay_alu instid0(VALU_DEP_1) | instskip(NEXT) | instid1(VALU_DEP_1)
	v_mad_u64_u32 v[140:141], null, v143, s35, s[14:15]
	v_ashrrev_i32_e32 v141, 31, v140
	s_delay_alu instid0(VALU_DEP_1) | instskip(SKIP_1) | instid1(VALU_DEP_1)
	v_lshlrev_b64 v[140:141], 2, v[140:141]
	s_waitcnt lgkmcnt(0)
	v_add_co_u32 v143, vcc_lo, s10, v140
	s_delay_alu instid0(VALU_DEP_2)
	v_add_co_ci_u32_e32 v144, vcc_lo, s11, v141, vcc_lo
	v_add_co_u32 v140, vcc_lo, s8, v140
	v_add_co_ci_u32_e32 v141, vcc_lo, s9, v141, vcc_lo
	global_store_b32 v[143:144], v136, off
	global_store_b32 v[140:141], v142, off
.LBB238_14:
	s_or_b32 exec_lo, exec_lo, s3
	s_waitcnt lgkmcnt(0)
	s_waitcnt_vscnt null, 0x0
	s_barrier
	buffer_gl0_inv
	ds_load_b128 v[148:151], v133
	ds_load_b128 v[152:155], v133 offset:16
	ds_load_b128 v[160:163], v133 offset:1040
	;; [unrolled: 1-line block ×5, first 2 shown]
	v_cmp_eq_u32_e32 vcc_lo, 1, v132
	v_mov_b32_e32 v140, 0
	ds_load_b128 v[176:179], v133 offset:3088
	ds_load_b128 v[172:175], v133 offset:3072
	;; [unrolled: 1-line block ×4, first 2 shown]
	v_cmp_eq_u32_e64 s3, 1, v129
	v_cmp_eq_u32_e64 s4, 1, v131
	;; [unrolled: 1-line block ×3, first 2 shown]
	v_mov_b32_e32 v141, v140
	v_mov_b32_e32 v142, v140
	v_mov_b32_e32 v143, v140
	v_mov_b32_e32 v144, v140
	v_mov_b32_e32 v145, v140
	v_mov_b32_e32 v146, v140
	v_mov_b32_e32 v147, v140
	v_cmp_eq_u32_e64 s6, 2, v129
	s_waitcnt lgkmcnt(8)
	s_delay_alu instid0(VALU_DEP_2)
	v_wmma_f32_16x16x16_f16 v[140:147], v[121:128], v[148:155], v[140:147]
	ds_load_b128 v[125:128], v133 offset:5136
	ds_load_b128 v[121:124], v133 offset:5120
	s_waitcnt lgkmcnt(8)
	v_wmma_f32_16x16x16_f16 v[140:147], v[113:120], v[156:163], v[140:147]
	ds_load_b128 v[117:120], v133 offset:6160
	ds_load_b128 v[113:116], v133 offset:6144
	s_waitcnt lgkmcnt(8)
	;; [unrolled: 4-line block ×11, first 2 shown]
	s_barrier
	buffer_gl0_inv
	v_wmma_f32_16x16x16_f16 v[140:147], v[1:8], v[73:80], v[140:147]
	s_delay_alu instid0(VALU_DEP_1) | instskip(NEXT) | instid1(VALU_DEP_1)
	v_wmma_f32_16x16x16_f16 v[140:147], v[9:16], v[65:72], v[140:147]
	v_wmma_f32_16x16x16_f16 v[140:147], v[33:40], v[57:64], v[140:147]
	s_delay_alu instid0(VALU_DEP_1) | instskip(NEXT) | instid1(VALU_DEP_1)
	v_wmma_f32_16x16x16_f16 v[140:147], v[41:48], v[49:56], v[140:147]
	v_wmma_f32_16x16x16_f16 v[140:147], v[17:24], v[25:32], v[140:147]
	s_delay_alu instid0(VALU_DEP_1) | instskip(NEXT) | instid1(VALU_DEP_2)
	v_cvt_f16_f32_e64 v1, v140
	v_cvt_f16_f32_e64 v2, v141
	s_delay_alu instid0(VALU_DEP_3) | instskip(NEXT) | instid1(VALU_DEP_4)
	v_cvt_f16_f32_e64 v3, v142
	v_cvt_f16_f32_e64 v4, v143
	;; [unrolled: 1-line block ×6, first 2 shown]
	v_pack_b32_f16 v1, v1, v2
	v_pack_b32_f16 v2, v3, v4
	;; [unrolled: 1-line block ×3, first 2 shown]
	s_delay_alu instid0(VALU_DEP_4)
	v_pack_b32_f16 v4, v7, v8
	ds_store_b128 v134, v[1:4]
	s_waitcnt lgkmcnt(0)
	s_barrier
	buffer_gl0_inv
	ds_load_b128 v[1:4], v135
	ds_load_b128 v[5:8], v135 offset:16
	s_waitcnt lgkmcnt(1)
	v_lshrrev_b32_e32 v9, 16, v1
	s_waitcnt lgkmcnt(0)
	v_lshrrev_b32_e32 v13, 16, v5
	v_lshrrev_b32_e32 v10, 16, v2
	;; [unrolled: 1-line block ×4, first 2 shown]
	v_cndmask_b32_e64 v17, v1, v9, s3
	v_cndmask_b32_e64 v18, v5, v13, s3
	;; [unrolled: 1-line block ×3, first 2 shown]
	v_cmp_eq_u32_e64 s3, 2, v130
	v_cndmask_b32_e64 v20, v5, v13, s5
	v_cndmask_b32_e32 v21, v1, v9, vcc_lo
	v_cndmask_b32_e32 v22, v5, v13, vcc_lo
	v_cndmask_b32_e64 v1, v1, v9, s4
	v_cndmask_b32_e64 v5, v5, v13, s4
	v_cmp_eq_u32_e32 vcc_lo, 2, v132
	v_cmp_eq_u32_e64 s4, 2, v131
	v_cndmask_b32_e64 v9, v17, v2, s6
	v_cndmask_b32_e64 v13, v18, v6, s6
	;; [unrolled: 1-line block ×4, first 2 shown]
	v_cndmask_b32_e32 v19, v21, v2, vcc_lo
	v_cmp_eq_u32_e64 s3, 3, v132
	v_cndmask_b32_e32 v20, v22, v6, vcc_lo
	v_cndmask_b32_e64 v1, v1, v2, s4
	v_cmp_eq_u32_e32 vcc_lo, 3, v131
	v_cmp_eq_u32_e64 s5, 3, v129
	v_cndmask_b32_e64 v2, v5, v6, s4
	v_cmp_eq_u32_e64 s4, 3, v130
	v_cmp_eq_u32_e64 s6, 4, v129
	v_cndmask_b32_e32 v1, v1, v10, vcc_lo
	v_cndmask_b32_e64 v5, v9, v10, s5
	v_cndmask_b32_e64 v6, v13, v14, s5
	v_cndmask_b32_e64 v9, v17, v10, s4
	v_cmp_eq_u32_e64 s5, 4, v130
	v_cndmask_b32_e64 v13, v18, v14, s4
	v_cndmask_b32_e64 v17, v19, v10, s3
	v_cndmask_b32_e64 v18, v20, v14, s3
	v_cndmask_b32_e32 v2, v2, v14, vcc_lo
	v_cmp_eq_u32_e32 vcc_lo, 4, v132
	v_cmp_eq_u32_e64 s4, 4, v131
	v_lshrrev_b32_e32 v15, 16, v7
	v_cndmask_b32_e64 v5, v5, v3, s6
	v_cndmask_b32_e64 v6, v6, v7, s6
	v_cndmask_b32_e32 v14, v18, v7, vcc_lo
	v_cndmask_b32_e64 v9, v9, v3, s5
	v_cndmask_b32_e64 v10, v13, v7, s5
	v_cndmask_b32_e32 v13, v17, v3, vcc_lo
	v_cmp_eq_u32_e64 s3, 5, v132
	v_cndmask_b32_e64 v1, v1, v3, s4
	v_cmp_eq_u32_e32 vcc_lo, 5, v131
	v_cmp_eq_u32_e64 s5, 5, v129
	v_cndmask_b32_e64 v2, v2, v7, s4
	v_cmp_eq_u32_e64 s4, 5, v130
	v_cmp_eq_u32_e64 s6, 6, v129
	v_lshrrev_b32_e32 v12, 16, v4
	v_cndmask_b32_e64 v3, v5, v11, s5
	v_cndmask_b32_e64 v5, v6, v15, s5
	;; [unrolled: 1-line block ×3, first 2 shown]
	v_cmp_eq_u32_e64 s5, 6, v130
	v_cndmask_b32_e64 v7, v10, v15, s4
	v_cndmask_b32_e64 v9, v13, v11, s3
	;; [unrolled: 1-line block ×3, first 2 shown]
	v_cndmask_b32_e32 v1, v1, v11, vcc_lo
	v_cndmask_b32_e32 v2, v2, v15, vcc_lo
	v_cmp_eq_u32_e32 vcc_lo, 6, v132
	v_cmp_eq_u32_e64 s3, 6, v131
	v_lshrrev_b32_e32 v16, 16, v8
	v_cndmask_b32_e64 v3, v3, v4, s6
	v_cndmask_b32_e64 v5, v5, v8, s6
	v_cndmask_b32_e32 v9, v9, v4, vcc_lo
	v_cndmask_b32_e64 v6, v6, v4, s5
	v_cndmask_b32_e64 v7, v7, v8, s5
	v_cmp_eq_u32_e64 s4, 7, v132
	v_cndmask_b32_e32 v10, v10, v8, vcc_lo
	v_cndmask_b32_e64 v1, v1, v4, s3
	v_cmp_eq_u32_e32 vcc_lo, 7, v131
	v_cndmask_b32_e64 v2, v2, v8, s3
	v_cmp_eq_u32_e64 s3, 7, v129
	v_cmp_eq_u32_e64 s5, 7, v130
	v_cndmask_b32_e32 v1, v1, v12, vcc_lo
	s_delay_alu instid0(VALU_DEP_4) | instskip(NEXT) | instid1(VALU_DEP_4)
	v_cndmask_b32_e32 v2, v2, v16, vcc_lo
	v_cndmask_b32_e64 v8, v3, v12, s3
	s_delay_alu instid0(VALU_DEP_4)
	v_cndmask_b32_e64 v6, v6, v12, s5
	v_cndmask_b32_e64 v3, v9, v12, s4
	;; [unrolled: 1-line block ×5, first 2 shown]
	v_perm_b32 v4, v2, v1, 0x5040100
	s_mov_b32 s3, exec_lo
	v_perm_b32 v3, v9, v3, 0x5040100
	v_perm_b32 v2, v7, v6, 0x5040100
	v_perm_b32 v1, v5, v8, 0x5040100
	ds_store_b128 v134, v[1:4]
	s_waitcnt lgkmcnt(0)
	s_barrier
	buffer_gl0_inv
	v_cmpx_gt_u32_e32 32, v0
	s_cbranch_execz .LBB238_2
; %bb.15:
	s_load_b64 s[4:5], s[0:1], 0x68
	v_lshlrev_b32_e32 v0, 10, v0
	v_lshlrev_b32_e32 v1, 4, v139
	s_lshl_b32 s0, s35, 7
	v_add_nc_u32_e32 v2, s31, v138
	s_mul_i32 s1, s0, s34
	s_delay_alu instid0(SALU_CYCLE_1) | instskip(SKIP_1) | instid1(VALU_DEP_2)
	s_mul_i32 s6, s1, s7
	v_and_or_b32 v0, 0x3800, v0, v1
	v_mul_lo_u32 v1, v2, s0
	s_ashr_i32 s7, s6, 31
	v_add_nc_u32_e32 v3, 2, v2
	s_lshl_b64 s[6:7], s[6:7], 1
	v_add_nc_u32_e32 v4, 4, v2
	v_add_nc_u32_e32 v5, 6, v2
	v_lshl_or_b32 v15, v138, 6, v0
	v_mul_lo_u32 v3, v3, s0
	v_ashrrev_i32_e32 v2, 31, v1
	v_mul_lo_u32 v19, v4, s0
	v_mul_lo_u32 v21, v5, s0
	s_waitcnt lgkmcnt(0)
	s_add_u32 s1, s4, s6
	s_addc_u32 s3, s5, s7
	s_lshl_b32 s4, s14, 7
	v_lshlrev_b64 v[5:6], 1, v[1:2]
	s_ashr_i32 s5, s4, 31
	v_ashrrev_i32_e32 v4, 31, v3
	s_lshl_b64 s[4:5], s[4:5], 1
	v_ashrrev_i32_e32 v20, 31, v19
	s_add_u32 s1, s1, s4
	s_addc_u32 s3, s3, s5
	v_add_co_u32 v1, s1, s1, v137
	s_delay_alu instid0(VALU_DEP_1) | instskip(SKIP_1) | instid1(VALU_DEP_3)
	v_add_co_ci_u32_e64 v2, null, s3, 0, s1
	v_lshlrev_b64 v[25:26], 1, v[3:4]
	v_add_co_u32 v23, vcc_lo, v1, v5
	s_delay_alu instid0(VALU_DEP_3)
	v_add_co_ci_u32_e32 v24, vcc_lo, v2, v6, vcc_lo
	ds_load_b128 v[3:6], v15
	ds_load_b128 v[7:10], v15 offset:128
	ds_load_b128 v[11:14], v15 offset:256
	;; [unrolled: 1-line block ×3, first 2 shown]
	v_ashrrev_i32_e32 v22, 31, v21
	v_lshlrev_b64 v[19:20], 1, v[19:20]
	v_add_co_u32 v25, vcc_lo, v1, v25
	v_add_co_ci_u32_e32 v26, vcc_lo, v2, v26, vcc_lo
	s_delay_alu instid0(VALU_DEP_4) | instskip(NEXT) | instid1(VALU_DEP_4)
	v_lshlrev_b64 v[21:22], 1, v[21:22]
	v_add_co_u32 v19, vcc_lo, v1, v19
	v_add_co_ci_u32_e32 v20, vcc_lo, v2, v20, vcc_lo
	s_delay_alu instid0(VALU_DEP_3) | instskip(NEXT) | instid1(VALU_DEP_4)
	v_add_co_u32 v21, vcc_lo, v1, v21
	v_add_co_ci_u32_e32 v22, vcc_lo, v2, v22, vcc_lo
	s_waitcnt lgkmcnt(3)
	global_store_b128 v[23:24], v[3:6], off
	s_waitcnt lgkmcnt(2)
	global_store_b128 v[25:26], v[7:10], off
	;; [unrolled: 2-line block ×4, first 2 shown]
	s_and_b32 exec_lo, exec_lo, s2
	s_cbranch_execz .LBB238_2
; %bb.16:
	ds_load_b128 v[3:6], v0 offset:512
	s_add_i32 s1, s31, 8
	s_delay_alu instid0(SALU_CYCLE_1) | instskip(NEXT) | instid1(SALU_CYCLE_1)
	s_mul_i32 s0, s1, s0
	s_ashr_i32 s1, s0, 31
	s_delay_alu instid0(SALU_CYCLE_1) | instskip(NEXT) | instid1(SALU_CYCLE_1)
	s_lshl_b64 s[0:1], s[0:1], 1
	v_add_co_u32 v0, vcc_lo, v1, s0
	v_add_co_ci_u32_e32 v1, vcc_lo, s1, v2, vcc_lo
	s_waitcnt lgkmcnt(0)
	global_store_b128 v[0:1], v[3:6], off
	s_nop 0
	s_sendmsg sendmsg(MSG_DEALLOC_VGPRS)
	s_endpgm
	.section	.rodata,"a",@progbits
	.p2align	6, 0x0
	.amdhsa_kernel _Z39paged_attention_ll4mi_QKV_mfma16_kernelIDF16_DF16_LN4vllm18Fp8KVCacheDataTypeE0EhLi16ELi128ELi256ELb0ELi9EL8MFMAType0EEvPKT_PKT0_S8_ifPKiSA_SA_iPKfiiiPfSD_PS3_PT2_iSC_SC_
		.amdhsa_group_segment_fixed_size 17472
		.amdhsa_private_segment_fixed_size 0
		.amdhsa_kernarg_size 400
		.amdhsa_user_sgpr_count 13
		.amdhsa_user_sgpr_dispatch_ptr 0
		.amdhsa_user_sgpr_queue_ptr 0
		.amdhsa_user_sgpr_kernarg_segment_ptr 1
		.amdhsa_user_sgpr_dispatch_id 0
		.amdhsa_user_sgpr_private_segment_size 0
		.amdhsa_wavefront_size32 1
		.amdhsa_uses_dynamic_stack 0
		.amdhsa_enable_private_segment 0
		.amdhsa_system_sgpr_workgroup_id_x 1
		.amdhsa_system_sgpr_workgroup_id_y 1
		.amdhsa_system_sgpr_workgroup_id_z 1
		.amdhsa_system_sgpr_workgroup_info 0
		.amdhsa_system_vgpr_workitem_id 0
		.amdhsa_next_free_vgpr 218
		.amdhsa_next_free_sgpr 52
		.amdhsa_reserve_vcc 1
		.amdhsa_float_round_mode_32 0
		.amdhsa_float_round_mode_16_64 0
		.amdhsa_float_denorm_mode_32 3
		.amdhsa_float_denorm_mode_16_64 3
		.amdhsa_dx10_clamp 1
		.amdhsa_ieee_mode 1
		.amdhsa_fp16_overflow 0
		.amdhsa_workgroup_processor_mode 1
		.amdhsa_memory_ordered 1
		.amdhsa_forward_progress 0
		.amdhsa_shared_vgpr_count 0
		.amdhsa_exception_fp_ieee_invalid_op 0
		.amdhsa_exception_fp_denorm_src 0
		.amdhsa_exception_fp_ieee_div_zero 0
		.amdhsa_exception_fp_ieee_overflow 0
		.amdhsa_exception_fp_ieee_underflow 0
		.amdhsa_exception_fp_ieee_inexact 0
		.amdhsa_exception_int_div_zero 0
	.end_amdhsa_kernel
	.section	.text._Z39paged_attention_ll4mi_QKV_mfma16_kernelIDF16_DF16_LN4vllm18Fp8KVCacheDataTypeE0EhLi16ELi128ELi256ELb0ELi9EL8MFMAType0EEvPKT_PKT0_S8_ifPKiSA_SA_iPKfiiiPfSD_PS3_PT2_iSC_SC_,"axG",@progbits,_Z39paged_attention_ll4mi_QKV_mfma16_kernelIDF16_DF16_LN4vllm18Fp8KVCacheDataTypeE0EhLi16ELi128ELi256ELb0ELi9EL8MFMAType0EEvPKT_PKT0_S8_ifPKiSA_SA_iPKfiiiPfSD_PS3_PT2_iSC_SC_,comdat
.Lfunc_end238:
	.size	_Z39paged_attention_ll4mi_QKV_mfma16_kernelIDF16_DF16_LN4vllm18Fp8KVCacheDataTypeE0EhLi16ELi128ELi256ELb0ELi9EL8MFMAType0EEvPKT_PKT0_S8_ifPKiSA_SA_iPKfiiiPfSD_PS3_PT2_iSC_SC_, .Lfunc_end238-_Z39paged_attention_ll4mi_QKV_mfma16_kernelIDF16_DF16_LN4vllm18Fp8KVCacheDataTypeE0EhLi16ELi128ELi256ELb0ELi9EL8MFMAType0EEvPKT_PKT0_S8_ifPKiSA_SA_iPKfiiiPfSD_PS3_PT2_iSC_SC_
                                        ; -- End function
	.section	.AMDGPU.csdata,"",@progbits
; Kernel info:
; codeLenInByte = 8152
; NumSgprs: 54
; NumVgprs: 218
; ScratchSize: 0
; MemoryBound: 0
; FloatMode: 240
; IeeeMode: 1
; LDSByteSize: 17472 bytes/workgroup (compile time only)
; SGPRBlocks: 6
; VGPRBlocks: 27
; NumSGPRsForWavesPerEU: 54
; NumVGPRsForWavesPerEU: 218
; Occupancy: 6
; WaveLimiterHint : 1
; COMPUTE_PGM_RSRC2:SCRATCH_EN: 0
; COMPUTE_PGM_RSRC2:USER_SGPR: 13
; COMPUTE_PGM_RSRC2:TRAP_HANDLER: 0
; COMPUTE_PGM_RSRC2:TGID_X_EN: 1
; COMPUTE_PGM_RSRC2:TGID_Y_EN: 1
; COMPUTE_PGM_RSRC2:TGID_Z_EN: 1
; COMPUTE_PGM_RSRC2:TIDIG_COMP_CNT: 0
	.section	.text._Z39paged_attention_ll4mi_QKV_mfma16_kernelIDF16_DF16_LN4vllm18Fp8KVCacheDataTypeE0EhLi16ELi128ELi256ELb0ELi10EL8MFMAType0EEvPKT_PKT0_S8_ifPKiSA_SA_iPKfiiiPfSD_PS3_PT2_iSC_SC_,"axG",@progbits,_Z39paged_attention_ll4mi_QKV_mfma16_kernelIDF16_DF16_LN4vllm18Fp8KVCacheDataTypeE0EhLi16ELi128ELi256ELb0ELi10EL8MFMAType0EEvPKT_PKT0_S8_ifPKiSA_SA_iPKfiiiPfSD_PS3_PT2_iSC_SC_,comdat
	.protected	_Z39paged_attention_ll4mi_QKV_mfma16_kernelIDF16_DF16_LN4vllm18Fp8KVCacheDataTypeE0EhLi16ELi128ELi256ELb0ELi10EL8MFMAType0EEvPKT_PKT0_S8_ifPKiSA_SA_iPKfiiiPfSD_PS3_PT2_iSC_SC_ ; -- Begin function _Z39paged_attention_ll4mi_QKV_mfma16_kernelIDF16_DF16_LN4vllm18Fp8KVCacheDataTypeE0EhLi16ELi128ELi256ELb0ELi10EL8MFMAType0EEvPKT_PKT0_S8_ifPKiSA_SA_iPKfiiiPfSD_PS3_PT2_iSC_SC_
	.globl	_Z39paged_attention_ll4mi_QKV_mfma16_kernelIDF16_DF16_LN4vllm18Fp8KVCacheDataTypeE0EhLi16ELi128ELi256ELb0ELi10EL8MFMAType0EEvPKT_PKT0_S8_ifPKiSA_SA_iPKfiiiPfSD_PS3_PT2_iSC_SC_
	.p2align	8
	.type	_Z39paged_attention_ll4mi_QKV_mfma16_kernelIDF16_DF16_LN4vllm18Fp8KVCacheDataTypeE0EhLi16ELi128ELi256ELb0ELi10EL8MFMAType0EEvPKT_PKT0_S8_ifPKiSA_SA_iPKfiiiPfSD_PS3_PT2_iSC_SC_,@function
_Z39paged_attention_ll4mi_QKV_mfma16_kernelIDF16_DF16_LN4vllm18Fp8KVCacheDataTypeE0EhLi16ELi128ELi256ELb0ELi10EL8MFMAType0EEvPKT_PKT0_S8_ifPKiSA_SA_iPKfiiiPfSD_PS3_PT2_iSC_SC_: ; @_Z39paged_attention_ll4mi_QKV_mfma16_kernelIDF16_DF16_LN4vllm18Fp8KVCacheDataTypeE0EhLi16ELi128ELi256ELb0ELi10EL8MFMAType0EEvPKT_PKT0_S8_ifPKiSA_SA_iPKfiiiPfSD_PS3_PT2_iSC_SC_
; %bb.0:
	s_load_b64 s[4:5], s[0:1], 0x30
	s_mov_b32 s30, s13
	s_waitcnt lgkmcnt(0)
	s_cmp_lg_u64 s[4:5], 0
	s_cselect_b32 s8, -1, 0
	s_ashr_i32 s31, s13, 31
	s_cmp_eq_u64 s[4:5], 0
	s_cbranch_scc1 .LBB239_3
; %bb.1:
	s_lshl_b64 s[2:3], s[30:31], 2
	s_delay_alu instid0(SALU_CYCLE_1) | instskip(SKIP_4) | instid1(SALU_CYCLE_1)
	s_add_u32 s2, s4, s2
	s_addc_u32 s3, s5, s3
	s_load_b64 s[2:3], s[2:3], 0x0
	s_waitcnt lgkmcnt(0)
	s_sub_i32 s2, s3, s2
	s_cmp_eq_u32 s2, 1
	s_cselect_b32 s2, -1, 0
	s_delay_alu instid0(SALU_CYCLE_1)
	s_and_not1_b32 vcc_lo, exec_lo, s2
	s_cbranch_vccz .LBB239_4
.LBB239_2:
	s_endpgm
.LBB239_3:
.LBB239_4:
	s_load_b64 s[2:3], s[0:1], 0x28
	s_lshl_b64 s[6:7], s[30:31], 2
	s_waitcnt lgkmcnt(0)
	s_add_u32 s2, s2, s6
	s_addc_u32 s3, s3, s7
	s_lshl_b32 s29, s14, 8
	s_load_b32 s28, s[2:3], 0x0
	s_waitcnt lgkmcnt(0)
	s_cmp_ge_i32 s29, s28
	s_cbranch_scc1 .LBB239_2
; %bb.5:
	s_clause 0x1
	s_load_b128 s[20:23], s[0:1], 0x8
	s_load_b64 s[2:3], s[0:1], 0x20
	s_and_not1_b32 vcc_lo, exec_lo, s8
	s_cbranch_vccnz .LBB239_7
; %bb.6:
	s_add_u32 s4, s4, s6
	s_addc_u32 s5, s5, s7
	s_load_b32 s5, s[4:5], 0x0
	s_branch .LBB239_8
.LBB239_7:
	s_mov_b32 s5, s30
.LBB239_8:
	s_load_b128 s[16:19], s[0:1], 0x48
	v_and_b32_e32 v140, 15, v0
	v_lshrrev_b32_e32 v141, 5, v0
	v_and_b32_e32 v142, 31, v0
	v_and_b32_e32 v139, 1, v0
	v_bfe_u32 v138, v0, 4, 1
	v_lshlrev_b32_e32 v1, 3, v140
	s_mul_i32 s31, s15, 10
	s_mov_b32 s4, exec_lo
	s_delay_alu instid0(VALU_DEP_1)
	v_lshlrev_b32_e32 v137, 1, v1
	v_cmpx_gt_u32_e32 0xa0, v0
	s_cbranch_execz .LBB239_10
; %bb.9:
	s_load_b64 s[6:7], s[0:1], 0x0
	v_lshl_or_b32 v5, v141, 1, v138
	s_waitcnt lgkmcnt(0)
	s_mul_hi_i32 s9, s5, s16
	s_mul_i32 s8, s5, s16
	v_lshlrev_b32_e32 v6, 10, v140
	s_lshl_b64 s[8:9], s[8:9], 1
	v_add_lshl_u32 v1, v5, s31, 7
	v_lshlrev_b32_e32 v5, 6, v5
	v_lshlrev_b32_e32 v7, 10, v139
	v_and_b32_e32 v6, 0x3800, v6
	s_delay_alu instid0(VALU_DEP_4) | instskip(NEXT) | instid1(VALU_DEP_2)
	v_ashrrev_i32_e32 v2, 31, v1
	v_or3_b32 v5, v6, v7, v5
	s_delay_alu instid0(VALU_DEP_2) | instskip(SKIP_2) | instid1(VALU_DEP_1)
	v_lshlrev_b64 v[1:2], 1, v[1:2]
	s_add_u32 s5, s6, s8
	s_addc_u32 s6, s7, s9
	v_add_co_u32 v1, vcc_lo, s5, v1
	s_delay_alu instid0(VALU_DEP_2) | instskip(NEXT) | instid1(VALU_DEP_2)
	v_add_co_ci_u32_e32 v2, vcc_lo, s6, v2, vcc_lo
	v_add_co_u32 v1, vcc_lo, v1, v137
	s_delay_alu instid0(VALU_DEP_2)
	v_add_co_ci_u32_e32 v2, vcc_lo, 0, v2, vcc_lo
	global_load_b128 v[1:4], v[1:2], off
	s_waitcnt vmcnt(0)
	ds_store_b128 v5, v[1:4]
.LBB239_10:
	s_or_b32 exec_lo, exec_lo, s4
	v_and_b32_e32 v1, 0xef, v0
	s_waitcnt lgkmcnt(0)
	s_add_i32 s5, s28, 15
	s_clause 0x1
	s_load_b32 s4, s[0:1], 0x38
	s_load_b32 s33, s[0:1], 0x98
	s_ashr_i32 s6, s5, 31
	v_add_nc_u32_e32 v1, s29, v1
	s_lshr_b32 s6, s6, 28
	s_load_b32 s34, s[0:1], 0x1c
	s_add_i32 s5, s5, s6
	s_waitcnt lgkmcnt(0)
	v_ashrrev_i32_e32 v2, 31, v1
	v_cmp_gt_i32_e32 vcc_lo, s28, v1
	s_ashr_i32 s16, s5, 4
	s_barrier
	s_add_i32 s16, s16, -1
	v_lshrrev_b32_e32 v3, 28, v2
	v_or_b32_e32 v2, 16, v1
	buffer_gl0_inv
	v_add_nc_u32_e32 v105, -10, v140
	v_lshlrev_b32_e32 v106, 5, v140
	v_add_nc_u32_e32 v4, v1, v3
	v_add_nc_u32_e32 v3, v2, v3
	s_mul_i32 s4, s30, s4
	s_delay_alu instid0(SALU_CYCLE_1) | instskip(NEXT) | instid1(VALU_DEP_2)
	s_ashr_i32 s5, s4, 31
	v_ashrrev_i32_e32 v4, 4, v4
	s_delay_alu instid0(VALU_DEP_2)
	v_ashrrev_i32_e32 v3, 4, v3
	s_lshl_b64 s[4:5], s[4:5], 2
	v_lshl_or_b32 v125, v141, 9, v106
	s_add_u32 s35, s2, s4
	v_cndmask_b32_e32 v1, s16, v4, vcc_lo
	v_cmp_gt_i32_e32 vcc_lo, s28, v2
	s_addc_u32 s36, s3, s5
	s_mul_i32 s2, s15, s18
	s_delay_alu instid0(VALU_DEP_2) | instskip(SKIP_2) | instid1(SALU_CYCLE_1)
	v_ashrrev_i32_e32 v2, 31, v1
	v_cndmask_b32_e32 v3, s16, v3, vcc_lo
	s_ashr_i32 s3, s2, 31
	s_lshl_b64 s[2:3], s[2:3], 1
	s_delay_alu instid0(VALU_DEP_2) | instskip(NEXT) | instid1(VALU_DEP_2)
	v_lshlrev_b64 v[1:2], 2, v[1:2]
	v_ashrrev_i32_e32 v4, 31, v3
	s_add_u32 s24, s20, s2
	s_addc_u32 s25, s21, s3
	s_lshl_b32 s4, s14, 4
	s_delay_alu instid0(VALU_DEP_1) | instskip(SKIP_3) | instid1(VALU_DEP_3)
	v_lshlrev_b64 v[3:4], 2, v[3:4]
	v_add_co_u32 v1, vcc_lo, s35, v1
	v_add_co_ci_u32_e32 v2, vcc_lo, s36, v2, vcc_lo
	s_ashr_i32 s5, s4, 31
	v_add_co_u32 v3, vcc_lo, s35, v3
	s_delay_alu instid0(VALU_DEP_4)
	v_add_co_ci_u32_e32 v4, vcc_lo, s36, v4, vcc_lo
	s_lshl_b64 s[4:5], s[4:5], 2
	s_clause 0x1
	global_load_b32 v5, v[1:2], off
	global_load_b32 v6, v[3:4], off
	s_add_u32 s4, s35, s4
	s_addc_u32 s5, s36, s5
	s_or_b32 s6, s29, 16
	v_lshlrev_b32_e32 v3, 4, v0
	s_ashr_i32 s7, s6, 4
	s_cmp_lt_i32 s6, s28
	s_cselect_b32 s6, s7, s16
	s_delay_alu instid0(SALU_CYCLE_1) | instskip(NEXT) | instid1(SALU_CYCLE_1)
	s_ashr_i32 s7, s6, 31
	s_lshl_b64 s[6:7], s[6:7], 2
	s_delay_alu instid0(SALU_CYCLE_1) | instskip(SKIP_2) | instid1(SALU_CYCLE_1)
	s_add_u32 s6, s35, s6
	s_addc_u32 s7, s36, s7
	s_or_b32 s8, s29, 32
	s_ashr_i32 s9, s8, 4
	s_cmp_lt_i32 s8, s28
	s_cselect_b32 s8, s9, s16
	s_delay_alu instid0(SALU_CYCLE_1) | instskip(NEXT) | instid1(SALU_CYCLE_1)
	s_ashr_i32 s9, s8, 31
	s_lshl_b64 s[8:9], s[8:9], 2
	s_delay_alu instid0(SALU_CYCLE_1) | instskip(SKIP_2) | instid1(SALU_CYCLE_1)
	s_add_u32 s8, s35, s8
	s_addc_u32 s9, s36, s9
	s_or_b32 s10, s29, 48
	;; [unrolled: 10-line block ×4, first 2 shown]
	s_ashr_i32 s13, s12, 4
	s_cmp_lt_i32 s12, s28
	s_cselect_b32 s12, s13, s16
	s_delay_alu instid0(SALU_CYCLE_1) | instskip(NEXT) | instid1(SALU_CYCLE_1)
	s_ashr_i32 s13, s12, 31
	s_lshl_b64 s[12:13], s[12:13], 2
	s_delay_alu instid0(SALU_CYCLE_1)
	s_add_u32 s20, s35, s12
	s_addc_u32 s21, s36, s13
	s_clause 0x5
	s_load_b32 s37, s[4:5], 0x0
	s_load_b32 s27, s[6:7], 0x0
	;; [unrolled: 1-line block ×6, first 2 shown]
	s_waitcnt vmcnt(1)
	v_mad_i64_i32 v[1:2], null, v5, s17, 0
	v_and_b32_e32 v5, 0xf0, v3
	s_waitcnt vmcnt(0)
	v_mad_i64_i32 v[3:4], null, v6, s17, 0
	s_delay_alu instid0(VALU_DEP_2) | instskip(NEXT) | instid1(VALU_DEP_4)
	v_add_co_u32 v5, s4, s24, v5
	v_lshlrev_b64 v[1:2], 1, v[1:2]
	v_add_co_ci_u32_e64 v6, null, s25, 0, s4
	s_delay_alu instid0(VALU_DEP_4) | instskip(SKIP_1) | instid1(VALU_DEP_3)
	v_lshlrev_b64 v[3:4], 1, v[3:4]
	s_or_b32 s4, s29, 0x60
	v_add_co_u32 v121, vcc_lo, v5, v1
	s_delay_alu instid0(VALU_DEP_3) | instskip(NEXT) | instid1(VALU_DEP_3)
	v_add_co_ci_u32_e32 v122, vcc_lo, v6, v2, vcc_lo
	v_add_co_u32 v123, vcc_lo, v5, v3
	s_delay_alu instid0(VALU_DEP_4)
	v_add_co_ci_u32_e32 v124, vcc_lo, v6, v4, vcc_lo
	s_clause 0x19
	global_load_b128 v[89:92], v[121:122], off
	global_load_b128 v[93:96], v[121:122], off offset:256
	global_load_b128 v[97:100], v[123:124], off
	global_load_b128 v[101:104], v[123:124], off offset:256
	global_load_b128 v[81:84], v[121:122], off offset:512
	;; [unrolled: 1-line block ×23, first 2 shown]
	s_ashr_i32 s5, s4, 4
	s_cmp_lt_i32 s4, s28
	v_cmp_gt_u32_e32 vcc_lo, 10, v140
	s_cselect_b32 s4, s5, s16
	s_delay_alu instid0(SALU_CYCLE_1) | instskip(NEXT) | instid1(SALU_CYCLE_1)
	s_ashr_i32 s5, s4, 31
	s_lshl_b64 s[4:5], s[4:5], 2
	v_cndmask_b32_e32 v105, v105, v140, vcc_lo
	s_add_u32 s18, s35, s4
	s_addc_u32 s19, s36, s5
	s_or_b32 s4, s29, 0x70
	s_delay_alu instid0(SALU_CYCLE_1)
	s_ashr_i32 s5, s4, 4
	s_cmp_lt_i32 s4, s28
	v_lshlrev_b32_e32 v215, 6, v105
	s_cselect_b32 s6, s5, s16
	ds_load_b128 v[105:108], v215
	ds_load_b128 v[109:112], v215 offset:1024
	s_ashr_i32 s7, s6, 31
	ds_load_b128 v[113:116], v215 offset:2048
	ds_load_b128 v[117:120], v215 offset:3072
	;; [unrolled: 1-line block ×8, first 2 shown]
	s_clause 0x1
	global_load_b128 v[167:170], v[123:124], off offset:3072
	global_load_b128 v[171:174], v[123:124], off offset:3328
	s_lshl_b64 s[6:7], s[6:7], 2
	s_mov_b32 s4, 0
	s_add_u32 s20, s35, s6
	s_addc_u32 s21, s36, s7
	s_clause 0x1
	s_load_b32 s41, s[18:19], 0x0
	s_load_b32 s46, s[20:21], 0x0
	s_clause 0x3
	global_load_b128 v[175:178], v[121:122], off offset:3584
	global_load_b128 v[179:182], v[121:122], off offset:3840
	global_load_b128 v[183:186], v[123:124], off offset:3584
	global_load_b128 v[187:190], v[123:124], off offset:3840
	s_or_b32 s7, s29, 0x80
	s_mov_b32 s5, s4
	s_ashr_i32 s8, s7, 4
	s_cmp_lt_i32 s7, s28
	s_mov_b32 s6, s4
	s_cselect_b32 s10, s8, s16
	s_mov_b32 s7, s4
	s_ashr_i32 s11, s10, 31
	s_mov_b32 s8, s4
	s_lshl_b64 s[24:25], s[10:11], 2
	s_mov_b32 s9, s4
	s_add_u32 s24, s35, s24
	s_addc_u32 s25, s36, s25
	s_or_b32 s11, s29, 0x90
	s_mov_b32 s10, s4
	s_ashr_i32 s38, s11, 4
	s_cmp_lt_i32 s11, s28
	s_mov_b32 s11, s4
	s_cselect_b32 s38, s38, s16
	v_mov_b32_e32 v136, s11
	s_ashr_i32 s39, s38, 31
	v_dual_mov_b32 v135, s10 :: v_dual_mov_b32 v134, s9
	v_dual_mov_b32 v133, s8 :: v_dual_mov_b32 v132, s7
	;; [unrolled: 1-line block ×3, first 2 shown]
	v_mov_b32_e32 v129, s4
	s_lshl_b64 s[4:5], s[38:39], 2
	s_waitcnt lgkmcnt(0)
	s_mul_hi_i32 s7, s27, s17
	s_add_u32 s38, s35, s4
	s_addc_u32 s39, s36, s5
	s_or_b32 s4, s29, 0xa0
	s_load_b32 s40, s[38:39], 0x0
	s_ashr_i32 s5, s4, 4
	s_cmp_lt_i32 s4, s28
	s_cselect_b32 s4, s5, s16
	s_delay_alu instid0(SALU_CYCLE_1) | instskip(NEXT) | instid1(SALU_CYCLE_1)
	s_ashr_i32 s5, s4, 31
	s_lshl_b64 s[4:5], s[4:5], 2
	s_delay_alu instid0(SALU_CYCLE_1)
	s_add_u32 s42, s35, s4
	s_addc_u32 s43, s36, s5
	s_or_b32 s4, s29, 0xb0
	s_load_b32 s39, s[42:43], 0x0
	s_ashr_i32 s6, s4, 4
	s_cmp_lt_i32 s4, s28
	s_mul_hi_i32 s5, s37, s17
	s_cselect_b32 s8, s6, s16
	s_mul_i32 s6, s27, s17
	s_ashr_i32 s9, s8, 31
	s_mul_i32 s4, s37, s17
	s_lshl_b64 s[10:11], s[8:9], 2
	s_mul_hi_i32 s9, s26, s17
	s_add_u32 s44, s35, s10
	s_addc_u32 s45, s36, s11
	s_or_b32 s10, s29, 0xc0
	s_mul_i32 s8, s26, s17
	s_ashr_i32 s26, s10, 4
	s_cmp_lt_i32 s10, s28
	s_mul_hi_i32 s11, s13, s17
	s_cselect_b32 s26, s26, s16
	s_mul_i32 s10, s13, s17
	s_ashr_i32 s27, s26, 31
	s_mul_hi_i32 s13, s12, s17
	s_lshl_b64 s[26:27], s[26:27], 2
	s_mul_i32 s12, s12, s17
	s_add_u32 s20, s35, s26
	s_addc_u32 s21, s36, s27
	s_or_b32 s18, s29, 0xd0
	s_load_b32 s26, s[24:25], 0x0
	s_ashr_i32 s19, s18, 4
	s_cmp_lt_i32 s18, s28
	s_mul_i32 s18, s15, s17
	s_cselect_b32 s24, s19, s16
	s_mul_hi_i32 s19, s15, s17
	s_ashr_i32 s25, s24, 31
	s_delay_alu instid0(SALU_CYCLE_1) | instskip(NEXT) | instid1(SALU_CYCLE_1)
	s_lshl_b64 s[24:25], s[24:25], 2
	s_add_u32 s24, s35, s24
	s_addc_u32 s25, s36, s25
	s_or_b32 s42, s29, 0xe0
	s_clause 0x2
	s_load_b32 s38, s[44:45], 0x0
	s_load_b32 s37, s[20:21], 0x0
	s_load_b32 s15, s[24:25], 0x0
	s_ashr_i32 s43, s42, 4
	s_cmp_lt_i32 s42, s28
	s_mul_hi_i32 s25, s46, s17
	s_cselect_b32 s42, s43, s16
	s_mul_i32 s24, s46, s17
	s_ashr_i32 s43, s42, 31
	s_mul_hi_i32 s21, s41, s17
	s_lshl_b64 s[42:43], s[42:43], 2
	s_mul_i32 s20, s41, s17
	s_add_u32 s42, s35, s42
	s_addc_u32 s43, s36, s43
	s_or_b32 s46, s29, 0xf0
	s_waitcnt lgkmcnt(0)
	s_mul_hi_i32 s27, s26, s17
	s_ashr_i32 s47, s46, 4
	s_cmp_lt_i32 s46, s28
	s_mul_i32 s26, s26, s17
	s_cselect_b32 s46, s47, s16
	s_mul_hi_i32 s41, s40, s17
	s_ashr_i32 s47, s46, 31
	s_mul_hi_i32 s51, s15, s17
	s_lshl_b64 s[46:47], s[46:47], 2
	s_mul_i32 s50, s15, s17
	s_add_u32 s46, s35, s46
	s_addc_u32 s47, s36, s47
	s_add_u32 s15, s22, s2
	s_addc_u32 s16, s23, s3
	v_add_co_u32 v216, s15, s15, v125
	s_delay_alu instid0(VALU_DEP_1) | instskip(SKIP_2) | instid1(VALU_DEP_2)
	v_add_co_ci_u32_e64 v217, null, s16, 0, s15
	s_lshl_b64 s[2:3], s[4:5], 1
	s_lshl_b64 s[4:5], s[6:7], 1
	v_add_co_u32 v125, vcc_lo, v216, s2
	s_delay_alu instid0(VALU_DEP_2)
	v_add_co_ci_u32_e32 v126, vcc_lo, s3, v217, vcc_lo
	v_add_co_u32 v199, vcc_lo, v216, s4
	s_lshl_b64 s[6:7], s[8:9], 1
	v_add_co_ci_u32_e32 v200, vcc_lo, s5, v217, vcc_lo
	s_lshl_b64 s[8:9], s[10:11], 1
	s_lshl_b64 s[10:11], s[12:13], 1
	;; [unrolled: 1-line block ×6, first 2 shown]
	s_mul_i32 s40, s40, s17
	s_mul_hi_i32 s45, s39, s17
	s_lshl_b64 s[24:25], s[40:41], 1
	s_mul_i32 s44, s39, s17
	s_mul_hi_i32 s39, s38, s17
	s_lshl_b64 s[26:27], s[44:45], 1
	s_mul_i32 s38, s38, s17
	s_mul_hi_i32 s49, s37, s17
	s_mul_i32 s48, s37, s17
	s_lshl_b64 s[36:37], s[38:39], 1
	s_lshl_b64 s[38:39], s[48:49], 1
	s_clause 0x1
	s_load_b32 s15, s[42:43], 0x0
	s_load_b32 s16, s[46:47], 0x0
	s_lshl_b64 s[40:41], s[50:51], 1
	s_waitcnt lgkmcnt(0)
	s_mul_hi_i32 s3, s15, s17
	s_mul_i32 s2, s15, s17
	s_mul_hi_i32 s5, s16, s17
	s_lshl_b64 s[2:3], s[2:3], 1
	s_mul_i32 s4, s16, s17
	s_waitcnt vmcnt(30)
	v_wmma_f32_16x16x16_f16 v[191:198], v[89:96], v[105:112], v[129:136]
	v_add_co_u32 v89, vcc_lo, v216, s6
	v_add_co_ci_u32_e32 v90, vcc_lo, s7, v217, vcc_lo
	v_add_co_u32 v91, vcc_lo, v216, s8
	v_add_co_ci_u32_e32 v92, vcc_lo, s9, v217, vcc_lo
	v_add_co_u32 v93, vcc_lo, v216, s10
	v_add_co_ci_u32_e32 v94, vcc_lo, s11, v217, vcc_lo
	v_add_co_u32 v201, vcc_lo, v216, s12
	v_add_co_ci_u32_e32 v202, vcc_lo, s13, v217, vcc_lo
	v_add_co_u32 v203, vcc_lo, v216, s18
	v_add_co_ci_u32_e32 v204, vcc_lo, s19, v217, vcc_lo
	v_add_co_u32 v205, vcc_lo, v216, s20
	s_waitcnt vmcnt(28)
	v_wmma_f32_16x16x16_f16 v[129:136], v[97:104], v[105:112], v[129:136]
	v_add_co_ci_u32_e32 v206, vcc_lo, s21, v217, vcc_lo
	v_add_co_u32 v207, vcc_lo, v216, s22
	v_add_co_ci_u32_e32 v208, vcc_lo, s23, v217, vcc_lo
	v_add_co_u32 v209, vcc_lo, v216, s24
	s_waitcnt vmcnt(26)
	v_wmma_f32_16x16x16_f16 v[191:198], v[81:88], v[113:120], v[191:198]
	s_waitcnt vmcnt(24)
	v_wmma_f32_16x16x16_f16 v[129:136], v[73:80], v[113:120], v[129:136]
	v_add_co_ci_u32_e32 v210, vcc_lo, s25, v217, vcc_lo
	v_add_co_u32 v211, vcc_lo, v216, s26
	v_add_co_ci_u32_e32 v212, vcc_lo, s27, v217, vcc_lo
	v_add_co_u32 v213, vcc_lo, v216, s36
	s_waitcnt vmcnt(22)
	v_wmma_f32_16x16x16_f16 v[191:198], v[65:72], v[143:150], v[191:198]
	s_waitcnt vmcnt(20)
	v_wmma_f32_16x16x16_f16 v[129:136], v[57:64], v[143:150], v[129:136]
	v_add_co_ci_u32_e32 v214, vcc_lo, s37, v217, vcc_lo
	v_add_co_u32 v143, vcc_lo, v216, s38
	s_waitcnt vmcnt(18)
	v_wmma_f32_16x16x16_f16 v[191:198], v[49:56], v[151:158], v[191:198]
	s_waitcnt vmcnt(16)
	v_wmma_f32_16x16x16_f16 v[129:136], v[25:32], v[151:158], v[129:136]
	v_add_co_ci_u32_e32 v144, vcc_lo, s39, v217, vcc_lo
	s_clause 0x15
	global_load_b128 v[121:124], v[125:126], off
	global_load_b128 v[125:128], v[125:126], off offset:16
	global_load_b128 v[113:116], v[199:200], off
	global_load_b128 v[117:120], v[199:200], off offset:16
	;; [unrolled: 2-line block ×11, first 2 shown]
	s_waitcnt vmcnt(36)
	v_wmma_f32_16x16x16_f16 v[191:198], v[1:8], v[159:166], v[191:198]
	s_clause 0x1
	global_load_b128 v[1:4], v[213:214], off
	global_load_b128 v[5:8], v[213:214], off offset:16
	s_waitcnt vmcnt(36)
	v_wmma_f32_16x16x16_f16 v[129:136], v[9:16], v[159:166], v[129:136]
	s_clause 0x1
	global_load_b128 v[9:12], v[143:144], off
	global_load_b128 v[13:16], v[143:144], off offset:16
	ds_load_b128 v[143:146], v215 offset:10240
	ds_load_b128 v[147:150], v215 offset:11264
	;; [unrolled: 1-line block ×4, first 2 shown]
	v_add_co_u32 v199, vcc_lo, v216, s40
	v_add_co_ci_u32_e32 v200, vcc_lo, s41, v217, vcc_lo
	v_add_co_u32 v159, vcc_lo, v216, s2
	v_add_co_ci_u32_e32 v160, vcc_lo, s3, v217, vcc_lo
	s_lshl_b64 s[2:3], s[4:5], 1
	s_delay_alu instid0(SALU_CYCLE_1)
	v_add_co_u32 v161, vcc_lo, v216, s2
	v_add_co_ci_u32_e32 v162, vcc_lo, s3, v217, vcc_lo
	s_waitcnt vmcnt(36) lgkmcnt(2)
	v_wmma_f32_16x16x16_f16 v[191:198], v[33:40], v[143:150], v[191:198]
	s_waitcnt vmcnt(34)
	v_wmma_f32_16x16x16_f16 v[129:136], v[41:48], v[143:150], v[129:136]
	s_clause 0x3
	global_load_b128 v[33:36], v[199:200], off
	global_load_b128 v[37:40], v[199:200], off offset:16
	global_load_b128 v[41:44], v[159:160], off
	global_load_b128 v[45:48], v[159:160], off offset:16
	v_and_b32_e32 v143, 0xe0, v0
	v_mbcnt_lo_u32_b32 v159, -1, 0
	s_waitcnt vmcnt(36) lgkmcnt(0)
	v_wmma_f32_16x16x16_f16 v[191:198], v[17:24], v[151:158], v[191:198]
	s_clause 0x1
	global_load_b128 v[17:20], v[161:162], off
	global_load_b128 v[21:24], v[161:162], off offset:16
	s_waitcnt vmcnt(36)
	v_wmma_f32_16x16x16_f16 v[129:136], v[167:174], v[151:158], v[129:136]
	v_add_nc_u32_e32 v160, s29, v143
	ds_load_b128 v[143:146], v215 offset:14336
	ds_load_b128 v[147:150], v215 offset:15360
	v_xor_b32_e32 v151, 16, v159
	s_waitcnt vmcnt(0) lgkmcnt(0)
	s_barrier
	v_or_b32_e32 v152, v160, v138
	buffer_gl0_inv
	v_cmp_gt_i32_e32 vcc_lo, 32, v151
	v_or_b32_e32 v153, 2, v152
	v_or_b32_e32 v154, 4, v152
	;; [unrolled: 1-line block ×5, first 2 shown]
	v_cmp_gt_i32_e64 s2, s28, v153
	v_cmp_gt_i32_e64 s3, s28, v154
	;; [unrolled: 1-line block ×3, first 2 shown]
	v_or_b32_e32 v158, 12, v152
	v_cmp_gt_i32_e64 s5, s28, v156
	v_cmp_gt_i32_e64 s6, s28, v157
	v_wmma_f32_16x16x16_f16 v[191:198], v[175:182], v[143:150], v[191:198]
	v_wmma_f32_16x16x16_f16 v[129:136], v[183:190], v[143:150], v[129:136]
	v_cndmask_b32_e32 v151, v159, v151, vcc_lo
	v_cmp_gt_i32_e32 vcc_lo, s28, v152
	v_or_b32_e32 v159, 14, v152
	v_dual_mul_f32 v149, s34, v192 :: v_dual_mul_f32 v150, s34, v191
	v_dual_mul_f32 v147, s34, v194 :: v_dual_mul_f32 v148, s34, v193
	v_mul_f32_e32 v145, s34, v196
	s_delay_alu instid0(VALU_DEP_3) | instskip(NEXT) | instid1(VALU_DEP_4)
	v_cndmask_b32_e64 v149, 0xff7fffff, v149, s2
	v_cndmask_b32_e32 v150, 0xff7fffff, v150, vcc_lo
	v_mul_f32_e32 v146, s34, v195
	v_cndmask_b32_e64 v148, 0xff7fffff, v148, s3
	v_cndmask_b32_e64 v147, 0xff7fffff, v147, s4
	v_or_b32_e32 v160, 16, v152
	v_max3_f32 v149, v150, 0xff7fffff, v149
	v_or_b32_e32 v161, 18, v152
	v_dual_mul_f32 v143, s34, v198 :: v_dual_mul_f32 v144, s34, v197
	v_cndmask_b32_e64 v146, 0xff7fffff, v146, s5
	v_cndmask_b32_e64 v145, 0xff7fffff, v145, s6
	v_max3_f32 v147, v149, v148, v147
	v_cmp_gt_i32_e64 s7, s28, v158
	v_cmp_gt_i32_e64 s8, s28, v159
	v_or_b32_e32 v162, 20, v152
	v_or_b32_e32 v163, 22, v152
	v_dual_mul_f32 v174, s34, v130 :: v_dual_mul_f32 v175, s34, v129
	v_cndmask_b32_e64 v144, 0xff7fffff, v144, s7
	v_cndmask_b32_e64 v143, 0xff7fffff, v143, s8
	v_max3_f32 v145, v147, v146, v145
	v_cmp_gt_i32_e64 s9, s28, v160
	v_cmp_gt_i32_e64 s10, s28, v161
	v_or_b32_e32 v164, 24, v152
	;; [unrolled: 8-line block ×3, first 2 shown]
	v_or_b32_e32 v167, 30, v152
	v_dual_mul_f32 v170, s34, v134 :: v_dual_mul_f32 v171, s34, v133
	v_cndmask_b32_e64 v144, 0xff7fffff, v173, s11
	v_cndmask_b32_e64 v145, 0xff7fffff, v172, s12
	v_max3_f32 v143, v143, v146, v147
	v_cmp_gt_i32_e64 s13, s28, v164
	v_cmp_gt_i32_e64 s15, s28, v165
	v_dual_mul_f32 v168, s34, v136 :: v_dual_mul_f32 v169, s34, v135
	s_delay_alu instid0(VALU_DEP_4) | instskip(NEXT) | instid1(VALU_DEP_4)
	v_max3_f32 v143, v143, v144, v145
	v_cndmask_b32_e64 v146, 0xff7fffff, v171, s13
	s_delay_alu instid0(VALU_DEP_4) | instskip(SKIP_3) | instid1(VALU_DEP_4)
	v_cndmask_b32_e64 v147, 0xff7fffff, v170, s15
	v_cmp_gt_i32_e64 s16, s28, v166
	v_cmp_gt_i32_e64 s17, s28, v167
	v_lshlrev_b32_e32 v160, 2, v151
	v_max3_f32 v143, v143, v146, v147
	s_delay_alu instid0(VALU_DEP_4) | instskip(NEXT) | instid1(VALU_DEP_4)
	v_cndmask_b32_e64 v144, 0xff7fffff, v169, s16
	v_cndmask_b32_e64 v145, 0xff7fffff, v168, s17
	s_delay_alu instid0(VALU_DEP_1) | instskip(SKIP_3) | instid1(VALU_DEP_1)
	v_max3_f32 v143, v143, v144, v145
	ds_bpermute_b32 v144, v160, v143
	s_waitcnt lgkmcnt(0)
	v_max_f32_e32 v144, v144, v144
	v_max_f32_e32 v159, v143, v144
	s_delay_alu instid0(VALU_DEP_1) | instskip(SKIP_4) | instid1(VALU_DEP_4)
	v_fma_f32 v143, s34, v191, -v159
	v_fma_f32 v144, s34, v192, -v159
	;; [unrolled: 1-line block ×5, first 2 shown]
	v_dual_mul_f32 v143, 0x3fb8aa3b, v143 :: v_dual_mul_f32 v144, 0x3fb8aa3b, v144
	s_delay_alu instid0(VALU_DEP_4) | instskip(SKIP_2) | instid1(VALU_DEP_4)
	v_mul_f32_e32 v132, 0x3fb8aa3b, v132
	v_fma_f32 v134, s34, v134, -v159
	v_mul_f32_e32 v145, 0x3fb8aa3b, v145
	v_exp_f32_e32 v143, v143
	v_exp_f32_e32 v147, v144
	v_fma_f32 v148, s34, v195, -v159
	v_mul_f32_e32 v134, 0x3fb8aa3b, v134
	v_mul_f32_e32 v146, 0x3fb8aa3b, v146
	v_exp_f32_e32 v145, v145
	v_fma_f32 v149, s34, v196, -v159
	v_mul_f32_e32 v148, 0x3fb8aa3b, v148
	v_fma_f32 v151, s34, v197, -v159
	v_exp_f32_e32 v150, v146
	v_cndmask_b32_e32 v144, 0, v143, vcc_lo
	v_cndmask_b32_e64 v143, 0, v147, s2
	v_mul_f32_e32 v149, 0x3fb8aa3b, v149
	v_exp_f32_e32 v148, v148
	v_fma_f32 v152, s34, v198, -v159
	v_add_f32_e32 v147, 0, v144
	v_cndmask_b32_e64 v146, 0, v145, s3
	v_mul_f32_e32 v151, 0x3fb8aa3b, v151
	v_exp_f32_e32 v149, v149
	v_cndmask_b32_e64 v145, 0, v150, s4
	v_add_f32_e32 v147, v147, v143
	v_fma_f32 v129, s34, v129, -v159
	v_mul_f32_e32 v150, 0x3fb8aa3b, v152
	v_exp_f32_e32 v151, v151
	v_cndmask_b32_e64 v148, 0, v148, s5
	v_add_f32_e32 v147, v147, v146
	v_fma_f32 v130, s34, v130, -v159
	v_mul_f32_e32 v129, 0x3fb8aa3b, v129
	v_exp_f32_e32 v153, v150
	v_fma_f32 v131, s34, v131, -v159
	v_add_f32_e32 v152, v147, v145
	v_cndmask_b32_e64 v147, 0, v149, s6
	v_mul_f32_e32 v130, 0x3fb8aa3b, v130
	v_exp_f32_e32 v129, v129
	v_cndmask_b32_e64 v150, 0, v151, s7
	v_add_f32_e32 v149, v152, v148
	v_mul_f32_e32 v131, 0x3fb8aa3b, v131
	v_exp_f32_e32 v130, v130
	v_fma_f32 v133, s34, v133, -v159
	v_exp_f32_e32 v132, v132
	v_add_f32_e32 v151, v149, v147
	v_cndmask_b32_e64 v149, 0, v153, s8
	v_exp_f32_e32 v131, v131
	v_cndmask_b32_e64 v152, 0, v129, s9
	v_mul_f32_e32 v133, 0x3fb8aa3b, v133
	v_add_f32_e32 v151, v151, v150
	s_mov_b32 s2, exec_lo
	s_delay_alu instid0(VALU_DEP_2) | instskip(NEXT) | instid1(VALU_DEP_1)
	v_exp_f32_e32 v133, v133
	v_add_f32_e32 v129, v151, v149
	v_cndmask_b32_e64 v151, 0, v130, s10
	v_fma_f32 v130, s34, v135, -v159
	s_delay_alu instid0(TRANS32_DEP_2)
	v_cndmask_b32_e64 v154, 0, v131, s11
	v_exp_f32_e32 v131, v134
	v_add_f32_e32 v129, v129, v152
	v_cndmask_b32_e64 v153, 0, v132, s12
	v_mul_f32_e32 v130, 0x3fb8aa3b, v130
	v_fma_f32 v132, s34, v136, -v159
	v_cndmask_b32_e64 v156, 0, v133, s13
	v_add_f32_e32 v129, v129, v151
	s_delay_alu instid0(VALU_DEP_4) | instskip(NEXT) | instid1(VALU_DEP_3)
	v_exp_f32_e32 v130, v130
	v_mul_f32_e32 v132, 0x3fb8aa3b, v132
	s_delay_alu instid0(TRANS32_DEP_2) | instskip(NEXT) | instid1(VALU_DEP_3)
	v_cndmask_b32_e64 v155, 0, v131, s15
	v_add_f32_e32 v129, v129, v154
	s_delay_alu instid0(VALU_DEP_3) | instskip(NEXT) | instid1(VALU_DEP_1)
	v_exp_f32_e32 v131, v132
	v_add_f32_e32 v129, v129, v153
	s_waitcnt_depctr 0xfff
	v_cndmask_b32_e64 v158, 0, v130, s16
	v_add_f32_e32 v129, v129, v156
	v_cndmask_b32_e64 v157, 0, v131, s17
	s_delay_alu instid0(VALU_DEP_2) | instskip(NEXT) | instid1(VALU_DEP_1)
	v_add_f32_e32 v129, v129, v155
	v_add_f32_e32 v129, v129, v158
	s_delay_alu instid0(VALU_DEP_1)
	v_add_f32_e32 v129, v129, v157
	ds_bpermute_b32 v130, v160, v129
	v_cmpx_gt_u32_e32 16, v142
	s_cbranch_execz .LBB239_12
; %bb.11:
	v_mul_u32_u24_e32 v131, 0x44, v141
	s_delay_alu instid0(VALU_DEP_1) | instskip(SKIP_1) | instid1(VALU_DEP_1)
	v_lshl_add_u32 v131, v140, 2, v131
	s_waitcnt lgkmcnt(0)
	v_dual_add_f32 v129, v129, v130 :: v_dual_add_nc_u32 v130, 0x4000, v131
	ds_store_2addr_b32 v130, v159, v129 offset1:136
.LBB239_12:
	s_or_b32 exec_lo, exec_lo, s2
	v_lshlrev_b32_e32 v129, 2, v140
	s_load_b32 s34, s[0:1], 0x94
	s_waitcnt lgkmcnt(0)
	s_barrier
	buffer_gl0_inv
	v_add_nc_u32_e32 v135, 0x4000, v129
	v_cmp_eq_u32_e32 vcc_lo, 1, v141
	v_cmp_eq_u32_e64 s2, 2, v141
	v_cmp_eq_u32_e64 s3, 3, v141
	;; [unrolled: 1-line block ×3, first 2 shown]
	ds_load_2addr_b32 v[129:130], v135 offset1:17
	ds_load_2addr_b32 v[131:132], v135 offset0:34 offset1:51
	ds_load_2addr_b32 v[133:134], v135 offset0:68 offset1:85
	;; [unrolled: 1-line block ×3, first 2 shown]
	v_cmp_eq_u32_e64 s5, 5, v141
	v_cmp_eq_u32_e64 s6, 7, v141
	s_waitcnt lgkmcnt(3)
	v_max3_f32 v136, v129, 0xff7fffff, v130
	s_waitcnt lgkmcnt(2)
	s_delay_alu instid0(VALU_DEP_1) | instskip(SKIP_1) | instid1(VALU_DEP_1)
	v_max3_f32 v136, v136, v131, v132
	s_waitcnt lgkmcnt(1)
	v_max3_f32 v136, v136, v133, v134
	s_waitcnt lgkmcnt(0)
	s_delay_alu instid0(VALU_DEP_1) | instskip(NEXT) | instid1(VALU_DEP_1)
	v_max3_f32 v136, v136, v159, v160
	v_sub_f32_e32 v142, v130, v136
	ds_load_2addr_b32 v[161:162], v135 offset0:136 offset1:153
	v_sub_f32_e32 v164, v132, v136
	v_mul_f32_e32 v142, 0x3fb8aa3b, v142
	s_delay_alu instid0(VALU_DEP_2) | instskip(NEXT) | instid1(VALU_DEP_2)
	v_mul_f32_e32 v164, 0x3fb8aa3b, v164
	v_exp_f32_e32 v166, v142
	v_sub_f32_e32 v129, v129, v136
	s_delay_alu instid0(VALU_DEP_2) | instskip(NEXT) | instid1(VALU_DEP_1)
	v_exp_f32_e32 v164, v164
	v_mul_f32_e32 v163, 0x3fb8aa3b, v129
	ds_load_2addr_b32 v[129:130], v135 offset0:170 offset1:187
	v_exp_f32_e32 v163, v163
	s_waitcnt lgkmcnt(1)
	s_waitcnt_depctr 0xfff
	v_fma_f32 v142, v163, v161, 0
	v_sub_f32_e32 v161, v134, v136
	s_delay_alu instid0(VALU_DEP_2) | instskip(NEXT) | instid1(VALU_DEP_1)
	v_dual_fmac_f32 v142, v166, v162 :: v_dual_sub_f32 v131, v131, v136
	v_mul_f32_e32 v165, 0x3fb8aa3b, v131
	ds_load_2addr_b32 v[131:132], v135 offset0:204 offset1:221
	v_exp_f32_e32 v165, v165
	s_waitcnt lgkmcnt(1)
	s_waitcnt_depctr 0xfff
	v_fmac_f32_e32 v142, v165, v129
	v_sub_f32_e32 v133, v133, v136
	v_sub_f32_e32 v129, v160, v136
	s_delay_alu instid0(VALU_DEP_2) | instskip(NEXT) | instid1(VALU_DEP_2)
	v_dual_fmac_f32 v142, v164, v130 :: v_dual_mul_f32 v167, 0x3fb8aa3b, v133
	v_mul_f32_e32 v129, 0x3fb8aa3b, v129
	ds_load_2addr_b32 v[133:134], v135 offset0:238 offset1:255
	v_cndmask_b32_e32 v130, v163, v166, vcc_lo
	s_waitcnt lgkmcnt(0)
	s_barrier
	v_exp_f32_e32 v162, v129
	v_sub_f32_e32 v135, v159, v136
	v_mul_f32_e32 v159, 0x3fb8aa3b, v161
	v_exp_f32_e32 v161, v167
	buffer_gl0_inv
	v_exp_f32_e32 v159, v159
	v_fmac_f32_e32 v142, v161, v131
	s_waitcnt_depctr 0xfff
	v_dual_mul_f32 v135, 0x3fb8aa3b, v135 :: v_dual_fmac_f32 v142, v159, v132
	s_delay_alu instid0(VALU_DEP_1) | instskip(SKIP_2) | instid1(VALU_DEP_1)
	v_exp_f32_e32 v160, v135
	s_waitcnt_depctr 0xfff
	v_dual_fmac_f32 v142, v160, v133 :: v_dual_lshlrev_b32 v133, 6, v140
	v_fmac_f32_e32 v142, v162, v134
	s_delay_alu instid0(VALU_DEP_2) | instskip(NEXT) | instid1(VALU_DEP_2)
	v_lshl_or_b32 v135, v141, 11, v133
	v_add_f32_e32 v134, 0x358637bd, v142
	s_delay_alu instid0(VALU_DEP_1) | instskip(SKIP_1) | instid1(VALU_DEP_2)
	v_div_scale_f32 v167, null, v134, v134, 1.0
	v_div_scale_f32 v163, vcc_lo, 1.0, v134, 1.0
	v_rcp_f32_e32 v168, v167
	s_waitcnt_depctr 0xfff
	v_fma_f32 v129, -v167, v168, 1.0
	s_delay_alu instid0(VALU_DEP_1) | instskip(SKIP_2) | instid1(VALU_DEP_2)
	v_fmac_f32_e32 v168, v129, v168
	v_cndmask_b32_e64 v129, v130, v165, s2
	v_cmp_eq_u32_e64 s2, 6, v141
	v_cndmask_b32_e64 v130, v129, v164, s3
	v_lshlrev_b32_e32 v129, 2, v138
	v_mul_f32_e32 v165, v163, v168
	s_delay_alu instid0(VALU_DEP_3) | instskip(NEXT) | instid1(VALU_DEP_3)
	v_cndmask_b32_e64 v161, v130, v161, s4
	v_or_b32_e32 v130, 1, v129
	s_delay_alu instid0(VALU_DEP_3)
	v_fma_f32 v131, -v167, v165, v163
	v_or_b32_e32 v132, 2, v129
	v_cmp_eq_u32_e64 s3, 1, v129
	v_cndmask_b32_e64 v141, v161, v159, s5
	v_cmp_eq_u32_e64 s8, 1, v130
	v_fmac_f32_e32 v165, v131, v168
	v_or_b32_e32 v131, 3, v129
	v_cmp_eq_u32_e64 s9, 1, v132
	v_cndmask_b32_e64 v141, v141, v160, s2
	v_cmp_eq_u32_e64 s4, 2, v129
	v_fma_f32 v159, -v167, v165, v163
	v_cmp_eq_u32_e64 s10, 1, v131
	v_cmp_eq_u32_e64 s15, 2, v131
	v_cndmask_b32_e64 v141, v141, v162, s6
	v_cmp_eq_u32_e64 s11, 2, v130
	v_div_fmas_f32 v159, v159, v168, v165
	v_cmp_eq_u32_e64 s17, 3, v131
	v_cmp_eq_u32_e32 vcc_lo, 3, v129
	v_cmp_eq_u32_e64 s12, 3, v130
	v_cmp_eq_u32_e64 s13, 2, v132
	v_div_fixup_f32 v159, v159, v134, 1.0
	v_lshl_or_b32 v134, v138, 4, v135
	v_cmp_eq_u32_e64 s21, 4, v131
	v_cmp_eq_u32_e64 s2, 4, v129
	;; [unrolled: 1-line block ×3, first 2 shown]
	v_mul_f32_e32 v141, v141, v159
	v_cmp_eq_u32_e64 s18, 4, v130
	v_cmp_eq_u32_e64 s23, 5, v131
	v_cmp_eq_u32_e64 s5, 5, v129
	v_cmp_eq_u32_e64 s19, 5, v130
	v_fma_mixlo_f16 v159, v141, v144, 0
	v_fma_mixlo_f16 v160, v141, v146, 0
	;; [unrolled: 1-line block ×8, first 2 shown]
	v_fma_mixhi_f16 v159, v141, v143, 0
	v_fma_mixhi_f16 v160, v141, v145, 0
	;; [unrolled: 1-line block ×8, first 2 shown]
	ds_store_b128 v134, v[159:162]
	ds_store_b128 v134, v[163:166] offset:1024
	s_waitcnt lgkmcnt(0)
	s_barrier
	buffer_gl0_inv
	ds_load_b128 v[143:146], v135
	ds_load_b128 v[147:150], v135 offset:16
	ds_load_b128 v[151:154], v135 offset:1024
	;; [unrolled: 1-line block ×3, first 2 shown]
	v_cmp_eq_u32_e64 s20, 4, v132
	v_cmp_eq_u32_e64 s26, 6, v131
	;; [unrolled: 1-line block ×10, first 2 shown]
	s_waitcnt lgkmcnt(3)
	v_lshrrev_b32_e32 v141, 16, v143
	s_waitcnt lgkmcnt(2)
	v_lshrrev_b32_e32 v162, 16, v147
	v_lshrrev_b32_e32 v159, 16, v144
	;; [unrolled: 1-line block ×3, first 2 shown]
	s_waitcnt lgkmcnt(1)
	v_lshrrev_b32_e32 v166, 16, v151
	v_cndmask_b32_e64 v174, v143, v141, s3
	v_cndmask_b32_e64 v176, v143, v141, s8
	;; [unrolled: 1-line block ×5, first 2 shown]
	s_waitcnt lgkmcnt(0)
	v_lshrrev_b32_e32 v170, 16, v155
	v_cndmask_b32_e64 v175, v147, v162, s3
	v_cndmask_b32_e64 v177, v147, v162, s8
	;; [unrolled: 1-line block ×19, first 2 shown]
	v_lshrrev_b32_e32 v160, 16, v145
	v_lshrrev_b32_e32 v164, 16, v149
	;; [unrolled: 1-line block ×4, first 2 shown]
	v_cndmask_b32_e64 v176, v178, v144, s13
	v_cndmask_b32_e64 v177, v179, v148, s13
	;; [unrolled: 1-line block ×8, first 2 shown]
	v_cndmask_b32_e32 v155, v166, v159, vcc_lo
	v_cndmask_b32_e32 v166, v170, v163, vcc_lo
	v_cndmask_b32_e64 v170, v174, v159, s12
	v_cndmask_b32_e64 v174, v175, v163, s12
	;; [unrolled: 1-line block ×6, first 2 shown]
	v_cndmask_b32_e32 v144, v144, v167, vcc_lo
	v_cndmask_b32_e32 v147, v147, v171, vcc_lo
	v_cndmask_b32_e64 v148, v148, v167, s12
	v_cndmask_b32_e64 v155, v155, v145, s2
	;; [unrolled: 1-line block ×7, first 2 shown]
	v_lshrrev_b32_e32 v161, 16, v146
	v_lshrrev_b32_e32 v165, 16, v150
	;; [unrolled: 1-line block ×4, first 2 shown]
	v_cndmask_b32_e64 v170, v175, v145, s20
	v_cndmask_b32_e64 v174, v176, v149, s20
	;; [unrolled: 1-line block ×22, first 2 shown]
	v_lshrrev_b32_e32 v169, 16, v154
	v_cndmask_b32_e64 v160, v163, v146, s25
	v_cndmask_b32_e64 v163, v166, v150, s25
	;; [unrolled: 1-line block ×9, first 2 shown]
	v_perm_b32 v146, v143, v141, 0x5040100
	v_cndmask_b32_e64 v141, v183, v156, s13
	v_cndmask_b32_e64 v143, v181, v156, s11
	;; [unrolled: 1-line block ×4, first 2 shown]
	v_perm_b32 v144, v159, v149, 0x5040100
	v_cndmask_b32_e64 v149, v162, v167, s16
	v_cndmask_b32_e64 v151, v151, v167, s17
	;; [unrolled: 1-line block ×15, first 2 shown]
	v_lshrrev_b32_e32 v173, 16, v158
	v_cndmask_b32_e64 v149, v149, v154, s25
	v_cndmask_b32_e64 v151, v151, v154, s26
	;; [unrolled: 1-line block ×13, first 2 shown]
	v_perm_b32 v145, v160, v155, 0x5040100
	v_perm_b32 v143, v148, v147, 0x5040100
	;; [unrolled: 1-line block ×6, first 2 shown]
	s_mul_i32 s6, s33, 10
	s_mov_b32 s2, exec_lo
	ds_store_b128 v134, v[143:146]
	ds_store_b128 v134, v[147:150] offset:1024
	v_cmpx_gt_u32_e32 10, v0
	s_cbranch_execz .LBB239_14
; %bb.13:
	s_mul_i32 s3, s6, s30
	s_load_b128 s[8:11], s[0:1], 0x58
	v_add3_u32 v143, s3, s31, v140
	s_delay_alu instid0(VALU_DEP_1) | instskip(NEXT) | instid1(VALU_DEP_1)
	v_mad_u64_u32 v[140:141], null, v143, s34, s[14:15]
	v_ashrrev_i32_e32 v141, 31, v140
	s_delay_alu instid0(VALU_DEP_1) | instskip(SKIP_1) | instid1(VALU_DEP_1)
	v_lshlrev_b64 v[140:141], 2, v[140:141]
	s_waitcnt lgkmcnt(0)
	v_add_co_u32 v143, vcc_lo, s10, v140
	s_delay_alu instid0(VALU_DEP_2)
	v_add_co_ci_u32_e32 v144, vcc_lo, s11, v141, vcc_lo
	v_add_co_u32 v140, vcc_lo, s8, v140
	v_add_co_ci_u32_e32 v141, vcc_lo, s9, v141, vcc_lo
	global_store_b32 v[143:144], v136, off
	global_store_b32 v[140:141], v142, off
.LBB239_14:
	s_or_b32 exec_lo, exec_lo, s2
	s_waitcnt lgkmcnt(0)
	s_waitcnt_vscnt null, 0x0
	s_barrier
	buffer_gl0_inv
	ds_load_b128 v[148:151], v133
	ds_load_b128 v[152:155], v133 offset:16
	ds_load_b128 v[160:163], v133 offset:1040
	;; [unrolled: 1-line block ×5, first 2 shown]
	v_cmp_eq_u32_e32 vcc_lo, 1, v132
	v_mov_b32_e32 v140, 0
	ds_load_b128 v[176:179], v133 offset:3088
	ds_load_b128 v[172:175], v133 offset:3072
	;; [unrolled: 1-line block ×4, first 2 shown]
	v_cmp_eq_u32_e64 s2, 1, v129
	v_cmp_eq_u32_e64 s3, 1, v131
	v_cmp_eq_u32_e64 s4, 1, v130
	v_mov_b32_e32 v141, v140
	v_mov_b32_e32 v142, v140
	;; [unrolled: 1-line block ×7, first 2 shown]
	v_cmp_eq_u32_e64 s5, 2, v129
	s_waitcnt lgkmcnt(8)
	s_delay_alu instid0(VALU_DEP_2)
	v_wmma_f32_16x16x16_f16 v[140:147], v[121:128], v[148:155], v[140:147]
	ds_load_b128 v[125:128], v133 offset:5136
	ds_load_b128 v[121:124], v133 offset:5120
	s_waitcnt lgkmcnt(8)
	v_wmma_f32_16x16x16_f16 v[140:147], v[113:120], v[156:163], v[140:147]
	ds_load_b128 v[117:120], v133 offset:6160
	ds_load_b128 v[113:116], v133 offset:6144
	s_waitcnt lgkmcnt(8)
	;; [unrolled: 4-line block ×11, first 2 shown]
	s_barrier
	buffer_gl0_inv
	v_wmma_f32_16x16x16_f16 v[140:147], v[1:8], v[73:80], v[140:147]
	s_delay_alu instid0(VALU_DEP_1) | instskip(NEXT) | instid1(VALU_DEP_1)
	v_wmma_f32_16x16x16_f16 v[140:147], v[9:16], v[65:72], v[140:147]
	v_wmma_f32_16x16x16_f16 v[140:147], v[33:40], v[57:64], v[140:147]
	s_delay_alu instid0(VALU_DEP_1) | instskip(NEXT) | instid1(VALU_DEP_1)
	v_wmma_f32_16x16x16_f16 v[140:147], v[41:48], v[49:56], v[140:147]
	v_wmma_f32_16x16x16_f16 v[140:147], v[17:24], v[25:32], v[140:147]
	s_delay_alu instid0(VALU_DEP_1) | instskip(NEXT) | instid1(VALU_DEP_2)
	v_cvt_f16_f32_e64 v1, v140
	v_cvt_f16_f32_e64 v2, v141
	s_delay_alu instid0(VALU_DEP_3) | instskip(NEXT) | instid1(VALU_DEP_4)
	v_cvt_f16_f32_e64 v3, v142
	v_cvt_f16_f32_e64 v4, v143
	;; [unrolled: 1-line block ×6, first 2 shown]
	v_pack_b32_f16 v1, v1, v2
	v_pack_b32_f16 v2, v3, v4
	;; [unrolled: 1-line block ×3, first 2 shown]
	s_delay_alu instid0(VALU_DEP_4)
	v_pack_b32_f16 v4, v7, v8
	ds_store_b128 v134, v[1:4]
	s_waitcnt lgkmcnt(0)
	s_barrier
	buffer_gl0_inv
	ds_load_b128 v[1:4], v135
	ds_load_b128 v[5:8], v135 offset:16
	s_waitcnt lgkmcnt(1)
	v_lshrrev_b32_e32 v9, 16, v1
	s_waitcnt lgkmcnt(0)
	v_lshrrev_b32_e32 v13, 16, v5
	v_lshrrev_b32_e32 v10, 16, v2
	;; [unrolled: 1-line block ×4, first 2 shown]
	v_cndmask_b32_e64 v17, v1, v9, s2
	v_cndmask_b32_e64 v18, v5, v13, s2
	;; [unrolled: 1-line block ×3, first 2 shown]
	v_cmp_eq_u32_e64 s2, 2, v130
	v_cndmask_b32_e64 v20, v5, v13, s4
	v_cndmask_b32_e32 v21, v1, v9, vcc_lo
	v_cndmask_b32_e32 v22, v5, v13, vcc_lo
	v_cndmask_b32_e64 v1, v1, v9, s3
	v_cndmask_b32_e64 v5, v5, v13, s3
	v_cmp_eq_u32_e32 vcc_lo, 2, v132
	v_cmp_eq_u32_e64 s3, 2, v131
	v_cndmask_b32_e64 v9, v17, v2, s5
	v_cndmask_b32_e64 v13, v18, v6, s5
	;; [unrolled: 1-line block ×4, first 2 shown]
	v_cndmask_b32_e32 v19, v21, v2, vcc_lo
	v_cmp_eq_u32_e64 s2, 3, v132
	v_cndmask_b32_e32 v20, v22, v6, vcc_lo
	v_cndmask_b32_e64 v1, v1, v2, s3
	v_cmp_eq_u32_e32 vcc_lo, 3, v131
	v_cmp_eq_u32_e64 s4, 3, v129
	v_cndmask_b32_e64 v2, v5, v6, s3
	v_cmp_eq_u32_e64 s3, 3, v130
	v_cmp_eq_u32_e64 s5, 4, v129
	v_cndmask_b32_e32 v1, v1, v10, vcc_lo
	v_cndmask_b32_e64 v5, v9, v10, s4
	v_cndmask_b32_e64 v6, v13, v14, s4
	;; [unrolled: 1-line block ×3, first 2 shown]
	v_cmp_eq_u32_e64 s4, 4, v130
	v_cndmask_b32_e64 v13, v18, v14, s3
	v_cndmask_b32_e64 v17, v19, v10, s2
	;; [unrolled: 1-line block ×3, first 2 shown]
	v_cndmask_b32_e32 v2, v2, v14, vcc_lo
	v_cmp_eq_u32_e32 vcc_lo, 4, v132
	v_cmp_eq_u32_e64 s3, 4, v131
	v_lshrrev_b32_e32 v15, 16, v7
	v_cndmask_b32_e64 v5, v5, v3, s5
	v_cndmask_b32_e64 v6, v6, v7, s5
	v_cndmask_b32_e32 v14, v18, v7, vcc_lo
	v_cndmask_b32_e64 v9, v9, v3, s4
	v_cndmask_b32_e64 v10, v13, v7, s4
	v_cndmask_b32_e32 v13, v17, v3, vcc_lo
	v_cmp_eq_u32_e64 s2, 5, v132
	v_cndmask_b32_e64 v1, v1, v3, s3
	v_cmp_eq_u32_e32 vcc_lo, 5, v131
	v_cmp_eq_u32_e64 s4, 5, v129
	v_cndmask_b32_e64 v2, v2, v7, s3
	v_cmp_eq_u32_e64 s3, 5, v130
	v_cmp_eq_u32_e64 s5, 6, v129
	v_lshrrev_b32_e32 v12, 16, v4
	v_cndmask_b32_e64 v3, v5, v11, s4
	v_cndmask_b32_e64 v5, v6, v15, s4
	;; [unrolled: 1-line block ×3, first 2 shown]
	v_cmp_eq_u32_e64 s4, 6, v130
	v_cndmask_b32_e64 v7, v10, v15, s3
	v_cndmask_b32_e64 v9, v13, v11, s2
	;; [unrolled: 1-line block ×3, first 2 shown]
	v_cndmask_b32_e32 v1, v1, v11, vcc_lo
	v_cndmask_b32_e32 v2, v2, v15, vcc_lo
	v_cmp_eq_u32_e32 vcc_lo, 6, v132
	v_cmp_eq_u32_e64 s2, 6, v131
	v_lshrrev_b32_e32 v16, 16, v8
	v_cndmask_b32_e64 v3, v3, v4, s5
	v_cndmask_b32_e64 v5, v5, v8, s5
	v_cndmask_b32_e32 v9, v9, v4, vcc_lo
	v_cndmask_b32_e64 v6, v6, v4, s4
	v_cndmask_b32_e64 v7, v7, v8, s4
	v_cmp_eq_u32_e64 s3, 7, v132
	v_cndmask_b32_e32 v10, v10, v8, vcc_lo
	v_cndmask_b32_e64 v1, v1, v4, s2
	v_cmp_eq_u32_e32 vcc_lo, 7, v131
	v_cndmask_b32_e64 v2, v2, v8, s2
	v_cmp_eq_u32_e64 s2, 7, v129
	v_cmp_eq_u32_e64 s4, 7, v130
	v_cndmask_b32_e32 v1, v1, v12, vcc_lo
	s_delay_alu instid0(VALU_DEP_4) | instskip(NEXT) | instid1(VALU_DEP_4)
	v_cndmask_b32_e32 v2, v2, v16, vcc_lo
	v_cndmask_b32_e64 v8, v3, v12, s2
	s_delay_alu instid0(VALU_DEP_4)
	v_cndmask_b32_e64 v6, v6, v12, s4
	v_cndmask_b32_e64 v3, v9, v12, s3
	;; [unrolled: 1-line block ×5, first 2 shown]
	v_perm_b32 v4, v2, v1, 0x5040100
	s_mov_b32 s2, exec_lo
	v_perm_b32 v3, v9, v3, 0x5040100
	v_perm_b32 v2, v7, v6, 0x5040100
	;; [unrolled: 1-line block ×3, first 2 shown]
	ds_store_b128 v134, v[1:4]
	s_waitcnt lgkmcnt(0)
	s_barrier
	buffer_gl0_inv
	v_cmpx_gt_u32_e32 32, v0
	s_cbranch_execz .LBB239_2
; %bb.15:
	s_load_b64 s[0:1], s[0:1], 0x68
	s_lshl_b32 s4, s34, 7
	v_or_b32_e32 v2, s31, v138
	s_mul_i32 s2, s4, s30
	v_lshlrev_b32_e32 v0, 10, v0
	s_mul_i32 s2, s2, s6
	v_lshlrev_b32_e32 v1, 4, v139
	s_ashr_i32 s3, s2, 31
	v_mul_lo_u32 v20, v2, s4
	s_lshl_b64 s[2:3], s[2:3], 1
	v_lshlrev_b32_e32 v3, 6, v138
	v_and_b32_e32 v0, 0x3800, v0
	s_delay_alu instid0(VALU_DEP_1) | instskip(NEXT) | instid1(VALU_DEP_4)
	v_or3_b32 v16, v0, v1, v3
	v_ashrrev_i32_e32 v21, 31, v20
	ds_load_b128 v[0:3], v16
	ds_load_b128 v[4:7], v16 offset:128
	s_waitcnt lgkmcnt(0)
	s_add_u32 s2, s0, s2
	s_addc_u32 s3, s1, s3
	s_lshl_b32 s0, s14, 7
	ds_load_b128 v[8:11], v16 offset:256
	ds_load_b128 v[12:15], v16 offset:384
	;; [unrolled: 1-line block ×3, first 2 shown]
	s_ashr_i32 s1, s0, 31
	s_delay_alu instid0(SALU_CYCLE_1) | instskip(NEXT) | instid1(SALU_CYCLE_1)
	s_lshl_b64 s[0:1], s[0:1], 1
	s_add_u32 s0, s2, s0
	s_addc_u32 s1, s3, s1
	s_lshl_b32 s2, s34, 8
	v_add_co_u32 v30, s0, s0, v137
	v_add_nc_u32_e32 v22, s2, v20
	v_lshlrev_b64 v[20:21], 1, v[20:21]
	v_add_co_ci_u32_e64 v31, null, s1, 0, s0
	s_delay_alu instid0(VALU_DEP_3) | instskip(SKIP_1) | instid1(VALU_DEP_4)
	v_add_nc_u32_e32 v24, s2, v22
	v_ashrrev_i32_e32 v23, 31, v22
	v_add_co_u32 v20, vcc_lo, v30, v20
	s_delay_alu instid0(VALU_DEP_4) | instskip(NEXT) | instid1(VALU_DEP_4)
	v_add_co_ci_u32_e32 v21, vcc_lo, v31, v21, vcc_lo
	v_add_nc_u32_e32 v26, s2, v24
	v_ashrrev_i32_e32 v25, 31, v24
	v_lshlrev_b64 v[22:23], 1, v[22:23]
	s_delay_alu instid0(VALU_DEP_3) | instskip(SKIP_1) | instid1(VALU_DEP_4)
	v_add_nc_u32_e32 v28, s2, v26
	v_ashrrev_i32_e32 v27, 31, v26
	v_lshlrev_b64 v[24:25], 1, v[24:25]
	s_delay_alu instid0(VALU_DEP_4) | instskip(NEXT) | instid1(VALU_DEP_4)
	v_add_co_u32 v22, vcc_lo, v30, v22
	v_ashrrev_i32_e32 v29, 31, v28
	s_delay_alu instid0(VALU_DEP_4) | instskip(SKIP_2) | instid1(VALU_DEP_4)
	v_lshlrev_b64 v[26:27], 1, v[26:27]
	v_add_co_ci_u32_e32 v23, vcc_lo, v31, v23, vcc_lo
	v_add_co_u32 v24, vcc_lo, v30, v24
	v_lshlrev_b64 v[28:29], 1, v[28:29]
	v_add_co_ci_u32_e32 v25, vcc_lo, v31, v25, vcc_lo
	v_add_co_u32 v26, vcc_lo, v30, v26
	v_add_co_ci_u32_e32 v27, vcc_lo, v31, v27, vcc_lo
	s_delay_alu instid0(VALU_DEP_4)
	v_add_co_u32 v28, vcc_lo, v30, v28
	v_add_co_ci_u32_e32 v29, vcc_lo, v31, v29, vcc_lo
	s_clause 0x1
	global_store_b128 v[20:21], v[0:3], off
	global_store_b128 v[22:23], v[4:7], off
	s_waitcnt lgkmcnt(2)
	global_store_b128 v[24:25], v[8:11], off
	s_waitcnt lgkmcnt(1)
	;; [unrolled: 2-line block ×3, first 2 shown]
	global_store_b128 v[28:29], v[16:19], off
	s_nop 0
	s_sendmsg sendmsg(MSG_DEALLOC_VGPRS)
	s_endpgm
	.section	.rodata,"a",@progbits
	.p2align	6, 0x0
	.amdhsa_kernel _Z39paged_attention_ll4mi_QKV_mfma16_kernelIDF16_DF16_LN4vllm18Fp8KVCacheDataTypeE0EhLi16ELi128ELi256ELb0ELi10EL8MFMAType0EEvPKT_PKT0_S8_ifPKiSA_SA_iPKfiiiPfSD_PS3_PT2_iSC_SC_
		.amdhsa_group_segment_fixed_size 17472
		.amdhsa_private_segment_fixed_size 0
		.amdhsa_kernarg_size 400
		.amdhsa_user_sgpr_count 13
		.amdhsa_user_sgpr_dispatch_ptr 0
		.amdhsa_user_sgpr_queue_ptr 0
		.amdhsa_user_sgpr_kernarg_segment_ptr 1
		.amdhsa_user_sgpr_dispatch_id 0
		.amdhsa_user_sgpr_private_segment_size 0
		.amdhsa_wavefront_size32 1
		.amdhsa_uses_dynamic_stack 0
		.amdhsa_enable_private_segment 0
		.amdhsa_system_sgpr_workgroup_id_x 1
		.amdhsa_system_sgpr_workgroup_id_y 1
		.amdhsa_system_sgpr_workgroup_id_z 1
		.amdhsa_system_sgpr_workgroup_info 0
		.amdhsa_system_vgpr_workitem_id 0
		.amdhsa_next_free_vgpr 218
		.amdhsa_next_free_sgpr 52
		.amdhsa_reserve_vcc 1
		.amdhsa_float_round_mode_32 0
		.amdhsa_float_round_mode_16_64 0
		.amdhsa_float_denorm_mode_32 3
		.amdhsa_float_denorm_mode_16_64 3
		.amdhsa_dx10_clamp 1
		.amdhsa_ieee_mode 1
		.amdhsa_fp16_overflow 0
		.amdhsa_workgroup_processor_mode 1
		.amdhsa_memory_ordered 1
		.amdhsa_forward_progress 0
		.amdhsa_shared_vgpr_count 0
		.amdhsa_exception_fp_ieee_invalid_op 0
		.amdhsa_exception_fp_denorm_src 0
		.amdhsa_exception_fp_ieee_div_zero 0
		.amdhsa_exception_fp_ieee_overflow 0
		.amdhsa_exception_fp_ieee_underflow 0
		.amdhsa_exception_fp_ieee_inexact 0
		.amdhsa_exception_int_div_zero 0
	.end_amdhsa_kernel
	.section	.text._Z39paged_attention_ll4mi_QKV_mfma16_kernelIDF16_DF16_LN4vllm18Fp8KVCacheDataTypeE0EhLi16ELi128ELi256ELb0ELi10EL8MFMAType0EEvPKT_PKT0_S8_ifPKiSA_SA_iPKfiiiPfSD_PS3_PT2_iSC_SC_,"axG",@progbits,_Z39paged_attention_ll4mi_QKV_mfma16_kernelIDF16_DF16_LN4vllm18Fp8KVCacheDataTypeE0EhLi16ELi128ELi256ELb0ELi10EL8MFMAType0EEvPKT_PKT0_S8_ifPKiSA_SA_iPKfiiiPfSD_PS3_PT2_iSC_SC_,comdat
.Lfunc_end239:
	.size	_Z39paged_attention_ll4mi_QKV_mfma16_kernelIDF16_DF16_LN4vllm18Fp8KVCacheDataTypeE0EhLi16ELi128ELi256ELb0ELi10EL8MFMAType0EEvPKT_PKT0_S8_ifPKiSA_SA_iPKfiiiPfSD_PS3_PT2_iSC_SC_, .Lfunc_end239-_Z39paged_attention_ll4mi_QKV_mfma16_kernelIDF16_DF16_LN4vllm18Fp8KVCacheDataTypeE0EhLi16ELi128ELi256ELb0ELi10EL8MFMAType0EEvPKT_PKT0_S8_ifPKiSA_SA_iPKfiiiPfSD_PS3_PT2_iSC_SC_
                                        ; -- End function
	.section	.AMDGPU.csdata,"",@progbits
; Kernel info:
; codeLenInByte = 8120
; NumSgprs: 54
; NumVgprs: 218
; ScratchSize: 0
; MemoryBound: 0
; FloatMode: 240
; IeeeMode: 1
; LDSByteSize: 17472 bytes/workgroup (compile time only)
; SGPRBlocks: 6
; VGPRBlocks: 27
; NumSGPRsForWavesPerEU: 54
; NumVGPRsForWavesPerEU: 218
; Occupancy: 6
; WaveLimiterHint : 1
; COMPUTE_PGM_RSRC2:SCRATCH_EN: 0
; COMPUTE_PGM_RSRC2:USER_SGPR: 13
; COMPUTE_PGM_RSRC2:TRAP_HANDLER: 0
; COMPUTE_PGM_RSRC2:TGID_X_EN: 1
; COMPUTE_PGM_RSRC2:TGID_Y_EN: 1
; COMPUTE_PGM_RSRC2:TGID_Z_EN: 1
; COMPUTE_PGM_RSRC2:TIDIG_COMP_CNT: 0
	.section	.text._Z39paged_attention_ll4mi_QKV_mfma16_kernelIDF16_DF16_LN4vllm18Fp8KVCacheDataTypeE0EhLi16ELi128ELi256ELb0ELi11EL8MFMAType0EEvPKT_PKT0_S8_ifPKiSA_SA_iPKfiiiPfSD_PS3_PT2_iSC_SC_,"axG",@progbits,_Z39paged_attention_ll4mi_QKV_mfma16_kernelIDF16_DF16_LN4vllm18Fp8KVCacheDataTypeE0EhLi16ELi128ELi256ELb0ELi11EL8MFMAType0EEvPKT_PKT0_S8_ifPKiSA_SA_iPKfiiiPfSD_PS3_PT2_iSC_SC_,comdat
	.protected	_Z39paged_attention_ll4mi_QKV_mfma16_kernelIDF16_DF16_LN4vllm18Fp8KVCacheDataTypeE0EhLi16ELi128ELi256ELb0ELi11EL8MFMAType0EEvPKT_PKT0_S8_ifPKiSA_SA_iPKfiiiPfSD_PS3_PT2_iSC_SC_ ; -- Begin function _Z39paged_attention_ll4mi_QKV_mfma16_kernelIDF16_DF16_LN4vllm18Fp8KVCacheDataTypeE0EhLi16ELi128ELi256ELb0ELi11EL8MFMAType0EEvPKT_PKT0_S8_ifPKiSA_SA_iPKfiiiPfSD_PS3_PT2_iSC_SC_
	.globl	_Z39paged_attention_ll4mi_QKV_mfma16_kernelIDF16_DF16_LN4vllm18Fp8KVCacheDataTypeE0EhLi16ELi128ELi256ELb0ELi11EL8MFMAType0EEvPKT_PKT0_S8_ifPKiSA_SA_iPKfiiiPfSD_PS3_PT2_iSC_SC_
	.p2align	8
	.type	_Z39paged_attention_ll4mi_QKV_mfma16_kernelIDF16_DF16_LN4vllm18Fp8KVCacheDataTypeE0EhLi16ELi128ELi256ELb0ELi11EL8MFMAType0EEvPKT_PKT0_S8_ifPKiSA_SA_iPKfiiiPfSD_PS3_PT2_iSC_SC_,@function
_Z39paged_attention_ll4mi_QKV_mfma16_kernelIDF16_DF16_LN4vllm18Fp8KVCacheDataTypeE0EhLi16ELi128ELi256ELb0ELi11EL8MFMAType0EEvPKT_PKT0_S8_ifPKiSA_SA_iPKfiiiPfSD_PS3_PT2_iSC_SC_: ; @_Z39paged_attention_ll4mi_QKV_mfma16_kernelIDF16_DF16_LN4vllm18Fp8KVCacheDataTypeE0EhLi16ELi128ELi256ELb0ELi11EL8MFMAType0EEvPKT_PKT0_S8_ifPKiSA_SA_iPKfiiiPfSD_PS3_PT2_iSC_SC_
; %bb.0:
	s_load_b64 s[4:5], s[0:1], 0x30
	s_mov_b32 s34, s13
	s_waitcnt lgkmcnt(0)
	s_cmp_lg_u64 s[4:5], 0
	s_cselect_b32 s8, -1, 0
	s_ashr_i32 s35, s13, 31
	s_cmp_eq_u64 s[4:5], 0
	s_cbranch_scc1 .LBB240_3
; %bb.1:
	s_lshl_b64 s[2:3], s[34:35], 2
	s_delay_alu instid0(SALU_CYCLE_1) | instskip(SKIP_4) | instid1(SALU_CYCLE_1)
	s_add_u32 s2, s4, s2
	s_addc_u32 s3, s5, s3
	s_load_b64 s[2:3], s[2:3], 0x0
	s_waitcnt lgkmcnt(0)
	s_sub_i32 s2, s3, s2
	s_cmp_eq_u32 s2, 1
	s_cselect_b32 s2, -1, 0
	s_delay_alu instid0(SALU_CYCLE_1)
	s_and_not1_b32 vcc_lo, exec_lo, s2
	s_cbranch_vccz .LBB240_4
.LBB240_2:
	s_nop 0
	s_sendmsg sendmsg(MSG_DEALLOC_VGPRS)
	s_endpgm
.LBB240_3:
.LBB240_4:
	s_load_b64 s[2:3], s[0:1], 0x28
	s_lshl_b64 s[6:7], s[34:35], 2
	s_waitcnt lgkmcnt(0)
	s_add_u32 s2, s2, s6
	s_addc_u32 s3, s3, s7
	s_lshl_b32 s29, s14, 8
	s_load_b32 s28, s[2:3], 0x0
	s_waitcnt lgkmcnt(0)
	s_cmp_ge_i32 s29, s28
	s_cbranch_scc1 .LBB240_2
; %bb.5:
	s_clause 0x1
	s_load_b128 s[20:23], s[0:1], 0x8
	s_load_b64 s[2:3], s[0:1], 0x20
	s_and_not1_b32 vcc_lo, exec_lo, s8
	s_cbranch_vccnz .LBB240_7
; %bb.6:
	s_add_u32 s4, s4, s6
	s_addc_u32 s5, s5, s7
	s_load_b32 s5, s[4:5], 0x0
	s_branch .LBB240_8
.LBB240_7:
	s_mov_b32 s5, s34
.LBB240_8:
	s_load_b128 s[16:19], s[0:1], 0x48
	v_and_b32_e32 v140, 15, v0
	v_lshrrev_b32_e32 v141, 5, v0
	v_bfe_u32 v138, v0, 4, 1
	v_and_b32_e32 v142, 31, v0
	v_and_b32_e32 v139, 1, v0
	v_lshlrev_b32_e32 v2, 3, v140
	s_mul_i32 s31, s15, 11
	v_lshl_or_b32 v1, v141, 1, v138
	s_mov_b32 s4, exec_lo
	s_delay_alu instid0(VALU_DEP_2) | instskip(NEXT) | instid1(VALU_DEP_2)
	v_lshlrev_b32_e32 v137, 1, v2
	v_cmpx_gt_u32_e32 11, v1
	s_cbranch_execz .LBB240_10
; %bb.9:
	s_load_b64 s[6:7], s[0:1], 0x0
	v_add_lshl_u32 v2, v1, s31, 7
	s_waitcnt lgkmcnt(0)
	s_mul_hi_i32 s9, s5, s16
	s_mul_i32 s8, s5, s16
	v_lshlrev_b32_e32 v6, 10, v140
	s_lshl_b64 s[8:9], s[8:9], 1
	v_ashrrev_i32_e32 v3, 31, v2
	v_lshlrev_b32_e32 v1, 6, v1
	v_lshlrev_b32_e32 v7, 10, v139
	v_and_b32_e32 v6, 0x3800, v6
	s_delay_alu instid0(VALU_DEP_4) | instskip(NEXT) | instid1(VALU_DEP_2)
	v_lshlrev_b64 v[2:3], 1, v[2:3]
	v_or3_b32 v1, v6, v7, v1
	s_add_u32 s5, s6, s8
	s_addc_u32 s6, s7, s9
	s_delay_alu instid0(VALU_DEP_2) | instskip(NEXT) | instid1(VALU_DEP_3)
	v_add_co_u32 v2, vcc_lo, s5, v2
	v_add_co_ci_u32_e32 v3, vcc_lo, s6, v3, vcc_lo
	s_delay_alu instid0(VALU_DEP_2) | instskip(NEXT) | instid1(VALU_DEP_2)
	v_add_co_u32 v2, vcc_lo, v2, v137
	v_add_co_ci_u32_e32 v3, vcc_lo, 0, v3, vcc_lo
	global_load_b128 v[2:5], v[2:3], off
	s_waitcnt vmcnt(0)
	ds_store_b128 v1, v[2:5]
.LBB240_10:
	s_or_b32 exec_lo, exec_lo, s4
	v_and_b32_e32 v1, 0xef, v0
	s_waitcnt lgkmcnt(0)
	s_add_i32 s5, s28, 15
	s_clause 0x1
	s_load_b32 s4, s[0:1], 0x38
	s_load_b32 s33, s[0:1], 0x98
	s_ashr_i32 s6, s5, 31
	v_add_nc_u32_e32 v1, s29, v1
	s_lshr_b32 s6, s6, 28
	s_load_b32 s30, s[0:1], 0x1c
	s_add_i32 s5, s5, s6
	s_waitcnt lgkmcnt(0)
	v_ashrrev_i32_e32 v2, 31, v1
	v_cmp_gt_i32_e32 vcc_lo, s28, v1
	s_ashr_i32 s16, s5, 4
	s_barrier
	s_add_i32 s16, s16, -1
	v_lshrrev_b32_e32 v3, 28, v2
	v_or_b32_e32 v2, 16, v1
	buffer_gl0_inv
	v_add_nc_u32_e32 v105, -11, v140
	v_lshlrev_b32_e32 v106, 5, v140
	v_add_nc_u32_e32 v4, v1, v3
	v_add_nc_u32_e32 v3, v2, v3
	s_mul_i32 s4, s34, s4
	s_delay_alu instid0(SALU_CYCLE_1) | instskip(NEXT) | instid1(VALU_DEP_2)
	s_ashr_i32 s5, s4, 31
	v_ashrrev_i32_e32 v4, 4, v4
	s_delay_alu instid0(VALU_DEP_2)
	v_ashrrev_i32_e32 v3, 4, v3
	s_lshl_b64 s[4:5], s[4:5], 2
	v_lshl_or_b32 v125, v141, 9, v106
	s_add_u32 s35, s2, s4
	v_cndmask_b32_e32 v1, s16, v4, vcc_lo
	v_cmp_gt_i32_e32 vcc_lo, s28, v2
	s_addc_u32 s36, s3, s5
	s_mul_i32 s2, s15, s18
	s_delay_alu instid0(VALU_DEP_2) | instskip(SKIP_2) | instid1(SALU_CYCLE_1)
	v_ashrrev_i32_e32 v2, 31, v1
	v_cndmask_b32_e32 v3, s16, v3, vcc_lo
	s_ashr_i32 s3, s2, 31
	s_lshl_b64 s[2:3], s[2:3], 1
	s_delay_alu instid0(VALU_DEP_2) | instskip(NEXT) | instid1(VALU_DEP_2)
	v_lshlrev_b64 v[1:2], 2, v[1:2]
	v_ashrrev_i32_e32 v4, 31, v3
	s_add_u32 s24, s20, s2
	s_addc_u32 s25, s21, s3
	s_lshl_b32 s4, s14, 4
	s_delay_alu instid0(VALU_DEP_1) | instskip(SKIP_3) | instid1(VALU_DEP_3)
	v_lshlrev_b64 v[3:4], 2, v[3:4]
	v_add_co_u32 v1, vcc_lo, s35, v1
	v_add_co_ci_u32_e32 v2, vcc_lo, s36, v2, vcc_lo
	s_ashr_i32 s5, s4, 31
	v_add_co_u32 v3, vcc_lo, s35, v3
	s_delay_alu instid0(VALU_DEP_4)
	v_add_co_ci_u32_e32 v4, vcc_lo, s36, v4, vcc_lo
	s_lshl_b64 s[4:5], s[4:5], 2
	s_clause 0x1
	global_load_b32 v5, v[1:2], off
	global_load_b32 v6, v[3:4], off
	s_add_u32 s4, s35, s4
	s_addc_u32 s5, s36, s5
	s_or_b32 s6, s29, 16
	v_lshlrev_b32_e32 v3, 4, v0
	s_ashr_i32 s7, s6, 4
	s_cmp_lt_i32 s6, s28
	s_cselect_b32 s6, s7, s16
	s_delay_alu instid0(SALU_CYCLE_1) | instskip(NEXT) | instid1(SALU_CYCLE_1)
	s_ashr_i32 s7, s6, 31
	s_lshl_b64 s[6:7], s[6:7], 2
	s_delay_alu instid0(SALU_CYCLE_1) | instskip(SKIP_2) | instid1(SALU_CYCLE_1)
	s_add_u32 s6, s35, s6
	s_addc_u32 s7, s36, s7
	s_or_b32 s8, s29, 32
	s_ashr_i32 s9, s8, 4
	s_cmp_lt_i32 s8, s28
	s_cselect_b32 s8, s9, s16
	s_delay_alu instid0(SALU_CYCLE_1) | instskip(NEXT) | instid1(SALU_CYCLE_1)
	s_ashr_i32 s9, s8, 31
	s_lshl_b64 s[8:9], s[8:9], 2
	s_delay_alu instid0(SALU_CYCLE_1) | instskip(SKIP_2) | instid1(SALU_CYCLE_1)
	s_add_u32 s8, s35, s8
	s_addc_u32 s9, s36, s9
	s_or_b32 s10, s29, 48
	s_ashr_i32 s11, s10, 4
	s_cmp_lt_i32 s10, s28
	s_cselect_b32 s10, s11, s16
	s_delay_alu instid0(SALU_CYCLE_1) | instskip(NEXT) | instid1(SALU_CYCLE_1)
	s_ashr_i32 s11, s10, 31
	s_lshl_b64 s[10:11], s[10:11], 2
	s_delay_alu instid0(SALU_CYCLE_1) | instskip(SKIP_2) | instid1(SALU_CYCLE_1)
	s_add_u32 s10, s35, s10
	s_addc_u32 s11, s36, s11
	s_or_b32 s12, s29, 64
	s_ashr_i32 s13, s12, 4
	s_cmp_lt_i32 s12, s28
	s_cselect_b32 s12, s13, s16
	s_delay_alu instid0(SALU_CYCLE_1) | instskip(NEXT) | instid1(SALU_CYCLE_1)
	s_ashr_i32 s13, s12, 31
	s_lshl_b64 s[12:13], s[12:13], 2
	s_delay_alu instid0(SALU_CYCLE_1) | instskip(SKIP_2) | instid1(SALU_CYCLE_1)
	s_add_u32 s18, s35, s12
	s_addc_u32 s19, s36, s13
	s_or_b32 s12, s29, 0x50
	s_ashr_i32 s13, s12, 4
	s_cmp_lt_i32 s12, s28
	s_cselect_b32 s12, s13, s16
	s_delay_alu instid0(SALU_CYCLE_1) | instskip(NEXT) | instid1(SALU_CYCLE_1)
	s_ashr_i32 s13, s12, 31
	s_lshl_b64 s[12:13], s[12:13], 2
	s_delay_alu instid0(SALU_CYCLE_1)
	s_add_u32 s20, s35, s12
	s_addc_u32 s21, s36, s13
	s_clause 0x5
	s_load_b32 s37, s[4:5], 0x0
	s_load_b32 s27, s[6:7], 0x0
	;; [unrolled: 1-line block ×6, first 2 shown]
	s_waitcnt vmcnt(1)
	v_mad_i64_i32 v[1:2], null, v5, s17, 0
	v_and_b32_e32 v5, 0xf0, v3
	s_waitcnt vmcnt(0)
	v_mad_i64_i32 v[3:4], null, v6, s17, 0
	s_delay_alu instid0(VALU_DEP_2) | instskip(NEXT) | instid1(VALU_DEP_4)
	v_add_co_u32 v5, s4, s24, v5
	v_lshlrev_b64 v[1:2], 1, v[1:2]
	v_add_co_ci_u32_e64 v6, null, s25, 0, s4
	s_delay_alu instid0(VALU_DEP_4) | instskip(SKIP_1) | instid1(VALU_DEP_3)
	v_lshlrev_b64 v[3:4], 1, v[3:4]
	s_or_b32 s4, s29, 0x60
	v_add_co_u32 v121, vcc_lo, v5, v1
	s_delay_alu instid0(VALU_DEP_3) | instskip(NEXT) | instid1(VALU_DEP_3)
	v_add_co_ci_u32_e32 v122, vcc_lo, v6, v2, vcc_lo
	v_add_co_u32 v123, vcc_lo, v5, v3
	s_delay_alu instid0(VALU_DEP_4)
	v_add_co_ci_u32_e32 v124, vcc_lo, v6, v4, vcc_lo
	s_clause 0x19
	global_load_b128 v[89:92], v[121:122], off
	global_load_b128 v[93:96], v[121:122], off offset:256
	global_load_b128 v[97:100], v[123:124], off
	global_load_b128 v[101:104], v[123:124], off offset:256
	global_load_b128 v[81:84], v[121:122], off offset:512
	;; [unrolled: 1-line block ×23, first 2 shown]
	s_ashr_i32 s5, s4, 4
	s_cmp_lt_i32 s4, s28
	v_cmp_gt_u32_e32 vcc_lo, 11, v140
	s_cselect_b32 s4, s5, s16
	s_delay_alu instid0(SALU_CYCLE_1) | instskip(NEXT) | instid1(SALU_CYCLE_1)
	s_ashr_i32 s5, s4, 31
	s_lshl_b64 s[4:5], s[4:5], 2
	v_cndmask_b32_e32 v105, v105, v140, vcc_lo
	s_add_u32 s18, s35, s4
	s_addc_u32 s19, s36, s5
	s_or_b32 s4, s29, 0x70
	s_delay_alu instid0(SALU_CYCLE_1)
	s_ashr_i32 s5, s4, 4
	s_cmp_lt_i32 s4, s28
	v_lshlrev_b32_e32 v215, 6, v105
	s_cselect_b32 s6, s5, s16
	ds_load_b128 v[105:108], v215
	ds_load_b128 v[109:112], v215 offset:1024
	s_ashr_i32 s7, s6, 31
	ds_load_b128 v[113:116], v215 offset:2048
	ds_load_b128 v[117:120], v215 offset:3072
	;; [unrolled: 1-line block ×8, first 2 shown]
	s_clause 0x1
	global_load_b128 v[167:170], v[123:124], off offset:3072
	global_load_b128 v[171:174], v[123:124], off offset:3328
	s_lshl_b64 s[6:7], s[6:7], 2
	s_mov_b32 s4, 0
	s_add_u32 s20, s35, s6
	s_addc_u32 s21, s36, s7
	s_clause 0x1
	s_load_b32 s41, s[18:19], 0x0
	s_load_b32 s46, s[20:21], 0x0
	s_clause 0x3
	global_load_b128 v[175:178], v[121:122], off offset:3584
	global_load_b128 v[179:182], v[121:122], off offset:3840
	;; [unrolled: 1-line block ×4, first 2 shown]
	s_or_b32 s7, s29, 0x80
	s_mov_b32 s5, s4
	s_ashr_i32 s8, s7, 4
	s_cmp_lt_i32 s7, s28
	s_mov_b32 s6, s4
	s_cselect_b32 s10, s8, s16
	s_mov_b32 s7, s4
	s_ashr_i32 s11, s10, 31
	s_mov_b32 s8, s4
	s_lshl_b64 s[24:25], s[10:11], 2
	s_mov_b32 s9, s4
	s_add_u32 s24, s35, s24
	s_addc_u32 s25, s36, s25
	s_or_b32 s11, s29, 0x90
	s_mov_b32 s10, s4
	s_ashr_i32 s38, s11, 4
	s_cmp_lt_i32 s11, s28
	s_mov_b32 s11, s4
	s_cselect_b32 s38, s38, s16
	v_mov_b32_e32 v136, s11
	s_ashr_i32 s39, s38, 31
	v_dual_mov_b32 v135, s10 :: v_dual_mov_b32 v134, s9
	v_dual_mov_b32 v133, s8 :: v_dual_mov_b32 v132, s7
	;; [unrolled: 1-line block ×3, first 2 shown]
	v_mov_b32_e32 v129, s4
	s_lshl_b64 s[4:5], s[38:39], 2
	s_waitcnt lgkmcnt(0)
	s_mul_hi_i32 s7, s27, s17
	s_add_u32 s38, s35, s4
	s_addc_u32 s39, s36, s5
	s_or_b32 s4, s29, 0xa0
	s_load_b32 s40, s[38:39], 0x0
	s_ashr_i32 s5, s4, 4
	s_cmp_lt_i32 s4, s28
	s_cselect_b32 s4, s5, s16
	s_delay_alu instid0(SALU_CYCLE_1) | instskip(NEXT) | instid1(SALU_CYCLE_1)
	s_ashr_i32 s5, s4, 31
	s_lshl_b64 s[4:5], s[4:5], 2
	s_delay_alu instid0(SALU_CYCLE_1)
	s_add_u32 s42, s35, s4
	s_addc_u32 s43, s36, s5
	s_or_b32 s4, s29, 0xb0
	s_load_b32 s39, s[42:43], 0x0
	s_ashr_i32 s6, s4, 4
	s_cmp_lt_i32 s4, s28
	s_mul_hi_i32 s5, s37, s17
	s_cselect_b32 s8, s6, s16
	s_mul_i32 s6, s27, s17
	s_ashr_i32 s9, s8, 31
	s_mul_i32 s4, s37, s17
	s_lshl_b64 s[10:11], s[8:9], 2
	s_mul_hi_i32 s9, s26, s17
	s_add_u32 s44, s35, s10
	s_addc_u32 s45, s36, s11
	s_or_b32 s10, s29, 0xc0
	s_mul_i32 s8, s26, s17
	s_ashr_i32 s26, s10, 4
	s_cmp_lt_i32 s10, s28
	s_mul_hi_i32 s11, s13, s17
	s_cselect_b32 s26, s26, s16
	s_mul_i32 s10, s13, s17
	s_ashr_i32 s27, s26, 31
	s_mul_hi_i32 s13, s12, s17
	s_lshl_b64 s[26:27], s[26:27], 2
	s_mul_i32 s12, s12, s17
	s_add_u32 s20, s35, s26
	s_addc_u32 s21, s36, s27
	s_or_b32 s18, s29, 0xd0
	s_load_b32 s26, s[24:25], 0x0
	s_ashr_i32 s19, s18, 4
	s_cmp_lt_i32 s18, s28
	s_mul_i32 s18, s15, s17
	s_cselect_b32 s24, s19, s16
	s_mul_hi_i32 s19, s15, s17
	s_ashr_i32 s25, s24, 31
	s_delay_alu instid0(SALU_CYCLE_1) | instskip(NEXT) | instid1(SALU_CYCLE_1)
	s_lshl_b64 s[24:25], s[24:25], 2
	s_add_u32 s24, s35, s24
	s_addc_u32 s25, s36, s25
	s_or_b32 s42, s29, 0xe0
	s_clause 0x2
	s_load_b32 s38, s[44:45], 0x0
	s_load_b32 s37, s[20:21], 0x0
	;; [unrolled: 1-line block ×3, first 2 shown]
	s_ashr_i32 s43, s42, 4
	s_cmp_lt_i32 s42, s28
	s_mul_hi_i32 s25, s46, s17
	s_cselect_b32 s42, s43, s16
	s_mul_i32 s24, s46, s17
	s_ashr_i32 s43, s42, 31
	s_mul_hi_i32 s21, s41, s17
	s_lshl_b64 s[42:43], s[42:43], 2
	s_mul_i32 s20, s41, s17
	s_add_u32 s42, s35, s42
	s_addc_u32 s43, s36, s43
	s_or_b32 s46, s29, 0xf0
	s_waitcnt lgkmcnt(0)
	s_mul_hi_i32 s27, s26, s17
	s_ashr_i32 s47, s46, 4
	s_cmp_lt_i32 s46, s28
	s_mul_i32 s26, s26, s17
	s_cselect_b32 s46, s47, s16
	s_mul_hi_i32 s41, s40, s17
	s_ashr_i32 s47, s46, 31
	s_mul_hi_i32 s51, s15, s17
	s_lshl_b64 s[46:47], s[46:47], 2
	s_mul_i32 s50, s15, s17
	s_add_u32 s46, s35, s46
	s_addc_u32 s47, s36, s47
	s_add_u32 s15, s22, s2
	s_addc_u32 s16, s23, s3
	v_add_co_u32 v216, s15, s15, v125
	s_delay_alu instid0(VALU_DEP_1) | instskip(SKIP_2) | instid1(VALU_DEP_2)
	v_add_co_ci_u32_e64 v217, null, s16, 0, s15
	s_lshl_b64 s[2:3], s[4:5], 1
	s_lshl_b64 s[4:5], s[6:7], 1
	v_add_co_u32 v125, vcc_lo, v216, s2
	s_delay_alu instid0(VALU_DEP_2)
	v_add_co_ci_u32_e32 v126, vcc_lo, s3, v217, vcc_lo
	v_add_co_u32 v199, vcc_lo, v216, s4
	s_lshl_b64 s[6:7], s[8:9], 1
	v_add_co_ci_u32_e32 v200, vcc_lo, s5, v217, vcc_lo
	s_lshl_b64 s[8:9], s[10:11], 1
	s_lshl_b64 s[10:11], s[12:13], 1
	;; [unrolled: 1-line block ×6, first 2 shown]
	s_mul_i32 s40, s40, s17
	s_mul_hi_i32 s45, s39, s17
	s_lshl_b64 s[24:25], s[40:41], 1
	s_mul_i32 s44, s39, s17
	s_mul_hi_i32 s39, s38, s17
	s_lshl_b64 s[26:27], s[44:45], 1
	s_mul_i32 s38, s38, s17
	s_mul_hi_i32 s49, s37, s17
	s_mul_i32 s48, s37, s17
	s_lshl_b64 s[36:37], s[38:39], 1
	s_lshl_b64 s[38:39], s[48:49], 1
	s_clause 0x1
	s_load_b32 s15, s[42:43], 0x0
	s_load_b32 s16, s[46:47], 0x0
	s_lshl_b64 s[40:41], s[50:51], 1
	s_waitcnt lgkmcnt(0)
	s_mul_hi_i32 s3, s15, s17
	s_mul_i32 s2, s15, s17
	s_mul_hi_i32 s5, s16, s17
	s_lshl_b64 s[2:3], s[2:3], 1
	s_mul_i32 s4, s16, s17
	s_waitcnt vmcnt(30)
	v_wmma_f32_16x16x16_f16 v[191:198], v[89:96], v[105:112], v[129:136]
	v_add_co_u32 v89, vcc_lo, v216, s6
	v_add_co_ci_u32_e32 v90, vcc_lo, s7, v217, vcc_lo
	v_add_co_u32 v91, vcc_lo, v216, s8
	v_add_co_ci_u32_e32 v92, vcc_lo, s9, v217, vcc_lo
	;; [unrolled: 2-line block ×5, first 2 shown]
	v_add_co_u32 v205, vcc_lo, v216, s20
	s_waitcnt vmcnt(28)
	v_wmma_f32_16x16x16_f16 v[129:136], v[97:104], v[105:112], v[129:136]
	v_add_co_ci_u32_e32 v206, vcc_lo, s21, v217, vcc_lo
	v_add_co_u32 v207, vcc_lo, v216, s22
	v_add_co_ci_u32_e32 v208, vcc_lo, s23, v217, vcc_lo
	v_add_co_u32 v209, vcc_lo, v216, s24
	s_waitcnt vmcnt(26)
	v_wmma_f32_16x16x16_f16 v[191:198], v[81:88], v[113:120], v[191:198]
	s_waitcnt vmcnt(24)
	v_wmma_f32_16x16x16_f16 v[129:136], v[73:80], v[113:120], v[129:136]
	v_add_co_ci_u32_e32 v210, vcc_lo, s25, v217, vcc_lo
	v_add_co_u32 v211, vcc_lo, v216, s26
	v_add_co_ci_u32_e32 v212, vcc_lo, s27, v217, vcc_lo
	v_add_co_u32 v213, vcc_lo, v216, s36
	s_waitcnt vmcnt(22)
	v_wmma_f32_16x16x16_f16 v[191:198], v[65:72], v[143:150], v[191:198]
	s_waitcnt vmcnt(20)
	v_wmma_f32_16x16x16_f16 v[129:136], v[57:64], v[143:150], v[129:136]
	v_add_co_ci_u32_e32 v214, vcc_lo, s37, v217, vcc_lo
	v_add_co_u32 v143, vcc_lo, v216, s38
	s_waitcnt vmcnt(18)
	v_wmma_f32_16x16x16_f16 v[191:198], v[49:56], v[151:158], v[191:198]
	s_waitcnt vmcnt(16)
	v_wmma_f32_16x16x16_f16 v[129:136], v[25:32], v[151:158], v[129:136]
	v_add_co_ci_u32_e32 v144, vcc_lo, s39, v217, vcc_lo
	s_clause 0x15
	global_load_b128 v[121:124], v[125:126], off
	global_load_b128 v[125:128], v[125:126], off offset:16
	global_load_b128 v[113:116], v[199:200], off
	global_load_b128 v[117:120], v[199:200], off offset:16
	;; [unrolled: 2-line block ×11, first 2 shown]
	s_waitcnt vmcnt(36)
	v_wmma_f32_16x16x16_f16 v[191:198], v[1:8], v[159:166], v[191:198]
	s_clause 0x1
	global_load_b128 v[1:4], v[213:214], off
	global_load_b128 v[5:8], v[213:214], off offset:16
	s_waitcnt vmcnt(36)
	v_wmma_f32_16x16x16_f16 v[129:136], v[9:16], v[159:166], v[129:136]
	s_clause 0x1
	global_load_b128 v[9:12], v[143:144], off
	global_load_b128 v[13:16], v[143:144], off offset:16
	ds_load_b128 v[143:146], v215 offset:10240
	ds_load_b128 v[147:150], v215 offset:11264
	;; [unrolled: 1-line block ×4, first 2 shown]
	v_add_co_u32 v199, vcc_lo, v216, s40
	v_add_co_ci_u32_e32 v200, vcc_lo, s41, v217, vcc_lo
	v_add_co_u32 v159, vcc_lo, v216, s2
	v_add_co_ci_u32_e32 v160, vcc_lo, s3, v217, vcc_lo
	s_lshl_b64 s[2:3], s[4:5], 1
	s_delay_alu instid0(SALU_CYCLE_1)
	v_add_co_u32 v161, vcc_lo, v216, s2
	v_add_co_ci_u32_e32 v162, vcc_lo, s3, v217, vcc_lo
	s_waitcnt vmcnt(36) lgkmcnt(2)
	v_wmma_f32_16x16x16_f16 v[191:198], v[33:40], v[143:150], v[191:198]
	s_waitcnt vmcnt(34)
	v_wmma_f32_16x16x16_f16 v[129:136], v[41:48], v[143:150], v[129:136]
	s_clause 0x3
	global_load_b128 v[33:36], v[199:200], off
	global_load_b128 v[37:40], v[199:200], off offset:16
	global_load_b128 v[41:44], v[159:160], off
	global_load_b128 v[45:48], v[159:160], off offset:16
	v_and_b32_e32 v143, 0xe0, v0
	v_mbcnt_lo_u32_b32 v159, -1, 0
	s_waitcnt vmcnt(36) lgkmcnt(0)
	v_wmma_f32_16x16x16_f16 v[191:198], v[17:24], v[151:158], v[191:198]
	s_clause 0x1
	global_load_b128 v[17:20], v[161:162], off
	global_load_b128 v[21:24], v[161:162], off offset:16
	s_waitcnt vmcnt(36)
	v_wmma_f32_16x16x16_f16 v[129:136], v[167:174], v[151:158], v[129:136]
	v_add_nc_u32_e32 v160, s29, v143
	ds_load_b128 v[143:146], v215 offset:14336
	ds_load_b128 v[147:150], v215 offset:15360
	v_xor_b32_e32 v151, 16, v159
	s_waitcnt vmcnt(0) lgkmcnt(0)
	s_barrier
	v_or_b32_e32 v152, v160, v138
	buffer_gl0_inv
	v_cmp_gt_i32_e32 vcc_lo, 32, v151
	v_or_b32_e32 v153, 2, v152
	v_or_b32_e32 v154, 4, v152
	;; [unrolled: 1-line block ×5, first 2 shown]
	v_cmp_gt_i32_e64 s2, s28, v153
	v_cmp_gt_i32_e64 s3, s28, v154
	;; [unrolled: 1-line block ×3, first 2 shown]
	v_or_b32_e32 v158, 12, v152
	v_cmp_gt_i32_e64 s5, s28, v156
	v_cmp_gt_i32_e64 s6, s28, v157
	v_wmma_f32_16x16x16_f16 v[191:198], v[175:182], v[143:150], v[191:198]
	v_wmma_f32_16x16x16_f16 v[129:136], v[183:190], v[143:150], v[129:136]
	v_cndmask_b32_e32 v151, v159, v151, vcc_lo
	v_cmp_gt_i32_e32 vcc_lo, s28, v152
	v_or_b32_e32 v159, 14, v152
	v_dual_mul_f32 v149, s30, v192 :: v_dual_mul_f32 v150, s30, v191
	v_dual_mul_f32 v147, s30, v194 :: v_dual_mul_f32 v148, s30, v193
	v_mul_f32_e32 v145, s30, v196
	s_delay_alu instid0(VALU_DEP_3) | instskip(NEXT) | instid1(VALU_DEP_4)
	v_cndmask_b32_e64 v149, 0xff7fffff, v149, s2
	v_cndmask_b32_e32 v150, 0xff7fffff, v150, vcc_lo
	v_mul_f32_e32 v146, s30, v195
	v_cndmask_b32_e64 v148, 0xff7fffff, v148, s3
	v_cndmask_b32_e64 v147, 0xff7fffff, v147, s4
	v_or_b32_e32 v160, 16, v152
	v_max3_f32 v149, v150, 0xff7fffff, v149
	v_or_b32_e32 v161, 18, v152
	v_dual_mul_f32 v143, s30, v198 :: v_dual_mul_f32 v144, s30, v197
	v_cndmask_b32_e64 v146, 0xff7fffff, v146, s5
	v_cndmask_b32_e64 v145, 0xff7fffff, v145, s6
	v_max3_f32 v147, v149, v148, v147
	v_cmp_gt_i32_e64 s7, s28, v158
	v_cmp_gt_i32_e64 s8, s28, v159
	v_or_b32_e32 v162, 20, v152
	v_or_b32_e32 v163, 22, v152
	v_dual_mul_f32 v174, s30, v130 :: v_dual_mul_f32 v175, s30, v129
	v_cndmask_b32_e64 v144, 0xff7fffff, v144, s7
	v_cndmask_b32_e64 v143, 0xff7fffff, v143, s8
	v_max3_f32 v145, v147, v146, v145
	v_cmp_gt_i32_e64 s9, s28, v160
	v_cmp_gt_i32_e64 s10, s28, v161
	v_or_b32_e32 v164, 24, v152
	;; [unrolled: 8-line block ×3, first 2 shown]
	v_or_b32_e32 v167, 30, v152
	v_dual_mul_f32 v170, s30, v134 :: v_dual_mul_f32 v171, s30, v133
	v_cndmask_b32_e64 v144, 0xff7fffff, v173, s11
	v_cndmask_b32_e64 v145, 0xff7fffff, v172, s12
	v_max3_f32 v143, v143, v146, v147
	v_cmp_gt_i32_e64 s13, s28, v164
	v_cmp_gt_i32_e64 s15, s28, v165
	v_dual_mul_f32 v168, s30, v136 :: v_dual_mul_f32 v169, s30, v135
	s_delay_alu instid0(VALU_DEP_4) | instskip(NEXT) | instid1(VALU_DEP_4)
	v_max3_f32 v143, v143, v144, v145
	v_cndmask_b32_e64 v146, 0xff7fffff, v171, s13
	s_delay_alu instid0(VALU_DEP_4) | instskip(SKIP_3) | instid1(VALU_DEP_4)
	v_cndmask_b32_e64 v147, 0xff7fffff, v170, s15
	v_cmp_gt_i32_e64 s16, s28, v166
	v_cmp_gt_i32_e64 s17, s28, v167
	v_lshlrev_b32_e32 v160, 2, v151
	v_max3_f32 v143, v143, v146, v147
	s_delay_alu instid0(VALU_DEP_4) | instskip(NEXT) | instid1(VALU_DEP_4)
	v_cndmask_b32_e64 v144, 0xff7fffff, v169, s16
	v_cndmask_b32_e64 v145, 0xff7fffff, v168, s17
	s_delay_alu instid0(VALU_DEP_1) | instskip(SKIP_3) | instid1(VALU_DEP_1)
	v_max3_f32 v143, v143, v144, v145
	ds_bpermute_b32 v144, v160, v143
	s_waitcnt lgkmcnt(0)
	v_max_f32_e32 v144, v144, v144
	v_max_f32_e32 v159, v143, v144
	s_delay_alu instid0(VALU_DEP_1) | instskip(SKIP_4) | instid1(VALU_DEP_4)
	v_fma_f32 v143, s30, v191, -v159
	v_fma_f32 v144, s30, v192, -v159
	;; [unrolled: 1-line block ×5, first 2 shown]
	v_dual_mul_f32 v143, 0x3fb8aa3b, v143 :: v_dual_mul_f32 v144, 0x3fb8aa3b, v144
	s_delay_alu instid0(VALU_DEP_4) | instskip(SKIP_2) | instid1(VALU_DEP_4)
	v_mul_f32_e32 v132, 0x3fb8aa3b, v132
	v_fma_f32 v134, s30, v134, -v159
	v_mul_f32_e32 v145, 0x3fb8aa3b, v145
	v_exp_f32_e32 v143, v143
	v_exp_f32_e32 v147, v144
	v_fma_f32 v148, s30, v195, -v159
	v_mul_f32_e32 v134, 0x3fb8aa3b, v134
	v_mul_f32_e32 v146, 0x3fb8aa3b, v146
	v_exp_f32_e32 v145, v145
	v_fma_f32 v149, s30, v196, -v159
	v_mul_f32_e32 v148, 0x3fb8aa3b, v148
	v_fma_f32 v151, s30, v197, -v159
	v_exp_f32_e32 v150, v146
	v_cndmask_b32_e32 v144, 0, v143, vcc_lo
	v_cndmask_b32_e64 v143, 0, v147, s2
	v_mul_f32_e32 v149, 0x3fb8aa3b, v149
	v_exp_f32_e32 v148, v148
	v_fma_f32 v152, s30, v198, -v159
	v_add_f32_e32 v147, 0, v144
	v_cndmask_b32_e64 v146, 0, v145, s3
	v_mul_f32_e32 v151, 0x3fb8aa3b, v151
	v_exp_f32_e32 v149, v149
	v_cndmask_b32_e64 v145, 0, v150, s4
	v_add_f32_e32 v147, v147, v143
	v_fma_f32 v129, s30, v129, -v159
	v_mul_f32_e32 v150, 0x3fb8aa3b, v152
	v_exp_f32_e32 v151, v151
	v_cndmask_b32_e64 v148, 0, v148, s5
	v_add_f32_e32 v147, v147, v146
	v_fma_f32 v130, s30, v130, -v159
	v_mul_f32_e32 v129, 0x3fb8aa3b, v129
	v_exp_f32_e32 v153, v150
	v_fma_f32 v131, s30, v131, -v159
	v_add_f32_e32 v152, v147, v145
	v_cndmask_b32_e64 v147, 0, v149, s6
	v_mul_f32_e32 v130, 0x3fb8aa3b, v130
	v_exp_f32_e32 v129, v129
	v_cndmask_b32_e64 v150, 0, v151, s7
	v_add_f32_e32 v149, v152, v148
	v_mul_f32_e32 v131, 0x3fb8aa3b, v131
	v_exp_f32_e32 v130, v130
	v_fma_f32 v133, s30, v133, -v159
	v_exp_f32_e32 v132, v132
	v_add_f32_e32 v151, v149, v147
	v_cndmask_b32_e64 v149, 0, v153, s8
	v_exp_f32_e32 v131, v131
	v_cndmask_b32_e64 v152, 0, v129, s9
	v_mul_f32_e32 v133, 0x3fb8aa3b, v133
	v_add_f32_e32 v151, v151, v150
	v_cmp_gt_u32_e64 s2, 16, v142
	s_delay_alu instid0(VALU_DEP_3) | instskip(NEXT) | instid1(VALU_DEP_2)
	v_exp_f32_e32 v133, v133
	v_add_f32_e32 v129, v151, v149
	v_cndmask_b32_e64 v151, 0, v130, s10
	v_fma_f32 v130, s30, v135, -v159
	s_delay_alu instid0(TRANS32_DEP_2)
	v_cndmask_b32_e64 v154, 0, v131, s11
	v_exp_f32_e32 v131, v134
	v_add_f32_e32 v129, v129, v152
	v_cndmask_b32_e64 v153, 0, v132, s12
	v_mul_f32_e32 v130, 0x3fb8aa3b, v130
	v_fma_f32 v132, s30, v136, -v159
	v_cndmask_b32_e64 v156, 0, v133, s13
	v_add_f32_e32 v129, v129, v151
	s_delay_alu instid0(VALU_DEP_4) | instskip(NEXT) | instid1(VALU_DEP_3)
	v_exp_f32_e32 v130, v130
	v_mul_f32_e32 v132, 0x3fb8aa3b, v132
	s_delay_alu instid0(TRANS32_DEP_2) | instskip(NEXT) | instid1(VALU_DEP_3)
	v_cndmask_b32_e64 v155, 0, v131, s15
	v_add_f32_e32 v129, v129, v154
	s_delay_alu instid0(VALU_DEP_3) | instskip(NEXT) | instid1(VALU_DEP_1)
	v_exp_f32_e32 v131, v132
	v_add_f32_e32 v129, v129, v153
	s_waitcnt_depctr 0xfff
	v_cndmask_b32_e64 v158, 0, v130, s16
	v_add_f32_e32 v129, v129, v156
	v_cndmask_b32_e64 v157, 0, v131, s17
	s_delay_alu instid0(VALU_DEP_2) | instskip(NEXT) | instid1(VALU_DEP_1)
	v_add_f32_e32 v129, v129, v155
	v_add_f32_e32 v129, v129, v158
	s_delay_alu instid0(VALU_DEP_1)
	v_add_f32_e32 v129, v129, v157
	ds_bpermute_b32 v130, v160, v129
	s_and_saveexec_b32 s3, s2
	s_cbranch_execz .LBB240_12
; %bb.11:
	v_mul_u32_u24_e32 v131, 0x44, v141
	s_delay_alu instid0(VALU_DEP_1) | instskip(SKIP_1) | instid1(VALU_DEP_1)
	v_lshl_add_u32 v131, v140, 2, v131
	s_waitcnt lgkmcnt(0)
	v_dual_add_f32 v129, v129, v130 :: v_dual_add_nc_u32 v130, 0x4000, v131
	ds_store_2addr_b32 v130, v159, v129 offset1:136
.LBB240_12:
	s_or_b32 exec_lo, exec_lo, s3
	v_lshlrev_b32_e32 v129, 2, v140
	s_load_b32 s35, s[0:1], 0x94
	s_waitcnt lgkmcnt(0)
	s_barrier
	buffer_gl0_inv
	v_add_nc_u32_e32 v135, 0x4000, v129
	v_cmp_eq_u32_e32 vcc_lo, 1, v141
	v_cmp_eq_u32_e64 s3, 2, v141
	v_cmp_eq_u32_e64 s4, 3, v141
	;; [unrolled: 1-line block ×3, first 2 shown]
	ds_load_2addr_b32 v[129:130], v135 offset1:17
	ds_load_2addr_b32 v[131:132], v135 offset0:34 offset1:51
	ds_load_2addr_b32 v[133:134], v135 offset0:68 offset1:85
	;; [unrolled: 1-line block ×3, first 2 shown]
	v_cmp_eq_u32_e64 s6, 5, v141
	v_cmp_eq_u32_e64 s7, 7, v141
	s_waitcnt lgkmcnt(3)
	v_max3_f32 v136, v129, 0xff7fffff, v130
	s_waitcnt lgkmcnt(2)
	s_delay_alu instid0(VALU_DEP_1) | instskip(SKIP_1) | instid1(VALU_DEP_1)
	v_max3_f32 v136, v136, v131, v132
	s_waitcnt lgkmcnt(1)
	v_max3_f32 v136, v136, v133, v134
	s_waitcnt lgkmcnt(0)
	s_delay_alu instid0(VALU_DEP_1) | instskip(NEXT) | instid1(VALU_DEP_1)
	v_max3_f32 v136, v136, v159, v160
	v_sub_f32_e32 v142, v130, v136
	ds_load_2addr_b32 v[161:162], v135 offset0:136 offset1:153
	v_sub_f32_e32 v164, v132, v136
	v_mul_f32_e32 v142, 0x3fb8aa3b, v142
	s_delay_alu instid0(VALU_DEP_2) | instskip(NEXT) | instid1(VALU_DEP_2)
	v_mul_f32_e32 v164, 0x3fb8aa3b, v164
	v_exp_f32_e32 v166, v142
	v_sub_f32_e32 v129, v129, v136
	s_delay_alu instid0(VALU_DEP_2) | instskip(NEXT) | instid1(VALU_DEP_1)
	v_exp_f32_e32 v164, v164
	v_mul_f32_e32 v163, 0x3fb8aa3b, v129
	ds_load_2addr_b32 v[129:130], v135 offset0:170 offset1:187
	v_exp_f32_e32 v163, v163
	s_waitcnt lgkmcnt(1)
	s_waitcnt_depctr 0xfff
	v_fma_f32 v142, v163, v161, 0
	v_sub_f32_e32 v161, v134, v136
	s_delay_alu instid0(VALU_DEP_2) | instskip(NEXT) | instid1(VALU_DEP_1)
	v_dual_fmac_f32 v142, v166, v162 :: v_dual_sub_f32 v131, v131, v136
	v_mul_f32_e32 v165, 0x3fb8aa3b, v131
	ds_load_2addr_b32 v[131:132], v135 offset0:204 offset1:221
	v_exp_f32_e32 v165, v165
	s_waitcnt lgkmcnt(1)
	s_waitcnt_depctr 0xfff
	v_fmac_f32_e32 v142, v165, v129
	v_sub_f32_e32 v133, v133, v136
	v_sub_f32_e32 v129, v160, v136
	s_delay_alu instid0(VALU_DEP_2) | instskip(NEXT) | instid1(VALU_DEP_2)
	v_dual_fmac_f32 v142, v164, v130 :: v_dual_mul_f32 v167, 0x3fb8aa3b, v133
	v_mul_f32_e32 v129, 0x3fb8aa3b, v129
	ds_load_2addr_b32 v[133:134], v135 offset0:238 offset1:255
	v_cndmask_b32_e32 v130, v163, v166, vcc_lo
	s_waitcnt lgkmcnt(0)
	s_barrier
	v_exp_f32_e32 v162, v129
	v_sub_f32_e32 v135, v159, v136
	v_mul_f32_e32 v159, 0x3fb8aa3b, v161
	v_exp_f32_e32 v161, v167
	buffer_gl0_inv
	v_exp_f32_e32 v159, v159
	v_fmac_f32_e32 v142, v161, v131
	s_waitcnt_depctr 0xfff
	v_dual_mul_f32 v135, 0x3fb8aa3b, v135 :: v_dual_fmac_f32 v142, v159, v132
	s_delay_alu instid0(VALU_DEP_1) | instskip(SKIP_2) | instid1(VALU_DEP_1)
	v_exp_f32_e32 v160, v135
	s_waitcnt_depctr 0xfff
	v_dual_fmac_f32 v142, v160, v133 :: v_dual_lshlrev_b32 v133, 6, v140
	v_fmac_f32_e32 v142, v162, v134
	s_delay_alu instid0(VALU_DEP_2) | instskip(NEXT) | instid1(VALU_DEP_2)
	v_lshl_or_b32 v135, v141, 11, v133
	v_add_f32_e32 v134, 0x358637bd, v142
	s_delay_alu instid0(VALU_DEP_1) | instskip(SKIP_1) | instid1(VALU_DEP_2)
	v_div_scale_f32 v167, null, v134, v134, 1.0
	v_div_scale_f32 v163, vcc_lo, 1.0, v134, 1.0
	v_rcp_f32_e32 v168, v167
	s_waitcnt_depctr 0xfff
	v_fma_f32 v129, -v167, v168, 1.0
	s_delay_alu instid0(VALU_DEP_1) | instskip(SKIP_2) | instid1(VALU_DEP_2)
	v_fmac_f32_e32 v168, v129, v168
	v_cndmask_b32_e64 v129, v130, v165, s3
	v_cmp_eq_u32_e64 s3, 6, v141
	v_cndmask_b32_e64 v130, v129, v164, s4
	v_lshlrev_b32_e32 v129, 2, v138
	v_mul_f32_e32 v165, v163, v168
	s_delay_alu instid0(VALU_DEP_3) | instskip(NEXT) | instid1(VALU_DEP_3)
	v_cndmask_b32_e64 v161, v130, v161, s5
	v_or_b32_e32 v130, 1, v129
	s_delay_alu instid0(VALU_DEP_3)
	v_fma_f32 v131, -v167, v165, v163
	v_or_b32_e32 v132, 2, v129
	v_cmp_eq_u32_e64 s4, 1, v129
	v_cndmask_b32_e64 v141, v161, v159, s6
	v_cmp_eq_u32_e64 s9, 1, v130
	v_fmac_f32_e32 v165, v131, v168
	v_or_b32_e32 v131, 3, v129
	v_cmp_eq_u32_e64 s10, 1, v132
	v_cndmask_b32_e64 v141, v141, v160, s3
	v_cmp_eq_u32_e64 s5, 2, v129
	v_fma_f32 v159, -v167, v165, v163
	v_cmp_eq_u32_e64 s11, 1, v131
	v_cmp_eq_u32_e64 s16, 2, v131
	v_cndmask_b32_e64 v141, v141, v162, s7
	v_cmp_eq_u32_e64 s12, 2, v130
	v_div_fmas_f32 v159, v159, v168, v165
	v_cmp_eq_u32_e64 s18, 3, v131
	v_cmp_eq_u32_e32 vcc_lo, 3, v129
	v_cmp_eq_u32_e64 s13, 3, v130
	v_cmp_eq_u32_e64 s15, 2, v132
	v_div_fixup_f32 v159, v159, v134, 1.0
	v_lshl_or_b32 v134, v138, 4, v135
	v_cmp_eq_u32_e64 s22, 4, v131
	v_cmp_eq_u32_e64 s3, 4, v129
	;; [unrolled: 1-line block ×3, first 2 shown]
	v_mul_f32_e32 v141, v141, v159
	v_cmp_eq_u32_e64 s19, 4, v130
	v_cmp_eq_u32_e64 s24, 5, v131
	;; [unrolled: 1-line block ×4, first 2 shown]
	v_fma_mixlo_f16 v159, v141, v144, 0
	v_fma_mixlo_f16 v160, v141, v146, 0
	;; [unrolled: 1-line block ×8, first 2 shown]
	v_fma_mixhi_f16 v159, v141, v143, 0
	v_fma_mixhi_f16 v160, v141, v145, 0
	;; [unrolled: 1-line block ×8, first 2 shown]
	ds_store_b128 v134, v[159:162]
	ds_store_b128 v134, v[163:166] offset:1024
	s_waitcnt lgkmcnt(0)
	s_barrier
	buffer_gl0_inv
	ds_load_b128 v[143:146], v135
	ds_load_b128 v[147:150], v135 offset:16
	ds_load_b128 v[151:154], v135 offset:1024
	;; [unrolled: 1-line block ×3, first 2 shown]
	v_cmp_eq_u32_e64 s21, 4, v132
	v_cmp_eq_u32_e64 s27, 6, v131
	;; [unrolled: 1-line block ×10, first 2 shown]
	s_waitcnt lgkmcnt(3)
	v_lshrrev_b32_e32 v141, 16, v143
	s_waitcnt lgkmcnt(2)
	v_lshrrev_b32_e32 v162, 16, v147
	v_lshrrev_b32_e32 v159, 16, v144
	;; [unrolled: 1-line block ×3, first 2 shown]
	s_waitcnt lgkmcnt(1)
	v_lshrrev_b32_e32 v166, 16, v151
	v_cndmask_b32_e64 v174, v143, v141, s4
	v_cndmask_b32_e64 v176, v143, v141, s9
	;; [unrolled: 1-line block ×5, first 2 shown]
	s_waitcnt lgkmcnt(0)
	v_lshrrev_b32_e32 v170, 16, v155
	v_cndmask_b32_e64 v175, v147, v162, s4
	v_cndmask_b32_e64 v177, v147, v162, s9
	;; [unrolled: 1-line block ×19, first 2 shown]
	v_lshrrev_b32_e32 v160, 16, v145
	v_lshrrev_b32_e32 v164, 16, v149
	v_lshrrev_b32_e32 v167, 16, v152
	v_lshrrev_b32_e32 v171, 16, v156
	v_cndmask_b32_e64 v176, v178, v144, s15
	v_cndmask_b32_e64 v177, v179, v148, s15
	;; [unrolled: 1-line block ×8, first 2 shown]
	v_cndmask_b32_e32 v155, v166, v159, vcc_lo
	v_cndmask_b32_e32 v166, v170, v163, vcc_lo
	v_cndmask_b32_e64 v170, v174, v159, s13
	v_cndmask_b32_e64 v174, v175, v163, s13
	;; [unrolled: 1-line block ×6, first 2 shown]
	v_cndmask_b32_e32 v144, v144, v167, vcc_lo
	v_cndmask_b32_e32 v147, v147, v171, vcc_lo
	v_cndmask_b32_e64 v148, v148, v167, s13
	v_cndmask_b32_e64 v155, v155, v145, s3
	;; [unrolled: 1-line block ×7, first 2 shown]
	v_lshrrev_b32_e32 v161, 16, v146
	v_lshrrev_b32_e32 v165, 16, v150
	;; [unrolled: 1-line block ×4, first 2 shown]
	v_cndmask_b32_e64 v170, v175, v145, s21
	v_cndmask_b32_e64 v174, v176, v149, s21
	v_cndmask_b32_e64 v144, v144, v153, s3
	v_cndmask_b32_e64 v145, v147, v157, s3
	v_cndmask_b32_e64 v147, v148, v153, s19
	v_cndmask_b32_e64 v148, v155, v160, s6
	v_cndmask_b32_e64 v149, v159, v164, s6
	v_cndmask_b32_e64 v155, v163, v160, s20
	v_cndmask_b32_e64 v159, v166, v164, s20
	v_cndmask_b32_e64 v141, v141, v146, s27
	v_cndmask_b32_e64 v143, v143, v150, s27
	v_cndmask_b32_e64 v163, v170, v160, s23
	v_cndmask_b32_e64 v166, v174, v164, s23
	v_cndmask_b32_e64 v144, v144, v168, s6
	v_cndmask_b32_e64 v145, v145, v172, s6
	v_cndmask_b32_e64 v147, v147, v168, s20
	v_cndmask_b32_e64 v148, v148, v146, s7
	v_cndmask_b32_e64 v149, v149, v150, s7
	v_cndmask_b32_e64 v155, v155, v146, s25
	v_cndmask_b32_e64 v159, v159, v150, s25
	v_cndmask_b32_e64 v141, v141, v161, s29
	v_cndmask_b32_e64 v143, v143, v165, s29
	v_lshrrev_b32_e32 v169, 16, v154
	v_cndmask_b32_e64 v160, v163, v146, s26
	v_cndmask_b32_e64 v163, v166, v150, s26
	;; [unrolled: 1-line block ×9, first 2 shown]
	v_perm_b32 v146, v143, v141, 0x5040100
	v_cndmask_b32_e64 v141, v183, v156, s15
	v_cndmask_b32_e64 v143, v181, v156, s12
	;; [unrolled: 1-line block ×4, first 2 shown]
	v_perm_b32 v144, v159, v149, 0x5040100
	v_cndmask_b32_e64 v149, v162, v167, s17
	v_cndmask_b32_e64 v151, v151, v167, s18
	;; [unrolled: 1-line block ×15, first 2 shown]
	v_lshrrev_b32_e32 v173, 16, v158
	v_cndmask_b32_e64 v149, v149, v154, s26
	v_cndmask_b32_e64 v151, v151, v154, s27
	v_cndmask_b32_e64 v152, v152, v158, s27
	v_cndmask_b32_e64 v141, v141, v158, s26
	v_cndmask_b32_e64 v143, v143, v158, s25
	v_cndmask_b32_e64 v160, v163, v165, s28
	v_cndmask_b32_e64 v163, v145, v169, s30
	v_cndmask_b32_e64 v149, v149, v169, s28
	v_cndmask_b32_e64 v151, v151, v169, s29
	v_cndmask_b32_e64 v152, v152, v173, s29
	v_cndmask_b32_e64 v141, v141, v173, s28
	v_cndmask_b32_e64 v153, v143, v173, s30
	v_cndmask_b32_e64 v154, v150, v173, s8
	v_perm_b32 v145, v160, v155, 0x5040100
	v_perm_b32 v143, v148, v147, 0x5040100
	;; [unrolled: 1-line block ×6, first 2 shown]
	s_mul_i32 s7, s33, 11
	s_mov_b32 s3, exec_lo
	ds_store_b128 v134, v[143:146]
	ds_store_b128 v134, v[147:150] offset:1024
	v_cmpx_gt_u32_e32 11, v0
	s_cbranch_execz .LBB240_14
; %bb.13:
	s_mul_i32 s4, s7, s34
	s_load_b128 s[8:11], s[0:1], 0x58
	v_add3_u32 v143, s4, s31, v140
	s_delay_alu instid0(VALU_DEP_1) | instskip(NEXT) | instid1(VALU_DEP_1)
	v_mad_u64_u32 v[140:141], null, v143, s35, s[14:15]
	v_ashrrev_i32_e32 v141, 31, v140
	s_delay_alu instid0(VALU_DEP_1) | instskip(SKIP_1) | instid1(VALU_DEP_1)
	v_lshlrev_b64 v[140:141], 2, v[140:141]
	s_waitcnt lgkmcnt(0)
	v_add_co_u32 v143, vcc_lo, s10, v140
	s_delay_alu instid0(VALU_DEP_2)
	v_add_co_ci_u32_e32 v144, vcc_lo, s11, v141, vcc_lo
	v_add_co_u32 v140, vcc_lo, s8, v140
	v_add_co_ci_u32_e32 v141, vcc_lo, s9, v141, vcc_lo
	global_store_b32 v[143:144], v136, off
	global_store_b32 v[140:141], v142, off
.LBB240_14:
	s_or_b32 exec_lo, exec_lo, s3
	s_waitcnt lgkmcnt(0)
	s_waitcnt_vscnt null, 0x0
	s_barrier
	buffer_gl0_inv
	ds_load_b128 v[148:151], v133
	ds_load_b128 v[152:155], v133 offset:16
	ds_load_b128 v[160:163], v133 offset:1040
	ds_load_b128 v[156:159], v133 offset:1024
	ds_load_b128 v[168:171], v133 offset:2064
	ds_load_b128 v[164:167], v133 offset:2048
	v_cmp_eq_u32_e32 vcc_lo, 1, v132
	v_mov_b32_e32 v140, 0
	ds_load_b128 v[176:179], v133 offset:3088
	ds_load_b128 v[172:175], v133 offset:3072
	ds_load_b128 v[184:187], v133 offset:4112
	ds_load_b128 v[180:183], v133 offset:4096
	v_cmp_eq_u32_e64 s3, 1, v129
	v_cmp_eq_u32_e64 s4, 1, v131
	;; [unrolled: 1-line block ×3, first 2 shown]
	v_mov_b32_e32 v141, v140
	v_mov_b32_e32 v142, v140
	;; [unrolled: 1-line block ×7, first 2 shown]
	v_cmp_eq_u32_e64 s6, 2, v129
	s_waitcnt lgkmcnt(8)
	s_delay_alu instid0(VALU_DEP_2)
	v_wmma_f32_16x16x16_f16 v[140:147], v[121:128], v[148:155], v[140:147]
	ds_load_b128 v[125:128], v133 offset:5136
	ds_load_b128 v[121:124], v133 offset:5120
	s_waitcnt lgkmcnt(8)
	v_wmma_f32_16x16x16_f16 v[140:147], v[113:120], v[156:163], v[140:147]
	ds_load_b128 v[117:120], v133 offset:6160
	ds_load_b128 v[113:116], v133 offset:6144
	s_waitcnt lgkmcnt(8)
	;; [unrolled: 4-line block ×11, first 2 shown]
	s_barrier
	buffer_gl0_inv
	v_wmma_f32_16x16x16_f16 v[140:147], v[1:8], v[73:80], v[140:147]
	s_delay_alu instid0(VALU_DEP_1) | instskip(NEXT) | instid1(VALU_DEP_1)
	v_wmma_f32_16x16x16_f16 v[140:147], v[9:16], v[65:72], v[140:147]
	v_wmma_f32_16x16x16_f16 v[140:147], v[33:40], v[57:64], v[140:147]
	s_delay_alu instid0(VALU_DEP_1) | instskip(NEXT) | instid1(VALU_DEP_1)
	v_wmma_f32_16x16x16_f16 v[140:147], v[41:48], v[49:56], v[140:147]
	v_wmma_f32_16x16x16_f16 v[140:147], v[17:24], v[25:32], v[140:147]
	s_delay_alu instid0(VALU_DEP_1) | instskip(NEXT) | instid1(VALU_DEP_2)
	v_cvt_f16_f32_e64 v1, v140
	v_cvt_f16_f32_e64 v2, v141
	s_delay_alu instid0(VALU_DEP_3) | instskip(NEXT) | instid1(VALU_DEP_4)
	v_cvt_f16_f32_e64 v3, v142
	v_cvt_f16_f32_e64 v4, v143
	;; [unrolled: 1-line block ×6, first 2 shown]
	v_pack_b32_f16 v1, v1, v2
	v_pack_b32_f16 v2, v3, v4
	;; [unrolled: 1-line block ×3, first 2 shown]
	s_delay_alu instid0(VALU_DEP_4)
	v_pack_b32_f16 v4, v7, v8
	ds_store_b128 v134, v[1:4]
	s_waitcnt lgkmcnt(0)
	s_barrier
	buffer_gl0_inv
	ds_load_b128 v[1:4], v135
	ds_load_b128 v[5:8], v135 offset:16
	s_waitcnt lgkmcnt(1)
	v_lshrrev_b32_e32 v9, 16, v1
	s_waitcnt lgkmcnt(0)
	v_lshrrev_b32_e32 v13, 16, v5
	v_lshrrev_b32_e32 v10, 16, v2
	;; [unrolled: 1-line block ×4, first 2 shown]
	v_cndmask_b32_e64 v17, v1, v9, s3
	v_cndmask_b32_e64 v18, v5, v13, s3
	;; [unrolled: 1-line block ×3, first 2 shown]
	v_cmp_eq_u32_e64 s3, 2, v130
	v_cndmask_b32_e64 v20, v5, v13, s5
	v_cndmask_b32_e32 v21, v1, v9, vcc_lo
	v_cndmask_b32_e32 v22, v5, v13, vcc_lo
	v_cndmask_b32_e64 v1, v1, v9, s4
	v_cndmask_b32_e64 v5, v5, v13, s4
	v_cmp_eq_u32_e32 vcc_lo, 2, v132
	v_cmp_eq_u32_e64 s4, 2, v131
	v_cndmask_b32_e64 v9, v17, v2, s6
	v_cndmask_b32_e64 v13, v18, v6, s6
	;; [unrolled: 1-line block ×4, first 2 shown]
	v_cndmask_b32_e32 v19, v21, v2, vcc_lo
	v_cmp_eq_u32_e64 s3, 3, v132
	v_cndmask_b32_e32 v20, v22, v6, vcc_lo
	v_cndmask_b32_e64 v1, v1, v2, s4
	v_cmp_eq_u32_e32 vcc_lo, 3, v131
	v_cmp_eq_u32_e64 s5, 3, v129
	v_cndmask_b32_e64 v2, v5, v6, s4
	v_cmp_eq_u32_e64 s4, 3, v130
	v_cmp_eq_u32_e64 s6, 4, v129
	v_cndmask_b32_e32 v1, v1, v10, vcc_lo
	v_cndmask_b32_e64 v5, v9, v10, s5
	v_cndmask_b32_e64 v6, v13, v14, s5
	;; [unrolled: 1-line block ×3, first 2 shown]
	v_cmp_eq_u32_e64 s5, 4, v130
	v_cndmask_b32_e64 v13, v18, v14, s4
	v_cndmask_b32_e64 v17, v19, v10, s3
	;; [unrolled: 1-line block ×3, first 2 shown]
	v_cndmask_b32_e32 v2, v2, v14, vcc_lo
	v_cmp_eq_u32_e32 vcc_lo, 4, v132
	v_cmp_eq_u32_e64 s4, 4, v131
	v_lshrrev_b32_e32 v15, 16, v7
	v_cndmask_b32_e64 v5, v5, v3, s6
	v_cndmask_b32_e64 v6, v6, v7, s6
	v_cndmask_b32_e32 v14, v18, v7, vcc_lo
	v_cndmask_b32_e64 v9, v9, v3, s5
	v_cndmask_b32_e64 v10, v13, v7, s5
	v_cndmask_b32_e32 v13, v17, v3, vcc_lo
	v_cmp_eq_u32_e64 s3, 5, v132
	v_cndmask_b32_e64 v1, v1, v3, s4
	v_cmp_eq_u32_e32 vcc_lo, 5, v131
	v_cmp_eq_u32_e64 s5, 5, v129
	v_cndmask_b32_e64 v2, v2, v7, s4
	v_cmp_eq_u32_e64 s4, 5, v130
	v_cmp_eq_u32_e64 s6, 6, v129
	v_lshrrev_b32_e32 v12, 16, v4
	v_cndmask_b32_e64 v3, v5, v11, s5
	v_cndmask_b32_e64 v5, v6, v15, s5
	;; [unrolled: 1-line block ×3, first 2 shown]
	v_cmp_eq_u32_e64 s5, 6, v130
	v_cndmask_b32_e64 v7, v10, v15, s4
	v_cndmask_b32_e64 v9, v13, v11, s3
	;; [unrolled: 1-line block ×3, first 2 shown]
	v_cndmask_b32_e32 v1, v1, v11, vcc_lo
	v_cndmask_b32_e32 v2, v2, v15, vcc_lo
	v_cmp_eq_u32_e32 vcc_lo, 6, v132
	v_cmp_eq_u32_e64 s3, 6, v131
	v_lshrrev_b32_e32 v16, 16, v8
	v_cndmask_b32_e64 v3, v3, v4, s6
	v_cndmask_b32_e64 v5, v5, v8, s6
	v_cndmask_b32_e32 v9, v9, v4, vcc_lo
	v_cndmask_b32_e64 v6, v6, v4, s5
	v_cndmask_b32_e64 v7, v7, v8, s5
	v_cmp_eq_u32_e64 s4, 7, v132
	v_cndmask_b32_e32 v10, v10, v8, vcc_lo
	v_cndmask_b32_e64 v1, v1, v4, s3
	v_cmp_eq_u32_e32 vcc_lo, 7, v131
	v_cndmask_b32_e64 v2, v2, v8, s3
	v_cmp_eq_u32_e64 s3, 7, v129
	v_cmp_eq_u32_e64 s5, 7, v130
	v_cndmask_b32_e32 v1, v1, v12, vcc_lo
	s_delay_alu instid0(VALU_DEP_4) | instskip(NEXT) | instid1(VALU_DEP_4)
	v_cndmask_b32_e32 v2, v2, v16, vcc_lo
	v_cndmask_b32_e64 v8, v3, v12, s3
	s_delay_alu instid0(VALU_DEP_4)
	v_cndmask_b32_e64 v6, v6, v12, s5
	v_cndmask_b32_e64 v3, v9, v12, s4
	;; [unrolled: 1-line block ×5, first 2 shown]
	v_perm_b32 v4, v2, v1, 0x5040100
	s_mov_b32 s3, exec_lo
	v_perm_b32 v3, v9, v3, 0x5040100
	v_perm_b32 v2, v7, v6, 0x5040100
	;; [unrolled: 1-line block ×3, first 2 shown]
	ds_store_b128 v134, v[1:4]
	s_waitcnt lgkmcnt(0)
	s_barrier
	buffer_gl0_inv
	v_cmpx_gt_u32_e32 32, v0
	s_cbranch_execz .LBB240_2
; %bb.15:
	s_load_b64 s[4:5], s[0:1], 0x68
	v_lshlrev_b32_e32 v0, 10, v0
	v_lshlrev_b32_e32 v1, 4, v139
	s_lshl_b32 s0, s35, 7
	v_add_nc_u32_e32 v7, s31, v138
	s_mul_i32 s1, s0, s34
	s_delay_alu instid0(SALU_CYCLE_1) | instskip(SKIP_1) | instid1(VALU_DEP_2)
	s_mul_i32 s6, s1, s7
	v_and_or_b32 v0, 0x3800, v0, v1
	v_mul_lo_u32 v1, v7, s0
	v_add_nc_u32_e32 v2, 2, v7
	s_ashr_i32 s7, s6, 31
	v_add_nc_u32_e32 v4, 4, v7
	s_lshl_b64 s[6:7], s[6:7], 1
	v_add_nc_u32_e32 v8, 6, v7
	v_mul_lo_u32 v3, v2, s0
	v_lshl_or_b32 v19, v138, 6, v0
	v_ashrrev_i32_e32 v2, 31, v1
	v_mul_lo_u32 v11, v4, s0
	v_mul_lo_u32 v25, v8, s0
	s_waitcnt lgkmcnt(0)
	s_add_u32 s1, s4, s6
	s_addc_u32 s3, s5, s7
	s_lshl_b32 s4, s14, 7
	v_lshlrev_b64 v[5:6], 1, v[1:2]
	s_ashr_i32 s5, s4, 31
	v_ashrrev_i32_e32 v4, 31, v3
	s_lshl_b64 s[4:5], s[4:5], 1
	v_ashrrev_i32_e32 v12, 31, v11
	s_add_u32 s1, s1, s4
	s_addc_u32 s3, s3, s5
	v_add_co_u32 v1, s1, s1, v137
	s_delay_alu instid0(VALU_DEP_1) | instskip(SKIP_1) | instid1(VALU_DEP_3)
	v_add_co_ci_u32_e64 v2, null, s3, 0, s1
	v_lshlrev_b64 v[3:4], 1, v[3:4]
	v_add_co_u32 v23, vcc_lo, v1, v5
	v_add_nc_u32_e32 v5, 8, v7
	s_delay_alu instid0(VALU_DEP_4) | instskip(NEXT) | instid1(VALU_DEP_4)
	v_add_co_ci_u32_e32 v24, vcc_lo, v2, v6, vcc_lo
	v_add_co_u32 v27, vcc_lo, v1, v3
	s_delay_alu instid0(VALU_DEP_3)
	v_mul_lo_u32 v29, v5, s0
	v_add_co_ci_u32_e32 v28, vcc_lo, v2, v4, vcc_lo
	ds_load_b128 v[3:6], v19
	ds_load_b128 v[7:10], v19 offset:128
	v_lshlrev_b64 v[31:32], 1, v[11:12]
	ds_load_b128 v[11:14], v19 offset:256
	ds_load_b128 v[15:18], v19 offset:384
	;; [unrolled: 1-line block ×3, first 2 shown]
	v_ashrrev_i32_e32 v26, 31, v25
	v_ashrrev_i32_e32 v30, 31, v29
	v_add_co_u32 v31, vcc_lo, v1, v31
	s_delay_alu instid0(VALU_DEP_3) | instskip(NEXT) | instid1(VALU_DEP_3)
	v_lshlrev_b64 v[25:26], 1, v[25:26]
	v_lshlrev_b64 v[29:30], 1, v[29:30]
	v_add_co_ci_u32_e32 v32, vcc_lo, v2, v32, vcc_lo
	s_delay_alu instid0(VALU_DEP_3) | instskip(NEXT) | instid1(VALU_DEP_4)
	v_add_co_u32 v25, vcc_lo, v1, v25
	v_add_co_ci_u32_e32 v26, vcc_lo, v2, v26, vcc_lo
	s_delay_alu instid0(VALU_DEP_4)
	v_add_co_u32 v29, vcc_lo, v1, v29
	v_add_co_ci_u32_e32 v30, vcc_lo, v2, v30, vcc_lo
	s_waitcnt lgkmcnt(4)
	global_store_b128 v[23:24], v[3:6], off
	s_waitcnt lgkmcnt(3)
	global_store_b128 v[27:28], v[7:10], off
	;; [unrolled: 2-line block ×5, first 2 shown]
	s_and_b32 exec_lo, exec_lo, s2
	s_cbranch_execz .LBB240_2
; %bb.16:
	ds_load_b128 v[3:6], v0 offset:640
	s_add_i32 s1, s31, 10
	s_delay_alu instid0(SALU_CYCLE_1) | instskip(NEXT) | instid1(SALU_CYCLE_1)
	s_mul_i32 s0, s1, s0
	s_ashr_i32 s1, s0, 31
	s_delay_alu instid0(SALU_CYCLE_1) | instskip(NEXT) | instid1(SALU_CYCLE_1)
	s_lshl_b64 s[0:1], s[0:1], 1
	v_add_co_u32 v0, vcc_lo, v1, s0
	v_add_co_ci_u32_e32 v1, vcc_lo, s1, v2, vcc_lo
	s_waitcnt lgkmcnt(0)
	global_store_b128 v[0:1], v[3:6], off
	s_nop 0
	s_sendmsg sendmsg(MSG_DEALLOC_VGPRS)
	s_endpgm
	.section	.rodata,"a",@progbits
	.p2align	6, 0x0
	.amdhsa_kernel _Z39paged_attention_ll4mi_QKV_mfma16_kernelIDF16_DF16_LN4vllm18Fp8KVCacheDataTypeE0EhLi16ELi128ELi256ELb0ELi11EL8MFMAType0EEvPKT_PKT0_S8_ifPKiSA_SA_iPKfiiiPfSD_PS3_PT2_iSC_SC_
		.amdhsa_group_segment_fixed_size 17472
		.amdhsa_private_segment_fixed_size 0
		.amdhsa_kernarg_size 400
		.amdhsa_user_sgpr_count 13
		.amdhsa_user_sgpr_dispatch_ptr 0
		.amdhsa_user_sgpr_queue_ptr 0
		.amdhsa_user_sgpr_kernarg_segment_ptr 1
		.amdhsa_user_sgpr_dispatch_id 0
		.amdhsa_user_sgpr_private_segment_size 0
		.amdhsa_wavefront_size32 1
		.amdhsa_uses_dynamic_stack 0
		.amdhsa_enable_private_segment 0
		.amdhsa_system_sgpr_workgroup_id_x 1
		.amdhsa_system_sgpr_workgroup_id_y 1
		.amdhsa_system_sgpr_workgroup_id_z 1
		.amdhsa_system_sgpr_workgroup_info 0
		.amdhsa_system_vgpr_workitem_id 0
		.amdhsa_next_free_vgpr 218
		.amdhsa_next_free_sgpr 52
		.amdhsa_reserve_vcc 1
		.amdhsa_float_round_mode_32 0
		.amdhsa_float_round_mode_16_64 0
		.amdhsa_float_denorm_mode_32 3
		.amdhsa_float_denorm_mode_16_64 3
		.amdhsa_dx10_clamp 1
		.amdhsa_ieee_mode 1
		.amdhsa_fp16_overflow 0
		.amdhsa_workgroup_processor_mode 1
		.amdhsa_memory_ordered 1
		.amdhsa_forward_progress 0
		.amdhsa_shared_vgpr_count 0
		.amdhsa_exception_fp_ieee_invalid_op 0
		.amdhsa_exception_fp_denorm_src 0
		.amdhsa_exception_fp_ieee_div_zero 0
		.amdhsa_exception_fp_ieee_overflow 0
		.amdhsa_exception_fp_ieee_underflow 0
		.amdhsa_exception_fp_ieee_inexact 0
		.amdhsa_exception_int_div_zero 0
	.end_amdhsa_kernel
	.section	.text._Z39paged_attention_ll4mi_QKV_mfma16_kernelIDF16_DF16_LN4vllm18Fp8KVCacheDataTypeE0EhLi16ELi128ELi256ELb0ELi11EL8MFMAType0EEvPKT_PKT0_S8_ifPKiSA_SA_iPKfiiiPfSD_PS3_PT2_iSC_SC_,"axG",@progbits,_Z39paged_attention_ll4mi_QKV_mfma16_kernelIDF16_DF16_LN4vllm18Fp8KVCacheDataTypeE0EhLi16ELi128ELi256ELb0ELi11EL8MFMAType0EEvPKT_PKT0_S8_ifPKiSA_SA_iPKfiiiPfSD_PS3_PT2_iSC_SC_,comdat
.Lfunc_end240:
	.size	_Z39paged_attention_ll4mi_QKV_mfma16_kernelIDF16_DF16_LN4vllm18Fp8KVCacheDataTypeE0EhLi16ELi128ELi256ELb0ELi11EL8MFMAType0EEvPKT_PKT0_S8_ifPKiSA_SA_iPKfiiiPfSD_PS3_PT2_iSC_SC_, .Lfunc_end240-_Z39paged_attention_ll4mi_QKV_mfma16_kernelIDF16_DF16_LN4vllm18Fp8KVCacheDataTypeE0EhLi16ELi128ELi256ELb0ELi11EL8MFMAType0EEvPKT_PKT0_S8_ifPKiSA_SA_iPKfiiiPfSD_PS3_PT2_iSC_SC_
                                        ; -- End function
	.section	.AMDGPU.csdata,"",@progbits
; Kernel info:
; codeLenInByte = 8216
; NumSgprs: 54
; NumVgprs: 218
; ScratchSize: 0
; MemoryBound: 0
; FloatMode: 240
; IeeeMode: 1
; LDSByteSize: 17472 bytes/workgroup (compile time only)
; SGPRBlocks: 6
; VGPRBlocks: 27
; NumSGPRsForWavesPerEU: 54
; NumVGPRsForWavesPerEU: 218
; Occupancy: 6
; WaveLimiterHint : 1
; COMPUTE_PGM_RSRC2:SCRATCH_EN: 0
; COMPUTE_PGM_RSRC2:USER_SGPR: 13
; COMPUTE_PGM_RSRC2:TRAP_HANDLER: 0
; COMPUTE_PGM_RSRC2:TGID_X_EN: 1
; COMPUTE_PGM_RSRC2:TGID_Y_EN: 1
; COMPUTE_PGM_RSRC2:TGID_Z_EN: 1
; COMPUTE_PGM_RSRC2:TIDIG_COMP_CNT: 0
	.section	.text._Z39paged_attention_ll4mi_QKV_mfma16_kernelIDF16_DF16_LN4vllm18Fp8KVCacheDataTypeE0EhLi16ELi128ELi256ELb0ELi12EL8MFMAType0EEvPKT_PKT0_S8_ifPKiSA_SA_iPKfiiiPfSD_PS3_PT2_iSC_SC_,"axG",@progbits,_Z39paged_attention_ll4mi_QKV_mfma16_kernelIDF16_DF16_LN4vllm18Fp8KVCacheDataTypeE0EhLi16ELi128ELi256ELb0ELi12EL8MFMAType0EEvPKT_PKT0_S8_ifPKiSA_SA_iPKfiiiPfSD_PS3_PT2_iSC_SC_,comdat
	.protected	_Z39paged_attention_ll4mi_QKV_mfma16_kernelIDF16_DF16_LN4vllm18Fp8KVCacheDataTypeE0EhLi16ELi128ELi256ELb0ELi12EL8MFMAType0EEvPKT_PKT0_S8_ifPKiSA_SA_iPKfiiiPfSD_PS3_PT2_iSC_SC_ ; -- Begin function _Z39paged_attention_ll4mi_QKV_mfma16_kernelIDF16_DF16_LN4vllm18Fp8KVCacheDataTypeE0EhLi16ELi128ELi256ELb0ELi12EL8MFMAType0EEvPKT_PKT0_S8_ifPKiSA_SA_iPKfiiiPfSD_PS3_PT2_iSC_SC_
	.globl	_Z39paged_attention_ll4mi_QKV_mfma16_kernelIDF16_DF16_LN4vllm18Fp8KVCacheDataTypeE0EhLi16ELi128ELi256ELb0ELi12EL8MFMAType0EEvPKT_PKT0_S8_ifPKiSA_SA_iPKfiiiPfSD_PS3_PT2_iSC_SC_
	.p2align	8
	.type	_Z39paged_attention_ll4mi_QKV_mfma16_kernelIDF16_DF16_LN4vllm18Fp8KVCacheDataTypeE0EhLi16ELi128ELi256ELb0ELi12EL8MFMAType0EEvPKT_PKT0_S8_ifPKiSA_SA_iPKfiiiPfSD_PS3_PT2_iSC_SC_,@function
_Z39paged_attention_ll4mi_QKV_mfma16_kernelIDF16_DF16_LN4vllm18Fp8KVCacheDataTypeE0EhLi16ELi128ELi256ELb0ELi12EL8MFMAType0EEvPKT_PKT0_S8_ifPKiSA_SA_iPKfiiiPfSD_PS3_PT2_iSC_SC_: ; @_Z39paged_attention_ll4mi_QKV_mfma16_kernelIDF16_DF16_LN4vllm18Fp8KVCacheDataTypeE0EhLi16ELi128ELi256ELb0ELi12EL8MFMAType0EEvPKT_PKT0_S8_ifPKiSA_SA_iPKfiiiPfSD_PS3_PT2_iSC_SC_
; %bb.0:
	s_load_b64 s[4:5], s[0:1], 0x30
	s_mov_b32 s30, s13
	s_waitcnt lgkmcnt(0)
	s_cmp_lg_u64 s[4:5], 0
	s_cselect_b32 s8, -1, 0
	s_ashr_i32 s31, s13, 31
	s_cmp_eq_u64 s[4:5], 0
	s_cbranch_scc1 .LBB241_3
; %bb.1:
	s_lshl_b64 s[2:3], s[30:31], 2
	s_delay_alu instid0(SALU_CYCLE_1) | instskip(SKIP_4) | instid1(SALU_CYCLE_1)
	s_add_u32 s2, s4, s2
	s_addc_u32 s3, s5, s3
	s_load_b64 s[2:3], s[2:3], 0x0
	s_waitcnt lgkmcnt(0)
	s_sub_i32 s2, s3, s2
	s_cmp_eq_u32 s2, 1
	s_cselect_b32 s2, -1, 0
	s_delay_alu instid0(SALU_CYCLE_1)
	s_and_not1_b32 vcc_lo, exec_lo, s2
	s_cbranch_vccz .LBB241_4
.LBB241_2:
	s_endpgm
.LBB241_3:
.LBB241_4:
	s_load_b64 s[2:3], s[0:1], 0x28
	s_lshl_b64 s[6:7], s[30:31], 2
	s_waitcnt lgkmcnt(0)
	s_add_u32 s2, s2, s6
	s_addc_u32 s3, s3, s7
	s_lshl_b32 s29, s14, 8
	s_load_b32 s28, s[2:3], 0x0
	s_waitcnt lgkmcnt(0)
	s_cmp_ge_i32 s29, s28
	s_cbranch_scc1 .LBB241_2
; %bb.5:
	s_clause 0x1
	s_load_b128 s[20:23], s[0:1], 0x8
	s_load_b64 s[2:3], s[0:1], 0x20
	s_and_not1_b32 vcc_lo, exec_lo, s8
	s_cbranch_vccnz .LBB241_7
; %bb.6:
	s_add_u32 s4, s4, s6
	s_addc_u32 s5, s5, s7
	s_load_b32 s5, s[4:5], 0x0
	s_branch .LBB241_8
.LBB241_7:
	s_mov_b32 s5, s30
.LBB241_8:
	s_load_b128 s[16:19], s[0:1], 0x48
	v_and_b32_e32 v140, 15, v0
	v_lshrrev_b32_e32 v141, 5, v0
	v_and_b32_e32 v142, 31, v0
	v_and_b32_e32 v139, 1, v0
	v_bfe_u32 v138, v0, 4, 1
	v_lshlrev_b32_e32 v1, 3, v140
	s_mul_i32 s31, s15, 12
	s_mov_b32 s4, exec_lo
	s_delay_alu instid0(VALU_DEP_1)
	v_lshlrev_b32_e32 v137, 1, v1
	v_cmpx_gt_u32_e32 0xc0, v0
	s_cbranch_execz .LBB241_10
; %bb.9:
	s_load_b64 s[6:7], s[0:1], 0x0
	v_lshl_or_b32 v5, v141, 1, v138
	s_waitcnt lgkmcnt(0)
	s_mul_hi_i32 s9, s5, s16
	s_mul_i32 s8, s5, s16
	v_lshlrev_b32_e32 v6, 10, v140
	s_lshl_b64 s[8:9], s[8:9], 1
	v_add_lshl_u32 v1, v5, s31, 7
	v_lshlrev_b32_e32 v5, 6, v5
	v_lshlrev_b32_e32 v7, 10, v139
	v_and_b32_e32 v6, 0x3800, v6
	s_delay_alu instid0(VALU_DEP_4) | instskip(NEXT) | instid1(VALU_DEP_2)
	v_ashrrev_i32_e32 v2, 31, v1
	v_or3_b32 v5, v6, v7, v5
	s_delay_alu instid0(VALU_DEP_2) | instskip(SKIP_2) | instid1(VALU_DEP_1)
	v_lshlrev_b64 v[1:2], 1, v[1:2]
	s_add_u32 s5, s6, s8
	s_addc_u32 s6, s7, s9
	v_add_co_u32 v1, vcc_lo, s5, v1
	s_delay_alu instid0(VALU_DEP_2) | instskip(NEXT) | instid1(VALU_DEP_2)
	v_add_co_ci_u32_e32 v2, vcc_lo, s6, v2, vcc_lo
	v_add_co_u32 v1, vcc_lo, v1, v137
	s_delay_alu instid0(VALU_DEP_2)
	v_add_co_ci_u32_e32 v2, vcc_lo, 0, v2, vcc_lo
	global_load_b128 v[1:4], v[1:2], off
	s_waitcnt vmcnt(0)
	ds_store_b128 v5, v[1:4]
.LBB241_10:
	s_or_b32 exec_lo, exec_lo, s4
	v_and_b32_e32 v1, 0xef, v0
	s_waitcnt lgkmcnt(0)
	s_add_i32 s5, s28, 15
	s_clause 0x1
	s_load_b32 s4, s[0:1], 0x38
	s_load_b32 s33, s[0:1], 0x98
	s_ashr_i32 s6, s5, 31
	v_add_nc_u32_e32 v1, s29, v1
	s_lshr_b32 s6, s6, 28
	s_load_b32 s34, s[0:1], 0x1c
	s_add_i32 s5, s5, s6
	s_waitcnt lgkmcnt(0)
	v_ashrrev_i32_e32 v2, 31, v1
	v_cmp_gt_i32_e32 vcc_lo, s28, v1
	s_ashr_i32 s16, s5, 4
	s_barrier
	s_add_i32 s16, s16, -1
	v_lshrrev_b32_e32 v3, 28, v2
	v_or_b32_e32 v2, 16, v1
	buffer_gl0_inv
	v_add_nc_u32_e32 v105, -12, v140
	v_lshlrev_b32_e32 v106, 5, v140
	v_add_nc_u32_e32 v4, v1, v3
	v_add_nc_u32_e32 v3, v2, v3
	s_mul_i32 s4, s30, s4
	s_delay_alu instid0(SALU_CYCLE_1) | instskip(NEXT) | instid1(VALU_DEP_2)
	s_ashr_i32 s5, s4, 31
	v_ashrrev_i32_e32 v4, 4, v4
	s_delay_alu instid0(VALU_DEP_2)
	v_ashrrev_i32_e32 v3, 4, v3
	s_lshl_b64 s[4:5], s[4:5], 2
	v_lshl_or_b32 v125, v141, 9, v106
	s_add_u32 s35, s2, s4
	v_cndmask_b32_e32 v1, s16, v4, vcc_lo
	v_cmp_gt_i32_e32 vcc_lo, s28, v2
	s_addc_u32 s36, s3, s5
	s_mul_i32 s2, s15, s18
	s_delay_alu instid0(VALU_DEP_2) | instskip(SKIP_2) | instid1(SALU_CYCLE_1)
	v_ashrrev_i32_e32 v2, 31, v1
	v_cndmask_b32_e32 v3, s16, v3, vcc_lo
	s_ashr_i32 s3, s2, 31
	s_lshl_b64 s[2:3], s[2:3], 1
	s_delay_alu instid0(VALU_DEP_2) | instskip(NEXT) | instid1(VALU_DEP_2)
	v_lshlrev_b64 v[1:2], 2, v[1:2]
	v_ashrrev_i32_e32 v4, 31, v3
	s_add_u32 s24, s20, s2
	s_addc_u32 s25, s21, s3
	s_lshl_b32 s4, s14, 4
	s_delay_alu instid0(VALU_DEP_1) | instskip(SKIP_3) | instid1(VALU_DEP_3)
	v_lshlrev_b64 v[3:4], 2, v[3:4]
	v_add_co_u32 v1, vcc_lo, s35, v1
	v_add_co_ci_u32_e32 v2, vcc_lo, s36, v2, vcc_lo
	s_ashr_i32 s5, s4, 31
	v_add_co_u32 v3, vcc_lo, s35, v3
	s_delay_alu instid0(VALU_DEP_4)
	v_add_co_ci_u32_e32 v4, vcc_lo, s36, v4, vcc_lo
	s_lshl_b64 s[4:5], s[4:5], 2
	s_clause 0x1
	global_load_b32 v5, v[1:2], off
	global_load_b32 v6, v[3:4], off
	s_add_u32 s4, s35, s4
	s_addc_u32 s5, s36, s5
	s_or_b32 s6, s29, 16
	v_lshlrev_b32_e32 v3, 4, v0
	s_ashr_i32 s7, s6, 4
	s_cmp_lt_i32 s6, s28
	s_cselect_b32 s6, s7, s16
	s_delay_alu instid0(SALU_CYCLE_1) | instskip(NEXT) | instid1(SALU_CYCLE_1)
	s_ashr_i32 s7, s6, 31
	s_lshl_b64 s[6:7], s[6:7], 2
	s_delay_alu instid0(SALU_CYCLE_1) | instskip(SKIP_2) | instid1(SALU_CYCLE_1)
	s_add_u32 s6, s35, s6
	s_addc_u32 s7, s36, s7
	s_or_b32 s8, s29, 32
	s_ashr_i32 s9, s8, 4
	s_cmp_lt_i32 s8, s28
	s_cselect_b32 s8, s9, s16
	s_delay_alu instid0(SALU_CYCLE_1) | instskip(NEXT) | instid1(SALU_CYCLE_1)
	s_ashr_i32 s9, s8, 31
	s_lshl_b64 s[8:9], s[8:9], 2
	s_delay_alu instid0(SALU_CYCLE_1) | instskip(SKIP_2) | instid1(SALU_CYCLE_1)
	s_add_u32 s8, s35, s8
	s_addc_u32 s9, s36, s9
	s_or_b32 s10, s29, 48
	;; [unrolled: 10-line block ×4, first 2 shown]
	s_ashr_i32 s13, s12, 4
	s_cmp_lt_i32 s12, s28
	s_cselect_b32 s12, s13, s16
	s_delay_alu instid0(SALU_CYCLE_1) | instskip(NEXT) | instid1(SALU_CYCLE_1)
	s_ashr_i32 s13, s12, 31
	s_lshl_b64 s[12:13], s[12:13], 2
	s_delay_alu instid0(SALU_CYCLE_1)
	s_add_u32 s20, s35, s12
	s_addc_u32 s21, s36, s13
	s_clause 0x5
	s_load_b32 s37, s[4:5], 0x0
	s_load_b32 s27, s[6:7], 0x0
	;; [unrolled: 1-line block ×6, first 2 shown]
	s_waitcnt vmcnt(1)
	v_mad_i64_i32 v[1:2], null, v5, s17, 0
	v_and_b32_e32 v5, 0xf0, v3
	s_waitcnt vmcnt(0)
	v_mad_i64_i32 v[3:4], null, v6, s17, 0
	s_delay_alu instid0(VALU_DEP_2) | instskip(NEXT) | instid1(VALU_DEP_4)
	v_add_co_u32 v5, s4, s24, v5
	v_lshlrev_b64 v[1:2], 1, v[1:2]
	v_add_co_ci_u32_e64 v6, null, s25, 0, s4
	s_delay_alu instid0(VALU_DEP_4) | instskip(SKIP_1) | instid1(VALU_DEP_3)
	v_lshlrev_b64 v[3:4], 1, v[3:4]
	s_or_b32 s4, s29, 0x60
	v_add_co_u32 v121, vcc_lo, v5, v1
	s_delay_alu instid0(VALU_DEP_3) | instskip(NEXT) | instid1(VALU_DEP_3)
	v_add_co_ci_u32_e32 v122, vcc_lo, v6, v2, vcc_lo
	v_add_co_u32 v123, vcc_lo, v5, v3
	s_delay_alu instid0(VALU_DEP_4)
	v_add_co_ci_u32_e32 v124, vcc_lo, v6, v4, vcc_lo
	s_clause 0x19
	global_load_b128 v[89:92], v[121:122], off
	global_load_b128 v[93:96], v[121:122], off offset:256
	global_load_b128 v[97:100], v[123:124], off
	global_load_b128 v[101:104], v[123:124], off offset:256
	global_load_b128 v[81:84], v[121:122], off offset:512
	;; [unrolled: 1-line block ×23, first 2 shown]
	s_ashr_i32 s5, s4, 4
	s_cmp_lt_i32 s4, s28
	v_cmp_gt_u32_e32 vcc_lo, 12, v140
	s_cselect_b32 s4, s5, s16
	s_delay_alu instid0(SALU_CYCLE_1) | instskip(NEXT) | instid1(SALU_CYCLE_1)
	s_ashr_i32 s5, s4, 31
	s_lshl_b64 s[4:5], s[4:5], 2
	v_cndmask_b32_e32 v105, v105, v140, vcc_lo
	s_add_u32 s18, s35, s4
	s_addc_u32 s19, s36, s5
	s_or_b32 s4, s29, 0x70
	s_delay_alu instid0(SALU_CYCLE_1)
	s_ashr_i32 s5, s4, 4
	s_cmp_lt_i32 s4, s28
	v_lshlrev_b32_e32 v215, 6, v105
	s_cselect_b32 s6, s5, s16
	ds_load_b128 v[105:108], v215
	ds_load_b128 v[109:112], v215 offset:1024
	s_ashr_i32 s7, s6, 31
	ds_load_b128 v[113:116], v215 offset:2048
	ds_load_b128 v[117:120], v215 offset:3072
	;; [unrolled: 1-line block ×8, first 2 shown]
	s_clause 0x1
	global_load_b128 v[167:170], v[123:124], off offset:3072
	global_load_b128 v[171:174], v[123:124], off offset:3328
	s_lshl_b64 s[6:7], s[6:7], 2
	s_mov_b32 s4, 0
	s_add_u32 s20, s35, s6
	s_addc_u32 s21, s36, s7
	s_clause 0x1
	s_load_b32 s41, s[18:19], 0x0
	s_load_b32 s46, s[20:21], 0x0
	s_clause 0x3
	global_load_b128 v[175:178], v[121:122], off offset:3584
	global_load_b128 v[179:182], v[121:122], off offset:3840
	;; [unrolled: 1-line block ×4, first 2 shown]
	s_or_b32 s7, s29, 0x80
	s_mov_b32 s5, s4
	s_ashr_i32 s8, s7, 4
	s_cmp_lt_i32 s7, s28
	s_mov_b32 s6, s4
	s_cselect_b32 s10, s8, s16
	s_mov_b32 s7, s4
	s_ashr_i32 s11, s10, 31
	s_mov_b32 s8, s4
	s_lshl_b64 s[24:25], s[10:11], 2
	s_mov_b32 s9, s4
	s_add_u32 s24, s35, s24
	s_addc_u32 s25, s36, s25
	s_or_b32 s11, s29, 0x90
	s_mov_b32 s10, s4
	s_ashr_i32 s38, s11, 4
	s_cmp_lt_i32 s11, s28
	s_mov_b32 s11, s4
	s_cselect_b32 s38, s38, s16
	v_mov_b32_e32 v136, s11
	s_ashr_i32 s39, s38, 31
	v_dual_mov_b32 v135, s10 :: v_dual_mov_b32 v134, s9
	v_dual_mov_b32 v133, s8 :: v_dual_mov_b32 v132, s7
	;; [unrolled: 1-line block ×3, first 2 shown]
	v_mov_b32_e32 v129, s4
	s_lshl_b64 s[4:5], s[38:39], 2
	s_waitcnt lgkmcnt(0)
	s_mul_hi_i32 s7, s27, s17
	s_add_u32 s38, s35, s4
	s_addc_u32 s39, s36, s5
	s_or_b32 s4, s29, 0xa0
	s_load_b32 s40, s[38:39], 0x0
	s_ashr_i32 s5, s4, 4
	s_cmp_lt_i32 s4, s28
	s_cselect_b32 s4, s5, s16
	s_delay_alu instid0(SALU_CYCLE_1) | instskip(NEXT) | instid1(SALU_CYCLE_1)
	s_ashr_i32 s5, s4, 31
	s_lshl_b64 s[4:5], s[4:5], 2
	s_delay_alu instid0(SALU_CYCLE_1)
	s_add_u32 s42, s35, s4
	s_addc_u32 s43, s36, s5
	s_or_b32 s4, s29, 0xb0
	s_load_b32 s39, s[42:43], 0x0
	s_ashr_i32 s6, s4, 4
	s_cmp_lt_i32 s4, s28
	s_mul_hi_i32 s5, s37, s17
	s_cselect_b32 s8, s6, s16
	s_mul_i32 s6, s27, s17
	s_ashr_i32 s9, s8, 31
	s_mul_i32 s4, s37, s17
	s_lshl_b64 s[10:11], s[8:9], 2
	s_mul_hi_i32 s9, s26, s17
	s_add_u32 s44, s35, s10
	s_addc_u32 s45, s36, s11
	s_or_b32 s10, s29, 0xc0
	s_mul_i32 s8, s26, s17
	s_ashr_i32 s26, s10, 4
	s_cmp_lt_i32 s10, s28
	s_mul_hi_i32 s11, s13, s17
	s_cselect_b32 s26, s26, s16
	s_mul_i32 s10, s13, s17
	s_ashr_i32 s27, s26, 31
	s_mul_hi_i32 s13, s12, s17
	s_lshl_b64 s[26:27], s[26:27], 2
	s_mul_i32 s12, s12, s17
	s_add_u32 s20, s35, s26
	s_addc_u32 s21, s36, s27
	s_or_b32 s18, s29, 0xd0
	s_load_b32 s26, s[24:25], 0x0
	s_ashr_i32 s19, s18, 4
	s_cmp_lt_i32 s18, s28
	s_mul_i32 s18, s15, s17
	s_cselect_b32 s24, s19, s16
	s_mul_hi_i32 s19, s15, s17
	s_ashr_i32 s25, s24, 31
	s_delay_alu instid0(SALU_CYCLE_1) | instskip(NEXT) | instid1(SALU_CYCLE_1)
	s_lshl_b64 s[24:25], s[24:25], 2
	s_add_u32 s24, s35, s24
	s_addc_u32 s25, s36, s25
	s_or_b32 s42, s29, 0xe0
	s_clause 0x2
	s_load_b32 s38, s[44:45], 0x0
	s_load_b32 s37, s[20:21], 0x0
	;; [unrolled: 1-line block ×3, first 2 shown]
	s_ashr_i32 s43, s42, 4
	s_cmp_lt_i32 s42, s28
	s_mul_hi_i32 s25, s46, s17
	s_cselect_b32 s42, s43, s16
	s_mul_i32 s24, s46, s17
	s_ashr_i32 s43, s42, 31
	s_mul_hi_i32 s21, s41, s17
	s_lshl_b64 s[42:43], s[42:43], 2
	s_mul_i32 s20, s41, s17
	s_add_u32 s42, s35, s42
	s_addc_u32 s43, s36, s43
	s_or_b32 s46, s29, 0xf0
	s_waitcnt lgkmcnt(0)
	s_mul_hi_i32 s27, s26, s17
	s_ashr_i32 s47, s46, 4
	s_cmp_lt_i32 s46, s28
	s_mul_i32 s26, s26, s17
	s_cselect_b32 s46, s47, s16
	s_mul_hi_i32 s41, s40, s17
	s_ashr_i32 s47, s46, 31
	s_mul_hi_i32 s51, s15, s17
	s_lshl_b64 s[46:47], s[46:47], 2
	s_mul_i32 s50, s15, s17
	s_add_u32 s46, s35, s46
	s_addc_u32 s47, s36, s47
	s_add_u32 s15, s22, s2
	s_addc_u32 s16, s23, s3
	v_add_co_u32 v216, s15, s15, v125
	s_delay_alu instid0(VALU_DEP_1) | instskip(SKIP_2) | instid1(VALU_DEP_2)
	v_add_co_ci_u32_e64 v217, null, s16, 0, s15
	s_lshl_b64 s[2:3], s[4:5], 1
	s_lshl_b64 s[4:5], s[6:7], 1
	v_add_co_u32 v125, vcc_lo, v216, s2
	s_delay_alu instid0(VALU_DEP_2)
	v_add_co_ci_u32_e32 v126, vcc_lo, s3, v217, vcc_lo
	v_add_co_u32 v199, vcc_lo, v216, s4
	s_lshl_b64 s[6:7], s[8:9], 1
	v_add_co_ci_u32_e32 v200, vcc_lo, s5, v217, vcc_lo
	s_lshl_b64 s[8:9], s[10:11], 1
	s_lshl_b64 s[10:11], s[12:13], 1
	;; [unrolled: 1-line block ×6, first 2 shown]
	s_mul_i32 s40, s40, s17
	s_mul_hi_i32 s45, s39, s17
	s_lshl_b64 s[24:25], s[40:41], 1
	s_mul_i32 s44, s39, s17
	s_mul_hi_i32 s39, s38, s17
	s_lshl_b64 s[26:27], s[44:45], 1
	s_mul_i32 s38, s38, s17
	s_mul_hi_i32 s49, s37, s17
	s_mul_i32 s48, s37, s17
	s_lshl_b64 s[36:37], s[38:39], 1
	s_lshl_b64 s[38:39], s[48:49], 1
	s_clause 0x1
	s_load_b32 s15, s[42:43], 0x0
	s_load_b32 s16, s[46:47], 0x0
	s_lshl_b64 s[40:41], s[50:51], 1
	s_waitcnt lgkmcnt(0)
	s_mul_hi_i32 s3, s15, s17
	s_mul_i32 s2, s15, s17
	s_mul_hi_i32 s5, s16, s17
	s_lshl_b64 s[2:3], s[2:3], 1
	s_mul_i32 s4, s16, s17
	s_waitcnt vmcnt(30)
	v_wmma_f32_16x16x16_f16 v[191:198], v[89:96], v[105:112], v[129:136]
	v_add_co_u32 v89, vcc_lo, v216, s6
	v_add_co_ci_u32_e32 v90, vcc_lo, s7, v217, vcc_lo
	v_add_co_u32 v91, vcc_lo, v216, s8
	v_add_co_ci_u32_e32 v92, vcc_lo, s9, v217, vcc_lo
	;; [unrolled: 2-line block ×5, first 2 shown]
	v_add_co_u32 v205, vcc_lo, v216, s20
	s_waitcnt vmcnt(28)
	v_wmma_f32_16x16x16_f16 v[129:136], v[97:104], v[105:112], v[129:136]
	v_add_co_ci_u32_e32 v206, vcc_lo, s21, v217, vcc_lo
	v_add_co_u32 v207, vcc_lo, v216, s22
	v_add_co_ci_u32_e32 v208, vcc_lo, s23, v217, vcc_lo
	v_add_co_u32 v209, vcc_lo, v216, s24
	s_waitcnt vmcnt(26)
	v_wmma_f32_16x16x16_f16 v[191:198], v[81:88], v[113:120], v[191:198]
	s_waitcnt vmcnt(24)
	v_wmma_f32_16x16x16_f16 v[129:136], v[73:80], v[113:120], v[129:136]
	v_add_co_ci_u32_e32 v210, vcc_lo, s25, v217, vcc_lo
	v_add_co_u32 v211, vcc_lo, v216, s26
	v_add_co_ci_u32_e32 v212, vcc_lo, s27, v217, vcc_lo
	v_add_co_u32 v213, vcc_lo, v216, s36
	s_waitcnt vmcnt(22)
	v_wmma_f32_16x16x16_f16 v[191:198], v[65:72], v[143:150], v[191:198]
	s_waitcnt vmcnt(20)
	v_wmma_f32_16x16x16_f16 v[129:136], v[57:64], v[143:150], v[129:136]
	v_add_co_ci_u32_e32 v214, vcc_lo, s37, v217, vcc_lo
	v_add_co_u32 v143, vcc_lo, v216, s38
	s_waitcnt vmcnt(18)
	v_wmma_f32_16x16x16_f16 v[191:198], v[49:56], v[151:158], v[191:198]
	s_waitcnt vmcnt(16)
	v_wmma_f32_16x16x16_f16 v[129:136], v[25:32], v[151:158], v[129:136]
	v_add_co_ci_u32_e32 v144, vcc_lo, s39, v217, vcc_lo
	s_clause 0x15
	global_load_b128 v[121:124], v[125:126], off
	global_load_b128 v[125:128], v[125:126], off offset:16
	global_load_b128 v[113:116], v[199:200], off
	global_load_b128 v[117:120], v[199:200], off offset:16
	;; [unrolled: 2-line block ×11, first 2 shown]
	s_waitcnt vmcnt(36)
	v_wmma_f32_16x16x16_f16 v[191:198], v[1:8], v[159:166], v[191:198]
	s_clause 0x1
	global_load_b128 v[1:4], v[213:214], off
	global_load_b128 v[5:8], v[213:214], off offset:16
	s_waitcnt vmcnt(36)
	v_wmma_f32_16x16x16_f16 v[129:136], v[9:16], v[159:166], v[129:136]
	s_clause 0x1
	global_load_b128 v[9:12], v[143:144], off
	global_load_b128 v[13:16], v[143:144], off offset:16
	ds_load_b128 v[143:146], v215 offset:10240
	ds_load_b128 v[147:150], v215 offset:11264
	;; [unrolled: 1-line block ×4, first 2 shown]
	v_add_co_u32 v199, vcc_lo, v216, s40
	v_add_co_ci_u32_e32 v200, vcc_lo, s41, v217, vcc_lo
	v_add_co_u32 v159, vcc_lo, v216, s2
	v_add_co_ci_u32_e32 v160, vcc_lo, s3, v217, vcc_lo
	s_lshl_b64 s[2:3], s[4:5], 1
	s_delay_alu instid0(SALU_CYCLE_1)
	v_add_co_u32 v161, vcc_lo, v216, s2
	v_add_co_ci_u32_e32 v162, vcc_lo, s3, v217, vcc_lo
	s_waitcnt vmcnt(36) lgkmcnt(2)
	v_wmma_f32_16x16x16_f16 v[191:198], v[33:40], v[143:150], v[191:198]
	s_waitcnt vmcnt(34)
	v_wmma_f32_16x16x16_f16 v[129:136], v[41:48], v[143:150], v[129:136]
	s_clause 0x3
	global_load_b128 v[33:36], v[199:200], off
	global_load_b128 v[37:40], v[199:200], off offset:16
	global_load_b128 v[41:44], v[159:160], off
	global_load_b128 v[45:48], v[159:160], off offset:16
	v_and_b32_e32 v143, 0xe0, v0
	v_mbcnt_lo_u32_b32 v159, -1, 0
	s_waitcnt vmcnt(36) lgkmcnt(0)
	v_wmma_f32_16x16x16_f16 v[191:198], v[17:24], v[151:158], v[191:198]
	s_clause 0x1
	global_load_b128 v[17:20], v[161:162], off
	global_load_b128 v[21:24], v[161:162], off offset:16
	s_waitcnt vmcnt(36)
	v_wmma_f32_16x16x16_f16 v[129:136], v[167:174], v[151:158], v[129:136]
	v_add_nc_u32_e32 v160, s29, v143
	ds_load_b128 v[143:146], v215 offset:14336
	ds_load_b128 v[147:150], v215 offset:15360
	v_xor_b32_e32 v151, 16, v159
	s_waitcnt vmcnt(0) lgkmcnt(0)
	s_barrier
	v_or_b32_e32 v152, v160, v138
	buffer_gl0_inv
	v_cmp_gt_i32_e32 vcc_lo, 32, v151
	v_or_b32_e32 v153, 2, v152
	v_or_b32_e32 v154, 4, v152
	;; [unrolled: 1-line block ×5, first 2 shown]
	v_cmp_gt_i32_e64 s2, s28, v153
	v_cmp_gt_i32_e64 s3, s28, v154
	;; [unrolled: 1-line block ×3, first 2 shown]
	v_or_b32_e32 v158, 12, v152
	v_cmp_gt_i32_e64 s5, s28, v156
	v_cmp_gt_i32_e64 s6, s28, v157
	v_wmma_f32_16x16x16_f16 v[191:198], v[175:182], v[143:150], v[191:198]
	v_wmma_f32_16x16x16_f16 v[129:136], v[183:190], v[143:150], v[129:136]
	v_cndmask_b32_e32 v151, v159, v151, vcc_lo
	v_cmp_gt_i32_e32 vcc_lo, s28, v152
	v_or_b32_e32 v159, 14, v152
	v_dual_mul_f32 v149, s34, v192 :: v_dual_mul_f32 v150, s34, v191
	v_dual_mul_f32 v147, s34, v194 :: v_dual_mul_f32 v148, s34, v193
	v_mul_f32_e32 v145, s34, v196
	s_delay_alu instid0(VALU_DEP_3) | instskip(NEXT) | instid1(VALU_DEP_4)
	v_cndmask_b32_e64 v149, 0xff7fffff, v149, s2
	v_cndmask_b32_e32 v150, 0xff7fffff, v150, vcc_lo
	v_mul_f32_e32 v146, s34, v195
	v_cndmask_b32_e64 v148, 0xff7fffff, v148, s3
	v_cndmask_b32_e64 v147, 0xff7fffff, v147, s4
	v_or_b32_e32 v160, 16, v152
	v_max3_f32 v149, v150, 0xff7fffff, v149
	v_or_b32_e32 v161, 18, v152
	v_dual_mul_f32 v143, s34, v198 :: v_dual_mul_f32 v144, s34, v197
	v_cndmask_b32_e64 v146, 0xff7fffff, v146, s5
	v_cndmask_b32_e64 v145, 0xff7fffff, v145, s6
	v_max3_f32 v147, v149, v148, v147
	v_cmp_gt_i32_e64 s7, s28, v158
	v_cmp_gt_i32_e64 s8, s28, v159
	v_or_b32_e32 v162, 20, v152
	v_or_b32_e32 v163, 22, v152
	v_dual_mul_f32 v174, s34, v130 :: v_dual_mul_f32 v175, s34, v129
	v_cndmask_b32_e64 v144, 0xff7fffff, v144, s7
	v_cndmask_b32_e64 v143, 0xff7fffff, v143, s8
	v_max3_f32 v145, v147, v146, v145
	v_cmp_gt_i32_e64 s9, s28, v160
	v_cmp_gt_i32_e64 s10, s28, v161
	v_or_b32_e32 v164, 24, v152
	;; [unrolled: 8-line block ×3, first 2 shown]
	v_or_b32_e32 v167, 30, v152
	v_dual_mul_f32 v170, s34, v134 :: v_dual_mul_f32 v171, s34, v133
	v_cndmask_b32_e64 v144, 0xff7fffff, v173, s11
	v_cndmask_b32_e64 v145, 0xff7fffff, v172, s12
	v_max3_f32 v143, v143, v146, v147
	v_cmp_gt_i32_e64 s13, s28, v164
	v_cmp_gt_i32_e64 s15, s28, v165
	v_dual_mul_f32 v168, s34, v136 :: v_dual_mul_f32 v169, s34, v135
	s_delay_alu instid0(VALU_DEP_4) | instskip(NEXT) | instid1(VALU_DEP_4)
	v_max3_f32 v143, v143, v144, v145
	v_cndmask_b32_e64 v146, 0xff7fffff, v171, s13
	s_delay_alu instid0(VALU_DEP_4) | instskip(SKIP_3) | instid1(VALU_DEP_4)
	v_cndmask_b32_e64 v147, 0xff7fffff, v170, s15
	v_cmp_gt_i32_e64 s16, s28, v166
	v_cmp_gt_i32_e64 s17, s28, v167
	v_lshlrev_b32_e32 v160, 2, v151
	v_max3_f32 v143, v143, v146, v147
	s_delay_alu instid0(VALU_DEP_4) | instskip(NEXT) | instid1(VALU_DEP_4)
	v_cndmask_b32_e64 v144, 0xff7fffff, v169, s16
	v_cndmask_b32_e64 v145, 0xff7fffff, v168, s17
	s_delay_alu instid0(VALU_DEP_1) | instskip(SKIP_3) | instid1(VALU_DEP_1)
	v_max3_f32 v143, v143, v144, v145
	ds_bpermute_b32 v144, v160, v143
	s_waitcnt lgkmcnt(0)
	v_max_f32_e32 v144, v144, v144
	v_max_f32_e32 v159, v143, v144
	s_delay_alu instid0(VALU_DEP_1) | instskip(SKIP_4) | instid1(VALU_DEP_4)
	v_fma_f32 v143, s34, v191, -v159
	v_fma_f32 v144, s34, v192, -v159
	;; [unrolled: 1-line block ×5, first 2 shown]
	v_dual_mul_f32 v143, 0x3fb8aa3b, v143 :: v_dual_mul_f32 v144, 0x3fb8aa3b, v144
	s_delay_alu instid0(VALU_DEP_4) | instskip(SKIP_2) | instid1(VALU_DEP_4)
	v_mul_f32_e32 v132, 0x3fb8aa3b, v132
	v_fma_f32 v134, s34, v134, -v159
	v_mul_f32_e32 v145, 0x3fb8aa3b, v145
	v_exp_f32_e32 v143, v143
	v_exp_f32_e32 v147, v144
	v_fma_f32 v148, s34, v195, -v159
	v_mul_f32_e32 v134, 0x3fb8aa3b, v134
	v_mul_f32_e32 v146, 0x3fb8aa3b, v146
	v_exp_f32_e32 v145, v145
	v_fma_f32 v149, s34, v196, -v159
	v_mul_f32_e32 v148, 0x3fb8aa3b, v148
	v_fma_f32 v151, s34, v197, -v159
	v_exp_f32_e32 v150, v146
	v_cndmask_b32_e32 v144, 0, v143, vcc_lo
	v_cndmask_b32_e64 v143, 0, v147, s2
	v_mul_f32_e32 v149, 0x3fb8aa3b, v149
	v_exp_f32_e32 v148, v148
	v_fma_f32 v152, s34, v198, -v159
	v_add_f32_e32 v147, 0, v144
	v_cndmask_b32_e64 v146, 0, v145, s3
	v_mul_f32_e32 v151, 0x3fb8aa3b, v151
	v_exp_f32_e32 v149, v149
	v_cndmask_b32_e64 v145, 0, v150, s4
	v_add_f32_e32 v147, v147, v143
	v_fma_f32 v129, s34, v129, -v159
	v_mul_f32_e32 v150, 0x3fb8aa3b, v152
	v_exp_f32_e32 v151, v151
	v_cndmask_b32_e64 v148, 0, v148, s5
	v_add_f32_e32 v147, v147, v146
	v_fma_f32 v130, s34, v130, -v159
	v_mul_f32_e32 v129, 0x3fb8aa3b, v129
	v_exp_f32_e32 v153, v150
	v_fma_f32 v131, s34, v131, -v159
	v_add_f32_e32 v152, v147, v145
	v_cndmask_b32_e64 v147, 0, v149, s6
	v_mul_f32_e32 v130, 0x3fb8aa3b, v130
	v_exp_f32_e32 v129, v129
	v_cndmask_b32_e64 v150, 0, v151, s7
	v_add_f32_e32 v149, v152, v148
	v_mul_f32_e32 v131, 0x3fb8aa3b, v131
	v_exp_f32_e32 v130, v130
	v_fma_f32 v133, s34, v133, -v159
	v_exp_f32_e32 v132, v132
	v_add_f32_e32 v151, v149, v147
	v_cndmask_b32_e64 v149, 0, v153, s8
	v_exp_f32_e32 v131, v131
	v_cndmask_b32_e64 v152, 0, v129, s9
	v_mul_f32_e32 v133, 0x3fb8aa3b, v133
	v_add_f32_e32 v151, v151, v150
	s_mov_b32 s2, exec_lo
	s_delay_alu instid0(VALU_DEP_2) | instskip(NEXT) | instid1(VALU_DEP_1)
	v_exp_f32_e32 v133, v133
	v_add_f32_e32 v129, v151, v149
	v_cndmask_b32_e64 v151, 0, v130, s10
	v_fma_f32 v130, s34, v135, -v159
	s_delay_alu instid0(TRANS32_DEP_2)
	v_cndmask_b32_e64 v154, 0, v131, s11
	v_exp_f32_e32 v131, v134
	v_add_f32_e32 v129, v129, v152
	v_cndmask_b32_e64 v153, 0, v132, s12
	v_mul_f32_e32 v130, 0x3fb8aa3b, v130
	v_fma_f32 v132, s34, v136, -v159
	v_cndmask_b32_e64 v156, 0, v133, s13
	v_add_f32_e32 v129, v129, v151
	s_delay_alu instid0(VALU_DEP_4) | instskip(NEXT) | instid1(VALU_DEP_3)
	v_exp_f32_e32 v130, v130
	v_mul_f32_e32 v132, 0x3fb8aa3b, v132
	s_delay_alu instid0(TRANS32_DEP_2) | instskip(NEXT) | instid1(VALU_DEP_3)
	v_cndmask_b32_e64 v155, 0, v131, s15
	v_add_f32_e32 v129, v129, v154
	s_delay_alu instid0(VALU_DEP_3) | instskip(NEXT) | instid1(VALU_DEP_1)
	v_exp_f32_e32 v131, v132
	v_add_f32_e32 v129, v129, v153
	s_waitcnt_depctr 0xfff
	v_cndmask_b32_e64 v158, 0, v130, s16
	v_add_f32_e32 v129, v129, v156
	v_cndmask_b32_e64 v157, 0, v131, s17
	s_delay_alu instid0(VALU_DEP_2) | instskip(NEXT) | instid1(VALU_DEP_1)
	v_add_f32_e32 v129, v129, v155
	v_add_f32_e32 v129, v129, v158
	s_delay_alu instid0(VALU_DEP_1)
	v_add_f32_e32 v129, v129, v157
	ds_bpermute_b32 v130, v160, v129
	v_cmpx_gt_u32_e32 16, v142
	s_cbranch_execz .LBB241_12
; %bb.11:
	v_mul_u32_u24_e32 v131, 0x44, v141
	s_delay_alu instid0(VALU_DEP_1) | instskip(SKIP_1) | instid1(VALU_DEP_1)
	v_lshl_add_u32 v131, v140, 2, v131
	s_waitcnt lgkmcnt(0)
	v_dual_add_f32 v129, v129, v130 :: v_dual_add_nc_u32 v130, 0x4000, v131
	ds_store_2addr_b32 v130, v159, v129 offset1:136
.LBB241_12:
	s_or_b32 exec_lo, exec_lo, s2
	v_lshlrev_b32_e32 v129, 2, v140
	s_load_b32 s34, s[0:1], 0x94
	s_waitcnt lgkmcnt(0)
	s_barrier
	buffer_gl0_inv
	v_add_nc_u32_e32 v135, 0x4000, v129
	v_cmp_eq_u32_e32 vcc_lo, 1, v141
	v_cmp_eq_u32_e64 s2, 2, v141
	v_cmp_eq_u32_e64 s3, 3, v141
	;; [unrolled: 1-line block ×3, first 2 shown]
	ds_load_2addr_b32 v[129:130], v135 offset1:17
	ds_load_2addr_b32 v[131:132], v135 offset0:34 offset1:51
	ds_load_2addr_b32 v[133:134], v135 offset0:68 offset1:85
	;; [unrolled: 1-line block ×3, first 2 shown]
	v_cmp_eq_u32_e64 s5, 5, v141
	v_cmp_eq_u32_e64 s6, 7, v141
	s_waitcnt lgkmcnt(3)
	v_max3_f32 v136, v129, 0xff7fffff, v130
	s_waitcnt lgkmcnt(2)
	s_delay_alu instid0(VALU_DEP_1) | instskip(SKIP_1) | instid1(VALU_DEP_1)
	v_max3_f32 v136, v136, v131, v132
	s_waitcnt lgkmcnt(1)
	v_max3_f32 v136, v136, v133, v134
	s_waitcnt lgkmcnt(0)
	s_delay_alu instid0(VALU_DEP_1) | instskip(NEXT) | instid1(VALU_DEP_1)
	v_max3_f32 v136, v136, v159, v160
	v_sub_f32_e32 v142, v130, v136
	ds_load_2addr_b32 v[161:162], v135 offset0:136 offset1:153
	v_sub_f32_e32 v164, v132, v136
	v_mul_f32_e32 v142, 0x3fb8aa3b, v142
	s_delay_alu instid0(VALU_DEP_2) | instskip(NEXT) | instid1(VALU_DEP_2)
	v_mul_f32_e32 v164, 0x3fb8aa3b, v164
	v_exp_f32_e32 v166, v142
	v_sub_f32_e32 v129, v129, v136
	s_delay_alu instid0(VALU_DEP_2) | instskip(NEXT) | instid1(VALU_DEP_1)
	v_exp_f32_e32 v164, v164
	v_mul_f32_e32 v163, 0x3fb8aa3b, v129
	ds_load_2addr_b32 v[129:130], v135 offset0:170 offset1:187
	v_exp_f32_e32 v163, v163
	s_waitcnt lgkmcnt(1)
	s_waitcnt_depctr 0xfff
	v_fma_f32 v142, v163, v161, 0
	v_sub_f32_e32 v161, v134, v136
	s_delay_alu instid0(VALU_DEP_2) | instskip(NEXT) | instid1(VALU_DEP_1)
	v_dual_fmac_f32 v142, v166, v162 :: v_dual_sub_f32 v131, v131, v136
	v_mul_f32_e32 v165, 0x3fb8aa3b, v131
	ds_load_2addr_b32 v[131:132], v135 offset0:204 offset1:221
	v_exp_f32_e32 v165, v165
	s_waitcnt lgkmcnt(1)
	s_waitcnt_depctr 0xfff
	v_fmac_f32_e32 v142, v165, v129
	v_sub_f32_e32 v133, v133, v136
	v_sub_f32_e32 v129, v160, v136
	s_delay_alu instid0(VALU_DEP_2) | instskip(NEXT) | instid1(VALU_DEP_2)
	v_dual_fmac_f32 v142, v164, v130 :: v_dual_mul_f32 v167, 0x3fb8aa3b, v133
	v_mul_f32_e32 v129, 0x3fb8aa3b, v129
	ds_load_2addr_b32 v[133:134], v135 offset0:238 offset1:255
	v_cndmask_b32_e32 v130, v163, v166, vcc_lo
	s_waitcnt lgkmcnt(0)
	s_barrier
	v_exp_f32_e32 v162, v129
	v_sub_f32_e32 v135, v159, v136
	v_mul_f32_e32 v159, 0x3fb8aa3b, v161
	v_exp_f32_e32 v161, v167
	buffer_gl0_inv
	v_exp_f32_e32 v159, v159
	v_fmac_f32_e32 v142, v161, v131
	s_waitcnt_depctr 0xfff
	v_dual_mul_f32 v135, 0x3fb8aa3b, v135 :: v_dual_fmac_f32 v142, v159, v132
	s_delay_alu instid0(VALU_DEP_1) | instskip(SKIP_2) | instid1(VALU_DEP_1)
	v_exp_f32_e32 v160, v135
	s_waitcnt_depctr 0xfff
	v_dual_fmac_f32 v142, v160, v133 :: v_dual_lshlrev_b32 v133, 6, v140
	v_fmac_f32_e32 v142, v162, v134
	s_delay_alu instid0(VALU_DEP_2) | instskip(NEXT) | instid1(VALU_DEP_2)
	v_lshl_or_b32 v135, v141, 11, v133
	v_add_f32_e32 v134, 0x358637bd, v142
	s_delay_alu instid0(VALU_DEP_1) | instskip(SKIP_1) | instid1(VALU_DEP_2)
	v_div_scale_f32 v167, null, v134, v134, 1.0
	v_div_scale_f32 v163, vcc_lo, 1.0, v134, 1.0
	v_rcp_f32_e32 v168, v167
	s_waitcnt_depctr 0xfff
	v_fma_f32 v129, -v167, v168, 1.0
	s_delay_alu instid0(VALU_DEP_1) | instskip(SKIP_2) | instid1(VALU_DEP_2)
	v_fmac_f32_e32 v168, v129, v168
	v_cndmask_b32_e64 v129, v130, v165, s2
	v_cmp_eq_u32_e64 s2, 6, v141
	v_cndmask_b32_e64 v130, v129, v164, s3
	v_lshlrev_b32_e32 v129, 2, v138
	v_mul_f32_e32 v165, v163, v168
	s_delay_alu instid0(VALU_DEP_3) | instskip(NEXT) | instid1(VALU_DEP_3)
	v_cndmask_b32_e64 v161, v130, v161, s4
	v_or_b32_e32 v130, 1, v129
	s_delay_alu instid0(VALU_DEP_3)
	v_fma_f32 v131, -v167, v165, v163
	v_or_b32_e32 v132, 2, v129
	v_cmp_eq_u32_e64 s3, 1, v129
	v_cndmask_b32_e64 v141, v161, v159, s5
	v_cmp_eq_u32_e64 s8, 1, v130
	v_fmac_f32_e32 v165, v131, v168
	v_or_b32_e32 v131, 3, v129
	v_cmp_eq_u32_e64 s9, 1, v132
	v_cndmask_b32_e64 v141, v141, v160, s2
	v_cmp_eq_u32_e64 s4, 2, v129
	v_fma_f32 v159, -v167, v165, v163
	v_cmp_eq_u32_e64 s10, 1, v131
	v_cmp_eq_u32_e64 s15, 2, v131
	v_cndmask_b32_e64 v141, v141, v162, s6
	v_cmp_eq_u32_e64 s11, 2, v130
	v_div_fmas_f32 v159, v159, v168, v165
	v_cmp_eq_u32_e64 s17, 3, v131
	v_cmp_eq_u32_e32 vcc_lo, 3, v129
	v_cmp_eq_u32_e64 s12, 3, v130
	v_cmp_eq_u32_e64 s13, 2, v132
	v_div_fixup_f32 v159, v159, v134, 1.0
	v_lshl_or_b32 v134, v138, 4, v135
	v_cmp_eq_u32_e64 s21, 4, v131
	v_cmp_eq_u32_e64 s2, 4, v129
	;; [unrolled: 1-line block ×3, first 2 shown]
	v_mul_f32_e32 v141, v141, v159
	v_cmp_eq_u32_e64 s18, 4, v130
	v_cmp_eq_u32_e64 s23, 5, v131
	;; [unrolled: 1-line block ×4, first 2 shown]
	v_fma_mixlo_f16 v159, v141, v144, 0
	v_fma_mixlo_f16 v160, v141, v146, 0
	;; [unrolled: 1-line block ×8, first 2 shown]
	v_fma_mixhi_f16 v159, v141, v143, 0
	v_fma_mixhi_f16 v160, v141, v145, 0
	;; [unrolled: 1-line block ×8, first 2 shown]
	ds_store_b128 v134, v[159:162]
	ds_store_b128 v134, v[163:166] offset:1024
	s_waitcnt lgkmcnt(0)
	s_barrier
	buffer_gl0_inv
	ds_load_b128 v[143:146], v135
	ds_load_b128 v[147:150], v135 offset:16
	ds_load_b128 v[151:154], v135 offset:1024
	ds_load_b128 v[155:158], v135 offset:1040
	v_cmp_eq_u32_e64 s20, 4, v132
	v_cmp_eq_u32_e64 s26, 6, v131
	;; [unrolled: 1-line block ×10, first 2 shown]
	s_waitcnt lgkmcnt(3)
	v_lshrrev_b32_e32 v141, 16, v143
	s_waitcnt lgkmcnt(2)
	v_lshrrev_b32_e32 v162, 16, v147
	v_lshrrev_b32_e32 v159, 16, v144
	;; [unrolled: 1-line block ×3, first 2 shown]
	s_waitcnt lgkmcnt(1)
	v_lshrrev_b32_e32 v166, 16, v151
	v_cndmask_b32_e64 v174, v143, v141, s3
	v_cndmask_b32_e64 v176, v143, v141, s8
	;; [unrolled: 1-line block ×5, first 2 shown]
	s_waitcnt lgkmcnt(0)
	v_lshrrev_b32_e32 v170, 16, v155
	v_cndmask_b32_e64 v175, v147, v162, s3
	v_cndmask_b32_e64 v177, v147, v162, s8
	;; [unrolled: 1-line block ×19, first 2 shown]
	v_lshrrev_b32_e32 v160, 16, v145
	v_lshrrev_b32_e32 v164, 16, v149
	;; [unrolled: 1-line block ×4, first 2 shown]
	v_cndmask_b32_e64 v176, v178, v144, s13
	v_cndmask_b32_e64 v177, v179, v148, s13
	;; [unrolled: 1-line block ×8, first 2 shown]
	v_cndmask_b32_e32 v155, v166, v159, vcc_lo
	v_cndmask_b32_e32 v166, v170, v163, vcc_lo
	v_cndmask_b32_e64 v170, v174, v159, s12
	v_cndmask_b32_e64 v174, v175, v163, s12
	;; [unrolled: 1-line block ×6, first 2 shown]
	v_cndmask_b32_e32 v144, v144, v167, vcc_lo
	v_cndmask_b32_e32 v147, v147, v171, vcc_lo
	v_cndmask_b32_e64 v148, v148, v167, s12
	v_cndmask_b32_e64 v155, v155, v145, s2
	;; [unrolled: 1-line block ×7, first 2 shown]
	v_lshrrev_b32_e32 v161, 16, v146
	v_lshrrev_b32_e32 v165, 16, v150
	;; [unrolled: 1-line block ×4, first 2 shown]
	v_cndmask_b32_e64 v170, v175, v145, s20
	v_cndmask_b32_e64 v174, v176, v149, s20
	;; [unrolled: 1-line block ×22, first 2 shown]
	v_lshrrev_b32_e32 v169, 16, v154
	v_cndmask_b32_e64 v160, v163, v146, s25
	v_cndmask_b32_e64 v163, v166, v150, s25
	;; [unrolled: 1-line block ×9, first 2 shown]
	v_perm_b32 v146, v143, v141, 0x5040100
	v_cndmask_b32_e64 v141, v183, v156, s13
	v_cndmask_b32_e64 v143, v181, v156, s11
	;; [unrolled: 1-line block ×4, first 2 shown]
	v_perm_b32 v144, v159, v149, 0x5040100
	v_cndmask_b32_e64 v149, v162, v167, s16
	v_cndmask_b32_e64 v151, v151, v167, s17
	;; [unrolled: 1-line block ×15, first 2 shown]
	v_lshrrev_b32_e32 v173, 16, v158
	v_cndmask_b32_e64 v149, v149, v154, s25
	v_cndmask_b32_e64 v151, v151, v154, s26
	;; [unrolled: 1-line block ×13, first 2 shown]
	v_perm_b32 v145, v160, v155, 0x5040100
	v_perm_b32 v143, v148, v147, 0x5040100
	;; [unrolled: 1-line block ×6, first 2 shown]
	s_mul_i32 s6, s33, 12
	s_mov_b32 s2, exec_lo
	ds_store_b128 v134, v[143:146]
	ds_store_b128 v134, v[147:150] offset:1024
	v_cmpx_gt_u32_e32 12, v0
	s_cbranch_execz .LBB241_14
; %bb.13:
	s_mul_i32 s3, s6, s30
	s_load_b128 s[8:11], s[0:1], 0x58
	v_add3_u32 v143, s3, s31, v140
	s_delay_alu instid0(VALU_DEP_1) | instskip(NEXT) | instid1(VALU_DEP_1)
	v_mad_u64_u32 v[140:141], null, v143, s34, s[14:15]
	v_ashrrev_i32_e32 v141, 31, v140
	s_delay_alu instid0(VALU_DEP_1) | instskip(SKIP_1) | instid1(VALU_DEP_1)
	v_lshlrev_b64 v[140:141], 2, v[140:141]
	s_waitcnt lgkmcnt(0)
	v_add_co_u32 v143, vcc_lo, s10, v140
	s_delay_alu instid0(VALU_DEP_2)
	v_add_co_ci_u32_e32 v144, vcc_lo, s11, v141, vcc_lo
	v_add_co_u32 v140, vcc_lo, s8, v140
	v_add_co_ci_u32_e32 v141, vcc_lo, s9, v141, vcc_lo
	global_store_b32 v[143:144], v136, off
	global_store_b32 v[140:141], v142, off
.LBB241_14:
	s_or_b32 exec_lo, exec_lo, s2
	s_waitcnt lgkmcnt(0)
	s_waitcnt_vscnt null, 0x0
	s_barrier
	buffer_gl0_inv
	ds_load_b128 v[148:151], v133
	ds_load_b128 v[152:155], v133 offset:16
	ds_load_b128 v[160:163], v133 offset:1040
	;; [unrolled: 1-line block ×5, first 2 shown]
	v_cmp_eq_u32_e32 vcc_lo, 1, v132
	v_mov_b32_e32 v140, 0
	ds_load_b128 v[176:179], v133 offset:3088
	ds_load_b128 v[172:175], v133 offset:3072
	;; [unrolled: 1-line block ×4, first 2 shown]
	v_cmp_eq_u32_e64 s2, 1, v129
	v_cmp_eq_u32_e64 s3, 1, v131
	;; [unrolled: 1-line block ×3, first 2 shown]
	v_mov_b32_e32 v141, v140
	v_mov_b32_e32 v142, v140
	v_mov_b32_e32 v143, v140
	v_mov_b32_e32 v144, v140
	v_mov_b32_e32 v145, v140
	v_mov_b32_e32 v146, v140
	v_mov_b32_e32 v147, v140
	v_cmp_eq_u32_e64 s5, 2, v129
	s_waitcnt lgkmcnt(8)
	s_delay_alu instid0(VALU_DEP_2)
	v_wmma_f32_16x16x16_f16 v[140:147], v[121:128], v[148:155], v[140:147]
	ds_load_b128 v[125:128], v133 offset:5136
	ds_load_b128 v[121:124], v133 offset:5120
	s_waitcnt lgkmcnt(8)
	v_wmma_f32_16x16x16_f16 v[140:147], v[113:120], v[156:163], v[140:147]
	ds_load_b128 v[117:120], v133 offset:6160
	ds_load_b128 v[113:116], v133 offset:6144
	s_waitcnt lgkmcnt(8)
	v_wmma_f32_16x16x16_f16 v[140:147], v[105:112], v[164:171], v[140:147]
	ds_load_b128 v[109:112], v133 offset:7184
	ds_load_b128 v[105:108], v133 offset:7168
	s_waitcnt lgkmcnt(8)
	v_wmma_f32_16x16x16_f16 v[140:147], v[97:104], v[172:179], v[140:147]
	ds_load_b128 v[101:104], v133 offset:8208
	ds_load_b128 v[97:100], v133 offset:8192
	s_waitcnt lgkmcnt(8)
	v_wmma_f32_16x16x16_f16 v[140:147], v[89:96], v[180:187], v[140:147]
	ds_load_b128 v[93:96], v133 offset:9232
	ds_load_b128 v[89:92], v133 offset:9216
	s_waitcnt lgkmcnt(8)
	v_wmma_f32_16x16x16_f16 v[140:147], v[81:88], v[121:128], v[140:147]
	ds_load_b128 v[85:88], v133 offset:10256
	ds_load_b128 v[81:84], v133 offset:10240
	s_waitcnt lgkmcnt(8)
	v_wmma_f32_16x16x16_f16 v[140:147], v[73:80], v[113:120], v[140:147]
	ds_load_b128 v[77:80], v133 offset:11280
	ds_load_b128 v[73:76], v133 offset:11264
	s_waitcnt lgkmcnt(8)
	v_wmma_f32_16x16x16_f16 v[140:147], v[65:72], v[105:112], v[140:147]
	ds_load_b128 v[69:72], v133 offset:12304
	ds_load_b128 v[65:68], v133 offset:12288
	s_waitcnt lgkmcnt(8)
	v_wmma_f32_16x16x16_f16 v[140:147], v[57:64], v[97:104], v[140:147]
	ds_load_b128 v[61:64], v133 offset:13328
	ds_load_b128 v[57:60], v133 offset:13312
	s_waitcnt lgkmcnt(8)
	v_wmma_f32_16x16x16_f16 v[140:147], v[49:56], v[89:96], v[140:147]
	ds_load_b128 v[53:56], v133 offset:14352
	ds_load_b128 v[49:52], v133 offset:14336
	s_waitcnt lgkmcnt(8)
	v_wmma_f32_16x16x16_f16 v[140:147], v[25:32], v[81:88], v[140:147]
	ds_load_b128 v[29:32], v133 offset:15376
	ds_load_b128 v[25:28], v133 offset:15360
	s_waitcnt lgkmcnt(0)
	s_barrier
	buffer_gl0_inv
	v_wmma_f32_16x16x16_f16 v[140:147], v[1:8], v[73:80], v[140:147]
	s_delay_alu instid0(VALU_DEP_1) | instskip(NEXT) | instid1(VALU_DEP_1)
	v_wmma_f32_16x16x16_f16 v[140:147], v[9:16], v[65:72], v[140:147]
	v_wmma_f32_16x16x16_f16 v[140:147], v[33:40], v[57:64], v[140:147]
	s_delay_alu instid0(VALU_DEP_1) | instskip(NEXT) | instid1(VALU_DEP_1)
	v_wmma_f32_16x16x16_f16 v[140:147], v[41:48], v[49:56], v[140:147]
	v_wmma_f32_16x16x16_f16 v[140:147], v[17:24], v[25:32], v[140:147]
	s_delay_alu instid0(VALU_DEP_1) | instskip(NEXT) | instid1(VALU_DEP_2)
	v_cvt_f16_f32_e64 v1, v140
	v_cvt_f16_f32_e64 v2, v141
	s_delay_alu instid0(VALU_DEP_3) | instskip(NEXT) | instid1(VALU_DEP_4)
	v_cvt_f16_f32_e64 v3, v142
	v_cvt_f16_f32_e64 v4, v143
	v_cvt_f16_f32_e64 v5, v144
	v_cvt_f16_f32_e64 v6, v145
	v_cvt_f16_f32_e64 v7, v146
	v_cvt_f16_f32_e64 v8, v147
	v_pack_b32_f16 v1, v1, v2
	v_pack_b32_f16 v2, v3, v4
	;; [unrolled: 1-line block ×3, first 2 shown]
	s_delay_alu instid0(VALU_DEP_4)
	v_pack_b32_f16 v4, v7, v8
	ds_store_b128 v134, v[1:4]
	s_waitcnt lgkmcnt(0)
	s_barrier
	buffer_gl0_inv
	ds_load_b128 v[1:4], v135
	ds_load_b128 v[5:8], v135 offset:16
	s_waitcnt lgkmcnt(1)
	v_lshrrev_b32_e32 v9, 16, v1
	s_waitcnt lgkmcnt(0)
	v_lshrrev_b32_e32 v13, 16, v5
	v_lshrrev_b32_e32 v10, 16, v2
	;; [unrolled: 1-line block ×4, first 2 shown]
	v_cndmask_b32_e64 v17, v1, v9, s2
	v_cndmask_b32_e64 v18, v5, v13, s2
	;; [unrolled: 1-line block ×3, first 2 shown]
	v_cmp_eq_u32_e64 s2, 2, v130
	v_cndmask_b32_e64 v20, v5, v13, s4
	v_cndmask_b32_e32 v21, v1, v9, vcc_lo
	v_cndmask_b32_e32 v22, v5, v13, vcc_lo
	v_cndmask_b32_e64 v1, v1, v9, s3
	v_cndmask_b32_e64 v5, v5, v13, s3
	v_cmp_eq_u32_e32 vcc_lo, 2, v132
	v_cmp_eq_u32_e64 s3, 2, v131
	v_cndmask_b32_e64 v9, v17, v2, s5
	v_cndmask_b32_e64 v13, v18, v6, s5
	;; [unrolled: 1-line block ×4, first 2 shown]
	v_cndmask_b32_e32 v19, v21, v2, vcc_lo
	v_cmp_eq_u32_e64 s2, 3, v132
	v_cndmask_b32_e32 v20, v22, v6, vcc_lo
	v_cndmask_b32_e64 v1, v1, v2, s3
	v_cmp_eq_u32_e32 vcc_lo, 3, v131
	v_cmp_eq_u32_e64 s4, 3, v129
	v_cndmask_b32_e64 v2, v5, v6, s3
	v_cmp_eq_u32_e64 s3, 3, v130
	v_cmp_eq_u32_e64 s5, 4, v129
	v_cndmask_b32_e32 v1, v1, v10, vcc_lo
	v_cndmask_b32_e64 v5, v9, v10, s4
	v_cndmask_b32_e64 v6, v13, v14, s4
	;; [unrolled: 1-line block ×3, first 2 shown]
	v_cmp_eq_u32_e64 s4, 4, v130
	v_cndmask_b32_e64 v13, v18, v14, s3
	v_cndmask_b32_e64 v17, v19, v10, s2
	;; [unrolled: 1-line block ×3, first 2 shown]
	v_cndmask_b32_e32 v2, v2, v14, vcc_lo
	v_cmp_eq_u32_e32 vcc_lo, 4, v132
	v_cmp_eq_u32_e64 s3, 4, v131
	v_lshrrev_b32_e32 v15, 16, v7
	v_cndmask_b32_e64 v5, v5, v3, s5
	v_cndmask_b32_e64 v6, v6, v7, s5
	v_cndmask_b32_e32 v14, v18, v7, vcc_lo
	v_cndmask_b32_e64 v9, v9, v3, s4
	v_cndmask_b32_e64 v10, v13, v7, s4
	v_cndmask_b32_e32 v13, v17, v3, vcc_lo
	v_cmp_eq_u32_e64 s2, 5, v132
	v_cndmask_b32_e64 v1, v1, v3, s3
	v_cmp_eq_u32_e32 vcc_lo, 5, v131
	v_cmp_eq_u32_e64 s4, 5, v129
	v_cndmask_b32_e64 v2, v2, v7, s3
	v_cmp_eq_u32_e64 s3, 5, v130
	v_cmp_eq_u32_e64 s5, 6, v129
	v_lshrrev_b32_e32 v12, 16, v4
	v_cndmask_b32_e64 v3, v5, v11, s4
	v_cndmask_b32_e64 v5, v6, v15, s4
	;; [unrolled: 1-line block ×3, first 2 shown]
	v_cmp_eq_u32_e64 s4, 6, v130
	v_cndmask_b32_e64 v7, v10, v15, s3
	v_cndmask_b32_e64 v9, v13, v11, s2
	;; [unrolled: 1-line block ×3, first 2 shown]
	v_cndmask_b32_e32 v1, v1, v11, vcc_lo
	v_cndmask_b32_e32 v2, v2, v15, vcc_lo
	v_cmp_eq_u32_e32 vcc_lo, 6, v132
	v_cmp_eq_u32_e64 s2, 6, v131
	v_lshrrev_b32_e32 v16, 16, v8
	v_cndmask_b32_e64 v3, v3, v4, s5
	v_cndmask_b32_e64 v5, v5, v8, s5
	v_cndmask_b32_e32 v9, v9, v4, vcc_lo
	v_cndmask_b32_e64 v6, v6, v4, s4
	v_cndmask_b32_e64 v7, v7, v8, s4
	v_cmp_eq_u32_e64 s3, 7, v132
	v_cndmask_b32_e32 v10, v10, v8, vcc_lo
	v_cndmask_b32_e64 v1, v1, v4, s2
	v_cmp_eq_u32_e32 vcc_lo, 7, v131
	v_cndmask_b32_e64 v2, v2, v8, s2
	v_cmp_eq_u32_e64 s2, 7, v129
	v_cmp_eq_u32_e64 s4, 7, v130
	v_cndmask_b32_e32 v1, v1, v12, vcc_lo
	s_delay_alu instid0(VALU_DEP_4) | instskip(NEXT) | instid1(VALU_DEP_4)
	v_cndmask_b32_e32 v2, v2, v16, vcc_lo
	v_cndmask_b32_e64 v8, v3, v12, s2
	s_delay_alu instid0(VALU_DEP_4)
	v_cndmask_b32_e64 v6, v6, v12, s4
	v_cndmask_b32_e64 v3, v9, v12, s3
	;; [unrolled: 1-line block ×5, first 2 shown]
	v_perm_b32 v4, v2, v1, 0x5040100
	s_mov_b32 s2, exec_lo
	v_perm_b32 v3, v9, v3, 0x5040100
	v_perm_b32 v2, v7, v6, 0x5040100
	;; [unrolled: 1-line block ×3, first 2 shown]
	ds_store_b128 v134, v[1:4]
	s_waitcnt lgkmcnt(0)
	s_barrier
	buffer_gl0_inv
	v_cmpx_gt_u32_e32 32, v0
	s_cbranch_execz .LBB241_2
; %bb.15:
	s_load_b64 s[0:1], s[0:1], 0x68
	v_lshlrev_b32_e32 v0, 10, v0
	s_lshl_b32 s4, s34, 7
	v_or_b32_e32 v3, s31, v138
	s_mul_i32 s2, s4, s30
	v_lshlrev_b32_e32 v1, 4, v139
	s_mul_i32 s2, s2, s6
	v_lshlrev_b32_e32 v2, 6, v138
	v_and_b32_e32 v0, 0x3800, v0
	s_ashr_i32 s3, s2, 31
	v_mul_lo_u32 v4, v3, s4
	s_lshl_b64 s[2:3], s[2:3], 1
	s_delay_alu instid0(VALU_DEP_2) | instskip(NEXT) | instid1(VALU_DEP_2)
	v_or3_b32 v16, v0, v1, v2
	v_ashrrev_i32_e32 v5, 31, v4
	ds_load_b128 v[0:3], v16
	s_waitcnt lgkmcnt(0)
	s_add_u32 s2, s0, s2
	s_addc_u32 s3, s1, s3
	s_lshl_b32 s0, s14, 7
	v_lshlrev_b64 v[5:6], 1, v[4:5]
	s_ashr_i32 s1, s0, 31
	s_delay_alu instid0(SALU_CYCLE_1) | instskip(NEXT) | instid1(SALU_CYCLE_1)
	s_lshl_b64 s[0:1], s[0:1], 1
	s_add_u32 s0, s2, s0
	s_addc_u32 s1, s3, s1
	s_lshl_b32 s2, s34, 8
	v_add_co_u32 v30, s0, s0, v137
	v_add_nc_u32_e32 v8, s2, v4
	v_add_co_ci_u32_e64 v31, null, s1, 0, s0
	s_delay_alu instid0(VALU_DEP_3) | instskip(NEXT) | instid1(VALU_DEP_3)
	v_add_co_u32 v12, vcc_lo, v30, v5
	v_add_nc_u32_e32 v10, s2, v8
	v_ashrrev_i32_e32 v9, 31, v8
	s_delay_alu instid0(VALU_DEP_4)
	v_add_co_ci_u32_e32 v13, vcc_lo, v31, v6, vcc_lo
	ds_load_b128 v[4:7], v16 offset:128
	v_ashrrev_i32_e32 v11, 31, v10
	v_lshlrev_b64 v[8:9], 1, v[8:9]
	v_add_nc_u32_e32 v14, s2, v10
	global_store_b128 v[12:13], v[0:3], off
	v_lshlrev_b64 v[0:1], 1, v[10:11]
	v_ashrrev_i32_e32 v15, 31, v14
	v_add_co_u32 v22, vcc_lo, v30, v8
	v_add_nc_u32_e32 v20, s2, v14
	v_add_co_ci_u32_e32 v23, vcc_lo, v31, v9, vcc_lo
	v_add_co_u32 v26, vcc_lo, v30, v0
	v_lshlrev_b64 v[24:25], 1, v[14:15]
	v_add_co_ci_u32_e32 v27, vcc_lo, v31, v1, vcc_lo
	ds_load_b128 v[0:3], v16 offset:256
	ds_load_b128 v[8:11], v16 offset:384
	ds_load_b128 v[12:15], v16 offset:512
	ds_load_b128 v[16:19], v16 offset:640
	v_add_nc_u32_e32 v28, s2, v20
	v_ashrrev_i32_e32 v21, 31, v20
	v_add_co_u32 v24, vcc_lo, v30, v24
	v_add_co_ci_u32_e32 v25, vcc_lo, v31, v25, vcc_lo
	s_delay_alu instid0(VALU_DEP_4) | instskip(NEXT) | instid1(VALU_DEP_4)
	v_ashrrev_i32_e32 v29, 31, v28
	v_lshlrev_b64 v[20:21], 1, v[20:21]
	s_delay_alu instid0(VALU_DEP_2) | instskip(NEXT) | instid1(VALU_DEP_2)
	v_lshlrev_b64 v[28:29], 1, v[28:29]
	v_add_co_u32 v20, vcc_lo, v30, v20
	s_delay_alu instid0(VALU_DEP_3) | instskip(NEXT) | instid1(VALU_DEP_3)
	v_add_co_ci_u32_e32 v21, vcc_lo, v31, v21, vcc_lo
	v_add_co_u32 v28, vcc_lo, v30, v28
	s_delay_alu instid0(VALU_DEP_4)
	v_add_co_ci_u32_e32 v29, vcc_lo, v31, v29, vcc_lo
	s_waitcnt lgkmcnt(4)
	global_store_b128 v[22:23], v[4:7], off
	s_waitcnt lgkmcnt(3)
	global_store_b128 v[26:27], v[0:3], off
	;; [unrolled: 2-line block ×5, first 2 shown]
	s_nop 0
	s_sendmsg sendmsg(MSG_DEALLOC_VGPRS)
	s_endpgm
	.section	.rodata,"a",@progbits
	.p2align	6, 0x0
	.amdhsa_kernel _Z39paged_attention_ll4mi_QKV_mfma16_kernelIDF16_DF16_LN4vllm18Fp8KVCacheDataTypeE0EhLi16ELi128ELi256ELb0ELi12EL8MFMAType0EEvPKT_PKT0_S8_ifPKiSA_SA_iPKfiiiPfSD_PS3_PT2_iSC_SC_
		.amdhsa_group_segment_fixed_size 17472
		.amdhsa_private_segment_fixed_size 0
		.amdhsa_kernarg_size 400
		.amdhsa_user_sgpr_count 13
		.amdhsa_user_sgpr_dispatch_ptr 0
		.amdhsa_user_sgpr_queue_ptr 0
		.amdhsa_user_sgpr_kernarg_segment_ptr 1
		.amdhsa_user_sgpr_dispatch_id 0
		.amdhsa_user_sgpr_private_segment_size 0
		.amdhsa_wavefront_size32 1
		.amdhsa_uses_dynamic_stack 0
		.amdhsa_enable_private_segment 0
		.amdhsa_system_sgpr_workgroup_id_x 1
		.amdhsa_system_sgpr_workgroup_id_y 1
		.amdhsa_system_sgpr_workgroup_id_z 1
		.amdhsa_system_sgpr_workgroup_info 0
		.amdhsa_system_vgpr_workitem_id 0
		.amdhsa_next_free_vgpr 218
		.amdhsa_next_free_sgpr 52
		.amdhsa_reserve_vcc 1
		.amdhsa_float_round_mode_32 0
		.amdhsa_float_round_mode_16_64 0
		.amdhsa_float_denorm_mode_32 3
		.amdhsa_float_denorm_mode_16_64 3
		.amdhsa_dx10_clamp 1
		.amdhsa_ieee_mode 1
		.amdhsa_fp16_overflow 0
		.amdhsa_workgroup_processor_mode 1
		.amdhsa_memory_ordered 1
		.amdhsa_forward_progress 0
		.amdhsa_shared_vgpr_count 0
		.amdhsa_exception_fp_ieee_invalid_op 0
		.amdhsa_exception_fp_denorm_src 0
		.amdhsa_exception_fp_ieee_div_zero 0
		.amdhsa_exception_fp_ieee_overflow 0
		.amdhsa_exception_fp_ieee_underflow 0
		.amdhsa_exception_fp_ieee_inexact 0
		.amdhsa_exception_int_div_zero 0
	.end_amdhsa_kernel
	.section	.text._Z39paged_attention_ll4mi_QKV_mfma16_kernelIDF16_DF16_LN4vllm18Fp8KVCacheDataTypeE0EhLi16ELi128ELi256ELb0ELi12EL8MFMAType0EEvPKT_PKT0_S8_ifPKiSA_SA_iPKfiiiPfSD_PS3_PT2_iSC_SC_,"axG",@progbits,_Z39paged_attention_ll4mi_QKV_mfma16_kernelIDF16_DF16_LN4vllm18Fp8KVCacheDataTypeE0EhLi16ELi128ELi256ELb0ELi12EL8MFMAType0EEvPKT_PKT0_S8_ifPKiSA_SA_iPKfiiiPfSD_PS3_PT2_iSC_SC_,comdat
.Lfunc_end241:
	.size	_Z39paged_attention_ll4mi_QKV_mfma16_kernelIDF16_DF16_LN4vllm18Fp8KVCacheDataTypeE0EhLi16ELi128ELi256ELb0ELi12EL8MFMAType0EEvPKT_PKT0_S8_ifPKiSA_SA_iPKfiiiPfSD_PS3_PT2_iSC_SC_, .Lfunc_end241-_Z39paged_attention_ll4mi_QKV_mfma16_kernelIDF16_DF16_LN4vllm18Fp8KVCacheDataTypeE0EhLi16ELi128ELi256ELb0ELi12EL8MFMAType0EEvPKT_PKT0_S8_ifPKiSA_SA_iPKfiiiPfSD_PS3_PT2_iSC_SC_
                                        ; -- End function
	.section	.AMDGPU.csdata,"",@progbits
; Kernel info:
; codeLenInByte = 8168
; NumSgprs: 54
; NumVgprs: 218
; ScratchSize: 0
; MemoryBound: 0
; FloatMode: 240
; IeeeMode: 1
; LDSByteSize: 17472 bytes/workgroup (compile time only)
; SGPRBlocks: 6
; VGPRBlocks: 27
; NumSGPRsForWavesPerEU: 54
; NumVGPRsForWavesPerEU: 218
; Occupancy: 6
; WaveLimiterHint : 1
; COMPUTE_PGM_RSRC2:SCRATCH_EN: 0
; COMPUTE_PGM_RSRC2:USER_SGPR: 13
; COMPUTE_PGM_RSRC2:TRAP_HANDLER: 0
; COMPUTE_PGM_RSRC2:TGID_X_EN: 1
; COMPUTE_PGM_RSRC2:TGID_Y_EN: 1
; COMPUTE_PGM_RSRC2:TGID_Z_EN: 1
; COMPUTE_PGM_RSRC2:TIDIG_COMP_CNT: 0
	.section	.text._Z39paged_attention_ll4mi_QKV_mfma16_kernelIDF16_DF16_LN4vllm18Fp8KVCacheDataTypeE0EhLi16ELi128ELi256ELb0ELi13EL8MFMAType0EEvPKT_PKT0_S8_ifPKiSA_SA_iPKfiiiPfSD_PS3_PT2_iSC_SC_,"axG",@progbits,_Z39paged_attention_ll4mi_QKV_mfma16_kernelIDF16_DF16_LN4vllm18Fp8KVCacheDataTypeE0EhLi16ELi128ELi256ELb0ELi13EL8MFMAType0EEvPKT_PKT0_S8_ifPKiSA_SA_iPKfiiiPfSD_PS3_PT2_iSC_SC_,comdat
	.protected	_Z39paged_attention_ll4mi_QKV_mfma16_kernelIDF16_DF16_LN4vllm18Fp8KVCacheDataTypeE0EhLi16ELi128ELi256ELb0ELi13EL8MFMAType0EEvPKT_PKT0_S8_ifPKiSA_SA_iPKfiiiPfSD_PS3_PT2_iSC_SC_ ; -- Begin function _Z39paged_attention_ll4mi_QKV_mfma16_kernelIDF16_DF16_LN4vllm18Fp8KVCacheDataTypeE0EhLi16ELi128ELi256ELb0ELi13EL8MFMAType0EEvPKT_PKT0_S8_ifPKiSA_SA_iPKfiiiPfSD_PS3_PT2_iSC_SC_
	.globl	_Z39paged_attention_ll4mi_QKV_mfma16_kernelIDF16_DF16_LN4vllm18Fp8KVCacheDataTypeE0EhLi16ELi128ELi256ELb0ELi13EL8MFMAType0EEvPKT_PKT0_S8_ifPKiSA_SA_iPKfiiiPfSD_PS3_PT2_iSC_SC_
	.p2align	8
	.type	_Z39paged_attention_ll4mi_QKV_mfma16_kernelIDF16_DF16_LN4vllm18Fp8KVCacheDataTypeE0EhLi16ELi128ELi256ELb0ELi13EL8MFMAType0EEvPKT_PKT0_S8_ifPKiSA_SA_iPKfiiiPfSD_PS3_PT2_iSC_SC_,@function
_Z39paged_attention_ll4mi_QKV_mfma16_kernelIDF16_DF16_LN4vllm18Fp8KVCacheDataTypeE0EhLi16ELi128ELi256ELb0ELi13EL8MFMAType0EEvPKT_PKT0_S8_ifPKiSA_SA_iPKfiiiPfSD_PS3_PT2_iSC_SC_: ; @_Z39paged_attention_ll4mi_QKV_mfma16_kernelIDF16_DF16_LN4vllm18Fp8KVCacheDataTypeE0EhLi16ELi128ELi256ELb0ELi13EL8MFMAType0EEvPKT_PKT0_S8_ifPKiSA_SA_iPKfiiiPfSD_PS3_PT2_iSC_SC_
; %bb.0:
	s_load_b64 s[4:5], s[0:1], 0x30
	s_mov_b32 s34, s13
	s_waitcnt lgkmcnt(0)
	s_cmp_lg_u64 s[4:5], 0
	s_cselect_b32 s8, -1, 0
	s_ashr_i32 s35, s13, 31
	s_cmp_eq_u64 s[4:5], 0
	s_cbranch_scc1 .LBB242_3
; %bb.1:
	s_lshl_b64 s[2:3], s[34:35], 2
	s_delay_alu instid0(SALU_CYCLE_1) | instskip(SKIP_4) | instid1(SALU_CYCLE_1)
	s_add_u32 s2, s4, s2
	s_addc_u32 s3, s5, s3
	s_load_b64 s[2:3], s[2:3], 0x0
	s_waitcnt lgkmcnt(0)
	s_sub_i32 s2, s3, s2
	s_cmp_eq_u32 s2, 1
	s_cselect_b32 s2, -1, 0
	s_delay_alu instid0(SALU_CYCLE_1)
	s_and_not1_b32 vcc_lo, exec_lo, s2
	s_cbranch_vccz .LBB242_4
.LBB242_2:
	s_nop 0
	s_sendmsg sendmsg(MSG_DEALLOC_VGPRS)
	s_endpgm
.LBB242_3:
.LBB242_4:
	s_load_b64 s[2:3], s[0:1], 0x28
	s_lshl_b64 s[6:7], s[34:35], 2
	s_waitcnt lgkmcnt(0)
	s_add_u32 s2, s2, s6
	s_addc_u32 s3, s3, s7
	s_lshl_b32 s29, s14, 8
	s_load_b32 s28, s[2:3], 0x0
	s_waitcnt lgkmcnt(0)
	s_cmp_ge_i32 s29, s28
	s_cbranch_scc1 .LBB242_2
; %bb.5:
	s_clause 0x1
	s_load_b128 s[20:23], s[0:1], 0x8
	s_load_b64 s[2:3], s[0:1], 0x20
	s_and_not1_b32 vcc_lo, exec_lo, s8
	s_cbranch_vccnz .LBB242_7
; %bb.6:
	s_add_u32 s4, s4, s6
	s_addc_u32 s5, s5, s7
	s_load_b32 s5, s[4:5], 0x0
	s_branch .LBB242_8
.LBB242_7:
	s_mov_b32 s5, s34
.LBB242_8:
	s_load_b128 s[16:19], s[0:1], 0x48
	v_and_b32_e32 v140, 15, v0
	v_lshrrev_b32_e32 v141, 5, v0
	v_bfe_u32 v138, v0, 4, 1
	v_and_b32_e32 v142, 31, v0
	v_and_b32_e32 v139, 1, v0
	v_lshlrev_b32_e32 v2, 3, v140
	s_mul_i32 s31, s15, 13
	v_lshl_or_b32 v1, v141, 1, v138
	s_mov_b32 s4, exec_lo
	s_delay_alu instid0(VALU_DEP_2) | instskip(NEXT) | instid1(VALU_DEP_2)
	v_lshlrev_b32_e32 v137, 1, v2
	v_cmpx_gt_u32_e32 13, v1
	s_cbranch_execz .LBB242_10
; %bb.9:
	s_load_b64 s[6:7], s[0:1], 0x0
	v_add_lshl_u32 v2, v1, s31, 7
	s_waitcnt lgkmcnt(0)
	s_mul_hi_i32 s9, s5, s16
	s_mul_i32 s8, s5, s16
	v_lshlrev_b32_e32 v6, 10, v140
	s_lshl_b64 s[8:9], s[8:9], 1
	v_ashrrev_i32_e32 v3, 31, v2
	v_lshlrev_b32_e32 v1, 6, v1
	v_lshlrev_b32_e32 v7, 10, v139
	v_and_b32_e32 v6, 0x3800, v6
	s_delay_alu instid0(VALU_DEP_4) | instskip(NEXT) | instid1(VALU_DEP_2)
	v_lshlrev_b64 v[2:3], 1, v[2:3]
	v_or3_b32 v1, v6, v7, v1
	s_add_u32 s5, s6, s8
	s_addc_u32 s6, s7, s9
	s_delay_alu instid0(VALU_DEP_2) | instskip(NEXT) | instid1(VALU_DEP_3)
	v_add_co_u32 v2, vcc_lo, s5, v2
	v_add_co_ci_u32_e32 v3, vcc_lo, s6, v3, vcc_lo
	s_delay_alu instid0(VALU_DEP_2) | instskip(NEXT) | instid1(VALU_DEP_2)
	v_add_co_u32 v2, vcc_lo, v2, v137
	v_add_co_ci_u32_e32 v3, vcc_lo, 0, v3, vcc_lo
	global_load_b128 v[2:5], v[2:3], off
	s_waitcnt vmcnt(0)
	ds_store_b128 v1, v[2:5]
.LBB242_10:
	s_or_b32 exec_lo, exec_lo, s4
	v_and_b32_e32 v1, 0xef, v0
	s_waitcnt lgkmcnt(0)
	s_add_i32 s5, s28, 15
	s_clause 0x1
	s_load_b32 s4, s[0:1], 0x38
	s_load_b32 s33, s[0:1], 0x98
	s_ashr_i32 s6, s5, 31
	v_add_nc_u32_e32 v1, s29, v1
	s_lshr_b32 s6, s6, 28
	s_load_b32 s30, s[0:1], 0x1c
	s_add_i32 s5, s5, s6
	s_waitcnt lgkmcnt(0)
	v_ashrrev_i32_e32 v2, 31, v1
	v_cmp_gt_i32_e32 vcc_lo, s28, v1
	s_ashr_i32 s16, s5, 4
	s_barrier
	s_add_i32 s16, s16, -1
	v_lshrrev_b32_e32 v3, 28, v2
	v_or_b32_e32 v2, 16, v1
	buffer_gl0_inv
	v_add_nc_u32_e32 v105, -13, v140
	v_lshlrev_b32_e32 v106, 5, v140
	v_add_nc_u32_e32 v4, v1, v3
	v_add_nc_u32_e32 v3, v2, v3
	s_mul_i32 s4, s34, s4
	s_delay_alu instid0(SALU_CYCLE_1) | instskip(NEXT) | instid1(VALU_DEP_2)
	s_ashr_i32 s5, s4, 31
	v_ashrrev_i32_e32 v4, 4, v4
	s_delay_alu instid0(VALU_DEP_2)
	v_ashrrev_i32_e32 v3, 4, v3
	s_lshl_b64 s[4:5], s[4:5], 2
	v_lshl_or_b32 v125, v141, 9, v106
	s_add_u32 s35, s2, s4
	v_cndmask_b32_e32 v1, s16, v4, vcc_lo
	v_cmp_gt_i32_e32 vcc_lo, s28, v2
	s_addc_u32 s36, s3, s5
	s_mul_i32 s2, s15, s18
	s_delay_alu instid0(VALU_DEP_2) | instskip(SKIP_2) | instid1(SALU_CYCLE_1)
	v_ashrrev_i32_e32 v2, 31, v1
	v_cndmask_b32_e32 v3, s16, v3, vcc_lo
	s_ashr_i32 s3, s2, 31
	s_lshl_b64 s[2:3], s[2:3], 1
	s_delay_alu instid0(VALU_DEP_2) | instskip(NEXT) | instid1(VALU_DEP_2)
	v_lshlrev_b64 v[1:2], 2, v[1:2]
	v_ashrrev_i32_e32 v4, 31, v3
	s_add_u32 s24, s20, s2
	s_addc_u32 s25, s21, s3
	s_lshl_b32 s4, s14, 4
	s_delay_alu instid0(VALU_DEP_1) | instskip(SKIP_3) | instid1(VALU_DEP_3)
	v_lshlrev_b64 v[3:4], 2, v[3:4]
	v_add_co_u32 v1, vcc_lo, s35, v1
	v_add_co_ci_u32_e32 v2, vcc_lo, s36, v2, vcc_lo
	s_ashr_i32 s5, s4, 31
	v_add_co_u32 v3, vcc_lo, s35, v3
	s_delay_alu instid0(VALU_DEP_4)
	v_add_co_ci_u32_e32 v4, vcc_lo, s36, v4, vcc_lo
	s_lshl_b64 s[4:5], s[4:5], 2
	s_clause 0x1
	global_load_b32 v5, v[1:2], off
	global_load_b32 v6, v[3:4], off
	s_add_u32 s4, s35, s4
	s_addc_u32 s5, s36, s5
	s_or_b32 s6, s29, 16
	v_lshlrev_b32_e32 v3, 4, v0
	s_ashr_i32 s7, s6, 4
	s_cmp_lt_i32 s6, s28
	s_cselect_b32 s6, s7, s16
	s_delay_alu instid0(SALU_CYCLE_1) | instskip(NEXT) | instid1(SALU_CYCLE_1)
	s_ashr_i32 s7, s6, 31
	s_lshl_b64 s[6:7], s[6:7], 2
	s_delay_alu instid0(SALU_CYCLE_1) | instskip(SKIP_2) | instid1(SALU_CYCLE_1)
	s_add_u32 s6, s35, s6
	s_addc_u32 s7, s36, s7
	s_or_b32 s8, s29, 32
	s_ashr_i32 s9, s8, 4
	s_cmp_lt_i32 s8, s28
	s_cselect_b32 s8, s9, s16
	s_delay_alu instid0(SALU_CYCLE_1) | instskip(NEXT) | instid1(SALU_CYCLE_1)
	s_ashr_i32 s9, s8, 31
	s_lshl_b64 s[8:9], s[8:9], 2
	s_delay_alu instid0(SALU_CYCLE_1) | instskip(SKIP_2) | instid1(SALU_CYCLE_1)
	s_add_u32 s8, s35, s8
	s_addc_u32 s9, s36, s9
	s_or_b32 s10, s29, 48
	;; [unrolled: 10-line block ×4, first 2 shown]
	s_ashr_i32 s13, s12, 4
	s_cmp_lt_i32 s12, s28
	s_cselect_b32 s12, s13, s16
	s_delay_alu instid0(SALU_CYCLE_1) | instskip(NEXT) | instid1(SALU_CYCLE_1)
	s_ashr_i32 s13, s12, 31
	s_lshl_b64 s[12:13], s[12:13], 2
	s_delay_alu instid0(SALU_CYCLE_1)
	s_add_u32 s20, s35, s12
	s_addc_u32 s21, s36, s13
	s_clause 0x5
	s_load_b32 s37, s[4:5], 0x0
	s_load_b32 s27, s[6:7], 0x0
	;; [unrolled: 1-line block ×6, first 2 shown]
	s_waitcnt vmcnt(1)
	v_mad_i64_i32 v[1:2], null, v5, s17, 0
	v_and_b32_e32 v5, 0xf0, v3
	s_waitcnt vmcnt(0)
	v_mad_i64_i32 v[3:4], null, v6, s17, 0
	s_delay_alu instid0(VALU_DEP_2) | instskip(NEXT) | instid1(VALU_DEP_4)
	v_add_co_u32 v5, s4, s24, v5
	v_lshlrev_b64 v[1:2], 1, v[1:2]
	v_add_co_ci_u32_e64 v6, null, s25, 0, s4
	s_delay_alu instid0(VALU_DEP_4) | instskip(SKIP_1) | instid1(VALU_DEP_3)
	v_lshlrev_b64 v[3:4], 1, v[3:4]
	s_or_b32 s4, s29, 0x60
	v_add_co_u32 v121, vcc_lo, v5, v1
	s_delay_alu instid0(VALU_DEP_3) | instskip(NEXT) | instid1(VALU_DEP_3)
	v_add_co_ci_u32_e32 v122, vcc_lo, v6, v2, vcc_lo
	v_add_co_u32 v123, vcc_lo, v5, v3
	s_delay_alu instid0(VALU_DEP_4)
	v_add_co_ci_u32_e32 v124, vcc_lo, v6, v4, vcc_lo
	s_clause 0x19
	global_load_b128 v[89:92], v[121:122], off
	global_load_b128 v[93:96], v[121:122], off offset:256
	global_load_b128 v[97:100], v[123:124], off
	global_load_b128 v[101:104], v[123:124], off offset:256
	global_load_b128 v[81:84], v[121:122], off offset:512
	;; [unrolled: 1-line block ×23, first 2 shown]
	s_ashr_i32 s5, s4, 4
	s_cmp_lt_i32 s4, s28
	v_cmp_gt_u32_e32 vcc_lo, 13, v140
	s_cselect_b32 s4, s5, s16
	s_delay_alu instid0(SALU_CYCLE_1) | instskip(NEXT) | instid1(SALU_CYCLE_1)
	s_ashr_i32 s5, s4, 31
	s_lshl_b64 s[4:5], s[4:5], 2
	v_cndmask_b32_e32 v105, v105, v140, vcc_lo
	s_add_u32 s18, s35, s4
	s_addc_u32 s19, s36, s5
	s_or_b32 s4, s29, 0x70
	s_delay_alu instid0(SALU_CYCLE_1)
	s_ashr_i32 s5, s4, 4
	s_cmp_lt_i32 s4, s28
	v_lshlrev_b32_e32 v215, 6, v105
	s_cselect_b32 s6, s5, s16
	ds_load_b128 v[105:108], v215
	ds_load_b128 v[109:112], v215 offset:1024
	s_ashr_i32 s7, s6, 31
	ds_load_b128 v[113:116], v215 offset:2048
	ds_load_b128 v[117:120], v215 offset:3072
	;; [unrolled: 1-line block ×8, first 2 shown]
	s_clause 0x1
	global_load_b128 v[167:170], v[123:124], off offset:3072
	global_load_b128 v[171:174], v[123:124], off offset:3328
	s_lshl_b64 s[6:7], s[6:7], 2
	s_mov_b32 s4, 0
	s_add_u32 s20, s35, s6
	s_addc_u32 s21, s36, s7
	s_clause 0x1
	s_load_b32 s41, s[18:19], 0x0
	s_load_b32 s46, s[20:21], 0x0
	s_clause 0x3
	global_load_b128 v[175:178], v[121:122], off offset:3584
	global_load_b128 v[179:182], v[121:122], off offset:3840
	;; [unrolled: 1-line block ×4, first 2 shown]
	s_or_b32 s7, s29, 0x80
	s_mov_b32 s5, s4
	s_ashr_i32 s8, s7, 4
	s_cmp_lt_i32 s7, s28
	s_mov_b32 s6, s4
	s_cselect_b32 s10, s8, s16
	s_mov_b32 s7, s4
	s_ashr_i32 s11, s10, 31
	s_mov_b32 s8, s4
	s_lshl_b64 s[24:25], s[10:11], 2
	s_mov_b32 s9, s4
	s_add_u32 s24, s35, s24
	s_addc_u32 s25, s36, s25
	s_or_b32 s11, s29, 0x90
	s_mov_b32 s10, s4
	s_ashr_i32 s38, s11, 4
	s_cmp_lt_i32 s11, s28
	s_mov_b32 s11, s4
	s_cselect_b32 s38, s38, s16
	v_mov_b32_e32 v136, s11
	s_ashr_i32 s39, s38, 31
	v_dual_mov_b32 v135, s10 :: v_dual_mov_b32 v134, s9
	v_dual_mov_b32 v133, s8 :: v_dual_mov_b32 v132, s7
	;; [unrolled: 1-line block ×3, first 2 shown]
	v_mov_b32_e32 v129, s4
	s_lshl_b64 s[4:5], s[38:39], 2
	s_waitcnt lgkmcnt(0)
	s_mul_hi_i32 s7, s27, s17
	s_add_u32 s38, s35, s4
	s_addc_u32 s39, s36, s5
	s_or_b32 s4, s29, 0xa0
	s_load_b32 s40, s[38:39], 0x0
	s_ashr_i32 s5, s4, 4
	s_cmp_lt_i32 s4, s28
	s_cselect_b32 s4, s5, s16
	s_delay_alu instid0(SALU_CYCLE_1) | instskip(NEXT) | instid1(SALU_CYCLE_1)
	s_ashr_i32 s5, s4, 31
	s_lshl_b64 s[4:5], s[4:5], 2
	s_delay_alu instid0(SALU_CYCLE_1)
	s_add_u32 s42, s35, s4
	s_addc_u32 s43, s36, s5
	s_or_b32 s4, s29, 0xb0
	s_load_b32 s39, s[42:43], 0x0
	s_ashr_i32 s6, s4, 4
	s_cmp_lt_i32 s4, s28
	s_mul_hi_i32 s5, s37, s17
	s_cselect_b32 s8, s6, s16
	s_mul_i32 s6, s27, s17
	s_ashr_i32 s9, s8, 31
	s_mul_i32 s4, s37, s17
	s_lshl_b64 s[10:11], s[8:9], 2
	s_mul_hi_i32 s9, s26, s17
	s_add_u32 s44, s35, s10
	s_addc_u32 s45, s36, s11
	s_or_b32 s10, s29, 0xc0
	s_mul_i32 s8, s26, s17
	s_ashr_i32 s26, s10, 4
	s_cmp_lt_i32 s10, s28
	s_mul_hi_i32 s11, s13, s17
	s_cselect_b32 s26, s26, s16
	s_mul_i32 s10, s13, s17
	s_ashr_i32 s27, s26, 31
	s_mul_hi_i32 s13, s12, s17
	s_lshl_b64 s[26:27], s[26:27], 2
	s_mul_i32 s12, s12, s17
	s_add_u32 s20, s35, s26
	s_addc_u32 s21, s36, s27
	s_or_b32 s18, s29, 0xd0
	s_load_b32 s26, s[24:25], 0x0
	s_ashr_i32 s19, s18, 4
	s_cmp_lt_i32 s18, s28
	s_mul_i32 s18, s15, s17
	s_cselect_b32 s24, s19, s16
	s_mul_hi_i32 s19, s15, s17
	s_ashr_i32 s25, s24, 31
	s_delay_alu instid0(SALU_CYCLE_1) | instskip(NEXT) | instid1(SALU_CYCLE_1)
	s_lshl_b64 s[24:25], s[24:25], 2
	s_add_u32 s24, s35, s24
	s_addc_u32 s25, s36, s25
	s_or_b32 s42, s29, 0xe0
	s_clause 0x2
	s_load_b32 s38, s[44:45], 0x0
	s_load_b32 s37, s[20:21], 0x0
	s_load_b32 s15, s[24:25], 0x0
	s_ashr_i32 s43, s42, 4
	s_cmp_lt_i32 s42, s28
	s_mul_hi_i32 s25, s46, s17
	s_cselect_b32 s42, s43, s16
	s_mul_i32 s24, s46, s17
	s_ashr_i32 s43, s42, 31
	s_mul_hi_i32 s21, s41, s17
	s_lshl_b64 s[42:43], s[42:43], 2
	s_mul_i32 s20, s41, s17
	s_add_u32 s42, s35, s42
	s_addc_u32 s43, s36, s43
	s_or_b32 s46, s29, 0xf0
	s_waitcnt lgkmcnt(0)
	s_mul_hi_i32 s27, s26, s17
	s_ashr_i32 s47, s46, 4
	s_cmp_lt_i32 s46, s28
	s_mul_i32 s26, s26, s17
	s_cselect_b32 s46, s47, s16
	s_mul_hi_i32 s41, s40, s17
	s_ashr_i32 s47, s46, 31
	s_mul_hi_i32 s51, s15, s17
	s_lshl_b64 s[46:47], s[46:47], 2
	s_mul_i32 s50, s15, s17
	s_add_u32 s46, s35, s46
	s_addc_u32 s47, s36, s47
	s_add_u32 s15, s22, s2
	s_addc_u32 s16, s23, s3
	v_add_co_u32 v216, s15, s15, v125
	s_delay_alu instid0(VALU_DEP_1) | instskip(SKIP_2) | instid1(VALU_DEP_2)
	v_add_co_ci_u32_e64 v217, null, s16, 0, s15
	s_lshl_b64 s[2:3], s[4:5], 1
	s_lshl_b64 s[4:5], s[6:7], 1
	v_add_co_u32 v125, vcc_lo, v216, s2
	s_delay_alu instid0(VALU_DEP_2)
	v_add_co_ci_u32_e32 v126, vcc_lo, s3, v217, vcc_lo
	v_add_co_u32 v199, vcc_lo, v216, s4
	s_lshl_b64 s[6:7], s[8:9], 1
	v_add_co_ci_u32_e32 v200, vcc_lo, s5, v217, vcc_lo
	s_lshl_b64 s[8:9], s[10:11], 1
	s_lshl_b64 s[10:11], s[12:13], 1
	;; [unrolled: 1-line block ×6, first 2 shown]
	s_mul_i32 s40, s40, s17
	s_mul_hi_i32 s45, s39, s17
	s_lshl_b64 s[24:25], s[40:41], 1
	s_mul_i32 s44, s39, s17
	s_mul_hi_i32 s39, s38, s17
	s_lshl_b64 s[26:27], s[44:45], 1
	s_mul_i32 s38, s38, s17
	s_mul_hi_i32 s49, s37, s17
	s_mul_i32 s48, s37, s17
	s_lshl_b64 s[36:37], s[38:39], 1
	s_lshl_b64 s[38:39], s[48:49], 1
	s_clause 0x1
	s_load_b32 s15, s[42:43], 0x0
	s_load_b32 s16, s[46:47], 0x0
	s_lshl_b64 s[40:41], s[50:51], 1
	s_waitcnt lgkmcnt(0)
	s_mul_hi_i32 s3, s15, s17
	s_mul_i32 s2, s15, s17
	s_mul_hi_i32 s5, s16, s17
	s_lshl_b64 s[2:3], s[2:3], 1
	s_mul_i32 s4, s16, s17
	s_waitcnt vmcnt(30)
	v_wmma_f32_16x16x16_f16 v[191:198], v[89:96], v[105:112], v[129:136]
	v_add_co_u32 v89, vcc_lo, v216, s6
	v_add_co_ci_u32_e32 v90, vcc_lo, s7, v217, vcc_lo
	v_add_co_u32 v91, vcc_lo, v216, s8
	v_add_co_ci_u32_e32 v92, vcc_lo, s9, v217, vcc_lo
	;; [unrolled: 2-line block ×5, first 2 shown]
	v_add_co_u32 v205, vcc_lo, v216, s20
	s_waitcnt vmcnt(28)
	v_wmma_f32_16x16x16_f16 v[129:136], v[97:104], v[105:112], v[129:136]
	v_add_co_ci_u32_e32 v206, vcc_lo, s21, v217, vcc_lo
	v_add_co_u32 v207, vcc_lo, v216, s22
	v_add_co_ci_u32_e32 v208, vcc_lo, s23, v217, vcc_lo
	v_add_co_u32 v209, vcc_lo, v216, s24
	s_waitcnt vmcnt(26)
	v_wmma_f32_16x16x16_f16 v[191:198], v[81:88], v[113:120], v[191:198]
	s_waitcnt vmcnt(24)
	v_wmma_f32_16x16x16_f16 v[129:136], v[73:80], v[113:120], v[129:136]
	v_add_co_ci_u32_e32 v210, vcc_lo, s25, v217, vcc_lo
	v_add_co_u32 v211, vcc_lo, v216, s26
	v_add_co_ci_u32_e32 v212, vcc_lo, s27, v217, vcc_lo
	v_add_co_u32 v213, vcc_lo, v216, s36
	s_waitcnt vmcnt(22)
	v_wmma_f32_16x16x16_f16 v[191:198], v[65:72], v[143:150], v[191:198]
	s_waitcnt vmcnt(20)
	v_wmma_f32_16x16x16_f16 v[129:136], v[57:64], v[143:150], v[129:136]
	v_add_co_ci_u32_e32 v214, vcc_lo, s37, v217, vcc_lo
	v_add_co_u32 v143, vcc_lo, v216, s38
	s_waitcnt vmcnt(18)
	v_wmma_f32_16x16x16_f16 v[191:198], v[49:56], v[151:158], v[191:198]
	s_waitcnt vmcnt(16)
	v_wmma_f32_16x16x16_f16 v[129:136], v[25:32], v[151:158], v[129:136]
	v_add_co_ci_u32_e32 v144, vcc_lo, s39, v217, vcc_lo
	s_clause 0x15
	global_load_b128 v[121:124], v[125:126], off
	global_load_b128 v[125:128], v[125:126], off offset:16
	global_load_b128 v[113:116], v[199:200], off
	global_load_b128 v[117:120], v[199:200], off offset:16
	;; [unrolled: 2-line block ×11, first 2 shown]
	s_waitcnt vmcnt(36)
	v_wmma_f32_16x16x16_f16 v[191:198], v[1:8], v[159:166], v[191:198]
	s_clause 0x1
	global_load_b128 v[1:4], v[213:214], off
	global_load_b128 v[5:8], v[213:214], off offset:16
	s_waitcnt vmcnt(36)
	v_wmma_f32_16x16x16_f16 v[129:136], v[9:16], v[159:166], v[129:136]
	s_clause 0x1
	global_load_b128 v[9:12], v[143:144], off
	global_load_b128 v[13:16], v[143:144], off offset:16
	ds_load_b128 v[143:146], v215 offset:10240
	ds_load_b128 v[147:150], v215 offset:11264
	;; [unrolled: 1-line block ×4, first 2 shown]
	v_add_co_u32 v199, vcc_lo, v216, s40
	v_add_co_ci_u32_e32 v200, vcc_lo, s41, v217, vcc_lo
	v_add_co_u32 v159, vcc_lo, v216, s2
	v_add_co_ci_u32_e32 v160, vcc_lo, s3, v217, vcc_lo
	s_lshl_b64 s[2:3], s[4:5], 1
	s_delay_alu instid0(SALU_CYCLE_1)
	v_add_co_u32 v161, vcc_lo, v216, s2
	v_add_co_ci_u32_e32 v162, vcc_lo, s3, v217, vcc_lo
	s_waitcnt vmcnt(36) lgkmcnt(2)
	v_wmma_f32_16x16x16_f16 v[191:198], v[33:40], v[143:150], v[191:198]
	s_waitcnt vmcnt(34)
	v_wmma_f32_16x16x16_f16 v[129:136], v[41:48], v[143:150], v[129:136]
	s_clause 0x3
	global_load_b128 v[33:36], v[199:200], off
	global_load_b128 v[37:40], v[199:200], off offset:16
	global_load_b128 v[41:44], v[159:160], off
	global_load_b128 v[45:48], v[159:160], off offset:16
	v_and_b32_e32 v143, 0xe0, v0
	v_mbcnt_lo_u32_b32 v159, -1, 0
	s_waitcnt vmcnt(36) lgkmcnt(0)
	v_wmma_f32_16x16x16_f16 v[191:198], v[17:24], v[151:158], v[191:198]
	s_clause 0x1
	global_load_b128 v[17:20], v[161:162], off
	global_load_b128 v[21:24], v[161:162], off offset:16
	s_waitcnt vmcnt(36)
	v_wmma_f32_16x16x16_f16 v[129:136], v[167:174], v[151:158], v[129:136]
	v_add_nc_u32_e32 v160, s29, v143
	ds_load_b128 v[143:146], v215 offset:14336
	ds_load_b128 v[147:150], v215 offset:15360
	v_xor_b32_e32 v151, 16, v159
	s_waitcnt vmcnt(0) lgkmcnt(0)
	s_barrier
	v_or_b32_e32 v152, v160, v138
	buffer_gl0_inv
	v_cmp_gt_i32_e32 vcc_lo, 32, v151
	v_or_b32_e32 v153, 2, v152
	v_or_b32_e32 v154, 4, v152
	;; [unrolled: 1-line block ×5, first 2 shown]
	v_cmp_gt_i32_e64 s2, s28, v153
	v_cmp_gt_i32_e64 s3, s28, v154
	;; [unrolled: 1-line block ×3, first 2 shown]
	v_or_b32_e32 v158, 12, v152
	v_cmp_gt_i32_e64 s5, s28, v156
	v_cmp_gt_i32_e64 s6, s28, v157
	v_wmma_f32_16x16x16_f16 v[191:198], v[175:182], v[143:150], v[191:198]
	v_wmma_f32_16x16x16_f16 v[129:136], v[183:190], v[143:150], v[129:136]
	v_cndmask_b32_e32 v151, v159, v151, vcc_lo
	v_cmp_gt_i32_e32 vcc_lo, s28, v152
	v_or_b32_e32 v159, 14, v152
	v_dual_mul_f32 v149, s30, v192 :: v_dual_mul_f32 v150, s30, v191
	v_dual_mul_f32 v147, s30, v194 :: v_dual_mul_f32 v148, s30, v193
	v_mul_f32_e32 v145, s30, v196
	s_delay_alu instid0(VALU_DEP_3) | instskip(NEXT) | instid1(VALU_DEP_4)
	v_cndmask_b32_e64 v149, 0xff7fffff, v149, s2
	v_cndmask_b32_e32 v150, 0xff7fffff, v150, vcc_lo
	v_mul_f32_e32 v146, s30, v195
	v_cndmask_b32_e64 v148, 0xff7fffff, v148, s3
	v_cndmask_b32_e64 v147, 0xff7fffff, v147, s4
	v_or_b32_e32 v160, 16, v152
	v_max3_f32 v149, v150, 0xff7fffff, v149
	v_or_b32_e32 v161, 18, v152
	v_dual_mul_f32 v143, s30, v198 :: v_dual_mul_f32 v144, s30, v197
	v_cndmask_b32_e64 v146, 0xff7fffff, v146, s5
	v_cndmask_b32_e64 v145, 0xff7fffff, v145, s6
	v_max3_f32 v147, v149, v148, v147
	v_cmp_gt_i32_e64 s7, s28, v158
	v_cmp_gt_i32_e64 s8, s28, v159
	v_or_b32_e32 v162, 20, v152
	v_or_b32_e32 v163, 22, v152
	v_dual_mul_f32 v174, s30, v130 :: v_dual_mul_f32 v175, s30, v129
	v_cndmask_b32_e64 v144, 0xff7fffff, v144, s7
	v_cndmask_b32_e64 v143, 0xff7fffff, v143, s8
	v_max3_f32 v145, v147, v146, v145
	v_cmp_gt_i32_e64 s9, s28, v160
	v_cmp_gt_i32_e64 s10, s28, v161
	v_or_b32_e32 v164, 24, v152
	v_or_b32_e32 v165, 26, v152
	v_dual_mul_f32 v172, s30, v132 :: v_dual_mul_f32 v173, s30, v131
	v_cndmask_b32_e64 v146, 0xff7fffff, v175, s9
	v_cndmask_b32_e64 v147, 0xff7fffff, v174, s10
	v_max3_f32 v143, v145, v144, v143
	v_cmp_gt_i32_e64 s11, s28, v162
	v_cmp_gt_i32_e64 s12, s28, v163
	v_or_b32_e32 v166, 28, v152
	v_or_b32_e32 v167, 30, v152
	v_dual_mul_f32 v170, s30, v134 :: v_dual_mul_f32 v171, s30, v133
	v_cndmask_b32_e64 v144, 0xff7fffff, v173, s11
	v_cndmask_b32_e64 v145, 0xff7fffff, v172, s12
	v_max3_f32 v143, v143, v146, v147
	v_cmp_gt_i32_e64 s13, s28, v164
	v_cmp_gt_i32_e64 s15, s28, v165
	v_dual_mul_f32 v168, s30, v136 :: v_dual_mul_f32 v169, s30, v135
	s_delay_alu instid0(VALU_DEP_4) | instskip(NEXT) | instid1(VALU_DEP_4)
	v_max3_f32 v143, v143, v144, v145
	v_cndmask_b32_e64 v146, 0xff7fffff, v171, s13
	s_delay_alu instid0(VALU_DEP_4) | instskip(SKIP_3) | instid1(VALU_DEP_4)
	v_cndmask_b32_e64 v147, 0xff7fffff, v170, s15
	v_cmp_gt_i32_e64 s16, s28, v166
	v_cmp_gt_i32_e64 s17, s28, v167
	v_lshlrev_b32_e32 v160, 2, v151
	v_max3_f32 v143, v143, v146, v147
	s_delay_alu instid0(VALU_DEP_4) | instskip(NEXT) | instid1(VALU_DEP_4)
	v_cndmask_b32_e64 v144, 0xff7fffff, v169, s16
	v_cndmask_b32_e64 v145, 0xff7fffff, v168, s17
	s_delay_alu instid0(VALU_DEP_1) | instskip(SKIP_3) | instid1(VALU_DEP_1)
	v_max3_f32 v143, v143, v144, v145
	ds_bpermute_b32 v144, v160, v143
	s_waitcnt lgkmcnt(0)
	v_max_f32_e32 v144, v144, v144
	v_max_f32_e32 v159, v143, v144
	s_delay_alu instid0(VALU_DEP_1) | instskip(SKIP_4) | instid1(VALU_DEP_4)
	v_fma_f32 v143, s30, v191, -v159
	v_fma_f32 v144, s30, v192, -v159
	v_fma_f32 v132, s30, v132, -v159
	v_fma_f32 v145, s30, v193, -v159
	v_fma_f32 v146, s30, v194, -v159
	v_dual_mul_f32 v143, 0x3fb8aa3b, v143 :: v_dual_mul_f32 v144, 0x3fb8aa3b, v144
	s_delay_alu instid0(VALU_DEP_4) | instskip(SKIP_2) | instid1(VALU_DEP_4)
	v_mul_f32_e32 v132, 0x3fb8aa3b, v132
	v_fma_f32 v134, s30, v134, -v159
	v_mul_f32_e32 v145, 0x3fb8aa3b, v145
	v_exp_f32_e32 v143, v143
	v_exp_f32_e32 v147, v144
	v_fma_f32 v148, s30, v195, -v159
	v_mul_f32_e32 v134, 0x3fb8aa3b, v134
	v_mul_f32_e32 v146, 0x3fb8aa3b, v146
	v_exp_f32_e32 v145, v145
	v_fma_f32 v149, s30, v196, -v159
	v_mul_f32_e32 v148, 0x3fb8aa3b, v148
	v_fma_f32 v151, s30, v197, -v159
	v_exp_f32_e32 v150, v146
	v_cndmask_b32_e32 v144, 0, v143, vcc_lo
	v_cndmask_b32_e64 v143, 0, v147, s2
	v_mul_f32_e32 v149, 0x3fb8aa3b, v149
	v_exp_f32_e32 v148, v148
	v_fma_f32 v152, s30, v198, -v159
	v_add_f32_e32 v147, 0, v144
	v_cndmask_b32_e64 v146, 0, v145, s3
	v_mul_f32_e32 v151, 0x3fb8aa3b, v151
	v_exp_f32_e32 v149, v149
	v_cndmask_b32_e64 v145, 0, v150, s4
	v_add_f32_e32 v147, v147, v143
	v_fma_f32 v129, s30, v129, -v159
	v_mul_f32_e32 v150, 0x3fb8aa3b, v152
	v_exp_f32_e32 v151, v151
	v_cndmask_b32_e64 v148, 0, v148, s5
	v_add_f32_e32 v147, v147, v146
	v_fma_f32 v130, s30, v130, -v159
	v_mul_f32_e32 v129, 0x3fb8aa3b, v129
	v_exp_f32_e32 v153, v150
	v_fma_f32 v131, s30, v131, -v159
	v_add_f32_e32 v152, v147, v145
	v_cndmask_b32_e64 v147, 0, v149, s6
	v_mul_f32_e32 v130, 0x3fb8aa3b, v130
	v_exp_f32_e32 v129, v129
	v_cndmask_b32_e64 v150, 0, v151, s7
	v_add_f32_e32 v149, v152, v148
	v_mul_f32_e32 v131, 0x3fb8aa3b, v131
	v_exp_f32_e32 v130, v130
	v_fma_f32 v133, s30, v133, -v159
	v_exp_f32_e32 v132, v132
	v_add_f32_e32 v151, v149, v147
	v_cndmask_b32_e64 v149, 0, v153, s8
	v_exp_f32_e32 v131, v131
	v_cndmask_b32_e64 v152, 0, v129, s9
	v_mul_f32_e32 v133, 0x3fb8aa3b, v133
	v_add_f32_e32 v151, v151, v150
	v_cmp_gt_u32_e64 s2, 16, v142
	s_delay_alu instid0(VALU_DEP_3) | instskip(NEXT) | instid1(VALU_DEP_2)
	v_exp_f32_e32 v133, v133
	v_add_f32_e32 v129, v151, v149
	v_cndmask_b32_e64 v151, 0, v130, s10
	v_fma_f32 v130, s30, v135, -v159
	s_delay_alu instid0(TRANS32_DEP_2)
	v_cndmask_b32_e64 v154, 0, v131, s11
	v_exp_f32_e32 v131, v134
	v_add_f32_e32 v129, v129, v152
	v_cndmask_b32_e64 v153, 0, v132, s12
	v_mul_f32_e32 v130, 0x3fb8aa3b, v130
	v_fma_f32 v132, s30, v136, -v159
	v_cndmask_b32_e64 v156, 0, v133, s13
	v_add_f32_e32 v129, v129, v151
	s_delay_alu instid0(VALU_DEP_4) | instskip(NEXT) | instid1(VALU_DEP_3)
	v_exp_f32_e32 v130, v130
	v_mul_f32_e32 v132, 0x3fb8aa3b, v132
	s_delay_alu instid0(TRANS32_DEP_2) | instskip(NEXT) | instid1(VALU_DEP_3)
	v_cndmask_b32_e64 v155, 0, v131, s15
	v_add_f32_e32 v129, v129, v154
	s_delay_alu instid0(VALU_DEP_3) | instskip(NEXT) | instid1(VALU_DEP_1)
	v_exp_f32_e32 v131, v132
	v_add_f32_e32 v129, v129, v153
	s_waitcnt_depctr 0xfff
	v_cndmask_b32_e64 v158, 0, v130, s16
	v_add_f32_e32 v129, v129, v156
	v_cndmask_b32_e64 v157, 0, v131, s17
	s_delay_alu instid0(VALU_DEP_2) | instskip(NEXT) | instid1(VALU_DEP_1)
	v_add_f32_e32 v129, v129, v155
	v_add_f32_e32 v129, v129, v158
	s_delay_alu instid0(VALU_DEP_1)
	v_add_f32_e32 v129, v129, v157
	ds_bpermute_b32 v130, v160, v129
	s_and_saveexec_b32 s3, s2
	s_cbranch_execz .LBB242_12
; %bb.11:
	v_mul_u32_u24_e32 v131, 0x44, v141
	s_delay_alu instid0(VALU_DEP_1) | instskip(SKIP_1) | instid1(VALU_DEP_1)
	v_lshl_add_u32 v131, v140, 2, v131
	s_waitcnt lgkmcnt(0)
	v_dual_add_f32 v129, v129, v130 :: v_dual_add_nc_u32 v130, 0x4000, v131
	ds_store_2addr_b32 v130, v159, v129 offset1:136
.LBB242_12:
	s_or_b32 exec_lo, exec_lo, s3
	v_lshlrev_b32_e32 v129, 2, v140
	s_load_b32 s35, s[0:1], 0x94
	s_waitcnt lgkmcnt(0)
	s_barrier
	buffer_gl0_inv
	v_add_nc_u32_e32 v135, 0x4000, v129
	v_cmp_eq_u32_e32 vcc_lo, 1, v141
	v_cmp_eq_u32_e64 s3, 2, v141
	v_cmp_eq_u32_e64 s4, 3, v141
	;; [unrolled: 1-line block ×3, first 2 shown]
	ds_load_2addr_b32 v[129:130], v135 offset1:17
	ds_load_2addr_b32 v[131:132], v135 offset0:34 offset1:51
	ds_load_2addr_b32 v[133:134], v135 offset0:68 offset1:85
	;; [unrolled: 1-line block ×3, first 2 shown]
	v_cmp_eq_u32_e64 s6, 5, v141
	v_cmp_eq_u32_e64 s7, 7, v141
	s_waitcnt lgkmcnt(3)
	v_max3_f32 v136, v129, 0xff7fffff, v130
	s_waitcnt lgkmcnt(2)
	s_delay_alu instid0(VALU_DEP_1) | instskip(SKIP_1) | instid1(VALU_DEP_1)
	v_max3_f32 v136, v136, v131, v132
	s_waitcnt lgkmcnt(1)
	v_max3_f32 v136, v136, v133, v134
	s_waitcnt lgkmcnt(0)
	s_delay_alu instid0(VALU_DEP_1) | instskip(NEXT) | instid1(VALU_DEP_1)
	v_max3_f32 v136, v136, v159, v160
	v_sub_f32_e32 v142, v130, v136
	ds_load_2addr_b32 v[161:162], v135 offset0:136 offset1:153
	v_sub_f32_e32 v164, v132, v136
	v_mul_f32_e32 v142, 0x3fb8aa3b, v142
	s_delay_alu instid0(VALU_DEP_2) | instskip(NEXT) | instid1(VALU_DEP_2)
	v_mul_f32_e32 v164, 0x3fb8aa3b, v164
	v_exp_f32_e32 v166, v142
	v_sub_f32_e32 v129, v129, v136
	s_delay_alu instid0(VALU_DEP_2) | instskip(NEXT) | instid1(VALU_DEP_1)
	v_exp_f32_e32 v164, v164
	v_mul_f32_e32 v163, 0x3fb8aa3b, v129
	ds_load_2addr_b32 v[129:130], v135 offset0:170 offset1:187
	v_exp_f32_e32 v163, v163
	s_waitcnt lgkmcnt(1)
	s_waitcnt_depctr 0xfff
	v_fma_f32 v142, v163, v161, 0
	v_sub_f32_e32 v161, v134, v136
	s_delay_alu instid0(VALU_DEP_2) | instskip(NEXT) | instid1(VALU_DEP_1)
	v_dual_fmac_f32 v142, v166, v162 :: v_dual_sub_f32 v131, v131, v136
	v_mul_f32_e32 v165, 0x3fb8aa3b, v131
	ds_load_2addr_b32 v[131:132], v135 offset0:204 offset1:221
	v_exp_f32_e32 v165, v165
	s_waitcnt lgkmcnt(1)
	s_waitcnt_depctr 0xfff
	v_fmac_f32_e32 v142, v165, v129
	v_sub_f32_e32 v133, v133, v136
	v_sub_f32_e32 v129, v160, v136
	s_delay_alu instid0(VALU_DEP_2) | instskip(NEXT) | instid1(VALU_DEP_2)
	v_dual_fmac_f32 v142, v164, v130 :: v_dual_mul_f32 v167, 0x3fb8aa3b, v133
	v_mul_f32_e32 v129, 0x3fb8aa3b, v129
	ds_load_2addr_b32 v[133:134], v135 offset0:238 offset1:255
	v_cndmask_b32_e32 v130, v163, v166, vcc_lo
	s_waitcnt lgkmcnt(0)
	s_barrier
	v_exp_f32_e32 v162, v129
	v_sub_f32_e32 v135, v159, v136
	v_mul_f32_e32 v159, 0x3fb8aa3b, v161
	v_exp_f32_e32 v161, v167
	buffer_gl0_inv
	v_exp_f32_e32 v159, v159
	v_fmac_f32_e32 v142, v161, v131
	s_waitcnt_depctr 0xfff
	v_dual_mul_f32 v135, 0x3fb8aa3b, v135 :: v_dual_fmac_f32 v142, v159, v132
	s_delay_alu instid0(VALU_DEP_1) | instskip(SKIP_2) | instid1(VALU_DEP_1)
	v_exp_f32_e32 v160, v135
	s_waitcnt_depctr 0xfff
	v_dual_fmac_f32 v142, v160, v133 :: v_dual_lshlrev_b32 v133, 6, v140
	v_fmac_f32_e32 v142, v162, v134
	s_delay_alu instid0(VALU_DEP_2) | instskip(NEXT) | instid1(VALU_DEP_2)
	v_lshl_or_b32 v135, v141, 11, v133
	v_add_f32_e32 v134, 0x358637bd, v142
	s_delay_alu instid0(VALU_DEP_1) | instskip(SKIP_1) | instid1(VALU_DEP_2)
	v_div_scale_f32 v167, null, v134, v134, 1.0
	v_div_scale_f32 v163, vcc_lo, 1.0, v134, 1.0
	v_rcp_f32_e32 v168, v167
	s_waitcnt_depctr 0xfff
	v_fma_f32 v129, -v167, v168, 1.0
	s_delay_alu instid0(VALU_DEP_1) | instskip(SKIP_2) | instid1(VALU_DEP_2)
	v_fmac_f32_e32 v168, v129, v168
	v_cndmask_b32_e64 v129, v130, v165, s3
	v_cmp_eq_u32_e64 s3, 6, v141
	v_cndmask_b32_e64 v130, v129, v164, s4
	v_lshlrev_b32_e32 v129, 2, v138
	v_mul_f32_e32 v165, v163, v168
	s_delay_alu instid0(VALU_DEP_3) | instskip(NEXT) | instid1(VALU_DEP_3)
	v_cndmask_b32_e64 v161, v130, v161, s5
	v_or_b32_e32 v130, 1, v129
	s_delay_alu instid0(VALU_DEP_3)
	v_fma_f32 v131, -v167, v165, v163
	v_or_b32_e32 v132, 2, v129
	v_cmp_eq_u32_e64 s4, 1, v129
	v_cndmask_b32_e64 v141, v161, v159, s6
	v_cmp_eq_u32_e64 s9, 1, v130
	v_fmac_f32_e32 v165, v131, v168
	v_or_b32_e32 v131, 3, v129
	v_cmp_eq_u32_e64 s10, 1, v132
	v_cndmask_b32_e64 v141, v141, v160, s3
	v_cmp_eq_u32_e64 s5, 2, v129
	v_fma_f32 v159, -v167, v165, v163
	v_cmp_eq_u32_e64 s11, 1, v131
	v_cmp_eq_u32_e64 s16, 2, v131
	v_cndmask_b32_e64 v141, v141, v162, s7
	v_cmp_eq_u32_e64 s12, 2, v130
	v_div_fmas_f32 v159, v159, v168, v165
	v_cmp_eq_u32_e64 s18, 3, v131
	v_cmp_eq_u32_e32 vcc_lo, 3, v129
	v_cmp_eq_u32_e64 s13, 3, v130
	v_cmp_eq_u32_e64 s15, 2, v132
	v_div_fixup_f32 v159, v159, v134, 1.0
	v_lshl_or_b32 v134, v138, 4, v135
	v_cmp_eq_u32_e64 s22, 4, v131
	v_cmp_eq_u32_e64 s3, 4, v129
	;; [unrolled: 1-line block ×3, first 2 shown]
	v_mul_f32_e32 v141, v141, v159
	v_cmp_eq_u32_e64 s19, 4, v130
	v_cmp_eq_u32_e64 s24, 5, v131
	;; [unrolled: 1-line block ×4, first 2 shown]
	v_fma_mixlo_f16 v159, v141, v144, 0
	v_fma_mixlo_f16 v160, v141, v146, 0
	v_fma_mixlo_f16 v161, v141, v148, 0
	v_fma_mixlo_f16 v162, v141, v150, 0
	v_fma_mixlo_f16 v163, v141, v152, 0
	v_fma_mixlo_f16 v164, v141, v154, 0
	v_fma_mixlo_f16 v165, v141, v156, 0
	v_fma_mixlo_f16 v166, v141, v158, 0
	v_fma_mixhi_f16 v159, v141, v143, 0
	v_fma_mixhi_f16 v160, v141, v145, 0
	;; [unrolled: 1-line block ×8, first 2 shown]
	ds_store_b128 v134, v[159:162]
	ds_store_b128 v134, v[163:166] offset:1024
	s_waitcnt lgkmcnt(0)
	s_barrier
	buffer_gl0_inv
	ds_load_b128 v[143:146], v135
	ds_load_b128 v[147:150], v135 offset:16
	ds_load_b128 v[151:154], v135 offset:1024
	;; [unrolled: 1-line block ×3, first 2 shown]
	v_cmp_eq_u32_e64 s21, 4, v132
	v_cmp_eq_u32_e64 s27, 6, v131
	;; [unrolled: 1-line block ×10, first 2 shown]
	s_waitcnt lgkmcnt(3)
	v_lshrrev_b32_e32 v141, 16, v143
	s_waitcnt lgkmcnt(2)
	v_lshrrev_b32_e32 v162, 16, v147
	v_lshrrev_b32_e32 v159, 16, v144
	;; [unrolled: 1-line block ×3, first 2 shown]
	s_waitcnt lgkmcnt(1)
	v_lshrrev_b32_e32 v166, 16, v151
	v_cndmask_b32_e64 v174, v143, v141, s4
	v_cndmask_b32_e64 v176, v143, v141, s9
	v_cndmask_b32_e64 v178, v143, v141, s10
	v_cndmask_b32_e64 v141, v143, v141, s11
	v_cndmask_b32_e64 v143, v147, v162, s11
	s_waitcnt lgkmcnt(0)
	v_lshrrev_b32_e32 v170, 16, v155
	v_cndmask_b32_e64 v175, v147, v162, s4
	v_cndmask_b32_e64 v177, v147, v162, s9
	;; [unrolled: 1-line block ×19, first 2 shown]
	v_lshrrev_b32_e32 v160, 16, v145
	v_lshrrev_b32_e32 v164, 16, v149
	;; [unrolled: 1-line block ×4, first 2 shown]
	v_cndmask_b32_e64 v176, v178, v144, s15
	v_cndmask_b32_e64 v177, v179, v148, s15
	;; [unrolled: 1-line block ×8, first 2 shown]
	v_cndmask_b32_e32 v155, v166, v159, vcc_lo
	v_cndmask_b32_e32 v166, v170, v163, vcc_lo
	v_cndmask_b32_e64 v170, v174, v159, s13
	v_cndmask_b32_e64 v174, v175, v163, s13
	;; [unrolled: 1-line block ×6, first 2 shown]
	v_cndmask_b32_e32 v144, v144, v167, vcc_lo
	v_cndmask_b32_e32 v147, v147, v171, vcc_lo
	v_cndmask_b32_e64 v148, v148, v167, s13
	v_cndmask_b32_e64 v155, v155, v145, s3
	;; [unrolled: 1-line block ×7, first 2 shown]
	v_lshrrev_b32_e32 v161, 16, v146
	v_lshrrev_b32_e32 v165, 16, v150
	;; [unrolled: 1-line block ×4, first 2 shown]
	v_cndmask_b32_e64 v170, v175, v145, s21
	v_cndmask_b32_e64 v174, v176, v149, s21
	;; [unrolled: 1-line block ×22, first 2 shown]
	v_lshrrev_b32_e32 v169, 16, v154
	v_cndmask_b32_e64 v160, v163, v146, s26
	v_cndmask_b32_e64 v163, v166, v150, s26
	;; [unrolled: 1-line block ×9, first 2 shown]
	v_perm_b32 v146, v143, v141, 0x5040100
	v_cndmask_b32_e64 v141, v183, v156, s15
	v_cndmask_b32_e64 v143, v181, v156, s12
	;; [unrolled: 1-line block ×4, first 2 shown]
	v_perm_b32 v144, v159, v149, 0x5040100
	v_cndmask_b32_e64 v149, v162, v167, s17
	v_cndmask_b32_e64 v151, v151, v167, s18
	;; [unrolled: 1-line block ×15, first 2 shown]
	v_lshrrev_b32_e32 v173, 16, v158
	v_cndmask_b32_e64 v149, v149, v154, s26
	v_cndmask_b32_e64 v151, v151, v154, s27
	;; [unrolled: 1-line block ×13, first 2 shown]
	v_perm_b32 v145, v160, v155, 0x5040100
	v_perm_b32 v143, v148, v147, 0x5040100
	;; [unrolled: 1-line block ×6, first 2 shown]
	s_mul_i32 s7, s33, 13
	s_mov_b32 s3, exec_lo
	ds_store_b128 v134, v[143:146]
	ds_store_b128 v134, v[147:150] offset:1024
	v_cmpx_gt_u32_e32 13, v0
	s_cbranch_execz .LBB242_14
; %bb.13:
	s_mul_i32 s4, s7, s34
	s_load_b128 s[8:11], s[0:1], 0x58
	v_add3_u32 v143, s4, s31, v140
	s_delay_alu instid0(VALU_DEP_1) | instskip(NEXT) | instid1(VALU_DEP_1)
	v_mad_u64_u32 v[140:141], null, v143, s35, s[14:15]
	v_ashrrev_i32_e32 v141, 31, v140
	s_delay_alu instid0(VALU_DEP_1) | instskip(SKIP_1) | instid1(VALU_DEP_1)
	v_lshlrev_b64 v[140:141], 2, v[140:141]
	s_waitcnt lgkmcnt(0)
	v_add_co_u32 v143, vcc_lo, s10, v140
	s_delay_alu instid0(VALU_DEP_2)
	v_add_co_ci_u32_e32 v144, vcc_lo, s11, v141, vcc_lo
	v_add_co_u32 v140, vcc_lo, s8, v140
	v_add_co_ci_u32_e32 v141, vcc_lo, s9, v141, vcc_lo
	global_store_b32 v[143:144], v136, off
	global_store_b32 v[140:141], v142, off
.LBB242_14:
	s_or_b32 exec_lo, exec_lo, s3
	s_waitcnt lgkmcnt(0)
	s_waitcnt_vscnt null, 0x0
	s_barrier
	buffer_gl0_inv
	ds_load_b128 v[148:151], v133
	ds_load_b128 v[152:155], v133 offset:16
	ds_load_b128 v[160:163], v133 offset:1040
	;; [unrolled: 1-line block ×5, first 2 shown]
	v_cmp_eq_u32_e32 vcc_lo, 1, v132
	v_mov_b32_e32 v140, 0
	ds_load_b128 v[176:179], v133 offset:3088
	ds_load_b128 v[172:175], v133 offset:3072
	;; [unrolled: 1-line block ×4, first 2 shown]
	v_cmp_eq_u32_e64 s3, 1, v129
	v_cmp_eq_u32_e64 s4, 1, v131
	;; [unrolled: 1-line block ×3, first 2 shown]
	v_mov_b32_e32 v141, v140
	v_mov_b32_e32 v142, v140
	;; [unrolled: 1-line block ×7, first 2 shown]
	v_cmp_eq_u32_e64 s6, 2, v129
	s_waitcnt lgkmcnt(8)
	s_delay_alu instid0(VALU_DEP_2)
	v_wmma_f32_16x16x16_f16 v[140:147], v[121:128], v[148:155], v[140:147]
	ds_load_b128 v[125:128], v133 offset:5136
	ds_load_b128 v[121:124], v133 offset:5120
	s_waitcnt lgkmcnt(8)
	v_wmma_f32_16x16x16_f16 v[140:147], v[113:120], v[156:163], v[140:147]
	ds_load_b128 v[117:120], v133 offset:6160
	ds_load_b128 v[113:116], v133 offset:6144
	s_waitcnt lgkmcnt(8)
	;; [unrolled: 4-line block ×11, first 2 shown]
	s_barrier
	buffer_gl0_inv
	v_wmma_f32_16x16x16_f16 v[140:147], v[1:8], v[73:80], v[140:147]
	s_delay_alu instid0(VALU_DEP_1) | instskip(NEXT) | instid1(VALU_DEP_1)
	v_wmma_f32_16x16x16_f16 v[140:147], v[9:16], v[65:72], v[140:147]
	v_wmma_f32_16x16x16_f16 v[140:147], v[33:40], v[57:64], v[140:147]
	s_delay_alu instid0(VALU_DEP_1) | instskip(NEXT) | instid1(VALU_DEP_1)
	v_wmma_f32_16x16x16_f16 v[140:147], v[41:48], v[49:56], v[140:147]
	v_wmma_f32_16x16x16_f16 v[140:147], v[17:24], v[25:32], v[140:147]
	s_delay_alu instid0(VALU_DEP_1) | instskip(NEXT) | instid1(VALU_DEP_2)
	v_cvt_f16_f32_e64 v1, v140
	v_cvt_f16_f32_e64 v2, v141
	s_delay_alu instid0(VALU_DEP_3) | instskip(NEXT) | instid1(VALU_DEP_4)
	v_cvt_f16_f32_e64 v3, v142
	v_cvt_f16_f32_e64 v4, v143
	;; [unrolled: 1-line block ×6, first 2 shown]
	v_pack_b32_f16 v1, v1, v2
	v_pack_b32_f16 v2, v3, v4
	;; [unrolled: 1-line block ×3, first 2 shown]
	s_delay_alu instid0(VALU_DEP_4)
	v_pack_b32_f16 v4, v7, v8
	ds_store_b128 v134, v[1:4]
	s_waitcnt lgkmcnt(0)
	s_barrier
	buffer_gl0_inv
	ds_load_b128 v[1:4], v135
	ds_load_b128 v[5:8], v135 offset:16
	s_waitcnt lgkmcnt(1)
	v_lshrrev_b32_e32 v9, 16, v1
	s_waitcnt lgkmcnt(0)
	v_lshrrev_b32_e32 v13, 16, v5
	v_lshrrev_b32_e32 v10, 16, v2
	;; [unrolled: 1-line block ×4, first 2 shown]
	v_cndmask_b32_e64 v17, v1, v9, s3
	v_cndmask_b32_e64 v18, v5, v13, s3
	;; [unrolled: 1-line block ×3, first 2 shown]
	v_cmp_eq_u32_e64 s3, 2, v130
	v_cndmask_b32_e64 v20, v5, v13, s5
	v_cndmask_b32_e32 v21, v1, v9, vcc_lo
	v_cndmask_b32_e32 v22, v5, v13, vcc_lo
	v_cndmask_b32_e64 v1, v1, v9, s4
	v_cndmask_b32_e64 v5, v5, v13, s4
	v_cmp_eq_u32_e32 vcc_lo, 2, v132
	v_cmp_eq_u32_e64 s4, 2, v131
	v_cndmask_b32_e64 v9, v17, v2, s6
	v_cndmask_b32_e64 v13, v18, v6, s6
	v_cndmask_b32_e64 v17, v19, v2, s3
	v_cndmask_b32_e64 v18, v20, v6, s3
	v_cndmask_b32_e32 v19, v21, v2, vcc_lo
	v_cmp_eq_u32_e64 s3, 3, v132
	v_cndmask_b32_e32 v20, v22, v6, vcc_lo
	v_cndmask_b32_e64 v1, v1, v2, s4
	v_cmp_eq_u32_e32 vcc_lo, 3, v131
	v_cmp_eq_u32_e64 s5, 3, v129
	v_cndmask_b32_e64 v2, v5, v6, s4
	v_cmp_eq_u32_e64 s4, 3, v130
	v_cmp_eq_u32_e64 s6, 4, v129
	v_cndmask_b32_e32 v1, v1, v10, vcc_lo
	v_cndmask_b32_e64 v5, v9, v10, s5
	v_cndmask_b32_e64 v6, v13, v14, s5
	;; [unrolled: 1-line block ×3, first 2 shown]
	v_cmp_eq_u32_e64 s5, 4, v130
	v_cndmask_b32_e64 v13, v18, v14, s4
	v_cndmask_b32_e64 v17, v19, v10, s3
	;; [unrolled: 1-line block ×3, first 2 shown]
	v_cndmask_b32_e32 v2, v2, v14, vcc_lo
	v_cmp_eq_u32_e32 vcc_lo, 4, v132
	v_cmp_eq_u32_e64 s4, 4, v131
	v_lshrrev_b32_e32 v15, 16, v7
	v_cndmask_b32_e64 v5, v5, v3, s6
	v_cndmask_b32_e64 v6, v6, v7, s6
	v_cndmask_b32_e32 v14, v18, v7, vcc_lo
	v_cndmask_b32_e64 v9, v9, v3, s5
	v_cndmask_b32_e64 v10, v13, v7, s5
	v_cndmask_b32_e32 v13, v17, v3, vcc_lo
	v_cmp_eq_u32_e64 s3, 5, v132
	v_cndmask_b32_e64 v1, v1, v3, s4
	v_cmp_eq_u32_e32 vcc_lo, 5, v131
	v_cmp_eq_u32_e64 s5, 5, v129
	v_cndmask_b32_e64 v2, v2, v7, s4
	v_cmp_eq_u32_e64 s4, 5, v130
	v_cmp_eq_u32_e64 s6, 6, v129
	v_lshrrev_b32_e32 v12, 16, v4
	v_cndmask_b32_e64 v3, v5, v11, s5
	v_cndmask_b32_e64 v5, v6, v15, s5
	;; [unrolled: 1-line block ×3, first 2 shown]
	v_cmp_eq_u32_e64 s5, 6, v130
	v_cndmask_b32_e64 v7, v10, v15, s4
	v_cndmask_b32_e64 v9, v13, v11, s3
	;; [unrolled: 1-line block ×3, first 2 shown]
	v_cndmask_b32_e32 v1, v1, v11, vcc_lo
	v_cndmask_b32_e32 v2, v2, v15, vcc_lo
	v_cmp_eq_u32_e32 vcc_lo, 6, v132
	v_cmp_eq_u32_e64 s3, 6, v131
	v_lshrrev_b32_e32 v16, 16, v8
	v_cndmask_b32_e64 v3, v3, v4, s6
	v_cndmask_b32_e64 v5, v5, v8, s6
	v_cndmask_b32_e32 v9, v9, v4, vcc_lo
	v_cndmask_b32_e64 v6, v6, v4, s5
	v_cndmask_b32_e64 v7, v7, v8, s5
	v_cmp_eq_u32_e64 s4, 7, v132
	v_cndmask_b32_e32 v10, v10, v8, vcc_lo
	v_cndmask_b32_e64 v1, v1, v4, s3
	v_cmp_eq_u32_e32 vcc_lo, 7, v131
	v_cndmask_b32_e64 v2, v2, v8, s3
	v_cmp_eq_u32_e64 s3, 7, v129
	v_cmp_eq_u32_e64 s5, 7, v130
	v_cndmask_b32_e32 v1, v1, v12, vcc_lo
	s_delay_alu instid0(VALU_DEP_4) | instskip(NEXT) | instid1(VALU_DEP_4)
	v_cndmask_b32_e32 v2, v2, v16, vcc_lo
	v_cndmask_b32_e64 v8, v3, v12, s3
	s_delay_alu instid0(VALU_DEP_4)
	v_cndmask_b32_e64 v6, v6, v12, s5
	v_cndmask_b32_e64 v3, v9, v12, s4
	;; [unrolled: 1-line block ×5, first 2 shown]
	v_perm_b32 v4, v2, v1, 0x5040100
	s_mov_b32 s3, exec_lo
	v_perm_b32 v3, v9, v3, 0x5040100
	v_perm_b32 v2, v7, v6, 0x5040100
	v_perm_b32 v1, v5, v8, 0x5040100
	ds_store_b128 v134, v[1:4]
	s_waitcnt lgkmcnt(0)
	s_barrier
	buffer_gl0_inv
	v_cmpx_gt_u32_e32 32, v0
	s_cbranch_execz .LBB242_2
; %bb.15:
	s_load_b64 s[4:5], s[0:1], 0x68
	v_lshlrev_b32_e32 v0, 10, v0
	v_lshlrev_b32_e32 v1, 4, v139
	s_lshl_b32 s0, s35, 7
	v_add_nc_u32_e32 v18, s31, v138
	s_mul_i32 s1, s0, s34
	s_delay_alu instid0(VALU_DEP_2) | instskip(SKIP_1) | instid1(VALU_DEP_2)
	v_and_or_b32 v0, 0x3800, v0, v1
	s_mul_i32 s6, s1, s7
	v_mul_lo_u32 v1, v18, s0
	s_ashr_i32 s7, s6, 31
	v_add_nc_u32_e32 v2, 2, v18
	v_lshl_or_b32 v19, v138, 6, v0
	s_lshl_b64 s[6:7], s[6:7], 1
	v_add_nc_u32_e32 v8, 4, v18
	v_add_nc_u32_e32 v15, 6, v18
	v_mul_lo_u32 v7, v2, s0
	ds_load_b128 v[3:6], v19
	v_ashrrev_i32_e32 v2, 31, v1
	v_mul_lo_u32 v11, v8, s0
	s_waitcnt lgkmcnt(0)
	s_add_u32 s1, s4, s6
	s_addc_u32 s3, s5, s7
	s_lshl_b32 s4, s14, 7
	v_lshlrev_b64 v[9:10], 1, v[1:2]
	s_ashr_i32 s5, s4, 31
	v_ashrrev_i32_e32 v8, 31, v7
	s_lshl_b64 s[4:5], s[4:5], 1
	v_ashrrev_i32_e32 v12, 31, v11
	s_add_u32 s1, s1, s4
	s_addc_u32 s3, s3, s5
	v_add_co_u32 v1, s1, s1, v137
	s_delay_alu instid0(VALU_DEP_1) | instskip(SKIP_1) | instid1(VALU_DEP_3)
	v_add_co_ci_u32_e64 v2, null, s3, 0, s1
	v_mul_lo_u32 v15, v15, s0
	v_add_co_u32 v13, vcc_lo, v1, v9
	s_delay_alu instid0(VALU_DEP_3)
	v_add_co_ci_u32_e32 v14, vcc_lo, v2, v10, vcc_lo
	v_lshlrev_b64 v[16:17], 1, v[7:8]
	ds_load_b128 v[7:10], v19 offset:128
	global_store_b128 v[13:14], v[3:6], off
	v_add_nc_u32_e32 v5, 8, v18
	v_lshlrev_b64 v[3:4], 1, v[11:12]
	v_add_co_u32 v23, vcc_lo, v1, v16
	v_ashrrev_i32_e32 v16, 31, v15
	s_delay_alu instid0(VALU_DEP_4) | instskip(SKIP_3) | instid1(VALU_DEP_3)
	v_mul_lo_u32 v25, v5, s0
	v_add_nc_u32_e32 v5, 10, v18
	v_add_co_ci_u32_e32 v24, vcc_lo, v2, v17, vcc_lo
	v_add_co_u32 v27, vcc_lo, v1, v3
	v_mul_lo_u32 v29, v5, s0
	v_add_co_ci_u32_e32 v28, vcc_lo, v2, v4, vcc_lo
	v_lshlrev_b64 v[31:32], 1, v[15:16]
	ds_load_b128 v[3:6], v19 offset:256
	ds_load_b128 v[11:14], v19 offset:384
	;; [unrolled: 1-line block ×4, first 2 shown]
	v_ashrrev_i32_e32 v26, 31, v25
	v_ashrrev_i32_e32 v30, 31, v29
	v_add_co_u32 v31, vcc_lo, v1, v31
	s_delay_alu instid0(VALU_DEP_3) | instskip(SKIP_1) | instid1(VALU_DEP_4)
	v_lshlrev_b64 v[25:26], 1, v[25:26]
	v_add_co_ci_u32_e32 v32, vcc_lo, v2, v32, vcc_lo
	v_lshlrev_b64 v[29:30], 1, v[29:30]
	s_delay_alu instid0(VALU_DEP_3) | instskip(NEXT) | instid1(VALU_DEP_4)
	v_add_co_u32 v25, vcc_lo, v1, v25
	v_add_co_ci_u32_e32 v26, vcc_lo, v2, v26, vcc_lo
	s_delay_alu instid0(VALU_DEP_3) | instskip(NEXT) | instid1(VALU_DEP_4)
	v_add_co_u32 v29, vcc_lo, v1, v29
	v_add_co_ci_u32_e32 v30, vcc_lo, v2, v30, vcc_lo
	s_waitcnt lgkmcnt(4)
	global_store_b128 v[23:24], v[7:10], off
	s_waitcnt lgkmcnt(3)
	global_store_b128 v[27:28], v[3:6], off
	;; [unrolled: 2-line block ×5, first 2 shown]
	s_and_b32 exec_lo, exec_lo, s2
	s_cbranch_execz .LBB242_2
; %bb.16:
	ds_load_b128 v[3:6], v0 offset:768
	s_add_i32 s1, s31, 12
	s_delay_alu instid0(SALU_CYCLE_1) | instskip(NEXT) | instid1(SALU_CYCLE_1)
	s_mul_i32 s0, s1, s0
	s_ashr_i32 s1, s0, 31
	s_delay_alu instid0(SALU_CYCLE_1) | instskip(NEXT) | instid1(SALU_CYCLE_1)
	s_lshl_b64 s[0:1], s[0:1], 1
	v_add_co_u32 v0, vcc_lo, v1, s0
	v_add_co_ci_u32_e32 v1, vcc_lo, s1, v2, vcc_lo
	s_waitcnt lgkmcnt(0)
	global_store_b128 v[0:1], v[3:6], off
	s_nop 0
	s_sendmsg sendmsg(MSG_DEALLOC_VGPRS)
	s_endpgm
	.section	.rodata,"a",@progbits
	.p2align	6, 0x0
	.amdhsa_kernel _Z39paged_attention_ll4mi_QKV_mfma16_kernelIDF16_DF16_LN4vllm18Fp8KVCacheDataTypeE0EhLi16ELi128ELi256ELb0ELi13EL8MFMAType0EEvPKT_PKT0_S8_ifPKiSA_SA_iPKfiiiPfSD_PS3_PT2_iSC_SC_
		.amdhsa_group_segment_fixed_size 17472
		.amdhsa_private_segment_fixed_size 0
		.amdhsa_kernarg_size 400
		.amdhsa_user_sgpr_count 13
		.amdhsa_user_sgpr_dispatch_ptr 0
		.amdhsa_user_sgpr_queue_ptr 0
		.amdhsa_user_sgpr_kernarg_segment_ptr 1
		.amdhsa_user_sgpr_dispatch_id 0
		.amdhsa_user_sgpr_private_segment_size 0
		.amdhsa_wavefront_size32 1
		.amdhsa_uses_dynamic_stack 0
		.amdhsa_enable_private_segment 0
		.amdhsa_system_sgpr_workgroup_id_x 1
		.amdhsa_system_sgpr_workgroup_id_y 1
		.amdhsa_system_sgpr_workgroup_id_z 1
		.amdhsa_system_sgpr_workgroup_info 0
		.amdhsa_system_vgpr_workitem_id 0
		.amdhsa_next_free_vgpr 218
		.amdhsa_next_free_sgpr 52
		.amdhsa_reserve_vcc 1
		.amdhsa_float_round_mode_32 0
		.amdhsa_float_round_mode_16_64 0
		.amdhsa_float_denorm_mode_32 3
		.amdhsa_float_denorm_mode_16_64 3
		.amdhsa_dx10_clamp 1
		.amdhsa_ieee_mode 1
		.amdhsa_fp16_overflow 0
		.amdhsa_workgroup_processor_mode 1
		.amdhsa_memory_ordered 1
		.amdhsa_forward_progress 0
		.amdhsa_shared_vgpr_count 0
		.amdhsa_exception_fp_ieee_invalid_op 0
		.amdhsa_exception_fp_denorm_src 0
		.amdhsa_exception_fp_ieee_div_zero 0
		.amdhsa_exception_fp_ieee_overflow 0
		.amdhsa_exception_fp_ieee_underflow 0
		.amdhsa_exception_fp_ieee_inexact 0
		.amdhsa_exception_int_div_zero 0
	.end_amdhsa_kernel
	.section	.text._Z39paged_attention_ll4mi_QKV_mfma16_kernelIDF16_DF16_LN4vllm18Fp8KVCacheDataTypeE0EhLi16ELi128ELi256ELb0ELi13EL8MFMAType0EEvPKT_PKT0_S8_ifPKiSA_SA_iPKfiiiPfSD_PS3_PT2_iSC_SC_,"axG",@progbits,_Z39paged_attention_ll4mi_QKV_mfma16_kernelIDF16_DF16_LN4vllm18Fp8KVCacheDataTypeE0EhLi16ELi128ELi256ELb0ELi13EL8MFMAType0EEvPKT_PKT0_S8_ifPKiSA_SA_iPKfiiiPfSD_PS3_PT2_iSC_SC_,comdat
.Lfunc_end242:
	.size	_Z39paged_attention_ll4mi_QKV_mfma16_kernelIDF16_DF16_LN4vllm18Fp8KVCacheDataTypeE0EhLi16ELi128ELi256ELb0ELi13EL8MFMAType0EEvPKT_PKT0_S8_ifPKiSA_SA_iPKfiiiPfSD_PS3_PT2_iSC_SC_, .Lfunc_end242-_Z39paged_attention_ll4mi_QKV_mfma16_kernelIDF16_DF16_LN4vllm18Fp8KVCacheDataTypeE0EhLi16ELi128ELi256ELb0ELi13EL8MFMAType0EEvPKT_PKT0_S8_ifPKiSA_SA_iPKfiiiPfSD_PS3_PT2_iSC_SC_
                                        ; -- End function
	.section	.AMDGPU.csdata,"",@progbits
; Kernel info:
; codeLenInByte = 8268
; NumSgprs: 54
; NumVgprs: 218
; ScratchSize: 0
; MemoryBound: 0
; FloatMode: 240
; IeeeMode: 1
; LDSByteSize: 17472 bytes/workgroup (compile time only)
; SGPRBlocks: 6
; VGPRBlocks: 27
; NumSGPRsForWavesPerEU: 54
; NumVGPRsForWavesPerEU: 218
; Occupancy: 6
; WaveLimiterHint : 1
; COMPUTE_PGM_RSRC2:SCRATCH_EN: 0
; COMPUTE_PGM_RSRC2:USER_SGPR: 13
; COMPUTE_PGM_RSRC2:TRAP_HANDLER: 0
; COMPUTE_PGM_RSRC2:TGID_X_EN: 1
; COMPUTE_PGM_RSRC2:TGID_Y_EN: 1
; COMPUTE_PGM_RSRC2:TGID_Z_EN: 1
; COMPUTE_PGM_RSRC2:TIDIG_COMP_CNT: 0
	.section	.text._Z39paged_attention_ll4mi_QKV_mfma16_kernelIDF16_DF16_LN4vllm18Fp8KVCacheDataTypeE0EhLi16ELi128ELi256ELb0ELi14EL8MFMAType0EEvPKT_PKT0_S8_ifPKiSA_SA_iPKfiiiPfSD_PS3_PT2_iSC_SC_,"axG",@progbits,_Z39paged_attention_ll4mi_QKV_mfma16_kernelIDF16_DF16_LN4vllm18Fp8KVCacheDataTypeE0EhLi16ELi128ELi256ELb0ELi14EL8MFMAType0EEvPKT_PKT0_S8_ifPKiSA_SA_iPKfiiiPfSD_PS3_PT2_iSC_SC_,comdat
	.protected	_Z39paged_attention_ll4mi_QKV_mfma16_kernelIDF16_DF16_LN4vllm18Fp8KVCacheDataTypeE0EhLi16ELi128ELi256ELb0ELi14EL8MFMAType0EEvPKT_PKT0_S8_ifPKiSA_SA_iPKfiiiPfSD_PS3_PT2_iSC_SC_ ; -- Begin function _Z39paged_attention_ll4mi_QKV_mfma16_kernelIDF16_DF16_LN4vllm18Fp8KVCacheDataTypeE0EhLi16ELi128ELi256ELb0ELi14EL8MFMAType0EEvPKT_PKT0_S8_ifPKiSA_SA_iPKfiiiPfSD_PS3_PT2_iSC_SC_
	.globl	_Z39paged_attention_ll4mi_QKV_mfma16_kernelIDF16_DF16_LN4vllm18Fp8KVCacheDataTypeE0EhLi16ELi128ELi256ELb0ELi14EL8MFMAType0EEvPKT_PKT0_S8_ifPKiSA_SA_iPKfiiiPfSD_PS3_PT2_iSC_SC_
	.p2align	8
	.type	_Z39paged_attention_ll4mi_QKV_mfma16_kernelIDF16_DF16_LN4vllm18Fp8KVCacheDataTypeE0EhLi16ELi128ELi256ELb0ELi14EL8MFMAType0EEvPKT_PKT0_S8_ifPKiSA_SA_iPKfiiiPfSD_PS3_PT2_iSC_SC_,@function
_Z39paged_attention_ll4mi_QKV_mfma16_kernelIDF16_DF16_LN4vllm18Fp8KVCacheDataTypeE0EhLi16ELi128ELi256ELb0ELi14EL8MFMAType0EEvPKT_PKT0_S8_ifPKiSA_SA_iPKfiiiPfSD_PS3_PT2_iSC_SC_: ; @_Z39paged_attention_ll4mi_QKV_mfma16_kernelIDF16_DF16_LN4vllm18Fp8KVCacheDataTypeE0EhLi16ELi128ELi256ELb0ELi14EL8MFMAType0EEvPKT_PKT0_S8_ifPKiSA_SA_iPKfiiiPfSD_PS3_PT2_iSC_SC_
; %bb.0:
	s_load_b64 s[4:5], s[0:1], 0x30
	s_mov_b32 s30, s13
	s_waitcnt lgkmcnt(0)
	s_cmp_lg_u64 s[4:5], 0
	s_cselect_b32 s8, -1, 0
	s_ashr_i32 s31, s13, 31
	s_cmp_eq_u64 s[4:5], 0
	s_cbranch_scc1 .LBB243_3
; %bb.1:
	s_lshl_b64 s[2:3], s[30:31], 2
	s_delay_alu instid0(SALU_CYCLE_1) | instskip(SKIP_4) | instid1(SALU_CYCLE_1)
	s_add_u32 s2, s4, s2
	s_addc_u32 s3, s5, s3
	s_load_b64 s[2:3], s[2:3], 0x0
	s_waitcnt lgkmcnt(0)
	s_sub_i32 s2, s3, s2
	s_cmp_eq_u32 s2, 1
	s_cselect_b32 s2, -1, 0
	s_delay_alu instid0(SALU_CYCLE_1)
	s_and_not1_b32 vcc_lo, exec_lo, s2
	s_cbranch_vccz .LBB243_4
.LBB243_2:
	s_endpgm
.LBB243_3:
.LBB243_4:
	s_load_b64 s[2:3], s[0:1], 0x28
	s_lshl_b64 s[6:7], s[30:31], 2
	s_waitcnt lgkmcnt(0)
	s_add_u32 s2, s2, s6
	s_addc_u32 s3, s3, s7
	s_lshl_b32 s29, s14, 8
	s_load_b32 s28, s[2:3], 0x0
	s_waitcnt lgkmcnt(0)
	s_cmp_ge_i32 s29, s28
	s_cbranch_scc1 .LBB243_2
; %bb.5:
	s_clause 0x1
	s_load_b128 s[20:23], s[0:1], 0x8
	s_load_b64 s[2:3], s[0:1], 0x20
	s_and_not1_b32 vcc_lo, exec_lo, s8
	s_cbranch_vccnz .LBB243_7
; %bb.6:
	s_add_u32 s4, s4, s6
	s_addc_u32 s5, s5, s7
	s_load_b32 s5, s[4:5], 0x0
	s_branch .LBB243_8
.LBB243_7:
	s_mov_b32 s5, s30
.LBB243_8:
	s_load_b128 s[16:19], s[0:1], 0x48
	v_and_b32_e32 v140, 15, v0
	v_lshrrev_b32_e32 v141, 5, v0
	v_and_b32_e32 v142, 31, v0
	v_and_b32_e32 v139, 1, v0
	v_bfe_u32 v138, v0, 4, 1
	v_lshlrev_b32_e32 v1, 3, v140
	s_mul_i32 s31, s15, 14
	s_mov_b32 s4, exec_lo
	s_delay_alu instid0(VALU_DEP_1)
	v_lshlrev_b32_e32 v137, 1, v1
	v_cmpx_gt_u32_e32 0xe0, v0
	s_cbranch_execz .LBB243_10
; %bb.9:
	s_load_b64 s[6:7], s[0:1], 0x0
	v_lshl_or_b32 v5, v141, 1, v138
	s_waitcnt lgkmcnt(0)
	s_mul_hi_i32 s9, s5, s16
	s_mul_i32 s8, s5, s16
	v_lshlrev_b32_e32 v6, 10, v140
	s_lshl_b64 s[8:9], s[8:9], 1
	v_add_lshl_u32 v1, v5, s31, 7
	v_lshlrev_b32_e32 v5, 6, v5
	v_lshlrev_b32_e32 v7, 10, v139
	v_and_b32_e32 v6, 0x3800, v6
	s_delay_alu instid0(VALU_DEP_4) | instskip(NEXT) | instid1(VALU_DEP_2)
	v_ashrrev_i32_e32 v2, 31, v1
	v_or3_b32 v5, v6, v7, v5
	s_delay_alu instid0(VALU_DEP_2) | instskip(SKIP_2) | instid1(VALU_DEP_1)
	v_lshlrev_b64 v[1:2], 1, v[1:2]
	s_add_u32 s5, s6, s8
	s_addc_u32 s6, s7, s9
	v_add_co_u32 v1, vcc_lo, s5, v1
	s_delay_alu instid0(VALU_DEP_2) | instskip(NEXT) | instid1(VALU_DEP_2)
	v_add_co_ci_u32_e32 v2, vcc_lo, s6, v2, vcc_lo
	v_add_co_u32 v1, vcc_lo, v1, v137
	s_delay_alu instid0(VALU_DEP_2)
	v_add_co_ci_u32_e32 v2, vcc_lo, 0, v2, vcc_lo
	global_load_b128 v[1:4], v[1:2], off
	s_waitcnt vmcnt(0)
	ds_store_b128 v5, v[1:4]
.LBB243_10:
	s_or_b32 exec_lo, exec_lo, s4
	v_and_b32_e32 v1, 0xef, v0
	s_waitcnt lgkmcnt(0)
	s_add_i32 s5, s28, 15
	s_clause 0x1
	s_load_b32 s4, s[0:1], 0x38
	s_load_b32 s33, s[0:1], 0x98
	s_ashr_i32 s6, s5, 31
	v_add_nc_u32_e32 v1, s29, v1
	s_lshr_b32 s6, s6, 28
	s_load_b32 s34, s[0:1], 0x1c
	s_add_i32 s5, s5, s6
	s_waitcnt lgkmcnt(0)
	v_ashrrev_i32_e32 v2, 31, v1
	v_cmp_gt_i32_e32 vcc_lo, s28, v1
	s_ashr_i32 s16, s5, 4
	s_barrier
	s_add_i32 s16, s16, -1
	v_lshrrev_b32_e32 v3, 28, v2
	v_or_b32_e32 v2, 16, v1
	buffer_gl0_inv
	v_add_nc_u32_e32 v105, -14, v140
	v_lshlrev_b32_e32 v106, 5, v140
	v_add_nc_u32_e32 v4, v1, v3
	v_add_nc_u32_e32 v3, v2, v3
	s_mul_i32 s4, s30, s4
	s_delay_alu instid0(SALU_CYCLE_1) | instskip(NEXT) | instid1(VALU_DEP_2)
	s_ashr_i32 s5, s4, 31
	v_ashrrev_i32_e32 v4, 4, v4
	s_delay_alu instid0(VALU_DEP_2)
	v_ashrrev_i32_e32 v3, 4, v3
	s_lshl_b64 s[4:5], s[4:5], 2
	v_lshl_or_b32 v125, v141, 9, v106
	s_add_u32 s35, s2, s4
	v_cndmask_b32_e32 v1, s16, v4, vcc_lo
	v_cmp_gt_i32_e32 vcc_lo, s28, v2
	s_addc_u32 s36, s3, s5
	s_mul_i32 s2, s15, s18
	s_delay_alu instid0(VALU_DEP_2) | instskip(SKIP_2) | instid1(SALU_CYCLE_1)
	v_ashrrev_i32_e32 v2, 31, v1
	v_cndmask_b32_e32 v3, s16, v3, vcc_lo
	s_ashr_i32 s3, s2, 31
	s_lshl_b64 s[2:3], s[2:3], 1
	s_delay_alu instid0(VALU_DEP_2) | instskip(NEXT) | instid1(VALU_DEP_2)
	v_lshlrev_b64 v[1:2], 2, v[1:2]
	v_ashrrev_i32_e32 v4, 31, v3
	s_add_u32 s24, s20, s2
	s_addc_u32 s25, s21, s3
	s_lshl_b32 s4, s14, 4
	s_delay_alu instid0(VALU_DEP_1) | instskip(SKIP_3) | instid1(VALU_DEP_3)
	v_lshlrev_b64 v[3:4], 2, v[3:4]
	v_add_co_u32 v1, vcc_lo, s35, v1
	v_add_co_ci_u32_e32 v2, vcc_lo, s36, v2, vcc_lo
	s_ashr_i32 s5, s4, 31
	v_add_co_u32 v3, vcc_lo, s35, v3
	s_delay_alu instid0(VALU_DEP_4)
	v_add_co_ci_u32_e32 v4, vcc_lo, s36, v4, vcc_lo
	s_lshl_b64 s[4:5], s[4:5], 2
	s_clause 0x1
	global_load_b32 v5, v[1:2], off
	global_load_b32 v6, v[3:4], off
	s_add_u32 s4, s35, s4
	s_addc_u32 s5, s36, s5
	s_or_b32 s6, s29, 16
	v_lshlrev_b32_e32 v3, 4, v0
	s_ashr_i32 s7, s6, 4
	s_cmp_lt_i32 s6, s28
	s_cselect_b32 s6, s7, s16
	s_delay_alu instid0(SALU_CYCLE_1) | instskip(NEXT) | instid1(SALU_CYCLE_1)
	s_ashr_i32 s7, s6, 31
	s_lshl_b64 s[6:7], s[6:7], 2
	s_delay_alu instid0(SALU_CYCLE_1) | instskip(SKIP_2) | instid1(SALU_CYCLE_1)
	s_add_u32 s6, s35, s6
	s_addc_u32 s7, s36, s7
	s_or_b32 s8, s29, 32
	s_ashr_i32 s9, s8, 4
	s_cmp_lt_i32 s8, s28
	s_cselect_b32 s8, s9, s16
	s_delay_alu instid0(SALU_CYCLE_1) | instskip(NEXT) | instid1(SALU_CYCLE_1)
	s_ashr_i32 s9, s8, 31
	s_lshl_b64 s[8:9], s[8:9], 2
	s_delay_alu instid0(SALU_CYCLE_1) | instskip(SKIP_2) | instid1(SALU_CYCLE_1)
	s_add_u32 s8, s35, s8
	s_addc_u32 s9, s36, s9
	s_or_b32 s10, s29, 48
	;; [unrolled: 10-line block ×4, first 2 shown]
	s_ashr_i32 s13, s12, 4
	s_cmp_lt_i32 s12, s28
	s_cselect_b32 s12, s13, s16
	s_delay_alu instid0(SALU_CYCLE_1) | instskip(NEXT) | instid1(SALU_CYCLE_1)
	s_ashr_i32 s13, s12, 31
	s_lshl_b64 s[12:13], s[12:13], 2
	s_delay_alu instid0(SALU_CYCLE_1)
	s_add_u32 s20, s35, s12
	s_addc_u32 s21, s36, s13
	s_clause 0x5
	s_load_b32 s37, s[4:5], 0x0
	s_load_b32 s27, s[6:7], 0x0
	;; [unrolled: 1-line block ×6, first 2 shown]
	s_waitcnt vmcnt(1)
	v_mad_i64_i32 v[1:2], null, v5, s17, 0
	v_and_b32_e32 v5, 0xf0, v3
	s_waitcnt vmcnt(0)
	v_mad_i64_i32 v[3:4], null, v6, s17, 0
	s_delay_alu instid0(VALU_DEP_2) | instskip(NEXT) | instid1(VALU_DEP_4)
	v_add_co_u32 v5, s4, s24, v5
	v_lshlrev_b64 v[1:2], 1, v[1:2]
	v_add_co_ci_u32_e64 v6, null, s25, 0, s4
	s_delay_alu instid0(VALU_DEP_4) | instskip(SKIP_1) | instid1(VALU_DEP_3)
	v_lshlrev_b64 v[3:4], 1, v[3:4]
	s_or_b32 s4, s29, 0x60
	v_add_co_u32 v121, vcc_lo, v5, v1
	s_delay_alu instid0(VALU_DEP_3) | instskip(NEXT) | instid1(VALU_DEP_3)
	v_add_co_ci_u32_e32 v122, vcc_lo, v6, v2, vcc_lo
	v_add_co_u32 v123, vcc_lo, v5, v3
	s_delay_alu instid0(VALU_DEP_4)
	v_add_co_ci_u32_e32 v124, vcc_lo, v6, v4, vcc_lo
	s_clause 0x19
	global_load_b128 v[89:92], v[121:122], off
	global_load_b128 v[93:96], v[121:122], off offset:256
	global_load_b128 v[97:100], v[123:124], off
	global_load_b128 v[101:104], v[123:124], off offset:256
	global_load_b128 v[81:84], v[121:122], off offset:512
	;; [unrolled: 1-line block ×23, first 2 shown]
	s_ashr_i32 s5, s4, 4
	s_cmp_lt_i32 s4, s28
	v_cmp_gt_u32_e32 vcc_lo, 14, v140
	s_cselect_b32 s4, s5, s16
	s_delay_alu instid0(SALU_CYCLE_1) | instskip(NEXT) | instid1(SALU_CYCLE_1)
	s_ashr_i32 s5, s4, 31
	s_lshl_b64 s[4:5], s[4:5], 2
	v_cndmask_b32_e32 v105, v105, v140, vcc_lo
	s_add_u32 s18, s35, s4
	s_addc_u32 s19, s36, s5
	s_or_b32 s4, s29, 0x70
	s_delay_alu instid0(SALU_CYCLE_1)
	s_ashr_i32 s5, s4, 4
	s_cmp_lt_i32 s4, s28
	v_lshlrev_b32_e32 v215, 6, v105
	s_cselect_b32 s6, s5, s16
	ds_load_b128 v[105:108], v215
	ds_load_b128 v[109:112], v215 offset:1024
	s_ashr_i32 s7, s6, 31
	ds_load_b128 v[113:116], v215 offset:2048
	ds_load_b128 v[117:120], v215 offset:3072
	;; [unrolled: 1-line block ×8, first 2 shown]
	s_clause 0x1
	global_load_b128 v[167:170], v[123:124], off offset:3072
	global_load_b128 v[171:174], v[123:124], off offset:3328
	s_lshl_b64 s[6:7], s[6:7], 2
	s_mov_b32 s4, 0
	s_add_u32 s20, s35, s6
	s_addc_u32 s21, s36, s7
	s_clause 0x1
	s_load_b32 s41, s[18:19], 0x0
	s_load_b32 s46, s[20:21], 0x0
	s_clause 0x3
	global_load_b128 v[175:178], v[121:122], off offset:3584
	global_load_b128 v[179:182], v[121:122], off offset:3840
	;; [unrolled: 1-line block ×4, first 2 shown]
	s_or_b32 s7, s29, 0x80
	s_mov_b32 s5, s4
	s_ashr_i32 s8, s7, 4
	s_cmp_lt_i32 s7, s28
	s_mov_b32 s6, s4
	s_cselect_b32 s10, s8, s16
	s_mov_b32 s7, s4
	s_ashr_i32 s11, s10, 31
	s_mov_b32 s8, s4
	s_lshl_b64 s[24:25], s[10:11], 2
	s_mov_b32 s9, s4
	s_add_u32 s24, s35, s24
	s_addc_u32 s25, s36, s25
	s_or_b32 s11, s29, 0x90
	s_mov_b32 s10, s4
	s_ashr_i32 s38, s11, 4
	s_cmp_lt_i32 s11, s28
	s_mov_b32 s11, s4
	s_cselect_b32 s38, s38, s16
	v_mov_b32_e32 v136, s11
	s_ashr_i32 s39, s38, 31
	v_dual_mov_b32 v135, s10 :: v_dual_mov_b32 v134, s9
	v_dual_mov_b32 v133, s8 :: v_dual_mov_b32 v132, s7
	v_dual_mov_b32 v131, s6 :: v_dual_mov_b32 v130, s5
	v_mov_b32_e32 v129, s4
	s_lshl_b64 s[4:5], s[38:39], 2
	s_waitcnt lgkmcnt(0)
	s_mul_hi_i32 s7, s27, s17
	s_add_u32 s38, s35, s4
	s_addc_u32 s39, s36, s5
	s_or_b32 s4, s29, 0xa0
	s_load_b32 s40, s[38:39], 0x0
	s_ashr_i32 s5, s4, 4
	s_cmp_lt_i32 s4, s28
	s_cselect_b32 s4, s5, s16
	s_delay_alu instid0(SALU_CYCLE_1) | instskip(NEXT) | instid1(SALU_CYCLE_1)
	s_ashr_i32 s5, s4, 31
	s_lshl_b64 s[4:5], s[4:5], 2
	s_delay_alu instid0(SALU_CYCLE_1)
	s_add_u32 s42, s35, s4
	s_addc_u32 s43, s36, s5
	s_or_b32 s4, s29, 0xb0
	s_load_b32 s39, s[42:43], 0x0
	s_ashr_i32 s6, s4, 4
	s_cmp_lt_i32 s4, s28
	s_mul_hi_i32 s5, s37, s17
	s_cselect_b32 s8, s6, s16
	s_mul_i32 s6, s27, s17
	s_ashr_i32 s9, s8, 31
	s_mul_i32 s4, s37, s17
	s_lshl_b64 s[10:11], s[8:9], 2
	s_mul_hi_i32 s9, s26, s17
	s_add_u32 s44, s35, s10
	s_addc_u32 s45, s36, s11
	s_or_b32 s10, s29, 0xc0
	s_mul_i32 s8, s26, s17
	s_ashr_i32 s26, s10, 4
	s_cmp_lt_i32 s10, s28
	s_mul_hi_i32 s11, s13, s17
	s_cselect_b32 s26, s26, s16
	s_mul_i32 s10, s13, s17
	s_ashr_i32 s27, s26, 31
	s_mul_hi_i32 s13, s12, s17
	s_lshl_b64 s[26:27], s[26:27], 2
	s_mul_i32 s12, s12, s17
	s_add_u32 s20, s35, s26
	s_addc_u32 s21, s36, s27
	s_or_b32 s18, s29, 0xd0
	s_load_b32 s26, s[24:25], 0x0
	s_ashr_i32 s19, s18, 4
	s_cmp_lt_i32 s18, s28
	s_mul_i32 s18, s15, s17
	s_cselect_b32 s24, s19, s16
	s_mul_hi_i32 s19, s15, s17
	s_ashr_i32 s25, s24, 31
	s_delay_alu instid0(SALU_CYCLE_1) | instskip(NEXT) | instid1(SALU_CYCLE_1)
	s_lshl_b64 s[24:25], s[24:25], 2
	s_add_u32 s24, s35, s24
	s_addc_u32 s25, s36, s25
	s_or_b32 s42, s29, 0xe0
	s_clause 0x2
	s_load_b32 s38, s[44:45], 0x0
	s_load_b32 s37, s[20:21], 0x0
	;; [unrolled: 1-line block ×3, first 2 shown]
	s_ashr_i32 s43, s42, 4
	s_cmp_lt_i32 s42, s28
	s_mul_hi_i32 s25, s46, s17
	s_cselect_b32 s42, s43, s16
	s_mul_i32 s24, s46, s17
	s_ashr_i32 s43, s42, 31
	s_mul_hi_i32 s21, s41, s17
	s_lshl_b64 s[42:43], s[42:43], 2
	s_mul_i32 s20, s41, s17
	s_add_u32 s42, s35, s42
	s_addc_u32 s43, s36, s43
	s_or_b32 s46, s29, 0xf0
	s_waitcnt lgkmcnt(0)
	s_mul_hi_i32 s27, s26, s17
	s_ashr_i32 s47, s46, 4
	s_cmp_lt_i32 s46, s28
	s_mul_i32 s26, s26, s17
	s_cselect_b32 s46, s47, s16
	s_mul_hi_i32 s41, s40, s17
	s_ashr_i32 s47, s46, 31
	s_mul_hi_i32 s51, s15, s17
	s_lshl_b64 s[46:47], s[46:47], 2
	s_mul_i32 s50, s15, s17
	s_add_u32 s46, s35, s46
	s_addc_u32 s47, s36, s47
	s_add_u32 s15, s22, s2
	s_addc_u32 s16, s23, s3
	v_add_co_u32 v216, s15, s15, v125
	s_delay_alu instid0(VALU_DEP_1) | instskip(SKIP_2) | instid1(VALU_DEP_2)
	v_add_co_ci_u32_e64 v217, null, s16, 0, s15
	s_lshl_b64 s[2:3], s[4:5], 1
	s_lshl_b64 s[4:5], s[6:7], 1
	v_add_co_u32 v125, vcc_lo, v216, s2
	s_delay_alu instid0(VALU_DEP_2)
	v_add_co_ci_u32_e32 v126, vcc_lo, s3, v217, vcc_lo
	v_add_co_u32 v199, vcc_lo, v216, s4
	s_lshl_b64 s[6:7], s[8:9], 1
	v_add_co_ci_u32_e32 v200, vcc_lo, s5, v217, vcc_lo
	s_lshl_b64 s[8:9], s[10:11], 1
	s_lshl_b64 s[10:11], s[12:13], 1
	;; [unrolled: 1-line block ×6, first 2 shown]
	s_mul_i32 s40, s40, s17
	s_mul_hi_i32 s45, s39, s17
	s_lshl_b64 s[24:25], s[40:41], 1
	s_mul_i32 s44, s39, s17
	s_mul_hi_i32 s39, s38, s17
	s_lshl_b64 s[26:27], s[44:45], 1
	s_mul_i32 s38, s38, s17
	s_mul_hi_i32 s49, s37, s17
	s_mul_i32 s48, s37, s17
	s_lshl_b64 s[36:37], s[38:39], 1
	s_lshl_b64 s[38:39], s[48:49], 1
	s_clause 0x1
	s_load_b32 s15, s[42:43], 0x0
	s_load_b32 s16, s[46:47], 0x0
	s_lshl_b64 s[40:41], s[50:51], 1
	s_waitcnt lgkmcnt(0)
	s_mul_hi_i32 s3, s15, s17
	s_mul_i32 s2, s15, s17
	s_mul_hi_i32 s5, s16, s17
	s_lshl_b64 s[2:3], s[2:3], 1
	s_mul_i32 s4, s16, s17
	s_waitcnt vmcnt(30)
	v_wmma_f32_16x16x16_f16 v[191:198], v[89:96], v[105:112], v[129:136]
	v_add_co_u32 v89, vcc_lo, v216, s6
	v_add_co_ci_u32_e32 v90, vcc_lo, s7, v217, vcc_lo
	v_add_co_u32 v91, vcc_lo, v216, s8
	v_add_co_ci_u32_e32 v92, vcc_lo, s9, v217, vcc_lo
	;; [unrolled: 2-line block ×5, first 2 shown]
	v_add_co_u32 v205, vcc_lo, v216, s20
	s_waitcnt vmcnt(28)
	v_wmma_f32_16x16x16_f16 v[129:136], v[97:104], v[105:112], v[129:136]
	v_add_co_ci_u32_e32 v206, vcc_lo, s21, v217, vcc_lo
	v_add_co_u32 v207, vcc_lo, v216, s22
	v_add_co_ci_u32_e32 v208, vcc_lo, s23, v217, vcc_lo
	v_add_co_u32 v209, vcc_lo, v216, s24
	s_waitcnt vmcnt(26)
	v_wmma_f32_16x16x16_f16 v[191:198], v[81:88], v[113:120], v[191:198]
	s_waitcnt vmcnt(24)
	v_wmma_f32_16x16x16_f16 v[129:136], v[73:80], v[113:120], v[129:136]
	v_add_co_ci_u32_e32 v210, vcc_lo, s25, v217, vcc_lo
	v_add_co_u32 v211, vcc_lo, v216, s26
	v_add_co_ci_u32_e32 v212, vcc_lo, s27, v217, vcc_lo
	v_add_co_u32 v213, vcc_lo, v216, s36
	s_waitcnt vmcnt(22)
	v_wmma_f32_16x16x16_f16 v[191:198], v[65:72], v[143:150], v[191:198]
	s_waitcnt vmcnt(20)
	v_wmma_f32_16x16x16_f16 v[129:136], v[57:64], v[143:150], v[129:136]
	v_add_co_ci_u32_e32 v214, vcc_lo, s37, v217, vcc_lo
	v_add_co_u32 v143, vcc_lo, v216, s38
	s_waitcnt vmcnt(18)
	v_wmma_f32_16x16x16_f16 v[191:198], v[49:56], v[151:158], v[191:198]
	s_waitcnt vmcnt(16)
	v_wmma_f32_16x16x16_f16 v[129:136], v[25:32], v[151:158], v[129:136]
	v_add_co_ci_u32_e32 v144, vcc_lo, s39, v217, vcc_lo
	s_clause 0x15
	global_load_b128 v[121:124], v[125:126], off
	global_load_b128 v[125:128], v[125:126], off offset:16
	global_load_b128 v[113:116], v[199:200], off
	global_load_b128 v[117:120], v[199:200], off offset:16
	;; [unrolled: 2-line block ×11, first 2 shown]
	s_waitcnt vmcnt(36)
	v_wmma_f32_16x16x16_f16 v[191:198], v[1:8], v[159:166], v[191:198]
	s_clause 0x1
	global_load_b128 v[1:4], v[213:214], off
	global_load_b128 v[5:8], v[213:214], off offset:16
	s_waitcnt vmcnt(36)
	v_wmma_f32_16x16x16_f16 v[129:136], v[9:16], v[159:166], v[129:136]
	s_clause 0x1
	global_load_b128 v[9:12], v[143:144], off
	global_load_b128 v[13:16], v[143:144], off offset:16
	ds_load_b128 v[143:146], v215 offset:10240
	ds_load_b128 v[147:150], v215 offset:11264
	;; [unrolled: 1-line block ×4, first 2 shown]
	v_add_co_u32 v199, vcc_lo, v216, s40
	v_add_co_ci_u32_e32 v200, vcc_lo, s41, v217, vcc_lo
	v_add_co_u32 v159, vcc_lo, v216, s2
	v_add_co_ci_u32_e32 v160, vcc_lo, s3, v217, vcc_lo
	s_lshl_b64 s[2:3], s[4:5], 1
	s_delay_alu instid0(SALU_CYCLE_1)
	v_add_co_u32 v161, vcc_lo, v216, s2
	v_add_co_ci_u32_e32 v162, vcc_lo, s3, v217, vcc_lo
	s_waitcnt vmcnt(36) lgkmcnt(2)
	v_wmma_f32_16x16x16_f16 v[191:198], v[33:40], v[143:150], v[191:198]
	s_waitcnt vmcnt(34)
	v_wmma_f32_16x16x16_f16 v[129:136], v[41:48], v[143:150], v[129:136]
	s_clause 0x3
	global_load_b128 v[33:36], v[199:200], off
	global_load_b128 v[37:40], v[199:200], off offset:16
	global_load_b128 v[41:44], v[159:160], off
	global_load_b128 v[45:48], v[159:160], off offset:16
	v_and_b32_e32 v143, 0xe0, v0
	v_mbcnt_lo_u32_b32 v159, -1, 0
	s_waitcnt vmcnt(36) lgkmcnt(0)
	v_wmma_f32_16x16x16_f16 v[191:198], v[17:24], v[151:158], v[191:198]
	s_clause 0x1
	global_load_b128 v[17:20], v[161:162], off
	global_load_b128 v[21:24], v[161:162], off offset:16
	s_waitcnt vmcnt(36)
	v_wmma_f32_16x16x16_f16 v[129:136], v[167:174], v[151:158], v[129:136]
	v_add_nc_u32_e32 v160, s29, v143
	ds_load_b128 v[143:146], v215 offset:14336
	ds_load_b128 v[147:150], v215 offset:15360
	v_xor_b32_e32 v151, 16, v159
	s_waitcnt vmcnt(0) lgkmcnt(0)
	s_barrier
	v_or_b32_e32 v152, v160, v138
	buffer_gl0_inv
	v_cmp_gt_i32_e32 vcc_lo, 32, v151
	v_or_b32_e32 v153, 2, v152
	v_or_b32_e32 v154, 4, v152
	v_or_b32_e32 v155, 6, v152
	v_or_b32_e32 v156, 8, v152
	v_or_b32_e32 v157, 10, v152
	v_cmp_gt_i32_e64 s2, s28, v153
	v_cmp_gt_i32_e64 s3, s28, v154
	v_cmp_gt_i32_e64 s4, s28, v155
	v_or_b32_e32 v158, 12, v152
	v_cmp_gt_i32_e64 s5, s28, v156
	v_cmp_gt_i32_e64 s6, s28, v157
	v_wmma_f32_16x16x16_f16 v[191:198], v[175:182], v[143:150], v[191:198]
	v_wmma_f32_16x16x16_f16 v[129:136], v[183:190], v[143:150], v[129:136]
	v_cndmask_b32_e32 v151, v159, v151, vcc_lo
	v_cmp_gt_i32_e32 vcc_lo, s28, v152
	v_or_b32_e32 v159, 14, v152
	v_dual_mul_f32 v149, s34, v192 :: v_dual_mul_f32 v150, s34, v191
	v_dual_mul_f32 v147, s34, v194 :: v_dual_mul_f32 v148, s34, v193
	v_mul_f32_e32 v145, s34, v196
	s_delay_alu instid0(VALU_DEP_3) | instskip(NEXT) | instid1(VALU_DEP_4)
	v_cndmask_b32_e64 v149, 0xff7fffff, v149, s2
	v_cndmask_b32_e32 v150, 0xff7fffff, v150, vcc_lo
	v_mul_f32_e32 v146, s34, v195
	v_cndmask_b32_e64 v148, 0xff7fffff, v148, s3
	v_cndmask_b32_e64 v147, 0xff7fffff, v147, s4
	v_or_b32_e32 v160, 16, v152
	v_max3_f32 v149, v150, 0xff7fffff, v149
	v_or_b32_e32 v161, 18, v152
	v_dual_mul_f32 v143, s34, v198 :: v_dual_mul_f32 v144, s34, v197
	v_cndmask_b32_e64 v146, 0xff7fffff, v146, s5
	v_cndmask_b32_e64 v145, 0xff7fffff, v145, s6
	v_max3_f32 v147, v149, v148, v147
	v_cmp_gt_i32_e64 s7, s28, v158
	v_cmp_gt_i32_e64 s8, s28, v159
	v_or_b32_e32 v162, 20, v152
	v_or_b32_e32 v163, 22, v152
	v_dual_mul_f32 v174, s34, v130 :: v_dual_mul_f32 v175, s34, v129
	v_cndmask_b32_e64 v144, 0xff7fffff, v144, s7
	v_cndmask_b32_e64 v143, 0xff7fffff, v143, s8
	v_max3_f32 v145, v147, v146, v145
	v_cmp_gt_i32_e64 s9, s28, v160
	v_cmp_gt_i32_e64 s10, s28, v161
	v_or_b32_e32 v164, 24, v152
	;; [unrolled: 8-line block ×3, first 2 shown]
	v_or_b32_e32 v167, 30, v152
	v_dual_mul_f32 v170, s34, v134 :: v_dual_mul_f32 v171, s34, v133
	v_cndmask_b32_e64 v144, 0xff7fffff, v173, s11
	v_cndmask_b32_e64 v145, 0xff7fffff, v172, s12
	v_max3_f32 v143, v143, v146, v147
	v_cmp_gt_i32_e64 s13, s28, v164
	v_cmp_gt_i32_e64 s15, s28, v165
	v_dual_mul_f32 v168, s34, v136 :: v_dual_mul_f32 v169, s34, v135
	s_delay_alu instid0(VALU_DEP_4) | instskip(NEXT) | instid1(VALU_DEP_4)
	v_max3_f32 v143, v143, v144, v145
	v_cndmask_b32_e64 v146, 0xff7fffff, v171, s13
	s_delay_alu instid0(VALU_DEP_4) | instskip(SKIP_3) | instid1(VALU_DEP_4)
	v_cndmask_b32_e64 v147, 0xff7fffff, v170, s15
	v_cmp_gt_i32_e64 s16, s28, v166
	v_cmp_gt_i32_e64 s17, s28, v167
	v_lshlrev_b32_e32 v160, 2, v151
	v_max3_f32 v143, v143, v146, v147
	s_delay_alu instid0(VALU_DEP_4) | instskip(NEXT) | instid1(VALU_DEP_4)
	v_cndmask_b32_e64 v144, 0xff7fffff, v169, s16
	v_cndmask_b32_e64 v145, 0xff7fffff, v168, s17
	s_delay_alu instid0(VALU_DEP_1) | instskip(SKIP_3) | instid1(VALU_DEP_1)
	v_max3_f32 v143, v143, v144, v145
	ds_bpermute_b32 v144, v160, v143
	s_waitcnt lgkmcnt(0)
	v_max_f32_e32 v144, v144, v144
	v_max_f32_e32 v159, v143, v144
	s_delay_alu instid0(VALU_DEP_1) | instskip(SKIP_4) | instid1(VALU_DEP_4)
	v_fma_f32 v143, s34, v191, -v159
	v_fma_f32 v144, s34, v192, -v159
	;; [unrolled: 1-line block ×5, first 2 shown]
	v_dual_mul_f32 v143, 0x3fb8aa3b, v143 :: v_dual_mul_f32 v144, 0x3fb8aa3b, v144
	s_delay_alu instid0(VALU_DEP_4) | instskip(SKIP_2) | instid1(VALU_DEP_4)
	v_mul_f32_e32 v132, 0x3fb8aa3b, v132
	v_fma_f32 v134, s34, v134, -v159
	v_mul_f32_e32 v145, 0x3fb8aa3b, v145
	v_exp_f32_e32 v143, v143
	v_exp_f32_e32 v147, v144
	v_fma_f32 v148, s34, v195, -v159
	v_mul_f32_e32 v134, 0x3fb8aa3b, v134
	v_mul_f32_e32 v146, 0x3fb8aa3b, v146
	v_exp_f32_e32 v145, v145
	v_fma_f32 v149, s34, v196, -v159
	v_mul_f32_e32 v148, 0x3fb8aa3b, v148
	v_fma_f32 v151, s34, v197, -v159
	v_exp_f32_e32 v150, v146
	v_cndmask_b32_e32 v144, 0, v143, vcc_lo
	v_cndmask_b32_e64 v143, 0, v147, s2
	v_mul_f32_e32 v149, 0x3fb8aa3b, v149
	v_exp_f32_e32 v148, v148
	v_fma_f32 v152, s34, v198, -v159
	v_add_f32_e32 v147, 0, v144
	v_cndmask_b32_e64 v146, 0, v145, s3
	v_mul_f32_e32 v151, 0x3fb8aa3b, v151
	v_exp_f32_e32 v149, v149
	v_cndmask_b32_e64 v145, 0, v150, s4
	v_add_f32_e32 v147, v147, v143
	v_fma_f32 v129, s34, v129, -v159
	v_mul_f32_e32 v150, 0x3fb8aa3b, v152
	v_exp_f32_e32 v151, v151
	v_cndmask_b32_e64 v148, 0, v148, s5
	v_add_f32_e32 v147, v147, v146
	v_fma_f32 v130, s34, v130, -v159
	v_mul_f32_e32 v129, 0x3fb8aa3b, v129
	v_exp_f32_e32 v153, v150
	v_fma_f32 v131, s34, v131, -v159
	v_add_f32_e32 v152, v147, v145
	v_cndmask_b32_e64 v147, 0, v149, s6
	v_mul_f32_e32 v130, 0x3fb8aa3b, v130
	v_exp_f32_e32 v129, v129
	v_cndmask_b32_e64 v150, 0, v151, s7
	v_add_f32_e32 v149, v152, v148
	v_mul_f32_e32 v131, 0x3fb8aa3b, v131
	v_exp_f32_e32 v130, v130
	v_fma_f32 v133, s34, v133, -v159
	v_exp_f32_e32 v132, v132
	v_add_f32_e32 v151, v149, v147
	v_cndmask_b32_e64 v149, 0, v153, s8
	v_exp_f32_e32 v131, v131
	v_cndmask_b32_e64 v152, 0, v129, s9
	v_mul_f32_e32 v133, 0x3fb8aa3b, v133
	v_add_f32_e32 v151, v151, v150
	s_mov_b32 s2, exec_lo
	s_delay_alu instid0(VALU_DEP_2) | instskip(NEXT) | instid1(VALU_DEP_1)
	v_exp_f32_e32 v133, v133
	v_add_f32_e32 v129, v151, v149
	v_cndmask_b32_e64 v151, 0, v130, s10
	v_fma_f32 v130, s34, v135, -v159
	s_delay_alu instid0(TRANS32_DEP_2)
	v_cndmask_b32_e64 v154, 0, v131, s11
	v_exp_f32_e32 v131, v134
	v_add_f32_e32 v129, v129, v152
	v_cndmask_b32_e64 v153, 0, v132, s12
	v_mul_f32_e32 v130, 0x3fb8aa3b, v130
	v_fma_f32 v132, s34, v136, -v159
	v_cndmask_b32_e64 v156, 0, v133, s13
	v_add_f32_e32 v129, v129, v151
	s_delay_alu instid0(VALU_DEP_4) | instskip(NEXT) | instid1(VALU_DEP_3)
	v_exp_f32_e32 v130, v130
	v_mul_f32_e32 v132, 0x3fb8aa3b, v132
	s_delay_alu instid0(TRANS32_DEP_2) | instskip(NEXT) | instid1(VALU_DEP_3)
	v_cndmask_b32_e64 v155, 0, v131, s15
	v_add_f32_e32 v129, v129, v154
	s_delay_alu instid0(VALU_DEP_3) | instskip(NEXT) | instid1(VALU_DEP_1)
	v_exp_f32_e32 v131, v132
	v_add_f32_e32 v129, v129, v153
	s_waitcnt_depctr 0xfff
	v_cndmask_b32_e64 v158, 0, v130, s16
	v_add_f32_e32 v129, v129, v156
	v_cndmask_b32_e64 v157, 0, v131, s17
	s_delay_alu instid0(VALU_DEP_2) | instskip(NEXT) | instid1(VALU_DEP_1)
	v_add_f32_e32 v129, v129, v155
	v_add_f32_e32 v129, v129, v158
	s_delay_alu instid0(VALU_DEP_1)
	v_add_f32_e32 v129, v129, v157
	ds_bpermute_b32 v130, v160, v129
	v_cmpx_gt_u32_e32 16, v142
	s_cbranch_execz .LBB243_12
; %bb.11:
	v_mul_u32_u24_e32 v131, 0x44, v141
	s_delay_alu instid0(VALU_DEP_1) | instskip(SKIP_1) | instid1(VALU_DEP_1)
	v_lshl_add_u32 v131, v140, 2, v131
	s_waitcnt lgkmcnt(0)
	v_dual_add_f32 v129, v129, v130 :: v_dual_add_nc_u32 v130, 0x4000, v131
	ds_store_2addr_b32 v130, v159, v129 offset1:136
.LBB243_12:
	s_or_b32 exec_lo, exec_lo, s2
	v_lshlrev_b32_e32 v129, 2, v140
	s_load_b32 s34, s[0:1], 0x94
	s_waitcnt lgkmcnt(0)
	s_barrier
	buffer_gl0_inv
	v_add_nc_u32_e32 v135, 0x4000, v129
	v_cmp_eq_u32_e32 vcc_lo, 1, v141
	v_cmp_eq_u32_e64 s2, 2, v141
	v_cmp_eq_u32_e64 s3, 3, v141
	;; [unrolled: 1-line block ×3, first 2 shown]
	ds_load_2addr_b32 v[129:130], v135 offset1:17
	ds_load_2addr_b32 v[131:132], v135 offset0:34 offset1:51
	ds_load_2addr_b32 v[133:134], v135 offset0:68 offset1:85
	;; [unrolled: 1-line block ×3, first 2 shown]
	v_cmp_eq_u32_e64 s5, 5, v141
	v_cmp_eq_u32_e64 s6, 7, v141
	s_waitcnt lgkmcnt(3)
	v_max3_f32 v136, v129, 0xff7fffff, v130
	s_waitcnt lgkmcnt(2)
	s_delay_alu instid0(VALU_DEP_1) | instskip(SKIP_1) | instid1(VALU_DEP_1)
	v_max3_f32 v136, v136, v131, v132
	s_waitcnt lgkmcnt(1)
	v_max3_f32 v136, v136, v133, v134
	s_waitcnt lgkmcnt(0)
	s_delay_alu instid0(VALU_DEP_1) | instskip(NEXT) | instid1(VALU_DEP_1)
	v_max3_f32 v136, v136, v159, v160
	v_sub_f32_e32 v142, v130, v136
	ds_load_2addr_b32 v[161:162], v135 offset0:136 offset1:153
	v_sub_f32_e32 v164, v132, v136
	v_mul_f32_e32 v142, 0x3fb8aa3b, v142
	s_delay_alu instid0(VALU_DEP_2) | instskip(NEXT) | instid1(VALU_DEP_2)
	v_mul_f32_e32 v164, 0x3fb8aa3b, v164
	v_exp_f32_e32 v166, v142
	v_sub_f32_e32 v129, v129, v136
	s_delay_alu instid0(VALU_DEP_2) | instskip(NEXT) | instid1(VALU_DEP_1)
	v_exp_f32_e32 v164, v164
	v_mul_f32_e32 v163, 0x3fb8aa3b, v129
	ds_load_2addr_b32 v[129:130], v135 offset0:170 offset1:187
	v_exp_f32_e32 v163, v163
	s_waitcnt lgkmcnt(1)
	s_waitcnt_depctr 0xfff
	v_fma_f32 v142, v163, v161, 0
	v_sub_f32_e32 v161, v134, v136
	s_delay_alu instid0(VALU_DEP_2) | instskip(NEXT) | instid1(VALU_DEP_1)
	v_dual_fmac_f32 v142, v166, v162 :: v_dual_sub_f32 v131, v131, v136
	v_mul_f32_e32 v165, 0x3fb8aa3b, v131
	ds_load_2addr_b32 v[131:132], v135 offset0:204 offset1:221
	v_exp_f32_e32 v165, v165
	s_waitcnt lgkmcnt(1)
	s_waitcnt_depctr 0xfff
	v_fmac_f32_e32 v142, v165, v129
	v_sub_f32_e32 v133, v133, v136
	v_sub_f32_e32 v129, v160, v136
	s_delay_alu instid0(VALU_DEP_2) | instskip(NEXT) | instid1(VALU_DEP_2)
	v_dual_fmac_f32 v142, v164, v130 :: v_dual_mul_f32 v167, 0x3fb8aa3b, v133
	v_mul_f32_e32 v129, 0x3fb8aa3b, v129
	ds_load_2addr_b32 v[133:134], v135 offset0:238 offset1:255
	v_cndmask_b32_e32 v130, v163, v166, vcc_lo
	s_waitcnt lgkmcnt(0)
	s_barrier
	v_exp_f32_e32 v162, v129
	v_sub_f32_e32 v135, v159, v136
	v_mul_f32_e32 v159, 0x3fb8aa3b, v161
	v_exp_f32_e32 v161, v167
	buffer_gl0_inv
	v_exp_f32_e32 v159, v159
	v_fmac_f32_e32 v142, v161, v131
	s_waitcnt_depctr 0xfff
	v_dual_mul_f32 v135, 0x3fb8aa3b, v135 :: v_dual_fmac_f32 v142, v159, v132
	s_delay_alu instid0(VALU_DEP_1) | instskip(SKIP_2) | instid1(VALU_DEP_1)
	v_exp_f32_e32 v160, v135
	s_waitcnt_depctr 0xfff
	v_dual_fmac_f32 v142, v160, v133 :: v_dual_lshlrev_b32 v133, 6, v140
	v_fmac_f32_e32 v142, v162, v134
	s_delay_alu instid0(VALU_DEP_2) | instskip(NEXT) | instid1(VALU_DEP_2)
	v_lshl_or_b32 v135, v141, 11, v133
	v_add_f32_e32 v134, 0x358637bd, v142
	s_delay_alu instid0(VALU_DEP_1) | instskip(SKIP_1) | instid1(VALU_DEP_2)
	v_div_scale_f32 v167, null, v134, v134, 1.0
	v_div_scale_f32 v163, vcc_lo, 1.0, v134, 1.0
	v_rcp_f32_e32 v168, v167
	s_waitcnt_depctr 0xfff
	v_fma_f32 v129, -v167, v168, 1.0
	s_delay_alu instid0(VALU_DEP_1) | instskip(SKIP_2) | instid1(VALU_DEP_2)
	v_fmac_f32_e32 v168, v129, v168
	v_cndmask_b32_e64 v129, v130, v165, s2
	v_cmp_eq_u32_e64 s2, 6, v141
	v_cndmask_b32_e64 v130, v129, v164, s3
	v_lshlrev_b32_e32 v129, 2, v138
	v_mul_f32_e32 v165, v163, v168
	s_delay_alu instid0(VALU_DEP_3) | instskip(NEXT) | instid1(VALU_DEP_3)
	v_cndmask_b32_e64 v161, v130, v161, s4
	v_or_b32_e32 v130, 1, v129
	s_delay_alu instid0(VALU_DEP_3)
	v_fma_f32 v131, -v167, v165, v163
	v_or_b32_e32 v132, 2, v129
	v_cmp_eq_u32_e64 s3, 1, v129
	v_cndmask_b32_e64 v141, v161, v159, s5
	v_cmp_eq_u32_e64 s8, 1, v130
	v_fmac_f32_e32 v165, v131, v168
	v_or_b32_e32 v131, 3, v129
	v_cmp_eq_u32_e64 s9, 1, v132
	v_cndmask_b32_e64 v141, v141, v160, s2
	v_cmp_eq_u32_e64 s4, 2, v129
	v_fma_f32 v159, -v167, v165, v163
	v_cmp_eq_u32_e64 s10, 1, v131
	v_cmp_eq_u32_e64 s15, 2, v131
	v_cndmask_b32_e64 v141, v141, v162, s6
	v_cmp_eq_u32_e64 s11, 2, v130
	v_div_fmas_f32 v159, v159, v168, v165
	v_cmp_eq_u32_e64 s17, 3, v131
	v_cmp_eq_u32_e32 vcc_lo, 3, v129
	v_cmp_eq_u32_e64 s12, 3, v130
	v_cmp_eq_u32_e64 s13, 2, v132
	v_div_fixup_f32 v159, v159, v134, 1.0
	v_lshl_or_b32 v134, v138, 4, v135
	v_cmp_eq_u32_e64 s21, 4, v131
	v_cmp_eq_u32_e64 s2, 4, v129
	;; [unrolled: 1-line block ×3, first 2 shown]
	v_mul_f32_e32 v141, v141, v159
	v_cmp_eq_u32_e64 s18, 4, v130
	v_cmp_eq_u32_e64 s23, 5, v131
	;; [unrolled: 1-line block ×4, first 2 shown]
	v_fma_mixlo_f16 v159, v141, v144, 0
	v_fma_mixlo_f16 v160, v141, v146, 0
	;; [unrolled: 1-line block ×8, first 2 shown]
	v_fma_mixhi_f16 v159, v141, v143, 0
	v_fma_mixhi_f16 v160, v141, v145, 0
	;; [unrolled: 1-line block ×8, first 2 shown]
	ds_store_b128 v134, v[159:162]
	ds_store_b128 v134, v[163:166] offset:1024
	s_waitcnt lgkmcnt(0)
	s_barrier
	buffer_gl0_inv
	ds_load_b128 v[143:146], v135
	ds_load_b128 v[147:150], v135 offset:16
	ds_load_b128 v[151:154], v135 offset:1024
	;; [unrolled: 1-line block ×3, first 2 shown]
	v_cmp_eq_u32_e64 s20, 4, v132
	v_cmp_eq_u32_e64 s26, 6, v131
	;; [unrolled: 1-line block ×10, first 2 shown]
	s_waitcnt lgkmcnt(3)
	v_lshrrev_b32_e32 v141, 16, v143
	s_waitcnt lgkmcnt(2)
	v_lshrrev_b32_e32 v162, 16, v147
	v_lshrrev_b32_e32 v159, 16, v144
	;; [unrolled: 1-line block ×3, first 2 shown]
	s_waitcnt lgkmcnt(1)
	v_lshrrev_b32_e32 v166, 16, v151
	v_cndmask_b32_e64 v174, v143, v141, s3
	v_cndmask_b32_e64 v176, v143, v141, s8
	v_cndmask_b32_e64 v178, v143, v141, s9
	v_cndmask_b32_e64 v141, v143, v141, s10
	v_cndmask_b32_e64 v143, v147, v162, s10
	s_waitcnt lgkmcnt(0)
	v_lshrrev_b32_e32 v170, 16, v155
	v_cndmask_b32_e64 v175, v147, v162, s3
	v_cndmask_b32_e64 v177, v147, v162, s8
	;; [unrolled: 1-line block ×19, first 2 shown]
	v_lshrrev_b32_e32 v160, 16, v145
	v_lshrrev_b32_e32 v164, 16, v149
	;; [unrolled: 1-line block ×4, first 2 shown]
	v_cndmask_b32_e64 v176, v178, v144, s13
	v_cndmask_b32_e64 v177, v179, v148, s13
	;; [unrolled: 1-line block ×8, first 2 shown]
	v_cndmask_b32_e32 v155, v166, v159, vcc_lo
	v_cndmask_b32_e32 v166, v170, v163, vcc_lo
	v_cndmask_b32_e64 v170, v174, v159, s12
	v_cndmask_b32_e64 v174, v175, v163, s12
	;; [unrolled: 1-line block ×6, first 2 shown]
	v_cndmask_b32_e32 v144, v144, v167, vcc_lo
	v_cndmask_b32_e32 v147, v147, v171, vcc_lo
	v_cndmask_b32_e64 v148, v148, v167, s12
	v_cndmask_b32_e64 v155, v155, v145, s2
	;; [unrolled: 1-line block ×7, first 2 shown]
	v_lshrrev_b32_e32 v161, 16, v146
	v_lshrrev_b32_e32 v165, 16, v150
	;; [unrolled: 1-line block ×4, first 2 shown]
	v_cndmask_b32_e64 v170, v175, v145, s20
	v_cndmask_b32_e64 v174, v176, v149, s20
	;; [unrolled: 1-line block ×22, first 2 shown]
	v_lshrrev_b32_e32 v169, 16, v154
	v_cndmask_b32_e64 v160, v163, v146, s25
	v_cndmask_b32_e64 v163, v166, v150, s25
	;; [unrolled: 1-line block ×9, first 2 shown]
	v_perm_b32 v146, v143, v141, 0x5040100
	v_cndmask_b32_e64 v141, v183, v156, s13
	v_cndmask_b32_e64 v143, v181, v156, s11
	;; [unrolled: 1-line block ×4, first 2 shown]
	v_perm_b32 v144, v159, v149, 0x5040100
	v_cndmask_b32_e64 v149, v162, v167, s16
	v_cndmask_b32_e64 v151, v151, v167, s17
	;; [unrolled: 1-line block ×15, first 2 shown]
	v_lshrrev_b32_e32 v173, 16, v158
	v_cndmask_b32_e64 v149, v149, v154, s25
	v_cndmask_b32_e64 v151, v151, v154, s26
	v_cndmask_b32_e64 v152, v152, v158, s26
	v_cndmask_b32_e64 v141, v141, v158, s25
	v_cndmask_b32_e64 v143, v143, v158, s24
	v_cndmask_b32_e64 v160, v163, v165, s27
	v_cndmask_b32_e64 v163, v145, v169, s29
	v_cndmask_b32_e64 v149, v149, v169, s27
	v_cndmask_b32_e64 v151, v151, v169, s28
	v_cndmask_b32_e64 v152, v152, v173, s28
	v_cndmask_b32_e64 v141, v141, v173, s27
	v_cndmask_b32_e64 v153, v143, v173, s29
	v_cndmask_b32_e64 v154, v150, v173, s7
	v_perm_b32 v145, v160, v155, 0x5040100
	v_perm_b32 v143, v148, v147, 0x5040100
	;; [unrolled: 1-line block ×6, first 2 shown]
	s_mul_i32 s6, s33, 14
	s_mov_b32 s2, exec_lo
	ds_store_b128 v134, v[143:146]
	ds_store_b128 v134, v[147:150] offset:1024
	v_cmpx_gt_u32_e32 14, v0
	s_cbranch_execz .LBB243_14
; %bb.13:
	s_mul_i32 s3, s6, s30
	s_load_b128 s[8:11], s[0:1], 0x58
	v_add3_u32 v143, s3, s31, v140
	s_delay_alu instid0(VALU_DEP_1) | instskip(NEXT) | instid1(VALU_DEP_1)
	v_mad_u64_u32 v[140:141], null, v143, s34, s[14:15]
	v_ashrrev_i32_e32 v141, 31, v140
	s_delay_alu instid0(VALU_DEP_1) | instskip(SKIP_1) | instid1(VALU_DEP_1)
	v_lshlrev_b64 v[140:141], 2, v[140:141]
	s_waitcnt lgkmcnt(0)
	v_add_co_u32 v143, vcc_lo, s10, v140
	s_delay_alu instid0(VALU_DEP_2)
	v_add_co_ci_u32_e32 v144, vcc_lo, s11, v141, vcc_lo
	v_add_co_u32 v140, vcc_lo, s8, v140
	v_add_co_ci_u32_e32 v141, vcc_lo, s9, v141, vcc_lo
	global_store_b32 v[143:144], v136, off
	global_store_b32 v[140:141], v142, off
.LBB243_14:
	s_or_b32 exec_lo, exec_lo, s2
	s_waitcnt lgkmcnt(0)
	s_waitcnt_vscnt null, 0x0
	s_barrier
	buffer_gl0_inv
	ds_load_b128 v[148:151], v133
	ds_load_b128 v[152:155], v133 offset:16
	ds_load_b128 v[160:163], v133 offset:1040
	;; [unrolled: 1-line block ×5, first 2 shown]
	v_cmp_eq_u32_e32 vcc_lo, 1, v132
	v_mov_b32_e32 v140, 0
	ds_load_b128 v[176:179], v133 offset:3088
	ds_load_b128 v[172:175], v133 offset:3072
	;; [unrolled: 1-line block ×4, first 2 shown]
	v_cmp_eq_u32_e64 s2, 1, v129
	v_cmp_eq_u32_e64 s3, 1, v131
	v_cmp_eq_u32_e64 s4, 1, v130
	v_mov_b32_e32 v141, v140
	v_mov_b32_e32 v142, v140
	;; [unrolled: 1-line block ×7, first 2 shown]
	v_cmp_eq_u32_e64 s5, 2, v129
	s_waitcnt lgkmcnt(8)
	s_delay_alu instid0(VALU_DEP_2)
	v_wmma_f32_16x16x16_f16 v[140:147], v[121:128], v[148:155], v[140:147]
	ds_load_b128 v[125:128], v133 offset:5136
	ds_load_b128 v[121:124], v133 offset:5120
	s_waitcnt lgkmcnt(8)
	v_wmma_f32_16x16x16_f16 v[140:147], v[113:120], v[156:163], v[140:147]
	ds_load_b128 v[117:120], v133 offset:6160
	ds_load_b128 v[113:116], v133 offset:6144
	s_waitcnt lgkmcnt(8)
	;; [unrolled: 4-line block ×11, first 2 shown]
	s_barrier
	buffer_gl0_inv
	v_wmma_f32_16x16x16_f16 v[140:147], v[1:8], v[73:80], v[140:147]
	s_delay_alu instid0(VALU_DEP_1) | instskip(NEXT) | instid1(VALU_DEP_1)
	v_wmma_f32_16x16x16_f16 v[140:147], v[9:16], v[65:72], v[140:147]
	v_wmma_f32_16x16x16_f16 v[140:147], v[33:40], v[57:64], v[140:147]
	s_delay_alu instid0(VALU_DEP_1) | instskip(NEXT) | instid1(VALU_DEP_1)
	v_wmma_f32_16x16x16_f16 v[140:147], v[41:48], v[49:56], v[140:147]
	v_wmma_f32_16x16x16_f16 v[140:147], v[17:24], v[25:32], v[140:147]
	s_delay_alu instid0(VALU_DEP_1) | instskip(NEXT) | instid1(VALU_DEP_2)
	v_cvt_f16_f32_e64 v1, v140
	v_cvt_f16_f32_e64 v2, v141
	s_delay_alu instid0(VALU_DEP_3) | instskip(NEXT) | instid1(VALU_DEP_4)
	v_cvt_f16_f32_e64 v3, v142
	v_cvt_f16_f32_e64 v4, v143
	v_cvt_f16_f32_e64 v5, v144
	v_cvt_f16_f32_e64 v6, v145
	v_cvt_f16_f32_e64 v7, v146
	v_cvt_f16_f32_e64 v8, v147
	v_pack_b32_f16 v1, v1, v2
	v_pack_b32_f16 v2, v3, v4
	;; [unrolled: 1-line block ×3, first 2 shown]
	s_delay_alu instid0(VALU_DEP_4)
	v_pack_b32_f16 v4, v7, v8
	ds_store_b128 v134, v[1:4]
	s_waitcnt lgkmcnt(0)
	s_barrier
	buffer_gl0_inv
	ds_load_b128 v[1:4], v135
	ds_load_b128 v[5:8], v135 offset:16
	s_waitcnt lgkmcnt(1)
	v_lshrrev_b32_e32 v9, 16, v1
	s_waitcnt lgkmcnt(0)
	v_lshrrev_b32_e32 v13, 16, v5
	v_lshrrev_b32_e32 v10, 16, v2
	;; [unrolled: 1-line block ×4, first 2 shown]
	v_cndmask_b32_e64 v17, v1, v9, s2
	v_cndmask_b32_e64 v18, v5, v13, s2
	;; [unrolled: 1-line block ×3, first 2 shown]
	v_cmp_eq_u32_e64 s2, 2, v130
	v_cndmask_b32_e64 v20, v5, v13, s4
	v_cndmask_b32_e32 v21, v1, v9, vcc_lo
	v_cndmask_b32_e32 v22, v5, v13, vcc_lo
	v_cndmask_b32_e64 v1, v1, v9, s3
	v_cndmask_b32_e64 v5, v5, v13, s3
	v_cmp_eq_u32_e32 vcc_lo, 2, v132
	v_cmp_eq_u32_e64 s3, 2, v131
	v_cndmask_b32_e64 v9, v17, v2, s5
	v_cndmask_b32_e64 v13, v18, v6, s5
	;; [unrolled: 1-line block ×4, first 2 shown]
	v_cndmask_b32_e32 v19, v21, v2, vcc_lo
	v_cmp_eq_u32_e64 s2, 3, v132
	v_cndmask_b32_e32 v20, v22, v6, vcc_lo
	v_cndmask_b32_e64 v1, v1, v2, s3
	v_cmp_eq_u32_e32 vcc_lo, 3, v131
	v_cmp_eq_u32_e64 s4, 3, v129
	v_cndmask_b32_e64 v2, v5, v6, s3
	v_cmp_eq_u32_e64 s3, 3, v130
	v_cmp_eq_u32_e64 s5, 4, v129
	v_cndmask_b32_e32 v1, v1, v10, vcc_lo
	v_cndmask_b32_e64 v5, v9, v10, s4
	v_cndmask_b32_e64 v6, v13, v14, s4
	;; [unrolled: 1-line block ×3, first 2 shown]
	v_cmp_eq_u32_e64 s4, 4, v130
	v_cndmask_b32_e64 v13, v18, v14, s3
	v_cndmask_b32_e64 v17, v19, v10, s2
	;; [unrolled: 1-line block ×3, first 2 shown]
	v_cndmask_b32_e32 v2, v2, v14, vcc_lo
	v_cmp_eq_u32_e32 vcc_lo, 4, v132
	v_cmp_eq_u32_e64 s3, 4, v131
	v_lshrrev_b32_e32 v15, 16, v7
	v_cndmask_b32_e64 v5, v5, v3, s5
	v_cndmask_b32_e64 v6, v6, v7, s5
	v_cndmask_b32_e32 v14, v18, v7, vcc_lo
	v_cndmask_b32_e64 v9, v9, v3, s4
	v_cndmask_b32_e64 v10, v13, v7, s4
	v_cndmask_b32_e32 v13, v17, v3, vcc_lo
	v_cmp_eq_u32_e64 s2, 5, v132
	v_cndmask_b32_e64 v1, v1, v3, s3
	v_cmp_eq_u32_e32 vcc_lo, 5, v131
	v_cmp_eq_u32_e64 s4, 5, v129
	v_cndmask_b32_e64 v2, v2, v7, s3
	v_cmp_eq_u32_e64 s3, 5, v130
	v_cmp_eq_u32_e64 s5, 6, v129
	v_lshrrev_b32_e32 v12, 16, v4
	v_cndmask_b32_e64 v3, v5, v11, s4
	v_cndmask_b32_e64 v5, v6, v15, s4
	;; [unrolled: 1-line block ×3, first 2 shown]
	v_cmp_eq_u32_e64 s4, 6, v130
	v_cndmask_b32_e64 v7, v10, v15, s3
	v_cndmask_b32_e64 v9, v13, v11, s2
	;; [unrolled: 1-line block ×3, first 2 shown]
	v_cndmask_b32_e32 v1, v1, v11, vcc_lo
	v_cndmask_b32_e32 v2, v2, v15, vcc_lo
	v_cmp_eq_u32_e32 vcc_lo, 6, v132
	v_cmp_eq_u32_e64 s2, 6, v131
	v_lshrrev_b32_e32 v16, 16, v8
	v_cndmask_b32_e64 v3, v3, v4, s5
	v_cndmask_b32_e64 v5, v5, v8, s5
	v_cndmask_b32_e32 v9, v9, v4, vcc_lo
	v_cndmask_b32_e64 v6, v6, v4, s4
	v_cndmask_b32_e64 v7, v7, v8, s4
	v_cmp_eq_u32_e64 s3, 7, v132
	v_cndmask_b32_e32 v10, v10, v8, vcc_lo
	v_cndmask_b32_e64 v1, v1, v4, s2
	v_cmp_eq_u32_e32 vcc_lo, 7, v131
	v_cndmask_b32_e64 v2, v2, v8, s2
	v_cmp_eq_u32_e64 s2, 7, v129
	v_cmp_eq_u32_e64 s4, 7, v130
	v_cndmask_b32_e32 v1, v1, v12, vcc_lo
	s_delay_alu instid0(VALU_DEP_4) | instskip(NEXT) | instid1(VALU_DEP_4)
	v_cndmask_b32_e32 v2, v2, v16, vcc_lo
	v_cndmask_b32_e64 v8, v3, v12, s2
	s_delay_alu instid0(VALU_DEP_4)
	v_cndmask_b32_e64 v6, v6, v12, s4
	v_cndmask_b32_e64 v3, v9, v12, s3
	;; [unrolled: 1-line block ×5, first 2 shown]
	v_perm_b32 v4, v2, v1, 0x5040100
	s_mov_b32 s2, exec_lo
	v_perm_b32 v3, v9, v3, 0x5040100
	v_perm_b32 v2, v7, v6, 0x5040100
	;; [unrolled: 1-line block ×3, first 2 shown]
	ds_store_b128 v134, v[1:4]
	s_waitcnt lgkmcnt(0)
	s_barrier
	buffer_gl0_inv
	v_cmpx_gt_u32_e32 32, v0
	s_cbranch_execz .LBB243_2
; %bb.15:
	s_load_b64 s[0:1], s[0:1], 0x68
	v_lshlrev_b32_e32 v0, 10, v0
	s_lshl_b32 s4, s34, 7
	v_or_b32_e32 v3, s31, v138
	s_mul_i32 s2, s4, s30
	v_lshlrev_b32_e32 v1, 4, v139
	v_lshlrev_b32_e32 v2, 6, v138
	v_and_b32_e32 v0, 0x3800, v0
	s_mul_i32 s2, s2, s6
	v_mul_lo_u32 v8, v3, s4
	s_ashr_i32 s3, s2, 31
	s_delay_alu instid0(SALU_CYCLE_1)
	s_lshl_b64 s[2:3], s[2:3], 1
	v_or3_b32 v16, v0, v1, v2
	ds_load_b128 v[0:3], v16
	ds_load_b128 v[4:7], v16 offset:128
	v_ashrrev_i32_e32 v9, 31, v8
	s_waitcnt lgkmcnt(0)
	s_add_u32 s2, s0, s2
	s_addc_u32 s3, s1, s3
	s_lshl_b32 s0, s14, 7
	s_delay_alu instid0(SALU_CYCLE_1) | instskip(SKIP_2) | instid1(SALU_CYCLE_1)
	s_ashr_i32 s1, s0, 31
	v_lshlrev_b64 v[9:10], 1, v[8:9]
	s_lshl_b64 s[0:1], s[0:1], 1
	s_add_u32 s0, s2, s0
	s_addc_u32 s1, s3, s1
	s_lshl_b32 s2, s34, 8
	v_add_co_u32 v30, s0, s0, v137
	v_add_nc_u32_e32 v11, s2, v8
	v_add_co_ci_u32_e64 v31, null, s1, 0, s0
	s_delay_alu instid0(VALU_DEP_3) | instskip(NEXT) | instid1(VALU_DEP_3)
	v_add_co_u32 v9, vcc_lo, v30, v9
	v_add_nc_u32_e32 v8, s2, v11
	s_delay_alu instid0(VALU_DEP_3) | instskip(SKIP_1) | instid1(VALU_DEP_3)
	v_add_co_ci_u32_e32 v10, vcc_lo, v31, v10, vcc_lo
	v_ashrrev_i32_e32 v12, 31, v11
	v_add_nc_u32_e32 v13, s2, v8
	global_store_b128 v[9:10], v[0:3], off
	v_ashrrev_i32_e32 v9, 31, v8
	v_lshlrev_b64 v[11:12], 1, v[11:12]
	v_ashrrev_i32_e32 v14, 31, v13
	v_add_nc_u32_e32 v10, s2, v13
	s_delay_alu instid0(VALU_DEP_4) | instskip(NEXT) | instid1(VALU_DEP_4)
	v_lshlrev_b64 v[2:3], 1, v[8:9]
	v_add_co_u32 v0, vcc_lo, v30, v11
	s_delay_alu instid0(VALU_DEP_4)
	v_lshlrev_b64 v[8:9], 1, v[13:14]
	v_add_co_ci_u32_e32 v1, vcc_lo, v31, v12, vcc_lo
	v_ashrrev_i32_e32 v11, 31, v10
	v_add_co_u32 v22, vcc_lo, v30, v2
	v_add_nc_u32_e32 v20, s2, v10
	v_add_co_ci_u32_e32 v23, vcc_lo, v31, v3, vcc_lo
	v_add_co_u32 v24, vcc_lo, v30, v8
	global_store_b128 v[0:1], v[4:7], off
	v_add_co_ci_u32_e32 v25, vcc_lo, v31, v9, vcc_lo
	ds_load_b128 v[0:3], v16 offset:256
	ds_load_b128 v[4:7], v16 offset:384
	v_lshlrev_b64 v[26:27], 1, v[10:11]
	ds_load_b128 v[8:11], v16 offset:512
	ds_load_b128 v[12:15], v16 offset:640
	;; [unrolled: 1-line block ×3, first 2 shown]
	v_add_nc_u32_e32 v28, s2, v20
	v_ashrrev_i32_e32 v21, 31, v20
	v_add_co_u32 v26, vcc_lo, v30, v26
	s_delay_alu instid0(VALU_DEP_3) | instskip(NEXT) | instid1(VALU_DEP_3)
	v_ashrrev_i32_e32 v29, 31, v28
	v_lshlrev_b64 v[20:21], 1, v[20:21]
	v_add_co_ci_u32_e32 v27, vcc_lo, v31, v27, vcc_lo
	s_delay_alu instid0(VALU_DEP_3) | instskip(NEXT) | instid1(VALU_DEP_3)
	v_lshlrev_b64 v[28:29], 1, v[28:29]
	v_add_co_u32 v20, vcc_lo, v30, v20
	s_delay_alu instid0(VALU_DEP_4) | instskip(NEXT) | instid1(VALU_DEP_3)
	v_add_co_ci_u32_e32 v21, vcc_lo, v31, v21, vcc_lo
	v_add_co_u32 v28, vcc_lo, v30, v28
	s_delay_alu instid0(VALU_DEP_4)
	v_add_co_ci_u32_e32 v29, vcc_lo, v31, v29, vcc_lo
	s_waitcnt lgkmcnt(4)
	global_store_b128 v[22:23], v[0:3], off
	s_waitcnt lgkmcnt(3)
	global_store_b128 v[24:25], v[4:7], off
	;; [unrolled: 2-line block ×5, first 2 shown]
	s_nop 0
	s_sendmsg sendmsg(MSG_DEALLOC_VGPRS)
	s_endpgm
	.section	.rodata,"a",@progbits
	.p2align	6, 0x0
	.amdhsa_kernel _Z39paged_attention_ll4mi_QKV_mfma16_kernelIDF16_DF16_LN4vllm18Fp8KVCacheDataTypeE0EhLi16ELi128ELi256ELb0ELi14EL8MFMAType0EEvPKT_PKT0_S8_ifPKiSA_SA_iPKfiiiPfSD_PS3_PT2_iSC_SC_
		.amdhsa_group_segment_fixed_size 17472
		.amdhsa_private_segment_fixed_size 0
		.amdhsa_kernarg_size 400
		.amdhsa_user_sgpr_count 13
		.amdhsa_user_sgpr_dispatch_ptr 0
		.amdhsa_user_sgpr_queue_ptr 0
		.amdhsa_user_sgpr_kernarg_segment_ptr 1
		.amdhsa_user_sgpr_dispatch_id 0
		.amdhsa_user_sgpr_private_segment_size 0
		.amdhsa_wavefront_size32 1
		.amdhsa_uses_dynamic_stack 0
		.amdhsa_enable_private_segment 0
		.amdhsa_system_sgpr_workgroup_id_x 1
		.amdhsa_system_sgpr_workgroup_id_y 1
		.amdhsa_system_sgpr_workgroup_id_z 1
		.amdhsa_system_sgpr_workgroup_info 0
		.amdhsa_system_vgpr_workitem_id 0
		.amdhsa_next_free_vgpr 218
		.amdhsa_next_free_sgpr 52
		.amdhsa_reserve_vcc 1
		.amdhsa_float_round_mode_32 0
		.amdhsa_float_round_mode_16_64 0
		.amdhsa_float_denorm_mode_32 3
		.amdhsa_float_denorm_mode_16_64 3
		.amdhsa_dx10_clamp 1
		.amdhsa_ieee_mode 1
		.amdhsa_fp16_overflow 0
		.amdhsa_workgroup_processor_mode 1
		.amdhsa_memory_ordered 1
		.amdhsa_forward_progress 0
		.amdhsa_shared_vgpr_count 0
		.amdhsa_exception_fp_ieee_invalid_op 0
		.amdhsa_exception_fp_denorm_src 0
		.amdhsa_exception_fp_ieee_div_zero 0
		.amdhsa_exception_fp_ieee_overflow 0
		.amdhsa_exception_fp_ieee_underflow 0
		.amdhsa_exception_fp_ieee_inexact 0
		.amdhsa_exception_int_div_zero 0
	.end_amdhsa_kernel
	.section	.text._Z39paged_attention_ll4mi_QKV_mfma16_kernelIDF16_DF16_LN4vllm18Fp8KVCacheDataTypeE0EhLi16ELi128ELi256ELb0ELi14EL8MFMAType0EEvPKT_PKT0_S8_ifPKiSA_SA_iPKfiiiPfSD_PS3_PT2_iSC_SC_,"axG",@progbits,_Z39paged_attention_ll4mi_QKV_mfma16_kernelIDF16_DF16_LN4vllm18Fp8KVCacheDataTypeE0EhLi16ELi128ELi256ELb0ELi14EL8MFMAType0EEvPKT_PKT0_S8_ifPKiSA_SA_iPKfiiiPfSD_PS3_PT2_iSC_SC_,comdat
.Lfunc_end243:
	.size	_Z39paged_attention_ll4mi_QKV_mfma16_kernelIDF16_DF16_LN4vllm18Fp8KVCacheDataTypeE0EhLi16ELi128ELi256ELb0ELi14EL8MFMAType0EEvPKT_PKT0_S8_ifPKiSA_SA_iPKfiiiPfSD_PS3_PT2_iSC_SC_, .Lfunc_end243-_Z39paged_attention_ll4mi_QKV_mfma16_kernelIDF16_DF16_LN4vllm18Fp8KVCacheDataTypeE0EhLi16ELi128ELi256ELb0ELi14EL8MFMAType0EEvPKT_PKT0_S8_ifPKiSA_SA_iPKfiiiPfSD_PS3_PT2_iSC_SC_
                                        ; -- End function
	.section	.AMDGPU.csdata,"",@progbits
; Kernel info:
; codeLenInByte = 8220
; NumSgprs: 54
; NumVgprs: 218
; ScratchSize: 0
; MemoryBound: 0
; FloatMode: 240
; IeeeMode: 1
; LDSByteSize: 17472 bytes/workgroup (compile time only)
; SGPRBlocks: 6
; VGPRBlocks: 27
; NumSGPRsForWavesPerEU: 54
; NumVGPRsForWavesPerEU: 218
; Occupancy: 6
; WaveLimiterHint : 1
; COMPUTE_PGM_RSRC2:SCRATCH_EN: 0
; COMPUTE_PGM_RSRC2:USER_SGPR: 13
; COMPUTE_PGM_RSRC2:TRAP_HANDLER: 0
; COMPUTE_PGM_RSRC2:TGID_X_EN: 1
; COMPUTE_PGM_RSRC2:TGID_Y_EN: 1
; COMPUTE_PGM_RSRC2:TGID_Z_EN: 1
; COMPUTE_PGM_RSRC2:TIDIG_COMP_CNT: 0
	.section	.text._Z39paged_attention_ll4mi_QKV_mfma16_kernelIDF16_DF16_LN4vllm18Fp8KVCacheDataTypeE0EhLi16ELi128ELi256ELb0ELi15EL8MFMAType0EEvPKT_PKT0_S8_ifPKiSA_SA_iPKfiiiPfSD_PS3_PT2_iSC_SC_,"axG",@progbits,_Z39paged_attention_ll4mi_QKV_mfma16_kernelIDF16_DF16_LN4vllm18Fp8KVCacheDataTypeE0EhLi16ELi128ELi256ELb0ELi15EL8MFMAType0EEvPKT_PKT0_S8_ifPKiSA_SA_iPKfiiiPfSD_PS3_PT2_iSC_SC_,comdat
	.protected	_Z39paged_attention_ll4mi_QKV_mfma16_kernelIDF16_DF16_LN4vllm18Fp8KVCacheDataTypeE0EhLi16ELi128ELi256ELb0ELi15EL8MFMAType0EEvPKT_PKT0_S8_ifPKiSA_SA_iPKfiiiPfSD_PS3_PT2_iSC_SC_ ; -- Begin function _Z39paged_attention_ll4mi_QKV_mfma16_kernelIDF16_DF16_LN4vllm18Fp8KVCacheDataTypeE0EhLi16ELi128ELi256ELb0ELi15EL8MFMAType0EEvPKT_PKT0_S8_ifPKiSA_SA_iPKfiiiPfSD_PS3_PT2_iSC_SC_
	.globl	_Z39paged_attention_ll4mi_QKV_mfma16_kernelIDF16_DF16_LN4vllm18Fp8KVCacheDataTypeE0EhLi16ELi128ELi256ELb0ELi15EL8MFMAType0EEvPKT_PKT0_S8_ifPKiSA_SA_iPKfiiiPfSD_PS3_PT2_iSC_SC_
	.p2align	8
	.type	_Z39paged_attention_ll4mi_QKV_mfma16_kernelIDF16_DF16_LN4vllm18Fp8KVCacheDataTypeE0EhLi16ELi128ELi256ELb0ELi15EL8MFMAType0EEvPKT_PKT0_S8_ifPKiSA_SA_iPKfiiiPfSD_PS3_PT2_iSC_SC_,@function
_Z39paged_attention_ll4mi_QKV_mfma16_kernelIDF16_DF16_LN4vllm18Fp8KVCacheDataTypeE0EhLi16ELi128ELi256ELb0ELi15EL8MFMAType0EEvPKT_PKT0_S8_ifPKiSA_SA_iPKfiiiPfSD_PS3_PT2_iSC_SC_: ; @_Z39paged_attention_ll4mi_QKV_mfma16_kernelIDF16_DF16_LN4vllm18Fp8KVCacheDataTypeE0EhLi16ELi128ELi256ELb0ELi15EL8MFMAType0EEvPKT_PKT0_S8_ifPKiSA_SA_iPKfiiiPfSD_PS3_PT2_iSC_SC_
; %bb.0:
	s_load_b64 s[4:5], s[0:1], 0x30
	s_mov_b32 s34, s13
	s_waitcnt lgkmcnt(0)
	s_cmp_lg_u64 s[4:5], 0
	s_cselect_b32 s12, -1, 0
	s_ashr_i32 s35, s13, 31
	s_cmp_eq_u64 s[4:5], 0
	s_cbranch_scc1 .LBB244_3
; %bb.1:
	s_lshl_b64 s[2:3], s[34:35], 2
	s_delay_alu instid0(SALU_CYCLE_1) | instskip(SKIP_4) | instid1(SALU_CYCLE_1)
	s_add_u32 s2, s4, s2
	s_addc_u32 s3, s5, s3
	s_load_b64 s[2:3], s[2:3], 0x0
	s_waitcnt lgkmcnt(0)
	s_sub_i32 s2, s3, s2
	s_cmp_eq_u32 s2, 1
	s_cselect_b32 s2, -1, 0
	s_delay_alu instid0(SALU_CYCLE_1)
	s_and_not1_b32 vcc_lo, exec_lo, s2
	s_cbranch_vccz .LBB244_4
.LBB244_2:
	s_nop 0
	s_sendmsg sendmsg(MSG_DEALLOC_VGPRS)
	s_endpgm
.LBB244_3:
.LBB244_4:
	s_load_b64 s[2:3], s[0:1], 0x28
	s_lshl_b64 s[6:7], s[34:35], 2
	s_waitcnt lgkmcnt(0)
	s_add_u32 s2, s2, s6
	s_addc_u32 s3, s3, s7
	s_lshl_b32 s29, s14, 8
	s_load_b32 s28, s[2:3], 0x0
	s_waitcnt lgkmcnt(0)
	s_cmp_ge_i32 s29, s28
	s_cbranch_scc1 .LBB244_2
; %bb.5:
	s_clause 0x1
	s_load_b128 s[8:11], s[0:1], 0x8
	s_load_b64 s[2:3], s[0:1], 0x20
	s_and_not1_b32 vcc_lo, exec_lo, s12
	s_cbranch_vccnz .LBB244_7
; %bb.6:
	s_add_u32 s4, s4, s6
	s_addc_u32 s5, s5, s7
	s_load_b32 s12, s[4:5], 0x0
	s_branch .LBB244_8
.LBB244_7:
	s_mov_b32 s12, s34
.LBB244_8:
	s_load_b128 s[4:7], s[0:1], 0x48
	v_and_b32_e32 v140, 15, v0
	v_lshrrev_b32_e32 v141, 5, v0
	v_bfe_u32 v138, v0, 4, 1
	v_and_b32_e32 v142, 31, v0
	v_and_b32_e32 v139, 1, v0
	v_lshlrev_b32_e32 v2, 3, v140
	s_mul_i32 s31, s15, 15
	v_lshl_or_b32 v1, v141, 1, v138
	s_waitcnt lgkmcnt(0)
	s_mov_b32 s7, exec_lo
	v_lshlrev_b32_e32 v137, 1, v2
	s_delay_alu instid0(VALU_DEP_2)
	v_cmpx_gt_u32_e32 15, v1
	s_cbranch_execz .LBB244_10
; %bb.9:
	s_load_b64 s[16:17], s[0:1], 0x0
	v_add_lshl_u32 v2, v1, s31, 7
	s_mul_hi_i32 s13, s12, s4
	s_mul_i32 s12, s12, s4
	v_lshlrev_b32_e32 v6, 10, v140
	s_lshl_b64 s[12:13], s[12:13], 1
	v_ashrrev_i32_e32 v3, 31, v2
	v_lshlrev_b32_e32 v1, 6, v1
	v_lshlrev_b32_e32 v7, 10, v139
	v_and_b32_e32 v6, 0x3800, v6
	s_delay_alu instid0(VALU_DEP_4) | instskip(NEXT) | instid1(VALU_DEP_2)
	v_lshlrev_b64 v[2:3], 1, v[2:3]
	v_or3_b32 v1, v6, v7, v1
	s_waitcnt lgkmcnt(0)
	s_add_u32 s4, s16, s12
	s_addc_u32 s12, s17, s13
	s_delay_alu instid0(VALU_DEP_2) | instskip(SKIP_1) | instid1(VALU_DEP_2)
	v_add_co_u32 v2, vcc_lo, s4, v2
	v_add_co_ci_u32_e32 v3, vcc_lo, s12, v3, vcc_lo
	v_add_co_u32 v2, vcc_lo, v2, v137
	s_delay_alu instid0(VALU_DEP_2)
	v_add_co_ci_u32_e32 v3, vcc_lo, 0, v3, vcc_lo
	global_load_b128 v[2:5], v[2:3], off
	s_waitcnt vmcnt(0)
	ds_store_b128 v1, v[2:5]
.LBB244_10:
	s_or_b32 exec_lo, exec_lo, s7
	s_mov_b32 s40, 0
	s_add_i32 s4, s28, 15
	s_mov_b32 s41, s40
	s_mov_b32 s42, s40
	;; [unrolled: 1-line block ×7, first 2 shown]
	s_delay_alu instid0(SALU_CYCLE_1)
	v_dual_mov_b32 v136, s47 :: v_dual_and_b32 v1, 0xef, v0
	v_mov_b32_e32 v134, s45
	s_clause 0x1
	s_load_b32 s7, s[0:1], 0x38
	s_load_b32 s33, s[0:1], 0x98
	v_add_nc_u32_e32 v1, s29, v1
	s_ashr_i32 s12, s4, 31
	s_load_b32 s30, s[0:1], 0x1c
	s_lshr_b32 s12, s12, 28
	s_waitcnt lgkmcnt(0)
	v_ashrrev_i32_e32 v2, 31, v1
	s_add_i32 s4, s4, s12
	v_cmp_gt_i32_e32 vcc_lo, s28, v1
	s_ashr_i32 s4, s4, 4
	v_mov_b32_e32 v132, s43
	v_lshrrev_b32_e32 v3, 28, v2
	v_or_b32_e32 v2, 16, v1
	s_add_i32 s4, s4, -1
	s_barrier
	buffer_gl0_inv
	v_add_nc_u32_e32 v4, v1, v3
	v_add_nc_u32_e32 v3, v2, v3
	v_mov_b32_e32 v135, s46
	s_mul_i32 s12, s34, s7
	v_mov_b32_e32 v133, s44
	v_ashrrev_i32_e32 v4, 4, v4
	v_ashrrev_i32_e32 v3, 4, v3
	s_ashr_i32 s13, s12, 31
	v_lshlrev_b32_e32 v106, 5, v140
	s_lshl_b64 s[12:13], s[12:13], 2
	v_cndmask_b32_e32 v1, s4, v4, vcc_lo
	v_cmp_gt_i32_e32 vcc_lo, s28, v2
	s_add_u32 s35, s2, s12
	s_addc_u32 s36, s3, s13
	s_mul_i32 s2, s15, s6
	v_ashrrev_i32_e32 v2, 31, v1
	v_cndmask_b32_e32 v3, s4, v3, vcc_lo
	s_ashr_i32 s3, s2, 31
	v_lshl_or_b32 v125, v141, 9, v106
	s_lshl_b64 s[2:3], s[2:3], 1
	v_lshlrev_b64 v[1:2], 2, v[1:2]
	v_ashrrev_i32_e32 v4, 31, v3
	s_add_u32 s22, s8, s2
	s_addc_u32 s23, s9, s3
	s_lshl_b32 s6, s14, 4
	v_mov_b32_e32 v131, s42
	v_lshlrev_b64 v[3:4], 2, v[3:4]
	v_add_co_u32 v1, vcc_lo, s35, v1
	v_add_co_ci_u32_e32 v2, vcc_lo, s36, v2, vcc_lo
	s_ashr_i32 s7, s6, 31
	s_delay_alu instid0(VALU_DEP_3) | instskip(NEXT) | instid1(VALU_DEP_4)
	v_add_co_u32 v3, vcc_lo, s35, v3
	v_add_co_ci_u32_e32 v4, vcc_lo, s36, v4, vcc_lo
	s_clause 0x1
	global_load_b32 v5, v[1:2], off
	global_load_b32 v6, v[3:4], off
	s_lshl_b64 s[6:7], s[6:7], 2
	v_dual_mov_b32 v130, s41 :: v_dual_lshlrev_b32 v3, 4, v0
	s_add_u32 s6, s35, s6
	s_addc_u32 s7, s36, s7
	s_or_b32 s8, s29, 16
	v_mov_b32_e32 v129, s40
	s_ashr_i32 s9, s8, 4
	s_cmp_lt_i32 s8, s28
	s_cselect_b32 s8, s9, s4
	s_delay_alu instid0(SALU_CYCLE_1) | instskip(NEXT) | instid1(SALU_CYCLE_1)
	s_ashr_i32 s9, s8, 31
	s_lshl_b64 s[8:9], s[8:9], 2
	s_delay_alu instid0(SALU_CYCLE_1) | instskip(SKIP_2) | instid1(SALU_CYCLE_1)
	s_add_u32 s8, s35, s8
	s_addc_u32 s9, s36, s9
	s_or_b32 s12, s29, 32
	s_ashr_i32 s13, s12, 4
	s_cmp_lt_i32 s12, s28
	s_cselect_b32 s12, s13, s4
	s_delay_alu instid0(SALU_CYCLE_1) | instskip(NEXT) | instid1(SALU_CYCLE_1)
	s_ashr_i32 s13, s12, 31
	s_lshl_b64 s[12:13], s[12:13], 2
	s_delay_alu instid0(SALU_CYCLE_1) | instskip(SKIP_2) | instid1(SALU_CYCLE_1)
	s_add_u32 s12, s35, s12
	s_addc_u32 s13, s36, s13
	s_or_b32 s15, s29, 48
	;; [unrolled: 10-line block ×4, first 2 shown]
	s_ashr_i32 s20, s15, 4
	s_cmp_lt_i32 s15, s28
	s_cselect_b32 s20, s20, s4
	s_delay_alu instid0(SALU_CYCLE_1) | instskip(NEXT) | instid1(SALU_CYCLE_1)
	s_ashr_i32 s21, s20, 31
	s_lshl_b64 s[20:21], s[20:21], 2
	s_delay_alu instid0(SALU_CYCLE_1)
	s_add_u32 s20, s35, s20
	s_addc_u32 s21, s36, s21
	s_clause 0x5
	s_load_b32 s6, s[6:7], 0x0
	s_load_b32 s8, s[8:9], 0x0
	;; [unrolled: 1-line block ×6, first 2 shown]
	s_waitcnt vmcnt(1)
	v_mad_i64_i32 v[1:2], null, v5, s5, 0
	v_and_b32_e32 v5, 0xf0, v3
	s_waitcnt vmcnt(0)
	v_mad_i64_i32 v[3:4], null, v6, s5, 0
	s_delay_alu instid0(VALU_DEP_2) | instskip(NEXT) | instid1(VALU_DEP_4)
	v_add_co_u32 v5, s7, s22, v5
	v_lshlrev_b64 v[1:2], 1, v[1:2]
	v_add_co_ci_u32_e64 v6, null, s23, 0, s7
	s_delay_alu instid0(VALU_DEP_4) | instskip(SKIP_1) | instid1(VALU_DEP_3)
	v_lshlrev_b64 v[3:4], 1, v[3:4]
	s_or_b32 s7, s29, 0x60
	v_add_co_u32 v121, vcc_lo, v5, v1
	s_delay_alu instid0(VALU_DEP_3) | instskip(NEXT) | instid1(VALU_DEP_3)
	v_add_co_ci_u32_e32 v122, vcc_lo, v6, v2, vcc_lo
	v_add_co_u32 v123, vcc_lo, v5, v3
	s_delay_alu instid0(VALU_DEP_4)
	v_add_co_ci_u32_e32 v124, vcc_lo, v6, v4, vcc_lo
	s_clause 0x19
	global_load_b128 v[89:92], v[121:122], off
	global_load_b128 v[93:96], v[121:122], off offset:256
	global_load_b128 v[97:100], v[123:124], off
	global_load_b128 v[101:104], v[123:124], off offset:256
	global_load_b128 v[81:84], v[121:122], off offset:512
	;; [unrolled: 1-line block ×23, first 2 shown]
	s_ashr_i32 s9, s7, 4
	s_cmp_lt_i32 s7, s28
	v_cmp_ne_u32_e32 vcc_lo, 15, v140
	s_cselect_b32 s20, s9, s4
	s_delay_alu instid0(SALU_CYCLE_1) | instskip(NEXT) | instid1(SALU_CYCLE_1)
	s_ashr_i32 s21, s20, 31
	s_lshl_b64 s[20:21], s[20:21], 2
	v_cndmask_b32_e32 v105, 0, v140, vcc_lo
	s_add_u32 s20, s35, s20
	s_addc_u32 s21, s36, s21
	s_or_b32 s7, s29, 0x70
	s_delay_alu instid0(SALU_CYCLE_1)
	s_ashr_i32 s9, s7, 4
	s_cmp_lt_i32 s7, s28
	v_lshlrev_b32_e32 v215, 6, v105
	s_cselect_b32 s22, s9, s4
	ds_load_b128 v[105:108], v215
	ds_load_b128 v[109:112], v215 offset:1024
	s_ashr_i32 s23, s22, 31
	ds_load_b128 v[113:116], v215 offset:2048
	ds_load_b128 v[117:120], v215 offset:3072
	;; [unrolled: 1-line block ×8, first 2 shown]
	s_clause 0x1
	global_load_b128 v[167:170], v[123:124], off offset:3072
	global_load_b128 v[171:174], v[123:124], off offset:3328
	s_lshl_b64 s[22:23], s[22:23], 2
	s_delay_alu instid0(SALU_CYCLE_1)
	s_add_u32 s22, s35, s22
	s_addc_u32 s23, s36, s23
	s_clause 0x1
	s_load_b32 s44, s[20:21], 0x0
	s_load_b32 s45, s[22:23], 0x0
	s_clause 0x3
	global_load_b128 v[175:178], v[121:122], off offset:3584
	global_load_b128 v[179:182], v[121:122], off offset:3840
	;; [unrolled: 1-line block ×4, first 2 shown]
	s_or_b32 s7, s29, 0x80
	s_delay_alu instid0(SALU_CYCLE_1) | instskip(SKIP_2) | instid1(SALU_CYCLE_1)
	s_ashr_i32 s9, s7, 4
	s_cmp_lt_i32 s7, s28
	s_cselect_b32 s24, s9, s4
	s_ashr_i32 s25, s24, 31
	s_delay_alu instid0(SALU_CYCLE_1) | instskip(NEXT) | instid1(SALU_CYCLE_1)
	s_lshl_b64 s[24:25], s[24:25], 2
	s_add_u32 s24, s35, s24
	s_addc_u32 s25, s36, s25
	s_or_b32 s7, s29, 0x90
	s_delay_alu instid0(SALU_CYCLE_1) | instskip(SKIP_2) | instid1(SALU_CYCLE_1)
	s_ashr_i32 s9, s7, 4
	s_cmp_lt_i32 s7, s28
	s_cselect_b32 s26, s9, s4
	s_ashr_i32 s27, s26, 31
	s_delay_alu instid0(SALU_CYCLE_1) | instskip(NEXT) | instid1(SALU_CYCLE_1)
	s_lshl_b64 s[26:27], s[26:27], 2
	s_add_u32 s26, s35, s26
	s_addc_u32 s27, s36, s27
	s_or_b32 s7, s29, 0xa0
	s_delay_alu instid0(SALU_CYCLE_1)
	s_ashr_i32 s9, s7, 4
	s_cmp_lt_i32 s7, s28
	s_waitcnt lgkmcnt(0)
	s_mul_hi_i32 s7, s6, s5
	s_cselect_b32 s38, s9, s4
	s_mul_i32 s6, s6, s5
	s_ashr_i32 s39, s38, 31
	s_delay_alu instid0(SALU_CYCLE_1) | instskip(NEXT) | instid1(SALU_CYCLE_1)
	s_lshl_b64 s[38:39], s[38:39], 2
	s_add_u32 s38, s35, s38
	s_addc_u32 s39, s36, s39
	s_or_b32 s9, s29, 0xb0
	s_load_b32 s39, s[38:39], 0x0
	s_ashr_i32 s13, s9, 4
	s_cmp_lt_i32 s9, s28
	s_mul_hi_i32 s9, s8, s5
	s_cselect_b32 s40, s13, s4
	s_mul_i32 s8, s8, s5
	s_ashr_i32 s41, s40, 31
	s_mul_hi_i32 s13, s12, s5
	s_lshl_b64 s[40:41], s[40:41], 2
	s_mul_i32 s12, s12, s5
	s_add_u32 s42, s35, s40
	s_addc_u32 s43, s36, s41
	s_or_b32 s17, s29, 0xc0
	s_delay_alu instid0(SALU_CYCLE_1)
	s_ashr_i32 s19, s17, 4
	s_cmp_lt_i32 s17, s28
	s_mul_hi_i32 s17, s16, s5
	s_cselect_b32 s40, s19, s4
	s_mul_i32 s16, s16, s5
	s_ashr_i32 s41, s40, 31
	s_mul_hi_i32 s19, s18, s5
	s_lshl_b64 s[40:41], s[40:41], 2
	s_mul_i32 s18, s18, s5
	s_add_u32 s22, s35, s40
	s_addc_u32 s23, s36, s41
	s_or_b32 s20, s29, 0xd0
	s_clause 0x1
	s_load_b32 s41, s[24:25], 0x0
	s_load_b32 s40, s[26:27], 0x0
	s_ashr_i32 s21, s20, 4
	s_cmp_lt_i32 s20, s28
	s_mul_i32 s20, s15, s5
	s_cselect_b32 s24, s21, s4
	s_mul_hi_i32 s21, s15, s5
	s_ashr_i32 s25, s24, 31
	s_delay_alu instid0(SALU_CYCLE_1) | instskip(NEXT) | instid1(SALU_CYCLE_1)
	s_lshl_b64 s[24:25], s[24:25], 2
	s_add_u32 s24, s35, s24
	s_addc_u32 s25, s36, s25
	s_or_b32 s46, s29, 0xe0
	s_clause 0x2
	s_load_b32 s38, s[42:43], 0x0
	s_load_b32 s37, s[22:23], 0x0
	;; [unrolled: 1-line block ×3, first 2 shown]
	s_ashr_i32 s47, s46, 4
	s_cmp_lt_i32 s46, s28
	s_mul_hi_i32 s23, s44, s5
	s_cselect_b32 s42, s47, s4
	s_mul_i32 s22, s44, s5
	s_ashr_i32 s43, s42, 31
	s_mul_hi_i32 s25, s45, s5
	s_lshl_b64 s[42:43], s[42:43], 2
	s_mul_i32 s24, s45, s5
	s_add_u32 s42, s35, s42
	s_addc_u32 s43, s36, s43
	s_or_b32 s46, s29, 0xf0
	s_waitcnt lgkmcnt(0)
	s_mul_hi_i32 s27, s41, s5
	s_ashr_i32 s47, s46, 4
	s_cmp_lt_i32 s46, s28
	s_mul_i32 s26, s41, s5
	s_cselect_b32 s46, s47, s4
	s_mul_hi_i32 s41, s40, s5
	s_ashr_i32 s47, s46, 31
	s_mul_hi_i32 s51, s15, s5
	s_lshl_b64 s[46:47], s[46:47], 2
	s_mul_i32 s50, s15, s5
	s_add_u32 s46, s35, s46
	s_addc_u32 s47, s36, s47
	s_add_u32 s4, s10, s2
	s_addc_u32 s15, s11, s3
	v_add_co_u32 v216, s4, s4, v125
	s_delay_alu instid0(VALU_DEP_1) | instskip(SKIP_2) | instid1(VALU_DEP_2)
	v_add_co_ci_u32_e64 v217, null, s15, 0, s4
	s_lshl_b64 s[2:3], s[6:7], 1
	s_lshl_b64 s[6:7], s[8:9], 1
	v_add_co_u32 v125, vcc_lo, v216, s2
	s_delay_alu instid0(VALU_DEP_2)
	v_add_co_ci_u32_e32 v126, vcc_lo, s3, v217, vcc_lo
	v_add_co_u32 v199, vcc_lo, v216, s6
	s_lshl_b64 s[8:9], s[12:13], 1
	v_add_co_ci_u32_e32 v200, vcc_lo, s7, v217, vcc_lo
	s_lshl_b64 s[10:11], s[16:17], 1
	s_lshl_b64 s[12:13], s[18:19], 1
	;; [unrolled: 1-line block ×6, first 2 shown]
	s_mul_i32 s40, s40, s5
	s_mul_hi_i32 s45, s39, s5
	s_lshl_b64 s[24:25], s[40:41], 1
	s_mul_i32 s44, s39, s5
	s_mul_hi_i32 s39, s38, s5
	s_lshl_b64 s[26:27], s[44:45], 1
	s_mul_i32 s38, s38, s5
	s_mul_hi_i32 s49, s37, s5
	s_mul_i32 s48, s37, s5
	s_lshl_b64 s[36:37], s[38:39], 1
	s_lshl_b64 s[38:39], s[48:49], 1
	s_clause 0x1
	s_load_b32 s4, s[42:43], 0x0
	s_load_b32 s15, s[46:47], 0x0
	s_lshl_b64 s[40:41], s[50:51], 1
	s_waitcnt lgkmcnt(0)
	s_mul_hi_i32 s3, s4, s5
	s_mul_i32 s2, s4, s5
	s_mul_hi_i32 s7, s15, s5
	s_lshl_b64 s[2:3], s[2:3], 1
	s_mul_i32 s6, s15, s5
	s_waitcnt vmcnt(30)
	v_wmma_f32_16x16x16_f16 v[191:198], v[89:96], v[105:112], v[129:136]
	v_add_co_u32 v89, vcc_lo, v216, s8
	v_add_co_ci_u32_e32 v90, vcc_lo, s9, v217, vcc_lo
	v_add_co_u32 v91, vcc_lo, v216, s10
	v_add_co_ci_u32_e32 v92, vcc_lo, s11, v217, vcc_lo
	;; [unrolled: 2-line block ×5, first 2 shown]
	v_add_co_u32 v205, vcc_lo, v216, s20
	s_waitcnt vmcnt(28)
	v_wmma_f32_16x16x16_f16 v[129:136], v[97:104], v[105:112], v[129:136]
	v_add_co_ci_u32_e32 v206, vcc_lo, s21, v217, vcc_lo
	v_add_co_u32 v207, vcc_lo, v216, s22
	v_add_co_ci_u32_e32 v208, vcc_lo, s23, v217, vcc_lo
	v_add_co_u32 v209, vcc_lo, v216, s24
	s_waitcnt vmcnt(26)
	v_wmma_f32_16x16x16_f16 v[191:198], v[81:88], v[113:120], v[191:198]
	s_waitcnt vmcnt(24)
	v_wmma_f32_16x16x16_f16 v[129:136], v[73:80], v[113:120], v[129:136]
	v_add_co_ci_u32_e32 v210, vcc_lo, s25, v217, vcc_lo
	v_add_co_u32 v211, vcc_lo, v216, s26
	v_add_co_ci_u32_e32 v212, vcc_lo, s27, v217, vcc_lo
	v_add_co_u32 v213, vcc_lo, v216, s36
	s_waitcnt vmcnt(22)
	v_wmma_f32_16x16x16_f16 v[191:198], v[65:72], v[143:150], v[191:198]
	s_waitcnt vmcnt(20)
	v_wmma_f32_16x16x16_f16 v[129:136], v[57:64], v[143:150], v[129:136]
	v_add_co_ci_u32_e32 v214, vcc_lo, s37, v217, vcc_lo
	v_add_co_u32 v143, vcc_lo, v216, s38
	s_waitcnt vmcnt(18)
	v_wmma_f32_16x16x16_f16 v[191:198], v[49:56], v[151:158], v[191:198]
	s_waitcnt vmcnt(16)
	v_wmma_f32_16x16x16_f16 v[129:136], v[25:32], v[151:158], v[129:136]
	v_add_co_ci_u32_e32 v144, vcc_lo, s39, v217, vcc_lo
	s_clause 0x15
	global_load_b128 v[121:124], v[125:126], off
	global_load_b128 v[125:128], v[125:126], off offset:16
	global_load_b128 v[113:116], v[199:200], off
	global_load_b128 v[117:120], v[199:200], off offset:16
	global_load_b128 v[105:108], v[89:90], off
	global_load_b128 v[109:112], v[89:90], off offset:16
	global_load_b128 v[97:100], v[91:92], off
	global_load_b128 v[101:104], v[91:92], off offset:16
	global_load_b128 v[89:92], v[93:94], off
	global_load_b128 v[93:96], v[93:94], off offset:16
	global_load_b128 v[81:84], v[201:202], off
	global_load_b128 v[85:88], v[201:202], off offset:16
	global_load_b128 v[73:76], v[203:204], off
	global_load_b128 v[77:80], v[203:204], off offset:16
	global_load_b128 v[65:68], v[205:206], off
	global_load_b128 v[69:72], v[205:206], off offset:16
	global_load_b128 v[57:60], v[207:208], off
	global_load_b128 v[61:64], v[207:208], off offset:16
	global_load_b128 v[49:52], v[209:210], off
	global_load_b128 v[53:56], v[209:210], off offset:16
	global_load_b128 v[25:28], v[211:212], off
	global_load_b128 v[29:32], v[211:212], off offset:16
	s_waitcnt vmcnt(36)
	v_wmma_f32_16x16x16_f16 v[191:198], v[1:8], v[159:166], v[191:198]
	s_clause 0x1
	global_load_b128 v[1:4], v[213:214], off
	global_load_b128 v[5:8], v[213:214], off offset:16
	s_waitcnt vmcnt(36)
	v_wmma_f32_16x16x16_f16 v[129:136], v[9:16], v[159:166], v[129:136]
	s_clause 0x1
	global_load_b128 v[9:12], v[143:144], off
	global_load_b128 v[13:16], v[143:144], off offset:16
	ds_load_b128 v[143:146], v215 offset:10240
	ds_load_b128 v[147:150], v215 offset:11264
	;; [unrolled: 1-line block ×4, first 2 shown]
	v_add_co_u32 v199, vcc_lo, v216, s40
	v_add_co_ci_u32_e32 v200, vcc_lo, s41, v217, vcc_lo
	v_add_co_u32 v159, vcc_lo, v216, s2
	v_add_co_ci_u32_e32 v160, vcc_lo, s3, v217, vcc_lo
	s_lshl_b64 s[2:3], s[6:7], 1
	s_delay_alu instid0(SALU_CYCLE_1)
	v_add_co_u32 v161, vcc_lo, v216, s2
	v_add_co_ci_u32_e32 v162, vcc_lo, s3, v217, vcc_lo
	s_waitcnt vmcnt(36) lgkmcnt(2)
	v_wmma_f32_16x16x16_f16 v[191:198], v[33:40], v[143:150], v[191:198]
	s_waitcnt vmcnt(34)
	v_wmma_f32_16x16x16_f16 v[129:136], v[41:48], v[143:150], v[129:136]
	s_clause 0x3
	global_load_b128 v[33:36], v[199:200], off
	global_load_b128 v[37:40], v[199:200], off offset:16
	global_load_b128 v[41:44], v[159:160], off
	global_load_b128 v[45:48], v[159:160], off offset:16
	v_and_b32_e32 v143, 0xe0, v0
	v_mbcnt_lo_u32_b32 v159, -1, 0
	s_waitcnt vmcnt(36) lgkmcnt(0)
	v_wmma_f32_16x16x16_f16 v[191:198], v[17:24], v[151:158], v[191:198]
	s_clause 0x1
	global_load_b128 v[17:20], v[161:162], off
	global_load_b128 v[21:24], v[161:162], off offset:16
	s_waitcnt vmcnt(36)
	v_wmma_f32_16x16x16_f16 v[129:136], v[167:174], v[151:158], v[129:136]
	v_add_nc_u32_e32 v160, s29, v143
	ds_load_b128 v[143:146], v215 offset:14336
	ds_load_b128 v[147:150], v215 offset:15360
	v_xor_b32_e32 v151, 16, v159
	s_waitcnt vmcnt(0) lgkmcnt(0)
	s_barrier
	v_or_b32_e32 v152, v160, v138
	buffer_gl0_inv
	v_cmp_gt_i32_e32 vcc_lo, 32, v151
	v_or_b32_e32 v153, 2, v152
	v_or_b32_e32 v154, 4, v152
	;; [unrolled: 1-line block ×5, first 2 shown]
	v_cmp_gt_i32_e64 s2, s28, v153
	v_cmp_gt_i32_e64 s3, s28, v154
	v_cmp_gt_i32_e64 s4, s28, v155
	v_or_b32_e32 v158, 12, v152
	v_cmp_gt_i32_e64 s5, s28, v156
	v_cmp_gt_i32_e64 s6, s28, v157
	v_wmma_f32_16x16x16_f16 v[191:198], v[175:182], v[143:150], v[191:198]
	v_wmma_f32_16x16x16_f16 v[129:136], v[183:190], v[143:150], v[129:136]
	v_cndmask_b32_e32 v151, v159, v151, vcc_lo
	v_cmp_gt_i32_e32 vcc_lo, s28, v152
	v_or_b32_e32 v159, 14, v152
	v_dual_mul_f32 v149, s30, v192 :: v_dual_mul_f32 v150, s30, v191
	v_dual_mul_f32 v147, s30, v194 :: v_dual_mul_f32 v148, s30, v193
	;; [unrolled: 1-line block ×3, first 2 shown]
	s_delay_alu instid0(VALU_DEP_3) | instskip(NEXT) | instid1(VALU_DEP_4)
	v_cndmask_b32_e32 v150, 0xff7fffff, v150, vcc_lo
	v_cndmask_b32_e64 v149, 0xff7fffff, v149, s2
	v_mul_f32_e32 v146, s30, v195
	v_cndmask_b32_e64 v148, 0xff7fffff, v148, s3
	v_cndmask_b32_e64 v147, 0xff7fffff, v147, s4
	v_or_b32_e32 v160, 16, v152
	v_max3_f32 v149, v150, 0xff7fffff, v149
	v_or_b32_e32 v161, 18, v152
	v_dual_mul_f32 v143, s30, v198 :: v_dual_mul_f32 v144, s30, v197
	v_cndmask_b32_e64 v146, 0xff7fffff, v146, s5
	v_cndmask_b32_e64 v145, 0xff7fffff, v145, s6
	v_max3_f32 v147, v149, v148, v147
	v_cmp_gt_i32_e64 s7, s28, v158
	v_cmp_gt_i32_e64 s8, s28, v159
	v_or_b32_e32 v162, 20, v152
	v_or_b32_e32 v163, 22, v152
	v_mul_f32_e32 v175, s30, v129
	v_cndmask_b32_e64 v144, 0xff7fffff, v144, s7
	v_cndmask_b32_e64 v143, 0xff7fffff, v143, s8
	v_max3_f32 v145, v147, v146, v145
	v_cmp_gt_i32_e64 s9, s28, v160
	v_cmp_gt_i32_e64 s10, s28, v161
	v_or_b32_e32 v164, 24, v152
	v_or_b32_e32 v165, 26, v152
	v_dual_mul_f32 v172, s30, v132 :: v_dual_mul_f32 v173, s30, v131
	v_cndmask_b32_e64 v146, 0xff7fffff, v175, s9
	v_cndmask_b32_e64 v147, 0xff7fffff, v174, s10
	v_max3_f32 v143, v145, v144, v143
	v_cmp_gt_i32_e64 s11, s28, v162
	v_cmp_gt_i32_e64 s12, s28, v163
	v_or_b32_e32 v166, 28, v152
	v_or_b32_e32 v167, 30, v152
	v_dual_mul_f32 v170, s30, v134 :: v_dual_mul_f32 v171, s30, v133
	v_cndmask_b32_e64 v144, 0xff7fffff, v173, s11
	v_cndmask_b32_e64 v145, 0xff7fffff, v172, s12
	v_max3_f32 v143, v143, v146, v147
	v_cmp_gt_i32_e64 s13, s28, v164
	v_cmp_gt_i32_e64 s15, s28, v165
	v_dual_mul_f32 v168, s30, v136 :: v_dual_mul_f32 v169, s30, v135
	s_delay_alu instid0(VALU_DEP_4) | instskip(NEXT) | instid1(VALU_DEP_4)
	v_max3_f32 v143, v143, v144, v145
	v_cndmask_b32_e64 v146, 0xff7fffff, v171, s13
	s_delay_alu instid0(VALU_DEP_4) | instskip(SKIP_3) | instid1(VALU_DEP_4)
	v_cndmask_b32_e64 v147, 0xff7fffff, v170, s15
	v_cmp_gt_i32_e64 s16, s28, v166
	v_cmp_gt_i32_e64 s17, s28, v167
	v_lshlrev_b32_e32 v160, 2, v151
	v_max3_f32 v143, v143, v146, v147
	s_delay_alu instid0(VALU_DEP_4) | instskip(NEXT) | instid1(VALU_DEP_4)
	v_cndmask_b32_e64 v144, 0xff7fffff, v169, s16
	v_cndmask_b32_e64 v145, 0xff7fffff, v168, s17
	s_delay_alu instid0(VALU_DEP_1) | instskip(SKIP_3) | instid1(VALU_DEP_1)
	v_max3_f32 v143, v143, v144, v145
	ds_bpermute_b32 v144, v160, v143
	s_waitcnt lgkmcnt(0)
	v_max_f32_e32 v144, v144, v144
	v_max_f32_e32 v159, v143, v144
	s_delay_alu instid0(VALU_DEP_1) | instskip(SKIP_4) | instid1(VALU_DEP_4)
	v_fma_f32 v145, s30, v193, -v159
	v_fma_f32 v146, s30, v194, -v159
	;; [unrolled: 1-line block ×5, first 2 shown]
	v_dual_mul_f32 v145, 0x3fb8aa3b, v145 :: v_dual_mul_f32 v146, 0x3fb8aa3b, v146
	s_delay_alu instid0(VALU_DEP_4) | instskip(SKIP_1) | instid1(VALU_DEP_4)
	v_mul_f32_e32 v132, 0x3fb8aa3b, v132
	v_fma_f32 v148, s30, v195, -v159
	v_mul_f32_e32 v144, 0x3fb8aa3b, v144
	s_delay_alu instid0(VALU_DEP_4)
	v_exp_f32_e32 v145, v145
	v_exp_f32_e32 v150, v146
	v_fma_f32 v149, s30, v196, -v159
	v_mul_f32_e32 v148, 0x3fb8aa3b, v148
	v_exp_f32_e32 v147, v144
	v_fma_f32 v134, s30, v134, -v159
	v_fma_f32 v151, s30, v197, -v159
	v_mul_f32_e32 v149, 0x3fb8aa3b, v149
	v_exp_f32_e32 v148, v148
	v_fma_f32 v152, s30, v198, -v159
	v_cndmask_b32_e64 v146, 0, v145, s3
	v_cndmask_b32_e64 v145, 0, v150, s4
	v_dual_mul_f32 v143, 0x3fb8aa3b, v143 :: v_dual_mul_f32 v134, 0x3fb8aa3b, v134
	v_mul_f32_e32 v151, 0x3fb8aa3b, v151
	v_exp_f32_e32 v149, v149
	v_fma_f32 v129, s30, v129, -v159
	s_delay_alu instid0(VALU_DEP_3)
	v_exp_f32_e32 v143, v143
	v_mul_f32_e32 v150, 0x3fb8aa3b, v152
	v_exp_f32_e32 v151, v151
	v_cndmask_b32_e64 v148, 0, v148, s5
	v_fma_f32 v130, s30, v130, -v159
	v_mul_f32_e32 v129, 0x3fb8aa3b, v129
	v_exp_f32_e32 v153, v150
	v_fma_f32 v131, s30, v131, -v159
	v_fma_f32 v133, s30, v133, -v159
	v_mul_f32_e32 v130, 0x3fb8aa3b, v130
	v_cndmask_b32_e32 v144, 0, v143, vcc_lo
	v_cndmask_b32_e64 v143, 0, v147, s2
	v_exp_f32_e32 v129, v129
	v_cndmask_b32_e64 v150, 0, v151, s7
	v_mul_f32_e32 v131, 0x3fb8aa3b, v131
	v_add_f32_e32 v147, 0, v144
	v_exp_f32_e32 v130, v130
	v_mul_f32_e32 v133, 0x3fb8aa3b, v133
	v_exp_f32_e32 v132, v132
	v_exp_f32_e32 v131, v131
	v_add_f32_e32 v147, v147, v143
	v_cmp_gt_u32_e64 s2, 16, v142
	v_exp_f32_e32 v133, v133
	s_delay_alu instid0(VALU_DEP_2)
	v_add_f32_e32 v147, v147, v146
	s_waitcnt_depctr 0xfff
	v_cndmask_b32_e64 v154, 0, v131, s11
	v_add_f32_e32 v152, v147, v145
	v_cndmask_b32_e64 v147, 0, v149, s6
	v_exp_f32_e32 v131, v134
	v_cndmask_b32_e64 v156, 0, v133, s13
	s_delay_alu instid0(VALU_DEP_3) | instskip(SKIP_1) | instid1(VALU_DEP_2)
	v_add_f32_e32 v149, v152, v148
	v_cndmask_b32_e64 v152, 0, v129, s9
	v_add_f32_e32 v151, v149, v147
	v_cndmask_b32_e64 v149, 0, v153, s8
	v_cndmask_b32_e64 v153, 0, v132, s12
	v_fma_f32 v132, s30, v136, -v159
	s_delay_alu instid0(TRANS32_DEP_1) | instskip(NEXT) | instid1(VALU_DEP_2)
	v_cndmask_b32_e64 v155, 0, v131, s15
	v_dual_add_f32 v151, v151, v150 :: v_dual_mul_f32 v132, 0x3fb8aa3b, v132
	s_delay_alu instid0(VALU_DEP_1) | instskip(SKIP_2) | instid1(VALU_DEP_4)
	v_add_f32_e32 v129, v151, v149
	v_cndmask_b32_e64 v151, 0, v130, s10
	v_fma_f32 v130, s30, v135, -v159
	v_exp_f32_e32 v131, v132
	s_delay_alu instid0(VALU_DEP_1) | instskip(NEXT) | instid1(VALU_DEP_1)
	v_dual_add_f32 v129, v129, v152 :: v_dual_mul_f32 v130, 0x3fb8aa3b, v130
	v_add_f32_e32 v129, v129, v151
	s_delay_alu instid0(VALU_DEP_2) | instskip(SKIP_3) | instid1(VALU_DEP_1)
	v_exp_f32_e32 v130, v130
	s_waitcnt_depctr 0xfff
	v_cndmask_b32_e64 v157, 0, v131, s17
	v_add_f32_e32 v129, v129, v154
	v_add_f32_e32 v129, v129, v153
	v_cndmask_b32_e64 v158, 0, v130, s16
	s_delay_alu instid0(VALU_DEP_2) | instskip(NEXT) | instid1(VALU_DEP_1)
	v_add_f32_e32 v129, v129, v156
	v_add_f32_e32 v129, v129, v155
	s_delay_alu instid0(VALU_DEP_1) | instskip(NEXT) | instid1(VALU_DEP_1)
	v_add_f32_e32 v129, v129, v158
	v_add_f32_e32 v129, v129, v157
	ds_bpermute_b32 v130, v160, v129
	s_and_saveexec_b32 s3, s2
	s_cbranch_execz .LBB244_12
; %bb.11:
	v_mul_u32_u24_e32 v131, 0x44, v141
	s_delay_alu instid0(VALU_DEP_1) | instskip(SKIP_1) | instid1(VALU_DEP_1)
	v_lshl_add_u32 v131, v140, 2, v131
	s_waitcnt lgkmcnt(0)
	v_dual_add_f32 v129, v129, v130 :: v_dual_add_nc_u32 v130, 0x4000, v131
	ds_store_2addr_b32 v130, v159, v129 offset1:136
.LBB244_12:
	s_or_b32 exec_lo, exec_lo, s3
	v_lshlrev_b32_e32 v129, 2, v140
	s_load_b32 s35, s[0:1], 0x94
	s_waitcnt lgkmcnt(0)
	s_barrier
	buffer_gl0_inv
	v_add_nc_u32_e32 v135, 0x4000, v129
	v_cmp_eq_u32_e32 vcc_lo, 1, v141
	v_cmp_eq_u32_e64 s3, 2, v141
	v_cmp_eq_u32_e64 s4, 3, v141
	;; [unrolled: 1-line block ×3, first 2 shown]
	ds_load_2addr_b32 v[129:130], v135 offset1:17
	ds_load_2addr_b32 v[131:132], v135 offset0:34 offset1:51
	ds_load_2addr_b32 v[133:134], v135 offset0:68 offset1:85
	ds_load_2addr_b32 v[159:160], v135 offset0:102 offset1:119
	v_cmp_eq_u32_e64 s6, 5, v141
	v_cmp_eq_u32_e64 s7, 7, v141
	s_waitcnt lgkmcnt(3)
	v_max3_f32 v136, v129, 0xff7fffff, v130
	s_waitcnt lgkmcnt(2)
	s_delay_alu instid0(VALU_DEP_1) | instskip(SKIP_1) | instid1(VALU_DEP_1)
	v_max3_f32 v136, v136, v131, v132
	s_waitcnt lgkmcnt(1)
	v_max3_f32 v136, v136, v133, v134
	s_waitcnt lgkmcnt(0)
	s_delay_alu instid0(VALU_DEP_1) | instskip(NEXT) | instid1(VALU_DEP_1)
	v_max3_f32 v136, v136, v159, v160
	v_sub_f32_e32 v142, v130, v136
	ds_load_2addr_b32 v[161:162], v135 offset0:136 offset1:153
	v_sub_f32_e32 v164, v132, v136
	v_mul_f32_e32 v142, 0x3fb8aa3b, v142
	s_delay_alu instid0(VALU_DEP_2) | instskip(NEXT) | instid1(VALU_DEP_2)
	v_mul_f32_e32 v164, 0x3fb8aa3b, v164
	v_exp_f32_e32 v166, v142
	v_sub_f32_e32 v129, v129, v136
	s_delay_alu instid0(VALU_DEP_2) | instskip(NEXT) | instid1(VALU_DEP_1)
	v_exp_f32_e32 v164, v164
	v_mul_f32_e32 v163, 0x3fb8aa3b, v129
	ds_load_2addr_b32 v[129:130], v135 offset0:170 offset1:187
	v_exp_f32_e32 v163, v163
	s_waitcnt lgkmcnt(1)
	s_waitcnt_depctr 0xfff
	v_fma_f32 v142, v163, v161, 0
	v_sub_f32_e32 v161, v134, v136
	s_delay_alu instid0(VALU_DEP_2) | instskip(NEXT) | instid1(VALU_DEP_1)
	v_dual_fmac_f32 v142, v166, v162 :: v_dual_sub_f32 v131, v131, v136
	v_mul_f32_e32 v165, 0x3fb8aa3b, v131
	ds_load_2addr_b32 v[131:132], v135 offset0:204 offset1:221
	v_exp_f32_e32 v165, v165
	s_waitcnt lgkmcnt(1)
	s_waitcnt_depctr 0xfff
	v_fmac_f32_e32 v142, v165, v129
	v_sub_f32_e32 v133, v133, v136
	v_sub_f32_e32 v129, v160, v136
	s_delay_alu instid0(VALU_DEP_2) | instskip(NEXT) | instid1(VALU_DEP_2)
	v_dual_fmac_f32 v142, v164, v130 :: v_dual_mul_f32 v167, 0x3fb8aa3b, v133
	v_mul_f32_e32 v129, 0x3fb8aa3b, v129
	ds_load_2addr_b32 v[133:134], v135 offset0:238 offset1:255
	v_cndmask_b32_e32 v130, v163, v166, vcc_lo
	s_waitcnt lgkmcnt(0)
	s_barrier
	v_exp_f32_e32 v162, v129
	v_sub_f32_e32 v135, v159, v136
	v_mul_f32_e32 v159, 0x3fb8aa3b, v161
	v_exp_f32_e32 v161, v167
	buffer_gl0_inv
	v_exp_f32_e32 v159, v159
	v_fmac_f32_e32 v142, v161, v131
	s_waitcnt_depctr 0xfff
	v_dual_mul_f32 v135, 0x3fb8aa3b, v135 :: v_dual_fmac_f32 v142, v159, v132
	s_delay_alu instid0(VALU_DEP_1) | instskip(SKIP_2) | instid1(VALU_DEP_1)
	v_exp_f32_e32 v160, v135
	s_waitcnt_depctr 0xfff
	v_dual_fmac_f32 v142, v160, v133 :: v_dual_lshlrev_b32 v133, 6, v140
	v_fmac_f32_e32 v142, v162, v134
	s_delay_alu instid0(VALU_DEP_2) | instskip(NEXT) | instid1(VALU_DEP_2)
	v_lshl_or_b32 v135, v141, 11, v133
	v_add_f32_e32 v134, 0x358637bd, v142
	s_delay_alu instid0(VALU_DEP_1) | instskip(SKIP_1) | instid1(VALU_DEP_2)
	v_div_scale_f32 v167, null, v134, v134, 1.0
	v_div_scale_f32 v163, vcc_lo, 1.0, v134, 1.0
	v_rcp_f32_e32 v168, v167
	s_waitcnt_depctr 0xfff
	v_fma_f32 v129, -v167, v168, 1.0
	s_delay_alu instid0(VALU_DEP_1) | instskip(SKIP_2) | instid1(VALU_DEP_2)
	v_fmac_f32_e32 v168, v129, v168
	v_cndmask_b32_e64 v129, v130, v165, s3
	v_cmp_eq_u32_e64 s3, 6, v141
	v_cndmask_b32_e64 v130, v129, v164, s4
	v_lshlrev_b32_e32 v129, 2, v138
	v_mul_f32_e32 v165, v163, v168
	s_delay_alu instid0(VALU_DEP_3) | instskip(NEXT) | instid1(VALU_DEP_3)
	v_cndmask_b32_e64 v161, v130, v161, s5
	v_or_b32_e32 v130, 1, v129
	s_delay_alu instid0(VALU_DEP_3)
	v_fma_f32 v131, -v167, v165, v163
	v_or_b32_e32 v132, 2, v129
	v_cmp_eq_u32_e64 s4, 1, v129
	v_cndmask_b32_e64 v141, v161, v159, s6
	v_cmp_eq_u32_e64 s9, 1, v130
	v_fmac_f32_e32 v165, v131, v168
	v_or_b32_e32 v131, 3, v129
	v_cmp_eq_u32_e64 s10, 1, v132
	v_cndmask_b32_e64 v141, v141, v160, s3
	v_cmp_eq_u32_e64 s5, 2, v129
	v_fma_f32 v159, -v167, v165, v163
	v_cmp_eq_u32_e64 s11, 1, v131
	v_cmp_eq_u32_e64 s16, 2, v131
	v_cndmask_b32_e64 v141, v141, v162, s7
	v_cmp_eq_u32_e64 s12, 2, v130
	v_div_fmas_f32 v159, v159, v168, v165
	v_cmp_eq_u32_e64 s18, 3, v131
	v_cmp_eq_u32_e32 vcc_lo, 3, v129
	v_cmp_eq_u32_e64 s13, 3, v130
	v_cmp_eq_u32_e64 s15, 2, v132
	v_div_fixup_f32 v159, v159, v134, 1.0
	v_lshl_or_b32 v134, v138, 4, v135
	v_cmp_eq_u32_e64 s22, 4, v131
	v_cmp_eq_u32_e64 s3, 4, v129
	v_cmp_eq_u32_e64 s17, 3, v132
	v_mul_f32_e32 v141, v141, v159
	v_cmp_eq_u32_e64 s19, 4, v130
	v_cmp_eq_u32_e64 s24, 5, v131
	;; [unrolled: 1-line block ×4, first 2 shown]
	v_fma_mixlo_f16 v159, v141, v144, 0
	v_fma_mixlo_f16 v160, v141, v146, 0
	;; [unrolled: 1-line block ×8, first 2 shown]
	v_fma_mixhi_f16 v159, v141, v143, 0
	v_fma_mixhi_f16 v160, v141, v145, 0
	;; [unrolled: 1-line block ×8, first 2 shown]
	ds_store_b128 v134, v[159:162]
	ds_store_b128 v134, v[163:166] offset:1024
	s_waitcnt lgkmcnt(0)
	s_barrier
	buffer_gl0_inv
	ds_load_b128 v[143:146], v135
	ds_load_b128 v[147:150], v135 offset:16
	ds_load_b128 v[151:154], v135 offset:1024
	;; [unrolled: 1-line block ×3, first 2 shown]
	v_cmp_eq_u32_e64 s21, 4, v132
	v_cmp_eq_u32_e64 s27, 6, v131
	;; [unrolled: 1-line block ×10, first 2 shown]
	s_waitcnt lgkmcnt(3)
	v_lshrrev_b32_e32 v141, 16, v143
	s_waitcnt lgkmcnt(2)
	v_lshrrev_b32_e32 v162, 16, v147
	v_lshrrev_b32_e32 v159, 16, v144
	;; [unrolled: 1-line block ×3, first 2 shown]
	s_waitcnt lgkmcnt(1)
	v_lshrrev_b32_e32 v166, 16, v151
	v_cndmask_b32_e64 v174, v143, v141, s4
	v_cndmask_b32_e64 v176, v143, v141, s9
	v_cndmask_b32_e64 v178, v143, v141, s10
	v_cndmask_b32_e64 v141, v143, v141, s11
	v_cndmask_b32_e64 v143, v147, v162, s11
	s_waitcnt lgkmcnt(0)
	v_lshrrev_b32_e32 v170, 16, v155
	v_cndmask_b32_e64 v175, v147, v162, s4
	v_cndmask_b32_e64 v177, v147, v162, s9
	;; [unrolled: 1-line block ×19, first 2 shown]
	v_lshrrev_b32_e32 v160, 16, v145
	v_lshrrev_b32_e32 v164, 16, v149
	v_lshrrev_b32_e32 v167, 16, v152
	v_lshrrev_b32_e32 v171, 16, v156
	v_cndmask_b32_e64 v176, v178, v144, s15
	v_cndmask_b32_e64 v177, v179, v148, s15
	;; [unrolled: 1-line block ×8, first 2 shown]
	v_cndmask_b32_e32 v155, v166, v159, vcc_lo
	v_cndmask_b32_e32 v166, v170, v163, vcc_lo
	v_cndmask_b32_e64 v170, v174, v159, s13
	v_cndmask_b32_e64 v174, v175, v163, s13
	v_cndmask_b32_e64 v141, v141, v145, s22
	v_cndmask_b32_e64 v143, v143, v149, s22
	v_cndmask_b32_e64 v175, v176, v159, s17
	v_cndmask_b32_e64 v176, v177, v163, s17
	v_cndmask_b32_e32 v144, v144, v167, vcc_lo
	v_cndmask_b32_e32 v147, v147, v171, vcc_lo
	v_cndmask_b32_e64 v148, v148, v167, s13
	v_cndmask_b32_e64 v155, v155, v145, s3
	;; [unrolled: 1-line block ×7, first 2 shown]
	v_lshrrev_b32_e32 v161, 16, v146
	v_lshrrev_b32_e32 v165, 16, v150
	;; [unrolled: 1-line block ×4, first 2 shown]
	v_cndmask_b32_e64 v170, v175, v145, s21
	v_cndmask_b32_e64 v174, v176, v149, s21
	;; [unrolled: 1-line block ×22, first 2 shown]
	v_lshrrev_b32_e32 v169, 16, v154
	v_cndmask_b32_e64 v160, v163, v146, s26
	v_cndmask_b32_e64 v163, v166, v150, s26
	;; [unrolled: 1-line block ×9, first 2 shown]
	v_perm_b32 v146, v143, v141, 0x5040100
	v_cndmask_b32_e64 v141, v183, v156, s15
	v_cndmask_b32_e64 v143, v181, v156, s12
	;; [unrolled: 1-line block ×4, first 2 shown]
	v_perm_b32 v144, v159, v149, 0x5040100
	v_cndmask_b32_e64 v149, v162, v167, s17
	v_cndmask_b32_e64 v151, v151, v167, s18
	;; [unrolled: 1-line block ×15, first 2 shown]
	v_lshrrev_b32_e32 v173, 16, v158
	v_cndmask_b32_e64 v149, v149, v154, s26
	v_cndmask_b32_e64 v151, v151, v154, s27
	;; [unrolled: 1-line block ×13, first 2 shown]
	v_perm_b32 v145, v160, v155, 0x5040100
	v_perm_b32 v143, v148, v147, 0x5040100
	;; [unrolled: 1-line block ×6, first 2 shown]
	s_mul_i32 s7, s33, 15
	s_mov_b32 s3, exec_lo
	ds_store_b128 v134, v[143:146]
	ds_store_b128 v134, v[147:150] offset:1024
	v_cmpx_gt_u32_e32 15, v0
	s_cbranch_execz .LBB244_14
; %bb.13:
	s_mul_i32 s4, s7, s34
	s_load_b128 s[8:11], s[0:1], 0x58
	v_add3_u32 v143, s4, s31, v140
	s_delay_alu instid0(VALU_DEP_1) | instskip(NEXT) | instid1(VALU_DEP_1)
	v_mad_u64_u32 v[140:141], null, v143, s35, s[14:15]
	v_ashrrev_i32_e32 v141, 31, v140
	s_delay_alu instid0(VALU_DEP_1) | instskip(SKIP_1) | instid1(VALU_DEP_1)
	v_lshlrev_b64 v[140:141], 2, v[140:141]
	s_waitcnt lgkmcnt(0)
	v_add_co_u32 v143, vcc_lo, s10, v140
	s_delay_alu instid0(VALU_DEP_2)
	v_add_co_ci_u32_e32 v144, vcc_lo, s11, v141, vcc_lo
	v_add_co_u32 v140, vcc_lo, s8, v140
	v_add_co_ci_u32_e32 v141, vcc_lo, s9, v141, vcc_lo
	global_store_b32 v[143:144], v136, off
	global_store_b32 v[140:141], v142, off
.LBB244_14:
	s_or_b32 exec_lo, exec_lo, s3
	s_waitcnt lgkmcnt(0)
	s_waitcnt_vscnt null, 0x0
	s_barrier
	buffer_gl0_inv
	ds_load_b128 v[148:151], v133
	ds_load_b128 v[152:155], v133 offset:16
	ds_load_b128 v[160:163], v133 offset:1040
	;; [unrolled: 1-line block ×5, first 2 shown]
	v_cmp_eq_u32_e32 vcc_lo, 1, v132
	v_mov_b32_e32 v140, 0
	ds_load_b128 v[176:179], v133 offset:3088
	ds_load_b128 v[172:175], v133 offset:3072
	;; [unrolled: 1-line block ×4, first 2 shown]
	v_cmp_eq_u32_e64 s3, 1, v129
	v_cmp_eq_u32_e64 s4, 1, v131
	;; [unrolled: 1-line block ×3, first 2 shown]
	v_mov_b32_e32 v141, v140
	v_mov_b32_e32 v142, v140
	;; [unrolled: 1-line block ×7, first 2 shown]
	v_cmp_eq_u32_e64 s6, 2, v129
	s_waitcnt lgkmcnt(8)
	s_delay_alu instid0(VALU_DEP_2)
	v_wmma_f32_16x16x16_f16 v[140:147], v[121:128], v[148:155], v[140:147]
	ds_load_b128 v[125:128], v133 offset:5136
	ds_load_b128 v[121:124], v133 offset:5120
	s_waitcnt lgkmcnt(8)
	v_wmma_f32_16x16x16_f16 v[140:147], v[113:120], v[156:163], v[140:147]
	ds_load_b128 v[117:120], v133 offset:6160
	ds_load_b128 v[113:116], v133 offset:6144
	s_waitcnt lgkmcnt(8)
	;; [unrolled: 4-line block ×11, first 2 shown]
	s_barrier
	buffer_gl0_inv
	v_wmma_f32_16x16x16_f16 v[140:147], v[1:8], v[73:80], v[140:147]
	s_delay_alu instid0(VALU_DEP_1) | instskip(NEXT) | instid1(VALU_DEP_1)
	v_wmma_f32_16x16x16_f16 v[140:147], v[9:16], v[65:72], v[140:147]
	v_wmma_f32_16x16x16_f16 v[140:147], v[33:40], v[57:64], v[140:147]
	s_delay_alu instid0(VALU_DEP_1) | instskip(NEXT) | instid1(VALU_DEP_1)
	v_wmma_f32_16x16x16_f16 v[140:147], v[41:48], v[49:56], v[140:147]
	v_wmma_f32_16x16x16_f16 v[140:147], v[17:24], v[25:32], v[140:147]
	s_delay_alu instid0(VALU_DEP_1) | instskip(NEXT) | instid1(VALU_DEP_2)
	v_cvt_f16_f32_e64 v1, v140
	v_cvt_f16_f32_e64 v2, v141
	s_delay_alu instid0(VALU_DEP_3) | instskip(NEXT) | instid1(VALU_DEP_4)
	v_cvt_f16_f32_e64 v3, v142
	v_cvt_f16_f32_e64 v4, v143
	;; [unrolled: 1-line block ×6, first 2 shown]
	v_pack_b32_f16 v1, v1, v2
	v_pack_b32_f16 v2, v3, v4
	v_pack_b32_f16 v3, v5, v6
	s_delay_alu instid0(VALU_DEP_4)
	v_pack_b32_f16 v4, v7, v8
	ds_store_b128 v134, v[1:4]
	s_waitcnt lgkmcnt(0)
	s_barrier
	buffer_gl0_inv
	ds_load_b128 v[1:4], v135
	ds_load_b128 v[5:8], v135 offset:16
	s_waitcnt lgkmcnt(1)
	v_lshrrev_b32_e32 v9, 16, v1
	s_waitcnt lgkmcnt(0)
	v_lshrrev_b32_e32 v13, 16, v5
	v_lshrrev_b32_e32 v10, 16, v2
	;; [unrolled: 1-line block ×4, first 2 shown]
	v_cndmask_b32_e64 v17, v1, v9, s3
	v_cndmask_b32_e64 v18, v5, v13, s3
	;; [unrolled: 1-line block ×3, first 2 shown]
	v_cmp_eq_u32_e64 s3, 2, v130
	v_cndmask_b32_e64 v20, v5, v13, s5
	v_cndmask_b32_e32 v21, v1, v9, vcc_lo
	v_cndmask_b32_e32 v22, v5, v13, vcc_lo
	v_cndmask_b32_e64 v1, v1, v9, s4
	v_cndmask_b32_e64 v5, v5, v13, s4
	v_cmp_eq_u32_e32 vcc_lo, 2, v132
	v_cmp_eq_u32_e64 s4, 2, v131
	v_cndmask_b32_e64 v9, v17, v2, s6
	v_cndmask_b32_e64 v13, v18, v6, s6
	;; [unrolled: 1-line block ×4, first 2 shown]
	v_cndmask_b32_e32 v19, v21, v2, vcc_lo
	v_cmp_eq_u32_e64 s3, 3, v132
	v_cndmask_b32_e32 v20, v22, v6, vcc_lo
	v_cndmask_b32_e64 v1, v1, v2, s4
	v_cmp_eq_u32_e32 vcc_lo, 3, v131
	v_cmp_eq_u32_e64 s5, 3, v129
	v_cndmask_b32_e64 v2, v5, v6, s4
	v_cmp_eq_u32_e64 s4, 3, v130
	v_cmp_eq_u32_e64 s6, 4, v129
	v_cndmask_b32_e32 v1, v1, v10, vcc_lo
	v_cndmask_b32_e64 v5, v9, v10, s5
	v_cndmask_b32_e64 v6, v13, v14, s5
	;; [unrolled: 1-line block ×3, first 2 shown]
	v_cmp_eq_u32_e64 s5, 4, v130
	v_cndmask_b32_e64 v13, v18, v14, s4
	v_cndmask_b32_e64 v17, v19, v10, s3
	;; [unrolled: 1-line block ×3, first 2 shown]
	v_cndmask_b32_e32 v2, v2, v14, vcc_lo
	v_cmp_eq_u32_e32 vcc_lo, 4, v132
	v_cmp_eq_u32_e64 s4, 4, v131
	v_lshrrev_b32_e32 v15, 16, v7
	v_cndmask_b32_e64 v5, v5, v3, s6
	v_cndmask_b32_e64 v6, v6, v7, s6
	v_cndmask_b32_e32 v14, v18, v7, vcc_lo
	v_cndmask_b32_e64 v9, v9, v3, s5
	v_cndmask_b32_e64 v10, v13, v7, s5
	v_cndmask_b32_e32 v13, v17, v3, vcc_lo
	v_cmp_eq_u32_e64 s3, 5, v132
	v_cndmask_b32_e64 v1, v1, v3, s4
	v_cmp_eq_u32_e32 vcc_lo, 5, v131
	v_cmp_eq_u32_e64 s5, 5, v129
	v_cndmask_b32_e64 v2, v2, v7, s4
	v_cmp_eq_u32_e64 s4, 5, v130
	v_cmp_eq_u32_e64 s6, 6, v129
	v_lshrrev_b32_e32 v12, 16, v4
	v_cndmask_b32_e64 v3, v5, v11, s5
	v_cndmask_b32_e64 v5, v6, v15, s5
	;; [unrolled: 1-line block ×3, first 2 shown]
	v_cmp_eq_u32_e64 s5, 6, v130
	v_cndmask_b32_e64 v7, v10, v15, s4
	v_cndmask_b32_e64 v9, v13, v11, s3
	v_cndmask_b32_e64 v10, v14, v15, s3
	v_cndmask_b32_e32 v1, v1, v11, vcc_lo
	v_cndmask_b32_e32 v2, v2, v15, vcc_lo
	v_cmp_eq_u32_e32 vcc_lo, 6, v132
	v_cmp_eq_u32_e64 s3, 6, v131
	v_lshrrev_b32_e32 v16, 16, v8
	v_cndmask_b32_e64 v3, v3, v4, s6
	v_cndmask_b32_e64 v5, v5, v8, s6
	v_cndmask_b32_e32 v9, v9, v4, vcc_lo
	v_cndmask_b32_e64 v6, v6, v4, s5
	v_cndmask_b32_e64 v7, v7, v8, s5
	v_cmp_eq_u32_e64 s4, 7, v132
	v_cndmask_b32_e32 v10, v10, v8, vcc_lo
	v_cndmask_b32_e64 v1, v1, v4, s3
	v_cmp_eq_u32_e32 vcc_lo, 7, v131
	v_cndmask_b32_e64 v2, v2, v8, s3
	v_cmp_eq_u32_e64 s3, 7, v129
	v_cmp_eq_u32_e64 s5, 7, v130
	v_cndmask_b32_e32 v1, v1, v12, vcc_lo
	s_delay_alu instid0(VALU_DEP_4) | instskip(NEXT) | instid1(VALU_DEP_4)
	v_cndmask_b32_e32 v2, v2, v16, vcc_lo
	v_cndmask_b32_e64 v8, v3, v12, s3
	s_delay_alu instid0(VALU_DEP_4)
	v_cndmask_b32_e64 v6, v6, v12, s5
	v_cndmask_b32_e64 v3, v9, v12, s4
	;; [unrolled: 1-line block ×5, first 2 shown]
	v_perm_b32 v4, v2, v1, 0x5040100
	s_mov_b32 s3, exec_lo
	v_perm_b32 v3, v9, v3, 0x5040100
	v_perm_b32 v2, v7, v6, 0x5040100
	;; [unrolled: 1-line block ×3, first 2 shown]
	ds_store_b128 v134, v[1:4]
	s_waitcnt lgkmcnt(0)
	s_barrier
	buffer_gl0_inv
	v_cmpx_gt_u32_e32 32, v0
	s_cbranch_execz .LBB244_2
; %bb.15:
	s_load_b64 s[4:5], s[0:1], 0x68
	v_add_nc_u32_e32 v20, s31, v138
	v_lshlrev_b32_e32 v0, 10, v0
	v_lshlrev_b32_e32 v1, 4, v139
	s_lshl_b32 s0, s35, 7
	s_delay_alu instid0(SALU_CYCLE_1)
	s_mul_i32 s1, s0, s34
	v_add_nc_u32_e32 v2, 2, v20
	s_mul_i32 s6, s1, s7
	v_and_or_b32 v0, 0x3800, v0, v1
	v_mul_lo_u32 v1, v20, s0
	s_ashr_i32 s7, s6, 31
	v_mul_lo_u32 v11, v2, s0
	s_lshl_b64 s[6:7], s[6:7], 1
	v_add_nc_u32_e32 v3, 4, v20
	v_lshl_or_b32 v21, v138, 6, v0
	v_add_nc_u32_e32 v16, 6, v20
	v_ashrrev_i32_e32 v2, 31, v1
	s_delay_alu instid0(VALU_DEP_4)
	v_mul_lo_u32 v13, v3, s0
	s_waitcnt lgkmcnt(0)
	s_add_u32 s1, s4, s6
	s_addc_u32 s3, s5, s7
	s_lshl_b32 s4, s14, 7
	ds_load_b128 v[3:6], v21
	ds_load_b128 v[7:10], v21 offset:128
	s_ashr_i32 s5, s4, 31
	v_ashrrev_i32_e32 v12, 31, v11
	s_lshl_b64 s[4:5], s[4:5], 1
	v_lshlrev_b64 v[14:15], 1, v[1:2]
	s_add_u32 s1, s1, s4
	s_addc_u32 s3, s3, s5
	v_add_co_u32 v1, s1, s1, v137
	s_delay_alu instid0(VALU_DEP_1) | instskip(SKIP_1) | instid1(VALU_DEP_3)
	v_add_co_ci_u32_e64 v2, null, s3, 0, s1
	v_lshlrev_b64 v[11:12], 1, v[11:12]
	v_add_co_u32 v18, vcc_lo, v1, v14
	v_mul_lo_u32 v16, v16, s0
	s_delay_alu instid0(VALU_DEP_4) | instskip(NEXT) | instid1(VALU_DEP_4)
	v_add_co_ci_u32_e32 v19, vcc_lo, v2, v15, vcc_lo
	v_add_co_u32 v11, vcc_lo, v1, v11
	v_ashrrev_i32_e32 v14, 31, v13
	v_add_co_ci_u32_e32 v12, vcc_lo, v2, v12, vcc_lo
	v_add_nc_u32_e32 v15, 8, v20
	v_ashrrev_i32_e32 v17, 31, v16
	s_waitcnt lgkmcnt(1)
	global_store_b128 v[18:19], v[3:6], off
	v_lshlrev_b64 v[3:4], 1, v[13:14]
	s_waitcnt lgkmcnt(0)
	global_store_b128 v[11:12], v[7:10], off
	v_mul_lo_u32 v11, v15, s0
	v_add_nc_u32_e32 v7, 10, v20
	v_lshlrev_b64 v[5:6], 1, v[16:17]
	v_add_co_u32 v23, vcc_lo, v1, v3
	v_add_nc_u32_e32 v3, 12, v20
	s_delay_alu instid0(VALU_DEP_4)
	v_mul_lo_u32 v25, v7, s0
	v_ashrrev_i32_e32 v12, 31, v11
	v_add_co_ci_u32_e32 v24, vcc_lo, v2, v4, vcc_lo
	v_add_co_u32 v27, vcc_lo, v1, v5
	v_mul_lo_u32 v29, v3, s0
	v_add_co_ci_u32_e32 v28, vcc_lo, v2, v6, vcc_lo
	ds_load_b128 v[3:6], v21 offset:256
	ds_load_b128 v[7:10], v21 offset:384
	v_lshlrev_b64 v[31:32], 1, v[11:12]
	ds_load_b128 v[11:14], v21 offset:512
	ds_load_b128 v[15:18], v21 offset:640
	;; [unrolled: 1-line block ×3, first 2 shown]
	v_ashrrev_i32_e32 v26, 31, v25
	v_ashrrev_i32_e32 v30, 31, v29
	v_add_co_u32 v31, vcc_lo, v1, v31
	s_delay_alu instid0(VALU_DEP_3) | instskip(NEXT) | instid1(VALU_DEP_3)
	v_lshlrev_b64 v[25:26], 1, v[25:26]
	v_lshlrev_b64 v[29:30], 1, v[29:30]
	v_add_co_ci_u32_e32 v32, vcc_lo, v2, v32, vcc_lo
	s_delay_alu instid0(VALU_DEP_3) | instskip(NEXT) | instid1(VALU_DEP_4)
	v_add_co_u32 v25, vcc_lo, v1, v25
	v_add_co_ci_u32_e32 v26, vcc_lo, v2, v26, vcc_lo
	s_delay_alu instid0(VALU_DEP_4)
	v_add_co_u32 v29, vcc_lo, v1, v29
	v_add_co_ci_u32_e32 v30, vcc_lo, v2, v30, vcc_lo
	s_waitcnt lgkmcnt(4)
	global_store_b128 v[23:24], v[3:6], off
	s_waitcnt lgkmcnt(3)
	global_store_b128 v[27:28], v[7:10], off
	;; [unrolled: 2-line block ×5, first 2 shown]
	s_and_b32 exec_lo, exec_lo, s2
	s_cbranch_execz .LBB244_2
; %bb.16:
	ds_load_b128 v[3:6], v0 offset:896
	s_add_i32 s1, s31, 14
	s_delay_alu instid0(SALU_CYCLE_1) | instskip(NEXT) | instid1(SALU_CYCLE_1)
	s_mul_i32 s0, s1, s0
	s_ashr_i32 s1, s0, 31
	s_delay_alu instid0(SALU_CYCLE_1) | instskip(NEXT) | instid1(SALU_CYCLE_1)
	s_lshl_b64 s[0:1], s[0:1], 1
	v_add_co_u32 v0, vcc_lo, v1, s0
	v_add_co_ci_u32_e32 v1, vcc_lo, s1, v2, vcc_lo
	s_waitcnt lgkmcnt(0)
	global_store_b128 v[0:1], v[3:6], off
	s_nop 0
	s_sendmsg sendmsg(MSG_DEALLOC_VGPRS)
	s_endpgm
	.section	.rodata,"a",@progbits
	.p2align	6, 0x0
	.amdhsa_kernel _Z39paged_attention_ll4mi_QKV_mfma16_kernelIDF16_DF16_LN4vllm18Fp8KVCacheDataTypeE0EhLi16ELi128ELi256ELb0ELi15EL8MFMAType0EEvPKT_PKT0_S8_ifPKiSA_SA_iPKfiiiPfSD_PS3_PT2_iSC_SC_
		.amdhsa_group_segment_fixed_size 17472
		.amdhsa_private_segment_fixed_size 0
		.amdhsa_kernarg_size 400
		.amdhsa_user_sgpr_count 13
		.amdhsa_user_sgpr_dispatch_ptr 0
		.amdhsa_user_sgpr_queue_ptr 0
		.amdhsa_user_sgpr_kernarg_segment_ptr 1
		.amdhsa_user_sgpr_dispatch_id 0
		.amdhsa_user_sgpr_private_segment_size 0
		.amdhsa_wavefront_size32 1
		.amdhsa_uses_dynamic_stack 0
		.amdhsa_enable_private_segment 0
		.amdhsa_system_sgpr_workgroup_id_x 1
		.amdhsa_system_sgpr_workgroup_id_y 1
		.amdhsa_system_sgpr_workgroup_id_z 1
		.amdhsa_system_sgpr_workgroup_info 0
		.amdhsa_system_vgpr_workitem_id 0
		.amdhsa_next_free_vgpr 218
		.amdhsa_next_free_sgpr 52
		.amdhsa_reserve_vcc 1
		.amdhsa_float_round_mode_32 0
		.amdhsa_float_round_mode_16_64 0
		.amdhsa_float_denorm_mode_32 3
		.amdhsa_float_denorm_mode_16_64 3
		.amdhsa_dx10_clamp 1
		.amdhsa_ieee_mode 1
		.amdhsa_fp16_overflow 0
		.amdhsa_workgroup_processor_mode 1
		.amdhsa_memory_ordered 1
		.amdhsa_forward_progress 0
		.amdhsa_shared_vgpr_count 0
		.amdhsa_exception_fp_ieee_invalid_op 0
		.amdhsa_exception_fp_denorm_src 0
		.amdhsa_exception_fp_ieee_div_zero 0
		.amdhsa_exception_fp_ieee_overflow 0
		.amdhsa_exception_fp_ieee_underflow 0
		.amdhsa_exception_fp_ieee_inexact 0
		.amdhsa_exception_int_div_zero 0
	.end_amdhsa_kernel
	.section	.text._Z39paged_attention_ll4mi_QKV_mfma16_kernelIDF16_DF16_LN4vllm18Fp8KVCacheDataTypeE0EhLi16ELi128ELi256ELb0ELi15EL8MFMAType0EEvPKT_PKT0_S8_ifPKiSA_SA_iPKfiiiPfSD_PS3_PT2_iSC_SC_,"axG",@progbits,_Z39paged_attention_ll4mi_QKV_mfma16_kernelIDF16_DF16_LN4vllm18Fp8KVCacheDataTypeE0EhLi16ELi128ELi256ELb0ELi15EL8MFMAType0EEvPKT_PKT0_S8_ifPKiSA_SA_iPKfiiiPfSD_PS3_PT2_iSC_SC_,comdat
.Lfunc_end244:
	.size	_Z39paged_attention_ll4mi_QKV_mfma16_kernelIDF16_DF16_LN4vllm18Fp8KVCacheDataTypeE0EhLi16ELi128ELi256ELb0ELi15EL8MFMAType0EEvPKT_PKT0_S8_ifPKiSA_SA_iPKfiiiPfSD_PS3_PT2_iSC_SC_, .Lfunc_end244-_Z39paged_attention_ll4mi_QKV_mfma16_kernelIDF16_DF16_LN4vllm18Fp8KVCacheDataTypeE0EhLi16ELi128ELi256ELb0ELi15EL8MFMAType0EEvPKT_PKT0_S8_ifPKiSA_SA_iPKfiiiPfSD_PS3_PT2_iSC_SC_
                                        ; -- End function
	.section	.AMDGPU.csdata,"",@progbits
; Kernel info:
; codeLenInByte = 8352
; NumSgprs: 54
; NumVgprs: 218
; ScratchSize: 0
; MemoryBound: 0
; FloatMode: 240
; IeeeMode: 1
; LDSByteSize: 17472 bytes/workgroup (compile time only)
; SGPRBlocks: 6
; VGPRBlocks: 27
; NumSGPRsForWavesPerEU: 54
; NumVGPRsForWavesPerEU: 218
; Occupancy: 6
; WaveLimiterHint : 1
; COMPUTE_PGM_RSRC2:SCRATCH_EN: 0
; COMPUTE_PGM_RSRC2:USER_SGPR: 13
; COMPUTE_PGM_RSRC2:TRAP_HANDLER: 0
; COMPUTE_PGM_RSRC2:TGID_X_EN: 1
; COMPUTE_PGM_RSRC2:TGID_Y_EN: 1
; COMPUTE_PGM_RSRC2:TGID_Z_EN: 1
; COMPUTE_PGM_RSRC2:TIDIG_COMP_CNT: 0
	.section	.text._Z39paged_attention_ll4mi_QKV_mfma16_kernelIDF16_DF16_LN4vllm18Fp8KVCacheDataTypeE0EhLi16ELi128ELi256ELb0ELi16EL8MFMAType0EEvPKT_PKT0_S8_ifPKiSA_SA_iPKfiiiPfSD_PS3_PT2_iSC_SC_,"axG",@progbits,_Z39paged_attention_ll4mi_QKV_mfma16_kernelIDF16_DF16_LN4vllm18Fp8KVCacheDataTypeE0EhLi16ELi128ELi256ELb0ELi16EL8MFMAType0EEvPKT_PKT0_S8_ifPKiSA_SA_iPKfiiiPfSD_PS3_PT2_iSC_SC_,comdat
	.protected	_Z39paged_attention_ll4mi_QKV_mfma16_kernelIDF16_DF16_LN4vllm18Fp8KVCacheDataTypeE0EhLi16ELi128ELi256ELb0ELi16EL8MFMAType0EEvPKT_PKT0_S8_ifPKiSA_SA_iPKfiiiPfSD_PS3_PT2_iSC_SC_ ; -- Begin function _Z39paged_attention_ll4mi_QKV_mfma16_kernelIDF16_DF16_LN4vllm18Fp8KVCacheDataTypeE0EhLi16ELi128ELi256ELb0ELi16EL8MFMAType0EEvPKT_PKT0_S8_ifPKiSA_SA_iPKfiiiPfSD_PS3_PT2_iSC_SC_
	.globl	_Z39paged_attention_ll4mi_QKV_mfma16_kernelIDF16_DF16_LN4vllm18Fp8KVCacheDataTypeE0EhLi16ELi128ELi256ELb0ELi16EL8MFMAType0EEvPKT_PKT0_S8_ifPKiSA_SA_iPKfiiiPfSD_PS3_PT2_iSC_SC_
	.p2align	8
	.type	_Z39paged_attention_ll4mi_QKV_mfma16_kernelIDF16_DF16_LN4vllm18Fp8KVCacheDataTypeE0EhLi16ELi128ELi256ELb0ELi16EL8MFMAType0EEvPKT_PKT0_S8_ifPKiSA_SA_iPKfiiiPfSD_PS3_PT2_iSC_SC_,@function
_Z39paged_attention_ll4mi_QKV_mfma16_kernelIDF16_DF16_LN4vllm18Fp8KVCacheDataTypeE0EhLi16ELi128ELi256ELb0ELi16EL8MFMAType0EEvPKT_PKT0_S8_ifPKiSA_SA_iPKfiiiPfSD_PS3_PT2_iSC_SC_: ; @_Z39paged_attention_ll4mi_QKV_mfma16_kernelIDF16_DF16_LN4vllm18Fp8KVCacheDataTypeE0EhLi16ELi128ELi256ELb0ELi16EL8MFMAType0EEvPKT_PKT0_S8_ifPKiSA_SA_iPKfiiiPfSD_PS3_PT2_iSC_SC_
; %bb.0:
	s_load_b64 s[4:5], s[0:1], 0x30
	s_mov_b32 s30, s13
	s_waitcnt lgkmcnt(0)
	s_cmp_lg_u64 s[4:5], 0
	s_cselect_b32 s12, -1, 0
	s_ashr_i32 s31, s13, 31
	s_cmp_eq_u64 s[4:5], 0
	s_cbranch_scc1 .LBB245_3
; %bb.1:
	s_lshl_b64 s[2:3], s[30:31], 2
	s_delay_alu instid0(SALU_CYCLE_1) | instskip(SKIP_4) | instid1(SALU_CYCLE_1)
	s_add_u32 s2, s4, s2
	s_addc_u32 s3, s5, s3
	s_load_b64 s[2:3], s[2:3], 0x0
	s_waitcnt lgkmcnt(0)
	s_sub_i32 s2, s3, s2
	s_cmp_eq_u32 s2, 1
	s_cselect_b32 s2, -1, 0
	s_delay_alu instid0(SALU_CYCLE_1)
	s_and_not1_b32 vcc_lo, exec_lo, s2
	s_cbranch_vccz .LBB245_4
.LBB245_2:
	s_endpgm
.LBB245_3:
.LBB245_4:
	s_load_b64 s[2:3], s[0:1], 0x28
	s_lshl_b64 s[6:7], s[30:31], 2
	s_waitcnt lgkmcnt(0)
	s_add_u32 s2, s2, s6
	s_addc_u32 s3, s3, s7
	s_lshl_b32 s29, s14, 8
	s_load_b32 s28, s[2:3], 0x0
	s_waitcnt lgkmcnt(0)
	s_cmp_ge_i32 s29, s28
	s_cbranch_scc1 .LBB245_2
; %bb.5:
	s_clause 0x1
	s_load_b128 s[8:11], s[0:1], 0x8
	s_load_b64 s[2:3], s[0:1], 0x20
	s_and_not1_b32 vcc_lo, exec_lo, s12
	s_cbranch_vccnz .LBB245_7
; %bb.6:
	s_add_u32 s4, s4, s6
	s_addc_u32 s5, s5, s7
	s_load_b32 s12, s[4:5], 0x0
	s_branch .LBB245_8
.LBB245_7:
	s_mov_b32 s12, s30
.LBB245_8:
	s_load_b128 s[4:7], s[0:1], 0x48
	v_and_b32_e32 v141, 15, v0
	v_lshrrev_b32_e32 v140, 5, v0
	v_and_b32_e32 v143, 31, v0
	v_and_b32_e32 v139, 1, v0
	v_bfe_u32 v138, v0, 4, 1
	v_lshlrev_b32_e32 v1, 3, v141
	s_lshl_b32 s31, s15, 4
	s_waitcnt lgkmcnt(0)
	s_mov_b32 s7, exec_lo
	s_delay_alu instid0(VALU_DEP_1)
	v_lshlrev_b32_e32 v137, 1, v1
	v_cmpx_gt_u32_e32 0x100, v0
	s_cbranch_execz .LBB245_10
; %bb.9:
	v_lshl_or_b32 v5, v140, 1, v138
	s_load_b64 s[16:17], s[0:1], 0x0
	s_mul_hi_i32 s13, s12, s4
	s_mul_i32 s12, s12, s4
	v_lshlrev_b32_e32 v6, 10, v141
	v_or_b32_e32 v1, s31, v5
	s_lshl_b64 s[12:13], s[12:13], 1
	v_lshlrev_b32_e32 v5, 6, v5
	v_lshlrev_b32_e32 v7, 10, v139
	v_and_b32_e32 v6, 0x3800, v6
	v_lshlrev_b32_e32 v1, 7, v1
	s_delay_alu instid0(VALU_DEP_2) | instskip(NEXT) | instid1(VALU_DEP_2)
	v_or3_b32 v5, v6, v7, v5
	v_ashrrev_i32_e32 v2, 31, v1
	s_delay_alu instid0(VALU_DEP_1) | instskip(SKIP_3) | instid1(VALU_DEP_1)
	v_lshlrev_b64 v[1:2], 1, v[1:2]
	s_waitcnt lgkmcnt(0)
	s_add_u32 s4, s16, s12
	s_addc_u32 s12, s17, s13
	v_add_co_u32 v1, vcc_lo, s4, v1
	s_delay_alu instid0(VALU_DEP_2) | instskip(NEXT) | instid1(VALU_DEP_2)
	v_add_co_ci_u32_e32 v2, vcc_lo, s12, v2, vcc_lo
	v_add_co_u32 v1, vcc_lo, v1, v137
	s_delay_alu instid0(VALU_DEP_2)
	v_add_co_ci_u32_e32 v2, vcc_lo, 0, v2, vcc_lo
	global_load_b128 v[1:4], v[1:2], off
	s_waitcnt vmcnt(0)
	ds_store_b128 v5, v[1:4]
.LBB245_10:
	s_or_b32 exec_lo, exec_lo, s7
	s_mov_b32 s40, 0
	s_add_i32 s4, s28, 15
	s_mov_b32 s41, s40
	s_mov_b32 s42, s40
	;; [unrolled: 1-line block ×7, first 2 shown]
	s_delay_alu instid0(SALU_CYCLE_1)
	v_dual_mov_b32 v136, s47 :: v_dual_and_b32 v1, 0xef, v0
	v_mov_b32_e32 v134, s45
	s_clause 0x1
	s_load_b32 s7, s[0:1], 0x38
	s_load_b32 s33, s[0:1], 0x98
	v_add_nc_u32_e32 v1, s29, v1
	s_ashr_i32 s12, s4, 31
	s_load_b32 s34, s[0:1], 0x1c
	s_lshr_b32 s12, s12, 28
	s_waitcnt lgkmcnt(0)
	v_ashrrev_i32_e32 v2, 31, v1
	s_add_i32 s4, s4, s12
	v_cmp_gt_i32_e32 vcc_lo, s28, v1
	v_mov_b32_e32 v135, s46
	s_ashr_i32 s4, s4, 4
	v_lshrrev_b32_e32 v3, 28, v2
	v_or_b32_e32 v2, 16, v1
	s_add_i32 s4, s4, -1
	v_mov_b32_e32 v132, s43
	s_barrier
	v_add_nc_u32_e32 v4, v1, v3
	v_add_nc_u32_e32 v3, v2, v3
	buffer_gl0_inv
	v_lshlrev_b32_e32 v142, 6, v141
	s_mul_i32 s12, s30, s7
	v_ashrrev_i32_e32 v4, 4, v4
	v_ashrrev_i32_e32 v3, 4, v3
	s_ashr_i32 s13, s12, 31
	v_mov_b32_e32 v133, s44
	s_lshl_b64 s[12:13], s[12:13], 2
	v_cndmask_b32_e32 v1, s4, v4, vcc_lo
	v_cmp_gt_i32_e32 vcc_lo, s28, v2
	s_add_u32 s35, s2, s12
	s_addc_u32 s36, s3, s13
	s_mul_i32 s2, s15, s6
	v_ashrrev_i32_e32 v2, 31, v1
	v_cndmask_b32_e32 v3, s4, v3, vcc_lo
	s_ashr_i32 s3, s2, 31
	v_mov_b32_e32 v131, s42
	s_lshl_b64 s[2:3], s[2:3], 1
	v_lshlrev_b64 v[1:2], 2, v[1:2]
	v_ashrrev_i32_e32 v4, 31, v3
	s_add_u32 s22, s8, s2
	s_addc_u32 s23, s9, s3
	s_lshl_b32 s6, s14, 4
	v_mov_b32_e32 v129, s40
	v_lshlrev_b64 v[3:4], 2, v[3:4]
	v_add_co_u32 v1, vcc_lo, s35, v1
	v_add_co_ci_u32_e32 v2, vcc_lo, s36, v2, vcc_lo
	s_ashr_i32 s7, s6, 31
	s_delay_alu instid0(VALU_DEP_3) | instskip(NEXT) | instid1(VALU_DEP_4)
	v_add_co_u32 v3, vcc_lo, s35, v3
	v_add_co_ci_u32_e32 v4, vcc_lo, s36, v4, vcc_lo
	s_clause 0x1
	global_load_b32 v5, v[1:2], off
	global_load_b32 v6, v[3:4], off
	s_lshl_b64 s[6:7], s[6:7], 2
	v_dual_mov_b32 v130, s41 :: v_dual_lshlrev_b32 v3, 4, v0
	s_add_u32 s6, s35, s6
	s_addc_u32 s7, s36, s7
	s_or_b32 s8, s29, 16
	v_lshlrev_b32_e32 v125, 5, v141
	s_ashr_i32 s9, s8, 4
	s_cmp_lt_i32 s8, s28
	s_cselect_b32 s8, s9, s4
	s_delay_alu instid0(VALU_DEP_1) | instskip(SKIP_1) | instid1(SALU_CYCLE_1)
	v_lshl_or_b32 v125, v140, 9, v125
	s_ashr_i32 s9, s8, 31
	s_lshl_b64 s[8:9], s[8:9], 2
	s_delay_alu instid0(SALU_CYCLE_1) | instskip(SKIP_2) | instid1(SALU_CYCLE_1)
	s_add_u32 s8, s35, s8
	s_addc_u32 s9, s36, s9
	s_or_b32 s12, s29, 32
	s_ashr_i32 s13, s12, 4
	s_cmp_lt_i32 s12, s28
	s_cselect_b32 s12, s13, s4
	s_delay_alu instid0(SALU_CYCLE_1) | instskip(NEXT) | instid1(SALU_CYCLE_1)
	s_ashr_i32 s13, s12, 31
	s_lshl_b64 s[12:13], s[12:13], 2
	s_delay_alu instid0(SALU_CYCLE_1) | instskip(SKIP_2) | instid1(SALU_CYCLE_1)
	s_add_u32 s12, s35, s12
	s_addc_u32 s13, s36, s13
	s_or_b32 s15, s29, 48
	s_ashr_i32 s16, s15, 4
	s_cmp_lt_i32 s15, s28
	s_cselect_b32 s16, s16, s4
	s_delay_alu instid0(SALU_CYCLE_1) | instskip(NEXT) | instid1(SALU_CYCLE_1)
	;; [unrolled: 10-line block ×4, first 2 shown]
	s_ashr_i32 s21, s20, 31
	s_lshl_b64 s[20:21], s[20:21], 2
	s_delay_alu instid0(SALU_CYCLE_1)
	s_add_u32 s20, s35, s20
	s_addc_u32 s21, s36, s21
	s_clause 0x5
	s_load_b32 s6, s[6:7], 0x0
	s_load_b32 s8, s[8:9], 0x0
	;; [unrolled: 1-line block ×6, first 2 shown]
	s_waitcnt vmcnt(1)
	v_mad_i64_i32 v[1:2], null, v5, s5, 0
	v_and_b32_e32 v5, 0xf0, v3
	s_waitcnt vmcnt(0)
	v_mad_i64_i32 v[3:4], null, v6, s5, 0
	s_delay_alu instid0(VALU_DEP_2) | instskip(NEXT) | instid1(VALU_DEP_4)
	v_add_co_u32 v5, s7, s22, v5
	v_lshlrev_b64 v[1:2], 1, v[1:2]
	v_add_co_ci_u32_e64 v6, null, s23, 0, s7
	s_delay_alu instid0(VALU_DEP_4) | instskip(SKIP_1) | instid1(VALU_DEP_3)
	v_lshlrev_b64 v[3:4], 1, v[3:4]
	s_or_b32 s7, s29, 0x60
	v_add_co_u32 v121, vcc_lo, v5, v1
	s_delay_alu instid0(VALU_DEP_3) | instskip(NEXT) | instid1(VALU_DEP_3)
	v_add_co_ci_u32_e32 v122, vcc_lo, v6, v2, vcc_lo
	v_add_co_u32 v123, vcc_lo, v5, v3
	s_delay_alu instid0(VALU_DEP_4)
	v_add_co_ci_u32_e32 v124, vcc_lo, v6, v4, vcc_lo
	s_clause 0x19
	global_load_b128 v[89:92], v[121:122], off
	global_load_b128 v[93:96], v[121:122], off offset:256
	global_load_b128 v[97:100], v[123:124], off
	global_load_b128 v[101:104], v[123:124], off offset:256
	global_load_b128 v[81:84], v[121:122], off offset:512
	;; [unrolled: 1-line block ×23, first 2 shown]
	s_ashr_i32 s9, s7, 4
	s_cmp_lt_i32 s7, s28
	ds_load_b128 v[105:108], v142
	ds_load_b128 v[109:112], v142 offset:1024
	s_cselect_b32 s20, s9, s4
	ds_load_b128 v[113:116], v142 offset:2048
	ds_load_b128 v[117:120], v142 offset:3072
	s_ashr_i32 s21, s20, 31
	ds_load_b128 v[144:147], v142 offset:4096
	ds_load_b128 v[148:151], v142 offset:5120
	s_lshl_b64 s[20:21], s[20:21], 2
	ds_load_b128 v[152:155], v142 offset:6144
	ds_load_b128 v[156:159], v142 offset:7168
	s_add_u32 s20, s35, s20
	s_addc_u32 s21, s36, s21
	s_or_b32 s7, s29, 0x70
	ds_load_b128 v[160:163], v142 offset:8192
	ds_load_b128 v[164:167], v142 offset:9216
	s_ashr_i32 s9, s7, 4
	s_cmp_lt_i32 s7, s28
	s_clause 0x1
	global_load_b128 v[168:171], v[123:124], off offset:3072
	global_load_b128 v[172:175], v[123:124], off offset:3328
	s_cselect_b32 s22, s9, s4
	s_delay_alu instid0(SALU_CYCLE_1) | instskip(NEXT) | instid1(SALU_CYCLE_1)
	s_ashr_i32 s23, s22, 31
	s_lshl_b64 s[22:23], s[22:23], 2
	s_delay_alu instid0(SALU_CYCLE_1)
	s_add_u32 s22, s35, s22
	s_addc_u32 s23, s36, s23
	s_clause 0x1
	s_load_b32 s44, s[20:21], 0x0
	s_load_b32 s45, s[22:23], 0x0
	s_clause 0x3
	global_load_b128 v[176:179], v[121:122], off offset:3584
	global_load_b128 v[180:183], v[121:122], off offset:3840
	;; [unrolled: 1-line block ×4, first 2 shown]
	s_or_b32 s7, s29, 0x80
	s_delay_alu instid0(SALU_CYCLE_1) | instskip(SKIP_2) | instid1(SALU_CYCLE_1)
	s_ashr_i32 s9, s7, 4
	s_cmp_lt_i32 s7, s28
	s_cselect_b32 s24, s9, s4
	s_ashr_i32 s25, s24, 31
	s_delay_alu instid0(SALU_CYCLE_1) | instskip(NEXT) | instid1(SALU_CYCLE_1)
	s_lshl_b64 s[24:25], s[24:25], 2
	s_add_u32 s24, s35, s24
	s_addc_u32 s25, s36, s25
	s_or_b32 s7, s29, 0x90
	s_delay_alu instid0(SALU_CYCLE_1) | instskip(SKIP_2) | instid1(SALU_CYCLE_1)
	s_ashr_i32 s9, s7, 4
	s_cmp_lt_i32 s7, s28
	s_cselect_b32 s26, s9, s4
	s_ashr_i32 s27, s26, 31
	s_delay_alu instid0(SALU_CYCLE_1) | instskip(NEXT) | instid1(SALU_CYCLE_1)
	s_lshl_b64 s[26:27], s[26:27], 2
	s_add_u32 s26, s35, s26
	s_addc_u32 s27, s36, s27
	s_or_b32 s7, s29, 0xa0
	s_delay_alu instid0(SALU_CYCLE_1)
	s_ashr_i32 s9, s7, 4
	s_cmp_lt_i32 s7, s28
	s_waitcnt lgkmcnt(0)
	s_mul_hi_i32 s7, s6, s5
	s_cselect_b32 s38, s9, s4
	s_mul_i32 s6, s6, s5
	s_ashr_i32 s39, s38, 31
	s_delay_alu instid0(SALU_CYCLE_1) | instskip(NEXT) | instid1(SALU_CYCLE_1)
	s_lshl_b64 s[38:39], s[38:39], 2
	s_add_u32 s38, s35, s38
	s_addc_u32 s39, s36, s39
	s_or_b32 s9, s29, 0xb0
	s_load_b32 s39, s[38:39], 0x0
	s_ashr_i32 s13, s9, 4
	s_cmp_lt_i32 s9, s28
	s_mul_hi_i32 s9, s8, s5
	s_cselect_b32 s40, s13, s4
	s_mul_i32 s8, s8, s5
	s_ashr_i32 s41, s40, 31
	s_mul_hi_i32 s13, s12, s5
	s_lshl_b64 s[40:41], s[40:41], 2
	s_mul_i32 s12, s12, s5
	s_add_u32 s42, s35, s40
	s_addc_u32 s43, s36, s41
	s_or_b32 s17, s29, 0xc0
	s_delay_alu instid0(SALU_CYCLE_1)
	s_ashr_i32 s19, s17, 4
	s_cmp_lt_i32 s17, s28
	s_mul_hi_i32 s17, s16, s5
	s_cselect_b32 s40, s19, s4
	s_mul_i32 s16, s16, s5
	s_ashr_i32 s41, s40, 31
	s_mul_hi_i32 s19, s18, s5
	s_lshl_b64 s[40:41], s[40:41], 2
	s_mul_i32 s18, s18, s5
	s_add_u32 s22, s35, s40
	s_addc_u32 s23, s36, s41
	s_or_b32 s20, s29, 0xd0
	s_clause 0x1
	s_load_b32 s41, s[24:25], 0x0
	s_load_b32 s40, s[26:27], 0x0
	s_ashr_i32 s21, s20, 4
	s_cmp_lt_i32 s20, s28
	s_mul_i32 s20, s15, s5
	s_cselect_b32 s24, s21, s4
	s_mul_hi_i32 s21, s15, s5
	s_ashr_i32 s25, s24, 31
	s_delay_alu instid0(SALU_CYCLE_1) | instskip(NEXT) | instid1(SALU_CYCLE_1)
	s_lshl_b64 s[24:25], s[24:25], 2
	s_add_u32 s24, s35, s24
	s_addc_u32 s25, s36, s25
	s_or_b32 s46, s29, 0xe0
	s_clause 0x2
	s_load_b32 s38, s[42:43], 0x0
	s_load_b32 s37, s[22:23], 0x0
	;; [unrolled: 1-line block ×3, first 2 shown]
	s_ashr_i32 s47, s46, 4
	s_cmp_lt_i32 s46, s28
	s_mul_hi_i32 s23, s44, s5
	s_cselect_b32 s42, s47, s4
	s_mul_i32 s22, s44, s5
	s_ashr_i32 s43, s42, 31
	s_mul_hi_i32 s25, s45, s5
	s_lshl_b64 s[42:43], s[42:43], 2
	s_mul_i32 s24, s45, s5
	s_add_u32 s42, s35, s42
	s_addc_u32 s43, s36, s43
	s_or_b32 s46, s29, 0xf0
	s_waitcnt lgkmcnt(0)
	s_mul_hi_i32 s27, s41, s5
	s_ashr_i32 s47, s46, 4
	s_cmp_lt_i32 s46, s28
	s_mul_i32 s26, s41, s5
	s_cselect_b32 s46, s47, s4
	s_mul_hi_i32 s41, s40, s5
	s_ashr_i32 s47, s46, 31
	s_mul_hi_i32 s51, s15, s5
	s_lshl_b64 s[46:47], s[46:47], 2
	s_mul_i32 s50, s15, s5
	s_add_u32 s46, s35, s46
	s_addc_u32 s47, s36, s47
	s_add_u32 s4, s10, s2
	s_addc_u32 s15, s11, s3
	v_add_co_u32 v216, s4, s4, v125
	s_delay_alu instid0(VALU_DEP_1) | instskip(SKIP_2) | instid1(VALU_DEP_2)
	v_add_co_ci_u32_e64 v217, null, s15, 0, s4
	s_lshl_b64 s[2:3], s[6:7], 1
	s_lshl_b64 s[6:7], s[8:9], 1
	v_add_co_u32 v125, vcc_lo, v216, s2
	s_delay_alu instid0(VALU_DEP_2)
	v_add_co_ci_u32_e32 v126, vcc_lo, s3, v217, vcc_lo
	v_add_co_u32 v200, vcc_lo, v216, s6
	s_lshl_b64 s[8:9], s[12:13], 1
	v_add_co_ci_u32_e32 v201, vcc_lo, s7, v217, vcc_lo
	s_lshl_b64 s[10:11], s[16:17], 1
	s_lshl_b64 s[12:13], s[18:19], 1
	;; [unrolled: 1-line block ×6, first 2 shown]
	s_mul_i32 s40, s40, s5
	s_mul_hi_i32 s45, s39, s5
	s_lshl_b64 s[24:25], s[40:41], 1
	s_mul_i32 s44, s39, s5
	s_mul_hi_i32 s39, s38, s5
	s_lshl_b64 s[26:27], s[44:45], 1
	s_mul_i32 s38, s38, s5
	s_mul_hi_i32 s49, s37, s5
	s_mul_i32 s48, s37, s5
	s_lshl_b64 s[36:37], s[38:39], 1
	s_lshl_b64 s[38:39], s[48:49], 1
	s_clause 0x1
	s_load_b32 s4, s[42:43], 0x0
	s_load_b32 s15, s[46:47], 0x0
	s_lshl_b64 s[40:41], s[50:51], 1
	s_waitcnt lgkmcnt(0)
	s_mul_hi_i32 s3, s4, s5
	s_mul_i32 s2, s4, s5
	s_mul_hi_i32 s7, s15, s5
	s_lshl_b64 s[2:3], s[2:3], 1
	s_mul_i32 s6, s15, s5
	s_waitcnt vmcnt(30)
	v_wmma_f32_16x16x16_f16 v[192:199], v[89:96], v[105:112], v[129:136]
	v_add_co_u32 v89, vcc_lo, v216, s8
	v_add_co_ci_u32_e32 v90, vcc_lo, s9, v217, vcc_lo
	v_add_co_u32 v91, vcc_lo, v216, s10
	v_add_co_ci_u32_e32 v92, vcc_lo, s11, v217, vcc_lo
	;; [unrolled: 2-line block ×5, first 2 shown]
	v_add_co_u32 v206, vcc_lo, v216, s20
	s_waitcnt vmcnt(28)
	v_wmma_f32_16x16x16_f16 v[129:136], v[97:104], v[105:112], v[129:136]
	v_add_co_ci_u32_e32 v207, vcc_lo, s21, v217, vcc_lo
	v_add_co_u32 v208, vcc_lo, v216, s22
	v_add_co_ci_u32_e32 v209, vcc_lo, s23, v217, vcc_lo
	v_add_co_u32 v210, vcc_lo, v216, s24
	s_waitcnt vmcnt(26)
	v_wmma_f32_16x16x16_f16 v[192:199], v[81:88], v[113:120], v[192:199]
	s_waitcnt vmcnt(24)
	v_wmma_f32_16x16x16_f16 v[129:136], v[73:80], v[113:120], v[129:136]
	v_add_co_ci_u32_e32 v211, vcc_lo, s25, v217, vcc_lo
	v_add_co_u32 v212, vcc_lo, v216, s26
	v_add_co_ci_u32_e32 v213, vcc_lo, s27, v217, vcc_lo
	v_add_co_u32 v214, vcc_lo, v216, s36
	s_waitcnt vmcnt(22)
	v_wmma_f32_16x16x16_f16 v[192:199], v[65:72], v[144:151], v[192:199]
	s_waitcnt vmcnt(20)
	v_wmma_f32_16x16x16_f16 v[129:136], v[57:64], v[144:151], v[129:136]
	v_add_co_ci_u32_e32 v215, vcc_lo, s37, v217, vcc_lo
	v_add_co_u32 v144, vcc_lo, v216, s38
	s_waitcnt vmcnt(18)
	v_wmma_f32_16x16x16_f16 v[192:199], v[49:56], v[152:159], v[192:199]
	s_waitcnt vmcnt(16)
	v_wmma_f32_16x16x16_f16 v[129:136], v[25:32], v[152:159], v[129:136]
	v_add_co_ci_u32_e32 v145, vcc_lo, s39, v217, vcc_lo
	s_clause 0x15
	global_load_b128 v[121:124], v[125:126], off
	global_load_b128 v[125:128], v[125:126], off offset:16
	global_load_b128 v[113:116], v[200:201], off
	global_load_b128 v[117:120], v[200:201], off offset:16
	;; [unrolled: 2-line block ×11, first 2 shown]
	s_waitcnt vmcnt(36)
	v_wmma_f32_16x16x16_f16 v[192:199], v[1:8], v[160:167], v[192:199]
	s_clause 0x1
	global_load_b128 v[1:4], v[214:215], off
	global_load_b128 v[5:8], v[214:215], off offset:16
	s_waitcnt vmcnt(36)
	v_wmma_f32_16x16x16_f16 v[129:136], v[9:16], v[160:167], v[129:136]
	s_clause 0x1
	global_load_b128 v[9:12], v[144:145], off
	global_load_b128 v[13:16], v[144:145], off offset:16
	ds_load_b128 v[144:147], v142 offset:10240
	ds_load_b128 v[148:151], v142 offset:11264
	;; [unrolled: 1-line block ×4, first 2 shown]
	v_add_co_u32 v200, vcc_lo, v216, s40
	v_add_co_ci_u32_e32 v201, vcc_lo, s41, v217, vcc_lo
	v_add_co_u32 v160, vcc_lo, v216, s2
	v_add_co_ci_u32_e32 v161, vcc_lo, s3, v217, vcc_lo
	s_lshl_b64 s[2:3], s[6:7], 1
	s_delay_alu instid0(SALU_CYCLE_1)
	v_add_co_u32 v162, vcc_lo, v216, s2
	v_add_co_ci_u32_e32 v163, vcc_lo, s3, v217, vcc_lo
	s_waitcnt vmcnt(36) lgkmcnt(2)
	v_wmma_f32_16x16x16_f16 v[192:199], v[41:48], v[144:151], v[192:199]
	s_waitcnt vmcnt(34)
	v_wmma_f32_16x16x16_f16 v[129:136], v[33:40], v[144:151], v[129:136]
	s_clause 0x3
	global_load_b128 v[33:36], v[200:201], off
	global_load_b128 v[37:40], v[200:201], off offset:16
	global_load_b128 v[41:44], v[160:161], off
	global_load_b128 v[45:48], v[160:161], off offset:16
	v_and_b32_e32 v144, 0xe0, v0
	v_mbcnt_lo_u32_b32 v160, -1, 0
	s_waitcnt vmcnt(36) lgkmcnt(0)
	v_wmma_f32_16x16x16_f16 v[192:199], v[17:24], v[152:159], v[192:199]
	s_clause 0x1
	global_load_b128 v[17:20], v[162:163], off
	global_load_b128 v[21:24], v[162:163], off offset:16
	s_waitcnt vmcnt(36)
	v_wmma_f32_16x16x16_f16 v[129:136], v[168:175], v[152:159], v[129:136]
	v_add_nc_u32_e32 v161, s29, v144
	ds_load_b128 v[144:147], v142 offset:14336
	ds_load_b128 v[148:151], v142 offset:15360
	v_xor_b32_e32 v152, 16, v160
	s_waitcnt vmcnt(0) lgkmcnt(0)
	s_barrier
	buffer_gl0_inv
	v_cmp_gt_i32_e32 vcc_lo, 32, v152
	v_cndmask_b32_e32 v152, v160, v152, vcc_lo
	v_wmma_f32_16x16x16_f16 v[192:199], v[176:183], v[144:151], v[192:199]
	v_wmma_f32_16x16x16_f16 v[129:136], v[184:191], v[144:151], v[129:136]
	s_delay_alu instid0(VALU_DEP_2) | instskip(SKIP_1) | instid1(VALU_DEP_3)
	v_mul_f32_e32 v150, s34, v193
	v_or_b32_e32 v153, v161, v138
	v_dual_mul_f32 v151, s34, v192 :: v_dual_mul_f32 v176, s34, v129
	v_dual_mul_f32 v148, s34, v195 :: v_dual_mul_f32 v149, s34, v194
	v_mul_f32_e32 v174, s34, v131
	s_delay_alu instid0(VALU_DEP_4)
	v_or_b32_e32 v154, 2, v153
	v_or_b32_e32 v155, 4, v153
	;; [unrolled: 1-line block ×3, first 2 shown]
	v_cmp_gt_i32_e32 vcc_lo, s28, v153
	v_or_b32_e32 v157, 8, v153
	v_cmp_gt_i32_e64 s2, s28, v154
	v_or_b32_e32 v158, 10, v153
	v_cmp_gt_i32_e64 s3, s28, v155
	v_cndmask_b32_e32 v151, 0xff7fffff, v151, vcc_lo
	v_cmp_gt_i32_e64 s4, s28, v156
	v_cndmask_b32_e64 v150, 0xff7fffff, v150, s2
	v_or_b32_e32 v159, 12, v153
	v_or_b32_e32 v160, 14, v153
	v_dual_mul_f32 v146, s34, v197 :: v_dual_mul_f32 v147, s34, v196
	v_mul_f32_e32 v172, s34, v133
	v_cndmask_b32_e64 v149, 0xff7fffff, v149, s3
	v_cndmask_b32_e64 v148, 0xff7fffff, v148, s4
	v_max3_f32 v150, v151, 0xff7fffff, v150
	v_cmp_gt_i32_e64 s5, s28, v157
	v_cmp_gt_i32_e64 s6, s28, v158
	v_or_b32_e32 v161, 16, v153
	v_or_b32_e32 v162, 18, v153
	v_dual_mul_f32 v144, s34, v199 :: v_dual_mul_f32 v145, s34, v198
	v_mul_f32_e32 v170, s34, v135
	v_cndmask_b32_e64 v147, 0xff7fffff, v147, s5
	v_cndmask_b32_e64 v146, 0xff7fffff, v146, s6
	v_max3_f32 v148, v150, v149, v148
	v_cmp_gt_i32_e64 s7, s28, v159
	v_cmp_gt_i32_e64 s8, s28, v160
	v_or_b32_e32 v163, 20, v153
	v_or_b32_e32 v164, 22, v153
	v_mul_f32_e32 v175, s34, v130
	v_cndmask_b32_e64 v145, 0xff7fffff, v145, s7
	v_cndmask_b32_e64 v144, 0xff7fffff, v144, s8
	v_max3_f32 v146, v148, v147, v146
	v_cmp_gt_i32_e64 s9, s28, v161
	v_cmp_gt_i32_e64 s10, s28, v162
	v_or_b32_e32 v165, 24, v153
	v_or_b32_e32 v166, 26, v153
	v_mul_f32_e32 v173, s34, v132
	v_cndmask_b32_e64 v147, 0xff7fffff, v176, s9
	v_cndmask_b32_e64 v148, 0xff7fffff, v175, s10
	v_max3_f32 v144, v146, v145, v144
	v_cmp_gt_i32_e64 s11, s28, v163
	v_cmp_gt_i32_e64 s12, s28, v164
	v_or_b32_e32 v167, 28, v153
	v_or_b32_e32 v168, 30, v153
	v_mul_f32_e32 v171, s34, v134
	v_cndmask_b32_e64 v145, 0xff7fffff, v174, s11
	v_cndmask_b32_e64 v146, 0xff7fffff, v173, s12
	v_max3_f32 v144, v144, v147, v148
	v_cmp_gt_i32_e64 s13, s28, v165
	v_cmp_gt_i32_e64 s15, s28, v166
	v_mul_f32_e32 v169, s34, v136
	v_cmp_gt_i32_e64 s16, s28, v167
	v_max3_f32 v144, v144, v145, v146
	v_cndmask_b32_e64 v147, 0xff7fffff, v172, s13
	v_cndmask_b32_e64 v148, 0xff7fffff, v171, s15
	v_cmp_gt_i32_e64 s17, s28, v168
	v_cndmask_b32_e64 v145, 0xff7fffff, v170, s16
	v_lshlrev_b32_e32 v161, 2, v152
	s_delay_alu instid0(VALU_DEP_4) | instskip(NEXT) | instid1(VALU_DEP_4)
	v_max3_f32 v144, v144, v147, v148
	v_cndmask_b32_e64 v146, 0xff7fffff, v169, s17
	s_delay_alu instid0(VALU_DEP_1) | instskip(SKIP_3) | instid1(VALU_DEP_1)
	v_max3_f32 v144, v144, v145, v146
	ds_bpermute_b32 v145, v161, v144
	s_waitcnt lgkmcnt(0)
	v_max_f32_e32 v145, v145, v145
	v_max_f32_e32 v160, v144, v145
	s_delay_alu instid0(VALU_DEP_1) | instskip(SKIP_4) | instid1(VALU_DEP_4)
	v_fma_f32 v146, s34, v194, -v160
	v_fma_f32 v147, s34, v195, -v160
	;; [unrolled: 1-line block ×5, first 2 shown]
	v_dual_mul_f32 v146, 0x3fb8aa3b, v146 :: v_dual_mul_f32 v147, 0x3fb8aa3b, v147
	v_fma_f32 v145, s34, v193, -v160
	v_mul_f32_e32 v144, 0x3fb8aa3b, v144
	s_delay_alu instid0(VALU_DEP_4) | instskip(NEXT) | instid1(VALU_DEP_4)
	v_mul_f32_e32 v130, 0x3fb8aa3b, v130
	v_exp_f32_e32 v146, v146
	v_exp_f32_e32 v151, v147
	v_mul_f32_e32 v152, 0x3fb8aa3b, v152
	v_exp_f32_e32 v144, v144
	v_fma_f32 v153, s34, v199, -v160
	v_fma_f32 v132, s34, v132, -v160
	;; [unrolled: 1-line block ×3, first 2 shown]
	v_exp_f32_e32 v152, v152
	v_fma_f32 v149, s34, v196, -v160
	v_fma_f32 v129, s34, v129, -v160
	v_cndmask_b32_e64 v147, 0, v146, s3
	v_mul_f32_e32 v145, 0x3fb8aa3b, v145
	v_cndmask_b32_e64 v146, 0, v151, s4
	v_dual_mul_f32 v151, 0x3fb8aa3b, v153 :: v_dual_mul_f32 v132, 0x3fb8aa3b, v132
	v_mul_f32_e32 v150, 0x3fb8aa3b, v150
	s_delay_alu instid0(VALU_DEP_4) | instskip(SKIP_1) | instid1(VALU_DEP_3)
	v_exp_f32_e32 v148, v145
	v_fma_f32 v134, s34, v134, -v160
	v_exp_f32_e32 v154, v151
	v_cndmask_b32_e64 v151, 0, v152, s7
	v_cndmask_b32_e32 v145, 0, v144, vcc_lo
	v_exp_f32_e32 v150, v150
	v_dual_mul_f32 v129, 0x3fb8aa3b, v129 :: v_dual_mul_f32 v134, 0x3fb8aa3b, v134
	v_exp_f32_e32 v130, v130
	v_fma_f32 v131, s34, v131, -v160
	v_cndmask_b32_e64 v144, 0, v148, s2
	v_add_f32_e32 v148, 0, v145
	v_exp_f32_e32 v129, v129
	v_fma_f32 v133, s34, v133, -v160
	v_exp_f32_e32 v132, v132
	s_mov_b32 s2, exec_lo
	s_delay_alu instid0(VALU_DEP_1) | instskip(NEXT) | instid1(VALU_DEP_1)
	v_dual_add_f32 v148, v148, v144 :: v_dual_mul_f32 v133, 0x3fb8aa3b, v133
	v_add_f32_e32 v148, v148, v147
	s_delay_alu instid0(VALU_DEP_2) | instskip(NEXT) | instid1(VALU_DEP_1)
	v_exp_f32_e32 v133, v133
	v_add_f32_e32 v153, v148, v146
	v_cndmask_b32_e64 v148, 0, v150, s6
	v_mul_f32_e32 v149, 0x3fb8aa3b, v149
	s_delay_alu instid0(VALU_DEP_1) | instskip(SKIP_3) | instid1(VALU_DEP_1)
	v_exp_f32_e32 v149, v149
	s_waitcnt_depctr 0xfff
	v_cndmask_b32_e64 v157, 0, v133, s13
	v_cndmask_b32_e64 v149, 0, v149, s5
	v_add_f32_e32 v150, v153, v149
	v_cndmask_b32_e64 v153, 0, v129, s9
	s_delay_alu instid0(VALU_DEP_2) | instskip(SKIP_3) | instid1(VALU_DEP_4)
	v_add_f32_e32 v152, v150, v148
	v_cndmask_b32_e64 v150, 0, v154, s8
	v_cndmask_b32_e64 v154, 0, v132, s12
	v_fma_f32 v132, s34, v136, -v160
	v_add_f32_e32 v152, v152, v151
	s_delay_alu instid0(VALU_DEP_1) | instskip(SKIP_3) | instid1(VALU_DEP_2)
	v_dual_mul_f32 v132, 0x3fb8aa3b, v132 :: v_dual_add_f32 v129, v152, v150
	v_cndmask_b32_e64 v152, 0, v130, s10
	v_fma_f32 v130, s34, v135, -v160
	v_mul_f32_e32 v131, 0x3fb8aa3b, v131
	v_dual_add_f32 v129, v129, v153 :: v_dual_mul_f32 v130, 0x3fb8aa3b, v130
	s_delay_alu instid0(VALU_DEP_2) | instskip(NEXT) | instid1(VALU_DEP_1)
	v_exp_f32_e32 v131, v131
	v_add_f32_e32 v129, v129, v152
	s_delay_alu instid0(VALU_DEP_2) | instskip(SKIP_4) | instid1(VALU_DEP_2)
	v_exp_f32_e32 v130, v130
	s_waitcnt_depctr 0xfff
	v_cndmask_b32_e64 v155, 0, v131, s11
	v_exp_f32_e32 v131, v134
	v_cndmask_b32_e64 v159, 0, v130, s16
	v_add_f32_e32 v129, v129, v155
	s_delay_alu instid0(VALU_DEP_1) | instskip(SKIP_4) | instid1(VALU_DEP_1)
	v_add_f32_e32 v129, v129, v154
	s_waitcnt_depctr 0xfff
	v_cndmask_b32_e64 v156, 0, v131, s15
	v_exp_f32_e32 v131, v132
	v_add_f32_e32 v129, v129, v157
	v_add_f32_e32 v129, v129, v156
	s_waitcnt_depctr 0xfff
	v_cndmask_b32_e64 v158, 0, v131, s17
	v_add_f32_e32 v129, v129, v159
	s_delay_alu instid0(VALU_DEP_1)
	v_add_f32_e32 v129, v129, v158
	ds_bpermute_b32 v130, v161, v129
	v_cmpx_gt_u32_e32 16, v143
	s_cbranch_execz .LBB245_12
; %bb.11:
	v_mul_u32_u24_e32 v131, 0x44, v140
	s_delay_alu instid0(VALU_DEP_1) | instskip(SKIP_1) | instid1(VALU_DEP_1)
	v_lshl_add_u32 v131, v141, 2, v131
	s_waitcnt lgkmcnt(0)
	v_dual_add_f32 v129, v129, v130 :: v_dual_add_nc_u32 v130, 0x4000, v131
	ds_store_2addr_b32 v130, v160, v129 offset1:136
.LBB245_12:
	s_or_b32 exec_lo, exec_lo, s2
	v_lshlrev_b32_e32 v129, 2, v141
	s_load_b32 s34, s[0:1], 0x94
	s_waitcnt lgkmcnt(0)
	s_barrier
	buffer_gl0_inv
	v_add_nc_u32_e32 v141, 0x4000, v129
	v_cmp_eq_u32_e32 vcc_lo, 1, v140
	v_cmp_eq_u32_e64 s2, 2, v140
	v_cmp_eq_u32_e64 s3, 3, v140
	;; [unrolled: 1-line block ×3, first 2 shown]
	ds_load_2addr_b32 v[129:130], v141 offset1:17
	ds_load_2addr_b32 v[131:132], v141 offset0:34 offset1:51
	ds_load_2addr_b32 v[133:134], v141 offset0:68 offset1:85
	;; [unrolled: 1-line block ×3, first 2 shown]
	v_cmp_eq_u32_e64 s5, 7, v140
	s_waitcnt lgkmcnt(3)
	v_max3_f32 v135, v129, 0xff7fffff, v130
	s_waitcnt lgkmcnt(2)
	s_delay_alu instid0(VALU_DEP_1) | instskip(SKIP_1) | instid1(VALU_DEP_1)
	v_max3_f32 v135, v135, v131, v132
	s_waitcnt lgkmcnt(1)
	v_max3_f32 v135, v135, v133, v134
	s_waitcnt lgkmcnt(0)
	s_delay_alu instid0(VALU_DEP_1) | instskip(NEXT) | instid1(VALU_DEP_1)
	v_max3_f32 v135, v135, v160, v161
	v_sub_f32_e32 v164, v132, v135
	ds_load_2addr_b32 v[162:163], v141 offset0:136 offset1:153
	v_sub_f32_e32 v136, v130, v135
	v_dual_sub_f32 v129, v129, v135 :: v_dual_mul_f32 v164, 0x3fb8aa3b, v164
	s_delay_alu instid0(VALU_DEP_1)
	v_dual_mul_f32 v136, 0x3fb8aa3b, v136 :: v_dual_mul_f32 v143, 0x3fb8aa3b, v129
	ds_load_2addr_b32 v[129:130], v141 offset0:170 offset1:187
	v_exp_f32_e32 v164, v164
	v_exp_f32_e32 v166, v136
	;; [unrolled: 1-line block ×3, first 2 shown]
	s_waitcnt lgkmcnt(1)
	s_waitcnt_depctr 0xfff
	v_fma_f32 v136, v143, v162, 0
	v_sub_f32_e32 v162, v134, v135
	v_sub_f32_e32 v131, v131, v135
	s_delay_alu instid0(VALU_DEP_1) | instskip(SKIP_3) | instid1(VALU_DEP_1)
	v_mul_f32_e32 v165, 0x3fb8aa3b, v131
	ds_load_2addr_b32 v[131:132], v141 offset0:204 offset1:221
	v_sub_f32_e32 v133, v133, v135
	v_exp_f32_e32 v165, v165
	v_mul_f32_e32 v167, 0x3fb8aa3b, v133
	ds_load_2addr_b32 v[133:134], v141 offset0:238 offset1:255
	v_sub_f32_e32 v141, v160, v135
	v_fmac_f32_e32 v136, v166, v163
	v_mul_f32_e32 v160, 0x3fb8aa3b, v162
	v_exp_f32_e32 v162, v167
	s_waitcnt lgkmcnt(0)
	v_mul_f32_e32 v141, 0x3fb8aa3b, v141
	v_fmac_f32_e32 v136, v165, v129
	v_sub_f32_e32 v129, v161, v135
	v_exp_f32_e32 v160, v160
	s_barrier
	v_exp_f32_e32 v141, v141
	v_fmac_f32_e32 v136, v164, v130
	v_dual_cndmask_b32 v130, v143, v166 :: v_dual_mul_f32 v129, 0x3fb8aa3b, v129
	buffer_gl0_inv
	v_fmac_f32_e32 v136, v162, v131
	v_lshl_or_b32 v131, v140, 11, v142
	v_exp_f32_e32 v161, v129
	s_delay_alu instid0(VALU_DEP_2) | instskip(NEXT) | instid1(VALU_DEP_1)
	v_fmac_f32_e32 v136, v160, v132
	v_fmac_f32_e32 v136, v141, v133
	s_waitcnt_depctr 0xfff
	v_fmac_f32_e32 v136, v161, v134
	s_delay_alu instid0(VALU_DEP_1) | instskip(NEXT) | instid1(VALU_DEP_1)
	v_add_f32_e32 v163, 0x358637bd, v136
	v_div_scale_f32 v167, null, v163, v163, 1.0
	s_delay_alu instid0(VALU_DEP_1) | instskip(SKIP_2) | instid1(VALU_DEP_1)
	v_rcp_f32_e32 v168, v167
	s_waitcnt_depctr 0xfff
	v_fma_f32 v129, -v167, v168, 1.0
	v_fmac_f32_e32 v168, v129, v168
	v_cndmask_b32_e64 v129, v130, v165, s2
	v_lshlrev_b32_e32 v130, 2, v138
	v_div_scale_f32 v143, vcc_lo, 1.0, v163, 1.0
	v_cmp_eq_u32_e64 s2, 4, v140
	s_delay_alu instid0(VALU_DEP_4) | instskip(SKIP_1) | instid1(VALU_DEP_4)
	v_cndmask_b32_e64 v129, v129, v164, s3
	v_cmp_eq_u32_e64 s3, 6, v140
	v_mul_f32_e32 v165, v143, v168
	v_or_b32_e32 v134, 2, v130
	v_cmp_eq_u32_e64 s6, 6, v130
	v_cndmask_b32_e64 v133, v129, v162, s2
	v_lshl_or_b32 v129, v138, 4, v131
	v_fma_f32 v132, -v167, v165, v143
	v_cmp_eq_u32_e64 s2, 1, v130
	v_cmp_eq_u32_e64 s9, 1, v134
	v_cndmask_b32_e64 v140, v133, v160, s4
	v_or_b32_e32 v133, 3, v130
	v_fmac_f32_e32 v165, v132, v168
	v_or_b32_e32 v132, 1, v130
	v_cmp_eq_u32_e64 s13, 2, v134
	v_cndmask_b32_e64 v140, v140, v141, s3
	v_cmp_eq_u32_e64 s10, 1, v133
	v_fma_f32 v143, -v167, v165, v143
	v_cmp_eq_u32_e64 s8, 1, v132
	v_cmp_eq_u32_e64 s11, 2, v132
	v_cndmask_b32_e64 v140, v140, v161, s5
	v_cmp_eq_u32_e64 s15, 2, v133
	v_div_fmas_f32 v141, v143, v168, v165
	v_cmp_eq_u32_e32 vcc_lo, 2, v130
	v_cmp_eq_u32_e64 s3, 3, v130
	v_cmp_eq_u32_e64 s12, 3, v132
	v_cmp_eq_u32_e64 s16, 3, v134
	v_div_fixup_f32 v141, v141, v163, 1.0
	v_cmp_eq_u32_e64 s17, 3, v133
	v_cmp_eq_u32_e64 s21, 4, v133
	;; [unrolled: 1-line block ×4, first 2 shown]
	v_mul_f32_e32 v140, v140, v141
	v_cmp_eq_u32_e64 s23, 5, v133
	v_cmp_eq_u32_e64 s5, 5, v130
	;; [unrolled: 1-line block ×4, first 2 shown]
	v_fma_mixlo_f16 v160, v140, v145, 0
	v_fma_mixlo_f16 v161, v140, v147, 0
	;; [unrolled: 1-line block ×8, first 2 shown]
	v_fma_mixhi_f16 v160, v140, v144, 0
	v_fma_mixhi_f16 v161, v140, v146, 0
	;; [unrolled: 1-line block ×8, first 2 shown]
	ds_store_b128 v129, v[160:163]
	ds_store_b128 v129, v[164:167] offset:1024
	s_waitcnt lgkmcnt(0)
	s_barrier
	buffer_gl0_inv
	ds_load_b128 v[143:146], v131
	ds_load_b128 v[147:150], v131 offset:16
	ds_load_b128 v[151:154], v131 offset:1024
	;; [unrolled: 1-line block ×3, first 2 shown]
	v_cmp_eq_u32_e64 s26, 6, v133
	v_cmp_eq_u32_e64 s22, 5, v134
	;; [unrolled: 1-line block ×8, first 2 shown]
	s_waitcnt lgkmcnt(3)
	v_lshrrev_b32_e32 v140, 16, v143
	s_waitcnt lgkmcnt(2)
	v_lshrrev_b32_e32 v161, 16, v147
	;; [unrolled: 2-line block ×4, first 2 shown]
	v_lshrrev_b32_e32 v141, 16, v144
	v_cndmask_b32_e64 v173, v143, v140, s2
	v_cndmask_b32_e64 v174, v147, v161, s2
	;; [unrolled: 1-line block ×7, first 2 shown]
	v_lshrrev_b32_e32 v162, 16, v148
	v_cndmask_b32_e64 v178, v147, v161, s9
	v_cndmask_b32_e64 v147, v151, v165, s2
	v_cndmask_b32_e64 v161, v155, v169, s2
	v_cndmask_b32_e64 v179, v151, v165, s8
	v_cndmask_b32_e64 v180, v155, v169, s8
	v_cndmask_b32_e64 v181, v151, v165, s9
	v_cndmask_b32_e64 v182, v155, v169, s9
	v_cndmask_b32_e64 v151, v151, v165, s10
	v_cndmask_b32_e64 v155, v155, v169, s10
	v_cndmask_b32_e32 v165, v173, v144, vcc_lo
	v_cndmask_b32_e32 v169, v174, v148, vcc_lo
	v_cndmask_b32_e64 v173, v175, v144, s11
	v_cndmask_b32_e64 v174, v176, v148, s11
	;; [unrolled: 1-line block ×5, first 2 shown]
	v_lshrrev_b32_e32 v166, 16, v152
	v_cndmask_b32_e64 v176, v178, v148, s13
	v_cndmask_b32_e32 v144, v147, v152, vcc_lo
	v_cndmask_b32_e32 v147, v161, v156, vcc_lo
	v_cndmask_b32_e64 v148, v179, v152, s11
	v_cndmask_b32_e64 v161, v181, v152, s13
	;; [unrolled: 1-line block ×11, first 2 shown]
	v_lshrrev_b32_e32 v159, 16, v145
	v_lshrrev_b32_e32 v163, 16, v149
	;; [unrolled: 1-line block ×3, first 2 shown]
	v_cndmask_b32_e64 v140, v140, v145, s21
	v_cndmask_b32_e64 v141, v141, v149, s21
	;; [unrolled: 1-line block ×12, first 2 shown]
	v_lshrrev_b32_e32 v160, 16, v146
	v_lshrrev_b32_e32 v164, 16, v150
	v_lshrrev_b32_e32 v167, 16, v153
	v_lshrrev_b32_e32 v171, 16, v157
	v_cndmask_b32_e64 v169, v174, v145, s20
	v_cndmask_b32_e64 v173, v175, v149, s20
	;; [unrolled: 1-line block ×20, first 2 shown]
	v_lshrrev_b32_e32 v168, 16, v154
	v_cndmask_b32_e64 v177, v182, v156, s13
	v_cndmask_b32_e64 v147, v147, v146, s6
	;; [unrolled: 1-line block ×10, first 2 shown]
	v_perm_b32 v146, v141, v140, 0x5040100
	v_cndmask_b32_e64 v140, v180, v156, s11
	v_cndmask_b32_e64 v147, v147, v160, s7
	;; [unrolled: 1-line block ×6, first 2 shown]
	v_perm_b32 v144, v155, v149, 0x5040100
	v_cndmask_b32_e64 v141, v161, v166, s16
	v_cndmask_b32_e64 v143, v151, v166, s17
	;; [unrolled: 1-line block ×15, first 2 shown]
	v_lshrrev_b32_e32 v172, 16, v158
	v_cndmask_b32_e64 v141, v141, v154, s25
	v_cndmask_b32_e64 v143, v143, v154, s26
	;; [unrolled: 1-line block ×12, first 2 shown]
	v_perm_b32 v145, v159, v145, 0x5040100
	v_perm_b32 v143, v148, v147, 0x5040100
	;; [unrolled: 1-line block ×6, first 2 shown]
	s_lshl_b32 s6, s33, 4
	s_mov_b32 s2, exec_lo
	ds_store_b128 v129, v[143:146]
	ds_store_b128 v129, v[147:150] offset:1024
	v_cmpx_gt_u32_e32 16, v0
	s_cbranch_execz .LBB245_14
; %bb.13:
	v_or_b32_e32 v140, s31, v0
	s_load_b128 s[8:11], s[0:1], 0x58
	s_delay_alu instid0(VALU_DEP_1) | instskip(NEXT) | instid1(VALU_DEP_1)
	v_mad_u64_u32 v[143:144], null, s6, s30, v[140:141]
	v_mad_u64_u32 v[140:141], null, v143, s34, s[14:15]
	s_delay_alu instid0(VALU_DEP_1) | instskip(NEXT) | instid1(VALU_DEP_1)
	v_ashrrev_i32_e32 v141, 31, v140
	v_lshlrev_b64 v[140:141], 2, v[140:141]
	s_waitcnt lgkmcnt(0)
	s_delay_alu instid0(VALU_DEP_1) | instskip(NEXT) | instid1(VALU_DEP_2)
	v_add_co_u32 v143, vcc_lo, s10, v140
	v_add_co_ci_u32_e32 v144, vcc_lo, s11, v141, vcc_lo
	v_add_co_u32 v140, vcc_lo, s8, v140
	v_add_co_ci_u32_e32 v141, vcc_lo, s9, v141, vcc_lo
	global_store_b32 v[143:144], v135, off
	global_store_b32 v[140:141], v136, off
.LBB245_14:
	s_or_b32 exec_lo, exec_lo, s2
	s_waitcnt lgkmcnt(0)
	s_waitcnt_vscnt null, 0x0
	s_barrier
	buffer_gl0_inv
	ds_load_b128 v[151:154], v142
	ds_load_b128 v[155:158], v142 offset:16
	ds_load_b128 v[163:166], v142 offset:1040
	ds_load_b128 v[159:162], v142 offset:1024
	ds_load_b128 v[171:174], v142 offset:2064
	ds_load_b128 v[167:170], v142 offset:2048
	v_cmp_eq_u32_e32 vcc_lo, 1, v134
	v_mov_b32_e32 v143, 0
	ds_load_b128 v[179:182], v142 offset:3088
	ds_load_b128 v[175:178], v142 offset:3072
	;; [unrolled: 1-line block ×4, first 2 shown]
	v_cmp_eq_u32_e64 s2, 1, v130
	v_cmp_eq_u32_e64 s3, 1, v133
	;; [unrolled: 1-line block ×3, first 2 shown]
	v_mov_b32_e32 v144, v143
	v_mov_b32_e32 v145, v143
	;; [unrolled: 1-line block ×7, first 2 shown]
	v_cmp_eq_u32_e64 s5, 2, v130
	s_waitcnt lgkmcnt(8)
	s_delay_alu instid0(VALU_DEP_2)
	v_wmma_f32_16x16x16_f16 v[143:150], v[121:128], v[151:158], v[143:150]
	ds_load_b128 v[125:128], v142 offset:5136
	ds_load_b128 v[121:124], v142 offset:5120
	s_waitcnt lgkmcnt(8)
	v_wmma_f32_16x16x16_f16 v[143:150], v[113:120], v[159:166], v[143:150]
	ds_load_b128 v[117:120], v142 offset:6160
	ds_load_b128 v[113:116], v142 offset:6144
	s_waitcnt lgkmcnt(8)
	;; [unrolled: 4-line block ×11, first 2 shown]
	s_barrier
	buffer_gl0_inv
	v_wmma_f32_16x16x16_f16 v[143:150], v[1:8], v[73:80], v[143:150]
	s_delay_alu instid0(VALU_DEP_1) | instskip(NEXT) | instid1(VALU_DEP_1)
	v_wmma_f32_16x16x16_f16 v[143:150], v[9:16], v[65:72], v[143:150]
	v_wmma_f32_16x16x16_f16 v[143:150], v[33:40], v[57:64], v[143:150]
	s_delay_alu instid0(VALU_DEP_1) | instskip(NEXT) | instid1(VALU_DEP_1)
	v_wmma_f32_16x16x16_f16 v[143:150], v[41:48], v[49:56], v[143:150]
	v_wmma_f32_16x16x16_f16 v[143:150], v[17:24], v[25:32], v[143:150]
	s_delay_alu instid0(VALU_DEP_1) | instskip(NEXT) | instid1(VALU_DEP_2)
	v_cvt_f16_f32_e64 v1, v143
	v_cvt_f16_f32_e64 v2, v144
	s_delay_alu instid0(VALU_DEP_3) | instskip(NEXT) | instid1(VALU_DEP_4)
	v_cvt_f16_f32_e64 v3, v145
	v_cvt_f16_f32_e64 v4, v146
	;; [unrolled: 1-line block ×6, first 2 shown]
	v_pack_b32_f16 v1, v1, v2
	v_pack_b32_f16 v2, v3, v4
	;; [unrolled: 1-line block ×3, first 2 shown]
	s_delay_alu instid0(VALU_DEP_4)
	v_pack_b32_f16 v4, v7, v8
	ds_store_b128 v129, v[1:4]
	s_waitcnt lgkmcnt(0)
	s_barrier
	buffer_gl0_inv
	ds_load_b128 v[1:4], v131
	ds_load_b128 v[5:8], v131 offset:16
	s_waitcnt lgkmcnt(1)
	v_lshrrev_b32_e32 v9, 16, v1
	s_waitcnt lgkmcnt(0)
	v_lshrrev_b32_e32 v13, 16, v5
	v_lshrrev_b32_e32 v10, 16, v2
	;; [unrolled: 1-line block ×4, first 2 shown]
	v_cndmask_b32_e64 v17, v1, v9, s2
	v_cndmask_b32_e64 v18, v5, v13, s2
	;; [unrolled: 1-line block ×3, first 2 shown]
	v_cmp_eq_u32_e64 s2, 2, v132
	v_cndmask_b32_e64 v20, v5, v13, s4
	v_cndmask_b32_e32 v21, v1, v9, vcc_lo
	v_cndmask_b32_e32 v22, v5, v13, vcc_lo
	v_cndmask_b32_e64 v1, v1, v9, s3
	v_cndmask_b32_e64 v5, v5, v13, s3
	v_cmp_eq_u32_e32 vcc_lo, 2, v134
	v_cmp_eq_u32_e64 s3, 2, v133
	v_cndmask_b32_e64 v9, v17, v2, s5
	v_cndmask_b32_e64 v13, v18, v6, s5
	;; [unrolled: 1-line block ×4, first 2 shown]
	v_cndmask_b32_e32 v19, v21, v2, vcc_lo
	v_cmp_eq_u32_e64 s2, 3, v134
	v_cndmask_b32_e32 v20, v22, v6, vcc_lo
	v_cndmask_b32_e64 v1, v1, v2, s3
	v_cmp_eq_u32_e32 vcc_lo, 3, v133
	v_cmp_eq_u32_e64 s4, 3, v130
	v_cndmask_b32_e64 v2, v5, v6, s3
	v_cmp_eq_u32_e64 s3, 3, v132
	v_cmp_eq_u32_e64 s5, 4, v130
	v_cndmask_b32_e32 v1, v1, v10, vcc_lo
	v_cndmask_b32_e64 v5, v9, v10, s4
	v_cndmask_b32_e64 v6, v13, v14, s4
	v_cndmask_b32_e64 v9, v17, v10, s3
	v_cmp_eq_u32_e64 s4, 4, v132
	v_cndmask_b32_e64 v13, v18, v14, s3
	v_cndmask_b32_e64 v17, v19, v10, s2
	v_cndmask_b32_e64 v18, v20, v14, s2
	v_cndmask_b32_e32 v2, v2, v14, vcc_lo
	v_cmp_eq_u32_e32 vcc_lo, 4, v134
	v_cmp_eq_u32_e64 s3, 4, v133
	v_lshrrev_b32_e32 v15, 16, v7
	v_cndmask_b32_e64 v5, v5, v3, s5
	v_cndmask_b32_e64 v6, v6, v7, s5
	;; [unrolled: 1-line block ×4, first 2 shown]
	v_cndmask_b32_e32 v13, v17, v3, vcc_lo
	v_cmp_eq_u32_e64 s2, 5, v134
	v_cndmask_b32_e32 v14, v18, v7, vcc_lo
	v_cndmask_b32_e64 v1, v1, v3, s3
	v_cmp_eq_u32_e32 vcc_lo, 5, v133
	v_cmp_eq_u32_e64 s4, 5, v130
	v_cndmask_b32_e64 v2, v2, v7, s3
	v_cmp_eq_u32_e64 s3, 5, v132
	v_cmp_eq_u32_e64 s5, 6, v130
	v_lshrrev_b32_e32 v12, 16, v4
	v_cndmask_b32_e64 v3, v5, v11, s4
	v_cndmask_b32_e64 v5, v6, v15, s4
	;; [unrolled: 1-line block ×3, first 2 shown]
	v_cmp_eq_u32_e64 s4, 6, v132
	v_cndmask_b32_e64 v7, v10, v15, s3
	v_cndmask_b32_e64 v9, v13, v11, s2
	;; [unrolled: 1-line block ×3, first 2 shown]
	v_cndmask_b32_e32 v1, v1, v11, vcc_lo
	v_cndmask_b32_e32 v2, v2, v15, vcc_lo
	v_cmp_eq_u32_e32 vcc_lo, 6, v134
	v_cmp_eq_u32_e64 s2, 6, v133
	v_lshrrev_b32_e32 v16, 16, v8
	v_cndmask_b32_e64 v3, v3, v4, s5
	v_cndmask_b32_e64 v5, v5, v8, s5
	v_cndmask_b32_e32 v9, v9, v4, vcc_lo
	v_cndmask_b32_e64 v6, v6, v4, s4
	v_cndmask_b32_e64 v7, v7, v8, s4
	v_cmp_eq_u32_e64 s3, 7, v134
	v_cndmask_b32_e32 v10, v10, v8, vcc_lo
	v_cndmask_b32_e64 v1, v1, v4, s2
	v_cmp_eq_u32_e32 vcc_lo, 7, v133
	v_cndmask_b32_e64 v2, v2, v8, s2
	v_cmp_eq_u32_e64 s2, 7, v130
	v_cmp_eq_u32_e64 s4, 7, v132
	v_cndmask_b32_e32 v1, v1, v12, vcc_lo
	s_delay_alu instid0(VALU_DEP_4) | instskip(NEXT) | instid1(VALU_DEP_4)
	v_cndmask_b32_e32 v2, v2, v16, vcc_lo
	v_cndmask_b32_e64 v8, v3, v12, s2
	s_delay_alu instid0(VALU_DEP_4)
	v_cndmask_b32_e64 v6, v6, v12, s4
	v_cndmask_b32_e64 v3, v9, v12, s3
	;; [unrolled: 1-line block ×5, first 2 shown]
	v_perm_b32 v4, v2, v1, 0x5040100
	s_mov_b32 s2, exec_lo
	v_perm_b32 v3, v9, v3, 0x5040100
	v_perm_b32 v2, v7, v6, 0x5040100
	;; [unrolled: 1-line block ×3, first 2 shown]
	ds_store_b128 v129, v[1:4]
	s_waitcnt lgkmcnt(0)
	s_barrier
	buffer_gl0_inv
	v_cmpx_gt_u32_e32 32, v0
	s_cbranch_execz .LBB245_2
; %bb.15:
	s_load_b64 s[0:1], s[0:1], 0x68
	v_lshlrev_b32_e32 v0, 10, v0
	s_lshl_b32 s4, s34, 7
	v_or_b32_e32 v23, s31, v138
	s_mul_i32 s2, s4, s30
	v_lshlrev_b32_e32 v1, 4, v139
	v_lshlrev_b32_e32 v2, 6, v138
	s_mul_i32 s2, s2, s6
	v_and_b32_e32 v0, 0x3800, v0
	v_mul_lo_u32 v8, v23, s4
	s_ashr_i32 s3, s2, 31
	v_or_b32_e32 v3, 2, v23
	s_lshl_b64 s[2:3], s[2:3], 1
	v_or3_b32 v27, v0, v1, v2
	v_or_b32_e32 v11, 4, v23
	v_or_b32_e32 v18, 6, v23
	v_mul_lo_u32 v10, v3, s4
	v_ashrrev_i32_e32 v9, 31, v8
	ds_load_b128 v[0:3], v27
	ds_load_b128 v[4:7], v27 offset:128
	v_mul_lo_u32 v12, v11, s4
	s_waitcnt lgkmcnt(0)
	s_add_u32 s2, s0, s2
	s_addc_u32 s3, s1, s3
	s_lshl_b32 s0, s14, 7
	v_lshlrev_b64 v[8:9], 1, v[8:9]
	s_ashr_i32 s1, s0, 31
	v_ashrrev_i32_e32 v11, 31, v10
	s_lshl_b64 s[0:1], s[0:1], 1
	v_ashrrev_i32_e32 v13, 31, v12
	s_add_u32 s0, s2, s0
	s_addc_u32 s1, s3, s1
	v_add_co_u32 v30, s0, s0, v137
	s_delay_alu instid0(VALU_DEP_1) | instskip(SKIP_1) | instid1(VALU_DEP_3)
	v_add_co_ci_u32_e64 v31, null, s1, 0, s0
	v_lshlrev_b64 v[16:17], 1, v[10:11]
	v_add_co_u32 v14, vcc_lo, v30, v8
	s_delay_alu instid0(VALU_DEP_3)
	v_add_co_ci_u32_e32 v15, vcc_lo, v31, v9, vcc_lo
	ds_load_b128 v[8:11], v27 offset:256
	v_mul_lo_u32 v18, v18, s4
	v_or_b32_e32 v19, 8, v23
	v_add_co_u32 v16, vcc_lo, v30, v16
	global_store_b128 v[14:15], v[0:3], off
	v_lshlrev_b64 v[0:1], 1, v[12:13]
	v_add_co_ci_u32_e32 v17, vcc_lo, v31, v17, vcc_lo
	v_mul_lo_u32 v12, v19, s4
	v_ashrrev_i32_e32 v19, 31, v18
	v_or_b32_e32 v14, 10, v23
	global_store_b128 v[16:17], v[4:7], off
	v_add_co_u32 v4, vcc_lo, v30, v0
	v_add_co_ci_u32_e32 v5, vcc_lo, v31, v1, vcc_lo
	ds_load_b128 v[0:3], v27 offset:384
	v_ashrrev_i32_e32 v13, 31, v12
	v_lshlrev_b64 v[6:7], 1, v[18:19]
	v_mul_lo_u32 v14, v14, s4
	s_waitcnt lgkmcnt(1)
	global_store_b128 v[4:5], v[8:11], off
	v_or_b32_e32 v8, 12, v23
	v_lshlrev_b64 v[4:5], 1, v[12:13]
	v_add_co_u32 v20, vcc_lo, v30, v6
	v_or_b32_e32 v6, 14, v23
	v_ashrrev_i32_e32 v15, 31, v14
	v_mul_lo_u32 v22, v8, s4
	v_add_co_ci_u32_e32 v21, vcc_lo, v31, v7, vcc_lo
	v_add_co_u32 v24, vcc_lo, v30, v4
	v_mul_lo_u32 v26, v6, s4
	v_add_co_ci_u32_e32 v25, vcc_lo, v31, v5, vcc_lo
	v_lshlrev_b64 v[28:29], 1, v[14:15]
	ds_load_b128 v[4:7], v27 offset:512
	ds_load_b128 v[8:11], v27 offset:640
	;; [unrolled: 1-line block ×4, first 2 shown]
	v_ashrrev_i32_e32 v23, 31, v22
	v_ashrrev_i32_e32 v27, 31, v26
	v_add_co_u32 v28, vcc_lo, v30, v28
	s_delay_alu instid0(VALU_DEP_3) | instskip(SKIP_1) | instid1(VALU_DEP_4)
	v_lshlrev_b64 v[22:23], 1, v[22:23]
	v_add_co_ci_u32_e32 v29, vcc_lo, v31, v29, vcc_lo
	v_lshlrev_b64 v[26:27], 1, v[26:27]
	s_delay_alu instid0(VALU_DEP_3) | instskip(NEXT) | instid1(VALU_DEP_4)
	v_add_co_u32 v22, vcc_lo, v30, v22
	v_add_co_ci_u32_e32 v23, vcc_lo, v31, v23, vcc_lo
	s_delay_alu instid0(VALU_DEP_3) | instskip(NEXT) | instid1(VALU_DEP_4)
	v_add_co_u32 v26, vcc_lo, v30, v26
	v_add_co_ci_u32_e32 v27, vcc_lo, v31, v27, vcc_lo
	s_waitcnt lgkmcnt(4)
	global_store_b128 v[20:21], v[0:3], off
	s_waitcnt lgkmcnt(3)
	global_store_b128 v[24:25], v[4:7], off
	;; [unrolled: 2-line block ×5, first 2 shown]
	s_nop 0
	s_sendmsg sendmsg(MSG_DEALLOC_VGPRS)
	s_endpgm
	.section	.rodata,"a",@progbits
	.p2align	6, 0x0
	.amdhsa_kernel _Z39paged_attention_ll4mi_QKV_mfma16_kernelIDF16_DF16_LN4vllm18Fp8KVCacheDataTypeE0EhLi16ELi128ELi256ELb0ELi16EL8MFMAType0EEvPKT_PKT0_S8_ifPKiSA_SA_iPKfiiiPfSD_PS3_PT2_iSC_SC_
		.amdhsa_group_segment_fixed_size 17472
		.amdhsa_private_segment_fixed_size 0
		.amdhsa_kernarg_size 400
		.amdhsa_user_sgpr_count 13
		.amdhsa_user_sgpr_dispatch_ptr 0
		.amdhsa_user_sgpr_queue_ptr 0
		.amdhsa_user_sgpr_kernarg_segment_ptr 1
		.amdhsa_user_sgpr_dispatch_id 0
		.amdhsa_user_sgpr_private_segment_size 0
		.amdhsa_wavefront_size32 1
		.amdhsa_uses_dynamic_stack 0
		.amdhsa_enable_private_segment 0
		.amdhsa_system_sgpr_workgroup_id_x 1
		.amdhsa_system_sgpr_workgroup_id_y 1
		.amdhsa_system_sgpr_workgroup_id_z 1
		.amdhsa_system_sgpr_workgroup_info 0
		.amdhsa_system_vgpr_workitem_id 0
		.amdhsa_next_free_vgpr 218
		.amdhsa_next_free_sgpr 52
		.amdhsa_reserve_vcc 1
		.amdhsa_float_round_mode_32 0
		.amdhsa_float_round_mode_16_64 0
		.amdhsa_float_denorm_mode_32 3
		.amdhsa_float_denorm_mode_16_64 3
		.amdhsa_dx10_clamp 1
		.amdhsa_ieee_mode 1
		.amdhsa_fp16_overflow 0
		.amdhsa_workgroup_processor_mode 1
		.amdhsa_memory_ordered 1
		.amdhsa_forward_progress 0
		.amdhsa_shared_vgpr_count 0
		.amdhsa_exception_fp_ieee_invalid_op 0
		.amdhsa_exception_fp_denorm_src 0
		.amdhsa_exception_fp_ieee_div_zero 0
		.amdhsa_exception_fp_ieee_overflow 0
		.amdhsa_exception_fp_ieee_underflow 0
		.amdhsa_exception_fp_ieee_inexact 0
		.amdhsa_exception_int_div_zero 0
	.end_amdhsa_kernel
	.section	.text._Z39paged_attention_ll4mi_QKV_mfma16_kernelIDF16_DF16_LN4vllm18Fp8KVCacheDataTypeE0EhLi16ELi128ELi256ELb0ELi16EL8MFMAType0EEvPKT_PKT0_S8_ifPKiSA_SA_iPKfiiiPfSD_PS3_PT2_iSC_SC_,"axG",@progbits,_Z39paged_attention_ll4mi_QKV_mfma16_kernelIDF16_DF16_LN4vllm18Fp8KVCacheDataTypeE0EhLi16ELi128ELi256ELb0ELi16EL8MFMAType0EEvPKT_PKT0_S8_ifPKiSA_SA_iPKfiiiPfSD_PS3_PT2_iSC_SC_,comdat
.Lfunc_end245:
	.size	_Z39paged_attention_ll4mi_QKV_mfma16_kernelIDF16_DF16_LN4vllm18Fp8KVCacheDataTypeE0EhLi16ELi128ELi256ELb0ELi16EL8MFMAType0EEvPKT_PKT0_S8_ifPKiSA_SA_iPKfiiiPfSD_PS3_PT2_iSC_SC_, .Lfunc_end245-_Z39paged_attention_ll4mi_QKV_mfma16_kernelIDF16_DF16_LN4vllm18Fp8KVCacheDataTypeE0EhLi16ELi128ELi256ELb0ELi16EL8MFMAType0EEvPKT_PKT0_S8_ifPKiSA_SA_iPKfiiiPfSD_PS3_PT2_iSC_SC_
                                        ; -- End function
	.section	.AMDGPU.csdata,"",@progbits
; Kernel info:
; codeLenInByte = 8272
; NumSgprs: 54
; NumVgprs: 218
; ScratchSize: 0
; MemoryBound: 0
; FloatMode: 240
; IeeeMode: 1
; LDSByteSize: 17472 bytes/workgroup (compile time only)
; SGPRBlocks: 6
; VGPRBlocks: 27
; NumSGPRsForWavesPerEU: 54
; NumVGPRsForWavesPerEU: 218
; Occupancy: 6
; WaveLimiterHint : 1
; COMPUTE_PGM_RSRC2:SCRATCH_EN: 0
; COMPUTE_PGM_RSRC2:USER_SGPR: 13
; COMPUTE_PGM_RSRC2:TRAP_HANDLER: 0
; COMPUTE_PGM_RSRC2:TGID_X_EN: 1
; COMPUTE_PGM_RSRC2:TGID_Y_EN: 1
; COMPUTE_PGM_RSRC2:TGID_Z_EN: 1
; COMPUTE_PGM_RSRC2:TIDIG_COMP_CNT: 0
	.section	.text._Z39paged_attention_ll4mi_QKV_mfma16_kernelIDF16_DF16_LN4vllm18Fp8KVCacheDataTypeE0EhLi16ELi128ELi256ELb0ELi1EL8MFMAType0EEvPKT_PKT0_S8_ifPKiSA_SA_iPKfiiiPfSD_PS3_PT2_iSC_SC_,"axG",@progbits,_Z39paged_attention_ll4mi_QKV_mfma16_kernelIDF16_DF16_LN4vllm18Fp8KVCacheDataTypeE0EhLi16ELi128ELi256ELb0ELi1EL8MFMAType0EEvPKT_PKT0_S8_ifPKiSA_SA_iPKfiiiPfSD_PS3_PT2_iSC_SC_,comdat
	.protected	_Z39paged_attention_ll4mi_QKV_mfma16_kernelIDF16_DF16_LN4vllm18Fp8KVCacheDataTypeE0EhLi16ELi128ELi256ELb0ELi1EL8MFMAType0EEvPKT_PKT0_S8_ifPKiSA_SA_iPKfiiiPfSD_PS3_PT2_iSC_SC_ ; -- Begin function _Z39paged_attention_ll4mi_QKV_mfma16_kernelIDF16_DF16_LN4vllm18Fp8KVCacheDataTypeE0EhLi16ELi128ELi256ELb0ELi1EL8MFMAType0EEvPKT_PKT0_S8_ifPKiSA_SA_iPKfiiiPfSD_PS3_PT2_iSC_SC_
	.globl	_Z39paged_attention_ll4mi_QKV_mfma16_kernelIDF16_DF16_LN4vllm18Fp8KVCacheDataTypeE0EhLi16ELi128ELi256ELb0ELi1EL8MFMAType0EEvPKT_PKT0_S8_ifPKiSA_SA_iPKfiiiPfSD_PS3_PT2_iSC_SC_
	.p2align	8
	.type	_Z39paged_attention_ll4mi_QKV_mfma16_kernelIDF16_DF16_LN4vllm18Fp8KVCacheDataTypeE0EhLi16ELi128ELi256ELb0ELi1EL8MFMAType0EEvPKT_PKT0_S8_ifPKiSA_SA_iPKfiiiPfSD_PS3_PT2_iSC_SC_,@function
_Z39paged_attention_ll4mi_QKV_mfma16_kernelIDF16_DF16_LN4vllm18Fp8KVCacheDataTypeE0EhLi16ELi128ELi256ELb0ELi1EL8MFMAType0EEvPKT_PKT0_S8_ifPKiSA_SA_iPKfiiiPfSD_PS3_PT2_iSC_SC_: ; @_Z39paged_attention_ll4mi_QKV_mfma16_kernelIDF16_DF16_LN4vllm18Fp8KVCacheDataTypeE0EhLi16ELi128ELi256ELb0ELi1EL8MFMAType0EEvPKT_PKT0_S8_ifPKiSA_SA_iPKfiiiPfSD_PS3_PT2_iSC_SC_
; %bb.0:
	s_load_b64 s[4:5], s[0:1], 0x30
	s_mov_b32 s34, s13
	s_waitcnt lgkmcnt(0)
	s_cmp_lg_u64 s[4:5], 0
	s_cselect_b32 s6, -1, 0
	s_ashr_i32 s35, s13, 31
	s_cmp_eq_u64 s[4:5], 0
	s_cbranch_scc1 .LBB246_3
; %bb.1:
	s_lshl_b64 s[2:3], s[34:35], 2
	s_delay_alu instid0(SALU_CYCLE_1) | instskip(SKIP_4) | instid1(SALU_CYCLE_1)
	s_add_u32 s2, s4, s2
	s_addc_u32 s3, s5, s3
	s_load_b64 s[2:3], s[2:3], 0x0
	s_waitcnt lgkmcnt(0)
	s_sub_i32 s2, s3, s2
	s_cmp_eq_u32 s2, 1
	s_cselect_b32 s2, -1, 0
	s_delay_alu instid0(SALU_CYCLE_1)
	s_and_not1_b32 vcc_lo, exec_lo, s2
	s_cbranch_vccz .LBB246_4
.LBB246_2:
	s_endpgm
.LBB246_3:
.LBB246_4:
	s_load_b64 s[2:3], s[0:1], 0x28
	s_lshl_b64 s[8:9], s[34:35], 2
	s_waitcnt lgkmcnt(0)
	s_add_u32 s2, s2, s8
	s_addc_u32 s3, s3, s9
	s_lshl_b32 s84, s14, 8
	s_load_b32 s33, s[2:3], 0x0
	s_waitcnt lgkmcnt(0)
	s_cmp_ge_i32 s84, s33
	s_cbranch_scc1 .LBB246_2
; %bb.5:
	s_clause 0x1
	s_load_b128 s[80:83], s[0:1], 0x8
	s_load_b64 s[2:3], s[0:1], 0x20
	s_and_not1_b32 vcc_lo, exec_lo, s6
	s_mov_b64 s[6:7], s[34:35]
	s_cbranch_vccnz .LBB246_7
; %bb.6:
	s_add_u32 s4, s4, s8
	s_addc_u32 s5, s5, s9
	s_load_b32 s6, s[4:5], 0x0
.LBB246_7:
	s_load_b128 s[76:79], s[0:1], 0x48
	v_and_b32_e32 v137, 15, v0
	s_mov_b32 s12, exec_lo
                                        ; implicit-def: $sgpr68
                                        ; implicit-def: $sgpr60
                                        ; implicit-def: $sgpr24
                                        ; implicit-def: $sgpr44
                                        ; implicit-def: $sgpr52
                                        ; implicit-def: $sgpr36
                                        ; implicit-def: $sgpr16
                                        ; implicit-def: $sgpr4
	s_delay_alu instid0(VALU_DEP_1)
	v_cmpx_eq_u32_e32 0, v137
	s_cbranch_execz .LBB246_9
; %bb.8:
	s_load_b64 s[4:5], s[0:1], 0x0
	s_waitcnt lgkmcnt(0)
	s_mul_hi_i32 s7, s6, s76
	s_mul_i32 s6, s6, s76
	s_delay_alu instid0(SALU_CYCLE_1) | instskip(NEXT) | instid1(SALU_CYCLE_1)
	s_lshl_b64 s[6:7], s[6:7], 1
	s_add_u32 s6, s4, s6
	s_addc_u32 s7, s5, s7
	s_lshl_b32 s4, s15, 7
	s_delay_alu instid0(SALU_CYCLE_1) | instskip(NEXT) | instid1(SALU_CYCLE_1)
	s_ashr_i32 s5, s4, 31
	s_lshl_b64 s[4:5], s[4:5], 1
	s_delay_alu instid0(SALU_CYCLE_1)
	s_add_u32 s4, s6, s4
	s_addc_u32 s5, s7, s5
	s_clause 0x7
	s_load_b256 s[68:75], s[4:5], 0x0
	s_load_b256 s[60:67], s[4:5], 0x20
	s_load_b256 s[24:31], s[4:5], 0x40
	s_load_b256 s[44:51], s[4:5], 0x60
	s_load_b256 s[52:59], s[4:5], 0x80
	s_load_b256 s[36:43], s[4:5], 0xa0
	s_load_b256 s[16:23], s[4:5], 0xc0
	s_load_b256 s[4:11], s[4:5], 0xe0
.LBB246_9:
	s_or_b32 exec_lo, exec_lo, s12
	s_waitcnt lgkmcnt(0)
	v_dual_mov_b32 v112, s75 :: v_dual_and_b32 v1, 0xef, v0
	s_add_i32 s76, s33, 15
	s_clause 0x1
	s_load_b32 s13, s[0:1], 0x38
	s_load_b32 s35, s[0:1], 0x1c
	v_dual_mov_b32 v111, s74 :: v_dual_add_nc_u32 v2, s84, v1
	s_mul_i32 s12, s15, s78
	s_ashr_i32 s78, s76, 31
	v_mov_b32_e32 v109, s72
	s_delay_alu instid0(VALU_DEP_2)
	v_ashrrev_i32_e32 v1, 31, v2
	v_cmp_gt_i32_e32 vcc_lo, s33, v2
	s_lshr_b32 s79, s78, 28
	v_mov_b32_e32 v107, s70
	s_add_i32 s76, s76, s79
	v_lshrrev_b32_e32 v3, 28, v1
	s_ashr_i32 s86, s76, 4
	v_mov_b32_e32 v105, s68
	s_add_i32 s86, s86, -1
	v_lshrrev_b32_e32 v140, 5, v0
	v_dual_mov_b32 v110, s73 :: v_dual_add_nc_u32 v1, v2, v3
	v_or_b32_e32 v2, 16, v2
	s_waitcnt lgkmcnt(0)
	s_mul_i32 s78, s34, s13
	v_mov_b32_e32 v108, s71
	v_ashrrev_i32_e32 v1, 4, v1
	s_ashr_i32 s79, s78, 31
	v_add_nc_u32_e32 v3, v2, v3
	s_lshl_b64 s[78:79], s[78:79], 2
	v_mov_b32_e32 v106, s69
	v_cndmask_b32_e32 v1, s86, v1, vcc_lo
	v_cmp_gt_i32_e32 vcc_lo, s33, v2
	v_ashrrev_i32_e32 v3, 4, v3
	s_add_u32 s76, s2, s78
	s_addc_u32 s85, s3, s79
	v_ashrrev_i32_e32 v2, 31, v1
	s_ashr_i32 s13, s12, 31
	v_cndmask_b32_e32 v3, s86, v3, vcc_lo
	s_lshl_b64 s[2:3], s[12:13], 1
	s_mov_b32 s68, 0
	v_lshlrev_b64 v[1:2], 2, v[1:2]
	s_add_u32 s96, s80, s2
	v_ashrrev_i32_e32 v4, 31, v3
	s_addc_u32 s97, s81, s3
	s_lshl_b32 s12, s14, 4
	s_mov_b32 s69, s68
	v_add_co_u32 v1, vcc_lo, s76, v1
	v_lshlrev_b64 v[3:4], 2, v[3:4]
	v_add_co_ci_u32_e32 v2, vcc_lo, s85, v2, vcc_lo
	s_ashr_i32 s13, s12, 31
	s_mov_b32 s72, s68
	s_lshl_b64 s[12:13], s[12:13], 2
	s_delay_alu instid0(VALU_DEP_2)
	v_add_co_u32 v3, vcc_lo, s76, v3
	v_add_co_ci_u32_e32 v4, vcc_lo, s85, v4, vcc_lo
	s_clause 0x1
	global_load_b32 v5, v[1:2], off
	global_load_b32 v6, v[3:4], off
	s_add_u32 s12, s76, s12
	s_addc_u32 s13, s85, s13
	s_or_b32 s78, s84, 16
	v_lshlrev_b32_e32 v3, 4, v0
	s_ashr_i32 s79, s78, 4
	s_cmp_lt_i32 s78, s33
	s_mov_b32 s73, s68
	s_cselect_b32 s78, s79, s86
	s_mov_b32 s74, s68
	s_ashr_i32 s79, s78, 31
	s_mov_b32 s75, s68
	s_lshl_b64 s[78:79], s[78:79], 2
	v_mov_b32_e32 v104, s67
	s_add_u32 s78, s76, s78
	s_addc_u32 s79, s85, s79
	s_or_b32 s80, s84, 32
	v_dual_mov_b32 v103, s66 :: v_dual_mov_b32 v148, s31
	s_ashr_i32 s81, s80, 4
	s_cmp_lt_i32 s80, s33
	v_mov_b32_e32 v102, s65
	s_cselect_b32 s80, s81, s86
	v_dual_mov_b32 v101, s64 :: v_dual_mov_b32 v146, s29
	s_ashr_i32 s81, s80, 31
	v_mov_b32_e32 v100, s63
	s_lshl_b64 s[80:81], s[80:81], 2
	v_dual_mov_b32 v99, s62 :: v_dual_mov_b32 v144, s27
	s_add_u32 s80, s76, s80
	s_addc_u32 s81, s85, s81
	s_or_b32 s87, s84, 48
	v_mov_b32_e32 v98, s61
	s_ashr_i32 s88, s87, 4
	s_cmp_lt_i32 s87, s33
	v_dual_mov_b32 v97, s60 :: v_dual_mov_b32 v142, s25
	s_cselect_b32 s88, s88, s86
	v_dual_mov_b32 v147, s30 :: v_dual_mov_b32 v156, s51
	s_ashr_i32 s89, s88, 31
	v_dual_mov_b32 v145, s28 :: v_dual_mov_b32 v154, s49
	s_lshl_b64 s[88:89], s[88:89], 2
	v_dual_mov_b32 v143, s26 :: v_dual_mov_b32 v152, s47
	s_add_u32 s90, s76, s88
	s_addc_u32 s91, s85, s89
	s_or_b32 s87, s84, 64
	v_dual_mov_b32 v141, s24 :: v_dual_mov_b32 v150, s45
	s_ashr_i32 s88, s87, 4
	s_cmp_lt_i32 s87, s33
	v_dual_mov_b32 v155, s50 :: v_dual_mov_b32 v164, s59
	s_cselect_b32 s88, s88, s86
	v_dual_mov_b32 v153, s48 :: v_dual_mov_b32 v162, s57
	s_ashr_i32 s89, s88, 31
	v_dual_mov_b32 v151, s46 :: v_dual_mov_b32 v160, s55
	s_lshl_b64 s[88:89], s[88:89], 2
	v_dual_mov_b32 v149, s44 :: v_dual_mov_b32 v158, s53
	s_add_u32 s92, s76, s88
	s_addc_u32 s93, s85, s89
	s_or_b32 s87, s84, 0x50
	v_dual_mov_b32 v163, s58 :: v_dual_mov_b32 v188, s43
	s_ashr_i32 s88, s87, 4
	s_cmp_lt_i32 s87, s33
	v_dual_mov_b32 v161, s56 :: v_dual_mov_b32 v186, s41
	s_cselect_b32 s88, s88, s86
	v_dual_mov_b32 v159, s54 :: v_dual_mov_b32 v184, s39
	s_ashr_i32 s89, s88, 31
	v_dual_mov_b32 v157, s52 :: v_dual_mov_b32 v182, s37
	s_lshl_b64 s[88:89], s[88:89], 2
	v_mov_b32_e32 v181, s36
	s_add_u32 s94, s76, s88
	s_addc_u32 s95, s85, s89
	s_clause 0x5
	s_load_b32 s12, s[12:13], 0x0
	s_load_b32 s89, s[78:79], 0x0
	;; [unrolled: 1-line block ×6, first 2 shown]
	s_waitcnt lgkmcnt(0)
	s_mul_hi_i32 s29, s87, s77
	s_waitcnt vmcnt(1)
	v_mad_i64_i32 v[1:2], null, v5, s77, 0
	v_and_b32_e32 v5, 0xf0, v3
	s_waitcnt vmcnt(0)
	v_mad_i64_i32 v[3:4], null, v6, s77, 0
	s_delay_alu instid0(VALU_DEP_2) | instskip(NEXT) | instid1(VALU_DEP_4)
	v_add_co_u32 v5, s13, s96, v5
	v_lshlrev_b64 v[1:2], 1, v[1:2]
	v_add_co_ci_u32_e64 v6, null, s97, 0, s13
	s_delay_alu instid0(VALU_DEP_4) | instskip(SKIP_1) | instid1(VALU_DEP_3)
	v_lshlrev_b64 v[3:4], 1, v[3:4]
	s_or_b32 s13, s84, 0x60
	v_add_co_u32 v113, vcc_lo, v5, v1
	s_delay_alu instid0(VALU_DEP_3) | instskip(NEXT) | instid1(VALU_DEP_3)
	v_add_co_ci_u32_e32 v114, vcc_lo, v6, v2, vcc_lo
	v_add_co_u32 v115, vcc_lo, v5, v3
	s_delay_alu instid0(VALU_DEP_4)
	v_add_co_ci_u32_e32 v116, vcc_lo, v6, v4, vcc_lo
	s_clause 0x1f
	global_load_b128 v[81:84], v[113:114], off
	global_load_b128 v[85:88], v[113:114], off offset:256
	global_load_b128 v[89:92], v[115:116], off
	global_load_b128 v[93:96], v[115:116], off offset:256
	global_load_b128 v[73:76], v[113:114], off offset:512
	global_load_b128 v[77:80], v[113:114], off offset:768
	global_load_b128 v[65:68], v[115:116], off offset:512
	global_load_b128 v[69:72], v[115:116], off offset:768
	global_load_b128 v[57:60], v[113:114], off offset:1024
	global_load_b128 v[61:64], v[113:114], off offset:1280
	global_load_b128 v[49:52], v[115:116], off offset:1024
	global_load_b128 v[53:56], v[115:116], off offset:1280
	global_load_b128 v[41:44], v[113:114], off offset:1536
	global_load_b128 v[45:48], v[113:114], off offset:1792
	global_load_b128 v[33:36], v[115:116], off offset:1536
	global_load_b128 v[37:40], v[115:116], off offset:1792
	global_load_b128 v[9:12], v[113:114], off offset:2048
	global_load_b128 v[13:16], v[113:114], off offset:2304
	global_load_b128 v[1:4], v[115:116], off offset:2048
	global_load_b128 v[5:8], v[115:116], off offset:2304
	global_load_b128 v[25:28], v[113:114], off offset:2560
	global_load_b128 v[29:32], v[113:114], off offset:2816
	global_load_b128 v[17:20], v[115:116], off offset:2560
	global_load_b128 v[21:24], v[115:116], off offset:2816
	global_load_b128 v[165:168], v[113:114], off offset:3072
	global_load_b128 v[169:172], v[113:114], off offset:3328
	global_load_b128 v[173:176], v[115:116], off offset:3072
	global_load_b128 v[177:180], v[115:116], off offset:3328
	global_load_b128 v[189:192], v[113:114], off offset:3584
	global_load_b128 v[193:196], v[113:114], off offset:3840
	global_load_b128 v[197:200], v[115:116], off offset:3584
	global_load_b128 v[201:204], v[115:116], off offset:3840
	s_ashr_i32 s78, s13, 4
	s_cmp_lt_i32 s13, s33
	s_cselect_b32 s78, s78, s86
	s_delay_alu instid0(SALU_CYCLE_1) | instskip(NEXT) | instid1(SALU_CYCLE_1)
	s_ashr_i32 s79, s78, 31
	s_lshl_b64 s[78:79], s[78:79], 2
	s_delay_alu instid0(SALU_CYCLE_1)
	s_add_u32 s78, s76, s78
	s_addc_u32 s79, s85, s79
	s_or_b32 s13, s84, 0x70
	s_load_b32 s49, s[78:79], 0x0
	s_ashr_i32 s90, s13, 4
	s_cmp_lt_i32 s13, s33
	s_cselect_b32 s90, s90, s86
	s_delay_alu instid0(SALU_CYCLE_1) | instskip(NEXT) | instid1(SALU_CYCLE_1)
	s_ashr_i32 s91, s90, 31
	s_lshl_b64 s[70:71], s[90:91], 2
	s_delay_alu instid0(SALU_CYCLE_1)
	s_add_u32 s60, s76, s70
	s_addc_u32 s61, s85, s71
	s_or_b32 s13, s84, 0x80
	s_load_b32 s50, s[60:61], 0x0
	s_ashr_i32 s24, s13, 4
	s_cmp_lt_i32 s13, s33
	s_mov_b32 s70, s68
	s_cselect_b32 s24, s24, s86
	s_mov_b32 s71, s68
	s_ashr_i32 s25, s24, 31
	v_mov_b32_e32 v187, s42
	s_lshl_b64 s[24:25], s[24:25], 2
	v_mov_b32_e32 v185, s40
	s_add_u32 s44, s76, s24
	s_addc_u32 s45, s85, s25
	s_or_b32 s13, s84, 0x90
	v_mov_b32_e32 v183, s38
	s_ashr_i32 s24, s13, 4
	s_cmp_lt_i32 s13, s33
	s_load_b32 s51, s[44:45], 0x0
	s_cselect_b32 s24, s24, s86
	v_dual_mov_b32 v136, s75 :: v_dual_lshlrev_b32 v117, 5, v137
	s_ashr_i32 s25, s24, 31
	v_mov_b32_e32 v135, s74
	s_lshl_b64 s[24:25], s[24:25], 2
	s_delay_alu instid0(VALU_DEP_2)
	v_lshl_or_b32 v113, v140, 9, v117
	s_add_u32 s36, s76, s24
	s_addc_u32 s37, s85, s25
	s_or_b32 s13, s84, 0xa0
	s_load_b32 s48, s[36:37], 0x0
	s_ashr_i32 s24, s13, 4
	s_cmp_lt_i32 s13, s33
	v_mov_b32_e32 v134, s73
	s_cselect_b32 s24, s24, s86
	v_mov_b32_e32 v133, s72
	s_ashr_i32 s25, s24, 31
	v_mov_b32_e32 v132, s71
	s_lshl_b64 s[24:25], s[24:25], 2
	v_mov_b32_e32 v131, s70
	s_add_u32 s38, s76, s24
	s_addc_u32 s39, s85, s25
	s_or_b32 s13, s84, 0xb0
	s_load_b32 s47, s[38:39], 0x0
	s_ashr_i32 s24, s13, 4
	s_cmp_lt_i32 s13, s33
	s_mul_hi_i32 s13, s12, s77
	s_cselect_b32 s26, s24, s86
	s_mul_i32 s12, s12, s77
	s_ashr_i32 s27, s26, 31
	s_mul_hi_i32 s25, s89, s77
	s_lshl_b64 s[26:27], s[26:27], 2
	s_mul_i32 s24, s89, s77
	s_add_u32 s40, s76, s26
	s_addc_u32 s41, s85, s27
	s_or_b32 s26, s84, 0xc0
	s_mul_hi_i32 s27, s88, s77
	s_ashr_i32 s28, s26, 4
	s_cmp_lt_i32 s26, s33
	s_mul_i32 s26, s88, s77
	s_cselect_b32 s30, s28, s86
	s_mul_i32 s28, s87, s77
	s_ashr_i32 s31, s30, 31
	s_mul_hi_i32 s37, s80, s77
	s_lshl_b64 s[42:43], s[30:31], 2
	s_mul_hi_i32 s31, s81, s77
	s_add_u32 s42, s76, s42
	s_addc_u32 s43, s85, s43
	s_or_b32 s30, s84, 0xd0
	s_mul_i32 s36, s80, s77
	s_ashr_i32 s46, s30, 4
	s_cmp_lt_i32 s30, s33
	s_mul_i32 s30, s81, s77
	s_cselect_b32 s44, s46, s86
	v_mov_b32_e32 v130, s69
	s_ashr_i32 s45, s44, 31
	v_mov_b32_e32 v129, s68
	s_lshl_b64 s[44:45], s[44:45], 2
	s_delay_alu instid0(SALU_CYCLE_1)
	s_add_u32 s38, s76, s44
	s_addc_u32 s39, s85, s45
	s_or_b32 s52, s84, 0xe0
	s_clause 0x2
	s_load_b32 s46, s[40:41], 0x0
	s_load_b32 s45, s[42:43], 0x0
	;; [unrolled: 1-line block ×3, first 2 shown]
	s_ashr_i32 s53, s52, 4
	s_cmp_lt_i32 s52, s33
	s_waitcnt lgkmcnt(0)
	s_mul_hi_i32 s41, s50, s77
	s_mul_i32 s40, s50, s77
	s_cselect_b32 s50, s53, s86
	s_mul_hi_i32 s43, s51, s77
	s_mul_i32 s42, s51, s77
	s_ashr_i32 s51, s50, 31
	s_mul_hi_i32 s39, s49, s77
	s_lshl_b64 s[50:51], s[50:51], 2
	s_mul_i32 s38, s49, s77
	s_add_u32 s50, s76, s50
	s_addc_u32 s51, s85, s51
	s_or_b32 s54, s84, 0xf0
	s_mul_hi_i32 s49, s48, s77
	s_ashr_i32 s55, s54, 4
	s_cmp_lt_i32 s54, s33
	s_mul_i32 s48, s48, s77
	s_cselect_b32 s54, s55, s86
	s_mul_hi_i32 s53, s47, s77
	s_ashr_i32 s55, s54, 31
	s_mul_i32 s52, s47, s77
	s_lshl_b64 s[54:55], s[54:55], 2
	s_mul_hi_i32 s57, s45, s77
	s_add_u32 s54, s76, s54
	s_addc_u32 s55, s85, s55
	s_mul_i32 s56, s45, s77
	s_add_u32 s58, s82, s2
	s_addc_u32 s59, s83, s3
	s_lshl_b64 s[2:3], s[12:13], 1
	s_lshl_b64 s[12:13], s[24:25], 1
	;; [unrolled: 1-line block ×12, first 2 shown]
	v_add_co_u32 v225, s56, s58, v113
	s_delay_alu instid0(VALU_DEP_1)
	v_add_co_ci_u32_e64 v226, null, s59, 0, s56
	s_clause 0x1
	s_load_b32 s50, s[50:51], 0x0
	s_load_b32 s51, s[54:55], 0x0
	s_mul_hi_i32 s47, s46, s77
	s_mul_i32 s46, s46, s77
	s_mul_hi_i32 s45, s44, s77
	s_lshl_b64 s[46:47], s[46:47], 1
	s_mul_i32 s44, s44, s77
	s_delay_alu instid0(SALU_CYCLE_1)
	s_lshl_b64 s[44:45], s[44:45], 1
	s_waitcnt vmcnt(30)
	v_wmma_f32_16x16x16_f16 v[205:212], v[81:88], v[105:112], v[129:136]
	v_add_co_u32 v81, vcc_lo, v225, s2
	v_add_co_ci_u32_e32 v82, vcc_lo, s3, v226, vcc_lo
	v_add_co_u32 v83, vcc_lo, v225, s12
	v_add_co_ci_u32_e32 v84, vcc_lo, s13, v226, vcc_lo
	;; [unrolled: 2-line block ×4, first 2 shown]
	s_waitcnt vmcnt(28)
	v_wmma_f32_16x16x16_f16 v[129:136], v[89:96], v[105:112], v[129:136]
	v_add_co_u32 v93, vcc_lo, v225, s28
	v_add_co_ci_u32_e32 v94, vcc_lo, s29, v226, vcc_lo
	v_add_co_u32 v138, vcc_lo, v225, s30
	v_add_co_ci_u32_e32 v139, vcc_lo, s31, v226, vcc_lo
	;; [unrolled: 2-line block ×4, first 2 shown]
	v_add_co_u32 v217, vcc_lo, v225, s40
	s_waitcnt vmcnt(26)
	v_wmma_f32_16x16x16_f16 v[205:212], v[73:80], v[97:104], v[205:212]
	v_add_co_ci_u32_e32 v218, vcc_lo, s41, v226, vcc_lo
	v_add_co_u32 v219, vcc_lo, v225, s42
	v_add_co_ci_u32_e32 v220, vcc_lo, s43, v226, vcc_lo
	v_add_co_u32 v221, vcc_lo, v225, s48
	s_waitcnt vmcnt(24)
	v_wmma_f32_16x16x16_f16 v[129:136], v[65:72], v[97:104], v[129:136]
	s_waitcnt vmcnt(22)
	v_wmma_f32_16x16x16_f16 v[205:212], v[57:64], v[141:148], v[205:212]
	v_add_co_ci_u32_e32 v222, vcc_lo, s49, v226, vcc_lo
	v_add_co_u32 v223, vcc_lo, v225, s46
	v_add_co_ci_u32_e32 v224, vcc_lo, s47, v226, vcc_lo
	s_waitcnt vmcnt(20)
	v_wmma_f32_16x16x16_f16 v[129:136], v[49:56], v[141:148], v[129:136]
	s_waitcnt vmcnt(18)
	v_wmma_f32_16x16x16_f16 v[205:212], v[41:48], v[149:156], v[205:212]
	v_add_co_u32 v41, vcc_lo, v225, s52
	v_add_co_ci_u32_e32 v42, vcc_lo, s53, v226, vcc_lo
	s_waitcnt lgkmcnt(0)
	s_mul_hi_i32 s3, s50, s77
	s_mul_i32 s2, s50, s77
	v_add_co_u32 v43, vcc_lo, v225, s44
	s_lshl_b64 s[2:3], s[2:3], 1
	s_waitcnt vmcnt(16)
	v_wmma_f32_16x16x16_f16 v[129:136], v[33:40], v[149:156], v[129:136]
	v_add_co_ci_u32_e32 v44, vcc_lo, s45, v226, vcc_lo
	s_mul_hi_i32 s13, s51, s77
	s_mul_i32 s12, s51, s77
	v_add_co_u32 v45, vcc_lo, v225, s2
	v_add_co_ci_u32_e32 v46, vcc_lo, s3, v226, vcc_lo
	s_lshl_b64 s[2:3], s[12:13], 1
	s_clause 0xb
	global_load_b128 v[121:124], v[81:82], off
	global_load_b128 v[125:128], v[81:82], off offset:16
	global_load_b128 v[113:116], v[83:84], off
	global_load_b128 v[117:120], v[83:84], off offset:16
	global_load_b128 v[105:108], v[85:86], off
	global_load_b128 v[109:112], v[85:86], off offset:16
	global_load_b128 v[97:100], v[87:88], off
	global_load_b128 v[101:104], v[87:88], off offset:16
	global_load_b128 v[89:92], v[93:94], off
	global_load_b128 v[93:96], v[93:94], off offset:16
	global_load_b128 v[81:84], v[138:139], off
	global_load_b128 v[85:88], v[138:139], off offset:16
	s_waitcnt vmcnt(26)
	v_wmma_f32_16x16x16_f16 v[205:212], v[9:16], v[157:164], v[205:212]
	s_waitcnt vmcnt(24)
	v_wmma_f32_16x16x16_f16 v[129:136], v[1:8], v[157:164], v[129:136]
	v_add_co_u32 v138, vcc_lo, v225, s2
	v_add_co_ci_u32_e32 v139, vcc_lo, s3, v226, vcc_lo
	s_clause 0xd
	global_load_b128 v[73:76], v[213:214], off
	global_load_b128 v[77:80], v[213:214], off offset:16
	global_load_b128 v[65:68], v[215:216], off
	global_load_b128 v[69:72], v[215:216], off offset:16
	;; [unrolled: 2-line block ×7, first 2 shown]
	v_mov_b32_e32 v148, s23
	s_waitcnt vmcnt(36)
	v_wmma_f32_16x16x16_f16 v[205:212], v[25:32], v[181:188], v[205:212]
	s_clause 0x1
	global_load_b128 v[25:28], v[43:44], off
	global_load_b128 v[29:32], v[43:44], off offset:16
	s_waitcnt vmcnt(36)
	v_wmma_f32_16x16x16_f16 v[129:136], v[17:24], v[181:188], v[129:136]
	s_clause 0x3
	global_load_b128 v[41:44], v[45:46], off
	global_load_b128 v[45:48], v[45:46], off offset:16
	global_load_b128 v[17:20], v[138:139], off
	global_load_b128 v[21:24], v[138:139], off offset:16
	v_dual_mov_b32 v147, s22 :: v_dual_mov_b32 v146, s21
	v_dual_mov_b32 v145, s20 :: v_dual_mov_b32 v144, s19
	;; [unrolled: 1-line block ×3, first 2 shown]
	v_mov_b32_e32 v141, s16
	v_mbcnt_lo_u32_b32 v149, -1, 0
	v_bfe_u32 v138, v0, 4, 1
	s_waitcnt vmcnt(0)
	s_barrier
	v_wmma_f32_16x16x16_f16 v[205:212], v[165:172], v[141:148], v[205:212]
	v_wmma_f32_16x16x16_f16 v[129:136], v[173:180], v[141:148], v[129:136]
	v_dual_mov_b32 v148, s11 :: v_dual_mov_b32 v147, s10
	v_dual_mov_b32 v146, s9 :: v_dual_mov_b32 v145, s8
	v_dual_mov_b32 v144, s7 :: v_dual_mov_b32 v143, s6
	v_dual_mov_b32 v142, s5 :: v_dual_mov_b32 v141, s4
	v_xor_b32_e32 v150, 16, v149
	buffer_gl0_inv
	v_wmma_f32_16x16x16_f16 v[129:136], v[197:204], v[141:148], v[129:136]
	v_cmp_gt_i32_e32 vcc_lo, 32, v150
	s_delay_alu instid0(VALU_DEP_2) | instskip(NEXT) | instid1(VALU_DEP_3)
	v_mul_f32_e32 v170, s35, v131
	v_mul_f32_e32 v166, s35, v135
	s_delay_alu instid0(VALU_DEP_4) | instskip(SKIP_3) | instid1(VALU_DEP_3)
	v_mul_f32_e32 v168, s35, v133
	v_wmma_f32_16x16x16_f16 v[205:212], v[189:196], v[141:148], v[205:212]
	v_and_b32_e32 v139, 0xe0, v0
	v_dual_cndmask_b32 v149, v149, v150 :: v_dual_mul_f32 v172, s35, v129
	v_dual_mul_f32 v171, s35, v130 :: v_dual_mul_f32 v144, s35, v209
	s_delay_alu instid0(VALU_DEP_3) | instskip(SKIP_2) | instid1(VALU_DEP_3)
	v_dual_mul_f32 v148, s35, v205 :: v_dual_add_nc_u32 v139, s84, v139
	v_mul_f32_e32 v147, s35, v206
	v_dual_mul_f32 v145, s35, v208 :: v_dual_mul_f32 v146, s35, v207
	v_or_b32_e32 v139, v139, v138
	v_mul_f32_e32 v143, s35, v210
	v_dual_mul_f32 v141, s35, v212 :: v_dual_mul_f32 v142, s35, v211
	v_mul_f32_e32 v169, s35, v132
	s_delay_alu instid0(VALU_DEP_4)
	v_or_b32_e32 v150, 2, v139
	v_or_b32_e32 v151, 4, v139
	;; [unrolled: 1-line block ×3, first 2 shown]
	v_cmp_gt_i32_e32 vcc_lo, s33, v139
	v_or_b32_e32 v153, 8, v139
	v_cmp_gt_i32_e64 s2, s33, v150
	v_or_b32_e32 v154, 10, v139
	v_or_b32_e32 v155, 12, v139
	;; [unrolled: 1-line block ×11, first 2 shown]
	v_cndmask_b32_e32 v139, 0xff7fffff, v148, vcc_lo
	v_cndmask_b32_e64 v147, 0xff7fffff, v147, s2
	v_cmp_gt_i32_e64 s3, s33, v151
	v_cmp_gt_i32_e64 s4, s33, v152
	;; [unrolled: 1-line block ×4, first 2 shown]
	v_max3_f32 v139, v139, 0xff7fffff, v147
	v_cndmask_b32_e64 v146, 0xff7fffff, v146, s3
	v_cndmask_b32_e64 v145, 0xff7fffff, v145, s4
	;; [unrolled: 1-line block ×4, first 2 shown]
	v_cmp_gt_i32_e64 s7, s33, v155
	v_cmp_gt_i32_e64 s8, s33, v156
	v_max3_f32 v139, v139, v146, v145
	v_cmp_gt_i32_e64 s9, s33, v157
	v_cmp_gt_i32_e64 s10, s33, v158
	v_cndmask_b32_e64 v142, 0xff7fffff, v142, s7
	v_cndmask_b32_e64 v141, 0xff7fffff, v141, s8
	v_max3_f32 v139, v139, v144, v143
	v_cndmask_b32_e64 v143, 0xff7fffff, v172, s9
	v_cndmask_b32_e64 v144, 0xff7fffff, v171, s10
	v_cmp_gt_i32_e64 s11, s33, v159
	v_cmp_gt_i32_e64 s12, s33, v160
	v_max3_f32 v139, v139, v142, v141
	v_mul_f32_e32 v167, s35, v134
	v_cmp_gt_i32_e64 s13, s33, v161
	v_cndmask_b32_e64 v141, 0xff7fffff, v170, s11
	v_cndmask_b32_e64 v142, 0xff7fffff, v169, s12
	v_max3_f32 v139, v139, v143, v144
	v_cmp_gt_i32_e64 s16, s33, v162
	v_mul_f32_e32 v165, s35, v136
	v_cndmask_b32_e64 v143, 0xff7fffff, v168, s13
	v_cmp_gt_i32_e64 s17, s33, v163
	v_max3_f32 v139, v139, v141, v142
	v_cndmask_b32_e64 v144, 0xff7fffff, v167, s16
	v_cmp_gt_i32_e64 s18, s33, v164
	s_delay_alu instid0(VALU_DEP_4) | instskip(NEXT) | instid1(VALU_DEP_3)
	v_cndmask_b32_e64 v141, 0xff7fffff, v166, s17
	v_max3_f32 v139, v139, v143, v144
	s_delay_alu instid0(VALU_DEP_3) | instskip(SKIP_1) | instid1(VALU_DEP_2)
	v_cndmask_b32_e64 v142, 0xff7fffff, v165, s18
	v_lshlrev_b32_e32 v143, 2, v149
	v_max3_f32 v139, v139, v141, v142
	ds_bpermute_b32 v141, v143, v139
	s_waitcnt lgkmcnt(0)
	v_max_f32_e32 v141, v141, v141
	s_delay_alu instid0(VALU_DEP_1) | instskip(NEXT) | instid1(VALU_DEP_1)
	v_max_f32_e32 v139, v139, v141
	v_fma_f32 v141, s35, v205, -v139
	v_fma_f32 v142, s35, v206, -v139
	;; [unrolled: 1-line block ×5, first 2 shown]
	s_delay_alu instid0(VALU_DEP_4) | instskip(NEXT) | instid1(VALU_DEP_3)
	v_dual_mul_f32 v141, 0x3fb8aa3b, v141 :: v_dual_mul_f32 v142, 0x3fb8aa3b, v142
	v_dual_mul_f32 v144, 0x3fb8aa3b, v144 :: v_dual_mul_f32 v145, 0x3fb8aa3b, v145
	s_delay_alu instid0(VALU_DEP_3) | instskip(NEXT) | instid1(VALU_DEP_3)
	v_mul_f32_e32 v148, 0x3fb8aa3b, v146
	v_exp_f32_e32 v141, v141
	s_delay_alu instid0(VALU_DEP_3) | instskip(NEXT) | instid1(VALU_DEP_2)
	v_exp_f32_e32 v142, v142
	v_exp_f32_e32 v144, v144
	;; [unrolled: 1-line block ×3, first 2 shown]
	v_fma_f32 v150, s35, v211, -v139
	v_exp_f32_e32 v151, v148
	v_fma_f32 v129, s35, v129, -v139
	v_fma_f32 v130, s35, v130, -v139
	;; [unrolled: 1-line block ×3, first 2 shown]
	v_dual_mul_f32 v150, 0x3fb8aa3b, v150 :: v_dual_cndmask_b32 v147, 0, v141
	v_fma_f32 v141, s35, v210, -v139
	v_cndmask_b32_e64 v146, 0, v142, s2
	v_cndmask_b32_e64 v149, 0, v144, s3
	v_fma_f32 v144, s35, v212, -v139
	s_delay_alu instid0(VALU_DEP_4) | instskip(SKIP_2) | instid1(VALU_DEP_3)
	v_dual_add_f32 v142, 0, v147 :: v_dual_mul_f32 v141, 0x3fb8aa3b, v141
	v_cndmask_b32_e64 v148, 0, v145, s4
	v_exp_f32_e32 v145, v150
	v_mul_f32_e32 v144, 0x3fb8aa3b, v144
	s_delay_alu instid0(VALU_DEP_3)
	v_add_f32_e32 v142, v142, v146
	v_exp_f32_e32 v141, v141
	v_cndmask_b32_e64 v151, 0, v151, s5
	v_mul_f32_e32 v129, 0x3fb8aa3b, v129
	v_exp_f32_e32 v144, v144
	v_add_f32_e32 v142, v142, v149
	v_mul_f32_e32 v130, 0x3fb8aa3b, v130
	s_mov_b32 s3, exec_lo
	v_exp_f32_e32 v129, v129
	v_cndmask_b32_e64 v152, 0, v145, s7
	v_add_f32_e32 v142, v142, v148
	v_cndmask_b32_e64 v150, 0, v141, s6
	v_exp_f32_e32 v130, v130
	s_delay_alu instid0(VALU_DEP_2) | instskip(SKIP_2) | instid1(TRANS32_DEP_2)
	v_add_f32_e32 v141, v142, v151
	v_fma_f32 v142, s35, v132, -v139
	v_cndmask_b32_e64 v132, 0, v144, s8
	v_cndmask_b32_e64 v153, 0, v129, s9
	s_delay_alu instid0(VALU_DEP_4) | instskip(NEXT) | instid1(VALU_DEP_1)
	v_add_f32_e32 v141, v141, v150
	v_dual_mul_f32 v142, 0x3fb8aa3b, v142 :: v_dual_add_f32 v141, v141, v152
	s_delay_alu instid0(VALU_DEP_1) | instskip(NEXT) | instid1(VALU_DEP_1)
	v_exp_f32_e32 v142, v142
	v_add_f32_e32 v129, v141, v132
	v_mul_f32_e32 v141, 0x3fb8aa3b, v133
	v_cndmask_b32_e64 v133, 0, v130, s10
	v_fma_f32 v130, s35, v135, -v139
	s_delay_alu instid0(VALU_DEP_4) | instskip(NEXT) | instid1(VALU_DEP_4)
	v_add_f32_e32 v129, v129, v153
	v_exp_f32_e32 v141, v141
	s_delay_alu instid0(VALU_DEP_2)
	v_mul_f32_e32 v130, 0x3fb8aa3b, v130
	v_fma_f32 v131, s35, v131, -v139
	v_fma_f32 v134, s35, v134, -v139
	v_add_f32_e32 v129, v129, v133
	v_fma_f32 v136, s35, v136, -v139
	v_exp_f32_e32 v130, v130
	s_delay_alu instid0(VALU_DEP_3) | instskip(NEXT) | instid1(TRANS32_DEP_2)
	v_dual_mul_f32 v131, 0x3fb8aa3b, v131 :: v_dual_mul_f32 v134, 0x3fb8aa3b, v134
	v_cndmask_b32_e64 v154, 0, v141, s13
	s_delay_alu instid0(VALU_DEP_3) | instskip(NEXT) | instid1(VALU_DEP_3)
	v_mul_f32_e32 v141, 0x3fb8aa3b, v136
	v_exp_f32_e32 v131, v131
	s_waitcnt_depctr 0xfff
	v_cndmask_b32_e64 v156, 0, v130, s17
	v_cndmask_b32_e64 v135, 0, v131, s11
	v_exp_f32_e32 v131, v134
	v_cndmask_b32_e64 v134, 0, v142, s12
	s_delay_alu instid0(VALU_DEP_2) | instskip(NEXT) | instid1(VALU_DEP_1)
	v_add_f32_e32 v129, v129, v135
	v_add_f32_e32 v129, v129, v134
	s_waitcnt_depctr 0xfff
	v_cndmask_b32_e64 v136, 0, v131, s16
	v_exp_f32_e32 v131, v141
	v_add_f32_e32 v129, v129, v154
	s_delay_alu instid0(VALU_DEP_1) | instskip(SKIP_4) | instid1(VALU_DEP_2)
	v_add_f32_e32 v129, v129, v136
	s_waitcnt_depctr 0xfff
	v_cndmask_b32_e64 v155, 0, v131, s18
	v_and_b32_e32 v131, 31, v0
	v_add_f32_e32 v129, v129, v156
	v_cmp_lt_u32_e64 s2, 15, v131
	s_delay_alu instid0(VALU_DEP_2)
	v_add_f32_e32 v129, v129, v155
	ds_bpermute_b32 v130, v143, v129
	v_cmpx_gt_u32_e32 16, v131
	s_cbranch_execz .LBB246_11
; %bb.10:
	v_mul_u32_u24_e32 v131, 0x44, v140
	s_delay_alu instid0(VALU_DEP_1) | instskip(SKIP_1) | instid1(VALU_DEP_1)
	v_lshl_add_u32 v131, v137, 2, v131
	s_waitcnt lgkmcnt(0)
	v_dual_add_f32 v129, v129, v130 :: v_dual_add_nc_u32 v130, 0x4000, v131
	ds_store_2addr_b32 v130, v139, v129 offset1:136
.LBB246_11:
	s_or_b32 exec_lo, exec_lo, s3
	v_lshlrev_b32_e32 v129, 2, v137
	s_load_b64 s[36:37], s[0:1], 0x94
	s_waitcnt lgkmcnt(0)
	s_barrier
	buffer_gl0_inv
	v_add_nc_u32_e32 v129, 0x4000, v129
	v_cmp_eq_u32_e32 vcc_lo, 1, v140
	v_cmp_eq_u32_e64 s3, 2, v140
	v_cmp_eq_u32_e64 s5, 3, v140
	;; [unrolled: 1-line block ×3, first 2 shown]
	ds_load_2addr_b32 v[141:142], v129 offset1:17
	ds_load_2addr_b32 v[143:144], v129 offset0:34 offset1:51
	ds_load_2addr_b32 v[157:158], v129 offset0:68 offset1:85
	;; [unrolled: 1-line block ×4, first 2 shown]
	v_cmp_eq_u32_e64 s7, 5, v140
	v_cmp_eq_u32_e64 s4, 6, v140
	s_waitcnt lgkmcnt(4)
	v_max3_f32 v130, v141, 0xff7fffff, v142
	s_waitcnt lgkmcnt(3)
	s_delay_alu instid0(VALU_DEP_1) | instskip(SKIP_1) | instid1(VALU_DEP_1)
	v_max3_f32 v130, v130, v143, v144
	s_waitcnt lgkmcnt(2)
	v_max3_f32 v130, v130, v157, v158
	s_waitcnt lgkmcnt(1)
	s_delay_alu instid0(VALU_DEP_1) | instskip(NEXT) | instid1(VALU_DEP_1)
	v_max3_f32 v130, v130, v159, v160
	v_sub_f32_e32 v131, v141, v130
	v_sub_f32_e32 v139, v142, v130
	ds_load_2addr_b32 v[141:142], v129 offset0:170 offset1:187
	v_sub_f32_e32 v143, v143, v130
	v_sub_f32_e32 v157, v157, v130
	v_mul_f32_e32 v131, 0x3fb8aa3b, v131
	v_mul_f32_e32 v139, 0x3fb8aa3b, v139
	s_delay_alu instid0(VALU_DEP_4) | instskip(NEXT) | instid1(VALU_DEP_4)
	v_mul_f32_e32 v163, 0x3fb8aa3b, v143
	v_mul_f32_e32 v165, 0x3fb8aa3b, v157
	s_delay_alu instid0(VALU_DEP_4)
	v_exp_f32_e32 v145, v131
	v_sub_f32_e32 v131, v144, v130
	v_exp_f32_e32 v139, v139
	ds_load_2addr_b32 v[143:144], v129 offset0:204 offset1:221
	v_exp_f32_e32 v163, v163
	v_mul_f32_e32 v164, 0x3fb8aa3b, v131
	s_waitcnt lgkmcnt(2)
	v_fma_f32 v131, v145, v161, 0
	v_sub_f32_e32 v161, v158, v130
	s_delay_alu instid0(VALU_DEP_3)
	v_exp_f32_e32 v164, v164
	ds_load_2addr_b32 v[157:158], v129 offset0:238 offset1:255
	v_sub_f32_e32 v129, v159, v130
	v_fmac_f32_e32 v131, v139, v162
	v_mul_f32_e32 v159, 0x3fb8aa3b, v161
	v_exp_f32_e32 v161, v165
	v_cndmask_b32_e32 v139, v145, v139, vcc_lo
	v_mul_f32_e32 v129, 0x3fb8aa3b, v129
	s_waitcnt lgkmcnt(2)
	v_fmac_f32_e32 v131, v163, v141
	v_sub_f32_e32 v141, v160, v130
	v_exp_f32_e32 v159, v159
	s_waitcnt lgkmcnt(0)
	v_exp_f32_e32 v160, v129
	v_fmac_f32_e32 v131, v164, v142
	v_mul_f32_e32 v141, 0x3fb8aa3b, v141
	s_barrier
	buffer_gl0_inv
	v_fmac_f32_e32 v131, v161, v143
	v_exp_f32_e32 v162, v141
	v_lshlrev_b32_e32 v143, 6, v137
	s_delay_alu instid0(VALU_DEP_2) | instskip(NEXT) | instid1(VALU_DEP_2)
	v_fmac_f32_e32 v131, v159, v144
	v_lshl_or_b32 v145, v140, 11, v143
	s_delay_alu instid0(VALU_DEP_2) | instskip(SKIP_2) | instid1(VALU_DEP_1)
	v_fmac_f32_e32 v131, v160, v157
	s_waitcnt_depctr 0xfff
	v_fmac_f32_e32 v131, v162, v158
	v_add_f32_e32 v144, 0x358637bd, v131
	s_delay_alu instid0(VALU_DEP_1) | instskip(SKIP_1) | instid1(VALU_DEP_2)
	v_div_scale_f32 v157, null, v144, v144, 1.0
	v_div_scale_f32 v165, vcc_lo, 1.0, v144, 1.0
	v_rcp_f32_e32 v158, v157
	s_waitcnt_depctr 0xfff
	v_fma_f32 v129, -v157, v158, 1.0
	s_delay_alu instid0(VALU_DEP_1) | instskip(SKIP_3) | instid1(VALU_DEP_4)
	v_fmac_f32_e32 v158, v129, v158
	v_cndmask_b32_e64 v129, v139, v163, s3
	v_cmp_eq_u32_e64 s3, 7, v140
	v_lshlrev_b32_e32 v139, 2, v138
	v_mul_f32_e32 v163, v165, v158
	s_delay_alu instid0(VALU_DEP_4) | instskip(SKIP_1) | instid1(VALU_DEP_4)
	v_cndmask_b32_e64 v141, v129, v164, s5
	v_mov_b32_e32 v129, 0
	v_or_b32_e32 v140, 1, v139
	v_cmp_eq_u32_e64 s5, 1, v139
	v_fma_f32 v142, -v157, v163, v165
	v_cndmask_b32_e64 v141, v141, v161, s6
	v_cmp_eq_u32_e64 s6, 2, v139
	v_cmp_eq_u32_e64 s9, 1, v140
	;; [unrolled: 1-line block ×3, first 2 shown]
	v_fmac_f32_e32 v163, v142, v158
	v_cndmask_b32_e64 v159, v141, v159, s7
	v_or_b32_e32 v142, 2, v139
	v_or_b32_e32 v141, 3, v139
	v_cmp_eq_u32_e64 s13, 3, v140
	v_fma_f32 v157, -v157, v163, v165
	v_cndmask_b32_e64 v159, v159, v160, s4
	v_cmp_eq_u32_e64 s10, 1, v142
	v_cmp_eq_u32_e64 s11, 1, v141
	;; [unrolled: 1-line block ×3, first 2 shown]
	v_div_fmas_f32 v157, v157, v158, v163
	v_cndmask_b32_e64 v158, v159, v162, s3
	v_cmp_eq_u32_e64 s17, 2, v141
	v_cmp_eq_u32_e32 vcc_lo, 3, v139
	v_cmp_eq_u32_e64 s18, 3, v142
	v_div_fixup_f32 v157, v157, v144, 1.0
	v_lshl_or_b32 v144, v138, 4, v145
	v_cmp_eq_u32_e64 s19, 3, v141
	v_cmp_eq_u32_e64 s4, 4, v139
	;; [unrolled: 1-line block ×3, first 2 shown]
	v_mul_f32_e32 v161, v158, v157
	v_cmp_eq_u32_e64 s22, 4, v142
	v_cmp_eq_u32_e64 s23, 4, v141
	v_cmp_eq_u32_e64 s7, 5, v139
	v_cmp_eq_u32_e64 s21, 5, v140
	v_fma_mixlo_f16 v157, v161, v147, 0
	v_fma_mixlo_f16 v158, v161, v149, 0
	v_fma_mixlo_f16 v159, v161, v151, 0
	v_fma_mixlo_f16 v160, v161, v152, 0
	v_fma_mixlo_f16 v151, v161, v153, 0
	v_fma_mixlo_f16 v152, v161, v135, 0
	v_fma_mixlo_f16 v153, v161, v154, 0
	v_fma_mixlo_f16 v154, v161, v156, 0
	v_fma_mixhi_f16 v157, v161, v146, 0
	v_fma_mixhi_f16 v158, v161, v148, 0
	;; [unrolled: 1-line block ×8, first 2 shown]
	ds_store_b128 v144, v[157:160]
	ds_store_b128 v144, v[151:154] offset:1024
	s_waitcnt lgkmcnt(0)
	s_barrier
	buffer_gl0_inv
	ds_load_b128 v[132:135], v145
	ds_load_b128 v[146:149], v145 offset:16
	ds_load_b128 v[150:153], v145 offset:1024
	;; [unrolled: 1-line block ×3, first 2 shown]
	v_cmp_eq_u32_e64 s24, 5, v142
	v_cmp_eq_u32_e64 s25, 5, v141
	;; [unrolled: 1-line block ×10, first 2 shown]
	s_waitcnt lgkmcnt(3)
	v_lshrrev_b32_e32 v136, 16, v132
	s_waitcnt lgkmcnt(2)
	v_lshrrev_b32_e32 v161, 16, v146
	;; [unrolled: 2-line block ×4, first 2 shown]
	v_lshrrev_b32_e32 v158, 16, v133
	v_cndmask_b32_e64 v173, v132, v136, s5
	v_cndmask_b32_e64 v174, v146, v161, s5
	;; [unrolled: 1-line block ×8, first 2 shown]
	v_lshrrev_b32_e32 v162, 16, v147
	v_cndmask_b32_e64 v146, v150, v165, s5
	v_cndmask_b32_e64 v161, v154, v169, s5
	;; [unrolled: 1-line block ×16, first 2 shown]
	v_lshrrev_b32_e32 v166, 16, v151
	v_lshrrev_b32_e32 v170, 16, v155
	v_cndmask_b32_e64 v136, v146, v151, s6
	v_cndmask_b32_e64 v146, v161, v155, s6
	;; [unrolled: 1-line block ×5, first 2 shown]
	v_cndmask_b32_e32 v151, v165, v158, vcc_lo
	v_cndmask_b32_e32 v165, v169, v162, vcc_lo
	v_cndmask_b32_e64 v169, v173, v158, s13
	v_cndmask_b32_e64 v173, v174, v162, s13
	;; [unrolled: 1-line block ×6, first 2 shown]
	v_lshrrev_b32_e32 v159, 16, v134
	v_lshrrev_b32_e32 v163, 16, v148
	v_cndmask_b32_e32 v136, v136, v166, vcc_lo
	v_cndmask_b32_e32 v146, v146, v170, vcc_lo
	v_cndmask_b32_e64 v147, v147, v166, s13
	v_cndmask_b32_e64 v151, v151, v134, s4
	;; [unrolled: 1-line block ×9, first 2 shown]
	v_lshrrev_b32_e32 v167, 16, v152
	v_cndmask_b32_e64 v134, v136, v152, s4
	v_cndmask_b32_e64 v136, v146, v156, s4
	;; [unrolled: 1-line block ×11, first 2 shown]
	v_lshrrev_b32_e32 v160, 16, v135
	v_lshrrev_b32_e32 v164, 16, v149
	v_cndmask_b32_e64 v134, v134, v167, s7
	v_cndmask_b32_e64 v146, v146, v167, s21
	;; [unrolled: 1-line block ×10, first 2 shown]
	v_lshrrev_b32_e32 v168, 16, v153
	v_cndmask_b32_e64 v134, v134, v153, s3
	v_cndmask_b32_e64 v135, v146, v153, s26
	;; [unrolled: 1-line block ×12, first 2 shown]
	v_perm_b32 v135, v133, v132, 0x5040100
	v_perm_b32 v134, v151, v149, 0x5040100
	;; [unrolled: 1-line block ×3, first 2 shown]
	v_cndmask_b32_e64 v132, v154, v155, s17
	v_cndmask_b32_e64 v148, v182, v155, s16
	;; [unrolled: 1-line block ×8, first 2 shown]
	v_lshrrev_b32_e32 v171, 16, v156
	v_cndmask_b32_e64 v151, v151, v152, s22
	v_cndmask_b32_e64 v150, v150, v152, s23
	;; [unrolled: 1-line block ×11, first 2 shown]
	v_lshrrev_b32_e32 v172, 16, v157
	v_cndmask_b32_e64 v136, v136, v157, s3
	v_cndmask_b32_e64 v151, v151, v153, s27
	;; [unrolled: 1-line block ×12, first 2 shown]
	v_perm_b32 v132, v147, v146, 0x5040100
	v_perm_b32 v149, v152, v150, 0x5040100
	;; [unrolled: 1-line block ×5, first 2 shown]
	s_mov_b32 s3, exec_lo
	ds_store_b128 v144, v[132:135]
	ds_store_b128 v144, v[146:149] offset:1024
	v_cmpx_eq_u32_e32 0, v0
	s_cbranch_execz .LBB246_13
; %bb.12:
	s_load_b128 s[4:7], s[0:1], 0x58
	s_mul_i32 s8, s37, s34
	s_delay_alu instid0(SALU_CYCLE_1) | instskip(NEXT) | instid1(SALU_CYCLE_1)
	s_add_i32 s8, s8, s15
	s_mul_i32 s8, s8, s36
	s_delay_alu instid0(SALU_CYCLE_1) | instskip(NEXT) | instid1(SALU_CYCLE_1)
	s_add_i32 s8, s8, s14
	s_ashr_i32 s9, s8, 31
	s_delay_alu instid0(SALU_CYCLE_1)
	s_lshl_b64 s[8:9], s[8:9], 2
	s_waitcnt lgkmcnt(0)
	s_add_u32 s6, s6, s8
	s_addc_u32 s7, s7, s9
	s_add_u32 s4, s4, s8
	s_addc_u32 s5, s5, s9
	s_clause 0x1
	global_store_b32 v129, v130, s[6:7]
	global_store_b32 v129, v131, s[4:5]
.LBB246_13:
	s_or_b32 exec_lo, exec_lo, s3
	s_waitcnt lgkmcnt(0)
	s_waitcnt_vscnt null, 0x0
	s_barrier
	buffer_gl0_inv
	ds_load_b128 v[146:149], v143
	ds_load_b128 v[150:153], v143 offset:16
	ds_load_b128 v[158:161], v143 offset:1040
	;; [unrolled: 1-line block ×5, first 2 shown]
	v_mov_b32_e32 v130, v129
	v_mov_b32_e32 v131, v129
	;; [unrolled: 1-line block ×7, first 2 shown]
	ds_load_b128 v[174:177], v143 offset:3088
	ds_load_b128 v[170:173], v143 offset:3072
	ds_load_b128 v[182:185], v143 offset:4112
	ds_load_b128 v[178:181], v143 offset:4096
	v_cmp_eq_u32_e32 vcc_lo, 1, v142
	v_cmp_eq_u32_e64 s3, 1, v139
	v_cmp_eq_u32_e64 s4, 1, v141
	;; [unrolled: 1-line block ×4, first 2 shown]
	s_xor_b32 s2, s2, -1
	s_waitcnt lgkmcnt(8)
	v_wmma_f32_16x16x16_f16 v[129:136], v[121:128], v[146:153], v[129:136]
	ds_load_b128 v[125:128], v143 offset:5136
	ds_load_b128 v[121:124], v143 offset:5120
	s_waitcnt lgkmcnt(8)
	v_wmma_f32_16x16x16_f16 v[129:136], v[113:120], v[154:161], v[129:136]
	ds_load_b128 v[117:120], v143 offset:6160
	ds_load_b128 v[113:116], v143 offset:6144
	;; [unrolled: 4-line block ×11, first 2 shown]
	s_waitcnt lgkmcnt(0)
	s_barrier
	buffer_gl0_inv
	v_wmma_f32_16x16x16_f16 v[129:136], v[1:8], v[73:80], v[129:136]
	s_delay_alu instid0(VALU_DEP_1) | instskip(NEXT) | instid1(VALU_DEP_1)
	v_wmma_f32_16x16x16_f16 v[129:136], v[9:16], v[65:72], v[129:136]
	v_wmma_f32_16x16x16_f16 v[129:136], v[25:32], v[57:64], v[129:136]
	s_delay_alu instid0(VALU_DEP_1) | instskip(NEXT) | instid1(VALU_DEP_1)
	v_wmma_f32_16x16x16_f16 v[129:136], v[41:48], v[49:56], v[129:136]
	v_wmma_f32_16x16x16_f16 v[129:136], v[17:24], v[33:40], v[129:136]
	s_delay_alu instid0(VALU_DEP_1) | instskip(NEXT) | instid1(VALU_DEP_2)
	v_cvt_f16_f32_e64 v1, v129
	v_cvt_f16_f32_e64 v2, v130
	s_delay_alu instid0(VALU_DEP_3) | instskip(NEXT) | instid1(VALU_DEP_4)
	v_cvt_f16_f32_e64 v3, v131
	v_cvt_f16_f32_e64 v4, v132
	;; [unrolled: 1-line block ×6, first 2 shown]
	v_pack_b32_f16 v1, v1, v2
	v_pack_b32_f16 v2, v3, v4
	v_pack_b32_f16 v3, v5, v6
	s_delay_alu instid0(VALU_DEP_4)
	v_pack_b32_f16 v4, v7, v8
	ds_store_b128 v144, v[1:4]
	s_waitcnt lgkmcnt(0)
	s_barrier
	buffer_gl0_inv
	ds_load_b128 v[1:4], v145
	ds_load_b128 v[5:8], v145 offset:16
	s_waitcnt lgkmcnt(1)
	v_lshrrev_b32_e32 v9, 16, v1
	s_waitcnt lgkmcnt(0)
	v_lshrrev_b32_e32 v13, 16, v5
	v_lshrrev_b32_e32 v15, 16, v7
	;; [unrolled: 1-line block ×4, first 2 shown]
	v_cndmask_b32_e64 v17, v1, v9, s3
	v_cndmask_b32_e64 v18, v5, v13, s3
	;; [unrolled: 1-line block ×3, first 2 shown]
	v_cmp_eq_u32_e64 s3, 2, v140
	v_cndmask_b32_e64 v20, v5, v13, s5
	v_cndmask_b32_e32 v21, v1, v9, vcc_lo
	v_cndmask_b32_e32 v22, v5, v13, vcc_lo
	v_cndmask_b32_e64 v1, v1, v9, s4
	v_cndmask_b32_e64 v5, v5, v13, s4
	v_cmp_eq_u32_e32 vcc_lo, 2, v142
	v_cmp_eq_u32_e64 s4, 2, v141
	v_cndmask_b32_e64 v9, v17, v2, s6
	v_cndmask_b32_e64 v13, v18, v6, s6
	;; [unrolled: 1-line block ×4, first 2 shown]
	v_cndmask_b32_e32 v19, v21, v2, vcc_lo
	v_cmp_eq_u32_e64 s3, 3, v142
	v_cndmask_b32_e32 v20, v22, v6, vcc_lo
	v_cndmask_b32_e64 v1, v1, v2, s4
	v_cmp_eq_u32_e32 vcc_lo, 3, v141
	v_cmp_eq_u32_e64 s5, 3, v139
	v_cndmask_b32_e64 v2, v5, v6, s4
	v_cmp_eq_u32_e64 s4, 3, v140
	v_lshrrev_b32_e32 v16, 16, v8
	v_cmp_eq_u32_e64 s6, 4, v139
	v_cndmask_b32_e64 v5, v9, v10, s5
	v_cndmask_b32_e64 v6, v13, v14, s5
	;; [unrolled: 1-line block ×3, first 2 shown]
	v_cmp_eq_u32_e64 s5, 4, v140
	v_cndmask_b32_e64 v13, v18, v14, s4
	v_cndmask_b32_e64 v17, v19, v10, s3
	;; [unrolled: 1-line block ×3, first 2 shown]
	v_cndmask_b32_e32 v1, v1, v10, vcc_lo
	v_cndmask_b32_e32 v2, v2, v14, vcc_lo
	v_cmp_eq_u32_e32 vcc_lo, 4, v142
	v_cmp_eq_u32_e64 s4, 4, v141
	v_lshrrev_b32_e32 v11, 16, v3
	v_cndmask_b32_e64 v5, v5, v3, s6
	v_cndmask_b32_e64 v6, v6, v7, s6
	;; [unrolled: 1-line block ×4, first 2 shown]
	v_cndmask_b32_e32 v13, v17, v3, vcc_lo
	v_cmp_eq_u32_e64 s3, 5, v142
	v_cndmask_b32_e32 v14, v18, v7, vcc_lo
	v_cndmask_b32_e64 v1, v1, v3, s4
	v_cmp_eq_u32_e32 vcc_lo, 5, v141
	v_cmp_eq_u32_e64 s5, 5, v139
	v_cndmask_b32_e64 v2, v2, v7, s4
	v_cmp_eq_u32_e64 s4, 5, v140
	v_cmp_eq_u32_e64 s6, 6, v139
	v_cndmask_b32_e32 v1, v1, v11, vcc_lo
	v_cndmask_b32_e64 v3, v5, v11, s5
	v_cndmask_b32_e64 v5, v6, v15, s5
	;; [unrolled: 1-line block ×3, first 2 shown]
	v_cmp_eq_u32_e64 s5, 6, v140
	v_cndmask_b32_e64 v7, v10, v15, s4
	v_cndmask_b32_e64 v9, v13, v11, s3
	;; [unrolled: 1-line block ×3, first 2 shown]
	v_cndmask_b32_e32 v2, v2, v15, vcc_lo
	v_cmp_eq_u32_e32 vcc_lo, 6, v142
	v_cmp_eq_u32_e64 s3, 6, v141
	v_lshrrev_b32_e32 v12, 16, v4
	v_cndmask_b32_e64 v3, v3, v4, s6
	v_cndmask_b32_e64 v5, v5, v8, s6
	;; [unrolled: 1-line block ×4, first 2 shown]
	v_cndmask_b32_e32 v9, v9, v4, vcc_lo
	v_cmp_eq_u32_e64 s4, 7, v142
	v_cndmask_b32_e32 v10, v10, v8, vcc_lo
	v_cndmask_b32_e64 v1, v1, v4, s3
	v_cmp_eq_u32_e32 vcc_lo, 7, v141
	v_cndmask_b32_e64 v2, v2, v8, s3
	v_cmp_eq_u32_e64 s3, 7, v139
	v_cmp_eq_u32_e64 s5, 7, v140
	v_cndmask_b32_e32 v1, v1, v12, vcc_lo
	s_delay_alu instid0(VALU_DEP_4) | instskip(NEXT) | instid1(VALU_DEP_4)
	v_cndmask_b32_e32 v2, v2, v16, vcc_lo
	v_cndmask_b32_e64 v8, v3, v12, s3
	s_delay_alu instid0(VALU_DEP_4)
	v_cndmask_b32_e64 v6, v6, v12, s5
	v_cndmask_b32_e64 v3, v9, v12, s4
	;; [unrolled: 1-line block ×5, first 2 shown]
	v_cmp_gt_u32_e32 vcc_lo, 32, v0
	v_perm_b32 v4, v2, v1, 0x5040100
	v_perm_b32 v3, v9, v3, 0x5040100
	;; [unrolled: 1-line block ×4, first 2 shown]
	s_and_b32 s2, vcc_lo, s2
	ds_store_b128 v144, v[1:4]
	s_waitcnt lgkmcnt(0)
	s_barrier
	buffer_gl0_inv
	s_and_saveexec_b32 s3, s2
	s_cbranch_execz .LBB246_2
; %bb.14:
	s_load_b64 s[0:1], s[0:1], 0x68
	v_lshlrev_b32_e32 v1, 10, v0
	v_and_b32_e32 v0, 1, v0
	v_lshlrev_b32_e32 v2, 6, v138
	s_lshl_b32 s4, s36, 7
	v_lshlrev_b32_e32 v4, 4, v137
	v_and_b32_e32 v1, 0x3800, v1
	v_lshlrev_b32_e32 v0, 4, v0
	s_mul_i32 s2, s4, s34
	s_delay_alu instid0(SALU_CYCLE_1) | instskip(NEXT) | instid1(VALU_DEP_1)
	s_mul_i32 s2, s2, s37
	v_or3_b32 v0, v1, v2, v0
	s_ashr_i32 s3, s2, 31
	s_delay_alu instid0(SALU_CYCLE_1)
	s_lshl_b64 s[2:3], s[2:3], 1
	ds_load_b128 v[0:3], v0
	s_waitcnt lgkmcnt(0)
	s_add_u32 s5, s0, s2
	s_addc_u32 s3, s1, s3
	s_lshl_b32 s0, s14, 7
	s_mul_i32 s2, s4, s15
	s_ashr_i32 s1, s0, 31
	s_delay_alu instid0(SALU_CYCLE_1) | instskip(NEXT) | instid1(SALU_CYCLE_1)
	s_lshl_b64 s[0:1], s[0:1], 1
	s_add_u32 s4, s5, s0
	s_addc_u32 s5, s3, s1
	s_ashr_i32 s3, s2, 31
	s_delay_alu instid0(SALU_CYCLE_1) | instskip(NEXT) | instid1(SALU_CYCLE_1)
	s_lshl_b64 s[0:1], s[2:3], 1
	s_add_u32 s0, s4, s0
	s_addc_u32 s1, s5, s1
	global_store_b128 v4, v[0:3], s[0:1]
	s_nop 0
	s_sendmsg sendmsg(MSG_DEALLOC_VGPRS)
	s_endpgm
	.section	.rodata,"a",@progbits
	.p2align	6, 0x0
	.amdhsa_kernel _Z39paged_attention_ll4mi_QKV_mfma16_kernelIDF16_DF16_LN4vllm18Fp8KVCacheDataTypeE0EhLi16ELi128ELi256ELb0ELi1EL8MFMAType0EEvPKT_PKT0_S8_ifPKiSA_SA_iPKfiiiPfSD_PS3_PT2_iSC_SC_
		.amdhsa_group_segment_fixed_size 17472
		.amdhsa_private_segment_fixed_size 0
		.amdhsa_kernarg_size 400
		.amdhsa_user_sgpr_count 13
		.amdhsa_user_sgpr_dispatch_ptr 0
		.amdhsa_user_sgpr_queue_ptr 0
		.amdhsa_user_sgpr_kernarg_segment_ptr 1
		.amdhsa_user_sgpr_dispatch_id 0
		.amdhsa_user_sgpr_private_segment_size 0
		.amdhsa_wavefront_size32 1
		.amdhsa_uses_dynamic_stack 0
		.amdhsa_enable_private_segment 0
		.amdhsa_system_sgpr_workgroup_id_x 1
		.amdhsa_system_sgpr_workgroup_id_y 1
		.amdhsa_system_sgpr_workgroup_id_z 1
		.amdhsa_system_sgpr_workgroup_info 0
		.amdhsa_system_vgpr_workitem_id 0
		.amdhsa_next_free_vgpr 227
		.amdhsa_next_free_sgpr 98
		.amdhsa_reserve_vcc 1
		.amdhsa_float_round_mode_32 0
		.amdhsa_float_round_mode_16_64 0
		.amdhsa_float_denorm_mode_32 3
		.amdhsa_float_denorm_mode_16_64 3
		.amdhsa_dx10_clamp 1
		.amdhsa_ieee_mode 1
		.amdhsa_fp16_overflow 0
		.amdhsa_workgroup_processor_mode 1
		.amdhsa_memory_ordered 1
		.amdhsa_forward_progress 0
		.amdhsa_shared_vgpr_count 0
		.amdhsa_exception_fp_ieee_invalid_op 0
		.amdhsa_exception_fp_denorm_src 0
		.amdhsa_exception_fp_ieee_div_zero 0
		.amdhsa_exception_fp_ieee_overflow 0
		.amdhsa_exception_fp_ieee_underflow 0
		.amdhsa_exception_fp_ieee_inexact 0
		.amdhsa_exception_int_div_zero 0
	.end_amdhsa_kernel
	.section	.text._Z39paged_attention_ll4mi_QKV_mfma16_kernelIDF16_DF16_LN4vllm18Fp8KVCacheDataTypeE0EhLi16ELi128ELi256ELb0ELi1EL8MFMAType0EEvPKT_PKT0_S8_ifPKiSA_SA_iPKfiiiPfSD_PS3_PT2_iSC_SC_,"axG",@progbits,_Z39paged_attention_ll4mi_QKV_mfma16_kernelIDF16_DF16_LN4vllm18Fp8KVCacheDataTypeE0EhLi16ELi128ELi256ELb0ELi1EL8MFMAType0EEvPKT_PKT0_S8_ifPKiSA_SA_iPKfiiiPfSD_PS3_PT2_iSC_SC_,comdat
.Lfunc_end246:
	.size	_Z39paged_attention_ll4mi_QKV_mfma16_kernelIDF16_DF16_LN4vllm18Fp8KVCacheDataTypeE0EhLi16ELi128ELi256ELb0ELi1EL8MFMAType0EEvPKT_PKT0_S8_ifPKiSA_SA_iPKfiiiPfSD_PS3_PT2_iSC_SC_, .Lfunc_end246-_Z39paged_attention_ll4mi_QKV_mfma16_kernelIDF16_DF16_LN4vllm18Fp8KVCacheDataTypeE0EhLi16ELi128ELi256ELb0ELi1EL8MFMAType0EEvPKT_PKT0_S8_ifPKiSA_SA_iPKfiiiPfSD_PS3_PT2_iSC_SC_
                                        ; -- End function
	.section	.AMDGPU.csdata,"",@progbits
; Kernel info:
; codeLenInByte = 7864
; NumSgprs: 100
; NumVgprs: 227
; ScratchSize: 0
; MemoryBound: 1
; FloatMode: 240
; IeeeMode: 1
; LDSByteSize: 17472 bytes/workgroup (compile time only)
; SGPRBlocks: 12
; VGPRBlocks: 28
; NumSGPRsForWavesPerEU: 100
; NumVGPRsForWavesPerEU: 227
; Occupancy: 6
; WaveLimiterHint : 1
; COMPUTE_PGM_RSRC2:SCRATCH_EN: 0
; COMPUTE_PGM_RSRC2:USER_SGPR: 13
; COMPUTE_PGM_RSRC2:TRAP_HANDLER: 0
; COMPUTE_PGM_RSRC2:TGID_X_EN: 1
; COMPUTE_PGM_RSRC2:TGID_Y_EN: 1
; COMPUTE_PGM_RSRC2:TGID_Z_EN: 1
; COMPUTE_PGM_RSRC2:TIDIG_COMP_CNT: 0
	.section	.text._Z39paged_attention_ll4mi_QKV_mfma16_kernelIDF16_DF16_LN4vllm18Fp8KVCacheDataTypeE0EhLi16ELi128ELi256ELb0ELi2EL8MFMAType0EEvPKT_PKT0_S8_ifPKiSA_SA_iPKfiiiPfSD_PS3_PT2_iSC_SC_,"axG",@progbits,_Z39paged_attention_ll4mi_QKV_mfma16_kernelIDF16_DF16_LN4vllm18Fp8KVCacheDataTypeE0EhLi16ELi128ELi256ELb0ELi2EL8MFMAType0EEvPKT_PKT0_S8_ifPKiSA_SA_iPKfiiiPfSD_PS3_PT2_iSC_SC_,comdat
	.protected	_Z39paged_attention_ll4mi_QKV_mfma16_kernelIDF16_DF16_LN4vllm18Fp8KVCacheDataTypeE0EhLi16ELi128ELi256ELb0ELi2EL8MFMAType0EEvPKT_PKT0_S8_ifPKiSA_SA_iPKfiiiPfSD_PS3_PT2_iSC_SC_ ; -- Begin function _Z39paged_attention_ll4mi_QKV_mfma16_kernelIDF16_DF16_LN4vllm18Fp8KVCacheDataTypeE0EhLi16ELi128ELi256ELb0ELi2EL8MFMAType0EEvPKT_PKT0_S8_ifPKiSA_SA_iPKfiiiPfSD_PS3_PT2_iSC_SC_
	.globl	_Z39paged_attention_ll4mi_QKV_mfma16_kernelIDF16_DF16_LN4vllm18Fp8KVCacheDataTypeE0EhLi16ELi128ELi256ELb0ELi2EL8MFMAType0EEvPKT_PKT0_S8_ifPKiSA_SA_iPKfiiiPfSD_PS3_PT2_iSC_SC_
	.p2align	8
	.type	_Z39paged_attention_ll4mi_QKV_mfma16_kernelIDF16_DF16_LN4vllm18Fp8KVCacheDataTypeE0EhLi16ELi128ELi256ELb0ELi2EL8MFMAType0EEvPKT_PKT0_S8_ifPKiSA_SA_iPKfiiiPfSD_PS3_PT2_iSC_SC_,@function
_Z39paged_attention_ll4mi_QKV_mfma16_kernelIDF16_DF16_LN4vllm18Fp8KVCacheDataTypeE0EhLi16ELi128ELi256ELb0ELi2EL8MFMAType0EEvPKT_PKT0_S8_ifPKiSA_SA_iPKfiiiPfSD_PS3_PT2_iSC_SC_: ; @_Z39paged_attention_ll4mi_QKV_mfma16_kernelIDF16_DF16_LN4vllm18Fp8KVCacheDataTypeE0EhLi16ELi128ELi256ELb0ELi2EL8MFMAType0EEvPKT_PKT0_S8_ifPKiSA_SA_iPKfiiiPfSD_PS3_PT2_iSC_SC_
; %bb.0:
	s_load_b64 s[2:3], s[0:1], 0x30
	s_mov_b32 s34, s13
	s_waitcnt lgkmcnt(0)
	s_cmp_lg_u64 s[2:3], 0
	s_cselect_b32 s8, -1, 0
	s_ashr_i32 s35, s13, 31
	s_cmp_eq_u64 s[2:3], 0
	s_cbranch_scc1 .LBB247_3
; %bb.1:
	s_lshl_b64 s[4:5], s[34:35], 2
	s_delay_alu instid0(SALU_CYCLE_1) | instskip(SKIP_4) | instid1(SALU_CYCLE_1)
	s_add_u32 s4, s2, s4
	s_addc_u32 s5, s3, s5
	s_load_b64 s[4:5], s[4:5], 0x0
	s_waitcnt lgkmcnt(0)
	s_sub_i32 s4, s5, s4
	s_cmp_eq_u32 s4, 1
	s_cselect_b32 s4, -1, 0
	s_delay_alu instid0(SALU_CYCLE_1)
	s_and_not1_b32 vcc_lo, exec_lo, s4
	s_cbranch_vccz .LBB247_4
.LBB247_2:
	s_endpgm
.LBB247_3:
.LBB247_4:
	s_load_b64 s[4:5], s[0:1], 0x28
	s_lshl_b64 s[6:7], s[34:35], 2
	s_waitcnt lgkmcnt(0)
	s_add_u32 s4, s4, s6
	s_addc_u32 s5, s5, s7
	s_lshl_b32 s35, s14, 8
	s_load_b32 s30, s[4:5], 0x0
	s_waitcnt lgkmcnt(0)
	s_cmp_ge_i32 s35, s30
	s_cbranch_scc1 .LBB247_2
; %bb.5:
	s_clause 0x1
	s_load_b128 s[20:23], s[0:1], 0x8
	s_load_b64 s[4:5], s[0:1], 0x20
	s_and_not1_b32 vcc_lo, exec_lo, s8
	s_cbranch_vccnz .LBB247_7
; %bb.6:
	s_add_u32 s2, s2, s6
	s_addc_u32 s3, s3, s7
	s_load_b32 s3, s[2:3], 0x0
	s_branch .LBB247_8
.LBB247_7:
	s_mov_b32 s3, s34
.LBB247_8:
	s_load_b128 s[16:19], s[0:1], 0x48
	v_and_b32_e32 v150, 15, v0
	v_bfe_u32 v149, v0, 4, 1
	s_lshl_b32 s31, s15, 1
	v_and_b32_e32 v151, 31, v0
	v_and_b32_e32 v148, 1, v0
	v_lshlrev_b32_e32 v1, 3, v150
	v_cmp_gt_u32_e64 s2, 32, v0
	v_or_b32_e32 v147, s31, v149
	v_lshlrev_b32_e32 v146, 6, v149
	s_delay_alu instid0(VALU_DEP_4) | instskip(NEXT) | instid1(VALU_DEP_4)
	v_lshlrev_b32_e32 v145, 1, v1
	s_and_saveexec_b32 s6, s2
	s_cbranch_execz .LBB247_10
; %bb.9:
	s_load_b64 s[8:9], s[0:1], 0x0
	v_lshlrev_b32_e32 v1, 7, v147
	s_waitcnt lgkmcnt(0)
	s_mul_hi_i32 s11, s3, s16
	s_mul_i32 s10, s3, s16
	v_lshlrev_b32_e32 v5, 10, v150
	s_lshl_b64 s[10:11], s[10:11], 1
	v_ashrrev_i32_e32 v2, 31, v1
	v_lshlrev_b32_e32 v6, 10, v148
	s_delay_alu instid0(VALU_DEP_3) | instskip(NEXT) | instid1(VALU_DEP_3)
	v_and_b32_e32 v5, 0x3800, v5
	v_lshlrev_b64 v[1:2], 1, v[1:2]
	s_delay_alu instid0(VALU_DEP_2) | instskip(SKIP_2) | instid1(VALU_DEP_2)
	v_or3_b32 v5, v5, v6, v146
	s_add_u32 s3, s8, s10
	s_addc_u32 s7, s9, s11
	v_add_co_u32 v1, vcc_lo, s3, v1
	s_delay_alu instid0(VALU_DEP_3) | instskip(NEXT) | instid1(VALU_DEP_2)
	v_add_co_ci_u32_e32 v2, vcc_lo, s7, v2, vcc_lo
	v_add_co_u32 v1, vcc_lo, v1, v145
	s_delay_alu instid0(VALU_DEP_2)
	v_add_co_ci_u32_e32 v2, vcc_lo, 0, v2, vcc_lo
	global_load_b128 v[1:4], v[1:2], off
	s_waitcnt vmcnt(0)
	ds_store_b128 v5, v[1:4]
.LBB247_10:
	s_or_b32 exec_lo, exec_lo, s6
	v_and_b32_e32 v1, 0xef, v0
	s_waitcnt lgkmcnt(0)
	s_add_i32 s3, s30, 15
	s_clause 0x1
	s_load_b32 s6, s[0:1], 0x38
	s_load_b32 s33, s[0:1], 0x98
	s_ashr_i32 s7, s3, 31
	v_add_nc_u32_e32 v1, s35, v1
	s_lshr_b32 s7, s7, 28
	s_load_b32 s36, s[0:1], 0x1c
	s_add_i32 s3, s3, s7
	s_waitcnt lgkmcnt(0)
	v_ashrrev_i32_e32 v2, 31, v1
	v_cmp_gt_i32_e32 vcc_lo, s30, v1
	s_ashr_i32 s3, s3, 4
	s_barrier
	s_add_i32 s3, s3, -1
	v_lshrrev_b32_e32 v3, 28, v2
	v_or_b32_e32 v2, 16, v1
	buffer_gl0_inv
	v_lshlrev_b32_e32 v153, 6, v148
	v_lshrrev_b32_e32 v152, 5, v0
	v_add_nc_u32_e32 v4, v1, v3
	v_add_nc_u32_e32 v3, v2, v3
	s_mul_i32 s6, s34, s6
	v_lshlrev_b32_e32 v125, 5, v150
	s_ashr_i32 s7, s6, 31
	v_ashrrev_i32_e32 v4, 4, v4
	v_ashrrev_i32_e32 v3, 4, v3
	s_lshl_b64 s[6:7], s[6:7], 2
	s_delay_alu instid0(SALU_CYCLE_1) | instskip(NEXT) | instid1(VALU_DEP_2)
	s_add_u32 s16, s4, s6
	v_cndmask_b32_e32 v1, s3, v4, vcc_lo
	v_cmp_gt_i32_e32 vcc_lo, s30, v2
	s_addc_u32 s37, s5, s7
	s_mul_i32 s4, s15, s18
	s_delay_alu instid0(SALU_CYCLE_1) | instskip(SKIP_3) | instid1(SALU_CYCLE_1)
	s_ashr_i32 s5, s4, 31
	v_cndmask_b32_e32 v3, s3, v3, vcc_lo
	v_ashrrev_i32_e32 v2, 31, v1
	s_lshl_b64 s[12:13], s[4:5], 1
	s_add_u32 s26, s20, s12
	s_delay_alu instid0(VALU_DEP_2) | instskip(NEXT) | instid1(VALU_DEP_2)
	v_ashrrev_i32_e32 v4, 31, v3
	v_lshlrev_b64 v[1:2], 2, v[1:2]
	s_addc_u32 s27, s21, s13
	s_lshl_b32 s4, s14, 4
	s_delay_alu instid0(VALU_DEP_2) | instskip(SKIP_1) | instid1(VALU_DEP_2)
	v_lshlrev_b64 v[3:4], 2, v[3:4]
	s_ashr_i32 s5, s4, 31
	v_add_co_u32 v1, vcc_lo, s16, v1
	v_add_co_ci_u32_e32 v2, vcc_lo, s37, v2, vcc_lo
	s_delay_alu instid0(VALU_DEP_3) | instskip(NEXT) | instid1(VALU_DEP_4)
	v_add_co_u32 v3, vcc_lo, s16, v3
	v_add_co_ci_u32_e32 v4, vcc_lo, s37, v4, vcc_lo
	s_lshl_b64 s[4:5], s[4:5], 2
	s_clause 0x1
	global_load_b32 v5, v[1:2], off
	global_load_b32 v6, v[3:4], off
	s_add_u32 s4, s16, s4
	s_addc_u32 s5, s37, s5
	s_or_b32 s6, s35, 16
	v_lshlrev_b32_e32 v3, 4, v0
	s_ashr_i32 s7, s6, 4
	s_cmp_lt_i32 s6, s30
	s_cselect_b32 s6, s7, s3
	s_delay_alu instid0(SALU_CYCLE_1) | instskip(NEXT) | instid1(SALU_CYCLE_1)
	s_ashr_i32 s7, s6, 31
	s_lshl_b64 s[6:7], s[6:7], 2
	s_delay_alu instid0(SALU_CYCLE_1) | instskip(SKIP_2) | instid1(SALU_CYCLE_1)
	s_add_u32 s6, s16, s6
	s_addc_u32 s7, s37, s7
	s_or_b32 s8, s35, 32
	s_ashr_i32 s9, s8, 4
	s_cmp_lt_i32 s8, s30
	s_cselect_b32 s8, s9, s3
	s_delay_alu instid0(SALU_CYCLE_1) | instskip(NEXT) | instid1(SALU_CYCLE_1)
	s_ashr_i32 s9, s8, 31
	s_lshl_b64 s[8:9], s[8:9], 2
	s_delay_alu instid0(SALU_CYCLE_1) | instskip(SKIP_2) | instid1(SALU_CYCLE_1)
	s_add_u32 s8, s16, s8
	s_addc_u32 s9, s37, s9
	s_or_b32 s10, s35, 48
	;; [unrolled: 10-line block ×4, first 2 shown]
	s_ashr_i32 s18, s15, 4
	s_cmp_lt_i32 s15, s30
	s_cselect_b32 s18, s18, s3
	s_delay_alu instid0(SALU_CYCLE_1) | instskip(NEXT) | instid1(SALU_CYCLE_1)
	s_ashr_i32 s19, s18, 31
	s_lshl_b64 s[18:19], s[18:19], 2
	s_delay_alu instid0(SALU_CYCLE_1)
	s_add_u32 s24, s16, s18
	s_addc_u32 s25, s37, s19
	s_clause 0x5
	s_load_b32 s38, s[4:5], 0x0
	s_load_b32 s29, s[6:7], 0x0
	;; [unrolled: 1-line block ×6, first 2 shown]
	s_waitcnt vmcnt(1)
	v_mad_i64_i32 v[1:2], null, v5, s17, 0
	v_and_b32_e32 v5, 0xf0, v3
	s_waitcnt vmcnt(0)
	v_mad_i64_i32 v[3:4], null, v6, s17, 0
	s_delay_alu instid0(VALU_DEP_2) | instskip(NEXT) | instid1(VALU_DEP_4)
	v_add_co_u32 v5, s4, s26, v5
	v_lshlrev_b64 v[1:2], 1, v[1:2]
	v_add_co_ci_u32_e64 v6, null, s27, 0, s4
	s_delay_alu instid0(VALU_DEP_4) | instskip(SKIP_1) | instid1(VALU_DEP_3)
	v_lshlrev_b64 v[3:4], 1, v[3:4]
	s_or_b32 s4, s35, 0x60
	v_add_co_u32 v121, vcc_lo, v5, v1
	s_delay_alu instid0(VALU_DEP_3) | instskip(NEXT) | instid1(VALU_DEP_3)
	v_add_co_ci_u32_e32 v122, vcc_lo, v6, v2, vcc_lo
	v_add_co_u32 v123, vcc_lo, v5, v3
	s_delay_alu instid0(VALU_DEP_4)
	v_add_co_ci_u32_e32 v124, vcc_lo, v6, v4, vcc_lo
	s_clause 0x1b
	global_load_b128 v[89:92], v[121:122], off
	global_load_b128 v[93:96], v[121:122], off offset:256
	global_load_b128 v[97:100], v[123:124], off
	global_load_b128 v[101:104], v[123:124], off offset:256
	global_load_b128 v[81:84], v[121:122], off offset:512
	;; [unrolled: 1-line block ×25, first 2 shown]
	ds_load_b128 v[105:108], v153
	ds_load_b128 v[109:112], v153 offset:1024
	ds_load_b128 v[113:116], v153 offset:2048
	;; [unrolled: 1-line block ×9, first 2 shown]
	s_clause 0x3
	global_load_b128 v[186:189], v[121:122], off offset:3584
	global_load_b128 v[190:193], v[121:122], off offset:3840
	global_load_b128 v[194:197], v[123:124], off offset:3584
	global_load_b128 v[198:201], v[123:124], off offset:3840
	s_ashr_i32 s5, s4, 4
	s_cmp_lt_i32 s4, s30
	ds_load_b128 v[202:205], v153 offset:10240
	ds_load_b128 v[206:209], v153 offset:11264
	s_cselect_b32 s4, s5, s3
	ds_load_b128 v[210:213], v153 offset:12288
	ds_load_b128 v[214:217], v153 offset:13312
	s_ashr_i32 s5, s4, 31
	s_delay_alu instid0(SALU_CYCLE_1) | instskip(NEXT) | instid1(SALU_CYCLE_1)
	s_lshl_b64 s[4:5], s[4:5], 2
	s_add_u32 s20, s16, s4
	s_addc_u32 s21, s37, s5
	s_or_b32 s4, s35, 0x70
	s_load_b32 s45, s[20:21], 0x0
	s_ashr_i32 s5, s4, 4
	s_cmp_lt_i32 s4, s30
	s_mov_b32 s4, 0
	s_cselect_b32 s6, s5, s3
	s_mov_b32 s5, s4
	s_ashr_i32 s7, s6, 31
	s_mov_b32 s9, s4
	s_lshl_b64 s[6:7], s[6:7], 2
	s_delay_alu instid0(SALU_CYCLE_1)
	s_add_u32 s24, s16, s6
	s_addc_u32 s25, s37, s7
	s_or_b32 s7, s35, 0x80
	s_load_b32 s46, s[24:25], 0x0
	s_ashr_i32 s8, s7, 4
	s_cmp_lt_i32 s7, s30
	s_mov_b32 s6, s4
	s_cselect_b32 s10, s8, s3
	s_mov_b32 s7, s4
	s_ashr_i32 s11, s10, 31
	s_mov_b32 s8, s4
	s_lshl_b64 s[26:27], s[10:11], 2
	s_mov_b32 s11, s4
	s_add_u32 s26, s16, s26
	s_addc_u32 s27, s37, s27
	s_or_b32 s39, s35, 0x90
	s_mov_b32 s10, s4
	s_ashr_i32 s40, s39, 4
	s_cmp_lt_i32 s39, s30
	v_dual_mov_b32 v136, s11 :: v_dual_mov_b32 v135, s10
	v_dual_mov_b32 v134, s9 :: v_dual_mov_b32 v133, s8
	;; [unrolled: 1-line block ×4, first 2 shown]
	s_cselect_b32 s4, s40, s3
	s_waitcnt lgkmcnt(0)
	s_mul_hi_i32 s7, s29, s17
	s_ashr_i32 s5, s4, 31
	s_mul_hi_i32 s11, s19, s17
	s_lshl_b64 s[4:5], s[4:5], 2
	s_delay_alu instid0(SALU_CYCLE_1)
	s_add_u32 s40, s16, s4
	s_addc_u32 s41, s37, s5
	s_or_b32 s4, s35, 0xa0
	s_load_b32 s41, s[40:41], 0x0
	s_ashr_i32 s5, s4, 4
	s_cmp_lt_i32 s4, s30
	s_mul_hi_i32 s21, s15, s17
	s_cselect_b32 s4, s5, s3
	s_delay_alu instid0(SALU_CYCLE_1) | instskip(NEXT) | instid1(SALU_CYCLE_1)
	s_ashr_i32 s5, s4, 31
	s_lshl_b64 s[4:5], s[4:5], 2
	s_delay_alu instid0(SALU_CYCLE_1)
	s_add_u32 s42, s16, s4
	s_addc_u32 s43, s37, s5
	s_or_b32 s4, s35, 0xb0
	s_mul_hi_i32 s5, s38, s17
	s_ashr_i32 s6, s4, 4
	s_cmp_lt_i32 s4, s30
	s_mul_i32 s4, s38, s17
	s_cselect_b32 s8, s6, s3
	s_mul_i32 s6, s29, s17
	s_ashr_i32 s9, s8, 31
	s_load_b32 s40, s[42:43], 0x0
	s_lshl_b64 s[8:9], s[8:9], 2
	s_waitcnt lgkmcnt(0)
	s_mul_hi_i32 s43, s41, s17
	s_add_u32 s38, s16, s8
	s_addc_u32 s39, s37, s9
	s_or_b32 s8, s35, 0xc0
	s_mul_hi_i32 s9, s28, s17
	s_ashr_i32 s10, s8, 4
	s_cmp_lt_i32 s8, s30
	s_mul_i32 s8, s28, s17
	s_cselect_b32 s28, s10, s3
	s_mul_i32 s10, s19, s17
	s_ashr_i32 s29, s28, 31
	s_mul_hi_i32 s19, s18, s17
	s_lshl_b64 s[28:29], s[28:29], 2
	s_mul_i32 s18, s18, s17
	s_add_u32 s28, s16, s28
	s_addc_u32 s29, s37, s29
	s_or_b32 s44, s35, 0xd0
	s_delay_alu instid0(SALU_CYCLE_1)
	s_ashr_i32 s20, s44, 4
	s_cmp_lt_i32 s44, s30
	s_load_b32 s44, s[26:27], 0x0
	s_cselect_b32 s24, s20, s3
	s_mul_i32 s20, s15, s17
	s_ashr_i32 s25, s24, 31
	s_mul_hi_i32 s27, s46, s17
	s_lshl_b64 s[24:25], s[24:25], 2
	s_mul_i32 s26, s46, s17
	s_add_u32 s24, s16, s24
	s_addc_u32 s25, s37, s25
	s_or_b32 s42, s35, 0xe0
	s_clause 0x2
	s_load_b32 s39, s[38:39], 0x0
	s_load_b32 s38, s[28:29], 0x0
	;; [unrolled: 1-line block ×3, first 2 shown]
	s_ashr_i32 s47, s42, 4
	s_cmp_lt_i32 s42, s30
	s_mul_hi_i32 s25, s45, s17
	s_mul_i32 s24, s45, s17
	s_mul_i32 s42, s41, s17
	s_mul_hi_i32 s41, s40, s17
	s_mul_i32 s40, s40, s17
	s_waitcnt lgkmcnt(0)
	s_mul_hi_i32 s29, s44, s17
	s_mul_i32 s28, s44, s17
	s_cselect_b32 s44, s47, s3
	s_delay_alu instid0(SALU_CYCLE_1) | instskip(NEXT) | instid1(SALU_CYCLE_1)
	s_ashr_i32 s45, s44, 31
	s_lshl_b64 s[44:45], s[44:45], 2
	s_delay_alu instid0(SALU_CYCLE_1)
	s_add_u32 s44, s16, s44
	s_addc_u32 s45, s37, s45
	s_or_b32 s46, s35, 0xf0
	s_mul_hi_i32 s51, s15, s17
	s_ashr_i32 s48, s46, 4
	s_cmp_lt_i32 s46, s30
	s_mul_i32 s50, s15, s17
	s_cselect_b32 s48, s48, s3
	s_mul_hi_i32 s47, s39, s17
	s_ashr_i32 s49, s48, 31
	s_mul_i32 s46, s39, s17
	s_lshl_b64 s[48:49], s[48:49], 2
	s_mul_hi_i32 s39, s38, s17
	s_add_u32 s48, s16, s48
	s_addc_u32 s49, s37, s49
	s_add_u32 s3, s22, s12
	s_addc_u32 s15, s23, s13
	s_lshl_b64 s[4:5], s[4:5], 1
	s_lshl_b64 s[6:7], s[6:7], 1
	;; [unrolled: 1-line block ×12, first 2 shown]
	s_mul_i32 s38, s38, s17
	s_delay_alu instid0(SALU_CYCLE_1)
	s_lshl_b64 s[38:39], s[38:39], 1
	s_waitcnt vmcnt(30)
	v_wmma_f32_16x16x16_f16 v[137:144], v[89:96], v[105:112], v[129:136]
	v_lshl_or_b32 v89, v152, 9, v125
	s_waitcnt vmcnt(28)
	v_wmma_f32_16x16x16_f16 v[129:136], v[97:104], v[105:112], v[129:136]
	s_waitcnt vmcnt(26)
	v_wmma_f32_16x16x16_f16 v[137:144], v[81:88], v[113:120], v[137:144]
	v_add_co_u32 v228, s3, s3, v89
	s_delay_alu instid0(VALU_DEP_1) | instskip(SKIP_2) | instid1(VALU_DEP_3)
	v_add_co_ci_u32_e64 v229, null, s15, 0, s3
	s_waitcnt vmcnt(24)
	v_wmma_f32_16x16x16_f16 v[129:136], v[73:80], v[113:120], v[129:136]
	v_add_co_u32 v89, vcc_lo, v228, s4
	s_delay_alu instid0(VALU_DEP_3)
	v_add_co_ci_u32_e32 v90, vcc_lo, s5, v229, vcc_lo
	v_add_co_u32 v81, vcc_lo, v228, s6
	v_add_co_ci_u32_e32 v82, vcc_lo, s7, v229, vcc_lo
	v_add_co_u32 v83, vcc_lo, v228, s8
	;; [unrolled: 2-line block ×7, first 2 shown]
	v_add_co_ci_u32_e32 v219, vcc_lo, s23, v229, vcc_lo
	s_clause 0x1
	s_load_b32 s3, s[44:45], 0x0
	s_load_b32 s15, s[48:49], 0x0
	v_add_co_u32 v220, vcc_lo, v228, s24
	v_add_co_ci_u32_e32 v221, vcc_lo, s25, v229, vcc_lo
	v_add_co_u32 v222, vcc_lo, v228, s26
	s_waitcnt vmcnt(22)
	v_wmma_f32_16x16x16_f16 v[137:144], v[65:72], v[162:169], v[137:144]
	v_add_co_ci_u32_e32 v223, vcc_lo, s27, v229, vcc_lo
	v_add_co_u32 v224, vcc_lo, v228, s28
	s_waitcnt vmcnt(20)
	v_wmma_f32_16x16x16_f16 v[129:136], v[57:64], v[162:169], v[129:136]
	;; [unrolled: 4-line block ×3, first 2 shown]
	v_add_co_ci_u32_e32 v227, vcc_lo, s41, v229, vcc_lo
	s_waitcnt vmcnt(16)
	v_wmma_f32_16x16x16_f16 v[129:136], v[41:48], v[170:177], v[129:136]
	v_add_co_u32 v41, vcc_lo, v228, s38
	s_waitcnt vmcnt(14)
	v_wmma_f32_16x16x16_f16 v[137:144], v[25:32], v[178:185], v[137:144]
	v_add_co_ci_u32_e32 v42, vcc_lo, s39, v229, vcc_lo
	s_lshl_b64 s[4:5], s[50:51], 1
	s_clause 0x11
	global_load_b128 v[121:124], v[89:90], off
	global_load_b128 v[125:128], v[89:90], off offset:16
	global_load_b128 v[113:116], v[81:82], off
	global_load_b128 v[117:120], v[81:82], off offset:16
	;; [unrolled: 2-line block ×9, first 2 shown]
	s_waitcnt vmcnt(30)
	v_wmma_f32_16x16x16_f16 v[129:136], v[1:8], v[178:185], v[129:136]
	s_clause 0x5
	global_load_b128 v[49:52], v[222:223], off
	global_load_b128 v[53:56], v[222:223], off offset:16
	global_load_b128 v[25:28], v[224:225], off
	global_load_b128 v[29:32], v[224:225], off offset:16
	;; [unrolled: 2-line block ×3, first 2 shown]
	s_waitcnt lgkmcnt(0)
	s_mul_hi_i32 s7, s3, s17
	s_mul_i32 s6, s3, s17
	s_waitcnt vmcnt(34)
	v_wmma_f32_16x16x16_f16 v[137:144], v[9:16], v[202:209], v[137:144]
	s_clause 0x1
	global_load_b128 v[9:12], v[41:42], off
	global_load_b128 v[13:16], v[41:42], off offset:16
	v_add_co_u32 v41, vcc_lo, v228, s4
	v_add_co_ci_u32_e32 v42, vcc_lo, s5, v229, vcc_lo
	s_lshl_b64 s[4:5], s[6:7], 1
	s_mul_hi_i32 s7, s15, s17
	s_mul_i32 s6, s15, s17
	v_add_co_u32 v45, vcc_lo, v228, s4
	v_add_co_ci_u32_e32 v46, vcc_lo, s5, v229, vcc_lo
	s_lshl_b64 s[4:5], s[6:7], 1
	s_waitcnt vmcnt(34)
	v_wmma_f32_16x16x16_f16 v[129:136], v[33:40], v[202:209], v[129:136]
	v_add_co_u32 v162, vcc_lo, v228, s4
	v_add_co_ci_u32_e32 v163, vcc_lo, s5, v229, vcc_lo
	s_clause 0x3
	global_load_b128 v[33:36], v[41:42], off
	global_load_b128 v[37:40], v[41:42], off offset:16
	global_load_b128 v[41:44], v[45:46], off
	global_load_b128 v[45:48], v[45:46], off offset:16
	s_waitcnt vmcnt(36)
	v_wmma_f32_16x16x16_f16 v[137:144], v[17:24], v[210:217], v[137:144]
	s_clause 0x1
	global_load_b128 v[17:20], v[162:163], off
	global_load_b128 v[21:24], v[162:163], off offset:16
	s_waitcnt vmcnt(36)
	v_wmma_f32_16x16x16_f16 v[129:136], v[154:161], v[210:217], v[129:136]
	ds_load_b128 v[154:157], v153 offset:14336
	ds_load_b128 v[158:161], v153 offset:15360
	v_and_b32_e32 v162, 0xe0, v0
	v_mbcnt_lo_u32_b32 v163, -1, 0
	s_waitcnt vmcnt(0) lgkmcnt(0)
	s_barrier
	buffer_gl0_inv
	v_add_nc_u32_e32 v162, s35, v162
	v_xor_b32_e32 v153, 16, v163
	s_delay_alu instid0(VALU_DEP_2) | instskip(NEXT) | instid1(VALU_DEP_2)
	v_or_b32_e32 v162, v162, v149
	v_cmp_gt_i32_e32 vcc_lo, 32, v153
	s_delay_alu instid0(VALU_DEP_2)
	v_or_b32_e32 v164, 4, v162
	v_or_b32_e32 v165, 6, v162
	v_or_b32_e32 v166, 8, v162
	v_or_b32_e32 v167, 10, v162
	v_wmma_f32_16x16x16_f16 v[137:144], v[186:193], v[154:161], v[137:144]
	v_wmma_f32_16x16x16_f16 v[129:136], v[194:201], v[154:161], v[129:136]
	v_cndmask_b32_e32 v153, v163, v153, vcc_lo
	v_or_b32_e32 v163, 2, v162
	v_cmp_gt_i32_e32 vcc_lo, s30, v162
	v_mul_f32_e32 v160, s36, v138
	v_dual_mul_f32 v178, s36, v136 :: v_dual_mul_f32 v161, s36, v137
	s_delay_alu instid0(VALU_DEP_4) | instskip(SKIP_2) | instid1(VALU_DEP_4)
	v_cmp_gt_i32_e64 s3, s30, v163
	v_dual_mul_f32 v158, s36, v140 :: v_dual_mul_f32 v159, s36, v139
	v_mul_f32_e32 v184, s36, v130
	v_cndmask_b32_e32 v161, 0xff7fffff, v161, vcc_lo
	s_delay_alu instid0(VALU_DEP_4)
	v_cndmask_b32_e64 v160, 0xff7fffff, v160, s3
	v_cmp_gt_i32_e64 s4, s30, v164
	v_cmp_gt_i32_e64 s5, s30, v165
	v_or_b32_e32 v168, 12, v162
	v_or_b32_e32 v169, 14, v162
	v_dual_mul_f32 v156, s36, v142 :: v_dual_mul_f32 v157, s36, v141
	v_mul_f32_e32 v182, s36, v132
	v_cndmask_b32_e64 v159, 0xff7fffff, v159, s4
	v_cndmask_b32_e64 v158, 0xff7fffff, v158, s5
	v_max3_f32 v160, v161, 0xff7fffff, v160
	v_cmp_gt_i32_e64 s6, s30, v166
	v_cmp_gt_i32_e64 s7, s30, v167
	v_or_b32_e32 v170, 16, v162
	v_or_b32_e32 v171, 18, v162
	v_dual_mul_f32 v154, s36, v144 :: v_dual_mul_f32 v155, s36, v143
	v_mul_f32_e32 v180, s36, v134
	v_cndmask_b32_e64 v157, 0xff7fffff, v157, s6
	v_cndmask_b32_e64 v156, 0xff7fffff, v156, s7
	v_max3_f32 v158, v160, v159, v158
	v_cmp_gt_i32_e64 s8, s30, v168
	v_cmp_gt_i32_e64 s9, s30, v169
	v_or_b32_e32 v172, 20, v162
	v_or_b32_e32 v173, 22, v162
	v_mul_f32_e32 v185, s36, v129
	v_cndmask_b32_e64 v155, 0xff7fffff, v155, s8
	v_cndmask_b32_e64 v154, 0xff7fffff, v154, s9
	v_max3_f32 v156, v158, v157, v156
	v_cmp_gt_i32_e64 s10, s30, v170
	v_cmp_gt_i32_e64 s11, s30, v171
	v_or_b32_e32 v174, 24, v162
	v_or_b32_e32 v175, 26, v162
	;; [unrolled: 8-line block ×3, first 2 shown]
	v_mul_f32_e32 v181, s36, v133
	v_cndmask_b32_e64 v155, 0xff7fffff, v183, s12
	v_cndmask_b32_e64 v156, 0xff7fffff, v182, s13
	v_max3_f32 v154, v154, v157, v158
	v_cmp_gt_i32_e64 s15, s30, v174
	v_cmp_gt_i32_e64 s16, s30, v175
	v_mul_f32_e32 v179, s36, v135
	v_cmp_gt_i32_e64 s17, s30, v176
	v_max3_f32 v154, v154, v155, v156
	v_cndmask_b32_e64 v157, 0xff7fffff, v181, s15
	v_cndmask_b32_e64 v158, 0xff7fffff, v180, s16
	v_cmp_gt_i32_e64 s18, s30, v177
	v_cndmask_b32_e64 v155, 0xff7fffff, v179, s17
	v_lshlrev_b32_e32 v163, 2, v153
	s_delay_alu instid0(VALU_DEP_4) | instskip(NEXT) | instid1(VALU_DEP_4)
	v_max3_f32 v154, v154, v157, v158
	v_cndmask_b32_e64 v156, 0xff7fffff, v178, s18
	s_delay_alu instid0(VALU_DEP_1) | instskip(SKIP_3) | instid1(VALU_DEP_1)
	v_max3_f32 v153, v154, v155, v156
	ds_bpermute_b32 v154, v163, v153
	s_waitcnt lgkmcnt(0)
	v_max_f32_e32 v154, v154, v154
	v_max_f32_e32 v162, v153, v154
	s_delay_alu instid0(VALU_DEP_1) | instskip(SKIP_4) | instid1(VALU_DEP_4)
	v_fma_f32 v137, s36, v137, -v162
	v_fma_f32 v138, s36, v138, -v162
	v_fma_f32 v132, s36, v132, -v162
	v_fma_f32 v139, s36, v139, -v162
	v_fma_f32 v140, s36, v140, -v162
	v_dual_mul_f32 v137, 0x3fb8aa3b, v137 :: v_dual_mul_f32 v138, 0x3fb8aa3b, v138
	s_delay_alu instid0(VALU_DEP_3) | instskip(SKIP_1) | instid1(VALU_DEP_3)
	v_dual_mul_f32 v132, 0x3fb8aa3b, v132 :: v_dual_mul_f32 v139, 0x3fb8aa3b, v139
	v_fma_f32 v141, s36, v141, -v162
	v_exp_f32_e32 v137, v137
	s_delay_alu instid0(VALU_DEP_3)
	v_exp_f32_e32 v138, v138
	v_mul_f32_e32 v140, 0x3fb8aa3b, v140
	v_exp_f32_e32 v153, v139
	v_fma_f32 v134, s36, v134, -v162
	v_exp_f32_e32 v132, v132
	v_mul_f32_e32 v141, 0x3fb8aa3b, v141
	v_exp_f32_e32 v140, v140
	v_fma_f32 v143, s36, v143, -v162
	v_dual_mul_f32 v134, 0x3fb8aa3b, v134 :: v_dual_cndmask_b32 v139, 0, v137
	v_fma_f32 v137, s36, v142, -v162
	v_cndmask_b32_e64 v138, 0, v138, s3
	v_exp_f32_e32 v154, v141
	v_cndmask_b32_e64 v141, 0, v153, s4
	v_add_f32_e32 v142, 0, v139
	v_cndmask_b32_e64 v156, 0, v132, s13
	v_fma_f32 v132, s36, v136, -v162
	v_mul_f32_e32 v137, 0x3fb8aa3b, v137
	v_fma_f32 v144, s36, v144, -v162
	v_dual_add_f32 v142, v142, v138 :: v_dual_mul_f32 v143, 0x3fb8aa3b, v143
	s_delay_alu instid0(VALU_DEP_4) | instskip(NEXT) | instid1(VALU_DEP_4)
	v_mul_f32_e32 v132, 0x3fb8aa3b, v132
	v_exp_f32_e32 v137, v137
	v_cndmask_b32_e64 v140, 0, v140, s5
	s_delay_alu instid0(VALU_DEP_3)
	v_add_f32_e32 v142, v142, v141
	v_fma_f32 v129, s36, v129, -v162
	v_mul_f32_e32 v144, 0x3fb8aa3b, v144
	v_exp_f32_e32 v153, v143
	v_cndmask_b32_e64 v143, 0, v154, s6
	v_add_f32_e32 v154, v142, v140
	v_fma_f32 v130, s36, v130, -v162
	v_mul_f32_e32 v129, 0x3fb8aa3b, v129
	v_exp_f32_e32 v144, v144
	v_cndmask_b32_e64 v142, 0, v137, s7
	;; [unrolled: 5-line block ×3, first 2 shown]
	v_add_f32_e32 v137, v137, v142
	v_mul_f32_e32 v131, 0x3fb8aa3b, v131
	v_exp_f32_e32 v130, v130
	v_cndmask_b32_e64 v144, 0, v144, s9
	v_fma_f32 v133, s36, v133, -v162
	v_add_f32_e32 v137, v137, v153
	v_exp_f32_e32 v131, v131
	s_mov_b32 s3, exec_lo
	v_cndmask_b32_e64 v155, 0, v129, s10
	v_mul_f32_e32 v133, 0x3fb8aa3b, v133
	v_add_f32_e32 v129, v137, v144
	s_delay_alu instid0(TRANS32_DEP_2) | instskip(SKIP_1) | instid1(VALU_DEP_4)
	v_cndmask_b32_e64 v154, 0, v130, s11
	v_fma_f32 v130, s36, v135, -v162
	v_exp_f32_e32 v133, v133
	s_delay_alu instid0(VALU_DEP_3) | instskip(NEXT) | instid1(TRANS32_DEP_2)
	v_add_f32_e32 v129, v129, v155
	v_cndmask_b32_e64 v157, 0, v131, s12
	v_exp_f32_e32 v131, v134
	v_mul_f32_e32 v130, 0x3fb8aa3b, v130
	s_delay_alu instid0(VALU_DEP_3) | instskip(NEXT) | instid1(VALU_DEP_2)
	v_add_f32_e32 v129, v129, v154
	v_exp_f32_e32 v130, v130
	s_delay_alu instid0(TRANS32_DEP_3) | instskip(NEXT) | instid1(VALU_DEP_2)
	v_cndmask_b32_e64 v159, 0, v133, s15
	v_add_f32_e32 v129, v129, v157
	s_waitcnt_depctr 0xfff
	v_cndmask_b32_e64 v158, 0, v131, s16
	v_exp_f32_e32 v131, v132
	v_add_f32_e32 v129, v129, v156
	v_cndmask_b32_e64 v161, 0, v130, s17
	s_delay_alu instid0(VALU_DEP_2) | instskip(SKIP_3) | instid1(VALU_DEP_1)
	v_add_f32_e32 v129, v129, v159
	s_waitcnt_depctr 0xfff
	v_cndmask_b32_e64 v160, 0, v131, s18
	v_add_f32_e32 v129, v129, v158
	v_add_f32_e32 v129, v129, v161
	s_delay_alu instid0(VALU_DEP_1)
	v_add_f32_e32 v129, v129, v160
	ds_bpermute_b32 v130, v163, v129
	v_cmpx_gt_u32_e32 16, v151
	s_cbranch_execz .LBB247_12
; %bb.11:
	v_mul_u32_u24_e32 v131, 0x44, v152
	s_delay_alu instid0(VALU_DEP_1) | instskip(SKIP_1) | instid1(VALU_DEP_1)
	v_lshl_add_u32 v131, v150, 2, v131
	s_waitcnt lgkmcnt(0)
	v_dual_add_f32 v129, v129, v130 :: v_dual_add_nc_u32 v130, 0x4000, v131
	ds_store_2addr_b32 v130, v162, v129 offset1:136
.LBB247_12:
	s_or_b32 exec_lo, exec_lo, s3
	v_lshlrev_b32_e32 v129, 2, v150
	s_load_b32 s35, s[0:1], 0x94
	s_waitcnt lgkmcnt(0)
	s_barrier
	buffer_gl0_inv
	v_add_nc_u32_e32 v135, 0x4000, v129
	v_cmp_eq_u32_e32 vcc_lo, 1, v152
	v_cmp_eq_u32_e64 s3, 2, v152
	v_cmp_eq_u32_e64 s4, 3, v152
	;; [unrolled: 1-line block ×3, first 2 shown]
	ds_load_2addr_b32 v[129:130], v135 offset1:17
	ds_load_2addr_b32 v[131:132], v135 offset0:34 offset1:51
	ds_load_2addr_b32 v[133:134], v135 offset0:68 offset1:85
	;; [unrolled: 1-line block ×4, first 2 shown]
	v_cmp_eq_u32_e64 s6, 5, v152
	v_cmp_eq_u32_e64 s7, 7, v152
	s_waitcnt lgkmcnt(4)
	v_max3_f32 v136, v129, 0xff7fffff, v130
	s_waitcnt lgkmcnt(3)
	s_delay_alu instid0(VALU_DEP_1) | instskip(SKIP_1) | instid1(VALU_DEP_1)
	v_max3_f32 v136, v136, v131, v132
	s_waitcnt lgkmcnt(2)
	v_max3_f32 v136, v136, v133, v134
	s_waitcnt lgkmcnt(1)
	s_delay_alu instid0(VALU_DEP_1) | instskip(NEXT) | instid1(VALU_DEP_1)
	v_max3_f32 v136, v136, v162, v163
	v_sub_f32_e32 v166, v132, v136
	v_sub_f32_e32 v129, v129, v136
	;; [unrolled: 1-line block ×4, first 2 shown]
	s_delay_alu instid0(VALU_DEP_4) | instskip(NEXT) | instid1(VALU_DEP_4)
	v_dual_sub_f32 v133, v133, v136 :: v_dual_mul_f32 v166, 0x3fb8aa3b, v166
	v_mul_f32_e32 v151, 0x3fb8aa3b, v129
	s_delay_alu instid0(VALU_DEP_3) | instskip(NEXT) | instid1(VALU_DEP_3)
	v_mul_f32_e32 v167, 0x3fb8aa3b, v131
	v_mul_f32_e32 v169, 0x3fb8aa3b, v133
	s_delay_alu instid0(VALU_DEP_4) | instskip(NEXT) | instid1(VALU_DEP_3)
	v_exp_f32_e32 v166, v166
	v_exp_f32_e32 v151, v151
	v_mul_f32_e32 v137, 0x3fb8aa3b, v137
	v_exp_f32_e32 v167, v167
	s_delay_alu instid0(VALU_DEP_1) | instskip(SKIP_1) | instid1(TRANS32_DEP_3)
	v_exp_f32_e32 v168, v137
	s_waitcnt lgkmcnt(0)
	v_fma_f32 v137, v151, v164, 0
	v_sub_f32_e32 v164, v134, v136
	ds_load_2addr_b32 v[129:130], v135 offset0:170 offset1:187
	ds_load_2addr_b32 v[131:132], v135 offset0:204 offset1:221
	;; [unrolled: 1-line block ×3, first 2 shown]
	v_sub_f32_e32 v135, v162, v136
	v_dual_fmac_f32 v137, v168, v165 :: v_dual_mul_f32 v162, 0x3fb8aa3b, v164
	v_exp_f32_e32 v164, v169
	s_waitcnt lgkmcnt(0)
	s_delay_alu instid0(VALU_DEP_2)
	v_mul_f32_e32 v135, 0x3fb8aa3b, v135
	s_barrier
	v_exp_f32_e32 v162, v162
	buffer_gl0_inv
	v_exp_f32_e32 v135, v135
	v_fmac_f32_e32 v137, v167, v129
	v_sub_f32_e32 v129, v163, v136
	s_delay_alu instid0(VALU_DEP_2) | instskip(NEXT) | instid1(VALU_DEP_2)
	v_dual_fmac_f32 v137, v166, v130 :: v_dual_cndmask_b32 v130, v151, v168
	v_mul_f32_e32 v129, 0x3fb8aa3b, v129
	s_delay_alu instid0(VALU_DEP_2) | instskip(NEXT) | instid1(VALU_DEP_2)
	v_fmac_f32_e32 v137, v164, v131
	v_exp_f32_e32 v163, v129
	s_delay_alu instid0(VALU_DEP_1)
	v_fmac_f32_e32 v137, v162, v132
	s_delay_alu instid0(TRANS32_DEP_2) | instid1(VALU_DEP_1)
	v_fmac_f32_e32 v137, v135, v133
	v_lshlrev_b32_e32 v133, 6, v150
	s_waitcnt_depctr 0xfff
	v_fmac_f32_e32 v137, v163, v134
	v_lshl_or_b32 v134, v152, 11, v133
	s_delay_alu instid0(VALU_DEP_2) | instskip(NEXT) | instid1(VALU_DEP_1)
	v_add_f32_e32 v165, 0x358637bd, v137
	v_div_scale_f32 v169, null, v165, v165, 1.0
	v_div_scale_f32 v151, vcc_lo, 1.0, v165, 1.0
	s_delay_alu instid0(VALU_DEP_2) | instskip(SKIP_2) | instid1(VALU_DEP_1)
	v_rcp_f32_e32 v170, v169
	s_waitcnt_depctr 0xfff
	v_fma_f32 v129, -v169, v170, 1.0
	v_fmac_f32_e32 v170, v129, v170
	v_cndmask_b32_e64 v129, v130, v167, s3
	v_cmp_eq_u32_e64 s3, 6, v152
	s_delay_alu instid0(VALU_DEP_3) | instskip(NEXT) | instid1(VALU_DEP_3)
	v_mul_f32_e32 v167, v151, v170
	v_cndmask_b32_e64 v130, v129, v166, s4
	v_lshlrev_b32_e32 v129, 2, v149
	s_delay_alu instid0(VALU_DEP_3) | instskip(NEXT) | instid1(VALU_DEP_3)
	v_fma_f32 v131, -v169, v167, v151
	v_cndmask_b32_e64 v150, v130, v164, s5
	s_delay_alu instid0(VALU_DEP_3)
	v_or_b32_e32 v130, 1, v129
	v_or_b32_e32 v132, 2, v129
	v_cmp_eq_u32_e64 s4, 1, v129
	v_fmac_f32_e32 v167, v131, v170
	v_cndmask_b32_e64 v150, v150, v162, s6
	v_or_b32_e32 v131, 3, v129
	v_cmp_eq_u32_e64 s9, 1, v130
	v_cmp_eq_u32_e64 s10, 1, v132
	v_fma_f32 v151, -v169, v167, v151
	v_cndmask_b32_e64 v135, v150, v135, s3
	v_cmp_eq_u32_e64 s11, 1, v131
	v_cmp_eq_u32_e64 s5, 2, v129
	v_cmp_eq_u32_e64 s12, 2, v130
	v_div_fmas_f32 v150, v151, v170, v167
	v_cndmask_b32_e64 v151, v135, v163, s7
	v_lshl_or_b32 v135, v149, 4, v134
	v_cmp_eq_u32_e64 s15, 2, v132
	v_cmp_eq_u32_e64 s16, 2, v131
	v_div_fixup_f32 v150, v150, v165, 1.0
	v_cmp_eq_u32_e32 vcc_lo, 3, v129
	v_cmp_eq_u32_e64 s13, 3, v130
	v_cmp_eq_u32_e64 s18, 3, v131
	v_cmp_eq_u32_e64 s3, 4, v129
	v_mul_f32_e32 v166, v151, v150
	v_cmp_eq_u32_e64 s17, 3, v132
	v_cmp_eq_u32_e64 s19, 4, v130
	;; [unrolled: 1-line block ×4, first 2 shown]
	v_fma_mixlo_f16 v149, v166, v139, 0
	v_fma_mixlo_f16 v150, v166, v141, 0
	;; [unrolled: 1-line block ×8, first 2 shown]
	v_fma_mixhi_f16 v149, v166, v138, 0
	v_fma_mixhi_f16 v150, v166, v140, 0
	;; [unrolled: 1-line block ×8, first 2 shown]
	ds_store_b128 v135, v[149:152]
	ds_store_b128 v135, v[162:165] offset:1024
	s_waitcnt lgkmcnt(0)
	s_barrier
	buffer_gl0_inv
	ds_load_b128 v[138:141], v134
	ds_load_b128 v[149:152], v134 offset:16
	ds_load_b128 v[153:156], v134 offset:1024
	;; [unrolled: 1-line block ×3, first 2 shown]
	v_cmp_eq_u32_e64 s20, 5, v130
	v_cmp_eq_u32_e64 s21, 4, v132
	;; [unrolled: 1-line block ×12, first 2 shown]
	s_waitcnt lgkmcnt(3)
	v_lshrrev_b32_e32 v142, 16, v138
	s_waitcnt lgkmcnt(2)
	v_lshrrev_b32_e32 v162, 16, v149
	;; [unrolled: 2-line block ×4, first 2 shown]
	v_lshrrev_b32_e32 v143, 16, v139
	v_cndmask_b32_e64 v174, v138, v142, s4
	v_cndmask_b32_e64 v175, v149, v162, s4
	;; [unrolled: 1-line block ×7, first 2 shown]
	v_lshrrev_b32_e32 v163, 16, v150
	v_cndmask_b32_e64 v179, v149, v162, s10
	v_cndmask_b32_e64 v149, v153, v166, s4
	;; [unrolled: 1-line block ×16, first 2 shown]
	v_lshrrev_b32_e32 v167, 16, v154
	v_lshrrev_b32_e32 v171, 16, v158
	v_cndmask_b32_e64 v177, v179, v150, s15
	v_cndmask_b32_e64 v142, v149, v154, s5
	;; [unrolled: 1-line block ×7, first 2 shown]
	v_cndmask_b32_e32 v157, v166, v143, vcc_lo
	v_cndmask_b32_e32 v166, v170, v163, vcc_lo
	v_cndmask_b32_e64 v170, v174, v143, s13
	v_cndmask_b32_e64 v174, v175, v163, s13
	;; [unrolled: 1-line block ×4, first 2 shown]
	v_lshrrev_b32_e32 v144, 16, v140
	v_lshrrev_b32_e32 v164, 16, v151
	v_cndmask_b32_e64 v175, v176, v143, s17
	v_cndmask_b32_e64 v176, v177, v163, s17
	v_cndmask_b32_e32 v142, v142, v167, vcc_lo
	v_cndmask_b32_e32 v143, v149, v171, vcc_lo
	v_cndmask_b32_e64 v149, v150, v167, s13
	v_cndmask_b32_e64 v150, v157, v140, s3
	;; [unrolled: 1-line block ×7, first 2 shown]
	v_lshrrev_b32_e32 v168, 16, v155
	v_cndmask_b32_e64 v170, v175, v140, s21
	v_cndmask_b32_e64 v174, v176, v151, s21
	;; [unrolled: 1-line block ×11, first 2 shown]
	v_lshrrev_b32_e32 v161, 16, v141
	v_lshrrev_b32_e32 v165, 16, v152
	v_cndmask_b32_e64 v163, v170, v144, s23
	v_cndmask_b32_e64 v166, v174, v164, s23
	;; [unrolled: 1-line block ×9, first 2 shown]
	v_lshrrev_b32_e32 v169, 16, v156
	v_cndmask_b32_e64 v140, v140, v168, s6
	v_cndmask_b32_e64 v157, v163, v141, s26
	;; [unrolled: 1-line block ×14, first 2 shown]
	v_perm_b32 v141, v139, v138, 0x5040100
	v_perm_b32 v139, v151, v149, 0x5040100
	v_cndmask_b32_e64 v138, v183, v158, s15
	v_cndmask_b32_e64 v149, v181, v158, s12
	;; [unrolled: 1-line block ×3, first 2 shown]
	v_perm_b32 v140, v152, v150, 0x5040100
	v_cndmask_b32_e64 v150, v162, v167, s17
	v_cndmask_b32_e64 v151, v153, v167, s18
	;; [unrolled: 1-line block ×5, first 2 shown]
	v_lshrrev_b32_e32 v172, 16, v159
	v_cndmask_b32_e64 v150, v150, v155, s21
	v_cndmask_b32_e64 v151, v151, v155, s22
	;; [unrolled: 1-line block ×11, first 2 shown]
	v_lshrrev_b32_e32 v173, 16, v160
	v_cndmask_b32_e64 v142, v142, v160, s7
	v_cndmask_b32_e64 v150, v150, v156, s26
	;; [unrolled: 1-line block ×12, first 2 shown]
	v_perm_b32 v138, v144, v143, 0x5040100
	v_perm_b32 v152, v152, v151, 0x5040100
	;; [unrolled: 1-line block ×5, first 2 shown]
	s_lshl_b32 s7, s33, 1
	s_mov_b32 s3, exec_lo
	ds_store_b128 v135, v[138:141]
	ds_store_b128 v135, v[149:152] offset:1024
	v_cmpx_gt_u32_e32 2, v0
	s_cbranch_execz .LBB247_14
; %bb.13:
	v_or_b32_e32 v138, s31, v0
	s_load_b128 s[8:11], s[0:1], 0x58
	s_delay_alu instid0(VALU_DEP_1) | instskip(NEXT) | instid1(VALU_DEP_1)
	v_mad_u64_u32 v[139:140], null, s7, s34, v[138:139]
	v_mad_u64_u32 v[140:141], null, v139, s35, s[14:15]
	s_delay_alu instid0(VALU_DEP_1) | instskip(NEXT) | instid1(VALU_DEP_1)
	v_ashrrev_i32_e32 v141, 31, v140
	v_lshlrev_b64 v[138:139], 2, v[140:141]
	s_waitcnt lgkmcnt(0)
	s_delay_alu instid0(VALU_DEP_1) | instskip(NEXT) | instid1(VALU_DEP_2)
	v_add_co_u32 v140, vcc_lo, s10, v138
	v_add_co_ci_u32_e32 v141, vcc_lo, s11, v139, vcc_lo
	v_add_co_u32 v138, vcc_lo, s8, v138
	v_add_co_ci_u32_e32 v139, vcc_lo, s9, v139, vcc_lo
	global_store_b32 v[140:141], v136, off
	global_store_b32 v[138:139], v137, off
.LBB247_14:
	s_or_b32 exec_lo, exec_lo, s3
	s_waitcnt lgkmcnt(0)
	s_waitcnt_vscnt null, 0x0
	s_barrier
	buffer_gl0_inv
	ds_load_b128 v[149:152], v133
	ds_load_b128 v[153:156], v133 offset:16
	ds_load_b128 v[161:164], v133 offset:1040
	;; [unrolled: 1-line block ×5, first 2 shown]
	v_cmp_eq_u32_e32 vcc_lo, 1, v132
	v_mov_b32_e32 v136, 0
	ds_load_b128 v[177:180], v133 offset:3088
	ds_load_b128 v[173:176], v133 offset:3072
	ds_load_b128 v[185:188], v133 offset:4112
	ds_load_b128 v[181:184], v133 offset:4096
	v_cmp_eq_u32_e64 s3, 1, v129
	v_cmp_eq_u32_e64 s4, 1, v131
	;; [unrolled: 1-line block ×3, first 2 shown]
	v_mov_b32_e32 v137, v136
	v_mov_b32_e32 v138, v136
	;; [unrolled: 1-line block ×7, first 2 shown]
	v_cmp_eq_u32_e64 s6, 2, v129
	s_waitcnt lgkmcnt(8)
	s_delay_alu instid0(VALU_DEP_2)
	v_wmma_f32_16x16x16_f16 v[136:143], v[121:128], v[149:156], v[136:143]
	ds_load_b128 v[125:128], v133 offset:5136
	ds_load_b128 v[121:124], v133 offset:5120
	s_waitcnt lgkmcnt(8)
	v_wmma_f32_16x16x16_f16 v[136:143], v[113:120], v[157:164], v[136:143]
	ds_load_b128 v[117:120], v133 offset:6160
	ds_load_b128 v[113:116], v133 offset:6144
	s_waitcnt lgkmcnt(8)
	;; [unrolled: 4-line block ×11, first 2 shown]
	s_barrier
	buffer_gl0_inv
	v_wmma_f32_16x16x16_f16 v[136:143], v[1:8], v[73:80], v[136:143]
	s_delay_alu instid0(VALU_DEP_1) | instskip(NEXT) | instid1(VALU_DEP_1)
	v_wmma_f32_16x16x16_f16 v[136:143], v[9:16], v[65:72], v[136:143]
	v_wmma_f32_16x16x16_f16 v[136:143], v[33:40], v[57:64], v[136:143]
	s_delay_alu instid0(VALU_DEP_1) | instskip(NEXT) | instid1(VALU_DEP_1)
	v_wmma_f32_16x16x16_f16 v[136:143], v[41:48], v[49:56], v[136:143]
	v_wmma_f32_16x16x16_f16 v[136:143], v[17:24], v[25:32], v[136:143]
	s_delay_alu instid0(VALU_DEP_1) | instskip(NEXT) | instid1(VALU_DEP_2)
	v_cvt_f16_f32_e64 v1, v136
	v_cvt_f16_f32_e64 v2, v137
	s_delay_alu instid0(VALU_DEP_3) | instskip(NEXT) | instid1(VALU_DEP_4)
	v_cvt_f16_f32_e64 v3, v138
	v_cvt_f16_f32_e64 v4, v139
	;; [unrolled: 1-line block ×6, first 2 shown]
	v_pack_b32_f16 v1, v1, v2
	v_pack_b32_f16 v2, v3, v4
	;; [unrolled: 1-line block ×3, first 2 shown]
	s_delay_alu instid0(VALU_DEP_4)
	v_pack_b32_f16 v4, v7, v8
	ds_store_b128 v135, v[1:4]
	s_waitcnt lgkmcnt(0)
	s_barrier
	buffer_gl0_inv
	ds_load_b128 v[1:4], v134
	ds_load_b128 v[5:8], v134 offset:16
	s_waitcnt lgkmcnt(1)
	v_lshrrev_b32_e32 v9, 16, v1
	s_waitcnt lgkmcnt(0)
	v_lshrrev_b32_e32 v13, 16, v5
	v_lshrrev_b32_e32 v10, 16, v2
	;; [unrolled: 1-line block ×4, first 2 shown]
	v_cndmask_b32_e64 v17, v1, v9, s3
	v_cndmask_b32_e64 v18, v5, v13, s3
	;; [unrolled: 1-line block ×3, first 2 shown]
	v_cmp_eq_u32_e64 s3, 2, v130
	v_cndmask_b32_e64 v20, v5, v13, s5
	v_cndmask_b32_e32 v21, v1, v9, vcc_lo
	v_cndmask_b32_e32 v22, v5, v13, vcc_lo
	v_cndmask_b32_e64 v1, v1, v9, s4
	v_cndmask_b32_e64 v5, v5, v13, s4
	v_cmp_eq_u32_e32 vcc_lo, 2, v132
	v_cmp_eq_u32_e64 s4, 2, v131
	v_cndmask_b32_e64 v9, v17, v2, s6
	v_cndmask_b32_e64 v13, v18, v6, s6
	;; [unrolled: 1-line block ×4, first 2 shown]
	v_cndmask_b32_e32 v19, v21, v2, vcc_lo
	v_cmp_eq_u32_e64 s3, 3, v132
	v_cndmask_b32_e32 v20, v22, v6, vcc_lo
	v_cndmask_b32_e64 v1, v1, v2, s4
	v_cmp_eq_u32_e32 vcc_lo, 3, v131
	v_cmp_eq_u32_e64 s5, 3, v129
	v_cndmask_b32_e64 v2, v5, v6, s4
	v_cmp_eq_u32_e64 s4, 3, v130
	v_cmp_eq_u32_e64 s6, 4, v129
	v_cndmask_b32_e32 v1, v1, v10, vcc_lo
	v_cndmask_b32_e64 v5, v9, v10, s5
	v_cndmask_b32_e64 v6, v13, v14, s5
	;; [unrolled: 1-line block ×3, first 2 shown]
	v_cmp_eq_u32_e64 s5, 4, v130
	v_cndmask_b32_e64 v13, v18, v14, s4
	v_cndmask_b32_e64 v17, v19, v10, s3
	;; [unrolled: 1-line block ×3, first 2 shown]
	v_cndmask_b32_e32 v2, v2, v14, vcc_lo
	v_cmp_eq_u32_e32 vcc_lo, 4, v132
	v_cmp_eq_u32_e64 s4, 4, v131
	v_lshrrev_b32_e32 v15, 16, v7
	v_cndmask_b32_e64 v5, v5, v3, s6
	v_cndmask_b32_e64 v6, v6, v7, s6
	v_cndmask_b32_e32 v14, v18, v7, vcc_lo
	v_cndmask_b32_e64 v9, v9, v3, s5
	v_cndmask_b32_e64 v10, v13, v7, s5
	v_cndmask_b32_e32 v13, v17, v3, vcc_lo
	v_cmp_eq_u32_e64 s3, 5, v132
	v_cndmask_b32_e64 v1, v1, v3, s4
	v_cmp_eq_u32_e32 vcc_lo, 5, v131
	v_cmp_eq_u32_e64 s5, 5, v129
	v_cndmask_b32_e64 v2, v2, v7, s4
	v_cmp_eq_u32_e64 s4, 5, v130
	v_cmp_eq_u32_e64 s6, 6, v129
	v_lshrrev_b32_e32 v12, 16, v4
	v_cndmask_b32_e64 v3, v5, v11, s5
	v_cndmask_b32_e64 v5, v6, v15, s5
	;; [unrolled: 1-line block ×3, first 2 shown]
	v_cmp_eq_u32_e64 s5, 6, v130
	v_cndmask_b32_e64 v7, v10, v15, s4
	v_cndmask_b32_e64 v9, v13, v11, s3
	;; [unrolled: 1-line block ×3, first 2 shown]
	v_cndmask_b32_e32 v1, v1, v11, vcc_lo
	v_cndmask_b32_e32 v2, v2, v15, vcc_lo
	v_cmp_eq_u32_e32 vcc_lo, 6, v132
	v_cmp_eq_u32_e64 s3, 6, v131
	v_lshrrev_b32_e32 v16, 16, v8
	v_cndmask_b32_e64 v3, v3, v4, s6
	v_cndmask_b32_e64 v5, v5, v8, s6
	v_cndmask_b32_e32 v9, v9, v4, vcc_lo
	v_cndmask_b32_e64 v6, v6, v4, s5
	v_cndmask_b32_e64 v7, v7, v8, s5
	v_cmp_eq_u32_e64 s4, 7, v132
	v_cndmask_b32_e32 v10, v10, v8, vcc_lo
	v_cndmask_b32_e64 v1, v1, v4, s3
	v_cmp_eq_u32_e32 vcc_lo, 7, v131
	v_cndmask_b32_e64 v2, v2, v8, s3
	v_cmp_eq_u32_e64 s3, 7, v129
	v_cmp_eq_u32_e64 s5, 7, v130
	v_cndmask_b32_e32 v1, v1, v12, vcc_lo
	s_delay_alu instid0(VALU_DEP_4) | instskip(NEXT) | instid1(VALU_DEP_4)
	v_cndmask_b32_e32 v2, v2, v16, vcc_lo
	v_cndmask_b32_e64 v8, v3, v12, s3
	s_delay_alu instid0(VALU_DEP_4)
	v_cndmask_b32_e64 v6, v6, v12, s5
	v_cndmask_b32_e64 v3, v9, v12, s4
	;; [unrolled: 1-line block ×5, first 2 shown]
	v_perm_b32 v4, v2, v1, 0x5040100
	s_delay_alu instid0(VALU_DEP_4) | instskip(NEXT) | instid1(VALU_DEP_4)
	v_perm_b32 v3, v9, v3, 0x5040100
	v_perm_b32 v2, v7, v6, 0x5040100
	s_delay_alu instid0(VALU_DEP_4)
	v_perm_b32 v1, v5, v8, 0x5040100
	ds_store_b128 v135, v[1:4]
	s_waitcnt lgkmcnt(0)
	s_barrier
	buffer_gl0_inv
	s_and_saveexec_b32 s3, s2
	s_cbranch_execz .LBB247_2
; %bb.15:
	s_load_b64 s[0:1], s[0:1], 0x68
	v_lshlrev_b32_e32 v0, 10, v0
	s_lshl_b32 s2, s35, 7
	v_lshlrev_b32_e32 v1, 4, v148
	v_mul_lo_u32 v4, s2, v147
	s_mul_i32 s3, s2, s34
	v_and_b32_e32 v0, 0x3800, v0
	s_mul_i32 s2, s3, s7
	s_delay_alu instid0(SALU_CYCLE_1) | instskip(NEXT) | instid1(VALU_DEP_1)
	s_ashr_i32 s3, s2, 31
	v_or3_b32 v0, v0, v146, v1
	s_lshl_b64 s[2:3], s[2:3], 1
	s_delay_alu instid0(VALU_DEP_3)
	v_ashrrev_i32_e32 v5, 31, v4
	ds_load_b128 v[0:3], v0
	v_lshlrev_b64 v[4:5], 1, v[4:5]
	s_waitcnt lgkmcnt(0)
	s_add_u32 s2, s0, s2
	s_addc_u32 s3, s1, s3
	s_lshl_b32 s0, s14, 7
	s_delay_alu instid0(SALU_CYCLE_1) | instskip(NEXT) | instid1(SALU_CYCLE_1)
	s_ashr_i32 s1, s0, 31
	s_lshl_b64 s[0:1], s[0:1], 1
	s_delay_alu instid0(SALU_CYCLE_1) | instskip(SKIP_3) | instid1(VALU_DEP_2)
	s_add_u32 s0, s2, s0
	s_addc_u32 s1, s3, s1
	v_add_co_u32 v4, vcc_lo, s0, v4
	v_add_co_ci_u32_e32 v5, vcc_lo, s1, v5, vcc_lo
	v_add_co_u32 v4, vcc_lo, v4, v145
	s_delay_alu instid0(VALU_DEP_2)
	v_add_co_ci_u32_e32 v5, vcc_lo, 0, v5, vcc_lo
	global_store_b128 v[4:5], v[0:3], off
	s_nop 0
	s_sendmsg sendmsg(MSG_DEALLOC_VGPRS)
	s_endpgm
	.section	.rodata,"a",@progbits
	.p2align	6, 0x0
	.amdhsa_kernel _Z39paged_attention_ll4mi_QKV_mfma16_kernelIDF16_DF16_LN4vllm18Fp8KVCacheDataTypeE0EhLi16ELi128ELi256ELb0ELi2EL8MFMAType0EEvPKT_PKT0_S8_ifPKiSA_SA_iPKfiiiPfSD_PS3_PT2_iSC_SC_
		.amdhsa_group_segment_fixed_size 17472
		.amdhsa_private_segment_fixed_size 0
		.amdhsa_kernarg_size 400
		.amdhsa_user_sgpr_count 13
		.amdhsa_user_sgpr_dispatch_ptr 0
		.amdhsa_user_sgpr_queue_ptr 0
		.amdhsa_user_sgpr_kernarg_segment_ptr 1
		.amdhsa_user_sgpr_dispatch_id 0
		.amdhsa_user_sgpr_private_segment_size 0
		.amdhsa_wavefront_size32 1
		.amdhsa_uses_dynamic_stack 0
		.amdhsa_enable_private_segment 0
		.amdhsa_system_sgpr_workgroup_id_x 1
		.amdhsa_system_sgpr_workgroup_id_y 1
		.amdhsa_system_sgpr_workgroup_id_z 1
		.amdhsa_system_sgpr_workgroup_info 0
		.amdhsa_system_vgpr_workitem_id 0
		.amdhsa_next_free_vgpr 230
		.amdhsa_next_free_sgpr 52
		.amdhsa_reserve_vcc 1
		.amdhsa_float_round_mode_32 0
		.amdhsa_float_round_mode_16_64 0
		.amdhsa_float_denorm_mode_32 3
		.amdhsa_float_denorm_mode_16_64 3
		.amdhsa_dx10_clamp 1
		.amdhsa_ieee_mode 1
		.amdhsa_fp16_overflow 0
		.amdhsa_workgroup_processor_mode 1
		.amdhsa_memory_ordered 1
		.amdhsa_forward_progress 0
		.amdhsa_shared_vgpr_count 0
		.amdhsa_exception_fp_ieee_invalid_op 0
		.amdhsa_exception_fp_denorm_src 0
		.amdhsa_exception_fp_ieee_div_zero 0
		.amdhsa_exception_fp_ieee_overflow 0
		.amdhsa_exception_fp_ieee_underflow 0
		.amdhsa_exception_fp_ieee_inexact 0
		.amdhsa_exception_int_div_zero 0
	.end_amdhsa_kernel
	.section	.text._Z39paged_attention_ll4mi_QKV_mfma16_kernelIDF16_DF16_LN4vllm18Fp8KVCacheDataTypeE0EhLi16ELi128ELi256ELb0ELi2EL8MFMAType0EEvPKT_PKT0_S8_ifPKiSA_SA_iPKfiiiPfSD_PS3_PT2_iSC_SC_,"axG",@progbits,_Z39paged_attention_ll4mi_QKV_mfma16_kernelIDF16_DF16_LN4vllm18Fp8KVCacheDataTypeE0EhLi16ELi128ELi256ELb0ELi2EL8MFMAType0EEvPKT_PKT0_S8_ifPKiSA_SA_iPKfiiiPfSD_PS3_PT2_iSC_SC_,comdat
.Lfunc_end247:
	.size	_Z39paged_attention_ll4mi_QKV_mfma16_kernelIDF16_DF16_LN4vllm18Fp8KVCacheDataTypeE0EhLi16ELi128ELi256ELb0ELi2EL8MFMAType0EEvPKT_PKT0_S8_ifPKiSA_SA_iPKfiiiPfSD_PS3_PT2_iSC_SC_, .Lfunc_end247-_Z39paged_attention_ll4mi_QKV_mfma16_kernelIDF16_DF16_LN4vllm18Fp8KVCacheDataTypeE0EhLi16ELi128ELi256ELb0ELi2EL8MFMAType0EEvPKT_PKT0_S8_ifPKiSA_SA_iPKfiiiPfSD_PS3_PT2_iSC_SC_
                                        ; -- End function
	.section	.AMDGPU.csdata,"",@progbits
; Kernel info:
; codeLenInByte = 7900
; NumSgprs: 54
; NumVgprs: 230
; ScratchSize: 0
; MemoryBound: 0
; FloatMode: 240
; IeeeMode: 1
; LDSByteSize: 17472 bytes/workgroup (compile time only)
; SGPRBlocks: 6
; VGPRBlocks: 28
; NumSGPRsForWavesPerEU: 54
; NumVGPRsForWavesPerEU: 230
; Occupancy: 6
; WaveLimiterHint : 1
; COMPUTE_PGM_RSRC2:SCRATCH_EN: 0
; COMPUTE_PGM_RSRC2:USER_SGPR: 13
; COMPUTE_PGM_RSRC2:TRAP_HANDLER: 0
; COMPUTE_PGM_RSRC2:TGID_X_EN: 1
; COMPUTE_PGM_RSRC2:TGID_Y_EN: 1
; COMPUTE_PGM_RSRC2:TGID_Z_EN: 1
; COMPUTE_PGM_RSRC2:TIDIG_COMP_CNT: 0
	.section	.text._Z39paged_attention_ll4mi_QKV_mfma16_kernelIDF16_DF16_LN4vllm18Fp8KVCacheDataTypeE0EhLi16ELi128ELi256ELb0ELi3EL8MFMAType0EEvPKT_PKT0_S8_ifPKiSA_SA_iPKfiiiPfSD_PS3_PT2_iSC_SC_,"axG",@progbits,_Z39paged_attention_ll4mi_QKV_mfma16_kernelIDF16_DF16_LN4vllm18Fp8KVCacheDataTypeE0EhLi16ELi128ELi256ELb0ELi3EL8MFMAType0EEvPKT_PKT0_S8_ifPKiSA_SA_iPKfiiiPfSD_PS3_PT2_iSC_SC_,comdat
	.protected	_Z39paged_attention_ll4mi_QKV_mfma16_kernelIDF16_DF16_LN4vllm18Fp8KVCacheDataTypeE0EhLi16ELi128ELi256ELb0ELi3EL8MFMAType0EEvPKT_PKT0_S8_ifPKiSA_SA_iPKfiiiPfSD_PS3_PT2_iSC_SC_ ; -- Begin function _Z39paged_attention_ll4mi_QKV_mfma16_kernelIDF16_DF16_LN4vllm18Fp8KVCacheDataTypeE0EhLi16ELi128ELi256ELb0ELi3EL8MFMAType0EEvPKT_PKT0_S8_ifPKiSA_SA_iPKfiiiPfSD_PS3_PT2_iSC_SC_
	.globl	_Z39paged_attention_ll4mi_QKV_mfma16_kernelIDF16_DF16_LN4vllm18Fp8KVCacheDataTypeE0EhLi16ELi128ELi256ELb0ELi3EL8MFMAType0EEvPKT_PKT0_S8_ifPKiSA_SA_iPKfiiiPfSD_PS3_PT2_iSC_SC_
	.p2align	8
	.type	_Z39paged_attention_ll4mi_QKV_mfma16_kernelIDF16_DF16_LN4vllm18Fp8KVCacheDataTypeE0EhLi16ELi128ELi256ELb0ELi3EL8MFMAType0EEvPKT_PKT0_S8_ifPKiSA_SA_iPKfiiiPfSD_PS3_PT2_iSC_SC_,@function
_Z39paged_attention_ll4mi_QKV_mfma16_kernelIDF16_DF16_LN4vllm18Fp8KVCacheDataTypeE0EhLi16ELi128ELi256ELb0ELi3EL8MFMAType0EEvPKT_PKT0_S8_ifPKiSA_SA_iPKfiiiPfSD_PS3_PT2_iSC_SC_: ; @_Z39paged_attention_ll4mi_QKV_mfma16_kernelIDF16_DF16_LN4vllm18Fp8KVCacheDataTypeE0EhLi16ELi128ELi256ELb0ELi3EL8MFMAType0EEvPKT_PKT0_S8_ifPKiSA_SA_iPKfiiiPfSD_PS3_PT2_iSC_SC_
; %bb.0:
	s_load_b64 s[4:5], s[0:1], 0x30
	s_mov_b32 s34, s13
	s_waitcnt lgkmcnt(0)
	s_cmp_lg_u64 s[4:5], 0
	s_cselect_b32 s8, -1, 0
	s_ashr_i32 s35, s13, 31
	s_cmp_eq_u64 s[4:5], 0
	s_cbranch_scc1 .LBB248_3
; %bb.1:
	s_lshl_b64 s[2:3], s[34:35], 2
	s_delay_alu instid0(SALU_CYCLE_1) | instskip(SKIP_4) | instid1(SALU_CYCLE_1)
	s_add_u32 s2, s4, s2
	s_addc_u32 s3, s5, s3
	s_load_b64 s[2:3], s[2:3], 0x0
	s_waitcnt lgkmcnt(0)
	s_sub_i32 s2, s3, s2
	s_cmp_eq_u32 s2, 1
	s_cselect_b32 s2, -1, 0
	s_delay_alu instid0(SALU_CYCLE_1)
	s_and_not1_b32 vcc_lo, exec_lo, s2
	s_cbranch_vccz .LBB248_4
.LBB248_2:
	s_nop 0
	s_sendmsg sendmsg(MSG_DEALLOC_VGPRS)
	s_endpgm
.LBB248_3:
.LBB248_4:
	s_load_b64 s[2:3], s[0:1], 0x28
	s_lshl_b64 s[6:7], s[34:35], 2
	s_waitcnt lgkmcnt(0)
	s_add_u32 s2, s2, s6
	s_addc_u32 s3, s3, s7
	s_lshl_b32 s29, s14, 8
	s_load_b32 s28, s[2:3], 0x0
	s_waitcnt lgkmcnt(0)
	s_cmp_ge_i32 s29, s28
	s_cbranch_scc1 .LBB248_2
; %bb.5:
	s_clause 0x1
	s_load_b128 s[20:23], s[0:1], 0x8
	s_load_b64 s[2:3], s[0:1], 0x20
	s_and_not1_b32 vcc_lo, exec_lo, s8
	s_cbranch_vccnz .LBB248_7
; %bb.6:
	s_add_u32 s4, s4, s6
	s_addc_u32 s5, s5, s7
	s_load_b32 s5, s[4:5], 0x0
	s_branch .LBB248_8
.LBB248_7:
	s_mov_b32 s5, s34
.LBB248_8:
	s_load_b128 s[16:19], s[0:1], 0x48
	v_and_b32_e32 v140, 15, v0
	v_lshrrev_b32_e32 v141, 5, v0
	v_bfe_u32 v138, v0, 4, 1
	v_and_b32_e32 v142, 31, v0
	v_and_b32_e32 v139, 1, v0
	v_lshlrev_b32_e32 v2, 3, v140
	s_mul_i32 s31, s15, 3
	v_lshl_or_b32 v1, v141, 1, v138
	s_mov_b32 s4, exec_lo
	s_delay_alu instid0(VALU_DEP_2) | instskip(NEXT) | instid1(VALU_DEP_2)
	v_lshlrev_b32_e32 v137, 1, v2
	v_cmpx_gt_u32_e32 3, v1
	s_cbranch_execz .LBB248_10
; %bb.9:
	s_load_b64 s[6:7], s[0:1], 0x0
	v_add_lshl_u32 v2, v1, s31, 7
	s_waitcnt lgkmcnt(0)
	s_mul_hi_i32 s9, s5, s16
	s_mul_i32 s8, s5, s16
	v_lshlrev_b32_e32 v6, 10, v140
	s_lshl_b64 s[8:9], s[8:9], 1
	v_ashrrev_i32_e32 v3, 31, v2
	v_lshlrev_b32_e32 v1, 6, v1
	v_lshlrev_b32_e32 v7, 10, v139
	v_and_b32_e32 v6, 0x3800, v6
	s_delay_alu instid0(VALU_DEP_4) | instskip(NEXT) | instid1(VALU_DEP_2)
	v_lshlrev_b64 v[2:3], 1, v[2:3]
	v_or3_b32 v1, v6, v7, v1
	s_add_u32 s5, s6, s8
	s_addc_u32 s6, s7, s9
	s_delay_alu instid0(VALU_DEP_2) | instskip(NEXT) | instid1(VALU_DEP_3)
	v_add_co_u32 v2, vcc_lo, s5, v2
	v_add_co_ci_u32_e32 v3, vcc_lo, s6, v3, vcc_lo
	s_delay_alu instid0(VALU_DEP_2) | instskip(NEXT) | instid1(VALU_DEP_2)
	v_add_co_u32 v2, vcc_lo, v2, v137
	v_add_co_ci_u32_e32 v3, vcc_lo, 0, v3, vcc_lo
	global_load_b128 v[2:5], v[2:3], off
	s_waitcnt vmcnt(0)
	ds_store_b128 v1, v[2:5]
.LBB248_10:
	s_or_b32 exec_lo, exec_lo, s4
	v_and_b32_e32 v1, 0xef, v0
	s_waitcnt lgkmcnt(0)
	s_add_i32 s5, s28, 15
	s_clause 0x1
	s_load_b32 s4, s[0:1], 0x38
	s_load_b32 s33, s[0:1], 0x98
	s_ashr_i32 s6, s5, 31
	v_add_nc_u32_e32 v1, s29, v1
	s_lshr_b32 s6, s6, 28
	s_load_b32 s30, s[0:1], 0x1c
	s_add_i32 s5, s5, s6
	s_waitcnt lgkmcnt(0)
	v_ashrrev_i32_e32 v2, 31, v1
	v_cmp_gt_i32_e32 vcc_lo, s28, v1
	s_ashr_i32 s16, s5, 4
	s_barrier
	s_add_i32 s16, s16, -1
	v_lshrrev_b32_e32 v3, 28, v2
	v_or_b32_e32 v2, 16, v1
	buffer_gl0_inv
	v_mul_lo_u16 v105, 0x56, v140
	v_lshlrev_b32_e32 v106, 5, v140
	v_add_nc_u32_e32 v4, v1, v3
	v_add_nc_u32_e32 v3, v2, v3
	s_mul_i32 s4, s34, s4
	v_lshrrev_b16 v105, 8, v105
	s_ashr_i32 s5, s4, 31
	v_ashrrev_i32_e32 v4, 4, v4
	v_ashrrev_i32_e32 v3, 4, v3
	s_lshl_b64 s[4:5], s[4:5], 2
	v_mul_lo_u16 v105, v105, 3
	s_add_u32 s35, s2, s4
	v_cndmask_b32_e32 v1, s16, v4, vcc_lo
	v_cmp_gt_i32_e32 vcc_lo, s28, v2
	s_addc_u32 s36, s3, s5
	s_mul_i32 s2, s15, s18
	v_sub_nc_u16 v105, v140, v105
	v_ashrrev_i32_e32 v2, 31, v1
	v_cndmask_b32_e32 v3, s16, v3, vcc_lo
	s_ashr_i32 s3, s2, 31
	v_lshl_or_b32 v125, v141, 9, v106
	s_lshl_b64 s[2:3], s[2:3], 1
	v_lshlrev_b64 v[1:2], 2, v[1:2]
	v_ashrrev_i32_e32 v4, 31, v3
	s_add_u32 s24, s20, s2
	s_addc_u32 s25, s21, s3
	s_lshl_b32 s4, s14, 4
	v_and_b32_e32 v105, 0xff, v105
	v_lshlrev_b64 v[3:4], 2, v[3:4]
	v_add_co_u32 v1, vcc_lo, s35, v1
	v_add_co_ci_u32_e32 v2, vcc_lo, s36, v2, vcc_lo
	s_ashr_i32 s5, s4, 31
	s_delay_alu instid0(VALU_DEP_3) | instskip(NEXT) | instid1(VALU_DEP_4)
	v_add_co_u32 v3, vcc_lo, s35, v3
	v_add_co_ci_u32_e32 v4, vcc_lo, s36, v4, vcc_lo
	s_lshl_b64 s[4:5], s[4:5], 2
	s_clause 0x1
	global_load_b32 v5, v[1:2], off
	global_load_b32 v6, v[3:4], off
	s_add_u32 s4, s35, s4
	s_addc_u32 s5, s36, s5
	s_or_b32 s6, s29, 16
	v_lshlrev_b32_e32 v3, 4, v0
	s_ashr_i32 s7, s6, 4
	s_cmp_lt_i32 s6, s28
	v_lshlrev_b32_e32 v215, 6, v105
	s_cselect_b32 s6, s7, s16
	s_delay_alu instid0(SALU_CYCLE_1) | instskip(NEXT) | instid1(SALU_CYCLE_1)
	s_ashr_i32 s7, s6, 31
	s_lshl_b64 s[6:7], s[6:7], 2
	s_delay_alu instid0(SALU_CYCLE_1) | instskip(SKIP_2) | instid1(SALU_CYCLE_1)
	s_add_u32 s6, s35, s6
	s_addc_u32 s7, s36, s7
	s_or_b32 s8, s29, 32
	s_ashr_i32 s9, s8, 4
	s_cmp_lt_i32 s8, s28
	s_cselect_b32 s8, s9, s16
	s_delay_alu instid0(SALU_CYCLE_1) | instskip(NEXT) | instid1(SALU_CYCLE_1)
	s_ashr_i32 s9, s8, 31
	s_lshl_b64 s[8:9], s[8:9], 2
	s_delay_alu instid0(SALU_CYCLE_1) | instskip(SKIP_2) | instid1(SALU_CYCLE_1)
	s_add_u32 s8, s35, s8
	s_addc_u32 s9, s36, s9
	s_or_b32 s10, s29, 48
	s_ashr_i32 s11, s10, 4
	s_cmp_lt_i32 s10, s28
	;; [unrolled: 10-line block ×4, first 2 shown]
	s_cselect_b32 s12, s13, s16
	s_delay_alu instid0(SALU_CYCLE_1) | instskip(NEXT) | instid1(SALU_CYCLE_1)
	s_ashr_i32 s13, s12, 31
	s_lshl_b64 s[12:13], s[12:13], 2
	s_delay_alu instid0(SALU_CYCLE_1)
	s_add_u32 s20, s35, s12
	s_addc_u32 s21, s36, s13
	s_clause 0x5
	s_load_b32 s39, s[4:5], 0x0
	s_load_b32 s38, s[6:7], 0x0
	;; [unrolled: 1-line block ×6, first 2 shown]
	s_waitcnt vmcnt(1)
	v_mad_i64_i32 v[1:2], null, v5, s17, 0
	v_and_b32_e32 v5, 0xf0, v3
	s_waitcnt vmcnt(0)
	v_mad_i64_i32 v[3:4], null, v6, s17, 0
	s_delay_alu instid0(VALU_DEP_2) | instskip(NEXT) | instid1(VALU_DEP_4)
	v_add_co_u32 v5, s4, s24, v5
	v_lshlrev_b64 v[1:2], 1, v[1:2]
	v_add_co_ci_u32_e64 v6, null, s25, 0, s4
	s_delay_alu instid0(VALU_DEP_4) | instskip(SKIP_1) | instid1(VALU_DEP_3)
	v_lshlrev_b64 v[3:4], 1, v[3:4]
	s_or_b32 s4, s29, 0x60
	v_add_co_u32 v121, vcc_lo, v5, v1
	s_delay_alu instid0(VALU_DEP_3) | instskip(NEXT) | instid1(VALU_DEP_3)
	v_add_co_ci_u32_e32 v122, vcc_lo, v6, v2, vcc_lo
	v_add_co_u32 v123, vcc_lo, v5, v3
	s_delay_alu instid0(VALU_DEP_4)
	v_add_co_ci_u32_e32 v124, vcc_lo, v6, v4, vcc_lo
	s_clause 0x19
	global_load_b128 v[89:92], v[121:122], off
	global_load_b128 v[93:96], v[121:122], off offset:256
	global_load_b128 v[97:100], v[123:124], off
	global_load_b128 v[101:104], v[123:124], off offset:256
	global_load_b128 v[81:84], v[121:122], off offset:512
	;; [unrolled: 1-line block ×23, first 2 shown]
	s_ashr_i32 s5, s4, 4
	s_cmp_lt_i32 s4, s28
	ds_load_b128 v[105:108], v215
	ds_load_b128 v[109:112], v215 offset:1024
	s_cselect_b32 s4, s5, s16
	ds_load_b128 v[113:116], v215 offset:2048
	ds_load_b128 v[117:120], v215 offset:3072
	s_ashr_i32 s5, s4, 31
	ds_load_b128 v[143:146], v215 offset:4096
	ds_load_b128 v[147:150], v215 offset:5120
	s_lshl_b64 s[6:7], s[4:5], 2
	ds_load_b128 v[151:154], v215 offset:6144
	ds_load_b128 v[155:158], v215 offset:7168
	s_add_u32 s18, s35, s6
	s_addc_u32 s19, s36, s7
	s_or_b32 s5, s29, 0x70
	ds_load_b128 v[159:162], v215 offset:8192
	ds_load_b128 v[163:166], v215 offset:9216
	s_ashr_i32 s6, s5, 4
	s_cmp_lt_i32 s5, s28
	s_clause 0x1
	global_load_b128 v[167:170], v[123:124], off offset:3072
	global_load_b128 v[171:174], v[123:124], off offset:3328
	s_cselect_b32 s8, s6, s16
	s_mov_b32 s4, 0
	s_ashr_i32 s9, s8, 31
	s_mov_b32 s5, s4
	s_lshl_b64 s[8:9], s[8:9], 2
	s_mov_b32 s6, s4
	s_add_u32 s20, s35, s8
	s_addc_u32 s21, s36, s9
	s_clause 0x1
	s_load_b32 s41, s[18:19], 0x0
	s_load_b32 s46, s[20:21], 0x0
	s_clause 0x3
	global_load_b128 v[175:178], v[121:122], off offset:3584
	global_load_b128 v[179:182], v[121:122], off offset:3840
	;; [unrolled: 1-line block ×4, first 2 shown]
	s_or_b32 s8, s29, 0x80
	s_mov_b32 s7, s4
	s_ashr_i32 s9, s8, 4
	s_cmp_lt_i32 s8, s28
	s_mov_b32 s8, s4
	s_cselect_b32 s10, s9, s16
	s_mov_b32 s9, s4
	s_ashr_i32 s11, s10, 31
	s_delay_alu instid0(SALU_CYCLE_1)
	s_lshl_b64 s[24:25], s[10:11], 2
	s_mov_b32 s10, s4
	s_add_u32 s24, s35, s24
	s_addc_u32 s25, s36, s25
	s_or_b32 s11, s29, 0x90
	s_load_b32 s47, s[24:25], 0x0
	s_ashr_i32 s26, s11, 4
	s_cmp_lt_i32 s11, s28
	s_mov_b32 s11, s4
	s_cselect_b32 s26, s26, s16
	v_mov_b32_e32 v136, s11
	s_ashr_i32 s27, s26, 31
	v_dual_mov_b32 v135, s10 :: v_dual_mov_b32 v134, s9
	v_dual_mov_b32 v133, s8 :: v_dual_mov_b32 v132, s7
	;; [unrolled: 1-line block ×3, first 2 shown]
	v_mov_b32_e32 v129, s4
	s_lshl_b64 s[4:5], s[26:27], 2
	s_waitcnt lgkmcnt(0)
	s_mul_hi_i32 s7, s38, s17
	s_add_u32 s26, s35, s4
	s_addc_u32 s27, s36, s5
	s_or_b32 s4, s29, 0xa0
	s_load_b32 s40, s[26:27], 0x0
	s_ashr_i32 s5, s4, 4
	s_cmp_lt_i32 s4, s28
	s_cselect_b32 s4, s5, s16
	s_delay_alu instid0(SALU_CYCLE_1) | instskip(NEXT) | instid1(SALU_CYCLE_1)
	s_ashr_i32 s5, s4, 31
	s_lshl_b64 s[4:5], s[4:5], 2
	s_delay_alu instid0(SALU_CYCLE_1)
	s_add_u32 s42, s35, s4
	s_addc_u32 s43, s36, s5
	s_or_b32 s4, s29, 0xb0
	s_mul_hi_i32 s5, s39, s17
	s_ashr_i32 s6, s4, 4
	s_cmp_lt_i32 s4, s28
	s_mul_i32 s4, s39, s17
	s_cselect_b32 s8, s6, s16
	s_mul_i32 s6, s38, s17
	s_ashr_i32 s9, s8, 31
	s_delay_alu instid0(SALU_CYCLE_1)
	s_lshl_b64 s[10:11], s[8:9], 2
	s_mul_hi_i32 s9, s37, s17
	s_add_u32 s44, s35, s10
	s_addc_u32 s45, s36, s11
	s_or_b32 s10, s29, 0xc0
	s_mul_i32 s8, s37, s17
	s_ashr_i32 s37, s10, 4
	s_cmp_lt_i32 s10, s28
	s_mul_hi_i32 s11, s13, s17
	s_cselect_b32 s38, s37, s16
	s_mul_i32 s10, s13, s17
	s_ashr_i32 s39, s38, 31
	s_mul_hi_i32 s13, s12, s17
	s_lshl_b64 s[38:39], s[38:39], 2
	s_mul_i32 s12, s12, s17
	s_add_u32 s20, s35, s38
	s_addc_u32 s21, s36, s39
	s_load_b32 s39, s[42:43], 0x0
	s_or_b32 s18, s29, 0xd0
	s_mul_hi_i32 s27, s47, s17
	s_ashr_i32 s19, s18, 4
	s_cmp_lt_i32 s18, s28
	s_mul_i32 s18, s15, s17
	s_cselect_b32 s24, s19, s16
	s_mul_hi_i32 s19, s15, s17
	s_ashr_i32 s25, s24, 31
	s_mul_i32 s26, s47, s17
	s_lshl_b64 s[24:25], s[24:25], 2
	s_delay_alu instid0(SALU_CYCLE_1)
	s_add_u32 s24, s35, s24
	s_addc_u32 s25, s36, s25
	s_or_b32 s42, s29, 0xe0
	s_clause 0x2
	s_load_b32 s38, s[44:45], 0x0
	s_load_b32 s37, s[20:21], 0x0
	;; [unrolled: 1-line block ×3, first 2 shown]
	s_ashr_i32 s43, s42, 4
	s_cmp_lt_i32 s42, s28
	s_mul_hi_i32 s25, s46, s17
	s_cselect_b32 s42, s43, s16
	s_mul_i32 s24, s46, s17
	s_ashr_i32 s43, s42, 31
	s_mul_hi_i32 s21, s41, s17
	s_lshl_b64 s[42:43], s[42:43], 2
	s_mul_i32 s20, s41, s17
	s_add_u32 s42, s35, s42
	s_addc_u32 s43, s36, s43
	s_or_b32 s46, s29, 0xf0
	s_waitcnt lgkmcnt(0)
	s_mul_hi_i32 s41, s40, s17
	s_ashr_i32 s47, s46, 4
	s_cmp_lt_i32 s46, s28
	s_mul_i32 s40, s40, s17
	s_cselect_b32 s46, s47, s16
	s_mul_hi_i32 s45, s39, s17
	s_ashr_i32 s47, s46, 31
	s_mul_hi_i32 s51, s15, s17
	s_lshl_b64 s[46:47], s[46:47], 2
	s_mul_i32 s50, s15, s17
	s_add_u32 s46, s35, s46
	s_addc_u32 s47, s36, s47
	s_add_u32 s15, s22, s2
	s_addc_u32 s16, s23, s3
	v_add_co_u32 v216, s15, s15, v125
	s_delay_alu instid0(VALU_DEP_1) | instskip(SKIP_2) | instid1(VALU_DEP_2)
	v_add_co_ci_u32_e64 v217, null, s16, 0, s15
	s_lshl_b64 s[2:3], s[4:5], 1
	s_lshl_b64 s[4:5], s[6:7], 1
	v_add_co_u32 v125, vcc_lo, v216, s2
	s_delay_alu instid0(VALU_DEP_2)
	v_add_co_ci_u32_e32 v126, vcc_lo, s3, v217, vcc_lo
	v_add_co_u32 v199, vcc_lo, v216, s4
	s_lshl_b64 s[6:7], s[8:9], 1
	v_add_co_ci_u32_e32 v200, vcc_lo, s5, v217, vcc_lo
	s_lshl_b64 s[8:9], s[10:11], 1
	s_lshl_b64 s[10:11], s[12:13], 1
	;; [unrolled: 1-line block ×7, first 2 shown]
	s_mul_i32 s44, s39, s17
	s_mul_hi_i32 s39, s38, s17
	s_lshl_b64 s[26:27], s[44:45], 1
	s_mul_i32 s38, s38, s17
	s_mul_hi_i32 s49, s37, s17
	s_mul_i32 s48, s37, s17
	s_lshl_b64 s[36:37], s[38:39], 1
	s_lshl_b64 s[38:39], s[48:49], 1
	s_clause 0x1
	s_load_b32 s15, s[42:43], 0x0
	s_load_b32 s16, s[46:47], 0x0
	s_lshl_b64 s[40:41], s[50:51], 1
	s_waitcnt lgkmcnt(0)
	s_mul_hi_i32 s3, s15, s17
	s_mul_i32 s2, s15, s17
	s_mul_hi_i32 s5, s16, s17
	s_lshl_b64 s[2:3], s[2:3], 1
	s_mul_i32 s4, s16, s17
	s_waitcnt vmcnt(30)
	v_wmma_f32_16x16x16_f16 v[191:198], v[89:96], v[105:112], v[129:136]
	v_add_co_u32 v89, vcc_lo, v216, s6
	v_add_co_ci_u32_e32 v90, vcc_lo, s7, v217, vcc_lo
	v_add_co_u32 v91, vcc_lo, v216, s8
	v_add_co_ci_u32_e32 v92, vcc_lo, s9, v217, vcc_lo
	;; [unrolled: 2-line block ×5, first 2 shown]
	v_add_co_u32 v205, vcc_lo, v216, s20
	s_waitcnt vmcnt(28)
	v_wmma_f32_16x16x16_f16 v[129:136], v[97:104], v[105:112], v[129:136]
	v_add_co_ci_u32_e32 v206, vcc_lo, s21, v217, vcc_lo
	v_add_co_u32 v207, vcc_lo, v216, s22
	v_add_co_ci_u32_e32 v208, vcc_lo, s23, v217, vcc_lo
	v_add_co_u32 v209, vcc_lo, v216, s24
	s_waitcnt vmcnt(26)
	v_wmma_f32_16x16x16_f16 v[191:198], v[81:88], v[113:120], v[191:198]
	s_waitcnt vmcnt(24)
	v_wmma_f32_16x16x16_f16 v[129:136], v[73:80], v[113:120], v[129:136]
	v_add_co_ci_u32_e32 v210, vcc_lo, s25, v217, vcc_lo
	v_add_co_u32 v211, vcc_lo, v216, s26
	v_add_co_ci_u32_e32 v212, vcc_lo, s27, v217, vcc_lo
	v_add_co_u32 v213, vcc_lo, v216, s36
	s_waitcnt vmcnt(22)
	v_wmma_f32_16x16x16_f16 v[191:198], v[65:72], v[143:150], v[191:198]
	s_waitcnt vmcnt(20)
	v_wmma_f32_16x16x16_f16 v[129:136], v[57:64], v[143:150], v[129:136]
	v_add_co_ci_u32_e32 v214, vcc_lo, s37, v217, vcc_lo
	v_add_co_u32 v143, vcc_lo, v216, s38
	s_waitcnt vmcnt(18)
	v_wmma_f32_16x16x16_f16 v[191:198], v[49:56], v[151:158], v[191:198]
	s_waitcnt vmcnt(16)
	v_wmma_f32_16x16x16_f16 v[129:136], v[25:32], v[151:158], v[129:136]
	v_add_co_ci_u32_e32 v144, vcc_lo, s39, v217, vcc_lo
	s_clause 0x15
	global_load_b128 v[121:124], v[125:126], off
	global_load_b128 v[125:128], v[125:126], off offset:16
	global_load_b128 v[113:116], v[199:200], off
	global_load_b128 v[117:120], v[199:200], off offset:16
	;; [unrolled: 2-line block ×11, first 2 shown]
	s_waitcnt vmcnt(36)
	v_wmma_f32_16x16x16_f16 v[191:198], v[1:8], v[159:166], v[191:198]
	s_clause 0x1
	global_load_b128 v[1:4], v[213:214], off
	global_load_b128 v[5:8], v[213:214], off offset:16
	s_waitcnt vmcnt(36)
	v_wmma_f32_16x16x16_f16 v[129:136], v[9:16], v[159:166], v[129:136]
	s_clause 0x1
	global_load_b128 v[9:12], v[143:144], off
	global_load_b128 v[13:16], v[143:144], off offset:16
	ds_load_b128 v[143:146], v215 offset:10240
	ds_load_b128 v[147:150], v215 offset:11264
	;; [unrolled: 1-line block ×4, first 2 shown]
	v_add_co_u32 v199, vcc_lo, v216, s40
	v_add_co_ci_u32_e32 v200, vcc_lo, s41, v217, vcc_lo
	v_add_co_u32 v159, vcc_lo, v216, s2
	v_add_co_ci_u32_e32 v160, vcc_lo, s3, v217, vcc_lo
	s_lshl_b64 s[2:3], s[4:5], 1
	s_delay_alu instid0(SALU_CYCLE_1)
	v_add_co_u32 v161, vcc_lo, v216, s2
	v_add_co_ci_u32_e32 v162, vcc_lo, s3, v217, vcc_lo
	s_waitcnt vmcnt(36) lgkmcnt(2)
	v_wmma_f32_16x16x16_f16 v[191:198], v[41:48], v[143:150], v[191:198]
	s_waitcnt vmcnt(34)
	v_wmma_f32_16x16x16_f16 v[129:136], v[33:40], v[143:150], v[129:136]
	s_clause 0x3
	global_load_b128 v[33:36], v[199:200], off
	global_load_b128 v[37:40], v[199:200], off offset:16
	global_load_b128 v[41:44], v[159:160], off
	global_load_b128 v[45:48], v[159:160], off offset:16
	v_and_b32_e32 v143, 0xe0, v0
	v_mbcnt_lo_u32_b32 v159, -1, 0
	s_waitcnt vmcnt(36) lgkmcnt(0)
	v_wmma_f32_16x16x16_f16 v[191:198], v[17:24], v[151:158], v[191:198]
	s_clause 0x1
	global_load_b128 v[17:20], v[161:162], off
	global_load_b128 v[21:24], v[161:162], off offset:16
	s_waitcnt vmcnt(36)
	v_wmma_f32_16x16x16_f16 v[129:136], v[167:174], v[151:158], v[129:136]
	v_add_nc_u32_e32 v160, s29, v143
	ds_load_b128 v[143:146], v215 offset:14336
	ds_load_b128 v[147:150], v215 offset:15360
	v_xor_b32_e32 v151, 16, v159
	s_waitcnt vmcnt(0) lgkmcnt(0)
	s_barrier
	v_or_b32_e32 v152, v160, v138
	buffer_gl0_inv
	v_cmp_gt_i32_e32 vcc_lo, 32, v151
	v_or_b32_e32 v153, 2, v152
	v_or_b32_e32 v154, 4, v152
	;; [unrolled: 1-line block ×5, first 2 shown]
	v_cmp_gt_i32_e64 s2, s28, v153
	v_cmp_gt_i32_e64 s3, s28, v154
	;; [unrolled: 1-line block ×3, first 2 shown]
	v_or_b32_e32 v158, 12, v152
	v_cmp_gt_i32_e64 s5, s28, v156
	v_cmp_gt_i32_e64 s6, s28, v157
	v_wmma_f32_16x16x16_f16 v[191:198], v[175:182], v[143:150], v[191:198]
	v_wmma_f32_16x16x16_f16 v[129:136], v[183:190], v[143:150], v[129:136]
	v_cndmask_b32_e32 v151, v159, v151, vcc_lo
	v_cmp_gt_i32_e32 vcc_lo, s28, v152
	v_or_b32_e32 v159, 14, v152
	v_dual_mul_f32 v149, s30, v192 :: v_dual_mul_f32 v150, s30, v191
	v_dual_mul_f32 v147, s30, v194 :: v_dual_mul_f32 v148, s30, v193
	;; [unrolled: 1-line block ×3, first 2 shown]
	s_delay_alu instid0(VALU_DEP_3) | instskip(NEXT) | instid1(VALU_DEP_4)
	v_cndmask_b32_e32 v150, 0xff7fffff, v150, vcc_lo
	v_cndmask_b32_e64 v149, 0xff7fffff, v149, s2
	v_mul_f32_e32 v146, s30, v195
	v_cndmask_b32_e64 v148, 0xff7fffff, v148, s3
	v_cndmask_b32_e64 v147, 0xff7fffff, v147, s4
	v_or_b32_e32 v160, 16, v152
	v_max3_f32 v149, v150, 0xff7fffff, v149
	v_or_b32_e32 v161, 18, v152
	v_dual_mul_f32 v143, s30, v198 :: v_dual_mul_f32 v144, s30, v197
	v_cndmask_b32_e64 v146, 0xff7fffff, v146, s5
	v_cndmask_b32_e64 v145, 0xff7fffff, v145, s6
	v_max3_f32 v147, v149, v148, v147
	v_cmp_gt_i32_e64 s7, s28, v158
	v_cmp_gt_i32_e64 s8, s28, v159
	v_or_b32_e32 v162, 20, v152
	v_or_b32_e32 v163, 22, v152
	v_mul_f32_e32 v175, s30, v129
	v_cndmask_b32_e64 v144, 0xff7fffff, v144, s7
	v_cndmask_b32_e64 v143, 0xff7fffff, v143, s8
	v_max3_f32 v145, v147, v146, v145
	v_cmp_gt_i32_e64 s9, s28, v160
	v_cmp_gt_i32_e64 s10, s28, v161
	v_or_b32_e32 v164, 24, v152
	v_or_b32_e32 v165, 26, v152
	v_dual_mul_f32 v172, s30, v132 :: v_dual_mul_f32 v173, s30, v131
	v_cndmask_b32_e64 v146, 0xff7fffff, v175, s9
	v_cndmask_b32_e64 v147, 0xff7fffff, v174, s10
	v_max3_f32 v143, v145, v144, v143
	v_cmp_gt_i32_e64 s11, s28, v162
	v_cmp_gt_i32_e64 s12, s28, v163
	v_or_b32_e32 v166, 28, v152
	v_or_b32_e32 v167, 30, v152
	v_dual_mul_f32 v170, s30, v134 :: v_dual_mul_f32 v171, s30, v133
	v_cndmask_b32_e64 v144, 0xff7fffff, v173, s11
	v_cndmask_b32_e64 v145, 0xff7fffff, v172, s12
	v_max3_f32 v143, v143, v146, v147
	v_cmp_gt_i32_e64 s13, s28, v164
	v_cmp_gt_i32_e64 s15, s28, v165
	v_dual_mul_f32 v168, s30, v136 :: v_dual_mul_f32 v169, s30, v135
	s_delay_alu instid0(VALU_DEP_4) | instskip(NEXT) | instid1(VALU_DEP_4)
	v_max3_f32 v143, v143, v144, v145
	v_cndmask_b32_e64 v146, 0xff7fffff, v171, s13
	s_delay_alu instid0(VALU_DEP_4) | instskip(SKIP_3) | instid1(VALU_DEP_4)
	v_cndmask_b32_e64 v147, 0xff7fffff, v170, s15
	v_cmp_gt_i32_e64 s16, s28, v166
	v_cmp_gt_i32_e64 s17, s28, v167
	v_lshlrev_b32_e32 v160, 2, v151
	v_max3_f32 v143, v143, v146, v147
	s_delay_alu instid0(VALU_DEP_4) | instskip(NEXT) | instid1(VALU_DEP_4)
	v_cndmask_b32_e64 v144, 0xff7fffff, v169, s16
	v_cndmask_b32_e64 v145, 0xff7fffff, v168, s17
	s_delay_alu instid0(VALU_DEP_1) | instskip(SKIP_3) | instid1(VALU_DEP_1)
	v_max3_f32 v143, v143, v144, v145
	ds_bpermute_b32 v144, v160, v143
	s_waitcnt lgkmcnt(0)
	v_max_f32_e32 v144, v144, v144
	v_max_f32_e32 v159, v143, v144
	s_delay_alu instid0(VALU_DEP_1) | instskip(SKIP_4) | instid1(VALU_DEP_4)
	v_fma_f32 v145, s30, v193, -v159
	v_fma_f32 v146, s30, v194, -v159
	v_fma_f32 v132, s30, v132, -v159
	v_fma_f32 v143, s30, v191, -v159
	v_fma_f32 v144, s30, v192, -v159
	v_dual_mul_f32 v145, 0x3fb8aa3b, v145 :: v_dual_mul_f32 v146, 0x3fb8aa3b, v146
	s_delay_alu instid0(VALU_DEP_4) | instskip(SKIP_1) | instid1(VALU_DEP_4)
	v_mul_f32_e32 v132, 0x3fb8aa3b, v132
	v_fma_f32 v148, s30, v195, -v159
	v_mul_f32_e32 v144, 0x3fb8aa3b, v144
	s_delay_alu instid0(VALU_DEP_4)
	v_exp_f32_e32 v145, v145
	v_exp_f32_e32 v150, v146
	v_fma_f32 v149, s30, v196, -v159
	v_mul_f32_e32 v148, 0x3fb8aa3b, v148
	v_exp_f32_e32 v147, v144
	v_fma_f32 v134, s30, v134, -v159
	v_fma_f32 v151, s30, v197, -v159
	v_mul_f32_e32 v149, 0x3fb8aa3b, v149
	v_exp_f32_e32 v148, v148
	v_fma_f32 v152, s30, v198, -v159
	v_cndmask_b32_e64 v146, 0, v145, s3
	v_cndmask_b32_e64 v145, 0, v150, s4
	v_dual_mul_f32 v143, 0x3fb8aa3b, v143 :: v_dual_mul_f32 v134, 0x3fb8aa3b, v134
	v_mul_f32_e32 v151, 0x3fb8aa3b, v151
	v_exp_f32_e32 v149, v149
	v_fma_f32 v129, s30, v129, -v159
	s_delay_alu instid0(VALU_DEP_3)
	v_exp_f32_e32 v143, v143
	v_mul_f32_e32 v150, 0x3fb8aa3b, v152
	v_exp_f32_e32 v151, v151
	v_cndmask_b32_e64 v148, 0, v148, s5
	v_fma_f32 v130, s30, v130, -v159
	v_mul_f32_e32 v129, 0x3fb8aa3b, v129
	v_exp_f32_e32 v153, v150
	v_fma_f32 v131, s30, v131, -v159
	v_fma_f32 v133, s30, v133, -v159
	v_mul_f32_e32 v130, 0x3fb8aa3b, v130
	v_cndmask_b32_e32 v144, 0, v143, vcc_lo
	v_cndmask_b32_e64 v143, 0, v147, s2
	v_exp_f32_e32 v129, v129
	v_cndmask_b32_e64 v150, 0, v151, s7
	v_mul_f32_e32 v131, 0x3fb8aa3b, v131
	v_add_f32_e32 v147, 0, v144
	v_exp_f32_e32 v130, v130
	v_mul_f32_e32 v133, 0x3fb8aa3b, v133
	v_exp_f32_e32 v132, v132
	v_exp_f32_e32 v131, v131
	v_add_f32_e32 v147, v147, v143
	v_cmp_gt_u32_e64 s2, 16, v142
	v_exp_f32_e32 v133, v133
	s_delay_alu instid0(VALU_DEP_2)
	v_add_f32_e32 v147, v147, v146
	s_waitcnt_depctr 0xfff
	v_cndmask_b32_e64 v154, 0, v131, s11
	v_add_f32_e32 v152, v147, v145
	v_cndmask_b32_e64 v147, 0, v149, s6
	v_exp_f32_e32 v131, v134
	v_cndmask_b32_e64 v156, 0, v133, s13
	s_delay_alu instid0(VALU_DEP_3) | instskip(SKIP_1) | instid1(VALU_DEP_2)
	v_add_f32_e32 v149, v152, v148
	v_cndmask_b32_e64 v152, 0, v129, s9
	v_add_f32_e32 v151, v149, v147
	v_cndmask_b32_e64 v149, 0, v153, s8
	v_cndmask_b32_e64 v153, 0, v132, s12
	v_fma_f32 v132, s30, v136, -v159
	s_delay_alu instid0(TRANS32_DEP_1) | instskip(NEXT) | instid1(VALU_DEP_2)
	v_cndmask_b32_e64 v155, 0, v131, s15
	v_dual_add_f32 v151, v151, v150 :: v_dual_mul_f32 v132, 0x3fb8aa3b, v132
	s_delay_alu instid0(VALU_DEP_1) | instskip(SKIP_2) | instid1(VALU_DEP_4)
	v_add_f32_e32 v129, v151, v149
	v_cndmask_b32_e64 v151, 0, v130, s10
	v_fma_f32 v130, s30, v135, -v159
	v_exp_f32_e32 v131, v132
	s_delay_alu instid0(VALU_DEP_1) | instskip(NEXT) | instid1(VALU_DEP_1)
	v_dual_add_f32 v129, v129, v152 :: v_dual_mul_f32 v130, 0x3fb8aa3b, v130
	v_add_f32_e32 v129, v129, v151
	s_delay_alu instid0(VALU_DEP_2) | instskip(SKIP_3) | instid1(VALU_DEP_1)
	v_exp_f32_e32 v130, v130
	s_waitcnt_depctr 0xfff
	v_cndmask_b32_e64 v157, 0, v131, s17
	v_add_f32_e32 v129, v129, v154
	v_add_f32_e32 v129, v129, v153
	v_cndmask_b32_e64 v158, 0, v130, s16
	s_delay_alu instid0(VALU_DEP_2) | instskip(NEXT) | instid1(VALU_DEP_1)
	v_add_f32_e32 v129, v129, v156
	v_add_f32_e32 v129, v129, v155
	s_delay_alu instid0(VALU_DEP_1) | instskip(NEXT) | instid1(VALU_DEP_1)
	v_add_f32_e32 v129, v129, v158
	v_add_f32_e32 v129, v129, v157
	ds_bpermute_b32 v130, v160, v129
	s_and_saveexec_b32 s3, s2
	s_cbranch_execz .LBB248_12
; %bb.11:
	v_mul_u32_u24_e32 v131, 0x44, v141
	s_delay_alu instid0(VALU_DEP_1) | instskip(SKIP_1) | instid1(VALU_DEP_1)
	v_lshl_add_u32 v131, v140, 2, v131
	s_waitcnt lgkmcnt(0)
	v_dual_add_f32 v129, v129, v130 :: v_dual_add_nc_u32 v130, 0x4000, v131
	ds_store_2addr_b32 v130, v159, v129 offset1:136
.LBB248_12:
	s_or_b32 exec_lo, exec_lo, s3
	v_lshlrev_b32_e32 v129, 2, v140
	s_load_b32 s35, s[0:1], 0x94
	s_waitcnt lgkmcnt(0)
	s_barrier
	buffer_gl0_inv
	v_add_nc_u32_e32 v135, 0x4000, v129
	v_cmp_eq_u32_e32 vcc_lo, 1, v141
	v_cmp_eq_u32_e64 s3, 2, v141
	v_cmp_eq_u32_e64 s4, 3, v141
	;; [unrolled: 1-line block ×3, first 2 shown]
	ds_load_2addr_b32 v[129:130], v135 offset1:17
	ds_load_2addr_b32 v[131:132], v135 offset0:34 offset1:51
	ds_load_2addr_b32 v[133:134], v135 offset0:68 offset1:85
	;; [unrolled: 1-line block ×3, first 2 shown]
	v_cmp_eq_u32_e64 s6, 5, v141
	v_cmp_eq_u32_e64 s7, 7, v141
	s_waitcnt lgkmcnt(3)
	v_max3_f32 v136, v129, 0xff7fffff, v130
	s_waitcnt lgkmcnt(2)
	s_delay_alu instid0(VALU_DEP_1) | instskip(SKIP_1) | instid1(VALU_DEP_1)
	v_max3_f32 v136, v136, v131, v132
	s_waitcnt lgkmcnt(1)
	v_max3_f32 v136, v136, v133, v134
	s_waitcnt lgkmcnt(0)
	s_delay_alu instid0(VALU_DEP_1) | instskip(NEXT) | instid1(VALU_DEP_1)
	v_max3_f32 v136, v136, v159, v160
	v_sub_f32_e32 v142, v130, v136
	ds_load_2addr_b32 v[161:162], v135 offset0:136 offset1:153
	v_sub_f32_e32 v164, v132, v136
	v_mul_f32_e32 v142, 0x3fb8aa3b, v142
	s_delay_alu instid0(VALU_DEP_2) | instskip(NEXT) | instid1(VALU_DEP_2)
	v_mul_f32_e32 v164, 0x3fb8aa3b, v164
	v_exp_f32_e32 v166, v142
	v_sub_f32_e32 v129, v129, v136
	s_delay_alu instid0(VALU_DEP_2) | instskip(NEXT) | instid1(VALU_DEP_1)
	v_exp_f32_e32 v164, v164
	v_mul_f32_e32 v163, 0x3fb8aa3b, v129
	ds_load_2addr_b32 v[129:130], v135 offset0:170 offset1:187
	v_exp_f32_e32 v163, v163
	s_waitcnt lgkmcnt(1)
	s_waitcnt_depctr 0xfff
	v_fma_f32 v142, v163, v161, 0
	v_sub_f32_e32 v161, v134, v136
	s_delay_alu instid0(VALU_DEP_2) | instskip(NEXT) | instid1(VALU_DEP_1)
	v_dual_fmac_f32 v142, v166, v162 :: v_dual_sub_f32 v131, v131, v136
	v_mul_f32_e32 v165, 0x3fb8aa3b, v131
	ds_load_2addr_b32 v[131:132], v135 offset0:204 offset1:221
	v_exp_f32_e32 v165, v165
	s_waitcnt lgkmcnt(1)
	s_waitcnt_depctr 0xfff
	v_fmac_f32_e32 v142, v165, v129
	v_sub_f32_e32 v133, v133, v136
	v_sub_f32_e32 v129, v160, v136
	s_delay_alu instid0(VALU_DEP_2) | instskip(NEXT) | instid1(VALU_DEP_2)
	v_dual_fmac_f32 v142, v164, v130 :: v_dual_mul_f32 v167, 0x3fb8aa3b, v133
	v_mul_f32_e32 v129, 0x3fb8aa3b, v129
	ds_load_2addr_b32 v[133:134], v135 offset0:238 offset1:255
	v_cndmask_b32_e32 v130, v163, v166, vcc_lo
	s_waitcnt lgkmcnt(0)
	s_barrier
	v_exp_f32_e32 v162, v129
	v_sub_f32_e32 v135, v159, v136
	v_mul_f32_e32 v159, 0x3fb8aa3b, v161
	v_exp_f32_e32 v161, v167
	buffer_gl0_inv
	v_exp_f32_e32 v159, v159
	v_fmac_f32_e32 v142, v161, v131
	s_waitcnt_depctr 0xfff
	v_dual_mul_f32 v135, 0x3fb8aa3b, v135 :: v_dual_fmac_f32 v142, v159, v132
	s_delay_alu instid0(VALU_DEP_1) | instskip(SKIP_2) | instid1(VALU_DEP_1)
	v_exp_f32_e32 v160, v135
	s_waitcnt_depctr 0xfff
	v_dual_fmac_f32 v142, v160, v133 :: v_dual_lshlrev_b32 v133, 6, v140
	v_fmac_f32_e32 v142, v162, v134
	s_delay_alu instid0(VALU_DEP_2) | instskip(NEXT) | instid1(VALU_DEP_2)
	v_lshl_or_b32 v135, v141, 11, v133
	v_add_f32_e32 v134, 0x358637bd, v142
	s_delay_alu instid0(VALU_DEP_1) | instskip(SKIP_1) | instid1(VALU_DEP_2)
	v_div_scale_f32 v167, null, v134, v134, 1.0
	v_div_scale_f32 v163, vcc_lo, 1.0, v134, 1.0
	v_rcp_f32_e32 v168, v167
	s_waitcnt_depctr 0xfff
	v_fma_f32 v129, -v167, v168, 1.0
	s_delay_alu instid0(VALU_DEP_1) | instskip(SKIP_2) | instid1(VALU_DEP_2)
	v_fmac_f32_e32 v168, v129, v168
	v_cndmask_b32_e64 v129, v130, v165, s3
	v_cmp_eq_u32_e64 s3, 6, v141
	v_cndmask_b32_e64 v130, v129, v164, s4
	v_lshlrev_b32_e32 v129, 2, v138
	v_mul_f32_e32 v165, v163, v168
	s_delay_alu instid0(VALU_DEP_3) | instskip(NEXT) | instid1(VALU_DEP_3)
	v_cndmask_b32_e64 v161, v130, v161, s5
	v_or_b32_e32 v130, 1, v129
	s_delay_alu instid0(VALU_DEP_3)
	v_fma_f32 v131, -v167, v165, v163
	v_or_b32_e32 v132, 2, v129
	v_cmp_eq_u32_e64 s4, 1, v129
	v_cndmask_b32_e64 v141, v161, v159, s6
	v_cmp_eq_u32_e64 s9, 1, v130
	v_fmac_f32_e32 v165, v131, v168
	v_or_b32_e32 v131, 3, v129
	v_cmp_eq_u32_e64 s10, 1, v132
	v_cndmask_b32_e64 v141, v141, v160, s3
	v_cmp_eq_u32_e64 s5, 2, v129
	v_fma_f32 v159, -v167, v165, v163
	v_cmp_eq_u32_e64 s11, 1, v131
	v_cmp_eq_u32_e64 s16, 2, v131
	v_cndmask_b32_e64 v141, v141, v162, s7
	v_cmp_eq_u32_e64 s12, 2, v130
	v_div_fmas_f32 v159, v159, v168, v165
	v_cmp_eq_u32_e64 s18, 3, v131
	v_cmp_eq_u32_e32 vcc_lo, 3, v129
	v_cmp_eq_u32_e64 s13, 3, v130
	v_cmp_eq_u32_e64 s15, 2, v132
	v_div_fixup_f32 v159, v159, v134, 1.0
	v_lshl_or_b32 v134, v138, 4, v135
	v_cmp_eq_u32_e64 s22, 4, v131
	v_cmp_eq_u32_e64 s3, 4, v129
	;; [unrolled: 1-line block ×3, first 2 shown]
	v_mul_f32_e32 v141, v141, v159
	v_cmp_eq_u32_e64 s19, 4, v130
	v_cmp_eq_u32_e64 s24, 5, v131
	;; [unrolled: 1-line block ×4, first 2 shown]
	v_fma_mixlo_f16 v159, v141, v144, 0
	v_fma_mixlo_f16 v160, v141, v146, 0
	;; [unrolled: 1-line block ×8, first 2 shown]
	v_fma_mixhi_f16 v159, v141, v143, 0
	v_fma_mixhi_f16 v160, v141, v145, 0
	;; [unrolled: 1-line block ×8, first 2 shown]
	ds_store_b128 v134, v[159:162]
	ds_store_b128 v134, v[163:166] offset:1024
	s_waitcnt lgkmcnt(0)
	s_barrier
	buffer_gl0_inv
	ds_load_b128 v[143:146], v135
	ds_load_b128 v[147:150], v135 offset:16
	ds_load_b128 v[151:154], v135 offset:1024
	;; [unrolled: 1-line block ×3, first 2 shown]
	v_cmp_eq_u32_e64 s21, 4, v132
	v_cmp_eq_u32_e64 s27, 6, v131
	;; [unrolled: 1-line block ×10, first 2 shown]
	s_waitcnt lgkmcnt(3)
	v_lshrrev_b32_e32 v141, 16, v143
	s_waitcnt lgkmcnt(2)
	v_lshrrev_b32_e32 v162, 16, v147
	v_lshrrev_b32_e32 v159, 16, v144
	;; [unrolled: 1-line block ×3, first 2 shown]
	s_waitcnt lgkmcnt(1)
	v_lshrrev_b32_e32 v166, 16, v151
	v_cndmask_b32_e64 v174, v143, v141, s4
	v_cndmask_b32_e64 v176, v143, v141, s9
	;; [unrolled: 1-line block ×5, first 2 shown]
	s_waitcnt lgkmcnt(0)
	v_lshrrev_b32_e32 v170, 16, v155
	v_cndmask_b32_e64 v175, v147, v162, s4
	v_cndmask_b32_e64 v177, v147, v162, s9
	;; [unrolled: 1-line block ×19, first 2 shown]
	v_lshrrev_b32_e32 v160, 16, v145
	v_lshrrev_b32_e32 v164, 16, v149
	v_lshrrev_b32_e32 v167, 16, v152
	v_lshrrev_b32_e32 v171, 16, v156
	v_cndmask_b32_e64 v176, v178, v144, s15
	v_cndmask_b32_e64 v177, v179, v148, s15
	;; [unrolled: 1-line block ×8, first 2 shown]
	v_cndmask_b32_e32 v155, v166, v159, vcc_lo
	v_cndmask_b32_e32 v166, v170, v163, vcc_lo
	v_cndmask_b32_e64 v170, v174, v159, s13
	v_cndmask_b32_e64 v174, v175, v163, s13
	;; [unrolled: 1-line block ×6, first 2 shown]
	v_cndmask_b32_e32 v144, v144, v167, vcc_lo
	v_cndmask_b32_e32 v147, v147, v171, vcc_lo
	v_cndmask_b32_e64 v148, v148, v167, s13
	v_cndmask_b32_e64 v155, v155, v145, s3
	;; [unrolled: 1-line block ×7, first 2 shown]
	v_lshrrev_b32_e32 v161, 16, v146
	v_lshrrev_b32_e32 v165, 16, v150
	;; [unrolled: 1-line block ×4, first 2 shown]
	v_cndmask_b32_e64 v170, v175, v145, s21
	v_cndmask_b32_e64 v174, v176, v149, s21
	;; [unrolled: 1-line block ×22, first 2 shown]
	v_lshrrev_b32_e32 v169, 16, v154
	v_cndmask_b32_e64 v160, v163, v146, s26
	v_cndmask_b32_e64 v163, v166, v150, s26
	;; [unrolled: 1-line block ×9, first 2 shown]
	v_perm_b32 v146, v143, v141, 0x5040100
	v_cndmask_b32_e64 v141, v183, v156, s15
	v_cndmask_b32_e64 v143, v181, v156, s12
	;; [unrolled: 1-line block ×4, first 2 shown]
	v_perm_b32 v144, v159, v149, 0x5040100
	v_cndmask_b32_e64 v149, v162, v167, s17
	v_cndmask_b32_e64 v151, v151, v167, s18
	;; [unrolled: 1-line block ×15, first 2 shown]
	v_lshrrev_b32_e32 v173, 16, v158
	v_cndmask_b32_e64 v149, v149, v154, s26
	v_cndmask_b32_e64 v151, v151, v154, s27
	;; [unrolled: 1-line block ×13, first 2 shown]
	v_perm_b32 v145, v160, v155, 0x5040100
	v_perm_b32 v143, v148, v147, 0x5040100
	;; [unrolled: 1-line block ×6, first 2 shown]
	s_mul_i32 s7, s33, 3
	s_mov_b32 s3, exec_lo
	ds_store_b128 v134, v[143:146]
	ds_store_b128 v134, v[147:150] offset:1024
	v_cmpx_gt_u32_e32 3, v0
	s_cbranch_execz .LBB248_14
; %bb.13:
	s_mul_i32 s4, s7, s34
	s_load_b128 s[8:11], s[0:1], 0x58
	v_add3_u32 v143, s4, s31, v140
	s_delay_alu instid0(VALU_DEP_1) | instskip(NEXT) | instid1(VALU_DEP_1)
	v_mad_u64_u32 v[140:141], null, v143, s35, s[14:15]
	v_ashrrev_i32_e32 v141, 31, v140
	s_delay_alu instid0(VALU_DEP_1) | instskip(SKIP_1) | instid1(VALU_DEP_1)
	v_lshlrev_b64 v[140:141], 2, v[140:141]
	s_waitcnt lgkmcnt(0)
	v_add_co_u32 v143, vcc_lo, s10, v140
	s_delay_alu instid0(VALU_DEP_2)
	v_add_co_ci_u32_e32 v144, vcc_lo, s11, v141, vcc_lo
	v_add_co_u32 v140, vcc_lo, s8, v140
	v_add_co_ci_u32_e32 v141, vcc_lo, s9, v141, vcc_lo
	global_store_b32 v[143:144], v136, off
	global_store_b32 v[140:141], v142, off
.LBB248_14:
	s_or_b32 exec_lo, exec_lo, s3
	s_waitcnt lgkmcnt(0)
	s_waitcnt_vscnt null, 0x0
	s_barrier
	buffer_gl0_inv
	ds_load_b128 v[148:151], v133
	ds_load_b128 v[152:155], v133 offset:16
	ds_load_b128 v[160:163], v133 offset:1040
	;; [unrolled: 1-line block ×5, first 2 shown]
	v_cmp_eq_u32_e32 vcc_lo, 1, v132
	v_mov_b32_e32 v140, 0
	ds_load_b128 v[176:179], v133 offset:3088
	ds_load_b128 v[172:175], v133 offset:3072
	;; [unrolled: 1-line block ×4, first 2 shown]
	v_cmp_eq_u32_e64 s3, 1, v129
	v_cmp_eq_u32_e64 s4, 1, v131
	;; [unrolled: 1-line block ×3, first 2 shown]
	v_mov_b32_e32 v141, v140
	v_mov_b32_e32 v142, v140
	;; [unrolled: 1-line block ×7, first 2 shown]
	v_cmp_eq_u32_e64 s6, 2, v129
	s_waitcnt lgkmcnt(8)
	s_delay_alu instid0(VALU_DEP_2)
	v_wmma_f32_16x16x16_f16 v[140:147], v[121:128], v[148:155], v[140:147]
	ds_load_b128 v[125:128], v133 offset:5136
	ds_load_b128 v[121:124], v133 offset:5120
	s_waitcnt lgkmcnt(8)
	v_wmma_f32_16x16x16_f16 v[140:147], v[113:120], v[156:163], v[140:147]
	ds_load_b128 v[117:120], v133 offset:6160
	ds_load_b128 v[113:116], v133 offset:6144
	s_waitcnt lgkmcnt(8)
	;; [unrolled: 4-line block ×11, first 2 shown]
	s_barrier
	buffer_gl0_inv
	v_wmma_f32_16x16x16_f16 v[140:147], v[1:8], v[73:80], v[140:147]
	s_delay_alu instid0(VALU_DEP_1) | instskip(NEXT) | instid1(VALU_DEP_1)
	v_wmma_f32_16x16x16_f16 v[140:147], v[9:16], v[65:72], v[140:147]
	v_wmma_f32_16x16x16_f16 v[140:147], v[33:40], v[57:64], v[140:147]
	s_delay_alu instid0(VALU_DEP_1) | instskip(NEXT) | instid1(VALU_DEP_1)
	v_wmma_f32_16x16x16_f16 v[140:147], v[41:48], v[49:56], v[140:147]
	v_wmma_f32_16x16x16_f16 v[140:147], v[17:24], v[25:32], v[140:147]
	s_delay_alu instid0(VALU_DEP_1) | instskip(NEXT) | instid1(VALU_DEP_2)
	v_cvt_f16_f32_e64 v1, v140
	v_cvt_f16_f32_e64 v2, v141
	s_delay_alu instid0(VALU_DEP_3) | instskip(NEXT) | instid1(VALU_DEP_4)
	v_cvt_f16_f32_e64 v3, v142
	v_cvt_f16_f32_e64 v4, v143
	v_cvt_f16_f32_e64 v5, v144
	v_cvt_f16_f32_e64 v6, v145
	v_cvt_f16_f32_e64 v7, v146
	v_cvt_f16_f32_e64 v8, v147
	v_pack_b32_f16 v1, v1, v2
	v_pack_b32_f16 v2, v3, v4
	;; [unrolled: 1-line block ×3, first 2 shown]
	s_delay_alu instid0(VALU_DEP_4)
	v_pack_b32_f16 v4, v7, v8
	ds_store_b128 v134, v[1:4]
	s_waitcnt lgkmcnt(0)
	s_barrier
	buffer_gl0_inv
	ds_load_b128 v[1:4], v135
	ds_load_b128 v[5:8], v135 offset:16
	s_waitcnt lgkmcnt(1)
	v_lshrrev_b32_e32 v9, 16, v1
	s_waitcnt lgkmcnt(0)
	v_lshrrev_b32_e32 v13, 16, v5
	v_lshrrev_b32_e32 v10, 16, v2
	;; [unrolled: 1-line block ×4, first 2 shown]
	v_cndmask_b32_e64 v17, v1, v9, s3
	v_cndmask_b32_e64 v18, v5, v13, s3
	;; [unrolled: 1-line block ×3, first 2 shown]
	v_cmp_eq_u32_e64 s3, 2, v130
	v_cndmask_b32_e64 v20, v5, v13, s5
	v_cndmask_b32_e32 v21, v1, v9, vcc_lo
	v_cndmask_b32_e32 v22, v5, v13, vcc_lo
	v_cndmask_b32_e64 v1, v1, v9, s4
	v_cndmask_b32_e64 v5, v5, v13, s4
	v_cmp_eq_u32_e32 vcc_lo, 2, v132
	v_cmp_eq_u32_e64 s4, 2, v131
	v_cndmask_b32_e64 v9, v17, v2, s6
	v_cndmask_b32_e64 v13, v18, v6, s6
	;; [unrolled: 1-line block ×4, first 2 shown]
	v_cndmask_b32_e32 v19, v21, v2, vcc_lo
	v_cmp_eq_u32_e64 s3, 3, v132
	v_cndmask_b32_e32 v20, v22, v6, vcc_lo
	v_cndmask_b32_e64 v1, v1, v2, s4
	v_cmp_eq_u32_e32 vcc_lo, 3, v131
	v_cmp_eq_u32_e64 s5, 3, v129
	v_cndmask_b32_e64 v2, v5, v6, s4
	v_cmp_eq_u32_e64 s4, 3, v130
	v_cmp_eq_u32_e64 s6, 4, v129
	v_cndmask_b32_e32 v1, v1, v10, vcc_lo
	v_cndmask_b32_e64 v5, v9, v10, s5
	v_cndmask_b32_e64 v6, v13, v14, s5
	v_cndmask_b32_e64 v9, v17, v10, s4
	v_cmp_eq_u32_e64 s5, 4, v130
	v_cndmask_b32_e64 v13, v18, v14, s4
	v_cndmask_b32_e64 v17, v19, v10, s3
	;; [unrolled: 1-line block ×3, first 2 shown]
	v_cndmask_b32_e32 v2, v2, v14, vcc_lo
	v_cmp_eq_u32_e32 vcc_lo, 4, v132
	v_cmp_eq_u32_e64 s4, 4, v131
	v_lshrrev_b32_e32 v15, 16, v7
	v_cndmask_b32_e64 v5, v5, v3, s6
	v_cndmask_b32_e64 v6, v6, v7, s6
	v_cndmask_b32_e32 v14, v18, v7, vcc_lo
	v_cndmask_b32_e64 v9, v9, v3, s5
	v_cndmask_b32_e64 v10, v13, v7, s5
	v_cndmask_b32_e32 v13, v17, v3, vcc_lo
	v_cmp_eq_u32_e64 s3, 5, v132
	v_cndmask_b32_e64 v1, v1, v3, s4
	v_cmp_eq_u32_e32 vcc_lo, 5, v131
	v_cmp_eq_u32_e64 s5, 5, v129
	v_cndmask_b32_e64 v2, v2, v7, s4
	v_cmp_eq_u32_e64 s4, 5, v130
	v_cmp_eq_u32_e64 s6, 6, v129
	v_lshrrev_b32_e32 v12, 16, v4
	v_cndmask_b32_e64 v3, v5, v11, s5
	v_cndmask_b32_e64 v5, v6, v15, s5
	;; [unrolled: 1-line block ×3, first 2 shown]
	v_cmp_eq_u32_e64 s5, 6, v130
	v_cndmask_b32_e64 v7, v10, v15, s4
	v_cndmask_b32_e64 v9, v13, v11, s3
	;; [unrolled: 1-line block ×3, first 2 shown]
	v_cndmask_b32_e32 v1, v1, v11, vcc_lo
	v_cndmask_b32_e32 v2, v2, v15, vcc_lo
	v_cmp_eq_u32_e32 vcc_lo, 6, v132
	v_cmp_eq_u32_e64 s3, 6, v131
	v_lshrrev_b32_e32 v16, 16, v8
	v_cndmask_b32_e64 v3, v3, v4, s6
	v_cndmask_b32_e64 v5, v5, v8, s6
	v_cndmask_b32_e32 v9, v9, v4, vcc_lo
	v_cndmask_b32_e64 v6, v6, v4, s5
	v_cndmask_b32_e64 v7, v7, v8, s5
	v_cmp_eq_u32_e64 s4, 7, v132
	v_cndmask_b32_e32 v10, v10, v8, vcc_lo
	v_cndmask_b32_e64 v1, v1, v4, s3
	v_cmp_eq_u32_e32 vcc_lo, 7, v131
	v_cndmask_b32_e64 v2, v2, v8, s3
	v_cmp_eq_u32_e64 s3, 7, v129
	v_cmp_eq_u32_e64 s5, 7, v130
	v_cndmask_b32_e32 v1, v1, v12, vcc_lo
	s_delay_alu instid0(VALU_DEP_4) | instskip(NEXT) | instid1(VALU_DEP_4)
	v_cndmask_b32_e32 v2, v2, v16, vcc_lo
	v_cndmask_b32_e64 v8, v3, v12, s3
	s_delay_alu instid0(VALU_DEP_4)
	v_cndmask_b32_e64 v6, v6, v12, s5
	v_cndmask_b32_e64 v3, v9, v12, s4
	;; [unrolled: 1-line block ×5, first 2 shown]
	v_perm_b32 v4, v2, v1, 0x5040100
	s_mov_b32 s3, exec_lo
	v_perm_b32 v3, v9, v3, 0x5040100
	v_perm_b32 v2, v7, v6, 0x5040100
	;; [unrolled: 1-line block ×3, first 2 shown]
	ds_store_b128 v134, v[1:4]
	s_waitcnt lgkmcnt(0)
	s_barrier
	buffer_gl0_inv
	v_cmpx_gt_u32_e32 32, v0
	s_cbranch_execz .LBB248_2
; %bb.15:
	s_load_b64 s[4:5], s[0:1], 0x68
	v_lshlrev_b32_e32 v0, 10, v0
	v_lshlrev_b32_e32 v2, 4, v139
	v_add_nc_u32_e32 v1, s31, v138
	s_lshl_b32 s0, s35, 7
	s_delay_alu instid0(SALU_CYCLE_1) | instskip(NEXT) | instid1(VALU_DEP_2)
	s_mul_i32 s1, s0, s34
	v_and_or_b32 v0, 0x3800, v0, v2
	s_mul_i32 s6, s1, s7
	v_mul_lo_u32 v1, v1, s0
	s_ashr_i32 s7, s6, 31
	s_delay_alu instid0(VALU_DEP_2) | instskip(SKIP_1) | instid1(VALU_DEP_2)
	v_lshl_or_b32 v3, v138, 6, v0
	s_lshl_b64 s[6:7], s[6:7], 1
	v_ashrrev_i32_e32 v2, 31, v1
	ds_load_b128 v[3:6], v3
	s_waitcnt lgkmcnt(0)
	s_add_u32 s1, s4, s6
	s_addc_u32 s3, s5, s7
	s_lshl_b32 s4, s14, 7
	v_lshlrev_b64 v[7:8], 1, v[1:2]
	s_ashr_i32 s5, s4, 31
	s_delay_alu instid0(SALU_CYCLE_1) | instskip(NEXT) | instid1(SALU_CYCLE_1)
	s_lshl_b64 s[4:5], s[4:5], 1
	s_add_u32 s1, s1, s4
	s_addc_u32 s3, s3, s5
	v_add_co_u32 v1, s1, s1, v137
	s_delay_alu instid0(VALU_DEP_1) | instskip(NEXT) | instid1(VALU_DEP_2)
	v_add_co_ci_u32_e64 v2, null, s3, 0, s1
	v_add_co_u32 v7, vcc_lo, v1, v7
	s_delay_alu instid0(VALU_DEP_2)
	v_add_co_ci_u32_e32 v8, vcc_lo, v2, v8, vcc_lo
	global_store_b128 v[7:8], v[3:6], off
	s_and_b32 exec_lo, exec_lo, s2
	s_cbranch_execz .LBB248_2
; %bb.16:
	ds_load_b128 v[3:6], v0 offset:128
	s_add_i32 s1, s31, 2
	s_delay_alu instid0(SALU_CYCLE_1) | instskip(NEXT) | instid1(SALU_CYCLE_1)
	s_mul_i32 s0, s1, s0
	s_ashr_i32 s1, s0, 31
	s_delay_alu instid0(SALU_CYCLE_1) | instskip(NEXT) | instid1(SALU_CYCLE_1)
	s_lshl_b64 s[0:1], s[0:1], 1
	v_add_co_u32 v0, vcc_lo, v1, s0
	v_add_co_ci_u32_e32 v1, vcc_lo, s1, v2, vcc_lo
	s_waitcnt lgkmcnt(0)
	global_store_b128 v[0:1], v[3:6], off
	s_nop 0
	s_sendmsg sendmsg(MSG_DEALLOC_VGPRS)
	s_endpgm
	.section	.rodata,"a",@progbits
	.p2align	6, 0x0
	.amdhsa_kernel _Z39paged_attention_ll4mi_QKV_mfma16_kernelIDF16_DF16_LN4vllm18Fp8KVCacheDataTypeE0EhLi16ELi128ELi256ELb0ELi3EL8MFMAType0EEvPKT_PKT0_S8_ifPKiSA_SA_iPKfiiiPfSD_PS3_PT2_iSC_SC_
		.amdhsa_group_segment_fixed_size 17472
		.amdhsa_private_segment_fixed_size 0
		.amdhsa_kernarg_size 400
		.amdhsa_user_sgpr_count 13
		.amdhsa_user_sgpr_dispatch_ptr 0
		.amdhsa_user_sgpr_queue_ptr 0
		.amdhsa_user_sgpr_kernarg_segment_ptr 1
		.amdhsa_user_sgpr_dispatch_id 0
		.amdhsa_user_sgpr_private_segment_size 0
		.amdhsa_wavefront_size32 1
		.amdhsa_uses_dynamic_stack 0
		.amdhsa_enable_private_segment 0
		.amdhsa_system_sgpr_workgroup_id_x 1
		.amdhsa_system_sgpr_workgroup_id_y 1
		.amdhsa_system_sgpr_workgroup_id_z 1
		.amdhsa_system_sgpr_workgroup_info 0
		.amdhsa_system_vgpr_workitem_id 0
		.amdhsa_next_free_vgpr 218
		.amdhsa_next_free_sgpr 52
		.amdhsa_reserve_vcc 1
		.amdhsa_float_round_mode_32 0
		.amdhsa_float_round_mode_16_64 0
		.amdhsa_float_denorm_mode_32 3
		.amdhsa_float_denorm_mode_16_64 3
		.amdhsa_dx10_clamp 1
		.amdhsa_ieee_mode 1
		.amdhsa_fp16_overflow 0
		.amdhsa_workgroup_processor_mode 1
		.amdhsa_memory_ordered 1
		.amdhsa_forward_progress 0
		.amdhsa_shared_vgpr_count 0
		.amdhsa_exception_fp_ieee_invalid_op 0
		.amdhsa_exception_fp_denorm_src 0
		.amdhsa_exception_fp_ieee_div_zero 0
		.amdhsa_exception_fp_ieee_overflow 0
		.amdhsa_exception_fp_ieee_underflow 0
		.amdhsa_exception_fp_ieee_inexact 0
		.amdhsa_exception_int_div_zero 0
	.end_amdhsa_kernel
	.section	.text._Z39paged_attention_ll4mi_QKV_mfma16_kernelIDF16_DF16_LN4vllm18Fp8KVCacheDataTypeE0EhLi16ELi128ELi256ELb0ELi3EL8MFMAType0EEvPKT_PKT0_S8_ifPKiSA_SA_iPKfiiiPfSD_PS3_PT2_iSC_SC_,"axG",@progbits,_Z39paged_attention_ll4mi_QKV_mfma16_kernelIDF16_DF16_LN4vllm18Fp8KVCacheDataTypeE0EhLi16ELi128ELi256ELb0ELi3EL8MFMAType0EEvPKT_PKT0_S8_ifPKiSA_SA_iPKfiiiPfSD_PS3_PT2_iSC_SC_,comdat
.Lfunc_end248:
	.size	_Z39paged_attention_ll4mi_QKV_mfma16_kernelIDF16_DF16_LN4vllm18Fp8KVCacheDataTypeE0EhLi16ELi128ELi256ELb0ELi3EL8MFMAType0EEvPKT_PKT0_S8_ifPKiSA_SA_iPKfiiiPfSD_PS3_PT2_iSC_SC_, .Lfunc_end248-_Z39paged_attention_ll4mi_QKV_mfma16_kernelIDF16_DF16_LN4vllm18Fp8KVCacheDataTypeE0EhLi16ELi128ELi256ELb0ELi3EL8MFMAType0EEvPKT_PKT0_S8_ifPKiSA_SA_iPKfiiiPfSD_PS3_PT2_iSC_SC_
                                        ; -- End function
	.section	.AMDGPU.csdata,"",@progbits
; Kernel info:
; codeLenInByte = 8004
; NumSgprs: 54
; NumVgprs: 218
; ScratchSize: 0
; MemoryBound: 0
; FloatMode: 240
; IeeeMode: 1
; LDSByteSize: 17472 bytes/workgroup (compile time only)
; SGPRBlocks: 6
; VGPRBlocks: 27
; NumSGPRsForWavesPerEU: 54
; NumVGPRsForWavesPerEU: 218
; Occupancy: 6
; WaveLimiterHint : 1
; COMPUTE_PGM_RSRC2:SCRATCH_EN: 0
; COMPUTE_PGM_RSRC2:USER_SGPR: 13
; COMPUTE_PGM_RSRC2:TRAP_HANDLER: 0
; COMPUTE_PGM_RSRC2:TGID_X_EN: 1
; COMPUTE_PGM_RSRC2:TGID_Y_EN: 1
; COMPUTE_PGM_RSRC2:TGID_Z_EN: 1
; COMPUTE_PGM_RSRC2:TIDIG_COMP_CNT: 0
	.section	.text._Z39paged_attention_ll4mi_QKV_mfma16_kernelIDF16_DF16_LN4vllm18Fp8KVCacheDataTypeE0EhLi16ELi128ELi256ELb0ELi4EL8MFMAType0EEvPKT_PKT0_S8_ifPKiSA_SA_iPKfiiiPfSD_PS3_PT2_iSC_SC_,"axG",@progbits,_Z39paged_attention_ll4mi_QKV_mfma16_kernelIDF16_DF16_LN4vllm18Fp8KVCacheDataTypeE0EhLi16ELi128ELi256ELb0ELi4EL8MFMAType0EEvPKT_PKT0_S8_ifPKiSA_SA_iPKfiiiPfSD_PS3_PT2_iSC_SC_,comdat
	.protected	_Z39paged_attention_ll4mi_QKV_mfma16_kernelIDF16_DF16_LN4vllm18Fp8KVCacheDataTypeE0EhLi16ELi128ELi256ELb0ELi4EL8MFMAType0EEvPKT_PKT0_S8_ifPKiSA_SA_iPKfiiiPfSD_PS3_PT2_iSC_SC_ ; -- Begin function _Z39paged_attention_ll4mi_QKV_mfma16_kernelIDF16_DF16_LN4vllm18Fp8KVCacheDataTypeE0EhLi16ELi128ELi256ELb0ELi4EL8MFMAType0EEvPKT_PKT0_S8_ifPKiSA_SA_iPKfiiiPfSD_PS3_PT2_iSC_SC_
	.globl	_Z39paged_attention_ll4mi_QKV_mfma16_kernelIDF16_DF16_LN4vllm18Fp8KVCacheDataTypeE0EhLi16ELi128ELi256ELb0ELi4EL8MFMAType0EEvPKT_PKT0_S8_ifPKiSA_SA_iPKfiiiPfSD_PS3_PT2_iSC_SC_
	.p2align	8
	.type	_Z39paged_attention_ll4mi_QKV_mfma16_kernelIDF16_DF16_LN4vllm18Fp8KVCacheDataTypeE0EhLi16ELi128ELi256ELb0ELi4EL8MFMAType0EEvPKT_PKT0_S8_ifPKiSA_SA_iPKfiiiPfSD_PS3_PT2_iSC_SC_,@function
_Z39paged_attention_ll4mi_QKV_mfma16_kernelIDF16_DF16_LN4vllm18Fp8KVCacheDataTypeE0EhLi16ELi128ELi256ELb0ELi4EL8MFMAType0EEvPKT_PKT0_S8_ifPKiSA_SA_iPKfiiiPfSD_PS3_PT2_iSC_SC_: ; @_Z39paged_attention_ll4mi_QKV_mfma16_kernelIDF16_DF16_LN4vllm18Fp8KVCacheDataTypeE0EhLi16ELi128ELi256ELb0ELi4EL8MFMAType0EEvPKT_PKT0_S8_ifPKiSA_SA_iPKfiiiPfSD_PS3_PT2_iSC_SC_
; %bb.0:
	s_load_b64 s[4:5], s[0:1], 0x30
	s_mov_b32 s30, s13
	s_waitcnt lgkmcnt(0)
	s_cmp_lg_u64 s[4:5], 0
	s_cselect_b32 s12, -1, 0
	s_ashr_i32 s31, s13, 31
	s_cmp_eq_u64 s[4:5], 0
	s_cbranch_scc1 .LBB249_3
; %bb.1:
	s_lshl_b64 s[2:3], s[30:31], 2
	s_delay_alu instid0(SALU_CYCLE_1) | instskip(SKIP_4) | instid1(SALU_CYCLE_1)
	s_add_u32 s2, s4, s2
	s_addc_u32 s3, s5, s3
	s_load_b64 s[2:3], s[2:3], 0x0
	s_waitcnt lgkmcnt(0)
	s_sub_i32 s2, s3, s2
	s_cmp_eq_u32 s2, 1
	s_cselect_b32 s2, -1, 0
	s_delay_alu instid0(SALU_CYCLE_1)
	s_and_not1_b32 vcc_lo, exec_lo, s2
	s_cbranch_vccz .LBB249_4
.LBB249_2:
	s_endpgm
.LBB249_3:
.LBB249_4:
	s_load_b64 s[2:3], s[0:1], 0x28
	s_lshl_b64 s[6:7], s[30:31], 2
	s_waitcnt lgkmcnt(0)
	s_add_u32 s2, s2, s6
	s_addc_u32 s3, s3, s7
	s_lshl_b32 s29, s14, 8
	s_load_b32 s28, s[2:3], 0x0
	s_waitcnt lgkmcnt(0)
	s_cmp_ge_i32 s29, s28
	s_cbranch_scc1 .LBB249_2
; %bb.5:
	s_clause 0x1
	s_load_b128 s[8:11], s[0:1], 0x8
	s_load_b64 s[2:3], s[0:1], 0x20
	s_and_not1_b32 vcc_lo, exec_lo, s12
	s_cbranch_vccnz .LBB249_7
; %bb.6:
	s_add_u32 s4, s4, s6
	s_addc_u32 s5, s5, s7
	s_load_b32 s12, s[4:5], 0x0
	s_branch .LBB249_8
.LBB249_7:
	s_mov_b32 s12, s30
.LBB249_8:
	s_load_b128 s[4:7], s[0:1], 0x48
	v_and_b32_e32 v141, 15, v0
	v_lshrrev_b32_e32 v140, 5, v0
	v_and_b32_e32 v142, 31, v0
	v_and_b32_e32 v139, 1, v0
	v_bfe_u32 v138, v0, 4, 1
	v_lshlrev_b32_e32 v1, 3, v141
	s_lshl_b32 s31, s15, 2
	s_waitcnt lgkmcnt(0)
	s_mov_b32 s7, exec_lo
	s_delay_alu instid0(VALU_DEP_1)
	v_lshlrev_b32_e32 v137, 1, v1
	v_cmpx_gt_u32_e32 64, v0
	s_cbranch_execz .LBB249_10
; %bb.9:
	v_lshl_or_b32 v5, v140, 1, v138
	s_load_b64 s[16:17], s[0:1], 0x0
	s_mul_hi_i32 s13, s12, s4
	s_mul_i32 s12, s12, s4
	v_lshlrev_b32_e32 v6, 10, v141
	v_or_b32_e32 v1, s31, v5
	s_lshl_b64 s[12:13], s[12:13], 1
	v_lshlrev_b32_e32 v5, 6, v5
	v_lshlrev_b32_e32 v7, 10, v139
	v_and_b32_e32 v6, 0x3800, v6
	v_lshlrev_b32_e32 v1, 7, v1
	s_delay_alu instid0(VALU_DEP_2) | instskip(NEXT) | instid1(VALU_DEP_2)
	v_or3_b32 v5, v6, v7, v5
	v_ashrrev_i32_e32 v2, 31, v1
	s_delay_alu instid0(VALU_DEP_1) | instskip(SKIP_3) | instid1(VALU_DEP_1)
	v_lshlrev_b64 v[1:2], 1, v[1:2]
	s_waitcnt lgkmcnt(0)
	s_add_u32 s4, s16, s12
	s_addc_u32 s12, s17, s13
	v_add_co_u32 v1, vcc_lo, s4, v1
	s_delay_alu instid0(VALU_DEP_2) | instskip(NEXT) | instid1(VALU_DEP_2)
	v_add_co_ci_u32_e32 v2, vcc_lo, s12, v2, vcc_lo
	v_add_co_u32 v1, vcc_lo, v1, v137
	s_delay_alu instid0(VALU_DEP_2)
	v_add_co_ci_u32_e32 v2, vcc_lo, 0, v2, vcc_lo
	global_load_b128 v[1:4], v[1:2], off
	s_waitcnt vmcnt(0)
	ds_store_b128 v5, v[1:4]
.LBB249_10:
	s_or_b32 exec_lo, exec_lo, s7
	s_mov_b32 s40, 0
	s_add_i32 s4, s28, 15
	s_mov_b32 s41, s40
	s_mov_b32 s42, s40
	;; [unrolled: 1-line block ×7, first 2 shown]
	s_delay_alu instid0(SALU_CYCLE_1)
	v_dual_mov_b32 v136, s47 :: v_dual_and_b32 v1, 0xef, v0
	v_mov_b32_e32 v134, s45
	s_clause 0x1
	s_load_b32 s7, s[0:1], 0x38
	s_load_b32 s33, s[0:1], 0x98
	v_add_nc_u32_e32 v1, s29, v1
	s_ashr_i32 s12, s4, 31
	s_load_b32 s34, s[0:1], 0x1c
	s_lshr_b32 s12, s12, 28
	s_waitcnt lgkmcnt(0)
	v_ashrrev_i32_e32 v2, 31, v1
	s_add_i32 s4, s4, s12
	v_cmp_gt_i32_e32 vcc_lo, s28, v1
	v_mov_b32_e32 v135, s46
	s_ashr_i32 s4, s4, 4
	v_lshrrev_b32_e32 v3, 28, v2
	v_or_b32_e32 v2, 16, v1
	s_add_i32 s4, s4, -1
	v_mov_b32_e32 v132, s43
	s_barrier
	v_add_nc_u32_e32 v4, v1, v3
	v_add_nc_u32_e32 v3, v2, v3
	buffer_gl0_inv
	v_lshlrev_b32_e32 v106, 5, v141
	s_mul_i32 s12, s30, s7
	v_ashrrev_i32_e32 v4, 4, v4
	v_ashrrev_i32_e32 v3, 4, v3
	s_ashr_i32 s13, s12, 31
	v_and_b32_e32 v105, 3, v0
	s_lshl_b64 s[12:13], s[12:13], 2
	v_cndmask_b32_e32 v1, s4, v4, vcc_lo
	v_cmp_gt_i32_e32 vcc_lo, s28, v2
	s_add_u32 s35, s2, s12
	s_addc_u32 s36, s3, s13
	s_mul_i32 s2, s15, s6
	v_ashrrev_i32_e32 v2, 31, v1
	v_cndmask_b32_e32 v3, s4, v3, vcc_lo
	s_ashr_i32 s3, s2, 31
	v_lshlrev_b32_e32 v215, 6, v105
	s_lshl_b64 s[2:3], s[2:3], 1
	v_lshlrev_b64 v[1:2], 2, v[1:2]
	v_ashrrev_i32_e32 v4, 31, v3
	s_add_u32 s22, s8, s2
	s_addc_u32 s23, s9, s3
	s_lshl_b32 s6, s14, 4
	v_lshl_or_b32 v125, v140, 9, v106
	v_lshlrev_b64 v[3:4], 2, v[3:4]
	v_add_co_u32 v1, vcc_lo, s35, v1
	v_add_co_ci_u32_e32 v2, vcc_lo, s36, v2, vcc_lo
	s_ashr_i32 s7, s6, 31
	s_delay_alu instid0(VALU_DEP_3) | instskip(NEXT) | instid1(VALU_DEP_4)
	v_add_co_u32 v3, vcc_lo, s35, v3
	v_add_co_ci_u32_e32 v4, vcc_lo, s36, v4, vcc_lo
	s_clause 0x1
	global_load_b32 v5, v[1:2], off
	global_load_b32 v6, v[3:4], off
	s_lshl_b64 s[6:7], s[6:7], 2
	v_dual_mov_b32 v130, s41 :: v_dual_lshlrev_b32 v3, 4, v0
	s_add_u32 s6, s35, s6
	s_addc_u32 s7, s36, s7
	s_or_b32 s8, s29, 16
	v_mov_b32_e32 v133, s44
	s_ashr_i32 s9, s8, 4
	s_cmp_lt_i32 s8, s28
	v_mov_b32_e32 v131, s42
	s_cselect_b32 s8, s9, s4
	v_mov_b32_e32 v129, s40
	s_ashr_i32 s9, s8, 31
	s_delay_alu instid0(SALU_CYCLE_1) | instskip(NEXT) | instid1(SALU_CYCLE_1)
	s_lshl_b64 s[8:9], s[8:9], 2
	s_add_u32 s8, s35, s8
	s_addc_u32 s9, s36, s9
	s_or_b32 s12, s29, 32
	s_delay_alu instid0(SALU_CYCLE_1) | instskip(SKIP_2) | instid1(SALU_CYCLE_1)
	s_ashr_i32 s13, s12, 4
	s_cmp_lt_i32 s12, s28
	s_cselect_b32 s12, s13, s4
	s_ashr_i32 s13, s12, 31
	s_delay_alu instid0(SALU_CYCLE_1) | instskip(NEXT) | instid1(SALU_CYCLE_1)
	s_lshl_b64 s[12:13], s[12:13], 2
	s_add_u32 s12, s35, s12
	s_addc_u32 s13, s36, s13
	s_or_b32 s15, s29, 48
	s_delay_alu instid0(SALU_CYCLE_1) | instskip(SKIP_2) | instid1(SALU_CYCLE_1)
	s_ashr_i32 s16, s15, 4
	s_cmp_lt_i32 s15, s28
	s_cselect_b32 s16, s16, s4
	;; [unrolled: 10-line block ×4, first 2 shown]
	s_ashr_i32 s21, s20, 31
	s_delay_alu instid0(SALU_CYCLE_1) | instskip(NEXT) | instid1(SALU_CYCLE_1)
	s_lshl_b64 s[20:21], s[20:21], 2
	s_add_u32 s20, s35, s20
	s_addc_u32 s21, s36, s21
	s_clause 0x5
	s_load_b32 s6, s[6:7], 0x0
	s_load_b32 s8, s[8:9], 0x0
	;; [unrolled: 1-line block ×6, first 2 shown]
	s_waitcnt vmcnt(1)
	v_mad_i64_i32 v[1:2], null, v5, s5, 0
	v_and_b32_e32 v5, 0xf0, v3
	s_waitcnt vmcnt(0)
	v_mad_i64_i32 v[3:4], null, v6, s5, 0
	s_delay_alu instid0(VALU_DEP_2) | instskip(NEXT) | instid1(VALU_DEP_4)
	v_add_co_u32 v5, s7, s22, v5
	v_lshlrev_b64 v[1:2], 1, v[1:2]
	v_add_co_ci_u32_e64 v6, null, s23, 0, s7
	s_delay_alu instid0(VALU_DEP_4) | instskip(SKIP_1) | instid1(VALU_DEP_3)
	v_lshlrev_b64 v[3:4], 1, v[3:4]
	s_or_b32 s7, s29, 0x60
	v_add_co_u32 v121, vcc_lo, v5, v1
	s_delay_alu instid0(VALU_DEP_3) | instskip(NEXT) | instid1(VALU_DEP_3)
	v_add_co_ci_u32_e32 v122, vcc_lo, v6, v2, vcc_lo
	v_add_co_u32 v123, vcc_lo, v5, v3
	s_delay_alu instid0(VALU_DEP_4)
	v_add_co_ci_u32_e32 v124, vcc_lo, v6, v4, vcc_lo
	s_clause 0x19
	global_load_b128 v[89:92], v[121:122], off
	global_load_b128 v[93:96], v[121:122], off offset:256
	global_load_b128 v[97:100], v[123:124], off
	global_load_b128 v[101:104], v[123:124], off offset:256
	global_load_b128 v[81:84], v[121:122], off offset:512
	;; [unrolled: 1-line block ×23, first 2 shown]
	s_ashr_i32 s9, s7, 4
	s_cmp_lt_i32 s7, s28
	ds_load_b128 v[105:108], v215
	ds_load_b128 v[109:112], v215 offset:1024
	s_cselect_b32 s20, s9, s4
	ds_load_b128 v[113:116], v215 offset:2048
	ds_load_b128 v[117:120], v215 offset:3072
	s_ashr_i32 s21, s20, 31
	ds_load_b128 v[143:146], v215 offset:4096
	ds_load_b128 v[147:150], v215 offset:5120
	s_lshl_b64 s[20:21], s[20:21], 2
	ds_load_b128 v[151:154], v215 offset:6144
	ds_load_b128 v[155:158], v215 offset:7168
	s_add_u32 s20, s35, s20
	s_addc_u32 s21, s36, s21
	s_or_b32 s7, s29, 0x70
	ds_load_b128 v[159:162], v215 offset:8192
	ds_load_b128 v[163:166], v215 offset:9216
	s_ashr_i32 s9, s7, 4
	s_cmp_lt_i32 s7, s28
	s_clause 0x1
	global_load_b128 v[167:170], v[123:124], off offset:3072
	global_load_b128 v[171:174], v[123:124], off offset:3328
	s_cselect_b32 s22, s9, s4
	s_delay_alu instid0(SALU_CYCLE_1) | instskip(NEXT) | instid1(SALU_CYCLE_1)
	s_ashr_i32 s23, s22, 31
	s_lshl_b64 s[22:23], s[22:23], 2
	s_delay_alu instid0(SALU_CYCLE_1)
	s_add_u32 s22, s35, s22
	s_addc_u32 s23, s36, s23
	s_clause 0x1
	s_load_b32 s44, s[20:21], 0x0
	s_load_b32 s45, s[22:23], 0x0
	s_clause 0x3
	global_load_b128 v[175:178], v[121:122], off offset:3584
	global_load_b128 v[179:182], v[121:122], off offset:3840
	;; [unrolled: 1-line block ×4, first 2 shown]
	s_or_b32 s7, s29, 0x80
	s_delay_alu instid0(SALU_CYCLE_1) | instskip(SKIP_2) | instid1(SALU_CYCLE_1)
	s_ashr_i32 s9, s7, 4
	s_cmp_lt_i32 s7, s28
	s_cselect_b32 s24, s9, s4
	s_ashr_i32 s25, s24, 31
	s_delay_alu instid0(SALU_CYCLE_1) | instskip(NEXT) | instid1(SALU_CYCLE_1)
	s_lshl_b64 s[24:25], s[24:25], 2
	s_add_u32 s24, s35, s24
	s_addc_u32 s25, s36, s25
	s_or_b32 s7, s29, 0x90
	s_delay_alu instid0(SALU_CYCLE_1) | instskip(SKIP_2) | instid1(SALU_CYCLE_1)
	s_ashr_i32 s9, s7, 4
	s_cmp_lt_i32 s7, s28
	s_cselect_b32 s26, s9, s4
	s_ashr_i32 s27, s26, 31
	s_delay_alu instid0(SALU_CYCLE_1) | instskip(NEXT) | instid1(SALU_CYCLE_1)
	s_lshl_b64 s[26:27], s[26:27], 2
	s_add_u32 s26, s35, s26
	s_addc_u32 s27, s36, s27
	s_or_b32 s7, s29, 0xa0
	s_delay_alu instid0(SALU_CYCLE_1)
	s_ashr_i32 s9, s7, 4
	s_cmp_lt_i32 s7, s28
	s_waitcnt lgkmcnt(0)
	s_mul_hi_i32 s7, s6, s5
	s_cselect_b32 s38, s9, s4
	s_mul_i32 s6, s6, s5
	s_ashr_i32 s39, s38, 31
	s_delay_alu instid0(SALU_CYCLE_1) | instskip(NEXT) | instid1(SALU_CYCLE_1)
	s_lshl_b64 s[38:39], s[38:39], 2
	s_add_u32 s38, s35, s38
	s_addc_u32 s39, s36, s39
	s_or_b32 s9, s29, 0xb0
	s_load_b32 s39, s[38:39], 0x0
	s_ashr_i32 s13, s9, 4
	s_cmp_lt_i32 s9, s28
	s_mul_hi_i32 s9, s8, s5
	s_cselect_b32 s40, s13, s4
	s_mul_i32 s8, s8, s5
	s_ashr_i32 s41, s40, 31
	s_mul_hi_i32 s13, s12, s5
	s_lshl_b64 s[40:41], s[40:41], 2
	s_mul_i32 s12, s12, s5
	s_add_u32 s42, s35, s40
	s_addc_u32 s43, s36, s41
	s_or_b32 s17, s29, 0xc0
	s_delay_alu instid0(SALU_CYCLE_1)
	s_ashr_i32 s19, s17, 4
	s_cmp_lt_i32 s17, s28
	s_mul_hi_i32 s17, s16, s5
	s_cselect_b32 s40, s19, s4
	s_mul_i32 s16, s16, s5
	s_ashr_i32 s41, s40, 31
	s_mul_hi_i32 s19, s18, s5
	s_lshl_b64 s[40:41], s[40:41], 2
	s_mul_i32 s18, s18, s5
	s_add_u32 s22, s35, s40
	s_addc_u32 s23, s36, s41
	s_or_b32 s20, s29, 0xd0
	s_clause 0x1
	s_load_b32 s41, s[24:25], 0x0
	s_load_b32 s40, s[26:27], 0x0
	s_ashr_i32 s21, s20, 4
	s_cmp_lt_i32 s20, s28
	s_mul_i32 s20, s15, s5
	s_cselect_b32 s24, s21, s4
	s_mul_hi_i32 s21, s15, s5
	s_ashr_i32 s25, s24, 31
	s_delay_alu instid0(SALU_CYCLE_1) | instskip(NEXT) | instid1(SALU_CYCLE_1)
	s_lshl_b64 s[24:25], s[24:25], 2
	s_add_u32 s24, s35, s24
	s_addc_u32 s25, s36, s25
	s_or_b32 s46, s29, 0xe0
	s_clause 0x2
	s_load_b32 s38, s[42:43], 0x0
	s_load_b32 s37, s[22:23], 0x0
	;; [unrolled: 1-line block ×3, first 2 shown]
	s_ashr_i32 s47, s46, 4
	s_cmp_lt_i32 s46, s28
	s_mul_hi_i32 s23, s44, s5
	s_cselect_b32 s42, s47, s4
	s_mul_i32 s22, s44, s5
	s_ashr_i32 s43, s42, 31
	s_mul_hi_i32 s25, s45, s5
	s_lshl_b64 s[42:43], s[42:43], 2
	s_mul_i32 s24, s45, s5
	s_add_u32 s42, s35, s42
	s_addc_u32 s43, s36, s43
	s_or_b32 s46, s29, 0xf0
	s_waitcnt lgkmcnt(0)
	s_mul_hi_i32 s27, s41, s5
	s_ashr_i32 s47, s46, 4
	s_cmp_lt_i32 s46, s28
	s_mul_i32 s26, s41, s5
	s_cselect_b32 s46, s47, s4
	s_mul_hi_i32 s41, s40, s5
	s_ashr_i32 s47, s46, 31
	s_mul_hi_i32 s51, s15, s5
	s_lshl_b64 s[46:47], s[46:47], 2
	s_mul_i32 s50, s15, s5
	s_add_u32 s46, s35, s46
	s_addc_u32 s47, s36, s47
	s_add_u32 s4, s10, s2
	s_addc_u32 s15, s11, s3
	v_add_co_u32 v216, s4, s4, v125
	s_delay_alu instid0(VALU_DEP_1) | instskip(SKIP_2) | instid1(VALU_DEP_2)
	v_add_co_ci_u32_e64 v217, null, s15, 0, s4
	s_lshl_b64 s[2:3], s[6:7], 1
	s_lshl_b64 s[6:7], s[8:9], 1
	v_add_co_u32 v125, vcc_lo, v216, s2
	s_delay_alu instid0(VALU_DEP_2)
	v_add_co_ci_u32_e32 v126, vcc_lo, s3, v217, vcc_lo
	v_add_co_u32 v199, vcc_lo, v216, s6
	s_lshl_b64 s[8:9], s[12:13], 1
	v_add_co_ci_u32_e32 v200, vcc_lo, s7, v217, vcc_lo
	s_lshl_b64 s[10:11], s[16:17], 1
	s_lshl_b64 s[12:13], s[18:19], 1
	;; [unrolled: 1-line block ×6, first 2 shown]
	s_mul_i32 s40, s40, s5
	s_mul_hi_i32 s45, s39, s5
	s_lshl_b64 s[24:25], s[40:41], 1
	s_mul_i32 s44, s39, s5
	s_mul_hi_i32 s39, s38, s5
	s_lshl_b64 s[26:27], s[44:45], 1
	s_mul_i32 s38, s38, s5
	s_mul_hi_i32 s49, s37, s5
	s_mul_i32 s48, s37, s5
	s_lshl_b64 s[36:37], s[38:39], 1
	s_lshl_b64 s[38:39], s[48:49], 1
	s_clause 0x1
	s_load_b32 s4, s[42:43], 0x0
	s_load_b32 s15, s[46:47], 0x0
	s_lshl_b64 s[40:41], s[50:51], 1
	s_waitcnt lgkmcnt(0)
	s_mul_hi_i32 s3, s4, s5
	s_mul_i32 s2, s4, s5
	s_mul_hi_i32 s7, s15, s5
	s_lshl_b64 s[2:3], s[2:3], 1
	s_mul_i32 s6, s15, s5
	s_waitcnt vmcnt(30)
	v_wmma_f32_16x16x16_f16 v[191:198], v[89:96], v[105:112], v[129:136]
	v_add_co_u32 v89, vcc_lo, v216, s8
	v_add_co_ci_u32_e32 v90, vcc_lo, s9, v217, vcc_lo
	v_add_co_u32 v91, vcc_lo, v216, s10
	v_add_co_ci_u32_e32 v92, vcc_lo, s11, v217, vcc_lo
	;; [unrolled: 2-line block ×5, first 2 shown]
	v_add_co_u32 v205, vcc_lo, v216, s20
	s_waitcnt vmcnt(28)
	v_wmma_f32_16x16x16_f16 v[129:136], v[97:104], v[105:112], v[129:136]
	v_add_co_ci_u32_e32 v206, vcc_lo, s21, v217, vcc_lo
	v_add_co_u32 v207, vcc_lo, v216, s22
	v_add_co_ci_u32_e32 v208, vcc_lo, s23, v217, vcc_lo
	v_add_co_u32 v209, vcc_lo, v216, s24
	s_waitcnt vmcnt(26)
	v_wmma_f32_16x16x16_f16 v[191:198], v[81:88], v[113:120], v[191:198]
	s_waitcnt vmcnt(24)
	v_wmma_f32_16x16x16_f16 v[129:136], v[73:80], v[113:120], v[129:136]
	v_add_co_ci_u32_e32 v210, vcc_lo, s25, v217, vcc_lo
	v_add_co_u32 v211, vcc_lo, v216, s26
	v_add_co_ci_u32_e32 v212, vcc_lo, s27, v217, vcc_lo
	v_add_co_u32 v213, vcc_lo, v216, s36
	s_waitcnt vmcnt(22)
	v_wmma_f32_16x16x16_f16 v[191:198], v[65:72], v[143:150], v[191:198]
	s_waitcnt vmcnt(20)
	v_wmma_f32_16x16x16_f16 v[129:136], v[57:64], v[143:150], v[129:136]
	v_add_co_ci_u32_e32 v214, vcc_lo, s37, v217, vcc_lo
	v_add_co_u32 v143, vcc_lo, v216, s38
	s_waitcnt vmcnt(18)
	v_wmma_f32_16x16x16_f16 v[191:198], v[49:56], v[151:158], v[191:198]
	s_waitcnt vmcnt(16)
	v_wmma_f32_16x16x16_f16 v[129:136], v[25:32], v[151:158], v[129:136]
	v_add_co_ci_u32_e32 v144, vcc_lo, s39, v217, vcc_lo
	s_clause 0x15
	global_load_b128 v[121:124], v[125:126], off
	global_load_b128 v[125:128], v[125:126], off offset:16
	global_load_b128 v[113:116], v[199:200], off
	global_load_b128 v[117:120], v[199:200], off offset:16
	;; [unrolled: 2-line block ×11, first 2 shown]
	s_waitcnt vmcnt(36)
	v_wmma_f32_16x16x16_f16 v[191:198], v[1:8], v[159:166], v[191:198]
	s_clause 0x1
	global_load_b128 v[1:4], v[213:214], off
	global_load_b128 v[5:8], v[213:214], off offset:16
	s_waitcnt vmcnt(36)
	v_wmma_f32_16x16x16_f16 v[129:136], v[9:16], v[159:166], v[129:136]
	s_clause 0x1
	global_load_b128 v[9:12], v[143:144], off
	global_load_b128 v[13:16], v[143:144], off offset:16
	ds_load_b128 v[143:146], v215 offset:10240
	ds_load_b128 v[147:150], v215 offset:11264
	;; [unrolled: 1-line block ×4, first 2 shown]
	v_add_co_u32 v199, vcc_lo, v216, s40
	v_add_co_ci_u32_e32 v200, vcc_lo, s41, v217, vcc_lo
	v_add_co_u32 v159, vcc_lo, v216, s2
	v_add_co_ci_u32_e32 v160, vcc_lo, s3, v217, vcc_lo
	s_lshl_b64 s[2:3], s[6:7], 1
	s_delay_alu instid0(SALU_CYCLE_1)
	v_add_co_u32 v161, vcc_lo, v216, s2
	v_add_co_ci_u32_e32 v162, vcc_lo, s3, v217, vcc_lo
	s_waitcnt vmcnt(36) lgkmcnt(2)
	v_wmma_f32_16x16x16_f16 v[191:198], v[41:48], v[143:150], v[191:198]
	s_waitcnt vmcnt(34)
	v_wmma_f32_16x16x16_f16 v[129:136], v[33:40], v[143:150], v[129:136]
	s_clause 0x3
	global_load_b128 v[33:36], v[199:200], off
	global_load_b128 v[37:40], v[199:200], off offset:16
	global_load_b128 v[41:44], v[159:160], off
	global_load_b128 v[45:48], v[159:160], off offset:16
	v_and_b32_e32 v143, 0xe0, v0
	v_mbcnt_lo_u32_b32 v159, -1, 0
	s_waitcnt vmcnt(36) lgkmcnt(0)
	v_wmma_f32_16x16x16_f16 v[191:198], v[17:24], v[151:158], v[191:198]
	s_clause 0x1
	global_load_b128 v[17:20], v[161:162], off
	global_load_b128 v[21:24], v[161:162], off offset:16
	s_waitcnt vmcnt(36)
	v_wmma_f32_16x16x16_f16 v[129:136], v[167:174], v[151:158], v[129:136]
	v_add_nc_u32_e32 v160, s29, v143
	ds_load_b128 v[143:146], v215 offset:14336
	ds_load_b128 v[147:150], v215 offset:15360
	v_xor_b32_e32 v151, 16, v159
	s_waitcnt vmcnt(0) lgkmcnt(0)
	s_barrier
	v_or_b32_e32 v152, v160, v138
	buffer_gl0_inv
	v_cmp_gt_i32_e32 vcc_lo, 32, v151
	v_or_b32_e32 v153, 2, v152
	v_or_b32_e32 v154, 4, v152
	;; [unrolled: 1-line block ×5, first 2 shown]
	v_cmp_gt_i32_e64 s2, s28, v153
	v_cmp_gt_i32_e64 s3, s28, v154
	;; [unrolled: 1-line block ×3, first 2 shown]
	v_or_b32_e32 v158, 12, v152
	v_cmp_gt_i32_e64 s5, s28, v156
	v_cmp_gt_i32_e64 s6, s28, v157
	v_wmma_f32_16x16x16_f16 v[191:198], v[175:182], v[143:150], v[191:198]
	v_wmma_f32_16x16x16_f16 v[129:136], v[183:190], v[143:150], v[129:136]
	v_cndmask_b32_e32 v151, v159, v151, vcc_lo
	v_cmp_gt_i32_e32 vcc_lo, s28, v152
	v_or_b32_e32 v159, 14, v152
	v_dual_mul_f32 v149, s34, v192 :: v_dual_mul_f32 v150, s34, v191
	v_dual_mul_f32 v147, s34, v194 :: v_dual_mul_f32 v148, s34, v193
	;; [unrolled: 1-line block ×3, first 2 shown]
	s_delay_alu instid0(VALU_DEP_3) | instskip(NEXT) | instid1(VALU_DEP_4)
	v_cndmask_b32_e32 v150, 0xff7fffff, v150, vcc_lo
	v_cndmask_b32_e64 v149, 0xff7fffff, v149, s2
	v_mul_f32_e32 v146, s34, v195
	v_cndmask_b32_e64 v148, 0xff7fffff, v148, s3
	v_cndmask_b32_e64 v147, 0xff7fffff, v147, s4
	v_or_b32_e32 v160, 16, v152
	v_max3_f32 v149, v150, 0xff7fffff, v149
	v_or_b32_e32 v161, 18, v152
	v_mul_f32_e32 v144, s34, v197
	v_dual_mul_f32 v172, s34, v132 :: v_dual_mul_f32 v143, s34, v198
	v_cndmask_b32_e64 v146, 0xff7fffff, v146, s5
	v_cndmask_b32_e64 v145, 0xff7fffff, v145, s6
	v_max3_f32 v147, v149, v148, v147
	v_cmp_gt_i32_e64 s7, s28, v158
	v_cmp_gt_i32_e64 s8, s28, v159
	v_or_b32_e32 v162, 20, v152
	v_or_b32_e32 v163, 22, v152
	v_mul_f32_e32 v175, s34, v129
	v_cndmask_b32_e64 v144, 0xff7fffff, v144, s7
	v_max3_f32 v145, v147, v146, v145
	v_cmp_gt_i32_e64 s9, s28, v160
	v_cmp_gt_i32_e64 s10, s28, v161
	v_lshlrev_b32_e32 v160, 2, v151
	v_cndmask_b32_e64 v143, 0xff7fffff, v143, s8
	v_or_b32_e32 v164, 24, v152
	v_or_b32_e32 v165, 26, v152
	v_mul_f32_e32 v173, s34, v131
	v_cndmask_b32_e64 v146, 0xff7fffff, v175, s9
	v_cndmask_b32_e64 v147, 0xff7fffff, v174, s10
	v_max3_f32 v143, v145, v144, v143
	v_cmp_gt_i32_e64 s11, s28, v162
	v_cmp_gt_i32_e64 s12, s28, v163
	v_or_b32_e32 v166, 28, v152
	v_or_b32_e32 v167, 30, v152
	v_dual_mul_f32 v170, s34, v134 :: v_dual_mul_f32 v171, s34, v133
	v_cndmask_b32_e64 v144, 0xff7fffff, v173, s11
	v_cndmask_b32_e64 v145, 0xff7fffff, v172, s12
	v_max3_f32 v143, v143, v146, v147
	v_cmp_gt_i32_e64 s13, s28, v164
	v_cmp_gt_i32_e64 s15, s28, v165
	v_dual_mul_f32 v168, s34, v136 :: v_dual_mul_f32 v169, s34, v135
	s_delay_alu instid0(VALU_DEP_4) | instskip(NEXT) | instid1(VALU_DEP_4)
	v_max3_f32 v143, v143, v144, v145
	v_cndmask_b32_e64 v146, 0xff7fffff, v171, s13
	s_delay_alu instid0(VALU_DEP_4) | instskip(SKIP_2) | instid1(VALU_DEP_3)
	v_cndmask_b32_e64 v147, 0xff7fffff, v170, s15
	v_cmp_gt_i32_e64 s16, s28, v166
	v_cmp_gt_i32_e64 s17, s28, v167
	v_max3_f32 v143, v143, v146, v147
	s_delay_alu instid0(VALU_DEP_3) | instskip(NEXT) | instid1(VALU_DEP_3)
	v_cndmask_b32_e64 v144, 0xff7fffff, v169, s16
	v_cndmask_b32_e64 v145, 0xff7fffff, v168, s17
	s_delay_alu instid0(VALU_DEP_1) | instskip(SKIP_3) | instid1(VALU_DEP_1)
	v_max3_f32 v143, v143, v144, v145
	ds_bpermute_b32 v144, v160, v143
	s_waitcnt lgkmcnt(0)
	v_max_f32_e32 v144, v144, v144
	v_max_f32_e32 v159, v143, v144
	s_delay_alu instid0(VALU_DEP_1) | instskip(SKIP_4) | instid1(VALU_DEP_4)
	v_fma_f32 v145, s34, v193, -v159
	v_fma_f32 v146, s34, v194, -v159
	;; [unrolled: 1-line block ×5, first 2 shown]
	v_dual_mul_f32 v145, 0x3fb8aa3b, v145 :: v_dual_mul_f32 v146, 0x3fb8aa3b, v146
	s_delay_alu instid0(VALU_DEP_4) | instskip(SKIP_1) | instid1(VALU_DEP_4)
	v_mul_f32_e32 v132, 0x3fb8aa3b, v132
	v_fma_f32 v148, s34, v195, -v159
	v_mul_f32_e32 v144, 0x3fb8aa3b, v144
	s_delay_alu instid0(VALU_DEP_4)
	v_exp_f32_e32 v145, v145
	v_exp_f32_e32 v150, v146
	v_fma_f32 v149, s34, v196, -v159
	v_mul_f32_e32 v148, 0x3fb8aa3b, v148
	v_exp_f32_e32 v147, v144
	v_fma_f32 v134, s34, v134, -v159
	v_fma_f32 v151, s34, v197, -v159
	v_mul_f32_e32 v149, 0x3fb8aa3b, v149
	v_exp_f32_e32 v148, v148
	v_fma_f32 v152, s34, v198, -v159
	v_cndmask_b32_e64 v146, 0, v145, s3
	v_cndmask_b32_e64 v145, 0, v150, s4
	v_dual_mul_f32 v143, 0x3fb8aa3b, v143 :: v_dual_mul_f32 v134, 0x3fb8aa3b, v134
	v_mul_f32_e32 v151, 0x3fb8aa3b, v151
	v_exp_f32_e32 v149, v149
	v_fma_f32 v129, s34, v129, -v159
	s_delay_alu instid0(VALU_DEP_3)
	v_exp_f32_e32 v143, v143
	v_mul_f32_e32 v150, 0x3fb8aa3b, v152
	v_exp_f32_e32 v151, v151
	v_cndmask_b32_e64 v148, 0, v148, s5
	v_fma_f32 v130, s34, v130, -v159
	v_mul_f32_e32 v129, 0x3fb8aa3b, v129
	v_exp_f32_e32 v153, v150
	v_fma_f32 v131, s34, v131, -v159
	v_fma_f32 v133, s34, v133, -v159
	v_mul_f32_e32 v130, 0x3fb8aa3b, v130
	v_cndmask_b32_e32 v144, 0, v143, vcc_lo
	v_cndmask_b32_e64 v143, 0, v147, s2
	v_exp_f32_e32 v129, v129
	v_cndmask_b32_e64 v150, 0, v151, s7
	v_mul_f32_e32 v131, 0x3fb8aa3b, v131
	v_add_f32_e32 v147, 0, v144
	v_exp_f32_e32 v130, v130
	v_mul_f32_e32 v133, 0x3fb8aa3b, v133
	v_exp_f32_e32 v132, v132
	v_exp_f32_e32 v131, v131
	v_add_f32_e32 v147, v147, v143
	s_mov_b32 s2, exec_lo
	v_exp_f32_e32 v133, v133
	s_delay_alu instid0(VALU_DEP_1)
	v_add_f32_e32 v147, v147, v146
	s_waitcnt_depctr 0xfff
	v_cndmask_b32_e64 v154, 0, v131, s11
	v_add_f32_e32 v152, v147, v145
	v_cndmask_b32_e64 v147, 0, v149, s6
	v_exp_f32_e32 v131, v134
	v_cndmask_b32_e64 v156, 0, v133, s13
	s_delay_alu instid0(VALU_DEP_3) | instskip(SKIP_1) | instid1(VALU_DEP_2)
	v_add_f32_e32 v149, v152, v148
	v_cndmask_b32_e64 v152, 0, v129, s9
	v_add_f32_e32 v151, v149, v147
	v_cndmask_b32_e64 v149, 0, v153, s8
	v_cndmask_b32_e64 v153, 0, v132, s12
	v_fma_f32 v132, s34, v136, -v159
	s_delay_alu instid0(TRANS32_DEP_1) | instskip(NEXT) | instid1(VALU_DEP_2)
	v_cndmask_b32_e64 v155, 0, v131, s15
	v_dual_add_f32 v151, v151, v150 :: v_dual_mul_f32 v132, 0x3fb8aa3b, v132
	s_delay_alu instid0(VALU_DEP_1) | instskip(SKIP_2) | instid1(VALU_DEP_4)
	v_add_f32_e32 v129, v151, v149
	v_cndmask_b32_e64 v151, 0, v130, s10
	v_fma_f32 v130, s34, v135, -v159
	v_exp_f32_e32 v131, v132
	s_delay_alu instid0(VALU_DEP_1) | instskip(NEXT) | instid1(VALU_DEP_1)
	v_dual_add_f32 v129, v129, v152 :: v_dual_mul_f32 v130, 0x3fb8aa3b, v130
	v_add_f32_e32 v129, v129, v151
	s_delay_alu instid0(VALU_DEP_2) | instskip(SKIP_3) | instid1(VALU_DEP_1)
	v_exp_f32_e32 v130, v130
	s_waitcnt_depctr 0xfff
	v_cndmask_b32_e64 v157, 0, v131, s17
	v_add_f32_e32 v129, v129, v154
	v_add_f32_e32 v129, v129, v153
	v_cndmask_b32_e64 v158, 0, v130, s16
	s_delay_alu instid0(VALU_DEP_2) | instskip(NEXT) | instid1(VALU_DEP_1)
	v_add_f32_e32 v129, v129, v156
	v_add_f32_e32 v129, v129, v155
	s_delay_alu instid0(VALU_DEP_1) | instskip(NEXT) | instid1(VALU_DEP_1)
	v_add_f32_e32 v129, v129, v158
	v_add_f32_e32 v129, v129, v157
	ds_bpermute_b32 v130, v160, v129
	v_cmpx_gt_u32_e32 16, v142
	s_cbranch_execz .LBB249_12
; %bb.11:
	v_mul_u32_u24_e32 v131, 0x44, v140
	s_delay_alu instid0(VALU_DEP_1) | instskip(SKIP_1) | instid1(VALU_DEP_1)
	v_lshl_add_u32 v131, v141, 2, v131
	s_waitcnt lgkmcnt(0)
	v_dual_add_f32 v129, v129, v130 :: v_dual_add_nc_u32 v130, 0x4000, v131
	ds_store_2addr_b32 v130, v159, v129 offset1:136
.LBB249_12:
	s_or_b32 exec_lo, exec_lo, s2
	v_lshlrev_b32_e32 v129, 2, v141
	s_load_b32 s34, s[0:1], 0x94
	s_waitcnt lgkmcnt(0)
	s_barrier
	buffer_gl0_inv
	v_add_nc_u32_e32 v135, 0x4000, v129
	v_cmp_eq_u32_e32 vcc_lo, 1, v140
	v_cmp_eq_u32_e64 s2, 2, v140
	v_cmp_eq_u32_e64 s3, 3, v140
	;; [unrolled: 1-line block ×3, first 2 shown]
	ds_load_2addr_b32 v[129:130], v135 offset1:17
	ds_load_2addr_b32 v[131:132], v135 offset0:34 offset1:51
	ds_load_2addr_b32 v[133:134], v135 offset0:68 offset1:85
	;; [unrolled: 1-line block ×3, first 2 shown]
	v_cmp_eq_u32_e64 s5, 5, v140
	v_cmp_eq_u32_e64 s6, 7, v140
	s_waitcnt lgkmcnt(3)
	v_max3_f32 v136, v129, 0xff7fffff, v130
	s_waitcnt lgkmcnt(2)
	s_delay_alu instid0(VALU_DEP_1) | instskip(SKIP_1) | instid1(VALU_DEP_1)
	v_max3_f32 v136, v136, v131, v132
	s_waitcnt lgkmcnt(1)
	v_max3_f32 v136, v136, v133, v134
	s_waitcnt lgkmcnt(0)
	s_delay_alu instid0(VALU_DEP_1) | instskip(NEXT) | instid1(VALU_DEP_1)
	v_max3_f32 v136, v136, v159, v160
	v_sub_f32_e32 v164, v132, v136
	ds_load_2addr_b32 v[161:162], v135 offset0:136 offset1:153
	v_sub_f32_e32 v142, v130, v136
	v_sub_f32_e32 v129, v129, v136
	v_mul_f32_e32 v164, 0x3fb8aa3b, v164
	s_delay_alu instid0(VALU_DEP_2)
	v_dual_mul_f32 v142, 0x3fb8aa3b, v142 :: v_dual_mul_f32 v163, 0x3fb8aa3b, v129
	ds_load_2addr_b32 v[129:130], v135 offset0:170 offset1:187
	v_exp_f32_e32 v164, v164
	v_exp_f32_e32 v166, v142
	;; [unrolled: 1-line block ×3, first 2 shown]
	s_waitcnt lgkmcnt(1)
	s_waitcnt_depctr 0xfff
	v_fma_f32 v142, v163, v161, 0
	s_delay_alu instid0(VALU_DEP_1) | instskip(NEXT) | instid1(VALU_DEP_1)
	v_dual_sub_f32 v131, v131, v136 :: v_dual_fmac_f32 v142, v166, v162
	v_mul_f32_e32 v165, 0x3fb8aa3b, v131
	ds_load_2addr_b32 v[131:132], v135 offset0:204 offset1:221
	v_exp_f32_e32 v165, v165
	s_waitcnt lgkmcnt(1)
	s_waitcnt_depctr 0xfff
	v_dual_sub_f32 v161, v134, v136 :: v_dual_fmac_f32 v142, v165, v129
	v_sub_f32_e32 v129, v160, v136
	s_delay_alu instid0(VALU_DEP_1) | instskip(SKIP_1) | instid1(VALU_DEP_2)
	v_dual_fmac_f32 v142, v164, v130 :: v_dual_mul_f32 v129, 0x3fb8aa3b, v129
	v_cndmask_b32_e32 v130, v163, v166, vcc_lo
	v_exp_f32_e32 v162, v129
	v_sub_f32_e32 v133, v133, v136
	s_delay_alu instid0(VALU_DEP_1)
	v_mul_f32_e32 v167, 0x3fb8aa3b, v133
	ds_load_2addr_b32 v[133:134], v135 offset0:238 offset1:255
	v_sub_f32_e32 v135, v159, v136
	v_mul_f32_e32 v159, 0x3fb8aa3b, v161
	s_waitcnt lgkmcnt(0)
	v_exp_f32_e32 v161, v167
	s_barrier
	buffer_gl0_inv
	v_exp_f32_e32 v159, v159
	v_fmac_f32_e32 v142, v161, v131
	s_waitcnt_depctr 0xfff
	v_dual_mul_f32 v135, 0x3fb8aa3b, v135 :: v_dual_fmac_f32 v142, v159, v132
	s_delay_alu instid0(VALU_DEP_1) | instskip(SKIP_2) | instid1(VALU_DEP_1)
	v_exp_f32_e32 v160, v135
	s_waitcnt_depctr 0xfff
	v_fmac_f32_e32 v142, v160, v133
	v_dual_fmac_f32 v142, v162, v134 :: v_dual_lshlrev_b32 v133, 6, v141
	s_delay_alu instid0(VALU_DEP_1) | instskip(NEXT) | instid1(VALU_DEP_2)
	v_lshl_or_b32 v135, v140, 11, v133
	v_add_f32_e32 v134, 0x358637bd, v142
	s_delay_alu instid0(VALU_DEP_1) | instskip(SKIP_1) | instid1(VALU_DEP_2)
	v_div_scale_f32 v167, null, v134, v134, 1.0
	v_div_scale_f32 v163, vcc_lo, 1.0, v134, 1.0
	v_rcp_f32_e32 v168, v167
	s_waitcnt_depctr 0xfff
	v_fma_f32 v129, -v167, v168, 1.0
	s_delay_alu instid0(VALU_DEP_1) | instskip(SKIP_2) | instid1(VALU_DEP_2)
	v_fmac_f32_e32 v168, v129, v168
	v_cndmask_b32_e64 v129, v130, v165, s2
	v_cmp_eq_u32_e64 s2, 6, v140
	v_cndmask_b32_e64 v130, v129, v164, s3
	v_lshlrev_b32_e32 v129, 2, v138
	s_delay_alu instid0(VALU_DEP_2) | instskip(NEXT) | instid1(VALU_DEP_2)
	v_cndmask_b32_e64 v141, v130, v161, s4
	v_or_b32_e32 v130, 1, v129
	v_or_b32_e32 v132, 2, v129
	v_cmp_eq_u32_e64 s3, 1, v129
	v_cmp_eq_u32_e64 s4, 2, v129
	v_cndmask_b32_e64 v140, v141, v159, s5
	v_cmp_eq_u32_e64 s8, 1, v130
	v_cmp_eq_u32_e64 s9, 1, v132
	;; [unrolled: 1-line block ×4, first 2 shown]
	v_cndmask_b32_e64 v140, v140, v160, s2
	v_cmp_eq_u32_e64 s12, 3, v130
	v_cmp_eq_u32_e64 s16, 3, v132
	;; [unrolled: 1-line block ×4, first 2 shown]
	v_cndmask_b32_e64 v140, v140, v162, s6
	v_mul_f32_e32 v165, v163, v168
	v_cmp_eq_u32_e64 s5, 5, v129
	v_cmp_eq_u32_e64 s19, 5, v130
	;; [unrolled: 1-line block ×4, first 2 shown]
	v_fma_f32 v131, -v167, v165, v163
	v_cmp_eq_u32_e64 s24, 6, v130
	v_cmp_eq_u32_e64 s6, 6, v129
	;; [unrolled: 1-line block ×4, first 2 shown]
	v_fmac_f32_e32 v165, v131, v168
	v_or_b32_e32 v131, 3, v129
	v_cmp_eq_u32_e64 s7, 7, v129
	v_cmp_eq_u32_e64 s27, 7, v132
	s_delay_alu instid0(VALU_DEP_4) | instskip(NEXT) | instid1(VALU_DEP_4)
	v_fma_f32 v141, -v167, v165, v163
	v_cmp_eq_u32_e64 s10, 1, v131
	v_cmp_eq_u32_e64 s15, 2, v131
	;; [unrolled: 1-line block ×4, first 2 shown]
	v_div_fmas_f32 v141, v141, v168, v165
	v_cmp_eq_u32_e32 vcc_lo, 3, v129
	v_cmp_eq_u32_e64 s23, 5, v131
	v_cmp_eq_u32_e64 s26, 6, v131
	;; [unrolled: 1-line block ×3, first 2 shown]
	v_div_fixup_f32 v141, v141, v134, 1.0
	v_lshl_or_b32 v134, v138, 4, v135
	s_delay_alu instid0(VALU_DEP_2) | instskip(NEXT) | instid1(VALU_DEP_1)
	v_mul_f32_e32 v140, v140, v141
	v_fma_mixlo_f16 v159, v140, v144, 0
	v_fma_mixlo_f16 v160, v140, v146, 0
	;; [unrolled: 1-line block ×8, first 2 shown]
	v_fma_mixhi_f16 v159, v140, v143, 0
	v_fma_mixhi_f16 v160, v140, v145, 0
	;; [unrolled: 1-line block ×8, first 2 shown]
	ds_store_b128 v134, v[159:162]
	ds_store_b128 v134, v[163:166] offset:1024
	s_waitcnt lgkmcnt(0)
	s_barrier
	buffer_gl0_inv
	ds_load_b128 v[143:146], v135
	ds_load_b128 v[147:150], v135 offset:16
	ds_load_b128 v[151:154], v135 offset:1024
	;; [unrolled: 1-line block ×3, first 2 shown]
	s_waitcnt lgkmcnt(3)
	v_lshrrev_b32_e32 v140, 16, v143
	s_waitcnt lgkmcnt(2)
	v_lshrrev_b32_e32 v161, 16, v147
	;; [unrolled: 2-line block ×4, first 2 shown]
	v_lshrrev_b32_e32 v141, 16, v144
	v_cndmask_b32_e64 v173, v143, v140, s3
	v_cndmask_b32_e64 v174, v147, v161, s3
	;; [unrolled: 1-line block ×7, first 2 shown]
	v_lshrrev_b32_e32 v162, 16, v148
	v_cndmask_b32_e64 v178, v147, v161, s9
	v_cndmask_b32_e64 v147, v151, v165, s3
	;; [unrolled: 1-line block ×16, first 2 shown]
	v_lshrrev_b32_e32 v166, 16, v152
	v_cndmask_b32_e64 v176, v178, v148, s13
	v_cndmask_b32_e64 v144, v147, v152, s4
	;; [unrolled: 1-line block ×7, first 2 shown]
	v_cndmask_b32_e32 v155, v165, v141, vcc_lo
	v_cndmask_b32_e32 v165, v169, v162, vcc_lo
	v_cndmask_b32_e64 v169, v173, v141, s12
	v_cndmask_b32_e64 v173, v174, v162, s12
	;; [unrolled: 1-line block ×5, first 2 shown]
	v_lshrrev_b32_e32 v159, 16, v145
	v_lshrrev_b32_e32 v163, 16, v149
	;; [unrolled: 1-line block ×3, first 2 shown]
	v_cndmask_b32_e64 v140, v140, v145, s21
	v_cndmask_b32_e64 v141, v141, v149, s21
	;; [unrolled: 1-line block ×3, first 2 shown]
	v_cndmask_b32_e32 v143, v144, v166, vcc_lo
	v_cndmask_b32_e32 v144, v147, v170, vcc_lo
	v_cndmask_b32_e64 v147, v148, v166, s12
	v_cndmask_b32_e64 v148, v155, v145, s2
	;; [unrolled: 1-line block ×7, first 2 shown]
	v_lshrrev_b32_e32 v160, 16, v146
	v_lshrrev_b32_e32 v164, 16, v150
	;; [unrolled: 1-line block ×4, first 2 shown]
	v_cndmask_b32_e64 v169, v174, v145, s20
	v_cndmask_b32_e64 v173, v175, v149, s20
	;; [unrolled: 1-line block ×20, first 2 shown]
	v_lshrrev_b32_e32 v168, 16, v154
	v_cndmask_b32_e64 v147, v147, v146, s6
	v_cndmask_b32_e64 v148, v148, v150, s6
	v_cndmask_b32_e64 v159, v162, v146, s25
	v_cndmask_b32_e64 v162, v165, v150, s25
	v_cndmask_b32_e64 v143, v143, v154, s6
	v_cndmask_b32_e64 v150, v144, v158, s6
	v_cndmask_b32_e64 v144, v145, v154, s24
	v_cndmask_b32_e64 v149, v149, v160, s29
	v_cndmask_b32_e64 v155, v155, v164, s29
	v_perm_b32 v146, v141, v140, 0x5040100
	v_cndmask_b32_e64 v140, v182, v156, s13
	v_cndmask_b32_e64 v141, v180, v156, s11
	;; [unrolled: 1-line block ×7, first 2 shown]
	v_perm_b32 v144, v155, v149, 0x5040100
	v_cndmask_b32_e64 v143, v161, v166, s16
	v_cndmask_b32_e64 v149, v151, v166, s17
	;; [unrolled: 1-line block ×15, first 2 shown]
	v_lshrrev_b32_e32 v172, 16, v158
	v_cndmask_b32_e64 v143, v143, v154, s25
	v_cndmask_b32_e64 v149, v149, v154, s26
	;; [unrolled: 1-line block ×12, first 2 shown]
	v_perm_b32 v145, v159, v145, 0x5040100
	v_perm_b32 v143, v148, v147, 0x5040100
	;; [unrolled: 1-line block ×6, first 2 shown]
	s_lshl_b32 s6, s33, 2
	s_mov_b32 s2, exec_lo
	ds_store_b128 v134, v[143:146]
	ds_store_b128 v134, v[147:150] offset:1024
	v_cmpx_gt_u32_e32 4, v0
	s_cbranch_execz .LBB249_14
; %bb.13:
	v_or_b32_e32 v140, s31, v0
	s_load_b128 s[8:11], s[0:1], 0x58
	s_delay_alu instid0(VALU_DEP_1) | instskip(NEXT) | instid1(VALU_DEP_1)
	v_mad_u64_u32 v[143:144], null, s6, s30, v[140:141]
	v_mad_u64_u32 v[140:141], null, v143, s34, s[14:15]
	s_delay_alu instid0(VALU_DEP_1) | instskip(NEXT) | instid1(VALU_DEP_1)
	v_ashrrev_i32_e32 v141, 31, v140
	v_lshlrev_b64 v[140:141], 2, v[140:141]
	s_waitcnt lgkmcnt(0)
	s_delay_alu instid0(VALU_DEP_1) | instskip(NEXT) | instid1(VALU_DEP_2)
	v_add_co_u32 v143, vcc_lo, s10, v140
	v_add_co_ci_u32_e32 v144, vcc_lo, s11, v141, vcc_lo
	v_add_co_u32 v140, vcc_lo, s8, v140
	v_add_co_ci_u32_e32 v141, vcc_lo, s9, v141, vcc_lo
	global_store_b32 v[143:144], v136, off
	global_store_b32 v[140:141], v142, off
.LBB249_14:
	s_or_b32 exec_lo, exec_lo, s2
	s_waitcnt lgkmcnt(0)
	s_waitcnt_vscnt null, 0x0
	s_barrier
	buffer_gl0_inv
	ds_load_b128 v[148:151], v133
	ds_load_b128 v[152:155], v133 offset:16
	ds_load_b128 v[160:163], v133 offset:1040
	ds_load_b128 v[156:159], v133 offset:1024
	ds_load_b128 v[168:171], v133 offset:2064
	ds_load_b128 v[164:167], v133 offset:2048
	v_cmp_eq_u32_e32 vcc_lo, 1, v132
	v_mov_b32_e32 v140, 0
	ds_load_b128 v[176:179], v133 offset:3088
	ds_load_b128 v[172:175], v133 offset:3072
	;; [unrolled: 1-line block ×4, first 2 shown]
	v_cmp_eq_u32_e64 s2, 1, v129
	v_cmp_eq_u32_e64 s3, 1, v131
	;; [unrolled: 1-line block ×3, first 2 shown]
	v_mov_b32_e32 v141, v140
	v_mov_b32_e32 v142, v140
	;; [unrolled: 1-line block ×7, first 2 shown]
	v_cmp_eq_u32_e64 s5, 2, v129
	s_waitcnt lgkmcnt(8)
	s_delay_alu instid0(VALU_DEP_2)
	v_wmma_f32_16x16x16_f16 v[140:147], v[121:128], v[148:155], v[140:147]
	ds_load_b128 v[125:128], v133 offset:5136
	ds_load_b128 v[121:124], v133 offset:5120
	s_waitcnt lgkmcnt(8)
	v_wmma_f32_16x16x16_f16 v[140:147], v[113:120], v[156:163], v[140:147]
	ds_load_b128 v[117:120], v133 offset:6160
	ds_load_b128 v[113:116], v133 offset:6144
	s_waitcnt lgkmcnt(8)
	;; [unrolled: 4-line block ×11, first 2 shown]
	s_barrier
	buffer_gl0_inv
	v_wmma_f32_16x16x16_f16 v[140:147], v[1:8], v[73:80], v[140:147]
	s_delay_alu instid0(VALU_DEP_1) | instskip(NEXT) | instid1(VALU_DEP_1)
	v_wmma_f32_16x16x16_f16 v[140:147], v[9:16], v[65:72], v[140:147]
	v_wmma_f32_16x16x16_f16 v[140:147], v[33:40], v[57:64], v[140:147]
	s_delay_alu instid0(VALU_DEP_1) | instskip(NEXT) | instid1(VALU_DEP_1)
	v_wmma_f32_16x16x16_f16 v[140:147], v[41:48], v[49:56], v[140:147]
	v_wmma_f32_16x16x16_f16 v[140:147], v[17:24], v[25:32], v[140:147]
	s_delay_alu instid0(VALU_DEP_1) | instskip(NEXT) | instid1(VALU_DEP_2)
	v_cvt_f16_f32_e64 v1, v140
	v_cvt_f16_f32_e64 v2, v141
	s_delay_alu instid0(VALU_DEP_3) | instskip(NEXT) | instid1(VALU_DEP_4)
	v_cvt_f16_f32_e64 v3, v142
	v_cvt_f16_f32_e64 v4, v143
	;; [unrolled: 1-line block ×6, first 2 shown]
	v_pack_b32_f16 v1, v1, v2
	v_pack_b32_f16 v2, v3, v4
	;; [unrolled: 1-line block ×3, first 2 shown]
	s_delay_alu instid0(VALU_DEP_4)
	v_pack_b32_f16 v4, v7, v8
	ds_store_b128 v134, v[1:4]
	s_waitcnt lgkmcnt(0)
	s_barrier
	buffer_gl0_inv
	ds_load_b128 v[1:4], v135
	ds_load_b128 v[5:8], v135 offset:16
	s_waitcnt lgkmcnt(1)
	v_lshrrev_b32_e32 v9, 16, v1
	s_waitcnt lgkmcnt(0)
	v_lshrrev_b32_e32 v13, 16, v5
	v_lshrrev_b32_e32 v10, 16, v2
	;; [unrolled: 1-line block ×4, first 2 shown]
	v_cndmask_b32_e64 v17, v1, v9, s2
	v_cndmask_b32_e64 v18, v5, v13, s2
	;; [unrolled: 1-line block ×3, first 2 shown]
	v_cmp_eq_u32_e64 s2, 2, v130
	v_cndmask_b32_e64 v20, v5, v13, s4
	v_cndmask_b32_e32 v21, v1, v9, vcc_lo
	v_cndmask_b32_e32 v22, v5, v13, vcc_lo
	v_cndmask_b32_e64 v1, v1, v9, s3
	v_cndmask_b32_e64 v5, v5, v13, s3
	v_cmp_eq_u32_e32 vcc_lo, 2, v132
	v_cmp_eq_u32_e64 s3, 2, v131
	v_cndmask_b32_e64 v9, v17, v2, s5
	v_cndmask_b32_e64 v13, v18, v6, s5
	;; [unrolled: 1-line block ×4, first 2 shown]
	v_cndmask_b32_e32 v19, v21, v2, vcc_lo
	v_cmp_eq_u32_e64 s2, 3, v132
	v_cndmask_b32_e32 v20, v22, v6, vcc_lo
	v_cndmask_b32_e64 v1, v1, v2, s3
	v_cmp_eq_u32_e32 vcc_lo, 3, v131
	v_cmp_eq_u32_e64 s4, 3, v129
	v_cndmask_b32_e64 v2, v5, v6, s3
	v_cmp_eq_u32_e64 s3, 3, v130
	v_cmp_eq_u32_e64 s5, 4, v129
	v_cndmask_b32_e32 v1, v1, v10, vcc_lo
	v_cndmask_b32_e64 v5, v9, v10, s4
	v_cndmask_b32_e64 v6, v13, v14, s4
	;; [unrolled: 1-line block ×3, first 2 shown]
	v_cmp_eq_u32_e64 s4, 4, v130
	v_cndmask_b32_e64 v13, v18, v14, s3
	v_cndmask_b32_e64 v17, v19, v10, s2
	;; [unrolled: 1-line block ×3, first 2 shown]
	v_cndmask_b32_e32 v2, v2, v14, vcc_lo
	v_cmp_eq_u32_e32 vcc_lo, 4, v132
	v_cmp_eq_u32_e64 s3, 4, v131
	v_lshrrev_b32_e32 v15, 16, v7
	v_cndmask_b32_e64 v5, v5, v3, s5
	v_cndmask_b32_e64 v6, v6, v7, s5
	v_cndmask_b32_e32 v14, v18, v7, vcc_lo
	v_cndmask_b32_e64 v9, v9, v3, s4
	v_cndmask_b32_e64 v10, v13, v7, s4
	v_cndmask_b32_e32 v13, v17, v3, vcc_lo
	v_cmp_eq_u32_e64 s2, 5, v132
	v_cndmask_b32_e64 v1, v1, v3, s3
	v_cmp_eq_u32_e32 vcc_lo, 5, v131
	v_cmp_eq_u32_e64 s4, 5, v129
	v_cndmask_b32_e64 v2, v2, v7, s3
	v_cmp_eq_u32_e64 s3, 5, v130
	v_cmp_eq_u32_e64 s5, 6, v129
	v_lshrrev_b32_e32 v12, 16, v4
	v_cndmask_b32_e64 v3, v5, v11, s4
	v_cndmask_b32_e64 v5, v6, v15, s4
	;; [unrolled: 1-line block ×3, first 2 shown]
	v_cmp_eq_u32_e64 s4, 6, v130
	v_cndmask_b32_e64 v7, v10, v15, s3
	v_cndmask_b32_e64 v9, v13, v11, s2
	;; [unrolled: 1-line block ×3, first 2 shown]
	v_cndmask_b32_e32 v1, v1, v11, vcc_lo
	v_cndmask_b32_e32 v2, v2, v15, vcc_lo
	v_cmp_eq_u32_e32 vcc_lo, 6, v132
	v_cmp_eq_u32_e64 s2, 6, v131
	v_lshrrev_b32_e32 v16, 16, v8
	v_cndmask_b32_e64 v3, v3, v4, s5
	v_cndmask_b32_e64 v5, v5, v8, s5
	v_cndmask_b32_e32 v9, v9, v4, vcc_lo
	v_cndmask_b32_e64 v6, v6, v4, s4
	v_cndmask_b32_e64 v7, v7, v8, s4
	v_cmp_eq_u32_e64 s3, 7, v132
	v_cndmask_b32_e32 v10, v10, v8, vcc_lo
	v_cndmask_b32_e64 v1, v1, v4, s2
	v_cmp_eq_u32_e32 vcc_lo, 7, v131
	v_cndmask_b32_e64 v2, v2, v8, s2
	v_cmp_eq_u32_e64 s2, 7, v129
	v_cmp_eq_u32_e64 s4, 7, v130
	v_cndmask_b32_e32 v1, v1, v12, vcc_lo
	s_delay_alu instid0(VALU_DEP_4) | instskip(NEXT) | instid1(VALU_DEP_4)
	v_cndmask_b32_e32 v2, v2, v16, vcc_lo
	v_cndmask_b32_e64 v8, v3, v12, s2
	s_delay_alu instid0(VALU_DEP_4)
	v_cndmask_b32_e64 v6, v6, v12, s4
	v_cndmask_b32_e64 v3, v9, v12, s3
	;; [unrolled: 1-line block ×5, first 2 shown]
	v_perm_b32 v4, v2, v1, 0x5040100
	s_mov_b32 s2, exec_lo
	v_perm_b32 v3, v9, v3, 0x5040100
	v_perm_b32 v2, v7, v6, 0x5040100
	;; [unrolled: 1-line block ×3, first 2 shown]
	ds_store_b128 v134, v[1:4]
	s_waitcnt lgkmcnt(0)
	s_barrier
	buffer_gl0_inv
	v_cmpx_gt_u32_e32 32, v0
	s_cbranch_execz .LBB249_2
; %bb.15:
	s_load_b64 s[0:1], s[0:1], 0x68
	v_lshlrev_b32_e32 v0, 10, v0
	v_or_b32_e32 v1, s31, v138
	s_lshl_b32 s4, s34, 7
	v_lshlrev_b32_e32 v2, 4, v139
	s_mul_i32 s2, s4, s30
	v_lshlrev_b32_e32 v3, 6, v138
	v_mul_lo_u32 v8, v1, s4
	v_and_b32_e32 v0, 0x3800, v0
	v_or_b32_e32 v1, 2, v1
	s_mul_i32 s2, s2, s6
	s_delay_alu instid0(SALU_CYCLE_1) | instskip(NEXT) | instid1(VALU_DEP_2)
	s_ashr_i32 s3, s2, 31
	v_or3_b32 v4, v0, v2, v3
	s_lshl_b64 s[2:3], s[2:3], 1
	v_mul_lo_u32 v10, v1, s4
	v_ashrrev_i32_e32 v9, 31, v8
	ds_load_b128 v[0:3], v4
	ds_load_b128 v[4:7], v4 offset:128
	s_waitcnt lgkmcnt(0)
	s_add_u32 s2, s0, s2
	s_addc_u32 s3, s1, s3
	s_lshl_b32 s0, s14, 7
	v_ashrrev_i32_e32 v11, 31, v10
	s_ashr_i32 s1, s0, 31
	v_lshlrev_b64 v[8:9], 1, v[8:9]
	s_lshl_b64 s[0:1], s[0:1], 1
	s_delay_alu instid0(SALU_CYCLE_1) | instskip(SKIP_2) | instid1(VALU_DEP_1)
	s_add_u32 s0, s2, s0
	s_addc_u32 s1, s3, s1
	v_add_co_u32 v12, s0, s0, v137
	v_add_co_ci_u32_e64 v13, null, s1, 0, s0
	v_lshlrev_b64 v[10:11], 1, v[10:11]
	s_delay_alu instid0(VALU_DEP_3) | instskip(NEXT) | instid1(VALU_DEP_3)
	v_add_co_u32 v8, vcc_lo, v12, v8
	v_add_co_ci_u32_e32 v9, vcc_lo, v13, v9, vcc_lo
	s_delay_alu instid0(VALU_DEP_3) | instskip(NEXT) | instid1(VALU_DEP_4)
	v_add_co_u32 v10, vcc_lo, v12, v10
	v_add_co_ci_u32_e32 v11, vcc_lo, v13, v11, vcc_lo
	s_clause 0x1
	global_store_b128 v[8:9], v[0:3], off
	global_store_b128 v[10:11], v[4:7], off
	s_nop 0
	s_sendmsg sendmsg(MSG_DEALLOC_VGPRS)
	s_endpgm
	.section	.rodata,"a",@progbits
	.p2align	6, 0x0
	.amdhsa_kernel _Z39paged_attention_ll4mi_QKV_mfma16_kernelIDF16_DF16_LN4vllm18Fp8KVCacheDataTypeE0EhLi16ELi128ELi256ELb0ELi4EL8MFMAType0EEvPKT_PKT0_S8_ifPKiSA_SA_iPKfiiiPfSD_PS3_PT2_iSC_SC_
		.amdhsa_group_segment_fixed_size 17472
		.amdhsa_private_segment_fixed_size 0
		.amdhsa_kernarg_size 400
		.amdhsa_user_sgpr_count 13
		.amdhsa_user_sgpr_dispatch_ptr 0
		.amdhsa_user_sgpr_queue_ptr 0
		.amdhsa_user_sgpr_kernarg_segment_ptr 1
		.amdhsa_user_sgpr_dispatch_id 0
		.amdhsa_user_sgpr_private_segment_size 0
		.amdhsa_wavefront_size32 1
		.amdhsa_uses_dynamic_stack 0
		.amdhsa_enable_private_segment 0
		.amdhsa_system_sgpr_workgroup_id_x 1
		.amdhsa_system_sgpr_workgroup_id_y 1
		.amdhsa_system_sgpr_workgroup_id_z 1
		.amdhsa_system_sgpr_workgroup_info 0
		.amdhsa_system_vgpr_workitem_id 0
		.amdhsa_next_free_vgpr 218
		.amdhsa_next_free_sgpr 52
		.amdhsa_reserve_vcc 1
		.amdhsa_float_round_mode_32 0
		.amdhsa_float_round_mode_16_64 0
		.amdhsa_float_denorm_mode_32 3
		.amdhsa_float_denorm_mode_16_64 3
		.amdhsa_dx10_clamp 1
		.amdhsa_ieee_mode 1
		.amdhsa_fp16_overflow 0
		.amdhsa_workgroup_processor_mode 1
		.amdhsa_memory_ordered 1
		.amdhsa_forward_progress 0
		.amdhsa_shared_vgpr_count 0
		.amdhsa_exception_fp_ieee_invalid_op 0
		.amdhsa_exception_fp_denorm_src 0
		.amdhsa_exception_fp_ieee_div_zero 0
		.amdhsa_exception_fp_ieee_overflow 0
		.amdhsa_exception_fp_ieee_underflow 0
		.amdhsa_exception_fp_ieee_inexact 0
		.amdhsa_exception_int_div_zero 0
	.end_amdhsa_kernel
	.section	.text._Z39paged_attention_ll4mi_QKV_mfma16_kernelIDF16_DF16_LN4vllm18Fp8KVCacheDataTypeE0EhLi16ELi128ELi256ELb0ELi4EL8MFMAType0EEvPKT_PKT0_S8_ifPKiSA_SA_iPKfiiiPfSD_PS3_PT2_iSC_SC_,"axG",@progbits,_Z39paged_attention_ll4mi_QKV_mfma16_kernelIDF16_DF16_LN4vllm18Fp8KVCacheDataTypeE0EhLi16ELi128ELi256ELb0ELi4EL8MFMAType0EEvPKT_PKT0_S8_ifPKiSA_SA_iPKfiiiPfSD_PS3_PT2_iSC_SC_,comdat
.Lfunc_end249:
	.size	_Z39paged_attention_ll4mi_QKV_mfma16_kernelIDF16_DF16_LN4vllm18Fp8KVCacheDataTypeE0EhLi16ELi128ELi256ELb0ELi4EL8MFMAType0EEvPKT_PKT0_S8_ifPKiSA_SA_iPKfiiiPfSD_PS3_PT2_iSC_SC_, .Lfunc_end249-_Z39paged_attention_ll4mi_QKV_mfma16_kernelIDF16_DF16_LN4vllm18Fp8KVCacheDataTypeE0EhLi16ELi128ELi256ELb0ELi4EL8MFMAType0EEvPKT_PKT0_S8_ifPKiSA_SA_iPKfiiiPfSD_PS3_PT2_iSC_SC_
                                        ; -- End function
	.section	.AMDGPU.csdata,"",@progbits
; Kernel info:
; codeLenInByte = 7968
; NumSgprs: 54
; NumVgprs: 218
; ScratchSize: 0
; MemoryBound: 0
; FloatMode: 240
; IeeeMode: 1
; LDSByteSize: 17472 bytes/workgroup (compile time only)
; SGPRBlocks: 6
; VGPRBlocks: 27
; NumSGPRsForWavesPerEU: 54
; NumVGPRsForWavesPerEU: 218
; Occupancy: 6
; WaveLimiterHint : 1
; COMPUTE_PGM_RSRC2:SCRATCH_EN: 0
; COMPUTE_PGM_RSRC2:USER_SGPR: 13
; COMPUTE_PGM_RSRC2:TRAP_HANDLER: 0
; COMPUTE_PGM_RSRC2:TGID_X_EN: 1
; COMPUTE_PGM_RSRC2:TGID_Y_EN: 1
; COMPUTE_PGM_RSRC2:TGID_Z_EN: 1
; COMPUTE_PGM_RSRC2:TIDIG_COMP_CNT: 0
	.section	.text._Z38paged_attention_ll4mi_QKV_mfma4_kernelIDF16_DF16_LN4vllm18Fp8KVCacheDataTypeE0EDF16_Li16ELi128ELi256ELb1ELi1EEvPKT_PKT0_S7_ifPKiS9_S9_iPKfiiiPfSC_PS2_PT2_iSB_SB_,"axG",@progbits,_Z38paged_attention_ll4mi_QKV_mfma4_kernelIDF16_DF16_LN4vllm18Fp8KVCacheDataTypeE0EDF16_Li16ELi128ELi256ELb1ELi1EEvPKT_PKT0_S7_ifPKiS9_S9_iPKfiiiPfSC_PS2_PT2_iSB_SB_,comdat
	.protected	_Z38paged_attention_ll4mi_QKV_mfma4_kernelIDF16_DF16_LN4vllm18Fp8KVCacheDataTypeE0EDF16_Li16ELi128ELi256ELb1ELi1EEvPKT_PKT0_S7_ifPKiS9_S9_iPKfiiiPfSC_PS2_PT2_iSB_SB_ ; -- Begin function _Z38paged_attention_ll4mi_QKV_mfma4_kernelIDF16_DF16_LN4vllm18Fp8KVCacheDataTypeE0EDF16_Li16ELi128ELi256ELb1ELi1EEvPKT_PKT0_S7_ifPKiS9_S9_iPKfiiiPfSC_PS2_PT2_iSB_SB_
	.globl	_Z38paged_attention_ll4mi_QKV_mfma4_kernelIDF16_DF16_LN4vllm18Fp8KVCacheDataTypeE0EDF16_Li16ELi128ELi256ELb1ELi1EEvPKT_PKT0_S7_ifPKiS9_S9_iPKfiiiPfSC_PS2_PT2_iSB_SB_
	.p2align	8
	.type	_Z38paged_attention_ll4mi_QKV_mfma4_kernelIDF16_DF16_LN4vllm18Fp8KVCacheDataTypeE0EDF16_Li16ELi128ELi256ELb1ELi1EEvPKT_PKT0_S7_ifPKiS9_S9_iPKfiiiPfSC_PS2_PT2_iSB_SB_,@function
_Z38paged_attention_ll4mi_QKV_mfma4_kernelIDF16_DF16_LN4vllm18Fp8KVCacheDataTypeE0EDF16_Li16ELi128ELi256ELb1ELi1EEvPKT_PKT0_S7_ifPKiS9_S9_iPKfiiiPfSC_PS2_PT2_iSB_SB_: ; @_Z38paged_attention_ll4mi_QKV_mfma4_kernelIDF16_DF16_LN4vllm18Fp8KVCacheDataTypeE0EDF16_Li16ELi128ELi256ELb1ELi1EEvPKT_PKT0_S7_ifPKiS9_S9_iPKfiiiPfSC_PS2_PT2_iSB_SB_
; %bb.0:
	s_add_u32 s8, s0, 0x90
	s_addc_u32 s9, s1, 0
	s_getpc_b64 s[0:1]
	s_add_u32 s0, s0, __PRETTY_FUNCTION__._Z38paged_attention_ll4mi_QKV_mfma4_kernelIDF16_DF16_LN4vllm18Fp8KVCacheDataTypeE0EDF16_Li16ELi128ELi256ELb1ELi1EEvPKT_PKT0_S7_ifPKiS9_S9_iPKfiiiPfSC_PS2_PT2_iSB_SB_@rel32@lo+4
	s_addc_u32 s1, s1, __PRETTY_FUNCTION__._Z38paged_attention_ll4mi_QKV_mfma4_kernelIDF16_DF16_LN4vllm18Fp8KVCacheDataTypeE0EDF16_Li16ELi128ELi256ELb1ELi1EEvPKT_PKT0_S7_ifPKiS9_S9_iPKfiiiPfSC_PS2_PT2_iSB_SB_@rel32@hi+12
	s_delay_alu instid0(SALU_CYCLE_1) | instskip(SKIP_4) | instid1(SALU_CYCLE_1)
	v_dual_mov_b32 v0, s0 :: v_dual_mov_b32 v1, s1
	s_mov_b32 s32, 0
	s_getpc_b64 s[2:3]
	s_add_u32 s2, s2, __assert_fail@rel32@lo+4
	s_addc_u32 s3, s3, __assert_fail@rel32@hi+12
	s_swappc_b64 s[30:31], s[2:3]
	.section	.rodata,"a",@progbits
	.p2align	6, 0x0
	.amdhsa_kernel _Z38paged_attention_ll4mi_QKV_mfma4_kernelIDF16_DF16_LN4vllm18Fp8KVCacheDataTypeE0EDF16_Li16ELi128ELi256ELb1ELi1EEvPKT_PKT0_S7_ifPKiS9_S9_iPKfiiiPfSC_PS2_PT2_iSB_SB_
		.amdhsa_group_segment_fixed_size 0
		.amdhsa_private_segment_fixed_size 64
		.amdhsa_kernarg_size 400
		.amdhsa_user_sgpr_count 15
		.amdhsa_user_sgpr_dispatch_ptr 0
		.amdhsa_user_sgpr_queue_ptr 0
		.amdhsa_user_sgpr_kernarg_segment_ptr 1
		.amdhsa_user_sgpr_dispatch_id 0
		.amdhsa_user_sgpr_private_segment_size 0
		.amdhsa_wavefront_size32 1
		.amdhsa_uses_dynamic_stack 0
		.amdhsa_enable_private_segment 1
		.amdhsa_system_sgpr_workgroup_id_x 1
		.amdhsa_system_sgpr_workgroup_id_y 0
		.amdhsa_system_sgpr_workgroup_id_z 0
		.amdhsa_system_sgpr_workgroup_info 0
		.amdhsa_system_vgpr_workitem_id 0
		.amdhsa_next_free_vgpr 41
		.amdhsa_next_free_sgpr 34
		.amdhsa_reserve_vcc 1
		.amdhsa_float_round_mode_32 0
		.amdhsa_float_round_mode_16_64 0
		.amdhsa_float_denorm_mode_32 3
		.amdhsa_float_denorm_mode_16_64 3
		.amdhsa_dx10_clamp 1
		.amdhsa_ieee_mode 1
		.amdhsa_fp16_overflow 0
		.amdhsa_workgroup_processor_mode 1
		.amdhsa_memory_ordered 1
		.amdhsa_forward_progress 0
		.amdhsa_shared_vgpr_count 0
		.amdhsa_exception_fp_ieee_invalid_op 0
		.amdhsa_exception_fp_denorm_src 0
		.amdhsa_exception_fp_ieee_div_zero 0
		.amdhsa_exception_fp_ieee_overflow 0
		.amdhsa_exception_fp_ieee_underflow 0
		.amdhsa_exception_fp_ieee_inexact 0
		.amdhsa_exception_int_div_zero 0
	.end_amdhsa_kernel
	.section	.text._Z38paged_attention_ll4mi_QKV_mfma4_kernelIDF16_DF16_LN4vllm18Fp8KVCacheDataTypeE0EDF16_Li16ELi128ELi256ELb1ELi1EEvPKT_PKT0_S7_ifPKiS9_S9_iPKfiiiPfSC_PS2_PT2_iSB_SB_,"axG",@progbits,_Z38paged_attention_ll4mi_QKV_mfma4_kernelIDF16_DF16_LN4vllm18Fp8KVCacheDataTypeE0EDF16_Li16ELi128ELi256ELb1ELi1EEvPKT_PKT0_S7_ifPKiS9_S9_iPKfiiiPfSC_PS2_PT2_iSB_SB_,comdat
.Lfunc_end250:
	.size	_Z38paged_attention_ll4mi_QKV_mfma4_kernelIDF16_DF16_LN4vllm18Fp8KVCacheDataTypeE0EDF16_Li16ELi128ELi256ELb1ELi1EEvPKT_PKT0_S7_ifPKiS9_S9_iPKfiiiPfSC_PS2_PT2_iSB_SB_, .Lfunc_end250-_Z38paged_attention_ll4mi_QKV_mfma4_kernelIDF16_DF16_LN4vllm18Fp8KVCacheDataTypeE0EDF16_Li16ELi128ELi256ELb1ELi1EEvPKT_PKT0_S7_ifPKiS9_S9_iPKfiiiPfSC_PS2_PT2_iSB_SB_
                                        ; -- End function
	.section	.AMDGPU.csdata,"",@progbits
; Kernel info:
; codeLenInByte = 72
; NumSgprs: 36
; NumVgprs: 41
; ScratchSize: 64
; MemoryBound: 0
; FloatMode: 240
; IeeeMode: 1
; LDSByteSize: 0 bytes/workgroup (compile time only)
; SGPRBlocks: 4
; VGPRBlocks: 5
; NumSGPRsForWavesPerEU: 36
; NumVGPRsForWavesPerEU: 41
; Occupancy: 16
; WaveLimiterHint : 1
; COMPUTE_PGM_RSRC2:SCRATCH_EN: 1
; COMPUTE_PGM_RSRC2:USER_SGPR: 15
; COMPUTE_PGM_RSRC2:TRAP_HANDLER: 0
; COMPUTE_PGM_RSRC2:TGID_X_EN: 1
; COMPUTE_PGM_RSRC2:TGID_Y_EN: 0
; COMPUTE_PGM_RSRC2:TGID_Z_EN: 0
; COMPUTE_PGM_RSRC2:TIDIG_COMP_CNT: 0
	.section	.text._Z38paged_attention_ll4mi_QKV_mfma4_kernelIDF16_DF16_LN4vllm18Fp8KVCacheDataTypeE0EDF16_Li16ELi128ELi256ELb1ELi2EEvPKT_PKT0_S7_ifPKiS9_S9_iPKfiiiPfSC_PS2_PT2_iSB_SB_,"axG",@progbits,_Z38paged_attention_ll4mi_QKV_mfma4_kernelIDF16_DF16_LN4vllm18Fp8KVCacheDataTypeE0EDF16_Li16ELi128ELi256ELb1ELi2EEvPKT_PKT0_S7_ifPKiS9_S9_iPKfiiiPfSC_PS2_PT2_iSB_SB_,comdat
	.protected	_Z38paged_attention_ll4mi_QKV_mfma4_kernelIDF16_DF16_LN4vllm18Fp8KVCacheDataTypeE0EDF16_Li16ELi128ELi256ELb1ELi2EEvPKT_PKT0_S7_ifPKiS9_S9_iPKfiiiPfSC_PS2_PT2_iSB_SB_ ; -- Begin function _Z38paged_attention_ll4mi_QKV_mfma4_kernelIDF16_DF16_LN4vllm18Fp8KVCacheDataTypeE0EDF16_Li16ELi128ELi256ELb1ELi2EEvPKT_PKT0_S7_ifPKiS9_S9_iPKfiiiPfSC_PS2_PT2_iSB_SB_
	.globl	_Z38paged_attention_ll4mi_QKV_mfma4_kernelIDF16_DF16_LN4vllm18Fp8KVCacheDataTypeE0EDF16_Li16ELi128ELi256ELb1ELi2EEvPKT_PKT0_S7_ifPKiS9_S9_iPKfiiiPfSC_PS2_PT2_iSB_SB_
	.p2align	8
	.type	_Z38paged_attention_ll4mi_QKV_mfma4_kernelIDF16_DF16_LN4vllm18Fp8KVCacheDataTypeE0EDF16_Li16ELi128ELi256ELb1ELi2EEvPKT_PKT0_S7_ifPKiS9_S9_iPKfiiiPfSC_PS2_PT2_iSB_SB_,@function
_Z38paged_attention_ll4mi_QKV_mfma4_kernelIDF16_DF16_LN4vllm18Fp8KVCacheDataTypeE0EDF16_Li16ELi128ELi256ELb1ELi2EEvPKT_PKT0_S7_ifPKiS9_S9_iPKfiiiPfSC_PS2_PT2_iSB_SB_: ; @_Z38paged_attention_ll4mi_QKV_mfma4_kernelIDF16_DF16_LN4vllm18Fp8KVCacheDataTypeE0EDF16_Li16ELi128ELi256ELb1ELi2EEvPKT_PKT0_S7_ifPKiS9_S9_iPKfiiiPfSC_PS2_PT2_iSB_SB_
; %bb.0:
	s_add_u32 s8, s0, 0x90
	s_addc_u32 s9, s1, 0
	s_getpc_b64 s[0:1]
	s_add_u32 s0, s0, __PRETTY_FUNCTION__._Z38paged_attention_ll4mi_QKV_mfma4_kernelIDF16_DF16_LN4vllm18Fp8KVCacheDataTypeE0EDF16_Li16ELi128ELi256ELb1ELi2EEvPKT_PKT0_S7_ifPKiS9_S9_iPKfiiiPfSC_PS2_PT2_iSB_SB_@rel32@lo+4
	s_addc_u32 s1, s1, __PRETTY_FUNCTION__._Z38paged_attention_ll4mi_QKV_mfma4_kernelIDF16_DF16_LN4vllm18Fp8KVCacheDataTypeE0EDF16_Li16ELi128ELi256ELb1ELi2EEvPKT_PKT0_S7_ifPKiS9_S9_iPKfiiiPfSC_PS2_PT2_iSB_SB_@rel32@hi+12
	s_delay_alu instid0(SALU_CYCLE_1) | instskip(SKIP_4) | instid1(SALU_CYCLE_1)
	v_dual_mov_b32 v0, s0 :: v_dual_mov_b32 v1, s1
	s_mov_b32 s32, 0
	s_getpc_b64 s[2:3]
	s_add_u32 s2, s2, __assert_fail@rel32@lo+4
	s_addc_u32 s3, s3, __assert_fail@rel32@hi+12
	s_swappc_b64 s[30:31], s[2:3]
	.section	.rodata,"a",@progbits
	.p2align	6, 0x0
	.amdhsa_kernel _Z38paged_attention_ll4mi_QKV_mfma4_kernelIDF16_DF16_LN4vllm18Fp8KVCacheDataTypeE0EDF16_Li16ELi128ELi256ELb1ELi2EEvPKT_PKT0_S7_ifPKiS9_S9_iPKfiiiPfSC_PS2_PT2_iSB_SB_
		.amdhsa_group_segment_fixed_size 0
		.amdhsa_private_segment_fixed_size 64
		.amdhsa_kernarg_size 400
		.amdhsa_user_sgpr_count 15
		.amdhsa_user_sgpr_dispatch_ptr 0
		.amdhsa_user_sgpr_queue_ptr 0
		.amdhsa_user_sgpr_kernarg_segment_ptr 1
		.amdhsa_user_sgpr_dispatch_id 0
		.amdhsa_user_sgpr_private_segment_size 0
		.amdhsa_wavefront_size32 1
		.amdhsa_uses_dynamic_stack 0
		.amdhsa_enable_private_segment 1
		.amdhsa_system_sgpr_workgroup_id_x 1
		.amdhsa_system_sgpr_workgroup_id_y 0
		.amdhsa_system_sgpr_workgroup_id_z 0
		.amdhsa_system_sgpr_workgroup_info 0
		.amdhsa_system_vgpr_workitem_id 0
		.amdhsa_next_free_vgpr 41
		.amdhsa_next_free_sgpr 34
		.amdhsa_reserve_vcc 1
		.amdhsa_float_round_mode_32 0
		.amdhsa_float_round_mode_16_64 0
		.amdhsa_float_denorm_mode_32 3
		.amdhsa_float_denorm_mode_16_64 3
		.amdhsa_dx10_clamp 1
		.amdhsa_ieee_mode 1
		.amdhsa_fp16_overflow 0
		.amdhsa_workgroup_processor_mode 1
		.amdhsa_memory_ordered 1
		.amdhsa_forward_progress 0
		.amdhsa_shared_vgpr_count 0
		.amdhsa_exception_fp_ieee_invalid_op 0
		.amdhsa_exception_fp_denorm_src 0
		.amdhsa_exception_fp_ieee_div_zero 0
		.amdhsa_exception_fp_ieee_overflow 0
		.amdhsa_exception_fp_ieee_underflow 0
		.amdhsa_exception_fp_ieee_inexact 0
		.amdhsa_exception_int_div_zero 0
	.end_amdhsa_kernel
	.section	.text._Z38paged_attention_ll4mi_QKV_mfma4_kernelIDF16_DF16_LN4vllm18Fp8KVCacheDataTypeE0EDF16_Li16ELi128ELi256ELb1ELi2EEvPKT_PKT0_S7_ifPKiS9_S9_iPKfiiiPfSC_PS2_PT2_iSB_SB_,"axG",@progbits,_Z38paged_attention_ll4mi_QKV_mfma4_kernelIDF16_DF16_LN4vllm18Fp8KVCacheDataTypeE0EDF16_Li16ELi128ELi256ELb1ELi2EEvPKT_PKT0_S7_ifPKiS9_S9_iPKfiiiPfSC_PS2_PT2_iSB_SB_,comdat
.Lfunc_end251:
	.size	_Z38paged_attention_ll4mi_QKV_mfma4_kernelIDF16_DF16_LN4vllm18Fp8KVCacheDataTypeE0EDF16_Li16ELi128ELi256ELb1ELi2EEvPKT_PKT0_S7_ifPKiS9_S9_iPKfiiiPfSC_PS2_PT2_iSB_SB_, .Lfunc_end251-_Z38paged_attention_ll4mi_QKV_mfma4_kernelIDF16_DF16_LN4vllm18Fp8KVCacheDataTypeE0EDF16_Li16ELi128ELi256ELb1ELi2EEvPKT_PKT0_S7_ifPKiS9_S9_iPKfiiiPfSC_PS2_PT2_iSB_SB_
                                        ; -- End function
	.section	.AMDGPU.csdata,"",@progbits
; Kernel info:
; codeLenInByte = 72
; NumSgprs: 36
; NumVgprs: 41
; ScratchSize: 64
; MemoryBound: 0
; FloatMode: 240
; IeeeMode: 1
; LDSByteSize: 0 bytes/workgroup (compile time only)
; SGPRBlocks: 4
; VGPRBlocks: 5
; NumSGPRsForWavesPerEU: 36
; NumVGPRsForWavesPerEU: 41
; Occupancy: 16
; WaveLimiterHint : 1
; COMPUTE_PGM_RSRC2:SCRATCH_EN: 1
; COMPUTE_PGM_RSRC2:USER_SGPR: 15
; COMPUTE_PGM_RSRC2:TRAP_HANDLER: 0
; COMPUTE_PGM_RSRC2:TGID_X_EN: 1
; COMPUTE_PGM_RSRC2:TGID_Y_EN: 0
; COMPUTE_PGM_RSRC2:TGID_Z_EN: 0
; COMPUTE_PGM_RSRC2:TIDIG_COMP_CNT: 0
	.section	.text._Z38paged_attention_ll4mi_QKV_mfma4_kernelIDF16_DF16_LN4vllm18Fp8KVCacheDataTypeE0EDF16_Li16ELi128ELi256ELb1ELi3EEvPKT_PKT0_S7_ifPKiS9_S9_iPKfiiiPfSC_PS2_PT2_iSB_SB_,"axG",@progbits,_Z38paged_attention_ll4mi_QKV_mfma4_kernelIDF16_DF16_LN4vllm18Fp8KVCacheDataTypeE0EDF16_Li16ELi128ELi256ELb1ELi3EEvPKT_PKT0_S7_ifPKiS9_S9_iPKfiiiPfSC_PS2_PT2_iSB_SB_,comdat
	.protected	_Z38paged_attention_ll4mi_QKV_mfma4_kernelIDF16_DF16_LN4vllm18Fp8KVCacheDataTypeE0EDF16_Li16ELi128ELi256ELb1ELi3EEvPKT_PKT0_S7_ifPKiS9_S9_iPKfiiiPfSC_PS2_PT2_iSB_SB_ ; -- Begin function _Z38paged_attention_ll4mi_QKV_mfma4_kernelIDF16_DF16_LN4vllm18Fp8KVCacheDataTypeE0EDF16_Li16ELi128ELi256ELb1ELi3EEvPKT_PKT0_S7_ifPKiS9_S9_iPKfiiiPfSC_PS2_PT2_iSB_SB_
	.globl	_Z38paged_attention_ll4mi_QKV_mfma4_kernelIDF16_DF16_LN4vllm18Fp8KVCacheDataTypeE0EDF16_Li16ELi128ELi256ELb1ELi3EEvPKT_PKT0_S7_ifPKiS9_S9_iPKfiiiPfSC_PS2_PT2_iSB_SB_
	.p2align	8
	.type	_Z38paged_attention_ll4mi_QKV_mfma4_kernelIDF16_DF16_LN4vllm18Fp8KVCacheDataTypeE0EDF16_Li16ELi128ELi256ELb1ELi3EEvPKT_PKT0_S7_ifPKiS9_S9_iPKfiiiPfSC_PS2_PT2_iSB_SB_,@function
_Z38paged_attention_ll4mi_QKV_mfma4_kernelIDF16_DF16_LN4vllm18Fp8KVCacheDataTypeE0EDF16_Li16ELi128ELi256ELb1ELi3EEvPKT_PKT0_S7_ifPKiS9_S9_iPKfiiiPfSC_PS2_PT2_iSB_SB_: ; @_Z38paged_attention_ll4mi_QKV_mfma4_kernelIDF16_DF16_LN4vllm18Fp8KVCacheDataTypeE0EDF16_Li16ELi128ELi256ELb1ELi3EEvPKT_PKT0_S7_ifPKiS9_S9_iPKfiiiPfSC_PS2_PT2_iSB_SB_
; %bb.0:
	s_add_u32 s8, s0, 0x90
	s_addc_u32 s9, s1, 0
	s_getpc_b64 s[0:1]
	s_add_u32 s0, s0, __PRETTY_FUNCTION__._Z38paged_attention_ll4mi_QKV_mfma4_kernelIDF16_DF16_LN4vllm18Fp8KVCacheDataTypeE0EDF16_Li16ELi128ELi256ELb1ELi3EEvPKT_PKT0_S7_ifPKiS9_S9_iPKfiiiPfSC_PS2_PT2_iSB_SB_@rel32@lo+4
	s_addc_u32 s1, s1, __PRETTY_FUNCTION__._Z38paged_attention_ll4mi_QKV_mfma4_kernelIDF16_DF16_LN4vllm18Fp8KVCacheDataTypeE0EDF16_Li16ELi128ELi256ELb1ELi3EEvPKT_PKT0_S7_ifPKiS9_S9_iPKfiiiPfSC_PS2_PT2_iSB_SB_@rel32@hi+12
	s_delay_alu instid0(SALU_CYCLE_1) | instskip(SKIP_4) | instid1(SALU_CYCLE_1)
	v_dual_mov_b32 v0, s0 :: v_dual_mov_b32 v1, s1
	s_mov_b32 s32, 0
	s_getpc_b64 s[2:3]
	s_add_u32 s2, s2, __assert_fail@rel32@lo+4
	s_addc_u32 s3, s3, __assert_fail@rel32@hi+12
	s_swappc_b64 s[30:31], s[2:3]
	.section	.rodata,"a",@progbits
	.p2align	6, 0x0
	.amdhsa_kernel _Z38paged_attention_ll4mi_QKV_mfma4_kernelIDF16_DF16_LN4vllm18Fp8KVCacheDataTypeE0EDF16_Li16ELi128ELi256ELb1ELi3EEvPKT_PKT0_S7_ifPKiS9_S9_iPKfiiiPfSC_PS2_PT2_iSB_SB_
		.amdhsa_group_segment_fixed_size 0
		.amdhsa_private_segment_fixed_size 64
		.amdhsa_kernarg_size 400
		.amdhsa_user_sgpr_count 15
		.amdhsa_user_sgpr_dispatch_ptr 0
		.amdhsa_user_sgpr_queue_ptr 0
		.amdhsa_user_sgpr_kernarg_segment_ptr 1
		.amdhsa_user_sgpr_dispatch_id 0
		.amdhsa_user_sgpr_private_segment_size 0
		.amdhsa_wavefront_size32 1
		.amdhsa_uses_dynamic_stack 0
		.amdhsa_enable_private_segment 1
		.amdhsa_system_sgpr_workgroup_id_x 1
		.amdhsa_system_sgpr_workgroup_id_y 0
		.amdhsa_system_sgpr_workgroup_id_z 0
		.amdhsa_system_sgpr_workgroup_info 0
		.amdhsa_system_vgpr_workitem_id 0
		.amdhsa_next_free_vgpr 41
		.amdhsa_next_free_sgpr 34
		.amdhsa_reserve_vcc 1
		.amdhsa_float_round_mode_32 0
		.amdhsa_float_round_mode_16_64 0
		.amdhsa_float_denorm_mode_32 3
		.amdhsa_float_denorm_mode_16_64 3
		.amdhsa_dx10_clamp 1
		.amdhsa_ieee_mode 1
		.amdhsa_fp16_overflow 0
		.amdhsa_workgroup_processor_mode 1
		.amdhsa_memory_ordered 1
		.amdhsa_forward_progress 0
		.amdhsa_shared_vgpr_count 0
		.amdhsa_exception_fp_ieee_invalid_op 0
		.amdhsa_exception_fp_denorm_src 0
		.amdhsa_exception_fp_ieee_div_zero 0
		.amdhsa_exception_fp_ieee_overflow 0
		.amdhsa_exception_fp_ieee_underflow 0
		.amdhsa_exception_fp_ieee_inexact 0
		.amdhsa_exception_int_div_zero 0
	.end_amdhsa_kernel
	.section	.text._Z38paged_attention_ll4mi_QKV_mfma4_kernelIDF16_DF16_LN4vllm18Fp8KVCacheDataTypeE0EDF16_Li16ELi128ELi256ELb1ELi3EEvPKT_PKT0_S7_ifPKiS9_S9_iPKfiiiPfSC_PS2_PT2_iSB_SB_,"axG",@progbits,_Z38paged_attention_ll4mi_QKV_mfma4_kernelIDF16_DF16_LN4vllm18Fp8KVCacheDataTypeE0EDF16_Li16ELi128ELi256ELb1ELi3EEvPKT_PKT0_S7_ifPKiS9_S9_iPKfiiiPfSC_PS2_PT2_iSB_SB_,comdat
.Lfunc_end252:
	.size	_Z38paged_attention_ll4mi_QKV_mfma4_kernelIDF16_DF16_LN4vllm18Fp8KVCacheDataTypeE0EDF16_Li16ELi128ELi256ELb1ELi3EEvPKT_PKT0_S7_ifPKiS9_S9_iPKfiiiPfSC_PS2_PT2_iSB_SB_, .Lfunc_end252-_Z38paged_attention_ll4mi_QKV_mfma4_kernelIDF16_DF16_LN4vllm18Fp8KVCacheDataTypeE0EDF16_Li16ELi128ELi256ELb1ELi3EEvPKT_PKT0_S7_ifPKiS9_S9_iPKfiiiPfSC_PS2_PT2_iSB_SB_
                                        ; -- End function
	.section	.AMDGPU.csdata,"",@progbits
; Kernel info:
; codeLenInByte = 72
; NumSgprs: 36
; NumVgprs: 41
; ScratchSize: 64
; MemoryBound: 0
; FloatMode: 240
; IeeeMode: 1
; LDSByteSize: 0 bytes/workgroup (compile time only)
; SGPRBlocks: 4
; VGPRBlocks: 5
; NumSGPRsForWavesPerEU: 36
; NumVGPRsForWavesPerEU: 41
; Occupancy: 16
; WaveLimiterHint : 1
; COMPUTE_PGM_RSRC2:SCRATCH_EN: 1
; COMPUTE_PGM_RSRC2:USER_SGPR: 15
; COMPUTE_PGM_RSRC2:TRAP_HANDLER: 0
; COMPUTE_PGM_RSRC2:TGID_X_EN: 1
; COMPUTE_PGM_RSRC2:TGID_Y_EN: 0
; COMPUTE_PGM_RSRC2:TGID_Z_EN: 0
; COMPUTE_PGM_RSRC2:TIDIG_COMP_CNT: 0
	.section	.text._Z38paged_attention_ll4mi_QKV_mfma4_kernelIDF16_DF16_LN4vllm18Fp8KVCacheDataTypeE0EDF16_Li16ELi128ELi256ELb1ELi4EEvPKT_PKT0_S7_ifPKiS9_S9_iPKfiiiPfSC_PS2_PT2_iSB_SB_,"axG",@progbits,_Z38paged_attention_ll4mi_QKV_mfma4_kernelIDF16_DF16_LN4vllm18Fp8KVCacheDataTypeE0EDF16_Li16ELi128ELi256ELb1ELi4EEvPKT_PKT0_S7_ifPKiS9_S9_iPKfiiiPfSC_PS2_PT2_iSB_SB_,comdat
	.protected	_Z38paged_attention_ll4mi_QKV_mfma4_kernelIDF16_DF16_LN4vllm18Fp8KVCacheDataTypeE0EDF16_Li16ELi128ELi256ELb1ELi4EEvPKT_PKT0_S7_ifPKiS9_S9_iPKfiiiPfSC_PS2_PT2_iSB_SB_ ; -- Begin function _Z38paged_attention_ll4mi_QKV_mfma4_kernelIDF16_DF16_LN4vllm18Fp8KVCacheDataTypeE0EDF16_Li16ELi128ELi256ELb1ELi4EEvPKT_PKT0_S7_ifPKiS9_S9_iPKfiiiPfSC_PS2_PT2_iSB_SB_
	.globl	_Z38paged_attention_ll4mi_QKV_mfma4_kernelIDF16_DF16_LN4vllm18Fp8KVCacheDataTypeE0EDF16_Li16ELi128ELi256ELb1ELi4EEvPKT_PKT0_S7_ifPKiS9_S9_iPKfiiiPfSC_PS2_PT2_iSB_SB_
	.p2align	8
	.type	_Z38paged_attention_ll4mi_QKV_mfma4_kernelIDF16_DF16_LN4vllm18Fp8KVCacheDataTypeE0EDF16_Li16ELi128ELi256ELb1ELi4EEvPKT_PKT0_S7_ifPKiS9_S9_iPKfiiiPfSC_PS2_PT2_iSB_SB_,@function
_Z38paged_attention_ll4mi_QKV_mfma4_kernelIDF16_DF16_LN4vllm18Fp8KVCacheDataTypeE0EDF16_Li16ELi128ELi256ELb1ELi4EEvPKT_PKT0_S7_ifPKiS9_S9_iPKfiiiPfSC_PS2_PT2_iSB_SB_: ; @_Z38paged_attention_ll4mi_QKV_mfma4_kernelIDF16_DF16_LN4vllm18Fp8KVCacheDataTypeE0EDF16_Li16ELi128ELi256ELb1ELi4EEvPKT_PKT0_S7_ifPKiS9_S9_iPKfiiiPfSC_PS2_PT2_iSB_SB_
; %bb.0:
	s_add_u32 s8, s0, 0x90
	s_addc_u32 s9, s1, 0
	s_getpc_b64 s[0:1]
	s_add_u32 s0, s0, __PRETTY_FUNCTION__._Z38paged_attention_ll4mi_QKV_mfma4_kernelIDF16_DF16_LN4vllm18Fp8KVCacheDataTypeE0EDF16_Li16ELi128ELi256ELb1ELi4EEvPKT_PKT0_S7_ifPKiS9_S9_iPKfiiiPfSC_PS2_PT2_iSB_SB_@rel32@lo+4
	s_addc_u32 s1, s1, __PRETTY_FUNCTION__._Z38paged_attention_ll4mi_QKV_mfma4_kernelIDF16_DF16_LN4vllm18Fp8KVCacheDataTypeE0EDF16_Li16ELi128ELi256ELb1ELi4EEvPKT_PKT0_S7_ifPKiS9_S9_iPKfiiiPfSC_PS2_PT2_iSB_SB_@rel32@hi+12
	s_delay_alu instid0(SALU_CYCLE_1) | instskip(SKIP_4) | instid1(SALU_CYCLE_1)
	v_dual_mov_b32 v0, s0 :: v_dual_mov_b32 v1, s1
	s_mov_b32 s32, 0
	s_getpc_b64 s[2:3]
	s_add_u32 s2, s2, __assert_fail@rel32@lo+4
	s_addc_u32 s3, s3, __assert_fail@rel32@hi+12
	s_swappc_b64 s[30:31], s[2:3]
	.section	.rodata,"a",@progbits
	.p2align	6, 0x0
	.amdhsa_kernel _Z38paged_attention_ll4mi_QKV_mfma4_kernelIDF16_DF16_LN4vllm18Fp8KVCacheDataTypeE0EDF16_Li16ELi128ELi256ELb1ELi4EEvPKT_PKT0_S7_ifPKiS9_S9_iPKfiiiPfSC_PS2_PT2_iSB_SB_
		.amdhsa_group_segment_fixed_size 0
		.amdhsa_private_segment_fixed_size 64
		.amdhsa_kernarg_size 400
		.amdhsa_user_sgpr_count 15
		.amdhsa_user_sgpr_dispatch_ptr 0
		.amdhsa_user_sgpr_queue_ptr 0
		.amdhsa_user_sgpr_kernarg_segment_ptr 1
		.amdhsa_user_sgpr_dispatch_id 0
		.amdhsa_user_sgpr_private_segment_size 0
		.amdhsa_wavefront_size32 1
		.amdhsa_uses_dynamic_stack 0
		.amdhsa_enable_private_segment 1
		.amdhsa_system_sgpr_workgroup_id_x 1
		.amdhsa_system_sgpr_workgroup_id_y 0
		.amdhsa_system_sgpr_workgroup_id_z 0
		.amdhsa_system_sgpr_workgroup_info 0
		.amdhsa_system_vgpr_workitem_id 0
		.amdhsa_next_free_vgpr 41
		.amdhsa_next_free_sgpr 34
		.amdhsa_reserve_vcc 1
		.amdhsa_float_round_mode_32 0
		.amdhsa_float_round_mode_16_64 0
		.amdhsa_float_denorm_mode_32 3
		.amdhsa_float_denorm_mode_16_64 3
		.amdhsa_dx10_clamp 1
		.amdhsa_ieee_mode 1
		.amdhsa_fp16_overflow 0
		.amdhsa_workgroup_processor_mode 1
		.amdhsa_memory_ordered 1
		.amdhsa_forward_progress 0
		.amdhsa_shared_vgpr_count 0
		.amdhsa_exception_fp_ieee_invalid_op 0
		.amdhsa_exception_fp_denorm_src 0
		.amdhsa_exception_fp_ieee_div_zero 0
		.amdhsa_exception_fp_ieee_overflow 0
		.amdhsa_exception_fp_ieee_underflow 0
		.amdhsa_exception_fp_ieee_inexact 0
		.amdhsa_exception_int_div_zero 0
	.end_amdhsa_kernel
	.section	.text._Z38paged_attention_ll4mi_QKV_mfma4_kernelIDF16_DF16_LN4vllm18Fp8KVCacheDataTypeE0EDF16_Li16ELi128ELi256ELb1ELi4EEvPKT_PKT0_S7_ifPKiS9_S9_iPKfiiiPfSC_PS2_PT2_iSB_SB_,"axG",@progbits,_Z38paged_attention_ll4mi_QKV_mfma4_kernelIDF16_DF16_LN4vllm18Fp8KVCacheDataTypeE0EDF16_Li16ELi128ELi256ELb1ELi4EEvPKT_PKT0_S7_ifPKiS9_S9_iPKfiiiPfSC_PS2_PT2_iSB_SB_,comdat
.Lfunc_end253:
	.size	_Z38paged_attention_ll4mi_QKV_mfma4_kernelIDF16_DF16_LN4vllm18Fp8KVCacheDataTypeE0EDF16_Li16ELi128ELi256ELb1ELi4EEvPKT_PKT0_S7_ifPKiS9_S9_iPKfiiiPfSC_PS2_PT2_iSB_SB_, .Lfunc_end253-_Z38paged_attention_ll4mi_QKV_mfma4_kernelIDF16_DF16_LN4vllm18Fp8KVCacheDataTypeE0EDF16_Li16ELi128ELi256ELb1ELi4EEvPKT_PKT0_S7_ifPKiS9_S9_iPKfiiiPfSC_PS2_PT2_iSB_SB_
                                        ; -- End function
	.section	.AMDGPU.csdata,"",@progbits
; Kernel info:
; codeLenInByte = 72
; NumSgprs: 36
; NumVgprs: 41
; ScratchSize: 64
; MemoryBound: 0
; FloatMode: 240
; IeeeMode: 1
; LDSByteSize: 0 bytes/workgroup (compile time only)
; SGPRBlocks: 4
; VGPRBlocks: 5
; NumSGPRsForWavesPerEU: 36
; NumVGPRsForWavesPerEU: 41
; Occupancy: 16
; WaveLimiterHint : 1
; COMPUTE_PGM_RSRC2:SCRATCH_EN: 1
; COMPUTE_PGM_RSRC2:USER_SGPR: 15
; COMPUTE_PGM_RSRC2:TRAP_HANDLER: 0
; COMPUTE_PGM_RSRC2:TGID_X_EN: 1
; COMPUTE_PGM_RSRC2:TGID_Y_EN: 0
; COMPUTE_PGM_RSRC2:TGID_Z_EN: 0
; COMPUTE_PGM_RSRC2:TIDIG_COMP_CNT: 0
	.section	.text._Z39paged_attention_ll4mi_QKV_mfma16_kernelIDF16_DF16_LN4vllm18Fp8KVCacheDataTypeE0EDF16_Li16ELi128ELi256ELb1ELi5EL8MFMAType0EEvPKT_PKT0_S8_ifPKiSA_SA_iPKfiiiPfSD_PS3_PT2_iSC_SC_,"axG",@progbits,_Z39paged_attention_ll4mi_QKV_mfma16_kernelIDF16_DF16_LN4vllm18Fp8KVCacheDataTypeE0EDF16_Li16ELi128ELi256ELb1ELi5EL8MFMAType0EEvPKT_PKT0_S8_ifPKiSA_SA_iPKfiiiPfSD_PS3_PT2_iSC_SC_,comdat
	.protected	_Z39paged_attention_ll4mi_QKV_mfma16_kernelIDF16_DF16_LN4vllm18Fp8KVCacheDataTypeE0EDF16_Li16ELi128ELi256ELb1ELi5EL8MFMAType0EEvPKT_PKT0_S8_ifPKiSA_SA_iPKfiiiPfSD_PS3_PT2_iSC_SC_ ; -- Begin function _Z39paged_attention_ll4mi_QKV_mfma16_kernelIDF16_DF16_LN4vllm18Fp8KVCacheDataTypeE0EDF16_Li16ELi128ELi256ELb1ELi5EL8MFMAType0EEvPKT_PKT0_S8_ifPKiSA_SA_iPKfiiiPfSD_PS3_PT2_iSC_SC_
	.globl	_Z39paged_attention_ll4mi_QKV_mfma16_kernelIDF16_DF16_LN4vllm18Fp8KVCacheDataTypeE0EDF16_Li16ELi128ELi256ELb1ELi5EL8MFMAType0EEvPKT_PKT0_S8_ifPKiSA_SA_iPKfiiiPfSD_PS3_PT2_iSC_SC_
	.p2align	8
	.type	_Z39paged_attention_ll4mi_QKV_mfma16_kernelIDF16_DF16_LN4vllm18Fp8KVCacheDataTypeE0EDF16_Li16ELi128ELi256ELb1ELi5EL8MFMAType0EEvPKT_PKT0_S8_ifPKiSA_SA_iPKfiiiPfSD_PS3_PT2_iSC_SC_,@function
_Z39paged_attention_ll4mi_QKV_mfma16_kernelIDF16_DF16_LN4vllm18Fp8KVCacheDataTypeE0EDF16_Li16ELi128ELi256ELb1ELi5EL8MFMAType0EEvPKT_PKT0_S8_ifPKiSA_SA_iPKfiiiPfSD_PS3_PT2_iSC_SC_: ; @_Z39paged_attention_ll4mi_QKV_mfma16_kernelIDF16_DF16_LN4vllm18Fp8KVCacheDataTypeE0EDF16_Li16ELi128ELi256ELb1ELi5EL8MFMAType0EEvPKT_PKT0_S8_ifPKiSA_SA_iPKfiiiPfSD_PS3_PT2_iSC_SC_
; %bb.0:
	s_load_b64 s[4:5], s[0:1], 0x30
	s_mov_b32 s34, s13
	s_waitcnt lgkmcnt(0)
	s_cmp_lg_u64 s[4:5], 0
	s_cselect_b32 s8, -1, 0
	s_ashr_i32 s35, s13, 31
	s_cmp_eq_u64 s[4:5], 0
	s_cbranch_scc1 .LBB254_3
; %bb.1:
	s_lshl_b64 s[2:3], s[34:35], 2
	s_delay_alu instid0(SALU_CYCLE_1) | instskip(SKIP_4) | instid1(SALU_CYCLE_1)
	s_add_u32 s2, s4, s2
	s_addc_u32 s3, s5, s3
	s_load_b64 s[2:3], s[2:3], 0x0
	s_waitcnt lgkmcnt(0)
	s_sub_i32 s2, s3, s2
	s_cmp_eq_u32 s2, 1
	s_cselect_b32 s2, -1, 0
	s_delay_alu instid0(SALU_CYCLE_1)
	s_and_not1_b32 vcc_lo, exec_lo, s2
	s_cbranch_vccz .LBB254_4
.LBB254_2:
	s_nop 0
	s_sendmsg sendmsg(MSG_DEALLOC_VGPRS)
	s_endpgm
.LBB254_3:
.LBB254_4:
	s_load_b64 s[2:3], s[0:1], 0x28
	s_lshl_b64 s[6:7], s[34:35], 2
	s_waitcnt lgkmcnt(0)
	s_add_u32 s2, s2, s6
	s_addc_u32 s3, s3, s7
	s_lshl_b32 s29, s14, 8
	s_load_b32 s28, s[2:3], 0x0
	s_waitcnt lgkmcnt(0)
	s_cmp_ge_i32 s29, s28
	s_cbranch_scc1 .LBB254_2
; %bb.5:
	s_clause 0x1
	s_load_b128 s[20:23], s[0:1], 0x8
	s_load_b64 s[2:3], s[0:1], 0x20
	s_and_not1_b32 vcc_lo, exec_lo, s8
	s_cbranch_vccnz .LBB254_7
; %bb.6:
	s_add_u32 s4, s4, s6
	s_addc_u32 s5, s5, s7
	s_load_b32 s5, s[4:5], 0x0
	s_branch .LBB254_8
.LBB254_7:
	s_mov_b32 s5, s34
.LBB254_8:
	s_load_b128 s[16:19], s[0:1], 0x48
	v_and_b32_e32 v140, 15, v0
	v_lshrrev_b32_e32 v141, 5, v0
	v_bfe_u32 v138, v0, 4, 1
	v_and_b32_e32 v142, 31, v0
	v_and_b32_e32 v139, 1, v0
	v_lshlrev_b32_e32 v2, 3, v140
	s_mul_i32 s31, s15, 5
	v_lshl_or_b32 v1, v141, 1, v138
	s_mov_b32 s4, exec_lo
	s_delay_alu instid0(VALU_DEP_2) | instskip(NEXT) | instid1(VALU_DEP_2)
	v_lshlrev_b32_e32 v137, 1, v2
	v_cmpx_gt_u32_e32 5, v1
	s_cbranch_execz .LBB254_10
; %bb.9:
	s_load_b64 s[6:7], s[0:1], 0x0
	v_add_lshl_u32 v2, v1, s31, 7
	s_waitcnt lgkmcnt(0)
	s_mul_hi_i32 s9, s5, s16
	s_mul_i32 s8, s5, s16
	v_lshlrev_b32_e32 v6, 10, v140
	s_lshl_b64 s[8:9], s[8:9], 1
	v_ashrrev_i32_e32 v3, 31, v2
	v_lshlrev_b32_e32 v1, 6, v1
	v_lshlrev_b32_e32 v7, 10, v139
	v_and_b32_e32 v6, 0x3800, v6
	s_delay_alu instid0(VALU_DEP_4) | instskip(NEXT) | instid1(VALU_DEP_2)
	v_lshlrev_b64 v[2:3], 1, v[2:3]
	v_or3_b32 v1, v6, v7, v1
	s_add_u32 s5, s6, s8
	s_addc_u32 s6, s7, s9
	s_delay_alu instid0(VALU_DEP_2) | instskip(NEXT) | instid1(VALU_DEP_3)
	v_add_co_u32 v2, vcc_lo, s5, v2
	v_add_co_ci_u32_e32 v3, vcc_lo, s6, v3, vcc_lo
	s_delay_alu instid0(VALU_DEP_2) | instskip(NEXT) | instid1(VALU_DEP_2)
	v_add_co_u32 v2, vcc_lo, v2, v137
	v_add_co_ci_u32_e32 v3, vcc_lo, 0, v3, vcc_lo
	global_load_b128 v[2:5], v[2:3], off
	s_waitcnt vmcnt(0)
	ds_store_b128 v1, v[2:5]
.LBB254_10:
	s_or_b32 exec_lo, exec_lo, s4
	v_and_b32_e32 v1, 0xef, v0
	s_waitcnt lgkmcnt(0)
	s_add_i32 s5, s28, 15
	s_clause 0x1
	s_load_b32 s4, s[0:1], 0x38
	s_load_b32 s33, s[0:1], 0x98
	s_ashr_i32 s6, s5, 31
	v_add_nc_u32_e32 v1, s29, v1
	s_lshr_b32 s6, s6, 28
	s_load_b32 s30, s[0:1], 0x1c
	s_add_i32 s5, s5, s6
	s_waitcnt lgkmcnt(0)
	v_ashrrev_i32_e32 v2, 31, v1
	v_cmp_gt_i32_e32 vcc_lo, s28, v1
	s_ashr_i32 s16, s5, 4
	s_barrier
	s_add_i32 s16, s16, -1
	v_lshrrev_b32_e32 v3, 28, v2
	v_or_b32_e32 v2, 16, v1
	buffer_gl0_inv
	v_mul_lo_u16 v105, v140, 52
	v_lshlrev_b32_e32 v106, 5, v140
	v_add_nc_u32_e32 v4, v1, v3
	v_add_nc_u32_e32 v3, v2, v3
	s_mul_i32 s4, s34, s4
	v_lshrrev_b16 v105, 8, v105
	s_ashr_i32 s5, s4, 31
	v_ashrrev_i32_e32 v4, 4, v4
	v_ashrrev_i32_e32 v3, 4, v3
	s_lshl_b64 s[4:5], s[4:5], 2
	v_mul_lo_u16 v105, v105, 5
	s_add_u32 s35, s2, s4
	v_cndmask_b32_e32 v1, s16, v4, vcc_lo
	v_cmp_gt_i32_e32 vcc_lo, s28, v2
	s_addc_u32 s36, s3, s5
	s_mul_i32 s2, s15, s18
	v_sub_nc_u16 v105, v140, v105
	v_ashrrev_i32_e32 v2, 31, v1
	v_cndmask_b32_e32 v3, s16, v3, vcc_lo
	s_ashr_i32 s3, s2, 31
	v_lshl_or_b32 v125, v141, 9, v106
	s_lshl_b64 s[2:3], s[2:3], 1
	v_lshlrev_b64 v[1:2], 2, v[1:2]
	v_ashrrev_i32_e32 v4, 31, v3
	s_add_u32 s24, s20, s2
	s_addc_u32 s25, s21, s3
	s_lshl_b32 s4, s14, 4
	v_and_b32_e32 v105, 0xff, v105
	v_lshlrev_b64 v[3:4], 2, v[3:4]
	v_add_co_u32 v1, vcc_lo, s35, v1
	v_add_co_ci_u32_e32 v2, vcc_lo, s36, v2, vcc_lo
	s_ashr_i32 s5, s4, 31
	s_delay_alu instid0(VALU_DEP_3) | instskip(NEXT) | instid1(VALU_DEP_4)
	v_add_co_u32 v3, vcc_lo, s35, v3
	v_add_co_ci_u32_e32 v4, vcc_lo, s36, v4, vcc_lo
	s_lshl_b64 s[4:5], s[4:5], 2
	s_clause 0x1
	global_load_b32 v5, v[1:2], off
	global_load_b32 v6, v[3:4], off
	s_add_u32 s4, s35, s4
	s_addc_u32 s5, s36, s5
	s_or_b32 s6, s29, 16
	v_lshlrev_b32_e32 v3, 4, v0
	s_ashr_i32 s7, s6, 4
	s_cmp_lt_i32 s6, s28
	v_lshlrev_b32_e32 v215, 6, v105
	s_cselect_b32 s6, s7, s16
	s_delay_alu instid0(SALU_CYCLE_1) | instskip(NEXT) | instid1(SALU_CYCLE_1)
	s_ashr_i32 s7, s6, 31
	s_lshl_b64 s[6:7], s[6:7], 2
	s_delay_alu instid0(SALU_CYCLE_1) | instskip(SKIP_2) | instid1(SALU_CYCLE_1)
	s_add_u32 s6, s35, s6
	s_addc_u32 s7, s36, s7
	s_or_b32 s8, s29, 32
	s_ashr_i32 s9, s8, 4
	s_cmp_lt_i32 s8, s28
	s_cselect_b32 s8, s9, s16
	s_delay_alu instid0(SALU_CYCLE_1) | instskip(NEXT) | instid1(SALU_CYCLE_1)
	s_ashr_i32 s9, s8, 31
	s_lshl_b64 s[8:9], s[8:9], 2
	s_delay_alu instid0(SALU_CYCLE_1) | instskip(SKIP_2) | instid1(SALU_CYCLE_1)
	s_add_u32 s8, s35, s8
	s_addc_u32 s9, s36, s9
	s_or_b32 s10, s29, 48
	s_ashr_i32 s11, s10, 4
	s_cmp_lt_i32 s10, s28
	s_cselect_b32 s10, s11, s16
	s_delay_alu instid0(SALU_CYCLE_1) | instskip(NEXT) | instid1(SALU_CYCLE_1)
	s_ashr_i32 s11, s10, 31
	s_lshl_b64 s[10:11], s[10:11], 2
	s_delay_alu instid0(SALU_CYCLE_1) | instskip(SKIP_2) | instid1(SALU_CYCLE_1)
	s_add_u32 s10, s35, s10
	s_addc_u32 s11, s36, s11
	s_or_b32 s12, s29, 64
	s_ashr_i32 s13, s12, 4
	s_cmp_lt_i32 s12, s28
	s_cselect_b32 s12, s13, s16
	s_delay_alu instid0(SALU_CYCLE_1) | instskip(NEXT) | instid1(SALU_CYCLE_1)
	s_ashr_i32 s13, s12, 31
	s_lshl_b64 s[12:13], s[12:13], 2
	s_delay_alu instid0(SALU_CYCLE_1) | instskip(SKIP_2) | instid1(SALU_CYCLE_1)
	s_add_u32 s18, s35, s12
	s_addc_u32 s19, s36, s13
	s_or_b32 s12, s29, 0x50
	s_ashr_i32 s13, s12, 4
	s_cmp_lt_i32 s12, s28
	s_cselect_b32 s12, s13, s16
	s_delay_alu instid0(SALU_CYCLE_1) | instskip(NEXT) | instid1(SALU_CYCLE_1)
	s_ashr_i32 s13, s12, 31
	s_lshl_b64 s[12:13], s[12:13], 2
	s_delay_alu instid0(SALU_CYCLE_1)
	s_add_u32 s20, s35, s12
	s_addc_u32 s21, s36, s13
	s_clause 0x5
	s_load_b32 s39, s[4:5], 0x0
	s_load_b32 s38, s[6:7], 0x0
	;; [unrolled: 1-line block ×6, first 2 shown]
	s_waitcnt vmcnt(1)
	v_mad_i64_i32 v[1:2], null, v5, s17, 0
	v_and_b32_e32 v5, 0xf0, v3
	s_waitcnt vmcnt(0)
	v_mad_i64_i32 v[3:4], null, v6, s17, 0
	s_delay_alu instid0(VALU_DEP_2) | instskip(NEXT) | instid1(VALU_DEP_4)
	v_add_co_u32 v5, s4, s24, v5
	v_lshlrev_b64 v[1:2], 1, v[1:2]
	v_add_co_ci_u32_e64 v6, null, s25, 0, s4
	s_delay_alu instid0(VALU_DEP_4) | instskip(SKIP_1) | instid1(VALU_DEP_3)
	v_lshlrev_b64 v[3:4], 1, v[3:4]
	s_or_b32 s4, s29, 0x60
	v_add_co_u32 v121, vcc_lo, v5, v1
	s_delay_alu instid0(VALU_DEP_3) | instskip(NEXT) | instid1(VALU_DEP_3)
	v_add_co_ci_u32_e32 v122, vcc_lo, v6, v2, vcc_lo
	v_add_co_u32 v123, vcc_lo, v5, v3
	s_delay_alu instid0(VALU_DEP_4)
	v_add_co_ci_u32_e32 v124, vcc_lo, v6, v4, vcc_lo
	s_clause 0x19
	global_load_b128 v[89:92], v[121:122], off
	global_load_b128 v[93:96], v[121:122], off offset:256
	global_load_b128 v[97:100], v[123:124], off
	global_load_b128 v[101:104], v[123:124], off offset:256
	global_load_b128 v[81:84], v[121:122], off offset:512
	;; [unrolled: 1-line block ×23, first 2 shown]
	s_ashr_i32 s5, s4, 4
	s_cmp_lt_i32 s4, s28
	ds_load_b128 v[105:108], v215
	ds_load_b128 v[109:112], v215 offset:1024
	s_cselect_b32 s4, s5, s16
	ds_load_b128 v[113:116], v215 offset:2048
	ds_load_b128 v[117:120], v215 offset:3072
	s_ashr_i32 s5, s4, 31
	ds_load_b128 v[143:146], v215 offset:4096
	ds_load_b128 v[147:150], v215 offset:5120
	s_lshl_b64 s[6:7], s[4:5], 2
	ds_load_b128 v[151:154], v215 offset:6144
	ds_load_b128 v[155:158], v215 offset:7168
	s_add_u32 s18, s35, s6
	s_addc_u32 s19, s36, s7
	s_or_b32 s5, s29, 0x70
	ds_load_b128 v[159:162], v215 offset:8192
	ds_load_b128 v[163:166], v215 offset:9216
	s_ashr_i32 s6, s5, 4
	s_cmp_lt_i32 s5, s28
	s_clause 0x1
	global_load_b128 v[167:170], v[123:124], off offset:3072
	global_load_b128 v[171:174], v[123:124], off offset:3328
	s_cselect_b32 s8, s6, s16
	s_mov_b32 s4, 0
	s_ashr_i32 s9, s8, 31
	s_mov_b32 s5, s4
	s_lshl_b64 s[8:9], s[8:9], 2
	s_mov_b32 s6, s4
	s_add_u32 s20, s35, s8
	s_addc_u32 s21, s36, s9
	s_clause 0x1
	s_load_b32 s41, s[18:19], 0x0
	s_load_b32 s46, s[20:21], 0x0
	s_clause 0x3
	global_load_b128 v[175:178], v[121:122], off offset:3584
	global_load_b128 v[179:182], v[121:122], off offset:3840
	;; [unrolled: 1-line block ×4, first 2 shown]
	s_or_b32 s8, s29, 0x80
	s_mov_b32 s7, s4
	s_ashr_i32 s9, s8, 4
	s_cmp_lt_i32 s8, s28
	s_mov_b32 s8, s4
	s_cselect_b32 s10, s9, s16
	s_mov_b32 s9, s4
	s_ashr_i32 s11, s10, 31
	s_delay_alu instid0(SALU_CYCLE_1)
	s_lshl_b64 s[24:25], s[10:11], 2
	s_mov_b32 s10, s4
	s_add_u32 s24, s35, s24
	s_addc_u32 s25, s36, s25
	s_or_b32 s11, s29, 0x90
	s_load_b32 s47, s[24:25], 0x0
	s_ashr_i32 s26, s11, 4
	s_cmp_lt_i32 s11, s28
	s_mov_b32 s11, s4
	s_cselect_b32 s26, s26, s16
	v_mov_b32_e32 v136, s11
	s_ashr_i32 s27, s26, 31
	v_dual_mov_b32 v135, s10 :: v_dual_mov_b32 v134, s9
	v_dual_mov_b32 v133, s8 :: v_dual_mov_b32 v132, s7
	;; [unrolled: 1-line block ×3, first 2 shown]
	v_mov_b32_e32 v129, s4
	s_lshl_b64 s[4:5], s[26:27], 2
	s_waitcnt lgkmcnt(0)
	s_mul_hi_i32 s7, s38, s17
	s_add_u32 s26, s35, s4
	s_addc_u32 s27, s36, s5
	s_or_b32 s4, s29, 0xa0
	s_load_b32 s40, s[26:27], 0x0
	s_ashr_i32 s5, s4, 4
	s_cmp_lt_i32 s4, s28
	s_cselect_b32 s4, s5, s16
	s_delay_alu instid0(SALU_CYCLE_1) | instskip(NEXT) | instid1(SALU_CYCLE_1)
	s_ashr_i32 s5, s4, 31
	s_lshl_b64 s[4:5], s[4:5], 2
	s_delay_alu instid0(SALU_CYCLE_1)
	s_add_u32 s42, s35, s4
	s_addc_u32 s43, s36, s5
	s_or_b32 s4, s29, 0xb0
	s_mul_hi_i32 s5, s39, s17
	s_ashr_i32 s6, s4, 4
	s_cmp_lt_i32 s4, s28
	s_mul_i32 s4, s39, s17
	s_cselect_b32 s8, s6, s16
	s_mul_i32 s6, s38, s17
	s_ashr_i32 s9, s8, 31
	s_delay_alu instid0(SALU_CYCLE_1)
	s_lshl_b64 s[10:11], s[8:9], 2
	s_mul_hi_i32 s9, s37, s17
	s_add_u32 s44, s35, s10
	s_addc_u32 s45, s36, s11
	s_or_b32 s10, s29, 0xc0
	s_mul_i32 s8, s37, s17
	s_ashr_i32 s37, s10, 4
	s_cmp_lt_i32 s10, s28
	s_mul_hi_i32 s11, s13, s17
	s_cselect_b32 s38, s37, s16
	s_mul_i32 s10, s13, s17
	s_ashr_i32 s39, s38, 31
	s_mul_hi_i32 s13, s12, s17
	s_lshl_b64 s[38:39], s[38:39], 2
	s_mul_i32 s12, s12, s17
	s_add_u32 s20, s35, s38
	s_addc_u32 s21, s36, s39
	s_load_b32 s39, s[42:43], 0x0
	s_or_b32 s18, s29, 0xd0
	s_mul_hi_i32 s27, s47, s17
	s_ashr_i32 s19, s18, 4
	s_cmp_lt_i32 s18, s28
	s_mul_i32 s18, s15, s17
	s_cselect_b32 s24, s19, s16
	s_mul_hi_i32 s19, s15, s17
	s_ashr_i32 s25, s24, 31
	s_mul_i32 s26, s47, s17
	s_lshl_b64 s[24:25], s[24:25], 2
	s_delay_alu instid0(SALU_CYCLE_1)
	s_add_u32 s24, s35, s24
	s_addc_u32 s25, s36, s25
	s_or_b32 s42, s29, 0xe0
	s_clause 0x2
	s_load_b32 s38, s[44:45], 0x0
	s_load_b32 s37, s[20:21], 0x0
	;; [unrolled: 1-line block ×3, first 2 shown]
	s_ashr_i32 s43, s42, 4
	s_cmp_lt_i32 s42, s28
	s_mul_hi_i32 s25, s46, s17
	s_cselect_b32 s42, s43, s16
	s_mul_i32 s24, s46, s17
	s_ashr_i32 s43, s42, 31
	s_mul_hi_i32 s21, s41, s17
	s_lshl_b64 s[42:43], s[42:43], 2
	s_mul_i32 s20, s41, s17
	s_add_u32 s42, s35, s42
	s_addc_u32 s43, s36, s43
	s_or_b32 s46, s29, 0xf0
	s_waitcnt lgkmcnt(0)
	s_mul_hi_i32 s41, s40, s17
	s_ashr_i32 s47, s46, 4
	s_cmp_lt_i32 s46, s28
	s_mul_i32 s40, s40, s17
	s_cselect_b32 s46, s47, s16
	s_mul_hi_i32 s45, s39, s17
	s_ashr_i32 s47, s46, 31
	s_mul_hi_i32 s51, s15, s17
	s_lshl_b64 s[46:47], s[46:47], 2
	s_mul_i32 s50, s15, s17
	s_add_u32 s46, s35, s46
	s_addc_u32 s47, s36, s47
	s_add_u32 s15, s22, s2
	s_addc_u32 s16, s23, s3
	v_add_co_u32 v216, s15, s15, v125
	s_delay_alu instid0(VALU_DEP_1) | instskip(SKIP_2) | instid1(VALU_DEP_2)
	v_add_co_ci_u32_e64 v217, null, s16, 0, s15
	s_lshl_b64 s[2:3], s[4:5], 1
	s_lshl_b64 s[4:5], s[6:7], 1
	v_add_co_u32 v125, vcc_lo, v216, s2
	s_delay_alu instid0(VALU_DEP_2)
	v_add_co_ci_u32_e32 v126, vcc_lo, s3, v217, vcc_lo
	v_add_co_u32 v199, vcc_lo, v216, s4
	s_lshl_b64 s[6:7], s[8:9], 1
	v_add_co_ci_u32_e32 v200, vcc_lo, s5, v217, vcc_lo
	s_lshl_b64 s[8:9], s[10:11], 1
	s_lshl_b64 s[10:11], s[12:13], 1
	;; [unrolled: 1-line block ×7, first 2 shown]
	s_mul_i32 s44, s39, s17
	s_mul_hi_i32 s39, s38, s17
	s_lshl_b64 s[26:27], s[44:45], 1
	s_mul_i32 s38, s38, s17
	s_mul_hi_i32 s49, s37, s17
	s_mul_i32 s48, s37, s17
	s_lshl_b64 s[36:37], s[38:39], 1
	s_lshl_b64 s[38:39], s[48:49], 1
	s_clause 0x1
	s_load_b32 s15, s[42:43], 0x0
	s_load_b32 s16, s[46:47], 0x0
	s_lshl_b64 s[40:41], s[50:51], 1
	s_waitcnt lgkmcnt(0)
	s_mul_hi_i32 s3, s15, s17
	s_mul_i32 s2, s15, s17
	s_mul_hi_i32 s5, s16, s17
	s_lshl_b64 s[2:3], s[2:3], 1
	s_mul_i32 s4, s16, s17
	s_waitcnt vmcnt(30)
	v_wmma_f32_16x16x16_f16 v[191:198], v[89:96], v[105:112], v[129:136]
	v_add_co_u32 v89, vcc_lo, v216, s6
	v_add_co_ci_u32_e32 v90, vcc_lo, s7, v217, vcc_lo
	v_add_co_u32 v91, vcc_lo, v216, s8
	v_add_co_ci_u32_e32 v92, vcc_lo, s9, v217, vcc_lo
	;; [unrolled: 2-line block ×5, first 2 shown]
	v_add_co_u32 v205, vcc_lo, v216, s20
	s_waitcnt vmcnt(28)
	v_wmma_f32_16x16x16_f16 v[129:136], v[97:104], v[105:112], v[129:136]
	v_add_co_ci_u32_e32 v206, vcc_lo, s21, v217, vcc_lo
	v_add_co_u32 v207, vcc_lo, v216, s22
	v_add_co_ci_u32_e32 v208, vcc_lo, s23, v217, vcc_lo
	v_add_co_u32 v209, vcc_lo, v216, s24
	s_waitcnt vmcnt(26)
	v_wmma_f32_16x16x16_f16 v[191:198], v[81:88], v[113:120], v[191:198]
	s_waitcnt vmcnt(24)
	v_wmma_f32_16x16x16_f16 v[129:136], v[73:80], v[113:120], v[129:136]
	v_add_co_ci_u32_e32 v210, vcc_lo, s25, v217, vcc_lo
	v_add_co_u32 v211, vcc_lo, v216, s26
	v_add_co_ci_u32_e32 v212, vcc_lo, s27, v217, vcc_lo
	v_add_co_u32 v213, vcc_lo, v216, s36
	s_waitcnt vmcnt(22)
	v_wmma_f32_16x16x16_f16 v[191:198], v[65:72], v[143:150], v[191:198]
	s_waitcnt vmcnt(20)
	v_wmma_f32_16x16x16_f16 v[129:136], v[57:64], v[143:150], v[129:136]
	v_add_co_ci_u32_e32 v214, vcc_lo, s37, v217, vcc_lo
	v_add_co_u32 v143, vcc_lo, v216, s38
	s_waitcnt vmcnt(18)
	v_wmma_f32_16x16x16_f16 v[191:198], v[49:56], v[151:158], v[191:198]
	s_waitcnt vmcnt(16)
	v_wmma_f32_16x16x16_f16 v[129:136], v[25:32], v[151:158], v[129:136]
	v_add_co_ci_u32_e32 v144, vcc_lo, s39, v217, vcc_lo
	s_clause 0x15
	global_load_b128 v[121:124], v[125:126], off
	global_load_b128 v[125:128], v[125:126], off offset:16
	global_load_b128 v[113:116], v[199:200], off
	global_load_b128 v[117:120], v[199:200], off offset:16
	;; [unrolled: 2-line block ×11, first 2 shown]
	s_waitcnt vmcnt(36)
	v_wmma_f32_16x16x16_f16 v[191:198], v[1:8], v[159:166], v[191:198]
	s_clause 0x1
	global_load_b128 v[1:4], v[213:214], off
	global_load_b128 v[5:8], v[213:214], off offset:16
	s_waitcnt vmcnt(36)
	v_wmma_f32_16x16x16_f16 v[129:136], v[9:16], v[159:166], v[129:136]
	s_clause 0x1
	global_load_b128 v[9:12], v[143:144], off
	global_load_b128 v[13:16], v[143:144], off offset:16
	ds_load_b128 v[143:146], v215 offset:10240
	ds_load_b128 v[147:150], v215 offset:11264
	;; [unrolled: 1-line block ×4, first 2 shown]
	v_add_co_u32 v199, vcc_lo, v216, s40
	v_add_co_ci_u32_e32 v200, vcc_lo, s41, v217, vcc_lo
	v_add_co_u32 v159, vcc_lo, v216, s2
	v_add_co_ci_u32_e32 v160, vcc_lo, s3, v217, vcc_lo
	s_lshl_b64 s[2:3], s[4:5], 1
	s_delay_alu instid0(SALU_CYCLE_1)
	v_add_co_u32 v161, vcc_lo, v216, s2
	v_add_co_ci_u32_e32 v162, vcc_lo, s3, v217, vcc_lo
	s_waitcnt vmcnt(36) lgkmcnt(2)
	v_wmma_f32_16x16x16_f16 v[191:198], v[41:48], v[143:150], v[191:198]
	s_waitcnt vmcnt(34)
	v_wmma_f32_16x16x16_f16 v[129:136], v[33:40], v[143:150], v[129:136]
	s_clause 0x3
	global_load_b128 v[33:36], v[199:200], off
	global_load_b128 v[37:40], v[199:200], off offset:16
	global_load_b128 v[41:44], v[159:160], off
	global_load_b128 v[45:48], v[159:160], off offset:16
	v_and_b32_e32 v143, 0xe0, v0
	v_mbcnt_lo_u32_b32 v159, -1, 0
	s_waitcnt vmcnt(36) lgkmcnt(0)
	v_wmma_f32_16x16x16_f16 v[191:198], v[17:24], v[151:158], v[191:198]
	s_clause 0x1
	global_load_b128 v[17:20], v[161:162], off
	global_load_b128 v[21:24], v[161:162], off offset:16
	s_waitcnt vmcnt(36)
	v_wmma_f32_16x16x16_f16 v[129:136], v[167:174], v[151:158], v[129:136]
	v_add_nc_u32_e32 v160, s29, v143
	ds_load_b128 v[143:146], v215 offset:14336
	ds_load_b128 v[147:150], v215 offset:15360
	v_xor_b32_e32 v151, 16, v159
	s_waitcnt vmcnt(0) lgkmcnt(0)
	s_barrier
	v_or_b32_e32 v152, v160, v138
	buffer_gl0_inv
	v_cmp_gt_i32_e32 vcc_lo, 32, v151
	v_or_b32_e32 v153, 2, v152
	v_or_b32_e32 v154, 4, v152
	;; [unrolled: 1-line block ×5, first 2 shown]
	v_cmp_gt_i32_e64 s2, s28, v153
	v_cmp_gt_i32_e64 s3, s28, v154
	;; [unrolled: 1-line block ×3, first 2 shown]
	v_or_b32_e32 v158, 12, v152
	v_cmp_gt_i32_e64 s5, s28, v156
	v_cmp_gt_i32_e64 s6, s28, v157
	v_wmma_f32_16x16x16_f16 v[191:198], v[175:182], v[143:150], v[191:198]
	v_wmma_f32_16x16x16_f16 v[129:136], v[183:190], v[143:150], v[129:136]
	v_cndmask_b32_e32 v151, v159, v151, vcc_lo
	v_cmp_gt_i32_e32 vcc_lo, s28, v152
	v_or_b32_e32 v159, 14, v152
	v_dual_mul_f32 v149, s30, v192 :: v_dual_mul_f32 v150, s30, v191
	v_dual_mul_f32 v147, s30, v194 :: v_dual_mul_f32 v148, s30, v193
	;; [unrolled: 1-line block ×3, first 2 shown]
	s_delay_alu instid0(VALU_DEP_3) | instskip(NEXT) | instid1(VALU_DEP_4)
	v_cndmask_b32_e32 v150, 0xff7fffff, v150, vcc_lo
	v_cndmask_b32_e64 v149, 0xff7fffff, v149, s2
	v_mul_f32_e32 v146, s30, v195
	v_cndmask_b32_e64 v148, 0xff7fffff, v148, s3
	v_cndmask_b32_e64 v147, 0xff7fffff, v147, s4
	v_or_b32_e32 v160, 16, v152
	v_max3_f32 v149, v150, 0xff7fffff, v149
	v_or_b32_e32 v161, 18, v152
	v_dual_mul_f32 v143, s30, v198 :: v_dual_mul_f32 v144, s30, v197
	v_cndmask_b32_e64 v146, 0xff7fffff, v146, s5
	v_cndmask_b32_e64 v145, 0xff7fffff, v145, s6
	v_max3_f32 v147, v149, v148, v147
	v_cmp_gt_i32_e64 s7, s28, v158
	v_cmp_gt_i32_e64 s8, s28, v159
	v_or_b32_e32 v162, 20, v152
	v_or_b32_e32 v163, 22, v152
	v_mul_f32_e32 v175, s30, v129
	v_cndmask_b32_e64 v144, 0xff7fffff, v144, s7
	v_cndmask_b32_e64 v143, 0xff7fffff, v143, s8
	v_max3_f32 v145, v147, v146, v145
	v_cmp_gt_i32_e64 s9, s28, v160
	v_cmp_gt_i32_e64 s10, s28, v161
	v_or_b32_e32 v164, 24, v152
	v_or_b32_e32 v165, 26, v152
	v_dual_mul_f32 v172, s30, v132 :: v_dual_mul_f32 v173, s30, v131
	v_cndmask_b32_e64 v146, 0xff7fffff, v175, s9
	v_cndmask_b32_e64 v147, 0xff7fffff, v174, s10
	v_max3_f32 v143, v145, v144, v143
	v_cmp_gt_i32_e64 s11, s28, v162
	v_cmp_gt_i32_e64 s12, s28, v163
	v_or_b32_e32 v166, 28, v152
	v_or_b32_e32 v167, 30, v152
	v_dual_mul_f32 v170, s30, v134 :: v_dual_mul_f32 v171, s30, v133
	v_cndmask_b32_e64 v144, 0xff7fffff, v173, s11
	v_cndmask_b32_e64 v145, 0xff7fffff, v172, s12
	v_max3_f32 v143, v143, v146, v147
	v_cmp_gt_i32_e64 s13, s28, v164
	v_cmp_gt_i32_e64 s15, s28, v165
	v_dual_mul_f32 v168, s30, v136 :: v_dual_mul_f32 v169, s30, v135
	s_delay_alu instid0(VALU_DEP_4) | instskip(NEXT) | instid1(VALU_DEP_4)
	v_max3_f32 v143, v143, v144, v145
	v_cndmask_b32_e64 v146, 0xff7fffff, v171, s13
	s_delay_alu instid0(VALU_DEP_4) | instskip(SKIP_3) | instid1(VALU_DEP_4)
	v_cndmask_b32_e64 v147, 0xff7fffff, v170, s15
	v_cmp_gt_i32_e64 s16, s28, v166
	v_cmp_gt_i32_e64 s17, s28, v167
	v_lshlrev_b32_e32 v160, 2, v151
	v_max3_f32 v143, v143, v146, v147
	s_delay_alu instid0(VALU_DEP_4) | instskip(NEXT) | instid1(VALU_DEP_4)
	v_cndmask_b32_e64 v144, 0xff7fffff, v169, s16
	v_cndmask_b32_e64 v145, 0xff7fffff, v168, s17
	s_delay_alu instid0(VALU_DEP_1) | instskip(SKIP_3) | instid1(VALU_DEP_1)
	v_max3_f32 v143, v143, v144, v145
	ds_bpermute_b32 v144, v160, v143
	s_waitcnt lgkmcnt(0)
	v_max_f32_e32 v144, v144, v144
	v_max_f32_e32 v159, v143, v144
	s_delay_alu instid0(VALU_DEP_1) | instskip(SKIP_4) | instid1(VALU_DEP_4)
	v_fma_f32 v145, s30, v193, -v159
	v_fma_f32 v146, s30, v194, -v159
	;; [unrolled: 1-line block ×5, first 2 shown]
	v_dual_mul_f32 v145, 0x3fb8aa3b, v145 :: v_dual_mul_f32 v146, 0x3fb8aa3b, v146
	s_delay_alu instid0(VALU_DEP_4) | instskip(SKIP_1) | instid1(VALU_DEP_4)
	v_mul_f32_e32 v132, 0x3fb8aa3b, v132
	v_fma_f32 v148, s30, v195, -v159
	v_mul_f32_e32 v144, 0x3fb8aa3b, v144
	s_delay_alu instid0(VALU_DEP_4)
	v_exp_f32_e32 v145, v145
	v_exp_f32_e32 v150, v146
	v_fma_f32 v149, s30, v196, -v159
	v_mul_f32_e32 v148, 0x3fb8aa3b, v148
	v_exp_f32_e32 v147, v144
	v_fma_f32 v134, s30, v134, -v159
	v_fma_f32 v151, s30, v197, -v159
	v_mul_f32_e32 v149, 0x3fb8aa3b, v149
	v_exp_f32_e32 v148, v148
	v_fma_f32 v152, s30, v198, -v159
	v_cndmask_b32_e64 v146, 0, v145, s3
	v_cndmask_b32_e64 v145, 0, v150, s4
	v_dual_mul_f32 v143, 0x3fb8aa3b, v143 :: v_dual_mul_f32 v134, 0x3fb8aa3b, v134
	v_mul_f32_e32 v151, 0x3fb8aa3b, v151
	v_exp_f32_e32 v149, v149
	v_fma_f32 v129, s30, v129, -v159
	s_delay_alu instid0(VALU_DEP_3)
	v_exp_f32_e32 v143, v143
	v_mul_f32_e32 v150, 0x3fb8aa3b, v152
	v_exp_f32_e32 v151, v151
	v_cndmask_b32_e64 v148, 0, v148, s5
	v_fma_f32 v130, s30, v130, -v159
	v_mul_f32_e32 v129, 0x3fb8aa3b, v129
	v_exp_f32_e32 v153, v150
	v_fma_f32 v131, s30, v131, -v159
	v_fma_f32 v133, s30, v133, -v159
	v_mul_f32_e32 v130, 0x3fb8aa3b, v130
	v_cndmask_b32_e32 v144, 0, v143, vcc_lo
	v_cndmask_b32_e64 v143, 0, v147, s2
	v_exp_f32_e32 v129, v129
	v_cndmask_b32_e64 v150, 0, v151, s7
	v_mul_f32_e32 v131, 0x3fb8aa3b, v131
	v_add_f32_e32 v147, 0, v144
	v_exp_f32_e32 v130, v130
	v_mul_f32_e32 v133, 0x3fb8aa3b, v133
	v_exp_f32_e32 v132, v132
	v_exp_f32_e32 v131, v131
	v_add_f32_e32 v147, v147, v143
	v_cmp_gt_u32_e64 s2, 16, v142
	v_exp_f32_e32 v133, v133
	s_delay_alu instid0(VALU_DEP_2)
	v_add_f32_e32 v147, v147, v146
	s_waitcnt_depctr 0xfff
	v_cndmask_b32_e64 v154, 0, v131, s11
	v_add_f32_e32 v152, v147, v145
	v_cndmask_b32_e64 v147, 0, v149, s6
	v_exp_f32_e32 v131, v134
	v_cndmask_b32_e64 v156, 0, v133, s13
	s_delay_alu instid0(VALU_DEP_3) | instskip(SKIP_1) | instid1(VALU_DEP_2)
	v_add_f32_e32 v149, v152, v148
	v_cndmask_b32_e64 v152, 0, v129, s9
	v_add_f32_e32 v151, v149, v147
	v_cndmask_b32_e64 v149, 0, v153, s8
	v_cndmask_b32_e64 v153, 0, v132, s12
	v_fma_f32 v132, s30, v136, -v159
	s_delay_alu instid0(TRANS32_DEP_1) | instskip(NEXT) | instid1(VALU_DEP_2)
	v_cndmask_b32_e64 v155, 0, v131, s15
	v_dual_add_f32 v151, v151, v150 :: v_dual_mul_f32 v132, 0x3fb8aa3b, v132
	s_delay_alu instid0(VALU_DEP_1) | instskip(SKIP_2) | instid1(VALU_DEP_4)
	v_add_f32_e32 v129, v151, v149
	v_cndmask_b32_e64 v151, 0, v130, s10
	v_fma_f32 v130, s30, v135, -v159
	v_exp_f32_e32 v131, v132
	s_delay_alu instid0(VALU_DEP_1) | instskip(NEXT) | instid1(VALU_DEP_1)
	v_dual_add_f32 v129, v129, v152 :: v_dual_mul_f32 v130, 0x3fb8aa3b, v130
	v_add_f32_e32 v129, v129, v151
	s_delay_alu instid0(VALU_DEP_2) | instskip(SKIP_3) | instid1(VALU_DEP_1)
	v_exp_f32_e32 v130, v130
	s_waitcnt_depctr 0xfff
	v_cndmask_b32_e64 v157, 0, v131, s17
	v_add_f32_e32 v129, v129, v154
	v_add_f32_e32 v129, v129, v153
	v_cndmask_b32_e64 v158, 0, v130, s16
	s_delay_alu instid0(VALU_DEP_2) | instskip(NEXT) | instid1(VALU_DEP_1)
	v_add_f32_e32 v129, v129, v156
	v_add_f32_e32 v129, v129, v155
	s_delay_alu instid0(VALU_DEP_1) | instskip(NEXT) | instid1(VALU_DEP_1)
	v_add_f32_e32 v129, v129, v158
	v_add_f32_e32 v129, v129, v157
	ds_bpermute_b32 v130, v160, v129
	s_and_saveexec_b32 s3, s2
	s_cbranch_execz .LBB254_12
; %bb.11:
	v_mul_u32_u24_e32 v131, 0x44, v141
	s_delay_alu instid0(VALU_DEP_1) | instskip(SKIP_1) | instid1(VALU_DEP_1)
	v_lshl_add_u32 v131, v140, 2, v131
	s_waitcnt lgkmcnt(0)
	v_dual_add_f32 v129, v129, v130 :: v_dual_add_nc_u32 v130, 0x4000, v131
	ds_store_2addr_b32 v130, v159, v129 offset1:136
.LBB254_12:
	s_or_b32 exec_lo, exec_lo, s3
	v_lshlrev_b32_e32 v129, 2, v140
	s_load_b32 s35, s[0:1], 0x94
	s_waitcnt lgkmcnt(0)
	s_barrier
	buffer_gl0_inv
	v_add_nc_u32_e32 v135, 0x4000, v129
	v_cmp_eq_u32_e32 vcc_lo, 1, v141
	v_cmp_eq_u32_e64 s3, 2, v141
	v_cmp_eq_u32_e64 s4, 3, v141
	;; [unrolled: 1-line block ×3, first 2 shown]
	ds_load_2addr_b32 v[129:130], v135 offset1:17
	ds_load_2addr_b32 v[131:132], v135 offset0:34 offset1:51
	ds_load_2addr_b32 v[133:134], v135 offset0:68 offset1:85
	;; [unrolled: 1-line block ×3, first 2 shown]
	v_cmp_eq_u32_e64 s6, 5, v141
	v_cmp_eq_u32_e64 s7, 7, v141
	s_waitcnt lgkmcnt(3)
	v_max3_f32 v136, v129, 0xff7fffff, v130
	s_waitcnt lgkmcnt(2)
	s_delay_alu instid0(VALU_DEP_1) | instskip(SKIP_1) | instid1(VALU_DEP_1)
	v_max3_f32 v136, v136, v131, v132
	s_waitcnt lgkmcnt(1)
	v_max3_f32 v136, v136, v133, v134
	s_waitcnt lgkmcnt(0)
	s_delay_alu instid0(VALU_DEP_1) | instskip(NEXT) | instid1(VALU_DEP_1)
	v_max3_f32 v136, v136, v159, v160
	v_sub_f32_e32 v142, v130, v136
	ds_load_2addr_b32 v[161:162], v135 offset0:136 offset1:153
	v_sub_f32_e32 v164, v132, v136
	v_mul_f32_e32 v142, 0x3fb8aa3b, v142
	s_delay_alu instid0(VALU_DEP_2) | instskip(NEXT) | instid1(VALU_DEP_2)
	v_mul_f32_e32 v164, 0x3fb8aa3b, v164
	v_exp_f32_e32 v166, v142
	v_sub_f32_e32 v129, v129, v136
	s_delay_alu instid0(VALU_DEP_2) | instskip(NEXT) | instid1(VALU_DEP_1)
	v_exp_f32_e32 v164, v164
	v_mul_f32_e32 v163, 0x3fb8aa3b, v129
	ds_load_2addr_b32 v[129:130], v135 offset0:170 offset1:187
	v_exp_f32_e32 v163, v163
	s_waitcnt lgkmcnt(1)
	s_waitcnt_depctr 0xfff
	v_fma_f32 v142, v163, v161, 0
	v_sub_f32_e32 v161, v134, v136
	s_delay_alu instid0(VALU_DEP_2) | instskip(NEXT) | instid1(VALU_DEP_1)
	v_dual_fmac_f32 v142, v166, v162 :: v_dual_sub_f32 v131, v131, v136
	v_mul_f32_e32 v165, 0x3fb8aa3b, v131
	ds_load_2addr_b32 v[131:132], v135 offset0:204 offset1:221
	v_exp_f32_e32 v165, v165
	s_waitcnt lgkmcnt(1)
	s_waitcnt_depctr 0xfff
	v_fmac_f32_e32 v142, v165, v129
	v_sub_f32_e32 v133, v133, v136
	v_sub_f32_e32 v129, v160, v136
	s_delay_alu instid0(VALU_DEP_2) | instskip(NEXT) | instid1(VALU_DEP_2)
	v_dual_fmac_f32 v142, v164, v130 :: v_dual_mul_f32 v167, 0x3fb8aa3b, v133
	v_mul_f32_e32 v129, 0x3fb8aa3b, v129
	ds_load_2addr_b32 v[133:134], v135 offset0:238 offset1:255
	v_cndmask_b32_e32 v130, v163, v166, vcc_lo
	s_waitcnt lgkmcnt(0)
	s_barrier
	v_exp_f32_e32 v162, v129
	v_sub_f32_e32 v135, v159, v136
	v_mul_f32_e32 v159, 0x3fb8aa3b, v161
	v_exp_f32_e32 v161, v167
	buffer_gl0_inv
	v_exp_f32_e32 v159, v159
	v_fmac_f32_e32 v142, v161, v131
	s_waitcnt_depctr 0xfff
	v_dual_mul_f32 v135, 0x3fb8aa3b, v135 :: v_dual_fmac_f32 v142, v159, v132
	s_delay_alu instid0(VALU_DEP_1) | instskip(SKIP_2) | instid1(VALU_DEP_1)
	v_exp_f32_e32 v160, v135
	s_waitcnt_depctr 0xfff
	v_dual_fmac_f32 v142, v160, v133 :: v_dual_lshlrev_b32 v133, 6, v140
	v_fmac_f32_e32 v142, v162, v134
	s_delay_alu instid0(VALU_DEP_2) | instskip(NEXT) | instid1(VALU_DEP_2)
	v_lshl_or_b32 v135, v141, 11, v133
	v_add_f32_e32 v134, 0x358637bd, v142
	s_delay_alu instid0(VALU_DEP_1) | instskip(SKIP_1) | instid1(VALU_DEP_2)
	v_div_scale_f32 v167, null, v134, v134, 1.0
	v_div_scale_f32 v163, vcc_lo, 1.0, v134, 1.0
	v_rcp_f32_e32 v168, v167
	s_waitcnt_depctr 0xfff
	v_fma_f32 v129, -v167, v168, 1.0
	s_delay_alu instid0(VALU_DEP_1) | instskip(SKIP_2) | instid1(VALU_DEP_2)
	v_fmac_f32_e32 v168, v129, v168
	v_cndmask_b32_e64 v129, v130, v165, s3
	v_cmp_eq_u32_e64 s3, 6, v141
	v_cndmask_b32_e64 v130, v129, v164, s4
	v_lshlrev_b32_e32 v129, 2, v138
	v_mul_f32_e32 v165, v163, v168
	s_delay_alu instid0(VALU_DEP_3) | instskip(NEXT) | instid1(VALU_DEP_3)
	v_cndmask_b32_e64 v161, v130, v161, s5
	v_or_b32_e32 v130, 1, v129
	s_delay_alu instid0(VALU_DEP_3)
	v_fma_f32 v131, -v167, v165, v163
	v_or_b32_e32 v132, 2, v129
	v_cmp_eq_u32_e64 s4, 1, v129
	v_cndmask_b32_e64 v141, v161, v159, s6
	v_cmp_eq_u32_e64 s9, 1, v130
	v_fmac_f32_e32 v165, v131, v168
	v_or_b32_e32 v131, 3, v129
	v_cmp_eq_u32_e64 s10, 1, v132
	v_cndmask_b32_e64 v141, v141, v160, s3
	v_cmp_eq_u32_e64 s5, 2, v129
	v_fma_f32 v159, -v167, v165, v163
	v_cmp_eq_u32_e64 s11, 1, v131
	v_cmp_eq_u32_e64 s16, 2, v131
	v_cndmask_b32_e64 v141, v141, v162, s7
	v_cmp_eq_u32_e64 s12, 2, v130
	v_div_fmas_f32 v159, v159, v168, v165
	v_cmp_eq_u32_e64 s18, 3, v131
	v_cmp_eq_u32_e32 vcc_lo, 3, v129
	v_cmp_eq_u32_e64 s13, 3, v130
	v_cmp_eq_u32_e64 s15, 2, v132
	v_div_fixup_f32 v159, v159, v134, 1.0
	v_lshl_or_b32 v134, v138, 4, v135
	v_cmp_eq_u32_e64 s22, 4, v131
	v_cmp_eq_u32_e64 s3, 4, v129
	;; [unrolled: 1-line block ×3, first 2 shown]
	v_mul_f32_e32 v141, v141, v159
	v_cmp_eq_u32_e64 s19, 4, v130
	v_cmp_eq_u32_e64 s24, 5, v131
	;; [unrolled: 1-line block ×4, first 2 shown]
	v_fma_mixlo_f16 v159, v141, v144, 0
	v_fma_mixlo_f16 v160, v141, v146, 0
	v_fma_mixlo_f16 v161, v141, v148, 0
	v_fma_mixlo_f16 v162, v141, v150, 0
	v_fma_mixlo_f16 v163, v141, v152, 0
	v_fma_mixlo_f16 v164, v141, v154, 0
	v_fma_mixlo_f16 v165, v141, v156, 0
	v_fma_mixlo_f16 v166, v141, v158, 0
	v_fma_mixhi_f16 v159, v141, v143, 0
	v_fma_mixhi_f16 v160, v141, v145, 0
	;; [unrolled: 1-line block ×8, first 2 shown]
	ds_store_b128 v134, v[159:162]
	ds_store_b128 v134, v[163:166] offset:1024
	s_waitcnt lgkmcnt(0)
	s_barrier
	buffer_gl0_inv
	ds_load_b128 v[143:146], v135
	ds_load_b128 v[147:150], v135 offset:16
	ds_load_b128 v[151:154], v135 offset:1024
	;; [unrolled: 1-line block ×3, first 2 shown]
	v_cmp_eq_u32_e64 s21, 4, v132
	v_cmp_eq_u32_e64 s27, 6, v131
	;; [unrolled: 1-line block ×10, first 2 shown]
	s_waitcnt lgkmcnt(3)
	v_lshrrev_b32_e32 v141, 16, v143
	s_waitcnt lgkmcnt(2)
	v_lshrrev_b32_e32 v162, 16, v147
	v_lshrrev_b32_e32 v159, 16, v144
	;; [unrolled: 1-line block ×3, first 2 shown]
	s_waitcnt lgkmcnt(1)
	v_lshrrev_b32_e32 v166, 16, v151
	v_cndmask_b32_e64 v174, v143, v141, s4
	v_cndmask_b32_e64 v176, v143, v141, s9
	v_cndmask_b32_e64 v178, v143, v141, s10
	v_cndmask_b32_e64 v141, v143, v141, s11
	v_cndmask_b32_e64 v143, v147, v162, s11
	s_waitcnt lgkmcnt(0)
	v_lshrrev_b32_e32 v170, 16, v155
	v_cndmask_b32_e64 v175, v147, v162, s4
	v_cndmask_b32_e64 v177, v147, v162, s9
	;; [unrolled: 1-line block ×19, first 2 shown]
	v_lshrrev_b32_e32 v160, 16, v145
	v_lshrrev_b32_e32 v164, 16, v149
	;; [unrolled: 1-line block ×4, first 2 shown]
	v_cndmask_b32_e64 v176, v178, v144, s15
	v_cndmask_b32_e64 v177, v179, v148, s15
	;; [unrolled: 1-line block ×8, first 2 shown]
	v_cndmask_b32_e32 v155, v166, v159, vcc_lo
	v_cndmask_b32_e32 v166, v170, v163, vcc_lo
	v_cndmask_b32_e64 v170, v174, v159, s13
	v_cndmask_b32_e64 v174, v175, v163, s13
	;; [unrolled: 1-line block ×6, first 2 shown]
	v_cndmask_b32_e32 v144, v144, v167, vcc_lo
	v_cndmask_b32_e32 v147, v147, v171, vcc_lo
	v_cndmask_b32_e64 v148, v148, v167, s13
	v_cndmask_b32_e64 v155, v155, v145, s3
	v_cndmask_b32_e64 v159, v166, v149, s3
	v_cndmask_b32_e64 v163, v170, v145, s19
	v_cndmask_b32_e64 v166, v174, v149, s19
	v_cndmask_b32_e64 v141, v141, v160, s24
	v_cndmask_b32_e64 v143, v143, v164, s24
	v_lshrrev_b32_e32 v161, 16, v146
	v_lshrrev_b32_e32 v165, 16, v150
	;; [unrolled: 1-line block ×4, first 2 shown]
	v_cndmask_b32_e64 v170, v175, v145, s21
	v_cndmask_b32_e64 v174, v176, v149, s21
	;; [unrolled: 1-line block ×22, first 2 shown]
	v_lshrrev_b32_e32 v169, 16, v154
	v_cndmask_b32_e64 v160, v163, v146, s26
	v_cndmask_b32_e64 v163, v166, v150, s26
	;; [unrolled: 1-line block ×9, first 2 shown]
	v_perm_b32 v146, v143, v141, 0x5040100
	v_cndmask_b32_e64 v141, v183, v156, s15
	v_cndmask_b32_e64 v143, v181, v156, s12
	;; [unrolled: 1-line block ×4, first 2 shown]
	v_perm_b32 v144, v159, v149, 0x5040100
	v_cndmask_b32_e64 v149, v162, v167, s17
	v_cndmask_b32_e64 v151, v151, v167, s18
	;; [unrolled: 1-line block ×15, first 2 shown]
	v_lshrrev_b32_e32 v173, 16, v158
	v_cndmask_b32_e64 v149, v149, v154, s26
	v_cndmask_b32_e64 v151, v151, v154, s27
	;; [unrolled: 1-line block ×13, first 2 shown]
	v_perm_b32 v145, v160, v155, 0x5040100
	v_perm_b32 v143, v148, v147, 0x5040100
	;; [unrolled: 1-line block ×6, first 2 shown]
	s_mul_i32 s7, s33, 5
	s_mov_b32 s3, exec_lo
	ds_store_b128 v134, v[143:146]
	ds_store_b128 v134, v[147:150] offset:1024
	v_cmpx_gt_u32_e32 5, v0
	s_cbranch_execz .LBB254_14
; %bb.13:
	s_mul_i32 s4, s7, s34
	s_load_b128 s[8:11], s[0:1], 0x58
	v_add3_u32 v143, s4, s31, v140
	s_delay_alu instid0(VALU_DEP_1) | instskip(NEXT) | instid1(VALU_DEP_1)
	v_mad_u64_u32 v[140:141], null, v143, s35, s[14:15]
	v_ashrrev_i32_e32 v141, 31, v140
	s_delay_alu instid0(VALU_DEP_1) | instskip(SKIP_1) | instid1(VALU_DEP_1)
	v_lshlrev_b64 v[140:141], 2, v[140:141]
	s_waitcnt lgkmcnt(0)
	v_add_co_u32 v143, vcc_lo, s10, v140
	s_delay_alu instid0(VALU_DEP_2)
	v_add_co_ci_u32_e32 v144, vcc_lo, s11, v141, vcc_lo
	v_add_co_u32 v140, vcc_lo, s8, v140
	v_add_co_ci_u32_e32 v141, vcc_lo, s9, v141, vcc_lo
	global_store_b32 v[143:144], v136, off
	global_store_b32 v[140:141], v142, off
.LBB254_14:
	s_or_b32 exec_lo, exec_lo, s3
	s_waitcnt lgkmcnt(0)
	s_waitcnt_vscnt null, 0x0
	s_barrier
	buffer_gl0_inv
	ds_load_b128 v[148:151], v133
	ds_load_b128 v[152:155], v133 offset:16
	ds_load_b128 v[160:163], v133 offset:1040
	;; [unrolled: 1-line block ×5, first 2 shown]
	v_cmp_eq_u32_e32 vcc_lo, 1, v132
	v_mov_b32_e32 v140, 0
	ds_load_b128 v[176:179], v133 offset:3088
	ds_load_b128 v[172:175], v133 offset:3072
	;; [unrolled: 1-line block ×4, first 2 shown]
	v_cmp_eq_u32_e64 s3, 1, v129
	v_cmp_eq_u32_e64 s4, 1, v131
	;; [unrolled: 1-line block ×3, first 2 shown]
	v_mov_b32_e32 v141, v140
	v_mov_b32_e32 v142, v140
	;; [unrolled: 1-line block ×7, first 2 shown]
	v_cmp_eq_u32_e64 s6, 2, v129
	s_waitcnt lgkmcnt(8)
	s_delay_alu instid0(VALU_DEP_2)
	v_wmma_f32_16x16x16_f16 v[140:147], v[121:128], v[148:155], v[140:147]
	ds_load_b128 v[125:128], v133 offset:5136
	ds_load_b128 v[121:124], v133 offset:5120
	s_waitcnt lgkmcnt(8)
	v_wmma_f32_16x16x16_f16 v[140:147], v[113:120], v[156:163], v[140:147]
	ds_load_b128 v[117:120], v133 offset:6160
	ds_load_b128 v[113:116], v133 offset:6144
	s_waitcnt lgkmcnt(8)
	;; [unrolled: 4-line block ×11, first 2 shown]
	s_barrier
	buffer_gl0_inv
	v_wmma_f32_16x16x16_f16 v[140:147], v[1:8], v[73:80], v[140:147]
	s_delay_alu instid0(VALU_DEP_1) | instskip(NEXT) | instid1(VALU_DEP_1)
	v_wmma_f32_16x16x16_f16 v[140:147], v[9:16], v[65:72], v[140:147]
	v_wmma_f32_16x16x16_f16 v[140:147], v[33:40], v[57:64], v[140:147]
	s_delay_alu instid0(VALU_DEP_1) | instskip(NEXT) | instid1(VALU_DEP_1)
	v_wmma_f32_16x16x16_f16 v[140:147], v[41:48], v[49:56], v[140:147]
	v_wmma_f32_16x16x16_f16 v[140:147], v[17:24], v[25:32], v[140:147]
	s_delay_alu instid0(VALU_DEP_1) | instskip(NEXT) | instid1(VALU_DEP_2)
	v_cvt_f16_f32_e64 v1, v140
	v_cvt_f16_f32_e64 v2, v141
	s_delay_alu instid0(VALU_DEP_3) | instskip(NEXT) | instid1(VALU_DEP_4)
	v_cvt_f16_f32_e64 v3, v142
	v_cvt_f16_f32_e64 v4, v143
	;; [unrolled: 1-line block ×6, first 2 shown]
	v_pack_b32_f16 v1, v1, v2
	v_pack_b32_f16 v2, v3, v4
	;; [unrolled: 1-line block ×3, first 2 shown]
	s_delay_alu instid0(VALU_DEP_4)
	v_pack_b32_f16 v4, v7, v8
	ds_store_b128 v134, v[1:4]
	s_waitcnt lgkmcnt(0)
	s_barrier
	buffer_gl0_inv
	ds_load_b128 v[1:4], v135
	ds_load_b128 v[5:8], v135 offset:16
	s_waitcnt lgkmcnt(1)
	v_lshrrev_b32_e32 v9, 16, v1
	s_waitcnt lgkmcnt(0)
	v_lshrrev_b32_e32 v13, 16, v5
	v_lshrrev_b32_e32 v10, 16, v2
	;; [unrolled: 1-line block ×4, first 2 shown]
	v_cndmask_b32_e64 v17, v1, v9, s3
	v_cndmask_b32_e64 v18, v5, v13, s3
	;; [unrolled: 1-line block ×3, first 2 shown]
	v_cmp_eq_u32_e64 s3, 2, v130
	v_cndmask_b32_e64 v20, v5, v13, s5
	v_cndmask_b32_e32 v21, v1, v9, vcc_lo
	v_cndmask_b32_e32 v22, v5, v13, vcc_lo
	v_cndmask_b32_e64 v1, v1, v9, s4
	v_cndmask_b32_e64 v5, v5, v13, s4
	v_cmp_eq_u32_e32 vcc_lo, 2, v132
	v_cmp_eq_u32_e64 s4, 2, v131
	v_cndmask_b32_e64 v9, v17, v2, s6
	v_cndmask_b32_e64 v13, v18, v6, s6
	;; [unrolled: 1-line block ×4, first 2 shown]
	v_cndmask_b32_e32 v19, v21, v2, vcc_lo
	v_cmp_eq_u32_e64 s3, 3, v132
	v_cndmask_b32_e32 v20, v22, v6, vcc_lo
	v_cndmask_b32_e64 v1, v1, v2, s4
	v_cmp_eq_u32_e32 vcc_lo, 3, v131
	v_cmp_eq_u32_e64 s5, 3, v129
	v_cndmask_b32_e64 v2, v5, v6, s4
	v_cmp_eq_u32_e64 s4, 3, v130
	v_cmp_eq_u32_e64 s6, 4, v129
	v_cndmask_b32_e32 v1, v1, v10, vcc_lo
	v_cndmask_b32_e64 v5, v9, v10, s5
	v_cndmask_b32_e64 v6, v13, v14, s5
	v_cndmask_b32_e64 v9, v17, v10, s4
	v_cmp_eq_u32_e64 s5, 4, v130
	v_cndmask_b32_e64 v13, v18, v14, s4
	v_cndmask_b32_e64 v17, v19, v10, s3
	;; [unrolled: 1-line block ×3, first 2 shown]
	v_cndmask_b32_e32 v2, v2, v14, vcc_lo
	v_cmp_eq_u32_e32 vcc_lo, 4, v132
	v_cmp_eq_u32_e64 s4, 4, v131
	v_lshrrev_b32_e32 v15, 16, v7
	v_cndmask_b32_e64 v5, v5, v3, s6
	v_cndmask_b32_e64 v6, v6, v7, s6
	v_cndmask_b32_e32 v14, v18, v7, vcc_lo
	v_cndmask_b32_e64 v9, v9, v3, s5
	v_cndmask_b32_e64 v10, v13, v7, s5
	v_cndmask_b32_e32 v13, v17, v3, vcc_lo
	v_cmp_eq_u32_e64 s3, 5, v132
	v_cndmask_b32_e64 v1, v1, v3, s4
	v_cmp_eq_u32_e32 vcc_lo, 5, v131
	v_cmp_eq_u32_e64 s5, 5, v129
	v_cndmask_b32_e64 v2, v2, v7, s4
	v_cmp_eq_u32_e64 s4, 5, v130
	v_cmp_eq_u32_e64 s6, 6, v129
	v_lshrrev_b32_e32 v12, 16, v4
	v_cndmask_b32_e64 v3, v5, v11, s5
	v_cndmask_b32_e64 v5, v6, v15, s5
	v_cndmask_b32_e64 v6, v9, v11, s4
	v_cmp_eq_u32_e64 s5, 6, v130
	v_cndmask_b32_e64 v7, v10, v15, s4
	v_cndmask_b32_e64 v9, v13, v11, s3
	;; [unrolled: 1-line block ×3, first 2 shown]
	v_cndmask_b32_e32 v1, v1, v11, vcc_lo
	v_cndmask_b32_e32 v2, v2, v15, vcc_lo
	v_cmp_eq_u32_e32 vcc_lo, 6, v132
	v_cmp_eq_u32_e64 s3, 6, v131
	v_lshrrev_b32_e32 v16, 16, v8
	v_cndmask_b32_e64 v3, v3, v4, s6
	v_cndmask_b32_e64 v5, v5, v8, s6
	v_cndmask_b32_e32 v9, v9, v4, vcc_lo
	v_cndmask_b32_e64 v6, v6, v4, s5
	v_cndmask_b32_e64 v7, v7, v8, s5
	v_cmp_eq_u32_e64 s4, 7, v132
	v_cndmask_b32_e32 v10, v10, v8, vcc_lo
	v_cndmask_b32_e64 v1, v1, v4, s3
	v_cmp_eq_u32_e32 vcc_lo, 7, v131
	v_cndmask_b32_e64 v2, v2, v8, s3
	v_cmp_eq_u32_e64 s3, 7, v129
	v_cmp_eq_u32_e64 s5, 7, v130
	v_cndmask_b32_e32 v1, v1, v12, vcc_lo
	s_delay_alu instid0(VALU_DEP_4) | instskip(NEXT) | instid1(VALU_DEP_4)
	v_cndmask_b32_e32 v2, v2, v16, vcc_lo
	v_cndmask_b32_e64 v8, v3, v12, s3
	s_delay_alu instid0(VALU_DEP_4)
	v_cndmask_b32_e64 v6, v6, v12, s5
	v_cndmask_b32_e64 v3, v9, v12, s4
	v_cndmask_b32_e64 v9, v10, v16, s4
	v_cndmask_b32_e64 v7, v7, v16, s5
	v_cndmask_b32_e64 v5, v5, v16, s3
	v_perm_b32 v4, v2, v1, 0x5040100
	s_mov_b32 s3, exec_lo
	v_perm_b32 v3, v9, v3, 0x5040100
	v_perm_b32 v2, v7, v6, 0x5040100
	v_perm_b32 v1, v5, v8, 0x5040100
	ds_store_b128 v134, v[1:4]
	s_waitcnt lgkmcnt(0)
	s_barrier
	buffer_gl0_inv
	v_cmpx_gt_u32_e32 32, v0
	s_cbranch_execz .LBB254_2
; %bb.15:
	s_load_b64 s[4:5], s[0:1], 0x68
	v_lshlrev_b32_e32 v0, 10, v0
	v_add_nc_u32_e32 v2, s31, v138
	v_lshlrev_b32_e32 v3, 4, v139
	s_lshl_b32 s0, s35, 7
	s_delay_alu instid0(SALU_CYCLE_1) | instskip(NEXT) | instid1(VALU_DEP_2)
	s_mul_i32 s1, s0, s34
	v_mul_lo_u32 v1, v2, s0
	s_delay_alu instid0(VALU_DEP_2) | instskip(SKIP_2) | instid1(SALU_CYCLE_1)
	v_and_or_b32 v0, 0x3800, v0, v3
	v_add_nc_u32_e32 v2, 2, v2
	s_mul_i32 s6, s1, s7
	s_ashr_i32 s7, s6, 31
	s_delay_alu instid0(VALU_DEP_2)
	v_lshl_or_b32 v7, v138, 6, v0
	s_lshl_b64 s[6:7], s[6:7], 1
	v_mul_lo_u32 v11, v2, s0
	v_ashrrev_i32_e32 v2, 31, v1
	ds_load_b128 v[3:6], v7
	ds_load_b128 v[7:10], v7 offset:128
	s_waitcnt lgkmcnt(0)
	s_add_u32 s1, s4, s6
	s_addc_u32 s3, s5, s7
	s_lshl_b32 s4, s14, 7
	v_ashrrev_i32_e32 v12, 31, v11
	s_ashr_i32 s5, s4, 31
	v_lshlrev_b64 v[13:14], 1, v[1:2]
	s_lshl_b64 s[4:5], s[4:5], 1
	s_delay_alu instid0(SALU_CYCLE_1) | instskip(SKIP_2) | instid1(VALU_DEP_1)
	s_add_u32 s1, s1, s4
	s_addc_u32 s3, s3, s5
	v_add_co_u32 v1, s1, s1, v137
	v_add_co_ci_u32_e64 v2, null, s3, 0, s1
	v_lshlrev_b64 v[11:12], 1, v[11:12]
	s_delay_alu instid0(VALU_DEP_3) | instskip(NEXT) | instid1(VALU_DEP_3)
	v_add_co_u32 v13, vcc_lo, v1, v13
	v_add_co_ci_u32_e32 v14, vcc_lo, v2, v14, vcc_lo
	s_delay_alu instid0(VALU_DEP_3) | instskip(NEXT) | instid1(VALU_DEP_4)
	v_add_co_u32 v11, vcc_lo, v1, v11
	v_add_co_ci_u32_e32 v12, vcc_lo, v2, v12, vcc_lo
	s_clause 0x1
	global_store_b128 v[13:14], v[3:6], off
	global_store_b128 v[11:12], v[7:10], off
	s_and_b32 exec_lo, exec_lo, s2
	s_cbranch_execz .LBB254_2
; %bb.16:
	ds_load_b128 v[3:6], v0 offset:256
	s_add_i32 s1, s31, 4
	s_delay_alu instid0(SALU_CYCLE_1) | instskip(NEXT) | instid1(SALU_CYCLE_1)
	s_mul_i32 s0, s1, s0
	s_ashr_i32 s1, s0, 31
	s_delay_alu instid0(SALU_CYCLE_1) | instskip(NEXT) | instid1(SALU_CYCLE_1)
	s_lshl_b64 s[0:1], s[0:1], 1
	v_add_co_u32 v0, vcc_lo, v1, s0
	v_add_co_ci_u32_e32 v1, vcc_lo, s1, v2, vcc_lo
	s_waitcnt lgkmcnt(0)
	global_store_b128 v[0:1], v[3:6], off
	s_nop 0
	s_sendmsg sendmsg(MSG_DEALLOC_VGPRS)
	s_endpgm
	.section	.rodata,"a",@progbits
	.p2align	6, 0x0
	.amdhsa_kernel _Z39paged_attention_ll4mi_QKV_mfma16_kernelIDF16_DF16_LN4vllm18Fp8KVCacheDataTypeE0EDF16_Li16ELi128ELi256ELb1ELi5EL8MFMAType0EEvPKT_PKT0_S8_ifPKiSA_SA_iPKfiiiPfSD_PS3_PT2_iSC_SC_
		.amdhsa_group_segment_fixed_size 17472
		.amdhsa_private_segment_fixed_size 0
		.amdhsa_kernarg_size 400
		.amdhsa_user_sgpr_count 13
		.amdhsa_user_sgpr_dispatch_ptr 0
		.amdhsa_user_sgpr_queue_ptr 0
		.amdhsa_user_sgpr_kernarg_segment_ptr 1
		.amdhsa_user_sgpr_dispatch_id 0
		.amdhsa_user_sgpr_private_segment_size 0
		.amdhsa_wavefront_size32 1
		.amdhsa_uses_dynamic_stack 0
		.amdhsa_enable_private_segment 0
		.amdhsa_system_sgpr_workgroup_id_x 1
		.amdhsa_system_sgpr_workgroup_id_y 1
		.amdhsa_system_sgpr_workgroup_id_z 1
		.amdhsa_system_sgpr_workgroup_info 0
		.amdhsa_system_vgpr_workitem_id 0
		.amdhsa_next_free_vgpr 218
		.amdhsa_next_free_sgpr 52
		.amdhsa_reserve_vcc 1
		.amdhsa_float_round_mode_32 0
		.amdhsa_float_round_mode_16_64 0
		.amdhsa_float_denorm_mode_32 3
		.amdhsa_float_denorm_mode_16_64 3
		.amdhsa_dx10_clamp 1
		.amdhsa_ieee_mode 1
		.amdhsa_fp16_overflow 0
		.amdhsa_workgroup_processor_mode 1
		.amdhsa_memory_ordered 1
		.amdhsa_forward_progress 0
		.amdhsa_shared_vgpr_count 0
		.amdhsa_exception_fp_ieee_invalid_op 0
		.amdhsa_exception_fp_denorm_src 0
		.amdhsa_exception_fp_ieee_div_zero 0
		.amdhsa_exception_fp_ieee_overflow 0
		.amdhsa_exception_fp_ieee_underflow 0
		.amdhsa_exception_fp_ieee_inexact 0
		.amdhsa_exception_int_div_zero 0
	.end_amdhsa_kernel
	.section	.text._Z39paged_attention_ll4mi_QKV_mfma16_kernelIDF16_DF16_LN4vllm18Fp8KVCacheDataTypeE0EDF16_Li16ELi128ELi256ELb1ELi5EL8MFMAType0EEvPKT_PKT0_S8_ifPKiSA_SA_iPKfiiiPfSD_PS3_PT2_iSC_SC_,"axG",@progbits,_Z39paged_attention_ll4mi_QKV_mfma16_kernelIDF16_DF16_LN4vllm18Fp8KVCacheDataTypeE0EDF16_Li16ELi128ELi256ELb1ELi5EL8MFMAType0EEvPKT_PKT0_S8_ifPKiSA_SA_iPKfiiiPfSD_PS3_PT2_iSC_SC_,comdat
.Lfunc_end254:
	.size	_Z39paged_attention_ll4mi_QKV_mfma16_kernelIDF16_DF16_LN4vllm18Fp8KVCacheDataTypeE0EDF16_Li16ELi128ELi256ELb1ELi5EL8MFMAType0EEvPKT_PKT0_S8_ifPKiSA_SA_iPKfiiiPfSD_PS3_PT2_iSC_SC_, .Lfunc_end254-_Z39paged_attention_ll4mi_QKV_mfma16_kernelIDF16_DF16_LN4vllm18Fp8KVCacheDataTypeE0EDF16_Li16ELi128ELi256ELb1ELi5EL8MFMAType0EEvPKT_PKT0_S8_ifPKiSA_SA_iPKfiiiPfSD_PS3_PT2_iSC_SC_
                                        ; -- End function
	.section	.AMDGPU.csdata,"",@progbits
; Kernel info:
; codeLenInByte = 8060
; NumSgprs: 54
; NumVgprs: 218
; ScratchSize: 0
; MemoryBound: 0
; FloatMode: 240
; IeeeMode: 1
; LDSByteSize: 17472 bytes/workgroup (compile time only)
; SGPRBlocks: 6
; VGPRBlocks: 27
; NumSGPRsForWavesPerEU: 54
; NumVGPRsForWavesPerEU: 218
; Occupancy: 6
; WaveLimiterHint : 1
; COMPUTE_PGM_RSRC2:SCRATCH_EN: 0
; COMPUTE_PGM_RSRC2:USER_SGPR: 13
; COMPUTE_PGM_RSRC2:TRAP_HANDLER: 0
; COMPUTE_PGM_RSRC2:TGID_X_EN: 1
; COMPUTE_PGM_RSRC2:TGID_Y_EN: 1
; COMPUTE_PGM_RSRC2:TGID_Z_EN: 1
; COMPUTE_PGM_RSRC2:TIDIG_COMP_CNT: 0
	.section	.text._Z39paged_attention_ll4mi_QKV_mfma16_kernelIDF16_DF16_LN4vllm18Fp8KVCacheDataTypeE0EDF16_Li16ELi128ELi256ELb1ELi6EL8MFMAType0EEvPKT_PKT0_S8_ifPKiSA_SA_iPKfiiiPfSD_PS3_PT2_iSC_SC_,"axG",@progbits,_Z39paged_attention_ll4mi_QKV_mfma16_kernelIDF16_DF16_LN4vllm18Fp8KVCacheDataTypeE0EDF16_Li16ELi128ELi256ELb1ELi6EL8MFMAType0EEvPKT_PKT0_S8_ifPKiSA_SA_iPKfiiiPfSD_PS3_PT2_iSC_SC_,comdat
	.protected	_Z39paged_attention_ll4mi_QKV_mfma16_kernelIDF16_DF16_LN4vllm18Fp8KVCacheDataTypeE0EDF16_Li16ELi128ELi256ELb1ELi6EL8MFMAType0EEvPKT_PKT0_S8_ifPKiSA_SA_iPKfiiiPfSD_PS3_PT2_iSC_SC_ ; -- Begin function _Z39paged_attention_ll4mi_QKV_mfma16_kernelIDF16_DF16_LN4vllm18Fp8KVCacheDataTypeE0EDF16_Li16ELi128ELi256ELb1ELi6EL8MFMAType0EEvPKT_PKT0_S8_ifPKiSA_SA_iPKfiiiPfSD_PS3_PT2_iSC_SC_
	.globl	_Z39paged_attention_ll4mi_QKV_mfma16_kernelIDF16_DF16_LN4vllm18Fp8KVCacheDataTypeE0EDF16_Li16ELi128ELi256ELb1ELi6EL8MFMAType0EEvPKT_PKT0_S8_ifPKiSA_SA_iPKfiiiPfSD_PS3_PT2_iSC_SC_
	.p2align	8
	.type	_Z39paged_attention_ll4mi_QKV_mfma16_kernelIDF16_DF16_LN4vllm18Fp8KVCacheDataTypeE0EDF16_Li16ELi128ELi256ELb1ELi6EL8MFMAType0EEvPKT_PKT0_S8_ifPKiSA_SA_iPKfiiiPfSD_PS3_PT2_iSC_SC_,@function
_Z39paged_attention_ll4mi_QKV_mfma16_kernelIDF16_DF16_LN4vllm18Fp8KVCacheDataTypeE0EDF16_Li16ELi128ELi256ELb1ELi6EL8MFMAType0EEvPKT_PKT0_S8_ifPKiSA_SA_iPKfiiiPfSD_PS3_PT2_iSC_SC_: ; @_Z39paged_attention_ll4mi_QKV_mfma16_kernelIDF16_DF16_LN4vllm18Fp8KVCacheDataTypeE0EDF16_Li16ELi128ELi256ELb1ELi6EL8MFMAType0EEvPKT_PKT0_S8_ifPKiSA_SA_iPKfiiiPfSD_PS3_PT2_iSC_SC_
; %bb.0:
	s_load_b64 s[4:5], s[0:1], 0x30
	s_mov_b32 s30, s13
	s_waitcnt lgkmcnt(0)
	s_cmp_lg_u64 s[4:5], 0
	s_cselect_b32 s8, -1, 0
	s_ashr_i32 s31, s13, 31
	s_cmp_eq_u64 s[4:5], 0
	s_cbranch_scc1 .LBB255_3
; %bb.1:
	s_lshl_b64 s[2:3], s[30:31], 2
	s_delay_alu instid0(SALU_CYCLE_1) | instskip(SKIP_4) | instid1(SALU_CYCLE_1)
	s_add_u32 s2, s4, s2
	s_addc_u32 s3, s5, s3
	s_load_b64 s[2:3], s[2:3], 0x0
	s_waitcnt lgkmcnt(0)
	s_sub_i32 s2, s3, s2
	s_cmp_eq_u32 s2, 1
	s_cselect_b32 s2, -1, 0
	s_delay_alu instid0(SALU_CYCLE_1)
	s_and_not1_b32 vcc_lo, exec_lo, s2
	s_cbranch_vccz .LBB255_4
.LBB255_2:
	s_endpgm
.LBB255_3:
.LBB255_4:
	s_load_b64 s[2:3], s[0:1], 0x28
	s_lshl_b64 s[6:7], s[30:31], 2
	s_waitcnt lgkmcnt(0)
	s_add_u32 s2, s2, s6
	s_addc_u32 s3, s3, s7
	s_lshl_b32 s29, s14, 8
	s_load_b32 s28, s[2:3], 0x0
	s_waitcnt lgkmcnt(0)
	s_cmp_ge_i32 s29, s28
	s_cbranch_scc1 .LBB255_2
; %bb.5:
	s_clause 0x1
	s_load_b128 s[20:23], s[0:1], 0x8
	s_load_b64 s[2:3], s[0:1], 0x20
	s_and_not1_b32 vcc_lo, exec_lo, s8
	s_cbranch_vccnz .LBB255_7
; %bb.6:
	s_add_u32 s4, s4, s6
	s_addc_u32 s5, s5, s7
	s_load_b32 s5, s[4:5], 0x0
	s_branch .LBB255_8
.LBB255_7:
	s_mov_b32 s5, s30
.LBB255_8:
	s_load_b128 s[16:19], s[0:1], 0x48
	v_and_b32_e32 v140, 15, v0
	v_lshrrev_b32_e32 v141, 5, v0
	v_and_b32_e32 v142, 31, v0
	v_and_b32_e32 v139, 1, v0
	v_bfe_u32 v138, v0, 4, 1
	v_lshlrev_b32_e32 v1, 3, v140
	s_mul_i32 s31, s15, 6
	s_mov_b32 s4, exec_lo
	s_delay_alu instid0(VALU_DEP_1)
	v_lshlrev_b32_e32 v137, 1, v1
	v_cmpx_gt_u32_e32 0x60, v0
	s_cbranch_execz .LBB255_10
; %bb.9:
	s_load_b64 s[6:7], s[0:1], 0x0
	v_lshl_or_b32 v5, v141, 1, v138
	s_waitcnt lgkmcnt(0)
	s_mul_hi_i32 s9, s5, s16
	s_mul_i32 s8, s5, s16
	v_lshlrev_b32_e32 v6, 10, v140
	s_lshl_b64 s[8:9], s[8:9], 1
	v_add_lshl_u32 v1, v5, s31, 7
	v_lshlrev_b32_e32 v5, 6, v5
	v_lshlrev_b32_e32 v7, 10, v139
	v_and_b32_e32 v6, 0x3800, v6
	s_delay_alu instid0(VALU_DEP_4) | instskip(NEXT) | instid1(VALU_DEP_2)
	v_ashrrev_i32_e32 v2, 31, v1
	v_or3_b32 v5, v6, v7, v5
	s_delay_alu instid0(VALU_DEP_2) | instskip(SKIP_2) | instid1(VALU_DEP_1)
	v_lshlrev_b64 v[1:2], 1, v[1:2]
	s_add_u32 s5, s6, s8
	s_addc_u32 s6, s7, s9
	v_add_co_u32 v1, vcc_lo, s5, v1
	s_delay_alu instid0(VALU_DEP_2) | instskip(NEXT) | instid1(VALU_DEP_2)
	v_add_co_ci_u32_e32 v2, vcc_lo, s6, v2, vcc_lo
	v_add_co_u32 v1, vcc_lo, v1, v137
	s_delay_alu instid0(VALU_DEP_2)
	v_add_co_ci_u32_e32 v2, vcc_lo, 0, v2, vcc_lo
	global_load_b128 v[1:4], v[1:2], off
	s_waitcnt vmcnt(0)
	ds_store_b128 v5, v[1:4]
.LBB255_10:
	s_or_b32 exec_lo, exec_lo, s4
	v_and_b32_e32 v1, 0xef, v0
	s_waitcnt lgkmcnt(0)
	s_add_i32 s5, s28, 15
	s_clause 0x1
	s_load_b32 s4, s[0:1], 0x38
	s_load_b32 s33, s[0:1], 0x98
	s_ashr_i32 s6, s5, 31
	v_add_nc_u32_e32 v1, s29, v1
	s_lshr_b32 s6, s6, 28
	s_load_b32 s34, s[0:1], 0x1c
	s_add_i32 s5, s5, s6
	s_waitcnt lgkmcnt(0)
	v_ashrrev_i32_e32 v2, 31, v1
	v_cmp_gt_i32_e32 vcc_lo, s28, v1
	s_ashr_i32 s16, s5, 4
	s_barrier
	s_add_i32 s16, s16, -1
	v_lshrrev_b32_e32 v3, 28, v2
	v_or_b32_e32 v2, 16, v1
	buffer_gl0_inv
	v_mul_lo_u16 v105, v140, 43
	v_lshlrev_b32_e32 v106, 5, v140
	v_add_nc_u32_e32 v4, v1, v3
	v_add_nc_u32_e32 v3, v2, v3
	s_mul_i32 s4, s30, s4
	v_lshrrev_b16 v105, 8, v105
	s_ashr_i32 s5, s4, 31
	v_ashrrev_i32_e32 v4, 4, v4
	v_ashrrev_i32_e32 v3, 4, v3
	s_lshl_b64 s[4:5], s[4:5], 2
	v_mul_lo_u16 v105, v105, 6
	s_add_u32 s35, s2, s4
	v_cndmask_b32_e32 v1, s16, v4, vcc_lo
	v_cmp_gt_i32_e32 vcc_lo, s28, v2
	s_addc_u32 s36, s3, s5
	s_mul_i32 s2, s15, s18
	v_sub_nc_u16 v105, v140, v105
	v_ashrrev_i32_e32 v2, 31, v1
	v_cndmask_b32_e32 v3, s16, v3, vcc_lo
	s_ashr_i32 s3, s2, 31
	v_lshl_or_b32 v125, v141, 9, v106
	s_lshl_b64 s[2:3], s[2:3], 1
	v_lshlrev_b64 v[1:2], 2, v[1:2]
	v_ashrrev_i32_e32 v4, 31, v3
	s_add_u32 s24, s20, s2
	s_addc_u32 s25, s21, s3
	s_lshl_b32 s4, s14, 4
	v_and_b32_e32 v105, 0xff, v105
	v_lshlrev_b64 v[3:4], 2, v[3:4]
	v_add_co_u32 v1, vcc_lo, s35, v1
	v_add_co_ci_u32_e32 v2, vcc_lo, s36, v2, vcc_lo
	s_ashr_i32 s5, s4, 31
	s_delay_alu instid0(VALU_DEP_3) | instskip(NEXT) | instid1(VALU_DEP_4)
	v_add_co_u32 v3, vcc_lo, s35, v3
	v_add_co_ci_u32_e32 v4, vcc_lo, s36, v4, vcc_lo
	s_lshl_b64 s[4:5], s[4:5], 2
	s_clause 0x1
	global_load_b32 v5, v[1:2], off
	global_load_b32 v6, v[3:4], off
	s_add_u32 s4, s35, s4
	s_addc_u32 s5, s36, s5
	s_or_b32 s6, s29, 16
	v_lshlrev_b32_e32 v3, 4, v0
	s_ashr_i32 s7, s6, 4
	s_cmp_lt_i32 s6, s28
	v_lshlrev_b32_e32 v215, 6, v105
	s_cselect_b32 s6, s7, s16
	s_delay_alu instid0(SALU_CYCLE_1) | instskip(NEXT) | instid1(SALU_CYCLE_1)
	s_ashr_i32 s7, s6, 31
	s_lshl_b64 s[6:7], s[6:7], 2
	s_delay_alu instid0(SALU_CYCLE_1) | instskip(SKIP_2) | instid1(SALU_CYCLE_1)
	s_add_u32 s6, s35, s6
	s_addc_u32 s7, s36, s7
	s_or_b32 s8, s29, 32
	s_ashr_i32 s9, s8, 4
	s_cmp_lt_i32 s8, s28
	s_cselect_b32 s8, s9, s16
	s_delay_alu instid0(SALU_CYCLE_1) | instskip(NEXT) | instid1(SALU_CYCLE_1)
	s_ashr_i32 s9, s8, 31
	s_lshl_b64 s[8:9], s[8:9], 2
	s_delay_alu instid0(SALU_CYCLE_1) | instskip(SKIP_2) | instid1(SALU_CYCLE_1)
	s_add_u32 s8, s35, s8
	s_addc_u32 s9, s36, s9
	s_or_b32 s10, s29, 48
	s_ashr_i32 s11, s10, 4
	s_cmp_lt_i32 s10, s28
	s_cselect_b32 s10, s11, s16
	s_delay_alu instid0(SALU_CYCLE_1) | instskip(NEXT) | instid1(SALU_CYCLE_1)
	s_ashr_i32 s11, s10, 31
	s_lshl_b64 s[10:11], s[10:11], 2
	s_delay_alu instid0(SALU_CYCLE_1) | instskip(SKIP_2) | instid1(SALU_CYCLE_1)
	s_add_u32 s10, s35, s10
	s_addc_u32 s11, s36, s11
	s_or_b32 s12, s29, 64
	s_ashr_i32 s13, s12, 4
	s_cmp_lt_i32 s12, s28
	s_cselect_b32 s12, s13, s16
	s_delay_alu instid0(SALU_CYCLE_1) | instskip(NEXT) | instid1(SALU_CYCLE_1)
	s_ashr_i32 s13, s12, 31
	s_lshl_b64 s[12:13], s[12:13], 2
	s_delay_alu instid0(SALU_CYCLE_1) | instskip(SKIP_2) | instid1(SALU_CYCLE_1)
	s_add_u32 s18, s35, s12
	s_addc_u32 s19, s36, s13
	s_or_b32 s12, s29, 0x50
	s_ashr_i32 s13, s12, 4
	s_cmp_lt_i32 s12, s28
	s_cselect_b32 s12, s13, s16
	s_delay_alu instid0(SALU_CYCLE_1) | instskip(NEXT) | instid1(SALU_CYCLE_1)
	s_ashr_i32 s13, s12, 31
	s_lshl_b64 s[12:13], s[12:13], 2
	s_delay_alu instid0(SALU_CYCLE_1)
	s_add_u32 s20, s35, s12
	s_addc_u32 s21, s36, s13
	s_clause 0x5
	s_load_b32 s39, s[4:5], 0x0
	s_load_b32 s38, s[6:7], 0x0
	;; [unrolled: 1-line block ×6, first 2 shown]
	s_waitcnt vmcnt(1)
	v_mad_i64_i32 v[1:2], null, v5, s17, 0
	v_and_b32_e32 v5, 0xf0, v3
	s_waitcnt vmcnt(0)
	v_mad_i64_i32 v[3:4], null, v6, s17, 0
	s_delay_alu instid0(VALU_DEP_2) | instskip(NEXT) | instid1(VALU_DEP_4)
	v_add_co_u32 v5, s4, s24, v5
	v_lshlrev_b64 v[1:2], 1, v[1:2]
	v_add_co_ci_u32_e64 v6, null, s25, 0, s4
	s_delay_alu instid0(VALU_DEP_4) | instskip(SKIP_1) | instid1(VALU_DEP_3)
	v_lshlrev_b64 v[3:4], 1, v[3:4]
	s_or_b32 s4, s29, 0x60
	v_add_co_u32 v121, vcc_lo, v5, v1
	s_delay_alu instid0(VALU_DEP_3) | instskip(NEXT) | instid1(VALU_DEP_3)
	v_add_co_ci_u32_e32 v122, vcc_lo, v6, v2, vcc_lo
	v_add_co_u32 v123, vcc_lo, v5, v3
	s_delay_alu instid0(VALU_DEP_4)
	v_add_co_ci_u32_e32 v124, vcc_lo, v6, v4, vcc_lo
	s_clause 0x19
	global_load_b128 v[89:92], v[121:122], off
	global_load_b128 v[93:96], v[121:122], off offset:256
	global_load_b128 v[97:100], v[123:124], off
	global_load_b128 v[101:104], v[123:124], off offset:256
	global_load_b128 v[81:84], v[121:122], off offset:512
	global_load_b128 v[85:88], v[121:122], off offset:768
	global_load_b128 v[73:76], v[123:124], off offset:512
	global_load_b128 v[77:80], v[123:124], off offset:768
	global_load_b128 v[65:68], v[121:122], off offset:1024
	global_load_b128 v[69:72], v[121:122], off offset:1280
	global_load_b128 v[57:60], v[123:124], off offset:1024
	global_load_b128 v[61:64], v[123:124], off offset:1280
	global_load_b128 v[49:52], v[121:122], off offset:1536
	global_load_b128 v[53:56], v[121:122], off offset:1792
	global_load_b128 v[25:28], v[123:124], off offset:1536
	global_load_b128 v[29:32], v[123:124], off offset:1792
	global_load_b128 v[1:4], v[121:122], off offset:2048
	global_load_b128 v[5:8], v[121:122], off offset:2304
	global_load_b128 v[9:12], v[123:124], off offset:2048
	global_load_b128 v[13:16], v[123:124], off offset:2304
	global_load_b128 v[41:44], v[121:122], off offset:2560
	global_load_b128 v[45:48], v[121:122], off offset:2816
	global_load_b128 v[33:36], v[123:124], off offset:2560
	global_load_b128 v[37:40], v[123:124], off offset:2816
	global_load_b128 v[17:20], v[121:122], off offset:3072
	global_load_b128 v[21:24], v[121:122], off offset:3328
	s_ashr_i32 s5, s4, 4
	s_cmp_lt_i32 s4, s28
	ds_load_b128 v[105:108], v215
	ds_load_b128 v[109:112], v215 offset:1024
	s_cselect_b32 s4, s5, s16
	ds_load_b128 v[113:116], v215 offset:2048
	ds_load_b128 v[117:120], v215 offset:3072
	s_ashr_i32 s5, s4, 31
	ds_load_b128 v[143:146], v215 offset:4096
	ds_load_b128 v[147:150], v215 offset:5120
	s_lshl_b64 s[6:7], s[4:5], 2
	ds_load_b128 v[151:154], v215 offset:6144
	ds_load_b128 v[155:158], v215 offset:7168
	s_add_u32 s18, s35, s6
	s_addc_u32 s19, s36, s7
	s_or_b32 s5, s29, 0x70
	ds_load_b128 v[159:162], v215 offset:8192
	ds_load_b128 v[163:166], v215 offset:9216
	s_ashr_i32 s6, s5, 4
	s_cmp_lt_i32 s5, s28
	s_clause 0x1
	global_load_b128 v[167:170], v[123:124], off offset:3072
	global_load_b128 v[171:174], v[123:124], off offset:3328
	s_cselect_b32 s8, s6, s16
	s_mov_b32 s4, 0
	s_ashr_i32 s9, s8, 31
	s_mov_b32 s5, s4
	s_lshl_b64 s[8:9], s[8:9], 2
	s_mov_b32 s6, s4
	s_add_u32 s20, s35, s8
	s_addc_u32 s21, s36, s9
	s_clause 0x1
	s_load_b32 s41, s[18:19], 0x0
	s_load_b32 s46, s[20:21], 0x0
	s_clause 0x3
	global_load_b128 v[175:178], v[121:122], off offset:3584
	global_load_b128 v[179:182], v[121:122], off offset:3840
	;; [unrolled: 1-line block ×4, first 2 shown]
	s_or_b32 s8, s29, 0x80
	s_mov_b32 s7, s4
	s_ashr_i32 s9, s8, 4
	s_cmp_lt_i32 s8, s28
	s_mov_b32 s8, s4
	s_cselect_b32 s10, s9, s16
	s_mov_b32 s9, s4
	s_ashr_i32 s11, s10, 31
	s_delay_alu instid0(SALU_CYCLE_1)
	s_lshl_b64 s[24:25], s[10:11], 2
	s_mov_b32 s10, s4
	s_add_u32 s24, s35, s24
	s_addc_u32 s25, s36, s25
	s_or_b32 s11, s29, 0x90
	s_load_b32 s47, s[24:25], 0x0
	s_ashr_i32 s26, s11, 4
	s_cmp_lt_i32 s11, s28
	s_mov_b32 s11, s4
	s_cselect_b32 s26, s26, s16
	v_mov_b32_e32 v136, s11
	s_ashr_i32 s27, s26, 31
	v_dual_mov_b32 v135, s10 :: v_dual_mov_b32 v134, s9
	v_dual_mov_b32 v133, s8 :: v_dual_mov_b32 v132, s7
	;; [unrolled: 1-line block ×3, first 2 shown]
	v_mov_b32_e32 v129, s4
	s_lshl_b64 s[4:5], s[26:27], 2
	s_waitcnt lgkmcnt(0)
	s_mul_hi_i32 s7, s38, s17
	s_add_u32 s26, s35, s4
	s_addc_u32 s27, s36, s5
	s_or_b32 s4, s29, 0xa0
	s_load_b32 s40, s[26:27], 0x0
	s_ashr_i32 s5, s4, 4
	s_cmp_lt_i32 s4, s28
	s_cselect_b32 s4, s5, s16
	s_delay_alu instid0(SALU_CYCLE_1) | instskip(NEXT) | instid1(SALU_CYCLE_1)
	s_ashr_i32 s5, s4, 31
	s_lshl_b64 s[4:5], s[4:5], 2
	s_delay_alu instid0(SALU_CYCLE_1)
	s_add_u32 s42, s35, s4
	s_addc_u32 s43, s36, s5
	s_or_b32 s4, s29, 0xb0
	s_mul_hi_i32 s5, s39, s17
	s_ashr_i32 s6, s4, 4
	s_cmp_lt_i32 s4, s28
	s_mul_i32 s4, s39, s17
	s_cselect_b32 s8, s6, s16
	s_mul_i32 s6, s38, s17
	s_ashr_i32 s9, s8, 31
	s_delay_alu instid0(SALU_CYCLE_1)
	s_lshl_b64 s[10:11], s[8:9], 2
	s_mul_hi_i32 s9, s37, s17
	s_add_u32 s44, s35, s10
	s_addc_u32 s45, s36, s11
	s_or_b32 s10, s29, 0xc0
	s_mul_i32 s8, s37, s17
	s_ashr_i32 s37, s10, 4
	s_cmp_lt_i32 s10, s28
	s_mul_hi_i32 s11, s13, s17
	s_cselect_b32 s38, s37, s16
	s_mul_i32 s10, s13, s17
	s_ashr_i32 s39, s38, 31
	s_mul_hi_i32 s13, s12, s17
	s_lshl_b64 s[38:39], s[38:39], 2
	s_mul_i32 s12, s12, s17
	s_add_u32 s20, s35, s38
	s_addc_u32 s21, s36, s39
	s_load_b32 s39, s[42:43], 0x0
	s_or_b32 s18, s29, 0xd0
	s_mul_hi_i32 s27, s47, s17
	s_ashr_i32 s19, s18, 4
	s_cmp_lt_i32 s18, s28
	s_mul_i32 s18, s15, s17
	s_cselect_b32 s24, s19, s16
	s_mul_hi_i32 s19, s15, s17
	s_ashr_i32 s25, s24, 31
	s_mul_i32 s26, s47, s17
	s_lshl_b64 s[24:25], s[24:25], 2
	s_delay_alu instid0(SALU_CYCLE_1)
	s_add_u32 s24, s35, s24
	s_addc_u32 s25, s36, s25
	s_or_b32 s42, s29, 0xe0
	s_clause 0x2
	s_load_b32 s38, s[44:45], 0x0
	s_load_b32 s37, s[20:21], 0x0
	;; [unrolled: 1-line block ×3, first 2 shown]
	s_ashr_i32 s43, s42, 4
	s_cmp_lt_i32 s42, s28
	s_mul_hi_i32 s25, s46, s17
	s_cselect_b32 s42, s43, s16
	s_mul_i32 s24, s46, s17
	s_ashr_i32 s43, s42, 31
	s_mul_hi_i32 s21, s41, s17
	s_lshl_b64 s[42:43], s[42:43], 2
	s_mul_i32 s20, s41, s17
	s_add_u32 s42, s35, s42
	s_addc_u32 s43, s36, s43
	s_or_b32 s46, s29, 0xf0
	s_waitcnt lgkmcnt(0)
	s_mul_hi_i32 s41, s40, s17
	s_ashr_i32 s47, s46, 4
	s_cmp_lt_i32 s46, s28
	s_mul_i32 s40, s40, s17
	s_cselect_b32 s46, s47, s16
	s_mul_hi_i32 s45, s39, s17
	s_ashr_i32 s47, s46, 31
	s_mul_hi_i32 s51, s15, s17
	s_lshl_b64 s[46:47], s[46:47], 2
	s_mul_i32 s50, s15, s17
	s_add_u32 s46, s35, s46
	s_addc_u32 s47, s36, s47
	s_add_u32 s15, s22, s2
	s_addc_u32 s16, s23, s3
	v_add_co_u32 v216, s15, s15, v125
	s_delay_alu instid0(VALU_DEP_1) | instskip(SKIP_2) | instid1(VALU_DEP_2)
	v_add_co_ci_u32_e64 v217, null, s16, 0, s15
	s_lshl_b64 s[2:3], s[4:5], 1
	s_lshl_b64 s[4:5], s[6:7], 1
	v_add_co_u32 v125, vcc_lo, v216, s2
	s_delay_alu instid0(VALU_DEP_2)
	v_add_co_ci_u32_e32 v126, vcc_lo, s3, v217, vcc_lo
	v_add_co_u32 v199, vcc_lo, v216, s4
	s_lshl_b64 s[6:7], s[8:9], 1
	v_add_co_ci_u32_e32 v200, vcc_lo, s5, v217, vcc_lo
	s_lshl_b64 s[8:9], s[10:11], 1
	s_lshl_b64 s[10:11], s[12:13], 1
	;; [unrolled: 1-line block ×7, first 2 shown]
	s_mul_i32 s44, s39, s17
	s_mul_hi_i32 s39, s38, s17
	s_lshl_b64 s[26:27], s[44:45], 1
	s_mul_i32 s38, s38, s17
	s_mul_hi_i32 s49, s37, s17
	s_mul_i32 s48, s37, s17
	s_lshl_b64 s[36:37], s[38:39], 1
	s_lshl_b64 s[38:39], s[48:49], 1
	s_clause 0x1
	s_load_b32 s15, s[42:43], 0x0
	s_load_b32 s16, s[46:47], 0x0
	s_lshl_b64 s[40:41], s[50:51], 1
	s_waitcnt lgkmcnt(0)
	s_mul_hi_i32 s3, s15, s17
	s_mul_i32 s2, s15, s17
	s_mul_hi_i32 s5, s16, s17
	s_lshl_b64 s[2:3], s[2:3], 1
	s_mul_i32 s4, s16, s17
	s_waitcnt vmcnt(30)
	v_wmma_f32_16x16x16_f16 v[191:198], v[89:96], v[105:112], v[129:136]
	v_add_co_u32 v89, vcc_lo, v216, s6
	v_add_co_ci_u32_e32 v90, vcc_lo, s7, v217, vcc_lo
	v_add_co_u32 v91, vcc_lo, v216, s8
	v_add_co_ci_u32_e32 v92, vcc_lo, s9, v217, vcc_lo
	;; [unrolled: 2-line block ×5, first 2 shown]
	v_add_co_u32 v205, vcc_lo, v216, s20
	s_waitcnt vmcnt(28)
	v_wmma_f32_16x16x16_f16 v[129:136], v[97:104], v[105:112], v[129:136]
	v_add_co_ci_u32_e32 v206, vcc_lo, s21, v217, vcc_lo
	v_add_co_u32 v207, vcc_lo, v216, s22
	v_add_co_ci_u32_e32 v208, vcc_lo, s23, v217, vcc_lo
	v_add_co_u32 v209, vcc_lo, v216, s24
	s_waitcnt vmcnt(26)
	v_wmma_f32_16x16x16_f16 v[191:198], v[81:88], v[113:120], v[191:198]
	s_waitcnt vmcnt(24)
	v_wmma_f32_16x16x16_f16 v[129:136], v[73:80], v[113:120], v[129:136]
	v_add_co_ci_u32_e32 v210, vcc_lo, s25, v217, vcc_lo
	v_add_co_u32 v211, vcc_lo, v216, s26
	v_add_co_ci_u32_e32 v212, vcc_lo, s27, v217, vcc_lo
	v_add_co_u32 v213, vcc_lo, v216, s36
	s_waitcnt vmcnt(22)
	v_wmma_f32_16x16x16_f16 v[191:198], v[65:72], v[143:150], v[191:198]
	s_waitcnt vmcnt(20)
	v_wmma_f32_16x16x16_f16 v[129:136], v[57:64], v[143:150], v[129:136]
	v_add_co_ci_u32_e32 v214, vcc_lo, s37, v217, vcc_lo
	v_add_co_u32 v143, vcc_lo, v216, s38
	s_waitcnt vmcnt(18)
	v_wmma_f32_16x16x16_f16 v[191:198], v[49:56], v[151:158], v[191:198]
	s_waitcnt vmcnt(16)
	v_wmma_f32_16x16x16_f16 v[129:136], v[25:32], v[151:158], v[129:136]
	v_add_co_ci_u32_e32 v144, vcc_lo, s39, v217, vcc_lo
	s_clause 0x15
	global_load_b128 v[121:124], v[125:126], off
	global_load_b128 v[125:128], v[125:126], off offset:16
	global_load_b128 v[113:116], v[199:200], off
	global_load_b128 v[117:120], v[199:200], off offset:16
	;; [unrolled: 2-line block ×11, first 2 shown]
	s_waitcnt vmcnt(36)
	v_wmma_f32_16x16x16_f16 v[191:198], v[1:8], v[159:166], v[191:198]
	s_clause 0x1
	global_load_b128 v[1:4], v[213:214], off
	global_load_b128 v[5:8], v[213:214], off offset:16
	s_waitcnt vmcnt(36)
	v_wmma_f32_16x16x16_f16 v[129:136], v[9:16], v[159:166], v[129:136]
	s_clause 0x1
	global_load_b128 v[9:12], v[143:144], off
	global_load_b128 v[13:16], v[143:144], off offset:16
	ds_load_b128 v[143:146], v215 offset:10240
	ds_load_b128 v[147:150], v215 offset:11264
	;; [unrolled: 1-line block ×4, first 2 shown]
	v_add_co_u32 v199, vcc_lo, v216, s40
	v_add_co_ci_u32_e32 v200, vcc_lo, s41, v217, vcc_lo
	v_add_co_u32 v159, vcc_lo, v216, s2
	v_add_co_ci_u32_e32 v160, vcc_lo, s3, v217, vcc_lo
	s_lshl_b64 s[2:3], s[4:5], 1
	s_delay_alu instid0(SALU_CYCLE_1)
	v_add_co_u32 v161, vcc_lo, v216, s2
	v_add_co_ci_u32_e32 v162, vcc_lo, s3, v217, vcc_lo
	s_waitcnt vmcnt(36) lgkmcnt(2)
	v_wmma_f32_16x16x16_f16 v[191:198], v[41:48], v[143:150], v[191:198]
	s_waitcnt vmcnt(34)
	v_wmma_f32_16x16x16_f16 v[129:136], v[33:40], v[143:150], v[129:136]
	s_clause 0x3
	global_load_b128 v[33:36], v[199:200], off
	global_load_b128 v[37:40], v[199:200], off offset:16
	global_load_b128 v[41:44], v[159:160], off
	global_load_b128 v[45:48], v[159:160], off offset:16
	v_and_b32_e32 v143, 0xe0, v0
	v_mbcnt_lo_u32_b32 v159, -1, 0
	s_waitcnt vmcnt(36) lgkmcnt(0)
	v_wmma_f32_16x16x16_f16 v[191:198], v[17:24], v[151:158], v[191:198]
	s_clause 0x1
	global_load_b128 v[17:20], v[161:162], off
	global_load_b128 v[21:24], v[161:162], off offset:16
	s_waitcnt vmcnt(36)
	v_wmma_f32_16x16x16_f16 v[129:136], v[167:174], v[151:158], v[129:136]
	v_add_nc_u32_e32 v160, s29, v143
	ds_load_b128 v[143:146], v215 offset:14336
	ds_load_b128 v[147:150], v215 offset:15360
	v_xor_b32_e32 v151, 16, v159
	s_waitcnt vmcnt(0) lgkmcnt(0)
	s_barrier
	v_or_b32_e32 v152, v160, v138
	buffer_gl0_inv
	v_cmp_gt_i32_e32 vcc_lo, 32, v151
	v_or_b32_e32 v153, 2, v152
	v_or_b32_e32 v154, 4, v152
	;; [unrolled: 1-line block ×5, first 2 shown]
	v_cmp_gt_i32_e64 s2, s28, v153
	v_cmp_gt_i32_e64 s3, s28, v154
	;; [unrolled: 1-line block ×3, first 2 shown]
	v_or_b32_e32 v158, 12, v152
	v_cmp_gt_i32_e64 s5, s28, v156
	v_cmp_gt_i32_e64 s6, s28, v157
	v_wmma_f32_16x16x16_f16 v[191:198], v[175:182], v[143:150], v[191:198]
	v_wmma_f32_16x16x16_f16 v[129:136], v[183:190], v[143:150], v[129:136]
	v_cndmask_b32_e32 v151, v159, v151, vcc_lo
	v_cmp_gt_i32_e32 vcc_lo, s28, v152
	v_or_b32_e32 v159, 14, v152
	v_dual_mul_f32 v149, s34, v192 :: v_dual_mul_f32 v150, s34, v191
	v_dual_mul_f32 v147, s34, v194 :: v_dual_mul_f32 v148, s34, v193
	;; [unrolled: 1-line block ×3, first 2 shown]
	s_delay_alu instid0(VALU_DEP_3) | instskip(NEXT) | instid1(VALU_DEP_4)
	v_cndmask_b32_e32 v150, 0xff7fffff, v150, vcc_lo
	v_cndmask_b32_e64 v149, 0xff7fffff, v149, s2
	v_mul_f32_e32 v146, s34, v195
	v_cndmask_b32_e64 v148, 0xff7fffff, v148, s3
	v_cndmask_b32_e64 v147, 0xff7fffff, v147, s4
	v_or_b32_e32 v160, 16, v152
	v_max3_f32 v149, v150, 0xff7fffff, v149
	v_or_b32_e32 v161, 18, v152
	v_dual_mul_f32 v143, s34, v198 :: v_dual_mul_f32 v144, s34, v197
	v_cndmask_b32_e64 v146, 0xff7fffff, v146, s5
	v_cndmask_b32_e64 v145, 0xff7fffff, v145, s6
	v_max3_f32 v147, v149, v148, v147
	v_cmp_gt_i32_e64 s7, s28, v158
	v_cmp_gt_i32_e64 s8, s28, v159
	v_or_b32_e32 v162, 20, v152
	v_or_b32_e32 v163, 22, v152
	v_mul_f32_e32 v175, s34, v129
	v_cndmask_b32_e64 v144, 0xff7fffff, v144, s7
	v_cndmask_b32_e64 v143, 0xff7fffff, v143, s8
	v_max3_f32 v145, v147, v146, v145
	v_cmp_gt_i32_e64 s9, s28, v160
	v_cmp_gt_i32_e64 s10, s28, v161
	v_or_b32_e32 v164, 24, v152
	v_or_b32_e32 v165, 26, v152
	v_dual_mul_f32 v172, s34, v132 :: v_dual_mul_f32 v173, s34, v131
	v_cndmask_b32_e64 v146, 0xff7fffff, v175, s9
	v_cndmask_b32_e64 v147, 0xff7fffff, v174, s10
	v_max3_f32 v143, v145, v144, v143
	v_cmp_gt_i32_e64 s11, s28, v162
	v_cmp_gt_i32_e64 s12, s28, v163
	v_or_b32_e32 v166, 28, v152
	v_or_b32_e32 v167, 30, v152
	v_dual_mul_f32 v170, s34, v134 :: v_dual_mul_f32 v171, s34, v133
	v_cndmask_b32_e64 v144, 0xff7fffff, v173, s11
	v_cndmask_b32_e64 v145, 0xff7fffff, v172, s12
	v_max3_f32 v143, v143, v146, v147
	v_cmp_gt_i32_e64 s13, s28, v164
	v_cmp_gt_i32_e64 s15, s28, v165
	v_dual_mul_f32 v168, s34, v136 :: v_dual_mul_f32 v169, s34, v135
	s_delay_alu instid0(VALU_DEP_4) | instskip(NEXT) | instid1(VALU_DEP_4)
	v_max3_f32 v143, v143, v144, v145
	v_cndmask_b32_e64 v146, 0xff7fffff, v171, s13
	s_delay_alu instid0(VALU_DEP_4) | instskip(SKIP_3) | instid1(VALU_DEP_4)
	v_cndmask_b32_e64 v147, 0xff7fffff, v170, s15
	v_cmp_gt_i32_e64 s16, s28, v166
	v_cmp_gt_i32_e64 s17, s28, v167
	v_lshlrev_b32_e32 v160, 2, v151
	v_max3_f32 v143, v143, v146, v147
	s_delay_alu instid0(VALU_DEP_4) | instskip(NEXT) | instid1(VALU_DEP_4)
	v_cndmask_b32_e64 v144, 0xff7fffff, v169, s16
	v_cndmask_b32_e64 v145, 0xff7fffff, v168, s17
	s_delay_alu instid0(VALU_DEP_1) | instskip(SKIP_3) | instid1(VALU_DEP_1)
	v_max3_f32 v143, v143, v144, v145
	ds_bpermute_b32 v144, v160, v143
	s_waitcnt lgkmcnt(0)
	v_max_f32_e32 v144, v144, v144
	v_max_f32_e32 v159, v143, v144
	s_delay_alu instid0(VALU_DEP_1) | instskip(SKIP_4) | instid1(VALU_DEP_4)
	v_fma_f32 v145, s34, v193, -v159
	v_fma_f32 v146, s34, v194, -v159
	;; [unrolled: 1-line block ×5, first 2 shown]
	v_dual_mul_f32 v145, 0x3fb8aa3b, v145 :: v_dual_mul_f32 v146, 0x3fb8aa3b, v146
	s_delay_alu instid0(VALU_DEP_4) | instskip(SKIP_1) | instid1(VALU_DEP_4)
	v_mul_f32_e32 v132, 0x3fb8aa3b, v132
	v_fma_f32 v148, s34, v195, -v159
	v_mul_f32_e32 v144, 0x3fb8aa3b, v144
	s_delay_alu instid0(VALU_DEP_4)
	v_exp_f32_e32 v145, v145
	v_exp_f32_e32 v150, v146
	v_fma_f32 v149, s34, v196, -v159
	v_mul_f32_e32 v148, 0x3fb8aa3b, v148
	v_exp_f32_e32 v147, v144
	v_fma_f32 v134, s34, v134, -v159
	v_fma_f32 v151, s34, v197, -v159
	v_mul_f32_e32 v149, 0x3fb8aa3b, v149
	v_exp_f32_e32 v148, v148
	v_fma_f32 v152, s34, v198, -v159
	v_cndmask_b32_e64 v146, 0, v145, s3
	v_cndmask_b32_e64 v145, 0, v150, s4
	v_dual_mul_f32 v143, 0x3fb8aa3b, v143 :: v_dual_mul_f32 v134, 0x3fb8aa3b, v134
	v_mul_f32_e32 v151, 0x3fb8aa3b, v151
	v_exp_f32_e32 v149, v149
	v_fma_f32 v129, s34, v129, -v159
	s_delay_alu instid0(VALU_DEP_3)
	v_exp_f32_e32 v143, v143
	v_mul_f32_e32 v150, 0x3fb8aa3b, v152
	v_exp_f32_e32 v151, v151
	v_cndmask_b32_e64 v148, 0, v148, s5
	v_fma_f32 v130, s34, v130, -v159
	v_mul_f32_e32 v129, 0x3fb8aa3b, v129
	v_exp_f32_e32 v153, v150
	v_fma_f32 v131, s34, v131, -v159
	v_fma_f32 v133, s34, v133, -v159
	v_mul_f32_e32 v130, 0x3fb8aa3b, v130
	v_cndmask_b32_e32 v144, 0, v143, vcc_lo
	v_cndmask_b32_e64 v143, 0, v147, s2
	v_exp_f32_e32 v129, v129
	v_cndmask_b32_e64 v150, 0, v151, s7
	v_mul_f32_e32 v131, 0x3fb8aa3b, v131
	v_add_f32_e32 v147, 0, v144
	v_exp_f32_e32 v130, v130
	v_mul_f32_e32 v133, 0x3fb8aa3b, v133
	v_exp_f32_e32 v132, v132
	v_exp_f32_e32 v131, v131
	v_add_f32_e32 v147, v147, v143
	s_mov_b32 s2, exec_lo
	v_exp_f32_e32 v133, v133
	s_delay_alu instid0(VALU_DEP_1)
	v_add_f32_e32 v147, v147, v146
	s_waitcnt_depctr 0xfff
	v_cndmask_b32_e64 v154, 0, v131, s11
	v_add_f32_e32 v152, v147, v145
	v_cndmask_b32_e64 v147, 0, v149, s6
	v_exp_f32_e32 v131, v134
	v_cndmask_b32_e64 v156, 0, v133, s13
	s_delay_alu instid0(VALU_DEP_3) | instskip(SKIP_1) | instid1(VALU_DEP_2)
	v_add_f32_e32 v149, v152, v148
	v_cndmask_b32_e64 v152, 0, v129, s9
	v_add_f32_e32 v151, v149, v147
	v_cndmask_b32_e64 v149, 0, v153, s8
	v_cndmask_b32_e64 v153, 0, v132, s12
	v_fma_f32 v132, s34, v136, -v159
	s_delay_alu instid0(TRANS32_DEP_1) | instskip(NEXT) | instid1(VALU_DEP_2)
	v_cndmask_b32_e64 v155, 0, v131, s15
	v_dual_add_f32 v151, v151, v150 :: v_dual_mul_f32 v132, 0x3fb8aa3b, v132
	s_delay_alu instid0(VALU_DEP_1) | instskip(SKIP_2) | instid1(VALU_DEP_4)
	v_add_f32_e32 v129, v151, v149
	v_cndmask_b32_e64 v151, 0, v130, s10
	v_fma_f32 v130, s34, v135, -v159
	v_exp_f32_e32 v131, v132
	s_delay_alu instid0(VALU_DEP_1) | instskip(NEXT) | instid1(VALU_DEP_1)
	v_dual_add_f32 v129, v129, v152 :: v_dual_mul_f32 v130, 0x3fb8aa3b, v130
	v_add_f32_e32 v129, v129, v151
	s_delay_alu instid0(VALU_DEP_2) | instskip(SKIP_3) | instid1(VALU_DEP_1)
	v_exp_f32_e32 v130, v130
	s_waitcnt_depctr 0xfff
	v_cndmask_b32_e64 v157, 0, v131, s17
	v_add_f32_e32 v129, v129, v154
	v_add_f32_e32 v129, v129, v153
	v_cndmask_b32_e64 v158, 0, v130, s16
	s_delay_alu instid0(VALU_DEP_2) | instskip(NEXT) | instid1(VALU_DEP_1)
	v_add_f32_e32 v129, v129, v156
	v_add_f32_e32 v129, v129, v155
	s_delay_alu instid0(VALU_DEP_1) | instskip(NEXT) | instid1(VALU_DEP_1)
	v_add_f32_e32 v129, v129, v158
	v_add_f32_e32 v129, v129, v157
	ds_bpermute_b32 v130, v160, v129
	v_cmpx_gt_u32_e32 16, v142
	s_cbranch_execz .LBB255_12
; %bb.11:
	v_mul_u32_u24_e32 v131, 0x44, v141
	s_delay_alu instid0(VALU_DEP_1) | instskip(SKIP_1) | instid1(VALU_DEP_1)
	v_lshl_add_u32 v131, v140, 2, v131
	s_waitcnt lgkmcnt(0)
	v_dual_add_f32 v129, v129, v130 :: v_dual_add_nc_u32 v130, 0x4000, v131
	ds_store_2addr_b32 v130, v159, v129 offset1:136
.LBB255_12:
	s_or_b32 exec_lo, exec_lo, s2
	v_lshlrev_b32_e32 v129, 2, v140
	s_load_b32 s34, s[0:1], 0x94
	s_waitcnt lgkmcnt(0)
	s_barrier
	buffer_gl0_inv
	v_add_nc_u32_e32 v135, 0x4000, v129
	v_cmp_eq_u32_e32 vcc_lo, 1, v141
	v_cmp_eq_u32_e64 s2, 2, v141
	v_cmp_eq_u32_e64 s3, 3, v141
	;; [unrolled: 1-line block ×3, first 2 shown]
	ds_load_2addr_b32 v[129:130], v135 offset1:17
	ds_load_2addr_b32 v[131:132], v135 offset0:34 offset1:51
	ds_load_2addr_b32 v[133:134], v135 offset0:68 offset1:85
	;; [unrolled: 1-line block ×3, first 2 shown]
	v_cmp_eq_u32_e64 s5, 5, v141
	v_cmp_eq_u32_e64 s6, 7, v141
	s_waitcnt lgkmcnt(3)
	v_max3_f32 v136, v129, 0xff7fffff, v130
	s_waitcnt lgkmcnt(2)
	s_delay_alu instid0(VALU_DEP_1) | instskip(SKIP_1) | instid1(VALU_DEP_1)
	v_max3_f32 v136, v136, v131, v132
	s_waitcnt lgkmcnt(1)
	v_max3_f32 v136, v136, v133, v134
	s_waitcnt lgkmcnt(0)
	s_delay_alu instid0(VALU_DEP_1) | instskip(NEXT) | instid1(VALU_DEP_1)
	v_max3_f32 v136, v136, v159, v160
	v_sub_f32_e32 v142, v130, v136
	ds_load_2addr_b32 v[161:162], v135 offset0:136 offset1:153
	v_sub_f32_e32 v164, v132, v136
	v_mul_f32_e32 v142, 0x3fb8aa3b, v142
	s_delay_alu instid0(VALU_DEP_2) | instskip(NEXT) | instid1(VALU_DEP_2)
	v_mul_f32_e32 v164, 0x3fb8aa3b, v164
	v_exp_f32_e32 v166, v142
	v_sub_f32_e32 v129, v129, v136
	s_delay_alu instid0(VALU_DEP_2) | instskip(NEXT) | instid1(VALU_DEP_1)
	v_exp_f32_e32 v164, v164
	v_mul_f32_e32 v163, 0x3fb8aa3b, v129
	ds_load_2addr_b32 v[129:130], v135 offset0:170 offset1:187
	v_exp_f32_e32 v163, v163
	s_waitcnt lgkmcnt(1)
	s_waitcnt_depctr 0xfff
	v_fma_f32 v142, v163, v161, 0
	v_sub_f32_e32 v161, v134, v136
	s_delay_alu instid0(VALU_DEP_2) | instskip(NEXT) | instid1(VALU_DEP_1)
	v_dual_fmac_f32 v142, v166, v162 :: v_dual_sub_f32 v131, v131, v136
	v_mul_f32_e32 v165, 0x3fb8aa3b, v131
	ds_load_2addr_b32 v[131:132], v135 offset0:204 offset1:221
	v_exp_f32_e32 v165, v165
	s_waitcnt lgkmcnt(1)
	s_waitcnt_depctr 0xfff
	v_fmac_f32_e32 v142, v165, v129
	v_sub_f32_e32 v133, v133, v136
	v_sub_f32_e32 v129, v160, v136
	s_delay_alu instid0(VALU_DEP_2) | instskip(NEXT) | instid1(VALU_DEP_2)
	v_dual_fmac_f32 v142, v164, v130 :: v_dual_mul_f32 v167, 0x3fb8aa3b, v133
	v_mul_f32_e32 v129, 0x3fb8aa3b, v129
	ds_load_2addr_b32 v[133:134], v135 offset0:238 offset1:255
	v_cndmask_b32_e32 v130, v163, v166, vcc_lo
	s_waitcnt lgkmcnt(0)
	s_barrier
	v_exp_f32_e32 v162, v129
	v_sub_f32_e32 v135, v159, v136
	v_mul_f32_e32 v159, 0x3fb8aa3b, v161
	v_exp_f32_e32 v161, v167
	buffer_gl0_inv
	v_exp_f32_e32 v159, v159
	v_fmac_f32_e32 v142, v161, v131
	s_waitcnt_depctr 0xfff
	v_dual_mul_f32 v135, 0x3fb8aa3b, v135 :: v_dual_fmac_f32 v142, v159, v132
	s_delay_alu instid0(VALU_DEP_1) | instskip(SKIP_2) | instid1(VALU_DEP_1)
	v_exp_f32_e32 v160, v135
	s_waitcnt_depctr 0xfff
	v_dual_fmac_f32 v142, v160, v133 :: v_dual_lshlrev_b32 v133, 6, v140
	v_fmac_f32_e32 v142, v162, v134
	s_delay_alu instid0(VALU_DEP_2) | instskip(NEXT) | instid1(VALU_DEP_2)
	v_lshl_or_b32 v135, v141, 11, v133
	v_add_f32_e32 v134, 0x358637bd, v142
	s_delay_alu instid0(VALU_DEP_1) | instskip(SKIP_1) | instid1(VALU_DEP_2)
	v_div_scale_f32 v167, null, v134, v134, 1.0
	v_div_scale_f32 v163, vcc_lo, 1.0, v134, 1.0
	v_rcp_f32_e32 v168, v167
	s_waitcnt_depctr 0xfff
	v_fma_f32 v129, -v167, v168, 1.0
	s_delay_alu instid0(VALU_DEP_1) | instskip(SKIP_2) | instid1(VALU_DEP_2)
	v_fmac_f32_e32 v168, v129, v168
	v_cndmask_b32_e64 v129, v130, v165, s2
	v_cmp_eq_u32_e64 s2, 6, v141
	v_cndmask_b32_e64 v130, v129, v164, s3
	v_lshlrev_b32_e32 v129, 2, v138
	v_mul_f32_e32 v165, v163, v168
	s_delay_alu instid0(VALU_DEP_3) | instskip(NEXT) | instid1(VALU_DEP_3)
	v_cndmask_b32_e64 v161, v130, v161, s4
	v_or_b32_e32 v130, 1, v129
	s_delay_alu instid0(VALU_DEP_3)
	v_fma_f32 v131, -v167, v165, v163
	v_or_b32_e32 v132, 2, v129
	v_cmp_eq_u32_e64 s3, 1, v129
	v_cndmask_b32_e64 v141, v161, v159, s5
	v_cmp_eq_u32_e64 s8, 1, v130
	v_fmac_f32_e32 v165, v131, v168
	v_or_b32_e32 v131, 3, v129
	v_cmp_eq_u32_e64 s9, 1, v132
	v_cndmask_b32_e64 v141, v141, v160, s2
	v_cmp_eq_u32_e64 s4, 2, v129
	v_fma_f32 v159, -v167, v165, v163
	v_cmp_eq_u32_e64 s10, 1, v131
	v_cmp_eq_u32_e64 s15, 2, v131
	v_cndmask_b32_e64 v141, v141, v162, s6
	v_cmp_eq_u32_e64 s11, 2, v130
	v_div_fmas_f32 v159, v159, v168, v165
	v_cmp_eq_u32_e64 s17, 3, v131
	v_cmp_eq_u32_e32 vcc_lo, 3, v129
	v_cmp_eq_u32_e64 s12, 3, v130
	v_cmp_eq_u32_e64 s13, 2, v132
	v_div_fixup_f32 v159, v159, v134, 1.0
	v_lshl_or_b32 v134, v138, 4, v135
	v_cmp_eq_u32_e64 s21, 4, v131
	v_cmp_eq_u32_e64 s2, 4, v129
	;; [unrolled: 1-line block ×3, first 2 shown]
	v_mul_f32_e32 v141, v141, v159
	v_cmp_eq_u32_e64 s18, 4, v130
	v_cmp_eq_u32_e64 s23, 5, v131
	;; [unrolled: 1-line block ×4, first 2 shown]
	v_fma_mixlo_f16 v159, v141, v144, 0
	v_fma_mixlo_f16 v160, v141, v146, 0
	;; [unrolled: 1-line block ×8, first 2 shown]
	v_fma_mixhi_f16 v159, v141, v143, 0
	v_fma_mixhi_f16 v160, v141, v145, 0
	;; [unrolled: 1-line block ×8, first 2 shown]
	ds_store_b128 v134, v[159:162]
	ds_store_b128 v134, v[163:166] offset:1024
	s_waitcnt lgkmcnt(0)
	s_barrier
	buffer_gl0_inv
	ds_load_b128 v[143:146], v135
	ds_load_b128 v[147:150], v135 offset:16
	ds_load_b128 v[151:154], v135 offset:1024
	;; [unrolled: 1-line block ×3, first 2 shown]
	v_cmp_eq_u32_e64 s20, 4, v132
	v_cmp_eq_u32_e64 s26, 6, v131
	v_cmp_eq_u32_e64 s6, 6, v129
	v_cmp_eq_u32_e64 s22, 5, v132
	v_cmp_eq_u32_e64 s24, 6, v130
	v_cmp_eq_u32_e64 s28, 7, v131
	v_cmp_eq_u32_e64 s7, 7, v129
	v_cmp_eq_u32_e64 s25, 6, v132
	v_cmp_eq_u32_e64 s29, 7, v130
	v_cmp_eq_u32_e64 s27, 7, v132
	s_waitcnt lgkmcnt(3)
	v_lshrrev_b32_e32 v141, 16, v143
	s_waitcnt lgkmcnt(2)
	v_lshrrev_b32_e32 v162, 16, v147
	v_lshrrev_b32_e32 v159, 16, v144
	;; [unrolled: 1-line block ×3, first 2 shown]
	s_waitcnt lgkmcnt(1)
	v_lshrrev_b32_e32 v166, 16, v151
	v_cndmask_b32_e64 v174, v143, v141, s3
	v_cndmask_b32_e64 v176, v143, v141, s8
	;; [unrolled: 1-line block ×5, first 2 shown]
	s_waitcnt lgkmcnt(0)
	v_lshrrev_b32_e32 v170, 16, v155
	v_cndmask_b32_e64 v175, v147, v162, s3
	v_cndmask_b32_e64 v177, v147, v162, s8
	v_cndmask_b32_e64 v141, v141, v144, s15
	v_cndmask_b32_e64 v143, v143, v148, s15
	v_cndmask_b32_e64 v179, v147, v162, s9
	v_cndmask_b32_e64 v147, v151, v166, s3
	v_cndmask_b32_e64 v162, v155, v170, s3
	v_cndmask_b32_e64 v180, v151, v166, s8
	v_cndmask_b32_e64 v181, v155, v170, s8
	v_cndmask_b32_e64 v182, v151, v166, s9
	v_cndmask_b32_e64 v183, v155, v170, s9
	v_cndmask_b32_e64 v151, v151, v166, s10
	v_cndmask_b32_e64 v155, v155, v170, s10
	v_cndmask_b32_e64 v166, v174, v144, s4
	v_cndmask_b32_e64 v170, v175, v148, s4
	v_cndmask_b32_e64 v174, v176, v144, s11
	v_cndmask_b32_e64 v175, v177, v148, s11
	v_cndmask_b32_e64 v141, v141, v159, s17
	v_cndmask_b32_e64 v143, v143, v163, s17
	v_lshrrev_b32_e32 v160, 16, v145
	v_lshrrev_b32_e32 v164, 16, v149
	;; [unrolled: 1-line block ×4, first 2 shown]
	v_cndmask_b32_e64 v176, v178, v144, s13
	v_cndmask_b32_e64 v177, v179, v148, s13
	v_cndmask_b32_e64 v144, v147, v152, s4
	v_cndmask_b32_e64 v147, v162, v156, s4
	v_cndmask_b32_e64 v148, v180, v152, s11
	v_cndmask_b32_e64 v162, v182, v152, s13
	v_cndmask_b32_e64 v151, v151, v152, s15
	v_cndmask_b32_e64 v152, v155, v156, s15
	v_cndmask_b32_e32 v155, v166, v159, vcc_lo
	v_cndmask_b32_e32 v166, v170, v163, vcc_lo
	v_cndmask_b32_e64 v170, v174, v159, s12
	v_cndmask_b32_e64 v174, v175, v163, s12
	;; [unrolled: 1-line block ×6, first 2 shown]
	v_cndmask_b32_e32 v144, v144, v167, vcc_lo
	v_cndmask_b32_e32 v147, v147, v171, vcc_lo
	v_cndmask_b32_e64 v148, v148, v167, s12
	v_cndmask_b32_e64 v155, v155, v145, s2
	v_cndmask_b32_e64 v159, v166, v149, s2
	v_cndmask_b32_e64 v163, v170, v145, s18
	v_cndmask_b32_e64 v166, v174, v149, s18
	v_cndmask_b32_e64 v141, v141, v160, s23
	v_cndmask_b32_e64 v143, v143, v164, s23
	v_lshrrev_b32_e32 v161, 16, v146
	v_lshrrev_b32_e32 v165, 16, v150
	;; [unrolled: 1-line block ×4, first 2 shown]
	v_cndmask_b32_e64 v170, v175, v145, s20
	v_cndmask_b32_e64 v174, v176, v149, s20
	;; [unrolled: 1-line block ×22, first 2 shown]
	v_lshrrev_b32_e32 v169, 16, v154
	v_cndmask_b32_e64 v160, v163, v146, s25
	v_cndmask_b32_e64 v163, v166, v150, s25
	;; [unrolled: 1-line block ×9, first 2 shown]
	v_perm_b32 v146, v143, v141, 0x5040100
	v_cndmask_b32_e64 v141, v183, v156, s13
	v_cndmask_b32_e64 v143, v181, v156, s11
	;; [unrolled: 1-line block ×4, first 2 shown]
	v_perm_b32 v144, v159, v149, 0x5040100
	v_cndmask_b32_e64 v149, v162, v167, s16
	v_cndmask_b32_e64 v151, v151, v167, s17
	;; [unrolled: 1-line block ×15, first 2 shown]
	v_lshrrev_b32_e32 v173, 16, v158
	v_cndmask_b32_e64 v149, v149, v154, s25
	v_cndmask_b32_e64 v151, v151, v154, s26
	;; [unrolled: 1-line block ×13, first 2 shown]
	v_perm_b32 v145, v160, v155, 0x5040100
	v_perm_b32 v143, v148, v147, 0x5040100
	;; [unrolled: 1-line block ×6, first 2 shown]
	s_mul_i32 s6, s33, 6
	s_mov_b32 s2, exec_lo
	ds_store_b128 v134, v[143:146]
	ds_store_b128 v134, v[147:150] offset:1024
	v_cmpx_gt_u32_e32 6, v0
	s_cbranch_execz .LBB255_14
; %bb.13:
	s_mul_i32 s3, s6, s30
	s_load_b128 s[8:11], s[0:1], 0x58
	v_add3_u32 v143, s3, s31, v140
	s_delay_alu instid0(VALU_DEP_1) | instskip(NEXT) | instid1(VALU_DEP_1)
	v_mad_u64_u32 v[140:141], null, v143, s34, s[14:15]
	v_ashrrev_i32_e32 v141, 31, v140
	s_delay_alu instid0(VALU_DEP_1) | instskip(SKIP_1) | instid1(VALU_DEP_1)
	v_lshlrev_b64 v[140:141], 2, v[140:141]
	s_waitcnt lgkmcnt(0)
	v_add_co_u32 v143, vcc_lo, s10, v140
	s_delay_alu instid0(VALU_DEP_2)
	v_add_co_ci_u32_e32 v144, vcc_lo, s11, v141, vcc_lo
	v_add_co_u32 v140, vcc_lo, s8, v140
	v_add_co_ci_u32_e32 v141, vcc_lo, s9, v141, vcc_lo
	global_store_b32 v[143:144], v136, off
	global_store_b32 v[140:141], v142, off
.LBB255_14:
	s_or_b32 exec_lo, exec_lo, s2
	s_waitcnt lgkmcnt(0)
	s_waitcnt_vscnt null, 0x0
	s_barrier
	buffer_gl0_inv
	ds_load_b128 v[148:151], v133
	ds_load_b128 v[152:155], v133 offset:16
	ds_load_b128 v[160:163], v133 offset:1040
	ds_load_b128 v[156:159], v133 offset:1024
	ds_load_b128 v[168:171], v133 offset:2064
	ds_load_b128 v[164:167], v133 offset:2048
	v_cmp_eq_u32_e32 vcc_lo, 1, v132
	v_mov_b32_e32 v140, 0
	ds_load_b128 v[176:179], v133 offset:3088
	ds_load_b128 v[172:175], v133 offset:3072
	;; [unrolled: 1-line block ×4, first 2 shown]
	v_cmp_eq_u32_e64 s2, 1, v129
	v_cmp_eq_u32_e64 s3, 1, v131
	;; [unrolled: 1-line block ×3, first 2 shown]
	v_mov_b32_e32 v141, v140
	v_mov_b32_e32 v142, v140
	;; [unrolled: 1-line block ×7, first 2 shown]
	v_cmp_eq_u32_e64 s5, 2, v129
	s_waitcnt lgkmcnt(8)
	s_delay_alu instid0(VALU_DEP_2)
	v_wmma_f32_16x16x16_f16 v[140:147], v[121:128], v[148:155], v[140:147]
	ds_load_b128 v[125:128], v133 offset:5136
	ds_load_b128 v[121:124], v133 offset:5120
	s_waitcnt lgkmcnt(8)
	v_wmma_f32_16x16x16_f16 v[140:147], v[113:120], v[156:163], v[140:147]
	ds_load_b128 v[117:120], v133 offset:6160
	ds_load_b128 v[113:116], v133 offset:6144
	s_waitcnt lgkmcnt(8)
	;; [unrolled: 4-line block ×11, first 2 shown]
	s_barrier
	buffer_gl0_inv
	v_wmma_f32_16x16x16_f16 v[140:147], v[1:8], v[73:80], v[140:147]
	s_delay_alu instid0(VALU_DEP_1) | instskip(NEXT) | instid1(VALU_DEP_1)
	v_wmma_f32_16x16x16_f16 v[140:147], v[9:16], v[65:72], v[140:147]
	v_wmma_f32_16x16x16_f16 v[140:147], v[33:40], v[57:64], v[140:147]
	s_delay_alu instid0(VALU_DEP_1) | instskip(NEXT) | instid1(VALU_DEP_1)
	v_wmma_f32_16x16x16_f16 v[140:147], v[41:48], v[49:56], v[140:147]
	v_wmma_f32_16x16x16_f16 v[140:147], v[17:24], v[25:32], v[140:147]
	s_delay_alu instid0(VALU_DEP_1) | instskip(NEXT) | instid1(VALU_DEP_2)
	v_cvt_f16_f32_e64 v1, v140
	v_cvt_f16_f32_e64 v2, v141
	s_delay_alu instid0(VALU_DEP_3) | instskip(NEXT) | instid1(VALU_DEP_4)
	v_cvt_f16_f32_e64 v3, v142
	v_cvt_f16_f32_e64 v4, v143
	;; [unrolled: 1-line block ×6, first 2 shown]
	v_pack_b32_f16 v1, v1, v2
	v_pack_b32_f16 v2, v3, v4
	v_pack_b32_f16 v3, v5, v6
	s_delay_alu instid0(VALU_DEP_4)
	v_pack_b32_f16 v4, v7, v8
	ds_store_b128 v134, v[1:4]
	s_waitcnt lgkmcnt(0)
	s_barrier
	buffer_gl0_inv
	ds_load_b128 v[1:4], v135
	ds_load_b128 v[5:8], v135 offset:16
	s_waitcnt lgkmcnt(1)
	v_lshrrev_b32_e32 v9, 16, v1
	s_waitcnt lgkmcnt(0)
	v_lshrrev_b32_e32 v13, 16, v5
	v_lshrrev_b32_e32 v10, 16, v2
	;; [unrolled: 1-line block ×4, first 2 shown]
	v_cndmask_b32_e64 v17, v1, v9, s2
	v_cndmask_b32_e64 v18, v5, v13, s2
	;; [unrolled: 1-line block ×3, first 2 shown]
	v_cmp_eq_u32_e64 s2, 2, v130
	v_cndmask_b32_e64 v20, v5, v13, s4
	v_cndmask_b32_e32 v21, v1, v9, vcc_lo
	v_cndmask_b32_e32 v22, v5, v13, vcc_lo
	v_cndmask_b32_e64 v1, v1, v9, s3
	v_cndmask_b32_e64 v5, v5, v13, s3
	v_cmp_eq_u32_e32 vcc_lo, 2, v132
	v_cmp_eq_u32_e64 s3, 2, v131
	v_cndmask_b32_e64 v9, v17, v2, s5
	v_cndmask_b32_e64 v13, v18, v6, s5
	;; [unrolled: 1-line block ×4, first 2 shown]
	v_cndmask_b32_e32 v19, v21, v2, vcc_lo
	v_cmp_eq_u32_e64 s2, 3, v132
	v_cndmask_b32_e32 v20, v22, v6, vcc_lo
	v_cndmask_b32_e64 v1, v1, v2, s3
	v_cmp_eq_u32_e32 vcc_lo, 3, v131
	v_cmp_eq_u32_e64 s4, 3, v129
	v_cndmask_b32_e64 v2, v5, v6, s3
	v_cmp_eq_u32_e64 s3, 3, v130
	v_cmp_eq_u32_e64 s5, 4, v129
	v_cndmask_b32_e32 v1, v1, v10, vcc_lo
	v_cndmask_b32_e64 v5, v9, v10, s4
	v_cndmask_b32_e64 v6, v13, v14, s4
	v_cndmask_b32_e64 v9, v17, v10, s3
	v_cmp_eq_u32_e64 s4, 4, v130
	v_cndmask_b32_e64 v13, v18, v14, s3
	v_cndmask_b32_e64 v17, v19, v10, s2
	;; [unrolled: 1-line block ×3, first 2 shown]
	v_cndmask_b32_e32 v2, v2, v14, vcc_lo
	v_cmp_eq_u32_e32 vcc_lo, 4, v132
	v_cmp_eq_u32_e64 s3, 4, v131
	v_lshrrev_b32_e32 v15, 16, v7
	v_cndmask_b32_e64 v5, v5, v3, s5
	v_cndmask_b32_e64 v6, v6, v7, s5
	v_cndmask_b32_e32 v14, v18, v7, vcc_lo
	v_cndmask_b32_e64 v9, v9, v3, s4
	v_cndmask_b32_e64 v10, v13, v7, s4
	v_cndmask_b32_e32 v13, v17, v3, vcc_lo
	v_cmp_eq_u32_e64 s2, 5, v132
	v_cndmask_b32_e64 v1, v1, v3, s3
	v_cmp_eq_u32_e32 vcc_lo, 5, v131
	v_cmp_eq_u32_e64 s4, 5, v129
	v_cndmask_b32_e64 v2, v2, v7, s3
	v_cmp_eq_u32_e64 s3, 5, v130
	v_cmp_eq_u32_e64 s5, 6, v129
	v_lshrrev_b32_e32 v12, 16, v4
	v_cndmask_b32_e64 v3, v5, v11, s4
	v_cndmask_b32_e64 v5, v6, v15, s4
	;; [unrolled: 1-line block ×3, first 2 shown]
	v_cmp_eq_u32_e64 s4, 6, v130
	v_cndmask_b32_e64 v7, v10, v15, s3
	v_cndmask_b32_e64 v9, v13, v11, s2
	;; [unrolled: 1-line block ×3, first 2 shown]
	v_cndmask_b32_e32 v1, v1, v11, vcc_lo
	v_cndmask_b32_e32 v2, v2, v15, vcc_lo
	v_cmp_eq_u32_e32 vcc_lo, 6, v132
	v_cmp_eq_u32_e64 s2, 6, v131
	v_lshrrev_b32_e32 v16, 16, v8
	v_cndmask_b32_e64 v3, v3, v4, s5
	v_cndmask_b32_e64 v5, v5, v8, s5
	v_cndmask_b32_e32 v9, v9, v4, vcc_lo
	v_cndmask_b32_e64 v6, v6, v4, s4
	v_cndmask_b32_e64 v7, v7, v8, s4
	v_cmp_eq_u32_e64 s3, 7, v132
	v_cndmask_b32_e32 v10, v10, v8, vcc_lo
	v_cndmask_b32_e64 v1, v1, v4, s2
	v_cmp_eq_u32_e32 vcc_lo, 7, v131
	v_cndmask_b32_e64 v2, v2, v8, s2
	v_cmp_eq_u32_e64 s2, 7, v129
	v_cmp_eq_u32_e64 s4, 7, v130
	v_cndmask_b32_e32 v1, v1, v12, vcc_lo
	s_delay_alu instid0(VALU_DEP_4) | instskip(NEXT) | instid1(VALU_DEP_4)
	v_cndmask_b32_e32 v2, v2, v16, vcc_lo
	v_cndmask_b32_e64 v8, v3, v12, s2
	s_delay_alu instid0(VALU_DEP_4)
	v_cndmask_b32_e64 v6, v6, v12, s4
	v_cndmask_b32_e64 v3, v9, v12, s3
	;; [unrolled: 1-line block ×5, first 2 shown]
	v_perm_b32 v4, v2, v1, 0x5040100
	s_mov_b32 s2, exec_lo
	v_perm_b32 v3, v9, v3, 0x5040100
	v_perm_b32 v2, v7, v6, 0x5040100
	;; [unrolled: 1-line block ×3, first 2 shown]
	ds_store_b128 v134, v[1:4]
	s_waitcnt lgkmcnt(0)
	s_barrier
	buffer_gl0_inv
	v_cmpx_gt_u32_e32 32, v0
	s_cbranch_execz .LBB255_2
; %bb.15:
	s_load_b64 s[0:1], s[0:1], 0x68
	s_lshl_b32 s4, s34, 7
	v_or_b32_e32 v3, s31, v138
	s_mul_i32 s2, s4, s30
	v_lshlrev_b32_e32 v0, 10, v0
	s_mul_i32 s2, s2, s6
	v_lshlrev_b32_e32 v1, 4, v139
	s_ashr_i32 s3, s2, 31
	v_mul_lo_u32 v12, v3, s4
	s_lshl_b64 s[2:3], s[2:3], 1
	v_lshlrev_b32_e32 v2, 6, v138
	v_and_b32_e32 v0, 0x3800, v0
	s_delay_alu instid0(VALU_DEP_1) | instskip(NEXT) | instid1(VALU_DEP_4)
	v_or3_b32 v8, v0, v1, v2
	v_ashrrev_i32_e32 v13, 31, v12
	ds_load_b128 v[0:3], v8
	ds_load_b128 v[4:7], v8 offset:128
	ds_load_b128 v[8:11], v8 offset:256
	s_waitcnt lgkmcnt(0)
	s_add_u32 s2, s0, s2
	s_addc_u32 s3, s1, s3
	s_lshl_b32 s0, s14, 7
	s_delay_alu instid0(SALU_CYCLE_1) | instskip(NEXT) | instid1(SALU_CYCLE_1)
	s_ashr_i32 s1, s0, 31
	s_lshl_b64 s[0:1], s[0:1], 1
	s_delay_alu instid0(SALU_CYCLE_1)
	s_add_u32 s0, s2, s0
	s_addc_u32 s1, s3, s1
	s_lshl_b32 s2, s34, 8
	v_add_co_u32 v18, s0, s0, v137
	v_add_nc_u32_e32 v14, s2, v12
	v_lshlrev_b64 v[12:13], 1, v[12:13]
	v_add_co_ci_u32_e64 v19, null, s1, 0, s0
	s_delay_alu instid0(VALU_DEP_3) | instskip(SKIP_1) | instid1(VALU_DEP_4)
	v_add_nc_u32_e32 v16, s2, v14
	v_ashrrev_i32_e32 v15, 31, v14
	v_add_co_u32 v12, vcc_lo, v18, v12
	s_delay_alu instid0(VALU_DEP_4) | instskip(NEXT) | instid1(VALU_DEP_4)
	v_add_co_ci_u32_e32 v13, vcc_lo, v19, v13, vcc_lo
	v_ashrrev_i32_e32 v17, 31, v16
	s_delay_alu instid0(VALU_DEP_4) | instskip(NEXT) | instid1(VALU_DEP_2)
	v_lshlrev_b64 v[14:15], 1, v[14:15]
	v_lshlrev_b64 v[16:17], 1, v[16:17]
	s_delay_alu instid0(VALU_DEP_2) | instskip(NEXT) | instid1(VALU_DEP_3)
	v_add_co_u32 v14, vcc_lo, v18, v14
	v_add_co_ci_u32_e32 v15, vcc_lo, v19, v15, vcc_lo
	s_delay_alu instid0(VALU_DEP_3) | instskip(NEXT) | instid1(VALU_DEP_4)
	v_add_co_u32 v16, vcc_lo, v18, v16
	v_add_co_ci_u32_e32 v17, vcc_lo, v19, v17, vcc_lo
	s_clause 0x2
	global_store_b128 v[12:13], v[0:3], off
	global_store_b128 v[14:15], v[4:7], off
	global_store_b128 v[16:17], v[8:11], off
	s_nop 0
	s_sendmsg sendmsg(MSG_DEALLOC_VGPRS)
	s_endpgm
	.section	.rodata,"a",@progbits
	.p2align	6, 0x0
	.amdhsa_kernel _Z39paged_attention_ll4mi_QKV_mfma16_kernelIDF16_DF16_LN4vllm18Fp8KVCacheDataTypeE0EDF16_Li16ELi128ELi256ELb1ELi6EL8MFMAType0EEvPKT_PKT0_S8_ifPKiSA_SA_iPKfiiiPfSD_PS3_PT2_iSC_SC_
		.amdhsa_group_segment_fixed_size 17472
		.amdhsa_private_segment_fixed_size 0
		.amdhsa_kernarg_size 400
		.amdhsa_user_sgpr_count 13
		.amdhsa_user_sgpr_dispatch_ptr 0
		.amdhsa_user_sgpr_queue_ptr 0
		.amdhsa_user_sgpr_kernarg_segment_ptr 1
		.amdhsa_user_sgpr_dispatch_id 0
		.amdhsa_user_sgpr_private_segment_size 0
		.amdhsa_wavefront_size32 1
		.amdhsa_uses_dynamic_stack 0
		.amdhsa_enable_private_segment 0
		.amdhsa_system_sgpr_workgroup_id_x 1
		.amdhsa_system_sgpr_workgroup_id_y 1
		.amdhsa_system_sgpr_workgroup_id_z 1
		.amdhsa_system_sgpr_workgroup_info 0
		.amdhsa_system_vgpr_workitem_id 0
		.amdhsa_next_free_vgpr 218
		.amdhsa_next_free_sgpr 52
		.amdhsa_reserve_vcc 1
		.amdhsa_float_round_mode_32 0
		.amdhsa_float_round_mode_16_64 0
		.amdhsa_float_denorm_mode_32 3
		.amdhsa_float_denorm_mode_16_64 3
		.amdhsa_dx10_clamp 1
		.amdhsa_ieee_mode 1
		.amdhsa_fp16_overflow 0
		.amdhsa_workgroup_processor_mode 1
		.amdhsa_memory_ordered 1
		.amdhsa_forward_progress 0
		.amdhsa_shared_vgpr_count 0
		.amdhsa_exception_fp_ieee_invalid_op 0
		.amdhsa_exception_fp_denorm_src 0
		.amdhsa_exception_fp_ieee_div_zero 0
		.amdhsa_exception_fp_ieee_overflow 0
		.amdhsa_exception_fp_ieee_underflow 0
		.amdhsa_exception_fp_ieee_inexact 0
		.amdhsa_exception_int_div_zero 0
	.end_amdhsa_kernel
	.section	.text._Z39paged_attention_ll4mi_QKV_mfma16_kernelIDF16_DF16_LN4vllm18Fp8KVCacheDataTypeE0EDF16_Li16ELi128ELi256ELb1ELi6EL8MFMAType0EEvPKT_PKT0_S8_ifPKiSA_SA_iPKfiiiPfSD_PS3_PT2_iSC_SC_,"axG",@progbits,_Z39paged_attention_ll4mi_QKV_mfma16_kernelIDF16_DF16_LN4vllm18Fp8KVCacheDataTypeE0EDF16_Li16ELi128ELi256ELb1ELi6EL8MFMAType0EEvPKT_PKT0_S8_ifPKiSA_SA_iPKfiiiPfSD_PS3_PT2_iSC_SC_,comdat
.Lfunc_end255:
	.size	_Z39paged_attention_ll4mi_QKV_mfma16_kernelIDF16_DF16_LN4vllm18Fp8KVCacheDataTypeE0EDF16_Li16ELi128ELi256ELb1ELi6EL8MFMAType0EEvPKT_PKT0_S8_ifPKiSA_SA_iPKfiiiPfSD_PS3_PT2_iSC_SC_, .Lfunc_end255-_Z39paged_attention_ll4mi_QKV_mfma16_kernelIDF16_DF16_LN4vllm18Fp8KVCacheDataTypeE0EDF16_Li16ELi128ELi256ELb1ELi6EL8MFMAType0EEvPKT_PKT0_S8_ifPKiSA_SA_iPKfiiiPfSD_PS3_PT2_iSC_SC_
                                        ; -- End function
	.section	.AMDGPU.csdata,"",@progbits
; Kernel info:
; codeLenInByte = 8040
; NumSgprs: 54
; NumVgprs: 218
; ScratchSize: 0
; MemoryBound: 0
; FloatMode: 240
; IeeeMode: 1
; LDSByteSize: 17472 bytes/workgroup (compile time only)
; SGPRBlocks: 6
; VGPRBlocks: 27
; NumSGPRsForWavesPerEU: 54
; NumVGPRsForWavesPerEU: 218
; Occupancy: 6
; WaveLimiterHint : 1
; COMPUTE_PGM_RSRC2:SCRATCH_EN: 0
; COMPUTE_PGM_RSRC2:USER_SGPR: 13
; COMPUTE_PGM_RSRC2:TRAP_HANDLER: 0
; COMPUTE_PGM_RSRC2:TGID_X_EN: 1
; COMPUTE_PGM_RSRC2:TGID_Y_EN: 1
; COMPUTE_PGM_RSRC2:TGID_Z_EN: 1
; COMPUTE_PGM_RSRC2:TIDIG_COMP_CNT: 0
	.section	.text._Z39paged_attention_ll4mi_QKV_mfma16_kernelIDF16_DF16_LN4vllm18Fp8KVCacheDataTypeE0EDF16_Li16ELi128ELi256ELb1ELi7EL8MFMAType0EEvPKT_PKT0_S8_ifPKiSA_SA_iPKfiiiPfSD_PS3_PT2_iSC_SC_,"axG",@progbits,_Z39paged_attention_ll4mi_QKV_mfma16_kernelIDF16_DF16_LN4vllm18Fp8KVCacheDataTypeE0EDF16_Li16ELi128ELi256ELb1ELi7EL8MFMAType0EEvPKT_PKT0_S8_ifPKiSA_SA_iPKfiiiPfSD_PS3_PT2_iSC_SC_,comdat
	.protected	_Z39paged_attention_ll4mi_QKV_mfma16_kernelIDF16_DF16_LN4vllm18Fp8KVCacheDataTypeE0EDF16_Li16ELi128ELi256ELb1ELi7EL8MFMAType0EEvPKT_PKT0_S8_ifPKiSA_SA_iPKfiiiPfSD_PS3_PT2_iSC_SC_ ; -- Begin function _Z39paged_attention_ll4mi_QKV_mfma16_kernelIDF16_DF16_LN4vllm18Fp8KVCacheDataTypeE0EDF16_Li16ELi128ELi256ELb1ELi7EL8MFMAType0EEvPKT_PKT0_S8_ifPKiSA_SA_iPKfiiiPfSD_PS3_PT2_iSC_SC_
	.globl	_Z39paged_attention_ll4mi_QKV_mfma16_kernelIDF16_DF16_LN4vllm18Fp8KVCacheDataTypeE0EDF16_Li16ELi128ELi256ELb1ELi7EL8MFMAType0EEvPKT_PKT0_S8_ifPKiSA_SA_iPKfiiiPfSD_PS3_PT2_iSC_SC_
	.p2align	8
	.type	_Z39paged_attention_ll4mi_QKV_mfma16_kernelIDF16_DF16_LN4vllm18Fp8KVCacheDataTypeE0EDF16_Li16ELi128ELi256ELb1ELi7EL8MFMAType0EEvPKT_PKT0_S8_ifPKiSA_SA_iPKfiiiPfSD_PS3_PT2_iSC_SC_,@function
_Z39paged_attention_ll4mi_QKV_mfma16_kernelIDF16_DF16_LN4vllm18Fp8KVCacheDataTypeE0EDF16_Li16ELi128ELi256ELb1ELi7EL8MFMAType0EEvPKT_PKT0_S8_ifPKiSA_SA_iPKfiiiPfSD_PS3_PT2_iSC_SC_: ; @_Z39paged_attention_ll4mi_QKV_mfma16_kernelIDF16_DF16_LN4vllm18Fp8KVCacheDataTypeE0EDF16_Li16ELi128ELi256ELb1ELi7EL8MFMAType0EEvPKT_PKT0_S8_ifPKiSA_SA_iPKfiiiPfSD_PS3_PT2_iSC_SC_
; %bb.0:
	s_load_b64 s[4:5], s[0:1], 0x30
	s_mov_b32 s34, s13
	s_waitcnt lgkmcnt(0)
	s_cmp_lg_u64 s[4:5], 0
	s_cselect_b32 s8, -1, 0
	s_ashr_i32 s35, s13, 31
	s_cmp_eq_u64 s[4:5], 0
	s_cbranch_scc1 .LBB256_3
; %bb.1:
	s_lshl_b64 s[2:3], s[34:35], 2
	s_delay_alu instid0(SALU_CYCLE_1) | instskip(SKIP_4) | instid1(SALU_CYCLE_1)
	s_add_u32 s2, s4, s2
	s_addc_u32 s3, s5, s3
	s_load_b64 s[2:3], s[2:3], 0x0
	s_waitcnt lgkmcnt(0)
	s_sub_i32 s2, s3, s2
	s_cmp_eq_u32 s2, 1
	s_cselect_b32 s2, -1, 0
	s_delay_alu instid0(SALU_CYCLE_1)
	s_and_not1_b32 vcc_lo, exec_lo, s2
	s_cbranch_vccz .LBB256_4
.LBB256_2:
	s_nop 0
	s_sendmsg sendmsg(MSG_DEALLOC_VGPRS)
	s_endpgm
.LBB256_3:
.LBB256_4:
	s_load_b64 s[2:3], s[0:1], 0x28
	s_lshl_b64 s[6:7], s[34:35], 2
	s_waitcnt lgkmcnt(0)
	s_add_u32 s2, s2, s6
	s_addc_u32 s3, s3, s7
	s_lshl_b32 s29, s14, 8
	s_load_b32 s28, s[2:3], 0x0
	s_waitcnt lgkmcnt(0)
	s_cmp_ge_i32 s29, s28
	s_cbranch_scc1 .LBB256_2
; %bb.5:
	s_clause 0x1
	s_load_b128 s[20:23], s[0:1], 0x8
	s_load_b64 s[2:3], s[0:1], 0x20
	s_and_not1_b32 vcc_lo, exec_lo, s8
	s_cbranch_vccnz .LBB256_7
; %bb.6:
	s_add_u32 s4, s4, s6
	s_addc_u32 s5, s5, s7
	s_load_b32 s5, s[4:5], 0x0
	s_branch .LBB256_8
.LBB256_7:
	s_mov_b32 s5, s34
.LBB256_8:
	s_load_b128 s[16:19], s[0:1], 0x48
	v_and_b32_e32 v140, 15, v0
	v_lshrrev_b32_e32 v141, 5, v0
	v_bfe_u32 v138, v0, 4, 1
	v_and_b32_e32 v142, 31, v0
	v_and_b32_e32 v139, 1, v0
	v_lshlrev_b32_e32 v2, 3, v140
	s_mul_i32 s31, s15, 7
	v_lshl_or_b32 v1, v141, 1, v138
	s_mov_b32 s4, exec_lo
	s_delay_alu instid0(VALU_DEP_2) | instskip(NEXT) | instid1(VALU_DEP_2)
	v_lshlrev_b32_e32 v137, 1, v2
	v_cmpx_gt_u32_e32 7, v1
	s_cbranch_execz .LBB256_10
; %bb.9:
	s_load_b64 s[6:7], s[0:1], 0x0
	v_add_lshl_u32 v2, v1, s31, 7
	s_waitcnt lgkmcnt(0)
	s_mul_hi_i32 s9, s5, s16
	s_mul_i32 s8, s5, s16
	v_lshlrev_b32_e32 v6, 10, v140
	s_lshl_b64 s[8:9], s[8:9], 1
	v_ashrrev_i32_e32 v3, 31, v2
	v_lshlrev_b32_e32 v1, 6, v1
	v_lshlrev_b32_e32 v7, 10, v139
	v_and_b32_e32 v6, 0x3800, v6
	s_delay_alu instid0(VALU_DEP_4) | instskip(NEXT) | instid1(VALU_DEP_2)
	v_lshlrev_b64 v[2:3], 1, v[2:3]
	v_or3_b32 v1, v6, v7, v1
	s_add_u32 s5, s6, s8
	s_addc_u32 s6, s7, s9
	s_delay_alu instid0(VALU_DEP_2) | instskip(NEXT) | instid1(VALU_DEP_3)
	v_add_co_u32 v2, vcc_lo, s5, v2
	v_add_co_ci_u32_e32 v3, vcc_lo, s6, v3, vcc_lo
	s_delay_alu instid0(VALU_DEP_2) | instskip(NEXT) | instid1(VALU_DEP_2)
	v_add_co_u32 v2, vcc_lo, v2, v137
	v_add_co_ci_u32_e32 v3, vcc_lo, 0, v3, vcc_lo
	global_load_b128 v[2:5], v[2:3], off
	s_waitcnt vmcnt(0)
	ds_store_b128 v1, v[2:5]
.LBB256_10:
	s_or_b32 exec_lo, exec_lo, s4
	v_and_b32_e32 v1, 0xef, v0
	s_waitcnt lgkmcnt(0)
	s_add_i32 s5, s28, 15
	s_clause 0x1
	s_load_b32 s4, s[0:1], 0x38
	s_load_b32 s33, s[0:1], 0x98
	s_ashr_i32 s6, s5, 31
	v_add_nc_u32_e32 v1, s29, v1
	s_lshr_b32 s6, s6, 28
	s_load_b32 s30, s[0:1], 0x1c
	s_add_i32 s5, s5, s6
	s_waitcnt lgkmcnt(0)
	v_ashrrev_i32_e32 v2, 31, v1
	v_cmp_gt_i32_e32 vcc_lo, s28, v1
	s_ashr_i32 s16, s5, 4
	s_barrier
	s_add_i32 s16, s16, -1
	v_lshrrev_b32_e32 v3, 28, v2
	v_or_b32_e32 v2, 16, v1
	buffer_gl0_inv
	v_mul_lo_u16 v105, v140, 37
	v_lshlrev_b32_e32 v106, 5, v140
	v_add_nc_u32_e32 v4, v1, v3
	v_add_nc_u32_e32 v3, v2, v3
	s_mul_i32 s4, s34, s4
	v_lshrrev_b16 v105, 8, v105
	s_ashr_i32 s5, s4, 31
	v_ashrrev_i32_e32 v4, 4, v4
	v_ashrrev_i32_e32 v3, 4, v3
	s_lshl_b64 s[4:5], s[4:5], 2
	v_mul_lo_u16 v105, v105, 7
	s_add_u32 s35, s2, s4
	v_cndmask_b32_e32 v1, s16, v4, vcc_lo
	v_cmp_gt_i32_e32 vcc_lo, s28, v2
	s_addc_u32 s36, s3, s5
	s_mul_i32 s2, s15, s18
	v_sub_nc_u16 v105, v140, v105
	v_ashrrev_i32_e32 v2, 31, v1
	v_cndmask_b32_e32 v3, s16, v3, vcc_lo
	s_ashr_i32 s3, s2, 31
	v_lshl_or_b32 v125, v141, 9, v106
	s_lshl_b64 s[2:3], s[2:3], 1
	v_lshlrev_b64 v[1:2], 2, v[1:2]
	v_ashrrev_i32_e32 v4, 31, v3
	s_add_u32 s24, s20, s2
	s_addc_u32 s25, s21, s3
	s_lshl_b32 s4, s14, 4
	v_and_b32_e32 v105, 0xff, v105
	v_lshlrev_b64 v[3:4], 2, v[3:4]
	v_add_co_u32 v1, vcc_lo, s35, v1
	v_add_co_ci_u32_e32 v2, vcc_lo, s36, v2, vcc_lo
	s_ashr_i32 s5, s4, 31
	s_delay_alu instid0(VALU_DEP_3) | instskip(NEXT) | instid1(VALU_DEP_4)
	v_add_co_u32 v3, vcc_lo, s35, v3
	v_add_co_ci_u32_e32 v4, vcc_lo, s36, v4, vcc_lo
	s_lshl_b64 s[4:5], s[4:5], 2
	s_clause 0x1
	global_load_b32 v5, v[1:2], off
	global_load_b32 v6, v[3:4], off
	s_add_u32 s4, s35, s4
	s_addc_u32 s5, s36, s5
	s_or_b32 s6, s29, 16
	v_lshlrev_b32_e32 v3, 4, v0
	s_ashr_i32 s7, s6, 4
	s_cmp_lt_i32 s6, s28
	v_lshlrev_b32_e32 v215, 6, v105
	s_cselect_b32 s6, s7, s16
	s_delay_alu instid0(SALU_CYCLE_1) | instskip(NEXT) | instid1(SALU_CYCLE_1)
	s_ashr_i32 s7, s6, 31
	s_lshl_b64 s[6:7], s[6:7], 2
	s_delay_alu instid0(SALU_CYCLE_1) | instskip(SKIP_2) | instid1(SALU_CYCLE_1)
	s_add_u32 s6, s35, s6
	s_addc_u32 s7, s36, s7
	s_or_b32 s8, s29, 32
	s_ashr_i32 s9, s8, 4
	s_cmp_lt_i32 s8, s28
	s_cselect_b32 s8, s9, s16
	s_delay_alu instid0(SALU_CYCLE_1) | instskip(NEXT) | instid1(SALU_CYCLE_1)
	s_ashr_i32 s9, s8, 31
	s_lshl_b64 s[8:9], s[8:9], 2
	s_delay_alu instid0(SALU_CYCLE_1) | instskip(SKIP_2) | instid1(SALU_CYCLE_1)
	s_add_u32 s8, s35, s8
	s_addc_u32 s9, s36, s9
	s_or_b32 s10, s29, 48
	s_ashr_i32 s11, s10, 4
	s_cmp_lt_i32 s10, s28
	;; [unrolled: 10-line block ×4, first 2 shown]
	s_cselect_b32 s12, s13, s16
	s_delay_alu instid0(SALU_CYCLE_1) | instskip(NEXT) | instid1(SALU_CYCLE_1)
	s_ashr_i32 s13, s12, 31
	s_lshl_b64 s[12:13], s[12:13], 2
	s_delay_alu instid0(SALU_CYCLE_1)
	s_add_u32 s20, s35, s12
	s_addc_u32 s21, s36, s13
	s_clause 0x5
	s_load_b32 s39, s[4:5], 0x0
	s_load_b32 s38, s[6:7], 0x0
	;; [unrolled: 1-line block ×6, first 2 shown]
	s_waitcnt vmcnt(1)
	v_mad_i64_i32 v[1:2], null, v5, s17, 0
	v_and_b32_e32 v5, 0xf0, v3
	s_waitcnt vmcnt(0)
	v_mad_i64_i32 v[3:4], null, v6, s17, 0
	s_delay_alu instid0(VALU_DEP_2) | instskip(NEXT) | instid1(VALU_DEP_4)
	v_add_co_u32 v5, s4, s24, v5
	v_lshlrev_b64 v[1:2], 1, v[1:2]
	v_add_co_ci_u32_e64 v6, null, s25, 0, s4
	s_delay_alu instid0(VALU_DEP_4) | instskip(SKIP_1) | instid1(VALU_DEP_3)
	v_lshlrev_b64 v[3:4], 1, v[3:4]
	s_or_b32 s4, s29, 0x60
	v_add_co_u32 v121, vcc_lo, v5, v1
	s_delay_alu instid0(VALU_DEP_3) | instskip(NEXT) | instid1(VALU_DEP_3)
	v_add_co_ci_u32_e32 v122, vcc_lo, v6, v2, vcc_lo
	v_add_co_u32 v123, vcc_lo, v5, v3
	s_delay_alu instid0(VALU_DEP_4)
	v_add_co_ci_u32_e32 v124, vcc_lo, v6, v4, vcc_lo
	s_clause 0x19
	global_load_b128 v[89:92], v[121:122], off
	global_load_b128 v[93:96], v[121:122], off offset:256
	global_load_b128 v[97:100], v[123:124], off
	global_load_b128 v[101:104], v[123:124], off offset:256
	global_load_b128 v[81:84], v[121:122], off offset:512
	;; [unrolled: 1-line block ×23, first 2 shown]
	s_ashr_i32 s5, s4, 4
	s_cmp_lt_i32 s4, s28
	ds_load_b128 v[105:108], v215
	ds_load_b128 v[109:112], v215 offset:1024
	s_cselect_b32 s4, s5, s16
	ds_load_b128 v[113:116], v215 offset:2048
	ds_load_b128 v[117:120], v215 offset:3072
	s_ashr_i32 s5, s4, 31
	ds_load_b128 v[143:146], v215 offset:4096
	ds_load_b128 v[147:150], v215 offset:5120
	s_lshl_b64 s[6:7], s[4:5], 2
	ds_load_b128 v[151:154], v215 offset:6144
	ds_load_b128 v[155:158], v215 offset:7168
	s_add_u32 s18, s35, s6
	s_addc_u32 s19, s36, s7
	s_or_b32 s5, s29, 0x70
	ds_load_b128 v[159:162], v215 offset:8192
	ds_load_b128 v[163:166], v215 offset:9216
	s_ashr_i32 s6, s5, 4
	s_cmp_lt_i32 s5, s28
	s_clause 0x1
	global_load_b128 v[167:170], v[123:124], off offset:3072
	global_load_b128 v[171:174], v[123:124], off offset:3328
	s_cselect_b32 s8, s6, s16
	s_mov_b32 s4, 0
	s_ashr_i32 s9, s8, 31
	s_mov_b32 s5, s4
	s_lshl_b64 s[8:9], s[8:9], 2
	s_mov_b32 s6, s4
	s_add_u32 s20, s35, s8
	s_addc_u32 s21, s36, s9
	s_clause 0x1
	s_load_b32 s41, s[18:19], 0x0
	s_load_b32 s46, s[20:21], 0x0
	s_clause 0x3
	global_load_b128 v[175:178], v[121:122], off offset:3584
	global_load_b128 v[179:182], v[121:122], off offset:3840
	;; [unrolled: 1-line block ×4, first 2 shown]
	s_or_b32 s8, s29, 0x80
	s_mov_b32 s7, s4
	s_ashr_i32 s9, s8, 4
	s_cmp_lt_i32 s8, s28
	s_mov_b32 s8, s4
	s_cselect_b32 s10, s9, s16
	s_mov_b32 s9, s4
	s_ashr_i32 s11, s10, 31
	s_delay_alu instid0(SALU_CYCLE_1)
	s_lshl_b64 s[24:25], s[10:11], 2
	s_mov_b32 s10, s4
	s_add_u32 s24, s35, s24
	s_addc_u32 s25, s36, s25
	s_or_b32 s11, s29, 0x90
	s_load_b32 s47, s[24:25], 0x0
	s_ashr_i32 s26, s11, 4
	s_cmp_lt_i32 s11, s28
	s_mov_b32 s11, s4
	s_cselect_b32 s26, s26, s16
	v_mov_b32_e32 v136, s11
	s_ashr_i32 s27, s26, 31
	v_dual_mov_b32 v135, s10 :: v_dual_mov_b32 v134, s9
	v_dual_mov_b32 v133, s8 :: v_dual_mov_b32 v132, s7
	;; [unrolled: 1-line block ×3, first 2 shown]
	v_mov_b32_e32 v129, s4
	s_lshl_b64 s[4:5], s[26:27], 2
	s_waitcnt lgkmcnt(0)
	s_mul_hi_i32 s7, s38, s17
	s_add_u32 s26, s35, s4
	s_addc_u32 s27, s36, s5
	s_or_b32 s4, s29, 0xa0
	s_load_b32 s40, s[26:27], 0x0
	s_ashr_i32 s5, s4, 4
	s_cmp_lt_i32 s4, s28
	s_cselect_b32 s4, s5, s16
	s_delay_alu instid0(SALU_CYCLE_1) | instskip(NEXT) | instid1(SALU_CYCLE_1)
	s_ashr_i32 s5, s4, 31
	s_lshl_b64 s[4:5], s[4:5], 2
	s_delay_alu instid0(SALU_CYCLE_1)
	s_add_u32 s42, s35, s4
	s_addc_u32 s43, s36, s5
	s_or_b32 s4, s29, 0xb0
	s_mul_hi_i32 s5, s39, s17
	s_ashr_i32 s6, s4, 4
	s_cmp_lt_i32 s4, s28
	s_mul_i32 s4, s39, s17
	s_cselect_b32 s8, s6, s16
	s_mul_i32 s6, s38, s17
	s_ashr_i32 s9, s8, 31
	s_delay_alu instid0(SALU_CYCLE_1)
	s_lshl_b64 s[10:11], s[8:9], 2
	s_mul_hi_i32 s9, s37, s17
	s_add_u32 s44, s35, s10
	s_addc_u32 s45, s36, s11
	s_or_b32 s10, s29, 0xc0
	s_mul_i32 s8, s37, s17
	s_ashr_i32 s37, s10, 4
	s_cmp_lt_i32 s10, s28
	s_mul_hi_i32 s11, s13, s17
	s_cselect_b32 s38, s37, s16
	s_mul_i32 s10, s13, s17
	s_ashr_i32 s39, s38, 31
	s_mul_hi_i32 s13, s12, s17
	s_lshl_b64 s[38:39], s[38:39], 2
	s_mul_i32 s12, s12, s17
	s_add_u32 s20, s35, s38
	s_addc_u32 s21, s36, s39
	s_load_b32 s39, s[42:43], 0x0
	s_or_b32 s18, s29, 0xd0
	s_mul_hi_i32 s27, s47, s17
	s_ashr_i32 s19, s18, 4
	s_cmp_lt_i32 s18, s28
	s_mul_i32 s18, s15, s17
	s_cselect_b32 s24, s19, s16
	s_mul_hi_i32 s19, s15, s17
	s_ashr_i32 s25, s24, 31
	s_mul_i32 s26, s47, s17
	s_lshl_b64 s[24:25], s[24:25], 2
	s_delay_alu instid0(SALU_CYCLE_1)
	s_add_u32 s24, s35, s24
	s_addc_u32 s25, s36, s25
	s_or_b32 s42, s29, 0xe0
	s_clause 0x2
	s_load_b32 s38, s[44:45], 0x0
	s_load_b32 s37, s[20:21], 0x0
	;; [unrolled: 1-line block ×3, first 2 shown]
	s_ashr_i32 s43, s42, 4
	s_cmp_lt_i32 s42, s28
	s_mul_hi_i32 s25, s46, s17
	s_cselect_b32 s42, s43, s16
	s_mul_i32 s24, s46, s17
	s_ashr_i32 s43, s42, 31
	s_mul_hi_i32 s21, s41, s17
	s_lshl_b64 s[42:43], s[42:43], 2
	s_mul_i32 s20, s41, s17
	s_add_u32 s42, s35, s42
	s_addc_u32 s43, s36, s43
	s_or_b32 s46, s29, 0xf0
	s_waitcnt lgkmcnt(0)
	s_mul_hi_i32 s41, s40, s17
	s_ashr_i32 s47, s46, 4
	s_cmp_lt_i32 s46, s28
	s_mul_i32 s40, s40, s17
	s_cselect_b32 s46, s47, s16
	s_mul_hi_i32 s45, s39, s17
	s_ashr_i32 s47, s46, 31
	s_mul_hi_i32 s51, s15, s17
	s_lshl_b64 s[46:47], s[46:47], 2
	s_mul_i32 s50, s15, s17
	s_add_u32 s46, s35, s46
	s_addc_u32 s47, s36, s47
	s_add_u32 s15, s22, s2
	s_addc_u32 s16, s23, s3
	v_add_co_u32 v216, s15, s15, v125
	s_delay_alu instid0(VALU_DEP_1) | instskip(SKIP_2) | instid1(VALU_DEP_2)
	v_add_co_ci_u32_e64 v217, null, s16, 0, s15
	s_lshl_b64 s[2:3], s[4:5], 1
	s_lshl_b64 s[4:5], s[6:7], 1
	v_add_co_u32 v125, vcc_lo, v216, s2
	s_delay_alu instid0(VALU_DEP_2)
	v_add_co_ci_u32_e32 v126, vcc_lo, s3, v217, vcc_lo
	v_add_co_u32 v199, vcc_lo, v216, s4
	s_lshl_b64 s[6:7], s[8:9], 1
	v_add_co_ci_u32_e32 v200, vcc_lo, s5, v217, vcc_lo
	s_lshl_b64 s[8:9], s[10:11], 1
	s_lshl_b64 s[10:11], s[12:13], 1
	;; [unrolled: 1-line block ×7, first 2 shown]
	s_mul_i32 s44, s39, s17
	s_mul_hi_i32 s39, s38, s17
	s_lshl_b64 s[26:27], s[44:45], 1
	s_mul_i32 s38, s38, s17
	s_mul_hi_i32 s49, s37, s17
	s_mul_i32 s48, s37, s17
	s_lshl_b64 s[36:37], s[38:39], 1
	s_lshl_b64 s[38:39], s[48:49], 1
	s_clause 0x1
	s_load_b32 s15, s[42:43], 0x0
	s_load_b32 s16, s[46:47], 0x0
	s_lshl_b64 s[40:41], s[50:51], 1
	s_waitcnt lgkmcnt(0)
	s_mul_hi_i32 s3, s15, s17
	s_mul_i32 s2, s15, s17
	s_mul_hi_i32 s5, s16, s17
	s_lshl_b64 s[2:3], s[2:3], 1
	s_mul_i32 s4, s16, s17
	s_waitcnt vmcnt(30)
	v_wmma_f32_16x16x16_f16 v[191:198], v[89:96], v[105:112], v[129:136]
	v_add_co_u32 v89, vcc_lo, v216, s6
	v_add_co_ci_u32_e32 v90, vcc_lo, s7, v217, vcc_lo
	v_add_co_u32 v91, vcc_lo, v216, s8
	v_add_co_ci_u32_e32 v92, vcc_lo, s9, v217, vcc_lo
	;; [unrolled: 2-line block ×5, first 2 shown]
	v_add_co_u32 v205, vcc_lo, v216, s20
	s_waitcnt vmcnt(28)
	v_wmma_f32_16x16x16_f16 v[129:136], v[97:104], v[105:112], v[129:136]
	v_add_co_ci_u32_e32 v206, vcc_lo, s21, v217, vcc_lo
	v_add_co_u32 v207, vcc_lo, v216, s22
	v_add_co_ci_u32_e32 v208, vcc_lo, s23, v217, vcc_lo
	v_add_co_u32 v209, vcc_lo, v216, s24
	s_waitcnt vmcnt(26)
	v_wmma_f32_16x16x16_f16 v[191:198], v[81:88], v[113:120], v[191:198]
	s_waitcnt vmcnt(24)
	v_wmma_f32_16x16x16_f16 v[129:136], v[73:80], v[113:120], v[129:136]
	v_add_co_ci_u32_e32 v210, vcc_lo, s25, v217, vcc_lo
	v_add_co_u32 v211, vcc_lo, v216, s26
	v_add_co_ci_u32_e32 v212, vcc_lo, s27, v217, vcc_lo
	v_add_co_u32 v213, vcc_lo, v216, s36
	s_waitcnt vmcnt(22)
	v_wmma_f32_16x16x16_f16 v[191:198], v[65:72], v[143:150], v[191:198]
	s_waitcnt vmcnt(20)
	v_wmma_f32_16x16x16_f16 v[129:136], v[57:64], v[143:150], v[129:136]
	v_add_co_ci_u32_e32 v214, vcc_lo, s37, v217, vcc_lo
	v_add_co_u32 v143, vcc_lo, v216, s38
	s_waitcnt vmcnt(18)
	v_wmma_f32_16x16x16_f16 v[191:198], v[49:56], v[151:158], v[191:198]
	s_waitcnt vmcnt(16)
	v_wmma_f32_16x16x16_f16 v[129:136], v[25:32], v[151:158], v[129:136]
	v_add_co_ci_u32_e32 v144, vcc_lo, s39, v217, vcc_lo
	s_clause 0x15
	global_load_b128 v[121:124], v[125:126], off
	global_load_b128 v[125:128], v[125:126], off offset:16
	global_load_b128 v[113:116], v[199:200], off
	global_load_b128 v[117:120], v[199:200], off offset:16
	;; [unrolled: 2-line block ×11, first 2 shown]
	s_waitcnt vmcnt(36)
	v_wmma_f32_16x16x16_f16 v[191:198], v[1:8], v[159:166], v[191:198]
	s_clause 0x1
	global_load_b128 v[1:4], v[213:214], off
	global_load_b128 v[5:8], v[213:214], off offset:16
	s_waitcnt vmcnt(36)
	v_wmma_f32_16x16x16_f16 v[129:136], v[9:16], v[159:166], v[129:136]
	s_clause 0x1
	global_load_b128 v[9:12], v[143:144], off
	global_load_b128 v[13:16], v[143:144], off offset:16
	ds_load_b128 v[143:146], v215 offset:10240
	ds_load_b128 v[147:150], v215 offset:11264
	;; [unrolled: 1-line block ×4, first 2 shown]
	v_add_co_u32 v199, vcc_lo, v216, s40
	v_add_co_ci_u32_e32 v200, vcc_lo, s41, v217, vcc_lo
	v_add_co_u32 v159, vcc_lo, v216, s2
	v_add_co_ci_u32_e32 v160, vcc_lo, s3, v217, vcc_lo
	s_lshl_b64 s[2:3], s[4:5], 1
	s_delay_alu instid0(SALU_CYCLE_1)
	v_add_co_u32 v161, vcc_lo, v216, s2
	v_add_co_ci_u32_e32 v162, vcc_lo, s3, v217, vcc_lo
	s_waitcnt vmcnt(36) lgkmcnt(2)
	v_wmma_f32_16x16x16_f16 v[191:198], v[41:48], v[143:150], v[191:198]
	s_waitcnt vmcnt(34)
	v_wmma_f32_16x16x16_f16 v[129:136], v[33:40], v[143:150], v[129:136]
	s_clause 0x3
	global_load_b128 v[33:36], v[199:200], off
	global_load_b128 v[37:40], v[199:200], off offset:16
	global_load_b128 v[41:44], v[159:160], off
	global_load_b128 v[45:48], v[159:160], off offset:16
	v_and_b32_e32 v143, 0xe0, v0
	v_mbcnt_lo_u32_b32 v159, -1, 0
	s_waitcnt vmcnt(36) lgkmcnt(0)
	v_wmma_f32_16x16x16_f16 v[191:198], v[17:24], v[151:158], v[191:198]
	s_clause 0x1
	global_load_b128 v[17:20], v[161:162], off
	global_load_b128 v[21:24], v[161:162], off offset:16
	s_waitcnt vmcnt(36)
	v_wmma_f32_16x16x16_f16 v[129:136], v[167:174], v[151:158], v[129:136]
	v_add_nc_u32_e32 v160, s29, v143
	ds_load_b128 v[143:146], v215 offset:14336
	ds_load_b128 v[147:150], v215 offset:15360
	v_xor_b32_e32 v151, 16, v159
	s_waitcnt vmcnt(0) lgkmcnt(0)
	s_barrier
	v_or_b32_e32 v152, v160, v138
	buffer_gl0_inv
	v_cmp_gt_i32_e32 vcc_lo, 32, v151
	v_or_b32_e32 v153, 2, v152
	v_or_b32_e32 v154, 4, v152
	;; [unrolled: 1-line block ×5, first 2 shown]
	v_cmp_gt_i32_e64 s2, s28, v153
	v_cmp_gt_i32_e64 s3, s28, v154
	;; [unrolled: 1-line block ×3, first 2 shown]
	v_or_b32_e32 v158, 12, v152
	v_cmp_gt_i32_e64 s5, s28, v156
	v_cmp_gt_i32_e64 s6, s28, v157
	v_wmma_f32_16x16x16_f16 v[191:198], v[175:182], v[143:150], v[191:198]
	v_wmma_f32_16x16x16_f16 v[129:136], v[183:190], v[143:150], v[129:136]
	v_cndmask_b32_e32 v151, v159, v151, vcc_lo
	v_cmp_gt_i32_e32 vcc_lo, s28, v152
	v_or_b32_e32 v159, 14, v152
	v_dual_mul_f32 v149, s30, v192 :: v_dual_mul_f32 v150, s30, v191
	v_dual_mul_f32 v147, s30, v194 :: v_dual_mul_f32 v148, s30, v193
	;; [unrolled: 1-line block ×3, first 2 shown]
	s_delay_alu instid0(VALU_DEP_3) | instskip(NEXT) | instid1(VALU_DEP_4)
	v_cndmask_b32_e32 v150, 0xff7fffff, v150, vcc_lo
	v_cndmask_b32_e64 v149, 0xff7fffff, v149, s2
	v_mul_f32_e32 v146, s30, v195
	v_cndmask_b32_e64 v148, 0xff7fffff, v148, s3
	v_cndmask_b32_e64 v147, 0xff7fffff, v147, s4
	v_or_b32_e32 v160, 16, v152
	v_max3_f32 v149, v150, 0xff7fffff, v149
	v_or_b32_e32 v161, 18, v152
	v_dual_mul_f32 v143, s30, v198 :: v_dual_mul_f32 v144, s30, v197
	v_cndmask_b32_e64 v146, 0xff7fffff, v146, s5
	v_cndmask_b32_e64 v145, 0xff7fffff, v145, s6
	v_max3_f32 v147, v149, v148, v147
	v_cmp_gt_i32_e64 s7, s28, v158
	v_cmp_gt_i32_e64 s8, s28, v159
	v_or_b32_e32 v162, 20, v152
	v_or_b32_e32 v163, 22, v152
	v_mul_f32_e32 v175, s30, v129
	v_cndmask_b32_e64 v144, 0xff7fffff, v144, s7
	v_cndmask_b32_e64 v143, 0xff7fffff, v143, s8
	v_max3_f32 v145, v147, v146, v145
	v_cmp_gt_i32_e64 s9, s28, v160
	v_cmp_gt_i32_e64 s10, s28, v161
	v_or_b32_e32 v164, 24, v152
	v_or_b32_e32 v165, 26, v152
	v_dual_mul_f32 v172, s30, v132 :: v_dual_mul_f32 v173, s30, v131
	v_cndmask_b32_e64 v146, 0xff7fffff, v175, s9
	v_cndmask_b32_e64 v147, 0xff7fffff, v174, s10
	v_max3_f32 v143, v145, v144, v143
	v_cmp_gt_i32_e64 s11, s28, v162
	v_cmp_gt_i32_e64 s12, s28, v163
	v_or_b32_e32 v166, 28, v152
	v_or_b32_e32 v167, 30, v152
	v_dual_mul_f32 v170, s30, v134 :: v_dual_mul_f32 v171, s30, v133
	v_cndmask_b32_e64 v144, 0xff7fffff, v173, s11
	v_cndmask_b32_e64 v145, 0xff7fffff, v172, s12
	v_max3_f32 v143, v143, v146, v147
	v_cmp_gt_i32_e64 s13, s28, v164
	v_cmp_gt_i32_e64 s15, s28, v165
	v_dual_mul_f32 v168, s30, v136 :: v_dual_mul_f32 v169, s30, v135
	s_delay_alu instid0(VALU_DEP_4) | instskip(NEXT) | instid1(VALU_DEP_4)
	v_max3_f32 v143, v143, v144, v145
	v_cndmask_b32_e64 v146, 0xff7fffff, v171, s13
	s_delay_alu instid0(VALU_DEP_4) | instskip(SKIP_3) | instid1(VALU_DEP_4)
	v_cndmask_b32_e64 v147, 0xff7fffff, v170, s15
	v_cmp_gt_i32_e64 s16, s28, v166
	v_cmp_gt_i32_e64 s17, s28, v167
	v_lshlrev_b32_e32 v160, 2, v151
	v_max3_f32 v143, v143, v146, v147
	s_delay_alu instid0(VALU_DEP_4) | instskip(NEXT) | instid1(VALU_DEP_4)
	v_cndmask_b32_e64 v144, 0xff7fffff, v169, s16
	v_cndmask_b32_e64 v145, 0xff7fffff, v168, s17
	s_delay_alu instid0(VALU_DEP_1) | instskip(SKIP_3) | instid1(VALU_DEP_1)
	v_max3_f32 v143, v143, v144, v145
	ds_bpermute_b32 v144, v160, v143
	s_waitcnt lgkmcnt(0)
	v_max_f32_e32 v144, v144, v144
	v_max_f32_e32 v159, v143, v144
	s_delay_alu instid0(VALU_DEP_1) | instskip(SKIP_4) | instid1(VALU_DEP_4)
	v_fma_f32 v145, s30, v193, -v159
	v_fma_f32 v146, s30, v194, -v159
	;; [unrolled: 1-line block ×5, first 2 shown]
	v_dual_mul_f32 v145, 0x3fb8aa3b, v145 :: v_dual_mul_f32 v146, 0x3fb8aa3b, v146
	s_delay_alu instid0(VALU_DEP_4) | instskip(SKIP_1) | instid1(VALU_DEP_4)
	v_mul_f32_e32 v132, 0x3fb8aa3b, v132
	v_fma_f32 v148, s30, v195, -v159
	v_mul_f32_e32 v144, 0x3fb8aa3b, v144
	s_delay_alu instid0(VALU_DEP_4)
	v_exp_f32_e32 v145, v145
	v_exp_f32_e32 v150, v146
	v_fma_f32 v149, s30, v196, -v159
	v_mul_f32_e32 v148, 0x3fb8aa3b, v148
	v_exp_f32_e32 v147, v144
	v_fma_f32 v134, s30, v134, -v159
	v_fma_f32 v151, s30, v197, -v159
	v_mul_f32_e32 v149, 0x3fb8aa3b, v149
	v_exp_f32_e32 v148, v148
	v_fma_f32 v152, s30, v198, -v159
	v_cndmask_b32_e64 v146, 0, v145, s3
	v_cndmask_b32_e64 v145, 0, v150, s4
	v_dual_mul_f32 v143, 0x3fb8aa3b, v143 :: v_dual_mul_f32 v134, 0x3fb8aa3b, v134
	v_mul_f32_e32 v151, 0x3fb8aa3b, v151
	v_exp_f32_e32 v149, v149
	v_fma_f32 v129, s30, v129, -v159
	s_delay_alu instid0(VALU_DEP_3)
	v_exp_f32_e32 v143, v143
	v_mul_f32_e32 v150, 0x3fb8aa3b, v152
	v_exp_f32_e32 v151, v151
	v_cndmask_b32_e64 v148, 0, v148, s5
	v_fma_f32 v130, s30, v130, -v159
	v_mul_f32_e32 v129, 0x3fb8aa3b, v129
	v_exp_f32_e32 v153, v150
	v_fma_f32 v131, s30, v131, -v159
	v_fma_f32 v133, s30, v133, -v159
	v_mul_f32_e32 v130, 0x3fb8aa3b, v130
	v_cndmask_b32_e32 v144, 0, v143, vcc_lo
	v_cndmask_b32_e64 v143, 0, v147, s2
	v_exp_f32_e32 v129, v129
	v_cndmask_b32_e64 v150, 0, v151, s7
	v_mul_f32_e32 v131, 0x3fb8aa3b, v131
	v_add_f32_e32 v147, 0, v144
	v_exp_f32_e32 v130, v130
	v_mul_f32_e32 v133, 0x3fb8aa3b, v133
	v_exp_f32_e32 v132, v132
	v_exp_f32_e32 v131, v131
	v_add_f32_e32 v147, v147, v143
	v_cmp_gt_u32_e64 s2, 16, v142
	v_exp_f32_e32 v133, v133
	s_delay_alu instid0(VALU_DEP_2)
	v_add_f32_e32 v147, v147, v146
	s_waitcnt_depctr 0xfff
	v_cndmask_b32_e64 v154, 0, v131, s11
	v_add_f32_e32 v152, v147, v145
	v_cndmask_b32_e64 v147, 0, v149, s6
	v_exp_f32_e32 v131, v134
	v_cndmask_b32_e64 v156, 0, v133, s13
	s_delay_alu instid0(VALU_DEP_3) | instskip(SKIP_1) | instid1(VALU_DEP_2)
	v_add_f32_e32 v149, v152, v148
	v_cndmask_b32_e64 v152, 0, v129, s9
	v_add_f32_e32 v151, v149, v147
	v_cndmask_b32_e64 v149, 0, v153, s8
	v_cndmask_b32_e64 v153, 0, v132, s12
	v_fma_f32 v132, s30, v136, -v159
	s_delay_alu instid0(TRANS32_DEP_1) | instskip(NEXT) | instid1(VALU_DEP_2)
	v_cndmask_b32_e64 v155, 0, v131, s15
	v_dual_add_f32 v151, v151, v150 :: v_dual_mul_f32 v132, 0x3fb8aa3b, v132
	s_delay_alu instid0(VALU_DEP_1) | instskip(SKIP_2) | instid1(VALU_DEP_4)
	v_add_f32_e32 v129, v151, v149
	v_cndmask_b32_e64 v151, 0, v130, s10
	v_fma_f32 v130, s30, v135, -v159
	v_exp_f32_e32 v131, v132
	s_delay_alu instid0(VALU_DEP_1) | instskip(NEXT) | instid1(VALU_DEP_1)
	v_dual_add_f32 v129, v129, v152 :: v_dual_mul_f32 v130, 0x3fb8aa3b, v130
	v_add_f32_e32 v129, v129, v151
	s_delay_alu instid0(VALU_DEP_2) | instskip(SKIP_3) | instid1(VALU_DEP_1)
	v_exp_f32_e32 v130, v130
	s_waitcnt_depctr 0xfff
	v_cndmask_b32_e64 v157, 0, v131, s17
	v_add_f32_e32 v129, v129, v154
	v_add_f32_e32 v129, v129, v153
	v_cndmask_b32_e64 v158, 0, v130, s16
	s_delay_alu instid0(VALU_DEP_2) | instskip(NEXT) | instid1(VALU_DEP_1)
	v_add_f32_e32 v129, v129, v156
	v_add_f32_e32 v129, v129, v155
	s_delay_alu instid0(VALU_DEP_1) | instskip(NEXT) | instid1(VALU_DEP_1)
	v_add_f32_e32 v129, v129, v158
	v_add_f32_e32 v129, v129, v157
	ds_bpermute_b32 v130, v160, v129
	s_and_saveexec_b32 s3, s2
	s_cbranch_execz .LBB256_12
; %bb.11:
	v_mul_u32_u24_e32 v131, 0x44, v141
	s_delay_alu instid0(VALU_DEP_1) | instskip(SKIP_1) | instid1(VALU_DEP_1)
	v_lshl_add_u32 v131, v140, 2, v131
	s_waitcnt lgkmcnt(0)
	v_dual_add_f32 v129, v129, v130 :: v_dual_add_nc_u32 v130, 0x4000, v131
	ds_store_2addr_b32 v130, v159, v129 offset1:136
.LBB256_12:
	s_or_b32 exec_lo, exec_lo, s3
	v_lshlrev_b32_e32 v129, 2, v140
	s_load_b32 s35, s[0:1], 0x94
	s_waitcnt lgkmcnt(0)
	s_barrier
	buffer_gl0_inv
	v_add_nc_u32_e32 v135, 0x4000, v129
	v_cmp_eq_u32_e32 vcc_lo, 1, v141
	v_cmp_eq_u32_e64 s3, 2, v141
	v_cmp_eq_u32_e64 s4, 3, v141
	;; [unrolled: 1-line block ×3, first 2 shown]
	ds_load_2addr_b32 v[129:130], v135 offset1:17
	ds_load_2addr_b32 v[131:132], v135 offset0:34 offset1:51
	ds_load_2addr_b32 v[133:134], v135 offset0:68 offset1:85
	;; [unrolled: 1-line block ×3, first 2 shown]
	v_cmp_eq_u32_e64 s6, 5, v141
	v_cmp_eq_u32_e64 s7, 7, v141
	s_waitcnt lgkmcnt(3)
	v_max3_f32 v136, v129, 0xff7fffff, v130
	s_waitcnt lgkmcnt(2)
	s_delay_alu instid0(VALU_DEP_1) | instskip(SKIP_1) | instid1(VALU_DEP_1)
	v_max3_f32 v136, v136, v131, v132
	s_waitcnt lgkmcnt(1)
	v_max3_f32 v136, v136, v133, v134
	s_waitcnt lgkmcnt(0)
	s_delay_alu instid0(VALU_DEP_1) | instskip(NEXT) | instid1(VALU_DEP_1)
	v_max3_f32 v136, v136, v159, v160
	v_sub_f32_e32 v142, v130, v136
	ds_load_2addr_b32 v[161:162], v135 offset0:136 offset1:153
	v_sub_f32_e32 v164, v132, v136
	v_mul_f32_e32 v142, 0x3fb8aa3b, v142
	s_delay_alu instid0(VALU_DEP_2) | instskip(NEXT) | instid1(VALU_DEP_2)
	v_mul_f32_e32 v164, 0x3fb8aa3b, v164
	v_exp_f32_e32 v166, v142
	v_sub_f32_e32 v129, v129, v136
	s_delay_alu instid0(VALU_DEP_2) | instskip(NEXT) | instid1(VALU_DEP_1)
	v_exp_f32_e32 v164, v164
	v_mul_f32_e32 v163, 0x3fb8aa3b, v129
	ds_load_2addr_b32 v[129:130], v135 offset0:170 offset1:187
	v_exp_f32_e32 v163, v163
	s_waitcnt lgkmcnt(1)
	s_waitcnt_depctr 0xfff
	v_fma_f32 v142, v163, v161, 0
	v_sub_f32_e32 v161, v134, v136
	s_delay_alu instid0(VALU_DEP_2) | instskip(NEXT) | instid1(VALU_DEP_1)
	v_dual_fmac_f32 v142, v166, v162 :: v_dual_sub_f32 v131, v131, v136
	v_mul_f32_e32 v165, 0x3fb8aa3b, v131
	ds_load_2addr_b32 v[131:132], v135 offset0:204 offset1:221
	v_exp_f32_e32 v165, v165
	s_waitcnt lgkmcnt(1)
	s_waitcnt_depctr 0xfff
	v_fmac_f32_e32 v142, v165, v129
	v_sub_f32_e32 v133, v133, v136
	v_sub_f32_e32 v129, v160, v136
	s_delay_alu instid0(VALU_DEP_2) | instskip(NEXT) | instid1(VALU_DEP_2)
	v_dual_fmac_f32 v142, v164, v130 :: v_dual_mul_f32 v167, 0x3fb8aa3b, v133
	v_mul_f32_e32 v129, 0x3fb8aa3b, v129
	ds_load_2addr_b32 v[133:134], v135 offset0:238 offset1:255
	v_cndmask_b32_e32 v130, v163, v166, vcc_lo
	s_waitcnt lgkmcnt(0)
	s_barrier
	v_exp_f32_e32 v162, v129
	v_sub_f32_e32 v135, v159, v136
	v_mul_f32_e32 v159, 0x3fb8aa3b, v161
	v_exp_f32_e32 v161, v167
	buffer_gl0_inv
	v_exp_f32_e32 v159, v159
	v_fmac_f32_e32 v142, v161, v131
	s_waitcnt_depctr 0xfff
	v_dual_mul_f32 v135, 0x3fb8aa3b, v135 :: v_dual_fmac_f32 v142, v159, v132
	s_delay_alu instid0(VALU_DEP_1) | instskip(SKIP_2) | instid1(VALU_DEP_1)
	v_exp_f32_e32 v160, v135
	s_waitcnt_depctr 0xfff
	v_dual_fmac_f32 v142, v160, v133 :: v_dual_lshlrev_b32 v133, 6, v140
	v_fmac_f32_e32 v142, v162, v134
	s_delay_alu instid0(VALU_DEP_2) | instskip(NEXT) | instid1(VALU_DEP_2)
	v_lshl_or_b32 v135, v141, 11, v133
	v_add_f32_e32 v134, 0x358637bd, v142
	s_delay_alu instid0(VALU_DEP_1) | instskip(SKIP_1) | instid1(VALU_DEP_2)
	v_div_scale_f32 v167, null, v134, v134, 1.0
	v_div_scale_f32 v163, vcc_lo, 1.0, v134, 1.0
	v_rcp_f32_e32 v168, v167
	s_waitcnt_depctr 0xfff
	v_fma_f32 v129, -v167, v168, 1.0
	s_delay_alu instid0(VALU_DEP_1) | instskip(SKIP_2) | instid1(VALU_DEP_2)
	v_fmac_f32_e32 v168, v129, v168
	v_cndmask_b32_e64 v129, v130, v165, s3
	v_cmp_eq_u32_e64 s3, 6, v141
	v_cndmask_b32_e64 v130, v129, v164, s4
	v_lshlrev_b32_e32 v129, 2, v138
	v_mul_f32_e32 v165, v163, v168
	s_delay_alu instid0(VALU_DEP_3) | instskip(NEXT) | instid1(VALU_DEP_3)
	v_cndmask_b32_e64 v161, v130, v161, s5
	v_or_b32_e32 v130, 1, v129
	s_delay_alu instid0(VALU_DEP_3)
	v_fma_f32 v131, -v167, v165, v163
	v_or_b32_e32 v132, 2, v129
	v_cmp_eq_u32_e64 s4, 1, v129
	v_cndmask_b32_e64 v141, v161, v159, s6
	v_cmp_eq_u32_e64 s9, 1, v130
	v_fmac_f32_e32 v165, v131, v168
	v_or_b32_e32 v131, 3, v129
	v_cmp_eq_u32_e64 s10, 1, v132
	v_cndmask_b32_e64 v141, v141, v160, s3
	v_cmp_eq_u32_e64 s5, 2, v129
	v_fma_f32 v159, -v167, v165, v163
	v_cmp_eq_u32_e64 s11, 1, v131
	v_cmp_eq_u32_e64 s16, 2, v131
	v_cndmask_b32_e64 v141, v141, v162, s7
	v_cmp_eq_u32_e64 s12, 2, v130
	v_div_fmas_f32 v159, v159, v168, v165
	v_cmp_eq_u32_e64 s18, 3, v131
	v_cmp_eq_u32_e32 vcc_lo, 3, v129
	v_cmp_eq_u32_e64 s13, 3, v130
	v_cmp_eq_u32_e64 s15, 2, v132
	v_div_fixup_f32 v159, v159, v134, 1.0
	v_lshl_or_b32 v134, v138, 4, v135
	v_cmp_eq_u32_e64 s22, 4, v131
	v_cmp_eq_u32_e64 s3, 4, v129
	;; [unrolled: 1-line block ×3, first 2 shown]
	v_mul_f32_e32 v141, v141, v159
	v_cmp_eq_u32_e64 s19, 4, v130
	v_cmp_eq_u32_e64 s24, 5, v131
	;; [unrolled: 1-line block ×4, first 2 shown]
	v_fma_mixlo_f16 v159, v141, v144, 0
	v_fma_mixlo_f16 v160, v141, v146, 0
	v_fma_mixlo_f16 v161, v141, v148, 0
	v_fma_mixlo_f16 v162, v141, v150, 0
	v_fma_mixlo_f16 v163, v141, v152, 0
	v_fma_mixlo_f16 v164, v141, v154, 0
	v_fma_mixlo_f16 v165, v141, v156, 0
	v_fma_mixlo_f16 v166, v141, v158, 0
	v_fma_mixhi_f16 v159, v141, v143, 0
	v_fma_mixhi_f16 v160, v141, v145, 0
	;; [unrolled: 1-line block ×8, first 2 shown]
	ds_store_b128 v134, v[159:162]
	ds_store_b128 v134, v[163:166] offset:1024
	s_waitcnt lgkmcnt(0)
	s_barrier
	buffer_gl0_inv
	ds_load_b128 v[143:146], v135
	ds_load_b128 v[147:150], v135 offset:16
	ds_load_b128 v[151:154], v135 offset:1024
	ds_load_b128 v[155:158], v135 offset:1040
	v_cmp_eq_u32_e64 s21, 4, v132
	v_cmp_eq_u32_e64 s27, 6, v131
	;; [unrolled: 1-line block ×10, first 2 shown]
	s_waitcnt lgkmcnt(3)
	v_lshrrev_b32_e32 v141, 16, v143
	s_waitcnt lgkmcnt(2)
	v_lshrrev_b32_e32 v162, 16, v147
	v_lshrrev_b32_e32 v159, 16, v144
	;; [unrolled: 1-line block ×3, first 2 shown]
	s_waitcnt lgkmcnt(1)
	v_lshrrev_b32_e32 v166, 16, v151
	v_cndmask_b32_e64 v174, v143, v141, s4
	v_cndmask_b32_e64 v176, v143, v141, s9
	;; [unrolled: 1-line block ×5, first 2 shown]
	s_waitcnt lgkmcnt(0)
	v_lshrrev_b32_e32 v170, 16, v155
	v_cndmask_b32_e64 v175, v147, v162, s4
	v_cndmask_b32_e64 v177, v147, v162, s9
	;; [unrolled: 1-line block ×19, first 2 shown]
	v_lshrrev_b32_e32 v160, 16, v145
	v_lshrrev_b32_e32 v164, 16, v149
	v_lshrrev_b32_e32 v167, 16, v152
	v_lshrrev_b32_e32 v171, 16, v156
	v_cndmask_b32_e64 v176, v178, v144, s15
	v_cndmask_b32_e64 v177, v179, v148, s15
	;; [unrolled: 1-line block ×8, first 2 shown]
	v_cndmask_b32_e32 v155, v166, v159, vcc_lo
	v_cndmask_b32_e32 v166, v170, v163, vcc_lo
	v_cndmask_b32_e64 v170, v174, v159, s13
	v_cndmask_b32_e64 v174, v175, v163, s13
	;; [unrolled: 1-line block ×6, first 2 shown]
	v_cndmask_b32_e32 v144, v144, v167, vcc_lo
	v_cndmask_b32_e32 v147, v147, v171, vcc_lo
	v_cndmask_b32_e64 v148, v148, v167, s13
	v_cndmask_b32_e64 v155, v155, v145, s3
	;; [unrolled: 1-line block ×7, first 2 shown]
	v_lshrrev_b32_e32 v161, 16, v146
	v_lshrrev_b32_e32 v165, 16, v150
	;; [unrolled: 1-line block ×4, first 2 shown]
	v_cndmask_b32_e64 v170, v175, v145, s21
	v_cndmask_b32_e64 v174, v176, v149, s21
	;; [unrolled: 1-line block ×22, first 2 shown]
	v_lshrrev_b32_e32 v169, 16, v154
	v_cndmask_b32_e64 v160, v163, v146, s26
	v_cndmask_b32_e64 v163, v166, v150, s26
	v_cndmask_b32_e64 v144, v144, v154, s7
	v_cndmask_b32_e64 v150, v145, v158, s7
	v_cndmask_b32_e64 v145, v147, v154, s25
	v_cndmask_b32_e64 v147, v148, v161, s8
	v_cndmask_b32_e64 v148, v149, v165, s8
	v_cndmask_b32_e64 v149, v155, v161, s30
	v_cndmask_b32_e64 v159, v159, v165, s30
	v_perm_b32 v146, v143, v141, 0x5040100
	v_cndmask_b32_e64 v141, v183, v156, s15
	v_cndmask_b32_e64 v143, v181, v156, s12
	;; [unrolled: 1-line block ×4, first 2 shown]
	v_perm_b32 v144, v159, v149, 0x5040100
	v_cndmask_b32_e64 v149, v162, v167, s17
	v_cndmask_b32_e64 v151, v151, v167, s18
	v_cndmask_b32_e64 v152, v152, v171, s18
	v_cndmask_b32_e64 v141, v141, v171, s17
	v_cndmask_b32_e64 v143, v143, v171, s13
	v_cndmask_b32_e64 v149, v149, v153, s21
	v_cndmask_b32_e64 v151, v151, v153, s22
	v_cndmask_b32_e64 v152, v152, v157, s22
	v_cndmask_b32_e64 v141, v141, v157, s21
	v_cndmask_b32_e64 v143, v143, v157, s19
	v_cndmask_b32_e64 v149, v149, v168, s23
	v_cndmask_b32_e64 v151, v151, v168, s24
	v_cndmask_b32_e64 v152, v152, v172, s24
	v_cndmask_b32_e64 v141, v141, v172, s23
	v_cndmask_b32_e64 v143, v143, v172, s20
	v_lshrrev_b32_e32 v173, 16, v158
	v_cndmask_b32_e64 v149, v149, v154, s26
	v_cndmask_b32_e64 v151, v151, v154, s27
	;; [unrolled: 1-line block ×13, first 2 shown]
	v_perm_b32 v145, v160, v155, 0x5040100
	v_perm_b32 v143, v148, v147, 0x5040100
	;; [unrolled: 1-line block ×6, first 2 shown]
	s_mul_i32 s7, s33, 7
	s_mov_b32 s3, exec_lo
	ds_store_b128 v134, v[143:146]
	ds_store_b128 v134, v[147:150] offset:1024
	v_cmpx_gt_u32_e32 7, v0
	s_cbranch_execz .LBB256_14
; %bb.13:
	s_mul_i32 s4, s7, s34
	s_load_b128 s[8:11], s[0:1], 0x58
	v_add3_u32 v143, s4, s31, v140
	s_delay_alu instid0(VALU_DEP_1) | instskip(NEXT) | instid1(VALU_DEP_1)
	v_mad_u64_u32 v[140:141], null, v143, s35, s[14:15]
	v_ashrrev_i32_e32 v141, 31, v140
	s_delay_alu instid0(VALU_DEP_1) | instskip(SKIP_1) | instid1(VALU_DEP_1)
	v_lshlrev_b64 v[140:141], 2, v[140:141]
	s_waitcnt lgkmcnt(0)
	v_add_co_u32 v143, vcc_lo, s10, v140
	s_delay_alu instid0(VALU_DEP_2)
	v_add_co_ci_u32_e32 v144, vcc_lo, s11, v141, vcc_lo
	v_add_co_u32 v140, vcc_lo, s8, v140
	v_add_co_ci_u32_e32 v141, vcc_lo, s9, v141, vcc_lo
	global_store_b32 v[143:144], v136, off
	global_store_b32 v[140:141], v142, off
.LBB256_14:
	s_or_b32 exec_lo, exec_lo, s3
	s_waitcnt lgkmcnt(0)
	s_waitcnt_vscnt null, 0x0
	s_barrier
	buffer_gl0_inv
	ds_load_b128 v[148:151], v133
	ds_load_b128 v[152:155], v133 offset:16
	ds_load_b128 v[160:163], v133 offset:1040
	;; [unrolled: 1-line block ×5, first 2 shown]
	v_cmp_eq_u32_e32 vcc_lo, 1, v132
	v_mov_b32_e32 v140, 0
	ds_load_b128 v[176:179], v133 offset:3088
	ds_load_b128 v[172:175], v133 offset:3072
	;; [unrolled: 1-line block ×4, first 2 shown]
	v_cmp_eq_u32_e64 s3, 1, v129
	v_cmp_eq_u32_e64 s4, 1, v131
	;; [unrolled: 1-line block ×3, first 2 shown]
	v_mov_b32_e32 v141, v140
	v_mov_b32_e32 v142, v140
	;; [unrolled: 1-line block ×7, first 2 shown]
	v_cmp_eq_u32_e64 s6, 2, v129
	s_waitcnt lgkmcnt(8)
	s_delay_alu instid0(VALU_DEP_2)
	v_wmma_f32_16x16x16_f16 v[140:147], v[121:128], v[148:155], v[140:147]
	ds_load_b128 v[125:128], v133 offset:5136
	ds_load_b128 v[121:124], v133 offset:5120
	s_waitcnt lgkmcnt(8)
	v_wmma_f32_16x16x16_f16 v[140:147], v[113:120], v[156:163], v[140:147]
	ds_load_b128 v[117:120], v133 offset:6160
	ds_load_b128 v[113:116], v133 offset:6144
	s_waitcnt lgkmcnt(8)
	;; [unrolled: 4-line block ×11, first 2 shown]
	s_barrier
	buffer_gl0_inv
	v_wmma_f32_16x16x16_f16 v[140:147], v[1:8], v[73:80], v[140:147]
	s_delay_alu instid0(VALU_DEP_1) | instskip(NEXT) | instid1(VALU_DEP_1)
	v_wmma_f32_16x16x16_f16 v[140:147], v[9:16], v[65:72], v[140:147]
	v_wmma_f32_16x16x16_f16 v[140:147], v[33:40], v[57:64], v[140:147]
	s_delay_alu instid0(VALU_DEP_1) | instskip(NEXT) | instid1(VALU_DEP_1)
	v_wmma_f32_16x16x16_f16 v[140:147], v[41:48], v[49:56], v[140:147]
	v_wmma_f32_16x16x16_f16 v[140:147], v[17:24], v[25:32], v[140:147]
	s_delay_alu instid0(VALU_DEP_1) | instskip(NEXT) | instid1(VALU_DEP_2)
	v_cvt_f16_f32_e64 v1, v140
	v_cvt_f16_f32_e64 v2, v141
	s_delay_alu instid0(VALU_DEP_3) | instskip(NEXT) | instid1(VALU_DEP_4)
	v_cvt_f16_f32_e64 v3, v142
	v_cvt_f16_f32_e64 v4, v143
	;; [unrolled: 1-line block ×6, first 2 shown]
	v_pack_b32_f16 v1, v1, v2
	v_pack_b32_f16 v2, v3, v4
	;; [unrolled: 1-line block ×3, first 2 shown]
	s_delay_alu instid0(VALU_DEP_4)
	v_pack_b32_f16 v4, v7, v8
	ds_store_b128 v134, v[1:4]
	s_waitcnt lgkmcnt(0)
	s_barrier
	buffer_gl0_inv
	ds_load_b128 v[1:4], v135
	ds_load_b128 v[5:8], v135 offset:16
	s_waitcnt lgkmcnt(1)
	v_lshrrev_b32_e32 v9, 16, v1
	s_waitcnt lgkmcnt(0)
	v_lshrrev_b32_e32 v13, 16, v5
	v_lshrrev_b32_e32 v10, 16, v2
	;; [unrolled: 1-line block ×4, first 2 shown]
	v_cndmask_b32_e64 v17, v1, v9, s3
	v_cndmask_b32_e64 v18, v5, v13, s3
	;; [unrolled: 1-line block ×3, first 2 shown]
	v_cmp_eq_u32_e64 s3, 2, v130
	v_cndmask_b32_e64 v20, v5, v13, s5
	v_cndmask_b32_e32 v21, v1, v9, vcc_lo
	v_cndmask_b32_e32 v22, v5, v13, vcc_lo
	v_cndmask_b32_e64 v1, v1, v9, s4
	v_cndmask_b32_e64 v5, v5, v13, s4
	v_cmp_eq_u32_e32 vcc_lo, 2, v132
	v_cmp_eq_u32_e64 s4, 2, v131
	v_cndmask_b32_e64 v9, v17, v2, s6
	v_cndmask_b32_e64 v13, v18, v6, s6
	v_cndmask_b32_e64 v17, v19, v2, s3
	v_cndmask_b32_e64 v18, v20, v6, s3
	v_cndmask_b32_e32 v19, v21, v2, vcc_lo
	v_cmp_eq_u32_e64 s3, 3, v132
	v_cndmask_b32_e32 v20, v22, v6, vcc_lo
	v_cndmask_b32_e64 v1, v1, v2, s4
	v_cmp_eq_u32_e32 vcc_lo, 3, v131
	v_cmp_eq_u32_e64 s5, 3, v129
	v_cndmask_b32_e64 v2, v5, v6, s4
	v_cmp_eq_u32_e64 s4, 3, v130
	v_cmp_eq_u32_e64 s6, 4, v129
	v_cndmask_b32_e32 v1, v1, v10, vcc_lo
	v_cndmask_b32_e64 v5, v9, v10, s5
	v_cndmask_b32_e64 v6, v13, v14, s5
	;; [unrolled: 1-line block ×3, first 2 shown]
	v_cmp_eq_u32_e64 s5, 4, v130
	v_cndmask_b32_e64 v13, v18, v14, s4
	v_cndmask_b32_e64 v17, v19, v10, s3
	;; [unrolled: 1-line block ×3, first 2 shown]
	v_cndmask_b32_e32 v2, v2, v14, vcc_lo
	v_cmp_eq_u32_e32 vcc_lo, 4, v132
	v_cmp_eq_u32_e64 s4, 4, v131
	v_lshrrev_b32_e32 v15, 16, v7
	v_cndmask_b32_e64 v5, v5, v3, s6
	v_cndmask_b32_e64 v6, v6, v7, s6
	v_cndmask_b32_e32 v14, v18, v7, vcc_lo
	v_cndmask_b32_e64 v9, v9, v3, s5
	v_cndmask_b32_e64 v10, v13, v7, s5
	v_cndmask_b32_e32 v13, v17, v3, vcc_lo
	v_cmp_eq_u32_e64 s3, 5, v132
	v_cndmask_b32_e64 v1, v1, v3, s4
	v_cmp_eq_u32_e32 vcc_lo, 5, v131
	v_cmp_eq_u32_e64 s5, 5, v129
	v_cndmask_b32_e64 v2, v2, v7, s4
	v_cmp_eq_u32_e64 s4, 5, v130
	v_cmp_eq_u32_e64 s6, 6, v129
	v_lshrrev_b32_e32 v12, 16, v4
	v_cndmask_b32_e64 v3, v5, v11, s5
	v_cndmask_b32_e64 v5, v6, v15, s5
	v_cndmask_b32_e64 v6, v9, v11, s4
	v_cmp_eq_u32_e64 s5, 6, v130
	v_cndmask_b32_e64 v7, v10, v15, s4
	v_cndmask_b32_e64 v9, v13, v11, s3
	v_cndmask_b32_e64 v10, v14, v15, s3
	v_cndmask_b32_e32 v1, v1, v11, vcc_lo
	v_cndmask_b32_e32 v2, v2, v15, vcc_lo
	v_cmp_eq_u32_e32 vcc_lo, 6, v132
	v_cmp_eq_u32_e64 s3, 6, v131
	v_lshrrev_b32_e32 v16, 16, v8
	v_cndmask_b32_e64 v3, v3, v4, s6
	v_cndmask_b32_e64 v5, v5, v8, s6
	v_cndmask_b32_e32 v9, v9, v4, vcc_lo
	v_cndmask_b32_e64 v6, v6, v4, s5
	v_cndmask_b32_e64 v7, v7, v8, s5
	v_cmp_eq_u32_e64 s4, 7, v132
	v_cndmask_b32_e32 v10, v10, v8, vcc_lo
	v_cndmask_b32_e64 v1, v1, v4, s3
	v_cmp_eq_u32_e32 vcc_lo, 7, v131
	v_cndmask_b32_e64 v2, v2, v8, s3
	v_cmp_eq_u32_e64 s3, 7, v129
	v_cmp_eq_u32_e64 s5, 7, v130
	v_cndmask_b32_e32 v1, v1, v12, vcc_lo
	s_delay_alu instid0(VALU_DEP_4) | instskip(NEXT) | instid1(VALU_DEP_4)
	v_cndmask_b32_e32 v2, v2, v16, vcc_lo
	v_cndmask_b32_e64 v8, v3, v12, s3
	s_delay_alu instid0(VALU_DEP_4)
	v_cndmask_b32_e64 v6, v6, v12, s5
	v_cndmask_b32_e64 v3, v9, v12, s4
	;; [unrolled: 1-line block ×5, first 2 shown]
	v_perm_b32 v4, v2, v1, 0x5040100
	s_mov_b32 s3, exec_lo
	v_perm_b32 v3, v9, v3, 0x5040100
	v_perm_b32 v2, v7, v6, 0x5040100
	v_perm_b32 v1, v5, v8, 0x5040100
	ds_store_b128 v134, v[1:4]
	s_waitcnt lgkmcnt(0)
	s_barrier
	buffer_gl0_inv
	v_cmpx_gt_u32_e32 32, v0
	s_cbranch_execz .LBB256_2
; %bb.15:
	s_load_b64 s[4:5], s[0:1], 0x68
	v_lshlrev_b32_e32 v0, 10, v0
	v_add_nc_u32_e32 v2, s31, v138
	v_lshlrev_b32_e32 v3, 4, v139
	s_lshl_b32 s0, s35, 7
	s_delay_alu instid0(SALU_CYCLE_1) | instskip(NEXT) | instid1(VALU_DEP_2)
	s_mul_i32 s1, s0, s34
	v_mul_lo_u32 v1, v2, s0
	s_delay_alu instid0(VALU_DEP_2)
	v_and_or_b32 v0, 0x3800, v0, v3
	v_add_nc_u32_e32 v3, 2, v2
	s_mul_i32 s6, s1, s7
	v_add_nc_u32_e32 v4, 4, v2
	s_ashr_i32 s7, s6, 31
	v_lshl_or_b32 v11, v138, 6, v0
	s_lshl_b64 s[6:7], s[6:7], 1
	v_mul_lo_u32 v15, v3, s0
	v_mul_lo_u32 v17, v4, s0
	v_ashrrev_i32_e32 v2, 31, v1
	ds_load_b128 v[3:6], v11
	ds_load_b128 v[7:10], v11 offset:128
	ds_load_b128 v[11:14], v11 offset:256
	s_waitcnt lgkmcnt(0)
	s_add_u32 s1, s4, s6
	s_addc_u32 s3, s5, s7
	s_lshl_b32 s4, s14, 7
	v_ashrrev_i32_e32 v16, 31, v15
	s_ashr_i32 s5, s4, 31
	v_lshlrev_b64 v[19:20], 1, v[1:2]
	s_lshl_b64 s[4:5], s[4:5], 1
	v_ashrrev_i32_e32 v18, 31, v17
	s_add_u32 s1, s1, s4
	s_addc_u32 s3, s3, s5
	v_add_co_u32 v1, s1, s1, v137
	s_delay_alu instid0(VALU_DEP_1) | instskip(SKIP_1) | instid1(VALU_DEP_3)
	v_add_co_ci_u32_e64 v2, null, s3, 0, s1
	v_lshlrev_b64 v[15:16], 1, v[15:16]
	v_add_co_u32 v19, vcc_lo, v1, v19
	v_lshlrev_b64 v[17:18], 1, v[17:18]
	s_delay_alu instid0(VALU_DEP_4) | instskip(NEXT) | instid1(VALU_DEP_4)
	v_add_co_ci_u32_e32 v20, vcc_lo, v2, v20, vcc_lo
	v_add_co_u32 v15, vcc_lo, v1, v15
	v_add_co_ci_u32_e32 v16, vcc_lo, v2, v16, vcc_lo
	s_delay_alu instid0(VALU_DEP_4)
	v_add_co_u32 v17, vcc_lo, v1, v17
	v_add_co_ci_u32_e32 v18, vcc_lo, v2, v18, vcc_lo
	s_clause 0x2
	global_store_b128 v[19:20], v[3:6], off
	global_store_b128 v[15:16], v[7:10], off
	;; [unrolled: 1-line block ×3, first 2 shown]
	s_and_b32 exec_lo, exec_lo, s2
	s_cbranch_execz .LBB256_2
; %bb.16:
	ds_load_b128 v[3:6], v0 offset:384
	s_add_i32 s1, s31, 6
	s_delay_alu instid0(SALU_CYCLE_1) | instskip(NEXT) | instid1(SALU_CYCLE_1)
	s_mul_i32 s0, s1, s0
	s_ashr_i32 s1, s0, 31
	s_delay_alu instid0(SALU_CYCLE_1) | instskip(NEXT) | instid1(SALU_CYCLE_1)
	s_lshl_b64 s[0:1], s[0:1], 1
	v_add_co_u32 v0, vcc_lo, v1, s0
	v_add_co_ci_u32_e32 v1, vcc_lo, s1, v2, vcc_lo
	s_waitcnt lgkmcnt(0)
	global_store_b128 v[0:1], v[3:6], off
	s_nop 0
	s_sendmsg sendmsg(MSG_DEALLOC_VGPRS)
	s_endpgm
	.section	.rodata,"a",@progbits
	.p2align	6, 0x0
	.amdhsa_kernel _Z39paged_attention_ll4mi_QKV_mfma16_kernelIDF16_DF16_LN4vllm18Fp8KVCacheDataTypeE0EDF16_Li16ELi128ELi256ELb1ELi7EL8MFMAType0EEvPKT_PKT0_S8_ifPKiSA_SA_iPKfiiiPfSD_PS3_PT2_iSC_SC_
		.amdhsa_group_segment_fixed_size 17472
		.amdhsa_private_segment_fixed_size 0
		.amdhsa_kernarg_size 400
		.amdhsa_user_sgpr_count 13
		.amdhsa_user_sgpr_dispatch_ptr 0
		.amdhsa_user_sgpr_queue_ptr 0
		.amdhsa_user_sgpr_kernarg_segment_ptr 1
		.amdhsa_user_sgpr_dispatch_id 0
		.amdhsa_user_sgpr_private_segment_size 0
		.amdhsa_wavefront_size32 1
		.amdhsa_uses_dynamic_stack 0
		.amdhsa_enable_private_segment 0
		.amdhsa_system_sgpr_workgroup_id_x 1
		.amdhsa_system_sgpr_workgroup_id_y 1
		.amdhsa_system_sgpr_workgroup_id_z 1
		.amdhsa_system_sgpr_workgroup_info 0
		.amdhsa_system_vgpr_workitem_id 0
		.amdhsa_next_free_vgpr 218
		.amdhsa_next_free_sgpr 52
		.amdhsa_reserve_vcc 1
		.amdhsa_float_round_mode_32 0
		.amdhsa_float_round_mode_16_64 0
		.amdhsa_float_denorm_mode_32 3
		.amdhsa_float_denorm_mode_16_64 3
		.amdhsa_dx10_clamp 1
		.amdhsa_ieee_mode 1
		.amdhsa_fp16_overflow 0
		.amdhsa_workgroup_processor_mode 1
		.amdhsa_memory_ordered 1
		.amdhsa_forward_progress 0
		.amdhsa_shared_vgpr_count 0
		.amdhsa_exception_fp_ieee_invalid_op 0
		.amdhsa_exception_fp_denorm_src 0
		.amdhsa_exception_fp_ieee_div_zero 0
		.amdhsa_exception_fp_ieee_overflow 0
		.amdhsa_exception_fp_ieee_underflow 0
		.amdhsa_exception_fp_ieee_inexact 0
		.amdhsa_exception_int_div_zero 0
	.end_amdhsa_kernel
	.section	.text._Z39paged_attention_ll4mi_QKV_mfma16_kernelIDF16_DF16_LN4vllm18Fp8KVCacheDataTypeE0EDF16_Li16ELi128ELi256ELb1ELi7EL8MFMAType0EEvPKT_PKT0_S8_ifPKiSA_SA_iPKfiiiPfSD_PS3_PT2_iSC_SC_,"axG",@progbits,_Z39paged_attention_ll4mi_QKV_mfma16_kernelIDF16_DF16_LN4vllm18Fp8KVCacheDataTypeE0EDF16_Li16ELi128ELi256ELb1ELi7EL8MFMAType0EEvPKT_PKT0_S8_ifPKiSA_SA_iPKfiiiPfSD_PS3_PT2_iSC_SC_,comdat
.Lfunc_end256:
	.size	_Z39paged_attention_ll4mi_QKV_mfma16_kernelIDF16_DF16_LN4vllm18Fp8KVCacheDataTypeE0EDF16_Li16ELi128ELi256ELb1ELi7EL8MFMAType0EEvPKT_PKT0_S8_ifPKiSA_SA_iPKfiiiPfSD_PS3_PT2_iSC_SC_, .Lfunc_end256-_Z39paged_attention_ll4mi_QKV_mfma16_kernelIDF16_DF16_LN4vllm18Fp8KVCacheDataTypeE0EDF16_Li16ELi128ELi256ELb1ELi7EL8MFMAType0EEvPKT_PKT0_S8_ifPKiSA_SA_iPKfiiiPfSD_PS3_PT2_iSC_SC_
                                        ; -- End function
	.section	.AMDGPU.csdata,"",@progbits
; Kernel info:
; codeLenInByte = 8108
; NumSgprs: 54
; NumVgprs: 218
; ScratchSize: 0
; MemoryBound: 0
; FloatMode: 240
; IeeeMode: 1
; LDSByteSize: 17472 bytes/workgroup (compile time only)
; SGPRBlocks: 6
; VGPRBlocks: 27
; NumSGPRsForWavesPerEU: 54
; NumVGPRsForWavesPerEU: 218
; Occupancy: 6
; WaveLimiterHint : 1
; COMPUTE_PGM_RSRC2:SCRATCH_EN: 0
; COMPUTE_PGM_RSRC2:USER_SGPR: 13
; COMPUTE_PGM_RSRC2:TRAP_HANDLER: 0
; COMPUTE_PGM_RSRC2:TGID_X_EN: 1
; COMPUTE_PGM_RSRC2:TGID_Y_EN: 1
; COMPUTE_PGM_RSRC2:TGID_Z_EN: 1
; COMPUTE_PGM_RSRC2:TIDIG_COMP_CNT: 0
	.section	.text._Z39paged_attention_ll4mi_QKV_mfma16_kernelIDF16_DF16_LN4vllm18Fp8KVCacheDataTypeE0EDF16_Li16ELi128ELi256ELb1ELi8EL8MFMAType0EEvPKT_PKT0_S8_ifPKiSA_SA_iPKfiiiPfSD_PS3_PT2_iSC_SC_,"axG",@progbits,_Z39paged_attention_ll4mi_QKV_mfma16_kernelIDF16_DF16_LN4vllm18Fp8KVCacheDataTypeE0EDF16_Li16ELi128ELi256ELb1ELi8EL8MFMAType0EEvPKT_PKT0_S8_ifPKiSA_SA_iPKfiiiPfSD_PS3_PT2_iSC_SC_,comdat
	.protected	_Z39paged_attention_ll4mi_QKV_mfma16_kernelIDF16_DF16_LN4vllm18Fp8KVCacheDataTypeE0EDF16_Li16ELi128ELi256ELb1ELi8EL8MFMAType0EEvPKT_PKT0_S8_ifPKiSA_SA_iPKfiiiPfSD_PS3_PT2_iSC_SC_ ; -- Begin function _Z39paged_attention_ll4mi_QKV_mfma16_kernelIDF16_DF16_LN4vllm18Fp8KVCacheDataTypeE0EDF16_Li16ELi128ELi256ELb1ELi8EL8MFMAType0EEvPKT_PKT0_S8_ifPKiSA_SA_iPKfiiiPfSD_PS3_PT2_iSC_SC_
	.globl	_Z39paged_attention_ll4mi_QKV_mfma16_kernelIDF16_DF16_LN4vllm18Fp8KVCacheDataTypeE0EDF16_Li16ELi128ELi256ELb1ELi8EL8MFMAType0EEvPKT_PKT0_S8_ifPKiSA_SA_iPKfiiiPfSD_PS3_PT2_iSC_SC_
	.p2align	8
	.type	_Z39paged_attention_ll4mi_QKV_mfma16_kernelIDF16_DF16_LN4vllm18Fp8KVCacheDataTypeE0EDF16_Li16ELi128ELi256ELb1ELi8EL8MFMAType0EEvPKT_PKT0_S8_ifPKiSA_SA_iPKfiiiPfSD_PS3_PT2_iSC_SC_,@function
_Z39paged_attention_ll4mi_QKV_mfma16_kernelIDF16_DF16_LN4vllm18Fp8KVCacheDataTypeE0EDF16_Li16ELi128ELi256ELb1ELi8EL8MFMAType0EEvPKT_PKT0_S8_ifPKiSA_SA_iPKfiiiPfSD_PS3_PT2_iSC_SC_: ; @_Z39paged_attention_ll4mi_QKV_mfma16_kernelIDF16_DF16_LN4vllm18Fp8KVCacheDataTypeE0EDF16_Li16ELi128ELi256ELb1ELi8EL8MFMAType0EEvPKT_PKT0_S8_ifPKiSA_SA_iPKfiiiPfSD_PS3_PT2_iSC_SC_
; %bb.0:
	s_load_b64 s[4:5], s[0:1], 0x30
	s_mov_b32 s30, s13
	s_waitcnt lgkmcnt(0)
	s_cmp_lg_u64 s[4:5], 0
	s_cselect_b32 s12, -1, 0
	s_ashr_i32 s31, s13, 31
	s_cmp_eq_u64 s[4:5], 0
	s_cbranch_scc1 .LBB257_3
; %bb.1:
	s_lshl_b64 s[2:3], s[30:31], 2
	s_delay_alu instid0(SALU_CYCLE_1) | instskip(SKIP_4) | instid1(SALU_CYCLE_1)
	s_add_u32 s2, s4, s2
	s_addc_u32 s3, s5, s3
	s_load_b64 s[2:3], s[2:3], 0x0
	s_waitcnt lgkmcnt(0)
	s_sub_i32 s2, s3, s2
	s_cmp_eq_u32 s2, 1
	s_cselect_b32 s2, -1, 0
	s_delay_alu instid0(SALU_CYCLE_1)
	s_and_not1_b32 vcc_lo, exec_lo, s2
	s_cbranch_vccz .LBB257_4
.LBB257_2:
	s_endpgm
.LBB257_3:
.LBB257_4:
	s_load_b64 s[2:3], s[0:1], 0x28
	s_lshl_b64 s[6:7], s[30:31], 2
	s_waitcnt lgkmcnt(0)
	s_add_u32 s2, s2, s6
	s_addc_u32 s3, s3, s7
	s_lshl_b32 s29, s14, 8
	s_load_b32 s28, s[2:3], 0x0
	s_waitcnt lgkmcnt(0)
	s_cmp_ge_i32 s29, s28
	s_cbranch_scc1 .LBB257_2
; %bb.5:
	s_clause 0x1
	s_load_b128 s[8:11], s[0:1], 0x8
	s_load_b64 s[2:3], s[0:1], 0x20
	s_and_not1_b32 vcc_lo, exec_lo, s12
	s_cbranch_vccnz .LBB257_7
; %bb.6:
	s_add_u32 s4, s4, s6
	s_addc_u32 s5, s5, s7
	s_load_b32 s12, s[4:5], 0x0
	s_branch .LBB257_8
.LBB257_7:
	s_mov_b32 s12, s30
.LBB257_8:
	s_load_b128 s[4:7], s[0:1], 0x48
	v_and_b32_e32 v141, 15, v0
	v_lshrrev_b32_e32 v140, 5, v0
	v_and_b32_e32 v142, 31, v0
	v_and_b32_e32 v139, 1, v0
	v_bfe_u32 v138, v0, 4, 1
	v_lshlrev_b32_e32 v1, 3, v141
	s_lshl_b32 s31, s15, 3
	s_waitcnt lgkmcnt(0)
	s_mov_b32 s7, exec_lo
	s_delay_alu instid0(VALU_DEP_1)
	v_lshlrev_b32_e32 v137, 1, v1
	v_cmpx_gt_u32_e32 0x80, v0
	s_cbranch_execz .LBB257_10
; %bb.9:
	v_lshl_or_b32 v5, v140, 1, v138
	s_load_b64 s[16:17], s[0:1], 0x0
	s_mul_hi_i32 s13, s12, s4
	s_mul_i32 s12, s12, s4
	v_lshlrev_b32_e32 v6, 10, v141
	v_or_b32_e32 v1, s31, v5
	s_lshl_b64 s[12:13], s[12:13], 1
	v_lshlrev_b32_e32 v5, 6, v5
	v_lshlrev_b32_e32 v7, 10, v139
	v_and_b32_e32 v6, 0x3800, v6
	v_lshlrev_b32_e32 v1, 7, v1
	s_delay_alu instid0(VALU_DEP_2) | instskip(NEXT) | instid1(VALU_DEP_2)
	v_or3_b32 v5, v6, v7, v5
	v_ashrrev_i32_e32 v2, 31, v1
	s_delay_alu instid0(VALU_DEP_1) | instskip(SKIP_3) | instid1(VALU_DEP_1)
	v_lshlrev_b64 v[1:2], 1, v[1:2]
	s_waitcnt lgkmcnt(0)
	s_add_u32 s4, s16, s12
	s_addc_u32 s12, s17, s13
	v_add_co_u32 v1, vcc_lo, s4, v1
	s_delay_alu instid0(VALU_DEP_2) | instskip(NEXT) | instid1(VALU_DEP_2)
	v_add_co_ci_u32_e32 v2, vcc_lo, s12, v2, vcc_lo
	v_add_co_u32 v1, vcc_lo, v1, v137
	s_delay_alu instid0(VALU_DEP_2)
	v_add_co_ci_u32_e32 v2, vcc_lo, 0, v2, vcc_lo
	global_load_b128 v[1:4], v[1:2], off
	s_waitcnt vmcnt(0)
	ds_store_b128 v5, v[1:4]
.LBB257_10:
	s_or_b32 exec_lo, exec_lo, s7
	s_mov_b32 s40, 0
	s_add_i32 s4, s28, 15
	s_mov_b32 s41, s40
	s_mov_b32 s42, s40
	;; [unrolled: 1-line block ×7, first 2 shown]
	s_delay_alu instid0(SALU_CYCLE_1)
	v_dual_mov_b32 v136, s47 :: v_dual_and_b32 v1, 0xef, v0
	v_mov_b32_e32 v134, s45
	s_clause 0x1
	s_load_b32 s7, s[0:1], 0x38
	s_load_b32 s33, s[0:1], 0x98
	v_add_nc_u32_e32 v1, s29, v1
	s_ashr_i32 s12, s4, 31
	s_load_b32 s34, s[0:1], 0x1c
	s_lshr_b32 s12, s12, 28
	s_waitcnt lgkmcnt(0)
	v_ashrrev_i32_e32 v2, 31, v1
	s_add_i32 s4, s4, s12
	v_cmp_gt_i32_e32 vcc_lo, s28, v1
	v_mov_b32_e32 v135, s46
	s_ashr_i32 s4, s4, 4
	v_lshrrev_b32_e32 v3, 28, v2
	v_or_b32_e32 v2, 16, v1
	s_add_i32 s4, s4, -1
	v_mov_b32_e32 v132, s43
	s_barrier
	v_add_nc_u32_e32 v4, v1, v3
	v_add_nc_u32_e32 v3, v2, v3
	buffer_gl0_inv
	v_lshlrev_b32_e32 v106, 5, v141
	s_mul_i32 s12, s30, s7
	v_ashrrev_i32_e32 v4, 4, v4
	v_ashrrev_i32_e32 v3, 4, v3
	s_ashr_i32 s13, s12, 31
	v_and_b32_e32 v105, 7, v0
	s_lshl_b64 s[12:13], s[12:13], 2
	v_cndmask_b32_e32 v1, s4, v4, vcc_lo
	v_cmp_gt_i32_e32 vcc_lo, s28, v2
	s_add_u32 s35, s2, s12
	s_addc_u32 s36, s3, s13
	s_mul_i32 s2, s15, s6
	v_ashrrev_i32_e32 v2, 31, v1
	v_cndmask_b32_e32 v3, s4, v3, vcc_lo
	s_ashr_i32 s3, s2, 31
	v_lshlrev_b32_e32 v215, 6, v105
	s_lshl_b64 s[2:3], s[2:3], 1
	v_lshlrev_b64 v[1:2], 2, v[1:2]
	v_ashrrev_i32_e32 v4, 31, v3
	s_add_u32 s22, s8, s2
	s_addc_u32 s23, s9, s3
	s_lshl_b32 s6, s14, 4
	v_lshl_or_b32 v125, v140, 9, v106
	v_lshlrev_b64 v[3:4], 2, v[3:4]
	v_add_co_u32 v1, vcc_lo, s35, v1
	v_add_co_ci_u32_e32 v2, vcc_lo, s36, v2, vcc_lo
	s_ashr_i32 s7, s6, 31
	s_delay_alu instid0(VALU_DEP_3) | instskip(NEXT) | instid1(VALU_DEP_4)
	v_add_co_u32 v3, vcc_lo, s35, v3
	v_add_co_ci_u32_e32 v4, vcc_lo, s36, v4, vcc_lo
	s_clause 0x1
	global_load_b32 v5, v[1:2], off
	global_load_b32 v6, v[3:4], off
	s_lshl_b64 s[6:7], s[6:7], 2
	v_dual_mov_b32 v130, s41 :: v_dual_lshlrev_b32 v3, 4, v0
	s_add_u32 s6, s35, s6
	s_addc_u32 s7, s36, s7
	s_or_b32 s8, s29, 16
	v_mov_b32_e32 v133, s44
	s_ashr_i32 s9, s8, 4
	s_cmp_lt_i32 s8, s28
	v_mov_b32_e32 v131, s42
	s_cselect_b32 s8, s9, s4
	v_mov_b32_e32 v129, s40
	s_ashr_i32 s9, s8, 31
	s_delay_alu instid0(SALU_CYCLE_1) | instskip(NEXT) | instid1(SALU_CYCLE_1)
	s_lshl_b64 s[8:9], s[8:9], 2
	s_add_u32 s8, s35, s8
	s_addc_u32 s9, s36, s9
	s_or_b32 s12, s29, 32
	s_delay_alu instid0(SALU_CYCLE_1) | instskip(SKIP_2) | instid1(SALU_CYCLE_1)
	s_ashr_i32 s13, s12, 4
	s_cmp_lt_i32 s12, s28
	s_cselect_b32 s12, s13, s4
	s_ashr_i32 s13, s12, 31
	s_delay_alu instid0(SALU_CYCLE_1) | instskip(NEXT) | instid1(SALU_CYCLE_1)
	s_lshl_b64 s[12:13], s[12:13], 2
	s_add_u32 s12, s35, s12
	s_addc_u32 s13, s36, s13
	s_or_b32 s15, s29, 48
	s_delay_alu instid0(SALU_CYCLE_1) | instskip(SKIP_2) | instid1(SALU_CYCLE_1)
	s_ashr_i32 s16, s15, 4
	s_cmp_lt_i32 s15, s28
	s_cselect_b32 s16, s16, s4
	;; [unrolled: 10-line block ×4, first 2 shown]
	s_ashr_i32 s21, s20, 31
	s_delay_alu instid0(SALU_CYCLE_1) | instskip(NEXT) | instid1(SALU_CYCLE_1)
	s_lshl_b64 s[20:21], s[20:21], 2
	s_add_u32 s20, s35, s20
	s_addc_u32 s21, s36, s21
	s_clause 0x5
	s_load_b32 s6, s[6:7], 0x0
	s_load_b32 s8, s[8:9], 0x0
	;; [unrolled: 1-line block ×6, first 2 shown]
	s_waitcnt vmcnt(1)
	v_mad_i64_i32 v[1:2], null, v5, s5, 0
	v_and_b32_e32 v5, 0xf0, v3
	s_waitcnt vmcnt(0)
	v_mad_i64_i32 v[3:4], null, v6, s5, 0
	s_delay_alu instid0(VALU_DEP_2) | instskip(NEXT) | instid1(VALU_DEP_4)
	v_add_co_u32 v5, s7, s22, v5
	v_lshlrev_b64 v[1:2], 1, v[1:2]
	v_add_co_ci_u32_e64 v6, null, s23, 0, s7
	s_delay_alu instid0(VALU_DEP_4) | instskip(SKIP_1) | instid1(VALU_DEP_3)
	v_lshlrev_b64 v[3:4], 1, v[3:4]
	s_or_b32 s7, s29, 0x60
	v_add_co_u32 v121, vcc_lo, v5, v1
	s_delay_alu instid0(VALU_DEP_3) | instskip(NEXT) | instid1(VALU_DEP_3)
	v_add_co_ci_u32_e32 v122, vcc_lo, v6, v2, vcc_lo
	v_add_co_u32 v123, vcc_lo, v5, v3
	s_delay_alu instid0(VALU_DEP_4)
	v_add_co_ci_u32_e32 v124, vcc_lo, v6, v4, vcc_lo
	s_clause 0x19
	global_load_b128 v[89:92], v[121:122], off
	global_load_b128 v[93:96], v[121:122], off offset:256
	global_load_b128 v[97:100], v[123:124], off
	global_load_b128 v[101:104], v[123:124], off offset:256
	global_load_b128 v[81:84], v[121:122], off offset:512
	;; [unrolled: 1-line block ×23, first 2 shown]
	s_ashr_i32 s9, s7, 4
	s_cmp_lt_i32 s7, s28
	ds_load_b128 v[105:108], v215
	ds_load_b128 v[109:112], v215 offset:1024
	s_cselect_b32 s20, s9, s4
	ds_load_b128 v[113:116], v215 offset:2048
	ds_load_b128 v[117:120], v215 offset:3072
	s_ashr_i32 s21, s20, 31
	ds_load_b128 v[143:146], v215 offset:4096
	ds_load_b128 v[147:150], v215 offset:5120
	s_lshl_b64 s[20:21], s[20:21], 2
	ds_load_b128 v[151:154], v215 offset:6144
	ds_load_b128 v[155:158], v215 offset:7168
	s_add_u32 s20, s35, s20
	s_addc_u32 s21, s36, s21
	s_or_b32 s7, s29, 0x70
	ds_load_b128 v[159:162], v215 offset:8192
	ds_load_b128 v[163:166], v215 offset:9216
	s_ashr_i32 s9, s7, 4
	s_cmp_lt_i32 s7, s28
	s_clause 0x1
	global_load_b128 v[167:170], v[123:124], off offset:3072
	global_load_b128 v[171:174], v[123:124], off offset:3328
	s_cselect_b32 s22, s9, s4
	s_delay_alu instid0(SALU_CYCLE_1) | instskip(NEXT) | instid1(SALU_CYCLE_1)
	s_ashr_i32 s23, s22, 31
	s_lshl_b64 s[22:23], s[22:23], 2
	s_delay_alu instid0(SALU_CYCLE_1)
	s_add_u32 s22, s35, s22
	s_addc_u32 s23, s36, s23
	s_clause 0x1
	s_load_b32 s44, s[20:21], 0x0
	s_load_b32 s45, s[22:23], 0x0
	s_clause 0x3
	global_load_b128 v[175:178], v[121:122], off offset:3584
	global_load_b128 v[179:182], v[121:122], off offset:3840
	;; [unrolled: 1-line block ×4, first 2 shown]
	s_or_b32 s7, s29, 0x80
	s_delay_alu instid0(SALU_CYCLE_1) | instskip(SKIP_2) | instid1(SALU_CYCLE_1)
	s_ashr_i32 s9, s7, 4
	s_cmp_lt_i32 s7, s28
	s_cselect_b32 s24, s9, s4
	s_ashr_i32 s25, s24, 31
	s_delay_alu instid0(SALU_CYCLE_1) | instskip(NEXT) | instid1(SALU_CYCLE_1)
	s_lshl_b64 s[24:25], s[24:25], 2
	s_add_u32 s24, s35, s24
	s_addc_u32 s25, s36, s25
	s_or_b32 s7, s29, 0x90
	s_delay_alu instid0(SALU_CYCLE_1) | instskip(SKIP_2) | instid1(SALU_CYCLE_1)
	s_ashr_i32 s9, s7, 4
	s_cmp_lt_i32 s7, s28
	s_cselect_b32 s26, s9, s4
	s_ashr_i32 s27, s26, 31
	s_delay_alu instid0(SALU_CYCLE_1) | instskip(NEXT) | instid1(SALU_CYCLE_1)
	s_lshl_b64 s[26:27], s[26:27], 2
	s_add_u32 s26, s35, s26
	s_addc_u32 s27, s36, s27
	s_or_b32 s7, s29, 0xa0
	s_delay_alu instid0(SALU_CYCLE_1)
	s_ashr_i32 s9, s7, 4
	s_cmp_lt_i32 s7, s28
	s_waitcnt lgkmcnt(0)
	s_mul_hi_i32 s7, s6, s5
	s_cselect_b32 s38, s9, s4
	s_mul_i32 s6, s6, s5
	s_ashr_i32 s39, s38, 31
	s_delay_alu instid0(SALU_CYCLE_1) | instskip(NEXT) | instid1(SALU_CYCLE_1)
	s_lshl_b64 s[38:39], s[38:39], 2
	s_add_u32 s38, s35, s38
	s_addc_u32 s39, s36, s39
	s_or_b32 s9, s29, 0xb0
	s_load_b32 s39, s[38:39], 0x0
	s_ashr_i32 s13, s9, 4
	s_cmp_lt_i32 s9, s28
	s_mul_hi_i32 s9, s8, s5
	s_cselect_b32 s40, s13, s4
	s_mul_i32 s8, s8, s5
	s_ashr_i32 s41, s40, 31
	s_mul_hi_i32 s13, s12, s5
	s_lshl_b64 s[40:41], s[40:41], 2
	s_mul_i32 s12, s12, s5
	s_add_u32 s42, s35, s40
	s_addc_u32 s43, s36, s41
	s_or_b32 s17, s29, 0xc0
	s_delay_alu instid0(SALU_CYCLE_1)
	s_ashr_i32 s19, s17, 4
	s_cmp_lt_i32 s17, s28
	s_mul_hi_i32 s17, s16, s5
	s_cselect_b32 s40, s19, s4
	s_mul_i32 s16, s16, s5
	s_ashr_i32 s41, s40, 31
	s_mul_hi_i32 s19, s18, s5
	s_lshl_b64 s[40:41], s[40:41], 2
	s_mul_i32 s18, s18, s5
	s_add_u32 s22, s35, s40
	s_addc_u32 s23, s36, s41
	s_or_b32 s20, s29, 0xd0
	s_clause 0x1
	s_load_b32 s41, s[24:25], 0x0
	s_load_b32 s40, s[26:27], 0x0
	s_ashr_i32 s21, s20, 4
	s_cmp_lt_i32 s20, s28
	s_mul_i32 s20, s15, s5
	s_cselect_b32 s24, s21, s4
	s_mul_hi_i32 s21, s15, s5
	s_ashr_i32 s25, s24, 31
	s_delay_alu instid0(SALU_CYCLE_1) | instskip(NEXT) | instid1(SALU_CYCLE_1)
	s_lshl_b64 s[24:25], s[24:25], 2
	s_add_u32 s24, s35, s24
	s_addc_u32 s25, s36, s25
	s_or_b32 s46, s29, 0xe0
	s_clause 0x2
	s_load_b32 s38, s[42:43], 0x0
	s_load_b32 s37, s[22:23], 0x0
	;; [unrolled: 1-line block ×3, first 2 shown]
	s_ashr_i32 s47, s46, 4
	s_cmp_lt_i32 s46, s28
	s_mul_hi_i32 s23, s44, s5
	s_cselect_b32 s42, s47, s4
	s_mul_i32 s22, s44, s5
	s_ashr_i32 s43, s42, 31
	s_mul_hi_i32 s25, s45, s5
	s_lshl_b64 s[42:43], s[42:43], 2
	s_mul_i32 s24, s45, s5
	s_add_u32 s42, s35, s42
	s_addc_u32 s43, s36, s43
	s_or_b32 s46, s29, 0xf0
	s_waitcnt lgkmcnt(0)
	s_mul_hi_i32 s27, s41, s5
	s_ashr_i32 s47, s46, 4
	s_cmp_lt_i32 s46, s28
	s_mul_i32 s26, s41, s5
	s_cselect_b32 s46, s47, s4
	s_mul_hi_i32 s41, s40, s5
	s_ashr_i32 s47, s46, 31
	s_mul_hi_i32 s51, s15, s5
	s_lshl_b64 s[46:47], s[46:47], 2
	s_mul_i32 s50, s15, s5
	s_add_u32 s46, s35, s46
	s_addc_u32 s47, s36, s47
	s_add_u32 s4, s10, s2
	s_addc_u32 s15, s11, s3
	v_add_co_u32 v216, s4, s4, v125
	s_delay_alu instid0(VALU_DEP_1) | instskip(SKIP_2) | instid1(VALU_DEP_2)
	v_add_co_ci_u32_e64 v217, null, s15, 0, s4
	s_lshl_b64 s[2:3], s[6:7], 1
	s_lshl_b64 s[6:7], s[8:9], 1
	v_add_co_u32 v125, vcc_lo, v216, s2
	s_delay_alu instid0(VALU_DEP_2)
	v_add_co_ci_u32_e32 v126, vcc_lo, s3, v217, vcc_lo
	v_add_co_u32 v199, vcc_lo, v216, s6
	s_lshl_b64 s[8:9], s[12:13], 1
	v_add_co_ci_u32_e32 v200, vcc_lo, s7, v217, vcc_lo
	s_lshl_b64 s[10:11], s[16:17], 1
	s_lshl_b64 s[12:13], s[18:19], 1
	;; [unrolled: 1-line block ×6, first 2 shown]
	s_mul_i32 s40, s40, s5
	s_mul_hi_i32 s45, s39, s5
	s_lshl_b64 s[24:25], s[40:41], 1
	s_mul_i32 s44, s39, s5
	s_mul_hi_i32 s39, s38, s5
	s_lshl_b64 s[26:27], s[44:45], 1
	s_mul_i32 s38, s38, s5
	s_mul_hi_i32 s49, s37, s5
	s_mul_i32 s48, s37, s5
	s_lshl_b64 s[36:37], s[38:39], 1
	s_lshl_b64 s[38:39], s[48:49], 1
	s_clause 0x1
	s_load_b32 s4, s[42:43], 0x0
	s_load_b32 s15, s[46:47], 0x0
	s_lshl_b64 s[40:41], s[50:51], 1
	s_waitcnt lgkmcnt(0)
	s_mul_hi_i32 s3, s4, s5
	s_mul_i32 s2, s4, s5
	s_mul_hi_i32 s7, s15, s5
	s_lshl_b64 s[2:3], s[2:3], 1
	s_mul_i32 s6, s15, s5
	s_waitcnt vmcnt(30)
	v_wmma_f32_16x16x16_f16 v[191:198], v[89:96], v[105:112], v[129:136]
	v_add_co_u32 v89, vcc_lo, v216, s8
	v_add_co_ci_u32_e32 v90, vcc_lo, s9, v217, vcc_lo
	v_add_co_u32 v91, vcc_lo, v216, s10
	v_add_co_ci_u32_e32 v92, vcc_lo, s11, v217, vcc_lo
	;; [unrolled: 2-line block ×5, first 2 shown]
	v_add_co_u32 v205, vcc_lo, v216, s20
	s_waitcnt vmcnt(28)
	v_wmma_f32_16x16x16_f16 v[129:136], v[97:104], v[105:112], v[129:136]
	v_add_co_ci_u32_e32 v206, vcc_lo, s21, v217, vcc_lo
	v_add_co_u32 v207, vcc_lo, v216, s22
	v_add_co_ci_u32_e32 v208, vcc_lo, s23, v217, vcc_lo
	v_add_co_u32 v209, vcc_lo, v216, s24
	s_waitcnt vmcnt(26)
	v_wmma_f32_16x16x16_f16 v[191:198], v[81:88], v[113:120], v[191:198]
	s_waitcnt vmcnt(24)
	v_wmma_f32_16x16x16_f16 v[129:136], v[73:80], v[113:120], v[129:136]
	v_add_co_ci_u32_e32 v210, vcc_lo, s25, v217, vcc_lo
	v_add_co_u32 v211, vcc_lo, v216, s26
	v_add_co_ci_u32_e32 v212, vcc_lo, s27, v217, vcc_lo
	v_add_co_u32 v213, vcc_lo, v216, s36
	s_waitcnt vmcnt(22)
	v_wmma_f32_16x16x16_f16 v[191:198], v[65:72], v[143:150], v[191:198]
	s_waitcnt vmcnt(20)
	v_wmma_f32_16x16x16_f16 v[129:136], v[57:64], v[143:150], v[129:136]
	v_add_co_ci_u32_e32 v214, vcc_lo, s37, v217, vcc_lo
	v_add_co_u32 v143, vcc_lo, v216, s38
	s_waitcnt vmcnt(18)
	v_wmma_f32_16x16x16_f16 v[191:198], v[49:56], v[151:158], v[191:198]
	s_waitcnt vmcnt(16)
	v_wmma_f32_16x16x16_f16 v[129:136], v[25:32], v[151:158], v[129:136]
	v_add_co_ci_u32_e32 v144, vcc_lo, s39, v217, vcc_lo
	s_clause 0x15
	global_load_b128 v[121:124], v[125:126], off
	global_load_b128 v[125:128], v[125:126], off offset:16
	global_load_b128 v[113:116], v[199:200], off
	global_load_b128 v[117:120], v[199:200], off offset:16
	;; [unrolled: 2-line block ×11, first 2 shown]
	s_waitcnt vmcnt(36)
	v_wmma_f32_16x16x16_f16 v[191:198], v[1:8], v[159:166], v[191:198]
	s_clause 0x1
	global_load_b128 v[1:4], v[213:214], off
	global_load_b128 v[5:8], v[213:214], off offset:16
	s_waitcnt vmcnt(36)
	v_wmma_f32_16x16x16_f16 v[129:136], v[9:16], v[159:166], v[129:136]
	s_clause 0x1
	global_load_b128 v[9:12], v[143:144], off
	global_load_b128 v[13:16], v[143:144], off offset:16
	ds_load_b128 v[143:146], v215 offset:10240
	ds_load_b128 v[147:150], v215 offset:11264
	;; [unrolled: 1-line block ×4, first 2 shown]
	v_add_co_u32 v199, vcc_lo, v216, s40
	v_add_co_ci_u32_e32 v200, vcc_lo, s41, v217, vcc_lo
	v_add_co_u32 v159, vcc_lo, v216, s2
	v_add_co_ci_u32_e32 v160, vcc_lo, s3, v217, vcc_lo
	s_lshl_b64 s[2:3], s[6:7], 1
	s_delay_alu instid0(SALU_CYCLE_1)
	v_add_co_u32 v161, vcc_lo, v216, s2
	v_add_co_ci_u32_e32 v162, vcc_lo, s3, v217, vcc_lo
	s_waitcnt vmcnt(36) lgkmcnt(2)
	v_wmma_f32_16x16x16_f16 v[191:198], v[41:48], v[143:150], v[191:198]
	s_waitcnt vmcnt(34)
	v_wmma_f32_16x16x16_f16 v[129:136], v[33:40], v[143:150], v[129:136]
	s_clause 0x3
	global_load_b128 v[33:36], v[199:200], off
	global_load_b128 v[37:40], v[199:200], off offset:16
	global_load_b128 v[41:44], v[159:160], off
	global_load_b128 v[45:48], v[159:160], off offset:16
	v_and_b32_e32 v143, 0xe0, v0
	v_mbcnt_lo_u32_b32 v159, -1, 0
	s_waitcnt vmcnt(36) lgkmcnt(0)
	v_wmma_f32_16x16x16_f16 v[191:198], v[17:24], v[151:158], v[191:198]
	s_clause 0x1
	global_load_b128 v[17:20], v[161:162], off
	global_load_b128 v[21:24], v[161:162], off offset:16
	s_waitcnt vmcnt(36)
	v_wmma_f32_16x16x16_f16 v[129:136], v[167:174], v[151:158], v[129:136]
	v_add_nc_u32_e32 v160, s29, v143
	ds_load_b128 v[143:146], v215 offset:14336
	ds_load_b128 v[147:150], v215 offset:15360
	v_xor_b32_e32 v151, 16, v159
	s_waitcnt vmcnt(0) lgkmcnt(0)
	s_barrier
	v_or_b32_e32 v152, v160, v138
	buffer_gl0_inv
	v_cmp_gt_i32_e32 vcc_lo, 32, v151
	v_or_b32_e32 v153, 2, v152
	v_or_b32_e32 v154, 4, v152
	;; [unrolled: 1-line block ×5, first 2 shown]
	v_cmp_gt_i32_e64 s2, s28, v153
	v_cmp_gt_i32_e64 s3, s28, v154
	;; [unrolled: 1-line block ×3, first 2 shown]
	v_or_b32_e32 v158, 12, v152
	v_cmp_gt_i32_e64 s5, s28, v156
	v_cmp_gt_i32_e64 s6, s28, v157
	v_wmma_f32_16x16x16_f16 v[191:198], v[175:182], v[143:150], v[191:198]
	v_wmma_f32_16x16x16_f16 v[129:136], v[183:190], v[143:150], v[129:136]
	v_cndmask_b32_e32 v151, v159, v151, vcc_lo
	v_cmp_gt_i32_e32 vcc_lo, s28, v152
	v_or_b32_e32 v159, 14, v152
	v_dual_mul_f32 v149, s34, v192 :: v_dual_mul_f32 v150, s34, v191
	v_dual_mul_f32 v147, s34, v194 :: v_dual_mul_f32 v148, s34, v193
	;; [unrolled: 1-line block ×3, first 2 shown]
	s_delay_alu instid0(VALU_DEP_3) | instskip(NEXT) | instid1(VALU_DEP_4)
	v_cndmask_b32_e32 v150, 0xff7fffff, v150, vcc_lo
	v_cndmask_b32_e64 v149, 0xff7fffff, v149, s2
	v_mul_f32_e32 v146, s34, v195
	v_cndmask_b32_e64 v148, 0xff7fffff, v148, s3
	v_cndmask_b32_e64 v147, 0xff7fffff, v147, s4
	v_or_b32_e32 v160, 16, v152
	v_max3_f32 v149, v150, 0xff7fffff, v149
	v_or_b32_e32 v161, 18, v152
	v_mul_f32_e32 v144, s34, v197
	v_dual_mul_f32 v172, s34, v132 :: v_dual_mul_f32 v143, s34, v198
	v_cndmask_b32_e64 v146, 0xff7fffff, v146, s5
	v_cndmask_b32_e64 v145, 0xff7fffff, v145, s6
	v_max3_f32 v147, v149, v148, v147
	v_cmp_gt_i32_e64 s7, s28, v158
	v_cmp_gt_i32_e64 s8, s28, v159
	v_or_b32_e32 v162, 20, v152
	v_or_b32_e32 v163, 22, v152
	v_mul_f32_e32 v175, s34, v129
	v_cndmask_b32_e64 v144, 0xff7fffff, v144, s7
	v_max3_f32 v145, v147, v146, v145
	v_cmp_gt_i32_e64 s9, s28, v160
	v_cmp_gt_i32_e64 s10, s28, v161
	v_lshlrev_b32_e32 v160, 2, v151
	v_cndmask_b32_e64 v143, 0xff7fffff, v143, s8
	v_or_b32_e32 v164, 24, v152
	v_or_b32_e32 v165, 26, v152
	v_mul_f32_e32 v173, s34, v131
	v_cndmask_b32_e64 v146, 0xff7fffff, v175, s9
	v_cndmask_b32_e64 v147, 0xff7fffff, v174, s10
	v_max3_f32 v143, v145, v144, v143
	v_cmp_gt_i32_e64 s11, s28, v162
	v_cmp_gt_i32_e64 s12, s28, v163
	v_or_b32_e32 v166, 28, v152
	v_or_b32_e32 v167, 30, v152
	v_dual_mul_f32 v170, s34, v134 :: v_dual_mul_f32 v171, s34, v133
	v_cndmask_b32_e64 v144, 0xff7fffff, v173, s11
	v_cndmask_b32_e64 v145, 0xff7fffff, v172, s12
	v_max3_f32 v143, v143, v146, v147
	v_cmp_gt_i32_e64 s13, s28, v164
	v_cmp_gt_i32_e64 s15, s28, v165
	v_dual_mul_f32 v168, s34, v136 :: v_dual_mul_f32 v169, s34, v135
	s_delay_alu instid0(VALU_DEP_4) | instskip(NEXT) | instid1(VALU_DEP_4)
	v_max3_f32 v143, v143, v144, v145
	v_cndmask_b32_e64 v146, 0xff7fffff, v171, s13
	s_delay_alu instid0(VALU_DEP_4) | instskip(SKIP_2) | instid1(VALU_DEP_3)
	v_cndmask_b32_e64 v147, 0xff7fffff, v170, s15
	v_cmp_gt_i32_e64 s16, s28, v166
	v_cmp_gt_i32_e64 s17, s28, v167
	v_max3_f32 v143, v143, v146, v147
	s_delay_alu instid0(VALU_DEP_3) | instskip(NEXT) | instid1(VALU_DEP_3)
	v_cndmask_b32_e64 v144, 0xff7fffff, v169, s16
	v_cndmask_b32_e64 v145, 0xff7fffff, v168, s17
	s_delay_alu instid0(VALU_DEP_1) | instskip(SKIP_3) | instid1(VALU_DEP_1)
	v_max3_f32 v143, v143, v144, v145
	ds_bpermute_b32 v144, v160, v143
	s_waitcnt lgkmcnt(0)
	v_max_f32_e32 v144, v144, v144
	v_max_f32_e32 v159, v143, v144
	s_delay_alu instid0(VALU_DEP_1) | instskip(SKIP_4) | instid1(VALU_DEP_4)
	v_fma_f32 v145, s34, v193, -v159
	v_fma_f32 v146, s34, v194, -v159
	;; [unrolled: 1-line block ×5, first 2 shown]
	v_dual_mul_f32 v145, 0x3fb8aa3b, v145 :: v_dual_mul_f32 v146, 0x3fb8aa3b, v146
	s_delay_alu instid0(VALU_DEP_4) | instskip(SKIP_1) | instid1(VALU_DEP_4)
	v_mul_f32_e32 v132, 0x3fb8aa3b, v132
	v_fma_f32 v148, s34, v195, -v159
	v_mul_f32_e32 v144, 0x3fb8aa3b, v144
	s_delay_alu instid0(VALU_DEP_4)
	v_exp_f32_e32 v145, v145
	v_exp_f32_e32 v150, v146
	v_fma_f32 v149, s34, v196, -v159
	v_mul_f32_e32 v148, 0x3fb8aa3b, v148
	v_exp_f32_e32 v147, v144
	v_fma_f32 v134, s34, v134, -v159
	v_fma_f32 v151, s34, v197, -v159
	v_mul_f32_e32 v149, 0x3fb8aa3b, v149
	v_exp_f32_e32 v148, v148
	v_fma_f32 v152, s34, v198, -v159
	v_cndmask_b32_e64 v146, 0, v145, s3
	v_cndmask_b32_e64 v145, 0, v150, s4
	v_dual_mul_f32 v143, 0x3fb8aa3b, v143 :: v_dual_mul_f32 v134, 0x3fb8aa3b, v134
	v_mul_f32_e32 v151, 0x3fb8aa3b, v151
	v_exp_f32_e32 v149, v149
	v_fma_f32 v129, s34, v129, -v159
	s_delay_alu instid0(VALU_DEP_3)
	v_exp_f32_e32 v143, v143
	v_mul_f32_e32 v150, 0x3fb8aa3b, v152
	v_exp_f32_e32 v151, v151
	v_cndmask_b32_e64 v148, 0, v148, s5
	v_fma_f32 v130, s34, v130, -v159
	v_mul_f32_e32 v129, 0x3fb8aa3b, v129
	v_exp_f32_e32 v153, v150
	v_fma_f32 v131, s34, v131, -v159
	v_fma_f32 v133, s34, v133, -v159
	v_mul_f32_e32 v130, 0x3fb8aa3b, v130
	v_cndmask_b32_e32 v144, 0, v143, vcc_lo
	v_cndmask_b32_e64 v143, 0, v147, s2
	v_exp_f32_e32 v129, v129
	v_cndmask_b32_e64 v150, 0, v151, s7
	v_mul_f32_e32 v131, 0x3fb8aa3b, v131
	v_add_f32_e32 v147, 0, v144
	v_exp_f32_e32 v130, v130
	v_mul_f32_e32 v133, 0x3fb8aa3b, v133
	v_exp_f32_e32 v132, v132
	v_exp_f32_e32 v131, v131
	v_add_f32_e32 v147, v147, v143
	s_mov_b32 s2, exec_lo
	v_exp_f32_e32 v133, v133
	s_delay_alu instid0(VALU_DEP_1)
	v_add_f32_e32 v147, v147, v146
	s_waitcnt_depctr 0xfff
	v_cndmask_b32_e64 v154, 0, v131, s11
	v_add_f32_e32 v152, v147, v145
	v_cndmask_b32_e64 v147, 0, v149, s6
	v_exp_f32_e32 v131, v134
	v_cndmask_b32_e64 v156, 0, v133, s13
	s_delay_alu instid0(VALU_DEP_3) | instskip(SKIP_1) | instid1(VALU_DEP_2)
	v_add_f32_e32 v149, v152, v148
	v_cndmask_b32_e64 v152, 0, v129, s9
	v_add_f32_e32 v151, v149, v147
	v_cndmask_b32_e64 v149, 0, v153, s8
	v_cndmask_b32_e64 v153, 0, v132, s12
	v_fma_f32 v132, s34, v136, -v159
	s_delay_alu instid0(TRANS32_DEP_1) | instskip(NEXT) | instid1(VALU_DEP_2)
	v_cndmask_b32_e64 v155, 0, v131, s15
	v_dual_add_f32 v151, v151, v150 :: v_dual_mul_f32 v132, 0x3fb8aa3b, v132
	s_delay_alu instid0(VALU_DEP_1) | instskip(SKIP_2) | instid1(VALU_DEP_4)
	v_add_f32_e32 v129, v151, v149
	v_cndmask_b32_e64 v151, 0, v130, s10
	v_fma_f32 v130, s34, v135, -v159
	v_exp_f32_e32 v131, v132
	s_delay_alu instid0(VALU_DEP_1) | instskip(NEXT) | instid1(VALU_DEP_1)
	v_dual_add_f32 v129, v129, v152 :: v_dual_mul_f32 v130, 0x3fb8aa3b, v130
	v_add_f32_e32 v129, v129, v151
	s_delay_alu instid0(VALU_DEP_2) | instskip(SKIP_3) | instid1(VALU_DEP_1)
	v_exp_f32_e32 v130, v130
	s_waitcnt_depctr 0xfff
	v_cndmask_b32_e64 v157, 0, v131, s17
	v_add_f32_e32 v129, v129, v154
	v_add_f32_e32 v129, v129, v153
	v_cndmask_b32_e64 v158, 0, v130, s16
	s_delay_alu instid0(VALU_DEP_2) | instskip(NEXT) | instid1(VALU_DEP_1)
	v_add_f32_e32 v129, v129, v156
	v_add_f32_e32 v129, v129, v155
	s_delay_alu instid0(VALU_DEP_1) | instskip(NEXT) | instid1(VALU_DEP_1)
	v_add_f32_e32 v129, v129, v158
	v_add_f32_e32 v129, v129, v157
	ds_bpermute_b32 v130, v160, v129
	v_cmpx_gt_u32_e32 16, v142
	s_cbranch_execz .LBB257_12
; %bb.11:
	v_mul_u32_u24_e32 v131, 0x44, v140
	s_delay_alu instid0(VALU_DEP_1) | instskip(SKIP_1) | instid1(VALU_DEP_1)
	v_lshl_add_u32 v131, v141, 2, v131
	s_waitcnt lgkmcnt(0)
	v_dual_add_f32 v129, v129, v130 :: v_dual_add_nc_u32 v130, 0x4000, v131
	ds_store_2addr_b32 v130, v159, v129 offset1:136
.LBB257_12:
	s_or_b32 exec_lo, exec_lo, s2
	v_lshlrev_b32_e32 v129, 2, v141
	s_load_b32 s34, s[0:1], 0x94
	s_waitcnt lgkmcnt(0)
	s_barrier
	buffer_gl0_inv
	v_add_nc_u32_e32 v135, 0x4000, v129
	v_cmp_eq_u32_e32 vcc_lo, 1, v140
	v_cmp_eq_u32_e64 s2, 2, v140
	v_cmp_eq_u32_e64 s3, 3, v140
	;; [unrolled: 1-line block ×3, first 2 shown]
	ds_load_2addr_b32 v[129:130], v135 offset1:17
	ds_load_2addr_b32 v[131:132], v135 offset0:34 offset1:51
	ds_load_2addr_b32 v[133:134], v135 offset0:68 offset1:85
	;; [unrolled: 1-line block ×3, first 2 shown]
	v_cmp_eq_u32_e64 s5, 5, v140
	v_cmp_eq_u32_e64 s6, 7, v140
	s_waitcnt lgkmcnt(3)
	v_max3_f32 v136, v129, 0xff7fffff, v130
	s_waitcnt lgkmcnt(2)
	s_delay_alu instid0(VALU_DEP_1) | instskip(SKIP_1) | instid1(VALU_DEP_1)
	v_max3_f32 v136, v136, v131, v132
	s_waitcnt lgkmcnt(1)
	v_max3_f32 v136, v136, v133, v134
	s_waitcnt lgkmcnt(0)
	s_delay_alu instid0(VALU_DEP_1) | instskip(NEXT) | instid1(VALU_DEP_1)
	v_max3_f32 v136, v136, v159, v160
	v_sub_f32_e32 v164, v132, v136
	ds_load_2addr_b32 v[161:162], v135 offset0:136 offset1:153
	v_sub_f32_e32 v142, v130, v136
	v_sub_f32_e32 v129, v129, v136
	v_mul_f32_e32 v164, 0x3fb8aa3b, v164
	s_delay_alu instid0(VALU_DEP_2)
	v_dual_mul_f32 v142, 0x3fb8aa3b, v142 :: v_dual_mul_f32 v163, 0x3fb8aa3b, v129
	ds_load_2addr_b32 v[129:130], v135 offset0:170 offset1:187
	v_exp_f32_e32 v164, v164
	v_exp_f32_e32 v166, v142
	;; [unrolled: 1-line block ×3, first 2 shown]
	s_waitcnt lgkmcnt(1)
	s_waitcnt_depctr 0xfff
	v_fma_f32 v142, v163, v161, 0
	s_delay_alu instid0(VALU_DEP_1) | instskip(NEXT) | instid1(VALU_DEP_1)
	v_dual_sub_f32 v131, v131, v136 :: v_dual_fmac_f32 v142, v166, v162
	v_mul_f32_e32 v165, 0x3fb8aa3b, v131
	ds_load_2addr_b32 v[131:132], v135 offset0:204 offset1:221
	v_exp_f32_e32 v165, v165
	s_waitcnt lgkmcnt(1)
	s_waitcnt_depctr 0xfff
	v_dual_sub_f32 v161, v134, v136 :: v_dual_fmac_f32 v142, v165, v129
	v_sub_f32_e32 v129, v160, v136
	s_delay_alu instid0(VALU_DEP_1) | instskip(SKIP_1) | instid1(VALU_DEP_2)
	v_dual_fmac_f32 v142, v164, v130 :: v_dual_mul_f32 v129, 0x3fb8aa3b, v129
	v_cndmask_b32_e32 v130, v163, v166, vcc_lo
	v_exp_f32_e32 v162, v129
	v_sub_f32_e32 v133, v133, v136
	s_delay_alu instid0(VALU_DEP_1)
	v_mul_f32_e32 v167, 0x3fb8aa3b, v133
	ds_load_2addr_b32 v[133:134], v135 offset0:238 offset1:255
	v_sub_f32_e32 v135, v159, v136
	v_mul_f32_e32 v159, 0x3fb8aa3b, v161
	s_waitcnt lgkmcnt(0)
	v_exp_f32_e32 v161, v167
	s_barrier
	buffer_gl0_inv
	v_exp_f32_e32 v159, v159
	v_fmac_f32_e32 v142, v161, v131
	s_waitcnt_depctr 0xfff
	v_dual_mul_f32 v135, 0x3fb8aa3b, v135 :: v_dual_fmac_f32 v142, v159, v132
	s_delay_alu instid0(VALU_DEP_1) | instskip(SKIP_2) | instid1(VALU_DEP_1)
	v_exp_f32_e32 v160, v135
	s_waitcnt_depctr 0xfff
	v_fmac_f32_e32 v142, v160, v133
	v_dual_fmac_f32 v142, v162, v134 :: v_dual_lshlrev_b32 v133, 6, v141
	s_delay_alu instid0(VALU_DEP_1) | instskip(NEXT) | instid1(VALU_DEP_2)
	v_lshl_or_b32 v135, v140, 11, v133
	v_add_f32_e32 v134, 0x358637bd, v142
	s_delay_alu instid0(VALU_DEP_1) | instskip(SKIP_1) | instid1(VALU_DEP_2)
	v_div_scale_f32 v167, null, v134, v134, 1.0
	v_div_scale_f32 v163, vcc_lo, 1.0, v134, 1.0
	v_rcp_f32_e32 v168, v167
	s_waitcnt_depctr 0xfff
	v_fma_f32 v129, -v167, v168, 1.0
	s_delay_alu instid0(VALU_DEP_1) | instskip(SKIP_2) | instid1(VALU_DEP_2)
	v_fmac_f32_e32 v168, v129, v168
	v_cndmask_b32_e64 v129, v130, v165, s2
	v_cmp_eq_u32_e64 s2, 6, v140
	v_cndmask_b32_e64 v130, v129, v164, s3
	v_lshlrev_b32_e32 v129, 2, v138
	s_delay_alu instid0(VALU_DEP_2) | instskip(NEXT) | instid1(VALU_DEP_2)
	v_cndmask_b32_e64 v141, v130, v161, s4
	v_or_b32_e32 v130, 1, v129
	v_or_b32_e32 v132, 2, v129
	v_cmp_eq_u32_e64 s3, 1, v129
	v_cmp_eq_u32_e64 s4, 2, v129
	v_cndmask_b32_e64 v140, v141, v159, s5
	v_cmp_eq_u32_e64 s8, 1, v130
	v_cmp_eq_u32_e64 s9, 1, v132
	;; [unrolled: 1-line block ×4, first 2 shown]
	v_cndmask_b32_e64 v140, v140, v160, s2
	v_cmp_eq_u32_e64 s12, 3, v130
	v_cmp_eq_u32_e64 s16, 3, v132
	v_cmp_eq_u32_e64 s2, 4, v129
	v_cmp_eq_u32_e64 s18, 4, v130
	v_cndmask_b32_e64 v140, v140, v162, s6
	v_mul_f32_e32 v165, v163, v168
	v_cmp_eq_u32_e64 s5, 5, v129
	v_cmp_eq_u32_e64 s19, 5, v130
	;; [unrolled: 1-line block ×4, first 2 shown]
	v_fma_f32 v131, -v167, v165, v163
	v_cmp_eq_u32_e64 s24, 6, v130
	v_cmp_eq_u32_e64 s6, 6, v129
	;; [unrolled: 1-line block ×4, first 2 shown]
	v_fmac_f32_e32 v165, v131, v168
	v_or_b32_e32 v131, 3, v129
	v_cmp_eq_u32_e64 s7, 7, v129
	v_cmp_eq_u32_e64 s27, 7, v132
	s_delay_alu instid0(VALU_DEP_4) | instskip(NEXT) | instid1(VALU_DEP_4)
	v_fma_f32 v141, -v167, v165, v163
	v_cmp_eq_u32_e64 s10, 1, v131
	v_cmp_eq_u32_e64 s15, 2, v131
	;; [unrolled: 1-line block ×4, first 2 shown]
	v_div_fmas_f32 v141, v141, v168, v165
	v_cmp_eq_u32_e32 vcc_lo, 3, v129
	v_cmp_eq_u32_e64 s23, 5, v131
	v_cmp_eq_u32_e64 s26, 6, v131
	;; [unrolled: 1-line block ×3, first 2 shown]
	v_div_fixup_f32 v141, v141, v134, 1.0
	v_lshl_or_b32 v134, v138, 4, v135
	s_delay_alu instid0(VALU_DEP_2) | instskip(NEXT) | instid1(VALU_DEP_1)
	v_mul_f32_e32 v140, v140, v141
	v_fma_mixlo_f16 v159, v140, v144, 0
	v_fma_mixlo_f16 v160, v140, v146, 0
	;; [unrolled: 1-line block ×8, first 2 shown]
	v_fma_mixhi_f16 v159, v140, v143, 0
	v_fma_mixhi_f16 v160, v140, v145, 0
	;; [unrolled: 1-line block ×8, first 2 shown]
	ds_store_b128 v134, v[159:162]
	ds_store_b128 v134, v[163:166] offset:1024
	s_waitcnt lgkmcnt(0)
	s_barrier
	buffer_gl0_inv
	ds_load_b128 v[143:146], v135
	ds_load_b128 v[147:150], v135 offset:16
	ds_load_b128 v[151:154], v135 offset:1024
	;; [unrolled: 1-line block ×3, first 2 shown]
	s_waitcnt lgkmcnt(3)
	v_lshrrev_b32_e32 v140, 16, v143
	s_waitcnt lgkmcnt(2)
	v_lshrrev_b32_e32 v161, 16, v147
	;; [unrolled: 2-line block ×4, first 2 shown]
	v_lshrrev_b32_e32 v141, 16, v144
	v_cndmask_b32_e64 v173, v143, v140, s3
	v_cndmask_b32_e64 v174, v147, v161, s3
	;; [unrolled: 1-line block ×7, first 2 shown]
	v_lshrrev_b32_e32 v162, 16, v148
	v_cndmask_b32_e64 v178, v147, v161, s9
	v_cndmask_b32_e64 v147, v151, v165, s3
	;; [unrolled: 1-line block ×16, first 2 shown]
	v_lshrrev_b32_e32 v166, 16, v152
	v_cndmask_b32_e64 v176, v178, v148, s13
	v_cndmask_b32_e64 v144, v147, v152, s4
	;; [unrolled: 1-line block ×7, first 2 shown]
	v_cndmask_b32_e32 v155, v165, v141, vcc_lo
	v_cndmask_b32_e32 v165, v169, v162, vcc_lo
	v_cndmask_b32_e64 v169, v173, v141, s12
	v_cndmask_b32_e64 v173, v174, v162, s12
	v_cndmask_b32_e64 v174, v175, v141, s16
	v_cndmask_b32_e64 v140, v140, v141, s17
	v_cndmask_b32_e64 v141, v143, v162, s17
	v_lshrrev_b32_e32 v159, 16, v145
	v_lshrrev_b32_e32 v163, 16, v149
	;; [unrolled: 1-line block ×3, first 2 shown]
	v_cndmask_b32_e64 v140, v140, v145, s21
	v_cndmask_b32_e64 v141, v141, v149, s21
	;; [unrolled: 1-line block ×3, first 2 shown]
	v_cndmask_b32_e32 v143, v144, v166, vcc_lo
	v_cndmask_b32_e32 v144, v147, v170, vcc_lo
	v_cndmask_b32_e64 v147, v148, v166, s12
	v_cndmask_b32_e64 v148, v155, v145, s2
	;; [unrolled: 1-line block ×7, first 2 shown]
	v_lshrrev_b32_e32 v160, 16, v146
	v_lshrrev_b32_e32 v164, 16, v150
	;; [unrolled: 1-line block ×4, first 2 shown]
	v_cndmask_b32_e64 v169, v174, v145, s20
	v_cndmask_b32_e64 v173, v175, v149, s20
	v_cndmask_b32_e64 v143, v143, v153, s2
	v_cndmask_b32_e64 v144, v144, v157, s2
	v_cndmask_b32_e64 v145, v147, v153, s18
	v_cndmask_b32_e64 v147, v148, v159, s5
	v_cndmask_b32_e64 v148, v155, v163, s5
	v_cndmask_b32_e64 v149, v162, v159, s19
	v_cndmask_b32_e64 v155, v165, v163, s19
	v_cndmask_b32_e64 v140, v140, v146, s26
	v_cndmask_b32_e64 v141, v141, v150, s26
	v_cndmask_b32_e64 v162, v169, v159, s22
	v_cndmask_b32_e64 v165, v173, v163, s22
	v_cndmask_b32_e64 v143, v143, v167, s5
	v_cndmask_b32_e64 v144, v144, v171, s5
	v_cndmask_b32_e64 v145, v145, v167, s19
	v_cndmask_b32_e64 v149, v149, v146, s24
	v_cndmask_b32_e64 v155, v155, v150, s24
	v_cndmask_b32_e64 v140, v140, v160, s28
	v_cndmask_b32_e64 v141, v141, v164, s28
	v_lshrrev_b32_e32 v168, 16, v154
	v_cndmask_b32_e64 v147, v147, v146, s6
	v_cndmask_b32_e64 v148, v148, v150, s6
	;; [unrolled: 1-line block ×9, first 2 shown]
	v_perm_b32 v146, v141, v140, 0x5040100
	v_cndmask_b32_e64 v140, v182, v156, s13
	v_cndmask_b32_e64 v141, v180, v156, s11
	;; [unrolled: 1-line block ×7, first 2 shown]
	v_perm_b32 v144, v155, v149, 0x5040100
	v_cndmask_b32_e64 v143, v161, v166, s16
	v_cndmask_b32_e64 v149, v151, v166, s17
	;; [unrolled: 1-line block ×15, first 2 shown]
	v_lshrrev_b32_e32 v172, 16, v158
	v_cndmask_b32_e64 v143, v143, v154, s25
	v_cndmask_b32_e64 v149, v149, v154, s26
	v_cndmask_b32_e64 v151, v151, v158, s26
	v_cndmask_b32_e64 v140, v140, v158, s25
	v_cndmask_b32_e64 v141, v141, v158, s24
	v_cndmask_b32_e64 v148, v148, v164, s7
	v_cndmask_b32_e64 v152, v143, v168, s27
	v_cndmask_b32_e64 v149, v149, v168, s28
	v_cndmask_b32_e64 v151, v151, v172, s28
	v_cndmask_b32_e64 v140, v140, v172, s27
	v_cndmask_b32_e64 v141, v141, v172, s29
	v_cndmask_b32_e64 v153, v150, v172, s7
	v_perm_b32 v145, v159, v145, 0x5040100
	v_perm_b32 v143, v148, v147, 0x5040100
	;; [unrolled: 1-line block ×6, first 2 shown]
	s_lshl_b32 s6, s33, 3
	s_mov_b32 s2, exec_lo
	ds_store_b128 v134, v[143:146]
	ds_store_b128 v134, v[147:150] offset:1024
	v_cmpx_gt_u32_e32 8, v0
	s_cbranch_execz .LBB257_14
; %bb.13:
	v_or_b32_e32 v140, s31, v0
	s_load_b128 s[8:11], s[0:1], 0x58
	s_delay_alu instid0(VALU_DEP_1) | instskip(NEXT) | instid1(VALU_DEP_1)
	v_mad_u64_u32 v[143:144], null, s6, s30, v[140:141]
	v_mad_u64_u32 v[140:141], null, v143, s34, s[14:15]
	s_delay_alu instid0(VALU_DEP_1) | instskip(NEXT) | instid1(VALU_DEP_1)
	v_ashrrev_i32_e32 v141, 31, v140
	v_lshlrev_b64 v[140:141], 2, v[140:141]
	s_waitcnt lgkmcnt(0)
	s_delay_alu instid0(VALU_DEP_1) | instskip(NEXT) | instid1(VALU_DEP_2)
	v_add_co_u32 v143, vcc_lo, s10, v140
	v_add_co_ci_u32_e32 v144, vcc_lo, s11, v141, vcc_lo
	v_add_co_u32 v140, vcc_lo, s8, v140
	v_add_co_ci_u32_e32 v141, vcc_lo, s9, v141, vcc_lo
	global_store_b32 v[143:144], v136, off
	global_store_b32 v[140:141], v142, off
.LBB257_14:
	s_or_b32 exec_lo, exec_lo, s2
	s_waitcnt lgkmcnt(0)
	s_waitcnt_vscnt null, 0x0
	s_barrier
	buffer_gl0_inv
	ds_load_b128 v[148:151], v133
	ds_load_b128 v[152:155], v133 offset:16
	ds_load_b128 v[160:163], v133 offset:1040
	;; [unrolled: 1-line block ×5, first 2 shown]
	v_cmp_eq_u32_e32 vcc_lo, 1, v132
	v_mov_b32_e32 v140, 0
	ds_load_b128 v[176:179], v133 offset:3088
	ds_load_b128 v[172:175], v133 offset:3072
	;; [unrolled: 1-line block ×4, first 2 shown]
	v_cmp_eq_u32_e64 s2, 1, v129
	v_cmp_eq_u32_e64 s3, 1, v131
	;; [unrolled: 1-line block ×3, first 2 shown]
	v_mov_b32_e32 v141, v140
	v_mov_b32_e32 v142, v140
	;; [unrolled: 1-line block ×7, first 2 shown]
	v_cmp_eq_u32_e64 s5, 2, v129
	s_waitcnt lgkmcnt(8)
	s_delay_alu instid0(VALU_DEP_2)
	v_wmma_f32_16x16x16_f16 v[140:147], v[121:128], v[148:155], v[140:147]
	ds_load_b128 v[125:128], v133 offset:5136
	ds_load_b128 v[121:124], v133 offset:5120
	s_waitcnt lgkmcnt(8)
	v_wmma_f32_16x16x16_f16 v[140:147], v[113:120], v[156:163], v[140:147]
	ds_load_b128 v[117:120], v133 offset:6160
	ds_load_b128 v[113:116], v133 offset:6144
	s_waitcnt lgkmcnt(8)
	;; [unrolled: 4-line block ×11, first 2 shown]
	s_barrier
	buffer_gl0_inv
	v_wmma_f32_16x16x16_f16 v[140:147], v[1:8], v[73:80], v[140:147]
	s_delay_alu instid0(VALU_DEP_1) | instskip(NEXT) | instid1(VALU_DEP_1)
	v_wmma_f32_16x16x16_f16 v[140:147], v[9:16], v[65:72], v[140:147]
	v_wmma_f32_16x16x16_f16 v[140:147], v[33:40], v[57:64], v[140:147]
	s_delay_alu instid0(VALU_DEP_1) | instskip(NEXT) | instid1(VALU_DEP_1)
	v_wmma_f32_16x16x16_f16 v[140:147], v[41:48], v[49:56], v[140:147]
	v_wmma_f32_16x16x16_f16 v[140:147], v[17:24], v[25:32], v[140:147]
	s_delay_alu instid0(VALU_DEP_1) | instskip(NEXT) | instid1(VALU_DEP_2)
	v_cvt_f16_f32_e64 v1, v140
	v_cvt_f16_f32_e64 v2, v141
	s_delay_alu instid0(VALU_DEP_3) | instskip(NEXT) | instid1(VALU_DEP_4)
	v_cvt_f16_f32_e64 v3, v142
	v_cvt_f16_f32_e64 v4, v143
	;; [unrolled: 1-line block ×6, first 2 shown]
	v_pack_b32_f16 v1, v1, v2
	v_pack_b32_f16 v2, v3, v4
	;; [unrolled: 1-line block ×3, first 2 shown]
	s_delay_alu instid0(VALU_DEP_4)
	v_pack_b32_f16 v4, v7, v8
	ds_store_b128 v134, v[1:4]
	s_waitcnt lgkmcnt(0)
	s_barrier
	buffer_gl0_inv
	ds_load_b128 v[1:4], v135
	ds_load_b128 v[5:8], v135 offset:16
	s_waitcnt lgkmcnt(1)
	v_lshrrev_b32_e32 v9, 16, v1
	s_waitcnt lgkmcnt(0)
	v_lshrrev_b32_e32 v13, 16, v5
	v_lshrrev_b32_e32 v10, 16, v2
	;; [unrolled: 1-line block ×4, first 2 shown]
	v_cndmask_b32_e64 v17, v1, v9, s2
	v_cndmask_b32_e64 v18, v5, v13, s2
	;; [unrolled: 1-line block ×3, first 2 shown]
	v_cmp_eq_u32_e64 s2, 2, v130
	v_cndmask_b32_e64 v20, v5, v13, s4
	v_cndmask_b32_e32 v21, v1, v9, vcc_lo
	v_cndmask_b32_e32 v22, v5, v13, vcc_lo
	v_cndmask_b32_e64 v1, v1, v9, s3
	v_cndmask_b32_e64 v5, v5, v13, s3
	v_cmp_eq_u32_e32 vcc_lo, 2, v132
	v_cmp_eq_u32_e64 s3, 2, v131
	v_cndmask_b32_e64 v9, v17, v2, s5
	v_cndmask_b32_e64 v13, v18, v6, s5
	;; [unrolled: 1-line block ×4, first 2 shown]
	v_cndmask_b32_e32 v19, v21, v2, vcc_lo
	v_cmp_eq_u32_e64 s2, 3, v132
	v_cndmask_b32_e32 v20, v22, v6, vcc_lo
	v_cndmask_b32_e64 v1, v1, v2, s3
	v_cmp_eq_u32_e32 vcc_lo, 3, v131
	v_cmp_eq_u32_e64 s4, 3, v129
	v_cndmask_b32_e64 v2, v5, v6, s3
	v_cmp_eq_u32_e64 s3, 3, v130
	v_cmp_eq_u32_e64 s5, 4, v129
	v_cndmask_b32_e32 v1, v1, v10, vcc_lo
	v_cndmask_b32_e64 v5, v9, v10, s4
	v_cndmask_b32_e64 v6, v13, v14, s4
	;; [unrolled: 1-line block ×3, first 2 shown]
	v_cmp_eq_u32_e64 s4, 4, v130
	v_cndmask_b32_e64 v13, v18, v14, s3
	v_cndmask_b32_e64 v17, v19, v10, s2
	v_cndmask_b32_e64 v18, v20, v14, s2
	v_cndmask_b32_e32 v2, v2, v14, vcc_lo
	v_cmp_eq_u32_e32 vcc_lo, 4, v132
	v_cmp_eq_u32_e64 s3, 4, v131
	v_lshrrev_b32_e32 v15, 16, v7
	v_cndmask_b32_e64 v5, v5, v3, s5
	v_cndmask_b32_e64 v6, v6, v7, s5
	v_cndmask_b32_e32 v14, v18, v7, vcc_lo
	v_cndmask_b32_e64 v9, v9, v3, s4
	v_cndmask_b32_e64 v10, v13, v7, s4
	v_cndmask_b32_e32 v13, v17, v3, vcc_lo
	v_cmp_eq_u32_e64 s2, 5, v132
	v_cndmask_b32_e64 v1, v1, v3, s3
	v_cmp_eq_u32_e32 vcc_lo, 5, v131
	v_cmp_eq_u32_e64 s4, 5, v129
	v_cndmask_b32_e64 v2, v2, v7, s3
	v_cmp_eq_u32_e64 s3, 5, v130
	v_cmp_eq_u32_e64 s5, 6, v129
	v_lshrrev_b32_e32 v12, 16, v4
	v_cndmask_b32_e64 v3, v5, v11, s4
	v_cndmask_b32_e64 v5, v6, v15, s4
	;; [unrolled: 1-line block ×3, first 2 shown]
	v_cmp_eq_u32_e64 s4, 6, v130
	v_cndmask_b32_e64 v7, v10, v15, s3
	v_cndmask_b32_e64 v9, v13, v11, s2
	;; [unrolled: 1-line block ×3, first 2 shown]
	v_cndmask_b32_e32 v1, v1, v11, vcc_lo
	v_cndmask_b32_e32 v2, v2, v15, vcc_lo
	v_cmp_eq_u32_e32 vcc_lo, 6, v132
	v_cmp_eq_u32_e64 s2, 6, v131
	v_lshrrev_b32_e32 v16, 16, v8
	v_cndmask_b32_e64 v3, v3, v4, s5
	v_cndmask_b32_e64 v5, v5, v8, s5
	v_cndmask_b32_e32 v9, v9, v4, vcc_lo
	v_cndmask_b32_e64 v6, v6, v4, s4
	v_cndmask_b32_e64 v7, v7, v8, s4
	v_cmp_eq_u32_e64 s3, 7, v132
	v_cndmask_b32_e32 v10, v10, v8, vcc_lo
	v_cndmask_b32_e64 v1, v1, v4, s2
	v_cmp_eq_u32_e32 vcc_lo, 7, v131
	v_cndmask_b32_e64 v2, v2, v8, s2
	v_cmp_eq_u32_e64 s2, 7, v129
	v_cmp_eq_u32_e64 s4, 7, v130
	v_cndmask_b32_e32 v1, v1, v12, vcc_lo
	s_delay_alu instid0(VALU_DEP_4) | instskip(NEXT) | instid1(VALU_DEP_4)
	v_cndmask_b32_e32 v2, v2, v16, vcc_lo
	v_cndmask_b32_e64 v8, v3, v12, s2
	s_delay_alu instid0(VALU_DEP_4)
	v_cndmask_b32_e64 v6, v6, v12, s4
	v_cndmask_b32_e64 v3, v9, v12, s3
	;; [unrolled: 1-line block ×5, first 2 shown]
	v_perm_b32 v4, v2, v1, 0x5040100
	s_mov_b32 s2, exec_lo
	v_perm_b32 v3, v9, v3, 0x5040100
	v_perm_b32 v2, v7, v6, 0x5040100
	;; [unrolled: 1-line block ×3, first 2 shown]
	ds_store_b128 v134, v[1:4]
	s_waitcnt lgkmcnt(0)
	s_barrier
	buffer_gl0_inv
	v_cmpx_gt_u32_e32 32, v0
	s_cbranch_execz .LBB257_2
; %bb.15:
	s_load_b64 s[0:1], s[0:1], 0x68
	s_lshl_b32 s4, s34, 7
	v_or_b32_e32 v2, s31, v138
	s_mul_i32 s2, s4, s30
	v_lshlrev_b32_e32 v1, 10, v0
	s_mul_i32 s2, s2, s6
	v_lshlrev_b32_e32 v3, 4, v139
	v_mul_lo_u32 v0, v2, s4
	s_ashr_i32 s3, s2, 31
	v_lshlrev_b32_e32 v4, 6, v138
	v_and_b32_e32 v1, 0x3800, v1
	v_or_b32_e32 v5, 2, v2
	s_lshl_b64 s[2:3], s[2:3], 1
	v_or_b32_e32 v6, 4, v2
	v_or_b32_e32 v7, 6, v2
	v_or3_b32 v12, v1, v3, v4
	v_ashrrev_i32_e32 v1, 31, v0
	v_mul_lo_u32 v2, v5, s4
	v_mul_lo_u32 v16, v6, s4
	;; [unrolled: 1-line block ×3, first 2 shown]
	s_waitcnt lgkmcnt(0)
	s_add_u32 s2, s0, s2
	s_addc_u32 s3, s1, s3
	s_lshl_b32 s0, s14, 7
	v_lshlrev_b64 v[0:1], 1, v[0:1]
	s_ashr_i32 s1, s0, 31
	v_ashrrev_i32_e32 v3, 31, v2
	s_lshl_b64 s[0:1], s[0:1], 1
	v_ashrrev_i32_e32 v17, 31, v16
	s_add_u32 s0, s2, s0
	s_addc_u32 s1, s3, s1
	v_add_co_u32 v24, s0, s0, v137
	s_delay_alu instid0(VALU_DEP_1) | instskip(SKIP_1) | instid1(VALU_DEP_3)
	v_add_co_ci_u32_e64 v25, null, s1, 0, s0
	v_lshlrev_b64 v[22:23], 1, v[2:3]
	v_add_co_u32 v18, vcc_lo, v24, v0
	s_delay_alu instid0(VALU_DEP_3)
	v_add_co_ci_u32_e32 v19, vcc_lo, v25, v1, vcc_lo
	ds_load_b128 v[0:3], v12
	ds_load_b128 v[4:7], v12 offset:128
	ds_load_b128 v[8:11], v12 offset:256
	;; [unrolled: 1-line block ×3, first 2 shown]
	v_ashrrev_i32_e32 v21, 31, v20
	v_lshlrev_b64 v[16:17], 1, v[16:17]
	v_add_co_u32 v22, vcc_lo, v24, v22
	v_add_co_ci_u32_e32 v23, vcc_lo, v25, v23, vcc_lo
	s_delay_alu instid0(VALU_DEP_4) | instskip(NEXT) | instid1(VALU_DEP_4)
	v_lshlrev_b64 v[20:21], 1, v[20:21]
	v_add_co_u32 v16, vcc_lo, v24, v16
	v_add_co_ci_u32_e32 v17, vcc_lo, v25, v17, vcc_lo
	s_delay_alu instid0(VALU_DEP_3) | instskip(NEXT) | instid1(VALU_DEP_4)
	v_add_co_u32 v20, vcc_lo, v24, v20
	v_add_co_ci_u32_e32 v21, vcc_lo, v25, v21, vcc_lo
	s_waitcnt lgkmcnt(3)
	global_store_b128 v[18:19], v[0:3], off
	s_waitcnt lgkmcnt(2)
	global_store_b128 v[22:23], v[4:7], off
	;; [unrolled: 2-line block ×4, first 2 shown]
	s_nop 0
	s_sendmsg sendmsg(MSG_DEALLOC_VGPRS)
	s_endpgm
	.section	.rodata,"a",@progbits
	.p2align	6, 0x0
	.amdhsa_kernel _Z39paged_attention_ll4mi_QKV_mfma16_kernelIDF16_DF16_LN4vllm18Fp8KVCacheDataTypeE0EDF16_Li16ELi128ELi256ELb1ELi8EL8MFMAType0EEvPKT_PKT0_S8_ifPKiSA_SA_iPKfiiiPfSD_PS3_PT2_iSC_SC_
		.amdhsa_group_segment_fixed_size 17472
		.amdhsa_private_segment_fixed_size 0
		.amdhsa_kernarg_size 400
		.amdhsa_user_sgpr_count 13
		.amdhsa_user_sgpr_dispatch_ptr 0
		.amdhsa_user_sgpr_queue_ptr 0
		.amdhsa_user_sgpr_kernarg_segment_ptr 1
		.amdhsa_user_sgpr_dispatch_id 0
		.amdhsa_user_sgpr_private_segment_size 0
		.amdhsa_wavefront_size32 1
		.amdhsa_uses_dynamic_stack 0
		.amdhsa_enable_private_segment 0
		.amdhsa_system_sgpr_workgroup_id_x 1
		.amdhsa_system_sgpr_workgroup_id_y 1
		.amdhsa_system_sgpr_workgroup_id_z 1
		.amdhsa_system_sgpr_workgroup_info 0
		.amdhsa_system_vgpr_workitem_id 0
		.amdhsa_next_free_vgpr 218
		.amdhsa_next_free_sgpr 52
		.amdhsa_reserve_vcc 1
		.amdhsa_float_round_mode_32 0
		.amdhsa_float_round_mode_16_64 0
		.amdhsa_float_denorm_mode_32 3
		.amdhsa_float_denorm_mode_16_64 3
		.amdhsa_dx10_clamp 1
		.amdhsa_ieee_mode 1
		.amdhsa_fp16_overflow 0
		.amdhsa_workgroup_processor_mode 1
		.amdhsa_memory_ordered 1
		.amdhsa_forward_progress 0
		.amdhsa_shared_vgpr_count 0
		.amdhsa_exception_fp_ieee_invalid_op 0
		.amdhsa_exception_fp_denorm_src 0
		.amdhsa_exception_fp_ieee_div_zero 0
		.amdhsa_exception_fp_ieee_overflow 0
		.amdhsa_exception_fp_ieee_underflow 0
		.amdhsa_exception_fp_ieee_inexact 0
		.amdhsa_exception_int_div_zero 0
	.end_amdhsa_kernel
	.section	.text._Z39paged_attention_ll4mi_QKV_mfma16_kernelIDF16_DF16_LN4vllm18Fp8KVCacheDataTypeE0EDF16_Li16ELi128ELi256ELb1ELi8EL8MFMAType0EEvPKT_PKT0_S8_ifPKiSA_SA_iPKfiiiPfSD_PS3_PT2_iSC_SC_,"axG",@progbits,_Z39paged_attention_ll4mi_QKV_mfma16_kernelIDF16_DF16_LN4vllm18Fp8KVCacheDataTypeE0EDF16_Li16ELi128ELi256ELb1ELi8EL8MFMAType0EEvPKT_PKT0_S8_ifPKiSA_SA_iPKfiiiPfSD_PS3_PT2_iSC_SC_,comdat
.Lfunc_end257:
	.size	_Z39paged_attention_ll4mi_QKV_mfma16_kernelIDF16_DF16_LN4vllm18Fp8KVCacheDataTypeE0EDF16_Li16ELi128ELi256ELb1ELi8EL8MFMAType0EEvPKT_PKT0_S8_ifPKiSA_SA_iPKfiiiPfSD_PS3_PT2_iSC_SC_, .Lfunc_end257-_Z39paged_attention_ll4mi_QKV_mfma16_kernelIDF16_DF16_LN4vllm18Fp8KVCacheDataTypeE0EDF16_Li16ELi128ELi256ELb1ELi8EL8MFMAType0EEvPKT_PKT0_S8_ifPKiSA_SA_iPKfiiiPfSD_PS3_PT2_iSC_SC_
                                        ; -- End function
	.section	.AMDGPU.csdata,"",@progbits
; Kernel info:
; codeLenInByte = 8088
; NumSgprs: 54
; NumVgprs: 218
; ScratchSize: 0
; MemoryBound: 0
; FloatMode: 240
; IeeeMode: 1
; LDSByteSize: 17472 bytes/workgroup (compile time only)
; SGPRBlocks: 6
; VGPRBlocks: 27
; NumSGPRsForWavesPerEU: 54
; NumVGPRsForWavesPerEU: 218
; Occupancy: 6
; WaveLimiterHint : 1
; COMPUTE_PGM_RSRC2:SCRATCH_EN: 0
; COMPUTE_PGM_RSRC2:USER_SGPR: 13
; COMPUTE_PGM_RSRC2:TRAP_HANDLER: 0
; COMPUTE_PGM_RSRC2:TGID_X_EN: 1
; COMPUTE_PGM_RSRC2:TGID_Y_EN: 1
; COMPUTE_PGM_RSRC2:TGID_Z_EN: 1
; COMPUTE_PGM_RSRC2:TIDIG_COMP_CNT: 0
	.section	.text._Z39paged_attention_ll4mi_QKV_mfma16_kernelIDF16_DF16_LN4vllm18Fp8KVCacheDataTypeE0EDF16_Li16ELi128ELi256ELb1ELi9EL8MFMAType0EEvPKT_PKT0_S8_ifPKiSA_SA_iPKfiiiPfSD_PS3_PT2_iSC_SC_,"axG",@progbits,_Z39paged_attention_ll4mi_QKV_mfma16_kernelIDF16_DF16_LN4vllm18Fp8KVCacheDataTypeE0EDF16_Li16ELi128ELi256ELb1ELi9EL8MFMAType0EEvPKT_PKT0_S8_ifPKiSA_SA_iPKfiiiPfSD_PS3_PT2_iSC_SC_,comdat
	.protected	_Z39paged_attention_ll4mi_QKV_mfma16_kernelIDF16_DF16_LN4vllm18Fp8KVCacheDataTypeE0EDF16_Li16ELi128ELi256ELb1ELi9EL8MFMAType0EEvPKT_PKT0_S8_ifPKiSA_SA_iPKfiiiPfSD_PS3_PT2_iSC_SC_ ; -- Begin function _Z39paged_attention_ll4mi_QKV_mfma16_kernelIDF16_DF16_LN4vllm18Fp8KVCacheDataTypeE0EDF16_Li16ELi128ELi256ELb1ELi9EL8MFMAType0EEvPKT_PKT0_S8_ifPKiSA_SA_iPKfiiiPfSD_PS3_PT2_iSC_SC_
	.globl	_Z39paged_attention_ll4mi_QKV_mfma16_kernelIDF16_DF16_LN4vllm18Fp8KVCacheDataTypeE0EDF16_Li16ELi128ELi256ELb1ELi9EL8MFMAType0EEvPKT_PKT0_S8_ifPKiSA_SA_iPKfiiiPfSD_PS3_PT2_iSC_SC_
	.p2align	8
	.type	_Z39paged_attention_ll4mi_QKV_mfma16_kernelIDF16_DF16_LN4vllm18Fp8KVCacheDataTypeE0EDF16_Li16ELi128ELi256ELb1ELi9EL8MFMAType0EEvPKT_PKT0_S8_ifPKiSA_SA_iPKfiiiPfSD_PS3_PT2_iSC_SC_,@function
_Z39paged_attention_ll4mi_QKV_mfma16_kernelIDF16_DF16_LN4vllm18Fp8KVCacheDataTypeE0EDF16_Li16ELi128ELi256ELb1ELi9EL8MFMAType0EEvPKT_PKT0_S8_ifPKiSA_SA_iPKfiiiPfSD_PS3_PT2_iSC_SC_: ; @_Z39paged_attention_ll4mi_QKV_mfma16_kernelIDF16_DF16_LN4vllm18Fp8KVCacheDataTypeE0EDF16_Li16ELi128ELi256ELb1ELi9EL8MFMAType0EEvPKT_PKT0_S8_ifPKiSA_SA_iPKfiiiPfSD_PS3_PT2_iSC_SC_
; %bb.0:
	s_load_b64 s[4:5], s[0:1], 0x30
	s_mov_b32 s34, s13
	s_waitcnt lgkmcnt(0)
	s_cmp_lg_u64 s[4:5], 0
	s_cselect_b32 s8, -1, 0
	s_ashr_i32 s35, s13, 31
	s_cmp_eq_u64 s[4:5], 0
	s_cbranch_scc1 .LBB258_3
; %bb.1:
	s_lshl_b64 s[2:3], s[34:35], 2
	s_delay_alu instid0(SALU_CYCLE_1) | instskip(SKIP_4) | instid1(SALU_CYCLE_1)
	s_add_u32 s2, s4, s2
	s_addc_u32 s3, s5, s3
	s_load_b64 s[2:3], s[2:3], 0x0
	s_waitcnt lgkmcnt(0)
	s_sub_i32 s2, s3, s2
	s_cmp_eq_u32 s2, 1
	s_cselect_b32 s2, -1, 0
	s_delay_alu instid0(SALU_CYCLE_1)
	s_and_not1_b32 vcc_lo, exec_lo, s2
	s_cbranch_vccz .LBB258_4
.LBB258_2:
	s_nop 0
	s_sendmsg sendmsg(MSG_DEALLOC_VGPRS)
	s_endpgm
.LBB258_3:
.LBB258_4:
	s_load_b64 s[2:3], s[0:1], 0x28
	s_lshl_b64 s[6:7], s[34:35], 2
	s_waitcnt lgkmcnt(0)
	s_add_u32 s2, s2, s6
	s_addc_u32 s3, s3, s7
	s_lshl_b32 s29, s14, 8
	s_load_b32 s28, s[2:3], 0x0
	s_waitcnt lgkmcnt(0)
	s_cmp_ge_i32 s29, s28
	s_cbranch_scc1 .LBB258_2
; %bb.5:
	s_clause 0x1
	s_load_b128 s[20:23], s[0:1], 0x8
	s_load_b64 s[2:3], s[0:1], 0x20
	s_and_not1_b32 vcc_lo, exec_lo, s8
	s_cbranch_vccnz .LBB258_7
; %bb.6:
	s_add_u32 s4, s4, s6
	s_addc_u32 s5, s5, s7
	s_load_b32 s5, s[4:5], 0x0
	s_branch .LBB258_8
.LBB258_7:
	s_mov_b32 s5, s34
.LBB258_8:
	s_load_b128 s[16:19], s[0:1], 0x48
	v_and_b32_e32 v140, 15, v0
	v_lshrrev_b32_e32 v141, 5, v0
	v_bfe_u32 v138, v0, 4, 1
	v_and_b32_e32 v142, 31, v0
	v_and_b32_e32 v139, 1, v0
	v_lshlrev_b32_e32 v2, 3, v140
	s_mul_i32 s31, s15, 9
	v_lshl_or_b32 v1, v141, 1, v138
	s_mov_b32 s4, exec_lo
	s_delay_alu instid0(VALU_DEP_2) | instskip(NEXT) | instid1(VALU_DEP_2)
	v_lshlrev_b32_e32 v137, 1, v2
	v_cmpx_gt_u32_e32 9, v1
	s_cbranch_execz .LBB258_10
; %bb.9:
	s_load_b64 s[6:7], s[0:1], 0x0
	v_add_lshl_u32 v2, v1, s31, 7
	s_waitcnt lgkmcnt(0)
	s_mul_hi_i32 s9, s5, s16
	s_mul_i32 s8, s5, s16
	v_lshlrev_b32_e32 v6, 10, v140
	s_lshl_b64 s[8:9], s[8:9], 1
	v_ashrrev_i32_e32 v3, 31, v2
	v_lshlrev_b32_e32 v1, 6, v1
	v_lshlrev_b32_e32 v7, 10, v139
	v_and_b32_e32 v6, 0x3800, v6
	s_delay_alu instid0(VALU_DEP_4) | instskip(NEXT) | instid1(VALU_DEP_2)
	v_lshlrev_b64 v[2:3], 1, v[2:3]
	v_or3_b32 v1, v6, v7, v1
	s_add_u32 s5, s6, s8
	s_addc_u32 s6, s7, s9
	s_delay_alu instid0(VALU_DEP_2) | instskip(NEXT) | instid1(VALU_DEP_3)
	v_add_co_u32 v2, vcc_lo, s5, v2
	v_add_co_ci_u32_e32 v3, vcc_lo, s6, v3, vcc_lo
	s_delay_alu instid0(VALU_DEP_2) | instskip(NEXT) | instid1(VALU_DEP_2)
	v_add_co_u32 v2, vcc_lo, v2, v137
	v_add_co_ci_u32_e32 v3, vcc_lo, 0, v3, vcc_lo
	global_load_b128 v[2:5], v[2:3], off
	s_waitcnt vmcnt(0)
	ds_store_b128 v1, v[2:5]
.LBB258_10:
	s_or_b32 exec_lo, exec_lo, s4
	v_and_b32_e32 v1, 0xef, v0
	s_waitcnt lgkmcnt(0)
	s_add_i32 s5, s28, 15
	s_clause 0x1
	s_load_b32 s4, s[0:1], 0x38
	s_load_b32 s33, s[0:1], 0x98
	s_ashr_i32 s6, s5, 31
	v_add_nc_u32_e32 v1, s29, v1
	s_lshr_b32 s6, s6, 28
	s_load_b32 s30, s[0:1], 0x1c
	s_add_i32 s5, s5, s6
	s_waitcnt lgkmcnt(0)
	v_ashrrev_i32_e32 v2, 31, v1
	v_cmp_gt_i32_e32 vcc_lo, s28, v1
	s_ashr_i32 s16, s5, 4
	s_barrier
	s_add_i32 s16, s16, -1
	v_lshrrev_b32_e32 v3, 28, v2
	v_or_b32_e32 v2, 16, v1
	buffer_gl0_inv
	v_add_nc_u32_e32 v105, -9, v140
	v_lshlrev_b32_e32 v106, 5, v140
	v_add_nc_u32_e32 v4, v1, v3
	v_add_nc_u32_e32 v3, v2, v3
	s_mul_i32 s4, s34, s4
	s_delay_alu instid0(SALU_CYCLE_1) | instskip(NEXT) | instid1(VALU_DEP_2)
	s_ashr_i32 s5, s4, 31
	v_ashrrev_i32_e32 v4, 4, v4
	s_delay_alu instid0(VALU_DEP_2)
	v_ashrrev_i32_e32 v3, 4, v3
	s_lshl_b64 s[4:5], s[4:5], 2
	v_lshl_or_b32 v125, v141, 9, v106
	s_add_u32 s35, s2, s4
	v_cndmask_b32_e32 v1, s16, v4, vcc_lo
	v_cmp_gt_i32_e32 vcc_lo, s28, v2
	s_addc_u32 s36, s3, s5
	s_mul_i32 s2, s15, s18
	s_delay_alu instid0(VALU_DEP_2) | instskip(SKIP_2) | instid1(SALU_CYCLE_1)
	v_ashrrev_i32_e32 v2, 31, v1
	v_cndmask_b32_e32 v3, s16, v3, vcc_lo
	s_ashr_i32 s3, s2, 31
	s_lshl_b64 s[2:3], s[2:3], 1
	s_delay_alu instid0(VALU_DEP_2) | instskip(NEXT) | instid1(VALU_DEP_2)
	v_lshlrev_b64 v[1:2], 2, v[1:2]
	v_ashrrev_i32_e32 v4, 31, v3
	s_add_u32 s24, s20, s2
	s_addc_u32 s25, s21, s3
	s_lshl_b32 s4, s14, 4
	s_delay_alu instid0(VALU_DEP_1) | instskip(SKIP_3) | instid1(VALU_DEP_3)
	v_lshlrev_b64 v[3:4], 2, v[3:4]
	v_add_co_u32 v1, vcc_lo, s35, v1
	v_add_co_ci_u32_e32 v2, vcc_lo, s36, v2, vcc_lo
	s_ashr_i32 s5, s4, 31
	v_add_co_u32 v3, vcc_lo, s35, v3
	s_delay_alu instid0(VALU_DEP_4)
	v_add_co_ci_u32_e32 v4, vcc_lo, s36, v4, vcc_lo
	s_lshl_b64 s[4:5], s[4:5], 2
	s_clause 0x1
	global_load_b32 v5, v[1:2], off
	global_load_b32 v6, v[3:4], off
	s_add_u32 s4, s35, s4
	s_addc_u32 s5, s36, s5
	s_or_b32 s6, s29, 16
	v_lshlrev_b32_e32 v3, 4, v0
	s_ashr_i32 s7, s6, 4
	s_cmp_lt_i32 s6, s28
	s_cselect_b32 s6, s7, s16
	s_delay_alu instid0(SALU_CYCLE_1) | instskip(NEXT) | instid1(SALU_CYCLE_1)
	s_ashr_i32 s7, s6, 31
	s_lshl_b64 s[6:7], s[6:7], 2
	s_delay_alu instid0(SALU_CYCLE_1) | instskip(SKIP_2) | instid1(SALU_CYCLE_1)
	s_add_u32 s6, s35, s6
	s_addc_u32 s7, s36, s7
	s_or_b32 s8, s29, 32
	s_ashr_i32 s9, s8, 4
	s_cmp_lt_i32 s8, s28
	s_cselect_b32 s8, s9, s16
	s_delay_alu instid0(SALU_CYCLE_1) | instskip(NEXT) | instid1(SALU_CYCLE_1)
	s_ashr_i32 s9, s8, 31
	s_lshl_b64 s[8:9], s[8:9], 2
	s_delay_alu instid0(SALU_CYCLE_1) | instskip(SKIP_2) | instid1(SALU_CYCLE_1)
	s_add_u32 s8, s35, s8
	s_addc_u32 s9, s36, s9
	s_or_b32 s10, s29, 48
	;; [unrolled: 10-line block ×4, first 2 shown]
	s_ashr_i32 s13, s12, 4
	s_cmp_lt_i32 s12, s28
	s_cselect_b32 s12, s13, s16
	s_delay_alu instid0(SALU_CYCLE_1) | instskip(NEXT) | instid1(SALU_CYCLE_1)
	s_ashr_i32 s13, s12, 31
	s_lshl_b64 s[12:13], s[12:13], 2
	s_delay_alu instid0(SALU_CYCLE_1)
	s_add_u32 s20, s35, s12
	s_addc_u32 s21, s36, s13
	s_clause 0x5
	s_load_b32 s37, s[4:5], 0x0
	s_load_b32 s27, s[6:7], 0x0
	;; [unrolled: 1-line block ×6, first 2 shown]
	s_waitcnt vmcnt(1)
	v_mad_i64_i32 v[1:2], null, v5, s17, 0
	v_and_b32_e32 v5, 0xf0, v3
	s_waitcnt vmcnt(0)
	v_mad_i64_i32 v[3:4], null, v6, s17, 0
	s_delay_alu instid0(VALU_DEP_2) | instskip(NEXT) | instid1(VALU_DEP_4)
	v_add_co_u32 v5, s4, s24, v5
	v_lshlrev_b64 v[1:2], 1, v[1:2]
	v_add_co_ci_u32_e64 v6, null, s25, 0, s4
	s_delay_alu instid0(VALU_DEP_4) | instskip(SKIP_1) | instid1(VALU_DEP_3)
	v_lshlrev_b64 v[3:4], 1, v[3:4]
	s_or_b32 s4, s29, 0x60
	v_add_co_u32 v121, vcc_lo, v5, v1
	s_delay_alu instid0(VALU_DEP_3) | instskip(NEXT) | instid1(VALU_DEP_3)
	v_add_co_ci_u32_e32 v122, vcc_lo, v6, v2, vcc_lo
	v_add_co_u32 v123, vcc_lo, v5, v3
	s_delay_alu instid0(VALU_DEP_4)
	v_add_co_ci_u32_e32 v124, vcc_lo, v6, v4, vcc_lo
	s_clause 0x19
	global_load_b128 v[89:92], v[121:122], off
	global_load_b128 v[93:96], v[121:122], off offset:256
	global_load_b128 v[97:100], v[123:124], off
	global_load_b128 v[101:104], v[123:124], off offset:256
	global_load_b128 v[81:84], v[121:122], off offset:512
	;; [unrolled: 1-line block ×23, first 2 shown]
	s_ashr_i32 s5, s4, 4
	s_cmp_lt_i32 s4, s28
	v_cmp_gt_u32_e32 vcc_lo, 9, v140
	s_cselect_b32 s4, s5, s16
	s_delay_alu instid0(SALU_CYCLE_1) | instskip(NEXT) | instid1(SALU_CYCLE_1)
	s_ashr_i32 s5, s4, 31
	s_lshl_b64 s[4:5], s[4:5], 2
	v_cndmask_b32_e32 v105, v105, v140, vcc_lo
	s_add_u32 s18, s35, s4
	s_addc_u32 s19, s36, s5
	s_or_b32 s4, s29, 0x70
	s_delay_alu instid0(SALU_CYCLE_1)
	s_ashr_i32 s5, s4, 4
	s_cmp_lt_i32 s4, s28
	v_lshlrev_b32_e32 v215, 6, v105
	s_cselect_b32 s6, s5, s16
	ds_load_b128 v[105:108], v215
	ds_load_b128 v[109:112], v215 offset:1024
	s_ashr_i32 s7, s6, 31
	ds_load_b128 v[113:116], v215 offset:2048
	ds_load_b128 v[117:120], v215 offset:3072
	;; [unrolled: 1-line block ×8, first 2 shown]
	s_clause 0x1
	global_load_b128 v[167:170], v[123:124], off offset:3072
	global_load_b128 v[171:174], v[123:124], off offset:3328
	s_lshl_b64 s[6:7], s[6:7], 2
	s_mov_b32 s4, 0
	s_add_u32 s20, s35, s6
	s_addc_u32 s21, s36, s7
	s_clause 0x1
	s_load_b32 s41, s[18:19], 0x0
	s_load_b32 s46, s[20:21], 0x0
	s_clause 0x3
	global_load_b128 v[175:178], v[121:122], off offset:3584
	global_load_b128 v[179:182], v[121:122], off offset:3840
	;; [unrolled: 1-line block ×4, first 2 shown]
	s_or_b32 s7, s29, 0x80
	s_mov_b32 s5, s4
	s_ashr_i32 s8, s7, 4
	s_cmp_lt_i32 s7, s28
	s_mov_b32 s6, s4
	s_cselect_b32 s10, s8, s16
	s_mov_b32 s7, s4
	s_ashr_i32 s11, s10, 31
	s_mov_b32 s8, s4
	s_lshl_b64 s[24:25], s[10:11], 2
	s_mov_b32 s9, s4
	s_add_u32 s24, s35, s24
	s_addc_u32 s25, s36, s25
	s_or_b32 s11, s29, 0x90
	s_mov_b32 s10, s4
	s_ashr_i32 s38, s11, 4
	s_cmp_lt_i32 s11, s28
	s_mov_b32 s11, s4
	s_cselect_b32 s38, s38, s16
	v_mov_b32_e32 v136, s11
	s_ashr_i32 s39, s38, 31
	v_dual_mov_b32 v135, s10 :: v_dual_mov_b32 v134, s9
	v_dual_mov_b32 v133, s8 :: v_dual_mov_b32 v132, s7
	;; [unrolled: 1-line block ×3, first 2 shown]
	v_mov_b32_e32 v129, s4
	s_lshl_b64 s[4:5], s[38:39], 2
	s_waitcnt lgkmcnt(0)
	s_mul_hi_i32 s7, s27, s17
	s_add_u32 s38, s35, s4
	s_addc_u32 s39, s36, s5
	s_or_b32 s4, s29, 0xa0
	s_load_b32 s40, s[38:39], 0x0
	s_ashr_i32 s5, s4, 4
	s_cmp_lt_i32 s4, s28
	s_cselect_b32 s4, s5, s16
	s_delay_alu instid0(SALU_CYCLE_1) | instskip(NEXT) | instid1(SALU_CYCLE_1)
	s_ashr_i32 s5, s4, 31
	s_lshl_b64 s[4:5], s[4:5], 2
	s_delay_alu instid0(SALU_CYCLE_1)
	s_add_u32 s42, s35, s4
	s_addc_u32 s43, s36, s5
	s_or_b32 s4, s29, 0xb0
	s_load_b32 s39, s[42:43], 0x0
	s_ashr_i32 s6, s4, 4
	s_cmp_lt_i32 s4, s28
	s_mul_hi_i32 s5, s37, s17
	s_cselect_b32 s8, s6, s16
	s_mul_i32 s6, s27, s17
	s_ashr_i32 s9, s8, 31
	s_mul_i32 s4, s37, s17
	s_lshl_b64 s[10:11], s[8:9], 2
	s_mul_hi_i32 s9, s26, s17
	s_add_u32 s44, s35, s10
	s_addc_u32 s45, s36, s11
	s_or_b32 s10, s29, 0xc0
	s_mul_i32 s8, s26, s17
	s_ashr_i32 s26, s10, 4
	s_cmp_lt_i32 s10, s28
	s_mul_hi_i32 s11, s13, s17
	s_cselect_b32 s26, s26, s16
	s_mul_i32 s10, s13, s17
	s_ashr_i32 s27, s26, 31
	s_mul_hi_i32 s13, s12, s17
	s_lshl_b64 s[26:27], s[26:27], 2
	s_mul_i32 s12, s12, s17
	s_add_u32 s20, s35, s26
	s_addc_u32 s21, s36, s27
	s_or_b32 s18, s29, 0xd0
	s_load_b32 s26, s[24:25], 0x0
	s_ashr_i32 s19, s18, 4
	s_cmp_lt_i32 s18, s28
	s_mul_i32 s18, s15, s17
	s_cselect_b32 s24, s19, s16
	s_mul_hi_i32 s19, s15, s17
	s_ashr_i32 s25, s24, 31
	s_delay_alu instid0(SALU_CYCLE_1) | instskip(NEXT) | instid1(SALU_CYCLE_1)
	s_lshl_b64 s[24:25], s[24:25], 2
	s_add_u32 s24, s35, s24
	s_addc_u32 s25, s36, s25
	s_or_b32 s42, s29, 0xe0
	s_clause 0x2
	s_load_b32 s38, s[44:45], 0x0
	s_load_b32 s37, s[20:21], 0x0
	;; [unrolled: 1-line block ×3, first 2 shown]
	s_ashr_i32 s43, s42, 4
	s_cmp_lt_i32 s42, s28
	s_mul_hi_i32 s25, s46, s17
	s_cselect_b32 s42, s43, s16
	s_mul_i32 s24, s46, s17
	s_ashr_i32 s43, s42, 31
	s_mul_hi_i32 s21, s41, s17
	s_lshl_b64 s[42:43], s[42:43], 2
	s_mul_i32 s20, s41, s17
	s_add_u32 s42, s35, s42
	s_addc_u32 s43, s36, s43
	s_or_b32 s46, s29, 0xf0
	s_waitcnt lgkmcnt(0)
	s_mul_hi_i32 s27, s26, s17
	s_ashr_i32 s47, s46, 4
	s_cmp_lt_i32 s46, s28
	s_mul_i32 s26, s26, s17
	s_cselect_b32 s46, s47, s16
	s_mul_hi_i32 s41, s40, s17
	s_ashr_i32 s47, s46, 31
	s_mul_hi_i32 s51, s15, s17
	s_lshl_b64 s[46:47], s[46:47], 2
	s_mul_i32 s50, s15, s17
	s_add_u32 s46, s35, s46
	s_addc_u32 s47, s36, s47
	s_add_u32 s15, s22, s2
	s_addc_u32 s16, s23, s3
	v_add_co_u32 v216, s15, s15, v125
	s_delay_alu instid0(VALU_DEP_1) | instskip(SKIP_2) | instid1(VALU_DEP_2)
	v_add_co_ci_u32_e64 v217, null, s16, 0, s15
	s_lshl_b64 s[2:3], s[4:5], 1
	s_lshl_b64 s[4:5], s[6:7], 1
	v_add_co_u32 v125, vcc_lo, v216, s2
	s_delay_alu instid0(VALU_DEP_2)
	v_add_co_ci_u32_e32 v126, vcc_lo, s3, v217, vcc_lo
	v_add_co_u32 v199, vcc_lo, v216, s4
	s_lshl_b64 s[6:7], s[8:9], 1
	v_add_co_ci_u32_e32 v200, vcc_lo, s5, v217, vcc_lo
	s_lshl_b64 s[8:9], s[10:11], 1
	s_lshl_b64 s[10:11], s[12:13], 1
	;; [unrolled: 1-line block ×6, first 2 shown]
	s_mul_i32 s40, s40, s17
	s_mul_hi_i32 s45, s39, s17
	s_lshl_b64 s[24:25], s[40:41], 1
	s_mul_i32 s44, s39, s17
	s_mul_hi_i32 s39, s38, s17
	s_lshl_b64 s[26:27], s[44:45], 1
	s_mul_i32 s38, s38, s17
	s_mul_hi_i32 s49, s37, s17
	s_mul_i32 s48, s37, s17
	s_lshl_b64 s[36:37], s[38:39], 1
	s_lshl_b64 s[38:39], s[48:49], 1
	s_clause 0x1
	s_load_b32 s15, s[42:43], 0x0
	s_load_b32 s16, s[46:47], 0x0
	s_lshl_b64 s[40:41], s[50:51], 1
	s_waitcnt lgkmcnt(0)
	s_mul_hi_i32 s3, s15, s17
	s_mul_i32 s2, s15, s17
	s_mul_hi_i32 s5, s16, s17
	s_lshl_b64 s[2:3], s[2:3], 1
	s_mul_i32 s4, s16, s17
	s_waitcnt vmcnt(30)
	v_wmma_f32_16x16x16_f16 v[191:198], v[89:96], v[105:112], v[129:136]
	v_add_co_u32 v89, vcc_lo, v216, s6
	v_add_co_ci_u32_e32 v90, vcc_lo, s7, v217, vcc_lo
	v_add_co_u32 v91, vcc_lo, v216, s8
	v_add_co_ci_u32_e32 v92, vcc_lo, s9, v217, vcc_lo
	;; [unrolled: 2-line block ×5, first 2 shown]
	v_add_co_u32 v205, vcc_lo, v216, s20
	s_waitcnt vmcnt(28)
	v_wmma_f32_16x16x16_f16 v[129:136], v[97:104], v[105:112], v[129:136]
	v_add_co_ci_u32_e32 v206, vcc_lo, s21, v217, vcc_lo
	v_add_co_u32 v207, vcc_lo, v216, s22
	v_add_co_ci_u32_e32 v208, vcc_lo, s23, v217, vcc_lo
	v_add_co_u32 v209, vcc_lo, v216, s24
	s_waitcnt vmcnt(26)
	v_wmma_f32_16x16x16_f16 v[191:198], v[81:88], v[113:120], v[191:198]
	s_waitcnt vmcnt(24)
	v_wmma_f32_16x16x16_f16 v[129:136], v[73:80], v[113:120], v[129:136]
	v_add_co_ci_u32_e32 v210, vcc_lo, s25, v217, vcc_lo
	v_add_co_u32 v211, vcc_lo, v216, s26
	v_add_co_ci_u32_e32 v212, vcc_lo, s27, v217, vcc_lo
	v_add_co_u32 v213, vcc_lo, v216, s36
	s_waitcnt vmcnt(22)
	v_wmma_f32_16x16x16_f16 v[191:198], v[65:72], v[143:150], v[191:198]
	s_waitcnt vmcnt(20)
	v_wmma_f32_16x16x16_f16 v[129:136], v[57:64], v[143:150], v[129:136]
	v_add_co_ci_u32_e32 v214, vcc_lo, s37, v217, vcc_lo
	v_add_co_u32 v143, vcc_lo, v216, s38
	s_waitcnt vmcnt(18)
	v_wmma_f32_16x16x16_f16 v[191:198], v[49:56], v[151:158], v[191:198]
	s_waitcnt vmcnt(16)
	v_wmma_f32_16x16x16_f16 v[129:136], v[25:32], v[151:158], v[129:136]
	v_add_co_ci_u32_e32 v144, vcc_lo, s39, v217, vcc_lo
	s_clause 0x15
	global_load_b128 v[121:124], v[125:126], off
	global_load_b128 v[125:128], v[125:126], off offset:16
	global_load_b128 v[113:116], v[199:200], off
	global_load_b128 v[117:120], v[199:200], off offset:16
	global_load_b128 v[105:108], v[89:90], off
	global_load_b128 v[109:112], v[89:90], off offset:16
	global_load_b128 v[97:100], v[91:92], off
	global_load_b128 v[101:104], v[91:92], off offset:16
	global_load_b128 v[89:92], v[93:94], off
	global_load_b128 v[93:96], v[93:94], off offset:16
	global_load_b128 v[81:84], v[201:202], off
	global_load_b128 v[85:88], v[201:202], off offset:16
	global_load_b128 v[73:76], v[203:204], off
	global_load_b128 v[77:80], v[203:204], off offset:16
	global_load_b128 v[65:68], v[205:206], off
	global_load_b128 v[69:72], v[205:206], off offset:16
	global_load_b128 v[57:60], v[207:208], off
	global_load_b128 v[61:64], v[207:208], off offset:16
	global_load_b128 v[49:52], v[209:210], off
	global_load_b128 v[53:56], v[209:210], off offset:16
	global_load_b128 v[25:28], v[211:212], off
	global_load_b128 v[29:32], v[211:212], off offset:16
	s_waitcnt vmcnt(36)
	v_wmma_f32_16x16x16_f16 v[191:198], v[1:8], v[159:166], v[191:198]
	s_clause 0x1
	global_load_b128 v[1:4], v[213:214], off
	global_load_b128 v[5:8], v[213:214], off offset:16
	s_waitcnt vmcnt(36)
	v_wmma_f32_16x16x16_f16 v[129:136], v[9:16], v[159:166], v[129:136]
	s_clause 0x1
	global_load_b128 v[9:12], v[143:144], off
	global_load_b128 v[13:16], v[143:144], off offset:16
	ds_load_b128 v[143:146], v215 offset:10240
	ds_load_b128 v[147:150], v215 offset:11264
	;; [unrolled: 1-line block ×4, first 2 shown]
	v_add_co_u32 v199, vcc_lo, v216, s40
	v_add_co_ci_u32_e32 v200, vcc_lo, s41, v217, vcc_lo
	v_add_co_u32 v159, vcc_lo, v216, s2
	v_add_co_ci_u32_e32 v160, vcc_lo, s3, v217, vcc_lo
	s_lshl_b64 s[2:3], s[4:5], 1
	s_delay_alu instid0(SALU_CYCLE_1)
	v_add_co_u32 v161, vcc_lo, v216, s2
	v_add_co_ci_u32_e32 v162, vcc_lo, s3, v217, vcc_lo
	s_waitcnt vmcnt(36) lgkmcnt(2)
	v_wmma_f32_16x16x16_f16 v[191:198], v[33:40], v[143:150], v[191:198]
	s_waitcnt vmcnt(34)
	v_wmma_f32_16x16x16_f16 v[129:136], v[41:48], v[143:150], v[129:136]
	s_clause 0x3
	global_load_b128 v[33:36], v[199:200], off
	global_load_b128 v[37:40], v[199:200], off offset:16
	global_load_b128 v[41:44], v[159:160], off
	global_load_b128 v[45:48], v[159:160], off offset:16
	v_and_b32_e32 v143, 0xe0, v0
	v_mbcnt_lo_u32_b32 v159, -1, 0
	s_waitcnt vmcnt(36) lgkmcnt(0)
	v_wmma_f32_16x16x16_f16 v[191:198], v[17:24], v[151:158], v[191:198]
	s_clause 0x1
	global_load_b128 v[17:20], v[161:162], off
	global_load_b128 v[21:24], v[161:162], off offset:16
	s_waitcnt vmcnt(36)
	v_wmma_f32_16x16x16_f16 v[129:136], v[167:174], v[151:158], v[129:136]
	v_add_nc_u32_e32 v160, s29, v143
	ds_load_b128 v[143:146], v215 offset:14336
	ds_load_b128 v[147:150], v215 offset:15360
	v_xor_b32_e32 v151, 16, v159
	s_waitcnt vmcnt(0) lgkmcnt(0)
	s_barrier
	v_or_b32_e32 v152, v160, v138
	buffer_gl0_inv
	v_cmp_gt_i32_e32 vcc_lo, 32, v151
	v_or_b32_e32 v153, 2, v152
	v_or_b32_e32 v154, 4, v152
	;; [unrolled: 1-line block ×5, first 2 shown]
	v_cmp_gt_i32_e64 s2, s28, v153
	v_cmp_gt_i32_e64 s3, s28, v154
	;; [unrolled: 1-line block ×3, first 2 shown]
	v_or_b32_e32 v158, 12, v152
	v_cmp_gt_i32_e64 s5, s28, v156
	v_cmp_gt_i32_e64 s6, s28, v157
	v_wmma_f32_16x16x16_f16 v[191:198], v[175:182], v[143:150], v[191:198]
	v_wmma_f32_16x16x16_f16 v[129:136], v[183:190], v[143:150], v[129:136]
	v_cndmask_b32_e32 v151, v159, v151, vcc_lo
	v_cmp_gt_i32_e32 vcc_lo, s28, v152
	v_or_b32_e32 v159, 14, v152
	v_dual_mul_f32 v149, s30, v192 :: v_dual_mul_f32 v150, s30, v191
	v_dual_mul_f32 v147, s30, v194 :: v_dual_mul_f32 v148, s30, v193
	v_mul_f32_e32 v145, s30, v196
	s_delay_alu instid0(VALU_DEP_3) | instskip(NEXT) | instid1(VALU_DEP_4)
	v_cndmask_b32_e64 v149, 0xff7fffff, v149, s2
	v_cndmask_b32_e32 v150, 0xff7fffff, v150, vcc_lo
	v_mul_f32_e32 v146, s30, v195
	v_cndmask_b32_e64 v148, 0xff7fffff, v148, s3
	v_cndmask_b32_e64 v147, 0xff7fffff, v147, s4
	v_or_b32_e32 v160, 16, v152
	v_max3_f32 v149, v150, 0xff7fffff, v149
	v_or_b32_e32 v161, 18, v152
	v_dual_mul_f32 v143, s30, v198 :: v_dual_mul_f32 v144, s30, v197
	v_cndmask_b32_e64 v146, 0xff7fffff, v146, s5
	v_cndmask_b32_e64 v145, 0xff7fffff, v145, s6
	v_max3_f32 v147, v149, v148, v147
	v_cmp_gt_i32_e64 s7, s28, v158
	v_cmp_gt_i32_e64 s8, s28, v159
	v_or_b32_e32 v162, 20, v152
	v_or_b32_e32 v163, 22, v152
	v_dual_mul_f32 v174, s30, v130 :: v_dual_mul_f32 v175, s30, v129
	v_cndmask_b32_e64 v144, 0xff7fffff, v144, s7
	v_cndmask_b32_e64 v143, 0xff7fffff, v143, s8
	v_max3_f32 v145, v147, v146, v145
	v_cmp_gt_i32_e64 s9, s28, v160
	v_cmp_gt_i32_e64 s10, s28, v161
	v_or_b32_e32 v164, 24, v152
	;; [unrolled: 8-line block ×3, first 2 shown]
	v_or_b32_e32 v167, 30, v152
	v_dual_mul_f32 v170, s30, v134 :: v_dual_mul_f32 v171, s30, v133
	v_cndmask_b32_e64 v144, 0xff7fffff, v173, s11
	v_cndmask_b32_e64 v145, 0xff7fffff, v172, s12
	v_max3_f32 v143, v143, v146, v147
	v_cmp_gt_i32_e64 s13, s28, v164
	v_cmp_gt_i32_e64 s15, s28, v165
	v_dual_mul_f32 v168, s30, v136 :: v_dual_mul_f32 v169, s30, v135
	s_delay_alu instid0(VALU_DEP_4) | instskip(NEXT) | instid1(VALU_DEP_4)
	v_max3_f32 v143, v143, v144, v145
	v_cndmask_b32_e64 v146, 0xff7fffff, v171, s13
	s_delay_alu instid0(VALU_DEP_4) | instskip(SKIP_3) | instid1(VALU_DEP_4)
	v_cndmask_b32_e64 v147, 0xff7fffff, v170, s15
	v_cmp_gt_i32_e64 s16, s28, v166
	v_cmp_gt_i32_e64 s17, s28, v167
	v_lshlrev_b32_e32 v160, 2, v151
	v_max3_f32 v143, v143, v146, v147
	s_delay_alu instid0(VALU_DEP_4) | instskip(NEXT) | instid1(VALU_DEP_4)
	v_cndmask_b32_e64 v144, 0xff7fffff, v169, s16
	v_cndmask_b32_e64 v145, 0xff7fffff, v168, s17
	s_delay_alu instid0(VALU_DEP_1) | instskip(SKIP_3) | instid1(VALU_DEP_1)
	v_max3_f32 v143, v143, v144, v145
	ds_bpermute_b32 v144, v160, v143
	s_waitcnt lgkmcnt(0)
	v_max_f32_e32 v144, v144, v144
	v_max_f32_e32 v159, v143, v144
	s_delay_alu instid0(VALU_DEP_1) | instskip(SKIP_4) | instid1(VALU_DEP_4)
	v_fma_f32 v143, s30, v191, -v159
	v_fma_f32 v144, s30, v192, -v159
	;; [unrolled: 1-line block ×5, first 2 shown]
	v_dual_mul_f32 v143, 0x3fb8aa3b, v143 :: v_dual_mul_f32 v144, 0x3fb8aa3b, v144
	s_delay_alu instid0(VALU_DEP_4) | instskip(SKIP_2) | instid1(VALU_DEP_4)
	v_mul_f32_e32 v132, 0x3fb8aa3b, v132
	v_fma_f32 v134, s30, v134, -v159
	v_mul_f32_e32 v145, 0x3fb8aa3b, v145
	v_exp_f32_e32 v143, v143
	v_exp_f32_e32 v147, v144
	v_fma_f32 v148, s30, v195, -v159
	v_mul_f32_e32 v134, 0x3fb8aa3b, v134
	v_mul_f32_e32 v146, 0x3fb8aa3b, v146
	v_exp_f32_e32 v145, v145
	v_fma_f32 v149, s30, v196, -v159
	v_mul_f32_e32 v148, 0x3fb8aa3b, v148
	v_fma_f32 v151, s30, v197, -v159
	v_exp_f32_e32 v150, v146
	v_cndmask_b32_e32 v144, 0, v143, vcc_lo
	v_cndmask_b32_e64 v143, 0, v147, s2
	v_mul_f32_e32 v149, 0x3fb8aa3b, v149
	v_exp_f32_e32 v148, v148
	v_fma_f32 v152, s30, v198, -v159
	v_add_f32_e32 v147, 0, v144
	v_cndmask_b32_e64 v146, 0, v145, s3
	v_mul_f32_e32 v151, 0x3fb8aa3b, v151
	v_exp_f32_e32 v149, v149
	v_cndmask_b32_e64 v145, 0, v150, s4
	v_add_f32_e32 v147, v147, v143
	v_fma_f32 v129, s30, v129, -v159
	v_mul_f32_e32 v150, 0x3fb8aa3b, v152
	v_exp_f32_e32 v151, v151
	v_cndmask_b32_e64 v148, 0, v148, s5
	v_add_f32_e32 v147, v147, v146
	v_fma_f32 v130, s30, v130, -v159
	v_mul_f32_e32 v129, 0x3fb8aa3b, v129
	v_exp_f32_e32 v153, v150
	v_fma_f32 v131, s30, v131, -v159
	v_add_f32_e32 v152, v147, v145
	v_cndmask_b32_e64 v147, 0, v149, s6
	v_mul_f32_e32 v130, 0x3fb8aa3b, v130
	v_exp_f32_e32 v129, v129
	v_cndmask_b32_e64 v150, 0, v151, s7
	v_add_f32_e32 v149, v152, v148
	v_mul_f32_e32 v131, 0x3fb8aa3b, v131
	v_exp_f32_e32 v130, v130
	v_fma_f32 v133, s30, v133, -v159
	v_exp_f32_e32 v132, v132
	v_add_f32_e32 v151, v149, v147
	v_cndmask_b32_e64 v149, 0, v153, s8
	v_exp_f32_e32 v131, v131
	v_cndmask_b32_e64 v152, 0, v129, s9
	v_mul_f32_e32 v133, 0x3fb8aa3b, v133
	v_add_f32_e32 v151, v151, v150
	v_cmp_gt_u32_e64 s2, 16, v142
	s_delay_alu instid0(VALU_DEP_3) | instskip(NEXT) | instid1(VALU_DEP_2)
	v_exp_f32_e32 v133, v133
	v_add_f32_e32 v129, v151, v149
	v_cndmask_b32_e64 v151, 0, v130, s10
	v_fma_f32 v130, s30, v135, -v159
	s_delay_alu instid0(TRANS32_DEP_2)
	v_cndmask_b32_e64 v154, 0, v131, s11
	v_exp_f32_e32 v131, v134
	v_add_f32_e32 v129, v129, v152
	v_cndmask_b32_e64 v153, 0, v132, s12
	v_mul_f32_e32 v130, 0x3fb8aa3b, v130
	v_fma_f32 v132, s30, v136, -v159
	v_cndmask_b32_e64 v156, 0, v133, s13
	v_add_f32_e32 v129, v129, v151
	s_delay_alu instid0(VALU_DEP_4) | instskip(NEXT) | instid1(VALU_DEP_3)
	v_exp_f32_e32 v130, v130
	v_mul_f32_e32 v132, 0x3fb8aa3b, v132
	s_delay_alu instid0(TRANS32_DEP_2) | instskip(NEXT) | instid1(VALU_DEP_3)
	v_cndmask_b32_e64 v155, 0, v131, s15
	v_add_f32_e32 v129, v129, v154
	s_delay_alu instid0(VALU_DEP_3) | instskip(NEXT) | instid1(VALU_DEP_1)
	v_exp_f32_e32 v131, v132
	v_add_f32_e32 v129, v129, v153
	s_waitcnt_depctr 0xfff
	v_cndmask_b32_e64 v158, 0, v130, s16
	v_add_f32_e32 v129, v129, v156
	v_cndmask_b32_e64 v157, 0, v131, s17
	s_delay_alu instid0(VALU_DEP_2) | instskip(NEXT) | instid1(VALU_DEP_1)
	v_add_f32_e32 v129, v129, v155
	v_add_f32_e32 v129, v129, v158
	s_delay_alu instid0(VALU_DEP_1)
	v_add_f32_e32 v129, v129, v157
	ds_bpermute_b32 v130, v160, v129
	s_and_saveexec_b32 s3, s2
	s_cbranch_execz .LBB258_12
; %bb.11:
	v_mul_u32_u24_e32 v131, 0x44, v141
	s_delay_alu instid0(VALU_DEP_1) | instskip(SKIP_1) | instid1(VALU_DEP_1)
	v_lshl_add_u32 v131, v140, 2, v131
	s_waitcnt lgkmcnt(0)
	v_dual_add_f32 v129, v129, v130 :: v_dual_add_nc_u32 v130, 0x4000, v131
	ds_store_2addr_b32 v130, v159, v129 offset1:136
.LBB258_12:
	s_or_b32 exec_lo, exec_lo, s3
	v_lshlrev_b32_e32 v129, 2, v140
	s_load_b32 s35, s[0:1], 0x94
	s_waitcnt lgkmcnt(0)
	s_barrier
	buffer_gl0_inv
	v_add_nc_u32_e32 v135, 0x4000, v129
	v_cmp_eq_u32_e32 vcc_lo, 1, v141
	v_cmp_eq_u32_e64 s3, 2, v141
	v_cmp_eq_u32_e64 s4, 3, v141
	;; [unrolled: 1-line block ×3, first 2 shown]
	ds_load_2addr_b32 v[129:130], v135 offset1:17
	ds_load_2addr_b32 v[131:132], v135 offset0:34 offset1:51
	ds_load_2addr_b32 v[133:134], v135 offset0:68 offset1:85
	ds_load_2addr_b32 v[159:160], v135 offset0:102 offset1:119
	v_cmp_eq_u32_e64 s6, 5, v141
	v_cmp_eq_u32_e64 s7, 7, v141
	s_waitcnt lgkmcnt(3)
	v_max3_f32 v136, v129, 0xff7fffff, v130
	s_waitcnt lgkmcnt(2)
	s_delay_alu instid0(VALU_DEP_1) | instskip(SKIP_1) | instid1(VALU_DEP_1)
	v_max3_f32 v136, v136, v131, v132
	s_waitcnt lgkmcnt(1)
	v_max3_f32 v136, v136, v133, v134
	s_waitcnt lgkmcnt(0)
	s_delay_alu instid0(VALU_DEP_1) | instskip(NEXT) | instid1(VALU_DEP_1)
	v_max3_f32 v136, v136, v159, v160
	v_sub_f32_e32 v142, v130, v136
	ds_load_2addr_b32 v[161:162], v135 offset0:136 offset1:153
	v_sub_f32_e32 v164, v132, v136
	v_mul_f32_e32 v142, 0x3fb8aa3b, v142
	s_delay_alu instid0(VALU_DEP_2) | instskip(NEXT) | instid1(VALU_DEP_2)
	v_mul_f32_e32 v164, 0x3fb8aa3b, v164
	v_exp_f32_e32 v166, v142
	v_sub_f32_e32 v129, v129, v136
	s_delay_alu instid0(VALU_DEP_2) | instskip(NEXT) | instid1(VALU_DEP_1)
	v_exp_f32_e32 v164, v164
	v_mul_f32_e32 v163, 0x3fb8aa3b, v129
	ds_load_2addr_b32 v[129:130], v135 offset0:170 offset1:187
	v_exp_f32_e32 v163, v163
	s_waitcnt lgkmcnt(1)
	s_waitcnt_depctr 0xfff
	v_fma_f32 v142, v163, v161, 0
	v_sub_f32_e32 v161, v134, v136
	s_delay_alu instid0(VALU_DEP_2) | instskip(NEXT) | instid1(VALU_DEP_1)
	v_dual_fmac_f32 v142, v166, v162 :: v_dual_sub_f32 v131, v131, v136
	v_mul_f32_e32 v165, 0x3fb8aa3b, v131
	ds_load_2addr_b32 v[131:132], v135 offset0:204 offset1:221
	v_exp_f32_e32 v165, v165
	s_waitcnt lgkmcnt(1)
	s_waitcnt_depctr 0xfff
	v_fmac_f32_e32 v142, v165, v129
	v_sub_f32_e32 v133, v133, v136
	v_sub_f32_e32 v129, v160, v136
	s_delay_alu instid0(VALU_DEP_2) | instskip(NEXT) | instid1(VALU_DEP_2)
	v_dual_fmac_f32 v142, v164, v130 :: v_dual_mul_f32 v167, 0x3fb8aa3b, v133
	v_mul_f32_e32 v129, 0x3fb8aa3b, v129
	ds_load_2addr_b32 v[133:134], v135 offset0:238 offset1:255
	v_cndmask_b32_e32 v130, v163, v166, vcc_lo
	s_waitcnt lgkmcnt(0)
	s_barrier
	v_exp_f32_e32 v162, v129
	v_sub_f32_e32 v135, v159, v136
	v_mul_f32_e32 v159, 0x3fb8aa3b, v161
	v_exp_f32_e32 v161, v167
	buffer_gl0_inv
	v_exp_f32_e32 v159, v159
	v_fmac_f32_e32 v142, v161, v131
	s_waitcnt_depctr 0xfff
	v_dual_mul_f32 v135, 0x3fb8aa3b, v135 :: v_dual_fmac_f32 v142, v159, v132
	s_delay_alu instid0(VALU_DEP_1) | instskip(SKIP_2) | instid1(VALU_DEP_1)
	v_exp_f32_e32 v160, v135
	s_waitcnt_depctr 0xfff
	v_dual_fmac_f32 v142, v160, v133 :: v_dual_lshlrev_b32 v133, 6, v140
	v_fmac_f32_e32 v142, v162, v134
	s_delay_alu instid0(VALU_DEP_2) | instskip(NEXT) | instid1(VALU_DEP_2)
	v_lshl_or_b32 v135, v141, 11, v133
	v_add_f32_e32 v134, 0x358637bd, v142
	s_delay_alu instid0(VALU_DEP_1) | instskip(SKIP_1) | instid1(VALU_DEP_2)
	v_div_scale_f32 v167, null, v134, v134, 1.0
	v_div_scale_f32 v163, vcc_lo, 1.0, v134, 1.0
	v_rcp_f32_e32 v168, v167
	s_waitcnt_depctr 0xfff
	v_fma_f32 v129, -v167, v168, 1.0
	s_delay_alu instid0(VALU_DEP_1) | instskip(SKIP_2) | instid1(VALU_DEP_2)
	v_fmac_f32_e32 v168, v129, v168
	v_cndmask_b32_e64 v129, v130, v165, s3
	v_cmp_eq_u32_e64 s3, 6, v141
	v_cndmask_b32_e64 v130, v129, v164, s4
	v_lshlrev_b32_e32 v129, 2, v138
	v_mul_f32_e32 v165, v163, v168
	s_delay_alu instid0(VALU_DEP_3) | instskip(NEXT) | instid1(VALU_DEP_3)
	v_cndmask_b32_e64 v161, v130, v161, s5
	v_or_b32_e32 v130, 1, v129
	s_delay_alu instid0(VALU_DEP_3)
	v_fma_f32 v131, -v167, v165, v163
	v_or_b32_e32 v132, 2, v129
	v_cmp_eq_u32_e64 s4, 1, v129
	v_cndmask_b32_e64 v141, v161, v159, s6
	v_cmp_eq_u32_e64 s9, 1, v130
	v_fmac_f32_e32 v165, v131, v168
	v_or_b32_e32 v131, 3, v129
	v_cmp_eq_u32_e64 s10, 1, v132
	v_cndmask_b32_e64 v141, v141, v160, s3
	v_cmp_eq_u32_e64 s5, 2, v129
	v_fma_f32 v159, -v167, v165, v163
	v_cmp_eq_u32_e64 s11, 1, v131
	v_cmp_eq_u32_e64 s16, 2, v131
	v_cndmask_b32_e64 v141, v141, v162, s7
	v_cmp_eq_u32_e64 s12, 2, v130
	v_div_fmas_f32 v159, v159, v168, v165
	v_cmp_eq_u32_e64 s18, 3, v131
	v_cmp_eq_u32_e32 vcc_lo, 3, v129
	v_cmp_eq_u32_e64 s13, 3, v130
	v_cmp_eq_u32_e64 s15, 2, v132
	v_div_fixup_f32 v159, v159, v134, 1.0
	v_lshl_or_b32 v134, v138, 4, v135
	v_cmp_eq_u32_e64 s22, 4, v131
	v_cmp_eq_u32_e64 s3, 4, v129
	v_cmp_eq_u32_e64 s17, 3, v132
	v_mul_f32_e32 v141, v141, v159
	v_cmp_eq_u32_e64 s19, 4, v130
	v_cmp_eq_u32_e64 s24, 5, v131
	v_cmp_eq_u32_e64 s6, 5, v129
	v_cmp_eq_u32_e64 s20, 5, v130
	v_fma_mixlo_f16 v159, v141, v144, 0
	v_fma_mixlo_f16 v160, v141, v146, 0
	;; [unrolled: 1-line block ×8, first 2 shown]
	v_fma_mixhi_f16 v159, v141, v143, 0
	v_fma_mixhi_f16 v160, v141, v145, 0
	v_fma_mixhi_f16 v161, v141, v147, 0
	v_fma_mixhi_f16 v162, v141, v149, 0
	v_fma_mixhi_f16 v163, v141, v151, 0
	v_fma_mixhi_f16 v164, v141, v153, 0
	v_fma_mixhi_f16 v165, v141, v155, 0
	v_fma_mixhi_f16 v166, v141, v157, 0
	ds_store_b128 v134, v[159:162]
	ds_store_b128 v134, v[163:166] offset:1024
	s_waitcnt lgkmcnt(0)
	s_barrier
	buffer_gl0_inv
	ds_load_b128 v[143:146], v135
	ds_load_b128 v[147:150], v135 offset:16
	ds_load_b128 v[151:154], v135 offset:1024
	;; [unrolled: 1-line block ×3, first 2 shown]
	v_cmp_eq_u32_e64 s21, 4, v132
	v_cmp_eq_u32_e64 s27, 6, v131
	;; [unrolled: 1-line block ×10, first 2 shown]
	s_waitcnt lgkmcnt(3)
	v_lshrrev_b32_e32 v141, 16, v143
	s_waitcnt lgkmcnt(2)
	v_lshrrev_b32_e32 v162, 16, v147
	v_lshrrev_b32_e32 v159, 16, v144
	;; [unrolled: 1-line block ×3, first 2 shown]
	s_waitcnt lgkmcnt(1)
	v_lshrrev_b32_e32 v166, 16, v151
	v_cndmask_b32_e64 v174, v143, v141, s4
	v_cndmask_b32_e64 v176, v143, v141, s9
	;; [unrolled: 1-line block ×5, first 2 shown]
	s_waitcnt lgkmcnt(0)
	v_lshrrev_b32_e32 v170, 16, v155
	v_cndmask_b32_e64 v175, v147, v162, s4
	v_cndmask_b32_e64 v177, v147, v162, s9
	v_cndmask_b32_e64 v141, v141, v144, s16
	v_cndmask_b32_e64 v143, v143, v148, s16
	v_cndmask_b32_e64 v179, v147, v162, s10
	v_cndmask_b32_e64 v147, v151, v166, s4
	v_cndmask_b32_e64 v162, v155, v170, s4
	v_cndmask_b32_e64 v180, v151, v166, s9
	v_cndmask_b32_e64 v181, v155, v170, s9
	v_cndmask_b32_e64 v182, v151, v166, s10
	v_cndmask_b32_e64 v183, v155, v170, s10
	v_cndmask_b32_e64 v151, v151, v166, s11
	v_cndmask_b32_e64 v155, v155, v170, s11
	v_cndmask_b32_e64 v166, v174, v144, s5
	v_cndmask_b32_e64 v170, v175, v148, s5
	v_cndmask_b32_e64 v174, v176, v144, s12
	v_cndmask_b32_e64 v175, v177, v148, s12
	v_cndmask_b32_e64 v141, v141, v159, s18
	v_cndmask_b32_e64 v143, v143, v163, s18
	v_lshrrev_b32_e32 v160, 16, v145
	v_lshrrev_b32_e32 v164, 16, v149
	;; [unrolled: 1-line block ×4, first 2 shown]
	v_cndmask_b32_e64 v176, v178, v144, s15
	v_cndmask_b32_e64 v177, v179, v148, s15
	;; [unrolled: 1-line block ×8, first 2 shown]
	v_cndmask_b32_e32 v155, v166, v159, vcc_lo
	v_cndmask_b32_e32 v166, v170, v163, vcc_lo
	v_cndmask_b32_e64 v170, v174, v159, s13
	v_cndmask_b32_e64 v174, v175, v163, s13
	;; [unrolled: 1-line block ×6, first 2 shown]
	v_cndmask_b32_e32 v144, v144, v167, vcc_lo
	v_cndmask_b32_e32 v147, v147, v171, vcc_lo
	v_cndmask_b32_e64 v148, v148, v167, s13
	v_cndmask_b32_e64 v155, v155, v145, s3
	;; [unrolled: 1-line block ×7, first 2 shown]
	v_lshrrev_b32_e32 v161, 16, v146
	v_lshrrev_b32_e32 v165, 16, v150
	;; [unrolled: 1-line block ×4, first 2 shown]
	v_cndmask_b32_e64 v170, v175, v145, s21
	v_cndmask_b32_e64 v174, v176, v149, s21
	;; [unrolled: 1-line block ×22, first 2 shown]
	v_lshrrev_b32_e32 v169, 16, v154
	v_cndmask_b32_e64 v160, v163, v146, s26
	v_cndmask_b32_e64 v163, v166, v150, s26
	;; [unrolled: 1-line block ×9, first 2 shown]
	v_perm_b32 v146, v143, v141, 0x5040100
	v_cndmask_b32_e64 v141, v183, v156, s15
	v_cndmask_b32_e64 v143, v181, v156, s12
	;; [unrolled: 1-line block ×4, first 2 shown]
	v_perm_b32 v144, v159, v149, 0x5040100
	v_cndmask_b32_e64 v149, v162, v167, s17
	v_cndmask_b32_e64 v151, v151, v167, s18
	;; [unrolled: 1-line block ×15, first 2 shown]
	v_lshrrev_b32_e32 v173, 16, v158
	v_cndmask_b32_e64 v149, v149, v154, s26
	v_cndmask_b32_e64 v151, v151, v154, s27
	;; [unrolled: 1-line block ×13, first 2 shown]
	v_perm_b32 v145, v160, v155, 0x5040100
	v_perm_b32 v143, v148, v147, 0x5040100
	;; [unrolled: 1-line block ×6, first 2 shown]
	s_mul_i32 s7, s33, 9
	s_mov_b32 s3, exec_lo
	ds_store_b128 v134, v[143:146]
	ds_store_b128 v134, v[147:150] offset:1024
	v_cmpx_gt_u32_e32 9, v0
	s_cbranch_execz .LBB258_14
; %bb.13:
	s_mul_i32 s4, s7, s34
	s_load_b128 s[8:11], s[0:1], 0x58
	v_add3_u32 v143, s4, s31, v140
	s_delay_alu instid0(VALU_DEP_1) | instskip(NEXT) | instid1(VALU_DEP_1)
	v_mad_u64_u32 v[140:141], null, v143, s35, s[14:15]
	v_ashrrev_i32_e32 v141, 31, v140
	s_delay_alu instid0(VALU_DEP_1) | instskip(SKIP_1) | instid1(VALU_DEP_1)
	v_lshlrev_b64 v[140:141], 2, v[140:141]
	s_waitcnt lgkmcnt(0)
	v_add_co_u32 v143, vcc_lo, s10, v140
	s_delay_alu instid0(VALU_DEP_2)
	v_add_co_ci_u32_e32 v144, vcc_lo, s11, v141, vcc_lo
	v_add_co_u32 v140, vcc_lo, s8, v140
	v_add_co_ci_u32_e32 v141, vcc_lo, s9, v141, vcc_lo
	global_store_b32 v[143:144], v136, off
	global_store_b32 v[140:141], v142, off
.LBB258_14:
	s_or_b32 exec_lo, exec_lo, s3
	s_waitcnt lgkmcnt(0)
	s_waitcnt_vscnt null, 0x0
	s_barrier
	buffer_gl0_inv
	ds_load_b128 v[148:151], v133
	ds_load_b128 v[152:155], v133 offset:16
	ds_load_b128 v[160:163], v133 offset:1040
	;; [unrolled: 1-line block ×5, first 2 shown]
	v_cmp_eq_u32_e32 vcc_lo, 1, v132
	v_mov_b32_e32 v140, 0
	ds_load_b128 v[176:179], v133 offset:3088
	ds_load_b128 v[172:175], v133 offset:3072
	;; [unrolled: 1-line block ×4, first 2 shown]
	v_cmp_eq_u32_e64 s3, 1, v129
	v_cmp_eq_u32_e64 s4, 1, v131
	;; [unrolled: 1-line block ×3, first 2 shown]
	v_mov_b32_e32 v141, v140
	v_mov_b32_e32 v142, v140
	;; [unrolled: 1-line block ×7, first 2 shown]
	v_cmp_eq_u32_e64 s6, 2, v129
	s_waitcnt lgkmcnt(8)
	s_delay_alu instid0(VALU_DEP_2)
	v_wmma_f32_16x16x16_f16 v[140:147], v[121:128], v[148:155], v[140:147]
	ds_load_b128 v[125:128], v133 offset:5136
	ds_load_b128 v[121:124], v133 offset:5120
	s_waitcnt lgkmcnt(8)
	v_wmma_f32_16x16x16_f16 v[140:147], v[113:120], v[156:163], v[140:147]
	ds_load_b128 v[117:120], v133 offset:6160
	ds_load_b128 v[113:116], v133 offset:6144
	s_waitcnt lgkmcnt(8)
	;; [unrolled: 4-line block ×11, first 2 shown]
	s_barrier
	buffer_gl0_inv
	v_wmma_f32_16x16x16_f16 v[140:147], v[1:8], v[73:80], v[140:147]
	s_delay_alu instid0(VALU_DEP_1) | instskip(NEXT) | instid1(VALU_DEP_1)
	v_wmma_f32_16x16x16_f16 v[140:147], v[9:16], v[65:72], v[140:147]
	v_wmma_f32_16x16x16_f16 v[140:147], v[33:40], v[57:64], v[140:147]
	s_delay_alu instid0(VALU_DEP_1) | instskip(NEXT) | instid1(VALU_DEP_1)
	v_wmma_f32_16x16x16_f16 v[140:147], v[41:48], v[49:56], v[140:147]
	v_wmma_f32_16x16x16_f16 v[140:147], v[17:24], v[25:32], v[140:147]
	s_delay_alu instid0(VALU_DEP_1) | instskip(NEXT) | instid1(VALU_DEP_2)
	v_cvt_f16_f32_e64 v1, v140
	v_cvt_f16_f32_e64 v2, v141
	s_delay_alu instid0(VALU_DEP_3) | instskip(NEXT) | instid1(VALU_DEP_4)
	v_cvt_f16_f32_e64 v3, v142
	v_cvt_f16_f32_e64 v4, v143
	;; [unrolled: 1-line block ×6, first 2 shown]
	v_pack_b32_f16 v1, v1, v2
	v_pack_b32_f16 v2, v3, v4
	;; [unrolled: 1-line block ×3, first 2 shown]
	s_delay_alu instid0(VALU_DEP_4)
	v_pack_b32_f16 v4, v7, v8
	ds_store_b128 v134, v[1:4]
	s_waitcnt lgkmcnt(0)
	s_barrier
	buffer_gl0_inv
	ds_load_b128 v[1:4], v135
	ds_load_b128 v[5:8], v135 offset:16
	s_waitcnt lgkmcnt(1)
	v_lshrrev_b32_e32 v9, 16, v1
	s_waitcnt lgkmcnt(0)
	v_lshrrev_b32_e32 v13, 16, v5
	v_lshrrev_b32_e32 v10, 16, v2
	;; [unrolled: 1-line block ×4, first 2 shown]
	v_cndmask_b32_e64 v17, v1, v9, s3
	v_cndmask_b32_e64 v18, v5, v13, s3
	;; [unrolled: 1-line block ×3, first 2 shown]
	v_cmp_eq_u32_e64 s3, 2, v130
	v_cndmask_b32_e64 v20, v5, v13, s5
	v_cndmask_b32_e32 v21, v1, v9, vcc_lo
	v_cndmask_b32_e32 v22, v5, v13, vcc_lo
	v_cndmask_b32_e64 v1, v1, v9, s4
	v_cndmask_b32_e64 v5, v5, v13, s4
	v_cmp_eq_u32_e32 vcc_lo, 2, v132
	v_cmp_eq_u32_e64 s4, 2, v131
	v_cndmask_b32_e64 v9, v17, v2, s6
	v_cndmask_b32_e64 v13, v18, v6, s6
	;; [unrolled: 1-line block ×4, first 2 shown]
	v_cndmask_b32_e32 v19, v21, v2, vcc_lo
	v_cmp_eq_u32_e64 s3, 3, v132
	v_cndmask_b32_e32 v20, v22, v6, vcc_lo
	v_cndmask_b32_e64 v1, v1, v2, s4
	v_cmp_eq_u32_e32 vcc_lo, 3, v131
	v_cmp_eq_u32_e64 s5, 3, v129
	v_cndmask_b32_e64 v2, v5, v6, s4
	v_cmp_eq_u32_e64 s4, 3, v130
	v_cmp_eq_u32_e64 s6, 4, v129
	v_cndmask_b32_e32 v1, v1, v10, vcc_lo
	v_cndmask_b32_e64 v5, v9, v10, s5
	v_cndmask_b32_e64 v6, v13, v14, s5
	;; [unrolled: 1-line block ×3, first 2 shown]
	v_cmp_eq_u32_e64 s5, 4, v130
	v_cndmask_b32_e64 v13, v18, v14, s4
	v_cndmask_b32_e64 v17, v19, v10, s3
	;; [unrolled: 1-line block ×3, first 2 shown]
	v_cndmask_b32_e32 v2, v2, v14, vcc_lo
	v_cmp_eq_u32_e32 vcc_lo, 4, v132
	v_cmp_eq_u32_e64 s4, 4, v131
	v_lshrrev_b32_e32 v15, 16, v7
	v_cndmask_b32_e64 v5, v5, v3, s6
	v_cndmask_b32_e64 v6, v6, v7, s6
	v_cndmask_b32_e32 v14, v18, v7, vcc_lo
	v_cndmask_b32_e64 v9, v9, v3, s5
	v_cndmask_b32_e64 v10, v13, v7, s5
	v_cndmask_b32_e32 v13, v17, v3, vcc_lo
	v_cmp_eq_u32_e64 s3, 5, v132
	v_cndmask_b32_e64 v1, v1, v3, s4
	v_cmp_eq_u32_e32 vcc_lo, 5, v131
	v_cmp_eq_u32_e64 s5, 5, v129
	v_cndmask_b32_e64 v2, v2, v7, s4
	v_cmp_eq_u32_e64 s4, 5, v130
	v_cmp_eq_u32_e64 s6, 6, v129
	v_lshrrev_b32_e32 v12, 16, v4
	v_cndmask_b32_e64 v3, v5, v11, s5
	v_cndmask_b32_e64 v5, v6, v15, s5
	;; [unrolled: 1-line block ×3, first 2 shown]
	v_cmp_eq_u32_e64 s5, 6, v130
	v_cndmask_b32_e64 v7, v10, v15, s4
	v_cndmask_b32_e64 v9, v13, v11, s3
	v_cndmask_b32_e64 v10, v14, v15, s3
	v_cndmask_b32_e32 v1, v1, v11, vcc_lo
	v_cndmask_b32_e32 v2, v2, v15, vcc_lo
	v_cmp_eq_u32_e32 vcc_lo, 6, v132
	v_cmp_eq_u32_e64 s3, 6, v131
	v_lshrrev_b32_e32 v16, 16, v8
	v_cndmask_b32_e64 v3, v3, v4, s6
	v_cndmask_b32_e64 v5, v5, v8, s6
	v_cndmask_b32_e32 v9, v9, v4, vcc_lo
	v_cndmask_b32_e64 v6, v6, v4, s5
	v_cndmask_b32_e64 v7, v7, v8, s5
	v_cmp_eq_u32_e64 s4, 7, v132
	v_cndmask_b32_e32 v10, v10, v8, vcc_lo
	v_cndmask_b32_e64 v1, v1, v4, s3
	v_cmp_eq_u32_e32 vcc_lo, 7, v131
	v_cndmask_b32_e64 v2, v2, v8, s3
	v_cmp_eq_u32_e64 s3, 7, v129
	v_cmp_eq_u32_e64 s5, 7, v130
	v_cndmask_b32_e32 v1, v1, v12, vcc_lo
	s_delay_alu instid0(VALU_DEP_4) | instskip(NEXT) | instid1(VALU_DEP_4)
	v_cndmask_b32_e32 v2, v2, v16, vcc_lo
	v_cndmask_b32_e64 v8, v3, v12, s3
	s_delay_alu instid0(VALU_DEP_4)
	v_cndmask_b32_e64 v6, v6, v12, s5
	v_cndmask_b32_e64 v3, v9, v12, s4
	;; [unrolled: 1-line block ×5, first 2 shown]
	v_perm_b32 v4, v2, v1, 0x5040100
	s_mov_b32 s3, exec_lo
	v_perm_b32 v3, v9, v3, 0x5040100
	v_perm_b32 v2, v7, v6, 0x5040100
	;; [unrolled: 1-line block ×3, first 2 shown]
	ds_store_b128 v134, v[1:4]
	s_waitcnt lgkmcnt(0)
	s_barrier
	buffer_gl0_inv
	v_cmpx_gt_u32_e32 32, v0
	s_cbranch_execz .LBB258_2
; %bb.15:
	s_load_b64 s[4:5], s[0:1], 0x68
	v_lshlrev_b32_e32 v0, 10, v0
	v_lshlrev_b32_e32 v1, 4, v139
	s_lshl_b32 s0, s35, 7
	v_add_nc_u32_e32 v2, s31, v138
	s_mul_i32 s1, s0, s34
	s_delay_alu instid0(SALU_CYCLE_1) | instskip(SKIP_1) | instid1(VALU_DEP_2)
	s_mul_i32 s6, s1, s7
	v_and_or_b32 v0, 0x3800, v0, v1
	v_mul_lo_u32 v1, v2, s0
	s_ashr_i32 s7, s6, 31
	v_add_nc_u32_e32 v3, 2, v2
	s_lshl_b64 s[6:7], s[6:7], 1
	v_add_nc_u32_e32 v4, 4, v2
	v_add_nc_u32_e32 v5, 6, v2
	v_lshl_or_b32 v15, v138, 6, v0
	v_mul_lo_u32 v3, v3, s0
	v_ashrrev_i32_e32 v2, 31, v1
	v_mul_lo_u32 v19, v4, s0
	v_mul_lo_u32 v21, v5, s0
	s_waitcnt lgkmcnt(0)
	s_add_u32 s1, s4, s6
	s_addc_u32 s3, s5, s7
	s_lshl_b32 s4, s14, 7
	v_lshlrev_b64 v[5:6], 1, v[1:2]
	s_ashr_i32 s5, s4, 31
	v_ashrrev_i32_e32 v4, 31, v3
	s_lshl_b64 s[4:5], s[4:5], 1
	v_ashrrev_i32_e32 v20, 31, v19
	s_add_u32 s1, s1, s4
	s_addc_u32 s3, s3, s5
	v_add_co_u32 v1, s1, s1, v137
	s_delay_alu instid0(VALU_DEP_1) | instskip(SKIP_1) | instid1(VALU_DEP_3)
	v_add_co_ci_u32_e64 v2, null, s3, 0, s1
	v_lshlrev_b64 v[25:26], 1, v[3:4]
	v_add_co_u32 v23, vcc_lo, v1, v5
	s_delay_alu instid0(VALU_DEP_3)
	v_add_co_ci_u32_e32 v24, vcc_lo, v2, v6, vcc_lo
	ds_load_b128 v[3:6], v15
	ds_load_b128 v[7:10], v15 offset:128
	ds_load_b128 v[11:14], v15 offset:256
	;; [unrolled: 1-line block ×3, first 2 shown]
	v_ashrrev_i32_e32 v22, 31, v21
	v_lshlrev_b64 v[19:20], 1, v[19:20]
	v_add_co_u32 v25, vcc_lo, v1, v25
	v_add_co_ci_u32_e32 v26, vcc_lo, v2, v26, vcc_lo
	s_delay_alu instid0(VALU_DEP_4) | instskip(NEXT) | instid1(VALU_DEP_4)
	v_lshlrev_b64 v[21:22], 1, v[21:22]
	v_add_co_u32 v19, vcc_lo, v1, v19
	v_add_co_ci_u32_e32 v20, vcc_lo, v2, v20, vcc_lo
	s_delay_alu instid0(VALU_DEP_3) | instskip(NEXT) | instid1(VALU_DEP_4)
	v_add_co_u32 v21, vcc_lo, v1, v21
	v_add_co_ci_u32_e32 v22, vcc_lo, v2, v22, vcc_lo
	s_waitcnt lgkmcnt(3)
	global_store_b128 v[23:24], v[3:6], off
	s_waitcnt lgkmcnt(2)
	global_store_b128 v[25:26], v[7:10], off
	;; [unrolled: 2-line block ×4, first 2 shown]
	s_and_b32 exec_lo, exec_lo, s2
	s_cbranch_execz .LBB258_2
; %bb.16:
	ds_load_b128 v[3:6], v0 offset:512
	s_add_i32 s1, s31, 8
	s_delay_alu instid0(SALU_CYCLE_1) | instskip(NEXT) | instid1(SALU_CYCLE_1)
	s_mul_i32 s0, s1, s0
	s_ashr_i32 s1, s0, 31
	s_delay_alu instid0(SALU_CYCLE_1) | instskip(NEXT) | instid1(SALU_CYCLE_1)
	s_lshl_b64 s[0:1], s[0:1], 1
	v_add_co_u32 v0, vcc_lo, v1, s0
	v_add_co_ci_u32_e32 v1, vcc_lo, s1, v2, vcc_lo
	s_waitcnt lgkmcnt(0)
	global_store_b128 v[0:1], v[3:6], off
	s_nop 0
	s_sendmsg sendmsg(MSG_DEALLOC_VGPRS)
	s_endpgm
	.section	.rodata,"a",@progbits
	.p2align	6, 0x0
	.amdhsa_kernel _Z39paged_attention_ll4mi_QKV_mfma16_kernelIDF16_DF16_LN4vllm18Fp8KVCacheDataTypeE0EDF16_Li16ELi128ELi256ELb1ELi9EL8MFMAType0EEvPKT_PKT0_S8_ifPKiSA_SA_iPKfiiiPfSD_PS3_PT2_iSC_SC_
		.amdhsa_group_segment_fixed_size 17472
		.amdhsa_private_segment_fixed_size 0
		.amdhsa_kernarg_size 400
		.amdhsa_user_sgpr_count 13
		.amdhsa_user_sgpr_dispatch_ptr 0
		.amdhsa_user_sgpr_queue_ptr 0
		.amdhsa_user_sgpr_kernarg_segment_ptr 1
		.amdhsa_user_sgpr_dispatch_id 0
		.amdhsa_user_sgpr_private_segment_size 0
		.amdhsa_wavefront_size32 1
		.amdhsa_uses_dynamic_stack 0
		.amdhsa_enable_private_segment 0
		.amdhsa_system_sgpr_workgroup_id_x 1
		.amdhsa_system_sgpr_workgroup_id_y 1
		.amdhsa_system_sgpr_workgroup_id_z 1
		.amdhsa_system_sgpr_workgroup_info 0
		.amdhsa_system_vgpr_workitem_id 0
		.amdhsa_next_free_vgpr 218
		.amdhsa_next_free_sgpr 52
		.amdhsa_reserve_vcc 1
		.amdhsa_float_round_mode_32 0
		.amdhsa_float_round_mode_16_64 0
		.amdhsa_float_denorm_mode_32 3
		.amdhsa_float_denorm_mode_16_64 3
		.amdhsa_dx10_clamp 1
		.amdhsa_ieee_mode 1
		.amdhsa_fp16_overflow 0
		.amdhsa_workgroup_processor_mode 1
		.amdhsa_memory_ordered 1
		.amdhsa_forward_progress 0
		.amdhsa_shared_vgpr_count 0
		.amdhsa_exception_fp_ieee_invalid_op 0
		.amdhsa_exception_fp_denorm_src 0
		.amdhsa_exception_fp_ieee_div_zero 0
		.amdhsa_exception_fp_ieee_overflow 0
		.amdhsa_exception_fp_ieee_underflow 0
		.amdhsa_exception_fp_ieee_inexact 0
		.amdhsa_exception_int_div_zero 0
	.end_amdhsa_kernel
	.section	.text._Z39paged_attention_ll4mi_QKV_mfma16_kernelIDF16_DF16_LN4vllm18Fp8KVCacheDataTypeE0EDF16_Li16ELi128ELi256ELb1ELi9EL8MFMAType0EEvPKT_PKT0_S8_ifPKiSA_SA_iPKfiiiPfSD_PS3_PT2_iSC_SC_,"axG",@progbits,_Z39paged_attention_ll4mi_QKV_mfma16_kernelIDF16_DF16_LN4vllm18Fp8KVCacheDataTypeE0EDF16_Li16ELi128ELi256ELb1ELi9EL8MFMAType0EEvPKT_PKT0_S8_ifPKiSA_SA_iPKfiiiPfSD_PS3_PT2_iSC_SC_,comdat
.Lfunc_end258:
	.size	_Z39paged_attention_ll4mi_QKV_mfma16_kernelIDF16_DF16_LN4vllm18Fp8KVCacheDataTypeE0EDF16_Li16ELi128ELi256ELb1ELi9EL8MFMAType0EEvPKT_PKT0_S8_ifPKiSA_SA_iPKfiiiPfSD_PS3_PT2_iSC_SC_, .Lfunc_end258-_Z39paged_attention_ll4mi_QKV_mfma16_kernelIDF16_DF16_LN4vllm18Fp8KVCacheDataTypeE0EDF16_Li16ELi128ELi256ELb1ELi9EL8MFMAType0EEvPKT_PKT0_S8_ifPKiSA_SA_iPKfiiiPfSD_PS3_PT2_iSC_SC_
                                        ; -- End function
	.section	.AMDGPU.csdata,"",@progbits
; Kernel info:
; codeLenInByte = 8152
; NumSgprs: 54
; NumVgprs: 218
; ScratchSize: 0
; MemoryBound: 0
; FloatMode: 240
; IeeeMode: 1
; LDSByteSize: 17472 bytes/workgroup (compile time only)
; SGPRBlocks: 6
; VGPRBlocks: 27
; NumSGPRsForWavesPerEU: 54
; NumVGPRsForWavesPerEU: 218
; Occupancy: 6
; WaveLimiterHint : 1
; COMPUTE_PGM_RSRC2:SCRATCH_EN: 0
; COMPUTE_PGM_RSRC2:USER_SGPR: 13
; COMPUTE_PGM_RSRC2:TRAP_HANDLER: 0
; COMPUTE_PGM_RSRC2:TGID_X_EN: 1
; COMPUTE_PGM_RSRC2:TGID_Y_EN: 1
; COMPUTE_PGM_RSRC2:TGID_Z_EN: 1
; COMPUTE_PGM_RSRC2:TIDIG_COMP_CNT: 0
	.section	.text._Z39paged_attention_ll4mi_QKV_mfma16_kernelIDF16_DF16_LN4vllm18Fp8KVCacheDataTypeE0EDF16_Li16ELi128ELi256ELb1ELi10EL8MFMAType0EEvPKT_PKT0_S8_ifPKiSA_SA_iPKfiiiPfSD_PS3_PT2_iSC_SC_,"axG",@progbits,_Z39paged_attention_ll4mi_QKV_mfma16_kernelIDF16_DF16_LN4vllm18Fp8KVCacheDataTypeE0EDF16_Li16ELi128ELi256ELb1ELi10EL8MFMAType0EEvPKT_PKT0_S8_ifPKiSA_SA_iPKfiiiPfSD_PS3_PT2_iSC_SC_,comdat
	.protected	_Z39paged_attention_ll4mi_QKV_mfma16_kernelIDF16_DF16_LN4vllm18Fp8KVCacheDataTypeE0EDF16_Li16ELi128ELi256ELb1ELi10EL8MFMAType0EEvPKT_PKT0_S8_ifPKiSA_SA_iPKfiiiPfSD_PS3_PT2_iSC_SC_ ; -- Begin function _Z39paged_attention_ll4mi_QKV_mfma16_kernelIDF16_DF16_LN4vllm18Fp8KVCacheDataTypeE0EDF16_Li16ELi128ELi256ELb1ELi10EL8MFMAType0EEvPKT_PKT0_S8_ifPKiSA_SA_iPKfiiiPfSD_PS3_PT2_iSC_SC_
	.globl	_Z39paged_attention_ll4mi_QKV_mfma16_kernelIDF16_DF16_LN4vllm18Fp8KVCacheDataTypeE0EDF16_Li16ELi128ELi256ELb1ELi10EL8MFMAType0EEvPKT_PKT0_S8_ifPKiSA_SA_iPKfiiiPfSD_PS3_PT2_iSC_SC_
	.p2align	8
	.type	_Z39paged_attention_ll4mi_QKV_mfma16_kernelIDF16_DF16_LN4vllm18Fp8KVCacheDataTypeE0EDF16_Li16ELi128ELi256ELb1ELi10EL8MFMAType0EEvPKT_PKT0_S8_ifPKiSA_SA_iPKfiiiPfSD_PS3_PT2_iSC_SC_,@function
_Z39paged_attention_ll4mi_QKV_mfma16_kernelIDF16_DF16_LN4vllm18Fp8KVCacheDataTypeE0EDF16_Li16ELi128ELi256ELb1ELi10EL8MFMAType0EEvPKT_PKT0_S8_ifPKiSA_SA_iPKfiiiPfSD_PS3_PT2_iSC_SC_: ; @_Z39paged_attention_ll4mi_QKV_mfma16_kernelIDF16_DF16_LN4vllm18Fp8KVCacheDataTypeE0EDF16_Li16ELi128ELi256ELb1ELi10EL8MFMAType0EEvPKT_PKT0_S8_ifPKiSA_SA_iPKfiiiPfSD_PS3_PT2_iSC_SC_
; %bb.0:
	s_load_b64 s[4:5], s[0:1], 0x30
	s_mov_b32 s30, s13
	s_waitcnt lgkmcnt(0)
	s_cmp_lg_u64 s[4:5], 0
	s_cselect_b32 s8, -1, 0
	s_ashr_i32 s31, s13, 31
	s_cmp_eq_u64 s[4:5], 0
	s_cbranch_scc1 .LBB259_3
; %bb.1:
	s_lshl_b64 s[2:3], s[30:31], 2
	s_delay_alu instid0(SALU_CYCLE_1) | instskip(SKIP_4) | instid1(SALU_CYCLE_1)
	s_add_u32 s2, s4, s2
	s_addc_u32 s3, s5, s3
	s_load_b64 s[2:3], s[2:3], 0x0
	s_waitcnt lgkmcnt(0)
	s_sub_i32 s2, s3, s2
	s_cmp_eq_u32 s2, 1
	s_cselect_b32 s2, -1, 0
	s_delay_alu instid0(SALU_CYCLE_1)
	s_and_not1_b32 vcc_lo, exec_lo, s2
	s_cbranch_vccz .LBB259_4
.LBB259_2:
	s_endpgm
.LBB259_3:
.LBB259_4:
	s_load_b64 s[2:3], s[0:1], 0x28
	s_lshl_b64 s[6:7], s[30:31], 2
	s_waitcnt lgkmcnt(0)
	s_add_u32 s2, s2, s6
	s_addc_u32 s3, s3, s7
	s_lshl_b32 s29, s14, 8
	s_load_b32 s28, s[2:3], 0x0
	s_waitcnt lgkmcnt(0)
	s_cmp_ge_i32 s29, s28
	s_cbranch_scc1 .LBB259_2
; %bb.5:
	s_clause 0x1
	s_load_b128 s[20:23], s[0:1], 0x8
	s_load_b64 s[2:3], s[0:1], 0x20
	s_and_not1_b32 vcc_lo, exec_lo, s8
	s_cbranch_vccnz .LBB259_7
; %bb.6:
	s_add_u32 s4, s4, s6
	s_addc_u32 s5, s5, s7
	s_load_b32 s5, s[4:5], 0x0
	s_branch .LBB259_8
.LBB259_7:
	s_mov_b32 s5, s30
.LBB259_8:
	s_load_b128 s[16:19], s[0:1], 0x48
	v_and_b32_e32 v140, 15, v0
	v_lshrrev_b32_e32 v141, 5, v0
	v_and_b32_e32 v142, 31, v0
	v_and_b32_e32 v139, 1, v0
	v_bfe_u32 v138, v0, 4, 1
	v_lshlrev_b32_e32 v1, 3, v140
	s_mul_i32 s31, s15, 10
	s_mov_b32 s4, exec_lo
	s_delay_alu instid0(VALU_DEP_1)
	v_lshlrev_b32_e32 v137, 1, v1
	v_cmpx_gt_u32_e32 0xa0, v0
	s_cbranch_execz .LBB259_10
; %bb.9:
	s_load_b64 s[6:7], s[0:1], 0x0
	v_lshl_or_b32 v5, v141, 1, v138
	s_waitcnt lgkmcnt(0)
	s_mul_hi_i32 s9, s5, s16
	s_mul_i32 s8, s5, s16
	v_lshlrev_b32_e32 v6, 10, v140
	s_lshl_b64 s[8:9], s[8:9], 1
	v_add_lshl_u32 v1, v5, s31, 7
	v_lshlrev_b32_e32 v5, 6, v5
	v_lshlrev_b32_e32 v7, 10, v139
	v_and_b32_e32 v6, 0x3800, v6
	s_delay_alu instid0(VALU_DEP_4) | instskip(NEXT) | instid1(VALU_DEP_2)
	v_ashrrev_i32_e32 v2, 31, v1
	v_or3_b32 v5, v6, v7, v5
	s_delay_alu instid0(VALU_DEP_2) | instskip(SKIP_2) | instid1(VALU_DEP_1)
	v_lshlrev_b64 v[1:2], 1, v[1:2]
	s_add_u32 s5, s6, s8
	s_addc_u32 s6, s7, s9
	v_add_co_u32 v1, vcc_lo, s5, v1
	s_delay_alu instid0(VALU_DEP_2) | instskip(NEXT) | instid1(VALU_DEP_2)
	v_add_co_ci_u32_e32 v2, vcc_lo, s6, v2, vcc_lo
	v_add_co_u32 v1, vcc_lo, v1, v137
	s_delay_alu instid0(VALU_DEP_2)
	v_add_co_ci_u32_e32 v2, vcc_lo, 0, v2, vcc_lo
	global_load_b128 v[1:4], v[1:2], off
	s_waitcnt vmcnt(0)
	ds_store_b128 v5, v[1:4]
.LBB259_10:
	s_or_b32 exec_lo, exec_lo, s4
	v_and_b32_e32 v1, 0xef, v0
	s_waitcnt lgkmcnt(0)
	s_add_i32 s5, s28, 15
	s_clause 0x1
	s_load_b32 s4, s[0:1], 0x38
	s_load_b32 s33, s[0:1], 0x98
	s_ashr_i32 s6, s5, 31
	v_add_nc_u32_e32 v1, s29, v1
	s_lshr_b32 s6, s6, 28
	s_load_b32 s34, s[0:1], 0x1c
	s_add_i32 s5, s5, s6
	s_waitcnt lgkmcnt(0)
	v_ashrrev_i32_e32 v2, 31, v1
	v_cmp_gt_i32_e32 vcc_lo, s28, v1
	s_ashr_i32 s16, s5, 4
	s_barrier
	s_add_i32 s16, s16, -1
	v_lshrrev_b32_e32 v3, 28, v2
	v_or_b32_e32 v2, 16, v1
	buffer_gl0_inv
	v_add_nc_u32_e32 v105, -10, v140
	v_lshlrev_b32_e32 v106, 5, v140
	v_add_nc_u32_e32 v4, v1, v3
	v_add_nc_u32_e32 v3, v2, v3
	s_mul_i32 s4, s30, s4
	s_delay_alu instid0(SALU_CYCLE_1) | instskip(NEXT) | instid1(VALU_DEP_2)
	s_ashr_i32 s5, s4, 31
	v_ashrrev_i32_e32 v4, 4, v4
	s_delay_alu instid0(VALU_DEP_2)
	v_ashrrev_i32_e32 v3, 4, v3
	s_lshl_b64 s[4:5], s[4:5], 2
	v_lshl_or_b32 v125, v141, 9, v106
	s_add_u32 s35, s2, s4
	v_cndmask_b32_e32 v1, s16, v4, vcc_lo
	v_cmp_gt_i32_e32 vcc_lo, s28, v2
	s_addc_u32 s36, s3, s5
	s_mul_i32 s2, s15, s18
	s_delay_alu instid0(VALU_DEP_2) | instskip(SKIP_2) | instid1(SALU_CYCLE_1)
	v_ashrrev_i32_e32 v2, 31, v1
	v_cndmask_b32_e32 v3, s16, v3, vcc_lo
	s_ashr_i32 s3, s2, 31
	s_lshl_b64 s[2:3], s[2:3], 1
	s_delay_alu instid0(VALU_DEP_2) | instskip(NEXT) | instid1(VALU_DEP_2)
	v_lshlrev_b64 v[1:2], 2, v[1:2]
	v_ashrrev_i32_e32 v4, 31, v3
	s_add_u32 s24, s20, s2
	s_addc_u32 s25, s21, s3
	s_lshl_b32 s4, s14, 4
	s_delay_alu instid0(VALU_DEP_1) | instskip(SKIP_3) | instid1(VALU_DEP_3)
	v_lshlrev_b64 v[3:4], 2, v[3:4]
	v_add_co_u32 v1, vcc_lo, s35, v1
	v_add_co_ci_u32_e32 v2, vcc_lo, s36, v2, vcc_lo
	s_ashr_i32 s5, s4, 31
	v_add_co_u32 v3, vcc_lo, s35, v3
	s_delay_alu instid0(VALU_DEP_4)
	v_add_co_ci_u32_e32 v4, vcc_lo, s36, v4, vcc_lo
	s_lshl_b64 s[4:5], s[4:5], 2
	s_clause 0x1
	global_load_b32 v5, v[1:2], off
	global_load_b32 v6, v[3:4], off
	s_add_u32 s4, s35, s4
	s_addc_u32 s5, s36, s5
	s_or_b32 s6, s29, 16
	v_lshlrev_b32_e32 v3, 4, v0
	s_ashr_i32 s7, s6, 4
	s_cmp_lt_i32 s6, s28
	s_cselect_b32 s6, s7, s16
	s_delay_alu instid0(SALU_CYCLE_1) | instskip(NEXT) | instid1(SALU_CYCLE_1)
	s_ashr_i32 s7, s6, 31
	s_lshl_b64 s[6:7], s[6:7], 2
	s_delay_alu instid0(SALU_CYCLE_1) | instskip(SKIP_2) | instid1(SALU_CYCLE_1)
	s_add_u32 s6, s35, s6
	s_addc_u32 s7, s36, s7
	s_or_b32 s8, s29, 32
	s_ashr_i32 s9, s8, 4
	s_cmp_lt_i32 s8, s28
	s_cselect_b32 s8, s9, s16
	s_delay_alu instid0(SALU_CYCLE_1) | instskip(NEXT) | instid1(SALU_CYCLE_1)
	s_ashr_i32 s9, s8, 31
	s_lshl_b64 s[8:9], s[8:9], 2
	s_delay_alu instid0(SALU_CYCLE_1) | instskip(SKIP_2) | instid1(SALU_CYCLE_1)
	s_add_u32 s8, s35, s8
	s_addc_u32 s9, s36, s9
	s_or_b32 s10, s29, 48
	;; [unrolled: 10-line block ×4, first 2 shown]
	s_ashr_i32 s13, s12, 4
	s_cmp_lt_i32 s12, s28
	s_cselect_b32 s12, s13, s16
	s_delay_alu instid0(SALU_CYCLE_1) | instskip(NEXT) | instid1(SALU_CYCLE_1)
	s_ashr_i32 s13, s12, 31
	s_lshl_b64 s[12:13], s[12:13], 2
	s_delay_alu instid0(SALU_CYCLE_1)
	s_add_u32 s20, s35, s12
	s_addc_u32 s21, s36, s13
	s_clause 0x5
	s_load_b32 s37, s[4:5], 0x0
	s_load_b32 s27, s[6:7], 0x0
	;; [unrolled: 1-line block ×6, first 2 shown]
	s_waitcnt vmcnt(1)
	v_mad_i64_i32 v[1:2], null, v5, s17, 0
	v_and_b32_e32 v5, 0xf0, v3
	s_waitcnt vmcnt(0)
	v_mad_i64_i32 v[3:4], null, v6, s17, 0
	s_delay_alu instid0(VALU_DEP_2) | instskip(NEXT) | instid1(VALU_DEP_4)
	v_add_co_u32 v5, s4, s24, v5
	v_lshlrev_b64 v[1:2], 1, v[1:2]
	v_add_co_ci_u32_e64 v6, null, s25, 0, s4
	s_delay_alu instid0(VALU_DEP_4) | instskip(SKIP_1) | instid1(VALU_DEP_3)
	v_lshlrev_b64 v[3:4], 1, v[3:4]
	s_or_b32 s4, s29, 0x60
	v_add_co_u32 v121, vcc_lo, v5, v1
	s_delay_alu instid0(VALU_DEP_3) | instskip(NEXT) | instid1(VALU_DEP_3)
	v_add_co_ci_u32_e32 v122, vcc_lo, v6, v2, vcc_lo
	v_add_co_u32 v123, vcc_lo, v5, v3
	s_delay_alu instid0(VALU_DEP_4)
	v_add_co_ci_u32_e32 v124, vcc_lo, v6, v4, vcc_lo
	s_clause 0x19
	global_load_b128 v[89:92], v[121:122], off
	global_load_b128 v[93:96], v[121:122], off offset:256
	global_load_b128 v[97:100], v[123:124], off
	global_load_b128 v[101:104], v[123:124], off offset:256
	global_load_b128 v[81:84], v[121:122], off offset:512
	global_load_b128 v[85:88], v[121:122], off offset:768
	global_load_b128 v[73:76], v[123:124], off offset:512
	global_load_b128 v[77:80], v[123:124], off offset:768
	global_load_b128 v[65:68], v[121:122], off offset:1024
	global_load_b128 v[69:72], v[121:122], off offset:1280
	global_load_b128 v[57:60], v[123:124], off offset:1024
	global_load_b128 v[61:64], v[123:124], off offset:1280
	global_load_b128 v[49:52], v[121:122], off offset:1536
	global_load_b128 v[53:56], v[121:122], off offset:1792
	global_load_b128 v[25:28], v[123:124], off offset:1536
	global_load_b128 v[29:32], v[123:124], off offset:1792
	global_load_b128 v[1:4], v[121:122], off offset:2048
	global_load_b128 v[5:8], v[121:122], off offset:2304
	global_load_b128 v[9:12], v[123:124], off offset:2048
	global_load_b128 v[13:16], v[123:124], off offset:2304
	global_load_b128 v[33:36], v[121:122], off offset:2560
	global_load_b128 v[37:40], v[121:122], off offset:2816
	global_load_b128 v[41:44], v[123:124], off offset:2560
	global_load_b128 v[45:48], v[123:124], off offset:2816
	global_load_b128 v[17:20], v[121:122], off offset:3072
	global_load_b128 v[21:24], v[121:122], off offset:3328
	s_ashr_i32 s5, s4, 4
	s_cmp_lt_i32 s4, s28
	v_cmp_gt_u32_e32 vcc_lo, 10, v140
	s_cselect_b32 s4, s5, s16
	s_delay_alu instid0(SALU_CYCLE_1) | instskip(NEXT) | instid1(SALU_CYCLE_1)
	s_ashr_i32 s5, s4, 31
	s_lshl_b64 s[4:5], s[4:5], 2
	v_cndmask_b32_e32 v105, v105, v140, vcc_lo
	s_add_u32 s18, s35, s4
	s_addc_u32 s19, s36, s5
	s_or_b32 s4, s29, 0x70
	s_delay_alu instid0(SALU_CYCLE_1)
	s_ashr_i32 s5, s4, 4
	s_cmp_lt_i32 s4, s28
	v_lshlrev_b32_e32 v215, 6, v105
	s_cselect_b32 s6, s5, s16
	ds_load_b128 v[105:108], v215
	ds_load_b128 v[109:112], v215 offset:1024
	s_ashr_i32 s7, s6, 31
	ds_load_b128 v[113:116], v215 offset:2048
	ds_load_b128 v[117:120], v215 offset:3072
	;; [unrolled: 1-line block ×8, first 2 shown]
	s_clause 0x1
	global_load_b128 v[167:170], v[123:124], off offset:3072
	global_load_b128 v[171:174], v[123:124], off offset:3328
	s_lshl_b64 s[6:7], s[6:7], 2
	s_mov_b32 s4, 0
	s_add_u32 s20, s35, s6
	s_addc_u32 s21, s36, s7
	s_clause 0x1
	s_load_b32 s41, s[18:19], 0x0
	s_load_b32 s46, s[20:21], 0x0
	s_clause 0x3
	global_load_b128 v[175:178], v[121:122], off offset:3584
	global_load_b128 v[179:182], v[121:122], off offset:3840
	;; [unrolled: 1-line block ×4, first 2 shown]
	s_or_b32 s7, s29, 0x80
	s_mov_b32 s5, s4
	s_ashr_i32 s8, s7, 4
	s_cmp_lt_i32 s7, s28
	s_mov_b32 s6, s4
	s_cselect_b32 s10, s8, s16
	s_mov_b32 s7, s4
	s_ashr_i32 s11, s10, 31
	s_mov_b32 s8, s4
	s_lshl_b64 s[24:25], s[10:11], 2
	s_mov_b32 s9, s4
	s_add_u32 s24, s35, s24
	s_addc_u32 s25, s36, s25
	s_or_b32 s11, s29, 0x90
	s_mov_b32 s10, s4
	s_ashr_i32 s38, s11, 4
	s_cmp_lt_i32 s11, s28
	s_mov_b32 s11, s4
	s_cselect_b32 s38, s38, s16
	v_mov_b32_e32 v136, s11
	s_ashr_i32 s39, s38, 31
	v_dual_mov_b32 v135, s10 :: v_dual_mov_b32 v134, s9
	v_dual_mov_b32 v133, s8 :: v_dual_mov_b32 v132, s7
	;; [unrolled: 1-line block ×3, first 2 shown]
	v_mov_b32_e32 v129, s4
	s_lshl_b64 s[4:5], s[38:39], 2
	s_waitcnt lgkmcnt(0)
	s_mul_hi_i32 s7, s27, s17
	s_add_u32 s38, s35, s4
	s_addc_u32 s39, s36, s5
	s_or_b32 s4, s29, 0xa0
	s_load_b32 s40, s[38:39], 0x0
	s_ashr_i32 s5, s4, 4
	s_cmp_lt_i32 s4, s28
	s_cselect_b32 s4, s5, s16
	s_delay_alu instid0(SALU_CYCLE_1) | instskip(NEXT) | instid1(SALU_CYCLE_1)
	s_ashr_i32 s5, s4, 31
	s_lshl_b64 s[4:5], s[4:5], 2
	s_delay_alu instid0(SALU_CYCLE_1)
	s_add_u32 s42, s35, s4
	s_addc_u32 s43, s36, s5
	s_or_b32 s4, s29, 0xb0
	s_load_b32 s39, s[42:43], 0x0
	s_ashr_i32 s6, s4, 4
	s_cmp_lt_i32 s4, s28
	s_mul_hi_i32 s5, s37, s17
	s_cselect_b32 s8, s6, s16
	s_mul_i32 s6, s27, s17
	s_ashr_i32 s9, s8, 31
	s_mul_i32 s4, s37, s17
	s_lshl_b64 s[10:11], s[8:9], 2
	s_mul_hi_i32 s9, s26, s17
	s_add_u32 s44, s35, s10
	s_addc_u32 s45, s36, s11
	s_or_b32 s10, s29, 0xc0
	s_mul_i32 s8, s26, s17
	s_ashr_i32 s26, s10, 4
	s_cmp_lt_i32 s10, s28
	s_mul_hi_i32 s11, s13, s17
	s_cselect_b32 s26, s26, s16
	s_mul_i32 s10, s13, s17
	s_ashr_i32 s27, s26, 31
	s_mul_hi_i32 s13, s12, s17
	s_lshl_b64 s[26:27], s[26:27], 2
	s_mul_i32 s12, s12, s17
	s_add_u32 s20, s35, s26
	s_addc_u32 s21, s36, s27
	s_or_b32 s18, s29, 0xd0
	s_load_b32 s26, s[24:25], 0x0
	s_ashr_i32 s19, s18, 4
	s_cmp_lt_i32 s18, s28
	s_mul_i32 s18, s15, s17
	s_cselect_b32 s24, s19, s16
	s_mul_hi_i32 s19, s15, s17
	s_ashr_i32 s25, s24, 31
	s_delay_alu instid0(SALU_CYCLE_1) | instskip(NEXT) | instid1(SALU_CYCLE_1)
	s_lshl_b64 s[24:25], s[24:25], 2
	s_add_u32 s24, s35, s24
	s_addc_u32 s25, s36, s25
	s_or_b32 s42, s29, 0xe0
	s_clause 0x2
	s_load_b32 s38, s[44:45], 0x0
	s_load_b32 s37, s[20:21], 0x0
	;; [unrolled: 1-line block ×3, first 2 shown]
	s_ashr_i32 s43, s42, 4
	s_cmp_lt_i32 s42, s28
	s_mul_hi_i32 s25, s46, s17
	s_cselect_b32 s42, s43, s16
	s_mul_i32 s24, s46, s17
	s_ashr_i32 s43, s42, 31
	s_mul_hi_i32 s21, s41, s17
	s_lshl_b64 s[42:43], s[42:43], 2
	s_mul_i32 s20, s41, s17
	s_add_u32 s42, s35, s42
	s_addc_u32 s43, s36, s43
	s_or_b32 s46, s29, 0xf0
	s_waitcnt lgkmcnt(0)
	s_mul_hi_i32 s27, s26, s17
	s_ashr_i32 s47, s46, 4
	s_cmp_lt_i32 s46, s28
	s_mul_i32 s26, s26, s17
	s_cselect_b32 s46, s47, s16
	s_mul_hi_i32 s41, s40, s17
	s_ashr_i32 s47, s46, 31
	s_mul_hi_i32 s51, s15, s17
	s_lshl_b64 s[46:47], s[46:47], 2
	s_mul_i32 s50, s15, s17
	s_add_u32 s46, s35, s46
	s_addc_u32 s47, s36, s47
	s_add_u32 s15, s22, s2
	s_addc_u32 s16, s23, s3
	v_add_co_u32 v216, s15, s15, v125
	s_delay_alu instid0(VALU_DEP_1) | instskip(SKIP_2) | instid1(VALU_DEP_2)
	v_add_co_ci_u32_e64 v217, null, s16, 0, s15
	s_lshl_b64 s[2:3], s[4:5], 1
	s_lshl_b64 s[4:5], s[6:7], 1
	v_add_co_u32 v125, vcc_lo, v216, s2
	s_delay_alu instid0(VALU_DEP_2)
	v_add_co_ci_u32_e32 v126, vcc_lo, s3, v217, vcc_lo
	v_add_co_u32 v199, vcc_lo, v216, s4
	s_lshl_b64 s[6:7], s[8:9], 1
	v_add_co_ci_u32_e32 v200, vcc_lo, s5, v217, vcc_lo
	s_lshl_b64 s[8:9], s[10:11], 1
	s_lshl_b64 s[10:11], s[12:13], 1
	;; [unrolled: 1-line block ×6, first 2 shown]
	s_mul_i32 s40, s40, s17
	s_mul_hi_i32 s45, s39, s17
	s_lshl_b64 s[24:25], s[40:41], 1
	s_mul_i32 s44, s39, s17
	s_mul_hi_i32 s39, s38, s17
	s_lshl_b64 s[26:27], s[44:45], 1
	s_mul_i32 s38, s38, s17
	s_mul_hi_i32 s49, s37, s17
	s_mul_i32 s48, s37, s17
	s_lshl_b64 s[36:37], s[38:39], 1
	s_lshl_b64 s[38:39], s[48:49], 1
	s_clause 0x1
	s_load_b32 s15, s[42:43], 0x0
	s_load_b32 s16, s[46:47], 0x0
	s_lshl_b64 s[40:41], s[50:51], 1
	s_waitcnt lgkmcnt(0)
	s_mul_hi_i32 s3, s15, s17
	s_mul_i32 s2, s15, s17
	s_mul_hi_i32 s5, s16, s17
	s_lshl_b64 s[2:3], s[2:3], 1
	s_mul_i32 s4, s16, s17
	s_waitcnt vmcnt(30)
	v_wmma_f32_16x16x16_f16 v[191:198], v[89:96], v[105:112], v[129:136]
	v_add_co_u32 v89, vcc_lo, v216, s6
	v_add_co_ci_u32_e32 v90, vcc_lo, s7, v217, vcc_lo
	v_add_co_u32 v91, vcc_lo, v216, s8
	v_add_co_ci_u32_e32 v92, vcc_lo, s9, v217, vcc_lo
	v_add_co_u32 v93, vcc_lo, v216, s10
	v_add_co_ci_u32_e32 v94, vcc_lo, s11, v217, vcc_lo
	v_add_co_u32 v201, vcc_lo, v216, s12
	v_add_co_ci_u32_e32 v202, vcc_lo, s13, v217, vcc_lo
	v_add_co_u32 v203, vcc_lo, v216, s18
	v_add_co_ci_u32_e32 v204, vcc_lo, s19, v217, vcc_lo
	v_add_co_u32 v205, vcc_lo, v216, s20
	s_waitcnt vmcnt(28)
	v_wmma_f32_16x16x16_f16 v[129:136], v[97:104], v[105:112], v[129:136]
	v_add_co_ci_u32_e32 v206, vcc_lo, s21, v217, vcc_lo
	v_add_co_u32 v207, vcc_lo, v216, s22
	v_add_co_ci_u32_e32 v208, vcc_lo, s23, v217, vcc_lo
	v_add_co_u32 v209, vcc_lo, v216, s24
	s_waitcnt vmcnt(26)
	v_wmma_f32_16x16x16_f16 v[191:198], v[81:88], v[113:120], v[191:198]
	s_waitcnt vmcnt(24)
	v_wmma_f32_16x16x16_f16 v[129:136], v[73:80], v[113:120], v[129:136]
	v_add_co_ci_u32_e32 v210, vcc_lo, s25, v217, vcc_lo
	v_add_co_u32 v211, vcc_lo, v216, s26
	v_add_co_ci_u32_e32 v212, vcc_lo, s27, v217, vcc_lo
	v_add_co_u32 v213, vcc_lo, v216, s36
	s_waitcnt vmcnt(22)
	v_wmma_f32_16x16x16_f16 v[191:198], v[65:72], v[143:150], v[191:198]
	s_waitcnt vmcnt(20)
	v_wmma_f32_16x16x16_f16 v[129:136], v[57:64], v[143:150], v[129:136]
	v_add_co_ci_u32_e32 v214, vcc_lo, s37, v217, vcc_lo
	v_add_co_u32 v143, vcc_lo, v216, s38
	s_waitcnt vmcnt(18)
	v_wmma_f32_16x16x16_f16 v[191:198], v[49:56], v[151:158], v[191:198]
	s_waitcnt vmcnt(16)
	v_wmma_f32_16x16x16_f16 v[129:136], v[25:32], v[151:158], v[129:136]
	v_add_co_ci_u32_e32 v144, vcc_lo, s39, v217, vcc_lo
	s_clause 0x15
	global_load_b128 v[121:124], v[125:126], off
	global_load_b128 v[125:128], v[125:126], off offset:16
	global_load_b128 v[113:116], v[199:200], off
	global_load_b128 v[117:120], v[199:200], off offset:16
	;; [unrolled: 2-line block ×11, first 2 shown]
	s_waitcnt vmcnt(36)
	v_wmma_f32_16x16x16_f16 v[191:198], v[1:8], v[159:166], v[191:198]
	s_clause 0x1
	global_load_b128 v[1:4], v[213:214], off
	global_load_b128 v[5:8], v[213:214], off offset:16
	s_waitcnt vmcnt(36)
	v_wmma_f32_16x16x16_f16 v[129:136], v[9:16], v[159:166], v[129:136]
	s_clause 0x1
	global_load_b128 v[9:12], v[143:144], off
	global_load_b128 v[13:16], v[143:144], off offset:16
	ds_load_b128 v[143:146], v215 offset:10240
	ds_load_b128 v[147:150], v215 offset:11264
	ds_load_b128 v[151:154], v215 offset:12288
	ds_load_b128 v[155:158], v215 offset:13312
	v_add_co_u32 v199, vcc_lo, v216, s40
	v_add_co_ci_u32_e32 v200, vcc_lo, s41, v217, vcc_lo
	v_add_co_u32 v159, vcc_lo, v216, s2
	v_add_co_ci_u32_e32 v160, vcc_lo, s3, v217, vcc_lo
	s_lshl_b64 s[2:3], s[4:5], 1
	s_delay_alu instid0(SALU_CYCLE_1)
	v_add_co_u32 v161, vcc_lo, v216, s2
	v_add_co_ci_u32_e32 v162, vcc_lo, s3, v217, vcc_lo
	s_waitcnt vmcnt(36) lgkmcnt(2)
	v_wmma_f32_16x16x16_f16 v[191:198], v[33:40], v[143:150], v[191:198]
	s_waitcnt vmcnt(34)
	v_wmma_f32_16x16x16_f16 v[129:136], v[41:48], v[143:150], v[129:136]
	s_clause 0x3
	global_load_b128 v[33:36], v[199:200], off
	global_load_b128 v[37:40], v[199:200], off offset:16
	global_load_b128 v[41:44], v[159:160], off
	global_load_b128 v[45:48], v[159:160], off offset:16
	v_and_b32_e32 v143, 0xe0, v0
	v_mbcnt_lo_u32_b32 v159, -1, 0
	s_waitcnt vmcnt(36) lgkmcnt(0)
	v_wmma_f32_16x16x16_f16 v[191:198], v[17:24], v[151:158], v[191:198]
	s_clause 0x1
	global_load_b128 v[17:20], v[161:162], off
	global_load_b128 v[21:24], v[161:162], off offset:16
	s_waitcnt vmcnt(36)
	v_wmma_f32_16x16x16_f16 v[129:136], v[167:174], v[151:158], v[129:136]
	v_add_nc_u32_e32 v160, s29, v143
	ds_load_b128 v[143:146], v215 offset:14336
	ds_load_b128 v[147:150], v215 offset:15360
	v_xor_b32_e32 v151, 16, v159
	s_waitcnt vmcnt(0) lgkmcnt(0)
	s_barrier
	v_or_b32_e32 v152, v160, v138
	buffer_gl0_inv
	v_cmp_gt_i32_e32 vcc_lo, 32, v151
	v_or_b32_e32 v153, 2, v152
	v_or_b32_e32 v154, 4, v152
	v_or_b32_e32 v155, 6, v152
	v_or_b32_e32 v156, 8, v152
	v_or_b32_e32 v157, 10, v152
	v_cmp_gt_i32_e64 s2, s28, v153
	v_cmp_gt_i32_e64 s3, s28, v154
	;; [unrolled: 1-line block ×3, first 2 shown]
	v_or_b32_e32 v158, 12, v152
	v_cmp_gt_i32_e64 s5, s28, v156
	v_cmp_gt_i32_e64 s6, s28, v157
	v_wmma_f32_16x16x16_f16 v[191:198], v[175:182], v[143:150], v[191:198]
	v_wmma_f32_16x16x16_f16 v[129:136], v[183:190], v[143:150], v[129:136]
	v_cndmask_b32_e32 v151, v159, v151, vcc_lo
	v_cmp_gt_i32_e32 vcc_lo, s28, v152
	v_or_b32_e32 v159, 14, v152
	v_dual_mul_f32 v149, s34, v192 :: v_dual_mul_f32 v150, s34, v191
	v_dual_mul_f32 v147, s34, v194 :: v_dual_mul_f32 v148, s34, v193
	v_mul_f32_e32 v145, s34, v196
	s_delay_alu instid0(VALU_DEP_3) | instskip(NEXT) | instid1(VALU_DEP_4)
	v_cndmask_b32_e64 v149, 0xff7fffff, v149, s2
	v_cndmask_b32_e32 v150, 0xff7fffff, v150, vcc_lo
	v_mul_f32_e32 v146, s34, v195
	v_cndmask_b32_e64 v148, 0xff7fffff, v148, s3
	v_cndmask_b32_e64 v147, 0xff7fffff, v147, s4
	v_or_b32_e32 v160, 16, v152
	v_max3_f32 v149, v150, 0xff7fffff, v149
	v_or_b32_e32 v161, 18, v152
	v_dual_mul_f32 v143, s34, v198 :: v_dual_mul_f32 v144, s34, v197
	v_cndmask_b32_e64 v146, 0xff7fffff, v146, s5
	v_cndmask_b32_e64 v145, 0xff7fffff, v145, s6
	v_max3_f32 v147, v149, v148, v147
	v_cmp_gt_i32_e64 s7, s28, v158
	v_cmp_gt_i32_e64 s8, s28, v159
	v_or_b32_e32 v162, 20, v152
	v_or_b32_e32 v163, 22, v152
	v_dual_mul_f32 v174, s34, v130 :: v_dual_mul_f32 v175, s34, v129
	v_cndmask_b32_e64 v144, 0xff7fffff, v144, s7
	v_cndmask_b32_e64 v143, 0xff7fffff, v143, s8
	v_max3_f32 v145, v147, v146, v145
	v_cmp_gt_i32_e64 s9, s28, v160
	v_cmp_gt_i32_e64 s10, s28, v161
	v_or_b32_e32 v164, 24, v152
	;; [unrolled: 8-line block ×3, first 2 shown]
	v_or_b32_e32 v167, 30, v152
	v_dual_mul_f32 v170, s34, v134 :: v_dual_mul_f32 v171, s34, v133
	v_cndmask_b32_e64 v144, 0xff7fffff, v173, s11
	v_cndmask_b32_e64 v145, 0xff7fffff, v172, s12
	v_max3_f32 v143, v143, v146, v147
	v_cmp_gt_i32_e64 s13, s28, v164
	v_cmp_gt_i32_e64 s15, s28, v165
	v_dual_mul_f32 v168, s34, v136 :: v_dual_mul_f32 v169, s34, v135
	s_delay_alu instid0(VALU_DEP_4) | instskip(NEXT) | instid1(VALU_DEP_4)
	v_max3_f32 v143, v143, v144, v145
	v_cndmask_b32_e64 v146, 0xff7fffff, v171, s13
	s_delay_alu instid0(VALU_DEP_4) | instskip(SKIP_3) | instid1(VALU_DEP_4)
	v_cndmask_b32_e64 v147, 0xff7fffff, v170, s15
	v_cmp_gt_i32_e64 s16, s28, v166
	v_cmp_gt_i32_e64 s17, s28, v167
	v_lshlrev_b32_e32 v160, 2, v151
	v_max3_f32 v143, v143, v146, v147
	s_delay_alu instid0(VALU_DEP_4) | instskip(NEXT) | instid1(VALU_DEP_4)
	v_cndmask_b32_e64 v144, 0xff7fffff, v169, s16
	v_cndmask_b32_e64 v145, 0xff7fffff, v168, s17
	s_delay_alu instid0(VALU_DEP_1) | instskip(SKIP_3) | instid1(VALU_DEP_1)
	v_max3_f32 v143, v143, v144, v145
	ds_bpermute_b32 v144, v160, v143
	s_waitcnt lgkmcnt(0)
	v_max_f32_e32 v144, v144, v144
	v_max_f32_e32 v159, v143, v144
	s_delay_alu instid0(VALU_DEP_1) | instskip(SKIP_4) | instid1(VALU_DEP_4)
	v_fma_f32 v143, s34, v191, -v159
	v_fma_f32 v144, s34, v192, -v159
	;; [unrolled: 1-line block ×5, first 2 shown]
	v_dual_mul_f32 v143, 0x3fb8aa3b, v143 :: v_dual_mul_f32 v144, 0x3fb8aa3b, v144
	s_delay_alu instid0(VALU_DEP_4) | instskip(SKIP_2) | instid1(VALU_DEP_4)
	v_mul_f32_e32 v132, 0x3fb8aa3b, v132
	v_fma_f32 v134, s34, v134, -v159
	v_mul_f32_e32 v145, 0x3fb8aa3b, v145
	v_exp_f32_e32 v143, v143
	v_exp_f32_e32 v147, v144
	v_fma_f32 v148, s34, v195, -v159
	v_mul_f32_e32 v134, 0x3fb8aa3b, v134
	v_mul_f32_e32 v146, 0x3fb8aa3b, v146
	v_exp_f32_e32 v145, v145
	v_fma_f32 v149, s34, v196, -v159
	v_mul_f32_e32 v148, 0x3fb8aa3b, v148
	v_fma_f32 v151, s34, v197, -v159
	v_exp_f32_e32 v150, v146
	v_cndmask_b32_e32 v144, 0, v143, vcc_lo
	v_cndmask_b32_e64 v143, 0, v147, s2
	v_mul_f32_e32 v149, 0x3fb8aa3b, v149
	v_exp_f32_e32 v148, v148
	v_fma_f32 v152, s34, v198, -v159
	v_add_f32_e32 v147, 0, v144
	v_cndmask_b32_e64 v146, 0, v145, s3
	v_mul_f32_e32 v151, 0x3fb8aa3b, v151
	v_exp_f32_e32 v149, v149
	v_cndmask_b32_e64 v145, 0, v150, s4
	v_add_f32_e32 v147, v147, v143
	v_fma_f32 v129, s34, v129, -v159
	v_mul_f32_e32 v150, 0x3fb8aa3b, v152
	v_exp_f32_e32 v151, v151
	v_cndmask_b32_e64 v148, 0, v148, s5
	v_add_f32_e32 v147, v147, v146
	v_fma_f32 v130, s34, v130, -v159
	v_mul_f32_e32 v129, 0x3fb8aa3b, v129
	v_exp_f32_e32 v153, v150
	v_fma_f32 v131, s34, v131, -v159
	v_add_f32_e32 v152, v147, v145
	v_cndmask_b32_e64 v147, 0, v149, s6
	v_mul_f32_e32 v130, 0x3fb8aa3b, v130
	v_exp_f32_e32 v129, v129
	v_cndmask_b32_e64 v150, 0, v151, s7
	v_add_f32_e32 v149, v152, v148
	v_mul_f32_e32 v131, 0x3fb8aa3b, v131
	v_exp_f32_e32 v130, v130
	v_fma_f32 v133, s34, v133, -v159
	v_exp_f32_e32 v132, v132
	v_add_f32_e32 v151, v149, v147
	v_cndmask_b32_e64 v149, 0, v153, s8
	v_exp_f32_e32 v131, v131
	v_cndmask_b32_e64 v152, 0, v129, s9
	v_mul_f32_e32 v133, 0x3fb8aa3b, v133
	v_add_f32_e32 v151, v151, v150
	s_mov_b32 s2, exec_lo
	s_delay_alu instid0(VALU_DEP_2) | instskip(NEXT) | instid1(VALU_DEP_1)
	v_exp_f32_e32 v133, v133
	v_add_f32_e32 v129, v151, v149
	v_cndmask_b32_e64 v151, 0, v130, s10
	v_fma_f32 v130, s34, v135, -v159
	s_delay_alu instid0(TRANS32_DEP_2)
	v_cndmask_b32_e64 v154, 0, v131, s11
	v_exp_f32_e32 v131, v134
	v_add_f32_e32 v129, v129, v152
	v_cndmask_b32_e64 v153, 0, v132, s12
	v_mul_f32_e32 v130, 0x3fb8aa3b, v130
	v_fma_f32 v132, s34, v136, -v159
	v_cndmask_b32_e64 v156, 0, v133, s13
	v_add_f32_e32 v129, v129, v151
	s_delay_alu instid0(VALU_DEP_4) | instskip(NEXT) | instid1(VALU_DEP_3)
	v_exp_f32_e32 v130, v130
	v_mul_f32_e32 v132, 0x3fb8aa3b, v132
	s_delay_alu instid0(TRANS32_DEP_2) | instskip(NEXT) | instid1(VALU_DEP_3)
	v_cndmask_b32_e64 v155, 0, v131, s15
	v_add_f32_e32 v129, v129, v154
	s_delay_alu instid0(VALU_DEP_3) | instskip(NEXT) | instid1(VALU_DEP_1)
	v_exp_f32_e32 v131, v132
	v_add_f32_e32 v129, v129, v153
	s_waitcnt_depctr 0xfff
	v_cndmask_b32_e64 v158, 0, v130, s16
	v_add_f32_e32 v129, v129, v156
	v_cndmask_b32_e64 v157, 0, v131, s17
	s_delay_alu instid0(VALU_DEP_2) | instskip(NEXT) | instid1(VALU_DEP_1)
	v_add_f32_e32 v129, v129, v155
	v_add_f32_e32 v129, v129, v158
	s_delay_alu instid0(VALU_DEP_1)
	v_add_f32_e32 v129, v129, v157
	ds_bpermute_b32 v130, v160, v129
	v_cmpx_gt_u32_e32 16, v142
	s_cbranch_execz .LBB259_12
; %bb.11:
	v_mul_u32_u24_e32 v131, 0x44, v141
	s_delay_alu instid0(VALU_DEP_1) | instskip(SKIP_1) | instid1(VALU_DEP_1)
	v_lshl_add_u32 v131, v140, 2, v131
	s_waitcnt lgkmcnt(0)
	v_dual_add_f32 v129, v129, v130 :: v_dual_add_nc_u32 v130, 0x4000, v131
	ds_store_2addr_b32 v130, v159, v129 offset1:136
.LBB259_12:
	s_or_b32 exec_lo, exec_lo, s2
	v_lshlrev_b32_e32 v129, 2, v140
	s_load_b32 s34, s[0:1], 0x94
	s_waitcnt lgkmcnt(0)
	s_barrier
	buffer_gl0_inv
	v_add_nc_u32_e32 v135, 0x4000, v129
	v_cmp_eq_u32_e32 vcc_lo, 1, v141
	v_cmp_eq_u32_e64 s2, 2, v141
	v_cmp_eq_u32_e64 s3, 3, v141
	;; [unrolled: 1-line block ×3, first 2 shown]
	ds_load_2addr_b32 v[129:130], v135 offset1:17
	ds_load_2addr_b32 v[131:132], v135 offset0:34 offset1:51
	ds_load_2addr_b32 v[133:134], v135 offset0:68 offset1:85
	;; [unrolled: 1-line block ×3, first 2 shown]
	v_cmp_eq_u32_e64 s5, 5, v141
	v_cmp_eq_u32_e64 s6, 7, v141
	s_waitcnt lgkmcnt(3)
	v_max3_f32 v136, v129, 0xff7fffff, v130
	s_waitcnt lgkmcnt(2)
	s_delay_alu instid0(VALU_DEP_1) | instskip(SKIP_1) | instid1(VALU_DEP_1)
	v_max3_f32 v136, v136, v131, v132
	s_waitcnt lgkmcnt(1)
	v_max3_f32 v136, v136, v133, v134
	s_waitcnt lgkmcnt(0)
	s_delay_alu instid0(VALU_DEP_1) | instskip(NEXT) | instid1(VALU_DEP_1)
	v_max3_f32 v136, v136, v159, v160
	v_sub_f32_e32 v142, v130, v136
	ds_load_2addr_b32 v[161:162], v135 offset0:136 offset1:153
	v_sub_f32_e32 v164, v132, v136
	v_mul_f32_e32 v142, 0x3fb8aa3b, v142
	s_delay_alu instid0(VALU_DEP_2) | instskip(NEXT) | instid1(VALU_DEP_2)
	v_mul_f32_e32 v164, 0x3fb8aa3b, v164
	v_exp_f32_e32 v166, v142
	v_sub_f32_e32 v129, v129, v136
	s_delay_alu instid0(VALU_DEP_2) | instskip(NEXT) | instid1(VALU_DEP_1)
	v_exp_f32_e32 v164, v164
	v_mul_f32_e32 v163, 0x3fb8aa3b, v129
	ds_load_2addr_b32 v[129:130], v135 offset0:170 offset1:187
	v_exp_f32_e32 v163, v163
	s_waitcnt lgkmcnt(1)
	s_waitcnt_depctr 0xfff
	v_fma_f32 v142, v163, v161, 0
	v_sub_f32_e32 v161, v134, v136
	s_delay_alu instid0(VALU_DEP_2) | instskip(NEXT) | instid1(VALU_DEP_1)
	v_dual_fmac_f32 v142, v166, v162 :: v_dual_sub_f32 v131, v131, v136
	v_mul_f32_e32 v165, 0x3fb8aa3b, v131
	ds_load_2addr_b32 v[131:132], v135 offset0:204 offset1:221
	v_exp_f32_e32 v165, v165
	s_waitcnt lgkmcnt(1)
	s_waitcnt_depctr 0xfff
	v_fmac_f32_e32 v142, v165, v129
	v_sub_f32_e32 v133, v133, v136
	v_sub_f32_e32 v129, v160, v136
	s_delay_alu instid0(VALU_DEP_2) | instskip(NEXT) | instid1(VALU_DEP_2)
	v_dual_fmac_f32 v142, v164, v130 :: v_dual_mul_f32 v167, 0x3fb8aa3b, v133
	v_mul_f32_e32 v129, 0x3fb8aa3b, v129
	ds_load_2addr_b32 v[133:134], v135 offset0:238 offset1:255
	v_cndmask_b32_e32 v130, v163, v166, vcc_lo
	s_waitcnt lgkmcnt(0)
	s_barrier
	v_exp_f32_e32 v162, v129
	v_sub_f32_e32 v135, v159, v136
	v_mul_f32_e32 v159, 0x3fb8aa3b, v161
	v_exp_f32_e32 v161, v167
	buffer_gl0_inv
	v_exp_f32_e32 v159, v159
	v_fmac_f32_e32 v142, v161, v131
	s_waitcnt_depctr 0xfff
	v_dual_mul_f32 v135, 0x3fb8aa3b, v135 :: v_dual_fmac_f32 v142, v159, v132
	s_delay_alu instid0(VALU_DEP_1) | instskip(SKIP_2) | instid1(VALU_DEP_1)
	v_exp_f32_e32 v160, v135
	s_waitcnt_depctr 0xfff
	v_dual_fmac_f32 v142, v160, v133 :: v_dual_lshlrev_b32 v133, 6, v140
	v_fmac_f32_e32 v142, v162, v134
	s_delay_alu instid0(VALU_DEP_2) | instskip(NEXT) | instid1(VALU_DEP_2)
	v_lshl_or_b32 v135, v141, 11, v133
	v_add_f32_e32 v134, 0x358637bd, v142
	s_delay_alu instid0(VALU_DEP_1) | instskip(SKIP_1) | instid1(VALU_DEP_2)
	v_div_scale_f32 v167, null, v134, v134, 1.0
	v_div_scale_f32 v163, vcc_lo, 1.0, v134, 1.0
	v_rcp_f32_e32 v168, v167
	s_waitcnt_depctr 0xfff
	v_fma_f32 v129, -v167, v168, 1.0
	s_delay_alu instid0(VALU_DEP_1) | instskip(SKIP_2) | instid1(VALU_DEP_2)
	v_fmac_f32_e32 v168, v129, v168
	v_cndmask_b32_e64 v129, v130, v165, s2
	v_cmp_eq_u32_e64 s2, 6, v141
	v_cndmask_b32_e64 v130, v129, v164, s3
	v_lshlrev_b32_e32 v129, 2, v138
	v_mul_f32_e32 v165, v163, v168
	s_delay_alu instid0(VALU_DEP_3) | instskip(NEXT) | instid1(VALU_DEP_3)
	v_cndmask_b32_e64 v161, v130, v161, s4
	v_or_b32_e32 v130, 1, v129
	s_delay_alu instid0(VALU_DEP_3)
	v_fma_f32 v131, -v167, v165, v163
	v_or_b32_e32 v132, 2, v129
	v_cmp_eq_u32_e64 s3, 1, v129
	v_cndmask_b32_e64 v141, v161, v159, s5
	v_cmp_eq_u32_e64 s8, 1, v130
	v_fmac_f32_e32 v165, v131, v168
	v_or_b32_e32 v131, 3, v129
	v_cmp_eq_u32_e64 s9, 1, v132
	v_cndmask_b32_e64 v141, v141, v160, s2
	v_cmp_eq_u32_e64 s4, 2, v129
	v_fma_f32 v159, -v167, v165, v163
	v_cmp_eq_u32_e64 s10, 1, v131
	v_cmp_eq_u32_e64 s15, 2, v131
	v_cndmask_b32_e64 v141, v141, v162, s6
	v_cmp_eq_u32_e64 s11, 2, v130
	v_div_fmas_f32 v159, v159, v168, v165
	v_cmp_eq_u32_e64 s17, 3, v131
	v_cmp_eq_u32_e32 vcc_lo, 3, v129
	v_cmp_eq_u32_e64 s12, 3, v130
	v_cmp_eq_u32_e64 s13, 2, v132
	v_div_fixup_f32 v159, v159, v134, 1.0
	v_lshl_or_b32 v134, v138, 4, v135
	v_cmp_eq_u32_e64 s21, 4, v131
	v_cmp_eq_u32_e64 s2, 4, v129
	;; [unrolled: 1-line block ×3, first 2 shown]
	v_mul_f32_e32 v141, v141, v159
	v_cmp_eq_u32_e64 s18, 4, v130
	v_cmp_eq_u32_e64 s23, 5, v131
	;; [unrolled: 1-line block ×4, first 2 shown]
	v_fma_mixlo_f16 v159, v141, v144, 0
	v_fma_mixlo_f16 v160, v141, v146, 0
	;; [unrolled: 1-line block ×8, first 2 shown]
	v_fma_mixhi_f16 v159, v141, v143, 0
	v_fma_mixhi_f16 v160, v141, v145, 0
	v_fma_mixhi_f16 v161, v141, v147, 0
	v_fma_mixhi_f16 v162, v141, v149, 0
	v_fma_mixhi_f16 v163, v141, v151, 0
	v_fma_mixhi_f16 v164, v141, v153, 0
	v_fma_mixhi_f16 v165, v141, v155, 0
	v_fma_mixhi_f16 v166, v141, v157, 0
	ds_store_b128 v134, v[159:162]
	ds_store_b128 v134, v[163:166] offset:1024
	s_waitcnt lgkmcnt(0)
	s_barrier
	buffer_gl0_inv
	ds_load_b128 v[143:146], v135
	ds_load_b128 v[147:150], v135 offset:16
	ds_load_b128 v[151:154], v135 offset:1024
	;; [unrolled: 1-line block ×3, first 2 shown]
	v_cmp_eq_u32_e64 s20, 4, v132
	v_cmp_eq_u32_e64 s26, 6, v131
	;; [unrolled: 1-line block ×10, first 2 shown]
	s_waitcnt lgkmcnt(3)
	v_lshrrev_b32_e32 v141, 16, v143
	s_waitcnt lgkmcnt(2)
	v_lshrrev_b32_e32 v162, 16, v147
	v_lshrrev_b32_e32 v159, 16, v144
	;; [unrolled: 1-line block ×3, first 2 shown]
	s_waitcnt lgkmcnt(1)
	v_lshrrev_b32_e32 v166, 16, v151
	v_cndmask_b32_e64 v174, v143, v141, s3
	v_cndmask_b32_e64 v176, v143, v141, s8
	;; [unrolled: 1-line block ×5, first 2 shown]
	s_waitcnt lgkmcnt(0)
	v_lshrrev_b32_e32 v170, 16, v155
	v_cndmask_b32_e64 v175, v147, v162, s3
	v_cndmask_b32_e64 v177, v147, v162, s8
	;; [unrolled: 1-line block ×19, first 2 shown]
	v_lshrrev_b32_e32 v160, 16, v145
	v_lshrrev_b32_e32 v164, 16, v149
	;; [unrolled: 1-line block ×4, first 2 shown]
	v_cndmask_b32_e64 v176, v178, v144, s13
	v_cndmask_b32_e64 v177, v179, v148, s13
	;; [unrolled: 1-line block ×8, first 2 shown]
	v_cndmask_b32_e32 v155, v166, v159, vcc_lo
	v_cndmask_b32_e32 v166, v170, v163, vcc_lo
	v_cndmask_b32_e64 v170, v174, v159, s12
	v_cndmask_b32_e64 v174, v175, v163, s12
	;; [unrolled: 1-line block ×6, first 2 shown]
	v_cndmask_b32_e32 v144, v144, v167, vcc_lo
	v_cndmask_b32_e32 v147, v147, v171, vcc_lo
	v_cndmask_b32_e64 v148, v148, v167, s12
	v_cndmask_b32_e64 v155, v155, v145, s2
	;; [unrolled: 1-line block ×7, first 2 shown]
	v_lshrrev_b32_e32 v161, 16, v146
	v_lshrrev_b32_e32 v165, 16, v150
	;; [unrolled: 1-line block ×4, first 2 shown]
	v_cndmask_b32_e64 v170, v175, v145, s20
	v_cndmask_b32_e64 v174, v176, v149, s20
	;; [unrolled: 1-line block ×22, first 2 shown]
	v_lshrrev_b32_e32 v169, 16, v154
	v_cndmask_b32_e64 v160, v163, v146, s25
	v_cndmask_b32_e64 v163, v166, v150, s25
	v_cndmask_b32_e64 v144, v144, v154, s6
	v_cndmask_b32_e64 v150, v145, v158, s6
	v_cndmask_b32_e64 v145, v147, v154, s24
	v_cndmask_b32_e64 v147, v148, v161, s7
	v_cndmask_b32_e64 v148, v149, v165, s7
	v_cndmask_b32_e64 v149, v155, v161, s29
	v_cndmask_b32_e64 v159, v159, v165, s29
	v_perm_b32 v146, v143, v141, 0x5040100
	v_cndmask_b32_e64 v141, v183, v156, s13
	v_cndmask_b32_e64 v143, v181, v156, s11
	;; [unrolled: 1-line block ×4, first 2 shown]
	v_perm_b32 v144, v159, v149, 0x5040100
	v_cndmask_b32_e64 v149, v162, v167, s16
	v_cndmask_b32_e64 v151, v151, v167, s17
	;; [unrolled: 1-line block ×15, first 2 shown]
	v_lshrrev_b32_e32 v173, 16, v158
	v_cndmask_b32_e64 v149, v149, v154, s25
	v_cndmask_b32_e64 v151, v151, v154, s26
	;; [unrolled: 1-line block ×13, first 2 shown]
	v_perm_b32 v145, v160, v155, 0x5040100
	v_perm_b32 v143, v148, v147, 0x5040100
	;; [unrolled: 1-line block ×6, first 2 shown]
	s_mul_i32 s6, s33, 10
	s_mov_b32 s2, exec_lo
	ds_store_b128 v134, v[143:146]
	ds_store_b128 v134, v[147:150] offset:1024
	v_cmpx_gt_u32_e32 10, v0
	s_cbranch_execz .LBB259_14
; %bb.13:
	s_mul_i32 s3, s6, s30
	s_load_b128 s[8:11], s[0:1], 0x58
	v_add3_u32 v143, s3, s31, v140
	s_delay_alu instid0(VALU_DEP_1) | instskip(NEXT) | instid1(VALU_DEP_1)
	v_mad_u64_u32 v[140:141], null, v143, s34, s[14:15]
	v_ashrrev_i32_e32 v141, 31, v140
	s_delay_alu instid0(VALU_DEP_1) | instskip(SKIP_1) | instid1(VALU_DEP_1)
	v_lshlrev_b64 v[140:141], 2, v[140:141]
	s_waitcnt lgkmcnt(0)
	v_add_co_u32 v143, vcc_lo, s10, v140
	s_delay_alu instid0(VALU_DEP_2)
	v_add_co_ci_u32_e32 v144, vcc_lo, s11, v141, vcc_lo
	v_add_co_u32 v140, vcc_lo, s8, v140
	v_add_co_ci_u32_e32 v141, vcc_lo, s9, v141, vcc_lo
	global_store_b32 v[143:144], v136, off
	global_store_b32 v[140:141], v142, off
.LBB259_14:
	s_or_b32 exec_lo, exec_lo, s2
	s_waitcnt lgkmcnt(0)
	s_waitcnt_vscnt null, 0x0
	s_barrier
	buffer_gl0_inv
	ds_load_b128 v[148:151], v133
	ds_load_b128 v[152:155], v133 offset:16
	ds_load_b128 v[160:163], v133 offset:1040
	;; [unrolled: 1-line block ×5, first 2 shown]
	v_cmp_eq_u32_e32 vcc_lo, 1, v132
	v_mov_b32_e32 v140, 0
	ds_load_b128 v[176:179], v133 offset:3088
	ds_load_b128 v[172:175], v133 offset:3072
	;; [unrolled: 1-line block ×4, first 2 shown]
	v_cmp_eq_u32_e64 s2, 1, v129
	v_cmp_eq_u32_e64 s3, 1, v131
	;; [unrolled: 1-line block ×3, first 2 shown]
	v_mov_b32_e32 v141, v140
	v_mov_b32_e32 v142, v140
	;; [unrolled: 1-line block ×7, first 2 shown]
	v_cmp_eq_u32_e64 s5, 2, v129
	s_waitcnt lgkmcnt(8)
	s_delay_alu instid0(VALU_DEP_2)
	v_wmma_f32_16x16x16_f16 v[140:147], v[121:128], v[148:155], v[140:147]
	ds_load_b128 v[125:128], v133 offset:5136
	ds_load_b128 v[121:124], v133 offset:5120
	s_waitcnt lgkmcnt(8)
	v_wmma_f32_16x16x16_f16 v[140:147], v[113:120], v[156:163], v[140:147]
	ds_load_b128 v[117:120], v133 offset:6160
	ds_load_b128 v[113:116], v133 offset:6144
	s_waitcnt lgkmcnt(8)
	;; [unrolled: 4-line block ×11, first 2 shown]
	s_barrier
	buffer_gl0_inv
	v_wmma_f32_16x16x16_f16 v[140:147], v[1:8], v[73:80], v[140:147]
	s_delay_alu instid0(VALU_DEP_1) | instskip(NEXT) | instid1(VALU_DEP_1)
	v_wmma_f32_16x16x16_f16 v[140:147], v[9:16], v[65:72], v[140:147]
	v_wmma_f32_16x16x16_f16 v[140:147], v[33:40], v[57:64], v[140:147]
	s_delay_alu instid0(VALU_DEP_1) | instskip(NEXT) | instid1(VALU_DEP_1)
	v_wmma_f32_16x16x16_f16 v[140:147], v[41:48], v[49:56], v[140:147]
	v_wmma_f32_16x16x16_f16 v[140:147], v[17:24], v[25:32], v[140:147]
	s_delay_alu instid0(VALU_DEP_1) | instskip(NEXT) | instid1(VALU_DEP_2)
	v_cvt_f16_f32_e64 v1, v140
	v_cvt_f16_f32_e64 v2, v141
	s_delay_alu instid0(VALU_DEP_3) | instskip(NEXT) | instid1(VALU_DEP_4)
	v_cvt_f16_f32_e64 v3, v142
	v_cvt_f16_f32_e64 v4, v143
	;; [unrolled: 1-line block ×6, first 2 shown]
	v_pack_b32_f16 v1, v1, v2
	v_pack_b32_f16 v2, v3, v4
	;; [unrolled: 1-line block ×3, first 2 shown]
	s_delay_alu instid0(VALU_DEP_4)
	v_pack_b32_f16 v4, v7, v8
	ds_store_b128 v134, v[1:4]
	s_waitcnt lgkmcnt(0)
	s_barrier
	buffer_gl0_inv
	ds_load_b128 v[1:4], v135
	ds_load_b128 v[5:8], v135 offset:16
	s_waitcnt lgkmcnt(1)
	v_lshrrev_b32_e32 v9, 16, v1
	s_waitcnt lgkmcnt(0)
	v_lshrrev_b32_e32 v13, 16, v5
	v_lshrrev_b32_e32 v10, 16, v2
	;; [unrolled: 1-line block ×4, first 2 shown]
	v_cndmask_b32_e64 v17, v1, v9, s2
	v_cndmask_b32_e64 v18, v5, v13, s2
	;; [unrolled: 1-line block ×3, first 2 shown]
	v_cmp_eq_u32_e64 s2, 2, v130
	v_cndmask_b32_e64 v20, v5, v13, s4
	v_cndmask_b32_e32 v21, v1, v9, vcc_lo
	v_cndmask_b32_e32 v22, v5, v13, vcc_lo
	v_cndmask_b32_e64 v1, v1, v9, s3
	v_cndmask_b32_e64 v5, v5, v13, s3
	v_cmp_eq_u32_e32 vcc_lo, 2, v132
	v_cmp_eq_u32_e64 s3, 2, v131
	v_cndmask_b32_e64 v9, v17, v2, s5
	v_cndmask_b32_e64 v13, v18, v6, s5
	;; [unrolled: 1-line block ×4, first 2 shown]
	v_cndmask_b32_e32 v19, v21, v2, vcc_lo
	v_cmp_eq_u32_e64 s2, 3, v132
	v_cndmask_b32_e32 v20, v22, v6, vcc_lo
	v_cndmask_b32_e64 v1, v1, v2, s3
	v_cmp_eq_u32_e32 vcc_lo, 3, v131
	v_cmp_eq_u32_e64 s4, 3, v129
	v_cndmask_b32_e64 v2, v5, v6, s3
	v_cmp_eq_u32_e64 s3, 3, v130
	v_cmp_eq_u32_e64 s5, 4, v129
	v_cndmask_b32_e32 v1, v1, v10, vcc_lo
	v_cndmask_b32_e64 v5, v9, v10, s4
	v_cndmask_b32_e64 v6, v13, v14, s4
	;; [unrolled: 1-line block ×3, first 2 shown]
	v_cmp_eq_u32_e64 s4, 4, v130
	v_cndmask_b32_e64 v13, v18, v14, s3
	v_cndmask_b32_e64 v17, v19, v10, s2
	;; [unrolled: 1-line block ×3, first 2 shown]
	v_cndmask_b32_e32 v2, v2, v14, vcc_lo
	v_cmp_eq_u32_e32 vcc_lo, 4, v132
	v_cmp_eq_u32_e64 s3, 4, v131
	v_lshrrev_b32_e32 v15, 16, v7
	v_cndmask_b32_e64 v5, v5, v3, s5
	v_cndmask_b32_e64 v6, v6, v7, s5
	v_cndmask_b32_e32 v14, v18, v7, vcc_lo
	v_cndmask_b32_e64 v9, v9, v3, s4
	v_cndmask_b32_e64 v10, v13, v7, s4
	v_cndmask_b32_e32 v13, v17, v3, vcc_lo
	v_cmp_eq_u32_e64 s2, 5, v132
	v_cndmask_b32_e64 v1, v1, v3, s3
	v_cmp_eq_u32_e32 vcc_lo, 5, v131
	v_cmp_eq_u32_e64 s4, 5, v129
	v_cndmask_b32_e64 v2, v2, v7, s3
	v_cmp_eq_u32_e64 s3, 5, v130
	v_cmp_eq_u32_e64 s5, 6, v129
	v_lshrrev_b32_e32 v12, 16, v4
	v_cndmask_b32_e64 v3, v5, v11, s4
	v_cndmask_b32_e64 v5, v6, v15, s4
	;; [unrolled: 1-line block ×3, first 2 shown]
	v_cmp_eq_u32_e64 s4, 6, v130
	v_cndmask_b32_e64 v7, v10, v15, s3
	v_cndmask_b32_e64 v9, v13, v11, s2
	;; [unrolled: 1-line block ×3, first 2 shown]
	v_cndmask_b32_e32 v1, v1, v11, vcc_lo
	v_cndmask_b32_e32 v2, v2, v15, vcc_lo
	v_cmp_eq_u32_e32 vcc_lo, 6, v132
	v_cmp_eq_u32_e64 s2, 6, v131
	v_lshrrev_b32_e32 v16, 16, v8
	v_cndmask_b32_e64 v3, v3, v4, s5
	v_cndmask_b32_e64 v5, v5, v8, s5
	v_cndmask_b32_e32 v9, v9, v4, vcc_lo
	v_cndmask_b32_e64 v6, v6, v4, s4
	v_cndmask_b32_e64 v7, v7, v8, s4
	v_cmp_eq_u32_e64 s3, 7, v132
	v_cndmask_b32_e32 v10, v10, v8, vcc_lo
	v_cndmask_b32_e64 v1, v1, v4, s2
	v_cmp_eq_u32_e32 vcc_lo, 7, v131
	v_cndmask_b32_e64 v2, v2, v8, s2
	v_cmp_eq_u32_e64 s2, 7, v129
	v_cmp_eq_u32_e64 s4, 7, v130
	v_cndmask_b32_e32 v1, v1, v12, vcc_lo
	s_delay_alu instid0(VALU_DEP_4) | instskip(NEXT) | instid1(VALU_DEP_4)
	v_cndmask_b32_e32 v2, v2, v16, vcc_lo
	v_cndmask_b32_e64 v8, v3, v12, s2
	s_delay_alu instid0(VALU_DEP_4)
	v_cndmask_b32_e64 v6, v6, v12, s4
	v_cndmask_b32_e64 v3, v9, v12, s3
	v_cndmask_b32_e64 v9, v10, v16, s3
	v_cndmask_b32_e64 v7, v7, v16, s4
	v_cndmask_b32_e64 v5, v5, v16, s2
	v_perm_b32 v4, v2, v1, 0x5040100
	s_mov_b32 s2, exec_lo
	v_perm_b32 v3, v9, v3, 0x5040100
	v_perm_b32 v2, v7, v6, 0x5040100
	;; [unrolled: 1-line block ×3, first 2 shown]
	ds_store_b128 v134, v[1:4]
	s_waitcnt lgkmcnt(0)
	s_barrier
	buffer_gl0_inv
	v_cmpx_gt_u32_e32 32, v0
	s_cbranch_execz .LBB259_2
; %bb.15:
	s_load_b64 s[0:1], s[0:1], 0x68
	s_lshl_b32 s4, s34, 7
	v_or_b32_e32 v2, s31, v138
	s_mul_i32 s2, s4, s30
	v_lshlrev_b32_e32 v0, 10, v0
	s_mul_i32 s2, s2, s6
	v_lshlrev_b32_e32 v1, 4, v139
	s_ashr_i32 s3, s2, 31
	v_mul_lo_u32 v20, v2, s4
	s_lshl_b64 s[2:3], s[2:3], 1
	v_lshlrev_b32_e32 v3, 6, v138
	v_and_b32_e32 v0, 0x3800, v0
	s_delay_alu instid0(VALU_DEP_1) | instskip(NEXT) | instid1(VALU_DEP_4)
	v_or3_b32 v16, v0, v1, v3
	v_ashrrev_i32_e32 v21, 31, v20
	ds_load_b128 v[0:3], v16
	ds_load_b128 v[4:7], v16 offset:128
	s_waitcnt lgkmcnt(0)
	s_add_u32 s2, s0, s2
	s_addc_u32 s3, s1, s3
	s_lshl_b32 s0, s14, 7
	ds_load_b128 v[8:11], v16 offset:256
	ds_load_b128 v[12:15], v16 offset:384
	;; [unrolled: 1-line block ×3, first 2 shown]
	s_ashr_i32 s1, s0, 31
	s_delay_alu instid0(SALU_CYCLE_1) | instskip(NEXT) | instid1(SALU_CYCLE_1)
	s_lshl_b64 s[0:1], s[0:1], 1
	s_add_u32 s0, s2, s0
	s_addc_u32 s1, s3, s1
	s_lshl_b32 s2, s34, 8
	v_add_co_u32 v30, s0, s0, v137
	v_add_nc_u32_e32 v22, s2, v20
	v_lshlrev_b64 v[20:21], 1, v[20:21]
	v_add_co_ci_u32_e64 v31, null, s1, 0, s0
	s_delay_alu instid0(VALU_DEP_3) | instskip(SKIP_1) | instid1(VALU_DEP_4)
	v_add_nc_u32_e32 v24, s2, v22
	v_ashrrev_i32_e32 v23, 31, v22
	v_add_co_u32 v20, vcc_lo, v30, v20
	s_delay_alu instid0(VALU_DEP_4) | instskip(NEXT) | instid1(VALU_DEP_4)
	v_add_co_ci_u32_e32 v21, vcc_lo, v31, v21, vcc_lo
	v_add_nc_u32_e32 v26, s2, v24
	v_ashrrev_i32_e32 v25, 31, v24
	v_lshlrev_b64 v[22:23], 1, v[22:23]
	s_delay_alu instid0(VALU_DEP_3) | instskip(SKIP_1) | instid1(VALU_DEP_4)
	v_add_nc_u32_e32 v28, s2, v26
	v_ashrrev_i32_e32 v27, 31, v26
	v_lshlrev_b64 v[24:25], 1, v[24:25]
	s_delay_alu instid0(VALU_DEP_4) | instskip(NEXT) | instid1(VALU_DEP_4)
	v_add_co_u32 v22, vcc_lo, v30, v22
	v_ashrrev_i32_e32 v29, 31, v28
	s_delay_alu instid0(VALU_DEP_4) | instskip(SKIP_2) | instid1(VALU_DEP_4)
	v_lshlrev_b64 v[26:27], 1, v[26:27]
	v_add_co_ci_u32_e32 v23, vcc_lo, v31, v23, vcc_lo
	v_add_co_u32 v24, vcc_lo, v30, v24
	v_lshlrev_b64 v[28:29], 1, v[28:29]
	v_add_co_ci_u32_e32 v25, vcc_lo, v31, v25, vcc_lo
	v_add_co_u32 v26, vcc_lo, v30, v26
	v_add_co_ci_u32_e32 v27, vcc_lo, v31, v27, vcc_lo
	s_delay_alu instid0(VALU_DEP_4)
	v_add_co_u32 v28, vcc_lo, v30, v28
	v_add_co_ci_u32_e32 v29, vcc_lo, v31, v29, vcc_lo
	s_clause 0x1
	global_store_b128 v[20:21], v[0:3], off
	global_store_b128 v[22:23], v[4:7], off
	s_waitcnt lgkmcnt(2)
	global_store_b128 v[24:25], v[8:11], off
	s_waitcnt lgkmcnt(1)
	;; [unrolled: 2-line block ×3, first 2 shown]
	global_store_b128 v[28:29], v[16:19], off
	s_nop 0
	s_sendmsg sendmsg(MSG_DEALLOC_VGPRS)
	s_endpgm
	.section	.rodata,"a",@progbits
	.p2align	6, 0x0
	.amdhsa_kernel _Z39paged_attention_ll4mi_QKV_mfma16_kernelIDF16_DF16_LN4vllm18Fp8KVCacheDataTypeE0EDF16_Li16ELi128ELi256ELb1ELi10EL8MFMAType0EEvPKT_PKT0_S8_ifPKiSA_SA_iPKfiiiPfSD_PS3_PT2_iSC_SC_
		.amdhsa_group_segment_fixed_size 17472
		.amdhsa_private_segment_fixed_size 0
		.amdhsa_kernarg_size 400
		.amdhsa_user_sgpr_count 13
		.amdhsa_user_sgpr_dispatch_ptr 0
		.amdhsa_user_sgpr_queue_ptr 0
		.amdhsa_user_sgpr_kernarg_segment_ptr 1
		.amdhsa_user_sgpr_dispatch_id 0
		.amdhsa_user_sgpr_private_segment_size 0
		.amdhsa_wavefront_size32 1
		.amdhsa_uses_dynamic_stack 0
		.amdhsa_enable_private_segment 0
		.amdhsa_system_sgpr_workgroup_id_x 1
		.amdhsa_system_sgpr_workgroup_id_y 1
		.amdhsa_system_sgpr_workgroup_id_z 1
		.amdhsa_system_sgpr_workgroup_info 0
		.amdhsa_system_vgpr_workitem_id 0
		.amdhsa_next_free_vgpr 218
		.amdhsa_next_free_sgpr 52
		.amdhsa_reserve_vcc 1
		.amdhsa_float_round_mode_32 0
		.amdhsa_float_round_mode_16_64 0
		.amdhsa_float_denorm_mode_32 3
		.amdhsa_float_denorm_mode_16_64 3
		.amdhsa_dx10_clamp 1
		.amdhsa_ieee_mode 1
		.amdhsa_fp16_overflow 0
		.amdhsa_workgroup_processor_mode 1
		.amdhsa_memory_ordered 1
		.amdhsa_forward_progress 0
		.amdhsa_shared_vgpr_count 0
		.amdhsa_exception_fp_ieee_invalid_op 0
		.amdhsa_exception_fp_denorm_src 0
		.amdhsa_exception_fp_ieee_div_zero 0
		.amdhsa_exception_fp_ieee_overflow 0
		.amdhsa_exception_fp_ieee_underflow 0
		.amdhsa_exception_fp_ieee_inexact 0
		.amdhsa_exception_int_div_zero 0
	.end_amdhsa_kernel
	.section	.text._Z39paged_attention_ll4mi_QKV_mfma16_kernelIDF16_DF16_LN4vllm18Fp8KVCacheDataTypeE0EDF16_Li16ELi128ELi256ELb1ELi10EL8MFMAType0EEvPKT_PKT0_S8_ifPKiSA_SA_iPKfiiiPfSD_PS3_PT2_iSC_SC_,"axG",@progbits,_Z39paged_attention_ll4mi_QKV_mfma16_kernelIDF16_DF16_LN4vllm18Fp8KVCacheDataTypeE0EDF16_Li16ELi128ELi256ELb1ELi10EL8MFMAType0EEvPKT_PKT0_S8_ifPKiSA_SA_iPKfiiiPfSD_PS3_PT2_iSC_SC_,comdat
.Lfunc_end259:
	.size	_Z39paged_attention_ll4mi_QKV_mfma16_kernelIDF16_DF16_LN4vllm18Fp8KVCacheDataTypeE0EDF16_Li16ELi128ELi256ELb1ELi10EL8MFMAType0EEvPKT_PKT0_S8_ifPKiSA_SA_iPKfiiiPfSD_PS3_PT2_iSC_SC_, .Lfunc_end259-_Z39paged_attention_ll4mi_QKV_mfma16_kernelIDF16_DF16_LN4vllm18Fp8KVCacheDataTypeE0EDF16_Li16ELi128ELi256ELb1ELi10EL8MFMAType0EEvPKT_PKT0_S8_ifPKiSA_SA_iPKfiiiPfSD_PS3_PT2_iSC_SC_
                                        ; -- End function
	.section	.AMDGPU.csdata,"",@progbits
; Kernel info:
; codeLenInByte = 8120
; NumSgprs: 54
; NumVgprs: 218
; ScratchSize: 0
; MemoryBound: 0
; FloatMode: 240
; IeeeMode: 1
; LDSByteSize: 17472 bytes/workgroup (compile time only)
; SGPRBlocks: 6
; VGPRBlocks: 27
; NumSGPRsForWavesPerEU: 54
; NumVGPRsForWavesPerEU: 218
; Occupancy: 6
; WaveLimiterHint : 1
; COMPUTE_PGM_RSRC2:SCRATCH_EN: 0
; COMPUTE_PGM_RSRC2:USER_SGPR: 13
; COMPUTE_PGM_RSRC2:TRAP_HANDLER: 0
; COMPUTE_PGM_RSRC2:TGID_X_EN: 1
; COMPUTE_PGM_RSRC2:TGID_Y_EN: 1
; COMPUTE_PGM_RSRC2:TGID_Z_EN: 1
; COMPUTE_PGM_RSRC2:TIDIG_COMP_CNT: 0
	.section	.text._Z39paged_attention_ll4mi_QKV_mfma16_kernelIDF16_DF16_LN4vllm18Fp8KVCacheDataTypeE0EDF16_Li16ELi128ELi256ELb1ELi11EL8MFMAType0EEvPKT_PKT0_S8_ifPKiSA_SA_iPKfiiiPfSD_PS3_PT2_iSC_SC_,"axG",@progbits,_Z39paged_attention_ll4mi_QKV_mfma16_kernelIDF16_DF16_LN4vllm18Fp8KVCacheDataTypeE0EDF16_Li16ELi128ELi256ELb1ELi11EL8MFMAType0EEvPKT_PKT0_S8_ifPKiSA_SA_iPKfiiiPfSD_PS3_PT2_iSC_SC_,comdat
	.protected	_Z39paged_attention_ll4mi_QKV_mfma16_kernelIDF16_DF16_LN4vllm18Fp8KVCacheDataTypeE0EDF16_Li16ELi128ELi256ELb1ELi11EL8MFMAType0EEvPKT_PKT0_S8_ifPKiSA_SA_iPKfiiiPfSD_PS3_PT2_iSC_SC_ ; -- Begin function _Z39paged_attention_ll4mi_QKV_mfma16_kernelIDF16_DF16_LN4vllm18Fp8KVCacheDataTypeE0EDF16_Li16ELi128ELi256ELb1ELi11EL8MFMAType0EEvPKT_PKT0_S8_ifPKiSA_SA_iPKfiiiPfSD_PS3_PT2_iSC_SC_
	.globl	_Z39paged_attention_ll4mi_QKV_mfma16_kernelIDF16_DF16_LN4vllm18Fp8KVCacheDataTypeE0EDF16_Li16ELi128ELi256ELb1ELi11EL8MFMAType0EEvPKT_PKT0_S8_ifPKiSA_SA_iPKfiiiPfSD_PS3_PT2_iSC_SC_
	.p2align	8
	.type	_Z39paged_attention_ll4mi_QKV_mfma16_kernelIDF16_DF16_LN4vllm18Fp8KVCacheDataTypeE0EDF16_Li16ELi128ELi256ELb1ELi11EL8MFMAType0EEvPKT_PKT0_S8_ifPKiSA_SA_iPKfiiiPfSD_PS3_PT2_iSC_SC_,@function
_Z39paged_attention_ll4mi_QKV_mfma16_kernelIDF16_DF16_LN4vllm18Fp8KVCacheDataTypeE0EDF16_Li16ELi128ELi256ELb1ELi11EL8MFMAType0EEvPKT_PKT0_S8_ifPKiSA_SA_iPKfiiiPfSD_PS3_PT2_iSC_SC_: ; @_Z39paged_attention_ll4mi_QKV_mfma16_kernelIDF16_DF16_LN4vllm18Fp8KVCacheDataTypeE0EDF16_Li16ELi128ELi256ELb1ELi11EL8MFMAType0EEvPKT_PKT0_S8_ifPKiSA_SA_iPKfiiiPfSD_PS3_PT2_iSC_SC_
; %bb.0:
	s_load_b64 s[4:5], s[0:1], 0x30
	s_mov_b32 s34, s13
	s_waitcnt lgkmcnt(0)
	s_cmp_lg_u64 s[4:5], 0
	s_cselect_b32 s8, -1, 0
	s_ashr_i32 s35, s13, 31
	s_cmp_eq_u64 s[4:5], 0
	s_cbranch_scc1 .LBB260_3
; %bb.1:
	s_lshl_b64 s[2:3], s[34:35], 2
	s_delay_alu instid0(SALU_CYCLE_1) | instskip(SKIP_4) | instid1(SALU_CYCLE_1)
	s_add_u32 s2, s4, s2
	s_addc_u32 s3, s5, s3
	s_load_b64 s[2:3], s[2:3], 0x0
	s_waitcnt lgkmcnt(0)
	s_sub_i32 s2, s3, s2
	s_cmp_eq_u32 s2, 1
	s_cselect_b32 s2, -1, 0
	s_delay_alu instid0(SALU_CYCLE_1)
	s_and_not1_b32 vcc_lo, exec_lo, s2
	s_cbranch_vccz .LBB260_4
.LBB260_2:
	s_nop 0
	s_sendmsg sendmsg(MSG_DEALLOC_VGPRS)
	s_endpgm
.LBB260_3:
.LBB260_4:
	s_load_b64 s[2:3], s[0:1], 0x28
	s_lshl_b64 s[6:7], s[34:35], 2
	s_waitcnt lgkmcnt(0)
	s_add_u32 s2, s2, s6
	s_addc_u32 s3, s3, s7
	s_lshl_b32 s29, s14, 8
	s_load_b32 s28, s[2:3], 0x0
	s_waitcnt lgkmcnt(0)
	s_cmp_ge_i32 s29, s28
	s_cbranch_scc1 .LBB260_2
; %bb.5:
	s_clause 0x1
	s_load_b128 s[20:23], s[0:1], 0x8
	s_load_b64 s[2:3], s[0:1], 0x20
	s_and_not1_b32 vcc_lo, exec_lo, s8
	s_cbranch_vccnz .LBB260_7
; %bb.6:
	s_add_u32 s4, s4, s6
	s_addc_u32 s5, s5, s7
	s_load_b32 s5, s[4:5], 0x0
	s_branch .LBB260_8
.LBB260_7:
	s_mov_b32 s5, s34
.LBB260_8:
	s_load_b128 s[16:19], s[0:1], 0x48
	v_and_b32_e32 v140, 15, v0
	v_lshrrev_b32_e32 v141, 5, v0
	v_bfe_u32 v138, v0, 4, 1
	v_and_b32_e32 v142, 31, v0
	v_and_b32_e32 v139, 1, v0
	v_lshlrev_b32_e32 v2, 3, v140
	s_mul_i32 s31, s15, 11
	v_lshl_or_b32 v1, v141, 1, v138
	s_mov_b32 s4, exec_lo
	s_delay_alu instid0(VALU_DEP_2) | instskip(NEXT) | instid1(VALU_DEP_2)
	v_lshlrev_b32_e32 v137, 1, v2
	v_cmpx_gt_u32_e32 11, v1
	s_cbranch_execz .LBB260_10
; %bb.9:
	s_load_b64 s[6:7], s[0:1], 0x0
	v_add_lshl_u32 v2, v1, s31, 7
	s_waitcnt lgkmcnt(0)
	s_mul_hi_i32 s9, s5, s16
	s_mul_i32 s8, s5, s16
	v_lshlrev_b32_e32 v6, 10, v140
	s_lshl_b64 s[8:9], s[8:9], 1
	v_ashrrev_i32_e32 v3, 31, v2
	v_lshlrev_b32_e32 v1, 6, v1
	v_lshlrev_b32_e32 v7, 10, v139
	v_and_b32_e32 v6, 0x3800, v6
	s_delay_alu instid0(VALU_DEP_4) | instskip(NEXT) | instid1(VALU_DEP_2)
	v_lshlrev_b64 v[2:3], 1, v[2:3]
	v_or3_b32 v1, v6, v7, v1
	s_add_u32 s5, s6, s8
	s_addc_u32 s6, s7, s9
	s_delay_alu instid0(VALU_DEP_2) | instskip(NEXT) | instid1(VALU_DEP_3)
	v_add_co_u32 v2, vcc_lo, s5, v2
	v_add_co_ci_u32_e32 v3, vcc_lo, s6, v3, vcc_lo
	s_delay_alu instid0(VALU_DEP_2) | instskip(NEXT) | instid1(VALU_DEP_2)
	v_add_co_u32 v2, vcc_lo, v2, v137
	v_add_co_ci_u32_e32 v3, vcc_lo, 0, v3, vcc_lo
	global_load_b128 v[2:5], v[2:3], off
	s_waitcnt vmcnt(0)
	ds_store_b128 v1, v[2:5]
.LBB260_10:
	s_or_b32 exec_lo, exec_lo, s4
	v_and_b32_e32 v1, 0xef, v0
	s_waitcnt lgkmcnt(0)
	s_add_i32 s5, s28, 15
	s_clause 0x1
	s_load_b32 s4, s[0:1], 0x38
	s_load_b32 s33, s[0:1], 0x98
	s_ashr_i32 s6, s5, 31
	v_add_nc_u32_e32 v1, s29, v1
	s_lshr_b32 s6, s6, 28
	s_load_b32 s30, s[0:1], 0x1c
	s_add_i32 s5, s5, s6
	s_waitcnt lgkmcnt(0)
	v_ashrrev_i32_e32 v2, 31, v1
	v_cmp_gt_i32_e32 vcc_lo, s28, v1
	s_ashr_i32 s16, s5, 4
	s_barrier
	s_add_i32 s16, s16, -1
	v_lshrrev_b32_e32 v3, 28, v2
	v_or_b32_e32 v2, 16, v1
	buffer_gl0_inv
	v_add_nc_u32_e32 v105, -11, v140
	v_lshlrev_b32_e32 v106, 5, v140
	v_add_nc_u32_e32 v4, v1, v3
	v_add_nc_u32_e32 v3, v2, v3
	s_mul_i32 s4, s34, s4
	s_delay_alu instid0(SALU_CYCLE_1) | instskip(NEXT) | instid1(VALU_DEP_2)
	s_ashr_i32 s5, s4, 31
	v_ashrrev_i32_e32 v4, 4, v4
	s_delay_alu instid0(VALU_DEP_2)
	v_ashrrev_i32_e32 v3, 4, v3
	s_lshl_b64 s[4:5], s[4:5], 2
	v_lshl_or_b32 v125, v141, 9, v106
	s_add_u32 s35, s2, s4
	v_cndmask_b32_e32 v1, s16, v4, vcc_lo
	v_cmp_gt_i32_e32 vcc_lo, s28, v2
	s_addc_u32 s36, s3, s5
	s_mul_i32 s2, s15, s18
	s_delay_alu instid0(VALU_DEP_2) | instskip(SKIP_2) | instid1(SALU_CYCLE_1)
	v_ashrrev_i32_e32 v2, 31, v1
	v_cndmask_b32_e32 v3, s16, v3, vcc_lo
	s_ashr_i32 s3, s2, 31
	s_lshl_b64 s[2:3], s[2:3], 1
	s_delay_alu instid0(VALU_DEP_2) | instskip(NEXT) | instid1(VALU_DEP_2)
	v_lshlrev_b64 v[1:2], 2, v[1:2]
	v_ashrrev_i32_e32 v4, 31, v3
	s_add_u32 s24, s20, s2
	s_addc_u32 s25, s21, s3
	s_lshl_b32 s4, s14, 4
	s_delay_alu instid0(VALU_DEP_1) | instskip(SKIP_3) | instid1(VALU_DEP_3)
	v_lshlrev_b64 v[3:4], 2, v[3:4]
	v_add_co_u32 v1, vcc_lo, s35, v1
	v_add_co_ci_u32_e32 v2, vcc_lo, s36, v2, vcc_lo
	s_ashr_i32 s5, s4, 31
	v_add_co_u32 v3, vcc_lo, s35, v3
	s_delay_alu instid0(VALU_DEP_4)
	v_add_co_ci_u32_e32 v4, vcc_lo, s36, v4, vcc_lo
	s_lshl_b64 s[4:5], s[4:5], 2
	s_clause 0x1
	global_load_b32 v5, v[1:2], off
	global_load_b32 v6, v[3:4], off
	s_add_u32 s4, s35, s4
	s_addc_u32 s5, s36, s5
	s_or_b32 s6, s29, 16
	v_lshlrev_b32_e32 v3, 4, v0
	s_ashr_i32 s7, s6, 4
	s_cmp_lt_i32 s6, s28
	s_cselect_b32 s6, s7, s16
	s_delay_alu instid0(SALU_CYCLE_1) | instskip(NEXT) | instid1(SALU_CYCLE_1)
	s_ashr_i32 s7, s6, 31
	s_lshl_b64 s[6:7], s[6:7], 2
	s_delay_alu instid0(SALU_CYCLE_1) | instskip(SKIP_2) | instid1(SALU_CYCLE_1)
	s_add_u32 s6, s35, s6
	s_addc_u32 s7, s36, s7
	s_or_b32 s8, s29, 32
	s_ashr_i32 s9, s8, 4
	s_cmp_lt_i32 s8, s28
	s_cselect_b32 s8, s9, s16
	s_delay_alu instid0(SALU_CYCLE_1) | instskip(NEXT) | instid1(SALU_CYCLE_1)
	s_ashr_i32 s9, s8, 31
	s_lshl_b64 s[8:9], s[8:9], 2
	s_delay_alu instid0(SALU_CYCLE_1) | instskip(SKIP_2) | instid1(SALU_CYCLE_1)
	s_add_u32 s8, s35, s8
	s_addc_u32 s9, s36, s9
	s_or_b32 s10, s29, 48
	;; [unrolled: 10-line block ×4, first 2 shown]
	s_ashr_i32 s13, s12, 4
	s_cmp_lt_i32 s12, s28
	s_cselect_b32 s12, s13, s16
	s_delay_alu instid0(SALU_CYCLE_1) | instskip(NEXT) | instid1(SALU_CYCLE_1)
	s_ashr_i32 s13, s12, 31
	s_lshl_b64 s[12:13], s[12:13], 2
	s_delay_alu instid0(SALU_CYCLE_1)
	s_add_u32 s20, s35, s12
	s_addc_u32 s21, s36, s13
	s_clause 0x5
	s_load_b32 s37, s[4:5], 0x0
	s_load_b32 s27, s[6:7], 0x0
	;; [unrolled: 1-line block ×6, first 2 shown]
	s_waitcnt vmcnt(1)
	v_mad_i64_i32 v[1:2], null, v5, s17, 0
	v_and_b32_e32 v5, 0xf0, v3
	s_waitcnt vmcnt(0)
	v_mad_i64_i32 v[3:4], null, v6, s17, 0
	s_delay_alu instid0(VALU_DEP_2) | instskip(NEXT) | instid1(VALU_DEP_4)
	v_add_co_u32 v5, s4, s24, v5
	v_lshlrev_b64 v[1:2], 1, v[1:2]
	v_add_co_ci_u32_e64 v6, null, s25, 0, s4
	s_delay_alu instid0(VALU_DEP_4) | instskip(SKIP_1) | instid1(VALU_DEP_3)
	v_lshlrev_b64 v[3:4], 1, v[3:4]
	s_or_b32 s4, s29, 0x60
	v_add_co_u32 v121, vcc_lo, v5, v1
	s_delay_alu instid0(VALU_DEP_3) | instskip(NEXT) | instid1(VALU_DEP_3)
	v_add_co_ci_u32_e32 v122, vcc_lo, v6, v2, vcc_lo
	v_add_co_u32 v123, vcc_lo, v5, v3
	s_delay_alu instid0(VALU_DEP_4)
	v_add_co_ci_u32_e32 v124, vcc_lo, v6, v4, vcc_lo
	s_clause 0x19
	global_load_b128 v[89:92], v[121:122], off
	global_load_b128 v[93:96], v[121:122], off offset:256
	global_load_b128 v[97:100], v[123:124], off
	global_load_b128 v[101:104], v[123:124], off offset:256
	global_load_b128 v[81:84], v[121:122], off offset:512
	;; [unrolled: 1-line block ×23, first 2 shown]
	s_ashr_i32 s5, s4, 4
	s_cmp_lt_i32 s4, s28
	v_cmp_gt_u32_e32 vcc_lo, 11, v140
	s_cselect_b32 s4, s5, s16
	s_delay_alu instid0(SALU_CYCLE_1) | instskip(NEXT) | instid1(SALU_CYCLE_1)
	s_ashr_i32 s5, s4, 31
	s_lshl_b64 s[4:5], s[4:5], 2
	v_cndmask_b32_e32 v105, v105, v140, vcc_lo
	s_add_u32 s18, s35, s4
	s_addc_u32 s19, s36, s5
	s_or_b32 s4, s29, 0x70
	s_delay_alu instid0(SALU_CYCLE_1)
	s_ashr_i32 s5, s4, 4
	s_cmp_lt_i32 s4, s28
	v_lshlrev_b32_e32 v215, 6, v105
	s_cselect_b32 s6, s5, s16
	ds_load_b128 v[105:108], v215
	ds_load_b128 v[109:112], v215 offset:1024
	s_ashr_i32 s7, s6, 31
	ds_load_b128 v[113:116], v215 offset:2048
	ds_load_b128 v[117:120], v215 offset:3072
	;; [unrolled: 1-line block ×8, first 2 shown]
	s_clause 0x1
	global_load_b128 v[167:170], v[123:124], off offset:3072
	global_load_b128 v[171:174], v[123:124], off offset:3328
	s_lshl_b64 s[6:7], s[6:7], 2
	s_mov_b32 s4, 0
	s_add_u32 s20, s35, s6
	s_addc_u32 s21, s36, s7
	s_clause 0x1
	s_load_b32 s41, s[18:19], 0x0
	s_load_b32 s46, s[20:21], 0x0
	s_clause 0x3
	global_load_b128 v[175:178], v[121:122], off offset:3584
	global_load_b128 v[179:182], v[121:122], off offset:3840
	;; [unrolled: 1-line block ×4, first 2 shown]
	s_or_b32 s7, s29, 0x80
	s_mov_b32 s5, s4
	s_ashr_i32 s8, s7, 4
	s_cmp_lt_i32 s7, s28
	s_mov_b32 s6, s4
	s_cselect_b32 s10, s8, s16
	s_mov_b32 s7, s4
	s_ashr_i32 s11, s10, 31
	s_mov_b32 s8, s4
	s_lshl_b64 s[24:25], s[10:11], 2
	s_mov_b32 s9, s4
	s_add_u32 s24, s35, s24
	s_addc_u32 s25, s36, s25
	s_or_b32 s11, s29, 0x90
	s_mov_b32 s10, s4
	s_ashr_i32 s38, s11, 4
	s_cmp_lt_i32 s11, s28
	s_mov_b32 s11, s4
	s_cselect_b32 s38, s38, s16
	v_mov_b32_e32 v136, s11
	s_ashr_i32 s39, s38, 31
	v_dual_mov_b32 v135, s10 :: v_dual_mov_b32 v134, s9
	v_dual_mov_b32 v133, s8 :: v_dual_mov_b32 v132, s7
	;; [unrolled: 1-line block ×3, first 2 shown]
	v_mov_b32_e32 v129, s4
	s_lshl_b64 s[4:5], s[38:39], 2
	s_waitcnt lgkmcnt(0)
	s_mul_hi_i32 s7, s27, s17
	s_add_u32 s38, s35, s4
	s_addc_u32 s39, s36, s5
	s_or_b32 s4, s29, 0xa0
	s_load_b32 s40, s[38:39], 0x0
	s_ashr_i32 s5, s4, 4
	s_cmp_lt_i32 s4, s28
	s_cselect_b32 s4, s5, s16
	s_delay_alu instid0(SALU_CYCLE_1) | instskip(NEXT) | instid1(SALU_CYCLE_1)
	s_ashr_i32 s5, s4, 31
	s_lshl_b64 s[4:5], s[4:5], 2
	s_delay_alu instid0(SALU_CYCLE_1)
	s_add_u32 s42, s35, s4
	s_addc_u32 s43, s36, s5
	s_or_b32 s4, s29, 0xb0
	s_load_b32 s39, s[42:43], 0x0
	s_ashr_i32 s6, s4, 4
	s_cmp_lt_i32 s4, s28
	s_mul_hi_i32 s5, s37, s17
	s_cselect_b32 s8, s6, s16
	s_mul_i32 s6, s27, s17
	s_ashr_i32 s9, s8, 31
	s_mul_i32 s4, s37, s17
	s_lshl_b64 s[10:11], s[8:9], 2
	s_mul_hi_i32 s9, s26, s17
	s_add_u32 s44, s35, s10
	s_addc_u32 s45, s36, s11
	s_or_b32 s10, s29, 0xc0
	s_mul_i32 s8, s26, s17
	s_ashr_i32 s26, s10, 4
	s_cmp_lt_i32 s10, s28
	s_mul_hi_i32 s11, s13, s17
	s_cselect_b32 s26, s26, s16
	s_mul_i32 s10, s13, s17
	s_ashr_i32 s27, s26, 31
	s_mul_hi_i32 s13, s12, s17
	s_lshl_b64 s[26:27], s[26:27], 2
	s_mul_i32 s12, s12, s17
	s_add_u32 s20, s35, s26
	s_addc_u32 s21, s36, s27
	s_or_b32 s18, s29, 0xd0
	s_load_b32 s26, s[24:25], 0x0
	s_ashr_i32 s19, s18, 4
	s_cmp_lt_i32 s18, s28
	s_mul_i32 s18, s15, s17
	s_cselect_b32 s24, s19, s16
	s_mul_hi_i32 s19, s15, s17
	s_ashr_i32 s25, s24, 31
	s_delay_alu instid0(SALU_CYCLE_1) | instskip(NEXT) | instid1(SALU_CYCLE_1)
	s_lshl_b64 s[24:25], s[24:25], 2
	s_add_u32 s24, s35, s24
	s_addc_u32 s25, s36, s25
	s_or_b32 s42, s29, 0xe0
	s_clause 0x2
	s_load_b32 s38, s[44:45], 0x0
	s_load_b32 s37, s[20:21], 0x0
	;; [unrolled: 1-line block ×3, first 2 shown]
	s_ashr_i32 s43, s42, 4
	s_cmp_lt_i32 s42, s28
	s_mul_hi_i32 s25, s46, s17
	s_cselect_b32 s42, s43, s16
	s_mul_i32 s24, s46, s17
	s_ashr_i32 s43, s42, 31
	s_mul_hi_i32 s21, s41, s17
	s_lshl_b64 s[42:43], s[42:43], 2
	s_mul_i32 s20, s41, s17
	s_add_u32 s42, s35, s42
	s_addc_u32 s43, s36, s43
	s_or_b32 s46, s29, 0xf0
	s_waitcnt lgkmcnt(0)
	s_mul_hi_i32 s27, s26, s17
	s_ashr_i32 s47, s46, 4
	s_cmp_lt_i32 s46, s28
	s_mul_i32 s26, s26, s17
	s_cselect_b32 s46, s47, s16
	s_mul_hi_i32 s41, s40, s17
	s_ashr_i32 s47, s46, 31
	s_mul_hi_i32 s51, s15, s17
	s_lshl_b64 s[46:47], s[46:47], 2
	s_mul_i32 s50, s15, s17
	s_add_u32 s46, s35, s46
	s_addc_u32 s47, s36, s47
	s_add_u32 s15, s22, s2
	s_addc_u32 s16, s23, s3
	v_add_co_u32 v216, s15, s15, v125
	s_delay_alu instid0(VALU_DEP_1) | instskip(SKIP_2) | instid1(VALU_DEP_2)
	v_add_co_ci_u32_e64 v217, null, s16, 0, s15
	s_lshl_b64 s[2:3], s[4:5], 1
	s_lshl_b64 s[4:5], s[6:7], 1
	v_add_co_u32 v125, vcc_lo, v216, s2
	s_delay_alu instid0(VALU_DEP_2)
	v_add_co_ci_u32_e32 v126, vcc_lo, s3, v217, vcc_lo
	v_add_co_u32 v199, vcc_lo, v216, s4
	s_lshl_b64 s[6:7], s[8:9], 1
	v_add_co_ci_u32_e32 v200, vcc_lo, s5, v217, vcc_lo
	s_lshl_b64 s[8:9], s[10:11], 1
	s_lshl_b64 s[10:11], s[12:13], 1
	;; [unrolled: 1-line block ×6, first 2 shown]
	s_mul_i32 s40, s40, s17
	s_mul_hi_i32 s45, s39, s17
	s_lshl_b64 s[24:25], s[40:41], 1
	s_mul_i32 s44, s39, s17
	s_mul_hi_i32 s39, s38, s17
	s_lshl_b64 s[26:27], s[44:45], 1
	s_mul_i32 s38, s38, s17
	s_mul_hi_i32 s49, s37, s17
	s_mul_i32 s48, s37, s17
	s_lshl_b64 s[36:37], s[38:39], 1
	s_lshl_b64 s[38:39], s[48:49], 1
	s_clause 0x1
	s_load_b32 s15, s[42:43], 0x0
	s_load_b32 s16, s[46:47], 0x0
	s_lshl_b64 s[40:41], s[50:51], 1
	s_waitcnt lgkmcnt(0)
	s_mul_hi_i32 s3, s15, s17
	s_mul_i32 s2, s15, s17
	s_mul_hi_i32 s5, s16, s17
	s_lshl_b64 s[2:3], s[2:3], 1
	s_mul_i32 s4, s16, s17
	s_waitcnt vmcnt(30)
	v_wmma_f32_16x16x16_f16 v[191:198], v[89:96], v[105:112], v[129:136]
	v_add_co_u32 v89, vcc_lo, v216, s6
	v_add_co_ci_u32_e32 v90, vcc_lo, s7, v217, vcc_lo
	v_add_co_u32 v91, vcc_lo, v216, s8
	v_add_co_ci_u32_e32 v92, vcc_lo, s9, v217, vcc_lo
	;; [unrolled: 2-line block ×5, first 2 shown]
	v_add_co_u32 v205, vcc_lo, v216, s20
	s_waitcnt vmcnt(28)
	v_wmma_f32_16x16x16_f16 v[129:136], v[97:104], v[105:112], v[129:136]
	v_add_co_ci_u32_e32 v206, vcc_lo, s21, v217, vcc_lo
	v_add_co_u32 v207, vcc_lo, v216, s22
	v_add_co_ci_u32_e32 v208, vcc_lo, s23, v217, vcc_lo
	v_add_co_u32 v209, vcc_lo, v216, s24
	s_waitcnt vmcnt(26)
	v_wmma_f32_16x16x16_f16 v[191:198], v[81:88], v[113:120], v[191:198]
	s_waitcnt vmcnt(24)
	v_wmma_f32_16x16x16_f16 v[129:136], v[73:80], v[113:120], v[129:136]
	v_add_co_ci_u32_e32 v210, vcc_lo, s25, v217, vcc_lo
	v_add_co_u32 v211, vcc_lo, v216, s26
	v_add_co_ci_u32_e32 v212, vcc_lo, s27, v217, vcc_lo
	v_add_co_u32 v213, vcc_lo, v216, s36
	s_waitcnt vmcnt(22)
	v_wmma_f32_16x16x16_f16 v[191:198], v[65:72], v[143:150], v[191:198]
	s_waitcnt vmcnt(20)
	v_wmma_f32_16x16x16_f16 v[129:136], v[57:64], v[143:150], v[129:136]
	v_add_co_ci_u32_e32 v214, vcc_lo, s37, v217, vcc_lo
	v_add_co_u32 v143, vcc_lo, v216, s38
	s_waitcnt vmcnt(18)
	v_wmma_f32_16x16x16_f16 v[191:198], v[49:56], v[151:158], v[191:198]
	s_waitcnt vmcnt(16)
	v_wmma_f32_16x16x16_f16 v[129:136], v[25:32], v[151:158], v[129:136]
	v_add_co_ci_u32_e32 v144, vcc_lo, s39, v217, vcc_lo
	s_clause 0x15
	global_load_b128 v[121:124], v[125:126], off
	global_load_b128 v[125:128], v[125:126], off offset:16
	global_load_b128 v[113:116], v[199:200], off
	global_load_b128 v[117:120], v[199:200], off offset:16
	global_load_b128 v[105:108], v[89:90], off
	global_load_b128 v[109:112], v[89:90], off offset:16
	global_load_b128 v[97:100], v[91:92], off
	global_load_b128 v[101:104], v[91:92], off offset:16
	global_load_b128 v[89:92], v[93:94], off
	global_load_b128 v[93:96], v[93:94], off offset:16
	global_load_b128 v[81:84], v[201:202], off
	global_load_b128 v[85:88], v[201:202], off offset:16
	global_load_b128 v[73:76], v[203:204], off
	global_load_b128 v[77:80], v[203:204], off offset:16
	global_load_b128 v[65:68], v[205:206], off
	global_load_b128 v[69:72], v[205:206], off offset:16
	global_load_b128 v[57:60], v[207:208], off
	global_load_b128 v[61:64], v[207:208], off offset:16
	global_load_b128 v[49:52], v[209:210], off
	global_load_b128 v[53:56], v[209:210], off offset:16
	global_load_b128 v[25:28], v[211:212], off
	global_load_b128 v[29:32], v[211:212], off offset:16
	s_waitcnt vmcnt(36)
	v_wmma_f32_16x16x16_f16 v[191:198], v[1:8], v[159:166], v[191:198]
	s_clause 0x1
	global_load_b128 v[1:4], v[213:214], off
	global_load_b128 v[5:8], v[213:214], off offset:16
	s_waitcnt vmcnt(36)
	v_wmma_f32_16x16x16_f16 v[129:136], v[9:16], v[159:166], v[129:136]
	s_clause 0x1
	global_load_b128 v[9:12], v[143:144], off
	global_load_b128 v[13:16], v[143:144], off offset:16
	ds_load_b128 v[143:146], v215 offset:10240
	ds_load_b128 v[147:150], v215 offset:11264
	;; [unrolled: 1-line block ×4, first 2 shown]
	v_add_co_u32 v199, vcc_lo, v216, s40
	v_add_co_ci_u32_e32 v200, vcc_lo, s41, v217, vcc_lo
	v_add_co_u32 v159, vcc_lo, v216, s2
	v_add_co_ci_u32_e32 v160, vcc_lo, s3, v217, vcc_lo
	s_lshl_b64 s[2:3], s[4:5], 1
	s_delay_alu instid0(SALU_CYCLE_1)
	v_add_co_u32 v161, vcc_lo, v216, s2
	v_add_co_ci_u32_e32 v162, vcc_lo, s3, v217, vcc_lo
	s_waitcnt vmcnt(36) lgkmcnt(2)
	v_wmma_f32_16x16x16_f16 v[191:198], v[33:40], v[143:150], v[191:198]
	s_waitcnt vmcnt(34)
	v_wmma_f32_16x16x16_f16 v[129:136], v[41:48], v[143:150], v[129:136]
	s_clause 0x3
	global_load_b128 v[33:36], v[199:200], off
	global_load_b128 v[37:40], v[199:200], off offset:16
	global_load_b128 v[41:44], v[159:160], off
	global_load_b128 v[45:48], v[159:160], off offset:16
	v_and_b32_e32 v143, 0xe0, v0
	v_mbcnt_lo_u32_b32 v159, -1, 0
	s_waitcnt vmcnt(36) lgkmcnt(0)
	v_wmma_f32_16x16x16_f16 v[191:198], v[17:24], v[151:158], v[191:198]
	s_clause 0x1
	global_load_b128 v[17:20], v[161:162], off
	global_load_b128 v[21:24], v[161:162], off offset:16
	s_waitcnt vmcnt(36)
	v_wmma_f32_16x16x16_f16 v[129:136], v[167:174], v[151:158], v[129:136]
	v_add_nc_u32_e32 v160, s29, v143
	ds_load_b128 v[143:146], v215 offset:14336
	ds_load_b128 v[147:150], v215 offset:15360
	v_xor_b32_e32 v151, 16, v159
	s_waitcnt vmcnt(0) lgkmcnt(0)
	s_barrier
	v_or_b32_e32 v152, v160, v138
	buffer_gl0_inv
	v_cmp_gt_i32_e32 vcc_lo, 32, v151
	v_or_b32_e32 v153, 2, v152
	v_or_b32_e32 v154, 4, v152
	;; [unrolled: 1-line block ×5, first 2 shown]
	v_cmp_gt_i32_e64 s2, s28, v153
	v_cmp_gt_i32_e64 s3, s28, v154
	;; [unrolled: 1-line block ×3, first 2 shown]
	v_or_b32_e32 v158, 12, v152
	v_cmp_gt_i32_e64 s5, s28, v156
	v_cmp_gt_i32_e64 s6, s28, v157
	v_wmma_f32_16x16x16_f16 v[191:198], v[175:182], v[143:150], v[191:198]
	v_wmma_f32_16x16x16_f16 v[129:136], v[183:190], v[143:150], v[129:136]
	v_cndmask_b32_e32 v151, v159, v151, vcc_lo
	v_cmp_gt_i32_e32 vcc_lo, s28, v152
	v_or_b32_e32 v159, 14, v152
	v_dual_mul_f32 v149, s30, v192 :: v_dual_mul_f32 v150, s30, v191
	v_dual_mul_f32 v147, s30, v194 :: v_dual_mul_f32 v148, s30, v193
	v_mul_f32_e32 v145, s30, v196
	s_delay_alu instid0(VALU_DEP_3) | instskip(NEXT) | instid1(VALU_DEP_4)
	v_cndmask_b32_e64 v149, 0xff7fffff, v149, s2
	v_cndmask_b32_e32 v150, 0xff7fffff, v150, vcc_lo
	v_mul_f32_e32 v146, s30, v195
	v_cndmask_b32_e64 v148, 0xff7fffff, v148, s3
	v_cndmask_b32_e64 v147, 0xff7fffff, v147, s4
	v_or_b32_e32 v160, 16, v152
	v_max3_f32 v149, v150, 0xff7fffff, v149
	v_or_b32_e32 v161, 18, v152
	v_dual_mul_f32 v143, s30, v198 :: v_dual_mul_f32 v144, s30, v197
	v_cndmask_b32_e64 v146, 0xff7fffff, v146, s5
	v_cndmask_b32_e64 v145, 0xff7fffff, v145, s6
	v_max3_f32 v147, v149, v148, v147
	v_cmp_gt_i32_e64 s7, s28, v158
	v_cmp_gt_i32_e64 s8, s28, v159
	v_or_b32_e32 v162, 20, v152
	v_or_b32_e32 v163, 22, v152
	v_dual_mul_f32 v174, s30, v130 :: v_dual_mul_f32 v175, s30, v129
	v_cndmask_b32_e64 v144, 0xff7fffff, v144, s7
	v_cndmask_b32_e64 v143, 0xff7fffff, v143, s8
	v_max3_f32 v145, v147, v146, v145
	v_cmp_gt_i32_e64 s9, s28, v160
	v_cmp_gt_i32_e64 s10, s28, v161
	v_or_b32_e32 v164, 24, v152
	;; [unrolled: 8-line block ×3, first 2 shown]
	v_or_b32_e32 v167, 30, v152
	v_dual_mul_f32 v170, s30, v134 :: v_dual_mul_f32 v171, s30, v133
	v_cndmask_b32_e64 v144, 0xff7fffff, v173, s11
	v_cndmask_b32_e64 v145, 0xff7fffff, v172, s12
	v_max3_f32 v143, v143, v146, v147
	v_cmp_gt_i32_e64 s13, s28, v164
	v_cmp_gt_i32_e64 s15, s28, v165
	v_dual_mul_f32 v168, s30, v136 :: v_dual_mul_f32 v169, s30, v135
	s_delay_alu instid0(VALU_DEP_4) | instskip(NEXT) | instid1(VALU_DEP_4)
	v_max3_f32 v143, v143, v144, v145
	v_cndmask_b32_e64 v146, 0xff7fffff, v171, s13
	s_delay_alu instid0(VALU_DEP_4) | instskip(SKIP_3) | instid1(VALU_DEP_4)
	v_cndmask_b32_e64 v147, 0xff7fffff, v170, s15
	v_cmp_gt_i32_e64 s16, s28, v166
	v_cmp_gt_i32_e64 s17, s28, v167
	v_lshlrev_b32_e32 v160, 2, v151
	v_max3_f32 v143, v143, v146, v147
	s_delay_alu instid0(VALU_DEP_4) | instskip(NEXT) | instid1(VALU_DEP_4)
	v_cndmask_b32_e64 v144, 0xff7fffff, v169, s16
	v_cndmask_b32_e64 v145, 0xff7fffff, v168, s17
	s_delay_alu instid0(VALU_DEP_1) | instskip(SKIP_3) | instid1(VALU_DEP_1)
	v_max3_f32 v143, v143, v144, v145
	ds_bpermute_b32 v144, v160, v143
	s_waitcnt lgkmcnt(0)
	v_max_f32_e32 v144, v144, v144
	v_max_f32_e32 v159, v143, v144
	s_delay_alu instid0(VALU_DEP_1) | instskip(SKIP_4) | instid1(VALU_DEP_4)
	v_fma_f32 v143, s30, v191, -v159
	v_fma_f32 v144, s30, v192, -v159
	;; [unrolled: 1-line block ×5, first 2 shown]
	v_dual_mul_f32 v143, 0x3fb8aa3b, v143 :: v_dual_mul_f32 v144, 0x3fb8aa3b, v144
	s_delay_alu instid0(VALU_DEP_4) | instskip(SKIP_2) | instid1(VALU_DEP_4)
	v_mul_f32_e32 v132, 0x3fb8aa3b, v132
	v_fma_f32 v134, s30, v134, -v159
	v_mul_f32_e32 v145, 0x3fb8aa3b, v145
	v_exp_f32_e32 v143, v143
	v_exp_f32_e32 v147, v144
	v_fma_f32 v148, s30, v195, -v159
	v_mul_f32_e32 v134, 0x3fb8aa3b, v134
	v_mul_f32_e32 v146, 0x3fb8aa3b, v146
	v_exp_f32_e32 v145, v145
	v_fma_f32 v149, s30, v196, -v159
	v_mul_f32_e32 v148, 0x3fb8aa3b, v148
	v_fma_f32 v151, s30, v197, -v159
	v_exp_f32_e32 v150, v146
	v_cndmask_b32_e32 v144, 0, v143, vcc_lo
	v_cndmask_b32_e64 v143, 0, v147, s2
	v_mul_f32_e32 v149, 0x3fb8aa3b, v149
	v_exp_f32_e32 v148, v148
	v_fma_f32 v152, s30, v198, -v159
	v_add_f32_e32 v147, 0, v144
	v_cndmask_b32_e64 v146, 0, v145, s3
	v_mul_f32_e32 v151, 0x3fb8aa3b, v151
	v_exp_f32_e32 v149, v149
	v_cndmask_b32_e64 v145, 0, v150, s4
	v_add_f32_e32 v147, v147, v143
	v_fma_f32 v129, s30, v129, -v159
	v_mul_f32_e32 v150, 0x3fb8aa3b, v152
	v_exp_f32_e32 v151, v151
	v_cndmask_b32_e64 v148, 0, v148, s5
	v_add_f32_e32 v147, v147, v146
	v_fma_f32 v130, s30, v130, -v159
	v_mul_f32_e32 v129, 0x3fb8aa3b, v129
	v_exp_f32_e32 v153, v150
	v_fma_f32 v131, s30, v131, -v159
	v_add_f32_e32 v152, v147, v145
	v_cndmask_b32_e64 v147, 0, v149, s6
	v_mul_f32_e32 v130, 0x3fb8aa3b, v130
	v_exp_f32_e32 v129, v129
	v_cndmask_b32_e64 v150, 0, v151, s7
	v_add_f32_e32 v149, v152, v148
	v_mul_f32_e32 v131, 0x3fb8aa3b, v131
	v_exp_f32_e32 v130, v130
	v_fma_f32 v133, s30, v133, -v159
	v_exp_f32_e32 v132, v132
	v_add_f32_e32 v151, v149, v147
	v_cndmask_b32_e64 v149, 0, v153, s8
	v_exp_f32_e32 v131, v131
	v_cndmask_b32_e64 v152, 0, v129, s9
	v_mul_f32_e32 v133, 0x3fb8aa3b, v133
	v_add_f32_e32 v151, v151, v150
	v_cmp_gt_u32_e64 s2, 16, v142
	s_delay_alu instid0(VALU_DEP_3) | instskip(NEXT) | instid1(VALU_DEP_2)
	v_exp_f32_e32 v133, v133
	v_add_f32_e32 v129, v151, v149
	v_cndmask_b32_e64 v151, 0, v130, s10
	v_fma_f32 v130, s30, v135, -v159
	s_delay_alu instid0(TRANS32_DEP_2)
	v_cndmask_b32_e64 v154, 0, v131, s11
	v_exp_f32_e32 v131, v134
	v_add_f32_e32 v129, v129, v152
	v_cndmask_b32_e64 v153, 0, v132, s12
	v_mul_f32_e32 v130, 0x3fb8aa3b, v130
	v_fma_f32 v132, s30, v136, -v159
	v_cndmask_b32_e64 v156, 0, v133, s13
	v_add_f32_e32 v129, v129, v151
	s_delay_alu instid0(VALU_DEP_4) | instskip(NEXT) | instid1(VALU_DEP_3)
	v_exp_f32_e32 v130, v130
	v_mul_f32_e32 v132, 0x3fb8aa3b, v132
	s_delay_alu instid0(TRANS32_DEP_2) | instskip(NEXT) | instid1(VALU_DEP_3)
	v_cndmask_b32_e64 v155, 0, v131, s15
	v_add_f32_e32 v129, v129, v154
	s_delay_alu instid0(VALU_DEP_3) | instskip(NEXT) | instid1(VALU_DEP_1)
	v_exp_f32_e32 v131, v132
	v_add_f32_e32 v129, v129, v153
	s_waitcnt_depctr 0xfff
	v_cndmask_b32_e64 v158, 0, v130, s16
	v_add_f32_e32 v129, v129, v156
	v_cndmask_b32_e64 v157, 0, v131, s17
	s_delay_alu instid0(VALU_DEP_2) | instskip(NEXT) | instid1(VALU_DEP_1)
	v_add_f32_e32 v129, v129, v155
	v_add_f32_e32 v129, v129, v158
	s_delay_alu instid0(VALU_DEP_1)
	v_add_f32_e32 v129, v129, v157
	ds_bpermute_b32 v130, v160, v129
	s_and_saveexec_b32 s3, s2
	s_cbranch_execz .LBB260_12
; %bb.11:
	v_mul_u32_u24_e32 v131, 0x44, v141
	s_delay_alu instid0(VALU_DEP_1) | instskip(SKIP_1) | instid1(VALU_DEP_1)
	v_lshl_add_u32 v131, v140, 2, v131
	s_waitcnt lgkmcnt(0)
	v_dual_add_f32 v129, v129, v130 :: v_dual_add_nc_u32 v130, 0x4000, v131
	ds_store_2addr_b32 v130, v159, v129 offset1:136
.LBB260_12:
	s_or_b32 exec_lo, exec_lo, s3
	v_lshlrev_b32_e32 v129, 2, v140
	s_load_b32 s35, s[0:1], 0x94
	s_waitcnt lgkmcnt(0)
	s_barrier
	buffer_gl0_inv
	v_add_nc_u32_e32 v135, 0x4000, v129
	v_cmp_eq_u32_e32 vcc_lo, 1, v141
	v_cmp_eq_u32_e64 s3, 2, v141
	v_cmp_eq_u32_e64 s4, 3, v141
	;; [unrolled: 1-line block ×3, first 2 shown]
	ds_load_2addr_b32 v[129:130], v135 offset1:17
	ds_load_2addr_b32 v[131:132], v135 offset0:34 offset1:51
	ds_load_2addr_b32 v[133:134], v135 offset0:68 offset1:85
	;; [unrolled: 1-line block ×3, first 2 shown]
	v_cmp_eq_u32_e64 s6, 5, v141
	v_cmp_eq_u32_e64 s7, 7, v141
	s_waitcnt lgkmcnt(3)
	v_max3_f32 v136, v129, 0xff7fffff, v130
	s_waitcnt lgkmcnt(2)
	s_delay_alu instid0(VALU_DEP_1) | instskip(SKIP_1) | instid1(VALU_DEP_1)
	v_max3_f32 v136, v136, v131, v132
	s_waitcnt lgkmcnt(1)
	v_max3_f32 v136, v136, v133, v134
	s_waitcnt lgkmcnt(0)
	s_delay_alu instid0(VALU_DEP_1) | instskip(NEXT) | instid1(VALU_DEP_1)
	v_max3_f32 v136, v136, v159, v160
	v_sub_f32_e32 v142, v130, v136
	ds_load_2addr_b32 v[161:162], v135 offset0:136 offset1:153
	v_sub_f32_e32 v164, v132, v136
	v_mul_f32_e32 v142, 0x3fb8aa3b, v142
	s_delay_alu instid0(VALU_DEP_2) | instskip(NEXT) | instid1(VALU_DEP_2)
	v_mul_f32_e32 v164, 0x3fb8aa3b, v164
	v_exp_f32_e32 v166, v142
	v_sub_f32_e32 v129, v129, v136
	s_delay_alu instid0(VALU_DEP_2) | instskip(NEXT) | instid1(VALU_DEP_1)
	v_exp_f32_e32 v164, v164
	v_mul_f32_e32 v163, 0x3fb8aa3b, v129
	ds_load_2addr_b32 v[129:130], v135 offset0:170 offset1:187
	v_exp_f32_e32 v163, v163
	s_waitcnt lgkmcnt(1)
	s_waitcnt_depctr 0xfff
	v_fma_f32 v142, v163, v161, 0
	v_sub_f32_e32 v161, v134, v136
	s_delay_alu instid0(VALU_DEP_2) | instskip(NEXT) | instid1(VALU_DEP_1)
	v_dual_fmac_f32 v142, v166, v162 :: v_dual_sub_f32 v131, v131, v136
	v_mul_f32_e32 v165, 0x3fb8aa3b, v131
	ds_load_2addr_b32 v[131:132], v135 offset0:204 offset1:221
	v_exp_f32_e32 v165, v165
	s_waitcnt lgkmcnt(1)
	s_waitcnt_depctr 0xfff
	v_fmac_f32_e32 v142, v165, v129
	v_sub_f32_e32 v133, v133, v136
	v_sub_f32_e32 v129, v160, v136
	s_delay_alu instid0(VALU_DEP_2) | instskip(NEXT) | instid1(VALU_DEP_2)
	v_dual_fmac_f32 v142, v164, v130 :: v_dual_mul_f32 v167, 0x3fb8aa3b, v133
	v_mul_f32_e32 v129, 0x3fb8aa3b, v129
	ds_load_2addr_b32 v[133:134], v135 offset0:238 offset1:255
	v_cndmask_b32_e32 v130, v163, v166, vcc_lo
	s_waitcnt lgkmcnt(0)
	s_barrier
	v_exp_f32_e32 v162, v129
	v_sub_f32_e32 v135, v159, v136
	v_mul_f32_e32 v159, 0x3fb8aa3b, v161
	v_exp_f32_e32 v161, v167
	buffer_gl0_inv
	v_exp_f32_e32 v159, v159
	v_fmac_f32_e32 v142, v161, v131
	s_waitcnt_depctr 0xfff
	v_dual_mul_f32 v135, 0x3fb8aa3b, v135 :: v_dual_fmac_f32 v142, v159, v132
	s_delay_alu instid0(VALU_DEP_1) | instskip(SKIP_2) | instid1(VALU_DEP_1)
	v_exp_f32_e32 v160, v135
	s_waitcnt_depctr 0xfff
	v_dual_fmac_f32 v142, v160, v133 :: v_dual_lshlrev_b32 v133, 6, v140
	v_fmac_f32_e32 v142, v162, v134
	s_delay_alu instid0(VALU_DEP_2) | instskip(NEXT) | instid1(VALU_DEP_2)
	v_lshl_or_b32 v135, v141, 11, v133
	v_add_f32_e32 v134, 0x358637bd, v142
	s_delay_alu instid0(VALU_DEP_1) | instskip(SKIP_1) | instid1(VALU_DEP_2)
	v_div_scale_f32 v167, null, v134, v134, 1.0
	v_div_scale_f32 v163, vcc_lo, 1.0, v134, 1.0
	v_rcp_f32_e32 v168, v167
	s_waitcnt_depctr 0xfff
	v_fma_f32 v129, -v167, v168, 1.0
	s_delay_alu instid0(VALU_DEP_1) | instskip(SKIP_2) | instid1(VALU_DEP_2)
	v_fmac_f32_e32 v168, v129, v168
	v_cndmask_b32_e64 v129, v130, v165, s3
	v_cmp_eq_u32_e64 s3, 6, v141
	v_cndmask_b32_e64 v130, v129, v164, s4
	v_lshlrev_b32_e32 v129, 2, v138
	v_mul_f32_e32 v165, v163, v168
	s_delay_alu instid0(VALU_DEP_3) | instskip(NEXT) | instid1(VALU_DEP_3)
	v_cndmask_b32_e64 v161, v130, v161, s5
	v_or_b32_e32 v130, 1, v129
	s_delay_alu instid0(VALU_DEP_3)
	v_fma_f32 v131, -v167, v165, v163
	v_or_b32_e32 v132, 2, v129
	v_cmp_eq_u32_e64 s4, 1, v129
	v_cndmask_b32_e64 v141, v161, v159, s6
	v_cmp_eq_u32_e64 s9, 1, v130
	v_fmac_f32_e32 v165, v131, v168
	v_or_b32_e32 v131, 3, v129
	v_cmp_eq_u32_e64 s10, 1, v132
	v_cndmask_b32_e64 v141, v141, v160, s3
	v_cmp_eq_u32_e64 s5, 2, v129
	v_fma_f32 v159, -v167, v165, v163
	v_cmp_eq_u32_e64 s11, 1, v131
	v_cmp_eq_u32_e64 s16, 2, v131
	v_cndmask_b32_e64 v141, v141, v162, s7
	v_cmp_eq_u32_e64 s12, 2, v130
	v_div_fmas_f32 v159, v159, v168, v165
	v_cmp_eq_u32_e64 s18, 3, v131
	v_cmp_eq_u32_e32 vcc_lo, 3, v129
	v_cmp_eq_u32_e64 s13, 3, v130
	v_cmp_eq_u32_e64 s15, 2, v132
	v_div_fixup_f32 v159, v159, v134, 1.0
	v_lshl_or_b32 v134, v138, 4, v135
	v_cmp_eq_u32_e64 s22, 4, v131
	v_cmp_eq_u32_e64 s3, 4, v129
	v_cmp_eq_u32_e64 s17, 3, v132
	v_mul_f32_e32 v141, v141, v159
	v_cmp_eq_u32_e64 s19, 4, v130
	v_cmp_eq_u32_e64 s24, 5, v131
	;; [unrolled: 1-line block ×4, first 2 shown]
	v_fma_mixlo_f16 v159, v141, v144, 0
	v_fma_mixlo_f16 v160, v141, v146, 0
	;; [unrolled: 1-line block ×8, first 2 shown]
	v_fma_mixhi_f16 v159, v141, v143, 0
	v_fma_mixhi_f16 v160, v141, v145, 0
	;; [unrolled: 1-line block ×8, first 2 shown]
	ds_store_b128 v134, v[159:162]
	ds_store_b128 v134, v[163:166] offset:1024
	s_waitcnt lgkmcnt(0)
	s_barrier
	buffer_gl0_inv
	ds_load_b128 v[143:146], v135
	ds_load_b128 v[147:150], v135 offset:16
	ds_load_b128 v[151:154], v135 offset:1024
	;; [unrolled: 1-line block ×3, first 2 shown]
	v_cmp_eq_u32_e64 s21, 4, v132
	v_cmp_eq_u32_e64 s27, 6, v131
	;; [unrolled: 1-line block ×10, first 2 shown]
	s_waitcnt lgkmcnt(3)
	v_lshrrev_b32_e32 v141, 16, v143
	s_waitcnt lgkmcnt(2)
	v_lshrrev_b32_e32 v162, 16, v147
	v_lshrrev_b32_e32 v159, 16, v144
	;; [unrolled: 1-line block ×3, first 2 shown]
	s_waitcnt lgkmcnt(1)
	v_lshrrev_b32_e32 v166, 16, v151
	v_cndmask_b32_e64 v174, v143, v141, s4
	v_cndmask_b32_e64 v176, v143, v141, s9
	;; [unrolled: 1-line block ×5, first 2 shown]
	s_waitcnt lgkmcnt(0)
	v_lshrrev_b32_e32 v170, 16, v155
	v_cndmask_b32_e64 v175, v147, v162, s4
	v_cndmask_b32_e64 v177, v147, v162, s9
	;; [unrolled: 1-line block ×19, first 2 shown]
	v_lshrrev_b32_e32 v160, 16, v145
	v_lshrrev_b32_e32 v164, 16, v149
	;; [unrolled: 1-line block ×4, first 2 shown]
	v_cndmask_b32_e64 v176, v178, v144, s15
	v_cndmask_b32_e64 v177, v179, v148, s15
	;; [unrolled: 1-line block ×8, first 2 shown]
	v_cndmask_b32_e32 v155, v166, v159, vcc_lo
	v_cndmask_b32_e32 v166, v170, v163, vcc_lo
	v_cndmask_b32_e64 v170, v174, v159, s13
	v_cndmask_b32_e64 v174, v175, v163, s13
	;; [unrolled: 1-line block ×6, first 2 shown]
	v_cndmask_b32_e32 v144, v144, v167, vcc_lo
	v_cndmask_b32_e32 v147, v147, v171, vcc_lo
	v_cndmask_b32_e64 v148, v148, v167, s13
	v_cndmask_b32_e64 v155, v155, v145, s3
	;; [unrolled: 1-line block ×7, first 2 shown]
	v_lshrrev_b32_e32 v161, 16, v146
	v_lshrrev_b32_e32 v165, 16, v150
	;; [unrolled: 1-line block ×4, first 2 shown]
	v_cndmask_b32_e64 v170, v175, v145, s21
	v_cndmask_b32_e64 v174, v176, v149, s21
	;; [unrolled: 1-line block ×22, first 2 shown]
	v_lshrrev_b32_e32 v169, 16, v154
	v_cndmask_b32_e64 v160, v163, v146, s26
	v_cndmask_b32_e64 v163, v166, v150, s26
	v_cndmask_b32_e64 v144, v144, v154, s7
	v_cndmask_b32_e64 v150, v145, v158, s7
	v_cndmask_b32_e64 v145, v147, v154, s25
	v_cndmask_b32_e64 v147, v148, v161, s8
	v_cndmask_b32_e64 v148, v149, v165, s8
	v_cndmask_b32_e64 v149, v155, v161, s30
	v_cndmask_b32_e64 v159, v159, v165, s30
	v_perm_b32 v146, v143, v141, 0x5040100
	v_cndmask_b32_e64 v141, v183, v156, s15
	v_cndmask_b32_e64 v143, v181, v156, s12
	;; [unrolled: 1-line block ×4, first 2 shown]
	v_perm_b32 v144, v159, v149, 0x5040100
	v_cndmask_b32_e64 v149, v162, v167, s17
	v_cndmask_b32_e64 v151, v151, v167, s18
	;; [unrolled: 1-line block ×15, first 2 shown]
	v_lshrrev_b32_e32 v173, 16, v158
	v_cndmask_b32_e64 v149, v149, v154, s26
	v_cndmask_b32_e64 v151, v151, v154, s27
	;; [unrolled: 1-line block ×13, first 2 shown]
	v_perm_b32 v145, v160, v155, 0x5040100
	v_perm_b32 v143, v148, v147, 0x5040100
	;; [unrolled: 1-line block ×6, first 2 shown]
	s_mul_i32 s7, s33, 11
	s_mov_b32 s3, exec_lo
	ds_store_b128 v134, v[143:146]
	ds_store_b128 v134, v[147:150] offset:1024
	v_cmpx_gt_u32_e32 11, v0
	s_cbranch_execz .LBB260_14
; %bb.13:
	s_mul_i32 s4, s7, s34
	s_load_b128 s[8:11], s[0:1], 0x58
	v_add3_u32 v143, s4, s31, v140
	s_delay_alu instid0(VALU_DEP_1) | instskip(NEXT) | instid1(VALU_DEP_1)
	v_mad_u64_u32 v[140:141], null, v143, s35, s[14:15]
	v_ashrrev_i32_e32 v141, 31, v140
	s_delay_alu instid0(VALU_DEP_1) | instskip(SKIP_1) | instid1(VALU_DEP_1)
	v_lshlrev_b64 v[140:141], 2, v[140:141]
	s_waitcnt lgkmcnt(0)
	v_add_co_u32 v143, vcc_lo, s10, v140
	s_delay_alu instid0(VALU_DEP_2)
	v_add_co_ci_u32_e32 v144, vcc_lo, s11, v141, vcc_lo
	v_add_co_u32 v140, vcc_lo, s8, v140
	v_add_co_ci_u32_e32 v141, vcc_lo, s9, v141, vcc_lo
	global_store_b32 v[143:144], v136, off
	global_store_b32 v[140:141], v142, off
.LBB260_14:
	s_or_b32 exec_lo, exec_lo, s3
	s_waitcnt lgkmcnt(0)
	s_waitcnt_vscnt null, 0x0
	s_barrier
	buffer_gl0_inv
	ds_load_b128 v[148:151], v133
	ds_load_b128 v[152:155], v133 offset:16
	ds_load_b128 v[160:163], v133 offset:1040
	;; [unrolled: 1-line block ×5, first 2 shown]
	v_cmp_eq_u32_e32 vcc_lo, 1, v132
	v_mov_b32_e32 v140, 0
	ds_load_b128 v[176:179], v133 offset:3088
	ds_load_b128 v[172:175], v133 offset:3072
	;; [unrolled: 1-line block ×4, first 2 shown]
	v_cmp_eq_u32_e64 s3, 1, v129
	v_cmp_eq_u32_e64 s4, 1, v131
	;; [unrolled: 1-line block ×3, first 2 shown]
	v_mov_b32_e32 v141, v140
	v_mov_b32_e32 v142, v140
	;; [unrolled: 1-line block ×7, first 2 shown]
	v_cmp_eq_u32_e64 s6, 2, v129
	s_waitcnt lgkmcnt(8)
	s_delay_alu instid0(VALU_DEP_2)
	v_wmma_f32_16x16x16_f16 v[140:147], v[121:128], v[148:155], v[140:147]
	ds_load_b128 v[125:128], v133 offset:5136
	ds_load_b128 v[121:124], v133 offset:5120
	s_waitcnt lgkmcnt(8)
	v_wmma_f32_16x16x16_f16 v[140:147], v[113:120], v[156:163], v[140:147]
	ds_load_b128 v[117:120], v133 offset:6160
	ds_load_b128 v[113:116], v133 offset:6144
	s_waitcnt lgkmcnt(8)
	;; [unrolled: 4-line block ×11, first 2 shown]
	s_barrier
	buffer_gl0_inv
	v_wmma_f32_16x16x16_f16 v[140:147], v[1:8], v[73:80], v[140:147]
	s_delay_alu instid0(VALU_DEP_1) | instskip(NEXT) | instid1(VALU_DEP_1)
	v_wmma_f32_16x16x16_f16 v[140:147], v[9:16], v[65:72], v[140:147]
	v_wmma_f32_16x16x16_f16 v[140:147], v[33:40], v[57:64], v[140:147]
	s_delay_alu instid0(VALU_DEP_1) | instskip(NEXT) | instid1(VALU_DEP_1)
	v_wmma_f32_16x16x16_f16 v[140:147], v[41:48], v[49:56], v[140:147]
	v_wmma_f32_16x16x16_f16 v[140:147], v[17:24], v[25:32], v[140:147]
	s_delay_alu instid0(VALU_DEP_1) | instskip(NEXT) | instid1(VALU_DEP_2)
	v_cvt_f16_f32_e64 v1, v140
	v_cvt_f16_f32_e64 v2, v141
	s_delay_alu instid0(VALU_DEP_3) | instskip(NEXT) | instid1(VALU_DEP_4)
	v_cvt_f16_f32_e64 v3, v142
	v_cvt_f16_f32_e64 v4, v143
	;; [unrolled: 1-line block ×6, first 2 shown]
	v_pack_b32_f16 v1, v1, v2
	v_pack_b32_f16 v2, v3, v4
	;; [unrolled: 1-line block ×3, first 2 shown]
	s_delay_alu instid0(VALU_DEP_4)
	v_pack_b32_f16 v4, v7, v8
	ds_store_b128 v134, v[1:4]
	s_waitcnt lgkmcnt(0)
	s_barrier
	buffer_gl0_inv
	ds_load_b128 v[1:4], v135
	ds_load_b128 v[5:8], v135 offset:16
	s_waitcnt lgkmcnt(1)
	v_lshrrev_b32_e32 v9, 16, v1
	s_waitcnt lgkmcnt(0)
	v_lshrrev_b32_e32 v13, 16, v5
	v_lshrrev_b32_e32 v10, 16, v2
	;; [unrolled: 1-line block ×4, first 2 shown]
	v_cndmask_b32_e64 v17, v1, v9, s3
	v_cndmask_b32_e64 v18, v5, v13, s3
	;; [unrolled: 1-line block ×3, first 2 shown]
	v_cmp_eq_u32_e64 s3, 2, v130
	v_cndmask_b32_e64 v20, v5, v13, s5
	v_cndmask_b32_e32 v21, v1, v9, vcc_lo
	v_cndmask_b32_e32 v22, v5, v13, vcc_lo
	v_cndmask_b32_e64 v1, v1, v9, s4
	v_cndmask_b32_e64 v5, v5, v13, s4
	v_cmp_eq_u32_e32 vcc_lo, 2, v132
	v_cmp_eq_u32_e64 s4, 2, v131
	v_cndmask_b32_e64 v9, v17, v2, s6
	v_cndmask_b32_e64 v13, v18, v6, s6
	;; [unrolled: 1-line block ×4, first 2 shown]
	v_cndmask_b32_e32 v19, v21, v2, vcc_lo
	v_cmp_eq_u32_e64 s3, 3, v132
	v_cndmask_b32_e32 v20, v22, v6, vcc_lo
	v_cndmask_b32_e64 v1, v1, v2, s4
	v_cmp_eq_u32_e32 vcc_lo, 3, v131
	v_cmp_eq_u32_e64 s5, 3, v129
	v_cndmask_b32_e64 v2, v5, v6, s4
	v_cmp_eq_u32_e64 s4, 3, v130
	v_cmp_eq_u32_e64 s6, 4, v129
	v_cndmask_b32_e32 v1, v1, v10, vcc_lo
	v_cndmask_b32_e64 v5, v9, v10, s5
	v_cndmask_b32_e64 v6, v13, v14, s5
	;; [unrolled: 1-line block ×3, first 2 shown]
	v_cmp_eq_u32_e64 s5, 4, v130
	v_cndmask_b32_e64 v13, v18, v14, s4
	v_cndmask_b32_e64 v17, v19, v10, s3
	;; [unrolled: 1-line block ×3, first 2 shown]
	v_cndmask_b32_e32 v2, v2, v14, vcc_lo
	v_cmp_eq_u32_e32 vcc_lo, 4, v132
	v_cmp_eq_u32_e64 s4, 4, v131
	v_lshrrev_b32_e32 v15, 16, v7
	v_cndmask_b32_e64 v5, v5, v3, s6
	v_cndmask_b32_e64 v6, v6, v7, s6
	v_cndmask_b32_e32 v14, v18, v7, vcc_lo
	v_cndmask_b32_e64 v9, v9, v3, s5
	v_cndmask_b32_e64 v10, v13, v7, s5
	v_cndmask_b32_e32 v13, v17, v3, vcc_lo
	v_cmp_eq_u32_e64 s3, 5, v132
	v_cndmask_b32_e64 v1, v1, v3, s4
	v_cmp_eq_u32_e32 vcc_lo, 5, v131
	v_cmp_eq_u32_e64 s5, 5, v129
	v_cndmask_b32_e64 v2, v2, v7, s4
	v_cmp_eq_u32_e64 s4, 5, v130
	v_cmp_eq_u32_e64 s6, 6, v129
	v_lshrrev_b32_e32 v12, 16, v4
	v_cndmask_b32_e64 v3, v5, v11, s5
	v_cndmask_b32_e64 v5, v6, v15, s5
	;; [unrolled: 1-line block ×3, first 2 shown]
	v_cmp_eq_u32_e64 s5, 6, v130
	v_cndmask_b32_e64 v7, v10, v15, s4
	v_cndmask_b32_e64 v9, v13, v11, s3
	;; [unrolled: 1-line block ×3, first 2 shown]
	v_cndmask_b32_e32 v1, v1, v11, vcc_lo
	v_cndmask_b32_e32 v2, v2, v15, vcc_lo
	v_cmp_eq_u32_e32 vcc_lo, 6, v132
	v_cmp_eq_u32_e64 s3, 6, v131
	v_lshrrev_b32_e32 v16, 16, v8
	v_cndmask_b32_e64 v3, v3, v4, s6
	v_cndmask_b32_e64 v5, v5, v8, s6
	v_cndmask_b32_e32 v9, v9, v4, vcc_lo
	v_cndmask_b32_e64 v6, v6, v4, s5
	v_cndmask_b32_e64 v7, v7, v8, s5
	v_cmp_eq_u32_e64 s4, 7, v132
	v_cndmask_b32_e32 v10, v10, v8, vcc_lo
	v_cndmask_b32_e64 v1, v1, v4, s3
	v_cmp_eq_u32_e32 vcc_lo, 7, v131
	v_cndmask_b32_e64 v2, v2, v8, s3
	v_cmp_eq_u32_e64 s3, 7, v129
	v_cmp_eq_u32_e64 s5, 7, v130
	v_cndmask_b32_e32 v1, v1, v12, vcc_lo
	s_delay_alu instid0(VALU_DEP_4) | instskip(NEXT) | instid1(VALU_DEP_4)
	v_cndmask_b32_e32 v2, v2, v16, vcc_lo
	v_cndmask_b32_e64 v8, v3, v12, s3
	s_delay_alu instid0(VALU_DEP_4)
	v_cndmask_b32_e64 v6, v6, v12, s5
	v_cndmask_b32_e64 v3, v9, v12, s4
	;; [unrolled: 1-line block ×5, first 2 shown]
	v_perm_b32 v4, v2, v1, 0x5040100
	s_mov_b32 s3, exec_lo
	v_perm_b32 v3, v9, v3, 0x5040100
	v_perm_b32 v2, v7, v6, 0x5040100
	;; [unrolled: 1-line block ×3, first 2 shown]
	ds_store_b128 v134, v[1:4]
	s_waitcnt lgkmcnt(0)
	s_barrier
	buffer_gl0_inv
	v_cmpx_gt_u32_e32 32, v0
	s_cbranch_execz .LBB260_2
; %bb.15:
	s_load_b64 s[4:5], s[0:1], 0x68
	v_lshlrev_b32_e32 v0, 10, v0
	v_lshlrev_b32_e32 v1, 4, v139
	s_lshl_b32 s0, s35, 7
	v_add_nc_u32_e32 v7, s31, v138
	s_mul_i32 s1, s0, s34
	s_delay_alu instid0(SALU_CYCLE_1) | instskip(SKIP_1) | instid1(VALU_DEP_2)
	s_mul_i32 s6, s1, s7
	v_and_or_b32 v0, 0x3800, v0, v1
	v_mul_lo_u32 v1, v7, s0
	v_add_nc_u32_e32 v2, 2, v7
	s_ashr_i32 s7, s6, 31
	v_add_nc_u32_e32 v4, 4, v7
	s_lshl_b64 s[6:7], s[6:7], 1
	v_add_nc_u32_e32 v8, 6, v7
	v_mul_lo_u32 v3, v2, s0
	v_lshl_or_b32 v19, v138, 6, v0
	v_ashrrev_i32_e32 v2, 31, v1
	v_mul_lo_u32 v11, v4, s0
	v_mul_lo_u32 v25, v8, s0
	s_waitcnt lgkmcnt(0)
	s_add_u32 s1, s4, s6
	s_addc_u32 s3, s5, s7
	s_lshl_b32 s4, s14, 7
	v_lshlrev_b64 v[5:6], 1, v[1:2]
	s_ashr_i32 s5, s4, 31
	v_ashrrev_i32_e32 v4, 31, v3
	s_lshl_b64 s[4:5], s[4:5], 1
	v_ashrrev_i32_e32 v12, 31, v11
	s_add_u32 s1, s1, s4
	s_addc_u32 s3, s3, s5
	v_add_co_u32 v1, s1, s1, v137
	s_delay_alu instid0(VALU_DEP_1) | instskip(SKIP_1) | instid1(VALU_DEP_3)
	v_add_co_ci_u32_e64 v2, null, s3, 0, s1
	v_lshlrev_b64 v[3:4], 1, v[3:4]
	v_add_co_u32 v23, vcc_lo, v1, v5
	v_add_nc_u32_e32 v5, 8, v7
	s_delay_alu instid0(VALU_DEP_4) | instskip(NEXT) | instid1(VALU_DEP_4)
	v_add_co_ci_u32_e32 v24, vcc_lo, v2, v6, vcc_lo
	v_add_co_u32 v27, vcc_lo, v1, v3
	s_delay_alu instid0(VALU_DEP_3)
	v_mul_lo_u32 v29, v5, s0
	v_add_co_ci_u32_e32 v28, vcc_lo, v2, v4, vcc_lo
	ds_load_b128 v[3:6], v19
	ds_load_b128 v[7:10], v19 offset:128
	v_lshlrev_b64 v[31:32], 1, v[11:12]
	ds_load_b128 v[11:14], v19 offset:256
	ds_load_b128 v[15:18], v19 offset:384
	;; [unrolled: 1-line block ×3, first 2 shown]
	v_ashrrev_i32_e32 v26, 31, v25
	v_ashrrev_i32_e32 v30, 31, v29
	v_add_co_u32 v31, vcc_lo, v1, v31
	s_delay_alu instid0(VALU_DEP_3) | instskip(NEXT) | instid1(VALU_DEP_3)
	v_lshlrev_b64 v[25:26], 1, v[25:26]
	v_lshlrev_b64 v[29:30], 1, v[29:30]
	v_add_co_ci_u32_e32 v32, vcc_lo, v2, v32, vcc_lo
	s_delay_alu instid0(VALU_DEP_3) | instskip(NEXT) | instid1(VALU_DEP_4)
	v_add_co_u32 v25, vcc_lo, v1, v25
	v_add_co_ci_u32_e32 v26, vcc_lo, v2, v26, vcc_lo
	s_delay_alu instid0(VALU_DEP_4)
	v_add_co_u32 v29, vcc_lo, v1, v29
	v_add_co_ci_u32_e32 v30, vcc_lo, v2, v30, vcc_lo
	s_waitcnt lgkmcnt(4)
	global_store_b128 v[23:24], v[3:6], off
	s_waitcnt lgkmcnt(3)
	global_store_b128 v[27:28], v[7:10], off
	;; [unrolled: 2-line block ×5, first 2 shown]
	s_and_b32 exec_lo, exec_lo, s2
	s_cbranch_execz .LBB260_2
; %bb.16:
	ds_load_b128 v[3:6], v0 offset:640
	s_add_i32 s1, s31, 10
	s_delay_alu instid0(SALU_CYCLE_1) | instskip(NEXT) | instid1(SALU_CYCLE_1)
	s_mul_i32 s0, s1, s0
	s_ashr_i32 s1, s0, 31
	s_delay_alu instid0(SALU_CYCLE_1) | instskip(NEXT) | instid1(SALU_CYCLE_1)
	s_lshl_b64 s[0:1], s[0:1], 1
	v_add_co_u32 v0, vcc_lo, v1, s0
	v_add_co_ci_u32_e32 v1, vcc_lo, s1, v2, vcc_lo
	s_waitcnt lgkmcnt(0)
	global_store_b128 v[0:1], v[3:6], off
	s_nop 0
	s_sendmsg sendmsg(MSG_DEALLOC_VGPRS)
	s_endpgm
	.section	.rodata,"a",@progbits
	.p2align	6, 0x0
	.amdhsa_kernel _Z39paged_attention_ll4mi_QKV_mfma16_kernelIDF16_DF16_LN4vllm18Fp8KVCacheDataTypeE0EDF16_Li16ELi128ELi256ELb1ELi11EL8MFMAType0EEvPKT_PKT0_S8_ifPKiSA_SA_iPKfiiiPfSD_PS3_PT2_iSC_SC_
		.amdhsa_group_segment_fixed_size 17472
		.amdhsa_private_segment_fixed_size 0
		.amdhsa_kernarg_size 400
		.amdhsa_user_sgpr_count 13
		.amdhsa_user_sgpr_dispatch_ptr 0
		.amdhsa_user_sgpr_queue_ptr 0
		.amdhsa_user_sgpr_kernarg_segment_ptr 1
		.amdhsa_user_sgpr_dispatch_id 0
		.amdhsa_user_sgpr_private_segment_size 0
		.amdhsa_wavefront_size32 1
		.amdhsa_uses_dynamic_stack 0
		.amdhsa_enable_private_segment 0
		.amdhsa_system_sgpr_workgroup_id_x 1
		.amdhsa_system_sgpr_workgroup_id_y 1
		.amdhsa_system_sgpr_workgroup_id_z 1
		.amdhsa_system_sgpr_workgroup_info 0
		.amdhsa_system_vgpr_workitem_id 0
		.amdhsa_next_free_vgpr 218
		.amdhsa_next_free_sgpr 52
		.amdhsa_reserve_vcc 1
		.amdhsa_float_round_mode_32 0
		.amdhsa_float_round_mode_16_64 0
		.amdhsa_float_denorm_mode_32 3
		.amdhsa_float_denorm_mode_16_64 3
		.amdhsa_dx10_clamp 1
		.amdhsa_ieee_mode 1
		.amdhsa_fp16_overflow 0
		.amdhsa_workgroup_processor_mode 1
		.amdhsa_memory_ordered 1
		.amdhsa_forward_progress 0
		.amdhsa_shared_vgpr_count 0
		.amdhsa_exception_fp_ieee_invalid_op 0
		.amdhsa_exception_fp_denorm_src 0
		.amdhsa_exception_fp_ieee_div_zero 0
		.amdhsa_exception_fp_ieee_overflow 0
		.amdhsa_exception_fp_ieee_underflow 0
		.amdhsa_exception_fp_ieee_inexact 0
		.amdhsa_exception_int_div_zero 0
	.end_amdhsa_kernel
	.section	.text._Z39paged_attention_ll4mi_QKV_mfma16_kernelIDF16_DF16_LN4vllm18Fp8KVCacheDataTypeE0EDF16_Li16ELi128ELi256ELb1ELi11EL8MFMAType0EEvPKT_PKT0_S8_ifPKiSA_SA_iPKfiiiPfSD_PS3_PT2_iSC_SC_,"axG",@progbits,_Z39paged_attention_ll4mi_QKV_mfma16_kernelIDF16_DF16_LN4vllm18Fp8KVCacheDataTypeE0EDF16_Li16ELi128ELi256ELb1ELi11EL8MFMAType0EEvPKT_PKT0_S8_ifPKiSA_SA_iPKfiiiPfSD_PS3_PT2_iSC_SC_,comdat
.Lfunc_end260:
	.size	_Z39paged_attention_ll4mi_QKV_mfma16_kernelIDF16_DF16_LN4vllm18Fp8KVCacheDataTypeE0EDF16_Li16ELi128ELi256ELb1ELi11EL8MFMAType0EEvPKT_PKT0_S8_ifPKiSA_SA_iPKfiiiPfSD_PS3_PT2_iSC_SC_, .Lfunc_end260-_Z39paged_attention_ll4mi_QKV_mfma16_kernelIDF16_DF16_LN4vllm18Fp8KVCacheDataTypeE0EDF16_Li16ELi128ELi256ELb1ELi11EL8MFMAType0EEvPKT_PKT0_S8_ifPKiSA_SA_iPKfiiiPfSD_PS3_PT2_iSC_SC_
                                        ; -- End function
	.section	.AMDGPU.csdata,"",@progbits
; Kernel info:
; codeLenInByte = 8216
; NumSgprs: 54
; NumVgprs: 218
; ScratchSize: 0
; MemoryBound: 0
; FloatMode: 240
; IeeeMode: 1
; LDSByteSize: 17472 bytes/workgroup (compile time only)
; SGPRBlocks: 6
; VGPRBlocks: 27
; NumSGPRsForWavesPerEU: 54
; NumVGPRsForWavesPerEU: 218
; Occupancy: 6
; WaveLimiterHint : 1
; COMPUTE_PGM_RSRC2:SCRATCH_EN: 0
; COMPUTE_PGM_RSRC2:USER_SGPR: 13
; COMPUTE_PGM_RSRC2:TRAP_HANDLER: 0
; COMPUTE_PGM_RSRC2:TGID_X_EN: 1
; COMPUTE_PGM_RSRC2:TGID_Y_EN: 1
; COMPUTE_PGM_RSRC2:TGID_Z_EN: 1
; COMPUTE_PGM_RSRC2:TIDIG_COMP_CNT: 0
	.section	.text._Z39paged_attention_ll4mi_QKV_mfma16_kernelIDF16_DF16_LN4vllm18Fp8KVCacheDataTypeE0EDF16_Li16ELi128ELi256ELb1ELi12EL8MFMAType0EEvPKT_PKT0_S8_ifPKiSA_SA_iPKfiiiPfSD_PS3_PT2_iSC_SC_,"axG",@progbits,_Z39paged_attention_ll4mi_QKV_mfma16_kernelIDF16_DF16_LN4vllm18Fp8KVCacheDataTypeE0EDF16_Li16ELi128ELi256ELb1ELi12EL8MFMAType0EEvPKT_PKT0_S8_ifPKiSA_SA_iPKfiiiPfSD_PS3_PT2_iSC_SC_,comdat
	.protected	_Z39paged_attention_ll4mi_QKV_mfma16_kernelIDF16_DF16_LN4vllm18Fp8KVCacheDataTypeE0EDF16_Li16ELi128ELi256ELb1ELi12EL8MFMAType0EEvPKT_PKT0_S8_ifPKiSA_SA_iPKfiiiPfSD_PS3_PT2_iSC_SC_ ; -- Begin function _Z39paged_attention_ll4mi_QKV_mfma16_kernelIDF16_DF16_LN4vllm18Fp8KVCacheDataTypeE0EDF16_Li16ELi128ELi256ELb1ELi12EL8MFMAType0EEvPKT_PKT0_S8_ifPKiSA_SA_iPKfiiiPfSD_PS3_PT2_iSC_SC_
	.globl	_Z39paged_attention_ll4mi_QKV_mfma16_kernelIDF16_DF16_LN4vllm18Fp8KVCacheDataTypeE0EDF16_Li16ELi128ELi256ELb1ELi12EL8MFMAType0EEvPKT_PKT0_S8_ifPKiSA_SA_iPKfiiiPfSD_PS3_PT2_iSC_SC_
	.p2align	8
	.type	_Z39paged_attention_ll4mi_QKV_mfma16_kernelIDF16_DF16_LN4vllm18Fp8KVCacheDataTypeE0EDF16_Li16ELi128ELi256ELb1ELi12EL8MFMAType0EEvPKT_PKT0_S8_ifPKiSA_SA_iPKfiiiPfSD_PS3_PT2_iSC_SC_,@function
_Z39paged_attention_ll4mi_QKV_mfma16_kernelIDF16_DF16_LN4vllm18Fp8KVCacheDataTypeE0EDF16_Li16ELi128ELi256ELb1ELi12EL8MFMAType0EEvPKT_PKT0_S8_ifPKiSA_SA_iPKfiiiPfSD_PS3_PT2_iSC_SC_: ; @_Z39paged_attention_ll4mi_QKV_mfma16_kernelIDF16_DF16_LN4vllm18Fp8KVCacheDataTypeE0EDF16_Li16ELi128ELi256ELb1ELi12EL8MFMAType0EEvPKT_PKT0_S8_ifPKiSA_SA_iPKfiiiPfSD_PS3_PT2_iSC_SC_
; %bb.0:
	s_load_b64 s[4:5], s[0:1], 0x30
	s_mov_b32 s30, s13
	s_waitcnt lgkmcnt(0)
	s_cmp_lg_u64 s[4:5], 0
	s_cselect_b32 s8, -1, 0
	s_ashr_i32 s31, s13, 31
	s_cmp_eq_u64 s[4:5], 0
	s_cbranch_scc1 .LBB261_3
; %bb.1:
	s_lshl_b64 s[2:3], s[30:31], 2
	s_delay_alu instid0(SALU_CYCLE_1) | instskip(SKIP_4) | instid1(SALU_CYCLE_1)
	s_add_u32 s2, s4, s2
	s_addc_u32 s3, s5, s3
	s_load_b64 s[2:3], s[2:3], 0x0
	s_waitcnt lgkmcnt(0)
	s_sub_i32 s2, s3, s2
	s_cmp_eq_u32 s2, 1
	s_cselect_b32 s2, -1, 0
	s_delay_alu instid0(SALU_CYCLE_1)
	s_and_not1_b32 vcc_lo, exec_lo, s2
	s_cbranch_vccz .LBB261_4
.LBB261_2:
	s_endpgm
.LBB261_3:
.LBB261_4:
	s_load_b64 s[2:3], s[0:1], 0x28
	s_lshl_b64 s[6:7], s[30:31], 2
	s_waitcnt lgkmcnt(0)
	s_add_u32 s2, s2, s6
	s_addc_u32 s3, s3, s7
	s_lshl_b32 s29, s14, 8
	s_load_b32 s28, s[2:3], 0x0
	s_waitcnt lgkmcnt(0)
	s_cmp_ge_i32 s29, s28
	s_cbranch_scc1 .LBB261_2
; %bb.5:
	s_clause 0x1
	s_load_b128 s[20:23], s[0:1], 0x8
	s_load_b64 s[2:3], s[0:1], 0x20
	s_and_not1_b32 vcc_lo, exec_lo, s8
	s_cbranch_vccnz .LBB261_7
; %bb.6:
	s_add_u32 s4, s4, s6
	s_addc_u32 s5, s5, s7
	s_load_b32 s5, s[4:5], 0x0
	s_branch .LBB261_8
.LBB261_7:
	s_mov_b32 s5, s30
.LBB261_8:
	s_load_b128 s[16:19], s[0:1], 0x48
	v_and_b32_e32 v140, 15, v0
	v_lshrrev_b32_e32 v141, 5, v0
	v_and_b32_e32 v142, 31, v0
	v_and_b32_e32 v139, 1, v0
	v_bfe_u32 v138, v0, 4, 1
	v_lshlrev_b32_e32 v1, 3, v140
	s_mul_i32 s31, s15, 12
	s_mov_b32 s4, exec_lo
	s_delay_alu instid0(VALU_DEP_1)
	v_lshlrev_b32_e32 v137, 1, v1
	v_cmpx_gt_u32_e32 0xc0, v0
	s_cbranch_execz .LBB261_10
; %bb.9:
	s_load_b64 s[6:7], s[0:1], 0x0
	v_lshl_or_b32 v5, v141, 1, v138
	s_waitcnt lgkmcnt(0)
	s_mul_hi_i32 s9, s5, s16
	s_mul_i32 s8, s5, s16
	v_lshlrev_b32_e32 v6, 10, v140
	s_lshl_b64 s[8:9], s[8:9], 1
	v_add_lshl_u32 v1, v5, s31, 7
	v_lshlrev_b32_e32 v5, 6, v5
	v_lshlrev_b32_e32 v7, 10, v139
	v_and_b32_e32 v6, 0x3800, v6
	s_delay_alu instid0(VALU_DEP_4) | instskip(NEXT) | instid1(VALU_DEP_2)
	v_ashrrev_i32_e32 v2, 31, v1
	v_or3_b32 v5, v6, v7, v5
	s_delay_alu instid0(VALU_DEP_2) | instskip(SKIP_2) | instid1(VALU_DEP_1)
	v_lshlrev_b64 v[1:2], 1, v[1:2]
	s_add_u32 s5, s6, s8
	s_addc_u32 s6, s7, s9
	v_add_co_u32 v1, vcc_lo, s5, v1
	s_delay_alu instid0(VALU_DEP_2) | instskip(NEXT) | instid1(VALU_DEP_2)
	v_add_co_ci_u32_e32 v2, vcc_lo, s6, v2, vcc_lo
	v_add_co_u32 v1, vcc_lo, v1, v137
	s_delay_alu instid0(VALU_DEP_2)
	v_add_co_ci_u32_e32 v2, vcc_lo, 0, v2, vcc_lo
	global_load_b128 v[1:4], v[1:2], off
	s_waitcnt vmcnt(0)
	ds_store_b128 v5, v[1:4]
.LBB261_10:
	s_or_b32 exec_lo, exec_lo, s4
	v_and_b32_e32 v1, 0xef, v0
	s_waitcnt lgkmcnt(0)
	s_add_i32 s5, s28, 15
	s_clause 0x1
	s_load_b32 s4, s[0:1], 0x38
	s_load_b32 s33, s[0:1], 0x98
	s_ashr_i32 s6, s5, 31
	v_add_nc_u32_e32 v1, s29, v1
	s_lshr_b32 s6, s6, 28
	s_load_b32 s34, s[0:1], 0x1c
	s_add_i32 s5, s5, s6
	s_waitcnt lgkmcnt(0)
	v_ashrrev_i32_e32 v2, 31, v1
	v_cmp_gt_i32_e32 vcc_lo, s28, v1
	s_ashr_i32 s16, s5, 4
	s_barrier
	s_add_i32 s16, s16, -1
	v_lshrrev_b32_e32 v3, 28, v2
	v_or_b32_e32 v2, 16, v1
	buffer_gl0_inv
	v_add_nc_u32_e32 v105, -12, v140
	v_lshlrev_b32_e32 v106, 5, v140
	v_add_nc_u32_e32 v4, v1, v3
	v_add_nc_u32_e32 v3, v2, v3
	s_mul_i32 s4, s30, s4
	s_delay_alu instid0(SALU_CYCLE_1) | instskip(NEXT) | instid1(VALU_DEP_2)
	s_ashr_i32 s5, s4, 31
	v_ashrrev_i32_e32 v4, 4, v4
	s_delay_alu instid0(VALU_DEP_2)
	v_ashrrev_i32_e32 v3, 4, v3
	s_lshl_b64 s[4:5], s[4:5], 2
	v_lshl_or_b32 v125, v141, 9, v106
	s_add_u32 s35, s2, s4
	v_cndmask_b32_e32 v1, s16, v4, vcc_lo
	v_cmp_gt_i32_e32 vcc_lo, s28, v2
	s_addc_u32 s36, s3, s5
	s_mul_i32 s2, s15, s18
	s_delay_alu instid0(VALU_DEP_2) | instskip(SKIP_2) | instid1(SALU_CYCLE_1)
	v_ashrrev_i32_e32 v2, 31, v1
	v_cndmask_b32_e32 v3, s16, v3, vcc_lo
	s_ashr_i32 s3, s2, 31
	s_lshl_b64 s[2:3], s[2:3], 1
	s_delay_alu instid0(VALU_DEP_2) | instskip(NEXT) | instid1(VALU_DEP_2)
	v_lshlrev_b64 v[1:2], 2, v[1:2]
	v_ashrrev_i32_e32 v4, 31, v3
	s_add_u32 s24, s20, s2
	s_addc_u32 s25, s21, s3
	s_lshl_b32 s4, s14, 4
	s_delay_alu instid0(VALU_DEP_1) | instskip(SKIP_3) | instid1(VALU_DEP_3)
	v_lshlrev_b64 v[3:4], 2, v[3:4]
	v_add_co_u32 v1, vcc_lo, s35, v1
	v_add_co_ci_u32_e32 v2, vcc_lo, s36, v2, vcc_lo
	s_ashr_i32 s5, s4, 31
	v_add_co_u32 v3, vcc_lo, s35, v3
	s_delay_alu instid0(VALU_DEP_4)
	v_add_co_ci_u32_e32 v4, vcc_lo, s36, v4, vcc_lo
	s_lshl_b64 s[4:5], s[4:5], 2
	s_clause 0x1
	global_load_b32 v5, v[1:2], off
	global_load_b32 v6, v[3:4], off
	s_add_u32 s4, s35, s4
	s_addc_u32 s5, s36, s5
	s_or_b32 s6, s29, 16
	v_lshlrev_b32_e32 v3, 4, v0
	s_ashr_i32 s7, s6, 4
	s_cmp_lt_i32 s6, s28
	s_cselect_b32 s6, s7, s16
	s_delay_alu instid0(SALU_CYCLE_1) | instskip(NEXT) | instid1(SALU_CYCLE_1)
	s_ashr_i32 s7, s6, 31
	s_lshl_b64 s[6:7], s[6:7], 2
	s_delay_alu instid0(SALU_CYCLE_1) | instskip(SKIP_2) | instid1(SALU_CYCLE_1)
	s_add_u32 s6, s35, s6
	s_addc_u32 s7, s36, s7
	s_or_b32 s8, s29, 32
	s_ashr_i32 s9, s8, 4
	s_cmp_lt_i32 s8, s28
	s_cselect_b32 s8, s9, s16
	s_delay_alu instid0(SALU_CYCLE_1) | instskip(NEXT) | instid1(SALU_CYCLE_1)
	s_ashr_i32 s9, s8, 31
	s_lshl_b64 s[8:9], s[8:9], 2
	s_delay_alu instid0(SALU_CYCLE_1) | instskip(SKIP_2) | instid1(SALU_CYCLE_1)
	s_add_u32 s8, s35, s8
	s_addc_u32 s9, s36, s9
	s_or_b32 s10, s29, 48
	;; [unrolled: 10-line block ×4, first 2 shown]
	s_ashr_i32 s13, s12, 4
	s_cmp_lt_i32 s12, s28
	s_cselect_b32 s12, s13, s16
	s_delay_alu instid0(SALU_CYCLE_1) | instskip(NEXT) | instid1(SALU_CYCLE_1)
	s_ashr_i32 s13, s12, 31
	s_lshl_b64 s[12:13], s[12:13], 2
	s_delay_alu instid0(SALU_CYCLE_1)
	s_add_u32 s20, s35, s12
	s_addc_u32 s21, s36, s13
	s_clause 0x5
	s_load_b32 s37, s[4:5], 0x0
	s_load_b32 s27, s[6:7], 0x0
	;; [unrolled: 1-line block ×6, first 2 shown]
	s_waitcnt vmcnt(1)
	v_mad_i64_i32 v[1:2], null, v5, s17, 0
	v_and_b32_e32 v5, 0xf0, v3
	s_waitcnt vmcnt(0)
	v_mad_i64_i32 v[3:4], null, v6, s17, 0
	s_delay_alu instid0(VALU_DEP_2) | instskip(NEXT) | instid1(VALU_DEP_4)
	v_add_co_u32 v5, s4, s24, v5
	v_lshlrev_b64 v[1:2], 1, v[1:2]
	v_add_co_ci_u32_e64 v6, null, s25, 0, s4
	s_delay_alu instid0(VALU_DEP_4) | instskip(SKIP_1) | instid1(VALU_DEP_3)
	v_lshlrev_b64 v[3:4], 1, v[3:4]
	s_or_b32 s4, s29, 0x60
	v_add_co_u32 v121, vcc_lo, v5, v1
	s_delay_alu instid0(VALU_DEP_3) | instskip(NEXT) | instid1(VALU_DEP_3)
	v_add_co_ci_u32_e32 v122, vcc_lo, v6, v2, vcc_lo
	v_add_co_u32 v123, vcc_lo, v5, v3
	s_delay_alu instid0(VALU_DEP_4)
	v_add_co_ci_u32_e32 v124, vcc_lo, v6, v4, vcc_lo
	s_clause 0x19
	global_load_b128 v[89:92], v[121:122], off
	global_load_b128 v[93:96], v[121:122], off offset:256
	global_load_b128 v[97:100], v[123:124], off
	global_load_b128 v[101:104], v[123:124], off offset:256
	global_load_b128 v[81:84], v[121:122], off offset:512
	;; [unrolled: 1-line block ×23, first 2 shown]
	s_ashr_i32 s5, s4, 4
	s_cmp_lt_i32 s4, s28
	v_cmp_gt_u32_e32 vcc_lo, 12, v140
	s_cselect_b32 s4, s5, s16
	s_delay_alu instid0(SALU_CYCLE_1) | instskip(NEXT) | instid1(SALU_CYCLE_1)
	s_ashr_i32 s5, s4, 31
	s_lshl_b64 s[4:5], s[4:5], 2
	v_cndmask_b32_e32 v105, v105, v140, vcc_lo
	s_add_u32 s18, s35, s4
	s_addc_u32 s19, s36, s5
	s_or_b32 s4, s29, 0x70
	s_delay_alu instid0(SALU_CYCLE_1)
	s_ashr_i32 s5, s4, 4
	s_cmp_lt_i32 s4, s28
	v_lshlrev_b32_e32 v215, 6, v105
	s_cselect_b32 s6, s5, s16
	ds_load_b128 v[105:108], v215
	ds_load_b128 v[109:112], v215 offset:1024
	s_ashr_i32 s7, s6, 31
	ds_load_b128 v[113:116], v215 offset:2048
	ds_load_b128 v[117:120], v215 offset:3072
	ds_load_b128 v[143:146], v215 offset:4096
	ds_load_b128 v[147:150], v215 offset:5120
	ds_load_b128 v[151:154], v215 offset:6144
	ds_load_b128 v[155:158], v215 offset:7168
	ds_load_b128 v[159:162], v215 offset:8192
	ds_load_b128 v[163:166], v215 offset:9216
	s_clause 0x1
	global_load_b128 v[167:170], v[123:124], off offset:3072
	global_load_b128 v[171:174], v[123:124], off offset:3328
	s_lshl_b64 s[6:7], s[6:7], 2
	s_mov_b32 s4, 0
	s_add_u32 s20, s35, s6
	s_addc_u32 s21, s36, s7
	s_clause 0x1
	s_load_b32 s41, s[18:19], 0x0
	s_load_b32 s46, s[20:21], 0x0
	s_clause 0x3
	global_load_b128 v[175:178], v[121:122], off offset:3584
	global_load_b128 v[179:182], v[121:122], off offset:3840
	;; [unrolled: 1-line block ×4, first 2 shown]
	s_or_b32 s7, s29, 0x80
	s_mov_b32 s5, s4
	s_ashr_i32 s8, s7, 4
	s_cmp_lt_i32 s7, s28
	s_mov_b32 s6, s4
	s_cselect_b32 s10, s8, s16
	s_mov_b32 s7, s4
	s_ashr_i32 s11, s10, 31
	s_mov_b32 s8, s4
	s_lshl_b64 s[24:25], s[10:11], 2
	s_mov_b32 s9, s4
	s_add_u32 s24, s35, s24
	s_addc_u32 s25, s36, s25
	s_or_b32 s11, s29, 0x90
	s_mov_b32 s10, s4
	s_ashr_i32 s38, s11, 4
	s_cmp_lt_i32 s11, s28
	s_mov_b32 s11, s4
	s_cselect_b32 s38, s38, s16
	v_mov_b32_e32 v136, s11
	s_ashr_i32 s39, s38, 31
	v_dual_mov_b32 v135, s10 :: v_dual_mov_b32 v134, s9
	v_dual_mov_b32 v133, s8 :: v_dual_mov_b32 v132, s7
	;; [unrolled: 1-line block ×3, first 2 shown]
	v_mov_b32_e32 v129, s4
	s_lshl_b64 s[4:5], s[38:39], 2
	s_waitcnt lgkmcnt(0)
	s_mul_hi_i32 s7, s27, s17
	s_add_u32 s38, s35, s4
	s_addc_u32 s39, s36, s5
	s_or_b32 s4, s29, 0xa0
	s_load_b32 s40, s[38:39], 0x0
	s_ashr_i32 s5, s4, 4
	s_cmp_lt_i32 s4, s28
	s_cselect_b32 s4, s5, s16
	s_delay_alu instid0(SALU_CYCLE_1) | instskip(NEXT) | instid1(SALU_CYCLE_1)
	s_ashr_i32 s5, s4, 31
	s_lshl_b64 s[4:5], s[4:5], 2
	s_delay_alu instid0(SALU_CYCLE_1)
	s_add_u32 s42, s35, s4
	s_addc_u32 s43, s36, s5
	s_or_b32 s4, s29, 0xb0
	s_load_b32 s39, s[42:43], 0x0
	s_ashr_i32 s6, s4, 4
	s_cmp_lt_i32 s4, s28
	s_mul_hi_i32 s5, s37, s17
	s_cselect_b32 s8, s6, s16
	s_mul_i32 s6, s27, s17
	s_ashr_i32 s9, s8, 31
	s_mul_i32 s4, s37, s17
	s_lshl_b64 s[10:11], s[8:9], 2
	s_mul_hi_i32 s9, s26, s17
	s_add_u32 s44, s35, s10
	s_addc_u32 s45, s36, s11
	s_or_b32 s10, s29, 0xc0
	s_mul_i32 s8, s26, s17
	s_ashr_i32 s26, s10, 4
	s_cmp_lt_i32 s10, s28
	s_mul_hi_i32 s11, s13, s17
	s_cselect_b32 s26, s26, s16
	s_mul_i32 s10, s13, s17
	s_ashr_i32 s27, s26, 31
	s_mul_hi_i32 s13, s12, s17
	s_lshl_b64 s[26:27], s[26:27], 2
	s_mul_i32 s12, s12, s17
	s_add_u32 s20, s35, s26
	s_addc_u32 s21, s36, s27
	s_or_b32 s18, s29, 0xd0
	s_load_b32 s26, s[24:25], 0x0
	s_ashr_i32 s19, s18, 4
	s_cmp_lt_i32 s18, s28
	s_mul_i32 s18, s15, s17
	s_cselect_b32 s24, s19, s16
	s_mul_hi_i32 s19, s15, s17
	s_ashr_i32 s25, s24, 31
	s_delay_alu instid0(SALU_CYCLE_1) | instskip(NEXT) | instid1(SALU_CYCLE_1)
	s_lshl_b64 s[24:25], s[24:25], 2
	s_add_u32 s24, s35, s24
	s_addc_u32 s25, s36, s25
	s_or_b32 s42, s29, 0xe0
	s_clause 0x2
	s_load_b32 s38, s[44:45], 0x0
	s_load_b32 s37, s[20:21], 0x0
	;; [unrolled: 1-line block ×3, first 2 shown]
	s_ashr_i32 s43, s42, 4
	s_cmp_lt_i32 s42, s28
	s_mul_hi_i32 s25, s46, s17
	s_cselect_b32 s42, s43, s16
	s_mul_i32 s24, s46, s17
	s_ashr_i32 s43, s42, 31
	s_mul_hi_i32 s21, s41, s17
	s_lshl_b64 s[42:43], s[42:43], 2
	s_mul_i32 s20, s41, s17
	s_add_u32 s42, s35, s42
	s_addc_u32 s43, s36, s43
	s_or_b32 s46, s29, 0xf0
	s_waitcnt lgkmcnt(0)
	s_mul_hi_i32 s27, s26, s17
	s_ashr_i32 s47, s46, 4
	s_cmp_lt_i32 s46, s28
	s_mul_i32 s26, s26, s17
	s_cselect_b32 s46, s47, s16
	s_mul_hi_i32 s41, s40, s17
	s_ashr_i32 s47, s46, 31
	s_mul_hi_i32 s51, s15, s17
	s_lshl_b64 s[46:47], s[46:47], 2
	s_mul_i32 s50, s15, s17
	s_add_u32 s46, s35, s46
	s_addc_u32 s47, s36, s47
	s_add_u32 s15, s22, s2
	s_addc_u32 s16, s23, s3
	v_add_co_u32 v216, s15, s15, v125
	s_delay_alu instid0(VALU_DEP_1) | instskip(SKIP_2) | instid1(VALU_DEP_2)
	v_add_co_ci_u32_e64 v217, null, s16, 0, s15
	s_lshl_b64 s[2:3], s[4:5], 1
	s_lshl_b64 s[4:5], s[6:7], 1
	v_add_co_u32 v125, vcc_lo, v216, s2
	s_delay_alu instid0(VALU_DEP_2)
	v_add_co_ci_u32_e32 v126, vcc_lo, s3, v217, vcc_lo
	v_add_co_u32 v199, vcc_lo, v216, s4
	s_lshl_b64 s[6:7], s[8:9], 1
	v_add_co_ci_u32_e32 v200, vcc_lo, s5, v217, vcc_lo
	s_lshl_b64 s[8:9], s[10:11], 1
	s_lshl_b64 s[10:11], s[12:13], 1
	;; [unrolled: 1-line block ×6, first 2 shown]
	s_mul_i32 s40, s40, s17
	s_mul_hi_i32 s45, s39, s17
	s_lshl_b64 s[24:25], s[40:41], 1
	s_mul_i32 s44, s39, s17
	s_mul_hi_i32 s39, s38, s17
	s_lshl_b64 s[26:27], s[44:45], 1
	s_mul_i32 s38, s38, s17
	s_mul_hi_i32 s49, s37, s17
	s_mul_i32 s48, s37, s17
	s_lshl_b64 s[36:37], s[38:39], 1
	s_lshl_b64 s[38:39], s[48:49], 1
	s_clause 0x1
	s_load_b32 s15, s[42:43], 0x0
	s_load_b32 s16, s[46:47], 0x0
	s_lshl_b64 s[40:41], s[50:51], 1
	s_waitcnt lgkmcnt(0)
	s_mul_hi_i32 s3, s15, s17
	s_mul_i32 s2, s15, s17
	s_mul_hi_i32 s5, s16, s17
	s_lshl_b64 s[2:3], s[2:3], 1
	s_mul_i32 s4, s16, s17
	s_waitcnt vmcnt(30)
	v_wmma_f32_16x16x16_f16 v[191:198], v[89:96], v[105:112], v[129:136]
	v_add_co_u32 v89, vcc_lo, v216, s6
	v_add_co_ci_u32_e32 v90, vcc_lo, s7, v217, vcc_lo
	v_add_co_u32 v91, vcc_lo, v216, s8
	v_add_co_ci_u32_e32 v92, vcc_lo, s9, v217, vcc_lo
	;; [unrolled: 2-line block ×5, first 2 shown]
	v_add_co_u32 v205, vcc_lo, v216, s20
	s_waitcnt vmcnt(28)
	v_wmma_f32_16x16x16_f16 v[129:136], v[97:104], v[105:112], v[129:136]
	v_add_co_ci_u32_e32 v206, vcc_lo, s21, v217, vcc_lo
	v_add_co_u32 v207, vcc_lo, v216, s22
	v_add_co_ci_u32_e32 v208, vcc_lo, s23, v217, vcc_lo
	v_add_co_u32 v209, vcc_lo, v216, s24
	s_waitcnt vmcnt(26)
	v_wmma_f32_16x16x16_f16 v[191:198], v[81:88], v[113:120], v[191:198]
	s_waitcnt vmcnt(24)
	v_wmma_f32_16x16x16_f16 v[129:136], v[73:80], v[113:120], v[129:136]
	v_add_co_ci_u32_e32 v210, vcc_lo, s25, v217, vcc_lo
	v_add_co_u32 v211, vcc_lo, v216, s26
	v_add_co_ci_u32_e32 v212, vcc_lo, s27, v217, vcc_lo
	v_add_co_u32 v213, vcc_lo, v216, s36
	s_waitcnt vmcnt(22)
	v_wmma_f32_16x16x16_f16 v[191:198], v[65:72], v[143:150], v[191:198]
	s_waitcnt vmcnt(20)
	v_wmma_f32_16x16x16_f16 v[129:136], v[57:64], v[143:150], v[129:136]
	v_add_co_ci_u32_e32 v214, vcc_lo, s37, v217, vcc_lo
	v_add_co_u32 v143, vcc_lo, v216, s38
	s_waitcnt vmcnt(18)
	v_wmma_f32_16x16x16_f16 v[191:198], v[49:56], v[151:158], v[191:198]
	s_waitcnt vmcnt(16)
	v_wmma_f32_16x16x16_f16 v[129:136], v[25:32], v[151:158], v[129:136]
	v_add_co_ci_u32_e32 v144, vcc_lo, s39, v217, vcc_lo
	s_clause 0x15
	global_load_b128 v[121:124], v[125:126], off
	global_load_b128 v[125:128], v[125:126], off offset:16
	global_load_b128 v[113:116], v[199:200], off
	global_load_b128 v[117:120], v[199:200], off offset:16
	;; [unrolled: 2-line block ×11, first 2 shown]
	s_waitcnt vmcnt(36)
	v_wmma_f32_16x16x16_f16 v[191:198], v[1:8], v[159:166], v[191:198]
	s_clause 0x1
	global_load_b128 v[1:4], v[213:214], off
	global_load_b128 v[5:8], v[213:214], off offset:16
	s_waitcnt vmcnt(36)
	v_wmma_f32_16x16x16_f16 v[129:136], v[9:16], v[159:166], v[129:136]
	s_clause 0x1
	global_load_b128 v[9:12], v[143:144], off
	global_load_b128 v[13:16], v[143:144], off offset:16
	ds_load_b128 v[143:146], v215 offset:10240
	ds_load_b128 v[147:150], v215 offset:11264
	;; [unrolled: 1-line block ×4, first 2 shown]
	v_add_co_u32 v199, vcc_lo, v216, s40
	v_add_co_ci_u32_e32 v200, vcc_lo, s41, v217, vcc_lo
	v_add_co_u32 v159, vcc_lo, v216, s2
	v_add_co_ci_u32_e32 v160, vcc_lo, s3, v217, vcc_lo
	s_lshl_b64 s[2:3], s[4:5], 1
	s_delay_alu instid0(SALU_CYCLE_1)
	v_add_co_u32 v161, vcc_lo, v216, s2
	v_add_co_ci_u32_e32 v162, vcc_lo, s3, v217, vcc_lo
	s_waitcnt vmcnt(36) lgkmcnt(2)
	v_wmma_f32_16x16x16_f16 v[191:198], v[33:40], v[143:150], v[191:198]
	s_waitcnt vmcnt(34)
	v_wmma_f32_16x16x16_f16 v[129:136], v[41:48], v[143:150], v[129:136]
	s_clause 0x3
	global_load_b128 v[33:36], v[199:200], off
	global_load_b128 v[37:40], v[199:200], off offset:16
	global_load_b128 v[41:44], v[159:160], off
	global_load_b128 v[45:48], v[159:160], off offset:16
	v_and_b32_e32 v143, 0xe0, v0
	v_mbcnt_lo_u32_b32 v159, -1, 0
	s_waitcnt vmcnt(36) lgkmcnt(0)
	v_wmma_f32_16x16x16_f16 v[191:198], v[17:24], v[151:158], v[191:198]
	s_clause 0x1
	global_load_b128 v[17:20], v[161:162], off
	global_load_b128 v[21:24], v[161:162], off offset:16
	s_waitcnt vmcnt(36)
	v_wmma_f32_16x16x16_f16 v[129:136], v[167:174], v[151:158], v[129:136]
	v_add_nc_u32_e32 v160, s29, v143
	ds_load_b128 v[143:146], v215 offset:14336
	ds_load_b128 v[147:150], v215 offset:15360
	v_xor_b32_e32 v151, 16, v159
	s_waitcnt vmcnt(0) lgkmcnt(0)
	s_barrier
	v_or_b32_e32 v152, v160, v138
	buffer_gl0_inv
	v_cmp_gt_i32_e32 vcc_lo, 32, v151
	v_or_b32_e32 v153, 2, v152
	v_or_b32_e32 v154, 4, v152
	v_or_b32_e32 v155, 6, v152
	v_or_b32_e32 v156, 8, v152
	v_or_b32_e32 v157, 10, v152
	v_cmp_gt_i32_e64 s2, s28, v153
	v_cmp_gt_i32_e64 s3, s28, v154
	;; [unrolled: 1-line block ×3, first 2 shown]
	v_or_b32_e32 v158, 12, v152
	v_cmp_gt_i32_e64 s5, s28, v156
	v_cmp_gt_i32_e64 s6, s28, v157
	v_wmma_f32_16x16x16_f16 v[191:198], v[175:182], v[143:150], v[191:198]
	v_wmma_f32_16x16x16_f16 v[129:136], v[183:190], v[143:150], v[129:136]
	v_cndmask_b32_e32 v151, v159, v151, vcc_lo
	v_cmp_gt_i32_e32 vcc_lo, s28, v152
	v_or_b32_e32 v159, 14, v152
	v_dual_mul_f32 v149, s34, v192 :: v_dual_mul_f32 v150, s34, v191
	v_dual_mul_f32 v147, s34, v194 :: v_dual_mul_f32 v148, s34, v193
	v_mul_f32_e32 v145, s34, v196
	s_delay_alu instid0(VALU_DEP_3) | instskip(NEXT) | instid1(VALU_DEP_4)
	v_cndmask_b32_e64 v149, 0xff7fffff, v149, s2
	v_cndmask_b32_e32 v150, 0xff7fffff, v150, vcc_lo
	v_mul_f32_e32 v146, s34, v195
	v_cndmask_b32_e64 v148, 0xff7fffff, v148, s3
	v_cndmask_b32_e64 v147, 0xff7fffff, v147, s4
	v_or_b32_e32 v160, 16, v152
	v_max3_f32 v149, v150, 0xff7fffff, v149
	v_or_b32_e32 v161, 18, v152
	v_dual_mul_f32 v143, s34, v198 :: v_dual_mul_f32 v144, s34, v197
	v_cndmask_b32_e64 v146, 0xff7fffff, v146, s5
	v_cndmask_b32_e64 v145, 0xff7fffff, v145, s6
	v_max3_f32 v147, v149, v148, v147
	v_cmp_gt_i32_e64 s7, s28, v158
	v_cmp_gt_i32_e64 s8, s28, v159
	v_or_b32_e32 v162, 20, v152
	v_or_b32_e32 v163, 22, v152
	v_dual_mul_f32 v174, s34, v130 :: v_dual_mul_f32 v175, s34, v129
	v_cndmask_b32_e64 v144, 0xff7fffff, v144, s7
	v_cndmask_b32_e64 v143, 0xff7fffff, v143, s8
	v_max3_f32 v145, v147, v146, v145
	v_cmp_gt_i32_e64 s9, s28, v160
	v_cmp_gt_i32_e64 s10, s28, v161
	v_or_b32_e32 v164, 24, v152
	;; [unrolled: 8-line block ×3, first 2 shown]
	v_or_b32_e32 v167, 30, v152
	v_dual_mul_f32 v170, s34, v134 :: v_dual_mul_f32 v171, s34, v133
	v_cndmask_b32_e64 v144, 0xff7fffff, v173, s11
	v_cndmask_b32_e64 v145, 0xff7fffff, v172, s12
	v_max3_f32 v143, v143, v146, v147
	v_cmp_gt_i32_e64 s13, s28, v164
	v_cmp_gt_i32_e64 s15, s28, v165
	v_dual_mul_f32 v168, s34, v136 :: v_dual_mul_f32 v169, s34, v135
	s_delay_alu instid0(VALU_DEP_4) | instskip(NEXT) | instid1(VALU_DEP_4)
	v_max3_f32 v143, v143, v144, v145
	v_cndmask_b32_e64 v146, 0xff7fffff, v171, s13
	s_delay_alu instid0(VALU_DEP_4) | instskip(SKIP_3) | instid1(VALU_DEP_4)
	v_cndmask_b32_e64 v147, 0xff7fffff, v170, s15
	v_cmp_gt_i32_e64 s16, s28, v166
	v_cmp_gt_i32_e64 s17, s28, v167
	v_lshlrev_b32_e32 v160, 2, v151
	v_max3_f32 v143, v143, v146, v147
	s_delay_alu instid0(VALU_DEP_4) | instskip(NEXT) | instid1(VALU_DEP_4)
	v_cndmask_b32_e64 v144, 0xff7fffff, v169, s16
	v_cndmask_b32_e64 v145, 0xff7fffff, v168, s17
	s_delay_alu instid0(VALU_DEP_1) | instskip(SKIP_3) | instid1(VALU_DEP_1)
	v_max3_f32 v143, v143, v144, v145
	ds_bpermute_b32 v144, v160, v143
	s_waitcnt lgkmcnt(0)
	v_max_f32_e32 v144, v144, v144
	v_max_f32_e32 v159, v143, v144
	s_delay_alu instid0(VALU_DEP_1) | instskip(SKIP_4) | instid1(VALU_DEP_4)
	v_fma_f32 v143, s34, v191, -v159
	v_fma_f32 v144, s34, v192, -v159
	;; [unrolled: 1-line block ×5, first 2 shown]
	v_dual_mul_f32 v143, 0x3fb8aa3b, v143 :: v_dual_mul_f32 v144, 0x3fb8aa3b, v144
	s_delay_alu instid0(VALU_DEP_4) | instskip(SKIP_2) | instid1(VALU_DEP_4)
	v_mul_f32_e32 v132, 0x3fb8aa3b, v132
	v_fma_f32 v134, s34, v134, -v159
	v_mul_f32_e32 v145, 0x3fb8aa3b, v145
	v_exp_f32_e32 v143, v143
	v_exp_f32_e32 v147, v144
	v_fma_f32 v148, s34, v195, -v159
	v_mul_f32_e32 v134, 0x3fb8aa3b, v134
	v_mul_f32_e32 v146, 0x3fb8aa3b, v146
	v_exp_f32_e32 v145, v145
	v_fma_f32 v149, s34, v196, -v159
	v_mul_f32_e32 v148, 0x3fb8aa3b, v148
	v_fma_f32 v151, s34, v197, -v159
	v_exp_f32_e32 v150, v146
	v_cndmask_b32_e32 v144, 0, v143, vcc_lo
	v_cndmask_b32_e64 v143, 0, v147, s2
	v_mul_f32_e32 v149, 0x3fb8aa3b, v149
	v_exp_f32_e32 v148, v148
	v_fma_f32 v152, s34, v198, -v159
	v_add_f32_e32 v147, 0, v144
	v_cndmask_b32_e64 v146, 0, v145, s3
	v_mul_f32_e32 v151, 0x3fb8aa3b, v151
	v_exp_f32_e32 v149, v149
	v_cndmask_b32_e64 v145, 0, v150, s4
	v_add_f32_e32 v147, v147, v143
	v_fma_f32 v129, s34, v129, -v159
	v_mul_f32_e32 v150, 0x3fb8aa3b, v152
	v_exp_f32_e32 v151, v151
	v_cndmask_b32_e64 v148, 0, v148, s5
	v_add_f32_e32 v147, v147, v146
	v_fma_f32 v130, s34, v130, -v159
	v_mul_f32_e32 v129, 0x3fb8aa3b, v129
	v_exp_f32_e32 v153, v150
	v_fma_f32 v131, s34, v131, -v159
	v_add_f32_e32 v152, v147, v145
	v_cndmask_b32_e64 v147, 0, v149, s6
	v_mul_f32_e32 v130, 0x3fb8aa3b, v130
	v_exp_f32_e32 v129, v129
	v_cndmask_b32_e64 v150, 0, v151, s7
	v_add_f32_e32 v149, v152, v148
	v_mul_f32_e32 v131, 0x3fb8aa3b, v131
	v_exp_f32_e32 v130, v130
	v_fma_f32 v133, s34, v133, -v159
	v_exp_f32_e32 v132, v132
	v_add_f32_e32 v151, v149, v147
	v_cndmask_b32_e64 v149, 0, v153, s8
	v_exp_f32_e32 v131, v131
	v_cndmask_b32_e64 v152, 0, v129, s9
	v_mul_f32_e32 v133, 0x3fb8aa3b, v133
	v_add_f32_e32 v151, v151, v150
	s_mov_b32 s2, exec_lo
	s_delay_alu instid0(VALU_DEP_2) | instskip(NEXT) | instid1(VALU_DEP_1)
	v_exp_f32_e32 v133, v133
	v_add_f32_e32 v129, v151, v149
	v_cndmask_b32_e64 v151, 0, v130, s10
	v_fma_f32 v130, s34, v135, -v159
	s_delay_alu instid0(TRANS32_DEP_2)
	v_cndmask_b32_e64 v154, 0, v131, s11
	v_exp_f32_e32 v131, v134
	v_add_f32_e32 v129, v129, v152
	v_cndmask_b32_e64 v153, 0, v132, s12
	v_mul_f32_e32 v130, 0x3fb8aa3b, v130
	v_fma_f32 v132, s34, v136, -v159
	v_cndmask_b32_e64 v156, 0, v133, s13
	v_add_f32_e32 v129, v129, v151
	s_delay_alu instid0(VALU_DEP_4) | instskip(NEXT) | instid1(VALU_DEP_3)
	v_exp_f32_e32 v130, v130
	v_mul_f32_e32 v132, 0x3fb8aa3b, v132
	s_delay_alu instid0(TRANS32_DEP_2) | instskip(NEXT) | instid1(VALU_DEP_3)
	v_cndmask_b32_e64 v155, 0, v131, s15
	v_add_f32_e32 v129, v129, v154
	s_delay_alu instid0(VALU_DEP_3) | instskip(NEXT) | instid1(VALU_DEP_1)
	v_exp_f32_e32 v131, v132
	v_add_f32_e32 v129, v129, v153
	s_waitcnt_depctr 0xfff
	v_cndmask_b32_e64 v158, 0, v130, s16
	v_add_f32_e32 v129, v129, v156
	v_cndmask_b32_e64 v157, 0, v131, s17
	s_delay_alu instid0(VALU_DEP_2) | instskip(NEXT) | instid1(VALU_DEP_1)
	v_add_f32_e32 v129, v129, v155
	v_add_f32_e32 v129, v129, v158
	s_delay_alu instid0(VALU_DEP_1)
	v_add_f32_e32 v129, v129, v157
	ds_bpermute_b32 v130, v160, v129
	v_cmpx_gt_u32_e32 16, v142
	s_cbranch_execz .LBB261_12
; %bb.11:
	v_mul_u32_u24_e32 v131, 0x44, v141
	s_delay_alu instid0(VALU_DEP_1) | instskip(SKIP_1) | instid1(VALU_DEP_1)
	v_lshl_add_u32 v131, v140, 2, v131
	s_waitcnt lgkmcnt(0)
	v_dual_add_f32 v129, v129, v130 :: v_dual_add_nc_u32 v130, 0x4000, v131
	ds_store_2addr_b32 v130, v159, v129 offset1:136
.LBB261_12:
	s_or_b32 exec_lo, exec_lo, s2
	v_lshlrev_b32_e32 v129, 2, v140
	s_load_b32 s34, s[0:1], 0x94
	s_waitcnt lgkmcnt(0)
	s_barrier
	buffer_gl0_inv
	v_add_nc_u32_e32 v135, 0x4000, v129
	v_cmp_eq_u32_e32 vcc_lo, 1, v141
	v_cmp_eq_u32_e64 s2, 2, v141
	v_cmp_eq_u32_e64 s3, 3, v141
	;; [unrolled: 1-line block ×3, first 2 shown]
	ds_load_2addr_b32 v[129:130], v135 offset1:17
	ds_load_2addr_b32 v[131:132], v135 offset0:34 offset1:51
	ds_load_2addr_b32 v[133:134], v135 offset0:68 offset1:85
	;; [unrolled: 1-line block ×3, first 2 shown]
	v_cmp_eq_u32_e64 s5, 5, v141
	v_cmp_eq_u32_e64 s6, 7, v141
	s_waitcnt lgkmcnt(3)
	v_max3_f32 v136, v129, 0xff7fffff, v130
	s_waitcnt lgkmcnt(2)
	s_delay_alu instid0(VALU_DEP_1) | instskip(SKIP_1) | instid1(VALU_DEP_1)
	v_max3_f32 v136, v136, v131, v132
	s_waitcnt lgkmcnt(1)
	v_max3_f32 v136, v136, v133, v134
	s_waitcnt lgkmcnt(0)
	s_delay_alu instid0(VALU_DEP_1) | instskip(NEXT) | instid1(VALU_DEP_1)
	v_max3_f32 v136, v136, v159, v160
	v_sub_f32_e32 v142, v130, v136
	ds_load_2addr_b32 v[161:162], v135 offset0:136 offset1:153
	v_sub_f32_e32 v164, v132, v136
	v_mul_f32_e32 v142, 0x3fb8aa3b, v142
	s_delay_alu instid0(VALU_DEP_2) | instskip(NEXT) | instid1(VALU_DEP_2)
	v_mul_f32_e32 v164, 0x3fb8aa3b, v164
	v_exp_f32_e32 v166, v142
	v_sub_f32_e32 v129, v129, v136
	s_delay_alu instid0(VALU_DEP_2) | instskip(NEXT) | instid1(VALU_DEP_1)
	v_exp_f32_e32 v164, v164
	v_mul_f32_e32 v163, 0x3fb8aa3b, v129
	ds_load_2addr_b32 v[129:130], v135 offset0:170 offset1:187
	v_exp_f32_e32 v163, v163
	s_waitcnt lgkmcnt(1)
	s_waitcnt_depctr 0xfff
	v_fma_f32 v142, v163, v161, 0
	v_sub_f32_e32 v161, v134, v136
	s_delay_alu instid0(VALU_DEP_2) | instskip(NEXT) | instid1(VALU_DEP_1)
	v_dual_fmac_f32 v142, v166, v162 :: v_dual_sub_f32 v131, v131, v136
	v_mul_f32_e32 v165, 0x3fb8aa3b, v131
	ds_load_2addr_b32 v[131:132], v135 offset0:204 offset1:221
	v_exp_f32_e32 v165, v165
	s_waitcnt lgkmcnt(1)
	s_waitcnt_depctr 0xfff
	v_fmac_f32_e32 v142, v165, v129
	v_sub_f32_e32 v133, v133, v136
	v_sub_f32_e32 v129, v160, v136
	s_delay_alu instid0(VALU_DEP_2) | instskip(NEXT) | instid1(VALU_DEP_2)
	v_dual_fmac_f32 v142, v164, v130 :: v_dual_mul_f32 v167, 0x3fb8aa3b, v133
	v_mul_f32_e32 v129, 0x3fb8aa3b, v129
	ds_load_2addr_b32 v[133:134], v135 offset0:238 offset1:255
	v_cndmask_b32_e32 v130, v163, v166, vcc_lo
	s_waitcnt lgkmcnt(0)
	s_barrier
	v_exp_f32_e32 v162, v129
	v_sub_f32_e32 v135, v159, v136
	v_mul_f32_e32 v159, 0x3fb8aa3b, v161
	v_exp_f32_e32 v161, v167
	buffer_gl0_inv
	v_exp_f32_e32 v159, v159
	v_fmac_f32_e32 v142, v161, v131
	s_waitcnt_depctr 0xfff
	v_dual_mul_f32 v135, 0x3fb8aa3b, v135 :: v_dual_fmac_f32 v142, v159, v132
	s_delay_alu instid0(VALU_DEP_1) | instskip(SKIP_2) | instid1(VALU_DEP_1)
	v_exp_f32_e32 v160, v135
	s_waitcnt_depctr 0xfff
	v_dual_fmac_f32 v142, v160, v133 :: v_dual_lshlrev_b32 v133, 6, v140
	v_fmac_f32_e32 v142, v162, v134
	s_delay_alu instid0(VALU_DEP_2) | instskip(NEXT) | instid1(VALU_DEP_2)
	v_lshl_or_b32 v135, v141, 11, v133
	v_add_f32_e32 v134, 0x358637bd, v142
	s_delay_alu instid0(VALU_DEP_1) | instskip(SKIP_1) | instid1(VALU_DEP_2)
	v_div_scale_f32 v167, null, v134, v134, 1.0
	v_div_scale_f32 v163, vcc_lo, 1.0, v134, 1.0
	v_rcp_f32_e32 v168, v167
	s_waitcnt_depctr 0xfff
	v_fma_f32 v129, -v167, v168, 1.0
	s_delay_alu instid0(VALU_DEP_1) | instskip(SKIP_2) | instid1(VALU_DEP_2)
	v_fmac_f32_e32 v168, v129, v168
	v_cndmask_b32_e64 v129, v130, v165, s2
	v_cmp_eq_u32_e64 s2, 6, v141
	v_cndmask_b32_e64 v130, v129, v164, s3
	v_lshlrev_b32_e32 v129, 2, v138
	v_mul_f32_e32 v165, v163, v168
	s_delay_alu instid0(VALU_DEP_3) | instskip(NEXT) | instid1(VALU_DEP_3)
	v_cndmask_b32_e64 v161, v130, v161, s4
	v_or_b32_e32 v130, 1, v129
	s_delay_alu instid0(VALU_DEP_3)
	v_fma_f32 v131, -v167, v165, v163
	v_or_b32_e32 v132, 2, v129
	v_cmp_eq_u32_e64 s3, 1, v129
	v_cndmask_b32_e64 v141, v161, v159, s5
	v_cmp_eq_u32_e64 s8, 1, v130
	v_fmac_f32_e32 v165, v131, v168
	v_or_b32_e32 v131, 3, v129
	v_cmp_eq_u32_e64 s9, 1, v132
	v_cndmask_b32_e64 v141, v141, v160, s2
	v_cmp_eq_u32_e64 s4, 2, v129
	v_fma_f32 v159, -v167, v165, v163
	v_cmp_eq_u32_e64 s10, 1, v131
	v_cmp_eq_u32_e64 s15, 2, v131
	v_cndmask_b32_e64 v141, v141, v162, s6
	v_cmp_eq_u32_e64 s11, 2, v130
	v_div_fmas_f32 v159, v159, v168, v165
	v_cmp_eq_u32_e64 s17, 3, v131
	v_cmp_eq_u32_e32 vcc_lo, 3, v129
	v_cmp_eq_u32_e64 s12, 3, v130
	v_cmp_eq_u32_e64 s13, 2, v132
	v_div_fixup_f32 v159, v159, v134, 1.0
	v_lshl_or_b32 v134, v138, 4, v135
	v_cmp_eq_u32_e64 s21, 4, v131
	v_cmp_eq_u32_e64 s2, 4, v129
	;; [unrolled: 1-line block ×3, first 2 shown]
	v_mul_f32_e32 v141, v141, v159
	v_cmp_eq_u32_e64 s18, 4, v130
	v_cmp_eq_u32_e64 s23, 5, v131
	;; [unrolled: 1-line block ×4, first 2 shown]
	v_fma_mixlo_f16 v159, v141, v144, 0
	v_fma_mixlo_f16 v160, v141, v146, 0
	;; [unrolled: 1-line block ×8, first 2 shown]
	v_fma_mixhi_f16 v159, v141, v143, 0
	v_fma_mixhi_f16 v160, v141, v145, 0
	;; [unrolled: 1-line block ×8, first 2 shown]
	ds_store_b128 v134, v[159:162]
	ds_store_b128 v134, v[163:166] offset:1024
	s_waitcnt lgkmcnt(0)
	s_barrier
	buffer_gl0_inv
	ds_load_b128 v[143:146], v135
	ds_load_b128 v[147:150], v135 offset:16
	ds_load_b128 v[151:154], v135 offset:1024
	ds_load_b128 v[155:158], v135 offset:1040
	v_cmp_eq_u32_e64 s20, 4, v132
	v_cmp_eq_u32_e64 s26, 6, v131
	;; [unrolled: 1-line block ×10, first 2 shown]
	s_waitcnt lgkmcnt(3)
	v_lshrrev_b32_e32 v141, 16, v143
	s_waitcnt lgkmcnt(2)
	v_lshrrev_b32_e32 v162, 16, v147
	v_lshrrev_b32_e32 v159, 16, v144
	;; [unrolled: 1-line block ×3, first 2 shown]
	s_waitcnt lgkmcnt(1)
	v_lshrrev_b32_e32 v166, 16, v151
	v_cndmask_b32_e64 v174, v143, v141, s3
	v_cndmask_b32_e64 v176, v143, v141, s8
	;; [unrolled: 1-line block ×5, first 2 shown]
	s_waitcnt lgkmcnt(0)
	v_lshrrev_b32_e32 v170, 16, v155
	v_cndmask_b32_e64 v175, v147, v162, s3
	v_cndmask_b32_e64 v177, v147, v162, s8
	;; [unrolled: 1-line block ×19, first 2 shown]
	v_lshrrev_b32_e32 v160, 16, v145
	v_lshrrev_b32_e32 v164, 16, v149
	;; [unrolled: 1-line block ×4, first 2 shown]
	v_cndmask_b32_e64 v176, v178, v144, s13
	v_cndmask_b32_e64 v177, v179, v148, s13
	;; [unrolled: 1-line block ×8, first 2 shown]
	v_cndmask_b32_e32 v155, v166, v159, vcc_lo
	v_cndmask_b32_e32 v166, v170, v163, vcc_lo
	v_cndmask_b32_e64 v170, v174, v159, s12
	v_cndmask_b32_e64 v174, v175, v163, s12
	;; [unrolled: 1-line block ×6, first 2 shown]
	v_cndmask_b32_e32 v144, v144, v167, vcc_lo
	v_cndmask_b32_e32 v147, v147, v171, vcc_lo
	v_cndmask_b32_e64 v148, v148, v167, s12
	v_cndmask_b32_e64 v155, v155, v145, s2
	;; [unrolled: 1-line block ×7, first 2 shown]
	v_lshrrev_b32_e32 v161, 16, v146
	v_lshrrev_b32_e32 v165, 16, v150
	;; [unrolled: 1-line block ×4, first 2 shown]
	v_cndmask_b32_e64 v170, v175, v145, s20
	v_cndmask_b32_e64 v174, v176, v149, s20
	v_cndmask_b32_e64 v144, v144, v153, s2
	v_cndmask_b32_e64 v145, v147, v157, s2
	v_cndmask_b32_e64 v147, v148, v153, s18
	v_cndmask_b32_e64 v148, v155, v160, s5
	v_cndmask_b32_e64 v149, v159, v164, s5
	v_cndmask_b32_e64 v155, v163, v160, s19
	v_cndmask_b32_e64 v159, v166, v164, s19
	v_cndmask_b32_e64 v141, v141, v146, s26
	v_cndmask_b32_e64 v143, v143, v150, s26
	v_cndmask_b32_e64 v163, v170, v160, s22
	v_cndmask_b32_e64 v166, v174, v164, s22
	v_cndmask_b32_e64 v144, v144, v168, s5
	v_cndmask_b32_e64 v145, v145, v172, s5
	v_cndmask_b32_e64 v147, v147, v168, s19
	v_cndmask_b32_e64 v148, v148, v146, s6
	v_cndmask_b32_e64 v149, v149, v150, s6
	v_cndmask_b32_e64 v155, v155, v146, s24
	v_cndmask_b32_e64 v159, v159, v150, s24
	v_cndmask_b32_e64 v141, v141, v161, s28
	v_cndmask_b32_e64 v143, v143, v165, s28
	v_lshrrev_b32_e32 v169, 16, v154
	v_cndmask_b32_e64 v160, v163, v146, s25
	v_cndmask_b32_e64 v163, v166, v150, s25
	;; [unrolled: 1-line block ×9, first 2 shown]
	v_perm_b32 v146, v143, v141, 0x5040100
	v_cndmask_b32_e64 v141, v183, v156, s13
	v_cndmask_b32_e64 v143, v181, v156, s11
	;; [unrolled: 1-line block ×4, first 2 shown]
	v_perm_b32 v144, v159, v149, 0x5040100
	v_cndmask_b32_e64 v149, v162, v167, s16
	v_cndmask_b32_e64 v151, v151, v167, s17
	;; [unrolled: 1-line block ×15, first 2 shown]
	v_lshrrev_b32_e32 v173, 16, v158
	v_cndmask_b32_e64 v149, v149, v154, s25
	v_cndmask_b32_e64 v151, v151, v154, s26
	v_cndmask_b32_e64 v152, v152, v158, s26
	v_cndmask_b32_e64 v141, v141, v158, s25
	v_cndmask_b32_e64 v143, v143, v158, s24
	v_cndmask_b32_e64 v160, v163, v165, s27
	v_cndmask_b32_e64 v163, v145, v169, s29
	v_cndmask_b32_e64 v149, v149, v169, s27
	v_cndmask_b32_e64 v151, v151, v169, s28
	v_cndmask_b32_e64 v152, v152, v173, s28
	v_cndmask_b32_e64 v141, v141, v173, s27
	v_cndmask_b32_e64 v153, v143, v173, s29
	v_cndmask_b32_e64 v154, v150, v173, s7
	v_perm_b32 v145, v160, v155, 0x5040100
	v_perm_b32 v143, v148, v147, 0x5040100
	;; [unrolled: 1-line block ×6, first 2 shown]
	s_mul_i32 s6, s33, 12
	s_mov_b32 s2, exec_lo
	ds_store_b128 v134, v[143:146]
	ds_store_b128 v134, v[147:150] offset:1024
	v_cmpx_gt_u32_e32 12, v0
	s_cbranch_execz .LBB261_14
; %bb.13:
	s_mul_i32 s3, s6, s30
	s_load_b128 s[8:11], s[0:1], 0x58
	v_add3_u32 v143, s3, s31, v140
	s_delay_alu instid0(VALU_DEP_1) | instskip(NEXT) | instid1(VALU_DEP_1)
	v_mad_u64_u32 v[140:141], null, v143, s34, s[14:15]
	v_ashrrev_i32_e32 v141, 31, v140
	s_delay_alu instid0(VALU_DEP_1) | instskip(SKIP_1) | instid1(VALU_DEP_1)
	v_lshlrev_b64 v[140:141], 2, v[140:141]
	s_waitcnt lgkmcnt(0)
	v_add_co_u32 v143, vcc_lo, s10, v140
	s_delay_alu instid0(VALU_DEP_2)
	v_add_co_ci_u32_e32 v144, vcc_lo, s11, v141, vcc_lo
	v_add_co_u32 v140, vcc_lo, s8, v140
	v_add_co_ci_u32_e32 v141, vcc_lo, s9, v141, vcc_lo
	global_store_b32 v[143:144], v136, off
	global_store_b32 v[140:141], v142, off
.LBB261_14:
	s_or_b32 exec_lo, exec_lo, s2
	s_waitcnt lgkmcnt(0)
	s_waitcnt_vscnt null, 0x0
	s_barrier
	buffer_gl0_inv
	ds_load_b128 v[148:151], v133
	ds_load_b128 v[152:155], v133 offset:16
	ds_load_b128 v[160:163], v133 offset:1040
	;; [unrolled: 1-line block ×5, first 2 shown]
	v_cmp_eq_u32_e32 vcc_lo, 1, v132
	v_mov_b32_e32 v140, 0
	ds_load_b128 v[176:179], v133 offset:3088
	ds_load_b128 v[172:175], v133 offset:3072
	;; [unrolled: 1-line block ×4, first 2 shown]
	v_cmp_eq_u32_e64 s2, 1, v129
	v_cmp_eq_u32_e64 s3, 1, v131
	;; [unrolled: 1-line block ×3, first 2 shown]
	v_mov_b32_e32 v141, v140
	v_mov_b32_e32 v142, v140
	;; [unrolled: 1-line block ×7, first 2 shown]
	v_cmp_eq_u32_e64 s5, 2, v129
	s_waitcnt lgkmcnt(8)
	s_delay_alu instid0(VALU_DEP_2)
	v_wmma_f32_16x16x16_f16 v[140:147], v[121:128], v[148:155], v[140:147]
	ds_load_b128 v[125:128], v133 offset:5136
	ds_load_b128 v[121:124], v133 offset:5120
	s_waitcnt lgkmcnt(8)
	v_wmma_f32_16x16x16_f16 v[140:147], v[113:120], v[156:163], v[140:147]
	ds_load_b128 v[117:120], v133 offset:6160
	ds_load_b128 v[113:116], v133 offset:6144
	s_waitcnt lgkmcnt(8)
	;; [unrolled: 4-line block ×11, first 2 shown]
	s_barrier
	buffer_gl0_inv
	v_wmma_f32_16x16x16_f16 v[140:147], v[1:8], v[73:80], v[140:147]
	s_delay_alu instid0(VALU_DEP_1) | instskip(NEXT) | instid1(VALU_DEP_1)
	v_wmma_f32_16x16x16_f16 v[140:147], v[9:16], v[65:72], v[140:147]
	v_wmma_f32_16x16x16_f16 v[140:147], v[33:40], v[57:64], v[140:147]
	s_delay_alu instid0(VALU_DEP_1) | instskip(NEXT) | instid1(VALU_DEP_1)
	v_wmma_f32_16x16x16_f16 v[140:147], v[41:48], v[49:56], v[140:147]
	v_wmma_f32_16x16x16_f16 v[140:147], v[17:24], v[25:32], v[140:147]
	s_delay_alu instid0(VALU_DEP_1) | instskip(NEXT) | instid1(VALU_DEP_2)
	v_cvt_f16_f32_e64 v1, v140
	v_cvt_f16_f32_e64 v2, v141
	s_delay_alu instid0(VALU_DEP_3) | instskip(NEXT) | instid1(VALU_DEP_4)
	v_cvt_f16_f32_e64 v3, v142
	v_cvt_f16_f32_e64 v4, v143
	;; [unrolled: 1-line block ×6, first 2 shown]
	v_pack_b32_f16 v1, v1, v2
	v_pack_b32_f16 v2, v3, v4
	;; [unrolled: 1-line block ×3, first 2 shown]
	s_delay_alu instid0(VALU_DEP_4)
	v_pack_b32_f16 v4, v7, v8
	ds_store_b128 v134, v[1:4]
	s_waitcnt lgkmcnt(0)
	s_barrier
	buffer_gl0_inv
	ds_load_b128 v[1:4], v135
	ds_load_b128 v[5:8], v135 offset:16
	s_waitcnt lgkmcnt(1)
	v_lshrrev_b32_e32 v9, 16, v1
	s_waitcnt lgkmcnt(0)
	v_lshrrev_b32_e32 v13, 16, v5
	v_lshrrev_b32_e32 v10, 16, v2
	;; [unrolled: 1-line block ×4, first 2 shown]
	v_cndmask_b32_e64 v17, v1, v9, s2
	v_cndmask_b32_e64 v18, v5, v13, s2
	;; [unrolled: 1-line block ×3, first 2 shown]
	v_cmp_eq_u32_e64 s2, 2, v130
	v_cndmask_b32_e64 v20, v5, v13, s4
	v_cndmask_b32_e32 v21, v1, v9, vcc_lo
	v_cndmask_b32_e32 v22, v5, v13, vcc_lo
	v_cndmask_b32_e64 v1, v1, v9, s3
	v_cndmask_b32_e64 v5, v5, v13, s3
	v_cmp_eq_u32_e32 vcc_lo, 2, v132
	v_cmp_eq_u32_e64 s3, 2, v131
	v_cndmask_b32_e64 v9, v17, v2, s5
	v_cndmask_b32_e64 v13, v18, v6, s5
	;; [unrolled: 1-line block ×4, first 2 shown]
	v_cndmask_b32_e32 v19, v21, v2, vcc_lo
	v_cmp_eq_u32_e64 s2, 3, v132
	v_cndmask_b32_e32 v20, v22, v6, vcc_lo
	v_cndmask_b32_e64 v1, v1, v2, s3
	v_cmp_eq_u32_e32 vcc_lo, 3, v131
	v_cmp_eq_u32_e64 s4, 3, v129
	v_cndmask_b32_e64 v2, v5, v6, s3
	v_cmp_eq_u32_e64 s3, 3, v130
	v_cmp_eq_u32_e64 s5, 4, v129
	v_cndmask_b32_e32 v1, v1, v10, vcc_lo
	v_cndmask_b32_e64 v5, v9, v10, s4
	v_cndmask_b32_e64 v6, v13, v14, s4
	;; [unrolled: 1-line block ×3, first 2 shown]
	v_cmp_eq_u32_e64 s4, 4, v130
	v_cndmask_b32_e64 v13, v18, v14, s3
	v_cndmask_b32_e64 v17, v19, v10, s2
	;; [unrolled: 1-line block ×3, first 2 shown]
	v_cndmask_b32_e32 v2, v2, v14, vcc_lo
	v_cmp_eq_u32_e32 vcc_lo, 4, v132
	v_cmp_eq_u32_e64 s3, 4, v131
	v_lshrrev_b32_e32 v15, 16, v7
	v_cndmask_b32_e64 v5, v5, v3, s5
	v_cndmask_b32_e64 v6, v6, v7, s5
	v_cndmask_b32_e32 v14, v18, v7, vcc_lo
	v_cndmask_b32_e64 v9, v9, v3, s4
	v_cndmask_b32_e64 v10, v13, v7, s4
	v_cndmask_b32_e32 v13, v17, v3, vcc_lo
	v_cmp_eq_u32_e64 s2, 5, v132
	v_cndmask_b32_e64 v1, v1, v3, s3
	v_cmp_eq_u32_e32 vcc_lo, 5, v131
	v_cmp_eq_u32_e64 s4, 5, v129
	v_cndmask_b32_e64 v2, v2, v7, s3
	v_cmp_eq_u32_e64 s3, 5, v130
	v_cmp_eq_u32_e64 s5, 6, v129
	v_lshrrev_b32_e32 v12, 16, v4
	v_cndmask_b32_e64 v3, v5, v11, s4
	v_cndmask_b32_e64 v5, v6, v15, s4
	v_cndmask_b32_e64 v6, v9, v11, s3
	v_cmp_eq_u32_e64 s4, 6, v130
	v_cndmask_b32_e64 v7, v10, v15, s3
	v_cndmask_b32_e64 v9, v13, v11, s2
	;; [unrolled: 1-line block ×3, first 2 shown]
	v_cndmask_b32_e32 v1, v1, v11, vcc_lo
	v_cndmask_b32_e32 v2, v2, v15, vcc_lo
	v_cmp_eq_u32_e32 vcc_lo, 6, v132
	v_cmp_eq_u32_e64 s2, 6, v131
	v_lshrrev_b32_e32 v16, 16, v8
	v_cndmask_b32_e64 v3, v3, v4, s5
	v_cndmask_b32_e64 v5, v5, v8, s5
	v_cndmask_b32_e32 v9, v9, v4, vcc_lo
	v_cndmask_b32_e64 v6, v6, v4, s4
	v_cndmask_b32_e64 v7, v7, v8, s4
	v_cmp_eq_u32_e64 s3, 7, v132
	v_cndmask_b32_e32 v10, v10, v8, vcc_lo
	v_cndmask_b32_e64 v1, v1, v4, s2
	v_cmp_eq_u32_e32 vcc_lo, 7, v131
	v_cndmask_b32_e64 v2, v2, v8, s2
	v_cmp_eq_u32_e64 s2, 7, v129
	v_cmp_eq_u32_e64 s4, 7, v130
	v_cndmask_b32_e32 v1, v1, v12, vcc_lo
	s_delay_alu instid0(VALU_DEP_4) | instskip(NEXT) | instid1(VALU_DEP_4)
	v_cndmask_b32_e32 v2, v2, v16, vcc_lo
	v_cndmask_b32_e64 v8, v3, v12, s2
	s_delay_alu instid0(VALU_DEP_4)
	v_cndmask_b32_e64 v6, v6, v12, s4
	v_cndmask_b32_e64 v3, v9, v12, s3
	;; [unrolled: 1-line block ×5, first 2 shown]
	v_perm_b32 v4, v2, v1, 0x5040100
	s_mov_b32 s2, exec_lo
	v_perm_b32 v3, v9, v3, 0x5040100
	v_perm_b32 v2, v7, v6, 0x5040100
	;; [unrolled: 1-line block ×3, first 2 shown]
	ds_store_b128 v134, v[1:4]
	s_waitcnt lgkmcnt(0)
	s_barrier
	buffer_gl0_inv
	v_cmpx_gt_u32_e32 32, v0
	s_cbranch_execz .LBB261_2
; %bb.15:
	s_load_b64 s[0:1], s[0:1], 0x68
	v_lshlrev_b32_e32 v0, 10, v0
	s_lshl_b32 s4, s34, 7
	v_or_b32_e32 v3, s31, v138
	s_mul_i32 s2, s4, s30
	v_lshlrev_b32_e32 v1, 4, v139
	s_mul_i32 s2, s2, s6
	v_lshlrev_b32_e32 v2, 6, v138
	v_and_b32_e32 v0, 0x3800, v0
	s_ashr_i32 s3, s2, 31
	v_mul_lo_u32 v4, v3, s4
	s_lshl_b64 s[2:3], s[2:3], 1
	s_delay_alu instid0(VALU_DEP_2) | instskip(NEXT) | instid1(VALU_DEP_2)
	v_or3_b32 v16, v0, v1, v2
	v_ashrrev_i32_e32 v5, 31, v4
	ds_load_b128 v[0:3], v16
	s_waitcnt lgkmcnt(0)
	s_add_u32 s2, s0, s2
	s_addc_u32 s3, s1, s3
	s_lshl_b32 s0, s14, 7
	v_lshlrev_b64 v[5:6], 1, v[4:5]
	s_ashr_i32 s1, s0, 31
	s_delay_alu instid0(SALU_CYCLE_1) | instskip(NEXT) | instid1(SALU_CYCLE_1)
	s_lshl_b64 s[0:1], s[0:1], 1
	s_add_u32 s0, s2, s0
	s_addc_u32 s1, s3, s1
	s_lshl_b32 s2, s34, 8
	v_add_co_u32 v30, s0, s0, v137
	v_add_nc_u32_e32 v8, s2, v4
	v_add_co_ci_u32_e64 v31, null, s1, 0, s0
	s_delay_alu instid0(VALU_DEP_3) | instskip(NEXT) | instid1(VALU_DEP_3)
	v_add_co_u32 v12, vcc_lo, v30, v5
	v_add_nc_u32_e32 v10, s2, v8
	v_ashrrev_i32_e32 v9, 31, v8
	s_delay_alu instid0(VALU_DEP_4)
	v_add_co_ci_u32_e32 v13, vcc_lo, v31, v6, vcc_lo
	ds_load_b128 v[4:7], v16 offset:128
	v_ashrrev_i32_e32 v11, 31, v10
	v_lshlrev_b64 v[8:9], 1, v[8:9]
	v_add_nc_u32_e32 v14, s2, v10
	global_store_b128 v[12:13], v[0:3], off
	v_lshlrev_b64 v[0:1], 1, v[10:11]
	v_ashrrev_i32_e32 v15, 31, v14
	v_add_co_u32 v22, vcc_lo, v30, v8
	v_add_nc_u32_e32 v20, s2, v14
	v_add_co_ci_u32_e32 v23, vcc_lo, v31, v9, vcc_lo
	v_add_co_u32 v26, vcc_lo, v30, v0
	v_lshlrev_b64 v[24:25], 1, v[14:15]
	v_add_co_ci_u32_e32 v27, vcc_lo, v31, v1, vcc_lo
	ds_load_b128 v[0:3], v16 offset:256
	ds_load_b128 v[8:11], v16 offset:384
	;; [unrolled: 1-line block ×4, first 2 shown]
	v_add_nc_u32_e32 v28, s2, v20
	v_ashrrev_i32_e32 v21, 31, v20
	v_add_co_u32 v24, vcc_lo, v30, v24
	v_add_co_ci_u32_e32 v25, vcc_lo, v31, v25, vcc_lo
	s_delay_alu instid0(VALU_DEP_4) | instskip(NEXT) | instid1(VALU_DEP_4)
	v_ashrrev_i32_e32 v29, 31, v28
	v_lshlrev_b64 v[20:21], 1, v[20:21]
	s_delay_alu instid0(VALU_DEP_2) | instskip(NEXT) | instid1(VALU_DEP_2)
	v_lshlrev_b64 v[28:29], 1, v[28:29]
	v_add_co_u32 v20, vcc_lo, v30, v20
	s_delay_alu instid0(VALU_DEP_3) | instskip(NEXT) | instid1(VALU_DEP_3)
	v_add_co_ci_u32_e32 v21, vcc_lo, v31, v21, vcc_lo
	v_add_co_u32 v28, vcc_lo, v30, v28
	s_delay_alu instid0(VALU_DEP_4)
	v_add_co_ci_u32_e32 v29, vcc_lo, v31, v29, vcc_lo
	s_waitcnt lgkmcnt(4)
	global_store_b128 v[22:23], v[4:7], off
	s_waitcnt lgkmcnt(3)
	global_store_b128 v[26:27], v[0:3], off
	;; [unrolled: 2-line block ×5, first 2 shown]
	s_nop 0
	s_sendmsg sendmsg(MSG_DEALLOC_VGPRS)
	s_endpgm
	.section	.rodata,"a",@progbits
	.p2align	6, 0x0
	.amdhsa_kernel _Z39paged_attention_ll4mi_QKV_mfma16_kernelIDF16_DF16_LN4vllm18Fp8KVCacheDataTypeE0EDF16_Li16ELi128ELi256ELb1ELi12EL8MFMAType0EEvPKT_PKT0_S8_ifPKiSA_SA_iPKfiiiPfSD_PS3_PT2_iSC_SC_
		.amdhsa_group_segment_fixed_size 17472
		.amdhsa_private_segment_fixed_size 0
		.amdhsa_kernarg_size 400
		.amdhsa_user_sgpr_count 13
		.amdhsa_user_sgpr_dispatch_ptr 0
		.amdhsa_user_sgpr_queue_ptr 0
		.amdhsa_user_sgpr_kernarg_segment_ptr 1
		.amdhsa_user_sgpr_dispatch_id 0
		.amdhsa_user_sgpr_private_segment_size 0
		.amdhsa_wavefront_size32 1
		.amdhsa_uses_dynamic_stack 0
		.amdhsa_enable_private_segment 0
		.amdhsa_system_sgpr_workgroup_id_x 1
		.amdhsa_system_sgpr_workgroup_id_y 1
		.amdhsa_system_sgpr_workgroup_id_z 1
		.amdhsa_system_sgpr_workgroup_info 0
		.amdhsa_system_vgpr_workitem_id 0
		.amdhsa_next_free_vgpr 218
		.amdhsa_next_free_sgpr 52
		.amdhsa_reserve_vcc 1
		.amdhsa_float_round_mode_32 0
		.amdhsa_float_round_mode_16_64 0
		.amdhsa_float_denorm_mode_32 3
		.amdhsa_float_denorm_mode_16_64 3
		.amdhsa_dx10_clamp 1
		.amdhsa_ieee_mode 1
		.amdhsa_fp16_overflow 0
		.amdhsa_workgroup_processor_mode 1
		.amdhsa_memory_ordered 1
		.amdhsa_forward_progress 0
		.amdhsa_shared_vgpr_count 0
		.amdhsa_exception_fp_ieee_invalid_op 0
		.amdhsa_exception_fp_denorm_src 0
		.amdhsa_exception_fp_ieee_div_zero 0
		.amdhsa_exception_fp_ieee_overflow 0
		.amdhsa_exception_fp_ieee_underflow 0
		.amdhsa_exception_fp_ieee_inexact 0
		.amdhsa_exception_int_div_zero 0
	.end_amdhsa_kernel
	.section	.text._Z39paged_attention_ll4mi_QKV_mfma16_kernelIDF16_DF16_LN4vllm18Fp8KVCacheDataTypeE0EDF16_Li16ELi128ELi256ELb1ELi12EL8MFMAType0EEvPKT_PKT0_S8_ifPKiSA_SA_iPKfiiiPfSD_PS3_PT2_iSC_SC_,"axG",@progbits,_Z39paged_attention_ll4mi_QKV_mfma16_kernelIDF16_DF16_LN4vllm18Fp8KVCacheDataTypeE0EDF16_Li16ELi128ELi256ELb1ELi12EL8MFMAType0EEvPKT_PKT0_S8_ifPKiSA_SA_iPKfiiiPfSD_PS3_PT2_iSC_SC_,comdat
.Lfunc_end261:
	.size	_Z39paged_attention_ll4mi_QKV_mfma16_kernelIDF16_DF16_LN4vllm18Fp8KVCacheDataTypeE0EDF16_Li16ELi128ELi256ELb1ELi12EL8MFMAType0EEvPKT_PKT0_S8_ifPKiSA_SA_iPKfiiiPfSD_PS3_PT2_iSC_SC_, .Lfunc_end261-_Z39paged_attention_ll4mi_QKV_mfma16_kernelIDF16_DF16_LN4vllm18Fp8KVCacheDataTypeE0EDF16_Li16ELi128ELi256ELb1ELi12EL8MFMAType0EEvPKT_PKT0_S8_ifPKiSA_SA_iPKfiiiPfSD_PS3_PT2_iSC_SC_
                                        ; -- End function
	.section	.AMDGPU.csdata,"",@progbits
; Kernel info:
; codeLenInByte = 8168
; NumSgprs: 54
; NumVgprs: 218
; ScratchSize: 0
; MemoryBound: 0
; FloatMode: 240
; IeeeMode: 1
; LDSByteSize: 17472 bytes/workgroup (compile time only)
; SGPRBlocks: 6
; VGPRBlocks: 27
; NumSGPRsForWavesPerEU: 54
; NumVGPRsForWavesPerEU: 218
; Occupancy: 6
; WaveLimiterHint : 1
; COMPUTE_PGM_RSRC2:SCRATCH_EN: 0
; COMPUTE_PGM_RSRC2:USER_SGPR: 13
; COMPUTE_PGM_RSRC2:TRAP_HANDLER: 0
; COMPUTE_PGM_RSRC2:TGID_X_EN: 1
; COMPUTE_PGM_RSRC2:TGID_Y_EN: 1
; COMPUTE_PGM_RSRC2:TGID_Z_EN: 1
; COMPUTE_PGM_RSRC2:TIDIG_COMP_CNT: 0
	.section	.text._Z39paged_attention_ll4mi_QKV_mfma16_kernelIDF16_DF16_LN4vllm18Fp8KVCacheDataTypeE0EDF16_Li16ELi128ELi256ELb1ELi13EL8MFMAType0EEvPKT_PKT0_S8_ifPKiSA_SA_iPKfiiiPfSD_PS3_PT2_iSC_SC_,"axG",@progbits,_Z39paged_attention_ll4mi_QKV_mfma16_kernelIDF16_DF16_LN4vllm18Fp8KVCacheDataTypeE0EDF16_Li16ELi128ELi256ELb1ELi13EL8MFMAType0EEvPKT_PKT0_S8_ifPKiSA_SA_iPKfiiiPfSD_PS3_PT2_iSC_SC_,comdat
	.protected	_Z39paged_attention_ll4mi_QKV_mfma16_kernelIDF16_DF16_LN4vllm18Fp8KVCacheDataTypeE0EDF16_Li16ELi128ELi256ELb1ELi13EL8MFMAType0EEvPKT_PKT0_S8_ifPKiSA_SA_iPKfiiiPfSD_PS3_PT2_iSC_SC_ ; -- Begin function _Z39paged_attention_ll4mi_QKV_mfma16_kernelIDF16_DF16_LN4vllm18Fp8KVCacheDataTypeE0EDF16_Li16ELi128ELi256ELb1ELi13EL8MFMAType0EEvPKT_PKT0_S8_ifPKiSA_SA_iPKfiiiPfSD_PS3_PT2_iSC_SC_
	.globl	_Z39paged_attention_ll4mi_QKV_mfma16_kernelIDF16_DF16_LN4vllm18Fp8KVCacheDataTypeE0EDF16_Li16ELi128ELi256ELb1ELi13EL8MFMAType0EEvPKT_PKT0_S8_ifPKiSA_SA_iPKfiiiPfSD_PS3_PT2_iSC_SC_
	.p2align	8
	.type	_Z39paged_attention_ll4mi_QKV_mfma16_kernelIDF16_DF16_LN4vllm18Fp8KVCacheDataTypeE0EDF16_Li16ELi128ELi256ELb1ELi13EL8MFMAType0EEvPKT_PKT0_S8_ifPKiSA_SA_iPKfiiiPfSD_PS3_PT2_iSC_SC_,@function
_Z39paged_attention_ll4mi_QKV_mfma16_kernelIDF16_DF16_LN4vllm18Fp8KVCacheDataTypeE0EDF16_Li16ELi128ELi256ELb1ELi13EL8MFMAType0EEvPKT_PKT0_S8_ifPKiSA_SA_iPKfiiiPfSD_PS3_PT2_iSC_SC_: ; @_Z39paged_attention_ll4mi_QKV_mfma16_kernelIDF16_DF16_LN4vllm18Fp8KVCacheDataTypeE0EDF16_Li16ELi128ELi256ELb1ELi13EL8MFMAType0EEvPKT_PKT0_S8_ifPKiSA_SA_iPKfiiiPfSD_PS3_PT2_iSC_SC_
; %bb.0:
	s_load_b64 s[4:5], s[0:1], 0x30
	s_mov_b32 s34, s13
	s_waitcnt lgkmcnt(0)
	s_cmp_lg_u64 s[4:5], 0
	s_cselect_b32 s8, -1, 0
	s_ashr_i32 s35, s13, 31
	s_cmp_eq_u64 s[4:5], 0
	s_cbranch_scc1 .LBB262_3
; %bb.1:
	s_lshl_b64 s[2:3], s[34:35], 2
	s_delay_alu instid0(SALU_CYCLE_1) | instskip(SKIP_4) | instid1(SALU_CYCLE_1)
	s_add_u32 s2, s4, s2
	s_addc_u32 s3, s5, s3
	s_load_b64 s[2:3], s[2:3], 0x0
	s_waitcnt lgkmcnt(0)
	s_sub_i32 s2, s3, s2
	s_cmp_eq_u32 s2, 1
	s_cselect_b32 s2, -1, 0
	s_delay_alu instid0(SALU_CYCLE_1)
	s_and_not1_b32 vcc_lo, exec_lo, s2
	s_cbranch_vccz .LBB262_4
.LBB262_2:
	s_nop 0
	s_sendmsg sendmsg(MSG_DEALLOC_VGPRS)
	s_endpgm
.LBB262_3:
.LBB262_4:
	s_load_b64 s[2:3], s[0:1], 0x28
	s_lshl_b64 s[6:7], s[34:35], 2
	s_waitcnt lgkmcnt(0)
	s_add_u32 s2, s2, s6
	s_addc_u32 s3, s3, s7
	s_lshl_b32 s29, s14, 8
	s_load_b32 s28, s[2:3], 0x0
	s_waitcnt lgkmcnt(0)
	s_cmp_ge_i32 s29, s28
	s_cbranch_scc1 .LBB262_2
; %bb.5:
	s_clause 0x1
	s_load_b128 s[20:23], s[0:1], 0x8
	s_load_b64 s[2:3], s[0:1], 0x20
	s_and_not1_b32 vcc_lo, exec_lo, s8
	s_cbranch_vccnz .LBB262_7
; %bb.6:
	s_add_u32 s4, s4, s6
	s_addc_u32 s5, s5, s7
	s_load_b32 s5, s[4:5], 0x0
	s_branch .LBB262_8
.LBB262_7:
	s_mov_b32 s5, s34
.LBB262_8:
	s_load_b128 s[16:19], s[0:1], 0x48
	v_and_b32_e32 v140, 15, v0
	v_lshrrev_b32_e32 v141, 5, v0
	v_bfe_u32 v138, v0, 4, 1
	v_and_b32_e32 v142, 31, v0
	v_and_b32_e32 v139, 1, v0
	v_lshlrev_b32_e32 v2, 3, v140
	s_mul_i32 s31, s15, 13
	v_lshl_or_b32 v1, v141, 1, v138
	s_mov_b32 s4, exec_lo
	s_delay_alu instid0(VALU_DEP_2) | instskip(NEXT) | instid1(VALU_DEP_2)
	v_lshlrev_b32_e32 v137, 1, v2
	v_cmpx_gt_u32_e32 13, v1
	s_cbranch_execz .LBB262_10
; %bb.9:
	s_load_b64 s[6:7], s[0:1], 0x0
	v_add_lshl_u32 v2, v1, s31, 7
	s_waitcnt lgkmcnt(0)
	s_mul_hi_i32 s9, s5, s16
	s_mul_i32 s8, s5, s16
	v_lshlrev_b32_e32 v6, 10, v140
	s_lshl_b64 s[8:9], s[8:9], 1
	v_ashrrev_i32_e32 v3, 31, v2
	v_lshlrev_b32_e32 v1, 6, v1
	v_lshlrev_b32_e32 v7, 10, v139
	v_and_b32_e32 v6, 0x3800, v6
	s_delay_alu instid0(VALU_DEP_4) | instskip(NEXT) | instid1(VALU_DEP_2)
	v_lshlrev_b64 v[2:3], 1, v[2:3]
	v_or3_b32 v1, v6, v7, v1
	s_add_u32 s5, s6, s8
	s_addc_u32 s6, s7, s9
	s_delay_alu instid0(VALU_DEP_2) | instskip(NEXT) | instid1(VALU_DEP_3)
	v_add_co_u32 v2, vcc_lo, s5, v2
	v_add_co_ci_u32_e32 v3, vcc_lo, s6, v3, vcc_lo
	s_delay_alu instid0(VALU_DEP_2) | instskip(NEXT) | instid1(VALU_DEP_2)
	v_add_co_u32 v2, vcc_lo, v2, v137
	v_add_co_ci_u32_e32 v3, vcc_lo, 0, v3, vcc_lo
	global_load_b128 v[2:5], v[2:3], off
	s_waitcnt vmcnt(0)
	ds_store_b128 v1, v[2:5]
.LBB262_10:
	s_or_b32 exec_lo, exec_lo, s4
	v_and_b32_e32 v1, 0xef, v0
	s_waitcnt lgkmcnt(0)
	s_add_i32 s5, s28, 15
	s_clause 0x1
	s_load_b32 s4, s[0:1], 0x38
	s_load_b32 s33, s[0:1], 0x98
	s_ashr_i32 s6, s5, 31
	v_add_nc_u32_e32 v1, s29, v1
	s_lshr_b32 s6, s6, 28
	s_load_b32 s30, s[0:1], 0x1c
	s_add_i32 s5, s5, s6
	s_waitcnt lgkmcnt(0)
	v_ashrrev_i32_e32 v2, 31, v1
	v_cmp_gt_i32_e32 vcc_lo, s28, v1
	s_ashr_i32 s16, s5, 4
	s_barrier
	s_add_i32 s16, s16, -1
	v_lshrrev_b32_e32 v3, 28, v2
	v_or_b32_e32 v2, 16, v1
	buffer_gl0_inv
	v_add_nc_u32_e32 v105, -13, v140
	v_lshlrev_b32_e32 v106, 5, v140
	v_add_nc_u32_e32 v4, v1, v3
	v_add_nc_u32_e32 v3, v2, v3
	s_mul_i32 s4, s34, s4
	s_delay_alu instid0(SALU_CYCLE_1) | instskip(NEXT) | instid1(VALU_DEP_2)
	s_ashr_i32 s5, s4, 31
	v_ashrrev_i32_e32 v4, 4, v4
	s_delay_alu instid0(VALU_DEP_2)
	v_ashrrev_i32_e32 v3, 4, v3
	s_lshl_b64 s[4:5], s[4:5], 2
	v_lshl_or_b32 v125, v141, 9, v106
	s_add_u32 s35, s2, s4
	v_cndmask_b32_e32 v1, s16, v4, vcc_lo
	v_cmp_gt_i32_e32 vcc_lo, s28, v2
	s_addc_u32 s36, s3, s5
	s_mul_i32 s2, s15, s18
	s_delay_alu instid0(VALU_DEP_2) | instskip(SKIP_2) | instid1(SALU_CYCLE_1)
	v_ashrrev_i32_e32 v2, 31, v1
	v_cndmask_b32_e32 v3, s16, v3, vcc_lo
	s_ashr_i32 s3, s2, 31
	s_lshl_b64 s[2:3], s[2:3], 1
	s_delay_alu instid0(VALU_DEP_2) | instskip(NEXT) | instid1(VALU_DEP_2)
	v_lshlrev_b64 v[1:2], 2, v[1:2]
	v_ashrrev_i32_e32 v4, 31, v3
	s_add_u32 s24, s20, s2
	s_addc_u32 s25, s21, s3
	s_lshl_b32 s4, s14, 4
	s_delay_alu instid0(VALU_DEP_1) | instskip(SKIP_3) | instid1(VALU_DEP_3)
	v_lshlrev_b64 v[3:4], 2, v[3:4]
	v_add_co_u32 v1, vcc_lo, s35, v1
	v_add_co_ci_u32_e32 v2, vcc_lo, s36, v2, vcc_lo
	s_ashr_i32 s5, s4, 31
	v_add_co_u32 v3, vcc_lo, s35, v3
	s_delay_alu instid0(VALU_DEP_4)
	v_add_co_ci_u32_e32 v4, vcc_lo, s36, v4, vcc_lo
	s_lshl_b64 s[4:5], s[4:5], 2
	s_clause 0x1
	global_load_b32 v5, v[1:2], off
	global_load_b32 v6, v[3:4], off
	s_add_u32 s4, s35, s4
	s_addc_u32 s5, s36, s5
	s_or_b32 s6, s29, 16
	v_lshlrev_b32_e32 v3, 4, v0
	s_ashr_i32 s7, s6, 4
	s_cmp_lt_i32 s6, s28
	s_cselect_b32 s6, s7, s16
	s_delay_alu instid0(SALU_CYCLE_1) | instskip(NEXT) | instid1(SALU_CYCLE_1)
	s_ashr_i32 s7, s6, 31
	s_lshl_b64 s[6:7], s[6:7], 2
	s_delay_alu instid0(SALU_CYCLE_1) | instskip(SKIP_2) | instid1(SALU_CYCLE_1)
	s_add_u32 s6, s35, s6
	s_addc_u32 s7, s36, s7
	s_or_b32 s8, s29, 32
	s_ashr_i32 s9, s8, 4
	s_cmp_lt_i32 s8, s28
	s_cselect_b32 s8, s9, s16
	s_delay_alu instid0(SALU_CYCLE_1) | instskip(NEXT) | instid1(SALU_CYCLE_1)
	s_ashr_i32 s9, s8, 31
	s_lshl_b64 s[8:9], s[8:9], 2
	s_delay_alu instid0(SALU_CYCLE_1) | instskip(SKIP_2) | instid1(SALU_CYCLE_1)
	s_add_u32 s8, s35, s8
	s_addc_u32 s9, s36, s9
	s_or_b32 s10, s29, 48
	;; [unrolled: 10-line block ×4, first 2 shown]
	s_ashr_i32 s13, s12, 4
	s_cmp_lt_i32 s12, s28
	s_cselect_b32 s12, s13, s16
	s_delay_alu instid0(SALU_CYCLE_1) | instskip(NEXT) | instid1(SALU_CYCLE_1)
	s_ashr_i32 s13, s12, 31
	s_lshl_b64 s[12:13], s[12:13], 2
	s_delay_alu instid0(SALU_CYCLE_1)
	s_add_u32 s20, s35, s12
	s_addc_u32 s21, s36, s13
	s_clause 0x5
	s_load_b32 s37, s[4:5], 0x0
	s_load_b32 s27, s[6:7], 0x0
	;; [unrolled: 1-line block ×6, first 2 shown]
	s_waitcnt vmcnt(1)
	v_mad_i64_i32 v[1:2], null, v5, s17, 0
	v_and_b32_e32 v5, 0xf0, v3
	s_waitcnt vmcnt(0)
	v_mad_i64_i32 v[3:4], null, v6, s17, 0
	s_delay_alu instid0(VALU_DEP_2) | instskip(NEXT) | instid1(VALU_DEP_4)
	v_add_co_u32 v5, s4, s24, v5
	v_lshlrev_b64 v[1:2], 1, v[1:2]
	v_add_co_ci_u32_e64 v6, null, s25, 0, s4
	s_delay_alu instid0(VALU_DEP_4) | instskip(SKIP_1) | instid1(VALU_DEP_3)
	v_lshlrev_b64 v[3:4], 1, v[3:4]
	s_or_b32 s4, s29, 0x60
	v_add_co_u32 v121, vcc_lo, v5, v1
	s_delay_alu instid0(VALU_DEP_3) | instskip(NEXT) | instid1(VALU_DEP_3)
	v_add_co_ci_u32_e32 v122, vcc_lo, v6, v2, vcc_lo
	v_add_co_u32 v123, vcc_lo, v5, v3
	s_delay_alu instid0(VALU_DEP_4)
	v_add_co_ci_u32_e32 v124, vcc_lo, v6, v4, vcc_lo
	s_clause 0x19
	global_load_b128 v[89:92], v[121:122], off
	global_load_b128 v[93:96], v[121:122], off offset:256
	global_load_b128 v[97:100], v[123:124], off
	global_load_b128 v[101:104], v[123:124], off offset:256
	global_load_b128 v[81:84], v[121:122], off offset:512
	;; [unrolled: 1-line block ×23, first 2 shown]
	s_ashr_i32 s5, s4, 4
	s_cmp_lt_i32 s4, s28
	v_cmp_gt_u32_e32 vcc_lo, 13, v140
	s_cselect_b32 s4, s5, s16
	s_delay_alu instid0(SALU_CYCLE_1) | instskip(NEXT) | instid1(SALU_CYCLE_1)
	s_ashr_i32 s5, s4, 31
	s_lshl_b64 s[4:5], s[4:5], 2
	v_cndmask_b32_e32 v105, v105, v140, vcc_lo
	s_add_u32 s18, s35, s4
	s_addc_u32 s19, s36, s5
	s_or_b32 s4, s29, 0x70
	s_delay_alu instid0(SALU_CYCLE_1)
	s_ashr_i32 s5, s4, 4
	s_cmp_lt_i32 s4, s28
	v_lshlrev_b32_e32 v215, 6, v105
	s_cselect_b32 s6, s5, s16
	ds_load_b128 v[105:108], v215
	ds_load_b128 v[109:112], v215 offset:1024
	s_ashr_i32 s7, s6, 31
	ds_load_b128 v[113:116], v215 offset:2048
	ds_load_b128 v[117:120], v215 offset:3072
	;; [unrolled: 1-line block ×8, first 2 shown]
	s_clause 0x1
	global_load_b128 v[167:170], v[123:124], off offset:3072
	global_load_b128 v[171:174], v[123:124], off offset:3328
	s_lshl_b64 s[6:7], s[6:7], 2
	s_mov_b32 s4, 0
	s_add_u32 s20, s35, s6
	s_addc_u32 s21, s36, s7
	s_clause 0x1
	s_load_b32 s41, s[18:19], 0x0
	s_load_b32 s46, s[20:21], 0x0
	s_clause 0x3
	global_load_b128 v[175:178], v[121:122], off offset:3584
	global_load_b128 v[179:182], v[121:122], off offset:3840
	;; [unrolled: 1-line block ×4, first 2 shown]
	s_or_b32 s7, s29, 0x80
	s_mov_b32 s5, s4
	s_ashr_i32 s8, s7, 4
	s_cmp_lt_i32 s7, s28
	s_mov_b32 s6, s4
	s_cselect_b32 s10, s8, s16
	s_mov_b32 s7, s4
	s_ashr_i32 s11, s10, 31
	s_mov_b32 s8, s4
	s_lshl_b64 s[24:25], s[10:11], 2
	s_mov_b32 s9, s4
	s_add_u32 s24, s35, s24
	s_addc_u32 s25, s36, s25
	s_or_b32 s11, s29, 0x90
	s_mov_b32 s10, s4
	s_ashr_i32 s38, s11, 4
	s_cmp_lt_i32 s11, s28
	s_mov_b32 s11, s4
	s_cselect_b32 s38, s38, s16
	v_mov_b32_e32 v136, s11
	s_ashr_i32 s39, s38, 31
	v_dual_mov_b32 v135, s10 :: v_dual_mov_b32 v134, s9
	v_dual_mov_b32 v133, s8 :: v_dual_mov_b32 v132, s7
	;; [unrolled: 1-line block ×3, first 2 shown]
	v_mov_b32_e32 v129, s4
	s_lshl_b64 s[4:5], s[38:39], 2
	s_waitcnt lgkmcnt(0)
	s_mul_hi_i32 s7, s27, s17
	s_add_u32 s38, s35, s4
	s_addc_u32 s39, s36, s5
	s_or_b32 s4, s29, 0xa0
	s_load_b32 s40, s[38:39], 0x0
	s_ashr_i32 s5, s4, 4
	s_cmp_lt_i32 s4, s28
	s_cselect_b32 s4, s5, s16
	s_delay_alu instid0(SALU_CYCLE_1) | instskip(NEXT) | instid1(SALU_CYCLE_1)
	s_ashr_i32 s5, s4, 31
	s_lshl_b64 s[4:5], s[4:5], 2
	s_delay_alu instid0(SALU_CYCLE_1)
	s_add_u32 s42, s35, s4
	s_addc_u32 s43, s36, s5
	s_or_b32 s4, s29, 0xb0
	s_load_b32 s39, s[42:43], 0x0
	s_ashr_i32 s6, s4, 4
	s_cmp_lt_i32 s4, s28
	s_mul_hi_i32 s5, s37, s17
	s_cselect_b32 s8, s6, s16
	s_mul_i32 s6, s27, s17
	s_ashr_i32 s9, s8, 31
	s_mul_i32 s4, s37, s17
	s_lshl_b64 s[10:11], s[8:9], 2
	s_mul_hi_i32 s9, s26, s17
	s_add_u32 s44, s35, s10
	s_addc_u32 s45, s36, s11
	s_or_b32 s10, s29, 0xc0
	s_mul_i32 s8, s26, s17
	s_ashr_i32 s26, s10, 4
	s_cmp_lt_i32 s10, s28
	s_mul_hi_i32 s11, s13, s17
	s_cselect_b32 s26, s26, s16
	s_mul_i32 s10, s13, s17
	s_ashr_i32 s27, s26, 31
	s_mul_hi_i32 s13, s12, s17
	s_lshl_b64 s[26:27], s[26:27], 2
	s_mul_i32 s12, s12, s17
	s_add_u32 s20, s35, s26
	s_addc_u32 s21, s36, s27
	s_or_b32 s18, s29, 0xd0
	s_load_b32 s26, s[24:25], 0x0
	s_ashr_i32 s19, s18, 4
	s_cmp_lt_i32 s18, s28
	s_mul_i32 s18, s15, s17
	s_cselect_b32 s24, s19, s16
	s_mul_hi_i32 s19, s15, s17
	s_ashr_i32 s25, s24, 31
	s_delay_alu instid0(SALU_CYCLE_1) | instskip(NEXT) | instid1(SALU_CYCLE_1)
	s_lshl_b64 s[24:25], s[24:25], 2
	s_add_u32 s24, s35, s24
	s_addc_u32 s25, s36, s25
	s_or_b32 s42, s29, 0xe0
	s_clause 0x2
	s_load_b32 s38, s[44:45], 0x0
	s_load_b32 s37, s[20:21], 0x0
	;; [unrolled: 1-line block ×3, first 2 shown]
	s_ashr_i32 s43, s42, 4
	s_cmp_lt_i32 s42, s28
	s_mul_hi_i32 s25, s46, s17
	s_cselect_b32 s42, s43, s16
	s_mul_i32 s24, s46, s17
	s_ashr_i32 s43, s42, 31
	s_mul_hi_i32 s21, s41, s17
	s_lshl_b64 s[42:43], s[42:43], 2
	s_mul_i32 s20, s41, s17
	s_add_u32 s42, s35, s42
	s_addc_u32 s43, s36, s43
	s_or_b32 s46, s29, 0xf0
	s_waitcnt lgkmcnt(0)
	s_mul_hi_i32 s27, s26, s17
	s_ashr_i32 s47, s46, 4
	s_cmp_lt_i32 s46, s28
	s_mul_i32 s26, s26, s17
	s_cselect_b32 s46, s47, s16
	s_mul_hi_i32 s41, s40, s17
	s_ashr_i32 s47, s46, 31
	s_mul_hi_i32 s51, s15, s17
	s_lshl_b64 s[46:47], s[46:47], 2
	s_mul_i32 s50, s15, s17
	s_add_u32 s46, s35, s46
	s_addc_u32 s47, s36, s47
	s_add_u32 s15, s22, s2
	s_addc_u32 s16, s23, s3
	v_add_co_u32 v216, s15, s15, v125
	s_delay_alu instid0(VALU_DEP_1) | instskip(SKIP_2) | instid1(VALU_DEP_2)
	v_add_co_ci_u32_e64 v217, null, s16, 0, s15
	s_lshl_b64 s[2:3], s[4:5], 1
	s_lshl_b64 s[4:5], s[6:7], 1
	v_add_co_u32 v125, vcc_lo, v216, s2
	s_delay_alu instid0(VALU_DEP_2)
	v_add_co_ci_u32_e32 v126, vcc_lo, s3, v217, vcc_lo
	v_add_co_u32 v199, vcc_lo, v216, s4
	s_lshl_b64 s[6:7], s[8:9], 1
	v_add_co_ci_u32_e32 v200, vcc_lo, s5, v217, vcc_lo
	s_lshl_b64 s[8:9], s[10:11], 1
	s_lshl_b64 s[10:11], s[12:13], 1
	s_lshl_b64 s[12:13], s[18:19], 1
	s_lshl_b64 s[18:19], s[20:21], 1
	s_lshl_b64 s[20:21], s[24:25], 1
	s_lshl_b64 s[22:23], s[26:27], 1
	s_mul_i32 s40, s40, s17
	s_mul_hi_i32 s45, s39, s17
	s_lshl_b64 s[24:25], s[40:41], 1
	s_mul_i32 s44, s39, s17
	s_mul_hi_i32 s39, s38, s17
	s_lshl_b64 s[26:27], s[44:45], 1
	s_mul_i32 s38, s38, s17
	s_mul_hi_i32 s49, s37, s17
	s_mul_i32 s48, s37, s17
	s_lshl_b64 s[36:37], s[38:39], 1
	s_lshl_b64 s[38:39], s[48:49], 1
	s_clause 0x1
	s_load_b32 s15, s[42:43], 0x0
	s_load_b32 s16, s[46:47], 0x0
	s_lshl_b64 s[40:41], s[50:51], 1
	s_waitcnt lgkmcnt(0)
	s_mul_hi_i32 s3, s15, s17
	s_mul_i32 s2, s15, s17
	s_mul_hi_i32 s5, s16, s17
	s_lshl_b64 s[2:3], s[2:3], 1
	s_mul_i32 s4, s16, s17
	s_waitcnt vmcnt(30)
	v_wmma_f32_16x16x16_f16 v[191:198], v[89:96], v[105:112], v[129:136]
	v_add_co_u32 v89, vcc_lo, v216, s6
	v_add_co_ci_u32_e32 v90, vcc_lo, s7, v217, vcc_lo
	v_add_co_u32 v91, vcc_lo, v216, s8
	v_add_co_ci_u32_e32 v92, vcc_lo, s9, v217, vcc_lo
	;; [unrolled: 2-line block ×5, first 2 shown]
	v_add_co_u32 v205, vcc_lo, v216, s20
	s_waitcnt vmcnt(28)
	v_wmma_f32_16x16x16_f16 v[129:136], v[97:104], v[105:112], v[129:136]
	v_add_co_ci_u32_e32 v206, vcc_lo, s21, v217, vcc_lo
	v_add_co_u32 v207, vcc_lo, v216, s22
	v_add_co_ci_u32_e32 v208, vcc_lo, s23, v217, vcc_lo
	v_add_co_u32 v209, vcc_lo, v216, s24
	s_waitcnt vmcnt(26)
	v_wmma_f32_16x16x16_f16 v[191:198], v[81:88], v[113:120], v[191:198]
	s_waitcnt vmcnt(24)
	v_wmma_f32_16x16x16_f16 v[129:136], v[73:80], v[113:120], v[129:136]
	v_add_co_ci_u32_e32 v210, vcc_lo, s25, v217, vcc_lo
	v_add_co_u32 v211, vcc_lo, v216, s26
	v_add_co_ci_u32_e32 v212, vcc_lo, s27, v217, vcc_lo
	v_add_co_u32 v213, vcc_lo, v216, s36
	s_waitcnt vmcnt(22)
	v_wmma_f32_16x16x16_f16 v[191:198], v[65:72], v[143:150], v[191:198]
	s_waitcnt vmcnt(20)
	v_wmma_f32_16x16x16_f16 v[129:136], v[57:64], v[143:150], v[129:136]
	v_add_co_ci_u32_e32 v214, vcc_lo, s37, v217, vcc_lo
	v_add_co_u32 v143, vcc_lo, v216, s38
	s_waitcnt vmcnt(18)
	v_wmma_f32_16x16x16_f16 v[191:198], v[49:56], v[151:158], v[191:198]
	s_waitcnt vmcnt(16)
	v_wmma_f32_16x16x16_f16 v[129:136], v[25:32], v[151:158], v[129:136]
	v_add_co_ci_u32_e32 v144, vcc_lo, s39, v217, vcc_lo
	s_clause 0x15
	global_load_b128 v[121:124], v[125:126], off
	global_load_b128 v[125:128], v[125:126], off offset:16
	global_load_b128 v[113:116], v[199:200], off
	global_load_b128 v[117:120], v[199:200], off offset:16
	;; [unrolled: 2-line block ×11, first 2 shown]
	s_waitcnt vmcnt(36)
	v_wmma_f32_16x16x16_f16 v[191:198], v[1:8], v[159:166], v[191:198]
	s_clause 0x1
	global_load_b128 v[1:4], v[213:214], off
	global_load_b128 v[5:8], v[213:214], off offset:16
	s_waitcnt vmcnt(36)
	v_wmma_f32_16x16x16_f16 v[129:136], v[9:16], v[159:166], v[129:136]
	s_clause 0x1
	global_load_b128 v[9:12], v[143:144], off
	global_load_b128 v[13:16], v[143:144], off offset:16
	ds_load_b128 v[143:146], v215 offset:10240
	ds_load_b128 v[147:150], v215 offset:11264
	;; [unrolled: 1-line block ×4, first 2 shown]
	v_add_co_u32 v199, vcc_lo, v216, s40
	v_add_co_ci_u32_e32 v200, vcc_lo, s41, v217, vcc_lo
	v_add_co_u32 v159, vcc_lo, v216, s2
	v_add_co_ci_u32_e32 v160, vcc_lo, s3, v217, vcc_lo
	s_lshl_b64 s[2:3], s[4:5], 1
	s_delay_alu instid0(SALU_CYCLE_1)
	v_add_co_u32 v161, vcc_lo, v216, s2
	v_add_co_ci_u32_e32 v162, vcc_lo, s3, v217, vcc_lo
	s_waitcnt vmcnt(36) lgkmcnt(2)
	v_wmma_f32_16x16x16_f16 v[191:198], v[33:40], v[143:150], v[191:198]
	s_waitcnt vmcnt(34)
	v_wmma_f32_16x16x16_f16 v[129:136], v[41:48], v[143:150], v[129:136]
	s_clause 0x3
	global_load_b128 v[33:36], v[199:200], off
	global_load_b128 v[37:40], v[199:200], off offset:16
	global_load_b128 v[41:44], v[159:160], off
	global_load_b128 v[45:48], v[159:160], off offset:16
	v_and_b32_e32 v143, 0xe0, v0
	v_mbcnt_lo_u32_b32 v159, -1, 0
	s_waitcnt vmcnt(36) lgkmcnt(0)
	v_wmma_f32_16x16x16_f16 v[191:198], v[17:24], v[151:158], v[191:198]
	s_clause 0x1
	global_load_b128 v[17:20], v[161:162], off
	global_load_b128 v[21:24], v[161:162], off offset:16
	s_waitcnt vmcnt(36)
	v_wmma_f32_16x16x16_f16 v[129:136], v[167:174], v[151:158], v[129:136]
	v_add_nc_u32_e32 v160, s29, v143
	ds_load_b128 v[143:146], v215 offset:14336
	ds_load_b128 v[147:150], v215 offset:15360
	v_xor_b32_e32 v151, 16, v159
	s_waitcnt vmcnt(0) lgkmcnt(0)
	s_barrier
	v_or_b32_e32 v152, v160, v138
	buffer_gl0_inv
	v_cmp_gt_i32_e32 vcc_lo, 32, v151
	v_or_b32_e32 v153, 2, v152
	v_or_b32_e32 v154, 4, v152
	;; [unrolled: 1-line block ×5, first 2 shown]
	v_cmp_gt_i32_e64 s2, s28, v153
	v_cmp_gt_i32_e64 s3, s28, v154
	;; [unrolled: 1-line block ×3, first 2 shown]
	v_or_b32_e32 v158, 12, v152
	v_cmp_gt_i32_e64 s5, s28, v156
	v_cmp_gt_i32_e64 s6, s28, v157
	v_wmma_f32_16x16x16_f16 v[191:198], v[175:182], v[143:150], v[191:198]
	v_wmma_f32_16x16x16_f16 v[129:136], v[183:190], v[143:150], v[129:136]
	v_cndmask_b32_e32 v151, v159, v151, vcc_lo
	v_cmp_gt_i32_e32 vcc_lo, s28, v152
	v_or_b32_e32 v159, 14, v152
	v_dual_mul_f32 v149, s30, v192 :: v_dual_mul_f32 v150, s30, v191
	v_dual_mul_f32 v147, s30, v194 :: v_dual_mul_f32 v148, s30, v193
	v_mul_f32_e32 v145, s30, v196
	s_delay_alu instid0(VALU_DEP_3) | instskip(NEXT) | instid1(VALU_DEP_4)
	v_cndmask_b32_e64 v149, 0xff7fffff, v149, s2
	v_cndmask_b32_e32 v150, 0xff7fffff, v150, vcc_lo
	v_mul_f32_e32 v146, s30, v195
	v_cndmask_b32_e64 v148, 0xff7fffff, v148, s3
	v_cndmask_b32_e64 v147, 0xff7fffff, v147, s4
	v_or_b32_e32 v160, 16, v152
	v_max3_f32 v149, v150, 0xff7fffff, v149
	v_or_b32_e32 v161, 18, v152
	v_dual_mul_f32 v143, s30, v198 :: v_dual_mul_f32 v144, s30, v197
	v_cndmask_b32_e64 v146, 0xff7fffff, v146, s5
	v_cndmask_b32_e64 v145, 0xff7fffff, v145, s6
	v_max3_f32 v147, v149, v148, v147
	v_cmp_gt_i32_e64 s7, s28, v158
	v_cmp_gt_i32_e64 s8, s28, v159
	v_or_b32_e32 v162, 20, v152
	v_or_b32_e32 v163, 22, v152
	v_dual_mul_f32 v174, s30, v130 :: v_dual_mul_f32 v175, s30, v129
	v_cndmask_b32_e64 v144, 0xff7fffff, v144, s7
	v_cndmask_b32_e64 v143, 0xff7fffff, v143, s8
	v_max3_f32 v145, v147, v146, v145
	v_cmp_gt_i32_e64 s9, s28, v160
	v_cmp_gt_i32_e64 s10, s28, v161
	v_or_b32_e32 v164, 24, v152
	;; [unrolled: 8-line block ×3, first 2 shown]
	v_or_b32_e32 v167, 30, v152
	v_dual_mul_f32 v170, s30, v134 :: v_dual_mul_f32 v171, s30, v133
	v_cndmask_b32_e64 v144, 0xff7fffff, v173, s11
	v_cndmask_b32_e64 v145, 0xff7fffff, v172, s12
	v_max3_f32 v143, v143, v146, v147
	v_cmp_gt_i32_e64 s13, s28, v164
	v_cmp_gt_i32_e64 s15, s28, v165
	v_dual_mul_f32 v168, s30, v136 :: v_dual_mul_f32 v169, s30, v135
	s_delay_alu instid0(VALU_DEP_4) | instskip(NEXT) | instid1(VALU_DEP_4)
	v_max3_f32 v143, v143, v144, v145
	v_cndmask_b32_e64 v146, 0xff7fffff, v171, s13
	s_delay_alu instid0(VALU_DEP_4) | instskip(SKIP_3) | instid1(VALU_DEP_4)
	v_cndmask_b32_e64 v147, 0xff7fffff, v170, s15
	v_cmp_gt_i32_e64 s16, s28, v166
	v_cmp_gt_i32_e64 s17, s28, v167
	v_lshlrev_b32_e32 v160, 2, v151
	v_max3_f32 v143, v143, v146, v147
	s_delay_alu instid0(VALU_DEP_4) | instskip(NEXT) | instid1(VALU_DEP_4)
	v_cndmask_b32_e64 v144, 0xff7fffff, v169, s16
	v_cndmask_b32_e64 v145, 0xff7fffff, v168, s17
	s_delay_alu instid0(VALU_DEP_1) | instskip(SKIP_3) | instid1(VALU_DEP_1)
	v_max3_f32 v143, v143, v144, v145
	ds_bpermute_b32 v144, v160, v143
	s_waitcnt lgkmcnt(0)
	v_max_f32_e32 v144, v144, v144
	v_max_f32_e32 v159, v143, v144
	s_delay_alu instid0(VALU_DEP_1) | instskip(SKIP_4) | instid1(VALU_DEP_4)
	v_fma_f32 v143, s30, v191, -v159
	v_fma_f32 v144, s30, v192, -v159
	;; [unrolled: 1-line block ×5, first 2 shown]
	v_dual_mul_f32 v143, 0x3fb8aa3b, v143 :: v_dual_mul_f32 v144, 0x3fb8aa3b, v144
	s_delay_alu instid0(VALU_DEP_4) | instskip(SKIP_2) | instid1(VALU_DEP_4)
	v_mul_f32_e32 v132, 0x3fb8aa3b, v132
	v_fma_f32 v134, s30, v134, -v159
	v_mul_f32_e32 v145, 0x3fb8aa3b, v145
	v_exp_f32_e32 v143, v143
	v_exp_f32_e32 v147, v144
	v_fma_f32 v148, s30, v195, -v159
	v_mul_f32_e32 v134, 0x3fb8aa3b, v134
	v_mul_f32_e32 v146, 0x3fb8aa3b, v146
	v_exp_f32_e32 v145, v145
	v_fma_f32 v149, s30, v196, -v159
	v_mul_f32_e32 v148, 0x3fb8aa3b, v148
	v_fma_f32 v151, s30, v197, -v159
	v_exp_f32_e32 v150, v146
	v_cndmask_b32_e32 v144, 0, v143, vcc_lo
	v_cndmask_b32_e64 v143, 0, v147, s2
	v_mul_f32_e32 v149, 0x3fb8aa3b, v149
	v_exp_f32_e32 v148, v148
	v_fma_f32 v152, s30, v198, -v159
	v_add_f32_e32 v147, 0, v144
	v_cndmask_b32_e64 v146, 0, v145, s3
	v_mul_f32_e32 v151, 0x3fb8aa3b, v151
	v_exp_f32_e32 v149, v149
	v_cndmask_b32_e64 v145, 0, v150, s4
	v_add_f32_e32 v147, v147, v143
	v_fma_f32 v129, s30, v129, -v159
	v_mul_f32_e32 v150, 0x3fb8aa3b, v152
	v_exp_f32_e32 v151, v151
	v_cndmask_b32_e64 v148, 0, v148, s5
	v_add_f32_e32 v147, v147, v146
	v_fma_f32 v130, s30, v130, -v159
	v_mul_f32_e32 v129, 0x3fb8aa3b, v129
	v_exp_f32_e32 v153, v150
	v_fma_f32 v131, s30, v131, -v159
	v_add_f32_e32 v152, v147, v145
	v_cndmask_b32_e64 v147, 0, v149, s6
	v_mul_f32_e32 v130, 0x3fb8aa3b, v130
	v_exp_f32_e32 v129, v129
	v_cndmask_b32_e64 v150, 0, v151, s7
	v_add_f32_e32 v149, v152, v148
	v_mul_f32_e32 v131, 0x3fb8aa3b, v131
	v_exp_f32_e32 v130, v130
	v_fma_f32 v133, s30, v133, -v159
	v_exp_f32_e32 v132, v132
	v_add_f32_e32 v151, v149, v147
	v_cndmask_b32_e64 v149, 0, v153, s8
	v_exp_f32_e32 v131, v131
	v_cndmask_b32_e64 v152, 0, v129, s9
	v_mul_f32_e32 v133, 0x3fb8aa3b, v133
	v_add_f32_e32 v151, v151, v150
	v_cmp_gt_u32_e64 s2, 16, v142
	s_delay_alu instid0(VALU_DEP_3) | instskip(NEXT) | instid1(VALU_DEP_2)
	v_exp_f32_e32 v133, v133
	v_add_f32_e32 v129, v151, v149
	v_cndmask_b32_e64 v151, 0, v130, s10
	v_fma_f32 v130, s30, v135, -v159
	s_delay_alu instid0(TRANS32_DEP_2)
	v_cndmask_b32_e64 v154, 0, v131, s11
	v_exp_f32_e32 v131, v134
	v_add_f32_e32 v129, v129, v152
	v_cndmask_b32_e64 v153, 0, v132, s12
	v_mul_f32_e32 v130, 0x3fb8aa3b, v130
	v_fma_f32 v132, s30, v136, -v159
	v_cndmask_b32_e64 v156, 0, v133, s13
	v_add_f32_e32 v129, v129, v151
	s_delay_alu instid0(VALU_DEP_4) | instskip(NEXT) | instid1(VALU_DEP_3)
	v_exp_f32_e32 v130, v130
	v_mul_f32_e32 v132, 0x3fb8aa3b, v132
	s_delay_alu instid0(TRANS32_DEP_2) | instskip(NEXT) | instid1(VALU_DEP_3)
	v_cndmask_b32_e64 v155, 0, v131, s15
	v_add_f32_e32 v129, v129, v154
	s_delay_alu instid0(VALU_DEP_3) | instskip(NEXT) | instid1(VALU_DEP_1)
	v_exp_f32_e32 v131, v132
	v_add_f32_e32 v129, v129, v153
	s_waitcnt_depctr 0xfff
	v_cndmask_b32_e64 v158, 0, v130, s16
	v_add_f32_e32 v129, v129, v156
	v_cndmask_b32_e64 v157, 0, v131, s17
	s_delay_alu instid0(VALU_DEP_2) | instskip(NEXT) | instid1(VALU_DEP_1)
	v_add_f32_e32 v129, v129, v155
	v_add_f32_e32 v129, v129, v158
	s_delay_alu instid0(VALU_DEP_1)
	v_add_f32_e32 v129, v129, v157
	ds_bpermute_b32 v130, v160, v129
	s_and_saveexec_b32 s3, s2
	s_cbranch_execz .LBB262_12
; %bb.11:
	v_mul_u32_u24_e32 v131, 0x44, v141
	s_delay_alu instid0(VALU_DEP_1) | instskip(SKIP_1) | instid1(VALU_DEP_1)
	v_lshl_add_u32 v131, v140, 2, v131
	s_waitcnt lgkmcnt(0)
	v_dual_add_f32 v129, v129, v130 :: v_dual_add_nc_u32 v130, 0x4000, v131
	ds_store_2addr_b32 v130, v159, v129 offset1:136
.LBB262_12:
	s_or_b32 exec_lo, exec_lo, s3
	v_lshlrev_b32_e32 v129, 2, v140
	s_load_b32 s35, s[0:1], 0x94
	s_waitcnt lgkmcnt(0)
	s_barrier
	buffer_gl0_inv
	v_add_nc_u32_e32 v135, 0x4000, v129
	v_cmp_eq_u32_e32 vcc_lo, 1, v141
	v_cmp_eq_u32_e64 s3, 2, v141
	v_cmp_eq_u32_e64 s4, 3, v141
	v_cmp_eq_u32_e64 s5, 4, v141
	ds_load_2addr_b32 v[129:130], v135 offset1:17
	ds_load_2addr_b32 v[131:132], v135 offset0:34 offset1:51
	ds_load_2addr_b32 v[133:134], v135 offset0:68 offset1:85
	;; [unrolled: 1-line block ×3, first 2 shown]
	v_cmp_eq_u32_e64 s6, 5, v141
	v_cmp_eq_u32_e64 s7, 7, v141
	s_waitcnt lgkmcnt(3)
	v_max3_f32 v136, v129, 0xff7fffff, v130
	s_waitcnt lgkmcnt(2)
	s_delay_alu instid0(VALU_DEP_1) | instskip(SKIP_1) | instid1(VALU_DEP_1)
	v_max3_f32 v136, v136, v131, v132
	s_waitcnt lgkmcnt(1)
	v_max3_f32 v136, v136, v133, v134
	s_waitcnt lgkmcnt(0)
	s_delay_alu instid0(VALU_DEP_1) | instskip(NEXT) | instid1(VALU_DEP_1)
	v_max3_f32 v136, v136, v159, v160
	v_sub_f32_e32 v142, v130, v136
	ds_load_2addr_b32 v[161:162], v135 offset0:136 offset1:153
	v_sub_f32_e32 v164, v132, v136
	v_mul_f32_e32 v142, 0x3fb8aa3b, v142
	s_delay_alu instid0(VALU_DEP_2) | instskip(NEXT) | instid1(VALU_DEP_2)
	v_mul_f32_e32 v164, 0x3fb8aa3b, v164
	v_exp_f32_e32 v166, v142
	v_sub_f32_e32 v129, v129, v136
	s_delay_alu instid0(VALU_DEP_2) | instskip(NEXT) | instid1(VALU_DEP_1)
	v_exp_f32_e32 v164, v164
	v_mul_f32_e32 v163, 0x3fb8aa3b, v129
	ds_load_2addr_b32 v[129:130], v135 offset0:170 offset1:187
	v_exp_f32_e32 v163, v163
	s_waitcnt lgkmcnt(1)
	s_waitcnt_depctr 0xfff
	v_fma_f32 v142, v163, v161, 0
	v_sub_f32_e32 v161, v134, v136
	s_delay_alu instid0(VALU_DEP_2) | instskip(NEXT) | instid1(VALU_DEP_1)
	v_dual_fmac_f32 v142, v166, v162 :: v_dual_sub_f32 v131, v131, v136
	v_mul_f32_e32 v165, 0x3fb8aa3b, v131
	ds_load_2addr_b32 v[131:132], v135 offset0:204 offset1:221
	v_exp_f32_e32 v165, v165
	s_waitcnt lgkmcnt(1)
	s_waitcnt_depctr 0xfff
	v_fmac_f32_e32 v142, v165, v129
	v_sub_f32_e32 v133, v133, v136
	v_sub_f32_e32 v129, v160, v136
	s_delay_alu instid0(VALU_DEP_2) | instskip(NEXT) | instid1(VALU_DEP_2)
	v_dual_fmac_f32 v142, v164, v130 :: v_dual_mul_f32 v167, 0x3fb8aa3b, v133
	v_mul_f32_e32 v129, 0x3fb8aa3b, v129
	ds_load_2addr_b32 v[133:134], v135 offset0:238 offset1:255
	v_cndmask_b32_e32 v130, v163, v166, vcc_lo
	s_waitcnt lgkmcnt(0)
	s_barrier
	v_exp_f32_e32 v162, v129
	v_sub_f32_e32 v135, v159, v136
	v_mul_f32_e32 v159, 0x3fb8aa3b, v161
	v_exp_f32_e32 v161, v167
	buffer_gl0_inv
	v_exp_f32_e32 v159, v159
	v_fmac_f32_e32 v142, v161, v131
	s_waitcnt_depctr 0xfff
	v_dual_mul_f32 v135, 0x3fb8aa3b, v135 :: v_dual_fmac_f32 v142, v159, v132
	s_delay_alu instid0(VALU_DEP_1) | instskip(SKIP_2) | instid1(VALU_DEP_1)
	v_exp_f32_e32 v160, v135
	s_waitcnt_depctr 0xfff
	v_dual_fmac_f32 v142, v160, v133 :: v_dual_lshlrev_b32 v133, 6, v140
	v_fmac_f32_e32 v142, v162, v134
	s_delay_alu instid0(VALU_DEP_2) | instskip(NEXT) | instid1(VALU_DEP_2)
	v_lshl_or_b32 v135, v141, 11, v133
	v_add_f32_e32 v134, 0x358637bd, v142
	s_delay_alu instid0(VALU_DEP_1) | instskip(SKIP_1) | instid1(VALU_DEP_2)
	v_div_scale_f32 v167, null, v134, v134, 1.0
	v_div_scale_f32 v163, vcc_lo, 1.0, v134, 1.0
	v_rcp_f32_e32 v168, v167
	s_waitcnt_depctr 0xfff
	v_fma_f32 v129, -v167, v168, 1.0
	s_delay_alu instid0(VALU_DEP_1) | instskip(SKIP_2) | instid1(VALU_DEP_2)
	v_fmac_f32_e32 v168, v129, v168
	v_cndmask_b32_e64 v129, v130, v165, s3
	v_cmp_eq_u32_e64 s3, 6, v141
	v_cndmask_b32_e64 v130, v129, v164, s4
	v_lshlrev_b32_e32 v129, 2, v138
	v_mul_f32_e32 v165, v163, v168
	s_delay_alu instid0(VALU_DEP_3) | instskip(NEXT) | instid1(VALU_DEP_3)
	v_cndmask_b32_e64 v161, v130, v161, s5
	v_or_b32_e32 v130, 1, v129
	s_delay_alu instid0(VALU_DEP_3)
	v_fma_f32 v131, -v167, v165, v163
	v_or_b32_e32 v132, 2, v129
	v_cmp_eq_u32_e64 s4, 1, v129
	v_cndmask_b32_e64 v141, v161, v159, s6
	v_cmp_eq_u32_e64 s9, 1, v130
	v_fmac_f32_e32 v165, v131, v168
	v_or_b32_e32 v131, 3, v129
	v_cmp_eq_u32_e64 s10, 1, v132
	v_cndmask_b32_e64 v141, v141, v160, s3
	v_cmp_eq_u32_e64 s5, 2, v129
	v_fma_f32 v159, -v167, v165, v163
	v_cmp_eq_u32_e64 s11, 1, v131
	v_cmp_eq_u32_e64 s16, 2, v131
	v_cndmask_b32_e64 v141, v141, v162, s7
	v_cmp_eq_u32_e64 s12, 2, v130
	v_div_fmas_f32 v159, v159, v168, v165
	v_cmp_eq_u32_e64 s18, 3, v131
	v_cmp_eq_u32_e32 vcc_lo, 3, v129
	v_cmp_eq_u32_e64 s13, 3, v130
	v_cmp_eq_u32_e64 s15, 2, v132
	v_div_fixup_f32 v159, v159, v134, 1.0
	v_lshl_or_b32 v134, v138, 4, v135
	v_cmp_eq_u32_e64 s22, 4, v131
	v_cmp_eq_u32_e64 s3, 4, v129
	;; [unrolled: 1-line block ×3, first 2 shown]
	v_mul_f32_e32 v141, v141, v159
	v_cmp_eq_u32_e64 s19, 4, v130
	v_cmp_eq_u32_e64 s24, 5, v131
	;; [unrolled: 1-line block ×4, first 2 shown]
	v_fma_mixlo_f16 v159, v141, v144, 0
	v_fma_mixlo_f16 v160, v141, v146, 0
	;; [unrolled: 1-line block ×8, first 2 shown]
	v_fma_mixhi_f16 v159, v141, v143, 0
	v_fma_mixhi_f16 v160, v141, v145, 0
	;; [unrolled: 1-line block ×8, first 2 shown]
	ds_store_b128 v134, v[159:162]
	ds_store_b128 v134, v[163:166] offset:1024
	s_waitcnt lgkmcnt(0)
	s_barrier
	buffer_gl0_inv
	ds_load_b128 v[143:146], v135
	ds_load_b128 v[147:150], v135 offset:16
	ds_load_b128 v[151:154], v135 offset:1024
	ds_load_b128 v[155:158], v135 offset:1040
	v_cmp_eq_u32_e64 s21, 4, v132
	v_cmp_eq_u32_e64 s27, 6, v131
	;; [unrolled: 1-line block ×10, first 2 shown]
	s_waitcnt lgkmcnt(3)
	v_lshrrev_b32_e32 v141, 16, v143
	s_waitcnt lgkmcnt(2)
	v_lshrrev_b32_e32 v162, 16, v147
	v_lshrrev_b32_e32 v159, 16, v144
	;; [unrolled: 1-line block ×3, first 2 shown]
	s_waitcnt lgkmcnt(1)
	v_lshrrev_b32_e32 v166, 16, v151
	v_cndmask_b32_e64 v174, v143, v141, s4
	v_cndmask_b32_e64 v176, v143, v141, s9
	;; [unrolled: 1-line block ×5, first 2 shown]
	s_waitcnt lgkmcnt(0)
	v_lshrrev_b32_e32 v170, 16, v155
	v_cndmask_b32_e64 v175, v147, v162, s4
	v_cndmask_b32_e64 v177, v147, v162, s9
	;; [unrolled: 1-line block ×19, first 2 shown]
	v_lshrrev_b32_e32 v160, 16, v145
	v_lshrrev_b32_e32 v164, 16, v149
	;; [unrolled: 1-line block ×4, first 2 shown]
	v_cndmask_b32_e64 v176, v178, v144, s15
	v_cndmask_b32_e64 v177, v179, v148, s15
	;; [unrolled: 1-line block ×8, first 2 shown]
	v_cndmask_b32_e32 v155, v166, v159, vcc_lo
	v_cndmask_b32_e32 v166, v170, v163, vcc_lo
	v_cndmask_b32_e64 v170, v174, v159, s13
	v_cndmask_b32_e64 v174, v175, v163, s13
	;; [unrolled: 1-line block ×6, first 2 shown]
	v_cndmask_b32_e32 v144, v144, v167, vcc_lo
	v_cndmask_b32_e32 v147, v147, v171, vcc_lo
	v_cndmask_b32_e64 v148, v148, v167, s13
	v_cndmask_b32_e64 v155, v155, v145, s3
	;; [unrolled: 1-line block ×7, first 2 shown]
	v_lshrrev_b32_e32 v161, 16, v146
	v_lshrrev_b32_e32 v165, 16, v150
	;; [unrolled: 1-line block ×4, first 2 shown]
	v_cndmask_b32_e64 v170, v175, v145, s21
	v_cndmask_b32_e64 v174, v176, v149, s21
	;; [unrolled: 1-line block ×22, first 2 shown]
	v_lshrrev_b32_e32 v169, 16, v154
	v_cndmask_b32_e64 v160, v163, v146, s26
	v_cndmask_b32_e64 v163, v166, v150, s26
	;; [unrolled: 1-line block ×9, first 2 shown]
	v_perm_b32 v146, v143, v141, 0x5040100
	v_cndmask_b32_e64 v141, v183, v156, s15
	v_cndmask_b32_e64 v143, v181, v156, s12
	;; [unrolled: 1-line block ×4, first 2 shown]
	v_perm_b32 v144, v159, v149, 0x5040100
	v_cndmask_b32_e64 v149, v162, v167, s17
	v_cndmask_b32_e64 v151, v151, v167, s18
	;; [unrolled: 1-line block ×15, first 2 shown]
	v_lshrrev_b32_e32 v173, 16, v158
	v_cndmask_b32_e64 v149, v149, v154, s26
	v_cndmask_b32_e64 v151, v151, v154, s27
	;; [unrolled: 1-line block ×13, first 2 shown]
	v_perm_b32 v145, v160, v155, 0x5040100
	v_perm_b32 v143, v148, v147, 0x5040100
	v_perm_b32 v150, v152, v151, 0x5040100
	v_perm_b32 v149, v141, v149, 0x5040100
	v_perm_b32 v148, v153, v163, 0x5040100
	v_perm_b32 v147, v154, v161, 0x5040100
	s_mul_i32 s7, s33, 13
	s_mov_b32 s3, exec_lo
	ds_store_b128 v134, v[143:146]
	ds_store_b128 v134, v[147:150] offset:1024
	v_cmpx_gt_u32_e32 13, v0
	s_cbranch_execz .LBB262_14
; %bb.13:
	s_mul_i32 s4, s7, s34
	s_load_b128 s[8:11], s[0:1], 0x58
	v_add3_u32 v143, s4, s31, v140
	s_delay_alu instid0(VALU_DEP_1) | instskip(NEXT) | instid1(VALU_DEP_1)
	v_mad_u64_u32 v[140:141], null, v143, s35, s[14:15]
	v_ashrrev_i32_e32 v141, 31, v140
	s_delay_alu instid0(VALU_DEP_1) | instskip(SKIP_1) | instid1(VALU_DEP_1)
	v_lshlrev_b64 v[140:141], 2, v[140:141]
	s_waitcnt lgkmcnt(0)
	v_add_co_u32 v143, vcc_lo, s10, v140
	s_delay_alu instid0(VALU_DEP_2)
	v_add_co_ci_u32_e32 v144, vcc_lo, s11, v141, vcc_lo
	v_add_co_u32 v140, vcc_lo, s8, v140
	v_add_co_ci_u32_e32 v141, vcc_lo, s9, v141, vcc_lo
	global_store_b32 v[143:144], v136, off
	global_store_b32 v[140:141], v142, off
.LBB262_14:
	s_or_b32 exec_lo, exec_lo, s3
	s_waitcnt lgkmcnt(0)
	s_waitcnt_vscnt null, 0x0
	s_barrier
	buffer_gl0_inv
	ds_load_b128 v[148:151], v133
	ds_load_b128 v[152:155], v133 offset:16
	ds_load_b128 v[160:163], v133 offset:1040
	;; [unrolled: 1-line block ×5, first 2 shown]
	v_cmp_eq_u32_e32 vcc_lo, 1, v132
	v_mov_b32_e32 v140, 0
	ds_load_b128 v[176:179], v133 offset:3088
	ds_load_b128 v[172:175], v133 offset:3072
	ds_load_b128 v[184:187], v133 offset:4112
	ds_load_b128 v[180:183], v133 offset:4096
	v_cmp_eq_u32_e64 s3, 1, v129
	v_cmp_eq_u32_e64 s4, 1, v131
	;; [unrolled: 1-line block ×3, first 2 shown]
	v_mov_b32_e32 v141, v140
	v_mov_b32_e32 v142, v140
	;; [unrolled: 1-line block ×7, first 2 shown]
	v_cmp_eq_u32_e64 s6, 2, v129
	s_waitcnt lgkmcnt(8)
	s_delay_alu instid0(VALU_DEP_2)
	v_wmma_f32_16x16x16_f16 v[140:147], v[121:128], v[148:155], v[140:147]
	ds_load_b128 v[125:128], v133 offset:5136
	ds_load_b128 v[121:124], v133 offset:5120
	s_waitcnt lgkmcnt(8)
	v_wmma_f32_16x16x16_f16 v[140:147], v[113:120], v[156:163], v[140:147]
	ds_load_b128 v[117:120], v133 offset:6160
	ds_load_b128 v[113:116], v133 offset:6144
	s_waitcnt lgkmcnt(8)
	;; [unrolled: 4-line block ×11, first 2 shown]
	s_barrier
	buffer_gl0_inv
	v_wmma_f32_16x16x16_f16 v[140:147], v[1:8], v[73:80], v[140:147]
	s_delay_alu instid0(VALU_DEP_1) | instskip(NEXT) | instid1(VALU_DEP_1)
	v_wmma_f32_16x16x16_f16 v[140:147], v[9:16], v[65:72], v[140:147]
	v_wmma_f32_16x16x16_f16 v[140:147], v[33:40], v[57:64], v[140:147]
	s_delay_alu instid0(VALU_DEP_1) | instskip(NEXT) | instid1(VALU_DEP_1)
	v_wmma_f32_16x16x16_f16 v[140:147], v[41:48], v[49:56], v[140:147]
	v_wmma_f32_16x16x16_f16 v[140:147], v[17:24], v[25:32], v[140:147]
	s_delay_alu instid0(VALU_DEP_1) | instskip(NEXT) | instid1(VALU_DEP_2)
	v_cvt_f16_f32_e64 v1, v140
	v_cvt_f16_f32_e64 v2, v141
	s_delay_alu instid0(VALU_DEP_3) | instskip(NEXT) | instid1(VALU_DEP_4)
	v_cvt_f16_f32_e64 v3, v142
	v_cvt_f16_f32_e64 v4, v143
	;; [unrolled: 1-line block ×6, first 2 shown]
	v_pack_b32_f16 v1, v1, v2
	v_pack_b32_f16 v2, v3, v4
	;; [unrolled: 1-line block ×3, first 2 shown]
	s_delay_alu instid0(VALU_DEP_4)
	v_pack_b32_f16 v4, v7, v8
	ds_store_b128 v134, v[1:4]
	s_waitcnt lgkmcnt(0)
	s_barrier
	buffer_gl0_inv
	ds_load_b128 v[1:4], v135
	ds_load_b128 v[5:8], v135 offset:16
	s_waitcnt lgkmcnt(1)
	v_lshrrev_b32_e32 v9, 16, v1
	s_waitcnt lgkmcnt(0)
	v_lshrrev_b32_e32 v13, 16, v5
	v_lshrrev_b32_e32 v10, 16, v2
	v_lshrrev_b32_e32 v14, 16, v6
	v_lshrrev_b32_e32 v11, 16, v3
	v_cndmask_b32_e64 v17, v1, v9, s3
	v_cndmask_b32_e64 v18, v5, v13, s3
	;; [unrolled: 1-line block ×3, first 2 shown]
	v_cmp_eq_u32_e64 s3, 2, v130
	v_cndmask_b32_e64 v20, v5, v13, s5
	v_cndmask_b32_e32 v21, v1, v9, vcc_lo
	v_cndmask_b32_e32 v22, v5, v13, vcc_lo
	v_cndmask_b32_e64 v1, v1, v9, s4
	v_cndmask_b32_e64 v5, v5, v13, s4
	v_cmp_eq_u32_e32 vcc_lo, 2, v132
	v_cmp_eq_u32_e64 s4, 2, v131
	v_cndmask_b32_e64 v9, v17, v2, s6
	v_cndmask_b32_e64 v13, v18, v6, s6
	v_cndmask_b32_e64 v17, v19, v2, s3
	v_cndmask_b32_e64 v18, v20, v6, s3
	v_cndmask_b32_e32 v19, v21, v2, vcc_lo
	v_cmp_eq_u32_e64 s3, 3, v132
	v_cndmask_b32_e32 v20, v22, v6, vcc_lo
	v_cndmask_b32_e64 v1, v1, v2, s4
	v_cmp_eq_u32_e32 vcc_lo, 3, v131
	v_cmp_eq_u32_e64 s5, 3, v129
	v_cndmask_b32_e64 v2, v5, v6, s4
	v_cmp_eq_u32_e64 s4, 3, v130
	v_cmp_eq_u32_e64 s6, 4, v129
	v_cndmask_b32_e32 v1, v1, v10, vcc_lo
	v_cndmask_b32_e64 v5, v9, v10, s5
	v_cndmask_b32_e64 v6, v13, v14, s5
	;; [unrolled: 1-line block ×3, first 2 shown]
	v_cmp_eq_u32_e64 s5, 4, v130
	v_cndmask_b32_e64 v13, v18, v14, s4
	v_cndmask_b32_e64 v17, v19, v10, s3
	;; [unrolled: 1-line block ×3, first 2 shown]
	v_cndmask_b32_e32 v2, v2, v14, vcc_lo
	v_cmp_eq_u32_e32 vcc_lo, 4, v132
	v_cmp_eq_u32_e64 s4, 4, v131
	v_lshrrev_b32_e32 v15, 16, v7
	v_cndmask_b32_e64 v5, v5, v3, s6
	v_cndmask_b32_e64 v6, v6, v7, s6
	v_cndmask_b32_e32 v14, v18, v7, vcc_lo
	v_cndmask_b32_e64 v9, v9, v3, s5
	v_cndmask_b32_e64 v10, v13, v7, s5
	v_cndmask_b32_e32 v13, v17, v3, vcc_lo
	v_cmp_eq_u32_e64 s3, 5, v132
	v_cndmask_b32_e64 v1, v1, v3, s4
	v_cmp_eq_u32_e32 vcc_lo, 5, v131
	v_cmp_eq_u32_e64 s5, 5, v129
	v_cndmask_b32_e64 v2, v2, v7, s4
	v_cmp_eq_u32_e64 s4, 5, v130
	v_cmp_eq_u32_e64 s6, 6, v129
	v_lshrrev_b32_e32 v12, 16, v4
	v_cndmask_b32_e64 v3, v5, v11, s5
	v_cndmask_b32_e64 v5, v6, v15, s5
	v_cndmask_b32_e64 v6, v9, v11, s4
	v_cmp_eq_u32_e64 s5, 6, v130
	v_cndmask_b32_e64 v7, v10, v15, s4
	v_cndmask_b32_e64 v9, v13, v11, s3
	;; [unrolled: 1-line block ×3, first 2 shown]
	v_cndmask_b32_e32 v1, v1, v11, vcc_lo
	v_cndmask_b32_e32 v2, v2, v15, vcc_lo
	v_cmp_eq_u32_e32 vcc_lo, 6, v132
	v_cmp_eq_u32_e64 s3, 6, v131
	v_lshrrev_b32_e32 v16, 16, v8
	v_cndmask_b32_e64 v3, v3, v4, s6
	v_cndmask_b32_e64 v5, v5, v8, s6
	v_cndmask_b32_e32 v9, v9, v4, vcc_lo
	v_cndmask_b32_e64 v6, v6, v4, s5
	v_cndmask_b32_e64 v7, v7, v8, s5
	v_cmp_eq_u32_e64 s4, 7, v132
	v_cndmask_b32_e32 v10, v10, v8, vcc_lo
	v_cndmask_b32_e64 v1, v1, v4, s3
	v_cmp_eq_u32_e32 vcc_lo, 7, v131
	v_cndmask_b32_e64 v2, v2, v8, s3
	v_cmp_eq_u32_e64 s3, 7, v129
	v_cmp_eq_u32_e64 s5, 7, v130
	v_cndmask_b32_e32 v1, v1, v12, vcc_lo
	s_delay_alu instid0(VALU_DEP_4) | instskip(NEXT) | instid1(VALU_DEP_4)
	v_cndmask_b32_e32 v2, v2, v16, vcc_lo
	v_cndmask_b32_e64 v8, v3, v12, s3
	s_delay_alu instid0(VALU_DEP_4)
	v_cndmask_b32_e64 v6, v6, v12, s5
	v_cndmask_b32_e64 v3, v9, v12, s4
	;; [unrolled: 1-line block ×5, first 2 shown]
	v_perm_b32 v4, v2, v1, 0x5040100
	s_mov_b32 s3, exec_lo
	v_perm_b32 v3, v9, v3, 0x5040100
	v_perm_b32 v2, v7, v6, 0x5040100
	;; [unrolled: 1-line block ×3, first 2 shown]
	ds_store_b128 v134, v[1:4]
	s_waitcnt lgkmcnt(0)
	s_barrier
	buffer_gl0_inv
	v_cmpx_gt_u32_e32 32, v0
	s_cbranch_execz .LBB262_2
; %bb.15:
	s_load_b64 s[4:5], s[0:1], 0x68
	v_lshlrev_b32_e32 v0, 10, v0
	v_lshlrev_b32_e32 v1, 4, v139
	s_lshl_b32 s0, s35, 7
	v_add_nc_u32_e32 v18, s31, v138
	s_mul_i32 s1, s0, s34
	s_delay_alu instid0(VALU_DEP_2) | instskip(SKIP_1) | instid1(VALU_DEP_2)
	v_and_or_b32 v0, 0x3800, v0, v1
	s_mul_i32 s6, s1, s7
	v_mul_lo_u32 v1, v18, s0
	s_ashr_i32 s7, s6, 31
	v_add_nc_u32_e32 v2, 2, v18
	v_lshl_or_b32 v19, v138, 6, v0
	s_lshl_b64 s[6:7], s[6:7], 1
	v_add_nc_u32_e32 v8, 4, v18
	v_add_nc_u32_e32 v15, 6, v18
	v_mul_lo_u32 v7, v2, s0
	ds_load_b128 v[3:6], v19
	v_ashrrev_i32_e32 v2, 31, v1
	v_mul_lo_u32 v11, v8, s0
	s_waitcnt lgkmcnt(0)
	s_add_u32 s1, s4, s6
	s_addc_u32 s3, s5, s7
	s_lshl_b32 s4, s14, 7
	v_lshlrev_b64 v[9:10], 1, v[1:2]
	s_ashr_i32 s5, s4, 31
	v_ashrrev_i32_e32 v8, 31, v7
	s_lshl_b64 s[4:5], s[4:5], 1
	v_ashrrev_i32_e32 v12, 31, v11
	s_add_u32 s1, s1, s4
	s_addc_u32 s3, s3, s5
	v_add_co_u32 v1, s1, s1, v137
	s_delay_alu instid0(VALU_DEP_1) | instskip(SKIP_1) | instid1(VALU_DEP_3)
	v_add_co_ci_u32_e64 v2, null, s3, 0, s1
	v_mul_lo_u32 v15, v15, s0
	v_add_co_u32 v13, vcc_lo, v1, v9
	s_delay_alu instid0(VALU_DEP_3)
	v_add_co_ci_u32_e32 v14, vcc_lo, v2, v10, vcc_lo
	v_lshlrev_b64 v[16:17], 1, v[7:8]
	ds_load_b128 v[7:10], v19 offset:128
	global_store_b128 v[13:14], v[3:6], off
	v_add_nc_u32_e32 v5, 8, v18
	v_lshlrev_b64 v[3:4], 1, v[11:12]
	v_add_co_u32 v23, vcc_lo, v1, v16
	v_ashrrev_i32_e32 v16, 31, v15
	s_delay_alu instid0(VALU_DEP_4) | instskip(SKIP_3) | instid1(VALU_DEP_3)
	v_mul_lo_u32 v25, v5, s0
	v_add_nc_u32_e32 v5, 10, v18
	v_add_co_ci_u32_e32 v24, vcc_lo, v2, v17, vcc_lo
	v_add_co_u32 v27, vcc_lo, v1, v3
	v_mul_lo_u32 v29, v5, s0
	v_add_co_ci_u32_e32 v28, vcc_lo, v2, v4, vcc_lo
	v_lshlrev_b64 v[31:32], 1, v[15:16]
	ds_load_b128 v[3:6], v19 offset:256
	ds_load_b128 v[11:14], v19 offset:384
	;; [unrolled: 1-line block ×4, first 2 shown]
	v_ashrrev_i32_e32 v26, 31, v25
	v_ashrrev_i32_e32 v30, 31, v29
	v_add_co_u32 v31, vcc_lo, v1, v31
	s_delay_alu instid0(VALU_DEP_3) | instskip(SKIP_1) | instid1(VALU_DEP_4)
	v_lshlrev_b64 v[25:26], 1, v[25:26]
	v_add_co_ci_u32_e32 v32, vcc_lo, v2, v32, vcc_lo
	v_lshlrev_b64 v[29:30], 1, v[29:30]
	s_delay_alu instid0(VALU_DEP_3) | instskip(NEXT) | instid1(VALU_DEP_4)
	v_add_co_u32 v25, vcc_lo, v1, v25
	v_add_co_ci_u32_e32 v26, vcc_lo, v2, v26, vcc_lo
	s_delay_alu instid0(VALU_DEP_3) | instskip(NEXT) | instid1(VALU_DEP_4)
	v_add_co_u32 v29, vcc_lo, v1, v29
	v_add_co_ci_u32_e32 v30, vcc_lo, v2, v30, vcc_lo
	s_waitcnt lgkmcnt(4)
	global_store_b128 v[23:24], v[7:10], off
	s_waitcnt lgkmcnt(3)
	global_store_b128 v[27:28], v[3:6], off
	;; [unrolled: 2-line block ×5, first 2 shown]
	s_and_b32 exec_lo, exec_lo, s2
	s_cbranch_execz .LBB262_2
; %bb.16:
	ds_load_b128 v[3:6], v0 offset:768
	s_add_i32 s1, s31, 12
	s_delay_alu instid0(SALU_CYCLE_1) | instskip(NEXT) | instid1(SALU_CYCLE_1)
	s_mul_i32 s0, s1, s0
	s_ashr_i32 s1, s0, 31
	s_delay_alu instid0(SALU_CYCLE_1) | instskip(NEXT) | instid1(SALU_CYCLE_1)
	s_lshl_b64 s[0:1], s[0:1], 1
	v_add_co_u32 v0, vcc_lo, v1, s0
	v_add_co_ci_u32_e32 v1, vcc_lo, s1, v2, vcc_lo
	s_waitcnt lgkmcnt(0)
	global_store_b128 v[0:1], v[3:6], off
	s_nop 0
	s_sendmsg sendmsg(MSG_DEALLOC_VGPRS)
	s_endpgm
	.section	.rodata,"a",@progbits
	.p2align	6, 0x0
	.amdhsa_kernel _Z39paged_attention_ll4mi_QKV_mfma16_kernelIDF16_DF16_LN4vllm18Fp8KVCacheDataTypeE0EDF16_Li16ELi128ELi256ELb1ELi13EL8MFMAType0EEvPKT_PKT0_S8_ifPKiSA_SA_iPKfiiiPfSD_PS3_PT2_iSC_SC_
		.amdhsa_group_segment_fixed_size 17472
		.amdhsa_private_segment_fixed_size 0
		.amdhsa_kernarg_size 400
		.amdhsa_user_sgpr_count 13
		.amdhsa_user_sgpr_dispatch_ptr 0
		.amdhsa_user_sgpr_queue_ptr 0
		.amdhsa_user_sgpr_kernarg_segment_ptr 1
		.amdhsa_user_sgpr_dispatch_id 0
		.amdhsa_user_sgpr_private_segment_size 0
		.amdhsa_wavefront_size32 1
		.amdhsa_uses_dynamic_stack 0
		.amdhsa_enable_private_segment 0
		.amdhsa_system_sgpr_workgroup_id_x 1
		.amdhsa_system_sgpr_workgroup_id_y 1
		.amdhsa_system_sgpr_workgroup_id_z 1
		.amdhsa_system_sgpr_workgroup_info 0
		.amdhsa_system_vgpr_workitem_id 0
		.amdhsa_next_free_vgpr 218
		.amdhsa_next_free_sgpr 52
		.amdhsa_reserve_vcc 1
		.amdhsa_float_round_mode_32 0
		.amdhsa_float_round_mode_16_64 0
		.amdhsa_float_denorm_mode_32 3
		.amdhsa_float_denorm_mode_16_64 3
		.amdhsa_dx10_clamp 1
		.amdhsa_ieee_mode 1
		.amdhsa_fp16_overflow 0
		.amdhsa_workgroup_processor_mode 1
		.amdhsa_memory_ordered 1
		.amdhsa_forward_progress 0
		.amdhsa_shared_vgpr_count 0
		.amdhsa_exception_fp_ieee_invalid_op 0
		.amdhsa_exception_fp_denorm_src 0
		.amdhsa_exception_fp_ieee_div_zero 0
		.amdhsa_exception_fp_ieee_overflow 0
		.amdhsa_exception_fp_ieee_underflow 0
		.amdhsa_exception_fp_ieee_inexact 0
		.amdhsa_exception_int_div_zero 0
	.end_amdhsa_kernel
	.section	.text._Z39paged_attention_ll4mi_QKV_mfma16_kernelIDF16_DF16_LN4vllm18Fp8KVCacheDataTypeE0EDF16_Li16ELi128ELi256ELb1ELi13EL8MFMAType0EEvPKT_PKT0_S8_ifPKiSA_SA_iPKfiiiPfSD_PS3_PT2_iSC_SC_,"axG",@progbits,_Z39paged_attention_ll4mi_QKV_mfma16_kernelIDF16_DF16_LN4vllm18Fp8KVCacheDataTypeE0EDF16_Li16ELi128ELi256ELb1ELi13EL8MFMAType0EEvPKT_PKT0_S8_ifPKiSA_SA_iPKfiiiPfSD_PS3_PT2_iSC_SC_,comdat
.Lfunc_end262:
	.size	_Z39paged_attention_ll4mi_QKV_mfma16_kernelIDF16_DF16_LN4vllm18Fp8KVCacheDataTypeE0EDF16_Li16ELi128ELi256ELb1ELi13EL8MFMAType0EEvPKT_PKT0_S8_ifPKiSA_SA_iPKfiiiPfSD_PS3_PT2_iSC_SC_, .Lfunc_end262-_Z39paged_attention_ll4mi_QKV_mfma16_kernelIDF16_DF16_LN4vllm18Fp8KVCacheDataTypeE0EDF16_Li16ELi128ELi256ELb1ELi13EL8MFMAType0EEvPKT_PKT0_S8_ifPKiSA_SA_iPKfiiiPfSD_PS3_PT2_iSC_SC_
                                        ; -- End function
	.section	.AMDGPU.csdata,"",@progbits
; Kernel info:
; codeLenInByte = 8268
; NumSgprs: 54
; NumVgprs: 218
; ScratchSize: 0
; MemoryBound: 0
; FloatMode: 240
; IeeeMode: 1
; LDSByteSize: 17472 bytes/workgroup (compile time only)
; SGPRBlocks: 6
; VGPRBlocks: 27
; NumSGPRsForWavesPerEU: 54
; NumVGPRsForWavesPerEU: 218
; Occupancy: 6
; WaveLimiterHint : 1
; COMPUTE_PGM_RSRC2:SCRATCH_EN: 0
; COMPUTE_PGM_RSRC2:USER_SGPR: 13
; COMPUTE_PGM_RSRC2:TRAP_HANDLER: 0
; COMPUTE_PGM_RSRC2:TGID_X_EN: 1
; COMPUTE_PGM_RSRC2:TGID_Y_EN: 1
; COMPUTE_PGM_RSRC2:TGID_Z_EN: 1
; COMPUTE_PGM_RSRC2:TIDIG_COMP_CNT: 0
	.section	.text._Z39paged_attention_ll4mi_QKV_mfma16_kernelIDF16_DF16_LN4vllm18Fp8KVCacheDataTypeE0EDF16_Li16ELi128ELi256ELb1ELi14EL8MFMAType0EEvPKT_PKT0_S8_ifPKiSA_SA_iPKfiiiPfSD_PS3_PT2_iSC_SC_,"axG",@progbits,_Z39paged_attention_ll4mi_QKV_mfma16_kernelIDF16_DF16_LN4vllm18Fp8KVCacheDataTypeE0EDF16_Li16ELi128ELi256ELb1ELi14EL8MFMAType0EEvPKT_PKT0_S8_ifPKiSA_SA_iPKfiiiPfSD_PS3_PT2_iSC_SC_,comdat
	.protected	_Z39paged_attention_ll4mi_QKV_mfma16_kernelIDF16_DF16_LN4vllm18Fp8KVCacheDataTypeE0EDF16_Li16ELi128ELi256ELb1ELi14EL8MFMAType0EEvPKT_PKT0_S8_ifPKiSA_SA_iPKfiiiPfSD_PS3_PT2_iSC_SC_ ; -- Begin function _Z39paged_attention_ll4mi_QKV_mfma16_kernelIDF16_DF16_LN4vllm18Fp8KVCacheDataTypeE0EDF16_Li16ELi128ELi256ELb1ELi14EL8MFMAType0EEvPKT_PKT0_S8_ifPKiSA_SA_iPKfiiiPfSD_PS3_PT2_iSC_SC_
	.globl	_Z39paged_attention_ll4mi_QKV_mfma16_kernelIDF16_DF16_LN4vllm18Fp8KVCacheDataTypeE0EDF16_Li16ELi128ELi256ELb1ELi14EL8MFMAType0EEvPKT_PKT0_S8_ifPKiSA_SA_iPKfiiiPfSD_PS3_PT2_iSC_SC_
	.p2align	8
	.type	_Z39paged_attention_ll4mi_QKV_mfma16_kernelIDF16_DF16_LN4vllm18Fp8KVCacheDataTypeE0EDF16_Li16ELi128ELi256ELb1ELi14EL8MFMAType0EEvPKT_PKT0_S8_ifPKiSA_SA_iPKfiiiPfSD_PS3_PT2_iSC_SC_,@function
_Z39paged_attention_ll4mi_QKV_mfma16_kernelIDF16_DF16_LN4vllm18Fp8KVCacheDataTypeE0EDF16_Li16ELi128ELi256ELb1ELi14EL8MFMAType0EEvPKT_PKT0_S8_ifPKiSA_SA_iPKfiiiPfSD_PS3_PT2_iSC_SC_: ; @_Z39paged_attention_ll4mi_QKV_mfma16_kernelIDF16_DF16_LN4vllm18Fp8KVCacheDataTypeE0EDF16_Li16ELi128ELi256ELb1ELi14EL8MFMAType0EEvPKT_PKT0_S8_ifPKiSA_SA_iPKfiiiPfSD_PS3_PT2_iSC_SC_
; %bb.0:
	s_load_b64 s[4:5], s[0:1], 0x30
	s_mov_b32 s30, s13
	s_waitcnt lgkmcnt(0)
	s_cmp_lg_u64 s[4:5], 0
	s_cselect_b32 s8, -1, 0
	s_ashr_i32 s31, s13, 31
	s_cmp_eq_u64 s[4:5], 0
	s_cbranch_scc1 .LBB263_3
; %bb.1:
	s_lshl_b64 s[2:3], s[30:31], 2
	s_delay_alu instid0(SALU_CYCLE_1) | instskip(SKIP_4) | instid1(SALU_CYCLE_1)
	s_add_u32 s2, s4, s2
	s_addc_u32 s3, s5, s3
	s_load_b64 s[2:3], s[2:3], 0x0
	s_waitcnt lgkmcnt(0)
	s_sub_i32 s2, s3, s2
	s_cmp_eq_u32 s2, 1
	s_cselect_b32 s2, -1, 0
	s_delay_alu instid0(SALU_CYCLE_1)
	s_and_not1_b32 vcc_lo, exec_lo, s2
	s_cbranch_vccz .LBB263_4
.LBB263_2:
	s_endpgm
.LBB263_3:
.LBB263_4:
	s_load_b64 s[2:3], s[0:1], 0x28
	s_lshl_b64 s[6:7], s[30:31], 2
	s_waitcnt lgkmcnt(0)
	s_add_u32 s2, s2, s6
	s_addc_u32 s3, s3, s7
	s_lshl_b32 s29, s14, 8
	s_load_b32 s28, s[2:3], 0x0
	s_waitcnt lgkmcnt(0)
	s_cmp_ge_i32 s29, s28
	s_cbranch_scc1 .LBB263_2
; %bb.5:
	s_clause 0x1
	s_load_b128 s[20:23], s[0:1], 0x8
	s_load_b64 s[2:3], s[0:1], 0x20
	s_and_not1_b32 vcc_lo, exec_lo, s8
	s_cbranch_vccnz .LBB263_7
; %bb.6:
	s_add_u32 s4, s4, s6
	s_addc_u32 s5, s5, s7
	s_load_b32 s5, s[4:5], 0x0
	s_branch .LBB263_8
.LBB263_7:
	s_mov_b32 s5, s30
.LBB263_8:
	s_load_b128 s[16:19], s[0:1], 0x48
	v_and_b32_e32 v140, 15, v0
	v_lshrrev_b32_e32 v141, 5, v0
	v_and_b32_e32 v142, 31, v0
	v_and_b32_e32 v139, 1, v0
	v_bfe_u32 v138, v0, 4, 1
	v_lshlrev_b32_e32 v1, 3, v140
	s_mul_i32 s31, s15, 14
	s_mov_b32 s4, exec_lo
	s_delay_alu instid0(VALU_DEP_1)
	v_lshlrev_b32_e32 v137, 1, v1
	v_cmpx_gt_u32_e32 0xe0, v0
	s_cbranch_execz .LBB263_10
; %bb.9:
	s_load_b64 s[6:7], s[0:1], 0x0
	v_lshl_or_b32 v5, v141, 1, v138
	s_waitcnt lgkmcnt(0)
	s_mul_hi_i32 s9, s5, s16
	s_mul_i32 s8, s5, s16
	v_lshlrev_b32_e32 v6, 10, v140
	s_lshl_b64 s[8:9], s[8:9], 1
	v_add_lshl_u32 v1, v5, s31, 7
	v_lshlrev_b32_e32 v5, 6, v5
	v_lshlrev_b32_e32 v7, 10, v139
	v_and_b32_e32 v6, 0x3800, v6
	s_delay_alu instid0(VALU_DEP_4) | instskip(NEXT) | instid1(VALU_DEP_2)
	v_ashrrev_i32_e32 v2, 31, v1
	v_or3_b32 v5, v6, v7, v5
	s_delay_alu instid0(VALU_DEP_2) | instskip(SKIP_2) | instid1(VALU_DEP_1)
	v_lshlrev_b64 v[1:2], 1, v[1:2]
	s_add_u32 s5, s6, s8
	s_addc_u32 s6, s7, s9
	v_add_co_u32 v1, vcc_lo, s5, v1
	s_delay_alu instid0(VALU_DEP_2) | instskip(NEXT) | instid1(VALU_DEP_2)
	v_add_co_ci_u32_e32 v2, vcc_lo, s6, v2, vcc_lo
	v_add_co_u32 v1, vcc_lo, v1, v137
	s_delay_alu instid0(VALU_DEP_2)
	v_add_co_ci_u32_e32 v2, vcc_lo, 0, v2, vcc_lo
	global_load_b128 v[1:4], v[1:2], off
	s_waitcnt vmcnt(0)
	ds_store_b128 v5, v[1:4]
.LBB263_10:
	s_or_b32 exec_lo, exec_lo, s4
	v_and_b32_e32 v1, 0xef, v0
	s_waitcnt lgkmcnt(0)
	s_add_i32 s5, s28, 15
	s_clause 0x1
	s_load_b32 s4, s[0:1], 0x38
	s_load_b32 s33, s[0:1], 0x98
	s_ashr_i32 s6, s5, 31
	v_add_nc_u32_e32 v1, s29, v1
	s_lshr_b32 s6, s6, 28
	s_load_b32 s34, s[0:1], 0x1c
	s_add_i32 s5, s5, s6
	s_waitcnt lgkmcnt(0)
	v_ashrrev_i32_e32 v2, 31, v1
	v_cmp_gt_i32_e32 vcc_lo, s28, v1
	s_ashr_i32 s16, s5, 4
	s_barrier
	s_add_i32 s16, s16, -1
	v_lshrrev_b32_e32 v3, 28, v2
	v_or_b32_e32 v2, 16, v1
	buffer_gl0_inv
	v_add_nc_u32_e32 v105, -14, v140
	v_lshlrev_b32_e32 v106, 5, v140
	v_add_nc_u32_e32 v4, v1, v3
	v_add_nc_u32_e32 v3, v2, v3
	s_mul_i32 s4, s30, s4
	s_delay_alu instid0(SALU_CYCLE_1) | instskip(NEXT) | instid1(VALU_DEP_2)
	s_ashr_i32 s5, s4, 31
	v_ashrrev_i32_e32 v4, 4, v4
	s_delay_alu instid0(VALU_DEP_2)
	v_ashrrev_i32_e32 v3, 4, v3
	s_lshl_b64 s[4:5], s[4:5], 2
	v_lshl_or_b32 v125, v141, 9, v106
	s_add_u32 s35, s2, s4
	v_cndmask_b32_e32 v1, s16, v4, vcc_lo
	v_cmp_gt_i32_e32 vcc_lo, s28, v2
	s_addc_u32 s36, s3, s5
	s_mul_i32 s2, s15, s18
	s_delay_alu instid0(VALU_DEP_2) | instskip(SKIP_2) | instid1(SALU_CYCLE_1)
	v_ashrrev_i32_e32 v2, 31, v1
	v_cndmask_b32_e32 v3, s16, v3, vcc_lo
	s_ashr_i32 s3, s2, 31
	s_lshl_b64 s[2:3], s[2:3], 1
	s_delay_alu instid0(VALU_DEP_2) | instskip(NEXT) | instid1(VALU_DEP_2)
	v_lshlrev_b64 v[1:2], 2, v[1:2]
	v_ashrrev_i32_e32 v4, 31, v3
	s_add_u32 s24, s20, s2
	s_addc_u32 s25, s21, s3
	s_lshl_b32 s4, s14, 4
	s_delay_alu instid0(VALU_DEP_1) | instskip(SKIP_3) | instid1(VALU_DEP_3)
	v_lshlrev_b64 v[3:4], 2, v[3:4]
	v_add_co_u32 v1, vcc_lo, s35, v1
	v_add_co_ci_u32_e32 v2, vcc_lo, s36, v2, vcc_lo
	s_ashr_i32 s5, s4, 31
	v_add_co_u32 v3, vcc_lo, s35, v3
	s_delay_alu instid0(VALU_DEP_4)
	v_add_co_ci_u32_e32 v4, vcc_lo, s36, v4, vcc_lo
	s_lshl_b64 s[4:5], s[4:5], 2
	s_clause 0x1
	global_load_b32 v5, v[1:2], off
	global_load_b32 v6, v[3:4], off
	s_add_u32 s4, s35, s4
	s_addc_u32 s5, s36, s5
	s_or_b32 s6, s29, 16
	v_lshlrev_b32_e32 v3, 4, v0
	s_ashr_i32 s7, s6, 4
	s_cmp_lt_i32 s6, s28
	s_cselect_b32 s6, s7, s16
	s_delay_alu instid0(SALU_CYCLE_1) | instskip(NEXT) | instid1(SALU_CYCLE_1)
	s_ashr_i32 s7, s6, 31
	s_lshl_b64 s[6:7], s[6:7], 2
	s_delay_alu instid0(SALU_CYCLE_1) | instskip(SKIP_2) | instid1(SALU_CYCLE_1)
	s_add_u32 s6, s35, s6
	s_addc_u32 s7, s36, s7
	s_or_b32 s8, s29, 32
	s_ashr_i32 s9, s8, 4
	s_cmp_lt_i32 s8, s28
	s_cselect_b32 s8, s9, s16
	s_delay_alu instid0(SALU_CYCLE_1) | instskip(NEXT) | instid1(SALU_CYCLE_1)
	s_ashr_i32 s9, s8, 31
	s_lshl_b64 s[8:9], s[8:9], 2
	s_delay_alu instid0(SALU_CYCLE_1) | instskip(SKIP_2) | instid1(SALU_CYCLE_1)
	s_add_u32 s8, s35, s8
	s_addc_u32 s9, s36, s9
	s_or_b32 s10, s29, 48
	;; [unrolled: 10-line block ×4, first 2 shown]
	s_ashr_i32 s13, s12, 4
	s_cmp_lt_i32 s12, s28
	s_cselect_b32 s12, s13, s16
	s_delay_alu instid0(SALU_CYCLE_1) | instskip(NEXT) | instid1(SALU_CYCLE_1)
	s_ashr_i32 s13, s12, 31
	s_lshl_b64 s[12:13], s[12:13], 2
	s_delay_alu instid0(SALU_CYCLE_1)
	s_add_u32 s20, s35, s12
	s_addc_u32 s21, s36, s13
	s_clause 0x5
	s_load_b32 s37, s[4:5], 0x0
	s_load_b32 s27, s[6:7], 0x0
	;; [unrolled: 1-line block ×6, first 2 shown]
	s_waitcnt vmcnt(1)
	v_mad_i64_i32 v[1:2], null, v5, s17, 0
	v_and_b32_e32 v5, 0xf0, v3
	s_waitcnt vmcnt(0)
	v_mad_i64_i32 v[3:4], null, v6, s17, 0
	s_delay_alu instid0(VALU_DEP_2) | instskip(NEXT) | instid1(VALU_DEP_4)
	v_add_co_u32 v5, s4, s24, v5
	v_lshlrev_b64 v[1:2], 1, v[1:2]
	v_add_co_ci_u32_e64 v6, null, s25, 0, s4
	s_delay_alu instid0(VALU_DEP_4) | instskip(SKIP_1) | instid1(VALU_DEP_3)
	v_lshlrev_b64 v[3:4], 1, v[3:4]
	s_or_b32 s4, s29, 0x60
	v_add_co_u32 v121, vcc_lo, v5, v1
	s_delay_alu instid0(VALU_DEP_3) | instskip(NEXT) | instid1(VALU_DEP_3)
	v_add_co_ci_u32_e32 v122, vcc_lo, v6, v2, vcc_lo
	v_add_co_u32 v123, vcc_lo, v5, v3
	s_delay_alu instid0(VALU_DEP_4)
	v_add_co_ci_u32_e32 v124, vcc_lo, v6, v4, vcc_lo
	s_clause 0x19
	global_load_b128 v[89:92], v[121:122], off
	global_load_b128 v[93:96], v[121:122], off offset:256
	global_load_b128 v[97:100], v[123:124], off
	global_load_b128 v[101:104], v[123:124], off offset:256
	global_load_b128 v[81:84], v[121:122], off offset:512
	;; [unrolled: 1-line block ×23, first 2 shown]
	s_ashr_i32 s5, s4, 4
	s_cmp_lt_i32 s4, s28
	v_cmp_gt_u32_e32 vcc_lo, 14, v140
	s_cselect_b32 s4, s5, s16
	s_delay_alu instid0(SALU_CYCLE_1) | instskip(NEXT) | instid1(SALU_CYCLE_1)
	s_ashr_i32 s5, s4, 31
	s_lshl_b64 s[4:5], s[4:5], 2
	v_cndmask_b32_e32 v105, v105, v140, vcc_lo
	s_add_u32 s18, s35, s4
	s_addc_u32 s19, s36, s5
	s_or_b32 s4, s29, 0x70
	s_delay_alu instid0(SALU_CYCLE_1)
	s_ashr_i32 s5, s4, 4
	s_cmp_lt_i32 s4, s28
	v_lshlrev_b32_e32 v215, 6, v105
	s_cselect_b32 s6, s5, s16
	ds_load_b128 v[105:108], v215
	ds_load_b128 v[109:112], v215 offset:1024
	s_ashr_i32 s7, s6, 31
	ds_load_b128 v[113:116], v215 offset:2048
	ds_load_b128 v[117:120], v215 offset:3072
	;; [unrolled: 1-line block ×8, first 2 shown]
	s_clause 0x1
	global_load_b128 v[167:170], v[123:124], off offset:3072
	global_load_b128 v[171:174], v[123:124], off offset:3328
	s_lshl_b64 s[6:7], s[6:7], 2
	s_mov_b32 s4, 0
	s_add_u32 s20, s35, s6
	s_addc_u32 s21, s36, s7
	s_clause 0x1
	s_load_b32 s41, s[18:19], 0x0
	s_load_b32 s46, s[20:21], 0x0
	s_clause 0x3
	global_load_b128 v[175:178], v[121:122], off offset:3584
	global_load_b128 v[179:182], v[121:122], off offset:3840
	;; [unrolled: 1-line block ×4, first 2 shown]
	s_or_b32 s7, s29, 0x80
	s_mov_b32 s5, s4
	s_ashr_i32 s8, s7, 4
	s_cmp_lt_i32 s7, s28
	s_mov_b32 s6, s4
	s_cselect_b32 s10, s8, s16
	s_mov_b32 s7, s4
	s_ashr_i32 s11, s10, 31
	s_mov_b32 s8, s4
	s_lshl_b64 s[24:25], s[10:11], 2
	s_mov_b32 s9, s4
	s_add_u32 s24, s35, s24
	s_addc_u32 s25, s36, s25
	s_or_b32 s11, s29, 0x90
	s_mov_b32 s10, s4
	s_ashr_i32 s38, s11, 4
	s_cmp_lt_i32 s11, s28
	s_mov_b32 s11, s4
	s_cselect_b32 s38, s38, s16
	v_mov_b32_e32 v136, s11
	s_ashr_i32 s39, s38, 31
	v_dual_mov_b32 v135, s10 :: v_dual_mov_b32 v134, s9
	v_dual_mov_b32 v133, s8 :: v_dual_mov_b32 v132, s7
	;; [unrolled: 1-line block ×3, first 2 shown]
	v_mov_b32_e32 v129, s4
	s_lshl_b64 s[4:5], s[38:39], 2
	s_waitcnt lgkmcnt(0)
	s_mul_hi_i32 s7, s27, s17
	s_add_u32 s38, s35, s4
	s_addc_u32 s39, s36, s5
	s_or_b32 s4, s29, 0xa0
	s_load_b32 s40, s[38:39], 0x0
	s_ashr_i32 s5, s4, 4
	s_cmp_lt_i32 s4, s28
	s_cselect_b32 s4, s5, s16
	s_delay_alu instid0(SALU_CYCLE_1) | instskip(NEXT) | instid1(SALU_CYCLE_1)
	s_ashr_i32 s5, s4, 31
	s_lshl_b64 s[4:5], s[4:5], 2
	s_delay_alu instid0(SALU_CYCLE_1)
	s_add_u32 s42, s35, s4
	s_addc_u32 s43, s36, s5
	s_or_b32 s4, s29, 0xb0
	s_load_b32 s39, s[42:43], 0x0
	s_ashr_i32 s6, s4, 4
	s_cmp_lt_i32 s4, s28
	s_mul_hi_i32 s5, s37, s17
	s_cselect_b32 s8, s6, s16
	s_mul_i32 s6, s27, s17
	s_ashr_i32 s9, s8, 31
	s_mul_i32 s4, s37, s17
	s_lshl_b64 s[10:11], s[8:9], 2
	s_mul_hi_i32 s9, s26, s17
	s_add_u32 s44, s35, s10
	s_addc_u32 s45, s36, s11
	s_or_b32 s10, s29, 0xc0
	s_mul_i32 s8, s26, s17
	s_ashr_i32 s26, s10, 4
	s_cmp_lt_i32 s10, s28
	s_mul_hi_i32 s11, s13, s17
	s_cselect_b32 s26, s26, s16
	s_mul_i32 s10, s13, s17
	s_ashr_i32 s27, s26, 31
	s_mul_hi_i32 s13, s12, s17
	s_lshl_b64 s[26:27], s[26:27], 2
	s_mul_i32 s12, s12, s17
	s_add_u32 s20, s35, s26
	s_addc_u32 s21, s36, s27
	s_or_b32 s18, s29, 0xd0
	s_load_b32 s26, s[24:25], 0x0
	s_ashr_i32 s19, s18, 4
	s_cmp_lt_i32 s18, s28
	s_mul_i32 s18, s15, s17
	s_cselect_b32 s24, s19, s16
	s_mul_hi_i32 s19, s15, s17
	s_ashr_i32 s25, s24, 31
	s_delay_alu instid0(SALU_CYCLE_1) | instskip(NEXT) | instid1(SALU_CYCLE_1)
	s_lshl_b64 s[24:25], s[24:25], 2
	s_add_u32 s24, s35, s24
	s_addc_u32 s25, s36, s25
	s_or_b32 s42, s29, 0xe0
	s_clause 0x2
	s_load_b32 s38, s[44:45], 0x0
	s_load_b32 s37, s[20:21], 0x0
	;; [unrolled: 1-line block ×3, first 2 shown]
	s_ashr_i32 s43, s42, 4
	s_cmp_lt_i32 s42, s28
	s_mul_hi_i32 s25, s46, s17
	s_cselect_b32 s42, s43, s16
	s_mul_i32 s24, s46, s17
	s_ashr_i32 s43, s42, 31
	s_mul_hi_i32 s21, s41, s17
	s_lshl_b64 s[42:43], s[42:43], 2
	s_mul_i32 s20, s41, s17
	s_add_u32 s42, s35, s42
	s_addc_u32 s43, s36, s43
	s_or_b32 s46, s29, 0xf0
	s_waitcnt lgkmcnt(0)
	s_mul_hi_i32 s27, s26, s17
	s_ashr_i32 s47, s46, 4
	s_cmp_lt_i32 s46, s28
	s_mul_i32 s26, s26, s17
	s_cselect_b32 s46, s47, s16
	s_mul_hi_i32 s41, s40, s17
	s_ashr_i32 s47, s46, 31
	s_mul_hi_i32 s51, s15, s17
	s_lshl_b64 s[46:47], s[46:47], 2
	s_mul_i32 s50, s15, s17
	s_add_u32 s46, s35, s46
	s_addc_u32 s47, s36, s47
	s_add_u32 s15, s22, s2
	s_addc_u32 s16, s23, s3
	v_add_co_u32 v216, s15, s15, v125
	s_delay_alu instid0(VALU_DEP_1) | instskip(SKIP_2) | instid1(VALU_DEP_2)
	v_add_co_ci_u32_e64 v217, null, s16, 0, s15
	s_lshl_b64 s[2:3], s[4:5], 1
	s_lshl_b64 s[4:5], s[6:7], 1
	v_add_co_u32 v125, vcc_lo, v216, s2
	s_delay_alu instid0(VALU_DEP_2)
	v_add_co_ci_u32_e32 v126, vcc_lo, s3, v217, vcc_lo
	v_add_co_u32 v199, vcc_lo, v216, s4
	s_lshl_b64 s[6:7], s[8:9], 1
	v_add_co_ci_u32_e32 v200, vcc_lo, s5, v217, vcc_lo
	s_lshl_b64 s[8:9], s[10:11], 1
	s_lshl_b64 s[10:11], s[12:13], 1
	;; [unrolled: 1-line block ×6, first 2 shown]
	s_mul_i32 s40, s40, s17
	s_mul_hi_i32 s45, s39, s17
	s_lshl_b64 s[24:25], s[40:41], 1
	s_mul_i32 s44, s39, s17
	s_mul_hi_i32 s39, s38, s17
	s_lshl_b64 s[26:27], s[44:45], 1
	s_mul_i32 s38, s38, s17
	s_mul_hi_i32 s49, s37, s17
	s_mul_i32 s48, s37, s17
	s_lshl_b64 s[36:37], s[38:39], 1
	s_lshl_b64 s[38:39], s[48:49], 1
	s_clause 0x1
	s_load_b32 s15, s[42:43], 0x0
	s_load_b32 s16, s[46:47], 0x0
	s_lshl_b64 s[40:41], s[50:51], 1
	s_waitcnt lgkmcnt(0)
	s_mul_hi_i32 s3, s15, s17
	s_mul_i32 s2, s15, s17
	s_mul_hi_i32 s5, s16, s17
	s_lshl_b64 s[2:3], s[2:3], 1
	s_mul_i32 s4, s16, s17
	s_waitcnt vmcnt(30)
	v_wmma_f32_16x16x16_f16 v[191:198], v[89:96], v[105:112], v[129:136]
	v_add_co_u32 v89, vcc_lo, v216, s6
	v_add_co_ci_u32_e32 v90, vcc_lo, s7, v217, vcc_lo
	v_add_co_u32 v91, vcc_lo, v216, s8
	v_add_co_ci_u32_e32 v92, vcc_lo, s9, v217, vcc_lo
	;; [unrolled: 2-line block ×5, first 2 shown]
	v_add_co_u32 v205, vcc_lo, v216, s20
	s_waitcnt vmcnt(28)
	v_wmma_f32_16x16x16_f16 v[129:136], v[97:104], v[105:112], v[129:136]
	v_add_co_ci_u32_e32 v206, vcc_lo, s21, v217, vcc_lo
	v_add_co_u32 v207, vcc_lo, v216, s22
	v_add_co_ci_u32_e32 v208, vcc_lo, s23, v217, vcc_lo
	v_add_co_u32 v209, vcc_lo, v216, s24
	s_waitcnt vmcnt(26)
	v_wmma_f32_16x16x16_f16 v[191:198], v[81:88], v[113:120], v[191:198]
	s_waitcnt vmcnt(24)
	v_wmma_f32_16x16x16_f16 v[129:136], v[73:80], v[113:120], v[129:136]
	v_add_co_ci_u32_e32 v210, vcc_lo, s25, v217, vcc_lo
	v_add_co_u32 v211, vcc_lo, v216, s26
	v_add_co_ci_u32_e32 v212, vcc_lo, s27, v217, vcc_lo
	v_add_co_u32 v213, vcc_lo, v216, s36
	s_waitcnt vmcnt(22)
	v_wmma_f32_16x16x16_f16 v[191:198], v[65:72], v[143:150], v[191:198]
	s_waitcnt vmcnt(20)
	v_wmma_f32_16x16x16_f16 v[129:136], v[57:64], v[143:150], v[129:136]
	v_add_co_ci_u32_e32 v214, vcc_lo, s37, v217, vcc_lo
	v_add_co_u32 v143, vcc_lo, v216, s38
	s_waitcnt vmcnt(18)
	v_wmma_f32_16x16x16_f16 v[191:198], v[49:56], v[151:158], v[191:198]
	s_waitcnt vmcnt(16)
	v_wmma_f32_16x16x16_f16 v[129:136], v[25:32], v[151:158], v[129:136]
	v_add_co_ci_u32_e32 v144, vcc_lo, s39, v217, vcc_lo
	s_clause 0x15
	global_load_b128 v[121:124], v[125:126], off
	global_load_b128 v[125:128], v[125:126], off offset:16
	global_load_b128 v[113:116], v[199:200], off
	global_load_b128 v[117:120], v[199:200], off offset:16
	;; [unrolled: 2-line block ×11, first 2 shown]
	s_waitcnt vmcnt(36)
	v_wmma_f32_16x16x16_f16 v[191:198], v[1:8], v[159:166], v[191:198]
	s_clause 0x1
	global_load_b128 v[1:4], v[213:214], off
	global_load_b128 v[5:8], v[213:214], off offset:16
	s_waitcnt vmcnt(36)
	v_wmma_f32_16x16x16_f16 v[129:136], v[9:16], v[159:166], v[129:136]
	s_clause 0x1
	global_load_b128 v[9:12], v[143:144], off
	global_load_b128 v[13:16], v[143:144], off offset:16
	ds_load_b128 v[143:146], v215 offset:10240
	ds_load_b128 v[147:150], v215 offset:11264
	;; [unrolled: 1-line block ×4, first 2 shown]
	v_add_co_u32 v199, vcc_lo, v216, s40
	v_add_co_ci_u32_e32 v200, vcc_lo, s41, v217, vcc_lo
	v_add_co_u32 v159, vcc_lo, v216, s2
	v_add_co_ci_u32_e32 v160, vcc_lo, s3, v217, vcc_lo
	s_lshl_b64 s[2:3], s[4:5], 1
	s_delay_alu instid0(SALU_CYCLE_1)
	v_add_co_u32 v161, vcc_lo, v216, s2
	v_add_co_ci_u32_e32 v162, vcc_lo, s3, v217, vcc_lo
	s_waitcnt vmcnt(36) lgkmcnt(2)
	v_wmma_f32_16x16x16_f16 v[191:198], v[33:40], v[143:150], v[191:198]
	s_waitcnt vmcnt(34)
	v_wmma_f32_16x16x16_f16 v[129:136], v[41:48], v[143:150], v[129:136]
	s_clause 0x3
	global_load_b128 v[33:36], v[199:200], off
	global_load_b128 v[37:40], v[199:200], off offset:16
	global_load_b128 v[41:44], v[159:160], off
	global_load_b128 v[45:48], v[159:160], off offset:16
	v_and_b32_e32 v143, 0xe0, v0
	v_mbcnt_lo_u32_b32 v159, -1, 0
	s_waitcnt vmcnt(36) lgkmcnt(0)
	v_wmma_f32_16x16x16_f16 v[191:198], v[17:24], v[151:158], v[191:198]
	s_clause 0x1
	global_load_b128 v[17:20], v[161:162], off
	global_load_b128 v[21:24], v[161:162], off offset:16
	s_waitcnt vmcnt(36)
	v_wmma_f32_16x16x16_f16 v[129:136], v[167:174], v[151:158], v[129:136]
	v_add_nc_u32_e32 v160, s29, v143
	ds_load_b128 v[143:146], v215 offset:14336
	ds_load_b128 v[147:150], v215 offset:15360
	v_xor_b32_e32 v151, 16, v159
	s_waitcnt vmcnt(0) lgkmcnt(0)
	s_barrier
	v_or_b32_e32 v152, v160, v138
	buffer_gl0_inv
	v_cmp_gt_i32_e32 vcc_lo, 32, v151
	v_or_b32_e32 v153, 2, v152
	v_or_b32_e32 v154, 4, v152
	;; [unrolled: 1-line block ×5, first 2 shown]
	v_cmp_gt_i32_e64 s2, s28, v153
	v_cmp_gt_i32_e64 s3, s28, v154
	;; [unrolled: 1-line block ×3, first 2 shown]
	v_or_b32_e32 v158, 12, v152
	v_cmp_gt_i32_e64 s5, s28, v156
	v_cmp_gt_i32_e64 s6, s28, v157
	v_wmma_f32_16x16x16_f16 v[191:198], v[175:182], v[143:150], v[191:198]
	v_wmma_f32_16x16x16_f16 v[129:136], v[183:190], v[143:150], v[129:136]
	v_cndmask_b32_e32 v151, v159, v151, vcc_lo
	v_cmp_gt_i32_e32 vcc_lo, s28, v152
	v_or_b32_e32 v159, 14, v152
	v_dual_mul_f32 v149, s34, v192 :: v_dual_mul_f32 v150, s34, v191
	v_dual_mul_f32 v147, s34, v194 :: v_dual_mul_f32 v148, s34, v193
	v_mul_f32_e32 v145, s34, v196
	s_delay_alu instid0(VALU_DEP_3) | instskip(NEXT) | instid1(VALU_DEP_4)
	v_cndmask_b32_e64 v149, 0xff7fffff, v149, s2
	v_cndmask_b32_e32 v150, 0xff7fffff, v150, vcc_lo
	v_mul_f32_e32 v146, s34, v195
	v_cndmask_b32_e64 v148, 0xff7fffff, v148, s3
	v_cndmask_b32_e64 v147, 0xff7fffff, v147, s4
	v_or_b32_e32 v160, 16, v152
	v_max3_f32 v149, v150, 0xff7fffff, v149
	v_or_b32_e32 v161, 18, v152
	v_dual_mul_f32 v143, s34, v198 :: v_dual_mul_f32 v144, s34, v197
	v_cndmask_b32_e64 v146, 0xff7fffff, v146, s5
	v_cndmask_b32_e64 v145, 0xff7fffff, v145, s6
	v_max3_f32 v147, v149, v148, v147
	v_cmp_gt_i32_e64 s7, s28, v158
	v_cmp_gt_i32_e64 s8, s28, v159
	v_or_b32_e32 v162, 20, v152
	v_or_b32_e32 v163, 22, v152
	v_dual_mul_f32 v174, s34, v130 :: v_dual_mul_f32 v175, s34, v129
	v_cndmask_b32_e64 v144, 0xff7fffff, v144, s7
	v_cndmask_b32_e64 v143, 0xff7fffff, v143, s8
	v_max3_f32 v145, v147, v146, v145
	v_cmp_gt_i32_e64 s9, s28, v160
	v_cmp_gt_i32_e64 s10, s28, v161
	v_or_b32_e32 v164, 24, v152
	;; [unrolled: 8-line block ×3, first 2 shown]
	v_or_b32_e32 v167, 30, v152
	v_dual_mul_f32 v170, s34, v134 :: v_dual_mul_f32 v171, s34, v133
	v_cndmask_b32_e64 v144, 0xff7fffff, v173, s11
	v_cndmask_b32_e64 v145, 0xff7fffff, v172, s12
	v_max3_f32 v143, v143, v146, v147
	v_cmp_gt_i32_e64 s13, s28, v164
	v_cmp_gt_i32_e64 s15, s28, v165
	v_dual_mul_f32 v168, s34, v136 :: v_dual_mul_f32 v169, s34, v135
	s_delay_alu instid0(VALU_DEP_4) | instskip(NEXT) | instid1(VALU_DEP_4)
	v_max3_f32 v143, v143, v144, v145
	v_cndmask_b32_e64 v146, 0xff7fffff, v171, s13
	s_delay_alu instid0(VALU_DEP_4) | instskip(SKIP_3) | instid1(VALU_DEP_4)
	v_cndmask_b32_e64 v147, 0xff7fffff, v170, s15
	v_cmp_gt_i32_e64 s16, s28, v166
	v_cmp_gt_i32_e64 s17, s28, v167
	v_lshlrev_b32_e32 v160, 2, v151
	v_max3_f32 v143, v143, v146, v147
	s_delay_alu instid0(VALU_DEP_4) | instskip(NEXT) | instid1(VALU_DEP_4)
	v_cndmask_b32_e64 v144, 0xff7fffff, v169, s16
	v_cndmask_b32_e64 v145, 0xff7fffff, v168, s17
	s_delay_alu instid0(VALU_DEP_1) | instskip(SKIP_3) | instid1(VALU_DEP_1)
	v_max3_f32 v143, v143, v144, v145
	ds_bpermute_b32 v144, v160, v143
	s_waitcnt lgkmcnt(0)
	v_max_f32_e32 v144, v144, v144
	v_max_f32_e32 v159, v143, v144
	s_delay_alu instid0(VALU_DEP_1) | instskip(SKIP_4) | instid1(VALU_DEP_4)
	v_fma_f32 v143, s34, v191, -v159
	v_fma_f32 v144, s34, v192, -v159
	;; [unrolled: 1-line block ×5, first 2 shown]
	v_dual_mul_f32 v143, 0x3fb8aa3b, v143 :: v_dual_mul_f32 v144, 0x3fb8aa3b, v144
	s_delay_alu instid0(VALU_DEP_4) | instskip(SKIP_2) | instid1(VALU_DEP_4)
	v_mul_f32_e32 v132, 0x3fb8aa3b, v132
	v_fma_f32 v134, s34, v134, -v159
	v_mul_f32_e32 v145, 0x3fb8aa3b, v145
	v_exp_f32_e32 v143, v143
	v_exp_f32_e32 v147, v144
	v_fma_f32 v148, s34, v195, -v159
	v_mul_f32_e32 v134, 0x3fb8aa3b, v134
	v_mul_f32_e32 v146, 0x3fb8aa3b, v146
	v_exp_f32_e32 v145, v145
	v_fma_f32 v149, s34, v196, -v159
	v_mul_f32_e32 v148, 0x3fb8aa3b, v148
	v_fma_f32 v151, s34, v197, -v159
	v_exp_f32_e32 v150, v146
	v_cndmask_b32_e32 v144, 0, v143, vcc_lo
	v_cndmask_b32_e64 v143, 0, v147, s2
	v_mul_f32_e32 v149, 0x3fb8aa3b, v149
	v_exp_f32_e32 v148, v148
	v_fma_f32 v152, s34, v198, -v159
	v_add_f32_e32 v147, 0, v144
	v_cndmask_b32_e64 v146, 0, v145, s3
	v_mul_f32_e32 v151, 0x3fb8aa3b, v151
	v_exp_f32_e32 v149, v149
	v_cndmask_b32_e64 v145, 0, v150, s4
	v_add_f32_e32 v147, v147, v143
	v_fma_f32 v129, s34, v129, -v159
	v_mul_f32_e32 v150, 0x3fb8aa3b, v152
	v_exp_f32_e32 v151, v151
	v_cndmask_b32_e64 v148, 0, v148, s5
	v_add_f32_e32 v147, v147, v146
	v_fma_f32 v130, s34, v130, -v159
	v_mul_f32_e32 v129, 0x3fb8aa3b, v129
	v_exp_f32_e32 v153, v150
	v_fma_f32 v131, s34, v131, -v159
	v_add_f32_e32 v152, v147, v145
	v_cndmask_b32_e64 v147, 0, v149, s6
	v_mul_f32_e32 v130, 0x3fb8aa3b, v130
	v_exp_f32_e32 v129, v129
	v_cndmask_b32_e64 v150, 0, v151, s7
	v_add_f32_e32 v149, v152, v148
	v_mul_f32_e32 v131, 0x3fb8aa3b, v131
	v_exp_f32_e32 v130, v130
	v_fma_f32 v133, s34, v133, -v159
	v_exp_f32_e32 v132, v132
	v_add_f32_e32 v151, v149, v147
	v_cndmask_b32_e64 v149, 0, v153, s8
	v_exp_f32_e32 v131, v131
	v_cndmask_b32_e64 v152, 0, v129, s9
	v_mul_f32_e32 v133, 0x3fb8aa3b, v133
	v_add_f32_e32 v151, v151, v150
	s_mov_b32 s2, exec_lo
	s_delay_alu instid0(VALU_DEP_2) | instskip(NEXT) | instid1(VALU_DEP_1)
	v_exp_f32_e32 v133, v133
	v_add_f32_e32 v129, v151, v149
	v_cndmask_b32_e64 v151, 0, v130, s10
	v_fma_f32 v130, s34, v135, -v159
	s_delay_alu instid0(TRANS32_DEP_2)
	v_cndmask_b32_e64 v154, 0, v131, s11
	v_exp_f32_e32 v131, v134
	v_add_f32_e32 v129, v129, v152
	v_cndmask_b32_e64 v153, 0, v132, s12
	v_mul_f32_e32 v130, 0x3fb8aa3b, v130
	v_fma_f32 v132, s34, v136, -v159
	v_cndmask_b32_e64 v156, 0, v133, s13
	v_add_f32_e32 v129, v129, v151
	s_delay_alu instid0(VALU_DEP_4) | instskip(NEXT) | instid1(VALU_DEP_3)
	v_exp_f32_e32 v130, v130
	v_mul_f32_e32 v132, 0x3fb8aa3b, v132
	s_delay_alu instid0(TRANS32_DEP_2) | instskip(NEXT) | instid1(VALU_DEP_3)
	v_cndmask_b32_e64 v155, 0, v131, s15
	v_add_f32_e32 v129, v129, v154
	s_delay_alu instid0(VALU_DEP_3) | instskip(NEXT) | instid1(VALU_DEP_1)
	v_exp_f32_e32 v131, v132
	v_add_f32_e32 v129, v129, v153
	s_waitcnt_depctr 0xfff
	v_cndmask_b32_e64 v158, 0, v130, s16
	v_add_f32_e32 v129, v129, v156
	v_cndmask_b32_e64 v157, 0, v131, s17
	s_delay_alu instid0(VALU_DEP_2) | instskip(NEXT) | instid1(VALU_DEP_1)
	v_add_f32_e32 v129, v129, v155
	v_add_f32_e32 v129, v129, v158
	s_delay_alu instid0(VALU_DEP_1)
	v_add_f32_e32 v129, v129, v157
	ds_bpermute_b32 v130, v160, v129
	v_cmpx_gt_u32_e32 16, v142
	s_cbranch_execz .LBB263_12
; %bb.11:
	v_mul_u32_u24_e32 v131, 0x44, v141
	s_delay_alu instid0(VALU_DEP_1) | instskip(SKIP_1) | instid1(VALU_DEP_1)
	v_lshl_add_u32 v131, v140, 2, v131
	s_waitcnt lgkmcnt(0)
	v_dual_add_f32 v129, v129, v130 :: v_dual_add_nc_u32 v130, 0x4000, v131
	ds_store_2addr_b32 v130, v159, v129 offset1:136
.LBB263_12:
	s_or_b32 exec_lo, exec_lo, s2
	v_lshlrev_b32_e32 v129, 2, v140
	s_load_b32 s34, s[0:1], 0x94
	s_waitcnt lgkmcnt(0)
	s_barrier
	buffer_gl0_inv
	v_add_nc_u32_e32 v135, 0x4000, v129
	v_cmp_eq_u32_e32 vcc_lo, 1, v141
	v_cmp_eq_u32_e64 s2, 2, v141
	v_cmp_eq_u32_e64 s3, 3, v141
	;; [unrolled: 1-line block ×3, first 2 shown]
	ds_load_2addr_b32 v[129:130], v135 offset1:17
	ds_load_2addr_b32 v[131:132], v135 offset0:34 offset1:51
	ds_load_2addr_b32 v[133:134], v135 offset0:68 offset1:85
	;; [unrolled: 1-line block ×3, first 2 shown]
	v_cmp_eq_u32_e64 s5, 5, v141
	v_cmp_eq_u32_e64 s6, 7, v141
	s_waitcnt lgkmcnt(3)
	v_max3_f32 v136, v129, 0xff7fffff, v130
	s_waitcnt lgkmcnt(2)
	s_delay_alu instid0(VALU_DEP_1) | instskip(SKIP_1) | instid1(VALU_DEP_1)
	v_max3_f32 v136, v136, v131, v132
	s_waitcnt lgkmcnt(1)
	v_max3_f32 v136, v136, v133, v134
	s_waitcnt lgkmcnt(0)
	s_delay_alu instid0(VALU_DEP_1) | instskip(NEXT) | instid1(VALU_DEP_1)
	v_max3_f32 v136, v136, v159, v160
	v_sub_f32_e32 v142, v130, v136
	ds_load_2addr_b32 v[161:162], v135 offset0:136 offset1:153
	v_sub_f32_e32 v164, v132, v136
	v_mul_f32_e32 v142, 0x3fb8aa3b, v142
	s_delay_alu instid0(VALU_DEP_2) | instskip(NEXT) | instid1(VALU_DEP_2)
	v_mul_f32_e32 v164, 0x3fb8aa3b, v164
	v_exp_f32_e32 v166, v142
	v_sub_f32_e32 v129, v129, v136
	s_delay_alu instid0(VALU_DEP_2) | instskip(NEXT) | instid1(VALU_DEP_1)
	v_exp_f32_e32 v164, v164
	v_mul_f32_e32 v163, 0x3fb8aa3b, v129
	ds_load_2addr_b32 v[129:130], v135 offset0:170 offset1:187
	v_exp_f32_e32 v163, v163
	s_waitcnt lgkmcnt(1)
	s_waitcnt_depctr 0xfff
	v_fma_f32 v142, v163, v161, 0
	v_sub_f32_e32 v161, v134, v136
	s_delay_alu instid0(VALU_DEP_2) | instskip(NEXT) | instid1(VALU_DEP_1)
	v_dual_fmac_f32 v142, v166, v162 :: v_dual_sub_f32 v131, v131, v136
	v_mul_f32_e32 v165, 0x3fb8aa3b, v131
	ds_load_2addr_b32 v[131:132], v135 offset0:204 offset1:221
	v_exp_f32_e32 v165, v165
	s_waitcnt lgkmcnt(1)
	s_waitcnt_depctr 0xfff
	v_fmac_f32_e32 v142, v165, v129
	v_sub_f32_e32 v133, v133, v136
	v_sub_f32_e32 v129, v160, v136
	s_delay_alu instid0(VALU_DEP_2) | instskip(NEXT) | instid1(VALU_DEP_2)
	v_dual_fmac_f32 v142, v164, v130 :: v_dual_mul_f32 v167, 0x3fb8aa3b, v133
	v_mul_f32_e32 v129, 0x3fb8aa3b, v129
	ds_load_2addr_b32 v[133:134], v135 offset0:238 offset1:255
	v_cndmask_b32_e32 v130, v163, v166, vcc_lo
	s_waitcnt lgkmcnt(0)
	s_barrier
	v_exp_f32_e32 v162, v129
	v_sub_f32_e32 v135, v159, v136
	v_mul_f32_e32 v159, 0x3fb8aa3b, v161
	v_exp_f32_e32 v161, v167
	buffer_gl0_inv
	v_exp_f32_e32 v159, v159
	v_fmac_f32_e32 v142, v161, v131
	s_waitcnt_depctr 0xfff
	v_dual_mul_f32 v135, 0x3fb8aa3b, v135 :: v_dual_fmac_f32 v142, v159, v132
	s_delay_alu instid0(VALU_DEP_1) | instskip(SKIP_2) | instid1(VALU_DEP_1)
	v_exp_f32_e32 v160, v135
	s_waitcnt_depctr 0xfff
	v_dual_fmac_f32 v142, v160, v133 :: v_dual_lshlrev_b32 v133, 6, v140
	v_fmac_f32_e32 v142, v162, v134
	s_delay_alu instid0(VALU_DEP_2) | instskip(NEXT) | instid1(VALU_DEP_2)
	v_lshl_or_b32 v135, v141, 11, v133
	v_add_f32_e32 v134, 0x358637bd, v142
	s_delay_alu instid0(VALU_DEP_1) | instskip(SKIP_1) | instid1(VALU_DEP_2)
	v_div_scale_f32 v167, null, v134, v134, 1.0
	v_div_scale_f32 v163, vcc_lo, 1.0, v134, 1.0
	v_rcp_f32_e32 v168, v167
	s_waitcnt_depctr 0xfff
	v_fma_f32 v129, -v167, v168, 1.0
	s_delay_alu instid0(VALU_DEP_1) | instskip(SKIP_2) | instid1(VALU_DEP_2)
	v_fmac_f32_e32 v168, v129, v168
	v_cndmask_b32_e64 v129, v130, v165, s2
	v_cmp_eq_u32_e64 s2, 6, v141
	v_cndmask_b32_e64 v130, v129, v164, s3
	v_lshlrev_b32_e32 v129, 2, v138
	v_mul_f32_e32 v165, v163, v168
	s_delay_alu instid0(VALU_DEP_3) | instskip(NEXT) | instid1(VALU_DEP_3)
	v_cndmask_b32_e64 v161, v130, v161, s4
	v_or_b32_e32 v130, 1, v129
	s_delay_alu instid0(VALU_DEP_3)
	v_fma_f32 v131, -v167, v165, v163
	v_or_b32_e32 v132, 2, v129
	v_cmp_eq_u32_e64 s3, 1, v129
	v_cndmask_b32_e64 v141, v161, v159, s5
	v_cmp_eq_u32_e64 s8, 1, v130
	v_fmac_f32_e32 v165, v131, v168
	v_or_b32_e32 v131, 3, v129
	v_cmp_eq_u32_e64 s9, 1, v132
	v_cndmask_b32_e64 v141, v141, v160, s2
	v_cmp_eq_u32_e64 s4, 2, v129
	v_fma_f32 v159, -v167, v165, v163
	v_cmp_eq_u32_e64 s10, 1, v131
	v_cmp_eq_u32_e64 s15, 2, v131
	v_cndmask_b32_e64 v141, v141, v162, s6
	v_cmp_eq_u32_e64 s11, 2, v130
	v_div_fmas_f32 v159, v159, v168, v165
	v_cmp_eq_u32_e64 s17, 3, v131
	v_cmp_eq_u32_e32 vcc_lo, 3, v129
	v_cmp_eq_u32_e64 s12, 3, v130
	v_cmp_eq_u32_e64 s13, 2, v132
	v_div_fixup_f32 v159, v159, v134, 1.0
	v_lshl_or_b32 v134, v138, 4, v135
	v_cmp_eq_u32_e64 s21, 4, v131
	v_cmp_eq_u32_e64 s2, 4, v129
	;; [unrolled: 1-line block ×3, first 2 shown]
	v_mul_f32_e32 v141, v141, v159
	v_cmp_eq_u32_e64 s18, 4, v130
	v_cmp_eq_u32_e64 s23, 5, v131
	;; [unrolled: 1-line block ×4, first 2 shown]
	v_fma_mixlo_f16 v159, v141, v144, 0
	v_fma_mixlo_f16 v160, v141, v146, 0
	;; [unrolled: 1-line block ×8, first 2 shown]
	v_fma_mixhi_f16 v159, v141, v143, 0
	v_fma_mixhi_f16 v160, v141, v145, 0
	;; [unrolled: 1-line block ×8, first 2 shown]
	ds_store_b128 v134, v[159:162]
	ds_store_b128 v134, v[163:166] offset:1024
	s_waitcnt lgkmcnt(0)
	s_barrier
	buffer_gl0_inv
	ds_load_b128 v[143:146], v135
	ds_load_b128 v[147:150], v135 offset:16
	ds_load_b128 v[151:154], v135 offset:1024
	;; [unrolled: 1-line block ×3, first 2 shown]
	v_cmp_eq_u32_e64 s20, 4, v132
	v_cmp_eq_u32_e64 s26, 6, v131
	;; [unrolled: 1-line block ×10, first 2 shown]
	s_waitcnt lgkmcnt(3)
	v_lshrrev_b32_e32 v141, 16, v143
	s_waitcnt lgkmcnt(2)
	v_lshrrev_b32_e32 v162, 16, v147
	v_lshrrev_b32_e32 v159, 16, v144
	;; [unrolled: 1-line block ×3, first 2 shown]
	s_waitcnt lgkmcnt(1)
	v_lshrrev_b32_e32 v166, 16, v151
	v_cndmask_b32_e64 v174, v143, v141, s3
	v_cndmask_b32_e64 v176, v143, v141, s8
	;; [unrolled: 1-line block ×5, first 2 shown]
	s_waitcnt lgkmcnt(0)
	v_lshrrev_b32_e32 v170, 16, v155
	v_cndmask_b32_e64 v175, v147, v162, s3
	v_cndmask_b32_e64 v177, v147, v162, s8
	;; [unrolled: 1-line block ×19, first 2 shown]
	v_lshrrev_b32_e32 v160, 16, v145
	v_lshrrev_b32_e32 v164, 16, v149
	;; [unrolled: 1-line block ×4, first 2 shown]
	v_cndmask_b32_e64 v176, v178, v144, s13
	v_cndmask_b32_e64 v177, v179, v148, s13
	v_cndmask_b32_e64 v144, v147, v152, s4
	v_cndmask_b32_e64 v147, v162, v156, s4
	v_cndmask_b32_e64 v148, v180, v152, s11
	v_cndmask_b32_e64 v162, v182, v152, s13
	v_cndmask_b32_e64 v151, v151, v152, s15
	v_cndmask_b32_e64 v152, v155, v156, s15
	v_cndmask_b32_e32 v155, v166, v159, vcc_lo
	v_cndmask_b32_e32 v166, v170, v163, vcc_lo
	v_cndmask_b32_e64 v170, v174, v159, s12
	v_cndmask_b32_e64 v174, v175, v163, s12
	;; [unrolled: 1-line block ×6, first 2 shown]
	v_cndmask_b32_e32 v144, v144, v167, vcc_lo
	v_cndmask_b32_e32 v147, v147, v171, vcc_lo
	v_cndmask_b32_e64 v148, v148, v167, s12
	v_cndmask_b32_e64 v155, v155, v145, s2
	;; [unrolled: 1-line block ×7, first 2 shown]
	v_lshrrev_b32_e32 v161, 16, v146
	v_lshrrev_b32_e32 v165, 16, v150
	;; [unrolled: 1-line block ×4, first 2 shown]
	v_cndmask_b32_e64 v170, v175, v145, s20
	v_cndmask_b32_e64 v174, v176, v149, s20
	;; [unrolled: 1-line block ×22, first 2 shown]
	v_lshrrev_b32_e32 v169, 16, v154
	v_cndmask_b32_e64 v160, v163, v146, s25
	v_cndmask_b32_e64 v163, v166, v150, s25
	;; [unrolled: 1-line block ×9, first 2 shown]
	v_perm_b32 v146, v143, v141, 0x5040100
	v_cndmask_b32_e64 v141, v183, v156, s13
	v_cndmask_b32_e64 v143, v181, v156, s11
	;; [unrolled: 1-line block ×4, first 2 shown]
	v_perm_b32 v144, v159, v149, 0x5040100
	v_cndmask_b32_e64 v149, v162, v167, s16
	v_cndmask_b32_e64 v151, v151, v167, s17
	;; [unrolled: 1-line block ×15, first 2 shown]
	v_lshrrev_b32_e32 v173, 16, v158
	v_cndmask_b32_e64 v149, v149, v154, s25
	v_cndmask_b32_e64 v151, v151, v154, s26
	v_cndmask_b32_e64 v152, v152, v158, s26
	v_cndmask_b32_e64 v141, v141, v158, s25
	v_cndmask_b32_e64 v143, v143, v158, s24
	v_cndmask_b32_e64 v160, v163, v165, s27
	v_cndmask_b32_e64 v163, v145, v169, s29
	v_cndmask_b32_e64 v149, v149, v169, s27
	v_cndmask_b32_e64 v151, v151, v169, s28
	v_cndmask_b32_e64 v152, v152, v173, s28
	v_cndmask_b32_e64 v141, v141, v173, s27
	v_cndmask_b32_e64 v153, v143, v173, s29
	v_cndmask_b32_e64 v154, v150, v173, s7
	v_perm_b32 v145, v160, v155, 0x5040100
	v_perm_b32 v143, v148, v147, 0x5040100
	;; [unrolled: 1-line block ×6, first 2 shown]
	s_mul_i32 s6, s33, 14
	s_mov_b32 s2, exec_lo
	ds_store_b128 v134, v[143:146]
	ds_store_b128 v134, v[147:150] offset:1024
	v_cmpx_gt_u32_e32 14, v0
	s_cbranch_execz .LBB263_14
; %bb.13:
	s_mul_i32 s3, s6, s30
	s_load_b128 s[8:11], s[0:1], 0x58
	v_add3_u32 v143, s3, s31, v140
	s_delay_alu instid0(VALU_DEP_1) | instskip(NEXT) | instid1(VALU_DEP_1)
	v_mad_u64_u32 v[140:141], null, v143, s34, s[14:15]
	v_ashrrev_i32_e32 v141, 31, v140
	s_delay_alu instid0(VALU_DEP_1) | instskip(SKIP_1) | instid1(VALU_DEP_1)
	v_lshlrev_b64 v[140:141], 2, v[140:141]
	s_waitcnt lgkmcnt(0)
	v_add_co_u32 v143, vcc_lo, s10, v140
	s_delay_alu instid0(VALU_DEP_2)
	v_add_co_ci_u32_e32 v144, vcc_lo, s11, v141, vcc_lo
	v_add_co_u32 v140, vcc_lo, s8, v140
	v_add_co_ci_u32_e32 v141, vcc_lo, s9, v141, vcc_lo
	global_store_b32 v[143:144], v136, off
	global_store_b32 v[140:141], v142, off
.LBB263_14:
	s_or_b32 exec_lo, exec_lo, s2
	s_waitcnt lgkmcnt(0)
	s_waitcnt_vscnt null, 0x0
	s_barrier
	buffer_gl0_inv
	ds_load_b128 v[148:151], v133
	ds_load_b128 v[152:155], v133 offset:16
	ds_load_b128 v[160:163], v133 offset:1040
	ds_load_b128 v[156:159], v133 offset:1024
	ds_load_b128 v[168:171], v133 offset:2064
	ds_load_b128 v[164:167], v133 offset:2048
	v_cmp_eq_u32_e32 vcc_lo, 1, v132
	v_mov_b32_e32 v140, 0
	ds_load_b128 v[176:179], v133 offset:3088
	ds_load_b128 v[172:175], v133 offset:3072
	;; [unrolled: 1-line block ×4, first 2 shown]
	v_cmp_eq_u32_e64 s2, 1, v129
	v_cmp_eq_u32_e64 s3, 1, v131
	;; [unrolled: 1-line block ×3, first 2 shown]
	v_mov_b32_e32 v141, v140
	v_mov_b32_e32 v142, v140
	;; [unrolled: 1-line block ×7, first 2 shown]
	v_cmp_eq_u32_e64 s5, 2, v129
	s_waitcnt lgkmcnt(8)
	s_delay_alu instid0(VALU_DEP_2)
	v_wmma_f32_16x16x16_f16 v[140:147], v[121:128], v[148:155], v[140:147]
	ds_load_b128 v[125:128], v133 offset:5136
	ds_load_b128 v[121:124], v133 offset:5120
	s_waitcnt lgkmcnt(8)
	v_wmma_f32_16x16x16_f16 v[140:147], v[113:120], v[156:163], v[140:147]
	ds_load_b128 v[117:120], v133 offset:6160
	ds_load_b128 v[113:116], v133 offset:6144
	s_waitcnt lgkmcnt(8)
	;; [unrolled: 4-line block ×11, first 2 shown]
	s_barrier
	buffer_gl0_inv
	v_wmma_f32_16x16x16_f16 v[140:147], v[1:8], v[73:80], v[140:147]
	s_delay_alu instid0(VALU_DEP_1) | instskip(NEXT) | instid1(VALU_DEP_1)
	v_wmma_f32_16x16x16_f16 v[140:147], v[9:16], v[65:72], v[140:147]
	v_wmma_f32_16x16x16_f16 v[140:147], v[33:40], v[57:64], v[140:147]
	s_delay_alu instid0(VALU_DEP_1) | instskip(NEXT) | instid1(VALU_DEP_1)
	v_wmma_f32_16x16x16_f16 v[140:147], v[41:48], v[49:56], v[140:147]
	v_wmma_f32_16x16x16_f16 v[140:147], v[17:24], v[25:32], v[140:147]
	s_delay_alu instid0(VALU_DEP_1) | instskip(NEXT) | instid1(VALU_DEP_2)
	v_cvt_f16_f32_e64 v1, v140
	v_cvt_f16_f32_e64 v2, v141
	s_delay_alu instid0(VALU_DEP_3) | instskip(NEXT) | instid1(VALU_DEP_4)
	v_cvt_f16_f32_e64 v3, v142
	v_cvt_f16_f32_e64 v4, v143
	;; [unrolled: 1-line block ×6, first 2 shown]
	v_pack_b32_f16 v1, v1, v2
	v_pack_b32_f16 v2, v3, v4
	;; [unrolled: 1-line block ×3, first 2 shown]
	s_delay_alu instid0(VALU_DEP_4)
	v_pack_b32_f16 v4, v7, v8
	ds_store_b128 v134, v[1:4]
	s_waitcnt lgkmcnt(0)
	s_barrier
	buffer_gl0_inv
	ds_load_b128 v[1:4], v135
	ds_load_b128 v[5:8], v135 offset:16
	s_waitcnt lgkmcnt(1)
	v_lshrrev_b32_e32 v9, 16, v1
	s_waitcnt lgkmcnt(0)
	v_lshrrev_b32_e32 v13, 16, v5
	v_lshrrev_b32_e32 v10, 16, v2
	;; [unrolled: 1-line block ×4, first 2 shown]
	v_cndmask_b32_e64 v17, v1, v9, s2
	v_cndmask_b32_e64 v18, v5, v13, s2
	;; [unrolled: 1-line block ×3, first 2 shown]
	v_cmp_eq_u32_e64 s2, 2, v130
	v_cndmask_b32_e64 v20, v5, v13, s4
	v_cndmask_b32_e32 v21, v1, v9, vcc_lo
	v_cndmask_b32_e32 v22, v5, v13, vcc_lo
	v_cndmask_b32_e64 v1, v1, v9, s3
	v_cndmask_b32_e64 v5, v5, v13, s3
	v_cmp_eq_u32_e32 vcc_lo, 2, v132
	v_cmp_eq_u32_e64 s3, 2, v131
	v_cndmask_b32_e64 v9, v17, v2, s5
	v_cndmask_b32_e64 v13, v18, v6, s5
	;; [unrolled: 1-line block ×4, first 2 shown]
	v_cndmask_b32_e32 v19, v21, v2, vcc_lo
	v_cmp_eq_u32_e64 s2, 3, v132
	v_cndmask_b32_e32 v20, v22, v6, vcc_lo
	v_cndmask_b32_e64 v1, v1, v2, s3
	v_cmp_eq_u32_e32 vcc_lo, 3, v131
	v_cmp_eq_u32_e64 s4, 3, v129
	v_cndmask_b32_e64 v2, v5, v6, s3
	v_cmp_eq_u32_e64 s3, 3, v130
	v_cmp_eq_u32_e64 s5, 4, v129
	v_cndmask_b32_e32 v1, v1, v10, vcc_lo
	v_cndmask_b32_e64 v5, v9, v10, s4
	v_cndmask_b32_e64 v6, v13, v14, s4
	;; [unrolled: 1-line block ×3, first 2 shown]
	v_cmp_eq_u32_e64 s4, 4, v130
	v_cndmask_b32_e64 v13, v18, v14, s3
	v_cndmask_b32_e64 v17, v19, v10, s2
	;; [unrolled: 1-line block ×3, first 2 shown]
	v_cndmask_b32_e32 v2, v2, v14, vcc_lo
	v_cmp_eq_u32_e32 vcc_lo, 4, v132
	v_cmp_eq_u32_e64 s3, 4, v131
	v_lshrrev_b32_e32 v15, 16, v7
	v_cndmask_b32_e64 v5, v5, v3, s5
	v_cndmask_b32_e64 v6, v6, v7, s5
	v_cndmask_b32_e32 v14, v18, v7, vcc_lo
	v_cndmask_b32_e64 v9, v9, v3, s4
	v_cndmask_b32_e64 v10, v13, v7, s4
	v_cndmask_b32_e32 v13, v17, v3, vcc_lo
	v_cmp_eq_u32_e64 s2, 5, v132
	v_cndmask_b32_e64 v1, v1, v3, s3
	v_cmp_eq_u32_e32 vcc_lo, 5, v131
	v_cmp_eq_u32_e64 s4, 5, v129
	v_cndmask_b32_e64 v2, v2, v7, s3
	v_cmp_eq_u32_e64 s3, 5, v130
	v_cmp_eq_u32_e64 s5, 6, v129
	v_lshrrev_b32_e32 v12, 16, v4
	v_cndmask_b32_e64 v3, v5, v11, s4
	v_cndmask_b32_e64 v5, v6, v15, s4
	;; [unrolled: 1-line block ×3, first 2 shown]
	v_cmp_eq_u32_e64 s4, 6, v130
	v_cndmask_b32_e64 v7, v10, v15, s3
	v_cndmask_b32_e64 v9, v13, v11, s2
	;; [unrolled: 1-line block ×3, first 2 shown]
	v_cndmask_b32_e32 v1, v1, v11, vcc_lo
	v_cndmask_b32_e32 v2, v2, v15, vcc_lo
	v_cmp_eq_u32_e32 vcc_lo, 6, v132
	v_cmp_eq_u32_e64 s2, 6, v131
	v_lshrrev_b32_e32 v16, 16, v8
	v_cndmask_b32_e64 v3, v3, v4, s5
	v_cndmask_b32_e64 v5, v5, v8, s5
	v_cndmask_b32_e32 v9, v9, v4, vcc_lo
	v_cndmask_b32_e64 v6, v6, v4, s4
	v_cndmask_b32_e64 v7, v7, v8, s4
	v_cmp_eq_u32_e64 s3, 7, v132
	v_cndmask_b32_e32 v10, v10, v8, vcc_lo
	v_cndmask_b32_e64 v1, v1, v4, s2
	v_cmp_eq_u32_e32 vcc_lo, 7, v131
	v_cndmask_b32_e64 v2, v2, v8, s2
	v_cmp_eq_u32_e64 s2, 7, v129
	v_cmp_eq_u32_e64 s4, 7, v130
	v_cndmask_b32_e32 v1, v1, v12, vcc_lo
	s_delay_alu instid0(VALU_DEP_4) | instskip(NEXT) | instid1(VALU_DEP_4)
	v_cndmask_b32_e32 v2, v2, v16, vcc_lo
	v_cndmask_b32_e64 v8, v3, v12, s2
	s_delay_alu instid0(VALU_DEP_4)
	v_cndmask_b32_e64 v6, v6, v12, s4
	v_cndmask_b32_e64 v3, v9, v12, s3
	;; [unrolled: 1-line block ×5, first 2 shown]
	v_perm_b32 v4, v2, v1, 0x5040100
	s_mov_b32 s2, exec_lo
	v_perm_b32 v3, v9, v3, 0x5040100
	v_perm_b32 v2, v7, v6, 0x5040100
	v_perm_b32 v1, v5, v8, 0x5040100
	ds_store_b128 v134, v[1:4]
	s_waitcnt lgkmcnt(0)
	s_barrier
	buffer_gl0_inv
	v_cmpx_gt_u32_e32 32, v0
	s_cbranch_execz .LBB263_2
; %bb.15:
	s_load_b64 s[0:1], s[0:1], 0x68
	v_lshlrev_b32_e32 v0, 10, v0
	s_lshl_b32 s4, s34, 7
	v_or_b32_e32 v3, s31, v138
	s_mul_i32 s2, s4, s30
	v_lshlrev_b32_e32 v1, 4, v139
	v_lshlrev_b32_e32 v2, 6, v138
	v_and_b32_e32 v0, 0x3800, v0
	s_mul_i32 s2, s2, s6
	v_mul_lo_u32 v8, v3, s4
	s_ashr_i32 s3, s2, 31
	s_delay_alu instid0(SALU_CYCLE_1)
	s_lshl_b64 s[2:3], s[2:3], 1
	v_or3_b32 v16, v0, v1, v2
	ds_load_b128 v[0:3], v16
	ds_load_b128 v[4:7], v16 offset:128
	v_ashrrev_i32_e32 v9, 31, v8
	s_waitcnt lgkmcnt(0)
	s_add_u32 s2, s0, s2
	s_addc_u32 s3, s1, s3
	s_lshl_b32 s0, s14, 7
	s_delay_alu instid0(SALU_CYCLE_1) | instskip(SKIP_2) | instid1(SALU_CYCLE_1)
	s_ashr_i32 s1, s0, 31
	v_lshlrev_b64 v[9:10], 1, v[8:9]
	s_lshl_b64 s[0:1], s[0:1], 1
	s_add_u32 s0, s2, s0
	s_addc_u32 s1, s3, s1
	s_lshl_b32 s2, s34, 8
	v_add_co_u32 v30, s0, s0, v137
	v_add_nc_u32_e32 v11, s2, v8
	v_add_co_ci_u32_e64 v31, null, s1, 0, s0
	s_delay_alu instid0(VALU_DEP_3) | instskip(NEXT) | instid1(VALU_DEP_3)
	v_add_co_u32 v9, vcc_lo, v30, v9
	v_add_nc_u32_e32 v8, s2, v11
	s_delay_alu instid0(VALU_DEP_3) | instskip(SKIP_1) | instid1(VALU_DEP_3)
	v_add_co_ci_u32_e32 v10, vcc_lo, v31, v10, vcc_lo
	v_ashrrev_i32_e32 v12, 31, v11
	v_add_nc_u32_e32 v13, s2, v8
	global_store_b128 v[9:10], v[0:3], off
	v_ashrrev_i32_e32 v9, 31, v8
	v_lshlrev_b64 v[11:12], 1, v[11:12]
	v_ashrrev_i32_e32 v14, 31, v13
	v_add_nc_u32_e32 v10, s2, v13
	s_delay_alu instid0(VALU_DEP_4) | instskip(NEXT) | instid1(VALU_DEP_4)
	v_lshlrev_b64 v[2:3], 1, v[8:9]
	v_add_co_u32 v0, vcc_lo, v30, v11
	s_delay_alu instid0(VALU_DEP_4)
	v_lshlrev_b64 v[8:9], 1, v[13:14]
	v_add_co_ci_u32_e32 v1, vcc_lo, v31, v12, vcc_lo
	v_ashrrev_i32_e32 v11, 31, v10
	v_add_co_u32 v22, vcc_lo, v30, v2
	v_add_nc_u32_e32 v20, s2, v10
	v_add_co_ci_u32_e32 v23, vcc_lo, v31, v3, vcc_lo
	v_add_co_u32 v24, vcc_lo, v30, v8
	global_store_b128 v[0:1], v[4:7], off
	v_add_co_ci_u32_e32 v25, vcc_lo, v31, v9, vcc_lo
	ds_load_b128 v[0:3], v16 offset:256
	ds_load_b128 v[4:7], v16 offset:384
	v_lshlrev_b64 v[26:27], 1, v[10:11]
	ds_load_b128 v[8:11], v16 offset:512
	ds_load_b128 v[12:15], v16 offset:640
	;; [unrolled: 1-line block ×3, first 2 shown]
	v_add_nc_u32_e32 v28, s2, v20
	v_ashrrev_i32_e32 v21, 31, v20
	v_add_co_u32 v26, vcc_lo, v30, v26
	s_delay_alu instid0(VALU_DEP_3) | instskip(NEXT) | instid1(VALU_DEP_3)
	v_ashrrev_i32_e32 v29, 31, v28
	v_lshlrev_b64 v[20:21], 1, v[20:21]
	v_add_co_ci_u32_e32 v27, vcc_lo, v31, v27, vcc_lo
	s_delay_alu instid0(VALU_DEP_3) | instskip(NEXT) | instid1(VALU_DEP_3)
	v_lshlrev_b64 v[28:29], 1, v[28:29]
	v_add_co_u32 v20, vcc_lo, v30, v20
	s_delay_alu instid0(VALU_DEP_4) | instskip(NEXT) | instid1(VALU_DEP_3)
	v_add_co_ci_u32_e32 v21, vcc_lo, v31, v21, vcc_lo
	v_add_co_u32 v28, vcc_lo, v30, v28
	s_delay_alu instid0(VALU_DEP_4)
	v_add_co_ci_u32_e32 v29, vcc_lo, v31, v29, vcc_lo
	s_waitcnt lgkmcnt(4)
	global_store_b128 v[22:23], v[0:3], off
	s_waitcnt lgkmcnt(3)
	global_store_b128 v[24:25], v[4:7], off
	;; [unrolled: 2-line block ×5, first 2 shown]
	s_nop 0
	s_sendmsg sendmsg(MSG_DEALLOC_VGPRS)
	s_endpgm
	.section	.rodata,"a",@progbits
	.p2align	6, 0x0
	.amdhsa_kernel _Z39paged_attention_ll4mi_QKV_mfma16_kernelIDF16_DF16_LN4vllm18Fp8KVCacheDataTypeE0EDF16_Li16ELi128ELi256ELb1ELi14EL8MFMAType0EEvPKT_PKT0_S8_ifPKiSA_SA_iPKfiiiPfSD_PS3_PT2_iSC_SC_
		.amdhsa_group_segment_fixed_size 17472
		.amdhsa_private_segment_fixed_size 0
		.amdhsa_kernarg_size 400
		.amdhsa_user_sgpr_count 13
		.amdhsa_user_sgpr_dispatch_ptr 0
		.amdhsa_user_sgpr_queue_ptr 0
		.amdhsa_user_sgpr_kernarg_segment_ptr 1
		.amdhsa_user_sgpr_dispatch_id 0
		.amdhsa_user_sgpr_private_segment_size 0
		.amdhsa_wavefront_size32 1
		.amdhsa_uses_dynamic_stack 0
		.amdhsa_enable_private_segment 0
		.amdhsa_system_sgpr_workgroup_id_x 1
		.amdhsa_system_sgpr_workgroup_id_y 1
		.amdhsa_system_sgpr_workgroup_id_z 1
		.amdhsa_system_sgpr_workgroup_info 0
		.amdhsa_system_vgpr_workitem_id 0
		.amdhsa_next_free_vgpr 218
		.amdhsa_next_free_sgpr 52
		.amdhsa_reserve_vcc 1
		.amdhsa_float_round_mode_32 0
		.amdhsa_float_round_mode_16_64 0
		.amdhsa_float_denorm_mode_32 3
		.amdhsa_float_denorm_mode_16_64 3
		.amdhsa_dx10_clamp 1
		.amdhsa_ieee_mode 1
		.amdhsa_fp16_overflow 0
		.amdhsa_workgroup_processor_mode 1
		.amdhsa_memory_ordered 1
		.amdhsa_forward_progress 0
		.amdhsa_shared_vgpr_count 0
		.amdhsa_exception_fp_ieee_invalid_op 0
		.amdhsa_exception_fp_denorm_src 0
		.amdhsa_exception_fp_ieee_div_zero 0
		.amdhsa_exception_fp_ieee_overflow 0
		.amdhsa_exception_fp_ieee_underflow 0
		.amdhsa_exception_fp_ieee_inexact 0
		.amdhsa_exception_int_div_zero 0
	.end_amdhsa_kernel
	.section	.text._Z39paged_attention_ll4mi_QKV_mfma16_kernelIDF16_DF16_LN4vllm18Fp8KVCacheDataTypeE0EDF16_Li16ELi128ELi256ELb1ELi14EL8MFMAType0EEvPKT_PKT0_S8_ifPKiSA_SA_iPKfiiiPfSD_PS3_PT2_iSC_SC_,"axG",@progbits,_Z39paged_attention_ll4mi_QKV_mfma16_kernelIDF16_DF16_LN4vllm18Fp8KVCacheDataTypeE0EDF16_Li16ELi128ELi256ELb1ELi14EL8MFMAType0EEvPKT_PKT0_S8_ifPKiSA_SA_iPKfiiiPfSD_PS3_PT2_iSC_SC_,comdat
.Lfunc_end263:
	.size	_Z39paged_attention_ll4mi_QKV_mfma16_kernelIDF16_DF16_LN4vllm18Fp8KVCacheDataTypeE0EDF16_Li16ELi128ELi256ELb1ELi14EL8MFMAType0EEvPKT_PKT0_S8_ifPKiSA_SA_iPKfiiiPfSD_PS3_PT2_iSC_SC_, .Lfunc_end263-_Z39paged_attention_ll4mi_QKV_mfma16_kernelIDF16_DF16_LN4vllm18Fp8KVCacheDataTypeE0EDF16_Li16ELi128ELi256ELb1ELi14EL8MFMAType0EEvPKT_PKT0_S8_ifPKiSA_SA_iPKfiiiPfSD_PS3_PT2_iSC_SC_
                                        ; -- End function
	.section	.AMDGPU.csdata,"",@progbits
; Kernel info:
; codeLenInByte = 8220
; NumSgprs: 54
; NumVgprs: 218
; ScratchSize: 0
; MemoryBound: 0
; FloatMode: 240
; IeeeMode: 1
; LDSByteSize: 17472 bytes/workgroup (compile time only)
; SGPRBlocks: 6
; VGPRBlocks: 27
; NumSGPRsForWavesPerEU: 54
; NumVGPRsForWavesPerEU: 218
; Occupancy: 6
; WaveLimiterHint : 1
; COMPUTE_PGM_RSRC2:SCRATCH_EN: 0
; COMPUTE_PGM_RSRC2:USER_SGPR: 13
; COMPUTE_PGM_RSRC2:TRAP_HANDLER: 0
; COMPUTE_PGM_RSRC2:TGID_X_EN: 1
; COMPUTE_PGM_RSRC2:TGID_Y_EN: 1
; COMPUTE_PGM_RSRC2:TGID_Z_EN: 1
; COMPUTE_PGM_RSRC2:TIDIG_COMP_CNT: 0
	.section	.text._Z39paged_attention_ll4mi_QKV_mfma16_kernelIDF16_DF16_LN4vllm18Fp8KVCacheDataTypeE0EDF16_Li16ELi128ELi256ELb1ELi15EL8MFMAType0EEvPKT_PKT0_S8_ifPKiSA_SA_iPKfiiiPfSD_PS3_PT2_iSC_SC_,"axG",@progbits,_Z39paged_attention_ll4mi_QKV_mfma16_kernelIDF16_DF16_LN4vllm18Fp8KVCacheDataTypeE0EDF16_Li16ELi128ELi256ELb1ELi15EL8MFMAType0EEvPKT_PKT0_S8_ifPKiSA_SA_iPKfiiiPfSD_PS3_PT2_iSC_SC_,comdat
	.protected	_Z39paged_attention_ll4mi_QKV_mfma16_kernelIDF16_DF16_LN4vllm18Fp8KVCacheDataTypeE0EDF16_Li16ELi128ELi256ELb1ELi15EL8MFMAType0EEvPKT_PKT0_S8_ifPKiSA_SA_iPKfiiiPfSD_PS3_PT2_iSC_SC_ ; -- Begin function _Z39paged_attention_ll4mi_QKV_mfma16_kernelIDF16_DF16_LN4vllm18Fp8KVCacheDataTypeE0EDF16_Li16ELi128ELi256ELb1ELi15EL8MFMAType0EEvPKT_PKT0_S8_ifPKiSA_SA_iPKfiiiPfSD_PS3_PT2_iSC_SC_
	.globl	_Z39paged_attention_ll4mi_QKV_mfma16_kernelIDF16_DF16_LN4vllm18Fp8KVCacheDataTypeE0EDF16_Li16ELi128ELi256ELb1ELi15EL8MFMAType0EEvPKT_PKT0_S8_ifPKiSA_SA_iPKfiiiPfSD_PS3_PT2_iSC_SC_
	.p2align	8
	.type	_Z39paged_attention_ll4mi_QKV_mfma16_kernelIDF16_DF16_LN4vllm18Fp8KVCacheDataTypeE0EDF16_Li16ELi128ELi256ELb1ELi15EL8MFMAType0EEvPKT_PKT0_S8_ifPKiSA_SA_iPKfiiiPfSD_PS3_PT2_iSC_SC_,@function
_Z39paged_attention_ll4mi_QKV_mfma16_kernelIDF16_DF16_LN4vllm18Fp8KVCacheDataTypeE0EDF16_Li16ELi128ELi256ELb1ELi15EL8MFMAType0EEvPKT_PKT0_S8_ifPKiSA_SA_iPKfiiiPfSD_PS3_PT2_iSC_SC_: ; @_Z39paged_attention_ll4mi_QKV_mfma16_kernelIDF16_DF16_LN4vllm18Fp8KVCacheDataTypeE0EDF16_Li16ELi128ELi256ELb1ELi15EL8MFMAType0EEvPKT_PKT0_S8_ifPKiSA_SA_iPKfiiiPfSD_PS3_PT2_iSC_SC_
; %bb.0:
	s_load_b64 s[4:5], s[0:1], 0x30
	s_mov_b32 s34, s13
	s_waitcnt lgkmcnt(0)
	s_cmp_lg_u64 s[4:5], 0
	s_cselect_b32 s12, -1, 0
	s_ashr_i32 s35, s13, 31
	s_cmp_eq_u64 s[4:5], 0
	s_cbranch_scc1 .LBB264_3
; %bb.1:
	s_lshl_b64 s[2:3], s[34:35], 2
	s_delay_alu instid0(SALU_CYCLE_1) | instskip(SKIP_4) | instid1(SALU_CYCLE_1)
	s_add_u32 s2, s4, s2
	s_addc_u32 s3, s5, s3
	s_load_b64 s[2:3], s[2:3], 0x0
	s_waitcnt lgkmcnt(0)
	s_sub_i32 s2, s3, s2
	s_cmp_eq_u32 s2, 1
	s_cselect_b32 s2, -1, 0
	s_delay_alu instid0(SALU_CYCLE_1)
	s_and_not1_b32 vcc_lo, exec_lo, s2
	s_cbranch_vccz .LBB264_4
.LBB264_2:
	s_nop 0
	s_sendmsg sendmsg(MSG_DEALLOC_VGPRS)
	s_endpgm
.LBB264_3:
.LBB264_4:
	s_load_b64 s[2:3], s[0:1], 0x28
	s_lshl_b64 s[6:7], s[34:35], 2
	s_waitcnt lgkmcnt(0)
	s_add_u32 s2, s2, s6
	s_addc_u32 s3, s3, s7
	s_lshl_b32 s29, s14, 8
	s_load_b32 s28, s[2:3], 0x0
	s_waitcnt lgkmcnt(0)
	s_cmp_ge_i32 s29, s28
	s_cbranch_scc1 .LBB264_2
; %bb.5:
	s_clause 0x1
	s_load_b128 s[8:11], s[0:1], 0x8
	s_load_b64 s[2:3], s[0:1], 0x20
	s_and_not1_b32 vcc_lo, exec_lo, s12
	s_cbranch_vccnz .LBB264_7
; %bb.6:
	s_add_u32 s4, s4, s6
	s_addc_u32 s5, s5, s7
	s_load_b32 s12, s[4:5], 0x0
	s_branch .LBB264_8
.LBB264_7:
	s_mov_b32 s12, s34
.LBB264_8:
	s_load_b128 s[4:7], s[0:1], 0x48
	v_and_b32_e32 v140, 15, v0
	v_lshrrev_b32_e32 v141, 5, v0
	v_bfe_u32 v138, v0, 4, 1
	v_and_b32_e32 v142, 31, v0
	v_and_b32_e32 v139, 1, v0
	v_lshlrev_b32_e32 v2, 3, v140
	s_mul_i32 s31, s15, 15
	v_lshl_or_b32 v1, v141, 1, v138
	s_waitcnt lgkmcnt(0)
	s_mov_b32 s7, exec_lo
	v_lshlrev_b32_e32 v137, 1, v2
	s_delay_alu instid0(VALU_DEP_2)
	v_cmpx_gt_u32_e32 15, v1
	s_cbranch_execz .LBB264_10
; %bb.9:
	s_load_b64 s[16:17], s[0:1], 0x0
	v_add_lshl_u32 v2, v1, s31, 7
	s_mul_hi_i32 s13, s12, s4
	s_mul_i32 s12, s12, s4
	v_lshlrev_b32_e32 v6, 10, v140
	s_lshl_b64 s[12:13], s[12:13], 1
	v_ashrrev_i32_e32 v3, 31, v2
	v_lshlrev_b32_e32 v1, 6, v1
	v_lshlrev_b32_e32 v7, 10, v139
	v_and_b32_e32 v6, 0x3800, v6
	s_delay_alu instid0(VALU_DEP_4) | instskip(NEXT) | instid1(VALU_DEP_2)
	v_lshlrev_b64 v[2:3], 1, v[2:3]
	v_or3_b32 v1, v6, v7, v1
	s_waitcnt lgkmcnt(0)
	s_add_u32 s4, s16, s12
	s_addc_u32 s12, s17, s13
	s_delay_alu instid0(VALU_DEP_2) | instskip(SKIP_1) | instid1(VALU_DEP_2)
	v_add_co_u32 v2, vcc_lo, s4, v2
	v_add_co_ci_u32_e32 v3, vcc_lo, s12, v3, vcc_lo
	v_add_co_u32 v2, vcc_lo, v2, v137
	s_delay_alu instid0(VALU_DEP_2)
	v_add_co_ci_u32_e32 v3, vcc_lo, 0, v3, vcc_lo
	global_load_b128 v[2:5], v[2:3], off
	s_waitcnt vmcnt(0)
	ds_store_b128 v1, v[2:5]
.LBB264_10:
	s_or_b32 exec_lo, exec_lo, s7
	s_mov_b32 s40, 0
	s_add_i32 s4, s28, 15
	s_mov_b32 s41, s40
	s_mov_b32 s42, s40
	s_mov_b32 s43, s40
	s_mov_b32 s44, s40
	s_mov_b32 s45, s40
	s_mov_b32 s46, s40
	s_mov_b32 s47, s40
	s_delay_alu instid0(SALU_CYCLE_1)
	v_dual_mov_b32 v136, s47 :: v_dual_and_b32 v1, 0xef, v0
	v_mov_b32_e32 v134, s45
	s_clause 0x1
	s_load_b32 s7, s[0:1], 0x38
	s_load_b32 s33, s[0:1], 0x98
	v_add_nc_u32_e32 v1, s29, v1
	s_ashr_i32 s12, s4, 31
	s_load_b32 s30, s[0:1], 0x1c
	s_lshr_b32 s12, s12, 28
	s_waitcnt lgkmcnt(0)
	v_ashrrev_i32_e32 v2, 31, v1
	s_add_i32 s4, s4, s12
	v_cmp_gt_i32_e32 vcc_lo, s28, v1
	s_ashr_i32 s4, s4, 4
	v_mov_b32_e32 v132, s43
	v_lshrrev_b32_e32 v3, 28, v2
	v_or_b32_e32 v2, 16, v1
	s_add_i32 s4, s4, -1
	s_barrier
	buffer_gl0_inv
	v_add_nc_u32_e32 v4, v1, v3
	v_add_nc_u32_e32 v3, v2, v3
	v_mov_b32_e32 v135, s46
	s_mul_i32 s12, s34, s7
	v_mov_b32_e32 v133, s44
	v_ashrrev_i32_e32 v4, 4, v4
	v_ashrrev_i32_e32 v3, 4, v3
	s_ashr_i32 s13, s12, 31
	v_lshlrev_b32_e32 v106, 5, v140
	s_lshl_b64 s[12:13], s[12:13], 2
	v_cndmask_b32_e32 v1, s4, v4, vcc_lo
	v_cmp_gt_i32_e32 vcc_lo, s28, v2
	s_add_u32 s35, s2, s12
	s_addc_u32 s36, s3, s13
	s_mul_i32 s2, s15, s6
	v_ashrrev_i32_e32 v2, 31, v1
	v_cndmask_b32_e32 v3, s4, v3, vcc_lo
	s_ashr_i32 s3, s2, 31
	v_lshl_or_b32 v125, v141, 9, v106
	s_lshl_b64 s[2:3], s[2:3], 1
	v_lshlrev_b64 v[1:2], 2, v[1:2]
	v_ashrrev_i32_e32 v4, 31, v3
	s_add_u32 s22, s8, s2
	s_addc_u32 s23, s9, s3
	s_lshl_b32 s6, s14, 4
	v_mov_b32_e32 v131, s42
	v_lshlrev_b64 v[3:4], 2, v[3:4]
	v_add_co_u32 v1, vcc_lo, s35, v1
	v_add_co_ci_u32_e32 v2, vcc_lo, s36, v2, vcc_lo
	s_ashr_i32 s7, s6, 31
	s_delay_alu instid0(VALU_DEP_3) | instskip(NEXT) | instid1(VALU_DEP_4)
	v_add_co_u32 v3, vcc_lo, s35, v3
	v_add_co_ci_u32_e32 v4, vcc_lo, s36, v4, vcc_lo
	s_clause 0x1
	global_load_b32 v5, v[1:2], off
	global_load_b32 v6, v[3:4], off
	s_lshl_b64 s[6:7], s[6:7], 2
	v_dual_mov_b32 v130, s41 :: v_dual_lshlrev_b32 v3, 4, v0
	s_add_u32 s6, s35, s6
	s_addc_u32 s7, s36, s7
	s_or_b32 s8, s29, 16
	v_mov_b32_e32 v129, s40
	s_ashr_i32 s9, s8, 4
	s_cmp_lt_i32 s8, s28
	s_cselect_b32 s8, s9, s4
	s_delay_alu instid0(SALU_CYCLE_1) | instskip(NEXT) | instid1(SALU_CYCLE_1)
	s_ashr_i32 s9, s8, 31
	s_lshl_b64 s[8:9], s[8:9], 2
	s_delay_alu instid0(SALU_CYCLE_1) | instskip(SKIP_2) | instid1(SALU_CYCLE_1)
	s_add_u32 s8, s35, s8
	s_addc_u32 s9, s36, s9
	s_or_b32 s12, s29, 32
	s_ashr_i32 s13, s12, 4
	s_cmp_lt_i32 s12, s28
	s_cselect_b32 s12, s13, s4
	s_delay_alu instid0(SALU_CYCLE_1) | instskip(NEXT) | instid1(SALU_CYCLE_1)
	s_ashr_i32 s13, s12, 31
	s_lshl_b64 s[12:13], s[12:13], 2
	s_delay_alu instid0(SALU_CYCLE_1) | instskip(SKIP_2) | instid1(SALU_CYCLE_1)
	s_add_u32 s12, s35, s12
	s_addc_u32 s13, s36, s13
	s_or_b32 s15, s29, 48
	;; [unrolled: 10-line block ×4, first 2 shown]
	s_ashr_i32 s20, s15, 4
	s_cmp_lt_i32 s15, s28
	s_cselect_b32 s20, s20, s4
	s_delay_alu instid0(SALU_CYCLE_1) | instskip(NEXT) | instid1(SALU_CYCLE_1)
	s_ashr_i32 s21, s20, 31
	s_lshl_b64 s[20:21], s[20:21], 2
	s_delay_alu instid0(SALU_CYCLE_1)
	s_add_u32 s20, s35, s20
	s_addc_u32 s21, s36, s21
	s_clause 0x5
	s_load_b32 s6, s[6:7], 0x0
	s_load_b32 s8, s[8:9], 0x0
	;; [unrolled: 1-line block ×6, first 2 shown]
	s_waitcnt vmcnt(1)
	v_mad_i64_i32 v[1:2], null, v5, s5, 0
	v_and_b32_e32 v5, 0xf0, v3
	s_waitcnt vmcnt(0)
	v_mad_i64_i32 v[3:4], null, v6, s5, 0
	s_delay_alu instid0(VALU_DEP_2) | instskip(NEXT) | instid1(VALU_DEP_4)
	v_add_co_u32 v5, s7, s22, v5
	v_lshlrev_b64 v[1:2], 1, v[1:2]
	v_add_co_ci_u32_e64 v6, null, s23, 0, s7
	s_delay_alu instid0(VALU_DEP_4) | instskip(SKIP_1) | instid1(VALU_DEP_3)
	v_lshlrev_b64 v[3:4], 1, v[3:4]
	s_or_b32 s7, s29, 0x60
	v_add_co_u32 v121, vcc_lo, v5, v1
	s_delay_alu instid0(VALU_DEP_3) | instskip(NEXT) | instid1(VALU_DEP_3)
	v_add_co_ci_u32_e32 v122, vcc_lo, v6, v2, vcc_lo
	v_add_co_u32 v123, vcc_lo, v5, v3
	s_delay_alu instid0(VALU_DEP_4)
	v_add_co_ci_u32_e32 v124, vcc_lo, v6, v4, vcc_lo
	s_clause 0x19
	global_load_b128 v[89:92], v[121:122], off
	global_load_b128 v[93:96], v[121:122], off offset:256
	global_load_b128 v[97:100], v[123:124], off
	global_load_b128 v[101:104], v[123:124], off offset:256
	global_load_b128 v[81:84], v[121:122], off offset:512
	;; [unrolled: 1-line block ×23, first 2 shown]
	s_ashr_i32 s9, s7, 4
	s_cmp_lt_i32 s7, s28
	v_cmp_ne_u32_e32 vcc_lo, 15, v140
	s_cselect_b32 s20, s9, s4
	s_delay_alu instid0(SALU_CYCLE_1) | instskip(NEXT) | instid1(SALU_CYCLE_1)
	s_ashr_i32 s21, s20, 31
	s_lshl_b64 s[20:21], s[20:21], 2
	v_cndmask_b32_e32 v105, 0, v140, vcc_lo
	s_add_u32 s20, s35, s20
	s_addc_u32 s21, s36, s21
	s_or_b32 s7, s29, 0x70
	s_delay_alu instid0(SALU_CYCLE_1)
	s_ashr_i32 s9, s7, 4
	s_cmp_lt_i32 s7, s28
	v_lshlrev_b32_e32 v215, 6, v105
	s_cselect_b32 s22, s9, s4
	ds_load_b128 v[105:108], v215
	ds_load_b128 v[109:112], v215 offset:1024
	s_ashr_i32 s23, s22, 31
	ds_load_b128 v[113:116], v215 offset:2048
	ds_load_b128 v[117:120], v215 offset:3072
	;; [unrolled: 1-line block ×8, first 2 shown]
	s_clause 0x1
	global_load_b128 v[167:170], v[123:124], off offset:3072
	global_load_b128 v[171:174], v[123:124], off offset:3328
	s_lshl_b64 s[22:23], s[22:23], 2
	s_delay_alu instid0(SALU_CYCLE_1)
	s_add_u32 s22, s35, s22
	s_addc_u32 s23, s36, s23
	s_clause 0x1
	s_load_b32 s44, s[20:21], 0x0
	s_load_b32 s45, s[22:23], 0x0
	s_clause 0x3
	global_load_b128 v[175:178], v[121:122], off offset:3584
	global_load_b128 v[179:182], v[121:122], off offset:3840
	;; [unrolled: 1-line block ×4, first 2 shown]
	s_or_b32 s7, s29, 0x80
	s_delay_alu instid0(SALU_CYCLE_1) | instskip(SKIP_2) | instid1(SALU_CYCLE_1)
	s_ashr_i32 s9, s7, 4
	s_cmp_lt_i32 s7, s28
	s_cselect_b32 s24, s9, s4
	s_ashr_i32 s25, s24, 31
	s_delay_alu instid0(SALU_CYCLE_1) | instskip(NEXT) | instid1(SALU_CYCLE_1)
	s_lshl_b64 s[24:25], s[24:25], 2
	s_add_u32 s24, s35, s24
	s_addc_u32 s25, s36, s25
	s_or_b32 s7, s29, 0x90
	s_delay_alu instid0(SALU_CYCLE_1) | instskip(SKIP_2) | instid1(SALU_CYCLE_1)
	s_ashr_i32 s9, s7, 4
	s_cmp_lt_i32 s7, s28
	s_cselect_b32 s26, s9, s4
	s_ashr_i32 s27, s26, 31
	s_delay_alu instid0(SALU_CYCLE_1) | instskip(NEXT) | instid1(SALU_CYCLE_1)
	s_lshl_b64 s[26:27], s[26:27], 2
	s_add_u32 s26, s35, s26
	s_addc_u32 s27, s36, s27
	s_or_b32 s7, s29, 0xa0
	s_delay_alu instid0(SALU_CYCLE_1)
	s_ashr_i32 s9, s7, 4
	s_cmp_lt_i32 s7, s28
	s_waitcnt lgkmcnt(0)
	s_mul_hi_i32 s7, s6, s5
	s_cselect_b32 s38, s9, s4
	s_mul_i32 s6, s6, s5
	s_ashr_i32 s39, s38, 31
	s_delay_alu instid0(SALU_CYCLE_1) | instskip(NEXT) | instid1(SALU_CYCLE_1)
	s_lshl_b64 s[38:39], s[38:39], 2
	s_add_u32 s38, s35, s38
	s_addc_u32 s39, s36, s39
	s_or_b32 s9, s29, 0xb0
	s_load_b32 s39, s[38:39], 0x0
	s_ashr_i32 s13, s9, 4
	s_cmp_lt_i32 s9, s28
	s_mul_hi_i32 s9, s8, s5
	s_cselect_b32 s40, s13, s4
	s_mul_i32 s8, s8, s5
	s_ashr_i32 s41, s40, 31
	s_mul_hi_i32 s13, s12, s5
	s_lshl_b64 s[40:41], s[40:41], 2
	s_mul_i32 s12, s12, s5
	s_add_u32 s42, s35, s40
	s_addc_u32 s43, s36, s41
	s_or_b32 s17, s29, 0xc0
	s_delay_alu instid0(SALU_CYCLE_1)
	s_ashr_i32 s19, s17, 4
	s_cmp_lt_i32 s17, s28
	s_mul_hi_i32 s17, s16, s5
	s_cselect_b32 s40, s19, s4
	s_mul_i32 s16, s16, s5
	s_ashr_i32 s41, s40, 31
	s_mul_hi_i32 s19, s18, s5
	s_lshl_b64 s[40:41], s[40:41], 2
	s_mul_i32 s18, s18, s5
	s_add_u32 s22, s35, s40
	s_addc_u32 s23, s36, s41
	s_or_b32 s20, s29, 0xd0
	s_clause 0x1
	s_load_b32 s41, s[24:25], 0x0
	s_load_b32 s40, s[26:27], 0x0
	s_ashr_i32 s21, s20, 4
	s_cmp_lt_i32 s20, s28
	s_mul_i32 s20, s15, s5
	s_cselect_b32 s24, s21, s4
	s_mul_hi_i32 s21, s15, s5
	s_ashr_i32 s25, s24, 31
	s_delay_alu instid0(SALU_CYCLE_1) | instskip(NEXT) | instid1(SALU_CYCLE_1)
	s_lshl_b64 s[24:25], s[24:25], 2
	s_add_u32 s24, s35, s24
	s_addc_u32 s25, s36, s25
	s_or_b32 s46, s29, 0xe0
	s_clause 0x2
	s_load_b32 s38, s[42:43], 0x0
	s_load_b32 s37, s[22:23], 0x0
	;; [unrolled: 1-line block ×3, first 2 shown]
	s_ashr_i32 s47, s46, 4
	s_cmp_lt_i32 s46, s28
	s_mul_hi_i32 s23, s44, s5
	s_cselect_b32 s42, s47, s4
	s_mul_i32 s22, s44, s5
	s_ashr_i32 s43, s42, 31
	s_mul_hi_i32 s25, s45, s5
	s_lshl_b64 s[42:43], s[42:43], 2
	s_mul_i32 s24, s45, s5
	s_add_u32 s42, s35, s42
	s_addc_u32 s43, s36, s43
	s_or_b32 s46, s29, 0xf0
	s_waitcnt lgkmcnt(0)
	s_mul_hi_i32 s27, s41, s5
	s_ashr_i32 s47, s46, 4
	s_cmp_lt_i32 s46, s28
	s_mul_i32 s26, s41, s5
	s_cselect_b32 s46, s47, s4
	s_mul_hi_i32 s41, s40, s5
	s_ashr_i32 s47, s46, 31
	s_mul_hi_i32 s51, s15, s5
	s_lshl_b64 s[46:47], s[46:47], 2
	s_mul_i32 s50, s15, s5
	s_add_u32 s46, s35, s46
	s_addc_u32 s47, s36, s47
	s_add_u32 s4, s10, s2
	s_addc_u32 s15, s11, s3
	v_add_co_u32 v216, s4, s4, v125
	s_delay_alu instid0(VALU_DEP_1) | instskip(SKIP_2) | instid1(VALU_DEP_2)
	v_add_co_ci_u32_e64 v217, null, s15, 0, s4
	s_lshl_b64 s[2:3], s[6:7], 1
	s_lshl_b64 s[6:7], s[8:9], 1
	v_add_co_u32 v125, vcc_lo, v216, s2
	s_delay_alu instid0(VALU_DEP_2)
	v_add_co_ci_u32_e32 v126, vcc_lo, s3, v217, vcc_lo
	v_add_co_u32 v199, vcc_lo, v216, s6
	s_lshl_b64 s[8:9], s[12:13], 1
	v_add_co_ci_u32_e32 v200, vcc_lo, s7, v217, vcc_lo
	s_lshl_b64 s[10:11], s[16:17], 1
	s_lshl_b64 s[12:13], s[18:19], 1
	;; [unrolled: 1-line block ×6, first 2 shown]
	s_mul_i32 s40, s40, s5
	s_mul_hi_i32 s45, s39, s5
	s_lshl_b64 s[24:25], s[40:41], 1
	s_mul_i32 s44, s39, s5
	s_mul_hi_i32 s39, s38, s5
	s_lshl_b64 s[26:27], s[44:45], 1
	s_mul_i32 s38, s38, s5
	s_mul_hi_i32 s49, s37, s5
	s_mul_i32 s48, s37, s5
	s_lshl_b64 s[36:37], s[38:39], 1
	s_lshl_b64 s[38:39], s[48:49], 1
	s_clause 0x1
	s_load_b32 s4, s[42:43], 0x0
	s_load_b32 s15, s[46:47], 0x0
	s_lshl_b64 s[40:41], s[50:51], 1
	s_waitcnt lgkmcnt(0)
	s_mul_hi_i32 s3, s4, s5
	s_mul_i32 s2, s4, s5
	s_mul_hi_i32 s7, s15, s5
	s_lshl_b64 s[2:3], s[2:3], 1
	s_mul_i32 s6, s15, s5
	s_waitcnt vmcnt(30)
	v_wmma_f32_16x16x16_f16 v[191:198], v[89:96], v[105:112], v[129:136]
	v_add_co_u32 v89, vcc_lo, v216, s8
	v_add_co_ci_u32_e32 v90, vcc_lo, s9, v217, vcc_lo
	v_add_co_u32 v91, vcc_lo, v216, s10
	v_add_co_ci_u32_e32 v92, vcc_lo, s11, v217, vcc_lo
	;; [unrolled: 2-line block ×5, first 2 shown]
	v_add_co_u32 v205, vcc_lo, v216, s20
	s_waitcnt vmcnt(28)
	v_wmma_f32_16x16x16_f16 v[129:136], v[97:104], v[105:112], v[129:136]
	v_add_co_ci_u32_e32 v206, vcc_lo, s21, v217, vcc_lo
	v_add_co_u32 v207, vcc_lo, v216, s22
	v_add_co_ci_u32_e32 v208, vcc_lo, s23, v217, vcc_lo
	v_add_co_u32 v209, vcc_lo, v216, s24
	s_waitcnt vmcnt(26)
	v_wmma_f32_16x16x16_f16 v[191:198], v[81:88], v[113:120], v[191:198]
	s_waitcnt vmcnt(24)
	v_wmma_f32_16x16x16_f16 v[129:136], v[73:80], v[113:120], v[129:136]
	v_add_co_ci_u32_e32 v210, vcc_lo, s25, v217, vcc_lo
	v_add_co_u32 v211, vcc_lo, v216, s26
	v_add_co_ci_u32_e32 v212, vcc_lo, s27, v217, vcc_lo
	v_add_co_u32 v213, vcc_lo, v216, s36
	s_waitcnt vmcnt(22)
	v_wmma_f32_16x16x16_f16 v[191:198], v[65:72], v[143:150], v[191:198]
	s_waitcnt vmcnt(20)
	v_wmma_f32_16x16x16_f16 v[129:136], v[57:64], v[143:150], v[129:136]
	v_add_co_ci_u32_e32 v214, vcc_lo, s37, v217, vcc_lo
	v_add_co_u32 v143, vcc_lo, v216, s38
	s_waitcnt vmcnt(18)
	v_wmma_f32_16x16x16_f16 v[191:198], v[49:56], v[151:158], v[191:198]
	s_waitcnt vmcnt(16)
	v_wmma_f32_16x16x16_f16 v[129:136], v[25:32], v[151:158], v[129:136]
	v_add_co_ci_u32_e32 v144, vcc_lo, s39, v217, vcc_lo
	s_clause 0x15
	global_load_b128 v[121:124], v[125:126], off
	global_load_b128 v[125:128], v[125:126], off offset:16
	global_load_b128 v[113:116], v[199:200], off
	global_load_b128 v[117:120], v[199:200], off offset:16
	;; [unrolled: 2-line block ×11, first 2 shown]
	s_waitcnt vmcnt(36)
	v_wmma_f32_16x16x16_f16 v[191:198], v[1:8], v[159:166], v[191:198]
	s_clause 0x1
	global_load_b128 v[1:4], v[213:214], off
	global_load_b128 v[5:8], v[213:214], off offset:16
	s_waitcnt vmcnt(36)
	v_wmma_f32_16x16x16_f16 v[129:136], v[9:16], v[159:166], v[129:136]
	s_clause 0x1
	global_load_b128 v[9:12], v[143:144], off
	global_load_b128 v[13:16], v[143:144], off offset:16
	ds_load_b128 v[143:146], v215 offset:10240
	ds_load_b128 v[147:150], v215 offset:11264
	;; [unrolled: 1-line block ×4, first 2 shown]
	v_add_co_u32 v199, vcc_lo, v216, s40
	v_add_co_ci_u32_e32 v200, vcc_lo, s41, v217, vcc_lo
	v_add_co_u32 v159, vcc_lo, v216, s2
	v_add_co_ci_u32_e32 v160, vcc_lo, s3, v217, vcc_lo
	s_lshl_b64 s[2:3], s[6:7], 1
	s_delay_alu instid0(SALU_CYCLE_1)
	v_add_co_u32 v161, vcc_lo, v216, s2
	v_add_co_ci_u32_e32 v162, vcc_lo, s3, v217, vcc_lo
	s_waitcnt vmcnt(36) lgkmcnt(2)
	v_wmma_f32_16x16x16_f16 v[191:198], v[33:40], v[143:150], v[191:198]
	s_waitcnt vmcnt(34)
	v_wmma_f32_16x16x16_f16 v[129:136], v[41:48], v[143:150], v[129:136]
	s_clause 0x3
	global_load_b128 v[33:36], v[199:200], off
	global_load_b128 v[37:40], v[199:200], off offset:16
	global_load_b128 v[41:44], v[159:160], off
	global_load_b128 v[45:48], v[159:160], off offset:16
	v_and_b32_e32 v143, 0xe0, v0
	v_mbcnt_lo_u32_b32 v159, -1, 0
	s_waitcnt vmcnt(36) lgkmcnt(0)
	v_wmma_f32_16x16x16_f16 v[191:198], v[17:24], v[151:158], v[191:198]
	s_clause 0x1
	global_load_b128 v[17:20], v[161:162], off
	global_load_b128 v[21:24], v[161:162], off offset:16
	s_waitcnt vmcnt(36)
	v_wmma_f32_16x16x16_f16 v[129:136], v[167:174], v[151:158], v[129:136]
	v_add_nc_u32_e32 v160, s29, v143
	ds_load_b128 v[143:146], v215 offset:14336
	ds_load_b128 v[147:150], v215 offset:15360
	v_xor_b32_e32 v151, 16, v159
	s_waitcnt vmcnt(0) lgkmcnt(0)
	s_barrier
	v_or_b32_e32 v152, v160, v138
	buffer_gl0_inv
	v_cmp_gt_i32_e32 vcc_lo, 32, v151
	v_or_b32_e32 v153, 2, v152
	v_or_b32_e32 v154, 4, v152
	;; [unrolled: 1-line block ×5, first 2 shown]
	v_cmp_gt_i32_e64 s2, s28, v153
	v_cmp_gt_i32_e64 s3, s28, v154
	;; [unrolled: 1-line block ×3, first 2 shown]
	v_or_b32_e32 v158, 12, v152
	v_cmp_gt_i32_e64 s5, s28, v156
	v_cmp_gt_i32_e64 s6, s28, v157
	v_wmma_f32_16x16x16_f16 v[191:198], v[175:182], v[143:150], v[191:198]
	v_wmma_f32_16x16x16_f16 v[129:136], v[183:190], v[143:150], v[129:136]
	v_cndmask_b32_e32 v151, v159, v151, vcc_lo
	v_cmp_gt_i32_e32 vcc_lo, s28, v152
	v_or_b32_e32 v159, 14, v152
	v_dual_mul_f32 v149, s30, v192 :: v_dual_mul_f32 v150, s30, v191
	v_dual_mul_f32 v147, s30, v194 :: v_dual_mul_f32 v148, s30, v193
	;; [unrolled: 1-line block ×3, first 2 shown]
	s_delay_alu instid0(VALU_DEP_3) | instskip(NEXT) | instid1(VALU_DEP_4)
	v_cndmask_b32_e32 v150, 0xff7fffff, v150, vcc_lo
	v_cndmask_b32_e64 v149, 0xff7fffff, v149, s2
	v_mul_f32_e32 v146, s30, v195
	v_cndmask_b32_e64 v148, 0xff7fffff, v148, s3
	v_cndmask_b32_e64 v147, 0xff7fffff, v147, s4
	v_or_b32_e32 v160, 16, v152
	v_max3_f32 v149, v150, 0xff7fffff, v149
	v_or_b32_e32 v161, 18, v152
	v_dual_mul_f32 v143, s30, v198 :: v_dual_mul_f32 v144, s30, v197
	v_cndmask_b32_e64 v146, 0xff7fffff, v146, s5
	v_cndmask_b32_e64 v145, 0xff7fffff, v145, s6
	v_max3_f32 v147, v149, v148, v147
	v_cmp_gt_i32_e64 s7, s28, v158
	v_cmp_gt_i32_e64 s8, s28, v159
	v_or_b32_e32 v162, 20, v152
	v_or_b32_e32 v163, 22, v152
	v_mul_f32_e32 v175, s30, v129
	v_cndmask_b32_e64 v144, 0xff7fffff, v144, s7
	v_cndmask_b32_e64 v143, 0xff7fffff, v143, s8
	v_max3_f32 v145, v147, v146, v145
	v_cmp_gt_i32_e64 s9, s28, v160
	v_cmp_gt_i32_e64 s10, s28, v161
	v_or_b32_e32 v164, 24, v152
	v_or_b32_e32 v165, 26, v152
	v_dual_mul_f32 v172, s30, v132 :: v_dual_mul_f32 v173, s30, v131
	v_cndmask_b32_e64 v146, 0xff7fffff, v175, s9
	v_cndmask_b32_e64 v147, 0xff7fffff, v174, s10
	v_max3_f32 v143, v145, v144, v143
	v_cmp_gt_i32_e64 s11, s28, v162
	v_cmp_gt_i32_e64 s12, s28, v163
	v_or_b32_e32 v166, 28, v152
	v_or_b32_e32 v167, 30, v152
	v_dual_mul_f32 v170, s30, v134 :: v_dual_mul_f32 v171, s30, v133
	v_cndmask_b32_e64 v144, 0xff7fffff, v173, s11
	v_cndmask_b32_e64 v145, 0xff7fffff, v172, s12
	v_max3_f32 v143, v143, v146, v147
	v_cmp_gt_i32_e64 s13, s28, v164
	v_cmp_gt_i32_e64 s15, s28, v165
	v_dual_mul_f32 v168, s30, v136 :: v_dual_mul_f32 v169, s30, v135
	s_delay_alu instid0(VALU_DEP_4) | instskip(NEXT) | instid1(VALU_DEP_4)
	v_max3_f32 v143, v143, v144, v145
	v_cndmask_b32_e64 v146, 0xff7fffff, v171, s13
	s_delay_alu instid0(VALU_DEP_4) | instskip(SKIP_3) | instid1(VALU_DEP_4)
	v_cndmask_b32_e64 v147, 0xff7fffff, v170, s15
	v_cmp_gt_i32_e64 s16, s28, v166
	v_cmp_gt_i32_e64 s17, s28, v167
	v_lshlrev_b32_e32 v160, 2, v151
	v_max3_f32 v143, v143, v146, v147
	s_delay_alu instid0(VALU_DEP_4) | instskip(NEXT) | instid1(VALU_DEP_4)
	v_cndmask_b32_e64 v144, 0xff7fffff, v169, s16
	v_cndmask_b32_e64 v145, 0xff7fffff, v168, s17
	s_delay_alu instid0(VALU_DEP_1) | instskip(SKIP_3) | instid1(VALU_DEP_1)
	v_max3_f32 v143, v143, v144, v145
	ds_bpermute_b32 v144, v160, v143
	s_waitcnt lgkmcnt(0)
	v_max_f32_e32 v144, v144, v144
	v_max_f32_e32 v159, v143, v144
	s_delay_alu instid0(VALU_DEP_1) | instskip(SKIP_4) | instid1(VALU_DEP_4)
	v_fma_f32 v145, s30, v193, -v159
	v_fma_f32 v146, s30, v194, -v159
	v_fma_f32 v132, s30, v132, -v159
	v_fma_f32 v143, s30, v191, -v159
	v_fma_f32 v144, s30, v192, -v159
	v_dual_mul_f32 v145, 0x3fb8aa3b, v145 :: v_dual_mul_f32 v146, 0x3fb8aa3b, v146
	s_delay_alu instid0(VALU_DEP_4) | instskip(SKIP_1) | instid1(VALU_DEP_4)
	v_mul_f32_e32 v132, 0x3fb8aa3b, v132
	v_fma_f32 v148, s30, v195, -v159
	v_mul_f32_e32 v144, 0x3fb8aa3b, v144
	s_delay_alu instid0(VALU_DEP_4)
	v_exp_f32_e32 v145, v145
	v_exp_f32_e32 v150, v146
	v_fma_f32 v149, s30, v196, -v159
	v_mul_f32_e32 v148, 0x3fb8aa3b, v148
	v_exp_f32_e32 v147, v144
	v_fma_f32 v134, s30, v134, -v159
	v_fma_f32 v151, s30, v197, -v159
	v_mul_f32_e32 v149, 0x3fb8aa3b, v149
	v_exp_f32_e32 v148, v148
	v_fma_f32 v152, s30, v198, -v159
	v_cndmask_b32_e64 v146, 0, v145, s3
	v_cndmask_b32_e64 v145, 0, v150, s4
	v_dual_mul_f32 v143, 0x3fb8aa3b, v143 :: v_dual_mul_f32 v134, 0x3fb8aa3b, v134
	v_mul_f32_e32 v151, 0x3fb8aa3b, v151
	v_exp_f32_e32 v149, v149
	v_fma_f32 v129, s30, v129, -v159
	s_delay_alu instid0(VALU_DEP_3)
	v_exp_f32_e32 v143, v143
	v_mul_f32_e32 v150, 0x3fb8aa3b, v152
	v_exp_f32_e32 v151, v151
	v_cndmask_b32_e64 v148, 0, v148, s5
	v_fma_f32 v130, s30, v130, -v159
	v_mul_f32_e32 v129, 0x3fb8aa3b, v129
	v_exp_f32_e32 v153, v150
	v_fma_f32 v131, s30, v131, -v159
	v_fma_f32 v133, s30, v133, -v159
	v_mul_f32_e32 v130, 0x3fb8aa3b, v130
	v_cndmask_b32_e32 v144, 0, v143, vcc_lo
	v_cndmask_b32_e64 v143, 0, v147, s2
	v_exp_f32_e32 v129, v129
	v_cndmask_b32_e64 v150, 0, v151, s7
	v_mul_f32_e32 v131, 0x3fb8aa3b, v131
	v_add_f32_e32 v147, 0, v144
	v_exp_f32_e32 v130, v130
	v_mul_f32_e32 v133, 0x3fb8aa3b, v133
	v_exp_f32_e32 v132, v132
	v_exp_f32_e32 v131, v131
	v_add_f32_e32 v147, v147, v143
	v_cmp_gt_u32_e64 s2, 16, v142
	v_exp_f32_e32 v133, v133
	s_delay_alu instid0(VALU_DEP_2)
	v_add_f32_e32 v147, v147, v146
	s_waitcnt_depctr 0xfff
	v_cndmask_b32_e64 v154, 0, v131, s11
	v_add_f32_e32 v152, v147, v145
	v_cndmask_b32_e64 v147, 0, v149, s6
	v_exp_f32_e32 v131, v134
	v_cndmask_b32_e64 v156, 0, v133, s13
	s_delay_alu instid0(VALU_DEP_3) | instskip(SKIP_1) | instid1(VALU_DEP_2)
	v_add_f32_e32 v149, v152, v148
	v_cndmask_b32_e64 v152, 0, v129, s9
	v_add_f32_e32 v151, v149, v147
	v_cndmask_b32_e64 v149, 0, v153, s8
	v_cndmask_b32_e64 v153, 0, v132, s12
	v_fma_f32 v132, s30, v136, -v159
	s_delay_alu instid0(TRANS32_DEP_1) | instskip(NEXT) | instid1(VALU_DEP_2)
	v_cndmask_b32_e64 v155, 0, v131, s15
	v_dual_add_f32 v151, v151, v150 :: v_dual_mul_f32 v132, 0x3fb8aa3b, v132
	s_delay_alu instid0(VALU_DEP_1) | instskip(SKIP_2) | instid1(VALU_DEP_4)
	v_add_f32_e32 v129, v151, v149
	v_cndmask_b32_e64 v151, 0, v130, s10
	v_fma_f32 v130, s30, v135, -v159
	v_exp_f32_e32 v131, v132
	s_delay_alu instid0(VALU_DEP_1) | instskip(NEXT) | instid1(VALU_DEP_1)
	v_dual_add_f32 v129, v129, v152 :: v_dual_mul_f32 v130, 0x3fb8aa3b, v130
	v_add_f32_e32 v129, v129, v151
	s_delay_alu instid0(VALU_DEP_2) | instskip(SKIP_3) | instid1(VALU_DEP_1)
	v_exp_f32_e32 v130, v130
	s_waitcnt_depctr 0xfff
	v_cndmask_b32_e64 v157, 0, v131, s17
	v_add_f32_e32 v129, v129, v154
	v_add_f32_e32 v129, v129, v153
	v_cndmask_b32_e64 v158, 0, v130, s16
	s_delay_alu instid0(VALU_DEP_2) | instskip(NEXT) | instid1(VALU_DEP_1)
	v_add_f32_e32 v129, v129, v156
	v_add_f32_e32 v129, v129, v155
	s_delay_alu instid0(VALU_DEP_1) | instskip(NEXT) | instid1(VALU_DEP_1)
	v_add_f32_e32 v129, v129, v158
	v_add_f32_e32 v129, v129, v157
	ds_bpermute_b32 v130, v160, v129
	s_and_saveexec_b32 s3, s2
	s_cbranch_execz .LBB264_12
; %bb.11:
	v_mul_u32_u24_e32 v131, 0x44, v141
	s_delay_alu instid0(VALU_DEP_1) | instskip(SKIP_1) | instid1(VALU_DEP_1)
	v_lshl_add_u32 v131, v140, 2, v131
	s_waitcnt lgkmcnt(0)
	v_dual_add_f32 v129, v129, v130 :: v_dual_add_nc_u32 v130, 0x4000, v131
	ds_store_2addr_b32 v130, v159, v129 offset1:136
.LBB264_12:
	s_or_b32 exec_lo, exec_lo, s3
	v_lshlrev_b32_e32 v129, 2, v140
	s_load_b32 s35, s[0:1], 0x94
	s_waitcnt lgkmcnt(0)
	s_barrier
	buffer_gl0_inv
	v_add_nc_u32_e32 v135, 0x4000, v129
	v_cmp_eq_u32_e32 vcc_lo, 1, v141
	v_cmp_eq_u32_e64 s3, 2, v141
	v_cmp_eq_u32_e64 s4, 3, v141
	;; [unrolled: 1-line block ×3, first 2 shown]
	ds_load_2addr_b32 v[129:130], v135 offset1:17
	ds_load_2addr_b32 v[131:132], v135 offset0:34 offset1:51
	ds_load_2addr_b32 v[133:134], v135 offset0:68 offset1:85
	;; [unrolled: 1-line block ×3, first 2 shown]
	v_cmp_eq_u32_e64 s6, 5, v141
	v_cmp_eq_u32_e64 s7, 7, v141
	s_waitcnt lgkmcnt(3)
	v_max3_f32 v136, v129, 0xff7fffff, v130
	s_waitcnt lgkmcnt(2)
	s_delay_alu instid0(VALU_DEP_1) | instskip(SKIP_1) | instid1(VALU_DEP_1)
	v_max3_f32 v136, v136, v131, v132
	s_waitcnt lgkmcnt(1)
	v_max3_f32 v136, v136, v133, v134
	s_waitcnt lgkmcnt(0)
	s_delay_alu instid0(VALU_DEP_1) | instskip(NEXT) | instid1(VALU_DEP_1)
	v_max3_f32 v136, v136, v159, v160
	v_sub_f32_e32 v142, v130, v136
	ds_load_2addr_b32 v[161:162], v135 offset0:136 offset1:153
	v_sub_f32_e32 v164, v132, v136
	v_mul_f32_e32 v142, 0x3fb8aa3b, v142
	s_delay_alu instid0(VALU_DEP_2) | instskip(NEXT) | instid1(VALU_DEP_2)
	v_mul_f32_e32 v164, 0x3fb8aa3b, v164
	v_exp_f32_e32 v166, v142
	v_sub_f32_e32 v129, v129, v136
	s_delay_alu instid0(VALU_DEP_2) | instskip(NEXT) | instid1(VALU_DEP_1)
	v_exp_f32_e32 v164, v164
	v_mul_f32_e32 v163, 0x3fb8aa3b, v129
	ds_load_2addr_b32 v[129:130], v135 offset0:170 offset1:187
	v_exp_f32_e32 v163, v163
	s_waitcnt lgkmcnt(1)
	s_waitcnt_depctr 0xfff
	v_fma_f32 v142, v163, v161, 0
	v_sub_f32_e32 v161, v134, v136
	s_delay_alu instid0(VALU_DEP_2) | instskip(NEXT) | instid1(VALU_DEP_1)
	v_dual_fmac_f32 v142, v166, v162 :: v_dual_sub_f32 v131, v131, v136
	v_mul_f32_e32 v165, 0x3fb8aa3b, v131
	ds_load_2addr_b32 v[131:132], v135 offset0:204 offset1:221
	v_exp_f32_e32 v165, v165
	s_waitcnt lgkmcnt(1)
	s_waitcnt_depctr 0xfff
	v_fmac_f32_e32 v142, v165, v129
	v_sub_f32_e32 v133, v133, v136
	v_sub_f32_e32 v129, v160, v136
	s_delay_alu instid0(VALU_DEP_2) | instskip(NEXT) | instid1(VALU_DEP_2)
	v_dual_fmac_f32 v142, v164, v130 :: v_dual_mul_f32 v167, 0x3fb8aa3b, v133
	v_mul_f32_e32 v129, 0x3fb8aa3b, v129
	ds_load_2addr_b32 v[133:134], v135 offset0:238 offset1:255
	v_cndmask_b32_e32 v130, v163, v166, vcc_lo
	s_waitcnt lgkmcnt(0)
	s_barrier
	v_exp_f32_e32 v162, v129
	v_sub_f32_e32 v135, v159, v136
	v_mul_f32_e32 v159, 0x3fb8aa3b, v161
	v_exp_f32_e32 v161, v167
	buffer_gl0_inv
	v_exp_f32_e32 v159, v159
	v_fmac_f32_e32 v142, v161, v131
	s_waitcnt_depctr 0xfff
	v_dual_mul_f32 v135, 0x3fb8aa3b, v135 :: v_dual_fmac_f32 v142, v159, v132
	s_delay_alu instid0(VALU_DEP_1) | instskip(SKIP_2) | instid1(VALU_DEP_1)
	v_exp_f32_e32 v160, v135
	s_waitcnt_depctr 0xfff
	v_dual_fmac_f32 v142, v160, v133 :: v_dual_lshlrev_b32 v133, 6, v140
	v_fmac_f32_e32 v142, v162, v134
	s_delay_alu instid0(VALU_DEP_2) | instskip(NEXT) | instid1(VALU_DEP_2)
	v_lshl_or_b32 v135, v141, 11, v133
	v_add_f32_e32 v134, 0x358637bd, v142
	s_delay_alu instid0(VALU_DEP_1) | instskip(SKIP_1) | instid1(VALU_DEP_2)
	v_div_scale_f32 v167, null, v134, v134, 1.0
	v_div_scale_f32 v163, vcc_lo, 1.0, v134, 1.0
	v_rcp_f32_e32 v168, v167
	s_waitcnt_depctr 0xfff
	v_fma_f32 v129, -v167, v168, 1.0
	s_delay_alu instid0(VALU_DEP_1) | instskip(SKIP_2) | instid1(VALU_DEP_2)
	v_fmac_f32_e32 v168, v129, v168
	v_cndmask_b32_e64 v129, v130, v165, s3
	v_cmp_eq_u32_e64 s3, 6, v141
	v_cndmask_b32_e64 v130, v129, v164, s4
	v_lshlrev_b32_e32 v129, 2, v138
	v_mul_f32_e32 v165, v163, v168
	s_delay_alu instid0(VALU_DEP_3) | instskip(NEXT) | instid1(VALU_DEP_3)
	v_cndmask_b32_e64 v161, v130, v161, s5
	v_or_b32_e32 v130, 1, v129
	s_delay_alu instid0(VALU_DEP_3)
	v_fma_f32 v131, -v167, v165, v163
	v_or_b32_e32 v132, 2, v129
	v_cmp_eq_u32_e64 s4, 1, v129
	v_cndmask_b32_e64 v141, v161, v159, s6
	v_cmp_eq_u32_e64 s9, 1, v130
	v_fmac_f32_e32 v165, v131, v168
	v_or_b32_e32 v131, 3, v129
	v_cmp_eq_u32_e64 s10, 1, v132
	v_cndmask_b32_e64 v141, v141, v160, s3
	v_cmp_eq_u32_e64 s5, 2, v129
	v_fma_f32 v159, -v167, v165, v163
	v_cmp_eq_u32_e64 s11, 1, v131
	v_cmp_eq_u32_e64 s16, 2, v131
	v_cndmask_b32_e64 v141, v141, v162, s7
	v_cmp_eq_u32_e64 s12, 2, v130
	v_div_fmas_f32 v159, v159, v168, v165
	v_cmp_eq_u32_e64 s18, 3, v131
	v_cmp_eq_u32_e32 vcc_lo, 3, v129
	v_cmp_eq_u32_e64 s13, 3, v130
	v_cmp_eq_u32_e64 s15, 2, v132
	v_div_fixup_f32 v159, v159, v134, 1.0
	v_lshl_or_b32 v134, v138, 4, v135
	v_cmp_eq_u32_e64 s22, 4, v131
	v_cmp_eq_u32_e64 s3, 4, v129
	;; [unrolled: 1-line block ×3, first 2 shown]
	v_mul_f32_e32 v141, v141, v159
	v_cmp_eq_u32_e64 s19, 4, v130
	v_cmp_eq_u32_e64 s24, 5, v131
	;; [unrolled: 1-line block ×4, first 2 shown]
	v_fma_mixlo_f16 v159, v141, v144, 0
	v_fma_mixlo_f16 v160, v141, v146, 0
	;; [unrolled: 1-line block ×8, first 2 shown]
	v_fma_mixhi_f16 v159, v141, v143, 0
	v_fma_mixhi_f16 v160, v141, v145, 0
	;; [unrolled: 1-line block ×8, first 2 shown]
	ds_store_b128 v134, v[159:162]
	ds_store_b128 v134, v[163:166] offset:1024
	s_waitcnt lgkmcnt(0)
	s_barrier
	buffer_gl0_inv
	ds_load_b128 v[143:146], v135
	ds_load_b128 v[147:150], v135 offset:16
	ds_load_b128 v[151:154], v135 offset:1024
	;; [unrolled: 1-line block ×3, first 2 shown]
	v_cmp_eq_u32_e64 s21, 4, v132
	v_cmp_eq_u32_e64 s27, 6, v131
	v_cmp_eq_u32_e64 s7, 6, v129
	v_cmp_eq_u32_e64 s23, 5, v132
	v_cmp_eq_u32_e64 s25, 6, v130
	v_cmp_eq_u32_e64 s29, 7, v131
	v_cmp_eq_u32_e64 s8, 7, v129
	v_cmp_eq_u32_e64 s26, 6, v132
	v_cmp_eq_u32_e64 s30, 7, v130
	v_cmp_eq_u32_e64 s28, 7, v132
	s_waitcnt lgkmcnt(3)
	v_lshrrev_b32_e32 v141, 16, v143
	s_waitcnt lgkmcnt(2)
	v_lshrrev_b32_e32 v162, 16, v147
	v_lshrrev_b32_e32 v159, 16, v144
	;; [unrolled: 1-line block ×3, first 2 shown]
	s_waitcnt lgkmcnt(1)
	v_lshrrev_b32_e32 v166, 16, v151
	v_cndmask_b32_e64 v174, v143, v141, s4
	v_cndmask_b32_e64 v176, v143, v141, s9
	;; [unrolled: 1-line block ×5, first 2 shown]
	s_waitcnt lgkmcnt(0)
	v_lshrrev_b32_e32 v170, 16, v155
	v_cndmask_b32_e64 v175, v147, v162, s4
	v_cndmask_b32_e64 v177, v147, v162, s9
	;; [unrolled: 1-line block ×19, first 2 shown]
	v_lshrrev_b32_e32 v160, 16, v145
	v_lshrrev_b32_e32 v164, 16, v149
	;; [unrolled: 1-line block ×4, first 2 shown]
	v_cndmask_b32_e64 v176, v178, v144, s15
	v_cndmask_b32_e64 v177, v179, v148, s15
	;; [unrolled: 1-line block ×8, first 2 shown]
	v_cndmask_b32_e32 v155, v166, v159, vcc_lo
	v_cndmask_b32_e32 v166, v170, v163, vcc_lo
	v_cndmask_b32_e64 v170, v174, v159, s13
	v_cndmask_b32_e64 v174, v175, v163, s13
	;; [unrolled: 1-line block ×6, first 2 shown]
	v_cndmask_b32_e32 v144, v144, v167, vcc_lo
	v_cndmask_b32_e32 v147, v147, v171, vcc_lo
	v_cndmask_b32_e64 v148, v148, v167, s13
	v_cndmask_b32_e64 v155, v155, v145, s3
	;; [unrolled: 1-line block ×7, first 2 shown]
	v_lshrrev_b32_e32 v161, 16, v146
	v_lshrrev_b32_e32 v165, 16, v150
	v_lshrrev_b32_e32 v168, 16, v153
	v_lshrrev_b32_e32 v172, 16, v157
	v_cndmask_b32_e64 v170, v175, v145, s21
	v_cndmask_b32_e64 v174, v176, v149, s21
	;; [unrolled: 1-line block ×22, first 2 shown]
	v_lshrrev_b32_e32 v169, 16, v154
	v_cndmask_b32_e64 v160, v163, v146, s26
	v_cndmask_b32_e64 v163, v166, v150, s26
	;; [unrolled: 1-line block ×9, first 2 shown]
	v_perm_b32 v146, v143, v141, 0x5040100
	v_cndmask_b32_e64 v141, v183, v156, s15
	v_cndmask_b32_e64 v143, v181, v156, s12
	;; [unrolled: 1-line block ×4, first 2 shown]
	v_perm_b32 v144, v159, v149, 0x5040100
	v_cndmask_b32_e64 v149, v162, v167, s17
	v_cndmask_b32_e64 v151, v151, v167, s18
	;; [unrolled: 1-line block ×15, first 2 shown]
	v_lshrrev_b32_e32 v173, 16, v158
	v_cndmask_b32_e64 v149, v149, v154, s26
	v_cndmask_b32_e64 v151, v151, v154, s27
	;; [unrolled: 1-line block ×13, first 2 shown]
	v_perm_b32 v145, v160, v155, 0x5040100
	v_perm_b32 v143, v148, v147, 0x5040100
	;; [unrolled: 1-line block ×6, first 2 shown]
	s_mul_i32 s7, s33, 15
	s_mov_b32 s3, exec_lo
	ds_store_b128 v134, v[143:146]
	ds_store_b128 v134, v[147:150] offset:1024
	v_cmpx_gt_u32_e32 15, v0
	s_cbranch_execz .LBB264_14
; %bb.13:
	s_mul_i32 s4, s7, s34
	s_load_b128 s[8:11], s[0:1], 0x58
	v_add3_u32 v143, s4, s31, v140
	s_delay_alu instid0(VALU_DEP_1) | instskip(NEXT) | instid1(VALU_DEP_1)
	v_mad_u64_u32 v[140:141], null, v143, s35, s[14:15]
	v_ashrrev_i32_e32 v141, 31, v140
	s_delay_alu instid0(VALU_DEP_1) | instskip(SKIP_1) | instid1(VALU_DEP_1)
	v_lshlrev_b64 v[140:141], 2, v[140:141]
	s_waitcnt lgkmcnt(0)
	v_add_co_u32 v143, vcc_lo, s10, v140
	s_delay_alu instid0(VALU_DEP_2)
	v_add_co_ci_u32_e32 v144, vcc_lo, s11, v141, vcc_lo
	v_add_co_u32 v140, vcc_lo, s8, v140
	v_add_co_ci_u32_e32 v141, vcc_lo, s9, v141, vcc_lo
	global_store_b32 v[143:144], v136, off
	global_store_b32 v[140:141], v142, off
.LBB264_14:
	s_or_b32 exec_lo, exec_lo, s3
	s_waitcnt lgkmcnt(0)
	s_waitcnt_vscnt null, 0x0
	s_barrier
	buffer_gl0_inv
	ds_load_b128 v[148:151], v133
	ds_load_b128 v[152:155], v133 offset:16
	ds_load_b128 v[160:163], v133 offset:1040
	;; [unrolled: 1-line block ×5, first 2 shown]
	v_cmp_eq_u32_e32 vcc_lo, 1, v132
	v_mov_b32_e32 v140, 0
	ds_load_b128 v[176:179], v133 offset:3088
	ds_load_b128 v[172:175], v133 offset:3072
	;; [unrolled: 1-line block ×4, first 2 shown]
	v_cmp_eq_u32_e64 s3, 1, v129
	v_cmp_eq_u32_e64 s4, 1, v131
	;; [unrolled: 1-line block ×3, first 2 shown]
	v_mov_b32_e32 v141, v140
	v_mov_b32_e32 v142, v140
	;; [unrolled: 1-line block ×7, first 2 shown]
	v_cmp_eq_u32_e64 s6, 2, v129
	s_waitcnt lgkmcnt(8)
	s_delay_alu instid0(VALU_DEP_2)
	v_wmma_f32_16x16x16_f16 v[140:147], v[121:128], v[148:155], v[140:147]
	ds_load_b128 v[125:128], v133 offset:5136
	ds_load_b128 v[121:124], v133 offset:5120
	s_waitcnt lgkmcnt(8)
	v_wmma_f32_16x16x16_f16 v[140:147], v[113:120], v[156:163], v[140:147]
	ds_load_b128 v[117:120], v133 offset:6160
	ds_load_b128 v[113:116], v133 offset:6144
	s_waitcnt lgkmcnt(8)
	;; [unrolled: 4-line block ×11, first 2 shown]
	s_barrier
	buffer_gl0_inv
	v_wmma_f32_16x16x16_f16 v[140:147], v[1:8], v[73:80], v[140:147]
	s_delay_alu instid0(VALU_DEP_1) | instskip(NEXT) | instid1(VALU_DEP_1)
	v_wmma_f32_16x16x16_f16 v[140:147], v[9:16], v[65:72], v[140:147]
	v_wmma_f32_16x16x16_f16 v[140:147], v[33:40], v[57:64], v[140:147]
	s_delay_alu instid0(VALU_DEP_1) | instskip(NEXT) | instid1(VALU_DEP_1)
	v_wmma_f32_16x16x16_f16 v[140:147], v[41:48], v[49:56], v[140:147]
	v_wmma_f32_16x16x16_f16 v[140:147], v[17:24], v[25:32], v[140:147]
	s_delay_alu instid0(VALU_DEP_1) | instskip(NEXT) | instid1(VALU_DEP_2)
	v_cvt_f16_f32_e64 v1, v140
	v_cvt_f16_f32_e64 v2, v141
	s_delay_alu instid0(VALU_DEP_3) | instskip(NEXT) | instid1(VALU_DEP_4)
	v_cvt_f16_f32_e64 v3, v142
	v_cvt_f16_f32_e64 v4, v143
	v_cvt_f16_f32_e64 v5, v144
	v_cvt_f16_f32_e64 v6, v145
	v_cvt_f16_f32_e64 v7, v146
	v_cvt_f16_f32_e64 v8, v147
	v_pack_b32_f16 v1, v1, v2
	v_pack_b32_f16 v2, v3, v4
	;; [unrolled: 1-line block ×3, first 2 shown]
	s_delay_alu instid0(VALU_DEP_4)
	v_pack_b32_f16 v4, v7, v8
	ds_store_b128 v134, v[1:4]
	s_waitcnt lgkmcnt(0)
	s_barrier
	buffer_gl0_inv
	ds_load_b128 v[1:4], v135
	ds_load_b128 v[5:8], v135 offset:16
	s_waitcnt lgkmcnt(1)
	v_lshrrev_b32_e32 v9, 16, v1
	s_waitcnt lgkmcnt(0)
	v_lshrrev_b32_e32 v13, 16, v5
	v_lshrrev_b32_e32 v10, 16, v2
	;; [unrolled: 1-line block ×4, first 2 shown]
	v_cndmask_b32_e64 v17, v1, v9, s3
	v_cndmask_b32_e64 v18, v5, v13, s3
	;; [unrolled: 1-line block ×3, first 2 shown]
	v_cmp_eq_u32_e64 s3, 2, v130
	v_cndmask_b32_e64 v20, v5, v13, s5
	v_cndmask_b32_e32 v21, v1, v9, vcc_lo
	v_cndmask_b32_e32 v22, v5, v13, vcc_lo
	v_cndmask_b32_e64 v1, v1, v9, s4
	v_cndmask_b32_e64 v5, v5, v13, s4
	v_cmp_eq_u32_e32 vcc_lo, 2, v132
	v_cmp_eq_u32_e64 s4, 2, v131
	v_cndmask_b32_e64 v9, v17, v2, s6
	v_cndmask_b32_e64 v13, v18, v6, s6
	v_cndmask_b32_e64 v17, v19, v2, s3
	v_cndmask_b32_e64 v18, v20, v6, s3
	v_cndmask_b32_e32 v19, v21, v2, vcc_lo
	v_cmp_eq_u32_e64 s3, 3, v132
	v_cndmask_b32_e32 v20, v22, v6, vcc_lo
	v_cndmask_b32_e64 v1, v1, v2, s4
	v_cmp_eq_u32_e32 vcc_lo, 3, v131
	v_cmp_eq_u32_e64 s5, 3, v129
	v_cndmask_b32_e64 v2, v5, v6, s4
	v_cmp_eq_u32_e64 s4, 3, v130
	v_cmp_eq_u32_e64 s6, 4, v129
	v_cndmask_b32_e32 v1, v1, v10, vcc_lo
	v_cndmask_b32_e64 v5, v9, v10, s5
	v_cndmask_b32_e64 v6, v13, v14, s5
	v_cndmask_b32_e64 v9, v17, v10, s4
	v_cmp_eq_u32_e64 s5, 4, v130
	v_cndmask_b32_e64 v13, v18, v14, s4
	v_cndmask_b32_e64 v17, v19, v10, s3
	;; [unrolled: 1-line block ×3, first 2 shown]
	v_cndmask_b32_e32 v2, v2, v14, vcc_lo
	v_cmp_eq_u32_e32 vcc_lo, 4, v132
	v_cmp_eq_u32_e64 s4, 4, v131
	v_lshrrev_b32_e32 v15, 16, v7
	v_cndmask_b32_e64 v5, v5, v3, s6
	v_cndmask_b32_e64 v6, v6, v7, s6
	v_cndmask_b32_e32 v14, v18, v7, vcc_lo
	v_cndmask_b32_e64 v9, v9, v3, s5
	v_cndmask_b32_e64 v10, v13, v7, s5
	v_cndmask_b32_e32 v13, v17, v3, vcc_lo
	v_cmp_eq_u32_e64 s3, 5, v132
	v_cndmask_b32_e64 v1, v1, v3, s4
	v_cmp_eq_u32_e32 vcc_lo, 5, v131
	v_cmp_eq_u32_e64 s5, 5, v129
	v_cndmask_b32_e64 v2, v2, v7, s4
	v_cmp_eq_u32_e64 s4, 5, v130
	v_cmp_eq_u32_e64 s6, 6, v129
	v_lshrrev_b32_e32 v12, 16, v4
	v_cndmask_b32_e64 v3, v5, v11, s5
	v_cndmask_b32_e64 v5, v6, v15, s5
	;; [unrolled: 1-line block ×3, first 2 shown]
	v_cmp_eq_u32_e64 s5, 6, v130
	v_cndmask_b32_e64 v7, v10, v15, s4
	v_cndmask_b32_e64 v9, v13, v11, s3
	;; [unrolled: 1-line block ×3, first 2 shown]
	v_cndmask_b32_e32 v1, v1, v11, vcc_lo
	v_cndmask_b32_e32 v2, v2, v15, vcc_lo
	v_cmp_eq_u32_e32 vcc_lo, 6, v132
	v_cmp_eq_u32_e64 s3, 6, v131
	v_lshrrev_b32_e32 v16, 16, v8
	v_cndmask_b32_e64 v3, v3, v4, s6
	v_cndmask_b32_e64 v5, v5, v8, s6
	v_cndmask_b32_e32 v9, v9, v4, vcc_lo
	v_cndmask_b32_e64 v6, v6, v4, s5
	v_cndmask_b32_e64 v7, v7, v8, s5
	v_cmp_eq_u32_e64 s4, 7, v132
	v_cndmask_b32_e32 v10, v10, v8, vcc_lo
	v_cndmask_b32_e64 v1, v1, v4, s3
	v_cmp_eq_u32_e32 vcc_lo, 7, v131
	v_cndmask_b32_e64 v2, v2, v8, s3
	v_cmp_eq_u32_e64 s3, 7, v129
	v_cmp_eq_u32_e64 s5, 7, v130
	v_cndmask_b32_e32 v1, v1, v12, vcc_lo
	s_delay_alu instid0(VALU_DEP_4) | instskip(NEXT) | instid1(VALU_DEP_4)
	v_cndmask_b32_e32 v2, v2, v16, vcc_lo
	v_cndmask_b32_e64 v8, v3, v12, s3
	s_delay_alu instid0(VALU_DEP_4)
	v_cndmask_b32_e64 v6, v6, v12, s5
	v_cndmask_b32_e64 v3, v9, v12, s4
	;; [unrolled: 1-line block ×5, first 2 shown]
	v_perm_b32 v4, v2, v1, 0x5040100
	s_mov_b32 s3, exec_lo
	v_perm_b32 v3, v9, v3, 0x5040100
	v_perm_b32 v2, v7, v6, 0x5040100
	;; [unrolled: 1-line block ×3, first 2 shown]
	ds_store_b128 v134, v[1:4]
	s_waitcnt lgkmcnt(0)
	s_barrier
	buffer_gl0_inv
	v_cmpx_gt_u32_e32 32, v0
	s_cbranch_execz .LBB264_2
; %bb.15:
	s_load_b64 s[4:5], s[0:1], 0x68
	v_add_nc_u32_e32 v20, s31, v138
	v_lshlrev_b32_e32 v0, 10, v0
	v_lshlrev_b32_e32 v1, 4, v139
	s_lshl_b32 s0, s35, 7
	s_delay_alu instid0(SALU_CYCLE_1)
	s_mul_i32 s1, s0, s34
	v_add_nc_u32_e32 v2, 2, v20
	s_mul_i32 s6, s1, s7
	v_and_or_b32 v0, 0x3800, v0, v1
	v_mul_lo_u32 v1, v20, s0
	s_ashr_i32 s7, s6, 31
	v_mul_lo_u32 v11, v2, s0
	s_lshl_b64 s[6:7], s[6:7], 1
	v_add_nc_u32_e32 v3, 4, v20
	v_lshl_or_b32 v21, v138, 6, v0
	v_add_nc_u32_e32 v16, 6, v20
	v_ashrrev_i32_e32 v2, 31, v1
	s_delay_alu instid0(VALU_DEP_4)
	v_mul_lo_u32 v13, v3, s0
	s_waitcnt lgkmcnt(0)
	s_add_u32 s1, s4, s6
	s_addc_u32 s3, s5, s7
	s_lshl_b32 s4, s14, 7
	ds_load_b128 v[3:6], v21
	ds_load_b128 v[7:10], v21 offset:128
	s_ashr_i32 s5, s4, 31
	v_ashrrev_i32_e32 v12, 31, v11
	s_lshl_b64 s[4:5], s[4:5], 1
	v_lshlrev_b64 v[14:15], 1, v[1:2]
	s_add_u32 s1, s1, s4
	s_addc_u32 s3, s3, s5
	v_add_co_u32 v1, s1, s1, v137
	s_delay_alu instid0(VALU_DEP_1) | instskip(SKIP_1) | instid1(VALU_DEP_3)
	v_add_co_ci_u32_e64 v2, null, s3, 0, s1
	v_lshlrev_b64 v[11:12], 1, v[11:12]
	v_add_co_u32 v18, vcc_lo, v1, v14
	v_mul_lo_u32 v16, v16, s0
	s_delay_alu instid0(VALU_DEP_4) | instskip(NEXT) | instid1(VALU_DEP_4)
	v_add_co_ci_u32_e32 v19, vcc_lo, v2, v15, vcc_lo
	v_add_co_u32 v11, vcc_lo, v1, v11
	v_ashrrev_i32_e32 v14, 31, v13
	v_add_co_ci_u32_e32 v12, vcc_lo, v2, v12, vcc_lo
	v_add_nc_u32_e32 v15, 8, v20
	v_ashrrev_i32_e32 v17, 31, v16
	s_waitcnt lgkmcnt(1)
	global_store_b128 v[18:19], v[3:6], off
	v_lshlrev_b64 v[3:4], 1, v[13:14]
	s_waitcnt lgkmcnt(0)
	global_store_b128 v[11:12], v[7:10], off
	v_mul_lo_u32 v11, v15, s0
	v_add_nc_u32_e32 v7, 10, v20
	v_lshlrev_b64 v[5:6], 1, v[16:17]
	v_add_co_u32 v23, vcc_lo, v1, v3
	v_add_nc_u32_e32 v3, 12, v20
	s_delay_alu instid0(VALU_DEP_4)
	v_mul_lo_u32 v25, v7, s0
	v_ashrrev_i32_e32 v12, 31, v11
	v_add_co_ci_u32_e32 v24, vcc_lo, v2, v4, vcc_lo
	v_add_co_u32 v27, vcc_lo, v1, v5
	v_mul_lo_u32 v29, v3, s0
	v_add_co_ci_u32_e32 v28, vcc_lo, v2, v6, vcc_lo
	ds_load_b128 v[3:6], v21 offset:256
	ds_load_b128 v[7:10], v21 offset:384
	v_lshlrev_b64 v[31:32], 1, v[11:12]
	ds_load_b128 v[11:14], v21 offset:512
	ds_load_b128 v[15:18], v21 offset:640
	;; [unrolled: 1-line block ×3, first 2 shown]
	v_ashrrev_i32_e32 v26, 31, v25
	v_ashrrev_i32_e32 v30, 31, v29
	v_add_co_u32 v31, vcc_lo, v1, v31
	s_delay_alu instid0(VALU_DEP_3) | instskip(NEXT) | instid1(VALU_DEP_3)
	v_lshlrev_b64 v[25:26], 1, v[25:26]
	v_lshlrev_b64 v[29:30], 1, v[29:30]
	v_add_co_ci_u32_e32 v32, vcc_lo, v2, v32, vcc_lo
	s_delay_alu instid0(VALU_DEP_3) | instskip(NEXT) | instid1(VALU_DEP_4)
	v_add_co_u32 v25, vcc_lo, v1, v25
	v_add_co_ci_u32_e32 v26, vcc_lo, v2, v26, vcc_lo
	s_delay_alu instid0(VALU_DEP_4)
	v_add_co_u32 v29, vcc_lo, v1, v29
	v_add_co_ci_u32_e32 v30, vcc_lo, v2, v30, vcc_lo
	s_waitcnt lgkmcnt(4)
	global_store_b128 v[23:24], v[3:6], off
	s_waitcnt lgkmcnt(3)
	global_store_b128 v[27:28], v[7:10], off
	s_waitcnt lgkmcnt(2)
	global_store_b128 v[31:32], v[11:14], off
	s_waitcnt lgkmcnt(1)
	global_store_b128 v[25:26], v[15:18], off
	s_waitcnt lgkmcnt(0)
	global_store_b128 v[29:30], v[19:22], off
	s_and_b32 exec_lo, exec_lo, s2
	s_cbranch_execz .LBB264_2
; %bb.16:
	ds_load_b128 v[3:6], v0 offset:896
	s_add_i32 s1, s31, 14
	s_delay_alu instid0(SALU_CYCLE_1) | instskip(NEXT) | instid1(SALU_CYCLE_1)
	s_mul_i32 s0, s1, s0
	s_ashr_i32 s1, s0, 31
	s_delay_alu instid0(SALU_CYCLE_1) | instskip(NEXT) | instid1(SALU_CYCLE_1)
	s_lshl_b64 s[0:1], s[0:1], 1
	v_add_co_u32 v0, vcc_lo, v1, s0
	v_add_co_ci_u32_e32 v1, vcc_lo, s1, v2, vcc_lo
	s_waitcnt lgkmcnt(0)
	global_store_b128 v[0:1], v[3:6], off
	s_nop 0
	s_sendmsg sendmsg(MSG_DEALLOC_VGPRS)
	s_endpgm
	.section	.rodata,"a",@progbits
	.p2align	6, 0x0
	.amdhsa_kernel _Z39paged_attention_ll4mi_QKV_mfma16_kernelIDF16_DF16_LN4vllm18Fp8KVCacheDataTypeE0EDF16_Li16ELi128ELi256ELb1ELi15EL8MFMAType0EEvPKT_PKT0_S8_ifPKiSA_SA_iPKfiiiPfSD_PS3_PT2_iSC_SC_
		.amdhsa_group_segment_fixed_size 17472
		.amdhsa_private_segment_fixed_size 0
		.amdhsa_kernarg_size 400
		.amdhsa_user_sgpr_count 13
		.amdhsa_user_sgpr_dispatch_ptr 0
		.amdhsa_user_sgpr_queue_ptr 0
		.amdhsa_user_sgpr_kernarg_segment_ptr 1
		.amdhsa_user_sgpr_dispatch_id 0
		.amdhsa_user_sgpr_private_segment_size 0
		.amdhsa_wavefront_size32 1
		.amdhsa_uses_dynamic_stack 0
		.amdhsa_enable_private_segment 0
		.amdhsa_system_sgpr_workgroup_id_x 1
		.amdhsa_system_sgpr_workgroup_id_y 1
		.amdhsa_system_sgpr_workgroup_id_z 1
		.amdhsa_system_sgpr_workgroup_info 0
		.amdhsa_system_vgpr_workitem_id 0
		.amdhsa_next_free_vgpr 218
		.amdhsa_next_free_sgpr 52
		.amdhsa_reserve_vcc 1
		.amdhsa_float_round_mode_32 0
		.amdhsa_float_round_mode_16_64 0
		.amdhsa_float_denorm_mode_32 3
		.amdhsa_float_denorm_mode_16_64 3
		.amdhsa_dx10_clamp 1
		.amdhsa_ieee_mode 1
		.amdhsa_fp16_overflow 0
		.amdhsa_workgroup_processor_mode 1
		.amdhsa_memory_ordered 1
		.amdhsa_forward_progress 0
		.amdhsa_shared_vgpr_count 0
		.amdhsa_exception_fp_ieee_invalid_op 0
		.amdhsa_exception_fp_denorm_src 0
		.amdhsa_exception_fp_ieee_div_zero 0
		.amdhsa_exception_fp_ieee_overflow 0
		.amdhsa_exception_fp_ieee_underflow 0
		.amdhsa_exception_fp_ieee_inexact 0
		.amdhsa_exception_int_div_zero 0
	.end_amdhsa_kernel
	.section	.text._Z39paged_attention_ll4mi_QKV_mfma16_kernelIDF16_DF16_LN4vllm18Fp8KVCacheDataTypeE0EDF16_Li16ELi128ELi256ELb1ELi15EL8MFMAType0EEvPKT_PKT0_S8_ifPKiSA_SA_iPKfiiiPfSD_PS3_PT2_iSC_SC_,"axG",@progbits,_Z39paged_attention_ll4mi_QKV_mfma16_kernelIDF16_DF16_LN4vllm18Fp8KVCacheDataTypeE0EDF16_Li16ELi128ELi256ELb1ELi15EL8MFMAType0EEvPKT_PKT0_S8_ifPKiSA_SA_iPKfiiiPfSD_PS3_PT2_iSC_SC_,comdat
.Lfunc_end264:
	.size	_Z39paged_attention_ll4mi_QKV_mfma16_kernelIDF16_DF16_LN4vllm18Fp8KVCacheDataTypeE0EDF16_Li16ELi128ELi256ELb1ELi15EL8MFMAType0EEvPKT_PKT0_S8_ifPKiSA_SA_iPKfiiiPfSD_PS3_PT2_iSC_SC_, .Lfunc_end264-_Z39paged_attention_ll4mi_QKV_mfma16_kernelIDF16_DF16_LN4vllm18Fp8KVCacheDataTypeE0EDF16_Li16ELi128ELi256ELb1ELi15EL8MFMAType0EEvPKT_PKT0_S8_ifPKiSA_SA_iPKfiiiPfSD_PS3_PT2_iSC_SC_
                                        ; -- End function
	.section	.AMDGPU.csdata,"",@progbits
; Kernel info:
; codeLenInByte = 8352
; NumSgprs: 54
; NumVgprs: 218
; ScratchSize: 0
; MemoryBound: 0
; FloatMode: 240
; IeeeMode: 1
; LDSByteSize: 17472 bytes/workgroup (compile time only)
; SGPRBlocks: 6
; VGPRBlocks: 27
; NumSGPRsForWavesPerEU: 54
; NumVGPRsForWavesPerEU: 218
; Occupancy: 6
; WaveLimiterHint : 1
; COMPUTE_PGM_RSRC2:SCRATCH_EN: 0
; COMPUTE_PGM_RSRC2:USER_SGPR: 13
; COMPUTE_PGM_RSRC2:TRAP_HANDLER: 0
; COMPUTE_PGM_RSRC2:TGID_X_EN: 1
; COMPUTE_PGM_RSRC2:TGID_Y_EN: 1
; COMPUTE_PGM_RSRC2:TGID_Z_EN: 1
; COMPUTE_PGM_RSRC2:TIDIG_COMP_CNT: 0
	.section	.text._Z39paged_attention_ll4mi_QKV_mfma16_kernelIDF16_DF16_LN4vllm18Fp8KVCacheDataTypeE0EDF16_Li16ELi128ELi256ELb1ELi16EL8MFMAType0EEvPKT_PKT0_S8_ifPKiSA_SA_iPKfiiiPfSD_PS3_PT2_iSC_SC_,"axG",@progbits,_Z39paged_attention_ll4mi_QKV_mfma16_kernelIDF16_DF16_LN4vllm18Fp8KVCacheDataTypeE0EDF16_Li16ELi128ELi256ELb1ELi16EL8MFMAType0EEvPKT_PKT0_S8_ifPKiSA_SA_iPKfiiiPfSD_PS3_PT2_iSC_SC_,comdat
	.protected	_Z39paged_attention_ll4mi_QKV_mfma16_kernelIDF16_DF16_LN4vllm18Fp8KVCacheDataTypeE0EDF16_Li16ELi128ELi256ELb1ELi16EL8MFMAType0EEvPKT_PKT0_S8_ifPKiSA_SA_iPKfiiiPfSD_PS3_PT2_iSC_SC_ ; -- Begin function _Z39paged_attention_ll4mi_QKV_mfma16_kernelIDF16_DF16_LN4vllm18Fp8KVCacheDataTypeE0EDF16_Li16ELi128ELi256ELb1ELi16EL8MFMAType0EEvPKT_PKT0_S8_ifPKiSA_SA_iPKfiiiPfSD_PS3_PT2_iSC_SC_
	.globl	_Z39paged_attention_ll4mi_QKV_mfma16_kernelIDF16_DF16_LN4vllm18Fp8KVCacheDataTypeE0EDF16_Li16ELi128ELi256ELb1ELi16EL8MFMAType0EEvPKT_PKT0_S8_ifPKiSA_SA_iPKfiiiPfSD_PS3_PT2_iSC_SC_
	.p2align	8
	.type	_Z39paged_attention_ll4mi_QKV_mfma16_kernelIDF16_DF16_LN4vllm18Fp8KVCacheDataTypeE0EDF16_Li16ELi128ELi256ELb1ELi16EL8MFMAType0EEvPKT_PKT0_S8_ifPKiSA_SA_iPKfiiiPfSD_PS3_PT2_iSC_SC_,@function
_Z39paged_attention_ll4mi_QKV_mfma16_kernelIDF16_DF16_LN4vllm18Fp8KVCacheDataTypeE0EDF16_Li16ELi128ELi256ELb1ELi16EL8MFMAType0EEvPKT_PKT0_S8_ifPKiSA_SA_iPKfiiiPfSD_PS3_PT2_iSC_SC_: ; @_Z39paged_attention_ll4mi_QKV_mfma16_kernelIDF16_DF16_LN4vllm18Fp8KVCacheDataTypeE0EDF16_Li16ELi128ELi256ELb1ELi16EL8MFMAType0EEvPKT_PKT0_S8_ifPKiSA_SA_iPKfiiiPfSD_PS3_PT2_iSC_SC_
; %bb.0:
	s_load_b64 s[4:5], s[0:1], 0x30
	s_mov_b32 s30, s13
	s_waitcnt lgkmcnt(0)
	s_cmp_lg_u64 s[4:5], 0
	s_cselect_b32 s12, -1, 0
	s_ashr_i32 s31, s13, 31
	s_cmp_eq_u64 s[4:5], 0
	s_cbranch_scc1 .LBB265_3
; %bb.1:
	s_lshl_b64 s[2:3], s[30:31], 2
	s_delay_alu instid0(SALU_CYCLE_1) | instskip(SKIP_4) | instid1(SALU_CYCLE_1)
	s_add_u32 s2, s4, s2
	s_addc_u32 s3, s5, s3
	s_load_b64 s[2:3], s[2:3], 0x0
	s_waitcnt lgkmcnt(0)
	s_sub_i32 s2, s3, s2
	s_cmp_eq_u32 s2, 1
	s_cselect_b32 s2, -1, 0
	s_delay_alu instid0(SALU_CYCLE_1)
	s_and_not1_b32 vcc_lo, exec_lo, s2
	s_cbranch_vccz .LBB265_4
.LBB265_2:
	s_endpgm
.LBB265_3:
.LBB265_4:
	s_load_b64 s[2:3], s[0:1], 0x28
	s_lshl_b64 s[6:7], s[30:31], 2
	s_waitcnt lgkmcnt(0)
	s_add_u32 s2, s2, s6
	s_addc_u32 s3, s3, s7
	s_lshl_b32 s29, s14, 8
	s_load_b32 s28, s[2:3], 0x0
	s_waitcnt lgkmcnt(0)
	s_cmp_ge_i32 s29, s28
	s_cbranch_scc1 .LBB265_2
; %bb.5:
	s_clause 0x1
	s_load_b128 s[8:11], s[0:1], 0x8
	s_load_b64 s[2:3], s[0:1], 0x20
	s_and_not1_b32 vcc_lo, exec_lo, s12
	s_cbranch_vccnz .LBB265_7
; %bb.6:
	s_add_u32 s4, s4, s6
	s_addc_u32 s5, s5, s7
	s_load_b32 s12, s[4:5], 0x0
	s_branch .LBB265_8
.LBB265_7:
	s_mov_b32 s12, s30
.LBB265_8:
	s_load_b128 s[4:7], s[0:1], 0x48
	v_and_b32_e32 v141, 15, v0
	v_lshrrev_b32_e32 v140, 5, v0
	v_and_b32_e32 v143, 31, v0
	v_and_b32_e32 v139, 1, v0
	v_bfe_u32 v138, v0, 4, 1
	v_lshlrev_b32_e32 v1, 3, v141
	s_lshl_b32 s31, s15, 4
	s_waitcnt lgkmcnt(0)
	s_mov_b32 s7, exec_lo
	s_delay_alu instid0(VALU_DEP_1)
	v_lshlrev_b32_e32 v137, 1, v1
	v_cmpx_gt_u32_e32 0x100, v0
	s_cbranch_execz .LBB265_10
; %bb.9:
	v_lshl_or_b32 v5, v140, 1, v138
	s_load_b64 s[16:17], s[0:1], 0x0
	s_mul_hi_i32 s13, s12, s4
	s_mul_i32 s12, s12, s4
	v_lshlrev_b32_e32 v6, 10, v141
	v_or_b32_e32 v1, s31, v5
	s_lshl_b64 s[12:13], s[12:13], 1
	v_lshlrev_b32_e32 v5, 6, v5
	v_lshlrev_b32_e32 v7, 10, v139
	v_and_b32_e32 v6, 0x3800, v6
	v_lshlrev_b32_e32 v1, 7, v1
	s_delay_alu instid0(VALU_DEP_2) | instskip(NEXT) | instid1(VALU_DEP_2)
	v_or3_b32 v5, v6, v7, v5
	v_ashrrev_i32_e32 v2, 31, v1
	s_delay_alu instid0(VALU_DEP_1) | instskip(SKIP_3) | instid1(VALU_DEP_1)
	v_lshlrev_b64 v[1:2], 1, v[1:2]
	s_waitcnt lgkmcnt(0)
	s_add_u32 s4, s16, s12
	s_addc_u32 s12, s17, s13
	v_add_co_u32 v1, vcc_lo, s4, v1
	s_delay_alu instid0(VALU_DEP_2) | instskip(NEXT) | instid1(VALU_DEP_2)
	v_add_co_ci_u32_e32 v2, vcc_lo, s12, v2, vcc_lo
	v_add_co_u32 v1, vcc_lo, v1, v137
	s_delay_alu instid0(VALU_DEP_2)
	v_add_co_ci_u32_e32 v2, vcc_lo, 0, v2, vcc_lo
	global_load_b128 v[1:4], v[1:2], off
	s_waitcnt vmcnt(0)
	ds_store_b128 v5, v[1:4]
.LBB265_10:
	s_or_b32 exec_lo, exec_lo, s7
	s_mov_b32 s40, 0
	s_add_i32 s4, s28, 15
	s_mov_b32 s41, s40
	s_mov_b32 s42, s40
	;; [unrolled: 1-line block ×7, first 2 shown]
	s_delay_alu instid0(SALU_CYCLE_1)
	v_dual_mov_b32 v136, s47 :: v_dual_and_b32 v1, 0xef, v0
	v_mov_b32_e32 v134, s45
	s_clause 0x1
	s_load_b32 s7, s[0:1], 0x38
	s_load_b32 s33, s[0:1], 0x98
	v_add_nc_u32_e32 v1, s29, v1
	s_ashr_i32 s12, s4, 31
	s_load_b32 s34, s[0:1], 0x1c
	s_lshr_b32 s12, s12, 28
	s_waitcnt lgkmcnt(0)
	v_ashrrev_i32_e32 v2, 31, v1
	s_add_i32 s4, s4, s12
	v_cmp_gt_i32_e32 vcc_lo, s28, v1
	v_mov_b32_e32 v135, s46
	s_ashr_i32 s4, s4, 4
	v_lshrrev_b32_e32 v3, 28, v2
	v_or_b32_e32 v2, 16, v1
	s_add_i32 s4, s4, -1
	v_mov_b32_e32 v132, s43
	s_barrier
	v_add_nc_u32_e32 v4, v1, v3
	v_add_nc_u32_e32 v3, v2, v3
	buffer_gl0_inv
	v_lshlrev_b32_e32 v142, 6, v141
	s_mul_i32 s12, s30, s7
	v_ashrrev_i32_e32 v4, 4, v4
	v_ashrrev_i32_e32 v3, 4, v3
	s_ashr_i32 s13, s12, 31
	v_mov_b32_e32 v133, s44
	s_lshl_b64 s[12:13], s[12:13], 2
	v_cndmask_b32_e32 v1, s4, v4, vcc_lo
	v_cmp_gt_i32_e32 vcc_lo, s28, v2
	s_add_u32 s35, s2, s12
	s_addc_u32 s36, s3, s13
	s_mul_i32 s2, s15, s6
	v_ashrrev_i32_e32 v2, 31, v1
	v_cndmask_b32_e32 v3, s4, v3, vcc_lo
	s_ashr_i32 s3, s2, 31
	v_mov_b32_e32 v131, s42
	s_lshl_b64 s[2:3], s[2:3], 1
	v_lshlrev_b64 v[1:2], 2, v[1:2]
	v_ashrrev_i32_e32 v4, 31, v3
	s_add_u32 s22, s8, s2
	s_addc_u32 s23, s9, s3
	s_lshl_b32 s6, s14, 4
	v_mov_b32_e32 v129, s40
	v_lshlrev_b64 v[3:4], 2, v[3:4]
	v_add_co_u32 v1, vcc_lo, s35, v1
	v_add_co_ci_u32_e32 v2, vcc_lo, s36, v2, vcc_lo
	s_ashr_i32 s7, s6, 31
	s_delay_alu instid0(VALU_DEP_3) | instskip(NEXT) | instid1(VALU_DEP_4)
	v_add_co_u32 v3, vcc_lo, s35, v3
	v_add_co_ci_u32_e32 v4, vcc_lo, s36, v4, vcc_lo
	s_clause 0x1
	global_load_b32 v5, v[1:2], off
	global_load_b32 v6, v[3:4], off
	s_lshl_b64 s[6:7], s[6:7], 2
	v_dual_mov_b32 v130, s41 :: v_dual_lshlrev_b32 v3, 4, v0
	s_add_u32 s6, s35, s6
	s_addc_u32 s7, s36, s7
	s_or_b32 s8, s29, 16
	v_lshlrev_b32_e32 v125, 5, v141
	s_ashr_i32 s9, s8, 4
	s_cmp_lt_i32 s8, s28
	s_cselect_b32 s8, s9, s4
	s_delay_alu instid0(VALU_DEP_1) | instskip(SKIP_1) | instid1(SALU_CYCLE_1)
	v_lshl_or_b32 v125, v140, 9, v125
	s_ashr_i32 s9, s8, 31
	s_lshl_b64 s[8:9], s[8:9], 2
	s_delay_alu instid0(SALU_CYCLE_1) | instskip(SKIP_2) | instid1(SALU_CYCLE_1)
	s_add_u32 s8, s35, s8
	s_addc_u32 s9, s36, s9
	s_or_b32 s12, s29, 32
	s_ashr_i32 s13, s12, 4
	s_cmp_lt_i32 s12, s28
	s_cselect_b32 s12, s13, s4
	s_delay_alu instid0(SALU_CYCLE_1) | instskip(NEXT) | instid1(SALU_CYCLE_1)
	s_ashr_i32 s13, s12, 31
	s_lshl_b64 s[12:13], s[12:13], 2
	s_delay_alu instid0(SALU_CYCLE_1) | instskip(SKIP_2) | instid1(SALU_CYCLE_1)
	s_add_u32 s12, s35, s12
	s_addc_u32 s13, s36, s13
	s_or_b32 s15, s29, 48
	s_ashr_i32 s16, s15, 4
	s_cmp_lt_i32 s15, s28
	s_cselect_b32 s16, s16, s4
	s_delay_alu instid0(SALU_CYCLE_1) | instskip(NEXT) | instid1(SALU_CYCLE_1)
	;; [unrolled: 10-line block ×4, first 2 shown]
	s_ashr_i32 s21, s20, 31
	s_lshl_b64 s[20:21], s[20:21], 2
	s_delay_alu instid0(SALU_CYCLE_1)
	s_add_u32 s20, s35, s20
	s_addc_u32 s21, s36, s21
	s_clause 0x5
	s_load_b32 s6, s[6:7], 0x0
	s_load_b32 s8, s[8:9], 0x0
	;; [unrolled: 1-line block ×6, first 2 shown]
	s_waitcnt vmcnt(1)
	v_mad_i64_i32 v[1:2], null, v5, s5, 0
	v_and_b32_e32 v5, 0xf0, v3
	s_waitcnt vmcnt(0)
	v_mad_i64_i32 v[3:4], null, v6, s5, 0
	s_delay_alu instid0(VALU_DEP_2) | instskip(NEXT) | instid1(VALU_DEP_4)
	v_add_co_u32 v5, s7, s22, v5
	v_lshlrev_b64 v[1:2], 1, v[1:2]
	v_add_co_ci_u32_e64 v6, null, s23, 0, s7
	s_delay_alu instid0(VALU_DEP_4) | instskip(SKIP_1) | instid1(VALU_DEP_3)
	v_lshlrev_b64 v[3:4], 1, v[3:4]
	s_or_b32 s7, s29, 0x60
	v_add_co_u32 v121, vcc_lo, v5, v1
	s_delay_alu instid0(VALU_DEP_3) | instskip(NEXT) | instid1(VALU_DEP_3)
	v_add_co_ci_u32_e32 v122, vcc_lo, v6, v2, vcc_lo
	v_add_co_u32 v123, vcc_lo, v5, v3
	s_delay_alu instid0(VALU_DEP_4)
	v_add_co_ci_u32_e32 v124, vcc_lo, v6, v4, vcc_lo
	s_clause 0x19
	global_load_b128 v[89:92], v[121:122], off
	global_load_b128 v[93:96], v[121:122], off offset:256
	global_load_b128 v[97:100], v[123:124], off
	global_load_b128 v[101:104], v[123:124], off offset:256
	global_load_b128 v[81:84], v[121:122], off offset:512
	;; [unrolled: 1-line block ×23, first 2 shown]
	s_ashr_i32 s9, s7, 4
	s_cmp_lt_i32 s7, s28
	ds_load_b128 v[105:108], v142
	ds_load_b128 v[109:112], v142 offset:1024
	s_cselect_b32 s20, s9, s4
	ds_load_b128 v[113:116], v142 offset:2048
	ds_load_b128 v[117:120], v142 offset:3072
	s_ashr_i32 s21, s20, 31
	ds_load_b128 v[144:147], v142 offset:4096
	ds_load_b128 v[148:151], v142 offset:5120
	s_lshl_b64 s[20:21], s[20:21], 2
	ds_load_b128 v[152:155], v142 offset:6144
	ds_load_b128 v[156:159], v142 offset:7168
	s_add_u32 s20, s35, s20
	s_addc_u32 s21, s36, s21
	s_or_b32 s7, s29, 0x70
	ds_load_b128 v[160:163], v142 offset:8192
	ds_load_b128 v[164:167], v142 offset:9216
	s_ashr_i32 s9, s7, 4
	s_cmp_lt_i32 s7, s28
	s_clause 0x1
	global_load_b128 v[168:171], v[123:124], off offset:3072
	global_load_b128 v[172:175], v[123:124], off offset:3328
	s_cselect_b32 s22, s9, s4
	s_delay_alu instid0(SALU_CYCLE_1) | instskip(NEXT) | instid1(SALU_CYCLE_1)
	s_ashr_i32 s23, s22, 31
	s_lshl_b64 s[22:23], s[22:23], 2
	s_delay_alu instid0(SALU_CYCLE_1)
	s_add_u32 s22, s35, s22
	s_addc_u32 s23, s36, s23
	s_clause 0x1
	s_load_b32 s44, s[20:21], 0x0
	s_load_b32 s45, s[22:23], 0x0
	s_clause 0x3
	global_load_b128 v[176:179], v[121:122], off offset:3584
	global_load_b128 v[180:183], v[121:122], off offset:3840
	;; [unrolled: 1-line block ×4, first 2 shown]
	s_or_b32 s7, s29, 0x80
	s_delay_alu instid0(SALU_CYCLE_1) | instskip(SKIP_2) | instid1(SALU_CYCLE_1)
	s_ashr_i32 s9, s7, 4
	s_cmp_lt_i32 s7, s28
	s_cselect_b32 s24, s9, s4
	s_ashr_i32 s25, s24, 31
	s_delay_alu instid0(SALU_CYCLE_1) | instskip(NEXT) | instid1(SALU_CYCLE_1)
	s_lshl_b64 s[24:25], s[24:25], 2
	s_add_u32 s24, s35, s24
	s_addc_u32 s25, s36, s25
	s_or_b32 s7, s29, 0x90
	s_delay_alu instid0(SALU_CYCLE_1) | instskip(SKIP_2) | instid1(SALU_CYCLE_1)
	s_ashr_i32 s9, s7, 4
	s_cmp_lt_i32 s7, s28
	s_cselect_b32 s26, s9, s4
	s_ashr_i32 s27, s26, 31
	s_delay_alu instid0(SALU_CYCLE_1) | instskip(NEXT) | instid1(SALU_CYCLE_1)
	s_lshl_b64 s[26:27], s[26:27], 2
	s_add_u32 s26, s35, s26
	s_addc_u32 s27, s36, s27
	s_or_b32 s7, s29, 0xa0
	s_delay_alu instid0(SALU_CYCLE_1)
	s_ashr_i32 s9, s7, 4
	s_cmp_lt_i32 s7, s28
	s_waitcnt lgkmcnt(0)
	s_mul_hi_i32 s7, s6, s5
	s_cselect_b32 s38, s9, s4
	s_mul_i32 s6, s6, s5
	s_ashr_i32 s39, s38, 31
	s_delay_alu instid0(SALU_CYCLE_1) | instskip(NEXT) | instid1(SALU_CYCLE_1)
	s_lshl_b64 s[38:39], s[38:39], 2
	s_add_u32 s38, s35, s38
	s_addc_u32 s39, s36, s39
	s_or_b32 s9, s29, 0xb0
	s_load_b32 s39, s[38:39], 0x0
	s_ashr_i32 s13, s9, 4
	s_cmp_lt_i32 s9, s28
	s_mul_hi_i32 s9, s8, s5
	s_cselect_b32 s40, s13, s4
	s_mul_i32 s8, s8, s5
	s_ashr_i32 s41, s40, 31
	s_mul_hi_i32 s13, s12, s5
	s_lshl_b64 s[40:41], s[40:41], 2
	s_mul_i32 s12, s12, s5
	s_add_u32 s42, s35, s40
	s_addc_u32 s43, s36, s41
	s_or_b32 s17, s29, 0xc0
	s_delay_alu instid0(SALU_CYCLE_1)
	s_ashr_i32 s19, s17, 4
	s_cmp_lt_i32 s17, s28
	s_mul_hi_i32 s17, s16, s5
	s_cselect_b32 s40, s19, s4
	s_mul_i32 s16, s16, s5
	s_ashr_i32 s41, s40, 31
	s_mul_hi_i32 s19, s18, s5
	s_lshl_b64 s[40:41], s[40:41], 2
	s_mul_i32 s18, s18, s5
	s_add_u32 s22, s35, s40
	s_addc_u32 s23, s36, s41
	s_or_b32 s20, s29, 0xd0
	s_clause 0x1
	s_load_b32 s41, s[24:25], 0x0
	s_load_b32 s40, s[26:27], 0x0
	s_ashr_i32 s21, s20, 4
	s_cmp_lt_i32 s20, s28
	s_mul_i32 s20, s15, s5
	s_cselect_b32 s24, s21, s4
	s_mul_hi_i32 s21, s15, s5
	s_ashr_i32 s25, s24, 31
	s_delay_alu instid0(SALU_CYCLE_1) | instskip(NEXT) | instid1(SALU_CYCLE_1)
	s_lshl_b64 s[24:25], s[24:25], 2
	s_add_u32 s24, s35, s24
	s_addc_u32 s25, s36, s25
	s_or_b32 s46, s29, 0xe0
	s_clause 0x2
	s_load_b32 s38, s[42:43], 0x0
	s_load_b32 s37, s[22:23], 0x0
	;; [unrolled: 1-line block ×3, first 2 shown]
	s_ashr_i32 s47, s46, 4
	s_cmp_lt_i32 s46, s28
	s_mul_hi_i32 s23, s44, s5
	s_cselect_b32 s42, s47, s4
	s_mul_i32 s22, s44, s5
	s_ashr_i32 s43, s42, 31
	s_mul_hi_i32 s25, s45, s5
	s_lshl_b64 s[42:43], s[42:43], 2
	s_mul_i32 s24, s45, s5
	s_add_u32 s42, s35, s42
	s_addc_u32 s43, s36, s43
	s_or_b32 s46, s29, 0xf0
	s_waitcnt lgkmcnt(0)
	s_mul_hi_i32 s27, s41, s5
	s_ashr_i32 s47, s46, 4
	s_cmp_lt_i32 s46, s28
	s_mul_i32 s26, s41, s5
	s_cselect_b32 s46, s47, s4
	s_mul_hi_i32 s41, s40, s5
	s_ashr_i32 s47, s46, 31
	s_mul_hi_i32 s51, s15, s5
	s_lshl_b64 s[46:47], s[46:47], 2
	s_mul_i32 s50, s15, s5
	s_add_u32 s46, s35, s46
	s_addc_u32 s47, s36, s47
	s_add_u32 s4, s10, s2
	s_addc_u32 s15, s11, s3
	v_add_co_u32 v216, s4, s4, v125
	s_delay_alu instid0(VALU_DEP_1) | instskip(SKIP_2) | instid1(VALU_DEP_2)
	v_add_co_ci_u32_e64 v217, null, s15, 0, s4
	s_lshl_b64 s[2:3], s[6:7], 1
	s_lshl_b64 s[6:7], s[8:9], 1
	v_add_co_u32 v125, vcc_lo, v216, s2
	s_delay_alu instid0(VALU_DEP_2)
	v_add_co_ci_u32_e32 v126, vcc_lo, s3, v217, vcc_lo
	v_add_co_u32 v200, vcc_lo, v216, s6
	s_lshl_b64 s[8:9], s[12:13], 1
	v_add_co_ci_u32_e32 v201, vcc_lo, s7, v217, vcc_lo
	s_lshl_b64 s[10:11], s[16:17], 1
	s_lshl_b64 s[12:13], s[18:19], 1
	;; [unrolled: 1-line block ×6, first 2 shown]
	s_mul_i32 s40, s40, s5
	s_mul_hi_i32 s45, s39, s5
	s_lshl_b64 s[24:25], s[40:41], 1
	s_mul_i32 s44, s39, s5
	s_mul_hi_i32 s39, s38, s5
	s_lshl_b64 s[26:27], s[44:45], 1
	s_mul_i32 s38, s38, s5
	s_mul_hi_i32 s49, s37, s5
	s_mul_i32 s48, s37, s5
	s_lshl_b64 s[36:37], s[38:39], 1
	s_lshl_b64 s[38:39], s[48:49], 1
	s_clause 0x1
	s_load_b32 s4, s[42:43], 0x0
	s_load_b32 s15, s[46:47], 0x0
	s_lshl_b64 s[40:41], s[50:51], 1
	s_waitcnt lgkmcnt(0)
	s_mul_hi_i32 s3, s4, s5
	s_mul_i32 s2, s4, s5
	s_mul_hi_i32 s7, s15, s5
	s_lshl_b64 s[2:3], s[2:3], 1
	s_mul_i32 s6, s15, s5
	s_waitcnt vmcnt(30)
	v_wmma_f32_16x16x16_f16 v[192:199], v[89:96], v[105:112], v[129:136]
	v_add_co_u32 v89, vcc_lo, v216, s8
	v_add_co_ci_u32_e32 v90, vcc_lo, s9, v217, vcc_lo
	v_add_co_u32 v91, vcc_lo, v216, s10
	v_add_co_ci_u32_e32 v92, vcc_lo, s11, v217, vcc_lo
	;; [unrolled: 2-line block ×5, first 2 shown]
	v_add_co_u32 v206, vcc_lo, v216, s20
	s_waitcnt vmcnt(28)
	v_wmma_f32_16x16x16_f16 v[129:136], v[97:104], v[105:112], v[129:136]
	v_add_co_ci_u32_e32 v207, vcc_lo, s21, v217, vcc_lo
	v_add_co_u32 v208, vcc_lo, v216, s22
	v_add_co_ci_u32_e32 v209, vcc_lo, s23, v217, vcc_lo
	v_add_co_u32 v210, vcc_lo, v216, s24
	s_waitcnt vmcnt(26)
	v_wmma_f32_16x16x16_f16 v[192:199], v[81:88], v[113:120], v[192:199]
	s_waitcnt vmcnt(24)
	v_wmma_f32_16x16x16_f16 v[129:136], v[73:80], v[113:120], v[129:136]
	v_add_co_ci_u32_e32 v211, vcc_lo, s25, v217, vcc_lo
	v_add_co_u32 v212, vcc_lo, v216, s26
	v_add_co_ci_u32_e32 v213, vcc_lo, s27, v217, vcc_lo
	v_add_co_u32 v214, vcc_lo, v216, s36
	s_waitcnt vmcnt(22)
	v_wmma_f32_16x16x16_f16 v[192:199], v[65:72], v[144:151], v[192:199]
	s_waitcnt vmcnt(20)
	v_wmma_f32_16x16x16_f16 v[129:136], v[57:64], v[144:151], v[129:136]
	v_add_co_ci_u32_e32 v215, vcc_lo, s37, v217, vcc_lo
	v_add_co_u32 v144, vcc_lo, v216, s38
	s_waitcnt vmcnt(18)
	v_wmma_f32_16x16x16_f16 v[192:199], v[49:56], v[152:159], v[192:199]
	s_waitcnt vmcnt(16)
	v_wmma_f32_16x16x16_f16 v[129:136], v[25:32], v[152:159], v[129:136]
	v_add_co_ci_u32_e32 v145, vcc_lo, s39, v217, vcc_lo
	s_clause 0x15
	global_load_b128 v[121:124], v[125:126], off
	global_load_b128 v[125:128], v[125:126], off offset:16
	global_load_b128 v[113:116], v[200:201], off
	global_load_b128 v[117:120], v[200:201], off offset:16
	global_load_b128 v[105:108], v[89:90], off
	global_load_b128 v[109:112], v[89:90], off offset:16
	global_load_b128 v[97:100], v[91:92], off
	global_load_b128 v[101:104], v[91:92], off offset:16
	global_load_b128 v[89:92], v[93:94], off
	global_load_b128 v[93:96], v[93:94], off offset:16
	global_load_b128 v[81:84], v[202:203], off
	global_load_b128 v[85:88], v[202:203], off offset:16
	global_load_b128 v[73:76], v[204:205], off
	global_load_b128 v[77:80], v[204:205], off offset:16
	global_load_b128 v[65:68], v[206:207], off
	global_load_b128 v[69:72], v[206:207], off offset:16
	global_load_b128 v[57:60], v[208:209], off
	global_load_b128 v[61:64], v[208:209], off offset:16
	global_load_b128 v[49:52], v[210:211], off
	global_load_b128 v[53:56], v[210:211], off offset:16
	global_load_b128 v[25:28], v[212:213], off
	global_load_b128 v[29:32], v[212:213], off offset:16
	s_waitcnt vmcnt(36)
	v_wmma_f32_16x16x16_f16 v[192:199], v[1:8], v[160:167], v[192:199]
	s_clause 0x1
	global_load_b128 v[1:4], v[214:215], off
	global_load_b128 v[5:8], v[214:215], off offset:16
	s_waitcnt vmcnt(36)
	v_wmma_f32_16x16x16_f16 v[129:136], v[9:16], v[160:167], v[129:136]
	s_clause 0x1
	global_load_b128 v[9:12], v[144:145], off
	global_load_b128 v[13:16], v[144:145], off offset:16
	ds_load_b128 v[144:147], v142 offset:10240
	ds_load_b128 v[148:151], v142 offset:11264
	ds_load_b128 v[152:155], v142 offset:12288
	ds_load_b128 v[156:159], v142 offset:13312
	v_add_co_u32 v200, vcc_lo, v216, s40
	v_add_co_ci_u32_e32 v201, vcc_lo, s41, v217, vcc_lo
	v_add_co_u32 v160, vcc_lo, v216, s2
	v_add_co_ci_u32_e32 v161, vcc_lo, s3, v217, vcc_lo
	s_lshl_b64 s[2:3], s[6:7], 1
	s_delay_alu instid0(SALU_CYCLE_1)
	v_add_co_u32 v162, vcc_lo, v216, s2
	v_add_co_ci_u32_e32 v163, vcc_lo, s3, v217, vcc_lo
	s_waitcnt vmcnt(36) lgkmcnt(2)
	v_wmma_f32_16x16x16_f16 v[192:199], v[41:48], v[144:151], v[192:199]
	s_waitcnt vmcnt(34)
	v_wmma_f32_16x16x16_f16 v[129:136], v[33:40], v[144:151], v[129:136]
	s_clause 0x3
	global_load_b128 v[33:36], v[200:201], off
	global_load_b128 v[37:40], v[200:201], off offset:16
	global_load_b128 v[41:44], v[160:161], off
	global_load_b128 v[45:48], v[160:161], off offset:16
	v_and_b32_e32 v144, 0xe0, v0
	v_mbcnt_lo_u32_b32 v160, -1, 0
	s_waitcnt vmcnt(36) lgkmcnt(0)
	v_wmma_f32_16x16x16_f16 v[192:199], v[17:24], v[152:159], v[192:199]
	s_clause 0x1
	global_load_b128 v[17:20], v[162:163], off
	global_load_b128 v[21:24], v[162:163], off offset:16
	s_waitcnt vmcnt(36)
	v_wmma_f32_16x16x16_f16 v[129:136], v[168:175], v[152:159], v[129:136]
	v_add_nc_u32_e32 v161, s29, v144
	ds_load_b128 v[144:147], v142 offset:14336
	ds_load_b128 v[148:151], v142 offset:15360
	v_xor_b32_e32 v152, 16, v160
	s_waitcnt vmcnt(0) lgkmcnt(0)
	s_barrier
	buffer_gl0_inv
	v_cmp_gt_i32_e32 vcc_lo, 32, v152
	v_cndmask_b32_e32 v152, v160, v152, vcc_lo
	v_wmma_f32_16x16x16_f16 v[192:199], v[176:183], v[144:151], v[192:199]
	v_wmma_f32_16x16x16_f16 v[129:136], v[184:191], v[144:151], v[129:136]
	s_delay_alu instid0(VALU_DEP_2) | instskip(SKIP_1) | instid1(VALU_DEP_3)
	v_mul_f32_e32 v150, s34, v193
	v_or_b32_e32 v153, v161, v138
	v_dual_mul_f32 v151, s34, v192 :: v_dual_mul_f32 v176, s34, v129
	v_dual_mul_f32 v148, s34, v195 :: v_dual_mul_f32 v149, s34, v194
	v_mul_f32_e32 v174, s34, v131
	s_delay_alu instid0(VALU_DEP_4)
	v_or_b32_e32 v154, 2, v153
	v_or_b32_e32 v155, 4, v153
	;; [unrolled: 1-line block ×3, first 2 shown]
	v_cmp_gt_i32_e32 vcc_lo, s28, v153
	v_or_b32_e32 v157, 8, v153
	v_cmp_gt_i32_e64 s2, s28, v154
	v_or_b32_e32 v158, 10, v153
	v_cmp_gt_i32_e64 s3, s28, v155
	v_cndmask_b32_e32 v151, 0xff7fffff, v151, vcc_lo
	v_cmp_gt_i32_e64 s4, s28, v156
	v_cndmask_b32_e64 v150, 0xff7fffff, v150, s2
	v_or_b32_e32 v159, 12, v153
	v_or_b32_e32 v160, 14, v153
	v_dual_mul_f32 v146, s34, v197 :: v_dual_mul_f32 v147, s34, v196
	v_mul_f32_e32 v172, s34, v133
	v_cndmask_b32_e64 v149, 0xff7fffff, v149, s3
	v_cndmask_b32_e64 v148, 0xff7fffff, v148, s4
	v_max3_f32 v150, v151, 0xff7fffff, v150
	v_cmp_gt_i32_e64 s5, s28, v157
	v_cmp_gt_i32_e64 s6, s28, v158
	v_or_b32_e32 v161, 16, v153
	v_or_b32_e32 v162, 18, v153
	v_dual_mul_f32 v144, s34, v199 :: v_dual_mul_f32 v145, s34, v198
	v_mul_f32_e32 v170, s34, v135
	v_cndmask_b32_e64 v147, 0xff7fffff, v147, s5
	v_cndmask_b32_e64 v146, 0xff7fffff, v146, s6
	v_max3_f32 v148, v150, v149, v148
	v_cmp_gt_i32_e64 s7, s28, v159
	v_cmp_gt_i32_e64 s8, s28, v160
	v_or_b32_e32 v163, 20, v153
	v_or_b32_e32 v164, 22, v153
	v_mul_f32_e32 v175, s34, v130
	v_cndmask_b32_e64 v145, 0xff7fffff, v145, s7
	v_cndmask_b32_e64 v144, 0xff7fffff, v144, s8
	v_max3_f32 v146, v148, v147, v146
	v_cmp_gt_i32_e64 s9, s28, v161
	v_cmp_gt_i32_e64 s10, s28, v162
	v_or_b32_e32 v165, 24, v153
	v_or_b32_e32 v166, 26, v153
	;; [unrolled: 8-line block ×3, first 2 shown]
	v_mul_f32_e32 v171, s34, v134
	v_cndmask_b32_e64 v145, 0xff7fffff, v174, s11
	v_cndmask_b32_e64 v146, 0xff7fffff, v173, s12
	v_max3_f32 v144, v144, v147, v148
	v_cmp_gt_i32_e64 s13, s28, v165
	v_cmp_gt_i32_e64 s15, s28, v166
	v_mul_f32_e32 v169, s34, v136
	v_cmp_gt_i32_e64 s16, s28, v167
	v_max3_f32 v144, v144, v145, v146
	v_cndmask_b32_e64 v147, 0xff7fffff, v172, s13
	v_cndmask_b32_e64 v148, 0xff7fffff, v171, s15
	v_cmp_gt_i32_e64 s17, s28, v168
	v_cndmask_b32_e64 v145, 0xff7fffff, v170, s16
	v_lshlrev_b32_e32 v161, 2, v152
	s_delay_alu instid0(VALU_DEP_4) | instskip(NEXT) | instid1(VALU_DEP_4)
	v_max3_f32 v144, v144, v147, v148
	v_cndmask_b32_e64 v146, 0xff7fffff, v169, s17
	s_delay_alu instid0(VALU_DEP_1) | instskip(SKIP_3) | instid1(VALU_DEP_1)
	v_max3_f32 v144, v144, v145, v146
	ds_bpermute_b32 v145, v161, v144
	s_waitcnt lgkmcnt(0)
	v_max_f32_e32 v145, v145, v145
	v_max_f32_e32 v160, v144, v145
	s_delay_alu instid0(VALU_DEP_1) | instskip(SKIP_4) | instid1(VALU_DEP_4)
	v_fma_f32 v146, s34, v194, -v160
	v_fma_f32 v147, s34, v195, -v160
	;; [unrolled: 1-line block ×5, first 2 shown]
	v_dual_mul_f32 v146, 0x3fb8aa3b, v146 :: v_dual_mul_f32 v147, 0x3fb8aa3b, v147
	v_fma_f32 v145, s34, v193, -v160
	v_mul_f32_e32 v144, 0x3fb8aa3b, v144
	s_delay_alu instid0(VALU_DEP_4) | instskip(NEXT) | instid1(VALU_DEP_4)
	v_mul_f32_e32 v130, 0x3fb8aa3b, v130
	v_exp_f32_e32 v146, v146
	v_exp_f32_e32 v151, v147
	v_mul_f32_e32 v152, 0x3fb8aa3b, v152
	v_exp_f32_e32 v144, v144
	v_fma_f32 v153, s34, v199, -v160
	v_fma_f32 v132, s34, v132, -v160
	;; [unrolled: 1-line block ×3, first 2 shown]
	v_exp_f32_e32 v152, v152
	v_fma_f32 v149, s34, v196, -v160
	v_fma_f32 v129, s34, v129, -v160
	v_cndmask_b32_e64 v147, 0, v146, s3
	v_mul_f32_e32 v145, 0x3fb8aa3b, v145
	v_cndmask_b32_e64 v146, 0, v151, s4
	v_dual_mul_f32 v151, 0x3fb8aa3b, v153 :: v_dual_mul_f32 v132, 0x3fb8aa3b, v132
	v_mul_f32_e32 v150, 0x3fb8aa3b, v150
	s_delay_alu instid0(VALU_DEP_4) | instskip(SKIP_1) | instid1(VALU_DEP_3)
	v_exp_f32_e32 v148, v145
	v_fma_f32 v134, s34, v134, -v160
	v_exp_f32_e32 v154, v151
	v_cndmask_b32_e64 v151, 0, v152, s7
	v_cndmask_b32_e32 v145, 0, v144, vcc_lo
	v_exp_f32_e32 v150, v150
	v_dual_mul_f32 v129, 0x3fb8aa3b, v129 :: v_dual_mul_f32 v134, 0x3fb8aa3b, v134
	v_exp_f32_e32 v130, v130
	v_fma_f32 v131, s34, v131, -v160
	v_cndmask_b32_e64 v144, 0, v148, s2
	v_add_f32_e32 v148, 0, v145
	v_exp_f32_e32 v129, v129
	v_fma_f32 v133, s34, v133, -v160
	v_exp_f32_e32 v132, v132
	s_mov_b32 s2, exec_lo
	s_delay_alu instid0(VALU_DEP_1) | instskip(NEXT) | instid1(VALU_DEP_1)
	v_dual_add_f32 v148, v148, v144 :: v_dual_mul_f32 v133, 0x3fb8aa3b, v133
	v_add_f32_e32 v148, v148, v147
	s_delay_alu instid0(VALU_DEP_2) | instskip(NEXT) | instid1(VALU_DEP_1)
	v_exp_f32_e32 v133, v133
	v_add_f32_e32 v153, v148, v146
	v_cndmask_b32_e64 v148, 0, v150, s6
	v_mul_f32_e32 v149, 0x3fb8aa3b, v149
	s_delay_alu instid0(VALU_DEP_1) | instskip(SKIP_3) | instid1(VALU_DEP_1)
	v_exp_f32_e32 v149, v149
	s_waitcnt_depctr 0xfff
	v_cndmask_b32_e64 v157, 0, v133, s13
	v_cndmask_b32_e64 v149, 0, v149, s5
	v_add_f32_e32 v150, v153, v149
	v_cndmask_b32_e64 v153, 0, v129, s9
	s_delay_alu instid0(VALU_DEP_2) | instskip(SKIP_3) | instid1(VALU_DEP_4)
	v_add_f32_e32 v152, v150, v148
	v_cndmask_b32_e64 v150, 0, v154, s8
	v_cndmask_b32_e64 v154, 0, v132, s12
	v_fma_f32 v132, s34, v136, -v160
	v_add_f32_e32 v152, v152, v151
	s_delay_alu instid0(VALU_DEP_1) | instskip(SKIP_3) | instid1(VALU_DEP_2)
	v_dual_mul_f32 v132, 0x3fb8aa3b, v132 :: v_dual_add_f32 v129, v152, v150
	v_cndmask_b32_e64 v152, 0, v130, s10
	v_fma_f32 v130, s34, v135, -v160
	v_mul_f32_e32 v131, 0x3fb8aa3b, v131
	v_dual_add_f32 v129, v129, v153 :: v_dual_mul_f32 v130, 0x3fb8aa3b, v130
	s_delay_alu instid0(VALU_DEP_2) | instskip(NEXT) | instid1(VALU_DEP_1)
	v_exp_f32_e32 v131, v131
	v_add_f32_e32 v129, v129, v152
	s_delay_alu instid0(VALU_DEP_2) | instskip(SKIP_4) | instid1(VALU_DEP_2)
	v_exp_f32_e32 v130, v130
	s_waitcnt_depctr 0xfff
	v_cndmask_b32_e64 v155, 0, v131, s11
	v_exp_f32_e32 v131, v134
	v_cndmask_b32_e64 v159, 0, v130, s16
	v_add_f32_e32 v129, v129, v155
	s_delay_alu instid0(VALU_DEP_1) | instskip(SKIP_4) | instid1(VALU_DEP_1)
	v_add_f32_e32 v129, v129, v154
	s_waitcnt_depctr 0xfff
	v_cndmask_b32_e64 v156, 0, v131, s15
	v_exp_f32_e32 v131, v132
	v_add_f32_e32 v129, v129, v157
	v_add_f32_e32 v129, v129, v156
	s_waitcnt_depctr 0xfff
	v_cndmask_b32_e64 v158, 0, v131, s17
	v_add_f32_e32 v129, v129, v159
	s_delay_alu instid0(VALU_DEP_1)
	v_add_f32_e32 v129, v129, v158
	ds_bpermute_b32 v130, v161, v129
	v_cmpx_gt_u32_e32 16, v143
	s_cbranch_execz .LBB265_12
; %bb.11:
	v_mul_u32_u24_e32 v131, 0x44, v140
	s_delay_alu instid0(VALU_DEP_1) | instskip(SKIP_1) | instid1(VALU_DEP_1)
	v_lshl_add_u32 v131, v141, 2, v131
	s_waitcnt lgkmcnt(0)
	v_dual_add_f32 v129, v129, v130 :: v_dual_add_nc_u32 v130, 0x4000, v131
	ds_store_2addr_b32 v130, v160, v129 offset1:136
.LBB265_12:
	s_or_b32 exec_lo, exec_lo, s2
	v_lshlrev_b32_e32 v129, 2, v141
	s_load_b32 s34, s[0:1], 0x94
	s_waitcnt lgkmcnt(0)
	s_barrier
	buffer_gl0_inv
	v_add_nc_u32_e32 v141, 0x4000, v129
	v_cmp_eq_u32_e32 vcc_lo, 1, v140
	v_cmp_eq_u32_e64 s2, 2, v140
	v_cmp_eq_u32_e64 s3, 3, v140
	;; [unrolled: 1-line block ×3, first 2 shown]
	ds_load_2addr_b32 v[129:130], v141 offset1:17
	ds_load_2addr_b32 v[131:132], v141 offset0:34 offset1:51
	ds_load_2addr_b32 v[133:134], v141 offset0:68 offset1:85
	;; [unrolled: 1-line block ×3, first 2 shown]
	v_cmp_eq_u32_e64 s5, 7, v140
	s_waitcnt lgkmcnt(3)
	v_max3_f32 v135, v129, 0xff7fffff, v130
	s_waitcnt lgkmcnt(2)
	s_delay_alu instid0(VALU_DEP_1) | instskip(SKIP_1) | instid1(VALU_DEP_1)
	v_max3_f32 v135, v135, v131, v132
	s_waitcnt lgkmcnt(1)
	v_max3_f32 v135, v135, v133, v134
	s_waitcnt lgkmcnt(0)
	s_delay_alu instid0(VALU_DEP_1) | instskip(NEXT) | instid1(VALU_DEP_1)
	v_max3_f32 v135, v135, v160, v161
	v_sub_f32_e32 v164, v132, v135
	ds_load_2addr_b32 v[162:163], v141 offset0:136 offset1:153
	v_sub_f32_e32 v136, v130, v135
	v_dual_sub_f32 v129, v129, v135 :: v_dual_mul_f32 v164, 0x3fb8aa3b, v164
	s_delay_alu instid0(VALU_DEP_1)
	v_dual_mul_f32 v136, 0x3fb8aa3b, v136 :: v_dual_mul_f32 v143, 0x3fb8aa3b, v129
	ds_load_2addr_b32 v[129:130], v141 offset0:170 offset1:187
	v_exp_f32_e32 v164, v164
	v_exp_f32_e32 v166, v136
	;; [unrolled: 1-line block ×3, first 2 shown]
	s_waitcnt lgkmcnt(1)
	s_waitcnt_depctr 0xfff
	v_fma_f32 v136, v143, v162, 0
	v_sub_f32_e32 v162, v134, v135
	v_sub_f32_e32 v131, v131, v135
	s_delay_alu instid0(VALU_DEP_1) | instskip(SKIP_3) | instid1(VALU_DEP_1)
	v_mul_f32_e32 v165, 0x3fb8aa3b, v131
	ds_load_2addr_b32 v[131:132], v141 offset0:204 offset1:221
	v_sub_f32_e32 v133, v133, v135
	v_exp_f32_e32 v165, v165
	v_mul_f32_e32 v167, 0x3fb8aa3b, v133
	ds_load_2addr_b32 v[133:134], v141 offset0:238 offset1:255
	v_sub_f32_e32 v141, v160, v135
	v_fmac_f32_e32 v136, v166, v163
	v_mul_f32_e32 v160, 0x3fb8aa3b, v162
	v_exp_f32_e32 v162, v167
	s_waitcnt lgkmcnt(0)
	v_mul_f32_e32 v141, 0x3fb8aa3b, v141
	v_fmac_f32_e32 v136, v165, v129
	v_sub_f32_e32 v129, v161, v135
	v_exp_f32_e32 v160, v160
	s_barrier
	v_exp_f32_e32 v141, v141
	v_fmac_f32_e32 v136, v164, v130
	v_dual_cndmask_b32 v130, v143, v166 :: v_dual_mul_f32 v129, 0x3fb8aa3b, v129
	buffer_gl0_inv
	v_fmac_f32_e32 v136, v162, v131
	v_lshl_or_b32 v131, v140, 11, v142
	v_exp_f32_e32 v161, v129
	s_delay_alu instid0(VALU_DEP_2) | instskip(NEXT) | instid1(VALU_DEP_1)
	v_fmac_f32_e32 v136, v160, v132
	v_fmac_f32_e32 v136, v141, v133
	s_waitcnt_depctr 0xfff
	v_fmac_f32_e32 v136, v161, v134
	s_delay_alu instid0(VALU_DEP_1) | instskip(NEXT) | instid1(VALU_DEP_1)
	v_add_f32_e32 v163, 0x358637bd, v136
	v_div_scale_f32 v167, null, v163, v163, 1.0
	s_delay_alu instid0(VALU_DEP_1) | instskip(SKIP_2) | instid1(VALU_DEP_1)
	v_rcp_f32_e32 v168, v167
	s_waitcnt_depctr 0xfff
	v_fma_f32 v129, -v167, v168, 1.0
	v_fmac_f32_e32 v168, v129, v168
	v_cndmask_b32_e64 v129, v130, v165, s2
	v_lshlrev_b32_e32 v130, 2, v138
	v_div_scale_f32 v143, vcc_lo, 1.0, v163, 1.0
	v_cmp_eq_u32_e64 s2, 4, v140
	s_delay_alu instid0(VALU_DEP_4) | instskip(SKIP_1) | instid1(VALU_DEP_4)
	v_cndmask_b32_e64 v129, v129, v164, s3
	v_cmp_eq_u32_e64 s3, 6, v140
	v_mul_f32_e32 v165, v143, v168
	v_or_b32_e32 v134, 2, v130
	v_cmp_eq_u32_e64 s6, 6, v130
	v_cndmask_b32_e64 v133, v129, v162, s2
	v_lshl_or_b32 v129, v138, 4, v131
	v_fma_f32 v132, -v167, v165, v143
	v_cmp_eq_u32_e64 s2, 1, v130
	v_cmp_eq_u32_e64 s9, 1, v134
	v_cndmask_b32_e64 v140, v133, v160, s4
	v_or_b32_e32 v133, 3, v130
	v_fmac_f32_e32 v165, v132, v168
	v_or_b32_e32 v132, 1, v130
	v_cmp_eq_u32_e64 s13, 2, v134
	v_cndmask_b32_e64 v140, v140, v141, s3
	v_cmp_eq_u32_e64 s10, 1, v133
	v_fma_f32 v143, -v167, v165, v143
	v_cmp_eq_u32_e64 s8, 1, v132
	v_cmp_eq_u32_e64 s11, 2, v132
	v_cndmask_b32_e64 v140, v140, v161, s5
	v_cmp_eq_u32_e64 s15, 2, v133
	v_div_fmas_f32 v141, v143, v168, v165
	v_cmp_eq_u32_e32 vcc_lo, 2, v130
	v_cmp_eq_u32_e64 s3, 3, v130
	v_cmp_eq_u32_e64 s12, 3, v132
	;; [unrolled: 1-line block ×3, first 2 shown]
	v_div_fixup_f32 v141, v141, v163, 1.0
	v_cmp_eq_u32_e64 s17, 3, v133
	v_cmp_eq_u32_e64 s21, 4, v133
	;; [unrolled: 1-line block ×4, first 2 shown]
	v_mul_f32_e32 v140, v140, v141
	v_cmp_eq_u32_e64 s23, 5, v133
	v_cmp_eq_u32_e64 s5, 5, v130
	;; [unrolled: 1-line block ×4, first 2 shown]
	v_fma_mixlo_f16 v160, v140, v145, 0
	v_fma_mixlo_f16 v161, v140, v147, 0
	;; [unrolled: 1-line block ×8, first 2 shown]
	v_fma_mixhi_f16 v160, v140, v144, 0
	v_fma_mixhi_f16 v161, v140, v146, 0
	;; [unrolled: 1-line block ×8, first 2 shown]
	ds_store_b128 v129, v[160:163]
	ds_store_b128 v129, v[164:167] offset:1024
	s_waitcnt lgkmcnt(0)
	s_barrier
	buffer_gl0_inv
	ds_load_b128 v[143:146], v131
	ds_load_b128 v[147:150], v131 offset:16
	ds_load_b128 v[151:154], v131 offset:1024
	;; [unrolled: 1-line block ×3, first 2 shown]
	v_cmp_eq_u32_e64 s26, 6, v133
	v_cmp_eq_u32_e64 s22, 5, v134
	v_cmp_eq_u32_e64 s24, 6, v132
	v_cmp_eq_u32_e64 s28, 7, v133
	v_cmp_eq_u32_e64 s25, 6, v134
	v_cmp_eq_u32_e64 s29, 7, v132
	v_cmp_eq_u32_e64 s7, 7, v130
	v_cmp_eq_u32_e64 s27, 7, v134
	s_waitcnt lgkmcnt(3)
	v_lshrrev_b32_e32 v140, 16, v143
	s_waitcnt lgkmcnt(2)
	v_lshrrev_b32_e32 v161, 16, v147
	;; [unrolled: 2-line block ×4, first 2 shown]
	v_lshrrev_b32_e32 v141, 16, v144
	v_cndmask_b32_e64 v173, v143, v140, s2
	v_cndmask_b32_e64 v174, v147, v161, s2
	;; [unrolled: 1-line block ×7, first 2 shown]
	v_lshrrev_b32_e32 v162, 16, v148
	v_cndmask_b32_e64 v178, v147, v161, s9
	v_cndmask_b32_e64 v147, v151, v165, s2
	;; [unrolled: 1-line block ×9, first 2 shown]
	v_cndmask_b32_e32 v165, v173, v144, vcc_lo
	v_cndmask_b32_e32 v169, v174, v148, vcc_lo
	v_cndmask_b32_e64 v173, v175, v144, s11
	v_cndmask_b32_e64 v174, v176, v148, s11
	;; [unrolled: 1-line block ×5, first 2 shown]
	v_lshrrev_b32_e32 v166, 16, v152
	v_cndmask_b32_e64 v176, v178, v148, s13
	v_cndmask_b32_e32 v144, v147, v152, vcc_lo
	v_cndmask_b32_e32 v147, v161, v156, vcc_lo
	v_cndmask_b32_e64 v148, v179, v152, s11
	v_cndmask_b32_e64 v161, v181, v152, s13
	;; [unrolled: 1-line block ×11, first 2 shown]
	v_lshrrev_b32_e32 v159, 16, v145
	v_lshrrev_b32_e32 v163, 16, v149
	;; [unrolled: 1-line block ×3, first 2 shown]
	v_cndmask_b32_e64 v140, v140, v145, s21
	v_cndmask_b32_e64 v141, v141, v149, s21
	;; [unrolled: 1-line block ×12, first 2 shown]
	v_lshrrev_b32_e32 v160, 16, v146
	v_lshrrev_b32_e32 v164, 16, v150
	;; [unrolled: 1-line block ×4, first 2 shown]
	v_cndmask_b32_e64 v169, v174, v145, s20
	v_cndmask_b32_e64 v173, v175, v149, s20
	;; [unrolled: 1-line block ×20, first 2 shown]
	v_lshrrev_b32_e32 v168, 16, v154
	v_cndmask_b32_e64 v177, v182, v156, s13
	v_cndmask_b32_e64 v147, v147, v146, s6
	;; [unrolled: 1-line block ×10, first 2 shown]
	v_perm_b32 v146, v141, v140, 0x5040100
	v_cndmask_b32_e64 v140, v180, v156, s11
	v_cndmask_b32_e64 v147, v147, v160, s7
	;; [unrolled: 1-line block ×6, first 2 shown]
	v_perm_b32 v144, v155, v149, 0x5040100
	v_cndmask_b32_e64 v141, v161, v166, s16
	v_cndmask_b32_e64 v143, v151, v166, s17
	;; [unrolled: 1-line block ×15, first 2 shown]
	v_lshrrev_b32_e32 v172, 16, v158
	v_cndmask_b32_e64 v141, v141, v154, s25
	v_cndmask_b32_e64 v143, v143, v154, s26
	v_cndmask_b32_e64 v149, v149, v158, s26
	v_cndmask_b32_e64 v151, v151, v158, s25
	v_cndmask_b32_e64 v140, v140, v158, s24
	v_cndmask_b32_e64 v148, v148, v164, s7
	v_cndmask_b32_e64 v141, v141, v168, s27
	v_cndmask_b32_e64 v152, v143, v168, s28
	v_cndmask_b32_e64 v149, v149, v172, s28
	v_cndmask_b32_e64 v151, v151, v172, s27
	v_cndmask_b32_e64 v140, v140, v172, s29
	v_cndmask_b32_e64 v153, v150, v172, s7
	v_perm_b32 v145, v159, v145, 0x5040100
	v_perm_b32 v143, v148, v147, 0x5040100
	;; [unrolled: 1-line block ×6, first 2 shown]
	s_lshl_b32 s6, s33, 4
	s_mov_b32 s2, exec_lo
	ds_store_b128 v129, v[143:146]
	ds_store_b128 v129, v[147:150] offset:1024
	v_cmpx_gt_u32_e32 16, v0
	s_cbranch_execz .LBB265_14
; %bb.13:
	v_or_b32_e32 v140, s31, v0
	s_load_b128 s[8:11], s[0:1], 0x58
	s_delay_alu instid0(VALU_DEP_1) | instskip(NEXT) | instid1(VALU_DEP_1)
	v_mad_u64_u32 v[143:144], null, s6, s30, v[140:141]
	v_mad_u64_u32 v[140:141], null, v143, s34, s[14:15]
	s_delay_alu instid0(VALU_DEP_1) | instskip(NEXT) | instid1(VALU_DEP_1)
	v_ashrrev_i32_e32 v141, 31, v140
	v_lshlrev_b64 v[140:141], 2, v[140:141]
	s_waitcnt lgkmcnt(0)
	s_delay_alu instid0(VALU_DEP_1) | instskip(NEXT) | instid1(VALU_DEP_2)
	v_add_co_u32 v143, vcc_lo, s10, v140
	v_add_co_ci_u32_e32 v144, vcc_lo, s11, v141, vcc_lo
	v_add_co_u32 v140, vcc_lo, s8, v140
	v_add_co_ci_u32_e32 v141, vcc_lo, s9, v141, vcc_lo
	global_store_b32 v[143:144], v135, off
	global_store_b32 v[140:141], v136, off
.LBB265_14:
	s_or_b32 exec_lo, exec_lo, s2
	s_waitcnt lgkmcnt(0)
	s_waitcnt_vscnt null, 0x0
	s_barrier
	buffer_gl0_inv
	ds_load_b128 v[151:154], v142
	ds_load_b128 v[155:158], v142 offset:16
	ds_load_b128 v[163:166], v142 offset:1040
	;; [unrolled: 1-line block ×5, first 2 shown]
	v_cmp_eq_u32_e32 vcc_lo, 1, v134
	v_mov_b32_e32 v143, 0
	ds_load_b128 v[179:182], v142 offset:3088
	ds_load_b128 v[175:178], v142 offset:3072
	;; [unrolled: 1-line block ×4, first 2 shown]
	v_cmp_eq_u32_e64 s2, 1, v130
	v_cmp_eq_u32_e64 s3, 1, v133
	;; [unrolled: 1-line block ×3, first 2 shown]
	v_mov_b32_e32 v144, v143
	v_mov_b32_e32 v145, v143
	;; [unrolled: 1-line block ×7, first 2 shown]
	v_cmp_eq_u32_e64 s5, 2, v130
	s_waitcnt lgkmcnt(8)
	s_delay_alu instid0(VALU_DEP_2)
	v_wmma_f32_16x16x16_f16 v[143:150], v[121:128], v[151:158], v[143:150]
	ds_load_b128 v[125:128], v142 offset:5136
	ds_load_b128 v[121:124], v142 offset:5120
	s_waitcnt lgkmcnt(8)
	v_wmma_f32_16x16x16_f16 v[143:150], v[113:120], v[159:166], v[143:150]
	ds_load_b128 v[117:120], v142 offset:6160
	ds_load_b128 v[113:116], v142 offset:6144
	s_waitcnt lgkmcnt(8)
	;; [unrolled: 4-line block ×11, first 2 shown]
	s_barrier
	buffer_gl0_inv
	v_wmma_f32_16x16x16_f16 v[143:150], v[1:8], v[73:80], v[143:150]
	s_delay_alu instid0(VALU_DEP_1) | instskip(NEXT) | instid1(VALU_DEP_1)
	v_wmma_f32_16x16x16_f16 v[143:150], v[9:16], v[65:72], v[143:150]
	v_wmma_f32_16x16x16_f16 v[143:150], v[33:40], v[57:64], v[143:150]
	s_delay_alu instid0(VALU_DEP_1) | instskip(NEXT) | instid1(VALU_DEP_1)
	v_wmma_f32_16x16x16_f16 v[143:150], v[41:48], v[49:56], v[143:150]
	v_wmma_f32_16x16x16_f16 v[143:150], v[17:24], v[25:32], v[143:150]
	s_delay_alu instid0(VALU_DEP_1) | instskip(NEXT) | instid1(VALU_DEP_2)
	v_cvt_f16_f32_e64 v1, v143
	v_cvt_f16_f32_e64 v2, v144
	s_delay_alu instid0(VALU_DEP_3) | instskip(NEXT) | instid1(VALU_DEP_4)
	v_cvt_f16_f32_e64 v3, v145
	v_cvt_f16_f32_e64 v4, v146
	;; [unrolled: 1-line block ×6, first 2 shown]
	v_pack_b32_f16 v1, v1, v2
	v_pack_b32_f16 v2, v3, v4
	;; [unrolled: 1-line block ×3, first 2 shown]
	s_delay_alu instid0(VALU_DEP_4)
	v_pack_b32_f16 v4, v7, v8
	ds_store_b128 v129, v[1:4]
	s_waitcnt lgkmcnt(0)
	s_barrier
	buffer_gl0_inv
	ds_load_b128 v[1:4], v131
	ds_load_b128 v[5:8], v131 offset:16
	s_waitcnt lgkmcnt(1)
	v_lshrrev_b32_e32 v9, 16, v1
	s_waitcnt lgkmcnt(0)
	v_lshrrev_b32_e32 v13, 16, v5
	v_lshrrev_b32_e32 v10, 16, v2
	;; [unrolled: 1-line block ×4, first 2 shown]
	v_cndmask_b32_e64 v17, v1, v9, s2
	v_cndmask_b32_e64 v18, v5, v13, s2
	;; [unrolled: 1-line block ×3, first 2 shown]
	v_cmp_eq_u32_e64 s2, 2, v132
	v_cndmask_b32_e64 v20, v5, v13, s4
	v_cndmask_b32_e32 v21, v1, v9, vcc_lo
	v_cndmask_b32_e32 v22, v5, v13, vcc_lo
	v_cndmask_b32_e64 v1, v1, v9, s3
	v_cndmask_b32_e64 v5, v5, v13, s3
	v_cmp_eq_u32_e32 vcc_lo, 2, v134
	v_cmp_eq_u32_e64 s3, 2, v133
	v_cndmask_b32_e64 v9, v17, v2, s5
	v_cndmask_b32_e64 v13, v18, v6, s5
	;; [unrolled: 1-line block ×4, first 2 shown]
	v_cndmask_b32_e32 v19, v21, v2, vcc_lo
	v_cmp_eq_u32_e64 s2, 3, v134
	v_cndmask_b32_e32 v20, v22, v6, vcc_lo
	v_cndmask_b32_e64 v1, v1, v2, s3
	v_cmp_eq_u32_e32 vcc_lo, 3, v133
	v_cmp_eq_u32_e64 s4, 3, v130
	v_cndmask_b32_e64 v2, v5, v6, s3
	v_cmp_eq_u32_e64 s3, 3, v132
	v_cmp_eq_u32_e64 s5, 4, v130
	v_cndmask_b32_e32 v1, v1, v10, vcc_lo
	v_cndmask_b32_e64 v5, v9, v10, s4
	v_cndmask_b32_e64 v6, v13, v14, s4
	;; [unrolled: 1-line block ×3, first 2 shown]
	v_cmp_eq_u32_e64 s4, 4, v132
	v_cndmask_b32_e64 v13, v18, v14, s3
	v_cndmask_b32_e64 v17, v19, v10, s2
	;; [unrolled: 1-line block ×3, first 2 shown]
	v_cndmask_b32_e32 v2, v2, v14, vcc_lo
	v_cmp_eq_u32_e32 vcc_lo, 4, v134
	v_cmp_eq_u32_e64 s3, 4, v133
	v_lshrrev_b32_e32 v15, 16, v7
	v_cndmask_b32_e64 v5, v5, v3, s5
	v_cndmask_b32_e64 v6, v6, v7, s5
	;; [unrolled: 1-line block ×4, first 2 shown]
	v_cndmask_b32_e32 v13, v17, v3, vcc_lo
	v_cmp_eq_u32_e64 s2, 5, v134
	v_cndmask_b32_e32 v14, v18, v7, vcc_lo
	v_cndmask_b32_e64 v1, v1, v3, s3
	v_cmp_eq_u32_e32 vcc_lo, 5, v133
	v_cmp_eq_u32_e64 s4, 5, v130
	v_cndmask_b32_e64 v2, v2, v7, s3
	v_cmp_eq_u32_e64 s3, 5, v132
	v_cmp_eq_u32_e64 s5, 6, v130
	v_lshrrev_b32_e32 v12, 16, v4
	v_cndmask_b32_e64 v3, v5, v11, s4
	v_cndmask_b32_e64 v5, v6, v15, s4
	;; [unrolled: 1-line block ×3, first 2 shown]
	v_cmp_eq_u32_e64 s4, 6, v132
	v_cndmask_b32_e64 v7, v10, v15, s3
	v_cndmask_b32_e64 v9, v13, v11, s2
	;; [unrolled: 1-line block ×3, first 2 shown]
	v_cndmask_b32_e32 v1, v1, v11, vcc_lo
	v_cndmask_b32_e32 v2, v2, v15, vcc_lo
	v_cmp_eq_u32_e32 vcc_lo, 6, v134
	v_cmp_eq_u32_e64 s2, 6, v133
	v_lshrrev_b32_e32 v16, 16, v8
	v_cndmask_b32_e64 v3, v3, v4, s5
	v_cndmask_b32_e64 v5, v5, v8, s5
	v_cndmask_b32_e32 v9, v9, v4, vcc_lo
	v_cndmask_b32_e64 v6, v6, v4, s4
	v_cndmask_b32_e64 v7, v7, v8, s4
	v_cmp_eq_u32_e64 s3, 7, v134
	v_cndmask_b32_e32 v10, v10, v8, vcc_lo
	v_cndmask_b32_e64 v1, v1, v4, s2
	v_cmp_eq_u32_e32 vcc_lo, 7, v133
	v_cndmask_b32_e64 v2, v2, v8, s2
	v_cmp_eq_u32_e64 s2, 7, v130
	v_cmp_eq_u32_e64 s4, 7, v132
	v_cndmask_b32_e32 v1, v1, v12, vcc_lo
	s_delay_alu instid0(VALU_DEP_4) | instskip(NEXT) | instid1(VALU_DEP_4)
	v_cndmask_b32_e32 v2, v2, v16, vcc_lo
	v_cndmask_b32_e64 v8, v3, v12, s2
	s_delay_alu instid0(VALU_DEP_4)
	v_cndmask_b32_e64 v6, v6, v12, s4
	v_cndmask_b32_e64 v3, v9, v12, s3
	;; [unrolled: 1-line block ×5, first 2 shown]
	v_perm_b32 v4, v2, v1, 0x5040100
	s_mov_b32 s2, exec_lo
	v_perm_b32 v3, v9, v3, 0x5040100
	v_perm_b32 v2, v7, v6, 0x5040100
	;; [unrolled: 1-line block ×3, first 2 shown]
	ds_store_b128 v129, v[1:4]
	s_waitcnt lgkmcnt(0)
	s_barrier
	buffer_gl0_inv
	v_cmpx_gt_u32_e32 32, v0
	s_cbranch_execz .LBB265_2
; %bb.15:
	s_load_b64 s[0:1], s[0:1], 0x68
	v_lshlrev_b32_e32 v0, 10, v0
	s_lshl_b32 s4, s34, 7
	v_or_b32_e32 v23, s31, v138
	s_mul_i32 s2, s4, s30
	v_lshlrev_b32_e32 v1, 4, v139
	v_lshlrev_b32_e32 v2, 6, v138
	s_mul_i32 s2, s2, s6
	v_and_b32_e32 v0, 0x3800, v0
	v_mul_lo_u32 v8, v23, s4
	s_ashr_i32 s3, s2, 31
	v_or_b32_e32 v3, 2, v23
	s_lshl_b64 s[2:3], s[2:3], 1
	v_or3_b32 v27, v0, v1, v2
	v_or_b32_e32 v11, 4, v23
	v_or_b32_e32 v18, 6, v23
	v_mul_lo_u32 v10, v3, s4
	v_ashrrev_i32_e32 v9, 31, v8
	ds_load_b128 v[0:3], v27
	ds_load_b128 v[4:7], v27 offset:128
	v_mul_lo_u32 v12, v11, s4
	s_waitcnt lgkmcnt(0)
	s_add_u32 s2, s0, s2
	s_addc_u32 s3, s1, s3
	s_lshl_b32 s0, s14, 7
	v_lshlrev_b64 v[8:9], 1, v[8:9]
	s_ashr_i32 s1, s0, 31
	v_ashrrev_i32_e32 v11, 31, v10
	s_lshl_b64 s[0:1], s[0:1], 1
	v_ashrrev_i32_e32 v13, 31, v12
	s_add_u32 s0, s2, s0
	s_addc_u32 s1, s3, s1
	v_add_co_u32 v30, s0, s0, v137
	s_delay_alu instid0(VALU_DEP_1) | instskip(SKIP_1) | instid1(VALU_DEP_3)
	v_add_co_ci_u32_e64 v31, null, s1, 0, s0
	v_lshlrev_b64 v[16:17], 1, v[10:11]
	v_add_co_u32 v14, vcc_lo, v30, v8
	s_delay_alu instid0(VALU_DEP_3)
	v_add_co_ci_u32_e32 v15, vcc_lo, v31, v9, vcc_lo
	ds_load_b128 v[8:11], v27 offset:256
	v_mul_lo_u32 v18, v18, s4
	v_or_b32_e32 v19, 8, v23
	v_add_co_u32 v16, vcc_lo, v30, v16
	global_store_b128 v[14:15], v[0:3], off
	v_lshlrev_b64 v[0:1], 1, v[12:13]
	v_add_co_ci_u32_e32 v17, vcc_lo, v31, v17, vcc_lo
	v_mul_lo_u32 v12, v19, s4
	v_ashrrev_i32_e32 v19, 31, v18
	v_or_b32_e32 v14, 10, v23
	global_store_b128 v[16:17], v[4:7], off
	v_add_co_u32 v4, vcc_lo, v30, v0
	v_add_co_ci_u32_e32 v5, vcc_lo, v31, v1, vcc_lo
	ds_load_b128 v[0:3], v27 offset:384
	v_ashrrev_i32_e32 v13, 31, v12
	v_lshlrev_b64 v[6:7], 1, v[18:19]
	v_mul_lo_u32 v14, v14, s4
	s_waitcnt lgkmcnt(1)
	global_store_b128 v[4:5], v[8:11], off
	v_or_b32_e32 v8, 12, v23
	v_lshlrev_b64 v[4:5], 1, v[12:13]
	v_add_co_u32 v20, vcc_lo, v30, v6
	v_or_b32_e32 v6, 14, v23
	v_ashrrev_i32_e32 v15, 31, v14
	v_mul_lo_u32 v22, v8, s4
	v_add_co_ci_u32_e32 v21, vcc_lo, v31, v7, vcc_lo
	v_add_co_u32 v24, vcc_lo, v30, v4
	v_mul_lo_u32 v26, v6, s4
	v_add_co_ci_u32_e32 v25, vcc_lo, v31, v5, vcc_lo
	v_lshlrev_b64 v[28:29], 1, v[14:15]
	ds_load_b128 v[4:7], v27 offset:512
	ds_load_b128 v[8:11], v27 offset:640
	;; [unrolled: 1-line block ×4, first 2 shown]
	v_ashrrev_i32_e32 v23, 31, v22
	v_ashrrev_i32_e32 v27, 31, v26
	v_add_co_u32 v28, vcc_lo, v30, v28
	s_delay_alu instid0(VALU_DEP_3) | instskip(SKIP_1) | instid1(VALU_DEP_4)
	v_lshlrev_b64 v[22:23], 1, v[22:23]
	v_add_co_ci_u32_e32 v29, vcc_lo, v31, v29, vcc_lo
	v_lshlrev_b64 v[26:27], 1, v[26:27]
	s_delay_alu instid0(VALU_DEP_3) | instskip(NEXT) | instid1(VALU_DEP_4)
	v_add_co_u32 v22, vcc_lo, v30, v22
	v_add_co_ci_u32_e32 v23, vcc_lo, v31, v23, vcc_lo
	s_delay_alu instid0(VALU_DEP_3) | instskip(NEXT) | instid1(VALU_DEP_4)
	v_add_co_u32 v26, vcc_lo, v30, v26
	v_add_co_ci_u32_e32 v27, vcc_lo, v31, v27, vcc_lo
	s_waitcnt lgkmcnt(4)
	global_store_b128 v[20:21], v[0:3], off
	s_waitcnt lgkmcnt(3)
	global_store_b128 v[24:25], v[4:7], off
	;; [unrolled: 2-line block ×5, first 2 shown]
	s_nop 0
	s_sendmsg sendmsg(MSG_DEALLOC_VGPRS)
	s_endpgm
	.section	.rodata,"a",@progbits
	.p2align	6, 0x0
	.amdhsa_kernel _Z39paged_attention_ll4mi_QKV_mfma16_kernelIDF16_DF16_LN4vllm18Fp8KVCacheDataTypeE0EDF16_Li16ELi128ELi256ELb1ELi16EL8MFMAType0EEvPKT_PKT0_S8_ifPKiSA_SA_iPKfiiiPfSD_PS3_PT2_iSC_SC_
		.amdhsa_group_segment_fixed_size 17472
		.amdhsa_private_segment_fixed_size 0
		.amdhsa_kernarg_size 400
		.amdhsa_user_sgpr_count 13
		.amdhsa_user_sgpr_dispatch_ptr 0
		.amdhsa_user_sgpr_queue_ptr 0
		.amdhsa_user_sgpr_kernarg_segment_ptr 1
		.amdhsa_user_sgpr_dispatch_id 0
		.amdhsa_user_sgpr_private_segment_size 0
		.amdhsa_wavefront_size32 1
		.amdhsa_uses_dynamic_stack 0
		.amdhsa_enable_private_segment 0
		.amdhsa_system_sgpr_workgroup_id_x 1
		.amdhsa_system_sgpr_workgroup_id_y 1
		.amdhsa_system_sgpr_workgroup_id_z 1
		.amdhsa_system_sgpr_workgroup_info 0
		.amdhsa_system_vgpr_workitem_id 0
		.amdhsa_next_free_vgpr 218
		.amdhsa_next_free_sgpr 52
		.amdhsa_reserve_vcc 1
		.amdhsa_float_round_mode_32 0
		.amdhsa_float_round_mode_16_64 0
		.amdhsa_float_denorm_mode_32 3
		.amdhsa_float_denorm_mode_16_64 3
		.amdhsa_dx10_clamp 1
		.amdhsa_ieee_mode 1
		.amdhsa_fp16_overflow 0
		.amdhsa_workgroup_processor_mode 1
		.amdhsa_memory_ordered 1
		.amdhsa_forward_progress 0
		.amdhsa_shared_vgpr_count 0
		.amdhsa_exception_fp_ieee_invalid_op 0
		.amdhsa_exception_fp_denorm_src 0
		.amdhsa_exception_fp_ieee_div_zero 0
		.amdhsa_exception_fp_ieee_overflow 0
		.amdhsa_exception_fp_ieee_underflow 0
		.amdhsa_exception_fp_ieee_inexact 0
		.amdhsa_exception_int_div_zero 0
	.end_amdhsa_kernel
	.section	.text._Z39paged_attention_ll4mi_QKV_mfma16_kernelIDF16_DF16_LN4vllm18Fp8KVCacheDataTypeE0EDF16_Li16ELi128ELi256ELb1ELi16EL8MFMAType0EEvPKT_PKT0_S8_ifPKiSA_SA_iPKfiiiPfSD_PS3_PT2_iSC_SC_,"axG",@progbits,_Z39paged_attention_ll4mi_QKV_mfma16_kernelIDF16_DF16_LN4vllm18Fp8KVCacheDataTypeE0EDF16_Li16ELi128ELi256ELb1ELi16EL8MFMAType0EEvPKT_PKT0_S8_ifPKiSA_SA_iPKfiiiPfSD_PS3_PT2_iSC_SC_,comdat
.Lfunc_end265:
	.size	_Z39paged_attention_ll4mi_QKV_mfma16_kernelIDF16_DF16_LN4vllm18Fp8KVCacheDataTypeE0EDF16_Li16ELi128ELi256ELb1ELi16EL8MFMAType0EEvPKT_PKT0_S8_ifPKiSA_SA_iPKfiiiPfSD_PS3_PT2_iSC_SC_, .Lfunc_end265-_Z39paged_attention_ll4mi_QKV_mfma16_kernelIDF16_DF16_LN4vllm18Fp8KVCacheDataTypeE0EDF16_Li16ELi128ELi256ELb1ELi16EL8MFMAType0EEvPKT_PKT0_S8_ifPKiSA_SA_iPKfiiiPfSD_PS3_PT2_iSC_SC_
                                        ; -- End function
	.section	.AMDGPU.csdata,"",@progbits
; Kernel info:
; codeLenInByte = 8272
; NumSgprs: 54
; NumVgprs: 218
; ScratchSize: 0
; MemoryBound: 0
; FloatMode: 240
; IeeeMode: 1
; LDSByteSize: 17472 bytes/workgroup (compile time only)
; SGPRBlocks: 6
; VGPRBlocks: 27
; NumSGPRsForWavesPerEU: 54
; NumVGPRsForWavesPerEU: 218
; Occupancy: 6
; WaveLimiterHint : 1
; COMPUTE_PGM_RSRC2:SCRATCH_EN: 0
; COMPUTE_PGM_RSRC2:USER_SGPR: 13
; COMPUTE_PGM_RSRC2:TRAP_HANDLER: 0
; COMPUTE_PGM_RSRC2:TGID_X_EN: 1
; COMPUTE_PGM_RSRC2:TGID_Y_EN: 1
; COMPUTE_PGM_RSRC2:TGID_Z_EN: 1
; COMPUTE_PGM_RSRC2:TIDIG_COMP_CNT: 0
	.section	.text._Z35paged_attention_ll4mi_reduce_kernelIDF16_DF16_Li128ELi128ELi256ELi1EEvPT0_PKfS3_PKT_PKiS8_iS3_,"axG",@progbits,_Z35paged_attention_ll4mi_reduce_kernelIDF16_DF16_Li128ELi128ELi256ELi1EEvPT0_PKfS3_PKT_PKiS8_iS3_,comdat
	.protected	_Z35paged_attention_ll4mi_reduce_kernelIDF16_DF16_Li128ELi128ELi256ELi1EEvPT0_PKfS3_PKT_PKiS8_iS3_ ; -- Begin function _Z35paged_attention_ll4mi_reduce_kernelIDF16_DF16_Li128ELi128ELi256ELi1EEvPT0_PKfS3_PKT_PKiS8_iS3_
	.globl	_Z35paged_attention_ll4mi_reduce_kernelIDF16_DF16_Li128ELi128ELi256ELi1EEvPT0_PKfS3_PKT_PKiS8_iS3_
	.p2align	8
	.type	_Z35paged_attention_ll4mi_reduce_kernelIDF16_DF16_Li128ELi128ELi256ELi1EEvPT0_PKfS3_PKT_PKiS8_iS3_,@function
_Z35paged_attention_ll4mi_reduce_kernelIDF16_DF16_Li128ELi128ELi256ELi1EEvPT0_PKfS3_PKT_PKiS8_iS3_: ; @_Z35paged_attention_ll4mi_reduce_kernelIDF16_DF16_Li128ELi128ELi256ELi1EEvPT0_PKfS3_PKT_PKiS8_iS3_
; %bb.0:
	s_load_b64 s[16:17], s[0:1], 0x28
	s_mov_b32 s12, s15
	s_waitcnt lgkmcnt(0)
	s_cmp_lg_u64 s[16:17], 0
	s_cselect_b32 s15, -1, 0
	s_delay_alu instid0(SALU_CYCLE_1)
	s_and_b32 vcc_lo, exec_lo, s15
	s_cbranch_vccz .LBB266_16
; %bb.1:
	s_add_i32 s2, s12, 1
	s_mov_b32 s3, 0
	s_delay_alu instid0(SALU_CYCLE_1) | instskip(SKIP_4) | instid1(SALU_CYCLE_1)
	s_lshl_b64 s[4:5], s[2:3], 2
	s_mov_b32 s13, s3
	s_add_u32 s4, s16, s4
	s_addc_u32 s5, s17, s5
	s_lshl_b64 s[6:7], s[12:13], 2
	s_add_u32 s6, s16, s6
	s_addc_u32 s7, s17, s7
	s_clause 0x1
	s_load_b32 s2, s[4:5], 0x0
	s_load_b32 s4, s[6:7], 0x0
	s_waitcnt lgkmcnt(0)
	s_sub_i32 s2, s2, s4
	s_delay_alu instid0(SALU_CYCLE_1)
	s_cmp_eq_u32 s2, 1
	s_cselect_b32 s2, -1, 0
	s_cbranch_execnz .LBB266_3
.LBB266_2:
	s_mov_b32 s13, 0
	s_mov_b32 s2, -1
.LBB266_3:
	s_delay_alu instid0(SALU_CYCLE_1)
	s_and_not1_b32 vcc_lo, exec_lo, s2
	s_cbranch_vccz .LBB266_5
; %bb.4:
	s_endpgm
.LBB266_5:
	s_clause 0x1
	s_load_b128 s[4:7], s[0:1], 0x18
	s_load_b32 s8, s[0:1], 0x30
	s_lshl_b64 s[18:19], s[12:13], 2
	s_waitcnt lgkmcnt(0)
	s_add_u32 s2, s6, s18
	s_addc_u32 s3, s7, s19
	s_mov_b32 s7, exec_lo
	s_load_b32 s23, s[2:3], 0x0
	s_load_b32 s22, s[0:1], 0x40
	s_waitcnt lgkmcnt(0)
	s_add_i32 s3, s23, 0xff
	s_delay_alu instid0(SALU_CYCLE_1) | instskip(NEXT) | instid1(SALU_CYCLE_1)
	s_ashr_i32 s2, s3, 31
	s_lshr_b32 s6, s2, 24
	s_mul_i32 s2, s12, s8
	s_add_i32 s3, s3, s6
	s_mul_i32 s6, s14, s8
	v_cmpx_lt_u32_e32 31, v0
	s_xor_b32 s7, exec_lo, s7
	s_delay_alu instid0(SALU_CYCLE_1)
	s_or_saveexec_b32 s24, s7
	v_mov_b32_e32 v1, s6
	s_ashr_i32 s3, s3, 8
	s_mul_i32 s20, s2, s22
	s_xor_b32 exec_lo, exec_lo, s24
	s_cbranch_execz .LBB266_9
; %bb.6:
	s_load_b128 s[8:11], s[0:1], 0x8
	s_mov_b32 s21, 0
	v_cmp_gt_i32_e32 vcc_lo, s3, v0
	s_lshl_b64 s[26:27], s[20:21], 2
	s_mov_b32 s7, s21
	s_waitcnt lgkmcnt(0)
	s_add_u32 s2, s10, s26
	s_addc_u32 s21, s11, s27
	s_lshl_b64 s[10:11], s[6:7], 2
	s_delay_alu instid0(SALU_CYCLE_1) | instskip(SKIP_2) | instid1(SALU_CYCLE_1)
	s_add_u32 s2, s2, s10
	s_addc_u32 s7, s21, s11
	s_add_i32 s21, s3, -1
	v_cndmask_b32_e32 v1, s21, v0, vcc_lo
	s_delay_alu instid0(VALU_DEP_1) | instskip(NEXT) | instid1(VALU_DEP_1)
	v_ashrrev_i32_e32 v2, 31, v1
	v_lshlrev_b64 v[1:2], 2, v[1:2]
	s_delay_alu instid0(VALU_DEP_1) | instskip(NEXT) | instid1(VALU_DEP_1)
	v_add_co_u32 v3, s2, s2, v1
	v_add_co_ci_u32_e64 v4, s2, s7, v2, s2
	s_add_u32 s2, s8, s26
	s_addc_u32 s7, s9, s27
	s_add_u32 s2, s2, s10
	global_load_b32 v3, v[3:4], off
	s_addc_u32 s7, s7, s11
	v_add_co_u32 v1, s2, s2, v1
	s_delay_alu instid0(VALU_DEP_1) | instskip(SKIP_2) | instid1(VALU_DEP_1)
	v_add_co_ci_u32_e64 v2, s2, s7, v2, s2
	global_load_b32 v1, v[1:2], off
	v_mbcnt_lo_u32_b32 v2, -1, 0
	v_xor_b32_e32 v4, 16, v2
	v_xor_b32_e32 v6, 8, v2
	;; [unrolled: 1-line block ×5, first 2 shown]
	v_cmp_gt_i32_e64 s2, 32, v4
	s_delay_alu instid0(VALU_DEP_1) | instskip(SKIP_1) | instid1(VALU_DEP_2)
	v_cndmask_b32_e64 v4, v2, v4, s2
	v_cmp_gt_i32_e64 s2, 32, v6
	v_lshlrev_b32_e32 v4, 2, v4
	s_delay_alu instid0(VALU_DEP_2) | instskip(SKIP_1) | instid1(VALU_DEP_2)
	v_cndmask_b32_e64 v6, v2, v6, s2
	v_cmp_gt_i32_e64 s2, 32, v8
	v_lshlrev_b32_e32 v6, 2, v6
	s_delay_alu instid0(VALU_DEP_2) | instskip(SKIP_1) | instid1(VALU_DEP_2)
	;; [unrolled: 4-line block ×3, first 2 shown]
	v_cndmask_b32_e64 v9, v2, v9, s2
	v_cmp_gt_i32_e64 s2, 32, v10
	v_lshlrev_b32_e32 v9, 2, v9
	s_delay_alu instid0(VALU_DEP_2) | instskip(SKIP_1) | instid1(VALU_DEP_1)
	v_cndmask_b32_e64 v2, v2, v10, s2
	s_waitcnt vmcnt(1)
	v_dual_max_f32 v7, v3, v3 :: v_dual_lshlrev_b32 v2, 2, v2
	ds_bpermute_b32 v5, v4, v3
	s_waitcnt lgkmcnt(0)
	v_max_f32_e32 v5, v5, v5
	s_delay_alu instid0(VALU_DEP_1) | instskip(SKIP_3) | instid1(VALU_DEP_1)
	v_max_f32_e32 v5, v7, v5
	ds_bpermute_b32 v7, v6, v5
	s_waitcnt lgkmcnt(0)
	v_max_f32_e32 v7, v7, v7
	v_max_f32_e32 v5, v5, v7
	ds_bpermute_b32 v7, v8, v5
	s_waitcnt lgkmcnt(0)
	v_max_f32_e32 v7, v7, v7
	s_delay_alu instid0(VALU_DEP_1) | instskip(SKIP_3) | instid1(VALU_DEP_1)
	v_max_f32_e32 v5, v5, v7
	ds_bpermute_b32 v7, v9, v5
	s_waitcnt lgkmcnt(0)
	v_max_f32_e32 v7, v7, v7
	v_max_f32_e32 v5, v5, v7
	ds_bpermute_b32 v7, v2, v5
	s_waitcnt lgkmcnt(0)
	v_max_f32_e32 v7, v7, v7
	s_delay_alu instid0(VALU_DEP_1) | instskip(NEXT) | instid1(VALU_DEP_1)
	v_max_f32_e32 v5, v5, v7
	v_sub_f32_e32 v3, v3, v5
	s_delay_alu instid0(VALU_DEP_1) | instskip(SKIP_1) | instid1(VALU_DEP_2)
	v_mul_f32_e32 v5, 0x3fb8aa3b, v3
	v_cmp_ngt_f32_e64 s2, 0xc2ce8ed0, v3
	v_fma_f32 v7, 0x3fb8aa3b, v3, -v5
	v_rndne_f32_e32 v10, v5
	s_delay_alu instid0(VALU_DEP_2) | instskip(NEXT) | instid1(VALU_DEP_2)
	v_fmamk_f32 v7, v3, 0x32a5705f, v7
	v_sub_f32_e32 v5, v5, v10
	s_delay_alu instid0(VALU_DEP_1) | instskip(SKIP_1) | instid1(VALU_DEP_2)
	v_add_f32_e32 v5, v5, v7
	v_cvt_i32_f32_e32 v7, v10
	v_exp_f32_e32 v5, v5
	s_waitcnt_depctr 0xfff
	v_ldexp_f32 v5, v5, v7
	s_delay_alu instid0(VALU_DEP_1) | instskip(SKIP_1) | instid1(VALU_DEP_1)
	v_cndmask_b32_e64 v5, 0, v5, s2
	v_cmp_nlt_f32_e64 s2, 0x42b17218, v3
	v_cndmask_b32_e64 v3, 0x7f800000, v5, s2
	s_mov_b32 s2, exec_lo
	s_delay_alu instid0(VALU_DEP_1) | instskip(SKIP_1) | instid1(VALU_DEP_1)
	v_cndmask_b32_e32 v3, 0, v3, vcc_lo
	s_waitcnt vmcnt(0)
	v_mul_f32_e32 v3, v3, v1
	ds_bpermute_b32 v1, v4, v3
	s_waitcnt lgkmcnt(0)
	v_add_f32_e32 v1, v3, v1
	ds_bpermute_b32 v4, v6, v1
	s_waitcnt lgkmcnt(0)
	v_add_f32_e32 v1, v1, v4
	;; [unrolled: 3-line block ×4, first 2 shown]
	v_lshlrev_b32_e32 v4, 2, v0
	ds_bpermute_b32 v2, v2, v1
	ds_store_b32 v4, v3
	v_cmpx_eq_u32_e32 0, v0
	s_cbranch_execz .LBB266_8
; %bb.7:
	s_waitcnt lgkmcnt(1)
	v_dual_add_f32 v1, v1, v2 :: v_dual_mov_b32 v2, 0
	ds_store_b32 v2, v1 offset:128
.LBB266_8:
	s_or_b32 exec_lo, exec_lo, s2
	v_mov_b32_e32 v1, s6
.LBB266_9:
	s_or_b32 exec_lo, exec_lo, s24
	s_lshl_b32 s6, s20, 7
	s_mov_b32 s7, 0
	s_waitcnt lgkmcnt(1)
	v_dual_mov_b32 v2, 0 :: v_dual_lshlrev_b32 v1, 7, v1
	s_lshl_b64 s[6:7], s[6:7], 1
	v_lshlrev_b32_e32 v0, 1, v0
	s_add_u32 s9, s4, s6
	s_addc_u32 s33, s5, s7
	s_lshl_b32 s8, s3, 7
	v_lshlrev_b64 v[3:4], 1, v[1:2]
	s_addk_i32 s8, 0xff80
	s_cmp_lt_i32 s23, 1
	v_dual_mov_b32 v30, 0 :: v_dual_mov_b32 v33, 0
	s_cselect_b32 s2, s8, 0
	s_delay_alu instid0(VALU_DEP_2)
	v_add_co_u32 v1, vcc_lo, s9, v3
	s_ashr_i32 s3, s2, 31
	v_add_co_ci_u32_e32 v3, vcc_lo, s33, v4, vcc_lo
	s_lshl_b64 s[2:3], s[2:3], 1
	s_cmpk_lt_i32 s23, 0x101
	v_add_co_u32 v10, vcc_lo, v1, v0
	s_cselect_b32 s4, s8, 0x80
	v_add_co_ci_u32_e32 v11, vcc_lo, 0, v3, vcc_lo
	s_ashr_i32 s5, s4, 31
	s_delay_alu instid0(VALU_DEP_2)
	v_add_co_u32 v3, vcc_lo, v10, s2
	s_lshl_b64 s[4:5], s[4:5], 1
	s_cmpk_lt_i32 s23, 0x201
	v_add_co_ci_u32_e32 v4, vcc_lo, s3, v11, vcc_lo
	s_cselect_b32 s6, s8, 0x100
	v_add_co_u32 v6, vcc_lo, v10, s4
	s_ashr_i32 s7, s6, 31
	v_add_co_ci_u32_e32 v7, vcc_lo, s5, v11, vcc_lo
	s_lshl_b64 s[6:7], s[6:7], 1
	s_cmpk_lt_i32 s23, 0x301
	v_add_co_u32 v8, vcc_lo, v10, s6
	s_cselect_b32 s10, s8, 0x180
	v_add_co_ci_u32_e32 v9, vcc_lo, s7, v11, vcc_lo
	s_ashr_i32 s11, s10, 31
	v_dual_mov_b32 v32, 0 :: v_dual_mov_b32 v35, 0
	s_lshl_b64 s[10:11], s[10:11], 1
	s_cmpk_lt_i32 s23, 0x401
	v_add_co_u32 v12, vcc_lo, v10, s10
	s_cselect_b32 s20, s8, 0x200
	v_add_co_ci_u32_e32 v13, vcc_lo, s11, v11, vcc_lo
	s_ashr_i32 s21, s20, 31
	v_mov_b32_e32 v34, 0
	s_lshl_b64 s[20:21], s[20:21], 1
	s_cmpk_lt_i32 s23, 0x501
	v_add_co_u32 v14, vcc_lo, v10, s20
	s_cselect_b32 s24, s8, 0x280
	v_add_co_ci_u32_e32 v15, vcc_lo, s21, v11, vcc_lo
	s_ashr_i32 s25, s24, 31
	v_mov_b32_e32 v31, 0
	s_lshl_b64 s[24:25], s[24:25], 1
	s_cmpk_lt_i32 s23, 0x601
	v_add_co_u32 v16, vcc_lo, v10, s24
	s_cselect_b32 s26, s8, 0x300
	v_add_co_ci_u32_e32 v17, vcc_lo, s25, v11, vcc_lo
	s_ashr_i32 s27, s26, 31
	s_delay_alu instid0(SALU_CYCLE_1)
	s_lshl_b64 s[26:27], s[26:27], 1
	s_cmpk_lt_i32 s23, 0x701
	v_add_co_u32 v18, vcc_lo, v10, s26
	s_cselect_b32 s28, s8, 0x380
	v_add_co_ci_u32_e32 v19, vcc_lo, s27, v11, vcc_lo
	s_ashr_i32 s29, s28, 31
	s_delay_alu instid0(SALU_CYCLE_1)
	s_lshl_b64 s[28:29], s[28:29], 1
	s_cmpk_lt_i32 s23, 0x801
	v_add_co_u32 v20, vcc_lo, v10, s28
	s_cselect_b32 s30, s8, 0x400
	v_add_co_ci_u32_e32 v21, vcc_lo, s29, v11, vcc_lo
	s_ashr_i32 s31, s30, 31
	s_clause 0x7
	global_load_u16 v5, v[3:4], off
	global_load_u16 v6, v[6:7], off
	;; [unrolled: 1-line block ×8, first 2 shown]
	s_lshl_b64 s[30:31], s[30:31], 1
	s_cmpk_lt_i32 s23, 0x901
	v_add_co_u32 v12, vcc_lo, v10, s30
	s_cselect_b32 s34, s8, 0x480
	v_add_co_ci_u32_e32 v13, vcc_lo, s31, v11, vcc_lo
	s_ashr_i32 s35, s34, 31
	s_delay_alu instid0(SALU_CYCLE_1)
	s_lshl_b64 s[34:35], s[34:35], 1
	s_cmpk_lt_i32 s23, 0xa01
	v_add_co_u32 v14, vcc_lo, v10, s34
	s_cselect_b32 s36, s8, 0x500
	v_add_co_ci_u32_e32 v15, vcc_lo, s35, v11, vcc_lo
	s_ashr_i32 s37, s36, 31
	s_delay_alu instid0(SALU_CYCLE_1)
	;; [unrolled: 7-line block ×7, first 2 shown]
	s_lshl_b64 s[2:3], s[4:5], 1
	s_cmpk_gt_i32 s23, 0x1000
	v_add_co_u32 v28, vcc_lo, v10, s2
	v_add_co_ci_u32_e32 v29, vcc_lo, s3, v11, vcc_lo
	s_clause 0x7
	global_load_u16 v16, v[12:13], off
	global_load_u16 v17, v[14:15], off
	;; [unrolled: 1-line block ×8, first 2 shown]
	v_dual_mov_b32 v20, 0 :: v_dual_mov_b32 v23, 0
	v_dual_mov_b32 v21, 0 :: v_dual_mov_b32 v22, 0
	;; [unrolled: 1-line block ×5, first 2 shown]
	s_cselect_b32 s4, -1, 0
	s_cmpk_lt_i32 s23, 0x1001
	s_waitcnt vmcnt(0) lgkmcnt(0)
	s_barrier
	buffer_gl0_inv
	s_cbranch_scc1 .LBB266_11
; %bb.10:
	s_cmpk_lt_u32 s23, 0x1101
	v_add_co_u32 v20, vcc_lo, 0x1000, v10
	s_cselect_b32 s2, s8, 0x880
	v_add_co_ci_u32_e32 v21, vcc_lo, 0, v11, vcc_lo
	s_ashr_i32 s3, s2, 31
	s_delay_alu instid0(SALU_CYCLE_1)
	s_lshl_b64 s[2:3], s[2:3], 1
	s_cmpk_lt_u32 s23, 0x1201
	v_add_co_u32 v22, vcc_lo, v10, s2
	s_cselect_b32 s6, s8, 0x900
	v_add_co_ci_u32_e32 v23, vcc_lo, s3, v11, vcc_lo
	s_ashr_i32 s7, s6, 31
	s_delay_alu instid0(SALU_CYCLE_1)
	s_lshl_b64 s[6:7], s[6:7], 1
	;; [unrolled: 7-line block ×7, first 2 shown]
	s_cmpk_lt_u32 s23, 0x1801
	v_add_co_u32 v34, vcc_lo, v10, s28
	s_cselect_b32 s30, s8, 0xc00
	v_add_co_ci_u32_e32 v35, vcc_lo, s29, v11, vcc_lo
	s_ashr_i32 s31, s30, 31
	s_clause 0x7
	global_load_u16 v36, v[20:21], off
	global_load_u16 v37, v[22:23], off
	;; [unrolled: 1-line block ×8, first 2 shown]
	s_lshl_b64 s[30:31], s[30:31], 1
	s_cmpk_lt_u32 s23, 0x1901
	v_add_co_u32 v20, vcc_lo, v10, s30
	s_cselect_b32 s34, s8, 0xc80
	v_add_co_ci_u32_e32 v21, vcc_lo, s31, v11, vcc_lo
	s_ashr_i32 s35, s34, 31
	s_delay_alu instid0(SALU_CYCLE_1)
	s_lshl_b64 s[34:35], s[34:35], 1
	s_cmpk_lt_u32 s23, 0x1a01
	v_add_co_u32 v22, vcc_lo, v10, s34
	s_cselect_b32 s36, s8, 0xd00
	v_add_co_ci_u32_e32 v23, vcc_lo, s35, v11, vcc_lo
	s_ashr_i32 s37, s36, 31
	s_delay_alu instid0(SALU_CYCLE_1)
	s_lshl_b64 s[36:37], s[36:37], 1
	s_cmpk_lt_u32 s23, 0x1b01
	v_add_co_u32 v24, vcc_lo, v10, s36
	s_cselect_b32 s2, s8, 0xd80
	v_add_co_ci_u32_e32 v25, vcc_lo, s37, v11, vcc_lo
	s_ashr_i32 s3, s2, 31
	s_delay_alu instid0(SALU_CYCLE_1)
	s_lshl_b64 s[2:3], s[2:3], 1
	s_cmpk_lt_u32 s23, 0x1c01
	v_add_co_u32 v26, vcc_lo, v10, s2
	s_cselect_b32 s6, s8, 0xe00
	v_add_co_ci_u32_e32 v27, vcc_lo, s3, v11, vcc_lo
	s_ashr_i32 s7, s6, 31
	s_delay_alu instid0(SALU_CYCLE_1)
	s_lshl_b64 s[6:7], s[6:7], 1
	s_cmpk_lt_u32 s23, 0x1d01
	v_add_co_u32 v28, vcc_lo, v10, s6
	s_cselect_b32 s10, s8, 0xe80
	v_add_co_ci_u32_e32 v29, vcc_lo, s7, v11, vcc_lo
	s_ashr_i32 s11, s10, 31
	s_delay_alu instid0(SALU_CYCLE_1)
	s_lshl_b64 s[10:11], s[10:11], 1
	s_cmpk_lt_u32 s23, 0x1e01
	v_add_co_u32 v30, vcc_lo, v10, s10
	s_cselect_b32 s20, s8, 0xf00
	v_add_co_ci_u32_e32 v31, vcc_lo, s11, v11, vcc_lo
	s_ashr_i32 s21, s20, 31
	s_delay_alu instid0(SALU_CYCLE_1)
	s_lshl_b64 s[2:3], s[20:21], 1
	s_cmpk_lt_u32 s23, 0x1f01
	v_add_co_u32 v32, vcc_lo, v10, s2
	s_cselect_b32 s6, s8, 0xf80
	v_add_co_ci_u32_e32 v33, vcc_lo, s3, v11, vcc_lo
	s_ashr_i32 s7, s6, 31
	s_delay_alu instid0(SALU_CYCLE_1) | instskip(NEXT) | instid1(SALU_CYCLE_1)
	s_lshl_b64 s[2:3], s[6:7], 1
	v_add_co_u32 v10, vcc_lo, v10, s2
	v_add_co_ci_u32_e32 v11, vcc_lo, s3, v11, vcc_lo
	s_clause 0x7
	global_load_u16 v20, v[20:21], off
	global_load_u16 v21, v[22:23], off
	;; [unrolled: 1-line block ×8, first 2 shown]
	s_waitcnt vmcnt(15)
	v_cvt_f32_f16_e32 v35, v36
	s_waitcnt vmcnt(14)
	v_cvt_f32_f16_e32 v34, v37
	;; [unrolled: 2-line block ×16, first 2 shown]
.LBB266_11:
	ds_load_b128 v[36:39], v2
	ds_load_b128 v[40:43], v2 offset:16
	s_load_b64 s[0:1], s[0:1], 0x0
	s_and_not1_b32 vcc_lo, exec_lo, s4
	s_waitcnt lgkmcnt(0)
	v_fma_mix_f32 v5, v36, v5, 0 op_sel_hi:[0,1,0]
	s_delay_alu instid0(VALU_DEP_1) | instskip(NEXT) | instid1(VALU_DEP_1)
	v_fma_mix_f32 v5, v37, v6, v5 op_sel_hi:[0,1,0]
	v_fma_mix_f32 v5, v38, v7, v5 op_sel_hi:[0,1,0]
	s_delay_alu instid0(VALU_DEP_1) | instskip(SKIP_4) | instid1(VALU_DEP_1)
	v_fma_mix_f32 v5, v39, v8, v5 op_sel_hi:[0,1,0]
	ds_load_b128 v[36:39], v2 offset:48
	v_fma_mix_f32 v9, v40, v9, v5 op_sel_hi:[0,1,0]
	ds_load_b128 v[5:8], v2 offset:32
	v_fma_mix_f32 v1, v41, v1, v9 op_sel_hi:[0,1,0]
	v_fma_mix_f32 v1, v42, v3, v1 op_sel_hi:[0,1,0]
	s_delay_alu instid0(VALU_DEP_1) | instskip(SKIP_1) | instid1(VALU_DEP_1)
	v_fma_mix_f32 v1, v43, v4, v1 op_sel_hi:[0,1,0]
	s_waitcnt lgkmcnt(0)
	v_fma_mix_f32 v1, v5, v16, v1 op_sel_hi:[0,1,0]
	s_delay_alu instid0(VALU_DEP_1) | instskip(NEXT) | instid1(VALU_DEP_1)
	v_fma_mix_f32 v1, v6, v17, v1 op_sel_hi:[0,1,0]
	v_fma_mix_f32 v1, v7, v18, v1 op_sel_hi:[0,1,0]
	s_delay_alu instid0(VALU_DEP_1) | instskip(NEXT) | instid1(VALU_DEP_1)
	v_fma_mix_f32 v1, v8, v19, v1 op_sel_hi:[0,1,0]
	;; [unrolled: 3-line block ×3, first 2 shown]
	v_fma_mix_f32 v1, v38, v12, v1 op_sel_hi:[0,1,0]
	s_delay_alu instid0(VALU_DEP_1)
	v_fma_mix_f32 v1, v39, v13, v1 op_sel_hi:[0,1,0]
	s_cbranch_vccnz .LBB266_13
; %bb.12:
	ds_load_b128 v[3:6], v2 offset:64
	ds_load_b128 v[7:10], v2 offset:80
	s_waitcnt lgkmcnt(1)
	v_fmac_f32_e32 v1, v3, v35
	s_delay_alu instid0(VALU_DEP_1) | instskip(NEXT) | instid1(VALU_DEP_1)
	v_fmac_f32_e32 v1, v4, v34
	v_fmac_f32_e32 v1, v5, v33
	s_delay_alu instid0(VALU_DEP_1) | instskip(SKIP_3) | instid1(VALU_DEP_1)
	v_fmac_f32_e32 v1, v6, v32
	ds_load_b128 v[3:6], v2 offset:96
	s_waitcnt lgkmcnt(1)
	v_fmac_f32_e32 v1, v7, v31
	v_fmac_f32_e32 v1, v8, v30
	s_delay_alu instid0(VALU_DEP_1) | instskip(NEXT) | instid1(VALU_DEP_1)
	v_fmac_f32_e32 v1, v9, v29
	v_fmac_f32_e32 v1, v10, v28
	ds_load_b128 v[7:10], v2 offset:112
	s_waitcnt lgkmcnt(1)
	v_fmac_f32_e32 v1, v3, v27
	s_delay_alu instid0(VALU_DEP_1) | instskip(NEXT) | instid1(VALU_DEP_1)
	v_fmac_f32_e32 v1, v4, v26
	v_fmac_f32_e32 v1, v5, v25
	s_delay_alu instid0(VALU_DEP_1) | instskip(SKIP_1) | instid1(VALU_DEP_1)
	v_fmac_f32_e32 v1, v6, v24
	s_waitcnt lgkmcnt(0)
	v_fmac_f32_e32 v1, v7, v23
	s_delay_alu instid0(VALU_DEP_1) | instskip(NEXT) | instid1(VALU_DEP_1)
	v_fmac_f32_e32 v1, v8, v22
	v_fmac_f32_e32 v1, v9, v21
	s_delay_alu instid0(VALU_DEP_1)
	v_fmac_f32_e32 v1, v10, v20
.LBB266_13:
	ds_load_b32 v2, v2 offset:128
	s_and_not1_b32 vcc_lo, exec_lo, s15
	s_cbranch_vccnz .LBB266_15
; %bb.14:
	s_add_u32 s2, s16, s18
	s_addc_u32 s3, s17, s19
	s_mov_b32 s13, 0
	s_load_b32 s12, s[2:3], 0x0
.LBB266_15:
	s_waitcnt lgkmcnt(0)
	v_add_f32_e32 v2, 0x358637bd, v2
	s_mul_i32 s2, s22, s13
	s_mul_hi_u32 s3, s22, s12
	s_mov_b32 s15, 0
	s_add_i32 s3, s3, s2
	v_div_scale_f32 v3, null, v2, v2, 1.0
	s_mul_i32 s2, s22, s12
	s_delay_alu instid0(SALU_CYCLE_1) | instskip(NEXT) | instid1(VALU_DEP_1)
	s_lshl_b64 s[2:3], s[2:3], 8
	v_rcp_f32_e32 v4, v3
	s_add_u32 s2, s0, s2
	s_addc_u32 s3, s1, s3
	s_lshl_b64 s[0:1], s[14:15], 8
	s_delay_alu instid0(SALU_CYCLE_1) | instskip(SKIP_3) | instid1(VALU_DEP_1)
	s_add_u32 s0, s2, s0
	s_addc_u32 s1, s3, s1
	s_waitcnt_depctr 0xfff
	v_fma_f32 v5, -v3, v4, 1.0
	v_fmac_f32_e32 v4, v5, v4
	v_div_scale_f32 v5, vcc_lo, 1.0, v2, 1.0
	s_delay_alu instid0(VALU_DEP_1) | instskip(NEXT) | instid1(VALU_DEP_1)
	v_mul_f32_e32 v6, v5, v4
	v_fma_f32 v7, -v3, v6, v5
	s_delay_alu instid0(VALU_DEP_1) | instskip(NEXT) | instid1(VALU_DEP_1)
	v_fmac_f32_e32 v6, v7, v4
	v_fma_f32 v3, -v3, v6, v5
	s_delay_alu instid0(VALU_DEP_1) | instskip(NEXT) | instid1(VALU_DEP_1)
	v_div_fmas_f32 v3, v3, v4, v6
	v_div_fixup_f32 v2, v3, v2, 1.0
	s_delay_alu instid0(VALU_DEP_1)
	v_fma_mixlo_f16 v1, v1, v2, 0
	global_store_b16 v0, v1, s[0:1]
	s_nop 0
	s_sendmsg sendmsg(MSG_DEALLOC_VGPRS)
	s_endpgm
.LBB266_16:
	s_mov_b32 s2, 0
	s_branch .LBB266_2
	.section	.rodata,"a",@progbits
	.p2align	6, 0x0
	.amdhsa_kernel _Z35paged_attention_ll4mi_reduce_kernelIDF16_DF16_Li128ELi128ELi256ELi1EEvPT0_PKfS3_PKT_PKiS8_iS3_
		.amdhsa_group_segment_fixed_size 132
		.amdhsa_private_segment_fixed_size 0
		.amdhsa_kernarg_size 320
		.amdhsa_user_sgpr_count 14
		.amdhsa_user_sgpr_dispatch_ptr 0
		.amdhsa_user_sgpr_queue_ptr 0
		.amdhsa_user_sgpr_kernarg_segment_ptr 1
		.amdhsa_user_sgpr_dispatch_id 0
		.amdhsa_user_sgpr_private_segment_size 0
		.amdhsa_wavefront_size32 1
		.amdhsa_uses_dynamic_stack 0
		.amdhsa_enable_private_segment 0
		.amdhsa_system_sgpr_workgroup_id_x 1
		.amdhsa_system_sgpr_workgroup_id_y 1
		.amdhsa_system_sgpr_workgroup_id_z 0
		.amdhsa_system_sgpr_workgroup_info 0
		.amdhsa_system_vgpr_workitem_id 0
		.amdhsa_next_free_vgpr 47
		.amdhsa_next_free_sgpr 38
		.amdhsa_reserve_vcc 1
		.amdhsa_float_round_mode_32 0
		.amdhsa_float_round_mode_16_64 0
		.amdhsa_float_denorm_mode_32 3
		.amdhsa_float_denorm_mode_16_64 3
		.amdhsa_dx10_clamp 1
		.amdhsa_ieee_mode 1
		.amdhsa_fp16_overflow 0
		.amdhsa_workgroup_processor_mode 1
		.amdhsa_memory_ordered 1
		.amdhsa_forward_progress 0
		.amdhsa_shared_vgpr_count 0
		.amdhsa_exception_fp_ieee_invalid_op 0
		.amdhsa_exception_fp_denorm_src 0
		.amdhsa_exception_fp_ieee_div_zero 0
		.amdhsa_exception_fp_ieee_overflow 0
		.amdhsa_exception_fp_ieee_underflow 0
		.amdhsa_exception_fp_ieee_inexact 0
		.amdhsa_exception_int_div_zero 0
	.end_amdhsa_kernel
	.section	.text._Z35paged_attention_ll4mi_reduce_kernelIDF16_DF16_Li128ELi128ELi256ELi1EEvPT0_PKfS3_PKT_PKiS8_iS3_,"axG",@progbits,_Z35paged_attention_ll4mi_reduce_kernelIDF16_DF16_Li128ELi128ELi256ELi1EEvPT0_PKfS3_PKT_PKiS8_iS3_,comdat
.Lfunc_end266:
	.size	_Z35paged_attention_ll4mi_reduce_kernelIDF16_DF16_Li128ELi128ELi256ELi1EEvPT0_PKfS3_PKT_PKiS8_iS3_, .Lfunc_end266-_Z35paged_attention_ll4mi_reduce_kernelIDF16_DF16_Li128ELi128ELi256ELi1EEvPT0_PKfS3_PKT_PKiS8_iS3_
                                        ; -- End function
	.section	.AMDGPU.csdata,"",@progbits
; Kernel info:
; codeLenInByte = 3212
; NumSgprs: 40
; NumVgprs: 47
; ScratchSize: 0
; MemoryBound: 0
; FloatMode: 240
; IeeeMode: 1
; LDSByteSize: 132 bytes/workgroup (compile time only)
; SGPRBlocks: 4
; VGPRBlocks: 5
; NumSGPRsForWavesPerEU: 40
; NumVGPRsForWavesPerEU: 47
; Occupancy: 16
; WaveLimiterHint : 1
; COMPUTE_PGM_RSRC2:SCRATCH_EN: 0
; COMPUTE_PGM_RSRC2:USER_SGPR: 14
; COMPUTE_PGM_RSRC2:TRAP_HANDLER: 0
; COMPUTE_PGM_RSRC2:TGID_X_EN: 1
; COMPUTE_PGM_RSRC2:TGID_Y_EN: 1
; COMPUTE_PGM_RSRC2:TGID_Z_EN: 0
; COMPUTE_PGM_RSRC2:TIDIG_COMP_CNT: 0
	.section	.text._Z35paged_attention_ll4mi_reduce_kernelIDF16_DF16_Li128ELi128ELi256ELi2EEvPT0_PKfS3_PKT_PKiS8_iS3_,"axG",@progbits,_Z35paged_attention_ll4mi_reduce_kernelIDF16_DF16_Li128ELi128ELi256ELi2EEvPT0_PKfS3_PKT_PKiS8_iS3_,comdat
	.protected	_Z35paged_attention_ll4mi_reduce_kernelIDF16_DF16_Li128ELi128ELi256ELi2EEvPT0_PKfS3_PKT_PKiS8_iS3_ ; -- Begin function _Z35paged_attention_ll4mi_reduce_kernelIDF16_DF16_Li128ELi128ELi256ELi2EEvPT0_PKfS3_PKT_PKiS8_iS3_
	.globl	_Z35paged_attention_ll4mi_reduce_kernelIDF16_DF16_Li128ELi128ELi256ELi2EEvPT0_PKfS3_PKT_PKiS8_iS3_
	.p2align	8
	.type	_Z35paged_attention_ll4mi_reduce_kernelIDF16_DF16_Li128ELi128ELi256ELi2EEvPT0_PKfS3_PKT_PKiS8_iS3_,@function
_Z35paged_attention_ll4mi_reduce_kernelIDF16_DF16_Li128ELi128ELi256ELi2EEvPT0_PKfS3_PKT_PKiS8_iS3_: ; @_Z35paged_attention_ll4mi_reduce_kernelIDF16_DF16_Li128ELi128ELi256ELi2EEvPT0_PKfS3_PKT_PKiS8_iS3_
; %bb.0:
	s_load_b64 s[12:13], s[0:1], 0x28
	s_mov_b32 s2, s15
	s_waitcnt lgkmcnt(0)
	s_cmp_lg_u64 s[12:13], 0
	s_cselect_b32 s15, -1, 0
	s_delay_alu instid0(SALU_CYCLE_1)
	s_and_b32 vcc_lo, exec_lo, s15
	s_cbranch_vccz .LBB267_16
; %bb.1:
	s_add_i32 s4, s2, 1
	s_mov_b32 s5, 0
	s_delay_alu instid0(SALU_CYCLE_1) | instskip(SKIP_4) | instid1(SALU_CYCLE_1)
	s_lshl_b64 s[6:7], s[4:5], 2
	s_mov_b32 s3, s5
	s_add_u32 s6, s12, s6
	s_addc_u32 s7, s13, s7
	s_lshl_b64 s[8:9], s[2:3], 2
	s_add_u32 s8, s12, s8
	s_addc_u32 s9, s13, s9
	s_clause 0x1
	s_load_b32 s4, s[6:7], 0x0
	s_load_b32 s6, s[8:9], 0x0
	s_waitcnt lgkmcnt(0)
	s_sub_i32 s4, s4, s6
	s_delay_alu instid0(SALU_CYCLE_1)
	s_cmp_eq_u32 s4, 1
	s_cselect_b32 s4, -1, 0
	s_cbranch_execnz .LBB267_3
.LBB267_2:
	s_mov_b32 s3, 0
	s_mov_b32 s4, -1
.LBB267_3:
	s_delay_alu instid0(SALU_CYCLE_1)
	s_and_not1_b32 vcc_lo, exec_lo, s4
	s_cbranch_vccz .LBB267_5
; %bb.4:
	s_endpgm
.LBB267_5:
	s_clause 0x1
	s_load_b128 s[4:7], s[0:1], 0x18
	s_load_b32 s9, s[0:1], 0x30
	s_lshl_b64 s[16:17], s[2:3], 2
	s_waitcnt lgkmcnt(0)
	s_add_u32 s6, s6, s16
	s_addc_u32 s7, s7, s17
	s_load_b32 s20, s[6:7], 0x0
	s_load_b32 s33, s[0:1], 0x40
	s_mul_i32 s7, s2, s9
	s_waitcnt lgkmcnt(0)
	s_add_i32 s50, s20, 0xff
	s_delay_alu instid0(SALU_CYCLE_1) | instskip(NEXT) | instid1(SALU_CYCLE_1)
	s_ashr_i32 s6, s50, 31
	s_lshr_b32 s6, s6, 24
	s_delay_alu instid0(SALU_CYCLE_1) | instskip(SKIP_4) | instid1(SALU_CYCLE_1)
	s_add_i32 s8, s50, s6
	s_mul_i32 s6, s14, s9
	s_mov_b32 s9, exec_lo
	v_cmpx_lt_u32_e32 31, v0
	s_xor_b32 s9, exec_lo, s9
	s_or_saveexec_b32 s22, s9
	v_mov_b32_e32 v1, s6
	s_ashr_i32 s21, s8, 8
	s_mul_i32 s18, s7, s33
	s_xor_b32 exec_lo, exec_lo, s22
	s_cbranch_execz .LBB267_9
; %bb.6:
	v_or_b32_e32 v1, 32, v0
	s_load_b128 s[8:11], s[0:1], 0x8
	s_add_i32 s7, s21, -1
	s_mov_b32 s19, 0
	s_delay_alu instid0(SALU_CYCLE_1) | instskip(SKIP_3) | instid1(VALU_DEP_2)
	s_lshl_b64 s[24:25], s[18:19], 2
	v_cmp_gt_i32_e32 vcc_lo, s21, v1
	v_cndmask_b32_e32 v1, s7, v1, vcc_lo
	v_cmp_gt_i32_e32 vcc_lo, s21, v0
	v_ashrrev_i32_e32 v2, 31, v1
	v_cndmask_b32_e32 v3, s7, v0, vcc_lo
	s_mov_b32 s7, s19
	s_delay_alu instid0(VALU_DEP_2) | instskip(NEXT) | instid1(VALU_DEP_2)
	v_lshlrev_b64 v[1:2], 2, v[1:2]
	v_ashrrev_i32_e32 v4, 31, v3
	s_waitcnt lgkmcnt(0)
	s_add_u32 s19, s10, s24
	s_addc_u32 s23, s11, s25
	s_lshl_b64 s[10:11], s[6:7], 2
	v_lshlrev_b64 v[3:4], 2, v[3:4]
	s_add_u32 s7, s19, s10
	s_addc_u32 s19, s23, s11
	v_add_co_u32 v5, vcc_lo, s7, v1
	v_add_co_ci_u32_e32 v6, vcc_lo, s19, v2, vcc_lo
	s_delay_alu instid0(VALU_DEP_3)
	v_add_co_u32 v7, vcc_lo, s7, v3
	v_add_co_ci_u32_e32 v8, vcc_lo, s19, v4, vcc_lo
	s_clause 0x1
	global_load_b32 v5, v[5:6], off
	global_load_b32 v6, v[7:8], off
	s_add_u32 s7, s8, s24
	s_addc_u32 s8, s9, s25
	s_add_u32 s7, s7, s10
	s_addc_u32 s8, s8, s11
	v_add_co_u32 v3, vcc_lo, s7, v3
	v_add_co_ci_u32_e32 v4, vcc_lo, s8, v4, vcc_lo
	v_add_co_u32 v1, vcc_lo, s7, v1
	v_add_co_ci_u32_e32 v2, vcc_lo, s8, v2, vcc_lo
	s_clause 0x1
	global_load_b32 v3, v[3:4], off
	global_load_b32 v1, v[1:2], off
	v_mbcnt_lo_u32_b32 v2, -1, 0
	s_mov_b32 s7, exec_lo
	s_delay_alu instid0(VALU_DEP_1)
	v_xor_b32_e32 v4, 16, v2
	v_xor_b32_e32 v9, 8, v2
	;; [unrolled: 1-line block ×5, first 2 shown]
	v_cmp_gt_i32_e32 vcc_lo, 32, v4
	v_cndmask_b32_e32 v4, v2, v4, vcc_lo
	v_cmp_gt_i32_e32 vcc_lo, 32, v9
	s_waitcnt vmcnt(2)
	v_dual_max_f32 v7, v5, v5 :: v_dual_max_f32 v8, v6, v6
	s_delay_alu instid0(VALU_DEP_1)
	v_dual_max_f32 v7, v8, v7 :: v_dual_lshlrev_b32 v4, 2, v4
	ds_bpermute_b32 v8, v4, v7
	v_cndmask_b32_e32 v9, v2, v9, vcc_lo
	v_cmp_gt_i32_e32 vcc_lo, 32, v10
	v_cndmask_b32_e32 v10, v2, v10, vcc_lo
	v_cmp_gt_i32_e32 vcc_lo, 32, v11
	s_delay_alu instid0(VALU_DEP_2) | instskip(SKIP_1) | instid1(VALU_DEP_2)
	v_dual_cndmask_b32 v11, v2, v11 :: v_dual_lshlrev_b32 v10, 2, v10
	v_cmp_gt_i32_e32 vcc_lo, 32, v12
	v_dual_cndmask_b32 v2, v2, v12 :: v_dual_lshlrev_b32 v11, 2, v11
	s_waitcnt lgkmcnt(0)
	v_dual_max_f32 v8, v8, v8 :: v_dual_lshlrev_b32 v9, 2, v9
	s_delay_alu instid0(VALU_DEP_1) | instskip(SKIP_3) | instid1(VALU_DEP_1)
	v_dual_max_f32 v7, v7, v8 :: v_dual_lshlrev_b32 v2, 2, v2
	ds_bpermute_b32 v8, v9, v7
	s_waitcnt lgkmcnt(0)
	v_max_f32_e32 v8, v8, v8
	v_max_f32_e32 v7, v7, v8
	ds_bpermute_b32 v8, v10, v7
	s_waitcnt lgkmcnt(0)
	v_max_f32_e32 v8, v8, v8
	s_delay_alu instid0(VALU_DEP_1) | instskip(SKIP_3) | instid1(VALU_DEP_1)
	v_max_f32_e32 v7, v7, v8
	ds_bpermute_b32 v8, v11, v7
	s_waitcnt lgkmcnt(0)
	v_max_f32_e32 v8, v8, v8
	v_max_f32_e32 v7, v7, v8
	ds_bpermute_b32 v8, v2, v7
	s_waitcnt lgkmcnt(0)
	v_max_f32_e32 v8, v8, v8
	s_delay_alu instid0(VALU_DEP_1) | instskip(NEXT) | instid1(VALU_DEP_1)
	v_max_f32_e32 v7, v7, v8
	v_sub_f32_e32 v5, v5, v7
	s_delay_alu instid0(VALU_DEP_1) | instskip(NEXT) | instid1(VALU_DEP_1)
	v_mul_f32_e32 v8, 0x3fb8aa3b, v5
	v_rndne_f32_e32 v15, v8
	v_fma_f32 v14, 0x3fb8aa3b, v5, -v8
	s_delay_alu instid0(VALU_DEP_2) | instskip(SKIP_1) | instid1(VALU_DEP_3)
	v_sub_f32_e32 v8, v8, v15
	v_sub_f32_e32 v6, v6, v7
	v_fmac_f32_e32 v14, 0x32a5705f, v5
	s_delay_alu instid0(VALU_DEP_2) | instskip(NEXT) | instid1(VALU_DEP_1)
	v_mul_f32_e32 v7, 0x3fb8aa3b, v6
	v_fma_f32 v12, 0x3fb8aa3b, v6, -v7
	v_rndne_f32_e32 v13, v7
	s_delay_alu instid0(VALU_DEP_1) | instskip(NEXT) | instid1(VALU_DEP_1)
	v_dual_fmac_f32 v12, 0x32a5705f, v6 :: v_dual_sub_f32 v7, v7, v13
	v_add_f32_e32 v7, v7, v12
	v_cvt_i32_f32_e32 v12, v13
	v_cmp_ngt_f32_e32 vcc_lo, 0xc2ce8ed0, v6
	v_cvt_i32_f32_e32 v13, v15
	s_delay_alu instid0(VALU_DEP_4) | instskip(SKIP_4) | instid1(VALU_DEP_3)
	v_exp_f32_e32 v7, v7
	s_waitcnt_depctr 0xfff
	v_ldexp_f32 v7, v7, v12
	v_add_f32_e32 v8, v8, v14
	v_sub_nc_u32_e32 v12, s21, v0
	v_cndmask_b32_e32 v7, 0, v7, vcc_lo
	s_delay_alu instid0(VALU_DEP_3) | instskip(SKIP_3) | instid1(VALU_DEP_1)
	v_exp_f32_e32 v8, v8
	v_cmp_ngt_f32_e32 vcc_lo, 0xc2ce8ed0, v5
	s_waitcnt_depctr 0xfff
	v_ldexp_f32 v8, v8, v13
	v_cndmask_b32_e32 v8, 0, v8, vcc_lo
	v_cmp_nlt_f32_e32 vcc_lo, 0x42b17218, v6
	v_dual_cndmask_b32 v6, 0x7f800000, v7 :: v_dual_lshlrev_b32 v7, 2, v0
	v_cmp_nlt_f32_e32 vcc_lo, 0x42b17218, v5
	s_delay_alu instid0(VALU_DEP_4) | instskip(SKIP_1) | instid1(VALU_DEP_4)
	v_cndmask_b32_e32 v5, 0x7f800000, v8, vcc_lo
	v_cmp_lt_i32_e32 vcc_lo, 0, v12
	v_cndmask_b32_e32 v6, 0, v6, vcc_lo
	v_cmp_lt_i32_e32 vcc_lo, 32, v12
	s_delay_alu instid0(VALU_DEP_4) | instskip(SKIP_1) | instid1(VALU_DEP_1)
	v_cndmask_b32_e32 v5, 0, v5, vcc_lo
	s_waitcnt vmcnt(0)
	v_dual_mul_f32 v3, v3, v6 :: v_dual_mul_f32 v6, v1, v5
	ds_store_2addr_b32 v7, v3, v6 offset1:32
	v_fmac_f32_e32 v3, v1, v5
	ds_bpermute_b32 v1, v4, v3
	s_waitcnt lgkmcnt(0)
	v_add_f32_e32 v1, v3, v1
	ds_bpermute_b32 v3, v9, v1
	s_waitcnt lgkmcnt(0)
	v_add_f32_e32 v1, v1, v3
	;; [unrolled: 3-line block ×4, first 2 shown]
	ds_bpermute_b32 v2, v2, v1
	v_cmpx_eq_u32_e32 0, v0
	s_cbranch_execz .LBB267_8
; %bb.7:
	s_waitcnt lgkmcnt(0)
	v_dual_add_f32 v1, v1, v2 :: v_dual_mov_b32 v2, 0
	ds_store_b32 v2, v1 offset:256
.LBB267_8:
	s_or_b32 exec_lo, exec_lo, s7
	v_mov_b32_e32 v1, s6
.LBB267_9:
	s_or_b32 exec_lo, exec_lo, s22
	s_lshl_b32 s6, s18, 7
	s_mov_b32 s7, 0
	s_waitcnt lgkmcnt(0)
	v_dual_mov_b32 v2, 0 :: v_dual_lshlrev_b32 v1, 7, v1
	s_lshl_b64 s[6:7], s[6:7], 1
	v_lshlrev_b32_e32 v0, 1, v0
	s_add_u32 s34, s4, s6
	s_addc_u32 s35, s5, s7
	s_lshl_b32 s51, s21, 7
	v_lshlrev_b64 v[3:4], 1, v[1:2]
	s_addk_i32 s51, 0xff80
	s_cmpk_lt_i32 s50, 0x100
	v_dual_mov_b32 v30, 0 :: v_dual_mov_b32 v33, 0
	s_cselect_b32 s4, s51, 0
	s_delay_alu instid0(VALU_DEP_2)
	v_add_co_u32 v1, vcc_lo, s34, v3
	s_ashr_i32 s5, s4, 31
	v_add_co_ci_u32_e32 v3, vcc_lo, s35, v4, vcc_lo
	s_lshl_b64 s[4:5], s[4:5], 1
	s_cmpk_lt_i32 s50, 0x200
	v_add_co_u32 v1, vcc_lo, v1, v0
	s_cselect_b32 s6, s51, 0x80
	v_add_co_ci_u32_e32 v3, vcc_lo, 0, v3, vcc_lo
	s_ashr_i32 s7, s6, 31
	s_delay_alu instid0(VALU_DEP_2)
	v_add_co_u32 v4, vcc_lo, v1, s4
	s_lshl_b64 s[6:7], s[6:7], 1
	s_cmpk_lt_i32 s50, 0x300
	v_add_co_ci_u32_e32 v5, vcc_lo, s5, v3, vcc_lo
	s_cselect_b32 s8, s51, 0x100
	v_add_co_u32 v8, vcc_lo, v1, s6
	s_ashr_i32 s9, s8, 31
	v_add_co_ci_u32_e32 v9, vcc_lo, s7, v3, vcc_lo
	s_lshl_b64 s[8:9], s[8:9], 1
	s_cmpk_lt_i32 s50, 0x400
	v_add_co_u32 v10, vcc_lo, v1, s8
	s_cselect_b32 s10, s51, 0x180
	v_add_co_ci_u32_e32 v11, vcc_lo, s9, v3, vcc_lo
	s_ashr_i32 s11, s10, 31
	v_dual_mov_b32 v32, 0 :: v_dual_mov_b32 v35, 0
	s_lshl_b64 s[10:11], s[10:11], 1
	s_cmpk_lt_i32 s50, 0x500
	v_add_co_u32 v12, vcc_lo, v1, s10
	s_cselect_b32 s18, s51, 0x200
	v_add_co_ci_u32_e32 v13, vcc_lo, s11, v3, vcc_lo
	s_ashr_i32 s19, s18, 31
	v_mov_b32_e32 v34, 0
	s_lshl_b64 s[18:19], s[18:19], 1
	s_cmpk_lt_i32 s50, 0x600
	v_add_co_u32 v14, vcc_lo, v1, s18
	s_cselect_b32 s22, s51, 0x280
	v_add_co_ci_u32_e32 v15, vcc_lo, s19, v3, vcc_lo
	s_ashr_i32 s23, s22, 31
	v_mov_b32_e32 v29, 0
	;; [unrolled: 7-line block ×3, first 2 shown]
	s_lshl_b64 s[24:25], s[24:25], 1
	s_cmpk_lt_i32 s50, 0x800
	v_add_co_u32 v18, vcc_lo, v1, s24
	s_cselect_b32 s26, s51, 0x380
	v_add_co_ci_u32_e32 v19, vcc_lo, s25, v3, vcc_lo
	s_ashr_i32 s27, s26, 31
	s_delay_alu instid0(SALU_CYCLE_1)
	s_lshl_b64 s[26:27], s[26:27], 1
	s_cmpk_lt_i32 s50, 0x900
	v_add_co_u32 v20, vcc_lo, v1, s26
	s_cselect_b32 s28, s51, 0x400
	v_add_co_ci_u32_e32 v21, vcc_lo, s27, v3, vcc_lo
	s_ashr_i32 s29, s28, 31
	s_clause 0x7
	global_load_u16 v7, v[4:5], off
	global_load_u16 v8, v[8:9], off
	;; [unrolled: 1-line block ×8, first 2 shown]
	s_lshl_b64 s[28:29], s[28:29], 1
	s_cmpk_lt_i32 s50, 0xa00
	v_add_co_u32 v12, vcc_lo, v1, s28
	s_cselect_b32 s30, s51, 0x480
	v_add_co_ci_u32_e32 v13, vcc_lo, s29, v3, vcc_lo
	s_ashr_i32 s31, s30, 31
	s_delay_alu instid0(SALU_CYCLE_1)
	s_lshl_b64 s[30:31], s[30:31], 1
	s_cmpk_lt_i32 s50, 0xb00
	v_add_co_u32 v15, vcc_lo, v1, s30
	s_cselect_b32 s34, s51, 0x500
	v_add_co_ci_u32_e32 v16, vcc_lo, s31, v3, vcc_lo
	s_ashr_i32 s35, s34, 31
	s_delay_alu instid0(SALU_CYCLE_1)
	;; [unrolled: 7-line block ×7, first 2 shown]
	s_lshl_b64 s[4:5], s[6:7], 1
	s_cmpk_gt_i32 s20, 0x1000
	v_add_co_u32 v27, vcc_lo, v1, s4
	v_add_co_ci_u32_e32 v28, vcc_lo, s5, v3, vcc_lo
	s_clause 0x7
	global_load_u16 v14, v[12:13], off
	global_load_u16 v15, v[15:16], off
	;; [unrolled: 1-line block ×8, first 2 shown]
	v_dual_mov_b32 v20, 0 :: v_dual_mov_b32 v23, 0
	v_dual_mov_b32 v21, 0 :: v_dual_mov_b32 v22, 0
	;; [unrolled: 1-line block ×4, first 2 shown]
	v_mov_b32_e32 v28, 0
	s_cselect_b32 s8, -1, 0
	s_cmpk_lt_i32 s20, 0x1001
	s_waitcnt vmcnt(0)
	s_barrier
	buffer_gl0_inv
	s_cbranch_scc1 .LBB267_11
; %bb.10:
	s_cmpk_lt_i32 s50, 0x1100
	s_cselect_b32 s4, s51, 0x800
	s_delay_alu instid0(SALU_CYCLE_1) | instskip(NEXT) | instid1(SALU_CYCLE_1)
	s_ashr_i32 s5, s4, 31
	s_lshl_b64 s[4:5], s[4:5], 1
	s_cmpk_lt_i32 s50, 0x1200
	v_add_co_u32 v20, vcc_lo, v1, s4
	s_cselect_b32 s6, s51, 0x880
	v_add_co_ci_u32_e32 v21, vcc_lo, s5, v3, vcc_lo
	s_ashr_i32 s7, s6, 31
	s_delay_alu instid0(SALU_CYCLE_1)
	s_lshl_b64 s[6:7], s[6:7], 1
	s_cmpk_lt_i32 s50, 0x1300
	v_add_co_u32 v22, vcc_lo, v1, s6
	s_cselect_b32 s10, s51, 0x900
	v_add_co_ci_u32_e32 v23, vcc_lo, s7, v3, vcc_lo
	s_ashr_i32 s11, s10, 31
	s_delay_alu instid0(SALU_CYCLE_1)
	;; [unrolled: 7-line block ×7, first 2 shown]
	s_lshl_b64 s[28:29], s[28:29], 1
	s_cmpk_lt_i32 s50, 0x1900
	v_add_co_u32 v34, vcc_lo, v1, s28
	s_cselect_b32 s30, s51, 0xc00
	v_add_co_ci_u32_e32 v35, vcc_lo, s29, v3, vcc_lo
	s_ashr_i32 s31, s30, 31
	s_clause 0x7
	global_load_u16 v36, v[20:21], off
	global_load_u16 v37, v[22:23], off
	;; [unrolled: 1-line block ×8, first 2 shown]
	s_lshl_b64 s[30:31], s[30:31], 1
	s_cmpk_lt_i32 s50, 0x1a00
	v_add_co_u32 v20, vcc_lo, v1, s30
	s_cselect_b32 s34, s51, 0xc80
	v_add_co_ci_u32_e32 v21, vcc_lo, s31, v3, vcc_lo
	s_ashr_i32 s35, s34, 31
	s_delay_alu instid0(SALU_CYCLE_1)
	s_lshl_b64 s[34:35], s[34:35], 1
	s_cmpk_lt_i32 s50, 0x1b00
	v_add_co_u32 v22, vcc_lo, v1, s34
	s_cselect_b32 s36, s51, 0xd00
	v_add_co_ci_u32_e32 v23, vcc_lo, s35, v3, vcc_lo
	s_ashr_i32 s37, s36, 31
	s_delay_alu instid0(SALU_CYCLE_1)
	;; [unrolled: 7-line block ×6, first 2 shown]
	s_lshl_b64 s[4:5], s[22:23], 1
	s_cmpk_lt_i32 s50, 0x2000
	v_add_co_u32 v32, vcc_lo, v1, s4
	s_cselect_b32 s6, s51, 0xf80
	v_add_co_ci_u32_e32 v33, vcc_lo, s5, v3, vcc_lo
	s_ashr_i32 s7, s6, 31
	s_delay_alu instid0(SALU_CYCLE_1) | instskip(NEXT) | instid1(SALU_CYCLE_1)
	s_lshl_b64 s[4:5], s[6:7], 1
	v_add_co_u32 v34, vcc_lo, v1, s4
	v_add_co_ci_u32_e32 v35, vcc_lo, s5, v3, vcc_lo
	s_clause 0x7
	global_load_u16 v20, v[20:21], off
	global_load_u16 v21, v[22:23], off
	;; [unrolled: 1-line block ×8, first 2 shown]
	s_waitcnt vmcnt(15)
	v_cvt_f32_f16_e32 v35, v36
	s_waitcnt vmcnt(14)
	v_cvt_f32_f16_e32 v34, v37
	s_waitcnt vmcnt(13)
	v_cvt_f32_f16_e32 v33, v38
	s_waitcnt vmcnt(12)
	v_cvt_f32_f16_e32 v32, v39
	s_waitcnt vmcnt(11)
	v_cvt_f32_f16_e32 v31, v40
	s_waitcnt vmcnt(10)
	v_cvt_f32_f16_e32 v30, v41
	s_waitcnt vmcnt(9)
	v_cvt_f32_f16_e32 v29, v42
	s_waitcnt vmcnt(8)
	v_cvt_f32_f16_e32 v28, v43
	s_waitcnt vmcnt(7)
	v_cvt_f32_f16_e32 v27, v20
	s_waitcnt vmcnt(6)
	v_cvt_f32_f16_e32 v26, v21
	s_waitcnt vmcnt(5)
	v_cvt_f32_f16_e32 v25, v22
	s_waitcnt vmcnt(4)
	v_cvt_f32_f16_e32 v24, v23
	s_waitcnt vmcnt(3)
	v_cvt_f32_f16_e32 v23, v44
	s_waitcnt vmcnt(2)
	v_cvt_f32_f16_e32 v22, v45
	s_waitcnt vmcnt(1)
	v_cvt_f32_f16_e32 v21, v46
	s_waitcnt vmcnt(0)
	v_cvt_f32_f16_e32 v20, v47
.LBB267_11:
	ds_load_b128 v[36:39], v2
	ds_load_b128 v[40:43], v2 offset:16
	s_and_not1_b32 vcc_lo, exec_lo, s8
	s_waitcnt lgkmcnt(1)
	v_fma_mix_f32 v7, v36, v7, 0 op_sel_hi:[0,1,0]
	s_delay_alu instid0(VALU_DEP_1) | instskip(NEXT) | instid1(VALU_DEP_1)
	v_fma_mix_f32 v7, v37, v8, v7 op_sel_hi:[0,1,0]
	v_fma_mix_f32 v7, v38, v9, v7 op_sel_hi:[0,1,0]
	s_delay_alu instid0(VALU_DEP_1)
	v_fma_mix_f32 v7, v39, v10, v7 op_sel_hi:[0,1,0]
	ds_load_b128 v[36:39], v2 offset:48
	s_waitcnt lgkmcnt(1)
	v_fma_mix_f32 v11, v40, v11, v7 op_sel_hi:[0,1,0]
	ds_load_b128 v[7:10], v2 offset:32
	v_fma_mix_f32 v4, v41, v4, v11 op_sel_hi:[0,1,0]
	s_delay_alu instid0(VALU_DEP_1) | instskip(NEXT) | instid1(VALU_DEP_1)
	v_fma_mix_f32 v4, v42, v5, v4 op_sel_hi:[0,1,0]
	v_fma_mix_f32 v4, v43, v6, v4 op_sel_hi:[0,1,0]
	s_waitcnt lgkmcnt(0)
	s_delay_alu instid0(VALU_DEP_1) | instskip(NEXT) | instid1(VALU_DEP_1)
	v_fma_mix_f32 v4, v7, v14, v4 op_sel_hi:[0,1,0]
	v_fma_mix_f32 v4, v8, v15, v4 op_sel_hi:[0,1,0]
	s_delay_alu instid0(VALU_DEP_1) | instskip(NEXT) | instid1(VALU_DEP_1)
	v_fma_mix_f32 v4, v9, v16, v4 op_sel_hi:[0,1,0]
	v_fma_mix_f32 v4, v10, v17, v4 op_sel_hi:[0,1,0]
	;; [unrolled: 3-line block ×4, first 2 shown]
	s_cbranch_vccz .LBB267_17
; %bb.12:
	s_load_b64 s[0:1], s[0:1], 0x0
	s_cmpk_lt_i32 s20, 0x2001
	s_cbranch_scc0 .LBB267_18
.LBB267_13:
	v_mov_b32_e32 v1, 0
	s_and_not1_b32 vcc_lo, exec_lo, s15
	ds_load_b32 v1, v1 offset:256
	s_cbranch_vccnz .LBB267_15
.LBB267_14:
	s_add_u32 s2, s12, s16
	s_addc_u32 s3, s13, s17
	s_load_b32 s2, s[2:3], 0x0
	s_mov_b32 s3, 0
.LBB267_15:
	s_waitcnt lgkmcnt(0)
	v_add_f32_e32 v1, 0x358637bd, v1
	s_mul_i32 s3, s33, s3
	s_mul_hi_u32 s4, s33, s2
	s_mul_i32 s2, s33, s2
	s_add_i32 s3, s4, s3
	v_div_scale_f32 v2, null, v1, v1, 1.0
	s_lshl_b64 s[2:3], s[2:3], 8
	s_mov_b32 s15, 0
	s_add_u32 s2, s0, s2
	s_delay_alu instid0(VALU_DEP_1) | instskip(SKIP_2) | instid1(SALU_CYCLE_1)
	v_rcp_f32_e32 v3, v2
	s_addc_u32 s3, s1, s3
	s_lshl_b64 s[0:1], s[14:15], 8
	s_add_u32 s0, s2, s0
	s_addc_u32 s1, s3, s1
	s_waitcnt_depctr 0xfff
	v_fma_f32 v5, -v2, v3, 1.0
	s_delay_alu instid0(VALU_DEP_1) | instskip(SKIP_1) | instid1(VALU_DEP_1)
	v_fmac_f32_e32 v3, v5, v3
	v_div_scale_f32 v5, vcc_lo, 1.0, v1, 1.0
	v_mul_f32_e32 v6, v5, v3
	s_delay_alu instid0(VALU_DEP_1) | instskip(NEXT) | instid1(VALU_DEP_1)
	v_fma_f32 v7, -v2, v6, v5
	v_fmac_f32_e32 v6, v7, v3
	s_delay_alu instid0(VALU_DEP_1) | instskip(NEXT) | instid1(VALU_DEP_1)
	v_fma_f32 v2, -v2, v6, v5
	v_div_fmas_f32 v2, v2, v3, v6
	s_delay_alu instid0(VALU_DEP_1) | instskip(NEXT) | instid1(VALU_DEP_1)
	v_div_fixup_f32 v1, v2, v1, 1.0
	v_fma_mixlo_f16 v1, v4, v1, 0
	global_store_b16 v0, v1, s[0:1]
	s_nop 0
	s_sendmsg sendmsg(MSG_DEALLOC_VGPRS)
	s_endpgm
.LBB267_16:
	s_mov_b32 s4, 0
	s_branch .LBB267_2
.LBB267_17:
	ds_load_b128 v[5:8], v2 offset:64
	ds_load_b128 v[9:12], v2 offset:80
	s_waitcnt lgkmcnt(1)
	v_fmac_f32_e32 v4, v5, v35
	s_delay_alu instid0(VALU_DEP_1) | instskip(NEXT) | instid1(VALU_DEP_1)
	v_fmac_f32_e32 v4, v6, v34
	v_fmac_f32_e32 v4, v7, v33
	s_delay_alu instid0(VALU_DEP_1) | instskip(SKIP_3) | instid1(VALU_DEP_1)
	v_fmac_f32_e32 v4, v8, v32
	ds_load_b128 v[5:8], v2 offset:96
	s_waitcnt lgkmcnt(1)
	v_fmac_f32_e32 v4, v9, v31
	v_fmac_f32_e32 v4, v10, v30
	s_delay_alu instid0(VALU_DEP_1) | instskip(NEXT) | instid1(VALU_DEP_1)
	v_fmac_f32_e32 v4, v11, v29
	v_fmac_f32_e32 v4, v12, v28
	ds_load_b128 v[9:12], v2 offset:112
	s_waitcnt lgkmcnt(1)
	v_fmac_f32_e32 v4, v5, v27
	s_delay_alu instid0(VALU_DEP_1) | instskip(NEXT) | instid1(VALU_DEP_1)
	v_fmac_f32_e32 v4, v6, v26
	v_fmac_f32_e32 v4, v7, v25
	s_delay_alu instid0(VALU_DEP_1) | instskip(SKIP_1) | instid1(VALU_DEP_1)
	v_fmac_f32_e32 v4, v8, v24
	s_waitcnt lgkmcnt(0)
	v_fmac_f32_e32 v4, v9, v23
	s_delay_alu instid0(VALU_DEP_1) | instskip(NEXT) | instid1(VALU_DEP_1)
	v_fmac_f32_e32 v4, v10, v22
	v_fmac_f32_e32 v4, v11, v21
	s_delay_alu instid0(VALU_DEP_1)
	v_fmac_f32_e32 v4, v12, v20
	s_load_b64 s[0:1], s[0:1], 0x0
	s_cmpk_lt_i32 s20, 0x2001
	s_cbranch_scc1 .LBB267_13
.LBB267_18:
	s_cmpk_lt_i32 s50, 0x2100
	v_mov_b32_e32 v45, 0
	s_cselect_b32 s4, s51, 0x1000
	s_delay_alu instid0(SALU_CYCLE_1) | instskip(NEXT) | instid1(SALU_CYCLE_1)
	s_ashr_i32 s5, s4, 31
	s_lshl_b64 s[4:5], s[4:5], 1
	s_cmpk_lt_i32 s50, 0x2200
	v_add_co_u32 v5, vcc_lo, v1, s4
	s_cselect_b32 s6, s51, 0x1080
	v_add_co_ci_u32_e32 v6, vcc_lo, s5, v3, vcc_lo
	s_ashr_i32 s7, s6, 31
	s_delay_alu instid0(SALU_CYCLE_1)
	s_lshl_b64 s[6:7], s[6:7], 1
	s_cmpk_lt_i32 s50, 0x2300
	v_add_co_u32 v7, vcc_lo, v1, s6
	s_cselect_b32 s8, s51, 0x1100
	v_add_co_ci_u32_e32 v8, vcc_lo, s7, v3, vcc_lo
	s_ashr_i32 s9, s8, 31
	s_delay_alu instid0(SALU_CYCLE_1)
	;; [unrolled: 7-line block ×7, first 2 shown]
	s_lshl_b64 s[28:29], s[20:21], 1
	s_cmpk_lt_i32 s50, 0x2900
	v_add_co_u32 v19, vcc_lo, v1, s28
	s_cselect_b32 s20, s51, 0x1400
	v_add_co_ci_u32_e32 v20, vcc_lo, s29, v3, vcc_lo
	s_ashr_i32 s21, s20, 31
	s_clause 0x7
	global_load_u16 v21, v[5:6], off
	global_load_u16 v22, v[7:8], off
	;; [unrolled: 1-line block ×8, first 2 shown]
	s_lshl_b64 s[20:21], s[20:21], 1
	s_cmpk_lt_i32 s50, 0x2a00
	v_add_co_u32 v5, vcc_lo, v1, s20
	s_cselect_b32 s26, s51, 0x1480
	v_add_co_ci_u32_e32 v6, vcc_lo, s21, v3, vcc_lo
	s_ashr_i32 s27, s26, 31
	s_delay_alu instid0(SALU_CYCLE_1)
	s_lshl_b64 s[26:27], s[26:27], 1
	s_cmpk_lt_i32 s50, 0x2b00
	v_add_co_u32 v7, vcc_lo, v1, s26
	s_cselect_b32 s30, s51, 0x1500
	v_add_co_ci_u32_e32 v8, vcc_lo, s27, v3, vcc_lo
	s_ashr_i32 s31, s30, 31
	s_delay_alu instid0(SALU_CYCLE_1)
	;; [unrolled: 7-line block ×7, first 2 shown]
	s_lshl_b64 s[46:47], s[38:39], 1
	s_cmpk_lt_i32 s50, 0x3100
	v_add_co_u32 v19, vcc_lo, v1, s46
	s_cselect_b32 s38, s51, 0x1800
	v_add_co_ci_u32_e32 v20, vcc_lo, s47, v3, vcc_lo
	s_ashr_i32 s39, s38, 31
	s_clause 0x7
	global_load_u16 v29, v[5:6], off
	global_load_u16 v30, v[7:8], off
	;; [unrolled: 1-line block ×8, first 2 shown]
	s_lshl_b64 s[38:39], s[38:39], 1
	s_cmpk_lt_i32 s50, 0x3200
	v_add_co_u32 v5, vcc_lo, v1, s38
	s_cselect_b32 s44, s51, 0x1880
	v_add_co_ci_u32_e32 v6, vcc_lo, s39, v3, vcc_lo
	s_ashr_i32 s45, s44, 31
	s_delay_alu instid0(SALU_CYCLE_1)
	s_lshl_b64 s[44:45], s[44:45], 1
	s_cmpk_lt_i32 s50, 0x3300
	v_add_co_u32 v7, vcc_lo, v1, s44
	s_cselect_b32 s48, s51, 0x1900
	v_add_co_ci_u32_e32 v8, vcc_lo, s45, v3, vcc_lo
	s_ashr_i32 s49, s48, 31
	s_delay_alu instid0(SALU_CYCLE_1)
	;; [unrolled: 7-line block ×5, first 2 shown]
	s_lshl_b64 s[8:9], s[8:9], 1
	s_cmpk_lt_i32 s50, 0x3700
	v_add_co_u32 v15, vcc_lo, v1, s8
	s_cselect_b32 s10, s51, 0x1b00
	v_add_co_ci_u32_e32 v16, vcc_lo, s9, v3, vcc_lo
	s_ashr_i32 s11, s10, 31
	s_clause 0x5
	global_load_u16 v19, v[5:6], off
	global_load_u16 v20, v[7:8], off
	;; [unrolled: 1-line block ×6, first 2 shown]
	s_lshl_b64 s[10:11], s[10:11], 1
	s_cmpk_lt_i32 s50, 0x3800
	v_add_co_u32 v5, vcc_lo, v1, s10
	s_cselect_b32 s18, s51, 0x1b80
	v_add_co_ci_u32_e32 v6, vcc_lo, s11, v3, vcc_lo
	s_ashr_i32 s19, s18, 31
	s_delay_alu instid0(SALU_CYCLE_1)
	s_lshl_b64 s[18:19], s[18:19], 1
	s_cmpk_lt_i32 s50, 0x3900
	v_add_co_u32 v7, vcc_lo, v1, s18
	s_cselect_b32 s20, s51, 0x1c00
	v_add_co_ci_u32_e32 v8, vcc_lo, s19, v3, vcc_lo
	s_ashr_i32 s21, s20, 31
	global_load_u16 v16, v[5:6], off
	s_lshl_b64 s[20:21], s[20:21], 1
	global_load_u16 v38, v[7:8], off
	s_cmpk_lt_i32 s50, 0x3a00
	v_add_co_u32 v9, vcc_lo, v1, s20
	s_cselect_b32 s22, s51, 0x1c80
	v_add_co_ci_u32_e32 v10, vcc_lo, s21, v3, vcc_lo
	s_ashr_i32 s23, s22, 31
	s_delay_alu instid0(SALU_CYCLE_1)
	s_lshl_b64 s[22:23], s[22:23], 1
	s_cmpk_lt_i32 s50, 0x3b00
	v_add_co_u32 v11, vcc_lo, v1, s22
	s_cselect_b32 s4, s51, 0x1d00
	v_add_co_ci_u32_e32 v12, vcc_lo, s23, v3, vcc_lo
	s_ashr_i32 s5, s4, 31
	s_delay_alu instid0(SALU_CYCLE_1)
	s_lshl_b64 s[4:5], s[4:5], 1
	s_cmpk_lt_i32 s50, 0x3c00
	v_add_co_u32 v13, vcc_lo, v1, s4
	s_cselect_b32 s6, s51, 0x1d80
	v_add_co_ci_u32_e32 v14, vcc_lo, s5, v3, vcc_lo
	s_ashr_i32 s7, s6, 31
	s_clause 0x2
	global_load_u16 v39, v[9:10], off
	global_load_u16 v40, v[11:12], off
	;; [unrolled: 1-line block ×3, first 2 shown]
	s_lshl_b64 s[6:7], s[6:7], 1
	s_cmpk_lt_i32 s50, 0x3d00
	v_add_co_u32 v5, vcc_lo, v1, s6
	s_cselect_b32 s8, s51, 0x1e00
	v_add_co_ci_u32_e32 v6, vcc_lo, s7, v3, vcc_lo
	s_ashr_i32 s9, s8, 31
	s_delay_alu instid0(SALU_CYCLE_1)
	s_lshl_b64 s[4:5], s[8:9], 1
	s_cmpk_lt_i32 s50, 0x3e00
	v_add_co_u32 v7, vcc_lo, v1, s4
	s_cselect_b32 s8, s51, 0x1e80
	v_add_co_ci_u32_e32 v8, vcc_lo, s5, v3, vcc_lo
	s_ashr_i32 s9, s8, 31
	global_load_u16 v14, v[5:6], off
	s_lshl_b64 s[8:9], s[8:9], 1
	s_cmpk_lt_i32 s50, 0x3f00
	v_add_co_u32 v9, vcc_lo, v1, s8
	s_cselect_b32 s6, s51, 0x1f00
	v_add_co_ci_u32_e32 v10, vcc_lo, s9, v3, vcc_lo
	s_ashr_i32 s7, s6, 31
	s_clause 0x1
	global_load_u16 v41, v[7:8], off
	global_load_u16 v42, v[9:10], off
	s_lshl_b64 s[4:5], s[6:7], 1
	s_cmpk_lt_i32 s50, 0x4000
	v_add_co_u32 v5, vcc_lo, v1, s4
	s_cselect_b32 s6, s51, 0x1f80
	v_add_co_ci_u32_e32 v6, vcc_lo, s5, v3, vcc_lo
	s_ashr_i32 s7, s6, 31
	s_delay_alu instid0(SALU_CYCLE_1) | instskip(NEXT) | instid1(SALU_CYCLE_1)
	s_lshl_b64 s[4:5], s[6:7], 1
	v_add_co_u32 v1, vcc_lo, v1, s4
	v_add_co_ci_u32_e32 v2, vcc_lo, s5, v3, vcc_lo
	s_clause 0x1
	global_load_u16 v43, v[5:6], off
	global_load_u16 v44, v[1:2], off
	ds_load_b128 v[5:8], v45 offset:128
	ds_load_b128 v[9:12], v45 offset:144
	s_waitcnt vmcnt(31) lgkmcnt(0)
	v_fma_mix_f32 v1, v5, v21, v4 op_sel_hi:[0,1,0]
	s_waitcnt vmcnt(30)
	s_delay_alu instid0(VALU_DEP_1) | instskip(SKIP_1) | instid1(VALU_DEP_1)
	v_fma_mix_f32 v1, v6, v22, v1 op_sel_hi:[0,1,0]
	s_waitcnt vmcnt(29)
	v_fma_mix_f32 v1, v7, v23, v1 op_sel_hi:[0,1,0]
	s_waitcnt vmcnt(28)
	s_delay_alu instid0(VALU_DEP_1) | instskip(SKIP_1) | instid1(VALU_DEP_1)
	v_fma_mix_f32 v1, v8, v24, v1 op_sel_hi:[0,1,0]
	s_waitcnt vmcnt(27)
	v_fma_mix_f32 v5, v9, v25, v1 op_sel_hi:[0,1,0]
	ds_load_b128 v[1:4], v45 offset:160
	s_waitcnt vmcnt(26)
	v_fma_mix_f32 v5, v10, v26, v5 op_sel_hi:[0,1,0]
	s_waitcnt vmcnt(25)
	s_delay_alu instid0(VALU_DEP_1) | instskip(SKIP_1) | instid1(VALU_DEP_1)
	v_fma_mix_f32 v5, v11, v27, v5 op_sel_hi:[0,1,0]
	s_waitcnt vmcnt(24)
	v_fma_mix_f32 v9, v12, v28, v5 op_sel_hi:[0,1,0]
	ds_load_b128 v[5:8], v45 offset:176
	s_waitcnt vmcnt(23) lgkmcnt(1)
	v_fma_mix_f32 v1, v1, v29, v9 op_sel_hi:[0,1,0]
	s_waitcnt vmcnt(22)
	s_delay_alu instid0(VALU_DEP_1) | instskip(SKIP_1) | instid1(VALU_DEP_1)
	v_fma_mix_f32 v1, v2, v30, v1 op_sel_hi:[0,1,0]
	s_waitcnt vmcnt(21)
	v_fma_mix_f32 v1, v3, v31, v1 op_sel_hi:[0,1,0]
	s_waitcnt vmcnt(20)
	s_delay_alu instid0(VALU_DEP_1) | instskip(SKIP_1) | instid1(VALU_DEP_1)
	v_fma_mix_f32 v1, v4, v32, v1 op_sel_hi:[0,1,0]
	s_waitcnt vmcnt(19) lgkmcnt(0)
	v_fma_mix_f32 v5, v5, v33, v1 op_sel_hi:[0,1,0]
	ds_load_b128 v[1:4], v45 offset:192
	s_waitcnt vmcnt(18)
	v_fma_mix_f32 v5, v6, v34, v5 op_sel_hi:[0,1,0]
	s_waitcnt vmcnt(17)
	s_delay_alu instid0(VALU_DEP_1) | instskip(SKIP_1) | instid1(VALU_DEP_1)
	v_fma_mix_f32 v5, v7, v17, v5 op_sel_hi:[0,1,0]
	s_waitcnt vmcnt(16)
	v_fma_mix_f32 v9, v8, v18, v5 op_sel_hi:[0,1,0]
	ds_load_b128 v[5:8], v45 offset:208
	s_waitcnt vmcnt(15) lgkmcnt(1)
	v_fma_mix_f32 v1, v1, v19, v9 op_sel_hi:[0,1,0]
	s_waitcnt vmcnt(14)
	s_delay_alu instid0(VALU_DEP_1) | instskip(SKIP_1) | instid1(VALU_DEP_1)
	v_fma_mix_f32 v1, v2, v20, v1 op_sel_hi:[0,1,0]
	s_waitcnt vmcnt(13)
	v_fma_mix_f32 v1, v3, v35, v1 op_sel_hi:[0,1,0]
	s_waitcnt vmcnt(12)
	s_delay_alu instid0(VALU_DEP_1) | instskip(SKIP_1) | instid1(VALU_DEP_1)
	v_fma_mix_f32 v1, v4, v36, v1 op_sel_hi:[0,1,0]
	s_waitcnt vmcnt(11) lgkmcnt(0)
	;; [unrolled: 21-line block ×3, first 2 shown]
	v_fma_mix_f32 v1, v5, v41, v1 op_sel_hi:[0,1,0]
	s_waitcnt vmcnt(2)
	s_delay_alu instid0(VALU_DEP_1) | instskip(SKIP_1) | instid1(VALU_DEP_1)
	v_fma_mix_f32 v1, v6, v42, v1 op_sel_hi:[0,1,0]
	s_waitcnt vmcnt(1)
	v_fma_mix_f32 v1, v7, v43, v1 op_sel_hi:[0,1,0]
	s_waitcnt vmcnt(0)
	s_delay_alu instid0(VALU_DEP_1)
	v_fma_mix_f32 v4, v8, v44, v1 op_sel_hi:[0,1,0]
	v_mov_b32_e32 v1, 0
	s_and_not1_b32 vcc_lo, exec_lo, s15
	ds_load_b32 v1, v1 offset:256
	s_cbranch_vccz .LBB267_14
	s_branch .LBB267_15
	.section	.rodata,"a",@progbits
	.p2align	6, 0x0
	.amdhsa_kernel _Z35paged_attention_ll4mi_reduce_kernelIDF16_DF16_Li128ELi128ELi256ELi2EEvPT0_PKfS3_PKT_PKiS8_iS3_
		.amdhsa_group_segment_fixed_size 260
		.amdhsa_private_segment_fixed_size 0
		.amdhsa_kernarg_size 320
		.amdhsa_user_sgpr_count 14
		.amdhsa_user_sgpr_dispatch_ptr 0
		.amdhsa_user_sgpr_queue_ptr 0
		.amdhsa_user_sgpr_kernarg_segment_ptr 1
		.amdhsa_user_sgpr_dispatch_id 0
		.amdhsa_user_sgpr_private_segment_size 0
		.amdhsa_wavefront_size32 1
		.amdhsa_uses_dynamic_stack 0
		.amdhsa_enable_private_segment 0
		.amdhsa_system_sgpr_workgroup_id_x 1
		.amdhsa_system_sgpr_workgroup_id_y 1
		.amdhsa_system_sgpr_workgroup_id_z 0
		.amdhsa_system_sgpr_workgroup_info 0
		.amdhsa_system_vgpr_workitem_id 0
		.amdhsa_next_free_vgpr 48
		.amdhsa_next_free_sgpr 52
		.amdhsa_reserve_vcc 1
		.amdhsa_float_round_mode_32 0
		.amdhsa_float_round_mode_16_64 0
		.amdhsa_float_denorm_mode_32 3
		.amdhsa_float_denorm_mode_16_64 3
		.amdhsa_dx10_clamp 1
		.amdhsa_ieee_mode 1
		.amdhsa_fp16_overflow 0
		.amdhsa_workgroup_processor_mode 1
		.amdhsa_memory_ordered 1
		.amdhsa_forward_progress 0
		.amdhsa_shared_vgpr_count 0
		.amdhsa_exception_fp_ieee_invalid_op 0
		.amdhsa_exception_fp_denorm_src 0
		.amdhsa_exception_fp_ieee_div_zero 0
		.amdhsa_exception_fp_ieee_overflow 0
		.amdhsa_exception_fp_ieee_underflow 0
		.amdhsa_exception_fp_ieee_inexact 0
		.amdhsa_exception_int_div_zero 0
	.end_amdhsa_kernel
	.section	.text._Z35paged_attention_ll4mi_reduce_kernelIDF16_DF16_Li128ELi128ELi256ELi2EEvPT0_PKfS3_PKT_PKiS8_iS3_,"axG",@progbits,_Z35paged_attention_ll4mi_reduce_kernelIDF16_DF16_Li128ELi128ELi256ELi2EEvPT0_PKfS3_PKT_PKiS8_iS3_,comdat
.Lfunc_end267:
	.size	_Z35paged_attention_ll4mi_reduce_kernelIDF16_DF16_Li128ELi128ELi256ELi2EEvPT0_PKfS3_PKT_PKiS8_iS3_, .Lfunc_end267-_Z35paged_attention_ll4mi_reduce_kernelIDF16_DF16_Li128ELi128ELi256ELi2EEvPT0_PKfS3_PKT_PKiS8_iS3_
                                        ; -- End function
	.section	.AMDGPU.csdata,"",@progbits
; Kernel info:
; codeLenInByte = 5320
; NumSgprs: 54
; NumVgprs: 48
; ScratchSize: 0
; MemoryBound: 0
; FloatMode: 240
; IeeeMode: 1
; LDSByteSize: 260 bytes/workgroup (compile time only)
; SGPRBlocks: 6
; VGPRBlocks: 5
; NumSGPRsForWavesPerEU: 54
; NumVGPRsForWavesPerEU: 48
; Occupancy: 16
; WaveLimiterHint : 0
; COMPUTE_PGM_RSRC2:SCRATCH_EN: 0
; COMPUTE_PGM_RSRC2:USER_SGPR: 14
; COMPUTE_PGM_RSRC2:TRAP_HANDLER: 0
; COMPUTE_PGM_RSRC2:TGID_X_EN: 1
; COMPUTE_PGM_RSRC2:TGID_Y_EN: 1
; COMPUTE_PGM_RSRC2:TGID_Z_EN: 0
; COMPUTE_PGM_RSRC2:TIDIG_COMP_CNT: 0
	.section	.text._Z35paged_attention_ll4mi_reduce_kernelIDF16_DF16_Li128ELi128ELi256ELi3EEvPT0_PKfS3_PKT_PKiS8_iS3_,"axG",@progbits,_Z35paged_attention_ll4mi_reduce_kernelIDF16_DF16_Li128ELi128ELi256ELi3EEvPT0_PKfS3_PKT_PKiS8_iS3_,comdat
	.protected	_Z35paged_attention_ll4mi_reduce_kernelIDF16_DF16_Li128ELi128ELi256ELi3EEvPT0_PKfS3_PKT_PKiS8_iS3_ ; -- Begin function _Z35paged_attention_ll4mi_reduce_kernelIDF16_DF16_Li128ELi128ELi256ELi3EEvPT0_PKfS3_PKT_PKiS8_iS3_
	.globl	_Z35paged_attention_ll4mi_reduce_kernelIDF16_DF16_Li128ELi128ELi256ELi3EEvPT0_PKfS3_PKT_PKiS8_iS3_
	.p2align	8
	.type	_Z35paged_attention_ll4mi_reduce_kernelIDF16_DF16_Li128ELi128ELi256ELi3EEvPT0_PKfS3_PKT_PKiS8_iS3_,@function
_Z35paged_attention_ll4mi_reduce_kernelIDF16_DF16_Li128ELi128ELi256ELi3EEvPT0_PKfS3_PKT_PKiS8_iS3_: ; @_Z35paged_attention_ll4mi_reduce_kernelIDF16_DF16_Li128ELi128ELi256ELi3EEvPT0_PKfS3_PKT_PKiS8_iS3_
; %bb.0:
	s_load_b64 s[12:13], s[0:1], 0x28
	s_mov_b32 s2, s15
	s_waitcnt lgkmcnt(0)
	s_cmp_lg_u64 s[12:13], 0
	s_cselect_b32 s15, -1, 0
	s_delay_alu instid0(SALU_CYCLE_1)
	s_and_b32 vcc_lo, exec_lo, s15
	s_cbranch_vccz .LBB268_17
; %bb.1:
	s_add_i32 s4, s2, 1
	s_mov_b32 s5, 0
	s_delay_alu instid0(SALU_CYCLE_1) | instskip(SKIP_4) | instid1(SALU_CYCLE_1)
	s_lshl_b64 s[6:7], s[4:5], 2
	s_mov_b32 s3, s5
	s_add_u32 s6, s12, s6
	s_addc_u32 s7, s13, s7
	s_lshl_b64 s[8:9], s[2:3], 2
	s_add_u32 s8, s12, s8
	s_addc_u32 s9, s13, s9
	s_clause 0x1
	s_load_b32 s4, s[6:7], 0x0
	s_load_b32 s6, s[8:9], 0x0
	s_waitcnt lgkmcnt(0)
	s_sub_i32 s4, s4, s6
	s_delay_alu instid0(SALU_CYCLE_1)
	s_cmp_eq_u32 s4, 1
	s_cselect_b32 s4, -1, 0
	s_cbranch_execnz .LBB268_3
.LBB268_2:
	s_mov_b32 s3, 0
	s_mov_b32 s4, -1
.LBB268_3:
	s_delay_alu instid0(SALU_CYCLE_1)
	s_and_not1_b32 vcc_lo, exec_lo, s4
	s_cbranch_vccz .LBB268_5
; %bb.4:
	s_endpgm
.LBB268_5:
	s_clause 0x1
	s_load_b128 s[4:7], s[0:1], 0x18
	s_load_b32 s9, s[0:1], 0x30
	s_lshl_b64 s[16:17], s[2:3], 2
	s_waitcnt lgkmcnt(0)
	s_add_u32 s6, s6, s16
	s_addc_u32 s7, s7, s17
	s_load_b32 s20, s[6:7], 0x0
	s_load_b32 s33, s[0:1], 0x40
	s_mul_i32 s7, s2, s9
	s_waitcnt lgkmcnt(0)
	s_add_i32 s48, s20, 0xff
	s_delay_alu instid0(SALU_CYCLE_1) | instskip(NEXT) | instid1(SALU_CYCLE_1)
	s_ashr_i32 s6, s48, 31
	s_lshr_b32 s6, s6, 24
	s_delay_alu instid0(SALU_CYCLE_1) | instskip(SKIP_4) | instid1(SALU_CYCLE_1)
	s_add_i32 s8, s48, s6
	s_mul_i32 s6, s14, s9
	s_mov_b32 s9, exec_lo
	v_cmpx_lt_u32_e32 31, v0
	s_xor_b32 s9, exec_lo, s9
	s_or_saveexec_b32 s22, s9
	v_mov_b32_e32 v1, s6
	s_ashr_i32 s21, s8, 8
	s_mul_i32 s18, s7, s33
	s_xor_b32 exec_lo, exec_lo, s22
	s_cbranch_execz .LBB268_9
; %bb.6:
	s_load_b128 s[8:11], s[0:1], 0x8
	v_or_b32_e32 v2, 32, v0
	v_cmp_gt_i32_e32 vcc_lo, s21, v0
	s_add_i32 s7, s21, -1
	v_or_b32_e32 v4, 64, v0
	s_mov_b32 s19, 0
	v_cndmask_b32_e32 v1, s7, v0, vcc_lo
	v_cmp_gt_i32_e32 vcc_lo, s21, v2
	s_lshl_b64 s[24:25], s[18:19], 2
	v_cndmask_b32_e32 v3, s7, v2, vcc_lo
	v_cmp_gt_i32_e32 vcc_lo, s21, v4
	v_ashrrev_i32_e32 v2, 31, v1
	v_cndmask_b32_e32 v5, s7, v4, vcc_lo
	s_delay_alu instid0(VALU_DEP_4) | instskip(SKIP_1) | instid1(VALU_DEP_3)
	v_ashrrev_i32_e32 v4, 31, v3
	s_mov_b32 s7, s19
	v_lshlrev_b64 v[1:2], 2, v[1:2]
	s_waitcnt lgkmcnt(0)
	s_add_u32 s19, s10, s24
	v_ashrrev_i32_e32 v6, 31, v5
	s_addc_u32 s23, s11, s25
	s_lshl_b64 s[10:11], s[6:7], 2
	v_lshlrev_b64 v[3:4], 2, v[3:4]
	s_add_u32 s7, s19, s10
	s_addc_u32 s19, s23, s11
	v_add_co_u32 v7, vcc_lo, s7, v1
	v_lshlrev_b64 v[5:6], 2, v[5:6]
	v_add_co_ci_u32_e32 v8, vcc_lo, s19, v2, vcc_lo
	v_add_co_u32 v9, vcc_lo, s7, v3
	v_add_co_ci_u32_e32 v10, vcc_lo, s19, v4, vcc_lo
	s_delay_alu instid0(VALU_DEP_4)
	v_add_co_u32 v11, vcc_lo, s7, v5
	v_add_co_ci_u32_e32 v12, vcc_lo, s19, v6, vcc_lo
	s_clause 0x2
	global_load_b32 v7, v[7:8], off
	global_load_b32 v8, v[9:10], off
	;; [unrolled: 1-line block ×3, first 2 shown]
	s_add_u32 s7, s8, s24
	s_addc_u32 s8, s9, s25
	s_add_u32 s7, s7, s10
	s_addc_u32 s8, s8, s11
	v_add_co_u32 v1, vcc_lo, s7, v1
	v_add_co_ci_u32_e32 v2, vcc_lo, s8, v2, vcc_lo
	v_add_co_u32 v3, vcc_lo, s7, v3
	v_add_co_ci_u32_e32 v4, vcc_lo, s8, v4, vcc_lo
	;; [unrolled: 2-line block ×3, first 2 shown]
	s_clause 0x2
	global_load_b32 v1, v[1:2], off
	global_load_b32 v2, v[3:4], off
	;; [unrolled: 1-line block ×3, first 2 shown]
	v_mbcnt_lo_u32_b32 v4, -1, 0
	s_mov_b32 s7, exec_lo
	s_delay_alu instid0(VALU_DEP_1)
	v_xor_b32_e32 v5, 16, v4
	v_xor_b32_e32 v11, 8, v4
	;; [unrolled: 1-line block ×5, first 2 shown]
	v_cmp_gt_i32_e32 vcc_lo, 32, v5
	v_cndmask_b32_e32 v5, v4, v5, vcc_lo
	v_cmp_gt_i32_e32 vcc_lo, 32, v11
	v_cndmask_b32_e32 v11, v4, v11, vcc_lo
	v_cmp_gt_i32_e32 vcc_lo, 32, v12
	s_delay_alu instid0(VALU_DEP_4) | instskip(NEXT) | instid1(VALU_DEP_3)
	v_lshlrev_b32_e32 v5, 2, v5
	v_dual_cndmask_b32 v12, v4, v12 :: v_dual_lshlrev_b32 v11, 2, v11
	v_cmp_gt_i32_e32 vcc_lo, 32, v13
	s_delay_alu instid0(VALU_DEP_2)
	v_lshlrev_b32_e32 v12, 2, v12
	s_waitcnt vmcnt(3)
	v_max3_f32 v6, v7, v8, v9
	ds_bpermute_b32 v10, v5, v6
	s_waitcnt lgkmcnt(0)
	v_max_f32_e32 v10, v10, v10
	s_delay_alu instid0(VALU_DEP_1) | instskip(SKIP_3) | instid1(VALU_DEP_1)
	v_max_f32_e32 v6, v6, v10
	ds_bpermute_b32 v10, v11, v6
	s_waitcnt lgkmcnt(0)
	v_max_f32_e32 v10, v10, v10
	v_max_f32_e32 v6, v6, v10
	ds_bpermute_b32 v10, v12, v6
	s_waitcnt lgkmcnt(0)
	v_dual_max_f32 v10, v10, v10 :: v_dual_cndmask_b32 v13, v4, v13
	v_cmp_gt_i32_e32 vcc_lo, 32, v14
	s_delay_alu instid0(VALU_DEP_2)
	v_dual_max_f32 v6, v6, v10 :: v_dual_lshlrev_b32 v13, 2, v13
	v_cndmask_b32_e32 v4, v4, v14, vcc_lo
	ds_bpermute_b32 v10, v13, v6
	v_lshlrev_b32_e32 v4, 2, v4
	s_waitcnt lgkmcnt(0)
	v_max_f32_e32 v10, v10, v10
	s_delay_alu instid0(VALU_DEP_1) | instskip(SKIP_3) | instid1(VALU_DEP_1)
	v_max_f32_e32 v6, v6, v10
	ds_bpermute_b32 v10, v4, v6
	s_waitcnt lgkmcnt(0)
	v_max_f32_e32 v10, v10, v10
	v_max_f32_e32 v6, v6, v10
	s_delay_alu instid0(VALU_DEP_1) | instskip(NEXT) | instid1(VALU_DEP_1)
	v_sub_f32_e32 v8, v8, v6
	v_mul_f32_e32 v10, 0x3fb8aa3b, v8
	s_delay_alu instid0(VALU_DEP_1) | instskip(SKIP_1) | instid1(VALU_DEP_2)
	v_fma_f32 v17, 0x3fb8aa3b, v8, -v10
	v_rndne_f32_e32 v18, v10
	v_fmac_f32_e32 v17, 0x32a5705f, v8
	v_sub_f32_e32 v7, v7, v6
	s_delay_alu instid0(VALU_DEP_1) | instskip(SKIP_1) | instid1(VALU_DEP_1)
	v_cmp_ngt_f32_e32 vcc_lo, 0xc2ce8ed0, v7
	v_dual_sub_f32 v6, v9, v6 :: v_dual_mul_f32 v9, 0x3fb8aa3b, v7
	v_fma_f32 v15, 0x3fb8aa3b, v7, -v9
	v_rndne_f32_e32 v16, v9
	s_delay_alu instid0(VALU_DEP_2) | instskip(NEXT) | instid1(VALU_DEP_2)
	v_fmac_f32_e32 v15, 0x32a5705f, v7
	v_sub_f32_e32 v9, v9, v16
	s_delay_alu instid0(VALU_DEP_1) | instskip(SKIP_2) | instid1(VALU_DEP_3)
	v_add_f32_e32 v9, v9, v15
	v_cvt_i32_f32_e32 v15, v16
	v_cvt_i32_f32_e32 v16, v18
	v_exp_f32_e32 v9, v9
	s_waitcnt_depctr 0xfff
	v_ldexp_f32 v9, v9, v15
	v_sub_nc_u32_e32 v15, s21, v0
	s_delay_alu instid0(VALU_DEP_2) | instskip(SKIP_2) | instid1(VALU_DEP_3)
	v_dual_cndmask_b32 v9, 0, v9 :: v_dual_mul_f32 v14, 0x3fb8aa3b, v6
	v_sub_f32_e32 v10, v10, v18
	v_cmp_ngt_f32_e32 vcc_lo, 0xc2ce8ed0, v8
	v_fma_f32 v19, 0x3fb8aa3b, v6, -v14
	v_rndne_f32_e32 v20, v14
	s_delay_alu instid0(VALU_DEP_2) | instskip(NEXT) | instid1(VALU_DEP_2)
	v_dual_add_f32 v10, v10, v17 :: v_dual_fmac_f32 v19, 0x32a5705f, v6
	v_sub_f32_e32 v14, v14, v20
	s_delay_alu instid0(VALU_DEP_2) | instskip(SKIP_1) | instid1(VALU_DEP_2)
	v_exp_f32_e32 v10, v10
	v_cvt_i32_f32_e32 v17, v20
	v_add_f32_e32 v14, v14, v19
	s_delay_alu instid0(VALU_DEP_1) | instskip(SKIP_2) | instid1(VALU_DEP_1)
	v_exp_f32_e32 v14, v14
	s_waitcnt_depctr 0xfff
	v_ldexp_f32 v10, v10, v16
	v_cndmask_b32_e32 v10, 0, v10, vcc_lo
	v_cmp_ngt_f32_e32 vcc_lo, 0xc2ce8ed0, v6
	v_ldexp_f32 v14, v14, v17
	s_delay_alu instid0(VALU_DEP_1)
	v_cndmask_b32_e32 v14, 0, v14, vcc_lo
	v_cmp_nlt_f32_e32 vcc_lo, 0x42b17218, v7
	v_cndmask_b32_e32 v7, 0x7f800000, v9, vcc_lo
	v_cmp_nlt_f32_e32 vcc_lo, 0x42b17218, v8
	;; [unrolled: 2-line block ×3, first 2 shown]
	v_cndmask_b32_e32 v6, 0x7f800000, v14, vcc_lo
	v_cmp_lt_i32_e32 vcc_lo, 0, v15
	v_cndmask_b32_e32 v7, 0, v7, vcc_lo
	v_cmp_lt_i32_e32 vcc_lo, 32, v15
	s_waitcnt vmcnt(2)
	s_delay_alu instid0(VALU_DEP_2) | instskip(SKIP_2) | instid1(VALU_DEP_2)
	v_dual_mul_f32 v7, v1, v7 :: v_dual_cndmask_b32 v8, 0, v8
	v_cmp_lt_i32_e32 vcc_lo, 64, v15
	s_waitcnt vmcnt(1)
	v_mul_f32_e32 v8, v2, v8
	s_delay_alu instid0(VALU_DEP_1) | instskip(SKIP_1) | instid1(VALU_DEP_1)
	v_dual_cndmask_b32 v6, 0, v6 :: v_dual_add_f32 v1, v7, v8
	s_waitcnt vmcnt(0)
	v_mul_f32_e32 v3, v3, v6
	s_delay_alu instid0(VALU_DEP_1)
	v_add_f32_e32 v1, v1, v3
	ds_bpermute_b32 v2, v5, v1
	s_waitcnt lgkmcnt(0)
	v_add_f32_e32 v1, v1, v2
	ds_bpermute_b32 v2, v11, v1
	s_waitcnt lgkmcnt(0)
	;; [unrolled: 3-line block ×4, first 2 shown]
	v_add_f32_e32 v1, v1, v2
	ds_bpermute_b32 v2, v4, v1
	v_lshlrev_b32_e32 v4, 2, v0
	ds_store_2addr_b32 v4, v7, v8 offset1:32
	ds_store_b32 v4, v3 offset:256
	v_cmpx_eq_u32_e32 0, v0
	s_cbranch_execz .LBB268_8
; %bb.7:
	s_waitcnt lgkmcnt(2)
	v_dual_add_f32 v1, v1, v2 :: v_dual_mov_b32 v2, 0
	ds_store_b32 v2, v1 offset:384
.LBB268_8:
	s_or_b32 exec_lo, exec_lo, s7
	v_mov_b32_e32 v1, s6
.LBB268_9:
	s_or_b32 exec_lo, exec_lo, s22
	s_lshl_b32 s6, s18, 7
	s_mov_b32 s7, 0
	s_waitcnt lgkmcnt(2)
	v_dual_mov_b32 v2, 0 :: v_dual_lshlrev_b32 v1, 7, v1
	s_lshl_b64 s[6:7], s[6:7], 1
	v_lshlrev_b32_e32 v0, 1, v0
	s_add_u32 s34, s4, s6
	s_addc_u32 s35, s5, s7
	s_lshl_b32 s49, s21, 7
	v_lshlrev_b64 v[3:4], 1, v[1:2]
	s_addk_i32 s49, 0xff80
	s_cmpk_lt_i32 s48, 0x100
	v_dual_mov_b32 v30, 0 :: v_dual_mov_b32 v33, 0
	s_cselect_b32 s4, s49, 0
	s_delay_alu instid0(VALU_DEP_2)
	v_add_co_u32 v1, vcc_lo, s34, v3
	s_ashr_i32 s5, s4, 31
	v_add_co_ci_u32_e32 v3, vcc_lo, s35, v4, vcc_lo
	s_lshl_b64 s[4:5], s[4:5], 1
	s_cmpk_lt_i32 s48, 0x200
	v_add_co_u32 v1, vcc_lo, v1, v0
	s_cselect_b32 s6, s49, 0x80
	v_add_co_ci_u32_e32 v3, vcc_lo, 0, v3, vcc_lo
	s_ashr_i32 s7, s6, 31
	s_delay_alu instid0(VALU_DEP_2)
	v_add_co_u32 v4, vcc_lo, v1, s4
	s_lshl_b64 s[6:7], s[6:7], 1
	s_cmpk_lt_i32 s48, 0x300
	v_add_co_ci_u32_e32 v5, vcc_lo, s5, v3, vcc_lo
	s_cselect_b32 s8, s49, 0x100
	v_add_co_u32 v8, vcc_lo, v1, s6
	s_ashr_i32 s9, s8, 31
	v_add_co_ci_u32_e32 v9, vcc_lo, s7, v3, vcc_lo
	s_lshl_b64 s[8:9], s[8:9], 1
	s_cmpk_lt_i32 s48, 0x400
	v_add_co_u32 v10, vcc_lo, v1, s8
	s_cselect_b32 s10, s49, 0x180
	v_add_co_ci_u32_e32 v11, vcc_lo, s9, v3, vcc_lo
	s_ashr_i32 s11, s10, 31
	v_dual_mov_b32 v32, 0 :: v_dual_mov_b32 v35, 0
	s_lshl_b64 s[10:11], s[10:11], 1
	s_cmpk_lt_i32 s48, 0x500
	v_add_co_u32 v12, vcc_lo, v1, s10
	s_cselect_b32 s18, s49, 0x200
	v_add_co_ci_u32_e32 v13, vcc_lo, s11, v3, vcc_lo
	s_ashr_i32 s19, s18, 31
	v_mov_b32_e32 v34, 0
	s_lshl_b64 s[18:19], s[18:19], 1
	s_cmpk_lt_i32 s48, 0x600
	v_add_co_u32 v14, vcc_lo, v1, s18
	s_cselect_b32 s22, s49, 0x280
	v_add_co_ci_u32_e32 v15, vcc_lo, s19, v3, vcc_lo
	s_ashr_i32 s23, s22, 31
	v_mov_b32_e32 v29, 0
	;; [unrolled: 7-line block ×3, first 2 shown]
	s_lshl_b64 s[24:25], s[24:25], 1
	s_cmpk_lt_i32 s48, 0x800
	v_add_co_u32 v18, vcc_lo, v1, s24
	s_cselect_b32 s26, s49, 0x380
	v_add_co_ci_u32_e32 v19, vcc_lo, s25, v3, vcc_lo
	s_ashr_i32 s27, s26, 31
	s_delay_alu instid0(SALU_CYCLE_1)
	s_lshl_b64 s[26:27], s[26:27], 1
	s_cmpk_lt_i32 s48, 0x900
	v_add_co_u32 v20, vcc_lo, v1, s26
	s_cselect_b32 s28, s49, 0x400
	v_add_co_ci_u32_e32 v21, vcc_lo, s27, v3, vcc_lo
	s_ashr_i32 s29, s28, 31
	s_clause 0x7
	global_load_u16 v7, v[4:5], off
	global_load_u16 v8, v[8:9], off
	global_load_u16 v9, v[10:11], off
	global_load_u16 v10, v[12:13], off
	global_load_u16 v11, v[14:15], off
	global_load_u16 v4, v[16:17], off
	global_load_u16 v5, v[18:19], off
	global_load_u16 v6, v[20:21], off
	s_lshl_b64 s[28:29], s[28:29], 1
	s_cmpk_lt_i32 s48, 0xa00
	v_add_co_u32 v12, vcc_lo, v1, s28
	s_cselect_b32 s30, s49, 0x480
	v_add_co_ci_u32_e32 v13, vcc_lo, s29, v3, vcc_lo
	s_ashr_i32 s31, s30, 31
	s_delay_alu instid0(SALU_CYCLE_1)
	s_lshl_b64 s[30:31], s[30:31], 1
	s_cmpk_lt_i32 s48, 0xb00
	v_add_co_u32 v15, vcc_lo, v1, s30
	s_cselect_b32 s34, s49, 0x500
	v_add_co_ci_u32_e32 v16, vcc_lo, s31, v3, vcc_lo
	s_ashr_i32 s35, s34, 31
	s_delay_alu instid0(SALU_CYCLE_1)
	;; [unrolled: 7-line block ×7, first 2 shown]
	s_lshl_b64 s[4:5], s[6:7], 1
	s_cmpk_gt_i32 s20, 0x1000
	v_add_co_u32 v27, vcc_lo, v1, s4
	v_add_co_ci_u32_e32 v28, vcc_lo, s5, v3, vcc_lo
	s_clause 0x7
	global_load_u16 v14, v[12:13], off
	global_load_u16 v15, v[15:16], off
	;; [unrolled: 1-line block ×8, first 2 shown]
	v_dual_mov_b32 v20, 0 :: v_dual_mov_b32 v23, 0
	v_dual_mov_b32 v21, 0 :: v_dual_mov_b32 v22, 0
	;; [unrolled: 1-line block ×4, first 2 shown]
	v_mov_b32_e32 v28, 0
	s_cselect_b32 s8, -1, 0
	s_cmpk_lt_i32 s20, 0x1001
	s_waitcnt vmcnt(0) lgkmcnt(0)
	s_barrier
	buffer_gl0_inv
	s_cbranch_scc1 .LBB268_11
; %bb.10:
	s_cmpk_lt_i32 s48, 0x1100
	s_cselect_b32 s4, s49, 0x800
	s_delay_alu instid0(SALU_CYCLE_1) | instskip(NEXT) | instid1(SALU_CYCLE_1)
	s_ashr_i32 s5, s4, 31
	s_lshl_b64 s[4:5], s[4:5], 1
	s_cmpk_lt_i32 s48, 0x1200
	v_add_co_u32 v20, vcc_lo, v1, s4
	s_cselect_b32 s6, s49, 0x880
	v_add_co_ci_u32_e32 v21, vcc_lo, s5, v3, vcc_lo
	s_ashr_i32 s7, s6, 31
	s_delay_alu instid0(SALU_CYCLE_1)
	s_lshl_b64 s[6:7], s[6:7], 1
	s_cmpk_lt_i32 s48, 0x1300
	v_add_co_u32 v22, vcc_lo, v1, s6
	s_cselect_b32 s10, s49, 0x900
	v_add_co_ci_u32_e32 v23, vcc_lo, s7, v3, vcc_lo
	s_ashr_i32 s11, s10, 31
	s_delay_alu instid0(SALU_CYCLE_1)
	;; [unrolled: 7-line block ×7, first 2 shown]
	s_lshl_b64 s[26:27], s[26:27], 1
	s_cmpk_lt_i32 s48, 0x1900
	v_add_co_u32 v34, vcc_lo, v1, s26
	s_cselect_b32 s28, s49, 0xc00
	v_add_co_ci_u32_e32 v35, vcc_lo, s27, v3, vcc_lo
	s_ashr_i32 s29, s28, 31
	s_clause 0x7
	global_load_u16 v36, v[20:21], off
	global_load_u16 v37, v[22:23], off
	;; [unrolled: 1-line block ×8, first 2 shown]
	s_lshl_b64 s[28:29], s[28:29], 1
	s_cmpk_lt_i32 s48, 0x1a00
	v_add_co_u32 v20, vcc_lo, v1, s28
	s_cselect_b32 s30, s49, 0xc80
	v_add_co_ci_u32_e32 v21, vcc_lo, s29, v3, vcc_lo
	s_ashr_i32 s31, s30, 31
	s_delay_alu instid0(SALU_CYCLE_1)
	s_lshl_b64 s[30:31], s[30:31], 1
	s_cmpk_lt_i32 s48, 0x1b00
	v_add_co_u32 v22, vcc_lo, v1, s30
	s_cselect_b32 s34, s49, 0xd00
	v_add_co_ci_u32_e32 v23, vcc_lo, s31, v3, vcc_lo
	s_ashr_i32 s35, s34, 31
	s_delay_alu instid0(SALU_CYCLE_1)
	;; [unrolled: 7-line block ×6, first 2 shown]
	s_lshl_b64 s[4:5], s[20:21], 1
	s_cmpk_lt_i32 s48, 0x2000
	v_add_co_u32 v32, vcc_lo, v1, s4
	s_cselect_b32 s6, s49, 0xf80
	v_add_co_ci_u32_e32 v33, vcc_lo, s5, v3, vcc_lo
	s_ashr_i32 s7, s6, 31
	s_delay_alu instid0(SALU_CYCLE_1) | instskip(NEXT) | instid1(SALU_CYCLE_1)
	s_lshl_b64 s[4:5], s[6:7], 1
	v_add_co_u32 v34, vcc_lo, v1, s4
	v_add_co_ci_u32_e32 v35, vcc_lo, s5, v3, vcc_lo
	s_clause 0x7
	global_load_u16 v20, v[20:21], off
	global_load_u16 v21, v[22:23], off
	;; [unrolled: 1-line block ×8, first 2 shown]
	s_waitcnt vmcnt(15)
	v_cvt_f32_f16_e32 v35, v36
	s_waitcnt vmcnt(14)
	v_cvt_f32_f16_e32 v34, v37
	;; [unrolled: 2-line block ×16, first 2 shown]
.LBB268_11:
	ds_load_b128 v[36:39], v2
	ds_load_b128 v[40:43], v2 offset:16
	s_and_not1_b32 vcc_lo, exec_lo, s8
	s_waitcnt lgkmcnt(1)
	v_fma_mix_f32 v7, v36, v7, 0 op_sel_hi:[0,1,0]
	s_delay_alu instid0(VALU_DEP_1) | instskip(NEXT) | instid1(VALU_DEP_1)
	v_fma_mix_f32 v7, v37, v8, v7 op_sel_hi:[0,1,0]
	v_fma_mix_f32 v7, v38, v9, v7 op_sel_hi:[0,1,0]
	s_delay_alu instid0(VALU_DEP_1)
	v_fma_mix_f32 v7, v39, v10, v7 op_sel_hi:[0,1,0]
	ds_load_b128 v[36:39], v2 offset:48
	s_waitcnt lgkmcnt(1)
	v_fma_mix_f32 v11, v40, v11, v7 op_sel_hi:[0,1,0]
	ds_load_b128 v[7:10], v2 offset:32
	v_fma_mix_f32 v4, v41, v4, v11 op_sel_hi:[0,1,0]
	s_delay_alu instid0(VALU_DEP_1) | instskip(NEXT) | instid1(VALU_DEP_1)
	v_fma_mix_f32 v4, v42, v5, v4 op_sel_hi:[0,1,0]
	v_fma_mix_f32 v4, v43, v6, v4 op_sel_hi:[0,1,0]
	s_waitcnt lgkmcnt(0)
	s_delay_alu instid0(VALU_DEP_1) | instskip(NEXT) | instid1(VALU_DEP_1)
	v_fma_mix_f32 v4, v7, v14, v4 op_sel_hi:[0,1,0]
	v_fma_mix_f32 v4, v8, v15, v4 op_sel_hi:[0,1,0]
	s_delay_alu instid0(VALU_DEP_1) | instskip(NEXT) | instid1(VALU_DEP_1)
	v_fma_mix_f32 v4, v9, v16, v4 op_sel_hi:[0,1,0]
	v_fma_mix_f32 v4, v10, v17, v4 op_sel_hi:[0,1,0]
	;; [unrolled: 3-line block ×4, first 2 shown]
	s_cbranch_vccz .LBB268_18
; %bb.12:
	s_cmpk_lt_i32 s48, 0x2100
	s_cbranch_scc0 .LBB268_19
.LBB268_13:
	s_load_b64 s[0:1], s[0:1], 0x0
	s_cmpk_lt_i32 s48, 0x4100
	s_cbranch_scc0 .LBB268_20
.LBB268_14:
	v_mov_b32_e32 v1, 0
	s_and_not1_b32 vcc_lo, exec_lo, s15
	ds_load_b32 v1, v1 offset:384
	s_cbranch_vccnz .LBB268_16
.LBB268_15:
	s_add_u32 s2, s12, s16
	s_addc_u32 s3, s13, s17
	s_load_b32 s2, s[2:3], 0x0
	s_mov_b32 s3, 0
.LBB268_16:
	s_waitcnt lgkmcnt(0)
	v_add_f32_e32 v1, 0x358637bd, v1
	s_mul_i32 s3, s33, s3
	s_mul_hi_u32 s4, s33, s2
	s_mul_i32 s2, s33, s2
	s_add_i32 s3, s4, s3
	v_div_scale_f32 v2, null, v1, v1, 1.0
	s_lshl_b64 s[2:3], s[2:3], 8
	s_mov_b32 s15, 0
	s_add_u32 s2, s0, s2
	s_delay_alu instid0(VALU_DEP_1) | instskip(SKIP_2) | instid1(SALU_CYCLE_1)
	v_rcp_f32_e32 v3, v2
	s_addc_u32 s3, s1, s3
	s_lshl_b64 s[0:1], s[14:15], 8
	s_add_u32 s0, s2, s0
	s_addc_u32 s1, s3, s1
	s_waitcnt_depctr 0xfff
	v_fma_f32 v5, -v2, v3, 1.0
	s_delay_alu instid0(VALU_DEP_1) | instskip(SKIP_1) | instid1(VALU_DEP_1)
	v_fmac_f32_e32 v3, v5, v3
	v_div_scale_f32 v5, vcc_lo, 1.0, v1, 1.0
	v_mul_f32_e32 v6, v5, v3
	s_delay_alu instid0(VALU_DEP_1) | instskip(NEXT) | instid1(VALU_DEP_1)
	v_fma_f32 v7, -v2, v6, v5
	v_fmac_f32_e32 v6, v7, v3
	s_delay_alu instid0(VALU_DEP_1) | instskip(NEXT) | instid1(VALU_DEP_1)
	v_fma_f32 v2, -v2, v6, v5
	v_div_fmas_f32 v2, v2, v3, v6
	s_delay_alu instid0(VALU_DEP_1) | instskip(NEXT) | instid1(VALU_DEP_1)
	v_div_fixup_f32 v1, v2, v1, 1.0
	v_fma_mixlo_f16 v1, v4, v1, 0
	global_store_b16 v0, v1, s[0:1]
	s_nop 0
	s_sendmsg sendmsg(MSG_DEALLOC_VGPRS)
	s_endpgm
.LBB268_17:
	s_mov_b32 s4, 0
	s_branch .LBB268_2
.LBB268_18:
	ds_load_b128 v[5:8], v2 offset:64
	ds_load_b128 v[9:12], v2 offset:80
	s_waitcnt lgkmcnt(1)
	v_fmac_f32_e32 v4, v5, v35
	s_delay_alu instid0(VALU_DEP_1) | instskip(NEXT) | instid1(VALU_DEP_1)
	v_fmac_f32_e32 v4, v6, v34
	v_fmac_f32_e32 v4, v7, v33
	s_delay_alu instid0(VALU_DEP_1) | instskip(SKIP_3) | instid1(VALU_DEP_1)
	v_fmac_f32_e32 v4, v8, v32
	ds_load_b128 v[5:8], v2 offset:96
	s_waitcnt lgkmcnt(1)
	v_fmac_f32_e32 v4, v9, v31
	v_fmac_f32_e32 v4, v10, v30
	s_delay_alu instid0(VALU_DEP_1) | instskip(NEXT) | instid1(VALU_DEP_1)
	v_fmac_f32_e32 v4, v11, v29
	v_fmac_f32_e32 v4, v12, v28
	ds_load_b128 v[9:12], v2 offset:112
	s_waitcnt lgkmcnt(1)
	v_fmac_f32_e32 v4, v5, v27
	s_delay_alu instid0(VALU_DEP_1) | instskip(NEXT) | instid1(VALU_DEP_1)
	v_fmac_f32_e32 v4, v6, v26
	v_fmac_f32_e32 v4, v7, v25
	s_delay_alu instid0(VALU_DEP_1) | instskip(SKIP_1) | instid1(VALU_DEP_1)
	v_fmac_f32_e32 v4, v8, v24
	s_waitcnt lgkmcnt(0)
	v_fmac_f32_e32 v4, v9, v23
	s_delay_alu instid0(VALU_DEP_1) | instskip(NEXT) | instid1(VALU_DEP_1)
	v_fmac_f32_e32 v4, v10, v22
	v_fmac_f32_e32 v4, v11, v21
	s_delay_alu instid0(VALU_DEP_1)
	v_fmac_f32_e32 v4, v12, v20
	s_cmpk_lt_i32 s48, 0x2100
	s_cbranch_scc1 .LBB268_13
.LBB268_19:
	s_cmpk_lt_u32 s48, 0x2200
	v_add_co_u32 v5, vcc_lo, 0x2000, v1
	s_cselect_b32 s4, s49, 0x1080
	v_add_co_ci_u32_e32 v6, vcc_lo, 0, v3, vcc_lo
	s_ashr_i32 s5, s4, 31
	v_mov_b32_e32 v44, 0
	s_lshl_b64 s[4:5], s[4:5], 1
	s_cmpk_lt_u32 s48, 0x2300
	v_add_co_u32 v7, vcc_lo, v1, s4
	s_cselect_b32 s6, s49, 0x1100
	v_add_co_ci_u32_e32 v8, vcc_lo, s5, v3, vcc_lo
	s_ashr_i32 s7, s6, 31
	s_delay_alu instid0(SALU_CYCLE_1)
	s_lshl_b64 s[6:7], s[6:7], 1
	s_cmpk_lt_u32 s48, 0x2400
	v_add_co_u32 v9, vcc_lo, v1, s6
	s_cselect_b32 s8, s49, 0x1180
	v_add_co_ci_u32_e32 v10, vcc_lo, s7, v3, vcc_lo
	s_ashr_i32 s9, s8, 31
	s_delay_alu instid0(SALU_CYCLE_1)
	;; [unrolled: 7-line block ×6, first 2 shown]
	s_lshl_b64 s[26:27], s[18:19], 1
	s_cmpk_lt_u32 s48, 0x2900
	v_add_co_u32 v19, vcc_lo, v1, s26
	s_cselect_b32 s18, s49, 0x1400
	v_add_co_ci_u32_e32 v20, vcc_lo, s27, v3, vcc_lo
	s_ashr_i32 s19, s18, 31
	s_clause 0x7
	global_load_u16 v2, v[5:6], off
	global_load_u16 v21, v[7:8], off
	;; [unrolled: 1-line block ×8, first 2 shown]
	s_lshl_b64 s[18:19], s[18:19], 1
	s_cmpk_lt_u32 s48, 0x2a00
	v_add_co_u32 v5, vcc_lo, v1, s18
	s_cselect_b32 s24, s49, 0x1480
	v_add_co_ci_u32_e32 v6, vcc_lo, s19, v3, vcc_lo
	s_ashr_i32 s25, s24, 31
	s_delay_alu instid0(SALU_CYCLE_1)
	s_lshl_b64 s[24:25], s[24:25], 1
	s_cmpk_lt_u32 s48, 0x2b00
	v_add_co_u32 v7, vcc_lo, v1, s24
	s_cselect_b32 s28, s49, 0x1500
	v_add_co_ci_u32_e32 v8, vcc_lo, s25, v3, vcc_lo
	s_ashr_i32 s29, s28, 31
	s_delay_alu instid0(SALU_CYCLE_1)
	s_lshl_b64 s[28:29], s[28:29], 1
	s_cmpk_lt_u32 s48, 0x2c00
	v_add_co_u32 v9, vcc_lo, v1, s28
	s_cselect_b32 s30, s49, 0x1580
	v_add_co_ci_u32_e32 v10, vcc_lo, s29, v3, vcc_lo
	s_ashr_i32 s31, s30, 31
	s_delay_alu instid0(SALU_CYCLE_1)
	s_lshl_b64 s[30:31], s[30:31], 1
	s_cmpk_lt_u32 s48, 0x2d00
	v_add_co_u32 v11, vcc_lo, v1, s30
	s_cselect_b32 s34, s49, 0x1600
	v_add_co_ci_u32_e32 v12, vcc_lo, s31, v3, vcc_lo
	s_ashr_i32 s35, s34, 31
	s_delay_alu instid0(SALU_CYCLE_1)
	s_lshl_b64 s[34:35], s[34:35], 1
	s_cmpk_lt_u32 s48, 0x2e00
	v_add_co_u32 v13, vcc_lo, v1, s34
	s_cselect_b32 s36, s49, 0x1680
	v_add_co_ci_u32_e32 v14, vcc_lo, s35, v3, vcc_lo
	s_ashr_i32 s37, s36, 31
	s_delay_alu instid0(SALU_CYCLE_1)
	s_lshl_b64 s[38:39], s[36:37], 1
	s_cmpk_lt_u32 s48, 0x2f00
	v_add_co_u32 v15, vcc_lo, v1, s38
	s_cselect_b32 s36, s49, 0x1700
	v_add_co_ci_u32_e32 v16, vcc_lo, s39, v3, vcc_lo
	s_ashr_i32 s37, s36, 31
	s_delay_alu instid0(SALU_CYCLE_1)
	s_lshl_b64 s[40:41], s[36:37], 1
	s_cmpk_lt_u32 s48, 0x3000
	v_add_co_u32 v17, vcc_lo, v1, s40
	s_cselect_b32 s36, s49, 0x1780
	v_add_co_ci_u32_e32 v18, vcc_lo, s41, v3, vcc_lo
	s_ashr_i32 s37, s36, 31
	s_delay_alu instid0(SALU_CYCLE_1)
	s_lshl_b64 s[44:45], s[36:37], 1
	s_cmpk_lt_u32 s48, 0x3100
	v_add_co_u32 v19, vcc_lo, v1, s44
	s_cselect_b32 s36, s49, 0x1800
	v_add_co_ci_u32_e32 v20, vcc_lo, s45, v3, vcc_lo
	s_ashr_i32 s37, s36, 31
	s_clause 0x7
	global_load_u16 v28, v[5:6], off
	global_load_u16 v29, v[7:8], off
	;; [unrolled: 1-line block ×8, first 2 shown]
	s_lshl_b64 s[36:37], s[36:37], 1
	s_cmpk_lt_u32 s48, 0x3200
	v_add_co_u32 v5, vcc_lo, v1, s36
	s_cselect_b32 s42, s49, 0x1880
	v_add_co_ci_u32_e32 v6, vcc_lo, s37, v3, vcc_lo
	s_ashr_i32 s43, s42, 31
	s_delay_alu instid0(SALU_CYCLE_1)
	s_lshl_b64 s[42:43], s[42:43], 1
	s_cmpk_lt_u32 s48, 0x3300
	v_add_co_u32 v7, vcc_lo, v1, s42
	s_cselect_b32 s46, s49, 0x1900
	v_add_co_ci_u32_e32 v8, vcc_lo, s43, v3, vcc_lo
	s_ashr_i32 s47, s46, 31
	s_delay_alu instid0(SALU_CYCLE_1)
	;; [unrolled: 7-line block ×5, first 2 shown]
	s_lshl_b64 s[8:9], s[8:9], 1
	s_cmpk_lt_u32 s48, 0x3700
	v_add_co_u32 v15, vcc_lo, v1, s8
	s_cselect_b32 s10, s49, 0x1b00
	v_add_co_ci_u32_e32 v16, vcc_lo, s9, v3, vcc_lo
	s_ashr_i32 s11, s10, 31
	s_clause 0x5
	global_load_u16 v19, v[5:6], off
	global_load_u16 v20, v[7:8], off
	;; [unrolled: 1-line block ×6, first 2 shown]
	s_lshl_b64 s[10:11], s[10:11], 1
	s_cmpk_lt_u32 s48, 0x3800
	v_add_co_u32 v5, vcc_lo, v1, s10
	s_cselect_b32 s18, s49, 0x1b80
	v_add_co_ci_u32_e32 v6, vcc_lo, s11, v3, vcc_lo
	s_ashr_i32 s19, s18, 31
	s_delay_alu instid0(SALU_CYCLE_1)
	s_lshl_b64 s[18:19], s[18:19], 1
	s_cmpk_lt_u32 s48, 0x3900
	v_add_co_u32 v7, vcc_lo, v1, s18
	s_cselect_b32 s20, s49, 0x1c00
	v_add_co_ci_u32_e32 v8, vcc_lo, s19, v3, vcc_lo
	s_ashr_i32 s21, s20, 31
	global_load_u16 v16, v[5:6], off
	s_lshl_b64 s[20:21], s[20:21], 1
	global_load_u16 v37, v[7:8], off
	s_cmpk_lt_u32 s48, 0x3a00
	v_add_co_u32 v9, vcc_lo, v1, s20
	s_cselect_b32 s22, s49, 0x1c80
	v_add_co_ci_u32_e32 v10, vcc_lo, s21, v3, vcc_lo
	s_ashr_i32 s23, s22, 31
	s_delay_alu instid0(SALU_CYCLE_1)
	s_lshl_b64 s[22:23], s[22:23], 1
	s_cmpk_lt_u32 s48, 0x3b00
	v_add_co_u32 v11, vcc_lo, v1, s22
	s_cselect_b32 s4, s49, 0x1d00
	v_add_co_ci_u32_e32 v12, vcc_lo, s23, v3, vcc_lo
	s_ashr_i32 s5, s4, 31
	s_delay_alu instid0(SALU_CYCLE_1)
	s_lshl_b64 s[4:5], s[4:5], 1
	s_cmpk_lt_u32 s48, 0x3c00
	v_add_co_u32 v13, vcc_lo, v1, s4
	s_cselect_b32 s6, s49, 0x1d80
	v_add_co_ci_u32_e32 v14, vcc_lo, s5, v3, vcc_lo
	s_ashr_i32 s7, s6, 31
	s_clause 0x2
	global_load_u16 v38, v[9:10], off
	global_load_u16 v39, v[11:12], off
	;; [unrolled: 1-line block ×3, first 2 shown]
	s_lshl_b64 s[6:7], s[6:7], 1
	s_cmpk_lt_u32 s48, 0x3d00
	v_add_co_u32 v5, vcc_lo, v1, s6
	s_cselect_b32 s8, s49, 0x1e00
	v_add_co_ci_u32_e32 v6, vcc_lo, s7, v3, vcc_lo
	s_ashr_i32 s9, s8, 31
	s_delay_alu instid0(SALU_CYCLE_1)
	s_lshl_b64 s[4:5], s[8:9], 1
	s_cmpk_lt_u32 s48, 0x3e00
	v_add_co_u32 v7, vcc_lo, v1, s4
	s_cselect_b32 s8, s49, 0x1e80
	v_add_co_ci_u32_e32 v8, vcc_lo, s5, v3, vcc_lo
	s_ashr_i32 s9, s8, 31
	global_load_u16 v14, v[5:6], off
	s_lshl_b64 s[8:9], s[8:9], 1
	s_cmpk_lt_u32 s48, 0x3f00
	v_add_co_u32 v9, vcc_lo, v1, s8
	s_cselect_b32 s6, s49, 0x1f00
	v_add_co_ci_u32_e32 v10, vcc_lo, s9, v3, vcc_lo
	s_ashr_i32 s7, s6, 31
	s_clause 0x1
	global_load_u16 v40, v[7:8], off
	global_load_u16 v41, v[9:10], off
	s_lshl_b64 s[4:5], s[6:7], 1
	s_cmpk_lt_u32 s48, 0x4000
	v_add_co_u32 v5, vcc_lo, v1, s4
	s_cselect_b32 s6, s49, 0x1f80
	v_add_co_ci_u32_e32 v6, vcc_lo, s5, v3, vcc_lo
	s_ashr_i32 s7, s6, 31
	s_delay_alu instid0(SALU_CYCLE_1) | instskip(NEXT) | instid1(SALU_CYCLE_1)
	s_lshl_b64 s[4:5], s[6:7], 1
	v_add_co_u32 v7, vcc_lo, v1, s4
	v_add_co_ci_u32_e32 v8, vcc_lo, s5, v3, vcc_lo
	s_clause 0x1
	global_load_u16 v42, v[5:6], off
	global_load_u16 v43, v[7:8], off
	ds_load_b128 v[5:8], v44 offset:128
	ds_load_b128 v[9:12], v44 offset:144
	s_waitcnt vmcnt(31) lgkmcnt(1)
	v_fma_mix_f32 v2, v5, v2, v4 op_sel_hi:[0,1,0]
	s_waitcnt vmcnt(30)
	s_delay_alu instid0(VALU_DEP_1) | instskip(SKIP_1) | instid1(VALU_DEP_1)
	v_fma_mix_f32 v2, v6, v21, v2 op_sel_hi:[0,1,0]
	s_waitcnt vmcnt(29)
	v_fma_mix_f32 v2, v7, v22, v2 op_sel_hi:[0,1,0]
	ds_load_b128 v[4:7], v44 offset:160
	s_waitcnt vmcnt(28)
	v_fma_mix_f32 v2, v8, v23, v2 op_sel_hi:[0,1,0]
	s_waitcnt vmcnt(27) lgkmcnt(1)
	s_delay_alu instid0(VALU_DEP_1) | instskip(SKIP_1) | instid1(VALU_DEP_1)
	v_fma_mix_f32 v2, v9, v24, v2 op_sel_hi:[0,1,0]
	s_waitcnt vmcnt(26)
	v_fma_mix_f32 v2, v10, v25, v2 op_sel_hi:[0,1,0]
	s_waitcnt vmcnt(25)
	s_delay_alu instid0(VALU_DEP_1) | instskip(SKIP_4) | instid1(VALU_DEP_1)
	v_fma_mix_f32 v2, v11, v26, v2 op_sel_hi:[0,1,0]
	ds_load_b128 v[8:11], v44 offset:176
	s_waitcnt vmcnt(24)
	v_fma_mix_f32 v2, v12, v27, v2 op_sel_hi:[0,1,0]
	s_waitcnt vmcnt(23) lgkmcnt(1)
	v_fma_mix_f32 v2, v4, v28, v2 op_sel_hi:[0,1,0]
	s_waitcnt vmcnt(22)
	s_delay_alu instid0(VALU_DEP_1) | instskip(SKIP_1) | instid1(VALU_DEP_1)
	v_fma_mix_f32 v2, v5, v29, v2 op_sel_hi:[0,1,0]
	s_waitcnt vmcnt(21)
	v_fma_mix_f32 v2, v6, v30, v2 op_sel_hi:[0,1,0]
	s_waitcnt vmcnt(20)
	s_delay_alu instid0(VALU_DEP_1) | instskip(SKIP_4) | instid1(VALU_DEP_1)
	v_fma_mix_f32 v2, v7, v31, v2 op_sel_hi:[0,1,0]
	ds_load_b128 v[4:7], v44 offset:192
	s_waitcnt vmcnt(19) lgkmcnt(1)
	v_fma_mix_f32 v2, v8, v32, v2 op_sel_hi:[0,1,0]
	s_waitcnt vmcnt(18)
	v_fma_mix_f32 v2, v9, v33, v2 op_sel_hi:[0,1,0]
	s_waitcnt vmcnt(17)
	s_delay_alu instid0(VALU_DEP_1) | instskip(SKIP_1) | instid1(VALU_DEP_1)
	v_fma_mix_f32 v2, v10, v17, v2 op_sel_hi:[0,1,0]
	s_waitcnt vmcnt(16)
	v_fma_mix_f32 v2, v11, v18, v2 op_sel_hi:[0,1,0]
	ds_load_b128 v[8:11], v44 offset:208
	s_waitcnt vmcnt(15) lgkmcnt(1)
	v_fma_mix_f32 v2, v4, v19, v2 op_sel_hi:[0,1,0]
	s_waitcnt vmcnt(14)
	s_delay_alu instid0(VALU_DEP_1) | instskip(SKIP_1) | instid1(VALU_DEP_1)
	v_fma_mix_f32 v2, v5, v20, v2 op_sel_hi:[0,1,0]
	s_waitcnt vmcnt(13)
	v_fma_mix_f32 v2, v6, v34, v2 op_sel_hi:[0,1,0]
	s_waitcnt vmcnt(12)
	s_delay_alu instid0(VALU_DEP_1) | instskip(SKIP_4) | instid1(VALU_DEP_1)
	v_fma_mix_f32 v2, v7, v35, v2 op_sel_hi:[0,1,0]
	ds_load_b128 v[4:7], v44 offset:224
	s_waitcnt vmcnt(11) lgkmcnt(1)
	v_fma_mix_f32 v2, v8, v36, v2 op_sel_hi:[0,1,0]
	s_waitcnt vmcnt(10)
	v_fma_mix_f32 v2, v9, v15, v2 op_sel_hi:[0,1,0]
	s_waitcnt vmcnt(9)
	s_delay_alu instid0(VALU_DEP_1) | instskip(SKIP_1) | instid1(VALU_DEP_1)
	v_fma_mix_f32 v2, v10, v16, v2 op_sel_hi:[0,1,0]
	s_waitcnt vmcnt(8)
	v_fma_mix_f32 v2, v11, v37, v2 op_sel_hi:[0,1,0]
	ds_load_b128 v[8:11], v44 offset:240
	s_waitcnt vmcnt(7) lgkmcnt(1)
	v_fma_mix_f32 v2, v4, v38, v2 op_sel_hi:[0,1,0]
	s_waitcnt vmcnt(6)
	s_delay_alu instid0(VALU_DEP_1) | instskip(SKIP_1) | instid1(VALU_DEP_1)
	v_fma_mix_f32 v2, v5, v39, v2 op_sel_hi:[0,1,0]
	s_waitcnt vmcnt(5)
	v_fma_mix_f32 v2, v6, v13, v2 op_sel_hi:[0,1,0]
	s_waitcnt vmcnt(4)
	s_delay_alu instid0(VALU_DEP_1) | instskip(SKIP_1) | instid1(VALU_DEP_1)
	v_fma_mix_f32 v2, v7, v14, v2 op_sel_hi:[0,1,0]
	s_waitcnt vmcnt(3) lgkmcnt(0)
	v_fma_mix_f32 v2, v8, v40, v2 op_sel_hi:[0,1,0]
	s_waitcnt vmcnt(2)
	s_delay_alu instid0(VALU_DEP_1) | instskip(SKIP_1) | instid1(VALU_DEP_1)
	v_fma_mix_f32 v2, v9, v41, v2 op_sel_hi:[0,1,0]
	s_waitcnt vmcnt(1)
	v_fma_mix_f32 v2, v10, v42, v2 op_sel_hi:[0,1,0]
	s_waitcnt vmcnt(0)
	s_delay_alu instid0(VALU_DEP_1)
	v_fma_mix_f32 v4, v11, v43, v2 op_sel_hi:[0,1,0]
	s_load_b64 s[0:1], s[0:1], 0x0
	s_cmpk_lt_i32 s48, 0x4100
	s_cbranch_scc1 .LBB268_14
.LBB268_20:
	s_cmpk_lt_u32 s48, 0x4200
	v_add_co_u32 v5, vcc_lo, 0x4000, v1
	s_cselect_b32 s4, s49, 0x2080
	v_add_co_ci_u32_e32 v6, vcc_lo, 0, v3, vcc_lo
	s_ashr_i32 s5, s4, 31
	v_mov_b32_e32 v45, 0
	s_lshl_b64 s[4:5], s[4:5], 1
	s_cmpk_lt_u32 s48, 0x4300
	v_add_co_u32 v7, vcc_lo, v1, s4
	s_cselect_b32 s6, s49, 0x2100
	v_add_co_ci_u32_e32 v8, vcc_lo, s5, v3, vcc_lo
	s_ashr_i32 s7, s6, 31
	s_delay_alu instid0(SALU_CYCLE_1)
	s_lshl_b64 s[6:7], s[6:7], 1
	s_cmpk_lt_u32 s48, 0x4400
	v_add_co_u32 v9, vcc_lo, v1, s6
	s_cselect_b32 s8, s49, 0x2180
	v_add_co_ci_u32_e32 v10, vcc_lo, s7, v3, vcc_lo
	s_ashr_i32 s9, s8, 31
	s_delay_alu instid0(SALU_CYCLE_1)
	;; [unrolled: 7-line block ×6, first 2 shown]
	s_lshl_b64 s[26:27], s[18:19], 1
	s_cmpk_lt_u32 s48, 0x4900
	v_add_co_u32 v19, vcc_lo, v1, s26
	s_cselect_b32 s18, s49, 0x2400
	v_add_co_ci_u32_e32 v20, vcc_lo, s27, v3, vcc_lo
	s_ashr_i32 s19, s18, 31
	s_clause 0x7
	global_load_u16 v21, v[5:6], off
	global_load_u16 v22, v[7:8], off
	;; [unrolled: 1-line block ×8, first 2 shown]
	s_lshl_b64 s[18:19], s[18:19], 1
	s_cmpk_lt_u32 s48, 0x4a00
	v_add_co_u32 v5, vcc_lo, v1, s18
	s_cselect_b32 s24, s49, 0x2480
	v_add_co_ci_u32_e32 v6, vcc_lo, s19, v3, vcc_lo
	s_ashr_i32 s25, s24, 31
	s_delay_alu instid0(SALU_CYCLE_1)
	s_lshl_b64 s[24:25], s[24:25], 1
	s_cmpk_lt_u32 s48, 0x4b00
	v_add_co_u32 v7, vcc_lo, v1, s24
	s_cselect_b32 s28, s49, 0x2500
	v_add_co_ci_u32_e32 v8, vcc_lo, s25, v3, vcc_lo
	s_ashr_i32 s29, s28, 31
	s_delay_alu instid0(SALU_CYCLE_1)
	;; [unrolled: 7-line block ×7, first 2 shown]
	s_lshl_b64 s[44:45], s[36:37], 1
	s_cmpk_lt_u32 s48, 0x5100
	v_add_co_u32 v19, vcc_lo, v1, s44
	s_cselect_b32 s36, s49, 0x2800
	v_add_co_ci_u32_e32 v20, vcc_lo, s45, v3, vcc_lo
	s_ashr_i32 s37, s36, 31
	s_clause 0x7
	global_load_u16 v29, v[5:6], off
	global_load_u16 v30, v[7:8], off
	;; [unrolled: 1-line block ×8, first 2 shown]
	s_lshl_b64 s[36:37], s[36:37], 1
	s_cmpk_lt_u32 s48, 0x5200
	v_add_co_u32 v5, vcc_lo, v1, s36
	s_cselect_b32 s42, s49, 0x2880
	v_add_co_ci_u32_e32 v6, vcc_lo, s37, v3, vcc_lo
	s_ashr_i32 s43, s42, 31
	s_delay_alu instid0(SALU_CYCLE_1)
	s_lshl_b64 s[42:43], s[42:43], 1
	s_cmpk_lt_u32 s48, 0x5300
	v_add_co_u32 v7, vcc_lo, v1, s42
	s_cselect_b32 s46, s49, 0x2900
	v_add_co_ci_u32_e32 v8, vcc_lo, s43, v3, vcc_lo
	s_ashr_i32 s47, s46, 31
	s_delay_alu instid0(SALU_CYCLE_1)
	;; [unrolled: 7-line block ×5, first 2 shown]
	s_lshl_b64 s[8:9], s[8:9], 1
	s_cmpk_lt_u32 s48, 0x5700
	v_add_co_u32 v15, vcc_lo, v1, s8
	s_cselect_b32 s10, s49, 0x2b00
	v_add_co_ci_u32_e32 v16, vcc_lo, s9, v3, vcc_lo
	s_ashr_i32 s11, s10, 31
	s_clause 0x5
	global_load_u16 v19, v[5:6], off
	global_load_u16 v20, v[7:8], off
	;; [unrolled: 1-line block ×6, first 2 shown]
	s_lshl_b64 s[10:11], s[10:11], 1
	s_cmpk_lt_u32 s48, 0x5800
	v_add_co_u32 v5, vcc_lo, v1, s10
	s_cselect_b32 s18, s49, 0x2b80
	v_add_co_ci_u32_e32 v6, vcc_lo, s11, v3, vcc_lo
	s_ashr_i32 s19, s18, 31
	s_delay_alu instid0(SALU_CYCLE_1)
	s_lshl_b64 s[18:19], s[18:19], 1
	s_cmpk_lt_u32 s48, 0x5900
	v_add_co_u32 v7, vcc_lo, v1, s18
	s_cselect_b32 s20, s49, 0x2c00
	v_add_co_ci_u32_e32 v8, vcc_lo, s19, v3, vcc_lo
	s_ashr_i32 s21, s20, 31
	global_load_u16 v16, v[5:6], off
	s_lshl_b64 s[20:21], s[20:21], 1
	global_load_u16 v38, v[7:8], off
	s_cmpk_lt_u32 s48, 0x5a00
	v_add_co_u32 v9, vcc_lo, v1, s20
	s_cselect_b32 s22, s49, 0x2c80
	v_add_co_ci_u32_e32 v10, vcc_lo, s21, v3, vcc_lo
	s_ashr_i32 s23, s22, 31
	s_delay_alu instid0(SALU_CYCLE_1)
	s_lshl_b64 s[22:23], s[22:23], 1
	s_cmpk_lt_u32 s48, 0x5b00
	v_add_co_u32 v11, vcc_lo, v1, s22
	s_cselect_b32 s4, s49, 0x2d00
	v_add_co_ci_u32_e32 v12, vcc_lo, s23, v3, vcc_lo
	s_ashr_i32 s5, s4, 31
	s_delay_alu instid0(SALU_CYCLE_1)
	s_lshl_b64 s[4:5], s[4:5], 1
	s_cmpk_lt_u32 s48, 0x5c00
	v_add_co_u32 v13, vcc_lo, v1, s4
	s_cselect_b32 s6, s49, 0x2d80
	v_add_co_ci_u32_e32 v14, vcc_lo, s5, v3, vcc_lo
	s_ashr_i32 s7, s6, 31
	s_clause 0x2
	global_load_u16 v39, v[9:10], off
	global_load_u16 v40, v[11:12], off
	;; [unrolled: 1-line block ×3, first 2 shown]
	s_lshl_b64 s[6:7], s[6:7], 1
	s_cmpk_lt_u32 s48, 0x5d00
	v_add_co_u32 v5, vcc_lo, v1, s6
	s_cselect_b32 s8, s49, 0x2e00
	v_add_co_ci_u32_e32 v6, vcc_lo, s7, v3, vcc_lo
	s_ashr_i32 s9, s8, 31
	s_delay_alu instid0(SALU_CYCLE_1)
	s_lshl_b64 s[4:5], s[8:9], 1
	s_cmpk_lt_u32 s48, 0x5e00
	v_add_co_u32 v7, vcc_lo, v1, s4
	s_cselect_b32 s8, s49, 0x2e80
	v_add_co_ci_u32_e32 v8, vcc_lo, s5, v3, vcc_lo
	s_ashr_i32 s9, s8, 31
	global_load_u16 v14, v[5:6], off
	s_lshl_b64 s[8:9], s[8:9], 1
	s_cmpk_lt_u32 s48, 0x5f00
	v_add_co_u32 v9, vcc_lo, v1, s8
	s_cselect_b32 s6, s49, 0x2f00
	v_add_co_ci_u32_e32 v10, vcc_lo, s9, v3, vcc_lo
	s_ashr_i32 s7, s6, 31
	s_clause 0x1
	global_load_u16 v41, v[7:8], off
	global_load_u16 v42, v[9:10], off
	s_lshl_b64 s[4:5], s[6:7], 1
	s_cmpk_lt_u32 s48, 0x6000
	v_add_co_u32 v5, vcc_lo, v1, s4
	s_cselect_b32 s6, s49, 0x2f80
	v_add_co_ci_u32_e32 v6, vcc_lo, s5, v3, vcc_lo
	s_ashr_i32 s7, s6, 31
	s_delay_alu instid0(SALU_CYCLE_1) | instskip(NEXT) | instid1(SALU_CYCLE_1)
	s_lshl_b64 s[4:5], s[6:7], 1
	v_add_co_u32 v1, vcc_lo, v1, s4
	v_add_co_ci_u32_e32 v2, vcc_lo, s5, v3, vcc_lo
	s_clause 0x1
	global_load_u16 v43, v[5:6], off
	global_load_u16 v44, v[1:2], off
	ds_load_b128 v[5:8], v45 offset:256
	ds_load_b128 v[9:12], v45 offset:272
	s_waitcnt vmcnt(31) lgkmcnt(0)
	v_fma_mix_f32 v1, v5, v21, v4 op_sel_hi:[0,1,0]
	s_waitcnt vmcnt(30)
	s_delay_alu instid0(VALU_DEP_1) | instskip(SKIP_1) | instid1(VALU_DEP_1)
	v_fma_mix_f32 v1, v6, v22, v1 op_sel_hi:[0,1,0]
	s_waitcnt vmcnt(29)
	v_fma_mix_f32 v1, v7, v23, v1 op_sel_hi:[0,1,0]
	s_waitcnt vmcnt(28)
	s_delay_alu instid0(VALU_DEP_1) | instskip(SKIP_1) | instid1(VALU_DEP_1)
	v_fma_mix_f32 v1, v8, v24, v1 op_sel_hi:[0,1,0]
	s_waitcnt vmcnt(27)
	v_fma_mix_f32 v5, v9, v25, v1 op_sel_hi:[0,1,0]
	ds_load_b128 v[1:4], v45 offset:288
	s_waitcnt vmcnt(26)
	v_fma_mix_f32 v5, v10, v26, v5 op_sel_hi:[0,1,0]
	s_waitcnt vmcnt(25)
	s_delay_alu instid0(VALU_DEP_1) | instskip(SKIP_1) | instid1(VALU_DEP_1)
	v_fma_mix_f32 v5, v11, v27, v5 op_sel_hi:[0,1,0]
	s_waitcnt vmcnt(24)
	v_fma_mix_f32 v9, v12, v28, v5 op_sel_hi:[0,1,0]
	ds_load_b128 v[5:8], v45 offset:304
	s_waitcnt vmcnt(23) lgkmcnt(1)
	v_fma_mix_f32 v1, v1, v29, v9 op_sel_hi:[0,1,0]
	s_waitcnt vmcnt(22)
	s_delay_alu instid0(VALU_DEP_1) | instskip(SKIP_1) | instid1(VALU_DEP_1)
	v_fma_mix_f32 v1, v2, v30, v1 op_sel_hi:[0,1,0]
	s_waitcnt vmcnt(21)
	v_fma_mix_f32 v1, v3, v31, v1 op_sel_hi:[0,1,0]
	s_waitcnt vmcnt(20)
	s_delay_alu instid0(VALU_DEP_1) | instskip(SKIP_1) | instid1(VALU_DEP_1)
	v_fma_mix_f32 v1, v4, v32, v1 op_sel_hi:[0,1,0]
	s_waitcnt vmcnt(19) lgkmcnt(0)
	v_fma_mix_f32 v5, v5, v33, v1 op_sel_hi:[0,1,0]
	ds_load_b128 v[1:4], v45 offset:320
	s_waitcnt vmcnt(18)
	v_fma_mix_f32 v5, v6, v34, v5 op_sel_hi:[0,1,0]
	s_waitcnt vmcnt(17)
	s_delay_alu instid0(VALU_DEP_1) | instskip(SKIP_1) | instid1(VALU_DEP_1)
	v_fma_mix_f32 v5, v7, v17, v5 op_sel_hi:[0,1,0]
	s_waitcnt vmcnt(16)
	v_fma_mix_f32 v9, v8, v18, v5 op_sel_hi:[0,1,0]
	ds_load_b128 v[5:8], v45 offset:336
	s_waitcnt vmcnt(15) lgkmcnt(1)
	v_fma_mix_f32 v1, v1, v19, v9 op_sel_hi:[0,1,0]
	s_waitcnt vmcnt(14)
	s_delay_alu instid0(VALU_DEP_1) | instskip(SKIP_1) | instid1(VALU_DEP_1)
	v_fma_mix_f32 v1, v2, v20, v1 op_sel_hi:[0,1,0]
	s_waitcnt vmcnt(13)
	v_fma_mix_f32 v1, v3, v35, v1 op_sel_hi:[0,1,0]
	s_waitcnt vmcnt(12)
	s_delay_alu instid0(VALU_DEP_1) | instskip(SKIP_1) | instid1(VALU_DEP_1)
	v_fma_mix_f32 v1, v4, v36, v1 op_sel_hi:[0,1,0]
	s_waitcnt vmcnt(11) lgkmcnt(0)
	;; [unrolled: 21-line block ×3, first 2 shown]
	v_fma_mix_f32 v1, v5, v41, v1 op_sel_hi:[0,1,0]
	s_waitcnt vmcnt(2)
	s_delay_alu instid0(VALU_DEP_1) | instskip(SKIP_1) | instid1(VALU_DEP_1)
	v_fma_mix_f32 v1, v6, v42, v1 op_sel_hi:[0,1,0]
	s_waitcnt vmcnt(1)
	v_fma_mix_f32 v1, v7, v43, v1 op_sel_hi:[0,1,0]
	s_waitcnt vmcnt(0)
	s_delay_alu instid0(VALU_DEP_1)
	v_fma_mix_f32 v4, v8, v44, v1 op_sel_hi:[0,1,0]
	v_mov_b32_e32 v1, 0
	s_and_not1_b32 vcc_lo, exec_lo, s15
	ds_load_b32 v1, v1 offset:384
	s_cbranch_vccz .LBB268_15
	s_branch .LBB268_16
	.section	.rodata,"a",@progbits
	.p2align	6, 0x0
	.amdhsa_kernel _Z35paged_attention_ll4mi_reduce_kernelIDF16_DF16_Li128ELi128ELi256ELi3EEvPT0_PKfS3_PKT_PKiS8_iS3_
		.amdhsa_group_segment_fixed_size 388
		.amdhsa_private_segment_fixed_size 0
		.amdhsa_kernarg_size 320
		.amdhsa_user_sgpr_count 14
		.amdhsa_user_sgpr_dispatch_ptr 0
		.amdhsa_user_sgpr_queue_ptr 0
		.amdhsa_user_sgpr_kernarg_segment_ptr 1
		.amdhsa_user_sgpr_dispatch_id 0
		.amdhsa_user_sgpr_private_segment_size 0
		.amdhsa_wavefront_size32 1
		.amdhsa_uses_dynamic_stack 0
		.amdhsa_enable_private_segment 0
		.amdhsa_system_sgpr_workgroup_id_x 1
		.amdhsa_system_sgpr_workgroup_id_y 1
		.amdhsa_system_sgpr_workgroup_id_z 0
		.amdhsa_system_sgpr_workgroup_info 0
		.amdhsa_system_vgpr_workitem_id 0
		.amdhsa_next_free_vgpr 48
		.amdhsa_next_free_sgpr 52
		.amdhsa_reserve_vcc 1
		.amdhsa_float_round_mode_32 0
		.amdhsa_float_round_mode_16_64 0
		.amdhsa_float_denorm_mode_32 3
		.amdhsa_float_denorm_mode_16_64 3
		.amdhsa_dx10_clamp 1
		.amdhsa_ieee_mode 1
		.amdhsa_fp16_overflow 0
		.amdhsa_workgroup_processor_mode 1
		.amdhsa_memory_ordered 1
		.amdhsa_forward_progress 0
		.amdhsa_shared_vgpr_count 0
		.amdhsa_exception_fp_ieee_invalid_op 0
		.amdhsa_exception_fp_denorm_src 0
		.amdhsa_exception_fp_ieee_div_zero 0
		.amdhsa_exception_fp_ieee_overflow 0
		.amdhsa_exception_fp_ieee_underflow 0
		.amdhsa_exception_fp_ieee_inexact 0
		.amdhsa_exception_int_div_zero 0
	.end_amdhsa_kernel
	.section	.text._Z35paged_attention_ll4mi_reduce_kernelIDF16_DF16_Li128ELi128ELi256ELi3EEvPT0_PKfS3_PKT_PKiS8_iS3_,"axG",@progbits,_Z35paged_attention_ll4mi_reduce_kernelIDF16_DF16_Li128ELi128ELi256ELi3EEvPT0_PKfS3_PKT_PKiS8_iS3_,comdat
.Lfunc_end268:
	.size	_Z35paged_attention_ll4mi_reduce_kernelIDF16_DF16_Li128ELi128ELi256ELi3EEvPT0_PKfS3_PKT_PKiS8_iS3_, .Lfunc_end268-_Z35paged_attention_ll4mi_reduce_kernelIDF16_DF16_Li128ELi128ELi256ELi3EEvPT0_PKfS3_PKT_PKiS8_iS3_
                                        ; -- End function
	.section	.AMDGPU.csdata,"",@progbits
; Kernel info:
; codeLenInByte = 7392
; NumSgprs: 54
; NumVgprs: 48
; ScratchSize: 0
; MemoryBound: 0
; FloatMode: 240
; IeeeMode: 1
; LDSByteSize: 388 bytes/workgroup (compile time only)
; SGPRBlocks: 6
; VGPRBlocks: 5
; NumSGPRsForWavesPerEU: 54
; NumVGPRsForWavesPerEU: 48
; Occupancy: 16
; WaveLimiterHint : 0
; COMPUTE_PGM_RSRC2:SCRATCH_EN: 0
; COMPUTE_PGM_RSRC2:USER_SGPR: 14
; COMPUTE_PGM_RSRC2:TRAP_HANDLER: 0
; COMPUTE_PGM_RSRC2:TGID_X_EN: 1
; COMPUTE_PGM_RSRC2:TGID_Y_EN: 1
; COMPUTE_PGM_RSRC2:TGID_Z_EN: 0
; COMPUTE_PGM_RSRC2:TIDIG_COMP_CNT: 0
	.section	.text._Z35paged_attention_ll4mi_reduce_kernelIDF16_DF16_Li128ELi128ELi256ELi4EEvPT0_PKfS3_PKT_PKiS8_iS3_,"axG",@progbits,_Z35paged_attention_ll4mi_reduce_kernelIDF16_DF16_Li128ELi128ELi256ELi4EEvPT0_PKfS3_PKT_PKiS8_iS3_,comdat
	.protected	_Z35paged_attention_ll4mi_reduce_kernelIDF16_DF16_Li128ELi128ELi256ELi4EEvPT0_PKfS3_PKT_PKiS8_iS3_ ; -- Begin function _Z35paged_attention_ll4mi_reduce_kernelIDF16_DF16_Li128ELi128ELi256ELi4EEvPT0_PKfS3_PKT_PKiS8_iS3_
	.globl	_Z35paged_attention_ll4mi_reduce_kernelIDF16_DF16_Li128ELi128ELi256ELi4EEvPT0_PKfS3_PKT_PKiS8_iS3_
	.p2align	8
	.type	_Z35paged_attention_ll4mi_reduce_kernelIDF16_DF16_Li128ELi128ELi256ELi4EEvPT0_PKfS3_PKT_PKiS8_iS3_,@function
_Z35paged_attention_ll4mi_reduce_kernelIDF16_DF16_Li128ELi128ELi256ELi4EEvPT0_PKfS3_PKT_PKiS8_iS3_: ; @_Z35paged_attention_ll4mi_reduce_kernelIDF16_DF16_Li128ELi128ELi256ELi4EEvPT0_PKfS3_PKT_PKiS8_iS3_
; %bb.0:
	s_load_b64 s[12:13], s[0:1], 0x28
	s_mov_b32 s2, s15
	s_waitcnt lgkmcnt(0)
	s_cmp_lg_u64 s[12:13], 0
	s_cselect_b32 s15, -1, 0
	s_delay_alu instid0(SALU_CYCLE_1)
	s_and_b32 vcc_lo, exec_lo, s15
	s_cbranch_vccz .LBB269_18
; %bb.1:
	s_add_i32 s4, s2, 1
	s_mov_b32 s5, 0
	s_delay_alu instid0(SALU_CYCLE_1) | instskip(SKIP_4) | instid1(SALU_CYCLE_1)
	s_lshl_b64 s[6:7], s[4:5], 2
	s_mov_b32 s3, s5
	s_add_u32 s6, s12, s6
	s_addc_u32 s7, s13, s7
	s_lshl_b64 s[8:9], s[2:3], 2
	s_add_u32 s8, s12, s8
	s_addc_u32 s9, s13, s9
	s_clause 0x1
	s_load_b32 s4, s[6:7], 0x0
	s_load_b32 s6, s[8:9], 0x0
	s_waitcnt lgkmcnt(0)
	s_sub_i32 s4, s4, s6
	s_delay_alu instid0(SALU_CYCLE_1)
	s_cmp_eq_u32 s4, 1
	s_cselect_b32 s4, -1, 0
	s_cbranch_execnz .LBB269_3
.LBB269_2:
	s_mov_b32 s3, 0
	s_mov_b32 s4, -1
.LBB269_3:
	s_delay_alu instid0(SALU_CYCLE_1)
	s_and_not1_b32 vcc_lo, exec_lo, s4
	s_cbranch_vccz .LBB269_5
; %bb.4:
	s_endpgm
.LBB269_5:
	s_clause 0x1
	s_load_b128 s[4:7], s[0:1], 0x18
	s_load_b32 s9, s[0:1], 0x30
	s_lshl_b64 s[16:17], s[2:3], 2
	s_waitcnt lgkmcnt(0)
	s_add_u32 s6, s6, s16
	s_addc_u32 s7, s7, s17
	s_load_b32 s20, s[6:7], 0x0
	s_load_b32 s33, s[0:1], 0x40
	s_mul_i32 s7, s2, s9
	s_waitcnt lgkmcnt(0)
	s_add_i32 s48, s20, 0xff
	s_delay_alu instid0(SALU_CYCLE_1) | instskip(NEXT) | instid1(SALU_CYCLE_1)
	s_ashr_i32 s6, s48, 31
	s_lshr_b32 s6, s6, 24
	s_delay_alu instid0(SALU_CYCLE_1) | instskip(SKIP_4) | instid1(SALU_CYCLE_1)
	s_add_i32 s8, s48, s6
	s_mul_i32 s6, s14, s9
	s_mov_b32 s9, exec_lo
	v_cmpx_lt_u32_e32 31, v0
	s_xor_b32 s9, exec_lo, s9
	s_or_saveexec_b32 s22, s9
	v_mov_b32_e32 v1, s6
	s_ashr_i32 s21, s8, 8
	s_mul_i32 s18, s7, s33
	s_xor_b32 exec_lo, exec_lo, s22
	s_cbranch_execz .LBB269_9
; %bb.6:
	s_load_b128 s[8:11], s[0:1], 0x8
	v_or_b32_e32 v2, 32, v0
	v_cmp_gt_i32_e32 vcc_lo, s21, v0
	s_add_i32 s23, s21, -1
	v_or_b32_e32 v4, 64, v0
	v_or_b32_e32 v6, 0x60, v0
	s_mov_b32 s19, 0
	v_cndmask_b32_e32 v1, s23, v0, vcc_lo
	v_cmp_gt_i32_e32 vcc_lo, s21, v2
	s_lshl_b64 s[24:25], s[18:19], 2
	s_mov_b32 s7, s19
	v_cndmask_b32_e32 v3, s23, v2, vcc_lo
	v_cmp_gt_i32_e32 vcc_lo, s21, v4
	v_ashrrev_i32_e32 v2, 31, v1
	v_cndmask_b32_e32 v5, s23, v4, vcc_lo
	v_cmp_gt_i32_e32 vcc_lo, s21, v6
	v_ashrrev_i32_e32 v4, 31, v3
	s_delay_alu instid0(VALU_DEP_4)
	v_lshlrev_b64 v[1:2], 2, v[1:2]
	s_waitcnt lgkmcnt(0)
	s_add_u32 s19, s10, s24
	v_cndmask_b32_e32 v7, s23, v6, vcc_lo
	s_addc_u32 s23, s11, s25
	s_lshl_b64 s[10:11], s[6:7], 2
	v_lshlrev_b64 v[3:4], 2, v[3:4]
	s_add_u32 s7, s19, s10
	v_ashrrev_i32_e32 v6, 31, v5
	s_addc_u32 s19, s23, s11
	v_add_co_u32 v9, vcc_lo, s7, v1
	v_add_co_ci_u32_e32 v10, vcc_lo, s19, v2, vcc_lo
	v_ashrrev_i32_e32 v8, 31, v7
	v_add_co_u32 v11, vcc_lo, s7, v3
	v_lshlrev_b64 v[5:6], 2, v[5:6]
	v_add_co_ci_u32_e32 v12, vcc_lo, s19, v4, vcc_lo
	s_delay_alu instid0(VALU_DEP_4)
	v_lshlrev_b64 v[7:8], 2, v[7:8]
	s_clause 0x1
	global_load_b32 v13, v[9:10], off
	global_load_b32 v14, v[11:12], off
	v_add_co_u32 v9, vcc_lo, s7, v5
	v_add_co_ci_u32_e32 v10, vcc_lo, s19, v6, vcc_lo
	v_add_co_u32 v11, vcc_lo, s7, v7
	v_add_co_ci_u32_e32 v12, vcc_lo, s19, v8, vcc_lo
	s_clause 0x1
	global_load_b32 v9, v[9:10], off
	global_load_b32 v10, v[11:12], off
	s_add_u32 s7, s8, s24
	s_addc_u32 s8, s9, s25
	s_add_u32 s7, s7, s10
	s_addc_u32 s8, s8, s11
	v_add_co_u32 v1, vcc_lo, s7, v1
	v_add_co_ci_u32_e32 v2, vcc_lo, s8, v2, vcc_lo
	v_add_co_u32 v3, vcc_lo, s7, v3
	v_add_co_ci_u32_e32 v4, vcc_lo, s8, v4, vcc_lo
	;; [unrolled: 2-line block ×3, first 2 shown]
	s_clause 0x2
	global_load_b32 v11, v[1:2], off
	global_load_b32 v3, v[3:4], off
	;; [unrolled: 1-line block ×3, first 2 shown]
	v_add_co_u32 v1, vcc_lo, s7, v7
	v_add_co_ci_u32_e32 v2, vcc_lo, s8, v8, vcc_lo
	s_mov_b32 s7, exec_lo
	global_load_b32 v5, v[1:2], off
	v_mbcnt_lo_u32_b32 v1, -1, 0
	s_delay_alu instid0(VALU_DEP_1)
	v_xor_b32_e32 v2, 16, v1
	v_xor_b32_e32 v8, 8, v1
	v_xor_b32_e32 v12, 4, v1
	v_xor_b32_e32 v15, 2, v1
	v_xor_b32_e32 v16, 1, v1
	v_cmp_gt_i32_e32 vcc_lo, 32, v2
	v_cndmask_b32_e32 v2, v1, v2, vcc_lo
	v_cmp_gt_i32_e32 vcc_lo, 32, v8
	s_delay_alu instid0(VALU_DEP_2) | instskip(SKIP_2) | instid1(VALU_DEP_2)
	v_lshlrev_b32_e32 v2, 2, v2
	v_cndmask_b32_e32 v8, v1, v8, vcc_lo
	v_cmp_gt_i32_e32 vcc_lo, 32, v12
	v_lshlrev_b32_e32 v8, 2, v8
	v_cndmask_b32_e32 v12, v1, v12, vcc_lo
	v_cmp_gt_i32_e32 vcc_lo, 32, v15
	s_delay_alu instid0(VALU_DEP_2) | instskip(SKIP_2) | instid1(VALU_DEP_1)
	v_dual_cndmask_b32 v15, v1, v15 :: v_dual_lshlrev_b32 v12, 2, v12
	v_cmp_gt_i32_e32 vcc_lo, 32, v16
	v_cndmask_b32_e32 v1, v1, v16, vcc_lo
	v_lshlrev_b32_e32 v16, 2, v1
	s_delay_alu instid0(VALU_DEP_4) | instskip(SKIP_2) | instid1(VALU_DEP_1)
	v_lshlrev_b32_e32 v15, 2, v15
	s_waitcnt vmcnt(6)
	v_dual_max_f32 v7, v13, v13 :: v_dual_max_f32 v6, v14, v14
	v_max_f32_e32 v6, v7, v6
	s_waitcnt vmcnt(4)
	s_delay_alu instid0(VALU_DEP_1) | instskip(SKIP_3) | instid1(VALU_DEP_1)
	v_max3_f32 v6, v6, v9, v10
	ds_bpermute_b32 v7, v2, v6
	s_waitcnt lgkmcnt(0)
	v_max_f32_e32 v7, v7, v7
	v_max_f32_e32 v6, v6, v7
	ds_bpermute_b32 v7, v8, v6
	s_waitcnt lgkmcnt(0)
	v_max_f32_e32 v7, v7, v7
	s_delay_alu instid0(VALU_DEP_1) | instskip(SKIP_3) | instid1(VALU_DEP_1)
	v_max_f32_e32 v6, v6, v7
	ds_bpermute_b32 v7, v12, v6
	s_waitcnt lgkmcnt(0)
	v_max_f32_e32 v7, v7, v7
	v_max_f32_e32 v6, v6, v7
	ds_bpermute_b32 v7, v15, v6
	s_waitcnt lgkmcnt(0)
	v_max_f32_e32 v7, v7, v7
	s_delay_alu instid0(VALU_DEP_1) | instskip(SKIP_3) | instid1(VALU_DEP_1)
	v_max_f32_e32 v1, v6, v7
	ds_bpermute_b32 v6, v16, v1
	s_waitcnt lgkmcnt(0)
	v_max_f32_e32 v6, v6, v6
	v_max_f32_e32 v1, v1, v6
	s_delay_alu instid0(VALU_DEP_1) | instskip(SKIP_1) | instid1(VALU_DEP_2)
	v_sub_f32_e32 v9, v9, v1
	v_sub_f32_e32 v7, v14, v1
	v_mul_f32_e32 v14, 0x3fb8aa3b, v9
	v_sub_f32_e32 v6, v13, v1
	v_sub_f32_e32 v1, v10, v1
	s_delay_alu instid0(VALU_DEP_3) | instskip(NEXT) | instid1(VALU_DEP_3)
	v_fma_f32 v22, 0x3fb8aa3b, v9, -v14
	v_mul_f32_e32 v10, 0x3fb8aa3b, v6
	v_rndne_f32_e32 v23, v14
	v_cmp_ngt_f32_e32 vcc_lo, 0xc2ce8ed0, v6
	s_delay_alu instid0(VALU_DEP_3) | instskip(SKIP_1) | instid1(VALU_DEP_2)
	v_fma_f32 v18, 0x3fb8aa3b, v6, -v10
	v_rndne_f32_e32 v19, v10
	v_fmac_f32_e32 v18, 0x32a5705f, v6
	s_delay_alu instid0(VALU_DEP_2) | instskip(NEXT) | instid1(VALU_DEP_1)
	v_sub_f32_e32 v10, v10, v19
	v_dual_mul_f32 v13, 0x3fb8aa3b, v7 :: v_dual_add_f32 v10, v10, v18
	s_delay_alu instid0(VALU_DEP_1) | instskip(SKIP_2) | instid1(VALU_DEP_4)
	v_fma_f32 v20, 0x3fb8aa3b, v7, -v13
	v_rndne_f32_e32 v21, v13
	v_cvt_i32_f32_e32 v18, v19
	v_exp_f32_e32 v10, v10
	s_delay_alu instid0(VALU_DEP_3) | instskip(SKIP_4) | instid1(VALU_DEP_4)
	v_fmac_f32_e32 v20, 0x32a5705f, v7
	v_mul_f32_e32 v17, 0x3fb8aa3b, v1
	v_sub_f32_e32 v13, v13, v21
	v_fmac_f32_e32 v22, 0x32a5705f, v9
	v_cvt_i32_f32_e32 v19, v21
	v_rndne_f32_e32 v25, v17
	s_delay_alu instid0(VALU_DEP_4) | instskip(SKIP_1) | instid1(TRANS32_DEP_1)
	v_dual_add_f32 v13, v13, v20 :: v_dual_sub_f32 v14, v14, v23
	v_fma_f32 v24, 0x3fb8aa3b, v1, -v17
	v_ldexp_f32 v10, v10, v18
	s_delay_alu instid0(VALU_DEP_4) | instskip(NEXT) | instid1(VALU_DEP_4)
	v_sub_f32_e32 v17, v17, v25
	v_exp_f32_e32 v13, v13
	v_add_f32_e32 v14, v14, v22
	v_cvt_i32_f32_e32 v20, v23
	v_sub_nc_u32_e32 v22, s21, v0
	v_cvt_i32_f32_e32 v21, v25
	s_delay_alu instid0(VALU_DEP_4)
	v_exp_f32_e32 v14, v14
	s_waitcnt_depctr 0xfff
	v_ldexp_f32 v13, v13, v19
	v_cndmask_b32_e32 v10, 0, v10, vcc_lo
	v_cmp_ngt_f32_e32 vcc_lo, 0xc2ce8ed0, v7
	v_ldexp_f32 v14, v14, v20
	s_delay_alu instid0(VALU_DEP_4) | instskip(SKIP_1) | instid1(VALU_DEP_3)
	v_cndmask_b32_e32 v13, 0, v13, vcc_lo
	v_cmp_ngt_f32_e32 vcc_lo, 0xc2ce8ed0, v9
	v_cndmask_b32_e32 v14, 0, v14, vcc_lo
	v_cmp_nlt_f32_e32 vcc_lo, 0x42b17218, v6
	v_cndmask_b32_e32 v6, 0x7f800000, v10, vcc_lo
	v_cmp_nlt_f32_e32 vcc_lo, 0x42b17218, v7
	;; [unrolled: 2-line block ×3, first 2 shown]
	v_cndmask_b32_e32 v9, 0x7f800000, v14, vcc_lo
	v_cmp_lt_i32_e32 vcc_lo, 0, v22
	v_cndmask_b32_e32 v6, 0, v6, vcc_lo
	v_cmp_lt_i32_e32 vcc_lo, 32, v22
	s_waitcnt vmcnt(3)
	s_delay_alu instid0(VALU_DEP_2) | instskip(SKIP_2) | instid1(VALU_DEP_2)
	v_mul_f32_e32 v6, v11, v6
	v_dual_fmac_f32 v24, 0x32a5705f, v1 :: v_dual_cndmask_b32 v7, 0, v7
	v_cmp_lt_i32_e32 vcc_lo, 64, v22
	v_add_f32_e32 v17, v17, v24
	s_waitcnt vmcnt(2)
	s_delay_alu instid0(VALU_DEP_3) | instskip(SKIP_3) | instid1(VALU_DEP_3)
	v_mul_f32_e32 v3, v3, v7
	v_cndmask_b32_e32 v9, 0, v9, vcc_lo
	v_cmp_ngt_f32_e32 vcc_lo, 0xc2ce8ed0, v1
	v_exp_f32_e32 v17, v17
	v_add_f32_e32 v7, v6, v3
	s_waitcnt_depctr 0xfff
	v_ldexp_f32 v17, v17, v21
	s_delay_alu instid0(VALU_DEP_1) | instskip(SKIP_2) | instid1(VALU_DEP_2)
	v_cndmask_b32_e32 v10, 0, v17, vcc_lo
	v_cmp_nlt_f32_e32 vcc_lo, 0x42b17218, v1
	s_waitcnt vmcnt(1)
	v_dual_mul_f32 v4, v4, v9 :: v_dual_cndmask_b32 v1, 0x7f800000, v10
	v_cmp_lt_i32_e32 vcc_lo, 0x60, v22
	s_delay_alu instid0(VALU_DEP_2) | instskip(NEXT) | instid1(VALU_DEP_3)
	v_cndmask_b32_e32 v9, 0, v1, vcc_lo
	v_add_f32_e32 v1, v7, v4
	v_lshlrev_b32_e32 v7, 2, v0
	s_waitcnt vmcnt(0)
	s_delay_alu instid0(VALU_DEP_2)
	v_fmac_f32_e32 v1, v5, v9
	v_mul_f32_e32 v5, v5, v9
	ds_store_2addr_b32 v7, v6, v3 offset1:32
	ds_store_2addr_b32 v7, v4, v5 offset0:64 offset1:96
	ds_bpermute_b32 v2, v2, v1
	s_waitcnt lgkmcnt(0)
	v_add_f32_e32 v1, v1, v2
	ds_bpermute_b32 v2, v8, v1
	s_waitcnt lgkmcnt(0)
	v_add_f32_e32 v1, v1, v2
	ds_bpermute_b32 v2, v12, v1
	s_waitcnt lgkmcnt(0)
	v_add_f32_e32 v1, v1, v2
	ds_bpermute_b32 v2, v15, v1
	s_waitcnt lgkmcnt(0)
	v_add_f32_e32 v1, v1, v2
	ds_bpermute_b32 v2, v16, v1
	v_cmpx_eq_u32_e32 0, v0
	s_cbranch_execz .LBB269_8
; %bb.7:
	s_waitcnt lgkmcnt(0)
	v_dual_add_f32 v1, v1, v2 :: v_dual_mov_b32 v2, 0
	ds_store_b32 v2, v1 offset:512
.LBB269_8:
	s_or_b32 exec_lo, exec_lo, s7
	v_mov_b32_e32 v1, s6
.LBB269_9:
	s_or_b32 exec_lo, exec_lo, s22
	s_lshl_b32 s6, s18, 7
	s_mov_b32 s7, 0
	s_waitcnt lgkmcnt(0)
	v_dual_mov_b32 v2, 0 :: v_dual_lshlrev_b32 v1, 7, v1
	s_lshl_b64 s[6:7], s[6:7], 1
	v_lshlrev_b32_e32 v0, 1, v0
	s_add_u32 s34, s4, s6
	s_addc_u32 s35, s5, s7
	s_lshl_b32 s49, s21, 7
	v_lshlrev_b64 v[3:4], 1, v[1:2]
	s_addk_i32 s49, 0xff80
	s_cmpk_lt_i32 s48, 0x100
	v_dual_mov_b32 v30, 0 :: v_dual_mov_b32 v33, 0
	s_cselect_b32 s4, s49, 0
	s_delay_alu instid0(VALU_DEP_2)
	v_add_co_u32 v1, vcc_lo, s34, v3
	s_ashr_i32 s5, s4, 31
	v_add_co_ci_u32_e32 v3, vcc_lo, s35, v4, vcc_lo
	s_lshl_b64 s[4:5], s[4:5], 1
	s_cmpk_lt_i32 s48, 0x200
	v_add_co_u32 v1, vcc_lo, v1, v0
	s_cselect_b32 s6, s49, 0x80
	v_add_co_ci_u32_e32 v3, vcc_lo, 0, v3, vcc_lo
	s_ashr_i32 s7, s6, 31
	s_delay_alu instid0(VALU_DEP_2)
	v_add_co_u32 v4, vcc_lo, v1, s4
	s_lshl_b64 s[6:7], s[6:7], 1
	s_cmpk_lt_i32 s48, 0x300
	v_add_co_ci_u32_e32 v5, vcc_lo, s5, v3, vcc_lo
	s_cselect_b32 s8, s49, 0x100
	v_add_co_u32 v8, vcc_lo, v1, s6
	s_ashr_i32 s9, s8, 31
	v_add_co_ci_u32_e32 v9, vcc_lo, s7, v3, vcc_lo
	s_lshl_b64 s[8:9], s[8:9], 1
	s_cmpk_lt_i32 s48, 0x400
	v_add_co_u32 v10, vcc_lo, v1, s8
	s_cselect_b32 s10, s49, 0x180
	v_add_co_ci_u32_e32 v11, vcc_lo, s9, v3, vcc_lo
	s_ashr_i32 s11, s10, 31
	v_dual_mov_b32 v32, 0 :: v_dual_mov_b32 v35, 0
	s_lshl_b64 s[10:11], s[10:11], 1
	s_cmpk_lt_i32 s48, 0x500
	v_add_co_u32 v12, vcc_lo, v1, s10
	s_cselect_b32 s18, s49, 0x200
	v_add_co_ci_u32_e32 v13, vcc_lo, s11, v3, vcc_lo
	s_ashr_i32 s19, s18, 31
	v_mov_b32_e32 v34, 0
	s_lshl_b64 s[18:19], s[18:19], 1
	s_cmpk_lt_i32 s48, 0x600
	v_add_co_u32 v14, vcc_lo, v1, s18
	s_cselect_b32 s22, s49, 0x280
	v_add_co_ci_u32_e32 v15, vcc_lo, s19, v3, vcc_lo
	s_ashr_i32 s23, s22, 31
	v_mov_b32_e32 v29, 0
	;; [unrolled: 7-line block ×3, first 2 shown]
	s_lshl_b64 s[24:25], s[24:25], 1
	s_cmpk_lt_i32 s48, 0x800
	v_add_co_u32 v18, vcc_lo, v1, s24
	s_cselect_b32 s26, s49, 0x380
	v_add_co_ci_u32_e32 v19, vcc_lo, s25, v3, vcc_lo
	s_ashr_i32 s27, s26, 31
	s_delay_alu instid0(SALU_CYCLE_1)
	s_lshl_b64 s[26:27], s[26:27], 1
	s_cmpk_lt_i32 s48, 0x900
	v_add_co_u32 v20, vcc_lo, v1, s26
	s_cselect_b32 s28, s49, 0x400
	v_add_co_ci_u32_e32 v21, vcc_lo, s27, v3, vcc_lo
	s_ashr_i32 s29, s28, 31
	s_clause 0x7
	global_load_u16 v7, v[4:5], off
	global_load_u16 v8, v[8:9], off
	;; [unrolled: 1-line block ×8, first 2 shown]
	s_lshl_b64 s[28:29], s[28:29], 1
	s_cmpk_lt_i32 s48, 0xa00
	v_add_co_u32 v12, vcc_lo, v1, s28
	s_cselect_b32 s30, s49, 0x480
	v_add_co_ci_u32_e32 v13, vcc_lo, s29, v3, vcc_lo
	s_ashr_i32 s31, s30, 31
	s_delay_alu instid0(SALU_CYCLE_1)
	s_lshl_b64 s[30:31], s[30:31], 1
	s_cmpk_lt_i32 s48, 0xb00
	v_add_co_u32 v15, vcc_lo, v1, s30
	s_cselect_b32 s34, s49, 0x500
	v_add_co_ci_u32_e32 v16, vcc_lo, s31, v3, vcc_lo
	s_ashr_i32 s35, s34, 31
	s_delay_alu instid0(SALU_CYCLE_1)
	;; [unrolled: 7-line block ×7, first 2 shown]
	s_lshl_b64 s[4:5], s[6:7], 1
	s_cmpk_gt_i32 s20, 0x1000
	v_add_co_u32 v27, vcc_lo, v1, s4
	v_add_co_ci_u32_e32 v28, vcc_lo, s5, v3, vcc_lo
	s_clause 0x7
	global_load_u16 v14, v[12:13], off
	global_load_u16 v15, v[15:16], off
	;; [unrolled: 1-line block ×8, first 2 shown]
	v_dual_mov_b32 v20, 0 :: v_dual_mov_b32 v23, 0
	v_dual_mov_b32 v21, 0 :: v_dual_mov_b32 v22, 0
	;; [unrolled: 1-line block ×4, first 2 shown]
	v_mov_b32_e32 v28, 0
	s_cselect_b32 s8, -1, 0
	s_cmpk_lt_i32 s20, 0x1001
	s_waitcnt vmcnt(0)
	s_barrier
	buffer_gl0_inv
	s_cbranch_scc1 .LBB269_11
; %bb.10:
	s_cmpk_lt_i32 s48, 0x1100
	s_cselect_b32 s4, s49, 0x800
	s_delay_alu instid0(SALU_CYCLE_1) | instskip(NEXT) | instid1(SALU_CYCLE_1)
	s_ashr_i32 s5, s4, 31
	s_lshl_b64 s[4:5], s[4:5], 1
	s_cmpk_lt_i32 s48, 0x1200
	v_add_co_u32 v20, vcc_lo, v1, s4
	s_cselect_b32 s6, s49, 0x880
	v_add_co_ci_u32_e32 v21, vcc_lo, s5, v3, vcc_lo
	s_ashr_i32 s7, s6, 31
	s_delay_alu instid0(SALU_CYCLE_1)
	s_lshl_b64 s[6:7], s[6:7], 1
	s_cmpk_lt_i32 s48, 0x1300
	v_add_co_u32 v22, vcc_lo, v1, s6
	s_cselect_b32 s10, s49, 0x900
	v_add_co_ci_u32_e32 v23, vcc_lo, s7, v3, vcc_lo
	s_ashr_i32 s11, s10, 31
	s_delay_alu instid0(SALU_CYCLE_1)
	;; [unrolled: 7-line block ×7, first 2 shown]
	s_lshl_b64 s[26:27], s[26:27], 1
	s_cmpk_lt_i32 s48, 0x1900
	v_add_co_u32 v34, vcc_lo, v1, s26
	s_cselect_b32 s28, s49, 0xc00
	v_add_co_ci_u32_e32 v35, vcc_lo, s27, v3, vcc_lo
	s_ashr_i32 s29, s28, 31
	s_clause 0x7
	global_load_u16 v36, v[20:21], off
	global_load_u16 v37, v[22:23], off
	;; [unrolled: 1-line block ×8, first 2 shown]
	s_lshl_b64 s[28:29], s[28:29], 1
	s_cmpk_lt_i32 s48, 0x1a00
	v_add_co_u32 v20, vcc_lo, v1, s28
	s_cselect_b32 s30, s49, 0xc80
	v_add_co_ci_u32_e32 v21, vcc_lo, s29, v3, vcc_lo
	s_ashr_i32 s31, s30, 31
	s_delay_alu instid0(SALU_CYCLE_1)
	s_lshl_b64 s[30:31], s[30:31], 1
	s_cmpk_lt_i32 s48, 0x1b00
	v_add_co_u32 v22, vcc_lo, v1, s30
	s_cselect_b32 s34, s49, 0xd00
	v_add_co_ci_u32_e32 v23, vcc_lo, s31, v3, vcc_lo
	s_ashr_i32 s35, s34, 31
	s_delay_alu instid0(SALU_CYCLE_1)
	;; [unrolled: 7-line block ×6, first 2 shown]
	s_lshl_b64 s[4:5], s[20:21], 1
	s_cmpk_lt_i32 s48, 0x2000
	v_add_co_u32 v32, vcc_lo, v1, s4
	s_cselect_b32 s6, s49, 0xf80
	v_add_co_ci_u32_e32 v33, vcc_lo, s5, v3, vcc_lo
	s_ashr_i32 s7, s6, 31
	s_delay_alu instid0(SALU_CYCLE_1) | instskip(NEXT) | instid1(SALU_CYCLE_1)
	s_lshl_b64 s[4:5], s[6:7], 1
	v_add_co_u32 v34, vcc_lo, v1, s4
	v_add_co_ci_u32_e32 v35, vcc_lo, s5, v3, vcc_lo
	s_clause 0x7
	global_load_u16 v20, v[20:21], off
	global_load_u16 v21, v[22:23], off
	;; [unrolled: 1-line block ×8, first 2 shown]
	s_waitcnt vmcnt(15)
	v_cvt_f32_f16_e32 v35, v36
	s_waitcnt vmcnt(14)
	v_cvt_f32_f16_e32 v34, v37
	;; [unrolled: 2-line block ×16, first 2 shown]
.LBB269_11:
	ds_load_b128 v[36:39], v2
	ds_load_b128 v[40:43], v2 offset:16
	s_and_not1_b32 vcc_lo, exec_lo, s8
	s_waitcnt lgkmcnt(1)
	v_fma_mix_f32 v7, v36, v7, 0 op_sel_hi:[0,1,0]
	s_delay_alu instid0(VALU_DEP_1) | instskip(NEXT) | instid1(VALU_DEP_1)
	v_fma_mix_f32 v7, v37, v8, v7 op_sel_hi:[0,1,0]
	v_fma_mix_f32 v7, v38, v9, v7 op_sel_hi:[0,1,0]
	s_delay_alu instid0(VALU_DEP_1)
	v_fma_mix_f32 v7, v39, v10, v7 op_sel_hi:[0,1,0]
	ds_load_b128 v[36:39], v2 offset:48
	s_waitcnt lgkmcnt(1)
	v_fma_mix_f32 v11, v40, v11, v7 op_sel_hi:[0,1,0]
	ds_load_b128 v[7:10], v2 offset:32
	v_fma_mix_f32 v4, v41, v4, v11 op_sel_hi:[0,1,0]
	s_delay_alu instid0(VALU_DEP_1) | instskip(NEXT) | instid1(VALU_DEP_1)
	v_fma_mix_f32 v4, v42, v5, v4 op_sel_hi:[0,1,0]
	v_fma_mix_f32 v4, v43, v6, v4 op_sel_hi:[0,1,0]
	s_waitcnt lgkmcnt(0)
	s_delay_alu instid0(VALU_DEP_1) | instskip(NEXT) | instid1(VALU_DEP_1)
	v_fma_mix_f32 v4, v7, v14, v4 op_sel_hi:[0,1,0]
	v_fma_mix_f32 v4, v8, v15, v4 op_sel_hi:[0,1,0]
	s_delay_alu instid0(VALU_DEP_1) | instskip(NEXT) | instid1(VALU_DEP_1)
	v_fma_mix_f32 v4, v9, v16, v4 op_sel_hi:[0,1,0]
	v_fma_mix_f32 v4, v10, v17, v4 op_sel_hi:[0,1,0]
	;; [unrolled: 3-line block ×4, first 2 shown]
	s_cbranch_vccz .LBB269_19
; %bb.12:
	s_cmpk_lt_i32 s48, 0x2100
	s_cbranch_scc0 .LBB269_20
.LBB269_13:
	s_cmpk_lt_i32 s48, 0x4100
	s_cbranch_scc0 .LBB269_21
.LBB269_14:
	s_load_b64 s[0:1], s[0:1], 0x0
	s_cmpk_lt_i32 s48, 0x6100
	s_cbranch_scc0 .LBB269_22
.LBB269_15:
	v_mov_b32_e32 v1, 0
	s_and_not1_b32 vcc_lo, exec_lo, s15
	ds_load_b32 v1, v1 offset:512
	s_cbranch_vccnz .LBB269_17
.LBB269_16:
	s_add_u32 s2, s12, s16
	s_addc_u32 s3, s13, s17
	s_load_b32 s2, s[2:3], 0x0
	s_mov_b32 s3, 0
.LBB269_17:
	s_waitcnt lgkmcnt(0)
	v_add_f32_e32 v1, 0x358637bd, v1
	s_mul_i32 s3, s33, s3
	s_mul_hi_u32 s4, s33, s2
	s_mul_i32 s2, s33, s2
	s_add_i32 s3, s4, s3
	v_div_scale_f32 v2, null, v1, v1, 1.0
	s_lshl_b64 s[2:3], s[2:3], 8
	s_mov_b32 s15, 0
	s_add_u32 s2, s0, s2
	s_delay_alu instid0(VALU_DEP_1) | instskip(SKIP_2) | instid1(SALU_CYCLE_1)
	v_rcp_f32_e32 v3, v2
	s_addc_u32 s3, s1, s3
	s_lshl_b64 s[0:1], s[14:15], 8
	s_add_u32 s0, s2, s0
	s_addc_u32 s1, s3, s1
	s_waitcnt_depctr 0xfff
	v_fma_f32 v5, -v2, v3, 1.0
	s_delay_alu instid0(VALU_DEP_1) | instskip(SKIP_1) | instid1(VALU_DEP_1)
	v_fmac_f32_e32 v3, v5, v3
	v_div_scale_f32 v5, vcc_lo, 1.0, v1, 1.0
	v_mul_f32_e32 v6, v5, v3
	s_delay_alu instid0(VALU_DEP_1) | instskip(NEXT) | instid1(VALU_DEP_1)
	v_fma_f32 v7, -v2, v6, v5
	v_fmac_f32_e32 v6, v7, v3
	s_delay_alu instid0(VALU_DEP_1) | instskip(NEXT) | instid1(VALU_DEP_1)
	v_fma_f32 v2, -v2, v6, v5
	v_div_fmas_f32 v2, v2, v3, v6
	s_delay_alu instid0(VALU_DEP_1) | instskip(NEXT) | instid1(VALU_DEP_1)
	v_div_fixup_f32 v1, v2, v1, 1.0
	v_fma_mixlo_f16 v1, v4, v1, 0
	global_store_b16 v0, v1, s[0:1]
	s_nop 0
	s_sendmsg sendmsg(MSG_DEALLOC_VGPRS)
	s_endpgm
.LBB269_18:
	s_mov_b32 s4, 0
	s_branch .LBB269_2
.LBB269_19:
	ds_load_b128 v[5:8], v2 offset:64
	ds_load_b128 v[9:12], v2 offset:80
	s_waitcnt lgkmcnt(1)
	v_fmac_f32_e32 v4, v5, v35
	s_delay_alu instid0(VALU_DEP_1) | instskip(NEXT) | instid1(VALU_DEP_1)
	v_fmac_f32_e32 v4, v6, v34
	v_fmac_f32_e32 v4, v7, v33
	s_delay_alu instid0(VALU_DEP_1) | instskip(SKIP_3) | instid1(VALU_DEP_1)
	v_fmac_f32_e32 v4, v8, v32
	ds_load_b128 v[5:8], v2 offset:96
	s_waitcnt lgkmcnt(1)
	v_fmac_f32_e32 v4, v9, v31
	v_fmac_f32_e32 v4, v10, v30
	s_delay_alu instid0(VALU_DEP_1) | instskip(NEXT) | instid1(VALU_DEP_1)
	v_fmac_f32_e32 v4, v11, v29
	v_fmac_f32_e32 v4, v12, v28
	ds_load_b128 v[9:12], v2 offset:112
	s_waitcnt lgkmcnt(1)
	v_fmac_f32_e32 v4, v5, v27
	s_delay_alu instid0(VALU_DEP_1) | instskip(NEXT) | instid1(VALU_DEP_1)
	v_fmac_f32_e32 v4, v6, v26
	v_fmac_f32_e32 v4, v7, v25
	s_delay_alu instid0(VALU_DEP_1) | instskip(SKIP_1) | instid1(VALU_DEP_1)
	v_fmac_f32_e32 v4, v8, v24
	s_waitcnt lgkmcnt(0)
	v_fmac_f32_e32 v4, v9, v23
	s_delay_alu instid0(VALU_DEP_1) | instskip(NEXT) | instid1(VALU_DEP_1)
	v_fmac_f32_e32 v4, v10, v22
	v_fmac_f32_e32 v4, v11, v21
	s_delay_alu instid0(VALU_DEP_1)
	v_fmac_f32_e32 v4, v12, v20
	s_cmpk_lt_i32 s48, 0x2100
	s_cbranch_scc1 .LBB269_13
.LBB269_20:
	s_cmpk_lt_u32 s48, 0x2200
	v_add_co_u32 v5, vcc_lo, 0x2000, v1
	s_cselect_b32 s4, s49, 0x1080
	v_add_co_ci_u32_e32 v6, vcc_lo, 0, v3, vcc_lo
	s_ashr_i32 s5, s4, 31
	v_mov_b32_e32 v44, 0
	s_lshl_b64 s[4:5], s[4:5], 1
	s_cmpk_lt_u32 s48, 0x2300
	v_add_co_u32 v7, vcc_lo, v1, s4
	s_cselect_b32 s6, s49, 0x1100
	v_add_co_ci_u32_e32 v8, vcc_lo, s5, v3, vcc_lo
	s_ashr_i32 s7, s6, 31
	s_delay_alu instid0(SALU_CYCLE_1)
	s_lshl_b64 s[6:7], s[6:7], 1
	s_cmpk_lt_u32 s48, 0x2400
	v_add_co_u32 v9, vcc_lo, v1, s6
	s_cselect_b32 s8, s49, 0x1180
	v_add_co_ci_u32_e32 v10, vcc_lo, s7, v3, vcc_lo
	s_ashr_i32 s9, s8, 31
	s_delay_alu instid0(SALU_CYCLE_1)
	;; [unrolled: 7-line block ×6, first 2 shown]
	s_lshl_b64 s[26:27], s[18:19], 1
	s_cmpk_lt_u32 s48, 0x2900
	v_add_co_u32 v19, vcc_lo, v1, s26
	s_cselect_b32 s18, s49, 0x1400
	v_add_co_ci_u32_e32 v20, vcc_lo, s27, v3, vcc_lo
	s_ashr_i32 s19, s18, 31
	s_clause 0x7
	global_load_u16 v2, v[5:6], off
	global_load_u16 v21, v[7:8], off
	;; [unrolled: 1-line block ×8, first 2 shown]
	s_lshl_b64 s[18:19], s[18:19], 1
	s_cmpk_lt_u32 s48, 0x2a00
	v_add_co_u32 v5, vcc_lo, v1, s18
	s_cselect_b32 s24, s49, 0x1480
	v_add_co_ci_u32_e32 v6, vcc_lo, s19, v3, vcc_lo
	s_ashr_i32 s25, s24, 31
	s_delay_alu instid0(SALU_CYCLE_1)
	s_lshl_b64 s[24:25], s[24:25], 1
	s_cmpk_lt_u32 s48, 0x2b00
	v_add_co_u32 v7, vcc_lo, v1, s24
	s_cselect_b32 s28, s49, 0x1500
	v_add_co_ci_u32_e32 v8, vcc_lo, s25, v3, vcc_lo
	s_ashr_i32 s29, s28, 31
	s_delay_alu instid0(SALU_CYCLE_1)
	;; [unrolled: 7-line block ×7, first 2 shown]
	s_lshl_b64 s[44:45], s[36:37], 1
	s_cmpk_lt_u32 s48, 0x3100
	v_add_co_u32 v19, vcc_lo, v1, s44
	s_cselect_b32 s36, s49, 0x1800
	v_add_co_ci_u32_e32 v20, vcc_lo, s45, v3, vcc_lo
	s_ashr_i32 s37, s36, 31
	s_clause 0x7
	global_load_u16 v28, v[5:6], off
	global_load_u16 v29, v[7:8], off
	;; [unrolled: 1-line block ×8, first 2 shown]
	s_lshl_b64 s[36:37], s[36:37], 1
	s_cmpk_lt_u32 s48, 0x3200
	v_add_co_u32 v5, vcc_lo, v1, s36
	s_cselect_b32 s42, s49, 0x1880
	v_add_co_ci_u32_e32 v6, vcc_lo, s37, v3, vcc_lo
	s_ashr_i32 s43, s42, 31
	s_delay_alu instid0(SALU_CYCLE_1)
	s_lshl_b64 s[42:43], s[42:43], 1
	s_cmpk_lt_u32 s48, 0x3300
	v_add_co_u32 v7, vcc_lo, v1, s42
	s_cselect_b32 s46, s49, 0x1900
	v_add_co_ci_u32_e32 v8, vcc_lo, s43, v3, vcc_lo
	s_ashr_i32 s47, s46, 31
	s_delay_alu instid0(SALU_CYCLE_1)
	;; [unrolled: 7-line block ×5, first 2 shown]
	s_lshl_b64 s[8:9], s[8:9], 1
	s_cmpk_lt_u32 s48, 0x3700
	v_add_co_u32 v15, vcc_lo, v1, s8
	s_cselect_b32 s10, s49, 0x1b00
	v_add_co_ci_u32_e32 v16, vcc_lo, s9, v3, vcc_lo
	s_ashr_i32 s11, s10, 31
	s_clause 0x5
	global_load_u16 v19, v[5:6], off
	global_load_u16 v20, v[7:8], off
	;; [unrolled: 1-line block ×6, first 2 shown]
	s_lshl_b64 s[10:11], s[10:11], 1
	s_cmpk_lt_u32 s48, 0x3800
	v_add_co_u32 v5, vcc_lo, v1, s10
	s_cselect_b32 s18, s49, 0x1b80
	v_add_co_ci_u32_e32 v6, vcc_lo, s11, v3, vcc_lo
	s_ashr_i32 s19, s18, 31
	s_delay_alu instid0(SALU_CYCLE_1)
	s_lshl_b64 s[18:19], s[18:19], 1
	s_cmpk_lt_u32 s48, 0x3900
	v_add_co_u32 v7, vcc_lo, v1, s18
	s_cselect_b32 s20, s49, 0x1c00
	v_add_co_ci_u32_e32 v8, vcc_lo, s19, v3, vcc_lo
	s_ashr_i32 s21, s20, 31
	global_load_u16 v16, v[5:6], off
	s_lshl_b64 s[20:21], s[20:21], 1
	global_load_u16 v37, v[7:8], off
	s_cmpk_lt_u32 s48, 0x3a00
	v_add_co_u32 v9, vcc_lo, v1, s20
	s_cselect_b32 s22, s49, 0x1c80
	v_add_co_ci_u32_e32 v10, vcc_lo, s21, v3, vcc_lo
	s_ashr_i32 s23, s22, 31
	s_delay_alu instid0(SALU_CYCLE_1)
	s_lshl_b64 s[22:23], s[22:23], 1
	s_cmpk_lt_u32 s48, 0x3b00
	v_add_co_u32 v11, vcc_lo, v1, s22
	s_cselect_b32 s4, s49, 0x1d00
	v_add_co_ci_u32_e32 v12, vcc_lo, s23, v3, vcc_lo
	s_ashr_i32 s5, s4, 31
	s_delay_alu instid0(SALU_CYCLE_1)
	s_lshl_b64 s[4:5], s[4:5], 1
	s_cmpk_lt_u32 s48, 0x3c00
	v_add_co_u32 v13, vcc_lo, v1, s4
	s_cselect_b32 s6, s49, 0x1d80
	v_add_co_ci_u32_e32 v14, vcc_lo, s5, v3, vcc_lo
	s_ashr_i32 s7, s6, 31
	s_clause 0x2
	global_load_u16 v38, v[9:10], off
	global_load_u16 v39, v[11:12], off
	;; [unrolled: 1-line block ×3, first 2 shown]
	s_lshl_b64 s[6:7], s[6:7], 1
	s_cmpk_lt_u32 s48, 0x3d00
	v_add_co_u32 v5, vcc_lo, v1, s6
	s_cselect_b32 s8, s49, 0x1e00
	v_add_co_ci_u32_e32 v6, vcc_lo, s7, v3, vcc_lo
	s_ashr_i32 s9, s8, 31
	s_delay_alu instid0(SALU_CYCLE_1)
	s_lshl_b64 s[4:5], s[8:9], 1
	s_cmpk_lt_u32 s48, 0x3e00
	v_add_co_u32 v7, vcc_lo, v1, s4
	s_cselect_b32 s8, s49, 0x1e80
	v_add_co_ci_u32_e32 v8, vcc_lo, s5, v3, vcc_lo
	s_ashr_i32 s9, s8, 31
	global_load_u16 v14, v[5:6], off
	s_lshl_b64 s[8:9], s[8:9], 1
	s_cmpk_lt_u32 s48, 0x3f00
	v_add_co_u32 v9, vcc_lo, v1, s8
	s_cselect_b32 s6, s49, 0x1f00
	v_add_co_ci_u32_e32 v10, vcc_lo, s9, v3, vcc_lo
	s_ashr_i32 s7, s6, 31
	s_clause 0x1
	global_load_u16 v40, v[7:8], off
	global_load_u16 v41, v[9:10], off
	s_lshl_b64 s[4:5], s[6:7], 1
	s_cmpk_lt_u32 s48, 0x4000
	v_add_co_u32 v5, vcc_lo, v1, s4
	s_cselect_b32 s6, s49, 0x1f80
	v_add_co_ci_u32_e32 v6, vcc_lo, s5, v3, vcc_lo
	s_ashr_i32 s7, s6, 31
	s_delay_alu instid0(SALU_CYCLE_1) | instskip(NEXT) | instid1(SALU_CYCLE_1)
	s_lshl_b64 s[4:5], s[6:7], 1
	v_add_co_u32 v7, vcc_lo, v1, s4
	v_add_co_ci_u32_e32 v8, vcc_lo, s5, v3, vcc_lo
	s_clause 0x1
	global_load_u16 v42, v[5:6], off
	global_load_u16 v43, v[7:8], off
	ds_load_b128 v[5:8], v44 offset:128
	ds_load_b128 v[9:12], v44 offset:144
	s_waitcnt vmcnt(31) lgkmcnt(1)
	v_fma_mix_f32 v2, v5, v2, v4 op_sel_hi:[0,1,0]
	s_waitcnt vmcnt(30)
	s_delay_alu instid0(VALU_DEP_1) | instskip(SKIP_1) | instid1(VALU_DEP_1)
	v_fma_mix_f32 v2, v6, v21, v2 op_sel_hi:[0,1,0]
	s_waitcnt vmcnt(29)
	v_fma_mix_f32 v2, v7, v22, v2 op_sel_hi:[0,1,0]
	ds_load_b128 v[4:7], v44 offset:160
	s_waitcnt vmcnt(28)
	v_fma_mix_f32 v2, v8, v23, v2 op_sel_hi:[0,1,0]
	s_waitcnt vmcnt(27) lgkmcnt(1)
	s_delay_alu instid0(VALU_DEP_1) | instskip(SKIP_1) | instid1(VALU_DEP_1)
	v_fma_mix_f32 v2, v9, v24, v2 op_sel_hi:[0,1,0]
	s_waitcnt vmcnt(26)
	v_fma_mix_f32 v2, v10, v25, v2 op_sel_hi:[0,1,0]
	s_waitcnt vmcnt(25)
	s_delay_alu instid0(VALU_DEP_1) | instskip(SKIP_4) | instid1(VALU_DEP_1)
	v_fma_mix_f32 v2, v11, v26, v2 op_sel_hi:[0,1,0]
	ds_load_b128 v[8:11], v44 offset:176
	s_waitcnt vmcnt(24)
	v_fma_mix_f32 v2, v12, v27, v2 op_sel_hi:[0,1,0]
	s_waitcnt vmcnt(23) lgkmcnt(1)
	v_fma_mix_f32 v2, v4, v28, v2 op_sel_hi:[0,1,0]
	s_waitcnt vmcnt(22)
	s_delay_alu instid0(VALU_DEP_1) | instskip(SKIP_1) | instid1(VALU_DEP_1)
	v_fma_mix_f32 v2, v5, v29, v2 op_sel_hi:[0,1,0]
	s_waitcnt vmcnt(21)
	v_fma_mix_f32 v2, v6, v30, v2 op_sel_hi:[0,1,0]
	s_waitcnt vmcnt(20)
	s_delay_alu instid0(VALU_DEP_1) | instskip(SKIP_4) | instid1(VALU_DEP_1)
	v_fma_mix_f32 v2, v7, v31, v2 op_sel_hi:[0,1,0]
	ds_load_b128 v[4:7], v44 offset:192
	s_waitcnt vmcnt(19) lgkmcnt(1)
	v_fma_mix_f32 v2, v8, v32, v2 op_sel_hi:[0,1,0]
	s_waitcnt vmcnt(18)
	v_fma_mix_f32 v2, v9, v33, v2 op_sel_hi:[0,1,0]
	s_waitcnt vmcnt(17)
	s_delay_alu instid0(VALU_DEP_1) | instskip(SKIP_1) | instid1(VALU_DEP_1)
	v_fma_mix_f32 v2, v10, v17, v2 op_sel_hi:[0,1,0]
	s_waitcnt vmcnt(16)
	v_fma_mix_f32 v2, v11, v18, v2 op_sel_hi:[0,1,0]
	ds_load_b128 v[8:11], v44 offset:208
	s_waitcnt vmcnt(15) lgkmcnt(1)
	v_fma_mix_f32 v2, v4, v19, v2 op_sel_hi:[0,1,0]
	s_waitcnt vmcnt(14)
	s_delay_alu instid0(VALU_DEP_1) | instskip(SKIP_1) | instid1(VALU_DEP_1)
	v_fma_mix_f32 v2, v5, v20, v2 op_sel_hi:[0,1,0]
	s_waitcnt vmcnt(13)
	v_fma_mix_f32 v2, v6, v34, v2 op_sel_hi:[0,1,0]
	s_waitcnt vmcnt(12)
	s_delay_alu instid0(VALU_DEP_1) | instskip(SKIP_4) | instid1(VALU_DEP_1)
	v_fma_mix_f32 v2, v7, v35, v2 op_sel_hi:[0,1,0]
	ds_load_b128 v[4:7], v44 offset:224
	s_waitcnt vmcnt(11) lgkmcnt(1)
	v_fma_mix_f32 v2, v8, v36, v2 op_sel_hi:[0,1,0]
	s_waitcnt vmcnt(10)
	v_fma_mix_f32 v2, v9, v15, v2 op_sel_hi:[0,1,0]
	s_waitcnt vmcnt(9)
	s_delay_alu instid0(VALU_DEP_1) | instskip(SKIP_1) | instid1(VALU_DEP_1)
	v_fma_mix_f32 v2, v10, v16, v2 op_sel_hi:[0,1,0]
	s_waitcnt vmcnt(8)
	v_fma_mix_f32 v2, v11, v37, v2 op_sel_hi:[0,1,0]
	ds_load_b128 v[8:11], v44 offset:240
	s_waitcnt vmcnt(7) lgkmcnt(1)
	v_fma_mix_f32 v2, v4, v38, v2 op_sel_hi:[0,1,0]
	s_waitcnt vmcnt(6)
	s_delay_alu instid0(VALU_DEP_1) | instskip(SKIP_1) | instid1(VALU_DEP_1)
	v_fma_mix_f32 v2, v5, v39, v2 op_sel_hi:[0,1,0]
	s_waitcnt vmcnt(5)
	v_fma_mix_f32 v2, v6, v13, v2 op_sel_hi:[0,1,0]
	s_waitcnt vmcnt(4)
	s_delay_alu instid0(VALU_DEP_1) | instskip(SKIP_1) | instid1(VALU_DEP_1)
	v_fma_mix_f32 v2, v7, v14, v2 op_sel_hi:[0,1,0]
	s_waitcnt vmcnt(3) lgkmcnt(0)
	v_fma_mix_f32 v2, v8, v40, v2 op_sel_hi:[0,1,0]
	s_waitcnt vmcnt(2)
	s_delay_alu instid0(VALU_DEP_1) | instskip(SKIP_1) | instid1(VALU_DEP_1)
	v_fma_mix_f32 v2, v9, v41, v2 op_sel_hi:[0,1,0]
	s_waitcnt vmcnt(1)
	v_fma_mix_f32 v2, v10, v42, v2 op_sel_hi:[0,1,0]
	s_waitcnt vmcnt(0)
	s_delay_alu instid0(VALU_DEP_1)
	v_fma_mix_f32 v4, v11, v43, v2 op_sel_hi:[0,1,0]
	s_cmpk_lt_i32 s48, 0x4100
	s_cbranch_scc1 .LBB269_14
.LBB269_21:
	s_cmpk_lt_u32 s48, 0x4200
	v_add_co_u32 v5, vcc_lo, 0x4000, v1
	s_cselect_b32 s4, s49, 0x2080
	v_add_co_ci_u32_e32 v6, vcc_lo, 0, v3, vcc_lo
	s_ashr_i32 s5, s4, 31
	v_mov_b32_e32 v44, 0
	s_lshl_b64 s[4:5], s[4:5], 1
	s_cmpk_lt_u32 s48, 0x4300
	v_add_co_u32 v7, vcc_lo, v1, s4
	s_cselect_b32 s6, s49, 0x2100
	v_add_co_ci_u32_e32 v8, vcc_lo, s5, v3, vcc_lo
	s_ashr_i32 s7, s6, 31
	s_delay_alu instid0(SALU_CYCLE_1)
	s_lshl_b64 s[6:7], s[6:7], 1
	s_cmpk_lt_u32 s48, 0x4400
	v_add_co_u32 v9, vcc_lo, v1, s6
	s_cselect_b32 s8, s49, 0x2180
	v_add_co_ci_u32_e32 v10, vcc_lo, s7, v3, vcc_lo
	s_ashr_i32 s9, s8, 31
	s_delay_alu instid0(SALU_CYCLE_1)
	s_lshl_b64 s[8:9], s[8:9], 1
	s_cmpk_lt_u32 s48, 0x4500
	v_add_co_u32 v11, vcc_lo, v1, s8
	s_cselect_b32 s10, s49, 0x2200
	v_add_co_ci_u32_e32 v12, vcc_lo, s9, v3, vcc_lo
	s_ashr_i32 s11, s10, 31
	s_delay_alu instid0(SALU_CYCLE_1)
	s_lshl_b64 s[10:11], s[10:11], 1
	s_cmpk_lt_u32 s48, 0x4600
	v_add_co_u32 v13, vcc_lo, v1, s10
	s_cselect_b32 s18, s49, 0x2280
	v_add_co_ci_u32_e32 v14, vcc_lo, s11, v3, vcc_lo
	s_ashr_i32 s19, s18, 31
	s_delay_alu instid0(SALU_CYCLE_1)
	s_lshl_b64 s[20:21], s[18:19], 1
	s_cmpk_lt_u32 s48, 0x4700
	v_add_co_u32 v15, vcc_lo, v1, s20
	s_cselect_b32 s18, s49, 0x2300
	v_add_co_ci_u32_e32 v16, vcc_lo, s21, v3, vcc_lo
	s_ashr_i32 s19, s18, 31
	s_delay_alu instid0(SALU_CYCLE_1)
	s_lshl_b64 s[22:23], s[18:19], 1
	s_cmpk_lt_u32 s48, 0x4800
	v_add_co_u32 v17, vcc_lo, v1, s22
	s_cselect_b32 s18, s49, 0x2380
	v_add_co_ci_u32_e32 v18, vcc_lo, s23, v3, vcc_lo
	s_ashr_i32 s19, s18, 31
	s_delay_alu instid0(SALU_CYCLE_1)
	s_lshl_b64 s[26:27], s[18:19], 1
	s_cmpk_lt_u32 s48, 0x4900
	v_add_co_u32 v19, vcc_lo, v1, s26
	s_cselect_b32 s18, s49, 0x2400
	v_add_co_ci_u32_e32 v20, vcc_lo, s27, v3, vcc_lo
	s_ashr_i32 s19, s18, 31
	s_clause 0x7
	global_load_u16 v2, v[5:6], off
	global_load_u16 v21, v[7:8], off
	;; [unrolled: 1-line block ×8, first 2 shown]
	s_lshl_b64 s[18:19], s[18:19], 1
	s_cmpk_lt_u32 s48, 0x4a00
	v_add_co_u32 v5, vcc_lo, v1, s18
	s_cselect_b32 s24, s49, 0x2480
	v_add_co_ci_u32_e32 v6, vcc_lo, s19, v3, vcc_lo
	s_ashr_i32 s25, s24, 31
	s_delay_alu instid0(SALU_CYCLE_1)
	s_lshl_b64 s[24:25], s[24:25], 1
	s_cmpk_lt_u32 s48, 0x4b00
	v_add_co_u32 v7, vcc_lo, v1, s24
	s_cselect_b32 s28, s49, 0x2500
	v_add_co_ci_u32_e32 v8, vcc_lo, s25, v3, vcc_lo
	s_ashr_i32 s29, s28, 31
	s_delay_alu instid0(SALU_CYCLE_1)
	;; [unrolled: 7-line block ×7, first 2 shown]
	s_lshl_b64 s[44:45], s[36:37], 1
	s_cmpk_lt_u32 s48, 0x5100
	v_add_co_u32 v19, vcc_lo, v1, s44
	s_cselect_b32 s36, s49, 0x2800
	v_add_co_ci_u32_e32 v20, vcc_lo, s45, v3, vcc_lo
	s_ashr_i32 s37, s36, 31
	s_clause 0x7
	global_load_u16 v28, v[5:6], off
	global_load_u16 v29, v[7:8], off
	;; [unrolled: 1-line block ×8, first 2 shown]
	s_lshl_b64 s[36:37], s[36:37], 1
	s_cmpk_lt_u32 s48, 0x5200
	v_add_co_u32 v5, vcc_lo, v1, s36
	s_cselect_b32 s42, s49, 0x2880
	v_add_co_ci_u32_e32 v6, vcc_lo, s37, v3, vcc_lo
	s_ashr_i32 s43, s42, 31
	s_delay_alu instid0(SALU_CYCLE_1)
	s_lshl_b64 s[42:43], s[42:43], 1
	s_cmpk_lt_u32 s48, 0x5300
	v_add_co_u32 v7, vcc_lo, v1, s42
	s_cselect_b32 s46, s49, 0x2900
	v_add_co_ci_u32_e32 v8, vcc_lo, s43, v3, vcc_lo
	s_ashr_i32 s47, s46, 31
	s_delay_alu instid0(SALU_CYCLE_1)
	;; [unrolled: 7-line block ×5, first 2 shown]
	s_lshl_b64 s[8:9], s[8:9], 1
	s_cmpk_lt_u32 s48, 0x5700
	v_add_co_u32 v15, vcc_lo, v1, s8
	s_cselect_b32 s10, s49, 0x2b00
	v_add_co_ci_u32_e32 v16, vcc_lo, s9, v3, vcc_lo
	s_ashr_i32 s11, s10, 31
	s_clause 0x5
	global_load_u16 v19, v[5:6], off
	global_load_u16 v20, v[7:8], off
	;; [unrolled: 1-line block ×6, first 2 shown]
	s_lshl_b64 s[10:11], s[10:11], 1
	s_cmpk_lt_u32 s48, 0x5800
	v_add_co_u32 v5, vcc_lo, v1, s10
	s_cselect_b32 s18, s49, 0x2b80
	v_add_co_ci_u32_e32 v6, vcc_lo, s11, v3, vcc_lo
	s_ashr_i32 s19, s18, 31
	s_delay_alu instid0(SALU_CYCLE_1)
	s_lshl_b64 s[18:19], s[18:19], 1
	s_cmpk_lt_u32 s48, 0x5900
	v_add_co_u32 v7, vcc_lo, v1, s18
	s_cselect_b32 s20, s49, 0x2c00
	v_add_co_ci_u32_e32 v8, vcc_lo, s19, v3, vcc_lo
	s_ashr_i32 s21, s20, 31
	global_load_u16 v16, v[5:6], off
	s_lshl_b64 s[20:21], s[20:21], 1
	global_load_u16 v37, v[7:8], off
	s_cmpk_lt_u32 s48, 0x5a00
	v_add_co_u32 v9, vcc_lo, v1, s20
	s_cselect_b32 s22, s49, 0x2c80
	v_add_co_ci_u32_e32 v10, vcc_lo, s21, v3, vcc_lo
	s_ashr_i32 s23, s22, 31
	s_delay_alu instid0(SALU_CYCLE_1)
	s_lshl_b64 s[22:23], s[22:23], 1
	s_cmpk_lt_u32 s48, 0x5b00
	v_add_co_u32 v11, vcc_lo, v1, s22
	s_cselect_b32 s4, s49, 0x2d00
	v_add_co_ci_u32_e32 v12, vcc_lo, s23, v3, vcc_lo
	s_ashr_i32 s5, s4, 31
	s_delay_alu instid0(SALU_CYCLE_1)
	s_lshl_b64 s[4:5], s[4:5], 1
	s_cmpk_lt_u32 s48, 0x5c00
	v_add_co_u32 v13, vcc_lo, v1, s4
	s_cselect_b32 s6, s49, 0x2d80
	v_add_co_ci_u32_e32 v14, vcc_lo, s5, v3, vcc_lo
	s_ashr_i32 s7, s6, 31
	s_clause 0x2
	global_load_u16 v38, v[9:10], off
	global_load_u16 v39, v[11:12], off
	;; [unrolled: 1-line block ×3, first 2 shown]
	s_lshl_b64 s[6:7], s[6:7], 1
	s_cmpk_lt_u32 s48, 0x5d00
	v_add_co_u32 v5, vcc_lo, v1, s6
	s_cselect_b32 s8, s49, 0x2e00
	v_add_co_ci_u32_e32 v6, vcc_lo, s7, v3, vcc_lo
	s_ashr_i32 s9, s8, 31
	s_delay_alu instid0(SALU_CYCLE_1)
	s_lshl_b64 s[4:5], s[8:9], 1
	s_cmpk_lt_u32 s48, 0x5e00
	v_add_co_u32 v7, vcc_lo, v1, s4
	s_cselect_b32 s8, s49, 0x2e80
	v_add_co_ci_u32_e32 v8, vcc_lo, s5, v3, vcc_lo
	s_ashr_i32 s9, s8, 31
	global_load_u16 v14, v[5:6], off
	s_lshl_b64 s[8:9], s[8:9], 1
	s_cmpk_lt_u32 s48, 0x5f00
	v_add_co_u32 v9, vcc_lo, v1, s8
	s_cselect_b32 s6, s49, 0x2f00
	v_add_co_ci_u32_e32 v10, vcc_lo, s9, v3, vcc_lo
	s_ashr_i32 s7, s6, 31
	s_clause 0x1
	global_load_u16 v40, v[7:8], off
	global_load_u16 v41, v[9:10], off
	s_lshl_b64 s[4:5], s[6:7], 1
	s_cmpk_lt_u32 s48, 0x6000
	v_add_co_u32 v5, vcc_lo, v1, s4
	s_cselect_b32 s6, s49, 0x2f80
	v_add_co_ci_u32_e32 v6, vcc_lo, s5, v3, vcc_lo
	s_ashr_i32 s7, s6, 31
	s_delay_alu instid0(SALU_CYCLE_1) | instskip(NEXT) | instid1(SALU_CYCLE_1)
	s_lshl_b64 s[4:5], s[6:7], 1
	v_add_co_u32 v7, vcc_lo, v1, s4
	v_add_co_ci_u32_e32 v8, vcc_lo, s5, v3, vcc_lo
	s_clause 0x1
	global_load_u16 v42, v[5:6], off
	global_load_u16 v43, v[7:8], off
	ds_load_b128 v[5:8], v44 offset:256
	ds_load_b128 v[9:12], v44 offset:272
	s_waitcnt vmcnt(31) lgkmcnt(1)
	v_fma_mix_f32 v2, v5, v2, v4 op_sel_hi:[0,1,0]
	s_waitcnt vmcnt(30)
	s_delay_alu instid0(VALU_DEP_1) | instskip(SKIP_1) | instid1(VALU_DEP_1)
	v_fma_mix_f32 v2, v6, v21, v2 op_sel_hi:[0,1,0]
	s_waitcnt vmcnt(29)
	v_fma_mix_f32 v2, v7, v22, v2 op_sel_hi:[0,1,0]
	ds_load_b128 v[4:7], v44 offset:288
	s_waitcnt vmcnt(28)
	v_fma_mix_f32 v2, v8, v23, v2 op_sel_hi:[0,1,0]
	s_waitcnt vmcnt(27) lgkmcnt(1)
	s_delay_alu instid0(VALU_DEP_1) | instskip(SKIP_1) | instid1(VALU_DEP_1)
	v_fma_mix_f32 v2, v9, v24, v2 op_sel_hi:[0,1,0]
	s_waitcnt vmcnt(26)
	v_fma_mix_f32 v2, v10, v25, v2 op_sel_hi:[0,1,0]
	s_waitcnt vmcnt(25)
	s_delay_alu instid0(VALU_DEP_1) | instskip(SKIP_4) | instid1(VALU_DEP_1)
	v_fma_mix_f32 v2, v11, v26, v2 op_sel_hi:[0,1,0]
	ds_load_b128 v[8:11], v44 offset:304
	s_waitcnt vmcnt(24)
	v_fma_mix_f32 v2, v12, v27, v2 op_sel_hi:[0,1,0]
	s_waitcnt vmcnt(23) lgkmcnt(1)
	v_fma_mix_f32 v2, v4, v28, v2 op_sel_hi:[0,1,0]
	s_waitcnt vmcnt(22)
	s_delay_alu instid0(VALU_DEP_1) | instskip(SKIP_1) | instid1(VALU_DEP_1)
	v_fma_mix_f32 v2, v5, v29, v2 op_sel_hi:[0,1,0]
	s_waitcnt vmcnt(21)
	v_fma_mix_f32 v2, v6, v30, v2 op_sel_hi:[0,1,0]
	s_waitcnt vmcnt(20)
	s_delay_alu instid0(VALU_DEP_1) | instskip(SKIP_4) | instid1(VALU_DEP_1)
	v_fma_mix_f32 v2, v7, v31, v2 op_sel_hi:[0,1,0]
	ds_load_b128 v[4:7], v44 offset:320
	s_waitcnt vmcnt(19) lgkmcnt(1)
	v_fma_mix_f32 v2, v8, v32, v2 op_sel_hi:[0,1,0]
	s_waitcnt vmcnt(18)
	v_fma_mix_f32 v2, v9, v33, v2 op_sel_hi:[0,1,0]
	s_waitcnt vmcnt(17)
	s_delay_alu instid0(VALU_DEP_1) | instskip(SKIP_1) | instid1(VALU_DEP_1)
	v_fma_mix_f32 v2, v10, v17, v2 op_sel_hi:[0,1,0]
	s_waitcnt vmcnt(16)
	v_fma_mix_f32 v2, v11, v18, v2 op_sel_hi:[0,1,0]
	ds_load_b128 v[8:11], v44 offset:336
	s_waitcnt vmcnt(15) lgkmcnt(1)
	v_fma_mix_f32 v2, v4, v19, v2 op_sel_hi:[0,1,0]
	s_waitcnt vmcnt(14)
	s_delay_alu instid0(VALU_DEP_1) | instskip(SKIP_1) | instid1(VALU_DEP_1)
	v_fma_mix_f32 v2, v5, v20, v2 op_sel_hi:[0,1,0]
	s_waitcnt vmcnt(13)
	v_fma_mix_f32 v2, v6, v34, v2 op_sel_hi:[0,1,0]
	s_waitcnt vmcnt(12)
	s_delay_alu instid0(VALU_DEP_1) | instskip(SKIP_4) | instid1(VALU_DEP_1)
	v_fma_mix_f32 v2, v7, v35, v2 op_sel_hi:[0,1,0]
	ds_load_b128 v[4:7], v44 offset:352
	s_waitcnt vmcnt(11) lgkmcnt(1)
	v_fma_mix_f32 v2, v8, v36, v2 op_sel_hi:[0,1,0]
	s_waitcnt vmcnt(10)
	v_fma_mix_f32 v2, v9, v15, v2 op_sel_hi:[0,1,0]
	s_waitcnt vmcnt(9)
	s_delay_alu instid0(VALU_DEP_1) | instskip(SKIP_1) | instid1(VALU_DEP_1)
	v_fma_mix_f32 v2, v10, v16, v2 op_sel_hi:[0,1,0]
	s_waitcnt vmcnt(8)
	v_fma_mix_f32 v2, v11, v37, v2 op_sel_hi:[0,1,0]
	ds_load_b128 v[8:11], v44 offset:368
	s_waitcnt vmcnt(7) lgkmcnt(1)
	v_fma_mix_f32 v2, v4, v38, v2 op_sel_hi:[0,1,0]
	s_waitcnt vmcnt(6)
	s_delay_alu instid0(VALU_DEP_1) | instskip(SKIP_1) | instid1(VALU_DEP_1)
	v_fma_mix_f32 v2, v5, v39, v2 op_sel_hi:[0,1,0]
	s_waitcnt vmcnt(5)
	v_fma_mix_f32 v2, v6, v13, v2 op_sel_hi:[0,1,0]
	s_waitcnt vmcnt(4)
	s_delay_alu instid0(VALU_DEP_1) | instskip(SKIP_1) | instid1(VALU_DEP_1)
	v_fma_mix_f32 v2, v7, v14, v2 op_sel_hi:[0,1,0]
	s_waitcnt vmcnt(3) lgkmcnt(0)
	v_fma_mix_f32 v2, v8, v40, v2 op_sel_hi:[0,1,0]
	s_waitcnt vmcnt(2)
	s_delay_alu instid0(VALU_DEP_1) | instskip(SKIP_1) | instid1(VALU_DEP_1)
	v_fma_mix_f32 v2, v9, v41, v2 op_sel_hi:[0,1,0]
	s_waitcnt vmcnt(1)
	v_fma_mix_f32 v2, v10, v42, v2 op_sel_hi:[0,1,0]
	s_waitcnt vmcnt(0)
	s_delay_alu instid0(VALU_DEP_1)
	v_fma_mix_f32 v4, v11, v43, v2 op_sel_hi:[0,1,0]
	s_load_b64 s[0:1], s[0:1], 0x0
	s_cmpk_lt_i32 s48, 0x6100
	s_cbranch_scc1 .LBB269_15
.LBB269_22:
	s_cmpk_lt_u32 s48, 0x6200
	v_add_co_u32 v5, vcc_lo, 0x6000, v1
	s_cselect_b32 s4, s49, 0x3080
	v_add_co_ci_u32_e32 v6, vcc_lo, 0, v3, vcc_lo
	s_ashr_i32 s5, s4, 31
	v_mov_b32_e32 v45, 0
	s_lshl_b64 s[4:5], s[4:5], 1
	s_cmpk_lt_u32 s48, 0x6300
	v_add_co_u32 v7, vcc_lo, v1, s4
	s_cselect_b32 s6, s49, 0x3100
	v_add_co_ci_u32_e32 v8, vcc_lo, s5, v3, vcc_lo
	s_ashr_i32 s7, s6, 31
	s_delay_alu instid0(SALU_CYCLE_1)
	s_lshl_b64 s[6:7], s[6:7], 1
	s_cmpk_lt_u32 s48, 0x6400
	v_add_co_u32 v9, vcc_lo, v1, s6
	s_cselect_b32 s8, s49, 0x3180
	v_add_co_ci_u32_e32 v10, vcc_lo, s7, v3, vcc_lo
	s_ashr_i32 s9, s8, 31
	s_delay_alu instid0(SALU_CYCLE_1)
	;; [unrolled: 7-line block ×6, first 2 shown]
	s_lshl_b64 s[26:27], s[18:19], 1
	s_cmpk_lt_u32 s48, 0x6900
	v_add_co_u32 v19, vcc_lo, v1, s26
	s_cselect_b32 s18, s49, 0x3400
	v_add_co_ci_u32_e32 v20, vcc_lo, s27, v3, vcc_lo
	s_ashr_i32 s19, s18, 31
	s_clause 0x7
	global_load_u16 v21, v[5:6], off
	global_load_u16 v22, v[7:8], off
	;; [unrolled: 1-line block ×8, first 2 shown]
	s_lshl_b64 s[18:19], s[18:19], 1
	s_cmpk_lt_u32 s48, 0x6a00
	v_add_co_u32 v5, vcc_lo, v1, s18
	s_cselect_b32 s24, s49, 0x3480
	v_add_co_ci_u32_e32 v6, vcc_lo, s19, v3, vcc_lo
	s_ashr_i32 s25, s24, 31
	s_delay_alu instid0(SALU_CYCLE_1)
	s_lshl_b64 s[24:25], s[24:25], 1
	s_cmpk_lt_u32 s48, 0x6b00
	v_add_co_u32 v7, vcc_lo, v1, s24
	s_cselect_b32 s28, s49, 0x3500
	v_add_co_ci_u32_e32 v8, vcc_lo, s25, v3, vcc_lo
	s_ashr_i32 s29, s28, 31
	s_delay_alu instid0(SALU_CYCLE_1)
	;; [unrolled: 7-line block ×7, first 2 shown]
	s_lshl_b64 s[44:45], s[36:37], 1
	s_cmpk_lt_u32 s48, 0x7100
	v_add_co_u32 v19, vcc_lo, v1, s44
	s_cselect_b32 s36, s49, 0x3800
	v_add_co_ci_u32_e32 v20, vcc_lo, s45, v3, vcc_lo
	s_ashr_i32 s37, s36, 31
	s_clause 0x7
	global_load_u16 v29, v[5:6], off
	global_load_u16 v30, v[7:8], off
	;; [unrolled: 1-line block ×8, first 2 shown]
	s_lshl_b64 s[36:37], s[36:37], 1
	s_cmpk_lt_u32 s48, 0x7200
	v_add_co_u32 v5, vcc_lo, v1, s36
	s_cselect_b32 s42, s49, 0x3880
	v_add_co_ci_u32_e32 v6, vcc_lo, s37, v3, vcc_lo
	s_ashr_i32 s43, s42, 31
	s_delay_alu instid0(SALU_CYCLE_1)
	s_lshl_b64 s[42:43], s[42:43], 1
	s_cmpk_lt_u32 s48, 0x7300
	v_add_co_u32 v7, vcc_lo, v1, s42
	s_cselect_b32 s46, s49, 0x3900
	v_add_co_ci_u32_e32 v8, vcc_lo, s43, v3, vcc_lo
	s_ashr_i32 s47, s46, 31
	s_delay_alu instid0(SALU_CYCLE_1)
	;; [unrolled: 7-line block ×5, first 2 shown]
	s_lshl_b64 s[8:9], s[8:9], 1
	s_cmpk_lt_u32 s48, 0x7700
	v_add_co_u32 v15, vcc_lo, v1, s8
	s_cselect_b32 s10, s49, 0x3b00
	v_add_co_ci_u32_e32 v16, vcc_lo, s9, v3, vcc_lo
	s_ashr_i32 s11, s10, 31
	s_clause 0x5
	global_load_u16 v19, v[5:6], off
	global_load_u16 v20, v[7:8], off
	;; [unrolled: 1-line block ×6, first 2 shown]
	s_lshl_b64 s[10:11], s[10:11], 1
	s_cmpk_lt_u32 s48, 0x7800
	v_add_co_u32 v5, vcc_lo, v1, s10
	s_cselect_b32 s18, s49, 0x3b80
	v_add_co_ci_u32_e32 v6, vcc_lo, s11, v3, vcc_lo
	s_ashr_i32 s19, s18, 31
	s_delay_alu instid0(SALU_CYCLE_1)
	s_lshl_b64 s[18:19], s[18:19], 1
	s_cmpk_lt_u32 s48, 0x7900
	v_add_co_u32 v7, vcc_lo, v1, s18
	s_cselect_b32 s20, s49, 0x3c00
	v_add_co_ci_u32_e32 v8, vcc_lo, s19, v3, vcc_lo
	s_ashr_i32 s21, s20, 31
	global_load_u16 v16, v[5:6], off
	s_lshl_b64 s[20:21], s[20:21], 1
	global_load_u16 v38, v[7:8], off
	s_cmpk_lt_u32 s48, 0x7a00
	v_add_co_u32 v9, vcc_lo, v1, s20
	s_cselect_b32 s22, s49, 0x3c80
	v_add_co_ci_u32_e32 v10, vcc_lo, s21, v3, vcc_lo
	s_ashr_i32 s23, s22, 31
	s_delay_alu instid0(SALU_CYCLE_1)
	s_lshl_b64 s[22:23], s[22:23], 1
	s_cmpk_lt_u32 s48, 0x7b00
	v_add_co_u32 v11, vcc_lo, v1, s22
	s_cselect_b32 s4, s49, 0x3d00
	v_add_co_ci_u32_e32 v12, vcc_lo, s23, v3, vcc_lo
	s_ashr_i32 s5, s4, 31
	s_delay_alu instid0(SALU_CYCLE_1)
	s_lshl_b64 s[4:5], s[4:5], 1
	s_cmpk_lt_u32 s48, 0x7c00
	v_add_co_u32 v13, vcc_lo, v1, s4
	s_cselect_b32 s6, s49, 0x3d80
	v_add_co_ci_u32_e32 v14, vcc_lo, s5, v3, vcc_lo
	s_ashr_i32 s7, s6, 31
	s_clause 0x2
	global_load_u16 v39, v[9:10], off
	global_load_u16 v40, v[11:12], off
	;; [unrolled: 1-line block ×3, first 2 shown]
	s_lshl_b64 s[6:7], s[6:7], 1
	s_cmpk_lt_u32 s48, 0x7d00
	v_add_co_u32 v5, vcc_lo, v1, s6
	s_cselect_b32 s8, s49, 0x3e00
	v_add_co_ci_u32_e32 v6, vcc_lo, s7, v3, vcc_lo
	s_ashr_i32 s9, s8, 31
	s_delay_alu instid0(SALU_CYCLE_1)
	s_lshl_b64 s[4:5], s[8:9], 1
	s_cmpk_lt_u32 s48, 0x7e00
	v_add_co_u32 v7, vcc_lo, v1, s4
	s_cselect_b32 s8, s49, 0x3e80
	v_add_co_ci_u32_e32 v8, vcc_lo, s5, v3, vcc_lo
	s_ashr_i32 s9, s8, 31
	global_load_u16 v14, v[5:6], off
	s_lshl_b64 s[8:9], s[8:9], 1
	s_cmpk_lt_u32 s48, 0x7f00
	v_add_co_u32 v9, vcc_lo, v1, s8
	s_cselect_b32 s6, s49, 0x3f00
	v_add_co_ci_u32_e32 v10, vcc_lo, s9, v3, vcc_lo
	s_ashr_i32 s7, s6, 31
	s_clause 0x1
	global_load_u16 v41, v[7:8], off
	global_load_u16 v42, v[9:10], off
	s_lshl_b64 s[4:5], s[6:7], 1
	s_cmpk_lt_u32 s48, 0x8000
	v_add_co_u32 v5, vcc_lo, v1, s4
	s_cselect_b32 s6, s49, 0x3f80
	v_add_co_ci_u32_e32 v6, vcc_lo, s5, v3, vcc_lo
	s_ashr_i32 s7, s6, 31
	s_delay_alu instid0(SALU_CYCLE_1) | instskip(NEXT) | instid1(SALU_CYCLE_1)
	s_lshl_b64 s[4:5], s[6:7], 1
	v_add_co_u32 v1, vcc_lo, v1, s4
	v_add_co_ci_u32_e32 v2, vcc_lo, s5, v3, vcc_lo
	s_clause 0x1
	global_load_u16 v43, v[5:6], off
	global_load_u16 v44, v[1:2], off
	ds_load_b128 v[5:8], v45 offset:384
	ds_load_b128 v[9:12], v45 offset:400
	s_waitcnt vmcnt(31) lgkmcnt(0)
	v_fma_mix_f32 v1, v5, v21, v4 op_sel_hi:[0,1,0]
	s_waitcnt vmcnt(30)
	s_delay_alu instid0(VALU_DEP_1) | instskip(SKIP_1) | instid1(VALU_DEP_1)
	v_fma_mix_f32 v1, v6, v22, v1 op_sel_hi:[0,1,0]
	s_waitcnt vmcnt(29)
	v_fma_mix_f32 v1, v7, v23, v1 op_sel_hi:[0,1,0]
	s_waitcnt vmcnt(28)
	s_delay_alu instid0(VALU_DEP_1) | instskip(SKIP_1) | instid1(VALU_DEP_1)
	v_fma_mix_f32 v1, v8, v24, v1 op_sel_hi:[0,1,0]
	s_waitcnt vmcnt(27)
	v_fma_mix_f32 v5, v9, v25, v1 op_sel_hi:[0,1,0]
	ds_load_b128 v[1:4], v45 offset:416
	s_waitcnt vmcnt(26)
	v_fma_mix_f32 v5, v10, v26, v5 op_sel_hi:[0,1,0]
	s_waitcnt vmcnt(25)
	s_delay_alu instid0(VALU_DEP_1) | instskip(SKIP_1) | instid1(VALU_DEP_1)
	v_fma_mix_f32 v5, v11, v27, v5 op_sel_hi:[0,1,0]
	s_waitcnt vmcnt(24)
	v_fma_mix_f32 v9, v12, v28, v5 op_sel_hi:[0,1,0]
	ds_load_b128 v[5:8], v45 offset:432
	s_waitcnt vmcnt(23) lgkmcnt(1)
	v_fma_mix_f32 v1, v1, v29, v9 op_sel_hi:[0,1,0]
	s_waitcnt vmcnt(22)
	s_delay_alu instid0(VALU_DEP_1) | instskip(SKIP_1) | instid1(VALU_DEP_1)
	v_fma_mix_f32 v1, v2, v30, v1 op_sel_hi:[0,1,0]
	s_waitcnt vmcnt(21)
	v_fma_mix_f32 v1, v3, v31, v1 op_sel_hi:[0,1,0]
	s_waitcnt vmcnt(20)
	s_delay_alu instid0(VALU_DEP_1) | instskip(SKIP_1) | instid1(VALU_DEP_1)
	v_fma_mix_f32 v1, v4, v32, v1 op_sel_hi:[0,1,0]
	s_waitcnt vmcnt(19) lgkmcnt(0)
	v_fma_mix_f32 v5, v5, v33, v1 op_sel_hi:[0,1,0]
	ds_load_b128 v[1:4], v45 offset:448
	s_waitcnt vmcnt(18)
	v_fma_mix_f32 v5, v6, v34, v5 op_sel_hi:[0,1,0]
	s_waitcnt vmcnt(17)
	s_delay_alu instid0(VALU_DEP_1) | instskip(SKIP_1) | instid1(VALU_DEP_1)
	v_fma_mix_f32 v5, v7, v17, v5 op_sel_hi:[0,1,0]
	s_waitcnt vmcnt(16)
	v_fma_mix_f32 v9, v8, v18, v5 op_sel_hi:[0,1,0]
	ds_load_b128 v[5:8], v45 offset:464
	s_waitcnt vmcnt(15) lgkmcnt(1)
	v_fma_mix_f32 v1, v1, v19, v9 op_sel_hi:[0,1,0]
	s_waitcnt vmcnt(14)
	s_delay_alu instid0(VALU_DEP_1) | instskip(SKIP_1) | instid1(VALU_DEP_1)
	v_fma_mix_f32 v1, v2, v20, v1 op_sel_hi:[0,1,0]
	s_waitcnt vmcnt(13)
	v_fma_mix_f32 v1, v3, v35, v1 op_sel_hi:[0,1,0]
	s_waitcnt vmcnt(12)
	s_delay_alu instid0(VALU_DEP_1) | instskip(SKIP_1) | instid1(VALU_DEP_1)
	v_fma_mix_f32 v1, v4, v36, v1 op_sel_hi:[0,1,0]
	s_waitcnt vmcnt(11) lgkmcnt(0)
	;; [unrolled: 21-line block ×3, first 2 shown]
	v_fma_mix_f32 v1, v5, v41, v1 op_sel_hi:[0,1,0]
	s_waitcnt vmcnt(2)
	s_delay_alu instid0(VALU_DEP_1) | instskip(SKIP_1) | instid1(VALU_DEP_1)
	v_fma_mix_f32 v1, v6, v42, v1 op_sel_hi:[0,1,0]
	s_waitcnt vmcnt(1)
	v_fma_mix_f32 v1, v7, v43, v1 op_sel_hi:[0,1,0]
	s_waitcnt vmcnt(0)
	s_delay_alu instid0(VALU_DEP_1)
	v_fma_mix_f32 v4, v8, v44, v1 op_sel_hi:[0,1,0]
	v_mov_b32_e32 v1, 0
	s_and_not1_b32 vcc_lo, exec_lo, s15
	ds_load_b32 v1, v1 offset:512
	s_cbranch_vccz .LBB269_16
	s_branch .LBB269_17
	.section	.rodata,"a",@progbits
	.p2align	6, 0x0
	.amdhsa_kernel _Z35paged_attention_ll4mi_reduce_kernelIDF16_DF16_Li128ELi128ELi256ELi4EEvPT0_PKfS3_PKT_PKiS8_iS3_
		.amdhsa_group_segment_fixed_size 516
		.amdhsa_private_segment_fixed_size 0
		.amdhsa_kernarg_size 320
		.amdhsa_user_sgpr_count 14
		.amdhsa_user_sgpr_dispatch_ptr 0
		.amdhsa_user_sgpr_queue_ptr 0
		.amdhsa_user_sgpr_kernarg_segment_ptr 1
		.amdhsa_user_sgpr_dispatch_id 0
		.amdhsa_user_sgpr_private_segment_size 0
		.amdhsa_wavefront_size32 1
		.amdhsa_uses_dynamic_stack 0
		.amdhsa_enable_private_segment 0
		.amdhsa_system_sgpr_workgroup_id_x 1
		.amdhsa_system_sgpr_workgroup_id_y 1
		.amdhsa_system_sgpr_workgroup_id_z 0
		.amdhsa_system_sgpr_workgroup_info 0
		.amdhsa_system_vgpr_workitem_id 0
		.amdhsa_next_free_vgpr 48
		.amdhsa_next_free_sgpr 52
		.amdhsa_reserve_vcc 1
		.amdhsa_float_round_mode_32 0
		.amdhsa_float_round_mode_16_64 0
		.amdhsa_float_denorm_mode_32 3
		.amdhsa_float_denorm_mode_16_64 3
		.amdhsa_dx10_clamp 1
		.amdhsa_ieee_mode 1
		.amdhsa_fp16_overflow 0
		.amdhsa_workgroup_processor_mode 1
		.amdhsa_memory_ordered 1
		.amdhsa_forward_progress 0
		.amdhsa_shared_vgpr_count 0
		.amdhsa_exception_fp_ieee_invalid_op 0
		.amdhsa_exception_fp_denorm_src 0
		.amdhsa_exception_fp_ieee_div_zero 0
		.amdhsa_exception_fp_ieee_overflow 0
		.amdhsa_exception_fp_ieee_underflow 0
		.amdhsa_exception_fp_ieee_inexact 0
		.amdhsa_exception_int_div_zero 0
	.end_amdhsa_kernel
	.section	.text._Z35paged_attention_ll4mi_reduce_kernelIDF16_DF16_Li128ELi128ELi256ELi4EEvPT0_PKfS3_PKT_PKiS8_iS3_,"axG",@progbits,_Z35paged_attention_ll4mi_reduce_kernelIDF16_DF16_Li128ELi128ELi256ELi4EEvPT0_PKfS3_PKT_PKiS8_iS3_,comdat
.Lfunc_end269:
	.size	_Z35paged_attention_ll4mi_reduce_kernelIDF16_DF16_Li128ELi128ELi256ELi4EEvPT0_PKfS3_PKT_PKiS8_iS3_, .Lfunc_end269-_Z35paged_attention_ll4mi_reduce_kernelIDF16_DF16_Li128ELi128ELi256ELi4EEvPT0_PKfS3_PKT_PKiS8_iS3_
                                        ; -- End function
	.section	.AMDGPU.csdata,"",@progbits
; Kernel info:
; codeLenInByte = 9504
; NumSgprs: 54
; NumVgprs: 48
; ScratchSize: 0
; MemoryBound: 0
; FloatMode: 240
; IeeeMode: 1
; LDSByteSize: 516 bytes/workgroup (compile time only)
; SGPRBlocks: 6
; VGPRBlocks: 5
; NumSGPRsForWavesPerEU: 54
; NumVGPRsForWavesPerEU: 48
; Occupancy: 16
; WaveLimiterHint : 0
; COMPUTE_PGM_RSRC2:SCRATCH_EN: 0
; COMPUTE_PGM_RSRC2:USER_SGPR: 14
; COMPUTE_PGM_RSRC2:TRAP_HANDLER: 0
; COMPUTE_PGM_RSRC2:TGID_X_EN: 1
; COMPUTE_PGM_RSRC2:TGID_Y_EN: 1
; COMPUTE_PGM_RSRC2:TGID_Z_EN: 0
; COMPUTE_PGM_RSRC2:TIDIG_COMP_CNT: 0
	.section	.text._Z35paged_attention_ll4mi_reduce_kernelIDF16_DF16_Li128ELi128ELi256ELi5EEvPT0_PKfS3_PKT_PKiS8_iS3_,"axG",@progbits,_Z35paged_attention_ll4mi_reduce_kernelIDF16_DF16_Li128ELi128ELi256ELi5EEvPT0_PKfS3_PKT_PKiS8_iS3_,comdat
	.protected	_Z35paged_attention_ll4mi_reduce_kernelIDF16_DF16_Li128ELi128ELi256ELi5EEvPT0_PKfS3_PKT_PKiS8_iS3_ ; -- Begin function _Z35paged_attention_ll4mi_reduce_kernelIDF16_DF16_Li128ELi128ELi256ELi5EEvPT0_PKfS3_PKT_PKiS8_iS3_
	.globl	_Z35paged_attention_ll4mi_reduce_kernelIDF16_DF16_Li128ELi128ELi256ELi5EEvPT0_PKfS3_PKT_PKiS8_iS3_
	.p2align	8
	.type	_Z35paged_attention_ll4mi_reduce_kernelIDF16_DF16_Li128ELi128ELi256ELi5EEvPT0_PKfS3_PKT_PKiS8_iS3_,@function
_Z35paged_attention_ll4mi_reduce_kernelIDF16_DF16_Li128ELi128ELi256ELi5EEvPT0_PKfS3_PKT_PKiS8_iS3_: ; @_Z35paged_attention_ll4mi_reduce_kernelIDF16_DF16_Li128ELi128ELi256ELi5EEvPT0_PKfS3_PKT_PKiS8_iS3_
; %bb.0:
	s_load_b64 s[12:13], s[0:1], 0x28
	s_mov_b32 s2, s15
	s_waitcnt lgkmcnt(0)
	s_cmp_lg_u64 s[12:13], 0
	s_cselect_b32 s15, -1, 0
	s_delay_alu instid0(SALU_CYCLE_1)
	s_and_b32 vcc_lo, exec_lo, s15
	s_cbranch_vccz .LBB270_19
; %bb.1:
	s_add_i32 s4, s2, 1
	s_mov_b32 s5, 0
	s_delay_alu instid0(SALU_CYCLE_1) | instskip(SKIP_4) | instid1(SALU_CYCLE_1)
	s_lshl_b64 s[6:7], s[4:5], 2
	s_mov_b32 s3, s5
	s_add_u32 s6, s12, s6
	s_addc_u32 s7, s13, s7
	s_lshl_b64 s[8:9], s[2:3], 2
	s_add_u32 s8, s12, s8
	s_addc_u32 s9, s13, s9
	s_clause 0x1
	s_load_b32 s4, s[6:7], 0x0
	s_load_b32 s6, s[8:9], 0x0
	s_waitcnt lgkmcnt(0)
	s_sub_i32 s4, s4, s6
	s_delay_alu instid0(SALU_CYCLE_1)
	s_cmp_eq_u32 s4, 1
	s_cselect_b32 s4, -1, 0
	s_cbranch_execnz .LBB270_3
.LBB270_2:
	s_mov_b32 s3, 0
	s_mov_b32 s4, -1
.LBB270_3:
	s_delay_alu instid0(SALU_CYCLE_1)
	s_and_not1_b32 vcc_lo, exec_lo, s4
	s_cbranch_vccz .LBB270_5
; %bb.4:
	s_endpgm
.LBB270_5:
	s_clause 0x1
	s_load_b128 s[4:7], s[0:1], 0x18
	s_load_b32 s9, s[0:1], 0x30
	s_lshl_b64 s[16:17], s[2:3], 2
	s_waitcnt lgkmcnt(0)
	s_add_u32 s6, s6, s16
	s_addc_u32 s7, s7, s17
	s_load_b32 s22, s[6:7], 0x0
	s_load_b32 s33, s[0:1], 0x40
	s_mul_i32 s7, s2, s9
	s_waitcnt lgkmcnt(0)
	s_add_i32 s48, s22, 0xff
	s_delay_alu instid0(SALU_CYCLE_1) | instskip(NEXT) | instid1(SALU_CYCLE_1)
	s_ashr_i32 s6, s48, 31
	s_lshr_b32 s6, s6, 24
	s_delay_alu instid0(SALU_CYCLE_1) | instskip(SKIP_4) | instid1(SALU_CYCLE_1)
	s_add_i32 s8, s48, s6
	s_mul_i32 s6, s14, s9
	s_mov_b32 s9, exec_lo
	v_cmpx_lt_u32_e32 31, v0
	s_xor_b32 s9, exec_lo, s9
	s_or_saveexec_b32 s24, s9
	v_mov_b32_e32 v1, s6
	s_ashr_i32 s23, s8, 8
	s_mul_i32 s18, s7, s33
	s_xor_b32 exec_lo, exec_lo, s24
	s_cbranch_execz .LBB270_9
; %bb.6:
	v_or_b32_e32 v2, 32, v0
	v_cmp_gt_i32_e32 vcc_lo, s23, v0
	s_add_i32 s25, s23, -1
	s_load_b128 s[8:11], s[0:1], 0x8
	v_or_b32_e32 v4, 64, v0
	v_or_b32_e32 v6, 0x60, v0
	v_cndmask_b32_e32 v1, s25, v0, vcc_lo
	v_cmp_gt_i32_e32 vcc_lo, s23, v2
	v_or_b32_e32 v8, 0x80, v0
	s_mov_b32 s19, 0
	s_delay_alu instid0(SALU_CYCLE_1)
	s_lshl_b64 s[20:21], s[18:19], 2
	v_cndmask_b32_e32 v3, s25, v2, vcc_lo
	v_cmp_gt_i32_e32 vcc_lo, s23, v4
	v_ashrrev_i32_e32 v2, 31, v1
	s_mov_b32 s7, s19
	v_cndmask_b32_e32 v5, s25, v4, vcc_lo
	v_cmp_gt_i32_e32 vcc_lo, s23, v6
	v_ashrrev_i32_e32 v4, 31, v3
	v_lshlrev_b64 v[1:2], 2, v[1:2]
	s_waitcnt lgkmcnt(0)
	s_add_u32 s19, s10, s20
	v_cndmask_b32_e32 v7, s25, v6, vcc_lo
	v_cmp_gt_i32_e32 vcc_lo, s23, v8
	v_ashrrev_i32_e32 v6, 31, v5
	v_lshlrev_b64 v[3:4], 2, v[3:4]
	v_cndmask_b32_e32 v9, s25, v8, vcc_lo
	s_addc_u32 s25, s11, s21
	s_lshl_b64 s[10:11], s[6:7], 2
	v_ashrrev_i32_e32 v8, 31, v7
	s_add_u32 s7, s19, s10
	s_addc_u32 s19, s25, s11
	v_add_co_u32 v11, vcc_lo, s7, v1
	v_lshlrev_b64 v[5:6], 2, v[5:6]
	v_ashrrev_i32_e32 v10, 31, v9
	v_add_co_ci_u32_e32 v12, vcc_lo, s19, v2, vcc_lo
	v_add_co_u32 v13, vcc_lo, s7, v3
	v_lshlrev_b64 v[7:8], 2, v[7:8]
	v_add_co_ci_u32_e32 v14, vcc_lo, s19, v4, vcc_lo
	v_add_co_u32 v15, vcc_lo, s7, v5
	v_lshlrev_b64 v[9:10], 2, v[9:10]
	v_add_co_ci_u32_e32 v16, vcc_lo, s19, v6, vcc_lo
	v_add_co_u32 v17, vcc_lo, s7, v7
	v_add_co_ci_u32_e32 v18, vcc_lo, s19, v8, vcc_lo
	s_delay_alu instid0(VALU_DEP_4)
	v_add_co_u32 v19, vcc_lo, s7, v9
	v_add_co_ci_u32_e32 v20, vcc_lo, s19, v10, vcc_lo
	s_clause 0x4
	global_load_b32 v11, v[11:12], off
	global_load_b32 v12, v[13:14], off
	;; [unrolled: 1-line block ×5, first 2 shown]
	s_add_u32 s7, s8, s20
	s_addc_u32 s8, s9, s21
	s_add_u32 s7, s7, s10
	s_addc_u32 s8, s8, s11
	v_add_co_u32 v1, vcc_lo, s7, v1
	v_add_co_ci_u32_e32 v2, vcc_lo, s8, v2, vcc_lo
	v_add_co_u32 v3, vcc_lo, s7, v3
	v_add_co_ci_u32_e32 v4, vcc_lo, s8, v4, vcc_lo
	;; [unrolled: 2-line block ×4, first 2 shown]
	s_clause 0x3
	global_load_b32 v16, v[1:2], off
	global_load_b32 v3, v[3:4], off
	;; [unrolled: 1-line block ×4, first 2 shown]
	v_add_co_u32 v1, vcc_lo, s7, v9
	v_add_co_ci_u32_e32 v2, vcc_lo, s8, v10, vcc_lo
	s_mov_b32 s7, exec_lo
	global_load_b32 v1, v[1:2], off
	v_mbcnt_lo_u32_b32 v2, -1, 0
	s_delay_alu instid0(VALU_DEP_1)
	v_xor_b32_e32 v6, 16, v2
	v_xor_b32_e32 v9, 8, v2
	;; [unrolled: 1-line block ×5, first 2 shown]
	v_cmp_gt_i32_e32 vcc_lo, 32, v6
	v_cndmask_b32_e32 v6, v2, v6, vcc_lo
	v_cmp_gt_i32_e32 vcc_lo, 32, v9
	v_cndmask_b32_e32 v9, v2, v9, vcc_lo
	v_cmp_gt_i32_e32 vcc_lo, 32, v10
	s_delay_alu instid0(VALU_DEP_2) | instskip(SKIP_3) | instid1(VALU_DEP_2)
	v_lshlrev_b32_e32 v9, 2, v9
	v_lshlrev_b32_e32 v6, 2, v6
	v_cndmask_b32_e32 v10, v2, v10, vcc_lo
	v_cmp_gt_i32_e32 vcc_lo, 32, v17
	v_dual_cndmask_b32 v17, v2, v17 :: v_dual_lshlrev_b32 v10, 2, v10
	v_cmp_gt_i32_e32 vcc_lo, 32, v18
	s_delay_alu instid0(VALU_DEP_2) | instskip(NEXT) | instid1(VALU_DEP_1)
	v_dual_cndmask_b32 v2, v2, v18 :: v_dual_lshlrev_b32 v17, 2, v17
	v_lshlrev_b32_e32 v2, 2, v2
	s_waitcnt vmcnt(7)
	v_max3_f32 v7, v11, v12, v13
	s_waitcnt vmcnt(5)
	s_delay_alu instid0(VALU_DEP_1) | instskip(SKIP_3) | instid1(VALU_DEP_1)
	v_max3_f32 v7, v7, v14, v15
	ds_bpermute_b32 v8, v6, v7
	s_waitcnt lgkmcnt(0)
	v_max_f32_e32 v8, v8, v8
	v_max_f32_e32 v7, v7, v8
	ds_bpermute_b32 v8, v9, v7
	s_waitcnt lgkmcnt(0)
	v_max_f32_e32 v8, v8, v8
	s_delay_alu instid0(VALU_DEP_1) | instskip(SKIP_3) | instid1(VALU_DEP_1)
	v_max_f32_e32 v7, v7, v8
	ds_bpermute_b32 v8, v10, v7
	s_waitcnt lgkmcnt(0)
	v_max_f32_e32 v8, v8, v8
	v_max_f32_e32 v7, v7, v8
	ds_bpermute_b32 v8, v17, v7
	s_waitcnt lgkmcnt(0)
	v_max_f32_e32 v8, v8, v8
	s_delay_alu instid0(VALU_DEP_1) | instskip(SKIP_3) | instid1(VALU_DEP_1)
	v_max_f32_e32 v7, v7, v8
	ds_bpermute_b32 v8, v2, v7
	s_waitcnt lgkmcnt(0)
	v_max_f32_e32 v8, v8, v8
	v_max_f32_e32 v7, v7, v8
	v_sub_nc_u32_e32 v8, s23, v0
	s_delay_alu instid0(VALU_DEP_2) | instskip(NEXT) | instid1(VALU_DEP_1)
	v_sub_f32_e32 v12, v12, v7
	v_mul_f32_e32 v18, 0x3fb8aa3b, v12
	s_delay_alu instid0(VALU_DEP_1) | instskip(SKIP_1) | instid1(VALU_DEP_2)
	v_rndne_f32_e32 v25, v18
	v_fma_f32 v24, 0x3fb8aa3b, v12, -v18
	v_sub_f32_e32 v18, v18, v25
	v_sub_f32_e32 v14, v14, v7
	s_delay_alu instid0(VALU_DEP_1) | instskip(NEXT) | instid1(VALU_DEP_1)
	v_mul_f32_e32 v20, 0x3fb8aa3b, v14
	v_fma_f32 v28, 0x3fb8aa3b, v14, -v20
	v_sub_f32_e32 v13, v13, v7
	v_rndne_f32_e32 v29, v20
	s_delay_alu instid0(VALU_DEP_3) | instskip(NEXT) | instid1(VALU_DEP_3)
	v_fmac_f32_e32 v28, 0x32a5705f, v14
	v_mul_f32_e32 v19, 0x3fb8aa3b, v13
	v_dual_sub_f32 v11, v11, v7 :: v_dual_fmac_f32 v24, 0x32a5705f, v12
	s_delay_alu instid0(VALU_DEP_4) | instskip(NEXT) | instid1(VALU_DEP_3)
	v_sub_f32_e32 v20, v20, v29
	v_fma_f32 v26, 0x3fb8aa3b, v13, -v19
	v_sub_f32_e32 v7, v15, v7
	s_delay_alu instid0(VALU_DEP_4)
	v_mul_f32_e32 v15, 0x3fb8aa3b, v11
	v_rndne_f32_e32 v27, v19
	v_add_f32_e32 v18, v18, v24
	v_fmac_f32_e32 v26, 0x32a5705f, v13
	v_mul_f32_e32 v21, 0x3fb8aa3b, v7
	v_fma_f32 v22, 0x3fb8aa3b, v11, -v15
	v_rndne_f32_e32 v23, v15
	v_dual_sub_f32 v19, v19, v27 :: v_dual_add_f32 v20, v20, v28
	s_delay_alu instid0(VALU_DEP_4) | instskip(NEXT) | instid1(VALU_DEP_4)
	v_fma_f32 v30, 0x3fb8aa3b, v7, -v21
	v_fmac_f32_e32 v22, 0x32a5705f, v11
	s_delay_alu instid0(VALU_DEP_4) | instskip(NEXT) | instid1(VALU_DEP_4)
	v_sub_f32_e32 v15, v15, v23
	v_add_f32_e32 v19, v19, v26
	v_exp_f32_e32 v18, v18
	v_fmac_f32_e32 v30, 0x32a5705f, v7
	v_cmp_ngt_f32_e32 vcc_lo, 0xc2ce8ed0, v11
	v_add_f32_e32 v15, v15, v22
	v_cvt_i32_f32_e32 v22, v23
	v_exp_f32_e32 v19, v19
	v_cvt_i32_f32_e32 v23, v25
	v_rndne_f32_e32 v31, v21
	v_exp_f32_e32 v15, v15
	v_exp_f32_e32 v20, v20
	v_cvt_i32_f32_e32 v24, v27
	v_ldexp_f32 v18, v18, v23
	v_cvt_i32_f32_e32 v25, v29
	v_cvt_i32_f32_e32 v26, v31
	s_delay_alu instid0(TRANS32_DEP_3) | instid1(VALU_DEP_4)
	v_ldexp_f32 v19, v19, v24
	s_delay_alu instid0(TRANS32_DEP_2)
	v_ldexp_f32 v15, v15, v22
	s_delay_alu instid0(TRANS32_DEP_1) | instid1(VALU_DEP_4)
	v_ldexp_f32 v20, v20, v25
	s_delay_alu instid0(VALU_DEP_2)
	v_cndmask_b32_e32 v15, 0, v15, vcc_lo
	v_cmp_ngt_f32_e32 vcc_lo, 0xc2ce8ed0, v12
	v_dual_sub_f32 v21, v21, v31 :: v_dual_cndmask_b32 v18, 0, v18
	v_cmp_ngt_f32_e32 vcc_lo, 0xc2ce8ed0, v13
	v_cndmask_b32_e32 v19, 0, v19, vcc_lo
	v_cmp_ngt_f32_e32 vcc_lo, 0xc2ce8ed0, v14
	s_delay_alu instid0(VALU_DEP_4) | instskip(NEXT) | instid1(VALU_DEP_1)
	v_dual_add_f32 v21, v21, v30 :: v_dual_cndmask_b32 v20, 0, v20
	v_exp_f32_e32 v21, v21
	v_cmp_ngt_f32_e32 vcc_lo, 0xc2ce8ed0, v7
	s_waitcnt_depctr 0xfff
	v_ldexp_f32 v21, v21, v26
	s_delay_alu instid0(VALU_DEP_1)
	v_cndmask_b32_e32 v21, 0, v21, vcc_lo
	v_cmp_nlt_f32_e32 vcc_lo, 0x42b17218, v11
	v_cndmask_b32_e32 v11, 0x7f800000, v15, vcc_lo
	v_cmp_nlt_f32_e32 vcc_lo, 0x42b17218, v12
	;; [unrolled: 2-line block ×3, first 2 shown]
	v_cndmask_b32_e32 v13, 0x7f800000, v19, vcc_lo
	v_cmp_lt_i32_e32 vcc_lo, 0, v8
	v_cndmask_b32_e32 v11, 0, v11, vcc_lo
	v_cmp_lt_i32_e32 vcc_lo, 32, v8
	s_waitcnt vmcnt(4)
	s_delay_alu instid0(VALU_DEP_2) | instskip(SKIP_2) | instid1(VALU_DEP_2)
	v_dual_mul_f32 v11, v16, v11 :: v_dual_cndmask_b32 v12, 0, v12
	v_cmp_lt_i32_e32 vcc_lo, 64, v8
	s_waitcnt vmcnt(3)
	v_mul_f32_e32 v3, v3, v12
	v_cndmask_b32_e32 v13, 0, v13, vcc_lo
	v_cmp_nlt_f32_e32 vcc_lo, 0x42b17218, v14
	s_waitcnt vmcnt(2)
	s_delay_alu instid0(VALU_DEP_2) | instskip(SKIP_2) | instid1(VALU_DEP_2)
	v_mul_f32_e32 v4, v4, v13
	v_dual_cndmask_b32 v14, 0x7f800000, v20 :: v_dual_add_f32 v13, v11, v3
	v_cmp_lt_i32_e32 vcc_lo, 0x60, v8
	v_cndmask_b32_e32 v12, 0, v14, vcc_lo
	v_cmp_nlt_f32_e32 vcc_lo, 0x42b17218, v7
	s_waitcnt vmcnt(1)
	s_delay_alu instid0(VALU_DEP_2) | instskip(SKIP_2) | instid1(VALU_DEP_2)
	v_mul_f32_e32 v5, v5, v12
	v_cndmask_b32_e32 v7, 0x7f800000, v21, vcc_lo
	v_cmp_lt_i32_e32 vcc_lo, 0x80, v8
	v_dual_add_f32 v8, v13, v4 :: v_dual_cndmask_b32 v7, 0, v7
	s_waitcnt vmcnt(0)
	s_delay_alu instid0(VALU_DEP_1) | instskip(NEXT) | instid1(VALU_DEP_2)
	v_mul_f32_e32 v7, v1, v7
	v_add_f32_e32 v1, v8, v5
	s_delay_alu instid0(VALU_DEP_1)
	v_add_f32_e32 v1, v1, v7
	ds_bpermute_b32 v6, v6, v1
	s_waitcnt lgkmcnt(0)
	v_add_f32_e32 v1, v1, v6
	ds_bpermute_b32 v6, v9, v1
	s_waitcnt lgkmcnt(0)
	;; [unrolled: 3-line block ×4, first 2 shown]
	v_dual_add_f32 v1, v1, v6 :: v_dual_lshlrev_b32 v6, 2, v0
	ds_store_2addr_b32 v6, v11, v3 offset1:32
	ds_store_2addr_b32 v6, v4, v5 offset0:64 offset1:96
	ds_store_b32 v6, v7 offset:512
	ds_bpermute_b32 v2, v2, v1
	v_cmpx_eq_u32_e32 0, v0
	s_cbranch_execz .LBB270_8
; %bb.7:
	s_waitcnt lgkmcnt(0)
	v_dual_add_f32 v1, v1, v2 :: v_dual_mov_b32 v2, 0
	ds_store_b32 v2, v1 offset:640
.LBB270_8:
	s_or_b32 exec_lo, exec_lo, s7
	v_mov_b32_e32 v1, s6
.LBB270_9:
	s_or_b32 exec_lo, exec_lo, s24
	s_lshl_b32 s6, s18, 7
	s_mov_b32 s7, 0
	s_waitcnt lgkmcnt(0)
	v_dual_mov_b32 v2, 0 :: v_dual_lshlrev_b32 v1, 7, v1
	s_lshl_b64 s[6:7], s[6:7], 1
	v_lshlrev_b32_e32 v0, 1, v0
	s_add_u32 s34, s4, s6
	s_addc_u32 s35, s5, s7
	s_lshl_b32 s49, s23, 7
	v_lshlrev_b64 v[3:4], 1, v[1:2]
	s_addk_i32 s49, 0xff80
	s_cmpk_lt_i32 s48, 0x100
	v_dual_mov_b32 v30, 0 :: v_dual_mov_b32 v33, 0
	s_cselect_b32 s4, s49, 0
	s_delay_alu instid0(VALU_DEP_2)
	v_add_co_u32 v1, vcc_lo, s34, v3
	s_ashr_i32 s5, s4, 31
	v_add_co_ci_u32_e32 v3, vcc_lo, s35, v4, vcc_lo
	s_lshl_b64 s[4:5], s[4:5], 1
	s_cmpk_lt_i32 s48, 0x200
	v_add_co_u32 v1, vcc_lo, v1, v0
	s_cselect_b32 s6, s49, 0x80
	v_add_co_ci_u32_e32 v3, vcc_lo, 0, v3, vcc_lo
	s_ashr_i32 s7, s6, 31
	s_delay_alu instid0(VALU_DEP_2)
	v_add_co_u32 v4, vcc_lo, v1, s4
	s_lshl_b64 s[6:7], s[6:7], 1
	s_cmpk_lt_i32 s48, 0x300
	v_add_co_ci_u32_e32 v5, vcc_lo, s5, v3, vcc_lo
	s_cselect_b32 s8, s49, 0x100
	v_add_co_u32 v8, vcc_lo, v1, s6
	s_ashr_i32 s9, s8, 31
	v_add_co_ci_u32_e32 v9, vcc_lo, s7, v3, vcc_lo
	s_lshl_b64 s[8:9], s[8:9], 1
	s_cmpk_lt_i32 s48, 0x400
	v_add_co_u32 v10, vcc_lo, v1, s8
	s_cselect_b32 s10, s49, 0x180
	v_add_co_ci_u32_e32 v11, vcc_lo, s9, v3, vcc_lo
	s_ashr_i32 s11, s10, 31
	v_dual_mov_b32 v32, 0 :: v_dual_mov_b32 v35, 0
	s_lshl_b64 s[10:11], s[10:11], 1
	s_cmpk_lt_i32 s48, 0x500
	v_add_co_u32 v12, vcc_lo, v1, s10
	s_cselect_b32 s18, s49, 0x200
	v_add_co_ci_u32_e32 v13, vcc_lo, s11, v3, vcc_lo
	s_ashr_i32 s19, s18, 31
	v_mov_b32_e32 v34, 0
	s_lshl_b64 s[18:19], s[18:19], 1
	s_cmpk_lt_i32 s48, 0x600
	v_add_co_u32 v14, vcc_lo, v1, s18
	s_cselect_b32 s20, s49, 0x280
	v_add_co_ci_u32_e32 v15, vcc_lo, s19, v3, vcc_lo
	s_ashr_i32 s21, s20, 31
	v_mov_b32_e32 v29, 0
	;; [unrolled: 7-line block ×3, first 2 shown]
	s_lshl_b64 s[24:25], s[24:25], 1
	s_cmpk_lt_i32 s48, 0x800
	v_add_co_u32 v18, vcc_lo, v1, s24
	s_cselect_b32 s26, s49, 0x380
	v_add_co_ci_u32_e32 v19, vcc_lo, s25, v3, vcc_lo
	s_ashr_i32 s27, s26, 31
	s_delay_alu instid0(SALU_CYCLE_1)
	s_lshl_b64 s[26:27], s[26:27], 1
	s_cmpk_lt_i32 s48, 0x900
	v_add_co_u32 v20, vcc_lo, v1, s26
	s_cselect_b32 s28, s49, 0x400
	v_add_co_ci_u32_e32 v21, vcc_lo, s27, v3, vcc_lo
	s_ashr_i32 s29, s28, 31
	s_clause 0x7
	global_load_u16 v7, v[4:5], off
	global_load_u16 v8, v[8:9], off
	;; [unrolled: 1-line block ×8, first 2 shown]
	s_lshl_b64 s[28:29], s[28:29], 1
	s_cmpk_lt_i32 s48, 0xa00
	v_add_co_u32 v12, vcc_lo, v1, s28
	s_cselect_b32 s30, s49, 0x480
	v_add_co_ci_u32_e32 v13, vcc_lo, s29, v3, vcc_lo
	s_ashr_i32 s31, s30, 31
	s_delay_alu instid0(SALU_CYCLE_1)
	s_lshl_b64 s[30:31], s[30:31], 1
	s_cmpk_lt_i32 s48, 0xb00
	v_add_co_u32 v15, vcc_lo, v1, s30
	s_cselect_b32 s34, s49, 0x500
	v_add_co_ci_u32_e32 v16, vcc_lo, s31, v3, vcc_lo
	s_ashr_i32 s35, s34, 31
	s_delay_alu instid0(SALU_CYCLE_1)
	;; [unrolled: 7-line block ×7, first 2 shown]
	s_lshl_b64 s[4:5], s[6:7], 1
	s_cmpk_gt_i32 s22, 0x1000
	v_add_co_u32 v27, vcc_lo, v1, s4
	v_add_co_ci_u32_e32 v28, vcc_lo, s5, v3, vcc_lo
	s_clause 0x7
	global_load_u16 v14, v[12:13], off
	global_load_u16 v15, v[15:16], off
	;; [unrolled: 1-line block ×8, first 2 shown]
	v_dual_mov_b32 v20, 0 :: v_dual_mov_b32 v23, 0
	v_dual_mov_b32 v21, 0 :: v_dual_mov_b32 v22, 0
	;; [unrolled: 1-line block ×4, first 2 shown]
	v_mov_b32_e32 v28, 0
	s_cselect_b32 s8, -1, 0
	s_cmpk_lt_i32 s22, 0x1001
	s_waitcnt vmcnt(0)
	s_barrier
	buffer_gl0_inv
	s_cbranch_scc1 .LBB270_11
; %bb.10:
	s_cmpk_lt_i32 s48, 0x1100
	s_cselect_b32 s4, s49, 0x800
	s_delay_alu instid0(SALU_CYCLE_1) | instskip(NEXT) | instid1(SALU_CYCLE_1)
	s_ashr_i32 s5, s4, 31
	s_lshl_b64 s[4:5], s[4:5], 1
	s_cmpk_lt_i32 s48, 0x1200
	v_add_co_u32 v20, vcc_lo, v1, s4
	s_cselect_b32 s6, s49, 0x880
	v_add_co_ci_u32_e32 v21, vcc_lo, s5, v3, vcc_lo
	s_ashr_i32 s7, s6, 31
	s_delay_alu instid0(SALU_CYCLE_1)
	s_lshl_b64 s[6:7], s[6:7], 1
	s_cmpk_lt_i32 s48, 0x1300
	v_add_co_u32 v22, vcc_lo, v1, s6
	s_cselect_b32 s10, s49, 0x900
	v_add_co_ci_u32_e32 v23, vcc_lo, s7, v3, vcc_lo
	s_ashr_i32 s11, s10, 31
	s_delay_alu instid0(SALU_CYCLE_1)
	;; [unrolled: 7-line block ×7, first 2 shown]
	s_lshl_b64 s[26:27], s[26:27], 1
	s_cmpk_lt_i32 s48, 0x1900
	v_add_co_u32 v34, vcc_lo, v1, s26
	s_cselect_b32 s28, s49, 0xc00
	v_add_co_ci_u32_e32 v35, vcc_lo, s27, v3, vcc_lo
	s_ashr_i32 s29, s28, 31
	s_clause 0x7
	global_load_u16 v36, v[20:21], off
	global_load_u16 v37, v[22:23], off
	;; [unrolled: 1-line block ×8, first 2 shown]
	s_lshl_b64 s[28:29], s[28:29], 1
	s_cmpk_lt_i32 s48, 0x1a00
	v_add_co_u32 v20, vcc_lo, v1, s28
	s_cselect_b32 s30, s49, 0xc80
	v_add_co_ci_u32_e32 v21, vcc_lo, s29, v3, vcc_lo
	s_ashr_i32 s31, s30, 31
	s_delay_alu instid0(SALU_CYCLE_1)
	s_lshl_b64 s[30:31], s[30:31], 1
	s_cmpk_lt_i32 s48, 0x1b00
	v_add_co_u32 v22, vcc_lo, v1, s30
	s_cselect_b32 s34, s49, 0xd00
	v_add_co_ci_u32_e32 v23, vcc_lo, s31, v3, vcc_lo
	s_ashr_i32 s35, s34, 31
	s_delay_alu instid0(SALU_CYCLE_1)
	s_lshl_b64 s[4:5], s[34:35], 1
	s_cmpk_lt_i32 s48, 0x1c00
	v_add_co_u32 v24, vcc_lo, v1, s4
	s_cselect_b32 s6, s49, 0xd80
	v_add_co_ci_u32_e32 v25, vcc_lo, s5, v3, vcc_lo
	s_ashr_i32 s7, s6, 31
	s_delay_alu instid0(SALU_CYCLE_1)
	s_lshl_b64 s[6:7], s[6:7], 1
	s_cmpk_lt_i32 s48, 0x1d00
	v_add_co_u32 v26, vcc_lo, v1, s6
	s_cselect_b32 s10, s49, 0xe00
	v_add_co_ci_u32_e32 v27, vcc_lo, s7, v3, vcc_lo
	s_ashr_i32 s11, s10, 31
	s_delay_alu instid0(SALU_CYCLE_1)
	s_lshl_b64 s[10:11], s[10:11], 1
	s_cmpk_lt_i32 s48, 0x1e00
	v_add_co_u32 v28, vcc_lo, v1, s10
	s_cselect_b32 s18, s49, 0xe80
	v_add_co_ci_u32_e32 v29, vcc_lo, s11, v3, vcc_lo
	s_ashr_i32 s19, s18, 31
	s_delay_alu instid0(SALU_CYCLE_1)
	s_lshl_b64 s[18:19], s[18:19], 1
	s_cmpk_lt_i32 s48, 0x1f00
	v_add_co_u32 v30, vcc_lo, v1, s18
	s_cselect_b32 s20, s49, 0xf00
	v_add_co_ci_u32_e32 v31, vcc_lo, s19, v3, vcc_lo
	s_ashr_i32 s21, s20, 31
	s_delay_alu instid0(SALU_CYCLE_1)
	s_lshl_b64 s[4:5], s[20:21], 1
	s_cmpk_lt_i32 s48, 0x2000
	v_add_co_u32 v32, vcc_lo, v1, s4
	s_cselect_b32 s6, s49, 0xf80
	v_add_co_ci_u32_e32 v33, vcc_lo, s5, v3, vcc_lo
	s_ashr_i32 s7, s6, 31
	s_delay_alu instid0(SALU_CYCLE_1) | instskip(NEXT) | instid1(SALU_CYCLE_1)
	s_lshl_b64 s[4:5], s[6:7], 1
	v_add_co_u32 v34, vcc_lo, v1, s4
	v_add_co_ci_u32_e32 v35, vcc_lo, s5, v3, vcc_lo
	s_clause 0x7
	global_load_u16 v20, v[20:21], off
	global_load_u16 v21, v[22:23], off
	;; [unrolled: 1-line block ×8, first 2 shown]
	s_waitcnt vmcnt(15)
	v_cvt_f32_f16_e32 v35, v36
	s_waitcnt vmcnt(14)
	v_cvt_f32_f16_e32 v34, v37
	s_waitcnt vmcnt(13)
	v_cvt_f32_f16_e32 v33, v38
	s_waitcnt vmcnt(12)
	v_cvt_f32_f16_e32 v32, v39
	s_waitcnt vmcnt(11)
	v_cvt_f32_f16_e32 v31, v40
	s_waitcnt vmcnt(10)
	v_cvt_f32_f16_e32 v30, v41
	s_waitcnt vmcnt(9)
	v_cvt_f32_f16_e32 v29, v42
	s_waitcnt vmcnt(8)
	v_cvt_f32_f16_e32 v28, v43
	s_waitcnt vmcnt(7)
	v_cvt_f32_f16_e32 v27, v20
	s_waitcnt vmcnt(6)
	v_cvt_f32_f16_e32 v26, v21
	s_waitcnt vmcnt(5)
	v_cvt_f32_f16_e32 v25, v22
	s_waitcnt vmcnt(4)
	v_cvt_f32_f16_e32 v24, v23
	s_waitcnt vmcnt(3)
	v_cvt_f32_f16_e32 v23, v44
	s_waitcnt vmcnt(2)
	v_cvt_f32_f16_e32 v22, v45
	s_waitcnt vmcnt(1)
	v_cvt_f32_f16_e32 v21, v46
	s_waitcnt vmcnt(0)
	v_cvt_f32_f16_e32 v20, v47
.LBB270_11:
	ds_load_b128 v[36:39], v2
	ds_load_b128 v[40:43], v2 offset:16
	s_and_not1_b32 vcc_lo, exec_lo, s8
	s_waitcnt lgkmcnt(1)
	v_fma_mix_f32 v7, v36, v7, 0 op_sel_hi:[0,1,0]
	s_delay_alu instid0(VALU_DEP_1) | instskip(NEXT) | instid1(VALU_DEP_1)
	v_fma_mix_f32 v7, v37, v8, v7 op_sel_hi:[0,1,0]
	v_fma_mix_f32 v7, v38, v9, v7 op_sel_hi:[0,1,0]
	s_delay_alu instid0(VALU_DEP_1)
	v_fma_mix_f32 v7, v39, v10, v7 op_sel_hi:[0,1,0]
	ds_load_b128 v[36:39], v2 offset:48
	s_waitcnt lgkmcnt(1)
	v_fma_mix_f32 v11, v40, v11, v7 op_sel_hi:[0,1,0]
	ds_load_b128 v[7:10], v2 offset:32
	v_fma_mix_f32 v4, v41, v4, v11 op_sel_hi:[0,1,0]
	s_delay_alu instid0(VALU_DEP_1) | instskip(NEXT) | instid1(VALU_DEP_1)
	v_fma_mix_f32 v4, v42, v5, v4 op_sel_hi:[0,1,0]
	v_fma_mix_f32 v4, v43, v6, v4 op_sel_hi:[0,1,0]
	s_waitcnt lgkmcnt(0)
	s_delay_alu instid0(VALU_DEP_1) | instskip(NEXT) | instid1(VALU_DEP_1)
	v_fma_mix_f32 v4, v7, v14, v4 op_sel_hi:[0,1,0]
	v_fma_mix_f32 v4, v8, v15, v4 op_sel_hi:[0,1,0]
	s_delay_alu instid0(VALU_DEP_1) | instskip(NEXT) | instid1(VALU_DEP_1)
	v_fma_mix_f32 v4, v9, v16, v4 op_sel_hi:[0,1,0]
	v_fma_mix_f32 v4, v10, v17, v4 op_sel_hi:[0,1,0]
	s_delay_alu instid0(VALU_DEP_1) | instskip(NEXT) | instid1(VALU_DEP_1)
	v_fma_mix_f32 v4, v36, v18, v4 op_sel_hi:[0,1,0]
	v_fma_mix_f32 v4, v37, v19, v4 op_sel_hi:[0,1,0]
	s_delay_alu instid0(VALU_DEP_1) | instskip(NEXT) | instid1(VALU_DEP_1)
	v_fma_mix_f32 v4, v38, v12, v4 op_sel_hi:[0,1,0]
	v_fma_mix_f32 v4, v39, v13, v4 op_sel_hi:[0,1,0]
	s_cbranch_vccz .LBB270_20
; %bb.12:
	s_cmpk_lt_i32 s48, 0x2100
	s_cbranch_scc0 .LBB270_21
.LBB270_13:
	s_cmpk_lt_i32 s48, 0x4100
	s_cbranch_scc0 .LBB270_22
.LBB270_14:
	s_cmpk_lt_i32 s48, 0x6100
	s_cbranch_scc0 .LBB270_23
.LBB270_15:
	s_load_b64 s[0:1], s[0:1], 0x0
	s_cmp_lt_i32 s48, 0x8100
	s_cbranch_scc0 .LBB270_24
.LBB270_16:
	v_mov_b32_e32 v1, 0
	s_and_not1_b32 vcc_lo, exec_lo, s15
	ds_load_b32 v1, v1 offset:640
	s_cbranch_vccnz .LBB270_18
.LBB270_17:
	s_add_u32 s2, s12, s16
	s_addc_u32 s3, s13, s17
	s_load_b32 s2, s[2:3], 0x0
	s_mov_b32 s3, 0
.LBB270_18:
	s_waitcnt lgkmcnt(0)
	v_add_f32_e32 v1, 0x358637bd, v1
	s_mul_i32 s3, s33, s3
	s_mul_hi_u32 s4, s33, s2
	s_mul_i32 s2, s33, s2
	s_add_i32 s3, s4, s3
	v_div_scale_f32 v2, null, v1, v1, 1.0
	s_lshl_b64 s[2:3], s[2:3], 8
	s_mov_b32 s15, 0
	s_add_u32 s2, s0, s2
	s_delay_alu instid0(VALU_DEP_1) | instskip(SKIP_2) | instid1(SALU_CYCLE_1)
	v_rcp_f32_e32 v3, v2
	s_addc_u32 s3, s1, s3
	s_lshl_b64 s[0:1], s[14:15], 8
	s_add_u32 s0, s2, s0
	s_addc_u32 s1, s3, s1
	s_waitcnt_depctr 0xfff
	v_fma_f32 v5, -v2, v3, 1.0
	s_delay_alu instid0(VALU_DEP_1) | instskip(SKIP_1) | instid1(VALU_DEP_1)
	v_fmac_f32_e32 v3, v5, v3
	v_div_scale_f32 v5, vcc_lo, 1.0, v1, 1.0
	v_mul_f32_e32 v6, v5, v3
	s_delay_alu instid0(VALU_DEP_1) | instskip(NEXT) | instid1(VALU_DEP_1)
	v_fma_f32 v7, -v2, v6, v5
	v_fmac_f32_e32 v6, v7, v3
	s_delay_alu instid0(VALU_DEP_1) | instskip(NEXT) | instid1(VALU_DEP_1)
	v_fma_f32 v2, -v2, v6, v5
	v_div_fmas_f32 v2, v2, v3, v6
	s_delay_alu instid0(VALU_DEP_1) | instskip(NEXT) | instid1(VALU_DEP_1)
	v_div_fixup_f32 v1, v2, v1, 1.0
	v_fma_mixlo_f16 v1, v4, v1, 0
	global_store_b16 v0, v1, s[0:1]
	s_nop 0
	s_sendmsg sendmsg(MSG_DEALLOC_VGPRS)
	s_endpgm
.LBB270_19:
	s_mov_b32 s4, 0
	s_branch .LBB270_2
.LBB270_20:
	ds_load_b128 v[5:8], v2 offset:64
	ds_load_b128 v[9:12], v2 offset:80
	s_waitcnt lgkmcnt(1)
	v_fmac_f32_e32 v4, v5, v35
	s_delay_alu instid0(VALU_DEP_1) | instskip(NEXT) | instid1(VALU_DEP_1)
	v_fmac_f32_e32 v4, v6, v34
	v_fmac_f32_e32 v4, v7, v33
	s_delay_alu instid0(VALU_DEP_1) | instskip(SKIP_3) | instid1(VALU_DEP_1)
	v_fmac_f32_e32 v4, v8, v32
	ds_load_b128 v[5:8], v2 offset:96
	s_waitcnt lgkmcnt(1)
	v_fmac_f32_e32 v4, v9, v31
	v_fmac_f32_e32 v4, v10, v30
	s_delay_alu instid0(VALU_DEP_1) | instskip(NEXT) | instid1(VALU_DEP_1)
	v_fmac_f32_e32 v4, v11, v29
	v_fmac_f32_e32 v4, v12, v28
	ds_load_b128 v[9:12], v2 offset:112
	s_waitcnt lgkmcnt(1)
	v_fmac_f32_e32 v4, v5, v27
	s_delay_alu instid0(VALU_DEP_1) | instskip(NEXT) | instid1(VALU_DEP_1)
	v_fmac_f32_e32 v4, v6, v26
	v_fmac_f32_e32 v4, v7, v25
	s_delay_alu instid0(VALU_DEP_1) | instskip(SKIP_1) | instid1(VALU_DEP_1)
	v_fmac_f32_e32 v4, v8, v24
	s_waitcnt lgkmcnt(0)
	v_fmac_f32_e32 v4, v9, v23
	s_delay_alu instid0(VALU_DEP_1) | instskip(NEXT) | instid1(VALU_DEP_1)
	v_fmac_f32_e32 v4, v10, v22
	v_fmac_f32_e32 v4, v11, v21
	s_delay_alu instid0(VALU_DEP_1)
	v_fmac_f32_e32 v4, v12, v20
	s_cmpk_lt_i32 s48, 0x2100
	s_cbranch_scc1 .LBB270_13
.LBB270_21:
	s_cmpk_lt_i32 s48, 0x2200
	v_add_co_u32 v5, vcc_lo, 0x2000, v1
	s_cselect_b32 s4, s49, 0x1080
	v_add_co_ci_u32_e32 v6, vcc_lo, 0, v3, vcc_lo
	s_ashr_i32 s5, s4, 31
	v_mov_b32_e32 v44, 0
	s_lshl_b64 s[4:5], s[4:5], 1
	s_cmpk_lt_i32 s48, 0x2300
	v_add_co_u32 v7, vcc_lo, v1, s4
	s_cselect_b32 s6, s49, 0x1100
	v_add_co_ci_u32_e32 v8, vcc_lo, s5, v3, vcc_lo
	s_ashr_i32 s7, s6, 31
	s_delay_alu instid0(SALU_CYCLE_1)
	s_lshl_b64 s[6:7], s[6:7], 1
	s_cmpk_lt_i32 s48, 0x2400
	v_add_co_u32 v9, vcc_lo, v1, s6
	s_cselect_b32 s8, s49, 0x1180
	v_add_co_ci_u32_e32 v10, vcc_lo, s7, v3, vcc_lo
	s_ashr_i32 s9, s8, 31
	s_delay_alu instid0(SALU_CYCLE_1)
	s_lshl_b64 s[8:9], s[8:9], 1
	s_cmpk_lt_i32 s48, 0x2500
	v_add_co_u32 v11, vcc_lo, v1, s8
	s_cselect_b32 s10, s49, 0x1200
	v_add_co_ci_u32_e32 v12, vcc_lo, s9, v3, vcc_lo
	s_ashr_i32 s11, s10, 31
	s_delay_alu instid0(SALU_CYCLE_1)
	s_lshl_b64 s[10:11], s[10:11], 1
	s_cmpk_lt_i32 s48, 0x2600
	v_add_co_u32 v13, vcc_lo, v1, s10
	s_cselect_b32 s18, s49, 0x1280
	v_add_co_ci_u32_e32 v14, vcc_lo, s11, v3, vcc_lo
	s_ashr_i32 s19, s18, 31
	s_delay_alu instid0(SALU_CYCLE_1)
	s_lshl_b64 s[20:21], s[18:19], 1
	s_cmpk_lt_i32 s48, 0x2700
	v_add_co_u32 v15, vcc_lo, v1, s20
	s_cselect_b32 s18, s49, 0x1300
	v_add_co_ci_u32_e32 v16, vcc_lo, s21, v3, vcc_lo
	s_ashr_i32 s19, s18, 31
	s_delay_alu instid0(SALU_CYCLE_1)
	s_lshl_b64 s[22:23], s[18:19], 1
	s_cmpk_lt_i32 s48, 0x2800
	v_add_co_u32 v17, vcc_lo, v1, s22
	s_cselect_b32 s18, s49, 0x1380
	v_add_co_ci_u32_e32 v18, vcc_lo, s23, v3, vcc_lo
	s_ashr_i32 s19, s18, 31
	s_delay_alu instid0(SALU_CYCLE_1)
	s_lshl_b64 s[26:27], s[18:19], 1
	s_cmpk_lt_i32 s48, 0x2900
	v_add_co_u32 v19, vcc_lo, v1, s26
	s_cselect_b32 s18, s49, 0x1400
	v_add_co_ci_u32_e32 v20, vcc_lo, s27, v3, vcc_lo
	s_ashr_i32 s19, s18, 31
	s_clause 0x7
	global_load_u16 v2, v[5:6], off
	global_load_u16 v21, v[7:8], off
	global_load_u16 v22, v[9:10], off
	global_load_u16 v23, v[11:12], off
	global_load_u16 v24, v[13:14], off
	global_load_u16 v25, v[15:16], off
	global_load_u16 v26, v[17:18], off
	global_load_u16 v27, v[19:20], off
	s_lshl_b64 s[18:19], s[18:19], 1
	s_cmpk_lt_i32 s48, 0x2a00
	v_add_co_u32 v5, vcc_lo, v1, s18
	s_cselect_b32 s24, s49, 0x1480
	v_add_co_ci_u32_e32 v6, vcc_lo, s19, v3, vcc_lo
	s_ashr_i32 s25, s24, 31
	s_delay_alu instid0(SALU_CYCLE_1)
	s_lshl_b64 s[24:25], s[24:25], 1
	s_cmpk_lt_i32 s48, 0x2b00
	v_add_co_u32 v7, vcc_lo, v1, s24
	s_cselect_b32 s28, s49, 0x1500
	v_add_co_ci_u32_e32 v8, vcc_lo, s25, v3, vcc_lo
	s_ashr_i32 s29, s28, 31
	s_delay_alu instid0(SALU_CYCLE_1)
	;; [unrolled: 7-line block ×7, first 2 shown]
	s_lshl_b64 s[44:45], s[36:37], 1
	s_cmpk_lt_i32 s48, 0x3100
	v_add_co_u32 v19, vcc_lo, v1, s44
	s_cselect_b32 s36, s49, 0x1800
	v_add_co_ci_u32_e32 v20, vcc_lo, s45, v3, vcc_lo
	s_ashr_i32 s37, s36, 31
	s_clause 0x7
	global_load_u16 v28, v[5:6], off
	global_load_u16 v29, v[7:8], off
	;; [unrolled: 1-line block ×8, first 2 shown]
	s_lshl_b64 s[36:37], s[36:37], 1
	s_cmpk_lt_i32 s48, 0x3200
	v_add_co_u32 v5, vcc_lo, v1, s36
	s_cselect_b32 s42, s49, 0x1880
	v_add_co_ci_u32_e32 v6, vcc_lo, s37, v3, vcc_lo
	s_ashr_i32 s43, s42, 31
	s_delay_alu instid0(SALU_CYCLE_1)
	s_lshl_b64 s[42:43], s[42:43], 1
	s_cmpk_lt_i32 s48, 0x3300
	v_add_co_u32 v7, vcc_lo, v1, s42
	s_cselect_b32 s46, s49, 0x1900
	v_add_co_ci_u32_e32 v8, vcc_lo, s43, v3, vcc_lo
	s_ashr_i32 s47, s46, 31
	s_delay_alu instid0(SALU_CYCLE_1)
	;; [unrolled: 7-line block ×5, first 2 shown]
	s_lshl_b64 s[8:9], s[8:9], 1
	s_cmpk_lt_i32 s48, 0x3700
	v_add_co_u32 v15, vcc_lo, v1, s8
	s_cselect_b32 s10, s49, 0x1b00
	v_add_co_ci_u32_e32 v16, vcc_lo, s9, v3, vcc_lo
	s_ashr_i32 s11, s10, 31
	s_clause 0x5
	global_load_u16 v19, v[5:6], off
	global_load_u16 v20, v[7:8], off
	;; [unrolled: 1-line block ×6, first 2 shown]
	s_lshl_b64 s[10:11], s[10:11], 1
	s_cmpk_lt_i32 s48, 0x3800
	v_add_co_u32 v5, vcc_lo, v1, s10
	s_cselect_b32 s18, s49, 0x1b80
	v_add_co_ci_u32_e32 v6, vcc_lo, s11, v3, vcc_lo
	s_ashr_i32 s19, s18, 31
	s_delay_alu instid0(SALU_CYCLE_1)
	s_lshl_b64 s[18:19], s[18:19], 1
	s_cmpk_lt_i32 s48, 0x3900
	v_add_co_u32 v7, vcc_lo, v1, s18
	s_cselect_b32 s20, s49, 0x1c00
	v_add_co_ci_u32_e32 v8, vcc_lo, s19, v3, vcc_lo
	s_ashr_i32 s21, s20, 31
	global_load_u16 v16, v[5:6], off
	s_lshl_b64 s[20:21], s[20:21], 1
	global_load_u16 v37, v[7:8], off
	s_cmpk_lt_i32 s48, 0x3a00
	v_add_co_u32 v9, vcc_lo, v1, s20
	s_cselect_b32 s22, s49, 0x1c80
	v_add_co_ci_u32_e32 v10, vcc_lo, s21, v3, vcc_lo
	s_ashr_i32 s23, s22, 31
	s_delay_alu instid0(SALU_CYCLE_1)
	s_lshl_b64 s[22:23], s[22:23], 1
	s_cmpk_lt_i32 s48, 0x3b00
	v_add_co_u32 v11, vcc_lo, v1, s22
	s_cselect_b32 s4, s49, 0x1d00
	v_add_co_ci_u32_e32 v12, vcc_lo, s23, v3, vcc_lo
	s_ashr_i32 s5, s4, 31
	s_delay_alu instid0(SALU_CYCLE_1)
	s_lshl_b64 s[4:5], s[4:5], 1
	s_cmpk_lt_i32 s48, 0x3c00
	v_add_co_u32 v13, vcc_lo, v1, s4
	s_cselect_b32 s6, s49, 0x1d80
	v_add_co_ci_u32_e32 v14, vcc_lo, s5, v3, vcc_lo
	s_ashr_i32 s7, s6, 31
	s_clause 0x2
	global_load_u16 v38, v[9:10], off
	global_load_u16 v39, v[11:12], off
	;; [unrolled: 1-line block ×3, first 2 shown]
	s_lshl_b64 s[6:7], s[6:7], 1
	s_cmpk_lt_i32 s48, 0x3d00
	v_add_co_u32 v5, vcc_lo, v1, s6
	s_cselect_b32 s8, s49, 0x1e00
	v_add_co_ci_u32_e32 v6, vcc_lo, s7, v3, vcc_lo
	s_ashr_i32 s9, s8, 31
	s_delay_alu instid0(SALU_CYCLE_1)
	s_lshl_b64 s[4:5], s[8:9], 1
	s_cmpk_lt_i32 s48, 0x3e00
	v_add_co_u32 v7, vcc_lo, v1, s4
	s_cselect_b32 s8, s49, 0x1e80
	v_add_co_ci_u32_e32 v8, vcc_lo, s5, v3, vcc_lo
	s_ashr_i32 s9, s8, 31
	global_load_u16 v14, v[5:6], off
	s_lshl_b64 s[8:9], s[8:9], 1
	s_cmpk_lt_i32 s48, 0x3f00
	v_add_co_u32 v9, vcc_lo, v1, s8
	s_cselect_b32 s6, s49, 0x1f00
	v_add_co_ci_u32_e32 v10, vcc_lo, s9, v3, vcc_lo
	s_ashr_i32 s7, s6, 31
	s_clause 0x1
	global_load_u16 v40, v[7:8], off
	global_load_u16 v41, v[9:10], off
	s_lshl_b64 s[4:5], s[6:7], 1
	s_cmpk_lt_i32 s48, 0x4000
	v_add_co_u32 v5, vcc_lo, v1, s4
	s_cselect_b32 s6, s49, 0x1f80
	v_add_co_ci_u32_e32 v6, vcc_lo, s5, v3, vcc_lo
	s_ashr_i32 s7, s6, 31
	s_delay_alu instid0(SALU_CYCLE_1) | instskip(NEXT) | instid1(SALU_CYCLE_1)
	s_lshl_b64 s[4:5], s[6:7], 1
	v_add_co_u32 v7, vcc_lo, v1, s4
	v_add_co_ci_u32_e32 v8, vcc_lo, s5, v3, vcc_lo
	s_clause 0x1
	global_load_u16 v42, v[5:6], off
	global_load_u16 v43, v[7:8], off
	ds_load_b128 v[5:8], v44 offset:128
	ds_load_b128 v[9:12], v44 offset:144
	s_waitcnt vmcnt(31) lgkmcnt(1)
	v_fma_mix_f32 v2, v5, v2, v4 op_sel_hi:[0,1,0]
	s_waitcnt vmcnt(30)
	s_delay_alu instid0(VALU_DEP_1) | instskip(SKIP_1) | instid1(VALU_DEP_1)
	v_fma_mix_f32 v2, v6, v21, v2 op_sel_hi:[0,1,0]
	s_waitcnt vmcnt(29)
	v_fma_mix_f32 v2, v7, v22, v2 op_sel_hi:[0,1,0]
	ds_load_b128 v[4:7], v44 offset:160
	s_waitcnt vmcnt(28)
	v_fma_mix_f32 v2, v8, v23, v2 op_sel_hi:[0,1,0]
	s_waitcnt vmcnt(27) lgkmcnt(1)
	s_delay_alu instid0(VALU_DEP_1) | instskip(SKIP_1) | instid1(VALU_DEP_1)
	v_fma_mix_f32 v2, v9, v24, v2 op_sel_hi:[0,1,0]
	s_waitcnt vmcnt(26)
	v_fma_mix_f32 v2, v10, v25, v2 op_sel_hi:[0,1,0]
	s_waitcnt vmcnt(25)
	s_delay_alu instid0(VALU_DEP_1) | instskip(SKIP_4) | instid1(VALU_DEP_1)
	v_fma_mix_f32 v2, v11, v26, v2 op_sel_hi:[0,1,0]
	ds_load_b128 v[8:11], v44 offset:176
	s_waitcnt vmcnt(24)
	v_fma_mix_f32 v2, v12, v27, v2 op_sel_hi:[0,1,0]
	s_waitcnt vmcnt(23) lgkmcnt(1)
	v_fma_mix_f32 v2, v4, v28, v2 op_sel_hi:[0,1,0]
	s_waitcnt vmcnt(22)
	s_delay_alu instid0(VALU_DEP_1) | instskip(SKIP_1) | instid1(VALU_DEP_1)
	v_fma_mix_f32 v2, v5, v29, v2 op_sel_hi:[0,1,0]
	s_waitcnt vmcnt(21)
	v_fma_mix_f32 v2, v6, v30, v2 op_sel_hi:[0,1,0]
	s_waitcnt vmcnt(20)
	s_delay_alu instid0(VALU_DEP_1) | instskip(SKIP_4) | instid1(VALU_DEP_1)
	v_fma_mix_f32 v2, v7, v31, v2 op_sel_hi:[0,1,0]
	ds_load_b128 v[4:7], v44 offset:192
	s_waitcnt vmcnt(19) lgkmcnt(1)
	v_fma_mix_f32 v2, v8, v32, v2 op_sel_hi:[0,1,0]
	s_waitcnt vmcnt(18)
	v_fma_mix_f32 v2, v9, v33, v2 op_sel_hi:[0,1,0]
	s_waitcnt vmcnt(17)
	s_delay_alu instid0(VALU_DEP_1) | instskip(SKIP_1) | instid1(VALU_DEP_1)
	v_fma_mix_f32 v2, v10, v17, v2 op_sel_hi:[0,1,0]
	s_waitcnt vmcnt(16)
	v_fma_mix_f32 v2, v11, v18, v2 op_sel_hi:[0,1,0]
	ds_load_b128 v[8:11], v44 offset:208
	s_waitcnt vmcnt(15) lgkmcnt(1)
	v_fma_mix_f32 v2, v4, v19, v2 op_sel_hi:[0,1,0]
	s_waitcnt vmcnt(14)
	s_delay_alu instid0(VALU_DEP_1) | instskip(SKIP_1) | instid1(VALU_DEP_1)
	v_fma_mix_f32 v2, v5, v20, v2 op_sel_hi:[0,1,0]
	s_waitcnt vmcnt(13)
	v_fma_mix_f32 v2, v6, v34, v2 op_sel_hi:[0,1,0]
	s_waitcnt vmcnt(12)
	s_delay_alu instid0(VALU_DEP_1) | instskip(SKIP_4) | instid1(VALU_DEP_1)
	v_fma_mix_f32 v2, v7, v35, v2 op_sel_hi:[0,1,0]
	ds_load_b128 v[4:7], v44 offset:224
	s_waitcnt vmcnt(11) lgkmcnt(1)
	v_fma_mix_f32 v2, v8, v36, v2 op_sel_hi:[0,1,0]
	s_waitcnt vmcnt(10)
	v_fma_mix_f32 v2, v9, v15, v2 op_sel_hi:[0,1,0]
	s_waitcnt vmcnt(9)
	s_delay_alu instid0(VALU_DEP_1) | instskip(SKIP_1) | instid1(VALU_DEP_1)
	v_fma_mix_f32 v2, v10, v16, v2 op_sel_hi:[0,1,0]
	s_waitcnt vmcnt(8)
	v_fma_mix_f32 v2, v11, v37, v2 op_sel_hi:[0,1,0]
	ds_load_b128 v[8:11], v44 offset:240
	s_waitcnt vmcnt(7) lgkmcnt(1)
	v_fma_mix_f32 v2, v4, v38, v2 op_sel_hi:[0,1,0]
	s_waitcnt vmcnt(6)
	s_delay_alu instid0(VALU_DEP_1) | instskip(SKIP_1) | instid1(VALU_DEP_1)
	v_fma_mix_f32 v2, v5, v39, v2 op_sel_hi:[0,1,0]
	s_waitcnt vmcnt(5)
	v_fma_mix_f32 v2, v6, v13, v2 op_sel_hi:[0,1,0]
	s_waitcnt vmcnt(4)
	s_delay_alu instid0(VALU_DEP_1) | instskip(SKIP_1) | instid1(VALU_DEP_1)
	v_fma_mix_f32 v2, v7, v14, v2 op_sel_hi:[0,1,0]
	s_waitcnt vmcnt(3) lgkmcnt(0)
	v_fma_mix_f32 v2, v8, v40, v2 op_sel_hi:[0,1,0]
	s_waitcnt vmcnt(2)
	s_delay_alu instid0(VALU_DEP_1) | instskip(SKIP_1) | instid1(VALU_DEP_1)
	v_fma_mix_f32 v2, v9, v41, v2 op_sel_hi:[0,1,0]
	s_waitcnt vmcnt(1)
	v_fma_mix_f32 v2, v10, v42, v2 op_sel_hi:[0,1,0]
	s_waitcnt vmcnt(0)
	s_delay_alu instid0(VALU_DEP_1)
	v_fma_mix_f32 v4, v11, v43, v2 op_sel_hi:[0,1,0]
	s_cmpk_lt_i32 s48, 0x4100
	s_cbranch_scc1 .LBB270_14
.LBB270_22:
	s_cmpk_lt_i32 s48, 0x4200
	v_add_co_u32 v5, vcc_lo, 0x4000, v1
	s_cselect_b32 s4, s49, 0x2080
	v_add_co_ci_u32_e32 v6, vcc_lo, 0, v3, vcc_lo
	s_ashr_i32 s5, s4, 31
	v_mov_b32_e32 v44, 0
	s_lshl_b64 s[4:5], s[4:5], 1
	s_cmpk_lt_i32 s48, 0x4300
	v_add_co_u32 v7, vcc_lo, v1, s4
	s_cselect_b32 s6, s49, 0x2100
	v_add_co_ci_u32_e32 v8, vcc_lo, s5, v3, vcc_lo
	s_ashr_i32 s7, s6, 31
	s_delay_alu instid0(SALU_CYCLE_1)
	s_lshl_b64 s[6:7], s[6:7], 1
	s_cmpk_lt_i32 s48, 0x4400
	v_add_co_u32 v9, vcc_lo, v1, s6
	s_cselect_b32 s8, s49, 0x2180
	v_add_co_ci_u32_e32 v10, vcc_lo, s7, v3, vcc_lo
	s_ashr_i32 s9, s8, 31
	s_delay_alu instid0(SALU_CYCLE_1)
	;; [unrolled: 7-line block ×6, first 2 shown]
	s_lshl_b64 s[26:27], s[18:19], 1
	s_cmpk_lt_i32 s48, 0x4900
	v_add_co_u32 v19, vcc_lo, v1, s26
	s_cselect_b32 s18, s49, 0x2400
	v_add_co_ci_u32_e32 v20, vcc_lo, s27, v3, vcc_lo
	s_ashr_i32 s19, s18, 31
	s_clause 0x7
	global_load_u16 v2, v[5:6], off
	global_load_u16 v21, v[7:8], off
	;; [unrolled: 1-line block ×8, first 2 shown]
	s_lshl_b64 s[18:19], s[18:19], 1
	s_cmpk_lt_i32 s48, 0x4a00
	v_add_co_u32 v5, vcc_lo, v1, s18
	s_cselect_b32 s24, s49, 0x2480
	v_add_co_ci_u32_e32 v6, vcc_lo, s19, v3, vcc_lo
	s_ashr_i32 s25, s24, 31
	s_delay_alu instid0(SALU_CYCLE_1)
	s_lshl_b64 s[24:25], s[24:25], 1
	s_cmpk_lt_i32 s48, 0x4b00
	v_add_co_u32 v7, vcc_lo, v1, s24
	s_cselect_b32 s28, s49, 0x2500
	v_add_co_ci_u32_e32 v8, vcc_lo, s25, v3, vcc_lo
	s_ashr_i32 s29, s28, 31
	s_delay_alu instid0(SALU_CYCLE_1)
	;; [unrolled: 7-line block ×7, first 2 shown]
	s_lshl_b64 s[44:45], s[36:37], 1
	s_cmpk_lt_i32 s48, 0x5100
	v_add_co_u32 v19, vcc_lo, v1, s44
	s_cselect_b32 s36, s49, 0x2800
	v_add_co_ci_u32_e32 v20, vcc_lo, s45, v3, vcc_lo
	s_ashr_i32 s37, s36, 31
	s_clause 0x7
	global_load_u16 v28, v[5:6], off
	global_load_u16 v29, v[7:8], off
	;; [unrolled: 1-line block ×8, first 2 shown]
	s_lshl_b64 s[36:37], s[36:37], 1
	s_cmpk_lt_i32 s48, 0x5200
	v_add_co_u32 v5, vcc_lo, v1, s36
	s_cselect_b32 s42, s49, 0x2880
	v_add_co_ci_u32_e32 v6, vcc_lo, s37, v3, vcc_lo
	s_ashr_i32 s43, s42, 31
	s_delay_alu instid0(SALU_CYCLE_1)
	s_lshl_b64 s[42:43], s[42:43], 1
	s_cmpk_lt_i32 s48, 0x5300
	v_add_co_u32 v7, vcc_lo, v1, s42
	s_cselect_b32 s46, s49, 0x2900
	v_add_co_ci_u32_e32 v8, vcc_lo, s43, v3, vcc_lo
	s_ashr_i32 s47, s46, 31
	s_delay_alu instid0(SALU_CYCLE_1)
	;; [unrolled: 7-line block ×5, first 2 shown]
	s_lshl_b64 s[8:9], s[8:9], 1
	s_cmpk_lt_i32 s48, 0x5700
	v_add_co_u32 v15, vcc_lo, v1, s8
	s_cselect_b32 s10, s49, 0x2b00
	v_add_co_ci_u32_e32 v16, vcc_lo, s9, v3, vcc_lo
	s_ashr_i32 s11, s10, 31
	s_clause 0x5
	global_load_u16 v19, v[5:6], off
	global_load_u16 v20, v[7:8], off
	;; [unrolled: 1-line block ×6, first 2 shown]
	s_lshl_b64 s[10:11], s[10:11], 1
	s_cmpk_lt_i32 s48, 0x5800
	v_add_co_u32 v5, vcc_lo, v1, s10
	s_cselect_b32 s18, s49, 0x2b80
	v_add_co_ci_u32_e32 v6, vcc_lo, s11, v3, vcc_lo
	s_ashr_i32 s19, s18, 31
	s_delay_alu instid0(SALU_CYCLE_1)
	s_lshl_b64 s[18:19], s[18:19], 1
	s_cmpk_lt_i32 s48, 0x5900
	v_add_co_u32 v7, vcc_lo, v1, s18
	s_cselect_b32 s20, s49, 0x2c00
	v_add_co_ci_u32_e32 v8, vcc_lo, s19, v3, vcc_lo
	s_ashr_i32 s21, s20, 31
	global_load_u16 v16, v[5:6], off
	s_lshl_b64 s[20:21], s[20:21], 1
	global_load_u16 v37, v[7:8], off
	s_cmpk_lt_i32 s48, 0x5a00
	v_add_co_u32 v9, vcc_lo, v1, s20
	s_cselect_b32 s22, s49, 0x2c80
	v_add_co_ci_u32_e32 v10, vcc_lo, s21, v3, vcc_lo
	s_ashr_i32 s23, s22, 31
	s_delay_alu instid0(SALU_CYCLE_1)
	s_lshl_b64 s[22:23], s[22:23], 1
	s_cmpk_lt_i32 s48, 0x5b00
	v_add_co_u32 v11, vcc_lo, v1, s22
	s_cselect_b32 s4, s49, 0x2d00
	v_add_co_ci_u32_e32 v12, vcc_lo, s23, v3, vcc_lo
	s_ashr_i32 s5, s4, 31
	s_delay_alu instid0(SALU_CYCLE_1)
	s_lshl_b64 s[4:5], s[4:5], 1
	s_cmpk_lt_i32 s48, 0x5c00
	v_add_co_u32 v13, vcc_lo, v1, s4
	s_cselect_b32 s6, s49, 0x2d80
	v_add_co_ci_u32_e32 v14, vcc_lo, s5, v3, vcc_lo
	s_ashr_i32 s7, s6, 31
	s_clause 0x2
	global_load_u16 v38, v[9:10], off
	global_load_u16 v39, v[11:12], off
	;; [unrolled: 1-line block ×3, first 2 shown]
	s_lshl_b64 s[6:7], s[6:7], 1
	s_cmpk_lt_i32 s48, 0x5d00
	v_add_co_u32 v5, vcc_lo, v1, s6
	s_cselect_b32 s8, s49, 0x2e00
	v_add_co_ci_u32_e32 v6, vcc_lo, s7, v3, vcc_lo
	s_ashr_i32 s9, s8, 31
	s_delay_alu instid0(SALU_CYCLE_1)
	s_lshl_b64 s[4:5], s[8:9], 1
	s_cmpk_lt_i32 s48, 0x5e00
	v_add_co_u32 v7, vcc_lo, v1, s4
	s_cselect_b32 s8, s49, 0x2e80
	v_add_co_ci_u32_e32 v8, vcc_lo, s5, v3, vcc_lo
	s_ashr_i32 s9, s8, 31
	global_load_u16 v14, v[5:6], off
	s_lshl_b64 s[8:9], s[8:9], 1
	s_cmpk_lt_i32 s48, 0x5f00
	v_add_co_u32 v9, vcc_lo, v1, s8
	s_cselect_b32 s6, s49, 0x2f00
	v_add_co_ci_u32_e32 v10, vcc_lo, s9, v3, vcc_lo
	s_ashr_i32 s7, s6, 31
	s_clause 0x1
	global_load_u16 v40, v[7:8], off
	global_load_u16 v41, v[9:10], off
	s_lshl_b64 s[4:5], s[6:7], 1
	s_cmpk_lt_i32 s48, 0x6000
	v_add_co_u32 v5, vcc_lo, v1, s4
	s_cselect_b32 s6, s49, 0x2f80
	v_add_co_ci_u32_e32 v6, vcc_lo, s5, v3, vcc_lo
	s_ashr_i32 s7, s6, 31
	s_delay_alu instid0(SALU_CYCLE_1) | instskip(NEXT) | instid1(SALU_CYCLE_1)
	s_lshl_b64 s[4:5], s[6:7], 1
	v_add_co_u32 v7, vcc_lo, v1, s4
	v_add_co_ci_u32_e32 v8, vcc_lo, s5, v3, vcc_lo
	s_clause 0x1
	global_load_u16 v42, v[5:6], off
	global_load_u16 v43, v[7:8], off
	ds_load_b128 v[5:8], v44 offset:256
	ds_load_b128 v[9:12], v44 offset:272
	s_waitcnt vmcnt(31) lgkmcnt(1)
	v_fma_mix_f32 v2, v5, v2, v4 op_sel_hi:[0,1,0]
	s_waitcnt vmcnt(30)
	s_delay_alu instid0(VALU_DEP_1) | instskip(SKIP_1) | instid1(VALU_DEP_1)
	v_fma_mix_f32 v2, v6, v21, v2 op_sel_hi:[0,1,0]
	s_waitcnt vmcnt(29)
	v_fma_mix_f32 v2, v7, v22, v2 op_sel_hi:[0,1,0]
	ds_load_b128 v[4:7], v44 offset:288
	s_waitcnt vmcnt(28)
	v_fma_mix_f32 v2, v8, v23, v2 op_sel_hi:[0,1,0]
	s_waitcnt vmcnt(27) lgkmcnt(1)
	s_delay_alu instid0(VALU_DEP_1) | instskip(SKIP_1) | instid1(VALU_DEP_1)
	v_fma_mix_f32 v2, v9, v24, v2 op_sel_hi:[0,1,0]
	s_waitcnt vmcnt(26)
	v_fma_mix_f32 v2, v10, v25, v2 op_sel_hi:[0,1,0]
	s_waitcnt vmcnt(25)
	s_delay_alu instid0(VALU_DEP_1) | instskip(SKIP_4) | instid1(VALU_DEP_1)
	v_fma_mix_f32 v2, v11, v26, v2 op_sel_hi:[0,1,0]
	ds_load_b128 v[8:11], v44 offset:304
	s_waitcnt vmcnt(24)
	v_fma_mix_f32 v2, v12, v27, v2 op_sel_hi:[0,1,0]
	s_waitcnt vmcnt(23) lgkmcnt(1)
	v_fma_mix_f32 v2, v4, v28, v2 op_sel_hi:[0,1,0]
	s_waitcnt vmcnt(22)
	s_delay_alu instid0(VALU_DEP_1) | instskip(SKIP_1) | instid1(VALU_DEP_1)
	v_fma_mix_f32 v2, v5, v29, v2 op_sel_hi:[0,1,0]
	s_waitcnt vmcnt(21)
	v_fma_mix_f32 v2, v6, v30, v2 op_sel_hi:[0,1,0]
	s_waitcnt vmcnt(20)
	s_delay_alu instid0(VALU_DEP_1) | instskip(SKIP_4) | instid1(VALU_DEP_1)
	v_fma_mix_f32 v2, v7, v31, v2 op_sel_hi:[0,1,0]
	ds_load_b128 v[4:7], v44 offset:320
	s_waitcnt vmcnt(19) lgkmcnt(1)
	v_fma_mix_f32 v2, v8, v32, v2 op_sel_hi:[0,1,0]
	s_waitcnt vmcnt(18)
	v_fma_mix_f32 v2, v9, v33, v2 op_sel_hi:[0,1,0]
	s_waitcnt vmcnt(17)
	s_delay_alu instid0(VALU_DEP_1) | instskip(SKIP_1) | instid1(VALU_DEP_1)
	v_fma_mix_f32 v2, v10, v17, v2 op_sel_hi:[0,1,0]
	s_waitcnt vmcnt(16)
	v_fma_mix_f32 v2, v11, v18, v2 op_sel_hi:[0,1,0]
	ds_load_b128 v[8:11], v44 offset:336
	s_waitcnt vmcnt(15) lgkmcnt(1)
	v_fma_mix_f32 v2, v4, v19, v2 op_sel_hi:[0,1,0]
	s_waitcnt vmcnt(14)
	s_delay_alu instid0(VALU_DEP_1) | instskip(SKIP_1) | instid1(VALU_DEP_1)
	v_fma_mix_f32 v2, v5, v20, v2 op_sel_hi:[0,1,0]
	s_waitcnt vmcnt(13)
	v_fma_mix_f32 v2, v6, v34, v2 op_sel_hi:[0,1,0]
	s_waitcnt vmcnt(12)
	s_delay_alu instid0(VALU_DEP_1) | instskip(SKIP_4) | instid1(VALU_DEP_1)
	v_fma_mix_f32 v2, v7, v35, v2 op_sel_hi:[0,1,0]
	ds_load_b128 v[4:7], v44 offset:352
	s_waitcnt vmcnt(11) lgkmcnt(1)
	v_fma_mix_f32 v2, v8, v36, v2 op_sel_hi:[0,1,0]
	s_waitcnt vmcnt(10)
	v_fma_mix_f32 v2, v9, v15, v2 op_sel_hi:[0,1,0]
	s_waitcnt vmcnt(9)
	s_delay_alu instid0(VALU_DEP_1) | instskip(SKIP_1) | instid1(VALU_DEP_1)
	v_fma_mix_f32 v2, v10, v16, v2 op_sel_hi:[0,1,0]
	s_waitcnt vmcnt(8)
	v_fma_mix_f32 v2, v11, v37, v2 op_sel_hi:[0,1,0]
	ds_load_b128 v[8:11], v44 offset:368
	s_waitcnt vmcnt(7) lgkmcnt(1)
	v_fma_mix_f32 v2, v4, v38, v2 op_sel_hi:[0,1,0]
	s_waitcnt vmcnt(6)
	s_delay_alu instid0(VALU_DEP_1) | instskip(SKIP_1) | instid1(VALU_DEP_1)
	v_fma_mix_f32 v2, v5, v39, v2 op_sel_hi:[0,1,0]
	s_waitcnt vmcnt(5)
	v_fma_mix_f32 v2, v6, v13, v2 op_sel_hi:[0,1,0]
	s_waitcnt vmcnt(4)
	s_delay_alu instid0(VALU_DEP_1) | instskip(SKIP_1) | instid1(VALU_DEP_1)
	v_fma_mix_f32 v2, v7, v14, v2 op_sel_hi:[0,1,0]
	s_waitcnt vmcnt(3) lgkmcnt(0)
	v_fma_mix_f32 v2, v8, v40, v2 op_sel_hi:[0,1,0]
	s_waitcnt vmcnt(2)
	s_delay_alu instid0(VALU_DEP_1) | instskip(SKIP_1) | instid1(VALU_DEP_1)
	v_fma_mix_f32 v2, v9, v41, v2 op_sel_hi:[0,1,0]
	s_waitcnt vmcnt(1)
	v_fma_mix_f32 v2, v10, v42, v2 op_sel_hi:[0,1,0]
	s_waitcnt vmcnt(0)
	s_delay_alu instid0(VALU_DEP_1)
	v_fma_mix_f32 v4, v11, v43, v2 op_sel_hi:[0,1,0]
	s_cmpk_lt_i32 s48, 0x6100
	s_cbranch_scc1 .LBB270_15
.LBB270_23:
	s_cmpk_lt_i32 s48, 0x6200
	v_add_co_u32 v5, vcc_lo, 0x6000, v1
	s_cselect_b32 s4, s49, 0x3080
	v_add_co_ci_u32_e32 v6, vcc_lo, 0, v3, vcc_lo
	s_ashr_i32 s5, s4, 31
	v_mov_b32_e32 v44, 0
	s_lshl_b64 s[4:5], s[4:5], 1
	s_cmpk_lt_i32 s48, 0x6300
	v_add_co_u32 v7, vcc_lo, v1, s4
	s_cselect_b32 s6, s49, 0x3100
	v_add_co_ci_u32_e32 v8, vcc_lo, s5, v3, vcc_lo
	s_ashr_i32 s7, s6, 31
	s_delay_alu instid0(SALU_CYCLE_1)
	s_lshl_b64 s[6:7], s[6:7], 1
	s_cmpk_lt_i32 s48, 0x6400
	v_add_co_u32 v9, vcc_lo, v1, s6
	s_cselect_b32 s8, s49, 0x3180
	v_add_co_ci_u32_e32 v10, vcc_lo, s7, v3, vcc_lo
	s_ashr_i32 s9, s8, 31
	s_delay_alu instid0(SALU_CYCLE_1)
	;; [unrolled: 7-line block ×6, first 2 shown]
	s_lshl_b64 s[26:27], s[18:19], 1
	s_cmpk_lt_i32 s48, 0x6900
	v_add_co_u32 v19, vcc_lo, v1, s26
	s_cselect_b32 s18, s49, 0x3400
	v_add_co_ci_u32_e32 v20, vcc_lo, s27, v3, vcc_lo
	s_ashr_i32 s19, s18, 31
	s_clause 0x7
	global_load_u16 v2, v[5:6], off
	global_load_u16 v21, v[7:8], off
	;; [unrolled: 1-line block ×8, first 2 shown]
	s_lshl_b64 s[18:19], s[18:19], 1
	s_cmpk_lt_i32 s48, 0x6a00
	v_add_co_u32 v5, vcc_lo, v1, s18
	s_cselect_b32 s24, s49, 0x3480
	v_add_co_ci_u32_e32 v6, vcc_lo, s19, v3, vcc_lo
	s_ashr_i32 s25, s24, 31
	s_delay_alu instid0(SALU_CYCLE_1)
	s_lshl_b64 s[24:25], s[24:25], 1
	s_cmpk_lt_i32 s48, 0x6b00
	v_add_co_u32 v7, vcc_lo, v1, s24
	s_cselect_b32 s28, s49, 0x3500
	v_add_co_ci_u32_e32 v8, vcc_lo, s25, v3, vcc_lo
	s_ashr_i32 s29, s28, 31
	s_delay_alu instid0(SALU_CYCLE_1)
	s_lshl_b64 s[28:29], s[28:29], 1
	s_cmpk_lt_i32 s48, 0x6c00
	v_add_co_u32 v9, vcc_lo, v1, s28
	s_cselect_b32 s30, s49, 0x3580
	v_add_co_ci_u32_e32 v10, vcc_lo, s29, v3, vcc_lo
	s_ashr_i32 s31, s30, 31
	s_delay_alu instid0(SALU_CYCLE_1)
	s_lshl_b64 s[30:31], s[30:31], 1
	s_cmpk_lt_i32 s48, 0x6d00
	v_add_co_u32 v11, vcc_lo, v1, s30
	s_cselect_b32 s34, s49, 0x3600
	v_add_co_ci_u32_e32 v12, vcc_lo, s31, v3, vcc_lo
	s_ashr_i32 s35, s34, 31
	s_delay_alu instid0(SALU_CYCLE_1)
	s_lshl_b64 s[34:35], s[34:35], 1
	s_cmpk_lt_i32 s48, 0x6e00
	v_add_co_u32 v13, vcc_lo, v1, s34
	s_cselect_b32 s36, s49, 0x3680
	v_add_co_ci_u32_e32 v14, vcc_lo, s35, v3, vcc_lo
	s_ashr_i32 s37, s36, 31
	s_delay_alu instid0(SALU_CYCLE_1)
	s_lshl_b64 s[38:39], s[36:37], 1
	s_cmpk_lt_i32 s48, 0x6f00
	v_add_co_u32 v15, vcc_lo, v1, s38
	s_cselect_b32 s36, s49, 0x3700
	v_add_co_ci_u32_e32 v16, vcc_lo, s39, v3, vcc_lo
	s_ashr_i32 s37, s36, 31
	s_delay_alu instid0(SALU_CYCLE_1)
	s_lshl_b64 s[40:41], s[36:37], 1
	s_cmpk_lt_i32 s48, 0x7000
	v_add_co_u32 v17, vcc_lo, v1, s40
	s_cselect_b32 s36, s49, 0x3780
	v_add_co_ci_u32_e32 v18, vcc_lo, s41, v3, vcc_lo
	s_ashr_i32 s37, s36, 31
	s_delay_alu instid0(SALU_CYCLE_1)
	s_lshl_b64 s[44:45], s[36:37], 1
	s_cmpk_lt_i32 s48, 0x7100
	v_add_co_u32 v19, vcc_lo, v1, s44
	s_cselect_b32 s36, s49, 0x3800
	v_add_co_ci_u32_e32 v20, vcc_lo, s45, v3, vcc_lo
	s_ashr_i32 s37, s36, 31
	s_clause 0x7
	global_load_u16 v28, v[5:6], off
	global_load_u16 v29, v[7:8], off
	;; [unrolled: 1-line block ×8, first 2 shown]
	s_lshl_b64 s[36:37], s[36:37], 1
	s_cmpk_lt_i32 s48, 0x7200
	v_add_co_u32 v5, vcc_lo, v1, s36
	s_cselect_b32 s42, s49, 0x3880
	v_add_co_ci_u32_e32 v6, vcc_lo, s37, v3, vcc_lo
	s_ashr_i32 s43, s42, 31
	s_delay_alu instid0(SALU_CYCLE_1)
	s_lshl_b64 s[42:43], s[42:43], 1
	s_cmpk_lt_i32 s48, 0x7300
	v_add_co_u32 v7, vcc_lo, v1, s42
	s_cselect_b32 s46, s49, 0x3900
	v_add_co_ci_u32_e32 v8, vcc_lo, s43, v3, vcc_lo
	s_ashr_i32 s47, s46, 31
	s_delay_alu instid0(SALU_CYCLE_1)
	;; [unrolled: 7-line block ×5, first 2 shown]
	s_lshl_b64 s[8:9], s[8:9], 1
	s_cmpk_lt_i32 s48, 0x7700
	v_add_co_u32 v15, vcc_lo, v1, s8
	s_cselect_b32 s10, s49, 0x3b00
	v_add_co_ci_u32_e32 v16, vcc_lo, s9, v3, vcc_lo
	s_ashr_i32 s11, s10, 31
	s_clause 0x5
	global_load_u16 v19, v[5:6], off
	global_load_u16 v20, v[7:8], off
	;; [unrolled: 1-line block ×6, first 2 shown]
	s_lshl_b64 s[10:11], s[10:11], 1
	s_cmpk_lt_i32 s48, 0x7800
	v_add_co_u32 v5, vcc_lo, v1, s10
	s_cselect_b32 s18, s49, 0x3b80
	v_add_co_ci_u32_e32 v6, vcc_lo, s11, v3, vcc_lo
	s_ashr_i32 s19, s18, 31
	s_delay_alu instid0(SALU_CYCLE_1)
	s_lshl_b64 s[18:19], s[18:19], 1
	s_cmpk_lt_i32 s48, 0x7900
	v_add_co_u32 v7, vcc_lo, v1, s18
	s_cselect_b32 s20, s49, 0x3c00
	v_add_co_ci_u32_e32 v8, vcc_lo, s19, v3, vcc_lo
	s_ashr_i32 s21, s20, 31
	global_load_u16 v16, v[5:6], off
	s_lshl_b64 s[20:21], s[20:21], 1
	global_load_u16 v37, v[7:8], off
	s_cmpk_lt_i32 s48, 0x7a00
	v_add_co_u32 v9, vcc_lo, v1, s20
	s_cselect_b32 s22, s49, 0x3c80
	v_add_co_ci_u32_e32 v10, vcc_lo, s21, v3, vcc_lo
	s_ashr_i32 s23, s22, 31
	s_delay_alu instid0(SALU_CYCLE_1)
	s_lshl_b64 s[22:23], s[22:23], 1
	s_cmpk_lt_i32 s48, 0x7b00
	v_add_co_u32 v11, vcc_lo, v1, s22
	s_cselect_b32 s4, s49, 0x3d00
	v_add_co_ci_u32_e32 v12, vcc_lo, s23, v3, vcc_lo
	s_ashr_i32 s5, s4, 31
	s_delay_alu instid0(SALU_CYCLE_1)
	s_lshl_b64 s[4:5], s[4:5], 1
	s_cmpk_lt_i32 s48, 0x7c00
	v_add_co_u32 v13, vcc_lo, v1, s4
	s_cselect_b32 s6, s49, 0x3d80
	v_add_co_ci_u32_e32 v14, vcc_lo, s5, v3, vcc_lo
	s_ashr_i32 s7, s6, 31
	s_clause 0x2
	global_load_u16 v38, v[9:10], off
	global_load_u16 v39, v[11:12], off
	;; [unrolled: 1-line block ×3, first 2 shown]
	s_lshl_b64 s[6:7], s[6:7], 1
	s_cmpk_lt_i32 s48, 0x7d00
	v_add_co_u32 v5, vcc_lo, v1, s6
	s_cselect_b32 s8, s49, 0x3e00
	v_add_co_ci_u32_e32 v6, vcc_lo, s7, v3, vcc_lo
	s_ashr_i32 s9, s8, 31
	s_delay_alu instid0(SALU_CYCLE_1)
	s_lshl_b64 s[4:5], s[8:9], 1
	s_cmpk_lt_i32 s48, 0x7e00
	v_add_co_u32 v7, vcc_lo, v1, s4
	s_cselect_b32 s8, s49, 0x3e80
	v_add_co_ci_u32_e32 v8, vcc_lo, s5, v3, vcc_lo
	s_ashr_i32 s9, s8, 31
	global_load_u16 v14, v[5:6], off
	s_lshl_b64 s[8:9], s[8:9], 1
	s_cmpk_lt_i32 s48, 0x7f00
	v_add_co_u32 v9, vcc_lo, v1, s8
	s_cselect_b32 s6, s49, 0x3f00
	v_add_co_ci_u32_e32 v10, vcc_lo, s9, v3, vcc_lo
	s_ashr_i32 s7, s6, 31
	s_clause 0x1
	global_load_u16 v40, v[7:8], off
	global_load_u16 v41, v[9:10], off
	s_lshl_b64 s[4:5], s[6:7], 1
	s_cmp_lt_i32 s48, 0x8000
	v_add_co_u32 v5, vcc_lo, v1, s4
	s_cselect_b32 s6, s49, 0x3f80
	v_add_co_ci_u32_e32 v6, vcc_lo, s5, v3, vcc_lo
	s_ashr_i32 s7, s6, 31
	s_delay_alu instid0(SALU_CYCLE_1) | instskip(NEXT) | instid1(SALU_CYCLE_1)
	s_lshl_b64 s[4:5], s[6:7], 1
	v_add_co_u32 v7, vcc_lo, v1, s4
	v_add_co_ci_u32_e32 v8, vcc_lo, s5, v3, vcc_lo
	s_clause 0x1
	global_load_u16 v42, v[5:6], off
	global_load_u16 v43, v[7:8], off
	ds_load_b128 v[5:8], v44 offset:384
	ds_load_b128 v[9:12], v44 offset:400
	s_waitcnt vmcnt(31) lgkmcnt(1)
	v_fma_mix_f32 v2, v5, v2, v4 op_sel_hi:[0,1,0]
	s_waitcnt vmcnt(30)
	s_delay_alu instid0(VALU_DEP_1) | instskip(SKIP_1) | instid1(VALU_DEP_1)
	v_fma_mix_f32 v2, v6, v21, v2 op_sel_hi:[0,1,0]
	s_waitcnt vmcnt(29)
	v_fma_mix_f32 v2, v7, v22, v2 op_sel_hi:[0,1,0]
	ds_load_b128 v[4:7], v44 offset:416
	s_waitcnt vmcnt(28)
	v_fma_mix_f32 v2, v8, v23, v2 op_sel_hi:[0,1,0]
	s_waitcnt vmcnt(27) lgkmcnt(1)
	s_delay_alu instid0(VALU_DEP_1) | instskip(SKIP_1) | instid1(VALU_DEP_1)
	v_fma_mix_f32 v2, v9, v24, v2 op_sel_hi:[0,1,0]
	s_waitcnt vmcnt(26)
	v_fma_mix_f32 v2, v10, v25, v2 op_sel_hi:[0,1,0]
	s_waitcnt vmcnt(25)
	s_delay_alu instid0(VALU_DEP_1) | instskip(SKIP_4) | instid1(VALU_DEP_1)
	v_fma_mix_f32 v2, v11, v26, v2 op_sel_hi:[0,1,0]
	ds_load_b128 v[8:11], v44 offset:432
	s_waitcnt vmcnt(24)
	v_fma_mix_f32 v2, v12, v27, v2 op_sel_hi:[0,1,0]
	s_waitcnt vmcnt(23) lgkmcnt(1)
	v_fma_mix_f32 v2, v4, v28, v2 op_sel_hi:[0,1,0]
	s_waitcnt vmcnt(22)
	s_delay_alu instid0(VALU_DEP_1) | instskip(SKIP_1) | instid1(VALU_DEP_1)
	v_fma_mix_f32 v2, v5, v29, v2 op_sel_hi:[0,1,0]
	s_waitcnt vmcnt(21)
	v_fma_mix_f32 v2, v6, v30, v2 op_sel_hi:[0,1,0]
	s_waitcnt vmcnt(20)
	s_delay_alu instid0(VALU_DEP_1) | instskip(SKIP_4) | instid1(VALU_DEP_1)
	v_fma_mix_f32 v2, v7, v31, v2 op_sel_hi:[0,1,0]
	ds_load_b128 v[4:7], v44 offset:448
	s_waitcnt vmcnt(19) lgkmcnt(1)
	v_fma_mix_f32 v2, v8, v32, v2 op_sel_hi:[0,1,0]
	s_waitcnt vmcnt(18)
	v_fma_mix_f32 v2, v9, v33, v2 op_sel_hi:[0,1,0]
	s_waitcnt vmcnt(17)
	s_delay_alu instid0(VALU_DEP_1) | instskip(SKIP_1) | instid1(VALU_DEP_1)
	v_fma_mix_f32 v2, v10, v17, v2 op_sel_hi:[0,1,0]
	s_waitcnt vmcnt(16)
	v_fma_mix_f32 v2, v11, v18, v2 op_sel_hi:[0,1,0]
	ds_load_b128 v[8:11], v44 offset:464
	s_waitcnt vmcnt(15) lgkmcnt(1)
	v_fma_mix_f32 v2, v4, v19, v2 op_sel_hi:[0,1,0]
	s_waitcnt vmcnt(14)
	s_delay_alu instid0(VALU_DEP_1) | instskip(SKIP_1) | instid1(VALU_DEP_1)
	v_fma_mix_f32 v2, v5, v20, v2 op_sel_hi:[0,1,0]
	s_waitcnt vmcnt(13)
	v_fma_mix_f32 v2, v6, v34, v2 op_sel_hi:[0,1,0]
	s_waitcnt vmcnt(12)
	s_delay_alu instid0(VALU_DEP_1) | instskip(SKIP_4) | instid1(VALU_DEP_1)
	v_fma_mix_f32 v2, v7, v35, v2 op_sel_hi:[0,1,0]
	ds_load_b128 v[4:7], v44 offset:480
	s_waitcnt vmcnt(11) lgkmcnt(1)
	v_fma_mix_f32 v2, v8, v36, v2 op_sel_hi:[0,1,0]
	s_waitcnt vmcnt(10)
	v_fma_mix_f32 v2, v9, v15, v2 op_sel_hi:[0,1,0]
	s_waitcnt vmcnt(9)
	s_delay_alu instid0(VALU_DEP_1) | instskip(SKIP_1) | instid1(VALU_DEP_1)
	v_fma_mix_f32 v2, v10, v16, v2 op_sel_hi:[0,1,0]
	s_waitcnt vmcnt(8)
	v_fma_mix_f32 v2, v11, v37, v2 op_sel_hi:[0,1,0]
	ds_load_b128 v[8:11], v44 offset:496
	s_waitcnt vmcnt(7) lgkmcnt(1)
	v_fma_mix_f32 v2, v4, v38, v2 op_sel_hi:[0,1,0]
	s_waitcnt vmcnt(6)
	s_delay_alu instid0(VALU_DEP_1) | instskip(SKIP_1) | instid1(VALU_DEP_1)
	v_fma_mix_f32 v2, v5, v39, v2 op_sel_hi:[0,1,0]
	s_waitcnt vmcnt(5)
	v_fma_mix_f32 v2, v6, v13, v2 op_sel_hi:[0,1,0]
	s_waitcnt vmcnt(4)
	s_delay_alu instid0(VALU_DEP_1) | instskip(SKIP_1) | instid1(VALU_DEP_1)
	v_fma_mix_f32 v2, v7, v14, v2 op_sel_hi:[0,1,0]
	s_waitcnt vmcnt(3) lgkmcnt(0)
	v_fma_mix_f32 v2, v8, v40, v2 op_sel_hi:[0,1,0]
	s_waitcnt vmcnt(2)
	s_delay_alu instid0(VALU_DEP_1) | instskip(SKIP_1) | instid1(VALU_DEP_1)
	v_fma_mix_f32 v2, v9, v41, v2 op_sel_hi:[0,1,0]
	s_waitcnt vmcnt(1)
	v_fma_mix_f32 v2, v10, v42, v2 op_sel_hi:[0,1,0]
	s_waitcnt vmcnt(0)
	s_delay_alu instid0(VALU_DEP_1)
	v_fma_mix_f32 v4, v11, v43, v2 op_sel_hi:[0,1,0]
	s_load_b64 s[0:1], s[0:1], 0x0
	s_cmp_lt_i32 s48, 0x8100
	s_cbranch_scc1 .LBB270_16
.LBB270_24:
	s_cmp_lt_i32 s48, 0x8200
	v_add_co_u32 v5, vcc_lo, 0x8000, v1
	s_cselect_b32 s4, s49, 0x4080
	v_add_co_ci_u32_e32 v6, vcc_lo, 0, v3, vcc_lo
	s_ashr_i32 s5, s4, 31
	v_mov_b32_e32 v45, 0
	s_lshl_b64 s[4:5], s[4:5], 1
	s_cmp_lt_i32 s48, 0x8300
	v_add_co_u32 v7, vcc_lo, v1, s4
	s_cselect_b32 s6, s49, 0x4100
	v_add_co_ci_u32_e32 v8, vcc_lo, s5, v3, vcc_lo
	s_ashr_i32 s7, s6, 31
	s_delay_alu instid0(SALU_CYCLE_1)
	s_lshl_b64 s[6:7], s[6:7], 1
	s_cmp_lt_i32 s48, 0x8400
	v_add_co_u32 v9, vcc_lo, v1, s6
	s_cselect_b32 s8, s49, 0x4180
	v_add_co_ci_u32_e32 v10, vcc_lo, s7, v3, vcc_lo
	s_ashr_i32 s9, s8, 31
	s_delay_alu instid0(SALU_CYCLE_1)
	;; [unrolled: 7-line block ×6, first 2 shown]
	s_lshl_b64 s[26:27], s[18:19], 1
	s_cmp_lt_i32 s48, 0x8900
	v_add_co_u32 v19, vcc_lo, v1, s26
	s_cselect_b32 s18, s49, 0x4400
	v_add_co_ci_u32_e32 v20, vcc_lo, s27, v3, vcc_lo
	s_ashr_i32 s19, s18, 31
	s_clause 0x7
	global_load_u16 v21, v[5:6], off
	global_load_u16 v22, v[7:8], off
	;; [unrolled: 1-line block ×8, first 2 shown]
	s_lshl_b64 s[18:19], s[18:19], 1
	s_cmp_lt_i32 s48, 0x8a00
	v_add_co_u32 v5, vcc_lo, v1, s18
	s_cselect_b32 s24, s49, 0x4480
	v_add_co_ci_u32_e32 v6, vcc_lo, s19, v3, vcc_lo
	s_ashr_i32 s25, s24, 31
	s_delay_alu instid0(SALU_CYCLE_1)
	s_lshl_b64 s[24:25], s[24:25], 1
	s_cmp_lt_i32 s48, 0x8b00
	v_add_co_u32 v7, vcc_lo, v1, s24
	s_cselect_b32 s28, s49, 0x4500
	v_add_co_ci_u32_e32 v8, vcc_lo, s25, v3, vcc_lo
	s_ashr_i32 s29, s28, 31
	s_delay_alu instid0(SALU_CYCLE_1)
	;; [unrolled: 7-line block ×7, first 2 shown]
	s_lshl_b64 s[44:45], s[36:37], 1
	s_cmp_lt_i32 s48, 0x9100
	v_add_co_u32 v19, vcc_lo, v1, s44
	s_cselect_b32 s36, s49, 0x4800
	v_add_co_ci_u32_e32 v20, vcc_lo, s45, v3, vcc_lo
	s_ashr_i32 s37, s36, 31
	s_clause 0x7
	global_load_u16 v29, v[5:6], off
	global_load_u16 v30, v[7:8], off
	;; [unrolled: 1-line block ×8, first 2 shown]
	s_lshl_b64 s[36:37], s[36:37], 1
	s_cmp_lt_i32 s48, 0x9200
	v_add_co_u32 v5, vcc_lo, v1, s36
	s_cselect_b32 s42, s49, 0x4880
	v_add_co_ci_u32_e32 v6, vcc_lo, s37, v3, vcc_lo
	s_ashr_i32 s43, s42, 31
	s_delay_alu instid0(SALU_CYCLE_1)
	s_lshl_b64 s[42:43], s[42:43], 1
	s_cmp_lt_i32 s48, 0x9300
	v_add_co_u32 v7, vcc_lo, v1, s42
	s_cselect_b32 s46, s49, 0x4900
	v_add_co_ci_u32_e32 v8, vcc_lo, s43, v3, vcc_lo
	s_ashr_i32 s47, s46, 31
	s_delay_alu instid0(SALU_CYCLE_1)
	s_lshl_b64 s[46:47], s[46:47], 1
	s_cmp_lt_i32 s48, 0x9400
	v_add_co_u32 v9, vcc_lo, v1, s46
	s_cselect_b32 s50, s49, 0x4980
	v_add_co_ci_u32_e32 v10, vcc_lo, s47, v3, vcc_lo
	s_ashr_i32 s51, s50, 31
	s_delay_alu instid0(SALU_CYCLE_1)
	s_lshl_b64 s[4:5], s[50:51], 1
	s_cmp_lt_i32 s48, 0x9500
	v_add_co_u32 v11, vcc_lo, v1, s4
	s_cselect_b32 s6, s49, 0x4a00
	v_add_co_ci_u32_e32 v12, vcc_lo, s5, v3, vcc_lo
	s_ashr_i32 s7, s6, 31
	s_delay_alu instid0(SALU_CYCLE_1)
	s_lshl_b64 s[6:7], s[6:7], 1
	s_cmp_lt_i32 s48, 0x9600
	v_add_co_u32 v13, vcc_lo, v1, s6
	s_cselect_b32 s8, s49, 0x4a80
	v_add_co_ci_u32_e32 v14, vcc_lo, s7, v3, vcc_lo
	s_ashr_i32 s9, s8, 31
	s_delay_alu instid0(SALU_CYCLE_1)
	s_lshl_b64 s[8:9], s[8:9], 1
	s_cmp_lt_i32 s48, 0x9700
	v_add_co_u32 v15, vcc_lo, v1, s8
	s_cselect_b32 s10, s49, 0x4b00
	v_add_co_ci_u32_e32 v16, vcc_lo, s9, v3, vcc_lo
	s_ashr_i32 s11, s10, 31
	s_clause 0x5
	global_load_u16 v19, v[5:6], off
	global_load_u16 v20, v[7:8], off
	;; [unrolled: 1-line block ×6, first 2 shown]
	s_lshl_b64 s[10:11], s[10:11], 1
	s_cmp_lt_i32 s48, 0x9800
	v_add_co_u32 v5, vcc_lo, v1, s10
	s_cselect_b32 s18, s49, 0x4b80
	v_add_co_ci_u32_e32 v6, vcc_lo, s11, v3, vcc_lo
	s_ashr_i32 s19, s18, 31
	s_delay_alu instid0(SALU_CYCLE_1)
	s_lshl_b64 s[18:19], s[18:19], 1
	s_cmp_lt_i32 s48, 0x9900
	v_add_co_u32 v7, vcc_lo, v1, s18
	s_cselect_b32 s20, s49, 0x4c00
	v_add_co_ci_u32_e32 v8, vcc_lo, s19, v3, vcc_lo
	s_ashr_i32 s21, s20, 31
	global_load_u16 v16, v[5:6], off
	s_lshl_b64 s[20:21], s[20:21], 1
	global_load_u16 v38, v[7:8], off
	s_cmp_lt_i32 s48, 0x9a00
	v_add_co_u32 v9, vcc_lo, v1, s20
	s_cselect_b32 s22, s49, 0x4c80
	v_add_co_ci_u32_e32 v10, vcc_lo, s21, v3, vcc_lo
	s_ashr_i32 s23, s22, 31
	s_delay_alu instid0(SALU_CYCLE_1)
	s_lshl_b64 s[22:23], s[22:23], 1
	s_cmp_lt_i32 s48, 0x9b00
	v_add_co_u32 v11, vcc_lo, v1, s22
	s_cselect_b32 s4, s49, 0x4d00
	v_add_co_ci_u32_e32 v12, vcc_lo, s23, v3, vcc_lo
	s_ashr_i32 s5, s4, 31
	s_delay_alu instid0(SALU_CYCLE_1)
	s_lshl_b64 s[4:5], s[4:5], 1
	s_cmp_lt_i32 s48, 0x9c00
	v_add_co_u32 v13, vcc_lo, v1, s4
	s_cselect_b32 s6, s49, 0x4d80
	v_add_co_ci_u32_e32 v14, vcc_lo, s5, v3, vcc_lo
	s_ashr_i32 s7, s6, 31
	s_clause 0x2
	global_load_u16 v39, v[9:10], off
	global_load_u16 v40, v[11:12], off
	;; [unrolled: 1-line block ×3, first 2 shown]
	s_lshl_b64 s[6:7], s[6:7], 1
	s_cmp_lt_i32 s48, 0x9d00
	v_add_co_u32 v5, vcc_lo, v1, s6
	s_cselect_b32 s8, s49, 0x4e00
	v_add_co_ci_u32_e32 v6, vcc_lo, s7, v3, vcc_lo
	s_ashr_i32 s9, s8, 31
	s_delay_alu instid0(SALU_CYCLE_1)
	s_lshl_b64 s[4:5], s[8:9], 1
	s_cmp_lt_i32 s48, 0x9e00
	v_add_co_u32 v7, vcc_lo, v1, s4
	s_cselect_b32 s8, s49, 0x4e80
	v_add_co_ci_u32_e32 v8, vcc_lo, s5, v3, vcc_lo
	s_ashr_i32 s9, s8, 31
	global_load_u16 v14, v[5:6], off
	s_lshl_b64 s[8:9], s[8:9], 1
	s_cmp_lt_i32 s48, 0x9f00
	v_add_co_u32 v9, vcc_lo, v1, s8
	s_cselect_b32 s6, s49, 0x4f00
	v_add_co_ci_u32_e32 v10, vcc_lo, s9, v3, vcc_lo
	s_ashr_i32 s7, s6, 31
	s_clause 0x1
	global_load_u16 v41, v[7:8], off
	global_load_u16 v42, v[9:10], off
	s_lshl_b64 s[4:5], s[6:7], 1
	s_cmp_lt_i32 s48, 0xa000
	v_add_co_u32 v5, vcc_lo, v1, s4
	s_cselect_b32 s6, s49, 0x4f80
	v_add_co_ci_u32_e32 v6, vcc_lo, s5, v3, vcc_lo
	s_ashr_i32 s7, s6, 31
	s_delay_alu instid0(SALU_CYCLE_1) | instskip(NEXT) | instid1(SALU_CYCLE_1)
	s_lshl_b64 s[4:5], s[6:7], 1
	v_add_co_u32 v1, vcc_lo, v1, s4
	v_add_co_ci_u32_e32 v2, vcc_lo, s5, v3, vcc_lo
	s_clause 0x1
	global_load_u16 v43, v[5:6], off
	global_load_u16 v44, v[1:2], off
	ds_load_b128 v[5:8], v45 offset:512
	ds_load_b128 v[9:12], v45 offset:528
	s_waitcnt vmcnt(31) lgkmcnt(0)
	v_fma_mix_f32 v1, v5, v21, v4 op_sel_hi:[0,1,0]
	s_waitcnt vmcnt(30)
	s_delay_alu instid0(VALU_DEP_1) | instskip(SKIP_1) | instid1(VALU_DEP_1)
	v_fma_mix_f32 v1, v6, v22, v1 op_sel_hi:[0,1,0]
	s_waitcnt vmcnt(29)
	v_fma_mix_f32 v1, v7, v23, v1 op_sel_hi:[0,1,0]
	s_waitcnt vmcnt(28)
	s_delay_alu instid0(VALU_DEP_1) | instskip(SKIP_1) | instid1(VALU_DEP_1)
	v_fma_mix_f32 v1, v8, v24, v1 op_sel_hi:[0,1,0]
	s_waitcnt vmcnt(27)
	v_fma_mix_f32 v5, v9, v25, v1 op_sel_hi:[0,1,0]
	ds_load_b128 v[1:4], v45 offset:544
	s_waitcnt vmcnt(26)
	v_fma_mix_f32 v5, v10, v26, v5 op_sel_hi:[0,1,0]
	s_waitcnt vmcnt(25)
	s_delay_alu instid0(VALU_DEP_1) | instskip(SKIP_1) | instid1(VALU_DEP_1)
	v_fma_mix_f32 v5, v11, v27, v5 op_sel_hi:[0,1,0]
	s_waitcnt vmcnt(24)
	v_fma_mix_f32 v9, v12, v28, v5 op_sel_hi:[0,1,0]
	ds_load_b128 v[5:8], v45 offset:560
	s_waitcnt vmcnt(23) lgkmcnt(1)
	v_fma_mix_f32 v1, v1, v29, v9 op_sel_hi:[0,1,0]
	s_waitcnt vmcnt(22)
	s_delay_alu instid0(VALU_DEP_1) | instskip(SKIP_1) | instid1(VALU_DEP_1)
	v_fma_mix_f32 v1, v2, v30, v1 op_sel_hi:[0,1,0]
	s_waitcnt vmcnt(21)
	v_fma_mix_f32 v1, v3, v31, v1 op_sel_hi:[0,1,0]
	s_waitcnt vmcnt(20)
	s_delay_alu instid0(VALU_DEP_1) | instskip(SKIP_1) | instid1(VALU_DEP_1)
	v_fma_mix_f32 v1, v4, v32, v1 op_sel_hi:[0,1,0]
	s_waitcnt vmcnt(19) lgkmcnt(0)
	v_fma_mix_f32 v5, v5, v33, v1 op_sel_hi:[0,1,0]
	ds_load_b128 v[1:4], v45 offset:576
	s_waitcnt vmcnt(18)
	v_fma_mix_f32 v5, v6, v34, v5 op_sel_hi:[0,1,0]
	s_waitcnt vmcnt(17)
	s_delay_alu instid0(VALU_DEP_1) | instskip(SKIP_1) | instid1(VALU_DEP_1)
	v_fma_mix_f32 v5, v7, v17, v5 op_sel_hi:[0,1,0]
	s_waitcnt vmcnt(16)
	v_fma_mix_f32 v9, v8, v18, v5 op_sel_hi:[0,1,0]
	ds_load_b128 v[5:8], v45 offset:592
	s_waitcnt vmcnt(15) lgkmcnt(1)
	v_fma_mix_f32 v1, v1, v19, v9 op_sel_hi:[0,1,0]
	s_waitcnt vmcnt(14)
	s_delay_alu instid0(VALU_DEP_1) | instskip(SKIP_1) | instid1(VALU_DEP_1)
	v_fma_mix_f32 v1, v2, v20, v1 op_sel_hi:[0,1,0]
	s_waitcnt vmcnt(13)
	v_fma_mix_f32 v1, v3, v35, v1 op_sel_hi:[0,1,0]
	s_waitcnt vmcnt(12)
	s_delay_alu instid0(VALU_DEP_1) | instskip(SKIP_1) | instid1(VALU_DEP_1)
	v_fma_mix_f32 v1, v4, v36, v1 op_sel_hi:[0,1,0]
	s_waitcnt vmcnt(11) lgkmcnt(0)
	;; [unrolled: 21-line block ×3, first 2 shown]
	v_fma_mix_f32 v1, v5, v41, v1 op_sel_hi:[0,1,0]
	s_waitcnt vmcnt(2)
	s_delay_alu instid0(VALU_DEP_1) | instskip(SKIP_1) | instid1(VALU_DEP_1)
	v_fma_mix_f32 v1, v6, v42, v1 op_sel_hi:[0,1,0]
	s_waitcnt vmcnt(1)
	v_fma_mix_f32 v1, v7, v43, v1 op_sel_hi:[0,1,0]
	s_waitcnt vmcnt(0)
	s_delay_alu instid0(VALU_DEP_1)
	v_fma_mix_f32 v4, v8, v44, v1 op_sel_hi:[0,1,0]
	v_mov_b32_e32 v1, 0
	s_and_not1_b32 vcc_lo, exec_lo, s15
	ds_load_b32 v1, v1 offset:640
	s_cbranch_vccz .LBB270_17
	s_branch .LBB270_18
	.section	.rodata,"a",@progbits
	.p2align	6, 0x0
	.amdhsa_kernel _Z35paged_attention_ll4mi_reduce_kernelIDF16_DF16_Li128ELi128ELi256ELi5EEvPT0_PKfS3_PKT_PKiS8_iS3_
		.amdhsa_group_segment_fixed_size 644
		.amdhsa_private_segment_fixed_size 0
		.amdhsa_kernarg_size 320
		.amdhsa_user_sgpr_count 14
		.amdhsa_user_sgpr_dispatch_ptr 0
		.amdhsa_user_sgpr_queue_ptr 0
		.amdhsa_user_sgpr_kernarg_segment_ptr 1
		.amdhsa_user_sgpr_dispatch_id 0
		.amdhsa_user_sgpr_private_segment_size 0
		.amdhsa_wavefront_size32 1
		.amdhsa_uses_dynamic_stack 0
		.amdhsa_enable_private_segment 0
		.amdhsa_system_sgpr_workgroup_id_x 1
		.amdhsa_system_sgpr_workgroup_id_y 1
		.amdhsa_system_sgpr_workgroup_id_z 0
		.amdhsa_system_sgpr_workgroup_info 0
		.amdhsa_system_vgpr_workitem_id 0
		.amdhsa_next_free_vgpr 48
		.amdhsa_next_free_sgpr 52
		.amdhsa_reserve_vcc 1
		.amdhsa_float_round_mode_32 0
		.amdhsa_float_round_mode_16_64 0
		.amdhsa_float_denorm_mode_32 3
		.amdhsa_float_denorm_mode_16_64 3
		.amdhsa_dx10_clamp 1
		.amdhsa_ieee_mode 1
		.amdhsa_fp16_overflow 0
		.amdhsa_workgroup_processor_mode 1
		.amdhsa_memory_ordered 1
		.amdhsa_forward_progress 0
		.amdhsa_shared_vgpr_count 0
		.amdhsa_exception_fp_ieee_invalid_op 0
		.amdhsa_exception_fp_denorm_src 0
		.amdhsa_exception_fp_ieee_div_zero 0
		.amdhsa_exception_fp_ieee_overflow 0
		.amdhsa_exception_fp_ieee_underflow 0
		.amdhsa_exception_fp_ieee_inexact 0
		.amdhsa_exception_int_div_zero 0
	.end_amdhsa_kernel
	.section	.text._Z35paged_attention_ll4mi_reduce_kernelIDF16_DF16_Li128ELi128ELi256ELi5EEvPT0_PKfS3_PKT_PKiS8_iS3_,"axG",@progbits,_Z35paged_attention_ll4mi_reduce_kernelIDF16_DF16_Li128ELi128ELi256ELi5EEvPT0_PKfS3_PKT_PKiS8_iS3_,comdat
.Lfunc_end270:
	.size	_Z35paged_attention_ll4mi_reduce_kernelIDF16_DF16_Li128ELi128ELi256ELi5EEvPT0_PKfS3_PKT_PKiS8_iS3_, .Lfunc_end270-_Z35paged_attention_ll4mi_reduce_kernelIDF16_DF16_Li128ELi128ELi256ELi5EEvPT0_PKfS3_PKT_PKiS8_iS3_
                                        ; -- End function
	.section	.AMDGPU.csdata,"",@progbits
; Kernel info:
; codeLenInByte = 11728
; NumSgprs: 54
; NumVgprs: 48
; ScratchSize: 0
; MemoryBound: 0
; FloatMode: 240
; IeeeMode: 1
; LDSByteSize: 644 bytes/workgroup (compile time only)
; SGPRBlocks: 6
; VGPRBlocks: 5
; NumSGPRsForWavesPerEU: 54
; NumVGPRsForWavesPerEU: 48
; Occupancy: 16
; WaveLimiterHint : 0
; COMPUTE_PGM_RSRC2:SCRATCH_EN: 0
; COMPUTE_PGM_RSRC2:USER_SGPR: 14
; COMPUTE_PGM_RSRC2:TRAP_HANDLER: 0
; COMPUTE_PGM_RSRC2:TGID_X_EN: 1
; COMPUTE_PGM_RSRC2:TGID_Y_EN: 1
; COMPUTE_PGM_RSRC2:TGID_Z_EN: 0
; COMPUTE_PGM_RSRC2:TIDIG_COMP_CNT: 0
	.section	.text._Z35paged_attention_ll4mi_reduce_kernelIDF16_DF16_Li128ELi128ELi256ELi6EEvPT0_PKfS3_PKT_PKiS8_iS3_,"axG",@progbits,_Z35paged_attention_ll4mi_reduce_kernelIDF16_DF16_Li128ELi128ELi256ELi6EEvPT0_PKfS3_PKT_PKiS8_iS3_,comdat
	.protected	_Z35paged_attention_ll4mi_reduce_kernelIDF16_DF16_Li128ELi128ELi256ELi6EEvPT0_PKfS3_PKT_PKiS8_iS3_ ; -- Begin function _Z35paged_attention_ll4mi_reduce_kernelIDF16_DF16_Li128ELi128ELi256ELi6EEvPT0_PKfS3_PKT_PKiS8_iS3_
	.globl	_Z35paged_attention_ll4mi_reduce_kernelIDF16_DF16_Li128ELi128ELi256ELi6EEvPT0_PKfS3_PKT_PKiS8_iS3_
	.p2align	8
	.type	_Z35paged_attention_ll4mi_reduce_kernelIDF16_DF16_Li128ELi128ELi256ELi6EEvPT0_PKfS3_PKT_PKiS8_iS3_,@function
_Z35paged_attention_ll4mi_reduce_kernelIDF16_DF16_Li128ELi128ELi256ELi6EEvPT0_PKfS3_PKT_PKiS8_iS3_: ; @_Z35paged_attention_ll4mi_reduce_kernelIDF16_DF16_Li128ELi128ELi256ELi6EEvPT0_PKfS3_PKT_PKiS8_iS3_
; %bb.0:
	s_load_b64 s[12:13], s[0:1], 0x28
	s_mov_b32 s2, s15
	s_waitcnt lgkmcnt(0)
	s_cmp_lg_u64 s[12:13], 0
	s_cselect_b32 s15, -1, 0
	s_delay_alu instid0(SALU_CYCLE_1)
	s_and_b32 vcc_lo, exec_lo, s15
	s_cbranch_vccz .LBB271_20
; %bb.1:
	s_add_i32 s4, s2, 1
	s_mov_b32 s5, 0
	s_delay_alu instid0(SALU_CYCLE_1) | instskip(SKIP_4) | instid1(SALU_CYCLE_1)
	s_lshl_b64 s[6:7], s[4:5], 2
	s_mov_b32 s3, s5
	s_add_u32 s6, s12, s6
	s_addc_u32 s7, s13, s7
	s_lshl_b64 s[8:9], s[2:3], 2
	s_add_u32 s8, s12, s8
	s_addc_u32 s9, s13, s9
	s_clause 0x1
	s_load_b32 s4, s[6:7], 0x0
	s_load_b32 s6, s[8:9], 0x0
	s_waitcnt lgkmcnt(0)
	s_sub_i32 s4, s4, s6
	s_delay_alu instid0(SALU_CYCLE_1)
	s_cmp_eq_u32 s4, 1
	s_cselect_b32 s4, -1, 0
	s_cbranch_execnz .LBB271_3
.LBB271_2:
	s_mov_b32 s3, 0
	s_mov_b32 s4, -1
.LBB271_3:
	s_delay_alu instid0(SALU_CYCLE_1)
	s_and_not1_b32 vcc_lo, exec_lo, s4
	s_cbranch_vccz .LBB271_5
; %bb.4:
	s_endpgm
.LBB271_5:
	s_clause 0x1
	s_load_b128 s[4:7], s[0:1], 0x18
	s_load_b32 s9, s[0:1], 0x30
	s_lshl_b64 s[16:17], s[2:3], 2
	s_waitcnt lgkmcnt(0)
	s_add_u32 s6, s6, s16
	s_addc_u32 s7, s7, s17
	s_load_b32 s22, s[6:7], 0x0
	s_load_b32 s33, s[0:1], 0x40
	s_mul_i32 s7, s2, s9
	s_waitcnt lgkmcnt(0)
	s_add_i32 s48, s22, 0xff
	s_delay_alu instid0(SALU_CYCLE_1) | instskip(NEXT) | instid1(SALU_CYCLE_1)
	s_ashr_i32 s6, s48, 31
	s_lshr_b32 s6, s6, 24
	s_delay_alu instid0(SALU_CYCLE_1) | instskip(SKIP_4) | instid1(SALU_CYCLE_1)
	s_add_i32 s8, s48, s6
	s_mul_i32 s6, s14, s9
	s_mov_b32 s9, exec_lo
	v_cmpx_lt_u32_e32 31, v0
	s_xor_b32 s9, exec_lo, s9
	s_or_saveexec_b32 s24, s9
	v_mov_b32_e32 v1, s6
	s_ashr_i32 s23, s8, 8
	s_mul_i32 s18, s7, s33
	s_xor_b32 exec_lo, exec_lo, s24
	s_cbranch_execz .LBB271_9
; %bb.6:
	s_load_b128 s[8:11], s[0:1], 0x8
	v_or_b32_e32 v2, 32, v0
	v_cmp_gt_i32_e32 vcc_lo, s23, v0
	s_add_i32 s25, s23, -1
	v_or_b32_e32 v4, 64, v0
	v_or_b32_e32 v6, 0x60, v0
	;; [unrolled: 1-line block ×3, first 2 shown]
	v_cndmask_b32_e32 v1, s25, v0, vcc_lo
	v_cmp_gt_i32_e32 vcc_lo, s23, v2
	s_mov_b32 s19, 0
	v_or_b32_e32 v14, 0xa0, v0
	s_lshl_b64 s[20:21], s[18:19], 2
	s_mov_b32 s7, s19
	v_cndmask_b32_e32 v3, s25, v2, vcc_lo
	v_cmp_gt_i32_e32 vcc_lo, s23, v4
	v_ashrrev_i32_e32 v2, 31, v1
	v_cndmask_b32_e32 v5, s25, v4, vcc_lo
	v_cmp_gt_i32_e32 vcc_lo, s23, v6
	v_ashrrev_i32_e32 v4, 31, v3
	s_delay_alu instid0(VALU_DEP_4)
	v_lshlrev_b64 v[1:2], 2, v[1:2]
	s_waitcnt lgkmcnt(0)
	s_add_u32 s19, s10, s20
	s_addc_u32 s26, s11, s21
	v_cndmask_b32_e32 v7, s25, v6, vcc_lo
	v_cmp_gt_i32_e32 vcc_lo, s23, v8
	s_lshl_b64 s[10:11], s[6:7], 2
	v_lshlrev_b64 v[3:4], 2, v[3:4]
	s_add_u32 s7, s19, s10
	s_addc_u32 s19, s26, s11
	v_cndmask_b32_e32 v9, s25, v8, vcc_lo
	v_add_co_u32 v10, vcc_lo, s7, v1
	v_add_co_ci_u32_e32 v11, vcc_lo, s19, v2, vcc_lo
	v_add_co_u32 v12, vcc_lo, s7, v3
	v_add_co_ci_u32_e32 v13, vcc_lo, s19, v4, vcc_lo
	v_cmp_gt_i32_e32 vcc_lo, s23, v14
	v_ashrrev_i32_e32 v6, 31, v5
	v_ashrrev_i32_e32 v8, 31, v7
	s_clause 0x1
	global_load_b32 v22, v[10:11], off
	global_load_b32 v23, v[12:13], off
	v_ashrrev_i32_e32 v10, 31, v9
	v_cndmask_b32_e32 v14, s25, v14, vcc_lo
	v_lshlrev_b64 v[5:6], 2, v[5:6]
	v_lshlrev_b64 v[7:8], 2, v[7:8]
	s_delay_alu instid0(VALU_DEP_4) | instskip(NEXT) | instid1(VALU_DEP_4)
	v_lshlrev_b64 v[9:10], 2, v[9:10]
	v_ashrrev_i32_e32 v15, 31, v14
	s_delay_alu instid0(VALU_DEP_4) | instskip(SKIP_2) | instid1(VALU_DEP_4)
	v_add_co_u32 v11, vcc_lo, s7, v5
	v_add_co_ci_u32_e32 v12, vcc_lo, s19, v6, vcc_lo
	v_add_co_u32 v16, vcc_lo, s7, v7
	v_lshlrev_b64 v[13:14], 2, v[14:15]
	v_add_co_ci_u32_e32 v17, vcc_lo, s19, v8, vcc_lo
	v_add_co_u32 v18, vcc_lo, s7, v9
	v_add_co_ci_u32_e32 v19, vcc_lo, s19, v10, vcc_lo
	s_delay_alu instid0(VALU_DEP_4)
	v_add_co_u32 v20, vcc_lo, s7, v13
	v_add_co_ci_u32_e32 v21, vcc_lo, s19, v14, vcc_lo
	s_clause 0x3
	global_load_b32 v11, v[11:12], off
	global_load_b32 v12, v[16:17], off
	;; [unrolled: 1-line block ×4, first 2 shown]
	s_add_u32 s7, s8, s20
	s_addc_u32 s8, s9, s21
	s_add_u32 s7, s7, s10
	s_addc_u32 s8, s8, s11
	v_add_co_u32 v1, vcc_lo, s7, v1
	v_add_co_ci_u32_e32 v2, vcc_lo, s8, v2, vcc_lo
	v_add_co_u32 v3, vcc_lo, s7, v3
	v_add_co_ci_u32_e32 v4, vcc_lo, s8, v4, vcc_lo
	;; [unrolled: 2-line block ×4, first 2 shown]
	s_clause 0x3
	global_load_b32 v17, v[1:2], off
	global_load_b32 v3, v[3:4], off
	;; [unrolled: 1-line block ×4, first 2 shown]
	v_add_co_u32 v1, vcc_lo, s7, v9
	v_add_co_ci_u32_e32 v2, vcc_lo, s8, v10, vcc_lo
	global_load_b32 v6, v[1:2], off
	v_add_co_u32 v1, vcc_lo, s7, v13
	v_add_co_ci_u32_e32 v2, vcc_lo, s8, v14, vcc_lo
	s_mov_b32 s7, exec_lo
	global_load_b32 v7, v[1:2], off
	v_mbcnt_lo_u32_b32 v1, -1, 0
	s_delay_alu instid0(VALU_DEP_1)
	v_xor_b32_e32 v9, 16, v1
	v_xor_b32_e32 v10, 8, v1
	;; [unrolled: 1-line block ×5, first 2 shown]
	v_cmp_gt_i32_e32 vcc_lo, 32, v9
	s_waitcnt vmcnt(11)
	v_max_f32_e32 v8, v22, v22
	s_waitcnt vmcnt(10)
	v_max_f32_e32 v2, v23, v23
	s_delay_alu instid0(VALU_DEP_1) | instskip(SKIP_2) | instid1(VALU_DEP_2)
	v_max_f32_e32 v2, v8, v2
	v_cndmask_b32_e32 v8, v1, v9, vcc_lo
	v_cmp_gt_i32_e32 vcc_lo, 32, v10
	v_lshlrev_b32_e32 v8, 2, v8
	v_cndmask_b32_e32 v10, v1, v10, vcc_lo
	v_cmp_gt_i32_e32 vcc_lo, 32, v13
	v_cndmask_b32_e32 v13, v1, v13, vcc_lo
	v_cmp_gt_i32_e32 vcc_lo, 32, v14
	s_waitcnt vmcnt(8)
	v_max3_f32 v2, v2, v11, v12
	v_cndmask_b32_e32 v14, v1, v14, vcc_lo
	v_cmp_gt_i32_e32 vcc_lo, 32, v18
	s_waitcnt vmcnt(6)
	s_delay_alu instid0(VALU_DEP_3) | instskip(NEXT) | instid1(VALU_DEP_3)
	v_max3_f32 v2, v2, v15, v16
	v_lshlrev_b32_e32 v14, 2, v14
	v_lshlrev_b32_e32 v13, 2, v13
	v_lshlrev_b32_e32 v10, 2, v10
	v_cndmask_b32_e32 v1, v1, v18, vcc_lo
	ds_bpermute_b32 v9, v8, v2
	v_lshlrev_b32_e32 v18, 2, v1
	s_waitcnt lgkmcnt(0)
	v_max_f32_e32 v9, v9, v9
	s_delay_alu instid0(VALU_DEP_1) | instskip(SKIP_3) | instid1(VALU_DEP_1)
	v_max_f32_e32 v2, v2, v9
	ds_bpermute_b32 v9, v10, v2
	s_waitcnt lgkmcnt(0)
	v_max_f32_e32 v9, v9, v9
	v_max_f32_e32 v2, v2, v9
	ds_bpermute_b32 v9, v13, v2
	s_waitcnt lgkmcnt(0)
	v_max_f32_e32 v9, v9, v9
	s_delay_alu instid0(VALU_DEP_1) | instskip(SKIP_3) | instid1(VALU_DEP_1)
	v_max_f32_e32 v2, v2, v9
	ds_bpermute_b32 v9, v14, v2
	s_waitcnt lgkmcnt(0)
	v_max_f32_e32 v9, v9, v9
	v_max_f32_e32 v1, v2, v9
	ds_bpermute_b32 v2, v18, v1
	s_waitcnt lgkmcnt(0)
	v_max_f32_e32 v2, v2, v2
	s_delay_alu instid0(VALU_DEP_1) | instskip(SKIP_1) | instid1(VALU_DEP_2)
	v_max_f32_e32 v1, v1, v2
	v_sub_nc_u32_e32 v2, s23, v0
	v_sub_f32_e32 v19, v23, v1
	v_sub_f32_e32 v12, v12, v1
	;; [unrolled: 1-line block ×3, first 2 shown]
	s_delay_alu instid0(VALU_DEP_2) | instskip(NEXT) | instid1(VALU_DEP_2)
	v_dual_sub_f32 v11, v11, v1 :: v_dual_mul_f32 v22, 0x3fb8aa3b, v12
	v_cmp_ngt_f32_e32 vcc_lo, 0xc2ce8ed0, v9
	s_delay_alu instid0(VALU_DEP_2) | instskip(SKIP_3) | instid1(VALU_DEP_1)
	v_rndne_f32_e32 v32, v22
	v_sub_f32_e32 v15, v15, v1
	v_sub_f32_e32 v1, v16, v1
	v_mul_f32_e32 v16, 0x3fb8aa3b, v9
	v_rndne_f32_e32 v26, v16
	v_fma_f32 v25, 0x3fb8aa3b, v9, -v16
	s_delay_alu instid0(VALU_DEP_2) | instskip(SKIP_2) | instid1(VALU_DEP_2)
	v_sub_f32_e32 v16, v16, v26
	v_mul_f32_e32 v20, 0x3fb8aa3b, v19
	v_cvt_i32_f32_e32 v26, v26
	v_fma_f32 v27, 0x3fb8aa3b, v19, -v20
	v_rndne_f32_e32 v28, v20
	s_delay_alu instid0(VALU_DEP_2) | instskip(SKIP_1) | instid1(VALU_DEP_3)
	v_fmac_f32_e32 v27, 0x32a5705f, v19
	v_fma_f32 v31, 0x3fb8aa3b, v12, -v22
	v_sub_f32_e32 v20, v20, v28
	v_dual_sub_f32 v22, v22, v32 :: v_dual_mul_f32 v23, 0x3fb8aa3b, v15
	v_mul_f32_e32 v21, 0x3fb8aa3b, v11
	s_delay_alu instid0(VALU_DEP_3) | instskip(SKIP_1) | instid1(VALU_DEP_4)
	v_dual_fmac_f32 v31, 0x32a5705f, v12 :: v_dual_add_f32 v20, v20, v27
	v_cvt_i32_f32_e32 v28, v28
	v_rndne_f32_e32 v34, v23
	s_delay_alu instid0(VALU_DEP_4) | instskip(NEXT) | instid1(VALU_DEP_4)
	v_fma_f32 v29, 0x3fb8aa3b, v11, -v21
	v_add_f32_e32 v22, v22, v31
	v_mul_f32_e32 v24, 0x3fb8aa3b, v1
	v_fma_f32 v33, 0x3fb8aa3b, v15, -v23
	v_sub_f32_e32 v23, v23, v34
	v_exp_f32_e32 v20, v20
	v_rndne_f32_e32 v30, v21
	v_rndne_f32_e32 v36, v24
	v_fmac_f32_e32 v25, 0x32a5705f, v9
	v_fma_f32 v35, 0x3fb8aa3b, v1, -v24
	v_exp_f32_e32 v22, v22
	s_delay_alu instid0(VALU_DEP_3) | instskip(NEXT) | instid1(VALU_DEP_3)
	v_dual_sub_f32 v21, v21, v30 :: v_dual_sub_f32 v24, v24, v36
	v_dual_fmac_f32 v29, 0x32a5705f, v11 :: v_dual_add_f32 v16, v16, v25
	s_delay_alu instid0(TRANS32_DEP_2)
	v_ldexp_f32 v20, v20, v28
	v_cvt_i32_f32_e32 v25, v30
	v_cvt_i32_f32_e32 v27, v32
	;; [unrolled: 1-line block ×3, first 2 shown]
	v_exp_f32_e32 v16, v16
	s_delay_alu instid0(TRANS32_DEP_2) | instid1(VALU_DEP_2)
	v_ldexp_f32 v22, v22, v27
	s_waitcnt_depctr 0xfff
	v_ldexp_f32 v16, v16, v26
	s_delay_alu instid0(VALU_DEP_1) | instskip(SKIP_2) | instid1(VALU_DEP_1)
	v_dual_fmac_f32 v33, 0x32a5705f, v15 :: v_dual_cndmask_b32 v16, 0, v16
	v_cmp_ngt_f32_e32 vcc_lo, 0xc2ce8ed0, v19
	v_dual_fmac_f32 v35, 0x32a5705f, v1 :: v_dual_cndmask_b32 v20, 0, v20
	v_dual_add_f32 v21, v21, v29 :: v_dual_add_f32 v24, v24, v35
	v_cmp_ngt_f32_e32 vcc_lo, 0xc2ce8ed0, v11
	v_cvt_i32_f32_e32 v29, v34
	s_delay_alu instid0(VALU_DEP_3) | instskip(NEXT) | instid1(VALU_DEP_3)
	v_exp_f32_e32 v21, v21
	v_exp_f32_e32 v24, v24
	s_waitcnt_depctr 0xfff
	v_ldexp_f32 v21, v21, v25
	s_delay_alu instid0(VALU_DEP_1) | instskip(SKIP_2) | instid1(VALU_DEP_1)
	v_cndmask_b32_e32 v21, 0, v21, vcc_lo
	v_cmp_ngt_f32_e32 vcc_lo, 0xc2ce8ed0, v12
	v_dual_add_f32 v23, v23, v33 :: v_dual_cndmask_b32 v22, 0, v22
	v_exp_f32_e32 v23, v23
	v_cmp_ngt_f32_e32 vcc_lo, 0xc2ce8ed0, v15
	s_waitcnt_depctr 0xfff
	v_ldexp_f32 v23, v23, v29
	s_delay_alu instid0(VALU_DEP_1)
	v_cndmask_b32_e32 v23, 0, v23, vcc_lo
	v_cmp_nlt_f32_e32 vcc_lo, 0x42b17218, v9
	v_cndmask_b32_e32 v9, 0x7f800000, v16, vcc_lo
	v_cmp_nlt_f32_e32 vcc_lo, 0x42b17218, v19
	;; [unrolled: 2-line block ×4, first 2 shown]
	v_cndmask_b32_e32 v12, 0x7f800000, v22, vcc_lo
	v_cmp_lt_i32_e32 vcc_lo, 0, v2
	v_cndmask_b32_e32 v9, 0, v9, vcc_lo
	v_cmp_lt_i32_e32 vcc_lo, 32, v2
	s_waitcnt vmcnt(5)
	s_delay_alu instid0(VALU_DEP_2) | instskip(SKIP_2) | instid1(VALU_DEP_2)
	v_dual_mul_f32 v9, v17, v9 :: v_dual_cndmask_b32 v16, 0, v16
	v_cmp_lt_i32_e32 vcc_lo, 64, v2
	s_waitcnt vmcnt(4)
	v_mul_f32_e32 v3, v3, v16
	v_cndmask_b32_e32 v11, 0, v11, vcc_lo
	v_cmp_lt_i32_e32 vcc_lo, 0x60, v2
	s_waitcnt vmcnt(3)
	s_delay_alu instid0(VALU_DEP_2)
	v_mul_f32_e32 v4, v4, v11
	v_cndmask_b32_e32 v12, 0, v12, vcc_lo
	v_cmp_nlt_f32_e32 vcc_lo, 0x42b17218, v15
	v_add_f32_e32 v15, v9, v3
	v_cndmask_b32_e32 v11, 0x7f800000, v23, vcc_lo
	v_cmp_lt_i32_e32 vcc_lo, 0x80, v2
	s_delay_alu instid0(VALU_DEP_3) | instskip(NEXT) | instid1(VALU_DEP_3)
	v_add_f32_e32 v15, v15, v4
	v_cndmask_b32_e32 v11, 0, v11, vcc_lo
	s_waitcnt vmcnt(2)
	v_mul_f32_e32 v5, v5, v12
	v_ldexp_f32 v12, v24, v30
	v_cmp_ngt_f32_e32 vcc_lo, 0xc2ce8ed0, v1
	s_waitcnt vmcnt(1)
	s_delay_alu instid0(VALU_DEP_3) | instskip(NEXT) | instid1(VALU_DEP_3)
	v_dual_mul_f32 v6, v6, v11 :: v_dual_add_f32 v11, v15, v5
	v_cndmask_b32_e32 v12, 0, v12, vcc_lo
	v_cmp_nlt_f32_e32 vcc_lo, 0x42b17218, v1
	s_delay_alu instid0(VALU_DEP_2) | instskip(SKIP_1) | instid1(VALU_DEP_2)
	v_cndmask_b32_e32 v1, 0x7f800000, v12, vcc_lo
	v_cmp_lt_i32_e32 vcc_lo, 0xa0, v2
	v_dual_cndmask_b32 v12, 0, v1 :: v_dual_add_f32 v1, v11, v6
	s_waitcnt vmcnt(0)
	s_delay_alu instid0(VALU_DEP_1)
	v_fmac_f32_e32 v1, v7, v12
	v_mul_f32_e32 v7, v7, v12
	ds_bpermute_b32 v2, v8, v1
	v_lshlrev_b32_e32 v8, 2, v0
	ds_store_2addr_b32 v8, v9, v3 offset1:32
	ds_store_2addr_b32 v8, v4, v5 offset0:64 offset1:96
	ds_store_2addr_b32 v8, v6, v7 offset0:128 offset1:160
	s_waitcnt lgkmcnt(3)
	v_add_f32_e32 v1, v1, v2
	ds_bpermute_b32 v2, v10, v1
	s_waitcnt lgkmcnt(0)
	v_add_f32_e32 v1, v1, v2
	ds_bpermute_b32 v2, v13, v1
	;; [unrolled: 3-line block ×4, first 2 shown]
	v_cmpx_eq_u32_e32 0, v0
	s_cbranch_execz .LBB271_8
; %bb.7:
	s_waitcnt lgkmcnt(0)
	v_dual_add_f32 v1, v1, v2 :: v_dual_mov_b32 v2, 0
	ds_store_b32 v2, v1 offset:768
.LBB271_8:
	s_or_b32 exec_lo, exec_lo, s7
	v_mov_b32_e32 v1, s6
.LBB271_9:
	s_or_b32 exec_lo, exec_lo, s24
	s_lshl_b32 s6, s18, 7
	s_mov_b32 s7, 0
	s_waitcnt lgkmcnt(0)
	v_dual_mov_b32 v2, 0 :: v_dual_lshlrev_b32 v1, 7, v1
	s_lshl_b64 s[6:7], s[6:7], 1
	v_lshlrev_b32_e32 v0, 1, v0
	s_add_u32 s34, s4, s6
	s_addc_u32 s35, s5, s7
	s_lshl_b32 s49, s23, 7
	v_lshlrev_b64 v[3:4], 1, v[1:2]
	s_addk_i32 s49, 0xff80
	s_cmpk_lt_i32 s48, 0x100
	v_dual_mov_b32 v30, 0 :: v_dual_mov_b32 v33, 0
	s_cselect_b32 s4, s49, 0
	s_delay_alu instid0(VALU_DEP_2)
	v_add_co_u32 v1, vcc_lo, s34, v3
	s_ashr_i32 s5, s4, 31
	v_add_co_ci_u32_e32 v3, vcc_lo, s35, v4, vcc_lo
	s_lshl_b64 s[4:5], s[4:5], 1
	s_cmpk_lt_i32 s48, 0x200
	v_add_co_u32 v1, vcc_lo, v1, v0
	s_cselect_b32 s6, s49, 0x80
	v_add_co_ci_u32_e32 v3, vcc_lo, 0, v3, vcc_lo
	s_ashr_i32 s7, s6, 31
	s_delay_alu instid0(VALU_DEP_2)
	v_add_co_u32 v4, vcc_lo, v1, s4
	s_lshl_b64 s[6:7], s[6:7], 1
	s_cmpk_lt_i32 s48, 0x300
	v_add_co_ci_u32_e32 v5, vcc_lo, s5, v3, vcc_lo
	s_cselect_b32 s8, s49, 0x100
	v_add_co_u32 v8, vcc_lo, v1, s6
	s_ashr_i32 s9, s8, 31
	v_add_co_ci_u32_e32 v9, vcc_lo, s7, v3, vcc_lo
	s_lshl_b64 s[8:9], s[8:9], 1
	s_cmpk_lt_i32 s48, 0x400
	v_add_co_u32 v10, vcc_lo, v1, s8
	s_cselect_b32 s10, s49, 0x180
	v_add_co_ci_u32_e32 v11, vcc_lo, s9, v3, vcc_lo
	s_ashr_i32 s11, s10, 31
	v_dual_mov_b32 v32, 0 :: v_dual_mov_b32 v35, 0
	s_lshl_b64 s[10:11], s[10:11], 1
	s_cmpk_lt_i32 s48, 0x500
	v_add_co_u32 v12, vcc_lo, v1, s10
	s_cselect_b32 s18, s49, 0x200
	v_add_co_ci_u32_e32 v13, vcc_lo, s11, v3, vcc_lo
	s_ashr_i32 s19, s18, 31
	v_mov_b32_e32 v34, 0
	s_lshl_b64 s[18:19], s[18:19], 1
	s_cmpk_lt_i32 s48, 0x600
	v_add_co_u32 v14, vcc_lo, v1, s18
	s_cselect_b32 s20, s49, 0x280
	v_add_co_ci_u32_e32 v15, vcc_lo, s19, v3, vcc_lo
	s_ashr_i32 s21, s20, 31
	v_mov_b32_e32 v29, 0
	;; [unrolled: 7-line block ×3, first 2 shown]
	s_lshl_b64 s[24:25], s[24:25], 1
	s_cmpk_lt_i32 s48, 0x800
	v_add_co_u32 v18, vcc_lo, v1, s24
	s_cselect_b32 s26, s49, 0x380
	v_add_co_ci_u32_e32 v19, vcc_lo, s25, v3, vcc_lo
	s_ashr_i32 s27, s26, 31
	s_delay_alu instid0(SALU_CYCLE_1)
	s_lshl_b64 s[26:27], s[26:27], 1
	s_cmpk_lt_i32 s48, 0x900
	v_add_co_u32 v20, vcc_lo, v1, s26
	s_cselect_b32 s28, s49, 0x400
	v_add_co_ci_u32_e32 v21, vcc_lo, s27, v3, vcc_lo
	s_ashr_i32 s29, s28, 31
	s_clause 0x7
	global_load_u16 v7, v[4:5], off
	global_load_u16 v8, v[8:9], off
	global_load_u16 v9, v[10:11], off
	global_load_u16 v10, v[12:13], off
	global_load_u16 v11, v[14:15], off
	global_load_u16 v4, v[16:17], off
	global_load_u16 v5, v[18:19], off
	global_load_u16 v6, v[20:21], off
	s_lshl_b64 s[28:29], s[28:29], 1
	s_cmpk_lt_i32 s48, 0xa00
	v_add_co_u32 v12, vcc_lo, v1, s28
	s_cselect_b32 s30, s49, 0x480
	v_add_co_ci_u32_e32 v13, vcc_lo, s29, v3, vcc_lo
	s_ashr_i32 s31, s30, 31
	s_delay_alu instid0(SALU_CYCLE_1)
	s_lshl_b64 s[30:31], s[30:31], 1
	s_cmpk_lt_i32 s48, 0xb00
	v_add_co_u32 v15, vcc_lo, v1, s30
	s_cselect_b32 s34, s49, 0x500
	v_add_co_ci_u32_e32 v16, vcc_lo, s31, v3, vcc_lo
	s_ashr_i32 s35, s34, 31
	s_delay_alu instid0(SALU_CYCLE_1)
	;; [unrolled: 7-line block ×7, first 2 shown]
	s_lshl_b64 s[4:5], s[6:7], 1
	s_cmpk_gt_i32 s22, 0x1000
	v_add_co_u32 v27, vcc_lo, v1, s4
	v_add_co_ci_u32_e32 v28, vcc_lo, s5, v3, vcc_lo
	s_clause 0x7
	global_load_u16 v14, v[12:13], off
	global_load_u16 v15, v[15:16], off
	;; [unrolled: 1-line block ×8, first 2 shown]
	v_dual_mov_b32 v20, 0 :: v_dual_mov_b32 v23, 0
	v_dual_mov_b32 v21, 0 :: v_dual_mov_b32 v22, 0
	;; [unrolled: 1-line block ×4, first 2 shown]
	v_mov_b32_e32 v28, 0
	s_cselect_b32 s8, -1, 0
	s_cmpk_lt_i32 s22, 0x1001
	s_waitcnt vmcnt(0)
	s_barrier
	buffer_gl0_inv
	s_cbranch_scc1 .LBB271_11
; %bb.10:
	s_cmpk_lt_i32 s48, 0x1100
	s_cselect_b32 s4, s49, 0x800
	s_delay_alu instid0(SALU_CYCLE_1) | instskip(NEXT) | instid1(SALU_CYCLE_1)
	s_ashr_i32 s5, s4, 31
	s_lshl_b64 s[4:5], s[4:5], 1
	s_cmpk_lt_i32 s48, 0x1200
	v_add_co_u32 v20, vcc_lo, v1, s4
	s_cselect_b32 s6, s49, 0x880
	v_add_co_ci_u32_e32 v21, vcc_lo, s5, v3, vcc_lo
	s_ashr_i32 s7, s6, 31
	s_delay_alu instid0(SALU_CYCLE_1)
	s_lshl_b64 s[6:7], s[6:7], 1
	s_cmpk_lt_i32 s48, 0x1300
	v_add_co_u32 v22, vcc_lo, v1, s6
	s_cselect_b32 s10, s49, 0x900
	v_add_co_ci_u32_e32 v23, vcc_lo, s7, v3, vcc_lo
	s_ashr_i32 s11, s10, 31
	s_delay_alu instid0(SALU_CYCLE_1)
	;; [unrolled: 7-line block ×7, first 2 shown]
	s_lshl_b64 s[26:27], s[26:27], 1
	s_cmpk_lt_i32 s48, 0x1900
	v_add_co_u32 v34, vcc_lo, v1, s26
	s_cselect_b32 s28, s49, 0xc00
	v_add_co_ci_u32_e32 v35, vcc_lo, s27, v3, vcc_lo
	s_ashr_i32 s29, s28, 31
	s_clause 0x7
	global_load_u16 v36, v[20:21], off
	global_load_u16 v37, v[22:23], off
	global_load_u16 v38, v[24:25], off
	global_load_u16 v39, v[26:27], off
	global_load_u16 v40, v[28:29], off
	global_load_u16 v41, v[30:31], off
	global_load_u16 v42, v[32:33], off
	global_load_u16 v43, v[34:35], off
	s_lshl_b64 s[28:29], s[28:29], 1
	s_cmpk_lt_i32 s48, 0x1a00
	v_add_co_u32 v20, vcc_lo, v1, s28
	s_cselect_b32 s30, s49, 0xc80
	v_add_co_ci_u32_e32 v21, vcc_lo, s29, v3, vcc_lo
	s_ashr_i32 s31, s30, 31
	s_delay_alu instid0(SALU_CYCLE_1)
	s_lshl_b64 s[30:31], s[30:31], 1
	s_cmpk_lt_i32 s48, 0x1b00
	v_add_co_u32 v22, vcc_lo, v1, s30
	s_cselect_b32 s34, s49, 0xd00
	v_add_co_ci_u32_e32 v23, vcc_lo, s31, v3, vcc_lo
	s_ashr_i32 s35, s34, 31
	s_delay_alu instid0(SALU_CYCLE_1)
	;; [unrolled: 7-line block ×6, first 2 shown]
	s_lshl_b64 s[4:5], s[20:21], 1
	s_cmpk_lt_i32 s48, 0x2000
	v_add_co_u32 v32, vcc_lo, v1, s4
	s_cselect_b32 s6, s49, 0xf80
	v_add_co_ci_u32_e32 v33, vcc_lo, s5, v3, vcc_lo
	s_ashr_i32 s7, s6, 31
	s_delay_alu instid0(SALU_CYCLE_1) | instskip(NEXT) | instid1(SALU_CYCLE_1)
	s_lshl_b64 s[4:5], s[6:7], 1
	v_add_co_u32 v34, vcc_lo, v1, s4
	v_add_co_ci_u32_e32 v35, vcc_lo, s5, v3, vcc_lo
	s_clause 0x7
	global_load_u16 v20, v[20:21], off
	global_load_u16 v21, v[22:23], off
	global_load_u16 v22, v[24:25], off
	global_load_u16 v23, v[26:27], off
	global_load_u16 v44, v[28:29], off
	global_load_u16 v45, v[30:31], off
	global_load_u16 v46, v[32:33], off
	global_load_u16 v47, v[34:35], off
	s_waitcnt vmcnt(15)
	v_cvt_f32_f16_e32 v35, v36
	s_waitcnt vmcnt(14)
	v_cvt_f32_f16_e32 v34, v37
	;; [unrolled: 2-line block ×16, first 2 shown]
.LBB271_11:
	ds_load_b128 v[36:39], v2
	ds_load_b128 v[40:43], v2 offset:16
	s_and_not1_b32 vcc_lo, exec_lo, s8
	s_waitcnt lgkmcnt(1)
	v_fma_mix_f32 v7, v36, v7, 0 op_sel_hi:[0,1,0]
	s_delay_alu instid0(VALU_DEP_1) | instskip(NEXT) | instid1(VALU_DEP_1)
	v_fma_mix_f32 v7, v37, v8, v7 op_sel_hi:[0,1,0]
	v_fma_mix_f32 v7, v38, v9, v7 op_sel_hi:[0,1,0]
	s_delay_alu instid0(VALU_DEP_1)
	v_fma_mix_f32 v7, v39, v10, v7 op_sel_hi:[0,1,0]
	ds_load_b128 v[36:39], v2 offset:48
	s_waitcnt lgkmcnt(1)
	v_fma_mix_f32 v11, v40, v11, v7 op_sel_hi:[0,1,0]
	ds_load_b128 v[7:10], v2 offset:32
	v_fma_mix_f32 v4, v41, v4, v11 op_sel_hi:[0,1,0]
	s_delay_alu instid0(VALU_DEP_1) | instskip(NEXT) | instid1(VALU_DEP_1)
	v_fma_mix_f32 v4, v42, v5, v4 op_sel_hi:[0,1,0]
	v_fma_mix_f32 v4, v43, v6, v4 op_sel_hi:[0,1,0]
	s_waitcnt lgkmcnt(0)
	s_delay_alu instid0(VALU_DEP_1) | instskip(NEXT) | instid1(VALU_DEP_1)
	v_fma_mix_f32 v4, v7, v14, v4 op_sel_hi:[0,1,0]
	v_fma_mix_f32 v4, v8, v15, v4 op_sel_hi:[0,1,0]
	s_delay_alu instid0(VALU_DEP_1) | instskip(NEXT) | instid1(VALU_DEP_1)
	v_fma_mix_f32 v4, v9, v16, v4 op_sel_hi:[0,1,0]
	v_fma_mix_f32 v4, v10, v17, v4 op_sel_hi:[0,1,0]
	;; [unrolled: 3-line block ×4, first 2 shown]
	s_cbranch_vccz .LBB271_21
; %bb.12:
	s_cmpk_lt_i32 s48, 0x2100
	s_cbranch_scc0 .LBB271_22
.LBB271_13:
	s_cmpk_lt_i32 s48, 0x4100
	s_cbranch_scc0 .LBB271_23
.LBB271_14:
	s_cmpk_lt_i32 s48, 0x6100
	s_cbranch_scc0 .LBB271_24
.LBB271_15:
	s_cmp_lt_i32 s48, 0x8100
	s_cbranch_scc0 .LBB271_25
.LBB271_16:
	s_load_b64 s[0:1], s[0:1], 0x0
	s_cmp_lt_i32 s48, 0xa100
	s_cbranch_scc0 .LBB271_26
.LBB271_17:
	v_mov_b32_e32 v1, 0
	s_and_not1_b32 vcc_lo, exec_lo, s15
	ds_load_b32 v1, v1 offset:768
	s_cbranch_vccnz .LBB271_19
.LBB271_18:
	s_add_u32 s2, s12, s16
	s_addc_u32 s3, s13, s17
	s_load_b32 s2, s[2:3], 0x0
	s_mov_b32 s3, 0
.LBB271_19:
	s_waitcnt lgkmcnt(0)
	v_add_f32_e32 v1, 0x358637bd, v1
	s_mul_i32 s3, s33, s3
	s_mul_hi_u32 s4, s33, s2
	s_mul_i32 s2, s33, s2
	s_add_i32 s3, s4, s3
	v_div_scale_f32 v2, null, v1, v1, 1.0
	s_lshl_b64 s[2:3], s[2:3], 8
	s_mov_b32 s15, 0
	s_add_u32 s2, s0, s2
	s_delay_alu instid0(VALU_DEP_1) | instskip(SKIP_2) | instid1(SALU_CYCLE_1)
	v_rcp_f32_e32 v3, v2
	s_addc_u32 s3, s1, s3
	s_lshl_b64 s[0:1], s[14:15], 8
	s_add_u32 s0, s2, s0
	s_addc_u32 s1, s3, s1
	s_waitcnt_depctr 0xfff
	v_fma_f32 v5, -v2, v3, 1.0
	s_delay_alu instid0(VALU_DEP_1) | instskip(SKIP_1) | instid1(VALU_DEP_1)
	v_fmac_f32_e32 v3, v5, v3
	v_div_scale_f32 v5, vcc_lo, 1.0, v1, 1.0
	v_mul_f32_e32 v6, v5, v3
	s_delay_alu instid0(VALU_DEP_1) | instskip(NEXT) | instid1(VALU_DEP_1)
	v_fma_f32 v7, -v2, v6, v5
	v_fmac_f32_e32 v6, v7, v3
	s_delay_alu instid0(VALU_DEP_1) | instskip(NEXT) | instid1(VALU_DEP_1)
	v_fma_f32 v2, -v2, v6, v5
	v_div_fmas_f32 v2, v2, v3, v6
	s_delay_alu instid0(VALU_DEP_1) | instskip(NEXT) | instid1(VALU_DEP_1)
	v_div_fixup_f32 v1, v2, v1, 1.0
	v_fma_mixlo_f16 v1, v4, v1, 0
	global_store_b16 v0, v1, s[0:1]
	s_nop 0
	s_sendmsg sendmsg(MSG_DEALLOC_VGPRS)
	s_endpgm
.LBB271_20:
	s_mov_b32 s4, 0
	s_branch .LBB271_2
.LBB271_21:
	ds_load_b128 v[5:8], v2 offset:64
	ds_load_b128 v[9:12], v2 offset:80
	s_waitcnt lgkmcnt(1)
	v_fmac_f32_e32 v4, v5, v35
	s_delay_alu instid0(VALU_DEP_1) | instskip(NEXT) | instid1(VALU_DEP_1)
	v_fmac_f32_e32 v4, v6, v34
	v_fmac_f32_e32 v4, v7, v33
	s_delay_alu instid0(VALU_DEP_1) | instskip(SKIP_3) | instid1(VALU_DEP_1)
	v_fmac_f32_e32 v4, v8, v32
	ds_load_b128 v[5:8], v2 offset:96
	s_waitcnt lgkmcnt(1)
	v_fmac_f32_e32 v4, v9, v31
	v_fmac_f32_e32 v4, v10, v30
	s_delay_alu instid0(VALU_DEP_1) | instskip(NEXT) | instid1(VALU_DEP_1)
	v_fmac_f32_e32 v4, v11, v29
	v_fmac_f32_e32 v4, v12, v28
	ds_load_b128 v[9:12], v2 offset:112
	s_waitcnt lgkmcnt(1)
	v_fmac_f32_e32 v4, v5, v27
	s_delay_alu instid0(VALU_DEP_1) | instskip(NEXT) | instid1(VALU_DEP_1)
	v_fmac_f32_e32 v4, v6, v26
	v_fmac_f32_e32 v4, v7, v25
	s_delay_alu instid0(VALU_DEP_1) | instskip(SKIP_1) | instid1(VALU_DEP_1)
	v_fmac_f32_e32 v4, v8, v24
	s_waitcnt lgkmcnt(0)
	v_fmac_f32_e32 v4, v9, v23
	s_delay_alu instid0(VALU_DEP_1) | instskip(NEXT) | instid1(VALU_DEP_1)
	v_fmac_f32_e32 v4, v10, v22
	v_fmac_f32_e32 v4, v11, v21
	s_delay_alu instid0(VALU_DEP_1)
	v_fmac_f32_e32 v4, v12, v20
	s_cmpk_lt_i32 s48, 0x2100
	s_cbranch_scc1 .LBB271_13
.LBB271_22:
	s_cmpk_lt_i32 s48, 0x2200
	v_add_co_u32 v5, vcc_lo, 0x2000, v1
	s_cselect_b32 s4, s49, 0x1080
	v_add_co_ci_u32_e32 v6, vcc_lo, 0, v3, vcc_lo
	s_ashr_i32 s5, s4, 31
	v_mov_b32_e32 v44, 0
	s_lshl_b64 s[4:5], s[4:5], 1
	s_cmpk_lt_i32 s48, 0x2300
	v_add_co_u32 v7, vcc_lo, v1, s4
	s_cselect_b32 s6, s49, 0x1100
	v_add_co_ci_u32_e32 v8, vcc_lo, s5, v3, vcc_lo
	s_ashr_i32 s7, s6, 31
	s_delay_alu instid0(SALU_CYCLE_1)
	s_lshl_b64 s[6:7], s[6:7], 1
	s_cmpk_lt_i32 s48, 0x2400
	v_add_co_u32 v9, vcc_lo, v1, s6
	s_cselect_b32 s8, s49, 0x1180
	v_add_co_ci_u32_e32 v10, vcc_lo, s7, v3, vcc_lo
	s_ashr_i32 s9, s8, 31
	s_delay_alu instid0(SALU_CYCLE_1)
	;; [unrolled: 7-line block ×6, first 2 shown]
	s_lshl_b64 s[26:27], s[18:19], 1
	s_cmpk_lt_i32 s48, 0x2900
	v_add_co_u32 v19, vcc_lo, v1, s26
	s_cselect_b32 s18, s49, 0x1400
	v_add_co_ci_u32_e32 v20, vcc_lo, s27, v3, vcc_lo
	s_ashr_i32 s19, s18, 31
	s_clause 0x7
	global_load_u16 v2, v[5:6], off
	global_load_u16 v21, v[7:8], off
	;; [unrolled: 1-line block ×8, first 2 shown]
	s_lshl_b64 s[18:19], s[18:19], 1
	s_cmpk_lt_i32 s48, 0x2a00
	v_add_co_u32 v5, vcc_lo, v1, s18
	s_cselect_b32 s24, s49, 0x1480
	v_add_co_ci_u32_e32 v6, vcc_lo, s19, v3, vcc_lo
	s_ashr_i32 s25, s24, 31
	s_delay_alu instid0(SALU_CYCLE_1)
	s_lshl_b64 s[24:25], s[24:25], 1
	s_cmpk_lt_i32 s48, 0x2b00
	v_add_co_u32 v7, vcc_lo, v1, s24
	s_cselect_b32 s28, s49, 0x1500
	v_add_co_ci_u32_e32 v8, vcc_lo, s25, v3, vcc_lo
	s_ashr_i32 s29, s28, 31
	s_delay_alu instid0(SALU_CYCLE_1)
	;; [unrolled: 7-line block ×7, first 2 shown]
	s_lshl_b64 s[44:45], s[36:37], 1
	s_cmpk_lt_i32 s48, 0x3100
	v_add_co_u32 v19, vcc_lo, v1, s44
	s_cselect_b32 s36, s49, 0x1800
	v_add_co_ci_u32_e32 v20, vcc_lo, s45, v3, vcc_lo
	s_ashr_i32 s37, s36, 31
	s_clause 0x7
	global_load_u16 v28, v[5:6], off
	global_load_u16 v29, v[7:8], off
	;; [unrolled: 1-line block ×8, first 2 shown]
	s_lshl_b64 s[36:37], s[36:37], 1
	s_cmpk_lt_i32 s48, 0x3200
	v_add_co_u32 v5, vcc_lo, v1, s36
	s_cselect_b32 s42, s49, 0x1880
	v_add_co_ci_u32_e32 v6, vcc_lo, s37, v3, vcc_lo
	s_ashr_i32 s43, s42, 31
	s_delay_alu instid0(SALU_CYCLE_1)
	s_lshl_b64 s[42:43], s[42:43], 1
	s_cmpk_lt_i32 s48, 0x3300
	v_add_co_u32 v7, vcc_lo, v1, s42
	s_cselect_b32 s46, s49, 0x1900
	v_add_co_ci_u32_e32 v8, vcc_lo, s43, v3, vcc_lo
	s_ashr_i32 s47, s46, 31
	s_delay_alu instid0(SALU_CYCLE_1)
	;; [unrolled: 7-line block ×5, first 2 shown]
	s_lshl_b64 s[8:9], s[8:9], 1
	s_cmpk_lt_i32 s48, 0x3700
	v_add_co_u32 v15, vcc_lo, v1, s8
	s_cselect_b32 s10, s49, 0x1b00
	v_add_co_ci_u32_e32 v16, vcc_lo, s9, v3, vcc_lo
	s_ashr_i32 s11, s10, 31
	s_clause 0x5
	global_load_u16 v19, v[5:6], off
	global_load_u16 v20, v[7:8], off
	;; [unrolled: 1-line block ×6, first 2 shown]
	s_lshl_b64 s[10:11], s[10:11], 1
	s_cmpk_lt_i32 s48, 0x3800
	v_add_co_u32 v5, vcc_lo, v1, s10
	s_cselect_b32 s18, s49, 0x1b80
	v_add_co_ci_u32_e32 v6, vcc_lo, s11, v3, vcc_lo
	s_ashr_i32 s19, s18, 31
	s_delay_alu instid0(SALU_CYCLE_1)
	s_lshl_b64 s[18:19], s[18:19], 1
	s_cmpk_lt_i32 s48, 0x3900
	v_add_co_u32 v7, vcc_lo, v1, s18
	s_cselect_b32 s20, s49, 0x1c00
	v_add_co_ci_u32_e32 v8, vcc_lo, s19, v3, vcc_lo
	s_ashr_i32 s21, s20, 31
	global_load_u16 v16, v[5:6], off
	s_lshl_b64 s[20:21], s[20:21], 1
	global_load_u16 v37, v[7:8], off
	s_cmpk_lt_i32 s48, 0x3a00
	v_add_co_u32 v9, vcc_lo, v1, s20
	s_cselect_b32 s22, s49, 0x1c80
	v_add_co_ci_u32_e32 v10, vcc_lo, s21, v3, vcc_lo
	s_ashr_i32 s23, s22, 31
	s_delay_alu instid0(SALU_CYCLE_1)
	s_lshl_b64 s[22:23], s[22:23], 1
	s_cmpk_lt_i32 s48, 0x3b00
	v_add_co_u32 v11, vcc_lo, v1, s22
	s_cselect_b32 s4, s49, 0x1d00
	v_add_co_ci_u32_e32 v12, vcc_lo, s23, v3, vcc_lo
	s_ashr_i32 s5, s4, 31
	s_delay_alu instid0(SALU_CYCLE_1)
	s_lshl_b64 s[4:5], s[4:5], 1
	s_cmpk_lt_i32 s48, 0x3c00
	v_add_co_u32 v13, vcc_lo, v1, s4
	s_cselect_b32 s6, s49, 0x1d80
	v_add_co_ci_u32_e32 v14, vcc_lo, s5, v3, vcc_lo
	s_ashr_i32 s7, s6, 31
	s_clause 0x2
	global_load_u16 v38, v[9:10], off
	global_load_u16 v39, v[11:12], off
	global_load_u16 v13, v[13:14], off
	s_lshl_b64 s[6:7], s[6:7], 1
	s_cmpk_lt_i32 s48, 0x3d00
	v_add_co_u32 v5, vcc_lo, v1, s6
	s_cselect_b32 s8, s49, 0x1e00
	v_add_co_ci_u32_e32 v6, vcc_lo, s7, v3, vcc_lo
	s_ashr_i32 s9, s8, 31
	s_delay_alu instid0(SALU_CYCLE_1)
	s_lshl_b64 s[4:5], s[8:9], 1
	s_cmpk_lt_i32 s48, 0x3e00
	v_add_co_u32 v7, vcc_lo, v1, s4
	s_cselect_b32 s8, s49, 0x1e80
	v_add_co_ci_u32_e32 v8, vcc_lo, s5, v3, vcc_lo
	s_ashr_i32 s9, s8, 31
	global_load_u16 v14, v[5:6], off
	s_lshl_b64 s[8:9], s[8:9], 1
	s_cmpk_lt_i32 s48, 0x3f00
	v_add_co_u32 v9, vcc_lo, v1, s8
	s_cselect_b32 s6, s49, 0x1f00
	v_add_co_ci_u32_e32 v10, vcc_lo, s9, v3, vcc_lo
	s_ashr_i32 s7, s6, 31
	s_clause 0x1
	global_load_u16 v40, v[7:8], off
	global_load_u16 v41, v[9:10], off
	s_lshl_b64 s[4:5], s[6:7], 1
	s_cmpk_lt_i32 s48, 0x4000
	v_add_co_u32 v5, vcc_lo, v1, s4
	s_cselect_b32 s6, s49, 0x1f80
	v_add_co_ci_u32_e32 v6, vcc_lo, s5, v3, vcc_lo
	s_ashr_i32 s7, s6, 31
	s_delay_alu instid0(SALU_CYCLE_1) | instskip(NEXT) | instid1(SALU_CYCLE_1)
	s_lshl_b64 s[4:5], s[6:7], 1
	v_add_co_u32 v7, vcc_lo, v1, s4
	v_add_co_ci_u32_e32 v8, vcc_lo, s5, v3, vcc_lo
	s_clause 0x1
	global_load_u16 v42, v[5:6], off
	global_load_u16 v43, v[7:8], off
	ds_load_b128 v[5:8], v44 offset:128
	ds_load_b128 v[9:12], v44 offset:144
	s_waitcnt vmcnt(31) lgkmcnt(1)
	v_fma_mix_f32 v2, v5, v2, v4 op_sel_hi:[0,1,0]
	s_waitcnt vmcnt(30)
	s_delay_alu instid0(VALU_DEP_1) | instskip(SKIP_1) | instid1(VALU_DEP_1)
	v_fma_mix_f32 v2, v6, v21, v2 op_sel_hi:[0,1,0]
	s_waitcnt vmcnt(29)
	v_fma_mix_f32 v2, v7, v22, v2 op_sel_hi:[0,1,0]
	ds_load_b128 v[4:7], v44 offset:160
	s_waitcnt vmcnt(28)
	v_fma_mix_f32 v2, v8, v23, v2 op_sel_hi:[0,1,0]
	s_waitcnt vmcnt(27) lgkmcnt(1)
	s_delay_alu instid0(VALU_DEP_1) | instskip(SKIP_1) | instid1(VALU_DEP_1)
	v_fma_mix_f32 v2, v9, v24, v2 op_sel_hi:[0,1,0]
	s_waitcnt vmcnt(26)
	v_fma_mix_f32 v2, v10, v25, v2 op_sel_hi:[0,1,0]
	s_waitcnt vmcnt(25)
	s_delay_alu instid0(VALU_DEP_1) | instskip(SKIP_4) | instid1(VALU_DEP_1)
	v_fma_mix_f32 v2, v11, v26, v2 op_sel_hi:[0,1,0]
	ds_load_b128 v[8:11], v44 offset:176
	s_waitcnt vmcnt(24)
	v_fma_mix_f32 v2, v12, v27, v2 op_sel_hi:[0,1,0]
	s_waitcnt vmcnt(23) lgkmcnt(1)
	v_fma_mix_f32 v2, v4, v28, v2 op_sel_hi:[0,1,0]
	s_waitcnt vmcnt(22)
	s_delay_alu instid0(VALU_DEP_1) | instskip(SKIP_1) | instid1(VALU_DEP_1)
	v_fma_mix_f32 v2, v5, v29, v2 op_sel_hi:[0,1,0]
	s_waitcnt vmcnt(21)
	v_fma_mix_f32 v2, v6, v30, v2 op_sel_hi:[0,1,0]
	s_waitcnt vmcnt(20)
	s_delay_alu instid0(VALU_DEP_1) | instskip(SKIP_4) | instid1(VALU_DEP_1)
	v_fma_mix_f32 v2, v7, v31, v2 op_sel_hi:[0,1,0]
	ds_load_b128 v[4:7], v44 offset:192
	s_waitcnt vmcnt(19) lgkmcnt(1)
	v_fma_mix_f32 v2, v8, v32, v2 op_sel_hi:[0,1,0]
	s_waitcnt vmcnt(18)
	v_fma_mix_f32 v2, v9, v33, v2 op_sel_hi:[0,1,0]
	s_waitcnt vmcnt(17)
	s_delay_alu instid0(VALU_DEP_1) | instskip(SKIP_1) | instid1(VALU_DEP_1)
	v_fma_mix_f32 v2, v10, v17, v2 op_sel_hi:[0,1,0]
	s_waitcnt vmcnt(16)
	v_fma_mix_f32 v2, v11, v18, v2 op_sel_hi:[0,1,0]
	ds_load_b128 v[8:11], v44 offset:208
	s_waitcnt vmcnt(15) lgkmcnt(1)
	v_fma_mix_f32 v2, v4, v19, v2 op_sel_hi:[0,1,0]
	s_waitcnt vmcnt(14)
	s_delay_alu instid0(VALU_DEP_1) | instskip(SKIP_1) | instid1(VALU_DEP_1)
	v_fma_mix_f32 v2, v5, v20, v2 op_sel_hi:[0,1,0]
	s_waitcnt vmcnt(13)
	v_fma_mix_f32 v2, v6, v34, v2 op_sel_hi:[0,1,0]
	s_waitcnt vmcnt(12)
	s_delay_alu instid0(VALU_DEP_1) | instskip(SKIP_4) | instid1(VALU_DEP_1)
	v_fma_mix_f32 v2, v7, v35, v2 op_sel_hi:[0,1,0]
	ds_load_b128 v[4:7], v44 offset:224
	s_waitcnt vmcnt(11) lgkmcnt(1)
	v_fma_mix_f32 v2, v8, v36, v2 op_sel_hi:[0,1,0]
	s_waitcnt vmcnt(10)
	v_fma_mix_f32 v2, v9, v15, v2 op_sel_hi:[0,1,0]
	s_waitcnt vmcnt(9)
	s_delay_alu instid0(VALU_DEP_1) | instskip(SKIP_1) | instid1(VALU_DEP_1)
	v_fma_mix_f32 v2, v10, v16, v2 op_sel_hi:[0,1,0]
	s_waitcnt vmcnt(8)
	v_fma_mix_f32 v2, v11, v37, v2 op_sel_hi:[0,1,0]
	ds_load_b128 v[8:11], v44 offset:240
	s_waitcnt vmcnt(7) lgkmcnt(1)
	v_fma_mix_f32 v2, v4, v38, v2 op_sel_hi:[0,1,0]
	s_waitcnt vmcnt(6)
	s_delay_alu instid0(VALU_DEP_1) | instskip(SKIP_1) | instid1(VALU_DEP_1)
	v_fma_mix_f32 v2, v5, v39, v2 op_sel_hi:[0,1,0]
	s_waitcnt vmcnt(5)
	v_fma_mix_f32 v2, v6, v13, v2 op_sel_hi:[0,1,0]
	s_waitcnt vmcnt(4)
	s_delay_alu instid0(VALU_DEP_1) | instskip(SKIP_1) | instid1(VALU_DEP_1)
	v_fma_mix_f32 v2, v7, v14, v2 op_sel_hi:[0,1,0]
	s_waitcnt vmcnt(3) lgkmcnt(0)
	v_fma_mix_f32 v2, v8, v40, v2 op_sel_hi:[0,1,0]
	s_waitcnt vmcnt(2)
	s_delay_alu instid0(VALU_DEP_1) | instskip(SKIP_1) | instid1(VALU_DEP_1)
	v_fma_mix_f32 v2, v9, v41, v2 op_sel_hi:[0,1,0]
	s_waitcnt vmcnt(1)
	v_fma_mix_f32 v2, v10, v42, v2 op_sel_hi:[0,1,0]
	s_waitcnt vmcnt(0)
	s_delay_alu instid0(VALU_DEP_1)
	v_fma_mix_f32 v4, v11, v43, v2 op_sel_hi:[0,1,0]
	s_cmpk_lt_i32 s48, 0x4100
	s_cbranch_scc1 .LBB271_14
.LBB271_23:
	s_cmpk_lt_i32 s48, 0x4200
	v_add_co_u32 v5, vcc_lo, 0x4000, v1
	s_cselect_b32 s4, s49, 0x2080
	v_add_co_ci_u32_e32 v6, vcc_lo, 0, v3, vcc_lo
	s_ashr_i32 s5, s4, 31
	v_mov_b32_e32 v44, 0
	s_lshl_b64 s[4:5], s[4:5], 1
	s_cmpk_lt_i32 s48, 0x4300
	v_add_co_u32 v7, vcc_lo, v1, s4
	s_cselect_b32 s6, s49, 0x2100
	v_add_co_ci_u32_e32 v8, vcc_lo, s5, v3, vcc_lo
	s_ashr_i32 s7, s6, 31
	s_delay_alu instid0(SALU_CYCLE_1)
	s_lshl_b64 s[6:7], s[6:7], 1
	s_cmpk_lt_i32 s48, 0x4400
	v_add_co_u32 v9, vcc_lo, v1, s6
	s_cselect_b32 s8, s49, 0x2180
	v_add_co_ci_u32_e32 v10, vcc_lo, s7, v3, vcc_lo
	s_ashr_i32 s9, s8, 31
	s_delay_alu instid0(SALU_CYCLE_1)
	;; [unrolled: 7-line block ×6, first 2 shown]
	s_lshl_b64 s[26:27], s[18:19], 1
	s_cmpk_lt_i32 s48, 0x4900
	v_add_co_u32 v19, vcc_lo, v1, s26
	s_cselect_b32 s18, s49, 0x2400
	v_add_co_ci_u32_e32 v20, vcc_lo, s27, v3, vcc_lo
	s_ashr_i32 s19, s18, 31
	s_clause 0x7
	global_load_u16 v2, v[5:6], off
	global_load_u16 v21, v[7:8], off
	;; [unrolled: 1-line block ×8, first 2 shown]
	s_lshl_b64 s[18:19], s[18:19], 1
	s_cmpk_lt_i32 s48, 0x4a00
	v_add_co_u32 v5, vcc_lo, v1, s18
	s_cselect_b32 s24, s49, 0x2480
	v_add_co_ci_u32_e32 v6, vcc_lo, s19, v3, vcc_lo
	s_ashr_i32 s25, s24, 31
	s_delay_alu instid0(SALU_CYCLE_1)
	s_lshl_b64 s[24:25], s[24:25], 1
	s_cmpk_lt_i32 s48, 0x4b00
	v_add_co_u32 v7, vcc_lo, v1, s24
	s_cselect_b32 s28, s49, 0x2500
	v_add_co_ci_u32_e32 v8, vcc_lo, s25, v3, vcc_lo
	s_ashr_i32 s29, s28, 31
	s_delay_alu instid0(SALU_CYCLE_1)
	;; [unrolled: 7-line block ×7, first 2 shown]
	s_lshl_b64 s[44:45], s[36:37], 1
	s_cmpk_lt_i32 s48, 0x5100
	v_add_co_u32 v19, vcc_lo, v1, s44
	s_cselect_b32 s36, s49, 0x2800
	v_add_co_ci_u32_e32 v20, vcc_lo, s45, v3, vcc_lo
	s_ashr_i32 s37, s36, 31
	s_clause 0x7
	global_load_u16 v28, v[5:6], off
	global_load_u16 v29, v[7:8], off
	;; [unrolled: 1-line block ×8, first 2 shown]
	s_lshl_b64 s[36:37], s[36:37], 1
	s_cmpk_lt_i32 s48, 0x5200
	v_add_co_u32 v5, vcc_lo, v1, s36
	s_cselect_b32 s42, s49, 0x2880
	v_add_co_ci_u32_e32 v6, vcc_lo, s37, v3, vcc_lo
	s_ashr_i32 s43, s42, 31
	s_delay_alu instid0(SALU_CYCLE_1)
	s_lshl_b64 s[42:43], s[42:43], 1
	s_cmpk_lt_i32 s48, 0x5300
	v_add_co_u32 v7, vcc_lo, v1, s42
	s_cselect_b32 s46, s49, 0x2900
	v_add_co_ci_u32_e32 v8, vcc_lo, s43, v3, vcc_lo
	s_ashr_i32 s47, s46, 31
	s_delay_alu instid0(SALU_CYCLE_1)
	;; [unrolled: 7-line block ×5, first 2 shown]
	s_lshl_b64 s[8:9], s[8:9], 1
	s_cmpk_lt_i32 s48, 0x5700
	v_add_co_u32 v15, vcc_lo, v1, s8
	s_cselect_b32 s10, s49, 0x2b00
	v_add_co_ci_u32_e32 v16, vcc_lo, s9, v3, vcc_lo
	s_ashr_i32 s11, s10, 31
	s_clause 0x5
	global_load_u16 v19, v[5:6], off
	global_load_u16 v20, v[7:8], off
	;; [unrolled: 1-line block ×6, first 2 shown]
	s_lshl_b64 s[10:11], s[10:11], 1
	s_cmpk_lt_i32 s48, 0x5800
	v_add_co_u32 v5, vcc_lo, v1, s10
	s_cselect_b32 s18, s49, 0x2b80
	v_add_co_ci_u32_e32 v6, vcc_lo, s11, v3, vcc_lo
	s_ashr_i32 s19, s18, 31
	s_delay_alu instid0(SALU_CYCLE_1)
	s_lshl_b64 s[18:19], s[18:19], 1
	s_cmpk_lt_i32 s48, 0x5900
	v_add_co_u32 v7, vcc_lo, v1, s18
	s_cselect_b32 s20, s49, 0x2c00
	v_add_co_ci_u32_e32 v8, vcc_lo, s19, v3, vcc_lo
	s_ashr_i32 s21, s20, 31
	global_load_u16 v16, v[5:6], off
	s_lshl_b64 s[20:21], s[20:21], 1
	global_load_u16 v37, v[7:8], off
	s_cmpk_lt_i32 s48, 0x5a00
	v_add_co_u32 v9, vcc_lo, v1, s20
	s_cselect_b32 s22, s49, 0x2c80
	v_add_co_ci_u32_e32 v10, vcc_lo, s21, v3, vcc_lo
	s_ashr_i32 s23, s22, 31
	s_delay_alu instid0(SALU_CYCLE_1)
	s_lshl_b64 s[22:23], s[22:23], 1
	s_cmpk_lt_i32 s48, 0x5b00
	v_add_co_u32 v11, vcc_lo, v1, s22
	s_cselect_b32 s4, s49, 0x2d00
	v_add_co_ci_u32_e32 v12, vcc_lo, s23, v3, vcc_lo
	s_ashr_i32 s5, s4, 31
	s_delay_alu instid0(SALU_CYCLE_1)
	s_lshl_b64 s[4:5], s[4:5], 1
	s_cmpk_lt_i32 s48, 0x5c00
	v_add_co_u32 v13, vcc_lo, v1, s4
	s_cselect_b32 s6, s49, 0x2d80
	v_add_co_ci_u32_e32 v14, vcc_lo, s5, v3, vcc_lo
	s_ashr_i32 s7, s6, 31
	s_clause 0x2
	global_load_u16 v38, v[9:10], off
	global_load_u16 v39, v[11:12], off
	;; [unrolled: 1-line block ×3, first 2 shown]
	s_lshl_b64 s[6:7], s[6:7], 1
	s_cmpk_lt_i32 s48, 0x5d00
	v_add_co_u32 v5, vcc_lo, v1, s6
	s_cselect_b32 s8, s49, 0x2e00
	v_add_co_ci_u32_e32 v6, vcc_lo, s7, v3, vcc_lo
	s_ashr_i32 s9, s8, 31
	s_delay_alu instid0(SALU_CYCLE_1)
	s_lshl_b64 s[4:5], s[8:9], 1
	s_cmpk_lt_i32 s48, 0x5e00
	v_add_co_u32 v7, vcc_lo, v1, s4
	s_cselect_b32 s8, s49, 0x2e80
	v_add_co_ci_u32_e32 v8, vcc_lo, s5, v3, vcc_lo
	s_ashr_i32 s9, s8, 31
	global_load_u16 v14, v[5:6], off
	s_lshl_b64 s[8:9], s[8:9], 1
	s_cmpk_lt_i32 s48, 0x5f00
	v_add_co_u32 v9, vcc_lo, v1, s8
	s_cselect_b32 s6, s49, 0x2f00
	v_add_co_ci_u32_e32 v10, vcc_lo, s9, v3, vcc_lo
	s_ashr_i32 s7, s6, 31
	s_clause 0x1
	global_load_u16 v40, v[7:8], off
	global_load_u16 v41, v[9:10], off
	s_lshl_b64 s[4:5], s[6:7], 1
	s_cmpk_lt_i32 s48, 0x6000
	v_add_co_u32 v5, vcc_lo, v1, s4
	s_cselect_b32 s6, s49, 0x2f80
	v_add_co_ci_u32_e32 v6, vcc_lo, s5, v3, vcc_lo
	s_ashr_i32 s7, s6, 31
	s_delay_alu instid0(SALU_CYCLE_1) | instskip(NEXT) | instid1(SALU_CYCLE_1)
	s_lshl_b64 s[4:5], s[6:7], 1
	v_add_co_u32 v7, vcc_lo, v1, s4
	v_add_co_ci_u32_e32 v8, vcc_lo, s5, v3, vcc_lo
	s_clause 0x1
	global_load_u16 v42, v[5:6], off
	global_load_u16 v43, v[7:8], off
	ds_load_b128 v[5:8], v44 offset:256
	ds_load_b128 v[9:12], v44 offset:272
	s_waitcnt vmcnt(31) lgkmcnt(1)
	v_fma_mix_f32 v2, v5, v2, v4 op_sel_hi:[0,1,0]
	s_waitcnt vmcnt(30)
	s_delay_alu instid0(VALU_DEP_1) | instskip(SKIP_1) | instid1(VALU_DEP_1)
	v_fma_mix_f32 v2, v6, v21, v2 op_sel_hi:[0,1,0]
	s_waitcnt vmcnt(29)
	v_fma_mix_f32 v2, v7, v22, v2 op_sel_hi:[0,1,0]
	ds_load_b128 v[4:7], v44 offset:288
	s_waitcnt vmcnt(28)
	v_fma_mix_f32 v2, v8, v23, v2 op_sel_hi:[0,1,0]
	s_waitcnt vmcnt(27) lgkmcnt(1)
	s_delay_alu instid0(VALU_DEP_1) | instskip(SKIP_1) | instid1(VALU_DEP_1)
	v_fma_mix_f32 v2, v9, v24, v2 op_sel_hi:[0,1,0]
	s_waitcnt vmcnt(26)
	v_fma_mix_f32 v2, v10, v25, v2 op_sel_hi:[0,1,0]
	s_waitcnt vmcnt(25)
	s_delay_alu instid0(VALU_DEP_1) | instskip(SKIP_4) | instid1(VALU_DEP_1)
	v_fma_mix_f32 v2, v11, v26, v2 op_sel_hi:[0,1,0]
	ds_load_b128 v[8:11], v44 offset:304
	s_waitcnt vmcnt(24)
	v_fma_mix_f32 v2, v12, v27, v2 op_sel_hi:[0,1,0]
	s_waitcnt vmcnt(23) lgkmcnt(1)
	v_fma_mix_f32 v2, v4, v28, v2 op_sel_hi:[0,1,0]
	s_waitcnt vmcnt(22)
	s_delay_alu instid0(VALU_DEP_1) | instskip(SKIP_1) | instid1(VALU_DEP_1)
	v_fma_mix_f32 v2, v5, v29, v2 op_sel_hi:[0,1,0]
	s_waitcnt vmcnt(21)
	v_fma_mix_f32 v2, v6, v30, v2 op_sel_hi:[0,1,0]
	s_waitcnt vmcnt(20)
	s_delay_alu instid0(VALU_DEP_1) | instskip(SKIP_4) | instid1(VALU_DEP_1)
	v_fma_mix_f32 v2, v7, v31, v2 op_sel_hi:[0,1,0]
	ds_load_b128 v[4:7], v44 offset:320
	s_waitcnt vmcnt(19) lgkmcnt(1)
	v_fma_mix_f32 v2, v8, v32, v2 op_sel_hi:[0,1,0]
	s_waitcnt vmcnt(18)
	v_fma_mix_f32 v2, v9, v33, v2 op_sel_hi:[0,1,0]
	s_waitcnt vmcnt(17)
	s_delay_alu instid0(VALU_DEP_1) | instskip(SKIP_1) | instid1(VALU_DEP_1)
	v_fma_mix_f32 v2, v10, v17, v2 op_sel_hi:[0,1,0]
	s_waitcnt vmcnt(16)
	v_fma_mix_f32 v2, v11, v18, v2 op_sel_hi:[0,1,0]
	ds_load_b128 v[8:11], v44 offset:336
	s_waitcnt vmcnt(15) lgkmcnt(1)
	v_fma_mix_f32 v2, v4, v19, v2 op_sel_hi:[0,1,0]
	s_waitcnt vmcnt(14)
	s_delay_alu instid0(VALU_DEP_1) | instskip(SKIP_1) | instid1(VALU_DEP_1)
	v_fma_mix_f32 v2, v5, v20, v2 op_sel_hi:[0,1,0]
	s_waitcnt vmcnt(13)
	v_fma_mix_f32 v2, v6, v34, v2 op_sel_hi:[0,1,0]
	s_waitcnt vmcnt(12)
	s_delay_alu instid0(VALU_DEP_1) | instskip(SKIP_4) | instid1(VALU_DEP_1)
	v_fma_mix_f32 v2, v7, v35, v2 op_sel_hi:[0,1,0]
	ds_load_b128 v[4:7], v44 offset:352
	s_waitcnt vmcnt(11) lgkmcnt(1)
	v_fma_mix_f32 v2, v8, v36, v2 op_sel_hi:[0,1,0]
	s_waitcnt vmcnt(10)
	v_fma_mix_f32 v2, v9, v15, v2 op_sel_hi:[0,1,0]
	s_waitcnt vmcnt(9)
	s_delay_alu instid0(VALU_DEP_1) | instskip(SKIP_1) | instid1(VALU_DEP_1)
	v_fma_mix_f32 v2, v10, v16, v2 op_sel_hi:[0,1,0]
	s_waitcnt vmcnt(8)
	v_fma_mix_f32 v2, v11, v37, v2 op_sel_hi:[0,1,0]
	ds_load_b128 v[8:11], v44 offset:368
	s_waitcnt vmcnt(7) lgkmcnt(1)
	v_fma_mix_f32 v2, v4, v38, v2 op_sel_hi:[0,1,0]
	s_waitcnt vmcnt(6)
	s_delay_alu instid0(VALU_DEP_1) | instskip(SKIP_1) | instid1(VALU_DEP_1)
	v_fma_mix_f32 v2, v5, v39, v2 op_sel_hi:[0,1,0]
	s_waitcnt vmcnt(5)
	v_fma_mix_f32 v2, v6, v13, v2 op_sel_hi:[0,1,0]
	s_waitcnt vmcnt(4)
	s_delay_alu instid0(VALU_DEP_1) | instskip(SKIP_1) | instid1(VALU_DEP_1)
	v_fma_mix_f32 v2, v7, v14, v2 op_sel_hi:[0,1,0]
	s_waitcnt vmcnt(3) lgkmcnt(0)
	v_fma_mix_f32 v2, v8, v40, v2 op_sel_hi:[0,1,0]
	s_waitcnt vmcnt(2)
	s_delay_alu instid0(VALU_DEP_1) | instskip(SKIP_1) | instid1(VALU_DEP_1)
	v_fma_mix_f32 v2, v9, v41, v2 op_sel_hi:[0,1,0]
	s_waitcnt vmcnt(1)
	v_fma_mix_f32 v2, v10, v42, v2 op_sel_hi:[0,1,0]
	s_waitcnt vmcnt(0)
	s_delay_alu instid0(VALU_DEP_1)
	v_fma_mix_f32 v4, v11, v43, v2 op_sel_hi:[0,1,0]
	s_cmpk_lt_i32 s48, 0x6100
	s_cbranch_scc1 .LBB271_15
.LBB271_24:
	s_cmpk_lt_i32 s48, 0x6200
	v_add_co_u32 v5, vcc_lo, 0x6000, v1
	s_cselect_b32 s4, s49, 0x3080
	v_add_co_ci_u32_e32 v6, vcc_lo, 0, v3, vcc_lo
	s_ashr_i32 s5, s4, 31
	v_mov_b32_e32 v44, 0
	s_lshl_b64 s[4:5], s[4:5], 1
	s_cmpk_lt_i32 s48, 0x6300
	v_add_co_u32 v7, vcc_lo, v1, s4
	s_cselect_b32 s6, s49, 0x3100
	v_add_co_ci_u32_e32 v8, vcc_lo, s5, v3, vcc_lo
	s_ashr_i32 s7, s6, 31
	s_delay_alu instid0(SALU_CYCLE_1)
	s_lshl_b64 s[6:7], s[6:7], 1
	s_cmpk_lt_i32 s48, 0x6400
	v_add_co_u32 v9, vcc_lo, v1, s6
	s_cselect_b32 s8, s49, 0x3180
	v_add_co_ci_u32_e32 v10, vcc_lo, s7, v3, vcc_lo
	s_ashr_i32 s9, s8, 31
	s_delay_alu instid0(SALU_CYCLE_1)
	s_lshl_b64 s[8:9], s[8:9], 1
	s_cmpk_lt_i32 s48, 0x6500
	v_add_co_u32 v11, vcc_lo, v1, s8
	s_cselect_b32 s10, s49, 0x3200
	v_add_co_ci_u32_e32 v12, vcc_lo, s9, v3, vcc_lo
	s_ashr_i32 s11, s10, 31
	s_delay_alu instid0(SALU_CYCLE_1)
	s_lshl_b64 s[10:11], s[10:11], 1
	s_cmpk_lt_i32 s48, 0x6600
	v_add_co_u32 v13, vcc_lo, v1, s10
	s_cselect_b32 s18, s49, 0x3280
	v_add_co_ci_u32_e32 v14, vcc_lo, s11, v3, vcc_lo
	s_ashr_i32 s19, s18, 31
	s_delay_alu instid0(SALU_CYCLE_1)
	s_lshl_b64 s[20:21], s[18:19], 1
	s_cmpk_lt_i32 s48, 0x6700
	v_add_co_u32 v15, vcc_lo, v1, s20
	s_cselect_b32 s18, s49, 0x3300
	v_add_co_ci_u32_e32 v16, vcc_lo, s21, v3, vcc_lo
	s_ashr_i32 s19, s18, 31
	s_delay_alu instid0(SALU_CYCLE_1)
	s_lshl_b64 s[22:23], s[18:19], 1
	s_cmpk_lt_i32 s48, 0x6800
	v_add_co_u32 v17, vcc_lo, v1, s22
	s_cselect_b32 s18, s49, 0x3380
	v_add_co_ci_u32_e32 v18, vcc_lo, s23, v3, vcc_lo
	s_ashr_i32 s19, s18, 31
	s_delay_alu instid0(SALU_CYCLE_1)
	s_lshl_b64 s[26:27], s[18:19], 1
	s_cmpk_lt_i32 s48, 0x6900
	v_add_co_u32 v19, vcc_lo, v1, s26
	s_cselect_b32 s18, s49, 0x3400
	v_add_co_ci_u32_e32 v20, vcc_lo, s27, v3, vcc_lo
	s_ashr_i32 s19, s18, 31
	s_clause 0x7
	global_load_u16 v2, v[5:6], off
	global_load_u16 v21, v[7:8], off
	;; [unrolled: 1-line block ×8, first 2 shown]
	s_lshl_b64 s[18:19], s[18:19], 1
	s_cmpk_lt_i32 s48, 0x6a00
	v_add_co_u32 v5, vcc_lo, v1, s18
	s_cselect_b32 s24, s49, 0x3480
	v_add_co_ci_u32_e32 v6, vcc_lo, s19, v3, vcc_lo
	s_ashr_i32 s25, s24, 31
	s_delay_alu instid0(SALU_CYCLE_1)
	s_lshl_b64 s[24:25], s[24:25], 1
	s_cmpk_lt_i32 s48, 0x6b00
	v_add_co_u32 v7, vcc_lo, v1, s24
	s_cselect_b32 s28, s49, 0x3500
	v_add_co_ci_u32_e32 v8, vcc_lo, s25, v3, vcc_lo
	s_ashr_i32 s29, s28, 31
	s_delay_alu instid0(SALU_CYCLE_1)
	;; [unrolled: 7-line block ×7, first 2 shown]
	s_lshl_b64 s[44:45], s[36:37], 1
	s_cmpk_lt_i32 s48, 0x7100
	v_add_co_u32 v19, vcc_lo, v1, s44
	s_cselect_b32 s36, s49, 0x3800
	v_add_co_ci_u32_e32 v20, vcc_lo, s45, v3, vcc_lo
	s_ashr_i32 s37, s36, 31
	s_clause 0x7
	global_load_u16 v28, v[5:6], off
	global_load_u16 v29, v[7:8], off
	;; [unrolled: 1-line block ×8, first 2 shown]
	s_lshl_b64 s[36:37], s[36:37], 1
	s_cmpk_lt_i32 s48, 0x7200
	v_add_co_u32 v5, vcc_lo, v1, s36
	s_cselect_b32 s42, s49, 0x3880
	v_add_co_ci_u32_e32 v6, vcc_lo, s37, v3, vcc_lo
	s_ashr_i32 s43, s42, 31
	s_delay_alu instid0(SALU_CYCLE_1)
	s_lshl_b64 s[42:43], s[42:43], 1
	s_cmpk_lt_i32 s48, 0x7300
	v_add_co_u32 v7, vcc_lo, v1, s42
	s_cselect_b32 s46, s49, 0x3900
	v_add_co_ci_u32_e32 v8, vcc_lo, s43, v3, vcc_lo
	s_ashr_i32 s47, s46, 31
	s_delay_alu instid0(SALU_CYCLE_1)
	;; [unrolled: 7-line block ×5, first 2 shown]
	s_lshl_b64 s[8:9], s[8:9], 1
	s_cmpk_lt_i32 s48, 0x7700
	v_add_co_u32 v15, vcc_lo, v1, s8
	s_cselect_b32 s10, s49, 0x3b00
	v_add_co_ci_u32_e32 v16, vcc_lo, s9, v3, vcc_lo
	s_ashr_i32 s11, s10, 31
	s_clause 0x5
	global_load_u16 v19, v[5:6], off
	global_load_u16 v20, v[7:8], off
	;; [unrolled: 1-line block ×6, first 2 shown]
	s_lshl_b64 s[10:11], s[10:11], 1
	s_cmpk_lt_i32 s48, 0x7800
	v_add_co_u32 v5, vcc_lo, v1, s10
	s_cselect_b32 s18, s49, 0x3b80
	v_add_co_ci_u32_e32 v6, vcc_lo, s11, v3, vcc_lo
	s_ashr_i32 s19, s18, 31
	s_delay_alu instid0(SALU_CYCLE_1)
	s_lshl_b64 s[18:19], s[18:19], 1
	s_cmpk_lt_i32 s48, 0x7900
	v_add_co_u32 v7, vcc_lo, v1, s18
	s_cselect_b32 s20, s49, 0x3c00
	v_add_co_ci_u32_e32 v8, vcc_lo, s19, v3, vcc_lo
	s_ashr_i32 s21, s20, 31
	global_load_u16 v16, v[5:6], off
	s_lshl_b64 s[20:21], s[20:21], 1
	global_load_u16 v37, v[7:8], off
	s_cmpk_lt_i32 s48, 0x7a00
	v_add_co_u32 v9, vcc_lo, v1, s20
	s_cselect_b32 s22, s49, 0x3c80
	v_add_co_ci_u32_e32 v10, vcc_lo, s21, v3, vcc_lo
	s_ashr_i32 s23, s22, 31
	s_delay_alu instid0(SALU_CYCLE_1)
	s_lshl_b64 s[22:23], s[22:23], 1
	s_cmpk_lt_i32 s48, 0x7b00
	v_add_co_u32 v11, vcc_lo, v1, s22
	s_cselect_b32 s4, s49, 0x3d00
	v_add_co_ci_u32_e32 v12, vcc_lo, s23, v3, vcc_lo
	s_ashr_i32 s5, s4, 31
	s_delay_alu instid0(SALU_CYCLE_1)
	s_lshl_b64 s[4:5], s[4:5], 1
	s_cmpk_lt_i32 s48, 0x7c00
	v_add_co_u32 v13, vcc_lo, v1, s4
	s_cselect_b32 s6, s49, 0x3d80
	v_add_co_ci_u32_e32 v14, vcc_lo, s5, v3, vcc_lo
	s_ashr_i32 s7, s6, 31
	s_clause 0x2
	global_load_u16 v38, v[9:10], off
	global_load_u16 v39, v[11:12], off
	;; [unrolled: 1-line block ×3, first 2 shown]
	s_lshl_b64 s[6:7], s[6:7], 1
	s_cmpk_lt_i32 s48, 0x7d00
	v_add_co_u32 v5, vcc_lo, v1, s6
	s_cselect_b32 s8, s49, 0x3e00
	v_add_co_ci_u32_e32 v6, vcc_lo, s7, v3, vcc_lo
	s_ashr_i32 s9, s8, 31
	s_delay_alu instid0(SALU_CYCLE_1)
	s_lshl_b64 s[4:5], s[8:9], 1
	s_cmpk_lt_i32 s48, 0x7e00
	v_add_co_u32 v7, vcc_lo, v1, s4
	s_cselect_b32 s8, s49, 0x3e80
	v_add_co_ci_u32_e32 v8, vcc_lo, s5, v3, vcc_lo
	s_ashr_i32 s9, s8, 31
	global_load_u16 v14, v[5:6], off
	s_lshl_b64 s[8:9], s[8:9], 1
	s_cmpk_lt_i32 s48, 0x7f00
	v_add_co_u32 v9, vcc_lo, v1, s8
	s_cselect_b32 s6, s49, 0x3f00
	v_add_co_ci_u32_e32 v10, vcc_lo, s9, v3, vcc_lo
	s_ashr_i32 s7, s6, 31
	s_clause 0x1
	global_load_u16 v40, v[7:8], off
	global_load_u16 v41, v[9:10], off
	s_lshl_b64 s[4:5], s[6:7], 1
	s_cmp_lt_i32 s48, 0x8000
	v_add_co_u32 v5, vcc_lo, v1, s4
	s_cselect_b32 s6, s49, 0x3f80
	v_add_co_ci_u32_e32 v6, vcc_lo, s5, v3, vcc_lo
	s_ashr_i32 s7, s6, 31
	s_delay_alu instid0(SALU_CYCLE_1) | instskip(NEXT) | instid1(SALU_CYCLE_1)
	s_lshl_b64 s[4:5], s[6:7], 1
	v_add_co_u32 v7, vcc_lo, v1, s4
	v_add_co_ci_u32_e32 v8, vcc_lo, s5, v3, vcc_lo
	s_clause 0x1
	global_load_u16 v42, v[5:6], off
	global_load_u16 v43, v[7:8], off
	ds_load_b128 v[5:8], v44 offset:384
	ds_load_b128 v[9:12], v44 offset:400
	s_waitcnt vmcnt(31) lgkmcnt(1)
	v_fma_mix_f32 v2, v5, v2, v4 op_sel_hi:[0,1,0]
	s_waitcnt vmcnt(30)
	s_delay_alu instid0(VALU_DEP_1) | instskip(SKIP_1) | instid1(VALU_DEP_1)
	v_fma_mix_f32 v2, v6, v21, v2 op_sel_hi:[0,1,0]
	s_waitcnt vmcnt(29)
	v_fma_mix_f32 v2, v7, v22, v2 op_sel_hi:[0,1,0]
	ds_load_b128 v[4:7], v44 offset:416
	s_waitcnt vmcnt(28)
	v_fma_mix_f32 v2, v8, v23, v2 op_sel_hi:[0,1,0]
	s_waitcnt vmcnt(27) lgkmcnt(1)
	s_delay_alu instid0(VALU_DEP_1) | instskip(SKIP_1) | instid1(VALU_DEP_1)
	v_fma_mix_f32 v2, v9, v24, v2 op_sel_hi:[0,1,0]
	s_waitcnt vmcnt(26)
	v_fma_mix_f32 v2, v10, v25, v2 op_sel_hi:[0,1,0]
	s_waitcnt vmcnt(25)
	s_delay_alu instid0(VALU_DEP_1) | instskip(SKIP_4) | instid1(VALU_DEP_1)
	v_fma_mix_f32 v2, v11, v26, v2 op_sel_hi:[0,1,0]
	ds_load_b128 v[8:11], v44 offset:432
	s_waitcnt vmcnt(24)
	v_fma_mix_f32 v2, v12, v27, v2 op_sel_hi:[0,1,0]
	s_waitcnt vmcnt(23) lgkmcnt(1)
	v_fma_mix_f32 v2, v4, v28, v2 op_sel_hi:[0,1,0]
	s_waitcnt vmcnt(22)
	s_delay_alu instid0(VALU_DEP_1) | instskip(SKIP_1) | instid1(VALU_DEP_1)
	v_fma_mix_f32 v2, v5, v29, v2 op_sel_hi:[0,1,0]
	s_waitcnt vmcnt(21)
	v_fma_mix_f32 v2, v6, v30, v2 op_sel_hi:[0,1,0]
	s_waitcnt vmcnt(20)
	s_delay_alu instid0(VALU_DEP_1) | instskip(SKIP_4) | instid1(VALU_DEP_1)
	v_fma_mix_f32 v2, v7, v31, v2 op_sel_hi:[0,1,0]
	ds_load_b128 v[4:7], v44 offset:448
	s_waitcnt vmcnt(19) lgkmcnt(1)
	v_fma_mix_f32 v2, v8, v32, v2 op_sel_hi:[0,1,0]
	s_waitcnt vmcnt(18)
	v_fma_mix_f32 v2, v9, v33, v2 op_sel_hi:[0,1,0]
	s_waitcnt vmcnt(17)
	s_delay_alu instid0(VALU_DEP_1) | instskip(SKIP_1) | instid1(VALU_DEP_1)
	v_fma_mix_f32 v2, v10, v17, v2 op_sel_hi:[0,1,0]
	s_waitcnt vmcnt(16)
	v_fma_mix_f32 v2, v11, v18, v2 op_sel_hi:[0,1,0]
	ds_load_b128 v[8:11], v44 offset:464
	s_waitcnt vmcnt(15) lgkmcnt(1)
	v_fma_mix_f32 v2, v4, v19, v2 op_sel_hi:[0,1,0]
	s_waitcnt vmcnt(14)
	s_delay_alu instid0(VALU_DEP_1) | instskip(SKIP_1) | instid1(VALU_DEP_1)
	v_fma_mix_f32 v2, v5, v20, v2 op_sel_hi:[0,1,0]
	s_waitcnt vmcnt(13)
	v_fma_mix_f32 v2, v6, v34, v2 op_sel_hi:[0,1,0]
	s_waitcnt vmcnt(12)
	s_delay_alu instid0(VALU_DEP_1) | instskip(SKIP_4) | instid1(VALU_DEP_1)
	v_fma_mix_f32 v2, v7, v35, v2 op_sel_hi:[0,1,0]
	ds_load_b128 v[4:7], v44 offset:480
	s_waitcnt vmcnt(11) lgkmcnt(1)
	v_fma_mix_f32 v2, v8, v36, v2 op_sel_hi:[0,1,0]
	s_waitcnt vmcnt(10)
	v_fma_mix_f32 v2, v9, v15, v2 op_sel_hi:[0,1,0]
	s_waitcnt vmcnt(9)
	s_delay_alu instid0(VALU_DEP_1) | instskip(SKIP_1) | instid1(VALU_DEP_1)
	v_fma_mix_f32 v2, v10, v16, v2 op_sel_hi:[0,1,0]
	s_waitcnt vmcnt(8)
	v_fma_mix_f32 v2, v11, v37, v2 op_sel_hi:[0,1,0]
	ds_load_b128 v[8:11], v44 offset:496
	s_waitcnt vmcnt(7) lgkmcnt(1)
	v_fma_mix_f32 v2, v4, v38, v2 op_sel_hi:[0,1,0]
	s_waitcnt vmcnt(6)
	s_delay_alu instid0(VALU_DEP_1) | instskip(SKIP_1) | instid1(VALU_DEP_1)
	v_fma_mix_f32 v2, v5, v39, v2 op_sel_hi:[0,1,0]
	s_waitcnt vmcnt(5)
	v_fma_mix_f32 v2, v6, v13, v2 op_sel_hi:[0,1,0]
	s_waitcnt vmcnt(4)
	s_delay_alu instid0(VALU_DEP_1) | instskip(SKIP_1) | instid1(VALU_DEP_1)
	v_fma_mix_f32 v2, v7, v14, v2 op_sel_hi:[0,1,0]
	s_waitcnt vmcnt(3) lgkmcnt(0)
	v_fma_mix_f32 v2, v8, v40, v2 op_sel_hi:[0,1,0]
	s_waitcnt vmcnt(2)
	s_delay_alu instid0(VALU_DEP_1) | instskip(SKIP_1) | instid1(VALU_DEP_1)
	v_fma_mix_f32 v2, v9, v41, v2 op_sel_hi:[0,1,0]
	s_waitcnt vmcnt(1)
	v_fma_mix_f32 v2, v10, v42, v2 op_sel_hi:[0,1,0]
	s_waitcnt vmcnt(0)
	s_delay_alu instid0(VALU_DEP_1)
	v_fma_mix_f32 v4, v11, v43, v2 op_sel_hi:[0,1,0]
	s_cmp_lt_i32 s48, 0x8100
	s_cbranch_scc1 .LBB271_16
.LBB271_25:
	s_cmp_lt_i32 s48, 0x8200
	v_add_co_u32 v5, vcc_lo, 0x8000, v1
	s_cselect_b32 s4, s49, 0x4080
	v_add_co_ci_u32_e32 v6, vcc_lo, 0, v3, vcc_lo
	s_ashr_i32 s5, s4, 31
	v_mov_b32_e32 v44, 0
	s_lshl_b64 s[4:5], s[4:5], 1
	s_cmp_lt_i32 s48, 0x8300
	v_add_co_u32 v7, vcc_lo, v1, s4
	s_cselect_b32 s6, s49, 0x4100
	v_add_co_ci_u32_e32 v8, vcc_lo, s5, v3, vcc_lo
	s_ashr_i32 s7, s6, 31
	s_delay_alu instid0(SALU_CYCLE_1)
	s_lshl_b64 s[6:7], s[6:7], 1
	s_cmp_lt_i32 s48, 0x8400
	v_add_co_u32 v9, vcc_lo, v1, s6
	s_cselect_b32 s8, s49, 0x4180
	v_add_co_ci_u32_e32 v10, vcc_lo, s7, v3, vcc_lo
	s_ashr_i32 s9, s8, 31
	s_delay_alu instid0(SALU_CYCLE_1)
	;; [unrolled: 7-line block ×6, first 2 shown]
	s_lshl_b64 s[26:27], s[18:19], 1
	s_cmp_lt_i32 s48, 0x8900
	v_add_co_u32 v19, vcc_lo, v1, s26
	s_cselect_b32 s18, s49, 0x4400
	v_add_co_ci_u32_e32 v20, vcc_lo, s27, v3, vcc_lo
	s_ashr_i32 s19, s18, 31
	s_clause 0x7
	global_load_u16 v2, v[5:6], off
	global_load_u16 v21, v[7:8], off
	;; [unrolled: 1-line block ×8, first 2 shown]
	s_lshl_b64 s[18:19], s[18:19], 1
	s_cmp_lt_i32 s48, 0x8a00
	v_add_co_u32 v5, vcc_lo, v1, s18
	s_cselect_b32 s24, s49, 0x4480
	v_add_co_ci_u32_e32 v6, vcc_lo, s19, v3, vcc_lo
	s_ashr_i32 s25, s24, 31
	s_delay_alu instid0(SALU_CYCLE_1)
	s_lshl_b64 s[24:25], s[24:25], 1
	s_cmp_lt_i32 s48, 0x8b00
	v_add_co_u32 v7, vcc_lo, v1, s24
	s_cselect_b32 s28, s49, 0x4500
	v_add_co_ci_u32_e32 v8, vcc_lo, s25, v3, vcc_lo
	s_ashr_i32 s29, s28, 31
	s_delay_alu instid0(SALU_CYCLE_1)
	s_lshl_b64 s[28:29], s[28:29], 1
	s_cmp_lt_i32 s48, 0x8c00
	v_add_co_u32 v9, vcc_lo, v1, s28
	s_cselect_b32 s30, s49, 0x4580
	v_add_co_ci_u32_e32 v10, vcc_lo, s29, v3, vcc_lo
	s_ashr_i32 s31, s30, 31
	s_delay_alu instid0(SALU_CYCLE_1)
	s_lshl_b64 s[30:31], s[30:31], 1
	s_cmp_lt_i32 s48, 0x8d00
	v_add_co_u32 v11, vcc_lo, v1, s30
	s_cselect_b32 s34, s49, 0x4600
	v_add_co_ci_u32_e32 v12, vcc_lo, s31, v3, vcc_lo
	s_ashr_i32 s35, s34, 31
	s_delay_alu instid0(SALU_CYCLE_1)
	s_lshl_b64 s[34:35], s[34:35], 1
	s_cmp_lt_i32 s48, 0x8e00
	v_add_co_u32 v13, vcc_lo, v1, s34
	s_cselect_b32 s36, s49, 0x4680
	v_add_co_ci_u32_e32 v14, vcc_lo, s35, v3, vcc_lo
	s_ashr_i32 s37, s36, 31
	s_delay_alu instid0(SALU_CYCLE_1)
	s_lshl_b64 s[38:39], s[36:37], 1
	s_cmp_lt_i32 s48, 0x8f00
	v_add_co_u32 v15, vcc_lo, v1, s38
	s_cselect_b32 s36, s49, 0x4700
	v_add_co_ci_u32_e32 v16, vcc_lo, s39, v3, vcc_lo
	s_ashr_i32 s37, s36, 31
	s_delay_alu instid0(SALU_CYCLE_1)
	s_lshl_b64 s[40:41], s[36:37], 1
	s_cmp_lt_i32 s48, 0x9000
	v_add_co_u32 v17, vcc_lo, v1, s40
	s_cselect_b32 s36, s49, 0x4780
	v_add_co_ci_u32_e32 v18, vcc_lo, s41, v3, vcc_lo
	s_ashr_i32 s37, s36, 31
	s_delay_alu instid0(SALU_CYCLE_1)
	s_lshl_b64 s[44:45], s[36:37], 1
	s_cmp_lt_i32 s48, 0x9100
	v_add_co_u32 v19, vcc_lo, v1, s44
	s_cselect_b32 s36, s49, 0x4800
	v_add_co_ci_u32_e32 v20, vcc_lo, s45, v3, vcc_lo
	s_ashr_i32 s37, s36, 31
	s_clause 0x7
	global_load_u16 v28, v[5:6], off
	global_load_u16 v29, v[7:8], off
	;; [unrolled: 1-line block ×8, first 2 shown]
	s_lshl_b64 s[36:37], s[36:37], 1
	s_cmp_lt_i32 s48, 0x9200
	v_add_co_u32 v5, vcc_lo, v1, s36
	s_cselect_b32 s42, s49, 0x4880
	v_add_co_ci_u32_e32 v6, vcc_lo, s37, v3, vcc_lo
	s_ashr_i32 s43, s42, 31
	s_delay_alu instid0(SALU_CYCLE_1)
	s_lshl_b64 s[42:43], s[42:43], 1
	s_cmp_lt_i32 s48, 0x9300
	v_add_co_u32 v7, vcc_lo, v1, s42
	s_cselect_b32 s46, s49, 0x4900
	v_add_co_ci_u32_e32 v8, vcc_lo, s43, v3, vcc_lo
	s_ashr_i32 s47, s46, 31
	s_delay_alu instid0(SALU_CYCLE_1)
	;; [unrolled: 7-line block ×5, first 2 shown]
	s_lshl_b64 s[8:9], s[8:9], 1
	s_cmp_lt_i32 s48, 0x9700
	v_add_co_u32 v15, vcc_lo, v1, s8
	s_cselect_b32 s10, s49, 0x4b00
	v_add_co_ci_u32_e32 v16, vcc_lo, s9, v3, vcc_lo
	s_ashr_i32 s11, s10, 31
	s_clause 0x5
	global_load_u16 v19, v[5:6], off
	global_load_u16 v20, v[7:8], off
	;; [unrolled: 1-line block ×6, first 2 shown]
	s_lshl_b64 s[10:11], s[10:11], 1
	s_cmp_lt_i32 s48, 0x9800
	v_add_co_u32 v5, vcc_lo, v1, s10
	s_cselect_b32 s18, s49, 0x4b80
	v_add_co_ci_u32_e32 v6, vcc_lo, s11, v3, vcc_lo
	s_ashr_i32 s19, s18, 31
	s_delay_alu instid0(SALU_CYCLE_1)
	s_lshl_b64 s[18:19], s[18:19], 1
	s_cmp_lt_i32 s48, 0x9900
	v_add_co_u32 v7, vcc_lo, v1, s18
	s_cselect_b32 s20, s49, 0x4c00
	v_add_co_ci_u32_e32 v8, vcc_lo, s19, v3, vcc_lo
	s_ashr_i32 s21, s20, 31
	global_load_u16 v16, v[5:6], off
	s_lshl_b64 s[20:21], s[20:21], 1
	global_load_u16 v37, v[7:8], off
	s_cmp_lt_i32 s48, 0x9a00
	v_add_co_u32 v9, vcc_lo, v1, s20
	s_cselect_b32 s22, s49, 0x4c80
	v_add_co_ci_u32_e32 v10, vcc_lo, s21, v3, vcc_lo
	s_ashr_i32 s23, s22, 31
	s_delay_alu instid0(SALU_CYCLE_1)
	s_lshl_b64 s[22:23], s[22:23], 1
	s_cmp_lt_i32 s48, 0x9b00
	v_add_co_u32 v11, vcc_lo, v1, s22
	s_cselect_b32 s4, s49, 0x4d00
	v_add_co_ci_u32_e32 v12, vcc_lo, s23, v3, vcc_lo
	s_ashr_i32 s5, s4, 31
	s_delay_alu instid0(SALU_CYCLE_1)
	s_lshl_b64 s[4:5], s[4:5], 1
	s_cmp_lt_i32 s48, 0x9c00
	v_add_co_u32 v13, vcc_lo, v1, s4
	s_cselect_b32 s6, s49, 0x4d80
	v_add_co_ci_u32_e32 v14, vcc_lo, s5, v3, vcc_lo
	s_ashr_i32 s7, s6, 31
	s_clause 0x2
	global_load_u16 v38, v[9:10], off
	global_load_u16 v39, v[11:12], off
	;; [unrolled: 1-line block ×3, first 2 shown]
	s_lshl_b64 s[6:7], s[6:7], 1
	s_cmp_lt_i32 s48, 0x9d00
	v_add_co_u32 v5, vcc_lo, v1, s6
	s_cselect_b32 s8, s49, 0x4e00
	v_add_co_ci_u32_e32 v6, vcc_lo, s7, v3, vcc_lo
	s_ashr_i32 s9, s8, 31
	s_delay_alu instid0(SALU_CYCLE_1)
	s_lshl_b64 s[4:5], s[8:9], 1
	s_cmp_lt_i32 s48, 0x9e00
	v_add_co_u32 v7, vcc_lo, v1, s4
	s_cselect_b32 s8, s49, 0x4e80
	v_add_co_ci_u32_e32 v8, vcc_lo, s5, v3, vcc_lo
	s_ashr_i32 s9, s8, 31
	global_load_u16 v14, v[5:6], off
	s_lshl_b64 s[8:9], s[8:9], 1
	s_cmp_lt_i32 s48, 0x9f00
	v_add_co_u32 v9, vcc_lo, v1, s8
	s_cselect_b32 s6, s49, 0x4f00
	v_add_co_ci_u32_e32 v10, vcc_lo, s9, v3, vcc_lo
	s_ashr_i32 s7, s6, 31
	s_clause 0x1
	global_load_u16 v40, v[7:8], off
	global_load_u16 v41, v[9:10], off
	s_lshl_b64 s[4:5], s[6:7], 1
	s_cmp_lt_i32 s48, 0xa000
	v_add_co_u32 v5, vcc_lo, v1, s4
	s_cselect_b32 s6, s49, 0x4f80
	v_add_co_ci_u32_e32 v6, vcc_lo, s5, v3, vcc_lo
	s_ashr_i32 s7, s6, 31
	s_delay_alu instid0(SALU_CYCLE_1) | instskip(NEXT) | instid1(SALU_CYCLE_1)
	s_lshl_b64 s[4:5], s[6:7], 1
	v_add_co_u32 v7, vcc_lo, v1, s4
	v_add_co_ci_u32_e32 v8, vcc_lo, s5, v3, vcc_lo
	s_clause 0x1
	global_load_u16 v42, v[5:6], off
	global_load_u16 v43, v[7:8], off
	ds_load_b128 v[5:8], v44 offset:512
	ds_load_b128 v[9:12], v44 offset:528
	s_waitcnt vmcnt(31) lgkmcnt(1)
	v_fma_mix_f32 v2, v5, v2, v4 op_sel_hi:[0,1,0]
	s_waitcnt vmcnt(30)
	s_delay_alu instid0(VALU_DEP_1) | instskip(SKIP_1) | instid1(VALU_DEP_1)
	v_fma_mix_f32 v2, v6, v21, v2 op_sel_hi:[0,1,0]
	s_waitcnt vmcnt(29)
	v_fma_mix_f32 v2, v7, v22, v2 op_sel_hi:[0,1,0]
	ds_load_b128 v[4:7], v44 offset:544
	s_waitcnt vmcnt(28)
	v_fma_mix_f32 v2, v8, v23, v2 op_sel_hi:[0,1,0]
	s_waitcnt vmcnt(27) lgkmcnt(1)
	s_delay_alu instid0(VALU_DEP_1) | instskip(SKIP_1) | instid1(VALU_DEP_1)
	v_fma_mix_f32 v2, v9, v24, v2 op_sel_hi:[0,1,0]
	s_waitcnt vmcnt(26)
	v_fma_mix_f32 v2, v10, v25, v2 op_sel_hi:[0,1,0]
	s_waitcnt vmcnt(25)
	s_delay_alu instid0(VALU_DEP_1) | instskip(SKIP_4) | instid1(VALU_DEP_1)
	v_fma_mix_f32 v2, v11, v26, v2 op_sel_hi:[0,1,0]
	ds_load_b128 v[8:11], v44 offset:560
	s_waitcnt vmcnt(24)
	v_fma_mix_f32 v2, v12, v27, v2 op_sel_hi:[0,1,0]
	s_waitcnt vmcnt(23) lgkmcnt(1)
	v_fma_mix_f32 v2, v4, v28, v2 op_sel_hi:[0,1,0]
	s_waitcnt vmcnt(22)
	s_delay_alu instid0(VALU_DEP_1) | instskip(SKIP_1) | instid1(VALU_DEP_1)
	v_fma_mix_f32 v2, v5, v29, v2 op_sel_hi:[0,1,0]
	s_waitcnt vmcnt(21)
	v_fma_mix_f32 v2, v6, v30, v2 op_sel_hi:[0,1,0]
	s_waitcnt vmcnt(20)
	s_delay_alu instid0(VALU_DEP_1) | instskip(SKIP_4) | instid1(VALU_DEP_1)
	v_fma_mix_f32 v2, v7, v31, v2 op_sel_hi:[0,1,0]
	ds_load_b128 v[4:7], v44 offset:576
	s_waitcnt vmcnt(19) lgkmcnt(1)
	v_fma_mix_f32 v2, v8, v32, v2 op_sel_hi:[0,1,0]
	s_waitcnt vmcnt(18)
	v_fma_mix_f32 v2, v9, v33, v2 op_sel_hi:[0,1,0]
	s_waitcnt vmcnt(17)
	s_delay_alu instid0(VALU_DEP_1) | instskip(SKIP_1) | instid1(VALU_DEP_1)
	v_fma_mix_f32 v2, v10, v17, v2 op_sel_hi:[0,1,0]
	s_waitcnt vmcnt(16)
	v_fma_mix_f32 v2, v11, v18, v2 op_sel_hi:[0,1,0]
	ds_load_b128 v[8:11], v44 offset:592
	s_waitcnt vmcnt(15) lgkmcnt(1)
	v_fma_mix_f32 v2, v4, v19, v2 op_sel_hi:[0,1,0]
	s_waitcnt vmcnt(14)
	s_delay_alu instid0(VALU_DEP_1) | instskip(SKIP_1) | instid1(VALU_DEP_1)
	v_fma_mix_f32 v2, v5, v20, v2 op_sel_hi:[0,1,0]
	s_waitcnt vmcnt(13)
	v_fma_mix_f32 v2, v6, v34, v2 op_sel_hi:[0,1,0]
	s_waitcnt vmcnt(12)
	s_delay_alu instid0(VALU_DEP_1) | instskip(SKIP_4) | instid1(VALU_DEP_1)
	v_fma_mix_f32 v2, v7, v35, v2 op_sel_hi:[0,1,0]
	ds_load_b128 v[4:7], v44 offset:608
	s_waitcnt vmcnt(11) lgkmcnt(1)
	v_fma_mix_f32 v2, v8, v36, v2 op_sel_hi:[0,1,0]
	s_waitcnt vmcnt(10)
	v_fma_mix_f32 v2, v9, v15, v2 op_sel_hi:[0,1,0]
	s_waitcnt vmcnt(9)
	s_delay_alu instid0(VALU_DEP_1) | instskip(SKIP_1) | instid1(VALU_DEP_1)
	v_fma_mix_f32 v2, v10, v16, v2 op_sel_hi:[0,1,0]
	s_waitcnt vmcnt(8)
	v_fma_mix_f32 v2, v11, v37, v2 op_sel_hi:[0,1,0]
	ds_load_b128 v[8:11], v44 offset:624
	s_waitcnt vmcnt(7) lgkmcnt(1)
	v_fma_mix_f32 v2, v4, v38, v2 op_sel_hi:[0,1,0]
	s_waitcnt vmcnt(6)
	s_delay_alu instid0(VALU_DEP_1) | instskip(SKIP_1) | instid1(VALU_DEP_1)
	v_fma_mix_f32 v2, v5, v39, v2 op_sel_hi:[0,1,0]
	s_waitcnt vmcnt(5)
	v_fma_mix_f32 v2, v6, v13, v2 op_sel_hi:[0,1,0]
	s_waitcnt vmcnt(4)
	s_delay_alu instid0(VALU_DEP_1) | instskip(SKIP_1) | instid1(VALU_DEP_1)
	v_fma_mix_f32 v2, v7, v14, v2 op_sel_hi:[0,1,0]
	s_waitcnt vmcnt(3) lgkmcnt(0)
	v_fma_mix_f32 v2, v8, v40, v2 op_sel_hi:[0,1,0]
	s_waitcnt vmcnt(2)
	s_delay_alu instid0(VALU_DEP_1) | instskip(SKIP_1) | instid1(VALU_DEP_1)
	v_fma_mix_f32 v2, v9, v41, v2 op_sel_hi:[0,1,0]
	s_waitcnt vmcnt(1)
	v_fma_mix_f32 v2, v10, v42, v2 op_sel_hi:[0,1,0]
	s_waitcnt vmcnt(0)
	s_delay_alu instid0(VALU_DEP_1)
	v_fma_mix_f32 v4, v11, v43, v2 op_sel_hi:[0,1,0]
	s_load_b64 s[0:1], s[0:1], 0x0
	s_cmp_lt_i32 s48, 0xa100
	s_cbranch_scc1 .LBB271_17
.LBB271_26:
	s_cmp_lt_i32 s48, 0xa200
	v_add_co_u32 v5, vcc_lo, 0xa000, v1
	s_cselect_b32 s4, s49, 0x5080
	v_add_co_ci_u32_e32 v6, vcc_lo, 0, v3, vcc_lo
	s_ashr_i32 s5, s4, 31
	v_mov_b32_e32 v45, 0
	s_lshl_b64 s[4:5], s[4:5], 1
	s_cmp_lt_i32 s48, 0xa300
	v_add_co_u32 v7, vcc_lo, v1, s4
	s_cselect_b32 s6, s49, 0x5100
	v_add_co_ci_u32_e32 v8, vcc_lo, s5, v3, vcc_lo
	s_ashr_i32 s7, s6, 31
	s_delay_alu instid0(SALU_CYCLE_1)
	s_lshl_b64 s[6:7], s[6:7], 1
	s_cmp_lt_i32 s48, 0xa400
	v_add_co_u32 v9, vcc_lo, v1, s6
	s_cselect_b32 s8, s49, 0x5180
	v_add_co_ci_u32_e32 v10, vcc_lo, s7, v3, vcc_lo
	s_ashr_i32 s9, s8, 31
	s_delay_alu instid0(SALU_CYCLE_1)
	;; [unrolled: 7-line block ×6, first 2 shown]
	s_lshl_b64 s[26:27], s[18:19], 1
	s_cmp_lt_i32 s48, 0xa900
	v_add_co_u32 v19, vcc_lo, v1, s26
	s_cselect_b32 s18, s49, 0x5400
	v_add_co_ci_u32_e32 v20, vcc_lo, s27, v3, vcc_lo
	s_ashr_i32 s19, s18, 31
	s_clause 0x7
	global_load_u16 v21, v[5:6], off
	global_load_u16 v22, v[7:8], off
	;; [unrolled: 1-line block ×8, first 2 shown]
	s_lshl_b64 s[18:19], s[18:19], 1
	s_cmp_lt_i32 s48, 0xaa00
	v_add_co_u32 v5, vcc_lo, v1, s18
	s_cselect_b32 s24, s49, 0x5480
	v_add_co_ci_u32_e32 v6, vcc_lo, s19, v3, vcc_lo
	s_ashr_i32 s25, s24, 31
	s_delay_alu instid0(SALU_CYCLE_1)
	s_lshl_b64 s[24:25], s[24:25], 1
	s_cmp_lt_i32 s48, 0xab00
	v_add_co_u32 v7, vcc_lo, v1, s24
	s_cselect_b32 s28, s49, 0x5500
	v_add_co_ci_u32_e32 v8, vcc_lo, s25, v3, vcc_lo
	s_ashr_i32 s29, s28, 31
	s_delay_alu instid0(SALU_CYCLE_1)
	;; [unrolled: 7-line block ×7, first 2 shown]
	s_lshl_b64 s[44:45], s[36:37], 1
	s_cmp_lt_i32 s48, 0xb100
	v_add_co_u32 v19, vcc_lo, v1, s44
	s_cselect_b32 s36, s49, 0x5800
	v_add_co_ci_u32_e32 v20, vcc_lo, s45, v3, vcc_lo
	s_ashr_i32 s37, s36, 31
	s_clause 0x7
	global_load_u16 v29, v[5:6], off
	global_load_u16 v30, v[7:8], off
	;; [unrolled: 1-line block ×8, first 2 shown]
	s_lshl_b64 s[36:37], s[36:37], 1
	s_cmp_lt_i32 s48, 0xb200
	v_add_co_u32 v5, vcc_lo, v1, s36
	s_cselect_b32 s42, s49, 0x5880
	v_add_co_ci_u32_e32 v6, vcc_lo, s37, v3, vcc_lo
	s_ashr_i32 s43, s42, 31
	s_delay_alu instid0(SALU_CYCLE_1)
	s_lshl_b64 s[42:43], s[42:43], 1
	s_cmp_lt_i32 s48, 0xb300
	v_add_co_u32 v7, vcc_lo, v1, s42
	s_cselect_b32 s46, s49, 0x5900
	v_add_co_ci_u32_e32 v8, vcc_lo, s43, v3, vcc_lo
	s_ashr_i32 s47, s46, 31
	s_delay_alu instid0(SALU_CYCLE_1)
	;; [unrolled: 7-line block ×5, first 2 shown]
	s_lshl_b64 s[8:9], s[8:9], 1
	s_cmp_lt_i32 s48, 0xb700
	v_add_co_u32 v15, vcc_lo, v1, s8
	s_cselect_b32 s10, s49, 0x5b00
	v_add_co_ci_u32_e32 v16, vcc_lo, s9, v3, vcc_lo
	s_ashr_i32 s11, s10, 31
	s_clause 0x5
	global_load_u16 v19, v[5:6], off
	global_load_u16 v20, v[7:8], off
	;; [unrolled: 1-line block ×6, first 2 shown]
	s_lshl_b64 s[10:11], s[10:11], 1
	s_cmp_lt_i32 s48, 0xb800
	v_add_co_u32 v5, vcc_lo, v1, s10
	s_cselect_b32 s18, s49, 0x5b80
	v_add_co_ci_u32_e32 v6, vcc_lo, s11, v3, vcc_lo
	s_ashr_i32 s19, s18, 31
	s_delay_alu instid0(SALU_CYCLE_1)
	s_lshl_b64 s[18:19], s[18:19], 1
	s_cmp_lt_i32 s48, 0xb900
	v_add_co_u32 v7, vcc_lo, v1, s18
	s_cselect_b32 s20, s49, 0x5c00
	v_add_co_ci_u32_e32 v8, vcc_lo, s19, v3, vcc_lo
	s_ashr_i32 s21, s20, 31
	global_load_u16 v16, v[5:6], off
	s_lshl_b64 s[20:21], s[20:21], 1
	global_load_u16 v38, v[7:8], off
	s_cmp_lt_i32 s48, 0xba00
	v_add_co_u32 v9, vcc_lo, v1, s20
	s_cselect_b32 s22, s49, 0x5c80
	v_add_co_ci_u32_e32 v10, vcc_lo, s21, v3, vcc_lo
	s_ashr_i32 s23, s22, 31
	s_delay_alu instid0(SALU_CYCLE_1)
	s_lshl_b64 s[22:23], s[22:23], 1
	s_cmp_lt_i32 s48, 0xbb00
	v_add_co_u32 v11, vcc_lo, v1, s22
	s_cselect_b32 s4, s49, 0x5d00
	v_add_co_ci_u32_e32 v12, vcc_lo, s23, v3, vcc_lo
	s_ashr_i32 s5, s4, 31
	s_delay_alu instid0(SALU_CYCLE_1)
	s_lshl_b64 s[4:5], s[4:5], 1
	s_cmp_lt_i32 s48, 0xbc00
	v_add_co_u32 v13, vcc_lo, v1, s4
	s_cselect_b32 s6, s49, 0x5d80
	v_add_co_ci_u32_e32 v14, vcc_lo, s5, v3, vcc_lo
	s_ashr_i32 s7, s6, 31
	s_clause 0x2
	global_load_u16 v39, v[9:10], off
	global_load_u16 v40, v[11:12], off
	;; [unrolled: 1-line block ×3, first 2 shown]
	s_lshl_b64 s[6:7], s[6:7], 1
	s_cmp_lt_i32 s48, 0xbd00
	v_add_co_u32 v5, vcc_lo, v1, s6
	s_cselect_b32 s8, s49, 0x5e00
	v_add_co_ci_u32_e32 v6, vcc_lo, s7, v3, vcc_lo
	s_ashr_i32 s9, s8, 31
	s_delay_alu instid0(SALU_CYCLE_1)
	s_lshl_b64 s[4:5], s[8:9], 1
	s_cmp_lt_i32 s48, 0xbe00
	v_add_co_u32 v7, vcc_lo, v1, s4
	s_cselect_b32 s8, s49, 0x5e80
	v_add_co_ci_u32_e32 v8, vcc_lo, s5, v3, vcc_lo
	s_ashr_i32 s9, s8, 31
	global_load_u16 v14, v[5:6], off
	s_lshl_b64 s[8:9], s[8:9], 1
	s_cmp_lt_i32 s48, 0xbf00
	v_add_co_u32 v9, vcc_lo, v1, s8
	s_cselect_b32 s6, s49, 0x5f00
	v_add_co_ci_u32_e32 v10, vcc_lo, s9, v3, vcc_lo
	s_ashr_i32 s7, s6, 31
	s_clause 0x1
	global_load_u16 v41, v[7:8], off
	global_load_u16 v42, v[9:10], off
	s_lshl_b64 s[4:5], s[6:7], 1
	s_cmp_lt_i32 s48, 0xc000
	v_add_co_u32 v5, vcc_lo, v1, s4
	s_cselect_b32 s6, s49, 0x5f80
	v_add_co_ci_u32_e32 v6, vcc_lo, s5, v3, vcc_lo
	s_ashr_i32 s7, s6, 31
	s_delay_alu instid0(SALU_CYCLE_1) | instskip(NEXT) | instid1(SALU_CYCLE_1)
	s_lshl_b64 s[4:5], s[6:7], 1
	v_add_co_u32 v1, vcc_lo, v1, s4
	v_add_co_ci_u32_e32 v2, vcc_lo, s5, v3, vcc_lo
	s_clause 0x1
	global_load_u16 v43, v[5:6], off
	global_load_u16 v44, v[1:2], off
	ds_load_b128 v[5:8], v45 offset:640
	ds_load_b128 v[9:12], v45 offset:656
	s_waitcnt vmcnt(31) lgkmcnt(0)
	v_fma_mix_f32 v1, v5, v21, v4 op_sel_hi:[0,1,0]
	s_waitcnt vmcnt(30)
	s_delay_alu instid0(VALU_DEP_1) | instskip(SKIP_1) | instid1(VALU_DEP_1)
	v_fma_mix_f32 v1, v6, v22, v1 op_sel_hi:[0,1,0]
	s_waitcnt vmcnt(29)
	v_fma_mix_f32 v1, v7, v23, v1 op_sel_hi:[0,1,0]
	s_waitcnt vmcnt(28)
	s_delay_alu instid0(VALU_DEP_1) | instskip(SKIP_1) | instid1(VALU_DEP_1)
	v_fma_mix_f32 v1, v8, v24, v1 op_sel_hi:[0,1,0]
	s_waitcnt vmcnt(27)
	v_fma_mix_f32 v5, v9, v25, v1 op_sel_hi:[0,1,0]
	ds_load_b128 v[1:4], v45 offset:672
	s_waitcnt vmcnt(26)
	v_fma_mix_f32 v5, v10, v26, v5 op_sel_hi:[0,1,0]
	s_waitcnt vmcnt(25)
	s_delay_alu instid0(VALU_DEP_1) | instskip(SKIP_1) | instid1(VALU_DEP_1)
	v_fma_mix_f32 v5, v11, v27, v5 op_sel_hi:[0,1,0]
	s_waitcnt vmcnt(24)
	v_fma_mix_f32 v9, v12, v28, v5 op_sel_hi:[0,1,0]
	ds_load_b128 v[5:8], v45 offset:688
	s_waitcnt vmcnt(23) lgkmcnt(1)
	v_fma_mix_f32 v1, v1, v29, v9 op_sel_hi:[0,1,0]
	s_waitcnt vmcnt(22)
	s_delay_alu instid0(VALU_DEP_1) | instskip(SKIP_1) | instid1(VALU_DEP_1)
	v_fma_mix_f32 v1, v2, v30, v1 op_sel_hi:[0,1,0]
	s_waitcnt vmcnt(21)
	v_fma_mix_f32 v1, v3, v31, v1 op_sel_hi:[0,1,0]
	s_waitcnt vmcnt(20)
	s_delay_alu instid0(VALU_DEP_1) | instskip(SKIP_1) | instid1(VALU_DEP_1)
	v_fma_mix_f32 v1, v4, v32, v1 op_sel_hi:[0,1,0]
	s_waitcnt vmcnt(19) lgkmcnt(0)
	v_fma_mix_f32 v5, v5, v33, v1 op_sel_hi:[0,1,0]
	ds_load_b128 v[1:4], v45 offset:704
	s_waitcnt vmcnt(18)
	v_fma_mix_f32 v5, v6, v34, v5 op_sel_hi:[0,1,0]
	s_waitcnt vmcnt(17)
	s_delay_alu instid0(VALU_DEP_1) | instskip(SKIP_1) | instid1(VALU_DEP_1)
	v_fma_mix_f32 v5, v7, v17, v5 op_sel_hi:[0,1,0]
	s_waitcnt vmcnt(16)
	v_fma_mix_f32 v9, v8, v18, v5 op_sel_hi:[0,1,0]
	ds_load_b128 v[5:8], v45 offset:720
	s_waitcnt vmcnt(15) lgkmcnt(1)
	v_fma_mix_f32 v1, v1, v19, v9 op_sel_hi:[0,1,0]
	s_waitcnt vmcnt(14)
	s_delay_alu instid0(VALU_DEP_1) | instskip(SKIP_1) | instid1(VALU_DEP_1)
	v_fma_mix_f32 v1, v2, v20, v1 op_sel_hi:[0,1,0]
	s_waitcnt vmcnt(13)
	v_fma_mix_f32 v1, v3, v35, v1 op_sel_hi:[0,1,0]
	s_waitcnt vmcnt(12)
	s_delay_alu instid0(VALU_DEP_1) | instskip(SKIP_1) | instid1(VALU_DEP_1)
	v_fma_mix_f32 v1, v4, v36, v1 op_sel_hi:[0,1,0]
	s_waitcnt vmcnt(11) lgkmcnt(0)
	;; [unrolled: 21-line block ×3, first 2 shown]
	v_fma_mix_f32 v1, v5, v41, v1 op_sel_hi:[0,1,0]
	s_waitcnt vmcnt(2)
	s_delay_alu instid0(VALU_DEP_1) | instskip(SKIP_1) | instid1(VALU_DEP_1)
	v_fma_mix_f32 v1, v6, v42, v1 op_sel_hi:[0,1,0]
	s_waitcnt vmcnt(1)
	v_fma_mix_f32 v1, v7, v43, v1 op_sel_hi:[0,1,0]
	s_waitcnt vmcnt(0)
	s_delay_alu instid0(VALU_DEP_1)
	v_fma_mix_f32 v4, v8, v44, v1 op_sel_hi:[0,1,0]
	v_mov_b32_e32 v1, 0
	s_and_not1_b32 vcc_lo, exec_lo, s15
	ds_load_b32 v1, v1 offset:768
	s_cbranch_vccz .LBB271_18
	s_branch .LBB271_19
	.section	.rodata,"a",@progbits
	.p2align	6, 0x0
	.amdhsa_kernel _Z35paged_attention_ll4mi_reduce_kernelIDF16_DF16_Li128ELi128ELi256ELi6EEvPT0_PKfS3_PKT_PKiS8_iS3_
		.amdhsa_group_segment_fixed_size 772
		.amdhsa_private_segment_fixed_size 0
		.amdhsa_kernarg_size 320
		.amdhsa_user_sgpr_count 14
		.amdhsa_user_sgpr_dispatch_ptr 0
		.amdhsa_user_sgpr_queue_ptr 0
		.amdhsa_user_sgpr_kernarg_segment_ptr 1
		.amdhsa_user_sgpr_dispatch_id 0
		.amdhsa_user_sgpr_private_segment_size 0
		.amdhsa_wavefront_size32 1
		.amdhsa_uses_dynamic_stack 0
		.amdhsa_enable_private_segment 0
		.amdhsa_system_sgpr_workgroup_id_x 1
		.amdhsa_system_sgpr_workgroup_id_y 1
		.amdhsa_system_sgpr_workgroup_id_z 0
		.amdhsa_system_sgpr_workgroup_info 0
		.amdhsa_system_vgpr_workitem_id 0
		.amdhsa_next_free_vgpr 48
		.amdhsa_next_free_sgpr 52
		.amdhsa_reserve_vcc 1
		.amdhsa_float_round_mode_32 0
		.amdhsa_float_round_mode_16_64 0
		.amdhsa_float_denorm_mode_32 3
		.amdhsa_float_denorm_mode_16_64 3
		.amdhsa_dx10_clamp 1
		.amdhsa_ieee_mode 1
		.amdhsa_fp16_overflow 0
		.amdhsa_workgroup_processor_mode 1
		.amdhsa_memory_ordered 1
		.amdhsa_forward_progress 0
		.amdhsa_shared_vgpr_count 0
		.amdhsa_exception_fp_ieee_invalid_op 0
		.amdhsa_exception_fp_denorm_src 0
		.amdhsa_exception_fp_ieee_div_zero 0
		.amdhsa_exception_fp_ieee_overflow 0
		.amdhsa_exception_fp_ieee_underflow 0
		.amdhsa_exception_fp_ieee_inexact 0
		.amdhsa_exception_int_div_zero 0
	.end_amdhsa_kernel
	.section	.text._Z35paged_attention_ll4mi_reduce_kernelIDF16_DF16_Li128ELi128ELi256ELi6EEvPT0_PKfS3_PKT_PKiS8_iS3_,"axG",@progbits,_Z35paged_attention_ll4mi_reduce_kernelIDF16_DF16_Li128ELi128ELi256ELi6EEvPT0_PKfS3_PKT_PKiS8_iS3_,comdat
.Lfunc_end271:
	.size	_Z35paged_attention_ll4mi_reduce_kernelIDF16_DF16_Li128ELi128ELi256ELi6EEvPT0_PKfS3_PKT_PKiS8_iS3_, .Lfunc_end271-_Z35paged_attention_ll4mi_reduce_kernelIDF16_DF16_Li128ELi128ELi256ELi6EEvPT0_PKfS3_PKT_PKiS8_iS3_
                                        ; -- End function
	.section	.AMDGPU.csdata,"",@progbits
; Kernel info:
; codeLenInByte = 13980
; NumSgprs: 54
; NumVgprs: 48
; ScratchSize: 0
; MemoryBound: 0
; FloatMode: 240
; IeeeMode: 1
; LDSByteSize: 772 bytes/workgroup (compile time only)
; SGPRBlocks: 6
; VGPRBlocks: 5
; NumSGPRsForWavesPerEU: 54
; NumVGPRsForWavesPerEU: 48
; Occupancy: 16
; WaveLimiterHint : 0
; COMPUTE_PGM_RSRC2:SCRATCH_EN: 0
; COMPUTE_PGM_RSRC2:USER_SGPR: 14
; COMPUTE_PGM_RSRC2:TRAP_HANDLER: 0
; COMPUTE_PGM_RSRC2:TGID_X_EN: 1
; COMPUTE_PGM_RSRC2:TGID_Y_EN: 1
; COMPUTE_PGM_RSRC2:TGID_Z_EN: 0
; COMPUTE_PGM_RSRC2:TIDIG_COMP_CNT: 0
	.section	.text._Z35paged_attention_ll4mi_reduce_kernelIDF16_DF16_Li128ELi128ELi256ELi7EEvPT0_PKfS3_PKT_PKiS8_iS3_,"axG",@progbits,_Z35paged_attention_ll4mi_reduce_kernelIDF16_DF16_Li128ELi128ELi256ELi7EEvPT0_PKfS3_PKT_PKiS8_iS3_,comdat
	.protected	_Z35paged_attention_ll4mi_reduce_kernelIDF16_DF16_Li128ELi128ELi256ELi7EEvPT0_PKfS3_PKT_PKiS8_iS3_ ; -- Begin function _Z35paged_attention_ll4mi_reduce_kernelIDF16_DF16_Li128ELi128ELi256ELi7EEvPT0_PKfS3_PKT_PKiS8_iS3_
	.globl	_Z35paged_attention_ll4mi_reduce_kernelIDF16_DF16_Li128ELi128ELi256ELi7EEvPT0_PKfS3_PKT_PKiS8_iS3_
	.p2align	8
	.type	_Z35paged_attention_ll4mi_reduce_kernelIDF16_DF16_Li128ELi128ELi256ELi7EEvPT0_PKfS3_PKT_PKiS8_iS3_,@function
_Z35paged_attention_ll4mi_reduce_kernelIDF16_DF16_Li128ELi128ELi256ELi7EEvPT0_PKfS3_PKT_PKiS8_iS3_: ; @_Z35paged_attention_ll4mi_reduce_kernelIDF16_DF16_Li128ELi128ELi256ELi7EEvPT0_PKfS3_PKT_PKiS8_iS3_
; %bb.0:
	s_load_b64 s[12:13], s[0:1], 0x28
	s_mov_b32 s2, s15
	s_waitcnt lgkmcnt(0)
	s_cmp_lg_u64 s[12:13], 0
	s_cselect_b32 s15, -1, 0
	s_delay_alu instid0(SALU_CYCLE_1)
	s_and_b32 vcc_lo, exec_lo, s15
	s_cbranch_vccz .LBB272_20
; %bb.1:
	s_add_i32 s4, s2, 1
	s_mov_b32 s5, 0
	s_delay_alu instid0(SALU_CYCLE_1) | instskip(SKIP_4) | instid1(SALU_CYCLE_1)
	s_lshl_b64 s[6:7], s[4:5], 2
	s_mov_b32 s3, s5
	s_add_u32 s6, s12, s6
	s_addc_u32 s7, s13, s7
	s_lshl_b64 s[8:9], s[2:3], 2
	s_add_u32 s8, s12, s8
	s_addc_u32 s9, s13, s9
	s_clause 0x1
	s_load_b32 s4, s[6:7], 0x0
	s_load_b32 s6, s[8:9], 0x0
	s_waitcnt lgkmcnt(0)
	s_sub_i32 s4, s4, s6
	s_delay_alu instid0(SALU_CYCLE_1)
	s_cmp_eq_u32 s4, 1
	s_cselect_b32 s4, -1, 0
	s_cbranch_execnz .LBB272_3
.LBB272_2:
	s_mov_b32 s3, 0
	s_mov_b32 s4, -1
.LBB272_3:
	s_delay_alu instid0(SALU_CYCLE_1)
	s_and_not1_b32 vcc_lo, exec_lo, s4
	s_cbranch_vccz .LBB272_5
; %bb.4:
	s_endpgm
.LBB272_5:
	s_clause 0x1
	s_load_b128 s[4:7], s[0:1], 0x18
	s_load_b32 s9, s[0:1], 0x30
	s_lshl_b64 s[16:17], s[2:3], 2
	s_waitcnt lgkmcnt(0)
	s_add_u32 s6, s6, s16
	s_addc_u32 s7, s7, s17
	s_load_b32 s23, s[6:7], 0x0
	s_load_b32 s33, s[0:1], 0x40
	s_mul_i32 s7, s2, s9
	s_waitcnt lgkmcnt(0)
	s_add_i32 s22, s23, 0xff
	s_delay_alu instid0(SALU_CYCLE_1) | instskip(NEXT) | instid1(SALU_CYCLE_1)
	s_ashr_i32 s6, s22, 31
	s_lshr_b32 s6, s6, 24
	s_delay_alu instid0(SALU_CYCLE_1) | instskip(SKIP_4) | instid1(SALU_CYCLE_1)
	s_add_i32 s8, s22, s6
	s_mul_i32 s6, s14, s9
	s_mov_b32 s9, exec_lo
	v_cmpx_lt_u32_e32 31, v0
	s_xor_b32 s9, exec_lo, s9
	s_or_saveexec_b32 s24, s9
	v_mov_b32_e32 v1, s6
	s_ashr_i32 s40, s8, 8
	s_mul_i32 s18, s7, s33
	s_xor_b32 exec_lo, exec_lo, s24
	s_cbranch_execz .LBB272_9
; %bb.6:
	v_or_b32_e32 v2, 32, v0
	v_cmp_gt_i32_e32 vcc_lo, s40, v0
	s_add_i32 s20, s40, -1
	v_or_b32_e32 v4, 64, v0
	v_or_b32_e32 v6, 0xa0, v0
	s_load_b128 s[8:11], s[0:1], 0x8
	v_cndmask_b32_e32 v1, s20, v0, vcc_lo
	v_cmp_gt_i32_e32 vcc_lo, s40, v2
	s_mov_b32 s19, 0
	s_delay_alu instid0(SALU_CYCLE_1)
	s_mov_b32 s7, s19
	v_cndmask_b32_e32 v3, s20, v2, vcc_lo
	v_or_b32_e32 v2, 0x60, v0
	v_cmp_gt_i32_e32 vcc_lo, s40, v4
	v_cndmask_b32_e32 v5, s20, v4, vcc_lo
	v_or_b32_e32 v4, 0x80, v0
	s_delay_alu instid0(VALU_DEP_4) | instskip(SKIP_1) | instid1(VALU_DEP_3)
	v_cmp_gt_i32_e32 vcc_lo, s40, v2
	v_cndmask_b32_e32 v7, s20, v2, vcc_lo
	v_cmp_gt_i32_e32 vcc_lo, s40, v4
	v_or_b32_e32 v2, 0xc0, v0
	s_delay_alu instid0(VALU_DEP_3) | instskip(SKIP_3) | instid1(VALU_DEP_4)
	v_ashrrev_i32_e32 v8, 31, v7
	v_cndmask_b32_e32 v9, s20, v4, vcc_lo
	v_cmp_gt_i32_e32 vcc_lo, s40, v6
	v_ashrrev_i32_e32 v4, 31, v3
	v_lshlrev_b64 v[7:8], 2, v[7:8]
	s_delay_alu instid0(VALU_DEP_4)
	v_ashrrev_i32_e32 v10, 31, v9
	v_cndmask_b32_e32 v11, s20, v6, vcc_lo
	v_cmp_gt_i32_e32 vcc_lo, s40, v2
	v_ashrrev_i32_e32 v6, 31, v5
	v_lshlrev_b64 v[3:4], 2, v[3:4]
	v_lshlrev_b64 v[9:10], 2, v[9:10]
	v_ashrrev_i32_e32 v12, 31, v11
	v_cndmask_b32_e32 v13, s20, v2, vcc_lo
	v_ashrrev_i32_e32 v2, 31, v1
	s_lshl_b64 s[20:21], s[18:19], 2
	v_lshlrev_b64 v[5:6], 2, v[5:6]
	s_waitcnt lgkmcnt(0)
	s_add_u32 s19, s10, s20
	s_addc_u32 s25, s11, s21
	v_lshlrev_b64 v[1:2], 2, v[1:2]
	s_lshl_b64 s[10:11], s[6:7], 2
	v_lshlrev_b64 v[11:12], 2, v[11:12]
	s_add_u32 s7, s19, s10
	s_addc_u32 s19, s25, s11
	s_delay_alu instid0(VALU_DEP_2)
	v_add_co_u32 v14, vcc_lo, s7, v1
	v_add_co_ci_u32_e32 v15, vcc_lo, s19, v2, vcc_lo
	v_add_co_u32 v16, vcc_lo, s7, v3
	v_add_co_ci_u32_e32 v17, vcc_lo, s19, v4, vcc_lo
	;; [unrolled: 2-line block ×3, first 2 shown]
	s_clause 0x2
	global_load_b32 v23, v[14:15], off
	global_load_b32 v24, v[16:17], off
	;; [unrolled: 1-line block ×3, first 2 shown]
	v_ashrrev_i32_e32 v14, 31, v13
	v_add_co_u32 v15, vcc_lo, s7, v7
	v_add_co_ci_u32_e32 v16, vcc_lo, s19, v8, vcc_lo
	v_add_co_u32 v17, vcc_lo, s7, v9
	s_delay_alu instid0(VALU_DEP_4) | instskip(SKIP_3) | instid1(VALU_DEP_4)
	v_lshlrev_b64 v[13:14], 2, v[13:14]
	v_add_co_ci_u32_e32 v18, vcc_lo, s19, v10, vcc_lo
	v_add_co_u32 v19, vcc_lo, s7, v11
	v_add_co_ci_u32_e32 v20, vcc_lo, s19, v12, vcc_lo
	v_add_co_u32 v21, vcc_lo, s7, v13
	v_add_co_ci_u32_e32 v22, vcc_lo, s19, v14, vcc_lo
	s_clause 0x3
	global_load_b32 v15, v[15:16], off
	global_load_b32 v16, v[17:18], off
	;; [unrolled: 1-line block ×4, first 2 shown]
	s_add_u32 s7, s8, s20
	s_addc_u32 s8, s9, s21
	s_add_u32 s7, s7, s10
	s_addc_u32 s8, s8, s11
	v_add_co_u32 v1, vcc_lo, s7, v1
	v_add_co_ci_u32_e32 v2, vcc_lo, s8, v2, vcc_lo
	v_add_co_u32 v3, vcc_lo, s7, v3
	v_add_co_ci_u32_e32 v4, vcc_lo, s8, v4, vcc_lo
	;; [unrolled: 2-line block ×5, first 2 shown]
	s_clause 0x4
	global_load_b32 v19, v[1:2], off
	global_load_b32 v3, v[3:4], off
	;; [unrolled: 1-line block ×5, first 2 shown]
	v_add_co_u32 v1, vcc_lo, s7, v11
	v_add_co_ci_u32_e32 v2, vcc_lo, s8, v12, vcc_lo
	global_load_b32 v7, v[1:2], off
	v_add_co_u32 v1, vcc_lo, s7, v13
	v_add_co_ci_u32_e32 v2, vcc_lo, s8, v14, vcc_lo
	s_mov_b32 s7, exec_lo
	global_load_b32 v1, v[1:2], off
	v_mbcnt_lo_u32_b32 v2, -1, 0
	s_delay_alu instid0(VALU_DEP_1)
	v_xor_b32_e32 v8, 16, v2
	v_xor_b32_e32 v11, 8, v2
	;; [unrolled: 1-line block ×5, first 2 shown]
	v_cmp_gt_i32_e32 vcc_lo, 32, v8
	v_cndmask_b32_e32 v8, v2, v8, vcc_lo
	v_cmp_gt_i32_e32 vcc_lo, 32, v11
	v_cndmask_b32_e32 v11, v2, v11, vcc_lo
	;; [unrolled: 2-line block ×4, first 2 shown]
	v_cmp_gt_i32_e32 vcc_lo, 32, v14
	s_delay_alu instid0(VALU_DEP_2) | instskip(NEXT) | instid1(VALU_DEP_1)
	v_dual_cndmask_b32 v2, v2, v14 :: v_dual_lshlrev_b32 v13, 2, v13
	v_lshlrev_b32_e32 v2, 2, v2
	v_lshlrev_b32_e32 v11, 2, v11
	;; [unrolled: 1-line block ×3, first 2 shown]
	s_waitcnt vmcnt(11)
	v_max3_f32 v9, v23, v24, v25
	s_waitcnt vmcnt(9)
	s_delay_alu instid0(VALU_DEP_1) | instskip(SKIP_1) | instid1(VALU_DEP_1)
	v_max3_f32 v9, v9, v15, v16
	s_waitcnt vmcnt(7)
	v_max3_f32 v9, v9, v17, v18
	ds_bpermute_b32 v10, v8, v9
	s_waitcnt lgkmcnt(0)
	v_max_f32_e32 v10, v10, v10
	s_delay_alu instid0(VALU_DEP_1) | instskip(SKIP_3) | instid1(VALU_DEP_1)
	v_max_f32_e32 v9, v9, v10
	ds_bpermute_b32 v10, v11, v9
	s_waitcnt lgkmcnt(0)
	v_max_f32_e32 v10, v10, v10
	v_dual_max_f32 v9, v9, v10 :: v_dual_lshlrev_b32 v12, 2, v12
	ds_bpermute_b32 v10, v12, v9
	s_waitcnt lgkmcnt(0)
	v_max_f32_e32 v10, v10, v10
	s_delay_alu instid0(VALU_DEP_1) | instskip(SKIP_3) | instid1(VALU_DEP_1)
	v_max_f32_e32 v9, v9, v10
	ds_bpermute_b32 v10, v13, v9
	s_waitcnt lgkmcnt(0)
	v_max_f32_e32 v10, v10, v10
	v_max_f32_e32 v9, v9, v10
	ds_bpermute_b32 v10, v2, v9
	s_waitcnt lgkmcnt(0)
	v_max_f32_e32 v10, v10, v10
	s_delay_alu instid0(VALU_DEP_1) | instskip(SKIP_1) | instid1(VALU_DEP_2)
	v_max_f32_e32 v9, v9, v10
	v_sub_nc_u32_e32 v10, s40, v0
	v_sub_f32_e32 v20, v24, v9
	v_sub_f32_e32 v21, v25, v9
	v_sub_f32_e32 v15, v15, v9
	v_sub_f32_e32 v14, v23, v9
	s_delay_alu instid0(VALU_DEP_4) | instskip(NEXT) | instid1(VALU_DEP_3)
	v_dual_sub_f32 v17, v17, v9 :: v_dual_mul_f32 v22, 0x3fb8aa3b, v20
	v_mul_f32_e32 v24, 0x3fb8aa3b, v15
	s_delay_alu instid0(VALU_DEP_3) | instskip(NEXT) | instid1(VALU_DEP_3)
	v_cmp_ngt_f32_e32 vcc_lo, 0xc2ce8ed0, v14
	v_rndne_f32_e32 v31, v22
	v_mul_f32_e32 v23, 0x3fb8aa3b, v21
	v_fma_f32 v30, 0x3fb8aa3b, v20, -v22
	v_fma_f32 v34, 0x3fb8aa3b, v15, -v24
	v_rndne_f32_e32 v35, v24
	v_sub_f32_e32 v22, v22, v31
	v_fma_f32 v32, 0x3fb8aa3b, v21, -v23
	v_rndne_f32_e32 v33, v23
	v_fmac_f32_e32 v34, 0x32a5705f, v15
	v_sub_f32_e32 v24, v24, v35
	v_fmac_f32_e32 v30, 0x32a5705f, v20
	v_fmac_f32_e32 v32, 0x32a5705f, v21
	v_sub_f32_e32 v23, v23, v33
	v_sub_f32_e32 v16, v16, v9
	v_dual_sub_f32 v9, v18, v9 :: v_dual_mul_f32 v18, 0x3fb8aa3b, v14
	v_cvt_i32_f32_e32 v31, v31
	s_delay_alu instid0(VALU_DEP_4) | instskip(NEXT) | instid1(VALU_DEP_4)
	v_add_f32_e32 v23, v23, v32
	v_dual_mul_f32 v25, 0x3fb8aa3b, v16 :: v_dual_add_f32 v24, v24, v34
	s_delay_alu instid0(VALU_DEP_4) | instskip(SKIP_1) | instid1(VALU_DEP_4)
	v_fma_f32 v28, 0x3fb8aa3b, v14, -v18
	v_rndne_f32_e32 v29, v18
	v_exp_f32_e32 v23, v23
	s_delay_alu instid0(VALU_DEP_3) | instskip(SKIP_4) | instid1(VALU_DEP_4)
	v_fma_f32 v36, 0x3fb8aa3b, v16, -v25
	v_rndne_f32_e32 v37, v25
	v_fmac_f32_e32 v28, 0x32a5705f, v14
	v_mul_f32_e32 v26, 0x3fb8aa3b, v17
	v_sub_f32_e32 v18, v18, v29
	v_dual_fmac_f32 v36, 0x32a5705f, v16 :: v_dual_sub_f32 v25, v25, v37
	v_cvt_i32_f32_e32 v29, v29
	s_delay_alu instid0(VALU_DEP_4)
	v_rndne_f32_e32 v39, v26
	v_mul_f32_e32 v27, 0x3fb8aa3b, v9
	v_fma_f32 v38, 0x3fb8aa3b, v17, -v26
	v_add_f32_e32 v25, v25, v36
	v_add_f32_e32 v18, v18, v28
	v_sub_f32_e32 v26, v26, v39
	v_rndne_f32_e32 v41, v27
	v_fma_f32 v40, 0x3fb8aa3b, v9, -v27
	v_exp_f32_e32 v25, v25
	v_cvt_i32_f32_e32 v28, v37
	v_exp_f32_e32 v18, v18
	v_sub_f32_e32 v27, v27, v41
	v_cvt_i32_f32_e32 v33, v33
	v_exp_f32_e32 v24, v24
	v_cvt_i32_f32_e32 v35, v35
	v_cvt_i32_f32_e32 v32, v41
	s_delay_alu instid0(VALU_DEP_3) | instskip(NEXT) | instid1(TRANS32_DEP_3)
	v_ldexp_f32 v23, v23, v33
	v_ldexp_f32 v25, v25, v28
	v_add_f32_e32 v22, v22, v30
	s_delay_alu instid0(TRANS32_DEP_2) | instskip(SKIP_1) | instid1(TRANS32_DEP_1)
	v_ldexp_f32 v18, v18, v29
	v_cvt_i32_f32_e32 v30, v39
	v_ldexp_f32 v24, v24, v35
	s_delay_alu instid0(VALU_DEP_4) | instskip(NEXT) | instid1(VALU_DEP_3)
	v_exp_f32_e32 v22, v22
	v_cndmask_b32_e32 v18, 0, v18, vcc_lo
	v_cmp_ngt_f32_e32 vcc_lo, 0xc2ce8ed0, v20
	s_waitcnt_depctr 0xfff
	v_ldexp_f32 v22, v22, v31
	s_delay_alu instid0(VALU_DEP_1) | instskip(SKIP_3) | instid1(VALU_DEP_2)
	v_cndmask_b32_e32 v22, 0, v22, vcc_lo
	v_cmp_ngt_f32_e32 vcc_lo, 0xc2ce8ed0, v21
	v_dual_fmac_f32 v40, 0x32a5705f, v9 :: v_dual_cndmask_b32 v23, 0, v23
	v_cmp_ngt_f32_e32 vcc_lo, 0xc2ce8ed0, v15
	v_dual_fmac_f32 v38, 0x32a5705f, v17 :: v_dual_add_f32 v27, v27, v40
	v_cndmask_b32_e32 v24, 0, v24, vcc_lo
	v_cmp_ngt_f32_e32 vcc_lo, 0xc2ce8ed0, v16
	s_delay_alu instid0(VALU_DEP_3)
	v_exp_f32_e32 v27, v27
	v_cndmask_b32_e32 v25, 0, v25, vcc_lo
	v_cmp_nlt_f32_e32 vcc_lo, 0x42b17218, v14
	v_cndmask_b32_e32 v14, 0x7f800000, v18, vcc_lo
	v_cmp_nlt_f32_e32 vcc_lo, 0x42b17218, v20
	;; [unrolled: 2-line block ×4, first 2 shown]
	v_dual_add_f32 v26, v26, v38 :: v_dual_cndmask_b32 v15, 0x7f800000, v24
	v_cmp_nlt_f32_e32 vcc_lo, 0x42b17218, v16
	s_delay_alu instid0(VALU_DEP_2)
	v_exp_f32_e32 v26, v26
	v_cndmask_b32_e32 v16, 0x7f800000, v25, vcc_lo
	v_cmp_lt_i32_e32 vcc_lo, 0, v10
	v_cndmask_b32_e32 v14, 0, v14, vcc_lo
	v_cmp_lt_i32_e32 vcc_lo, 32, v10
	s_waitcnt_depctr 0xfff
	v_ldexp_f32 v26, v26, v30
	v_cndmask_b32_e32 v18, 0, v18, vcc_lo
	v_cmp_lt_i32_e32 vcc_lo, 64, v10
	v_cndmask_b32_e32 v20, 0, v20, vcc_lo
	v_cmp_lt_i32_e32 vcc_lo, 0x60, v10
	;; [unrolled: 2-line block ×3, first 2 shown]
	s_waitcnt vmcnt(3)
	s_delay_alu instid0(VALU_DEP_2) | instskip(SKIP_2) | instid1(VALU_DEP_2)
	v_dual_mul_f32 v5, v5, v15 :: v_dual_cndmask_b32 v16, 0, v16
	v_cmp_ngt_f32_e32 vcc_lo, 0xc2ce8ed0, v17
	s_waitcnt vmcnt(2)
	v_dual_mul_f32 v6, v6, v16 :: v_dual_cndmask_b32 v15, 0, v26
	v_cmp_nlt_f32_e32 vcc_lo, 0x42b17218, v17
	v_mul_f32_e32 v4, v4, v20
	v_ldexp_f32 v16, v27, v32
	s_delay_alu instid0(VALU_DEP_4) | instskip(SKIP_1) | instid1(VALU_DEP_3)
	v_cndmask_b32_e32 v15, 0x7f800000, v15, vcc_lo
	v_cmp_ngt_f32_e32 vcc_lo, 0xc2ce8ed0, v9
	v_cndmask_b32_e32 v16, 0, v16, vcc_lo
	v_cmp_lt_i32_e32 vcc_lo, 0xa0, v10
	s_delay_alu instid0(VALU_DEP_4) | instskip(SKIP_3) | instid1(VALU_DEP_3)
	v_cndmask_b32_e32 v15, 0, v15, vcc_lo
	v_cmp_nlt_f32_e32 vcc_lo, 0x42b17218, v9
	v_mul_f32_e32 v14, v19, v14
	s_waitcnt vmcnt(1)
	v_mul_f32_e32 v7, v7, v15
	v_cndmask_b32_e32 v9, 0x7f800000, v16, vcc_lo
	v_cmp_lt_i32_e32 vcc_lo, 0xc0, v10
	s_delay_alu instid0(VALU_DEP_2) | instskip(SKIP_2) | instid1(VALU_DEP_1)
	v_cndmask_b32_e32 v9, 0, v9, vcc_lo
	v_mul_f32_e32 v3, v3, v18
	s_waitcnt vmcnt(0)
	v_dual_mul_f32 v9, v1, v9 :: v_dual_add_f32 v18, v14, v3
	s_delay_alu instid0(VALU_DEP_1) | instskip(NEXT) | instid1(VALU_DEP_1)
	v_add_f32_e32 v17, v18, v4
	v_add_f32_e32 v16, v17, v5
	s_delay_alu instid0(VALU_DEP_1) | instskip(NEXT) | instid1(VALU_DEP_1)
	v_add_f32_e32 v10, v16, v6
	v_add_f32_e32 v1, v10, v7
	s_delay_alu instid0(VALU_DEP_1)
	v_add_f32_e32 v1, v1, v9
	ds_bpermute_b32 v8, v8, v1
	s_waitcnt lgkmcnt(0)
	v_add_f32_e32 v1, v1, v8
	ds_bpermute_b32 v8, v11, v1
	s_waitcnt lgkmcnt(0)
	;; [unrolled: 3-line block ×4, first 2 shown]
	v_add_f32_e32 v1, v1, v8
	v_lshlrev_b32_e32 v8, 2, v0
	ds_store_2addr_b32 v8, v14, v3 offset1:32
	ds_store_2addr_b32 v8, v4, v5 offset0:64 offset1:96
	ds_store_2addr_b32 v8, v6, v7 offset0:128 offset1:160
	ds_store_b32 v8, v9 offset:768
	ds_bpermute_b32 v2, v2, v1
	v_cmpx_eq_u32_e32 0, v0
	s_cbranch_execz .LBB272_8
; %bb.7:
	s_waitcnt lgkmcnt(0)
	v_dual_add_f32 v1, v1, v2 :: v_dual_mov_b32 v2, 0
	ds_store_b32 v2, v1 offset:896
.LBB272_8:
	s_or_b32 exec_lo, exec_lo, s7
	v_mov_b32_e32 v1, s6
.LBB272_9:
	s_or_b32 exec_lo, exec_lo, s24
	s_lshl_b32 s6, s18, 7
	s_mov_b32 s7, 0
	s_waitcnt lgkmcnt(0)
	v_dual_mov_b32 v2, 0 :: v_dual_lshlrev_b32 v1, 7, v1
	s_lshl_b64 s[6:7], s[6:7], 1
	v_lshlrev_b32_e32 v0, 1, v0
	s_add_u32 s34, s4, s6
	s_addc_u32 s35, s5, s7
	s_lshl_b32 s41, s40, 7
	v_lshlrev_b64 v[3:4], 1, v[1:2]
	s_add_i32 s42, s41, 0xffffff80
	s_cmpk_lt_i32 s22, 0x100
	v_dual_mov_b32 v30, 0 :: v_dual_mov_b32 v33, 0
	s_cselect_b32 s4, s42, 0
	s_delay_alu instid0(VALU_DEP_2)
	v_add_co_u32 v1, vcc_lo, s34, v3
	s_ashr_i32 s5, s4, 31
	v_add_co_ci_u32_e32 v3, vcc_lo, s35, v4, vcc_lo
	s_lshl_b64 s[4:5], s[4:5], 1
	s_cmpk_lt_i32 s22, 0x200
	v_add_co_u32 v1, vcc_lo, v1, v0
	s_cselect_b32 s6, s42, 0x80
	v_add_co_ci_u32_e32 v3, vcc_lo, 0, v3, vcc_lo
	s_ashr_i32 s7, s6, 31
	s_delay_alu instid0(VALU_DEP_2)
	v_add_co_u32 v4, vcc_lo, v1, s4
	s_lshl_b64 s[6:7], s[6:7], 1
	s_cmpk_lt_i32 s22, 0x300
	v_add_co_ci_u32_e32 v5, vcc_lo, s5, v3, vcc_lo
	s_cselect_b32 s8, s42, 0x100
	v_add_co_u32 v8, vcc_lo, v1, s6
	s_ashr_i32 s9, s8, 31
	v_add_co_ci_u32_e32 v9, vcc_lo, s7, v3, vcc_lo
	s_lshl_b64 s[8:9], s[8:9], 1
	s_cmpk_lt_i32 s22, 0x400
	v_add_co_u32 v10, vcc_lo, v1, s8
	s_cselect_b32 s10, s42, 0x180
	v_add_co_ci_u32_e32 v11, vcc_lo, s9, v3, vcc_lo
	s_ashr_i32 s11, s10, 31
	v_dual_mov_b32 v32, 0 :: v_dual_mov_b32 v35, 0
	s_lshl_b64 s[10:11], s[10:11], 1
	s_cmpk_lt_i32 s22, 0x500
	v_add_co_u32 v12, vcc_lo, v1, s10
	s_cselect_b32 s18, s42, 0x200
	v_add_co_ci_u32_e32 v13, vcc_lo, s11, v3, vcc_lo
	s_ashr_i32 s19, s18, 31
	v_mov_b32_e32 v34, 0
	s_lshl_b64 s[18:19], s[18:19], 1
	s_cmpk_lt_i32 s22, 0x600
	v_add_co_u32 v14, vcc_lo, v1, s18
	s_cselect_b32 s20, s42, 0x280
	v_add_co_ci_u32_e32 v15, vcc_lo, s19, v3, vcc_lo
	s_ashr_i32 s21, s20, 31
	v_mov_b32_e32 v29, 0
	;; [unrolled: 7-line block ×3, first 2 shown]
	s_lshl_b64 s[24:25], s[24:25], 1
	s_cmpk_lt_i32 s22, 0x800
	v_add_co_u32 v18, vcc_lo, v1, s24
	s_cselect_b32 s26, s42, 0x380
	v_add_co_ci_u32_e32 v19, vcc_lo, s25, v3, vcc_lo
	s_ashr_i32 s27, s26, 31
	s_delay_alu instid0(SALU_CYCLE_1)
	s_lshl_b64 s[26:27], s[26:27], 1
	s_cmpk_lt_i32 s22, 0x900
	v_add_co_u32 v20, vcc_lo, v1, s26
	s_cselect_b32 s28, s42, 0x400
	v_add_co_ci_u32_e32 v21, vcc_lo, s27, v3, vcc_lo
	s_ashr_i32 s29, s28, 31
	s_clause 0x7
	global_load_u16 v7, v[4:5], off
	global_load_u16 v8, v[8:9], off
	;; [unrolled: 1-line block ×8, first 2 shown]
	s_lshl_b64 s[28:29], s[28:29], 1
	s_cmpk_lt_i32 s22, 0xa00
	v_add_co_u32 v12, vcc_lo, v1, s28
	s_cselect_b32 s30, s42, 0x480
	v_add_co_ci_u32_e32 v13, vcc_lo, s29, v3, vcc_lo
	s_ashr_i32 s31, s30, 31
	s_delay_alu instid0(SALU_CYCLE_1)
	s_lshl_b64 s[30:31], s[30:31], 1
	s_cmpk_lt_i32 s22, 0xb00
	v_add_co_u32 v15, vcc_lo, v1, s30
	s_cselect_b32 s34, s42, 0x500
	v_add_co_ci_u32_e32 v16, vcc_lo, s31, v3, vcc_lo
	s_ashr_i32 s35, s34, 31
	s_delay_alu instid0(SALU_CYCLE_1)
	;; [unrolled: 7-line block ×7, first 2 shown]
	s_lshl_b64 s[4:5], s[6:7], 1
	s_cmpk_gt_i32 s23, 0x1000
	v_add_co_u32 v27, vcc_lo, v1, s4
	v_add_co_ci_u32_e32 v28, vcc_lo, s5, v3, vcc_lo
	s_clause 0x7
	global_load_u16 v14, v[12:13], off
	global_load_u16 v15, v[15:16], off
	;; [unrolled: 1-line block ×8, first 2 shown]
	v_dual_mov_b32 v20, 0 :: v_dual_mov_b32 v23, 0
	v_dual_mov_b32 v21, 0 :: v_dual_mov_b32 v22, 0
	;; [unrolled: 1-line block ×4, first 2 shown]
	v_mov_b32_e32 v28, 0
	s_cselect_b32 s8, -1, 0
	s_cmpk_lt_i32 s23, 0x1001
	s_waitcnt vmcnt(0)
	s_barrier
	buffer_gl0_inv
	s_cbranch_scc1 .LBB272_11
; %bb.10:
	s_cmpk_lt_i32 s22, 0x1100
	s_cselect_b32 s4, s42, 0x800
	s_delay_alu instid0(SALU_CYCLE_1) | instskip(NEXT) | instid1(SALU_CYCLE_1)
	s_ashr_i32 s5, s4, 31
	s_lshl_b64 s[4:5], s[4:5], 1
	s_cmpk_lt_i32 s22, 0x1200
	v_add_co_u32 v20, vcc_lo, v1, s4
	s_cselect_b32 s6, s42, 0x880
	v_add_co_ci_u32_e32 v21, vcc_lo, s5, v3, vcc_lo
	s_ashr_i32 s7, s6, 31
	s_delay_alu instid0(SALU_CYCLE_1)
	s_lshl_b64 s[6:7], s[6:7], 1
	s_cmpk_lt_i32 s22, 0x1300
	v_add_co_u32 v22, vcc_lo, v1, s6
	s_cselect_b32 s10, s42, 0x900
	v_add_co_ci_u32_e32 v23, vcc_lo, s7, v3, vcc_lo
	s_ashr_i32 s11, s10, 31
	s_delay_alu instid0(SALU_CYCLE_1)
	;; [unrolled: 7-line block ×7, first 2 shown]
	s_lshl_b64 s[28:29], s[28:29], 1
	s_cmpk_lt_i32 s22, 0x1900
	v_add_co_u32 v34, vcc_lo, v1, s28
	s_cselect_b32 s30, s42, 0xc00
	v_add_co_ci_u32_e32 v35, vcc_lo, s29, v3, vcc_lo
	s_ashr_i32 s31, s30, 31
	s_clause 0x7
	global_load_u16 v36, v[20:21], off
	global_load_u16 v37, v[22:23], off
	;; [unrolled: 1-line block ×8, first 2 shown]
	s_lshl_b64 s[30:31], s[30:31], 1
	s_cmpk_lt_i32 s22, 0x1a00
	v_add_co_u32 v20, vcc_lo, v1, s30
	s_cselect_b32 s34, s42, 0xc80
	v_add_co_ci_u32_e32 v21, vcc_lo, s31, v3, vcc_lo
	s_ashr_i32 s35, s34, 31
	s_delay_alu instid0(SALU_CYCLE_1)
	s_lshl_b64 s[34:35], s[34:35], 1
	s_cmpk_lt_i32 s22, 0x1b00
	v_add_co_u32 v22, vcc_lo, v1, s34
	s_cselect_b32 s36, s42, 0xd00
	v_add_co_ci_u32_e32 v23, vcc_lo, s35, v3, vcc_lo
	s_ashr_i32 s37, s36, 31
	s_delay_alu instid0(SALU_CYCLE_1)
	;; [unrolled: 7-line block ×6, first 2 shown]
	s_lshl_b64 s[4:5], s[20:21], 1
	s_cmpk_lt_i32 s22, 0x2000
	v_add_co_u32 v32, vcc_lo, v1, s4
	s_cselect_b32 s6, s42, 0xf80
	v_add_co_ci_u32_e32 v33, vcc_lo, s5, v3, vcc_lo
	s_ashr_i32 s7, s6, 31
	s_delay_alu instid0(SALU_CYCLE_1) | instskip(NEXT) | instid1(SALU_CYCLE_1)
	s_lshl_b64 s[4:5], s[6:7], 1
	v_add_co_u32 v34, vcc_lo, v1, s4
	v_add_co_ci_u32_e32 v35, vcc_lo, s5, v3, vcc_lo
	s_clause 0x7
	global_load_u16 v20, v[20:21], off
	global_load_u16 v21, v[22:23], off
	;; [unrolled: 1-line block ×8, first 2 shown]
	s_waitcnt vmcnt(15)
	v_cvt_f32_f16_e32 v35, v36
	s_waitcnt vmcnt(14)
	v_cvt_f32_f16_e32 v34, v37
	;; [unrolled: 2-line block ×16, first 2 shown]
.LBB272_11:
	ds_load_b128 v[36:39], v2
	ds_load_b128 v[40:43], v2 offset:16
	s_load_b64 s[0:1], s[0:1], 0x0
	s_and_b32 vcc_lo, exec_lo, s8
	s_waitcnt lgkmcnt(0)
	v_fma_mix_f32 v7, v36, v7, 0 op_sel_hi:[0,1,0]
	s_delay_alu instid0(VALU_DEP_1) | instskip(NEXT) | instid1(VALU_DEP_1)
	v_fma_mix_f32 v7, v37, v8, v7 op_sel_hi:[0,1,0]
	v_fma_mix_f32 v7, v38, v9, v7 op_sel_hi:[0,1,0]
	s_delay_alu instid0(VALU_DEP_1) | instskip(SKIP_4) | instid1(VALU_DEP_1)
	v_fma_mix_f32 v7, v39, v10, v7 op_sel_hi:[0,1,0]
	ds_load_b128 v[36:39], v2 offset:48
	v_fma_mix_f32 v11, v40, v11, v7 op_sel_hi:[0,1,0]
	ds_load_b128 v[7:10], v2 offset:32
	v_fma_mix_f32 v4, v41, v4, v11 op_sel_hi:[0,1,0]
	v_fma_mix_f32 v4, v42, v5, v4 op_sel_hi:[0,1,0]
	s_delay_alu instid0(VALU_DEP_1) | instskip(SKIP_1) | instid1(VALU_DEP_1)
	v_fma_mix_f32 v4, v43, v6, v4 op_sel_hi:[0,1,0]
	s_waitcnt lgkmcnt(0)
	v_fma_mix_f32 v4, v7, v14, v4 op_sel_hi:[0,1,0]
	s_delay_alu instid0(VALU_DEP_1) | instskip(NEXT) | instid1(VALU_DEP_1)
	v_fma_mix_f32 v4, v8, v15, v4 op_sel_hi:[0,1,0]
	v_fma_mix_f32 v4, v9, v16, v4 op_sel_hi:[0,1,0]
	s_delay_alu instid0(VALU_DEP_1) | instskip(NEXT) | instid1(VALU_DEP_1)
	v_fma_mix_f32 v4, v10, v17, v4 op_sel_hi:[0,1,0]
	;; [unrolled: 3-line block ×3, first 2 shown]
	v_fma_mix_f32 v4, v38, v13, v4 op_sel_hi:[0,1,0]
	s_delay_alu instid0(VALU_DEP_1)
	v_fma_mix_f32 v4, v39, v19, v4 op_sel_hi:[0,1,0]
	s_cbranch_vccz .LBB272_13
; %bb.12:
	ds_load_b128 v[5:8], v2 offset:64
	ds_load_b128 v[9:12], v2 offset:80
	s_waitcnt lgkmcnt(1)
	v_fmac_f32_e32 v4, v5, v35
	s_delay_alu instid0(VALU_DEP_1) | instskip(NEXT) | instid1(VALU_DEP_1)
	v_fmac_f32_e32 v4, v6, v34
	v_fmac_f32_e32 v4, v7, v33
	s_delay_alu instid0(VALU_DEP_1) | instskip(SKIP_3) | instid1(VALU_DEP_1)
	v_fmac_f32_e32 v4, v8, v32
	ds_load_b128 v[5:8], v2 offset:96
	s_waitcnt lgkmcnt(1)
	v_fmac_f32_e32 v4, v9, v31
	v_fmac_f32_e32 v4, v10, v30
	s_delay_alu instid0(VALU_DEP_1) | instskip(NEXT) | instid1(VALU_DEP_1)
	v_fmac_f32_e32 v4, v11, v29
	v_fmac_f32_e32 v4, v12, v28
	ds_load_b128 v[9:12], v2 offset:112
	s_waitcnt lgkmcnt(1)
	v_fmac_f32_e32 v4, v5, v27
	s_delay_alu instid0(VALU_DEP_1) | instskip(NEXT) | instid1(VALU_DEP_1)
	v_fmac_f32_e32 v4, v6, v26
	v_fmac_f32_e32 v4, v7, v25
	s_delay_alu instid0(VALU_DEP_1) | instskip(SKIP_1) | instid1(VALU_DEP_1)
	v_fmac_f32_e32 v4, v8, v24
	s_waitcnt lgkmcnt(0)
	v_fmac_f32_e32 v4, v9, v23
	s_delay_alu instid0(VALU_DEP_1) | instskip(NEXT) | instid1(VALU_DEP_1)
	v_fmac_f32_e32 v4, v10, v22
	v_fmac_f32_e32 v4, v11, v21
	s_delay_alu instid0(VALU_DEP_1)
	v_fmac_f32_e32 v4, v12, v20
.LBB272_13:
	s_movk_i32 s43, 0x1f80
	s_movk_i32 s44, 0x80
	s_mov_b32 s45, 32
	s_branch .LBB272_15
.LBB272_14:                             ;   in Loop: Header=BB272_15 Depth=1
	s_addk_i32 s43, 0x1000
	s_addk_i32 s44, 0x80
	s_add_i32 s45, s45, 32
	s_cmpk_eq_i32 s43, 0x7f80
	s_cbranch_scc1 .LBB272_17
.LBB272_15:                             ; =>This Inner Loop Header: Depth=1
	s_cmp_le_i32 s40, s45
	s_cbranch_scc1 .LBB272_14
; %bb.16:                               ;   in Loop: Header=BB272_15 Depth=1
	s_add_i32 s4, s43, 0xfffff080
	v_mov_b32_e32 v44, s44
	s_cmp_lt_i32 s4, s41
	s_cselect_b32 s4, s4, s42
	s_add_i32 s6, s43, 0xfffff100
	s_ashr_i32 s5, s4, 31
	s_delay_alu instid0(SALU_CYCLE_1)
	s_lshl_b64 s[4:5], s[4:5], 1
	s_cmp_lt_i32 s6, s41
	v_add_co_u32 v5, vcc_lo, v1, s4
	s_cselect_b32 s6, s6, s42
	s_add_i32 s10, s43, 0xfffff180
	s_ashr_i32 s7, s6, 31
	v_add_co_ci_u32_e32 v6, vcc_lo, s5, v3, vcc_lo
	s_lshl_b64 s[8:9], s[6:7], 1
	s_cmp_lt_i32 s10, s41
	v_add_co_u32 v7, vcc_lo, v1, s8
	s_cselect_b32 s6, s10, s42
	s_add_i32 s10, s43, 0xfffff200
	s_ashr_i32 s7, s6, 31
	v_add_co_ci_u32_e32 v8, vcc_lo, s9, v3, vcc_lo
	;; [unrolled: 7-line block ×8, first 2 shown]
	s_lshl_b64 s[24:25], s[20:21], 1
	s_cmp_lt_i32 s28, s41
	s_clause 0x7
	global_load_u16 v2, v[5:6], off
	global_load_u16 v21, v[7:8], off
	;; [unrolled: 1-line block ×8, first 2 shown]
	s_cselect_b32 s20, s28, s42
	s_add_i32 s28, s43, 0xfffff580
	s_ashr_i32 s21, s20, 31
	v_add_co_u32 v5, vcc_lo, v1, s24
	s_lshl_b64 s[20:21], s[20:21], 1
	s_cmp_lt_i32 s28, s41
	v_add_co_ci_u32_e32 v6, vcc_lo, s25, v3, vcc_lo
	s_cselect_b32 s28, s28, s42
	s_add_i32 s36, s43, 0xfffff600
	s_ashr_i32 s29, s28, 31
	v_add_co_u32 v7, vcc_lo, v1, s20
	s_lshl_b64 s[30:31], s[28:29], 1
	s_cmp_lt_i32 s36, s41
	v_add_co_ci_u32_e32 v8, vcc_lo, s21, v3, vcc_lo
	;; [unrolled: 7-line block ×8, first 2 shown]
	s_cselect_b32 s10, s10, s42
	s_add_i32 s18, s43, 0xfffff980
	s_ashr_i32 s11, s10, 31
	s_clause 0x7
	global_load_u16 v28, v[5:6], off
	global_load_u16 v29, v[7:8], off
	;; [unrolled: 1-line block ×8, first 2 shown]
	s_lshl_b64 s[10:11], s[10:11], 1
	s_cmp_lt_i32 s18, s41
	v_add_co_u32 v5, vcc_lo, v1, s4
	s_cselect_b32 s18, s18, s42
	s_add_i32 s22, s43, 0xfffffa00
	s_ashr_i32 s19, s18, 31
	v_add_co_ci_u32_e32 v6, vcc_lo, s5, v3, vcc_lo
	s_lshl_b64 s[18:19], s[18:19], 1
	s_cmp_lt_i32 s22, s41
	v_add_co_u32 v7, vcc_lo, v1, s10
	s_cselect_b32 s20, s22, s42
	s_add_i32 s22, s43, 0xfffffa80
	s_ashr_i32 s21, s20, 31
	v_add_co_ci_u32_e32 v8, vcc_lo, s11, v3, vcc_lo
	;; [unrolled: 7-line block ×5, first 2 shown]
	s_lshl_b64 s[6:7], s[6:7], 1
	s_cmp_lt_i32 s24, s41
	s_clause 0x4
	global_load_u16 v19, v[5:6], off
	global_load_u16 v20, v[7:8], off
	;; [unrolled: 1-line block ×5, first 2 shown]
	s_cselect_b32 s4, s24, s42
	s_add_i32 s10, s43, 0xfffffc80
	s_ashr_i32 s5, s4, 31
	v_add_co_u32 v5, vcc_lo, v1, s8
	s_lshl_b64 s[4:5], s[4:5], 1
	s_cmp_lt_i32 s10, s41
	v_add_co_ci_u32_e32 v6, vcc_lo, s9, v3, vcc_lo
	s_cselect_b32 s10, s10, s42
	s_add_i32 s18, s43, 0xfffffd00
	s_ashr_i32 s11, s10, 31
	v_add_co_u32 v7, vcc_lo, v1, s6
	s_lshl_b64 s[10:11], s[10:11], 1
	s_cmp_lt_i32 s18, s41
	v_add_co_ci_u32_e32 v8, vcc_lo, s7, v3, vcc_lo
	s_cselect_b32 s18, s18, s42
	s_add_i32 s20, s43, 0xfffffd80
	s_ashr_i32 s19, s18, 31
	v_add_co_u32 v9, vcc_lo, v1, s4
	s_lshl_b64 s[18:19], s[18:19], 1
	s_cmp_lt_i32 s20, s41
	global_load_u16 v37, v[5:6], off
	s_cselect_b32 s8, s20, s42
	s_add_i32 s20, s43, 0xfffffe00
	s_ashr_i32 s9, s8, 31
	v_add_co_ci_u32_e32 v10, vcc_lo, s5, v3, vcc_lo
	s_lshl_b64 s[6:7], s[8:9], 1
	s_cmp_lt_i32 s20, s41
	v_add_co_u32 v11, vcc_lo, v1, s10
	s_cselect_b32 s4, s20, s42
	s_clause 0x1
	global_load_u16 v38, v[7:8], off
	global_load_u16 v39, v[9:10], off
	v_add_co_ci_u32_e32 v12, vcc_lo, s11, v3, vcc_lo
	s_ashr_i32 s5, s4, 31
	s_add_i32 s8, s43, 0xfffffe80
	v_add_co_u32 v13, vcc_lo, v1, s18
	s_lshl_b64 s[4:5], s[4:5], 1
	s_cmp_lt_i32 s8, s41
	v_add_co_ci_u32_e32 v14, vcc_lo, s19, v3, vcc_lo
	v_add_co_u32 v15, vcc_lo, v1, s6
	s_cselect_b32 s8, s8, s42
	v_add_co_ci_u32_e32 v16, vcc_lo, s7, v3, vcc_lo
	s_ashr_i32 s9, s8, 31
	s_add_i32 s10, s43, 0xffffff00
	s_lshl_b64 s[6:7], s[8:9], 1
	s_clause 0x2
	global_load_u16 v40, v[11:12], off
	global_load_u16 v13, v[13:14], off
	;; [unrolled: 1-line block ×3, first 2 shown]
	s_cmp_lt_i32 s10, s41
	v_add_co_u32 v5, vcc_lo, v1, s4
	s_cselect_b32 s8, s10, s42
	s_add_i32 s10, s43, 0xffffff80
	s_ashr_i32 s9, s8, 31
	v_add_co_ci_u32_e32 v6, vcc_lo, s5, v3, vcc_lo
	s_lshl_b64 s[8:9], s[8:9], 1
	s_cmp_lt_i32 s10, s41
	v_add_co_u32 v7, vcc_lo, v1, s6
	s_cselect_b32 s4, s10, s42
	v_add_co_ci_u32_e32 v8, vcc_lo, s7, v3, vcc_lo
	s_ashr_i32 s5, s4, 31
	v_add_co_u32 v9, vcc_lo, v1, s8
	global_load_u16 v15, v[5:6], off
	s_lshl_b64 s[4:5], s[4:5], 1
	v_add_co_ci_u32_e32 v10, vcc_lo, s9, v3, vcc_lo
	s_cmp_lt_i32 s43, s41
	s_clause 0x1
	global_load_u16 v16, v[7:8], off
	global_load_u16 v41, v[9:10], off
	s_cselect_b32 s6, s43, s42
	v_add_co_u32 v5, vcc_lo, v1, s4
	s_ashr_i32 s7, s6, 31
	v_add_co_ci_u32_e32 v6, vcc_lo, s5, v3, vcc_lo
	s_lshl_b64 s[4:5], s[6:7], 1
	s_delay_alu instid0(SALU_CYCLE_1)
	v_add_co_u32 v7, vcc_lo, v1, s4
	v_add_co_ci_u32_e32 v8, vcc_lo, s5, v3, vcc_lo
	s_clause 0x1
	global_load_u16 v42, v[5:6], off
	global_load_u16 v43, v[7:8], off
	ds_load_b128 v[5:8], v44
	ds_load_b128 v[9:12], v44 offset:16
	s_waitcnt vmcnt(31) lgkmcnt(1)
	v_fma_mix_f32 v2, v5, v2, v4 op_sel_hi:[0,1,0]
	s_waitcnt vmcnt(30)
	s_delay_alu instid0(VALU_DEP_1) | instskip(SKIP_1) | instid1(VALU_DEP_1)
	v_fma_mix_f32 v2, v6, v21, v2 op_sel_hi:[0,1,0]
	s_waitcnt vmcnt(29)
	v_fma_mix_f32 v2, v7, v22, v2 op_sel_hi:[0,1,0]
	ds_load_b128 v[4:7], v44 offset:32
	s_waitcnt vmcnt(28)
	v_fma_mix_f32 v2, v8, v23, v2 op_sel_hi:[0,1,0]
	s_waitcnt vmcnt(27) lgkmcnt(1)
	s_delay_alu instid0(VALU_DEP_1) | instskip(SKIP_1) | instid1(VALU_DEP_1)
	v_fma_mix_f32 v2, v9, v24, v2 op_sel_hi:[0,1,0]
	s_waitcnt vmcnt(26)
	v_fma_mix_f32 v2, v10, v25, v2 op_sel_hi:[0,1,0]
	s_waitcnt vmcnt(25)
	s_delay_alu instid0(VALU_DEP_1) | instskip(SKIP_4) | instid1(VALU_DEP_1)
	v_fma_mix_f32 v2, v11, v26, v2 op_sel_hi:[0,1,0]
	ds_load_b128 v[8:11], v44 offset:48
	s_waitcnt vmcnt(24)
	v_fma_mix_f32 v2, v12, v27, v2 op_sel_hi:[0,1,0]
	s_waitcnt vmcnt(23) lgkmcnt(1)
	v_fma_mix_f32 v2, v4, v28, v2 op_sel_hi:[0,1,0]
	s_waitcnt vmcnt(22)
	s_delay_alu instid0(VALU_DEP_1) | instskip(SKIP_1) | instid1(VALU_DEP_1)
	v_fma_mix_f32 v2, v5, v29, v2 op_sel_hi:[0,1,0]
	s_waitcnt vmcnt(21)
	v_fma_mix_f32 v2, v6, v30, v2 op_sel_hi:[0,1,0]
	s_waitcnt vmcnt(20)
	s_delay_alu instid0(VALU_DEP_1) | instskip(SKIP_4) | instid1(VALU_DEP_1)
	v_fma_mix_f32 v2, v7, v31, v2 op_sel_hi:[0,1,0]
	ds_load_b128 v[4:7], v44 offset:64
	s_waitcnt vmcnt(19) lgkmcnt(1)
	v_fma_mix_f32 v2, v8, v32, v2 op_sel_hi:[0,1,0]
	s_waitcnt vmcnt(18)
	v_fma_mix_f32 v2, v9, v33, v2 op_sel_hi:[0,1,0]
	s_waitcnt vmcnt(17)
	s_delay_alu instid0(VALU_DEP_1) | instskip(SKIP_1) | instid1(VALU_DEP_1)
	v_fma_mix_f32 v2, v10, v17, v2 op_sel_hi:[0,1,0]
	s_waitcnt vmcnt(16)
	v_fma_mix_f32 v2, v11, v18, v2 op_sel_hi:[0,1,0]
	ds_load_b128 v[8:11], v44 offset:80
	s_waitcnt vmcnt(15) lgkmcnt(1)
	v_fma_mix_f32 v2, v4, v19, v2 op_sel_hi:[0,1,0]
	s_waitcnt vmcnt(14)
	s_delay_alu instid0(VALU_DEP_1) | instskip(SKIP_1) | instid1(VALU_DEP_1)
	v_fma_mix_f32 v2, v5, v20, v2 op_sel_hi:[0,1,0]
	s_waitcnt vmcnt(13)
	v_fma_mix_f32 v2, v6, v34, v2 op_sel_hi:[0,1,0]
	s_waitcnt vmcnt(12)
	s_delay_alu instid0(VALU_DEP_1) | instskip(SKIP_4) | instid1(VALU_DEP_1)
	v_fma_mix_f32 v2, v7, v35, v2 op_sel_hi:[0,1,0]
	ds_load_b128 v[4:7], v44 offset:96
	s_waitcnt vmcnt(11) lgkmcnt(1)
	v_fma_mix_f32 v2, v8, v36, v2 op_sel_hi:[0,1,0]
	s_waitcnt vmcnt(10)
	v_fma_mix_f32 v2, v9, v37, v2 op_sel_hi:[0,1,0]
	s_waitcnt vmcnt(9)
	s_delay_alu instid0(VALU_DEP_1) | instskip(SKIP_1) | instid1(VALU_DEP_1)
	v_fma_mix_f32 v2, v10, v38, v2 op_sel_hi:[0,1,0]
	s_waitcnt vmcnt(8)
	v_fma_mix_f32 v2, v11, v39, v2 op_sel_hi:[0,1,0]
	ds_load_b128 v[8:11], v44 offset:112
	s_waitcnt vmcnt(7) lgkmcnt(1)
	v_fma_mix_f32 v2, v4, v40, v2 op_sel_hi:[0,1,0]
	s_waitcnt vmcnt(6)
	s_delay_alu instid0(VALU_DEP_1) | instskip(SKIP_1) | instid1(VALU_DEP_1)
	v_fma_mix_f32 v2, v5, v13, v2 op_sel_hi:[0,1,0]
	s_waitcnt vmcnt(5)
	v_fma_mix_f32 v2, v6, v14, v2 op_sel_hi:[0,1,0]
	s_waitcnt vmcnt(4)
	s_delay_alu instid0(VALU_DEP_1) | instskip(SKIP_1) | instid1(VALU_DEP_1)
	v_fma_mix_f32 v2, v7, v15, v2 op_sel_hi:[0,1,0]
	s_waitcnt vmcnt(3) lgkmcnt(0)
	v_fma_mix_f32 v2, v8, v16, v2 op_sel_hi:[0,1,0]
	s_waitcnt vmcnt(2)
	s_delay_alu instid0(VALU_DEP_1) | instskip(SKIP_1) | instid1(VALU_DEP_1)
	v_fma_mix_f32 v2, v9, v41, v2 op_sel_hi:[0,1,0]
	s_waitcnt vmcnt(1)
	v_fma_mix_f32 v2, v10, v42, v2 op_sel_hi:[0,1,0]
	s_waitcnt vmcnt(0)
	s_delay_alu instid0(VALU_DEP_1)
	v_fma_mix_f32 v4, v11, v43, v2 op_sel_hi:[0,1,0]
	s_branch .LBB272_14
.LBB272_17:
	v_mov_b32_e32 v1, 0
	s_and_b32 vcc_lo, exec_lo, s15
	ds_load_b32 v1, v1 offset:896
	s_cbranch_vccz .LBB272_19
; %bb.18:
	s_add_u32 s2, s12, s16
	s_addc_u32 s3, s13, s17
	s_load_b32 s2, s[2:3], 0x0
	s_mov_b32 s3, 0
.LBB272_19:
	s_waitcnt lgkmcnt(0)
	v_add_f32_e32 v1, 0x358637bd, v1
	s_mul_i32 s3, s33, s3
	s_mul_hi_u32 s4, s33, s2
	s_mul_i32 s2, s33, s2
	s_add_i32 s3, s4, s3
	v_div_scale_f32 v2, null, v1, v1, 1.0
	s_lshl_b64 s[2:3], s[2:3], 8
	s_mov_b32 s15, 0
	s_add_u32 s2, s0, s2
	s_delay_alu instid0(VALU_DEP_1) | instskip(SKIP_2) | instid1(SALU_CYCLE_1)
	v_rcp_f32_e32 v3, v2
	s_addc_u32 s3, s1, s3
	s_lshl_b64 s[0:1], s[14:15], 8
	s_add_u32 s0, s2, s0
	s_addc_u32 s1, s3, s1
	s_waitcnt_depctr 0xfff
	v_fma_f32 v5, -v2, v3, 1.0
	s_delay_alu instid0(VALU_DEP_1) | instskip(SKIP_1) | instid1(VALU_DEP_1)
	v_fmac_f32_e32 v3, v5, v3
	v_div_scale_f32 v5, vcc_lo, 1.0, v1, 1.0
	v_mul_f32_e32 v6, v5, v3
	s_delay_alu instid0(VALU_DEP_1) | instskip(NEXT) | instid1(VALU_DEP_1)
	v_fma_f32 v7, -v2, v6, v5
	v_fmac_f32_e32 v6, v7, v3
	s_delay_alu instid0(VALU_DEP_1) | instskip(NEXT) | instid1(VALU_DEP_1)
	v_fma_f32 v2, -v2, v6, v5
	v_div_fmas_f32 v2, v2, v3, v6
	s_delay_alu instid0(VALU_DEP_1) | instskip(NEXT) | instid1(VALU_DEP_1)
	v_div_fixup_f32 v1, v2, v1, 1.0
	v_fma_mixlo_f16 v1, v4, v1, 0
	global_store_b16 v0, v1, s[0:1]
	s_nop 0
	s_sendmsg sendmsg(MSG_DEALLOC_VGPRS)
	s_endpgm
.LBB272_20:
	s_mov_b32 s4, 0
	s_branch .LBB272_2
	.section	.rodata,"a",@progbits
	.p2align	6, 0x0
	.amdhsa_kernel _Z35paged_attention_ll4mi_reduce_kernelIDF16_DF16_Li128ELi128ELi256ELi7EEvPT0_PKfS3_PKT_PKiS8_iS3_
		.amdhsa_group_segment_fixed_size 900
		.amdhsa_private_segment_fixed_size 0
		.amdhsa_kernarg_size 320
		.amdhsa_user_sgpr_count 14
		.amdhsa_user_sgpr_dispatch_ptr 0
		.amdhsa_user_sgpr_queue_ptr 0
		.amdhsa_user_sgpr_kernarg_segment_ptr 1
		.amdhsa_user_sgpr_dispatch_id 0
		.amdhsa_user_sgpr_private_segment_size 0
		.amdhsa_wavefront_size32 1
		.amdhsa_uses_dynamic_stack 0
		.amdhsa_enable_private_segment 0
		.amdhsa_system_sgpr_workgroup_id_x 1
		.amdhsa_system_sgpr_workgroup_id_y 1
		.amdhsa_system_sgpr_workgroup_id_z 0
		.amdhsa_system_sgpr_workgroup_info 0
		.amdhsa_system_vgpr_workitem_id 0
		.amdhsa_next_free_vgpr 48
		.amdhsa_next_free_sgpr 47
		.amdhsa_reserve_vcc 1
		.amdhsa_float_round_mode_32 0
		.amdhsa_float_round_mode_16_64 0
		.amdhsa_float_denorm_mode_32 3
		.amdhsa_float_denorm_mode_16_64 3
		.amdhsa_dx10_clamp 1
		.amdhsa_ieee_mode 1
		.amdhsa_fp16_overflow 0
		.amdhsa_workgroup_processor_mode 1
		.amdhsa_memory_ordered 1
		.amdhsa_forward_progress 0
		.amdhsa_shared_vgpr_count 0
		.amdhsa_exception_fp_ieee_invalid_op 0
		.amdhsa_exception_fp_denorm_src 0
		.amdhsa_exception_fp_ieee_div_zero 0
		.amdhsa_exception_fp_ieee_overflow 0
		.amdhsa_exception_fp_ieee_underflow 0
		.amdhsa_exception_fp_ieee_inexact 0
		.amdhsa_exception_int_div_zero 0
	.end_amdhsa_kernel
	.section	.text._Z35paged_attention_ll4mi_reduce_kernelIDF16_DF16_Li128ELi128ELi256ELi7EEvPT0_PKfS3_PKT_PKiS8_iS3_,"axG",@progbits,_Z35paged_attention_ll4mi_reduce_kernelIDF16_DF16_Li128ELi128ELi256ELi7EEvPT0_PKfS3_PKT_PKiS8_iS3_,comdat
.Lfunc_end272:
	.size	_Z35paged_attention_ll4mi_reduce_kernelIDF16_DF16_Li128ELi128ELi256ELi7EEvPT0_PKfS3_PKT_PKiS8_iS3_, .Lfunc_end272-_Z35paged_attention_ll4mi_reduce_kernelIDF16_DF16_Li128ELi128ELi256ELi7EEvPT0_PKfS3_PKT_PKiS8_iS3_
                                        ; -- End function
	.section	.AMDGPU.csdata,"",@progbits
; Kernel info:
; codeLenInByte = 6340
; NumSgprs: 49
; NumVgprs: 48
; ScratchSize: 0
; MemoryBound: 0
; FloatMode: 240
; IeeeMode: 1
; LDSByteSize: 900 bytes/workgroup (compile time only)
; SGPRBlocks: 6
; VGPRBlocks: 5
; NumSGPRsForWavesPerEU: 49
; NumVGPRsForWavesPerEU: 48
; Occupancy: 16
; WaveLimiterHint : 0
; COMPUTE_PGM_RSRC2:SCRATCH_EN: 0
; COMPUTE_PGM_RSRC2:USER_SGPR: 14
; COMPUTE_PGM_RSRC2:TRAP_HANDLER: 0
; COMPUTE_PGM_RSRC2:TGID_X_EN: 1
; COMPUTE_PGM_RSRC2:TGID_Y_EN: 1
; COMPUTE_PGM_RSRC2:TGID_Z_EN: 0
; COMPUTE_PGM_RSRC2:TIDIG_COMP_CNT: 0
	.section	.text._Z35paged_attention_ll4mi_reduce_kernelIDF16_DF16_Li128ELi128ELi256ELi8EEvPT0_PKfS3_PKT_PKiS8_iS3_,"axG",@progbits,_Z35paged_attention_ll4mi_reduce_kernelIDF16_DF16_Li128ELi128ELi256ELi8EEvPT0_PKfS3_PKT_PKiS8_iS3_,comdat
	.protected	_Z35paged_attention_ll4mi_reduce_kernelIDF16_DF16_Li128ELi128ELi256ELi8EEvPT0_PKfS3_PKT_PKiS8_iS3_ ; -- Begin function _Z35paged_attention_ll4mi_reduce_kernelIDF16_DF16_Li128ELi128ELi256ELi8EEvPT0_PKfS3_PKT_PKiS8_iS3_
	.globl	_Z35paged_attention_ll4mi_reduce_kernelIDF16_DF16_Li128ELi128ELi256ELi8EEvPT0_PKfS3_PKT_PKiS8_iS3_
	.p2align	8
	.type	_Z35paged_attention_ll4mi_reduce_kernelIDF16_DF16_Li128ELi128ELi256ELi8EEvPT0_PKfS3_PKT_PKiS8_iS3_,@function
_Z35paged_attention_ll4mi_reduce_kernelIDF16_DF16_Li128ELi128ELi256ELi8EEvPT0_PKfS3_PKT_PKiS8_iS3_: ; @_Z35paged_attention_ll4mi_reduce_kernelIDF16_DF16_Li128ELi128ELi256ELi8EEvPT0_PKfS3_PKT_PKiS8_iS3_
; %bb.0:
	s_load_b64 s[12:13], s[0:1], 0x28
	s_mov_b32 s2, s15
	s_waitcnt lgkmcnt(0)
	s_cmp_lg_u64 s[12:13], 0
	s_cselect_b32 s15, -1, 0
	s_delay_alu instid0(SALU_CYCLE_1)
	s_and_b32 vcc_lo, exec_lo, s15
	s_cbranch_vccz .LBB273_20
; %bb.1:
	s_add_i32 s4, s2, 1
	s_mov_b32 s5, 0
	s_delay_alu instid0(SALU_CYCLE_1) | instskip(SKIP_4) | instid1(SALU_CYCLE_1)
	s_lshl_b64 s[6:7], s[4:5], 2
	s_mov_b32 s3, s5
	s_add_u32 s6, s12, s6
	s_addc_u32 s7, s13, s7
	s_lshl_b64 s[8:9], s[2:3], 2
	s_add_u32 s8, s12, s8
	s_addc_u32 s9, s13, s9
	s_clause 0x1
	s_load_b32 s4, s[6:7], 0x0
	s_load_b32 s6, s[8:9], 0x0
	s_waitcnt lgkmcnt(0)
	s_sub_i32 s4, s4, s6
	s_delay_alu instid0(SALU_CYCLE_1)
	s_cmp_eq_u32 s4, 1
	s_cselect_b32 s4, -1, 0
	s_cbranch_execnz .LBB273_3
.LBB273_2:
	s_mov_b32 s3, 0
	s_mov_b32 s4, -1
.LBB273_3:
	s_delay_alu instid0(SALU_CYCLE_1)
	s_and_not1_b32 vcc_lo, exec_lo, s4
	s_cbranch_vccz .LBB273_5
; %bb.4:
	s_endpgm
.LBB273_5:
	s_clause 0x1
	s_load_b128 s[4:7], s[0:1], 0x18
	s_load_b32 s9, s[0:1], 0x30
	s_lshl_b64 s[16:17], s[2:3], 2
	s_waitcnt lgkmcnt(0)
	s_add_u32 s6, s6, s16
	s_addc_u32 s7, s7, s17
	s_load_b32 s23, s[6:7], 0x0
	s_load_b32 s33, s[0:1], 0x40
	s_mul_i32 s7, s2, s9
	s_waitcnt lgkmcnt(0)
	s_add_i32 s22, s23, 0xff
	s_delay_alu instid0(SALU_CYCLE_1) | instskip(NEXT) | instid1(SALU_CYCLE_1)
	s_ashr_i32 s6, s22, 31
	s_lshr_b32 s6, s6, 24
	s_delay_alu instid0(SALU_CYCLE_1) | instskip(SKIP_4) | instid1(SALU_CYCLE_1)
	s_add_i32 s8, s22, s6
	s_mul_i32 s6, s14, s9
	s_mov_b32 s9, exec_lo
	v_cmpx_lt_u32_e32 31, v0
	s_xor_b32 s9, exec_lo, s9
	s_or_saveexec_b32 s24, s9
	v_mov_b32_e32 v1, s6
	s_ashr_i32 s40, s8, 8
	s_mul_i32 s18, s7, s33
	s_xor_b32 exec_lo, exec_lo, s24
	s_cbranch_execz .LBB273_9
; %bb.6:
	v_or_b32_e32 v2, 32, v0
	v_cmp_gt_i32_e32 vcc_lo, s40, v0
	s_add_i32 s20, s40, -1
	v_or_b32_e32 v4, 64, v0
	v_or_b32_e32 v6, 0x60, v0
	s_load_b128 s[8:11], s[0:1], 0x8
	v_cndmask_b32_e32 v1, s20, v0, vcc_lo
	v_cmp_gt_i32_e32 vcc_lo, s40, v2
	s_mov_b32 s19, 0
	s_delay_alu instid0(SALU_CYCLE_1)
	s_mov_b32 s7, s19
	v_cndmask_b32_e32 v3, s20, v2, vcc_lo
	v_cmp_gt_i32_e32 vcc_lo, s40, v4
	v_or_b32_e32 v2, 0x80, v0
	v_cndmask_b32_e32 v5, s20, v4, vcc_lo
	v_cmp_gt_i32_e32 vcc_lo, s40, v6
	v_or_b32_e32 v4, 0xa0, v0
	v_cndmask_b32_e32 v7, s20, v6, vcc_lo
	v_cmp_gt_i32_e32 vcc_lo, s40, v2
	v_or_b32_e32 v6, 0xc0, v0
	s_delay_alu instid0(VALU_DEP_3) | instskip(SKIP_3) | instid1(VALU_DEP_4)
	v_ashrrev_i32_e32 v8, 31, v7
	v_cndmask_b32_e32 v9, s20, v2, vcc_lo
	v_cmp_gt_i32_e32 vcc_lo, s40, v4
	v_or_b32_e32 v2, 0xe0, v0
	v_lshlrev_b64 v[7:8], 2, v[7:8]
	s_delay_alu instid0(VALU_DEP_4) | instskip(SKIP_3) | instid1(VALU_DEP_4)
	v_ashrrev_i32_e32 v10, 31, v9
	v_cndmask_b32_e32 v11, s20, v4, vcc_lo
	v_cmp_gt_i32_e32 vcc_lo, s40, v6
	v_ashrrev_i32_e32 v4, 31, v3
	v_lshlrev_b64 v[9:10], 2, v[9:10]
	s_delay_alu instid0(VALU_DEP_4)
	v_ashrrev_i32_e32 v12, 31, v11
	v_cndmask_b32_e32 v13, s20, v6, vcc_lo
	v_cmp_gt_i32_e32 vcc_lo, s40, v2
	v_ashrrev_i32_e32 v6, 31, v5
	v_lshlrev_b64 v[3:4], 2, v[3:4]
	v_lshlrev_b64 v[11:12], 2, v[11:12]
	v_ashrrev_i32_e32 v14, 31, v13
	v_cndmask_b32_e32 v15, s20, v2, vcc_lo
	v_ashrrev_i32_e32 v2, 31, v1
	s_lshl_b64 s[20:21], s[18:19], 2
	v_lshlrev_b64 v[5:6], 2, v[5:6]
	s_waitcnt lgkmcnt(0)
	s_add_u32 s19, s10, s20
	s_addc_u32 s25, s11, s21
	v_lshlrev_b64 v[1:2], 2, v[1:2]
	s_lshl_b64 s[10:11], s[6:7], 2
	v_lshlrev_b64 v[13:14], 2, v[13:14]
	s_add_u32 s7, s19, s10
	s_addc_u32 s19, s25, s11
	s_delay_alu instid0(VALU_DEP_2)
	v_add_co_u32 v16, vcc_lo, s7, v1
	v_add_co_ci_u32_e32 v17, vcc_lo, s19, v2, vcc_lo
	v_add_co_u32 v18, vcc_lo, s7, v3
	v_add_co_ci_u32_e32 v19, vcc_lo, s19, v4, vcc_lo
	;; [unrolled: 2-line block ×4, first 2 shown]
	s_clause 0x3
	global_load_b32 v25, v[16:17], off
	global_load_b32 v26, v[18:19], off
	;; [unrolled: 1-line block ×4, first 2 shown]
	v_ashrrev_i32_e32 v16, 31, v15
	v_add_co_u32 v17, vcc_lo, s7, v9
	v_add_co_ci_u32_e32 v18, vcc_lo, s19, v10, vcc_lo
	v_add_co_u32 v19, vcc_lo, s7, v11
	s_delay_alu instid0(VALU_DEP_4) | instskip(SKIP_3) | instid1(VALU_DEP_4)
	v_lshlrev_b64 v[15:16], 2, v[15:16]
	v_add_co_ci_u32_e32 v20, vcc_lo, s19, v12, vcc_lo
	v_add_co_u32 v21, vcc_lo, s7, v13
	v_add_co_ci_u32_e32 v22, vcc_lo, s19, v14, vcc_lo
	v_add_co_u32 v23, vcc_lo, s7, v15
	v_add_co_ci_u32_e32 v24, vcc_lo, s19, v16, vcc_lo
	s_clause 0x3
	global_load_b32 v17, v[17:18], off
	global_load_b32 v18, v[19:20], off
	;; [unrolled: 1-line block ×4, first 2 shown]
	s_add_u32 s7, s8, s20
	s_addc_u32 s8, s9, s21
	s_add_u32 s7, s7, s10
	s_addc_u32 s8, s8, s11
	v_add_co_u32 v1, vcc_lo, s7, v1
	v_add_co_ci_u32_e32 v2, vcc_lo, s8, v2, vcc_lo
	v_add_co_u32 v3, vcc_lo, s7, v3
	v_add_co_ci_u32_e32 v4, vcc_lo, s8, v4, vcc_lo
	;; [unrolled: 2-line block ×5, first 2 shown]
	s_clause 0x4
	global_load_b32 v21, v[1:2], off
	global_load_b32 v3, v[3:4], off
	;; [unrolled: 1-line block ×5, first 2 shown]
	v_add_co_u32 v1, vcc_lo, s7, v11
	v_add_co_ci_u32_e32 v2, vcc_lo, s8, v12, vcc_lo
	global_load_b32 v7, v[1:2], off
	v_add_co_u32 v1, vcc_lo, s7, v13
	v_add_co_ci_u32_e32 v2, vcc_lo, s8, v14, vcc_lo
	global_load_b32 v8, v[1:2], off
	v_add_co_u32 v1, vcc_lo, s7, v15
	v_add_co_ci_u32_e32 v2, vcc_lo, s8, v16, vcc_lo
	s_mov_b32 s7, exec_lo
	global_load_b32 v11, v[1:2], off
	v_mbcnt_lo_u32_b32 v1, -1, 0
	s_delay_alu instid0(VALU_DEP_1)
	v_xor_b32_e32 v12, 8, v1
	v_xor_b32_e32 v13, 4, v1
	;; [unrolled: 1-line block ×4, first 2 shown]
	s_waitcnt vmcnt(14)
	v_dual_max_f32 v10, v25, v25 :: v_dual_max_f32 v9, v26, v26
	s_delay_alu instid0(VALU_DEP_1) | instskip(SKIP_2) | instid1(VALU_DEP_2)
	v_max_f32_e32 v2, v10, v9
	v_xor_b32_e32 v9, 16, v1
	s_waitcnt vmcnt(12)
	v_max3_f32 v2, v2, v27, v28
	s_delay_alu instid0(VALU_DEP_2) | instskip(SKIP_4) | instid1(VALU_DEP_3)
	v_cmp_gt_i32_e32 vcc_lo, 32, v9
	v_cndmask_b32_e32 v9, v1, v9, vcc_lo
	v_cmp_gt_i32_e32 vcc_lo, 32, v12
	s_waitcnt vmcnt(10)
	v_max3_f32 v2, v2, v17, v18
	v_dual_cndmask_b32 v12, v1, v12 :: v_dual_lshlrev_b32 v9, 2, v9
	v_cmp_gt_i32_e32 vcc_lo, 32, v13
	s_waitcnt vmcnt(8)
	s_delay_alu instid0(VALU_DEP_3) | instskip(NEXT) | instid1(VALU_DEP_3)
	v_max3_f32 v2, v2, v19, v20
	v_dual_cndmask_b32 v13, v1, v13 :: v_dual_lshlrev_b32 v12, 2, v12
	ds_bpermute_b32 v10, v9, v2
	v_cmp_gt_i32_e32 vcc_lo, 32, v14
	v_dual_cndmask_b32 v14, v1, v14 :: v_dual_lshlrev_b32 v13, 2, v13
	v_cmp_gt_i32_e32 vcc_lo, 32, v15
	s_delay_alu instid0(VALU_DEP_2) | instskip(SKIP_1) | instid1(VALU_DEP_1)
	v_dual_cndmask_b32 v1, v1, v15 :: v_dual_lshlrev_b32 v14, 2, v14
	s_waitcnt lgkmcnt(0)
	v_dual_max_f32 v10, v10, v10 :: v_dual_lshlrev_b32 v15, 2, v1
	s_delay_alu instid0(VALU_DEP_1) | instskip(SKIP_3) | instid1(VALU_DEP_1)
	v_max_f32_e32 v2, v2, v10
	ds_bpermute_b32 v10, v12, v2
	s_waitcnt lgkmcnt(0)
	v_max_f32_e32 v10, v10, v10
	v_max_f32_e32 v2, v2, v10
	ds_bpermute_b32 v10, v13, v2
	s_waitcnt lgkmcnt(0)
	v_max_f32_e32 v10, v10, v10
	s_delay_alu instid0(VALU_DEP_1) | instskip(SKIP_3) | instid1(VALU_DEP_1)
	v_max_f32_e32 v2, v2, v10
	ds_bpermute_b32 v10, v14, v2
	s_waitcnt lgkmcnt(0)
	v_max_f32_e32 v10, v10, v10
	v_max_f32_e32 v1, v2, v10
	ds_bpermute_b32 v2, v15, v1
	s_waitcnt lgkmcnt(0)
	v_max_f32_e32 v2, v2, v2
	s_delay_alu instid0(VALU_DEP_1) | instskip(SKIP_1) | instid1(VALU_DEP_2)
	v_max_f32_e32 v1, v1, v2
	v_sub_nc_u32_e32 v2, s40, v0
	v_sub_f32_e32 v23, v28, v1
	v_sub_f32_e32 v16, v26, v1
	s_delay_alu instid0(VALU_DEP_2)
	v_mul_f32_e32 v26, 0x3fb8aa3b, v23
	v_sub_f32_e32 v10, v25, v1
	v_sub_f32_e32 v22, v27, v1
	;; [unrolled: 1-line block ×4, first 2 shown]
	v_dual_sub_f32 v19, v19, v1 :: v_dual_mul_f32 v24, 0x3fb8aa3b, v16
	s_delay_alu instid0(VALU_DEP_4) | instskip(NEXT) | instid1(VALU_DEP_3)
	v_mul_f32_e32 v25, 0x3fb8aa3b, v22
	v_dual_sub_f32 v1, v20, v1 :: v_dual_mul_f32 v28, 0x3fb8aa3b, v18
	v_mul_f32_e32 v20, 0x3fb8aa3b, v10
	s_delay_alu instid0(VALU_DEP_4)
	v_fma_f32 v33, 0x3fb8aa3b, v16, -v24
	v_rndne_f32_e32 v34, v24
	v_fma_f32 v35, 0x3fb8aa3b, v22, -v25
	v_dual_mul_f32 v29, 0x3fb8aa3b, v19 :: v_dual_mul_f32 v30, 0x3fb8aa3b, v1
	v_fma_f32 v31, 0x3fb8aa3b, v10, -v20
	v_rndne_f32_e32 v32, v20
	v_mul_f32_e32 v27, 0x3fb8aa3b, v17
	v_dual_fmac_f32 v33, 0x32a5705f, v16 :: v_dual_sub_f32 v24, v24, v34
	s_delay_alu instid0(VALU_DEP_3) | instskip(SKIP_2) | instid1(VALU_DEP_4)
	v_dual_fmac_f32 v31, 0x32a5705f, v10 :: v_dual_sub_f32 v20, v20, v32
	v_cvt_i32_f32_e32 v32, v32
	v_fma_f32 v37, 0x3fb8aa3b, v23, -v26
	v_dual_add_f32 v24, v24, v33 :: v_dual_fmac_f32 v35, 0x32a5705f, v22
	s_delay_alu instid0(VALU_DEP_4)
	v_add_f32_e32 v20, v20, v31
	v_fma_f32 v39, 0x3fb8aa3b, v17, -v27
	v_fma_f32 v41, 0x3fb8aa3b, v18, -v28
	v_rndne_f32_e32 v42, v28
	v_fma_f32 v45, 0x3fb8aa3b, v1, -v30
	v_exp_f32_e32 v20, v20
	v_rndne_f32_e32 v46, v30
	v_cmp_ngt_f32_e32 vcc_lo, 0xc2ce8ed0, v10
	v_rndne_f32_e32 v36, v25
	v_fma_f32 v43, 0x3fb8aa3b, v19, -v29
	v_dual_fmac_f32 v37, 0x32a5705f, v23 :: v_dual_sub_f32 v28, v28, v42
	v_dual_fmac_f32 v39, 0x32a5705f, v17 :: v_dual_sub_f32 v30, v30, v46
	v_exp_f32_e32 v24, v24
	s_delay_alu instid0(TRANS32_DEP_2)
	v_ldexp_f32 v20, v20, v32
	v_fmac_f32_e32 v45, 0x32a5705f, v1
	v_rndne_f32_e32 v38, v26
	v_cvt_i32_f32_e32 v34, v34
	v_sub_f32_e32 v25, v25, v36
	v_dual_cndmask_b32 v20, 0, v20 :: v_dual_fmac_f32 v41, 0x32a5705f, v18
	v_dual_add_f32 v30, v30, v45 :: v_dual_fmac_f32 v43, 0x32a5705f, v19
	v_rndne_f32_e32 v40, v27
	v_sub_f32_e32 v26, v26, v38
	s_delay_alu instid0(VALU_DEP_4)
	v_add_f32_e32 v28, v28, v41
	v_ldexp_f32 v24, v24, v34
	v_cmp_ngt_f32_e32 vcc_lo, 0xc2ce8ed0, v16
	v_add_f32_e32 v25, v25, v35
	v_dual_sub_f32 v27, v27, v40 :: v_dual_add_f32 v26, v26, v37
	v_exp_f32_e32 v28, v28
	v_cvt_i32_f32_e32 v31, v42
	v_cndmask_b32_e32 v24, 0, v24, vcc_lo
	v_exp_f32_e32 v25, v25
	v_cvt_i32_f32_e32 v36, v36
	v_exp_f32_e32 v26, v26
	v_cvt_i32_f32_e32 v38, v38
	v_cmp_ngt_f32_e32 vcc_lo, 0xc2ce8ed0, v22
	v_rndne_f32_e32 v44, v29
	v_cvt_i32_f32_e32 v40, v40
	v_ldexp_f32 v28, v28, v31
	v_add_f32_e32 v27, v27, v39
	v_exp_f32_e32 v30, v30
	v_ldexp_f32 v25, v25, v36
	v_cvt_i32_f32_e32 v33, v44
	v_ldexp_f32 v26, v26, v38
	v_exp_f32_e32 v27, v27
	s_delay_alu instid0(VALU_DEP_3) | instskip(SKIP_1) | instid1(VALU_DEP_3)
	v_cndmask_b32_e32 v25, 0, v25, vcc_lo
	v_cmp_ngt_f32_e32 vcc_lo, 0xc2ce8ed0, v23
	v_dual_sub_f32 v29, v29, v44 :: v_dual_cndmask_b32 v26, 0, v26
	v_cmp_ngt_f32_e32 vcc_lo, 0xc2ce8ed0, v17
	s_waitcnt_depctr 0xfff
	v_ldexp_f32 v27, v27, v40
	s_delay_alu instid0(VALU_DEP_1)
	v_cndmask_b32_e32 v27, 0, v27, vcc_lo
	v_cmp_ngt_f32_e32 vcc_lo, 0xc2ce8ed0, v18
	v_cndmask_b32_e32 v28, 0, v28, vcc_lo
	v_cmp_nlt_f32_e32 vcc_lo, 0x42b17218, v10
	v_dual_add_f32 v29, v29, v43 :: v_dual_cndmask_b32 v10, 0x7f800000, v20
	v_cmp_nlt_f32_e32 vcc_lo, 0x42b17218, v16
	s_delay_alu instid0(VALU_DEP_2)
	v_exp_f32_e32 v29, v29
	v_cndmask_b32_e32 v16, 0x7f800000, v24, vcc_lo
	v_cmp_nlt_f32_e32 vcc_lo, 0x42b17218, v22
	v_cndmask_b32_e32 v20, 0x7f800000, v25, vcc_lo
	v_cmp_nlt_f32_e32 vcc_lo, 0x42b17218, v23
	s_waitcnt_depctr 0xfff
	v_ldexp_f32 v29, v29, v33
	v_cndmask_b32_e32 v22, 0x7f800000, v26, vcc_lo
	v_cmp_nlt_f32_e32 vcc_lo, 0x42b17218, v17
	v_cndmask_b32_e32 v17, 0x7f800000, v27, vcc_lo
	v_cmp_lt_i32_e32 vcc_lo, 0, v2
	v_cndmask_b32_e32 v10, 0, v10, vcc_lo
	v_cmp_lt_i32_e32 vcc_lo, 32, v2
	s_waitcnt vmcnt(7)
	s_delay_alu instid0(VALU_DEP_2) | instskip(SKIP_3) | instid1(VALU_DEP_2)
	v_mul_f32_e32 v10, v21, v10
	v_cndmask_b32_e32 v16, 0, v16, vcc_lo
	v_cmp_lt_i32_e32 vcc_lo, 64, v2
	s_waitcnt vmcnt(6)
	v_mul_f32_e32 v3, v3, v16
	v_cndmask_b32_e32 v20, 0, v20, vcc_lo
	v_cmp_lt_i32_e32 vcc_lo, 0x60, v2
	v_cndmask_b32_e32 v22, 0, v22, vcc_lo
	v_cmp_lt_i32_e32 vcc_lo, 0x80, v2
	v_cndmask_b32_e32 v17, 0, v17, vcc_lo
	v_cmp_nlt_f32_e32 vcc_lo, 0x42b17218, v18
	s_waitcnt vmcnt(3)
	s_delay_alu instid0(VALU_DEP_2) | instskip(SKIP_2) | instid1(VALU_DEP_2)
	v_mul_f32_e32 v6, v6, v17
	v_dual_mul_f32 v4, v4, v20 :: v_dual_add_f32 v17, v10, v3
	v_cvt_i32_f32_e32 v20, v46
	v_add_f32_e32 v17, v17, v4
	v_dual_mul_f32 v5, v5, v22 :: v_dual_cndmask_b32 v16, 0x7f800000, v28
	v_cmp_ngt_f32_e32 vcc_lo, 0xc2ce8ed0, v19
	s_delay_alu instid0(VALU_DEP_2)
	v_add_f32_e32 v17, v17, v5
	v_cndmask_b32_e32 v18, 0, v29, vcc_lo
	v_cmp_lt_i32_e32 vcc_lo, 0xa0, v2
	v_cndmask_b32_e32 v16, 0, v16, vcc_lo
	v_cmp_nlt_f32_e32 vcc_lo, 0x42b17218, v19
	s_waitcnt vmcnt(2)
	s_delay_alu instid0(VALU_DEP_2) | instskip(SKIP_3) | instid1(VALU_DEP_4)
	v_dual_mul_f32 v7, v7, v16 :: v_dual_cndmask_b32 v18, 0x7f800000, v18
	v_cmp_lt_i32_e32 vcc_lo, 0xc0, v2
	v_ldexp_f32 v16, v30, v20
	v_add_f32_e32 v17, v17, v6
	v_cndmask_b32_e32 v18, 0, v18, vcc_lo
	v_cmp_ngt_f32_e32 vcc_lo, 0xc2ce8ed0, v1
	s_delay_alu instid0(VALU_DEP_4) | instskip(SKIP_2) | instid1(VALU_DEP_2)
	v_cndmask_b32_e32 v16, 0, v16, vcc_lo
	v_cmp_nlt_f32_e32 vcc_lo, 0x42b17218, v1
	s_waitcnt vmcnt(1)
	v_dual_mul_f32 v8, v8, v18 :: v_dual_cndmask_b32 v1, 0x7f800000, v16
	v_add_f32_e32 v16, v17, v7
	v_cmp_lt_i32_e32 vcc_lo, 0xe0, v2
	s_delay_alu instid0(VALU_DEP_3) | instskip(NEXT) | instid1(VALU_DEP_3)
	v_cndmask_b32_e32 v17, 0, v1, vcc_lo
	v_add_f32_e32 v1, v16, v8
	s_waitcnt vmcnt(0)
	s_delay_alu instid0(VALU_DEP_1)
	v_fmac_f32_e32 v1, v11, v17
	v_mul_f32_e32 v11, v11, v17
	ds_bpermute_b32 v2, v9, v1
	v_lshlrev_b32_e32 v9, 2, v0
	ds_store_2addr_b32 v9, v10, v3 offset1:32
	ds_store_2addr_b32 v9, v4, v5 offset0:64 offset1:96
	ds_store_2addr_b32 v9, v6, v7 offset0:128 offset1:160
	;; [unrolled: 1-line block ×3, first 2 shown]
	s_waitcnt lgkmcnt(4)
	v_add_f32_e32 v1, v1, v2
	ds_bpermute_b32 v2, v12, v1
	s_waitcnt lgkmcnt(0)
	v_add_f32_e32 v1, v1, v2
	ds_bpermute_b32 v2, v13, v1
	;; [unrolled: 3-line block ×4, first 2 shown]
	v_cmpx_eq_u32_e32 0, v0
	s_cbranch_execz .LBB273_8
; %bb.7:
	s_waitcnt lgkmcnt(0)
	v_dual_add_f32 v1, v1, v2 :: v_dual_mov_b32 v2, 0
	ds_store_b32 v2, v1 offset:1024
.LBB273_8:
	s_or_b32 exec_lo, exec_lo, s7
	v_mov_b32_e32 v1, s6
.LBB273_9:
	s_or_b32 exec_lo, exec_lo, s24
	s_lshl_b32 s6, s18, 7
	s_mov_b32 s7, 0
	s_waitcnt lgkmcnt(0)
	v_dual_mov_b32 v2, 0 :: v_dual_lshlrev_b32 v1, 7, v1
	s_lshl_b64 s[6:7], s[6:7], 1
	v_lshlrev_b32_e32 v0, 1, v0
	s_add_u32 s34, s4, s6
	s_addc_u32 s35, s5, s7
	s_lshl_b32 s41, s40, 7
	v_lshlrev_b64 v[3:4], 1, v[1:2]
	s_add_i32 s42, s41, 0xffffff80
	s_cmpk_lt_i32 s22, 0x100
	v_dual_mov_b32 v30, 0 :: v_dual_mov_b32 v33, 0
	s_cselect_b32 s4, s42, 0
	s_delay_alu instid0(VALU_DEP_2)
	v_add_co_u32 v1, vcc_lo, s34, v3
	s_ashr_i32 s5, s4, 31
	v_add_co_ci_u32_e32 v3, vcc_lo, s35, v4, vcc_lo
	s_lshl_b64 s[4:5], s[4:5], 1
	s_cmpk_lt_i32 s22, 0x200
	v_add_co_u32 v1, vcc_lo, v1, v0
	s_cselect_b32 s6, s42, 0x80
	v_add_co_ci_u32_e32 v3, vcc_lo, 0, v3, vcc_lo
	s_ashr_i32 s7, s6, 31
	s_delay_alu instid0(VALU_DEP_2)
	v_add_co_u32 v4, vcc_lo, v1, s4
	s_lshl_b64 s[6:7], s[6:7], 1
	s_cmpk_lt_i32 s22, 0x300
	v_add_co_ci_u32_e32 v5, vcc_lo, s5, v3, vcc_lo
	s_cselect_b32 s8, s42, 0x100
	v_add_co_u32 v8, vcc_lo, v1, s6
	s_ashr_i32 s9, s8, 31
	v_add_co_ci_u32_e32 v9, vcc_lo, s7, v3, vcc_lo
	s_lshl_b64 s[8:9], s[8:9], 1
	s_cmpk_lt_i32 s22, 0x400
	v_add_co_u32 v10, vcc_lo, v1, s8
	s_cselect_b32 s10, s42, 0x180
	v_add_co_ci_u32_e32 v11, vcc_lo, s9, v3, vcc_lo
	s_ashr_i32 s11, s10, 31
	v_dual_mov_b32 v32, 0 :: v_dual_mov_b32 v35, 0
	s_lshl_b64 s[10:11], s[10:11], 1
	s_cmpk_lt_i32 s22, 0x500
	v_add_co_u32 v12, vcc_lo, v1, s10
	s_cselect_b32 s18, s42, 0x200
	v_add_co_ci_u32_e32 v13, vcc_lo, s11, v3, vcc_lo
	s_ashr_i32 s19, s18, 31
	v_mov_b32_e32 v34, 0
	s_lshl_b64 s[18:19], s[18:19], 1
	s_cmpk_lt_i32 s22, 0x600
	v_add_co_u32 v14, vcc_lo, v1, s18
	s_cselect_b32 s20, s42, 0x280
	v_add_co_ci_u32_e32 v15, vcc_lo, s19, v3, vcc_lo
	s_ashr_i32 s21, s20, 31
	v_mov_b32_e32 v29, 0
	;; [unrolled: 7-line block ×3, first 2 shown]
	s_lshl_b64 s[24:25], s[24:25], 1
	s_cmpk_lt_i32 s22, 0x800
	v_add_co_u32 v18, vcc_lo, v1, s24
	s_cselect_b32 s26, s42, 0x380
	v_add_co_ci_u32_e32 v19, vcc_lo, s25, v3, vcc_lo
	s_ashr_i32 s27, s26, 31
	s_delay_alu instid0(SALU_CYCLE_1)
	s_lshl_b64 s[26:27], s[26:27], 1
	s_cmpk_lt_i32 s22, 0x900
	v_add_co_u32 v20, vcc_lo, v1, s26
	s_cselect_b32 s28, s42, 0x400
	v_add_co_ci_u32_e32 v21, vcc_lo, s27, v3, vcc_lo
	s_ashr_i32 s29, s28, 31
	s_clause 0x7
	global_load_u16 v7, v[4:5], off
	global_load_u16 v8, v[8:9], off
	;; [unrolled: 1-line block ×8, first 2 shown]
	s_lshl_b64 s[28:29], s[28:29], 1
	s_cmpk_lt_i32 s22, 0xa00
	v_add_co_u32 v12, vcc_lo, v1, s28
	s_cselect_b32 s30, s42, 0x480
	v_add_co_ci_u32_e32 v13, vcc_lo, s29, v3, vcc_lo
	s_ashr_i32 s31, s30, 31
	s_delay_alu instid0(SALU_CYCLE_1)
	s_lshl_b64 s[30:31], s[30:31], 1
	s_cmpk_lt_i32 s22, 0xb00
	v_add_co_u32 v15, vcc_lo, v1, s30
	s_cselect_b32 s34, s42, 0x500
	v_add_co_ci_u32_e32 v16, vcc_lo, s31, v3, vcc_lo
	s_ashr_i32 s35, s34, 31
	s_delay_alu instid0(SALU_CYCLE_1)
	;; [unrolled: 7-line block ×7, first 2 shown]
	s_lshl_b64 s[4:5], s[6:7], 1
	s_cmpk_gt_i32 s23, 0x1000
	v_add_co_u32 v27, vcc_lo, v1, s4
	v_add_co_ci_u32_e32 v28, vcc_lo, s5, v3, vcc_lo
	s_clause 0x7
	global_load_u16 v14, v[12:13], off
	global_load_u16 v15, v[15:16], off
	;; [unrolled: 1-line block ×8, first 2 shown]
	v_dual_mov_b32 v20, 0 :: v_dual_mov_b32 v23, 0
	v_dual_mov_b32 v21, 0 :: v_dual_mov_b32 v22, 0
	;; [unrolled: 1-line block ×4, first 2 shown]
	v_mov_b32_e32 v28, 0
	s_cselect_b32 s8, -1, 0
	s_cmpk_lt_i32 s23, 0x1001
	s_waitcnt vmcnt(0)
	s_barrier
	buffer_gl0_inv
	s_cbranch_scc1 .LBB273_11
; %bb.10:
	s_cmpk_lt_i32 s22, 0x1100
	s_cselect_b32 s4, s42, 0x800
	s_delay_alu instid0(SALU_CYCLE_1) | instskip(NEXT) | instid1(SALU_CYCLE_1)
	s_ashr_i32 s5, s4, 31
	s_lshl_b64 s[4:5], s[4:5], 1
	s_cmpk_lt_i32 s22, 0x1200
	v_add_co_u32 v20, vcc_lo, v1, s4
	s_cselect_b32 s6, s42, 0x880
	v_add_co_ci_u32_e32 v21, vcc_lo, s5, v3, vcc_lo
	s_ashr_i32 s7, s6, 31
	s_delay_alu instid0(SALU_CYCLE_1)
	s_lshl_b64 s[6:7], s[6:7], 1
	s_cmpk_lt_i32 s22, 0x1300
	v_add_co_u32 v22, vcc_lo, v1, s6
	s_cselect_b32 s10, s42, 0x900
	v_add_co_ci_u32_e32 v23, vcc_lo, s7, v3, vcc_lo
	s_ashr_i32 s11, s10, 31
	s_delay_alu instid0(SALU_CYCLE_1)
	s_lshl_b64 s[10:11], s[10:11], 1
	s_cmpk_lt_i32 s22, 0x1400
	v_add_co_u32 v24, vcc_lo, v1, s10
	s_cselect_b32 s18, s42, 0x980
	v_add_co_ci_u32_e32 v25, vcc_lo, s11, v3, vcc_lo
	s_ashr_i32 s19, s18, 31
	s_delay_alu instid0(SALU_CYCLE_1)
	s_lshl_b64 s[18:19], s[18:19], 1
	s_cmpk_lt_i32 s22, 0x1500
	v_add_co_u32 v26, vcc_lo, v1, s18
	s_cselect_b32 s20, s42, 0xa00
	v_add_co_ci_u32_e32 v27, vcc_lo, s19, v3, vcc_lo
	s_ashr_i32 s21, s20, 31
	s_delay_alu instid0(SALU_CYCLE_1)
	s_lshl_b64 s[20:21], s[20:21], 1
	s_cmpk_lt_i32 s22, 0x1600
	v_add_co_u32 v28, vcc_lo, v1, s20
	s_cselect_b32 s24, s42, 0xa80
	v_add_co_ci_u32_e32 v29, vcc_lo, s21, v3, vcc_lo
	s_ashr_i32 s25, s24, 31
	s_delay_alu instid0(SALU_CYCLE_1)
	s_lshl_b64 s[24:25], s[24:25], 1
	s_cmpk_lt_i32 s22, 0x1700
	v_add_co_u32 v30, vcc_lo, v1, s24
	s_cselect_b32 s26, s42, 0xb00
	v_add_co_ci_u32_e32 v31, vcc_lo, s25, v3, vcc_lo
	s_ashr_i32 s27, s26, 31
	s_delay_alu instid0(SALU_CYCLE_1)
	s_lshl_b64 s[26:27], s[26:27], 1
	s_cmpk_lt_i32 s22, 0x1800
	v_add_co_u32 v32, vcc_lo, v1, s26
	s_cselect_b32 s28, s42, 0xb80
	v_add_co_ci_u32_e32 v33, vcc_lo, s27, v3, vcc_lo
	s_ashr_i32 s29, s28, 31
	s_delay_alu instid0(SALU_CYCLE_1)
	s_lshl_b64 s[28:29], s[28:29], 1
	s_cmpk_lt_i32 s22, 0x1900
	v_add_co_u32 v34, vcc_lo, v1, s28
	s_cselect_b32 s30, s42, 0xc00
	v_add_co_ci_u32_e32 v35, vcc_lo, s29, v3, vcc_lo
	s_ashr_i32 s31, s30, 31
	s_clause 0x7
	global_load_u16 v36, v[20:21], off
	global_load_u16 v37, v[22:23], off
	;; [unrolled: 1-line block ×8, first 2 shown]
	s_lshl_b64 s[30:31], s[30:31], 1
	s_cmpk_lt_i32 s22, 0x1a00
	v_add_co_u32 v20, vcc_lo, v1, s30
	s_cselect_b32 s34, s42, 0xc80
	v_add_co_ci_u32_e32 v21, vcc_lo, s31, v3, vcc_lo
	s_ashr_i32 s35, s34, 31
	s_delay_alu instid0(SALU_CYCLE_1)
	s_lshl_b64 s[34:35], s[34:35], 1
	s_cmpk_lt_i32 s22, 0x1b00
	v_add_co_u32 v22, vcc_lo, v1, s34
	s_cselect_b32 s36, s42, 0xd00
	v_add_co_ci_u32_e32 v23, vcc_lo, s35, v3, vcc_lo
	s_ashr_i32 s37, s36, 31
	s_delay_alu instid0(SALU_CYCLE_1)
	;; [unrolled: 7-line block ×6, first 2 shown]
	s_lshl_b64 s[4:5], s[20:21], 1
	s_cmpk_lt_i32 s22, 0x2000
	v_add_co_u32 v32, vcc_lo, v1, s4
	s_cselect_b32 s6, s42, 0xf80
	v_add_co_ci_u32_e32 v33, vcc_lo, s5, v3, vcc_lo
	s_ashr_i32 s7, s6, 31
	s_delay_alu instid0(SALU_CYCLE_1) | instskip(NEXT) | instid1(SALU_CYCLE_1)
	s_lshl_b64 s[4:5], s[6:7], 1
	v_add_co_u32 v34, vcc_lo, v1, s4
	v_add_co_ci_u32_e32 v35, vcc_lo, s5, v3, vcc_lo
	s_clause 0x7
	global_load_u16 v20, v[20:21], off
	global_load_u16 v21, v[22:23], off
	;; [unrolled: 1-line block ×8, first 2 shown]
	s_waitcnt vmcnt(15)
	v_cvt_f32_f16_e32 v35, v36
	s_waitcnt vmcnt(14)
	v_cvt_f32_f16_e32 v34, v37
	;; [unrolled: 2-line block ×16, first 2 shown]
.LBB273_11:
	ds_load_b128 v[36:39], v2
	ds_load_b128 v[40:43], v2 offset:16
	s_load_b64 s[0:1], s[0:1], 0x0
	s_and_b32 vcc_lo, exec_lo, s8
	s_waitcnt lgkmcnt(0)
	v_fma_mix_f32 v7, v36, v7, 0 op_sel_hi:[0,1,0]
	s_delay_alu instid0(VALU_DEP_1) | instskip(NEXT) | instid1(VALU_DEP_1)
	v_fma_mix_f32 v7, v37, v8, v7 op_sel_hi:[0,1,0]
	v_fma_mix_f32 v7, v38, v9, v7 op_sel_hi:[0,1,0]
	s_delay_alu instid0(VALU_DEP_1) | instskip(SKIP_4) | instid1(VALU_DEP_1)
	v_fma_mix_f32 v7, v39, v10, v7 op_sel_hi:[0,1,0]
	ds_load_b128 v[36:39], v2 offset:48
	v_fma_mix_f32 v11, v40, v11, v7 op_sel_hi:[0,1,0]
	ds_load_b128 v[7:10], v2 offset:32
	v_fma_mix_f32 v4, v41, v4, v11 op_sel_hi:[0,1,0]
	v_fma_mix_f32 v4, v42, v5, v4 op_sel_hi:[0,1,0]
	s_delay_alu instid0(VALU_DEP_1) | instskip(SKIP_1) | instid1(VALU_DEP_1)
	v_fma_mix_f32 v4, v43, v6, v4 op_sel_hi:[0,1,0]
	s_waitcnt lgkmcnt(0)
	v_fma_mix_f32 v4, v7, v14, v4 op_sel_hi:[0,1,0]
	s_delay_alu instid0(VALU_DEP_1) | instskip(NEXT) | instid1(VALU_DEP_1)
	v_fma_mix_f32 v4, v8, v15, v4 op_sel_hi:[0,1,0]
	v_fma_mix_f32 v4, v9, v16, v4 op_sel_hi:[0,1,0]
	s_delay_alu instid0(VALU_DEP_1) | instskip(NEXT) | instid1(VALU_DEP_1)
	v_fma_mix_f32 v4, v10, v17, v4 op_sel_hi:[0,1,0]
	;; [unrolled: 3-line block ×3, first 2 shown]
	v_fma_mix_f32 v4, v38, v13, v4 op_sel_hi:[0,1,0]
	s_delay_alu instid0(VALU_DEP_1)
	v_fma_mix_f32 v4, v39, v19, v4 op_sel_hi:[0,1,0]
	s_cbranch_vccz .LBB273_13
; %bb.12:
	ds_load_b128 v[5:8], v2 offset:64
	ds_load_b128 v[9:12], v2 offset:80
	s_waitcnt lgkmcnt(1)
	v_fmac_f32_e32 v4, v5, v35
	s_delay_alu instid0(VALU_DEP_1) | instskip(NEXT) | instid1(VALU_DEP_1)
	v_fmac_f32_e32 v4, v6, v34
	v_fmac_f32_e32 v4, v7, v33
	s_delay_alu instid0(VALU_DEP_1) | instskip(SKIP_3) | instid1(VALU_DEP_1)
	v_fmac_f32_e32 v4, v8, v32
	ds_load_b128 v[5:8], v2 offset:96
	s_waitcnt lgkmcnt(1)
	v_fmac_f32_e32 v4, v9, v31
	v_fmac_f32_e32 v4, v10, v30
	s_delay_alu instid0(VALU_DEP_1) | instskip(NEXT) | instid1(VALU_DEP_1)
	v_fmac_f32_e32 v4, v11, v29
	v_fmac_f32_e32 v4, v12, v28
	ds_load_b128 v[9:12], v2 offset:112
	s_waitcnt lgkmcnt(1)
	v_fmac_f32_e32 v4, v5, v27
	s_delay_alu instid0(VALU_DEP_1) | instskip(NEXT) | instid1(VALU_DEP_1)
	v_fmac_f32_e32 v4, v6, v26
	v_fmac_f32_e32 v4, v7, v25
	s_delay_alu instid0(VALU_DEP_1) | instskip(SKIP_1) | instid1(VALU_DEP_1)
	v_fmac_f32_e32 v4, v8, v24
	s_waitcnt lgkmcnt(0)
	v_fmac_f32_e32 v4, v9, v23
	s_delay_alu instid0(VALU_DEP_1) | instskip(NEXT) | instid1(VALU_DEP_1)
	v_fmac_f32_e32 v4, v10, v22
	v_fmac_f32_e32 v4, v11, v21
	s_delay_alu instid0(VALU_DEP_1)
	v_fmac_f32_e32 v4, v12, v20
.LBB273_13:
	s_movk_i32 s43, 0x1f80
	s_movk_i32 s44, 0x80
	s_mov_b32 s45, 32
	s_branch .LBB273_15
.LBB273_14:                             ;   in Loop: Header=BB273_15 Depth=1
	s_addk_i32 s43, 0x1000
	s_addk_i32 s44, 0x80
	s_add_i32 s45, s45, 32
	s_cmpk_eq_u32 s43, 0x8f80
	s_cbranch_scc1 .LBB273_17
.LBB273_15:                             ; =>This Inner Loop Header: Depth=1
	s_cmp_le_i32 s40, s45
	s_cbranch_scc1 .LBB273_14
; %bb.16:                               ;   in Loop: Header=BB273_15 Depth=1
	s_add_i32 s4, s43, 0xfffff080
	v_mov_b32_e32 v44, s44
	s_cmp_lt_i32 s4, s41
	s_cselect_b32 s4, s4, s42
	s_add_i32 s6, s43, 0xfffff100
	s_ashr_i32 s5, s4, 31
	s_delay_alu instid0(SALU_CYCLE_1)
	s_lshl_b64 s[4:5], s[4:5], 1
	s_cmp_lt_i32 s6, s41
	v_add_co_u32 v5, vcc_lo, v1, s4
	s_cselect_b32 s6, s6, s42
	s_add_i32 s10, s43, 0xfffff180
	s_ashr_i32 s7, s6, 31
	v_add_co_ci_u32_e32 v6, vcc_lo, s5, v3, vcc_lo
	s_lshl_b64 s[8:9], s[6:7], 1
	s_cmp_lt_i32 s10, s41
	v_add_co_u32 v7, vcc_lo, v1, s8
	s_cselect_b32 s6, s10, s42
	s_add_i32 s10, s43, 0xfffff200
	s_ashr_i32 s7, s6, 31
	v_add_co_ci_u32_e32 v8, vcc_lo, s9, v3, vcc_lo
	;; [unrolled: 7-line block ×8, first 2 shown]
	s_lshl_b64 s[24:25], s[20:21], 1
	s_cmp_lt_i32 s28, s41
	s_clause 0x7
	global_load_u16 v2, v[5:6], off
	global_load_u16 v21, v[7:8], off
	;; [unrolled: 1-line block ×8, first 2 shown]
	s_cselect_b32 s20, s28, s42
	s_add_i32 s28, s43, 0xfffff580
	s_ashr_i32 s21, s20, 31
	v_add_co_u32 v5, vcc_lo, v1, s24
	s_lshl_b64 s[20:21], s[20:21], 1
	s_cmp_lt_i32 s28, s41
	v_add_co_ci_u32_e32 v6, vcc_lo, s25, v3, vcc_lo
	s_cselect_b32 s28, s28, s42
	s_add_i32 s36, s43, 0xfffff600
	s_ashr_i32 s29, s28, 31
	v_add_co_u32 v7, vcc_lo, v1, s20
	s_lshl_b64 s[30:31], s[28:29], 1
	s_cmp_lt_i32 s36, s41
	v_add_co_ci_u32_e32 v8, vcc_lo, s21, v3, vcc_lo
	;; [unrolled: 7-line block ×8, first 2 shown]
	s_cselect_b32 s10, s10, s42
	s_add_i32 s18, s43, 0xfffff980
	s_ashr_i32 s11, s10, 31
	s_clause 0x7
	global_load_u16 v28, v[5:6], off
	global_load_u16 v29, v[7:8], off
	;; [unrolled: 1-line block ×8, first 2 shown]
	s_lshl_b64 s[10:11], s[10:11], 1
	s_cmp_lt_i32 s18, s41
	v_add_co_u32 v5, vcc_lo, v1, s4
	s_cselect_b32 s18, s18, s42
	s_add_i32 s22, s43, 0xfffffa00
	s_ashr_i32 s19, s18, 31
	v_add_co_ci_u32_e32 v6, vcc_lo, s5, v3, vcc_lo
	s_lshl_b64 s[18:19], s[18:19], 1
	s_cmp_lt_i32 s22, s41
	v_add_co_u32 v7, vcc_lo, v1, s10
	s_cselect_b32 s20, s22, s42
	s_add_i32 s22, s43, 0xfffffa80
	s_ashr_i32 s21, s20, 31
	v_add_co_ci_u32_e32 v8, vcc_lo, s11, v3, vcc_lo
	;; [unrolled: 7-line block ×5, first 2 shown]
	s_lshl_b64 s[6:7], s[6:7], 1
	s_cmp_lt_i32 s24, s41
	s_clause 0x4
	global_load_u16 v19, v[5:6], off
	global_load_u16 v20, v[7:8], off
	;; [unrolled: 1-line block ×5, first 2 shown]
	s_cselect_b32 s4, s24, s42
	s_add_i32 s10, s43, 0xfffffc80
	s_ashr_i32 s5, s4, 31
	v_add_co_u32 v5, vcc_lo, v1, s8
	s_lshl_b64 s[4:5], s[4:5], 1
	s_cmp_lt_i32 s10, s41
	v_add_co_ci_u32_e32 v6, vcc_lo, s9, v3, vcc_lo
	s_cselect_b32 s10, s10, s42
	s_add_i32 s18, s43, 0xfffffd00
	s_ashr_i32 s11, s10, 31
	v_add_co_u32 v7, vcc_lo, v1, s6
	s_lshl_b64 s[10:11], s[10:11], 1
	s_cmp_lt_i32 s18, s41
	v_add_co_ci_u32_e32 v8, vcc_lo, s7, v3, vcc_lo
	s_cselect_b32 s18, s18, s42
	s_add_i32 s20, s43, 0xfffffd80
	s_ashr_i32 s19, s18, 31
	v_add_co_u32 v9, vcc_lo, v1, s4
	s_lshl_b64 s[18:19], s[18:19], 1
	s_cmp_lt_i32 s20, s41
	global_load_u16 v37, v[5:6], off
	s_cselect_b32 s8, s20, s42
	s_add_i32 s20, s43, 0xfffffe00
	s_ashr_i32 s9, s8, 31
	v_add_co_ci_u32_e32 v10, vcc_lo, s5, v3, vcc_lo
	s_lshl_b64 s[6:7], s[8:9], 1
	s_cmp_lt_i32 s20, s41
	v_add_co_u32 v11, vcc_lo, v1, s10
	s_cselect_b32 s4, s20, s42
	s_clause 0x1
	global_load_u16 v38, v[7:8], off
	global_load_u16 v39, v[9:10], off
	v_add_co_ci_u32_e32 v12, vcc_lo, s11, v3, vcc_lo
	s_ashr_i32 s5, s4, 31
	s_add_i32 s8, s43, 0xfffffe80
	v_add_co_u32 v13, vcc_lo, v1, s18
	s_lshl_b64 s[4:5], s[4:5], 1
	s_cmp_lt_i32 s8, s41
	v_add_co_ci_u32_e32 v14, vcc_lo, s19, v3, vcc_lo
	v_add_co_u32 v15, vcc_lo, v1, s6
	s_cselect_b32 s8, s8, s42
	v_add_co_ci_u32_e32 v16, vcc_lo, s7, v3, vcc_lo
	s_ashr_i32 s9, s8, 31
	s_add_i32 s10, s43, 0xffffff00
	s_lshl_b64 s[6:7], s[8:9], 1
	s_clause 0x2
	global_load_u16 v40, v[11:12], off
	global_load_u16 v13, v[13:14], off
	;; [unrolled: 1-line block ×3, first 2 shown]
	s_cmp_lt_i32 s10, s41
	v_add_co_u32 v5, vcc_lo, v1, s4
	s_cselect_b32 s8, s10, s42
	s_add_i32 s10, s43, 0xffffff80
	s_ashr_i32 s9, s8, 31
	v_add_co_ci_u32_e32 v6, vcc_lo, s5, v3, vcc_lo
	s_lshl_b64 s[8:9], s[8:9], 1
	s_cmp_lt_i32 s10, s41
	v_add_co_u32 v7, vcc_lo, v1, s6
	s_cselect_b32 s4, s10, s42
	v_add_co_ci_u32_e32 v8, vcc_lo, s7, v3, vcc_lo
	s_ashr_i32 s5, s4, 31
	v_add_co_u32 v9, vcc_lo, v1, s8
	global_load_u16 v15, v[5:6], off
	s_lshl_b64 s[4:5], s[4:5], 1
	v_add_co_ci_u32_e32 v10, vcc_lo, s9, v3, vcc_lo
	s_cmp_lt_i32 s43, s41
	s_clause 0x1
	global_load_u16 v16, v[7:8], off
	global_load_u16 v41, v[9:10], off
	s_cselect_b32 s6, s43, s42
	v_add_co_u32 v5, vcc_lo, v1, s4
	s_ashr_i32 s7, s6, 31
	v_add_co_ci_u32_e32 v6, vcc_lo, s5, v3, vcc_lo
	s_lshl_b64 s[4:5], s[6:7], 1
	s_delay_alu instid0(SALU_CYCLE_1)
	v_add_co_u32 v7, vcc_lo, v1, s4
	v_add_co_ci_u32_e32 v8, vcc_lo, s5, v3, vcc_lo
	s_clause 0x1
	global_load_u16 v42, v[5:6], off
	global_load_u16 v43, v[7:8], off
	ds_load_b128 v[5:8], v44
	ds_load_b128 v[9:12], v44 offset:16
	s_waitcnt vmcnt(31) lgkmcnt(1)
	v_fma_mix_f32 v2, v5, v2, v4 op_sel_hi:[0,1,0]
	s_waitcnt vmcnt(30)
	s_delay_alu instid0(VALU_DEP_1) | instskip(SKIP_1) | instid1(VALU_DEP_1)
	v_fma_mix_f32 v2, v6, v21, v2 op_sel_hi:[0,1,0]
	s_waitcnt vmcnt(29)
	v_fma_mix_f32 v2, v7, v22, v2 op_sel_hi:[0,1,0]
	ds_load_b128 v[4:7], v44 offset:32
	s_waitcnt vmcnt(28)
	v_fma_mix_f32 v2, v8, v23, v2 op_sel_hi:[0,1,0]
	s_waitcnt vmcnt(27) lgkmcnt(1)
	s_delay_alu instid0(VALU_DEP_1) | instskip(SKIP_1) | instid1(VALU_DEP_1)
	v_fma_mix_f32 v2, v9, v24, v2 op_sel_hi:[0,1,0]
	s_waitcnt vmcnt(26)
	v_fma_mix_f32 v2, v10, v25, v2 op_sel_hi:[0,1,0]
	s_waitcnt vmcnt(25)
	s_delay_alu instid0(VALU_DEP_1) | instskip(SKIP_4) | instid1(VALU_DEP_1)
	v_fma_mix_f32 v2, v11, v26, v2 op_sel_hi:[0,1,0]
	ds_load_b128 v[8:11], v44 offset:48
	s_waitcnt vmcnt(24)
	v_fma_mix_f32 v2, v12, v27, v2 op_sel_hi:[0,1,0]
	s_waitcnt vmcnt(23) lgkmcnt(1)
	v_fma_mix_f32 v2, v4, v28, v2 op_sel_hi:[0,1,0]
	s_waitcnt vmcnt(22)
	s_delay_alu instid0(VALU_DEP_1) | instskip(SKIP_1) | instid1(VALU_DEP_1)
	v_fma_mix_f32 v2, v5, v29, v2 op_sel_hi:[0,1,0]
	s_waitcnt vmcnt(21)
	v_fma_mix_f32 v2, v6, v30, v2 op_sel_hi:[0,1,0]
	s_waitcnt vmcnt(20)
	s_delay_alu instid0(VALU_DEP_1) | instskip(SKIP_4) | instid1(VALU_DEP_1)
	v_fma_mix_f32 v2, v7, v31, v2 op_sel_hi:[0,1,0]
	ds_load_b128 v[4:7], v44 offset:64
	s_waitcnt vmcnt(19) lgkmcnt(1)
	v_fma_mix_f32 v2, v8, v32, v2 op_sel_hi:[0,1,0]
	s_waitcnt vmcnt(18)
	v_fma_mix_f32 v2, v9, v33, v2 op_sel_hi:[0,1,0]
	s_waitcnt vmcnt(17)
	s_delay_alu instid0(VALU_DEP_1) | instskip(SKIP_1) | instid1(VALU_DEP_1)
	v_fma_mix_f32 v2, v10, v17, v2 op_sel_hi:[0,1,0]
	s_waitcnt vmcnt(16)
	v_fma_mix_f32 v2, v11, v18, v2 op_sel_hi:[0,1,0]
	ds_load_b128 v[8:11], v44 offset:80
	s_waitcnt vmcnt(15) lgkmcnt(1)
	v_fma_mix_f32 v2, v4, v19, v2 op_sel_hi:[0,1,0]
	s_waitcnt vmcnt(14)
	s_delay_alu instid0(VALU_DEP_1) | instskip(SKIP_1) | instid1(VALU_DEP_1)
	v_fma_mix_f32 v2, v5, v20, v2 op_sel_hi:[0,1,0]
	s_waitcnt vmcnt(13)
	v_fma_mix_f32 v2, v6, v34, v2 op_sel_hi:[0,1,0]
	s_waitcnt vmcnt(12)
	s_delay_alu instid0(VALU_DEP_1) | instskip(SKIP_4) | instid1(VALU_DEP_1)
	v_fma_mix_f32 v2, v7, v35, v2 op_sel_hi:[0,1,0]
	ds_load_b128 v[4:7], v44 offset:96
	s_waitcnt vmcnt(11) lgkmcnt(1)
	v_fma_mix_f32 v2, v8, v36, v2 op_sel_hi:[0,1,0]
	s_waitcnt vmcnt(10)
	v_fma_mix_f32 v2, v9, v37, v2 op_sel_hi:[0,1,0]
	s_waitcnt vmcnt(9)
	s_delay_alu instid0(VALU_DEP_1) | instskip(SKIP_1) | instid1(VALU_DEP_1)
	v_fma_mix_f32 v2, v10, v38, v2 op_sel_hi:[0,1,0]
	s_waitcnt vmcnt(8)
	v_fma_mix_f32 v2, v11, v39, v2 op_sel_hi:[0,1,0]
	ds_load_b128 v[8:11], v44 offset:112
	s_waitcnt vmcnt(7) lgkmcnt(1)
	v_fma_mix_f32 v2, v4, v40, v2 op_sel_hi:[0,1,0]
	s_waitcnt vmcnt(6)
	s_delay_alu instid0(VALU_DEP_1) | instskip(SKIP_1) | instid1(VALU_DEP_1)
	v_fma_mix_f32 v2, v5, v13, v2 op_sel_hi:[0,1,0]
	s_waitcnt vmcnt(5)
	v_fma_mix_f32 v2, v6, v14, v2 op_sel_hi:[0,1,0]
	s_waitcnt vmcnt(4)
	s_delay_alu instid0(VALU_DEP_1) | instskip(SKIP_1) | instid1(VALU_DEP_1)
	v_fma_mix_f32 v2, v7, v15, v2 op_sel_hi:[0,1,0]
	s_waitcnt vmcnt(3) lgkmcnt(0)
	v_fma_mix_f32 v2, v8, v16, v2 op_sel_hi:[0,1,0]
	s_waitcnt vmcnt(2)
	s_delay_alu instid0(VALU_DEP_1) | instskip(SKIP_1) | instid1(VALU_DEP_1)
	v_fma_mix_f32 v2, v9, v41, v2 op_sel_hi:[0,1,0]
	s_waitcnt vmcnt(1)
	v_fma_mix_f32 v2, v10, v42, v2 op_sel_hi:[0,1,0]
	s_waitcnt vmcnt(0)
	s_delay_alu instid0(VALU_DEP_1)
	v_fma_mix_f32 v4, v11, v43, v2 op_sel_hi:[0,1,0]
	s_branch .LBB273_14
.LBB273_17:
	v_mov_b32_e32 v1, 0
	s_and_b32 vcc_lo, exec_lo, s15
	ds_load_b32 v1, v1 offset:1024
	s_cbranch_vccz .LBB273_19
; %bb.18:
	s_add_u32 s2, s12, s16
	s_addc_u32 s3, s13, s17
	s_load_b32 s2, s[2:3], 0x0
	s_mov_b32 s3, 0
.LBB273_19:
	s_waitcnt lgkmcnt(0)
	v_add_f32_e32 v1, 0x358637bd, v1
	s_mul_i32 s3, s33, s3
	s_mul_hi_u32 s4, s33, s2
	s_mul_i32 s2, s33, s2
	s_add_i32 s3, s4, s3
	v_div_scale_f32 v2, null, v1, v1, 1.0
	s_lshl_b64 s[2:3], s[2:3], 8
	s_mov_b32 s15, 0
	s_add_u32 s2, s0, s2
	s_delay_alu instid0(VALU_DEP_1) | instskip(SKIP_2) | instid1(SALU_CYCLE_1)
	v_rcp_f32_e32 v3, v2
	s_addc_u32 s3, s1, s3
	s_lshl_b64 s[0:1], s[14:15], 8
	s_add_u32 s0, s2, s0
	s_addc_u32 s1, s3, s1
	s_waitcnt_depctr 0xfff
	v_fma_f32 v5, -v2, v3, 1.0
	s_delay_alu instid0(VALU_DEP_1) | instskip(SKIP_1) | instid1(VALU_DEP_1)
	v_fmac_f32_e32 v3, v5, v3
	v_div_scale_f32 v5, vcc_lo, 1.0, v1, 1.0
	v_mul_f32_e32 v6, v5, v3
	s_delay_alu instid0(VALU_DEP_1) | instskip(NEXT) | instid1(VALU_DEP_1)
	v_fma_f32 v7, -v2, v6, v5
	v_fmac_f32_e32 v6, v7, v3
	s_delay_alu instid0(VALU_DEP_1) | instskip(NEXT) | instid1(VALU_DEP_1)
	v_fma_f32 v2, -v2, v6, v5
	v_div_fmas_f32 v2, v2, v3, v6
	s_delay_alu instid0(VALU_DEP_1) | instskip(NEXT) | instid1(VALU_DEP_1)
	v_div_fixup_f32 v1, v2, v1, 1.0
	v_fma_mixlo_f16 v1, v4, v1, 0
	global_store_b16 v0, v1, s[0:1]
	s_nop 0
	s_sendmsg sendmsg(MSG_DEALLOC_VGPRS)
	s_endpgm
.LBB273_20:
	s_mov_b32 s4, 0
	s_branch .LBB273_2
	.section	.rodata,"a",@progbits
	.p2align	6, 0x0
	.amdhsa_kernel _Z35paged_attention_ll4mi_reduce_kernelIDF16_DF16_Li128ELi128ELi256ELi8EEvPT0_PKfS3_PKT_PKiS8_iS3_
		.amdhsa_group_segment_fixed_size 1028
		.amdhsa_private_segment_fixed_size 0
		.amdhsa_kernarg_size 320
		.amdhsa_user_sgpr_count 14
		.amdhsa_user_sgpr_dispatch_ptr 0
		.amdhsa_user_sgpr_queue_ptr 0
		.amdhsa_user_sgpr_kernarg_segment_ptr 1
		.amdhsa_user_sgpr_dispatch_id 0
		.amdhsa_user_sgpr_private_segment_size 0
		.amdhsa_wavefront_size32 1
		.amdhsa_uses_dynamic_stack 0
		.amdhsa_enable_private_segment 0
		.amdhsa_system_sgpr_workgroup_id_x 1
		.amdhsa_system_sgpr_workgroup_id_y 1
		.amdhsa_system_sgpr_workgroup_id_z 0
		.amdhsa_system_sgpr_workgroup_info 0
		.amdhsa_system_vgpr_workitem_id 0
		.amdhsa_next_free_vgpr 48
		.amdhsa_next_free_sgpr 47
		.amdhsa_reserve_vcc 1
		.amdhsa_float_round_mode_32 0
		.amdhsa_float_round_mode_16_64 0
		.amdhsa_float_denorm_mode_32 3
		.amdhsa_float_denorm_mode_16_64 3
		.amdhsa_dx10_clamp 1
		.amdhsa_ieee_mode 1
		.amdhsa_fp16_overflow 0
		.amdhsa_workgroup_processor_mode 1
		.amdhsa_memory_ordered 1
		.amdhsa_forward_progress 0
		.amdhsa_shared_vgpr_count 0
		.amdhsa_exception_fp_ieee_invalid_op 0
		.amdhsa_exception_fp_denorm_src 0
		.amdhsa_exception_fp_ieee_div_zero 0
		.amdhsa_exception_fp_ieee_overflow 0
		.amdhsa_exception_fp_ieee_underflow 0
		.amdhsa_exception_fp_ieee_inexact 0
		.amdhsa_exception_int_div_zero 0
	.end_amdhsa_kernel
	.section	.text._Z35paged_attention_ll4mi_reduce_kernelIDF16_DF16_Li128ELi128ELi256ELi8EEvPT0_PKfS3_PKT_PKiS8_iS3_,"axG",@progbits,_Z35paged_attention_ll4mi_reduce_kernelIDF16_DF16_Li128ELi128ELi256ELi8EEvPT0_PKfS3_PKT_PKiS8_iS3_,comdat
.Lfunc_end273:
	.size	_Z35paged_attention_ll4mi_reduce_kernelIDF16_DF16_Li128ELi128ELi256ELi8EEvPT0_PKfS3_PKT_PKiS8_iS3_, .Lfunc_end273-_Z35paged_attention_ll4mi_reduce_kernelIDF16_DF16_Li128ELi128ELi256ELi8EEvPT0_PKfS3_PKT_PKiS8_iS3_
                                        ; -- End function
	.section	.AMDGPU.csdata,"",@progbits
; Kernel info:
; codeLenInByte = 6536
; NumSgprs: 49
; NumVgprs: 48
; ScratchSize: 0
; MemoryBound: 0
; FloatMode: 240
; IeeeMode: 1
; LDSByteSize: 1028 bytes/workgroup (compile time only)
; SGPRBlocks: 6
; VGPRBlocks: 5
; NumSGPRsForWavesPerEU: 49
; NumVGPRsForWavesPerEU: 48
; Occupancy: 16
; WaveLimiterHint : 0
; COMPUTE_PGM_RSRC2:SCRATCH_EN: 0
; COMPUTE_PGM_RSRC2:USER_SGPR: 14
; COMPUTE_PGM_RSRC2:TRAP_HANDLER: 0
; COMPUTE_PGM_RSRC2:TGID_X_EN: 1
; COMPUTE_PGM_RSRC2:TGID_Y_EN: 1
; COMPUTE_PGM_RSRC2:TGID_Z_EN: 0
; COMPUTE_PGM_RSRC2:TIDIG_COMP_CNT: 0
	.section	.text._Z39paged_attention_ll4mi_QKV_mfma16_kernelIDF16_DF16_LN4vllm18Fp8KVCacheDataTypeE0EDF16_Li16ELi128ELi256ELb1ELi1EL8MFMAType0EEvPKT_PKT0_S8_ifPKiSA_SA_iPKfiiiPfSD_PS3_PT2_iSC_SC_,"axG",@progbits,_Z39paged_attention_ll4mi_QKV_mfma16_kernelIDF16_DF16_LN4vllm18Fp8KVCacheDataTypeE0EDF16_Li16ELi128ELi256ELb1ELi1EL8MFMAType0EEvPKT_PKT0_S8_ifPKiSA_SA_iPKfiiiPfSD_PS3_PT2_iSC_SC_,comdat
	.protected	_Z39paged_attention_ll4mi_QKV_mfma16_kernelIDF16_DF16_LN4vllm18Fp8KVCacheDataTypeE0EDF16_Li16ELi128ELi256ELb1ELi1EL8MFMAType0EEvPKT_PKT0_S8_ifPKiSA_SA_iPKfiiiPfSD_PS3_PT2_iSC_SC_ ; -- Begin function _Z39paged_attention_ll4mi_QKV_mfma16_kernelIDF16_DF16_LN4vllm18Fp8KVCacheDataTypeE0EDF16_Li16ELi128ELi256ELb1ELi1EL8MFMAType0EEvPKT_PKT0_S8_ifPKiSA_SA_iPKfiiiPfSD_PS3_PT2_iSC_SC_
	.globl	_Z39paged_attention_ll4mi_QKV_mfma16_kernelIDF16_DF16_LN4vllm18Fp8KVCacheDataTypeE0EDF16_Li16ELi128ELi256ELb1ELi1EL8MFMAType0EEvPKT_PKT0_S8_ifPKiSA_SA_iPKfiiiPfSD_PS3_PT2_iSC_SC_
	.p2align	8
	.type	_Z39paged_attention_ll4mi_QKV_mfma16_kernelIDF16_DF16_LN4vllm18Fp8KVCacheDataTypeE0EDF16_Li16ELi128ELi256ELb1ELi1EL8MFMAType0EEvPKT_PKT0_S8_ifPKiSA_SA_iPKfiiiPfSD_PS3_PT2_iSC_SC_,@function
_Z39paged_attention_ll4mi_QKV_mfma16_kernelIDF16_DF16_LN4vllm18Fp8KVCacheDataTypeE0EDF16_Li16ELi128ELi256ELb1ELi1EL8MFMAType0EEvPKT_PKT0_S8_ifPKiSA_SA_iPKfiiiPfSD_PS3_PT2_iSC_SC_: ; @_Z39paged_attention_ll4mi_QKV_mfma16_kernelIDF16_DF16_LN4vllm18Fp8KVCacheDataTypeE0EDF16_Li16ELi128ELi256ELb1ELi1EL8MFMAType0EEvPKT_PKT0_S8_ifPKiSA_SA_iPKfiiiPfSD_PS3_PT2_iSC_SC_
; %bb.0:
	s_load_b64 s[4:5], s[0:1], 0x30
	s_mov_b32 s34, s13
	s_waitcnt lgkmcnt(0)
	s_cmp_lg_u64 s[4:5], 0
	s_cselect_b32 s6, -1, 0
	s_ashr_i32 s35, s13, 31
	s_cmp_eq_u64 s[4:5], 0
	s_cbranch_scc1 .LBB274_3
; %bb.1:
	s_lshl_b64 s[2:3], s[34:35], 2
	s_delay_alu instid0(SALU_CYCLE_1) | instskip(SKIP_4) | instid1(SALU_CYCLE_1)
	s_add_u32 s2, s4, s2
	s_addc_u32 s3, s5, s3
	s_load_b64 s[2:3], s[2:3], 0x0
	s_waitcnt lgkmcnt(0)
	s_sub_i32 s2, s3, s2
	s_cmp_eq_u32 s2, 1
	s_cselect_b32 s2, -1, 0
	s_delay_alu instid0(SALU_CYCLE_1)
	s_and_not1_b32 vcc_lo, exec_lo, s2
	s_cbranch_vccz .LBB274_4
.LBB274_2:
	s_endpgm
.LBB274_3:
.LBB274_4:
	s_load_b64 s[2:3], s[0:1], 0x28
	s_lshl_b64 s[8:9], s[34:35], 2
	s_waitcnt lgkmcnt(0)
	s_add_u32 s2, s2, s8
	s_addc_u32 s3, s3, s9
	s_lshl_b32 s84, s14, 8
	s_load_b32 s33, s[2:3], 0x0
	s_waitcnt lgkmcnt(0)
	s_cmp_ge_i32 s84, s33
	s_cbranch_scc1 .LBB274_2
; %bb.5:
	s_clause 0x1
	s_load_b128 s[80:83], s[0:1], 0x8
	s_load_b64 s[2:3], s[0:1], 0x20
	s_and_not1_b32 vcc_lo, exec_lo, s6
	s_mov_b64 s[6:7], s[34:35]
	s_cbranch_vccnz .LBB274_7
; %bb.6:
	s_add_u32 s4, s4, s8
	s_addc_u32 s5, s5, s9
	s_load_b32 s6, s[4:5], 0x0
.LBB274_7:
	s_load_b128 s[76:79], s[0:1], 0x48
	v_and_b32_e32 v137, 15, v0
	s_mov_b32 s12, exec_lo
                                        ; implicit-def: $sgpr68
                                        ; implicit-def: $sgpr60
                                        ; implicit-def: $sgpr24
                                        ; implicit-def: $sgpr44
                                        ; implicit-def: $sgpr52
                                        ; implicit-def: $sgpr36
                                        ; implicit-def: $sgpr16
                                        ; implicit-def: $sgpr4
	s_delay_alu instid0(VALU_DEP_1)
	v_cmpx_eq_u32_e32 0, v137
	s_cbranch_execz .LBB274_9
; %bb.8:
	s_load_b64 s[4:5], s[0:1], 0x0
	s_waitcnt lgkmcnt(0)
	s_mul_hi_i32 s7, s6, s76
	s_mul_i32 s6, s6, s76
	s_delay_alu instid0(SALU_CYCLE_1) | instskip(NEXT) | instid1(SALU_CYCLE_1)
	s_lshl_b64 s[6:7], s[6:7], 1
	s_add_u32 s6, s4, s6
	s_addc_u32 s7, s5, s7
	s_lshl_b32 s4, s15, 7
	s_delay_alu instid0(SALU_CYCLE_1) | instskip(NEXT) | instid1(SALU_CYCLE_1)
	s_ashr_i32 s5, s4, 31
	s_lshl_b64 s[4:5], s[4:5], 1
	s_delay_alu instid0(SALU_CYCLE_1)
	s_add_u32 s4, s6, s4
	s_addc_u32 s5, s7, s5
	s_clause 0x7
	s_load_b256 s[68:75], s[4:5], 0x0
	s_load_b256 s[60:67], s[4:5], 0x20
	;; [unrolled: 1-line block ×8, first 2 shown]
.LBB274_9:
	s_or_b32 exec_lo, exec_lo, s12
	s_waitcnt lgkmcnt(0)
	v_dual_mov_b32 v112, s75 :: v_dual_and_b32 v1, 0xef, v0
	s_add_i32 s76, s33, 15
	s_clause 0x1
	s_load_b32 s13, s[0:1], 0x38
	s_load_b32 s35, s[0:1], 0x1c
	v_dual_mov_b32 v111, s74 :: v_dual_add_nc_u32 v2, s84, v1
	s_mul_i32 s12, s15, s78
	s_ashr_i32 s78, s76, 31
	v_mov_b32_e32 v109, s72
	s_delay_alu instid0(VALU_DEP_2)
	v_ashrrev_i32_e32 v1, 31, v2
	v_cmp_gt_i32_e32 vcc_lo, s33, v2
	s_lshr_b32 s79, s78, 28
	v_mov_b32_e32 v107, s70
	s_add_i32 s76, s76, s79
	v_lshrrev_b32_e32 v3, 28, v1
	s_ashr_i32 s86, s76, 4
	v_mov_b32_e32 v105, s68
	s_add_i32 s86, s86, -1
	v_lshrrev_b32_e32 v140, 5, v0
	v_dual_mov_b32 v110, s73 :: v_dual_add_nc_u32 v1, v2, v3
	v_or_b32_e32 v2, 16, v2
	s_waitcnt lgkmcnt(0)
	s_mul_i32 s78, s34, s13
	v_mov_b32_e32 v108, s71
	v_ashrrev_i32_e32 v1, 4, v1
	s_ashr_i32 s79, s78, 31
	v_add_nc_u32_e32 v3, v2, v3
	s_lshl_b64 s[78:79], s[78:79], 2
	v_mov_b32_e32 v106, s69
	v_cndmask_b32_e32 v1, s86, v1, vcc_lo
	v_cmp_gt_i32_e32 vcc_lo, s33, v2
	v_ashrrev_i32_e32 v3, 4, v3
	s_add_u32 s76, s2, s78
	s_addc_u32 s85, s3, s79
	v_ashrrev_i32_e32 v2, 31, v1
	s_ashr_i32 s13, s12, 31
	v_cndmask_b32_e32 v3, s86, v3, vcc_lo
	s_lshl_b64 s[2:3], s[12:13], 1
	s_mov_b32 s68, 0
	v_lshlrev_b64 v[1:2], 2, v[1:2]
	s_add_u32 s96, s80, s2
	v_ashrrev_i32_e32 v4, 31, v3
	s_addc_u32 s97, s81, s3
	s_lshl_b32 s12, s14, 4
	s_mov_b32 s69, s68
	v_add_co_u32 v1, vcc_lo, s76, v1
	v_lshlrev_b64 v[3:4], 2, v[3:4]
	v_add_co_ci_u32_e32 v2, vcc_lo, s85, v2, vcc_lo
	s_ashr_i32 s13, s12, 31
	s_mov_b32 s72, s68
	s_lshl_b64 s[12:13], s[12:13], 2
	s_delay_alu instid0(VALU_DEP_2)
	v_add_co_u32 v3, vcc_lo, s76, v3
	v_add_co_ci_u32_e32 v4, vcc_lo, s85, v4, vcc_lo
	s_clause 0x1
	global_load_b32 v5, v[1:2], off
	global_load_b32 v6, v[3:4], off
	s_add_u32 s12, s76, s12
	s_addc_u32 s13, s85, s13
	s_or_b32 s78, s84, 16
	v_lshlrev_b32_e32 v3, 4, v0
	s_ashr_i32 s79, s78, 4
	s_cmp_lt_i32 s78, s33
	s_mov_b32 s73, s68
	s_cselect_b32 s78, s79, s86
	s_mov_b32 s74, s68
	s_ashr_i32 s79, s78, 31
	s_mov_b32 s75, s68
	s_lshl_b64 s[78:79], s[78:79], 2
	v_mov_b32_e32 v104, s67
	s_add_u32 s78, s76, s78
	s_addc_u32 s79, s85, s79
	s_or_b32 s80, s84, 32
	v_dual_mov_b32 v103, s66 :: v_dual_mov_b32 v148, s31
	s_ashr_i32 s81, s80, 4
	s_cmp_lt_i32 s80, s33
	v_mov_b32_e32 v102, s65
	s_cselect_b32 s80, s81, s86
	v_dual_mov_b32 v101, s64 :: v_dual_mov_b32 v146, s29
	s_ashr_i32 s81, s80, 31
	v_mov_b32_e32 v100, s63
	s_lshl_b64 s[80:81], s[80:81], 2
	v_dual_mov_b32 v99, s62 :: v_dual_mov_b32 v144, s27
	s_add_u32 s80, s76, s80
	s_addc_u32 s81, s85, s81
	s_or_b32 s87, s84, 48
	v_mov_b32_e32 v98, s61
	s_ashr_i32 s88, s87, 4
	s_cmp_lt_i32 s87, s33
	v_dual_mov_b32 v97, s60 :: v_dual_mov_b32 v142, s25
	s_cselect_b32 s88, s88, s86
	v_dual_mov_b32 v147, s30 :: v_dual_mov_b32 v156, s51
	s_ashr_i32 s89, s88, 31
	v_dual_mov_b32 v145, s28 :: v_dual_mov_b32 v154, s49
	s_lshl_b64 s[88:89], s[88:89], 2
	v_dual_mov_b32 v143, s26 :: v_dual_mov_b32 v152, s47
	s_add_u32 s90, s76, s88
	s_addc_u32 s91, s85, s89
	s_or_b32 s87, s84, 64
	v_dual_mov_b32 v141, s24 :: v_dual_mov_b32 v150, s45
	s_ashr_i32 s88, s87, 4
	s_cmp_lt_i32 s87, s33
	v_dual_mov_b32 v155, s50 :: v_dual_mov_b32 v164, s59
	s_cselect_b32 s88, s88, s86
	v_dual_mov_b32 v153, s48 :: v_dual_mov_b32 v162, s57
	s_ashr_i32 s89, s88, 31
	v_dual_mov_b32 v151, s46 :: v_dual_mov_b32 v160, s55
	s_lshl_b64 s[88:89], s[88:89], 2
	v_dual_mov_b32 v149, s44 :: v_dual_mov_b32 v158, s53
	s_add_u32 s92, s76, s88
	s_addc_u32 s93, s85, s89
	s_or_b32 s87, s84, 0x50
	v_dual_mov_b32 v163, s58 :: v_dual_mov_b32 v188, s43
	s_ashr_i32 s88, s87, 4
	s_cmp_lt_i32 s87, s33
	v_dual_mov_b32 v161, s56 :: v_dual_mov_b32 v186, s41
	s_cselect_b32 s88, s88, s86
	v_dual_mov_b32 v159, s54 :: v_dual_mov_b32 v184, s39
	s_ashr_i32 s89, s88, 31
	v_dual_mov_b32 v157, s52 :: v_dual_mov_b32 v182, s37
	s_lshl_b64 s[88:89], s[88:89], 2
	v_mov_b32_e32 v181, s36
	s_add_u32 s94, s76, s88
	s_addc_u32 s95, s85, s89
	s_clause 0x5
	s_load_b32 s12, s[12:13], 0x0
	s_load_b32 s89, s[78:79], 0x0
	;; [unrolled: 1-line block ×6, first 2 shown]
	s_waitcnt lgkmcnt(0)
	s_mul_hi_i32 s29, s87, s77
	s_waitcnt vmcnt(1)
	v_mad_i64_i32 v[1:2], null, v5, s77, 0
	v_and_b32_e32 v5, 0xf0, v3
	s_waitcnt vmcnt(0)
	v_mad_i64_i32 v[3:4], null, v6, s77, 0
	s_delay_alu instid0(VALU_DEP_2) | instskip(NEXT) | instid1(VALU_DEP_4)
	v_add_co_u32 v5, s13, s96, v5
	v_lshlrev_b64 v[1:2], 1, v[1:2]
	v_add_co_ci_u32_e64 v6, null, s97, 0, s13
	s_delay_alu instid0(VALU_DEP_4) | instskip(SKIP_1) | instid1(VALU_DEP_3)
	v_lshlrev_b64 v[3:4], 1, v[3:4]
	s_or_b32 s13, s84, 0x60
	v_add_co_u32 v113, vcc_lo, v5, v1
	s_delay_alu instid0(VALU_DEP_3) | instskip(NEXT) | instid1(VALU_DEP_3)
	v_add_co_ci_u32_e32 v114, vcc_lo, v6, v2, vcc_lo
	v_add_co_u32 v115, vcc_lo, v5, v3
	s_delay_alu instid0(VALU_DEP_4)
	v_add_co_ci_u32_e32 v116, vcc_lo, v6, v4, vcc_lo
	s_clause 0x1f
	global_load_b128 v[81:84], v[113:114], off
	global_load_b128 v[85:88], v[113:114], off offset:256
	global_load_b128 v[89:92], v[115:116], off
	global_load_b128 v[93:96], v[115:116], off offset:256
	global_load_b128 v[73:76], v[113:114], off offset:512
	;; [unrolled: 1-line block ×29, first 2 shown]
	s_ashr_i32 s78, s13, 4
	s_cmp_lt_i32 s13, s33
	s_cselect_b32 s78, s78, s86
	s_delay_alu instid0(SALU_CYCLE_1) | instskip(NEXT) | instid1(SALU_CYCLE_1)
	s_ashr_i32 s79, s78, 31
	s_lshl_b64 s[78:79], s[78:79], 2
	s_delay_alu instid0(SALU_CYCLE_1)
	s_add_u32 s78, s76, s78
	s_addc_u32 s79, s85, s79
	s_or_b32 s13, s84, 0x70
	s_load_b32 s49, s[78:79], 0x0
	s_ashr_i32 s90, s13, 4
	s_cmp_lt_i32 s13, s33
	s_cselect_b32 s90, s90, s86
	s_delay_alu instid0(SALU_CYCLE_1) | instskip(NEXT) | instid1(SALU_CYCLE_1)
	s_ashr_i32 s91, s90, 31
	s_lshl_b64 s[70:71], s[90:91], 2
	s_delay_alu instid0(SALU_CYCLE_1)
	s_add_u32 s60, s76, s70
	s_addc_u32 s61, s85, s71
	s_or_b32 s13, s84, 0x80
	s_load_b32 s50, s[60:61], 0x0
	s_ashr_i32 s24, s13, 4
	s_cmp_lt_i32 s13, s33
	s_mov_b32 s70, s68
	s_cselect_b32 s24, s24, s86
	s_mov_b32 s71, s68
	s_ashr_i32 s25, s24, 31
	v_mov_b32_e32 v187, s42
	s_lshl_b64 s[24:25], s[24:25], 2
	v_mov_b32_e32 v185, s40
	s_add_u32 s44, s76, s24
	s_addc_u32 s45, s85, s25
	s_or_b32 s13, s84, 0x90
	v_mov_b32_e32 v183, s38
	s_ashr_i32 s24, s13, 4
	s_cmp_lt_i32 s13, s33
	s_load_b32 s51, s[44:45], 0x0
	s_cselect_b32 s24, s24, s86
	v_dual_mov_b32 v136, s75 :: v_dual_lshlrev_b32 v117, 5, v137
	s_ashr_i32 s25, s24, 31
	v_mov_b32_e32 v135, s74
	s_lshl_b64 s[24:25], s[24:25], 2
	s_delay_alu instid0(VALU_DEP_2)
	v_lshl_or_b32 v113, v140, 9, v117
	s_add_u32 s36, s76, s24
	s_addc_u32 s37, s85, s25
	s_or_b32 s13, s84, 0xa0
	s_load_b32 s48, s[36:37], 0x0
	s_ashr_i32 s24, s13, 4
	s_cmp_lt_i32 s13, s33
	v_mov_b32_e32 v134, s73
	s_cselect_b32 s24, s24, s86
	v_mov_b32_e32 v133, s72
	s_ashr_i32 s25, s24, 31
	v_mov_b32_e32 v132, s71
	s_lshl_b64 s[24:25], s[24:25], 2
	v_mov_b32_e32 v131, s70
	s_add_u32 s38, s76, s24
	s_addc_u32 s39, s85, s25
	s_or_b32 s13, s84, 0xb0
	s_load_b32 s47, s[38:39], 0x0
	s_ashr_i32 s24, s13, 4
	s_cmp_lt_i32 s13, s33
	s_mul_hi_i32 s13, s12, s77
	s_cselect_b32 s26, s24, s86
	s_mul_i32 s12, s12, s77
	s_ashr_i32 s27, s26, 31
	s_mul_hi_i32 s25, s89, s77
	s_lshl_b64 s[26:27], s[26:27], 2
	s_mul_i32 s24, s89, s77
	s_add_u32 s40, s76, s26
	s_addc_u32 s41, s85, s27
	s_or_b32 s26, s84, 0xc0
	s_mul_hi_i32 s27, s88, s77
	s_ashr_i32 s28, s26, 4
	s_cmp_lt_i32 s26, s33
	s_mul_i32 s26, s88, s77
	s_cselect_b32 s30, s28, s86
	s_mul_i32 s28, s87, s77
	s_ashr_i32 s31, s30, 31
	s_mul_hi_i32 s37, s80, s77
	s_lshl_b64 s[42:43], s[30:31], 2
	s_mul_hi_i32 s31, s81, s77
	s_add_u32 s42, s76, s42
	s_addc_u32 s43, s85, s43
	s_or_b32 s30, s84, 0xd0
	s_mul_i32 s36, s80, s77
	s_ashr_i32 s46, s30, 4
	s_cmp_lt_i32 s30, s33
	s_mul_i32 s30, s81, s77
	s_cselect_b32 s44, s46, s86
	v_mov_b32_e32 v130, s69
	s_ashr_i32 s45, s44, 31
	v_mov_b32_e32 v129, s68
	s_lshl_b64 s[44:45], s[44:45], 2
	s_delay_alu instid0(SALU_CYCLE_1)
	s_add_u32 s38, s76, s44
	s_addc_u32 s39, s85, s45
	s_or_b32 s52, s84, 0xe0
	s_clause 0x2
	s_load_b32 s46, s[40:41], 0x0
	s_load_b32 s45, s[42:43], 0x0
	;; [unrolled: 1-line block ×3, first 2 shown]
	s_ashr_i32 s53, s52, 4
	s_cmp_lt_i32 s52, s33
	s_waitcnt lgkmcnt(0)
	s_mul_hi_i32 s41, s50, s77
	s_mul_i32 s40, s50, s77
	s_cselect_b32 s50, s53, s86
	s_mul_hi_i32 s43, s51, s77
	s_mul_i32 s42, s51, s77
	s_ashr_i32 s51, s50, 31
	s_mul_hi_i32 s39, s49, s77
	s_lshl_b64 s[50:51], s[50:51], 2
	s_mul_i32 s38, s49, s77
	s_add_u32 s50, s76, s50
	s_addc_u32 s51, s85, s51
	s_or_b32 s54, s84, 0xf0
	s_mul_hi_i32 s49, s48, s77
	s_ashr_i32 s55, s54, 4
	s_cmp_lt_i32 s54, s33
	s_mul_i32 s48, s48, s77
	s_cselect_b32 s54, s55, s86
	s_mul_hi_i32 s53, s47, s77
	s_ashr_i32 s55, s54, 31
	s_mul_i32 s52, s47, s77
	s_lshl_b64 s[54:55], s[54:55], 2
	s_mul_hi_i32 s57, s45, s77
	s_add_u32 s54, s76, s54
	s_addc_u32 s55, s85, s55
	s_mul_i32 s56, s45, s77
	s_add_u32 s58, s82, s2
	s_addc_u32 s59, s83, s3
	s_lshl_b64 s[2:3], s[12:13], 1
	s_lshl_b64 s[12:13], s[24:25], 1
	;; [unrolled: 1-line block ×12, first 2 shown]
	v_add_co_u32 v225, s56, s58, v113
	s_delay_alu instid0(VALU_DEP_1)
	v_add_co_ci_u32_e64 v226, null, s59, 0, s56
	s_clause 0x1
	s_load_b32 s50, s[50:51], 0x0
	s_load_b32 s51, s[54:55], 0x0
	s_mul_hi_i32 s47, s46, s77
	s_mul_i32 s46, s46, s77
	s_mul_hi_i32 s45, s44, s77
	s_lshl_b64 s[46:47], s[46:47], 1
	s_mul_i32 s44, s44, s77
	s_delay_alu instid0(SALU_CYCLE_1)
	s_lshl_b64 s[44:45], s[44:45], 1
	s_waitcnt vmcnt(30)
	v_wmma_f32_16x16x16_f16 v[205:212], v[81:88], v[105:112], v[129:136]
	v_add_co_u32 v81, vcc_lo, v225, s2
	v_add_co_ci_u32_e32 v82, vcc_lo, s3, v226, vcc_lo
	v_add_co_u32 v83, vcc_lo, v225, s12
	v_add_co_ci_u32_e32 v84, vcc_lo, s13, v226, vcc_lo
	;; [unrolled: 2-line block ×4, first 2 shown]
	s_waitcnt vmcnt(28)
	v_wmma_f32_16x16x16_f16 v[129:136], v[89:96], v[105:112], v[129:136]
	v_add_co_u32 v93, vcc_lo, v225, s28
	v_add_co_ci_u32_e32 v94, vcc_lo, s29, v226, vcc_lo
	v_add_co_u32 v138, vcc_lo, v225, s30
	v_add_co_ci_u32_e32 v139, vcc_lo, s31, v226, vcc_lo
	;; [unrolled: 2-line block ×4, first 2 shown]
	v_add_co_u32 v217, vcc_lo, v225, s40
	s_waitcnt vmcnt(26)
	v_wmma_f32_16x16x16_f16 v[205:212], v[73:80], v[97:104], v[205:212]
	v_add_co_ci_u32_e32 v218, vcc_lo, s41, v226, vcc_lo
	v_add_co_u32 v219, vcc_lo, v225, s42
	v_add_co_ci_u32_e32 v220, vcc_lo, s43, v226, vcc_lo
	v_add_co_u32 v221, vcc_lo, v225, s48
	s_waitcnt vmcnt(24)
	v_wmma_f32_16x16x16_f16 v[129:136], v[65:72], v[97:104], v[129:136]
	s_waitcnt vmcnt(22)
	v_wmma_f32_16x16x16_f16 v[205:212], v[57:64], v[141:148], v[205:212]
	v_add_co_ci_u32_e32 v222, vcc_lo, s49, v226, vcc_lo
	v_add_co_u32 v223, vcc_lo, v225, s46
	v_add_co_ci_u32_e32 v224, vcc_lo, s47, v226, vcc_lo
	s_waitcnt vmcnt(20)
	v_wmma_f32_16x16x16_f16 v[129:136], v[49:56], v[141:148], v[129:136]
	s_waitcnt vmcnt(18)
	v_wmma_f32_16x16x16_f16 v[205:212], v[41:48], v[149:156], v[205:212]
	v_add_co_u32 v41, vcc_lo, v225, s52
	v_add_co_ci_u32_e32 v42, vcc_lo, s53, v226, vcc_lo
	s_waitcnt lgkmcnt(0)
	s_mul_hi_i32 s3, s50, s77
	s_mul_i32 s2, s50, s77
	v_add_co_u32 v43, vcc_lo, v225, s44
	s_lshl_b64 s[2:3], s[2:3], 1
	s_waitcnt vmcnt(16)
	v_wmma_f32_16x16x16_f16 v[129:136], v[33:40], v[149:156], v[129:136]
	v_add_co_ci_u32_e32 v44, vcc_lo, s45, v226, vcc_lo
	s_mul_hi_i32 s13, s51, s77
	s_mul_i32 s12, s51, s77
	v_add_co_u32 v45, vcc_lo, v225, s2
	v_add_co_ci_u32_e32 v46, vcc_lo, s3, v226, vcc_lo
	s_lshl_b64 s[2:3], s[12:13], 1
	s_clause 0xb
	global_load_b128 v[121:124], v[81:82], off
	global_load_b128 v[125:128], v[81:82], off offset:16
	global_load_b128 v[113:116], v[83:84], off
	global_load_b128 v[117:120], v[83:84], off offset:16
	;; [unrolled: 2-line block ×6, first 2 shown]
	s_waitcnt vmcnt(26)
	v_wmma_f32_16x16x16_f16 v[205:212], v[9:16], v[157:164], v[205:212]
	s_waitcnt vmcnt(24)
	v_wmma_f32_16x16x16_f16 v[129:136], v[1:8], v[157:164], v[129:136]
	v_add_co_u32 v138, vcc_lo, v225, s2
	v_add_co_ci_u32_e32 v139, vcc_lo, s3, v226, vcc_lo
	s_clause 0xd
	global_load_b128 v[73:76], v[213:214], off
	global_load_b128 v[77:80], v[213:214], off offset:16
	global_load_b128 v[65:68], v[215:216], off
	global_load_b128 v[69:72], v[215:216], off offset:16
	;; [unrolled: 2-line block ×7, first 2 shown]
	v_mov_b32_e32 v148, s23
	s_waitcnt vmcnt(36)
	v_wmma_f32_16x16x16_f16 v[205:212], v[25:32], v[181:188], v[205:212]
	s_clause 0x1
	global_load_b128 v[25:28], v[43:44], off
	global_load_b128 v[29:32], v[43:44], off offset:16
	s_waitcnt vmcnt(36)
	v_wmma_f32_16x16x16_f16 v[129:136], v[17:24], v[181:188], v[129:136]
	s_clause 0x3
	global_load_b128 v[41:44], v[45:46], off
	global_load_b128 v[45:48], v[45:46], off offset:16
	global_load_b128 v[17:20], v[138:139], off
	global_load_b128 v[21:24], v[138:139], off offset:16
	v_dual_mov_b32 v147, s22 :: v_dual_mov_b32 v146, s21
	v_dual_mov_b32 v145, s20 :: v_dual_mov_b32 v144, s19
	;; [unrolled: 1-line block ×3, first 2 shown]
	v_mov_b32_e32 v141, s16
	v_mbcnt_lo_u32_b32 v149, -1, 0
	v_bfe_u32 v138, v0, 4, 1
	s_waitcnt vmcnt(0)
	s_barrier
	v_wmma_f32_16x16x16_f16 v[205:212], v[165:172], v[141:148], v[205:212]
	v_wmma_f32_16x16x16_f16 v[129:136], v[173:180], v[141:148], v[129:136]
	v_dual_mov_b32 v148, s11 :: v_dual_mov_b32 v147, s10
	v_dual_mov_b32 v146, s9 :: v_dual_mov_b32 v145, s8
	;; [unrolled: 1-line block ×4, first 2 shown]
	v_xor_b32_e32 v150, 16, v149
	buffer_gl0_inv
	v_wmma_f32_16x16x16_f16 v[129:136], v[197:204], v[141:148], v[129:136]
	v_cmp_gt_i32_e32 vcc_lo, 32, v150
	s_delay_alu instid0(VALU_DEP_2) | instskip(NEXT) | instid1(VALU_DEP_3)
	v_mul_f32_e32 v170, s35, v131
	v_mul_f32_e32 v166, s35, v135
	s_delay_alu instid0(VALU_DEP_4) | instskip(SKIP_3) | instid1(VALU_DEP_3)
	v_mul_f32_e32 v168, s35, v133
	v_wmma_f32_16x16x16_f16 v[205:212], v[189:196], v[141:148], v[205:212]
	v_and_b32_e32 v139, 0xe0, v0
	v_dual_cndmask_b32 v149, v149, v150 :: v_dual_mul_f32 v172, s35, v129
	v_dual_mul_f32 v171, s35, v130 :: v_dual_mul_f32 v144, s35, v209
	s_delay_alu instid0(VALU_DEP_3) | instskip(SKIP_2) | instid1(VALU_DEP_3)
	v_dual_mul_f32 v148, s35, v205 :: v_dual_add_nc_u32 v139, s84, v139
	v_mul_f32_e32 v147, s35, v206
	v_dual_mul_f32 v145, s35, v208 :: v_dual_mul_f32 v146, s35, v207
	v_or_b32_e32 v139, v139, v138
	v_mul_f32_e32 v143, s35, v210
	v_dual_mul_f32 v141, s35, v212 :: v_dual_mul_f32 v142, s35, v211
	v_mul_f32_e32 v169, s35, v132
	s_delay_alu instid0(VALU_DEP_4)
	v_or_b32_e32 v150, 2, v139
	v_or_b32_e32 v151, 4, v139
	;; [unrolled: 1-line block ×3, first 2 shown]
	v_cmp_gt_i32_e32 vcc_lo, s33, v139
	v_or_b32_e32 v153, 8, v139
	v_cmp_gt_i32_e64 s2, s33, v150
	v_or_b32_e32 v154, 10, v139
	v_or_b32_e32 v155, 12, v139
	;; [unrolled: 1-line block ×11, first 2 shown]
	v_cndmask_b32_e32 v139, 0xff7fffff, v148, vcc_lo
	v_cndmask_b32_e64 v147, 0xff7fffff, v147, s2
	v_cmp_gt_i32_e64 s3, s33, v151
	v_cmp_gt_i32_e64 s4, s33, v152
	;; [unrolled: 1-line block ×4, first 2 shown]
	v_max3_f32 v139, v139, 0xff7fffff, v147
	v_cndmask_b32_e64 v146, 0xff7fffff, v146, s3
	v_cndmask_b32_e64 v145, 0xff7fffff, v145, s4
	;; [unrolled: 1-line block ×4, first 2 shown]
	v_cmp_gt_i32_e64 s7, s33, v155
	v_cmp_gt_i32_e64 s8, s33, v156
	v_max3_f32 v139, v139, v146, v145
	v_cmp_gt_i32_e64 s9, s33, v157
	v_cmp_gt_i32_e64 s10, s33, v158
	v_cndmask_b32_e64 v142, 0xff7fffff, v142, s7
	v_cndmask_b32_e64 v141, 0xff7fffff, v141, s8
	v_max3_f32 v139, v139, v144, v143
	v_cndmask_b32_e64 v143, 0xff7fffff, v172, s9
	v_cndmask_b32_e64 v144, 0xff7fffff, v171, s10
	v_cmp_gt_i32_e64 s11, s33, v159
	v_cmp_gt_i32_e64 s12, s33, v160
	v_max3_f32 v139, v139, v142, v141
	v_mul_f32_e32 v167, s35, v134
	v_cmp_gt_i32_e64 s13, s33, v161
	v_cndmask_b32_e64 v141, 0xff7fffff, v170, s11
	v_cndmask_b32_e64 v142, 0xff7fffff, v169, s12
	v_max3_f32 v139, v139, v143, v144
	v_cmp_gt_i32_e64 s16, s33, v162
	v_mul_f32_e32 v165, s35, v136
	v_cndmask_b32_e64 v143, 0xff7fffff, v168, s13
	v_cmp_gt_i32_e64 s17, s33, v163
	v_max3_f32 v139, v139, v141, v142
	v_cndmask_b32_e64 v144, 0xff7fffff, v167, s16
	v_cmp_gt_i32_e64 s18, s33, v164
	s_delay_alu instid0(VALU_DEP_4) | instskip(NEXT) | instid1(VALU_DEP_3)
	v_cndmask_b32_e64 v141, 0xff7fffff, v166, s17
	v_max3_f32 v139, v139, v143, v144
	s_delay_alu instid0(VALU_DEP_3) | instskip(SKIP_1) | instid1(VALU_DEP_2)
	v_cndmask_b32_e64 v142, 0xff7fffff, v165, s18
	v_lshlrev_b32_e32 v143, 2, v149
	v_max3_f32 v139, v139, v141, v142
	ds_bpermute_b32 v141, v143, v139
	s_waitcnt lgkmcnt(0)
	v_max_f32_e32 v141, v141, v141
	s_delay_alu instid0(VALU_DEP_1) | instskip(NEXT) | instid1(VALU_DEP_1)
	v_max_f32_e32 v139, v139, v141
	v_fma_f32 v141, s35, v205, -v139
	v_fma_f32 v142, s35, v206, -v139
	;; [unrolled: 1-line block ×5, first 2 shown]
	s_delay_alu instid0(VALU_DEP_4) | instskip(NEXT) | instid1(VALU_DEP_3)
	v_dual_mul_f32 v141, 0x3fb8aa3b, v141 :: v_dual_mul_f32 v142, 0x3fb8aa3b, v142
	v_dual_mul_f32 v144, 0x3fb8aa3b, v144 :: v_dual_mul_f32 v145, 0x3fb8aa3b, v145
	s_delay_alu instid0(VALU_DEP_3) | instskip(NEXT) | instid1(VALU_DEP_3)
	v_mul_f32_e32 v148, 0x3fb8aa3b, v146
	v_exp_f32_e32 v141, v141
	s_delay_alu instid0(VALU_DEP_3) | instskip(NEXT) | instid1(VALU_DEP_2)
	v_exp_f32_e32 v142, v142
	v_exp_f32_e32 v144, v144
	;; [unrolled: 1-line block ×3, first 2 shown]
	v_fma_f32 v150, s35, v211, -v139
	v_exp_f32_e32 v151, v148
	v_fma_f32 v129, s35, v129, -v139
	v_fma_f32 v130, s35, v130, -v139
	v_fma_f32 v133, s35, v133, -v139
	v_dual_mul_f32 v150, 0x3fb8aa3b, v150 :: v_dual_cndmask_b32 v147, 0, v141
	v_fma_f32 v141, s35, v210, -v139
	v_cndmask_b32_e64 v146, 0, v142, s2
	v_cndmask_b32_e64 v149, 0, v144, s3
	v_fma_f32 v144, s35, v212, -v139
	s_delay_alu instid0(VALU_DEP_4) | instskip(SKIP_2) | instid1(VALU_DEP_3)
	v_dual_add_f32 v142, 0, v147 :: v_dual_mul_f32 v141, 0x3fb8aa3b, v141
	v_cndmask_b32_e64 v148, 0, v145, s4
	v_exp_f32_e32 v145, v150
	v_mul_f32_e32 v144, 0x3fb8aa3b, v144
	s_delay_alu instid0(VALU_DEP_3)
	v_add_f32_e32 v142, v142, v146
	v_exp_f32_e32 v141, v141
	v_cndmask_b32_e64 v151, 0, v151, s5
	v_mul_f32_e32 v129, 0x3fb8aa3b, v129
	v_exp_f32_e32 v144, v144
	v_add_f32_e32 v142, v142, v149
	v_mul_f32_e32 v130, 0x3fb8aa3b, v130
	s_mov_b32 s3, exec_lo
	v_exp_f32_e32 v129, v129
	v_cndmask_b32_e64 v152, 0, v145, s7
	v_add_f32_e32 v142, v142, v148
	v_cndmask_b32_e64 v150, 0, v141, s6
	v_exp_f32_e32 v130, v130
	s_delay_alu instid0(VALU_DEP_2) | instskip(SKIP_2) | instid1(TRANS32_DEP_2)
	v_add_f32_e32 v141, v142, v151
	v_fma_f32 v142, s35, v132, -v139
	v_cndmask_b32_e64 v132, 0, v144, s8
	v_cndmask_b32_e64 v153, 0, v129, s9
	s_delay_alu instid0(VALU_DEP_4) | instskip(NEXT) | instid1(VALU_DEP_1)
	v_add_f32_e32 v141, v141, v150
	v_dual_mul_f32 v142, 0x3fb8aa3b, v142 :: v_dual_add_f32 v141, v141, v152
	s_delay_alu instid0(VALU_DEP_1) | instskip(NEXT) | instid1(VALU_DEP_1)
	v_exp_f32_e32 v142, v142
	v_add_f32_e32 v129, v141, v132
	v_mul_f32_e32 v141, 0x3fb8aa3b, v133
	v_cndmask_b32_e64 v133, 0, v130, s10
	v_fma_f32 v130, s35, v135, -v139
	s_delay_alu instid0(VALU_DEP_4) | instskip(NEXT) | instid1(VALU_DEP_4)
	v_add_f32_e32 v129, v129, v153
	v_exp_f32_e32 v141, v141
	s_delay_alu instid0(VALU_DEP_2)
	v_mul_f32_e32 v130, 0x3fb8aa3b, v130
	v_fma_f32 v131, s35, v131, -v139
	v_fma_f32 v134, s35, v134, -v139
	v_add_f32_e32 v129, v129, v133
	v_fma_f32 v136, s35, v136, -v139
	v_exp_f32_e32 v130, v130
	s_delay_alu instid0(VALU_DEP_3) | instskip(NEXT) | instid1(TRANS32_DEP_2)
	v_dual_mul_f32 v131, 0x3fb8aa3b, v131 :: v_dual_mul_f32 v134, 0x3fb8aa3b, v134
	v_cndmask_b32_e64 v154, 0, v141, s13
	s_delay_alu instid0(VALU_DEP_3) | instskip(NEXT) | instid1(VALU_DEP_3)
	v_mul_f32_e32 v141, 0x3fb8aa3b, v136
	v_exp_f32_e32 v131, v131
	s_waitcnt_depctr 0xfff
	v_cndmask_b32_e64 v156, 0, v130, s17
	v_cndmask_b32_e64 v135, 0, v131, s11
	v_exp_f32_e32 v131, v134
	v_cndmask_b32_e64 v134, 0, v142, s12
	s_delay_alu instid0(VALU_DEP_2) | instskip(NEXT) | instid1(VALU_DEP_1)
	v_add_f32_e32 v129, v129, v135
	v_add_f32_e32 v129, v129, v134
	s_waitcnt_depctr 0xfff
	v_cndmask_b32_e64 v136, 0, v131, s16
	v_exp_f32_e32 v131, v141
	v_add_f32_e32 v129, v129, v154
	s_delay_alu instid0(VALU_DEP_1) | instskip(SKIP_4) | instid1(VALU_DEP_2)
	v_add_f32_e32 v129, v129, v136
	s_waitcnt_depctr 0xfff
	v_cndmask_b32_e64 v155, 0, v131, s18
	v_and_b32_e32 v131, 31, v0
	v_add_f32_e32 v129, v129, v156
	v_cmp_lt_u32_e64 s2, 15, v131
	s_delay_alu instid0(VALU_DEP_2)
	v_add_f32_e32 v129, v129, v155
	ds_bpermute_b32 v130, v143, v129
	v_cmpx_gt_u32_e32 16, v131
	s_cbranch_execz .LBB274_11
; %bb.10:
	v_mul_u32_u24_e32 v131, 0x44, v140
	s_delay_alu instid0(VALU_DEP_1) | instskip(SKIP_1) | instid1(VALU_DEP_1)
	v_lshl_add_u32 v131, v137, 2, v131
	s_waitcnt lgkmcnt(0)
	v_dual_add_f32 v129, v129, v130 :: v_dual_add_nc_u32 v130, 0x4000, v131
	ds_store_2addr_b32 v130, v139, v129 offset1:136
.LBB274_11:
	s_or_b32 exec_lo, exec_lo, s3
	v_lshlrev_b32_e32 v129, 2, v137
	s_load_b64 s[36:37], s[0:1], 0x94
	s_waitcnt lgkmcnt(0)
	s_barrier
	buffer_gl0_inv
	v_add_nc_u32_e32 v129, 0x4000, v129
	v_cmp_eq_u32_e32 vcc_lo, 1, v140
	v_cmp_eq_u32_e64 s3, 2, v140
	v_cmp_eq_u32_e64 s5, 3, v140
	;; [unrolled: 1-line block ×3, first 2 shown]
	ds_load_2addr_b32 v[141:142], v129 offset1:17
	ds_load_2addr_b32 v[143:144], v129 offset0:34 offset1:51
	ds_load_2addr_b32 v[157:158], v129 offset0:68 offset1:85
	;; [unrolled: 1-line block ×4, first 2 shown]
	v_cmp_eq_u32_e64 s7, 5, v140
	v_cmp_eq_u32_e64 s4, 6, v140
	s_waitcnt lgkmcnt(4)
	v_max3_f32 v130, v141, 0xff7fffff, v142
	s_waitcnt lgkmcnt(3)
	s_delay_alu instid0(VALU_DEP_1) | instskip(SKIP_1) | instid1(VALU_DEP_1)
	v_max3_f32 v130, v130, v143, v144
	s_waitcnt lgkmcnt(2)
	v_max3_f32 v130, v130, v157, v158
	s_waitcnt lgkmcnt(1)
	s_delay_alu instid0(VALU_DEP_1) | instskip(NEXT) | instid1(VALU_DEP_1)
	v_max3_f32 v130, v130, v159, v160
	v_sub_f32_e32 v131, v141, v130
	v_sub_f32_e32 v139, v142, v130
	ds_load_2addr_b32 v[141:142], v129 offset0:170 offset1:187
	v_sub_f32_e32 v143, v143, v130
	v_sub_f32_e32 v157, v157, v130
	v_mul_f32_e32 v131, 0x3fb8aa3b, v131
	v_mul_f32_e32 v139, 0x3fb8aa3b, v139
	s_delay_alu instid0(VALU_DEP_4) | instskip(NEXT) | instid1(VALU_DEP_4)
	v_mul_f32_e32 v163, 0x3fb8aa3b, v143
	v_mul_f32_e32 v165, 0x3fb8aa3b, v157
	s_delay_alu instid0(VALU_DEP_4)
	v_exp_f32_e32 v145, v131
	v_sub_f32_e32 v131, v144, v130
	v_exp_f32_e32 v139, v139
	ds_load_2addr_b32 v[143:144], v129 offset0:204 offset1:221
	v_exp_f32_e32 v163, v163
	v_mul_f32_e32 v164, 0x3fb8aa3b, v131
	s_waitcnt lgkmcnt(2)
	v_fma_f32 v131, v145, v161, 0
	v_sub_f32_e32 v161, v158, v130
	s_delay_alu instid0(VALU_DEP_3)
	v_exp_f32_e32 v164, v164
	ds_load_2addr_b32 v[157:158], v129 offset0:238 offset1:255
	v_sub_f32_e32 v129, v159, v130
	v_fmac_f32_e32 v131, v139, v162
	v_mul_f32_e32 v159, 0x3fb8aa3b, v161
	v_exp_f32_e32 v161, v165
	v_cndmask_b32_e32 v139, v145, v139, vcc_lo
	v_mul_f32_e32 v129, 0x3fb8aa3b, v129
	s_waitcnt lgkmcnt(2)
	v_fmac_f32_e32 v131, v163, v141
	v_sub_f32_e32 v141, v160, v130
	v_exp_f32_e32 v159, v159
	s_waitcnt lgkmcnt(0)
	v_exp_f32_e32 v160, v129
	v_fmac_f32_e32 v131, v164, v142
	v_mul_f32_e32 v141, 0x3fb8aa3b, v141
	s_barrier
	buffer_gl0_inv
	v_fmac_f32_e32 v131, v161, v143
	v_exp_f32_e32 v162, v141
	v_lshlrev_b32_e32 v143, 6, v137
	s_delay_alu instid0(VALU_DEP_2) | instskip(NEXT) | instid1(VALU_DEP_2)
	v_fmac_f32_e32 v131, v159, v144
	v_lshl_or_b32 v145, v140, 11, v143
	s_delay_alu instid0(VALU_DEP_2) | instskip(SKIP_2) | instid1(VALU_DEP_1)
	v_fmac_f32_e32 v131, v160, v157
	s_waitcnt_depctr 0xfff
	v_fmac_f32_e32 v131, v162, v158
	v_add_f32_e32 v144, 0x358637bd, v131
	s_delay_alu instid0(VALU_DEP_1) | instskip(SKIP_1) | instid1(VALU_DEP_2)
	v_div_scale_f32 v157, null, v144, v144, 1.0
	v_div_scale_f32 v165, vcc_lo, 1.0, v144, 1.0
	v_rcp_f32_e32 v158, v157
	s_waitcnt_depctr 0xfff
	v_fma_f32 v129, -v157, v158, 1.0
	s_delay_alu instid0(VALU_DEP_1) | instskip(SKIP_3) | instid1(VALU_DEP_4)
	v_fmac_f32_e32 v158, v129, v158
	v_cndmask_b32_e64 v129, v139, v163, s3
	v_cmp_eq_u32_e64 s3, 7, v140
	v_lshlrev_b32_e32 v139, 2, v138
	v_mul_f32_e32 v163, v165, v158
	s_delay_alu instid0(VALU_DEP_4) | instskip(SKIP_1) | instid1(VALU_DEP_4)
	v_cndmask_b32_e64 v141, v129, v164, s5
	v_mov_b32_e32 v129, 0
	v_or_b32_e32 v140, 1, v139
	v_cmp_eq_u32_e64 s5, 1, v139
	v_fma_f32 v142, -v157, v163, v165
	v_cndmask_b32_e64 v141, v141, v161, s6
	v_cmp_eq_u32_e64 s6, 2, v139
	v_cmp_eq_u32_e64 s9, 1, v140
	;; [unrolled: 1-line block ×3, first 2 shown]
	v_fmac_f32_e32 v163, v142, v158
	v_cndmask_b32_e64 v159, v141, v159, s7
	v_or_b32_e32 v142, 2, v139
	v_or_b32_e32 v141, 3, v139
	v_cmp_eq_u32_e64 s13, 3, v140
	v_fma_f32 v157, -v157, v163, v165
	v_cndmask_b32_e64 v159, v159, v160, s4
	v_cmp_eq_u32_e64 s10, 1, v142
	v_cmp_eq_u32_e64 s11, 1, v141
	;; [unrolled: 1-line block ×3, first 2 shown]
	v_div_fmas_f32 v157, v157, v158, v163
	v_cndmask_b32_e64 v158, v159, v162, s3
	v_cmp_eq_u32_e64 s17, 2, v141
	v_cmp_eq_u32_e32 vcc_lo, 3, v139
	v_cmp_eq_u32_e64 s18, 3, v142
	v_div_fixup_f32 v157, v157, v144, 1.0
	v_lshl_or_b32 v144, v138, 4, v145
	v_cmp_eq_u32_e64 s19, 3, v141
	v_cmp_eq_u32_e64 s4, 4, v139
	;; [unrolled: 1-line block ×3, first 2 shown]
	v_mul_f32_e32 v161, v158, v157
	v_cmp_eq_u32_e64 s22, 4, v142
	v_cmp_eq_u32_e64 s23, 4, v141
	;; [unrolled: 1-line block ×4, first 2 shown]
	v_fma_mixlo_f16 v157, v161, v147, 0
	v_fma_mixlo_f16 v158, v161, v149, 0
	;; [unrolled: 1-line block ×8, first 2 shown]
	v_fma_mixhi_f16 v157, v161, v146, 0
	v_fma_mixhi_f16 v158, v161, v148, 0
	;; [unrolled: 1-line block ×8, first 2 shown]
	ds_store_b128 v144, v[157:160]
	ds_store_b128 v144, v[151:154] offset:1024
	s_waitcnt lgkmcnt(0)
	s_barrier
	buffer_gl0_inv
	ds_load_b128 v[132:135], v145
	ds_load_b128 v[146:149], v145 offset:16
	ds_load_b128 v[150:153], v145 offset:1024
	;; [unrolled: 1-line block ×3, first 2 shown]
	v_cmp_eq_u32_e64 s24, 5, v142
	v_cmp_eq_u32_e64 s25, 5, v141
	;; [unrolled: 1-line block ×10, first 2 shown]
	s_waitcnt lgkmcnt(3)
	v_lshrrev_b32_e32 v136, 16, v132
	s_waitcnt lgkmcnt(2)
	v_lshrrev_b32_e32 v161, 16, v146
	s_waitcnt lgkmcnt(1)
	v_lshrrev_b32_e32 v165, 16, v150
	s_waitcnt lgkmcnt(0)
	v_lshrrev_b32_e32 v169, 16, v154
	v_lshrrev_b32_e32 v158, 16, v133
	v_cndmask_b32_e64 v173, v132, v136, s5
	v_cndmask_b32_e64 v174, v146, v161, s5
	;; [unrolled: 1-line block ×8, first 2 shown]
	v_lshrrev_b32_e32 v162, 16, v147
	v_cndmask_b32_e64 v146, v150, v165, s5
	v_cndmask_b32_e64 v161, v154, v169, s5
	;; [unrolled: 1-line block ×16, first 2 shown]
	v_lshrrev_b32_e32 v166, 16, v151
	v_lshrrev_b32_e32 v170, 16, v155
	v_cndmask_b32_e64 v136, v146, v151, s6
	v_cndmask_b32_e64 v146, v161, v155, s6
	;; [unrolled: 1-line block ×5, first 2 shown]
	v_cndmask_b32_e32 v151, v165, v158, vcc_lo
	v_cndmask_b32_e32 v165, v169, v162, vcc_lo
	v_cndmask_b32_e64 v169, v173, v158, s13
	v_cndmask_b32_e64 v173, v174, v162, s13
	;; [unrolled: 1-line block ×6, first 2 shown]
	v_lshrrev_b32_e32 v159, 16, v134
	v_lshrrev_b32_e32 v163, 16, v148
	v_cndmask_b32_e32 v136, v136, v166, vcc_lo
	v_cndmask_b32_e32 v146, v146, v170, vcc_lo
	v_cndmask_b32_e64 v147, v147, v166, s13
	v_cndmask_b32_e64 v151, v151, v134, s4
	;; [unrolled: 1-line block ×9, first 2 shown]
	v_lshrrev_b32_e32 v167, 16, v152
	v_cndmask_b32_e64 v134, v136, v152, s4
	v_cndmask_b32_e64 v136, v146, v156, s4
	;; [unrolled: 1-line block ×11, first 2 shown]
	v_lshrrev_b32_e32 v160, 16, v135
	v_lshrrev_b32_e32 v164, 16, v149
	v_cndmask_b32_e64 v134, v134, v167, s7
	v_cndmask_b32_e64 v146, v146, v167, s21
	;; [unrolled: 1-line block ×10, first 2 shown]
	v_lshrrev_b32_e32 v168, 16, v153
	v_cndmask_b32_e64 v134, v134, v153, s3
	v_cndmask_b32_e64 v135, v146, v153, s26
	;; [unrolled: 1-line block ×12, first 2 shown]
	v_perm_b32 v135, v133, v132, 0x5040100
	v_perm_b32 v134, v151, v149, 0x5040100
	;; [unrolled: 1-line block ×3, first 2 shown]
	v_cndmask_b32_e64 v132, v154, v155, s17
	v_cndmask_b32_e64 v148, v182, v155, s16
	;; [unrolled: 1-line block ×8, first 2 shown]
	v_lshrrev_b32_e32 v171, 16, v156
	v_cndmask_b32_e64 v151, v151, v152, s22
	v_cndmask_b32_e64 v150, v150, v152, s23
	;; [unrolled: 1-line block ×11, first 2 shown]
	v_lshrrev_b32_e32 v172, 16, v157
	v_cndmask_b32_e64 v136, v136, v157, s3
	v_cndmask_b32_e64 v151, v151, v153, s27
	;; [unrolled: 1-line block ×12, first 2 shown]
	v_perm_b32 v132, v147, v146, 0x5040100
	v_perm_b32 v149, v152, v150, 0x5040100
	v_perm_b32 v148, v148, v151, 0x5040100
	v_perm_b32 v147, v153, v160, 0x5040100
	v_perm_b32 v146, v136, v159, 0x5040100
	s_mov_b32 s3, exec_lo
	ds_store_b128 v144, v[132:135]
	ds_store_b128 v144, v[146:149] offset:1024
	v_cmpx_eq_u32_e32 0, v0
	s_cbranch_execz .LBB274_13
; %bb.12:
	s_load_b128 s[4:7], s[0:1], 0x58
	s_mul_i32 s8, s37, s34
	s_delay_alu instid0(SALU_CYCLE_1) | instskip(NEXT) | instid1(SALU_CYCLE_1)
	s_add_i32 s8, s8, s15
	s_mul_i32 s8, s8, s36
	s_delay_alu instid0(SALU_CYCLE_1) | instskip(NEXT) | instid1(SALU_CYCLE_1)
	s_add_i32 s8, s8, s14
	s_ashr_i32 s9, s8, 31
	s_delay_alu instid0(SALU_CYCLE_1)
	s_lshl_b64 s[8:9], s[8:9], 2
	s_waitcnt lgkmcnt(0)
	s_add_u32 s6, s6, s8
	s_addc_u32 s7, s7, s9
	s_add_u32 s4, s4, s8
	s_addc_u32 s5, s5, s9
	s_clause 0x1
	global_store_b32 v129, v130, s[6:7]
	global_store_b32 v129, v131, s[4:5]
.LBB274_13:
	s_or_b32 exec_lo, exec_lo, s3
	s_waitcnt lgkmcnt(0)
	s_waitcnt_vscnt null, 0x0
	s_barrier
	buffer_gl0_inv
	ds_load_b128 v[146:149], v143
	ds_load_b128 v[150:153], v143 offset:16
	ds_load_b128 v[158:161], v143 offset:1040
	;; [unrolled: 1-line block ×5, first 2 shown]
	v_mov_b32_e32 v130, v129
	v_mov_b32_e32 v131, v129
	;; [unrolled: 1-line block ×7, first 2 shown]
	ds_load_b128 v[174:177], v143 offset:3088
	ds_load_b128 v[170:173], v143 offset:3072
	;; [unrolled: 1-line block ×4, first 2 shown]
	v_cmp_eq_u32_e32 vcc_lo, 1, v142
	v_cmp_eq_u32_e64 s3, 1, v139
	v_cmp_eq_u32_e64 s4, 1, v141
	v_cmp_eq_u32_e64 s5, 1, v140
	v_cmp_eq_u32_e64 s6, 2, v139
	s_xor_b32 s2, s2, -1
	s_waitcnt lgkmcnt(8)
	v_wmma_f32_16x16x16_f16 v[129:136], v[121:128], v[146:153], v[129:136]
	ds_load_b128 v[125:128], v143 offset:5136
	ds_load_b128 v[121:124], v143 offset:5120
	s_waitcnt lgkmcnt(8)
	v_wmma_f32_16x16x16_f16 v[129:136], v[113:120], v[154:161], v[129:136]
	ds_load_b128 v[117:120], v143 offset:6160
	ds_load_b128 v[113:116], v143 offset:6144
	;; [unrolled: 4-line block ×11, first 2 shown]
	s_waitcnt lgkmcnt(0)
	s_barrier
	buffer_gl0_inv
	v_wmma_f32_16x16x16_f16 v[129:136], v[1:8], v[73:80], v[129:136]
	s_delay_alu instid0(VALU_DEP_1) | instskip(NEXT) | instid1(VALU_DEP_1)
	v_wmma_f32_16x16x16_f16 v[129:136], v[9:16], v[65:72], v[129:136]
	v_wmma_f32_16x16x16_f16 v[129:136], v[25:32], v[57:64], v[129:136]
	s_delay_alu instid0(VALU_DEP_1) | instskip(NEXT) | instid1(VALU_DEP_1)
	v_wmma_f32_16x16x16_f16 v[129:136], v[41:48], v[49:56], v[129:136]
	v_wmma_f32_16x16x16_f16 v[129:136], v[17:24], v[33:40], v[129:136]
	s_delay_alu instid0(VALU_DEP_1) | instskip(NEXT) | instid1(VALU_DEP_2)
	v_cvt_f16_f32_e64 v1, v129
	v_cvt_f16_f32_e64 v2, v130
	s_delay_alu instid0(VALU_DEP_3) | instskip(NEXT) | instid1(VALU_DEP_4)
	v_cvt_f16_f32_e64 v3, v131
	v_cvt_f16_f32_e64 v4, v132
	;; [unrolled: 1-line block ×6, first 2 shown]
	v_pack_b32_f16 v1, v1, v2
	v_pack_b32_f16 v2, v3, v4
	;; [unrolled: 1-line block ×3, first 2 shown]
	s_delay_alu instid0(VALU_DEP_4)
	v_pack_b32_f16 v4, v7, v8
	ds_store_b128 v144, v[1:4]
	s_waitcnt lgkmcnt(0)
	s_barrier
	buffer_gl0_inv
	ds_load_b128 v[1:4], v145
	ds_load_b128 v[5:8], v145 offset:16
	s_waitcnt lgkmcnt(1)
	v_lshrrev_b32_e32 v9, 16, v1
	s_waitcnt lgkmcnt(0)
	v_lshrrev_b32_e32 v13, 16, v5
	v_lshrrev_b32_e32 v15, 16, v7
	v_lshrrev_b32_e32 v10, 16, v2
	v_lshrrev_b32_e32 v14, 16, v6
	v_cndmask_b32_e64 v17, v1, v9, s3
	v_cndmask_b32_e64 v18, v5, v13, s3
	;; [unrolled: 1-line block ×3, first 2 shown]
	v_cmp_eq_u32_e64 s3, 2, v140
	v_cndmask_b32_e64 v20, v5, v13, s5
	v_cndmask_b32_e32 v21, v1, v9, vcc_lo
	v_cndmask_b32_e32 v22, v5, v13, vcc_lo
	v_cndmask_b32_e64 v1, v1, v9, s4
	v_cndmask_b32_e64 v5, v5, v13, s4
	v_cmp_eq_u32_e32 vcc_lo, 2, v142
	v_cmp_eq_u32_e64 s4, 2, v141
	v_cndmask_b32_e64 v9, v17, v2, s6
	v_cndmask_b32_e64 v13, v18, v6, s6
	;; [unrolled: 1-line block ×4, first 2 shown]
	v_cndmask_b32_e32 v19, v21, v2, vcc_lo
	v_cmp_eq_u32_e64 s3, 3, v142
	v_cndmask_b32_e32 v20, v22, v6, vcc_lo
	v_cndmask_b32_e64 v1, v1, v2, s4
	v_cmp_eq_u32_e32 vcc_lo, 3, v141
	v_cmp_eq_u32_e64 s5, 3, v139
	v_cndmask_b32_e64 v2, v5, v6, s4
	v_cmp_eq_u32_e64 s4, 3, v140
	v_lshrrev_b32_e32 v16, 16, v8
	v_cmp_eq_u32_e64 s6, 4, v139
	v_cndmask_b32_e64 v5, v9, v10, s5
	v_cndmask_b32_e64 v6, v13, v14, s5
	;; [unrolled: 1-line block ×3, first 2 shown]
	v_cmp_eq_u32_e64 s5, 4, v140
	v_cndmask_b32_e64 v13, v18, v14, s4
	v_cndmask_b32_e64 v17, v19, v10, s3
	;; [unrolled: 1-line block ×3, first 2 shown]
	v_cndmask_b32_e32 v1, v1, v10, vcc_lo
	v_cndmask_b32_e32 v2, v2, v14, vcc_lo
	v_cmp_eq_u32_e32 vcc_lo, 4, v142
	v_cmp_eq_u32_e64 s4, 4, v141
	v_lshrrev_b32_e32 v11, 16, v3
	v_cndmask_b32_e64 v5, v5, v3, s6
	v_cndmask_b32_e64 v6, v6, v7, s6
	;; [unrolled: 1-line block ×4, first 2 shown]
	v_cndmask_b32_e32 v13, v17, v3, vcc_lo
	v_cmp_eq_u32_e64 s3, 5, v142
	v_cndmask_b32_e32 v14, v18, v7, vcc_lo
	v_cndmask_b32_e64 v1, v1, v3, s4
	v_cmp_eq_u32_e32 vcc_lo, 5, v141
	v_cmp_eq_u32_e64 s5, 5, v139
	v_cndmask_b32_e64 v2, v2, v7, s4
	v_cmp_eq_u32_e64 s4, 5, v140
	v_cmp_eq_u32_e64 s6, 6, v139
	v_cndmask_b32_e32 v1, v1, v11, vcc_lo
	v_cndmask_b32_e64 v3, v5, v11, s5
	v_cndmask_b32_e64 v5, v6, v15, s5
	;; [unrolled: 1-line block ×3, first 2 shown]
	v_cmp_eq_u32_e64 s5, 6, v140
	v_cndmask_b32_e64 v7, v10, v15, s4
	v_cndmask_b32_e64 v9, v13, v11, s3
	;; [unrolled: 1-line block ×3, first 2 shown]
	v_cndmask_b32_e32 v2, v2, v15, vcc_lo
	v_cmp_eq_u32_e32 vcc_lo, 6, v142
	v_cmp_eq_u32_e64 s3, 6, v141
	v_lshrrev_b32_e32 v12, 16, v4
	v_cndmask_b32_e64 v3, v3, v4, s6
	v_cndmask_b32_e64 v5, v5, v8, s6
	;; [unrolled: 1-line block ×4, first 2 shown]
	v_cndmask_b32_e32 v9, v9, v4, vcc_lo
	v_cmp_eq_u32_e64 s4, 7, v142
	v_cndmask_b32_e32 v10, v10, v8, vcc_lo
	v_cndmask_b32_e64 v1, v1, v4, s3
	v_cmp_eq_u32_e32 vcc_lo, 7, v141
	v_cndmask_b32_e64 v2, v2, v8, s3
	v_cmp_eq_u32_e64 s3, 7, v139
	v_cmp_eq_u32_e64 s5, 7, v140
	v_cndmask_b32_e32 v1, v1, v12, vcc_lo
	s_delay_alu instid0(VALU_DEP_4) | instskip(NEXT) | instid1(VALU_DEP_4)
	v_cndmask_b32_e32 v2, v2, v16, vcc_lo
	v_cndmask_b32_e64 v8, v3, v12, s3
	s_delay_alu instid0(VALU_DEP_4)
	v_cndmask_b32_e64 v6, v6, v12, s5
	v_cndmask_b32_e64 v3, v9, v12, s4
	;; [unrolled: 1-line block ×5, first 2 shown]
	v_cmp_gt_u32_e32 vcc_lo, 32, v0
	v_perm_b32 v4, v2, v1, 0x5040100
	v_perm_b32 v3, v9, v3, 0x5040100
	;; [unrolled: 1-line block ×4, first 2 shown]
	s_and_b32 s2, vcc_lo, s2
	ds_store_b128 v144, v[1:4]
	s_waitcnt lgkmcnt(0)
	s_barrier
	buffer_gl0_inv
	s_and_saveexec_b32 s3, s2
	s_cbranch_execz .LBB274_2
; %bb.14:
	s_load_b64 s[0:1], s[0:1], 0x68
	v_lshlrev_b32_e32 v1, 10, v0
	v_and_b32_e32 v0, 1, v0
	v_lshlrev_b32_e32 v2, 6, v138
	s_lshl_b32 s4, s36, 7
	v_lshlrev_b32_e32 v4, 4, v137
	v_and_b32_e32 v1, 0x3800, v1
	v_lshlrev_b32_e32 v0, 4, v0
	s_mul_i32 s2, s4, s34
	s_delay_alu instid0(SALU_CYCLE_1) | instskip(NEXT) | instid1(VALU_DEP_1)
	s_mul_i32 s2, s2, s37
	v_or3_b32 v0, v1, v2, v0
	s_ashr_i32 s3, s2, 31
	s_delay_alu instid0(SALU_CYCLE_1)
	s_lshl_b64 s[2:3], s[2:3], 1
	ds_load_b128 v[0:3], v0
	s_waitcnt lgkmcnt(0)
	s_add_u32 s5, s0, s2
	s_addc_u32 s3, s1, s3
	s_lshl_b32 s0, s14, 7
	s_mul_i32 s2, s4, s15
	s_ashr_i32 s1, s0, 31
	s_delay_alu instid0(SALU_CYCLE_1) | instskip(NEXT) | instid1(SALU_CYCLE_1)
	s_lshl_b64 s[0:1], s[0:1], 1
	s_add_u32 s4, s5, s0
	s_addc_u32 s5, s3, s1
	s_ashr_i32 s3, s2, 31
	s_delay_alu instid0(SALU_CYCLE_1) | instskip(NEXT) | instid1(SALU_CYCLE_1)
	s_lshl_b64 s[0:1], s[2:3], 1
	s_add_u32 s0, s4, s0
	s_addc_u32 s1, s5, s1
	global_store_b128 v4, v[0:3], s[0:1]
	s_nop 0
	s_sendmsg sendmsg(MSG_DEALLOC_VGPRS)
	s_endpgm
	.section	.rodata,"a",@progbits
	.p2align	6, 0x0
	.amdhsa_kernel _Z39paged_attention_ll4mi_QKV_mfma16_kernelIDF16_DF16_LN4vllm18Fp8KVCacheDataTypeE0EDF16_Li16ELi128ELi256ELb1ELi1EL8MFMAType0EEvPKT_PKT0_S8_ifPKiSA_SA_iPKfiiiPfSD_PS3_PT2_iSC_SC_
		.amdhsa_group_segment_fixed_size 17472
		.amdhsa_private_segment_fixed_size 0
		.amdhsa_kernarg_size 400
		.amdhsa_user_sgpr_count 13
		.amdhsa_user_sgpr_dispatch_ptr 0
		.amdhsa_user_sgpr_queue_ptr 0
		.amdhsa_user_sgpr_kernarg_segment_ptr 1
		.amdhsa_user_sgpr_dispatch_id 0
		.amdhsa_user_sgpr_private_segment_size 0
		.amdhsa_wavefront_size32 1
		.amdhsa_uses_dynamic_stack 0
		.amdhsa_enable_private_segment 0
		.amdhsa_system_sgpr_workgroup_id_x 1
		.amdhsa_system_sgpr_workgroup_id_y 1
		.amdhsa_system_sgpr_workgroup_id_z 1
		.amdhsa_system_sgpr_workgroup_info 0
		.amdhsa_system_vgpr_workitem_id 0
		.amdhsa_next_free_vgpr 227
		.amdhsa_next_free_sgpr 98
		.amdhsa_reserve_vcc 1
		.amdhsa_float_round_mode_32 0
		.amdhsa_float_round_mode_16_64 0
		.amdhsa_float_denorm_mode_32 3
		.amdhsa_float_denorm_mode_16_64 3
		.amdhsa_dx10_clamp 1
		.amdhsa_ieee_mode 1
		.amdhsa_fp16_overflow 0
		.amdhsa_workgroup_processor_mode 1
		.amdhsa_memory_ordered 1
		.amdhsa_forward_progress 0
		.amdhsa_shared_vgpr_count 0
		.amdhsa_exception_fp_ieee_invalid_op 0
		.amdhsa_exception_fp_denorm_src 0
		.amdhsa_exception_fp_ieee_div_zero 0
		.amdhsa_exception_fp_ieee_overflow 0
		.amdhsa_exception_fp_ieee_underflow 0
		.amdhsa_exception_fp_ieee_inexact 0
		.amdhsa_exception_int_div_zero 0
	.end_amdhsa_kernel
	.section	.text._Z39paged_attention_ll4mi_QKV_mfma16_kernelIDF16_DF16_LN4vllm18Fp8KVCacheDataTypeE0EDF16_Li16ELi128ELi256ELb1ELi1EL8MFMAType0EEvPKT_PKT0_S8_ifPKiSA_SA_iPKfiiiPfSD_PS3_PT2_iSC_SC_,"axG",@progbits,_Z39paged_attention_ll4mi_QKV_mfma16_kernelIDF16_DF16_LN4vllm18Fp8KVCacheDataTypeE0EDF16_Li16ELi128ELi256ELb1ELi1EL8MFMAType0EEvPKT_PKT0_S8_ifPKiSA_SA_iPKfiiiPfSD_PS3_PT2_iSC_SC_,comdat
.Lfunc_end274:
	.size	_Z39paged_attention_ll4mi_QKV_mfma16_kernelIDF16_DF16_LN4vllm18Fp8KVCacheDataTypeE0EDF16_Li16ELi128ELi256ELb1ELi1EL8MFMAType0EEvPKT_PKT0_S8_ifPKiSA_SA_iPKfiiiPfSD_PS3_PT2_iSC_SC_, .Lfunc_end274-_Z39paged_attention_ll4mi_QKV_mfma16_kernelIDF16_DF16_LN4vllm18Fp8KVCacheDataTypeE0EDF16_Li16ELi128ELi256ELb1ELi1EL8MFMAType0EEvPKT_PKT0_S8_ifPKiSA_SA_iPKfiiiPfSD_PS3_PT2_iSC_SC_
                                        ; -- End function
	.section	.AMDGPU.csdata,"",@progbits
; Kernel info:
; codeLenInByte = 7864
; NumSgprs: 100
; NumVgprs: 227
; ScratchSize: 0
; MemoryBound: 1
; FloatMode: 240
; IeeeMode: 1
; LDSByteSize: 17472 bytes/workgroup (compile time only)
; SGPRBlocks: 12
; VGPRBlocks: 28
; NumSGPRsForWavesPerEU: 100
; NumVGPRsForWavesPerEU: 227
; Occupancy: 6
; WaveLimiterHint : 1
; COMPUTE_PGM_RSRC2:SCRATCH_EN: 0
; COMPUTE_PGM_RSRC2:USER_SGPR: 13
; COMPUTE_PGM_RSRC2:TRAP_HANDLER: 0
; COMPUTE_PGM_RSRC2:TGID_X_EN: 1
; COMPUTE_PGM_RSRC2:TGID_Y_EN: 1
; COMPUTE_PGM_RSRC2:TGID_Z_EN: 1
; COMPUTE_PGM_RSRC2:TIDIG_COMP_CNT: 0
	.section	.text._Z39paged_attention_ll4mi_QKV_mfma16_kernelIDF16_DF16_LN4vllm18Fp8KVCacheDataTypeE0EDF16_Li16ELi128ELi256ELb1ELi2EL8MFMAType0EEvPKT_PKT0_S8_ifPKiSA_SA_iPKfiiiPfSD_PS3_PT2_iSC_SC_,"axG",@progbits,_Z39paged_attention_ll4mi_QKV_mfma16_kernelIDF16_DF16_LN4vllm18Fp8KVCacheDataTypeE0EDF16_Li16ELi128ELi256ELb1ELi2EL8MFMAType0EEvPKT_PKT0_S8_ifPKiSA_SA_iPKfiiiPfSD_PS3_PT2_iSC_SC_,comdat
	.protected	_Z39paged_attention_ll4mi_QKV_mfma16_kernelIDF16_DF16_LN4vllm18Fp8KVCacheDataTypeE0EDF16_Li16ELi128ELi256ELb1ELi2EL8MFMAType0EEvPKT_PKT0_S8_ifPKiSA_SA_iPKfiiiPfSD_PS3_PT2_iSC_SC_ ; -- Begin function _Z39paged_attention_ll4mi_QKV_mfma16_kernelIDF16_DF16_LN4vllm18Fp8KVCacheDataTypeE0EDF16_Li16ELi128ELi256ELb1ELi2EL8MFMAType0EEvPKT_PKT0_S8_ifPKiSA_SA_iPKfiiiPfSD_PS3_PT2_iSC_SC_
	.globl	_Z39paged_attention_ll4mi_QKV_mfma16_kernelIDF16_DF16_LN4vllm18Fp8KVCacheDataTypeE0EDF16_Li16ELi128ELi256ELb1ELi2EL8MFMAType0EEvPKT_PKT0_S8_ifPKiSA_SA_iPKfiiiPfSD_PS3_PT2_iSC_SC_
	.p2align	8
	.type	_Z39paged_attention_ll4mi_QKV_mfma16_kernelIDF16_DF16_LN4vllm18Fp8KVCacheDataTypeE0EDF16_Li16ELi128ELi256ELb1ELi2EL8MFMAType0EEvPKT_PKT0_S8_ifPKiSA_SA_iPKfiiiPfSD_PS3_PT2_iSC_SC_,@function
_Z39paged_attention_ll4mi_QKV_mfma16_kernelIDF16_DF16_LN4vllm18Fp8KVCacheDataTypeE0EDF16_Li16ELi128ELi256ELb1ELi2EL8MFMAType0EEvPKT_PKT0_S8_ifPKiSA_SA_iPKfiiiPfSD_PS3_PT2_iSC_SC_: ; @_Z39paged_attention_ll4mi_QKV_mfma16_kernelIDF16_DF16_LN4vllm18Fp8KVCacheDataTypeE0EDF16_Li16ELi128ELi256ELb1ELi2EL8MFMAType0EEvPKT_PKT0_S8_ifPKiSA_SA_iPKfiiiPfSD_PS3_PT2_iSC_SC_
; %bb.0:
	s_load_b64 s[2:3], s[0:1], 0x30
	s_mov_b32 s34, s13
	s_waitcnt lgkmcnt(0)
	s_cmp_lg_u64 s[2:3], 0
	s_cselect_b32 s8, -1, 0
	s_ashr_i32 s35, s13, 31
	s_cmp_eq_u64 s[2:3], 0
	s_cbranch_scc1 .LBB275_3
; %bb.1:
	s_lshl_b64 s[4:5], s[34:35], 2
	s_delay_alu instid0(SALU_CYCLE_1) | instskip(SKIP_4) | instid1(SALU_CYCLE_1)
	s_add_u32 s4, s2, s4
	s_addc_u32 s5, s3, s5
	s_load_b64 s[4:5], s[4:5], 0x0
	s_waitcnt lgkmcnt(0)
	s_sub_i32 s4, s5, s4
	s_cmp_eq_u32 s4, 1
	s_cselect_b32 s4, -1, 0
	s_delay_alu instid0(SALU_CYCLE_1)
	s_and_not1_b32 vcc_lo, exec_lo, s4
	s_cbranch_vccz .LBB275_4
.LBB275_2:
	s_endpgm
.LBB275_3:
.LBB275_4:
	s_load_b64 s[4:5], s[0:1], 0x28
	s_lshl_b64 s[6:7], s[34:35], 2
	s_waitcnt lgkmcnt(0)
	s_add_u32 s4, s4, s6
	s_addc_u32 s5, s5, s7
	s_lshl_b32 s35, s14, 8
	s_load_b32 s30, s[4:5], 0x0
	s_waitcnt lgkmcnt(0)
	s_cmp_ge_i32 s35, s30
	s_cbranch_scc1 .LBB275_2
; %bb.5:
	s_clause 0x1
	s_load_b128 s[20:23], s[0:1], 0x8
	s_load_b64 s[4:5], s[0:1], 0x20
	s_and_not1_b32 vcc_lo, exec_lo, s8
	s_cbranch_vccnz .LBB275_7
; %bb.6:
	s_add_u32 s2, s2, s6
	s_addc_u32 s3, s3, s7
	s_load_b32 s3, s[2:3], 0x0
	s_branch .LBB275_8
.LBB275_7:
	s_mov_b32 s3, s34
.LBB275_8:
	s_load_b128 s[16:19], s[0:1], 0x48
	v_and_b32_e32 v150, 15, v0
	v_bfe_u32 v149, v0, 4, 1
	s_lshl_b32 s31, s15, 1
	v_and_b32_e32 v151, 31, v0
	v_and_b32_e32 v148, 1, v0
	v_lshlrev_b32_e32 v1, 3, v150
	v_cmp_gt_u32_e64 s2, 32, v0
	v_or_b32_e32 v147, s31, v149
	v_lshlrev_b32_e32 v146, 6, v149
	s_delay_alu instid0(VALU_DEP_4) | instskip(NEXT) | instid1(VALU_DEP_4)
	v_lshlrev_b32_e32 v145, 1, v1
	s_and_saveexec_b32 s6, s2
	s_cbranch_execz .LBB275_10
; %bb.9:
	s_load_b64 s[8:9], s[0:1], 0x0
	v_lshlrev_b32_e32 v1, 7, v147
	s_waitcnt lgkmcnt(0)
	s_mul_hi_i32 s11, s3, s16
	s_mul_i32 s10, s3, s16
	v_lshlrev_b32_e32 v5, 10, v150
	s_lshl_b64 s[10:11], s[10:11], 1
	v_ashrrev_i32_e32 v2, 31, v1
	v_lshlrev_b32_e32 v6, 10, v148
	s_delay_alu instid0(VALU_DEP_3) | instskip(NEXT) | instid1(VALU_DEP_3)
	v_and_b32_e32 v5, 0x3800, v5
	v_lshlrev_b64 v[1:2], 1, v[1:2]
	s_delay_alu instid0(VALU_DEP_2) | instskip(SKIP_2) | instid1(VALU_DEP_2)
	v_or3_b32 v5, v5, v6, v146
	s_add_u32 s3, s8, s10
	s_addc_u32 s7, s9, s11
	v_add_co_u32 v1, vcc_lo, s3, v1
	s_delay_alu instid0(VALU_DEP_3) | instskip(NEXT) | instid1(VALU_DEP_2)
	v_add_co_ci_u32_e32 v2, vcc_lo, s7, v2, vcc_lo
	v_add_co_u32 v1, vcc_lo, v1, v145
	s_delay_alu instid0(VALU_DEP_2)
	v_add_co_ci_u32_e32 v2, vcc_lo, 0, v2, vcc_lo
	global_load_b128 v[1:4], v[1:2], off
	s_waitcnt vmcnt(0)
	ds_store_b128 v5, v[1:4]
.LBB275_10:
	s_or_b32 exec_lo, exec_lo, s6
	v_and_b32_e32 v1, 0xef, v0
	s_waitcnt lgkmcnt(0)
	s_add_i32 s3, s30, 15
	s_clause 0x1
	s_load_b32 s6, s[0:1], 0x38
	s_load_b32 s33, s[0:1], 0x98
	s_ashr_i32 s7, s3, 31
	v_add_nc_u32_e32 v1, s35, v1
	s_lshr_b32 s7, s7, 28
	s_load_b32 s36, s[0:1], 0x1c
	s_add_i32 s3, s3, s7
	s_waitcnt lgkmcnt(0)
	v_ashrrev_i32_e32 v2, 31, v1
	v_cmp_gt_i32_e32 vcc_lo, s30, v1
	s_ashr_i32 s3, s3, 4
	s_barrier
	s_add_i32 s3, s3, -1
	v_lshrrev_b32_e32 v3, 28, v2
	v_or_b32_e32 v2, 16, v1
	buffer_gl0_inv
	v_lshlrev_b32_e32 v153, 6, v148
	v_lshrrev_b32_e32 v152, 5, v0
	v_add_nc_u32_e32 v4, v1, v3
	v_add_nc_u32_e32 v3, v2, v3
	s_mul_i32 s6, s34, s6
	v_lshlrev_b32_e32 v125, 5, v150
	s_ashr_i32 s7, s6, 31
	v_ashrrev_i32_e32 v4, 4, v4
	v_ashrrev_i32_e32 v3, 4, v3
	s_lshl_b64 s[6:7], s[6:7], 2
	s_delay_alu instid0(SALU_CYCLE_1) | instskip(NEXT) | instid1(VALU_DEP_2)
	s_add_u32 s16, s4, s6
	v_cndmask_b32_e32 v1, s3, v4, vcc_lo
	v_cmp_gt_i32_e32 vcc_lo, s30, v2
	s_addc_u32 s37, s5, s7
	s_mul_i32 s4, s15, s18
	s_delay_alu instid0(SALU_CYCLE_1) | instskip(SKIP_3) | instid1(SALU_CYCLE_1)
	s_ashr_i32 s5, s4, 31
	v_cndmask_b32_e32 v3, s3, v3, vcc_lo
	v_ashrrev_i32_e32 v2, 31, v1
	s_lshl_b64 s[12:13], s[4:5], 1
	s_add_u32 s26, s20, s12
	s_delay_alu instid0(VALU_DEP_2) | instskip(NEXT) | instid1(VALU_DEP_2)
	v_ashrrev_i32_e32 v4, 31, v3
	v_lshlrev_b64 v[1:2], 2, v[1:2]
	s_addc_u32 s27, s21, s13
	s_lshl_b32 s4, s14, 4
	s_delay_alu instid0(VALU_DEP_2) | instskip(SKIP_1) | instid1(VALU_DEP_2)
	v_lshlrev_b64 v[3:4], 2, v[3:4]
	s_ashr_i32 s5, s4, 31
	v_add_co_u32 v1, vcc_lo, s16, v1
	v_add_co_ci_u32_e32 v2, vcc_lo, s37, v2, vcc_lo
	s_delay_alu instid0(VALU_DEP_3) | instskip(NEXT) | instid1(VALU_DEP_4)
	v_add_co_u32 v3, vcc_lo, s16, v3
	v_add_co_ci_u32_e32 v4, vcc_lo, s37, v4, vcc_lo
	s_lshl_b64 s[4:5], s[4:5], 2
	s_clause 0x1
	global_load_b32 v5, v[1:2], off
	global_load_b32 v6, v[3:4], off
	s_add_u32 s4, s16, s4
	s_addc_u32 s5, s37, s5
	s_or_b32 s6, s35, 16
	v_lshlrev_b32_e32 v3, 4, v0
	s_ashr_i32 s7, s6, 4
	s_cmp_lt_i32 s6, s30
	s_cselect_b32 s6, s7, s3
	s_delay_alu instid0(SALU_CYCLE_1) | instskip(NEXT) | instid1(SALU_CYCLE_1)
	s_ashr_i32 s7, s6, 31
	s_lshl_b64 s[6:7], s[6:7], 2
	s_delay_alu instid0(SALU_CYCLE_1) | instskip(SKIP_2) | instid1(SALU_CYCLE_1)
	s_add_u32 s6, s16, s6
	s_addc_u32 s7, s37, s7
	s_or_b32 s8, s35, 32
	s_ashr_i32 s9, s8, 4
	s_cmp_lt_i32 s8, s30
	s_cselect_b32 s8, s9, s3
	s_delay_alu instid0(SALU_CYCLE_1) | instskip(NEXT) | instid1(SALU_CYCLE_1)
	s_ashr_i32 s9, s8, 31
	s_lshl_b64 s[8:9], s[8:9], 2
	s_delay_alu instid0(SALU_CYCLE_1) | instskip(SKIP_2) | instid1(SALU_CYCLE_1)
	s_add_u32 s8, s16, s8
	s_addc_u32 s9, s37, s9
	s_or_b32 s10, s35, 48
	;; [unrolled: 10-line block ×4, first 2 shown]
	s_ashr_i32 s18, s15, 4
	s_cmp_lt_i32 s15, s30
	s_cselect_b32 s18, s18, s3
	s_delay_alu instid0(SALU_CYCLE_1) | instskip(NEXT) | instid1(SALU_CYCLE_1)
	s_ashr_i32 s19, s18, 31
	s_lshl_b64 s[18:19], s[18:19], 2
	s_delay_alu instid0(SALU_CYCLE_1)
	s_add_u32 s24, s16, s18
	s_addc_u32 s25, s37, s19
	s_clause 0x5
	s_load_b32 s38, s[4:5], 0x0
	s_load_b32 s29, s[6:7], 0x0
	;; [unrolled: 1-line block ×6, first 2 shown]
	s_waitcnt vmcnt(1)
	v_mad_i64_i32 v[1:2], null, v5, s17, 0
	v_and_b32_e32 v5, 0xf0, v3
	s_waitcnt vmcnt(0)
	v_mad_i64_i32 v[3:4], null, v6, s17, 0
	s_delay_alu instid0(VALU_DEP_2) | instskip(NEXT) | instid1(VALU_DEP_4)
	v_add_co_u32 v5, s4, s26, v5
	v_lshlrev_b64 v[1:2], 1, v[1:2]
	v_add_co_ci_u32_e64 v6, null, s27, 0, s4
	s_delay_alu instid0(VALU_DEP_4) | instskip(SKIP_1) | instid1(VALU_DEP_3)
	v_lshlrev_b64 v[3:4], 1, v[3:4]
	s_or_b32 s4, s35, 0x60
	v_add_co_u32 v121, vcc_lo, v5, v1
	s_delay_alu instid0(VALU_DEP_3) | instskip(NEXT) | instid1(VALU_DEP_3)
	v_add_co_ci_u32_e32 v122, vcc_lo, v6, v2, vcc_lo
	v_add_co_u32 v123, vcc_lo, v5, v3
	s_delay_alu instid0(VALU_DEP_4)
	v_add_co_ci_u32_e32 v124, vcc_lo, v6, v4, vcc_lo
	s_clause 0x1b
	global_load_b128 v[89:92], v[121:122], off
	global_load_b128 v[93:96], v[121:122], off offset:256
	global_load_b128 v[97:100], v[123:124], off
	global_load_b128 v[101:104], v[123:124], off offset:256
	global_load_b128 v[81:84], v[121:122], off offset:512
	;; [unrolled: 1-line block ×25, first 2 shown]
	ds_load_b128 v[105:108], v153
	ds_load_b128 v[109:112], v153 offset:1024
	ds_load_b128 v[113:116], v153 offset:2048
	;; [unrolled: 1-line block ×9, first 2 shown]
	s_clause 0x3
	global_load_b128 v[186:189], v[121:122], off offset:3584
	global_load_b128 v[190:193], v[121:122], off offset:3840
	;; [unrolled: 1-line block ×4, first 2 shown]
	s_ashr_i32 s5, s4, 4
	s_cmp_lt_i32 s4, s30
	ds_load_b128 v[202:205], v153 offset:10240
	ds_load_b128 v[206:209], v153 offset:11264
	s_cselect_b32 s4, s5, s3
	ds_load_b128 v[210:213], v153 offset:12288
	ds_load_b128 v[214:217], v153 offset:13312
	s_ashr_i32 s5, s4, 31
	s_delay_alu instid0(SALU_CYCLE_1) | instskip(NEXT) | instid1(SALU_CYCLE_1)
	s_lshl_b64 s[4:5], s[4:5], 2
	s_add_u32 s20, s16, s4
	s_addc_u32 s21, s37, s5
	s_or_b32 s4, s35, 0x70
	s_load_b32 s45, s[20:21], 0x0
	s_ashr_i32 s5, s4, 4
	s_cmp_lt_i32 s4, s30
	s_mov_b32 s4, 0
	s_cselect_b32 s6, s5, s3
	s_mov_b32 s5, s4
	s_ashr_i32 s7, s6, 31
	s_mov_b32 s9, s4
	s_lshl_b64 s[6:7], s[6:7], 2
	s_delay_alu instid0(SALU_CYCLE_1)
	s_add_u32 s24, s16, s6
	s_addc_u32 s25, s37, s7
	s_or_b32 s7, s35, 0x80
	s_load_b32 s46, s[24:25], 0x0
	s_ashr_i32 s8, s7, 4
	s_cmp_lt_i32 s7, s30
	s_mov_b32 s6, s4
	s_cselect_b32 s10, s8, s3
	s_mov_b32 s7, s4
	s_ashr_i32 s11, s10, 31
	s_mov_b32 s8, s4
	s_lshl_b64 s[26:27], s[10:11], 2
	s_mov_b32 s11, s4
	s_add_u32 s26, s16, s26
	s_addc_u32 s27, s37, s27
	s_or_b32 s39, s35, 0x90
	s_mov_b32 s10, s4
	s_ashr_i32 s40, s39, 4
	s_cmp_lt_i32 s39, s30
	v_dual_mov_b32 v136, s11 :: v_dual_mov_b32 v135, s10
	v_dual_mov_b32 v134, s9 :: v_dual_mov_b32 v133, s8
	;; [unrolled: 1-line block ×4, first 2 shown]
	s_cselect_b32 s4, s40, s3
	s_waitcnt lgkmcnt(0)
	s_mul_hi_i32 s7, s29, s17
	s_ashr_i32 s5, s4, 31
	s_mul_hi_i32 s11, s19, s17
	s_lshl_b64 s[4:5], s[4:5], 2
	s_delay_alu instid0(SALU_CYCLE_1)
	s_add_u32 s40, s16, s4
	s_addc_u32 s41, s37, s5
	s_or_b32 s4, s35, 0xa0
	s_load_b32 s41, s[40:41], 0x0
	s_ashr_i32 s5, s4, 4
	s_cmp_lt_i32 s4, s30
	s_mul_hi_i32 s21, s15, s17
	s_cselect_b32 s4, s5, s3
	s_delay_alu instid0(SALU_CYCLE_1) | instskip(NEXT) | instid1(SALU_CYCLE_1)
	s_ashr_i32 s5, s4, 31
	s_lshl_b64 s[4:5], s[4:5], 2
	s_delay_alu instid0(SALU_CYCLE_1)
	s_add_u32 s42, s16, s4
	s_addc_u32 s43, s37, s5
	s_or_b32 s4, s35, 0xb0
	s_mul_hi_i32 s5, s38, s17
	s_ashr_i32 s6, s4, 4
	s_cmp_lt_i32 s4, s30
	s_mul_i32 s4, s38, s17
	s_cselect_b32 s8, s6, s3
	s_mul_i32 s6, s29, s17
	s_ashr_i32 s9, s8, 31
	s_load_b32 s40, s[42:43], 0x0
	s_lshl_b64 s[8:9], s[8:9], 2
	s_waitcnt lgkmcnt(0)
	s_mul_hi_i32 s43, s41, s17
	s_add_u32 s38, s16, s8
	s_addc_u32 s39, s37, s9
	s_or_b32 s8, s35, 0xc0
	s_mul_hi_i32 s9, s28, s17
	s_ashr_i32 s10, s8, 4
	s_cmp_lt_i32 s8, s30
	s_mul_i32 s8, s28, s17
	s_cselect_b32 s28, s10, s3
	s_mul_i32 s10, s19, s17
	s_ashr_i32 s29, s28, 31
	s_mul_hi_i32 s19, s18, s17
	s_lshl_b64 s[28:29], s[28:29], 2
	s_mul_i32 s18, s18, s17
	s_add_u32 s28, s16, s28
	s_addc_u32 s29, s37, s29
	s_or_b32 s44, s35, 0xd0
	s_delay_alu instid0(SALU_CYCLE_1)
	s_ashr_i32 s20, s44, 4
	s_cmp_lt_i32 s44, s30
	s_load_b32 s44, s[26:27], 0x0
	s_cselect_b32 s24, s20, s3
	s_mul_i32 s20, s15, s17
	s_ashr_i32 s25, s24, 31
	s_mul_hi_i32 s27, s46, s17
	s_lshl_b64 s[24:25], s[24:25], 2
	s_mul_i32 s26, s46, s17
	s_add_u32 s24, s16, s24
	s_addc_u32 s25, s37, s25
	s_or_b32 s42, s35, 0xe0
	s_clause 0x2
	s_load_b32 s39, s[38:39], 0x0
	s_load_b32 s38, s[28:29], 0x0
	;; [unrolled: 1-line block ×3, first 2 shown]
	s_ashr_i32 s47, s42, 4
	s_cmp_lt_i32 s42, s30
	s_mul_hi_i32 s25, s45, s17
	s_mul_i32 s24, s45, s17
	s_mul_i32 s42, s41, s17
	s_mul_hi_i32 s41, s40, s17
	s_mul_i32 s40, s40, s17
	s_waitcnt lgkmcnt(0)
	s_mul_hi_i32 s29, s44, s17
	s_mul_i32 s28, s44, s17
	s_cselect_b32 s44, s47, s3
	s_delay_alu instid0(SALU_CYCLE_1) | instskip(NEXT) | instid1(SALU_CYCLE_1)
	s_ashr_i32 s45, s44, 31
	s_lshl_b64 s[44:45], s[44:45], 2
	s_delay_alu instid0(SALU_CYCLE_1)
	s_add_u32 s44, s16, s44
	s_addc_u32 s45, s37, s45
	s_or_b32 s46, s35, 0xf0
	s_mul_hi_i32 s51, s15, s17
	s_ashr_i32 s48, s46, 4
	s_cmp_lt_i32 s46, s30
	s_mul_i32 s50, s15, s17
	s_cselect_b32 s48, s48, s3
	s_mul_hi_i32 s47, s39, s17
	s_ashr_i32 s49, s48, 31
	s_mul_i32 s46, s39, s17
	s_lshl_b64 s[48:49], s[48:49], 2
	s_mul_hi_i32 s39, s38, s17
	s_add_u32 s48, s16, s48
	s_addc_u32 s49, s37, s49
	s_add_u32 s3, s22, s12
	s_addc_u32 s15, s23, s13
	s_lshl_b64 s[4:5], s[4:5], 1
	s_lshl_b64 s[6:7], s[6:7], 1
	;; [unrolled: 1-line block ×12, first 2 shown]
	s_mul_i32 s38, s38, s17
	s_delay_alu instid0(SALU_CYCLE_1)
	s_lshl_b64 s[38:39], s[38:39], 1
	s_waitcnt vmcnt(30)
	v_wmma_f32_16x16x16_f16 v[137:144], v[89:96], v[105:112], v[129:136]
	v_lshl_or_b32 v89, v152, 9, v125
	s_waitcnt vmcnt(28)
	v_wmma_f32_16x16x16_f16 v[129:136], v[97:104], v[105:112], v[129:136]
	s_waitcnt vmcnt(26)
	v_wmma_f32_16x16x16_f16 v[137:144], v[81:88], v[113:120], v[137:144]
	v_add_co_u32 v228, s3, s3, v89
	s_delay_alu instid0(VALU_DEP_1) | instskip(SKIP_2) | instid1(VALU_DEP_3)
	v_add_co_ci_u32_e64 v229, null, s15, 0, s3
	s_waitcnt vmcnt(24)
	v_wmma_f32_16x16x16_f16 v[129:136], v[73:80], v[113:120], v[129:136]
	v_add_co_u32 v89, vcc_lo, v228, s4
	s_delay_alu instid0(VALU_DEP_3)
	v_add_co_ci_u32_e32 v90, vcc_lo, s5, v229, vcc_lo
	v_add_co_u32 v81, vcc_lo, v228, s6
	v_add_co_ci_u32_e32 v82, vcc_lo, s7, v229, vcc_lo
	v_add_co_u32 v83, vcc_lo, v228, s8
	;; [unrolled: 2-line block ×7, first 2 shown]
	v_add_co_ci_u32_e32 v219, vcc_lo, s23, v229, vcc_lo
	s_clause 0x1
	s_load_b32 s3, s[44:45], 0x0
	s_load_b32 s15, s[48:49], 0x0
	v_add_co_u32 v220, vcc_lo, v228, s24
	v_add_co_ci_u32_e32 v221, vcc_lo, s25, v229, vcc_lo
	v_add_co_u32 v222, vcc_lo, v228, s26
	s_waitcnt vmcnt(22)
	v_wmma_f32_16x16x16_f16 v[137:144], v[65:72], v[162:169], v[137:144]
	v_add_co_ci_u32_e32 v223, vcc_lo, s27, v229, vcc_lo
	v_add_co_u32 v224, vcc_lo, v228, s28
	s_waitcnt vmcnt(20)
	v_wmma_f32_16x16x16_f16 v[129:136], v[57:64], v[162:169], v[129:136]
	;; [unrolled: 4-line block ×3, first 2 shown]
	v_add_co_ci_u32_e32 v227, vcc_lo, s41, v229, vcc_lo
	s_waitcnt vmcnt(16)
	v_wmma_f32_16x16x16_f16 v[129:136], v[41:48], v[170:177], v[129:136]
	v_add_co_u32 v41, vcc_lo, v228, s38
	s_waitcnt vmcnt(14)
	v_wmma_f32_16x16x16_f16 v[137:144], v[25:32], v[178:185], v[137:144]
	v_add_co_ci_u32_e32 v42, vcc_lo, s39, v229, vcc_lo
	s_lshl_b64 s[4:5], s[50:51], 1
	s_clause 0x11
	global_load_b128 v[121:124], v[89:90], off
	global_load_b128 v[125:128], v[89:90], off offset:16
	global_load_b128 v[113:116], v[81:82], off
	global_load_b128 v[117:120], v[81:82], off offset:16
	;; [unrolled: 2-line block ×9, first 2 shown]
	s_waitcnt vmcnt(30)
	v_wmma_f32_16x16x16_f16 v[129:136], v[1:8], v[178:185], v[129:136]
	s_clause 0x5
	global_load_b128 v[49:52], v[222:223], off
	global_load_b128 v[53:56], v[222:223], off offset:16
	global_load_b128 v[25:28], v[224:225], off
	global_load_b128 v[29:32], v[224:225], off offset:16
	;; [unrolled: 2-line block ×3, first 2 shown]
	s_waitcnt lgkmcnt(0)
	s_mul_hi_i32 s7, s3, s17
	s_mul_i32 s6, s3, s17
	s_waitcnt vmcnt(34)
	v_wmma_f32_16x16x16_f16 v[137:144], v[9:16], v[202:209], v[137:144]
	s_clause 0x1
	global_load_b128 v[9:12], v[41:42], off
	global_load_b128 v[13:16], v[41:42], off offset:16
	v_add_co_u32 v41, vcc_lo, v228, s4
	v_add_co_ci_u32_e32 v42, vcc_lo, s5, v229, vcc_lo
	s_lshl_b64 s[4:5], s[6:7], 1
	s_mul_hi_i32 s7, s15, s17
	s_mul_i32 s6, s15, s17
	v_add_co_u32 v45, vcc_lo, v228, s4
	v_add_co_ci_u32_e32 v46, vcc_lo, s5, v229, vcc_lo
	s_lshl_b64 s[4:5], s[6:7], 1
	s_waitcnt vmcnt(34)
	v_wmma_f32_16x16x16_f16 v[129:136], v[33:40], v[202:209], v[129:136]
	v_add_co_u32 v162, vcc_lo, v228, s4
	v_add_co_ci_u32_e32 v163, vcc_lo, s5, v229, vcc_lo
	s_clause 0x3
	global_load_b128 v[33:36], v[41:42], off
	global_load_b128 v[37:40], v[41:42], off offset:16
	global_load_b128 v[41:44], v[45:46], off
	global_load_b128 v[45:48], v[45:46], off offset:16
	s_waitcnt vmcnt(36)
	v_wmma_f32_16x16x16_f16 v[137:144], v[17:24], v[210:217], v[137:144]
	s_clause 0x1
	global_load_b128 v[17:20], v[162:163], off
	global_load_b128 v[21:24], v[162:163], off offset:16
	s_waitcnt vmcnt(36)
	v_wmma_f32_16x16x16_f16 v[129:136], v[154:161], v[210:217], v[129:136]
	ds_load_b128 v[154:157], v153 offset:14336
	ds_load_b128 v[158:161], v153 offset:15360
	v_and_b32_e32 v162, 0xe0, v0
	v_mbcnt_lo_u32_b32 v163, -1, 0
	s_waitcnt vmcnt(0) lgkmcnt(0)
	s_barrier
	buffer_gl0_inv
	v_add_nc_u32_e32 v162, s35, v162
	v_xor_b32_e32 v153, 16, v163
	s_delay_alu instid0(VALU_DEP_2) | instskip(NEXT) | instid1(VALU_DEP_2)
	v_or_b32_e32 v162, v162, v149
	v_cmp_gt_i32_e32 vcc_lo, 32, v153
	s_delay_alu instid0(VALU_DEP_2)
	v_or_b32_e32 v164, 4, v162
	v_or_b32_e32 v165, 6, v162
	;; [unrolled: 1-line block ×4, first 2 shown]
	v_wmma_f32_16x16x16_f16 v[137:144], v[186:193], v[154:161], v[137:144]
	v_wmma_f32_16x16x16_f16 v[129:136], v[194:201], v[154:161], v[129:136]
	v_cndmask_b32_e32 v153, v163, v153, vcc_lo
	v_or_b32_e32 v163, 2, v162
	v_cmp_gt_i32_e32 vcc_lo, s30, v162
	v_mul_f32_e32 v160, s36, v138
	v_dual_mul_f32 v178, s36, v136 :: v_dual_mul_f32 v161, s36, v137
	s_delay_alu instid0(VALU_DEP_4) | instskip(SKIP_2) | instid1(VALU_DEP_4)
	v_cmp_gt_i32_e64 s3, s30, v163
	v_dual_mul_f32 v158, s36, v140 :: v_dual_mul_f32 v159, s36, v139
	v_mul_f32_e32 v184, s36, v130
	v_cndmask_b32_e32 v161, 0xff7fffff, v161, vcc_lo
	s_delay_alu instid0(VALU_DEP_4)
	v_cndmask_b32_e64 v160, 0xff7fffff, v160, s3
	v_cmp_gt_i32_e64 s4, s30, v164
	v_cmp_gt_i32_e64 s5, s30, v165
	v_or_b32_e32 v168, 12, v162
	v_or_b32_e32 v169, 14, v162
	v_dual_mul_f32 v156, s36, v142 :: v_dual_mul_f32 v157, s36, v141
	v_mul_f32_e32 v182, s36, v132
	v_cndmask_b32_e64 v159, 0xff7fffff, v159, s4
	v_cndmask_b32_e64 v158, 0xff7fffff, v158, s5
	v_max3_f32 v160, v161, 0xff7fffff, v160
	v_cmp_gt_i32_e64 s6, s30, v166
	v_cmp_gt_i32_e64 s7, s30, v167
	v_or_b32_e32 v170, 16, v162
	v_or_b32_e32 v171, 18, v162
	v_dual_mul_f32 v154, s36, v144 :: v_dual_mul_f32 v155, s36, v143
	v_mul_f32_e32 v180, s36, v134
	v_cndmask_b32_e64 v157, 0xff7fffff, v157, s6
	v_cndmask_b32_e64 v156, 0xff7fffff, v156, s7
	v_max3_f32 v158, v160, v159, v158
	v_cmp_gt_i32_e64 s8, s30, v168
	v_cmp_gt_i32_e64 s9, s30, v169
	v_or_b32_e32 v172, 20, v162
	v_or_b32_e32 v173, 22, v162
	v_mul_f32_e32 v185, s36, v129
	v_cndmask_b32_e64 v155, 0xff7fffff, v155, s8
	v_cndmask_b32_e64 v154, 0xff7fffff, v154, s9
	v_max3_f32 v156, v158, v157, v156
	v_cmp_gt_i32_e64 s10, s30, v170
	v_cmp_gt_i32_e64 s11, s30, v171
	v_or_b32_e32 v174, 24, v162
	v_or_b32_e32 v175, 26, v162
	;; [unrolled: 8-line block ×3, first 2 shown]
	v_mul_f32_e32 v181, s36, v133
	v_cndmask_b32_e64 v155, 0xff7fffff, v183, s12
	v_cndmask_b32_e64 v156, 0xff7fffff, v182, s13
	v_max3_f32 v154, v154, v157, v158
	v_cmp_gt_i32_e64 s15, s30, v174
	v_cmp_gt_i32_e64 s16, s30, v175
	v_mul_f32_e32 v179, s36, v135
	v_cmp_gt_i32_e64 s17, s30, v176
	v_max3_f32 v154, v154, v155, v156
	v_cndmask_b32_e64 v157, 0xff7fffff, v181, s15
	v_cndmask_b32_e64 v158, 0xff7fffff, v180, s16
	v_cmp_gt_i32_e64 s18, s30, v177
	v_cndmask_b32_e64 v155, 0xff7fffff, v179, s17
	v_lshlrev_b32_e32 v163, 2, v153
	s_delay_alu instid0(VALU_DEP_4) | instskip(NEXT) | instid1(VALU_DEP_4)
	v_max3_f32 v154, v154, v157, v158
	v_cndmask_b32_e64 v156, 0xff7fffff, v178, s18
	s_delay_alu instid0(VALU_DEP_1) | instskip(SKIP_3) | instid1(VALU_DEP_1)
	v_max3_f32 v153, v154, v155, v156
	ds_bpermute_b32 v154, v163, v153
	s_waitcnt lgkmcnt(0)
	v_max_f32_e32 v154, v154, v154
	v_max_f32_e32 v162, v153, v154
	s_delay_alu instid0(VALU_DEP_1) | instskip(SKIP_4) | instid1(VALU_DEP_4)
	v_fma_f32 v137, s36, v137, -v162
	v_fma_f32 v138, s36, v138, -v162
	v_fma_f32 v132, s36, v132, -v162
	v_fma_f32 v139, s36, v139, -v162
	v_fma_f32 v140, s36, v140, -v162
	v_dual_mul_f32 v137, 0x3fb8aa3b, v137 :: v_dual_mul_f32 v138, 0x3fb8aa3b, v138
	s_delay_alu instid0(VALU_DEP_3) | instskip(SKIP_1) | instid1(VALU_DEP_3)
	v_dual_mul_f32 v132, 0x3fb8aa3b, v132 :: v_dual_mul_f32 v139, 0x3fb8aa3b, v139
	v_fma_f32 v141, s36, v141, -v162
	v_exp_f32_e32 v137, v137
	s_delay_alu instid0(VALU_DEP_3)
	v_exp_f32_e32 v138, v138
	v_mul_f32_e32 v140, 0x3fb8aa3b, v140
	v_exp_f32_e32 v153, v139
	v_fma_f32 v134, s36, v134, -v162
	v_exp_f32_e32 v132, v132
	v_mul_f32_e32 v141, 0x3fb8aa3b, v141
	v_exp_f32_e32 v140, v140
	v_fma_f32 v143, s36, v143, -v162
	v_dual_mul_f32 v134, 0x3fb8aa3b, v134 :: v_dual_cndmask_b32 v139, 0, v137
	v_fma_f32 v137, s36, v142, -v162
	v_cndmask_b32_e64 v138, 0, v138, s3
	v_exp_f32_e32 v154, v141
	v_cndmask_b32_e64 v141, 0, v153, s4
	v_add_f32_e32 v142, 0, v139
	v_cndmask_b32_e64 v156, 0, v132, s13
	v_fma_f32 v132, s36, v136, -v162
	v_mul_f32_e32 v137, 0x3fb8aa3b, v137
	v_fma_f32 v144, s36, v144, -v162
	v_dual_add_f32 v142, v142, v138 :: v_dual_mul_f32 v143, 0x3fb8aa3b, v143
	s_delay_alu instid0(VALU_DEP_4) | instskip(NEXT) | instid1(VALU_DEP_4)
	v_mul_f32_e32 v132, 0x3fb8aa3b, v132
	v_exp_f32_e32 v137, v137
	v_cndmask_b32_e64 v140, 0, v140, s5
	s_delay_alu instid0(VALU_DEP_3)
	v_add_f32_e32 v142, v142, v141
	v_fma_f32 v129, s36, v129, -v162
	v_mul_f32_e32 v144, 0x3fb8aa3b, v144
	v_exp_f32_e32 v153, v143
	v_cndmask_b32_e64 v143, 0, v154, s6
	v_add_f32_e32 v154, v142, v140
	v_fma_f32 v130, s36, v130, -v162
	v_mul_f32_e32 v129, 0x3fb8aa3b, v129
	v_exp_f32_e32 v144, v144
	v_cndmask_b32_e64 v142, 0, v137, s7
	v_add_f32_e32 v137, v154, v143
	v_fma_f32 v131, s36, v131, -v162
	v_mul_f32_e32 v130, 0x3fb8aa3b, v130
	v_exp_f32_e32 v129, v129
	v_cndmask_b32_e64 v153, 0, v153, s8
	v_add_f32_e32 v137, v137, v142
	v_mul_f32_e32 v131, 0x3fb8aa3b, v131
	v_exp_f32_e32 v130, v130
	v_cndmask_b32_e64 v144, 0, v144, s9
	v_fma_f32 v133, s36, v133, -v162
	v_add_f32_e32 v137, v137, v153
	v_exp_f32_e32 v131, v131
	s_mov_b32 s3, exec_lo
	v_cndmask_b32_e64 v155, 0, v129, s10
	v_mul_f32_e32 v133, 0x3fb8aa3b, v133
	v_add_f32_e32 v129, v137, v144
	s_delay_alu instid0(TRANS32_DEP_2) | instskip(SKIP_1) | instid1(VALU_DEP_4)
	v_cndmask_b32_e64 v154, 0, v130, s11
	v_fma_f32 v130, s36, v135, -v162
	v_exp_f32_e32 v133, v133
	s_delay_alu instid0(VALU_DEP_3) | instskip(NEXT) | instid1(TRANS32_DEP_2)
	v_add_f32_e32 v129, v129, v155
	v_cndmask_b32_e64 v157, 0, v131, s12
	v_exp_f32_e32 v131, v134
	v_mul_f32_e32 v130, 0x3fb8aa3b, v130
	s_delay_alu instid0(VALU_DEP_3) | instskip(NEXT) | instid1(VALU_DEP_2)
	v_add_f32_e32 v129, v129, v154
	v_exp_f32_e32 v130, v130
	s_delay_alu instid0(TRANS32_DEP_3) | instskip(NEXT) | instid1(VALU_DEP_2)
	v_cndmask_b32_e64 v159, 0, v133, s15
	v_add_f32_e32 v129, v129, v157
	s_waitcnt_depctr 0xfff
	v_cndmask_b32_e64 v158, 0, v131, s16
	v_exp_f32_e32 v131, v132
	v_add_f32_e32 v129, v129, v156
	v_cndmask_b32_e64 v161, 0, v130, s17
	s_delay_alu instid0(VALU_DEP_2) | instskip(SKIP_3) | instid1(VALU_DEP_1)
	v_add_f32_e32 v129, v129, v159
	s_waitcnt_depctr 0xfff
	v_cndmask_b32_e64 v160, 0, v131, s18
	v_add_f32_e32 v129, v129, v158
	v_add_f32_e32 v129, v129, v161
	s_delay_alu instid0(VALU_DEP_1)
	v_add_f32_e32 v129, v129, v160
	ds_bpermute_b32 v130, v163, v129
	v_cmpx_gt_u32_e32 16, v151
	s_cbranch_execz .LBB275_12
; %bb.11:
	v_mul_u32_u24_e32 v131, 0x44, v152
	s_delay_alu instid0(VALU_DEP_1) | instskip(SKIP_1) | instid1(VALU_DEP_1)
	v_lshl_add_u32 v131, v150, 2, v131
	s_waitcnt lgkmcnt(0)
	v_dual_add_f32 v129, v129, v130 :: v_dual_add_nc_u32 v130, 0x4000, v131
	ds_store_2addr_b32 v130, v162, v129 offset1:136
.LBB275_12:
	s_or_b32 exec_lo, exec_lo, s3
	v_lshlrev_b32_e32 v129, 2, v150
	s_load_b32 s35, s[0:1], 0x94
	s_waitcnt lgkmcnt(0)
	s_barrier
	buffer_gl0_inv
	v_add_nc_u32_e32 v135, 0x4000, v129
	v_cmp_eq_u32_e32 vcc_lo, 1, v152
	v_cmp_eq_u32_e64 s3, 2, v152
	v_cmp_eq_u32_e64 s4, 3, v152
	;; [unrolled: 1-line block ×3, first 2 shown]
	ds_load_2addr_b32 v[129:130], v135 offset1:17
	ds_load_2addr_b32 v[131:132], v135 offset0:34 offset1:51
	ds_load_2addr_b32 v[133:134], v135 offset0:68 offset1:85
	;; [unrolled: 1-line block ×4, first 2 shown]
	v_cmp_eq_u32_e64 s6, 5, v152
	v_cmp_eq_u32_e64 s7, 7, v152
	s_waitcnt lgkmcnt(4)
	v_max3_f32 v136, v129, 0xff7fffff, v130
	s_waitcnt lgkmcnt(3)
	s_delay_alu instid0(VALU_DEP_1) | instskip(SKIP_1) | instid1(VALU_DEP_1)
	v_max3_f32 v136, v136, v131, v132
	s_waitcnt lgkmcnt(2)
	v_max3_f32 v136, v136, v133, v134
	s_waitcnt lgkmcnt(1)
	s_delay_alu instid0(VALU_DEP_1) | instskip(NEXT) | instid1(VALU_DEP_1)
	v_max3_f32 v136, v136, v162, v163
	v_sub_f32_e32 v166, v132, v136
	v_sub_f32_e32 v129, v129, v136
	;; [unrolled: 1-line block ×4, first 2 shown]
	s_delay_alu instid0(VALU_DEP_4) | instskip(NEXT) | instid1(VALU_DEP_4)
	v_dual_sub_f32 v133, v133, v136 :: v_dual_mul_f32 v166, 0x3fb8aa3b, v166
	v_mul_f32_e32 v151, 0x3fb8aa3b, v129
	s_delay_alu instid0(VALU_DEP_3) | instskip(NEXT) | instid1(VALU_DEP_3)
	v_mul_f32_e32 v167, 0x3fb8aa3b, v131
	v_mul_f32_e32 v169, 0x3fb8aa3b, v133
	s_delay_alu instid0(VALU_DEP_4) | instskip(NEXT) | instid1(VALU_DEP_3)
	v_exp_f32_e32 v166, v166
	v_exp_f32_e32 v151, v151
	v_mul_f32_e32 v137, 0x3fb8aa3b, v137
	v_exp_f32_e32 v167, v167
	s_delay_alu instid0(VALU_DEP_1) | instskip(SKIP_1) | instid1(TRANS32_DEP_3)
	v_exp_f32_e32 v168, v137
	s_waitcnt lgkmcnt(0)
	v_fma_f32 v137, v151, v164, 0
	v_sub_f32_e32 v164, v134, v136
	ds_load_2addr_b32 v[129:130], v135 offset0:170 offset1:187
	ds_load_2addr_b32 v[131:132], v135 offset0:204 offset1:221
	;; [unrolled: 1-line block ×3, first 2 shown]
	v_sub_f32_e32 v135, v162, v136
	v_dual_fmac_f32 v137, v168, v165 :: v_dual_mul_f32 v162, 0x3fb8aa3b, v164
	v_exp_f32_e32 v164, v169
	s_waitcnt lgkmcnt(0)
	s_delay_alu instid0(VALU_DEP_2)
	v_mul_f32_e32 v135, 0x3fb8aa3b, v135
	s_barrier
	v_exp_f32_e32 v162, v162
	buffer_gl0_inv
	v_exp_f32_e32 v135, v135
	v_fmac_f32_e32 v137, v167, v129
	v_sub_f32_e32 v129, v163, v136
	s_delay_alu instid0(VALU_DEP_2) | instskip(NEXT) | instid1(VALU_DEP_2)
	v_dual_fmac_f32 v137, v166, v130 :: v_dual_cndmask_b32 v130, v151, v168
	v_mul_f32_e32 v129, 0x3fb8aa3b, v129
	s_delay_alu instid0(VALU_DEP_2) | instskip(NEXT) | instid1(VALU_DEP_2)
	v_fmac_f32_e32 v137, v164, v131
	v_exp_f32_e32 v163, v129
	s_delay_alu instid0(VALU_DEP_1)
	v_fmac_f32_e32 v137, v162, v132
	s_delay_alu instid0(TRANS32_DEP_2) | instid1(VALU_DEP_1)
	v_fmac_f32_e32 v137, v135, v133
	v_lshlrev_b32_e32 v133, 6, v150
	s_waitcnt_depctr 0xfff
	v_fmac_f32_e32 v137, v163, v134
	v_lshl_or_b32 v134, v152, 11, v133
	s_delay_alu instid0(VALU_DEP_2) | instskip(NEXT) | instid1(VALU_DEP_1)
	v_add_f32_e32 v165, 0x358637bd, v137
	v_div_scale_f32 v169, null, v165, v165, 1.0
	v_div_scale_f32 v151, vcc_lo, 1.0, v165, 1.0
	s_delay_alu instid0(VALU_DEP_2) | instskip(SKIP_2) | instid1(VALU_DEP_1)
	v_rcp_f32_e32 v170, v169
	s_waitcnt_depctr 0xfff
	v_fma_f32 v129, -v169, v170, 1.0
	v_fmac_f32_e32 v170, v129, v170
	v_cndmask_b32_e64 v129, v130, v167, s3
	v_cmp_eq_u32_e64 s3, 6, v152
	s_delay_alu instid0(VALU_DEP_3) | instskip(NEXT) | instid1(VALU_DEP_3)
	v_mul_f32_e32 v167, v151, v170
	v_cndmask_b32_e64 v130, v129, v166, s4
	v_lshlrev_b32_e32 v129, 2, v149
	s_delay_alu instid0(VALU_DEP_3) | instskip(NEXT) | instid1(VALU_DEP_3)
	v_fma_f32 v131, -v169, v167, v151
	v_cndmask_b32_e64 v150, v130, v164, s5
	s_delay_alu instid0(VALU_DEP_3)
	v_or_b32_e32 v130, 1, v129
	v_or_b32_e32 v132, 2, v129
	v_cmp_eq_u32_e64 s4, 1, v129
	v_fmac_f32_e32 v167, v131, v170
	v_cndmask_b32_e64 v150, v150, v162, s6
	v_or_b32_e32 v131, 3, v129
	v_cmp_eq_u32_e64 s9, 1, v130
	v_cmp_eq_u32_e64 s10, 1, v132
	v_fma_f32 v151, -v169, v167, v151
	v_cndmask_b32_e64 v135, v150, v135, s3
	v_cmp_eq_u32_e64 s11, 1, v131
	v_cmp_eq_u32_e64 s5, 2, v129
	;; [unrolled: 1-line block ×3, first 2 shown]
	v_div_fmas_f32 v150, v151, v170, v167
	v_cndmask_b32_e64 v151, v135, v163, s7
	v_lshl_or_b32 v135, v149, 4, v134
	v_cmp_eq_u32_e64 s15, 2, v132
	v_cmp_eq_u32_e64 s16, 2, v131
	v_div_fixup_f32 v150, v150, v165, 1.0
	v_cmp_eq_u32_e32 vcc_lo, 3, v129
	v_cmp_eq_u32_e64 s13, 3, v130
	v_cmp_eq_u32_e64 s18, 3, v131
	;; [unrolled: 1-line block ×3, first 2 shown]
	v_mul_f32_e32 v166, v151, v150
	v_cmp_eq_u32_e64 s17, 3, v132
	v_cmp_eq_u32_e64 s19, 4, v130
	;; [unrolled: 1-line block ×4, first 2 shown]
	v_fma_mixlo_f16 v149, v166, v139, 0
	v_fma_mixlo_f16 v150, v166, v141, 0
	;; [unrolled: 1-line block ×8, first 2 shown]
	v_fma_mixhi_f16 v149, v166, v138, 0
	v_fma_mixhi_f16 v150, v166, v140, 0
	;; [unrolled: 1-line block ×8, first 2 shown]
	ds_store_b128 v135, v[149:152]
	ds_store_b128 v135, v[162:165] offset:1024
	s_waitcnt lgkmcnt(0)
	s_barrier
	buffer_gl0_inv
	ds_load_b128 v[138:141], v134
	ds_load_b128 v[149:152], v134 offset:16
	ds_load_b128 v[153:156], v134 offset:1024
	;; [unrolled: 1-line block ×3, first 2 shown]
	v_cmp_eq_u32_e64 s20, 5, v130
	v_cmp_eq_u32_e64 s21, 4, v132
	;; [unrolled: 1-line block ×12, first 2 shown]
	s_waitcnt lgkmcnt(3)
	v_lshrrev_b32_e32 v142, 16, v138
	s_waitcnt lgkmcnt(2)
	v_lshrrev_b32_e32 v162, 16, v149
	;; [unrolled: 2-line block ×4, first 2 shown]
	v_lshrrev_b32_e32 v143, 16, v139
	v_cndmask_b32_e64 v174, v138, v142, s4
	v_cndmask_b32_e64 v175, v149, v162, s4
	;; [unrolled: 1-line block ×7, first 2 shown]
	v_lshrrev_b32_e32 v163, 16, v150
	v_cndmask_b32_e64 v179, v149, v162, s10
	v_cndmask_b32_e64 v149, v153, v166, s4
	;; [unrolled: 1-line block ×16, first 2 shown]
	v_lshrrev_b32_e32 v167, 16, v154
	v_lshrrev_b32_e32 v171, 16, v158
	v_cndmask_b32_e64 v177, v179, v150, s15
	v_cndmask_b32_e64 v142, v149, v154, s5
	;; [unrolled: 1-line block ×7, first 2 shown]
	v_cndmask_b32_e32 v157, v166, v143, vcc_lo
	v_cndmask_b32_e32 v166, v170, v163, vcc_lo
	v_cndmask_b32_e64 v170, v174, v143, s13
	v_cndmask_b32_e64 v174, v175, v163, s13
	;; [unrolled: 1-line block ×4, first 2 shown]
	v_lshrrev_b32_e32 v144, 16, v140
	v_lshrrev_b32_e32 v164, 16, v151
	v_cndmask_b32_e64 v175, v176, v143, s17
	v_cndmask_b32_e64 v176, v177, v163, s17
	v_cndmask_b32_e32 v142, v142, v167, vcc_lo
	v_cndmask_b32_e32 v143, v149, v171, vcc_lo
	v_cndmask_b32_e64 v149, v150, v167, s13
	v_cndmask_b32_e64 v150, v157, v140, s3
	;; [unrolled: 1-line block ×7, first 2 shown]
	v_lshrrev_b32_e32 v168, 16, v155
	v_cndmask_b32_e64 v170, v175, v140, s21
	v_cndmask_b32_e64 v174, v176, v151, s21
	;; [unrolled: 1-line block ×11, first 2 shown]
	v_lshrrev_b32_e32 v161, 16, v141
	v_lshrrev_b32_e32 v165, 16, v152
	v_cndmask_b32_e64 v163, v170, v144, s23
	v_cndmask_b32_e64 v166, v174, v164, s23
	;; [unrolled: 1-line block ×9, first 2 shown]
	v_lshrrev_b32_e32 v169, 16, v156
	v_cndmask_b32_e64 v140, v140, v168, s6
	v_cndmask_b32_e64 v157, v163, v141, s26
	;; [unrolled: 1-line block ×14, first 2 shown]
	v_perm_b32 v141, v139, v138, 0x5040100
	v_perm_b32 v139, v151, v149, 0x5040100
	v_cndmask_b32_e64 v138, v183, v158, s15
	v_cndmask_b32_e64 v149, v181, v158, s12
	;; [unrolled: 1-line block ×3, first 2 shown]
	v_perm_b32 v140, v152, v150, 0x5040100
	v_cndmask_b32_e64 v150, v162, v167, s17
	v_cndmask_b32_e64 v151, v153, v167, s18
	;; [unrolled: 1-line block ×5, first 2 shown]
	v_lshrrev_b32_e32 v172, 16, v159
	v_cndmask_b32_e64 v150, v150, v155, s21
	v_cndmask_b32_e64 v151, v151, v155, s22
	;; [unrolled: 1-line block ×11, first 2 shown]
	v_lshrrev_b32_e32 v173, 16, v160
	v_cndmask_b32_e64 v142, v142, v160, s7
	v_cndmask_b32_e64 v150, v150, v156, s26
	;; [unrolled: 1-line block ×12, first 2 shown]
	v_perm_b32 v138, v144, v143, 0x5040100
	v_perm_b32 v152, v152, v151, 0x5040100
	;; [unrolled: 1-line block ×5, first 2 shown]
	s_lshl_b32 s7, s33, 1
	s_mov_b32 s3, exec_lo
	ds_store_b128 v135, v[138:141]
	ds_store_b128 v135, v[149:152] offset:1024
	v_cmpx_gt_u32_e32 2, v0
	s_cbranch_execz .LBB275_14
; %bb.13:
	v_or_b32_e32 v138, s31, v0
	s_load_b128 s[8:11], s[0:1], 0x58
	s_delay_alu instid0(VALU_DEP_1) | instskip(NEXT) | instid1(VALU_DEP_1)
	v_mad_u64_u32 v[139:140], null, s7, s34, v[138:139]
	v_mad_u64_u32 v[140:141], null, v139, s35, s[14:15]
	s_delay_alu instid0(VALU_DEP_1) | instskip(NEXT) | instid1(VALU_DEP_1)
	v_ashrrev_i32_e32 v141, 31, v140
	v_lshlrev_b64 v[138:139], 2, v[140:141]
	s_waitcnt lgkmcnt(0)
	s_delay_alu instid0(VALU_DEP_1) | instskip(NEXT) | instid1(VALU_DEP_2)
	v_add_co_u32 v140, vcc_lo, s10, v138
	v_add_co_ci_u32_e32 v141, vcc_lo, s11, v139, vcc_lo
	v_add_co_u32 v138, vcc_lo, s8, v138
	v_add_co_ci_u32_e32 v139, vcc_lo, s9, v139, vcc_lo
	global_store_b32 v[140:141], v136, off
	global_store_b32 v[138:139], v137, off
.LBB275_14:
	s_or_b32 exec_lo, exec_lo, s3
	s_waitcnt lgkmcnt(0)
	s_waitcnt_vscnt null, 0x0
	s_barrier
	buffer_gl0_inv
	ds_load_b128 v[149:152], v133
	ds_load_b128 v[153:156], v133 offset:16
	ds_load_b128 v[161:164], v133 offset:1040
	;; [unrolled: 1-line block ×5, first 2 shown]
	v_cmp_eq_u32_e32 vcc_lo, 1, v132
	v_mov_b32_e32 v136, 0
	ds_load_b128 v[177:180], v133 offset:3088
	ds_load_b128 v[173:176], v133 offset:3072
	;; [unrolled: 1-line block ×4, first 2 shown]
	v_cmp_eq_u32_e64 s3, 1, v129
	v_cmp_eq_u32_e64 s4, 1, v131
	v_cmp_eq_u32_e64 s5, 1, v130
	v_mov_b32_e32 v137, v136
	v_mov_b32_e32 v138, v136
	v_mov_b32_e32 v139, v136
	v_mov_b32_e32 v140, v136
	v_mov_b32_e32 v141, v136
	v_mov_b32_e32 v142, v136
	v_mov_b32_e32 v143, v136
	v_cmp_eq_u32_e64 s6, 2, v129
	s_waitcnt lgkmcnt(8)
	s_delay_alu instid0(VALU_DEP_2)
	v_wmma_f32_16x16x16_f16 v[136:143], v[121:128], v[149:156], v[136:143]
	ds_load_b128 v[125:128], v133 offset:5136
	ds_load_b128 v[121:124], v133 offset:5120
	s_waitcnt lgkmcnt(8)
	v_wmma_f32_16x16x16_f16 v[136:143], v[113:120], v[157:164], v[136:143]
	ds_load_b128 v[117:120], v133 offset:6160
	ds_load_b128 v[113:116], v133 offset:6144
	s_waitcnt lgkmcnt(8)
	;; [unrolled: 4-line block ×11, first 2 shown]
	s_barrier
	buffer_gl0_inv
	v_wmma_f32_16x16x16_f16 v[136:143], v[1:8], v[73:80], v[136:143]
	s_delay_alu instid0(VALU_DEP_1) | instskip(NEXT) | instid1(VALU_DEP_1)
	v_wmma_f32_16x16x16_f16 v[136:143], v[9:16], v[65:72], v[136:143]
	v_wmma_f32_16x16x16_f16 v[136:143], v[33:40], v[57:64], v[136:143]
	s_delay_alu instid0(VALU_DEP_1) | instskip(NEXT) | instid1(VALU_DEP_1)
	v_wmma_f32_16x16x16_f16 v[136:143], v[41:48], v[49:56], v[136:143]
	v_wmma_f32_16x16x16_f16 v[136:143], v[17:24], v[25:32], v[136:143]
	s_delay_alu instid0(VALU_DEP_1) | instskip(NEXT) | instid1(VALU_DEP_2)
	v_cvt_f16_f32_e64 v1, v136
	v_cvt_f16_f32_e64 v2, v137
	s_delay_alu instid0(VALU_DEP_3) | instskip(NEXT) | instid1(VALU_DEP_4)
	v_cvt_f16_f32_e64 v3, v138
	v_cvt_f16_f32_e64 v4, v139
	;; [unrolled: 1-line block ×6, first 2 shown]
	v_pack_b32_f16 v1, v1, v2
	v_pack_b32_f16 v2, v3, v4
	;; [unrolled: 1-line block ×3, first 2 shown]
	s_delay_alu instid0(VALU_DEP_4)
	v_pack_b32_f16 v4, v7, v8
	ds_store_b128 v135, v[1:4]
	s_waitcnt lgkmcnt(0)
	s_barrier
	buffer_gl0_inv
	ds_load_b128 v[1:4], v134
	ds_load_b128 v[5:8], v134 offset:16
	s_waitcnt lgkmcnt(1)
	v_lshrrev_b32_e32 v9, 16, v1
	s_waitcnt lgkmcnt(0)
	v_lshrrev_b32_e32 v13, 16, v5
	v_lshrrev_b32_e32 v10, 16, v2
	;; [unrolled: 1-line block ×4, first 2 shown]
	v_cndmask_b32_e64 v17, v1, v9, s3
	v_cndmask_b32_e64 v18, v5, v13, s3
	v_cndmask_b32_e64 v19, v1, v9, s5
	v_cmp_eq_u32_e64 s3, 2, v130
	v_cndmask_b32_e64 v20, v5, v13, s5
	v_cndmask_b32_e32 v21, v1, v9, vcc_lo
	v_cndmask_b32_e32 v22, v5, v13, vcc_lo
	v_cndmask_b32_e64 v1, v1, v9, s4
	v_cndmask_b32_e64 v5, v5, v13, s4
	v_cmp_eq_u32_e32 vcc_lo, 2, v132
	v_cmp_eq_u32_e64 s4, 2, v131
	v_cndmask_b32_e64 v9, v17, v2, s6
	v_cndmask_b32_e64 v13, v18, v6, s6
	;; [unrolled: 1-line block ×4, first 2 shown]
	v_cndmask_b32_e32 v19, v21, v2, vcc_lo
	v_cmp_eq_u32_e64 s3, 3, v132
	v_cndmask_b32_e32 v20, v22, v6, vcc_lo
	v_cndmask_b32_e64 v1, v1, v2, s4
	v_cmp_eq_u32_e32 vcc_lo, 3, v131
	v_cmp_eq_u32_e64 s5, 3, v129
	v_cndmask_b32_e64 v2, v5, v6, s4
	v_cmp_eq_u32_e64 s4, 3, v130
	v_cmp_eq_u32_e64 s6, 4, v129
	v_cndmask_b32_e32 v1, v1, v10, vcc_lo
	v_cndmask_b32_e64 v5, v9, v10, s5
	v_cndmask_b32_e64 v6, v13, v14, s5
	;; [unrolled: 1-line block ×3, first 2 shown]
	v_cmp_eq_u32_e64 s5, 4, v130
	v_cndmask_b32_e64 v13, v18, v14, s4
	v_cndmask_b32_e64 v17, v19, v10, s3
	;; [unrolled: 1-line block ×3, first 2 shown]
	v_cndmask_b32_e32 v2, v2, v14, vcc_lo
	v_cmp_eq_u32_e32 vcc_lo, 4, v132
	v_cmp_eq_u32_e64 s4, 4, v131
	v_lshrrev_b32_e32 v15, 16, v7
	v_cndmask_b32_e64 v5, v5, v3, s6
	v_cndmask_b32_e64 v6, v6, v7, s6
	v_cndmask_b32_e32 v14, v18, v7, vcc_lo
	v_cndmask_b32_e64 v9, v9, v3, s5
	v_cndmask_b32_e64 v10, v13, v7, s5
	v_cndmask_b32_e32 v13, v17, v3, vcc_lo
	v_cmp_eq_u32_e64 s3, 5, v132
	v_cndmask_b32_e64 v1, v1, v3, s4
	v_cmp_eq_u32_e32 vcc_lo, 5, v131
	v_cmp_eq_u32_e64 s5, 5, v129
	v_cndmask_b32_e64 v2, v2, v7, s4
	v_cmp_eq_u32_e64 s4, 5, v130
	v_cmp_eq_u32_e64 s6, 6, v129
	v_lshrrev_b32_e32 v12, 16, v4
	v_cndmask_b32_e64 v3, v5, v11, s5
	v_cndmask_b32_e64 v5, v6, v15, s5
	;; [unrolled: 1-line block ×3, first 2 shown]
	v_cmp_eq_u32_e64 s5, 6, v130
	v_cndmask_b32_e64 v7, v10, v15, s4
	v_cndmask_b32_e64 v9, v13, v11, s3
	v_cndmask_b32_e64 v10, v14, v15, s3
	v_cndmask_b32_e32 v1, v1, v11, vcc_lo
	v_cndmask_b32_e32 v2, v2, v15, vcc_lo
	v_cmp_eq_u32_e32 vcc_lo, 6, v132
	v_cmp_eq_u32_e64 s3, 6, v131
	v_lshrrev_b32_e32 v16, 16, v8
	v_cndmask_b32_e64 v3, v3, v4, s6
	v_cndmask_b32_e64 v5, v5, v8, s6
	v_cndmask_b32_e32 v9, v9, v4, vcc_lo
	v_cndmask_b32_e64 v6, v6, v4, s5
	v_cndmask_b32_e64 v7, v7, v8, s5
	v_cmp_eq_u32_e64 s4, 7, v132
	v_cndmask_b32_e32 v10, v10, v8, vcc_lo
	v_cndmask_b32_e64 v1, v1, v4, s3
	v_cmp_eq_u32_e32 vcc_lo, 7, v131
	v_cndmask_b32_e64 v2, v2, v8, s3
	v_cmp_eq_u32_e64 s3, 7, v129
	v_cmp_eq_u32_e64 s5, 7, v130
	v_cndmask_b32_e32 v1, v1, v12, vcc_lo
	s_delay_alu instid0(VALU_DEP_4) | instskip(NEXT) | instid1(VALU_DEP_4)
	v_cndmask_b32_e32 v2, v2, v16, vcc_lo
	v_cndmask_b32_e64 v8, v3, v12, s3
	s_delay_alu instid0(VALU_DEP_4)
	v_cndmask_b32_e64 v6, v6, v12, s5
	v_cndmask_b32_e64 v3, v9, v12, s4
	;; [unrolled: 1-line block ×5, first 2 shown]
	v_perm_b32 v4, v2, v1, 0x5040100
	s_delay_alu instid0(VALU_DEP_4) | instskip(NEXT) | instid1(VALU_DEP_4)
	v_perm_b32 v3, v9, v3, 0x5040100
	v_perm_b32 v2, v7, v6, 0x5040100
	s_delay_alu instid0(VALU_DEP_4)
	v_perm_b32 v1, v5, v8, 0x5040100
	ds_store_b128 v135, v[1:4]
	s_waitcnt lgkmcnt(0)
	s_barrier
	buffer_gl0_inv
	s_and_saveexec_b32 s3, s2
	s_cbranch_execz .LBB275_2
; %bb.15:
	s_load_b64 s[0:1], s[0:1], 0x68
	v_lshlrev_b32_e32 v0, 10, v0
	s_lshl_b32 s2, s35, 7
	v_lshlrev_b32_e32 v1, 4, v148
	v_mul_lo_u32 v4, s2, v147
	s_mul_i32 s3, s2, s34
	v_and_b32_e32 v0, 0x3800, v0
	s_mul_i32 s2, s3, s7
	s_delay_alu instid0(SALU_CYCLE_1) | instskip(NEXT) | instid1(VALU_DEP_1)
	s_ashr_i32 s3, s2, 31
	v_or3_b32 v0, v0, v146, v1
	s_lshl_b64 s[2:3], s[2:3], 1
	s_delay_alu instid0(VALU_DEP_3)
	v_ashrrev_i32_e32 v5, 31, v4
	ds_load_b128 v[0:3], v0
	v_lshlrev_b64 v[4:5], 1, v[4:5]
	s_waitcnt lgkmcnt(0)
	s_add_u32 s2, s0, s2
	s_addc_u32 s3, s1, s3
	s_lshl_b32 s0, s14, 7
	s_delay_alu instid0(SALU_CYCLE_1) | instskip(NEXT) | instid1(SALU_CYCLE_1)
	s_ashr_i32 s1, s0, 31
	s_lshl_b64 s[0:1], s[0:1], 1
	s_delay_alu instid0(SALU_CYCLE_1) | instskip(SKIP_3) | instid1(VALU_DEP_2)
	s_add_u32 s0, s2, s0
	s_addc_u32 s1, s3, s1
	v_add_co_u32 v4, vcc_lo, s0, v4
	v_add_co_ci_u32_e32 v5, vcc_lo, s1, v5, vcc_lo
	v_add_co_u32 v4, vcc_lo, v4, v145
	s_delay_alu instid0(VALU_DEP_2)
	v_add_co_ci_u32_e32 v5, vcc_lo, 0, v5, vcc_lo
	global_store_b128 v[4:5], v[0:3], off
	s_nop 0
	s_sendmsg sendmsg(MSG_DEALLOC_VGPRS)
	s_endpgm
	.section	.rodata,"a",@progbits
	.p2align	6, 0x0
	.amdhsa_kernel _Z39paged_attention_ll4mi_QKV_mfma16_kernelIDF16_DF16_LN4vllm18Fp8KVCacheDataTypeE0EDF16_Li16ELi128ELi256ELb1ELi2EL8MFMAType0EEvPKT_PKT0_S8_ifPKiSA_SA_iPKfiiiPfSD_PS3_PT2_iSC_SC_
		.amdhsa_group_segment_fixed_size 17472
		.amdhsa_private_segment_fixed_size 0
		.amdhsa_kernarg_size 400
		.amdhsa_user_sgpr_count 13
		.amdhsa_user_sgpr_dispatch_ptr 0
		.amdhsa_user_sgpr_queue_ptr 0
		.amdhsa_user_sgpr_kernarg_segment_ptr 1
		.amdhsa_user_sgpr_dispatch_id 0
		.amdhsa_user_sgpr_private_segment_size 0
		.amdhsa_wavefront_size32 1
		.amdhsa_uses_dynamic_stack 0
		.amdhsa_enable_private_segment 0
		.amdhsa_system_sgpr_workgroup_id_x 1
		.amdhsa_system_sgpr_workgroup_id_y 1
		.amdhsa_system_sgpr_workgroup_id_z 1
		.amdhsa_system_sgpr_workgroup_info 0
		.amdhsa_system_vgpr_workitem_id 0
		.amdhsa_next_free_vgpr 230
		.amdhsa_next_free_sgpr 52
		.amdhsa_reserve_vcc 1
		.amdhsa_float_round_mode_32 0
		.amdhsa_float_round_mode_16_64 0
		.amdhsa_float_denorm_mode_32 3
		.amdhsa_float_denorm_mode_16_64 3
		.amdhsa_dx10_clamp 1
		.amdhsa_ieee_mode 1
		.amdhsa_fp16_overflow 0
		.amdhsa_workgroup_processor_mode 1
		.amdhsa_memory_ordered 1
		.amdhsa_forward_progress 0
		.amdhsa_shared_vgpr_count 0
		.amdhsa_exception_fp_ieee_invalid_op 0
		.amdhsa_exception_fp_denorm_src 0
		.amdhsa_exception_fp_ieee_div_zero 0
		.amdhsa_exception_fp_ieee_overflow 0
		.amdhsa_exception_fp_ieee_underflow 0
		.amdhsa_exception_fp_ieee_inexact 0
		.amdhsa_exception_int_div_zero 0
	.end_amdhsa_kernel
	.section	.text._Z39paged_attention_ll4mi_QKV_mfma16_kernelIDF16_DF16_LN4vllm18Fp8KVCacheDataTypeE0EDF16_Li16ELi128ELi256ELb1ELi2EL8MFMAType0EEvPKT_PKT0_S8_ifPKiSA_SA_iPKfiiiPfSD_PS3_PT2_iSC_SC_,"axG",@progbits,_Z39paged_attention_ll4mi_QKV_mfma16_kernelIDF16_DF16_LN4vllm18Fp8KVCacheDataTypeE0EDF16_Li16ELi128ELi256ELb1ELi2EL8MFMAType0EEvPKT_PKT0_S8_ifPKiSA_SA_iPKfiiiPfSD_PS3_PT2_iSC_SC_,comdat
.Lfunc_end275:
	.size	_Z39paged_attention_ll4mi_QKV_mfma16_kernelIDF16_DF16_LN4vllm18Fp8KVCacheDataTypeE0EDF16_Li16ELi128ELi256ELb1ELi2EL8MFMAType0EEvPKT_PKT0_S8_ifPKiSA_SA_iPKfiiiPfSD_PS3_PT2_iSC_SC_, .Lfunc_end275-_Z39paged_attention_ll4mi_QKV_mfma16_kernelIDF16_DF16_LN4vllm18Fp8KVCacheDataTypeE0EDF16_Li16ELi128ELi256ELb1ELi2EL8MFMAType0EEvPKT_PKT0_S8_ifPKiSA_SA_iPKfiiiPfSD_PS3_PT2_iSC_SC_
                                        ; -- End function
	.section	.AMDGPU.csdata,"",@progbits
; Kernel info:
; codeLenInByte = 7900
; NumSgprs: 54
; NumVgprs: 230
; ScratchSize: 0
; MemoryBound: 0
; FloatMode: 240
; IeeeMode: 1
; LDSByteSize: 17472 bytes/workgroup (compile time only)
; SGPRBlocks: 6
; VGPRBlocks: 28
; NumSGPRsForWavesPerEU: 54
; NumVGPRsForWavesPerEU: 230
; Occupancy: 6
; WaveLimiterHint : 1
; COMPUTE_PGM_RSRC2:SCRATCH_EN: 0
; COMPUTE_PGM_RSRC2:USER_SGPR: 13
; COMPUTE_PGM_RSRC2:TRAP_HANDLER: 0
; COMPUTE_PGM_RSRC2:TGID_X_EN: 1
; COMPUTE_PGM_RSRC2:TGID_Y_EN: 1
; COMPUTE_PGM_RSRC2:TGID_Z_EN: 1
; COMPUTE_PGM_RSRC2:TIDIG_COMP_CNT: 0
	.section	.text._Z39paged_attention_ll4mi_QKV_mfma16_kernelIDF16_DF16_LN4vllm18Fp8KVCacheDataTypeE0EDF16_Li16ELi128ELi256ELb1ELi3EL8MFMAType0EEvPKT_PKT0_S8_ifPKiSA_SA_iPKfiiiPfSD_PS3_PT2_iSC_SC_,"axG",@progbits,_Z39paged_attention_ll4mi_QKV_mfma16_kernelIDF16_DF16_LN4vllm18Fp8KVCacheDataTypeE0EDF16_Li16ELi128ELi256ELb1ELi3EL8MFMAType0EEvPKT_PKT0_S8_ifPKiSA_SA_iPKfiiiPfSD_PS3_PT2_iSC_SC_,comdat
	.protected	_Z39paged_attention_ll4mi_QKV_mfma16_kernelIDF16_DF16_LN4vllm18Fp8KVCacheDataTypeE0EDF16_Li16ELi128ELi256ELb1ELi3EL8MFMAType0EEvPKT_PKT0_S8_ifPKiSA_SA_iPKfiiiPfSD_PS3_PT2_iSC_SC_ ; -- Begin function _Z39paged_attention_ll4mi_QKV_mfma16_kernelIDF16_DF16_LN4vllm18Fp8KVCacheDataTypeE0EDF16_Li16ELi128ELi256ELb1ELi3EL8MFMAType0EEvPKT_PKT0_S8_ifPKiSA_SA_iPKfiiiPfSD_PS3_PT2_iSC_SC_
	.globl	_Z39paged_attention_ll4mi_QKV_mfma16_kernelIDF16_DF16_LN4vllm18Fp8KVCacheDataTypeE0EDF16_Li16ELi128ELi256ELb1ELi3EL8MFMAType0EEvPKT_PKT0_S8_ifPKiSA_SA_iPKfiiiPfSD_PS3_PT2_iSC_SC_
	.p2align	8
	.type	_Z39paged_attention_ll4mi_QKV_mfma16_kernelIDF16_DF16_LN4vllm18Fp8KVCacheDataTypeE0EDF16_Li16ELi128ELi256ELb1ELi3EL8MFMAType0EEvPKT_PKT0_S8_ifPKiSA_SA_iPKfiiiPfSD_PS3_PT2_iSC_SC_,@function
_Z39paged_attention_ll4mi_QKV_mfma16_kernelIDF16_DF16_LN4vllm18Fp8KVCacheDataTypeE0EDF16_Li16ELi128ELi256ELb1ELi3EL8MFMAType0EEvPKT_PKT0_S8_ifPKiSA_SA_iPKfiiiPfSD_PS3_PT2_iSC_SC_: ; @_Z39paged_attention_ll4mi_QKV_mfma16_kernelIDF16_DF16_LN4vllm18Fp8KVCacheDataTypeE0EDF16_Li16ELi128ELi256ELb1ELi3EL8MFMAType0EEvPKT_PKT0_S8_ifPKiSA_SA_iPKfiiiPfSD_PS3_PT2_iSC_SC_
; %bb.0:
	s_load_b64 s[4:5], s[0:1], 0x30
	s_mov_b32 s34, s13
	s_waitcnt lgkmcnt(0)
	s_cmp_lg_u64 s[4:5], 0
	s_cselect_b32 s8, -1, 0
	s_ashr_i32 s35, s13, 31
	s_cmp_eq_u64 s[4:5], 0
	s_cbranch_scc1 .LBB276_3
; %bb.1:
	s_lshl_b64 s[2:3], s[34:35], 2
	s_delay_alu instid0(SALU_CYCLE_1) | instskip(SKIP_4) | instid1(SALU_CYCLE_1)
	s_add_u32 s2, s4, s2
	s_addc_u32 s3, s5, s3
	s_load_b64 s[2:3], s[2:3], 0x0
	s_waitcnt lgkmcnt(0)
	s_sub_i32 s2, s3, s2
	s_cmp_eq_u32 s2, 1
	s_cselect_b32 s2, -1, 0
	s_delay_alu instid0(SALU_CYCLE_1)
	s_and_not1_b32 vcc_lo, exec_lo, s2
	s_cbranch_vccz .LBB276_4
.LBB276_2:
	s_nop 0
	s_sendmsg sendmsg(MSG_DEALLOC_VGPRS)
	s_endpgm
.LBB276_3:
.LBB276_4:
	s_load_b64 s[2:3], s[0:1], 0x28
	s_lshl_b64 s[6:7], s[34:35], 2
	s_waitcnt lgkmcnt(0)
	s_add_u32 s2, s2, s6
	s_addc_u32 s3, s3, s7
	s_lshl_b32 s29, s14, 8
	s_load_b32 s28, s[2:3], 0x0
	s_waitcnt lgkmcnt(0)
	s_cmp_ge_i32 s29, s28
	s_cbranch_scc1 .LBB276_2
; %bb.5:
	s_clause 0x1
	s_load_b128 s[20:23], s[0:1], 0x8
	s_load_b64 s[2:3], s[0:1], 0x20
	s_and_not1_b32 vcc_lo, exec_lo, s8
	s_cbranch_vccnz .LBB276_7
; %bb.6:
	s_add_u32 s4, s4, s6
	s_addc_u32 s5, s5, s7
	s_load_b32 s5, s[4:5], 0x0
	s_branch .LBB276_8
.LBB276_7:
	s_mov_b32 s5, s34
.LBB276_8:
	s_load_b128 s[16:19], s[0:1], 0x48
	v_and_b32_e32 v140, 15, v0
	v_lshrrev_b32_e32 v141, 5, v0
	v_bfe_u32 v138, v0, 4, 1
	v_and_b32_e32 v142, 31, v0
	v_and_b32_e32 v139, 1, v0
	v_lshlrev_b32_e32 v2, 3, v140
	s_mul_i32 s31, s15, 3
	v_lshl_or_b32 v1, v141, 1, v138
	s_mov_b32 s4, exec_lo
	s_delay_alu instid0(VALU_DEP_2) | instskip(NEXT) | instid1(VALU_DEP_2)
	v_lshlrev_b32_e32 v137, 1, v2
	v_cmpx_gt_u32_e32 3, v1
	s_cbranch_execz .LBB276_10
; %bb.9:
	s_load_b64 s[6:7], s[0:1], 0x0
	v_add_lshl_u32 v2, v1, s31, 7
	s_waitcnt lgkmcnt(0)
	s_mul_hi_i32 s9, s5, s16
	s_mul_i32 s8, s5, s16
	v_lshlrev_b32_e32 v6, 10, v140
	s_lshl_b64 s[8:9], s[8:9], 1
	v_ashrrev_i32_e32 v3, 31, v2
	v_lshlrev_b32_e32 v1, 6, v1
	v_lshlrev_b32_e32 v7, 10, v139
	v_and_b32_e32 v6, 0x3800, v6
	s_delay_alu instid0(VALU_DEP_4) | instskip(NEXT) | instid1(VALU_DEP_2)
	v_lshlrev_b64 v[2:3], 1, v[2:3]
	v_or3_b32 v1, v6, v7, v1
	s_add_u32 s5, s6, s8
	s_addc_u32 s6, s7, s9
	s_delay_alu instid0(VALU_DEP_2) | instskip(NEXT) | instid1(VALU_DEP_3)
	v_add_co_u32 v2, vcc_lo, s5, v2
	v_add_co_ci_u32_e32 v3, vcc_lo, s6, v3, vcc_lo
	s_delay_alu instid0(VALU_DEP_2) | instskip(NEXT) | instid1(VALU_DEP_2)
	v_add_co_u32 v2, vcc_lo, v2, v137
	v_add_co_ci_u32_e32 v3, vcc_lo, 0, v3, vcc_lo
	global_load_b128 v[2:5], v[2:3], off
	s_waitcnt vmcnt(0)
	ds_store_b128 v1, v[2:5]
.LBB276_10:
	s_or_b32 exec_lo, exec_lo, s4
	v_and_b32_e32 v1, 0xef, v0
	s_waitcnt lgkmcnt(0)
	s_add_i32 s5, s28, 15
	s_clause 0x1
	s_load_b32 s4, s[0:1], 0x38
	s_load_b32 s33, s[0:1], 0x98
	s_ashr_i32 s6, s5, 31
	v_add_nc_u32_e32 v1, s29, v1
	s_lshr_b32 s6, s6, 28
	s_load_b32 s30, s[0:1], 0x1c
	s_add_i32 s5, s5, s6
	s_waitcnt lgkmcnt(0)
	v_ashrrev_i32_e32 v2, 31, v1
	v_cmp_gt_i32_e32 vcc_lo, s28, v1
	s_ashr_i32 s16, s5, 4
	s_barrier
	s_add_i32 s16, s16, -1
	v_lshrrev_b32_e32 v3, 28, v2
	v_or_b32_e32 v2, 16, v1
	buffer_gl0_inv
	v_mul_lo_u16 v105, 0x56, v140
	v_lshlrev_b32_e32 v106, 5, v140
	v_add_nc_u32_e32 v4, v1, v3
	v_add_nc_u32_e32 v3, v2, v3
	s_mul_i32 s4, s34, s4
	v_lshrrev_b16 v105, 8, v105
	s_ashr_i32 s5, s4, 31
	v_ashrrev_i32_e32 v4, 4, v4
	v_ashrrev_i32_e32 v3, 4, v3
	s_lshl_b64 s[4:5], s[4:5], 2
	v_mul_lo_u16 v105, v105, 3
	s_add_u32 s35, s2, s4
	v_cndmask_b32_e32 v1, s16, v4, vcc_lo
	v_cmp_gt_i32_e32 vcc_lo, s28, v2
	s_addc_u32 s36, s3, s5
	s_mul_i32 s2, s15, s18
	v_sub_nc_u16 v105, v140, v105
	v_ashrrev_i32_e32 v2, 31, v1
	v_cndmask_b32_e32 v3, s16, v3, vcc_lo
	s_ashr_i32 s3, s2, 31
	v_lshl_or_b32 v125, v141, 9, v106
	s_lshl_b64 s[2:3], s[2:3], 1
	v_lshlrev_b64 v[1:2], 2, v[1:2]
	v_ashrrev_i32_e32 v4, 31, v3
	s_add_u32 s24, s20, s2
	s_addc_u32 s25, s21, s3
	s_lshl_b32 s4, s14, 4
	v_and_b32_e32 v105, 0xff, v105
	v_lshlrev_b64 v[3:4], 2, v[3:4]
	v_add_co_u32 v1, vcc_lo, s35, v1
	v_add_co_ci_u32_e32 v2, vcc_lo, s36, v2, vcc_lo
	s_ashr_i32 s5, s4, 31
	s_delay_alu instid0(VALU_DEP_3) | instskip(NEXT) | instid1(VALU_DEP_4)
	v_add_co_u32 v3, vcc_lo, s35, v3
	v_add_co_ci_u32_e32 v4, vcc_lo, s36, v4, vcc_lo
	s_lshl_b64 s[4:5], s[4:5], 2
	s_clause 0x1
	global_load_b32 v5, v[1:2], off
	global_load_b32 v6, v[3:4], off
	s_add_u32 s4, s35, s4
	s_addc_u32 s5, s36, s5
	s_or_b32 s6, s29, 16
	v_lshlrev_b32_e32 v3, 4, v0
	s_ashr_i32 s7, s6, 4
	s_cmp_lt_i32 s6, s28
	v_lshlrev_b32_e32 v215, 6, v105
	s_cselect_b32 s6, s7, s16
	s_delay_alu instid0(SALU_CYCLE_1) | instskip(NEXT) | instid1(SALU_CYCLE_1)
	s_ashr_i32 s7, s6, 31
	s_lshl_b64 s[6:7], s[6:7], 2
	s_delay_alu instid0(SALU_CYCLE_1) | instskip(SKIP_2) | instid1(SALU_CYCLE_1)
	s_add_u32 s6, s35, s6
	s_addc_u32 s7, s36, s7
	s_or_b32 s8, s29, 32
	s_ashr_i32 s9, s8, 4
	s_cmp_lt_i32 s8, s28
	s_cselect_b32 s8, s9, s16
	s_delay_alu instid0(SALU_CYCLE_1) | instskip(NEXT) | instid1(SALU_CYCLE_1)
	s_ashr_i32 s9, s8, 31
	s_lshl_b64 s[8:9], s[8:9], 2
	s_delay_alu instid0(SALU_CYCLE_1) | instskip(SKIP_2) | instid1(SALU_CYCLE_1)
	s_add_u32 s8, s35, s8
	s_addc_u32 s9, s36, s9
	s_or_b32 s10, s29, 48
	s_ashr_i32 s11, s10, 4
	s_cmp_lt_i32 s10, s28
	;; [unrolled: 10-line block ×4, first 2 shown]
	s_cselect_b32 s12, s13, s16
	s_delay_alu instid0(SALU_CYCLE_1) | instskip(NEXT) | instid1(SALU_CYCLE_1)
	s_ashr_i32 s13, s12, 31
	s_lshl_b64 s[12:13], s[12:13], 2
	s_delay_alu instid0(SALU_CYCLE_1)
	s_add_u32 s20, s35, s12
	s_addc_u32 s21, s36, s13
	s_clause 0x5
	s_load_b32 s39, s[4:5], 0x0
	s_load_b32 s38, s[6:7], 0x0
	s_load_b32 s37, s[8:9], 0x0
	s_load_b32 s13, s[10:11], 0x0
	s_load_b32 s12, s[18:19], 0x0
	s_load_b32 s15, s[20:21], 0x0
	s_waitcnt vmcnt(1)
	v_mad_i64_i32 v[1:2], null, v5, s17, 0
	v_and_b32_e32 v5, 0xf0, v3
	s_waitcnt vmcnt(0)
	v_mad_i64_i32 v[3:4], null, v6, s17, 0
	s_delay_alu instid0(VALU_DEP_2) | instskip(NEXT) | instid1(VALU_DEP_4)
	v_add_co_u32 v5, s4, s24, v5
	v_lshlrev_b64 v[1:2], 1, v[1:2]
	v_add_co_ci_u32_e64 v6, null, s25, 0, s4
	s_delay_alu instid0(VALU_DEP_4) | instskip(SKIP_1) | instid1(VALU_DEP_3)
	v_lshlrev_b64 v[3:4], 1, v[3:4]
	s_or_b32 s4, s29, 0x60
	v_add_co_u32 v121, vcc_lo, v5, v1
	s_delay_alu instid0(VALU_DEP_3) | instskip(NEXT) | instid1(VALU_DEP_3)
	v_add_co_ci_u32_e32 v122, vcc_lo, v6, v2, vcc_lo
	v_add_co_u32 v123, vcc_lo, v5, v3
	s_delay_alu instid0(VALU_DEP_4)
	v_add_co_ci_u32_e32 v124, vcc_lo, v6, v4, vcc_lo
	s_clause 0x19
	global_load_b128 v[89:92], v[121:122], off
	global_load_b128 v[93:96], v[121:122], off offset:256
	global_load_b128 v[97:100], v[123:124], off
	global_load_b128 v[101:104], v[123:124], off offset:256
	global_load_b128 v[81:84], v[121:122], off offset:512
	;; [unrolled: 1-line block ×23, first 2 shown]
	s_ashr_i32 s5, s4, 4
	s_cmp_lt_i32 s4, s28
	ds_load_b128 v[105:108], v215
	ds_load_b128 v[109:112], v215 offset:1024
	s_cselect_b32 s4, s5, s16
	ds_load_b128 v[113:116], v215 offset:2048
	ds_load_b128 v[117:120], v215 offset:3072
	s_ashr_i32 s5, s4, 31
	ds_load_b128 v[143:146], v215 offset:4096
	ds_load_b128 v[147:150], v215 offset:5120
	s_lshl_b64 s[6:7], s[4:5], 2
	ds_load_b128 v[151:154], v215 offset:6144
	ds_load_b128 v[155:158], v215 offset:7168
	s_add_u32 s18, s35, s6
	s_addc_u32 s19, s36, s7
	s_or_b32 s5, s29, 0x70
	ds_load_b128 v[159:162], v215 offset:8192
	ds_load_b128 v[163:166], v215 offset:9216
	s_ashr_i32 s6, s5, 4
	s_cmp_lt_i32 s5, s28
	s_clause 0x1
	global_load_b128 v[167:170], v[123:124], off offset:3072
	global_load_b128 v[171:174], v[123:124], off offset:3328
	s_cselect_b32 s8, s6, s16
	s_mov_b32 s4, 0
	s_ashr_i32 s9, s8, 31
	s_mov_b32 s5, s4
	s_lshl_b64 s[8:9], s[8:9], 2
	s_mov_b32 s6, s4
	s_add_u32 s20, s35, s8
	s_addc_u32 s21, s36, s9
	s_clause 0x1
	s_load_b32 s41, s[18:19], 0x0
	s_load_b32 s46, s[20:21], 0x0
	s_clause 0x3
	global_load_b128 v[175:178], v[121:122], off offset:3584
	global_load_b128 v[179:182], v[121:122], off offset:3840
	;; [unrolled: 1-line block ×4, first 2 shown]
	s_or_b32 s8, s29, 0x80
	s_mov_b32 s7, s4
	s_ashr_i32 s9, s8, 4
	s_cmp_lt_i32 s8, s28
	s_mov_b32 s8, s4
	s_cselect_b32 s10, s9, s16
	s_mov_b32 s9, s4
	s_ashr_i32 s11, s10, 31
	s_delay_alu instid0(SALU_CYCLE_1)
	s_lshl_b64 s[24:25], s[10:11], 2
	s_mov_b32 s10, s4
	s_add_u32 s24, s35, s24
	s_addc_u32 s25, s36, s25
	s_or_b32 s11, s29, 0x90
	s_load_b32 s47, s[24:25], 0x0
	s_ashr_i32 s26, s11, 4
	s_cmp_lt_i32 s11, s28
	s_mov_b32 s11, s4
	s_cselect_b32 s26, s26, s16
	v_mov_b32_e32 v136, s11
	s_ashr_i32 s27, s26, 31
	v_dual_mov_b32 v135, s10 :: v_dual_mov_b32 v134, s9
	v_dual_mov_b32 v133, s8 :: v_dual_mov_b32 v132, s7
	;; [unrolled: 1-line block ×3, first 2 shown]
	v_mov_b32_e32 v129, s4
	s_lshl_b64 s[4:5], s[26:27], 2
	s_waitcnt lgkmcnt(0)
	s_mul_hi_i32 s7, s38, s17
	s_add_u32 s26, s35, s4
	s_addc_u32 s27, s36, s5
	s_or_b32 s4, s29, 0xa0
	s_load_b32 s40, s[26:27], 0x0
	s_ashr_i32 s5, s4, 4
	s_cmp_lt_i32 s4, s28
	s_cselect_b32 s4, s5, s16
	s_delay_alu instid0(SALU_CYCLE_1) | instskip(NEXT) | instid1(SALU_CYCLE_1)
	s_ashr_i32 s5, s4, 31
	s_lshl_b64 s[4:5], s[4:5], 2
	s_delay_alu instid0(SALU_CYCLE_1)
	s_add_u32 s42, s35, s4
	s_addc_u32 s43, s36, s5
	s_or_b32 s4, s29, 0xb0
	s_mul_hi_i32 s5, s39, s17
	s_ashr_i32 s6, s4, 4
	s_cmp_lt_i32 s4, s28
	s_mul_i32 s4, s39, s17
	s_cselect_b32 s8, s6, s16
	s_mul_i32 s6, s38, s17
	s_ashr_i32 s9, s8, 31
	s_delay_alu instid0(SALU_CYCLE_1)
	s_lshl_b64 s[10:11], s[8:9], 2
	s_mul_hi_i32 s9, s37, s17
	s_add_u32 s44, s35, s10
	s_addc_u32 s45, s36, s11
	s_or_b32 s10, s29, 0xc0
	s_mul_i32 s8, s37, s17
	s_ashr_i32 s37, s10, 4
	s_cmp_lt_i32 s10, s28
	s_mul_hi_i32 s11, s13, s17
	s_cselect_b32 s38, s37, s16
	s_mul_i32 s10, s13, s17
	s_ashr_i32 s39, s38, 31
	s_mul_hi_i32 s13, s12, s17
	s_lshl_b64 s[38:39], s[38:39], 2
	s_mul_i32 s12, s12, s17
	s_add_u32 s20, s35, s38
	s_addc_u32 s21, s36, s39
	s_load_b32 s39, s[42:43], 0x0
	s_or_b32 s18, s29, 0xd0
	s_mul_hi_i32 s27, s47, s17
	s_ashr_i32 s19, s18, 4
	s_cmp_lt_i32 s18, s28
	s_mul_i32 s18, s15, s17
	s_cselect_b32 s24, s19, s16
	s_mul_hi_i32 s19, s15, s17
	s_ashr_i32 s25, s24, 31
	s_mul_i32 s26, s47, s17
	s_lshl_b64 s[24:25], s[24:25], 2
	s_delay_alu instid0(SALU_CYCLE_1)
	s_add_u32 s24, s35, s24
	s_addc_u32 s25, s36, s25
	s_or_b32 s42, s29, 0xe0
	s_clause 0x2
	s_load_b32 s38, s[44:45], 0x0
	s_load_b32 s37, s[20:21], 0x0
	;; [unrolled: 1-line block ×3, first 2 shown]
	s_ashr_i32 s43, s42, 4
	s_cmp_lt_i32 s42, s28
	s_mul_hi_i32 s25, s46, s17
	s_cselect_b32 s42, s43, s16
	s_mul_i32 s24, s46, s17
	s_ashr_i32 s43, s42, 31
	s_mul_hi_i32 s21, s41, s17
	s_lshl_b64 s[42:43], s[42:43], 2
	s_mul_i32 s20, s41, s17
	s_add_u32 s42, s35, s42
	s_addc_u32 s43, s36, s43
	s_or_b32 s46, s29, 0xf0
	s_waitcnt lgkmcnt(0)
	s_mul_hi_i32 s41, s40, s17
	s_ashr_i32 s47, s46, 4
	s_cmp_lt_i32 s46, s28
	s_mul_i32 s40, s40, s17
	s_cselect_b32 s46, s47, s16
	s_mul_hi_i32 s45, s39, s17
	s_ashr_i32 s47, s46, 31
	s_mul_hi_i32 s51, s15, s17
	s_lshl_b64 s[46:47], s[46:47], 2
	s_mul_i32 s50, s15, s17
	s_add_u32 s46, s35, s46
	s_addc_u32 s47, s36, s47
	s_add_u32 s15, s22, s2
	s_addc_u32 s16, s23, s3
	v_add_co_u32 v216, s15, s15, v125
	s_delay_alu instid0(VALU_DEP_1) | instskip(SKIP_2) | instid1(VALU_DEP_2)
	v_add_co_ci_u32_e64 v217, null, s16, 0, s15
	s_lshl_b64 s[2:3], s[4:5], 1
	s_lshl_b64 s[4:5], s[6:7], 1
	v_add_co_u32 v125, vcc_lo, v216, s2
	s_delay_alu instid0(VALU_DEP_2)
	v_add_co_ci_u32_e32 v126, vcc_lo, s3, v217, vcc_lo
	v_add_co_u32 v199, vcc_lo, v216, s4
	s_lshl_b64 s[6:7], s[8:9], 1
	v_add_co_ci_u32_e32 v200, vcc_lo, s5, v217, vcc_lo
	s_lshl_b64 s[8:9], s[10:11], 1
	s_lshl_b64 s[10:11], s[12:13], 1
	;; [unrolled: 1-line block ×7, first 2 shown]
	s_mul_i32 s44, s39, s17
	s_mul_hi_i32 s39, s38, s17
	s_lshl_b64 s[26:27], s[44:45], 1
	s_mul_i32 s38, s38, s17
	s_mul_hi_i32 s49, s37, s17
	s_mul_i32 s48, s37, s17
	s_lshl_b64 s[36:37], s[38:39], 1
	s_lshl_b64 s[38:39], s[48:49], 1
	s_clause 0x1
	s_load_b32 s15, s[42:43], 0x0
	s_load_b32 s16, s[46:47], 0x0
	s_lshl_b64 s[40:41], s[50:51], 1
	s_waitcnt lgkmcnt(0)
	s_mul_hi_i32 s3, s15, s17
	s_mul_i32 s2, s15, s17
	s_mul_hi_i32 s5, s16, s17
	s_lshl_b64 s[2:3], s[2:3], 1
	s_mul_i32 s4, s16, s17
	s_waitcnt vmcnt(30)
	v_wmma_f32_16x16x16_f16 v[191:198], v[89:96], v[105:112], v[129:136]
	v_add_co_u32 v89, vcc_lo, v216, s6
	v_add_co_ci_u32_e32 v90, vcc_lo, s7, v217, vcc_lo
	v_add_co_u32 v91, vcc_lo, v216, s8
	v_add_co_ci_u32_e32 v92, vcc_lo, s9, v217, vcc_lo
	;; [unrolled: 2-line block ×5, first 2 shown]
	v_add_co_u32 v205, vcc_lo, v216, s20
	s_waitcnt vmcnt(28)
	v_wmma_f32_16x16x16_f16 v[129:136], v[97:104], v[105:112], v[129:136]
	v_add_co_ci_u32_e32 v206, vcc_lo, s21, v217, vcc_lo
	v_add_co_u32 v207, vcc_lo, v216, s22
	v_add_co_ci_u32_e32 v208, vcc_lo, s23, v217, vcc_lo
	v_add_co_u32 v209, vcc_lo, v216, s24
	s_waitcnt vmcnt(26)
	v_wmma_f32_16x16x16_f16 v[191:198], v[81:88], v[113:120], v[191:198]
	s_waitcnt vmcnt(24)
	v_wmma_f32_16x16x16_f16 v[129:136], v[73:80], v[113:120], v[129:136]
	v_add_co_ci_u32_e32 v210, vcc_lo, s25, v217, vcc_lo
	v_add_co_u32 v211, vcc_lo, v216, s26
	v_add_co_ci_u32_e32 v212, vcc_lo, s27, v217, vcc_lo
	v_add_co_u32 v213, vcc_lo, v216, s36
	s_waitcnt vmcnt(22)
	v_wmma_f32_16x16x16_f16 v[191:198], v[65:72], v[143:150], v[191:198]
	s_waitcnt vmcnt(20)
	v_wmma_f32_16x16x16_f16 v[129:136], v[57:64], v[143:150], v[129:136]
	v_add_co_ci_u32_e32 v214, vcc_lo, s37, v217, vcc_lo
	v_add_co_u32 v143, vcc_lo, v216, s38
	s_waitcnt vmcnt(18)
	v_wmma_f32_16x16x16_f16 v[191:198], v[49:56], v[151:158], v[191:198]
	s_waitcnt vmcnt(16)
	v_wmma_f32_16x16x16_f16 v[129:136], v[25:32], v[151:158], v[129:136]
	v_add_co_ci_u32_e32 v144, vcc_lo, s39, v217, vcc_lo
	s_clause 0x15
	global_load_b128 v[121:124], v[125:126], off
	global_load_b128 v[125:128], v[125:126], off offset:16
	global_load_b128 v[113:116], v[199:200], off
	global_load_b128 v[117:120], v[199:200], off offset:16
	;; [unrolled: 2-line block ×11, first 2 shown]
	s_waitcnt vmcnt(36)
	v_wmma_f32_16x16x16_f16 v[191:198], v[1:8], v[159:166], v[191:198]
	s_clause 0x1
	global_load_b128 v[1:4], v[213:214], off
	global_load_b128 v[5:8], v[213:214], off offset:16
	s_waitcnt vmcnt(36)
	v_wmma_f32_16x16x16_f16 v[129:136], v[9:16], v[159:166], v[129:136]
	s_clause 0x1
	global_load_b128 v[9:12], v[143:144], off
	global_load_b128 v[13:16], v[143:144], off offset:16
	ds_load_b128 v[143:146], v215 offset:10240
	ds_load_b128 v[147:150], v215 offset:11264
	;; [unrolled: 1-line block ×4, first 2 shown]
	v_add_co_u32 v199, vcc_lo, v216, s40
	v_add_co_ci_u32_e32 v200, vcc_lo, s41, v217, vcc_lo
	v_add_co_u32 v159, vcc_lo, v216, s2
	v_add_co_ci_u32_e32 v160, vcc_lo, s3, v217, vcc_lo
	s_lshl_b64 s[2:3], s[4:5], 1
	s_delay_alu instid0(SALU_CYCLE_1)
	v_add_co_u32 v161, vcc_lo, v216, s2
	v_add_co_ci_u32_e32 v162, vcc_lo, s3, v217, vcc_lo
	s_waitcnt vmcnt(36) lgkmcnt(2)
	v_wmma_f32_16x16x16_f16 v[191:198], v[41:48], v[143:150], v[191:198]
	s_waitcnt vmcnt(34)
	v_wmma_f32_16x16x16_f16 v[129:136], v[33:40], v[143:150], v[129:136]
	s_clause 0x3
	global_load_b128 v[33:36], v[199:200], off
	global_load_b128 v[37:40], v[199:200], off offset:16
	global_load_b128 v[41:44], v[159:160], off
	global_load_b128 v[45:48], v[159:160], off offset:16
	v_and_b32_e32 v143, 0xe0, v0
	v_mbcnt_lo_u32_b32 v159, -1, 0
	s_waitcnt vmcnt(36) lgkmcnt(0)
	v_wmma_f32_16x16x16_f16 v[191:198], v[17:24], v[151:158], v[191:198]
	s_clause 0x1
	global_load_b128 v[17:20], v[161:162], off
	global_load_b128 v[21:24], v[161:162], off offset:16
	s_waitcnt vmcnt(36)
	v_wmma_f32_16x16x16_f16 v[129:136], v[167:174], v[151:158], v[129:136]
	v_add_nc_u32_e32 v160, s29, v143
	ds_load_b128 v[143:146], v215 offset:14336
	ds_load_b128 v[147:150], v215 offset:15360
	v_xor_b32_e32 v151, 16, v159
	s_waitcnt vmcnt(0) lgkmcnt(0)
	s_barrier
	v_or_b32_e32 v152, v160, v138
	buffer_gl0_inv
	v_cmp_gt_i32_e32 vcc_lo, 32, v151
	v_or_b32_e32 v153, 2, v152
	v_or_b32_e32 v154, 4, v152
	;; [unrolled: 1-line block ×5, first 2 shown]
	v_cmp_gt_i32_e64 s2, s28, v153
	v_cmp_gt_i32_e64 s3, s28, v154
	;; [unrolled: 1-line block ×3, first 2 shown]
	v_or_b32_e32 v158, 12, v152
	v_cmp_gt_i32_e64 s5, s28, v156
	v_cmp_gt_i32_e64 s6, s28, v157
	v_wmma_f32_16x16x16_f16 v[191:198], v[175:182], v[143:150], v[191:198]
	v_wmma_f32_16x16x16_f16 v[129:136], v[183:190], v[143:150], v[129:136]
	v_cndmask_b32_e32 v151, v159, v151, vcc_lo
	v_cmp_gt_i32_e32 vcc_lo, s28, v152
	v_or_b32_e32 v159, 14, v152
	v_dual_mul_f32 v149, s30, v192 :: v_dual_mul_f32 v150, s30, v191
	v_dual_mul_f32 v147, s30, v194 :: v_dual_mul_f32 v148, s30, v193
	;; [unrolled: 1-line block ×3, first 2 shown]
	s_delay_alu instid0(VALU_DEP_3) | instskip(NEXT) | instid1(VALU_DEP_4)
	v_cndmask_b32_e32 v150, 0xff7fffff, v150, vcc_lo
	v_cndmask_b32_e64 v149, 0xff7fffff, v149, s2
	v_mul_f32_e32 v146, s30, v195
	v_cndmask_b32_e64 v148, 0xff7fffff, v148, s3
	v_cndmask_b32_e64 v147, 0xff7fffff, v147, s4
	v_or_b32_e32 v160, 16, v152
	v_max3_f32 v149, v150, 0xff7fffff, v149
	v_or_b32_e32 v161, 18, v152
	v_dual_mul_f32 v143, s30, v198 :: v_dual_mul_f32 v144, s30, v197
	v_cndmask_b32_e64 v146, 0xff7fffff, v146, s5
	v_cndmask_b32_e64 v145, 0xff7fffff, v145, s6
	v_max3_f32 v147, v149, v148, v147
	v_cmp_gt_i32_e64 s7, s28, v158
	v_cmp_gt_i32_e64 s8, s28, v159
	v_or_b32_e32 v162, 20, v152
	v_or_b32_e32 v163, 22, v152
	v_mul_f32_e32 v175, s30, v129
	v_cndmask_b32_e64 v144, 0xff7fffff, v144, s7
	v_cndmask_b32_e64 v143, 0xff7fffff, v143, s8
	v_max3_f32 v145, v147, v146, v145
	v_cmp_gt_i32_e64 s9, s28, v160
	v_cmp_gt_i32_e64 s10, s28, v161
	v_or_b32_e32 v164, 24, v152
	v_or_b32_e32 v165, 26, v152
	v_dual_mul_f32 v172, s30, v132 :: v_dual_mul_f32 v173, s30, v131
	v_cndmask_b32_e64 v146, 0xff7fffff, v175, s9
	v_cndmask_b32_e64 v147, 0xff7fffff, v174, s10
	v_max3_f32 v143, v145, v144, v143
	v_cmp_gt_i32_e64 s11, s28, v162
	v_cmp_gt_i32_e64 s12, s28, v163
	v_or_b32_e32 v166, 28, v152
	v_or_b32_e32 v167, 30, v152
	v_dual_mul_f32 v170, s30, v134 :: v_dual_mul_f32 v171, s30, v133
	v_cndmask_b32_e64 v144, 0xff7fffff, v173, s11
	v_cndmask_b32_e64 v145, 0xff7fffff, v172, s12
	v_max3_f32 v143, v143, v146, v147
	v_cmp_gt_i32_e64 s13, s28, v164
	v_cmp_gt_i32_e64 s15, s28, v165
	v_dual_mul_f32 v168, s30, v136 :: v_dual_mul_f32 v169, s30, v135
	s_delay_alu instid0(VALU_DEP_4) | instskip(NEXT) | instid1(VALU_DEP_4)
	v_max3_f32 v143, v143, v144, v145
	v_cndmask_b32_e64 v146, 0xff7fffff, v171, s13
	s_delay_alu instid0(VALU_DEP_4) | instskip(SKIP_3) | instid1(VALU_DEP_4)
	v_cndmask_b32_e64 v147, 0xff7fffff, v170, s15
	v_cmp_gt_i32_e64 s16, s28, v166
	v_cmp_gt_i32_e64 s17, s28, v167
	v_lshlrev_b32_e32 v160, 2, v151
	v_max3_f32 v143, v143, v146, v147
	s_delay_alu instid0(VALU_DEP_4) | instskip(NEXT) | instid1(VALU_DEP_4)
	v_cndmask_b32_e64 v144, 0xff7fffff, v169, s16
	v_cndmask_b32_e64 v145, 0xff7fffff, v168, s17
	s_delay_alu instid0(VALU_DEP_1) | instskip(SKIP_3) | instid1(VALU_DEP_1)
	v_max3_f32 v143, v143, v144, v145
	ds_bpermute_b32 v144, v160, v143
	s_waitcnt lgkmcnt(0)
	v_max_f32_e32 v144, v144, v144
	v_max_f32_e32 v159, v143, v144
	s_delay_alu instid0(VALU_DEP_1) | instskip(SKIP_4) | instid1(VALU_DEP_4)
	v_fma_f32 v145, s30, v193, -v159
	v_fma_f32 v146, s30, v194, -v159
	;; [unrolled: 1-line block ×5, first 2 shown]
	v_dual_mul_f32 v145, 0x3fb8aa3b, v145 :: v_dual_mul_f32 v146, 0x3fb8aa3b, v146
	s_delay_alu instid0(VALU_DEP_4) | instskip(SKIP_1) | instid1(VALU_DEP_4)
	v_mul_f32_e32 v132, 0x3fb8aa3b, v132
	v_fma_f32 v148, s30, v195, -v159
	v_mul_f32_e32 v144, 0x3fb8aa3b, v144
	s_delay_alu instid0(VALU_DEP_4)
	v_exp_f32_e32 v145, v145
	v_exp_f32_e32 v150, v146
	v_fma_f32 v149, s30, v196, -v159
	v_mul_f32_e32 v148, 0x3fb8aa3b, v148
	v_exp_f32_e32 v147, v144
	v_fma_f32 v134, s30, v134, -v159
	v_fma_f32 v151, s30, v197, -v159
	v_mul_f32_e32 v149, 0x3fb8aa3b, v149
	v_exp_f32_e32 v148, v148
	v_fma_f32 v152, s30, v198, -v159
	v_cndmask_b32_e64 v146, 0, v145, s3
	v_cndmask_b32_e64 v145, 0, v150, s4
	v_dual_mul_f32 v143, 0x3fb8aa3b, v143 :: v_dual_mul_f32 v134, 0x3fb8aa3b, v134
	v_mul_f32_e32 v151, 0x3fb8aa3b, v151
	v_exp_f32_e32 v149, v149
	v_fma_f32 v129, s30, v129, -v159
	s_delay_alu instid0(VALU_DEP_3)
	v_exp_f32_e32 v143, v143
	v_mul_f32_e32 v150, 0x3fb8aa3b, v152
	v_exp_f32_e32 v151, v151
	v_cndmask_b32_e64 v148, 0, v148, s5
	v_fma_f32 v130, s30, v130, -v159
	v_mul_f32_e32 v129, 0x3fb8aa3b, v129
	v_exp_f32_e32 v153, v150
	v_fma_f32 v131, s30, v131, -v159
	v_fma_f32 v133, s30, v133, -v159
	v_mul_f32_e32 v130, 0x3fb8aa3b, v130
	v_cndmask_b32_e32 v144, 0, v143, vcc_lo
	v_cndmask_b32_e64 v143, 0, v147, s2
	v_exp_f32_e32 v129, v129
	v_cndmask_b32_e64 v150, 0, v151, s7
	v_mul_f32_e32 v131, 0x3fb8aa3b, v131
	v_add_f32_e32 v147, 0, v144
	v_exp_f32_e32 v130, v130
	v_mul_f32_e32 v133, 0x3fb8aa3b, v133
	v_exp_f32_e32 v132, v132
	v_exp_f32_e32 v131, v131
	v_add_f32_e32 v147, v147, v143
	v_cmp_gt_u32_e64 s2, 16, v142
	v_exp_f32_e32 v133, v133
	s_delay_alu instid0(VALU_DEP_2)
	v_add_f32_e32 v147, v147, v146
	s_waitcnt_depctr 0xfff
	v_cndmask_b32_e64 v154, 0, v131, s11
	v_add_f32_e32 v152, v147, v145
	v_cndmask_b32_e64 v147, 0, v149, s6
	v_exp_f32_e32 v131, v134
	v_cndmask_b32_e64 v156, 0, v133, s13
	s_delay_alu instid0(VALU_DEP_3) | instskip(SKIP_1) | instid1(VALU_DEP_2)
	v_add_f32_e32 v149, v152, v148
	v_cndmask_b32_e64 v152, 0, v129, s9
	v_add_f32_e32 v151, v149, v147
	v_cndmask_b32_e64 v149, 0, v153, s8
	v_cndmask_b32_e64 v153, 0, v132, s12
	v_fma_f32 v132, s30, v136, -v159
	s_delay_alu instid0(TRANS32_DEP_1) | instskip(NEXT) | instid1(VALU_DEP_2)
	v_cndmask_b32_e64 v155, 0, v131, s15
	v_dual_add_f32 v151, v151, v150 :: v_dual_mul_f32 v132, 0x3fb8aa3b, v132
	s_delay_alu instid0(VALU_DEP_1) | instskip(SKIP_2) | instid1(VALU_DEP_4)
	v_add_f32_e32 v129, v151, v149
	v_cndmask_b32_e64 v151, 0, v130, s10
	v_fma_f32 v130, s30, v135, -v159
	v_exp_f32_e32 v131, v132
	s_delay_alu instid0(VALU_DEP_1) | instskip(NEXT) | instid1(VALU_DEP_1)
	v_dual_add_f32 v129, v129, v152 :: v_dual_mul_f32 v130, 0x3fb8aa3b, v130
	v_add_f32_e32 v129, v129, v151
	s_delay_alu instid0(VALU_DEP_2) | instskip(SKIP_3) | instid1(VALU_DEP_1)
	v_exp_f32_e32 v130, v130
	s_waitcnt_depctr 0xfff
	v_cndmask_b32_e64 v157, 0, v131, s17
	v_add_f32_e32 v129, v129, v154
	v_add_f32_e32 v129, v129, v153
	v_cndmask_b32_e64 v158, 0, v130, s16
	s_delay_alu instid0(VALU_DEP_2) | instskip(NEXT) | instid1(VALU_DEP_1)
	v_add_f32_e32 v129, v129, v156
	v_add_f32_e32 v129, v129, v155
	s_delay_alu instid0(VALU_DEP_1) | instskip(NEXT) | instid1(VALU_DEP_1)
	v_add_f32_e32 v129, v129, v158
	v_add_f32_e32 v129, v129, v157
	ds_bpermute_b32 v130, v160, v129
	s_and_saveexec_b32 s3, s2
	s_cbranch_execz .LBB276_12
; %bb.11:
	v_mul_u32_u24_e32 v131, 0x44, v141
	s_delay_alu instid0(VALU_DEP_1) | instskip(SKIP_1) | instid1(VALU_DEP_1)
	v_lshl_add_u32 v131, v140, 2, v131
	s_waitcnt lgkmcnt(0)
	v_dual_add_f32 v129, v129, v130 :: v_dual_add_nc_u32 v130, 0x4000, v131
	ds_store_2addr_b32 v130, v159, v129 offset1:136
.LBB276_12:
	s_or_b32 exec_lo, exec_lo, s3
	v_lshlrev_b32_e32 v129, 2, v140
	s_load_b32 s35, s[0:1], 0x94
	s_waitcnt lgkmcnt(0)
	s_barrier
	buffer_gl0_inv
	v_add_nc_u32_e32 v135, 0x4000, v129
	v_cmp_eq_u32_e32 vcc_lo, 1, v141
	v_cmp_eq_u32_e64 s3, 2, v141
	v_cmp_eq_u32_e64 s4, 3, v141
	;; [unrolled: 1-line block ×3, first 2 shown]
	ds_load_2addr_b32 v[129:130], v135 offset1:17
	ds_load_2addr_b32 v[131:132], v135 offset0:34 offset1:51
	ds_load_2addr_b32 v[133:134], v135 offset0:68 offset1:85
	;; [unrolled: 1-line block ×3, first 2 shown]
	v_cmp_eq_u32_e64 s6, 5, v141
	v_cmp_eq_u32_e64 s7, 7, v141
	s_waitcnt lgkmcnt(3)
	v_max3_f32 v136, v129, 0xff7fffff, v130
	s_waitcnt lgkmcnt(2)
	s_delay_alu instid0(VALU_DEP_1) | instskip(SKIP_1) | instid1(VALU_DEP_1)
	v_max3_f32 v136, v136, v131, v132
	s_waitcnt lgkmcnt(1)
	v_max3_f32 v136, v136, v133, v134
	s_waitcnt lgkmcnt(0)
	s_delay_alu instid0(VALU_DEP_1) | instskip(NEXT) | instid1(VALU_DEP_1)
	v_max3_f32 v136, v136, v159, v160
	v_sub_f32_e32 v142, v130, v136
	ds_load_2addr_b32 v[161:162], v135 offset0:136 offset1:153
	v_sub_f32_e32 v164, v132, v136
	v_mul_f32_e32 v142, 0x3fb8aa3b, v142
	s_delay_alu instid0(VALU_DEP_2) | instskip(NEXT) | instid1(VALU_DEP_2)
	v_mul_f32_e32 v164, 0x3fb8aa3b, v164
	v_exp_f32_e32 v166, v142
	v_sub_f32_e32 v129, v129, v136
	s_delay_alu instid0(VALU_DEP_2) | instskip(NEXT) | instid1(VALU_DEP_1)
	v_exp_f32_e32 v164, v164
	v_mul_f32_e32 v163, 0x3fb8aa3b, v129
	ds_load_2addr_b32 v[129:130], v135 offset0:170 offset1:187
	v_exp_f32_e32 v163, v163
	s_waitcnt lgkmcnt(1)
	s_waitcnt_depctr 0xfff
	v_fma_f32 v142, v163, v161, 0
	v_sub_f32_e32 v161, v134, v136
	s_delay_alu instid0(VALU_DEP_2) | instskip(NEXT) | instid1(VALU_DEP_1)
	v_dual_fmac_f32 v142, v166, v162 :: v_dual_sub_f32 v131, v131, v136
	v_mul_f32_e32 v165, 0x3fb8aa3b, v131
	ds_load_2addr_b32 v[131:132], v135 offset0:204 offset1:221
	v_exp_f32_e32 v165, v165
	s_waitcnt lgkmcnt(1)
	s_waitcnt_depctr 0xfff
	v_fmac_f32_e32 v142, v165, v129
	v_sub_f32_e32 v133, v133, v136
	v_sub_f32_e32 v129, v160, v136
	s_delay_alu instid0(VALU_DEP_2) | instskip(NEXT) | instid1(VALU_DEP_2)
	v_dual_fmac_f32 v142, v164, v130 :: v_dual_mul_f32 v167, 0x3fb8aa3b, v133
	v_mul_f32_e32 v129, 0x3fb8aa3b, v129
	ds_load_2addr_b32 v[133:134], v135 offset0:238 offset1:255
	v_cndmask_b32_e32 v130, v163, v166, vcc_lo
	s_waitcnt lgkmcnt(0)
	s_barrier
	v_exp_f32_e32 v162, v129
	v_sub_f32_e32 v135, v159, v136
	v_mul_f32_e32 v159, 0x3fb8aa3b, v161
	v_exp_f32_e32 v161, v167
	buffer_gl0_inv
	v_exp_f32_e32 v159, v159
	v_fmac_f32_e32 v142, v161, v131
	s_waitcnt_depctr 0xfff
	v_dual_mul_f32 v135, 0x3fb8aa3b, v135 :: v_dual_fmac_f32 v142, v159, v132
	s_delay_alu instid0(VALU_DEP_1) | instskip(SKIP_2) | instid1(VALU_DEP_1)
	v_exp_f32_e32 v160, v135
	s_waitcnt_depctr 0xfff
	v_dual_fmac_f32 v142, v160, v133 :: v_dual_lshlrev_b32 v133, 6, v140
	v_fmac_f32_e32 v142, v162, v134
	s_delay_alu instid0(VALU_DEP_2) | instskip(NEXT) | instid1(VALU_DEP_2)
	v_lshl_or_b32 v135, v141, 11, v133
	v_add_f32_e32 v134, 0x358637bd, v142
	s_delay_alu instid0(VALU_DEP_1) | instskip(SKIP_1) | instid1(VALU_DEP_2)
	v_div_scale_f32 v167, null, v134, v134, 1.0
	v_div_scale_f32 v163, vcc_lo, 1.0, v134, 1.0
	v_rcp_f32_e32 v168, v167
	s_waitcnt_depctr 0xfff
	v_fma_f32 v129, -v167, v168, 1.0
	s_delay_alu instid0(VALU_DEP_1) | instskip(SKIP_2) | instid1(VALU_DEP_2)
	v_fmac_f32_e32 v168, v129, v168
	v_cndmask_b32_e64 v129, v130, v165, s3
	v_cmp_eq_u32_e64 s3, 6, v141
	v_cndmask_b32_e64 v130, v129, v164, s4
	v_lshlrev_b32_e32 v129, 2, v138
	v_mul_f32_e32 v165, v163, v168
	s_delay_alu instid0(VALU_DEP_3) | instskip(NEXT) | instid1(VALU_DEP_3)
	v_cndmask_b32_e64 v161, v130, v161, s5
	v_or_b32_e32 v130, 1, v129
	s_delay_alu instid0(VALU_DEP_3)
	v_fma_f32 v131, -v167, v165, v163
	v_or_b32_e32 v132, 2, v129
	v_cmp_eq_u32_e64 s4, 1, v129
	v_cndmask_b32_e64 v141, v161, v159, s6
	v_cmp_eq_u32_e64 s9, 1, v130
	v_fmac_f32_e32 v165, v131, v168
	v_or_b32_e32 v131, 3, v129
	v_cmp_eq_u32_e64 s10, 1, v132
	v_cndmask_b32_e64 v141, v141, v160, s3
	v_cmp_eq_u32_e64 s5, 2, v129
	v_fma_f32 v159, -v167, v165, v163
	v_cmp_eq_u32_e64 s11, 1, v131
	v_cmp_eq_u32_e64 s16, 2, v131
	v_cndmask_b32_e64 v141, v141, v162, s7
	v_cmp_eq_u32_e64 s12, 2, v130
	v_div_fmas_f32 v159, v159, v168, v165
	v_cmp_eq_u32_e64 s18, 3, v131
	v_cmp_eq_u32_e32 vcc_lo, 3, v129
	v_cmp_eq_u32_e64 s13, 3, v130
	v_cmp_eq_u32_e64 s15, 2, v132
	v_div_fixup_f32 v159, v159, v134, 1.0
	v_lshl_or_b32 v134, v138, 4, v135
	v_cmp_eq_u32_e64 s22, 4, v131
	v_cmp_eq_u32_e64 s3, 4, v129
	;; [unrolled: 1-line block ×3, first 2 shown]
	v_mul_f32_e32 v141, v141, v159
	v_cmp_eq_u32_e64 s19, 4, v130
	v_cmp_eq_u32_e64 s24, 5, v131
	;; [unrolled: 1-line block ×4, first 2 shown]
	v_fma_mixlo_f16 v159, v141, v144, 0
	v_fma_mixlo_f16 v160, v141, v146, 0
	;; [unrolled: 1-line block ×8, first 2 shown]
	v_fma_mixhi_f16 v159, v141, v143, 0
	v_fma_mixhi_f16 v160, v141, v145, 0
	;; [unrolled: 1-line block ×8, first 2 shown]
	ds_store_b128 v134, v[159:162]
	ds_store_b128 v134, v[163:166] offset:1024
	s_waitcnt lgkmcnt(0)
	s_barrier
	buffer_gl0_inv
	ds_load_b128 v[143:146], v135
	ds_load_b128 v[147:150], v135 offset:16
	ds_load_b128 v[151:154], v135 offset:1024
	;; [unrolled: 1-line block ×3, first 2 shown]
	v_cmp_eq_u32_e64 s21, 4, v132
	v_cmp_eq_u32_e64 s27, 6, v131
	;; [unrolled: 1-line block ×10, first 2 shown]
	s_waitcnt lgkmcnt(3)
	v_lshrrev_b32_e32 v141, 16, v143
	s_waitcnt lgkmcnt(2)
	v_lshrrev_b32_e32 v162, 16, v147
	v_lshrrev_b32_e32 v159, 16, v144
	;; [unrolled: 1-line block ×3, first 2 shown]
	s_waitcnt lgkmcnt(1)
	v_lshrrev_b32_e32 v166, 16, v151
	v_cndmask_b32_e64 v174, v143, v141, s4
	v_cndmask_b32_e64 v176, v143, v141, s9
	;; [unrolled: 1-line block ×5, first 2 shown]
	s_waitcnt lgkmcnt(0)
	v_lshrrev_b32_e32 v170, 16, v155
	v_cndmask_b32_e64 v175, v147, v162, s4
	v_cndmask_b32_e64 v177, v147, v162, s9
	;; [unrolled: 1-line block ×19, first 2 shown]
	v_lshrrev_b32_e32 v160, 16, v145
	v_lshrrev_b32_e32 v164, 16, v149
	;; [unrolled: 1-line block ×4, first 2 shown]
	v_cndmask_b32_e64 v176, v178, v144, s15
	v_cndmask_b32_e64 v177, v179, v148, s15
	;; [unrolled: 1-line block ×8, first 2 shown]
	v_cndmask_b32_e32 v155, v166, v159, vcc_lo
	v_cndmask_b32_e32 v166, v170, v163, vcc_lo
	v_cndmask_b32_e64 v170, v174, v159, s13
	v_cndmask_b32_e64 v174, v175, v163, s13
	;; [unrolled: 1-line block ×6, first 2 shown]
	v_cndmask_b32_e32 v144, v144, v167, vcc_lo
	v_cndmask_b32_e32 v147, v147, v171, vcc_lo
	v_cndmask_b32_e64 v148, v148, v167, s13
	v_cndmask_b32_e64 v155, v155, v145, s3
	;; [unrolled: 1-line block ×7, first 2 shown]
	v_lshrrev_b32_e32 v161, 16, v146
	v_lshrrev_b32_e32 v165, 16, v150
	;; [unrolled: 1-line block ×4, first 2 shown]
	v_cndmask_b32_e64 v170, v175, v145, s21
	v_cndmask_b32_e64 v174, v176, v149, s21
	;; [unrolled: 1-line block ×22, first 2 shown]
	v_lshrrev_b32_e32 v169, 16, v154
	v_cndmask_b32_e64 v160, v163, v146, s26
	v_cndmask_b32_e64 v163, v166, v150, s26
	;; [unrolled: 1-line block ×9, first 2 shown]
	v_perm_b32 v146, v143, v141, 0x5040100
	v_cndmask_b32_e64 v141, v183, v156, s15
	v_cndmask_b32_e64 v143, v181, v156, s12
	;; [unrolled: 1-line block ×4, first 2 shown]
	v_perm_b32 v144, v159, v149, 0x5040100
	v_cndmask_b32_e64 v149, v162, v167, s17
	v_cndmask_b32_e64 v151, v151, v167, s18
	v_cndmask_b32_e64 v152, v152, v171, s18
	v_cndmask_b32_e64 v141, v141, v171, s17
	v_cndmask_b32_e64 v143, v143, v171, s13
	v_cndmask_b32_e64 v149, v149, v153, s21
	v_cndmask_b32_e64 v151, v151, v153, s22
	v_cndmask_b32_e64 v152, v152, v157, s22
	v_cndmask_b32_e64 v141, v141, v157, s21
	v_cndmask_b32_e64 v143, v143, v157, s19
	v_cndmask_b32_e64 v149, v149, v168, s23
	v_cndmask_b32_e64 v151, v151, v168, s24
	v_cndmask_b32_e64 v152, v152, v172, s24
	v_cndmask_b32_e64 v141, v141, v172, s23
	v_cndmask_b32_e64 v143, v143, v172, s20
	v_lshrrev_b32_e32 v173, 16, v158
	v_cndmask_b32_e64 v149, v149, v154, s26
	v_cndmask_b32_e64 v151, v151, v154, s27
	;; [unrolled: 1-line block ×13, first 2 shown]
	v_perm_b32 v145, v160, v155, 0x5040100
	v_perm_b32 v143, v148, v147, 0x5040100
	;; [unrolled: 1-line block ×6, first 2 shown]
	s_mul_i32 s7, s33, 3
	s_mov_b32 s3, exec_lo
	ds_store_b128 v134, v[143:146]
	ds_store_b128 v134, v[147:150] offset:1024
	v_cmpx_gt_u32_e32 3, v0
	s_cbranch_execz .LBB276_14
; %bb.13:
	s_mul_i32 s4, s7, s34
	s_load_b128 s[8:11], s[0:1], 0x58
	v_add3_u32 v143, s4, s31, v140
	s_delay_alu instid0(VALU_DEP_1) | instskip(NEXT) | instid1(VALU_DEP_1)
	v_mad_u64_u32 v[140:141], null, v143, s35, s[14:15]
	v_ashrrev_i32_e32 v141, 31, v140
	s_delay_alu instid0(VALU_DEP_1) | instskip(SKIP_1) | instid1(VALU_DEP_1)
	v_lshlrev_b64 v[140:141], 2, v[140:141]
	s_waitcnt lgkmcnt(0)
	v_add_co_u32 v143, vcc_lo, s10, v140
	s_delay_alu instid0(VALU_DEP_2)
	v_add_co_ci_u32_e32 v144, vcc_lo, s11, v141, vcc_lo
	v_add_co_u32 v140, vcc_lo, s8, v140
	v_add_co_ci_u32_e32 v141, vcc_lo, s9, v141, vcc_lo
	global_store_b32 v[143:144], v136, off
	global_store_b32 v[140:141], v142, off
.LBB276_14:
	s_or_b32 exec_lo, exec_lo, s3
	s_waitcnt lgkmcnt(0)
	s_waitcnt_vscnt null, 0x0
	s_barrier
	buffer_gl0_inv
	ds_load_b128 v[148:151], v133
	ds_load_b128 v[152:155], v133 offset:16
	ds_load_b128 v[160:163], v133 offset:1040
	;; [unrolled: 1-line block ×5, first 2 shown]
	v_cmp_eq_u32_e32 vcc_lo, 1, v132
	v_mov_b32_e32 v140, 0
	ds_load_b128 v[176:179], v133 offset:3088
	ds_load_b128 v[172:175], v133 offset:3072
	;; [unrolled: 1-line block ×4, first 2 shown]
	v_cmp_eq_u32_e64 s3, 1, v129
	v_cmp_eq_u32_e64 s4, 1, v131
	;; [unrolled: 1-line block ×3, first 2 shown]
	v_mov_b32_e32 v141, v140
	v_mov_b32_e32 v142, v140
	;; [unrolled: 1-line block ×7, first 2 shown]
	v_cmp_eq_u32_e64 s6, 2, v129
	s_waitcnt lgkmcnt(8)
	s_delay_alu instid0(VALU_DEP_2)
	v_wmma_f32_16x16x16_f16 v[140:147], v[121:128], v[148:155], v[140:147]
	ds_load_b128 v[125:128], v133 offset:5136
	ds_load_b128 v[121:124], v133 offset:5120
	s_waitcnt lgkmcnt(8)
	v_wmma_f32_16x16x16_f16 v[140:147], v[113:120], v[156:163], v[140:147]
	ds_load_b128 v[117:120], v133 offset:6160
	ds_load_b128 v[113:116], v133 offset:6144
	s_waitcnt lgkmcnt(8)
	;; [unrolled: 4-line block ×11, first 2 shown]
	s_barrier
	buffer_gl0_inv
	v_wmma_f32_16x16x16_f16 v[140:147], v[1:8], v[73:80], v[140:147]
	s_delay_alu instid0(VALU_DEP_1) | instskip(NEXT) | instid1(VALU_DEP_1)
	v_wmma_f32_16x16x16_f16 v[140:147], v[9:16], v[65:72], v[140:147]
	v_wmma_f32_16x16x16_f16 v[140:147], v[33:40], v[57:64], v[140:147]
	s_delay_alu instid0(VALU_DEP_1) | instskip(NEXT) | instid1(VALU_DEP_1)
	v_wmma_f32_16x16x16_f16 v[140:147], v[41:48], v[49:56], v[140:147]
	v_wmma_f32_16x16x16_f16 v[140:147], v[17:24], v[25:32], v[140:147]
	s_delay_alu instid0(VALU_DEP_1) | instskip(NEXT) | instid1(VALU_DEP_2)
	v_cvt_f16_f32_e64 v1, v140
	v_cvt_f16_f32_e64 v2, v141
	s_delay_alu instid0(VALU_DEP_3) | instskip(NEXT) | instid1(VALU_DEP_4)
	v_cvt_f16_f32_e64 v3, v142
	v_cvt_f16_f32_e64 v4, v143
	;; [unrolled: 1-line block ×6, first 2 shown]
	v_pack_b32_f16 v1, v1, v2
	v_pack_b32_f16 v2, v3, v4
	;; [unrolled: 1-line block ×3, first 2 shown]
	s_delay_alu instid0(VALU_DEP_4)
	v_pack_b32_f16 v4, v7, v8
	ds_store_b128 v134, v[1:4]
	s_waitcnt lgkmcnt(0)
	s_barrier
	buffer_gl0_inv
	ds_load_b128 v[1:4], v135
	ds_load_b128 v[5:8], v135 offset:16
	s_waitcnt lgkmcnt(1)
	v_lshrrev_b32_e32 v9, 16, v1
	s_waitcnt lgkmcnt(0)
	v_lshrrev_b32_e32 v13, 16, v5
	v_lshrrev_b32_e32 v10, 16, v2
	;; [unrolled: 1-line block ×4, first 2 shown]
	v_cndmask_b32_e64 v17, v1, v9, s3
	v_cndmask_b32_e64 v18, v5, v13, s3
	;; [unrolled: 1-line block ×3, first 2 shown]
	v_cmp_eq_u32_e64 s3, 2, v130
	v_cndmask_b32_e64 v20, v5, v13, s5
	v_cndmask_b32_e32 v21, v1, v9, vcc_lo
	v_cndmask_b32_e32 v22, v5, v13, vcc_lo
	v_cndmask_b32_e64 v1, v1, v9, s4
	v_cndmask_b32_e64 v5, v5, v13, s4
	v_cmp_eq_u32_e32 vcc_lo, 2, v132
	v_cmp_eq_u32_e64 s4, 2, v131
	v_cndmask_b32_e64 v9, v17, v2, s6
	v_cndmask_b32_e64 v13, v18, v6, s6
	v_cndmask_b32_e64 v17, v19, v2, s3
	v_cndmask_b32_e64 v18, v20, v6, s3
	v_cndmask_b32_e32 v19, v21, v2, vcc_lo
	v_cmp_eq_u32_e64 s3, 3, v132
	v_cndmask_b32_e32 v20, v22, v6, vcc_lo
	v_cndmask_b32_e64 v1, v1, v2, s4
	v_cmp_eq_u32_e32 vcc_lo, 3, v131
	v_cmp_eq_u32_e64 s5, 3, v129
	v_cndmask_b32_e64 v2, v5, v6, s4
	v_cmp_eq_u32_e64 s4, 3, v130
	v_cmp_eq_u32_e64 s6, 4, v129
	v_cndmask_b32_e32 v1, v1, v10, vcc_lo
	v_cndmask_b32_e64 v5, v9, v10, s5
	v_cndmask_b32_e64 v6, v13, v14, s5
	;; [unrolled: 1-line block ×3, first 2 shown]
	v_cmp_eq_u32_e64 s5, 4, v130
	v_cndmask_b32_e64 v13, v18, v14, s4
	v_cndmask_b32_e64 v17, v19, v10, s3
	;; [unrolled: 1-line block ×3, first 2 shown]
	v_cndmask_b32_e32 v2, v2, v14, vcc_lo
	v_cmp_eq_u32_e32 vcc_lo, 4, v132
	v_cmp_eq_u32_e64 s4, 4, v131
	v_lshrrev_b32_e32 v15, 16, v7
	v_cndmask_b32_e64 v5, v5, v3, s6
	v_cndmask_b32_e64 v6, v6, v7, s6
	v_cndmask_b32_e32 v14, v18, v7, vcc_lo
	v_cndmask_b32_e64 v9, v9, v3, s5
	v_cndmask_b32_e64 v10, v13, v7, s5
	v_cndmask_b32_e32 v13, v17, v3, vcc_lo
	v_cmp_eq_u32_e64 s3, 5, v132
	v_cndmask_b32_e64 v1, v1, v3, s4
	v_cmp_eq_u32_e32 vcc_lo, 5, v131
	v_cmp_eq_u32_e64 s5, 5, v129
	v_cndmask_b32_e64 v2, v2, v7, s4
	v_cmp_eq_u32_e64 s4, 5, v130
	v_cmp_eq_u32_e64 s6, 6, v129
	v_lshrrev_b32_e32 v12, 16, v4
	v_cndmask_b32_e64 v3, v5, v11, s5
	v_cndmask_b32_e64 v5, v6, v15, s5
	;; [unrolled: 1-line block ×3, first 2 shown]
	v_cmp_eq_u32_e64 s5, 6, v130
	v_cndmask_b32_e64 v7, v10, v15, s4
	v_cndmask_b32_e64 v9, v13, v11, s3
	;; [unrolled: 1-line block ×3, first 2 shown]
	v_cndmask_b32_e32 v1, v1, v11, vcc_lo
	v_cndmask_b32_e32 v2, v2, v15, vcc_lo
	v_cmp_eq_u32_e32 vcc_lo, 6, v132
	v_cmp_eq_u32_e64 s3, 6, v131
	v_lshrrev_b32_e32 v16, 16, v8
	v_cndmask_b32_e64 v3, v3, v4, s6
	v_cndmask_b32_e64 v5, v5, v8, s6
	v_cndmask_b32_e32 v9, v9, v4, vcc_lo
	v_cndmask_b32_e64 v6, v6, v4, s5
	v_cndmask_b32_e64 v7, v7, v8, s5
	v_cmp_eq_u32_e64 s4, 7, v132
	v_cndmask_b32_e32 v10, v10, v8, vcc_lo
	v_cndmask_b32_e64 v1, v1, v4, s3
	v_cmp_eq_u32_e32 vcc_lo, 7, v131
	v_cndmask_b32_e64 v2, v2, v8, s3
	v_cmp_eq_u32_e64 s3, 7, v129
	v_cmp_eq_u32_e64 s5, 7, v130
	v_cndmask_b32_e32 v1, v1, v12, vcc_lo
	s_delay_alu instid0(VALU_DEP_4) | instskip(NEXT) | instid1(VALU_DEP_4)
	v_cndmask_b32_e32 v2, v2, v16, vcc_lo
	v_cndmask_b32_e64 v8, v3, v12, s3
	s_delay_alu instid0(VALU_DEP_4)
	v_cndmask_b32_e64 v6, v6, v12, s5
	v_cndmask_b32_e64 v3, v9, v12, s4
	;; [unrolled: 1-line block ×5, first 2 shown]
	v_perm_b32 v4, v2, v1, 0x5040100
	s_mov_b32 s3, exec_lo
	v_perm_b32 v3, v9, v3, 0x5040100
	v_perm_b32 v2, v7, v6, 0x5040100
	;; [unrolled: 1-line block ×3, first 2 shown]
	ds_store_b128 v134, v[1:4]
	s_waitcnt lgkmcnt(0)
	s_barrier
	buffer_gl0_inv
	v_cmpx_gt_u32_e32 32, v0
	s_cbranch_execz .LBB276_2
; %bb.15:
	s_load_b64 s[4:5], s[0:1], 0x68
	v_lshlrev_b32_e32 v0, 10, v0
	v_lshlrev_b32_e32 v2, 4, v139
	v_add_nc_u32_e32 v1, s31, v138
	s_lshl_b32 s0, s35, 7
	s_delay_alu instid0(SALU_CYCLE_1) | instskip(NEXT) | instid1(VALU_DEP_2)
	s_mul_i32 s1, s0, s34
	v_and_or_b32 v0, 0x3800, v0, v2
	s_mul_i32 s6, s1, s7
	v_mul_lo_u32 v1, v1, s0
	s_ashr_i32 s7, s6, 31
	s_delay_alu instid0(VALU_DEP_2) | instskip(SKIP_1) | instid1(VALU_DEP_2)
	v_lshl_or_b32 v3, v138, 6, v0
	s_lshl_b64 s[6:7], s[6:7], 1
	v_ashrrev_i32_e32 v2, 31, v1
	ds_load_b128 v[3:6], v3
	s_waitcnt lgkmcnt(0)
	s_add_u32 s1, s4, s6
	s_addc_u32 s3, s5, s7
	s_lshl_b32 s4, s14, 7
	v_lshlrev_b64 v[7:8], 1, v[1:2]
	s_ashr_i32 s5, s4, 31
	s_delay_alu instid0(SALU_CYCLE_1) | instskip(NEXT) | instid1(SALU_CYCLE_1)
	s_lshl_b64 s[4:5], s[4:5], 1
	s_add_u32 s1, s1, s4
	s_addc_u32 s3, s3, s5
	v_add_co_u32 v1, s1, s1, v137
	s_delay_alu instid0(VALU_DEP_1) | instskip(NEXT) | instid1(VALU_DEP_2)
	v_add_co_ci_u32_e64 v2, null, s3, 0, s1
	v_add_co_u32 v7, vcc_lo, v1, v7
	s_delay_alu instid0(VALU_DEP_2)
	v_add_co_ci_u32_e32 v8, vcc_lo, v2, v8, vcc_lo
	global_store_b128 v[7:8], v[3:6], off
	s_and_b32 exec_lo, exec_lo, s2
	s_cbranch_execz .LBB276_2
; %bb.16:
	ds_load_b128 v[3:6], v0 offset:128
	s_add_i32 s1, s31, 2
	s_delay_alu instid0(SALU_CYCLE_1) | instskip(NEXT) | instid1(SALU_CYCLE_1)
	s_mul_i32 s0, s1, s0
	s_ashr_i32 s1, s0, 31
	s_delay_alu instid0(SALU_CYCLE_1) | instskip(NEXT) | instid1(SALU_CYCLE_1)
	s_lshl_b64 s[0:1], s[0:1], 1
	v_add_co_u32 v0, vcc_lo, v1, s0
	v_add_co_ci_u32_e32 v1, vcc_lo, s1, v2, vcc_lo
	s_waitcnt lgkmcnt(0)
	global_store_b128 v[0:1], v[3:6], off
	s_nop 0
	s_sendmsg sendmsg(MSG_DEALLOC_VGPRS)
	s_endpgm
	.section	.rodata,"a",@progbits
	.p2align	6, 0x0
	.amdhsa_kernel _Z39paged_attention_ll4mi_QKV_mfma16_kernelIDF16_DF16_LN4vllm18Fp8KVCacheDataTypeE0EDF16_Li16ELi128ELi256ELb1ELi3EL8MFMAType0EEvPKT_PKT0_S8_ifPKiSA_SA_iPKfiiiPfSD_PS3_PT2_iSC_SC_
		.amdhsa_group_segment_fixed_size 17472
		.amdhsa_private_segment_fixed_size 0
		.amdhsa_kernarg_size 400
		.amdhsa_user_sgpr_count 13
		.amdhsa_user_sgpr_dispatch_ptr 0
		.amdhsa_user_sgpr_queue_ptr 0
		.amdhsa_user_sgpr_kernarg_segment_ptr 1
		.amdhsa_user_sgpr_dispatch_id 0
		.amdhsa_user_sgpr_private_segment_size 0
		.amdhsa_wavefront_size32 1
		.amdhsa_uses_dynamic_stack 0
		.amdhsa_enable_private_segment 0
		.amdhsa_system_sgpr_workgroup_id_x 1
		.amdhsa_system_sgpr_workgroup_id_y 1
		.amdhsa_system_sgpr_workgroup_id_z 1
		.amdhsa_system_sgpr_workgroup_info 0
		.amdhsa_system_vgpr_workitem_id 0
		.amdhsa_next_free_vgpr 218
		.amdhsa_next_free_sgpr 52
		.amdhsa_reserve_vcc 1
		.amdhsa_float_round_mode_32 0
		.amdhsa_float_round_mode_16_64 0
		.amdhsa_float_denorm_mode_32 3
		.amdhsa_float_denorm_mode_16_64 3
		.amdhsa_dx10_clamp 1
		.amdhsa_ieee_mode 1
		.amdhsa_fp16_overflow 0
		.amdhsa_workgroup_processor_mode 1
		.amdhsa_memory_ordered 1
		.amdhsa_forward_progress 0
		.amdhsa_shared_vgpr_count 0
		.amdhsa_exception_fp_ieee_invalid_op 0
		.amdhsa_exception_fp_denorm_src 0
		.amdhsa_exception_fp_ieee_div_zero 0
		.amdhsa_exception_fp_ieee_overflow 0
		.amdhsa_exception_fp_ieee_underflow 0
		.amdhsa_exception_fp_ieee_inexact 0
		.amdhsa_exception_int_div_zero 0
	.end_amdhsa_kernel
	.section	.text._Z39paged_attention_ll4mi_QKV_mfma16_kernelIDF16_DF16_LN4vllm18Fp8KVCacheDataTypeE0EDF16_Li16ELi128ELi256ELb1ELi3EL8MFMAType0EEvPKT_PKT0_S8_ifPKiSA_SA_iPKfiiiPfSD_PS3_PT2_iSC_SC_,"axG",@progbits,_Z39paged_attention_ll4mi_QKV_mfma16_kernelIDF16_DF16_LN4vllm18Fp8KVCacheDataTypeE0EDF16_Li16ELi128ELi256ELb1ELi3EL8MFMAType0EEvPKT_PKT0_S8_ifPKiSA_SA_iPKfiiiPfSD_PS3_PT2_iSC_SC_,comdat
.Lfunc_end276:
	.size	_Z39paged_attention_ll4mi_QKV_mfma16_kernelIDF16_DF16_LN4vllm18Fp8KVCacheDataTypeE0EDF16_Li16ELi128ELi256ELb1ELi3EL8MFMAType0EEvPKT_PKT0_S8_ifPKiSA_SA_iPKfiiiPfSD_PS3_PT2_iSC_SC_, .Lfunc_end276-_Z39paged_attention_ll4mi_QKV_mfma16_kernelIDF16_DF16_LN4vllm18Fp8KVCacheDataTypeE0EDF16_Li16ELi128ELi256ELb1ELi3EL8MFMAType0EEvPKT_PKT0_S8_ifPKiSA_SA_iPKfiiiPfSD_PS3_PT2_iSC_SC_
                                        ; -- End function
	.section	.AMDGPU.csdata,"",@progbits
; Kernel info:
; codeLenInByte = 8004
; NumSgprs: 54
; NumVgprs: 218
; ScratchSize: 0
; MemoryBound: 0
; FloatMode: 240
; IeeeMode: 1
; LDSByteSize: 17472 bytes/workgroup (compile time only)
; SGPRBlocks: 6
; VGPRBlocks: 27
; NumSGPRsForWavesPerEU: 54
; NumVGPRsForWavesPerEU: 218
; Occupancy: 6
; WaveLimiterHint : 1
; COMPUTE_PGM_RSRC2:SCRATCH_EN: 0
; COMPUTE_PGM_RSRC2:USER_SGPR: 13
; COMPUTE_PGM_RSRC2:TRAP_HANDLER: 0
; COMPUTE_PGM_RSRC2:TGID_X_EN: 1
; COMPUTE_PGM_RSRC2:TGID_Y_EN: 1
; COMPUTE_PGM_RSRC2:TGID_Z_EN: 1
; COMPUTE_PGM_RSRC2:TIDIG_COMP_CNT: 0
	.section	.text._Z39paged_attention_ll4mi_QKV_mfma16_kernelIDF16_DF16_LN4vllm18Fp8KVCacheDataTypeE0EDF16_Li16ELi128ELi256ELb1ELi4EL8MFMAType0EEvPKT_PKT0_S8_ifPKiSA_SA_iPKfiiiPfSD_PS3_PT2_iSC_SC_,"axG",@progbits,_Z39paged_attention_ll4mi_QKV_mfma16_kernelIDF16_DF16_LN4vllm18Fp8KVCacheDataTypeE0EDF16_Li16ELi128ELi256ELb1ELi4EL8MFMAType0EEvPKT_PKT0_S8_ifPKiSA_SA_iPKfiiiPfSD_PS3_PT2_iSC_SC_,comdat
	.protected	_Z39paged_attention_ll4mi_QKV_mfma16_kernelIDF16_DF16_LN4vllm18Fp8KVCacheDataTypeE0EDF16_Li16ELi128ELi256ELb1ELi4EL8MFMAType0EEvPKT_PKT0_S8_ifPKiSA_SA_iPKfiiiPfSD_PS3_PT2_iSC_SC_ ; -- Begin function _Z39paged_attention_ll4mi_QKV_mfma16_kernelIDF16_DF16_LN4vllm18Fp8KVCacheDataTypeE0EDF16_Li16ELi128ELi256ELb1ELi4EL8MFMAType0EEvPKT_PKT0_S8_ifPKiSA_SA_iPKfiiiPfSD_PS3_PT2_iSC_SC_
	.globl	_Z39paged_attention_ll4mi_QKV_mfma16_kernelIDF16_DF16_LN4vllm18Fp8KVCacheDataTypeE0EDF16_Li16ELi128ELi256ELb1ELi4EL8MFMAType0EEvPKT_PKT0_S8_ifPKiSA_SA_iPKfiiiPfSD_PS3_PT2_iSC_SC_
	.p2align	8
	.type	_Z39paged_attention_ll4mi_QKV_mfma16_kernelIDF16_DF16_LN4vllm18Fp8KVCacheDataTypeE0EDF16_Li16ELi128ELi256ELb1ELi4EL8MFMAType0EEvPKT_PKT0_S8_ifPKiSA_SA_iPKfiiiPfSD_PS3_PT2_iSC_SC_,@function
_Z39paged_attention_ll4mi_QKV_mfma16_kernelIDF16_DF16_LN4vllm18Fp8KVCacheDataTypeE0EDF16_Li16ELi128ELi256ELb1ELi4EL8MFMAType0EEvPKT_PKT0_S8_ifPKiSA_SA_iPKfiiiPfSD_PS3_PT2_iSC_SC_: ; @_Z39paged_attention_ll4mi_QKV_mfma16_kernelIDF16_DF16_LN4vllm18Fp8KVCacheDataTypeE0EDF16_Li16ELi128ELi256ELb1ELi4EL8MFMAType0EEvPKT_PKT0_S8_ifPKiSA_SA_iPKfiiiPfSD_PS3_PT2_iSC_SC_
; %bb.0:
	s_load_b64 s[4:5], s[0:1], 0x30
	s_mov_b32 s30, s13
	s_waitcnt lgkmcnt(0)
	s_cmp_lg_u64 s[4:5], 0
	s_cselect_b32 s12, -1, 0
	s_ashr_i32 s31, s13, 31
	s_cmp_eq_u64 s[4:5], 0
	s_cbranch_scc1 .LBB277_3
; %bb.1:
	s_lshl_b64 s[2:3], s[30:31], 2
	s_delay_alu instid0(SALU_CYCLE_1) | instskip(SKIP_4) | instid1(SALU_CYCLE_1)
	s_add_u32 s2, s4, s2
	s_addc_u32 s3, s5, s3
	s_load_b64 s[2:3], s[2:3], 0x0
	s_waitcnt lgkmcnt(0)
	s_sub_i32 s2, s3, s2
	s_cmp_eq_u32 s2, 1
	s_cselect_b32 s2, -1, 0
	s_delay_alu instid0(SALU_CYCLE_1)
	s_and_not1_b32 vcc_lo, exec_lo, s2
	s_cbranch_vccz .LBB277_4
.LBB277_2:
	s_endpgm
.LBB277_3:
.LBB277_4:
	s_load_b64 s[2:3], s[0:1], 0x28
	s_lshl_b64 s[6:7], s[30:31], 2
	s_waitcnt lgkmcnt(0)
	s_add_u32 s2, s2, s6
	s_addc_u32 s3, s3, s7
	s_lshl_b32 s29, s14, 8
	s_load_b32 s28, s[2:3], 0x0
	s_waitcnt lgkmcnt(0)
	s_cmp_ge_i32 s29, s28
	s_cbranch_scc1 .LBB277_2
; %bb.5:
	s_clause 0x1
	s_load_b128 s[8:11], s[0:1], 0x8
	s_load_b64 s[2:3], s[0:1], 0x20
	s_and_not1_b32 vcc_lo, exec_lo, s12
	s_cbranch_vccnz .LBB277_7
; %bb.6:
	s_add_u32 s4, s4, s6
	s_addc_u32 s5, s5, s7
	s_load_b32 s12, s[4:5], 0x0
	s_branch .LBB277_8
.LBB277_7:
	s_mov_b32 s12, s30
.LBB277_8:
	s_load_b128 s[4:7], s[0:1], 0x48
	v_and_b32_e32 v141, 15, v0
	v_lshrrev_b32_e32 v140, 5, v0
	v_and_b32_e32 v142, 31, v0
	v_and_b32_e32 v139, 1, v0
	v_bfe_u32 v138, v0, 4, 1
	v_lshlrev_b32_e32 v1, 3, v141
	s_lshl_b32 s31, s15, 2
	s_waitcnt lgkmcnt(0)
	s_mov_b32 s7, exec_lo
	s_delay_alu instid0(VALU_DEP_1)
	v_lshlrev_b32_e32 v137, 1, v1
	v_cmpx_gt_u32_e32 64, v0
	s_cbranch_execz .LBB277_10
; %bb.9:
	v_lshl_or_b32 v5, v140, 1, v138
	s_load_b64 s[16:17], s[0:1], 0x0
	s_mul_hi_i32 s13, s12, s4
	s_mul_i32 s12, s12, s4
	v_lshlrev_b32_e32 v6, 10, v141
	v_or_b32_e32 v1, s31, v5
	s_lshl_b64 s[12:13], s[12:13], 1
	v_lshlrev_b32_e32 v5, 6, v5
	v_lshlrev_b32_e32 v7, 10, v139
	v_and_b32_e32 v6, 0x3800, v6
	v_lshlrev_b32_e32 v1, 7, v1
	s_delay_alu instid0(VALU_DEP_2) | instskip(NEXT) | instid1(VALU_DEP_2)
	v_or3_b32 v5, v6, v7, v5
	v_ashrrev_i32_e32 v2, 31, v1
	s_delay_alu instid0(VALU_DEP_1) | instskip(SKIP_3) | instid1(VALU_DEP_1)
	v_lshlrev_b64 v[1:2], 1, v[1:2]
	s_waitcnt lgkmcnt(0)
	s_add_u32 s4, s16, s12
	s_addc_u32 s12, s17, s13
	v_add_co_u32 v1, vcc_lo, s4, v1
	s_delay_alu instid0(VALU_DEP_2) | instskip(NEXT) | instid1(VALU_DEP_2)
	v_add_co_ci_u32_e32 v2, vcc_lo, s12, v2, vcc_lo
	v_add_co_u32 v1, vcc_lo, v1, v137
	s_delay_alu instid0(VALU_DEP_2)
	v_add_co_ci_u32_e32 v2, vcc_lo, 0, v2, vcc_lo
	global_load_b128 v[1:4], v[1:2], off
	s_waitcnt vmcnt(0)
	ds_store_b128 v5, v[1:4]
.LBB277_10:
	s_or_b32 exec_lo, exec_lo, s7
	s_mov_b32 s40, 0
	s_add_i32 s4, s28, 15
	s_mov_b32 s41, s40
	s_mov_b32 s42, s40
	;; [unrolled: 1-line block ×7, first 2 shown]
	s_delay_alu instid0(SALU_CYCLE_1)
	v_dual_mov_b32 v136, s47 :: v_dual_and_b32 v1, 0xef, v0
	v_mov_b32_e32 v134, s45
	s_clause 0x1
	s_load_b32 s7, s[0:1], 0x38
	s_load_b32 s33, s[0:1], 0x98
	v_add_nc_u32_e32 v1, s29, v1
	s_ashr_i32 s12, s4, 31
	s_load_b32 s34, s[0:1], 0x1c
	s_lshr_b32 s12, s12, 28
	s_waitcnt lgkmcnt(0)
	v_ashrrev_i32_e32 v2, 31, v1
	s_add_i32 s4, s4, s12
	v_cmp_gt_i32_e32 vcc_lo, s28, v1
	v_mov_b32_e32 v135, s46
	s_ashr_i32 s4, s4, 4
	v_lshrrev_b32_e32 v3, 28, v2
	v_or_b32_e32 v2, 16, v1
	s_add_i32 s4, s4, -1
	v_mov_b32_e32 v132, s43
	s_barrier
	v_add_nc_u32_e32 v4, v1, v3
	v_add_nc_u32_e32 v3, v2, v3
	buffer_gl0_inv
	v_lshlrev_b32_e32 v106, 5, v141
	s_mul_i32 s12, s30, s7
	v_ashrrev_i32_e32 v4, 4, v4
	v_ashrrev_i32_e32 v3, 4, v3
	s_ashr_i32 s13, s12, 31
	v_and_b32_e32 v105, 3, v0
	s_lshl_b64 s[12:13], s[12:13], 2
	v_cndmask_b32_e32 v1, s4, v4, vcc_lo
	v_cmp_gt_i32_e32 vcc_lo, s28, v2
	s_add_u32 s35, s2, s12
	s_addc_u32 s36, s3, s13
	s_mul_i32 s2, s15, s6
	v_ashrrev_i32_e32 v2, 31, v1
	v_cndmask_b32_e32 v3, s4, v3, vcc_lo
	s_ashr_i32 s3, s2, 31
	v_lshlrev_b32_e32 v215, 6, v105
	s_lshl_b64 s[2:3], s[2:3], 1
	v_lshlrev_b64 v[1:2], 2, v[1:2]
	v_ashrrev_i32_e32 v4, 31, v3
	s_add_u32 s22, s8, s2
	s_addc_u32 s23, s9, s3
	s_lshl_b32 s6, s14, 4
	v_lshl_or_b32 v125, v140, 9, v106
	v_lshlrev_b64 v[3:4], 2, v[3:4]
	v_add_co_u32 v1, vcc_lo, s35, v1
	v_add_co_ci_u32_e32 v2, vcc_lo, s36, v2, vcc_lo
	s_ashr_i32 s7, s6, 31
	s_delay_alu instid0(VALU_DEP_3) | instskip(NEXT) | instid1(VALU_DEP_4)
	v_add_co_u32 v3, vcc_lo, s35, v3
	v_add_co_ci_u32_e32 v4, vcc_lo, s36, v4, vcc_lo
	s_clause 0x1
	global_load_b32 v5, v[1:2], off
	global_load_b32 v6, v[3:4], off
	s_lshl_b64 s[6:7], s[6:7], 2
	v_dual_mov_b32 v130, s41 :: v_dual_lshlrev_b32 v3, 4, v0
	s_add_u32 s6, s35, s6
	s_addc_u32 s7, s36, s7
	s_or_b32 s8, s29, 16
	v_mov_b32_e32 v133, s44
	s_ashr_i32 s9, s8, 4
	s_cmp_lt_i32 s8, s28
	v_mov_b32_e32 v131, s42
	s_cselect_b32 s8, s9, s4
	v_mov_b32_e32 v129, s40
	s_ashr_i32 s9, s8, 31
	s_delay_alu instid0(SALU_CYCLE_1) | instskip(NEXT) | instid1(SALU_CYCLE_1)
	s_lshl_b64 s[8:9], s[8:9], 2
	s_add_u32 s8, s35, s8
	s_addc_u32 s9, s36, s9
	s_or_b32 s12, s29, 32
	s_delay_alu instid0(SALU_CYCLE_1) | instskip(SKIP_2) | instid1(SALU_CYCLE_1)
	s_ashr_i32 s13, s12, 4
	s_cmp_lt_i32 s12, s28
	s_cselect_b32 s12, s13, s4
	s_ashr_i32 s13, s12, 31
	s_delay_alu instid0(SALU_CYCLE_1) | instskip(NEXT) | instid1(SALU_CYCLE_1)
	s_lshl_b64 s[12:13], s[12:13], 2
	s_add_u32 s12, s35, s12
	s_addc_u32 s13, s36, s13
	s_or_b32 s15, s29, 48
	s_delay_alu instid0(SALU_CYCLE_1) | instskip(SKIP_2) | instid1(SALU_CYCLE_1)
	s_ashr_i32 s16, s15, 4
	s_cmp_lt_i32 s15, s28
	s_cselect_b32 s16, s16, s4
	;; [unrolled: 10-line block ×4, first 2 shown]
	s_ashr_i32 s21, s20, 31
	s_delay_alu instid0(SALU_CYCLE_1) | instskip(NEXT) | instid1(SALU_CYCLE_1)
	s_lshl_b64 s[20:21], s[20:21], 2
	s_add_u32 s20, s35, s20
	s_addc_u32 s21, s36, s21
	s_clause 0x5
	s_load_b32 s6, s[6:7], 0x0
	s_load_b32 s8, s[8:9], 0x0
	;; [unrolled: 1-line block ×6, first 2 shown]
	s_waitcnt vmcnt(1)
	v_mad_i64_i32 v[1:2], null, v5, s5, 0
	v_and_b32_e32 v5, 0xf0, v3
	s_waitcnt vmcnt(0)
	v_mad_i64_i32 v[3:4], null, v6, s5, 0
	s_delay_alu instid0(VALU_DEP_2) | instskip(NEXT) | instid1(VALU_DEP_4)
	v_add_co_u32 v5, s7, s22, v5
	v_lshlrev_b64 v[1:2], 1, v[1:2]
	v_add_co_ci_u32_e64 v6, null, s23, 0, s7
	s_delay_alu instid0(VALU_DEP_4) | instskip(SKIP_1) | instid1(VALU_DEP_3)
	v_lshlrev_b64 v[3:4], 1, v[3:4]
	s_or_b32 s7, s29, 0x60
	v_add_co_u32 v121, vcc_lo, v5, v1
	s_delay_alu instid0(VALU_DEP_3) | instskip(NEXT) | instid1(VALU_DEP_3)
	v_add_co_ci_u32_e32 v122, vcc_lo, v6, v2, vcc_lo
	v_add_co_u32 v123, vcc_lo, v5, v3
	s_delay_alu instid0(VALU_DEP_4)
	v_add_co_ci_u32_e32 v124, vcc_lo, v6, v4, vcc_lo
	s_clause 0x19
	global_load_b128 v[89:92], v[121:122], off
	global_load_b128 v[93:96], v[121:122], off offset:256
	global_load_b128 v[97:100], v[123:124], off
	global_load_b128 v[101:104], v[123:124], off offset:256
	global_load_b128 v[81:84], v[121:122], off offset:512
	;; [unrolled: 1-line block ×23, first 2 shown]
	s_ashr_i32 s9, s7, 4
	s_cmp_lt_i32 s7, s28
	ds_load_b128 v[105:108], v215
	ds_load_b128 v[109:112], v215 offset:1024
	s_cselect_b32 s20, s9, s4
	ds_load_b128 v[113:116], v215 offset:2048
	ds_load_b128 v[117:120], v215 offset:3072
	s_ashr_i32 s21, s20, 31
	ds_load_b128 v[143:146], v215 offset:4096
	ds_load_b128 v[147:150], v215 offset:5120
	s_lshl_b64 s[20:21], s[20:21], 2
	ds_load_b128 v[151:154], v215 offset:6144
	ds_load_b128 v[155:158], v215 offset:7168
	s_add_u32 s20, s35, s20
	s_addc_u32 s21, s36, s21
	s_or_b32 s7, s29, 0x70
	ds_load_b128 v[159:162], v215 offset:8192
	ds_load_b128 v[163:166], v215 offset:9216
	s_ashr_i32 s9, s7, 4
	s_cmp_lt_i32 s7, s28
	s_clause 0x1
	global_load_b128 v[167:170], v[123:124], off offset:3072
	global_load_b128 v[171:174], v[123:124], off offset:3328
	s_cselect_b32 s22, s9, s4
	s_delay_alu instid0(SALU_CYCLE_1) | instskip(NEXT) | instid1(SALU_CYCLE_1)
	s_ashr_i32 s23, s22, 31
	s_lshl_b64 s[22:23], s[22:23], 2
	s_delay_alu instid0(SALU_CYCLE_1)
	s_add_u32 s22, s35, s22
	s_addc_u32 s23, s36, s23
	s_clause 0x1
	s_load_b32 s44, s[20:21], 0x0
	s_load_b32 s45, s[22:23], 0x0
	s_clause 0x3
	global_load_b128 v[175:178], v[121:122], off offset:3584
	global_load_b128 v[179:182], v[121:122], off offset:3840
	;; [unrolled: 1-line block ×4, first 2 shown]
	s_or_b32 s7, s29, 0x80
	s_delay_alu instid0(SALU_CYCLE_1) | instskip(SKIP_2) | instid1(SALU_CYCLE_1)
	s_ashr_i32 s9, s7, 4
	s_cmp_lt_i32 s7, s28
	s_cselect_b32 s24, s9, s4
	s_ashr_i32 s25, s24, 31
	s_delay_alu instid0(SALU_CYCLE_1) | instskip(NEXT) | instid1(SALU_CYCLE_1)
	s_lshl_b64 s[24:25], s[24:25], 2
	s_add_u32 s24, s35, s24
	s_addc_u32 s25, s36, s25
	s_or_b32 s7, s29, 0x90
	s_delay_alu instid0(SALU_CYCLE_1) | instskip(SKIP_2) | instid1(SALU_CYCLE_1)
	s_ashr_i32 s9, s7, 4
	s_cmp_lt_i32 s7, s28
	s_cselect_b32 s26, s9, s4
	s_ashr_i32 s27, s26, 31
	s_delay_alu instid0(SALU_CYCLE_1) | instskip(NEXT) | instid1(SALU_CYCLE_1)
	s_lshl_b64 s[26:27], s[26:27], 2
	s_add_u32 s26, s35, s26
	s_addc_u32 s27, s36, s27
	s_or_b32 s7, s29, 0xa0
	s_delay_alu instid0(SALU_CYCLE_1)
	s_ashr_i32 s9, s7, 4
	s_cmp_lt_i32 s7, s28
	s_waitcnt lgkmcnt(0)
	s_mul_hi_i32 s7, s6, s5
	s_cselect_b32 s38, s9, s4
	s_mul_i32 s6, s6, s5
	s_ashr_i32 s39, s38, 31
	s_delay_alu instid0(SALU_CYCLE_1) | instskip(NEXT) | instid1(SALU_CYCLE_1)
	s_lshl_b64 s[38:39], s[38:39], 2
	s_add_u32 s38, s35, s38
	s_addc_u32 s39, s36, s39
	s_or_b32 s9, s29, 0xb0
	s_load_b32 s39, s[38:39], 0x0
	s_ashr_i32 s13, s9, 4
	s_cmp_lt_i32 s9, s28
	s_mul_hi_i32 s9, s8, s5
	s_cselect_b32 s40, s13, s4
	s_mul_i32 s8, s8, s5
	s_ashr_i32 s41, s40, 31
	s_mul_hi_i32 s13, s12, s5
	s_lshl_b64 s[40:41], s[40:41], 2
	s_mul_i32 s12, s12, s5
	s_add_u32 s42, s35, s40
	s_addc_u32 s43, s36, s41
	s_or_b32 s17, s29, 0xc0
	s_delay_alu instid0(SALU_CYCLE_1)
	s_ashr_i32 s19, s17, 4
	s_cmp_lt_i32 s17, s28
	s_mul_hi_i32 s17, s16, s5
	s_cselect_b32 s40, s19, s4
	s_mul_i32 s16, s16, s5
	s_ashr_i32 s41, s40, 31
	s_mul_hi_i32 s19, s18, s5
	s_lshl_b64 s[40:41], s[40:41], 2
	s_mul_i32 s18, s18, s5
	s_add_u32 s22, s35, s40
	s_addc_u32 s23, s36, s41
	s_or_b32 s20, s29, 0xd0
	s_clause 0x1
	s_load_b32 s41, s[24:25], 0x0
	s_load_b32 s40, s[26:27], 0x0
	s_ashr_i32 s21, s20, 4
	s_cmp_lt_i32 s20, s28
	s_mul_i32 s20, s15, s5
	s_cselect_b32 s24, s21, s4
	s_mul_hi_i32 s21, s15, s5
	s_ashr_i32 s25, s24, 31
	s_delay_alu instid0(SALU_CYCLE_1) | instskip(NEXT) | instid1(SALU_CYCLE_1)
	s_lshl_b64 s[24:25], s[24:25], 2
	s_add_u32 s24, s35, s24
	s_addc_u32 s25, s36, s25
	s_or_b32 s46, s29, 0xe0
	s_clause 0x2
	s_load_b32 s38, s[42:43], 0x0
	s_load_b32 s37, s[22:23], 0x0
	;; [unrolled: 1-line block ×3, first 2 shown]
	s_ashr_i32 s47, s46, 4
	s_cmp_lt_i32 s46, s28
	s_mul_hi_i32 s23, s44, s5
	s_cselect_b32 s42, s47, s4
	s_mul_i32 s22, s44, s5
	s_ashr_i32 s43, s42, 31
	s_mul_hi_i32 s25, s45, s5
	s_lshl_b64 s[42:43], s[42:43], 2
	s_mul_i32 s24, s45, s5
	s_add_u32 s42, s35, s42
	s_addc_u32 s43, s36, s43
	s_or_b32 s46, s29, 0xf0
	s_waitcnt lgkmcnt(0)
	s_mul_hi_i32 s27, s41, s5
	s_ashr_i32 s47, s46, 4
	s_cmp_lt_i32 s46, s28
	s_mul_i32 s26, s41, s5
	s_cselect_b32 s46, s47, s4
	s_mul_hi_i32 s41, s40, s5
	s_ashr_i32 s47, s46, 31
	s_mul_hi_i32 s51, s15, s5
	s_lshl_b64 s[46:47], s[46:47], 2
	s_mul_i32 s50, s15, s5
	s_add_u32 s46, s35, s46
	s_addc_u32 s47, s36, s47
	s_add_u32 s4, s10, s2
	s_addc_u32 s15, s11, s3
	v_add_co_u32 v216, s4, s4, v125
	s_delay_alu instid0(VALU_DEP_1) | instskip(SKIP_2) | instid1(VALU_DEP_2)
	v_add_co_ci_u32_e64 v217, null, s15, 0, s4
	s_lshl_b64 s[2:3], s[6:7], 1
	s_lshl_b64 s[6:7], s[8:9], 1
	v_add_co_u32 v125, vcc_lo, v216, s2
	s_delay_alu instid0(VALU_DEP_2)
	v_add_co_ci_u32_e32 v126, vcc_lo, s3, v217, vcc_lo
	v_add_co_u32 v199, vcc_lo, v216, s6
	s_lshl_b64 s[8:9], s[12:13], 1
	v_add_co_ci_u32_e32 v200, vcc_lo, s7, v217, vcc_lo
	s_lshl_b64 s[10:11], s[16:17], 1
	s_lshl_b64 s[12:13], s[18:19], 1
	;; [unrolled: 1-line block ×6, first 2 shown]
	s_mul_i32 s40, s40, s5
	s_mul_hi_i32 s45, s39, s5
	s_lshl_b64 s[24:25], s[40:41], 1
	s_mul_i32 s44, s39, s5
	s_mul_hi_i32 s39, s38, s5
	s_lshl_b64 s[26:27], s[44:45], 1
	s_mul_i32 s38, s38, s5
	s_mul_hi_i32 s49, s37, s5
	s_mul_i32 s48, s37, s5
	s_lshl_b64 s[36:37], s[38:39], 1
	s_lshl_b64 s[38:39], s[48:49], 1
	s_clause 0x1
	s_load_b32 s4, s[42:43], 0x0
	s_load_b32 s15, s[46:47], 0x0
	s_lshl_b64 s[40:41], s[50:51], 1
	s_waitcnt lgkmcnt(0)
	s_mul_hi_i32 s3, s4, s5
	s_mul_i32 s2, s4, s5
	s_mul_hi_i32 s7, s15, s5
	s_lshl_b64 s[2:3], s[2:3], 1
	s_mul_i32 s6, s15, s5
	s_waitcnt vmcnt(30)
	v_wmma_f32_16x16x16_f16 v[191:198], v[89:96], v[105:112], v[129:136]
	v_add_co_u32 v89, vcc_lo, v216, s8
	v_add_co_ci_u32_e32 v90, vcc_lo, s9, v217, vcc_lo
	v_add_co_u32 v91, vcc_lo, v216, s10
	v_add_co_ci_u32_e32 v92, vcc_lo, s11, v217, vcc_lo
	;; [unrolled: 2-line block ×5, first 2 shown]
	v_add_co_u32 v205, vcc_lo, v216, s20
	s_waitcnt vmcnt(28)
	v_wmma_f32_16x16x16_f16 v[129:136], v[97:104], v[105:112], v[129:136]
	v_add_co_ci_u32_e32 v206, vcc_lo, s21, v217, vcc_lo
	v_add_co_u32 v207, vcc_lo, v216, s22
	v_add_co_ci_u32_e32 v208, vcc_lo, s23, v217, vcc_lo
	v_add_co_u32 v209, vcc_lo, v216, s24
	s_waitcnt vmcnt(26)
	v_wmma_f32_16x16x16_f16 v[191:198], v[81:88], v[113:120], v[191:198]
	s_waitcnt vmcnt(24)
	v_wmma_f32_16x16x16_f16 v[129:136], v[73:80], v[113:120], v[129:136]
	v_add_co_ci_u32_e32 v210, vcc_lo, s25, v217, vcc_lo
	v_add_co_u32 v211, vcc_lo, v216, s26
	v_add_co_ci_u32_e32 v212, vcc_lo, s27, v217, vcc_lo
	v_add_co_u32 v213, vcc_lo, v216, s36
	s_waitcnt vmcnt(22)
	v_wmma_f32_16x16x16_f16 v[191:198], v[65:72], v[143:150], v[191:198]
	s_waitcnt vmcnt(20)
	v_wmma_f32_16x16x16_f16 v[129:136], v[57:64], v[143:150], v[129:136]
	v_add_co_ci_u32_e32 v214, vcc_lo, s37, v217, vcc_lo
	v_add_co_u32 v143, vcc_lo, v216, s38
	s_waitcnt vmcnt(18)
	v_wmma_f32_16x16x16_f16 v[191:198], v[49:56], v[151:158], v[191:198]
	s_waitcnt vmcnt(16)
	v_wmma_f32_16x16x16_f16 v[129:136], v[25:32], v[151:158], v[129:136]
	v_add_co_ci_u32_e32 v144, vcc_lo, s39, v217, vcc_lo
	s_clause 0x15
	global_load_b128 v[121:124], v[125:126], off
	global_load_b128 v[125:128], v[125:126], off offset:16
	global_load_b128 v[113:116], v[199:200], off
	global_load_b128 v[117:120], v[199:200], off offset:16
	;; [unrolled: 2-line block ×11, first 2 shown]
	s_waitcnt vmcnt(36)
	v_wmma_f32_16x16x16_f16 v[191:198], v[1:8], v[159:166], v[191:198]
	s_clause 0x1
	global_load_b128 v[1:4], v[213:214], off
	global_load_b128 v[5:8], v[213:214], off offset:16
	s_waitcnt vmcnt(36)
	v_wmma_f32_16x16x16_f16 v[129:136], v[9:16], v[159:166], v[129:136]
	s_clause 0x1
	global_load_b128 v[9:12], v[143:144], off
	global_load_b128 v[13:16], v[143:144], off offset:16
	ds_load_b128 v[143:146], v215 offset:10240
	ds_load_b128 v[147:150], v215 offset:11264
	;; [unrolled: 1-line block ×4, first 2 shown]
	v_add_co_u32 v199, vcc_lo, v216, s40
	v_add_co_ci_u32_e32 v200, vcc_lo, s41, v217, vcc_lo
	v_add_co_u32 v159, vcc_lo, v216, s2
	v_add_co_ci_u32_e32 v160, vcc_lo, s3, v217, vcc_lo
	s_lshl_b64 s[2:3], s[6:7], 1
	s_delay_alu instid0(SALU_CYCLE_1)
	v_add_co_u32 v161, vcc_lo, v216, s2
	v_add_co_ci_u32_e32 v162, vcc_lo, s3, v217, vcc_lo
	s_waitcnt vmcnt(36) lgkmcnt(2)
	v_wmma_f32_16x16x16_f16 v[191:198], v[41:48], v[143:150], v[191:198]
	s_waitcnt vmcnt(34)
	v_wmma_f32_16x16x16_f16 v[129:136], v[33:40], v[143:150], v[129:136]
	s_clause 0x3
	global_load_b128 v[33:36], v[199:200], off
	global_load_b128 v[37:40], v[199:200], off offset:16
	global_load_b128 v[41:44], v[159:160], off
	global_load_b128 v[45:48], v[159:160], off offset:16
	v_and_b32_e32 v143, 0xe0, v0
	v_mbcnt_lo_u32_b32 v159, -1, 0
	s_waitcnt vmcnt(36) lgkmcnt(0)
	v_wmma_f32_16x16x16_f16 v[191:198], v[17:24], v[151:158], v[191:198]
	s_clause 0x1
	global_load_b128 v[17:20], v[161:162], off
	global_load_b128 v[21:24], v[161:162], off offset:16
	s_waitcnt vmcnt(36)
	v_wmma_f32_16x16x16_f16 v[129:136], v[167:174], v[151:158], v[129:136]
	v_add_nc_u32_e32 v160, s29, v143
	ds_load_b128 v[143:146], v215 offset:14336
	ds_load_b128 v[147:150], v215 offset:15360
	v_xor_b32_e32 v151, 16, v159
	s_waitcnt vmcnt(0) lgkmcnt(0)
	s_barrier
	v_or_b32_e32 v152, v160, v138
	buffer_gl0_inv
	v_cmp_gt_i32_e32 vcc_lo, 32, v151
	v_or_b32_e32 v153, 2, v152
	v_or_b32_e32 v154, 4, v152
	v_or_b32_e32 v155, 6, v152
	v_or_b32_e32 v156, 8, v152
	v_or_b32_e32 v157, 10, v152
	v_cmp_gt_i32_e64 s2, s28, v153
	v_cmp_gt_i32_e64 s3, s28, v154
	;; [unrolled: 1-line block ×3, first 2 shown]
	v_or_b32_e32 v158, 12, v152
	v_cmp_gt_i32_e64 s5, s28, v156
	v_cmp_gt_i32_e64 s6, s28, v157
	v_wmma_f32_16x16x16_f16 v[191:198], v[175:182], v[143:150], v[191:198]
	v_wmma_f32_16x16x16_f16 v[129:136], v[183:190], v[143:150], v[129:136]
	v_cndmask_b32_e32 v151, v159, v151, vcc_lo
	v_cmp_gt_i32_e32 vcc_lo, s28, v152
	v_or_b32_e32 v159, 14, v152
	v_dual_mul_f32 v149, s34, v192 :: v_dual_mul_f32 v150, s34, v191
	v_dual_mul_f32 v147, s34, v194 :: v_dual_mul_f32 v148, s34, v193
	;; [unrolled: 1-line block ×3, first 2 shown]
	s_delay_alu instid0(VALU_DEP_3) | instskip(NEXT) | instid1(VALU_DEP_4)
	v_cndmask_b32_e32 v150, 0xff7fffff, v150, vcc_lo
	v_cndmask_b32_e64 v149, 0xff7fffff, v149, s2
	v_mul_f32_e32 v146, s34, v195
	v_cndmask_b32_e64 v148, 0xff7fffff, v148, s3
	v_cndmask_b32_e64 v147, 0xff7fffff, v147, s4
	v_or_b32_e32 v160, 16, v152
	v_max3_f32 v149, v150, 0xff7fffff, v149
	v_or_b32_e32 v161, 18, v152
	v_mul_f32_e32 v144, s34, v197
	v_dual_mul_f32 v172, s34, v132 :: v_dual_mul_f32 v143, s34, v198
	v_cndmask_b32_e64 v146, 0xff7fffff, v146, s5
	v_cndmask_b32_e64 v145, 0xff7fffff, v145, s6
	v_max3_f32 v147, v149, v148, v147
	v_cmp_gt_i32_e64 s7, s28, v158
	v_cmp_gt_i32_e64 s8, s28, v159
	v_or_b32_e32 v162, 20, v152
	v_or_b32_e32 v163, 22, v152
	v_mul_f32_e32 v175, s34, v129
	v_cndmask_b32_e64 v144, 0xff7fffff, v144, s7
	v_max3_f32 v145, v147, v146, v145
	v_cmp_gt_i32_e64 s9, s28, v160
	v_cmp_gt_i32_e64 s10, s28, v161
	v_lshlrev_b32_e32 v160, 2, v151
	v_cndmask_b32_e64 v143, 0xff7fffff, v143, s8
	v_or_b32_e32 v164, 24, v152
	v_or_b32_e32 v165, 26, v152
	v_mul_f32_e32 v173, s34, v131
	v_cndmask_b32_e64 v146, 0xff7fffff, v175, s9
	v_cndmask_b32_e64 v147, 0xff7fffff, v174, s10
	v_max3_f32 v143, v145, v144, v143
	v_cmp_gt_i32_e64 s11, s28, v162
	v_cmp_gt_i32_e64 s12, s28, v163
	v_or_b32_e32 v166, 28, v152
	v_or_b32_e32 v167, 30, v152
	v_dual_mul_f32 v170, s34, v134 :: v_dual_mul_f32 v171, s34, v133
	v_cndmask_b32_e64 v144, 0xff7fffff, v173, s11
	v_cndmask_b32_e64 v145, 0xff7fffff, v172, s12
	v_max3_f32 v143, v143, v146, v147
	v_cmp_gt_i32_e64 s13, s28, v164
	v_cmp_gt_i32_e64 s15, s28, v165
	v_dual_mul_f32 v168, s34, v136 :: v_dual_mul_f32 v169, s34, v135
	s_delay_alu instid0(VALU_DEP_4) | instskip(NEXT) | instid1(VALU_DEP_4)
	v_max3_f32 v143, v143, v144, v145
	v_cndmask_b32_e64 v146, 0xff7fffff, v171, s13
	s_delay_alu instid0(VALU_DEP_4) | instskip(SKIP_2) | instid1(VALU_DEP_3)
	v_cndmask_b32_e64 v147, 0xff7fffff, v170, s15
	v_cmp_gt_i32_e64 s16, s28, v166
	v_cmp_gt_i32_e64 s17, s28, v167
	v_max3_f32 v143, v143, v146, v147
	s_delay_alu instid0(VALU_DEP_3) | instskip(NEXT) | instid1(VALU_DEP_3)
	v_cndmask_b32_e64 v144, 0xff7fffff, v169, s16
	v_cndmask_b32_e64 v145, 0xff7fffff, v168, s17
	s_delay_alu instid0(VALU_DEP_1) | instskip(SKIP_3) | instid1(VALU_DEP_1)
	v_max3_f32 v143, v143, v144, v145
	ds_bpermute_b32 v144, v160, v143
	s_waitcnt lgkmcnt(0)
	v_max_f32_e32 v144, v144, v144
	v_max_f32_e32 v159, v143, v144
	s_delay_alu instid0(VALU_DEP_1) | instskip(SKIP_4) | instid1(VALU_DEP_4)
	v_fma_f32 v145, s34, v193, -v159
	v_fma_f32 v146, s34, v194, -v159
	v_fma_f32 v132, s34, v132, -v159
	v_fma_f32 v143, s34, v191, -v159
	v_fma_f32 v144, s34, v192, -v159
	v_dual_mul_f32 v145, 0x3fb8aa3b, v145 :: v_dual_mul_f32 v146, 0x3fb8aa3b, v146
	s_delay_alu instid0(VALU_DEP_4) | instskip(SKIP_1) | instid1(VALU_DEP_4)
	v_mul_f32_e32 v132, 0x3fb8aa3b, v132
	v_fma_f32 v148, s34, v195, -v159
	v_mul_f32_e32 v144, 0x3fb8aa3b, v144
	s_delay_alu instid0(VALU_DEP_4)
	v_exp_f32_e32 v145, v145
	v_exp_f32_e32 v150, v146
	v_fma_f32 v149, s34, v196, -v159
	v_mul_f32_e32 v148, 0x3fb8aa3b, v148
	v_exp_f32_e32 v147, v144
	v_fma_f32 v134, s34, v134, -v159
	v_fma_f32 v151, s34, v197, -v159
	v_mul_f32_e32 v149, 0x3fb8aa3b, v149
	v_exp_f32_e32 v148, v148
	v_fma_f32 v152, s34, v198, -v159
	v_cndmask_b32_e64 v146, 0, v145, s3
	v_cndmask_b32_e64 v145, 0, v150, s4
	v_dual_mul_f32 v143, 0x3fb8aa3b, v143 :: v_dual_mul_f32 v134, 0x3fb8aa3b, v134
	v_mul_f32_e32 v151, 0x3fb8aa3b, v151
	v_exp_f32_e32 v149, v149
	v_fma_f32 v129, s34, v129, -v159
	s_delay_alu instid0(VALU_DEP_3)
	v_exp_f32_e32 v143, v143
	v_mul_f32_e32 v150, 0x3fb8aa3b, v152
	v_exp_f32_e32 v151, v151
	v_cndmask_b32_e64 v148, 0, v148, s5
	v_fma_f32 v130, s34, v130, -v159
	v_mul_f32_e32 v129, 0x3fb8aa3b, v129
	v_exp_f32_e32 v153, v150
	v_fma_f32 v131, s34, v131, -v159
	v_fma_f32 v133, s34, v133, -v159
	v_mul_f32_e32 v130, 0x3fb8aa3b, v130
	v_cndmask_b32_e32 v144, 0, v143, vcc_lo
	v_cndmask_b32_e64 v143, 0, v147, s2
	v_exp_f32_e32 v129, v129
	v_cndmask_b32_e64 v150, 0, v151, s7
	v_mul_f32_e32 v131, 0x3fb8aa3b, v131
	v_add_f32_e32 v147, 0, v144
	v_exp_f32_e32 v130, v130
	v_mul_f32_e32 v133, 0x3fb8aa3b, v133
	v_exp_f32_e32 v132, v132
	v_exp_f32_e32 v131, v131
	v_add_f32_e32 v147, v147, v143
	s_mov_b32 s2, exec_lo
	v_exp_f32_e32 v133, v133
	s_delay_alu instid0(VALU_DEP_1)
	v_add_f32_e32 v147, v147, v146
	s_waitcnt_depctr 0xfff
	v_cndmask_b32_e64 v154, 0, v131, s11
	v_add_f32_e32 v152, v147, v145
	v_cndmask_b32_e64 v147, 0, v149, s6
	v_exp_f32_e32 v131, v134
	v_cndmask_b32_e64 v156, 0, v133, s13
	s_delay_alu instid0(VALU_DEP_3) | instskip(SKIP_1) | instid1(VALU_DEP_2)
	v_add_f32_e32 v149, v152, v148
	v_cndmask_b32_e64 v152, 0, v129, s9
	v_add_f32_e32 v151, v149, v147
	v_cndmask_b32_e64 v149, 0, v153, s8
	v_cndmask_b32_e64 v153, 0, v132, s12
	v_fma_f32 v132, s34, v136, -v159
	s_delay_alu instid0(TRANS32_DEP_1) | instskip(NEXT) | instid1(VALU_DEP_2)
	v_cndmask_b32_e64 v155, 0, v131, s15
	v_dual_add_f32 v151, v151, v150 :: v_dual_mul_f32 v132, 0x3fb8aa3b, v132
	s_delay_alu instid0(VALU_DEP_1) | instskip(SKIP_2) | instid1(VALU_DEP_4)
	v_add_f32_e32 v129, v151, v149
	v_cndmask_b32_e64 v151, 0, v130, s10
	v_fma_f32 v130, s34, v135, -v159
	v_exp_f32_e32 v131, v132
	s_delay_alu instid0(VALU_DEP_1) | instskip(NEXT) | instid1(VALU_DEP_1)
	v_dual_add_f32 v129, v129, v152 :: v_dual_mul_f32 v130, 0x3fb8aa3b, v130
	v_add_f32_e32 v129, v129, v151
	s_delay_alu instid0(VALU_DEP_2) | instskip(SKIP_3) | instid1(VALU_DEP_1)
	v_exp_f32_e32 v130, v130
	s_waitcnt_depctr 0xfff
	v_cndmask_b32_e64 v157, 0, v131, s17
	v_add_f32_e32 v129, v129, v154
	v_add_f32_e32 v129, v129, v153
	v_cndmask_b32_e64 v158, 0, v130, s16
	s_delay_alu instid0(VALU_DEP_2) | instskip(NEXT) | instid1(VALU_DEP_1)
	v_add_f32_e32 v129, v129, v156
	v_add_f32_e32 v129, v129, v155
	s_delay_alu instid0(VALU_DEP_1) | instskip(NEXT) | instid1(VALU_DEP_1)
	v_add_f32_e32 v129, v129, v158
	v_add_f32_e32 v129, v129, v157
	ds_bpermute_b32 v130, v160, v129
	v_cmpx_gt_u32_e32 16, v142
	s_cbranch_execz .LBB277_12
; %bb.11:
	v_mul_u32_u24_e32 v131, 0x44, v140
	s_delay_alu instid0(VALU_DEP_1) | instskip(SKIP_1) | instid1(VALU_DEP_1)
	v_lshl_add_u32 v131, v141, 2, v131
	s_waitcnt lgkmcnt(0)
	v_dual_add_f32 v129, v129, v130 :: v_dual_add_nc_u32 v130, 0x4000, v131
	ds_store_2addr_b32 v130, v159, v129 offset1:136
.LBB277_12:
	s_or_b32 exec_lo, exec_lo, s2
	v_lshlrev_b32_e32 v129, 2, v141
	s_load_b32 s34, s[0:1], 0x94
	s_waitcnt lgkmcnt(0)
	s_barrier
	buffer_gl0_inv
	v_add_nc_u32_e32 v135, 0x4000, v129
	v_cmp_eq_u32_e32 vcc_lo, 1, v140
	v_cmp_eq_u32_e64 s2, 2, v140
	v_cmp_eq_u32_e64 s3, 3, v140
	;; [unrolled: 1-line block ×3, first 2 shown]
	ds_load_2addr_b32 v[129:130], v135 offset1:17
	ds_load_2addr_b32 v[131:132], v135 offset0:34 offset1:51
	ds_load_2addr_b32 v[133:134], v135 offset0:68 offset1:85
	;; [unrolled: 1-line block ×3, first 2 shown]
	v_cmp_eq_u32_e64 s5, 5, v140
	v_cmp_eq_u32_e64 s6, 7, v140
	s_waitcnt lgkmcnt(3)
	v_max3_f32 v136, v129, 0xff7fffff, v130
	s_waitcnt lgkmcnt(2)
	s_delay_alu instid0(VALU_DEP_1) | instskip(SKIP_1) | instid1(VALU_DEP_1)
	v_max3_f32 v136, v136, v131, v132
	s_waitcnt lgkmcnt(1)
	v_max3_f32 v136, v136, v133, v134
	s_waitcnt lgkmcnt(0)
	s_delay_alu instid0(VALU_DEP_1) | instskip(NEXT) | instid1(VALU_DEP_1)
	v_max3_f32 v136, v136, v159, v160
	v_sub_f32_e32 v164, v132, v136
	ds_load_2addr_b32 v[161:162], v135 offset0:136 offset1:153
	v_sub_f32_e32 v142, v130, v136
	v_sub_f32_e32 v129, v129, v136
	v_mul_f32_e32 v164, 0x3fb8aa3b, v164
	s_delay_alu instid0(VALU_DEP_2)
	v_dual_mul_f32 v142, 0x3fb8aa3b, v142 :: v_dual_mul_f32 v163, 0x3fb8aa3b, v129
	ds_load_2addr_b32 v[129:130], v135 offset0:170 offset1:187
	v_exp_f32_e32 v164, v164
	v_exp_f32_e32 v166, v142
	v_exp_f32_e32 v163, v163
	s_waitcnt lgkmcnt(1)
	s_waitcnt_depctr 0xfff
	v_fma_f32 v142, v163, v161, 0
	s_delay_alu instid0(VALU_DEP_1) | instskip(NEXT) | instid1(VALU_DEP_1)
	v_dual_sub_f32 v131, v131, v136 :: v_dual_fmac_f32 v142, v166, v162
	v_mul_f32_e32 v165, 0x3fb8aa3b, v131
	ds_load_2addr_b32 v[131:132], v135 offset0:204 offset1:221
	v_exp_f32_e32 v165, v165
	s_waitcnt lgkmcnt(1)
	s_waitcnt_depctr 0xfff
	v_dual_sub_f32 v161, v134, v136 :: v_dual_fmac_f32 v142, v165, v129
	v_sub_f32_e32 v129, v160, v136
	s_delay_alu instid0(VALU_DEP_1) | instskip(SKIP_1) | instid1(VALU_DEP_2)
	v_dual_fmac_f32 v142, v164, v130 :: v_dual_mul_f32 v129, 0x3fb8aa3b, v129
	v_cndmask_b32_e32 v130, v163, v166, vcc_lo
	v_exp_f32_e32 v162, v129
	v_sub_f32_e32 v133, v133, v136
	s_delay_alu instid0(VALU_DEP_1)
	v_mul_f32_e32 v167, 0x3fb8aa3b, v133
	ds_load_2addr_b32 v[133:134], v135 offset0:238 offset1:255
	v_sub_f32_e32 v135, v159, v136
	v_mul_f32_e32 v159, 0x3fb8aa3b, v161
	s_waitcnt lgkmcnt(0)
	v_exp_f32_e32 v161, v167
	s_barrier
	buffer_gl0_inv
	v_exp_f32_e32 v159, v159
	v_fmac_f32_e32 v142, v161, v131
	s_waitcnt_depctr 0xfff
	v_dual_mul_f32 v135, 0x3fb8aa3b, v135 :: v_dual_fmac_f32 v142, v159, v132
	s_delay_alu instid0(VALU_DEP_1) | instskip(SKIP_2) | instid1(VALU_DEP_1)
	v_exp_f32_e32 v160, v135
	s_waitcnt_depctr 0xfff
	v_fmac_f32_e32 v142, v160, v133
	v_dual_fmac_f32 v142, v162, v134 :: v_dual_lshlrev_b32 v133, 6, v141
	s_delay_alu instid0(VALU_DEP_1) | instskip(NEXT) | instid1(VALU_DEP_2)
	v_lshl_or_b32 v135, v140, 11, v133
	v_add_f32_e32 v134, 0x358637bd, v142
	s_delay_alu instid0(VALU_DEP_1) | instskip(SKIP_1) | instid1(VALU_DEP_2)
	v_div_scale_f32 v167, null, v134, v134, 1.0
	v_div_scale_f32 v163, vcc_lo, 1.0, v134, 1.0
	v_rcp_f32_e32 v168, v167
	s_waitcnt_depctr 0xfff
	v_fma_f32 v129, -v167, v168, 1.0
	s_delay_alu instid0(VALU_DEP_1) | instskip(SKIP_2) | instid1(VALU_DEP_2)
	v_fmac_f32_e32 v168, v129, v168
	v_cndmask_b32_e64 v129, v130, v165, s2
	v_cmp_eq_u32_e64 s2, 6, v140
	v_cndmask_b32_e64 v130, v129, v164, s3
	v_lshlrev_b32_e32 v129, 2, v138
	s_delay_alu instid0(VALU_DEP_2) | instskip(NEXT) | instid1(VALU_DEP_2)
	v_cndmask_b32_e64 v141, v130, v161, s4
	v_or_b32_e32 v130, 1, v129
	v_or_b32_e32 v132, 2, v129
	v_cmp_eq_u32_e64 s3, 1, v129
	v_cmp_eq_u32_e64 s4, 2, v129
	v_cndmask_b32_e64 v140, v141, v159, s5
	v_cmp_eq_u32_e64 s8, 1, v130
	v_cmp_eq_u32_e64 s9, 1, v132
	;; [unrolled: 1-line block ×4, first 2 shown]
	v_cndmask_b32_e64 v140, v140, v160, s2
	v_cmp_eq_u32_e64 s12, 3, v130
	v_cmp_eq_u32_e64 s16, 3, v132
	;; [unrolled: 1-line block ×4, first 2 shown]
	v_cndmask_b32_e64 v140, v140, v162, s6
	v_mul_f32_e32 v165, v163, v168
	v_cmp_eq_u32_e64 s5, 5, v129
	v_cmp_eq_u32_e64 s19, 5, v130
	;; [unrolled: 1-line block ×4, first 2 shown]
	v_fma_f32 v131, -v167, v165, v163
	v_cmp_eq_u32_e64 s24, 6, v130
	v_cmp_eq_u32_e64 s6, 6, v129
	;; [unrolled: 1-line block ×4, first 2 shown]
	v_fmac_f32_e32 v165, v131, v168
	v_or_b32_e32 v131, 3, v129
	v_cmp_eq_u32_e64 s7, 7, v129
	v_cmp_eq_u32_e64 s27, 7, v132
	s_delay_alu instid0(VALU_DEP_4) | instskip(NEXT) | instid1(VALU_DEP_4)
	v_fma_f32 v141, -v167, v165, v163
	v_cmp_eq_u32_e64 s10, 1, v131
	v_cmp_eq_u32_e64 s15, 2, v131
	;; [unrolled: 1-line block ×4, first 2 shown]
	v_div_fmas_f32 v141, v141, v168, v165
	v_cmp_eq_u32_e32 vcc_lo, 3, v129
	v_cmp_eq_u32_e64 s23, 5, v131
	v_cmp_eq_u32_e64 s26, 6, v131
	;; [unrolled: 1-line block ×3, first 2 shown]
	v_div_fixup_f32 v141, v141, v134, 1.0
	v_lshl_or_b32 v134, v138, 4, v135
	s_delay_alu instid0(VALU_DEP_2) | instskip(NEXT) | instid1(VALU_DEP_1)
	v_mul_f32_e32 v140, v140, v141
	v_fma_mixlo_f16 v159, v140, v144, 0
	v_fma_mixlo_f16 v160, v140, v146, 0
	;; [unrolled: 1-line block ×8, first 2 shown]
	v_fma_mixhi_f16 v159, v140, v143, 0
	v_fma_mixhi_f16 v160, v140, v145, 0
	;; [unrolled: 1-line block ×8, first 2 shown]
	ds_store_b128 v134, v[159:162]
	ds_store_b128 v134, v[163:166] offset:1024
	s_waitcnt lgkmcnt(0)
	s_barrier
	buffer_gl0_inv
	ds_load_b128 v[143:146], v135
	ds_load_b128 v[147:150], v135 offset:16
	ds_load_b128 v[151:154], v135 offset:1024
	;; [unrolled: 1-line block ×3, first 2 shown]
	s_waitcnt lgkmcnt(3)
	v_lshrrev_b32_e32 v140, 16, v143
	s_waitcnt lgkmcnt(2)
	v_lshrrev_b32_e32 v161, 16, v147
	;; [unrolled: 2-line block ×4, first 2 shown]
	v_lshrrev_b32_e32 v141, 16, v144
	v_cndmask_b32_e64 v173, v143, v140, s3
	v_cndmask_b32_e64 v174, v147, v161, s3
	v_cndmask_b32_e64 v175, v143, v140, s8
	v_cndmask_b32_e64 v176, v147, v161, s8
	v_cndmask_b32_e64 v177, v143, v140, s9
	v_cndmask_b32_e64 v140, v143, v140, s10
	v_cndmask_b32_e64 v143, v147, v161, s10
	v_lshrrev_b32_e32 v162, 16, v148
	v_cndmask_b32_e64 v178, v147, v161, s9
	v_cndmask_b32_e64 v147, v151, v165, s3
	;; [unrolled: 1-line block ×16, first 2 shown]
	v_lshrrev_b32_e32 v166, 16, v152
	v_cndmask_b32_e64 v176, v178, v148, s13
	v_cndmask_b32_e64 v144, v147, v152, s4
	;; [unrolled: 1-line block ×7, first 2 shown]
	v_cndmask_b32_e32 v155, v165, v141, vcc_lo
	v_cndmask_b32_e32 v165, v169, v162, vcc_lo
	v_cndmask_b32_e64 v169, v173, v141, s12
	v_cndmask_b32_e64 v173, v174, v162, s12
	;; [unrolled: 1-line block ×5, first 2 shown]
	v_lshrrev_b32_e32 v159, 16, v145
	v_lshrrev_b32_e32 v163, 16, v149
	v_lshrrev_b32_e32 v170, 16, v156
	v_cndmask_b32_e64 v140, v140, v145, s21
	v_cndmask_b32_e64 v141, v141, v149, s21
	;; [unrolled: 1-line block ×3, first 2 shown]
	v_cndmask_b32_e32 v143, v144, v166, vcc_lo
	v_cndmask_b32_e32 v144, v147, v170, vcc_lo
	v_cndmask_b32_e64 v147, v148, v166, s12
	v_cndmask_b32_e64 v148, v155, v145, s2
	;; [unrolled: 1-line block ×7, first 2 shown]
	v_lshrrev_b32_e32 v160, 16, v146
	v_lshrrev_b32_e32 v164, 16, v150
	;; [unrolled: 1-line block ×4, first 2 shown]
	v_cndmask_b32_e64 v169, v174, v145, s20
	v_cndmask_b32_e64 v173, v175, v149, s20
	;; [unrolled: 1-line block ×20, first 2 shown]
	v_lshrrev_b32_e32 v168, 16, v154
	v_cndmask_b32_e64 v147, v147, v146, s6
	v_cndmask_b32_e64 v148, v148, v150, s6
	;; [unrolled: 1-line block ×9, first 2 shown]
	v_perm_b32 v146, v141, v140, 0x5040100
	v_cndmask_b32_e64 v140, v182, v156, s13
	v_cndmask_b32_e64 v141, v180, v156, s11
	;; [unrolled: 1-line block ×7, first 2 shown]
	v_perm_b32 v144, v155, v149, 0x5040100
	v_cndmask_b32_e64 v143, v161, v166, s16
	v_cndmask_b32_e64 v149, v151, v166, s17
	;; [unrolled: 1-line block ×15, first 2 shown]
	v_lshrrev_b32_e32 v172, 16, v158
	v_cndmask_b32_e64 v143, v143, v154, s25
	v_cndmask_b32_e64 v149, v149, v154, s26
	;; [unrolled: 1-line block ×12, first 2 shown]
	v_perm_b32 v145, v159, v145, 0x5040100
	v_perm_b32 v143, v148, v147, 0x5040100
	v_perm_b32 v150, v151, v149, 0x5040100
	v_perm_b32 v149, v140, v152, 0x5040100
	v_perm_b32 v148, v141, v162, 0x5040100
	v_perm_b32 v147, v153, v160, 0x5040100
	s_lshl_b32 s6, s33, 2
	s_mov_b32 s2, exec_lo
	ds_store_b128 v134, v[143:146]
	ds_store_b128 v134, v[147:150] offset:1024
	v_cmpx_gt_u32_e32 4, v0
	s_cbranch_execz .LBB277_14
; %bb.13:
	v_or_b32_e32 v140, s31, v0
	s_load_b128 s[8:11], s[0:1], 0x58
	s_delay_alu instid0(VALU_DEP_1) | instskip(NEXT) | instid1(VALU_DEP_1)
	v_mad_u64_u32 v[143:144], null, s6, s30, v[140:141]
	v_mad_u64_u32 v[140:141], null, v143, s34, s[14:15]
	s_delay_alu instid0(VALU_DEP_1) | instskip(NEXT) | instid1(VALU_DEP_1)
	v_ashrrev_i32_e32 v141, 31, v140
	v_lshlrev_b64 v[140:141], 2, v[140:141]
	s_waitcnt lgkmcnt(0)
	s_delay_alu instid0(VALU_DEP_1) | instskip(NEXT) | instid1(VALU_DEP_2)
	v_add_co_u32 v143, vcc_lo, s10, v140
	v_add_co_ci_u32_e32 v144, vcc_lo, s11, v141, vcc_lo
	v_add_co_u32 v140, vcc_lo, s8, v140
	v_add_co_ci_u32_e32 v141, vcc_lo, s9, v141, vcc_lo
	global_store_b32 v[143:144], v136, off
	global_store_b32 v[140:141], v142, off
.LBB277_14:
	s_or_b32 exec_lo, exec_lo, s2
	s_waitcnt lgkmcnt(0)
	s_waitcnt_vscnt null, 0x0
	s_barrier
	buffer_gl0_inv
	ds_load_b128 v[148:151], v133
	ds_load_b128 v[152:155], v133 offset:16
	ds_load_b128 v[160:163], v133 offset:1040
	;; [unrolled: 1-line block ×5, first 2 shown]
	v_cmp_eq_u32_e32 vcc_lo, 1, v132
	v_mov_b32_e32 v140, 0
	ds_load_b128 v[176:179], v133 offset:3088
	ds_load_b128 v[172:175], v133 offset:3072
	ds_load_b128 v[184:187], v133 offset:4112
	ds_load_b128 v[180:183], v133 offset:4096
	v_cmp_eq_u32_e64 s2, 1, v129
	v_cmp_eq_u32_e64 s3, 1, v131
	;; [unrolled: 1-line block ×3, first 2 shown]
	v_mov_b32_e32 v141, v140
	v_mov_b32_e32 v142, v140
	;; [unrolled: 1-line block ×7, first 2 shown]
	v_cmp_eq_u32_e64 s5, 2, v129
	s_waitcnt lgkmcnt(8)
	s_delay_alu instid0(VALU_DEP_2)
	v_wmma_f32_16x16x16_f16 v[140:147], v[121:128], v[148:155], v[140:147]
	ds_load_b128 v[125:128], v133 offset:5136
	ds_load_b128 v[121:124], v133 offset:5120
	s_waitcnt lgkmcnt(8)
	v_wmma_f32_16x16x16_f16 v[140:147], v[113:120], v[156:163], v[140:147]
	ds_load_b128 v[117:120], v133 offset:6160
	ds_load_b128 v[113:116], v133 offset:6144
	s_waitcnt lgkmcnt(8)
	;; [unrolled: 4-line block ×11, first 2 shown]
	s_barrier
	buffer_gl0_inv
	v_wmma_f32_16x16x16_f16 v[140:147], v[1:8], v[73:80], v[140:147]
	s_delay_alu instid0(VALU_DEP_1) | instskip(NEXT) | instid1(VALU_DEP_1)
	v_wmma_f32_16x16x16_f16 v[140:147], v[9:16], v[65:72], v[140:147]
	v_wmma_f32_16x16x16_f16 v[140:147], v[33:40], v[57:64], v[140:147]
	s_delay_alu instid0(VALU_DEP_1) | instskip(NEXT) | instid1(VALU_DEP_1)
	v_wmma_f32_16x16x16_f16 v[140:147], v[41:48], v[49:56], v[140:147]
	v_wmma_f32_16x16x16_f16 v[140:147], v[17:24], v[25:32], v[140:147]
	s_delay_alu instid0(VALU_DEP_1) | instskip(NEXT) | instid1(VALU_DEP_2)
	v_cvt_f16_f32_e64 v1, v140
	v_cvt_f16_f32_e64 v2, v141
	s_delay_alu instid0(VALU_DEP_3) | instskip(NEXT) | instid1(VALU_DEP_4)
	v_cvt_f16_f32_e64 v3, v142
	v_cvt_f16_f32_e64 v4, v143
	;; [unrolled: 1-line block ×6, first 2 shown]
	v_pack_b32_f16 v1, v1, v2
	v_pack_b32_f16 v2, v3, v4
	;; [unrolled: 1-line block ×3, first 2 shown]
	s_delay_alu instid0(VALU_DEP_4)
	v_pack_b32_f16 v4, v7, v8
	ds_store_b128 v134, v[1:4]
	s_waitcnt lgkmcnt(0)
	s_barrier
	buffer_gl0_inv
	ds_load_b128 v[1:4], v135
	ds_load_b128 v[5:8], v135 offset:16
	s_waitcnt lgkmcnt(1)
	v_lshrrev_b32_e32 v9, 16, v1
	s_waitcnt lgkmcnt(0)
	v_lshrrev_b32_e32 v13, 16, v5
	v_lshrrev_b32_e32 v10, 16, v2
	;; [unrolled: 1-line block ×4, first 2 shown]
	v_cndmask_b32_e64 v17, v1, v9, s2
	v_cndmask_b32_e64 v18, v5, v13, s2
	;; [unrolled: 1-line block ×3, first 2 shown]
	v_cmp_eq_u32_e64 s2, 2, v130
	v_cndmask_b32_e64 v20, v5, v13, s4
	v_cndmask_b32_e32 v21, v1, v9, vcc_lo
	v_cndmask_b32_e32 v22, v5, v13, vcc_lo
	v_cndmask_b32_e64 v1, v1, v9, s3
	v_cndmask_b32_e64 v5, v5, v13, s3
	v_cmp_eq_u32_e32 vcc_lo, 2, v132
	v_cmp_eq_u32_e64 s3, 2, v131
	v_cndmask_b32_e64 v9, v17, v2, s5
	v_cndmask_b32_e64 v13, v18, v6, s5
	;; [unrolled: 1-line block ×4, first 2 shown]
	v_cndmask_b32_e32 v19, v21, v2, vcc_lo
	v_cmp_eq_u32_e64 s2, 3, v132
	v_cndmask_b32_e32 v20, v22, v6, vcc_lo
	v_cndmask_b32_e64 v1, v1, v2, s3
	v_cmp_eq_u32_e32 vcc_lo, 3, v131
	v_cmp_eq_u32_e64 s4, 3, v129
	v_cndmask_b32_e64 v2, v5, v6, s3
	v_cmp_eq_u32_e64 s3, 3, v130
	v_cmp_eq_u32_e64 s5, 4, v129
	v_cndmask_b32_e32 v1, v1, v10, vcc_lo
	v_cndmask_b32_e64 v5, v9, v10, s4
	v_cndmask_b32_e64 v6, v13, v14, s4
	;; [unrolled: 1-line block ×3, first 2 shown]
	v_cmp_eq_u32_e64 s4, 4, v130
	v_cndmask_b32_e64 v13, v18, v14, s3
	v_cndmask_b32_e64 v17, v19, v10, s2
	;; [unrolled: 1-line block ×3, first 2 shown]
	v_cndmask_b32_e32 v2, v2, v14, vcc_lo
	v_cmp_eq_u32_e32 vcc_lo, 4, v132
	v_cmp_eq_u32_e64 s3, 4, v131
	v_lshrrev_b32_e32 v15, 16, v7
	v_cndmask_b32_e64 v5, v5, v3, s5
	v_cndmask_b32_e64 v6, v6, v7, s5
	v_cndmask_b32_e32 v14, v18, v7, vcc_lo
	v_cndmask_b32_e64 v9, v9, v3, s4
	v_cndmask_b32_e64 v10, v13, v7, s4
	v_cndmask_b32_e32 v13, v17, v3, vcc_lo
	v_cmp_eq_u32_e64 s2, 5, v132
	v_cndmask_b32_e64 v1, v1, v3, s3
	v_cmp_eq_u32_e32 vcc_lo, 5, v131
	v_cmp_eq_u32_e64 s4, 5, v129
	v_cndmask_b32_e64 v2, v2, v7, s3
	v_cmp_eq_u32_e64 s3, 5, v130
	v_cmp_eq_u32_e64 s5, 6, v129
	v_lshrrev_b32_e32 v12, 16, v4
	v_cndmask_b32_e64 v3, v5, v11, s4
	v_cndmask_b32_e64 v5, v6, v15, s4
	;; [unrolled: 1-line block ×3, first 2 shown]
	v_cmp_eq_u32_e64 s4, 6, v130
	v_cndmask_b32_e64 v7, v10, v15, s3
	v_cndmask_b32_e64 v9, v13, v11, s2
	;; [unrolled: 1-line block ×3, first 2 shown]
	v_cndmask_b32_e32 v1, v1, v11, vcc_lo
	v_cndmask_b32_e32 v2, v2, v15, vcc_lo
	v_cmp_eq_u32_e32 vcc_lo, 6, v132
	v_cmp_eq_u32_e64 s2, 6, v131
	v_lshrrev_b32_e32 v16, 16, v8
	v_cndmask_b32_e64 v3, v3, v4, s5
	v_cndmask_b32_e64 v5, v5, v8, s5
	v_cndmask_b32_e32 v9, v9, v4, vcc_lo
	v_cndmask_b32_e64 v6, v6, v4, s4
	v_cndmask_b32_e64 v7, v7, v8, s4
	v_cmp_eq_u32_e64 s3, 7, v132
	v_cndmask_b32_e32 v10, v10, v8, vcc_lo
	v_cndmask_b32_e64 v1, v1, v4, s2
	v_cmp_eq_u32_e32 vcc_lo, 7, v131
	v_cndmask_b32_e64 v2, v2, v8, s2
	v_cmp_eq_u32_e64 s2, 7, v129
	v_cmp_eq_u32_e64 s4, 7, v130
	v_cndmask_b32_e32 v1, v1, v12, vcc_lo
	s_delay_alu instid0(VALU_DEP_4) | instskip(NEXT) | instid1(VALU_DEP_4)
	v_cndmask_b32_e32 v2, v2, v16, vcc_lo
	v_cndmask_b32_e64 v8, v3, v12, s2
	s_delay_alu instid0(VALU_DEP_4)
	v_cndmask_b32_e64 v6, v6, v12, s4
	v_cndmask_b32_e64 v3, v9, v12, s3
	;; [unrolled: 1-line block ×5, first 2 shown]
	v_perm_b32 v4, v2, v1, 0x5040100
	s_mov_b32 s2, exec_lo
	v_perm_b32 v3, v9, v3, 0x5040100
	v_perm_b32 v2, v7, v6, 0x5040100
	;; [unrolled: 1-line block ×3, first 2 shown]
	ds_store_b128 v134, v[1:4]
	s_waitcnt lgkmcnt(0)
	s_barrier
	buffer_gl0_inv
	v_cmpx_gt_u32_e32 32, v0
	s_cbranch_execz .LBB277_2
; %bb.15:
	s_load_b64 s[0:1], s[0:1], 0x68
	v_lshlrev_b32_e32 v0, 10, v0
	v_or_b32_e32 v1, s31, v138
	s_lshl_b32 s4, s34, 7
	v_lshlrev_b32_e32 v2, 4, v139
	s_mul_i32 s2, s4, s30
	v_lshlrev_b32_e32 v3, 6, v138
	v_mul_lo_u32 v8, v1, s4
	v_and_b32_e32 v0, 0x3800, v0
	v_or_b32_e32 v1, 2, v1
	s_mul_i32 s2, s2, s6
	s_delay_alu instid0(SALU_CYCLE_1) | instskip(NEXT) | instid1(VALU_DEP_2)
	s_ashr_i32 s3, s2, 31
	v_or3_b32 v4, v0, v2, v3
	s_lshl_b64 s[2:3], s[2:3], 1
	v_mul_lo_u32 v10, v1, s4
	v_ashrrev_i32_e32 v9, 31, v8
	ds_load_b128 v[0:3], v4
	ds_load_b128 v[4:7], v4 offset:128
	s_waitcnt lgkmcnt(0)
	s_add_u32 s2, s0, s2
	s_addc_u32 s3, s1, s3
	s_lshl_b32 s0, s14, 7
	v_ashrrev_i32_e32 v11, 31, v10
	s_ashr_i32 s1, s0, 31
	v_lshlrev_b64 v[8:9], 1, v[8:9]
	s_lshl_b64 s[0:1], s[0:1], 1
	s_delay_alu instid0(SALU_CYCLE_1) | instskip(SKIP_2) | instid1(VALU_DEP_1)
	s_add_u32 s0, s2, s0
	s_addc_u32 s1, s3, s1
	v_add_co_u32 v12, s0, s0, v137
	v_add_co_ci_u32_e64 v13, null, s1, 0, s0
	v_lshlrev_b64 v[10:11], 1, v[10:11]
	s_delay_alu instid0(VALU_DEP_3) | instskip(NEXT) | instid1(VALU_DEP_3)
	v_add_co_u32 v8, vcc_lo, v12, v8
	v_add_co_ci_u32_e32 v9, vcc_lo, v13, v9, vcc_lo
	s_delay_alu instid0(VALU_DEP_3) | instskip(NEXT) | instid1(VALU_DEP_4)
	v_add_co_u32 v10, vcc_lo, v12, v10
	v_add_co_ci_u32_e32 v11, vcc_lo, v13, v11, vcc_lo
	s_clause 0x1
	global_store_b128 v[8:9], v[0:3], off
	global_store_b128 v[10:11], v[4:7], off
	s_nop 0
	s_sendmsg sendmsg(MSG_DEALLOC_VGPRS)
	s_endpgm
	.section	.rodata,"a",@progbits
	.p2align	6, 0x0
	.amdhsa_kernel _Z39paged_attention_ll4mi_QKV_mfma16_kernelIDF16_DF16_LN4vllm18Fp8KVCacheDataTypeE0EDF16_Li16ELi128ELi256ELb1ELi4EL8MFMAType0EEvPKT_PKT0_S8_ifPKiSA_SA_iPKfiiiPfSD_PS3_PT2_iSC_SC_
		.amdhsa_group_segment_fixed_size 17472
		.amdhsa_private_segment_fixed_size 0
		.amdhsa_kernarg_size 400
		.amdhsa_user_sgpr_count 13
		.amdhsa_user_sgpr_dispatch_ptr 0
		.amdhsa_user_sgpr_queue_ptr 0
		.amdhsa_user_sgpr_kernarg_segment_ptr 1
		.amdhsa_user_sgpr_dispatch_id 0
		.amdhsa_user_sgpr_private_segment_size 0
		.amdhsa_wavefront_size32 1
		.amdhsa_uses_dynamic_stack 0
		.amdhsa_enable_private_segment 0
		.amdhsa_system_sgpr_workgroup_id_x 1
		.amdhsa_system_sgpr_workgroup_id_y 1
		.amdhsa_system_sgpr_workgroup_id_z 1
		.amdhsa_system_sgpr_workgroup_info 0
		.amdhsa_system_vgpr_workitem_id 0
		.amdhsa_next_free_vgpr 218
		.amdhsa_next_free_sgpr 52
		.amdhsa_reserve_vcc 1
		.amdhsa_float_round_mode_32 0
		.amdhsa_float_round_mode_16_64 0
		.amdhsa_float_denorm_mode_32 3
		.amdhsa_float_denorm_mode_16_64 3
		.amdhsa_dx10_clamp 1
		.amdhsa_ieee_mode 1
		.amdhsa_fp16_overflow 0
		.amdhsa_workgroup_processor_mode 1
		.amdhsa_memory_ordered 1
		.amdhsa_forward_progress 0
		.amdhsa_shared_vgpr_count 0
		.amdhsa_exception_fp_ieee_invalid_op 0
		.amdhsa_exception_fp_denorm_src 0
		.amdhsa_exception_fp_ieee_div_zero 0
		.amdhsa_exception_fp_ieee_overflow 0
		.amdhsa_exception_fp_ieee_underflow 0
		.amdhsa_exception_fp_ieee_inexact 0
		.amdhsa_exception_int_div_zero 0
	.end_amdhsa_kernel
	.section	.text._Z39paged_attention_ll4mi_QKV_mfma16_kernelIDF16_DF16_LN4vllm18Fp8KVCacheDataTypeE0EDF16_Li16ELi128ELi256ELb1ELi4EL8MFMAType0EEvPKT_PKT0_S8_ifPKiSA_SA_iPKfiiiPfSD_PS3_PT2_iSC_SC_,"axG",@progbits,_Z39paged_attention_ll4mi_QKV_mfma16_kernelIDF16_DF16_LN4vllm18Fp8KVCacheDataTypeE0EDF16_Li16ELi128ELi256ELb1ELi4EL8MFMAType0EEvPKT_PKT0_S8_ifPKiSA_SA_iPKfiiiPfSD_PS3_PT2_iSC_SC_,comdat
.Lfunc_end277:
	.size	_Z39paged_attention_ll4mi_QKV_mfma16_kernelIDF16_DF16_LN4vllm18Fp8KVCacheDataTypeE0EDF16_Li16ELi128ELi256ELb1ELi4EL8MFMAType0EEvPKT_PKT0_S8_ifPKiSA_SA_iPKfiiiPfSD_PS3_PT2_iSC_SC_, .Lfunc_end277-_Z39paged_attention_ll4mi_QKV_mfma16_kernelIDF16_DF16_LN4vllm18Fp8KVCacheDataTypeE0EDF16_Li16ELi128ELi256ELb1ELi4EL8MFMAType0EEvPKT_PKT0_S8_ifPKiSA_SA_iPKfiiiPfSD_PS3_PT2_iSC_SC_
                                        ; -- End function
	.section	.AMDGPU.csdata,"",@progbits
; Kernel info:
; codeLenInByte = 7968
; NumSgprs: 54
; NumVgprs: 218
; ScratchSize: 0
; MemoryBound: 0
; FloatMode: 240
; IeeeMode: 1
; LDSByteSize: 17472 bytes/workgroup (compile time only)
; SGPRBlocks: 6
; VGPRBlocks: 27
; NumSGPRsForWavesPerEU: 54
; NumVGPRsForWavesPerEU: 218
; Occupancy: 6
; WaveLimiterHint : 1
; COMPUTE_PGM_RSRC2:SCRATCH_EN: 0
; COMPUTE_PGM_RSRC2:USER_SGPR: 13
; COMPUTE_PGM_RSRC2:TRAP_HANDLER: 0
; COMPUTE_PGM_RSRC2:TGID_X_EN: 1
; COMPUTE_PGM_RSRC2:TGID_Y_EN: 1
; COMPUTE_PGM_RSRC2:TGID_Z_EN: 1
; COMPUTE_PGM_RSRC2:TIDIG_COMP_CNT: 0
	.section	.text._Z35paged_attention_ll4mi_reduce_kernelIDF16_DF16_Li128ELi128ELi256ELi9EEvPT0_PKfS3_PKT_PKiS8_iS3_,"axG",@progbits,_Z35paged_attention_ll4mi_reduce_kernelIDF16_DF16_Li128ELi128ELi256ELi9EEvPT0_PKfS3_PKT_PKiS8_iS3_,comdat
	.protected	_Z35paged_attention_ll4mi_reduce_kernelIDF16_DF16_Li128ELi128ELi256ELi9EEvPT0_PKfS3_PKT_PKiS8_iS3_ ; -- Begin function _Z35paged_attention_ll4mi_reduce_kernelIDF16_DF16_Li128ELi128ELi256ELi9EEvPT0_PKfS3_PKT_PKiS8_iS3_
	.globl	_Z35paged_attention_ll4mi_reduce_kernelIDF16_DF16_Li128ELi128ELi256ELi9EEvPT0_PKfS3_PKT_PKiS8_iS3_
	.p2align	8
	.type	_Z35paged_attention_ll4mi_reduce_kernelIDF16_DF16_Li128ELi128ELi256ELi9EEvPT0_PKfS3_PKT_PKiS8_iS3_,@function
_Z35paged_attention_ll4mi_reduce_kernelIDF16_DF16_Li128ELi128ELi256ELi9EEvPT0_PKfS3_PKT_PKiS8_iS3_: ; @_Z35paged_attention_ll4mi_reduce_kernelIDF16_DF16_Li128ELi128ELi256ELi9EEvPT0_PKfS3_PKT_PKiS8_iS3_
; %bb.0:
	s_load_b64 s[12:13], s[0:1], 0x28
	s_mov_b32 s2, s15
	s_waitcnt lgkmcnt(0)
	s_cmp_lg_u64 s[12:13], 0
	s_cselect_b32 s15, -1, 0
	s_delay_alu instid0(SALU_CYCLE_1)
	s_and_b32 vcc_lo, exec_lo, s15
	s_cbranch_vccz .LBB278_20
; %bb.1:
	s_add_i32 s4, s2, 1
	s_mov_b32 s5, 0
	s_delay_alu instid0(SALU_CYCLE_1) | instskip(SKIP_4) | instid1(SALU_CYCLE_1)
	s_lshl_b64 s[6:7], s[4:5], 2
	s_mov_b32 s3, s5
	s_add_u32 s6, s12, s6
	s_addc_u32 s7, s13, s7
	s_lshl_b64 s[8:9], s[2:3], 2
	s_add_u32 s8, s12, s8
	s_addc_u32 s9, s13, s9
	s_clause 0x1
	s_load_b32 s4, s[6:7], 0x0
	s_load_b32 s6, s[8:9], 0x0
	s_waitcnt lgkmcnt(0)
	s_sub_i32 s4, s4, s6
	s_delay_alu instid0(SALU_CYCLE_1)
	s_cmp_eq_u32 s4, 1
	s_cselect_b32 s4, -1, 0
	s_cbranch_execnz .LBB278_3
.LBB278_2:
	s_mov_b32 s3, 0
	s_mov_b32 s4, -1
.LBB278_3:
	s_delay_alu instid0(SALU_CYCLE_1)
	s_and_not1_b32 vcc_lo, exec_lo, s4
	s_cbranch_vccz .LBB278_5
; %bb.4:
	s_endpgm
.LBB278_5:
	s_clause 0x1
	s_load_b128 s[4:7], s[0:1], 0x18
	s_load_b32 s9, s[0:1], 0x30
	s_lshl_b64 s[16:17], s[2:3], 2
	s_waitcnt lgkmcnt(0)
	s_add_u32 s6, s6, s16
	s_addc_u32 s7, s7, s17
	s_load_b32 s23, s[6:7], 0x0
	s_load_b32 s33, s[0:1], 0x40
	s_mul_i32 s7, s2, s9
	s_waitcnt lgkmcnt(0)
	s_add_i32 s22, s23, 0xff
	s_delay_alu instid0(SALU_CYCLE_1) | instskip(NEXT) | instid1(SALU_CYCLE_1)
	s_ashr_i32 s6, s22, 31
	s_lshr_b32 s6, s6, 24
	s_delay_alu instid0(SALU_CYCLE_1) | instskip(SKIP_4) | instid1(SALU_CYCLE_1)
	s_add_i32 s8, s22, s6
	s_mul_i32 s6, s14, s9
	s_mov_b32 s9, exec_lo
	v_cmpx_lt_u32_e32 31, v0
	s_xor_b32 s9, exec_lo, s9
	s_or_saveexec_b32 s24, s9
	v_mov_b32_e32 v1, s6
	s_ashr_i32 s40, s8, 8
	s_mul_i32 s18, s7, s33
	s_xor_b32 exec_lo, exec_lo, s24
	s_cbranch_execz .LBB278_9
; %bb.6:
	v_or_b32_e32 v2, 32, v0
	v_cmp_gt_i32_e32 vcc_lo, s40, v0
	s_add_i32 s20, s40, -1
	v_or_b32_e32 v4, 64, v0
	v_or_b32_e32 v6, 0x60, v0
	s_load_b128 s[8:11], s[0:1], 0x8
	v_cndmask_b32_e32 v1, s20, v0, vcc_lo
	v_cmp_gt_i32_e32 vcc_lo, s40, v2
	s_mov_b32 s19, 0
	s_delay_alu instid0(SALU_CYCLE_1)
	s_mov_b32 s7, s19
	v_cndmask_b32_e32 v3, s20, v2, vcc_lo
	v_cmp_gt_i32_e32 vcc_lo, s40, v4
	v_or_b32_e32 v2, 0x80, v0
	v_cndmask_b32_e32 v5, s20, v4, vcc_lo
	v_cmp_gt_i32_e32 vcc_lo, s40, v6
	v_or_b32_e32 v4, 0xa0, v0
	;; [unrolled: 3-line block ×3, first 2 shown]
	s_delay_alu instid0(VALU_DEP_3) | instskip(SKIP_3) | instid1(VALU_DEP_4)
	v_ashrrev_i32_e32 v8, 31, v7
	v_cndmask_b32_e32 v9, s20, v2, vcc_lo
	v_or_b32_e32 v2, 0xc0, v0
	v_cmp_gt_i32_e32 vcc_lo, s40, v4
	v_lshlrev_b64 v[7:8], 2, v[7:8]
	s_delay_alu instid0(VALU_DEP_4) | instskip(SKIP_3) | instid1(VALU_DEP_4)
	v_ashrrev_i32_e32 v10, 31, v9
	v_cndmask_b32_e32 v11, s20, v4, vcc_lo
	v_cmp_gt_i32_e32 vcc_lo, s40, v2
	v_or_b32_e32 v4, 0x100, v0
	v_lshlrev_b64 v[9:10], 2, v[9:10]
	s_delay_alu instid0(VALU_DEP_4) | instskip(SKIP_3) | instid1(VALU_DEP_4)
	v_ashrrev_i32_e32 v12, 31, v11
	v_cndmask_b32_e32 v13, s20, v2, vcc_lo
	v_cmp_gt_i32_e32 vcc_lo, s40, v6
	v_ashrrev_i32_e32 v2, 31, v1
	v_lshlrev_b64 v[11:12], 2, v[11:12]
	s_delay_alu instid0(VALU_DEP_4)
	v_ashrrev_i32_e32 v14, 31, v13
	v_cndmask_b32_e32 v15, s20, v6, vcc_lo
	v_cmp_gt_i32_e32 vcc_lo, s40, v4
	v_lshlrev_b64 v[1:2], 2, v[1:2]
	v_ashrrev_i32_e32 v6, 31, v5
	v_lshlrev_b64 v[13:14], 2, v[13:14]
	v_ashrrev_i32_e32 v16, 31, v15
	v_cndmask_b32_e32 v17, s20, v4, vcc_lo
	v_ashrrev_i32_e32 v4, 31, v3
	s_lshl_b64 s[20:21], s[18:19], 2
	v_lshlrev_b64 v[5:6], 2, v[5:6]
	s_waitcnt lgkmcnt(0)
	s_add_u32 s19, s10, s20
	s_addc_u32 s25, s11, s21
	s_lshl_b64 s[10:11], s[6:7], 2
	v_lshlrev_b64 v[3:4], 2, v[3:4]
	s_add_u32 s7, s19, s10
	s_addc_u32 s19, s25, s11
	v_add_co_u32 v18, vcc_lo, s7, v1
	v_add_co_ci_u32_e32 v19, vcc_lo, s19, v2, vcc_lo
	s_delay_alu instid0(VALU_DEP_3)
	v_add_co_u32 v20, vcc_lo, s7, v3
	v_add_co_ci_u32_e32 v21, vcc_lo, s19, v4, vcc_lo
	v_add_co_u32 v22, vcc_lo, s7, v5
	v_add_co_ci_u32_e32 v23, vcc_lo, s19, v6, vcc_lo
	;; [unrolled: 2-line block ×4, first 2 shown]
	s_clause 0x4
	global_load_b32 v28, v[18:19], off
	global_load_b32 v29, v[20:21], off
	;; [unrolled: 1-line block ×5, first 2 shown]
	v_ashrrev_i32_e32 v18, 31, v17
	v_add_co_u32 v19, vcc_lo, s7, v11
	v_lshlrev_b64 v[15:16], 2, v[15:16]
	v_add_co_ci_u32_e32 v20, vcc_lo, s19, v12, vcc_lo
	v_add_co_u32 v21, vcc_lo, s7, v13
	v_lshlrev_b64 v[17:18], 2, v[17:18]
	v_add_co_ci_u32_e32 v22, vcc_lo, s19, v14, vcc_lo
	v_add_co_u32 v23, vcc_lo, s7, v15
	v_add_co_ci_u32_e32 v24, vcc_lo, s19, v16, vcc_lo
	s_delay_alu instid0(VALU_DEP_4)
	v_add_co_u32 v25, vcc_lo, s7, v17
	v_add_co_ci_u32_e32 v26, vcc_lo, s19, v18, vcc_lo
	s_clause 0x3
	global_load_b32 v19, v[19:20], off
	global_load_b32 v20, v[21:22], off
	;; [unrolled: 1-line block ×4, first 2 shown]
	s_add_u32 s7, s8, s20
	s_addc_u32 s8, s9, s21
	s_add_u32 s7, s7, s10
	s_addc_u32 s8, s8, s11
	v_add_co_u32 v1, vcc_lo, s7, v1
	v_add_co_ci_u32_e32 v2, vcc_lo, s8, v2, vcc_lo
	v_add_co_u32 v3, vcc_lo, s7, v3
	v_add_co_ci_u32_e32 v4, vcc_lo, s8, v4, vcc_lo
	;; [unrolled: 2-line block ×6, first 2 shown]
	s_clause 0x5
	global_load_b32 v23, v[1:2], off
	global_load_b32 v3, v[3:4], off
	;; [unrolled: 1-line block ×6, first 2 shown]
	v_add_co_u32 v1, vcc_lo, s7, v13
	v_add_co_ci_u32_e32 v2, vcc_lo, s8, v14, vcc_lo
	v_mbcnt_lo_u32_b32 v9, -1, 0
	global_load_b32 v8, v[1:2], off
	v_add_co_u32 v1, vcc_lo, s7, v15
	v_add_co_ci_u32_e32 v2, vcc_lo, s8, v16, vcc_lo
	v_xor_b32_e32 v11, 16, v9
	v_xor_b32_e32 v13, 8, v9
	;; [unrolled: 1-line block ×3, first 2 shown]
	global_load_b32 v12, v[1:2], off
	v_add_co_u32 v1, vcc_lo, s7, v17
	v_add_co_ci_u32_e32 v2, vcc_lo, s8, v18, vcc_lo
	v_cmp_gt_i32_e32 vcc_lo, 32, v11
	v_xor_b32_e32 v15, 2, v9
	v_xor_b32_e32 v16, 1, v9
	global_load_b32 v1, v[1:2], off
	s_mov_b32 s7, exec_lo
	v_cndmask_b32_e32 v11, v9, v11, vcc_lo
	v_cmp_gt_i32_e32 vcc_lo, 32, v13
	s_delay_alu instid0(VALU_DEP_2) | instskip(SKIP_1) | instid1(VALU_DEP_2)
	v_dual_cndmask_b32 v13, v9, v13 :: v_dual_lshlrev_b32 v2, 2, v11
	v_cmp_gt_i32_e32 vcc_lo, 32, v14
	v_dual_cndmask_b32 v14, v9, v14 :: v_dual_lshlrev_b32 v13, 2, v13
	v_cmp_gt_i32_e32 vcc_lo, 32, v15
	s_delay_alu instid0(VALU_DEP_2) | instskip(SKIP_1) | instid1(VALU_DEP_2)
	v_dual_cndmask_b32 v15, v9, v15 :: v_dual_lshlrev_b32 v14, 2, v14
	v_cmp_gt_i32_e32 vcc_lo, 32, v16
	v_lshlrev_b32_e32 v15, 2, v15
	v_cndmask_b32_e32 v9, v9, v16, vcc_lo
	s_delay_alu instid0(VALU_DEP_1) | instskip(SKIP_3) | instid1(VALU_DEP_1)
	v_lshlrev_b32_e32 v9, 2, v9
	s_waitcnt vmcnt(15)
	v_max3_f32 v10, v28, v29, v30
	s_waitcnt vmcnt(13)
	v_max3_f32 v10, v10, v31, v27
	s_waitcnt vmcnt(11)
	s_delay_alu instid0(VALU_DEP_1) | instskip(SKIP_1) | instid1(VALU_DEP_1)
	v_max3_f32 v10, v10, v19, v20
	s_waitcnt vmcnt(9)
	v_max3_f32 v10, v10, v21, v22
	ds_bpermute_b32 v11, v2, v10
	s_waitcnt lgkmcnt(0)
	v_max_f32_e32 v11, v11, v11
	s_delay_alu instid0(VALU_DEP_1) | instskip(SKIP_3) | instid1(VALU_DEP_1)
	v_max_f32_e32 v10, v10, v11
	ds_bpermute_b32 v11, v13, v10
	s_waitcnt lgkmcnt(0)
	v_max_f32_e32 v11, v11, v11
	v_max_f32_e32 v10, v10, v11
	ds_bpermute_b32 v11, v14, v10
	s_waitcnt lgkmcnt(0)
	v_max_f32_e32 v11, v11, v11
	s_delay_alu instid0(VALU_DEP_1) | instskip(SKIP_3) | instid1(VALU_DEP_1)
	v_max_f32_e32 v10, v10, v11
	ds_bpermute_b32 v11, v15, v10
	s_waitcnt lgkmcnt(0)
	v_max_f32_e32 v11, v11, v11
	v_max_f32_e32 v10, v10, v11
	ds_bpermute_b32 v11, v9, v10
	s_waitcnt lgkmcnt(0)
	v_max_f32_e32 v11, v11, v11
	s_delay_alu instid0(VALU_DEP_1) | instskip(SKIP_1) | instid1(VALU_DEP_2)
	v_max_f32_e32 v10, v10, v11
	v_sub_nc_u32_e32 v11, s40, v0
	v_sub_f32_e32 v24, v31, v10
	v_sub_f32_e32 v16, v28, v10
	;; [unrolled: 1-line block ×5, first 2 shown]
	v_mul_f32_e32 v28, 0x3fb8aa3b, v24
	v_cmp_ngt_f32_e32 vcc_lo, 0xc2ce8ed0, v16
	v_mul_f32_e32 v26, 0x3fb8aa3b, v17
	s_delay_alu instid0(VALU_DEP_3)
	v_fma_f32 v40, 0x3fb8aa3b, v24, -v28
	v_sub_f32_e32 v25, v27, v10
	v_rndne_f32_e32 v41, v28
	v_sub_f32_e32 v19, v19, v10
	v_fma_f32 v36, 0x3fb8aa3b, v17, -v26
	v_fmac_f32_e32 v40, 0x32a5705f, v24
	v_mul_f32_e32 v29, 0x3fb8aa3b, v25
	v_sub_f32_e32 v28, v28, v41
	v_mul_f32_e32 v30, 0x3fb8aa3b, v19
	v_rndne_f32_e32 v37, v26
	v_cvt_i32_f32_e32 v41, v41
	v_fma_f32 v42, 0x3fb8aa3b, v25, -v29
	v_sub_f32_e32 v21, v21, v10
	v_sub_f32_e32 v10, v22, v10
	v_mul_f32_e32 v22, 0x3fb8aa3b, v16
	v_rndne_f32_e32 v45, v30
	v_fmac_f32_e32 v42, 0x32a5705f, v25
	v_dual_mul_f32 v27, 0x3fb8aa3b, v18 :: v_dual_mul_f32 v32, 0x3fb8aa3b, v21
	s_delay_alu instid0(VALU_DEP_4)
	v_fma_f32 v34, 0x3fb8aa3b, v16, -v22
	v_rndne_f32_e32 v35, v22
	v_fma_f32 v44, 0x3fb8aa3b, v19, -v30
	v_sub_f32_e32 v30, v30, v45
	v_fma_f32 v38, 0x3fb8aa3b, v18, -v27
	v_rndne_f32_e32 v39, v27
	v_fmac_f32_e32 v34, 0x32a5705f, v16
	v_sub_f32_e32 v22, v22, v35
	v_rndne_f32_e32 v49, v32
	v_dual_mul_f32 v31, 0x3fb8aa3b, v20 :: v_dual_sub_f32 v26, v26, v37
	v_fmac_f32_e32 v36, 0x32a5705f, v17
	v_dual_fmac_f32 v38, 0x32a5705f, v18 :: v_dual_sub_f32 v27, v27, v39
	v_add_f32_e32 v22, v22, v34
	v_rndne_f32_e32 v43, v29
	s_delay_alu instid0(VALU_DEP_4)
	v_dual_mul_f32 v33, 0x3fb8aa3b, v10 :: v_dual_add_f32 v26, v26, v36
	v_fma_f32 v48, 0x3fb8aa3b, v21, -v32
	v_dual_fmac_f32 v44, 0x32a5705f, v19 :: v_dual_add_f32 v27, v27, v38
	v_sub_f32_e32 v32, v32, v49
	v_fma_f32 v46, 0x3fb8aa3b, v20, -v31
	v_sub_f32_e32 v29, v29, v43
	v_exp_f32_e32 v22, v22
	v_rndne_f32_e32 v47, v31
	v_cvt_i32_f32_e32 v35, v35
	v_fmac_f32_e32 v46, 0x32a5705f, v20
	v_dual_add_f32 v28, v28, v40 :: v_dual_add_f32 v29, v29, v42
	v_exp_f32_e32 v26, v26
	v_exp_f32_e32 v27, v27
	v_cvt_i32_f32_e32 v37, v37
	v_cvt_i32_f32_e32 v39, v39
	v_dual_sub_f32 v31, v31, v47 :: v_dual_fmac_f32 v48, 0x32a5705f, v21
	v_exp_f32_e32 v29, v29
	v_ldexp_f32 v22, v22, v35
	v_cvt_i32_f32_e32 v43, v43
	s_delay_alu instid0(VALU_DEP_3)
	v_dual_add_f32 v30, v30, v44 :: v_dual_add_f32 v31, v31, v46
	v_exp_f32_e32 v28, v28
	v_ldexp_f32 v26, v26, v37
	v_ldexp_f32 v27, v27, v39
	v_cndmask_b32_e32 v22, 0, v22, vcc_lo
	v_cmp_ngt_f32_e32 vcc_lo, 0xc2ce8ed0, v17
	v_exp_f32_e32 v31, v31
	v_ldexp_f32 v29, v29, v43
	v_exp_f32_e32 v30, v30
	v_cvt_i32_f32_e32 v34, v47
	v_cndmask_b32_e32 v26, 0, v26, vcc_lo
	v_cmp_ngt_f32_e32 vcc_lo, 0xc2ce8ed0, v18
	v_ldexp_f32 v28, v28, v41
	v_cvt_i32_f32_e32 v45, v45
	v_fma_f32 v50, 0x3fb8aa3b, v10, -v33
	v_rndne_f32_e32 v51, v33
	v_cndmask_b32_e32 v27, 0, v27, vcc_lo
	v_cmp_ngt_f32_e32 vcc_lo, 0xc2ce8ed0, v24
	v_ldexp_f32 v31, v31, v34
	v_ldexp_f32 v30, v30, v45
	v_dual_fmac_f32 v50, 0x32a5705f, v10 :: v_dual_sub_f32 v33, v33, v51
	v_cndmask_b32_e32 v28, 0, v28, vcc_lo
	v_cmp_ngt_f32_e32 vcc_lo, 0xc2ce8ed0, v25
	s_delay_alu instid0(VALU_DEP_3) | instskip(SKIP_2) | instid1(VALU_DEP_3)
	v_dual_add_f32 v32, v32, v48 :: v_dual_add_f32 v33, v33, v50
	v_cndmask_b32_e32 v29, 0, v29, vcc_lo
	v_cmp_ngt_f32_e32 vcc_lo, 0xc2ce8ed0, v19
	v_exp_f32_e32 v32, v32
	v_cndmask_b32_e32 v30, 0, v30, vcc_lo
	v_cmp_ngt_f32_e32 vcc_lo, 0xc2ce8ed0, v20
	v_cndmask_b32_e32 v31, 0, v31, vcc_lo
	v_cmp_nlt_f32_e32 vcc_lo, 0x42b17218, v16
	v_cndmask_b32_e32 v16, 0x7f800000, v22, vcc_lo
	v_cmp_nlt_f32_e32 vcc_lo, 0x42b17218, v17
	;; [unrolled: 2-line block ×6, first 2 shown]
	v_cndmask_b32_e32 v19, 0x7f800000, v30, vcc_lo
	v_cmp_lt_i32_e32 vcc_lo, 0, v11
	v_cndmask_b32_e32 v16, 0, v16, vcc_lo
	v_cmp_lt_i32_e32 vcc_lo, 32, v11
	s_waitcnt vmcnt(8)
	s_delay_alu instid0(VALU_DEP_2) | instskip(SKIP_2) | instid1(VALU_DEP_2)
	v_dual_mul_f32 v16, v23, v16 :: v_dual_cndmask_b32 v17, 0, v17
	v_cmp_lt_i32_e32 vcc_lo, 64, v11
	s_waitcnt vmcnt(7)
	v_mul_f32_e32 v3, v3, v17
	v_cvt_i32_f32_e32 v17, v49
	s_delay_alu instid0(VALU_DEP_1) | instskip(SKIP_3) | instid1(VALU_DEP_2)
	v_ldexp_f32 v17, v32, v17
	v_cndmask_b32_e32 v18, 0, v18, vcc_lo
	v_cmp_lt_i32_e32 vcc_lo, 0x60, v11
	s_waitcnt vmcnt(6)
	v_mul_f32_e32 v4, v4, v18
	v_cndmask_b32_e32 v22, 0, v22, vcc_lo
	v_cmp_lt_i32_e32 vcc_lo, 0x80, v11
	s_waitcnt vmcnt(5)
	s_delay_alu instid0(VALU_DEP_2) | instskip(SKIP_3) | instid1(VALU_DEP_3)
	v_dual_mul_f32 v5, v5, v22 :: v_dual_cndmask_b32 v24, 0, v24
	v_cmp_lt_i32_e32 vcc_lo, 0xa0, v11
	v_cvt_i32_f32_e32 v22, v51
	s_waitcnt vmcnt(4)
	v_dual_mul_f32 v6, v6, v24 :: v_dual_cndmask_b32 v19, 0, v19
	v_cmp_nlt_f32_e32 vcc_lo, 0x42b17218, v20
	s_waitcnt vmcnt(3)
	s_delay_alu instid0(VALU_DEP_2) | instskip(SKIP_3) | instid1(VALU_DEP_2)
	v_mul_f32_e32 v7, v7, v19
	v_cndmask_b32_e32 v18, 0x7f800000, v31, vcc_lo
	v_cmp_lt_i32_e32 vcc_lo, 0xc0, v11
	v_exp_f32_e32 v19, v33
	v_cndmask_b32_e32 v18, 0, v18, vcc_lo
	v_cmp_ngt_f32_e32 vcc_lo, 0xc2ce8ed0, v21
	s_waitcnt vmcnt(2)
	s_delay_alu instid0(VALU_DEP_2)
	v_dual_mul_f32 v8, v8, v18 :: v_dual_cndmask_b32 v17, 0, v17
	v_cmp_nlt_f32_e32 vcc_lo, 0x42b17218, v21
	s_waitcnt_depctr 0xfff
	v_ldexp_f32 v18, v19, v22
	v_dual_add_f32 v20, v16, v3 :: v_dual_cndmask_b32 v17, 0x7f800000, v17
	v_cmp_ngt_f32_e32 vcc_lo, 0xc2ce8ed0, v10
	s_delay_alu instid0(VALU_DEP_3) | instskip(SKIP_1) | instid1(VALU_DEP_4)
	v_cndmask_b32_e32 v18, 0, v18, vcc_lo
	v_cmp_lt_i32_e32 vcc_lo, 0xe0, v11
	v_cndmask_b32_e32 v17, 0, v17, vcc_lo
	v_cmp_nlt_f32_e32 vcc_lo, 0x42b17218, v10
	s_waitcnt vmcnt(1)
	s_delay_alu instid0(VALU_DEP_2) | instskip(SKIP_2) | instid1(VALU_DEP_2)
	v_mul_f32_e32 v12, v12, v17
	v_cndmask_b32_e32 v10, 0x7f800000, v18, vcc_lo
	v_cmp_lt_i32_e32 vcc_lo, 0x100, v11
	v_cndmask_b32_e32 v10, 0, v10, vcc_lo
	s_waitcnt vmcnt(0)
	s_delay_alu instid0(VALU_DEP_1) | instskip(SKIP_1) | instid1(VALU_DEP_1)
	v_mul_f32_e32 v10, v1, v10
	v_add_f32_e32 v20, v20, v4
	v_add_f32_e32 v19, v20, v5
	s_delay_alu instid0(VALU_DEP_1) | instskip(NEXT) | instid1(VALU_DEP_1)
	v_add_f32_e32 v19, v19, v6
	v_add_f32_e32 v18, v19, v7
	s_delay_alu instid0(VALU_DEP_1) | instskip(NEXT) | instid1(VALU_DEP_1)
	v_add_f32_e32 v11, v18, v8
	v_add_f32_e32 v1, v11, v12
	s_delay_alu instid0(VALU_DEP_1)
	v_add_f32_e32 v1, v1, v10
	ds_bpermute_b32 v2, v2, v1
	s_waitcnt lgkmcnt(0)
	v_add_f32_e32 v1, v1, v2
	ds_bpermute_b32 v2, v13, v1
	s_waitcnt lgkmcnt(0)
	;; [unrolled: 3-line block ×4, first 2 shown]
	v_add_f32_e32 v1, v1, v2
	ds_bpermute_b32 v2, v9, v1
	v_lshlrev_b32_e32 v9, 2, v0
	ds_store_2addr_b32 v9, v16, v3 offset1:32
	ds_store_2addr_b32 v9, v4, v5 offset0:64 offset1:96
	ds_store_2addr_b32 v9, v6, v7 offset0:128 offset1:160
	;; [unrolled: 1-line block ×3, first 2 shown]
	ds_store_b32 v9, v10 offset:1024
	v_cmpx_eq_u32_e32 0, v0
	s_cbranch_execz .LBB278_8
; %bb.7:
	s_waitcnt lgkmcnt(5)
	v_dual_add_f32 v1, v1, v2 :: v_dual_mov_b32 v2, 0
	ds_store_b32 v2, v1 offset:1152
.LBB278_8:
	s_or_b32 exec_lo, exec_lo, s7
	v_mov_b32_e32 v1, s6
.LBB278_9:
	s_or_b32 exec_lo, exec_lo, s24
	s_lshl_b32 s6, s18, 7
	s_mov_b32 s7, 0
	s_waitcnt lgkmcnt(5)
	v_dual_mov_b32 v2, 0 :: v_dual_lshlrev_b32 v1, 7, v1
	s_lshl_b64 s[6:7], s[6:7], 1
	v_lshlrev_b32_e32 v0, 1, v0
	s_add_u32 s34, s4, s6
	s_addc_u32 s35, s5, s7
	s_lshl_b32 s41, s40, 7
	v_lshlrev_b64 v[3:4], 1, v[1:2]
	s_add_i32 s42, s41, 0xffffff80
	s_cmpk_lt_i32 s22, 0x100
	v_dual_mov_b32 v30, 0 :: v_dual_mov_b32 v33, 0
	s_cselect_b32 s4, s42, 0
	s_delay_alu instid0(VALU_DEP_2)
	v_add_co_u32 v1, vcc_lo, s34, v3
	s_ashr_i32 s5, s4, 31
	v_add_co_ci_u32_e32 v3, vcc_lo, s35, v4, vcc_lo
	s_lshl_b64 s[4:5], s[4:5], 1
	s_cmpk_lt_i32 s22, 0x200
	v_add_co_u32 v1, vcc_lo, v1, v0
	s_cselect_b32 s6, s42, 0x80
	v_add_co_ci_u32_e32 v3, vcc_lo, 0, v3, vcc_lo
	s_ashr_i32 s7, s6, 31
	s_delay_alu instid0(VALU_DEP_2)
	v_add_co_u32 v4, vcc_lo, v1, s4
	s_lshl_b64 s[6:7], s[6:7], 1
	s_cmpk_lt_i32 s22, 0x300
	v_add_co_ci_u32_e32 v5, vcc_lo, s5, v3, vcc_lo
	s_cselect_b32 s8, s42, 0x100
	v_add_co_u32 v8, vcc_lo, v1, s6
	s_ashr_i32 s9, s8, 31
	v_add_co_ci_u32_e32 v9, vcc_lo, s7, v3, vcc_lo
	s_lshl_b64 s[8:9], s[8:9], 1
	s_cmpk_lt_i32 s22, 0x400
	v_add_co_u32 v10, vcc_lo, v1, s8
	s_cselect_b32 s10, s42, 0x180
	v_add_co_ci_u32_e32 v11, vcc_lo, s9, v3, vcc_lo
	s_ashr_i32 s11, s10, 31
	v_dual_mov_b32 v32, 0 :: v_dual_mov_b32 v35, 0
	s_lshl_b64 s[10:11], s[10:11], 1
	s_cmpk_lt_i32 s22, 0x500
	v_add_co_u32 v12, vcc_lo, v1, s10
	s_cselect_b32 s18, s42, 0x200
	v_add_co_ci_u32_e32 v13, vcc_lo, s11, v3, vcc_lo
	s_ashr_i32 s19, s18, 31
	v_mov_b32_e32 v34, 0
	s_lshl_b64 s[18:19], s[18:19], 1
	s_cmpk_lt_i32 s22, 0x600
	v_add_co_u32 v14, vcc_lo, v1, s18
	s_cselect_b32 s20, s42, 0x280
	v_add_co_ci_u32_e32 v15, vcc_lo, s19, v3, vcc_lo
	s_ashr_i32 s21, s20, 31
	v_mov_b32_e32 v29, 0
	;; [unrolled: 7-line block ×3, first 2 shown]
	s_lshl_b64 s[24:25], s[24:25], 1
	s_cmpk_lt_i32 s22, 0x800
	v_add_co_u32 v18, vcc_lo, v1, s24
	s_cselect_b32 s26, s42, 0x380
	v_add_co_ci_u32_e32 v19, vcc_lo, s25, v3, vcc_lo
	s_ashr_i32 s27, s26, 31
	s_delay_alu instid0(SALU_CYCLE_1)
	s_lshl_b64 s[26:27], s[26:27], 1
	s_cmpk_lt_i32 s22, 0x900
	v_add_co_u32 v20, vcc_lo, v1, s26
	s_cselect_b32 s28, s42, 0x400
	v_add_co_ci_u32_e32 v21, vcc_lo, s27, v3, vcc_lo
	s_ashr_i32 s29, s28, 31
	s_clause 0x7
	global_load_u16 v7, v[4:5], off
	global_load_u16 v8, v[8:9], off
	;; [unrolled: 1-line block ×8, first 2 shown]
	s_lshl_b64 s[28:29], s[28:29], 1
	s_cmpk_lt_i32 s22, 0xa00
	v_add_co_u32 v12, vcc_lo, v1, s28
	s_cselect_b32 s30, s42, 0x480
	v_add_co_ci_u32_e32 v13, vcc_lo, s29, v3, vcc_lo
	s_ashr_i32 s31, s30, 31
	s_delay_alu instid0(SALU_CYCLE_1)
	s_lshl_b64 s[30:31], s[30:31], 1
	s_cmpk_lt_i32 s22, 0xb00
	v_add_co_u32 v15, vcc_lo, v1, s30
	s_cselect_b32 s34, s42, 0x500
	v_add_co_ci_u32_e32 v16, vcc_lo, s31, v3, vcc_lo
	s_ashr_i32 s35, s34, 31
	s_delay_alu instid0(SALU_CYCLE_1)
	;; [unrolled: 7-line block ×7, first 2 shown]
	s_lshl_b64 s[4:5], s[6:7], 1
	s_cmpk_gt_i32 s23, 0x1000
	v_add_co_u32 v27, vcc_lo, v1, s4
	v_add_co_ci_u32_e32 v28, vcc_lo, s5, v3, vcc_lo
	s_clause 0x7
	global_load_u16 v14, v[12:13], off
	global_load_u16 v15, v[15:16], off
	;; [unrolled: 1-line block ×8, first 2 shown]
	v_dual_mov_b32 v20, 0 :: v_dual_mov_b32 v23, 0
	v_dual_mov_b32 v21, 0 :: v_dual_mov_b32 v22, 0
	;; [unrolled: 1-line block ×4, first 2 shown]
	v_mov_b32_e32 v28, 0
	s_cselect_b32 s8, -1, 0
	s_cmpk_lt_i32 s23, 0x1001
	s_waitcnt vmcnt(0) lgkmcnt(0)
	s_barrier
	buffer_gl0_inv
	s_cbranch_scc1 .LBB278_11
; %bb.10:
	s_cmpk_lt_i32 s22, 0x1100
	s_cselect_b32 s4, s42, 0x800
	s_delay_alu instid0(SALU_CYCLE_1) | instskip(NEXT) | instid1(SALU_CYCLE_1)
	s_ashr_i32 s5, s4, 31
	s_lshl_b64 s[4:5], s[4:5], 1
	s_cmpk_lt_i32 s22, 0x1200
	v_add_co_u32 v20, vcc_lo, v1, s4
	s_cselect_b32 s6, s42, 0x880
	v_add_co_ci_u32_e32 v21, vcc_lo, s5, v3, vcc_lo
	s_ashr_i32 s7, s6, 31
	s_delay_alu instid0(SALU_CYCLE_1)
	s_lshl_b64 s[6:7], s[6:7], 1
	s_cmpk_lt_i32 s22, 0x1300
	v_add_co_u32 v22, vcc_lo, v1, s6
	s_cselect_b32 s10, s42, 0x900
	v_add_co_ci_u32_e32 v23, vcc_lo, s7, v3, vcc_lo
	s_ashr_i32 s11, s10, 31
	s_delay_alu instid0(SALU_CYCLE_1)
	;; [unrolled: 7-line block ×7, first 2 shown]
	s_lshl_b64 s[28:29], s[28:29], 1
	s_cmpk_lt_i32 s22, 0x1900
	v_add_co_u32 v34, vcc_lo, v1, s28
	s_cselect_b32 s30, s42, 0xc00
	v_add_co_ci_u32_e32 v35, vcc_lo, s29, v3, vcc_lo
	s_ashr_i32 s31, s30, 31
	s_clause 0x7
	global_load_u16 v36, v[20:21], off
	global_load_u16 v37, v[22:23], off
	;; [unrolled: 1-line block ×8, first 2 shown]
	s_lshl_b64 s[30:31], s[30:31], 1
	s_cmpk_lt_i32 s22, 0x1a00
	v_add_co_u32 v20, vcc_lo, v1, s30
	s_cselect_b32 s34, s42, 0xc80
	v_add_co_ci_u32_e32 v21, vcc_lo, s31, v3, vcc_lo
	s_ashr_i32 s35, s34, 31
	s_delay_alu instid0(SALU_CYCLE_1)
	s_lshl_b64 s[34:35], s[34:35], 1
	s_cmpk_lt_i32 s22, 0x1b00
	v_add_co_u32 v22, vcc_lo, v1, s34
	s_cselect_b32 s36, s42, 0xd00
	v_add_co_ci_u32_e32 v23, vcc_lo, s35, v3, vcc_lo
	s_ashr_i32 s37, s36, 31
	s_delay_alu instid0(SALU_CYCLE_1)
	;; [unrolled: 7-line block ×6, first 2 shown]
	s_lshl_b64 s[4:5], s[20:21], 1
	s_cmpk_lt_i32 s22, 0x2000
	v_add_co_u32 v32, vcc_lo, v1, s4
	s_cselect_b32 s6, s42, 0xf80
	v_add_co_ci_u32_e32 v33, vcc_lo, s5, v3, vcc_lo
	s_ashr_i32 s7, s6, 31
	s_delay_alu instid0(SALU_CYCLE_1) | instskip(NEXT) | instid1(SALU_CYCLE_1)
	s_lshl_b64 s[4:5], s[6:7], 1
	v_add_co_u32 v34, vcc_lo, v1, s4
	v_add_co_ci_u32_e32 v35, vcc_lo, s5, v3, vcc_lo
	s_clause 0x7
	global_load_u16 v20, v[20:21], off
	global_load_u16 v21, v[22:23], off
	;; [unrolled: 1-line block ×8, first 2 shown]
	s_waitcnt vmcnt(15)
	v_cvt_f32_f16_e32 v35, v36
	s_waitcnt vmcnt(14)
	v_cvt_f32_f16_e32 v34, v37
	;; [unrolled: 2-line block ×16, first 2 shown]
.LBB278_11:
	ds_load_b128 v[36:39], v2
	ds_load_b128 v[40:43], v2 offset:16
	s_load_b64 s[0:1], s[0:1], 0x0
	s_and_b32 vcc_lo, exec_lo, s8
	s_waitcnt lgkmcnt(0)
	v_fma_mix_f32 v7, v36, v7, 0 op_sel_hi:[0,1,0]
	s_delay_alu instid0(VALU_DEP_1) | instskip(NEXT) | instid1(VALU_DEP_1)
	v_fma_mix_f32 v7, v37, v8, v7 op_sel_hi:[0,1,0]
	v_fma_mix_f32 v7, v38, v9, v7 op_sel_hi:[0,1,0]
	s_delay_alu instid0(VALU_DEP_1) | instskip(SKIP_4) | instid1(VALU_DEP_1)
	v_fma_mix_f32 v7, v39, v10, v7 op_sel_hi:[0,1,0]
	ds_load_b128 v[36:39], v2 offset:48
	v_fma_mix_f32 v11, v40, v11, v7 op_sel_hi:[0,1,0]
	ds_load_b128 v[7:10], v2 offset:32
	v_fma_mix_f32 v4, v41, v4, v11 op_sel_hi:[0,1,0]
	v_fma_mix_f32 v4, v42, v5, v4 op_sel_hi:[0,1,0]
	s_delay_alu instid0(VALU_DEP_1) | instskip(SKIP_1) | instid1(VALU_DEP_1)
	v_fma_mix_f32 v4, v43, v6, v4 op_sel_hi:[0,1,0]
	s_waitcnt lgkmcnt(0)
	v_fma_mix_f32 v4, v7, v14, v4 op_sel_hi:[0,1,0]
	s_delay_alu instid0(VALU_DEP_1) | instskip(NEXT) | instid1(VALU_DEP_1)
	v_fma_mix_f32 v4, v8, v15, v4 op_sel_hi:[0,1,0]
	v_fma_mix_f32 v4, v9, v16, v4 op_sel_hi:[0,1,0]
	s_delay_alu instid0(VALU_DEP_1) | instskip(NEXT) | instid1(VALU_DEP_1)
	v_fma_mix_f32 v4, v10, v17, v4 op_sel_hi:[0,1,0]
	v_fma_mix_f32 v4, v36, v18, v4 op_sel_hi:[0,1,0]
	s_delay_alu instid0(VALU_DEP_1) | instskip(NEXT) | instid1(VALU_DEP_1)
	v_fma_mix_f32 v4, v37, v12, v4 op_sel_hi:[0,1,0]
	v_fma_mix_f32 v4, v38, v13, v4 op_sel_hi:[0,1,0]
	s_delay_alu instid0(VALU_DEP_1)
	v_fma_mix_f32 v4, v39, v19, v4 op_sel_hi:[0,1,0]
	s_cbranch_vccz .LBB278_13
; %bb.12:
	ds_load_b128 v[5:8], v2 offset:64
	ds_load_b128 v[9:12], v2 offset:80
	s_waitcnt lgkmcnt(1)
	v_fmac_f32_e32 v4, v5, v35
	s_delay_alu instid0(VALU_DEP_1) | instskip(NEXT) | instid1(VALU_DEP_1)
	v_fmac_f32_e32 v4, v6, v34
	v_fmac_f32_e32 v4, v7, v33
	s_delay_alu instid0(VALU_DEP_1) | instskip(SKIP_3) | instid1(VALU_DEP_1)
	v_fmac_f32_e32 v4, v8, v32
	ds_load_b128 v[5:8], v2 offset:96
	s_waitcnt lgkmcnt(1)
	v_fmac_f32_e32 v4, v9, v31
	v_fmac_f32_e32 v4, v10, v30
	s_delay_alu instid0(VALU_DEP_1) | instskip(NEXT) | instid1(VALU_DEP_1)
	v_fmac_f32_e32 v4, v11, v29
	v_fmac_f32_e32 v4, v12, v28
	ds_load_b128 v[9:12], v2 offset:112
	s_waitcnt lgkmcnt(1)
	v_fmac_f32_e32 v4, v5, v27
	s_delay_alu instid0(VALU_DEP_1) | instskip(NEXT) | instid1(VALU_DEP_1)
	v_fmac_f32_e32 v4, v6, v26
	v_fmac_f32_e32 v4, v7, v25
	s_delay_alu instid0(VALU_DEP_1) | instskip(SKIP_1) | instid1(VALU_DEP_1)
	v_fmac_f32_e32 v4, v8, v24
	s_waitcnt lgkmcnt(0)
	v_fmac_f32_e32 v4, v9, v23
	s_delay_alu instid0(VALU_DEP_1) | instskip(NEXT) | instid1(VALU_DEP_1)
	v_fmac_f32_e32 v4, v10, v22
	v_fmac_f32_e32 v4, v11, v21
	s_delay_alu instid0(VALU_DEP_1)
	v_fmac_f32_e32 v4, v12, v20
.LBB278_13:
	s_movk_i32 s43, 0x1f80
	s_movk_i32 s44, 0x80
	s_mov_b32 s45, 32
	s_branch .LBB278_15
.LBB278_14:                             ;   in Loop: Header=BB278_15 Depth=1
	s_addk_i32 s43, 0x1000
	s_addk_i32 s44, 0x80
	s_add_i32 s45, s45, 32
	s_cmpk_eq_u32 s43, 0x9f80
	s_cbranch_scc1 .LBB278_17
.LBB278_15:                             ; =>This Inner Loop Header: Depth=1
	s_cmp_le_i32 s40, s45
	s_cbranch_scc1 .LBB278_14
; %bb.16:                               ;   in Loop: Header=BB278_15 Depth=1
	s_add_i32 s4, s43, 0xfffff080
	v_mov_b32_e32 v44, s44
	s_cmp_lt_i32 s4, s41
	s_cselect_b32 s4, s4, s42
	s_add_i32 s6, s43, 0xfffff100
	s_ashr_i32 s5, s4, 31
	s_delay_alu instid0(SALU_CYCLE_1)
	s_lshl_b64 s[4:5], s[4:5], 1
	s_cmp_lt_i32 s6, s41
	v_add_co_u32 v5, vcc_lo, v1, s4
	s_cselect_b32 s6, s6, s42
	s_add_i32 s10, s43, 0xfffff180
	s_ashr_i32 s7, s6, 31
	v_add_co_ci_u32_e32 v6, vcc_lo, s5, v3, vcc_lo
	s_lshl_b64 s[8:9], s[6:7], 1
	s_cmp_lt_i32 s10, s41
	v_add_co_u32 v7, vcc_lo, v1, s8
	s_cselect_b32 s6, s10, s42
	s_add_i32 s10, s43, 0xfffff200
	s_ashr_i32 s7, s6, 31
	v_add_co_ci_u32_e32 v8, vcc_lo, s9, v3, vcc_lo
	;; [unrolled: 7-line block ×8, first 2 shown]
	s_lshl_b64 s[24:25], s[20:21], 1
	s_cmp_lt_i32 s28, s41
	s_clause 0x7
	global_load_u16 v2, v[5:6], off
	global_load_u16 v21, v[7:8], off
	;; [unrolled: 1-line block ×8, first 2 shown]
	s_cselect_b32 s20, s28, s42
	s_add_i32 s28, s43, 0xfffff580
	s_ashr_i32 s21, s20, 31
	v_add_co_u32 v5, vcc_lo, v1, s24
	s_lshl_b64 s[20:21], s[20:21], 1
	s_cmp_lt_i32 s28, s41
	v_add_co_ci_u32_e32 v6, vcc_lo, s25, v3, vcc_lo
	s_cselect_b32 s28, s28, s42
	s_add_i32 s36, s43, 0xfffff600
	s_ashr_i32 s29, s28, 31
	v_add_co_u32 v7, vcc_lo, v1, s20
	s_lshl_b64 s[30:31], s[28:29], 1
	s_cmp_lt_i32 s36, s41
	v_add_co_ci_u32_e32 v8, vcc_lo, s21, v3, vcc_lo
	;; [unrolled: 7-line block ×8, first 2 shown]
	s_cselect_b32 s10, s10, s42
	s_add_i32 s18, s43, 0xfffff980
	s_ashr_i32 s11, s10, 31
	s_clause 0x7
	global_load_u16 v28, v[5:6], off
	global_load_u16 v29, v[7:8], off
	;; [unrolled: 1-line block ×8, first 2 shown]
	s_lshl_b64 s[10:11], s[10:11], 1
	s_cmp_lt_i32 s18, s41
	v_add_co_u32 v5, vcc_lo, v1, s4
	s_cselect_b32 s18, s18, s42
	s_add_i32 s22, s43, 0xfffffa00
	s_ashr_i32 s19, s18, 31
	v_add_co_ci_u32_e32 v6, vcc_lo, s5, v3, vcc_lo
	s_lshl_b64 s[18:19], s[18:19], 1
	s_cmp_lt_i32 s22, s41
	v_add_co_u32 v7, vcc_lo, v1, s10
	s_cselect_b32 s20, s22, s42
	s_add_i32 s22, s43, 0xfffffa80
	s_ashr_i32 s21, s20, 31
	v_add_co_ci_u32_e32 v8, vcc_lo, s11, v3, vcc_lo
	;; [unrolled: 7-line block ×5, first 2 shown]
	s_lshl_b64 s[6:7], s[6:7], 1
	s_cmp_lt_i32 s24, s41
	s_clause 0x4
	global_load_u16 v19, v[5:6], off
	global_load_u16 v20, v[7:8], off
	global_load_u16 v34, v[9:10], off
	global_load_u16 v35, v[11:12], off
	global_load_u16 v36, v[13:14], off
	s_cselect_b32 s4, s24, s42
	s_add_i32 s10, s43, 0xfffffc80
	s_ashr_i32 s5, s4, 31
	v_add_co_u32 v5, vcc_lo, v1, s8
	s_lshl_b64 s[4:5], s[4:5], 1
	s_cmp_lt_i32 s10, s41
	v_add_co_ci_u32_e32 v6, vcc_lo, s9, v3, vcc_lo
	s_cselect_b32 s10, s10, s42
	s_add_i32 s18, s43, 0xfffffd00
	s_ashr_i32 s11, s10, 31
	v_add_co_u32 v7, vcc_lo, v1, s6
	s_lshl_b64 s[10:11], s[10:11], 1
	s_cmp_lt_i32 s18, s41
	v_add_co_ci_u32_e32 v8, vcc_lo, s7, v3, vcc_lo
	s_cselect_b32 s18, s18, s42
	s_add_i32 s20, s43, 0xfffffd80
	s_ashr_i32 s19, s18, 31
	v_add_co_u32 v9, vcc_lo, v1, s4
	s_lshl_b64 s[18:19], s[18:19], 1
	s_cmp_lt_i32 s20, s41
	global_load_u16 v37, v[5:6], off
	s_cselect_b32 s8, s20, s42
	s_add_i32 s20, s43, 0xfffffe00
	s_ashr_i32 s9, s8, 31
	v_add_co_ci_u32_e32 v10, vcc_lo, s5, v3, vcc_lo
	s_lshl_b64 s[6:7], s[8:9], 1
	s_cmp_lt_i32 s20, s41
	v_add_co_u32 v11, vcc_lo, v1, s10
	s_cselect_b32 s4, s20, s42
	s_clause 0x1
	global_load_u16 v38, v[7:8], off
	global_load_u16 v39, v[9:10], off
	v_add_co_ci_u32_e32 v12, vcc_lo, s11, v3, vcc_lo
	s_ashr_i32 s5, s4, 31
	s_add_i32 s8, s43, 0xfffffe80
	v_add_co_u32 v13, vcc_lo, v1, s18
	s_lshl_b64 s[4:5], s[4:5], 1
	s_cmp_lt_i32 s8, s41
	v_add_co_ci_u32_e32 v14, vcc_lo, s19, v3, vcc_lo
	v_add_co_u32 v15, vcc_lo, v1, s6
	s_cselect_b32 s8, s8, s42
	v_add_co_ci_u32_e32 v16, vcc_lo, s7, v3, vcc_lo
	s_ashr_i32 s9, s8, 31
	s_add_i32 s10, s43, 0xffffff00
	s_lshl_b64 s[6:7], s[8:9], 1
	s_clause 0x2
	global_load_u16 v40, v[11:12], off
	global_load_u16 v13, v[13:14], off
	;; [unrolled: 1-line block ×3, first 2 shown]
	s_cmp_lt_i32 s10, s41
	v_add_co_u32 v5, vcc_lo, v1, s4
	s_cselect_b32 s8, s10, s42
	s_add_i32 s10, s43, 0xffffff80
	s_ashr_i32 s9, s8, 31
	v_add_co_ci_u32_e32 v6, vcc_lo, s5, v3, vcc_lo
	s_lshl_b64 s[8:9], s[8:9], 1
	s_cmp_lt_i32 s10, s41
	v_add_co_u32 v7, vcc_lo, v1, s6
	s_cselect_b32 s4, s10, s42
	v_add_co_ci_u32_e32 v8, vcc_lo, s7, v3, vcc_lo
	s_ashr_i32 s5, s4, 31
	v_add_co_u32 v9, vcc_lo, v1, s8
	global_load_u16 v15, v[5:6], off
	s_lshl_b64 s[4:5], s[4:5], 1
	v_add_co_ci_u32_e32 v10, vcc_lo, s9, v3, vcc_lo
	s_cmp_lt_i32 s43, s41
	s_clause 0x1
	global_load_u16 v16, v[7:8], off
	global_load_u16 v41, v[9:10], off
	s_cselect_b32 s6, s43, s42
	v_add_co_u32 v5, vcc_lo, v1, s4
	s_ashr_i32 s7, s6, 31
	v_add_co_ci_u32_e32 v6, vcc_lo, s5, v3, vcc_lo
	s_lshl_b64 s[4:5], s[6:7], 1
	s_delay_alu instid0(SALU_CYCLE_1)
	v_add_co_u32 v7, vcc_lo, v1, s4
	v_add_co_ci_u32_e32 v8, vcc_lo, s5, v3, vcc_lo
	s_clause 0x1
	global_load_u16 v42, v[5:6], off
	global_load_u16 v43, v[7:8], off
	ds_load_b128 v[5:8], v44
	ds_load_b128 v[9:12], v44 offset:16
	s_waitcnt vmcnt(31) lgkmcnt(1)
	v_fma_mix_f32 v2, v5, v2, v4 op_sel_hi:[0,1,0]
	s_waitcnt vmcnt(30)
	s_delay_alu instid0(VALU_DEP_1) | instskip(SKIP_1) | instid1(VALU_DEP_1)
	v_fma_mix_f32 v2, v6, v21, v2 op_sel_hi:[0,1,0]
	s_waitcnt vmcnt(29)
	v_fma_mix_f32 v2, v7, v22, v2 op_sel_hi:[0,1,0]
	ds_load_b128 v[4:7], v44 offset:32
	s_waitcnt vmcnt(28)
	v_fma_mix_f32 v2, v8, v23, v2 op_sel_hi:[0,1,0]
	s_waitcnt vmcnt(27) lgkmcnt(1)
	s_delay_alu instid0(VALU_DEP_1) | instskip(SKIP_1) | instid1(VALU_DEP_1)
	v_fma_mix_f32 v2, v9, v24, v2 op_sel_hi:[0,1,0]
	s_waitcnt vmcnt(26)
	v_fma_mix_f32 v2, v10, v25, v2 op_sel_hi:[0,1,0]
	s_waitcnt vmcnt(25)
	s_delay_alu instid0(VALU_DEP_1) | instskip(SKIP_4) | instid1(VALU_DEP_1)
	v_fma_mix_f32 v2, v11, v26, v2 op_sel_hi:[0,1,0]
	ds_load_b128 v[8:11], v44 offset:48
	s_waitcnt vmcnt(24)
	v_fma_mix_f32 v2, v12, v27, v2 op_sel_hi:[0,1,0]
	s_waitcnt vmcnt(23) lgkmcnt(1)
	v_fma_mix_f32 v2, v4, v28, v2 op_sel_hi:[0,1,0]
	s_waitcnt vmcnt(22)
	s_delay_alu instid0(VALU_DEP_1) | instskip(SKIP_1) | instid1(VALU_DEP_1)
	v_fma_mix_f32 v2, v5, v29, v2 op_sel_hi:[0,1,0]
	s_waitcnt vmcnt(21)
	v_fma_mix_f32 v2, v6, v30, v2 op_sel_hi:[0,1,0]
	s_waitcnt vmcnt(20)
	s_delay_alu instid0(VALU_DEP_1) | instskip(SKIP_4) | instid1(VALU_DEP_1)
	v_fma_mix_f32 v2, v7, v31, v2 op_sel_hi:[0,1,0]
	ds_load_b128 v[4:7], v44 offset:64
	s_waitcnt vmcnt(19) lgkmcnt(1)
	v_fma_mix_f32 v2, v8, v32, v2 op_sel_hi:[0,1,0]
	s_waitcnt vmcnt(18)
	v_fma_mix_f32 v2, v9, v33, v2 op_sel_hi:[0,1,0]
	s_waitcnt vmcnt(17)
	s_delay_alu instid0(VALU_DEP_1) | instskip(SKIP_1) | instid1(VALU_DEP_1)
	v_fma_mix_f32 v2, v10, v17, v2 op_sel_hi:[0,1,0]
	s_waitcnt vmcnt(16)
	v_fma_mix_f32 v2, v11, v18, v2 op_sel_hi:[0,1,0]
	ds_load_b128 v[8:11], v44 offset:80
	s_waitcnt vmcnt(15) lgkmcnt(1)
	v_fma_mix_f32 v2, v4, v19, v2 op_sel_hi:[0,1,0]
	s_waitcnt vmcnt(14)
	s_delay_alu instid0(VALU_DEP_1) | instskip(SKIP_1) | instid1(VALU_DEP_1)
	v_fma_mix_f32 v2, v5, v20, v2 op_sel_hi:[0,1,0]
	s_waitcnt vmcnt(13)
	v_fma_mix_f32 v2, v6, v34, v2 op_sel_hi:[0,1,0]
	s_waitcnt vmcnt(12)
	s_delay_alu instid0(VALU_DEP_1) | instskip(SKIP_4) | instid1(VALU_DEP_1)
	v_fma_mix_f32 v2, v7, v35, v2 op_sel_hi:[0,1,0]
	ds_load_b128 v[4:7], v44 offset:96
	s_waitcnt vmcnt(11) lgkmcnt(1)
	v_fma_mix_f32 v2, v8, v36, v2 op_sel_hi:[0,1,0]
	s_waitcnt vmcnt(10)
	v_fma_mix_f32 v2, v9, v37, v2 op_sel_hi:[0,1,0]
	s_waitcnt vmcnt(9)
	s_delay_alu instid0(VALU_DEP_1) | instskip(SKIP_1) | instid1(VALU_DEP_1)
	v_fma_mix_f32 v2, v10, v38, v2 op_sel_hi:[0,1,0]
	s_waitcnt vmcnt(8)
	v_fma_mix_f32 v2, v11, v39, v2 op_sel_hi:[0,1,0]
	ds_load_b128 v[8:11], v44 offset:112
	s_waitcnt vmcnt(7) lgkmcnt(1)
	v_fma_mix_f32 v2, v4, v40, v2 op_sel_hi:[0,1,0]
	s_waitcnt vmcnt(6)
	s_delay_alu instid0(VALU_DEP_1) | instskip(SKIP_1) | instid1(VALU_DEP_1)
	v_fma_mix_f32 v2, v5, v13, v2 op_sel_hi:[0,1,0]
	s_waitcnt vmcnt(5)
	v_fma_mix_f32 v2, v6, v14, v2 op_sel_hi:[0,1,0]
	s_waitcnt vmcnt(4)
	s_delay_alu instid0(VALU_DEP_1) | instskip(SKIP_1) | instid1(VALU_DEP_1)
	v_fma_mix_f32 v2, v7, v15, v2 op_sel_hi:[0,1,0]
	s_waitcnt vmcnt(3) lgkmcnt(0)
	v_fma_mix_f32 v2, v8, v16, v2 op_sel_hi:[0,1,0]
	s_waitcnt vmcnt(2)
	s_delay_alu instid0(VALU_DEP_1) | instskip(SKIP_1) | instid1(VALU_DEP_1)
	v_fma_mix_f32 v2, v9, v41, v2 op_sel_hi:[0,1,0]
	s_waitcnt vmcnt(1)
	v_fma_mix_f32 v2, v10, v42, v2 op_sel_hi:[0,1,0]
	s_waitcnt vmcnt(0)
	s_delay_alu instid0(VALU_DEP_1)
	v_fma_mix_f32 v4, v11, v43, v2 op_sel_hi:[0,1,0]
	s_branch .LBB278_14
.LBB278_17:
	v_mov_b32_e32 v1, 0
	s_and_b32 vcc_lo, exec_lo, s15
	ds_load_b32 v1, v1 offset:1152
	s_cbranch_vccz .LBB278_19
; %bb.18:
	s_add_u32 s2, s12, s16
	s_addc_u32 s3, s13, s17
	s_load_b32 s2, s[2:3], 0x0
	s_mov_b32 s3, 0
.LBB278_19:
	s_waitcnt lgkmcnt(0)
	v_add_f32_e32 v1, 0x358637bd, v1
	s_mul_i32 s3, s33, s3
	s_mul_hi_u32 s4, s33, s2
	s_mul_i32 s2, s33, s2
	s_add_i32 s3, s4, s3
	v_div_scale_f32 v2, null, v1, v1, 1.0
	s_lshl_b64 s[2:3], s[2:3], 8
	s_mov_b32 s15, 0
	s_add_u32 s2, s0, s2
	s_delay_alu instid0(VALU_DEP_1) | instskip(SKIP_2) | instid1(SALU_CYCLE_1)
	v_rcp_f32_e32 v3, v2
	s_addc_u32 s3, s1, s3
	s_lshl_b64 s[0:1], s[14:15], 8
	s_add_u32 s0, s2, s0
	s_addc_u32 s1, s3, s1
	s_waitcnt_depctr 0xfff
	v_fma_f32 v5, -v2, v3, 1.0
	s_delay_alu instid0(VALU_DEP_1) | instskip(SKIP_1) | instid1(VALU_DEP_1)
	v_fmac_f32_e32 v3, v5, v3
	v_div_scale_f32 v5, vcc_lo, 1.0, v1, 1.0
	v_mul_f32_e32 v6, v5, v3
	s_delay_alu instid0(VALU_DEP_1) | instskip(NEXT) | instid1(VALU_DEP_1)
	v_fma_f32 v7, -v2, v6, v5
	v_fmac_f32_e32 v6, v7, v3
	s_delay_alu instid0(VALU_DEP_1) | instskip(NEXT) | instid1(VALU_DEP_1)
	v_fma_f32 v2, -v2, v6, v5
	v_div_fmas_f32 v2, v2, v3, v6
	s_delay_alu instid0(VALU_DEP_1) | instskip(NEXT) | instid1(VALU_DEP_1)
	v_div_fixup_f32 v1, v2, v1, 1.0
	v_fma_mixlo_f16 v1, v4, v1, 0
	global_store_b16 v0, v1, s[0:1]
	s_nop 0
	s_sendmsg sendmsg(MSG_DEALLOC_VGPRS)
	s_endpgm
.LBB278_20:
	s_mov_b32 s4, 0
	s_branch .LBB278_2
	.section	.rodata,"a",@progbits
	.p2align	6, 0x0
	.amdhsa_kernel _Z35paged_attention_ll4mi_reduce_kernelIDF16_DF16_Li128ELi128ELi256ELi9EEvPT0_PKfS3_PKT_PKiS8_iS3_
		.amdhsa_group_segment_fixed_size 1156
		.amdhsa_private_segment_fixed_size 0
		.amdhsa_kernarg_size 320
		.amdhsa_user_sgpr_count 14
		.amdhsa_user_sgpr_dispatch_ptr 0
		.amdhsa_user_sgpr_queue_ptr 0
		.amdhsa_user_sgpr_kernarg_segment_ptr 1
		.amdhsa_user_sgpr_dispatch_id 0
		.amdhsa_user_sgpr_private_segment_size 0
		.amdhsa_wavefront_size32 1
		.amdhsa_uses_dynamic_stack 0
		.amdhsa_enable_private_segment 0
		.amdhsa_system_sgpr_workgroup_id_x 1
		.amdhsa_system_sgpr_workgroup_id_y 1
		.amdhsa_system_sgpr_workgroup_id_z 0
		.amdhsa_system_sgpr_workgroup_info 0
		.amdhsa_system_vgpr_workitem_id 0
		.amdhsa_next_free_vgpr 52
		.amdhsa_next_free_sgpr 47
		.amdhsa_reserve_vcc 1
		.amdhsa_float_round_mode_32 0
		.amdhsa_float_round_mode_16_64 0
		.amdhsa_float_denorm_mode_32 3
		.amdhsa_float_denorm_mode_16_64 3
		.amdhsa_dx10_clamp 1
		.amdhsa_ieee_mode 1
		.amdhsa_fp16_overflow 0
		.amdhsa_workgroup_processor_mode 1
		.amdhsa_memory_ordered 1
		.amdhsa_forward_progress 0
		.amdhsa_shared_vgpr_count 0
		.amdhsa_exception_fp_ieee_invalid_op 0
		.amdhsa_exception_fp_denorm_src 0
		.amdhsa_exception_fp_ieee_div_zero 0
		.amdhsa_exception_fp_ieee_overflow 0
		.amdhsa_exception_fp_ieee_underflow 0
		.amdhsa_exception_fp_ieee_inexact 0
		.amdhsa_exception_int_div_zero 0
	.end_amdhsa_kernel
	.section	.text._Z35paged_attention_ll4mi_reduce_kernelIDF16_DF16_Li128ELi128ELi256ELi9EEvPT0_PKfS3_PKT_PKiS8_iS3_,"axG",@progbits,_Z35paged_attention_ll4mi_reduce_kernelIDF16_DF16_Li128ELi128ELi256ELi9EEvPT0_PKfS3_PKT_PKiS8_iS3_,comdat
.Lfunc_end278:
	.size	_Z35paged_attention_ll4mi_reduce_kernelIDF16_DF16_Li128ELi128ELi256ELi9EEvPT0_PKfS3_PKT_PKiS8_iS3_, .Lfunc_end278-_Z35paged_attention_ll4mi_reduce_kernelIDF16_DF16_Li128ELi128ELi256ELi9EEvPT0_PKfS3_PKT_PKiS8_iS3_
                                        ; -- End function
	.section	.AMDGPU.csdata,"",@progbits
; Kernel info:
; codeLenInByte = 6720
; NumSgprs: 49
; NumVgprs: 52
; ScratchSize: 0
; MemoryBound: 0
; FloatMode: 240
; IeeeMode: 1
; LDSByteSize: 1156 bytes/workgroup (compile time only)
; SGPRBlocks: 6
; VGPRBlocks: 6
; NumSGPRsForWavesPerEU: 49
; NumVGPRsForWavesPerEU: 52
; Occupancy: 16
; WaveLimiterHint : 0
; COMPUTE_PGM_RSRC2:SCRATCH_EN: 0
; COMPUTE_PGM_RSRC2:USER_SGPR: 14
; COMPUTE_PGM_RSRC2:TRAP_HANDLER: 0
; COMPUTE_PGM_RSRC2:TGID_X_EN: 1
; COMPUTE_PGM_RSRC2:TGID_Y_EN: 1
; COMPUTE_PGM_RSRC2:TGID_Z_EN: 0
; COMPUTE_PGM_RSRC2:TIDIG_COMP_CNT: 0
	.section	.text._Z35paged_attention_ll4mi_reduce_kernelIDF16_DF16_Li128ELi128ELi256ELi10EEvPT0_PKfS3_PKT_PKiS8_iS3_,"axG",@progbits,_Z35paged_attention_ll4mi_reduce_kernelIDF16_DF16_Li128ELi128ELi256ELi10EEvPT0_PKfS3_PKT_PKiS8_iS3_,comdat
	.protected	_Z35paged_attention_ll4mi_reduce_kernelIDF16_DF16_Li128ELi128ELi256ELi10EEvPT0_PKfS3_PKT_PKiS8_iS3_ ; -- Begin function _Z35paged_attention_ll4mi_reduce_kernelIDF16_DF16_Li128ELi128ELi256ELi10EEvPT0_PKfS3_PKT_PKiS8_iS3_
	.globl	_Z35paged_attention_ll4mi_reduce_kernelIDF16_DF16_Li128ELi128ELi256ELi10EEvPT0_PKfS3_PKT_PKiS8_iS3_
	.p2align	8
	.type	_Z35paged_attention_ll4mi_reduce_kernelIDF16_DF16_Li128ELi128ELi256ELi10EEvPT0_PKfS3_PKT_PKiS8_iS3_,@function
_Z35paged_attention_ll4mi_reduce_kernelIDF16_DF16_Li128ELi128ELi256ELi10EEvPT0_PKfS3_PKT_PKiS8_iS3_: ; @_Z35paged_attention_ll4mi_reduce_kernelIDF16_DF16_Li128ELi128ELi256ELi10EEvPT0_PKfS3_PKT_PKiS8_iS3_
; %bb.0:
	s_load_b64 s[12:13], s[0:1], 0x28
	s_mov_b32 s2, s15
	s_waitcnt lgkmcnt(0)
	s_cmp_lg_u64 s[12:13], 0
	s_cselect_b32 s15, -1, 0
	s_delay_alu instid0(SALU_CYCLE_1)
	s_and_b32 vcc_lo, exec_lo, s15
	s_cbranch_vccz .LBB279_20
; %bb.1:
	s_add_i32 s4, s2, 1
	s_mov_b32 s5, 0
	s_delay_alu instid0(SALU_CYCLE_1) | instskip(SKIP_4) | instid1(SALU_CYCLE_1)
	s_lshl_b64 s[6:7], s[4:5], 2
	s_mov_b32 s3, s5
	s_add_u32 s6, s12, s6
	s_addc_u32 s7, s13, s7
	s_lshl_b64 s[8:9], s[2:3], 2
	s_add_u32 s8, s12, s8
	s_addc_u32 s9, s13, s9
	s_clause 0x1
	s_load_b32 s4, s[6:7], 0x0
	s_load_b32 s6, s[8:9], 0x0
	s_waitcnt lgkmcnt(0)
	s_sub_i32 s4, s4, s6
	s_delay_alu instid0(SALU_CYCLE_1)
	s_cmp_eq_u32 s4, 1
	s_cselect_b32 s4, -1, 0
	s_cbranch_execnz .LBB279_3
.LBB279_2:
	s_mov_b32 s3, 0
	s_mov_b32 s4, -1
.LBB279_3:
	s_delay_alu instid0(SALU_CYCLE_1)
	s_and_not1_b32 vcc_lo, exec_lo, s4
	s_cbranch_vccz .LBB279_5
; %bb.4:
	s_endpgm
.LBB279_5:
	s_clause 0x1
	s_load_b128 s[4:7], s[0:1], 0x18
	s_load_b32 s9, s[0:1], 0x30
	s_lshl_b64 s[16:17], s[2:3], 2
	s_waitcnt lgkmcnt(0)
	s_add_u32 s6, s6, s16
	s_addc_u32 s7, s7, s17
	s_load_b32 s23, s[6:7], 0x0
	s_load_b32 s33, s[0:1], 0x40
	s_mul_i32 s7, s2, s9
	s_waitcnt lgkmcnt(0)
	s_add_i32 s22, s23, 0xff
	s_delay_alu instid0(SALU_CYCLE_1) | instskip(NEXT) | instid1(SALU_CYCLE_1)
	s_ashr_i32 s6, s22, 31
	s_lshr_b32 s6, s6, 24
	s_delay_alu instid0(SALU_CYCLE_1) | instskip(SKIP_4) | instid1(SALU_CYCLE_1)
	s_add_i32 s8, s22, s6
	s_mul_i32 s6, s14, s9
	s_mov_b32 s9, exec_lo
	v_cmpx_lt_u32_e32 31, v0
	s_xor_b32 s9, exec_lo, s9
	s_or_saveexec_b32 s24, s9
	v_mov_b32_e32 v1, s6
	s_ashr_i32 s40, s8, 8
	s_mul_i32 s18, s7, s33
	s_xor_b32 exec_lo, exec_lo, s24
	s_cbranch_execz .LBB279_9
; %bb.6:
	v_or_b32_e32 v2, 32, v0
	v_cmp_gt_i32_e32 vcc_lo, s40, v0
	s_add_i32 s25, s40, -1
	v_or_b32_e32 v4, 64, v0
	v_or_b32_e32 v6, 0x60, v0
	s_load_b128 s[8:11], s[0:1], 0x8
	v_cndmask_b32_e32 v1, s25, v0, vcc_lo
	v_cmp_gt_i32_e32 vcc_lo, s40, v2
	s_mov_b32 s19, 0
	v_or_b32_e32 v10, 0x120, v0
	s_lshl_b64 s[20:21], s[18:19], 2
	s_mov_b32 s7, s19
	v_cndmask_b32_e32 v3, s25, v2, vcc_lo
	v_cmp_gt_i32_e32 vcc_lo, s40, v4
	v_or_b32_e32 v2, 0x80, v0
	v_cndmask_b32_e32 v5, s25, v4, vcc_lo
	v_cmp_gt_i32_e32 vcc_lo, s40, v6
	v_or_b32_e32 v4, 0xa0, v0
	;; [unrolled: 3-line block ×3, first 2 shown]
	s_waitcnt lgkmcnt(0)
	s_add_u32 s19, s10, s20
	s_addc_u32 s26, s11, s21
	s_lshl_b64 s[10:11], s[6:7], 2
	v_cndmask_b32_e32 v9, s25, v2, vcc_lo
	v_or_b32_e32 v2, 0xc0, v0
	v_cmp_gt_i32_e32 vcc_lo, s40, v4
	s_add_u32 s7, s19, s10
	s_addc_u32 s19, s26, s11
	v_ashrrev_i32_e32 v8, 31, v7
	v_cndmask_b32_e32 v11, s25, v4, vcc_lo
	v_cmp_gt_i32_e32 vcc_lo, s40, v2
	v_or_b32_e32 v4, 0x100, v0
	s_delay_alu instid0(VALU_DEP_4) | instskip(NEXT) | instid1(VALU_DEP_4)
	v_lshlrev_b64 v[7:8], 2, v[7:8]
	v_ashrrev_i32_e32 v12, 31, v11
	v_cndmask_b32_e32 v13, s25, v2, vcc_lo
	v_cmp_gt_i32_e32 vcc_lo, s40, v6
	v_ashrrev_i32_e32 v2, 31, v1
	s_delay_alu instid0(VALU_DEP_4) | instskip(NEXT) | instid1(VALU_DEP_4)
	v_lshlrev_b64 v[11:12], 2, v[11:12]
	v_ashrrev_i32_e32 v14, 31, v13
	v_cndmask_b32_e32 v15, s25, v6, vcc_lo
	v_cmp_gt_i32_e32 vcc_lo, s40, v4
	v_lshlrev_b64 v[1:2], 2, v[1:2]
	v_ashrrev_i32_e32 v6, 31, v5
	v_lshlrev_b64 v[13:14], 2, v[13:14]
	v_ashrrev_i32_e32 v16, 31, v15
	v_cndmask_b32_e32 v17, s25, v4, vcc_lo
	v_ashrrev_i32_e32 v4, 31, v3
	v_add_co_u32 v18, vcc_lo, s7, v1
	v_add_co_ci_u32_e32 v19, vcc_lo, s19, v2, vcc_lo
	s_delay_alu instid0(VALU_DEP_3) | instskip(SKIP_2) | instid1(VALU_DEP_3)
	v_lshlrev_b64 v[3:4], 2, v[3:4]
	v_lshlrev_b64 v[5:6], 2, v[5:6]
	;; [unrolled: 1-line block ×3, first 2 shown]
	v_add_co_u32 v20, vcc_lo, s7, v3
	s_delay_alu instid0(VALU_DEP_4)
	v_add_co_ci_u32_e32 v21, vcc_lo, s19, v4, vcc_lo
	v_cmp_gt_i32_e32 vcc_lo, s40, v10
	s_clause 0x1
	global_load_b32 v34, v[18:19], off
	global_load_b32 v35, v[20:21], off
	v_ashrrev_i32_e32 v18, 31, v17
	v_cndmask_b32_e32 v22, s25, v10, vcc_lo
	v_ashrrev_i32_e32 v10, 31, v9
	v_add_co_u32 v19, vcc_lo, s7, v5
	v_add_co_ci_u32_e32 v20, vcc_lo, s19, v6, vcc_lo
	s_delay_alu instid0(VALU_DEP_3) | instskip(SKIP_3) | instid1(VALU_DEP_4)
	v_lshlrev_b64 v[9:10], 2, v[9:10]
	v_add_co_u32 v24, vcc_lo, s7, v7
	v_add_co_ci_u32_e32 v25, vcc_lo, s19, v8, vcc_lo
	v_ashrrev_i32_e32 v23, 31, v22
	v_add_co_u32 v26, vcc_lo, s7, v9
	v_add_co_ci_u32_e32 v27, vcc_lo, s19, v10, vcc_lo
	v_add_co_u32 v28, vcc_lo, s7, v11
	v_add_co_ci_u32_e32 v29, vcc_lo, s19, v12, vcc_lo
	;; [unrolled: 2-line block ×3, first 2 shown]
	v_lshlrev_b64 v[17:18], 2, v[17:18]
	v_add_co_u32 v32, vcc_lo, s7, v15
	v_add_co_ci_u32_e32 v33, vcc_lo, s19, v16, vcc_lo
	s_clause 0x5
	global_load_b32 v36, v[19:20], off
	global_load_b32 v25, v[24:25], off
	global_load_b32 v26, v[26:27], off
	global_load_b32 v27, v[28:29], off
	global_load_b32 v28, v[30:31], off
	global_load_b32 v29, v[32:33], off
	v_lshlrev_b64 v[19:20], 2, v[22:23]
	v_add_co_u32 v21, vcc_lo, s7, v17
	v_add_co_ci_u32_e32 v22, vcc_lo, s19, v18, vcc_lo
	s_delay_alu instid0(VALU_DEP_3) | instskip(NEXT) | instid1(VALU_DEP_4)
	v_add_co_u32 v23, vcc_lo, s7, v19
	v_add_co_ci_u32_e32 v24, vcc_lo, s19, v20, vcc_lo
	s_clause 0x1
	global_load_b32 v21, v[21:22], off
	global_load_b32 v22, v[23:24], off
	s_add_u32 s7, s8, s20
	s_addc_u32 s8, s9, s21
	s_add_u32 s7, s7, s10
	s_addc_u32 s8, s8, s11
	v_add_co_u32 v1, vcc_lo, s7, v1
	v_add_co_ci_u32_e32 v2, vcc_lo, s8, v2, vcc_lo
	v_add_co_u32 v3, vcc_lo, s7, v3
	v_add_co_ci_u32_e32 v4, vcc_lo, s8, v4, vcc_lo
	;; [unrolled: 2-line block ×4, first 2 shown]
	s_clause 0x1
	global_load_b32 v30, v[1:2], off
	global_load_b32 v31, v[3:4], off
	v_add_co_u32 v9, vcc_lo, s7, v9
	v_mbcnt_lo_u32_b32 v23, -1, 0
	s_clause 0x1
	global_load_b32 v5, v[5:6], off
	global_load_b32 v7, v[7:8], off
	v_add_co_ci_u32_e32 v10, vcc_lo, s8, v10, vcc_lo
	v_add_co_u32 v1, vcc_lo, s7, v11
	v_add_co_ci_u32_e32 v2, vcc_lo, s8, v12, vcc_lo
	v_xor_b32_e32 v24, 16, v23
	s_waitcnt vmcnt(12)
	v_dual_max_f32 v4, v34, v34 :: v_dual_max_f32 v3, v35, v35
	s_delay_alu instid0(VALU_DEP_1)
	v_max_f32_e32 v6, v4, v3
	v_add_co_u32 v3, vcc_lo, s7, v13
	v_add_co_ci_u32_e32 v4, vcc_lo, s8, v14, vcc_lo
	v_cmp_gt_i32_e32 vcc_lo, 32, v24
	s_clause 0x2
	global_load_b32 v9, v[9:10], off
	global_load_b32 v10, v[1:2], off
	;; [unrolled: 1-line block ×3, first 2 shown]
	v_xor_b32_e32 v13, 8, v23
	v_cndmask_b32_e32 v8, v23, v24, vcc_lo
	v_add_co_u32 v1, vcc_lo, s7, v15
	v_add_co_ci_u32_e32 v2, vcc_lo, s8, v16, vcc_lo
	v_xor_b32_e32 v15, 1, v23
	s_waitcnt vmcnt(13)
	v_max3_f32 v6, v6, v36, v25
	s_waitcnt vmcnt(11)
	s_delay_alu instid0(VALU_DEP_1)
	v_max3_f32 v4, v6, v26, v27
	v_lshlrev_b32_e32 v6, 2, v8
	global_load_b32 v8, v[1:2], off
	v_add_co_u32 v1, vcc_lo, s7, v17
	s_waitcnt vmcnt(10)
	v_max3_f32 v4, v4, v28, v29
	v_add_co_ci_u32_e32 v2, vcc_lo, s8, v18, vcc_lo
	global_load_b32 v12, v[1:2], off
	s_waitcnt vmcnt(9)
	v_max3_f32 v4, v4, v21, v22
	v_add_co_u32 v1, vcc_lo, s7, v19
	v_add_co_ci_u32_e32 v2, vcc_lo, s8, v20, vcc_lo
	ds_bpermute_b32 v11, v6, v4
	v_cmp_gt_i32_e32 vcc_lo, 32, v13
	s_mov_b32 s7, exec_lo
	global_load_b32 v14, v[1:2], off
	v_cndmask_b32_e32 v1, v23, v13, vcc_lo
	v_xor_b32_e32 v13, 2, v23
	s_waitcnt lgkmcnt(0)
	s_delay_alu instid0(VALU_DEP_2) | instskip(SKIP_1) | instid1(VALU_DEP_2)
	v_dual_max_f32 v2, v11, v11 :: v_dual_lshlrev_b32 v1, 2, v1
	v_xor_b32_e32 v11, 4, v23
	v_max_f32_e32 v2, v4, v2
	s_delay_alu instid0(VALU_DEP_2) | instskip(SKIP_3) | instid1(VALU_DEP_2)
	v_cmp_gt_i32_e32 vcc_lo, 32, v11
	ds_bpermute_b32 v4, v1, v2
	v_cndmask_b32_e32 v11, v23, v11, vcc_lo
	v_cmp_gt_i32_e32 vcc_lo, 32, v13
	v_lshlrev_b32_e32 v11, 2, v11
	v_cndmask_b32_e32 v13, v23, v13, vcc_lo
	v_cmp_gt_i32_e32 vcc_lo, 32, v15
	s_delay_alu instid0(VALU_DEP_2) | instskip(SKIP_2) | instid1(VALU_DEP_1)
	v_lshlrev_b32_e32 v13, 2, v13
	v_cndmask_b32_e32 v15, v23, v15, vcc_lo
	s_waitcnt lgkmcnt(0)
	v_dual_max_f32 v4, v4, v4 :: v_dual_lshlrev_b32 v15, 2, v15
	s_delay_alu instid0(VALU_DEP_1) | instskip(SKIP_3) | instid1(VALU_DEP_1)
	v_max_f32_e32 v2, v2, v4
	ds_bpermute_b32 v4, v11, v2
	s_waitcnt lgkmcnt(0)
	v_max_f32_e32 v4, v4, v4
	v_max_f32_e32 v2, v2, v4
	ds_bpermute_b32 v4, v13, v2
	s_waitcnt lgkmcnt(0)
	v_max_f32_e32 v4, v4, v4
	s_delay_alu instid0(VALU_DEP_1) | instskip(SKIP_3) | instid1(VALU_DEP_1)
	v_max_f32_e32 v2, v2, v4
	ds_bpermute_b32 v4, v15, v2
	s_waitcnt lgkmcnt(0)
	v_max_f32_e32 v4, v4, v4
	v_max_f32_e32 v2, v2, v4
	v_sub_nc_u32_e32 v4, s40, v0
	s_delay_alu instid0(VALU_DEP_2)
	v_sub_f32_e32 v20, v26, v2
	v_sub_f32_e32 v16, v34, v2
	;; [unrolled: 1-line block ×9, first 2 shown]
	v_dual_mul_f32 v29, 0x3fb8aa3b, v20 :: v_dual_sub_f32 v2, v22, v2
	s_delay_alu instid0(VALU_DEP_4)
	v_mul_f32_e32 v33, 0x3fb8aa3b, v24
	v_mul_f32_e32 v22, 0x3fb8aa3b, v16
	;; [unrolled: 1-line block ×4, first 2 shown]
	v_fma_f32 v45, 0x3fb8aa3b, v20, -v29
	v_rndne_f32_e32 v46, v29
	v_fma_f32 v37, 0x3fb8aa3b, v16, -v22
	v_rndne_f32_e32 v38, v22
	;; [unrolled: 2-line block ×3, first 2 shown]
	v_mul_f32_e32 v27, 0x3fb8aa3b, v18
	s_delay_alu instid0(VALU_DEP_4) | instskip(SKIP_1) | instid1(VALU_DEP_4)
	v_dual_fmac_f32 v37, 0x32a5705f, v16 :: v_dual_sub_f32 v22, v22, v38
	v_rndne_f32_e32 v44, v28
	v_dual_fmac_f32 v39, 0x32a5705f, v17 :: v_dual_sub_f32 v26, v26, v40
	s_delay_alu instid0(VALU_DEP_3) | instskip(SKIP_1) | instid1(VALU_DEP_4)
	v_dual_fmac_f32 v45, 0x32a5705f, v20 :: v_dual_add_f32 v22, v22, v37
	v_fma_f32 v43, 0x3fb8aa3b, v19, -v28
	v_dual_sub_f32 v28, v28, v44 :: v_dual_sub_f32 v29, v29, v46
	s_delay_alu instid0(VALU_DEP_4) | instskip(NEXT) | instid1(VALU_DEP_4)
	v_add_f32_e32 v26, v26, v39
	v_exp_f32_e32 v22, v22
	v_mul_f32_e32 v32, 0x3fb8aa3b, v23
	v_mul_f32_e32 v34, 0x3fb8aa3b, v25
	v_fma_f32 v41, 0x3fb8aa3b, v18, -v27
	v_rndne_f32_e32 v42, v27
	v_cvt_i32_f32_e32 v38, v38
	v_exp_f32_e32 v26, v26
	v_dual_mul_f32 v35, 0x3fb8aa3b, v21 :: v_dual_mul_f32 v36, 0x3fb8aa3b, v2
	v_fma_f32 v47, 0x3fb8aa3b, v23, -v32
	v_rndne_f32_e32 v48, v32
	v_rndne_f32_e32 v52, v34
	v_cvt_i32_f32_e32 v40, v40
	v_fmac_f32_e32 v41, 0x32a5705f, v18
	v_sub_f32_e32 v27, v27, v42
	v_ldexp_f32 v22, v22, v38
	v_cmp_ngt_f32_e32 vcc_lo, 0xc2ce8ed0, v16
	v_fma_f32 v49, 0x3fb8aa3b, v24, -v33
	v_fma_f32 v51, 0x3fb8aa3b, v25, -v34
	v_sub_f32_e32 v34, v34, v52
	v_rndne_f32_e32 v56, v36
	v_fmac_f32_e32 v43, 0x32a5705f, v19
	v_dual_fmac_f32 v47, 0x32a5705f, v23 :: v_dual_cndmask_b32 v22, 0, v22
	v_sub_f32_e32 v32, v32, v48
	v_ldexp_f32 v26, v26, v40
	v_cmp_ngt_f32_e32 vcc_lo, 0xc2ce8ed0, v17
	v_add_f32_e32 v27, v27, v41
	v_fma_f32 v55, 0x3fb8aa3b, v2, -v36
	v_sub_f32_e32 v36, v36, v56
	v_dual_fmac_f32 v49, 0x32a5705f, v24 :: v_dual_add_f32 v28, v28, v43
	v_cndmask_b32_e32 v26, 0, v26, vcc_lo
	v_exp_f32_e32 v27, v27
	v_rndne_f32_e32 v50, v33
	v_cvt_i32_f32_e32 v42, v42
	v_add_f32_e32 v29, v29, v45
	v_exp_f32_e32 v28, v28
	v_cvt_i32_f32_e32 v44, v44
	v_dual_sub_f32 v33, v33, v50 :: v_dual_add_f32 v32, v32, v47
	s_delay_alu instid0(VALU_DEP_3) | instskip(SKIP_1) | instid1(TRANS32_DEP_3)
	v_exp_f32_e32 v29, v29
	v_cmp_ngt_f32_e32 vcc_lo, 0xc2ce8ed0, v18
	v_ldexp_f32 v27, v27, v42
	v_rndne_f32_e32 v54, v35
	v_cvt_i32_f32_e32 v46, v46
	v_exp_f32_e32 v32, v32
	s_delay_alu instid0(TRANS32_DEP_3)
	v_ldexp_f32 v28, v28, v44
	v_cndmask_b32_e32 v27, 0, v27, vcc_lo
	v_cmp_ngt_f32_e32 vcc_lo, 0xc2ce8ed0, v19
	v_fma_f32 v53, 0x3fb8aa3b, v21, -v35
	v_cvt_i32_f32_e32 v48, v48
	v_sub_f32_e32 v35, v35, v54
	v_ldexp_f32 v29, v29, v46
	v_cndmask_b32_e32 v28, 0, v28, vcc_lo
	v_cmp_ngt_f32_e32 vcc_lo, 0xc2ce8ed0, v20
	v_ldexp_f32 v32, v32, v48
	v_add_f32_e32 v33, v33, v49
	v_cvt_i32_f32_e32 v50, v50
	v_cvt_i32_f32_e32 v52, v52
	v_cndmask_b32_e32 v29, 0, v29, vcc_lo
	v_cmp_ngt_f32_e32 vcc_lo, 0xc2ce8ed0, v23
	v_fmac_f32_e32 v55, 0x32a5705f, v2
	v_exp_f32_e32 v33, v33
	v_cvt_i32_f32_e32 v54, v54
	v_dual_cndmask_b32 v32, 0, v32 :: v_dual_fmac_f32 v51, 0x32a5705f, v25
	s_delay_alu instid0(VALU_DEP_3) | instskip(SKIP_1) | instid1(VALU_DEP_3)
	v_dual_add_f32 v36, v36, v55 :: v_dual_fmac_f32 v53, 0x32a5705f, v21
	v_cmp_ngt_f32_e32 vcc_lo, 0xc2ce8ed0, v24
	v_add_f32_e32 v34, v34, v51
	s_waitcnt_depctr 0xfff
	v_ldexp_f32 v33, v33, v50
	v_exp_f32_e32 v36, v36
	v_exp_f32_e32 v34, v34
	s_delay_alu instid0(VALU_DEP_1) | instskip(SKIP_3) | instid1(VALU_DEP_1)
	v_cndmask_b32_e32 v33, 0, v33, vcc_lo
	v_cmp_ngt_f32_e32 vcc_lo, 0xc2ce8ed0, v25
	s_waitcnt_depctr 0xfff
	v_ldexp_f32 v34, v34, v52
	v_cndmask_b32_e32 v34, 0, v34, vcc_lo
	v_cmp_nlt_f32_e32 vcc_lo, 0x42b17218, v16
	v_cndmask_b32_e32 v16, 0x7f800000, v22, vcc_lo
	v_cmp_nlt_f32_e32 vcc_lo, 0x42b17218, v17
	;; [unrolled: 2-line block ×3, first 2 shown]
	v_dual_add_f32 v35, v35, v53 :: v_dual_cndmask_b32 v18, 0x7f800000, v27
	v_cmp_nlt_f32_e32 vcc_lo, 0x42b17218, v19
	s_delay_alu instid0(VALU_DEP_2)
	v_exp_f32_e32 v35, v35
	v_cndmask_b32_e32 v19, 0x7f800000, v28, vcc_lo
	v_cmp_nlt_f32_e32 vcc_lo, 0x42b17218, v20
	v_cndmask_b32_e32 v20, 0x7f800000, v29, vcc_lo
	v_cmp_nlt_f32_e32 vcc_lo, 0x42b17218, v23
	s_waitcnt_depctr 0xfff
	v_ldexp_f32 v35, v35, v54
	v_cndmask_b32_e32 v22, 0x7f800000, v32, vcc_lo
	v_cmp_lt_i32_e32 vcc_lo, 0, v4
	v_cndmask_b32_e32 v16, 0, v16, vcc_lo
	v_cmp_lt_i32_e32 vcc_lo, 32, v4
	s_waitcnt vmcnt(9)
	s_delay_alu instid0(VALU_DEP_2) | instskip(SKIP_2) | instid1(VALU_DEP_2)
	v_dual_mul_f32 v16, v30, v16 :: v_dual_cndmask_b32 v17, 0, v17
	v_cmp_nlt_f32_e32 vcc_lo, 0x42b17218, v24
	s_waitcnt vmcnt(8)
	v_mul_f32_e32 v17, v31, v17
	v_cndmask_b32_e32 v23, 0x7f800000, v33, vcc_lo
	v_cmp_lt_i32_e32 vcc_lo, 64, v4
	v_cndmask_b32_e32 v18, 0, v18, vcc_lo
	v_cmp_lt_i32_e32 vcc_lo, 0x60, v4
	s_waitcnt vmcnt(7)
	s_delay_alu instid0(VALU_DEP_2) | instskip(SKIP_2) | instid1(VALU_DEP_3)
	v_dual_mul_f32 v5, v5, v18 :: v_dual_add_f32 v18, v16, v17
	v_cndmask_b32_e32 v19, 0, v19, vcc_lo
	v_cmp_lt_i32_e32 vcc_lo, 0x80, v4
	v_add_f32_e32 v18, v18, v5
	v_cndmask_b32_e32 v20, 0, v20, vcc_lo
	v_cmp_lt_i32_e32 vcc_lo, 0xa0, v4
	s_waitcnt vmcnt(6)
	v_dual_cndmask_b32 v22, 0, v22 :: v_dual_mul_f32 v7, v7, v19
	v_cmp_lt_i32_e32 vcc_lo, 0xc0, v4
	s_waitcnt vmcnt(4)
	s_delay_alu instid0(VALU_DEP_2) | instskip(NEXT) | instid1(VALU_DEP_3)
	v_dual_mul_f32 v9, v9, v20 :: v_dual_mul_f32 v10, v10, v22
	v_add_f32_e32 v18, v18, v7
	v_cndmask_b32_e32 v23, 0, v23, vcc_lo
	v_cmp_nlt_f32_e32 vcc_lo, 0x42b17218, v25
	v_cvt_i32_f32_e32 v22, v56
	s_waitcnt vmcnt(3)
	s_delay_alu instid0(VALU_DEP_3) | instskip(NEXT) | instid1(VALU_DEP_1)
	v_dual_add_f32 v18, v18, v9 :: v_dual_mul_f32 v3, v3, v23
	v_add_f32_e32 v18, v18, v10
	v_cndmask_b32_e32 v19, 0x7f800000, v34, vcc_lo
	v_cmp_ngt_f32_e32 vcc_lo, 0xc2ce8ed0, v21
	s_delay_alu instid0(VALU_DEP_3) | instskip(SKIP_4) | instid1(VALU_DEP_4)
	v_add_f32_e32 v18, v18, v3
	v_cndmask_b32_e32 v20, 0, v35, vcc_lo
	v_cmp_lt_i32_e32 vcc_lo, 0xe0, v4
	v_cndmask_b32_e32 v19, 0, v19, vcc_lo
	v_cmp_nlt_f32_e32 vcc_lo, 0x42b17218, v21
	v_cndmask_b32_e32 v20, 0x7f800000, v20, vcc_lo
	v_cmp_lt_i32_e32 vcc_lo, 0x100, v4
	s_delay_alu instid0(VALU_DEP_2)
	v_cndmask_b32_e32 v20, 0, v20, vcc_lo
	s_waitcnt vmcnt(2)
	v_mul_f32_e32 v8, v8, v19
	v_ldexp_f32 v19, v36, v22
	v_cmp_ngt_f32_e32 vcc_lo, 0xc2ce8ed0, v2
	s_waitcnt vmcnt(1)
	v_mul_f32_e32 v12, v12, v20
	s_delay_alu instid0(VALU_DEP_3) | instskip(SKIP_1) | instid1(VALU_DEP_2)
	v_dual_add_f32 v18, v18, v8 :: v_dual_cndmask_b32 v19, 0, v19
	v_cmp_nlt_f32_e32 vcc_lo, 0x42b17218, v2
	v_cndmask_b32_e32 v2, 0x7f800000, v19, vcc_lo
	v_cmp_lt_i32_e32 vcc_lo, 0x120, v4
	s_delay_alu instid0(VALU_DEP_2) | instskip(SKIP_2) | instid1(VALU_DEP_1)
	v_cndmask_b32_e32 v4, 0, v2, vcc_lo
	v_add_f32_e32 v2, v18, v12
	s_waitcnt vmcnt(0)
	v_fmac_f32_e32 v2, v14, v4
	v_mul_f32_e32 v4, v14, v4
	ds_bpermute_b32 v6, v6, v2
	s_waitcnt lgkmcnt(0)
	v_add_f32_e32 v2, v2, v6
	v_lshlrev_b32_e32 v6, 2, v0
	ds_bpermute_b32 v1, v1, v2
	ds_store_2addr_b32 v6, v16, v17 offset1:32
	s_waitcnt lgkmcnt(1)
	v_add_f32_e32 v1, v2, v1
	ds_bpermute_b32 v2, v11, v1
	v_add_nc_u32_e32 v11, 0x400, v6
	s_waitcnt lgkmcnt(0)
	v_add_f32_e32 v1, v1, v2
	ds_store_2addr_b32 v6, v5, v7 offset0:64 offset1:96
	ds_store_2addr_b32 v6, v9, v10 offset0:128 offset1:160
	;; [unrolled: 1-line block ×3, first 2 shown]
	ds_store_2addr_b32 v11, v12, v4 offset1:32
	ds_bpermute_b32 v2, v13, v1
	s_waitcnt lgkmcnt(0)
	v_add_f32_e32 v1, v1, v2
	ds_bpermute_b32 v2, v15, v1
	v_cmpx_eq_u32_e32 0, v0
	s_cbranch_execz .LBB279_8
; %bb.7:
	s_waitcnt lgkmcnt(0)
	v_dual_add_f32 v1, v1, v2 :: v_dual_mov_b32 v2, 0
	ds_store_b32 v2, v1 offset:1280
.LBB279_8:
	s_or_b32 exec_lo, exec_lo, s7
	v_mov_b32_e32 v1, s6
.LBB279_9:
	s_or_b32 exec_lo, exec_lo, s24
	s_lshl_b32 s6, s18, 7
	s_mov_b32 s7, 0
	s_waitcnt lgkmcnt(0)
	v_dual_mov_b32 v2, 0 :: v_dual_lshlrev_b32 v1, 7, v1
	s_lshl_b64 s[6:7], s[6:7], 1
	v_lshlrev_b32_e32 v0, 1, v0
	s_add_u32 s34, s4, s6
	s_addc_u32 s35, s5, s7
	s_lshl_b32 s41, s40, 7
	v_lshlrev_b64 v[3:4], 1, v[1:2]
	s_add_i32 s42, s41, 0xffffff80
	s_cmpk_lt_i32 s22, 0x100
	v_dual_mov_b32 v30, 0 :: v_dual_mov_b32 v33, 0
	s_cselect_b32 s4, s42, 0
	s_delay_alu instid0(VALU_DEP_2)
	v_add_co_u32 v1, vcc_lo, s34, v3
	s_ashr_i32 s5, s4, 31
	v_add_co_ci_u32_e32 v3, vcc_lo, s35, v4, vcc_lo
	s_lshl_b64 s[4:5], s[4:5], 1
	s_cmpk_lt_i32 s22, 0x200
	v_add_co_u32 v1, vcc_lo, v1, v0
	s_cselect_b32 s6, s42, 0x80
	v_add_co_ci_u32_e32 v3, vcc_lo, 0, v3, vcc_lo
	s_ashr_i32 s7, s6, 31
	s_delay_alu instid0(VALU_DEP_2)
	v_add_co_u32 v4, vcc_lo, v1, s4
	s_lshl_b64 s[6:7], s[6:7], 1
	s_cmpk_lt_i32 s22, 0x300
	v_add_co_ci_u32_e32 v5, vcc_lo, s5, v3, vcc_lo
	s_cselect_b32 s8, s42, 0x100
	v_add_co_u32 v8, vcc_lo, v1, s6
	s_ashr_i32 s9, s8, 31
	v_add_co_ci_u32_e32 v9, vcc_lo, s7, v3, vcc_lo
	s_lshl_b64 s[8:9], s[8:9], 1
	s_cmpk_lt_i32 s22, 0x400
	v_add_co_u32 v10, vcc_lo, v1, s8
	s_cselect_b32 s10, s42, 0x180
	v_add_co_ci_u32_e32 v11, vcc_lo, s9, v3, vcc_lo
	s_ashr_i32 s11, s10, 31
	v_dual_mov_b32 v32, 0 :: v_dual_mov_b32 v35, 0
	s_lshl_b64 s[10:11], s[10:11], 1
	s_cmpk_lt_i32 s22, 0x500
	v_add_co_u32 v12, vcc_lo, v1, s10
	s_cselect_b32 s18, s42, 0x200
	v_add_co_ci_u32_e32 v13, vcc_lo, s11, v3, vcc_lo
	s_ashr_i32 s19, s18, 31
	v_mov_b32_e32 v34, 0
	s_lshl_b64 s[18:19], s[18:19], 1
	s_cmpk_lt_i32 s22, 0x600
	v_add_co_u32 v14, vcc_lo, v1, s18
	s_cselect_b32 s20, s42, 0x280
	v_add_co_ci_u32_e32 v15, vcc_lo, s19, v3, vcc_lo
	s_ashr_i32 s21, s20, 31
	v_mov_b32_e32 v29, 0
	;; [unrolled: 7-line block ×3, first 2 shown]
	s_lshl_b64 s[24:25], s[24:25], 1
	s_cmpk_lt_i32 s22, 0x800
	v_add_co_u32 v18, vcc_lo, v1, s24
	s_cselect_b32 s26, s42, 0x380
	v_add_co_ci_u32_e32 v19, vcc_lo, s25, v3, vcc_lo
	s_ashr_i32 s27, s26, 31
	s_delay_alu instid0(SALU_CYCLE_1)
	s_lshl_b64 s[26:27], s[26:27], 1
	s_cmpk_lt_i32 s22, 0x900
	v_add_co_u32 v20, vcc_lo, v1, s26
	s_cselect_b32 s28, s42, 0x400
	v_add_co_ci_u32_e32 v21, vcc_lo, s27, v3, vcc_lo
	s_ashr_i32 s29, s28, 31
	s_clause 0x7
	global_load_u16 v7, v[4:5], off
	global_load_u16 v8, v[8:9], off
	;; [unrolled: 1-line block ×8, first 2 shown]
	s_lshl_b64 s[28:29], s[28:29], 1
	s_cmpk_lt_i32 s22, 0xa00
	v_add_co_u32 v12, vcc_lo, v1, s28
	s_cselect_b32 s30, s42, 0x480
	v_add_co_ci_u32_e32 v13, vcc_lo, s29, v3, vcc_lo
	s_ashr_i32 s31, s30, 31
	s_delay_alu instid0(SALU_CYCLE_1)
	s_lshl_b64 s[30:31], s[30:31], 1
	s_cmpk_lt_i32 s22, 0xb00
	v_add_co_u32 v15, vcc_lo, v1, s30
	s_cselect_b32 s34, s42, 0x500
	v_add_co_ci_u32_e32 v16, vcc_lo, s31, v3, vcc_lo
	s_ashr_i32 s35, s34, 31
	s_delay_alu instid0(SALU_CYCLE_1)
	;; [unrolled: 7-line block ×7, first 2 shown]
	s_lshl_b64 s[4:5], s[6:7], 1
	s_cmpk_gt_i32 s23, 0x1000
	v_add_co_u32 v27, vcc_lo, v1, s4
	v_add_co_ci_u32_e32 v28, vcc_lo, s5, v3, vcc_lo
	s_clause 0x7
	global_load_u16 v14, v[12:13], off
	global_load_u16 v15, v[15:16], off
	;; [unrolled: 1-line block ×8, first 2 shown]
	v_dual_mov_b32 v20, 0 :: v_dual_mov_b32 v23, 0
	v_dual_mov_b32 v21, 0 :: v_dual_mov_b32 v22, 0
	;; [unrolled: 1-line block ×4, first 2 shown]
	v_mov_b32_e32 v28, 0
	s_cselect_b32 s8, -1, 0
	s_cmpk_lt_i32 s23, 0x1001
	s_waitcnt vmcnt(0)
	s_barrier
	buffer_gl0_inv
	s_cbranch_scc1 .LBB279_11
; %bb.10:
	s_cmpk_lt_i32 s22, 0x1100
	s_cselect_b32 s4, s42, 0x800
	s_delay_alu instid0(SALU_CYCLE_1) | instskip(NEXT) | instid1(SALU_CYCLE_1)
	s_ashr_i32 s5, s4, 31
	s_lshl_b64 s[4:5], s[4:5], 1
	s_cmpk_lt_i32 s22, 0x1200
	v_add_co_u32 v20, vcc_lo, v1, s4
	s_cselect_b32 s6, s42, 0x880
	v_add_co_ci_u32_e32 v21, vcc_lo, s5, v3, vcc_lo
	s_ashr_i32 s7, s6, 31
	s_delay_alu instid0(SALU_CYCLE_1)
	s_lshl_b64 s[6:7], s[6:7], 1
	s_cmpk_lt_i32 s22, 0x1300
	v_add_co_u32 v22, vcc_lo, v1, s6
	s_cselect_b32 s10, s42, 0x900
	v_add_co_ci_u32_e32 v23, vcc_lo, s7, v3, vcc_lo
	s_ashr_i32 s11, s10, 31
	s_delay_alu instid0(SALU_CYCLE_1)
	;; [unrolled: 7-line block ×7, first 2 shown]
	s_lshl_b64 s[28:29], s[28:29], 1
	s_cmpk_lt_i32 s22, 0x1900
	v_add_co_u32 v34, vcc_lo, v1, s28
	s_cselect_b32 s30, s42, 0xc00
	v_add_co_ci_u32_e32 v35, vcc_lo, s29, v3, vcc_lo
	s_ashr_i32 s31, s30, 31
	s_clause 0x7
	global_load_u16 v36, v[20:21], off
	global_load_u16 v37, v[22:23], off
	;; [unrolled: 1-line block ×8, first 2 shown]
	s_lshl_b64 s[30:31], s[30:31], 1
	s_cmpk_lt_i32 s22, 0x1a00
	v_add_co_u32 v20, vcc_lo, v1, s30
	s_cselect_b32 s34, s42, 0xc80
	v_add_co_ci_u32_e32 v21, vcc_lo, s31, v3, vcc_lo
	s_ashr_i32 s35, s34, 31
	s_delay_alu instid0(SALU_CYCLE_1)
	s_lshl_b64 s[34:35], s[34:35], 1
	s_cmpk_lt_i32 s22, 0x1b00
	v_add_co_u32 v22, vcc_lo, v1, s34
	s_cselect_b32 s36, s42, 0xd00
	v_add_co_ci_u32_e32 v23, vcc_lo, s35, v3, vcc_lo
	s_ashr_i32 s37, s36, 31
	s_delay_alu instid0(SALU_CYCLE_1)
	;; [unrolled: 7-line block ×6, first 2 shown]
	s_lshl_b64 s[4:5], s[20:21], 1
	s_cmpk_lt_i32 s22, 0x2000
	v_add_co_u32 v32, vcc_lo, v1, s4
	s_cselect_b32 s6, s42, 0xf80
	v_add_co_ci_u32_e32 v33, vcc_lo, s5, v3, vcc_lo
	s_ashr_i32 s7, s6, 31
	s_delay_alu instid0(SALU_CYCLE_1) | instskip(NEXT) | instid1(SALU_CYCLE_1)
	s_lshl_b64 s[4:5], s[6:7], 1
	v_add_co_u32 v34, vcc_lo, v1, s4
	v_add_co_ci_u32_e32 v35, vcc_lo, s5, v3, vcc_lo
	s_clause 0x7
	global_load_u16 v20, v[20:21], off
	global_load_u16 v21, v[22:23], off
	;; [unrolled: 1-line block ×8, first 2 shown]
	s_waitcnt vmcnt(15)
	v_cvt_f32_f16_e32 v35, v36
	s_waitcnt vmcnt(14)
	v_cvt_f32_f16_e32 v34, v37
	;; [unrolled: 2-line block ×16, first 2 shown]
.LBB279_11:
	ds_load_b128 v[36:39], v2
	ds_load_b128 v[40:43], v2 offset:16
	s_load_b64 s[0:1], s[0:1], 0x0
	s_and_b32 vcc_lo, exec_lo, s8
	s_waitcnt lgkmcnt(0)
	v_fma_mix_f32 v7, v36, v7, 0 op_sel_hi:[0,1,0]
	s_delay_alu instid0(VALU_DEP_1) | instskip(NEXT) | instid1(VALU_DEP_1)
	v_fma_mix_f32 v7, v37, v8, v7 op_sel_hi:[0,1,0]
	v_fma_mix_f32 v7, v38, v9, v7 op_sel_hi:[0,1,0]
	s_delay_alu instid0(VALU_DEP_1) | instskip(SKIP_4) | instid1(VALU_DEP_1)
	v_fma_mix_f32 v7, v39, v10, v7 op_sel_hi:[0,1,0]
	ds_load_b128 v[36:39], v2 offset:48
	v_fma_mix_f32 v11, v40, v11, v7 op_sel_hi:[0,1,0]
	ds_load_b128 v[7:10], v2 offset:32
	v_fma_mix_f32 v4, v41, v4, v11 op_sel_hi:[0,1,0]
	v_fma_mix_f32 v4, v42, v5, v4 op_sel_hi:[0,1,0]
	s_delay_alu instid0(VALU_DEP_1) | instskip(SKIP_1) | instid1(VALU_DEP_1)
	v_fma_mix_f32 v4, v43, v6, v4 op_sel_hi:[0,1,0]
	s_waitcnt lgkmcnt(0)
	v_fma_mix_f32 v4, v7, v14, v4 op_sel_hi:[0,1,0]
	s_delay_alu instid0(VALU_DEP_1) | instskip(NEXT) | instid1(VALU_DEP_1)
	v_fma_mix_f32 v4, v8, v15, v4 op_sel_hi:[0,1,0]
	v_fma_mix_f32 v4, v9, v16, v4 op_sel_hi:[0,1,0]
	s_delay_alu instid0(VALU_DEP_1) | instskip(NEXT) | instid1(VALU_DEP_1)
	v_fma_mix_f32 v4, v10, v17, v4 op_sel_hi:[0,1,0]
	;; [unrolled: 3-line block ×3, first 2 shown]
	v_fma_mix_f32 v4, v38, v13, v4 op_sel_hi:[0,1,0]
	s_delay_alu instid0(VALU_DEP_1)
	v_fma_mix_f32 v4, v39, v19, v4 op_sel_hi:[0,1,0]
	s_cbranch_vccz .LBB279_13
; %bb.12:
	ds_load_b128 v[5:8], v2 offset:64
	ds_load_b128 v[9:12], v2 offset:80
	s_waitcnt lgkmcnt(1)
	v_fmac_f32_e32 v4, v5, v35
	s_delay_alu instid0(VALU_DEP_1) | instskip(NEXT) | instid1(VALU_DEP_1)
	v_fmac_f32_e32 v4, v6, v34
	v_fmac_f32_e32 v4, v7, v33
	s_delay_alu instid0(VALU_DEP_1) | instskip(SKIP_3) | instid1(VALU_DEP_1)
	v_fmac_f32_e32 v4, v8, v32
	ds_load_b128 v[5:8], v2 offset:96
	s_waitcnt lgkmcnt(1)
	v_fmac_f32_e32 v4, v9, v31
	v_fmac_f32_e32 v4, v10, v30
	s_delay_alu instid0(VALU_DEP_1) | instskip(NEXT) | instid1(VALU_DEP_1)
	v_fmac_f32_e32 v4, v11, v29
	v_fmac_f32_e32 v4, v12, v28
	ds_load_b128 v[9:12], v2 offset:112
	s_waitcnt lgkmcnt(1)
	v_fmac_f32_e32 v4, v5, v27
	s_delay_alu instid0(VALU_DEP_1) | instskip(NEXT) | instid1(VALU_DEP_1)
	v_fmac_f32_e32 v4, v6, v26
	v_fmac_f32_e32 v4, v7, v25
	s_delay_alu instid0(VALU_DEP_1) | instskip(SKIP_1) | instid1(VALU_DEP_1)
	v_fmac_f32_e32 v4, v8, v24
	s_waitcnt lgkmcnt(0)
	v_fmac_f32_e32 v4, v9, v23
	s_delay_alu instid0(VALU_DEP_1) | instskip(NEXT) | instid1(VALU_DEP_1)
	v_fmac_f32_e32 v4, v10, v22
	v_fmac_f32_e32 v4, v11, v21
	s_delay_alu instid0(VALU_DEP_1)
	v_fmac_f32_e32 v4, v12, v20
.LBB279_13:
	s_movk_i32 s43, 0x1f80
	s_movk_i32 s44, 0x80
	s_mov_b32 s45, 32
	s_branch .LBB279_15
.LBB279_14:                             ;   in Loop: Header=BB279_15 Depth=1
	s_addk_i32 s43, 0x1000
	s_addk_i32 s44, 0x80
	s_add_i32 s45, s45, 32
	s_cmpk_eq_u32 s43, 0xaf80
	s_cbranch_scc1 .LBB279_17
.LBB279_15:                             ; =>This Inner Loop Header: Depth=1
	s_cmp_le_i32 s40, s45
	s_cbranch_scc1 .LBB279_14
; %bb.16:                               ;   in Loop: Header=BB279_15 Depth=1
	s_add_i32 s4, s43, 0xfffff080
	v_mov_b32_e32 v44, s44
	s_cmp_lt_i32 s4, s41
	s_cselect_b32 s4, s4, s42
	s_add_i32 s6, s43, 0xfffff100
	s_ashr_i32 s5, s4, 31
	s_delay_alu instid0(SALU_CYCLE_1)
	s_lshl_b64 s[4:5], s[4:5], 1
	s_cmp_lt_i32 s6, s41
	v_add_co_u32 v5, vcc_lo, v1, s4
	s_cselect_b32 s6, s6, s42
	s_add_i32 s10, s43, 0xfffff180
	s_ashr_i32 s7, s6, 31
	v_add_co_ci_u32_e32 v6, vcc_lo, s5, v3, vcc_lo
	s_lshl_b64 s[8:9], s[6:7], 1
	s_cmp_lt_i32 s10, s41
	v_add_co_u32 v7, vcc_lo, v1, s8
	s_cselect_b32 s6, s10, s42
	s_add_i32 s10, s43, 0xfffff200
	s_ashr_i32 s7, s6, 31
	v_add_co_ci_u32_e32 v8, vcc_lo, s9, v3, vcc_lo
	;; [unrolled: 7-line block ×8, first 2 shown]
	s_lshl_b64 s[24:25], s[20:21], 1
	s_cmp_lt_i32 s28, s41
	s_clause 0x7
	global_load_u16 v2, v[5:6], off
	global_load_u16 v21, v[7:8], off
	;; [unrolled: 1-line block ×8, first 2 shown]
	s_cselect_b32 s20, s28, s42
	s_add_i32 s28, s43, 0xfffff580
	s_ashr_i32 s21, s20, 31
	v_add_co_u32 v5, vcc_lo, v1, s24
	s_lshl_b64 s[20:21], s[20:21], 1
	s_cmp_lt_i32 s28, s41
	v_add_co_ci_u32_e32 v6, vcc_lo, s25, v3, vcc_lo
	s_cselect_b32 s28, s28, s42
	s_add_i32 s36, s43, 0xfffff600
	s_ashr_i32 s29, s28, 31
	v_add_co_u32 v7, vcc_lo, v1, s20
	s_lshl_b64 s[30:31], s[28:29], 1
	s_cmp_lt_i32 s36, s41
	v_add_co_ci_u32_e32 v8, vcc_lo, s21, v3, vcc_lo
	;; [unrolled: 7-line block ×8, first 2 shown]
	s_cselect_b32 s10, s10, s42
	s_add_i32 s18, s43, 0xfffff980
	s_ashr_i32 s11, s10, 31
	s_clause 0x7
	global_load_u16 v28, v[5:6], off
	global_load_u16 v29, v[7:8], off
	;; [unrolled: 1-line block ×8, first 2 shown]
	s_lshl_b64 s[10:11], s[10:11], 1
	s_cmp_lt_i32 s18, s41
	v_add_co_u32 v5, vcc_lo, v1, s4
	s_cselect_b32 s18, s18, s42
	s_add_i32 s22, s43, 0xfffffa00
	s_ashr_i32 s19, s18, 31
	v_add_co_ci_u32_e32 v6, vcc_lo, s5, v3, vcc_lo
	s_lshl_b64 s[18:19], s[18:19], 1
	s_cmp_lt_i32 s22, s41
	v_add_co_u32 v7, vcc_lo, v1, s10
	s_cselect_b32 s20, s22, s42
	s_add_i32 s22, s43, 0xfffffa80
	s_ashr_i32 s21, s20, 31
	v_add_co_ci_u32_e32 v8, vcc_lo, s11, v3, vcc_lo
	;; [unrolled: 7-line block ×5, first 2 shown]
	s_lshl_b64 s[6:7], s[6:7], 1
	s_cmp_lt_i32 s24, s41
	s_clause 0x4
	global_load_u16 v19, v[5:6], off
	global_load_u16 v20, v[7:8], off
	;; [unrolled: 1-line block ×5, first 2 shown]
	s_cselect_b32 s4, s24, s42
	s_add_i32 s10, s43, 0xfffffc80
	s_ashr_i32 s5, s4, 31
	v_add_co_u32 v5, vcc_lo, v1, s8
	s_lshl_b64 s[4:5], s[4:5], 1
	s_cmp_lt_i32 s10, s41
	v_add_co_ci_u32_e32 v6, vcc_lo, s9, v3, vcc_lo
	s_cselect_b32 s10, s10, s42
	s_add_i32 s18, s43, 0xfffffd00
	s_ashr_i32 s11, s10, 31
	v_add_co_u32 v7, vcc_lo, v1, s6
	s_lshl_b64 s[10:11], s[10:11], 1
	s_cmp_lt_i32 s18, s41
	v_add_co_ci_u32_e32 v8, vcc_lo, s7, v3, vcc_lo
	s_cselect_b32 s18, s18, s42
	s_add_i32 s20, s43, 0xfffffd80
	s_ashr_i32 s19, s18, 31
	v_add_co_u32 v9, vcc_lo, v1, s4
	s_lshl_b64 s[18:19], s[18:19], 1
	s_cmp_lt_i32 s20, s41
	global_load_u16 v37, v[5:6], off
	s_cselect_b32 s8, s20, s42
	s_add_i32 s20, s43, 0xfffffe00
	s_ashr_i32 s9, s8, 31
	v_add_co_ci_u32_e32 v10, vcc_lo, s5, v3, vcc_lo
	s_lshl_b64 s[6:7], s[8:9], 1
	s_cmp_lt_i32 s20, s41
	v_add_co_u32 v11, vcc_lo, v1, s10
	s_cselect_b32 s4, s20, s42
	s_clause 0x1
	global_load_u16 v38, v[7:8], off
	global_load_u16 v39, v[9:10], off
	v_add_co_ci_u32_e32 v12, vcc_lo, s11, v3, vcc_lo
	s_ashr_i32 s5, s4, 31
	s_add_i32 s8, s43, 0xfffffe80
	v_add_co_u32 v13, vcc_lo, v1, s18
	s_lshl_b64 s[4:5], s[4:5], 1
	s_cmp_lt_i32 s8, s41
	v_add_co_ci_u32_e32 v14, vcc_lo, s19, v3, vcc_lo
	v_add_co_u32 v15, vcc_lo, v1, s6
	s_cselect_b32 s8, s8, s42
	v_add_co_ci_u32_e32 v16, vcc_lo, s7, v3, vcc_lo
	s_ashr_i32 s9, s8, 31
	s_add_i32 s10, s43, 0xffffff00
	s_lshl_b64 s[6:7], s[8:9], 1
	s_clause 0x2
	global_load_u16 v40, v[11:12], off
	global_load_u16 v13, v[13:14], off
	;; [unrolled: 1-line block ×3, first 2 shown]
	s_cmp_lt_i32 s10, s41
	v_add_co_u32 v5, vcc_lo, v1, s4
	s_cselect_b32 s8, s10, s42
	s_add_i32 s10, s43, 0xffffff80
	s_ashr_i32 s9, s8, 31
	v_add_co_ci_u32_e32 v6, vcc_lo, s5, v3, vcc_lo
	s_lshl_b64 s[8:9], s[8:9], 1
	s_cmp_lt_i32 s10, s41
	v_add_co_u32 v7, vcc_lo, v1, s6
	s_cselect_b32 s4, s10, s42
	v_add_co_ci_u32_e32 v8, vcc_lo, s7, v3, vcc_lo
	s_ashr_i32 s5, s4, 31
	v_add_co_u32 v9, vcc_lo, v1, s8
	global_load_u16 v15, v[5:6], off
	s_lshl_b64 s[4:5], s[4:5], 1
	v_add_co_ci_u32_e32 v10, vcc_lo, s9, v3, vcc_lo
	s_cmp_lt_i32 s43, s41
	s_clause 0x1
	global_load_u16 v16, v[7:8], off
	global_load_u16 v41, v[9:10], off
	s_cselect_b32 s6, s43, s42
	v_add_co_u32 v5, vcc_lo, v1, s4
	s_ashr_i32 s7, s6, 31
	v_add_co_ci_u32_e32 v6, vcc_lo, s5, v3, vcc_lo
	s_lshl_b64 s[4:5], s[6:7], 1
	s_delay_alu instid0(SALU_CYCLE_1)
	v_add_co_u32 v7, vcc_lo, v1, s4
	v_add_co_ci_u32_e32 v8, vcc_lo, s5, v3, vcc_lo
	s_clause 0x1
	global_load_u16 v42, v[5:6], off
	global_load_u16 v43, v[7:8], off
	ds_load_b128 v[5:8], v44
	ds_load_b128 v[9:12], v44 offset:16
	s_waitcnt vmcnt(31) lgkmcnt(1)
	v_fma_mix_f32 v2, v5, v2, v4 op_sel_hi:[0,1,0]
	s_waitcnt vmcnt(30)
	s_delay_alu instid0(VALU_DEP_1) | instskip(SKIP_1) | instid1(VALU_DEP_1)
	v_fma_mix_f32 v2, v6, v21, v2 op_sel_hi:[0,1,0]
	s_waitcnt vmcnt(29)
	v_fma_mix_f32 v2, v7, v22, v2 op_sel_hi:[0,1,0]
	ds_load_b128 v[4:7], v44 offset:32
	s_waitcnt vmcnt(28)
	v_fma_mix_f32 v2, v8, v23, v2 op_sel_hi:[0,1,0]
	s_waitcnt vmcnt(27) lgkmcnt(1)
	s_delay_alu instid0(VALU_DEP_1) | instskip(SKIP_1) | instid1(VALU_DEP_1)
	v_fma_mix_f32 v2, v9, v24, v2 op_sel_hi:[0,1,0]
	s_waitcnt vmcnt(26)
	v_fma_mix_f32 v2, v10, v25, v2 op_sel_hi:[0,1,0]
	s_waitcnt vmcnt(25)
	s_delay_alu instid0(VALU_DEP_1) | instskip(SKIP_4) | instid1(VALU_DEP_1)
	v_fma_mix_f32 v2, v11, v26, v2 op_sel_hi:[0,1,0]
	ds_load_b128 v[8:11], v44 offset:48
	s_waitcnt vmcnt(24)
	v_fma_mix_f32 v2, v12, v27, v2 op_sel_hi:[0,1,0]
	s_waitcnt vmcnt(23) lgkmcnt(1)
	v_fma_mix_f32 v2, v4, v28, v2 op_sel_hi:[0,1,0]
	s_waitcnt vmcnt(22)
	s_delay_alu instid0(VALU_DEP_1) | instskip(SKIP_1) | instid1(VALU_DEP_1)
	v_fma_mix_f32 v2, v5, v29, v2 op_sel_hi:[0,1,0]
	s_waitcnt vmcnt(21)
	v_fma_mix_f32 v2, v6, v30, v2 op_sel_hi:[0,1,0]
	s_waitcnt vmcnt(20)
	s_delay_alu instid0(VALU_DEP_1) | instskip(SKIP_4) | instid1(VALU_DEP_1)
	v_fma_mix_f32 v2, v7, v31, v2 op_sel_hi:[0,1,0]
	ds_load_b128 v[4:7], v44 offset:64
	s_waitcnt vmcnt(19) lgkmcnt(1)
	v_fma_mix_f32 v2, v8, v32, v2 op_sel_hi:[0,1,0]
	s_waitcnt vmcnt(18)
	v_fma_mix_f32 v2, v9, v33, v2 op_sel_hi:[0,1,0]
	s_waitcnt vmcnt(17)
	s_delay_alu instid0(VALU_DEP_1) | instskip(SKIP_1) | instid1(VALU_DEP_1)
	v_fma_mix_f32 v2, v10, v17, v2 op_sel_hi:[0,1,0]
	s_waitcnt vmcnt(16)
	v_fma_mix_f32 v2, v11, v18, v2 op_sel_hi:[0,1,0]
	ds_load_b128 v[8:11], v44 offset:80
	s_waitcnt vmcnt(15) lgkmcnt(1)
	v_fma_mix_f32 v2, v4, v19, v2 op_sel_hi:[0,1,0]
	s_waitcnt vmcnt(14)
	s_delay_alu instid0(VALU_DEP_1) | instskip(SKIP_1) | instid1(VALU_DEP_1)
	v_fma_mix_f32 v2, v5, v20, v2 op_sel_hi:[0,1,0]
	s_waitcnt vmcnt(13)
	v_fma_mix_f32 v2, v6, v34, v2 op_sel_hi:[0,1,0]
	s_waitcnt vmcnt(12)
	s_delay_alu instid0(VALU_DEP_1) | instskip(SKIP_4) | instid1(VALU_DEP_1)
	v_fma_mix_f32 v2, v7, v35, v2 op_sel_hi:[0,1,0]
	ds_load_b128 v[4:7], v44 offset:96
	s_waitcnt vmcnt(11) lgkmcnt(1)
	v_fma_mix_f32 v2, v8, v36, v2 op_sel_hi:[0,1,0]
	s_waitcnt vmcnt(10)
	v_fma_mix_f32 v2, v9, v37, v2 op_sel_hi:[0,1,0]
	s_waitcnt vmcnt(9)
	s_delay_alu instid0(VALU_DEP_1) | instskip(SKIP_1) | instid1(VALU_DEP_1)
	v_fma_mix_f32 v2, v10, v38, v2 op_sel_hi:[0,1,0]
	s_waitcnt vmcnt(8)
	v_fma_mix_f32 v2, v11, v39, v2 op_sel_hi:[0,1,0]
	ds_load_b128 v[8:11], v44 offset:112
	s_waitcnt vmcnt(7) lgkmcnt(1)
	v_fma_mix_f32 v2, v4, v40, v2 op_sel_hi:[0,1,0]
	s_waitcnt vmcnt(6)
	s_delay_alu instid0(VALU_DEP_1) | instskip(SKIP_1) | instid1(VALU_DEP_1)
	v_fma_mix_f32 v2, v5, v13, v2 op_sel_hi:[0,1,0]
	s_waitcnt vmcnt(5)
	v_fma_mix_f32 v2, v6, v14, v2 op_sel_hi:[0,1,0]
	s_waitcnt vmcnt(4)
	s_delay_alu instid0(VALU_DEP_1) | instskip(SKIP_1) | instid1(VALU_DEP_1)
	v_fma_mix_f32 v2, v7, v15, v2 op_sel_hi:[0,1,0]
	s_waitcnt vmcnt(3) lgkmcnt(0)
	v_fma_mix_f32 v2, v8, v16, v2 op_sel_hi:[0,1,0]
	s_waitcnt vmcnt(2)
	s_delay_alu instid0(VALU_DEP_1) | instskip(SKIP_1) | instid1(VALU_DEP_1)
	v_fma_mix_f32 v2, v9, v41, v2 op_sel_hi:[0,1,0]
	s_waitcnt vmcnt(1)
	v_fma_mix_f32 v2, v10, v42, v2 op_sel_hi:[0,1,0]
	s_waitcnt vmcnt(0)
	s_delay_alu instid0(VALU_DEP_1)
	v_fma_mix_f32 v4, v11, v43, v2 op_sel_hi:[0,1,0]
	s_branch .LBB279_14
.LBB279_17:
	v_mov_b32_e32 v1, 0
	s_and_b32 vcc_lo, exec_lo, s15
	ds_load_b32 v1, v1 offset:1280
	s_cbranch_vccz .LBB279_19
; %bb.18:
	s_add_u32 s2, s12, s16
	s_addc_u32 s3, s13, s17
	s_load_b32 s2, s[2:3], 0x0
	s_mov_b32 s3, 0
.LBB279_19:
	s_waitcnt lgkmcnt(0)
	v_add_f32_e32 v1, 0x358637bd, v1
	s_mul_i32 s3, s33, s3
	s_mul_hi_u32 s4, s33, s2
	s_mul_i32 s2, s33, s2
	s_add_i32 s3, s4, s3
	v_div_scale_f32 v2, null, v1, v1, 1.0
	s_lshl_b64 s[2:3], s[2:3], 8
	s_mov_b32 s15, 0
	s_add_u32 s2, s0, s2
	s_delay_alu instid0(VALU_DEP_1) | instskip(SKIP_2) | instid1(SALU_CYCLE_1)
	v_rcp_f32_e32 v3, v2
	s_addc_u32 s3, s1, s3
	s_lshl_b64 s[0:1], s[14:15], 8
	s_add_u32 s0, s2, s0
	s_addc_u32 s1, s3, s1
	s_waitcnt_depctr 0xfff
	v_fma_f32 v5, -v2, v3, 1.0
	s_delay_alu instid0(VALU_DEP_1) | instskip(SKIP_1) | instid1(VALU_DEP_1)
	v_fmac_f32_e32 v3, v5, v3
	v_div_scale_f32 v5, vcc_lo, 1.0, v1, 1.0
	v_mul_f32_e32 v6, v5, v3
	s_delay_alu instid0(VALU_DEP_1) | instskip(NEXT) | instid1(VALU_DEP_1)
	v_fma_f32 v7, -v2, v6, v5
	v_fmac_f32_e32 v6, v7, v3
	s_delay_alu instid0(VALU_DEP_1) | instskip(NEXT) | instid1(VALU_DEP_1)
	v_fma_f32 v2, -v2, v6, v5
	v_div_fmas_f32 v2, v2, v3, v6
	s_delay_alu instid0(VALU_DEP_1) | instskip(NEXT) | instid1(VALU_DEP_1)
	v_div_fixup_f32 v1, v2, v1, 1.0
	v_fma_mixlo_f16 v1, v4, v1, 0
	global_store_b16 v0, v1, s[0:1]
	s_nop 0
	s_sendmsg sendmsg(MSG_DEALLOC_VGPRS)
	s_endpgm
.LBB279_20:
	s_mov_b32 s4, 0
	s_branch .LBB279_2
	.section	.rodata,"a",@progbits
	.p2align	6, 0x0
	.amdhsa_kernel _Z35paged_attention_ll4mi_reduce_kernelIDF16_DF16_Li128ELi128ELi256ELi10EEvPT0_PKfS3_PKT_PKiS8_iS3_
		.amdhsa_group_segment_fixed_size 1284
		.amdhsa_private_segment_fixed_size 0
		.amdhsa_kernarg_size 320
		.amdhsa_user_sgpr_count 14
		.amdhsa_user_sgpr_dispatch_ptr 0
		.amdhsa_user_sgpr_queue_ptr 0
		.amdhsa_user_sgpr_kernarg_segment_ptr 1
		.amdhsa_user_sgpr_dispatch_id 0
		.amdhsa_user_sgpr_private_segment_size 0
		.amdhsa_wavefront_size32 1
		.amdhsa_uses_dynamic_stack 0
		.amdhsa_enable_private_segment 0
		.amdhsa_system_sgpr_workgroup_id_x 1
		.amdhsa_system_sgpr_workgroup_id_y 1
		.amdhsa_system_sgpr_workgroup_id_z 0
		.amdhsa_system_sgpr_workgroup_info 0
		.amdhsa_system_vgpr_workitem_id 0
		.amdhsa_next_free_vgpr 57
		.amdhsa_next_free_sgpr 47
		.amdhsa_reserve_vcc 1
		.amdhsa_float_round_mode_32 0
		.amdhsa_float_round_mode_16_64 0
		.amdhsa_float_denorm_mode_32 3
		.amdhsa_float_denorm_mode_16_64 3
		.amdhsa_dx10_clamp 1
		.amdhsa_ieee_mode 1
		.amdhsa_fp16_overflow 0
		.amdhsa_workgroup_processor_mode 1
		.amdhsa_memory_ordered 1
		.amdhsa_forward_progress 0
		.amdhsa_shared_vgpr_count 0
		.amdhsa_exception_fp_ieee_invalid_op 0
		.amdhsa_exception_fp_denorm_src 0
		.amdhsa_exception_fp_ieee_div_zero 0
		.amdhsa_exception_fp_ieee_overflow 0
		.amdhsa_exception_fp_ieee_underflow 0
		.amdhsa_exception_fp_ieee_inexact 0
		.amdhsa_exception_int_div_zero 0
	.end_amdhsa_kernel
	.section	.text._Z35paged_attention_ll4mi_reduce_kernelIDF16_DF16_Li128ELi128ELi256ELi10EEvPT0_PKfS3_PKT_PKiS8_iS3_,"axG",@progbits,_Z35paged_attention_ll4mi_reduce_kernelIDF16_DF16_Li128ELi128ELi256ELi10EEvPT0_PKfS3_PKT_PKiS8_iS3_,comdat
.Lfunc_end279:
	.size	_Z35paged_attention_ll4mi_reduce_kernelIDF16_DF16_Li128ELi128ELi256ELi10EEvPT0_PKfS3_PKT_PKiS8_iS3_, .Lfunc_end279-_Z35paged_attention_ll4mi_reduce_kernelIDF16_DF16_Li128ELi128ELi256ELi10EEvPT0_PKfS3_PKT_PKiS8_iS3_
                                        ; -- End function
	.section	.AMDGPU.csdata,"",@progbits
; Kernel info:
; codeLenInByte = 6944
; NumSgprs: 49
; NumVgprs: 57
; ScratchSize: 0
; MemoryBound: 0
; FloatMode: 240
; IeeeMode: 1
; LDSByteSize: 1284 bytes/workgroup (compile time only)
; SGPRBlocks: 6
; VGPRBlocks: 7
; NumSGPRsForWavesPerEU: 49
; NumVGPRsForWavesPerEU: 57
; Occupancy: 16
; WaveLimiterHint : 0
; COMPUTE_PGM_RSRC2:SCRATCH_EN: 0
; COMPUTE_PGM_RSRC2:USER_SGPR: 14
; COMPUTE_PGM_RSRC2:TRAP_HANDLER: 0
; COMPUTE_PGM_RSRC2:TGID_X_EN: 1
; COMPUTE_PGM_RSRC2:TGID_Y_EN: 1
; COMPUTE_PGM_RSRC2:TGID_Z_EN: 0
; COMPUTE_PGM_RSRC2:TIDIG_COMP_CNT: 0
	.section	.text._Z35paged_attention_ll4mi_reduce_kernelIDF16_DF16_Li128ELi128ELi256ELi11EEvPT0_PKfS3_PKT_PKiS8_iS3_,"axG",@progbits,_Z35paged_attention_ll4mi_reduce_kernelIDF16_DF16_Li128ELi128ELi256ELi11EEvPT0_PKfS3_PKT_PKiS8_iS3_,comdat
	.protected	_Z35paged_attention_ll4mi_reduce_kernelIDF16_DF16_Li128ELi128ELi256ELi11EEvPT0_PKfS3_PKT_PKiS8_iS3_ ; -- Begin function _Z35paged_attention_ll4mi_reduce_kernelIDF16_DF16_Li128ELi128ELi256ELi11EEvPT0_PKfS3_PKT_PKiS8_iS3_
	.globl	_Z35paged_attention_ll4mi_reduce_kernelIDF16_DF16_Li128ELi128ELi256ELi11EEvPT0_PKfS3_PKT_PKiS8_iS3_
	.p2align	8
	.type	_Z35paged_attention_ll4mi_reduce_kernelIDF16_DF16_Li128ELi128ELi256ELi11EEvPT0_PKfS3_PKT_PKiS8_iS3_,@function
_Z35paged_attention_ll4mi_reduce_kernelIDF16_DF16_Li128ELi128ELi256ELi11EEvPT0_PKfS3_PKT_PKiS8_iS3_: ; @_Z35paged_attention_ll4mi_reduce_kernelIDF16_DF16_Li128ELi128ELi256ELi11EEvPT0_PKfS3_PKT_PKiS8_iS3_
; %bb.0:
	s_load_b64 s[12:13], s[0:1], 0x28
	s_mov_b32 s2, s15
	s_waitcnt lgkmcnt(0)
	s_cmp_lg_u64 s[12:13], 0
	s_cselect_b32 s15, -1, 0
	s_delay_alu instid0(SALU_CYCLE_1)
	s_and_b32 vcc_lo, exec_lo, s15
	s_cbranch_vccz .LBB280_20
; %bb.1:
	s_add_i32 s4, s2, 1
	s_mov_b32 s5, 0
	s_delay_alu instid0(SALU_CYCLE_1) | instskip(SKIP_4) | instid1(SALU_CYCLE_1)
	s_lshl_b64 s[6:7], s[4:5], 2
	s_mov_b32 s3, s5
	s_add_u32 s6, s12, s6
	s_addc_u32 s7, s13, s7
	s_lshl_b64 s[8:9], s[2:3], 2
	s_add_u32 s8, s12, s8
	s_addc_u32 s9, s13, s9
	s_clause 0x1
	s_load_b32 s4, s[6:7], 0x0
	s_load_b32 s6, s[8:9], 0x0
	s_waitcnt lgkmcnt(0)
	s_sub_i32 s4, s4, s6
	s_delay_alu instid0(SALU_CYCLE_1)
	s_cmp_eq_u32 s4, 1
	s_cselect_b32 s4, -1, 0
	s_cbranch_execnz .LBB280_3
.LBB280_2:
	s_mov_b32 s3, 0
	s_mov_b32 s4, -1
.LBB280_3:
	s_delay_alu instid0(SALU_CYCLE_1)
	s_and_not1_b32 vcc_lo, exec_lo, s4
	s_cbranch_vccz .LBB280_5
; %bb.4:
	s_endpgm
.LBB280_5:
	s_clause 0x1
	s_load_b128 s[4:7], s[0:1], 0x18
	s_load_b32 s9, s[0:1], 0x30
	s_lshl_b64 s[16:17], s[2:3], 2
	s_waitcnt lgkmcnt(0)
	s_add_u32 s6, s6, s16
	s_addc_u32 s7, s7, s17
	s_load_b32 s23, s[6:7], 0x0
	s_load_b32 s33, s[0:1], 0x40
	s_mul_i32 s7, s2, s9
	s_waitcnt lgkmcnt(0)
	s_add_i32 s22, s23, 0xff
	s_delay_alu instid0(SALU_CYCLE_1) | instskip(NEXT) | instid1(SALU_CYCLE_1)
	s_ashr_i32 s6, s22, 31
	s_lshr_b32 s6, s6, 24
	s_delay_alu instid0(SALU_CYCLE_1) | instskip(SKIP_4) | instid1(SALU_CYCLE_1)
	s_add_i32 s8, s22, s6
	s_mul_i32 s6, s14, s9
	s_mov_b32 s9, exec_lo
	v_cmpx_lt_u32_e32 31, v0
	s_xor_b32 s9, exec_lo, s9
	s_or_saveexec_b32 s24, s9
	v_mov_b32_e32 v1, s6
	s_ashr_i32 s40, s8, 8
	s_mul_i32 s18, s7, s33
	s_xor_b32 exec_lo, exec_lo, s24
	s_cbranch_execz .LBB280_9
; %bb.6:
	v_or_b32_e32 v2, 32, v0
	v_cmp_gt_i32_e32 vcc_lo, s40, v0
	s_add_i32 s20, s40, -1
	v_or_b32_e32 v4, 64, v0
	v_or_b32_e32 v6, 0xa0, v0
	s_load_b128 s[8:11], s[0:1], 0x8
	v_cndmask_b32_e32 v1, s20, v0, vcc_lo
	v_cmp_gt_i32_e32 vcc_lo, s40, v2
	s_mov_b32 s19, 0
	s_delay_alu instid0(SALU_CYCLE_1)
	s_mov_b32 s7, s19
	v_cndmask_b32_e32 v3, s20, v2, vcc_lo
	v_or_b32_e32 v2, 0x60, v0
	v_cmp_gt_i32_e32 vcc_lo, s40, v4
	v_cndmask_b32_e32 v5, s20, v4, vcc_lo
	v_or_b32_e32 v4, 0x80, v0
	s_delay_alu instid0(VALU_DEP_4) | instskip(SKIP_1) | instid1(VALU_DEP_3)
	v_cmp_gt_i32_e32 vcc_lo, s40, v2
	v_cndmask_b32_e32 v7, s20, v2, vcc_lo
	v_cmp_gt_i32_e32 vcc_lo, s40, v4
	v_or_b32_e32 v2, 0xc0, v0
	s_delay_alu instid0(VALU_DEP_3) | instskip(SKIP_3) | instid1(VALU_DEP_4)
	v_ashrrev_i32_e32 v8, 31, v7
	v_cndmask_b32_e32 v9, s20, v4, vcc_lo
	v_cmp_gt_i32_e32 vcc_lo, s40, v6
	v_or_b32_e32 v4, 0xe0, v0
	v_lshlrev_b64 v[7:8], 2, v[7:8]
	s_delay_alu instid0(VALU_DEP_4) | instskip(SKIP_3) | instid1(VALU_DEP_4)
	v_ashrrev_i32_e32 v10, 31, v9
	v_cndmask_b32_e32 v11, s20, v6, vcc_lo
	v_cmp_gt_i32_e32 vcc_lo, s40, v2
	v_or_b32_e32 v6, 0x120, v0
	v_lshlrev_b64 v[9:10], 2, v[9:10]
	s_delay_alu instid0(VALU_DEP_4) | instskip(SKIP_3) | instid1(VALU_DEP_4)
	v_ashrrev_i32_e32 v12, 31, v11
	v_cndmask_b32_e32 v13, s20, v2, vcc_lo
	v_or_b32_e32 v2, 0x100, v0
	v_cmp_gt_i32_e32 vcc_lo, s40, v4
	v_lshlrev_b64 v[11:12], 2, v[11:12]
	s_delay_alu instid0(VALU_DEP_4) | instskip(SKIP_3) | instid1(VALU_DEP_4)
	v_ashrrev_i32_e32 v14, 31, v13
	v_cndmask_b32_e32 v15, s20, v4, vcc_lo
	v_cmp_gt_i32_e32 vcc_lo, s40, v2
	v_or_b32_e32 v4, 0x140, v0
	v_lshlrev_b64 v[13:14], 2, v[13:14]
	s_delay_alu instid0(VALU_DEP_4) | instskip(SKIP_3) | instid1(VALU_DEP_4)
	v_ashrrev_i32_e32 v16, 31, v15
	v_cndmask_b32_e32 v17, s20, v2, vcc_lo
	v_cmp_gt_i32_e32 vcc_lo, s40, v6
	v_ashrrev_i32_e32 v2, 31, v1
	v_lshlrev_b64 v[15:16], 2, v[15:16]
	s_delay_alu instid0(VALU_DEP_4)
	v_ashrrev_i32_e32 v18, 31, v17
	v_cndmask_b32_e32 v19, s20, v6, vcc_lo
	v_cmp_gt_i32_e32 vcc_lo, s40, v4
	v_lshlrev_b64 v[1:2], 2, v[1:2]
	v_ashrrev_i32_e32 v6, 31, v5
	v_lshlrev_b64 v[17:18], 2, v[17:18]
	v_ashrrev_i32_e32 v20, 31, v19
	v_cndmask_b32_e32 v21, s20, v4, vcc_lo
	v_ashrrev_i32_e32 v4, 31, v3
	s_lshl_b64 s[20:21], s[18:19], 2
	v_lshlrev_b64 v[5:6], 2, v[5:6]
	s_waitcnt lgkmcnt(0)
	s_add_u32 s19, s10, s20
	s_addc_u32 s25, s11, s21
	s_lshl_b64 s[10:11], s[6:7], 2
	v_lshlrev_b64 v[3:4], 2, v[3:4]
	s_add_u32 s7, s19, s10
	s_addc_u32 s19, s25, s11
	v_add_co_u32 v22, vcc_lo, s7, v1
	v_add_co_ci_u32_e32 v23, vcc_lo, s19, v2, vcc_lo
	s_delay_alu instid0(VALU_DEP_3)
	v_add_co_u32 v24, vcc_lo, s7, v3
	v_add_co_ci_u32_e32 v25, vcc_lo, s19, v4, vcc_lo
	v_add_co_u32 v26, vcc_lo, s7, v5
	v_add_co_ci_u32_e32 v27, vcc_lo, s19, v6, vcc_lo
	;; [unrolled: 2-line block ×5, first 2 shown]
	v_add_co_u32 v34, vcc_lo, s7, v13
	s_clause 0x2
	global_load_b32 v38, v[22:23], off
	global_load_b32 v39, v[24:25], off
	;; [unrolled: 1-line block ×3, first 2 shown]
	v_ashrrev_i32_e32 v22, 31, v21
	v_add_co_ci_u32_e32 v35, vcc_lo, s19, v14, vcc_lo
	v_add_co_u32 v36, vcc_lo, s7, v15
	v_lshlrev_b64 v[19:20], 2, v[19:20]
	v_add_co_ci_u32_e32 v37, vcc_lo, s19, v16, vcc_lo
	v_add_co_u32 v23, vcc_lo, s7, v17
	v_lshlrev_b64 v[21:22], 2, v[21:22]
	s_clause 0x4
	global_load_b32 v29, v[28:29], off
	global_load_b32 v30, v[30:31], off
	;; [unrolled: 1-line block ×5, first 2 shown]
	v_add_co_ci_u32_e32 v24, vcc_lo, s19, v18, vcc_lo
	v_add_co_u32 v25, vcc_lo, s7, v19
	v_add_co_ci_u32_e32 v26, vcc_lo, s19, v20, vcc_lo
	v_add_co_u32 v27, vcc_lo, s7, v21
	v_add_co_ci_u32_e32 v28, vcc_lo, s19, v22, vcc_lo
	s_clause 0x2
	global_load_b32 v23, v[23:24], off
	global_load_b32 v24, v[25:26], off
	;; [unrolled: 1-line block ×3, first 2 shown]
	s_add_u32 s7, s8, s20
	s_addc_u32 s8, s9, s21
	s_add_u32 s7, s7, s10
	s_addc_u32 s8, s8, s11
	v_add_co_u32 v1, vcc_lo, s7, v1
	v_add_co_ci_u32_e32 v2, vcc_lo, s8, v2, vcc_lo
	v_add_co_u32 v3, vcc_lo, s7, v3
	v_add_co_ci_u32_e32 v4, vcc_lo, s8, v4, vcc_lo
	;; [unrolled: 2-line block ×8, first 2 shown]
	s_clause 0x7
	global_load_b32 v34, v[1:2], off
	global_load_b32 v3, v[3:4], off
	;; [unrolled: 1-line block ×8, first 2 shown]
	v_mbcnt_lo_u32_b32 v26, -1, 0
	s_delay_alu instid0(VALU_DEP_1) | instskip(SKIP_2) | instid1(VALU_DEP_3)
	v_xor_b32_e32 v27, 16, v26
	v_xor_b32_e32 v14, 8, v26
	;; [unrolled: 1-line block ×3, first 2 shown]
	v_cmp_gt_i32_e32 vcc_lo, 32, v27
	v_cndmask_b32_e32 v1, v26, v27, vcc_lo
	s_delay_alu instid0(VALU_DEP_1)
	v_lshlrev_b32_e32 v10, 2, v1
	v_add_co_u32 v1, vcc_lo, s7, v17
	v_xor_b32_e32 v17, 1, v26
	s_waitcnt vmcnt(16)
	v_max3_f32 v28, v38, v39, v40
	s_waitcnt vmcnt(14)
	s_delay_alu instid0(VALU_DEP_1) | instskip(SKIP_1) | instid1(VALU_DEP_1)
	v_max3_f32 v28, v28, v29, v30
	s_waitcnt vmcnt(12)
	v_max3_f32 v28, v28, v31, v32
	s_waitcnt vmcnt(10)
	s_delay_alu instid0(VALU_DEP_1) | instskip(SKIP_1) | instid1(VALU_DEP_1)
	v_max3_f32 v2, v28, v33, v23
	s_waitcnt vmcnt(8)
	v_max3_f32 v11, v2, v24, v25
	v_add_co_ci_u32_e32 v2, vcc_lo, s8, v18, vcc_lo
	ds_bpermute_b32 v12, v10, v11
	global_load_b32 v13, v[1:2], off
	v_add_co_u32 v1, vcc_lo, s7, v19
	v_add_co_ci_u32_e32 v2, vcc_lo, s8, v20, vcc_lo
	v_cmp_gt_i32_e32 vcc_lo, 32, v14
	global_load_b32 v15, v[1:2], off
	s_waitcnt lgkmcnt(0)
	v_max_f32_e32 v12, v12, v12
	v_cndmask_b32_e32 v14, v26, v14, vcc_lo
	v_add_co_u32 v1, vcc_lo, s7, v21
	v_add_co_ci_u32_e32 v2, vcc_lo, s8, v22, vcc_lo
	s_delay_alu instid0(VALU_DEP_3)
	v_dual_max_f32 v11, v11, v12 :: v_dual_lshlrev_b32 v14, 2, v14
	v_xor_b32_e32 v12, 4, v26
	global_load_b32 v1, v[1:2], off
	s_mov_b32 s7, exec_lo
	ds_bpermute_b32 v2, v14, v11
	v_cmp_gt_i32_e32 vcc_lo, 32, v12
	v_cndmask_b32_e32 v12, v26, v12, vcc_lo
	v_cmp_gt_i32_e32 vcc_lo, 32, v16
	s_delay_alu instid0(VALU_DEP_2) | instskip(SKIP_2) | instid1(VALU_DEP_2)
	v_lshlrev_b32_e32 v12, 2, v12
	v_cndmask_b32_e32 v16, v26, v16, vcc_lo
	v_cmp_gt_i32_e32 vcc_lo, 32, v17
	v_dual_cndmask_b32 v17, v26, v17 :: v_dual_lshlrev_b32 v16, 2, v16
	s_waitcnt lgkmcnt(0)
	s_delay_alu instid0(VALU_DEP_1) | instskip(NEXT) | instid1(VALU_DEP_1)
	v_dual_max_f32 v2, v2, v2 :: v_dual_lshlrev_b32 v17, 2, v17
	v_max_f32_e32 v2, v11, v2
	ds_bpermute_b32 v11, v12, v2
	s_waitcnt lgkmcnt(0)
	v_max_f32_e32 v11, v11, v11
	s_delay_alu instid0(VALU_DEP_1) | instskip(SKIP_3) | instid1(VALU_DEP_1)
	v_max_f32_e32 v2, v2, v11
	ds_bpermute_b32 v11, v16, v2
	s_waitcnt lgkmcnt(0)
	v_max_f32_e32 v11, v11, v11
	v_max_f32_e32 v2, v2, v11
	ds_bpermute_b32 v11, v17, v2
	s_waitcnt lgkmcnt(0)
	v_max_f32_e32 v11, v11, v11
	s_delay_alu instid0(VALU_DEP_1) | instskip(SKIP_1) | instid1(VALU_DEP_2)
	v_max_f32_e32 v2, v2, v11
	v_sub_nc_u32_e32 v11, s40, v0
	v_sub_f32_e32 v28, v33, v2
	v_sub_f32_e32 v20, v40, v2
	;; [unrolled: 1-line block ×4, first 2 shown]
	s_delay_alu instid0(VALU_DEP_4)
	v_dual_sub_f32 v21, v29, v2 :: v_dual_mul_f32 v36, 0x3fb8aa3b, v28
	v_sub_f32_e32 v22, v30, v2
	v_mul_f32_e32 v30, 0x3fb8aa3b, v20
	v_dual_sub_f32 v24, v24, v2 :: v_dual_mul_f32 v29, 0x3fb8aa3b, v19
	v_sub_f32_e32 v26, v31, v2
	v_sub_f32_e32 v27, v32, v2
	s_delay_alu instid0(VALU_DEP_4) | instskip(NEXT) | instid1(VALU_DEP_4)
	v_fma_f32 v44, 0x3fb8aa3b, v20, -v30
	v_mul_f32_e32 v38, 0x3fb8aa3b, v24
	v_fma_f32 v42, 0x3fb8aa3b, v19, -v29
	v_sub_f32_e32 v23, v23, v2
	v_dual_sub_f32 v2, v25, v2 :: v_dual_mul_f32 v31, 0x3fb8aa3b, v21
	v_rndne_f32_e32 v43, v29
	v_rndne_f32_e32 v45, v30
	v_mul_f32_e32 v25, 0x3fb8aa3b, v18
	v_fmac_f32_e32 v42, 0x32a5705f, v19
	s_delay_alu instid0(VALU_DEP_4) | instskip(NEXT) | instid1(VALU_DEP_4)
	v_dual_fmac_f32 v44, 0x32a5705f, v20 :: v_dual_sub_f32 v29, v29, v43
	v_dual_sub_f32 v30, v30, v45 :: v_dual_mul_f32 v37, 0x3fb8aa3b, v23
	s_delay_alu instid0(VALU_DEP_4) | instskip(SKIP_2) | instid1(VALU_DEP_4)
	v_fma_f32 v40, 0x3fb8aa3b, v18, -v25
	v_rndne_f32_e32 v41, v25
	v_dual_mul_f32 v32, 0x3fb8aa3b, v22 :: v_dual_mul_f32 v35, 0x3fb8aa3b, v27
	v_add_f32_e32 v30, v30, v44
	v_fma_f32 v56, 0x3fb8aa3b, v23, -v37
	s_delay_alu instid0(VALU_DEP_4) | instskip(NEXT) | instid1(VALU_DEP_4)
	v_dual_fmac_f32 v40, 0x32a5705f, v18 :: v_dual_sub_f32 v25, v25, v41
	v_fma_f32 v48, 0x3fb8aa3b, v22, -v32
	v_rndne_f32_e32 v49, v32
	v_mul_f32_e32 v33, 0x3fb8aa3b, v26
	v_fma_f32 v54, 0x3fb8aa3b, v28, -v36
	v_dual_fmac_f32 v56, 0x32a5705f, v23 :: v_dual_add_f32 v25, v25, v40
	v_fma_f32 v46, 0x3fb8aa3b, v21, -v31
	v_rndne_f32_e32 v47, v31
	v_rndne_f32_e32 v53, v35
	v_sub_f32_e32 v32, v32, v49
	v_fma_f32 v50, 0x3fb8aa3b, v26, -v33
	v_rndne_f32_e32 v51, v33
	v_fmac_f32_e32 v48, 0x32a5705f, v22
	v_dual_fmac_f32 v54, 0x32a5705f, v28 :: v_dual_add_f32 v29, v29, v42
	v_exp_f32_e32 v25, v25
	v_fma_f32 v52, 0x3fb8aa3b, v27, -v35
	v_rndne_f32_e32 v55, v36
	v_fma_f32 v58, 0x3fb8aa3b, v24, -v38
	v_cvt_i32_f32_e32 v41, v41
	v_dual_fmac_f32 v46, 0x32a5705f, v21 :: v_dual_sub_f32 v31, v31, v47
	v_dual_fmac_f32 v50, 0x32a5705f, v26 :: v_dual_sub_f32 v35, v35, v53
	v_dual_sub_f32 v33, v33, v51 :: v_dual_add_f32 v32, v32, v48
	v_exp_f32_e32 v29, v29
	v_exp_f32_e32 v30, v30
	v_dual_mul_f32 v39, 0x3fb8aa3b, v2 :: v_dual_sub_f32 v36, v36, v55
	v_rndne_f32_e32 v57, v37
	v_cvt_i32_f32_e32 v43, v43
	v_cvt_i32_f32_e32 v45, v45
	v_fmac_f32_e32 v52, 0x32a5705f, v27
	v_dual_fmac_f32 v58, 0x32a5705f, v24 :: v_dual_add_f32 v31, v31, v46
	v_add_f32_e32 v33, v33, v50
	v_exp_f32_e32 v32, v32
	v_ldexp_f32 v25, v25, v41
	v_cmp_ngt_f32_e32 vcc_lo, 0xc2ce8ed0, v18
	v_cvt_i32_f32_e32 v49, v49
	v_sub_f32_e32 v37, v37, v57
	v_dual_add_f32 v35, v35, v52 :: v_dual_add_f32 v36, v36, v54
	v_exp_f32_e32 v31, v31
	v_ldexp_f32 v29, v29, v43
	v_ldexp_f32 v30, v30, v45
	v_cndmask_b32_e32 v25, 0, v25, vcc_lo
	v_cmp_ngt_f32_e32 vcc_lo, 0xc2ce8ed0, v19
	v_cvt_i32_f32_e32 v47, v47
	v_exp_f32_e32 v36, v36
	v_ldexp_f32 v32, v32, v49
	v_cvt_i32_f32_e32 v55, v55
	v_cndmask_b32_e32 v29, 0, v29, vcc_lo
	v_cmp_ngt_f32_e32 vcc_lo, 0xc2ce8ed0, v20
	v_exp_f32_e32 v33, v33
	v_ldexp_f32 v31, v31, v47
	v_cvt_i32_f32_e32 v51, v51
	v_exp_f32_e32 v35, v35
	v_cndmask_b32_e32 v30, 0, v30, vcc_lo
	v_cmp_ngt_f32_e32 vcc_lo, 0xc2ce8ed0, v21
	v_ldexp_f32 v36, v36, v55
	v_cvt_i32_f32_e32 v53, v53
	v_rndne_f32_e32 v59, v38
	v_add_f32_e32 v37, v37, v56
	v_cndmask_b32_e32 v31, 0, v31, vcc_lo
	v_cmp_ngt_f32_e32 vcc_lo, 0xc2ce8ed0, v22
	v_ldexp_f32 v33, v33, v51
	v_ldexp_f32 v35, v35, v53
	v_sub_f32_e32 v38, v38, v59
	v_fma_f32 v60, 0x3fb8aa3b, v2, -v39
	v_cndmask_b32_e32 v32, 0, v32, vcc_lo
	v_cmp_ngt_f32_e32 vcc_lo, 0xc2ce8ed0, v26
	v_exp_f32_e32 v37, v37
	v_rndne_f32_e32 v61, v39
	v_cvt_i32_f32_e32 v57, v57
	v_dual_fmac_f32 v60, 0x32a5705f, v2 :: v_dual_cndmask_b32 v33, 0, v33
	v_cmp_ngt_f32_e32 vcc_lo, 0xc2ce8ed0, v27
	v_cndmask_b32_e32 v35, 0, v35, vcc_lo
	v_cmp_ngt_f32_e32 vcc_lo, 0xc2ce8ed0, v28
	v_cndmask_b32_e32 v36, 0, v36, vcc_lo
	v_cmp_nlt_f32_e32 vcc_lo, 0x42b17218, v18
	v_cndmask_b32_e32 v18, 0x7f800000, v25, vcc_lo
	v_cmp_nlt_f32_e32 vcc_lo, 0x42b17218, v19
	;; [unrolled: 2-line block ×8, first 2 shown]
	v_cndmask_b32_e32 v27, 0x7f800000, v36, vcc_lo
	v_cmp_lt_i32_e32 vcc_lo, 0, v11
	v_cndmask_b32_e32 v18, 0, v18, vcc_lo
	v_cmp_lt_i32_e32 vcc_lo, 32, v11
	s_waitcnt vmcnt(10)
	s_delay_alu instid0(VALU_DEP_2) | instskip(SKIP_4) | instid1(VALU_DEP_2)
	v_dual_mul_f32 v18, v34, v18 :: v_dual_cndmask_b32 v19, 0, v19
	v_cmp_lt_i32_e32 vcc_lo, 64, v11
	v_cndmask_b32_e32 v20, 0, v20, vcc_lo
	v_cmp_lt_i32_e32 vcc_lo, 0x60, v11
	s_waitcnt vmcnt(8)
	v_dual_mul_f32 v4, v4, v20 :: v_dual_cndmask_b32 v21, 0, v21
	v_cmp_lt_i32_e32 vcc_lo, 0x80, v11
	v_ldexp_f32 v20, v37, v57
	v_cndmask_b32_e32 v22, 0, v22, vcc_lo
	v_cmp_lt_i32_e32 vcc_lo, 0xa0, v11
	v_mul_f32_e32 v3, v3, v19
	v_add_f32_e32 v19, v38, v58
	s_waitcnt vmcnt(6)
	v_dual_mul_f32 v6, v6, v22 :: v_dual_cndmask_b32 v25, 0, v25
	v_cmp_lt_i32_e32 vcc_lo, 0xc0, v11
	v_add_f32_e32 v22, v18, v3
	v_exp_f32_e32 v19, v19
	s_waitcnt vmcnt(5)
	v_dual_mul_f32 v7, v7, v25 :: v_dual_cndmask_b32 v26, 0, v26
	v_cmp_lt_i32_e32 vcc_lo, 0xe0, v11
	v_mul_f32_e32 v5, v5, v21
	v_dual_sub_f32 v21, v39, v61 :: v_dual_add_f32 v22, v22, v4
	s_waitcnt vmcnt(4)
	v_dual_mul_f32 v8, v8, v26 :: v_dual_cndmask_b32 v27, 0, v27
	v_cmp_ngt_f32_e32 vcc_lo, 0xc2ce8ed0, v23
	s_delay_alu instid0(VALU_DEP_3)
	v_dual_add_f32 v21, v21, v60 :: v_dual_add_f32 v22, v22, v5
	v_cvt_i32_f32_e32 v25, v59
	s_waitcnt vmcnt(3)
	v_dual_cndmask_b32 v20, 0, v20 :: v_dual_mul_f32 v9, v9, v27
	v_cmp_nlt_f32_e32 vcc_lo, 0x42b17218, v23
	v_exp_f32_e32 v21, v21
	v_add_f32_e32 v22, v22, v6
	v_ldexp_f32 v19, v19, v25
	v_cvt_i32_f32_e32 v23, v61
	v_cndmask_b32_e32 v20, 0x7f800000, v20, vcc_lo
	v_cmp_lt_i32_e32 vcc_lo, 0x100, v11
	s_delay_alu instid0(VALU_DEP_2) | instskip(SKIP_3) | instid1(VALU_DEP_3)
	v_cndmask_b32_e32 v20, 0, v20, vcc_lo
	v_cmp_ngt_f32_e32 vcc_lo, 0xc2ce8ed0, v24
	v_cndmask_b32_e32 v19, 0, v19, vcc_lo
	s_waitcnt vmcnt(2)
	v_mul_f32_e32 v13, v13, v20
	v_ldexp_f32 v20, v21, v23
	v_add_f32_e32 v21, v22, v7
	v_cmp_nlt_f32_e32 vcc_lo, 0x42b17218, v24
	s_delay_alu instid0(VALU_DEP_2) | instskip(SKIP_4) | instid1(VALU_DEP_4)
	v_add_f32_e32 v21, v21, v8
	v_cndmask_b32_e32 v19, 0x7f800000, v19, vcc_lo
	v_cmp_ngt_f32_e32 vcc_lo, 0xc2ce8ed0, v2
	v_cndmask_b32_e32 v20, 0, v20, vcc_lo
	v_cmp_lt_i32_e32 vcc_lo, 0x120, v11
	v_cndmask_b32_e32 v19, 0, v19, vcc_lo
	v_cmp_nlt_f32_e32 vcc_lo, 0x42b17218, v2
	s_waitcnt vmcnt(1)
	s_delay_alu instid0(VALU_DEP_2) | instskip(SKIP_1) | instid1(VALU_DEP_2)
	v_dual_mul_f32 v15, v15, v19 :: v_dual_cndmask_b32 v2, 0x7f800000, v20
	v_cmp_lt_i32_e32 vcc_lo, 0x140, v11
	v_cndmask_b32_e32 v2, 0, v2, vcc_lo
	v_add_f32_e32 v20, v21, v9
	s_waitcnt vmcnt(0)
	s_delay_alu instid0(VALU_DEP_2) | instskip(NEXT) | instid1(VALU_DEP_2)
	v_mul_f32_e32 v19, v1, v2
	v_add_f32_e32 v11, v20, v13
	s_delay_alu instid0(VALU_DEP_1) | instskip(NEXT) | instid1(VALU_DEP_1)
	v_add_f32_e32 v1, v11, v15
	v_add_f32_e32 v1, v1, v19
	ds_bpermute_b32 v2, v10, v1
	v_lshlrev_b32_e32 v10, 2, v0
	ds_store_2addr_b32 v10, v18, v3 offset1:32
	v_add_nc_u32_e32 v3, 0x400, v10
	ds_store_2addr_b32 v10, v4, v5 offset0:64 offset1:96
	ds_store_2addr_b32 v10, v6, v7 offset0:128 offset1:160
	;; [unrolled: 1-line block ×3, first 2 shown]
	ds_store_2addr_b32 v3, v13, v15 offset1:32
	ds_store_b32 v10, v19 offset:1280
	s_waitcnt lgkmcnt(6)
	v_add_f32_e32 v1, v1, v2
	ds_bpermute_b32 v2, v14, v1
	s_waitcnt lgkmcnt(0)
	v_add_f32_e32 v1, v1, v2
	ds_bpermute_b32 v2, v12, v1
	;; [unrolled: 3-line block ×4, first 2 shown]
	v_cmpx_eq_u32_e32 0, v0
	s_cbranch_execz .LBB280_8
; %bb.7:
	s_waitcnt lgkmcnt(0)
	v_dual_add_f32 v1, v1, v2 :: v_dual_mov_b32 v2, 0
	ds_store_b32 v2, v1 offset:1408
.LBB280_8:
	s_or_b32 exec_lo, exec_lo, s7
	v_mov_b32_e32 v1, s6
.LBB280_9:
	s_or_b32 exec_lo, exec_lo, s24
	s_lshl_b32 s6, s18, 7
	s_mov_b32 s7, 0
	s_waitcnt lgkmcnt(0)
	v_dual_mov_b32 v2, 0 :: v_dual_lshlrev_b32 v1, 7, v1
	s_lshl_b64 s[6:7], s[6:7], 1
	v_lshlrev_b32_e32 v0, 1, v0
	s_add_u32 s34, s4, s6
	s_addc_u32 s35, s5, s7
	s_lshl_b32 s41, s40, 7
	v_lshlrev_b64 v[3:4], 1, v[1:2]
	s_add_i32 s42, s41, 0xffffff80
	s_cmpk_lt_i32 s22, 0x100
	v_dual_mov_b32 v30, 0 :: v_dual_mov_b32 v33, 0
	s_cselect_b32 s4, s42, 0
	s_delay_alu instid0(VALU_DEP_2)
	v_add_co_u32 v1, vcc_lo, s34, v3
	s_ashr_i32 s5, s4, 31
	v_add_co_ci_u32_e32 v3, vcc_lo, s35, v4, vcc_lo
	s_lshl_b64 s[4:5], s[4:5], 1
	s_cmpk_lt_i32 s22, 0x200
	v_add_co_u32 v1, vcc_lo, v1, v0
	s_cselect_b32 s6, s42, 0x80
	v_add_co_ci_u32_e32 v3, vcc_lo, 0, v3, vcc_lo
	s_ashr_i32 s7, s6, 31
	s_delay_alu instid0(VALU_DEP_2)
	v_add_co_u32 v4, vcc_lo, v1, s4
	s_lshl_b64 s[6:7], s[6:7], 1
	s_cmpk_lt_i32 s22, 0x300
	v_add_co_ci_u32_e32 v5, vcc_lo, s5, v3, vcc_lo
	s_cselect_b32 s8, s42, 0x100
	v_add_co_u32 v8, vcc_lo, v1, s6
	s_ashr_i32 s9, s8, 31
	v_add_co_ci_u32_e32 v9, vcc_lo, s7, v3, vcc_lo
	s_lshl_b64 s[8:9], s[8:9], 1
	s_cmpk_lt_i32 s22, 0x400
	v_add_co_u32 v10, vcc_lo, v1, s8
	s_cselect_b32 s10, s42, 0x180
	v_add_co_ci_u32_e32 v11, vcc_lo, s9, v3, vcc_lo
	s_ashr_i32 s11, s10, 31
	v_dual_mov_b32 v32, 0 :: v_dual_mov_b32 v35, 0
	s_lshl_b64 s[10:11], s[10:11], 1
	s_cmpk_lt_i32 s22, 0x500
	v_add_co_u32 v12, vcc_lo, v1, s10
	s_cselect_b32 s18, s42, 0x200
	v_add_co_ci_u32_e32 v13, vcc_lo, s11, v3, vcc_lo
	s_ashr_i32 s19, s18, 31
	v_mov_b32_e32 v34, 0
	s_lshl_b64 s[18:19], s[18:19], 1
	s_cmpk_lt_i32 s22, 0x600
	v_add_co_u32 v14, vcc_lo, v1, s18
	s_cselect_b32 s20, s42, 0x280
	v_add_co_ci_u32_e32 v15, vcc_lo, s19, v3, vcc_lo
	s_ashr_i32 s21, s20, 31
	v_mov_b32_e32 v29, 0
	s_lshl_b64 s[20:21], s[20:21], 1
	s_cmpk_lt_i32 s22, 0x700
	v_add_co_u32 v16, vcc_lo, v1, s20
	s_cselect_b32 s24, s42, 0x300
	v_add_co_ci_u32_e32 v17, vcc_lo, s21, v3, vcc_lo
	s_ashr_i32 s25, s24, 31
	v_mov_b32_e32 v31, 0
	s_lshl_b64 s[24:25], s[24:25], 1
	s_cmpk_lt_i32 s22, 0x800
	v_add_co_u32 v18, vcc_lo, v1, s24
	s_cselect_b32 s26, s42, 0x380
	v_add_co_ci_u32_e32 v19, vcc_lo, s25, v3, vcc_lo
	s_ashr_i32 s27, s26, 31
	s_delay_alu instid0(SALU_CYCLE_1)
	s_lshl_b64 s[26:27], s[26:27], 1
	s_cmpk_lt_i32 s22, 0x900
	v_add_co_u32 v20, vcc_lo, v1, s26
	s_cselect_b32 s28, s42, 0x400
	v_add_co_ci_u32_e32 v21, vcc_lo, s27, v3, vcc_lo
	s_ashr_i32 s29, s28, 31
	s_clause 0x7
	global_load_u16 v7, v[4:5], off
	global_load_u16 v8, v[8:9], off
	;; [unrolled: 1-line block ×8, first 2 shown]
	s_lshl_b64 s[28:29], s[28:29], 1
	s_cmpk_lt_i32 s22, 0xa00
	v_add_co_u32 v12, vcc_lo, v1, s28
	s_cselect_b32 s30, s42, 0x480
	v_add_co_ci_u32_e32 v13, vcc_lo, s29, v3, vcc_lo
	s_ashr_i32 s31, s30, 31
	s_delay_alu instid0(SALU_CYCLE_1)
	s_lshl_b64 s[30:31], s[30:31], 1
	s_cmpk_lt_i32 s22, 0xb00
	v_add_co_u32 v15, vcc_lo, v1, s30
	s_cselect_b32 s34, s42, 0x500
	v_add_co_ci_u32_e32 v16, vcc_lo, s31, v3, vcc_lo
	s_ashr_i32 s35, s34, 31
	s_delay_alu instid0(SALU_CYCLE_1)
	;; [unrolled: 7-line block ×7, first 2 shown]
	s_lshl_b64 s[4:5], s[6:7], 1
	s_cmpk_gt_i32 s23, 0x1000
	v_add_co_u32 v27, vcc_lo, v1, s4
	v_add_co_ci_u32_e32 v28, vcc_lo, s5, v3, vcc_lo
	s_clause 0x7
	global_load_u16 v14, v[12:13], off
	global_load_u16 v15, v[15:16], off
	;; [unrolled: 1-line block ×8, first 2 shown]
	v_dual_mov_b32 v20, 0 :: v_dual_mov_b32 v23, 0
	v_dual_mov_b32 v21, 0 :: v_dual_mov_b32 v22, 0
	;; [unrolled: 1-line block ×4, first 2 shown]
	v_mov_b32_e32 v28, 0
	s_cselect_b32 s8, -1, 0
	s_cmpk_lt_i32 s23, 0x1001
	s_waitcnt vmcnt(0)
	s_barrier
	buffer_gl0_inv
	s_cbranch_scc1 .LBB280_11
; %bb.10:
	s_cmpk_lt_i32 s22, 0x1100
	s_cselect_b32 s4, s42, 0x800
	s_delay_alu instid0(SALU_CYCLE_1) | instskip(NEXT) | instid1(SALU_CYCLE_1)
	s_ashr_i32 s5, s4, 31
	s_lshl_b64 s[4:5], s[4:5], 1
	s_cmpk_lt_i32 s22, 0x1200
	v_add_co_u32 v20, vcc_lo, v1, s4
	s_cselect_b32 s6, s42, 0x880
	v_add_co_ci_u32_e32 v21, vcc_lo, s5, v3, vcc_lo
	s_ashr_i32 s7, s6, 31
	s_delay_alu instid0(SALU_CYCLE_1)
	s_lshl_b64 s[6:7], s[6:7], 1
	s_cmpk_lt_i32 s22, 0x1300
	v_add_co_u32 v22, vcc_lo, v1, s6
	s_cselect_b32 s10, s42, 0x900
	v_add_co_ci_u32_e32 v23, vcc_lo, s7, v3, vcc_lo
	s_ashr_i32 s11, s10, 31
	s_delay_alu instid0(SALU_CYCLE_1)
	;; [unrolled: 7-line block ×7, first 2 shown]
	s_lshl_b64 s[28:29], s[28:29], 1
	s_cmpk_lt_i32 s22, 0x1900
	v_add_co_u32 v34, vcc_lo, v1, s28
	s_cselect_b32 s30, s42, 0xc00
	v_add_co_ci_u32_e32 v35, vcc_lo, s29, v3, vcc_lo
	s_ashr_i32 s31, s30, 31
	s_clause 0x7
	global_load_u16 v36, v[20:21], off
	global_load_u16 v37, v[22:23], off
	global_load_u16 v38, v[24:25], off
	global_load_u16 v39, v[26:27], off
	global_load_u16 v40, v[28:29], off
	global_load_u16 v41, v[30:31], off
	global_load_u16 v42, v[32:33], off
	global_load_u16 v43, v[34:35], off
	s_lshl_b64 s[30:31], s[30:31], 1
	s_cmpk_lt_i32 s22, 0x1a00
	v_add_co_u32 v20, vcc_lo, v1, s30
	s_cselect_b32 s34, s42, 0xc80
	v_add_co_ci_u32_e32 v21, vcc_lo, s31, v3, vcc_lo
	s_ashr_i32 s35, s34, 31
	s_delay_alu instid0(SALU_CYCLE_1)
	s_lshl_b64 s[34:35], s[34:35], 1
	s_cmpk_lt_i32 s22, 0x1b00
	v_add_co_u32 v22, vcc_lo, v1, s34
	s_cselect_b32 s36, s42, 0xd00
	v_add_co_ci_u32_e32 v23, vcc_lo, s35, v3, vcc_lo
	s_ashr_i32 s37, s36, 31
	s_delay_alu instid0(SALU_CYCLE_1)
	s_lshl_b64 s[4:5], s[36:37], 1
	s_cmpk_lt_i32 s22, 0x1c00
	v_add_co_u32 v24, vcc_lo, v1, s4
	s_cselect_b32 s6, s42, 0xd80
	v_add_co_ci_u32_e32 v25, vcc_lo, s5, v3, vcc_lo
	s_ashr_i32 s7, s6, 31
	s_delay_alu instid0(SALU_CYCLE_1)
	s_lshl_b64 s[6:7], s[6:7], 1
	s_cmpk_lt_i32 s22, 0x1d00
	v_add_co_u32 v26, vcc_lo, v1, s6
	s_cselect_b32 s10, s42, 0xe00
	v_add_co_ci_u32_e32 v27, vcc_lo, s7, v3, vcc_lo
	s_ashr_i32 s11, s10, 31
	s_delay_alu instid0(SALU_CYCLE_1)
	s_lshl_b64 s[10:11], s[10:11], 1
	s_cmpk_lt_i32 s22, 0x1e00
	v_add_co_u32 v28, vcc_lo, v1, s10
	s_cselect_b32 s18, s42, 0xe80
	v_add_co_ci_u32_e32 v29, vcc_lo, s11, v3, vcc_lo
	s_ashr_i32 s19, s18, 31
	s_delay_alu instid0(SALU_CYCLE_1)
	s_lshl_b64 s[18:19], s[18:19], 1
	s_cmpk_lt_i32 s22, 0x1f00
	v_add_co_u32 v30, vcc_lo, v1, s18
	s_cselect_b32 s20, s42, 0xf00
	v_add_co_ci_u32_e32 v31, vcc_lo, s19, v3, vcc_lo
	s_ashr_i32 s21, s20, 31
	s_delay_alu instid0(SALU_CYCLE_1)
	s_lshl_b64 s[4:5], s[20:21], 1
	s_cmpk_lt_i32 s22, 0x2000
	v_add_co_u32 v32, vcc_lo, v1, s4
	s_cselect_b32 s6, s42, 0xf80
	v_add_co_ci_u32_e32 v33, vcc_lo, s5, v3, vcc_lo
	s_ashr_i32 s7, s6, 31
	s_delay_alu instid0(SALU_CYCLE_1) | instskip(NEXT) | instid1(SALU_CYCLE_1)
	s_lshl_b64 s[4:5], s[6:7], 1
	v_add_co_u32 v34, vcc_lo, v1, s4
	v_add_co_ci_u32_e32 v35, vcc_lo, s5, v3, vcc_lo
	s_clause 0x7
	global_load_u16 v20, v[20:21], off
	global_load_u16 v21, v[22:23], off
	;; [unrolled: 1-line block ×8, first 2 shown]
	s_waitcnt vmcnt(15)
	v_cvt_f32_f16_e32 v35, v36
	s_waitcnt vmcnt(14)
	v_cvt_f32_f16_e32 v34, v37
	;; [unrolled: 2-line block ×16, first 2 shown]
.LBB280_11:
	ds_load_b128 v[36:39], v2
	ds_load_b128 v[40:43], v2 offset:16
	s_load_b64 s[0:1], s[0:1], 0x0
	s_and_b32 vcc_lo, exec_lo, s8
	s_waitcnt lgkmcnt(0)
	v_fma_mix_f32 v7, v36, v7, 0 op_sel_hi:[0,1,0]
	s_delay_alu instid0(VALU_DEP_1) | instskip(NEXT) | instid1(VALU_DEP_1)
	v_fma_mix_f32 v7, v37, v8, v7 op_sel_hi:[0,1,0]
	v_fma_mix_f32 v7, v38, v9, v7 op_sel_hi:[0,1,0]
	s_delay_alu instid0(VALU_DEP_1) | instskip(SKIP_4) | instid1(VALU_DEP_1)
	v_fma_mix_f32 v7, v39, v10, v7 op_sel_hi:[0,1,0]
	ds_load_b128 v[36:39], v2 offset:48
	v_fma_mix_f32 v11, v40, v11, v7 op_sel_hi:[0,1,0]
	ds_load_b128 v[7:10], v2 offset:32
	v_fma_mix_f32 v4, v41, v4, v11 op_sel_hi:[0,1,0]
	v_fma_mix_f32 v4, v42, v5, v4 op_sel_hi:[0,1,0]
	s_delay_alu instid0(VALU_DEP_1) | instskip(SKIP_1) | instid1(VALU_DEP_1)
	v_fma_mix_f32 v4, v43, v6, v4 op_sel_hi:[0,1,0]
	s_waitcnt lgkmcnt(0)
	v_fma_mix_f32 v4, v7, v14, v4 op_sel_hi:[0,1,0]
	s_delay_alu instid0(VALU_DEP_1) | instskip(NEXT) | instid1(VALU_DEP_1)
	v_fma_mix_f32 v4, v8, v15, v4 op_sel_hi:[0,1,0]
	v_fma_mix_f32 v4, v9, v16, v4 op_sel_hi:[0,1,0]
	s_delay_alu instid0(VALU_DEP_1) | instskip(NEXT) | instid1(VALU_DEP_1)
	v_fma_mix_f32 v4, v10, v17, v4 op_sel_hi:[0,1,0]
	v_fma_mix_f32 v4, v36, v18, v4 op_sel_hi:[0,1,0]
	s_delay_alu instid0(VALU_DEP_1) | instskip(NEXT) | instid1(VALU_DEP_1)
	v_fma_mix_f32 v4, v37, v12, v4 op_sel_hi:[0,1,0]
	v_fma_mix_f32 v4, v38, v13, v4 op_sel_hi:[0,1,0]
	s_delay_alu instid0(VALU_DEP_1)
	v_fma_mix_f32 v4, v39, v19, v4 op_sel_hi:[0,1,0]
	s_cbranch_vccz .LBB280_13
; %bb.12:
	ds_load_b128 v[5:8], v2 offset:64
	ds_load_b128 v[9:12], v2 offset:80
	s_waitcnt lgkmcnt(1)
	v_fmac_f32_e32 v4, v5, v35
	s_delay_alu instid0(VALU_DEP_1) | instskip(NEXT) | instid1(VALU_DEP_1)
	v_fmac_f32_e32 v4, v6, v34
	v_fmac_f32_e32 v4, v7, v33
	s_delay_alu instid0(VALU_DEP_1) | instskip(SKIP_3) | instid1(VALU_DEP_1)
	v_fmac_f32_e32 v4, v8, v32
	ds_load_b128 v[5:8], v2 offset:96
	s_waitcnt lgkmcnt(1)
	v_fmac_f32_e32 v4, v9, v31
	v_fmac_f32_e32 v4, v10, v30
	s_delay_alu instid0(VALU_DEP_1) | instskip(NEXT) | instid1(VALU_DEP_1)
	v_fmac_f32_e32 v4, v11, v29
	v_fmac_f32_e32 v4, v12, v28
	ds_load_b128 v[9:12], v2 offset:112
	s_waitcnt lgkmcnt(1)
	v_fmac_f32_e32 v4, v5, v27
	s_delay_alu instid0(VALU_DEP_1) | instskip(NEXT) | instid1(VALU_DEP_1)
	v_fmac_f32_e32 v4, v6, v26
	v_fmac_f32_e32 v4, v7, v25
	s_delay_alu instid0(VALU_DEP_1) | instskip(SKIP_1) | instid1(VALU_DEP_1)
	v_fmac_f32_e32 v4, v8, v24
	s_waitcnt lgkmcnt(0)
	v_fmac_f32_e32 v4, v9, v23
	s_delay_alu instid0(VALU_DEP_1) | instskip(NEXT) | instid1(VALU_DEP_1)
	v_fmac_f32_e32 v4, v10, v22
	v_fmac_f32_e32 v4, v11, v21
	s_delay_alu instid0(VALU_DEP_1)
	v_fmac_f32_e32 v4, v12, v20
.LBB280_13:
	s_movk_i32 s43, 0x1f80
	s_movk_i32 s44, 0x80
	s_mov_b32 s45, 32
	s_branch .LBB280_15
.LBB280_14:                             ;   in Loop: Header=BB280_15 Depth=1
	s_addk_i32 s43, 0x1000
	s_addk_i32 s44, 0x80
	s_add_i32 s45, s45, 32
	s_cmpk_eq_u32 s43, 0xbf80
	s_cbranch_scc1 .LBB280_17
.LBB280_15:                             ; =>This Inner Loop Header: Depth=1
	s_cmp_le_i32 s40, s45
	s_cbranch_scc1 .LBB280_14
; %bb.16:                               ;   in Loop: Header=BB280_15 Depth=1
	s_add_i32 s4, s43, 0xfffff080
	v_mov_b32_e32 v44, s44
	s_cmp_lt_i32 s4, s41
	s_cselect_b32 s4, s4, s42
	s_add_i32 s6, s43, 0xfffff100
	s_ashr_i32 s5, s4, 31
	s_delay_alu instid0(SALU_CYCLE_1)
	s_lshl_b64 s[4:5], s[4:5], 1
	s_cmp_lt_i32 s6, s41
	v_add_co_u32 v5, vcc_lo, v1, s4
	s_cselect_b32 s6, s6, s42
	s_add_i32 s10, s43, 0xfffff180
	s_ashr_i32 s7, s6, 31
	v_add_co_ci_u32_e32 v6, vcc_lo, s5, v3, vcc_lo
	s_lshl_b64 s[8:9], s[6:7], 1
	s_cmp_lt_i32 s10, s41
	v_add_co_u32 v7, vcc_lo, v1, s8
	s_cselect_b32 s6, s10, s42
	s_add_i32 s10, s43, 0xfffff200
	s_ashr_i32 s7, s6, 31
	v_add_co_ci_u32_e32 v8, vcc_lo, s9, v3, vcc_lo
	;; [unrolled: 7-line block ×8, first 2 shown]
	s_lshl_b64 s[24:25], s[20:21], 1
	s_cmp_lt_i32 s28, s41
	s_clause 0x7
	global_load_u16 v2, v[5:6], off
	global_load_u16 v21, v[7:8], off
	;; [unrolled: 1-line block ×8, first 2 shown]
	s_cselect_b32 s20, s28, s42
	s_add_i32 s28, s43, 0xfffff580
	s_ashr_i32 s21, s20, 31
	v_add_co_u32 v5, vcc_lo, v1, s24
	s_lshl_b64 s[20:21], s[20:21], 1
	s_cmp_lt_i32 s28, s41
	v_add_co_ci_u32_e32 v6, vcc_lo, s25, v3, vcc_lo
	s_cselect_b32 s28, s28, s42
	s_add_i32 s36, s43, 0xfffff600
	s_ashr_i32 s29, s28, 31
	v_add_co_u32 v7, vcc_lo, v1, s20
	s_lshl_b64 s[30:31], s[28:29], 1
	s_cmp_lt_i32 s36, s41
	v_add_co_ci_u32_e32 v8, vcc_lo, s21, v3, vcc_lo
	;; [unrolled: 7-line block ×8, first 2 shown]
	s_cselect_b32 s10, s10, s42
	s_add_i32 s18, s43, 0xfffff980
	s_ashr_i32 s11, s10, 31
	s_clause 0x7
	global_load_u16 v28, v[5:6], off
	global_load_u16 v29, v[7:8], off
	;; [unrolled: 1-line block ×8, first 2 shown]
	s_lshl_b64 s[10:11], s[10:11], 1
	s_cmp_lt_i32 s18, s41
	v_add_co_u32 v5, vcc_lo, v1, s4
	s_cselect_b32 s18, s18, s42
	s_add_i32 s22, s43, 0xfffffa00
	s_ashr_i32 s19, s18, 31
	v_add_co_ci_u32_e32 v6, vcc_lo, s5, v3, vcc_lo
	s_lshl_b64 s[18:19], s[18:19], 1
	s_cmp_lt_i32 s22, s41
	v_add_co_u32 v7, vcc_lo, v1, s10
	s_cselect_b32 s20, s22, s42
	s_add_i32 s22, s43, 0xfffffa80
	s_ashr_i32 s21, s20, 31
	v_add_co_ci_u32_e32 v8, vcc_lo, s11, v3, vcc_lo
	;; [unrolled: 7-line block ×5, first 2 shown]
	s_lshl_b64 s[6:7], s[6:7], 1
	s_cmp_lt_i32 s24, s41
	s_clause 0x4
	global_load_u16 v19, v[5:6], off
	global_load_u16 v20, v[7:8], off
	;; [unrolled: 1-line block ×5, first 2 shown]
	s_cselect_b32 s4, s24, s42
	s_add_i32 s10, s43, 0xfffffc80
	s_ashr_i32 s5, s4, 31
	v_add_co_u32 v5, vcc_lo, v1, s8
	s_lshl_b64 s[4:5], s[4:5], 1
	s_cmp_lt_i32 s10, s41
	v_add_co_ci_u32_e32 v6, vcc_lo, s9, v3, vcc_lo
	s_cselect_b32 s10, s10, s42
	s_add_i32 s18, s43, 0xfffffd00
	s_ashr_i32 s11, s10, 31
	v_add_co_u32 v7, vcc_lo, v1, s6
	s_lshl_b64 s[10:11], s[10:11], 1
	s_cmp_lt_i32 s18, s41
	v_add_co_ci_u32_e32 v8, vcc_lo, s7, v3, vcc_lo
	s_cselect_b32 s18, s18, s42
	s_add_i32 s20, s43, 0xfffffd80
	s_ashr_i32 s19, s18, 31
	v_add_co_u32 v9, vcc_lo, v1, s4
	s_lshl_b64 s[18:19], s[18:19], 1
	s_cmp_lt_i32 s20, s41
	global_load_u16 v37, v[5:6], off
	s_cselect_b32 s8, s20, s42
	s_add_i32 s20, s43, 0xfffffe00
	s_ashr_i32 s9, s8, 31
	v_add_co_ci_u32_e32 v10, vcc_lo, s5, v3, vcc_lo
	s_lshl_b64 s[6:7], s[8:9], 1
	s_cmp_lt_i32 s20, s41
	v_add_co_u32 v11, vcc_lo, v1, s10
	s_cselect_b32 s4, s20, s42
	s_clause 0x1
	global_load_u16 v38, v[7:8], off
	global_load_u16 v39, v[9:10], off
	v_add_co_ci_u32_e32 v12, vcc_lo, s11, v3, vcc_lo
	s_ashr_i32 s5, s4, 31
	s_add_i32 s8, s43, 0xfffffe80
	v_add_co_u32 v13, vcc_lo, v1, s18
	s_lshl_b64 s[4:5], s[4:5], 1
	s_cmp_lt_i32 s8, s41
	v_add_co_ci_u32_e32 v14, vcc_lo, s19, v3, vcc_lo
	v_add_co_u32 v15, vcc_lo, v1, s6
	s_cselect_b32 s8, s8, s42
	v_add_co_ci_u32_e32 v16, vcc_lo, s7, v3, vcc_lo
	s_ashr_i32 s9, s8, 31
	s_add_i32 s10, s43, 0xffffff00
	s_lshl_b64 s[6:7], s[8:9], 1
	s_clause 0x2
	global_load_u16 v40, v[11:12], off
	global_load_u16 v13, v[13:14], off
	;; [unrolled: 1-line block ×3, first 2 shown]
	s_cmp_lt_i32 s10, s41
	v_add_co_u32 v5, vcc_lo, v1, s4
	s_cselect_b32 s8, s10, s42
	s_add_i32 s10, s43, 0xffffff80
	s_ashr_i32 s9, s8, 31
	v_add_co_ci_u32_e32 v6, vcc_lo, s5, v3, vcc_lo
	s_lshl_b64 s[8:9], s[8:9], 1
	s_cmp_lt_i32 s10, s41
	v_add_co_u32 v7, vcc_lo, v1, s6
	s_cselect_b32 s4, s10, s42
	v_add_co_ci_u32_e32 v8, vcc_lo, s7, v3, vcc_lo
	s_ashr_i32 s5, s4, 31
	v_add_co_u32 v9, vcc_lo, v1, s8
	global_load_u16 v15, v[5:6], off
	s_lshl_b64 s[4:5], s[4:5], 1
	v_add_co_ci_u32_e32 v10, vcc_lo, s9, v3, vcc_lo
	s_cmp_lt_i32 s43, s41
	s_clause 0x1
	global_load_u16 v16, v[7:8], off
	global_load_u16 v41, v[9:10], off
	s_cselect_b32 s6, s43, s42
	v_add_co_u32 v5, vcc_lo, v1, s4
	s_ashr_i32 s7, s6, 31
	v_add_co_ci_u32_e32 v6, vcc_lo, s5, v3, vcc_lo
	s_lshl_b64 s[4:5], s[6:7], 1
	s_delay_alu instid0(SALU_CYCLE_1)
	v_add_co_u32 v7, vcc_lo, v1, s4
	v_add_co_ci_u32_e32 v8, vcc_lo, s5, v3, vcc_lo
	s_clause 0x1
	global_load_u16 v42, v[5:6], off
	global_load_u16 v43, v[7:8], off
	ds_load_b128 v[5:8], v44
	ds_load_b128 v[9:12], v44 offset:16
	s_waitcnt vmcnt(31) lgkmcnt(1)
	v_fma_mix_f32 v2, v5, v2, v4 op_sel_hi:[0,1,0]
	s_waitcnt vmcnt(30)
	s_delay_alu instid0(VALU_DEP_1) | instskip(SKIP_1) | instid1(VALU_DEP_1)
	v_fma_mix_f32 v2, v6, v21, v2 op_sel_hi:[0,1,0]
	s_waitcnt vmcnt(29)
	v_fma_mix_f32 v2, v7, v22, v2 op_sel_hi:[0,1,0]
	ds_load_b128 v[4:7], v44 offset:32
	s_waitcnt vmcnt(28)
	v_fma_mix_f32 v2, v8, v23, v2 op_sel_hi:[0,1,0]
	s_waitcnt vmcnt(27) lgkmcnt(1)
	s_delay_alu instid0(VALU_DEP_1) | instskip(SKIP_1) | instid1(VALU_DEP_1)
	v_fma_mix_f32 v2, v9, v24, v2 op_sel_hi:[0,1,0]
	s_waitcnt vmcnt(26)
	v_fma_mix_f32 v2, v10, v25, v2 op_sel_hi:[0,1,0]
	s_waitcnt vmcnt(25)
	s_delay_alu instid0(VALU_DEP_1) | instskip(SKIP_4) | instid1(VALU_DEP_1)
	v_fma_mix_f32 v2, v11, v26, v2 op_sel_hi:[0,1,0]
	ds_load_b128 v[8:11], v44 offset:48
	s_waitcnt vmcnt(24)
	v_fma_mix_f32 v2, v12, v27, v2 op_sel_hi:[0,1,0]
	s_waitcnt vmcnt(23) lgkmcnt(1)
	v_fma_mix_f32 v2, v4, v28, v2 op_sel_hi:[0,1,0]
	s_waitcnt vmcnt(22)
	s_delay_alu instid0(VALU_DEP_1) | instskip(SKIP_1) | instid1(VALU_DEP_1)
	v_fma_mix_f32 v2, v5, v29, v2 op_sel_hi:[0,1,0]
	s_waitcnt vmcnt(21)
	v_fma_mix_f32 v2, v6, v30, v2 op_sel_hi:[0,1,0]
	s_waitcnt vmcnt(20)
	s_delay_alu instid0(VALU_DEP_1) | instskip(SKIP_4) | instid1(VALU_DEP_1)
	v_fma_mix_f32 v2, v7, v31, v2 op_sel_hi:[0,1,0]
	ds_load_b128 v[4:7], v44 offset:64
	s_waitcnt vmcnt(19) lgkmcnt(1)
	v_fma_mix_f32 v2, v8, v32, v2 op_sel_hi:[0,1,0]
	s_waitcnt vmcnt(18)
	v_fma_mix_f32 v2, v9, v33, v2 op_sel_hi:[0,1,0]
	s_waitcnt vmcnt(17)
	s_delay_alu instid0(VALU_DEP_1) | instskip(SKIP_1) | instid1(VALU_DEP_1)
	v_fma_mix_f32 v2, v10, v17, v2 op_sel_hi:[0,1,0]
	s_waitcnt vmcnt(16)
	v_fma_mix_f32 v2, v11, v18, v2 op_sel_hi:[0,1,0]
	ds_load_b128 v[8:11], v44 offset:80
	s_waitcnt vmcnt(15) lgkmcnt(1)
	v_fma_mix_f32 v2, v4, v19, v2 op_sel_hi:[0,1,0]
	s_waitcnt vmcnt(14)
	s_delay_alu instid0(VALU_DEP_1) | instskip(SKIP_1) | instid1(VALU_DEP_1)
	v_fma_mix_f32 v2, v5, v20, v2 op_sel_hi:[0,1,0]
	s_waitcnt vmcnt(13)
	v_fma_mix_f32 v2, v6, v34, v2 op_sel_hi:[0,1,0]
	s_waitcnt vmcnt(12)
	s_delay_alu instid0(VALU_DEP_1) | instskip(SKIP_4) | instid1(VALU_DEP_1)
	v_fma_mix_f32 v2, v7, v35, v2 op_sel_hi:[0,1,0]
	ds_load_b128 v[4:7], v44 offset:96
	s_waitcnt vmcnt(11) lgkmcnt(1)
	v_fma_mix_f32 v2, v8, v36, v2 op_sel_hi:[0,1,0]
	s_waitcnt vmcnt(10)
	v_fma_mix_f32 v2, v9, v37, v2 op_sel_hi:[0,1,0]
	s_waitcnt vmcnt(9)
	s_delay_alu instid0(VALU_DEP_1) | instskip(SKIP_1) | instid1(VALU_DEP_1)
	v_fma_mix_f32 v2, v10, v38, v2 op_sel_hi:[0,1,0]
	s_waitcnt vmcnt(8)
	v_fma_mix_f32 v2, v11, v39, v2 op_sel_hi:[0,1,0]
	ds_load_b128 v[8:11], v44 offset:112
	s_waitcnt vmcnt(7) lgkmcnt(1)
	v_fma_mix_f32 v2, v4, v40, v2 op_sel_hi:[0,1,0]
	s_waitcnt vmcnt(6)
	s_delay_alu instid0(VALU_DEP_1) | instskip(SKIP_1) | instid1(VALU_DEP_1)
	v_fma_mix_f32 v2, v5, v13, v2 op_sel_hi:[0,1,0]
	s_waitcnt vmcnt(5)
	v_fma_mix_f32 v2, v6, v14, v2 op_sel_hi:[0,1,0]
	s_waitcnt vmcnt(4)
	s_delay_alu instid0(VALU_DEP_1) | instskip(SKIP_1) | instid1(VALU_DEP_1)
	v_fma_mix_f32 v2, v7, v15, v2 op_sel_hi:[0,1,0]
	s_waitcnt vmcnt(3) lgkmcnt(0)
	v_fma_mix_f32 v2, v8, v16, v2 op_sel_hi:[0,1,0]
	s_waitcnt vmcnt(2)
	s_delay_alu instid0(VALU_DEP_1) | instskip(SKIP_1) | instid1(VALU_DEP_1)
	v_fma_mix_f32 v2, v9, v41, v2 op_sel_hi:[0,1,0]
	s_waitcnt vmcnt(1)
	v_fma_mix_f32 v2, v10, v42, v2 op_sel_hi:[0,1,0]
	s_waitcnt vmcnt(0)
	s_delay_alu instid0(VALU_DEP_1)
	v_fma_mix_f32 v4, v11, v43, v2 op_sel_hi:[0,1,0]
	s_branch .LBB280_14
.LBB280_17:
	v_mov_b32_e32 v1, 0
	s_and_b32 vcc_lo, exec_lo, s15
	ds_load_b32 v1, v1 offset:1408
	s_cbranch_vccz .LBB280_19
; %bb.18:
	s_add_u32 s2, s12, s16
	s_addc_u32 s3, s13, s17
	s_load_b32 s2, s[2:3], 0x0
	s_mov_b32 s3, 0
.LBB280_19:
	s_waitcnt lgkmcnt(0)
	v_add_f32_e32 v1, 0x358637bd, v1
	s_mul_i32 s3, s33, s3
	s_mul_hi_u32 s4, s33, s2
	s_mul_i32 s2, s33, s2
	s_add_i32 s3, s4, s3
	v_div_scale_f32 v2, null, v1, v1, 1.0
	s_lshl_b64 s[2:3], s[2:3], 8
	s_mov_b32 s15, 0
	s_add_u32 s2, s0, s2
	s_delay_alu instid0(VALU_DEP_1) | instskip(SKIP_2) | instid1(SALU_CYCLE_1)
	v_rcp_f32_e32 v3, v2
	s_addc_u32 s3, s1, s3
	s_lshl_b64 s[0:1], s[14:15], 8
	s_add_u32 s0, s2, s0
	s_addc_u32 s1, s3, s1
	s_waitcnt_depctr 0xfff
	v_fma_f32 v5, -v2, v3, 1.0
	s_delay_alu instid0(VALU_DEP_1) | instskip(SKIP_1) | instid1(VALU_DEP_1)
	v_fmac_f32_e32 v3, v5, v3
	v_div_scale_f32 v5, vcc_lo, 1.0, v1, 1.0
	v_mul_f32_e32 v6, v5, v3
	s_delay_alu instid0(VALU_DEP_1) | instskip(NEXT) | instid1(VALU_DEP_1)
	v_fma_f32 v7, -v2, v6, v5
	v_fmac_f32_e32 v6, v7, v3
	s_delay_alu instid0(VALU_DEP_1) | instskip(NEXT) | instid1(VALU_DEP_1)
	v_fma_f32 v2, -v2, v6, v5
	v_div_fmas_f32 v2, v2, v3, v6
	s_delay_alu instid0(VALU_DEP_1) | instskip(NEXT) | instid1(VALU_DEP_1)
	v_div_fixup_f32 v1, v2, v1, 1.0
	v_fma_mixlo_f16 v1, v4, v1, 0
	global_store_b16 v0, v1, s[0:1]
	s_nop 0
	s_sendmsg sendmsg(MSG_DEALLOC_VGPRS)
	s_endpgm
.LBB280_20:
	s_mov_b32 s4, 0
	s_branch .LBB280_2
	.section	.rodata,"a",@progbits
	.p2align	6, 0x0
	.amdhsa_kernel _Z35paged_attention_ll4mi_reduce_kernelIDF16_DF16_Li128ELi128ELi256ELi11EEvPT0_PKfS3_PKT_PKiS8_iS3_
		.amdhsa_group_segment_fixed_size 1412
		.amdhsa_private_segment_fixed_size 0
		.amdhsa_kernarg_size 320
		.amdhsa_user_sgpr_count 14
		.amdhsa_user_sgpr_dispatch_ptr 0
		.amdhsa_user_sgpr_queue_ptr 0
		.amdhsa_user_sgpr_kernarg_segment_ptr 1
		.amdhsa_user_sgpr_dispatch_id 0
		.amdhsa_user_sgpr_private_segment_size 0
		.amdhsa_wavefront_size32 1
		.amdhsa_uses_dynamic_stack 0
		.amdhsa_enable_private_segment 0
		.amdhsa_system_sgpr_workgroup_id_x 1
		.amdhsa_system_sgpr_workgroup_id_y 1
		.amdhsa_system_sgpr_workgroup_id_z 0
		.amdhsa_system_sgpr_workgroup_info 0
		.amdhsa_system_vgpr_workitem_id 0
		.amdhsa_next_free_vgpr 62
		.amdhsa_next_free_sgpr 47
		.amdhsa_reserve_vcc 1
		.amdhsa_float_round_mode_32 0
		.amdhsa_float_round_mode_16_64 0
		.amdhsa_float_denorm_mode_32 3
		.amdhsa_float_denorm_mode_16_64 3
		.amdhsa_dx10_clamp 1
		.amdhsa_ieee_mode 1
		.amdhsa_fp16_overflow 0
		.amdhsa_workgroup_processor_mode 1
		.amdhsa_memory_ordered 1
		.amdhsa_forward_progress 0
		.amdhsa_shared_vgpr_count 0
		.amdhsa_exception_fp_ieee_invalid_op 0
		.amdhsa_exception_fp_denorm_src 0
		.amdhsa_exception_fp_ieee_div_zero 0
		.amdhsa_exception_fp_ieee_overflow 0
		.amdhsa_exception_fp_ieee_underflow 0
		.amdhsa_exception_fp_ieee_inexact 0
		.amdhsa_exception_int_div_zero 0
	.end_amdhsa_kernel
	.section	.text._Z35paged_attention_ll4mi_reduce_kernelIDF16_DF16_Li128ELi128ELi256ELi11EEvPT0_PKfS3_PKT_PKiS8_iS3_,"axG",@progbits,_Z35paged_attention_ll4mi_reduce_kernelIDF16_DF16_Li128ELi128ELi256ELi11EEvPT0_PKfS3_PKT_PKiS8_iS3_,comdat
.Lfunc_end280:
	.size	_Z35paged_attention_ll4mi_reduce_kernelIDF16_DF16_Li128ELi128ELi256ELi11EEvPT0_PKfS3_PKT_PKiS8_iS3_, .Lfunc_end280-_Z35paged_attention_ll4mi_reduce_kernelIDF16_DF16_Li128ELi128ELi256ELi11EEvPT0_PKfS3_PKT_PKiS8_iS3_
                                        ; -- End function
	.section	.AMDGPU.csdata,"",@progbits
; Kernel info:
; codeLenInByte = 7100
; NumSgprs: 49
; NumVgprs: 62
; ScratchSize: 0
; MemoryBound: 0
; FloatMode: 240
; IeeeMode: 1
; LDSByteSize: 1412 bytes/workgroup (compile time only)
; SGPRBlocks: 6
; VGPRBlocks: 7
; NumSGPRsForWavesPerEU: 49
; NumVGPRsForWavesPerEU: 62
; Occupancy: 16
; WaveLimiterHint : 0
; COMPUTE_PGM_RSRC2:SCRATCH_EN: 0
; COMPUTE_PGM_RSRC2:USER_SGPR: 14
; COMPUTE_PGM_RSRC2:TRAP_HANDLER: 0
; COMPUTE_PGM_RSRC2:TGID_X_EN: 1
; COMPUTE_PGM_RSRC2:TGID_Y_EN: 1
; COMPUTE_PGM_RSRC2:TGID_Z_EN: 0
; COMPUTE_PGM_RSRC2:TIDIG_COMP_CNT: 0
	.section	.text._Z35paged_attention_ll4mi_reduce_kernelIDF16_DF16_Li128ELi128ELi256ELi12EEvPT0_PKfS3_PKT_PKiS8_iS3_,"axG",@progbits,_Z35paged_attention_ll4mi_reduce_kernelIDF16_DF16_Li128ELi128ELi256ELi12EEvPT0_PKfS3_PKT_PKiS8_iS3_,comdat
	.protected	_Z35paged_attention_ll4mi_reduce_kernelIDF16_DF16_Li128ELi128ELi256ELi12EEvPT0_PKfS3_PKT_PKiS8_iS3_ ; -- Begin function _Z35paged_attention_ll4mi_reduce_kernelIDF16_DF16_Li128ELi128ELi256ELi12EEvPT0_PKfS3_PKT_PKiS8_iS3_
	.globl	_Z35paged_attention_ll4mi_reduce_kernelIDF16_DF16_Li128ELi128ELi256ELi12EEvPT0_PKfS3_PKT_PKiS8_iS3_
	.p2align	8
	.type	_Z35paged_attention_ll4mi_reduce_kernelIDF16_DF16_Li128ELi128ELi256ELi12EEvPT0_PKfS3_PKT_PKiS8_iS3_,@function
_Z35paged_attention_ll4mi_reduce_kernelIDF16_DF16_Li128ELi128ELi256ELi12EEvPT0_PKfS3_PKT_PKiS8_iS3_: ; @_Z35paged_attention_ll4mi_reduce_kernelIDF16_DF16_Li128ELi128ELi256ELi12EEvPT0_PKfS3_PKT_PKiS8_iS3_
; %bb.0:
	s_load_b64 s[12:13], s[0:1], 0x28
	s_mov_b32 s2, s15
	s_waitcnt lgkmcnt(0)
	s_cmp_lg_u64 s[12:13], 0
	s_cselect_b32 s15, -1, 0
	s_delay_alu instid0(SALU_CYCLE_1)
	s_and_b32 vcc_lo, exec_lo, s15
	s_cbranch_vccz .LBB281_20
; %bb.1:
	s_add_i32 s4, s2, 1
	s_mov_b32 s5, 0
	s_delay_alu instid0(SALU_CYCLE_1) | instskip(SKIP_4) | instid1(SALU_CYCLE_1)
	s_lshl_b64 s[6:7], s[4:5], 2
	s_mov_b32 s3, s5
	s_add_u32 s6, s12, s6
	s_addc_u32 s7, s13, s7
	s_lshl_b64 s[8:9], s[2:3], 2
	s_add_u32 s8, s12, s8
	s_addc_u32 s9, s13, s9
	s_clause 0x1
	s_load_b32 s4, s[6:7], 0x0
	s_load_b32 s6, s[8:9], 0x0
	s_waitcnt lgkmcnt(0)
	s_sub_i32 s4, s4, s6
	s_delay_alu instid0(SALU_CYCLE_1)
	s_cmp_eq_u32 s4, 1
	s_cselect_b32 s4, -1, 0
	s_cbranch_execnz .LBB281_3
.LBB281_2:
	s_mov_b32 s3, 0
	s_mov_b32 s4, -1
.LBB281_3:
	s_delay_alu instid0(SALU_CYCLE_1)
	s_and_not1_b32 vcc_lo, exec_lo, s4
	s_cbranch_vccz .LBB281_5
; %bb.4:
	s_endpgm
.LBB281_5:
	s_clause 0x1
	s_load_b128 s[4:7], s[0:1], 0x18
	s_load_b32 s9, s[0:1], 0x30
	s_lshl_b64 s[16:17], s[2:3], 2
	s_waitcnt lgkmcnt(0)
	s_add_u32 s6, s6, s16
	s_addc_u32 s7, s7, s17
	s_load_b32 s23, s[6:7], 0x0
	s_load_b32 s33, s[0:1], 0x40
	s_mul_i32 s7, s2, s9
	s_waitcnt lgkmcnt(0)
	s_add_i32 s22, s23, 0xff
	s_delay_alu instid0(SALU_CYCLE_1) | instskip(NEXT) | instid1(SALU_CYCLE_1)
	s_ashr_i32 s6, s22, 31
	s_lshr_b32 s6, s6, 24
	s_delay_alu instid0(SALU_CYCLE_1) | instskip(SKIP_4) | instid1(SALU_CYCLE_1)
	s_add_i32 s8, s22, s6
	s_mul_i32 s6, s14, s9
	s_mov_b32 s9, exec_lo
	v_cmpx_lt_u32_e32 31, v0
	s_xor_b32 s9, exec_lo, s9
	s_or_saveexec_b32 s24, s9
	v_mov_b32_e32 v1, s6
	s_ashr_i32 s40, s8, 8
	s_mul_i32 s18, s7, s33
	s_xor_b32 exec_lo, exec_lo, s24
	s_cbranch_execz .LBB281_9
; %bb.6:
	v_or_b32_e32 v2, 32, v0
	v_cmp_gt_i32_e32 vcc_lo, s40, v0
	s_add_i32 s20, s40, -1
	v_or_b32_e32 v4, 64, v0
	v_or_b32_e32 v6, 0x60, v0
	s_load_b128 s[8:11], s[0:1], 0x8
	v_cndmask_b32_e32 v1, s20, v0, vcc_lo
	v_cmp_gt_i32_e32 vcc_lo, s40, v2
	s_mov_b32 s19, 0
	s_delay_alu instid0(SALU_CYCLE_1)
	s_mov_b32 s7, s19
	v_cndmask_b32_e32 v3, s20, v2, vcc_lo
	v_cmp_gt_i32_e32 vcc_lo, s40, v4
	v_or_b32_e32 v2, 0x80, v0
	v_cndmask_b32_e32 v5, s20, v4, vcc_lo
	v_cmp_gt_i32_e32 vcc_lo, s40, v6
	v_or_b32_e32 v4, 0xa0, v0
	;; [unrolled: 3-line block ×3, first 2 shown]
	s_delay_alu instid0(VALU_DEP_3) | instskip(SKIP_3) | instid1(VALU_DEP_3)
	v_ashrrev_i32_e32 v8, 31, v7
	v_cndmask_b32_e32 v9, s20, v2, vcc_lo
	v_cmp_gt_i32_e32 vcc_lo, s40, v4
	v_or_b32_e32 v2, 0xe0, v0
	v_ashrrev_i32_e32 v10, 31, v9
	v_cndmask_b32_e32 v11, s20, v4, vcc_lo
	v_cmp_gt_i32_e32 vcc_lo, s40, v6
	v_or_b32_e32 v4, 0x100, v0
	s_delay_alu instid0(VALU_DEP_3) | instskip(SKIP_3) | instid1(VALU_DEP_3)
	v_ashrrev_i32_e32 v12, 31, v11
	v_cndmask_b32_e32 v13, s20, v6, vcc_lo
	v_cmp_gt_i32_e32 vcc_lo, s40, v2
	v_or_b32_e32 v6, 0x140, v0
	v_ashrrev_i32_e32 v14, 31, v13
	v_cndmask_b32_e32 v15, s20, v2, vcc_lo
	v_or_b32_e32 v2, 0x120, v0
	v_cmp_gt_i32_e32 vcc_lo, s40, v4
	s_delay_alu instid0(VALU_DEP_3) | instskip(SKIP_1) | instid1(VALU_DEP_4)
	v_ashrrev_i32_e32 v16, 31, v15
	v_cndmask_b32_e32 v17, s20, v4, vcc_lo
	v_cmp_gt_i32_e32 vcc_lo, s40, v2
	v_or_b32_e32 v4, 0x160, v0
	s_delay_alu instid0(VALU_DEP_3) | instskip(SKIP_3) | instid1(VALU_DEP_3)
	v_ashrrev_i32_e32 v18, 31, v17
	v_cndmask_b32_e32 v19, s20, v2, vcc_lo
	v_cmp_gt_i32_e32 vcc_lo, s40, v6
	v_ashrrev_i32_e32 v2, 31, v1
	v_ashrrev_i32_e32 v20, 31, v19
	v_cndmask_b32_e32 v21, s20, v6, vcc_lo
	v_cmp_gt_i32_e32 vcc_lo, s40, v4
	s_delay_alu instid0(VALU_DEP_4) | instskip(SKIP_1) | instid1(VALU_DEP_4)
	v_lshlrev_b64 v[25:26], 2, v[1:2]
	v_ashrrev_i32_e32 v6, 31, v5
	v_ashrrev_i32_e32 v22, 31, v21
	v_cndmask_b32_e32 v23, s20, v4, vcc_lo
	v_ashrrev_i32_e32 v4, 31, v3
	s_lshl_b64 s[20:21], s[18:19], 2
	s_waitcnt lgkmcnt(0)
	s_add_u32 s19, s10, s20
	s_addc_u32 s25, s11, s21
	s_lshl_b64 s[10:11], s[6:7], 2
	v_lshlrev_b64 v[2:3], 2, v[3:4]
	s_add_u32 s7, s19, s10
	s_addc_u32 s19, s25, s11
	v_add_co_u32 v27, vcc_lo, s7, v25
	v_lshlrev_b64 v[4:5], 2, v[5:6]
	v_add_co_ci_u32_e32 v28, vcc_lo, s19, v26, vcc_lo
	v_add_co_u32 v29, vcc_lo, s7, v2
	v_lshlrev_b64 v[6:7], 2, v[7:8]
	v_add_co_ci_u32_e32 v30, vcc_lo, s19, v3, vcc_lo
	;; [unrolled: 3-line block ×4, first 2 shown]
	s_clause 0x3
	global_load_b32 v39, v[27:28], off
	global_load_b32 v40, v[29:30], off
	;; [unrolled: 1-line block ×4, first 2 shown]
	v_add_co_u32 v27, vcc_lo, s7, v8
	v_lshlrev_b64 v[12:13], 2, v[13:14]
	v_add_co_ci_u32_e32 v28, vcc_lo, s19, v9, vcc_lo
	v_add_co_u32 v29, vcc_lo, s7, v10
	v_lshlrev_b64 v[14:15], 2, v[15:16]
	v_add_co_ci_u32_e32 v30, vcc_lo, s19, v11, vcc_lo
	;; [unrolled: 3-line block ×4, first 2 shown]
	v_ashrrev_i32_e32 v24, 31, v23
	v_add_co_u32 v35, vcc_lo, s7, v16
	v_lshlrev_b64 v[20:21], 2, v[21:22]
	v_add_co_ci_u32_e32 v36, vcc_lo, s19, v17, vcc_lo
	v_add_co_u32 v37, vcc_lo, s7, v18
	v_lshlrev_b64 v[22:23], 2, v[23:24]
	v_add_co_ci_u32_e32 v38, vcc_lo, s19, v19, vcc_lo
	s_clause 0x5
	global_load_b32 v43, v[27:28], off
	global_load_b32 v44, v[29:30], off
	;; [unrolled: 1-line block ×6, first 2 shown]
	v_add_co_u32 v27, vcc_lo, s7, v20
	v_add_co_ci_u32_e32 v28, vcc_lo, s19, v21, vcc_lo
	v_add_co_u32 v29, vcc_lo, s7, v22
	v_add_co_ci_u32_e32 v30, vcc_lo, s19, v23, vcc_lo
	s_clause 0x1
	global_load_b32 v27, v[27:28], off
	global_load_b32 v28, v[29:30], off
	v_mbcnt_lo_u32_b32 v29, -1, 0
	s_add_u32 s7, s8, s20
	s_addc_u32 s8, s9, s21
	s_add_u32 s7, s7, s10
	s_addc_u32 s8, s8, s11
	v_xor_b32_e32 v1, 16, v29
	v_xor_b32_e32 v24, 8, v29
	s_delay_alu instid0(VALU_DEP_2) | instskip(SKIP_1) | instid1(VALU_DEP_3)
	v_cmp_gt_i32_e32 vcc_lo, 32, v1
	v_cndmask_b32_e32 v1, v29, v1, vcc_lo
	v_cmp_gt_i32_e32 vcc_lo, 32, v24
	s_delay_alu instid0(VALU_DEP_2) | instskip(SKIP_2) | instid1(VALU_DEP_1)
	v_dual_cndmask_b32 v30, v29, v24 :: v_dual_lshlrev_b32 v1, 2, v1
	s_waitcnt vmcnt(10)
	v_dual_max_f32 v35, v39, v39 :: v_dual_max_f32 v24, v40, v40
	v_max_f32_e32 v35, v35, v24
	v_add_co_u32 v24, vcc_lo, s7, v25
	v_add_co_ci_u32_e32 v25, vcc_lo, s8, v26, vcc_lo
	s_waitcnt vmcnt(8)
	s_delay_alu instid0(VALU_DEP_3)
	v_max3_f32 v26, v35, v41, v42
	v_add_co_u32 v2, vcc_lo, s7, v2
	v_add_co_ci_u32_e32 v3, vcc_lo, s8, v3, vcc_lo
	v_add_co_u32 v4, vcc_lo, s7, v4
	v_add_co_ci_u32_e32 v5, vcc_lo, s8, v5, vcc_lo
	;; [unrolled: 2-line block ×3, first 2 shown]
	s_clause 0x1
	global_load_b32 v24, v[24:25], off
	global_load_b32 v25, v[2:3], off
	v_add_co_u32 v2, vcc_lo, s7, v8
	v_add_co_ci_u32_e32 v3, vcc_lo, s8, v9, vcc_lo
	global_load_b32 v35, v[4:5], off
	v_add_co_u32 v4, vcc_lo, s7, v10
	s_waitcnt vmcnt(9)
	v_max3_f32 v26, v26, v43, v44
	v_add_co_ci_u32_e32 v5, vcc_lo, s8, v11, vcc_lo
	global_load_b32 v10, v[6:7], off
	v_add_co_u32 v6, vcc_lo, s7, v12
	s_waitcnt vmcnt(8)
	v_max3_f32 v26, v26, v31, v32
	v_add_co_ci_u32_e32 v7, vcc_lo, s8, v13, vcc_lo
	s_clause 0x1
	global_load_b32 v12, v[2:3], off
	global_load_b32 v4, v[4:5], off
	s_waitcnt vmcnt(8)
	v_max3_f32 v26, v26, v33, v34
	v_add_co_u32 v2, vcc_lo, s7, v14
	v_add_co_ci_u32_e32 v3, vcc_lo, s8, v15, vcc_lo
	s_waitcnt vmcnt(6)
	s_delay_alu instid0(VALU_DEP_3)
	v_max3_f32 v26, v26, v27, v28
	v_add_co_u32 v8, vcc_lo, s7, v16
	v_add_co_ci_u32_e32 v9, vcc_lo, s8, v17, vcc_lo
	ds_bpermute_b32 v11, v1, v26
	s_clause 0x2
	global_load_b32 v6, v[6:7], off
	global_load_b32 v7, v[2:3], off
	;; [unrolled: 1-line block ×3, first 2 shown]
	v_lshlrev_b32_e32 v5, 2, v30
	v_add_co_u32 v2, vcc_lo, s7, v18
	v_add_co_ci_u32_e32 v3, vcc_lo, s8, v19, vcc_lo
	v_xor_b32_e32 v15, 4, v29
	v_xor_b32_e32 v16, 1, v29
	s_waitcnt lgkmcnt(0)
	v_max_f32_e32 v9, v11, v11
	global_load_b32 v11, v[2:3], off
	v_add_co_u32 v2, vcc_lo, s7, v20
	v_add_co_ci_u32_e32 v3, vcc_lo, s8, v21, vcc_lo
	v_max_f32_e32 v9, v26, v9
	global_load_b32 v14, v[2:3], off
	v_add_co_u32 v2, vcc_lo, s7, v22
	ds_bpermute_b32 v13, v5, v9
	v_add_co_ci_u32_e32 v3, vcc_lo, s8, v23, vcc_lo
	v_cmp_gt_i32_e32 vcc_lo, 32, v15
	s_mov_b32 s7, exec_lo
	global_load_b32 v3, v[2:3], off
	v_cndmask_b32_e32 v15, v29, v15, vcc_lo
	s_waitcnt lgkmcnt(0)
	s_delay_alu instid0(VALU_DEP_1) | instskip(SKIP_1) | instid1(VALU_DEP_2)
	v_dual_max_f32 v2, v13, v13 :: v_dual_lshlrev_b32 v13, 2, v15
	v_xor_b32_e32 v15, 2, v29
	v_max_f32_e32 v2, v9, v2
	s_delay_alu instid0(VALU_DEP_2) | instskip(SKIP_3) | instid1(VALU_DEP_2)
	v_cmp_gt_i32_e32 vcc_lo, 32, v15
	ds_bpermute_b32 v9, v13, v2
	v_cndmask_b32_e32 v15, v29, v15, vcc_lo
	v_cmp_gt_i32_e32 vcc_lo, 32, v16
	v_dual_cndmask_b32 v16, v29, v16 :: v_dual_lshlrev_b32 v15, 2, v15
	s_waitcnt lgkmcnt(0)
	s_delay_alu instid0(VALU_DEP_1) | instskip(NEXT) | instid1(VALU_DEP_1)
	v_dual_max_f32 v9, v9, v9 :: v_dual_lshlrev_b32 v16, 2, v16
	v_max_f32_e32 v2, v2, v9
	ds_bpermute_b32 v9, v15, v2
	s_waitcnt lgkmcnt(0)
	v_max_f32_e32 v9, v9, v9
	s_delay_alu instid0(VALU_DEP_1) | instskip(SKIP_3) | instid1(VALU_DEP_1)
	v_max_f32_e32 v2, v2, v9
	ds_bpermute_b32 v9, v16, v2
	s_waitcnt lgkmcnt(0)
	v_max_f32_e32 v9, v9, v9
	v_max_f32_e32 v2, v2, v9
	v_sub_nc_u32_e32 v9, s40, v0
	s_delay_alu instid0(VALU_DEP_2)
	v_sub_f32_e32 v21, v43, v2
	v_sub_f32_e32 v30, v34, v2
	;; [unrolled: 1-line block ×5, first 2 shown]
	v_mul_f32_e32 v34, 0x3fb8aa3b, v21
	v_sub_f32_e32 v18, v40, v2
	v_mul_f32_e32 v36, 0x3fb8aa3b, v22
	v_mul_f32_e32 v32, 0x3fb8aa3b, v19
	;; [unrolled: 1-line block ×3, first 2 shown]
	v_fma_f32 v51, 0x3fb8aa3b, v21, -v34
	v_rndne_f32_e32 v52, v34
	v_mul_f32_e32 v40, 0x3fb8aa3b, v30
	v_fma_f32 v53, 0x3fb8aa3b, v22, -v36
	v_rndne_f32_e32 v54, v36
	s_delay_alu instid0(VALU_DEP_4)
	v_dual_fmac_f32 v51, 0x32a5705f, v21 :: v_dual_sub_f32 v34, v34, v52
	v_sub_f32_e32 v20, v42, v2
	v_fma_f32 v47, 0x3fb8aa3b, v19, -v32
	v_rndne_f32_e32 v48, v32
	v_fma_f32 v57, 0x3fb8aa3b, v26, -v38
	v_add_f32_e32 v34, v34, v51
	v_rndne_f32_e32 v58, v38
	v_fma_f32 v61, 0x3fb8aa3b, v30, -v40
	v_rndne_f32_e32 v62, v40
	v_cvt_i32_f32_e32 v52, v52
	v_exp_f32_e32 v34, v34
	v_fmac_f32_e32 v53, 0x32a5705f, v22
	v_sub_f32_e32 v36, v36, v54
	v_sub_f32_e32 v23, v31, v2
	v_dual_sub_f32 v17, v39, v2 :: v_dual_sub_f32 v32, v32, v48
	v_fmac_f32_e32 v57, 0x32a5705f, v26
	v_sub_f32_e32 v38, v38, v58
	v_sub_f32_e32 v29, v33, v2
	v_dual_mul_f32 v33, 0x3fb8aa3b, v20 :: v_dual_sub_f32 v40, v40, v62
	v_fmac_f32_e32 v61, 0x32a5705f, v30
	v_sub_f32_e32 v27, v27, v2
	v_sub_f32_e32 v2, v28, v2
	v_dual_add_f32 v36, v36, v53 :: v_dual_mul_f32 v37, 0x3fb8aa3b, v23
	v_ldexp_f32 v34, v34, v52
	v_fmac_f32_e32 v47, 0x32a5705f, v19
	s_delay_alu instid0(VALU_DEP_4)
	v_mul_f32_e32 v42, 0x3fb8aa3b, v2
	v_mul_f32_e32 v28, 0x3fb8aa3b, v17
	v_add_f32_e32 v40, v40, v61
	v_cvt_i32_f32_e32 v48, v48
	v_add_f32_e32 v32, v32, v47
	v_fma_f32 v65, 0x3fb8aa3b, v2, -v42
	v_rndne_f32_e32 v66, v42
	v_fma_f32 v43, 0x3fb8aa3b, v17, -v28
	v_rndne_f32_e32 v44, v28
	v_exp_f32_e32 v32, v32
	v_fmac_f32_e32 v65, 0x32a5705f, v2
	v_sub_f32_e32 v42, v42, v66
	v_dual_mul_f32 v31, 0x3fb8aa3b, v18 :: v_dual_add_f32 v38, v38, v57
	v_mul_f32_e32 v39, 0x3fb8aa3b, v29
	v_exp_f32_e32 v36, v36
	v_exp_f32_e32 v40, v40
	v_sub_f32_e32 v28, v28, v44
	v_cvt_i32_f32_e32 v54, v54
	v_cvt_i32_f32_e32 v62, v62
	v_add_f32_e32 v42, v42, v65
	v_fma_f32 v45, 0x3fb8aa3b, v18, -v31
	v_rndne_f32_e32 v46, v31
	v_ldexp_f32 v32, v32, v48
	v_fmac_f32_e32 v43, 0x32a5705f, v17
	v_ldexp_f32 v36, v36, v54
	v_fmac_f32_e32 v45, 0x32a5705f, v18
	v_ldexp_f32 v40, v40, v62
	s_delay_alu instid0(VALU_DEP_4) | instskip(SKIP_3) | instid1(VALU_DEP_3)
	v_dual_sub_f32 v31, v31, v46 :: v_dual_add_f32 v28, v28, v43
	v_cvt_i32_f32_e32 v44, v44
	v_cvt_i32_f32_e32 v46, v46
	v_exp_f32_e32 v38, v38
	v_add_f32_e32 v31, v31, v45
	v_exp_f32_e32 v28, v28
	v_cmp_ngt_f32_e32 vcc_lo, 0xc2ce8ed0, v17
	v_fma_f32 v49, 0x3fb8aa3b, v20, -v33
	v_rndne_f32_e32 v50, v33
	v_exp_f32_e32 v31, v31
	v_cvt_i32_f32_e32 v58, v58
	v_fma_f32 v55, 0x3fb8aa3b, v23, -v37
	v_rndne_f32_e32 v56, v37
	v_fma_f32 v59, 0x3fb8aa3b, v29, -v39
	v_rndne_f32_e32 v60, v39
	v_ldexp_f32 v28, v28, v44
	v_mul_f32_e32 v41, 0x3fb8aa3b, v27
	v_ldexp_f32 v38, v38, v58
	v_fmac_f32_e32 v49, 0x32a5705f, v20
	v_ldexp_f32 v31, v31, v46
	v_cndmask_b32_e32 v28, 0, v28, vcc_lo
	v_cmp_ngt_f32_e32 vcc_lo, 0xc2ce8ed0, v18
	v_fmac_f32_e32 v55, 0x32a5705f, v23
	v_fmac_f32_e32 v59, 0x32a5705f, v29
	v_rndne_f32_e32 v64, v41
	v_fma_f32 v63, 0x3fb8aa3b, v27, -v41
	v_cndmask_b32_e32 v31, 0, v31, vcc_lo
	v_sub_f32_e32 v33, v33, v50
	v_cvt_i32_f32_e32 v50, v50
	v_cmp_ngt_f32_e32 vcc_lo, 0xc2ce8ed0, v19
	v_exp_f32_e32 v42, v42
	s_delay_alu instid0(VALU_DEP_3) | instskip(SKIP_1) | instid1(VALU_DEP_2)
	v_dual_add_f32 v33, v33, v49 :: v_dual_cndmask_b32 v32, 0, v32
	v_cmp_ngt_f32_e32 vcc_lo, 0xc2ce8ed0, v20
	v_exp_f32_e32 v33, v33
	s_waitcnt_depctr 0xfff
	v_ldexp_f32 v33, v33, v50
	s_delay_alu instid0(VALU_DEP_1) | instskip(SKIP_3) | instid1(VALU_DEP_3)
	v_cndmask_b32_e32 v33, 0, v33, vcc_lo
	v_sub_f32_e32 v37, v37, v56
	v_cmp_ngt_f32_e32 vcc_lo, 0xc2ce8ed0, v21
	v_cvt_i32_f32_e32 v56, v56
	v_dual_add_f32 v37, v37, v55 :: v_dual_cndmask_b32 v34, 0, v34
	v_cmp_ngt_f32_e32 vcc_lo, 0xc2ce8ed0, v22
	s_delay_alu instid0(VALU_DEP_2) | instskip(SKIP_4) | instid1(VALU_DEP_1)
	v_exp_f32_e32 v37, v37
	v_cndmask_b32_e32 v36, 0, v36, vcc_lo
	v_cmp_ngt_f32_e32 vcc_lo, 0xc2ce8ed0, v23
	s_waitcnt_depctr 0xfff
	v_ldexp_f32 v37, v37, v56
	v_cndmask_b32_e32 v37, 0, v37, vcc_lo
	v_cmp_ngt_f32_e32 vcc_lo, 0xc2ce8ed0, v26
	v_dual_cndmask_b32 v38, 0, v38 :: v_dual_sub_f32 v39, v39, v60
	v_cvt_i32_f32_e32 v60, v60
	v_cmp_ngt_f32_e32 vcc_lo, 0xc2ce8ed0, v29
	s_delay_alu instid0(VALU_DEP_3) | instskip(NEXT) | instid1(VALU_DEP_1)
	v_add_f32_e32 v39, v39, v59
	v_exp_f32_e32 v39, v39
	s_waitcnt_depctr 0xfff
	v_ldexp_f32 v39, v39, v60
	s_delay_alu instid0(VALU_DEP_1)
	v_cndmask_b32_e32 v39, 0, v39, vcc_lo
	v_cmp_ngt_f32_e32 vcc_lo, 0xc2ce8ed0, v30
	v_cndmask_b32_e32 v40, 0, v40, vcc_lo
	v_cmp_nlt_f32_e32 vcc_lo, 0x42b17218, v17
	v_cndmask_b32_e32 v17, 0x7f800000, v28, vcc_lo
	v_cmp_nlt_f32_e32 vcc_lo, 0x42b17218, v18
	;; [unrolled: 2-line block ×6, first 2 shown]
	v_cndmask_b32_e32 v22, 0x7f800000, v36, vcc_lo
	v_cmp_lt_i32_e32 vcc_lo, 0, v9
	v_cndmask_b32_e32 v17, 0, v17, vcc_lo
	v_cmp_lt_i32_e32 vcc_lo, 32, v9
	s_waitcnt vmcnt(11)
	s_delay_alu instid0(VALU_DEP_2) | instskip(SKIP_2) | instid1(VALU_DEP_2)
	v_dual_mul_f32 v17, v24, v17 :: v_dual_cndmask_b32 v18, 0, v18
	v_cmp_nlt_f32_e32 vcc_lo, 0x42b17218, v23
	s_waitcnt vmcnt(10)
	v_dual_mul_f32 v18, v25, v18 :: v_dual_cndmask_b32 v23, 0x7f800000, v37
	v_cmp_lt_i32_e32 vcc_lo, 64, v9
	v_cndmask_b32_e32 v19, 0, v19, vcc_lo
	v_cmp_nlt_f32_e32 vcc_lo, 0x42b17218, v26
	v_cndmask_b32_e32 v24, 0x7f800000, v38, vcc_lo
	v_cmp_lt_i32_e32 vcc_lo, 0x60, v9
	v_cndmask_b32_e32 v20, 0, v20, vcc_lo
	v_cmp_nlt_f32_e32 vcc_lo, 0x42b17218, v29
	v_sub_f32_e32 v41, v41, v64
	v_cvt_i32_f32_e32 v64, v64
	s_waitcnt vmcnt(8)
	v_mul_f32_e32 v10, v10, v20
	v_cndmask_b32_e32 v26, 0x7f800000, v39, vcc_lo
	v_cmp_lt_i32_e32 vcc_lo, 0x80, v9
	v_cndmask_b32_e32 v21, 0, v21, vcc_lo
	v_cmp_lt_i32_e32 vcc_lo, 0xa0, v9
	s_waitcnt vmcnt(7)
	s_delay_alu instid0(VALU_DEP_2) | instskip(SKIP_3) | instid1(VALU_DEP_2)
	v_dual_fmac_f32 v63, 0x32a5705f, v27 :: v_dual_mul_f32 v12, v12, v21
	v_cndmask_b32_e32 v22, 0, v22, vcc_lo
	v_cmp_lt_i32_e32 vcc_lo, 0xc0, v9
	s_waitcnt vmcnt(6)
	v_dual_mul_f32 v4, v4, v22 :: v_dual_cndmask_b32 v23, 0, v23
	v_cmp_lt_i32_e32 vcc_lo, 0xe0, v9
	s_waitcnt vmcnt(5)
	s_delay_alu instid0(VALU_DEP_2) | instskip(SKIP_3) | instid1(VALU_DEP_3)
	v_dual_mul_f32 v6, v6, v23 :: v_dual_cndmask_b32 v21, 0, v24
	v_cmp_lt_i32_e32 vcc_lo, 0x100, v9
	v_cvt_i32_f32_e32 v23, v66
	s_waitcnt vmcnt(4)
	v_dual_mul_f32 v7, v7, v21 :: v_dual_cndmask_b32 v24, 0, v26
	v_cmp_nlt_f32_e32 vcc_lo, 0x42b17218, v30
	s_waitcnt vmcnt(3)
	s_delay_alu instid0(VALU_DEP_2) | instskip(SKIP_1) | instid1(VALU_DEP_2)
	v_dual_add_f32 v41, v41, v63 :: v_dual_mul_f32 v8, v8, v24
	v_cndmask_b32_e32 v22, 0x7f800000, v40, vcc_lo
	v_exp_f32_e32 v41, v41
	v_cmp_ngt_f32_e32 vcc_lo, 0xc2ce8ed0, v27
	s_waitcnt_depctr 0xfff
	v_ldexp_f32 v41, v41, v64
	s_delay_alu instid0(VALU_DEP_1) | instskip(SKIP_4) | instid1(VALU_DEP_2)
	v_cndmask_b32_e32 v21, 0, v41, vcc_lo
	v_cmp_lt_i32_e32 vcc_lo, 0x120, v9
	v_cndmask_b32_e32 v22, 0, v22, vcc_lo
	v_cmp_nlt_f32_e32 vcc_lo, 0x42b17218, v27
	s_waitcnt vmcnt(2)
	v_mul_f32_e32 v11, v11, v22
	v_cndmask_b32_e32 v21, 0x7f800000, v21, vcc_lo
	v_cmp_lt_i32_e32 vcc_lo, 0x140, v9
	v_ldexp_f32 v22, v42, v23
	s_delay_alu instid0(VALU_DEP_3) | instskip(SKIP_2) | instid1(VALU_DEP_2)
	v_cndmask_b32_e32 v21, 0, v21, vcc_lo
	v_cmp_ngt_f32_e32 vcc_lo, 0xc2ce8ed0, v2
	s_waitcnt vmcnt(1)
	v_mul_f32_e32 v14, v14, v21
	v_cndmask_b32_e32 v22, 0, v22, vcc_lo
	v_cmp_nlt_f32_e32 vcc_lo, 0x42b17218, v2
	s_delay_alu instid0(VALU_DEP_2) | instskip(SKIP_1) | instid1(VALU_DEP_2)
	v_dual_mul_f32 v19, v35, v19 :: v_dual_cndmask_b32 v2, 0x7f800000, v22
	v_cmp_lt_i32_e32 vcc_lo, 0x160, v9
	v_cndmask_b32_e32 v9, 0, v2, vcc_lo
	v_add_f32_e32 v25, v17, v18
	s_delay_alu instid0(VALU_DEP_1) | instskip(NEXT) | instid1(VALU_DEP_1)
	v_add_f32_e32 v20, v25, v19
	v_add_f32_e32 v20, v20, v10
	s_delay_alu instid0(VALU_DEP_1) | instskip(NEXT) | instid1(VALU_DEP_1)
	v_add_f32_e32 v20, v20, v12
	;; [unrolled: 3-line block ×4, first 2 shown]
	v_add_f32_e32 v20, v20, v11
	s_delay_alu instid0(VALU_DEP_1) | instskip(SKIP_1) | instid1(VALU_DEP_1)
	v_add_f32_e32 v2, v20, v14
	s_waitcnt vmcnt(0)
	v_fmac_f32_e32 v2, v3, v9
	v_mul_f32_e32 v3, v3, v9
	ds_bpermute_b32 v1, v1, v2
	s_waitcnt lgkmcnt(0)
	v_add_f32_e32 v1, v2, v1
	ds_bpermute_b32 v2, v5, v1
	v_lshlrev_b32_e32 v5, 2, v0
	s_delay_alu instid0(VALU_DEP_1)
	v_add_nc_u32_e32 v9, 0x400, v5
	ds_store_2addr_b32 v5, v17, v18 offset1:32
	ds_store_2addr_b32 v5, v19, v10 offset0:64 offset1:96
	ds_store_2addr_b32 v5, v12, v4 offset0:128 offset1:160
	;; [unrolled: 1-line block ×3, first 2 shown]
	ds_store_2addr_b32 v9, v8, v11 offset1:32
	ds_store_2addr_b32 v9, v14, v3 offset0:64 offset1:96
	s_waitcnt lgkmcnt(6)
	v_add_f32_e32 v1, v1, v2
	ds_bpermute_b32 v2, v13, v1
	s_waitcnt lgkmcnt(0)
	v_add_f32_e32 v1, v1, v2
	ds_bpermute_b32 v2, v15, v1
	;; [unrolled: 3-line block ×3, first 2 shown]
	v_cmpx_eq_u32_e32 0, v0
	s_cbranch_execz .LBB281_8
; %bb.7:
	s_waitcnt lgkmcnt(0)
	v_dual_add_f32 v1, v1, v2 :: v_dual_mov_b32 v2, 0
	ds_store_b32 v2, v1 offset:1536
.LBB281_8:
	s_or_b32 exec_lo, exec_lo, s7
	v_mov_b32_e32 v1, s6
.LBB281_9:
	s_or_b32 exec_lo, exec_lo, s24
	s_lshl_b32 s6, s18, 7
	s_mov_b32 s7, 0
	s_waitcnt lgkmcnt(0)
	v_dual_mov_b32 v2, 0 :: v_dual_lshlrev_b32 v1, 7, v1
	s_lshl_b64 s[6:7], s[6:7], 1
	v_lshlrev_b32_e32 v0, 1, v0
	s_add_u32 s34, s4, s6
	s_addc_u32 s35, s5, s7
	s_lshl_b32 s41, s40, 7
	v_lshlrev_b64 v[3:4], 1, v[1:2]
	s_add_i32 s42, s41, 0xffffff80
	s_cmpk_lt_i32 s22, 0x100
	v_dual_mov_b32 v30, 0 :: v_dual_mov_b32 v33, 0
	s_cselect_b32 s4, s42, 0
	s_delay_alu instid0(VALU_DEP_2)
	v_add_co_u32 v1, vcc_lo, s34, v3
	s_ashr_i32 s5, s4, 31
	v_add_co_ci_u32_e32 v3, vcc_lo, s35, v4, vcc_lo
	s_lshl_b64 s[4:5], s[4:5], 1
	s_cmpk_lt_i32 s22, 0x200
	v_add_co_u32 v1, vcc_lo, v1, v0
	s_cselect_b32 s6, s42, 0x80
	v_add_co_ci_u32_e32 v3, vcc_lo, 0, v3, vcc_lo
	s_ashr_i32 s7, s6, 31
	s_delay_alu instid0(VALU_DEP_2)
	v_add_co_u32 v4, vcc_lo, v1, s4
	s_lshl_b64 s[6:7], s[6:7], 1
	s_cmpk_lt_i32 s22, 0x300
	v_add_co_ci_u32_e32 v5, vcc_lo, s5, v3, vcc_lo
	s_cselect_b32 s8, s42, 0x100
	v_add_co_u32 v8, vcc_lo, v1, s6
	s_ashr_i32 s9, s8, 31
	v_add_co_ci_u32_e32 v9, vcc_lo, s7, v3, vcc_lo
	s_lshl_b64 s[8:9], s[8:9], 1
	s_cmpk_lt_i32 s22, 0x400
	v_add_co_u32 v10, vcc_lo, v1, s8
	s_cselect_b32 s10, s42, 0x180
	v_add_co_ci_u32_e32 v11, vcc_lo, s9, v3, vcc_lo
	s_ashr_i32 s11, s10, 31
	v_dual_mov_b32 v32, 0 :: v_dual_mov_b32 v35, 0
	s_lshl_b64 s[10:11], s[10:11], 1
	s_cmpk_lt_i32 s22, 0x500
	v_add_co_u32 v12, vcc_lo, v1, s10
	s_cselect_b32 s18, s42, 0x200
	v_add_co_ci_u32_e32 v13, vcc_lo, s11, v3, vcc_lo
	s_ashr_i32 s19, s18, 31
	v_mov_b32_e32 v34, 0
	s_lshl_b64 s[18:19], s[18:19], 1
	s_cmpk_lt_i32 s22, 0x600
	v_add_co_u32 v14, vcc_lo, v1, s18
	s_cselect_b32 s20, s42, 0x280
	v_add_co_ci_u32_e32 v15, vcc_lo, s19, v3, vcc_lo
	s_ashr_i32 s21, s20, 31
	v_mov_b32_e32 v29, 0
	;; [unrolled: 7-line block ×3, first 2 shown]
	s_lshl_b64 s[24:25], s[24:25], 1
	s_cmpk_lt_i32 s22, 0x800
	v_add_co_u32 v18, vcc_lo, v1, s24
	s_cselect_b32 s26, s42, 0x380
	v_add_co_ci_u32_e32 v19, vcc_lo, s25, v3, vcc_lo
	s_ashr_i32 s27, s26, 31
	s_delay_alu instid0(SALU_CYCLE_1)
	s_lshl_b64 s[26:27], s[26:27], 1
	s_cmpk_lt_i32 s22, 0x900
	v_add_co_u32 v20, vcc_lo, v1, s26
	s_cselect_b32 s28, s42, 0x400
	v_add_co_ci_u32_e32 v21, vcc_lo, s27, v3, vcc_lo
	s_ashr_i32 s29, s28, 31
	s_clause 0x7
	global_load_u16 v7, v[4:5], off
	global_load_u16 v8, v[8:9], off
	;; [unrolled: 1-line block ×8, first 2 shown]
	s_lshl_b64 s[28:29], s[28:29], 1
	s_cmpk_lt_i32 s22, 0xa00
	v_add_co_u32 v12, vcc_lo, v1, s28
	s_cselect_b32 s30, s42, 0x480
	v_add_co_ci_u32_e32 v13, vcc_lo, s29, v3, vcc_lo
	s_ashr_i32 s31, s30, 31
	s_delay_alu instid0(SALU_CYCLE_1)
	s_lshl_b64 s[30:31], s[30:31], 1
	s_cmpk_lt_i32 s22, 0xb00
	v_add_co_u32 v15, vcc_lo, v1, s30
	s_cselect_b32 s34, s42, 0x500
	v_add_co_ci_u32_e32 v16, vcc_lo, s31, v3, vcc_lo
	s_ashr_i32 s35, s34, 31
	s_delay_alu instid0(SALU_CYCLE_1)
	;; [unrolled: 7-line block ×7, first 2 shown]
	s_lshl_b64 s[4:5], s[6:7], 1
	s_cmpk_gt_i32 s23, 0x1000
	v_add_co_u32 v27, vcc_lo, v1, s4
	v_add_co_ci_u32_e32 v28, vcc_lo, s5, v3, vcc_lo
	s_clause 0x7
	global_load_u16 v14, v[12:13], off
	global_load_u16 v15, v[15:16], off
	global_load_u16 v16, v[17:18], off
	global_load_u16 v17, v[19:20], off
	global_load_u16 v18, v[21:22], off
	global_load_u16 v12, v[23:24], off
	global_load_u16 v13, v[25:26], off
	global_load_u16 v19, v[27:28], off
	v_dual_mov_b32 v20, 0 :: v_dual_mov_b32 v23, 0
	v_dual_mov_b32 v21, 0 :: v_dual_mov_b32 v22, 0
	;; [unrolled: 1-line block ×4, first 2 shown]
	v_mov_b32_e32 v28, 0
	s_cselect_b32 s8, -1, 0
	s_cmpk_lt_i32 s23, 0x1001
	s_waitcnt vmcnt(0)
	s_barrier
	buffer_gl0_inv
	s_cbranch_scc1 .LBB281_11
; %bb.10:
	s_cmpk_lt_i32 s22, 0x1100
	s_cselect_b32 s4, s42, 0x800
	s_delay_alu instid0(SALU_CYCLE_1) | instskip(NEXT) | instid1(SALU_CYCLE_1)
	s_ashr_i32 s5, s4, 31
	s_lshl_b64 s[4:5], s[4:5], 1
	s_cmpk_lt_i32 s22, 0x1200
	v_add_co_u32 v20, vcc_lo, v1, s4
	s_cselect_b32 s6, s42, 0x880
	v_add_co_ci_u32_e32 v21, vcc_lo, s5, v3, vcc_lo
	s_ashr_i32 s7, s6, 31
	s_delay_alu instid0(SALU_CYCLE_1)
	s_lshl_b64 s[6:7], s[6:7], 1
	s_cmpk_lt_i32 s22, 0x1300
	v_add_co_u32 v22, vcc_lo, v1, s6
	s_cselect_b32 s10, s42, 0x900
	v_add_co_ci_u32_e32 v23, vcc_lo, s7, v3, vcc_lo
	s_ashr_i32 s11, s10, 31
	s_delay_alu instid0(SALU_CYCLE_1)
	;; [unrolled: 7-line block ×7, first 2 shown]
	s_lshl_b64 s[28:29], s[28:29], 1
	s_cmpk_lt_i32 s22, 0x1900
	v_add_co_u32 v34, vcc_lo, v1, s28
	s_cselect_b32 s30, s42, 0xc00
	v_add_co_ci_u32_e32 v35, vcc_lo, s29, v3, vcc_lo
	s_ashr_i32 s31, s30, 31
	s_clause 0x7
	global_load_u16 v36, v[20:21], off
	global_load_u16 v37, v[22:23], off
	;; [unrolled: 1-line block ×8, first 2 shown]
	s_lshl_b64 s[30:31], s[30:31], 1
	s_cmpk_lt_i32 s22, 0x1a00
	v_add_co_u32 v20, vcc_lo, v1, s30
	s_cselect_b32 s34, s42, 0xc80
	v_add_co_ci_u32_e32 v21, vcc_lo, s31, v3, vcc_lo
	s_ashr_i32 s35, s34, 31
	s_delay_alu instid0(SALU_CYCLE_1)
	s_lshl_b64 s[34:35], s[34:35], 1
	s_cmpk_lt_i32 s22, 0x1b00
	v_add_co_u32 v22, vcc_lo, v1, s34
	s_cselect_b32 s36, s42, 0xd00
	v_add_co_ci_u32_e32 v23, vcc_lo, s35, v3, vcc_lo
	s_ashr_i32 s37, s36, 31
	s_delay_alu instid0(SALU_CYCLE_1)
	s_lshl_b64 s[4:5], s[36:37], 1
	s_cmpk_lt_i32 s22, 0x1c00
	v_add_co_u32 v24, vcc_lo, v1, s4
	s_cselect_b32 s6, s42, 0xd80
	v_add_co_ci_u32_e32 v25, vcc_lo, s5, v3, vcc_lo
	s_ashr_i32 s7, s6, 31
	s_delay_alu instid0(SALU_CYCLE_1)
	s_lshl_b64 s[6:7], s[6:7], 1
	s_cmpk_lt_i32 s22, 0x1d00
	v_add_co_u32 v26, vcc_lo, v1, s6
	s_cselect_b32 s10, s42, 0xe00
	v_add_co_ci_u32_e32 v27, vcc_lo, s7, v3, vcc_lo
	s_ashr_i32 s11, s10, 31
	s_delay_alu instid0(SALU_CYCLE_1)
	s_lshl_b64 s[10:11], s[10:11], 1
	s_cmpk_lt_i32 s22, 0x1e00
	v_add_co_u32 v28, vcc_lo, v1, s10
	s_cselect_b32 s18, s42, 0xe80
	v_add_co_ci_u32_e32 v29, vcc_lo, s11, v3, vcc_lo
	s_ashr_i32 s19, s18, 31
	s_delay_alu instid0(SALU_CYCLE_1)
	s_lshl_b64 s[18:19], s[18:19], 1
	s_cmpk_lt_i32 s22, 0x1f00
	v_add_co_u32 v30, vcc_lo, v1, s18
	s_cselect_b32 s20, s42, 0xf00
	v_add_co_ci_u32_e32 v31, vcc_lo, s19, v3, vcc_lo
	s_ashr_i32 s21, s20, 31
	s_delay_alu instid0(SALU_CYCLE_1)
	s_lshl_b64 s[4:5], s[20:21], 1
	s_cmpk_lt_i32 s22, 0x2000
	v_add_co_u32 v32, vcc_lo, v1, s4
	s_cselect_b32 s6, s42, 0xf80
	v_add_co_ci_u32_e32 v33, vcc_lo, s5, v3, vcc_lo
	s_ashr_i32 s7, s6, 31
	s_delay_alu instid0(SALU_CYCLE_1) | instskip(NEXT) | instid1(SALU_CYCLE_1)
	s_lshl_b64 s[4:5], s[6:7], 1
	v_add_co_u32 v34, vcc_lo, v1, s4
	v_add_co_ci_u32_e32 v35, vcc_lo, s5, v3, vcc_lo
	s_clause 0x7
	global_load_u16 v20, v[20:21], off
	global_load_u16 v21, v[22:23], off
	;; [unrolled: 1-line block ×8, first 2 shown]
	s_waitcnt vmcnt(15)
	v_cvt_f32_f16_e32 v35, v36
	s_waitcnt vmcnt(14)
	v_cvt_f32_f16_e32 v34, v37
	;; [unrolled: 2-line block ×16, first 2 shown]
.LBB281_11:
	ds_load_b128 v[36:39], v2
	ds_load_b128 v[40:43], v2 offset:16
	s_load_b64 s[0:1], s[0:1], 0x0
	s_and_b32 vcc_lo, exec_lo, s8
	s_waitcnt lgkmcnt(0)
	v_fma_mix_f32 v7, v36, v7, 0 op_sel_hi:[0,1,0]
	s_delay_alu instid0(VALU_DEP_1) | instskip(NEXT) | instid1(VALU_DEP_1)
	v_fma_mix_f32 v7, v37, v8, v7 op_sel_hi:[0,1,0]
	v_fma_mix_f32 v7, v38, v9, v7 op_sel_hi:[0,1,0]
	s_delay_alu instid0(VALU_DEP_1) | instskip(SKIP_4) | instid1(VALU_DEP_1)
	v_fma_mix_f32 v7, v39, v10, v7 op_sel_hi:[0,1,0]
	ds_load_b128 v[36:39], v2 offset:48
	v_fma_mix_f32 v11, v40, v11, v7 op_sel_hi:[0,1,0]
	ds_load_b128 v[7:10], v2 offset:32
	v_fma_mix_f32 v4, v41, v4, v11 op_sel_hi:[0,1,0]
	v_fma_mix_f32 v4, v42, v5, v4 op_sel_hi:[0,1,0]
	s_delay_alu instid0(VALU_DEP_1) | instskip(SKIP_1) | instid1(VALU_DEP_1)
	v_fma_mix_f32 v4, v43, v6, v4 op_sel_hi:[0,1,0]
	s_waitcnt lgkmcnt(0)
	v_fma_mix_f32 v4, v7, v14, v4 op_sel_hi:[0,1,0]
	s_delay_alu instid0(VALU_DEP_1) | instskip(NEXT) | instid1(VALU_DEP_1)
	v_fma_mix_f32 v4, v8, v15, v4 op_sel_hi:[0,1,0]
	v_fma_mix_f32 v4, v9, v16, v4 op_sel_hi:[0,1,0]
	s_delay_alu instid0(VALU_DEP_1) | instskip(NEXT) | instid1(VALU_DEP_1)
	v_fma_mix_f32 v4, v10, v17, v4 op_sel_hi:[0,1,0]
	;; [unrolled: 3-line block ×3, first 2 shown]
	v_fma_mix_f32 v4, v38, v13, v4 op_sel_hi:[0,1,0]
	s_delay_alu instid0(VALU_DEP_1)
	v_fma_mix_f32 v4, v39, v19, v4 op_sel_hi:[0,1,0]
	s_cbranch_vccz .LBB281_13
; %bb.12:
	ds_load_b128 v[5:8], v2 offset:64
	ds_load_b128 v[9:12], v2 offset:80
	s_waitcnt lgkmcnt(1)
	v_fmac_f32_e32 v4, v5, v35
	s_delay_alu instid0(VALU_DEP_1) | instskip(NEXT) | instid1(VALU_DEP_1)
	v_fmac_f32_e32 v4, v6, v34
	v_fmac_f32_e32 v4, v7, v33
	s_delay_alu instid0(VALU_DEP_1) | instskip(SKIP_3) | instid1(VALU_DEP_1)
	v_fmac_f32_e32 v4, v8, v32
	ds_load_b128 v[5:8], v2 offset:96
	s_waitcnt lgkmcnt(1)
	v_fmac_f32_e32 v4, v9, v31
	v_fmac_f32_e32 v4, v10, v30
	s_delay_alu instid0(VALU_DEP_1) | instskip(NEXT) | instid1(VALU_DEP_1)
	v_fmac_f32_e32 v4, v11, v29
	v_fmac_f32_e32 v4, v12, v28
	ds_load_b128 v[9:12], v2 offset:112
	s_waitcnt lgkmcnt(1)
	v_fmac_f32_e32 v4, v5, v27
	s_delay_alu instid0(VALU_DEP_1) | instskip(NEXT) | instid1(VALU_DEP_1)
	v_fmac_f32_e32 v4, v6, v26
	v_fmac_f32_e32 v4, v7, v25
	s_delay_alu instid0(VALU_DEP_1) | instskip(SKIP_1) | instid1(VALU_DEP_1)
	v_fmac_f32_e32 v4, v8, v24
	s_waitcnt lgkmcnt(0)
	v_fmac_f32_e32 v4, v9, v23
	s_delay_alu instid0(VALU_DEP_1) | instskip(NEXT) | instid1(VALU_DEP_1)
	v_fmac_f32_e32 v4, v10, v22
	v_fmac_f32_e32 v4, v11, v21
	s_delay_alu instid0(VALU_DEP_1)
	v_fmac_f32_e32 v4, v12, v20
.LBB281_13:
	s_movk_i32 s43, 0x1f80
	s_movk_i32 s44, 0x80
	s_mov_b32 s45, 32
	s_branch .LBB281_15
.LBB281_14:                             ;   in Loop: Header=BB281_15 Depth=1
	s_addk_i32 s43, 0x1000
	s_addk_i32 s44, 0x80
	s_add_i32 s45, s45, 32
	s_cmpk_eq_u32 s43, 0xcf80
	s_cbranch_scc1 .LBB281_17
.LBB281_15:                             ; =>This Inner Loop Header: Depth=1
	s_cmp_le_i32 s40, s45
	s_cbranch_scc1 .LBB281_14
; %bb.16:                               ;   in Loop: Header=BB281_15 Depth=1
	s_add_i32 s4, s43, 0xfffff080
	v_mov_b32_e32 v44, s44
	s_cmp_lt_i32 s4, s41
	s_cselect_b32 s4, s4, s42
	s_add_i32 s6, s43, 0xfffff100
	s_ashr_i32 s5, s4, 31
	s_delay_alu instid0(SALU_CYCLE_1)
	s_lshl_b64 s[4:5], s[4:5], 1
	s_cmp_lt_i32 s6, s41
	v_add_co_u32 v5, vcc_lo, v1, s4
	s_cselect_b32 s6, s6, s42
	s_add_i32 s10, s43, 0xfffff180
	s_ashr_i32 s7, s6, 31
	v_add_co_ci_u32_e32 v6, vcc_lo, s5, v3, vcc_lo
	s_lshl_b64 s[8:9], s[6:7], 1
	s_cmp_lt_i32 s10, s41
	v_add_co_u32 v7, vcc_lo, v1, s8
	s_cselect_b32 s6, s10, s42
	s_add_i32 s10, s43, 0xfffff200
	s_ashr_i32 s7, s6, 31
	v_add_co_ci_u32_e32 v8, vcc_lo, s9, v3, vcc_lo
	;; [unrolled: 7-line block ×8, first 2 shown]
	s_lshl_b64 s[24:25], s[20:21], 1
	s_cmp_lt_i32 s28, s41
	s_clause 0x7
	global_load_u16 v2, v[5:6], off
	global_load_u16 v21, v[7:8], off
	;; [unrolled: 1-line block ×8, first 2 shown]
	s_cselect_b32 s20, s28, s42
	s_add_i32 s28, s43, 0xfffff580
	s_ashr_i32 s21, s20, 31
	v_add_co_u32 v5, vcc_lo, v1, s24
	s_lshl_b64 s[20:21], s[20:21], 1
	s_cmp_lt_i32 s28, s41
	v_add_co_ci_u32_e32 v6, vcc_lo, s25, v3, vcc_lo
	s_cselect_b32 s28, s28, s42
	s_add_i32 s36, s43, 0xfffff600
	s_ashr_i32 s29, s28, 31
	v_add_co_u32 v7, vcc_lo, v1, s20
	s_lshl_b64 s[30:31], s[28:29], 1
	s_cmp_lt_i32 s36, s41
	v_add_co_ci_u32_e32 v8, vcc_lo, s21, v3, vcc_lo
	;; [unrolled: 7-line block ×8, first 2 shown]
	s_cselect_b32 s10, s10, s42
	s_add_i32 s18, s43, 0xfffff980
	s_ashr_i32 s11, s10, 31
	s_clause 0x7
	global_load_u16 v28, v[5:6], off
	global_load_u16 v29, v[7:8], off
	;; [unrolled: 1-line block ×8, first 2 shown]
	s_lshl_b64 s[10:11], s[10:11], 1
	s_cmp_lt_i32 s18, s41
	v_add_co_u32 v5, vcc_lo, v1, s4
	s_cselect_b32 s18, s18, s42
	s_add_i32 s22, s43, 0xfffffa00
	s_ashr_i32 s19, s18, 31
	v_add_co_ci_u32_e32 v6, vcc_lo, s5, v3, vcc_lo
	s_lshl_b64 s[18:19], s[18:19], 1
	s_cmp_lt_i32 s22, s41
	v_add_co_u32 v7, vcc_lo, v1, s10
	s_cselect_b32 s20, s22, s42
	s_add_i32 s22, s43, 0xfffffa80
	s_ashr_i32 s21, s20, 31
	v_add_co_ci_u32_e32 v8, vcc_lo, s11, v3, vcc_lo
	;; [unrolled: 7-line block ×5, first 2 shown]
	s_lshl_b64 s[6:7], s[6:7], 1
	s_cmp_lt_i32 s24, s41
	s_clause 0x4
	global_load_u16 v19, v[5:6], off
	global_load_u16 v20, v[7:8], off
	;; [unrolled: 1-line block ×5, first 2 shown]
	s_cselect_b32 s4, s24, s42
	s_add_i32 s10, s43, 0xfffffc80
	s_ashr_i32 s5, s4, 31
	v_add_co_u32 v5, vcc_lo, v1, s8
	s_lshl_b64 s[4:5], s[4:5], 1
	s_cmp_lt_i32 s10, s41
	v_add_co_ci_u32_e32 v6, vcc_lo, s9, v3, vcc_lo
	s_cselect_b32 s10, s10, s42
	s_add_i32 s18, s43, 0xfffffd00
	s_ashr_i32 s11, s10, 31
	v_add_co_u32 v7, vcc_lo, v1, s6
	s_lshl_b64 s[10:11], s[10:11], 1
	s_cmp_lt_i32 s18, s41
	v_add_co_ci_u32_e32 v8, vcc_lo, s7, v3, vcc_lo
	s_cselect_b32 s18, s18, s42
	s_add_i32 s20, s43, 0xfffffd80
	s_ashr_i32 s19, s18, 31
	v_add_co_u32 v9, vcc_lo, v1, s4
	s_lshl_b64 s[18:19], s[18:19], 1
	s_cmp_lt_i32 s20, s41
	global_load_u16 v37, v[5:6], off
	s_cselect_b32 s8, s20, s42
	s_add_i32 s20, s43, 0xfffffe00
	s_ashr_i32 s9, s8, 31
	v_add_co_ci_u32_e32 v10, vcc_lo, s5, v3, vcc_lo
	s_lshl_b64 s[6:7], s[8:9], 1
	s_cmp_lt_i32 s20, s41
	v_add_co_u32 v11, vcc_lo, v1, s10
	s_cselect_b32 s4, s20, s42
	s_clause 0x1
	global_load_u16 v38, v[7:8], off
	global_load_u16 v39, v[9:10], off
	v_add_co_ci_u32_e32 v12, vcc_lo, s11, v3, vcc_lo
	s_ashr_i32 s5, s4, 31
	s_add_i32 s8, s43, 0xfffffe80
	v_add_co_u32 v13, vcc_lo, v1, s18
	s_lshl_b64 s[4:5], s[4:5], 1
	s_cmp_lt_i32 s8, s41
	v_add_co_ci_u32_e32 v14, vcc_lo, s19, v3, vcc_lo
	v_add_co_u32 v15, vcc_lo, v1, s6
	s_cselect_b32 s8, s8, s42
	v_add_co_ci_u32_e32 v16, vcc_lo, s7, v3, vcc_lo
	s_ashr_i32 s9, s8, 31
	s_add_i32 s10, s43, 0xffffff00
	s_lshl_b64 s[6:7], s[8:9], 1
	s_clause 0x2
	global_load_u16 v40, v[11:12], off
	global_load_u16 v13, v[13:14], off
	;; [unrolled: 1-line block ×3, first 2 shown]
	s_cmp_lt_i32 s10, s41
	v_add_co_u32 v5, vcc_lo, v1, s4
	s_cselect_b32 s8, s10, s42
	s_add_i32 s10, s43, 0xffffff80
	s_ashr_i32 s9, s8, 31
	v_add_co_ci_u32_e32 v6, vcc_lo, s5, v3, vcc_lo
	s_lshl_b64 s[8:9], s[8:9], 1
	s_cmp_lt_i32 s10, s41
	v_add_co_u32 v7, vcc_lo, v1, s6
	s_cselect_b32 s4, s10, s42
	v_add_co_ci_u32_e32 v8, vcc_lo, s7, v3, vcc_lo
	s_ashr_i32 s5, s4, 31
	v_add_co_u32 v9, vcc_lo, v1, s8
	global_load_u16 v15, v[5:6], off
	s_lshl_b64 s[4:5], s[4:5], 1
	v_add_co_ci_u32_e32 v10, vcc_lo, s9, v3, vcc_lo
	s_cmp_lt_i32 s43, s41
	s_clause 0x1
	global_load_u16 v16, v[7:8], off
	global_load_u16 v41, v[9:10], off
	s_cselect_b32 s6, s43, s42
	v_add_co_u32 v5, vcc_lo, v1, s4
	s_ashr_i32 s7, s6, 31
	v_add_co_ci_u32_e32 v6, vcc_lo, s5, v3, vcc_lo
	s_lshl_b64 s[4:5], s[6:7], 1
	s_delay_alu instid0(SALU_CYCLE_1)
	v_add_co_u32 v7, vcc_lo, v1, s4
	v_add_co_ci_u32_e32 v8, vcc_lo, s5, v3, vcc_lo
	s_clause 0x1
	global_load_u16 v42, v[5:6], off
	global_load_u16 v43, v[7:8], off
	ds_load_b128 v[5:8], v44
	ds_load_b128 v[9:12], v44 offset:16
	s_waitcnt vmcnt(31) lgkmcnt(1)
	v_fma_mix_f32 v2, v5, v2, v4 op_sel_hi:[0,1,0]
	s_waitcnt vmcnt(30)
	s_delay_alu instid0(VALU_DEP_1) | instskip(SKIP_1) | instid1(VALU_DEP_1)
	v_fma_mix_f32 v2, v6, v21, v2 op_sel_hi:[0,1,0]
	s_waitcnt vmcnt(29)
	v_fma_mix_f32 v2, v7, v22, v2 op_sel_hi:[0,1,0]
	ds_load_b128 v[4:7], v44 offset:32
	s_waitcnt vmcnt(28)
	v_fma_mix_f32 v2, v8, v23, v2 op_sel_hi:[0,1,0]
	s_waitcnt vmcnt(27) lgkmcnt(1)
	s_delay_alu instid0(VALU_DEP_1) | instskip(SKIP_1) | instid1(VALU_DEP_1)
	v_fma_mix_f32 v2, v9, v24, v2 op_sel_hi:[0,1,0]
	s_waitcnt vmcnt(26)
	v_fma_mix_f32 v2, v10, v25, v2 op_sel_hi:[0,1,0]
	s_waitcnt vmcnt(25)
	s_delay_alu instid0(VALU_DEP_1) | instskip(SKIP_4) | instid1(VALU_DEP_1)
	v_fma_mix_f32 v2, v11, v26, v2 op_sel_hi:[0,1,0]
	ds_load_b128 v[8:11], v44 offset:48
	s_waitcnt vmcnt(24)
	v_fma_mix_f32 v2, v12, v27, v2 op_sel_hi:[0,1,0]
	s_waitcnt vmcnt(23) lgkmcnt(1)
	v_fma_mix_f32 v2, v4, v28, v2 op_sel_hi:[0,1,0]
	s_waitcnt vmcnt(22)
	s_delay_alu instid0(VALU_DEP_1) | instskip(SKIP_1) | instid1(VALU_DEP_1)
	v_fma_mix_f32 v2, v5, v29, v2 op_sel_hi:[0,1,0]
	s_waitcnt vmcnt(21)
	v_fma_mix_f32 v2, v6, v30, v2 op_sel_hi:[0,1,0]
	s_waitcnt vmcnt(20)
	s_delay_alu instid0(VALU_DEP_1) | instskip(SKIP_4) | instid1(VALU_DEP_1)
	v_fma_mix_f32 v2, v7, v31, v2 op_sel_hi:[0,1,0]
	ds_load_b128 v[4:7], v44 offset:64
	s_waitcnt vmcnt(19) lgkmcnt(1)
	v_fma_mix_f32 v2, v8, v32, v2 op_sel_hi:[0,1,0]
	s_waitcnt vmcnt(18)
	v_fma_mix_f32 v2, v9, v33, v2 op_sel_hi:[0,1,0]
	s_waitcnt vmcnt(17)
	s_delay_alu instid0(VALU_DEP_1) | instskip(SKIP_1) | instid1(VALU_DEP_1)
	v_fma_mix_f32 v2, v10, v17, v2 op_sel_hi:[0,1,0]
	s_waitcnt vmcnt(16)
	v_fma_mix_f32 v2, v11, v18, v2 op_sel_hi:[0,1,0]
	ds_load_b128 v[8:11], v44 offset:80
	s_waitcnt vmcnt(15) lgkmcnt(1)
	v_fma_mix_f32 v2, v4, v19, v2 op_sel_hi:[0,1,0]
	s_waitcnt vmcnt(14)
	s_delay_alu instid0(VALU_DEP_1) | instskip(SKIP_1) | instid1(VALU_DEP_1)
	v_fma_mix_f32 v2, v5, v20, v2 op_sel_hi:[0,1,0]
	s_waitcnt vmcnt(13)
	v_fma_mix_f32 v2, v6, v34, v2 op_sel_hi:[0,1,0]
	s_waitcnt vmcnt(12)
	s_delay_alu instid0(VALU_DEP_1) | instskip(SKIP_4) | instid1(VALU_DEP_1)
	v_fma_mix_f32 v2, v7, v35, v2 op_sel_hi:[0,1,0]
	ds_load_b128 v[4:7], v44 offset:96
	s_waitcnt vmcnt(11) lgkmcnt(1)
	v_fma_mix_f32 v2, v8, v36, v2 op_sel_hi:[0,1,0]
	s_waitcnt vmcnt(10)
	v_fma_mix_f32 v2, v9, v37, v2 op_sel_hi:[0,1,0]
	s_waitcnt vmcnt(9)
	s_delay_alu instid0(VALU_DEP_1) | instskip(SKIP_1) | instid1(VALU_DEP_1)
	v_fma_mix_f32 v2, v10, v38, v2 op_sel_hi:[0,1,0]
	s_waitcnt vmcnt(8)
	v_fma_mix_f32 v2, v11, v39, v2 op_sel_hi:[0,1,0]
	ds_load_b128 v[8:11], v44 offset:112
	s_waitcnt vmcnt(7) lgkmcnt(1)
	v_fma_mix_f32 v2, v4, v40, v2 op_sel_hi:[0,1,0]
	s_waitcnt vmcnt(6)
	s_delay_alu instid0(VALU_DEP_1) | instskip(SKIP_1) | instid1(VALU_DEP_1)
	v_fma_mix_f32 v2, v5, v13, v2 op_sel_hi:[0,1,0]
	s_waitcnt vmcnt(5)
	v_fma_mix_f32 v2, v6, v14, v2 op_sel_hi:[0,1,0]
	s_waitcnt vmcnt(4)
	s_delay_alu instid0(VALU_DEP_1) | instskip(SKIP_1) | instid1(VALU_DEP_1)
	v_fma_mix_f32 v2, v7, v15, v2 op_sel_hi:[0,1,0]
	s_waitcnt vmcnt(3) lgkmcnt(0)
	v_fma_mix_f32 v2, v8, v16, v2 op_sel_hi:[0,1,0]
	s_waitcnt vmcnt(2)
	s_delay_alu instid0(VALU_DEP_1) | instskip(SKIP_1) | instid1(VALU_DEP_1)
	v_fma_mix_f32 v2, v9, v41, v2 op_sel_hi:[0,1,0]
	s_waitcnt vmcnt(1)
	v_fma_mix_f32 v2, v10, v42, v2 op_sel_hi:[0,1,0]
	s_waitcnt vmcnt(0)
	s_delay_alu instid0(VALU_DEP_1)
	v_fma_mix_f32 v4, v11, v43, v2 op_sel_hi:[0,1,0]
	s_branch .LBB281_14
.LBB281_17:
	v_mov_b32_e32 v1, 0
	s_and_b32 vcc_lo, exec_lo, s15
	ds_load_b32 v1, v1 offset:1536
	s_cbranch_vccz .LBB281_19
; %bb.18:
	s_add_u32 s2, s12, s16
	s_addc_u32 s3, s13, s17
	s_load_b32 s2, s[2:3], 0x0
	s_mov_b32 s3, 0
.LBB281_19:
	s_waitcnt lgkmcnt(0)
	v_add_f32_e32 v1, 0x358637bd, v1
	s_mul_i32 s3, s33, s3
	s_mul_hi_u32 s4, s33, s2
	s_mul_i32 s2, s33, s2
	s_add_i32 s3, s4, s3
	v_div_scale_f32 v2, null, v1, v1, 1.0
	s_lshl_b64 s[2:3], s[2:3], 8
	s_mov_b32 s15, 0
	s_add_u32 s2, s0, s2
	s_delay_alu instid0(VALU_DEP_1) | instskip(SKIP_2) | instid1(SALU_CYCLE_1)
	v_rcp_f32_e32 v3, v2
	s_addc_u32 s3, s1, s3
	s_lshl_b64 s[0:1], s[14:15], 8
	s_add_u32 s0, s2, s0
	s_addc_u32 s1, s3, s1
	s_waitcnt_depctr 0xfff
	v_fma_f32 v5, -v2, v3, 1.0
	s_delay_alu instid0(VALU_DEP_1) | instskip(SKIP_1) | instid1(VALU_DEP_1)
	v_fmac_f32_e32 v3, v5, v3
	v_div_scale_f32 v5, vcc_lo, 1.0, v1, 1.0
	v_mul_f32_e32 v6, v5, v3
	s_delay_alu instid0(VALU_DEP_1) | instskip(NEXT) | instid1(VALU_DEP_1)
	v_fma_f32 v7, -v2, v6, v5
	v_fmac_f32_e32 v6, v7, v3
	s_delay_alu instid0(VALU_DEP_1) | instskip(NEXT) | instid1(VALU_DEP_1)
	v_fma_f32 v2, -v2, v6, v5
	v_div_fmas_f32 v2, v2, v3, v6
	s_delay_alu instid0(VALU_DEP_1) | instskip(NEXT) | instid1(VALU_DEP_1)
	v_div_fixup_f32 v1, v2, v1, 1.0
	v_fma_mixlo_f16 v1, v4, v1, 0
	global_store_b16 v0, v1, s[0:1]
	s_nop 0
	s_sendmsg sendmsg(MSG_DEALLOC_VGPRS)
	s_endpgm
.LBB281_20:
	s_mov_b32 s4, 0
	s_branch .LBB281_2
	.section	.rodata,"a",@progbits
	.p2align	6, 0x0
	.amdhsa_kernel _Z35paged_attention_ll4mi_reduce_kernelIDF16_DF16_Li128ELi128ELi256ELi12EEvPT0_PKfS3_PKT_PKiS8_iS3_
		.amdhsa_group_segment_fixed_size 1540
		.amdhsa_private_segment_fixed_size 0
		.amdhsa_kernarg_size 320
		.amdhsa_user_sgpr_count 14
		.amdhsa_user_sgpr_dispatch_ptr 0
		.amdhsa_user_sgpr_queue_ptr 0
		.amdhsa_user_sgpr_kernarg_segment_ptr 1
		.amdhsa_user_sgpr_dispatch_id 0
		.amdhsa_user_sgpr_private_segment_size 0
		.amdhsa_wavefront_size32 1
		.amdhsa_uses_dynamic_stack 0
		.amdhsa_enable_private_segment 0
		.amdhsa_system_sgpr_workgroup_id_x 1
		.amdhsa_system_sgpr_workgroup_id_y 1
		.amdhsa_system_sgpr_workgroup_id_z 0
		.amdhsa_system_sgpr_workgroup_info 0
		.amdhsa_system_vgpr_workitem_id 0
		.amdhsa_next_free_vgpr 67
		.amdhsa_next_free_sgpr 47
		.amdhsa_reserve_vcc 1
		.amdhsa_float_round_mode_32 0
		.amdhsa_float_round_mode_16_64 0
		.amdhsa_float_denorm_mode_32 3
		.amdhsa_float_denorm_mode_16_64 3
		.amdhsa_dx10_clamp 1
		.amdhsa_ieee_mode 1
		.amdhsa_fp16_overflow 0
		.amdhsa_workgroup_processor_mode 1
		.amdhsa_memory_ordered 1
		.amdhsa_forward_progress 0
		.amdhsa_shared_vgpr_count 0
		.amdhsa_exception_fp_ieee_invalid_op 0
		.amdhsa_exception_fp_denorm_src 0
		.amdhsa_exception_fp_ieee_div_zero 0
		.amdhsa_exception_fp_ieee_overflow 0
		.amdhsa_exception_fp_ieee_underflow 0
		.amdhsa_exception_fp_ieee_inexact 0
		.amdhsa_exception_int_div_zero 0
	.end_amdhsa_kernel
	.section	.text._Z35paged_attention_ll4mi_reduce_kernelIDF16_DF16_Li128ELi128ELi256ELi12EEvPT0_PKfS3_PKT_PKiS8_iS3_,"axG",@progbits,_Z35paged_attention_ll4mi_reduce_kernelIDF16_DF16_Li128ELi128ELi256ELi12EEvPT0_PKfS3_PKT_PKiS8_iS3_,comdat
.Lfunc_end281:
	.size	_Z35paged_attention_ll4mi_reduce_kernelIDF16_DF16_Li128ELi128ELi256ELi12EEvPT0_PKfS3_PKT_PKiS8_iS3_, .Lfunc_end281-_Z35paged_attention_ll4mi_reduce_kernelIDF16_DF16_Li128ELi128ELi256ELi12EEvPT0_PKfS3_PKT_PKiS8_iS3_
                                        ; -- End function
	.section	.AMDGPU.csdata,"",@progbits
; Kernel info:
; codeLenInByte = 7352
; NumSgprs: 49
; NumVgprs: 67
; ScratchSize: 0
; MemoryBound: 0
; FloatMode: 240
; IeeeMode: 1
; LDSByteSize: 1540 bytes/workgroup (compile time only)
; SGPRBlocks: 6
; VGPRBlocks: 8
; NumSGPRsForWavesPerEU: 49
; NumVGPRsForWavesPerEU: 67
; Occupancy: 16
; WaveLimiterHint : 0
; COMPUTE_PGM_RSRC2:SCRATCH_EN: 0
; COMPUTE_PGM_RSRC2:USER_SGPR: 14
; COMPUTE_PGM_RSRC2:TRAP_HANDLER: 0
; COMPUTE_PGM_RSRC2:TGID_X_EN: 1
; COMPUTE_PGM_RSRC2:TGID_Y_EN: 1
; COMPUTE_PGM_RSRC2:TGID_Z_EN: 0
; COMPUTE_PGM_RSRC2:TIDIG_COMP_CNT: 0
	.section	.text._Z35paged_attention_ll4mi_reduce_kernelIDF16_DF16_Li128ELi128ELi256ELi13EEvPT0_PKfS3_PKT_PKiS8_iS3_,"axG",@progbits,_Z35paged_attention_ll4mi_reduce_kernelIDF16_DF16_Li128ELi128ELi256ELi13EEvPT0_PKfS3_PKT_PKiS8_iS3_,comdat
	.protected	_Z35paged_attention_ll4mi_reduce_kernelIDF16_DF16_Li128ELi128ELi256ELi13EEvPT0_PKfS3_PKT_PKiS8_iS3_ ; -- Begin function _Z35paged_attention_ll4mi_reduce_kernelIDF16_DF16_Li128ELi128ELi256ELi13EEvPT0_PKfS3_PKT_PKiS8_iS3_
	.globl	_Z35paged_attention_ll4mi_reduce_kernelIDF16_DF16_Li128ELi128ELi256ELi13EEvPT0_PKfS3_PKT_PKiS8_iS3_
	.p2align	8
	.type	_Z35paged_attention_ll4mi_reduce_kernelIDF16_DF16_Li128ELi128ELi256ELi13EEvPT0_PKfS3_PKT_PKiS8_iS3_,@function
_Z35paged_attention_ll4mi_reduce_kernelIDF16_DF16_Li128ELi128ELi256ELi13EEvPT0_PKfS3_PKT_PKiS8_iS3_: ; @_Z35paged_attention_ll4mi_reduce_kernelIDF16_DF16_Li128ELi128ELi256ELi13EEvPT0_PKfS3_PKT_PKiS8_iS3_
; %bb.0:
	s_load_b64 s[12:13], s[0:1], 0x28
	s_mov_b32 s2, s15
	s_waitcnt lgkmcnt(0)
	s_cmp_lg_u64 s[12:13], 0
	s_cselect_b32 s15, -1, 0
	s_delay_alu instid0(SALU_CYCLE_1)
	s_and_b32 vcc_lo, exec_lo, s15
	s_cbranch_vccz .LBB282_20
; %bb.1:
	s_add_i32 s4, s2, 1
	s_mov_b32 s5, 0
	s_delay_alu instid0(SALU_CYCLE_1) | instskip(SKIP_4) | instid1(SALU_CYCLE_1)
	s_lshl_b64 s[6:7], s[4:5], 2
	s_mov_b32 s3, s5
	s_add_u32 s6, s12, s6
	s_addc_u32 s7, s13, s7
	s_lshl_b64 s[8:9], s[2:3], 2
	s_add_u32 s8, s12, s8
	s_addc_u32 s9, s13, s9
	s_clause 0x1
	s_load_b32 s4, s[6:7], 0x0
	s_load_b32 s6, s[8:9], 0x0
	s_waitcnt lgkmcnt(0)
	s_sub_i32 s4, s4, s6
	s_delay_alu instid0(SALU_CYCLE_1)
	s_cmp_eq_u32 s4, 1
	s_cselect_b32 s4, -1, 0
	s_cbranch_execnz .LBB282_3
.LBB282_2:
	s_mov_b32 s3, 0
	s_mov_b32 s4, -1
.LBB282_3:
	s_delay_alu instid0(SALU_CYCLE_1)
	s_and_not1_b32 vcc_lo, exec_lo, s4
	s_cbranch_vccz .LBB282_5
; %bb.4:
	s_endpgm
.LBB282_5:
	s_clause 0x1
	s_load_b128 s[4:7], s[0:1], 0x18
	s_load_b32 s9, s[0:1], 0x30
	s_lshl_b64 s[16:17], s[2:3], 2
	s_waitcnt lgkmcnt(0)
	s_add_u32 s6, s6, s16
	s_addc_u32 s7, s7, s17
	s_load_b32 s23, s[6:7], 0x0
	s_load_b32 s33, s[0:1], 0x40
	s_mul_i32 s7, s2, s9
	s_waitcnt lgkmcnt(0)
	s_add_i32 s22, s23, 0xff
	s_delay_alu instid0(SALU_CYCLE_1) | instskip(NEXT) | instid1(SALU_CYCLE_1)
	s_ashr_i32 s6, s22, 31
	s_lshr_b32 s6, s6, 24
	s_delay_alu instid0(SALU_CYCLE_1) | instskip(SKIP_4) | instid1(SALU_CYCLE_1)
	s_add_i32 s8, s22, s6
	s_mul_i32 s6, s14, s9
	s_mov_b32 s9, exec_lo
	v_cmpx_lt_u32_e32 31, v0
	s_xor_b32 s9, exec_lo, s9
	s_or_saveexec_b32 s24, s9
	v_mov_b32_e32 v1, s6
	s_ashr_i32 s40, s8, 8
	s_mul_i32 s18, s7, s33
	s_xor_b32 exec_lo, exec_lo, s24
	s_cbranch_execz .LBB282_9
; %bb.6:
	v_or_b32_e32 v2, 32, v0
	v_cmp_gt_i32_e32 vcc_lo, s40, v0
	s_add_i32 s20, s40, -1
	v_or_b32_e32 v4, 64, v0
	v_or_b32_e32 v6, 0x60, v0
	s_load_b128 s[8:11], s[0:1], 0x8
	v_cndmask_b32_e32 v1, s20, v0, vcc_lo
	v_cmp_gt_i32_e32 vcc_lo, s40, v2
	s_mov_b32 s19, 0
	s_delay_alu instid0(SALU_CYCLE_1)
	s_mov_b32 s7, s19
	v_cndmask_b32_e32 v3, s20, v2, vcc_lo
	v_cmp_gt_i32_e32 vcc_lo, s40, v4
	v_or_b32_e32 v2, 0x80, v0
	v_cndmask_b32_e32 v5, s20, v4, vcc_lo
	v_cmp_gt_i32_e32 vcc_lo, s40, v6
	v_or_b32_e32 v4, 0xa0, v0
	;; [unrolled: 3-line block ×3, first 2 shown]
	s_delay_alu instid0(VALU_DEP_3) | instskip(SKIP_3) | instid1(VALU_DEP_3)
	v_ashrrev_i32_e32 v8, 31, v7
	v_cndmask_b32_e32 v9, s20, v2, vcc_lo
	v_or_b32_e32 v2, 0xc0, v0
	v_cmp_gt_i32_e32 vcc_lo, s40, v4
	v_ashrrev_i32_e32 v10, 31, v9
	v_cndmask_b32_e32 v11, s20, v4, vcc_lo
	s_delay_alu instid0(VALU_DEP_4) | instskip(SKIP_1) | instid1(VALU_DEP_3)
	v_cmp_gt_i32_e32 vcc_lo, s40, v2
	v_or_b32_e32 v4, 0x100, v0
	v_ashrrev_i32_e32 v12, 31, v11
	v_cndmask_b32_e32 v13, s20, v2, vcc_lo
	v_cmp_gt_i32_e32 vcc_lo, s40, v6
	v_or_b32_e32 v2, 0x120, v0
	s_delay_alu instid0(VALU_DEP_3) | instskip(SKIP_3) | instid1(VALU_DEP_3)
	v_ashrrev_i32_e32 v14, 31, v13
	v_cndmask_b32_e32 v15, s20, v6, vcc_lo
	v_cmp_gt_i32_e32 vcc_lo, s40, v4
	v_or_b32_e32 v6, 0x160, v0
	v_ashrrev_i32_e32 v16, 31, v15
	v_cndmask_b32_e32 v17, s20, v4, vcc_lo
	v_or_b32_e32 v4, 0x140, v0
	v_cmp_gt_i32_e32 vcc_lo, s40, v2
	s_delay_alu instid0(VALU_DEP_3) | instskip(SKIP_1) | instid1(VALU_DEP_4)
	v_ashrrev_i32_e32 v18, 31, v17
	v_cndmask_b32_e32 v19, s20, v2, vcc_lo
	v_cmp_gt_i32_e32 vcc_lo, s40, v4
	v_or_b32_e32 v2, 0x180, v0
	s_delay_alu instid0(VALU_DEP_3) | instskip(SKIP_3) | instid1(VALU_DEP_3)
	v_ashrrev_i32_e32 v20, 31, v19
	v_cndmask_b32_e32 v21, s20, v4, vcc_lo
	v_cmp_gt_i32_e32 vcc_lo, s40, v6
	v_ashrrev_i32_e32 v4, 31, v3
	v_ashrrev_i32_e32 v22, 31, v21
	v_cndmask_b32_e32 v23, s20, v6, vcc_lo
	v_cmp_gt_i32_e32 vcc_lo, s40, v2
	v_ashrrev_i32_e32 v6, 31, v5
	s_delay_alu instid0(VALU_DEP_3)
	v_ashrrev_i32_e32 v24, 31, v23
	v_cndmask_b32_e32 v25, s20, v2, vcc_lo
	v_ashrrev_i32_e32 v2, 31, v1
	s_lshl_b64 s[20:21], s[18:19], 2
	s_waitcnt lgkmcnt(0)
	s_add_u32 s19, s10, s20
	s_addc_u32 s25, s11, s21
	v_lshlrev_b64 v[27:28], 2, v[1:2]
	s_lshl_b64 s[10:11], s[6:7], 2
	v_lshlrev_b64 v[2:3], 2, v[3:4]
	s_add_u32 s7, s19, s10
	s_addc_u32 s19, s25, s11
	v_lshlrev_b64 v[4:5], 2, v[5:6]
	v_add_co_u32 v29, vcc_lo, s7, v27
	v_add_co_ci_u32_e32 v30, vcc_lo, s19, v28, vcc_lo
	v_add_co_u32 v31, vcc_lo, s7, v2
	v_lshlrev_b64 v[6:7], 2, v[7:8]
	v_add_co_ci_u32_e32 v32, vcc_lo, s19, v3, vcc_lo
	v_add_co_u32 v33, vcc_lo, s7, v4
	v_lshlrev_b64 v[8:9], 2, v[9:10]
	;; [unrolled: 3-line block ×6, first 2 shown]
	v_add_co_ci_u32_e32 v42, vcc_lo, s19, v13, vcc_lo
	v_add_co_u32 v43, vcc_lo, s7, v14
	v_add_co_ci_u32_e32 v44, vcc_lo, s19, v15, vcc_lo
	v_lshlrev_b64 v[18:19], 2, v[19:20]
	v_add_co_u32 v45, vcc_lo, s7, v16
	v_add_co_ci_u32_e32 v46, vcc_lo, s19, v17, vcc_lo
	s_clause 0x8
	global_load_b32 v47, v[29:30], off
	global_load_b32 v48, v[31:32], off
	;; [unrolled: 1-line block ×9, first 2 shown]
	v_lshlrev_b64 v[20:21], 2, v[21:22]
	v_ashrrev_i32_e32 v26, 31, v25
	v_add_co_u32 v29, vcc_lo, s7, v18
	v_lshlrev_b64 v[22:23], 2, v[23:24]
	v_add_co_ci_u32_e32 v30, vcc_lo, s19, v19, vcc_lo
	v_add_co_u32 v31, vcc_lo, s7, v20
	v_lshlrev_b64 v[24:25], 2, v[25:26]
	v_add_co_ci_u32_e32 v32, vcc_lo, s19, v21, vcc_lo
	v_add_co_u32 v33, vcc_lo, s7, v22
	v_add_co_ci_u32_e32 v34, vcc_lo, s19, v23, vcc_lo
	s_delay_alu instid0(VALU_DEP_4)
	v_add_co_u32 v35, vcc_lo, s7, v24
	v_add_co_ci_u32_e32 v36, vcc_lo, s19, v25, vcc_lo
	s_clause 0x3
	global_load_b32 v29, v[29:30], off
	global_load_b32 v30, v[31:32], off
	;; [unrolled: 1-line block ×4, first 2 shown]
	v_mbcnt_lo_u32_b32 v33, -1, 0
	s_add_u32 s7, s8, s20
	s_addc_u32 s8, s9, s21
	s_add_u32 s7, s7, s10
	s_addc_u32 s8, s8, s11
	v_xor_b32_e32 v1, 16, v33
	s_delay_alu instid0(VALU_DEP_1)
	v_cmp_gt_i32_e32 vcc_lo, 32, v1
	v_cndmask_b32_e32 v1, v33, v1, vcc_lo
	v_add_co_u32 v26, vcc_lo, s7, v27
	v_add_co_ci_u32_e32 v27, vcc_lo, s8, v28, vcc_lo
	v_add_co_u32 v2, vcc_lo, s7, v2
	v_add_co_ci_u32_e32 v3, vcc_lo, s8, v3, vcc_lo
	;; [unrolled: 2-line block ×10, first 2 shown]
	s_clause 0x9
	global_load_b32 v26, v[26:27], off
	global_load_b32 v27, v[2:3], off
	;; [unrolled: 1-line block ×10, first 2 shown]
	v_xor_b32_e32 v14, 4, v33
	v_lshlrev_b32_e32 v1, 2, v1
	v_xor_b32_e32 v5, 8, v33
	v_xor_b32_e32 v16, 1, v33
	s_delay_alu instid0(VALU_DEP_2) | instskip(SKIP_1) | instid1(VALU_DEP_1)
	v_cmp_gt_i32_e32 vcc_lo, 32, v5
	v_cndmask_b32_e32 v5, v33, v5, vcc_lo
	v_lshlrev_b32_e32 v6, 2, v5
	s_waitcnt vmcnt(20)
	v_max3_f32 v28, v47, v48, v49
	s_waitcnt vmcnt(18)
	s_delay_alu instid0(VALU_DEP_1) | instskip(SKIP_1) | instid1(VALU_DEP_1)
	v_max3_f32 v28, v28, v50, v37
	s_waitcnt vmcnt(16)
	v_max3_f32 v28, v28, v38, v39
	s_waitcnt vmcnt(14)
	s_delay_alu instid0(VALU_DEP_1) | instskip(SKIP_1) | instid1(VALU_DEP_1)
	v_max3_f32 v28, v28, v40, v41
	s_waitcnt vmcnt(12)
	v_max3_f32 v28, v28, v29, v30
	s_waitcnt vmcnt(10)
	s_delay_alu instid0(VALU_DEP_1) | instskip(SKIP_3) | instid1(VALU_DEP_1)
	v_max3_f32 v28, v28, v31, v32
	ds_bpermute_b32 v34, v1, v28
	s_waitcnt lgkmcnt(0)
	v_max_f32_e32 v7, v34, v34
	v_max_f32_e32 v12, v28, v7
	v_add_co_u32 v7, vcc_lo, s7, v20
	v_add_co_ci_u32_e32 v8, vcc_lo, s8, v21, vcc_lo
	ds_bpermute_b32 v13, v6, v12
	v_cmp_gt_i32_e32 vcc_lo, 32, v14
	global_load_b32 v5, v[7:8], off
	v_cndmask_b32_e32 v14, v33, v14, vcc_lo
	v_add_co_u32 v7, vcc_lo, s7, v22
	v_add_co_ci_u32_e32 v8, vcc_lo, s8, v23, vcc_lo
	s_delay_alu instid0(VALU_DEP_3)
	v_lshlrev_b32_e32 v14, 2, v14
	global_load_b32 v15, v[7:8], off
	v_add_co_u32 v7, vcc_lo, s7, v24
	v_add_co_ci_u32_e32 v8, vcc_lo, s8, v25, vcc_lo
	s_mov_b32 s7, exec_lo
	s_waitcnt lgkmcnt(0)
	v_max_f32_e32 v13, v13, v13
	global_load_b32 v7, v[7:8], off
	v_xor_b32_e32 v8, 2, v33
	v_max_f32_e32 v12, v12, v13
	s_delay_alu instid0(VALU_DEP_2) | instskip(SKIP_3) | instid1(VALU_DEP_2)
	v_cmp_gt_i32_e32 vcc_lo, 32, v8
	ds_bpermute_b32 v13, v14, v12
	v_cndmask_b32_e32 v8, v33, v8, vcc_lo
	v_cmp_gt_i32_e32 vcc_lo, 32, v16
	v_lshlrev_b32_e32 v8, 2, v8
	v_cndmask_b32_e32 v16, v33, v16, vcc_lo
	s_waitcnt lgkmcnt(0)
	s_delay_alu instid0(VALU_DEP_1) | instskip(NEXT) | instid1(VALU_DEP_1)
	v_dual_max_f32 v13, v13, v13 :: v_dual_lshlrev_b32 v16, 2, v16
	v_max_f32_e32 v12, v12, v13
	ds_bpermute_b32 v13, v8, v12
	s_waitcnt lgkmcnt(0)
	v_max_f32_e32 v13, v13, v13
	s_delay_alu instid0(VALU_DEP_1) | instskip(SKIP_3) | instid1(VALU_DEP_1)
	v_max_f32_e32 v12, v12, v13
	ds_bpermute_b32 v13, v16, v12
	s_waitcnt lgkmcnt(0)
	v_max_f32_e32 v13, v13, v13
	v_max_f32_e32 v12, v12, v13
	v_sub_nc_u32_e32 v13, s40, v0
	s_delay_alu instid0(VALU_DEP_2) | instskip(SKIP_3) | instid1(VALU_DEP_4)
	v_sub_f32_e32 v20, v50, v12
	v_sub_f32_e32 v22, v38, v12
	;; [unrolled: 1-line block ×4, first 2 shown]
	v_mul_f32_e32 v34, 0x3fb8aa3b, v20
	s_delay_alu instid0(VALU_DEP_4) | instskip(NEXT) | instid1(VALU_DEP_4)
	v_mul_f32_e32 v38, 0x3fb8aa3b, v22
	v_mul_f32_e32 v40, 0x3fb8aa3b, v24
	s_delay_alu instid0(VALU_DEP_3) | instskip(SKIP_1) | instid1(VALU_DEP_4)
	v_fma_f32 v51, 0x3fb8aa3b, v20, -v34
	v_rndne_f32_e32 v52, v34
	v_fma_f32 v55, 0x3fb8aa3b, v22, -v38
	v_rndne_f32_e32 v56, v38
	v_fma_f32 v59, 0x3fb8aa3b, v24, -v40
	v_fmac_f32_e32 v51, 0x32a5705f, v20
	v_sub_f32_e32 v34, v34, v52
	v_sub_f32_e32 v19, v49, v12
	v_cvt_i32_f32_e32 v52, v52
	v_dual_fmac_f32 v55, 0x32a5705f, v22 :: v_dual_sub_f32 v38, v38, v56
	s_delay_alu instid0(VALU_DEP_4) | instskip(NEXT) | instid1(VALU_DEP_4)
	v_add_f32_e32 v34, v34, v51
	v_dual_sub_f32 v28, v29, v12 :: v_dual_mul_f32 v33, 0x3fb8aa3b, v19
	s_delay_alu instid0(VALU_DEP_3) | instskip(NEXT) | instid1(VALU_DEP_3)
	v_dual_sub_f32 v21, v37, v12 :: v_dual_add_f32 v38, v38, v55
	v_exp_f32_e32 v34, v34
	v_rndne_f32_e32 v60, v40
	v_fmac_f32_e32 v59, 0x32a5705f, v24
	s_delay_alu instid0(VALU_DEP_3)
	v_mul_f32_e32 v37, 0x3fb8aa3b, v21
	v_fma_f32 v49, 0x3fb8aa3b, v19, -v33
	v_rndne_f32_e32 v50, v33
	v_sub_f32_e32 v40, v40, v60
	v_sub_f32_e32 v23, v39, v12
	v_mul_f32_e32 v42, 0x3fb8aa3b, v28
	v_cvt_i32_f32_e32 v60, v60
	v_ldexp_f32 v34, v34, v52
	v_dual_add_f32 v40, v40, v59 :: v_dual_sub_f32 v29, v30, v12
	v_sub_f32_e32 v30, v31, v12
	v_sub_f32_e32 v17, v47, v12
	v_mul_f32_e32 v39, 0x3fb8aa3b, v23
	v_fma_f32 v63, 0x3fb8aa3b, v28, -v42
	v_rndne_f32_e32 v64, v42
	s_delay_alu instid0(VALU_DEP_4) | instskip(SKIP_1) | instid1(VALU_DEP_4)
	v_dual_mul_f32 v44, 0x3fb8aa3b, v30 :: v_dual_mul_f32 v31, 0x3fb8aa3b, v17
	v_fmac_f32_e32 v49, 0x32a5705f, v19
	v_fmac_f32_e32 v63, 0x32a5705f, v28
	s_delay_alu instid0(VALU_DEP_4)
	v_sub_f32_e32 v42, v42, v64
	v_sub_f32_e32 v25, v41, v12
	v_fma_f32 v45, 0x3fb8aa3b, v17, -v31
	v_rndne_f32_e32 v46, v31
	v_sub_f32_e32 v12, v32, v12
	v_add_f32_e32 v42, v42, v63
	v_mul_f32_e32 v32, 0x3fb8aa3b, v18
	v_fmac_f32_e32 v45, 0x32a5705f, v17
	v_sub_f32_e32 v31, v31, v46
	v_cvt_i32_f32_e32 v46, v46
	v_cmp_ngt_f32_e32 vcc_lo, 0xc2ce8ed0, v17
	v_fma_f32 v47, 0x3fb8aa3b, v18, -v32
	v_rndne_f32_e32 v48, v32
	v_add_f32_e32 v31, v31, v45
	v_mul_f32_e32 v41, 0x3fb8aa3b, v25
	v_exp_f32_e32 v40, v40
	v_fma_f32 v53, 0x3fb8aa3b, v21, -v37
	v_sub_f32_e32 v32, v32, v48
	v_exp_f32_e32 v31, v31
	v_cvt_i32_f32_e32 v48, v48
	v_rndne_f32_e32 v54, v37
	v_fmac_f32_e32 v53, 0x32a5705f, v21
	v_fma_f32 v57, 0x3fb8aa3b, v23, -v39
	v_rndne_f32_e32 v58, v39
	v_fma_f32 v61, 0x3fb8aa3b, v25, -v41
	v_ldexp_f32 v40, v40, v60
	v_sub_f32_e32 v33, v33, v50
	v_cvt_i32_f32_e32 v50, v50
	v_ldexp_f32 v31, v31, v46
	v_fmac_f32_e32 v57, 0x32a5705f, v23
	v_sub_f32_e32 v39, v39, v58
	v_add_f32_e32 v33, v33, v49
	v_rndne_f32_e32 v62, v41
	v_cndmask_b32_e32 v31, 0, v31, vcc_lo
	v_cmp_ngt_f32_e32 vcc_lo, 0xc2ce8ed0, v18
	v_fmac_f32_e32 v47, 0x32a5705f, v18
	v_exp_f32_e32 v33, v33
	v_add_f32_e32 v39, v39, v57
	v_exp_f32_e32 v38, v38
	v_cvt_i32_f32_e32 v56, v56
	v_dual_add_f32 v32, v32, v47 :: v_dual_fmac_f32 v61, 0x32a5705f, v25
	v_sub_f32_e32 v41, v41, v62
	v_exp_f32_e32 v39, v39
	v_cvt_i32_f32_e32 v58, v58
	s_delay_alu instid0(VALU_DEP_3) | instskip(SKIP_2) | instid1(TRANS32_DEP_3)
	v_exp_f32_e32 v32, v32
	v_ldexp_f32 v33, v33, v50
	v_add_f32_e32 v41, v41, v61
	v_ldexp_f32 v38, v38, v56
	v_cvt_i32_f32_e32 v62, v62
	v_exp_f32_e32 v42, v42
	v_cvt_i32_f32_e32 v64, v64
	v_exp_f32_e32 v41, v41
	v_ldexp_f32 v39, v39, v58
	v_fma_f32 v67, 0x3fb8aa3b, v30, -v44
	v_ldexp_f32 v32, v32, v48
	s_delay_alu instid0(VALU_DEP_1) | instskip(SKIP_3) | instid1(TRANS32_DEP_1)
	v_dual_fmac_f32 v67, 0x32a5705f, v30 :: v_dual_cndmask_b32 v32, 0, v32
	v_sub_f32_e32 v37, v37, v54
	v_cmp_ngt_f32_e32 vcc_lo, 0xc2ce8ed0, v19
	v_cvt_i32_f32_e32 v54, v54
	v_ldexp_f32 v41, v41, v62
	v_ldexp_f32 v42, v42, v64
	v_add_f32_e32 v37, v37, v53
	v_cndmask_b32_e32 v33, 0, v33, vcc_lo
	v_cmp_ngt_f32_e32 vcc_lo, 0xc2ce8ed0, v20
	s_delay_alu instid0(VALU_DEP_3) | instskip(SKIP_4) | instid1(VALU_DEP_1)
	v_exp_f32_e32 v37, v37
	v_cndmask_b32_e32 v34, 0, v34, vcc_lo
	v_cmp_ngt_f32_e32 vcc_lo, 0xc2ce8ed0, v21
	s_waitcnt_depctr 0xfff
	v_ldexp_f32 v37, v37, v54
	v_cndmask_b32_e32 v37, 0, v37, vcc_lo
	v_cmp_ngt_f32_e32 vcc_lo, 0xc2ce8ed0, v22
	v_dual_mul_f32 v43, 0x3fb8aa3b, v29 :: v_dual_cndmask_b32 v38, 0, v38
	v_cmp_ngt_f32_e32 vcc_lo, 0xc2ce8ed0, v23
	s_delay_alu instid0(VALU_DEP_2)
	v_fma_f32 v65, 0x3fb8aa3b, v29, -v43
	v_rndne_f32_e32 v66, v43
	v_cndmask_b32_e32 v39, 0, v39, vcc_lo
	v_cmp_ngt_f32_e32 vcc_lo, 0xc2ce8ed0, v24
	v_cndmask_b32_e32 v40, 0, v40, vcc_lo
	v_cmp_ngt_f32_e32 vcc_lo, 0xc2ce8ed0, v25
	;; [unrolled: 2-line block ×3, first 2 shown]
	v_cndmask_b32_e32 v42, 0, v42, vcc_lo
	v_cmp_nlt_f32_e32 vcc_lo, 0x42b17218, v17
	v_cndmask_b32_e32 v17, 0x7f800000, v31, vcc_lo
	v_cmp_nlt_f32_e32 vcc_lo, 0x42b17218, v18
	;; [unrolled: 2-line block ×10, first 2 shown]
	v_cndmask_b32_e32 v28, 0x7f800000, v42, vcc_lo
	v_cmp_lt_i32_e32 vcc_lo, 0, v13
	v_cndmask_b32_e32 v17, 0, v17, vcc_lo
	v_cmp_lt_i32_e32 vcc_lo, 32, v13
	s_waitcnt vmcnt(12)
	s_delay_alu instid0(VALU_DEP_2) | instskip(SKIP_3) | instid1(VALU_DEP_3)
	v_dual_mul_f32 v17, v26, v17 :: v_dual_cndmask_b32 v18, 0, v18
	v_cmp_lt_i32_e32 vcc_lo, 64, v13
	v_cvt_i32_f32_e32 v26, v66
	s_waitcnt vmcnt(11)
	v_dual_mul_f32 v18, v27, v18 :: v_dual_cndmask_b32 v19, 0, v19
	v_cmp_lt_i32_e32 vcc_lo, 0x60, v13
	v_cndmask_b32_e32 v20, 0, v20, vcc_lo
	v_cmp_lt_i32_e32 vcc_lo, 0x80, v13
	s_waitcnt vmcnt(9)
	s_delay_alu instid0(VALU_DEP_2) | instskip(SKIP_3) | instid1(VALU_DEP_2)
	v_dual_fmac_f32 v65, 0x32a5705f, v29 :: v_dual_mul_f32 v20, v36, v20
	v_cndmask_b32_e32 v21, 0, v21, vcc_lo
	v_cmp_lt_i32_e32 vcc_lo, 0xa0, v13
	s_waitcnt vmcnt(8)
	v_dual_mul_f32 v9, v9, v21 :: v_dual_cndmask_b32 v22, 0, v22
	v_cmp_lt_i32_e32 vcc_lo, 0xc0, v13
	v_rndne_f32_e32 v21, v44
	s_waitcnt vmcnt(7)
	s_delay_alu instid0(VALU_DEP_3) | instskip(SKIP_2) | instid1(VALU_DEP_2)
	v_dual_mul_f32 v10, v10, v22 :: v_dual_cndmask_b32 v23, 0, v23
	v_cmp_lt_i32_e32 vcc_lo, 0xe0, v13
	s_waitcnt vmcnt(6)
	v_dual_mul_f32 v11, v11, v23 :: v_dual_cndmask_b32 v24, 0, v24
	v_sub_f32_e32 v43, v43, v66
	v_cmp_lt_i32_e32 vcc_lo, 0x100, v13
	v_mul_f32_e32 v23, 0x3fb8aa3b, v12
	s_waitcnt vmcnt(5)
	s_delay_alu instid0(VALU_DEP_3) | instskip(SKIP_3) | instid1(VALU_DEP_4)
	v_dual_mul_f32 v2, v2, v24 :: v_dual_add_f32 v43, v43, v65
	v_dual_add_f32 v24, v17, v18 :: v_dual_cndmask_b32 v25, 0, v25
	v_cmp_lt_i32_e32 vcc_lo, 0x120, v13
	v_fma_f32 v27, 0x3fb8aa3b, v12, -v23
	v_exp_f32_e32 v22, v43
	s_waitcnt vmcnt(4)
	v_dual_mul_f32 v3, v3, v25 :: v_dual_cndmask_b32 v28, 0, v28
	v_sub_f32_e32 v25, v44, v21
	v_cmp_ngt_f32_e32 vcc_lo, 0xc2ce8ed0, v29
	v_fmac_f32_e32 v27, 0x32a5705f, v12
	v_cvt_i32_f32_e32 v21, v21
	s_waitcnt vmcnt(3)
	v_mul_f32_e32 v4, v4, v28
	v_rndne_f32_e32 v28, v23
	v_add_f32_e32 v25, v25, v67
	v_ldexp_f32 v22, v22, v26
	s_delay_alu instid0(VALU_DEP_3) | instskip(NEXT) | instid1(VALU_DEP_3)
	v_sub_f32_e32 v23, v23, v28
	v_exp_f32_e32 v25, v25
	s_delay_alu instid0(VALU_DEP_2) | instskip(SKIP_1) | instid1(VALU_DEP_2)
	v_cndmask_b32_e32 v22, 0, v22, vcc_lo
	v_cmp_nlt_f32_e32 vcc_lo, 0x42b17218, v29
	v_dual_add_f32 v23, v23, v27 :: v_dual_cndmask_b32 v22, 0x7f800000, v22
	v_cmp_lt_i32_e32 vcc_lo, 0x140, v13
	s_delay_alu instid0(VALU_DEP_2)
	v_exp_f32_e32 v23, v23
	s_waitcnt_depctr 0xfff
	v_ldexp_f32 v21, v25, v21
	v_cvt_i32_f32_e32 v25, v28
	v_cndmask_b32_e32 v22, 0, v22, vcc_lo
	v_cmp_ngt_f32_e32 vcc_lo, 0xc2ce8ed0, v30
	s_waitcnt vmcnt(2)
	s_delay_alu instid0(VALU_DEP_2) | instskip(SKIP_3) | instid1(VALU_DEP_3)
	v_mul_f32_e32 v5, v5, v22
	v_cndmask_b32_e32 v21, 0, v21, vcc_lo
	v_cmp_nlt_f32_e32 vcc_lo, 0x42b17218, v30
	v_ldexp_f32 v22, v23, v25
	v_cndmask_b32_e32 v21, 0x7f800000, v21, vcc_lo
	v_cmp_ngt_f32_e32 vcc_lo, 0xc2ce8ed0, v12
	s_delay_alu instid0(VALU_DEP_3) | instskip(SKIP_1) | instid1(VALU_DEP_4)
	v_cndmask_b32_e32 v22, 0, v22, vcc_lo
	v_cmp_lt_i32_e32 vcc_lo, 0x160, v13
	v_cndmask_b32_e32 v21, 0, v21, vcc_lo
	v_cmp_nlt_f32_e32 vcc_lo, 0x42b17218, v12
	v_mul_f32_e32 v19, v35, v19
	s_waitcnt vmcnt(1)
	s_delay_alu instid0(VALU_DEP_3) | instskip(NEXT) | instid1(VALU_DEP_2)
	v_dual_mul_f32 v15, v15, v21 :: v_dual_cndmask_b32 v12, 0x7f800000, v22
	v_add_f32_e32 v24, v24, v19
	v_cmp_lt_i32_e32 vcc_lo, 0x180, v13
	s_delay_alu instid0(VALU_DEP_2) | instskip(NEXT) | instid1(VALU_DEP_4)
	v_add_f32_e32 v24, v24, v20
	v_cndmask_b32_e32 v12, 0, v12, vcc_lo
	s_waitcnt vmcnt(0)
	s_delay_alu instid0(VALU_DEP_1) | instskip(NEXT) | instid1(VALU_DEP_1)
	v_dual_add_f32 v24, v24, v9 :: v_dual_mul_f32 v7, v7, v12
	v_add_f32_e32 v24, v24, v10
	s_delay_alu instid0(VALU_DEP_1) | instskip(NEXT) | instid1(VALU_DEP_1)
	v_add_f32_e32 v24, v24, v11
	v_add_f32_e32 v23, v24, v2
	s_delay_alu instid0(VALU_DEP_1) | instskip(NEXT) | instid1(VALU_DEP_1)
	v_add_f32_e32 v23, v23, v3
	;; [unrolled: 3-line block ×3, first 2 shown]
	v_add_f32_e32 v12, v13, v15
	s_delay_alu instid0(VALU_DEP_1)
	v_add_f32_e32 v12, v12, v7
	ds_bpermute_b32 v1, v1, v12
	s_waitcnt lgkmcnt(0)
	v_add_f32_e32 v1, v12, v1
	ds_bpermute_b32 v6, v6, v1
	s_waitcnt lgkmcnt(0)
	;; [unrolled: 3-line block ×3, first 2 shown]
	v_add_f32_e32 v1, v1, v6
	ds_bpermute_b32 v6, v8, v1
	v_lshlrev_b32_e32 v8, 2, v0
	s_delay_alu instid0(VALU_DEP_1)
	v_add_nc_u32_e32 v12, 0x400, v8
	ds_store_2addr_b32 v8, v17, v18 offset1:32
	ds_store_2addr_b32 v8, v19, v20 offset0:64 offset1:96
	ds_store_2addr_b32 v8, v9, v10 offset0:128 offset1:160
	;; [unrolled: 1-line block ×3, first 2 shown]
	ds_store_2addr_b32 v12, v3, v4 offset1:32
	ds_store_2addr_b32 v12, v5, v15 offset0:64 offset1:96
	ds_store_b32 v8, v7 offset:1536
	s_waitcnt lgkmcnt(7)
	v_add_f32_e32 v1, v1, v6
	ds_bpermute_b32 v6, v16, v1
	v_cmpx_eq_u32_e32 0, v0
	s_cbranch_execz .LBB282_8
; %bb.7:
	s_waitcnt lgkmcnt(0)
	v_dual_add_f32 v1, v1, v6 :: v_dual_mov_b32 v2, 0
	ds_store_b32 v2, v1 offset:1664
.LBB282_8:
	s_or_b32 exec_lo, exec_lo, s7
	v_mov_b32_e32 v1, s6
.LBB282_9:
	s_or_b32 exec_lo, exec_lo, s24
	s_lshl_b32 s6, s18, 7
	s_mov_b32 s7, 0
	s_delay_alu instid0(VALU_DEP_1)
	v_dual_mov_b32 v2, 0 :: v_dual_lshlrev_b32 v1, 7, v1
	s_lshl_b64 s[6:7], s[6:7], 1
	v_lshlrev_b32_e32 v0, 1, v0
	s_add_u32 s34, s4, s6
	s_addc_u32 s35, s5, s7
	s_lshl_b32 s41, s40, 7
	v_lshlrev_b64 v[3:4], 1, v[1:2]
	s_add_i32 s42, s41, 0xffffff80
	s_cmpk_lt_i32 s22, 0x100
	v_dual_mov_b32 v30, 0 :: v_dual_mov_b32 v33, 0
	s_cselect_b32 s4, s42, 0
	s_delay_alu instid0(VALU_DEP_2)
	v_add_co_u32 v1, vcc_lo, s34, v3
	s_ashr_i32 s5, s4, 31
	v_add_co_ci_u32_e32 v3, vcc_lo, s35, v4, vcc_lo
	s_lshl_b64 s[4:5], s[4:5], 1
	s_cmpk_lt_i32 s22, 0x200
	v_add_co_u32 v1, vcc_lo, v1, v0
	s_cselect_b32 s6, s42, 0x80
	v_add_co_ci_u32_e32 v3, vcc_lo, 0, v3, vcc_lo
	s_ashr_i32 s7, s6, 31
	s_delay_alu instid0(VALU_DEP_2)
	v_add_co_u32 v4, vcc_lo, v1, s4
	s_lshl_b64 s[6:7], s[6:7], 1
	s_cmpk_lt_i32 s22, 0x300
	v_add_co_ci_u32_e32 v5, vcc_lo, s5, v3, vcc_lo
	s_cselect_b32 s8, s42, 0x100
	v_add_co_u32 v8, vcc_lo, v1, s6
	s_ashr_i32 s9, s8, 31
	v_add_co_ci_u32_e32 v9, vcc_lo, s7, v3, vcc_lo
	s_lshl_b64 s[8:9], s[8:9], 1
	s_cmpk_lt_i32 s22, 0x400
	v_add_co_u32 v10, vcc_lo, v1, s8
	s_cselect_b32 s10, s42, 0x180
	v_add_co_ci_u32_e32 v11, vcc_lo, s9, v3, vcc_lo
	s_ashr_i32 s11, s10, 31
	v_dual_mov_b32 v32, 0 :: v_dual_mov_b32 v35, 0
	s_lshl_b64 s[10:11], s[10:11], 1
	s_cmpk_lt_i32 s22, 0x500
	v_add_co_u32 v12, vcc_lo, v1, s10
	s_cselect_b32 s18, s42, 0x200
	v_add_co_ci_u32_e32 v13, vcc_lo, s11, v3, vcc_lo
	s_ashr_i32 s19, s18, 31
	v_mov_b32_e32 v34, 0
	s_lshl_b64 s[18:19], s[18:19], 1
	s_cmpk_lt_i32 s22, 0x600
	v_add_co_u32 v14, vcc_lo, v1, s18
	s_cselect_b32 s20, s42, 0x280
	v_add_co_ci_u32_e32 v15, vcc_lo, s19, v3, vcc_lo
	s_ashr_i32 s21, s20, 31
	v_mov_b32_e32 v29, 0
	;; [unrolled: 7-line block ×3, first 2 shown]
	s_lshl_b64 s[24:25], s[24:25], 1
	s_cmpk_lt_i32 s22, 0x800
	v_add_co_u32 v18, vcc_lo, v1, s24
	s_cselect_b32 s26, s42, 0x380
	v_add_co_ci_u32_e32 v19, vcc_lo, s25, v3, vcc_lo
	s_ashr_i32 s27, s26, 31
	s_delay_alu instid0(SALU_CYCLE_1)
	s_lshl_b64 s[26:27], s[26:27], 1
	s_cmpk_lt_i32 s22, 0x900
	v_add_co_u32 v20, vcc_lo, v1, s26
	s_cselect_b32 s28, s42, 0x400
	v_add_co_ci_u32_e32 v21, vcc_lo, s27, v3, vcc_lo
	s_ashr_i32 s29, s28, 31
	s_clause 0x6
	global_load_u16 v7, v[4:5], off
	global_load_u16 v8, v[8:9], off
	;; [unrolled: 1-line block ×7, first 2 shown]
	s_waitcnt lgkmcnt(0)
	global_load_u16 v6, v[20:21], off
	s_lshl_b64 s[28:29], s[28:29], 1
	s_cmpk_lt_i32 s22, 0xa00
	v_add_co_u32 v12, vcc_lo, v1, s28
	s_cselect_b32 s30, s42, 0x480
	v_add_co_ci_u32_e32 v13, vcc_lo, s29, v3, vcc_lo
	s_ashr_i32 s31, s30, 31
	s_delay_alu instid0(SALU_CYCLE_1)
	s_lshl_b64 s[30:31], s[30:31], 1
	s_cmpk_lt_i32 s22, 0xb00
	v_add_co_u32 v15, vcc_lo, v1, s30
	s_cselect_b32 s34, s42, 0x500
	v_add_co_ci_u32_e32 v16, vcc_lo, s31, v3, vcc_lo
	s_ashr_i32 s35, s34, 31
	s_delay_alu instid0(SALU_CYCLE_1)
	;; [unrolled: 7-line block ×7, first 2 shown]
	s_lshl_b64 s[4:5], s[6:7], 1
	s_cmpk_gt_i32 s23, 0x1000
	v_add_co_u32 v27, vcc_lo, v1, s4
	v_add_co_ci_u32_e32 v28, vcc_lo, s5, v3, vcc_lo
	s_clause 0x7
	global_load_u16 v14, v[12:13], off
	global_load_u16 v15, v[15:16], off
	;; [unrolled: 1-line block ×8, first 2 shown]
	v_dual_mov_b32 v20, 0 :: v_dual_mov_b32 v23, 0
	v_dual_mov_b32 v21, 0 :: v_dual_mov_b32 v22, 0
	;; [unrolled: 1-line block ×4, first 2 shown]
	v_mov_b32_e32 v28, 0
	s_cselect_b32 s8, -1, 0
	s_cmpk_lt_i32 s23, 0x1001
	s_waitcnt vmcnt(0)
	s_barrier
	buffer_gl0_inv
	s_cbranch_scc1 .LBB282_11
; %bb.10:
	s_cmpk_lt_i32 s22, 0x1100
	s_cselect_b32 s4, s42, 0x800
	s_delay_alu instid0(SALU_CYCLE_1) | instskip(NEXT) | instid1(SALU_CYCLE_1)
	s_ashr_i32 s5, s4, 31
	s_lshl_b64 s[4:5], s[4:5], 1
	s_cmpk_lt_i32 s22, 0x1200
	v_add_co_u32 v20, vcc_lo, v1, s4
	s_cselect_b32 s6, s42, 0x880
	v_add_co_ci_u32_e32 v21, vcc_lo, s5, v3, vcc_lo
	s_ashr_i32 s7, s6, 31
	s_delay_alu instid0(SALU_CYCLE_1)
	s_lshl_b64 s[6:7], s[6:7], 1
	s_cmpk_lt_i32 s22, 0x1300
	v_add_co_u32 v22, vcc_lo, v1, s6
	s_cselect_b32 s10, s42, 0x900
	v_add_co_ci_u32_e32 v23, vcc_lo, s7, v3, vcc_lo
	s_ashr_i32 s11, s10, 31
	s_delay_alu instid0(SALU_CYCLE_1)
	;; [unrolled: 7-line block ×7, first 2 shown]
	s_lshl_b64 s[28:29], s[28:29], 1
	s_cmpk_lt_i32 s22, 0x1900
	v_add_co_u32 v34, vcc_lo, v1, s28
	s_cselect_b32 s30, s42, 0xc00
	v_add_co_ci_u32_e32 v35, vcc_lo, s29, v3, vcc_lo
	s_ashr_i32 s31, s30, 31
	s_clause 0x7
	global_load_u16 v36, v[20:21], off
	global_load_u16 v37, v[22:23], off
	;; [unrolled: 1-line block ×8, first 2 shown]
	s_lshl_b64 s[30:31], s[30:31], 1
	s_cmpk_lt_i32 s22, 0x1a00
	v_add_co_u32 v20, vcc_lo, v1, s30
	s_cselect_b32 s34, s42, 0xc80
	v_add_co_ci_u32_e32 v21, vcc_lo, s31, v3, vcc_lo
	s_ashr_i32 s35, s34, 31
	s_delay_alu instid0(SALU_CYCLE_1)
	s_lshl_b64 s[34:35], s[34:35], 1
	s_cmpk_lt_i32 s22, 0x1b00
	v_add_co_u32 v22, vcc_lo, v1, s34
	s_cselect_b32 s36, s42, 0xd00
	v_add_co_ci_u32_e32 v23, vcc_lo, s35, v3, vcc_lo
	s_ashr_i32 s37, s36, 31
	s_delay_alu instid0(SALU_CYCLE_1)
	;; [unrolled: 7-line block ×6, first 2 shown]
	s_lshl_b64 s[4:5], s[20:21], 1
	s_cmpk_lt_i32 s22, 0x2000
	v_add_co_u32 v32, vcc_lo, v1, s4
	s_cselect_b32 s6, s42, 0xf80
	v_add_co_ci_u32_e32 v33, vcc_lo, s5, v3, vcc_lo
	s_ashr_i32 s7, s6, 31
	s_delay_alu instid0(SALU_CYCLE_1) | instskip(NEXT) | instid1(SALU_CYCLE_1)
	s_lshl_b64 s[4:5], s[6:7], 1
	v_add_co_u32 v34, vcc_lo, v1, s4
	v_add_co_ci_u32_e32 v35, vcc_lo, s5, v3, vcc_lo
	s_clause 0x7
	global_load_u16 v20, v[20:21], off
	global_load_u16 v21, v[22:23], off
	;; [unrolled: 1-line block ×8, first 2 shown]
	s_waitcnt vmcnt(15)
	v_cvt_f32_f16_e32 v35, v36
	s_waitcnt vmcnt(14)
	v_cvt_f32_f16_e32 v34, v37
	;; [unrolled: 2-line block ×16, first 2 shown]
.LBB282_11:
	ds_load_b128 v[36:39], v2
	ds_load_b128 v[40:43], v2 offset:16
	s_load_b64 s[0:1], s[0:1], 0x0
	s_and_b32 vcc_lo, exec_lo, s8
	s_waitcnt lgkmcnt(0)
	v_fma_mix_f32 v7, v36, v7, 0 op_sel_hi:[0,1,0]
	s_delay_alu instid0(VALU_DEP_1) | instskip(NEXT) | instid1(VALU_DEP_1)
	v_fma_mix_f32 v7, v37, v8, v7 op_sel_hi:[0,1,0]
	v_fma_mix_f32 v7, v38, v9, v7 op_sel_hi:[0,1,0]
	s_delay_alu instid0(VALU_DEP_1) | instskip(SKIP_4) | instid1(VALU_DEP_1)
	v_fma_mix_f32 v7, v39, v10, v7 op_sel_hi:[0,1,0]
	ds_load_b128 v[36:39], v2 offset:48
	v_fma_mix_f32 v11, v40, v11, v7 op_sel_hi:[0,1,0]
	ds_load_b128 v[7:10], v2 offset:32
	v_fma_mix_f32 v4, v41, v4, v11 op_sel_hi:[0,1,0]
	v_fma_mix_f32 v4, v42, v5, v4 op_sel_hi:[0,1,0]
	s_delay_alu instid0(VALU_DEP_1) | instskip(SKIP_1) | instid1(VALU_DEP_1)
	v_fma_mix_f32 v4, v43, v6, v4 op_sel_hi:[0,1,0]
	s_waitcnt lgkmcnt(0)
	v_fma_mix_f32 v4, v7, v14, v4 op_sel_hi:[0,1,0]
	s_delay_alu instid0(VALU_DEP_1) | instskip(NEXT) | instid1(VALU_DEP_1)
	v_fma_mix_f32 v4, v8, v15, v4 op_sel_hi:[0,1,0]
	v_fma_mix_f32 v4, v9, v16, v4 op_sel_hi:[0,1,0]
	s_delay_alu instid0(VALU_DEP_1) | instskip(NEXT) | instid1(VALU_DEP_1)
	v_fma_mix_f32 v4, v10, v17, v4 op_sel_hi:[0,1,0]
	;; [unrolled: 3-line block ×3, first 2 shown]
	v_fma_mix_f32 v4, v38, v13, v4 op_sel_hi:[0,1,0]
	s_delay_alu instid0(VALU_DEP_1)
	v_fma_mix_f32 v4, v39, v19, v4 op_sel_hi:[0,1,0]
	s_cbranch_vccz .LBB282_13
; %bb.12:
	ds_load_b128 v[5:8], v2 offset:64
	ds_load_b128 v[9:12], v2 offset:80
	s_waitcnt lgkmcnt(1)
	v_fmac_f32_e32 v4, v5, v35
	s_delay_alu instid0(VALU_DEP_1) | instskip(NEXT) | instid1(VALU_DEP_1)
	v_fmac_f32_e32 v4, v6, v34
	v_fmac_f32_e32 v4, v7, v33
	s_delay_alu instid0(VALU_DEP_1) | instskip(SKIP_3) | instid1(VALU_DEP_1)
	v_fmac_f32_e32 v4, v8, v32
	ds_load_b128 v[5:8], v2 offset:96
	s_waitcnt lgkmcnt(1)
	v_fmac_f32_e32 v4, v9, v31
	v_fmac_f32_e32 v4, v10, v30
	s_delay_alu instid0(VALU_DEP_1) | instskip(NEXT) | instid1(VALU_DEP_1)
	v_fmac_f32_e32 v4, v11, v29
	v_fmac_f32_e32 v4, v12, v28
	ds_load_b128 v[9:12], v2 offset:112
	s_waitcnt lgkmcnt(1)
	v_fmac_f32_e32 v4, v5, v27
	s_delay_alu instid0(VALU_DEP_1) | instskip(NEXT) | instid1(VALU_DEP_1)
	v_fmac_f32_e32 v4, v6, v26
	v_fmac_f32_e32 v4, v7, v25
	s_delay_alu instid0(VALU_DEP_1) | instskip(SKIP_1) | instid1(VALU_DEP_1)
	v_fmac_f32_e32 v4, v8, v24
	s_waitcnt lgkmcnt(0)
	v_fmac_f32_e32 v4, v9, v23
	s_delay_alu instid0(VALU_DEP_1) | instskip(NEXT) | instid1(VALU_DEP_1)
	v_fmac_f32_e32 v4, v10, v22
	v_fmac_f32_e32 v4, v11, v21
	s_delay_alu instid0(VALU_DEP_1)
	v_fmac_f32_e32 v4, v12, v20
.LBB282_13:
	s_movk_i32 s43, 0x1f80
	s_movk_i32 s44, 0x80
	s_mov_b32 s45, 32
	s_branch .LBB282_15
.LBB282_14:                             ;   in Loop: Header=BB282_15 Depth=1
	s_addk_i32 s43, 0x1000
	s_addk_i32 s44, 0x80
	s_add_i32 s45, s45, 32
	s_cmpk_eq_u32 s43, 0xdf80
	s_cbranch_scc1 .LBB282_17
.LBB282_15:                             ; =>This Inner Loop Header: Depth=1
	s_cmp_le_i32 s40, s45
	s_cbranch_scc1 .LBB282_14
; %bb.16:                               ;   in Loop: Header=BB282_15 Depth=1
	s_add_i32 s4, s43, 0xfffff080
	v_mov_b32_e32 v44, s44
	s_cmp_lt_i32 s4, s41
	s_cselect_b32 s4, s4, s42
	s_add_i32 s6, s43, 0xfffff100
	s_ashr_i32 s5, s4, 31
	s_delay_alu instid0(SALU_CYCLE_1)
	s_lshl_b64 s[4:5], s[4:5], 1
	s_cmp_lt_i32 s6, s41
	v_add_co_u32 v5, vcc_lo, v1, s4
	s_cselect_b32 s6, s6, s42
	s_add_i32 s10, s43, 0xfffff180
	s_ashr_i32 s7, s6, 31
	v_add_co_ci_u32_e32 v6, vcc_lo, s5, v3, vcc_lo
	s_lshl_b64 s[8:9], s[6:7], 1
	s_cmp_lt_i32 s10, s41
	v_add_co_u32 v7, vcc_lo, v1, s8
	s_cselect_b32 s6, s10, s42
	s_add_i32 s10, s43, 0xfffff200
	s_ashr_i32 s7, s6, 31
	v_add_co_ci_u32_e32 v8, vcc_lo, s9, v3, vcc_lo
	;; [unrolled: 7-line block ×8, first 2 shown]
	s_lshl_b64 s[24:25], s[20:21], 1
	s_cmp_lt_i32 s28, s41
	s_clause 0x7
	global_load_u16 v2, v[5:6], off
	global_load_u16 v21, v[7:8], off
	;; [unrolled: 1-line block ×8, first 2 shown]
	s_cselect_b32 s20, s28, s42
	s_add_i32 s28, s43, 0xfffff580
	s_ashr_i32 s21, s20, 31
	v_add_co_u32 v5, vcc_lo, v1, s24
	s_lshl_b64 s[20:21], s[20:21], 1
	s_cmp_lt_i32 s28, s41
	v_add_co_ci_u32_e32 v6, vcc_lo, s25, v3, vcc_lo
	s_cselect_b32 s28, s28, s42
	s_add_i32 s36, s43, 0xfffff600
	s_ashr_i32 s29, s28, 31
	v_add_co_u32 v7, vcc_lo, v1, s20
	s_lshl_b64 s[30:31], s[28:29], 1
	s_cmp_lt_i32 s36, s41
	v_add_co_ci_u32_e32 v8, vcc_lo, s21, v3, vcc_lo
	;; [unrolled: 7-line block ×8, first 2 shown]
	s_cselect_b32 s10, s10, s42
	s_add_i32 s18, s43, 0xfffff980
	s_ashr_i32 s11, s10, 31
	s_clause 0x7
	global_load_u16 v28, v[5:6], off
	global_load_u16 v29, v[7:8], off
	;; [unrolled: 1-line block ×8, first 2 shown]
	s_lshl_b64 s[10:11], s[10:11], 1
	s_cmp_lt_i32 s18, s41
	v_add_co_u32 v5, vcc_lo, v1, s4
	s_cselect_b32 s18, s18, s42
	s_add_i32 s22, s43, 0xfffffa00
	s_ashr_i32 s19, s18, 31
	v_add_co_ci_u32_e32 v6, vcc_lo, s5, v3, vcc_lo
	s_lshl_b64 s[18:19], s[18:19], 1
	s_cmp_lt_i32 s22, s41
	v_add_co_u32 v7, vcc_lo, v1, s10
	s_cselect_b32 s20, s22, s42
	s_add_i32 s22, s43, 0xfffffa80
	s_ashr_i32 s21, s20, 31
	v_add_co_ci_u32_e32 v8, vcc_lo, s11, v3, vcc_lo
	;; [unrolled: 7-line block ×5, first 2 shown]
	s_lshl_b64 s[6:7], s[6:7], 1
	s_cmp_lt_i32 s24, s41
	s_clause 0x4
	global_load_u16 v19, v[5:6], off
	global_load_u16 v20, v[7:8], off
	;; [unrolled: 1-line block ×5, first 2 shown]
	s_cselect_b32 s4, s24, s42
	s_add_i32 s10, s43, 0xfffffc80
	s_ashr_i32 s5, s4, 31
	v_add_co_u32 v5, vcc_lo, v1, s8
	s_lshl_b64 s[4:5], s[4:5], 1
	s_cmp_lt_i32 s10, s41
	v_add_co_ci_u32_e32 v6, vcc_lo, s9, v3, vcc_lo
	s_cselect_b32 s10, s10, s42
	s_add_i32 s18, s43, 0xfffffd00
	s_ashr_i32 s11, s10, 31
	v_add_co_u32 v7, vcc_lo, v1, s6
	s_lshl_b64 s[10:11], s[10:11], 1
	s_cmp_lt_i32 s18, s41
	v_add_co_ci_u32_e32 v8, vcc_lo, s7, v3, vcc_lo
	s_cselect_b32 s18, s18, s42
	s_add_i32 s20, s43, 0xfffffd80
	s_ashr_i32 s19, s18, 31
	v_add_co_u32 v9, vcc_lo, v1, s4
	s_lshl_b64 s[18:19], s[18:19], 1
	s_cmp_lt_i32 s20, s41
	global_load_u16 v37, v[5:6], off
	s_cselect_b32 s8, s20, s42
	s_add_i32 s20, s43, 0xfffffe00
	s_ashr_i32 s9, s8, 31
	v_add_co_ci_u32_e32 v10, vcc_lo, s5, v3, vcc_lo
	s_lshl_b64 s[6:7], s[8:9], 1
	s_cmp_lt_i32 s20, s41
	v_add_co_u32 v11, vcc_lo, v1, s10
	s_cselect_b32 s4, s20, s42
	s_clause 0x1
	global_load_u16 v38, v[7:8], off
	global_load_u16 v39, v[9:10], off
	v_add_co_ci_u32_e32 v12, vcc_lo, s11, v3, vcc_lo
	s_ashr_i32 s5, s4, 31
	s_add_i32 s8, s43, 0xfffffe80
	v_add_co_u32 v13, vcc_lo, v1, s18
	s_lshl_b64 s[4:5], s[4:5], 1
	s_cmp_lt_i32 s8, s41
	v_add_co_ci_u32_e32 v14, vcc_lo, s19, v3, vcc_lo
	v_add_co_u32 v15, vcc_lo, v1, s6
	s_cselect_b32 s8, s8, s42
	v_add_co_ci_u32_e32 v16, vcc_lo, s7, v3, vcc_lo
	s_ashr_i32 s9, s8, 31
	s_add_i32 s10, s43, 0xffffff00
	s_lshl_b64 s[6:7], s[8:9], 1
	s_clause 0x2
	global_load_u16 v40, v[11:12], off
	global_load_u16 v13, v[13:14], off
	;; [unrolled: 1-line block ×3, first 2 shown]
	s_cmp_lt_i32 s10, s41
	v_add_co_u32 v5, vcc_lo, v1, s4
	s_cselect_b32 s8, s10, s42
	s_add_i32 s10, s43, 0xffffff80
	s_ashr_i32 s9, s8, 31
	v_add_co_ci_u32_e32 v6, vcc_lo, s5, v3, vcc_lo
	s_lshl_b64 s[8:9], s[8:9], 1
	s_cmp_lt_i32 s10, s41
	v_add_co_u32 v7, vcc_lo, v1, s6
	s_cselect_b32 s4, s10, s42
	v_add_co_ci_u32_e32 v8, vcc_lo, s7, v3, vcc_lo
	s_ashr_i32 s5, s4, 31
	v_add_co_u32 v9, vcc_lo, v1, s8
	global_load_u16 v15, v[5:6], off
	s_lshl_b64 s[4:5], s[4:5], 1
	v_add_co_ci_u32_e32 v10, vcc_lo, s9, v3, vcc_lo
	s_cmp_lt_i32 s43, s41
	s_clause 0x1
	global_load_u16 v16, v[7:8], off
	global_load_u16 v41, v[9:10], off
	s_cselect_b32 s6, s43, s42
	v_add_co_u32 v5, vcc_lo, v1, s4
	s_ashr_i32 s7, s6, 31
	v_add_co_ci_u32_e32 v6, vcc_lo, s5, v3, vcc_lo
	s_lshl_b64 s[4:5], s[6:7], 1
	s_delay_alu instid0(SALU_CYCLE_1)
	v_add_co_u32 v7, vcc_lo, v1, s4
	v_add_co_ci_u32_e32 v8, vcc_lo, s5, v3, vcc_lo
	s_clause 0x1
	global_load_u16 v42, v[5:6], off
	global_load_u16 v43, v[7:8], off
	ds_load_b128 v[5:8], v44
	ds_load_b128 v[9:12], v44 offset:16
	s_waitcnt vmcnt(31) lgkmcnt(1)
	v_fma_mix_f32 v2, v5, v2, v4 op_sel_hi:[0,1,0]
	s_waitcnt vmcnt(30)
	s_delay_alu instid0(VALU_DEP_1) | instskip(SKIP_1) | instid1(VALU_DEP_1)
	v_fma_mix_f32 v2, v6, v21, v2 op_sel_hi:[0,1,0]
	s_waitcnt vmcnt(29)
	v_fma_mix_f32 v2, v7, v22, v2 op_sel_hi:[0,1,0]
	ds_load_b128 v[4:7], v44 offset:32
	s_waitcnt vmcnt(28)
	v_fma_mix_f32 v2, v8, v23, v2 op_sel_hi:[0,1,0]
	s_waitcnt vmcnt(27) lgkmcnt(1)
	s_delay_alu instid0(VALU_DEP_1) | instskip(SKIP_1) | instid1(VALU_DEP_1)
	v_fma_mix_f32 v2, v9, v24, v2 op_sel_hi:[0,1,0]
	s_waitcnt vmcnt(26)
	v_fma_mix_f32 v2, v10, v25, v2 op_sel_hi:[0,1,0]
	s_waitcnt vmcnt(25)
	s_delay_alu instid0(VALU_DEP_1) | instskip(SKIP_4) | instid1(VALU_DEP_1)
	v_fma_mix_f32 v2, v11, v26, v2 op_sel_hi:[0,1,0]
	ds_load_b128 v[8:11], v44 offset:48
	s_waitcnt vmcnt(24)
	v_fma_mix_f32 v2, v12, v27, v2 op_sel_hi:[0,1,0]
	s_waitcnt vmcnt(23) lgkmcnt(1)
	v_fma_mix_f32 v2, v4, v28, v2 op_sel_hi:[0,1,0]
	s_waitcnt vmcnt(22)
	s_delay_alu instid0(VALU_DEP_1) | instskip(SKIP_1) | instid1(VALU_DEP_1)
	v_fma_mix_f32 v2, v5, v29, v2 op_sel_hi:[0,1,0]
	s_waitcnt vmcnt(21)
	v_fma_mix_f32 v2, v6, v30, v2 op_sel_hi:[0,1,0]
	s_waitcnt vmcnt(20)
	s_delay_alu instid0(VALU_DEP_1) | instskip(SKIP_4) | instid1(VALU_DEP_1)
	v_fma_mix_f32 v2, v7, v31, v2 op_sel_hi:[0,1,0]
	ds_load_b128 v[4:7], v44 offset:64
	s_waitcnt vmcnt(19) lgkmcnt(1)
	v_fma_mix_f32 v2, v8, v32, v2 op_sel_hi:[0,1,0]
	s_waitcnt vmcnt(18)
	v_fma_mix_f32 v2, v9, v33, v2 op_sel_hi:[0,1,0]
	s_waitcnt vmcnt(17)
	s_delay_alu instid0(VALU_DEP_1) | instskip(SKIP_1) | instid1(VALU_DEP_1)
	v_fma_mix_f32 v2, v10, v17, v2 op_sel_hi:[0,1,0]
	s_waitcnt vmcnt(16)
	v_fma_mix_f32 v2, v11, v18, v2 op_sel_hi:[0,1,0]
	ds_load_b128 v[8:11], v44 offset:80
	s_waitcnt vmcnt(15) lgkmcnt(1)
	v_fma_mix_f32 v2, v4, v19, v2 op_sel_hi:[0,1,0]
	s_waitcnt vmcnt(14)
	s_delay_alu instid0(VALU_DEP_1) | instskip(SKIP_1) | instid1(VALU_DEP_1)
	v_fma_mix_f32 v2, v5, v20, v2 op_sel_hi:[0,1,0]
	s_waitcnt vmcnt(13)
	v_fma_mix_f32 v2, v6, v34, v2 op_sel_hi:[0,1,0]
	s_waitcnt vmcnt(12)
	s_delay_alu instid0(VALU_DEP_1) | instskip(SKIP_4) | instid1(VALU_DEP_1)
	v_fma_mix_f32 v2, v7, v35, v2 op_sel_hi:[0,1,0]
	ds_load_b128 v[4:7], v44 offset:96
	s_waitcnt vmcnt(11) lgkmcnt(1)
	v_fma_mix_f32 v2, v8, v36, v2 op_sel_hi:[0,1,0]
	s_waitcnt vmcnt(10)
	v_fma_mix_f32 v2, v9, v37, v2 op_sel_hi:[0,1,0]
	s_waitcnt vmcnt(9)
	s_delay_alu instid0(VALU_DEP_1) | instskip(SKIP_1) | instid1(VALU_DEP_1)
	v_fma_mix_f32 v2, v10, v38, v2 op_sel_hi:[0,1,0]
	s_waitcnt vmcnt(8)
	v_fma_mix_f32 v2, v11, v39, v2 op_sel_hi:[0,1,0]
	ds_load_b128 v[8:11], v44 offset:112
	s_waitcnt vmcnt(7) lgkmcnt(1)
	v_fma_mix_f32 v2, v4, v40, v2 op_sel_hi:[0,1,0]
	s_waitcnt vmcnt(6)
	s_delay_alu instid0(VALU_DEP_1) | instskip(SKIP_1) | instid1(VALU_DEP_1)
	v_fma_mix_f32 v2, v5, v13, v2 op_sel_hi:[0,1,0]
	s_waitcnt vmcnt(5)
	v_fma_mix_f32 v2, v6, v14, v2 op_sel_hi:[0,1,0]
	s_waitcnt vmcnt(4)
	s_delay_alu instid0(VALU_DEP_1) | instskip(SKIP_1) | instid1(VALU_DEP_1)
	v_fma_mix_f32 v2, v7, v15, v2 op_sel_hi:[0,1,0]
	s_waitcnt vmcnt(3) lgkmcnt(0)
	v_fma_mix_f32 v2, v8, v16, v2 op_sel_hi:[0,1,0]
	s_waitcnt vmcnt(2)
	s_delay_alu instid0(VALU_DEP_1) | instskip(SKIP_1) | instid1(VALU_DEP_1)
	v_fma_mix_f32 v2, v9, v41, v2 op_sel_hi:[0,1,0]
	s_waitcnt vmcnt(1)
	v_fma_mix_f32 v2, v10, v42, v2 op_sel_hi:[0,1,0]
	s_waitcnt vmcnt(0)
	s_delay_alu instid0(VALU_DEP_1)
	v_fma_mix_f32 v4, v11, v43, v2 op_sel_hi:[0,1,0]
	s_branch .LBB282_14
.LBB282_17:
	v_mov_b32_e32 v1, 0
	s_and_b32 vcc_lo, exec_lo, s15
	ds_load_b32 v1, v1 offset:1664
	s_cbranch_vccz .LBB282_19
; %bb.18:
	s_add_u32 s2, s12, s16
	s_addc_u32 s3, s13, s17
	s_load_b32 s2, s[2:3], 0x0
	s_mov_b32 s3, 0
.LBB282_19:
	s_waitcnt lgkmcnt(0)
	v_add_f32_e32 v1, 0x358637bd, v1
	s_mul_i32 s3, s33, s3
	s_mul_hi_u32 s4, s33, s2
	s_mul_i32 s2, s33, s2
	s_add_i32 s3, s4, s3
	v_div_scale_f32 v2, null, v1, v1, 1.0
	s_lshl_b64 s[2:3], s[2:3], 8
	s_mov_b32 s15, 0
	s_add_u32 s2, s0, s2
	s_delay_alu instid0(VALU_DEP_1) | instskip(SKIP_2) | instid1(SALU_CYCLE_1)
	v_rcp_f32_e32 v3, v2
	s_addc_u32 s3, s1, s3
	s_lshl_b64 s[0:1], s[14:15], 8
	s_add_u32 s0, s2, s0
	s_addc_u32 s1, s3, s1
	s_waitcnt_depctr 0xfff
	v_fma_f32 v5, -v2, v3, 1.0
	s_delay_alu instid0(VALU_DEP_1) | instskip(SKIP_1) | instid1(VALU_DEP_1)
	v_fmac_f32_e32 v3, v5, v3
	v_div_scale_f32 v5, vcc_lo, 1.0, v1, 1.0
	v_mul_f32_e32 v6, v5, v3
	s_delay_alu instid0(VALU_DEP_1) | instskip(NEXT) | instid1(VALU_DEP_1)
	v_fma_f32 v7, -v2, v6, v5
	v_fmac_f32_e32 v6, v7, v3
	s_delay_alu instid0(VALU_DEP_1) | instskip(NEXT) | instid1(VALU_DEP_1)
	v_fma_f32 v2, -v2, v6, v5
	v_div_fmas_f32 v2, v2, v3, v6
	s_delay_alu instid0(VALU_DEP_1) | instskip(NEXT) | instid1(VALU_DEP_1)
	v_div_fixup_f32 v1, v2, v1, 1.0
	v_fma_mixlo_f16 v1, v4, v1, 0
	global_store_b16 v0, v1, s[0:1]
	s_nop 0
	s_sendmsg sendmsg(MSG_DEALLOC_VGPRS)
	s_endpgm
.LBB282_20:
	s_mov_b32 s4, 0
	s_branch .LBB282_2
	.section	.rodata,"a",@progbits
	.p2align	6, 0x0
	.amdhsa_kernel _Z35paged_attention_ll4mi_reduce_kernelIDF16_DF16_Li128ELi128ELi256ELi13EEvPT0_PKfS3_PKT_PKiS8_iS3_
		.amdhsa_group_segment_fixed_size 1668
		.amdhsa_private_segment_fixed_size 0
		.amdhsa_kernarg_size 320
		.amdhsa_user_sgpr_count 14
		.amdhsa_user_sgpr_dispatch_ptr 0
		.amdhsa_user_sgpr_queue_ptr 0
		.amdhsa_user_sgpr_kernarg_segment_ptr 1
		.amdhsa_user_sgpr_dispatch_id 0
		.amdhsa_user_sgpr_private_segment_size 0
		.amdhsa_wavefront_size32 1
		.amdhsa_uses_dynamic_stack 0
		.amdhsa_enable_private_segment 0
		.amdhsa_system_sgpr_workgroup_id_x 1
		.amdhsa_system_sgpr_workgroup_id_y 1
		.amdhsa_system_sgpr_workgroup_id_z 0
		.amdhsa_system_sgpr_workgroup_info 0
		.amdhsa_system_vgpr_workitem_id 0
		.amdhsa_next_free_vgpr 68
		.amdhsa_next_free_sgpr 47
		.amdhsa_reserve_vcc 1
		.amdhsa_float_round_mode_32 0
		.amdhsa_float_round_mode_16_64 0
		.amdhsa_float_denorm_mode_32 3
		.amdhsa_float_denorm_mode_16_64 3
		.amdhsa_dx10_clamp 1
		.amdhsa_ieee_mode 1
		.amdhsa_fp16_overflow 0
		.amdhsa_workgroup_processor_mode 1
		.amdhsa_memory_ordered 1
		.amdhsa_forward_progress 0
		.amdhsa_shared_vgpr_count 0
		.amdhsa_exception_fp_ieee_invalid_op 0
		.amdhsa_exception_fp_denorm_src 0
		.amdhsa_exception_fp_ieee_div_zero 0
		.amdhsa_exception_fp_ieee_overflow 0
		.amdhsa_exception_fp_ieee_underflow 0
		.amdhsa_exception_fp_ieee_inexact 0
		.amdhsa_exception_int_div_zero 0
	.end_amdhsa_kernel
	.section	.text._Z35paged_attention_ll4mi_reduce_kernelIDF16_DF16_Li128ELi128ELi256ELi13EEvPT0_PKfS3_PKT_PKiS8_iS3_,"axG",@progbits,_Z35paged_attention_ll4mi_reduce_kernelIDF16_DF16_Li128ELi128ELi256ELi13EEvPT0_PKfS3_PKT_PKiS8_iS3_,comdat
.Lfunc_end282:
	.size	_Z35paged_attention_ll4mi_reduce_kernelIDF16_DF16_Li128ELi128ELi256ELi13EEvPT0_PKfS3_PKT_PKiS8_iS3_, .Lfunc_end282-_Z35paged_attention_ll4mi_reduce_kernelIDF16_DF16_Li128ELi128ELi256ELi13EEvPT0_PKfS3_PKT_PKiS8_iS3_
                                        ; -- End function
	.section	.AMDGPU.csdata,"",@progbits
; Kernel info:
; codeLenInByte = 7556
; NumSgprs: 49
; NumVgprs: 68
; ScratchSize: 0
; MemoryBound: 0
; FloatMode: 240
; IeeeMode: 1
; LDSByteSize: 1668 bytes/workgroup (compile time only)
; SGPRBlocks: 6
; VGPRBlocks: 8
; NumSGPRsForWavesPerEU: 49
; NumVGPRsForWavesPerEU: 68
; Occupancy: 16
; WaveLimiterHint : 0
; COMPUTE_PGM_RSRC2:SCRATCH_EN: 0
; COMPUTE_PGM_RSRC2:USER_SGPR: 14
; COMPUTE_PGM_RSRC2:TRAP_HANDLER: 0
; COMPUTE_PGM_RSRC2:TGID_X_EN: 1
; COMPUTE_PGM_RSRC2:TGID_Y_EN: 1
; COMPUTE_PGM_RSRC2:TGID_Z_EN: 0
; COMPUTE_PGM_RSRC2:TIDIG_COMP_CNT: 0
	.section	.text._Z35paged_attention_ll4mi_reduce_kernelIDF16_DF16_Li128ELi128ELi256ELi14EEvPT0_PKfS3_PKT_PKiS8_iS3_,"axG",@progbits,_Z35paged_attention_ll4mi_reduce_kernelIDF16_DF16_Li128ELi128ELi256ELi14EEvPT0_PKfS3_PKT_PKiS8_iS3_,comdat
	.protected	_Z35paged_attention_ll4mi_reduce_kernelIDF16_DF16_Li128ELi128ELi256ELi14EEvPT0_PKfS3_PKT_PKiS8_iS3_ ; -- Begin function _Z35paged_attention_ll4mi_reduce_kernelIDF16_DF16_Li128ELi128ELi256ELi14EEvPT0_PKfS3_PKT_PKiS8_iS3_
	.globl	_Z35paged_attention_ll4mi_reduce_kernelIDF16_DF16_Li128ELi128ELi256ELi14EEvPT0_PKfS3_PKT_PKiS8_iS3_
	.p2align	8
	.type	_Z35paged_attention_ll4mi_reduce_kernelIDF16_DF16_Li128ELi128ELi256ELi14EEvPT0_PKfS3_PKT_PKiS8_iS3_,@function
_Z35paged_attention_ll4mi_reduce_kernelIDF16_DF16_Li128ELi128ELi256ELi14EEvPT0_PKfS3_PKT_PKiS8_iS3_: ; @_Z35paged_attention_ll4mi_reduce_kernelIDF16_DF16_Li128ELi128ELi256ELi14EEvPT0_PKfS3_PKT_PKiS8_iS3_
; %bb.0:
	s_load_b64 s[12:13], s[0:1], 0x28
	s_mov_b32 s2, s15
	s_waitcnt lgkmcnt(0)
	s_cmp_lg_u64 s[12:13], 0
	s_cselect_b32 s15, -1, 0
	s_delay_alu instid0(SALU_CYCLE_1)
	s_and_b32 vcc_lo, exec_lo, s15
	s_cbranch_vccz .LBB283_20
; %bb.1:
	s_add_i32 s4, s2, 1
	s_mov_b32 s5, 0
	s_delay_alu instid0(SALU_CYCLE_1) | instskip(SKIP_4) | instid1(SALU_CYCLE_1)
	s_lshl_b64 s[6:7], s[4:5], 2
	s_mov_b32 s3, s5
	s_add_u32 s6, s12, s6
	s_addc_u32 s7, s13, s7
	s_lshl_b64 s[8:9], s[2:3], 2
	s_add_u32 s8, s12, s8
	s_addc_u32 s9, s13, s9
	s_clause 0x1
	s_load_b32 s4, s[6:7], 0x0
	s_load_b32 s6, s[8:9], 0x0
	s_waitcnt lgkmcnt(0)
	s_sub_i32 s4, s4, s6
	s_delay_alu instid0(SALU_CYCLE_1)
	s_cmp_eq_u32 s4, 1
	s_cselect_b32 s4, -1, 0
	s_cbranch_execnz .LBB283_3
.LBB283_2:
	s_mov_b32 s3, 0
	s_mov_b32 s4, -1
.LBB283_3:
	s_delay_alu instid0(SALU_CYCLE_1)
	s_and_not1_b32 vcc_lo, exec_lo, s4
	s_cbranch_vccz .LBB283_5
; %bb.4:
	s_endpgm
.LBB283_5:
	s_clause 0x1
	s_load_b128 s[4:7], s[0:1], 0x18
	s_load_b32 s9, s[0:1], 0x30
	s_lshl_b64 s[16:17], s[2:3], 2
	s_waitcnt lgkmcnt(0)
	s_add_u32 s6, s6, s16
	s_addc_u32 s7, s7, s17
	s_load_b32 s23, s[6:7], 0x0
	s_load_b32 s33, s[0:1], 0x40
	s_mul_i32 s7, s2, s9
	s_waitcnt lgkmcnt(0)
	s_add_i32 s22, s23, 0xff
	s_delay_alu instid0(SALU_CYCLE_1) | instskip(NEXT) | instid1(SALU_CYCLE_1)
	s_ashr_i32 s6, s22, 31
	s_lshr_b32 s6, s6, 24
	s_delay_alu instid0(SALU_CYCLE_1) | instskip(SKIP_4) | instid1(SALU_CYCLE_1)
	s_add_i32 s8, s22, s6
	s_mul_i32 s6, s14, s9
	s_mov_b32 s9, exec_lo
	v_cmpx_lt_u32_e32 31, v0
	s_xor_b32 s9, exec_lo, s9
	s_or_saveexec_b32 s24, s9
	v_mov_b32_e32 v1, s6
	s_ashr_i32 s40, s8, 8
	s_mul_i32 s18, s7, s33
	s_xor_b32 exec_lo, exec_lo, s24
	s_cbranch_execz .LBB283_9
; %bb.6:
	v_or_b32_e32 v2, 32, v0
	v_cmp_gt_i32_e32 vcc_lo, s40, v0
	s_add_i32 s20, s40, -1
	v_or_b32_e32 v4, 64, v0
	v_or_b32_e32 v6, 0x80, v0
	s_load_b128 s[8:11], s[0:1], 0x8
	v_cndmask_b32_e32 v1, s20, v0, vcc_lo
	v_cmp_gt_i32_e32 vcc_lo, s40, v2
	s_mov_b32 s19, 0
	s_delay_alu instid0(SALU_CYCLE_1) | instskip(SKIP_4) | instid1(VALU_DEP_3)
	s_mov_b32 s7, s19
	v_cndmask_b32_e32 v3, s20, v2, vcc_lo
	v_or_b32_e32 v2, 0x60, v0
	v_cmp_gt_i32_e32 vcc_lo, s40, v4
	v_cndmask_b32_e32 v5, s20, v4, vcc_lo
	v_cmp_gt_i32_e32 vcc_lo, s40, v2
	v_or_b32_e32 v4, 0xa0, v0
	v_cndmask_b32_e32 v7, s20, v2, vcc_lo
	v_cmp_gt_i32_e32 vcc_lo, s40, v6
	v_or_b32_e32 v2, 0xc0, v0
	s_delay_alu instid0(VALU_DEP_3) | instskip(SKIP_3) | instid1(VALU_DEP_3)
	v_ashrrev_i32_e32 v8, 31, v7
	v_cndmask_b32_e32 v9, s20, v6, vcc_lo
	v_cmp_gt_i32_e32 vcc_lo, s40, v4
	v_or_b32_e32 v6, 0x100, v0
	v_ashrrev_i32_e32 v10, 31, v9
	v_cndmask_b32_e32 v11, s20, v4, vcc_lo
	v_or_b32_e32 v4, 0xe0, v0
	v_cmp_gt_i32_e32 vcc_lo, s40, v2
	s_delay_alu instid0(VALU_DEP_3) | instskip(SKIP_1) | instid1(VALU_DEP_4)
	v_ashrrev_i32_e32 v12, 31, v11
	v_cndmask_b32_e32 v13, s20, v2, vcc_lo
	v_cmp_gt_i32_e32 vcc_lo, s40, v4
	v_or_b32_e32 v2, 0x120, v0
	s_delay_alu instid0(VALU_DEP_3) | instskip(SKIP_3) | instid1(VALU_DEP_3)
	v_ashrrev_i32_e32 v14, 31, v13
	v_cndmask_b32_e32 v15, s20, v4, vcc_lo
	v_cmp_gt_i32_e32 vcc_lo, s40, v6
	v_or_b32_e32 v4, 0x140, v0
	v_ashrrev_i32_e32 v16, 31, v15
	v_cndmask_b32_e32 v17, s20, v6, vcc_lo
	v_cmp_gt_i32_e32 vcc_lo, s40, v2
	v_or_b32_e32 v6, 0x180, v0
	s_delay_alu instid0(VALU_DEP_3) | instskip(SKIP_3) | instid1(VALU_DEP_3)
	v_ashrrev_i32_e32 v18, 31, v17
	v_cndmask_b32_e32 v19, s20, v2, vcc_lo
	v_or_b32_e32 v2, 0x160, v0
	v_cmp_gt_i32_e32 vcc_lo, s40, v4
	v_ashrrev_i32_e32 v20, 31, v19
	v_cndmask_b32_e32 v21, s20, v4, vcc_lo
	s_delay_alu instid0(VALU_DEP_4) | instskip(SKIP_1) | instid1(VALU_DEP_3)
	v_cmp_gt_i32_e32 vcc_lo, s40, v2
	v_or_b32_e32 v4, 0x1a0, v0
	v_ashrrev_i32_e32 v22, 31, v21
	v_cndmask_b32_e32 v23, s20, v2, vcc_lo
	v_cmp_gt_i32_e32 vcc_lo, s40, v6
	v_ashrrev_i32_e32 v2, 31, v1
	s_delay_alu instid0(VALU_DEP_3) | instskip(SKIP_2) | instid1(VALU_DEP_4)
	v_ashrrev_i32_e32 v24, 31, v23
	v_cndmask_b32_e32 v25, s20, v6, vcc_lo
	v_cmp_gt_i32_e32 vcc_lo, s40, v4
	v_lshlrev_b64 v[29:30], 2, v[1:2]
	v_ashrrev_i32_e32 v6, 31, v5
	s_delay_alu instid0(VALU_DEP_4)
	v_ashrrev_i32_e32 v26, 31, v25
	v_cndmask_b32_e32 v27, s20, v4, vcc_lo
	v_ashrrev_i32_e32 v4, 31, v3
	s_lshl_b64 s[20:21], s[18:19], 2
	s_waitcnt lgkmcnt(0)
	s_add_u32 s19, s10, s20
	s_addc_u32 s25, s11, s21
	s_lshl_b64 s[10:11], s[6:7], 2
	v_lshlrev_b64 v[31:32], 2, v[3:4]
	s_add_u32 s7, s19, s10
	s_addc_u32 s19, s25, s11
	v_add_co_u32 v1, vcc_lo, s7, v29
	v_lshlrev_b64 v[4:5], 2, v[5:6]
	v_add_co_ci_u32_e32 v2, vcc_lo, s19, v30, vcc_lo
	v_add_co_u32 v33, vcc_lo, s7, v31
	v_lshlrev_b64 v[6:7], 2, v[7:8]
	v_add_co_ci_u32_e32 v34, vcc_lo, s19, v32, vcc_lo
	;; [unrolled: 3-line block ×6, first 2 shown]
	v_add_co_u32 v43, vcc_lo, s7, v12
	v_add_co_ci_u32_e32 v44, vcc_lo, s19, v13, vcc_lo
	s_delay_alu instid0(VALU_DEP_4)
	v_add_co_u32 v45, vcc_lo, s7, v14
	v_add_co_ci_u32_e32 v46, vcc_lo, s19, v15, vcc_lo
	s_clause 0x7
	global_load_b32 v47, v[1:2], off
	global_load_b32 v48, v[33:34], off
	;; [unrolled: 1-line block ×8, first 2 shown]
	v_lshlrev_b64 v[16:17], 2, v[17:18]
	v_lshlrev_b64 v[18:19], 2, v[19:20]
	;; [unrolled: 1-line block ×4, first 2 shown]
	v_ashrrev_i32_e32 v28, 31, v27
	v_lshlrev_b64 v[24:25], 2, v[25:26]
	v_add_co_u32 v1, vcc_lo, s7, v16
	v_add_co_ci_u32_e32 v2, vcc_lo, s19, v17, vcc_lo
	v_add_co_u32 v33, vcc_lo, s7, v18
	v_add_co_ci_u32_e32 v34, vcc_lo, s19, v19, vcc_lo
	;; [unrolled: 2-line block ×3, first 2 shown]
	v_add_co_u32 v37, vcc_lo, s7, v22
	v_lshlrev_b64 v[26:27], 2, v[27:28]
	v_add_co_ci_u32_e32 v38, vcc_lo, s19, v23, vcc_lo
	s_clause 0x3
	global_load_b32 v43, v[1:2], off
	global_load_b32 v44, v[33:34], off
	;; [unrolled: 1-line block ×4, first 2 shown]
	v_add_co_u32 v1, vcc_lo, s7, v24
	v_add_co_ci_u32_e32 v2, vcc_lo, s19, v25, vcc_lo
	v_add_co_u32 v33, vcc_lo, s7, v26
	v_add_co_ci_u32_e32 v34, vcc_lo, s19, v27, vcc_lo
	s_clause 0x1
	global_load_b32 v37, v[1:2], off
	global_load_b32 v33, v[33:34], off
	v_mbcnt_lo_u32_b32 v34, -1, 0
	s_add_u32 s7, s8, s20
	s_addc_u32 s8, s9, s21
	s_add_u32 s7, s7, s10
	s_addc_u32 s8, s8, s11
	v_xor_b32_e32 v3, 8, v34
	v_xor_b32_e32 v28, 4, v34
	s_waitcnt vmcnt(12)
	v_dual_max_f32 v2, v47, v47 :: v_dual_max_f32 v1, v48, v48
	s_delay_alu instid0(VALU_DEP_1) | instskip(SKIP_2) | instid1(VALU_DEP_2)
	v_max_f32_e32 v1, v2, v1
	v_xor_b32_e32 v2, 16, v34
	s_waitcnt vmcnt(10)
	v_max3_f32 v1, v1, v49, v50
	s_delay_alu instid0(VALU_DEP_2) | instskip(SKIP_1) | instid1(VALU_DEP_2)
	v_cmp_gt_i32_e32 vcc_lo, 32, v2
	s_waitcnt vmcnt(8)
	v_max3_f32 v1, v1, v39, v40
	v_cndmask_b32_e32 v2, v34, v2, vcc_lo
	v_cmp_gt_i32_e32 vcc_lo, 32, v3
	s_waitcnt vmcnt(6)
	s_delay_alu instid0(VALU_DEP_3) | instskip(NEXT) | instid1(VALU_DEP_3)
	v_max3_f32 v1, v1, v41, v42
	v_dual_cndmask_b32 v38, v34, v3 :: v_dual_lshlrev_b32 v3, 2, v2
	v_cmp_gt_i32_e32 vcc_lo, 32, v28
	s_waitcnt vmcnt(4)
	s_delay_alu instid0(VALU_DEP_3) | instskip(SKIP_2) | instid1(VALU_DEP_2)
	v_max3_f32 v1, v1, v43, v44
	v_cndmask_b32_e32 v28, v34, v28, vcc_lo
	s_waitcnt vmcnt(2)
	v_max3_f32 v45, v1, v35, v36
	v_lshlrev_b32_e32 v1, 2, v38
	s_delay_alu instid0(VALU_DEP_3)
	v_lshlrev_b32_e32 v2, 2, v28
	v_add_co_u32 v28, vcc_lo, s7, v29
	v_add_co_ci_u32_e32 v29, vcc_lo, s8, v30, vcc_lo
	v_add_co_u32 v30, vcc_lo, s7, v31
	s_waitcnt vmcnt(0)
	v_max3_f32 v38, v45, v37, v33
	v_add_co_ci_u32_e32 v31, vcc_lo, s8, v32, vcc_lo
	s_clause 0x1
	global_load_b32 v28, v[28:29], off
	global_load_b32 v29, v[30:31], off
	ds_bpermute_b32 v45, v3, v38
	v_add_co_u32 v4, vcc_lo, s7, v4
	v_add_co_ci_u32_e32 v5, vcc_lo, s8, v5, vcc_lo
	v_add_co_u32 v6, vcc_lo, s7, v6
	v_add_co_ci_u32_e32 v7, vcc_lo, s8, v7, vcc_lo
	;; [unrolled: 2-line block ×3, first 2 shown]
	global_load_b32 v31, v[4:5], off
	v_add_co_u32 v4, vcc_lo, s7, v10
	v_add_co_ci_u32_e32 v5, vcc_lo, s8, v11, vcc_lo
	global_load_b32 v11, v[6:7], off
	v_add_co_u32 v6, vcc_lo, s7, v12
	s_waitcnt lgkmcnt(0)
	v_max_f32_e32 v30, v45, v45
	v_add_co_ci_u32_e32 v7, vcc_lo, s8, v13, vcc_lo
	global_load_b32 v12, v[8:9], off
	v_add_co_u32 v8, vcc_lo, s7, v14
	v_max_f32_e32 v30, v38, v30
	s_clause 0x1
	global_load_b32 v13, v[4:5], off
	global_load_b32 v14, v[6:7], off
	v_add_co_ci_u32_e32 v9, vcc_lo, s8, v15, vcc_lo
	ds_bpermute_b32 v10, v1, v30
	v_add_co_u32 v15, vcc_lo, s7, v16
	v_add_co_ci_u32_e32 v16, vcc_lo, s8, v17, vcc_lo
	v_add_co_u32 v6, vcc_lo, s7, v18
	v_add_co_ci_u32_e32 v7, vcc_lo, s8, v19, vcc_lo
	global_load_b32 v4, v[8:9], off
	v_add_co_u32 v8, vcc_lo, s7, v20
	v_add_co_ci_u32_e32 v9, vcc_lo, s8, v21, vcc_lo
	v_xor_b32_e32 v18, 2, v34
	s_waitcnt lgkmcnt(0)
	v_max_f32_e32 v5, v10, v10
	s_delay_alu instid0(VALU_DEP_1)
	v_max_f32_e32 v17, v30, v5
	s_clause 0x2
	global_load_b32 v5, v[15:16], off
	global_load_b32 v6, v[6:7], off
	;; [unrolled: 1-line block ×3, first 2 shown]
	v_add_co_u32 v8, vcc_lo, s7, v22
	v_add_co_ci_u32_e32 v9, vcc_lo, s8, v23, vcc_lo
	ds_bpermute_b32 v10, v2, v17
	global_load_b32 v16, v[8:9], off
	v_add_co_u32 v8, vcc_lo, s7, v24
	v_add_co_ci_u32_e32 v9, vcc_lo, s8, v25, vcc_lo
	v_cmp_gt_i32_e32 vcc_lo, 32, v18
	global_load_b32 v15, v[8:9], off
	v_cndmask_b32_e32 v8, v34, v18, vcc_lo
	v_add_co_u32 v9, vcc_lo, s7, v26
	s_mov_b32 s7, exec_lo
	s_delay_alu instid0(VALU_DEP_2) | instskip(SKIP_3) | instid1(VALU_DEP_2)
	v_lshlrev_b32_e32 v8, 2, v8
	s_waitcnt lgkmcnt(0)
	v_max_f32_e32 v18, v10, v10
	v_add_co_ci_u32_e32 v10, vcc_lo, s8, v27, vcc_lo
	v_max_f32_e32 v17, v17, v18
	global_load_b32 v9, v[9:10], off
	v_xor_b32_e32 v18, 1, v34
	ds_bpermute_b32 v10, v8, v17
	v_cmp_gt_i32_e32 vcc_lo, 32, v18
	v_cndmask_b32_e32 v18, v34, v18, vcc_lo
	s_waitcnt lgkmcnt(0)
	v_max_f32_e32 v19, v10, v10
	s_delay_alu instid0(VALU_DEP_1) | instskip(SKIP_3) | instid1(VALU_DEP_1)
	v_dual_max_f32 v17, v17, v19 :: v_dual_lshlrev_b32 v10, 2, v18
	ds_bpermute_b32 v18, v10, v17
	s_waitcnt lgkmcnt(0)
	v_max_f32_e32 v18, v18, v18
	v_max_f32_e32 v17, v17, v18
	v_sub_nc_u32_e32 v18, s40, v0
	s_delay_alu instid0(VALU_DEP_2) | instskip(NEXT) | instid1(VALU_DEP_1)
	v_sub_f32_e32 v22, v50, v17
	v_mul_f32_e32 v38, 0x3fb8aa3b, v22
	s_delay_alu instid0(VALU_DEP_1) | instskip(SKIP_1) | instid1(VALU_DEP_2)
	v_rndne_f32_e32 v56, v38
	v_fma_f32 v55, 0x3fb8aa3b, v22, -v38
	v_sub_f32_e32 v38, v38, v56
	v_sub_f32_e32 v26, v42, v17
	;; [unrolled: 1-line block ×6, first 2 shown]
	v_mul_f32_e32 v42, 0x3fb8aa3b, v26
	v_mul_f32_e32 v46, 0x3fb8aa3b, v34
	v_sub_f32_e32 v30, v44, v17
	v_sub_f32_e32 v23, v39, v17
	;; [unrolled: 1-line block ×3, first 2 shown]
	v_rndne_f32_e32 v64, v42
	v_sub_f32_e32 v35, v37, v17
	v_fma_f32 v71, 0x3fb8aa3b, v34, -v46
	v_rndne_f32_e32 v72, v46
	v_dual_mul_f32 v37, 0x3fb8aa3b, v21 :: v_dual_mul_f32 v44, 0x3fb8aa3b, v30
	v_sub_f32_e32 v19, v47, v17
	s_delay_alu instid0(VALU_DEP_3) | instskip(NEXT) | instid1(VALU_DEP_3)
	v_dual_fmac_f32 v71, 0x32a5705f, v34 :: v_dual_sub_f32 v46, v46, v72
	v_rndne_f32_e32 v54, v37
	v_fma_f32 v53, 0x3fb8aa3b, v21, -v37
	v_mul_f32_e32 v40, 0x3fb8aa3b, v24
	v_rndne_f32_e32 v68, v44
	s_delay_alu instid0(VALU_DEP_4) | instskip(SKIP_1) | instid1(VALU_DEP_4)
	v_dual_add_f32 v46, v46, v71 :: v_dual_sub_f32 v37, v37, v54
	v_sub_f32_e32 v20, v48, v17
	v_fma_f32 v59, 0x3fb8aa3b, v24, -v40
	v_rndne_f32_e32 v60, v40
	s_delay_alu instid0(VALU_DEP_4)
	v_exp_f32_e32 v46, v46
	v_sub_f32_e32 v27, v43, v17
	v_sub_f32_e32 v17, v33, v17
	v_fma_f32 v67, 0x3fb8aa3b, v30, -v44
	v_dual_sub_f32 v44, v44, v68 :: v_dual_mul_f32 v33, 0x3fb8aa3b, v19
	v_cvt_i32_f32_e32 v72, v72
	s_delay_alu instid0(VALU_DEP_4)
	v_mul_f32_e32 v48, 0x3fb8aa3b, v17
	v_sub_f32_e32 v40, v40, v60
	v_mul_f32_e32 v36, 0x3fb8aa3b, v20
	v_rndne_f32_e32 v50, v33
	v_ldexp_f32 v46, v46, v72
	v_fmac_f32_e32 v59, 0x32a5705f, v24
	v_fma_f32 v49, 0x3fb8aa3b, v19, -v33
	v_fma_f32 v63, 0x3fb8aa3b, v26, -v42
	v_sub_f32_e32 v33, v33, v50
	v_cvt_i32_f32_e32 v60, v60
	v_add_f32_e32 v40, v40, v59
	v_fma_f32 v51, 0x3fb8aa3b, v20, -v36
	v_rndne_f32_e32 v52, v36
	v_dual_fmac_f32 v63, 0x32a5705f, v26 :: v_dual_sub_f32 v42, v42, v64
	s_delay_alu instid0(VALU_DEP_4) | instskip(SKIP_4) | instid1(VALU_DEP_4)
	v_exp_f32_e32 v40, v40
	v_fmac_f32_e32 v67, 0x32a5705f, v30
	v_fmac_f32_e32 v51, 0x32a5705f, v20
	v_sub_f32_e32 v36, v36, v52
	v_dual_add_f32 v42, v42, v63 :: v_dual_fmac_f32 v53, 0x32a5705f, v21
	v_dual_add_f32 v44, v44, v67 :: v_dual_mul_f32 v41, 0x3fb8aa3b, v25
	s_delay_alu instid0(VALU_DEP_3) | instskip(SKIP_1) | instid1(TRANS32_DEP_1)
	v_add_f32_e32 v36, v36, v51
	v_fma_f32 v75, 0x3fb8aa3b, v17, -v48
	v_ldexp_f32 v40, v40, v60
	v_fmac_f32_e32 v49, 0x32a5705f, v19
	v_rndne_f32_e32 v76, v48
	v_mul_f32_e32 v39, 0x3fb8aa3b, v23
	v_exp_f32_e32 v42, v42
	v_exp_f32_e32 v44, v44
	v_add_f32_e32 v33, v33, v49
	v_cvt_i32_f32_e32 v50, v50
	v_cvt_i32_f32_e32 v64, v64
	;; [unrolled: 1-line block ×3, first 2 shown]
	v_fmac_f32_e32 v75, 0x32a5705f, v17
	v_exp_f32_e32 v33, v33
	v_sub_f32_e32 v48, v48, v76
	v_fma_f32 v57, 0x3fb8aa3b, v23, -v39
	v_rndne_f32_e32 v58, v39
	v_fmac_f32_e32 v55, 0x32a5705f, v22
	v_add_f32_e32 v37, v37, v53
	v_exp_f32_e32 v36, v36
	v_cvt_i32_f32_e32 v52, v52
	v_dual_add_f32 v48, v48, v75 :: v_dual_mul_f32 v45, 0x3fb8aa3b, v32
	v_add_f32_e32 v38, v38, v55
	v_exp_f32_e32 v37, v37
	v_ldexp_f32 v33, v33, v50
	v_ldexp_f32 v42, v42, v64
	v_fmac_f32_e32 v57, 0x32a5705f, v23
	v_ldexp_f32 v44, v44, v68
	v_sub_f32_e32 v39, v39, v58
	v_cmp_ngt_f32_e32 vcc_lo, 0xc2ce8ed0, v19
	v_cvt_i32_f32_e32 v54, v54
	v_exp_f32_e32 v38, v38
	v_ldexp_f32 v36, v36, v52
	v_add_f32_e32 v39, v39, v57
	v_cndmask_b32_e32 v33, 0, v33, vcc_lo
	v_cmp_ngt_f32_e32 vcc_lo, 0xc2ce8ed0, v20
	v_mul_f32_e32 v43, 0x3fb8aa3b, v27
	v_cvt_i32_f32_e32 v56, v56
	v_exp_f32_e32 v39, v39
	v_ldexp_f32 v37, v37, v54
	v_cndmask_b32_e32 v36, 0, v36, vcc_lo
	v_cmp_ngt_f32_e32 vcc_lo, 0xc2ce8ed0, v21
	v_fma_f32 v61, 0x3fb8aa3b, v25, -v41
	v_rndne_f32_e32 v62, v41
	v_cvt_i32_f32_e32 v58, v58
	v_ldexp_f32 v38, v38, v56
	v_cndmask_b32_e32 v37, 0, v37, vcc_lo
	v_cmp_ngt_f32_e32 vcc_lo, 0xc2ce8ed0, v22
	v_mul_f32_e32 v47, 0x3fb8aa3b, v35
	v_fmac_f32_e32 v61, 0x32a5705f, v25
	v_sub_f32_e32 v41, v41, v62
	v_ldexp_f32 v39, v39, v58
	v_cndmask_b32_e32 v38, 0, v38, vcc_lo
	v_cmp_ngt_f32_e32 vcc_lo, 0xc2ce8ed0, v23
	v_fma_f32 v65, 0x3fb8aa3b, v27, -v43
	v_rndne_f32_e32 v66, v43
	v_add_f32_e32 v41, v41, v61
	v_cvt_i32_f32_e32 v62, v62
	v_cndmask_b32_e32 v39, 0, v39, vcc_lo
	v_cmp_ngt_f32_e32 vcc_lo, 0xc2ce8ed0, v24
	v_fmac_f32_e32 v65, 0x32a5705f, v27
	v_exp_f32_e32 v41, v41
	v_fma_f32 v69, 0x3fb8aa3b, v32, -v45
	v_rndne_f32_e32 v70, v45
	v_dual_cndmask_b32 v40, 0, v40 :: v_dual_sub_f32 v43, v43, v66
	v_cmp_ngt_f32_e32 vcc_lo, 0xc2ce8ed0, v25
	v_cvt_i32_f32_e32 v66, v66
	v_fmac_f32_e32 v69, 0x32a5705f, v32
	v_rndne_f32_e32 v74, v47
	v_add_f32_e32 v43, v43, v65
	s_delay_alu instid0(TRANS32_DEP_1) | instskip(SKIP_2) | instid1(VALU_DEP_3)
	v_ldexp_f32 v41, v41, v62
	v_fma_f32 v73, 0x3fb8aa3b, v35, -v47
	v_exp_f32_e32 v48, v48
	v_exp_f32_e32 v43, v43
	s_delay_alu instid0(VALU_DEP_2)
	v_cndmask_b32_e32 v41, 0, v41, vcc_lo
	v_cmp_ngt_f32_e32 vcc_lo, 0xc2ce8ed0, v26
	v_cndmask_b32_e32 v42, 0, v42, vcc_lo
	v_cmp_ngt_f32_e32 vcc_lo, 0xc2ce8ed0, v27
	s_waitcnt_depctr 0xfff
	v_ldexp_f32 v43, v43, v66
	s_delay_alu instid0(VALU_DEP_1) | instskip(SKIP_4) | instid1(VALU_DEP_3)
	v_cndmask_b32_e32 v43, 0, v43, vcc_lo
	v_cmp_ngt_f32_e32 vcc_lo, 0xc2ce8ed0, v30
	v_dual_cndmask_b32 v44, 0, v44 :: v_dual_sub_f32 v45, v45, v70
	v_cvt_i32_f32_e32 v70, v70
	v_cmp_ngt_f32_e32 vcc_lo, 0xc2ce8ed0, v32
	v_add_f32_e32 v45, v45, v69
	s_delay_alu instid0(VALU_DEP_1) | instskip(SKIP_2) | instid1(VALU_DEP_1)
	v_exp_f32_e32 v45, v45
	s_waitcnt_depctr 0xfff
	v_ldexp_f32 v45, v45, v70
	v_cndmask_b32_e32 v45, 0, v45, vcc_lo
	v_cmp_ngt_f32_e32 vcc_lo, 0xc2ce8ed0, v34
	v_cndmask_b32_e32 v46, 0, v46, vcc_lo
	v_cmp_nlt_f32_e32 vcc_lo, 0x42b17218, v19
	v_cndmask_b32_e32 v19, 0x7f800000, v33, vcc_lo
	v_cmp_nlt_f32_e32 vcc_lo, 0x42b17218, v20
	;; [unrolled: 2-line block ×6, first 2 shown]
	v_cndmask_b32_e32 v24, 0x7f800000, v40, vcc_lo
	v_cmp_lt_i32_e32 vcc_lo, 0, v18
	v_cndmask_b32_e32 v19, 0, v19, vcc_lo
	v_cmp_lt_i32_e32 vcc_lo, 32, v18
	s_waitcnt vmcnt(13)
	s_delay_alu instid0(VALU_DEP_2) | instskip(SKIP_2) | instid1(VALU_DEP_2)
	v_dual_mul_f32 v19, v28, v19 :: v_dual_cndmask_b32 v20, 0, v20
	v_cmp_nlt_f32_e32 vcc_lo, 0x42b17218, v25
	s_waitcnt vmcnt(12)
	v_dual_mul_f32 v20, v29, v20 :: v_dual_cndmask_b32 v25, 0x7f800000, v41
	v_cmp_lt_i32_e32 vcc_lo, 64, v18
	s_delay_alu instid0(VALU_DEP_2) | instskip(SKIP_2) | instid1(VALU_DEP_2)
	v_dual_add_f32 v28, v19, v20 :: v_dual_cndmask_b32 v21, 0, v21
	v_cmp_nlt_f32_e32 vcc_lo, 0x42b17218, v26
	s_waitcnt vmcnt(11)
	v_dual_mul_f32 v21, v31, v21 :: v_dual_cndmask_b32 v26, 0x7f800000, v42
	v_cmp_lt_i32_e32 vcc_lo, 0x60, v18
	v_cndmask_b32_e32 v22, 0, v22, vcc_lo
	v_cmp_nlt_f32_e32 vcc_lo, 0x42b17218, v27
	s_waitcnt vmcnt(10)
	s_delay_alu instid0(VALU_DEP_2) | instskip(SKIP_4) | instid1(VALU_DEP_2)
	v_mul_f32_e32 v11, v11, v22
	v_cndmask_b32_e32 v27, 0x7f800000, v43, vcc_lo
	v_cmp_lt_i32_e32 vcc_lo, 0x80, v18
	v_dual_add_f32 v22, v28, v21 :: v_dual_cndmask_b32 v23, 0, v23
	v_cmp_nlt_f32_e32 vcc_lo, 0x42b17218, v30
	v_dual_sub_f32 v47, v47, v74 :: v_dual_add_f32 v22, v22, v11
	v_cvt_i32_f32_e32 v74, v74
	s_waitcnt vmcnt(9)
	v_mul_f32_e32 v12, v12, v23
	v_cndmask_b32_e32 v28, 0x7f800000, v44, vcc_lo
	v_cmp_lt_i32_e32 vcc_lo, 0xa0, v18
	s_delay_alu instid0(VALU_DEP_3) | instskip(SKIP_3) | instid1(VALU_DEP_2)
	v_dual_fmac_f32 v73, 0x32a5705f, v35 :: v_dual_add_f32 v22, v22, v12
	v_cndmask_b32_e32 v24, 0, v24, vcc_lo
	v_cmp_nlt_f32_e32 vcc_lo, 0x42b17218, v32
	s_waitcnt vmcnt(8)
	v_mul_f32_e32 v13, v13, v24
	v_cndmask_b32_e32 v23, 0x7f800000, v45, vcc_lo
	v_cmp_lt_i32_e32 vcc_lo, 0xc0, v18
	s_delay_alu instid0(VALU_DEP_3) | instskip(SKIP_3) | instid1(VALU_DEP_2)
	v_add_f32_e32 v22, v22, v13
	v_cndmask_b32_e32 v25, 0, v25, vcc_lo
	v_cmp_lt_i32_e32 vcc_lo, 0xe0, v18
	s_waitcnt vmcnt(7)
	v_mul_f32_e32 v14, v14, v25
	v_cndmask_b32_e32 v24, 0, v26, vcc_lo
	v_cmp_lt_i32_e32 vcc_lo, 0x100, v18
	s_delay_alu instid0(VALU_DEP_3) | instskip(SKIP_1) | instid1(VALU_DEP_3)
	v_add_f32_e32 v22, v22, v14
	s_waitcnt vmcnt(6)
	v_mul_f32_e32 v4, v4, v24
	v_cndmask_b32_e32 v26, 0, v27, vcc_lo
	v_cmp_lt_i32_e32 vcc_lo, 0x120, v18
	s_waitcnt vmcnt(5)
	s_delay_alu instid0(VALU_DEP_2) | instskip(SKIP_2) | instid1(VALU_DEP_3)
	v_dual_add_f32 v22, v22, v4 :: v_dual_mul_f32 v5, v5, v26
	v_cndmask_b32_e32 v25, 0, v28, vcc_lo
	v_cmp_lt_i32_e32 vcc_lo, 0x140, v18
	v_add_f32_e32 v22, v22, v5
	s_waitcnt vmcnt(4)
	s_delay_alu instid0(VALU_DEP_3)
	v_dual_mul_f32 v6, v6, v25 :: v_dual_cndmask_b32 v23, 0, v23
	v_cmp_nlt_f32_e32 vcc_lo, 0x42b17218, v34
	v_add_f32_e32 v47, v47, v73
	v_cvt_i32_f32_e32 v25, v76
	s_waitcnt vmcnt(3)
	v_dual_add_f32 v22, v22, v6 :: v_dual_mul_f32 v7, v7, v23
	v_cndmask_b32_e32 v24, 0x7f800000, v46, vcc_lo
	v_exp_f32_e32 v47, v47
	v_cmp_ngt_f32_e32 vcc_lo, 0xc2ce8ed0, v35
	s_delay_alu instid0(VALU_DEP_3) | instskip(SKIP_2) | instid1(VALU_DEP_1)
	v_add_f32_e32 v22, v22, v7
	s_waitcnt_depctr 0xfff
	v_ldexp_f32 v47, v47, v74
	v_cndmask_b32_e32 v23, 0, v47, vcc_lo
	v_cmp_lt_i32_e32 vcc_lo, 0x160, v18
	v_cndmask_b32_e32 v24, 0, v24, vcc_lo
	v_cmp_nlt_f32_e32 vcc_lo, 0x42b17218, v35
	s_waitcnt vmcnt(2)
	s_delay_alu instid0(VALU_DEP_2) | instskip(SKIP_2) | instid1(VALU_DEP_3)
	v_dual_mul_f32 v16, v16, v24 :: v_dual_cndmask_b32 v23, 0x7f800000, v23
	v_cmp_lt_i32_e32 vcc_lo, 0x180, v18
	v_ldexp_f32 v24, v48, v25
	v_dual_add_f32 v22, v22, v16 :: v_dual_cndmask_b32 v23, 0, v23
	v_cmp_ngt_f32_e32 vcc_lo, 0xc2ce8ed0, v17
	s_waitcnt vmcnt(1)
	s_delay_alu instid0(VALU_DEP_2) | instskip(SKIP_1) | instid1(VALU_DEP_2)
	v_dual_mul_f32 v15, v15, v23 :: v_dual_cndmask_b32 v24, 0, v24
	v_cmp_nlt_f32_e32 vcc_lo, 0x42b17218, v17
	v_cndmask_b32_e32 v17, 0x7f800000, v24, vcc_lo
	v_cmp_lt_i32_e32 vcc_lo, 0x1a0, v18
	s_delay_alu instid0(VALU_DEP_2) | instskip(SKIP_1) | instid1(VALU_DEP_1)
	v_dual_add_f32 v18, v22, v15 :: v_dual_cndmask_b32 v17, 0, v17
	s_waitcnt vmcnt(0)
	v_fmac_f32_e32 v18, v9, v17
	ds_bpermute_b32 v3, v3, v18
	s_waitcnt lgkmcnt(0)
	v_add_f32_e32 v3, v18, v3
	ds_bpermute_b32 v1, v1, v3
	s_waitcnt lgkmcnt(0)
	v_add_f32_e32 v1, v3, v1
	v_lshlrev_b32_e32 v3, 2, v0
	ds_bpermute_b32 v2, v2, v1
	ds_store_2addr_b32 v3, v19, v20 offset1:32
	s_waitcnt lgkmcnt(1)
	v_add_f32_e32 v1, v1, v2
	ds_bpermute_b32 v2, v8, v1
	v_dual_mul_f32 v8, v9, v17 :: v_dual_add_nc_u32 v9, 0x400, v3
	ds_store_2addr_b32 v3, v21, v11 offset0:64 offset1:96
	ds_store_2addr_b32 v3, v12, v13 offset0:128 offset1:160
	;; [unrolled: 1-line block ×3, first 2 shown]
	ds_store_2addr_b32 v9, v5, v6 offset1:32
	ds_store_2addr_b32 v9, v7, v16 offset0:64 offset1:96
	ds_store_2addr_b32 v9, v15, v8 offset0:128 offset1:160
	s_waitcnt lgkmcnt(6)
	v_add_f32_e32 v1, v1, v2
	ds_bpermute_b32 v2, v10, v1
	v_cmpx_eq_u32_e32 0, v0
	s_cbranch_execz .LBB283_8
; %bb.7:
	s_waitcnt lgkmcnt(0)
	v_dual_add_f32 v1, v1, v2 :: v_dual_mov_b32 v2, 0
	ds_store_b32 v2, v1 offset:1792
.LBB283_8:
	s_or_b32 exec_lo, exec_lo, s7
	v_mov_b32_e32 v1, s6
.LBB283_9:
	s_or_b32 exec_lo, exec_lo, s24
	s_lshl_b32 s6, s18, 7
	s_mov_b32 s7, 0
	s_waitcnt lgkmcnt(0)
	v_dual_mov_b32 v2, 0 :: v_dual_lshlrev_b32 v1, 7, v1
	s_lshl_b64 s[6:7], s[6:7], 1
	v_lshlrev_b32_e32 v0, 1, v0
	s_add_u32 s34, s4, s6
	s_addc_u32 s35, s5, s7
	s_lshl_b32 s41, s40, 7
	v_lshlrev_b64 v[3:4], 1, v[1:2]
	s_add_i32 s42, s41, 0xffffff80
	s_cmpk_lt_i32 s22, 0x100
	v_dual_mov_b32 v30, 0 :: v_dual_mov_b32 v33, 0
	s_cselect_b32 s4, s42, 0
	s_delay_alu instid0(VALU_DEP_2)
	v_add_co_u32 v1, vcc_lo, s34, v3
	s_ashr_i32 s5, s4, 31
	v_add_co_ci_u32_e32 v3, vcc_lo, s35, v4, vcc_lo
	s_lshl_b64 s[4:5], s[4:5], 1
	s_cmpk_lt_i32 s22, 0x200
	v_add_co_u32 v1, vcc_lo, v1, v0
	s_cselect_b32 s6, s42, 0x80
	v_add_co_ci_u32_e32 v3, vcc_lo, 0, v3, vcc_lo
	s_ashr_i32 s7, s6, 31
	s_delay_alu instid0(VALU_DEP_2)
	v_add_co_u32 v4, vcc_lo, v1, s4
	s_lshl_b64 s[6:7], s[6:7], 1
	s_cmpk_lt_i32 s22, 0x300
	v_add_co_ci_u32_e32 v5, vcc_lo, s5, v3, vcc_lo
	s_cselect_b32 s8, s42, 0x100
	v_add_co_u32 v8, vcc_lo, v1, s6
	s_ashr_i32 s9, s8, 31
	v_add_co_ci_u32_e32 v9, vcc_lo, s7, v3, vcc_lo
	s_lshl_b64 s[8:9], s[8:9], 1
	s_cmpk_lt_i32 s22, 0x400
	v_add_co_u32 v10, vcc_lo, v1, s8
	s_cselect_b32 s10, s42, 0x180
	v_add_co_ci_u32_e32 v11, vcc_lo, s9, v3, vcc_lo
	s_ashr_i32 s11, s10, 31
	v_dual_mov_b32 v32, 0 :: v_dual_mov_b32 v35, 0
	s_lshl_b64 s[10:11], s[10:11], 1
	s_cmpk_lt_i32 s22, 0x500
	v_add_co_u32 v12, vcc_lo, v1, s10
	s_cselect_b32 s18, s42, 0x200
	v_add_co_ci_u32_e32 v13, vcc_lo, s11, v3, vcc_lo
	s_ashr_i32 s19, s18, 31
	v_mov_b32_e32 v34, 0
	s_lshl_b64 s[18:19], s[18:19], 1
	s_cmpk_lt_i32 s22, 0x600
	v_add_co_u32 v14, vcc_lo, v1, s18
	s_cselect_b32 s20, s42, 0x280
	v_add_co_ci_u32_e32 v15, vcc_lo, s19, v3, vcc_lo
	s_ashr_i32 s21, s20, 31
	v_mov_b32_e32 v29, 0
	;; [unrolled: 7-line block ×3, first 2 shown]
	s_lshl_b64 s[24:25], s[24:25], 1
	s_cmpk_lt_i32 s22, 0x800
	v_add_co_u32 v18, vcc_lo, v1, s24
	s_cselect_b32 s26, s42, 0x380
	v_add_co_ci_u32_e32 v19, vcc_lo, s25, v3, vcc_lo
	s_ashr_i32 s27, s26, 31
	s_delay_alu instid0(SALU_CYCLE_1)
	s_lshl_b64 s[26:27], s[26:27], 1
	s_cmpk_lt_i32 s22, 0x900
	v_add_co_u32 v20, vcc_lo, v1, s26
	s_cselect_b32 s28, s42, 0x400
	v_add_co_ci_u32_e32 v21, vcc_lo, s27, v3, vcc_lo
	s_ashr_i32 s29, s28, 31
	s_clause 0x7
	global_load_u16 v7, v[4:5], off
	global_load_u16 v8, v[8:9], off
	;; [unrolled: 1-line block ×8, first 2 shown]
	s_lshl_b64 s[28:29], s[28:29], 1
	s_cmpk_lt_i32 s22, 0xa00
	v_add_co_u32 v12, vcc_lo, v1, s28
	s_cselect_b32 s30, s42, 0x480
	v_add_co_ci_u32_e32 v13, vcc_lo, s29, v3, vcc_lo
	s_ashr_i32 s31, s30, 31
	s_delay_alu instid0(SALU_CYCLE_1)
	s_lshl_b64 s[30:31], s[30:31], 1
	s_cmpk_lt_i32 s22, 0xb00
	v_add_co_u32 v15, vcc_lo, v1, s30
	s_cselect_b32 s34, s42, 0x500
	v_add_co_ci_u32_e32 v16, vcc_lo, s31, v3, vcc_lo
	s_ashr_i32 s35, s34, 31
	s_delay_alu instid0(SALU_CYCLE_1)
	;; [unrolled: 7-line block ×7, first 2 shown]
	s_lshl_b64 s[4:5], s[6:7], 1
	s_cmpk_gt_i32 s23, 0x1000
	v_add_co_u32 v27, vcc_lo, v1, s4
	v_add_co_ci_u32_e32 v28, vcc_lo, s5, v3, vcc_lo
	s_clause 0x7
	global_load_u16 v14, v[12:13], off
	global_load_u16 v15, v[15:16], off
	;; [unrolled: 1-line block ×8, first 2 shown]
	v_dual_mov_b32 v20, 0 :: v_dual_mov_b32 v23, 0
	v_dual_mov_b32 v21, 0 :: v_dual_mov_b32 v22, 0
	;; [unrolled: 1-line block ×4, first 2 shown]
	v_mov_b32_e32 v28, 0
	s_cselect_b32 s8, -1, 0
	s_cmpk_lt_i32 s23, 0x1001
	s_waitcnt vmcnt(0)
	s_barrier
	buffer_gl0_inv
	s_cbranch_scc1 .LBB283_11
; %bb.10:
	s_cmpk_lt_i32 s22, 0x1100
	s_cselect_b32 s4, s42, 0x800
	s_delay_alu instid0(SALU_CYCLE_1) | instskip(NEXT) | instid1(SALU_CYCLE_1)
	s_ashr_i32 s5, s4, 31
	s_lshl_b64 s[4:5], s[4:5], 1
	s_cmpk_lt_i32 s22, 0x1200
	v_add_co_u32 v20, vcc_lo, v1, s4
	s_cselect_b32 s6, s42, 0x880
	v_add_co_ci_u32_e32 v21, vcc_lo, s5, v3, vcc_lo
	s_ashr_i32 s7, s6, 31
	s_delay_alu instid0(SALU_CYCLE_1)
	s_lshl_b64 s[6:7], s[6:7], 1
	s_cmpk_lt_i32 s22, 0x1300
	v_add_co_u32 v22, vcc_lo, v1, s6
	s_cselect_b32 s10, s42, 0x900
	v_add_co_ci_u32_e32 v23, vcc_lo, s7, v3, vcc_lo
	s_ashr_i32 s11, s10, 31
	s_delay_alu instid0(SALU_CYCLE_1)
	s_lshl_b64 s[10:11], s[10:11], 1
	s_cmpk_lt_i32 s22, 0x1400
	v_add_co_u32 v24, vcc_lo, v1, s10
	s_cselect_b32 s18, s42, 0x980
	v_add_co_ci_u32_e32 v25, vcc_lo, s11, v3, vcc_lo
	s_ashr_i32 s19, s18, 31
	s_delay_alu instid0(SALU_CYCLE_1)
	s_lshl_b64 s[18:19], s[18:19], 1
	s_cmpk_lt_i32 s22, 0x1500
	v_add_co_u32 v26, vcc_lo, v1, s18
	s_cselect_b32 s20, s42, 0xa00
	v_add_co_ci_u32_e32 v27, vcc_lo, s19, v3, vcc_lo
	s_ashr_i32 s21, s20, 31
	s_delay_alu instid0(SALU_CYCLE_1)
	s_lshl_b64 s[20:21], s[20:21], 1
	s_cmpk_lt_i32 s22, 0x1600
	v_add_co_u32 v28, vcc_lo, v1, s20
	s_cselect_b32 s24, s42, 0xa80
	v_add_co_ci_u32_e32 v29, vcc_lo, s21, v3, vcc_lo
	s_ashr_i32 s25, s24, 31
	s_delay_alu instid0(SALU_CYCLE_1)
	s_lshl_b64 s[24:25], s[24:25], 1
	s_cmpk_lt_i32 s22, 0x1700
	v_add_co_u32 v30, vcc_lo, v1, s24
	s_cselect_b32 s26, s42, 0xb00
	v_add_co_ci_u32_e32 v31, vcc_lo, s25, v3, vcc_lo
	s_ashr_i32 s27, s26, 31
	s_delay_alu instid0(SALU_CYCLE_1)
	s_lshl_b64 s[26:27], s[26:27], 1
	s_cmpk_lt_i32 s22, 0x1800
	v_add_co_u32 v32, vcc_lo, v1, s26
	s_cselect_b32 s28, s42, 0xb80
	v_add_co_ci_u32_e32 v33, vcc_lo, s27, v3, vcc_lo
	s_ashr_i32 s29, s28, 31
	s_delay_alu instid0(SALU_CYCLE_1)
	s_lshl_b64 s[28:29], s[28:29], 1
	s_cmpk_lt_i32 s22, 0x1900
	v_add_co_u32 v34, vcc_lo, v1, s28
	s_cselect_b32 s30, s42, 0xc00
	v_add_co_ci_u32_e32 v35, vcc_lo, s29, v3, vcc_lo
	s_ashr_i32 s31, s30, 31
	s_clause 0x7
	global_load_u16 v36, v[20:21], off
	global_load_u16 v37, v[22:23], off
	;; [unrolled: 1-line block ×8, first 2 shown]
	s_lshl_b64 s[30:31], s[30:31], 1
	s_cmpk_lt_i32 s22, 0x1a00
	v_add_co_u32 v20, vcc_lo, v1, s30
	s_cselect_b32 s34, s42, 0xc80
	v_add_co_ci_u32_e32 v21, vcc_lo, s31, v3, vcc_lo
	s_ashr_i32 s35, s34, 31
	s_delay_alu instid0(SALU_CYCLE_1)
	s_lshl_b64 s[34:35], s[34:35], 1
	s_cmpk_lt_i32 s22, 0x1b00
	v_add_co_u32 v22, vcc_lo, v1, s34
	s_cselect_b32 s36, s42, 0xd00
	v_add_co_ci_u32_e32 v23, vcc_lo, s35, v3, vcc_lo
	s_ashr_i32 s37, s36, 31
	s_delay_alu instid0(SALU_CYCLE_1)
	;; [unrolled: 7-line block ×6, first 2 shown]
	s_lshl_b64 s[4:5], s[20:21], 1
	s_cmpk_lt_i32 s22, 0x2000
	v_add_co_u32 v32, vcc_lo, v1, s4
	s_cselect_b32 s6, s42, 0xf80
	v_add_co_ci_u32_e32 v33, vcc_lo, s5, v3, vcc_lo
	s_ashr_i32 s7, s6, 31
	s_delay_alu instid0(SALU_CYCLE_1) | instskip(NEXT) | instid1(SALU_CYCLE_1)
	s_lshl_b64 s[4:5], s[6:7], 1
	v_add_co_u32 v34, vcc_lo, v1, s4
	v_add_co_ci_u32_e32 v35, vcc_lo, s5, v3, vcc_lo
	s_clause 0x7
	global_load_u16 v20, v[20:21], off
	global_load_u16 v21, v[22:23], off
	global_load_u16 v22, v[24:25], off
	global_load_u16 v23, v[26:27], off
	global_load_u16 v44, v[28:29], off
	global_load_u16 v45, v[30:31], off
	global_load_u16 v46, v[32:33], off
	global_load_u16 v47, v[34:35], off
	s_waitcnt vmcnt(15)
	v_cvt_f32_f16_e32 v35, v36
	s_waitcnt vmcnt(14)
	v_cvt_f32_f16_e32 v34, v37
	;; [unrolled: 2-line block ×16, first 2 shown]
.LBB283_11:
	ds_load_b128 v[36:39], v2
	ds_load_b128 v[40:43], v2 offset:16
	s_load_b64 s[0:1], s[0:1], 0x0
	s_and_b32 vcc_lo, exec_lo, s8
	s_waitcnt lgkmcnt(0)
	v_fma_mix_f32 v7, v36, v7, 0 op_sel_hi:[0,1,0]
	s_delay_alu instid0(VALU_DEP_1) | instskip(NEXT) | instid1(VALU_DEP_1)
	v_fma_mix_f32 v7, v37, v8, v7 op_sel_hi:[0,1,0]
	v_fma_mix_f32 v7, v38, v9, v7 op_sel_hi:[0,1,0]
	s_delay_alu instid0(VALU_DEP_1) | instskip(SKIP_4) | instid1(VALU_DEP_1)
	v_fma_mix_f32 v7, v39, v10, v7 op_sel_hi:[0,1,0]
	ds_load_b128 v[36:39], v2 offset:48
	v_fma_mix_f32 v11, v40, v11, v7 op_sel_hi:[0,1,0]
	ds_load_b128 v[7:10], v2 offset:32
	v_fma_mix_f32 v4, v41, v4, v11 op_sel_hi:[0,1,0]
	v_fma_mix_f32 v4, v42, v5, v4 op_sel_hi:[0,1,0]
	s_delay_alu instid0(VALU_DEP_1) | instskip(SKIP_1) | instid1(VALU_DEP_1)
	v_fma_mix_f32 v4, v43, v6, v4 op_sel_hi:[0,1,0]
	s_waitcnt lgkmcnt(0)
	v_fma_mix_f32 v4, v7, v14, v4 op_sel_hi:[0,1,0]
	s_delay_alu instid0(VALU_DEP_1) | instskip(NEXT) | instid1(VALU_DEP_1)
	v_fma_mix_f32 v4, v8, v15, v4 op_sel_hi:[0,1,0]
	v_fma_mix_f32 v4, v9, v16, v4 op_sel_hi:[0,1,0]
	s_delay_alu instid0(VALU_DEP_1) | instskip(NEXT) | instid1(VALU_DEP_1)
	v_fma_mix_f32 v4, v10, v17, v4 op_sel_hi:[0,1,0]
	;; [unrolled: 3-line block ×3, first 2 shown]
	v_fma_mix_f32 v4, v38, v13, v4 op_sel_hi:[0,1,0]
	s_delay_alu instid0(VALU_DEP_1)
	v_fma_mix_f32 v4, v39, v19, v4 op_sel_hi:[0,1,0]
	s_cbranch_vccz .LBB283_13
; %bb.12:
	ds_load_b128 v[5:8], v2 offset:64
	ds_load_b128 v[9:12], v2 offset:80
	s_waitcnt lgkmcnt(1)
	v_fmac_f32_e32 v4, v5, v35
	s_delay_alu instid0(VALU_DEP_1) | instskip(NEXT) | instid1(VALU_DEP_1)
	v_fmac_f32_e32 v4, v6, v34
	v_fmac_f32_e32 v4, v7, v33
	s_delay_alu instid0(VALU_DEP_1) | instskip(SKIP_3) | instid1(VALU_DEP_1)
	v_fmac_f32_e32 v4, v8, v32
	ds_load_b128 v[5:8], v2 offset:96
	s_waitcnt lgkmcnt(1)
	v_fmac_f32_e32 v4, v9, v31
	v_fmac_f32_e32 v4, v10, v30
	s_delay_alu instid0(VALU_DEP_1) | instskip(NEXT) | instid1(VALU_DEP_1)
	v_fmac_f32_e32 v4, v11, v29
	v_fmac_f32_e32 v4, v12, v28
	ds_load_b128 v[9:12], v2 offset:112
	s_waitcnt lgkmcnt(1)
	v_fmac_f32_e32 v4, v5, v27
	s_delay_alu instid0(VALU_DEP_1) | instskip(NEXT) | instid1(VALU_DEP_1)
	v_fmac_f32_e32 v4, v6, v26
	v_fmac_f32_e32 v4, v7, v25
	s_delay_alu instid0(VALU_DEP_1) | instskip(SKIP_1) | instid1(VALU_DEP_1)
	v_fmac_f32_e32 v4, v8, v24
	s_waitcnt lgkmcnt(0)
	v_fmac_f32_e32 v4, v9, v23
	s_delay_alu instid0(VALU_DEP_1) | instskip(NEXT) | instid1(VALU_DEP_1)
	v_fmac_f32_e32 v4, v10, v22
	v_fmac_f32_e32 v4, v11, v21
	s_delay_alu instid0(VALU_DEP_1)
	v_fmac_f32_e32 v4, v12, v20
.LBB283_13:
	s_movk_i32 s43, 0x1f80
	s_movk_i32 s44, 0x80
	s_mov_b32 s45, 32
	s_branch .LBB283_15
.LBB283_14:                             ;   in Loop: Header=BB283_15 Depth=1
	s_addk_i32 s43, 0x1000
	s_addk_i32 s44, 0x80
	s_add_i32 s45, s45, 32
	s_cmpk_eq_u32 s43, 0xef80
	s_cbranch_scc1 .LBB283_17
.LBB283_15:                             ; =>This Inner Loop Header: Depth=1
	s_cmp_le_i32 s40, s45
	s_cbranch_scc1 .LBB283_14
; %bb.16:                               ;   in Loop: Header=BB283_15 Depth=1
	s_add_i32 s4, s43, 0xfffff080
	v_mov_b32_e32 v44, s44
	s_cmp_lt_i32 s4, s41
	s_cselect_b32 s4, s4, s42
	s_add_i32 s6, s43, 0xfffff100
	s_ashr_i32 s5, s4, 31
	s_delay_alu instid0(SALU_CYCLE_1)
	s_lshl_b64 s[4:5], s[4:5], 1
	s_cmp_lt_i32 s6, s41
	v_add_co_u32 v5, vcc_lo, v1, s4
	s_cselect_b32 s6, s6, s42
	s_add_i32 s10, s43, 0xfffff180
	s_ashr_i32 s7, s6, 31
	v_add_co_ci_u32_e32 v6, vcc_lo, s5, v3, vcc_lo
	s_lshl_b64 s[8:9], s[6:7], 1
	s_cmp_lt_i32 s10, s41
	v_add_co_u32 v7, vcc_lo, v1, s8
	s_cselect_b32 s6, s10, s42
	s_add_i32 s10, s43, 0xfffff200
	s_ashr_i32 s7, s6, 31
	v_add_co_ci_u32_e32 v8, vcc_lo, s9, v3, vcc_lo
	;; [unrolled: 7-line block ×8, first 2 shown]
	s_lshl_b64 s[24:25], s[20:21], 1
	s_cmp_lt_i32 s28, s41
	s_clause 0x7
	global_load_u16 v2, v[5:6], off
	global_load_u16 v21, v[7:8], off
	;; [unrolled: 1-line block ×8, first 2 shown]
	s_cselect_b32 s20, s28, s42
	s_add_i32 s28, s43, 0xfffff580
	s_ashr_i32 s21, s20, 31
	v_add_co_u32 v5, vcc_lo, v1, s24
	s_lshl_b64 s[20:21], s[20:21], 1
	s_cmp_lt_i32 s28, s41
	v_add_co_ci_u32_e32 v6, vcc_lo, s25, v3, vcc_lo
	s_cselect_b32 s28, s28, s42
	s_add_i32 s36, s43, 0xfffff600
	s_ashr_i32 s29, s28, 31
	v_add_co_u32 v7, vcc_lo, v1, s20
	s_lshl_b64 s[30:31], s[28:29], 1
	s_cmp_lt_i32 s36, s41
	v_add_co_ci_u32_e32 v8, vcc_lo, s21, v3, vcc_lo
	s_cselect_b32 s28, s36, s42
	s_add_i32 s36, s43, 0xfffff680
	s_ashr_i32 s29, s28, 31
	v_add_co_u32 v9, vcc_lo, v1, s30
	s_lshl_b64 s[28:29], s[28:29], 1
	s_cmp_lt_i32 s36, s41
	v_add_co_ci_u32_e32 v10, vcc_lo, s31, v3, vcc_lo
	s_cselect_b32 s36, s36, s42
	s_add_i32 s46, s43, 0xfffff700
	s_ashr_i32 s37, s36, 31
	v_add_co_u32 v11, vcc_lo, v1, s28
	s_lshl_b64 s[38:39], s[36:37], 1
	s_cmp_lt_i32 s46, s41
	v_add_co_ci_u32_e32 v12, vcc_lo, s29, v3, vcc_lo
	s_cselect_b32 s36, s46, s42
	s_add_i32 s46, s43, 0xfffff780
	s_ashr_i32 s37, s36, 31
	v_add_co_u32 v13, vcc_lo, v1, s38
	s_lshl_b64 s[36:37], s[36:37], 1
	s_cmp_lt_i32 s46, s41
	v_add_co_ci_u32_e32 v14, vcc_lo, s39, v3, vcc_lo
	s_cselect_b32 s4, s46, s42
	s_add_i32 s46, s43, 0xfffff800
	s_ashr_i32 s5, s4, 31
	v_add_co_u32 v15, vcc_lo, v1, s36
	s_lshl_b64 s[8:9], s[4:5], 1
	s_cmp_lt_i32 s46, s41
	v_add_co_ci_u32_e32 v16, vcc_lo, s37, v3, vcc_lo
	s_cselect_b32 s4, s46, s42
	s_add_i32 s18, s43, 0xfffff880
	s_ashr_i32 s5, s4, 31
	v_add_co_u32 v17, vcc_lo, v1, s8
	s_lshl_b64 s[6:7], s[4:5], 1
	s_cmp_lt_i32 s18, s41
	v_add_co_ci_u32_e32 v18, vcc_lo, s9, v3, vcc_lo
	s_cselect_b32 s4, s18, s42
	s_add_i32 s10, s43, 0xfffff900
	s_ashr_i32 s5, s4, 31
	v_add_co_u32 v19, vcc_lo, v1, s6
	s_lshl_b64 s[4:5], s[4:5], 1
	s_cmp_lt_i32 s10, s41
	v_add_co_ci_u32_e32 v20, vcc_lo, s7, v3, vcc_lo
	s_cselect_b32 s10, s10, s42
	s_add_i32 s18, s43, 0xfffff980
	s_ashr_i32 s11, s10, 31
	s_clause 0x7
	global_load_u16 v28, v[5:6], off
	global_load_u16 v29, v[7:8], off
	;; [unrolled: 1-line block ×8, first 2 shown]
	s_lshl_b64 s[10:11], s[10:11], 1
	s_cmp_lt_i32 s18, s41
	v_add_co_u32 v5, vcc_lo, v1, s4
	s_cselect_b32 s18, s18, s42
	s_add_i32 s22, s43, 0xfffffa00
	s_ashr_i32 s19, s18, 31
	v_add_co_ci_u32_e32 v6, vcc_lo, s5, v3, vcc_lo
	s_lshl_b64 s[18:19], s[18:19], 1
	s_cmp_lt_i32 s22, s41
	v_add_co_u32 v7, vcc_lo, v1, s10
	s_cselect_b32 s20, s22, s42
	s_add_i32 s22, s43, 0xfffffa80
	s_ashr_i32 s21, s20, 31
	v_add_co_ci_u32_e32 v8, vcc_lo, s11, v3, vcc_lo
	s_lshl_b64 s[20:21], s[20:21], 1
	s_cmp_lt_i32 s22, s41
	v_add_co_u32 v9, vcc_lo, v1, s18
	s_cselect_b32 s22, s22, s42
	s_add_i32 s24, s43, 0xfffffb00
	s_ashr_i32 s23, s22, 31
	v_add_co_ci_u32_e32 v10, vcc_lo, s19, v3, vcc_lo
	s_lshl_b64 s[22:23], s[22:23], 1
	s_cmp_lt_i32 s24, s41
	v_add_co_u32 v11, vcc_lo, v1, s20
	s_cselect_b32 s24, s24, s42
	s_add_i32 s26, s43, 0xfffffb80
	s_ashr_i32 s25, s24, 31
	v_add_co_ci_u32_e32 v12, vcc_lo, s21, v3, vcc_lo
	s_lshl_b64 s[8:9], s[24:25], 1
	s_cmp_lt_i32 s26, s41
	v_add_co_u32 v13, vcc_lo, v1, s22
	s_cselect_b32 s6, s26, s42
	s_add_i32 s24, s43, 0xfffffc00
	s_ashr_i32 s7, s6, 31
	v_add_co_ci_u32_e32 v14, vcc_lo, s23, v3, vcc_lo
	s_lshl_b64 s[6:7], s[6:7], 1
	s_cmp_lt_i32 s24, s41
	s_clause 0x4
	global_load_u16 v19, v[5:6], off
	global_load_u16 v20, v[7:8], off
	;; [unrolled: 1-line block ×5, first 2 shown]
	s_cselect_b32 s4, s24, s42
	s_add_i32 s10, s43, 0xfffffc80
	s_ashr_i32 s5, s4, 31
	v_add_co_u32 v5, vcc_lo, v1, s8
	s_lshl_b64 s[4:5], s[4:5], 1
	s_cmp_lt_i32 s10, s41
	v_add_co_ci_u32_e32 v6, vcc_lo, s9, v3, vcc_lo
	s_cselect_b32 s10, s10, s42
	s_add_i32 s18, s43, 0xfffffd00
	s_ashr_i32 s11, s10, 31
	v_add_co_u32 v7, vcc_lo, v1, s6
	s_lshl_b64 s[10:11], s[10:11], 1
	s_cmp_lt_i32 s18, s41
	v_add_co_ci_u32_e32 v8, vcc_lo, s7, v3, vcc_lo
	s_cselect_b32 s18, s18, s42
	s_add_i32 s20, s43, 0xfffffd80
	s_ashr_i32 s19, s18, 31
	v_add_co_u32 v9, vcc_lo, v1, s4
	s_lshl_b64 s[18:19], s[18:19], 1
	s_cmp_lt_i32 s20, s41
	global_load_u16 v37, v[5:6], off
	s_cselect_b32 s8, s20, s42
	s_add_i32 s20, s43, 0xfffffe00
	s_ashr_i32 s9, s8, 31
	v_add_co_ci_u32_e32 v10, vcc_lo, s5, v3, vcc_lo
	s_lshl_b64 s[6:7], s[8:9], 1
	s_cmp_lt_i32 s20, s41
	v_add_co_u32 v11, vcc_lo, v1, s10
	s_cselect_b32 s4, s20, s42
	s_clause 0x1
	global_load_u16 v38, v[7:8], off
	global_load_u16 v39, v[9:10], off
	v_add_co_ci_u32_e32 v12, vcc_lo, s11, v3, vcc_lo
	s_ashr_i32 s5, s4, 31
	s_add_i32 s8, s43, 0xfffffe80
	v_add_co_u32 v13, vcc_lo, v1, s18
	s_lshl_b64 s[4:5], s[4:5], 1
	s_cmp_lt_i32 s8, s41
	v_add_co_ci_u32_e32 v14, vcc_lo, s19, v3, vcc_lo
	v_add_co_u32 v15, vcc_lo, v1, s6
	s_cselect_b32 s8, s8, s42
	v_add_co_ci_u32_e32 v16, vcc_lo, s7, v3, vcc_lo
	s_ashr_i32 s9, s8, 31
	s_add_i32 s10, s43, 0xffffff00
	s_lshl_b64 s[6:7], s[8:9], 1
	s_clause 0x2
	global_load_u16 v40, v[11:12], off
	global_load_u16 v13, v[13:14], off
	;; [unrolled: 1-line block ×3, first 2 shown]
	s_cmp_lt_i32 s10, s41
	v_add_co_u32 v5, vcc_lo, v1, s4
	s_cselect_b32 s8, s10, s42
	s_add_i32 s10, s43, 0xffffff80
	s_ashr_i32 s9, s8, 31
	v_add_co_ci_u32_e32 v6, vcc_lo, s5, v3, vcc_lo
	s_lshl_b64 s[8:9], s[8:9], 1
	s_cmp_lt_i32 s10, s41
	v_add_co_u32 v7, vcc_lo, v1, s6
	s_cselect_b32 s4, s10, s42
	v_add_co_ci_u32_e32 v8, vcc_lo, s7, v3, vcc_lo
	s_ashr_i32 s5, s4, 31
	v_add_co_u32 v9, vcc_lo, v1, s8
	global_load_u16 v15, v[5:6], off
	s_lshl_b64 s[4:5], s[4:5], 1
	v_add_co_ci_u32_e32 v10, vcc_lo, s9, v3, vcc_lo
	s_cmp_lt_i32 s43, s41
	s_clause 0x1
	global_load_u16 v16, v[7:8], off
	global_load_u16 v41, v[9:10], off
	s_cselect_b32 s6, s43, s42
	v_add_co_u32 v5, vcc_lo, v1, s4
	s_ashr_i32 s7, s6, 31
	v_add_co_ci_u32_e32 v6, vcc_lo, s5, v3, vcc_lo
	s_lshl_b64 s[4:5], s[6:7], 1
	s_delay_alu instid0(SALU_CYCLE_1)
	v_add_co_u32 v7, vcc_lo, v1, s4
	v_add_co_ci_u32_e32 v8, vcc_lo, s5, v3, vcc_lo
	s_clause 0x1
	global_load_u16 v42, v[5:6], off
	global_load_u16 v43, v[7:8], off
	ds_load_b128 v[5:8], v44
	ds_load_b128 v[9:12], v44 offset:16
	s_waitcnt vmcnt(31) lgkmcnt(1)
	v_fma_mix_f32 v2, v5, v2, v4 op_sel_hi:[0,1,0]
	s_waitcnt vmcnt(30)
	s_delay_alu instid0(VALU_DEP_1) | instskip(SKIP_1) | instid1(VALU_DEP_1)
	v_fma_mix_f32 v2, v6, v21, v2 op_sel_hi:[0,1,0]
	s_waitcnt vmcnt(29)
	v_fma_mix_f32 v2, v7, v22, v2 op_sel_hi:[0,1,0]
	ds_load_b128 v[4:7], v44 offset:32
	s_waitcnt vmcnt(28)
	v_fma_mix_f32 v2, v8, v23, v2 op_sel_hi:[0,1,0]
	s_waitcnt vmcnt(27) lgkmcnt(1)
	s_delay_alu instid0(VALU_DEP_1) | instskip(SKIP_1) | instid1(VALU_DEP_1)
	v_fma_mix_f32 v2, v9, v24, v2 op_sel_hi:[0,1,0]
	s_waitcnt vmcnt(26)
	v_fma_mix_f32 v2, v10, v25, v2 op_sel_hi:[0,1,0]
	s_waitcnt vmcnt(25)
	s_delay_alu instid0(VALU_DEP_1) | instskip(SKIP_4) | instid1(VALU_DEP_1)
	v_fma_mix_f32 v2, v11, v26, v2 op_sel_hi:[0,1,0]
	ds_load_b128 v[8:11], v44 offset:48
	s_waitcnt vmcnt(24)
	v_fma_mix_f32 v2, v12, v27, v2 op_sel_hi:[0,1,0]
	s_waitcnt vmcnt(23) lgkmcnt(1)
	v_fma_mix_f32 v2, v4, v28, v2 op_sel_hi:[0,1,0]
	s_waitcnt vmcnt(22)
	s_delay_alu instid0(VALU_DEP_1) | instskip(SKIP_1) | instid1(VALU_DEP_1)
	v_fma_mix_f32 v2, v5, v29, v2 op_sel_hi:[0,1,0]
	s_waitcnt vmcnt(21)
	v_fma_mix_f32 v2, v6, v30, v2 op_sel_hi:[0,1,0]
	s_waitcnt vmcnt(20)
	s_delay_alu instid0(VALU_DEP_1) | instskip(SKIP_4) | instid1(VALU_DEP_1)
	v_fma_mix_f32 v2, v7, v31, v2 op_sel_hi:[0,1,0]
	ds_load_b128 v[4:7], v44 offset:64
	s_waitcnt vmcnt(19) lgkmcnt(1)
	v_fma_mix_f32 v2, v8, v32, v2 op_sel_hi:[0,1,0]
	s_waitcnt vmcnt(18)
	v_fma_mix_f32 v2, v9, v33, v2 op_sel_hi:[0,1,0]
	s_waitcnt vmcnt(17)
	s_delay_alu instid0(VALU_DEP_1) | instskip(SKIP_1) | instid1(VALU_DEP_1)
	v_fma_mix_f32 v2, v10, v17, v2 op_sel_hi:[0,1,0]
	s_waitcnt vmcnt(16)
	v_fma_mix_f32 v2, v11, v18, v2 op_sel_hi:[0,1,0]
	ds_load_b128 v[8:11], v44 offset:80
	s_waitcnt vmcnt(15) lgkmcnt(1)
	v_fma_mix_f32 v2, v4, v19, v2 op_sel_hi:[0,1,0]
	s_waitcnt vmcnt(14)
	s_delay_alu instid0(VALU_DEP_1) | instskip(SKIP_1) | instid1(VALU_DEP_1)
	v_fma_mix_f32 v2, v5, v20, v2 op_sel_hi:[0,1,0]
	s_waitcnt vmcnt(13)
	v_fma_mix_f32 v2, v6, v34, v2 op_sel_hi:[0,1,0]
	s_waitcnt vmcnt(12)
	s_delay_alu instid0(VALU_DEP_1) | instskip(SKIP_4) | instid1(VALU_DEP_1)
	v_fma_mix_f32 v2, v7, v35, v2 op_sel_hi:[0,1,0]
	ds_load_b128 v[4:7], v44 offset:96
	s_waitcnt vmcnt(11) lgkmcnt(1)
	v_fma_mix_f32 v2, v8, v36, v2 op_sel_hi:[0,1,0]
	s_waitcnt vmcnt(10)
	v_fma_mix_f32 v2, v9, v37, v2 op_sel_hi:[0,1,0]
	s_waitcnt vmcnt(9)
	s_delay_alu instid0(VALU_DEP_1) | instskip(SKIP_1) | instid1(VALU_DEP_1)
	v_fma_mix_f32 v2, v10, v38, v2 op_sel_hi:[0,1,0]
	s_waitcnt vmcnt(8)
	v_fma_mix_f32 v2, v11, v39, v2 op_sel_hi:[0,1,0]
	ds_load_b128 v[8:11], v44 offset:112
	s_waitcnt vmcnt(7) lgkmcnt(1)
	v_fma_mix_f32 v2, v4, v40, v2 op_sel_hi:[0,1,0]
	s_waitcnt vmcnt(6)
	s_delay_alu instid0(VALU_DEP_1) | instskip(SKIP_1) | instid1(VALU_DEP_1)
	v_fma_mix_f32 v2, v5, v13, v2 op_sel_hi:[0,1,0]
	s_waitcnt vmcnt(5)
	v_fma_mix_f32 v2, v6, v14, v2 op_sel_hi:[0,1,0]
	s_waitcnt vmcnt(4)
	s_delay_alu instid0(VALU_DEP_1) | instskip(SKIP_1) | instid1(VALU_DEP_1)
	v_fma_mix_f32 v2, v7, v15, v2 op_sel_hi:[0,1,0]
	s_waitcnt vmcnt(3) lgkmcnt(0)
	v_fma_mix_f32 v2, v8, v16, v2 op_sel_hi:[0,1,0]
	s_waitcnt vmcnt(2)
	s_delay_alu instid0(VALU_DEP_1) | instskip(SKIP_1) | instid1(VALU_DEP_1)
	v_fma_mix_f32 v2, v9, v41, v2 op_sel_hi:[0,1,0]
	s_waitcnt vmcnt(1)
	v_fma_mix_f32 v2, v10, v42, v2 op_sel_hi:[0,1,0]
	s_waitcnt vmcnt(0)
	s_delay_alu instid0(VALU_DEP_1)
	v_fma_mix_f32 v4, v11, v43, v2 op_sel_hi:[0,1,0]
	s_branch .LBB283_14
.LBB283_17:
	v_mov_b32_e32 v1, 0
	s_and_b32 vcc_lo, exec_lo, s15
	ds_load_b32 v1, v1 offset:1792
	s_cbranch_vccz .LBB283_19
; %bb.18:
	s_add_u32 s2, s12, s16
	s_addc_u32 s3, s13, s17
	s_load_b32 s2, s[2:3], 0x0
	s_mov_b32 s3, 0
.LBB283_19:
	s_waitcnt lgkmcnt(0)
	v_add_f32_e32 v1, 0x358637bd, v1
	s_mul_i32 s3, s33, s3
	s_mul_hi_u32 s4, s33, s2
	s_mul_i32 s2, s33, s2
	s_add_i32 s3, s4, s3
	v_div_scale_f32 v2, null, v1, v1, 1.0
	s_lshl_b64 s[2:3], s[2:3], 8
	s_mov_b32 s15, 0
	s_add_u32 s2, s0, s2
	s_delay_alu instid0(VALU_DEP_1) | instskip(SKIP_2) | instid1(SALU_CYCLE_1)
	v_rcp_f32_e32 v3, v2
	s_addc_u32 s3, s1, s3
	s_lshl_b64 s[0:1], s[14:15], 8
	s_add_u32 s0, s2, s0
	s_addc_u32 s1, s3, s1
	s_waitcnt_depctr 0xfff
	v_fma_f32 v5, -v2, v3, 1.0
	s_delay_alu instid0(VALU_DEP_1) | instskip(SKIP_1) | instid1(VALU_DEP_1)
	v_fmac_f32_e32 v3, v5, v3
	v_div_scale_f32 v5, vcc_lo, 1.0, v1, 1.0
	v_mul_f32_e32 v6, v5, v3
	s_delay_alu instid0(VALU_DEP_1) | instskip(NEXT) | instid1(VALU_DEP_1)
	v_fma_f32 v7, -v2, v6, v5
	v_fmac_f32_e32 v6, v7, v3
	s_delay_alu instid0(VALU_DEP_1) | instskip(NEXT) | instid1(VALU_DEP_1)
	v_fma_f32 v2, -v2, v6, v5
	v_div_fmas_f32 v2, v2, v3, v6
	s_delay_alu instid0(VALU_DEP_1) | instskip(NEXT) | instid1(VALU_DEP_1)
	v_div_fixup_f32 v1, v2, v1, 1.0
	v_fma_mixlo_f16 v1, v4, v1, 0
	global_store_b16 v0, v1, s[0:1]
	s_nop 0
	s_sendmsg sendmsg(MSG_DEALLOC_VGPRS)
	s_endpgm
.LBB283_20:
	s_mov_b32 s4, 0
	s_branch .LBB283_2
	.section	.rodata,"a",@progbits
	.p2align	6, 0x0
	.amdhsa_kernel _Z35paged_attention_ll4mi_reduce_kernelIDF16_DF16_Li128ELi128ELi256ELi14EEvPT0_PKfS3_PKT_PKiS8_iS3_
		.amdhsa_group_segment_fixed_size 1796
		.amdhsa_private_segment_fixed_size 0
		.amdhsa_kernarg_size 320
		.amdhsa_user_sgpr_count 14
		.amdhsa_user_sgpr_dispatch_ptr 0
		.amdhsa_user_sgpr_queue_ptr 0
		.amdhsa_user_sgpr_kernarg_segment_ptr 1
		.amdhsa_user_sgpr_dispatch_id 0
		.amdhsa_user_sgpr_private_segment_size 0
		.amdhsa_wavefront_size32 1
		.amdhsa_uses_dynamic_stack 0
		.amdhsa_enable_private_segment 0
		.amdhsa_system_sgpr_workgroup_id_x 1
		.amdhsa_system_sgpr_workgroup_id_y 1
		.amdhsa_system_sgpr_workgroup_id_z 0
		.amdhsa_system_sgpr_workgroup_info 0
		.amdhsa_system_vgpr_workitem_id 0
		.amdhsa_next_free_vgpr 77
		.amdhsa_next_free_sgpr 47
		.amdhsa_reserve_vcc 1
		.amdhsa_float_round_mode_32 0
		.amdhsa_float_round_mode_16_64 0
		.amdhsa_float_denorm_mode_32 3
		.amdhsa_float_denorm_mode_16_64 3
		.amdhsa_dx10_clamp 1
		.amdhsa_ieee_mode 1
		.amdhsa_fp16_overflow 0
		.amdhsa_workgroup_processor_mode 1
		.amdhsa_memory_ordered 1
		.amdhsa_forward_progress 0
		.amdhsa_shared_vgpr_count 0
		.amdhsa_exception_fp_ieee_invalid_op 0
		.amdhsa_exception_fp_denorm_src 0
		.amdhsa_exception_fp_ieee_div_zero 0
		.amdhsa_exception_fp_ieee_overflow 0
		.amdhsa_exception_fp_ieee_underflow 0
		.amdhsa_exception_fp_ieee_inexact 0
		.amdhsa_exception_int_div_zero 0
	.end_amdhsa_kernel
	.section	.text._Z35paged_attention_ll4mi_reduce_kernelIDF16_DF16_Li128ELi128ELi256ELi14EEvPT0_PKfS3_PKT_PKiS8_iS3_,"axG",@progbits,_Z35paged_attention_ll4mi_reduce_kernelIDF16_DF16_Li128ELi128ELi256ELi14EEvPT0_PKfS3_PKT_PKiS8_iS3_,comdat
.Lfunc_end283:
	.size	_Z35paged_attention_ll4mi_reduce_kernelIDF16_DF16_Li128ELi128ELi256ELi14EEvPT0_PKfS3_PKT_PKiS8_iS3_, .Lfunc_end283-_Z35paged_attention_ll4mi_reduce_kernelIDF16_DF16_Li128ELi128ELi256ELi14EEvPT0_PKfS3_PKT_PKiS8_iS3_
                                        ; -- End function
	.section	.AMDGPU.csdata,"",@progbits
; Kernel info:
; codeLenInByte = 7748
; NumSgprs: 49
; NumVgprs: 77
; ScratchSize: 0
; MemoryBound: 0
; FloatMode: 240
; IeeeMode: 1
; LDSByteSize: 1796 bytes/workgroup (compile time only)
; SGPRBlocks: 6
; VGPRBlocks: 9
; NumSGPRsForWavesPerEU: 49
; NumVGPRsForWavesPerEU: 77
; Occupancy: 16
; WaveLimiterHint : 0
; COMPUTE_PGM_RSRC2:SCRATCH_EN: 0
; COMPUTE_PGM_RSRC2:USER_SGPR: 14
; COMPUTE_PGM_RSRC2:TRAP_HANDLER: 0
; COMPUTE_PGM_RSRC2:TGID_X_EN: 1
; COMPUTE_PGM_RSRC2:TGID_Y_EN: 1
; COMPUTE_PGM_RSRC2:TGID_Z_EN: 0
; COMPUTE_PGM_RSRC2:TIDIG_COMP_CNT: 0
	.section	.text._Z35paged_attention_ll4mi_reduce_kernelIDF16_DF16_Li128ELi128ELi256ELi15EEvPT0_PKfS3_PKT_PKiS8_iS3_,"axG",@progbits,_Z35paged_attention_ll4mi_reduce_kernelIDF16_DF16_Li128ELi128ELi256ELi15EEvPT0_PKfS3_PKT_PKiS8_iS3_,comdat
	.protected	_Z35paged_attention_ll4mi_reduce_kernelIDF16_DF16_Li128ELi128ELi256ELi15EEvPT0_PKfS3_PKT_PKiS8_iS3_ ; -- Begin function _Z35paged_attention_ll4mi_reduce_kernelIDF16_DF16_Li128ELi128ELi256ELi15EEvPT0_PKfS3_PKT_PKiS8_iS3_
	.globl	_Z35paged_attention_ll4mi_reduce_kernelIDF16_DF16_Li128ELi128ELi256ELi15EEvPT0_PKfS3_PKT_PKiS8_iS3_
	.p2align	8
	.type	_Z35paged_attention_ll4mi_reduce_kernelIDF16_DF16_Li128ELi128ELi256ELi15EEvPT0_PKfS3_PKT_PKiS8_iS3_,@function
_Z35paged_attention_ll4mi_reduce_kernelIDF16_DF16_Li128ELi128ELi256ELi15EEvPT0_PKfS3_PKT_PKiS8_iS3_: ; @_Z35paged_attention_ll4mi_reduce_kernelIDF16_DF16_Li128ELi128ELi256ELi15EEvPT0_PKfS3_PKT_PKiS8_iS3_
; %bb.0:
	s_load_b64 s[12:13], s[0:1], 0x28
	s_mov_b32 s2, s15
	s_waitcnt lgkmcnt(0)
	s_cmp_lg_u64 s[12:13], 0
	s_cselect_b32 s15, -1, 0
	s_delay_alu instid0(SALU_CYCLE_1)
	s_and_b32 vcc_lo, exec_lo, s15
	s_cbranch_vccz .LBB284_20
; %bb.1:
	s_add_i32 s4, s2, 1
	s_mov_b32 s5, 0
	s_delay_alu instid0(SALU_CYCLE_1) | instskip(SKIP_4) | instid1(SALU_CYCLE_1)
	s_lshl_b64 s[6:7], s[4:5], 2
	s_mov_b32 s3, s5
	s_add_u32 s6, s12, s6
	s_addc_u32 s7, s13, s7
	s_lshl_b64 s[8:9], s[2:3], 2
	s_add_u32 s8, s12, s8
	s_addc_u32 s9, s13, s9
	s_clause 0x1
	s_load_b32 s4, s[6:7], 0x0
	s_load_b32 s6, s[8:9], 0x0
	s_waitcnt lgkmcnt(0)
	s_sub_i32 s4, s4, s6
	s_delay_alu instid0(SALU_CYCLE_1)
	s_cmp_eq_u32 s4, 1
	s_cselect_b32 s4, -1, 0
	s_cbranch_execnz .LBB284_3
.LBB284_2:
	s_mov_b32 s3, 0
	s_mov_b32 s4, -1
.LBB284_3:
	s_delay_alu instid0(SALU_CYCLE_1)
	s_and_not1_b32 vcc_lo, exec_lo, s4
	s_cbranch_vccz .LBB284_5
; %bb.4:
	s_endpgm
.LBB284_5:
	s_clause 0x1
	s_load_b128 s[4:7], s[0:1], 0x18
	s_load_b32 s9, s[0:1], 0x30
	s_lshl_b64 s[16:17], s[2:3], 2
	s_waitcnt lgkmcnt(0)
	s_add_u32 s6, s6, s16
	s_addc_u32 s7, s7, s17
	s_load_b32 s23, s[6:7], 0x0
	s_load_b32 s33, s[0:1], 0x40
	s_mul_i32 s7, s2, s9
	s_waitcnt lgkmcnt(0)
	s_add_i32 s22, s23, 0xff
	s_delay_alu instid0(SALU_CYCLE_1) | instskip(NEXT) | instid1(SALU_CYCLE_1)
	s_ashr_i32 s6, s22, 31
	s_lshr_b32 s6, s6, 24
	s_delay_alu instid0(SALU_CYCLE_1) | instskip(SKIP_4) | instid1(SALU_CYCLE_1)
	s_add_i32 s8, s22, s6
	s_mul_i32 s6, s14, s9
	s_mov_b32 s9, exec_lo
	v_cmpx_lt_u32_e32 31, v0
	s_xor_b32 s9, exec_lo, s9
	s_or_saveexec_b32 s24, s9
	v_mov_b32_e32 v1, s6
	s_ashr_i32 s40, s8, 8
	s_mul_i32 s18, s7, s33
	s_xor_b32 exec_lo, exec_lo, s24
	s_cbranch_execz .LBB284_9
; %bb.6:
	v_or_b32_e32 v2, 32, v0
	v_cmp_gt_i32_e32 vcc_lo, s40, v0
	s_add_i32 s20, s40, -1
	v_or_b32_e32 v4, 64, v0
	v_or_b32_e32 v6, 0xa0, v0
	s_load_b128 s[8:11], s[0:1], 0x8
	v_cndmask_b32_e32 v1, s20, v0, vcc_lo
	v_cmp_gt_i32_e32 vcc_lo, s40, v2
	s_mov_b32 s19, 0
	s_delay_alu instid0(SALU_CYCLE_1)
	s_mov_b32 s7, s19
	v_cndmask_b32_e32 v3, s20, v2, vcc_lo
	v_or_b32_e32 v2, 0x60, v0
	v_cmp_gt_i32_e32 vcc_lo, s40, v4
	v_cndmask_b32_e32 v5, s20, v4, vcc_lo
	v_or_b32_e32 v4, 0x80, v0
	s_delay_alu instid0(VALU_DEP_4) | instskip(SKIP_1) | instid1(VALU_DEP_3)
	v_cmp_gt_i32_e32 vcc_lo, s40, v2
	v_cndmask_b32_e32 v7, s20, v2, vcc_lo
	v_cmp_gt_i32_e32 vcc_lo, s40, v4
	v_or_b32_e32 v2, 0xc0, v0
	s_delay_alu instid0(VALU_DEP_3) | instskip(SKIP_3) | instid1(VALU_DEP_3)
	v_ashrrev_i32_e32 v8, 31, v7
	v_cndmask_b32_e32 v9, s20, v4, vcc_lo
	v_cmp_gt_i32_e32 vcc_lo, s40, v6
	v_or_b32_e32 v4, 0xe0, v0
	v_ashrrev_i32_e32 v10, 31, v9
	v_cndmask_b32_e32 v11, s20, v6, vcc_lo
	v_cmp_gt_i32_e32 vcc_lo, s40, v2
	v_or_b32_e32 v6, 0x120, v0
	s_delay_alu instid0(VALU_DEP_3) | instskip(SKIP_3) | instid1(VALU_DEP_3)
	v_ashrrev_i32_e32 v12, 31, v11
	v_cndmask_b32_e32 v13, s20, v2, vcc_lo
	v_or_b32_e32 v2, 0x100, v0
	v_cmp_gt_i32_e32 vcc_lo, s40, v4
	v_ashrrev_i32_e32 v14, 31, v13
	v_cndmask_b32_e32 v15, s20, v4, vcc_lo
	s_delay_alu instid0(VALU_DEP_4) | instskip(SKIP_1) | instid1(VALU_DEP_3)
	v_cmp_gt_i32_e32 vcc_lo, s40, v2
	v_or_b32_e32 v4, 0x140, v0
	v_ashrrev_i32_e32 v16, 31, v15
	v_cndmask_b32_e32 v17, s20, v2, vcc_lo
	v_cmp_gt_i32_e32 vcc_lo, s40, v6
	v_or_b32_e32 v2, 0x160, v0
	s_delay_alu instid0(VALU_DEP_3) | instskip(SKIP_3) | instid1(VALU_DEP_3)
	v_ashrrev_i32_e32 v18, 31, v17
	v_cndmask_b32_e32 v19, s20, v6, vcc_lo
	v_cmp_gt_i32_e32 vcc_lo, s40, v4
	v_or_b32_e32 v6, 0x1a0, v0
	v_ashrrev_i32_e32 v20, 31, v19
	v_cndmask_b32_e32 v21, s20, v4, vcc_lo
	v_or_b32_e32 v4, 0x180, v0
	v_cmp_gt_i32_e32 vcc_lo, s40, v2
	s_delay_alu instid0(VALU_DEP_3) | instskip(SKIP_1) | instid1(VALU_DEP_4)
	v_ashrrev_i32_e32 v22, 31, v21
	v_cndmask_b32_e32 v23, s20, v2, vcc_lo
	v_cmp_gt_i32_e32 vcc_lo, s40, v4
	v_or_b32_e32 v2, 0x1c0, v0
	s_delay_alu instid0(VALU_DEP_3) | instskip(SKIP_3) | instid1(VALU_DEP_3)
	v_ashrrev_i32_e32 v24, 31, v23
	v_cndmask_b32_e32 v25, s20, v4, vcc_lo
	v_cmp_gt_i32_e32 vcc_lo, s40, v6
	v_ashrrev_i32_e32 v4, 31, v3
	v_ashrrev_i32_e32 v26, 31, v25
	v_cndmask_b32_e32 v27, s20, v6, vcc_lo
	v_cmp_gt_i32_e32 vcc_lo, s40, v2
	v_ashrrev_i32_e32 v6, 31, v5
	v_lshlrev_b64 v[33:34], 2, v[3:4]
	s_delay_alu instid0(VALU_DEP_4)
	v_ashrrev_i32_e32 v28, 31, v27
	v_cndmask_b32_e32 v29, s20, v2, vcc_lo
	v_ashrrev_i32_e32 v2, 31, v1
	s_lshl_b64 s[20:21], s[18:19], 2
	v_lshlrev_b64 v[4:5], 2, v[5:6]
	s_waitcnt lgkmcnt(0)
	s_add_u32 s19, s10, s20
	s_addc_u32 s25, s11, s21
	v_lshlrev_b64 v[31:32], 2, v[1:2]
	s_lshl_b64 s[10:11], s[6:7], 2
	v_lshlrev_b64 v[6:7], 2, v[7:8]
	s_add_u32 s7, s19, s10
	s_addc_u32 s19, s25, s11
	v_lshlrev_b64 v[8:9], 2, v[9:10]
	v_add_co_u32 v1, vcc_lo, s7, v31
	v_add_co_ci_u32_e32 v2, vcc_lo, s19, v32, vcc_lo
	v_add_co_u32 v35, vcc_lo, s7, v33
	v_add_co_ci_u32_e32 v36, vcc_lo, s19, v34, vcc_lo
	;; [unrolled: 2-line block ×3, first 2 shown]
	v_add_co_u32 v39, vcc_lo, s7, v6
	v_lshlrev_b64 v[10:11], 2, v[11:12]
	v_add_co_ci_u32_e32 v40, vcc_lo, s19, v7, vcc_lo
	v_add_co_u32 v41, vcc_lo, s7, v8
	v_lshlrev_b64 v[12:13], 2, v[13:14]
	v_add_co_ci_u32_e32 v42, vcc_lo, s19, v9, vcc_lo
	;; [unrolled: 3-line block ×5, first 2 shown]
	s_clause 0x7
	global_load_b32 v49, v[1:2], off
	global_load_b32 v50, v[35:36], off
	;; [unrolled: 1-line block ×8, first 2 shown]
	v_add_co_u32 v1, vcc_lo, s7, v16
	v_lshlrev_b64 v[20:21], 2, v[21:22]
	v_add_co_ci_u32_e32 v2, vcc_lo, s19, v17, vcc_lo
	v_add_co_u32 v35, vcc_lo, s7, v18
	v_add_co_ci_u32_e32 v36, vcc_lo, s19, v19, vcc_lo
	v_lshlrev_b64 v[22:23], 2, v[23:24]
	v_add_co_u32 v37, vcc_lo, s7, v20
	v_add_co_ci_u32_e32 v38, vcc_lo, s19, v21, vcc_lo
	v_lshlrev_b64 v[24:25], 2, v[25:26]
	v_ashrrev_i32_e32 v30, 31, v29
	s_clause 0x2
	global_load_b32 v45, v[1:2], off
	global_load_b32 v46, v[35:36], off
	;; [unrolled: 1-line block ×3, first 2 shown]
	v_add_co_u32 v1, vcc_lo, s7, v22
	v_lshlrev_b64 v[26:27], 2, v[27:28]
	v_add_co_ci_u32_e32 v2, vcc_lo, s19, v23, vcc_lo
	v_add_co_u32 v35, vcc_lo, s7, v24
	v_lshlrev_b64 v[28:29], 2, v[29:30]
	v_add_co_ci_u32_e32 v36, vcc_lo, s19, v25, vcc_lo
	v_add_co_u32 v37, vcc_lo, s7, v26
	v_add_co_ci_u32_e32 v38, vcc_lo, s19, v27, vcc_lo
	s_delay_alu instid0(VALU_DEP_4)
	v_add_co_u32 v39, vcc_lo, s7, v28
	v_add_co_ci_u32_e32 v40, vcc_lo, s19, v29, vcc_lo
	s_clause 0x3
	global_load_b32 v48, v[1:2], off
	global_load_b32 v35, v[35:36], off
	;; [unrolled: 1-line block ×4, first 2 shown]
	v_mbcnt_lo_u32_b32 v37, -1, 0
	s_add_u32 s7, s8, s20
	s_addc_u32 s8, s9, s21
	s_add_u32 s7, s7, s10
	s_addc_u32 s8, s8, s11
	v_xor_b32_e32 v1, 16, v37
	v_xor_b32_e32 v2, 8, v37
	s_delay_alu instid0(VALU_DEP_2) | instskip(SKIP_1) | instid1(VALU_DEP_3)
	v_cmp_gt_i32_e32 vcc_lo, 32, v1
	v_cndmask_b32_e32 v1, v37, v1, vcc_lo
	v_cmp_gt_i32_e32 vcc_lo, 32, v2
	v_cndmask_b32_e32 v38, v37, v2, vcc_lo
	s_delay_alu instid0(VALU_DEP_3) | instskip(NEXT) | instid1(VALU_DEP_2)
	v_lshlrev_b32_e32 v2, 2, v1
	v_lshlrev_b32_e32 v1, 2, v38
	s_waitcnt vmcnt(12)
	v_max3_f32 v30, v49, v50, v51
	s_waitcnt vmcnt(10)
	s_delay_alu instid0(VALU_DEP_1) | instskip(SKIP_1) | instid1(VALU_DEP_1)
	v_max3_f32 v30, v30, v52, v41
	s_waitcnt vmcnt(8)
	v_max3_f32 v30, v30, v42, v43
	s_waitcnt vmcnt(6)
	s_delay_alu instid0(VALU_DEP_1) | instskip(SKIP_3) | instid1(VALU_DEP_3)
	v_max3_f32 v38, v30, v44, v45
	v_add_co_u32 v30, vcc_lo, s7, v31
	v_add_co_ci_u32_e32 v31, vcc_lo, s8, v32, vcc_lo
	s_waitcnt vmcnt(4)
	v_max3_f32 v38, v38, v46, v47
	v_add_co_u32 v32, vcc_lo, s7, v33
	v_add_co_ci_u32_e32 v33, vcc_lo, s8, v34, vcc_lo
	v_add_co_u32 v4, vcc_lo, s7, v4
	v_add_co_ci_u32_e32 v5, vcc_lo, s8, v5, vcc_lo
	;; [unrolled: 2-line block ×3, first 2 shown]
	v_add_co_u32 v8, vcc_lo, s7, v8
	s_waitcnt vmcnt(2)
	v_max3_f32 v34, v38, v48, v35
	v_add_co_ci_u32_e32 v9, vcc_lo, s8, v9, vcc_lo
	v_add_co_u32 v10, vcc_lo, s7, v10
	s_waitcnt vmcnt(0)
	s_delay_alu instid0(VALU_DEP_3)
	v_max3_f32 v34, v34, v36, v3
	v_add_co_ci_u32_e32 v11, vcc_lo, s8, v11, vcc_lo
	v_add_co_u32 v12, vcc_lo, s7, v12
	ds_bpermute_b32 v38, v2, v34
	v_add_co_ci_u32_e32 v13, vcc_lo, s8, v13, vcc_lo
	v_add_co_u32 v14, vcc_lo, s7, v14
	v_add_co_ci_u32_e32 v15, vcc_lo, s8, v15, vcc_lo
	v_add_co_u32 v16, vcc_lo, s7, v16
	;; [unrolled: 2-line block ×4, first 2 shown]
	s_clause 0x9
	global_load_b32 v30, v[30:31], off
	global_load_b32 v31, v[32:33], off
	;; [unrolled: 1-line block ×10, first 2 shown]
	v_xor_b32_e32 v10, 4, v37
	v_add_co_ci_u32_e32 v21, vcc_lo, s8, v21, vcc_lo
	s_waitcnt lgkmcnt(0)
	v_max_f32_e32 v38, v38, v38
	v_add_co_u32 v8, vcc_lo, s7, v22
	v_add_co_ci_u32_e32 v9, vcc_lo, s8, v23, vcc_lo
	s_delay_alu instid0(VALU_DEP_3)
	v_max_f32_e32 v34, v34, v38
	v_cmp_gt_i32_e32 vcc_lo, 32, v10
	s_clause 0x1
	global_load_b32 v7, v[20:21], off
	global_load_b32 v8, v[8:9], off
	v_xor_b32_e32 v14, 2, v37
	ds_bpermute_b32 v38, v1, v34
	v_cndmask_b32_e32 v9, v37, v10, vcc_lo
	s_waitcnt lgkmcnt(0)
	s_delay_alu instid0(VALU_DEP_1) | instskip(NEXT) | instid1(VALU_DEP_1)
	v_dual_max_f32 v11, v38, v38 :: v_dual_lshlrev_b32 v10, 2, v9
	v_max_f32_e32 v13, v34, v11
	v_add_co_u32 v11, vcc_lo, s7, v24
	v_add_co_ci_u32_e32 v12, vcc_lo, s8, v25, vcc_lo
	ds_bpermute_b32 v9, v10, v13
	v_cmp_gt_i32_e32 vcc_lo, 32, v14
	s_waitcnt lgkmcnt(0)
	v_max_f32_e32 v15, v9, v9
	global_load_b32 v9, v[11:12], off
	v_max_f32_e32 v16, v13, v15
	v_cndmask_b32_e32 v14, v37, v14, vcc_lo
	v_add_co_u32 v12, vcc_lo, s7, v26
	v_add_co_ci_u32_e32 v13, vcc_lo, s8, v27, vcc_lo
	s_delay_alu instid0(VALU_DEP_3)
	v_lshlrev_b32_e32 v11, 2, v14
	v_add_co_u32 v14, vcc_lo, s7, v28
	v_add_co_ci_u32_e32 v15, vcc_lo, s8, v29, vcc_lo
	ds_bpermute_b32 v17, v11, v16
	global_load_b32 v13, v[12:13], off
	s_mov_b32 s7, exec_lo
	global_load_b32 v14, v[14:15], off
	v_xor_b32_e32 v12, 1, v37
	s_delay_alu instid0(VALU_DEP_1) | instskip(SKIP_2) | instid1(VALU_DEP_1)
	v_cmp_gt_i32_e32 vcc_lo, 32, v12
	v_cndmask_b32_e32 v12, v37, v12, vcc_lo
	s_waitcnt lgkmcnt(0)
	v_dual_max_f32 v15, v17, v17 :: v_dual_lshlrev_b32 v12, 2, v12
	s_delay_alu instid0(VALU_DEP_1) | instskip(SKIP_3) | instid1(VALU_DEP_1)
	v_max_f32_e32 v15, v16, v15
	ds_bpermute_b32 v16, v12, v15
	s_waitcnt lgkmcnt(0)
	v_max_f32_e32 v16, v16, v16
	v_max_f32_e32 v16, v15, v16
	v_sub_nc_u32_e32 v15, s40, v0
	s_delay_alu instid0(VALU_DEP_2)
	v_sub_f32_e32 v20, v52, v16
	v_sub_f32_e32 v26, v46, v16
	;; [unrolled: 1-line block ×5, first 2 shown]
	v_mul_f32_e32 v38, 0x3fb8aa3b, v20
	v_mul_f32_e32 v46, 0x3fb8aa3b, v26
	v_sub_f32_e32 v28, v48, v16
	v_mul_f32_e32 v44, 0x3fb8aa3b, v24
	v_sub_f32_e32 v22, v42, v16
	v_fma_f32 v57, 0x3fb8aa3b, v20, -v38
	v_rndne_f32_e32 v58, v38
	v_mul_f32_e32 v48, 0x3fb8aa3b, v28
	v_rndne_f32_e32 v66, v44
	v_mul_f32_e32 v42, 0x3fb8aa3b, v22
	s_delay_alu instid0(VALU_DEP_4)
	v_dual_fmac_f32 v57, 0x32a5705f, v20 :: v_dual_sub_f32 v38, v38, v58
	v_sub_f32_e32 v29, v35, v16
	v_mul_f32_e32 v35, 0x3fb8aa3b, v17
	v_fma_f32 v73, 0x3fb8aa3b, v28, -v48
	v_rndne_f32_e32 v74, v48
	v_sub_f32_e32 v27, v47, v16
	v_fma_f32 v61, 0x3fb8aa3b, v22, -v42
	v_fma_f32 v50, 0x3fb8aa3b, v17, -v35
	v_sub_f32_e32 v19, v51, v16
	v_dual_fmac_f32 v73, 0x32a5705f, v28 :: v_dual_sub_f32 v48, v48, v74
	v_rndne_f32_e32 v62, v42
	s_delay_alu instid0(VALU_DEP_4) | instskip(NEXT) | instid1(VALU_DEP_4)
	v_fmac_f32_e32 v50, 0x32a5705f, v17
	v_mul_f32_e32 v37, 0x3fb8aa3b, v19
	v_cvt_i32_f32_e32 v74, v74
	v_dual_add_f32 v48, v48, v73 :: v_dual_sub_f32 v23, v43, v16
	v_sub_f32_e32 v42, v42, v62
	s_delay_alu instid0(VALU_DEP_4) | instskip(SKIP_1) | instid1(VALU_DEP_4)
	v_fma_f32 v55, 0x3fb8aa3b, v19, -v37
	v_sub_f32_e32 v34, v36, v16
	v_exp_f32_e32 v48, v48
	v_mul_f32_e32 v36, 0x3fb8aa3b, v18
	v_rndne_f32_e32 v51, v35
	v_fmac_f32_e32 v55, 0x32a5705f, v19
	v_fma_f32 v65, 0x3fb8aa3b, v24, -v44
	v_fma_f32 v69, 0x3fb8aa3b, v26, -v46
	v_rndne_f32_e32 v70, v46
	v_dual_sub_f32 v44, v44, v66 :: v_dual_sub_f32 v25, v45, v16
	v_fma_f32 v52, 0x3fb8aa3b, v18, -v36
	s_delay_alu instid0(TRANS32_DEP_1) | instskip(NEXT) | instid1(VALU_DEP_4)
	v_ldexp_f32 v48, v48, v74
	v_sub_f32_e32 v46, v46, v70
	v_fmac_f32_e32 v61, 0x32a5705f, v22
	v_mul_f32_e32 v43, 0x3fb8aa3b, v23
	v_rndne_f32_e32 v54, v36
	v_fmac_f32_e32 v69, 0x32a5705f, v26
	s_delay_alu instid0(VALU_DEP_4) | instskip(SKIP_3) | instid1(VALU_DEP_4)
	v_dual_sub_f32 v35, v35, v51 :: v_dual_add_f32 v42, v42, v61
	v_dual_sub_f32 v21, v41, v16 :: v_dual_fmac_f32 v52, 0x32a5705f, v18
	v_rndne_f32_e32 v56, v37
	v_sub_f32_e32 v36, v36, v54
	v_exp_f32_e32 v42, v42
	v_cvt_i32_f32_e32 v62, v62
	v_dual_add_f32 v46, v46, v69 :: v_dual_add_f32 v35, v35, v50
	s_delay_alu instid0(VALU_DEP_3) | instskip(SKIP_2) | instid1(VALU_DEP_4)
	v_dual_mul_f32 v41, 0x3fb8aa3b, v21 :: v_dual_add_f32 v36, v36, v52
	v_cvt_i32_f32_e32 v51, v51
	v_cvt_i32_f32_e32 v54, v54
	v_exp_f32_e32 v35, v35
	v_fmac_f32_e32 v65, 0x32a5705f, v24
	s_delay_alu instid0(TRANS32_DEP_2)
	v_ldexp_f32 v42, v42, v62
	v_sub_f32_e32 v37, v37, v56
	v_exp_f32_e32 v36, v36
	v_add_f32_e32 v38, v38, v57
	v_cmp_ngt_f32_e32 vcc_lo, 0xc2ce8ed0, v17
	v_dual_mul_f32 v47, 0x3fb8aa3b, v27 :: v_dual_add_f32 v44, v44, v65
	v_add_f32_e32 v37, v37, v55
	s_delay_alu instid0(TRANS32_DEP_2)
	v_ldexp_f32 v35, v35, v51
	v_cvt_i32_f32_e32 v56, v56
	v_exp_f32_e32 v38, v38
	v_cvt_i32_f32_e32 v58, v58
	v_exp_f32_e32 v37, v37
	v_ldexp_f32 v36, v36, v54
	v_cndmask_b32_e32 v35, 0, v35, vcc_lo
	v_cmp_ngt_f32_e32 vcc_lo, 0xc2ce8ed0, v18
	v_mul_f32_e32 v45, 0x3fb8aa3b, v25
	v_exp_f32_e32 v44, v44
	v_fma_f32 v59, 0x3fb8aa3b, v21, -v41
	v_rndne_f32_e32 v60, v41
	v_cndmask_b32_e32 v36, 0, v36, vcc_lo
	v_cmp_ngt_f32_e32 vcc_lo, 0xc2ce8ed0, v19
	v_ldexp_f32 v37, v37, v56
	v_cvt_i32_f32_e32 v66, v66
	v_ldexp_f32 v38, v38, v58
	v_fma_f32 v63, 0x3fb8aa3b, v23, -v43
	v_rndne_f32_e32 v64, v43
	v_cndmask_b32_e32 v37, 0, v37, vcc_lo
	v_cmp_ngt_f32_e32 vcc_lo, 0xc2ce8ed0, v20
	v_mul_f32_e32 v49, 0x3fb8aa3b, v29
	v_ldexp_f32 v44, v44, v66
	v_fmac_f32_e32 v59, 0x32a5705f, v21
	v_dual_fmac_f32 v63, 0x32a5705f, v23 :: v_dual_cndmask_b32 v38, 0, v38
	v_sub_f32_e32 v41, v41, v60
	v_cvt_i32_f32_e32 v60, v60
	v_cmp_ngt_f32_e32 vcc_lo, 0xc2ce8ed0, v21
	v_fma_f32 v67, 0x3fb8aa3b, v25, -v45
	v_rndne_f32_e32 v68, v45
	v_add_f32_e32 v41, v41, v59
	v_fma_f32 v71, 0x3fb8aa3b, v27, -v47
	v_rndne_f32_e32 v72, v47
	v_fmac_f32_e32 v67, 0x32a5705f, v25
	v_sub_f32_e32 v45, v45, v68
	v_exp_f32_e32 v41, v41
	v_fmac_f32_e32 v71, 0x32a5705f, v27
	v_sub_f32_e32 v47, v47, v72
	v_cvt_i32_f32_e32 v68, v68
	v_add_f32_e32 v45, v45, v67
	v_exp_f32_e32 v46, v46
	v_fma_f32 v75, 0x3fb8aa3b, v29, -v49
	v_add_f32_e32 v47, v47, v71
	v_cvt_i32_f32_e32 v70, v70
	v_exp_f32_e32 v45, v45
	v_ldexp_f32 v41, v41, v60
	v_cvt_i32_f32_e32 v72, v72
	v_exp_f32_e32 v47, v47
	v_fmac_f32_e32 v75, 0x32a5705f, v29
	v_sub_f32_e32 v3, v3, v16
	v_cndmask_b32_e32 v41, 0, v41, vcc_lo
	v_cmp_ngt_f32_e32 vcc_lo, 0xc2ce8ed0, v22
	v_ldexp_f32 v46, v46, v70
	v_rndne_f32_e32 v76, v49
	v_ldexp_f32 v45, v45, v68
	v_dual_cndmask_b32 v42, 0, v42 :: v_dual_sub_f32 v43, v43, v64
	v_cvt_i32_f32_e32 v64, v64
	v_cmp_ngt_f32_e32 vcc_lo, 0xc2ce8ed0, v23
	v_ldexp_f32 v47, v47, v72
	s_delay_alu instid0(VALU_DEP_4) | instskip(NEXT) | instid1(VALU_DEP_1)
	v_add_f32_e32 v43, v43, v63
	v_exp_f32_e32 v43, v43
	s_waitcnt_depctr 0xfff
	v_ldexp_f32 v43, v43, v64
	s_delay_alu instid0(VALU_DEP_1)
	v_cndmask_b32_e32 v43, 0, v43, vcc_lo
	v_cmp_ngt_f32_e32 vcc_lo, 0xc2ce8ed0, v24
	v_cndmask_b32_e32 v44, 0, v44, vcc_lo
	v_cmp_ngt_f32_e32 vcc_lo, 0xc2ce8ed0, v25
	;; [unrolled: 2-line block ×5, first 2 shown]
	v_cndmask_b32_e32 v48, 0, v48, vcc_lo
	v_cmp_nlt_f32_e32 vcc_lo, 0x42b17218, v17
	v_cndmask_b32_e32 v17, 0x7f800000, v35, vcc_lo
	v_cmp_nlt_f32_e32 vcc_lo, 0x42b17218, v18
	;; [unrolled: 2-line block ×12, first 2 shown]
	v_cndmask_b32_e32 v28, 0x7f800000, v48, vcc_lo
	v_cmp_lt_i32_e32 vcc_lo, 0, v15
	v_cndmask_b32_e32 v17, 0, v17, vcc_lo
	v_cmp_lt_i32_e32 vcc_lo, 32, v15
	;; [unrolled: 2-line block ×3, first 2 shown]
	s_waitcnt vmcnt(13)
	s_delay_alu instid0(VALU_DEP_2) | instskip(SKIP_4) | instid1(VALU_DEP_2)
	v_dual_mul_f32 v18, v31, v18 :: v_dual_cndmask_b32 v19, 0, v19
	v_cmp_lt_i32_e32 vcc_lo, 0x60, v15
	v_cndmask_b32_e32 v20, 0, v20, vcc_lo
	v_cmp_lt_i32_e32 vcc_lo, 0x80, v15
	s_waitcnt vmcnt(11)
	v_dual_mul_f32 v20, v33, v20 :: v_dual_cndmask_b32 v21, 0, v21
	v_cmp_lt_i32_e32 vcc_lo, 0xa0, v15
	v_cndmask_b32_e32 v22, 0, v22, vcc_lo
	v_cmp_lt_i32_e32 vcc_lo, 0xc0, v15
	s_waitcnt vmcnt(9)
	s_delay_alu instid0(VALU_DEP_2) | instskip(SKIP_4) | instid1(VALU_DEP_2)
	v_dual_mul_f32 v22, v40, v22 :: v_dual_cndmask_b32 v23, 0, v23
	v_cmp_lt_i32_e32 vcc_lo, 0xe0, v15
	v_cndmask_b32_e32 v24, 0, v24, vcc_lo
	v_cmp_lt_i32_e32 vcc_lo, 0x100, v15
	s_waitcnt vmcnt(7)
	v_mul_f32_e32 v5, v5, v24
	v_cndmask_b32_e32 v25, 0, v25, vcc_lo
	v_cmp_lt_i32_e32 vcc_lo, 0x120, v15
	s_waitcnt vmcnt(6)
	s_delay_alu instid0(VALU_DEP_2) | instskip(SKIP_3) | instid1(VALU_DEP_2)
	v_mul_f32_e32 v4, v4, v25
	v_cndmask_b32_e32 v26, 0, v26, vcc_lo
	v_cmp_lt_i32_e32 vcc_lo, 0x140, v15
	s_waitcnt vmcnt(5)
	v_dual_sub_f32 v25, v49, v76 :: v_dual_mul_f32 v6, v6, v26
	v_cndmask_b32_e32 v27, 0, v27, vcc_lo
	v_cmp_lt_i32_e32 vcc_lo, 0x160, v15
	s_waitcnt vmcnt(4)
	s_delay_alu instid0(VALU_DEP_2)
	v_dual_mul_f32 v26, 0x3fb8aa3b, v34 :: v_dual_mul_f32 v7, v7, v27
	v_cndmask_b32_e32 v24, 0, v28, vcc_lo
	v_dual_mul_f32 v28, 0x3fb8aa3b, v3 :: v_dual_mul_f32 v17, v30, v17
	v_cvt_i32_f32_e32 v30, v76
	v_cmp_ngt_f32_e32 vcc_lo, 0xc2ce8ed0, v29
	s_waitcnt vmcnt(3)
	v_mul_f32_e32 v8, v8, v24
	v_add_f32_e32 v24, v25, v75
	v_fma_f32 v16, 0x3fb8aa3b, v34, -v26
	v_fma_f32 v31, 0x3fb8aa3b, v3, -v28
	s_delay_alu instid0(VALU_DEP_3) | instskip(NEXT) | instid1(VALU_DEP_1)
	v_exp_f32_e32 v24, v24
	v_dual_fmac_f32 v16, 0x32a5705f, v34 :: v_dual_fmac_f32 v31, 0x32a5705f, v3
	s_waitcnt_depctr 0xfff
	v_ldexp_f32 v24, v24, v30
	s_delay_alu instid0(VALU_DEP_1) | instskip(SKIP_3) | instid1(VALU_DEP_4)
	v_cndmask_b32_e32 v24, 0, v24, vcc_lo
	v_cmp_nlt_f32_e32 vcc_lo, 0x42b17218, v29
	v_mul_f32_e32 v19, v32, v19
	v_rndne_f32_e32 v32, v28
	v_dual_cndmask_b32 v24, 0x7f800000, v24 :: v_dual_add_f32 v27, v17, v18
	v_cmp_lt_i32_e32 vcc_lo, 0x180, v15
	s_delay_alu instid0(VALU_DEP_2) | instskip(SKIP_1) | instid1(VALU_DEP_4)
	v_add_f32_e32 v25, v27, v19
	v_rndne_f32_e32 v27, v26
	v_dual_cndmask_b32 v24, 0, v24 :: v_dual_mul_f32 v21, v39, v21
	v_cmp_ngt_f32_e32 vcc_lo, 0xc2ce8ed0, v34
	s_delay_alu instid0(VALU_DEP_3) | instskip(SKIP_3) | instid1(VALU_DEP_3)
	v_dual_add_f32 v25, v25, v20 :: v_dual_sub_f32 v26, v26, v27
	v_cvt_i32_f32_e32 v27, v27
	s_waitcnt vmcnt(2)
	v_mul_f32_e32 v9, v9, v24
	v_dual_add_f32 v25, v25, v21 :: v_dual_add_f32 v16, v26, v16
	s_delay_alu instid0(VALU_DEP_1) | instskip(NEXT) | instid1(VALU_DEP_2)
	v_dual_sub_f32 v26, v28, v32 :: v_dual_add_f32 v25, v25, v22
	v_exp_f32_e32 v16, v16
	s_delay_alu instid0(VALU_DEP_1) | instskip(NEXT) | instid1(VALU_DEP_1)
	v_add_f32_e32 v26, v26, v31
	v_exp_f32_e32 v26, v26
	s_waitcnt_depctr 0xfff
	v_ldexp_f32 v16, v16, v27
	v_cvt_i32_f32_e32 v27, v32
	s_delay_alu instid0(VALU_DEP_2) | instskip(SKIP_1) | instid1(VALU_DEP_3)
	v_dual_cndmask_b32 v16, 0, v16 :: v_dual_mul_f32 v23, v53, v23
	v_cmp_nlt_f32_e32 vcc_lo, 0x42b17218, v34
	v_ldexp_f32 v24, v26, v27
	s_delay_alu instid0(VALU_DEP_3) | instskip(SKIP_1) | instid1(VALU_DEP_2)
	v_dual_add_f32 v25, v25, v23 :: v_dual_cndmask_b32 v16, 0x7f800000, v16
	v_cmp_ngt_f32_e32 vcc_lo, 0xc2ce8ed0, v3
	v_dual_add_f32 v25, v25, v5 :: v_dual_cndmask_b32 v24, 0, v24
	v_cmp_lt_i32_e32 vcc_lo, 0x1a0, v15
	s_delay_alu instid0(VALU_DEP_2) | instskip(SKIP_2) | instid1(VALU_DEP_3)
	v_add_f32_e32 v25, v25, v4
	v_cndmask_b32_e32 v16, 0, v16, vcc_lo
	v_cmp_nlt_f32_e32 vcc_lo, 0x42b17218, v3
	v_add_f32_e32 v25, v25, v6
	s_waitcnt vmcnt(1)
	s_delay_alu instid0(VALU_DEP_3) | instskip(SKIP_1) | instid1(VALU_DEP_3)
	v_mul_f32_e32 v13, v13, v16
	v_cndmask_b32_e32 v3, 0x7f800000, v24, vcc_lo
	v_add_f32_e32 v25, v25, v7
	v_cmp_lt_i32_e32 vcc_lo, 0x1c0, v15
	s_delay_alu instid0(VALU_DEP_2) | instskip(NEXT) | instid1(VALU_DEP_1)
	v_dual_add_f32 v24, v25, v8 :: v_dual_cndmask_b32 v3, 0, v3
	v_add_f32_e32 v15, v24, v9
	s_waitcnt vmcnt(0)
	s_delay_alu instid0(VALU_DEP_1) | instskip(NEXT) | instid1(VALU_DEP_1)
	v_dual_mul_f32 v3, v14, v3 :: v_dual_add_f32 v14, v15, v13
	v_add_f32_e32 v14, v14, v3
	ds_bpermute_b32 v2, v2, v14
	s_waitcnt lgkmcnt(0)
	v_add_f32_e32 v2, v14, v2
	ds_bpermute_b32 v1, v1, v2
	s_waitcnt lgkmcnt(0)
	v_add_f32_e32 v1, v2, v1
	ds_bpermute_b32 v2, v10, v1
	v_lshlrev_b32_e32 v10, 2, v0
	ds_store_2addr_b32 v10, v17, v18 offset1:32
	s_waitcnt lgkmcnt(1)
	v_add_f32_e32 v1, v1, v2
	ds_bpermute_b32 v2, v11, v1
	v_add_nc_u32_e32 v11, 0x400, v10
	ds_store_2addr_b32 v10, v19, v20 offset0:64 offset1:96
	ds_store_2addr_b32 v10, v21, v22 offset0:128 offset1:160
	;; [unrolled: 1-line block ×3, first 2 shown]
	ds_store_2addr_b32 v11, v4, v6 offset1:32
	ds_store_2addr_b32 v11, v7, v8 offset0:64 offset1:96
	ds_store_2addr_b32 v11, v9, v13 offset0:128 offset1:160
	ds_store_b32 v10, v3 offset:1792
	s_waitcnt lgkmcnt(7)
	v_add_f32_e32 v1, v1, v2
	ds_bpermute_b32 v2, v12, v1
	v_cmpx_eq_u32_e32 0, v0
	s_cbranch_execz .LBB284_8
; %bb.7:
	s_waitcnt lgkmcnt(0)
	v_dual_add_f32 v1, v1, v2 :: v_dual_mov_b32 v2, 0
	ds_store_b32 v2, v1 offset:1920
.LBB284_8:
	s_or_b32 exec_lo, exec_lo, s7
	v_mov_b32_e32 v1, s6
.LBB284_9:
	s_or_b32 exec_lo, exec_lo, s24
	s_lshl_b32 s6, s18, 7
	s_mov_b32 s7, 0
	s_waitcnt lgkmcnt(0)
	v_dual_mov_b32 v2, 0 :: v_dual_lshlrev_b32 v1, 7, v1
	s_lshl_b64 s[6:7], s[6:7], 1
	v_lshlrev_b32_e32 v0, 1, v0
	s_add_u32 s34, s4, s6
	s_addc_u32 s35, s5, s7
	s_lshl_b32 s41, s40, 7
	v_lshlrev_b64 v[3:4], 1, v[1:2]
	s_add_i32 s42, s41, 0xffffff80
	s_cmpk_lt_i32 s22, 0x100
	v_dual_mov_b32 v30, 0 :: v_dual_mov_b32 v33, 0
	s_cselect_b32 s4, s42, 0
	s_delay_alu instid0(VALU_DEP_2)
	v_add_co_u32 v1, vcc_lo, s34, v3
	s_ashr_i32 s5, s4, 31
	v_add_co_ci_u32_e32 v3, vcc_lo, s35, v4, vcc_lo
	s_lshl_b64 s[4:5], s[4:5], 1
	s_cmpk_lt_i32 s22, 0x200
	v_add_co_u32 v1, vcc_lo, v1, v0
	s_cselect_b32 s6, s42, 0x80
	v_add_co_ci_u32_e32 v3, vcc_lo, 0, v3, vcc_lo
	s_ashr_i32 s7, s6, 31
	s_delay_alu instid0(VALU_DEP_2)
	v_add_co_u32 v4, vcc_lo, v1, s4
	s_lshl_b64 s[6:7], s[6:7], 1
	s_cmpk_lt_i32 s22, 0x300
	v_add_co_ci_u32_e32 v5, vcc_lo, s5, v3, vcc_lo
	s_cselect_b32 s8, s42, 0x100
	v_add_co_u32 v8, vcc_lo, v1, s6
	s_ashr_i32 s9, s8, 31
	v_add_co_ci_u32_e32 v9, vcc_lo, s7, v3, vcc_lo
	s_lshl_b64 s[8:9], s[8:9], 1
	s_cmpk_lt_i32 s22, 0x400
	v_add_co_u32 v10, vcc_lo, v1, s8
	s_cselect_b32 s10, s42, 0x180
	v_add_co_ci_u32_e32 v11, vcc_lo, s9, v3, vcc_lo
	s_ashr_i32 s11, s10, 31
	v_dual_mov_b32 v32, 0 :: v_dual_mov_b32 v35, 0
	s_lshl_b64 s[10:11], s[10:11], 1
	s_cmpk_lt_i32 s22, 0x500
	v_add_co_u32 v12, vcc_lo, v1, s10
	s_cselect_b32 s18, s42, 0x200
	v_add_co_ci_u32_e32 v13, vcc_lo, s11, v3, vcc_lo
	s_ashr_i32 s19, s18, 31
	v_mov_b32_e32 v34, 0
	s_lshl_b64 s[18:19], s[18:19], 1
	s_cmpk_lt_i32 s22, 0x600
	v_add_co_u32 v14, vcc_lo, v1, s18
	s_cselect_b32 s20, s42, 0x280
	v_add_co_ci_u32_e32 v15, vcc_lo, s19, v3, vcc_lo
	s_ashr_i32 s21, s20, 31
	v_mov_b32_e32 v29, 0
	;; [unrolled: 7-line block ×3, first 2 shown]
	s_lshl_b64 s[24:25], s[24:25], 1
	s_cmpk_lt_i32 s22, 0x800
	v_add_co_u32 v18, vcc_lo, v1, s24
	s_cselect_b32 s26, s42, 0x380
	v_add_co_ci_u32_e32 v19, vcc_lo, s25, v3, vcc_lo
	s_ashr_i32 s27, s26, 31
	s_delay_alu instid0(SALU_CYCLE_1)
	s_lshl_b64 s[26:27], s[26:27], 1
	s_cmpk_lt_i32 s22, 0x900
	v_add_co_u32 v20, vcc_lo, v1, s26
	s_cselect_b32 s28, s42, 0x400
	v_add_co_ci_u32_e32 v21, vcc_lo, s27, v3, vcc_lo
	s_ashr_i32 s29, s28, 31
	s_clause 0x7
	global_load_u16 v7, v[4:5], off
	global_load_u16 v8, v[8:9], off
	;; [unrolled: 1-line block ×8, first 2 shown]
	s_lshl_b64 s[28:29], s[28:29], 1
	s_cmpk_lt_i32 s22, 0xa00
	v_add_co_u32 v12, vcc_lo, v1, s28
	s_cselect_b32 s30, s42, 0x480
	v_add_co_ci_u32_e32 v13, vcc_lo, s29, v3, vcc_lo
	s_ashr_i32 s31, s30, 31
	s_delay_alu instid0(SALU_CYCLE_1)
	s_lshl_b64 s[30:31], s[30:31], 1
	s_cmpk_lt_i32 s22, 0xb00
	v_add_co_u32 v15, vcc_lo, v1, s30
	s_cselect_b32 s34, s42, 0x500
	v_add_co_ci_u32_e32 v16, vcc_lo, s31, v3, vcc_lo
	s_ashr_i32 s35, s34, 31
	s_delay_alu instid0(SALU_CYCLE_1)
	;; [unrolled: 7-line block ×7, first 2 shown]
	s_lshl_b64 s[4:5], s[6:7], 1
	s_cmpk_gt_i32 s23, 0x1000
	v_add_co_u32 v27, vcc_lo, v1, s4
	v_add_co_ci_u32_e32 v28, vcc_lo, s5, v3, vcc_lo
	s_clause 0x7
	global_load_u16 v14, v[12:13], off
	global_load_u16 v15, v[15:16], off
	;; [unrolled: 1-line block ×8, first 2 shown]
	v_dual_mov_b32 v20, 0 :: v_dual_mov_b32 v23, 0
	v_dual_mov_b32 v21, 0 :: v_dual_mov_b32 v22, 0
	;; [unrolled: 1-line block ×4, first 2 shown]
	v_mov_b32_e32 v28, 0
	s_cselect_b32 s8, -1, 0
	s_cmpk_lt_i32 s23, 0x1001
	s_waitcnt vmcnt(0)
	s_barrier
	buffer_gl0_inv
	s_cbranch_scc1 .LBB284_11
; %bb.10:
	s_cmpk_lt_i32 s22, 0x1100
	s_cselect_b32 s4, s42, 0x800
	s_delay_alu instid0(SALU_CYCLE_1) | instskip(NEXT) | instid1(SALU_CYCLE_1)
	s_ashr_i32 s5, s4, 31
	s_lshl_b64 s[4:5], s[4:5], 1
	s_cmpk_lt_i32 s22, 0x1200
	v_add_co_u32 v20, vcc_lo, v1, s4
	s_cselect_b32 s6, s42, 0x880
	v_add_co_ci_u32_e32 v21, vcc_lo, s5, v3, vcc_lo
	s_ashr_i32 s7, s6, 31
	s_delay_alu instid0(SALU_CYCLE_1)
	s_lshl_b64 s[6:7], s[6:7], 1
	s_cmpk_lt_i32 s22, 0x1300
	v_add_co_u32 v22, vcc_lo, v1, s6
	s_cselect_b32 s10, s42, 0x900
	v_add_co_ci_u32_e32 v23, vcc_lo, s7, v3, vcc_lo
	s_ashr_i32 s11, s10, 31
	s_delay_alu instid0(SALU_CYCLE_1)
	;; [unrolled: 7-line block ×7, first 2 shown]
	s_lshl_b64 s[28:29], s[28:29], 1
	s_cmpk_lt_i32 s22, 0x1900
	v_add_co_u32 v34, vcc_lo, v1, s28
	s_cselect_b32 s30, s42, 0xc00
	v_add_co_ci_u32_e32 v35, vcc_lo, s29, v3, vcc_lo
	s_ashr_i32 s31, s30, 31
	s_clause 0x7
	global_load_u16 v36, v[20:21], off
	global_load_u16 v37, v[22:23], off
	global_load_u16 v38, v[24:25], off
	global_load_u16 v39, v[26:27], off
	global_load_u16 v40, v[28:29], off
	global_load_u16 v41, v[30:31], off
	global_load_u16 v42, v[32:33], off
	global_load_u16 v43, v[34:35], off
	s_lshl_b64 s[30:31], s[30:31], 1
	s_cmpk_lt_i32 s22, 0x1a00
	v_add_co_u32 v20, vcc_lo, v1, s30
	s_cselect_b32 s34, s42, 0xc80
	v_add_co_ci_u32_e32 v21, vcc_lo, s31, v3, vcc_lo
	s_ashr_i32 s35, s34, 31
	s_delay_alu instid0(SALU_CYCLE_1)
	s_lshl_b64 s[34:35], s[34:35], 1
	s_cmpk_lt_i32 s22, 0x1b00
	v_add_co_u32 v22, vcc_lo, v1, s34
	s_cselect_b32 s36, s42, 0xd00
	v_add_co_ci_u32_e32 v23, vcc_lo, s35, v3, vcc_lo
	s_ashr_i32 s37, s36, 31
	s_delay_alu instid0(SALU_CYCLE_1)
	;; [unrolled: 7-line block ×6, first 2 shown]
	s_lshl_b64 s[4:5], s[20:21], 1
	s_cmpk_lt_i32 s22, 0x2000
	v_add_co_u32 v32, vcc_lo, v1, s4
	s_cselect_b32 s6, s42, 0xf80
	v_add_co_ci_u32_e32 v33, vcc_lo, s5, v3, vcc_lo
	s_ashr_i32 s7, s6, 31
	s_delay_alu instid0(SALU_CYCLE_1) | instskip(NEXT) | instid1(SALU_CYCLE_1)
	s_lshl_b64 s[4:5], s[6:7], 1
	v_add_co_u32 v34, vcc_lo, v1, s4
	v_add_co_ci_u32_e32 v35, vcc_lo, s5, v3, vcc_lo
	s_clause 0x7
	global_load_u16 v20, v[20:21], off
	global_load_u16 v21, v[22:23], off
	;; [unrolled: 1-line block ×8, first 2 shown]
	s_waitcnt vmcnt(15)
	v_cvt_f32_f16_e32 v35, v36
	s_waitcnt vmcnt(14)
	v_cvt_f32_f16_e32 v34, v37
	;; [unrolled: 2-line block ×16, first 2 shown]
.LBB284_11:
	ds_load_b128 v[36:39], v2
	ds_load_b128 v[40:43], v2 offset:16
	s_load_b64 s[0:1], s[0:1], 0x0
	s_and_b32 vcc_lo, exec_lo, s8
	s_waitcnt lgkmcnt(0)
	v_fma_mix_f32 v7, v36, v7, 0 op_sel_hi:[0,1,0]
	s_delay_alu instid0(VALU_DEP_1) | instskip(NEXT) | instid1(VALU_DEP_1)
	v_fma_mix_f32 v7, v37, v8, v7 op_sel_hi:[0,1,0]
	v_fma_mix_f32 v7, v38, v9, v7 op_sel_hi:[0,1,0]
	s_delay_alu instid0(VALU_DEP_1) | instskip(SKIP_4) | instid1(VALU_DEP_1)
	v_fma_mix_f32 v7, v39, v10, v7 op_sel_hi:[0,1,0]
	ds_load_b128 v[36:39], v2 offset:48
	v_fma_mix_f32 v11, v40, v11, v7 op_sel_hi:[0,1,0]
	ds_load_b128 v[7:10], v2 offset:32
	v_fma_mix_f32 v4, v41, v4, v11 op_sel_hi:[0,1,0]
	v_fma_mix_f32 v4, v42, v5, v4 op_sel_hi:[0,1,0]
	s_delay_alu instid0(VALU_DEP_1) | instskip(SKIP_1) | instid1(VALU_DEP_1)
	v_fma_mix_f32 v4, v43, v6, v4 op_sel_hi:[0,1,0]
	s_waitcnt lgkmcnt(0)
	v_fma_mix_f32 v4, v7, v14, v4 op_sel_hi:[0,1,0]
	s_delay_alu instid0(VALU_DEP_1) | instskip(NEXT) | instid1(VALU_DEP_1)
	v_fma_mix_f32 v4, v8, v15, v4 op_sel_hi:[0,1,0]
	v_fma_mix_f32 v4, v9, v16, v4 op_sel_hi:[0,1,0]
	s_delay_alu instid0(VALU_DEP_1) | instskip(NEXT) | instid1(VALU_DEP_1)
	v_fma_mix_f32 v4, v10, v17, v4 op_sel_hi:[0,1,0]
	;; [unrolled: 3-line block ×3, first 2 shown]
	v_fma_mix_f32 v4, v38, v13, v4 op_sel_hi:[0,1,0]
	s_delay_alu instid0(VALU_DEP_1)
	v_fma_mix_f32 v4, v39, v19, v4 op_sel_hi:[0,1,0]
	s_cbranch_vccz .LBB284_13
; %bb.12:
	ds_load_b128 v[5:8], v2 offset:64
	ds_load_b128 v[9:12], v2 offset:80
	s_waitcnt lgkmcnt(1)
	v_fmac_f32_e32 v4, v5, v35
	s_delay_alu instid0(VALU_DEP_1) | instskip(NEXT) | instid1(VALU_DEP_1)
	v_fmac_f32_e32 v4, v6, v34
	v_fmac_f32_e32 v4, v7, v33
	s_delay_alu instid0(VALU_DEP_1) | instskip(SKIP_3) | instid1(VALU_DEP_1)
	v_fmac_f32_e32 v4, v8, v32
	ds_load_b128 v[5:8], v2 offset:96
	s_waitcnt lgkmcnt(1)
	v_fmac_f32_e32 v4, v9, v31
	v_fmac_f32_e32 v4, v10, v30
	s_delay_alu instid0(VALU_DEP_1) | instskip(NEXT) | instid1(VALU_DEP_1)
	v_fmac_f32_e32 v4, v11, v29
	v_fmac_f32_e32 v4, v12, v28
	ds_load_b128 v[9:12], v2 offset:112
	s_waitcnt lgkmcnt(1)
	v_fmac_f32_e32 v4, v5, v27
	s_delay_alu instid0(VALU_DEP_1) | instskip(NEXT) | instid1(VALU_DEP_1)
	v_fmac_f32_e32 v4, v6, v26
	v_fmac_f32_e32 v4, v7, v25
	s_delay_alu instid0(VALU_DEP_1) | instskip(SKIP_1) | instid1(VALU_DEP_1)
	v_fmac_f32_e32 v4, v8, v24
	s_waitcnt lgkmcnt(0)
	v_fmac_f32_e32 v4, v9, v23
	s_delay_alu instid0(VALU_DEP_1) | instskip(NEXT) | instid1(VALU_DEP_1)
	v_fmac_f32_e32 v4, v10, v22
	v_fmac_f32_e32 v4, v11, v21
	s_delay_alu instid0(VALU_DEP_1)
	v_fmac_f32_e32 v4, v12, v20
.LBB284_13:
	s_movk_i32 s43, 0x1f80
	s_movk_i32 s44, 0x80
	s_mov_b32 s45, 32
	s_branch .LBB284_15
.LBB284_14:                             ;   in Loop: Header=BB284_15 Depth=1
	s_addk_i32 s43, 0x1000
	s_addk_i32 s44, 0x80
	s_add_i32 s45, s45, 32
	s_cmpk_eq_u32 s43, 0xff80
	s_cbranch_scc1 .LBB284_17
.LBB284_15:                             ; =>This Inner Loop Header: Depth=1
	s_cmp_le_i32 s40, s45
	s_cbranch_scc1 .LBB284_14
; %bb.16:                               ;   in Loop: Header=BB284_15 Depth=1
	s_add_i32 s4, s43, 0xfffff080
	v_mov_b32_e32 v44, s44
	s_cmp_lt_i32 s4, s41
	s_cselect_b32 s4, s4, s42
	s_add_i32 s6, s43, 0xfffff100
	s_ashr_i32 s5, s4, 31
	s_delay_alu instid0(SALU_CYCLE_1)
	s_lshl_b64 s[4:5], s[4:5], 1
	s_cmp_lt_i32 s6, s41
	v_add_co_u32 v5, vcc_lo, v1, s4
	s_cselect_b32 s6, s6, s42
	s_add_i32 s10, s43, 0xfffff180
	s_ashr_i32 s7, s6, 31
	v_add_co_ci_u32_e32 v6, vcc_lo, s5, v3, vcc_lo
	s_lshl_b64 s[8:9], s[6:7], 1
	s_cmp_lt_i32 s10, s41
	v_add_co_u32 v7, vcc_lo, v1, s8
	s_cselect_b32 s6, s10, s42
	s_add_i32 s10, s43, 0xfffff200
	s_ashr_i32 s7, s6, 31
	v_add_co_ci_u32_e32 v8, vcc_lo, s9, v3, vcc_lo
	;; [unrolled: 7-line block ×8, first 2 shown]
	s_lshl_b64 s[24:25], s[20:21], 1
	s_cmp_lt_i32 s28, s41
	s_clause 0x7
	global_load_u16 v2, v[5:6], off
	global_load_u16 v21, v[7:8], off
	;; [unrolled: 1-line block ×8, first 2 shown]
	s_cselect_b32 s20, s28, s42
	s_add_i32 s28, s43, 0xfffff580
	s_ashr_i32 s21, s20, 31
	v_add_co_u32 v5, vcc_lo, v1, s24
	s_lshl_b64 s[20:21], s[20:21], 1
	s_cmp_lt_i32 s28, s41
	v_add_co_ci_u32_e32 v6, vcc_lo, s25, v3, vcc_lo
	s_cselect_b32 s28, s28, s42
	s_add_i32 s36, s43, 0xfffff600
	s_ashr_i32 s29, s28, 31
	v_add_co_u32 v7, vcc_lo, v1, s20
	s_lshl_b64 s[30:31], s[28:29], 1
	s_cmp_lt_i32 s36, s41
	v_add_co_ci_u32_e32 v8, vcc_lo, s21, v3, vcc_lo
	;; [unrolled: 7-line block ×8, first 2 shown]
	s_cselect_b32 s10, s10, s42
	s_add_i32 s18, s43, 0xfffff980
	s_ashr_i32 s11, s10, 31
	s_clause 0x7
	global_load_u16 v28, v[5:6], off
	global_load_u16 v29, v[7:8], off
	;; [unrolled: 1-line block ×8, first 2 shown]
	s_lshl_b64 s[10:11], s[10:11], 1
	s_cmp_lt_i32 s18, s41
	v_add_co_u32 v5, vcc_lo, v1, s4
	s_cselect_b32 s18, s18, s42
	s_add_i32 s22, s43, 0xfffffa00
	s_ashr_i32 s19, s18, 31
	v_add_co_ci_u32_e32 v6, vcc_lo, s5, v3, vcc_lo
	s_lshl_b64 s[18:19], s[18:19], 1
	s_cmp_lt_i32 s22, s41
	v_add_co_u32 v7, vcc_lo, v1, s10
	s_cselect_b32 s20, s22, s42
	s_add_i32 s22, s43, 0xfffffa80
	s_ashr_i32 s21, s20, 31
	v_add_co_ci_u32_e32 v8, vcc_lo, s11, v3, vcc_lo
	;; [unrolled: 7-line block ×5, first 2 shown]
	s_lshl_b64 s[6:7], s[6:7], 1
	s_cmp_lt_i32 s24, s41
	s_clause 0x4
	global_load_u16 v19, v[5:6], off
	global_load_u16 v20, v[7:8], off
	;; [unrolled: 1-line block ×5, first 2 shown]
	s_cselect_b32 s4, s24, s42
	s_add_i32 s10, s43, 0xfffffc80
	s_ashr_i32 s5, s4, 31
	v_add_co_u32 v5, vcc_lo, v1, s8
	s_lshl_b64 s[4:5], s[4:5], 1
	s_cmp_lt_i32 s10, s41
	v_add_co_ci_u32_e32 v6, vcc_lo, s9, v3, vcc_lo
	s_cselect_b32 s10, s10, s42
	s_add_i32 s18, s43, 0xfffffd00
	s_ashr_i32 s11, s10, 31
	v_add_co_u32 v7, vcc_lo, v1, s6
	s_lshl_b64 s[10:11], s[10:11], 1
	s_cmp_lt_i32 s18, s41
	v_add_co_ci_u32_e32 v8, vcc_lo, s7, v3, vcc_lo
	s_cselect_b32 s18, s18, s42
	s_add_i32 s20, s43, 0xfffffd80
	s_ashr_i32 s19, s18, 31
	v_add_co_u32 v9, vcc_lo, v1, s4
	s_lshl_b64 s[18:19], s[18:19], 1
	s_cmp_lt_i32 s20, s41
	global_load_u16 v37, v[5:6], off
	s_cselect_b32 s8, s20, s42
	s_add_i32 s20, s43, 0xfffffe00
	s_ashr_i32 s9, s8, 31
	v_add_co_ci_u32_e32 v10, vcc_lo, s5, v3, vcc_lo
	s_lshl_b64 s[6:7], s[8:9], 1
	s_cmp_lt_i32 s20, s41
	v_add_co_u32 v11, vcc_lo, v1, s10
	s_cselect_b32 s4, s20, s42
	s_clause 0x1
	global_load_u16 v38, v[7:8], off
	global_load_u16 v39, v[9:10], off
	v_add_co_ci_u32_e32 v12, vcc_lo, s11, v3, vcc_lo
	s_ashr_i32 s5, s4, 31
	s_add_i32 s8, s43, 0xfffffe80
	v_add_co_u32 v13, vcc_lo, v1, s18
	s_lshl_b64 s[4:5], s[4:5], 1
	s_cmp_lt_i32 s8, s41
	v_add_co_ci_u32_e32 v14, vcc_lo, s19, v3, vcc_lo
	v_add_co_u32 v15, vcc_lo, v1, s6
	s_cselect_b32 s8, s8, s42
	v_add_co_ci_u32_e32 v16, vcc_lo, s7, v3, vcc_lo
	s_ashr_i32 s9, s8, 31
	s_add_i32 s10, s43, 0xffffff00
	s_lshl_b64 s[6:7], s[8:9], 1
	s_clause 0x2
	global_load_u16 v40, v[11:12], off
	global_load_u16 v13, v[13:14], off
	;; [unrolled: 1-line block ×3, first 2 shown]
	s_cmp_lt_i32 s10, s41
	v_add_co_u32 v5, vcc_lo, v1, s4
	s_cselect_b32 s8, s10, s42
	s_add_i32 s10, s43, 0xffffff80
	s_ashr_i32 s9, s8, 31
	v_add_co_ci_u32_e32 v6, vcc_lo, s5, v3, vcc_lo
	s_lshl_b64 s[8:9], s[8:9], 1
	s_cmp_lt_i32 s10, s41
	v_add_co_u32 v7, vcc_lo, v1, s6
	s_cselect_b32 s4, s10, s42
	v_add_co_ci_u32_e32 v8, vcc_lo, s7, v3, vcc_lo
	s_ashr_i32 s5, s4, 31
	v_add_co_u32 v9, vcc_lo, v1, s8
	global_load_u16 v15, v[5:6], off
	s_lshl_b64 s[4:5], s[4:5], 1
	v_add_co_ci_u32_e32 v10, vcc_lo, s9, v3, vcc_lo
	s_cmp_lt_i32 s43, s41
	s_clause 0x1
	global_load_u16 v16, v[7:8], off
	global_load_u16 v41, v[9:10], off
	s_cselect_b32 s6, s43, s42
	v_add_co_u32 v5, vcc_lo, v1, s4
	s_ashr_i32 s7, s6, 31
	v_add_co_ci_u32_e32 v6, vcc_lo, s5, v3, vcc_lo
	s_lshl_b64 s[4:5], s[6:7], 1
	s_delay_alu instid0(SALU_CYCLE_1)
	v_add_co_u32 v7, vcc_lo, v1, s4
	v_add_co_ci_u32_e32 v8, vcc_lo, s5, v3, vcc_lo
	s_clause 0x1
	global_load_u16 v42, v[5:6], off
	global_load_u16 v43, v[7:8], off
	ds_load_b128 v[5:8], v44
	ds_load_b128 v[9:12], v44 offset:16
	s_waitcnt vmcnt(31) lgkmcnt(1)
	v_fma_mix_f32 v2, v5, v2, v4 op_sel_hi:[0,1,0]
	s_waitcnt vmcnt(30)
	s_delay_alu instid0(VALU_DEP_1) | instskip(SKIP_1) | instid1(VALU_DEP_1)
	v_fma_mix_f32 v2, v6, v21, v2 op_sel_hi:[0,1,0]
	s_waitcnt vmcnt(29)
	v_fma_mix_f32 v2, v7, v22, v2 op_sel_hi:[0,1,0]
	ds_load_b128 v[4:7], v44 offset:32
	s_waitcnt vmcnt(28)
	v_fma_mix_f32 v2, v8, v23, v2 op_sel_hi:[0,1,0]
	s_waitcnt vmcnt(27) lgkmcnt(1)
	s_delay_alu instid0(VALU_DEP_1) | instskip(SKIP_1) | instid1(VALU_DEP_1)
	v_fma_mix_f32 v2, v9, v24, v2 op_sel_hi:[0,1,0]
	s_waitcnt vmcnt(26)
	v_fma_mix_f32 v2, v10, v25, v2 op_sel_hi:[0,1,0]
	s_waitcnt vmcnt(25)
	s_delay_alu instid0(VALU_DEP_1) | instskip(SKIP_4) | instid1(VALU_DEP_1)
	v_fma_mix_f32 v2, v11, v26, v2 op_sel_hi:[0,1,0]
	ds_load_b128 v[8:11], v44 offset:48
	s_waitcnt vmcnt(24)
	v_fma_mix_f32 v2, v12, v27, v2 op_sel_hi:[0,1,0]
	s_waitcnt vmcnt(23) lgkmcnt(1)
	v_fma_mix_f32 v2, v4, v28, v2 op_sel_hi:[0,1,0]
	s_waitcnt vmcnt(22)
	s_delay_alu instid0(VALU_DEP_1) | instskip(SKIP_1) | instid1(VALU_DEP_1)
	v_fma_mix_f32 v2, v5, v29, v2 op_sel_hi:[0,1,0]
	s_waitcnt vmcnt(21)
	v_fma_mix_f32 v2, v6, v30, v2 op_sel_hi:[0,1,0]
	s_waitcnt vmcnt(20)
	s_delay_alu instid0(VALU_DEP_1) | instskip(SKIP_4) | instid1(VALU_DEP_1)
	v_fma_mix_f32 v2, v7, v31, v2 op_sel_hi:[0,1,0]
	ds_load_b128 v[4:7], v44 offset:64
	s_waitcnt vmcnt(19) lgkmcnt(1)
	v_fma_mix_f32 v2, v8, v32, v2 op_sel_hi:[0,1,0]
	s_waitcnt vmcnt(18)
	v_fma_mix_f32 v2, v9, v33, v2 op_sel_hi:[0,1,0]
	s_waitcnt vmcnt(17)
	s_delay_alu instid0(VALU_DEP_1) | instskip(SKIP_1) | instid1(VALU_DEP_1)
	v_fma_mix_f32 v2, v10, v17, v2 op_sel_hi:[0,1,0]
	s_waitcnt vmcnt(16)
	v_fma_mix_f32 v2, v11, v18, v2 op_sel_hi:[0,1,0]
	ds_load_b128 v[8:11], v44 offset:80
	s_waitcnt vmcnt(15) lgkmcnt(1)
	v_fma_mix_f32 v2, v4, v19, v2 op_sel_hi:[0,1,0]
	s_waitcnt vmcnt(14)
	s_delay_alu instid0(VALU_DEP_1) | instskip(SKIP_1) | instid1(VALU_DEP_1)
	v_fma_mix_f32 v2, v5, v20, v2 op_sel_hi:[0,1,0]
	s_waitcnt vmcnt(13)
	v_fma_mix_f32 v2, v6, v34, v2 op_sel_hi:[0,1,0]
	s_waitcnt vmcnt(12)
	s_delay_alu instid0(VALU_DEP_1) | instskip(SKIP_4) | instid1(VALU_DEP_1)
	v_fma_mix_f32 v2, v7, v35, v2 op_sel_hi:[0,1,0]
	ds_load_b128 v[4:7], v44 offset:96
	s_waitcnt vmcnt(11) lgkmcnt(1)
	v_fma_mix_f32 v2, v8, v36, v2 op_sel_hi:[0,1,0]
	s_waitcnt vmcnt(10)
	v_fma_mix_f32 v2, v9, v37, v2 op_sel_hi:[0,1,0]
	s_waitcnt vmcnt(9)
	s_delay_alu instid0(VALU_DEP_1) | instskip(SKIP_1) | instid1(VALU_DEP_1)
	v_fma_mix_f32 v2, v10, v38, v2 op_sel_hi:[0,1,0]
	s_waitcnt vmcnt(8)
	v_fma_mix_f32 v2, v11, v39, v2 op_sel_hi:[0,1,0]
	ds_load_b128 v[8:11], v44 offset:112
	s_waitcnt vmcnt(7) lgkmcnt(1)
	v_fma_mix_f32 v2, v4, v40, v2 op_sel_hi:[0,1,0]
	s_waitcnt vmcnt(6)
	s_delay_alu instid0(VALU_DEP_1) | instskip(SKIP_1) | instid1(VALU_DEP_1)
	v_fma_mix_f32 v2, v5, v13, v2 op_sel_hi:[0,1,0]
	s_waitcnt vmcnt(5)
	v_fma_mix_f32 v2, v6, v14, v2 op_sel_hi:[0,1,0]
	s_waitcnt vmcnt(4)
	s_delay_alu instid0(VALU_DEP_1) | instskip(SKIP_1) | instid1(VALU_DEP_1)
	v_fma_mix_f32 v2, v7, v15, v2 op_sel_hi:[0,1,0]
	s_waitcnt vmcnt(3) lgkmcnt(0)
	v_fma_mix_f32 v2, v8, v16, v2 op_sel_hi:[0,1,0]
	s_waitcnt vmcnt(2)
	s_delay_alu instid0(VALU_DEP_1) | instskip(SKIP_1) | instid1(VALU_DEP_1)
	v_fma_mix_f32 v2, v9, v41, v2 op_sel_hi:[0,1,0]
	s_waitcnt vmcnt(1)
	v_fma_mix_f32 v2, v10, v42, v2 op_sel_hi:[0,1,0]
	s_waitcnt vmcnt(0)
	s_delay_alu instid0(VALU_DEP_1)
	v_fma_mix_f32 v4, v11, v43, v2 op_sel_hi:[0,1,0]
	s_branch .LBB284_14
.LBB284_17:
	v_mov_b32_e32 v1, 0
	s_and_b32 vcc_lo, exec_lo, s15
	ds_load_b32 v1, v1 offset:1920
	s_cbranch_vccz .LBB284_19
; %bb.18:
	s_add_u32 s2, s12, s16
	s_addc_u32 s3, s13, s17
	s_load_b32 s2, s[2:3], 0x0
	s_mov_b32 s3, 0
.LBB284_19:
	s_waitcnt lgkmcnt(0)
	v_add_f32_e32 v1, 0x358637bd, v1
	s_mul_i32 s3, s33, s3
	s_mul_hi_u32 s4, s33, s2
	s_mul_i32 s2, s33, s2
	s_add_i32 s3, s4, s3
	v_div_scale_f32 v2, null, v1, v1, 1.0
	s_lshl_b64 s[2:3], s[2:3], 8
	s_mov_b32 s15, 0
	s_add_u32 s2, s0, s2
	s_delay_alu instid0(VALU_DEP_1) | instskip(SKIP_2) | instid1(SALU_CYCLE_1)
	v_rcp_f32_e32 v3, v2
	s_addc_u32 s3, s1, s3
	s_lshl_b64 s[0:1], s[14:15], 8
	s_add_u32 s0, s2, s0
	s_addc_u32 s1, s3, s1
	s_waitcnt_depctr 0xfff
	v_fma_f32 v5, -v2, v3, 1.0
	s_delay_alu instid0(VALU_DEP_1) | instskip(SKIP_1) | instid1(VALU_DEP_1)
	v_fmac_f32_e32 v3, v5, v3
	v_div_scale_f32 v5, vcc_lo, 1.0, v1, 1.0
	v_mul_f32_e32 v6, v5, v3
	s_delay_alu instid0(VALU_DEP_1) | instskip(NEXT) | instid1(VALU_DEP_1)
	v_fma_f32 v7, -v2, v6, v5
	v_fmac_f32_e32 v6, v7, v3
	s_delay_alu instid0(VALU_DEP_1) | instskip(NEXT) | instid1(VALU_DEP_1)
	v_fma_f32 v2, -v2, v6, v5
	v_div_fmas_f32 v2, v2, v3, v6
	s_delay_alu instid0(VALU_DEP_1) | instskip(NEXT) | instid1(VALU_DEP_1)
	v_div_fixup_f32 v1, v2, v1, 1.0
	v_fma_mixlo_f16 v1, v4, v1, 0
	global_store_b16 v0, v1, s[0:1]
	s_nop 0
	s_sendmsg sendmsg(MSG_DEALLOC_VGPRS)
	s_endpgm
.LBB284_20:
	s_mov_b32 s4, 0
	s_branch .LBB284_2
	.section	.rodata,"a",@progbits
	.p2align	6, 0x0
	.amdhsa_kernel _Z35paged_attention_ll4mi_reduce_kernelIDF16_DF16_Li128ELi128ELi256ELi15EEvPT0_PKfS3_PKT_PKiS8_iS3_
		.amdhsa_group_segment_fixed_size 1924
		.amdhsa_private_segment_fixed_size 0
		.amdhsa_kernarg_size 320
		.amdhsa_user_sgpr_count 14
		.amdhsa_user_sgpr_dispatch_ptr 0
		.amdhsa_user_sgpr_queue_ptr 0
		.amdhsa_user_sgpr_kernarg_segment_ptr 1
		.amdhsa_user_sgpr_dispatch_id 0
		.amdhsa_user_sgpr_private_segment_size 0
		.amdhsa_wavefront_size32 1
		.amdhsa_uses_dynamic_stack 0
		.amdhsa_enable_private_segment 0
		.amdhsa_system_sgpr_workgroup_id_x 1
		.amdhsa_system_sgpr_workgroup_id_y 1
		.amdhsa_system_sgpr_workgroup_id_z 0
		.amdhsa_system_sgpr_workgroup_info 0
		.amdhsa_system_vgpr_workitem_id 0
		.amdhsa_next_free_vgpr 77
		.amdhsa_next_free_sgpr 47
		.amdhsa_reserve_vcc 1
		.amdhsa_float_round_mode_32 0
		.amdhsa_float_round_mode_16_64 0
		.amdhsa_float_denorm_mode_32 3
		.amdhsa_float_denorm_mode_16_64 3
		.amdhsa_dx10_clamp 1
		.amdhsa_ieee_mode 1
		.amdhsa_fp16_overflow 0
		.amdhsa_workgroup_processor_mode 1
		.amdhsa_memory_ordered 1
		.amdhsa_forward_progress 0
		.amdhsa_shared_vgpr_count 0
		.amdhsa_exception_fp_ieee_invalid_op 0
		.amdhsa_exception_fp_denorm_src 0
		.amdhsa_exception_fp_ieee_div_zero 0
		.amdhsa_exception_fp_ieee_overflow 0
		.amdhsa_exception_fp_ieee_underflow 0
		.amdhsa_exception_fp_ieee_inexact 0
		.amdhsa_exception_int_div_zero 0
	.end_amdhsa_kernel
	.section	.text._Z35paged_attention_ll4mi_reduce_kernelIDF16_DF16_Li128ELi128ELi256ELi15EEvPT0_PKfS3_PKT_PKiS8_iS3_,"axG",@progbits,_Z35paged_attention_ll4mi_reduce_kernelIDF16_DF16_Li128ELi128ELi256ELi15EEvPT0_PKfS3_PKT_PKiS8_iS3_,comdat
.Lfunc_end284:
	.size	_Z35paged_attention_ll4mi_reduce_kernelIDF16_DF16_Li128ELi128ELi256ELi15EEvPT0_PKfS3_PKT_PKiS8_iS3_, .Lfunc_end284-_Z35paged_attention_ll4mi_reduce_kernelIDF16_DF16_Li128ELi128ELi256ELi15EEvPT0_PKfS3_PKT_PKiS8_iS3_
                                        ; -- End function
	.section	.AMDGPU.csdata,"",@progbits
; Kernel info:
; codeLenInByte = 7936
; NumSgprs: 49
; NumVgprs: 77
; ScratchSize: 0
; MemoryBound: 0
; FloatMode: 240
; IeeeMode: 1
; LDSByteSize: 1924 bytes/workgroup (compile time only)
; SGPRBlocks: 6
; VGPRBlocks: 9
; NumSGPRsForWavesPerEU: 49
; NumVGPRsForWavesPerEU: 77
; Occupancy: 16
; WaveLimiterHint : 0
; COMPUTE_PGM_RSRC2:SCRATCH_EN: 0
; COMPUTE_PGM_RSRC2:USER_SGPR: 14
; COMPUTE_PGM_RSRC2:TRAP_HANDLER: 0
; COMPUTE_PGM_RSRC2:TGID_X_EN: 1
; COMPUTE_PGM_RSRC2:TGID_Y_EN: 1
; COMPUTE_PGM_RSRC2:TGID_Z_EN: 0
; COMPUTE_PGM_RSRC2:TIDIG_COMP_CNT: 0
	.section	.text._Z35paged_attention_ll4mi_reduce_kernelIDF16_DF16_Li128ELi128ELi256ELi16EEvPT0_PKfS3_PKT_PKiS8_iS3_,"axG",@progbits,_Z35paged_attention_ll4mi_reduce_kernelIDF16_DF16_Li128ELi128ELi256ELi16EEvPT0_PKfS3_PKT_PKiS8_iS3_,comdat
	.protected	_Z35paged_attention_ll4mi_reduce_kernelIDF16_DF16_Li128ELi128ELi256ELi16EEvPT0_PKfS3_PKT_PKiS8_iS3_ ; -- Begin function _Z35paged_attention_ll4mi_reduce_kernelIDF16_DF16_Li128ELi128ELi256ELi16EEvPT0_PKfS3_PKT_PKiS8_iS3_
	.globl	_Z35paged_attention_ll4mi_reduce_kernelIDF16_DF16_Li128ELi128ELi256ELi16EEvPT0_PKfS3_PKT_PKiS8_iS3_
	.p2align	8
	.type	_Z35paged_attention_ll4mi_reduce_kernelIDF16_DF16_Li128ELi128ELi256ELi16EEvPT0_PKfS3_PKT_PKiS8_iS3_,@function
_Z35paged_attention_ll4mi_reduce_kernelIDF16_DF16_Li128ELi128ELi256ELi16EEvPT0_PKfS3_PKT_PKiS8_iS3_: ; @_Z35paged_attention_ll4mi_reduce_kernelIDF16_DF16_Li128ELi128ELi256ELi16EEvPT0_PKfS3_PKT_PKiS8_iS3_
; %bb.0:
	s_load_b64 s[12:13], s[0:1], 0x28
	s_mov_b32 s2, s15
	s_waitcnt lgkmcnt(0)
	s_cmp_lg_u64 s[12:13], 0
	s_cselect_b32 s15, -1, 0
	s_delay_alu instid0(SALU_CYCLE_1)
	s_and_b32 vcc_lo, exec_lo, s15
	s_cbranch_vccz .LBB285_20
; %bb.1:
	s_add_i32 s4, s2, 1
	s_mov_b32 s5, 0
	s_delay_alu instid0(SALU_CYCLE_1) | instskip(SKIP_4) | instid1(SALU_CYCLE_1)
	s_lshl_b64 s[6:7], s[4:5], 2
	s_mov_b32 s3, s5
	s_add_u32 s6, s12, s6
	s_addc_u32 s7, s13, s7
	s_lshl_b64 s[8:9], s[2:3], 2
	s_add_u32 s8, s12, s8
	s_addc_u32 s9, s13, s9
	s_clause 0x1
	s_load_b32 s4, s[6:7], 0x0
	s_load_b32 s6, s[8:9], 0x0
	s_waitcnt lgkmcnt(0)
	s_sub_i32 s4, s4, s6
	s_delay_alu instid0(SALU_CYCLE_1)
	s_cmp_eq_u32 s4, 1
	s_cselect_b32 s4, -1, 0
	s_cbranch_execnz .LBB285_3
.LBB285_2:
	s_mov_b32 s3, 0
	s_mov_b32 s4, -1
.LBB285_3:
	s_delay_alu instid0(SALU_CYCLE_1)
	s_and_not1_b32 vcc_lo, exec_lo, s4
	s_cbranch_vccz .LBB285_5
; %bb.4:
	s_endpgm
.LBB285_5:
	s_clause 0x1
	s_load_b128 s[4:7], s[0:1], 0x18
	s_load_b32 s9, s[0:1], 0x30
	s_lshl_b64 s[16:17], s[2:3], 2
	s_waitcnt lgkmcnt(0)
	s_add_u32 s6, s6, s16
	s_addc_u32 s7, s7, s17
	s_load_b32 s23, s[6:7], 0x0
	s_load_b32 s33, s[0:1], 0x40
	s_mul_i32 s7, s2, s9
	s_waitcnt lgkmcnt(0)
	s_add_i32 s22, s23, 0xff
	s_delay_alu instid0(SALU_CYCLE_1) | instskip(NEXT) | instid1(SALU_CYCLE_1)
	s_ashr_i32 s6, s22, 31
	s_lshr_b32 s6, s6, 24
	s_delay_alu instid0(SALU_CYCLE_1) | instskip(SKIP_4) | instid1(SALU_CYCLE_1)
	s_add_i32 s8, s22, s6
	s_mul_i32 s6, s14, s9
	s_mov_b32 s9, exec_lo
	v_cmpx_lt_u32_e32 31, v0
	s_xor_b32 s9, exec_lo, s9
	s_or_saveexec_b32 s24, s9
	v_mov_b32_e32 v1, s6
	s_ashr_i32 s40, s8, 8
	s_mul_i32 s18, s7, s33
	s_xor_b32 exec_lo, exec_lo, s24
	s_cbranch_execz .LBB285_9
; %bb.6:
	v_or_b32_e32 v2, 32, v0
	v_cmp_gt_i32_e32 vcc_lo, s40, v0
	s_add_i32 s20, s40, -1
	v_or_b32_e32 v4, 64, v0
	v_or_b32_e32 v6, 0x60, v0
	s_load_b128 s[8:11], s[0:1], 0x8
	v_cndmask_b32_e32 v1, s20, v0, vcc_lo
	v_cmp_gt_i32_e32 vcc_lo, s40, v2
	s_mov_b32 s19, 0
	s_delay_alu instid0(SALU_CYCLE_1)
	s_mov_b32 s7, s19
	v_cndmask_b32_e32 v3, s20, v2, vcc_lo
	v_cmp_gt_i32_e32 vcc_lo, s40, v4
	v_or_b32_e32 v2, 0x80, v0
	v_cndmask_b32_e32 v5, s20, v4, vcc_lo
	v_cmp_gt_i32_e32 vcc_lo, s40, v6
	v_or_b32_e32 v4, 0xa0, v0
	;; [unrolled: 3-line block ×3, first 2 shown]
	s_delay_alu instid0(VALU_DEP_3) | instskip(SKIP_3) | instid1(VALU_DEP_4)
	v_ashrrev_i32_e32 v8, 31, v7
	v_cndmask_b32_e32 v9, s20, v2, vcc_lo
	v_cmp_gt_i32_e32 vcc_lo, s40, v4
	v_or_b32_e32 v2, 0xe0, v0
	v_lshlrev_b64 v[7:8], 2, v[7:8]
	s_delay_alu instid0(VALU_DEP_4) | instskip(SKIP_3) | instid1(VALU_DEP_4)
	v_ashrrev_i32_e32 v10, 31, v9
	v_cndmask_b32_e32 v11, s20, v4, vcc_lo
	v_cmp_gt_i32_e32 vcc_lo, s40, v6
	v_or_b32_e32 v4, 0x100, v0
	v_lshlrev_b64 v[9:10], 2, v[9:10]
	s_delay_alu instid0(VALU_DEP_4) | instskip(SKIP_3) | instid1(VALU_DEP_4)
	;; [unrolled: 6-line block ×3, first 2 shown]
	v_ashrrev_i32_e32 v14, 31, v13
	v_cndmask_b32_e32 v15, s20, v2, vcc_lo
	v_or_b32_e32 v2, 0x120, v0
	v_cmp_gt_i32_e32 vcc_lo, s40, v4
	v_lshlrev_b64 v[13:14], 2, v[13:14]
	s_delay_alu instid0(VALU_DEP_4) | instskip(SKIP_3) | instid1(VALU_DEP_4)
	v_ashrrev_i32_e32 v16, 31, v15
	v_cndmask_b32_e32 v17, s20, v4, vcc_lo
	v_cmp_gt_i32_e32 vcc_lo, s40, v2
	v_or_b32_e32 v4, 0x160, v0
	v_lshlrev_b64 v[45:46], 2, v[15:16]
	s_delay_alu instid0(VALU_DEP_4) | instskip(SKIP_3) | instid1(VALU_DEP_4)
	v_ashrrev_i32_e32 v18, 31, v17
	v_cndmask_b32_e32 v19, s20, v2, vcc_lo
	v_cmp_gt_i32_e32 vcc_lo, s40, v6
	v_or_b32_e32 v2, 0x180, v0
	v_lshlrev_b64 v[17:18], 2, v[17:18]
	s_delay_alu instid0(VALU_DEP_4) | instskip(SKIP_3) | instid1(VALU_DEP_3)
	v_ashrrev_i32_e32 v20, 31, v19
	v_cndmask_b32_e32 v21, s20, v6, vcc_lo
	v_cmp_gt_i32_e32 vcc_lo, s40, v4
	v_or_b32_e32 v6, 0x1c0, v0
	v_ashrrev_i32_e32 v22, 31, v21
	v_cndmask_b32_e32 v23, s20, v4, vcc_lo
	v_or_b32_e32 v4, 0x1a0, v0
	v_cmp_gt_i32_e32 vcc_lo, s40, v2
	s_delay_alu instid0(VALU_DEP_3) | instskip(SKIP_1) | instid1(VALU_DEP_4)
	v_ashrrev_i32_e32 v24, 31, v23
	v_cndmask_b32_e32 v25, s20, v2, vcc_lo
	v_cmp_gt_i32_e32 vcc_lo, s40, v4
	v_or_b32_e32 v2, 0x1e0, v0
	s_delay_alu instid0(VALU_DEP_4) | instskip(NEXT) | instid1(VALU_DEP_4)
	v_lshlrev_b64 v[23:24], 2, v[23:24]
	v_ashrrev_i32_e32 v26, 31, v25
	v_cndmask_b32_e32 v27, s20, v4, vcc_lo
	v_cmp_gt_i32_e32 vcc_lo, s40, v6
	v_ashrrev_i32_e32 v4, 31, v3
	s_delay_alu instid0(VALU_DEP_4) | instskip(NEXT) | instid1(VALU_DEP_4)
	v_lshlrev_b64 v[25:26], 2, v[25:26]
	v_ashrrev_i32_e32 v28, 31, v27
	v_cndmask_b32_e32 v29, s20, v6, vcc_lo
	v_cmp_gt_i32_e32 vcc_lo, s40, v2
	v_ashrrev_i32_e32 v6, 31, v5
	v_lshlrev_b64 v[35:36], 2, v[3:4]
	v_lshlrev_b64 v[27:28], 2, v[27:28]
	v_ashrrev_i32_e32 v30, 31, v29
	v_cndmask_b32_e32 v31, s20, v2, vcc_lo
	v_ashrrev_i32_e32 v2, 31, v1
	s_lshl_b64 s[20:21], s[18:19], 2
	v_lshlrev_b64 v[5:6], 2, v[5:6]
	s_waitcnt lgkmcnt(0)
	s_add_u32 s19, s10, s20
	s_addc_u32 s25, s11, s21
	v_lshlrev_b64 v[33:34], 2, v[1:2]
	s_lshl_b64 s[10:11], s[6:7], 2
	v_ashrrev_i32_e32 v32, 31, v31
	s_add_u32 s7, s19, s10
	s_addc_u32 s19, s25, s11
	v_lshlrev_b64 v[29:30], 2, v[29:30]
	v_add_co_u32 v1, vcc_lo, s7, v33
	v_add_co_ci_u32_e32 v2, vcc_lo, s19, v34, vcc_lo
	v_add_co_u32 v3, vcc_lo, s7, v35
	v_add_co_ci_u32_e32 v4, vcc_lo, s19, v36, vcc_lo
	;; [unrolled: 2-line block ×8, first 2 shown]
	s_clause 0x7
	global_load_b32 v49, v[1:2], off
	global_load_b32 v50, v[3:4], off
	;; [unrolled: 1-line block ×8, first 2 shown]
	v_lshlrev_b64 v[37:38], 2, v[19:20]
	v_add_co_u32 v1, vcc_lo, s7, v17
	v_lshlrev_b64 v[39:40], 2, v[21:22]
	v_add_co_ci_u32_e32 v2, vcc_lo, s19, v18, vcc_lo
	s_delay_alu instid0(VALU_DEP_4) | instskip(SKIP_1) | instid1(VALU_DEP_4)
	v_add_co_u32 v3, vcc_lo, s7, v37
	v_add_co_ci_u32_e32 v4, vcc_lo, s19, v38, vcc_lo
	v_add_co_u32 v15, vcc_lo, s7, v39
	v_add_co_ci_u32_e32 v16, vcc_lo, s19, v40, vcc_lo
	;; [unrolled: 2-line block ×3, first 2 shown]
	s_clause 0x3
	global_load_b32 v47, v[1:2], off
	global_load_b32 v48, v[3:4], off
	;; [unrolled: 1-line block ×4, first 2 shown]
	v_add_co_u32 v1, vcc_lo, s7, v25
	v_add_co_ci_u32_e32 v2, vcc_lo, s19, v26, vcc_lo
	v_add_co_u32 v3, vcc_lo, s7, v27
	v_lshlrev_b64 v[31:32], 2, v[31:32]
	v_add_co_ci_u32_e32 v4, vcc_lo, s19, v28, vcc_lo
	v_add_co_u32 v15, vcc_lo, s7, v29
	v_add_co_ci_u32_e32 v16, vcc_lo, s19, v30, vcc_lo
	s_delay_alu instid0(VALU_DEP_4)
	v_add_co_u32 v19, vcc_lo, s7, v31
	v_add_co_ci_u32_e32 v20, vcc_lo, s19, v32, vcc_lo
	s_clause 0x3
	global_load_b32 v55, v[1:2], off
	global_load_b32 v56, v[3:4], off
	;; [unrolled: 1-line block ×4, first 2 shown]
	v_mbcnt_lo_u32_b32 v19, -1, 0
	s_add_u32 s7, s8, s20
	s_addc_u32 s8, s9, s21
	s_add_u32 s7, s7, s10
	s_addc_u32 s8, s8, s11
	v_xor_b32_e32 v4, 2, v19
	s_waitcnt vmcnt(14)
	v_dual_max_f32 v2, v49, v49 :: v_dual_max_f32 v1, v50, v50
	s_delay_alu instid0(VALU_DEP_1) | instskip(SKIP_1) | instid1(VALU_DEP_1)
	v_max_f32_e32 v1, v2, v1
	v_xor_b32_e32 v2, 16, v19
	v_cmp_gt_i32_e32 vcc_lo, 32, v2
	v_cndmask_b32_e32 v2, v19, v2, vcc_lo
	s_waitcnt vmcnt(12)
	v_max3_f32 v1, v1, v51, v52
	s_waitcnt vmcnt(10)
	s_delay_alu instid0(VALU_DEP_1) | instskip(SKIP_1) | instid1(VALU_DEP_1)
	v_max3_f32 v1, v1, v41, v42
	s_waitcnt vmcnt(8)
	v_max3_f32 v1, v1, v43, v44
	s_waitcnt vmcnt(6)
	s_delay_alu instid0(VALU_DEP_1) | instskip(SKIP_1) | instid1(VALU_DEP_1)
	v_max3_f32 v1, v1, v47, v48
	s_waitcnt vmcnt(4)
	v_max3_f32 v1, v1, v53, v54
	s_waitcnt vmcnt(2)
	s_delay_alu instid0(VALU_DEP_1) | instskip(SKIP_3) | instid1(VALU_DEP_3)
	v_max3_f32 v3, v1, v55, v56
	v_lshlrev_b32_e32 v1, 2, v2
	v_xor_b32_e32 v2, 8, v19
	s_waitcnt vmcnt(0)
	v_max3_f32 v15, v3, v57, v58
	v_xor_b32_e32 v3, 4, v19
	s_delay_alu instid0(VALU_DEP_3)
	v_cmp_gt_i32_e32 vcc_lo, 32, v2
	ds_bpermute_b32 v16, v1, v15
	v_cndmask_b32_e32 v2, v19, v2, vcc_lo
	v_cmp_gt_i32_e32 vcc_lo, 32, v3
	v_cndmask_b32_e32 v3, v19, v3, vcc_lo
	v_cmp_gt_i32_e32 vcc_lo, 32, v4
	s_delay_alu instid0(VALU_DEP_2) | instskip(SKIP_1) | instid1(VALU_DEP_2)
	v_dual_cndmask_b32 v20, v19, v4 :: v_dual_lshlrev_b32 v3, 2, v3
	v_lshlrev_b32_e32 v4, 2, v2
	v_lshlrev_b32_e32 v2, 2, v20
	s_waitcnt lgkmcnt(0)
	v_max_f32_e32 v16, v16, v16
	s_delay_alu instid0(VALU_DEP_1)
	v_max_f32_e32 v59, v15, v16
	v_add_co_u32 v15, vcc_lo, s7, v33
	v_add_co_ci_u32_e32 v16, vcc_lo, s8, v34, vcc_lo
	ds_bpermute_b32 v33, v4, v59
	v_add_co_u32 v21, vcc_lo, s7, v35
	v_add_co_ci_u32_e32 v22, vcc_lo, s8, v36, vcc_lo
	s_clause 0x1
	global_load_b32 v20, v[15:16], off
	global_load_b32 v21, v[21:22], off
	v_add_co_u32 v5, vcc_lo, s7, v5
	v_add_co_ci_u32_e32 v6, vcc_lo, s8, v6, vcc_lo
	v_add_co_u32 v7, vcc_lo, s7, v7
	v_add_co_ci_u32_e32 v8, vcc_lo, s8, v8, vcc_lo
	;; [unrolled: 2-line block ×3, first 2 shown]
	s_waitcnt lgkmcnt(0)
	v_max_f32_e32 v16, v33, v33
	s_clause 0x1
	global_load_b32 v22, v[5:6], off
	global_load_b32 v15, v[7:8], off
	v_add_co_u32 v5, vcc_lo, s7, v11
	v_max_f32_e32 v33, v59, v16
	v_add_co_ci_u32_e32 v6, vcc_lo, s8, v12, vcc_lo
	v_add_co_u32 v7, vcc_lo, s7, v13
	ds_bpermute_b32 v34, v3, v33
	v_add_co_ci_u32_e32 v8, vcc_lo, s8, v14, vcc_lo
	s_clause 0x1
	global_load_b32 v16, v[9:10], off
	global_load_b32 v5, v[5:6], off
	v_add_co_u32 v9, vcc_lo, s7, v45
	v_add_co_ci_u32_e32 v10, vcc_lo, s8, v46, vcc_lo
	v_add_co_u32 v11, vcc_lo, s7, v17
	v_add_co_ci_u32_e32 v12, vcc_lo, s8, v18, vcc_lo
	v_add_co_u32 v13, vcc_lo, s7, v37
	s_clause 0x2
	global_load_b32 v6, v[7:8], off
	global_load_b32 v7, v[9:10], off
	;; [unrolled: 1-line block ×3, first 2 shown]
	v_add_co_ci_u32_e32 v14, vcc_lo, s8, v38, vcc_lo
	s_waitcnt lgkmcnt(0)
	v_max_f32_e32 v10, v34, v34
	v_add_co_u32 v17, vcc_lo, s7, v39
	v_add_co_ci_u32_e32 v18, vcc_lo, s8, v40, vcc_lo
	v_add_co_u32 v11, vcc_lo, s7, v23
	s_delay_alu instid0(VALU_DEP_4)
	v_max_f32_e32 v23, v33, v10
	v_add_co_ci_u32_e32 v12, vcc_lo, s8, v24, vcc_lo
	global_load_b32 v9, v[13:14], off
	v_add_co_u32 v13, vcc_lo, s7, v25
	ds_bpermute_b32 v24, v2, v23
	v_add_co_ci_u32_e32 v14, vcc_lo, s8, v26, vcc_lo
	s_clause 0x2
	global_load_b32 v10, v[17:18], off
	global_load_b32 v11, v[11:12], off
	;; [unrolled: 1-line block ×3, first 2 shown]
	v_add_co_u32 v13, vcc_lo, s7, v27
	v_add_co_ci_u32_e32 v14, vcc_lo, s8, v28, vcc_lo
	v_xor_b32_e32 v18, 1, v19
	global_load_b32 v17, v[13:14], off
	v_add_co_u32 v13, vcc_lo, s7, v29
	v_add_co_ci_u32_e32 v14, vcc_lo, s8, v30, vcc_lo
	v_cmp_gt_i32_e32 vcc_lo, 32, v18
	s_waitcnt lgkmcnt(0)
	v_dual_max_f32 v24, v24, v24 :: v_dual_cndmask_b32 v19, v19, v18
	global_load_b32 v18, v[13:14], off
	v_lshlrev_b32_e32 v13, 2, v19
	v_max_f32_e32 v19, v23, v24
	v_add_co_u32 v23, vcc_lo, s7, v31
	v_add_co_ci_u32_e32 v24, vcc_lo, s8, v32, vcc_lo
	ds_bpermute_b32 v25, v13, v19
	s_mov_b32 s7, exec_lo
	global_load_b32 v14, v[23:24], off
	s_waitcnt lgkmcnt(0)
	v_max_f32_e32 v23, v25, v25
	s_delay_alu instid0(VALU_DEP_1) | instskip(SKIP_1) | instid1(VALU_DEP_2)
	v_max_f32_e32 v23, v19, v23
	v_sub_nc_u32_e32 v19, s40, v0
	v_sub_f32_e32 v29, v42, v23
	s_delay_alu instid0(VALU_DEP_1) | instskip(NEXT) | instid1(VALU_DEP_1)
	v_dual_sub_f32 v31, v44, v23 :: v_dual_mul_f32 v44, 0x3fb8aa3b, v29
	v_rndne_f32_e32 v66, v44
	v_fma_f32 v65, 0x3fb8aa3b, v29, -v44
	s_delay_alu instid0(VALU_DEP_2)
	v_sub_f32_e32 v44, v44, v66
	v_sub_f32_e32 v33, v48, v23
	;; [unrolled: 1-line block ×6, first 2 shown]
	v_mul_f32_e32 v48, 0x3fb8aa3b, v33
	v_sub_f32_e32 v30, v43, v23
	v_sub_f32_e32 v32, v47, v23
	;; [unrolled: 1-line block ×4, first 2 shown]
	v_rndne_f32_e32 v74, v48
	v_sub_f32_e32 v25, v50, v23
	v_mul_f32_e32 v50, 0x3fb8aa3b, v35
	v_sub_f32_e32 v38, v57, v23
	v_cmp_ngt_f32_e32 vcc_lo, 0xc2ce8ed0, v24
	v_cvt_i32_f32_e32 v66, v66
	s_delay_alu instid0(VALU_DEP_4) | instskip(SKIP_1) | instid1(VALU_DEP_2)
	v_rndne_f32_e32 v78, v50
	v_fma_f32 v77, 0x3fb8aa3b, v35, -v50
	v_sub_f32_e32 v50, v50, v78
	v_mul_f32_e32 v46, 0x3fb8aa3b, v31
	v_cvt_i32_f32_e32 v78, v78
	s_delay_alu instid0(VALU_DEP_2) | instskip(SKIP_2) | instid1(VALU_DEP_3)
	v_rndne_f32_e32 v70, v46
	v_sub_f32_e32 v27, v52, v23
	v_fma_f32 v69, 0x3fb8aa3b, v31, -v46
	v_sub_f32_e32 v46, v46, v70
	s_delay_alu instid0(VALU_DEP_3) | instskip(NEXT) | instid1(VALU_DEP_3)
	v_mul_f32_e32 v42, 0x3fb8aa3b, v27
	v_fmac_f32_e32 v69, 0x32a5705f, v31
	v_mul_f32_e32 v39, 0x3fb8aa3b, v24
	v_cvt_i32_f32_e32 v70, v70
	s_delay_alu instid0(VALU_DEP_4) | instskip(NEXT) | instid1(VALU_DEP_4)
	v_fma_f32 v61, 0x3fb8aa3b, v27, -v42
	v_add_f32_e32 v46, v46, v69
	v_rndne_f32_e32 v62, v42
	v_fma_f32 v55, 0x3fb8aa3b, v24, -v39
	s_delay_alu instid0(VALU_DEP_4) | instskip(NEXT) | instid1(VALU_DEP_4)
	v_fmac_f32_e32 v61, 0x32a5705f, v27
	v_exp_f32_e32 v46, v46
	s_delay_alu instid0(VALU_DEP_3) | instskip(SKIP_2) | instid1(VALU_DEP_3)
	v_dual_sub_f32 v42, v42, v62 :: v_dual_sub_f32 v37, v56, v23
	v_rndne_f32_e32 v56, v39
	v_cvt_i32_f32_e32 v62, v62
	v_add_f32_e32 v42, v42, v61
	s_delay_alu instid0(VALU_DEP_4)
	v_mul_f32_e32 v52, 0x3fb8aa3b, v37
	s_waitcnt_depctr 0xfff
	v_ldexp_f32 v46, v46, v70
	v_fmac_f32_e32 v55, 0x32a5705f, v24
	v_rndne_f32_e32 v82, v52
	v_fma_f32 v81, 0x3fb8aa3b, v37, -v52
	v_exp_f32_e32 v42, v42
	s_delay_alu instid0(VALU_DEP_2) | instskip(SKIP_1) | instid1(VALU_DEP_3)
	v_dual_sub_f32 v52, v52, v82 :: v_dual_fmac_f32 v65, 0x32a5705f, v29
	v_sub_f32_e32 v23, v58, v23
	v_fmac_f32_e32 v81, 0x32a5705f, v37
	v_mul_f32_e32 v45, 0x3fb8aa3b, v30
	v_cvt_i32_f32_e32 v82, v82
	v_add_f32_e32 v44, v44, v65
	v_mul_f32_e32 v54, 0x3fb8aa3b, v23
	v_add_f32_e32 v52, v52, v81
	s_delay_alu instid0(TRANS32_DEP_1)
	v_ldexp_f32 v42, v42, v62
	v_fma_f32 v67, 0x3fb8aa3b, v30, -v45
	v_rndne_f32_e32 v68, v45
	v_rndne_f32_e32 v86, v54
	v_fma_f32 v85, 0x3fb8aa3b, v23, -v54
	v_exp_f32_e32 v52, v52
	v_fmac_f32_e32 v67, 0x32a5705f, v30
	v_exp_f32_e32 v44, v44
	v_sub_f32_e32 v54, v54, v86
	v_fma_f32 v73, 0x3fb8aa3b, v33, -v48
	v_sub_f32_e32 v48, v48, v74
	v_mul_f32_e32 v40, 0x3fb8aa3b, v25
	v_cvt_i32_f32_e32 v74, v74
	v_fmac_f32_e32 v85, 0x32a5705f, v23
	v_fmac_f32_e32 v73, 0x32a5705f, v33
	v_mul_f32_e32 v41, 0x3fb8aa3b, v26
	v_fma_f32 v57, 0x3fb8aa3b, v25, -v40
	v_rndne_f32_e32 v58, v40
	v_ldexp_f32 v52, v52, v82
	v_add_f32_e32 v48, v48, v73
	v_fma_f32 v59, 0x3fb8aa3b, v26, -v41
	v_rndne_f32_e32 v60, v41
	v_sub_f32_e32 v40, v40, v58
	v_cvt_i32_f32_e32 v58, v58
	v_exp_f32_e32 v48, v48
	v_fmac_f32_e32 v59, 0x32a5705f, v26
	v_dual_mul_f32 v47, 0x3fb8aa3b, v32 :: v_dual_add_f32 v54, v54, v85
	v_ldexp_f32 v44, v44, v66
	s_delay_alu instid0(VALU_DEP_2) | instskip(SKIP_1) | instid1(VALU_DEP_4)
	v_fma_f32 v71, 0x3fb8aa3b, v32, -v47
	v_rndne_f32_e32 v72, v47
	v_exp_f32_e32 v54, v54
	s_delay_alu instid0(TRANS32_DEP_2) | instskip(SKIP_1) | instid1(VALU_DEP_1)
	v_ldexp_f32 v48, v48, v74
	v_fmac_f32_e32 v57, 0x32a5705f, v25
	v_dual_fmac_f32 v71, 0x32a5705f, v32 :: v_dual_add_f32 v40, v40, v57
	v_fmac_f32_e32 v77, 0x32a5705f, v35
	v_mul_f32_e32 v43, 0x3fb8aa3b, v28
	s_delay_alu instid0(VALU_DEP_3) | instskip(NEXT) | instid1(VALU_DEP_2)
	v_exp_f32_e32 v40, v40
	v_add_f32_e32 v50, v50, v77
	s_delay_alu instid0(VALU_DEP_2) | instskip(SKIP_1) | instid1(VALU_DEP_3)
	v_fma_f32 v63, 0x3fb8aa3b, v28, -v43
	v_rndne_f32_e32 v64, v43
	v_exp_f32_e32 v50, v50
	s_delay_alu instid0(VALU_DEP_2)
	v_fmac_f32_e32 v63, 0x32a5705f, v28
	s_waitcnt_depctr 0xfff
	v_ldexp_f32 v40, v40, v58
	v_ldexp_f32 v50, v50, v78
	v_sub_f32_e32 v39, v39, v56
	v_cvt_i32_f32_e32 v56, v56
	s_delay_alu instid0(VALU_DEP_2) | instskip(NEXT) | instid1(VALU_DEP_1)
	v_add_f32_e32 v39, v39, v55
	v_exp_f32_e32 v39, v39
	s_waitcnt_depctr 0xfff
	v_ldexp_f32 v39, v39, v56
	s_delay_alu instid0(VALU_DEP_1) | instskip(SKIP_4) | instid1(VALU_DEP_4)
	v_cndmask_b32_e32 v39, 0, v39, vcc_lo
	v_sub_f32_e32 v41, v41, v60
	v_cvt_i32_f32_e32 v60, v60
	v_cmp_ngt_f32_e32 vcc_lo, 0xc2ce8ed0, v25
	v_mul_f32_e32 v49, 0x3fb8aa3b, v34
	v_dual_add_f32 v41, v41, v59 :: v_dual_cndmask_b32 v40, 0, v40
	v_cmp_ngt_f32_e32 vcc_lo, 0xc2ce8ed0, v26
	s_delay_alu instid0(VALU_DEP_3) | instskip(NEXT) | instid1(VALU_DEP_3)
	v_fma_f32 v75, 0x3fb8aa3b, v34, -v49
	v_exp_f32_e32 v41, v41
	v_rndne_f32_e32 v76, v49
	s_delay_alu instid0(VALU_DEP_2) | instskip(SKIP_2) | instid1(VALU_DEP_1)
	v_fmac_f32_e32 v75, 0x32a5705f, v34
	s_waitcnt_depctr 0xfff
	v_ldexp_f32 v41, v41, v60
	v_cndmask_b32_e32 v41, 0, v41, vcc_lo
	v_sub_f32_e32 v43, v43, v64
	v_cvt_i32_f32_e32 v64, v64
	v_cmp_ngt_f32_e32 vcc_lo, 0xc2ce8ed0, v27
	v_mul_f32_e32 v51, 0x3fb8aa3b, v36
	s_delay_alu instid0(VALU_DEP_4) | instskip(SKIP_1) | instid1(VALU_DEP_3)
	v_dual_add_f32 v43, v43, v63 :: v_dual_cndmask_b32 v42, 0, v42
	v_cmp_ngt_f32_e32 vcc_lo, 0xc2ce8ed0, v28
	v_fma_f32 v79, 0x3fb8aa3b, v36, -v51
	s_delay_alu instid0(VALU_DEP_3) | instskip(SKIP_1) | instid1(VALU_DEP_2)
	v_exp_f32_e32 v43, v43
	v_rndne_f32_e32 v80, v51
	v_fmac_f32_e32 v79, 0x32a5705f, v36
	s_waitcnt_depctr 0xfff
	v_ldexp_f32 v43, v43, v64
	s_delay_alu instid0(VALU_DEP_1) | instskip(SKIP_4) | instid1(VALU_DEP_4)
	v_cndmask_b32_e32 v43, 0, v43, vcc_lo
	v_sub_f32_e32 v45, v45, v68
	v_cvt_i32_f32_e32 v68, v68
	v_cmp_ngt_f32_e32 vcc_lo, 0xc2ce8ed0, v29
	v_mul_f32_e32 v53, 0x3fb8aa3b, v38
	v_dual_add_f32 v45, v45, v67 :: v_dual_cndmask_b32 v44, 0, v44
	v_cmp_ngt_f32_e32 vcc_lo, 0xc2ce8ed0, v30
	s_delay_alu instid0(VALU_DEP_3) | instskip(NEXT) | instid1(VALU_DEP_3)
	v_rndne_f32_e32 v84, v53
	v_exp_f32_e32 v45, v45
	v_fma_f32 v83, 0x3fb8aa3b, v38, -v53
	s_waitcnt_depctr 0xfff
	v_ldexp_f32 v45, v45, v68
	s_delay_alu instid0(VALU_DEP_1) | instskip(SKIP_3) | instid1(VALU_DEP_3)
	v_cndmask_b32_e32 v45, 0, v45, vcc_lo
	v_sub_f32_e32 v47, v47, v72
	v_cmp_ngt_f32_e32 vcc_lo, 0xc2ce8ed0, v31
	v_cvt_i32_f32_e32 v72, v72
	v_dual_add_f32 v47, v47, v71 :: v_dual_cndmask_b32 v46, 0, v46
	v_sub_f32_e32 v49, v49, v76
	v_cmp_ngt_f32_e32 vcc_lo, 0xc2ce8ed0, v32
	v_cvt_i32_f32_e32 v76, v76
	s_delay_alu instid0(VALU_DEP_4) | instskip(NEXT) | instid1(VALU_DEP_3)
	v_exp_f32_e32 v47, v47
	v_add_f32_e32 v49, v49, v75
	s_delay_alu instid0(VALU_DEP_1) | instskip(SKIP_2) | instid1(VALU_DEP_1)
	v_exp_f32_e32 v49, v49
	s_waitcnt_depctr 0xfff
	v_ldexp_f32 v47, v47, v72
	v_cndmask_b32_e32 v47, 0, v47, vcc_lo
	v_cmp_ngt_f32_e32 vcc_lo, 0xc2ce8ed0, v33
	v_ldexp_f32 v49, v49, v76
	v_cndmask_b32_e32 v48, 0, v48, vcc_lo
	v_cmp_ngt_f32_e32 vcc_lo, 0xc2ce8ed0, v34
	s_delay_alu instid0(VALU_DEP_3) | instskip(SKIP_3) | instid1(VALU_DEP_3)
	v_cndmask_b32_e32 v49, 0, v49, vcc_lo
	v_sub_f32_e32 v51, v51, v80
	v_cvt_i32_f32_e32 v80, v80
	v_cmp_ngt_f32_e32 vcc_lo, 0xc2ce8ed0, v35
	v_dual_add_f32 v51, v51, v79 :: v_dual_cndmask_b32 v50, 0, v50
	v_cmp_ngt_f32_e32 vcc_lo, 0xc2ce8ed0, v36
	s_delay_alu instid0(VALU_DEP_2) | instskip(SKIP_2) | instid1(VALU_DEP_1)
	v_exp_f32_e32 v51, v51
	s_waitcnt_depctr 0xfff
	v_ldexp_f32 v51, v51, v80
	v_cndmask_b32_e32 v51, 0, v51, vcc_lo
	v_cmp_ngt_f32_e32 vcc_lo, 0xc2ce8ed0, v37
	v_cndmask_b32_e32 v52, 0, v52, vcc_lo
	v_cmp_nlt_f32_e32 vcc_lo, 0x42b17218, v24
	v_cndmask_b32_e32 v24, 0x7f800000, v39, vcc_lo
	v_cmp_nlt_f32_e32 vcc_lo, 0x42b17218, v25
	;; [unrolled: 2-line block ×6, first 2 shown]
	v_cndmask_b32_e32 v29, 0x7f800000, v44, vcc_lo
	v_cmp_lt_i32_e32 vcc_lo, 0, v19
	v_cndmask_b32_e32 v24, 0, v24, vcc_lo
	v_cmp_lt_i32_e32 vcc_lo, 32, v19
	s_waitcnt vmcnt(15)
	s_delay_alu instid0(VALU_DEP_2) | instskip(SKIP_2) | instid1(VALU_DEP_2)
	v_dual_mul_f32 v20, v20, v24 :: v_dual_cndmask_b32 v25, 0, v25
	v_cmp_nlt_f32_e32 vcc_lo, 0x42b17218, v30
	s_waitcnt vmcnt(14)
	v_mul_f32_e32 v21, v21, v25
	v_cndmask_b32_e32 v30, 0x7f800000, v45, vcc_lo
	v_cmp_lt_i32_e32 vcc_lo, 64, v19
	v_cndmask_b32_e32 v26, 0, v26, vcc_lo
	v_cmp_nlt_f32_e32 vcc_lo, 0x42b17218, v31
	s_waitcnt vmcnt(13)
	s_delay_alu instid0(VALU_DEP_2)
	v_mul_f32_e32 v22, v22, v26
	v_cndmask_b32_e32 v24, 0x7f800000, v46, vcc_lo
	v_cmp_lt_i32_e32 vcc_lo, 0x60, v19
	v_dual_add_f32 v26, v20, v21 :: v_dual_cndmask_b32 v25, 0, v27
	v_cmp_nlt_f32_e32 vcc_lo, 0x42b17218, v32
	s_waitcnt vmcnt(12)
	s_delay_alu instid0(VALU_DEP_2)
	v_mul_f32_e32 v15, v15, v25
	v_cndmask_b32_e32 v27, 0x7f800000, v47, vcc_lo
	v_cmp_lt_i32_e32 vcc_lo, 0x80, v19
	v_dual_add_f32 v25, v26, v22 :: v_dual_cndmask_b32 v28, 0, v28
	v_cmp_nlt_f32_e32 vcc_lo, 0x42b17218, v33
	s_waitcnt vmcnt(11)
	s_delay_alu instid0(VALU_DEP_2) | instskip(SKIP_2) | instid1(VALU_DEP_3)
	v_dual_add_f32 v25, v25, v15 :: v_dual_mul_f32 v16, v16, v28
	v_cndmask_b32_e32 v26, 0x7f800000, v48, vcc_lo
	v_cmp_lt_i32_e32 vcc_lo, 0xa0, v19
	v_add_f32_e32 v25, v25, v16
	v_cndmask_b32_e32 v29, 0, v29, vcc_lo
	v_cmp_nlt_f32_e32 vcc_lo, 0x42b17218, v34
	s_waitcnt vmcnt(10)
	s_delay_alu instid0(VALU_DEP_2) | instskip(SKIP_2) | instid1(VALU_DEP_3)
	v_mul_f32_e32 v5, v5, v29
	v_cndmask_b32_e32 v28, 0x7f800000, v49, vcc_lo
	v_cmp_lt_i32_e32 vcc_lo, 0xc0, v19
	v_dual_add_f32 v25, v25, v5 :: v_dual_cndmask_b32 v30, 0, v30
	v_cmp_nlt_f32_e32 vcc_lo, 0x42b17218, v35
	s_waitcnt vmcnt(9)
	s_delay_alu instid0(VALU_DEP_2)
	v_mul_f32_e32 v6, v6, v30
	v_cndmask_b32_e32 v29, 0x7f800000, v50, vcc_lo
	v_cmp_lt_i32_e32 vcc_lo, 0xe0, v19
	v_cndmask_b32_e32 v24, 0, v24, vcc_lo
	v_cmp_nlt_f32_e32 vcc_lo, 0x42b17218, v36
	v_sub_f32_e32 v53, v53, v84
	v_cvt_i32_f32_e32 v84, v84
	s_waitcnt vmcnt(8)
	v_dual_mul_f32 v7, v7, v24 :: v_dual_cndmask_b32 v30, 0x7f800000, v51
	v_cmp_lt_i32_e32 vcc_lo, 0x100, v19
	v_dual_add_f32 v24, v25, v6 :: v_dual_cndmask_b32 v27, 0, v27
	v_cmp_lt_i32_e32 vcc_lo, 0x120, v19
	s_delay_alu instid0(VALU_DEP_2) | instskip(SKIP_1) | instid1(VALU_DEP_3)
	v_add_f32_e32 v24, v24, v7
	s_waitcnt vmcnt(7)
	v_dual_mul_f32 v8, v8, v27 :: v_dual_cndmask_b32 v25, 0, v26
	v_cmp_lt_i32_e32 vcc_lo, 0x140, v19
	s_delay_alu instid0(VALU_DEP_2) | instskip(SKIP_1) | instid1(VALU_DEP_3)
	v_dual_fmac_f32 v83, 0x32a5705f, v38 :: v_dual_add_f32 v24, v24, v8
	s_waitcnt vmcnt(6)
	v_dual_mul_f32 v9, v9, v25 :: v_dual_cndmask_b32 v26, 0, v28
	s_delay_alu instid0(VALU_DEP_2) | instskip(SKIP_1) | instid1(VALU_DEP_3)
	v_add_f32_e32 v53, v53, v83
	v_cmp_lt_i32_e32 vcc_lo, 0x160, v19
	v_add_f32_e32 v24, v24, v9
	s_waitcnt vmcnt(5)
	v_mul_f32_e32 v10, v10, v26
	v_exp_f32_e32 v53, v53
	v_cndmask_b32_e32 v27, 0, v29, vcc_lo
	v_cmp_lt_i32_e32 vcc_lo, 0x180, v19
	s_waitcnt vmcnt(4)
	s_delay_alu instid0(VALU_DEP_2) | instskip(SKIP_3) | instid1(TRANS32_DEP_1)
	v_dual_add_f32 v24, v24, v10 :: v_dual_mul_f32 v11, v11, v27
	v_cndmask_b32_e32 v28, 0, v30, vcc_lo
	v_cmp_nlt_f32_e32 vcc_lo, 0x42b17218, v37
	v_cvt_i32_f32_e32 v27, v86
	v_ldexp_f32 v53, v53, v84
	v_add_f32_e32 v24, v24, v11
	s_waitcnt vmcnt(3)
	v_mul_f32_e32 v12, v12, v28
	v_cndmask_b32_e32 v25, 0x7f800000, v52, vcc_lo
	v_cmp_ngt_f32_e32 vcc_lo, 0xc2ce8ed0, v38
	s_delay_alu instid0(VALU_DEP_3)
	v_add_f32_e32 v24, v24, v12
	v_cndmask_b32_e32 v26, 0, v53, vcc_lo
	v_cmp_lt_i32_e32 vcc_lo, 0x1a0, v19
	v_cndmask_b32_e32 v25, 0, v25, vcc_lo
	v_cmp_nlt_f32_e32 vcc_lo, 0x42b17218, v38
	s_waitcnt vmcnt(2)
	s_delay_alu instid0(VALU_DEP_2) | instskip(SKIP_2) | instid1(VALU_DEP_3)
	v_dual_mul_f32 v17, v17, v25 :: v_dual_cndmask_b32 v26, 0x7f800000, v26
	v_cmp_lt_i32_e32 vcc_lo, 0x1c0, v19
	v_ldexp_f32 v25, v54, v27
	v_add_f32_e32 v24, v24, v17
	s_delay_alu instid0(VALU_DEP_4) | instskip(SKIP_2) | instid1(VALU_DEP_2)
	v_cndmask_b32_e32 v26, 0, v26, vcc_lo
	v_cmp_ngt_f32_e32 vcc_lo, 0xc2ce8ed0, v23
	s_waitcnt vmcnt(1)
	v_dual_mul_f32 v18, v18, v26 :: v_dual_cndmask_b32 v25, 0, v25
	v_cmp_nlt_f32_e32 vcc_lo, 0x42b17218, v23
	s_delay_alu instid0(VALU_DEP_2) | instskip(SKIP_1) | instid1(VALU_DEP_2)
	v_cndmask_b32_e32 v23, 0x7f800000, v25, vcc_lo
	v_cmp_lt_i32_e32 vcc_lo, 0x1e0, v19
	v_cndmask_b32_e32 v19, 0, v23, vcc_lo
	v_add_f32_e32 v23, v24, v18
	s_waitcnt vmcnt(0)
	s_delay_alu instid0(VALU_DEP_1)
	v_fmac_f32_e32 v23, v14, v19
	ds_bpermute_b32 v1, v1, v23
	s_waitcnt lgkmcnt(0)
	v_add_f32_e32 v1, v23, v1
	ds_bpermute_b32 v4, v4, v1
	s_waitcnt lgkmcnt(0)
	v_dual_add_f32 v1, v1, v4 :: v_dual_mul_f32 v4, v14, v19
	ds_bpermute_b32 v3, v3, v1
	s_waitcnt lgkmcnt(0)
	v_add_f32_e32 v1, v1, v3
	v_lshlrev_b32_e32 v3, 2, v0
	ds_bpermute_b32 v2, v2, v1
	ds_store_2addr_b32 v3, v20, v21 offset1:32
	s_waitcnt lgkmcnt(1)
	v_add_f32_e32 v1, v1, v2
	ds_bpermute_b32 v2, v13, v1
	v_add_nc_u32_e32 v13, 0x400, v3
	ds_store_2addr_b32 v3, v22, v15 offset0:64 offset1:96
	ds_store_2addr_b32 v3, v16, v5 offset0:128 offset1:160
	;; [unrolled: 1-line block ×3, first 2 shown]
	ds_store_2addr_b32 v13, v8, v9 offset1:32
	ds_store_2addr_b32 v13, v10, v11 offset0:64 offset1:96
	ds_store_2addr_b32 v13, v12, v17 offset0:128 offset1:160
	;; [unrolled: 1-line block ×3, first 2 shown]
	v_cmpx_eq_u32_e32 0, v0
	s_cbranch_execz .LBB285_8
; %bb.7:
	s_waitcnt lgkmcnt(7)
	v_dual_add_f32 v1, v1, v2 :: v_dual_mov_b32 v2, 0
	ds_store_b32 v2, v1 offset:2048
.LBB285_8:
	s_or_b32 exec_lo, exec_lo, s7
	v_mov_b32_e32 v1, s6
.LBB285_9:
	s_or_b32 exec_lo, exec_lo, s24
	s_lshl_b32 s6, s18, 7
	s_mov_b32 s7, 0
	s_waitcnt lgkmcnt(7)
	v_dual_mov_b32 v2, 0 :: v_dual_lshlrev_b32 v1, 7, v1
	s_lshl_b64 s[6:7], s[6:7], 1
	v_lshlrev_b32_e32 v0, 1, v0
	s_add_u32 s34, s4, s6
	s_addc_u32 s35, s5, s7
	s_lshl_b32 s41, s40, 7
	v_lshlrev_b64 v[3:4], 1, v[1:2]
	s_add_i32 s42, s41, 0xffffff80
	s_cmpk_lt_i32 s22, 0x100
	v_dual_mov_b32 v30, 0 :: v_dual_mov_b32 v33, 0
	s_cselect_b32 s4, s42, 0
	s_delay_alu instid0(VALU_DEP_2)
	v_add_co_u32 v1, vcc_lo, s34, v3
	s_ashr_i32 s5, s4, 31
	v_add_co_ci_u32_e32 v3, vcc_lo, s35, v4, vcc_lo
	s_lshl_b64 s[4:5], s[4:5], 1
	s_cmpk_lt_i32 s22, 0x200
	v_add_co_u32 v1, vcc_lo, v1, v0
	s_cselect_b32 s6, s42, 0x80
	v_add_co_ci_u32_e32 v3, vcc_lo, 0, v3, vcc_lo
	s_ashr_i32 s7, s6, 31
	s_delay_alu instid0(VALU_DEP_2)
	v_add_co_u32 v4, vcc_lo, v1, s4
	s_lshl_b64 s[6:7], s[6:7], 1
	s_cmpk_lt_i32 s22, 0x300
	v_add_co_ci_u32_e32 v5, vcc_lo, s5, v3, vcc_lo
	s_cselect_b32 s8, s42, 0x100
	v_add_co_u32 v8, vcc_lo, v1, s6
	s_ashr_i32 s9, s8, 31
	v_add_co_ci_u32_e32 v9, vcc_lo, s7, v3, vcc_lo
	s_lshl_b64 s[8:9], s[8:9], 1
	s_cmpk_lt_i32 s22, 0x400
	v_add_co_u32 v10, vcc_lo, v1, s8
	s_cselect_b32 s10, s42, 0x180
	v_add_co_ci_u32_e32 v11, vcc_lo, s9, v3, vcc_lo
	s_ashr_i32 s11, s10, 31
	v_dual_mov_b32 v32, 0 :: v_dual_mov_b32 v35, 0
	s_lshl_b64 s[10:11], s[10:11], 1
	s_cmpk_lt_i32 s22, 0x500
	v_add_co_u32 v12, vcc_lo, v1, s10
	s_cselect_b32 s18, s42, 0x200
	v_add_co_ci_u32_e32 v13, vcc_lo, s11, v3, vcc_lo
	s_ashr_i32 s19, s18, 31
	v_mov_b32_e32 v34, 0
	s_lshl_b64 s[18:19], s[18:19], 1
	s_cmpk_lt_i32 s22, 0x600
	v_add_co_u32 v14, vcc_lo, v1, s18
	s_cselect_b32 s20, s42, 0x280
	v_add_co_ci_u32_e32 v15, vcc_lo, s19, v3, vcc_lo
	s_ashr_i32 s21, s20, 31
	v_mov_b32_e32 v29, 0
	;; [unrolled: 7-line block ×3, first 2 shown]
	s_lshl_b64 s[24:25], s[24:25], 1
	s_cmpk_lt_i32 s22, 0x800
	v_add_co_u32 v18, vcc_lo, v1, s24
	s_cselect_b32 s26, s42, 0x380
	v_add_co_ci_u32_e32 v19, vcc_lo, s25, v3, vcc_lo
	s_ashr_i32 s27, s26, 31
	s_delay_alu instid0(SALU_CYCLE_1)
	s_lshl_b64 s[26:27], s[26:27], 1
	s_cmpk_lt_i32 s22, 0x900
	v_add_co_u32 v20, vcc_lo, v1, s26
	s_cselect_b32 s28, s42, 0x400
	v_add_co_ci_u32_e32 v21, vcc_lo, s27, v3, vcc_lo
	s_ashr_i32 s29, s28, 31
	s_clause 0x7
	global_load_u16 v7, v[4:5], off
	global_load_u16 v8, v[8:9], off
	;; [unrolled: 1-line block ×8, first 2 shown]
	s_lshl_b64 s[28:29], s[28:29], 1
	s_cmpk_lt_i32 s22, 0xa00
	v_add_co_u32 v12, vcc_lo, v1, s28
	s_cselect_b32 s30, s42, 0x480
	v_add_co_ci_u32_e32 v13, vcc_lo, s29, v3, vcc_lo
	s_ashr_i32 s31, s30, 31
	s_delay_alu instid0(SALU_CYCLE_1)
	s_lshl_b64 s[30:31], s[30:31], 1
	s_cmpk_lt_i32 s22, 0xb00
	v_add_co_u32 v15, vcc_lo, v1, s30
	s_cselect_b32 s34, s42, 0x500
	v_add_co_ci_u32_e32 v16, vcc_lo, s31, v3, vcc_lo
	s_ashr_i32 s35, s34, 31
	s_delay_alu instid0(SALU_CYCLE_1)
	;; [unrolled: 7-line block ×7, first 2 shown]
	s_lshl_b64 s[4:5], s[6:7], 1
	s_cmpk_gt_i32 s23, 0x1000
	v_add_co_u32 v27, vcc_lo, v1, s4
	v_add_co_ci_u32_e32 v28, vcc_lo, s5, v3, vcc_lo
	s_clause 0x7
	global_load_u16 v14, v[12:13], off
	global_load_u16 v15, v[15:16], off
	;; [unrolled: 1-line block ×8, first 2 shown]
	v_dual_mov_b32 v20, 0 :: v_dual_mov_b32 v23, 0
	v_dual_mov_b32 v21, 0 :: v_dual_mov_b32 v22, 0
	;; [unrolled: 1-line block ×4, first 2 shown]
	v_mov_b32_e32 v28, 0
	s_cselect_b32 s8, -1, 0
	s_cmpk_lt_i32 s23, 0x1001
	s_waitcnt vmcnt(0) lgkmcnt(0)
	s_barrier
	buffer_gl0_inv
	s_cbranch_scc1 .LBB285_11
; %bb.10:
	s_cmpk_lt_i32 s22, 0x1100
	s_cselect_b32 s4, s42, 0x800
	s_delay_alu instid0(SALU_CYCLE_1) | instskip(NEXT) | instid1(SALU_CYCLE_1)
	s_ashr_i32 s5, s4, 31
	s_lshl_b64 s[4:5], s[4:5], 1
	s_cmpk_lt_i32 s22, 0x1200
	v_add_co_u32 v20, vcc_lo, v1, s4
	s_cselect_b32 s6, s42, 0x880
	v_add_co_ci_u32_e32 v21, vcc_lo, s5, v3, vcc_lo
	s_ashr_i32 s7, s6, 31
	s_delay_alu instid0(SALU_CYCLE_1)
	s_lshl_b64 s[6:7], s[6:7], 1
	s_cmpk_lt_i32 s22, 0x1300
	v_add_co_u32 v22, vcc_lo, v1, s6
	s_cselect_b32 s10, s42, 0x900
	v_add_co_ci_u32_e32 v23, vcc_lo, s7, v3, vcc_lo
	s_ashr_i32 s11, s10, 31
	s_delay_alu instid0(SALU_CYCLE_1)
	;; [unrolled: 7-line block ×7, first 2 shown]
	s_lshl_b64 s[28:29], s[28:29], 1
	s_cmpk_lt_i32 s22, 0x1900
	v_add_co_u32 v34, vcc_lo, v1, s28
	s_cselect_b32 s30, s42, 0xc00
	v_add_co_ci_u32_e32 v35, vcc_lo, s29, v3, vcc_lo
	s_ashr_i32 s31, s30, 31
	s_clause 0x7
	global_load_u16 v36, v[20:21], off
	global_load_u16 v37, v[22:23], off
	;; [unrolled: 1-line block ×8, first 2 shown]
	s_lshl_b64 s[30:31], s[30:31], 1
	s_cmpk_lt_i32 s22, 0x1a00
	v_add_co_u32 v20, vcc_lo, v1, s30
	s_cselect_b32 s34, s42, 0xc80
	v_add_co_ci_u32_e32 v21, vcc_lo, s31, v3, vcc_lo
	s_ashr_i32 s35, s34, 31
	s_delay_alu instid0(SALU_CYCLE_1)
	s_lshl_b64 s[34:35], s[34:35], 1
	s_cmpk_lt_i32 s22, 0x1b00
	v_add_co_u32 v22, vcc_lo, v1, s34
	s_cselect_b32 s36, s42, 0xd00
	v_add_co_ci_u32_e32 v23, vcc_lo, s35, v3, vcc_lo
	s_ashr_i32 s37, s36, 31
	s_delay_alu instid0(SALU_CYCLE_1)
	s_lshl_b64 s[4:5], s[36:37], 1
	s_cmpk_lt_i32 s22, 0x1c00
	v_add_co_u32 v24, vcc_lo, v1, s4
	s_cselect_b32 s6, s42, 0xd80
	v_add_co_ci_u32_e32 v25, vcc_lo, s5, v3, vcc_lo
	s_ashr_i32 s7, s6, 31
	s_delay_alu instid0(SALU_CYCLE_1)
	s_lshl_b64 s[6:7], s[6:7], 1
	s_cmpk_lt_i32 s22, 0x1d00
	v_add_co_u32 v26, vcc_lo, v1, s6
	s_cselect_b32 s10, s42, 0xe00
	v_add_co_ci_u32_e32 v27, vcc_lo, s7, v3, vcc_lo
	s_ashr_i32 s11, s10, 31
	s_delay_alu instid0(SALU_CYCLE_1)
	s_lshl_b64 s[10:11], s[10:11], 1
	s_cmpk_lt_i32 s22, 0x1e00
	v_add_co_u32 v28, vcc_lo, v1, s10
	s_cselect_b32 s18, s42, 0xe80
	v_add_co_ci_u32_e32 v29, vcc_lo, s11, v3, vcc_lo
	s_ashr_i32 s19, s18, 31
	s_delay_alu instid0(SALU_CYCLE_1)
	s_lshl_b64 s[18:19], s[18:19], 1
	s_cmpk_lt_i32 s22, 0x1f00
	v_add_co_u32 v30, vcc_lo, v1, s18
	s_cselect_b32 s20, s42, 0xf00
	v_add_co_ci_u32_e32 v31, vcc_lo, s19, v3, vcc_lo
	s_ashr_i32 s21, s20, 31
	s_delay_alu instid0(SALU_CYCLE_1)
	s_lshl_b64 s[4:5], s[20:21], 1
	s_cmpk_lt_i32 s22, 0x2000
	v_add_co_u32 v32, vcc_lo, v1, s4
	s_cselect_b32 s6, s42, 0xf80
	v_add_co_ci_u32_e32 v33, vcc_lo, s5, v3, vcc_lo
	s_ashr_i32 s7, s6, 31
	s_delay_alu instid0(SALU_CYCLE_1) | instskip(NEXT) | instid1(SALU_CYCLE_1)
	s_lshl_b64 s[4:5], s[6:7], 1
	v_add_co_u32 v34, vcc_lo, v1, s4
	v_add_co_ci_u32_e32 v35, vcc_lo, s5, v3, vcc_lo
	s_clause 0x7
	global_load_u16 v20, v[20:21], off
	global_load_u16 v21, v[22:23], off
	;; [unrolled: 1-line block ×8, first 2 shown]
	s_waitcnt vmcnt(15)
	v_cvt_f32_f16_e32 v35, v36
	s_waitcnt vmcnt(14)
	v_cvt_f32_f16_e32 v34, v37
	;; [unrolled: 2-line block ×16, first 2 shown]
.LBB285_11:
	ds_load_b128 v[36:39], v2
	ds_load_b128 v[40:43], v2 offset:16
	s_load_b64 s[0:1], s[0:1], 0x0
	s_and_b32 vcc_lo, exec_lo, s8
	s_waitcnt lgkmcnt(0)
	v_fma_mix_f32 v7, v36, v7, 0 op_sel_hi:[0,1,0]
	s_delay_alu instid0(VALU_DEP_1) | instskip(NEXT) | instid1(VALU_DEP_1)
	v_fma_mix_f32 v7, v37, v8, v7 op_sel_hi:[0,1,0]
	v_fma_mix_f32 v7, v38, v9, v7 op_sel_hi:[0,1,0]
	s_delay_alu instid0(VALU_DEP_1) | instskip(SKIP_4) | instid1(VALU_DEP_1)
	v_fma_mix_f32 v7, v39, v10, v7 op_sel_hi:[0,1,0]
	ds_load_b128 v[36:39], v2 offset:48
	v_fma_mix_f32 v11, v40, v11, v7 op_sel_hi:[0,1,0]
	ds_load_b128 v[7:10], v2 offset:32
	v_fma_mix_f32 v4, v41, v4, v11 op_sel_hi:[0,1,0]
	v_fma_mix_f32 v4, v42, v5, v4 op_sel_hi:[0,1,0]
	s_delay_alu instid0(VALU_DEP_1) | instskip(SKIP_1) | instid1(VALU_DEP_1)
	v_fma_mix_f32 v4, v43, v6, v4 op_sel_hi:[0,1,0]
	s_waitcnt lgkmcnt(0)
	v_fma_mix_f32 v4, v7, v14, v4 op_sel_hi:[0,1,0]
	s_delay_alu instid0(VALU_DEP_1) | instskip(NEXT) | instid1(VALU_DEP_1)
	v_fma_mix_f32 v4, v8, v15, v4 op_sel_hi:[0,1,0]
	v_fma_mix_f32 v4, v9, v16, v4 op_sel_hi:[0,1,0]
	s_delay_alu instid0(VALU_DEP_1) | instskip(NEXT) | instid1(VALU_DEP_1)
	v_fma_mix_f32 v4, v10, v17, v4 op_sel_hi:[0,1,0]
	;; [unrolled: 3-line block ×3, first 2 shown]
	v_fma_mix_f32 v4, v38, v13, v4 op_sel_hi:[0,1,0]
	s_delay_alu instid0(VALU_DEP_1)
	v_fma_mix_f32 v4, v39, v19, v4 op_sel_hi:[0,1,0]
	s_cbranch_vccz .LBB285_13
; %bb.12:
	ds_load_b128 v[5:8], v2 offset:64
	ds_load_b128 v[9:12], v2 offset:80
	s_waitcnt lgkmcnt(1)
	v_fmac_f32_e32 v4, v5, v35
	s_delay_alu instid0(VALU_DEP_1) | instskip(NEXT) | instid1(VALU_DEP_1)
	v_fmac_f32_e32 v4, v6, v34
	v_fmac_f32_e32 v4, v7, v33
	s_delay_alu instid0(VALU_DEP_1) | instskip(SKIP_3) | instid1(VALU_DEP_1)
	v_fmac_f32_e32 v4, v8, v32
	ds_load_b128 v[5:8], v2 offset:96
	s_waitcnt lgkmcnt(1)
	v_fmac_f32_e32 v4, v9, v31
	v_fmac_f32_e32 v4, v10, v30
	s_delay_alu instid0(VALU_DEP_1) | instskip(NEXT) | instid1(VALU_DEP_1)
	v_fmac_f32_e32 v4, v11, v29
	v_fmac_f32_e32 v4, v12, v28
	ds_load_b128 v[9:12], v2 offset:112
	s_waitcnt lgkmcnt(1)
	v_fmac_f32_e32 v4, v5, v27
	s_delay_alu instid0(VALU_DEP_1) | instskip(NEXT) | instid1(VALU_DEP_1)
	v_fmac_f32_e32 v4, v6, v26
	v_fmac_f32_e32 v4, v7, v25
	s_delay_alu instid0(VALU_DEP_1) | instskip(SKIP_1) | instid1(VALU_DEP_1)
	v_fmac_f32_e32 v4, v8, v24
	s_waitcnt lgkmcnt(0)
	v_fmac_f32_e32 v4, v9, v23
	s_delay_alu instid0(VALU_DEP_1) | instskip(NEXT) | instid1(VALU_DEP_1)
	v_fmac_f32_e32 v4, v10, v22
	v_fmac_f32_e32 v4, v11, v21
	s_delay_alu instid0(VALU_DEP_1)
	v_fmac_f32_e32 v4, v12, v20
.LBB285_13:
	s_movk_i32 s43, 0x1f80
	s_movk_i32 s44, 0x80
	s_mov_b32 s45, 32
	s_branch .LBB285_15
.LBB285_14:                             ;   in Loop: Header=BB285_15 Depth=1
	s_addk_i32 s43, 0x1000
	s_addk_i32 s44, 0x80
	s_add_i32 s45, s45, 32
	s_cmp_eq_u32 s43, 0x10f80
	s_cbranch_scc1 .LBB285_17
.LBB285_15:                             ; =>This Inner Loop Header: Depth=1
	s_cmp_le_i32 s40, s45
	s_cbranch_scc1 .LBB285_14
; %bb.16:                               ;   in Loop: Header=BB285_15 Depth=1
	s_add_i32 s4, s43, 0xfffff080
	v_mov_b32_e32 v44, s44
	s_cmp_lt_i32 s4, s41
	s_cselect_b32 s4, s4, s42
	s_add_i32 s6, s43, 0xfffff100
	s_ashr_i32 s5, s4, 31
	s_delay_alu instid0(SALU_CYCLE_1)
	s_lshl_b64 s[4:5], s[4:5], 1
	s_cmp_lt_i32 s6, s41
	v_add_co_u32 v5, vcc_lo, v1, s4
	s_cselect_b32 s6, s6, s42
	s_add_i32 s10, s43, 0xfffff180
	s_ashr_i32 s7, s6, 31
	v_add_co_ci_u32_e32 v6, vcc_lo, s5, v3, vcc_lo
	s_lshl_b64 s[8:9], s[6:7], 1
	s_cmp_lt_i32 s10, s41
	v_add_co_u32 v7, vcc_lo, v1, s8
	s_cselect_b32 s6, s10, s42
	s_add_i32 s10, s43, 0xfffff200
	s_ashr_i32 s7, s6, 31
	v_add_co_ci_u32_e32 v8, vcc_lo, s9, v3, vcc_lo
	;; [unrolled: 7-line block ×8, first 2 shown]
	s_lshl_b64 s[24:25], s[20:21], 1
	s_cmp_lt_i32 s28, s41
	s_clause 0x7
	global_load_u16 v2, v[5:6], off
	global_load_u16 v21, v[7:8], off
	;; [unrolled: 1-line block ×8, first 2 shown]
	s_cselect_b32 s20, s28, s42
	s_add_i32 s28, s43, 0xfffff580
	s_ashr_i32 s21, s20, 31
	v_add_co_u32 v5, vcc_lo, v1, s24
	s_lshl_b64 s[20:21], s[20:21], 1
	s_cmp_lt_i32 s28, s41
	v_add_co_ci_u32_e32 v6, vcc_lo, s25, v3, vcc_lo
	s_cselect_b32 s28, s28, s42
	s_add_i32 s36, s43, 0xfffff600
	s_ashr_i32 s29, s28, 31
	v_add_co_u32 v7, vcc_lo, v1, s20
	s_lshl_b64 s[30:31], s[28:29], 1
	s_cmp_lt_i32 s36, s41
	v_add_co_ci_u32_e32 v8, vcc_lo, s21, v3, vcc_lo
	;; [unrolled: 7-line block ×8, first 2 shown]
	s_cselect_b32 s10, s10, s42
	s_add_i32 s18, s43, 0xfffff980
	s_ashr_i32 s11, s10, 31
	s_clause 0x7
	global_load_u16 v28, v[5:6], off
	global_load_u16 v29, v[7:8], off
	;; [unrolled: 1-line block ×8, first 2 shown]
	s_lshl_b64 s[10:11], s[10:11], 1
	s_cmp_lt_i32 s18, s41
	v_add_co_u32 v5, vcc_lo, v1, s4
	s_cselect_b32 s18, s18, s42
	s_add_i32 s22, s43, 0xfffffa00
	s_ashr_i32 s19, s18, 31
	v_add_co_ci_u32_e32 v6, vcc_lo, s5, v3, vcc_lo
	s_lshl_b64 s[18:19], s[18:19], 1
	s_cmp_lt_i32 s22, s41
	v_add_co_u32 v7, vcc_lo, v1, s10
	s_cselect_b32 s20, s22, s42
	s_add_i32 s22, s43, 0xfffffa80
	s_ashr_i32 s21, s20, 31
	v_add_co_ci_u32_e32 v8, vcc_lo, s11, v3, vcc_lo
	;; [unrolled: 7-line block ×5, first 2 shown]
	s_lshl_b64 s[6:7], s[6:7], 1
	s_cmp_lt_i32 s24, s41
	s_clause 0x4
	global_load_u16 v19, v[5:6], off
	global_load_u16 v20, v[7:8], off
	;; [unrolled: 1-line block ×5, first 2 shown]
	s_cselect_b32 s4, s24, s42
	s_add_i32 s10, s43, 0xfffffc80
	s_ashr_i32 s5, s4, 31
	v_add_co_u32 v5, vcc_lo, v1, s8
	s_lshl_b64 s[4:5], s[4:5], 1
	s_cmp_lt_i32 s10, s41
	v_add_co_ci_u32_e32 v6, vcc_lo, s9, v3, vcc_lo
	s_cselect_b32 s10, s10, s42
	s_add_i32 s18, s43, 0xfffffd00
	s_ashr_i32 s11, s10, 31
	v_add_co_u32 v7, vcc_lo, v1, s6
	s_lshl_b64 s[10:11], s[10:11], 1
	s_cmp_lt_i32 s18, s41
	v_add_co_ci_u32_e32 v8, vcc_lo, s7, v3, vcc_lo
	s_cselect_b32 s18, s18, s42
	s_add_i32 s20, s43, 0xfffffd80
	s_ashr_i32 s19, s18, 31
	v_add_co_u32 v9, vcc_lo, v1, s4
	s_lshl_b64 s[18:19], s[18:19], 1
	s_cmp_lt_i32 s20, s41
	global_load_u16 v37, v[5:6], off
	s_cselect_b32 s8, s20, s42
	s_add_i32 s20, s43, 0xfffffe00
	s_ashr_i32 s9, s8, 31
	v_add_co_ci_u32_e32 v10, vcc_lo, s5, v3, vcc_lo
	s_lshl_b64 s[6:7], s[8:9], 1
	s_cmp_lt_i32 s20, s41
	v_add_co_u32 v11, vcc_lo, v1, s10
	s_cselect_b32 s4, s20, s42
	s_clause 0x1
	global_load_u16 v38, v[7:8], off
	global_load_u16 v39, v[9:10], off
	v_add_co_ci_u32_e32 v12, vcc_lo, s11, v3, vcc_lo
	s_ashr_i32 s5, s4, 31
	s_add_i32 s8, s43, 0xfffffe80
	v_add_co_u32 v13, vcc_lo, v1, s18
	s_lshl_b64 s[4:5], s[4:5], 1
	s_cmp_lt_i32 s8, s41
	v_add_co_ci_u32_e32 v14, vcc_lo, s19, v3, vcc_lo
	v_add_co_u32 v15, vcc_lo, v1, s6
	s_cselect_b32 s8, s8, s42
	v_add_co_ci_u32_e32 v16, vcc_lo, s7, v3, vcc_lo
	s_ashr_i32 s9, s8, 31
	s_add_i32 s10, s43, 0xffffff00
	s_lshl_b64 s[6:7], s[8:9], 1
	s_clause 0x2
	global_load_u16 v40, v[11:12], off
	global_load_u16 v13, v[13:14], off
	global_load_u16 v14, v[15:16], off
	s_cmp_lt_i32 s10, s41
	v_add_co_u32 v5, vcc_lo, v1, s4
	s_cselect_b32 s8, s10, s42
	s_add_i32 s10, s43, 0xffffff80
	s_ashr_i32 s9, s8, 31
	v_add_co_ci_u32_e32 v6, vcc_lo, s5, v3, vcc_lo
	s_lshl_b64 s[8:9], s[8:9], 1
	s_cmp_lt_i32 s10, s41
	v_add_co_u32 v7, vcc_lo, v1, s6
	s_cselect_b32 s4, s10, s42
	v_add_co_ci_u32_e32 v8, vcc_lo, s7, v3, vcc_lo
	s_ashr_i32 s5, s4, 31
	v_add_co_u32 v9, vcc_lo, v1, s8
	global_load_u16 v15, v[5:6], off
	s_lshl_b64 s[4:5], s[4:5], 1
	v_add_co_ci_u32_e32 v10, vcc_lo, s9, v3, vcc_lo
	s_cmp_lt_i32 s43, s41
	s_clause 0x1
	global_load_u16 v16, v[7:8], off
	global_load_u16 v41, v[9:10], off
	s_cselect_b32 s6, s43, s42
	v_add_co_u32 v5, vcc_lo, v1, s4
	s_ashr_i32 s7, s6, 31
	v_add_co_ci_u32_e32 v6, vcc_lo, s5, v3, vcc_lo
	s_lshl_b64 s[4:5], s[6:7], 1
	s_delay_alu instid0(SALU_CYCLE_1)
	v_add_co_u32 v7, vcc_lo, v1, s4
	v_add_co_ci_u32_e32 v8, vcc_lo, s5, v3, vcc_lo
	s_clause 0x1
	global_load_u16 v42, v[5:6], off
	global_load_u16 v43, v[7:8], off
	ds_load_b128 v[5:8], v44
	ds_load_b128 v[9:12], v44 offset:16
	s_waitcnt vmcnt(31) lgkmcnt(1)
	v_fma_mix_f32 v2, v5, v2, v4 op_sel_hi:[0,1,0]
	s_waitcnt vmcnt(30)
	s_delay_alu instid0(VALU_DEP_1) | instskip(SKIP_1) | instid1(VALU_DEP_1)
	v_fma_mix_f32 v2, v6, v21, v2 op_sel_hi:[0,1,0]
	s_waitcnt vmcnt(29)
	v_fma_mix_f32 v2, v7, v22, v2 op_sel_hi:[0,1,0]
	ds_load_b128 v[4:7], v44 offset:32
	s_waitcnt vmcnt(28)
	v_fma_mix_f32 v2, v8, v23, v2 op_sel_hi:[0,1,0]
	s_waitcnt vmcnt(27) lgkmcnt(1)
	s_delay_alu instid0(VALU_DEP_1) | instskip(SKIP_1) | instid1(VALU_DEP_1)
	v_fma_mix_f32 v2, v9, v24, v2 op_sel_hi:[0,1,0]
	s_waitcnt vmcnt(26)
	v_fma_mix_f32 v2, v10, v25, v2 op_sel_hi:[0,1,0]
	s_waitcnt vmcnt(25)
	s_delay_alu instid0(VALU_DEP_1) | instskip(SKIP_4) | instid1(VALU_DEP_1)
	v_fma_mix_f32 v2, v11, v26, v2 op_sel_hi:[0,1,0]
	ds_load_b128 v[8:11], v44 offset:48
	s_waitcnt vmcnt(24)
	v_fma_mix_f32 v2, v12, v27, v2 op_sel_hi:[0,1,0]
	s_waitcnt vmcnt(23) lgkmcnt(1)
	v_fma_mix_f32 v2, v4, v28, v2 op_sel_hi:[0,1,0]
	s_waitcnt vmcnt(22)
	s_delay_alu instid0(VALU_DEP_1) | instskip(SKIP_1) | instid1(VALU_DEP_1)
	v_fma_mix_f32 v2, v5, v29, v2 op_sel_hi:[0,1,0]
	s_waitcnt vmcnt(21)
	v_fma_mix_f32 v2, v6, v30, v2 op_sel_hi:[0,1,0]
	s_waitcnt vmcnt(20)
	s_delay_alu instid0(VALU_DEP_1) | instskip(SKIP_4) | instid1(VALU_DEP_1)
	v_fma_mix_f32 v2, v7, v31, v2 op_sel_hi:[0,1,0]
	ds_load_b128 v[4:7], v44 offset:64
	s_waitcnt vmcnt(19) lgkmcnt(1)
	v_fma_mix_f32 v2, v8, v32, v2 op_sel_hi:[0,1,0]
	s_waitcnt vmcnt(18)
	v_fma_mix_f32 v2, v9, v33, v2 op_sel_hi:[0,1,0]
	s_waitcnt vmcnt(17)
	s_delay_alu instid0(VALU_DEP_1) | instskip(SKIP_1) | instid1(VALU_DEP_1)
	v_fma_mix_f32 v2, v10, v17, v2 op_sel_hi:[0,1,0]
	s_waitcnt vmcnt(16)
	v_fma_mix_f32 v2, v11, v18, v2 op_sel_hi:[0,1,0]
	ds_load_b128 v[8:11], v44 offset:80
	s_waitcnt vmcnt(15) lgkmcnt(1)
	v_fma_mix_f32 v2, v4, v19, v2 op_sel_hi:[0,1,0]
	s_waitcnt vmcnt(14)
	s_delay_alu instid0(VALU_DEP_1) | instskip(SKIP_1) | instid1(VALU_DEP_1)
	v_fma_mix_f32 v2, v5, v20, v2 op_sel_hi:[0,1,0]
	s_waitcnt vmcnt(13)
	v_fma_mix_f32 v2, v6, v34, v2 op_sel_hi:[0,1,0]
	s_waitcnt vmcnt(12)
	s_delay_alu instid0(VALU_DEP_1) | instskip(SKIP_4) | instid1(VALU_DEP_1)
	v_fma_mix_f32 v2, v7, v35, v2 op_sel_hi:[0,1,0]
	ds_load_b128 v[4:7], v44 offset:96
	s_waitcnt vmcnt(11) lgkmcnt(1)
	v_fma_mix_f32 v2, v8, v36, v2 op_sel_hi:[0,1,0]
	s_waitcnt vmcnt(10)
	v_fma_mix_f32 v2, v9, v37, v2 op_sel_hi:[0,1,0]
	s_waitcnt vmcnt(9)
	s_delay_alu instid0(VALU_DEP_1) | instskip(SKIP_1) | instid1(VALU_DEP_1)
	v_fma_mix_f32 v2, v10, v38, v2 op_sel_hi:[0,1,0]
	s_waitcnt vmcnt(8)
	v_fma_mix_f32 v2, v11, v39, v2 op_sel_hi:[0,1,0]
	ds_load_b128 v[8:11], v44 offset:112
	s_waitcnt vmcnt(7) lgkmcnt(1)
	v_fma_mix_f32 v2, v4, v40, v2 op_sel_hi:[0,1,0]
	s_waitcnt vmcnt(6)
	s_delay_alu instid0(VALU_DEP_1) | instskip(SKIP_1) | instid1(VALU_DEP_1)
	v_fma_mix_f32 v2, v5, v13, v2 op_sel_hi:[0,1,0]
	s_waitcnt vmcnt(5)
	v_fma_mix_f32 v2, v6, v14, v2 op_sel_hi:[0,1,0]
	s_waitcnt vmcnt(4)
	s_delay_alu instid0(VALU_DEP_1) | instskip(SKIP_1) | instid1(VALU_DEP_1)
	v_fma_mix_f32 v2, v7, v15, v2 op_sel_hi:[0,1,0]
	s_waitcnt vmcnt(3) lgkmcnt(0)
	v_fma_mix_f32 v2, v8, v16, v2 op_sel_hi:[0,1,0]
	s_waitcnt vmcnt(2)
	s_delay_alu instid0(VALU_DEP_1) | instskip(SKIP_1) | instid1(VALU_DEP_1)
	v_fma_mix_f32 v2, v9, v41, v2 op_sel_hi:[0,1,0]
	s_waitcnt vmcnt(1)
	v_fma_mix_f32 v2, v10, v42, v2 op_sel_hi:[0,1,0]
	s_waitcnt vmcnt(0)
	s_delay_alu instid0(VALU_DEP_1)
	v_fma_mix_f32 v4, v11, v43, v2 op_sel_hi:[0,1,0]
	s_branch .LBB285_14
.LBB285_17:
	v_mov_b32_e32 v1, 0
	s_and_b32 vcc_lo, exec_lo, s15
	ds_load_b32 v1, v1 offset:2048
	s_cbranch_vccz .LBB285_19
; %bb.18:
	s_add_u32 s2, s12, s16
	s_addc_u32 s3, s13, s17
	s_load_b32 s2, s[2:3], 0x0
	s_mov_b32 s3, 0
.LBB285_19:
	s_waitcnt lgkmcnt(0)
	v_add_f32_e32 v1, 0x358637bd, v1
	s_mul_i32 s3, s33, s3
	s_mul_hi_u32 s4, s33, s2
	s_mul_i32 s2, s33, s2
	s_add_i32 s3, s4, s3
	v_div_scale_f32 v2, null, v1, v1, 1.0
	s_lshl_b64 s[2:3], s[2:3], 8
	s_mov_b32 s15, 0
	s_add_u32 s2, s0, s2
	s_delay_alu instid0(VALU_DEP_1) | instskip(SKIP_2) | instid1(SALU_CYCLE_1)
	v_rcp_f32_e32 v3, v2
	s_addc_u32 s3, s1, s3
	s_lshl_b64 s[0:1], s[14:15], 8
	s_add_u32 s0, s2, s0
	s_addc_u32 s1, s3, s1
	s_waitcnt_depctr 0xfff
	v_fma_f32 v5, -v2, v3, 1.0
	s_delay_alu instid0(VALU_DEP_1) | instskip(SKIP_1) | instid1(VALU_DEP_1)
	v_fmac_f32_e32 v3, v5, v3
	v_div_scale_f32 v5, vcc_lo, 1.0, v1, 1.0
	v_mul_f32_e32 v6, v5, v3
	s_delay_alu instid0(VALU_DEP_1) | instskip(NEXT) | instid1(VALU_DEP_1)
	v_fma_f32 v7, -v2, v6, v5
	v_fmac_f32_e32 v6, v7, v3
	s_delay_alu instid0(VALU_DEP_1) | instskip(NEXT) | instid1(VALU_DEP_1)
	v_fma_f32 v2, -v2, v6, v5
	v_div_fmas_f32 v2, v2, v3, v6
	s_delay_alu instid0(VALU_DEP_1) | instskip(NEXT) | instid1(VALU_DEP_1)
	v_div_fixup_f32 v1, v2, v1, 1.0
	v_fma_mixlo_f16 v1, v4, v1, 0
	global_store_b16 v0, v1, s[0:1]
	s_nop 0
	s_sendmsg sendmsg(MSG_DEALLOC_VGPRS)
	s_endpgm
.LBB285_20:
	s_mov_b32 s4, 0
	s_branch .LBB285_2
	.section	.rodata,"a",@progbits
	.p2align	6, 0x0
	.amdhsa_kernel _Z35paged_attention_ll4mi_reduce_kernelIDF16_DF16_Li128ELi128ELi256ELi16EEvPT0_PKfS3_PKT_PKiS8_iS3_
		.amdhsa_group_segment_fixed_size 2052
		.amdhsa_private_segment_fixed_size 0
		.amdhsa_kernarg_size 320
		.amdhsa_user_sgpr_count 14
		.amdhsa_user_sgpr_dispatch_ptr 0
		.amdhsa_user_sgpr_queue_ptr 0
		.amdhsa_user_sgpr_kernarg_segment_ptr 1
		.amdhsa_user_sgpr_dispatch_id 0
		.amdhsa_user_sgpr_private_segment_size 0
		.amdhsa_wavefront_size32 1
		.amdhsa_uses_dynamic_stack 0
		.amdhsa_enable_private_segment 0
		.amdhsa_system_sgpr_workgroup_id_x 1
		.amdhsa_system_sgpr_workgroup_id_y 1
		.amdhsa_system_sgpr_workgroup_id_z 0
		.amdhsa_system_sgpr_workgroup_info 0
		.amdhsa_system_vgpr_workitem_id 0
		.amdhsa_next_free_vgpr 87
		.amdhsa_next_free_sgpr 47
		.amdhsa_reserve_vcc 1
		.amdhsa_float_round_mode_32 0
		.amdhsa_float_round_mode_16_64 0
		.amdhsa_float_denorm_mode_32 3
		.amdhsa_float_denorm_mode_16_64 3
		.amdhsa_dx10_clamp 1
		.amdhsa_ieee_mode 1
		.amdhsa_fp16_overflow 0
		.amdhsa_workgroup_processor_mode 1
		.amdhsa_memory_ordered 1
		.amdhsa_forward_progress 0
		.amdhsa_shared_vgpr_count 0
		.amdhsa_exception_fp_ieee_invalid_op 0
		.amdhsa_exception_fp_denorm_src 0
		.amdhsa_exception_fp_ieee_div_zero 0
		.amdhsa_exception_fp_ieee_overflow 0
		.amdhsa_exception_fp_ieee_underflow 0
		.amdhsa_exception_fp_ieee_inexact 0
		.amdhsa_exception_int_div_zero 0
	.end_amdhsa_kernel
	.section	.text._Z35paged_attention_ll4mi_reduce_kernelIDF16_DF16_Li128ELi128ELi256ELi16EEvPT0_PKfS3_PKT_PKiS8_iS3_,"axG",@progbits,_Z35paged_attention_ll4mi_reduce_kernelIDF16_DF16_Li128ELi128ELi256ELi16EEvPT0_PKfS3_PKT_PKiS8_iS3_,comdat
.Lfunc_end285:
	.size	_Z35paged_attention_ll4mi_reduce_kernelIDF16_DF16_Li128ELi128ELi256ELi16EEvPT0_PKfS3_PKT_PKiS8_iS3_, .Lfunc_end285-_Z35paged_attention_ll4mi_reduce_kernelIDF16_DF16_Li128ELi128ELi256ELi16EEvPT0_PKfS3_PKT_PKiS8_iS3_
                                        ; -- End function
	.section	.AMDGPU.csdata,"",@progbits
; Kernel info:
; codeLenInByte = 8264
; NumSgprs: 49
; NumVgprs: 87
; ScratchSize: 0
; MemoryBound: 0
; FloatMode: 240
; IeeeMode: 1
; LDSByteSize: 2052 bytes/workgroup (compile time only)
; SGPRBlocks: 6
; VGPRBlocks: 10
; NumSGPRsForWavesPerEU: 49
; NumVGPRsForWavesPerEU: 87
; Occupancy: 16
; WaveLimiterHint : 0
; COMPUTE_PGM_RSRC2:SCRATCH_EN: 0
; COMPUTE_PGM_RSRC2:USER_SGPR: 14
; COMPUTE_PGM_RSRC2:TRAP_HANDLER: 0
; COMPUTE_PGM_RSRC2:TGID_X_EN: 1
; COMPUTE_PGM_RSRC2:TGID_Y_EN: 1
; COMPUTE_PGM_RSRC2:TGID_Z_EN: 0
; COMPUTE_PGM_RSRC2:TIDIG_COMP_CNT: 0
	.section	.text._Z38paged_attention_ll4mi_QKV_mfma4_kernelIDF16_DF16_LN4vllm18Fp8KVCacheDataTypeE0EDF16_Li16ELi128ELi256ELb0ELi1EEvPKT_PKT0_S7_ifPKiS9_S9_iPKfiiiPfSC_PS2_PT2_iSB_SB_,"axG",@progbits,_Z38paged_attention_ll4mi_QKV_mfma4_kernelIDF16_DF16_LN4vllm18Fp8KVCacheDataTypeE0EDF16_Li16ELi128ELi256ELb0ELi1EEvPKT_PKT0_S7_ifPKiS9_S9_iPKfiiiPfSC_PS2_PT2_iSB_SB_,comdat
	.protected	_Z38paged_attention_ll4mi_QKV_mfma4_kernelIDF16_DF16_LN4vllm18Fp8KVCacheDataTypeE0EDF16_Li16ELi128ELi256ELb0ELi1EEvPKT_PKT0_S7_ifPKiS9_S9_iPKfiiiPfSC_PS2_PT2_iSB_SB_ ; -- Begin function _Z38paged_attention_ll4mi_QKV_mfma4_kernelIDF16_DF16_LN4vllm18Fp8KVCacheDataTypeE0EDF16_Li16ELi128ELi256ELb0ELi1EEvPKT_PKT0_S7_ifPKiS9_S9_iPKfiiiPfSC_PS2_PT2_iSB_SB_
	.globl	_Z38paged_attention_ll4mi_QKV_mfma4_kernelIDF16_DF16_LN4vllm18Fp8KVCacheDataTypeE0EDF16_Li16ELi128ELi256ELb0ELi1EEvPKT_PKT0_S7_ifPKiS9_S9_iPKfiiiPfSC_PS2_PT2_iSB_SB_
	.p2align	8
	.type	_Z38paged_attention_ll4mi_QKV_mfma4_kernelIDF16_DF16_LN4vllm18Fp8KVCacheDataTypeE0EDF16_Li16ELi128ELi256ELb0ELi1EEvPKT_PKT0_S7_ifPKiS9_S9_iPKfiiiPfSC_PS2_PT2_iSB_SB_,@function
_Z38paged_attention_ll4mi_QKV_mfma4_kernelIDF16_DF16_LN4vllm18Fp8KVCacheDataTypeE0EDF16_Li16ELi128ELi256ELb0ELi1EEvPKT_PKT0_S7_ifPKiS9_S9_iPKfiiiPfSC_PS2_PT2_iSB_SB_: ; @_Z38paged_attention_ll4mi_QKV_mfma4_kernelIDF16_DF16_LN4vllm18Fp8KVCacheDataTypeE0EDF16_Li16ELi128ELi256ELb0ELi1EEvPKT_PKT0_S7_ifPKiS9_S9_iPKfiiiPfSC_PS2_PT2_iSB_SB_
; %bb.0:
	s_add_u32 s8, s0, 0x90
	s_addc_u32 s9, s1, 0
	s_getpc_b64 s[0:1]
	s_add_u32 s0, s0, __PRETTY_FUNCTION__._Z38paged_attention_ll4mi_QKV_mfma4_kernelIDF16_DF16_LN4vllm18Fp8KVCacheDataTypeE0EDF16_Li16ELi128ELi256ELb0ELi1EEvPKT_PKT0_S7_ifPKiS9_S9_iPKfiiiPfSC_PS2_PT2_iSB_SB_@rel32@lo+4
	s_addc_u32 s1, s1, __PRETTY_FUNCTION__._Z38paged_attention_ll4mi_QKV_mfma4_kernelIDF16_DF16_LN4vllm18Fp8KVCacheDataTypeE0EDF16_Li16ELi128ELi256ELb0ELi1EEvPKT_PKT0_S7_ifPKiS9_S9_iPKfiiiPfSC_PS2_PT2_iSB_SB_@rel32@hi+12
	s_delay_alu instid0(SALU_CYCLE_1) | instskip(SKIP_4) | instid1(SALU_CYCLE_1)
	v_dual_mov_b32 v0, s0 :: v_dual_mov_b32 v1, s1
	s_mov_b32 s32, 0
	s_getpc_b64 s[2:3]
	s_add_u32 s2, s2, __assert_fail@rel32@lo+4
	s_addc_u32 s3, s3, __assert_fail@rel32@hi+12
	s_swappc_b64 s[30:31], s[2:3]
	.section	.rodata,"a",@progbits
	.p2align	6, 0x0
	.amdhsa_kernel _Z38paged_attention_ll4mi_QKV_mfma4_kernelIDF16_DF16_LN4vllm18Fp8KVCacheDataTypeE0EDF16_Li16ELi128ELi256ELb0ELi1EEvPKT_PKT0_S7_ifPKiS9_S9_iPKfiiiPfSC_PS2_PT2_iSB_SB_
		.amdhsa_group_segment_fixed_size 0
		.amdhsa_private_segment_fixed_size 64
		.amdhsa_kernarg_size 400
		.amdhsa_user_sgpr_count 15
		.amdhsa_user_sgpr_dispatch_ptr 0
		.amdhsa_user_sgpr_queue_ptr 0
		.amdhsa_user_sgpr_kernarg_segment_ptr 1
		.amdhsa_user_sgpr_dispatch_id 0
		.amdhsa_user_sgpr_private_segment_size 0
		.amdhsa_wavefront_size32 1
		.amdhsa_uses_dynamic_stack 0
		.amdhsa_enable_private_segment 1
		.amdhsa_system_sgpr_workgroup_id_x 1
		.amdhsa_system_sgpr_workgroup_id_y 0
		.amdhsa_system_sgpr_workgroup_id_z 0
		.amdhsa_system_sgpr_workgroup_info 0
		.amdhsa_system_vgpr_workitem_id 0
		.amdhsa_next_free_vgpr 41
		.amdhsa_next_free_sgpr 34
		.amdhsa_reserve_vcc 1
		.amdhsa_float_round_mode_32 0
		.amdhsa_float_round_mode_16_64 0
		.amdhsa_float_denorm_mode_32 3
		.amdhsa_float_denorm_mode_16_64 3
		.amdhsa_dx10_clamp 1
		.amdhsa_ieee_mode 1
		.amdhsa_fp16_overflow 0
		.amdhsa_workgroup_processor_mode 1
		.amdhsa_memory_ordered 1
		.amdhsa_forward_progress 0
		.amdhsa_shared_vgpr_count 0
		.amdhsa_exception_fp_ieee_invalid_op 0
		.amdhsa_exception_fp_denorm_src 0
		.amdhsa_exception_fp_ieee_div_zero 0
		.amdhsa_exception_fp_ieee_overflow 0
		.amdhsa_exception_fp_ieee_underflow 0
		.amdhsa_exception_fp_ieee_inexact 0
		.amdhsa_exception_int_div_zero 0
	.end_amdhsa_kernel
	.section	.text._Z38paged_attention_ll4mi_QKV_mfma4_kernelIDF16_DF16_LN4vllm18Fp8KVCacheDataTypeE0EDF16_Li16ELi128ELi256ELb0ELi1EEvPKT_PKT0_S7_ifPKiS9_S9_iPKfiiiPfSC_PS2_PT2_iSB_SB_,"axG",@progbits,_Z38paged_attention_ll4mi_QKV_mfma4_kernelIDF16_DF16_LN4vllm18Fp8KVCacheDataTypeE0EDF16_Li16ELi128ELi256ELb0ELi1EEvPKT_PKT0_S7_ifPKiS9_S9_iPKfiiiPfSC_PS2_PT2_iSB_SB_,comdat
.Lfunc_end286:
	.size	_Z38paged_attention_ll4mi_QKV_mfma4_kernelIDF16_DF16_LN4vllm18Fp8KVCacheDataTypeE0EDF16_Li16ELi128ELi256ELb0ELi1EEvPKT_PKT0_S7_ifPKiS9_S9_iPKfiiiPfSC_PS2_PT2_iSB_SB_, .Lfunc_end286-_Z38paged_attention_ll4mi_QKV_mfma4_kernelIDF16_DF16_LN4vllm18Fp8KVCacheDataTypeE0EDF16_Li16ELi128ELi256ELb0ELi1EEvPKT_PKT0_S7_ifPKiS9_S9_iPKfiiiPfSC_PS2_PT2_iSB_SB_
                                        ; -- End function
	.section	.AMDGPU.csdata,"",@progbits
; Kernel info:
; codeLenInByte = 72
; NumSgprs: 36
; NumVgprs: 41
; ScratchSize: 64
; MemoryBound: 0
; FloatMode: 240
; IeeeMode: 1
; LDSByteSize: 0 bytes/workgroup (compile time only)
; SGPRBlocks: 4
; VGPRBlocks: 5
; NumSGPRsForWavesPerEU: 36
; NumVGPRsForWavesPerEU: 41
; Occupancy: 16
; WaveLimiterHint : 1
; COMPUTE_PGM_RSRC2:SCRATCH_EN: 1
; COMPUTE_PGM_RSRC2:USER_SGPR: 15
; COMPUTE_PGM_RSRC2:TRAP_HANDLER: 0
; COMPUTE_PGM_RSRC2:TGID_X_EN: 1
; COMPUTE_PGM_RSRC2:TGID_Y_EN: 0
; COMPUTE_PGM_RSRC2:TGID_Z_EN: 0
; COMPUTE_PGM_RSRC2:TIDIG_COMP_CNT: 0
	.section	.text._Z38paged_attention_ll4mi_QKV_mfma4_kernelIDF16_DF16_LN4vllm18Fp8KVCacheDataTypeE0EDF16_Li16ELi128ELi256ELb0ELi2EEvPKT_PKT0_S7_ifPKiS9_S9_iPKfiiiPfSC_PS2_PT2_iSB_SB_,"axG",@progbits,_Z38paged_attention_ll4mi_QKV_mfma4_kernelIDF16_DF16_LN4vllm18Fp8KVCacheDataTypeE0EDF16_Li16ELi128ELi256ELb0ELi2EEvPKT_PKT0_S7_ifPKiS9_S9_iPKfiiiPfSC_PS2_PT2_iSB_SB_,comdat
	.protected	_Z38paged_attention_ll4mi_QKV_mfma4_kernelIDF16_DF16_LN4vllm18Fp8KVCacheDataTypeE0EDF16_Li16ELi128ELi256ELb0ELi2EEvPKT_PKT0_S7_ifPKiS9_S9_iPKfiiiPfSC_PS2_PT2_iSB_SB_ ; -- Begin function _Z38paged_attention_ll4mi_QKV_mfma4_kernelIDF16_DF16_LN4vllm18Fp8KVCacheDataTypeE0EDF16_Li16ELi128ELi256ELb0ELi2EEvPKT_PKT0_S7_ifPKiS9_S9_iPKfiiiPfSC_PS2_PT2_iSB_SB_
	.globl	_Z38paged_attention_ll4mi_QKV_mfma4_kernelIDF16_DF16_LN4vllm18Fp8KVCacheDataTypeE0EDF16_Li16ELi128ELi256ELb0ELi2EEvPKT_PKT0_S7_ifPKiS9_S9_iPKfiiiPfSC_PS2_PT2_iSB_SB_
	.p2align	8
	.type	_Z38paged_attention_ll4mi_QKV_mfma4_kernelIDF16_DF16_LN4vllm18Fp8KVCacheDataTypeE0EDF16_Li16ELi128ELi256ELb0ELi2EEvPKT_PKT0_S7_ifPKiS9_S9_iPKfiiiPfSC_PS2_PT2_iSB_SB_,@function
_Z38paged_attention_ll4mi_QKV_mfma4_kernelIDF16_DF16_LN4vllm18Fp8KVCacheDataTypeE0EDF16_Li16ELi128ELi256ELb0ELi2EEvPKT_PKT0_S7_ifPKiS9_S9_iPKfiiiPfSC_PS2_PT2_iSB_SB_: ; @_Z38paged_attention_ll4mi_QKV_mfma4_kernelIDF16_DF16_LN4vllm18Fp8KVCacheDataTypeE0EDF16_Li16ELi128ELi256ELb0ELi2EEvPKT_PKT0_S7_ifPKiS9_S9_iPKfiiiPfSC_PS2_PT2_iSB_SB_
; %bb.0:
	s_add_u32 s8, s0, 0x90
	s_addc_u32 s9, s1, 0
	s_getpc_b64 s[0:1]
	s_add_u32 s0, s0, __PRETTY_FUNCTION__._Z38paged_attention_ll4mi_QKV_mfma4_kernelIDF16_DF16_LN4vllm18Fp8KVCacheDataTypeE0EDF16_Li16ELi128ELi256ELb0ELi2EEvPKT_PKT0_S7_ifPKiS9_S9_iPKfiiiPfSC_PS2_PT2_iSB_SB_@rel32@lo+4
	s_addc_u32 s1, s1, __PRETTY_FUNCTION__._Z38paged_attention_ll4mi_QKV_mfma4_kernelIDF16_DF16_LN4vllm18Fp8KVCacheDataTypeE0EDF16_Li16ELi128ELi256ELb0ELi2EEvPKT_PKT0_S7_ifPKiS9_S9_iPKfiiiPfSC_PS2_PT2_iSB_SB_@rel32@hi+12
	s_delay_alu instid0(SALU_CYCLE_1) | instskip(SKIP_4) | instid1(SALU_CYCLE_1)
	v_dual_mov_b32 v0, s0 :: v_dual_mov_b32 v1, s1
	s_mov_b32 s32, 0
	s_getpc_b64 s[2:3]
	s_add_u32 s2, s2, __assert_fail@rel32@lo+4
	s_addc_u32 s3, s3, __assert_fail@rel32@hi+12
	s_swappc_b64 s[30:31], s[2:3]
	.section	.rodata,"a",@progbits
	.p2align	6, 0x0
	.amdhsa_kernel _Z38paged_attention_ll4mi_QKV_mfma4_kernelIDF16_DF16_LN4vllm18Fp8KVCacheDataTypeE0EDF16_Li16ELi128ELi256ELb0ELi2EEvPKT_PKT0_S7_ifPKiS9_S9_iPKfiiiPfSC_PS2_PT2_iSB_SB_
		.amdhsa_group_segment_fixed_size 0
		.amdhsa_private_segment_fixed_size 64
		.amdhsa_kernarg_size 400
		.amdhsa_user_sgpr_count 15
		.amdhsa_user_sgpr_dispatch_ptr 0
		.amdhsa_user_sgpr_queue_ptr 0
		.amdhsa_user_sgpr_kernarg_segment_ptr 1
		.amdhsa_user_sgpr_dispatch_id 0
		.amdhsa_user_sgpr_private_segment_size 0
		.amdhsa_wavefront_size32 1
		.amdhsa_uses_dynamic_stack 0
		.amdhsa_enable_private_segment 1
		.amdhsa_system_sgpr_workgroup_id_x 1
		.amdhsa_system_sgpr_workgroup_id_y 0
		.amdhsa_system_sgpr_workgroup_id_z 0
		.amdhsa_system_sgpr_workgroup_info 0
		.amdhsa_system_vgpr_workitem_id 0
		.amdhsa_next_free_vgpr 41
		.amdhsa_next_free_sgpr 34
		.amdhsa_reserve_vcc 1
		.amdhsa_float_round_mode_32 0
		.amdhsa_float_round_mode_16_64 0
		.amdhsa_float_denorm_mode_32 3
		.amdhsa_float_denorm_mode_16_64 3
		.amdhsa_dx10_clamp 1
		.amdhsa_ieee_mode 1
		.amdhsa_fp16_overflow 0
		.amdhsa_workgroup_processor_mode 1
		.amdhsa_memory_ordered 1
		.amdhsa_forward_progress 0
		.amdhsa_shared_vgpr_count 0
		.amdhsa_exception_fp_ieee_invalid_op 0
		.amdhsa_exception_fp_denorm_src 0
		.amdhsa_exception_fp_ieee_div_zero 0
		.amdhsa_exception_fp_ieee_overflow 0
		.amdhsa_exception_fp_ieee_underflow 0
		.amdhsa_exception_fp_ieee_inexact 0
		.amdhsa_exception_int_div_zero 0
	.end_amdhsa_kernel
	.section	.text._Z38paged_attention_ll4mi_QKV_mfma4_kernelIDF16_DF16_LN4vllm18Fp8KVCacheDataTypeE0EDF16_Li16ELi128ELi256ELb0ELi2EEvPKT_PKT0_S7_ifPKiS9_S9_iPKfiiiPfSC_PS2_PT2_iSB_SB_,"axG",@progbits,_Z38paged_attention_ll4mi_QKV_mfma4_kernelIDF16_DF16_LN4vllm18Fp8KVCacheDataTypeE0EDF16_Li16ELi128ELi256ELb0ELi2EEvPKT_PKT0_S7_ifPKiS9_S9_iPKfiiiPfSC_PS2_PT2_iSB_SB_,comdat
.Lfunc_end287:
	.size	_Z38paged_attention_ll4mi_QKV_mfma4_kernelIDF16_DF16_LN4vllm18Fp8KVCacheDataTypeE0EDF16_Li16ELi128ELi256ELb0ELi2EEvPKT_PKT0_S7_ifPKiS9_S9_iPKfiiiPfSC_PS2_PT2_iSB_SB_, .Lfunc_end287-_Z38paged_attention_ll4mi_QKV_mfma4_kernelIDF16_DF16_LN4vllm18Fp8KVCacheDataTypeE0EDF16_Li16ELi128ELi256ELb0ELi2EEvPKT_PKT0_S7_ifPKiS9_S9_iPKfiiiPfSC_PS2_PT2_iSB_SB_
                                        ; -- End function
	.section	.AMDGPU.csdata,"",@progbits
; Kernel info:
; codeLenInByte = 72
; NumSgprs: 36
; NumVgprs: 41
; ScratchSize: 64
; MemoryBound: 0
; FloatMode: 240
; IeeeMode: 1
; LDSByteSize: 0 bytes/workgroup (compile time only)
; SGPRBlocks: 4
; VGPRBlocks: 5
; NumSGPRsForWavesPerEU: 36
; NumVGPRsForWavesPerEU: 41
; Occupancy: 16
; WaveLimiterHint : 1
; COMPUTE_PGM_RSRC2:SCRATCH_EN: 1
; COMPUTE_PGM_RSRC2:USER_SGPR: 15
; COMPUTE_PGM_RSRC2:TRAP_HANDLER: 0
; COMPUTE_PGM_RSRC2:TGID_X_EN: 1
; COMPUTE_PGM_RSRC2:TGID_Y_EN: 0
; COMPUTE_PGM_RSRC2:TGID_Z_EN: 0
; COMPUTE_PGM_RSRC2:TIDIG_COMP_CNT: 0
	.section	.text._Z38paged_attention_ll4mi_QKV_mfma4_kernelIDF16_DF16_LN4vllm18Fp8KVCacheDataTypeE0EDF16_Li16ELi128ELi256ELb0ELi3EEvPKT_PKT0_S7_ifPKiS9_S9_iPKfiiiPfSC_PS2_PT2_iSB_SB_,"axG",@progbits,_Z38paged_attention_ll4mi_QKV_mfma4_kernelIDF16_DF16_LN4vllm18Fp8KVCacheDataTypeE0EDF16_Li16ELi128ELi256ELb0ELi3EEvPKT_PKT0_S7_ifPKiS9_S9_iPKfiiiPfSC_PS2_PT2_iSB_SB_,comdat
	.protected	_Z38paged_attention_ll4mi_QKV_mfma4_kernelIDF16_DF16_LN4vllm18Fp8KVCacheDataTypeE0EDF16_Li16ELi128ELi256ELb0ELi3EEvPKT_PKT0_S7_ifPKiS9_S9_iPKfiiiPfSC_PS2_PT2_iSB_SB_ ; -- Begin function _Z38paged_attention_ll4mi_QKV_mfma4_kernelIDF16_DF16_LN4vllm18Fp8KVCacheDataTypeE0EDF16_Li16ELi128ELi256ELb0ELi3EEvPKT_PKT0_S7_ifPKiS9_S9_iPKfiiiPfSC_PS2_PT2_iSB_SB_
	.globl	_Z38paged_attention_ll4mi_QKV_mfma4_kernelIDF16_DF16_LN4vllm18Fp8KVCacheDataTypeE0EDF16_Li16ELi128ELi256ELb0ELi3EEvPKT_PKT0_S7_ifPKiS9_S9_iPKfiiiPfSC_PS2_PT2_iSB_SB_
	.p2align	8
	.type	_Z38paged_attention_ll4mi_QKV_mfma4_kernelIDF16_DF16_LN4vllm18Fp8KVCacheDataTypeE0EDF16_Li16ELi128ELi256ELb0ELi3EEvPKT_PKT0_S7_ifPKiS9_S9_iPKfiiiPfSC_PS2_PT2_iSB_SB_,@function
_Z38paged_attention_ll4mi_QKV_mfma4_kernelIDF16_DF16_LN4vllm18Fp8KVCacheDataTypeE0EDF16_Li16ELi128ELi256ELb0ELi3EEvPKT_PKT0_S7_ifPKiS9_S9_iPKfiiiPfSC_PS2_PT2_iSB_SB_: ; @_Z38paged_attention_ll4mi_QKV_mfma4_kernelIDF16_DF16_LN4vllm18Fp8KVCacheDataTypeE0EDF16_Li16ELi128ELi256ELb0ELi3EEvPKT_PKT0_S7_ifPKiS9_S9_iPKfiiiPfSC_PS2_PT2_iSB_SB_
; %bb.0:
	s_add_u32 s8, s0, 0x90
	s_addc_u32 s9, s1, 0
	s_getpc_b64 s[0:1]
	s_add_u32 s0, s0, __PRETTY_FUNCTION__._Z38paged_attention_ll4mi_QKV_mfma4_kernelIDF16_DF16_LN4vllm18Fp8KVCacheDataTypeE0EDF16_Li16ELi128ELi256ELb0ELi3EEvPKT_PKT0_S7_ifPKiS9_S9_iPKfiiiPfSC_PS2_PT2_iSB_SB_@rel32@lo+4
	s_addc_u32 s1, s1, __PRETTY_FUNCTION__._Z38paged_attention_ll4mi_QKV_mfma4_kernelIDF16_DF16_LN4vllm18Fp8KVCacheDataTypeE0EDF16_Li16ELi128ELi256ELb0ELi3EEvPKT_PKT0_S7_ifPKiS9_S9_iPKfiiiPfSC_PS2_PT2_iSB_SB_@rel32@hi+12
	s_delay_alu instid0(SALU_CYCLE_1) | instskip(SKIP_4) | instid1(SALU_CYCLE_1)
	v_dual_mov_b32 v0, s0 :: v_dual_mov_b32 v1, s1
	s_mov_b32 s32, 0
	s_getpc_b64 s[2:3]
	s_add_u32 s2, s2, __assert_fail@rel32@lo+4
	s_addc_u32 s3, s3, __assert_fail@rel32@hi+12
	s_swappc_b64 s[30:31], s[2:3]
	.section	.rodata,"a",@progbits
	.p2align	6, 0x0
	.amdhsa_kernel _Z38paged_attention_ll4mi_QKV_mfma4_kernelIDF16_DF16_LN4vllm18Fp8KVCacheDataTypeE0EDF16_Li16ELi128ELi256ELb0ELi3EEvPKT_PKT0_S7_ifPKiS9_S9_iPKfiiiPfSC_PS2_PT2_iSB_SB_
		.amdhsa_group_segment_fixed_size 0
		.amdhsa_private_segment_fixed_size 64
		.amdhsa_kernarg_size 400
		.amdhsa_user_sgpr_count 15
		.amdhsa_user_sgpr_dispatch_ptr 0
		.amdhsa_user_sgpr_queue_ptr 0
		.amdhsa_user_sgpr_kernarg_segment_ptr 1
		.amdhsa_user_sgpr_dispatch_id 0
		.amdhsa_user_sgpr_private_segment_size 0
		.amdhsa_wavefront_size32 1
		.amdhsa_uses_dynamic_stack 0
		.amdhsa_enable_private_segment 1
		.amdhsa_system_sgpr_workgroup_id_x 1
		.amdhsa_system_sgpr_workgroup_id_y 0
		.amdhsa_system_sgpr_workgroup_id_z 0
		.amdhsa_system_sgpr_workgroup_info 0
		.amdhsa_system_vgpr_workitem_id 0
		.amdhsa_next_free_vgpr 41
		.amdhsa_next_free_sgpr 34
		.amdhsa_reserve_vcc 1
		.amdhsa_float_round_mode_32 0
		.amdhsa_float_round_mode_16_64 0
		.amdhsa_float_denorm_mode_32 3
		.amdhsa_float_denorm_mode_16_64 3
		.amdhsa_dx10_clamp 1
		.amdhsa_ieee_mode 1
		.amdhsa_fp16_overflow 0
		.amdhsa_workgroup_processor_mode 1
		.amdhsa_memory_ordered 1
		.amdhsa_forward_progress 0
		.amdhsa_shared_vgpr_count 0
		.amdhsa_exception_fp_ieee_invalid_op 0
		.amdhsa_exception_fp_denorm_src 0
		.amdhsa_exception_fp_ieee_div_zero 0
		.amdhsa_exception_fp_ieee_overflow 0
		.amdhsa_exception_fp_ieee_underflow 0
		.amdhsa_exception_fp_ieee_inexact 0
		.amdhsa_exception_int_div_zero 0
	.end_amdhsa_kernel
	.section	.text._Z38paged_attention_ll4mi_QKV_mfma4_kernelIDF16_DF16_LN4vllm18Fp8KVCacheDataTypeE0EDF16_Li16ELi128ELi256ELb0ELi3EEvPKT_PKT0_S7_ifPKiS9_S9_iPKfiiiPfSC_PS2_PT2_iSB_SB_,"axG",@progbits,_Z38paged_attention_ll4mi_QKV_mfma4_kernelIDF16_DF16_LN4vllm18Fp8KVCacheDataTypeE0EDF16_Li16ELi128ELi256ELb0ELi3EEvPKT_PKT0_S7_ifPKiS9_S9_iPKfiiiPfSC_PS2_PT2_iSB_SB_,comdat
.Lfunc_end288:
	.size	_Z38paged_attention_ll4mi_QKV_mfma4_kernelIDF16_DF16_LN4vllm18Fp8KVCacheDataTypeE0EDF16_Li16ELi128ELi256ELb0ELi3EEvPKT_PKT0_S7_ifPKiS9_S9_iPKfiiiPfSC_PS2_PT2_iSB_SB_, .Lfunc_end288-_Z38paged_attention_ll4mi_QKV_mfma4_kernelIDF16_DF16_LN4vllm18Fp8KVCacheDataTypeE0EDF16_Li16ELi128ELi256ELb0ELi3EEvPKT_PKT0_S7_ifPKiS9_S9_iPKfiiiPfSC_PS2_PT2_iSB_SB_
                                        ; -- End function
	.section	.AMDGPU.csdata,"",@progbits
; Kernel info:
; codeLenInByte = 72
; NumSgprs: 36
; NumVgprs: 41
; ScratchSize: 64
; MemoryBound: 0
; FloatMode: 240
; IeeeMode: 1
; LDSByteSize: 0 bytes/workgroup (compile time only)
; SGPRBlocks: 4
; VGPRBlocks: 5
; NumSGPRsForWavesPerEU: 36
; NumVGPRsForWavesPerEU: 41
; Occupancy: 16
; WaveLimiterHint : 1
; COMPUTE_PGM_RSRC2:SCRATCH_EN: 1
; COMPUTE_PGM_RSRC2:USER_SGPR: 15
; COMPUTE_PGM_RSRC2:TRAP_HANDLER: 0
; COMPUTE_PGM_RSRC2:TGID_X_EN: 1
; COMPUTE_PGM_RSRC2:TGID_Y_EN: 0
; COMPUTE_PGM_RSRC2:TGID_Z_EN: 0
; COMPUTE_PGM_RSRC2:TIDIG_COMP_CNT: 0
	.section	.text._Z38paged_attention_ll4mi_QKV_mfma4_kernelIDF16_DF16_LN4vllm18Fp8KVCacheDataTypeE0EDF16_Li16ELi128ELi256ELb0ELi4EEvPKT_PKT0_S7_ifPKiS9_S9_iPKfiiiPfSC_PS2_PT2_iSB_SB_,"axG",@progbits,_Z38paged_attention_ll4mi_QKV_mfma4_kernelIDF16_DF16_LN4vllm18Fp8KVCacheDataTypeE0EDF16_Li16ELi128ELi256ELb0ELi4EEvPKT_PKT0_S7_ifPKiS9_S9_iPKfiiiPfSC_PS2_PT2_iSB_SB_,comdat
	.protected	_Z38paged_attention_ll4mi_QKV_mfma4_kernelIDF16_DF16_LN4vllm18Fp8KVCacheDataTypeE0EDF16_Li16ELi128ELi256ELb0ELi4EEvPKT_PKT0_S7_ifPKiS9_S9_iPKfiiiPfSC_PS2_PT2_iSB_SB_ ; -- Begin function _Z38paged_attention_ll4mi_QKV_mfma4_kernelIDF16_DF16_LN4vllm18Fp8KVCacheDataTypeE0EDF16_Li16ELi128ELi256ELb0ELi4EEvPKT_PKT0_S7_ifPKiS9_S9_iPKfiiiPfSC_PS2_PT2_iSB_SB_
	.globl	_Z38paged_attention_ll4mi_QKV_mfma4_kernelIDF16_DF16_LN4vllm18Fp8KVCacheDataTypeE0EDF16_Li16ELi128ELi256ELb0ELi4EEvPKT_PKT0_S7_ifPKiS9_S9_iPKfiiiPfSC_PS2_PT2_iSB_SB_
	.p2align	8
	.type	_Z38paged_attention_ll4mi_QKV_mfma4_kernelIDF16_DF16_LN4vllm18Fp8KVCacheDataTypeE0EDF16_Li16ELi128ELi256ELb0ELi4EEvPKT_PKT0_S7_ifPKiS9_S9_iPKfiiiPfSC_PS2_PT2_iSB_SB_,@function
_Z38paged_attention_ll4mi_QKV_mfma4_kernelIDF16_DF16_LN4vllm18Fp8KVCacheDataTypeE0EDF16_Li16ELi128ELi256ELb0ELi4EEvPKT_PKT0_S7_ifPKiS9_S9_iPKfiiiPfSC_PS2_PT2_iSB_SB_: ; @_Z38paged_attention_ll4mi_QKV_mfma4_kernelIDF16_DF16_LN4vllm18Fp8KVCacheDataTypeE0EDF16_Li16ELi128ELi256ELb0ELi4EEvPKT_PKT0_S7_ifPKiS9_S9_iPKfiiiPfSC_PS2_PT2_iSB_SB_
; %bb.0:
	s_add_u32 s8, s0, 0x90
	s_addc_u32 s9, s1, 0
	s_getpc_b64 s[0:1]
	s_add_u32 s0, s0, __PRETTY_FUNCTION__._Z38paged_attention_ll4mi_QKV_mfma4_kernelIDF16_DF16_LN4vllm18Fp8KVCacheDataTypeE0EDF16_Li16ELi128ELi256ELb0ELi4EEvPKT_PKT0_S7_ifPKiS9_S9_iPKfiiiPfSC_PS2_PT2_iSB_SB_@rel32@lo+4
	s_addc_u32 s1, s1, __PRETTY_FUNCTION__._Z38paged_attention_ll4mi_QKV_mfma4_kernelIDF16_DF16_LN4vllm18Fp8KVCacheDataTypeE0EDF16_Li16ELi128ELi256ELb0ELi4EEvPKT_PKT0_S7_ifPKiS9_S9_iPKfiiiPfSC_PS2_PT2_iSB_SB_@rel32@hi+12
	s_delay_alu instid0(SALU_CYCLE_1) | instskip(SKIP_4) | instid1(SALU_CYCLE_1)
	v_dual_mov_b32 v0, s0 :: v_dual_mov_b32 v1, s1
	s_mov_b32 s32, 0
	s_getpc_b64 s[2:3]
	s_add_u32 s2, s2, __assert_fail@rel32@lo+4
	s_addc_u32 s3, s3, __assert_fail@rel32@hi+12
	s_swappc_b64 s[30:31], s[2:3]
	.section	.rodata,"a",@progbits
	.p2align	6, 0x0
	.amdhsa_kernel _Z38paged_attention_ll4mi_QKV_mfma4_kernelIDF16_DF16_LN4vllm18Fp8KVCacheDataTypeE0EDF16_Li16ELi128ELi256ELb0ELi4EEvPKT_PKT0_S7_ifPKiS9_S9_iPKfiiiPfSC_PS2_PT2_iSB_SB_
		.amdhsa_group_segment_fixed_size 0
		.amdhsa_private_segment_fixed_size 64
		.amdhsa_kernarg_size 400
		.amdhsa_user_sgpr_count 15
		.amdhsa_user_sgpr_dispatch_ptr 0
		.amdhsa_user_sgpr_queue_ptr 0
		.amdhsa_user_sgpr_kernarg_segment_ptr 1
		.amdhsa_user_sgpr_dispatch_id 0
		.amdhsa_user_sgpr_private_segment_size 0
		.amdhsa_wavefront_size32 1
		.amdhsa_uses_dynamic_stack 0
		.amdhsa_enable_private_segment 1
		.amdhsa_system_sgpr_workgroup_id_x 1
		.amdhsa_system_sgpr_workgroup_id_y 0
		.amdhsa_system_sgpr_workgroup_id_z 0
		.amdhsa_system_sgpr_workgroup_info 0
		.amdhsa_system_vgpr_workitem_id 0
		.amdhsa_next_free_vgpr 41
		.amdhsa_next_free_sgpr 34
		.amdhsa_reserve_vcc 1
		.amdhsa_float_round_mode_32 0
		.amdhsa_float_round_mode_16_64 0
		.amdhsa_float_denorm_mode_32 3
		.amdhsa_float_denorm_mode_16_64 3
		.amdhsa_dx10_clamp 1
		.amdhsa_ieee_mode 1
		.amdhsa_fp16_overflow 0
		.amdhsa_workgroup_processor_mode 1
		.amdhsa_memory_ordered 1
		.amdhsa_forward_progress 0
		.amdhsa_shared_vgpr_count 0
		.amdhsa_exception_fp_ieee_invalid_op 0
		.amdhsa_exception_fp_denorm_src 0
		.amdhsa_exception_fp_ieee_div_zero 0
		.amdhsa_exception_fp_ieee_overflow 0
		.amdhsa_exception_fp_ieee_underflow 0
		.amdhsa_exception_fp_ieee_inexact 0
		.amdhsa_exception_int_div_zero 0
	.end_amdhsa_kernel
	.section	.text._Z38paged_attention_ll4mi_QKV_mfma4_kernelIDF16_DF16_LN4vllm18Fp8KVCacheDataTypeE0EDF16_Li16ELi128ELi256ELb0ELi4EEvPKT_PKT0_S7_ifPKiS9_S9_iPKfiiiPfSC_PS2_PT2_iSB_SB_,"axG",@progbits,_Z38paged_attention_ll4mi_QKV_mfma4_kernelIDF16_DF16_LN4vllm18Fp8KVCacheDataTypeE0EDF16_Li16ELi128ELi256ELb0ELi4EEvPKT_PKT0_S7_ifPKiS9_S9_iPKfiiiPfSC_PS2_PT2_iSB_SB_,comdat
.Lfunc_end289:
	.size	_Z38paged_attention_ll4mi_QKV_mfma4_kernelIDF16_DF16_LN4vllm18Fp8KVCacheDataTypeE0EDF16_Li16ELi128ELi256ELb0ELi4EEvPKT_PKT0_S7_ifPKiS9_S9_iPKfiiiPfSC_PS2_PT2_iSB_SB_, .Lfunc_end289-_Z38paged_attention_ll4mi_QKV_mfma4_kernelIDF16_DF16_LN4vllm18Fp8KVCacheDataTypeE0EDF16_Li16ELi128ELi256ELb0ELi4EEvPKT_PKT0_S7_ifPKiS9_S9_iPKfiiiPfSC_PS2_PT2_iSB_SB_
                                        ; -- End function
	.section	.AMDGPU.csdata,"",@progbits
; Kernel info:
; codeLenInByte = 72
; NumSgprs: 36
; NumVgprs: 41
; ScratchSize: 64
; MemoryBound: 0
; FloatMode: 240
; IeeeMode: 1
; LDSByteSize: 0 bytes/workgroup (compile time only)
; SGPRBlocks: 4
; VGPRBlocks: 5
; NumSGPRsForWavesPerEU: 36
; NumVGPRsForWavesPerEU: 41
; Occupancy: 16
; WaveLimiterHint : 1
; COMPUTE_PGM_RSRC2:SCRATCH_EN: 1
; COMPUTE_PGM_RSRC2:USER_SGPR: 15
; COMPUTE_PGM_RSRC2:TRAP_HANDLER: 0
; COMPUTE_PGM_RSRC2:TGID_X_EN: 1
; COMPUTE_PGM_RSRC2:TGID_Y_EN: 0
; COMPUTE_PGM_RSRC2:TGID_Z_EN: 0
; COMPUTE_PGM_RSRC2:TIDIG_COMP_CNT: 0
	.section	.text._Z39paged_attention_ll4mi_QKV_mfma16_kernelIDF16_DF16_LN4vllm18Fp8KVCacheDataTypeE0EDF16_Li16ELi128ELi256ELb0ELi5EL8MFMAType0EEvPKT_PKT0_S8_ifPKiSA_SA_iPKfiiiPfSD_PS3_PT2_iSC_SC_,"axG",@progbits,_Z39paged_attention_ll4mi_QKV_mfma16_kernelIDF16_DF16_LN4vllm18Fp8KVCacheDataTypeE0EDF16_Li16ELi128ELi256ELb0ELi5EL8MFMAType0EEvPKT_PKT0_S8_ifPKiSA_SA_iPKfiiiPfSD_PS3_PT2_iSC_SC_,comdat
	.protected	_Z39paged_attention_ll4mi_QKV_mfma16_kernelIDF16_DF16_LN4vllm18Fp8KVCacheDataTypeE0EDF16_Li16ELi128ELi256ELb0ELi5EL8MFMAType0EEvPKT_PKT0_S8_ifPKiSA_SA_iPKfiiiPfSD_PS3_PT2_iSC_SC_ ; -- Begin function _Z39paged_attention_ll4mi_QKV_mfma16_kernelIDF16_DF16_LN4vllm18Fp8KVCacheDataTypeE0EDF16_Li16ELi128ELi256ELb0ELi5EL8MFMAType0EEvPKT_PKT0_S8_ifPKiSA_SA_iPKfiiiPfSD_PS3_PT2_iSC_SC_
	.globl	_Z39paged_attention_ll4mi_QKV_mfma16_kernelIDF16_DF16_LN4vllm18Fp8KVCacheDataTypeE0EDF16_Li16ELi128ELi256ELb0ELi5EL8MFMAType0EEvPKT_PKT0_S8_ifPKiSA_SA_iPKfiiiPfSD_PS3_PT2_iSC_SC_
	.p2align	8
	.type	_Z39paged_attention_ll4mi_QKV_mfma16_kernelIDF16_DF16_LN4vllm18Fp8KVCacheDataTypeE0EDF16_Li16ELi128ELi256ELb0ELi5EL8MFMAType0EEvPKT_PKT0_S8_ifPKiSA_SA_iPKfiiiPfSD_PS3_PT2_iSC_SC_,@function
_Z39paged_attention_ll4mi_QKV_mfma16_kernelIDF16_DF16_LN4vllm18Fp8KVCacheDataTypeE0EDF16_Li16ELi128ELi256ELb0ELi5EL8MFMAType0EEvPKT_PKT0_S8_ifPKiSA_SA_iPKfiiiPfSD_PS3_PT2_iSC_SC_: ; @_Z39paged_attention_ll4mi_QKV_mfma16_kernelIDF16_DF16_LN4vllm18Fp8KVCacheDataTypeE0EDF16_Li16ELi128ELi256ELb0ELi5EL8MFMAType0EEvPKT_PKT0_S8_ifPKiSA_SA_iPKfiiiPfSD_PS3_PT2_iSC_SC_
; %bb.0:
	s_load_b64 s[4:5], s[0:1], 0x30
	s_mov_b32 s34, s13
	s_waitcnt lgkmcnt(0)
	s_cmp_lg_u64 s[4:5], 0
	s_cselect_b32 s8, -1, 0
	s_ashr_i32 s35, s13, 31
	s_cmp_eq_u64 s[4:5], 0
	s_cbranch_scc1 .LBB290_3
; %bb.1:
	s_lshl_b64 s[2:3], s[34:35], 2
	s_delay_alu instid0(SALU_CYCLE_1) | instskip(SKIP_4) | instid1(SALU_CYCLE_1)
	s_add_u32 s2, s4, s2
	s_addc_u32 s3, s5, s3
	s_load_b64 s[2:3], s[2:3], 0x0
	s_waitcnt lgkmcnt(0)
	s_sub_i32 s2, s3, s2
	s_cmp_eq_u32 s2, 1
	s_cselect_b32 s2, -1, 0
	s_delay_alu instid0(SALU_CYCLE_1)
	s_and_not1_b32 vcc_lo, exec_lo, s2
	s_cbranch_vccz .LBB290_4
.LBB290_2:
	s_nop 0
	s_sendmsg sendmsg(MSG_DEALLOC_VGPRS)
	s_endpgm
.LBB290_3:
.LBB290_4:
	s_load_b64 s[2:3], s[0:1], 0x28
	s_lshl_b64 s[6:7], s[34:35], 2
	s_waitcnt lgkmcnt(0)
	s_add_u32 s2, s2, s6
	s_addc_u32 s3, s3, s7
	s_lshl_b32 s29, s14, 8
	s_load_b32 s28, s[2:3], 0x0
	s_waitcnt lgkmcnt(0)
	s_cmp_ge_i32 s29, s28
	s_cbranch_scc1 .LBB290_2
; %bb.5:
	s_clause 0x1
	s_load_b128 s[20:23], s[0:1], 0x8
	s_load_b64 s[2:3], s[0:1], 0x20
	s_and_not1_b32 vcc_lo, exec_lo, s8
	s_cbranch_vccnz .LBB290_7
; %bb.6:
	s_add_u32 s4, s4, s6
	s_addc_u32 s5, s5, s7
	s_load_b32 s5, s[4:5], 0x0
	s_branch .LBB290_8
.LBB290_7:
	s_mov_b32 s5, s34
.LBB290_8:
	s_load_b128 s[16:19], s[0:1], 0x48
	v_and_b32_e32 v140, 15, v0
	v_lshrrev_b32_e32 v141, 5, v0
	v_bfe_u32 v138, v0, 4, 1
	v_and_b32_e32 v142, 31, v0
	v_and_b32_e32 v139, 1, v0
	v_lshlrev_b32_e32 v2, 3, v140
	s_mul_i32 s31, s15, 5
	v_lshl_or_b32 v1, v141, 1, v138
	s_mov_b32 s4, exec_lo
	s_delay_alu instid0(VALU_DEP_2) | instskip(NEXT) | instid1(VALU_DEP_2)
	v_lshlrev_b32_e32 v137, 1, v2
	v_cmpx_gt_u32_e32 5, v1
	s_cbranch_execz .LBB290_10
; %bb.9:
	s_load_b64 s[6:7], s[0:1], 0x0
	v_add_lshl_u32 v2, v1, s31, 7
	s_waitcnt lgkmcnt(0)
	s_mul_hi_i32 s9, s5, s16
	s_mul_i32 s8, s5, s16
	v_lshlrev_b32_e32 v6, 10, v140
	s_lshl_b64 s[8:9], s[8:9], 1
	v_ashrrev_i32_e32 v3, 31, v2
	v_lshlrev_b32_e32 v1, 6, v1
	v_lshlrev_b32_e32 v7, 10, v139
	v_and_b32_e32 v6, 0x3800, v6
	s_delay_alu instid0(VALU_DEP_4) | instskip(NEXT) | instid1(VALU_DEP_2)
	v_lshlrev_b64 v[2:3], 1, v[2:3]
	v_or3_b32 v1, v6, v7, v1
	s_add_u32 s5, s6, s8
	s_addc_u32 s6, s7, s9
	s_delay_alu instid0(VALU_DEP_2) | instskip(NEXT) | instid1(VALU_DEP_3)
	v_add_co_u32 v2, vcc_lo, s5, v2
	v_add_co_ci_u32_e32 v3, vcc_lo, s6, v3, vcc_lo
	s_delay_alu instid0(VALU_DEP_2) | instskip(NEXT) | instid1(VALU_DEP_2)
	v_add_co_u32 v2, vcc_lo, v2, v137
	v_add_co_ci_u32_e32 v3, vcc_lo, 0, v3, vcc_lo
	global_load_b128 v[2:5], v[2:3], off
	s_waitcnt vmcnt(0)
	ds_store_b128 v1, v[2:5]
.LBB290_10:
	s_or_b32 exec_lo, exec_lo, s4
	v_and_b32_e32 v1, 0xef, v0
	s_waitcnt lgkmcnt(0)
	s_add_i32 s5, s28, 15
	s_clause 0x1
	s_load_b32 s4, s[0:1], 0x38
	s_load_b32 s33, s[0:1], 0x98
	s_ashr_i32 s6, s5, 31
	v_add_nc_u32_e32 v1, s29, v1
	s_lshr_b32 s6, s6, 28
	s_load_b32 s30, s[0:1], 0x1c
	s_add_i32 s5, s5, s6
	s_waitcnt lgkmcnt(0)
	v_ashrrev_i32_e32 v2, 31, v1
	v_cmp_gt_i32_e32 vcc_lo, s28, v1
	s_ashr_i32 s16, s5, 4
	s_barrier
	s_add_i32 s16, s16, -1
	v_lshrrev_b32_e32 v3, 28, v2
	v_or_b32_e32 v2, 16, v1
	buffer_gl0_inv
	v_mul_lo_u16 v105, v140, 52
	v_lshlrev_b32_e32 v106, 5, v140
	v_add_nc_u32_e32 v4, v1, v3
	v_add_nc_u32_e32 v3, v2, v3
	s_mul_i32 s4, s34, s4
	v_lshrrev_b16 v105, 8, v105
	s_ashr_i32 s5, s4, 31
	v_ashrrev_i32_e32 v4, 4, v4
	v_ashrrev_i32_e32 v3, 4, v3
	s_lshl_b64 s[4:5], s[4:5], 2
	v_mul_lo_u16 v105, v105, 5
	s_add_u32 s35, s2, s4
	v_cndmask_b32_e32 v1, s16, v4, vcc_lo
	v_cmp_gt_i32_e32 vcc_lo, s28, v2
	s_addc_u32 s36, s3, s5
	s_mul_i32 s2, s15, s18
	v_sub_nc_u16 v105, v140, v105
	v_ashrrev_i32_e32 v2, 31, v1
	v_cndmask_b32_e32 v3, s16, v3, vcc_lo
	s_ashr_i32 s3, s2, 31
	v_lshl_or_b32 v125, v141, 9, v106
	s_lshl_b64 s[2:3], s[2:3], 1
	v_lshlrev_b64 v[1:2], 2, v[1:2]
	v_ashrrev_i32_e32 v4, 31, v3
	s_add_u32 s24, s20, s2
	s_addc_u32 s25, s21, s3
	s_lshl_b32 s4, s14, 4
	v_and_b32_e32 v105, 0xff, v105
	v_lshlrev_b64 v[3:4], 2, v[3:4]
	v_add_co_u32 v1, vcc_lo, s35, v1
	v_add_co_ci_u32_e32 v2, vcc_lo, s36, v2, vcc_lo
	s_ashr_i32 s5, s4, 31
	s_delay_alu instid0(VALU_DEP_3) | instskip(NEXT) | instid1(VALU_DEP_4)
	v_add_co_u32 v3, vcc_lo, s35, v3
	v_add_co_ci_u32_e32 v4, vcc_lo, s36, v4, vcc_lo
	s_lshl_b64 s[4:5], s[4:5], 2
	s_clause 0x1
	global_load_b32 v5, v[1:2], off
	global_load_b32 v6, v[3:4], off
	s_add_u32 s4, s35, s4
	s_addc_u32 s5, s36, s5
	s_or_b32 s6, s29, 16
	v_lshlrev_b32_e32 v3, 4, v0
	s_ashr_i32 s7, s6, 4
	s_cmp_lt_i32 s6, s28
	v_lshlrev_b32_e32 v215, 6, v105
	s_cselect_b32 s6, s7, s16
	s_delay_alu instid0(SALU_CYCLE_1) | instskip(NEXT) | instid1(SALU_CYCLE_1)
	s_ashr_i32 s7, s6, 31
	s_lshl_b64 s[6:7], s[6:7], 2
	s_delay_alu instid0(SALU_CYCLE_1) | instskip(SKIP_2) | instid1(SALU_CYCLE_1)
	s_add_u32 s6, s35, s6
	s_addc_u32 s7, s36, s7
	s_or_b32 s8, s29, 32
	s_ashr_i32 s9, s8, 4
	s_cmp_lt_i32 s8, s28
	s_cselect_b32 s8, s9, s16
	s_delay_alu instid0(SALU_CYCLE_1) | instskip(NEXT) | instid1(SALU_CYCLE_1)
	s_ashr_i32 s9, s8, 31
	s_lshl_b64 s[8:9], s[8:9], 2
	s_delay_alu instid0(SALU_CYCLE_1) | instskip(SKIP_2) | instid1(SALU_CYCLE_1)
	s_add_u32 s8, s35, s8
	s_addc_u32 s9, s36, s9
	s_or_b32 s10, s29, 48
	s_ashr_i32 s11, s10, 4
	s_cmp_lt_i32 s10, s28
	;; [unrolled: 10-line block ×4, first 2 shown]
	s_cselect_b32 s12, s13, s16
	s_delay_alu instid0(SALU_CYCLE_1) | instskip(NEXT) | instid1(SALU_CYCLE_1)
	s_ashr_i32 s13, s12, 31
	s_lshl_b64 s[12:13], s[12:13], 2
	s_delay_alu instid0(SALU_CYCLE_1)
	s_add_u32 s20, s35, s12
	s_addc_u32 s21, s36, s13
	s_clause 0x5
	s_load_b32 s39, s[4:5], 0x0
	s_load_b32 s38, s[6:7], 0x0
	s_load_b32 s37, s[8:9], 0x0
	s_load_b32 s13, s[10:11], 0x0
	s_load_b32 s12, s[18:19], 0x0
	s_load_b32 s15, s[20:21], 0x0
	s_waitcnt vmcnt(1)
	v_mad_i64_i32 v[1:2], null, v5, s17, 0
	v_and_b32_e32 v5, 0xf0, v3
	s_waitcnt vmcnt(0)
	v_mad_i64_i32 v[3:4], null, v6, s17, 0
	s_delay_alu instid0(VALU_DEP_2) | instskip(NEXT) | instid1(VALU_DEP_4)
	v_add_co_u32 v5, s4, s24, v5
	v_lshlrev_b64 v[1:2], 1, v[1:2]
	v_add_co_ci_u32_e64 v6, null, s25, 0, s4
	s_delay_alu instid0(VALU_DEP_4) | instskip(SKIP_1) | instid1(VALU_DEP_3)
	v_lshlrev_b64 v[3:4], 1, v[3:4]
	s_or_b32 s4, s29, 0x60
	v_add_co_u32 v121, vcc_lo, v5, v1
	s_delay_alu instid0(VALU_DEP_3) | instskip(NEXT) | instid1(VALU_DEP_3)
	v_add_co_ci_u32_e32 v122, vcc_lo, v6, v2, vcc_lo
	v_add_co_u32 v123, vcc_lo, v5, v3
	s_delay_alu instid0(VALU_DEP_4)
	v_add_co_ci_u32_e32 v124, vcc_lo, v6, v4, vcc_lo
	s_clause 0x19
	global_load_b128 v[89:92], v[121:122], off
	global_load_b128 v[93:96], v[121:122], off offset:256
	global_load_b128 v[97:100], v[123:124], off
	global_load_b128 v[101:104], v[123:124], off offset:256
	global_load_b128 v[81:84], v[121:122], off offset:512
	;; [unrolled: 1-line block ×23, first 2 shown]
	s_ashr_i32 s5, s4, 4
	s_cmp_lt_i32 s4, s28
	ds_load_b128 v[105:108], v215
	ds_load_b128 v[109:112], v215 offset:1024
	s_cselect_b32 s4, s5, s16
	ds_load_b128 v[113:116], v215 offset:2048
	ds_load_b128 v[117:120], v215 offset:3072
	s_ashr_i32 s5, s4, 31
	ds_load_b128 v[143:146], v215 offset:4096
	ds_load_b128 v[147:150], v215 offset:5120
	s_lshl_b64 s[6:7], s[4:5], 2
	ds_load_b128 v[151:154], v215 offset:6144
	ds_load_b128 v[155:158], v215 offset:7168
	s_add_u32 s18, s35, s6
	s_addc_u32 s19, s36, s7
	s_or_b32 s5, s29, 0x70
	ds_load_b128 v[159:162], v215 offset:8192
	ds_load_b128 v[163:166], v215 offset:9216
	s_ashr_i32 s6, s5, 4
	s_cmp_lt_i32 s5, s28
	s_clause 0x1
	global_load_b128 v[167:170], v[123:124], off offset:3072
	global_load_b128 v[171:174], v[123:124], off offset:3328
	s_cselect_b32 s8, s6, s16
	s_mov_b32 s4, 0
	s_ashr_i32 s9, s8, 31
	s_mov_b32 s5, s4
	s_lshl_b64 s[8:9], s[8:9], 2
	s_mov_b32 s6, s4
	s_add_u32 s20, s35, s8
	s_addc_u32 s21, s36, s9
	s_clause 0x1
	s_load_b32 s41, s[18:19], 0x0
	s_load_b32 s46, s[20:21], 0x0
	s_clause 0x3
	global_load_b128 v[175:178], v[121:122], off offset:3584
	global_load_b128 v[179:182], v[121:122], off offset:3840
	;; [unrolled: 1-line block ×4, first 2 shown]
	s_or_b32 s8, s29, 0x80
	s_mov_b32 s7, s4
	s_ashr_i32 s9, s8, 4
	s_cmp_lt_i32 s8, s28
	s_mov_b32 s8, s4
	s_cselect_b32 s10, s9, s16
	s_mov_b32 s9, s4
	s_ashr_i32 s11, s10, 31
	s_delay_alu instid0(SALU_CYCLE_1)
	s_lshl_b64 s[24:25], s[10:11], 2
	s_mov_b32 s10, s4
	s_add_u32 s24, s35, s24
	s_addc_u32 s25, s36, s25
	s_or_b32 s11, s29, 0x90
	s_load_b32 s47, s[24:25], 0x0
	s_ashr_i32 s26, s11, 4
	s_cmp_lt_i32 s11, s28
	s_mov_b32 s11, s4
	s_cselect_b32 s26, s26, s16
	v_mov_b32_e32 v136, s11
	s_ashr_i32 s27, s26, 31
	v_dual_mov_b32 v135, s10 :: v_dual_mov_b32 v134, s9
	v_dual_mov_b32 v133, s8 :: v_dual_mov_b32 v132, s7
	;; [unrolled: 1-line block ×3, first 2 shown]
	v_mov_b32_e32 v129, s4
	s_lshl_b64 s[4:5], s[26:27], 2
	s_waitcnt lgkmcnt(0)
	s_mul_hi_i32 s7, s38, s17
	s_add_u32 s26, s35, s4
	s_addc_u32 s27, s36, s5
	s_or_b32 s4, s29, 0xa0
	s_load_b32 s40, s[26:27], 0x0
	s_ashr_i32 s5, s4, 4
	s_cmp_lt_i32 s4, s28
	s_cselect_b32 s4, s5, s16
	s_delay_alu instid0(SALU_CYCLE_1) | instskip(NEXT) | instid1(SALU_CYCLE_1)
	s_ashr_i32 s5, s4, 31
	s_lshl_b64 s[4:5], s[4:5], 2
	s_delay_alu instid0(SALU_CYCLE_1)
	s_add_u32 s42, s35, s4
	s_addc_u32 s43, s36, s5
	s_or_b32 s4, s29, 0xb0
	s_mul_hi_i32 s5, s39, s17
	s_ashr_i32 s6, s4, 4
	s_cmp_lt_i32 s4, s28
	s_mul_i32 s4, s39, s17
	s_cselect_b32 s8, s6, s16
	s_mul_i32 s6, s38, s17
	s_ashr_i32 s9, s8, 31
	s_delay_alu instid0(SALU_CYCLE_1)
	s_lshl_b64 s[10:11], s[8:9], 2
	s_mul_hi_i32 s9, s37, s17
	s_add_u32 s44, s35, s10
	s_addc_u32 s45, s36, s11
	s_or_b32 s10, s29, 0xc0
	s_mul_i32 s8, s37, s17
	s_ashr_i32 s37, s10, 4
	s_cmp_lt_i32 s10, s28
	s_mul_hi_i32 s11, s13, s17
	s_cselect_b32 s38, s37, s16
	s_mul_i32 s10, s13, s17
	s_ashr_i32 s39, s38, 31
	s_mul_hi_i32 s13, s12, s17
	s_lshl_b64 s[38:39], s[38:39], 2
	s_mul_i32 s12, s12, s17
	s_add_u32 s20, s35, s38
	s_addc_u32 s21, s36, s39
	s_load_b32 s39, s[42:43], 0x0
	s_or_b32 s18, s29, 0xd0
	s_mul_hi_i32 s27, s47, s17
	s_ashr_i32 s19, s18, 4
	s_cmp_lt_i32 s18, s28
	s_mul_i32 s18, s15, s17
	s_cselect_b32 s24, s19, s16
	s_mul_hi_i32 s19, s15, s17
	s_ashr_i32 s25, s24, 31
	s_mul_i32 s26, s47, s17
	s_lshl_b64 s[24:25], s[24:25], 2
	s_delay_alu instid0(SALU_CYCLE_1)
	s_add_u32 s24, s35, s24
	s_addc_u32 s25, s36, s25
	s_or_b32 s42, s29, 0xe0
	s_clause 0x2
	s_load_b32 s38, s[44:45], 0x0
	s_load_b32 s37, s[20:21], 0x0
	;; [unrolled: 1-line block ×3, first 2 shown]
	s_ashr_i32 s43, s42, 4
	s_cmp_lt_i32 s42, s28
	s_mul_hi_i32 s25, s46, s17
	s_cselect_b32 s42, s43, s16
	s_mul_i32 s24, s46, s17
	s_ashr_i32 s43, s42, 31
	s_mul_hi_i32 s21, s41, s17
	s_lshl_b64 s[42:43], s[42:43], 2
	s_mul_i32 s20, s41, s17
	s_add_u32 s42, s35, s42
	s_addc_u32 s43, s36, s43
	s_or_b32 s46, s29, 0xf0
	s_waitcnt lgkmcnt(0)
	s_mul_hi_i32 s41, s40, s17
	s_ashr_i32 s47, s46, 4
	s_cmp_lt_i32 s46, s28
	s_mul_i32 s40, s40, s17
	s_cselect_b32 s46, s47, s16
	s_mul_hi_i32 s45, s39, s17
	s_ashr_i32 s47, s46, 31
	s_mul_hi_i32 s51, s15, s17
	s_lshl_b64 s[46:47], s[46:47], 2
	s_mul_i32 s50, s15, s17
	s_add_u32 s46, s35, s46
	s_addc_u32 s47, s36, s47
	s_add_u32 s15, s22, s2
	s_addc_u32 s16, s23, s3
	v_add_co_u32 v216, s15, s15, v125
	s_delay_alu instid0(VALU_DEP_1) | instskip(SKIP_2) | instid1(VALU_DEP_2)
	v_add_co_ci_u32_e64 v217, null, s16, 0, s15
	s_lshl_b64 s[2:3], s[4:5], 1
	s_lshl_b64 s[4:5], s[6:7], 1
	v_add_co_u32 v125, vcc_lo, v216, s2
	s_delay_alu instid0(VALU_DEP_2)
	v_add_co_ci_u32_e32 v126, vcc_lo, s3, v217, vcc_lo
	v_add_co_u32 v199, vcc_lo, v216, s4
	s_lshl_b64 s[6:7], s[8:9], 1
	v_add_co_ci_u32_e32 v200, vcc_lo, s5, v217, vcc_lo
	s_lshl_b64 s[8:9], s[10:11], 1
	s_lshl_b64 s[10:11], s[12:13], 1
	;; [unrolled: 1-line block ×7, first 2 shown]
	s_mul_i32 s44, s39, s17
	s_mul_hi_i32 s39, s38, s17
	s_lshl_b64 s[26:27], s[44:45], 1
	s_mul_i32 s38, s38, s17
	s_mul_hi_i32 s49, s37, s17
	s_mul_i32 s48, s37, s17
	s_lshl_b64 s[36:37], s[38:39], 1
	s_lshl_b64 s[38:39], s[48:49], 1
	s_clause 0x1
	s_load_b32 s15, s[42:43], 0x0
	s_load_b32 s16, s[46:47], 0x0
	s_lshl_b64 s[40:41], s[50:51], 1
	s_waitcnt lgkmcnt(0)
	s_mul_hi_i32 s3, s15, s17
	s_mul_i32 s2, s15, s17
	s_mul_hi_i32 s5, s16, s17
	s_lshl_b64 s[2:3], s[2:3], 1
	s_mul_i32 s4, s16, s17
	s_waitcnt vmcnt(30)
	v_wmma_f32_16x16x16_f16 v[191:198], v[89:96], v[105:112], v[129:136]
	v_add_co_u32 v89, vcc_lo, v216, s6
	v_add_co_ci_u32_e32 v90, vcc_lo, s7, v217, vcc_lo
	v_add_co_u32 v91, vcc_lo, v216, s8
	v_add_co_ci_u32_e32 v92, vcc_lo, s9, v217, vcc_lo
	;; [unrolled: 2-line block ×5, first 2 shown]
	v_add_co_u32 v205, vcc_lo, v216, s20
	s_waitcnt vmcnt(28)
	v_wmma_f32_16x16x16_f16 v[129:136], v[97:104], v[105:112], v[129:136]
	v_add_co_ci_u32_e32 v206, vcc_lo, s21, v217, vcc_lo
	v_add_co_u32 v207, vcc_lo, v216, s22
	v_add_co_ci_u32_e32 v208, vcc_lo, s23, v217, vcc_lo
	v_add_co_u32 v209, vcc_lo, v216, s24
	s_waitcnt vmcnt(26)
	v_wmma_f32_16x16x16_f16 v[191:198], v[81:88], v[113:120], v[191:198]
	s_waitcnt vmcnt(24)
	v_wmma_f32_16x16x16_f16 v[129:136], v[73:80], v[113:120], v[129:136]
	v_add_co_ci_u32_e32 v210, vcc_lo, s25, v217, vcc_lo
	v_add_co_u32 v211, vcc_lo, v216, s26
	v_add_co_ci_u32_e32 v212, vcc_lo, s27, v217, vcc_lo
	v_add_co_u32 v213, vcc_lo, v216, s36
	s_waitcnt vmcnt(22)
	v_wmma_f32_16x16x16_f16 v[191:198], v[65:72], v[143:150], v[191:198]
	s_waitcnt vmcnt(20)
	v_wmma_f32_16x16x16_f16 v[129:136], v[57:64], v[143:150], v[129:136]
	v_add_co_ci_u32_e32 v214, vcc_lo, s37, v217, vcc_lo
	v_add_co_u32 v143, vcc_lo, v216, s38
	s_waitcnt vmcnt(18)
	v_wmma_f32_16x16x16_f16 v[191:198], v[49:56], v[151:158], v[191:198]
	s_waitcnt vmcnt(16)
	v_wmma_f32_16x16x16_f16 v[129:136], v[25:32], v[151:158], v[129:136]
	v_add_co_ci_u32_e32 v144, vcc_lo, s39, v217, vcc_lo
	s_clause 0x15
	global_load_b128 v[121:124], v[125:126], off
	global_load_b128 v[125:128], v[125:126], off offset:16
	global_load_b128 v[113:116], v[199:200], off
	global_load_b128 v[117:120], v[199:200], off offset:16
	;; [unrolled: 2-line block ×11, first 2 shown]
	s_waitcnt vmcnt(36)
	v_wmma_f32_16x16x16_f16 v[191:198], v[1:8], v[159:166], v[191:198]
	s_clause 0x1
	global_load_b128 v[1:4], v[213:214], off
	global_load_b128 v[5:8], v[213:214], off offset:16
	s_waitcnt vmcnt(36)
	v_wmma_f32_16x16x16_f16 v[129:136], v[9:16], v[159:166], v[129:136]
	s_clause 0x1
	global_load_b128 v[9:12], v[143:144], off
	global_load_b128 v[13:16], v[143:144], off offset:16
	ds_load_b128 v[143:146], v215 offset:10240
	ds_load_b128 v[147:150], v215 offset:11264
	;; [unrolled: 1-line block ×4, first 2 shown]
	v_add_co_u32 v199, vcc_lo, v216, s40
	v_add_co_ci_u32_e32 v200, vcc_lo, s41, v217, vcc_lo
	v_add_co_u32 v159, vcc_lo, v216, s2
	v_add_co_ci_u32_e32 v160, vcc_lo, s3, v217, vcc_lo
	s_lshl_b64 s[2:3], s[4:5], 1
	s_delay_alu instid0(SALU_CYCLE_1)
	v_add_co_u32 v161, vcc_lo, v216, s2
	v_add_co_ci_u32_e32 v162, vcc_lo, s3, v217, vcc_lo
	s_waitcnt vmcnt(36) lgkmcnt(2)
	v_wmma_f32_16x16x16_f16 v[191:198], v[41:48], v[143:150], v[191:198]
	s_waitcnt vmcnt(34)
	v_wmma_f32_16x16x16_f16 v[129:136], v[33:40], v[143:150], v[129:136]
	s_clause 0x3
	global_load_b128 v[33:36], v[199:200], off
	global_load_b128 v[37:40], v[199:200], off offset:16
	global_load_b128 v[41:44], v[159:160], off
	global_load_b128 v[45:48], v[159:160], off offset:16
	v_and_b32_e32 v143, 0xe0, v0
	v_mbcnt_lo_u32_b32 v159, -1, 0
	s_waitcnt vmcnt(36) lgkmcnt(0)
	v_wmma_f32_16x16x16_f16 v[191:198], v[17:24], v[151:158], v[191:198]
	s_clause 0x1
	global_load_b128 v[17:20], v[161:162], off
	global_load_b128 v[21:24], v[161:162], off offset:16
	s_waitcnt vmcnt(36)
	v_wmma_f32_16x16x16_f16 v[129:136], v[167:174], v[151:158], v[129:136]
	v_add_nc_u32_e32 v160, s29, v143
	ds_load_b128 v[143:146], v215 offset:14336
	ds_load_b128 v[147:150], v215 offset:15360
	v_xor_b32_e32 v151, 16, v159
	s_waitcnt vmcnt(0) lgkmcnt(0)
	s_barrier
	v_or_b32_e32 v152, v160, v138
	buffer_gl0_inv
	v_cmp_gt_i32_e32 vcc_lo, 32, v151
	v_or_b32_e32 v153, 2, v152
	v_or_b32_e32 v154, 4, v152
	;; [unrolled: 1-line block ×5, first 2 shown]
	v_cmp_gt_i32_e64 s2, s28, v153
	v_cmp_gt_i32_e64 s3, s28, v154
	v_cmp_gt_i32_e64 s4, s28, v155
	v_or_b32_e32 v158, 12, v152
	v_cmp_gt_i32_e64 s5, s28, v156
	v_cmp_gt_i32_e64 s6, s28, v157
	v_wmma_f32_16x16x16_f16 v[191:198], v[175:182], v[143:150], v[191:198]
	v_wmma_f32_16x16x16_f16 v[129:136], v[183:190], v[143:150], v[129:136]
	v_cndmask_b32_e32 v151, v159, v151, vcc_lo
	v_cmp_gt_i32_e32 vcc_lo, s28, v152
	v_or_b32_e32 v159, 14, v152
	v_dual_mul_f32 v149, s30, v192 :: v_dual_mul_f32 v150, s30, v191
	v_dual_mul_f32 v147, s30, v194 :: v_dual_mul_f32 v148, s30, v193
	;; [unrolled: 1-line block ×3, first 2 shown]
	s_delay_alu instid0(VALU_DEP_3) | instskip(NEXT) | instid1(VALU_DEP_4)
	v_cndmask_b32_e32 v150, 0xff7fffff, v150, vcc_lo
	v_cndmask_b32_e64 v149, 0xff7fffff, v149, s2
	v_mul_f32_e32 v146, s30, v195
	v_cndmask_b32_e64 v148, 0xff7fffff, v148, s3
	v_cndmask_b32_e64 v147, 0xff7fffff, v147, s4
	v_or_b32_e32 v160, 16, v152
	v_max3_f32 v149, v150, 0xff7fffff, v149
	v_or_b32_e32 v161, 18, v152
	v_dual_mul_f32 v143, s30, v198 :: v_dual_mul_f32 v144, s30, v197
	v_cndmask_b32_e64 v146, 0xff7fffff, v146, s5
	v_cndmask_b32_e64 v145, 0xff7fffff, v145, s6
	v_max3_f32 v147, v149, v148, v147
	v_cmp_gt_i32_e64 s7, s28, v158
	v_cmp_gt_i32_e64 s8, s28, v159
	v_or_b32_e32 v162, 20, v152
	v_or_b32_e32 v163, 22, v152
	v_mul_f32_e32 v175, s30, v129
	v_cndmask_b32_e64 v144, 0xff7fffff, v144, s7
	v_cndmask_b32_e64 v143, 0xff7fffff, v143, s8
	v_max3_f32 v145, v147, v146, v145
	v_cmp_gt_i32_e64 s9, s28, v160
	v_cmp_gt_i32_e64 s10, s28, v161
	v_or_b32_e32 v164, 24, v152
	v_or_b32_e32 v165, 26, v152
	v_dual_mul_f32 v172, s30, v132 :: v_dual_mul_f32 v173, s30, v131
	v_cndmask_b32_e64 v146, 0xff7fffff, v175, s9
	v_cndmask_b32_e64 v147, 0xff7fffff, v174, s10
	v_max3_f32 v143, v145, v144, v143
	v_cmp_gt_i32_e64 s11, s28, v162
	v_cmp_gt_i32_e64 s12, s28, v163
	v_or_b32_e32 v166, 28, v152
	v_or_b32_e32 v167, 30, v152
	v_dual_mul_f32 v170, s30, v134 :: v_dual_mul_f32 v171, s30, v133
	v_cndmask_b32_e64 v144, 0xff7fffff, v173, s11
	v_cndmask_b32_e64 v145, 0xff7fffff, v172, s12
	v_max3_f32 v143, v143, v146, v147
	v_cmp_gt_i32_e64 s13, s28, v164
	v_cmp_gt_i32_e64 s15, s28, v165
	v_dual_mul_f32 v168, s30, v136 :: v_dual_mul_f32 v169, s30, v135
	s_delay_alu instid0(VALU_DEP_4) | instskip(NEXT) | instid1(VALU_DEP_4)
	v_max3_f32 v143, v143, v144, v145
	v_cndmask_b32_e64 v146, 0xff7fffff, v171, s13
	s_delay_alu instid0(VALU_DEP_4) | instskip(SKIP_3) | instid1(VALU_DEP_4)
	v_cndmask_b32_e64 v147, 0xff7fffff, v170, s15
	v_cmp_gt_i32_e64 s16, s28, v166
	v_cmp_gt_i32_e64 s17, s28, v167
	v_lshlrev_b32_e32 v160, 2, v151
	v_max3_f32 v143, v143, v146, v147
	s_delay_alu instid0(VALU_DEP_4) | instskip(NEXT) | instid1(VALU_DEP_4)
	v_cndmask_b32_e64 v144, 0xff7fffff, v169, s16
	v_cndmask_b32_e64 v145, 0xff7fffff, v168, s17
	s_delay_alu instid0(VALU_DEP_1) | instskip(SKIP_3) | instid1(VALU_DEP_1)
	v_max3_f32 v143, v143, v144, v145
	ds_bpermute_b32 v144, v160, v143
	s_waitcnt lgkmcnt(0)
	v_max_f32_e32 v144, v144, v144
	v_max_f32_e32 v159, v143, v144
	s_delay_alu instid0(VALU_DEP_1) | instskip(SKIP_4) | instid1(VALU_DEP_4)
	v_fma_f32 v145, s30, v193, -v159
	v_fma_f32 v146, s30, v194, -v159
	;; [unrolled: 1-line block ×5, first 2 shown]
	v_dual_mul_f32 v145, 0x3fb8aa3b, v145 :: v_dual_mul_f32 v146, 0x3fb8aa3b, v146
	s_delay_alu instid0(VALU_DEP_4) | instskip(SKIP_1) | instid1(VALU_DEP_4)
	v_mul_f32_e32 v132, 0x3fb8aa3b, v132
	v_fma_f32 v148, s30, v195, -v159
	v_mul_f32_e32 v144, 0x3fb8aa3b, v144
	s_delay_alu instid0(VALU_DEP_4)
	v_exp_f32_e32 v145, v145
	v_exp_f32_e32 v150, v146
	v_fma_f32 v149, s30, v196, -v159
	v_mul_f32_e32 v148, 0x3fb8aa3b, v148
	v_exp_f32_e32 v147, v144
	v_fma_f32 v134, s30, v134, -v159
	v_fma_f32 v151, s30, v197, -v159
	v_mul_f32_e32 v149, 0x3fb8aa3b, v149
	v_exp_f32_e32 v148, v148
	v_fma_f32 v152, s30, v198, -v159
	v_cndmask_b32_e64 v146, 0, v145, s3
	v_cndmask_b32_e64 v145, 0, v150, s4
	v_dual_mul_f32 v143, 0x3fb8aa3b, v143 :: v_dual_mul_f32 v134, 0x3fb8aa3b, v134
	v_mul_f32_e32 v151, 0x3fb8aa3b, v151
	v_exp_f32_e32 v149, v149
	v_fma_f32 v129, s30, v129, -v159
	s_delay_alu instid0(VALU_DEP_3)
	v_exp_f32_e32 v143, v143
	v_mul_f32_e32 v150, 0x3fb8aa3b, v152
	v_exp_f32_e32 v151, v151
	v_cndmask_b32_e64 v148, 0, v148, s5
	v_fma_f32 v130, s30, v130, -v159
	v_mul_f32_e32 v129, 0x3fb8aa3b, v129
	v_exp_f32_e32 v153, v150
	v_fma_f32 v131, s30, v131, -v159
	v_fma_f32 v133, s30, v133, -v159
	v_mul_f32_e32 v130, 0x3fb8aa3b, v130
	v_cndmask_b32_e32 v144, 0, v143, vcc_lo
	v_cndmask_b32_e64 v143, 0, v147, s2
	v_exp_f32_e32 v129, v129
	v_cndmask_b32_e64 v150, 0, v151, s7
	v_mul_f32_e32 v131, 0x3fb8aa3b, v131
	v_add_f32_e32 v147, 0, v144
	v_exp_f32_e32 v130, v130
	v_mul_f32_e32 v133, 0x3fb8aa3b, v133
	v_exp_f32_e32 v132, v132
	v_exp_f32_e32 v131, v131
	v_add_f32_e32 v147, v147, v143
	v_cmp_gt_u32_e64 s2, 16, v142
	v_exp_f32_e32 v133, v133
	s_delay_alu instid0(VALU_DEP_2)
	v_add_f32_e32 v147, v147, v146
	s_waitcnt_depctr 0xfff
	v_cndmask_b32_e64 v154, 0, v131, s11
	v_add_f32_e32 v152, v147, v145
	v_cndmask_b32_e64 v147, 0, v149, s6
	v_exp_f32_e32 v131, v134
	v_cndmask_b32_e64 v156, 0, v133, s13
	s_delay_alu instid0(VALU_DEP_3) | instskip(SKIP_1) | instid1(VALU_DEP_2)
	v_add_f32_e32 v149, v152, v148
	v_cndmask_b32_e64 v152, 0, v129, s9
	v_add_f32_e32 v151, v149, v147
	v_cndmask_b32_e64 v149, 0, v153, s8
	v_cndmask_b32_e64 v153, 0, v132, s12
	v_fma_f32 v132, s30, v136, -v159
	s_delay_alu instid0(TRANS32_DEP_1) | instskip(NEXT) | instid1(VALU_DEP_2)
	v_cndmask_b32_e64 v155, 0, v131, s15
	v_dual_add_f32 v151, v151, v150 :: v_dual_mul_f32 v132, 0x3fb8aa3b, v132
	s_delay_alu instid0(VALU_DEP_1) | instskip(SKIP_2) | instid1(VALU_DEP_4)
	v_add_f32_e32 v129, v151, v149
	v_cndmask_b32_e64 v151, 0, v130, s10
	v_fma_f32 v130, s30, v135, -v159
	v_exp_f32_e32 v131, v132
	s_delay_alu instid0(VALU_DEP_1) | instskip(NEXT) | instid1(VALU_DEP_1)
	v_dual_add_f32 v129, v129, v152 :: v_dual_mul_f32 v130, 0x3fb8aa3b, v130
	v_add_f32_e32 v129, v129, v151
	s_delay_alu instid0(VALU_DEP_2) | instskip(SKIP_3) | instid1(VALU_DEP_1)
	v_exp_f32_e32 v130, v130
	s_waitcnt_depctr 0xfff
	v_cndmask_b32_e64 v157, 0, v131, s17
	v_add_f32_e32 v129, v129, v154
	v_add_f32_e32 v129, v129, v153
	v_cndmask_b32_e64 v158, 0, v130, s16
	s_delay_alu instid0(VALU_DEP_2) | instskip(NEXT) | instid1(VALU_DEP_1)
	v_add_f32_e32 v129, v129, v156
	v_add_f32_e32 v129, v129, v155
	s_delay_alu instid0(VALU_DEP_1) | instskip(NEXT) | instid1(VALU_DEP_1)
	v_add_f32_e32 v129, v129, v158
	v_add_f32_e32 v129, v129, v157
	ds_bpermute_b32 v130, v160, v129
	s_and_saveexec_b32 s3, s2
	s_cbranch_execz .LBB290_12
; %bb.11:
	v_mul_u32_u24_e32 v131, 0x44, v141
	s_delay_alu instid0(VALU_DEP_1) | instskip(SKIP_1) | instid1(VALU_DEP_1)
	v_lshl_add_u32 v131, v140, 2, v131
	s_waitcnt lgkmcnt(0)
	v_dual_add_f32 v129, v129, v130 :: v_dual_add_nc_u32 v130, 0x4000, v131
	ds_store_2addr_b32 v130, v159, v129 offset1:136
.LBB290_12:
	s_or_b32 exec_lo, exec_lo, s3
	v_lshlrev_b32_e32 v129, 2, v140
	s_load_b32 s35, s[0:1], 0x94
	s_waitcnt lgkmcnt(0)
	s_barrier
	buffer_gl0_inv
	v_add_nc_u32_e32 v135, 0x4000, v129
	v_cmp_eq_u32_e32 vcc_lo, 1, v141
	v_cmp_eq_u32_e64 s3, 2, v141
	v_cmp_eq_u32_e64 s4, 3, v141
	;; [unrolled: 1-line block ×3, first 2 shown]
	ds_load_2addr_b32 v[129:130], v135 offset1:17
	ds_load_2addr_b32 v[131:132], v135 offset0:34 offset1:51
	ds_load_2addr_b32 v[133:134], v135 offset0:68 offset1:85
	;; [unrolled: 1-line block ×3, first 2 shown]
	v_cmp_eq_u32_e64 s6, 5, v141
	v_cmp_eq_u32_e64 s7, 7, v141
	s_waitcnt lgkmcnt(3)
	v_max3_f32 v136, v129, 0xff7fffff, v130
	s_waitcnt lgkmcnt(2)
	s_delay_alu instid0(VALU_DEP_1) | instskip(SKIP_1) | instid1(VALU_DEP_1)
	v_max3_f32 v136, v136, v131, v132
	s_waitcnt lgkmcnt(1)
	v_max3_f32 v136, v136, v133, v134
	s_waitcnt lgkmcnt(0)
	s_delay_alu instid0(VALU_DEP_1) | instskip(NEXT) | instid1(VALU_DEP_1)
	v_max3_f32 v136, v136, v159, v160
	v_sub_f32_e32 v142, v130, v136
	ds_load_2addr_b32 v[161:162], v135 offset0:136 offset1:153
	v_sub_f32_e32 v164, v132, v136
	v_mul_f32_e32 v142, 0x3fb8aa3b, v142
	s_delay_alu instid0(VALU_DEP_2) | instskip(NEXT) | instid1(VALU_DEP_2)
	v_mul_f32_e32 v164, 0x3fb8aa3b, v164
	v_exp_f32_e32 v166, v142
	v_sub_f32_e32 v129, v129, v136
	s_delay_alu instid0(VALU_DEP_2) | instskip(NEXT) | instid1(VALU_DEP_1)
	v_exp_f32_e32 v164, v164
	v_mul_f32_e32 v163, 0x3fb8aa3b, v129
	ds_load_2addr_b32 v[129:130], v135 offset0:170 offset1:187
	v_exp_f32_e32 v163, v163
	s_waitcnt lgkmcnt(1)
	s_waitcnt_depctr 0xfff
	v_fma_f32 v142, v163, v161, 0
	v_sub_f32_e32 v161, v134, v136
	s_delay_alu instid0(VALU_DEP_2) | instskip(NEXT) | instid1(VALU_DEP_1)
	v_dual_fmac_f32 v142, v166, v162 :: v_dual_sub_f32 v131, v131, v136
	v_mul_f32_e32 v165, 0x3fb8aa3b, v131
	ds_load_2addr_b32 v[131:132], v135 offset0:204 offset1:221
	v_exp_f32_e32 v165, v165
	s_waitcnt lgkmcnt(1)
	s_waitcnt_depctr 0xfff
	v_fmac_f32_e32 v142, v165, v129
	v_sub_f32_e32 v133, v133, v136
	v_sub_f32_e32 v129, v160, v136
	s_delay_alu instid0(VALU_DEP_2) | instskip(NEXT) | instid1(VALU_DEP_2)
	v_dual_fmac_f32 v142, v164, v130 :: v_dual_mul_f32 v167, 0x3fb8aa3b, v133
	v_mul_f32_e32 v129, 0x3fb8aa3b, v129
	ds_load_2addr_b32 v[133:134], v135 offset0:238 offset1:255
	v_cndmask_b32_e32 v130, v163, v166, vcc_lo
	s_waitcnt lgkmcnt(0)
	s_barrier
	v_exp_f32_e32 v162, v129
	v_sub_f32_e32 v135, v159, v136
	v_mul_f32_e32 v159, 0x3fb8aa3b, v161
	v_exp_f32_e32 v161, v167
	buffer_gl0_inv
	v_exp_f32_e32 v159, v159
	v_fmac_f32_e32 v142, v161, v131
	s_waitcnt_depctr 0xfff
	v_dual_mul_f32 v135, 0x3fb8aa3b, v135 :: v_dual_fmac_f32 v142, v159, v132
	s_delay_alu instid0(VALU_DEP_1) | instskip(SKIP_2) | instid1(VALU_DEP_1)
	v_exp_f32_e32 v160, v135
	s_waitcnt_depctr 0xfff
	v_dual_fmac_f32 v142, v160, v133 :: v_dual_lshlrev_b32 v133, 6, v140
	v_fmac_f32_e32 v142, v162, v134
	s_delay_alu instid0(VALU_DEP_2) | instskip(NEXT) | instid1(VALU_DEP_2)
	v_lshl_or_b32 v135, v141, 11, v133
	v_add_f32_e32 v134, 0x358637bd, v142
	s_delay_alu instid0(VALU_DEP_1) | instskip(SKIP_1) | instid1(VALU_DEP_2)
	v_div_scale_f32 v167, null, v134, v134, 1.0
	v_div_scale_f32 v163, vcc_lo, 1.0, v134, 1.0
	v_rcp_f32_e32 v168, v167
	s_waitcnt_depctr 0xfff
	v_fma_f32 v129, -v167, v168, 1.0
	s_delay_alu instid0(VALU_DEP_1) | instskip(SKIP_2) | instid1(VALU_DEP_2)
	v_fmac_f32_e32 v168, v129, v168
	v_cndmask_b32_e64 v129, v130, v165, s3
	v_cmp_eq_u32_e64 s3, 6, v141
	v_cndmask_b32_e64 v130, v129, v164, s4
	v_lshlrev_b32_e32 v129, 2, v138
	v_mul_f32_e32 v165, v163, v168
	s_delay_alu instid0(VALU_DEP_3) | instskip(NEXT) | instid1(VALU_DEP_3)
	v_cndmask_b32_e64 v161, v130, v161, s5
	v_or_b32_e32 v130, 1, v129
	s_delay_alu instid0(VALU_DEP_3)
	v_fma_f32 v131, -v167, v165, v163
	v_or_b32_e32 v132, 2, v129
	v_cmp_eq_u32_e64 s4, 1, v129
	v_cndmask_b32_e64 v141, v161, v159, s6
	v_cmp_eq_u32_e64 s9, 1, v130
	v_fmac_f32_e32 v165, v131, v168
	v_or_b32_e32 v131, 3, v129
	v_cmp_eq_u32_e64 s10, 1, v132
	v_cndmask_b32_e64 v141, v141, v160, s3
	v_cmp_eq_u32_e64 s5, 2, v129
	v_fma_f32 v159, -v167, v165, v163
	v_cmp_eq_u32_e64 s11, 1, v131
	v_cmp_eq_u32_e64 s16, 2, v131
	v_cndmask_b32_e64 v141, v141, v162, s7
	v_cmp_eq_u32_e64 s12, 2, v130
	v_div_fmas_f32 v159, v159, v168, v165
	v_cmp_eq_u32_e64 s18, 3, v131
	v_cmp_eq_u32_e32 vcc_lo, 3, v129
	v_cmp_eq_u32_e64 s13, 3, v130
	v_cmp_eq_u32_e64 s15, 2, v132
	v_div_fixup_f32 v159, v159, v134, 1.0
	v_lshl_or_b32 v134, v138, 4, v135
	v_cmp_eq_u32_e64 s22, 4, v131
	v_cmp_eq_u32_e64 s3, 4, v129
	;; [unrolled: 1-line block ×3, first 2 shown]
	v_mul_f32_e32 v141, v141, v159
	v_cmp_eq_u32_e64 s19, 4, v130
	v_cmp_eq_u32_e64 s24, 5, v131
	;; [unrolled: 1-line block ×4, first 2 shown]
	v_fma_mixlo_f16 v159, v141, v144, 0
	v_fma_mixlo_f16 v160, v141, v146, 0
	;; [unrolled: 1-line block ×8, first 2 shown]
	v_fma_mixhi_f16 v159, v141, v143, 0
	v_fma_mixhi_f16 v160, v141, v145, 0
	;; [unrolled: 1-line block ×8, first 2 shown]
	ds_store_b128 v134, v[159:162]
	ds_store_b128 v134, v[163:166] offset:1024
	s_waitcnt lgkmcnt(0)
	s_barrier
	buffer_gl0_inv
	ds_load_b128 v[143:146], v135
	ds_load_b128 v[147:150], v135 offset:16
	ds_load_b128 v[151:154], v135 offset:1024
	;; [unrolled: 1-line block ×3, first 2 shown]
	v_cmp_eq_u32_e64 s21, 4, v132
	v_cmp_eq_u32_e64 s27, 6, v131
	;; [unrolled: 1-line block ×10, first 2 shown]
	s_waitcnt lgkmcnt(3)
	v_lshrrev_b32_e32 v141, 16, v143
	s_waitcnt lgkmcnt(2)
	v_lshrrev_b32_e32 v162, 16, v147
	v_lshrrev_b32_e32 v159, 16, v144
	;; [unrolled: 1-line block ×3, first 2 shown]
	s_waitcnt lgkmcnt(1)
	v_lshrrev_b32_e32 v166, 16, v151
	v_cndmask_b32_e64 v174, v143, v141, s4
	v_cndmask_b32_e64 v176, v143, v141, s9
	;; [unrolled: 1-line block ×5, first 2 shown]
	s_waitcnt lgkmcnt(0)
	v_lshrrev_b32_e32 v170, 16, v155
	v_cndmask_b32_e64 v175, v147, v162, s4
	v_cndmask_b32_e64 v177, v147, v162, s9
	;; [unrolled: 1-line block ×19, first 2 shown]
	v_lshrrev_b32_e32 v160, 16, v145
	v_lshrrev_b32_e32 v164, 16, v149
	;; [unrolled: 1-line block ×4, first 2 shown]
	v_cndmask_b32_e64 v176, v178, v144, s15
	v_cndmask_b32_e64 v177, v179, v148, s15
	;; [unrolled: 1-line block ×8, first 2 shown]
	v_cndmask_b32_e32 v155, v166, v159, vcc_lo
	v_cndmask_b32_e32 v166, v170, v163, vcc_lo
	v_cndmask_b32_e64 v170, v174, v159, s13
	v_cndmask_b32_e64 v174, v175, v163, s13
	;; [unrolled: 1-line block ×6, first 2 shown]
	v_cndmask_b32_e32 v144, v144, v167, vcc_lo
	v_cndmask_b32_e32 v147, v147, v171, vcc_lo
	v_cndmask_b32_e64 v148, v148, v167, s13
	v_cndmask_b32_e64 v155, v155, v145, s3
	;; [unrolled: 1-line block ×7, first 2 shown]
	v_lshrrev_b32_e32 v161, 16, v146
	v_lshrrev_b32_e32 v165, 16, v150
	;; [unrolled: 1-line block ×4, first 2 shown]
	v_cndmask_b32_e64 v170, v175, v145, s21
	v_cndmask_b32_e64 v174, v176, v149, s21
	;; [unrolled: 1-line block ×22, first 2 shown]
	v_lshrrev_b32_e32 v169, 16, v154
	v_cndmask_b32_e64 v160, v163, v146, s26
	v_cndmask_b32_e64 v163, v166, v150, s26
	;; [unrolled: 1-line block ×9, first 2 shown]
	v_perm_b32 v146, v143, v141, 0x5040100
	v_cndmask_b32_e64 v141, v183, v156, s15
	v_cndmask_b32_e64 v143, v181, v156, s12
	;; [unrolled: 1-line block ×4, first 2 shown]
	v_perm_b32 v144, v159, v149, 0x5040100
	v_cndmask_b32_e64 v149, v162, v167, s17
	v_cndmask_b32_e64 v151, v151, v167, s18
	;; [unrolled: 1-line block ×15, first 2 shown]
	v_lshrrev_b32_e32 v173, 16, v158
	v_cndmask_b32_e64 v149, v149, v154, s26
	v_cndmask_b32_e64 v151, v151, v154, s27
	;; [unrolled: 1-line block ×13, first 2 shown]
	v_perm_b32 v145, v160, v155, 0x5040100
	v_perm_b32 v143, v148, v147, 0x5040100
	;; [unrolled: 1-line block ×6, first 2 shown]
	s_mul_i32 s7, s33, 5
	s_mov_b32 s3, exec_lo
	ds_store_b128 v134, v[143:146]
	ds_store_b128 v134, v[147:150] offset:1024
	v_cmpx_gt_u32_e32 5, v0
	s_cbranch_execz .LBB290_14
; %bb.13:
	s_mul_i32 s4, s7, s34
	s_load_b128 s[8:11], s[0:1], 0x58
	v_add3_u32 v143, s4, s31, v140
	s_delay_alu instid0(VALU_DEP_1) | instskip(NEXT) | instid1(VALU_DEP_1)
	v_mad_u64_u32 v[140:141], null, v143, s35, s[14:15]
	v_ashrrev_i32_e32 v141, 31, v140
	s_delay_alu instid0(VALU_DEP_1) | instskip(SKIP_1) | instid1(VALU_DEP_1)
	v_lshlrev_b64 v[140:141], 2, v[140:141]
	s_waitcnt lgkmcnt(0)
	v_add_co_u32 v143, vcc_lo, s10, v140
	s_delay_alu instid0(VALU_DEP_2)
	v_add_co_ci_u32_e32 v144, vcc_lo, s11, v141, vcc_lo
	v_add_co_u32 v140, vcc_lo, s8, v140
	v_add_co_ci_u32_e32 v141, vcc_lo, s9, v141, vcc_lo
	global_store_b32 v[143:144], v136, off
	global_store_b32 v[140:141], v142, off
.LBB290_14:
	s_or_b32 exec_lo, exec_lo, s3
	s_waitcnt lgkmcnt(0)
	s_waitcnt_vscnt null, 0x0
	s_barrier
	buffer_gl0_inv
	ds_load_b128 v[148:151], v133
	ds_load_b128 v[152:155], v133 offset:16
	ds_load_b128 v[160:163], v133 offset:1040
	;; [unrolled: 1-line block ×5, first 2 shown]
	v_cmp_eq_u32_e32 vcc_lo, 1, v132
	v_mov_b32_e32 v140, 0
	ds_load_b128 v[176:179], v133 offset:3088
	ds_load_b128 v[172:175], v133 offset:3072
	;; [unrolled: 1-line block ×4, first 2 shown]
	v_cmp_eq_u32_e64 s3, 1, v129
	v_cmp_eq_u32_e64 s4, 1, v131
	;; [unrolled: 1-line block ×3, first 2 shown]
	v_mov_b32_e32 v141, v140
	v_mov_b32_e32 v142, v140
	v_mov_b32_e32 v143, v140
	v_mov_b32_e32 v144, v140
	v_mov_b32_e32 v145, v140
	v_mov_b32_e32 v146, v140
	v_mov_b32_e32 v147, v140
	v_cmp_eq_u32_e64 s6, 2, v129
	s_waitcnt lgkmcnt(8)
	s_delay_alu instid0(VALU_DEP_2)
	v_wmma_f32_16x16x16_f16 v[140:147], v[121:128], v[148:155], v[140:147]
	ds_load_b128 v[125:128], v133 offset:5136
	ds_load_b128 v[121:124], v133 offset:5120
	s_waitcnt lgkmcnt(8)
	v_wmma_f32_16x16x16_f16 v[140:147], v[113:120], v[156:163], v[140:147]
	ds_load_b128 v[117:120], v133 offset:6160
	ds_load_b128 v[113:116], v133 offset:6144
	s_waitcnt lgkmcnt(8)
	;; [unrolled: 4-line block ×11, first 2 shown]
	s_barrier
	buffer_gl0_inv
	v_wmma_f32_16x16x16_f16 v[140:147], v[1:8], v[73:80], v[140:147]
	s_delay_alu instid0(VALU_DEP_1) | instskip(NEXT) | instid1(VALU_DEP_1)
	v_wmma_f32_16x16x16_f16 v[140:147], v[9:16], v[65:72], v[140:147]
	v_wmma_f32_16x16x16_f16 v[140:147], v[33:40], v[57:64], v[140:147]
	s_delay_alu instid0(VALU_DEP_1) | instskip(NEXT) | instid1(VALU_DEP_1)
	v_wmma_f32_16x16x16_f16 v[140:147], v[41:48], v[49:56], v[140:147]
	v_wmma_f32_16x16x16_f16 v[140:147], v[17:24], v[25:32], v[140:147]
	s_delay_alu instid0(VALU_DEP_1) | instskip(NEXT) | instid1(VALU_DEP_2)
	v_cvt_f16_f32_e64 v1, v140
	v_cvt_f16_f32_e64 v2, v141
	s_delay_alu instid0(VALU_DEP_3) | instskip(NEXT) | instid1(VALU_DEP_4)
	v_cvt_f16_f32_e64 v3, v142
	v_cvt_f16_f32_e64 v4, v143
	;; [unrolled: 1-line block ×6, first 2 shown]
	v_pack_b32_f16 v1, v1, v2
	v_pack_b32_f16 v2, v3, v4
	;; [unrolled: 1-line block ×3, first 2 shown]
	s_delay_alu instid0(VALU_DEP_4)
	v_pack_b32_f16 v4, v7, v8
	ds_store_b128 v134, v[1:4]
	s_waitcnt lgkmcnt(0)
	s_barrier
	buffer_gl0_inv
	ds_load_b128 v[1:4], v135
	ds_load_b128 v[5:8], v135 offset:16
	s_waitcnt lgkmcnt(1)
	v_lshrrev_b32_e32 v9, 16, v1
	s_waitcnt lgkmcnt(0)
	v_lshrrev_b32_e32 v13, 16, v5
	v_lshrrev_b32_e32 v10, 16, v2
	;; [unrolled: 1-line block ×4, first 2 shown]
	v_cndmask_b32_e64 v17, v1, v9, s3
	v_cndmask_b32_e64 v18, v5, v13, s3
	;; [unrolled: 1-line block ×3, first 2 shown]
	v_cmp_eq_u32_e64 s3, 2, v130
	v_cndmask_b32_e64 v20, v5, v13, s5
	v_cndmask_b32_e32 v21, v1, v9, vcc_lo
	v_cndmask_b32_e32 v22, v5, v13, vcc_lo
	v_cndmask_b32_e64 v1, v1, v9, s4
	v_cndmask_b32_e64 v5, v5, v13, s4
	v_cmp_eq_u32_e32 vcc_lo, 2, v132
	v_cmp_eq_u32_e64 s4, 2, v131
	v_cndmask_b32_e64 v9, v17, v2, s6
	v_cndmask_b32_e64 v13, v18, v6, s6
	;; [unrolled: 1-line block ×4, first 2 shown]
	v_cndmask_b32_e32 v19, v21, v2, vcc_lo
	v_cmp_eq_u32_e64 s3, 3, v132
	v_cndmask_b32_e32 v20, v22, v6, vcc_lo
	v_cndmask_b32_e64 v1, v1, v2, s4
	v_cmp_eq_u32_e32 vcc_lo, 3, v131
	v_cmp_eq_u32_e64 s5, 3, v129
	v_cndmask_b32_e64 v2, v5, v6, s4
	v_cmp_eq_u32_e64 s4, 3, v130
	v_cmp_eq_u32_e64 s6, 4, v129
	v_cndmask_b32_e32 v1, v1, v10, vcc_lo
	v_cndmask_b32_e64 v5, v9, v10, s5
	v_cndmask_b32_e64 v6, v13, v14, s5
	;; [unrolled: 1-line block ×3, first 2 shown]
	v_cmp_eq_u32_e64 s5, 4, v130
	v_cndmask_b32_e64 v13, v18, v14, s4
	v_cndmask_b32_e64 v17, v19, v10, s3
	;; [unrolled: 1-line block ×3, first 2 shown]
	v_cndmask_b32_e32 v2, v2, v14, vcc_lo
	v_cmp_eq_u32_e32 vcc_lo, 4, v132
	v_cmp_eq_u32_e64 s4, 4, v131
	v_lshrrev_b32_e32 v15, 16, v7
	v_cndmask_b32_e64 v5, v5, v3, s6
	v_cndmask_b32_e64 v6, v6, v7, s6
	v_cndmask_b32_e32 v14, v18, v7, vcc_lo
	v_cndmask_b32_e64 v9, v9, v3, s5
	v_cndmask_b32_e64 v10, v13, v7, s5
	v_cndmask_b32_e32 v13, v17, v3, vcc_lo
	v_cmp_eq_u32_e64 s3, 5, v132
	v_cndmask_b32_e64 v1, v1, v3, s4
	v_cmp_eq_u32_e32 vcc_lo, 5, v131
	v_cmp_eq_u32_e64 s5, 5, v129
	v_cndmask_b32_e64 v2, v2, v7, s4
	v_cmp_eq_u32_e64 s4, 5, v130
	v_cmp_eq_u32_e64 s6, 6, v129
	v_lshrrev_b32_e32 v12, 16, v4
	v_cndmask_b32_e64 v3, v5, v11, s5
	v_cndmask_b32_e64 v5, v6, v15, s5
	;; [unrolled: 1-line block ×3, first 2 shown]
	v_cmp_eq_u32_e64 s5, 6, v130
	v_cndmask_b32_e64 v7, v10, v15, s4
	v_cndmask_b32_e64 v9, v13, v11, s3
	;; [unrolled: 1-line block ×3, first 2 shown]
	v_cndmask_b32_e32 v1, v1, v11, vcc_lo
	v_cndmask_b32_e32 v2, v2, v15, vcc_lo
	v_cmp_eq_u32_e32 vcc_lo, 6, v132
	v_cmp_eq_u32_e64 s3, 6, v131
	v_lshrrev_b32_e32 v16, 16, v8
	v_cndmask_b32_e64 v3, v3, v4, s6
	v_cndmask_b32_e64 v5, v5, v8, s6
	v_cndmask_b32_e32 v9, v9, v4, vcc_lo
	v_cndmask_b32_e64 v6, v6, v4, s5
	v_cndmask_b32_e64 v7, v7, v8, s5
	v_cmp_eq_u32_e64 s4, 7, v132
	v_cndmask_b32_e32 v10, v10, v8, vcc_lo
	v_cndmask_b32_e64 v1, v1, v4, s3
	v_cmp_eq_u32_e32 vcc_lo, 7, v131
	v_cndmask_b32_e64 v2, v2, v8, s3
	v_cmp_eq_u32_e64 s3, 7, v129
	v_cmp_eq_u32_e64 s5, 7, v130
	v_cndmask_b32_e32 v1, v1, v12, vcc_lo
	s_delay_alu instid0(VALU_DEP_4) | instskip(NEXT) | instid1(VALU_DEP_4)
	v_cndmask_b32_e32 v2, v2, v16, vcc_lo
	v_cndmask_b32_e64 v8, v3, v12, s3
	s_delay_alu instid0(VALU_DEP_4)
	v_cndmask_b32_e64 v6, v6, v12, s5
	v_cndmask_b32_e64 v3, v9, v12, s4
	;; [unrolled: 1-line block ×5, first 2 shown]
	v_perm_b32 v4, v2, v1, 0x5040100
	s_mov_b32 s3, exec_lo
	v_perm_b32 v3, v9, v3, 0x5040100
	v_perm_b32 v2, v7, v6, 0x5040100
	;; [unrolled: 1-line block ×3, first 2 shown]
	ds_store_b128 v134, v[1:4]
	s_waitcnt lgkmcnt(0)
	s_barrier
	buffer_gl0_inv
	v_cmpx_gt_u32_e32 32, v0
	s_cbranch_execz .LBB290_2
; %bb.15:
	s_load_b64 s[4:5], s[0:1], 0x68
	v_lshlrev_b32_e32 v0, 10, v0
	v_add_nc_u32_e32 v2, s31, v138
	v_lshlrev_b32_e32 v3, 4, v139
	s_lshl_b32 s0, s35, 7
	s_delay_alu instid0(SALU_CYCLE_1) | instskip(NEXT) | instid1(VALU_DEP_2)
	s_mul_i32 s1, s0, s34
	v_mul_lo_u32 v1, v2, s0
	s_delay_alu instid0(VALU_DEP_2) | instskip(SKIP_2) | instid1(SALU_CYCLE_1)
	v_and_or_b32 v0, 0x3800, v0, v3
	v_add_nc_u32_e32 v2, 2, v2
	s_mul_i32 s6, s1, s7
	s_ashr_i32 s7, s6, 31
	s_delay_alu instid0(VALU_DEP_2)
	v_lshl_or_b32 v7, v138, 6, v0
	s_lshl_b64 s[6:7], s[6:7], 1
	v_mul_lo_u32 v11, v2, s0
	v_ashrrev_i32_e32 v2, 31, v1
	ds_load_b128 v[3:6], v7
	ds_load_b128 v[7:10], v7 offset:128
	s_waitcnt lgkmcnt(0)
	s_add_u32 s1, s4, s6
	s_addc_u32 s3, s5, s7
	s_lshl_b32 s4, s14, 7
	v_ashrrev_i32_e32 v12, 31, v11
	s_ashr_i32 s5, s4, 31
	v_lshlrev_b64 v[13:14], 1, v[1:2]
	s_lshl_b64 s[4:5], s[4:5], 1
	s_delay_alu instid0(SALU_CYCLE_1) | instskip(SKIP_2) | instid1(VALU_DEP_1)
	s_add_u32 s1, s1, s4
	s_addc_u32 s3, s3, s5
	v_add_co_u32 v1, s1, s1, v137
	v_add_co_ci_u32_e64 v2, null, s3, 0, s1
	v_lshlrev_b64 v[11:12], 1, v[11:12]
	s_delay_alu instid0(VALU_DEP_3) | instskip(NEXT) | instid1(VALU_DEP_3)
	v_add_co_u32 v13, vcc_lo, v1, v13
	v_add_co_ci_u32_e32 v14, vcc_lo, v2, v14, vcc_lo
	s_delay_alu instid0(VALU_DEP_3) | instskip(NEXT) | instid1(VALU_DEP_4)
	v_add_co_u32 v11, vcc_lo, v1, v11
	v_add_co_ci_u32_e32 v12, vcc_lo, v2, v12, vcc_lo
	s_clause 0x1
	global_store_b128 v[13:14], v[3:6], off
	global_store_b128 v[11:12], v[7:10], off
	s_and_b32 exec_lo, exec_lo, s2
	s_cbranch_execz .LBB290_2
; %bb.16:
	ds_load_b128 v[3:6], v0 offset:256
	s_add_i32 s1, s31, 4
	s_delay_alu instid0(SALU_CYCLE_1) | instskip(NEXT) | instid1(SALU_CYCLE_1)
	s_mul_i32 s0, s1, s0
	s_ashr_i32 s1, s0, 31
	s_delay_alu instid0(SALU_CYCLE_1) | instskip(NEXT) | instid1(SALU_CYCLE_1)
	s_lshl_b64 s[0:1], s[0:1], 1
	v_add_co_u32 v0, vcc_lo, v1, s0
	v_add_co_ci_u32_e32 v1, vcc_lo, s1, v2, vcc_lo
	s_waitcnt lgkmcnt(0)
	global_store_b128 v[0:1], v[3:6], off
	s_nop 0
	s_sendmsg sendmsg(MSG_DEALLOC_VGPRS)
	s_endpgm
	.section	.rodata,"a",@progbits
	.p2align	6, 0x0
	.amdhsa_kernel _Z39paged_attention_ll4mi_QKV_mfma16_kernelIDF16_DF16_LN4vllm18Fp8KVCacheDataTypeE0EDF16_Li16ELi128ELi256ELb0ELi5EL8MFMAType0EEvPKT_PKT0_S8_ifPKiSA_SA_iPKfiiiPfSD_PS3_PT2_iSC_SC_
		.amdhsa_group_segment_fixed_size 17472
		.amdhsa_private_segment_fixed_size 0
		.amdhsa_kernarg_size 400
		.amdhsa_user_sgpr_count 13
		.amdhsa_user_sgpr_dispatch_ptr 0
		.amdhsa_user_sgpr_queue_ptr 0
		.amdhsa_user_sgpr_kernarg_segment_ptr 1
		.amdhsa_user_sgpr_dispatch_id 0
		.amdhsa_user_sgpr_private_segment_size 0
		.amdhsa_wavefront_size32 1
		.amdhsa_uses_dynamic_stack 0
		.amdhsa_enable_private_segment 0
		.amdhsa_system_sgpr_workgroup_id_x 1
		.amdhsa_system_sgpr_workgroup_id_y 1
		.amdhsa_system_sgpr_workgroup_id_z 1
		.amdhsa_system_sgpr_workgroup_info 0
		.amdhsa_system_vgpr_workitem_id 0
		.amdhsa_next_free_vgpr 218
		.amdhsa_next_free_sgpr 52
		.amdhsa_reserve_vcc 1
		.amdhsa_float_round_mode_32 0
		.amdhsa_float_round_mode_16_64 0
		.amdhsa_float_denorm_mode_32 3
		.amdhsa_float_denorm_mode_16_64 3
		.amdhsa_dx10_clamp 1
		.amdhsa_ieee_mode 1
		.amdhsa_fp16_overflow 0
		.amdhsa_workgroup_processor_mode 1
		.amdhsa_memory_ordered 1
		.amdhsa_forward_progress 0
		.amdhsa_shared_vgpr_count 0
		.amdhsa_exception_fp_ieee_invalid_op 0
		.amdhsa_exception_fp_denorm_src 0
		.amdhsa_exception_fp_ieee_div_zero 0
		.amdhsa_exception_fp_ieee_overflow 0
		.amdhsa_exception_fp_ieee_underflow 0
		.amdhsa_exception_fp_ieee_inexact 0
		.amdhsa_exception_int_div_zero 0
	.end_amdhsa_kernel
	.section	.text._Z39paged_attention_ll4mi_QKV_mfma16_kernelIDF16_DF16_LN4vllm18Fp8KVCacheDataTypeE0EDF16_Li16ELi128ELi256ELb0ELi5EL8MFMAType0EEvPKT_PKT0_S8_ifPKiSA_SA_iPKfiiiPfSD_PS3_PT2_iSC_SC_,"axG",@progbits,_Z39paged_attention_ll4mi_QKV_mfma16_kernelIDF16_DF16_LN4vllm18Fp8KVCacheDataTypeE0EDF16_Li16ELi128ELi256ELb0ELi5EL8MFMAType0EEvPKT_PKT0_S8_ifPKiSA_SA_iPKfiiiPfSD_PS3_PT2_iSC_SC_,comdat
.Lfunc_end290:
	.size	_Z39paged_attention_ll4mi_QKV_mfma16_kernelIDF16_DF16_LN4vllm18Fp8KVCacheDataTypeE0EDF16_Li16ELi128ELi256ELb0ELi5EL8MFMAType0EEvPKT_PKT0_S8_ifPKiSA_SA_iPKfiiiPfSD_PS3_PT2_iSC_SC_, .Lfunc_end290-_Z39paged_attention_ll4mi_QKV_mfma16_kernelIDF16_DF16_LN4vllm18Fp8KVCacheDataTypeE0EDF16_Li16ELi128ELi256ELb0ELi5EL8MFMAType0EEvPKT_PKT0_S8_ifPKiSA_SA_iPKfiiiPfSD_PS3_PT2_iSC_SC_
                                        ; -- End function
	.section	.AMDGPU.csdata,"",@progbits
; Kernel info:
; codeLenInByte = 8060
; NumSgprs: 54
; NumVgprs: 218
; ScratchSize: 0
; MemoryBound: 0
; FloatMode: 240
; IeeeMode: 1
; LDSByteSize: 17472 bytes/workgroup (compile time only)
; SGPRBlocks: 6
; VGPRBlocks: 27
; NumSGPRsForWavesPerEU: 54
; NumVGPRsForWavesPerEU: 218
; Occupancy: 6
; WaveLimiterHint : 1
; COMPUTE_PGM_RSRC2:SCRATCH_EN: 0
; COMPUTE_PGM_RSRC2:USER_SGPR: 13
; COMPUTE_PGM_RSRC2:TRAP_HANDLER: 0
; COMPUTE_PGM_RSRC2:TGID_X_EN: 1
; COMPUTE_PGM_RSRC2:TGID_Y_EN: 1
; COMPUTE_PGM_RSRC2:TGID_Z_EN: 1
; COMPUTE_PGM_RSRC2:TIDIG_COMP_CNT: 0
	.section	.text._Z39paged_attention_ll4mi_QKV_mfma16_kernelIDF16_DF16_LN4vllm18Fp8KVCacheDataTypeE0EDF16_Li16ELi128ELi256ELb0ELi6EL8MFMAType0EEvPKT_PKT0_S8_ifPKiSA_SA_iPKfiiiPfSD_PS3_PT2_iSC_SC_,"axG",@progbits,_Z39paged_attention_ll4mi_QKV_mfma16_kernelIDF16_DF16_LN4vllm18Fp8KVCacheDataTypeE0EDF16_Li16ELi128ELi256ELb0ELi6EL8MFMAType0EEvPKT_PKT0_S8_ifPKiSA_SA_iPKfiiiPfSD_PS3_PT2_iSC_SC_,comdat
	.protected	_Z39paged_attention_ll4mi_QKV_mfma16_kernelIDF16_DF16_LN4vllm18Fp8KVCacheDataTypeE0EDF16_Li16ELi128ELi256ELb0ELi6EL8MFMAType0EEvPKT_PKT0_S8_ifPKiSA_SA_iPKfiiiPfSD_PS3_PT2_iSC_SC_ ; -- Begin function _Z39paged_attention_ll4mi_QKV_mfma16_kernelIDF16_DF16_LN4vllm18Fp8KVCacheDataTypeE0EDF16_Li16ELi128ELi256ELb0ELi6EL8MFMAType0EEvPKT_PKT0_S8_ifPKiSA_SA_iPKfiiiPfSD_PS3_PT2_iSC_SC_
	.globl	_Z39paged_attention_ll4mi_QKV_mfma16_kernelIDF16_DF16_LN4vllm18Fp8KVCacheDataTypeE0EDF16_Li16ELi128ELi256ELb0ELi6EL8MFMAType0EEvPKT_PKT0_S8_ifPKiSA_SA_iPKfiiiPfSD_PS3_PT2_iSC_SC_
	.p2align	8
	.type	_Z39paged_attention_ll4mi_QKV_mfma16_kernelIDF16_DF16_LN4vllm18Fp8KVCacheDataTypeE0EDF16_Li16ELi128ELi256ELb0ELi6EL8MFMAType0EEvPKT_PKT0_S8_ifPKiSA_SA_iPKfiiiPfSD_PS3_PT2_iSC_SC_,@function
_Z39paged_attention_ll4mi_QKV_mfma16_kernelIDF16_DF16_LN4vllm18Fp8KVCacheDataTypeE0EDF16_Li16ELi128ELi256ELb0ELi6EL8MFMAType0EEvPKT_PKT0_S8_ifPKiSA_SA_iPKfiiiPfSD_PS3_PT2_iSC_SC_: ; @_Z39paged_attention_ll4mi_QKV_mfma16_kernelIDF16_DF16_LN4vllm18Fp8KVCacheDataTypeE0EDF16_Li16ELi128ELi256ELb0ELi6EL8MFMAType0EEvPKT_PKT0_S8_ifPKiSA_SA_iPKfiiiPfSD_PS3_PT2_iSC_SC_
; %bb.0:
	s_load_b64 s[4:5], s[0:1], 0x30
	s_mov_b32 s30, s13
	s_waitcnt lgkmcnt(0)
	s_cmp_lg_u64 s[4:5], 0
	s_cselect_b32 s8, -1, 0
	s_ashr_i32 s31, s13, 31
	s_cmp_eq_u64 s[4:5], 0
	s_cbranch_scc1 .LBB291_3
; %bb.1:
	s_lshl_b64 s[2:3], s[30:31], 2
	s_delay_alu instid0(SALU_CYCLE_1) | instskip(SKIP_4) | instid1(SALU_CYCLE_1)
	s_add_u32 s2, s4, s2
	s_addc_u32 s3, s5, s3
	s_load_b64 s[2:3], s[2:3], 0x0
	s_waitcnt lgkmcnt(0)
	s_sub_i32 s2, s3, s2
	s_cmp_eq_u32 s2, 1
	s_cselect_b32 s2, -1, 0
	s_delay_alu instid0(SALU_CYCLE_1)
	s_and_not1_b32 vcc_lo, exec_lo, s2
	s_cbranch_vccz .LBB291_4
.LBB291_2:
	s_endpgm
.LBB291_3:
.LBB291_4:
	s_load_b64 s[2:3], s[0:1], 0x28
	s_lshl_b64 s[6:7], s[30:31], 2
	s_waitcnt lgkmcnt(0)
	s_add_u32 s2, s2, s6
	s_addc_u32 s3, s3, s7
	s_lshl_b32 s29, s14, 8
	s_load_b32 s28, s[2:3], 0x0
	s_waitcnt lgkmcnt(0)
	s_cmp_ge_i32 s29, s28
	s_cbranch_scc1 .LBB291_2
; %bb.5:
	s_clause 0x1
	s_load_b128 s[20:23], s[0:1], 0x8
	s_load_b64 s[2:3], s[0:1], 0x20
	s_and_not1_b32 vcc_lo, exec_lo, s8
	s_cbranch_vccnz .LBB291_7
; %bb.6:
	s_add_u32 s4, s4, s6
	s_addc_u32 s5, s5, s7
	s_load_b32 s5, s[4:5], 0x0
	s_branch .LBB291_8
.LBB291_7:
	s_mov_b32 s5, s30
.LBB291_8:
	s_load_b128 s[16:19], s[0:1], 0x48
	v_and_b32_e32 v140, 15, v0
	v_lshrrev_b32_e32 v141, 5, v0
	v_and_b32_e32 v142, 31, v0
	v_and_b32_e32 v139, 1, v0
	v_bfe_u32 v138, v0, 4, 1
	v_lshlrev_b32_e32 v1, 3, v140
	s_mul_i32 s31, s15, 6
	s_mov_b32 s4, exec_lo
	s_delay_alu instid0(VALU_DEP_1)
	v_lshlrev_b32_e32 v137, 1, v1
	v_cmpx_gt_u32_e32 0x60, v0
	s_cbranch_execz .LBB291_10
; %bb.9:
	s_load_b64 s[6:7], s[0:1], 0x0
	v_lshl_or_b32 v5, v141, 1, v138
	s_waitcnt lgkmcnt(0)
	s_mul_hi_i32 s9, s5, s16
	s_mul_i32 s8, s5, s16
	v_lshlrev_b32_e32 v6, 10, v140
	s_lshl_b64 s[8:9], s[8:9], 1
	v_add_lshl_u32 v1, v5, s31, 7
	v_lshlrev_b32_e32 v5, 6, v5
	v_lshlrev_b32_e32 v7, 10, v139
	v_and_b32_e32 v6, 0x3800, v6
	s_delay_alu instid0(VALU_DEP_4) | instskip(NEXT) | instid1(VALU_DEP_2)
	v_ashrrev_i32_e32 v2, 31, v1
	v_or3_b32 v5, v6, v7, v5
	s_delay_alu instid0(VALU_DEP_2) | instskip(SKIP_2) | instid1(VALU_DEP_1)
	v_lshlrev_b64 v[1:2], 1, v[1:2]
	s_add_u32 s5, s6, s8
	s_addc_u32 s6, s7, s9
	v_add_co_u32 v1, vcc_lo, s5, v1
	s_delay_alu instid0(VALU_DEP_2) | instskip(NEXT) | instid1(VALU_DEP_2)
	v_add_co_ci_u32_e32 v2, vcc_lo, s6, v2, vcc_lo
	v_add_co_u32 v1, vcc_lo, v1, v137
	s_delay_alu instid0(VALU_DEP_2)
	v_add_co_ci_u32_e32 v2, vcc_lo, 0, v2, vcc_lo
	global_load_b128 v[1:4], v[1:2], off
	s_waitcnt vmcnt(0)
	ds_store_b128 v5, v[1:4]
.LBB291_10:
	s_or_b32 exec_lo, exec_lo, s4
	v_and_b32_e32 v1, 0xef, v0
	s_waitcnt lgkmcnt(0)
	s_add_i32 s5, s28, 15
	s_clause 0x1
	s_load_b32 s4, s[0:1], 0x38
	s_load_b32 s33, s[0:1], 0x98
	s_ashr_i32 s6, s5, 31
	v_add_nc_u32_e32 v1, s29, v1
	s_lshr_b32 s6, s6, 28
	s_load_b32 s34, s[0:1], 0x1c
	s_add_i32 s5, s5, s6
	s_waitcnt lgkmcnt(0)
	v_ashrrev_i32_e32 v2, 31, v1
	v_cmp_gt_i32_e32 vcc_lo, s28, v1
	s_ashr_i32 s16, s5, 4
	s_barrier
	s_add_i32 s16, s16, -1
	v_lshrrev_b32_e32 v3, 28, v2
	v_or_b32_e32 v2, 16, v1
	buffer_gl0_inv
	v_mul_lo_u16 v105, v140, 43
	v_lshlrev_b32_e32 v106, 5, v140
	v_add_nc_u32_e32 v4, v1, v3
	v_add_nc_u32_e32 v3, v2, v3
	s_mul_i32 s4, s30, s4
	v_lshrrev_b16 v105, 8, v105
	s_ashr_i32 s5, s4, 31
	v_ashrrev_i32_e32 v4, 4, v4
	v_ashrrev_i32_e32 v3, 4, v3
	s_lshl_b64 s[4:5], s[4:5], 2
	v_mul_lo_u16 v105, v105, 6
	s_add_u32 s35, s2, s4
	v_cndmask_b32_e32 v1, s16, v4, vcc_lo
	v_cmp_gt_i32_e32 vcc_lo, s28, v2
	s_addc_u32 s36, s3, s5
	s_mul_i32 s2, s15, s18
	v_sub_nc_u16 v105, v140, v105
	v_ashrrev_i32_e32 v2, 31, v1
	v_cndmask_b32_e32 v3, s16, v3, vcc_lo
	s_ashr_i32 s3, s2, 31
	v_lshl_or_b32 v125, v141, 9, v106
	s_lshl_b64 s[2:3], s[2:3], 1
	v_lshlrev_b64 v[1:2], 2, v[1:2]
	v_ashrrev_i32_e32 v4, 31, v3
	s_add_u32 s24, s20, s2
	s_addc_u32 s25, s21, s3
	s_lshl_b32 s4, s14, 4
	v_and_b32_e32 v105, 0xff, v105
	v_lshlrev_b64 v[3:4], 2, v[3:4]
	v_add_co_u32 v1, vcc_lo, s35, v1
	v_add_co_ci_u32_e32 v2, vcc_lo, s36, v2, vcc_lo
	s_ashr_i32 s5, s4, 31
	s_delay_alu instid0(VALU_DEP_3) | instskip(NEXT) | instid1(VALU_DEP_4)
	v_add_co_u32 v3, vcc_lo, s35, v3
	v_add_co_ci_u32_e32 v4, vcc_lo, s36, v4, vcc_lo
	s_lshl_b64 s[4:5], s[4:5], 2
	s_clause 0x1
	global_load_b32 v5, v[1:2], off
	global_load_b32 v6, v[3:4], off
	s_add_u32 s4, s35, s4
	s_addc_u32 s5, s36, s5
	s_or_b32 s6, s29, 16
	v_lshlrev_b32_e32 v3, 4, v0
	s_ashr_i32 s7, s6, 4
	s_cmp_lt_i32 s6, s28
	v_lshlrev_b32_e32 v215, 6, v105
	s_cselect_b32 s6, s7, s16
	s_delay_alu instid0(SALU_CYCLE_1) | instskip(NEXT) | instid1(SALU_CYCLE_1)
	s_ashr_i32 s7, s6, 31
	s_lshl_b64 s[6:7], s[6:7], 2
	s_delay_alu instid0(SALU_CYCLE_1) | instskip(SKIP_2) | instid1(SALU_CYCLE_1)
	s_add_u32 s6, s35, s6
	s_addc_u32 s7, s36, s7
	s_or_b32 s8, s29, 32
	s_ashr_i32 s9, s8, 4
	s_cmp_lt_i32 s8, s28
	s_cselect_b32 s8, s9, s16
	s_delay_alu instid0(SALU_CYCLE_1) | instskip(NEXT) | instid1(SALU_CYCLE_1)
	s_ashr_i32 s9, s8, 31
	s_lshl_b64 s[8:9], s[8:9], 2
	s_delay_alu instid0(SALU_CYCLE_1) | instskip(SKIP_2) | instid1(SALU_CYCLE_1)
	s_add_u32 s8, s35, s8
	s_addc_u32 s9, s36, s9
	s_or_b32 s10, s29, 48
	s_ashr_i32 s11, s10, 4
	s_cmp_lt_i32 s10, s28
	;; [unrolled: 10-line block ×4, first 2 shown]
	s_cselect_b32 s12, s13, s16
	s_delay_alu instid0(SALU_CYCLE_1) | instskip(NEXT) | instid1(SALU_CYCLE_1)
	s_ashr_i32 s13, s12, 31
	s_lshl_b64 s[12:13], s[12:13], 2
	s_delay_alu instid0(SALU_CYCLE_1)
	s_add_u32 s20, s35, s12
	s_addc_u32 s21, s36, s13
	s_clause 0x5
	s_load_b32 s39, s[4:5], 0x0
	s_load_b32 s38, s[6:7], 0x0
	;; [unrolled: 1-line block ×6, first 2 shown]
	s_waitcnt vmcnt(1)
	v_mad_i64_i32 v[1:2], null, v5, s17, 0
	v_and_b32_e32 v5, 0xf0, v3
	s_waitcnt vmcnt(0)
	v_mad_i64_i32 v[3:4], null, v6, s17, 0
	s_delay_alu instid0(VALU_DEP_2) | instskip(NEXT) | instid1(VALU_DEP_4)
	v_add_co_u32 v5, s4, s24, v5
	v_lshlrev_b64 v[1:2], 1, v[1:2]
	v_add_co_ci_u32_e64 v6, null, s25, 0, s4
	s_delay_alu instid0(VALU_DEP_4) | instskip(SKIP_1) | instid1(VALU_DEP_3)
	v_lshlrev_b64 v[3:4], 1, v[3:4]
	s_or_b32 s4, s29, 0x60
	v_add_co_u32 v121, vcc_lo, v5, v1
	s_delay_alu instid0(VALU_DEP_3) | instskip(NEXT) | instid1(VALU_DEP_3)
	v_add_co_ci_u32_e32 v122, vcc_lo, v6, v2, vcc_lo
	v_add_co_u32 v123, vcc_lo, v5, v3
	s_delay_alu instid0(VALU_DEP_4)
	v_add_co_ci_u32_e32 v124, vcc_lo, v6, v4, vcc_lo
	s_clause 0x19
	global_load_b128 v[89:92], v[121:122], off
	global_load_b128 v[93:96], v[121:122], off offset:256
	global_load_b128 v[97:100], v[123:124], off
	global_load_b128 v[101:104], v[123:124], off offset:256
	global_load_b128 v[81:84], v[121:122], off offset:512
	;; [unrolled: 1-line block ×23, first 2 shown]
	s_ashr_i32 s5, s4, 4
	s_cmp_lt_i32 s4, s28
	ds_load_b128 v[105:108], v215
	ds_load_b128 v[109:112], v215 offset:1024
	s_cselect_b32 s4, s5, s16
	ds_load_b128 v[113:116], v215 offset:2048
	ds_load_b128 v[117:120], v215 offset:3072
	s_ashr_i32 s5, s4, 31
	ds_load_b128 v[143:146], v215 offset:4096
	ds_load_b128 v[147:150], v215 offset:5120
	s_lshl_b64 s[6:7], s[4:5], 2
	ds_load_b128 v[151:154], v215 offset:6144
	ds_load_b128 v[155:158], v215 offset:7168
	s_add_u32 s18, s35, s6
	s_addc_u32 s19, s36, s7
	s_or_b32 s5, s29, 0x70
	ds_load_b128 v[159:162], v215 offset:8192
	ds_load_b128 v[163:166], v215 offset:9216
	s_ashr_i32 s6, s5, 4
	s_cmp_lt_i32 s5, s28
	s_clause 0x1
	global_load_b128 v[167:170], v[123:124], off offset:3072
	global_load_b128 v[171:174], v[123:124], off offset:3328
	s_cselect_b32 s8, s6, s16
	s_mov_b32 s4, 0
	s_ashr_i32 s9, s8, 31
	s_mov_b32 s5, s4
	s_lshl_b64 s[8:9], s[8:9], 2
	s_mov_b32 s6, s4
	s_add_u32 s20, s35, s8
	s_addc_u32 s21, s36, s9
	s_clause 0x1
	s_load_b32 s41, s[18:19], 0x0
	s_load_b32 s46, s[20:21], 0x0
	s_clause 0x3
	global_load_b128 v[175:178], v[121:122], off offset:3584
	global_load_b128 v[179:182], v[121:122], off offset:3840
	;; [unrolled: 1-line block ×4, first 2 shown]
	s_or_b32 s8, s29, 0x80
	s_mov_b32 s7, s4
	s_ashr_i32 s9, s8, 4
	s_cmp_lt_i32 s8, s28
	s_mov_b32 s8, s4
	s_cselect_b32 s10, s9, s16
	s_mov_b32 s9, s4
	s_ashr_i32 s11, s10, 31
	s_delay_alu instid0(SALU_CYCLE_1)
	s_lshl_b64 s[24:25], s[10:11], 2
	s_mov_b32 s10, s4
	s_add_u32 s24, s35, s24
	s_addc_u32 s25, s36, s25
	s_or_b32 s11, s29, 0x90
	s_load_b32 s47, s[24:25], 0x0
	s_ashr_i32 s26, s11, 4
	s_cmp_lt_i32 s11, s28
	s_mov_b32 s11, s4
	s_cselect_b32 s26, s26, s16
	v_mov_b32_e32 v136, s11
	s_ashr_i32 s27, s26, 31
	v_dual_mov_b32 v135, s10 :: v_dual_mov_b32 v134, s9
	v_dual_mov_b32 v133, s8 :: v_dual_mov_b32 v132, s7
	;; [unrolled: 1-line block ×3, first 2 shown]
	v_mov_b32_e32 v129, s4
	s_lshl_b64 s[4:5], s[26:27], 2
	s_waitcnt lgkmcnt(0)
	s_mul_hi_i32 s7, s38, s17
	s_add_u32 s26, s35, s4
	s_addc_u32 s27, s36, s5
	s_or_b32 s4, s29, 0xa0
	s_load_b32 s40, s[26:27], 0x0
	s_ashr_i32 s5, s4, 4
	s_cmp_lt_i32 s4, s28
	s_cselect_b32 s4, s5, s16
	s_delay_alu instid0(SALU_CYCLE_1) | instskip(NEXT) | instid1(SALU_CYCLE_1)
	s_ashr_i32 s5, s4, 31
	s_lshl_b64 s[4:5], s[4:5], 2
	s_delay_alu instid0(SALU_CYCLE_1)
	s_add_u32 s42, s35, s4
	s_addc_u32 s43, s36, s5
	s_or_b32 s4, s29, 0xb0
	s_mul_hi_i32 s5, s39, s17
	s_ashr_i32 s6, s4, 4
	s_cmp_lt_i32 s4, s28
	s_mul_i32 s4, s39, s17
	s_cselect_b32 s8, s6, s16
	s_mul_i32 s6, s38, s17
	s_ashr_i32 s9, s8, 31
	s_delay_alu instid0(SALU_CYCLE_1)
	s_lshl_b64 s[10:11], s[8:9], 2
	s_mul_hi_i32 s9, s37, s17
	s_add_u32 s44, s35, s10
	s_addc_u32 s45, s36, s11
	s_or_b32 s10, s29, 0xc0
	s_mul_i32 s8, s37, s17
	s_ashr_i32 s37, s10, 4
	s_cmp_lt_i32 s10, s28
	s_mul_hi_i32 s11, s13, s17
	s_cselect_b32 s38, s37, s16
	s_mul_i32 s10, s13, s17
	s_ashr_i32 s39, s38, 31
	s_mul_hi_i32 s13, s12, s17
	s_lshl_b64 s[38:39], s[38:39], 2
	s_mul_i32 s12, s12, s17
	s_add_u32 s20, s35, s38
	s_addc_u32 s21, s36, s39
	s_load_b32 s39, s[42:43], 0x0
	s_or_b32 s18, s29, 0xd0
	s_mul_hi_i32 s27, s47, s17
	s_ashr_i32 s19, s18, 4
	s_cmp_lt_i32 s18, s28
	s_mul_i32 s18, s15, s17
	s_cselect_b32 s24, s19, s16
	s_mul_hi_i32 s19, s15, s17
	s_ashr_i32 s25, s24, 31
	s_mul_i32 s26, s47, s17
	s_lshl_b64 s[24:25], s[24:25], 2
	s_delay_alu instid0(SALU_CYCLE_1)
	s_add_u32 s24, s35, s24
	s_addc_u32 s25, s36, s25
	s_or_b32 s42, s29, 0xe0
	s_clause 0x2
	s_load_b32 s38, s[44:45], 0x0
	s_load_b32 s37, s[20:21], 0x0
	;; [unrolled: 1-line block ×3, first 2 shown]
	s_ashr_i32 s43, s42, 4
	s_cmp_lt_i32 s42, s28
	s_mul_hi_i32 s25, s46, s17
	s_cselect_b32 s42, s43, s16
	s_mul_i32 s24, s46, s17
	s_ashr_i32 s43, s42, 31
	s_mul_hi_i32 s21, s41, s17
	s_lshl_b64 s[42:43], s[42:43], 2
	s_mul_i32 s20, s41, s17
	s_add_u32 s42, s35, s42
	s_addc_u32 s43, s36, s43
	s_or_b32 s46, s29, 0xf0
	s_waitcnt lgkmcnt(0)
	s_mul_hi_i32 s41, s40, s17
	s_ashr_i32 s47, s46, 4
	s_cmp_lt_i32 s46, s28
	s_mul_i32 s40, s40, s17
	s_cselect_b32 s46, s47, s16
	s_mul_hi_i32 s45, s39, s17
	s_ashr_i32 s47, s46, 31
	s_mul_hi_i32 s51, s15, s17
	s_lshl_b64 s[46:47], s[46:47], 2
	s_mul_i32 s50, s15, s17
	s_add_u32 s46, s35, s46
	s_addc_u32 s47, s36, s47
	s_add_u32 s15, s22, s2
	s_addc_u32 s16, s23, s3
	v_add_co_u32 v216, s15, s15, v125
	s_delay_alu instid0(VALU_DEP_1) | instskip(SKIP_2) | instid1(VALU_DEP_2)
	v_add_co_ci_u32_e64 v217, null, s16, 0, s15
	s_lshl_b64 s[2:3], s[4:5], 1
	s_lshl_b64 s[4:5], s[6:7], 1
	v_add_co_u32 v125, vcc_lo, v216, s2
	s_delay_alu instid0(VALU_DEP_2)
	v_add_co_ci_u32_e32 v126, vcc_lo, s3, v217, vcc_lo
	v_add_co_u32 v199, vcc_lo, v216, s4
	s_lshl_b64 s[6:7], s[8:9], 1
	v_add_co_ci_u32_e32 v200, vcc_lo, s5, v217, vcc_lo
	s_lshl_b64 s[8:9], s[10:11], 1
	s_lshl_b64 s[10:11], s[12:13], 1
	s_lshl_b64 s[12:13], s[18:19], 1
	s_lshl_b64 s[18:19], s[20:21], 1
	s_lshl_b64 s[20:21], s[24:25], 1
	s_lshl_b64 s[22:23], s[26:27], 1
	s_lshl_b64 s[24:25], s[40:41], 1
	s_mul_i32 s44, s39, s17
	s_mul_hi_i32 s39, s38, s17
	s_lshl_b64 s[26:27], s[44:45], 1
	s_mul_i32 s38, s38, s17
	s_mul_hi_i32 s49, s37, s17
	s_mul_i32 s48, s37, s17
	s_lshl_b64 s[36:37], s[38:39], 1
	s_lshl_b64 s[38:39], s[48:49], 1
	s_clause 0x1
	s_load_b32 s15, s[42:43], 0x0
	s_load_b32 s16, s[46:47], 0x0
	s_lshl_b64 s[40:41], s[50:51], 1
	s_waitcnt lgkmcnt(0)
	s_mul_hi_i32 s3, s15, s17
	s_mul_i32 s2, s15, s17
	s_mul_hi_i32 s5, s16, s17
	s_lshl_b64 s[2:3], s[2:3], 1
	s_mul_i32 s4, s16, s17
	s_waitcnt vmcnt(30)
	v_wmma_f32_16x16x16_f16 v[191:198], v[89:96], v[105:112], v[129:136]
	v_add_co_u32 v89, vcc_lo, v216, s6
	v_add_co_ci_u32_e32 v90, vcc_lo, s7, v217, vcc_lo
	v_add_co_u32 v91, vcc_lo, v216, s8
	v_add_co_ci_u32_e32 v92, vcc_lo, s9, v217, vcc_lo
	;; [unrolled: 2-line block ×5, first 2 shown]
	v_add_co_u32 v205, vcc_lo, v216, s20
	s_waitcnt vmcnt(28)
	v_wmma_f32_16x16x16_f16 v[129:136], v[97:104], v[105:112], v[129:136]
	v_add_co_ci_u32_e32 v206, vcc_lo, s21, v217, vcc_lo
	v_add_co_u32 v207, vcc_lo, v216, s22
	v_add_co_ci_u32_e32 v208, vcc_lo, s23, v217, vcc_lo
	v_add_co_u32 v209, vcc_lo, v216, s24
	s_waitcnt vmcnt(26)
	v_wmma_f32_16x16x16_f16 v[191:198], v[81:88], v[113:120], v[191:198]
	s_waitcnt vmcnt(24)
	v_wmma_f32_16x16x16_f16 v[129:136], v[73:80], v[113:120], v[129:136]
	v_add_co_ci_u32_e32 v210, vcc_lo, s25, v217, vcc_lo
	v_add_co_u32 v211, vcc_lo, v216, s26
	v_add_co_ci_u32_e32 v212, vcc_lo, s27, v217, vcc_lo
	v_add_co_u32 v213, vcc_lo, v216, s36
	s_waitcnt vmcnt(22)
	v_wmma_f32_16x16x16_f16 v[191:198], v[65:72], v[143:150], v[191:198]
	s_waitcnt vmcnt(20)
	v_wmma_f32_16x16x16_f16 v[129:136], v[57:64], v[143:150], v[129:136]
	v_add_co_ci_u32_e32 v214, vcc_lo, s37, v217, vcc_lo
	v_add_co_u32 v143, vcc_lo, v216, s38
	s_waitcnt vmcnt(18)
	v_wmma_f32_16x16x16_f16 v[191:198], v[49:56], v[151:158], v[191:198]
	s_waitcnt vmcnt(16)
	v_wmma_f32_16x16x16_f16 v[129:136], v[25:32], v[151:158], v[129:136]
	v_add_co_ci_u32_e32 v144, vcc_lo, s39, v217, vcc_lo
	s_clause 0x15
	global_load_b128 v[121:124], v[125:126], off
	global_load_b128 v[125:128], v[125:126], off offset:16
	global_load_b128 v[113:116], v[199:200], off
	global_load_b128 v[117:120], v[199:200], off offset:16
	;; [unrolled: 2-line block ×11, first 2 shown]
	s_waitcnt vmcnt(36)
	v_wmma_f32_16x16x16_f16 v[191:198], v[1:8], v[159:166], v[191:198]
	s_clause 0x1
	global_load_b128 v[1:4], v[213:214], off
	global_load_b128 v[5:8], v[213:214], off offset:16
	s_waitcnt vmcnt(36)
	v_wmma_f32_16x16x16_f16 v[129:136], v[9:16], v[159:166], v[129:136]
	s_clause 0x1
	global_load_b128 v[9:12], v[143:144], off
	global_load_b128 v[13:16], v[143:144], off offset:16
	ds_load_b128 v[143:146], v215 offset:10240
	ds_load_b128 v[147:150], v215 offset:11264
	;; [unrolled: 1-line block ×4, first 2 shown]
	v_add_co_u32 v199, vcc_lo, v216, s40
	v_add_co_ci_u32_e32 v200, vcc_lo, s41, v217, vcc_lo
	v_add_co_u32 v159, vcc_lo, v216, s2
	v_add_co_ci_u32_e32 v160, vcc_lo, s3, v217, vcc_lo
	s_lshl_b64 s[2:3], s[4:5], 1
	s_delay_alu instid0(SALU_CYCLE_1)
	v_add_co_u32 v161, vcc_lo, v216, s2
	v_add_co_ci_u32_e32 v162, vcc_lo, s3, v217, vcc_lo
	s_waitcnt vmcnt(36) lgkmcnt(2)
	v_wmma_f32_16x16x16_f16 v[191:198], v[41:48], v[143:150], v[191:198]
	s_waitcnt vmcnt(34)
	v_wmma_f32_16x16x16_f16 v[129:136], v[33:40], v[143:150], v[129:136]
	s_clause 0x3
	global_load_b128 v[33:36], v[199:200], off
	global_load_b128 v[37:40], v[199:200], off offset:16
	global_load_b128 v[41:44], v[159:160], off
	global_load_b128 v[45:48], v[159:160], off offset:16
	v_and_b32_e32 v143, 0xe0, v0
	v_mbcnt_lo_u32_b32 v159, -1, 0
	s_waitcnt vmcnt(36) lgkmcnt(0)
	v_wmma_f32_16x16x16_f16 v[191:198], v[17:24], v[151:158], v[191:198]
	s_clause 0x1
	global_load_b128 v[17:20], v[161:162], off
	global_load_b128 v[21:24], v[161:162], off offset:16
	s_waitcnt vmcnt(36)
	v_wmma_f32_16x16x16_f16 v[129:136], v[167:174], v[151:158], v[129:136]
	v_add_nc_u32_e32 v160, s29, v143
	ds_load_b128 v[143:146], v215 offset:14336
	ds_load_b128 v[147:150], v215 offset:15360
	v_xor_b32_e32 v151, 16, v159
	s_waitcnt vmcnt(0) lgkmcnt(0)
	s_barrier
	v_or_b32_e32 v152, v160, v138
	buffer_gl0_inv
	v_cmp_gt_i32_e32 vcc_lo, 32, v151
	v_or_b32_e32 v153, 2, v152
	v_or_b32_e32 v154, 4, v152
	;; [unrolled: 1-line block ×5, first 2 shown]
	v_cmp_gt_i32_e64 s2, s28, v153
	v_cmp_gt_i32_e64 s3, s28, v154
	v_cmp_gt_i32_e64 s4, s28, v155
	v_or_b32_e32 v158, 12, v152
	v_cmp_gt_i32_e64 s5, s28, v156
	v_cmp_gt_i32_e64 s6, s28, v157
	v_wmma_f32_16x16x16_f16 v[191:198], v[175:182], v[143:150], v[191:198]
	v_wmma_f32_16x16x16_f16 v[129:136], v[183:190], v[143:150], v[129:136]
	v_cndmask_b32_e32 v151, v159, v151, vcc_lo
	v_cmp_gt_i32_e32 vcc_lo, s28, v152
	v_or_b32_e32 v159, 14, v152
	v_dual_mul_f32 v149, s34, v192 :: v_dual_mul_f32 v150, s34, v191
	v_dual_mul_f32 v147, s34, v194 :: v_dual_mul_f32 v148, s34, v193
	v_dual_mul_f32 v145, s34, v196 :: v_dual_mul_f32 v174, s34, v130
	s_delay_alu instid0(VALU_DEP_3) | instskip(NEXT) | instid1(VALU_DEP_4)
	v_cndmask_b32_e32 v150, 0xff7fffff, v150, vcc_lo
	v_cndmask_b32_e64 v149, 0xff7fffff, v149, s2
	v_mul_f32_e32 v146, s34, v195
	v_cndmask_b32_e64 v148, 0xff7fffff, v148, s3
	v_cndmask_b32_e64 v147, 0xff7fffff, v147, s4
	v_or_b32_e32 v160, 16, v152
	v_max3_f32 v149, v150, 0xff7fffff, v149
	v_or_b32_e32 v161, 18, v152
	v_dual_mul_f32 v143, s34, v198 :: v_dual_mul_f32 v144, s34, v197
	v_cndmask_b32_e64 v146, 0xff7fffff, v146, s5
	v_cndmask_b32_e64 v145, 0xff7fffff, v145, s6
	v_max3_f32 v147, v149, v148, v147
	v_cmp_gt_i32_e64 s7, s28, v158
	v_cmp_gt_i32_e64 s8, s28, v159
	v_or_b32_e32 v162, 20, v152
	v_or_b32_e32 v163, 22, v152
	v_mul_f32_e32 v175, s34, v129
	v_cndmask_b32_e64 v144, 0xff7fffff, v144, s7
	v_cndmask_b32_e64 v143, 0xff7fffff, v143, s8
	v_max3_f32 v145, v147, v146, v145
	v_cmp_gt_i32_e64 s9, s28, v160
	v_cmp_gt_i32_e64 s10, s28, v161
	v_or_b32_e32 v164, 24, v152
	v_or_b32_e32 v165, 26, v152
	v_dual_mul_f32 v172, s34, v132 :: v_dual_mul_f32 v173, s34, v131
	v_cndmask_b32_e64 v146, 0xff7fffff, v175, s9
	v_cndmask_b32_e64 v147, 0xff7fffff, v174, s10
	v_max3_f32 v143, v145, v144, v143
	v_cmp_gt_i32_e64 s11, s28, v162
	v_cmp_gt_i32_e64 s12, s28, v163
	v_or_b32_e32 v166, 28, v152
	v_or_b32_e32 v167, 30, v152
	v_dual_mul_f32 v170, s34, v134 :: v_dual_mul_f32 v171, s34, v133
	v_cndmask_b32_e64 v144, 0xff7fffff, v173, s11
	v_cndmask_b32_e64 v145, 0xff7fffff, v172, s12
	v_max3_f32 v143, v143, v146, v147
	v_cmp_gt_i32_e64 s13, s28, v164
	v_cmp_gt_i32_e64 s15, s28, v165
	v_dual_mul_f32 v168, s34, v136 :: v_dual_mul_f32 v169, s34, v135
	s_delay_alu instid0(VALU_DEP_4) | instskip(NEXT) | instid1(VALU_DEP_4)
	v_max3_f32 v143, v143, v144, v145
	v_cndmask_b32_e64 v146, 0xff7fffff, v171, s13
	s_delay_alu instid0(VALU_DEP_4) | instskip(SKIP_3) | instid1(VALU_DEP_4)
	v_cndmask_b32_e64 v147, 0xff7fffff, v170, s15
	v_cmp_gt_i32_e64 s16, s28, v166
	v_cmp_gt_i32_e64 s17, s28, v167
	v_lshlrev_b32_e32 v160, 2, v151
	v_max3_f32 v143, v143, v146, v147
	s_delay_alu instid0(VALU_DEP_4) | instskip(NEXT) | instid1(VALU_DEP_4)
	v_cndmask_b32_e64 v144, 0xff7fffff, v169, s16
	v_cndmask_b32_e64 v145, 0xff7fffff, v168, s17
	s_delay_alu instid0(VALU_DEP_1) | instskip(SKIP_3) | instid1(VALU_DEP_1)
	v_max3_f32 v143, v143, v144, v145
	ds_bpermute_b32 v144, v160, v143
	s_waitcnt lgkmcnt(0)
	v_max_f32_e32 v144, v144, v144
	v_max_f32_e32 v159, v143, v144
	s_delay_alu instid0(VALU_DEP_1) | instskip(SKIP_4) | instid1(VALU_DEP_4)
	v_fma_f32 v145, s34, v193, -v159
	v_fma_f32 v146, s34, v194, -v159
	;; [unrolled: 1-line block ×5, first 2 shown]
	v_dual_mul_f32 v145, 0x3fb8aa3b, v145 :: v_dual_mul_f32 v146, 0x3fb8aa3b, v146
	s_delay_alu instid0(VALU_DEP_4) | instskip(SKIP_1) | instid1(VALU_DEP_4)
	v_mul_f32_e32 v132, 0x3fb8aa3b, v132
	v_fma_f32 v148, s34, v195, -v159
	v_mul_f32_e32 v144, 0x3fb8aa3b, v144
	s_delay_alu instid0(VALU_DEP_4)
	v_exp_f32_e32 v145, v145
	v_exp_f32_e32 v150, v146
	v_fma_f32 v149, s34, v196, -v159
	v_mul_f32_e32 v148, 0x3fb8aa3b, v148
	v_exp_f32_e32 v147, v144
	v_fma_f32 v134, s34, v134, -v159
	v_fma_f32 v151, s34, v197, -v159
	v_mul_f32_e32 v149, 0x3fb8aa3b, v149
	v_exp_f32_e32 v148, v148
	v_fma_f32 v152, s34, v198, -v159
	v_cndmask_b32_e64 v146, 0, v145, s3
	v_cndmask_b32_e64 v145, 0, v150, s4
	v_dual_mul_f32 v143, 0x3fb8aa3b, v143 :: v_dual_mul_f32 v134, 0x3fb8aa3b, v134
	v_mul_f32_e32 v151, 0x3fb8aa3b, v151
	v_exp_f32_e32 v149, v149
	v_fma_f32 v129, s34, v129, -v159
	s_delay_alu instid0(VALU_DEP_3)
	v_exp_f32_e32 v143, v143
	v_mul_f32_e32 v150, 0x3fb8aa3b, v152
	v_exp_f32_e32 v151, v151
	v_cndmask_b32_e64 v148, 0, v148, s5
	v_fma_f32 v130, s34, v130, -v159
	v_mul_f32_e32 v129, 0x3fb8aa3b, v129
	v_exp_f32_e32 v153, v150
	v_fma_f32 v131, s34, v131, -v159
	v_fma_f32 v133, s34, v133, -v159
	v_mul_f32_e32 v130, 0x3fb8aa3b, v130
	v_cndmask_b32_e32 v144, 0, v143, vcc_lo
	v_cndmask_b32_e64 v143, 0, v147, s2
	v_exp_f32_e32 v129, v129
	v_cndmask_b32_e64 v150, 0, v151, s7
	v_mul_f32_e32 v131, 0x3fb8aa3b, v131
	v_add_f32_e32 v147, 0, v144
	v_exp_f32_e32 v130, v130
	v_mul_f32_e32 v133, 0x3fb8aa3b, v133
	v_exp_f32_e32 v132, v132
	v_exp_f32_e32 v131, v131
	v_add_f32_e32 v147, v147, v143
	s_mov_b32 s2, exec_lo
	v_exp_f32_e32 v133, v133
	s_delay_alu instid0(VALU_DEP_1)
	v_add_f32_e32 v147, v147, v146
	s_waitcnt_depctr 0xfff
	v_cndmask_b32_e64 v154, 0, v131, s11
	v_add_f32_e32 v152, v147, v145
	v_cndmask_b32_e64 v147, 0, v149, s6
	v_exp_f32_e32 v131, v134
	v_cndmask_b32_e64 v156, 0, v133, s13
	s_delay_alu instid0(VALU_DEP_3) | instskip(SKIP_1) | instid1(VALU_DEP_2)
	v_add_f32_e32 v149, v152, v148
	v_cndmask_b32_e64 v152, 0, v129, s9
	v_add_f32_e32 v151, v149, v147
	v_cndmask_b32_e64 v149, 0, v153, s8
	v_cndmask_b32_e64 v153, 0, v132, s12
	v_fma_f32 v132, s34, v136, -v159
	s_delay_alu instid0(TRANS32_DEP_1) | instskip(NEXT) | instid1(VALU_DEP_2)
	v_cndmask_b32_e64 v155, 0, v131, s15
	v_dual_add_f32 v151, v151, v150 :: v_dual_mul_f32 v132, 0x3fb8aa3b, v132
	s_delay_alu instid0(VALU_DEP_1) | instskip(SKIP_2) | instid1(VALU_DEP_4)
	v_add_f32_e32 v129, v151, v149
	v_cndmask_b32_e64 v151, 0, v130, s10
	v_fma_f32 v130, s34, v135, -v159
	v_exp_f32_e32 v131, v132
	s_delay_alu instid0(VALU_DEP_1) | instskip(NEXT) | instid1(VALU_DEP_1)
	v_dual_add_f32 v129, v129, v152 :: v_dual_mul_f32 v130, 0x3fb8aa3b, v130
	v_add_f32_e32 v129, v129, v151
	s_delay_alu instid0(VALU_DEP_2) | instskip(SKIP_3) | instid1(VALU_DEP_1)
	v_exp_f32_e32 v130, v130
	s_waitcnt_depctr 0xfff
	v_cndmask_b32_e64 v157, 0, v131, s17
	v_add_f32_e32 v129, v129, v154
	v_add_f32_e32 v129, v129, v153
	v_cndmask_b32_e64 v158, 0, v130, s16
	s_delay_alu instid0(VALU_DEP_2) | instskip(NEXT) | instid1(VALU_DEP_1)
	v_add_f32_e32 v129, v129, v156
	v_add_f32_e32 v129, v129, v155
	s_delay_alu instid0(VALU_DEP_1) | instskip(NEXT) | instid1(VALU_DEP_1)
	v_add_f32_e32 v129, v129, v158
	v_add_f32_e32 v129, v129, v157
	ds_bpermute_b32 v130, v160, v129
	v_cmpx_gt_u32_e32 16, v142
	s_cbranch_execz .LBB291_12
; %bb.11:
	v_mul_u32_u24_e32 v131, 0x44, v141
	s_delay_alu instid0(VALU_DEP_1) | instskip(SKIP_1) | instid1(VALU_DEP_1)
	v_lshl_add_u32 v131, v140, 2, v131
	s_waitcnt lgkmcnt(0)
	v_dual_add_f32 v129, v129, v130 :: v_dual_add_nc_u32 v130, 0x4000, v131
	ds_store_2addr_b32 v130, v159, v129 offset1:136
.LBB291_12:
	s_or_b32 exec_lo, exec_lo, s2
	v_lshlrev_b32_e32 v129, 2, v140
	s_load_b32 s34, s[0:1], 0x94
	s_waitcnt lgkmcnt(0)
	s_barrier
	buffer_gl0_inv
	v_add_nc_u32_e32 v135, 0x4000, v129
	v_cmp_eq_u32_e32 vcc_lo, 1, v141
	v_cmp_eq_u32_e64 s2, 2, v141
	v_cmp_eq_u32_e64 s3, 3, v141
	;; [unrolled: 1-line block ×3, first 2 shown]
	ds_load_2addr_b32 v[129:130], v135 offset1:17
	ds_load_2addr_b32 v[131:132], v135 offset0:34 offset1:51
	ds_load_2addr_b32 v[133:134], v135 offset0:68 offset1:85
	ds_load_2addr_b32 v[159:160], v135 offset0:102 offset1:119
	v_cmp_eq_u32_e64 s5, 5, v141
	v_cmp_eq_u32_e64 s6, 7, v141
	s_waitcnt lgkmcnt(3)
	v_max3_f32 v136, v129, 0xff7fffff, v130
	s_waitcnt lgkmcnt(2)
	s_delay_alu instid0(VALU_DEP_1) | instskip(SKIP_1) | instid1(VALU_DEP_1)
	v_max3_f32 v136, v136, v131, v132
	s_waitcnt lgkmcnt(1)
	v_max3_f32 v136, v136, v133, v134
	s_waitcnt lgkmcnt(0)
	s_delay_alu instid0(VALU_DEP_1) | instskip(NEXT) | instid1(VALU_DEP_1)
	v_max3_f32 v136, v136, v159, v160
	v_sub_f32_e32 v142, v130, v136
	ds_load_2addr_b32 v[161:162], v135 offset0:136 offset1:153
	v_sub_f32_e32 v164, v132, v136
	v_mul_f32_e32 v142, 0x3fb8aa3b, v142
	s_delay_alu instid0(VALU_DEP_2) | instskip(NEXT) | instid1(VALU_DEP_2)
	v_mul_f32_e32 v164, 0x3fb8aa3b, v164
	v_exp_f32_e32 v166, v142
	v_sub_f32_e32 v129, v129, v136
	s_delay_alu instid0(VALU_DEP_2) | instskip(NEXT) | instid1(VALU_DEP_1)
	v_exp_f32_e32 v164, v164
	v_mul_f32_e32 v163, 0x3fb8aa3b, v129
	ds_load_2addr_b32 v[129:130], v135 offset0:170 offset1:187
	v_exp_f32_e32 v163, v163
	s_waitcnt lgkmcnt(1)
	s_waitcnt_depctr 0xfff
	v_fma_f32 v142, v163, v161, 0
	v_sub_f32_e32 v161, v134, v136
	s_delay_alu instid0(VALU_DEP_2) | instskip(NEXT) | instid1(VALU_DEP_1)
	v_dual_fmac_f32 v142, v166, v162 :: v_dual_sub_f32 v131, v131, v136
	v_mul_f32_e32 v165, 0x3fb8aa3b, v131
	ds_load_2addr_b32 v[131:132], v135 offset0:204 offset1:221
	v_exp_f32_e32 v165, v165
	s_waitcnt lgkmcnt(1)
	s_waitcnt_depctr 0xfff
	v_fmac_f32_e32 v142, v165, v129
	v_sub_f32_e32 v133, v133, v136
	v_sub_f32_e32 v129, v160, v136
	s_delay_alu instid0(VALU_DEP_2) | instskip(NEXT) | instid1(VALU_DEP_2)
	v_dual_fmac_f32 v142, v164, v130 :: v_dual_mul_f32 v167, 0x3fb8aa3b, v133
	v_mul_f32_e32 v129, 0x3fb8aa3b, v129
	ds_load_2addr_b32 v[133:134], v135 offset0:238 offset1:255
	v_cndmask_b32_e32 v130, v163, v166, vcc_lo
	s_waitcnt lgkmcnt(0)
	s_barrier
	v_exp_f32_e32 v162, v129
	v_sub_f32_e32 v135, v159, v136
	v_mul_f32_e32 v159, 0x3fb8aa3b, v161
	v_exp_f32_e32 v161, v167
	buffer_gl0_inv
	v_exp_f32_e32 v159, v159
	v_fmac_f32_e32 v142, v161, v131
	s_waitcnt_depctr 0xfff
	v_dual_mul_f32 v135, 0x3fb8aa3b, v135 :: v_dual_fmac_f32 v142, v159, v132
	s_delay_alu instid0(VALU_DEP_1) | instskip(SKIP_2) | instid1(VALU_DEP_1)
	v_exp_f32_e32 v160, v135
	s_waitcnt_depctr 0xfff
	v_dual_fmac_f32 v142, v160, v133 :: v_dual_lshlrev_b32 v133, 6, v140
	v_fmac_f32_e32 v142, v162, v134
	s_delay_alu instid0(VALU_DEP_2) | instskip(NEXT) | instid1(VALU_DEP_2)
	v_lshl_or_b32 v135, v141, 11, v133
	v_add_f32_e32 v134, 0x358637bd, v142
	s_delay_alu instid0(VALU_DEP_1) | instskip(SKIP_1) | instid1(VALU_DEP_2)
	v_div_scale_f32 v167, null, v134, v134, 1.0
	v_div_scale_f32 v163, vcc_lo, 1.0, v134, 1.0
	v_rcp_f32_e32 v168, v167
	s_waitcnt_depctr 0xfff
	v_fma_f32 v129, -v167, v168, 1.0
	s_delay_alu instid0(VALU_DEP_1) | instskip(SKIP_2) | instid1(VALU_DEP_2)
	v_fmac_f32_e32 v168, v129, v168
	v_cndmask_b32_e64 v129, v130, v165, s2
	v_cmp_eq_u32_e64 s2, 6, v141
	v_cndmask_b32_e64 v130, v129, v164, s3
	v_lshlrev_b32_e32 v129, 2, v138
	v_mul_f32_e32 v165, v163, v168
	s_delay_alu instid0(VALU_DEP_3) | instskip(NEXT) | instid1(VALU_DEP_3)
	v_cndmask_b32_e64 v161, v130, v161, s4
	v_or_b32_e32 v130, 1, v129
	s_delay_alu instid0(VALU_DEP_3)
	v_fma_f32 v131, -v167, v165, v163
	v_or_b32_e32 v132, 2, v129
	v_cmp_eq_u32_e64 s3, 1, v129
	v_cndmask_b32_e64 v141, v161, v159, s5
	v_cmp_eq_u32_e64 s8, 1, v130
	v_fmac_f32_e32 v165, v131, v168
	v_or_b32_e32 v131, 3, v129
	v_cmp_eq_u32_e64 s9, 1, v132
	v_cndmask_b32_e64 v141, v141, v160, s2
	v_cmp_eq_u32_e64 s4, 2, v129
	v_fma_f32 v159, -v167, v165, v163
	v_cmp_eq_u32_e64 s10, 1, v131
	v_cmp_eq_u32_e64 s15, 2, v131
	v_cndmask_b32_e64 v141, v141, v162, s6
	v_cmp_eq_u32_e64 s11, 2, v130
	v_div_fmas_f32 v159, v159, v168, v165
	v_cmp_eq_u32_e64 s17, 3, v131
	v_cmp_eq_u32_e32 vcc_lo, 3, v129
	v_cmp_eq_u32_e64 s12, 3, v130
	v_cmp_eq_u32_e64 s13, 2, v132
	v_div_fixup_f32 v159, v159, v134, 1.0
	v_lshl_or_b32 v134, v138, 4, v135
	v_cmp_eq_u32_e64 s21, 4, v131
	v_cmp_eq_u32_e64 s2, 4, v129
	v_cmp_eq_u32_e64 s16, 3, v132
	v_mul_f32_e32 v141, v141, v159
	v_cmp_eq_u32_e64 s18, 4, v130
	v_cmp_eq_u32_e64 s23, 5, v131
	;; [unrolled: 1-line block ×4, first 2 shown]
	v_fma_mixlo_f16 v159, v141, v144, 0
	v_fma_mixlo_f16 v160, v141, v146, 0
	;; [unrolled: 1-line block ×8, first 2 shown]
	v_fma_mixhi_f16 v159, v141, v143, 0
	v_fma_mixhi_f16 v160, v141, v145, 0
	;; [unrolled: 1-line block ×8, first 2 shown]
	ds_store_b128 v134, v[159:162]
	ds_store_b128 v134, v[163:166] offset:1024
	s_waitcnt lgkmcnt(0)
	s_barrier
	buffer_gl0_inv
	ds_load_b128 v[143:146], v135
	ds_load_b128 v[147:150], v135 offset:16
	ds_load_b128 v[151:154], v135 offset:1024
	;; [unrolled: 1-line block ×3, first 2 shown]
	v_cmp_eq_u32_e64 s20, 4, v132
	v_cmp_eq_u32_e64 s26, 6, v131
	v_cmp_eq_u32_e64 s6, 6, v129
	v_cmp_eq_u32_e64 s22, 5, v132
	v_cmp_eq_u32_e64 s24, 6, v130
	v_cmp_eq_u32_e64 s28, 7, v131
	v_cmp_eq_u32_e64 s7, 7, v129
	v_cmp_eq_u32_e64 s25, 6, v132
	v_cmp_eq_u32_e64 s29, 7, v130
	v_cmp_eq_u32_e64 s27, 7, v132
	s_waitcnt lgkmcnt(3)
	v_lshrrev_b32_e32 v141, 16, v143
	s_waitcnt lgkmcnt(2)
	v_lshrrev_b32_e32 v162, 16, v147
	v_lshrrev_b32_e32 v159, 16, v144
	;; [unrolled: 1-line block ×3, first 2 shown]
	s_waitcnt lgkmcnt(1)
	v_lshrrev_b32_e32 v166, 16, v151
	v_cndmask_b32_e64 v174, v143, v141, s3
	v_cndmask_b32_e64 v176, v143, v141, s8
	;; [unrolled: 1-line block ×5, first 2 shown]
	s_waitcnt lgkmcnt(0)
	v_lshrrev_b32_e32 v170, 16, v155
	v_cndmask_b32_e64 v175, v147, v162, s3
	v_cndmask_b32_e64 v177, v147, v162, s8
	;; [unrolled: 1-line block ×19, first 2 shown]
	v_lshrrev_b32_e32 v160, 16, v145
	v_lshrrev_b32_e32 v164, 16, v149
	;; [unrolled: 1-line block ×4, first 2 shown]
	v_cndmask_b32_e64 v176, v178, v144, s13
	v_cndmask_b32_e64 v177, v179, v148, s13
	;; [unrolled: 1-line block ×8, first 2 shown]
	v_cndmask_b32_e32 v155, v166, v159, vcc_lo
	v_cndmask_b32_e32 v166, v170, v163, vcc_lo
	v_cndmask_b32_e64 v170, v174, v159, s12
	v_cndmask_b32_e64 v174, v175, v163, s12
	;; [unrolled: 1-line block ×6, first 2 shown]
	v_cndmask_b32_e32 v144, v144, v167, vcc_lo
	v_cndmask_b32_e32 v147, v147, v171, vcc_lo
	v_cndmask_b32_e64 v148, v148, v167, s12
	v_cndmask_b32_e64 v155, v155, v145, s2
	;; [unrolled: 1-line block ×7, first 2 shown]
	v_lshrrev_b32_e32 v161, 16, v146
	v_lshrrev_b32_e32 v165, 16, v150
	;; [unrolled: 1-line block ×4, first 2 shown]
	v_cndmask_b32_e64 v170, v175, v145, s20
	v_cndmask_b32_e64 v174, v176, v149, s20
	;; [unrolled: 1-line block ×22, first 2 shown]
	v_lshrrev_b32_e32 v169, 16, v154
	v_cndmask_b32_e64 v160, v163, v146, s25
	v_cndmask_b32_e64 v163, v166, v150, s25
	;; [unrolled: 1-line block ×9, first 2 shown]
	v_perm_b32 v146, v143, v141, 0x5040100
	v_cndmask_b32_e64 v141, v183, v156, s13
	v_cndmask_b32_e64 v143, v181, v156, s11
	;; [unrolled: 1-line block ×4, first 2 shown]
	v_perm_b32 v144, v159, v149, 0x5040100
	v_cndmask_b32_e64 v149, v162, v167, s16
	v_cndmask_b32_e64 v151, v151, v167, s17
	;; [unrolled: 1-line block ×15, first 2 shown]
	v_lshrrev_b32_e32 v173, 16, v158
	v_cndmask_b32_e64 v149, v149, v154, s25
	v_cndmask_b32_e64 v151, v151, v154, s26
	;; [unrolled: 1-line block ×13, first 2 shown]
	v_perm_b32 v145, v160, v155, 0x5040100
	v_perm_b32 v143, v148, v147, 0x5040100
	;; [unrolled: 1-line block ×6, first 2 shown]
	s_mul_i32 s6, s33, 6
	s_mov_b32 s2, exec_lo
	ds_store_b128 v134, v[143:146]
	ds_store_b128 v134, v[147:150] offset:1024
	v_cmpx_gt_u32_e32 6, v0
	s_cbranch_execz .LBB291_14
; %bb.13:
	s_mul_i32 s3, s6, s30
	s_load_b128 s[8:11], s[0:1], 0x58
	v_add3_u32 v143, s3, s31, v140
	s_delay_alu instid0(VALU_DEP_1) | instskip(NEXT) | instid1(VALU_DEP_1)
	v_mad_u64_u32 v[140:141], null, v143, s34, s[14:15]
	v_ashrrev_i32_e32 v141, 31, v140
	s_delay_alu instid0(VALU_DEP_1) | instskip(SKIP_1) | instid1(VALU_DEP_1)
	v_lshlrev_b64 v[140:141], 2, v[140:141]
	s_waitcnt lgkmcnt(0)
	v_add_co_u32 v143, vcc_lo, s10, v140
	s_delay_alu instid0(VALU_DEP_2)
	v_add_co_ci_u32_e32 v144, vcc_lo, s11, v141, vcc_lo
	v_add_co_u32 v140, vcc_lo, s8, v140
	v_add_co_ci_u32_e32 v141, vcc_lo, s9, v141, vcc_lo
	global_store_b32 v[143:144], v136, off
	global_store_b32 v[140:141], v142, off
.LBB291_14:
	s_or_b32 exec_lo, exec_lo, s2
	s_waitcnt lgkmcnt(0)
	s_waitcnt_vscnt null, 0x0
	s_barrier
	buffer_gl0_inv
	ds_load_b128 v[148:151], v133
	ds_load_b128 v[152:155], v133 offset:16
	ds_load_b128 v[160:163], v133 offset:1040
	;; [unrolled: 1-line block ×5, first 2 shown]
	v_cmp_eq_u32_e32 vcc_lo, 1, v132
	v_mov_b32_e32 v140, 0
	ds_load_b128 v[176:179], v133 offset:3088
	ds_load_b128 v[172:175], v133 offset:3072
	;; [unrolled: 1-line block ×4, first 2 shown]
	v_cmp_eq_u32_e64 s2, 1, v129
	v_cmp_eq_u32_e64 s3, 1, v131
	;; [unrolled: 1-line block ×3, first 2 shown]
	v_mov_b32_e32 v141, v140
	v_mov_b32_e32 v142, v140
	;; [unrolled: 1-line block ×7, first 2 shown]
	v_cmp_eq_u32_e64 s5, 2, v129
	s_waitcnt lgkmcnt(8)
	s_delay_alu instid0(VALU_DEP_2)
	v_wmma_f32_16x16x16_f16 v[140:147], v[121:128], v[148:155], v[140:147]
	ds_load_b128 v[125:128], v133 offset:5136
	ds_load_b128 v[121:124], v133 offset:5120
	s_waitcnt lgkmcnt(8)
	v_wmma_f32_16x16x16_f16 v[140:147], v[113:120], v[156:163], v[140:147]
	ds_load_b128 v[117:120], v133 offset:6160
	ds_load_b128 v[113:116], v133 offset:6144
	s_waitcnt lgkmcnt(8)
	;; [unrolled: 4-line block ×11, first 2 shown]
	s_barrier
	buffer_gl0_inv
	v_wmma_f32_16x16x16_f16 v[140:147], v[1:8], v[73:80], v[140:147]
	s_delay_alu instid0(VALU_DEP_1) | instskip(NEXT) | instid1(VALU_DEP_1)
	v_wmma_f32_16x16x16_f16 v[140:147], v[9:16], v[65:72], v[140:147]
	v_wmma_f32_16x16x16_f16 v[140:147], v[33:40], v[57:64], v[140:147]
	s_delay_alu instid0(VALU_DEP_1) | instskip(NEXT) | instid1(VALU_DEP_1)
	v_wmma_f32_16x16x16_f16 v[140:147], v[41:48], v[49:56], v[140:147]
	v_wmma_f32_16x16x16_f16 v[140:147], v[17:24], v[25:32], v[140:147]
	s_delay_alu instid0(VALU_DEP_1) | instskip(NEXT) | instid1(VALU_DEP_2)
	v_cvt_f16_f32_e64 v1, v140
	v_cvt_f16_f32_e64 v2, v141
	s_delay_alu instid0(VALU_DEP_3) | instskip(NEXT) | instid1(VALU_DEP_4)
	v_cvt_f16_f32_e64 v3, v142
	v_cvt_f16_f32_e64 v4, v143
	;; [unrolled: 1-line block ×6, first 2 shown]
	v_pack_b32_f16 v1, v1, v2
	v_pack_b32_f16 v2, v3, v4
	;; [unrolled: 1-line block ×3, first 2 shown]
	s_delay_alu instid0(VALU_DEP_4)
	v_pack_b32_f16 v4, v7, v8
	ds_store_b128 v134, v[1:4]
	s_waitcnt lgkmcnt(0)
	s_barrier
	buffer_gl0_inv
	ds_load_b128 v[1:4], v135
	ds_load_b128 v[5:8], v135 offset:16
	s_waitcnt lgkmcnt(1)
	v_lshrrev_b32_e32 v9, 16, v1
	s_waitcnt lgkmcnt(0)
	v_lshrrev_b32_e32 v13, 16, v5
	v_lshrrev_b32_e32 v10, 16, v2
	;; [unrolled: 1-line block ×4, first 2 shown]
	v_cndmask_b32_e64 v17, v1, v9, s2
	v_cndmask_b32_e64 v18, v5, v13, s2
	;; [unrolled: 1-line block ×3, first 2 shown]
	v_cmp_eq_u32_e64 s2, 2, v130
	v_cndmask_b32_e64 v20, v5, v13, s4
	v_cndmask_b32_e32 v21, v1, v9, vcc_lo
	v_cndmask_b32_e32 v22, v5, v13, vcc_lo
	v_cndmask_b32_e64 v1, v1, v9, s3
	v_cndmask_b32_e64 v5, v5, v13, s3
	v_cmp_eq_u32_e32 vcc_lo, 2, v132
	v_cmp_eq_u32_e64 s3, 2, v131
	v_cndmask_b32_e64 v9, v17, v2, s5
	v_cndmask_b32_e64 v13, v18, v6, s5
	;; [unrolled: 1-line block ×4, first 2 shown]
	v_cndmask_b32_e32 v19, v21, v2, vcc_lo
	v_cmp_eq_u32_e64 s2, 3, v132
	v_cndmask_b32_e32 v20, v22, v6, vcc_lo
	v_cndmask_b32_e64 v1, v1, v2, s3
	v_cmp_eq_u32_e32 vcc_lo, 3, v131
	v_cmp_eq_u32_e64 s4, 3, v129
	v_cndmask_b32_e64 v2, v5, v6, s3
	v_cmp_eq_u32_e64 s3, 3, v130
	v_cmp_eq_u32_e64 s5, 4, v129
	v_cndmask_b32_e32 v1, v1, v10, vcc_lo
	v_cndmask_b32_e64 v5, v9, v10, s4
	v_cndmask_b32_e64 v6, v13, v14, s4
	;; [unrolled: 1-line block ×3, first 2 shown]
	v_cmp_eq_u32_e64 s4, 4, v130
	v_cndmask_b32_e64 v13, v18, v14, s3
	v_cndmask_b32_e64 v17, v19, v10, s2
	;; [unrolled: 1-line block ×3, first 2 shown]
	v_cndmask_b32_e32 v2, v2, v14, vcc_lo
	v_cmp_eq_u32_e32 vcc_lo, 4, v132
	v_cmp_eq_u32_e64 s3, 4, v131
	v_lshrrev_b32_e32 v15, 16, v7
	v_cndmask_b32_e64 v5, v5, v3, s5
	v_cndmask_b32_e64 v6, v6, v7, s5
	v_cndmask_b32_e32 v14, v18, v7, vcc_lo
	v_cndmask_b32_e64 v9, v9, v3, s4
	v_cndmask_b32_e64 v10, v13, v7, s4
	v_cndmask_b32_e32 v13, v17, v3, vcc_lo
	v_cmp_eq_u32_e64 s2, 5, v132
	v_cndmask_b32_e64 v1, v1, v3, s3
	v_cmp_eq_u32_e32 vcc_lo, 5, v131
	v_cmp_eq_u32_e64 s4, 5, v129
	v_cndmask_b32_e64 v2, v2, v7, s3
	v_cmp_eq_u32_e64 s3, 5, v130
	v_cmp_eq_u32_e64 s5, 6, v129
	v_lshrrev_b32_e32 v12, 16, v4
	v_cndmask_b32_e64 v3, v5, v11, s4
	v_cndmask_b32_e64 v5, v6, v15, s4
	;; [unrolled: 1-line block ×3, first 2 shown]
	v_cmp_eq_u32_e64 s4, 6, v130
	v_cndmask_b32_e64 v7, v10, v15, s3
	v_cndmask_b32_e64 v9, v13, v11, s2
	;; [unrolled: 1-line block ×3, first 2 shown]
	v_cndmask_b32_e32 v1, v1, v11, vcc_lo
	v_cndmask_b32_e32 v2, v2, v15, vcc_lo
	v_cmp_eq_u32_e32 vcc_lo, 6, v132
	v_cmp_eq_u32_e64 s2, 6, v131
	v_lshrrev_b32_e32 v16, 16, v8
	v_cndmask_b32_e64 v3, v3, v4, s5
	v_cndmask_b32_e64 v5, v5, v8, s5
	v_cndmask_b32_e32 v9, v9, v4, vcc_lo
	v_cndmask_b32_e64 v6, v6, v4, s4
	v_cndmask_b32_e64 v7, v7, v8, s4
	v_cmp_eq_u32_e64 s3, 7, v132
	v_cndmask_b32_e32 v10, v10, v8, vcc_lo
	v_cndmask_b32_e64 v1, v1, v4, s2
	v_cmp_eq_u32_e32 vcc_lo, 7, v131
	v_cndmask_b32_e64 v2, v2, v8, s2
	v_cmp_eq_u32_e64 s2, 7, v129
	v_cmp_eq_u32_e64 s4, 7, v130
	v_cndmask_b32_e32 v1, v1, v12, vcc_lo
	s_delay_alu instid0(VALU_DEP_4) | instskip(NEXT) | instid1(VALU_DEP_4)
	v_cndmask_b32_e32 v2, v2, v16, vcc_lo
	v_cndmask_b32_e64 v8, v3, v12, s2
	s_delay_alu instid0(VALU_DEP_4)
	v_cndmask_b32_e64 v6, v6, v12, s4
	v_cndmask_b32_e64 v3, v9, v12, s3
	;; [unrolled: 1-line block ×5, first 2 shown]
	v_perm_b32 v4, v2, v1, 0x5040100
	s_mov_b32 s2, exec_lo
	v_perm_b32 v3, v9, v3, 0x5040100
	v_perm_b32 v2, v7, v6, 0x5040100
	;; [unrolled: 1-line block ×3, first 2 shown]
	ds_store_b128 v134, v[1:4]
	s_waitcnt lgkmcnt(0)
	s_barrier
	buffer_gl0_inv
	v_cmpx_gt_u32_e32 32, v0
	s_cbranch_execz .LBB291_2
; %bb.15:
	s_load_b64 s[0:1], s[0:1], 0x68
	s_lshl_b32 s4, s34, 7
	v_or_b32_e32 v3, s31, v138
	s_mul_i32 s2, s4, s30
	v_lshlrev_b32_e32 v0, 10, v0
	s_mul_i32 s2, s2, s6
	v_lshlrev_b32_e32 v1, 4, v139
	s_ashr_i32 s3, s2, 31
	v_mul_lo_u32 v12, v3, s4
	s_lshl_b64 s[2:3], s[2:3], 1
	v_lshlrev_b32_e32 v2, 6, v138
	v_and_b32_e32 v0, 0x3800, v0
	s_delay_alu instid0(VALU_DEP_1) | instskip(NEXT) | instid1(VALU_DEP_4)
	v_or3_b32 v8, v0, v1, v2
	v_ashrrev_i32_e32 v13, 31, v12
	ds_load_b128 v[0:3], v8
	ds_load_b128 v[4:7], v8 offset:128
	ds_load_b128 v[8:11], v8 offset:256
	s_waitcnt lgkmcnt(0)
	s_add_u32 s2, s0, s2
	s_addc_u32 s3, s1, s3
	s_lshl_b32 s0, s14, 7
	s_delay_alu instid0(SALU_CYCLE_1) | instskip(NEXT) | instid1(SALU_CYCLE_1)
	s_ashr_i32 s1, s0, 31
	s_lshl_b64 s[0:1], s[0:1], 1
	s_delay_alu instid0(SALU_CYCLE_1)
	s_add_u32 s0, s2, s0
	s_addc_u32 s1, s3, s1
	s_lshl_b32 s2, s34, 8
	v_add_co_u32 v18, s0, s0, v137
	v_add_nc_u32_e32 v14, s2, v12
	v_lshlrev_b64 v[12:13], 1, v[12:13]
	v_add_co_ci_u32_e64 v19, null, s1, 0, s0
	s_delay_alu instid0(VALU_DEP_3) | instskip(SKIP_1) | instid1(VALU_DEP_4)
	v_add_nc_u32_e32 v16, s2, v14
	v_ashrrev_i32_e32 v15, 31, v14
	v_add_co_u32 v12, vcc_lo, v18, v12
	s_delay_alu instid0(VALU_DEP_4) | instskip(NEXT) | instid1(VALU_DEP_4)
	v_add_co_ci_u32_e32 v13, vcc_lo, v19, v13, vcc_lo
	v_ashrrev_i32_e32 v17, 31, v16
	s_delay_alu instid0(VALU_DEP_4) | instskip(NEXT) | instid1(VALU_DEP_2)
	v_lshlrev_b64 v[14:15], 1, v[14:15]
	v_lshlrev_b64 v[16:17], 1, v[16:17]
	s_delay_alu instid0(VALU_DEP_2) | instskip(NEXT) | instid1(VALU_DEP_3)
	v_add_co_u32 v14, vcc_lo, v18, v14
	v_add_co_ci_u32_e32 v15, vcc_lo, v19, v15, vcc_lo
	s_delay_alu instid0(VALU_DEP_3) | instskip(NEXT) | instid1(VALU_DEP_4)
	v_add_co_u32 v16, vcc_lo, v18, v16
	v_add_co_ci_u32_e32 v17, vcc_lo, v19, v17, vcc_lo
	s_clause 0x2
	global_store_b128 v[12:13], v[0:3], off
	global_store_b128 v[14:15], v[4:7], off
	;; [unrolled: 1-line block ×3, first 2 shown]
	s_nop 0
	s_sendmsg sendmsg(MSG_DEALLOC_VGPRS)
	s_endpgm
	.section	.rodata,"a",@progbits
	.p2align	6, 0x0
	.amdhsa_kernel _Z39paged_attention_ll4mi_QKV_mfma16_kernelIDF16_DF16_LN4vllm18Fp8KVCacheDataTypeE0EDF16_Li16ELi128ELi256ELb0ELi6EL8MFMAType0EEvPKT_PKT0_S8_ifPKiSA_SA_iPKfiiiPfSD_PS3_PT2_iSC_SC_
		.amdhsa_group_segment_fixed_size 17472
		.amdhsa_private_segment_fixed_size 0
		.amdhsa_kernarg_size 400
		.amdhsa_user_sgpr_count 13
		.amdhsa_user_sgpr_dispatch_ptr 0
		.amdhsa_user_sgpr_queue_ptr 0
		.amdhsa_user_sgpr_kernarg_segment_ptr 1
		.amdhsa_user_sgpr_dispatch_id 0
		.amdhsa_user_sgpr_private_segment_size 0
		.amdhsa_wavefront_size32 1
		.amdhsa_uses_dynamic_stack 0
		.amdhsa_enable_private_segment 0
		.amdhsa_system_sgpr_workgroup_id_x 1
		.amdhsa_system_sgpr_workgroup_id_y 1
		.amdhsa_system_sgpr_workgroup_id_z 1
		.amdhsa_system_sgpr_workgroup_info 0
		.amdhsa_system_vgpr_workitem_id 0
		.amdhsa_next_free_vgpr 218
		.amdhsa_next_free_sgpr 52
		.amdhsa_reserve_vcc 1
		.amdhsa_float_round_mode_32 0
		.amdhsa_float_round_mode_16_64 0
		.amdhsa_float_denorm_mode_32 3
		.amdhsa_float_denorm_mode_16_64 3
		.amdhsa_dx10_clamp 1
		.amdhsa_ieee_mode 1
		.amdhsa_fp16_overflow 0
		.amdhsa_workgroup_processor_mode 1
		.amdhsa_memory_ordered 1
		.amdhsa_forward_progress 0
		.amdhsa_shared_vgpr_count 0
		.amdhsa_exception_fp_ieee_invalid_op 0
		.amdhsa_exception_fp_denorm_src 0
		.amdhsa_exception_fp_ieee_div_zero 0
		.amdhsa_exception_fp_ieee_overflow 0
		.amdhsa_exception_fp_ieee_underflow 0
		.amdhsa_exception_fp_ieee_inexact 0
		.amdhsa_exception_int_div_zero 0
	.end_amdhsa_kernel
	.section	.text._Z39paged_attention_ll4mi_QKV_mfma16_kernelIDF16_DF16_LN4vllm18Fp8KVCacheDataTypeE0EDF16_Li16ELi128ELi256ELb0ELi6EL8MFMAType0EEvPKT_PKT0_S8_ifPKiSA_SA_iPKfiiiPfSD_PS3_PT2_iSC_SC_,"axG",@progbits,_Z39paged_attention_ll4mi_QKV_mfma16_kernelIDF16_DF16_LN4vllm18Fp8KVCacheDataTypeE0EDF16_Li16ELi128ELi256ELb0ELi6EL8MFMAType0EEvPKT_PKT0_S8_ifPKiSA_SA_iPKfiiiPfSD_PS3_PT2_iSC_SC_,comdat
.Lfunc_end291:
	.size	_Z39paged_attention_ll4mi_QKV_mfma16_kernelIDF16_DF16_LN4vllm18Fp8KVCacheDataTypeE0EDF16_Li16ELi128ELi256ELb0ELi6EL8MFMAType0EEvPKT_PKT0_S8_ifPKiSA_SA_iPKfiiiPfSD_PS3_PT2_iSC_SC_, .Lfunc_end291-_Z39paged_attention_ll4mi_QKV_mfma16_kernelIDF16_DF16_LN4vllm18Fp8KVCacheDataTypeE0EDF16_Li16ELi128ELi256ELb0ELi6EL8MFMAType0EEvPKT_PKT0_S8_ifPKiSA_SA_iPKfiiiPfSD_PS3_PT2_iSC_SC_
                                        ; -- End function
	.section	.AMDGPU.csdata,"",@progbits
; Kernel info:
; codeLenInByte = 8040
; NumSgprs: 54
; NumVgprs: 218
; ScratchSize: 0
; MemoryBound: 0
; FloatMode: 240
; IeeeMode: 1
; LDSByteSize: 17472 bytes/workgroup (compile time only)
; SGPRBlocks: 6
; VGPRBlocks: 27
; NumSGPRsForWavesPerEU: 54
; NumVGPRsForWavesPerEU: 218
; Occupancy: 6
; WaveLimiterHint : 1
; COMPUTE_PGM_RSRC2:SCRATCH_EN: 0
; COMPUTE_PGM_RSRC2:USER_SGPR: 13
; COMPUTE_PGM_RSRC2:TRAP_HANDLER: 0
; COMPUTE_PGM_RSRC2:TGID_X_EN: 1
; COMPUTE_PGM_RSRC2:TGID_Y_EN: 1
; COMPUTE_PGM_RSRC2:TGID_Z_EN: 1
; COMPUTE_PGM_RSRC2:TIDIG_COMP_CNT: 0
	.section	.text._Z39paged_attention_ll4mi_QKV_mfma16_kernelIDF16_DF16_LN4vllm18Fp8KVCacheDataTypeE0EDF16_Li16ELi128ELi256ELb0ELi7EL8MFMAType0EEvPKT_PKT0_S8_ifPKiSA_SA_iPKfiiiPfSD_PS3_PT2_iSC_SC_,"axG",@progbits,_Z39paged_attention_ll4mi_QKV_mfma16_kernelIDF16_DF16_LN4vllm18Fp8KVCacheDataTypeE0EDF16_Li16ELi128ELi256ELb0ELi7EL8MFMAType0EEvPKT_PKT0_S8_ifPKiSA_SA_iPKfiiiPfSD_PS3_PT2_iSC_SC_,comdat
	.protected	_Z39paged_attention_ll4mi_QKV_mfma16_kernelIDF16_DF16_LN4vllm18Fp8KVCacheDataTypeE0EDF16_Li16ELi128ELi256ELb0ELi7EL8MFMAType0EEvPKT_PKT0_S8_ifPKiSA_SA_iPKfiiiPfSD_PS3_PT2_iSC_SC_ ; -- Begin function _Z39paged_attention_ll4mi_QKV_mfma16_kernelIDF16_DF16_LN4vllm18Fp8KVCacheDataTypeE0EDF16_Li16ELi128ELi256ELb0ELi7EL8MFMAType0EEvPKT_PKT0_S8_ifPKiSA_SA_iPKfiiiPfSD_PS3_PT2_iSC_SC_
	.globl	_Z39paged_attention_ll4mi_QKV_mfma16_kernelIDF16_DF16_LN4vllm18Fp8KVCacheDataTypeE0EDF16_Li16ELi128ELi256ELb0ELi7EL8MFMAType0EEvPKT_PKT0_S8_ifPKiSA_SA_iPKfiiiPfSD_PS3_PT2_iSC_SC_
	.p2align	8
	.type	_Z39paged_attention_ll4mi_QKV_mfma16_kernelIDF16_DF16_LN4vllm18Fp8KVCacheDataTypeE0EDF16_Li16ELi128ELi256ELb0ELi7EL8MFMAType0EEvPKT_PKT0_S8_ifPKiSA_SA_iPKfiiiPfSD_PS3_PT2_iSC_SC_,@function
_Z39paged_attention_ll4mi_QKV_mfma16_kernelIDF16_DF16_LN4vllm18Fp8KVCacheDataTypeE0EDF16_Li16ELi128ELi256ELb0ELi7EL8MFMAType0EEvPKT_PKT0_S8_ifPKiSA_SA_iPKfiiiPfSD_PS3_PT2_iSC_SC_: ; @_Z39paged_attention_ll4mi_QKV_mfma16_kernelIDF16_DF16_LN4vllm18Fp8KVCacheDataTypeE0EDF16_Li16ELi128ELi256ELb0ELi7EL8MFMAType0EEvPKT_PKT0_S8_ifPKiSA_SA_iPKfiiiPfSD_PS3_PT2_iSC_SC_
; %bb.0:
	s_load_b64 s[4:5], s[0:1], 0x30
	s_mov_b32 s34, s13
	s_waitcnt lgkmcnt(0)
	s_cmp_lg_u64 s[4:5], 0
	s_cselect_b32 s8, -1, 0
	s_ashr_i32 s35, s13, 31
	s_cmp_eq_u64 s[4:5], 0
	s_cbranch_scc1 .LBB292_3
; %bb.1:
	s_lshl_b64 s[2:3], s[34:35], 2
	s_delay_alu instid0(SALU_CYCLE_1) | instskip(SKIP_4) | instid1(SALU_CYCLE_1)
	s_add_u32 s2, s4, s2
	s_addc_u32 s3, s5, s3
	s_load_b64 s[2:3], s[2:3], 0x0
	s_waitcnt lgkmcnt(0)
	s_sub_i32 s2, s3, s2
	s_cmp_eq_u32 s2, 1
	s_cselect_b32 s2, -1, 0
	s_delay_alu instid0(SALU_CYCLE_1)
	s_and_not1_b32 vcc_lo, exec_lo, s2
	s_cbranch_vccz .LBB292_4
.LBB292_2:
	s_nop 0
	s_sendmsg sendmsg(MSG_DEALLOC_VGPRS)
	s_endpgm
.LBB292_3:
.LBB292_4:
	s_load_b64 s[2:3], s[0:1], 0x28
	s_lshl_b64 s[6:7], s[34:35], 2
	s_waitcnt lgkmcnt(0)
	s_add_u32 s2, s2, s6
	s_addc_u32 s3, s3, s7
	s_lshl_b32 s29, s14, 8
	s_load_b32 s28, s[2:3], 0x0
	s_waitcnt lgkmcnt(0)
	s_cmp_ge_i32 s29, s28
	s_cbranch_scc1 .LBB292_2
; %bb.5:
	s_clause 0x1
	s_load_b128 s[20:23], s[0:1], 0x8
	s_load_b64 s[2:3], s[0:1], 0x20
	s_and_not1_b32 vcc_lo, exec_lo, s8
	s_cbranch_vccnz .LBB292_7
; %bb.6:
	s_add_u32 s4, s4, s6
	s_addc_u32 s5, s5, s7
	s_load_b32 s5, s[4:5], 0x0
	s_branch .LBB292_8
.LBB292_7:
	s_mov_b32 s5, s34
.LBB292_8:
	s_load_b128 s[16:19], s[0:1], 0x48
	v_and_b32_e32 v140, 15, v0
	v_lshrrev_b32_e32 v141, 5, v0
	v_bfe_u32 v138, v0, 4, 1
	v_and_b32_e32 v142, 31, v0
	v_and_b32_e32 v139, 1, v0
	v_lshlrev_b32_e32 v2, 3, v140
	s_mul_i32 s31, s15, 7
	v_lshl_or_b32 v1, v141, 1, v138
	s_mov_b32 s4, exec_lo
	s_delay_alu instid0(VALU_DEP_2) | instskip(NEXT) | instid1(VALU_DEP_2)
	v_lshlrev_b32_e32 v137, 1, v2
	v_cmpx_gt_u32_e32 7, v1
	s_cbranch_execz .LBB292_10
; %bb.9:
	s_load_b64 s[6:7], s[0:1], 0x0
	v_add_lshl_u32 v2, v1, s31, 7
	s_waitcnt lgkmcnt(0)
	s_mul_hi_i32 s9, s5, s16
	s_mul_i32 s8, s5, s16
	v_lshlrev_b32_e32 v6, 10, v140
	s_lshl_b64 s[8:9], s[8:9], 1
	v_ashrrev_i32_e32 v3, 31, v2
	v_lshlrev_b32_e32 v1, 6, v1
	v_lshlrev_b32_e32 v7, 10, v139
	v_and_b32_e32 v6, 0x3800, v6
	s_delay_alu instid0(VALU_DEP_4) | instskip(NEXT) | instid1(VALU_DEP_2)
	v_lshlrev_b64 v[2:3], 1, v[2:3]
	v_or3_b32 v1, v6, v7, v1
	s_add_u32 s5, s6, s8
	s_addc_u32 s6, s7, s9
	s_delay_alu instid0(VALU_DEP_2) | instskip(NEXT) | instid1(VALU_DEP_3)
	v_add_co_u32 v2, vcc_lo, s5, v2
	v_add_co_ci_u32_e32 v3, vcc_lo, s6, v3, vcc_lo
	s_delay_alu instid0(VALU_DEP_2) | instskip(NEXT) | instid1(VALU_DEP_2)
	v_add_co_u32 v2, vcc_lo, v2, v137
	v_add_co_ci_u32_e32 v3, vcc_lo, 0, v3, vcc_lo
	global_load_b128 v[2:5], v[2:3], off
	s_waitcnt vmcnt(0)
	ds_store_b128 v1, v[2:5]
.LBB292_10:
	s_or_b32 exec_lo, exec_lo, s4
	v_and_b32_e32 v1, 0xef, v0
	s_waitcnt lgkmcnt(0)
	s_add_i32 s5, s28, 15
	s_clause 0x1
	s_load_b32 s4, s[0:1], 0x38
	s_load_b32 s33, s[0:1], 0x98
	s_ashr_i32 s6, s5, 31
	v_add_nc_u32_e32 v1, s29, v1
	s_lshr_b32 s6, s6, 28
	s_load_b32 s30, s[0:1], 0x1c
	s_add_i32 s5, s5, s6
	s_waitcnt lgkmcnt(0)
	v_ashrrev_i32_e32 v2, 31, v1
	v_cmp_gt_i32_e32 vcc_lo, s28, v1
	s_ashr_i32 s16, s5, 4
	s_barrier
	s_add_i32 s16, s16, -1
	v_lshrrev_b32_e32 v3, 28, v2
	v_or_b32_e32 v2, 16, v1
	buffer_gl0_inv
	v_mul_lo_u16 v105, v140, 37
	v_lshlrev_b32_e32 v106, 5, v140
	v_add_nc_u32_e32 v4, v1, v3
	v_add_nc_u32_e32 v3, v2, v3
	s_mul_i32 s4, s34, s4
	v_lshrrev_b16 v105, 8, v105
	s_ashr_i32 s5, s4, 31
	v_ashrrev_i32_e32 v4, 4, v4
	v_ashrrev_i32_e32 v3, 4, v3
	s_lshl_b64 s[4:5], s[4:5], 2
	v_mul_lo_u16 v105, v105, 7
	s_add_u32 s35, s2, s4
	v_cndmask_b32_e32 v1, s16, v4, vcc_lo
	v_cmp_gt_i32_e32 vcc_lo, s28, v2
	s_addc_u32 s36, s3, s5
	s_mul_i32 s2, s15, s18
	v_sub_nc_u16 v105, v140, v105
	v_ashrrev_i32_e32 v2, 31, v1
	v_cndmask_b32_e32 v3, s16, v3, vcc_lo
	s_ashr_i32 s3, s2, 31
	v_lshl_or_b32 v125, v141, 9, v106
	s_lshl_b64 s[2:3], s[2:3], 1
	v_lshlrev_b64 v[1:2], 2, v[1:2]
	v_ashrrev_i32_e32 v4, 31, v3
	s_add_u32 s24, s20, s2
	s_addc_u32 s25, s21, s3
	s_lshl_b32 s4, s14, 4
	v_and_b32_e32 v105, 0xff, v105
	v_lshlrev_b64 v[3:4], 2, v[3:4]
	v_add_co_u32 v1, vcc_lo, s35, v1
	v_add_co_ci_u32_e32 v2, vcc_lo, s36, v2, vcc_lo
	s_ashr_i32 s5, s4, 31
	s_delay_alu instid0(VALU_DEP_3) | instskip(NEXT) | instid1(VALU_DEP_4)
	v_add_co_u32 v3, vcc_lo, s35, v3
	v_add_co_ci_u32_e32 v4, vcc_lo, s36, v4, vcc_lo
	s_lshl_b64 s[4:5], s[4:5], 2
	s_clause 0x1
	global_load_b32 v5, v[1:2], off
	global_load_b32 v6, v[3:4], off
	s_add_u32 s4, s35, s4
	s_addc_u32 s5, s36, s5
	s_or_b32 s6, s29, 16
	v_lshlrev_b32_e32 v3, 4, v0
	s_ashr_i32 s7, s6, 4
	s_cmp_lt_i32 s6, s28
	v_lshlrev_b32_e32 v215, 6, v105
	s_cselect_b32 s6, s7, s16
	s_delay_alu instid0(SALU_CYCLE_1) | instskip(NEXT) | instid1(SALU_CYCLE_1)
	s_ashr_i32 s7, s6, 31
	s_lshl_b64 s[6:7], s[6:7], 2
	s_delay_alu instid0(SALU_CYCLE_1) | instskip(SKIP_2) | instid1(SALU_CYCLE_1)
	s_add_u32 s6, s35, s6
	s_addc_u32 s7, s36, s7
	s_or_b32 s8, s29, 32
	s_ashr_i32 s9, s8, 4
	s_cmp_lt_i32 s8, s28
	s_cselect_b32 s8, s9, s16
	s_delay_alu instid0(SALU_CYCLE_1) | instskip(NEXT) | instid1(SALU_CYCLE_1)
	s_ashr_i32 s9, s8, 31
	s_lshl_b64 s[8:9], s[8:9], 2
	s_delay_alu instid0(SALU_CYCLE_1) | instskip(SKIP_2) | instid1(SALU_CYCLE_1)
	s_add_u32 s8, s35, s8
	s_addc_u32 s9, s36, s9
	s_or_b32 s10, s29, 48
	s_ashr_i32 s11, s10, 4
	s_cmp_lt_i32 s10, s28
	s_cselect_b32 s10, s11, s16
	s_delay_alu instid0(SALU_CYCLE_1) | instskip(NEXT) | instid1(SALU_CYCLE_1)
	s_ashr_i32 s11, s10, 31
	s_lshl_b64 s[10:11], s[10:11], 2
	s_delay_alu instid0(SALU_CYCLE_1) | instskip(SKIP_2) | instid1(SALU_CYCLE_1)
	s_add_u32 s10, s35, s10
	s_addc_u32 s11, s36, s11
	s_or_b32 s12, s29, 64
	s_ashr_i32 s13, s12, 4
	s_cmp_lt_i32 s12, s28
	s_cselect_b32 s12, s13, s16
	s_delay_alu instid0(SALU_CYCLE_1) | instskip(NEXT) | instid1(SALU_CYCLE_1)
	s_ashr_i32 s13, s12, 31
	s_lshl_b64 s[12:13], s[12:13], 2
	s_delay_alu instid0(SALU_CYCLE_1) | instskip(SKIP_2) | instid1(SALU_CYCLE_1)
	s_add_u32 s18, s35, s12
	s_addc_u32 s19, s36, s13
	s_or_b32 s12, s29, 0x50
	s_ashr_i32 s13, s12, 4
	s_cmp_lt_i32 s12, s28
	s_cselect_b32 s12, s13, s16
	s_delay_alu instid0(SALU_CYCLE_1) | instskip(NEXT) | instid1(SALU_CYCLE_1)
	s_ashr_i32 s13, s12, 31
	s_lshl_b64 s[12:13], s[12:13], 2
	s_delay_alu instid0(SALU_CYCLE_1)
	s_add_u32 s20, s35, s12
	s_addc_u32 s21, s36, s13
	s_clause 0x5
	s_load_b32 s39, s[4:5], 0x0
	s_load_b32 s38, s[6:7], 0x0
	;; [unrolled: 1-line block ×6, first 2 shown]
	s_waitcnt vmcnt(1)
	v_mad_i64_i32 v[1:2], null, v5, s17, 0
	v_and_b32_e32 v5, 0xf0, v3
	s_waitcnt vmcnt(0)
	v_mad_i64_i32 v[3:4], null, v6, s17, 0
	s_delay_alu instid0(VALU_DEP_2) | instskip(NEXT) | instid1(VALU_DEP_4)
	v_add_co_u32 v5, s4, s24, v5
	v_lshlrev_b64 v[1:2], 1, v[1:2]
	v_add_co_ci_u32_e64 v6, null, s25, 0, s4
	s_delay_alu instid0(VALU_DEP_4) | instskip(SKIP_1) | instid1(VALU_DEP_3)
	v_lshlrev_b64 v[3:4], 1, v[3:4]
	s_or_b32 s4, s29, 0x60
	v_add_co_u32 v121, vcc_lo, v5, v1
	s_delay_alu instid0(VALU_DEP_3) | instskip(NEXT) | instid1(VALU_DEP_3)
	v_add_co_ci_u32_e32 v122, vcc_lo, v6, v2, vcc_lo
	v_add_co_u32 v123, vcc_lo, v5, v3
	s_delay_alu instid0(VALU_DEP_4)
	v_add_co_ci_u32_e32 v124, vcc_lo, v6, v4, vcc_lo
	s_clause 0x19
	global_load_b128 v[89:92], v[121:122], off
	global_load_b128 v[93:96], v[121:122], off offset:256
	global_load_b128 v[97:100], v[123:124], off
	global_load_b128 v[101:104], v[123:124], off offset:256
	global_load_b128 v[81:84], v[121:122], off offset:512
	;; [unrolled: 1-line block ×23, first 2 shown]
	s_ashr_i32 s5, s4, 4
	s_cmp_lt_i32 s4, s28
	ds_load_b128 v[105:108], v215
	ds_load_b128 v[109:112], v215 offset:1024
	s_cselect_b32 s4, s5, s16
	ds_load_b128 v[113:116], v215 offset:2048
	ds_load_b128 v[117:120], v215 offset:3072
	s_ashr_i32 s5, s4, 31
	ds_load_b128 v[143:146], v215 offset:4096
	ds_load_b128 v[147:150], v215 offset:5120
	s_lshl_b64 s[6:7], s[4:5], 2
	ds_load_b128 v[151:154], v215 offset:6144
	ds_load_b128 v[155:158], v215 offset:7168
	s_add_u32 s18, s35, s6
	s_addc_u32 s19, s36, s7
	s_or_b32 s5, s29, 0x70
	ds_load_b128 v[159:162], v215 offset:8192
	ds_load_b128 v[163:166], v215 offset:9216
	s_ashr_i32 s6, s5, 4
	s_cmp_lt_i32 s5, s28
	s_clause 0x1
	global_load_b128 v[167:170], v[123:124], off offset:3072
	global_load_b128 v[171:174], v[123:124], off offset:3328
	s_cselect_b32 s8, s6, s16
	s_mov_b32 s4, 0
	s_ashr_i32 s9, s8, 31
	s_mov_b32 s5, s4
	s_lshl_b64 s[8:9], s[8:9], 2
	s_mov_b32 s6, s4
	s_add_u32 s20, s35, s8
	s_addc_u32 s21, s36, s9
	s_clause 0x1
	s_load_b32 s41, s[18:19], 0x0
	s_load_b32 s46, s[20:21], 0x0
	s_clause 0x3
	global_load_b128 v[175:178], v[121:122], off offset:3584
	global_load_b128 v[179:182], v[121:122], off offset:3840
	;; [unrolled: 1-line block ×4, first 2 shown]
	s_or_b32 s8, s29, 0x80
	s_mov_b32 s7, s4
	s_ashr_i32 s9, s8, 4
	s_cmp_lt_i32 s8, s28
	s_mov_b32 s8, s4
	s_cselect_b32 s10, s9, s16
	s_mov_b32 s9, s4
	s_ashr_i32 s11, s10, 31
	s_delay_alu instid0(SALU_CYCLE_1)
	s_lshl_b64 s[24:25], s[10:11], 2
	s_mov_b32 s10, s4
	s_add_u32 s24, s35, s24
	s_addc_u32 s25, s36, s25
	s_or_b32 s11, s29, 0x90
	s_load_b32 s47, s[24:25], 0x0
	s_ashr_i32 s26, s11, 4
	s_cmp_lt_i32 s11, s28
	s_mov_b32 s11, s4
	s_cselect_b32 s26, s26, s16
	v_mov_b32_e32 v136, s11
	s_ashr_i32 s27, s26, 31
	v_dual_mov_b32 v135, s10 :: v_dual_mov_b32 v134, s9
	v_dual_mov_b32 v133, s8 :: v_dual_mov_b32 v132, s7
	;; [unrolled: 1-line block ×3, first 2 shown]
	v_mov_b32_e32 v129, s4
	s_lshl_b64 s[4:5], s[26:27], 2
	s_waitcnt lgkmcnt(0)
	s_mul_hi_i32 s7, s38, s17
	s_add_u32 s26, s35, s4
	s_addc_u32 s27, s36, s5
	s_or_b32 s4, s29, 0xa0
	s_load_b32 s40, s[26:27], 0x0
	s_ashr_i32 s5, s4, 4
	s_cmp_lt_i32 s4, s28
	s_cselect_b32 s4, s5, s16
	s_delay_alu instid0(SALU_CYCLE_1) | instskip(NEXT) | instid1(SALU_CYCLE_1)
	s_ashr_i32 s5, s4, 31
	s_lshl_b64 s[4:5], s[4:5], 2
	s_delay_alu instid0(SALU_CYCLE_1)
	s_add_u32 s42, s35, s4
	s_addc_u32 s43, s36, s5
	s_or_b32 s4, s29, 0xb0
	s_mul_hi_i32 s5, s39, s17
	s_ashr_i32 s6, s4, 4
	s_cmp_lt_i32 s4, s28
	s_mul_i32 s4, s39, s17
	s_cselect_b32 s8, s6, s16
	s_mul_i32 s6, s38, s17
	s_ashr_i32 s9, s8, 31
	s_delay_alu instid0(SALU_CYCLE_1)
	s_lshl_b64 s[10:11], s[8:9], 2
	s_mul_hi_i32 s9, s37, s17
	s_add_u32 s44, s35, s10
	s_addc_u32 s45, s36, s11
	s_or_b32 s10, s29, 0xc0
	s_mul_i32 s8, s37, s17
	s_ashr_i32 s37, s10, 4
	s_cmp_lt_i32 s10, s28
	s_mul_hi_i32 s11, s13, s17
	s_cselect_b32 s38, s37, s16
	s_mul_i32 s10, s13, s17
	s_ashr_i32 s39, s38, 31
	s_mul_hi_i32 s13, s12, s17
	s_lshl_b64 s[38:39], s[38:39], 2
	s_mul_i32 s12, s12, s17
	s_add_u32 s20, s35, s38
	s_addc_u32 s21, s36, s39
	s_load_b32 s39, s[42:43], 0x0
	s_or_b32 s18, s29, 0xd0
	s_mul_hi_i32 s27, s47, s17
	s_ashr_i32 s19, s18, 4
	s_cmp_lt_i32 s18, s28
	s_mul_i32 s18, s15, s17
	s_cselect_b32 s24, s19, s16
	s_mul_hi_i32 s19, s15, s17
	s_ashr_i32 s25, s24, 31
	s_mul_i32 s26, s47, s17
	s_lshl_b64 s[24:25], s[24:25], 2
	s_delay_alu instid0(SALU_CYCLE_1)
	s_add_u32 s24, s35, s24
	s_addc_u32 s25, s36, s25
	s_or_b32 s42, s29, 0xe0
	s_clause 0x2
	s_load_b32 s38, s[44:45], 0x0
	s_load_b32 s37, s[20:21], 0x0
	;; [unrolled: 1-line block ×3, first 2 shown]
	s_ashr_i32 s43, s42, 4
	s_cmp_lt_i32 s42, s28
	s_mul_hi_i32 s25, s46, s17
	s_cselect_b32 s42, s43, s16
	s_mul_i32 s24, s46, s17
	s_ashr_i32 s43, s42, 31
	s_mul_hi_i32 s21, s41, s17
	s_lshl_b64 s[42:43], s[42:43], 2
	s_mul_i32 s20, s41, s17
	s_add_u32 s42, s35, s42
	s_addc_u32 s43, s36, s43
	s_or_b32 s46, s29, 0xf0
	s_waitcnt lgkmcnt(0)
	s_mul_hi_i32 s41, s40, s17
	s_ashr_i32 s47, s46, 4
	s_cmp_lt_i32 s46, s28
	s_mul_i32 s40, s40, s17
	s_cselect_b32 s46, s47, s16
	s_mul_hi_i32 s45, s39, s17
	s_ashr_i32 s47, s46, 31
	s_mul_hi_i32 s51, s15, s17
	s_lshl_b64 s[46:47], s[46:47], 2
	s_mul_i32 s50, s15, s17
	s_add_u32 s46, s35, s46
	s_addc_u32 s47, s36, s47
	s_add_u32 s15, s22, s2
	s_addc_u32 s16, s23, s3
	v_add_co_u32 v216, s15, s15, v125
	s_delay_alu instid0(VALU_DEP_1) | instskip(SKIP_2) | instid1(VALU_DEP_2)
	v_add_co_ci_u32_e64 v217, null, s16, 0, s15
	s_lshl_b64 s[2:3], s[4:5], 1
	s_lshl_b64 s[4:5], s[6:7], 1
	v_add_co_u32 v125, vcc_lo, v216, s2
	s_delay_alu instid0(VALU_DEP_2)
	v_add_co_ci_u32_e32 v126, vcc_lo, s3, v217, vcc_lo
	v_add_co_u32 v199, vcc_lo, v216, s4
	s_lshl_b64 s[6:7], s[8:9], 1
	v_add_co_ci_u32_e32 v200, vcc_lo, s5, v217, vcc_lo
	s_lshl_b64 s[8:9], s[10:11], 1
	s_lshl_b64 s[10:11], s[12:13], 1
	;; [unrolled: 1-line block ×7, first 2 shown]
	s_mul_i32 s44, s39, s17
	s_mul_hi_i32 s39, s38, s17
	s_lshl_b64 s[26:27], s[44:45], 1
	s_mul_i32 s38, s38, s17
	s_mul_hi_i32 s49, s37, s17
	s_mul_i32 s48, s37, s17
	s_lshl_b64 s[36:37], s[38:39], 1
	s_lshl_b64 s[38:39], s[48:49], 1
	s_clause 0x1
	s_load_b32 s15, s[42:43], 0x0
	s_load_b32 s16, s[46:47], 0x0
	s_lshl_b64 s[40:41], s[50:51], 1
	s_waitcnt lgkmcnt(0)
	s_mul_hi_i32 s3, s15, s17
	s_mul_i32 s2, s15, s17
	s_mul_hi_i32 s5, s16, s17
	s_lshl_b64 s[2:3], s[2:3], 1
	s_mul_i32 s4, s16, s17
	s_waitcnt vmcnt(30)
	v_wmma_f32_16x16x16_f16 v[191:198], v[89:96], v[105:112], v[129:136]
	v_add_co_u32 v89, vcc_lo, v216, s6
	v_add_co_ci_u32_e32 v90, vcc_lo, s7, v217, vcc_lo
	v_add_co_u32 v91, vcc_lo, v216, s8
	v_add_co_ci_u32_e32 v92, vcc_lo, s9, v217, vcc_lo
	;; [unrolled: 2-line block ×5, first 2 shown]
	v_add_co_u32 v205, vcc_lo, v216, s20
	s_waitcnt vmcnt(28)
	v_wmma_f32_16x16x16_f16 v[129:136], v[97:104], v[105:112], v[129:136]
	v_add_co_ci_u32_e32 v206, vcc_lo, s21, v217, vcc_lo
	v_add_co_u32 v207, vcc_lo, v216, s22
	v_add_co_ci_u32_e32 v208, vcc_lo, s23, v217, vcc_lo
	v_add_co_u32 v209, vcc_lo, v216, s24
	s_waitcnt vmcnt(26)
	v_wmma_f32_16x16x16_f16 v[191:198], v[81:88], v[113:120], v[191:198]
	s_waitcnt vmcnt(24)
	v_wmma_f32_16x16x16_f16 v[129:136], v[73:80], v[113:120], v[129:136]
	v_add_co_ci_u32_e32 v210, vcc_lo, s25, v217, vcc_lo
	v_add_co_u32 v211, vcc_lo, v216, s26
	v_add_co_ci_u32_e32 v212, vcc_lo, s27, v217, vcc_lo
	v_add_co_u32 v213, vcc_lo, v216, s36
	s_waitcnt vmcnt(22)
	v_wmma_f32_16x16x16_f16 v[191:198], v[65:72], v[143:150], v[191:198]
	s_waitcnt vmcnt(20)
	v_wmma_f32_16x16x16_f16 v[129:136], v[57:64], v[143:150], v[129:136]
	v_add_co_ci_u32_e32 v214, vcc_lo, s37, v217, vcc_lo
	v_add_co_u32 v143, vcc_lo, v216, s38
	s_waitcnt vmcnt(18)
	v_wmma_f32_16x16x16_f16 v[191:198], v[49:56], v[151:158], v[191:198]
	s_waitcnt vmcnt(16)
	v_wmma_f32_16x16x16_f16 v[129:136], v[25:32], v[151:158], v[129:136]
	v_add_co_ci_u32_e32 v144, vcc_lo, s39, v217, vcc_lo
	s_clause 0x15
	global_load_b128 v[121:124], v[125:126], off
	global_load_b128 v[125:128], v[125:126], off offset:16
	global_load_b128 v[113:116], v[199:200], off
	global_load_b128 v[117:120], v[199:200], off offset:16
	global_load_b128 v[105:108], v[89:90], off
	global_load_b128 v[109:112], v[89:90], off offset:16
	global_load_b128 v[97:100], v[91:92], off
	global_load_b128 v[101:104], v[91:92], off offset:16
	global_load_b128 v[89:92], v[93:94], off
	global_load_b128 v[93:96], v[93:94], off offset:16
	global_load_b128 v[81:84], v[201:202], off
	global_load_b128 v[85:88], v[201:202], off offset:16
	global_load_b128 v[73:76], v[203:204], off
	global_load_b128 v[77:80], v[203:204], off offset:16
	global_load_b128 v[65:68], v[205:206], off
	global_load_b128 v[69:72], v[205:206], off offset:16
	global_load_b128 v[57:60], v[207:208], off
	global_load_b128 v[61:64], v[207:208], off offset:16
	global_load_b128 v[49:52], v[209:210], off
	global_load_b128 v[53:56], v[209:210], off offset:16
	global_load_b128 v[25:28], v[211:212], off
	global_load_b128 v[29:32], v[211:212], off offset:16
	s_waitcnt vmcnt(36)
	v_wmma_f32_16x16x16_f16 v[191:198], v[1:8], v[159:166], v[191:198]
	s_clause 0x1
	global_load_b128 v[1:4], v[213:214], off
	global_load_b128 v[5:8], v[213:214], off offset:16
	s_waitcnt vmcnt(36)
	v_wmma_f32_16x16x16_f16 v[129:136], v[9:16], v[159:166], v[129:136]
	s_clause 0x1
	global_load_b128 v[9:12], v[143:144], off
	global_load_b128 v[13:16], v[143:144], off offset:16
	ds_load_b128 v[143:146], v215 offset:10240
	ds_load_b128 v[147:150], v215 offset:11264
	;; [unrolled: 1-line block ×4, first 2 shown]
	v_add_co_u32 v199, vcc_lo, v216, s40
	v_add_co_ci_u32_e32 v200, vcc_lo, s41, v217, vcc_lo
	v_add_co_u32 v159, vcc_lo, v216, s2
	v_add_co_ci_u32_e32 v160, vcc_lo, s3, v217, vcc_lo
	s_lshl_b64 s[2:3], s[4:5], 1
	s_delay_alu instid0(SALU_CYCLE_1)
	v_add_co_u32 v161, vcc_lo, v216, s2
	v_add_co_ci_u32_e32 v162, vcc_lo, s3, v217, vcc_lo
	s_waitcnt vmcnt(36) lgkmcnt(2)
	v_wmma_f32_16x16x16_f16 v[191:198], v[41:48], v[143:150], v[191:198]
	s_waitcnt vmcnt(34)
	v_wmma_f32_16x16x16_f16 v[129:136], v[33:40], v[143:150], v[129:136]
	s_clause 0x3
	global_load_b128 v[33:36], v[199:200], off
	global_load_b128 v[37:40], v[199:200], off offset:16
	global_load_b128 v[41:44], v[159:160], off
	global_load_b128 v[45:48], v[159:160], off offset:16
	v_and_b32_e32 v143, 0xe0, v0
	v_mbcnt_lo_u32_b32 v159, -1, 0
	s_waitcnt vmcnt(36) lgkmcnt(0)
	v_wmma_f32_16x16x16_f16 v[191:198], v[17:24], v[151:158], v[191:198]
	s_clause 0x1
	global_load_b128 v[17:20], v[161:162], off
	global_load_b128 v[21:24], v[161:162], off offset:16
	s_waitcnt vmcnt(36)
	v_wmma_f32_16x16x16_f16 v[129:136], v[167:174], v[151:158], v[129:136]
	v_add_nc_u32_e32 v160, s29, v143
	ds_load_b128 v[143:146], v215 offset:14336
	ds_load_b128 v[147:150], v215 offset:15360
	v_xor_b32_e32 v151, 16, v159
	s_waitcnt vmcnt(0) lgkmcnt(0)
	s_barrier
	v_or_b32_e32 v152, v160, v138
	buffer_gl0_inv
	v_cmp_gt_i32_e32 vcc_lo, 32, v151
	v_or_b32_e32 v153, 2, v152
	v_or_b32_e32 v154, 4, v152
	;; [unrolled: 1-line block ×5, first 2 shown]
	v_cmp_gt_i32_e64 s2, s28, v153
	v_cmp_gt_i32_e64 s3, s28, v154
	;; [unrolled: 1-line block ×3, first 2 shown]
	v_or_b32_e32 v158, 12, v152
	v_cmp_gt_i32_e64 s5, s28, v156
	v_cmp_gt_i32_e64 s6, s28, v157
	v_wmma_f32_16x16x16_f16 v[191:198], v[175:182], v[143:150], v[191:198]
	v_wmma_f32_16x16x16_f16 v[129:136], v[183:190], v[143:150], v[129:136]
	v_cndmask_b32_e32 v151, v159, v151, vcc_lo
	v_cmp_gt_i32_e32 vcc_lo, s28, v152
	v_or_b32_e32 v159, 14, v152
	v_dual_mul_f32 v149, s30, v192 :: v_dual_mul_f32 v150, s30, v191
	v_dual_mul_f32 v147, s30, v194 :: v_dual_mul_f32 v148, s30, v193
	;; [unrolled: 1-line block ×3, first 2 shown]
	s_delay_alu instid0(VALU_DEP_3) | instskip(NEXT) | instid1(VALU_DEP_4)
	v_cndmask_b32_e32 v150, 0xff7fffff, v150, vcc_lo
	v_cndmask_b32_e64 v149, 0xff7fffff, v149, s2
	v_mul_f32_e32 v146, s30, v195
	v_cndmask_b32_e64 v148, 0xff7fffff, v148, s3
	v_cndmask_b32_e64 v147, 0xff7fffff, v147, s4
	v_or_b32_e32 v160, 16, v152
	v_max3_f32 v149, v150, 0xff7fffff, v149
	v_or_b32_e32 v161, 18, v152
	v_dual_mul_f32 v143, s30, v198 :: v_dual_mul_f32 v144, s30, v197
	v_cndmask_b32_e64 v146, 0xff7fffff, v146, s5
	v_cndmask_b32_e64 v145, 0xff7fffff, v145, s6
	v_max3_f32 v147, v149, v148, v147
	v_cmp_gt_i32_e64 s7, s28, v158
	v_cmp_gt_i32_e64 s8, s28, v159
	v_or_b32_e32 v162, 20, v152
	v_or_b32_e32 v163, 22, v152
	v_mul_f32_e32 v175, s30, v129
	v_cndmask_b32_e64 v144, 0xff7fffff, v144, s7
	v_cndmask_b32_e64 v143, 0xff7fffff, v143, s8
	v_max3_f32 v145, v147, v146, v145
	v_cmp_gt_i32_e64 s9, s28, v160
	v_cmp_gt_i32_e64 s10, s28, v161
	v_or_b32_e32 v164, 24, v152
	v_or_b32_e32 v165, 26, v152
	v_dual_mul_f32 v172, s30, v132 :: v_dual_mul_f32 v173, s30, v131
	v_cndmask_b32_e64 v146, 0xff7fffff, v175, s9
	v_cndmask_b32_e64 v147, 0xff7fffff, v174, s10
	v_max3_f32 v143, v145, v144, v143
	v_cmp_gt_i32_e64 s11, s28, v162
	v_cmp_gt_i32_e64 s12, s28, v163
	v_or_b32_e32 v166, 28, v152
	v_or_b32_e32 v167, 30, v152
	v_dual_mul_f32 v170, s30, v134 :: v_dual_mul_f32 v171, s30, v133
	v_cndmask_b32_e64 v144, 0xff7fffff, v173, s11
	v_cndmask_b32_e64 v145, 0xff7fffff, v172, s12
	v_max3_f32 v143, v143, v146, v147
	v_cmp_gt_i32_e64 s13, s28, v164
	v_cmp_gt_i32_e64 s15, s28, v165
	v_dual_mul_f32 v168, s30, v136 :: v_dual_mul_f32 v169, s30, v135
	s_delay_alu instid0(VALU_DEP_4) | instskip(NEXT) | instid1(VALU_DEP_4)
	v_max3_f32 v143, v143, v144, v145
	v_cndmask_b32_e64 v146, 0xff7fffff, v171, s13
	s_delay_alu instid0(VALU_DEP_4) | instskip(SKIP_3) | instid1(VALU_DEP_4)
	v_cndmask_b32_e64 v147, 0xff7fffff, v170, s15
	v_cmp_gt_i32_e64 s16, s28, v166
	v_cmp_gt_i32_e64 s17, s28, v167
	v_lshlrev_b32_e32 v160, 2, v151
	v_max3_f32 v143, v143, v146, v147
	s_delay_alu instid0(VALU_DEP_4) | instskip(NEXT) | instid1(VALU_DEP_4)
	v_cndmask_b32_e64 v144, 0xff7fffff, v169, s16
	v_cndmask_b32_e64 v145, 0xff7fffff, v168, s17
	s_delay_alu instid0(VALU_DEP_1) | instskip(SKIP_3) | instid1(VALU_DEP_1)
	v_max3_f32 v143, v143, v144, v145
	ds_bpermute_b32 v144, v160, v143
	s_waitcnt lgkmcnt(0)
	v_max_f32_e32 v144, v144, v144
	v_max_f32_e32 v159, v143, v144
	s_delay_alu instid0(VALU_DEP_1) | instskip(SKIP_4) | instid1(VALU_DEP_4)
	v_fma_f32 v145, s30, v193, -v159
	v_fma_f32 v146, s30, v194, -v159
	;; [unrolled: 1-line block ×5, first 2 shown]
	v_dual_mul_f32 v145, 0x3fb8aa3b, v145 :: v_dual_mul_f32 v146, 0x3fb8aa3b, v146
	s_delay_alu instid0(VALU_DEP_4) | instskip(SKIP_1) | instid1(VALU_DEP_4)
	v_mul_f32_e32 v132, 0x3fb8aa3b, v132
	v_fma_f32 v148, s30, v195, -v159
	v_mul_f32_e32 v144, 0x3fb8aa3b, v144
	s_delay_alu instid0(VALU_DEP_4)
	v_exp_f32_e32 v145, v145
	v_exp_f32_e32 v150, v146
	v_fma_f32 v149, s30, v196, -v159
	v_mul_f32_e32 v148, 0x3fb8aa3b, v148
	v_exp_f32_e32 v147, v144
	v_fma_f32 v134, s30, v134, -v159
	v_fma_f32 v151, s30, v197, -v159
	v_mul_f32_e32 v149, 0x3fb8aa3b, v149
	v_exp_f32_e32 v148, v148
	v_fma_f32 v152, s30, v198, -v159
	v_cndmask_b32_e64 v146, 0, v145, s3
	v_cndmask_b32_e64 v145, 0, v150, s4
	v_dual_mul_f32 v143, 0x3fb8aa3b, v143 :: v_dual_mul_f32 v134, 0x3fb8aa3b, v134
	v_mul_f32_e32 v151, 0x3fb8aa3b, v151
	v_exp_f32_e32 v149, v149
	v_fma_f32 v129, s30, v129, -v159
	s_delay_alu instid0(VALU_DEP_3)
	v_exp_f32_e32 v143, v143
	v_mul_f32_e32 v150, 0x3fb8aa3b, v152
	v_exp_f32_e32 v151, v151
	v_cndmask_b32_e64 v148, 0, v148, s5
	v_fma_f32 v130, s30, v130, -v159
	v_mul_f32_e32 v129, 0x3fb8aa3b, v129
	v_exp_f32_e32 v153, v150
	v_fma_f32 v131, s30, v131, -v159
	v_fma_f32 v133, s30, v133, -v159
	v_mul_f32_e32 v130, 0x3fb8aa3b, v130
	v_cndmask_b32_e32 v144, 0, v143, vcc_lo
	v_cndmask_b32_e64 v143, 0, v147, s2
	v_exp_f32_e32 v129, v129
	v_cndmask_b32_e64 v150, 0, v151, s7
	v_mul_f32_e32 v131, 0x3fb8aa3b, v131
	v_add_f32_e32 v147, 0, v144
	v_exp_f32_e32 v130, v130
	v_mul_f32_e32 v133, 0x3fb8aa3b, v133
	v_exp_f32_e32 v132, v132
	v_exp_f32_e32 v131, v131
	v_add_f32_e32 v147, v147, v143
	v_cmp_gt_u32_e64 s2, 16, v142
	v_exp_f32_e32 v133, v133
	s_delay_alu instid0(VALU_DEP_2)
	v_add_f32_e32 v147, v147, v146
	s_waitcnt_depctr 0xfff
	v_cndmask_b32_e64 v154, 0, v131, s11
	v_add_f32_e32 v152, v147, v145
	v_cndmask_b32_e64 v147, 0, v149, s6
	v_exp_f32_e32 v131, v134
	v_cndmask_b32_e64 v156, 0, v133, s13
	s_delay_alu instid0(VALU_DEP_3) | instskip(SKIP_1) | instid1(VALU_DEP_2)
	v_add_f32_e32 v149, v152, v148
	v_cndmask_b32_e64 v152, 0, v129, s9
	v_add_f32_e32 v151, v149, v147
	v_cndmask_b32_e64 v149, 0, v153, s8
	v_cndmask_b32_e64 v153, 0, v132, s12
	v_fma_f32 v132, s30, v136, -v159
	s_delay_alu instid0(TRANS32_DEP_1) | instskip(NEXT) | instid1(VALU_DEP_2)
	v_cndmask_b32_e64 v155, 0, v131, s15
	v_dual_add_f32 v151, v151, v150 :: v_dual_mul_f32 v132, 0x3fb8aa3b, v132
	s_delay_alu instid0(VALU_DEP_1) | instskip(SKIP_2) | instid1(VALU_DEP_4)
	v_add_f32_e32 v129, v151, v149
	v_cndmask_b32_e64 v151, 0, v130, s10
	v_fma_f32 v130, s30, v135, -v159
	v_exp_f32_e32 v131, v132
	s_delay_alu instid0(VALU_DEP_1) | instskip(NEXT) | instid1(VALU_DEP_1)
	v_dual_add_f32 v129, v129, v152 :: v_dual_mul_f32 v130, 0x3fb8aa3b, v130
	v_add_f32_e32 v129, v129, v151
	s_delay_alu instid0(VALU_DEP_2) | instskip(SKIP_3) | instid1(VALU_DEP_1)
	v_exp_f32_e32 v130, v130
	s_waitcnt_depctr 0xfff
	v_cndmask_b32_e64 v157, 0, v131, s17
	v_add_f32_e32 v129, v129, v154
	v_add_f32_e32 v129, v129, v153
	v_cndmask_b32_e64 v158, 0, v130, s16
	s_delay_alu instid0(VALU_DEP_2) | instskip(NEXT) | instid1(VALU_DEP_1)
	v_add_f32_e32 v129, v129, v156
	v_add_f32_e32 v129, v129, v155
	s_delay_alu instid0(VALU_DEP_1) | instskip(NEXT) | instid1(VALU_DEP_1)
	v_add_f32_e32 v129, v129, v158
	v_add_f32_e32 v129, v129, v157
	ds_bpermute_b32 v130, v160, v129
	s_and_saveexec_b32 s3, s2
	s_cbranch_execz .LBB292_12
; %bb.11:
	v_mul_u32_u24_e32 v131, 0x44, v141
	s_delay_alu instid0(VALU_DEP_1) | instskip(SKIP_1) | instid1(VALU_DEP_1)
	v_lshl_add_u32 v131, v140, 2, v131
	s_waitcnt lgkmcnt(0)
	v_dual_add_f32 v129, v129, v130 :: v_dual_add_nc_u32 v130, 0x4000, v131
	ds_store_2addr_b32 v130, v159, v129 offset1:136
.LBB292_12:
	s_or_b32 exec_lo, exec_lo, s3
	v_lshlrev_b32_e32 v129, 2, v140
	s_load_b32 s35, s[0:1], 0x94
	s_waitcnt lgkmcnt(0)
	s_barrier
	buffer_gl0_inv
	v_add_nc_u32_e32 v135, 0x4000, v129
	v_cmp_eq_u32_e32 vcc_lo, 1, v141
	v_cmp_eq_u32_e64 s3, 2, v141
	v_cmp_eq_u32_e64 s4, 3, v141
	;; [unrolled: 1-line block ×3, first 2 shown]
	ds_load_2addr_b32 v[129:130], v135 offset1:17
	ds_load_2addr_b32 v[131:132], v135 offset0:34 offset1:51
	ds_load_2addr_b32 v[133:134], v135 offset0:68 offset1:85
	;; [unrolled: 1-line block ×3, first 2 shown]
	v_cmp_eq_u32_e64 s6, 5, v141
	v_cmp_eq_u32_e64 s7, 7, v141
	s_waitcnt lgkmcnt(3)
	v_max3_f32 v136, v129, 0xff7fffff, v130
	s_waitcnt lgkmcnt(2)
	s_delay_alu instid0(VALU_DEP_1) | instskip(SKIP_1) | instid1(VALU_DEP_1)
	v_max3_f32 v136, v136, v131, v132
	s_waitcnt lgkmcnt(1)
	v_max3_f32 v136, v136, v133, v134
	s_waitcnt lgkmcnt(0)
	s_delay_alu instid0(VALU_DEP_1) | instskip(NEXT) | instid1(VALU_DEP_1)
	v_max3_f32 v136, v136, v159, v160
	v_sub_f32_e32 v142, v130, v136
	ds_load_2addr_b32 v[161:162], v135 offset0:136 offset1:153
	v_sub_f32_e32 v164, v132, v136
	v_mul_f32_e32 v142, 0x3fb8aa3b, v142
	s_delay_alu instid0(VALU_DEP_2) | instskip(NEXT) | instid1(VALU_DEP_2)
	v_mul_f32_e32 v164, 0x3fb8aa3b, v164
	v_exp_f32_e32 v166, v142
	v_sub_f32_e32 v129, v129, v136
	s_delay_alu instid0(VALU_DEP_2) | instskip(NEXT) | instid1(VALU_DEP_1)
	v_exp_f32_e32 v164, v164
	v_mul_f32_e32 v163, 0x3fb8aa3b, v129
	ds_load_2addr_b32 v[129:130], v135 offset0:170 offset1:187
	v_exp_f32_e32 v163, v163
	s_waitcnt lgkmcnt(1)
	s_waitcnt_depctr 0xfff
	v_fma_f32 v142, v163, v161, 0
	v_sub_f32_e32 v161, v134, v136
	s_delay_alu instid0(VALU_DEP_2) | instskip(NEXT) | instid1(VALU_DEP_1)
	v_dual_fmac_f32 v142, v166, v162 :: v_dual_sub_f32 v131, v131, v136
	v_mul_f32_e32 v165, 0x3fb8aa3b, v131
	ds_load_2addr_b32 v[131:132], v135 offset0:204 offset1:221
	v_exp_f32_e32 v165, v165
	s_waitcnt lgkmcnt(1)
	s_waitcnt_depctr 0xfff
	v_fmac_f32_e32 v142, v165, v129
	v_sub_f32_e32 v133, v133, v136
	v_sub_f32_e32 v129, v160, v136
	s_delay_alu instid0(VALU_DEP_2) | instskip(NEXT) | instid1(VALU_DEP_2)
	v_dual_fmac_f32 v142, v164, v130 :: v_dual_mul_f32 v167, 0x3fb8aa3b, v133
	v_mul_f32_e32 v129, 0x3fb8aa3b, v129
	ds_load_2addr_b32 v[133:134], v135 offset0:238 offset1:255
	v_cndmask_b32_e32 v130, v163, v166, vcc_lo
	s_waitcnt lgkmcnt(0)
	s_barrier
	v_exp_f32_e32 v162, v129
	v_sub_f32_e32 v135, v159, v136
	v_mul_f32_e32 v159, 0x3fb8aa3b, v161
	v_exp_f32_e32 v161, v167
	buffer_gl0_inv
	v_exp_f32_e32 v159, v159
	v_fmac_f32_e32 v142, v161, v131
	s_waitcnt_depctr 0xfff
	v_dual_mul_f32 v135, 0x3fb8aa3b, v135 :: v_dual_fmac_f32 v142, v159, v132
	s_delay_alu instid0(VALU_DEP_1) | instskip(SKIP_2) | instid1(VALU_DEP_1)
	v_exp_f32_e32 v160, v135
	s_waitcnt_depctr 0xfff
	v_dual_fmac_f32 v142, v160, v133 :: v_dual_lshlrev_b32 v133, 6, v140
	v_fmac_f32_e32 v142, v162, v134
	s_delay_alu instid0(VALU_DEP_2) | instskip(NEXT) | instid1(VALU_DEP_2)
	v_lshl_or_b32 v135, v141, 11, v133
	v_add_f32_e32 v134, 0x358637bd, v142
	s_delay_alu instid0(VALU_DEP_1) | instskip(SKIP_1) | instid1(VALU_DEP_2)
	v_div_scale_f32 v167, null, v134, v134, 1.0
	v_div_scale_f32 v163, vcc_lo, 1.0, v134, 1.0
	v_rcp_f32_e32 v168, v167
	s_waitcnt_depctr 0xfff
	v_fma_f32 v129, -v167, v168, 1.0
	s_delay_alu instid0(VALU_DEP_1) | instskip(SKIP_2) | instid1(VALU_DEP_2)
	v_fmac_f32_e32 v168, v129, v168
	v_cndmask_b32_e64 v129, v130, v165, s3
	v_cmp_eq_u32_e64 s3, 6, v141
	v_cndmask_b32_e64 v130, v129, v164, s4
	v_lshlrev_b32_e32 v129, 2, v138
	v_mul_f32_e32 v165, v163, v168
	s_delay_alu instid0(VALU_DEP_3) | instskip(NEXT) | instid1(VALU_DEP_3)
	v_cndmask_b32_e64 v161, v130, v161, s5
	v_or_b32_e32 v130, 1, v129
	s_delay_alu instid0(VALU_DEP_3)
	v_fma_f32 v131, -v167, v165, v163
	v_or_b32_e32 v132, 2, v129
	v_cmp_eq_u32_e64 s4, 1, v129
	v_cndmask_b32_e64 v141, v161, v159, s6
	v_cmp_eq_u32_e64 s9, 1, v130
	v_fmac_f32_e32 v165, v131, v168
	v_or_b32_e32 v131, 3, v129
	v_cmp_eq_u32_e64 s10, 1, v132
	v_cndmask_b32_e64 v141, v141, v160, s3
	v_cmp_eq_u32_e64 s5, 2, v129
	v_fma_f32 v159, -v167, v165, v163
	v_cmp_eq_u32_e64 s11, 1, v131
	v_cmp_eq_u32_e64 s16, 2, v131
	v_cndmask_b32_e64 v141, v141, v162, s7
	v_cmp_eq_u32_e64 s12, 2, v130
	v_div_fmas_f32 v159, v159, v168, v165
	v_cmp_eq_u32_e64 s18, 3, v131
	v_cmp_eq_u32_e32 vcc_lo, 3, v129
	v_cmp_eq_u32_e64 s13, 3, v130
	v_cmp_eq_u32_e64 s15, 2, v132
	v_div_fixup_f32 v159, v159, v134, 1.0
	v_lshl_or_b32 v134, v138, 4, v135
	v_cmp_eq_u32_e64 s22, 4, v131
	v_cmp_eq_u32_e64 s3, 4, v129
	;; [unrolled: 1-line block ×3, first 2 shown]
	v_mul_f32_e32 v141, v141, v159
	v_cmp_eq_u32_e64 s19, 4, v130
	v_cmp_eq_u32_e64 s24, 5, v131
	;; [unrolled: 1-line block ×4, first 2 shown]
	v_fma_mixlo_f16 v159, v141, v144, 0
	v_fma_mixlo_f16 v160, v141, v146, 0
	;; [unrolled: 1-line block ×8, first 2 shown]
	v_fma_mixhi_f16 v159, v141, v143, 0
	v_fma_mixhi_f16 v160, v141, v145, 0
	;; [unrolled: 1-line block ×8, first 2 shown]
	ds_store_b128 v134, v[159:162]
	ds_store_b128 v134, v[163:166] offset:1024
	s_waitcnt lgkmcnt(0)
	s_barrier
	buffer_gl0_inv
	ds_load_b128 v[143:146], v135
	ds_load_b128 v[147:150], v135 offset:16
	ds_load_b128 v[151:154], v135 offset:1024
	;; [unrolled: 1-line block ×3, first 2 shown]
	v_cmp_eq_u32_e64 s21, 4, v132
	v_cmp_eq_u32_e64 s27, 6, v131
	;; [unrolled: 1-line block ×10, first 2 shown]
	s_waitcnt lgkmcnt(3)
	v_lshrrev_b32_e32 v141, 16, v143
	s_waitcnt lgkmcnt(2)
	v_lshrrev_b32_e32 v162, 16, v147
	v_lshrrev_b32_e32 v159, 16, v144
	;; [unrolled: 1-line block ×3, first 2 shown]
	s_waitcnt lgkmcnt(1)
	v_lshrrev_b32_e32 v166, 16, v151
	v_cndmask_b32_e64 v174, v143, v141, s4
	v_cndmask_b32_e64 v176, v143, v141, s9
	;; [unrolled: 1-line block ×5, first 2 shown]
	s_waitcnt lgkmcnt(0)
	v_lshrrev_b32_e32 v170, 16, v155
	v_cndmask_b32_e64 v175, v147, v162, s4
	v_cndmask_b32_e64 v177, v147, v162, s9
	;; [unrolled: 1-line block ×19, first 2 shown]
	v_lshrrev_b32_e32 v160, 16, v145
	v_lshrrev_b32_e32 v164, 16, v149
	;; [unrolled: 1-line block ×4, first 2 shown]
	v_cndmask_b32_e64 v176, v178, v144, s15
	v_cndmask_b32_e64 v177, v179, v148, s15
	;; [unrolled: 1-line block ×8, first 2 shown]
	v_cndmask_b32_e32 v155, v166, v159, vcc_lo
	v_cndmask_b32_e32 v166, v170, v163, vcc_lo
	v_cndmask_b32_e64 v170, v174, v159, s13
	v_cndmask_b32_e64 v174, v175, v163, s13
	;; [unrolled: 1-line block ×6, first 2 shown]
	v_cndmask_b32_e32 v144, v144, v167, vcc_lo
	v_cndmask_b32_e32 v147, v147, v171, vcc_lo
	v_cndmask_b32_e64 v148, v148, v167, s13
	v_cndmask_b32_e64 v155, v155, v145, s3
	;; [unrolled: 1-line block ×7, first 2 shown]
	v_lshrrev_b32_e32 v161, 16, v146
	v_lshrrev_b32_e32 v165, 16, v150
	;; [unrolled: 1-line block ×4, first 2 shown]
	v_cndmask_b32_e64 v170, v175, v145, s21
	v_cndmask_b32_e64 v174, v176, v149, s21
	;; [unrolled: 1-line block ×22, first 2 shown]
	v_lshrrev_b32_e32 v169, 16, v154
	v_cndmask_b32_e64 v160, v163, v146, s26
	v_cndmask_b32_e64 v163, v166, v150, s26
	;; [unrolled: 1-line block ×9, first 2 shown]
	v_perm_b32 v146, v143, v141, 0x5040100
	v_cndmask_b32_e64 v141, v183, v156, s15
	v_cndmask_b32_e64 v143, v181, v156, s12
	;; [unrolled: 1-line block ×4, first 2 shown]
	v_perm_b32 v144, v159, v149, 0x5040100
	v_cndmask_b32_e64 v149, v162, v167, s17
	v_cndmask_b32_e64 v151, v151, v167, s18
	v_cndmask_b32_e64 v152, v152, v171, s18
	v_cndmask_b32_e64 v141, v141, v171, s17
	v_cndmask_b32_e64 v143, v143, v171, s13
	v_cndmask_b32_e64 v149, v149, v153, s21
	v_cndmask_b32_e64 v151, v151, v153, s22
	v_cndmask_b32_e64 v152, v152, v157, s22
	v_cndmask_b32_e64 v141, v141, v157, s21
	v_cndmask_b32_e64 v143, v143, v157, s19
	v_cndmask_b32_e64 v149, v149, v168, s23
	v_cndmask_b32_e64 v151, v151, v168, s24
	v_cndmask_b32_e64 v152, v152, v172, s24
	v_cndmask_b32_e64 v141, v141, v172, s23
	v_cndmask_b32_e64 v143, v143, v172, s20
	v_lshrrev_b32_e32 v173, 16, v158
	v_cndmask_b32_e64 v149, v149, v154, s26
	v_cndmask_b32_e64 v151, v151, v154, s27
	;; [unrolled: 1-line block ×13, first 2 shown]
	v_perm_b32 v145, v160, v155, 0x5040100
	v_perm_b32 v143, v148, v147, 0x5040100
	;; [unrolled: 1-line block ×6, first 2 shown]
	s_mul_i32 s7, s33, 7
	s_mov_b32 s3, exec_lo
	ds_store_b128 v134, v[143:146]
	ds_store_b128 v134, v[147:150] offset:1024
	v_cmpx_gt_u32_e32 7, v0
	s_cbranch_execz .LBB292_14
; %bb.13:
	s_mul_i32 s4, s7, s34
	s_load_b128 s[8:11], s[0:1], 0x58
	v_add3_u32 v143, s4, s31, v140
	s_delay_alu instid0(VALU_DEP_1) | instskip(NEXT) | instid1(VALU_DEP_1)
	v_mad_u64_u32 v[140:141], null, v143, s35, s[14:15]
	v_ashrrev_i32_e32 v141, 31, v140
	s_delay_alu instid0(VALU_DEP_1) | instskip(SKIP_1) | instid1(VALU_DEP_1)
	v_lshlrev_b64 v[140:141], 2, v[140:141]
	s_waitcnt lgkmcnt(0)
	v_add_co_u32 v143, vcc_lo, s10, v140
	s_delay_alu instid0(VALU_DEP_2)
	v_add_co_ci_u32_e32 v144, vcc_lo, s11, v141, vcc_lo
	v_add_co_u32 v140, vcc_lo, s8, v140
	v_add_co_ci_u32_e32 v141, vcc_lo, s9, v141, vcc_lo
	global_store_b32 v[143:144], v136, off
	global_store_b32 v[140:141], v142, off
.LBB292_14:
	s_or_b32 exec_lo, exec_lo, s3
	s_waitcnt lgkmcnt(0)
	s_waitcnt_vscnt null, 0x0
	s_barrier
	buffer_gl0_inv
	ds_load_b128 v[148:151], v133
	ds_load_b128 v[152:155], v133 offset:16
	ds_load_b128 v[160:163], v133 offset:1040
	ds_load_b128 v[156:159], v133 offset:1024
	ds_load_b128 v[168:171], v133 offset:2064
	ds_load_b128 v[164:167], v133 offset:2048
	v_cmp_eq_u32_e32 vcc_lo, 1, v132
	v_mov_b32_e32 v140, 0
	ds_load_b128 v[176:179], v133 offset:3088
	ds_load_b128 v[172:175], v133 offset:3072
	;; [unrolled: 1-line block ×4, first 2 shown]
	v_cmp_eq_u32_e64 s3, 1, v129
	v_cmp_eq_u32_e64 s4, 1, v131
	;; [unrolled: 1-line block ×3, first 2 shown]
	v_mov_b32_e32 v141, v140
	v_mov_b32_e32 v142, v140
	;; [unrolled: 1-line block ×7, first 2 shown]
	v_cmp_eq_u32_e64 s6, 2, v129
	s_waitcnt lgkmcnt(8)
	s_delay_alu instid0(VALU_DEP_2)
	v_wmma_f32_16x16x16_f16 v[140:147], v[121:128], v[148:155], v[140:147]
	ds_load_b128 v[125:128], v133 offset:5136
	ds_load_b128 v[121:124], v133 offset:5120
	s_waitcnt lgkmcnt(8)
	v_wmma_f32_16x16x16_f16 v[140:147], v[113:120], v[156:163], v[140:147]
	ds_load_b128 v[117:120], v133 offset:6160
	ds_load_b128 v[113:116], v133 offset:6144
	s_waitcnt lgkmcnt(8)
	v_wmma_f32_16x16x16_f16 v[140:147], v[105:112], v[164:171], v[140:147]
	ds_load_b128 v[109:112], v133 offset:7184
	ds_load_b128 v[105:108], v133 offset:7168
	s_waitcnt lgkmcnt(8)
	v_wmma_f32_16x16x16_f16 v[140:147], v[97:104], v[172:179], v[140:147]
	ds_load_b128 v[101:104], v133 offset:8208
	ds_load_b128 v[97:100], v133 offset:8192
	s_waitcnt lgkmcnt(8)
	v_wmma_f32_16x16x16_f16 v[140:147], v[89:96], v[180:187], v[140:147]
	ds_load_b128 v[93:96], v133 offset:9232
	ds_load_b128 v[89:92], v133 offset:9216
	s_waitcnt lgkmcnt(8)
	v_wmma_f32_16x16x16_f16 v[140:147], v[81:88], v[121:128], v[140:147]
	ds_load_b128 v[85:88], v133 offset:10256
	ds_load_b128 v[81:84], v133 offset:10240
	s_waitcnt lgkmcnt(8)
	v_wmma_f32_16x16x16_f16 v[140:147], v[73:80], v[113:120], v[140:147]
	ds_load_b128 v[77:80], v133 offset:11280
	ds_load_b128 v[73:76], v133 offset:11264
	s_waitcnt lgkmcnt(8)
	v_wmma_f32_16x16x16_f16 v[140:147], v[65:72], v[105:112], v[140:147]
	ds_load_b128 v[69:72], v133 offset:12304
	ds_load_b128 v[65:68], v133 offset:12288
	s_waitcnt lgkmcnt(8)
	v_wmma_f32_16x16x16_f16 v[140:147], v[57:64], v[97:104], v[140:147]
	ds_load_b128 v[61:64], v133 offset:13328
	ds_load_b128 v[57:60], v133 offset:13312
	s_waitcnt lgkmcnt(8)
	v_wmma_f32_16x16x16_f16 v[140:147], v[49:56], v[89:96], v[140:147]
	ds_load_b128 v[53:56], v133 offset:14352
	ds_load_b128 v[49:52], v133 offset:14336
	s_waitcnt lgkmcnt(8)
	v_wmma_f32_16x16x16_f16 v[140:147], v[25:32], v[81:88], v[140:147]
	ds_load_b128 v[29:32], v133 offset:15376
	ds_load_b128 v[25:28], v133 offset:15360
	s_waitcnt lgkmcnt(0)
	s_barrier
	buffer_gl0_inv
	v_wmma_f32_16x16x16_f16 v[140:147], v[1:8], v[73:80], v[140:147]
	s_delay_alu instid0(VALU_DEP_1) | instskip(NEXT) | instid1(VALU_DEP_1)
	v_wmma_f32_16x16x16_f16 v[140:147], v[9:16], v[65:72], v[140:147]
	v_wmma_f32_16x16x16_f16 v[140:147], v[33:40], v[57:64], v[140:147]
	s_delay_alu instid0(VALU_DEP_1) | instskip(NEXT) | instid1(VALU_DEP_1)
	v_wmma_f32_16x16x16_f16 v[140:147], v[41:48], v[49:56], v[140:147]
	v_wmma_f32_16x16x16_f16 v[140:147], v[17:24], v[25:32], v[140:147]
	s_delay_alu instid0(VALU_DEP_1) | instskip(NEXT) | instid1(VALU_DEP_2)
	v_cvt_f16_f32_e64 v1, v140
	v_cvt_f16_f32_e64 v2, v141
	s_delay_alu instid0(VALU_DEP_3) | instskip(NEXT) | instid1(VALU_DEP_4)
	v_cvt_f16_f32_e64 v3, v142
	v_cvt_f16_f32_e64 v4, v143
	;; [unrolled: 1-line block ×6, first 2 shown]
	v_pack_b32_f16 v1, v1, v2
	v_pack_b32_f16 v2, v3, v4
	;; [unrolled: 1-line block ×3, first 2 shown]
	s_delay_alu instid0(VALU_DEP_4)
	v_pack_b32_f16 v4, v7, v8
	ds_store_b128 v134, v[1:4]
	s_waitcnt lgkmcnt(0)
	s_barrier
	buffer_gl0_inv
	ds_load_b128 v[1:4], v135
	ds_load_b128 v[5:8], v135 offset:16
	s_waitcnt lgkmcnt(1)
	v_lshrrev_b32_e32 v9, 16, v1
	s_waitcnt lgkmcnt(0)
	v_lshrrev_b32_e32 v13, 16, v5
	v_lshrrev_b32_e32 v10, 16, v2
	;; [unrolled: 1-line block ×4, first 2 shown]
	v_cndmask_b32_e64 v17, v1, v9, s3
	v_cndmask_b32_e64 v18, v5, v13, s3
	;; [unrolled: 1-line block ×3, first 2 shown]
	v_cmp_eq_u32_e64 s3, 2, v130
	v_cndmask_b32_e64 v20, v5, v13, s5
	v_cndmask_b32_e32 v21, v1, v9, vcc_lo
	v_cndmask_b32_e32 v22, v5, v13, vcc_lo
	v_cndmask_b32_e64 v1, v1, v9, s4
	v_cndmask_b32_e64 v5, v5, v13, s4
	v_cmp_eq_u32_e32 vcc_lo, 2, v132
	v_cmp_eq_u32_e64 s4, 2, v131
	v_cndmask_b32_e64 v9, v17, v2, s6
	v_cndmask_b32_e64 v13, v18, v6, s6
	;; [unrolled: 1-line block ×4, first 2 shown]
	v_cndmask_b32_e32 v19, v21, v2, vcc_lo
	v_cmp_eq_u32_e64 s3, 3, v132
	v_cndmask_b32_e32 v20, v22, v6, vcc_lo
	v_cndmask_b32_e64 v1, v1, v2, s4
	v_cmp_eq_u32_e32 vcc_lo, 3, v131
	v_cmp_eq_u32_e64 s5, 3, v129
	v_cndmask_b32_e64 v2, v5, v6, s4
	v_cmp_eq_u32_e64 s4, 3, v130
	v_cmp_eq_u32_e64 s6, 4, v129
	v_cndmask_b32_e32 v1, v1, v10, vcc_lo
	v_cndmask_b32_e64 v5, v9, v10, s5
	v_cndmask_b32_e64 v6, v13, v14, s5
	;; [unrolled: 1-line block ×3, first 2 shown]
	v_cmp_eq_u32_e64 s5, 4, v130
	v_cndmask_b32_e64 v13, v18, v14, s4
	v_cndmask_b32_e64 v17, v19, v10, s3
	;; [unrolled: 1-line block ×3, first 2 shown]
	v_cndmask_b32_e32 v2, v2, v14, vcc_lo
	v_cmp_eq_u32_e32 vcc_lo, 4, v132
	v_cmp_eq_u32_e64 s4, 4, v131
	v_lshrrev_b32_e32 v15, 16, v7
	v_cndmask_b32_e64 v5, v5, v3, s6
	v_cndmask_b32_e64 v6, v6, v7, s6
	v_cndmask_b32_e32 v14, v18, v7, vcc_lo
	v_cndmask_b32_e64 v9, v9, v3, s5
	v_cndmask_b32_e64 v10, v13, v7, s5
	v_cndmask_b32_e32 v13, v17, v3, vcc_lo
	v_cmp_eq_u32_e64 s3, 5, v132
	v_cndmask_b32_e64 v1, v1, v3, s4
	v_cmp_eq_u32_e32 vcc_lo, 5, v131
	v_cmp_eq_u32_e64 s5, 5, v129
	v_cndmask_b32_e64 v2, v2, v7, s4
	v_cmp_eq_u32_e64 s4, 5, v130
	v_cmp_eq_u32_e64 s6, 6, v129
	v_lshrrev_b32_e32 v12, 16, v4
	v_cndmask_b32_e64 v3, v5, v11, s5
	v_cndmask_b32_e64 v5, v6, v15, s5
	;; [unrolled: 1-line block ×3, first 2 shown]
	v_cmp_eq_u32_e64 s5, 6, v130
	v_cndmask_b32_e64 v7, v10, v15, s4
	v_cndmask_b32_e64 v9, v13, v11, s3
	;; [unrolled: 1-line block ×3, first 2 shown]
	v_cndmask_b32_e32 v1, v1, v11, vcc_lo
	v_cndmask_b32_e32 v2, v2, v15, vcc_lo
	v_cmp_eq_u32_e32 vcc_lo, 6, v132
	v_cmp_eq_u32_e64 s3, 6, v131
	v_lshrrev_b32_e32 v16, 16, v8
	v_cndmask_b32_e64 v3, v3, v4, s6
	v_cndmask_b32_e64 v5, v5, v8, s6
	v_cndmask_b32_e32 v9, v9, v4, vcc_lo
	v_cndmask_b32_e64 v6, v6, v4, s5
	v_cndmask_b32_e64 v7, v7, v8, s5
	v_cmp_eq_u32_e64 s4, 7, v132
	v_cndmask_b32_e32 v10, v10, v8, vcc_lo
	v_cndmask_b32_e64 v1, v1, v4, s3
	v_cmp_eq_u32_e32 vcc_lo, 7, v131
	v_cndmask_b32_e64 v2, v2, v8, s3
	v_cmp_eq_u32_e64 s3, 7, v129
	v_cmp_eq_u32_e64 s5, 7, v130
	v_cndmask_b32_e32 v1, v1, v12, vcc_lo
	s_delay_alu instid0(VALU_DEP_4) | instskip(NEXT) | instid1(VALU_DEP_4)
	v_cndmask_b32_e32 v2, v2, v16, vcc_lo
	v_cndmask_b32_e64 v8, v3, v12, s3
	s_delay_alu instid0(VALU_DEP_4)
	v_cndmask_b32_e64 v6, v6, v12, s5
	v_cndmask_b32_e64 v3, v9, v12, s4
	;; [unrolled: 1-line block ×5, first 2 shown]
	v_perm_b32 v4, v2, v1, 0x5040100
	s_mov_b32 s3, exec_lo
	v_perm_b32 v3, v9, v3, 0x5040100
	v_perm_b32 v2, v7, v6, 0x5040100
	;; [unrolled: 1-line block ×3, first 2 shown]
	ds_store_b128 v134, v[1:4]
	s_waitcnt lgkmcnt(0)
	s_barrier
	buffer_gl0_inv
	v_cmpx_gt_u32_e32 32, v0
	s_cbranch_execz .LBB292_2
; %bb.15:
	s_load_b64 s[4:5], s[0:1], 0x68
	v_lshlrev_b32_e32 v0, 10, v0
	v_add_nc_u32_e32 v2, s31, v138
	v_lshlrev_b32_e32 v3, 4, v139
	s_lshl_b32 s0, s35, 7
	s_delay_alu instid0(SALU_CYCLE_1) | instskip(NEXT) | instid1(VALU_DEP_2)
	s_mul_i32 s1, s0, s34
	v_mul_lo_u32 v1, v2, s0
	s_delay_alu instid0(VALU_DEP_2)
	v_and_or_b32 v0, 0x3800, v0, v3
	v_add_nc_u32_e32 v3, 2, v2
	s_mul_i32 s6, s1, s7
	v_add_nc_u32_e32 v4, 4, v2
	s_ashr_i32 s7, s6, 31
	v_lshl_or_b32 v11, v138, 6, v0
	s_lshl_b64 s[6:7], s[6:7], 1
	v_mul_lo_u32 v15, v3, s0
	v_mul_lo_u32 v17, v4, s0
	v_ashrrev_i32_e32 v2, 31, v1
	ds_load_b128 v[3:6], v11
	ds_load_b128 v[7:10], v11 offset:128
	ds_load_b128 v[11:14], v11 offset:256
	s_waitcnt lgkmcnt(0)
	s_add_u32 s1, s4, s6
	s_addc_u32 s3, s5, s7
	s_lshl_b32 s4, s14, 7
	v_ashrrev_i32_e32 v16, 31, v15
	s_ashr_i32 s5, s4, 31
	v_lshlrev_b64 v[19:20], 1, v[1:2]
	s_lshl_b64 s[4:5], s[4:5], 1
	v_ashrrev_i32_e32 v18, 31, v17
	s_add_u32 s1, s1, s4
	s_addc_u32 s3, s3, s5
	v_add_co_u32 v1, s1, s1, v137
	s_delay_alu instid0(VALU_DEP_1) | instskip(SKIP_1) | instid1(VALU_DEP_3)
	v_add_co_ci_u32_e64 v2, null, s3, 0, s1
	v_lshlrev_b64 v[15:16], 1, v[15:16]
	v_add_co_u32 v19, vcc_lo, v1, v19
	v_lshlrev_b64 v[17:18], 1, v[17:18]
	s_delay_alu instid0(VALU_DEP_4) | instskip(NEXT) | instid1(VALU_DEP_4)
	v_add_co_ci_u32_e32 v20, vcc_lo, v2, v20, vcc_lo
	v_add_co_u32 v15, vcc_lo, v1, v15
	v_add_co_ci_u32_e32 v16, vcc_lo, v2, v16, vcc_lo
	s_delay_alu instid0(VALU_DEP_4)
	v_add_co_u32 v17, vcc_lo, v1, v17
	v_add_co_ci_u32_e32 v18, vcc_lo, v2, v18, vcc_lo
	s_clause 0x2
	global_store_b128 v[19:20], v[3:6], off
	global_store_b128 v[15:16], v[7:10], off
	;; [unrolled: 1-line block ×3, first 2 shown]
	s_and_b32 exec_lo, exec_lo, s2
	s_cbranch_execz .LBB292_2
; %bb.16:
	ds_load_b128 v[3:6], v0 offset:384
	s_add_i32 s1, s31, 6
	s_delay_alu instid0(SALU_CYCLE_1) | instskip(NEXT) | instid1(SALU_CYCLE_1)
	s_mul_i32 s0, s1, s0
	s_ashr_i32 s1, s0, 31
	s_delay_alu instid0(SALU_CYCLE_1) | instskip(NEXT) | instid1(SALU_CYCLE_1)
	s_lshl_b64 s[0:1], s[0:1], 1
	v_add_co_u32 v0, vcc_lo, v1, s0
	v_add_co_ci_u32_e32 v1, vcc_lo, s1, v2, vcc_lo
	s_waitcnt lgkmcnt(0)
	global_store_b128 v[0:1], v[3:6], off
	s_nop 0
	s_sendmsg sendmsg(MSG_DEALLOC_VGPRS)
	s_endpgm
	.section	.rodata,"a",@progbits
	.p2align	6, 0x0
	.amdhsa_kernel _Z39paged_attention_ll4mi_QKV_mfma16_kernelIDF16_DF16_LN4vllm18Fp8KVCacheDataTypeE0EDF16_Li16ELi128ELi256ELb0ELi7EL8MFMAType0EEvPKT_PKT0_S8_ifPKiSA_SA_iPKfiiiPfSD_PS3_PT2_iSC_SC_
		.amdhsa_group_segment_fixed_size 17472
		.amdhsa_private_segment_fixed_size 0
		.amdhsa_kernarg_size 400
		.amdhsa_user_sgpr_count 13
		.amdhsa_user_sgpr_dispatch_ptr 0
		.amdhsa_user_sgpr_queue_ptr 0
		.amdhsa_user_sgpr_kernarg_segment_ptr 1
		.amdhsa_user_sgpr_dispatch_id 0
		.amdhsa_user_sgpr_private_segment_size 0
		.amdhsa_wavefront_size32 1
		.amdhsa_uses_dynamic_stack 0
		.amdhsa_enable_private_segment 0
		.amdhsa_system_sgpr_workgroup_id_x 1
		.amdhsa_system_sgpr_workgroup_id_y 1
		.amdhsa_system_sgpr_workgroup_id_z 1
		.amdhsa_system_sgpr_workgroup_info 0
		.amdhsa_system_vgpr_workitem_id 0
		.amdhsa_next_free_vgpr 218
		.amdhsa_next_free_sgpr 52
		.amdhsa_reserve_vcc 1
		.amdhsa_float_round_mode_32 0
		.amdhsa_float_round_mode_16_64 0
		.amdhsa_float_denorm_mode_32 3
		.amdhsa_float_denorm_mode_16_64 3
		.amdhsa_dx10_clamp 1
		.amdhsa_ieee_mode 1
		.amdhsa_fp16_overflow 0
		.amdhsa_workgroup_processor_mode 1
		.amdhsa_memory_ordered 1
		.amdhsa_forward_progress 0
		.amdhsa_shared_vgpr_count 0
		.amdhsa_exception_fp_ieee_invalid_op 0
		.amdhsa_exception_fp_denorm_src 0
		.amdhsa_exception_fp_ieee_div_zero 0
		.amdhsa_exception_fp_ieee_overflow 0
		.amdhsa_exception_fp_ieee_underflow 0
		.amdhsa_exception_fp_ieee_inexact 0
		.amdhsa_exception_int_div_zero 0
	.end_amdhsa_kernel
	.section	.text._Z39paged_attention_ll4mi_QKV_mfma16_kernelIDF16_DF16_LN4vllm18Fp8KVCacheDataTypeE0EDF16_Li16ELi128ELi256ELb0ELi7EL8MFMAType0EEvPKT_PKT0_S8_ifPKiSA_SA_iPKfiiiPfSD_PS3_PT2_iSC_SC_,"axG",@progbits,_Z39paged_attention_ll4mi_QKV_mfma16_kernelIDF16_DF16_LN4vllm18Fp8KVCacheDataTypeE0EDF16_Li16ELi128ELi256ELb0ELi7EL8MFMAType0EEvPKT_PKT0_S8_ifPKiSA_SA_iPKfiiiPfSD_PS3_PT2_iSC_SC_,comdat
.Lfunc_end292:
	.size	_Z39paged_attention_ll4mi_QKV_mfma16_kernelIDF16_DF16_LN4vllm18Fp8KVCacheDataTypeE0EDF16_Li16ELi128ELi256ELb0ELi7EL8MFMAType0EEvPKT_PKT0_S8_ifPKiSA_SA_iPKfiiiPfSD_PS3_PT2_iSC_SC_, .Lfunc_end292-_Z39paged_attention_ll4mi_QKV_mfma16_kernelIDF16_DF16_LN4vllm18Fp8KVCacheDataTypeE0EDF16_Li16ELi128ELi256ELb0ELi7EL8MFMAType0EEvPKT_PKT0_S8_ifPKiSA_SA_iPKfiiiPfSD_PS3_PT2_iSC_SC_
                                        ; -- End function
	.section	.AMDGPU.csdata,"",@progbits
; Kernel info:
; codeLenInByte = 8108
; NumSgprs: 54
; NumVgprs: 218
; ScratchSize: 0
; MemoryBound: 0
; FloatMode: 240
; IeeeMode: 1
; LDSByteSize: 17472 bytes/workgroup (compile time only)
; SGPRBlocks: 6
; VGPRBlocks: 27
; NumSGPRsForWavesPerEU: 54
; NumVGPRsForWavesPerEU: 218
; Occupancy: 6
; WaveLimiterHint : 1
; COMPUTE_PGM_RSRC2:SCRATCH_EN: 0
; COMPUTE_PGM_RSRC2:USER_SGPR: 13
; COMPUTE_PGM_RSRC2:TRAP_HANDLER: 0
; COMPUTE_PGM_RSRC2:TGID_X_EN: 1
; COMPUTE_PGM_RSRC2:TGID_Y_EN: 1
; COMPUTE_PGM_RSRC2:TGID_Z_EN: 1
; COMPUTE_PGM_RSRC2:TIDIG_COMP_CNT: 0
	.section	.text._Z39paged_attention_ll4mi_QKV_mfma16_kernelIDF16_DF16_LN4vllm18Fp8KVCacheDataTypeE0EDF16_Li16ELi128ELi256ELb0ELi8EL8MFMAType0EEvPKT_PKT0_S8_ifPKiSA_SA_iPKfiiiPfSD_PS3_PT2_iSC_SC_,"axG",@progbits,_Z39paged_attention_ll4mi_QKV_mfma16_kernelIDF16_DF16_LN4vllm18Fp8KVCacheDataTypeE0EDF16_Li16ELi128ELi256ELb0ELi8EL8MFMAType0EEvPKT_PKT0_S8_ifPKiSA_SA_iPKfiiiPfSD_PS3_PT2_iSC_SC_,comdat
	.protected	_Z39paged_attention_ll4mi_QKV_mfma16_kernelIDF16_DF16_LN4vllm18Fp8KVCacheDataTypeE0EDF16_Li16ELi128ELi256ELb0ELi8EL8MFMAType0EEvPKT_PKT0_S8_ifPKiSA_SA_iPKfiiiPfSD_PS3_PT2_iSC_SC_ ; -- Begin function _Z39paged_attention_ll4mi_QKV_mfma16_kernelIDF16_DF16_LN4vllm18Fp8KVCacheDataTypeE0EDF16_Li16ELi128ELi256ELb0ELi8EL8MFMAType0EEvPKT_PKT0_S8_ifPKiSA_SA_iPKfiiiPfSD_PS3_PT2_iSC_SC_
	.globl	_Z39paged_attention_ll4mi_QKV_mfma16_kernelIDF16_DF16_LN4vllm18Fp8KVCacheDataTypeE0EDF16_Li16ELi128ELi256ELb0ELi8EL8MFMAType0EEvPKT_PKT0_S8_ifPKiSA_SA_iPKfiiiPfSD_PS3_PT2_iSC_SC_
	.p2align	8
	.type	_Z39paged_attention_ll4mi_QKV_mfma16_kernelIDF16_DF16_LN4vllm18Fp8KVCacheDataTypeE0EDF16_Li16ELi128ELi256ELb0ELi8EL8MFMAType0EEvPKT_PKT0_S8_ifPKiSA_SA_iPKfiiiPfSD_PS3_PT2_iSC_SC_,@function
_Z39paged_attention_ll4mi_QKV_mfma16_kernelIDF16_DF16_LN4vllm18Fp8KVCacheDataTypeE0EDF16_Li16ELi128ELi256ELb0ELi8EL8MFMAType0EEvPKT_PKT0_S8_ifPKiSA_SA_iPKfiiiPfSD_PS3_PT2_iSC_SC_: ; @_Z39paged_attention_ll4mi_QKV_mfma16_kernelIDF16_DF16_LN4vllm18Fp8KVCacheDataTypeE0EDF16_Li16ELi128ELi256ELb0ELi8EL8MFMAType0EEvPKT_PKT0_S8_ifPKiSA_SA_iPKfiiiPfSD_PS3_PT2_iSC_SC_
; %bb.0:
	s_load_b64 s[4:5], s[0:1], 0x30
	s_mov_b32 s30, s13
	s_waitcnt lgkmcnt(0)
	s_cmp_lg_u64 s[4:5], 0
	s_cselect_b32 s12, -1, 0
	s_ashr_i32 s31, s13, 31
	s_cmp_eq_u64 s[4:5], 0
	s_cbranch_scc1 .LBB293_3
; %bb.1:
	s_lshl_b64 s[2:3], s[30:31], 2
	s_delay_alu instid0(SALU_CYCLE_1) | instskip(SKIP_4) | instid1(SALU_CYCLE_1)
	s_add_u32 s2, s4, s2
	s_addc_u32 s3, s5, s3
	s_load_b64 s[2:3], s[2:3], 0x0
	s_waitcnt lgkmcnt(0)
	s_sub_i32 s2, s3, s2
	s_cmp_eq_u32 s2, 1
	s_cselect_b32 s2, -1, 0
	s_delay_alu instid0(SALU_CYCLE_1)
	s_and_not1_b32 vcc_lo, exec_lo, s2
	s_cbranch_vccz .LBB293_4
.LBB293_2:
	s_endpgm
.LBB293_3:
.LBB293_4:
	s_load_b64 s[2:3], s[0:1], 0x28
	s_lshl_b64 s[6:7], s[30:31], 2
	s_waitcnt lgkmcnt(0)
	s_add_u32 s2, s2, s6
	s_addc_u32 s3, s3, s7
	s_lshl_b32 s29, s14, 8
	s_load_b32 s28, s[2:3], 0x0
	s_waitcnt lgkmcnt(0)
	s_cmp_ge_i32 s29, s28
	s_cbranch_scc1 .LBB293_2
; %bb.5:
	s_clause 0x1
	s_load_b128 s[8:11], s[0:1], 0x8
	s_load_b64 s[2:3], s[0:1], 0x20
	s_and_not1_b32 vcc_lo, exec_lo, s12
	s_cbranch_vccnz .LBB293_7
; %bb.6:
	s_add_u32 s4, s4, s6
	s_addc_u32 s5, s5, s7
	s_load_b32 s12, s[4:5], 0x0
	s_branch .LBB293_8
.LBB293_7:
	s_mov_b32 s12, s30
.LBB293_8:
	s_load_b128 s[4:7], s[0:1], 0x48
	v_and_b32_e32 v141, 15, v0
	v_lshrrev_b32_e32 v140, 5, v0
	v_and_b32_e32 v142, 31, v0
	v_and_b32_e32 v139, 1, v0
	v_bfe_u32 v138, v0, 4, 1
	v_lshlrev_b32_e32 v1, 3, v141
	s_lshl_b32 s31, s15, 3
	s_waitcnt lgkmcnt(0)
	s_mov_b32 s7, exec_lo
	s_delay_alu instid0(VALU_DEP_1)
	v_lshlrev_b32_e32 v137, 1, v1
	v_cmpx_gt_u32_e32 0x80, v0
	s_cbranch_execz .LBB293_10
; %bb.9:
	v_lshl_or_b32 v5, v140, 1, v138
	s_load_b64 s[16:17], s[0:1], 0x0
	s_mul_hi_i32 s13, s12, s4
	s_mul_i32 s12, s12, s4
	v_lshlrev_b32_e32 v6, 10, v141
	v_or_b32_e32 v1, s31, v5
	s_lshl_b64 s[12:13], s[12:13], 1
	v_lshlrev_b32_e32 v5, 6, v5
	v_lshlrev_b32_e32 v7, 10, v139
	v_and_b32_e32 v6, 0x3800, v6
	v_lshlrev_b32_e32 v1, 7, v1
	s_delay_alu instid0(VALU_DEP_2) | instskip(NEXT) | instid1(VALU_DEP_2)
	v_or3_b32 v5, v6, v7, v5
	v_ashrrev_i32_e32 v2, 31, v1
	s_delay_alu instid0(VALU_DEP_1) | instskip(SKIP_3) | instid1(VALU_DEP_1)
	v_lshlrev_b64 v[1:2], 1, v[1:2]
	s_waitcnt lgkmcnt(0)
	s_add_u32 s4, s16, s12
	s_addc_u32 s12, s17, s13
	v_add_co_u32 v1, vcc_lo, s4, v1
	s_delay_alu instid0(VALU_DEP_2) | instskip(NEXT) | instid1(VALU_DEP_2)
	v_add_co_ci_u32_e32 v2, vcc_lo, s12, v2, vcc_lo
	v_add_co_u32 v1, vcc_lo, v1, v137
	s_delay_alu instid0(VALU_DEP_2)
	v_add_co_ci_u32_e32 v2, vcc_lo, 0, v2, vcc_lo
	global_load_b128 v[1:4], v[1:2], off
	s_waitcnt vmcnt(0)
	ds_store_b128 v5, v[1:4]
.LBB293_10:
	s_or_b32 exec_lo, exec_lo, s7
	s_mov_b32 s40, 0
	s_add_i32 s4, s28, 15
	s_mov_b32 s41, s40
	s_mov_b32 s42, s40
	;; [unrolled: 1-line block ×7, first 2 shown]
	s_delay_alu instid0(SALU_CYCLE_1)
	v_dual_mov_b32 v136, s47 :: v_dual_and_b32 v1, 0xef, v0
	v_mov_b32_e32 v134, s45
	s_clause 0x1
	s_load_b32 s7, s[0:1], 0x38
	s_load_b32 s33, s[0:1], 0x98
	v_add_nc_u32_e32 v1, s29, v1
	s_ashr_i32 s12, s4, 31
	s_load_b32 s34, s[0:1], 0x1c
	s_lshr_b32 s12, s12, 28
	s_waitcnt lgkmcnt(0)
	v_ashrrev_i32_e32 v2, 31, v1
	s_add_i32 s4, s4, s12
	v_cmp_gt_i32_e32 vcc_lo, s28, v1
	v_mov_b32_e32 v135, s46
	s_ashr_i32 s4, s4, 4
	v_lshrrev_b32_e32 v3, 28, v2
	v_or_b32_e32 v2, 16, v1
	s_add_i32 s4, s4, -1
	v_mov_b32_e32 v132, s43
	s_barrier
	v_add_nc_u32_e32 v4, v1, v3
	v_add_nc_u32_e32 v3, v2, v3
	buffer_gl0_inv
	v_lshlrev_b32_e32 v106, 5, v141
	s_mul_i32 s12, s30, s7
	v_ashrrev_i32_e32 v4, 4, v4
	v_ashrrev_i32_e32 v3, 4, v3
	s_ashr_i32 s13, s12, 31
	v_and_b32_e32 v105, 7, v0
	s_lshl_b64 s[12:13], s[12:13], 2
	v_cndmask_b32_e32 v1, s4, v4, vcc_lo
	v_cmp_gt_i32_e32 vcc_lo, s28, v2
	s_add_u32 s35, s2, s12
	s_addc_u32 s36, s3, s13
	s_mul_i32 s2, s15, s6
	v_ashrrev_i32_e32 v2, 31, v1
	v_cndmask_b32_e32 v3, s4, v3, vcc_lo
	s_ashr_i32 s3, s2, 31
	v_lshlrev_b32_e32 v215, 6, v105
	s_lshl_b64 s[2:3], s[2:3], 1
	v_lshlrev_b64 v[1:2], 2, v[1:2]
	v_ashrrev_i32_e32 v4, 31, v3
	s_add_u32 s22, s8, s2
	s_addc_u32 s23, s9, s3
	s_lshl_b32 s6, s14, 4
	v_lshl_or_b32 v125, v140, 9, v106
	v_lshlrev_b64 v[3:4], 2, v[3:4]
	v_add_co_u32 v1, vcc_lo, s35, v1
	v_add_co_ci_u32_e32 v2, vcc_lo, s36, v2, vcc_lo
	s_ashr_i32 s7, s6, 31
	s_delay_alu instid0(VALU_DEP_3) | instskip(NEXT) | instid1(VALU_DEP_4)
	v_add_co_u32 v3, vcc_lo, s35, v3
	v_add_co_ci_u32_e32 v4, vcc_lo, s36, v4, vcc_lo
	s_clause 0x1
	global_load_b32 v5, v[1:2], off
	global_load_b32 v6, v[3:4], off
	s_lshl_b64 s[6:7], s[6:7], 2
	v_dual_mov_b32 v130, s41 :: v_dual_lshlrev_b32 v3, 4, v0
	s_add_u32 s6, s35, s6
	s_addc_u32 s7, s36, s7
	s_or_b32 s8, s29, 16
	v_mov_b32_e32 v133, s44
	s_ashr_i32 s9, s8, 4
	s_cmp_lt_i32 s8, s28
	v_mov_b32_e32 v131, s42
	s_cselect_b32 s8, s9, s4
	v_mov_b32_e32 v129, s40
	s_ashr_i32 s9, s8, 31
	s_delay_alu instid0(SALU_CYCLE_1) | instskip(NEXT) | instid1(SALU_CYCLE_1)
	s_lshl_b64 s[8:9], s[8:9], 2
	s_add_u32 s8, s35, s8
	s_addc_u32 s9, s36, s9
	s_or_b32 s12, s29, 32
	s_delay_alu instid0(SALU_CYCLE_1) | instskip(SKIP_2) | instid1(SALU_CYCLE_1)
	s_ashr_i32 s13, s12, 4
	s_cmp_lt_i32 s12, s28
	s_cselect_b32 s12, s13, s4
	s_ashr_i32 s13, s12, 31
	s_delay_alu instid0(SALU_CYCLE_1) | instskip(NEXT) | instid1(SALU_CYCLE_1)
	s_lshl_b64 s[12:13], s[12:13], 2
	s_add_u32 s12, s35, s12
	s_addc_u32 s13, s36, s13
	s_or_b32 s15, s29, 48
	s_delay_alu instid0(SALU_CYCLE_1) | instskip(SKIP_2) | instid1(SALU_CYCLE_1)
	s_ashr_i32 s16, s15, 4
	s_cmp_lt_i32 s15, s28
	s_cselect_b32 s16, s16, s4
	;; [unrolled: 10-line block ×4, first 2 shown]
	s_ashr_i32 s21, s20, 31
	s_delay_alu instid0(SALU_CYCLE_1) | instskip(NEXT) | instid1(SALU_CYCLE_1)
	s_lshl_b64 s[20:21], s[20:21], 2
	s_add_u32 s20, s35, s20
	s_addc_u32 s21, s36, s21
	s_clause 0x5
	s_load_b32 s6, s[6:7], 0x0
	s_load_b32 s8, s[8:9], 0x0
	;; [unrolled: 1-line block ×6, first 2 shown]
	s_waitcnt vmcnt(1)
	v_mad_i64_i32 v[1:2], null, v5, s5, 0
	v_and_b32_e32 v5, 0xf0, v3
	s_waitcnt vmcnt(0)
	v_mad_i64_i32 v[3:4], null, v6, s5, 0
	s_delay_alu instid0(VALU_DEP_2) | instskip(NEXT) | instid1(VALU_DEP_4)
	v_add_co_u32 v5, s7, s22, v5
	v_lshlrev_b64 v[1:2], 1, v[1:2]
	v_add_co_ci_u32_e64 v6, null, s23, 0, s7
	s_delay_alu instid0(VALU_DEP_4) | instskip(SKIP_1) | instid1(VALU_DEP_3)
	v_lshlrev_b64 v[3:4], 1, v[3:4]
	s_or_b32 s7, s29, 0x60
	v_add_co_u32 v121, vcc_lo, v5, v1
	s_delay_alu instid0(VALU_DEP_3) | instskip(NEXT) | instid1(VALU_DEP_3)
	v_add_co_ci_u32_e32 v122, vcc_lo, v6, v2, vcc_lo
	v_add_co_u32 v123, vcc_lo, v5, v3
	s_delay_alu instid0(VALU_DEP_4)
	v_add_co_ci_u32_e32 v124, vcc_lo, v6, v4, vcc_lo
	s_clause 0x19
	global_load_b128 v[89:92], v[121:122], off
	global_load_b128 v[93:96], v[121:122], off offset:256
	global_load_b128 v[97:100], v[123:124], off
	global_load_b128 v[101:104], v[123:124], off offset:256
	global_load_b128 v[81:84], v[121:122], off offset:512
	;; [unrolled: 1-line block ×23, first 2 shown]
	s_ashr_i32 s9, s7, 4
	s_cmp_lt_i32 s7, s28
	ds_load_b128 v[105:108], v215
	ds_load_b128 v[109:112], v215 offset:1024
	s_cselect_b32 s20, s9, s4
	ds_load_b128 v[113:116], v215 offset:2048
	ds_load_b128 v[117:120], v215 offset:3072
	s_ashr_i32 s21, s20, 31
	ds_load_b128 v[143:146], v215 offset:4096
	ds_load_b128 v[147:150], v215 offset:5120
	s_lshl_b64 s[20:21], s[20:21], 2
	ds_load_b128 v[151:154], v215 offset:6144
	ds_load_b128 v[155:158], v215 offset:7168
	s_add_u32 s20, s35, s20
	s_addc_u32 s21, s36, s21
	s_or_b32 s7, s29, 0x70
	ds_load_b128 v[159:162], v215 offset:8192
	ds_load_b128 v[163:166], v215 offset:9216
	s_ashr_i32 s9, s7, 4
	s_cmp_lt_i32 s7, s28
	s_clause 0x1
	global_load_b128 v[167:170], v[123:124], off offset:3072
	global_load_b128 v[171:174], v[123:124], off offset:3328
	s_cselect_b32 s22, s9, s4
	s_delay_alu instid0(SALU_CYCLE_1) | instskip(NEXT) | instid1(SALU_CYCLE_1)
	s_ashr_i32 s23, s22, 31
	s_lshl_b64 s[22:23], s[22:23], 2
	s_delay_alu instid0(SALU_CYCLE_1)
	s_add_u32 s22, s35, s22
	s_addc_u32 s23, s36, s23
	s_clause 0x1
	s_load_b32 s44, s[20:21], 0x0
	s_load_b32 s45, s[22:23], 0x0
	s_clause 0x3
	global_load_b128 v[175:178], v[121:122], off offset:3584
	global_load_b128 v[179:182], v[121:122], off offset:3840
	;; [unrolled: 1-line block ×4, first 2 shown]
	s_or_b32 s7, s29, 0x80
	s_delay_alu instid0(SALU_CYCLE_1) | instskip(SKIP_2) | instid1(SALU_CYCLE_1)
	s_ashr_i32 s9, s7, 4
	s_cmp_lt_i32 s7, s28
	s_cselect_b32 s24, s9, s4
	s_ashr_i32 s25, s24, 31
	s_delay_alu instid0(SALU_CYCLE_1) | instskip(NEXT) | instid1(SALU_CYCLE_1)
	s_lshl_b64 s[24:25], s[24:25], 2
	s_add_u32 s24, s35, s24
	s_addc_u32 s25, s36, s25
	s_or_b32 s7, s29, 0x90
	s_delay_alu instid0(SALU_CYCLE_1) | instskip(SKIP_2) | instid1(SALU_CYCLE_1)
	s_ashr_i32 s9, s7, 4
	s_cmp_lt_i32 s7, s28
	s_cselect_b32 s26, s9, s4
	s_ashr_i32 s27, s26, 31
	s_delay_alu instid0(SALU_CYCLE_1) | instskip(NEXT) | instid1(SALU_CYCLE_1)
	s_lshl_b64 s[26:27], s[26:27], 2
	s_add_u32 s26, s35, s26
	s_addc_u32 s27, s36, s27
	s_or_b32 s7, s29, 0xa0
	s_delay_alu instid0(SALU_CYCLE_1)
	s_ashr_i32 s9, s7, 4
	s_cmp_lt_i32 s7, s28
	s_waitcnt lgkmcnt(0)
	s_mul_hi_i32 s7, s6, s5
	s_cselect_b32 s38, s9, s4
	s_mul_i32 s6, s6, s5
	s_ashr_i32 s39, s38, 31
	s_delay_alu instid0(SALU_CYCLE_1) | instskip(NEXT) | instid1(SALU_CYCLE_1)
	s_lshl_b64 s[38:39], s[38:39], 2
	s_add_u32 s38, s35, s38
	s_addc_u32 s39, s36, s39
	s_or_b32 s9, s29, 0xb0
	s_load_b32 s39, s[38:39], 0x0
	s_ashr_i32 s13, s9, 4
	s_cmp_lt_i32 s9, s28
	s_mul_hi_i32 s9, s8, s5
	s_cselect_b32 s40, s13, s4
	s_mul_i32 s8, s8, s5
	s_ashr_i32 s41, s40, 31
	s_mul_hi_i32 s13, s12, s5
	s_lshl_b64 s[40:41], s[40:41], 2
	s_mul_i32 s12, s12, s5
	s_add_u32 s42, s35, s40
	s_addc_u32 s43, s36, s41
	s_or_b32 s17, s29, 0xc0
	s_delay_alu instid0(SALU_CYCLE_1)
	s_ashr_i32 s19, s17, 4
	s_cmp_lt_i32 s17, s28
	s_mul_hi_i32 s17, s16, s5
	s_cselect_b32 s40, s19, s4
	s_mul_i32 s16, s16, s5
	s_ashr_i32 s41, s40, 31
	s_mul_hi_i32 s19, s18, s5
	s_lshl_b64 s[40:41], s[40:41], 2
	s_mul_i32 s18, s18, s5
	s_add_u32 s22, s35, s40
	s_addc_u32 s23, s36, s41
	s_or_b32 s20, s29, 0xd0
	s_clause 0x1
	s_load_b32 s41, s[24:25], 0x0
	s_load_b32 s40, s[26:27], 0x0
	s_ashr_i32 s21, s20, 4
	s_cmp_lt_i32 s20, s28
	s_mul_i32 s20, s15, s5
	s_cselect_b32 s24, s21, s4
	s_mul_hi_i32 s21, s15, s5
	s_ashr_i32 s25, s24, 31
	s_delay_alu instid0(SALU_CYCLE_1) | instskip(NEXT) | instid1(SALU_CYCLE_1)
	s_lshl_b64 s[24:25], s[24:25], 2
	s_add_u32 s24, s35, s24
	s_addc_u32 s25, s36, s25
	s_or_b32 s46, s29, 0xe0
	s_clause 0x2
	s_load_b32 s38, s[42:43], 0x0
	s_load_b32 s37, s[22:23], 0x0
	;; [unrolled: 1-line block ×3, first 2 shown]
	s_ashr_i32 s47, s46, 4
	s_cmp_lt_i32 s46, s28
	s_mul_hi_i32 s23, s44, s5
	s_cselect_b32 s42, s47, s4
	s_mul_i32 s22, s44, s5
	s_ashr_i32 s43, s42, 31
	s_mul_hi_i32 s25, s45, s5
	s_lshl_b64 s[42:43], s[42:43], 2
	s_mul_i32 s24, s45, s5
	s_add_u32 s42, s35, s42
	s_addc_u32 s43, s36, s43
	s_or_b32 s46, s29, 0xf0
	s_waitcnt lgkmcnt(0)
	s_mul_hi_i32 s27, s41, s5
	s_ashr_i32 s47, s46, 4
	s_cmp_lt_i32 s46, s28
	s_mul_i32 s26, s41, s5
	s_cselect_b32 s46, s47, s4
	s_mul_hi_i32 s41, s40, s5
	s_ashr_i32 s47, s46, 31
	s_mul_hi_i32 s51, s15, s5
	s_lshl_b64 s[46:47], s[46:47], 2
	s_mul_i32 s50, s15, s5
	s_add_u32 s46, s35, s46
	s_addc_u32 s47, s36, s47
	s_add_u32 s4, s10, s2
	s_addc_u32 s15, s11, s3
	v_add_co_u32 v216, s4, s4, v125
	s_delay_alu instid0(VALU_DEP_1) | instskip(SKIP_2) | instid1(VALU_DEP_2)
	v_add_co_ci_u32_e64 v217, null, s15, 0, s4
	s_lshl_b64 s[2:3], s[6:7], 1
	s_lshl_b64 s[6:7], s[8:9], 1
	v_add_co_u32 v125, vcc_lo, v216, s2
	s_delay_alu instid0(VALU_DEP_2)
	v_add_co_ci_u32_e32 v126, vcc_lo, s3, v217, vcc_lo
	v_add_co_u32 v199, vcc_lo, v216, s6
	s_lshl_b64 s[8:9], s[12:13], 1
	v_add_co_ci_u32_e32 v200, vcc_lo, s7, v217, vcc_lo
	s_lshl_b64 s[10:11], s[16:17], 1
	s_lshl_b64 s[12:13], s[18:19], 1
	;; [unrolled: 1-line block ×6, first 2 shown]
	s_mul_i32 s40, s40, s5
	s_mul_hi_i32 s45, s39, s5
	s_lshl_b64 s[24:25], s[40:41], 1
	s_mul_i32 s44, s39, s5
	s_mul_hi_i32 s39, s38, s5
	s_lshl_b64 s[26:27], s[44:45], 1
	s_mul_i32 s38, s38, s5
	s_mul_hi_i32 s49, s37, s5
	s_mul_i32 s48, s37, s5
	s_lshl_b64 s[36:37], s[38:39], 1
	s_lshl_b64 s[38:39], s[48:49], 1
	s_clause 0x1
	s_load_b32 s4, s[42:43], 0x0
	s_load_b32 s15, s[46:47], 0x0
	s_lshl_b64 s[40:41], s[50:51], 1
	s_waitcnt lgkmcnt(0)
	s_mul_hi_i32 s3, s4, s5
	s_mul_i32 s2, s4, s5
	s_mul_hi_i32 s7, s15, s5
	s_lshl_b64 s[2:3], s[2:3], 1
	s_mul_i32 s6, s15, s5
	s_waitcnt vmcnt(30)
	v_wmma_f32_16x16x16_f16 v[191:198], v[89:96], v[105:112], v[129:136]
	v_add_co_u32 v89, vcc_lo, v216, s8
	v_add_co_ci_u32_e32 v90, vcc_lo, s9, v217, vcc_lo
	v_add_co_u32 v91, vcc_lo, v216, s10
	v_add_co_ci_u32_e32 v92, vcc_lo, s11, v217, vcc_lo
	;; [unrolled: 2-line block ×5, first 2 shown]
	v_add_co_u32 v205, vcc_lo, v216, s20
	s_waitcnt vmcnt(28)
	v_wmma_f32_16x16x16_f16 v[129:136], v[97:104], v[105:112], v[129:136]
	v_add_co_ci_u32_e32 v206, vcc_lo, s21, v217, vcc_lo
	v_add_co_u32 v207, vcc_lo, v216, s22
	v_add_co_ci_u32_e32 v208, vcc_lo, s23, v217, vcc_lo
	v_add_co_u32 v209, vcc_lo, v216, s24
	s_waitcnt vmcnt(26)
	v_wmma_f32_16x16x16_f16 v[191:198], v[81:88], v[113:120], v[191:198]
	s_waitcnt vmcnt(24)
	v_wmma_f32_16x16x16_f16 v[129:136], v[73:80], v[113:120], v[129:136]
	v_add_co_ci_u32_e32 v210, vcc_lo, s25, v217, vcc_lo
	v_add_co_u32 v211, vcc_lo, v216, s26
	v_add_co_ci_u32_e32 v212, vcc_lo, s27, v217, vcc_lo
	v_add_co_u32 v213, vcc_lo, v216, s36
	s_waitcnt vmcnt(22)
	v_wmma_f32_16x16x16_f16 v[191:198], v[65:72], v[143:150], v[191:198]
	s_waitcnt vmcnt(20)
	v_wmma_f32_16x16x16_f16 v[129:136], v[57:64], v[143:150], v[129:136]
	v_add_co_ci_u32_e32 v214, vcc_lo, s37, v217, vcc_lo
	v_add_co_u32 v143, vcc_lo, v216, s38
	s_waitcnt vmcnt(18)
	v_wmma_f32_16x16x16_f16 v[191:198], v[49:56], v[151:158], v[191:198]
	s_waitcnt vmcnt(16)
	v_wmma_f32_16x16x16_f16 v[129:136], v[25:32], v[151:158], v[129:136]
	v_add_co_ci_u32_e32 v144, vcc_lo, s39, v217, vcc_lo
	s_clause 0x15
	global_load_b128 v[121:124], v[125:126], off
	global_load_b128 v[125:128], v[125:126], off offset:16
	global_load_b128 v[113:116], v[199:200], off
	global_load_b128 v[117:120], v[199:200], off offset:16
	;; [unrolled: 2-line block ×11, first 2 shown]
	s_waitcnt vmcnt(36)
	v_wmma_f32_16x16x16_f16 v[191:198], v[1:8], v[159:166], v[191:198]
	s_clause 0x1
	global_load_b128 v[1:4], v[213:214], off
	global_load_b128 v[5:8], v[213:214], off offset:16
	s_waitcnt vmcnt(36)
	v_wmma_f32_16x16x16_f16 v[129:136], v[9:16], v[159:166], v[129:136]
	s_clause 0x1
	global_load_b128 v[9:12], v[143:144], off
	global_load_b128 v[13:16], v[143:144], off offset:16
	ds_load_b128 v[143:146], v215 offset:10240
	ds_load_b128 v[147:150], v215 offset:11264
	;; [unrolled: 1-line block ×4, first 2 shown]
	v_add_co_u32 v199, vcc_lo, v216, s40
	v_add_co_ci_u32_e32 v200, vcc_lo, s41, v217, vcc_lo
	v_add_co_u32 v159, vcc_lo, v216, s2
	v_add_co_ci_u32_e32 v160, vcc_lo, s3, v217, vcc_lo
	s_lshl_b64 s[2:3], s[6:7], 1
	s_delay_alu instid0(SALU_CYCLE_1)
	v_add_co_u32 v161, vcc_lo, v216, s2
	v_add_co_ci_u32_e32 v162, vcc_lo, s3, v217, vcc_lo
	s_waitcnt vmcnt(36) lgkmcnt(2)
	v_wmma_f32_16x16x16_f16 v[191:198], v[41:48], v[143:150], v[191:198]
	s_waitcnt vmcnt(34)
	v_wmma_f32_16x16x16_f16 v[129:136], v[33:40], v[143:150], v[129:136]
	s_clause 0x3
	global_load_b128 v[33:36], v[199:200], off
	global_load_b128 v[37:40], v[199:200], off offset:16
	global_load_b128 v[41:44], v[159:160], off
	global_load_b128 v[45:48], v[159:160], off offset:16
	v_and_b32_e32 v143, 0xe0, v0
	v_mbcnt_lo_u32_b32 v159, -1, 0
	s_waitcnt vmcnt(36) lgkmcnt(0)
	v_wmma_f32_16x16x16_f16 v[191:198], v[17:24], v[151:158], v[191:198]
	s_clause 0x1
	global_load_b128 v[17:20], v[161:162], off
	global_load_b128 v[21:24], v[161:162], off offset:16
	s_waitcnt vmcnt(36)
	v_wmma_f32_16x16x16_f16 v[129:136], v[167:174], v[151:158], v[129:136]
	v_add_nc_u32_e32 v160, s29, v143
	ds_load_b128 v[143:146], v215 offset:14336
	ds_load_b128 v[147:150], v215 offset:15360
	v_xor_b32_e32 v151, 16, v159
	s_waitcnt vmcnt(0) lgkmcnt(0)
	s_barrier
	v_or_b32_e32 v152, v160, v138
	buffer_gl0_inv
	v_cmp_gt_i32_e32 vcc_lo, 32, v151
	v_or_b32_e32 v153, 2, v152
	v_or_b32_e32 v154, 4, v152
	;; [unrolled: 1-line block ×5, first 2 shown]
	v_cmp_gt_i32_e64 s2, s28, v153
	v_cmp_gt_i32_e64 s3, s28, v154
	;; [unrolled: 1-line block ×3, first 2 shown]
	v_or_b32_e32 v158, 12, v152
	v_cmp_gt_i32_e64 s5, s28, v156
	v_cmp_gt_i32_e64 s6, s28, v157
	v_wmma_f32_16x16x16_f16 v[191:198], v[175:182], v[143:150], v[191:198]
	v_wmma_f32_16x16x16_f16 v[129:136], v[183:190], v[143:150], v[129:136]
	v_cndmask_b32_e32 v151, v159, v151, vcc_lo
	v_cmp_gt_i32_e32 vcc_lo, s28, v152
	v_or_b32_e32 v159, 14, v152
	v_dual_mul_f32 v149, s34, v192 :: v_dual_mul_f32 v150, s34, v191
	v_dual_mul_f32 v147, s34, v194 :: v_dual_mul_f32 v148, s34, v193
	;; [unrolled: 1-line block ×3, first 2 shown]
	s_delay_alu instid0(VALU_DEP_3) | instskip(NEXT) | instid1(VALU_DEP_4)
	v_cndmask_b32_e32 v150, 0xff7fffff, v150, vcc_lo
	v_cndmask_b32_e64 v149, 0xff7fffff, v149, s2
	v_mul_f32_e32 v146, s34, v195
	v_cndmask_b32_e64 v148, 0xff7fffff, v148, s3
	v_cndmask_b32_e64 v147, 0xff7fffff, v147, s4
	v_or_b32_e32 v160, 16, v152
	v_max3_f32 v149, v150, 0xff7fffff, v149
	v_or_b32_e32 v161, 18, v152
	v_mul_f32_e32 v144, s34, v197
	v_dual_mul_f32 v172, s34, v132 :: v_dual_mul_f32 v143, s34, v198
	v_cndmask_b32_e64 v146, 0xff7fffff, v146, s5
	v_cndmask_b32_e64 v145, 0xff7fffff, v145, s6
	v_max3_f32 v147, v149, v148, v147
	v_cmp_gt_i32_e64 s7, s28, v158
	v_cmp_gt_i32_e64 s8, s28, v159
	v_or_b32_e32 v162, 20, v152
	v_or_b32_e32 v163, 22, v152
	v_mul_f32_e32 v175, s34, v129
	v_cndmask_b32_e64 v144, 0xff7fffff, v144, s7
	v_max3_f32 v145, v147, v146, v145
	v_cmp_gt_i32_e64 s9, s28, v160
	v_cmp_gt_i32_e64 s10, s28, v161
	v_lshlrev_b32_e32 v160, 2, v151
	v_cndmask_b32_e64 v143, 0xff7fffff, v143, s8
	v_or_b32_e32 v164, 24, v152
	v_or_b32_e32 v165, 26, v152
	v_mul_f32_e32 v173, s34, v131
	v_cndmask_b32_e64 v146, 0xff7fffff, v175, s9
	v_cndmask_b32_e64 v147, 0xff7fffff, v174, s10
	v_max3_f32 v143, v145, v144, v143
	v_cmp_gt_i32_e64 s11, s28, v162
	v_cmp_gt_i32_e64 s12, s28, v163
	v_or_b32_e32 v166, 28, v152
	v_or_b32_e32 v167, 30, v152
	v_dual_mul_f32 v170, s34, v134 :: v_dual_mul_f32 v171, s34, v133
	v_cndmask_b32_e64 v144, 0xff7fffff, v173, s11
	v_cndmask_b32_e64 v145, 0xff7fffff, v172, s12
	v_max3_f32 v143, v143, v146, v147
	v_cmp_gt_i32_e64 s13, s28, v164
	v_cmp_gt_i32_e64 s15, s28, v165
	v_dual_mul_f32 v168, s34, v136 :: v_dual_mul_f32 v169, s34, v135
	s_delay_alu instid0(VALU_DEP_4) | instskip(NEXT) | instid1(VALU_DEP_4)
	v_max3_f32 v143, v143, v144, v145
	v_cndmask_b32_e64 v146, 0xff7fffff, v171, s13
	s_delay_alu instid0(VALU_DEP_4) | instskip(SKIP_2) | instid1(VALU_DEP_3)
	v_cndmask_b32_e64 v147, 0xff7fffff, v170, s15
	v_cmp_gt_i32_e64 s16, s28, v166
	v_cmp_gt_i32_e64 s17, s28, v167
	v_max3_f32 v143, v143, v146, v147
	s_delay_alu instid0(VALU_DEP_3) | instskip(NEXT) | instid1(VALU_DEP_3)
	v_cndmask_b32_e64 v144, 0xff7fffff, v169, s16
	v_cndmask_b32_e64 v145, 0xff7fffff, v168, s17
	s_delay_alu instid0(VALU_DEP_1) | instskip(SKIP_3) | instid1(VALU_DEP_1)
	v_max3_f32 v143, v143, v144, v145
	ds_bpermute_b32 v144, v160, v143
	s_waitcnt lgkmcnt(0)
	v_max_f32_e32 v144, v144, v144
	v_max_f32_e32 v159, v143, v144
	s_delay_alu instid0(VALU_DEP_1) | instskip(SKIP_4) | instid1(VALU_DEP_4)
	v_fma_f32 v145, s34, v193, -v159
	v_fma_f32 v146, s34, v194, -v159
	;; [unrolled: 1-line block ×5, first 2 shown]
	v_dual_mul_f32 v145, 0x3fb8aa3b, v145 :: v_dual_mul_f32 v146, 0x3fb8aa3b, v146
	s_delay_alu instid0(VALU_DEP_4) | instskip(SKIP_1) | instid1(VALU_DEP_4)
	v_mul_f32_e32 v132, 0x3fb8aa3b, v132
	v_fma_f32 v148, s34, v195, -v159
	v_mul_f32_e32 v144, 0x3fb8aa3b, v144
	s_delay_alu instid0(VALU_DEP_4)
	v_exp_f32_e32 v145, v145
	v_exp_f32_e32 v150, v146
	v_fma_f32 v149, s34, v196, -v159
	v_mul_f32_e32 v148, 0x3fb8aa3b, v148
	v_exp_f32_e32 v147, v144
	v_fma_f32 v134, s34, v134, -v159
	v_fma_f32 v151, s34, v197, -v159
	v_mul_f32_e32 v149, 0x3fb8aa3b, v149
	v_exp_f32_e32 v148, v148
	v_fma_f32 v152, s34, v198, -v159
	v_cndmask_b32_e64 v146, 0, v145, s3
	v_cndmask_b32_e64 v145, 0, v150, s4
	v_dual_mul_f32 v143, 0x3fb8aa3b, v143 :: v_dual_mul_f32 v134, 0x3fb8aa3b, v134
	v_mul_f32_e32 v151, 0x3fb8aa3b, v151
	v_exp_f32_e32 v149, v149
	v_fma_f32 v129, s34, v129, -v159
	s_delay_alu instid0(VALU_DEP_3)
	v_exp_f32_e32 v143, v143
	v_mul_f32_e32 v150, 0x3fb8aa3b, v152
	v_exp_f32_e32 v151, v151
	v_cndmask_b32_e64 v148, 0, v148, s5
	v_fma_f32 v130, s34, v130, -v159
	v_mul_f32_e32 v129, 0x3fb8aa3b, v129
	v_exp_f32_e32 v153, v150
	v_fma_f32 v131, s34, v131, -v159
	v_fma_f32 v133, s34, v133, -v159
	v_mul_f32_e32 v130, 0x3fb8aa3b, v130
	v_cndmask_b32_e32 v144, 0, v143, vcc_lo
	v_cndmask_b32_e64 v143, 0, v147, s2
	v_exp_f32_e32 v129, v129
	v_cndmask_b32_e64 v150, 0, v151, s7
	v_mul_f32_e32 v131, 0x3fb8aa3b, v131
	v_add_f32_e32 v147, 0, v144
	v_exp_f32_e32 v130, v130
	v_mul_f32_e32 v133, 0x3fb8aa3b, v133
	v_exp_f32_e32 v132, v132
	v_exp_f32_e32 v131, v131
	v_add_f32_e32 v147, v147, v143
	s_mov_b32 s2, exec_lo
	v_exp_f32_e32 v133, v133
	s_delay_alu instid0(VALU_DEP_1)
	v_add_f32_e32 v147, v147, v146
	s_waitcnt_depctr 0xfff
	v_cndmask_b32_e64 v154, 0, v131, s11
	v_add_f32_e32 v152, v147, v145
	v_cndmask_b32_e64 v147, 0, v149, s6
	v_exp_f32_e32 v131, v134
	v_cndmask_b32_e64 v156, 0, v133, s13
	s_delay_alu instid0(VALU_DEP_3) | instskip(SKIP_1) | instid1(VALU_DEP_2)
	v_add_f32_e32 v149, v152, v148
	v_cndmask_b32_e64 v152, 0, v129, s9
	v_add_f32_e32 v151, v149, v147
	v_cndmask_b32_e64 v149, 0, v153, s8
	v_cndmask_b32_e64 v153, 0, v132, s12
	v_fma_f32 v132, s34, v136, -v159
	s_delay_alu instid0(TRANS32_DEP_1) | instskip(NEXT) | instid1(VALU_DEP_2)
	v_cndmask_b32_e64 v155, 0, v131, s15
	v_dual_add_f32 v151, v151, v150 :: v_dual_mul_f32 v132, 0x3fb8aa3b, v132
	s_delay_alu instid0(VALU_DEP_1) | instskip(SKIP_2) | instid1(VALU_DEP_4)
	v_add_f32_e32 v129, v151, v149
	v_cndmask_b32_e64 v151, 0, v130, s10
	v_fma_f32 v130, s34, v135, -v159
	v_exp_f32_e32 v131, v132
	s_delay_alu instid0(VALU_DEP_1) | instskip(NEXT) | instid1(VALU_DEP_1)
	v_dual_add_f32 v129, v129, v152 :: v_dual_mul_f32 v130, 0x3fb8aa3b, v130
	v_add_f32_e32 v129, v129, v151
	s_delay_alu instid0(VALU_DEP_2) | instskip(SKIP_3) | instid1(VALU_DEP_1)
	v_exp_f32_e32 v130, v130
	s_waitcnt_depctr 0xfff
	v_cndmask_b32_e64 v157, 0, v131, s17
	v_add_f32_e32 v129, v129, v154
	v_add_f32_e32 v129, v129, v153
	v_cndmask_b32_e64 v158, 0, v130, s16
	s_delay_alu instid0(VALU_DEP_2) | instskip(NEXT) | instid1(VALU_DEP_1)
	v_add_f32_e32 v129, v129, v156
	v_add_f32_e32 v129, v129, v155
	s_delay_alu instid0(VALU_DEP_1) | instskip(NEXT) | instid1(VALU_DEP_1)
	v_add_f32_e32 v129, v129, v158
	v_add_f32_e32 v129, v129, v157
	ds_bpermute_b32 v130, v160, v129
	v_cmpx_gt_u32_e32 16, v142
	s_cbranch_execz .LBB293_12
; %bb.11:
	v_mul_u32_u24_e32 v131, 0x44, v140
	s_delay_alu instid0(VALU_DEP_1) | instskip(SKIP_1) | instid1(VALU_DEP_1)
	v_lshl_add_u32 v131, v141, 2, v131
	s_waitcnt lgkmcnt(0)
	v_dual_add_f32 v129, v129, v130 :: v_dual_add_nc_u32 v130, 0x4000, v131
	ds_store_2addr_b32 v130, v159, v129 offset1:136
.LBB293_12:
	s_or_b32 exec_lo, exec_lo, s2
	v_lshlrev_b32_e32 v129, 2, v141
	s_load_b32 s34, s[0:1], 0x94
	s_waitcnt lgkmcnt(0)
	s_barrier
	buffer_gl0_inv
	v_add_nc_u32_e32 v135, 0x4000, v129
	v_cmp_eq_u32_e32 vcc_lo, 1, v140
	v_cmp_eq_u32_e64 s2, 2, v140
	v_cmp_eq_u32_e64 s3, 3, v140
	;; [unrolled: 1-line block ×3, first 2 shown]
	ds_load_2addr_b32 v[129:130], v135 offset1:17
	ds_load_2addr_b32 v[131:132], v135 offset0:34 offset1:51
	ds_load_2addr_b32 v[133:134], v135 offset0:68 offset1:85
	;; [unrolled: 1-line block ×3, first 2 shown]
	v_cmp_eq_u32_e64 s5, 5, v140
	v_cmp_eq_u32_e64 s6, 7, v140
	s_waitcnt lgkmcnt(3)
	v_max3_f32 v136, v129, 0xff7fffff, v130
	s_waitcnt lgkmcnt(2)
	s_delay_alu instid0(VALU_DEP_1) | instskip(SKIP_1) | instid1(VALU_DEP_1)
	v_max3_f32 v136, v136, v131, v132
	s_waitcnt lgkmcnt(1)
	v_max3_f32 v136, v136, v133, v134
	s_waitcnt lgkmcnt(0)
	s_delay_alu instid0(VALU_DEP_1) | instskip(NEXT) | instid1(VALU_DEP_1)
	v_max3_f32 v136, v136, v159, v160
	v_sub_f32_e32 v164, v132, v136
	ds_load_2addr_b32 v[161:162], v135 offset0:136 offset1:153
	v_sub_f32_e32 v142, v130, v136
	v_sub_f32_e32 v129, v129, v136
	v_mul_f32_e32 v164, 0x3fb8aa3b, v164
	s_delay_alu instid0(VALU_DEP_2)
	v_dual_mul_f32 v142, 0x3fb8aa3b, v142 :: v_dual_mul_f32 v163, 0x3fb8aa3b, v129
	ds_load_2addr_b32 v[129:130], v135 offset0:170 offset1:187
	v_exp_f32_e32 v164, v164
	v_exp_f32_e32 v166, v142
	;; [unrolled: 1-line block ×3, first 2 shown]
	s_waitcnt lgkmcnt(1)
	s_waitcnt_depctr 0xfff
	v_fma_f32 v142, v163, v161, 0
	s_delay_alu instid0(VALU_DEP_1) | instskip(NEXT) | instid1(VALU_DEP_1)
	v_dual_sub_f32 v131, v131, v136 :: v_dual_fmac_f32 v142, v166, v162
	v_mul_f32_e32 v165, 0x3fb8aa3b, v131
	ds_load_2addr_b32 v[131:132], v135 offset0:204 offset1:221
	v_exp_f32_e32 v165, v165
	s_waitcnt lgkmcnt(1)
	s_waitcnt_depctr 0xfff
	v_dual_sub_f32 v161, v134, v136 :: v_dual_fmac_f32 v142, v165, v129
	v_sub_f32_e32 v129, v160, v136
	s_delay_alu instid0(VALU_DEP_1) | instskip(SKIP_1) | instid1(VALU_DEP_2)
	v_dual_fmac_f32 v142, v164, v130 :: v_dual_mul_f32 v129, 0x3fb8aa3b, v129
	v_cndmask_b32_e32 v130, v163, v166, vcc_lo
	v_exp_f32_e32 v162, v129
	v_sub_f32_e32 v133, v133, v136
	s_delay_alu instid0(VALU_DEP_1)
	v_mul_f32_e32 v167, 0x3fb8aa3b, v133
	ds_load_2addr_b32 v[133:134], v135 offset0:238 offset1:255
	v_sub_f32_e32 v135, v159, v136
	v_mul_f32_e32 v159, 0x3fb8aa3b, v161
	s_waitcnt lgkmcnt(0)
	v_exp_f32_e32 v161, v167
	s_barrier
	buffer_gl0_inv
	v_exp_f32_e32 v159, v159
	v_fmac_f32_e32 v142, v161, v131
	s_waitcnt_depctr 0xfff
	v_dual_mul_f32 v135, 0x3fb8aa3b, v135 :: v_dual_fmac_f32 v142, v159, v132
	s_delay_alu instid0(VALU_DEP_1) | instskip(SKIP_2) | instid1(VALU_DEP_1)
	v_exp_f32_e32 v160, v135
	s_waitcnt_depctr 0xfff
	v_fmac_f32_e32 v142, v160, v133
	v_dual_fmac_f32 v142, v162, v134 :: v_dual_lshlrev_b32 v133, 6, v141
	s_delay_alu instid0(VALU_DEP_1) | instskip(NEXT) | instid1(VALU_DEP_2)
	v_lshl_or_b32 v135, v140, 11, v133
	v_add_f32_e32 v134, 0x358637bd, v142
	s_delay_alu instid0(VALU_DEP_1) | instskip(SKIP_1) | instid1(VALU_DEP_2)
	v_div_scale_f32 v167, null, v134, v134, 1.0
	v_div_scale_f32 v163, vcc_lo, 1.0, v134, 1.0
	v_rcp_f32_e32 v168, v167
	s_waitcnt_depctr 0xfff
	v_fma_f32 v129, -v167, v168, 1.0
	s_delay_alu instid0(VALU_DEP_1) | instskip(SKIP_2) | instid1(VALU_DEP_2)
	v_fmac_f32_e32 v168, v129, v168
	v_cndmask_b32_e64 v129, v130, v165, s2
	v_cmp_eq_u32_e64 s2, 6, v140
	v_cndmask_b32_e64 v130, v129, v164, s3
	v_lshlrev_b32_e32 v129, 2, v138
	s_delay_alu instid0(VALU_DEP_2) | instskip(NEXT) | instid1(VALU_DEP_2)
	v_cndmask_b32_e64 v141, v130, v161, s4
	v_or_b32_e32 v130, 1, v129
	v_or_b32_e32 v132, 2, v129
	v_cmp_eq_u32_e64 s3, 1, v129
	v_cmp_eq_u32_e64 s4, 2, v129
	v_cndmask_b32_e64 v140, v141, v159, s5
	v_cmp_eq_u32_e64 s8, 1, v130
	v_cmp_eq_u32_e64 s9, 1, v132
	v_cmp_eq_u32_e64 s11, 2, v130
	v_cmp_eq_u32_e64 s13, 2, v132
	v_cndmask_b32_e64 v140, v140, v160, s2
	v_cmp_eq_u32_e64 s12, 3, v130
	v_cmp_eq_u32_e64 s16, 3, v132
	;; [unrolled: 1-line block ×4, first 2 shown]
	v_cndmask_b32_e64 v140, v140, v162, s6
	v_mul_f32_e32 v165, v163, v168
	v_cmp_eq_u32_e64 s5, 5, v129
	v_cmp_eq_u32_e64 s19, 5, v130
	;; [unrolled: 1-line block ×4, first 2 shown]
	v_fma_f32 v131, -v167, v165, v163
	v_cmp_eq_u32_e64 s24, 6, v130
	v_cmp_eq_u32_e64 s6, 6, v129
	;; [unrolled: 1-line block ×4, first 2 shown]
	v_fmac_f32_e32 v165, v131, v168
	v_or_b32_e32 v131, 3, v129
	v_cmp_eq_u32_e64 s7, 7, v129
	v_cmp_eq_u32_e64 s27, 7, v132
	s_delay_alu instid0(VALU_DEP_4) | instskip(NEXT) | instid1(VALU_DEP_4)
	v_fma_f32 v141, -v167, v165, v163
	v_cmp_eq_u32_e64 s10, 1, v131
	v_cmp_eq_u32_e64 s15, 2, v131
	;; [unrolled: 1-line block ×4, first 2 shown]
	v_div_fmas_f32 v141, v141, v168, v165
	v_cmp_eq_u32_e32 vcc_lo, 3, v129
	v_cmp_eq_u32_e64 s23, 5, v131
	v_cmp_eq_u32_e64 s26, 6, v131
	;; [unrolled: 1-line block ×3, first 2 shown]
	v_div_fixup_f32 v141, v141, v134, 1.0
	v_lshl_or_b32 v134, v138, 4, v135
	s_delay_alu instid0(VALU_DEP_2) | instskip(NEXT) | instid1(VALU_DEP_1)
	v_mul_f32_e32 v140, v140, v141
	v_fma_mixlo_f16 v159, v140, v144, 0
	v_fma_mixlo_f16 v160, v140, v146, 0
	;; [unrolled: 1-line block ×8, first 2 shown]
	v_fma_mixhi_f16 v159, v140, v143, 0
	v_fma_mixhi_f16 v160, v140, v145, 0
	;; [unrolled: 1-line block ×8, first 2 shown]
	ds_store_b128 v134, v[159:162]
	ds_store_b128 v134, v[163:166] offset:1024
	s_waitcnt lgkmcnt(0)
	s_barrier
	buffer_gl0_inv
	ds_load_b128 v[143:146], v135
	ds_load_b128 v[147:150], v135 offset:16
	ds_load_b128 v[151:154], v135 offset:1024
	;; [unrolled: 1-line block ×3, first 2 shown]
	s_waitcnt lgkmcnt(3)
	v_lshrrev_b32_e32 v140, 16, v143
	s_waitcnt lgkmcnt(2)
	v_lshrrev_b32_e32 v161, 16, v147
	;; [unrolled: 2-line block ×4, first 2 shown]
	v_lshrrev_b32_e32 v141, 16, v144
	v_cndmask_b32_e64 v173, v143, v140, s3
	v_cndmask_b32_e64 v174, v147, v161, s3
	;; [unrolled: 1-line block ×7, first 2 shown]
	v_lshrrev_b32_e32 v162, 16, v148
	v_cndmask_b32_e64 v178, v147, v161, s9
	v_cndmask_b32_e64 v147, v151, v165, s3
	;; [unrolled: 1-line block ×16, first 2 shown]
	v_lshrrev_b32_e32 v166, 16, v152
	v_cndmask_b32_e64 v176, v178, v148, s13
	v_cndmask_b32_e64 v144, v147, v152, s4
	;; [unrolled: 1-line block ×7, first 2 shown]
	v_cndmask_b32_e32 v155, v165, v141, vcc_lo
	v_cndmask_b32_e32 v165, v169, v162, vcc_lo
	v_cndmask_b32_e64 v169, v173, v141, s12
	v_cndmask_b32_e64 v173, v174, v162, s12
	;; [unrolled: 1-line block ×5, first 2 shown]
	v_lshrrev_b32_e32 v159, 16, v145
	v_lshrrev_b32_e32 v163, 16, v149
	;; [unrolled: 1-line block ×3, first 2 shown]
	v_cndmask_b32_e64 v140, v140, v145, s21
	v_cndmask_b32_e64 v141, v141, v149, s21
	;; [unrolled: 1-line block ×3, first 2 shown]
	v_cndmask_b32_e32 v143, v144, v166, vcc_lo
	v_cndmask_b32_e32 v144, v147, v170, vcc_lo
	v_cndmask_b32_e64 v147, v148, v166, s12
	v_cndmask_b32_e64 v148, v155, v145, s2
	;; [unrolled: 1-line block ×7, first 2 shown]
	v_lshrrev_b32_e32 v160, 16, v146
	v_lshrrev_b32_e32 v164, 16, v150
	v_lshrrev_b32_e32 v167, 16, v153
	v_lshrrev_b32_e32 v171, 16, v157
	v_cndmask_b32_e64 v169, v174, v145, s20
	v_cndmask_b32_e64 v173, v175, v149, s20
	;; [unrolled: 1-line block ×20, first 2 shown]
	v_lshrrev_b32_e32 v168, 16, v154
	v_cndmask_b32_e64 v147, v147, v146, s6
	v_cndmask_b32_e64 v148, v148, v150, s6
	;; [unrolled: 1-line block ×9, first 2 shown]
	v_perm_b32 v146, v141, v140, 0x5040100
	v_cndmask_b32_e64 v140, v182, v156, s13
	v_cndmask_b32_e64 v141, v180, v156, s11
	;; [unrolled: 1-line block ×7, first 2 shown]
	v_perm_b32 v144, v155, v149, 0x5040100
	v_cndmask_b32_e64 v143, v161, v166, s16
	v_cndmask_b32_e64 v149, v151, v166, s17
	;; [unrolled: 1-line block ×15, first 2 shown]
	v_lshrrev_b32_e32 v172, 16, v158
	v_cndmask_b32_e64 v143, v143, v154, s25
	v_cndmask_b32_e64 v149, v149, v154, s26
	;; [unrolled: 1-line block ×12, first 2 shown]
	v_perm_b32 v145, v159, v145, 0x5040100
	v_perm_b32 v143, v148, v147, 0x5040100
	;; [unrolled: 1-line block ×6, first 2 shown]
	s_lshl_b32 s6, s33, 3
	s_mov_b32 s2, exec_lo
	ds_store_b128 v134, v[143:146]
	ds_store_b128 v134, v[147:150] offset:1024
	v_cmpx_gt_u32_e32 8, v0
	s_cbranch_execz .LBB293_14
; %bb.13:
	v_or_b32_e32 v140, s31, v0
	s_load_b128 s[8:11], s[0:1], 0x58
	s_delay_alu instid0(VALU_DEP_1) | instskip(NEXT) | instid1(VALU_DEP_1)
	v_mad_u64_u32 v[143:144], null, s6, s30, v[140:141]
	v_mad_u64_u32 v[140:141], null, v143, s34, s[14:15]
	s_delay_alu instid0(VALU_DEP_1) | instskip(NEXT) | instid1(VALU_DEP_1)
	v_ashrrev_i32_e32 v141, 31, v140
	v_lshlrev_b64 v[140:141], 2, v[140:141]
	s_waitcnt lgkmcnt(0)
	s_delay_alu instid0(VALU_DEP_1) | instskip(NEXT) | instid1(VALU_DEP_2)
	v_add_co_u32 v143, vcc_lo, s10, v140
	v_add_co_ci_u32_e32 v144, vcc_lo, s11, v141, vcc_lo
	v_add_co_u32 v140, vcc_lo, s8, v140
	v_add_co_ci_u32_e32 v141, vcc_lo, s9, v141, vcc_lo
	global_store_b32 v[143:144], v136, off
	global_store_b32 v[140:141], v142, off
.LBB293_14:
	s_or_b32 exec_lo, exec_lo, s2
	s_waitcnt lgkmcnt(0)
	s_waitcnt_vscnt null, 0x0
	s_barrier
	buffer_gl0_inv
	ds_load_b128 v[148:151], v133
	ds_load_b128 v[152:155], v133 offset:16
	ds_load_b128 v[160:163], v133 offset:1040
	;; [unrolled: 1-line block ×5, first 2 shown]
	v_cmp_eq_u32_e32 vcc_lo, 1, v132
	v_mov_b32_e32 v140, 0
	ds_load_b128 v[176:179], v133 offset:3088
	ds_load_b128 v[172:175], v133 offset:3072
	;; [unrolled: 1-line block ×4, first 2 shown]
	v_cmp_eq_u32_e64 s2, 1, v129
	v_cmp_eq_u32_e64 s3, 1, v131
	;; [unrolled: 1-line block ×3, first 2 shown]
	v_mov_b32_e32 v141, v140
	v_mov_b32_e32 v142, v140
	;; [unrolled: 1-line block ×7, first 2 shown]
	v_cmp_eq_u32_e64 s5, 2, v129
	s_waitcnt lgkmcnt(8)
	s_delay_alu instid0(VALU_DEP_2)
	v_wmma_f32_16x16x16_f16 v[140:147], v[121:128], v[148:155], v[140:147]
	ds_load_b128 v[125:128], v133 offset:5136
	ds_load_b128 v[121:124], v133 offset:5120
	s_waitcnt lgkmcnt(8)
	v_wmma_f32_16x16x16_f16 v[140:147], v[113:120], v[156:163], v[140:147]
	ds_load_b128 v[117:120], v133 offset:6160
	ds_load_b128 v[113:116], v133 offset:6144
	s_waitcnt lgkmcnt(8)
	;; [unrolled: 4-line block ×11, first 2 shown]
	s_barrier
	buffer_gl0_inv
	v_wmma_f32_16x16x16_f16 v[140:147], v[1:8], v[73:80], v[140:147]
	s_delay_alu instid0(VALU_DEP_1) | instskip(NEXT) | instid1(VALU_DEP_1)
	v_wmma_f32_16x16x16_f16 v[140:147], v[9:16], v[65:72], v[140:147]
	v_wmma_f32_16x16x16_f16 v[140:147], v[33:40], v[57:64], v[140:147]
	s_delay_alu instid0(VALU_DEP_1) | instskip(NEXT) | instid1(VALU_DEP_1)
	v_wmma_f32_16x16x16_f16 v[140:147], v[41:48], v[49:56], v[140:147]
	v_wmma_f32_16x16x16_f16 v[140:147], v[17:24], v[25:32], v[140:147]
	s_delay_alu instid0(VALU_DEP_1) | instskip(NEXT) | instid1(VALU_DEP_2)
	v_cvt_f16_f32_e64 v1, v140
	v_cvt_f16_f32_e64 v2, v141
	s_delay_alu instid0(VALU_DEP_3) | instskip(NEXT) | instid1(VALU_DEP_4)
	v_cvt_f16_f32_e64 v3, v142
	v_cvt_f16_f32_e64 v4, v143
	;; [unrolled: 1-line block ×6, first 2 shown]
	v_pack_b32_f16 v1, v1, v2
	v_pack_b32_f16 v2, v3, v4
	;; [unrolled: 1-line block ×3, first 2 shown]
	s_delay_alu instid0(VALU_DEP_4)
	v_pack_b32_f16 v4, v7, v8
	ds_store_b128 v134, v[1:4]
	s_waitcnt lgkmcnt(0)
	s_barrier
	buffer_gl0_inv
	ds_load_b128 v[1:4], v135
	ds_load_b128 v[5:8], v135 offset:16
	s_waitcnt lgkmcnt(1)
	v_lshrrev_b32_e32 v9, 16, v1
	s_waitcnt lgkmcnt(0)
	v_lshrrev_b32_e32 v13, 16, v5
	v_lshrrev_b32_e32 v10, 16, v2
	;; [unrolled: 1-line block ×4, first 2 shown]
	v_cndmask_b32_e64 v17, v1, v9, s2
	v_cndmask_b32_e64 v18, v5, v13, s2
	;; [unrolled: 1-line block ×3, first 2 shown]
	v_cmp_eq_u32_e64 s2, 2, v130
	v_cndmask_b32_e64 v20, v5, v13, s4
	v_cndmask_b32_e32 v21, v1, v9, vcc_lo
	v_cndmask_b32_e32 v22, v5, v13, vcc_lo
	v_cndmask_b32_e64 v1, v1, v9, s3
	v_cndmask_b32_e64 v5, v5, v13, s3
	v_cmp_eq_u32_e32 vcc_lo, 2, v132
	v_cmp_eq_u32_e64 s3, 2, v131
	v_cndmask_b32_e64 v9, v17, v2, s5
	v_cndmask_b32_e64 v13, v18, v6, s5
	;; [unrolled: 1-line block ×4, first 2 shown]
	v_cndmask_b32_e32 v19, v21, v2, vcc_lo
	v_cmp_eq_u32_e64 s2, 3, v132
	v_cndmask_b32_e32 v20, v22, v6, vcc_lo
	v_cndmask_b32_e64 v1, v1, v2, s3
	v_cmp_eq_u32_e32 vcc_lo, 3, v131
	v_cmp_eq_u32_e64 s4, 3, v129
	v_cndmask_b32_e64 v2, v5, v6, s3
	v_cmp_eq_u32_e64 s3, 3, v130
	v_cmp_eq_u32_e64 s5, 4, v129
	v_cndmask_b32_e32 v1, v1, v10, vcc_lo
	v_cndmask_b32_e64 v5, v9, v10, s4
	v_cndmask_b32_e64 v6, v13, v14, s4
	;; [unrolled: 1-line block ×3, first 2 shown]
	v_cmp_eq_u32_e64 s4, 4, v130
	v_cndmask_b32_e64 v13, v18, v14, s3
	v_cndmask_b32_e64 v17, v19, v10, s2
	;; [unrolled: 1-line block ×3, first 2 shown]
	v_cndmask_b32_e32 v2, v2, v14, vcc_lo
	v_cmp_eq_u32_e32 vcc_lo, 4, v132
	v_cmp_eq_u32_e64 s3, 4, v131
	v_lshrrev_b32_e32 v15, 16, v7
	v_cndmask_b32_e64 v5, v5, v3, s5
	v_cndmask_b32_e64 v6, v6, v7, s5
	v_cndmask_b32_e32 v14, v18, v7, vcc_lo
	v_cndmask_b32_e64 v9, v9, v3, s4
	v_cndmask_b32_e64 v10, v13, v7, s4
	v_cndmask_b32_e32 v13, v17, v3, vcc_lo
	v_cmp_eq_u32_e64 s2, 5, v132
	v_cndmask_b32_e64 v1, v1, v3, s3
	v_cmp_eq_u32_e32 vcc_lo, 5, v131
	v_cmp_eq_u32_e64 s4, 5, v129
	v_cndmask_b32_e64 v2, v2, v7, s3
	v_cmp_eq_u32_e64 s3, 5, v130
	v_cmp_eq_u32_e64 s5, 6, v129
	v_lshrrev_b32_e32 v12, 16, v4
	v_cndmask_b32_e64 v3, v5, v11, s4
	v_cndmask_b32_e64 v5, v6, v15, s4
	;; [unrolled: 1-line block ×3, first 2 shown]
	v_cmp_eq_u32_e64 s4, 6, v130
	v_cndmask_b32_e64 v7, v10, v15, s3
	v_cndmask_b32_e64 v9, v13, v11, s2
	;; [unrolled: 1-line block ×3, first 2 shown]
	v_cndmask_b32_e32 v1, v1, v11, vcc_lo
	v_cndmask_b32_e32 v2, v2, v15, vcc_lo
	v_cmp_eq_u32_e32 vcc_lo, 6, v132
	v_cmp_eq_u32_e64 s2, 6, v131
	v_lshrrev_b32_e32 v16, 16, v8
	v_cndmask_b32_e64 v3, v3, v4, s5
	v_cndmask_b32_e64 v5, v5, v8, s5
	v_cndmask_b32_e32 v9, v9, v4, vcc_lo
	v_cndmask_b32_e64 v6, v6, v4, s4
	v_cndmask_b32_e64 v7, v7, v8, s4
	v_cmp_eq_u32_e64 s3, 7, v132
	v_cndmask_b32_e32 v10, v10, v8, vcc_lo
	v_cndmask_b32_e64 v1, v1, v4, s2
	v_cmp_eq_u32_e32 vcc_lo, 7, v131
	v_cndmask_b32_e64 v2, v2, v8, s2
	v_cmp_eq_u32_e64 s2, 7, v129
	v_cmp_eq_u32_e64 s4, 7, v130
	v_cndmask_b32_e32 v1, v1, v12, vcc_lo
	s_delay_alu instid0(VALU_DEP_4) | instskip(NEXT) | instid1(VALU_DEP_4)
	v_cndmask_b32_e32 v2, v2, v16, vcc_lo
	v_cndmask_b32_e64 v8, v3, v12, s2
	s_delay_alu instid0(VALU_DEP_4)
	v_cndmask_b32_e64 v6, v6, v12, s4
	v_cndmask_b32_e64 v3, v9, v12, s3
	;; [unrolled: 1-line block ×5, first 2 shown]
	v_perm_b32 v4, v2, v1, 0x5040100
	s_mov_b32 s2, exec_lo
	v_perm_b32 v3, v9, v3, 0x5040100
	v_perm_b32 v2, v7, v6, 0x5040100
	;; [unrolled: 1-line block ×3, first 2 shown]
	ds_store_b128 v134, v[1:4]
	s_waitcnt lgkmcnt(0)
	s_barrier
	buffer_gl0_inv
	v_cmpx_gt_u32_e32 32, v0
	s_cbranch_execz .LBB293_2
; %bb.15:
	s_load_b64 s[0:1], s[0:1], 0x68
	s_lshl_b32 s4, s34, 7
	v_or_b32_e32 v2, s31, v138
	s_mul_i32 s2, s4, s30
	v_lshlrev_b32_e32 v1, 10, v0
	s_mul_i32 s2, s2, s6
	v_lshlrev_b32_e32 v3, 4, v139
	v_mul_lo_u32 v0, v2, s4
	s_ashr_i32 s3, s2, 31
	v_lshlrev_b32_e32 v4, 6, v138
	v_and_b32_e32 v1, 0x3800, v1
	v_or_b32_e32 v5, 2, v2
	s_lshl_b64 s[2:3], s[2:3], 1
	v_or_b32_e32 v6, 4, v2
	v_or_b32_e32 v7, 6, v2
	v_or3_b32 v12, v1, v3, v4
	v_ashrrev_i32_e32 v1, 31, v0
	v_mul_lo_u32 v2, v5, s4
	v_mul_lo_u32 v16, v6, s4
	;; [unrolled: 1-line block ×3, first 2 shown]
	s_waitcnt lgkmcnt(0)
	s_add_u32 s2, s0, s2
	s_addc_u32 s3, s1, s3
	s_lshl_b32 s0, s14, 7
	v_lshlrev_b64 v[0:1], 1, v[0:1]
	s_ashr_i32 s1, s0, 31
	v_ashrrev_i32_e32 v3, 31, v2
	s_lshl_b64 s[0:1], s[0:1], 1
	v_ashrrev_i32_e32 v17, 31, v16
	s_add_u32 s0, s2, s0
	s_addc_u32 s1, s3, s1
	v_add_co_u32 v24, s0, s0, v137
	s_delay_alu instid0(VALU_DEP_1) | instskip(SKIP_1) | instid1(VALU_DEP_3)
	v_add_co_ci_u32_e64 v25, null, s1, 0, s0
	v_lshlrev_b64 v[22:23], 1, v[2:3]
	v_add_co_u32 v18, vcc_lo, v24, v0
	s_delay_alu instid0(VALU_DEP_3)
	v_add_co_ci_u32_e32 v19, vcc_lo, v25, v1, vcc_lo
	ds_load_b128 v[0:3], v12
	ds_load_b128 v[4:7], v12 offset:128
	ds_load_b128 v[8:11], v12 offset:256
	;; [unrolled: 1-line block ×3, first 2 shown]
	v_ashrrev_i32_e32 v21, 31, v20
	v_lshlrev_b64 v[16:17], 1, v[16:17]
	v_add_co_u32 v22, vcc_lo, v24, v22
	v_add_co_ci_u32_e32 v23, vcc_lo, v25, v23, vcc_lo
	s_delay_alu instid0(VALU_DEP_4) | instskip(NEXT) | instid1(VALU_DEP_4)
	v_lshlrev_b64 v[20:21], 1, v[20:21]
	v_add_co_u32 v16, vcc_lo, v24, v16
	v_add_co_ci_u32_e32 v17, vcc_lo, v25, v17, vcc_lo
	s_delay_alu instid0(VALU_DEP_3) | instskip(NEXT) | instid1(VALU_DEP_4)
	v_add_co_u32 v20, vcc_lo, v24, v20
	v_add_co_ci_u32_e32 v21, vcc_lo, v25, v21, vcc_lo
	s_waitcnt lgkmcnt(3)
	global_store_b128 v[18:19], v[0:3], off
	s_waitcnt lgkmcnt(2)
	global_store_b128 v[22:23], v[4:7], off
	;; [unrolled: 2-line block ×4, first 2 shown]
	s_nop 0
	s_sendmsg sendmsg(MSG_DEALLOC_VGPRS)
	s_endpgm
	.section	.rodata,"a",@progbits
	.p2align	6, 0x0
	.amdhsa_kernel _Z39paged_attention_ll4mi_QKV_mfma16_kernelIDF16_DF16_LN4vllm18Fp8KVCacheDataTypeE0EDF16_Li16ELi128ELi256ELb0ELi8EL8MFMAType0EEvPKT_PKT0_S8_ifPKiSA_SA_iPKfiiiPfSD_PS3_PT2_iSC_SC_
		.amdhsa_group_segment_fixed_size 17472
		.amdhsa_private_segment_fixed_size 0
		.amdhsa_kernarg_size 400
		.amdhsa_user_sgpr_count 13
		.amdhsa_user_sgpr_dispatch_ptr 0
		.amdhsa_user_sgpr_queue_ptr 0
		.amdhsa_user_sgpr_kernarg_segment_ptr 1
		.amdhsa_user_sgpr_dispatch_id 0
		.amdhsa_user_sgpr_private_segment_size 0
		.amdhsa_wavefront_size32 1
		.amdhsa_uses_dynamic_stack 0
		.amdhsa_enable_private_segment 0
		.amdhsa_system_sgpr_workgroup_id_x 1
		.amdhsa_system_sgpr_workgroup_id_y 1
		.amdhsa_system_sgpr_workgroup_id_z 1
		.amdhsa_system_sgpr_workgroup_info 0
		.amdhsa_system_vgpr_workitem_id 0
		.amdhsa_next_free_vgpr 218
		.amdhsa_next_free_sgpr 52
		.amdhsa_reserve_vcc 1
		.amdhsa_float_round_mode_32 0
		.amdhsa_float_round_mode_16_64 0
		.amdhsa_float_denorm_mode_32 3
		.amdhsa_float_denorm_mode_16_64 3
		.amdhsa_dx10_clamp 1
		.amdhsa_ieee_mode 1
		.amdhsa_fp16_overflow 0
		.amdhsa_workgroup_processor_mode 1
		.amdhsa_memory_ordered 1
		.amdhsa_forward_progress 0
		.amdhsa_shared_vgpr_count 0
		.amdhsa_exception_fp_ieee_invalid_op 0
		.amdhsa_exception_fp_denorm_src 0
		.amdhsa_exception_fp_ieee_div_zero 0
		.amdhsa_exception_fp_ieee_overflow 0
		.amdhsa_exception_fp_ieee_underflow 0
		.amdhsa_exception_fp_ieee_inexact 0
		.amdhsa_exception_int_div_zero 0
	.end_amdhsa_kernel
	.section	.text._Z39paged_attention_ll4mi_QKV_mfma16_kernelIDF16_DF16_LN4vllm18Fp8KVCacheDataTypeE0EDF16_Li16ELi128ELi256ELb0ELi8EL8MFMAType0EEvPKT_PKT0_S8_ifPKiSA_SA_iPKfiiiPfSD_PS3_PT2_iSC_SC_,"axG",@progbits,_Z39paged_attention_ll4mi_QKV_mfma16_kernelIDF16_DF16_LN4vllm18Fp8KVCacheDataTypeE0EDF16_Li16ELi128ELi256ELb0ELi8EL8MFMAType0EEvPKT_PKT0_S8_ifPKiSA_SA_iPKfiiiPfSD_PS3_PT2_iSC_SC_,comdat
.Lfunc_end293:
	.size	_Z39paged_attention_ll4mi_QKV_mfma16_kernelIDF16_DF16_LN4vllm18Fp8KVCacheDataTypeE0EDF16_Li16ELi128ELi256ELb0ELi8EL8MFMAType0EEvPKT_PKT0_S8_ifPKiSA_SA_iPKfiiiPfSD_PS3_PT2_iSC_SC_, .Lfunc_end293-_Z39paged_attention_ll4mi_QKV_mfma16_kernelIDF16_DF16_LN4vllm18Fp8KVCacheDataTypeE0EDF16_Li16ELi128ELi256ELb0ELi8EL8MFMAType0EEvPKT_PKT0_S8_ifPKiSA_SA_iPKfiiiPfSD_PS3_PT2_iSC_SC_
                                        ; -- End function
	.section	.AMDGPU.csdata,"",@progbits
; Kernel info:
; codeLenInByte = 8088
; NumSgprs: 54
; NumVgprs: 218
; ScratchSize: 0
; MemoryBound: 0
; FloatMode: 240
; IeeeMode: 1
; LDSByteSize: 17472 bytes/workgroup (compile time only)
; SGPRBlocks: 6
; VGPRBlocks: 27
; NumSGPRsForWavesPerEU: 54
; NumVGPRsForWavesPerEU: 218
; Occupancy: 6
; WaveLimiterHint : 1
; COMPUTE_PGM_RSRC2:SCRATCH_EN: 0
; COMPUTE_PGM_RSRC2:USER_SGPR: 13
; COMPUTE_PGM_RSRC2:TRAP_HANDLER: 0
; COMPUTE_PGM_RSRC2:TGID_X_EN: 1
; COMPUTE_PGM_RSRC2:TGID_Y_EN: 1
; COMPUTE_PGM_RSRC2:TGID_Z_EN: 1
; COMPUTE_PGM_RSRC2:TIDIG_COMP_CNT: 0
	.section	.text._Z39paged_attention_ll4mi_QKV_mfma16_kernelIDF16_DF16_LN4vllm18Fp8KVCacheDataTypeE0EDF16_Li16ELi128ELi256ELb0ELi9EL8MFMAType0EEvPKT_PKT0_S8_ifPKiSA_SA_iPKfiiiPfSD_PS3_PT2_iSC_SC_,"axG",@progbits,_Z39paged_attention_ll4mi_QKV_mfma16_kernelIDF16_DF16_LN4vllm18Fp8KVCacheDataTypeE0EDF16_Li16ELi128ELi256ELb0ELi9EL8MFMAType0EEvPKT_PKT0_S8_ifPKiSA_SA_iPKfiiiPfSD_PS3_PT2_iSC_SC_,comdat
	.protected	_Z39paged_attention_ll4mi_QKV_mfma16_kernelIDF16_DF16_LN4vllm18Fp8KVCacheDataTypeE0EDF16_Li16ELi128ELi256ELb0ELi9EL8MFMAType0EEvPKT_PKT0_S8_ifPKiSA_SA_iPKfiiiPfSD_PS3_PT2_iSC_SC_ ; -- Begin function _Z39paged_attention_ll4mi_QKV_mfma16_kernelIDF16_DF16_LN4vllm18Fp8KVCacheDataTypeE0EDF16_Li16ELi128ELi256ELb0ELi9EL8MFMAType0EEvPKT_PKT0_S8_ifPKiSA_SA_iPKfiiiPfSD_PS3_PT2_iSC_SC_
	.globl	_Z39paged_attention_ll4mi_QKV_mfma16_kernelIDF16_DF16_LN4vllm18Fp8KVCacheDataTypeE0EDF16_Li16ELi128ELi256ELb0ELi9EL8MFMAType0EEvPKT_PKT0_S8_ifPKiSA_SA_iPKfiiiPfSD_PS3_PT2_iSC_SC_
	.p2align	8
	.type	_Z39paged_attention_ll4mi_QKV_mfma16_kernelIDF16_DF16_LN4vllm18Fp8KVCacheDataTypeE0EDF16_Li16ELi128ELi256ELb0ELi9EL8MFMAType0EEvPKT_PKT0_S8_ifPKiSA_SA_iPKfiiiPfSD_PS3_PT2_iSC_SC_,@function
_Z39paged_attention_ll4mi_QKV_mfma16_kernelIDF16_DF16_LN4vllm18Fp8KVCacheDataTypeE0EDF16_Li16ELi128ELi256ELb0ELi9EL8MFMAType0EEvPKT_PKT0_S8_ifPKiSA_SA_iPKfiiiPfSD_PS3_PT2_iSC_SC_: ; @_Z39paged_attention_ll4mi_QKV_mfma16_kernelIDF16_DF16_LN4vllm18Fp8KVCacheDataTypeE0EDF16_Li16ELi128ELi256ELb0ELi9EL8MFMAType0EEvPKT_PKT0_S8_ifPKiSA_SA_iPKfiiiPfSD_PS3_PT2_iSC_SC_
; %bb.0:
	s_load_b64 s[4:5], s[0:1], 0x30
	s_mov_b32 s34, s13
	s_waitcnt lgkmcnt(0)
	s_cmp_lg_u64 s[4:5], 0
	s_cselect_b32 s8, -1, 0
	s_ashr_i32 s35, s13, 31
	s_cmp_eq_u64 s[4:5], 0
	s_cbranch_scc1 .LBB294_3
; %bb.1:
	s_lshl_b64 s[2:3], s[34:35], 2
	s_delay_alu instid0(SALU_CYCLE_1) | instskip(SKIP_4) | instid1(SALU_CYCLE_1)
	s_add_u32 s2, s4, s2
	s_addc_u32 s3, s5, s3
	s_load_b64 s[2:3], s[2:3], 0x0
	s_waitcnt lgkmcnt(0)
	s_sub_i32 s2, s3, s2
	s_cmp_eq_u32 s2, 1
	s_cselect_b32 s2, -1, 0
	s_delay_alu instid0(SALU_CYCLE_1)
	s_and_not1_b32 vcc_lo, exec_lo, s2
	s_cbranch_vccz .LBB294_4
.LBB294_2:
	s_nop 0
	s_sendmsg sendmsg(MSG_DEALLOC_VGPRS)
	s_endpgm
.LBB294_3:
.LBB294_4:
	s_load_b64 s[2:3], s[0:1], 0x28
	s_lshl_b64 s[6:7], s[34:35], 2
	s_waitcnt lgkmcnt(0)
	s_add_u32 s2, s2, s6
	s_addc_u32 s3, s3, s7
	s_lshl_b32 s29, s14, 8
	s_load_b32 s28, s[2:3], 0x0
	s_waitcnt lgkmcnt(0)
	s_cmp_ge_i32 s29, s28
	s_cbranch_scc1 .LBB294_2
; %bb.5:
	s_clause 0x1
	s_load_b128 s[20:23], s[0:1], 0x8
	s_load_b64 s[2:3], s[0:1], 0x20
	s_and_not1_b32 vcc_lo, exec_lo, s8
	s_cbranch_vccnz .LBB294_7
; %bb.6:
	s_add_u32 s4, s4, s6
	s_addc_u32 s5, s5, s7
	s_load_b32 s5, s[4:5], 0x0
	s_branch .LBB294_8
.LBB294_7:
	s_mov_b32 s5, s34
.LBB294_8:
	s_load_b128 s[16:19], s[0:1], 0x48
	v_and_b32_e32 v140, 15, v0
	v_lshrrev_b32_e32 v141, 5, v0
	v_bfe_u32 v138, v0, 4, 1
	v_and_b32_e32 v142, 31, v0
	v_and_b32_e32 v139, 1, v0
	v_lshlrev_b32_e32 v2, 3, v140
	s_mul_i32 s31, s15, 9
	v_lshl_or_b32 v1, v141, 1, v138
	s_mov_b32 s4, exec_lo
	s_delay_alu instid0(VALU_DEP_2) | instskip(NEXT) | instid1(VALU_DEP_2)
	v_lshlrev_b32_e32 v137, 1, v2
	v_cmpx_gt_u32_e32 9, v1
	s_cbranch_execz .LBB294_10
; %bb.9:
	s_load_b64 s[6:7], s[0:1], 0x0
	v_add_lshl_u32 v2, v1, s31, 7
	s_waitcnt lgkmcnt(0)
	s_mul_hi_i32 s9, s5, s16
	s_mul_i32 s8, s5, s16
	v_lshlrev_b32_e32 v6, 10, v140
	s_lshl_b64 s[8:9], s[8:9], 1
	v_ashrrev_i32_e32 v3, 31, v2
	v_lshlrev_b32_e32 v1, 6, v1
	v_lshlrev_b32_e32 v7, 10, v139
	v_and_b32_e32 v6, 0x3800, v6
	s_delay_alu instid0(VALU_DEP_4) | instskip(NEXT) | instid1(VALU_DEP_2)
	v_lshlrev_b64 v[2:3], 1, v[2:3]
	v_or3_b32 v1, v6, v7, v1
	s_add_u32 s5, s6, s8
	s_addc_u32 s6, s7, s9
	s_delay_alu instid0(VALU_DEP_2) | instskip(NEXT) | instid1(VALU_DEP_3)
	v_add_co_u32 v2, vcc_lo, s5, v2
	v_add_co_ci_u32_e32 v3, vcc_lo, s6, v3, vcc_lo
	s_delay_alu instid0(VALU_DEP_2) | instskip(NEXT) | instid1(VALU_DEP_2)
	v_add_co_u32 v2, vcc_lo, v2, v137
	v_add_co_ci_u32_e32 v3, vcc_lo, 0, v3, vcc_lo
	global_load_b128 v[2:5], v[2:3], off
	s_waitcnt vmcnt(0)
	ds_store_b128 v1, v[2:5]
.LBB294_10:
	s_or_b32 exec_lo, exec_lo, s4
	v_and_b32_e32 v1, 0xef, v0
	s_waitcnt lgkmcnt(0)
	s_add_i32 s5, s28, 15
	s_clause 0x1
	s_load_b32 s4, s[0:1], 0x38
	s_load_b32 s33, s[0:1], 0x98
	s_ashr_i32 s6, s5, 31
	v_add_nc_u32_e32 v1, s29, v1
	s_lshr_b32 s6, s6, 28
	s_load_b32 s30, s[0:1], 0x1c
	s_add_i32 s5, s5, s6
	s_waitcnt lgkmcnt(0)
	v_ashrrev_i32_e32 v2, 31, v1
	v_cmp_gt_i32_e32 vcc_lo, s28, v1
	s_ashr_i32 s16, s5, 4
	s_barrier
	s_add_i32 s16, s16, -1
	v_lshrrev_b32_e32 v3, 28, v2
	v_or_b32_e32 v2, 16, v1
	buffer_gl0_inv
	v_add_nc_u32_e32 v105, -9, v140
	v_lshlrev_b32_e32 v106, 5, v140
	v_add_nc_u32_e32 v4, v1, v3
	v_add_nc_u32_e32 v3, v2, v3
	s_mul_i32 s4, s34, s4
	s_delay_alu instid0(SALU_CYCLE_1) | instskip(NEXT) | instid1(VALU_DEP_2)
	s_ashr_i32 s5, s4, 31
	v_ashrrev_i32_e32 v4, 4, v4
	s_delay_alu instid0(VALU_DEP_2)
	v_ashrrev_i32_e32 v3, 4, v3
	s_lshl_b64 s[4:5], s[4:5], 2
	v_lshl_or_b32 v125, v141, 9, v106
	s_add_u32 s35, s2, s4
	v_cndmask_b32_e32 v1, s16, v4, vcc_lo
	v_cmp_gt_i32_e32 vcc_lo, s28, v2
	s_addc_u32 s36, s3, s5
	s_mul_i32 s2, s15, s18
	s_delay_alu instid0(VALU_DEP_2) | instskip(SKIP_2) | instid1(SALU_CYCLE_1)
	v_ashrrev_i32_e32 v2, 31, v1
	v_cndmask_b32_e32 v3, s16, v3, vcc_lo
	s_ashr_i32 s3, s2, 31
	s_lshl_b64 s[2:3], s[2:3], 1
	s_delay_alu instid0(VALU_DEP_2) | instskip(NEXT) | instid1(VALU_DEP_2)
	v_lshlrev_b64 v[1:2], 2, v[1:2]
	v_ashrrev_i32_e32 v4, 31, v3
	s_add_u32 s24, s20, s2
	s_addc_u32 s25, s21, s3
	s_lshl_b32 s4, s14, 4
	s_delay_alu instid0(VALU_DEP_1) | instskip(SKIP_3) | instid1(VALU_DEP_3)
	v_lshlrev_b64 v[3:4], 2, v[3:4]
	v_add_co_u32 v1, vcc_lo, s35, v1
	v_add_co_ci_u32_e32 v2, vcc_lo, s36, v2, vcc_lo
	s_ashr_i32 s5, s4, 31
	v_add_co_u32 v3, vcc_lo, s35, v3
	s_delay_alu instid0(VALU_DEP_4)
	v_add_co_ci_u32_e32 v4, vcc_lo, s36, v4, vcc_lo
	s_lshl_b64 s[4:5], s[4:5], 2
	s_clause 0x1
	global_load_b32 v5, v[1:2], off
	global_load_b32 v6, v[3:4], off
	s_add_u32 s4, s35, s4
	s_addc_u32 s5, s36, s5
	s_or_b32 s6, s29, 16
	v_lshlrev_b32_e32 v3, 4, v0
	s_ashr_i32 s7, s6, 4
	s_cmp_lt_i32 s6, s28
	s_cselect_b32 s6, s7, s16
	s_delay_alu instid0(SALU_CYCLE_1) | instskip(NEXT) | instid1(SALU_CYCLE_1)
	s_ashr_i32 s7, s6, 31
	s_lshl_b64 s[6:7], s[6:7], 2
	s_delay_alu instid0(SALU_CYCLE_1) | instskip(SKIP_2) | instid1(SALU_CYCLE_1)
	s_add_u32 s6, s35, s6
	s_addc_u32 s7, s36, s7
	s_or_b32 s8, s29, 32
	s_ashr_i32 s9, s8, 4
	s_cmp_lt_i32 s8, s28
	s_cselect_b32 s8, s9, s16
	s_delay_alu instid0(SALU_CYCLE_1) | instskip(NEXT) | instid1(SALU_CYCLE_1)
	s_ashr_i32 s9, s8, 31
	s_lshl_b64 s[8:9], s[8:9], 2
	s_delay_alu instid0(SALU_CYCLE_1) | instskip(SKIP_2) | instid1(SALU_CYCLE_1)
	s_add_u32 s8, s35, s8
	s_addc_u32 s9, s36, s9
	s_or_b32 s10, s29, 48
	;; [unrolled: 10-line block ×4, first 2 shown]
	s_ashr_i32 s13, s12, 4
	s_cmp_lt_i32 s12, s28
	s_cselect_b32 s12, s13, s16
	s_delay_alu instid0(SALU_CYCLE_1) | instskip(NEXT) | instid1(SALU_CYCLE_1)
	s_ashr_i32 s13, s12, 31
	s_lshl_b64 s[12:13], s[12:13], 2
	s_delay_alu instid0(SALU_CYCLE_1)
	s_add_u32 s20, s35, s12
	s_addc_u32 s21, s36, s13
	s_clause 0x5
	s_load_b32 s37, s[4:5], 0x0
	s_load_b32 s27, s[6:7], 0x0
	s_load_b32 s26, s[8:9], 0x0
	s_load_b32 s13, s[10:11], 0x0
	s_load_b32 s12, s[18:19], 0x0
	s_load_b32 s15, s[20:21], 0x0
	s_waitcnt vmcnt(1)
	v_mad_i64_i32 v[1:2], null, v5, s17, 0
	v_and_b32_e32 v5, 0xf0, v3
	s_waitcnt vmcnt(0)
	v_mad_i64_i32 v[3:4], null, v6, s17, 0
	s_delay_alu instid0(VALU_DEP_2) | instskip(NEXT) | instid1(VALU_DEP_4)
	v_add_co_u32 v5, s4, s24, v5
	v_lshlrev_b64 v[1:2], 1, v[1:2]
	v_add_co_ci_u32_e64 v6, null, s25, 0, s4
	s_delay_alu instid0(VALU_DEP_4) | instskip(SKIP_1) | instid1(VALU_DEP_3)
	v_lshlrev_b64 v[3:4], 1, v[3:4]
	s_or_b32 s4, s29, 0x60
	v_add_co_u32 v121, vcc_lo, v5, v1
	s_delay_alu instid0(VALU_DEP_3) | instskip(NEXT) | instid1(VALU_DEP_3)
	v_add_co_ci_u32_e32 v122, vcc_lo, v6, v2, vcc_lo
	v_add_co_u32 v123, vcc_lo, v5, v3
	s_delay_alu instid0(VALU_DEP_4)
	v_add_co_ci_u32_e32 v124, vcc_lo, v6, v4, vcc_lo
	s_clause 0x19
	global_load_b128 v[89:92], v[121:122], off
	global_load_b128 v[93:96], v[121:122], off offset:256
	global_load_b128 v[97:100], v[123:124], off
	global_load_b128 v[101:104], v[123:124], off offset:256
	global_load_b128 v[81:84], v[121:122], off offset:512
	;; [unrolled: 1-line block ×23, first 2 shown]
	s_ashr_i32 s5, s4, 4
	s_cmp_lt_i32 s4, s28
	v_cmp_gt_u32_e32 vcc_lo, 9, v140
	s_cselect_b32 s4, s5, s16
	s_delay_alu instid0(SALU_CYCLE_1) | instskip(NEXT) | instid1(SALU_CYCLE_1)
	s_ashr_i32 s5, s4, 31
	s_lshl_b64 s[4:5], s[4:5], 2
	v_cndmask_b32_e32 v105, v105, v140, vcc_lo
	s_add_u32 s18, s35, s4
	s_addc_u32 s19, s36, s5
	s_or_b32 s4, s29, 0x70
	s_delay_alu instid0(SALU_CYCLE_1)
	s_ashr_i32 s5, s4, 4
	s_cmp_lt_i32 s4, s28
	v_lshlrev_b32_e32 v215, 6, v105
	s_cselect_b32 s6, s5, s16
	ds_load_b128 v[105:108], v215
	ds_load_b128 v[109:112], v215 offset:1024
	s_ashr_i32 s7, s6, 31
	ds_load_b128 v[113:116], v215 offset:2048
	ds_load_b128 v[117:120], v215 offset:3072
	;; [unrolled: 1-line block ×8, first 2 shown]
	s_clause 0x1
	global_load_b128 v[167:170], v[123:124], off offset:3072
	global_load_b128 v[171:174], v[123:124], off offset:3328
	s_lshl_b64 s[6:7], s[6:7], 2
	s_mov_b32 s4, 0
	s_add_u32 s20, s35, s6
	s_addc_u32 s21, s36, s7
	s_clause 0x1
	s_load_b32 s41, s[18:19], 0x0
	s_load_b32 s46, s[20:21], 0x0
	s_clause 0x3
	global_load_b128 v[175:178], v[121:122], off offset:3584
	global_load_b128 v[179:182], v[121:122], off offset:3840
	;; [unrolled: 1-line block ×4, first 2 shown]
	s_or_b32 s7, s29, 0x80
	s_mov_b32 s5, s4
	s_ashr_i32 s8, s7, 4
	s_cmp_lt_i32 s7, s28
	s_mov_b32 s6, s4
	s_cselect_b32 s10, s8, s16
	s_mov_b32 s7, s4
	s_ashr_i32 s11, s10, 31
	s_mov_b32 s8, s4
	s_lshl_b64 s[24:25], s[10:11], 2
	s_mov_b32 s9, s4
	s_add_u32 s24, s35, s24
	s_addc_u32 s25, s36, s25
	s_or_b32 s11, s29, 0x90
	s_mov_b32 s10, s4
	s_ashr_i32 s38, s11, 4
	s_cmp_lt_i32 s11, s28
	s_mov_b32 s11, s4
	s_cselect_b32 s38, s38, s16
	v_mov_b32_e32 v136, s11
	s_ashr_i32 s39, s38, 31
	v_dual_mov_b32 v135, s10 :: v_dual_mov_b32 v134, s9
	v_dual_mov_b32 v133, s8 :: v_dual_mov_b32 v132, s7
	;; [unrolled: 1-line block ×3, first 2 shown]
	v_mov_b32_e32 v129, s4
	s_lshl_b64 s[4:5], s[38:39], 2
	s_waitcnt lgkmcnt(0)
	s_mul_hi_i32 s7, s27, s17
	s_add_u32 s38, s35, s4
	s_addc_u32 s39, s36, s5
	s_or_b32 s4, s29, 0xa0
	s_load_b32 s40, s[38:39], 0x0
	s_ashr_i32 s5, s4, 4
	s_cmp_lt_i32 s4, s28
	s_cselect_b32 s4, s5, s16
	s_delay_alu instid0(SALU_CYCLE_1) | instskip(NEXT) | instid1(SALU_CYCLE_1)
	s_ashr_i32 s5, s4, 31
	s_lshl_b64 s[4:5], s[4:5], 2
	s_delay_alu instid0(SALU_CYCLE_1)
	s_add_u32 s42, s35, s4
	s_addc_u32 s43, s36, s5
	s_or_b32 s4, s29, 0xb0
	s_load_b32 s39, s[42:43], 0x0
	s_ashr_i32 s6, s4, 4
	s_cmp_lt_i32 s4, s28
	s_mul_hi_i32 s5, s37, s17
	s_cselect_b32 s8, s6, s16
	s_mul_i32 s6, s27, s17
	s_ashr_i32 s9, s8, 31
	s_mul_i32 s4, s37, s17
	s_lshl_b64 s[10:11], s[8:9], 2
	s_mul_hi_i32 s9, s26, s17
	s_add_u32 s44, s35, s10
	s_addc_u32 s45, s36, s11
	s_or_b32 s10, s29, 0xc0
	s_mul_i32 s8, s26, s17
	s_ashr_i32 s26, s10, 4
	s_cmp_lt_i32 s10, s28
	s_mul_hi_i32 s11, s13, s17
	s_cselect_b32 s26, s26, s16
	s_mul_i32 s10, s13, s17
	s_ashr_i32 s27, s26, 31
	s_mul_hi_i32 s13, s12, s17
	s_lshl_b64 s[26:27], s[26:27], 2
	s_mul_i32 s12, s12, s17
	s_add_u32 s20, s35, s26
	s_addc_u32 s21, s36, s27
	s_or_b32 s18, s29, 0xd0
	s_load_b32 s26, s[24:25], 0x0
	s_ashr_i32 s19, s18, 4
	s_cmp_lt_i32 s18, s28
	s_mul_i32 s18, s15, s17
	s_cselect_b32 s24, s19, s16
	s_mul_hi_i32 s19, s15, s17
	s_ashr_i32 s25, s24, 31
	s_delay_alu instid0(SALU_CYCLE_1) | instskip(NEXT) | instid1(SALU_CYCLE_1)
	s_lshl_b64 s[24:25], s[24:25], 2
	s_add_u32 s24, s35, s24
	s_addc_u32 s25, s36, s25
	s_or_b32 s42, s29, 0xe0
	s_clause 0x2
	s_load_b32 s38, s[44:45], 0x0
	s_load_b32 s37, s[20:21], 0x0
	;; [unrolled: 1-line block ×3, first 2 shown]
	s_ashr_i32 s43, s42, 4
	s_cmp_lt_i32 s42, s28
	s_mul_hi_i32 s25, s46, s17
	s_cselect_b32 s42, s43, s16
	s_mul_i32 s24, s46, s17
	s_ashr_i32 s43, s42, 31
	s_mul_hi_i32 s21, s41, s17
	s_lshl_b64 s[42:43], s[42:43], 2
	s_mul_i32 s20, s41, s17
	s_add_u32 s42, s35, s42
	s_addc_u32 s43, s36, s43
	s_or_b32 s46, s29, 0xf0
	s_waitcnt lgkmcnt(0)
	s_mul_hi_i32 s27, s26, s17
	s_ashr_i32 s47, s46, 4
	s_cmp_lt_i32 s46, s28
	s_mul_i32 s26, s26, s17
	s_cselect_b32 s46, s47, s16
	s_mul_hi_i32 s41, s40, s17
	s_ashr_i32 s47, s46, 31
	s_mul_hi_i32 s51, s15, s17
	s_lshl_b64 s[46:47], s[46:47], 2
	s_mul_i32 s50, s15, s17
	s_add_u32 s46, s35, s46
	s_addc_u32 s47, s36, s47
	s_add_u32 s15, s22, s2
	s_addc_u32 s16, s23, s3
	v_add_co_u32 v216, s15, s15, v125
	s_delay_alu instid0(VALU_DEP_1) | instskip(SKIP_2) | instid1(VALU_DEP_2)
	v_add_co_ci_u32_e64 v217, null, s16, 0, s15
	s_lshl_b64 s[2:3], s[4:5], 1
	s_lshl_b64 s[4:5], s[6:7], 1
	v_add_co_u32 v125, vcc_lo, v216, s2
	s_delay_alu instid0(VALU_DEP_2)
	v_add_co_ci_u32_e32 v126, vcc_lo, s3, v217, vcc_lo
	v_add_co_u32 v199, vcc_lo, v216, s4
	s_lshl_b64 s[6:7], s[8:9], 1
	v_add_co_ci_u32_e32 v200, vcc_lo, s5, v217, vcc_lo
	s_lshl_b64 s[8:9], s[10:11], 1
	s_lshl_b64 s[10:11], s[12:13], 1
	;; [unrolled: 1-line block ×6, first 2 shown]
	s_mul_i32 s40, s40, s17
	s_mul_hi_i32 s45, s39, s17
	s_lshl_b64 s[24:25], s[40:41], 1
	s_mul_i32 s44, s39, s17
	s_mul_hi_i32 s39, s38, s17
	s_lshl_b64 s[26:27], s[44:45], 1
	s_mul_i32 s38, s38, s17
	s_mul_hi_i32 s49, s37, s17
	s_mul_i32 s48, s37, s17
	s_lshl_b64 s[36:37], s[38:39], 1
	s_lshl_b64 s[38:39], s[48:49], 1
	s_clause 0x1
	s_load_b32 s15, s[42:43], 0x0
	s_load_b32 s16, s[46:47], 0x0
	s_lshl_b64 s[40:41], s[50:51], 1
	s_waitcnt lgkmcnt(0)
	s_mul_hi_i32 s3, s15, s17
	s_mul_i32 s2, s15, s17
	s_mul_hi_i32 s5, s16, s17
	s_lshl_b64 s[2:3], s[2:3], 1
	s_mul_i32 s4, s16, s17
	s_waitcnt vmcnt(30)
	v_wmma_f32_16x16x16_f16 v[191:198], v[89:96], v[105:112], v[129:136]
	v_add_co_u32 v89, vcc_lo, v216, s6
	v_add_co_ci_u32_e32 v90, vcc_lo, s7, v217, vcc_lo
	v_add_co_u32 v91, vcc_lo, v216, s8
	v_add_co_ci_u32_e32 v92, vcc_lo, s9, v217, vcc_lo
	;; [unrolled: 2-line block ×5, first 2 shown]
	v_add_co_u32 v205, vcc_lo, v216, s20
	s_waitcnt vmcnt(28)
	v_wmma_f32_16x16x16_f16 v[129:136], v[97:104], v[105:112], v[129:136]
	v_add_co_ci_u32_e32 v206, vcc_lo, s21, v217, vcc_lo
	v_add_co_u32 v207, vcc_lo, v216, s22
	v_add_co_ci_u32_e32 v208, vcc_lo, s23, v217, vcc_lo
	v_add_co_u32 v209, vcc_lo, v216, s24
	s_waitcnt vmcnt(26)
	v_wmma_f32_16x16x16_f16 v[191:198], v[81:88], v[113:120], v[191:198]
	s_waitcnt vmcnt(24)
	v_wmma_f32_16x16x16_f16 v[129:136], v[73:80], v[113:120], v[129:136]
	v_add_co_ci_u32_e32 v210, vcc_lo, s25, v217, vcc_lo
	v_add_co_u32 v211, vcc_lo, v216, s26
	v_add_co_ci_u32_e32 v212, vcc_lo, s27, v217, vcc_lo
	v_add_co_u32 v213, vcc_lo, v216, s36
	s_waitcnt vmcnt(22)
	v_wmma_f32_16x16x16_f16 v[191:198], v[65:72], v[143:150], v[191:198]
	s_waitcnt vmcnt(20)
	v_wmma_f32_16x16x16_f16 v[129:136], v[57:64], v[143:150], v[129:136]
	v_add_co_ci_u32_e32 v214, vcc_lo, s37, v217, vcc_lo
	v_add_co_u32 v143, vcc_lo, v216, s38
	s_waitcnt vmcnt(18)
	v_wmma_f32_16x16x16_f16 v[191:198], v[49:56], v[151:158], v[191:198]
	s_waitcnt vmcnt(16)
	v_wmma_f32_16x16x16_f16 v[129:136], v[25:32], v[151:158], v[129:136]
	v_add_co_ci_u32_e32 v144, vcc_lo, s39, v217, vcc_lo
	s_clause 0x15
	global_load_b128 v[121:124], v[125:126], off
	global_load_b128 v[125:128], v[125:126], off offset:16
	global_load_b128 v[113:116], v[199:200], off
	global_load_b128 v[117:120], v[199:200], off offset:16
	;; [unrolled: 2-line block ×11, first 2 shown]
	s_waitcnt vmcnt(36)
	v_wmma_f32_16x16x16_f16 v[191:198], v[1:8], v[159:166], v[191:198]
	s_clause 0x1
	global_load_b128 v[1:4], v[213:214], off
	global_load_b128 v[5:8], v[213:214], off offset:16
	s_waitcnt vmcnt(36)
	v_wmma_f32_16x16x16_f16 v[129:136], v[9:16], v[159:166], v[129:136]
	s_clause 0x1
	global_load_b128 v[9:12], v[143:144], off
	global_load_b128 v[13:16], v[143:144], off offset:16
	ds_load_b128 v[143:146], v215 offset:10240
	ds_load_b128 v[147:150], v215 offset:11264
	ds_load_b128 v[151:154], v215 offset:12288
	ds_load_b128 v[155:158], v215 offset:13312
	v_add_co_u32 v199, vcc_lo, v216, s40
	v_add_co_ci_u32_e32 v200, vcc_lo, s41, v217, vcc_lo
	v_add_co_u32 v159, vcc_lo, v216, s2
	v_add_co_ci_u32_e32 v160, vcc_lo, s3, v217, vcc_lo
	s_lshl_b64 s[2:3], s[4:5], 1
	s_delay_alu instid0(SALU_CYCLE_1)
	v_add_co_u32 v161, vcc_lo, v216, s2
	v_add_co_ci_u32_e32 v162, vcc_lo, s3, v217, vcc_lo
	s_waitcnt vmcnt(36) lgkmcnt(2)
	v_wmma_f32_16x16x16_f16 v[191:198], v[33:40], v[143:150], v[191:198]
	s_waitcnt vmcnt(34)
	v_wmma_f32_16x16x16_f16 v[129:136], v[41:48], v[143:150], v[129:136]
	s_clause 0x3
	global_load_b128 v[33:36], v[199:200], off
	global_load_b128 v[37:40], v[199:200], off offset:16
	global_load_b128 v[41:44], v[159:160], off
	global_load_b128 v[45:48], v[159:160], off offset:16
	v_and_b32_e32 v143, 0xe0, v0
	v_mbcnt_lo_u32_b32 v159, -1, 0
	s_waitcnt vmcnt(36) lgkmcnt(0)
	v_wmma_f32_16x16x16_f16 v[191:198], v[17:24], v[151:158], v[191:198]
	s_clause 0x1
	global_load_b128 v[17:20], v[161:162], off
	global_load_b128 v[21:24], v[161:162], off offset:16
	s_waitcnt vmcnt(36)
	v_wmma_f32_16x16x16_f16 v[129:136], v[167:174], v[151:158], v[129:136]
	v_add_nc_u32_e32 v160, s29, v143
	ds_load_b128 v[143:146], v215 offset:14336
	ds_load_b128 v[147:150], v215 offset:15360
	v_xor_b32_e32 v151, 16, v159
	s_waitcnt vmcnt(0) lgkmcnt(0)
	s_barrier
	v_or_b32_e32 v152, v160, v138
	buffer_gl0_inv
	v_cmp_gt_i32_e32 vcc_lo, 32, v151
	v_or_b32_e32 v153, 2, v152
	v_or_b32_e32 v154, 4, v152
	;; [unrolled: 1-line block ×5, first 2 shown]
	v_cmp_gt_i32_e64 s2, s28, v153
	v_cmp_gt_i32_e64 s3, s28, v154
	;; [unrolled: 1-line block ×3, first 2 shown]
	v_or_b32_e32 v158, 12, v152
	v_cmp_gt_i32_e64 s5, s28, v156
	v_cmp_gt_i32_e64 s6, s28, v157
	v_wmma_f32_16x16x16_f16 v[191:198], v[175:182], v[143:150], v[191:198]
	v_wmma_f32_16x16x16_f16 v[129:136], v[183:190], v[143:150], v[129:136]
	v_cndmask_b32_e32 v151, v159, v151, vcc_lo
	v_cmp_gt_i32_e32 vcc_lo, s28, v152
	v_or_b32_e32 v159, 14, v152
	v_dual_mul_f32 v149, s30, v192 :: v_dual_mul_f32 v150, s30, v191
	v_dual_mul_f32 v147, s30, v194 :: v_dual_mul_f32 v148, s30, v193
	v_mul_f32_e32 v145, s30, v196
	s_delay_alu instid0(VALU_DEP_3) | instskip(NEXT) | instid1(VALU_DEP_4)
	v_cndmask_b32_e64 v149, 0xff7fffff, v149, s2
	v_cndmask_b32_e32 v150, 0xff7fffff, v150, vcc_lo
	v_mul_f32_e32 v146, s30, v195
	v_cndmask_b32_e64 v148, 0xff7fffff, v148, s3
	v_cndmask_b32_e64 v147, 0xff7fffff, v147, s4
	v_or_b32_e32 v160, 16, v152
	v_max3_f32 v149, v150, 0xff7fffff, v149
	v_or_b32_e32 v161, 18, v152
	v_dual_mul_f32 v143, s30, v198 :: v_dual_mul_f32 v144, s30, v197
	v_cndmask_b32_e64 v146, 0xff7fffff, v146, s5
	v_cndmask_b32_e64 v145, 0xff7fffff, v145, s6
	v_max3_f32 v147, v149, v148, v147
	v_cmp_gt_i32_e64 s7, s28, v158
	v_cmp_gt_i32_e64 s8, s28, v159
	v_or_b32_e32 v162, 20, v152
	v_or_b32_e32 v163, 22, v152
	v_dual_mul_f32 v174, s30, v130 :: v_dual_mul_f32 v175, s30, v129
	v_cndmask_b32_e64 v144, 0xff7fffff, v144, s7
	v_cndmask_b32_e64 v143, 0xff7fffff, v143, s8
	v_max3_f32 v145, v147, v146, v145
	v_cmp_gt_i32_e64 s9, s28, v160
	v_cmp_gt_i32_e64 s10, s28, v161
	v_or_b32_e32 v164, 24, v152
	;; [unrolled: 8-line block ×3, first 2 shown]
	v_or_b32_e32 v167, 30, v152
	v_dual_mul_f32 v170, s30, v134 :: v_dual_mul_f32 v171, s30, v133
	v_cndmask_b32_e64 v144, 0xff7fffff, v173, s11
	v_cndmask_b32_e64 v145, 0xff7fffff, v172, s12
	v_max3_f32 v143, v143, v146, v147
	v_cmp_gt_i32_e64 s13, s28, v164
	v_cmp_gt_i32_e64 s15, s28, v165
	v_dual_mul_f32 v168, s30, v136 :: v_dual_mul_f32 v169, s30, v135
	s_delay_alu instid0(VALU_DEP_4) | instskip(NEXT) | instid1(VALU_DEP_4)
	v_max3_f32 v143, v143, v144, v145
	v_cndmask_b32_e64 v146, 0xff7fffff, v171, s13
	s_delay_alu instid0(VALU_DEP_4) | instskip(SKIP_3) | instid1(VALU_DEP_4)
	v_cndmask_b32_e64 v147, 0xff7fffff, v170, s15
	v_cmp_gt_i32_e64 s16, s28, v166
	v_cmp_gt_i32_e64 s17, s28, v167
	v_lshlrev_b32_e32 v160, 2, v151
	v_max3_f32 v143, v143, v146, v147
	s_delay_alu instid0(VALU_DEP_4) | instskip(NEXT) | instid1(VALU_DEP_4)
	v_cndmask_b32_e64 v144, 0xff7fffff, v169, s16
	v_cndmask_b32_e64 v145, 0xff7fffff, v168, s17
	s_delay_alu instid0(VALU_DEP_1) | instskip(SKIP_3) | instid1(VALU_DEP_1)
	v_max3_f32 v143, v143, v144, v145
	ds_bpermute_b32 v144, v160, v143
	s_waitcnt lgkmcnt(0)
	v_max_f32_e32 v144, v144, v144
	v_max_f32_e32 v159, v143, v144
	s_delay_alu instid0(VALU_DEP_1) | instskip(SKIP_4) | instid1(VALU_DEP_4)
	v_fma_f32 v143, s30, v191, -v159
	v_fma_f32 v144, s30, v192, -v159
	;; [unrolled: 1-line block ×5, first 2 shown]
	v_dual_mul_f32 v143, 0x3fb8aa3b, v143 :: v_dual_mul_f32 v144, 0x3fb8aa3b, v144
	s_delay_alu instid0(VALU_DEP_4) | instskip(SKIP_2) | instid1(VALU_DEP_4)
	v_mul_f32_e32 v132, 0x3fb8aa3b, v132
	v_fma_f32 v134, s30, v134, -v159
	v_mul_f32_e32 v145, 0x3fb8aa3b, v145
	v_exp_f32_e32 v143, v143
	v_exp_f32_e32 v147, v144
	v_fma_f32 v148, s30, v195, -v159
	v_mul_f32_e32 v134, 0x3fb8aa3b, v134
	v_mul_f32_e32 v146, 0x3fb8aa3b, v146
	v_exp_f32_e32 v145, v145
	v_fma_f32 v149, s30, v196, -v159
	v_mul_f32_e32 v148, 0x3fb8aa3b, v148
	v_fma_f32 v151, s30, v197, -v159
	v_exp_f32_e32 v150, v146
	v_cndmask_b32_e32 v144, 0, v143, vcc_lo
	v_cndmask_b32_e64 v143, 0, v147, s2
	v_mul_f32_e32 v149, 0x3fb8aa3b, v149
	v_exp_f32_e32 v148, v148
	v_fma_f32 v152, s30, v198, -v159
	v_add_f32_e32 v147, 0, v144
	v_cndmask_b32_e64 v146, 0, v145, s3
	v_mul_f32_e32 v151, 0x3fb8aa3b, v151
	v_exp_f32_e32 v149, v149
	v_cndmask_b32_e64 v145, 0, v150, s4
	v_add_f32_e32 v147, v147, v143
	v_fma_f32 v129, s30, v129, -v159
	v_mul_f32_e32 v150, 0x3fb8aa3b, v152
	v_exp_f32_e32 v151, v151
	v_cndmask_b32_e64 v148, 0, v148, s5
	v_add_f32_e32 v147, v147, v146
	v_fma_f32 v130, s30, v130, -v159
	v_mul_f32_e32 v129, 0x3fb8aa3b, v129
	v_exp_f32_e32 v153, v150
	v_fma_f32 v131, s30, v131, -v159
	v_add_f32_e32 v152, v147, v145
	v_cndmask_b32_e64 v147, 0, v149, s6
	v_mul_f32_e32 v130, 0x3fb8aa3b, v130
	v_exp_f32_e32 v129, v129
	v_cndmask_b32_e64 v150, 0, v151, s7
	v_add_f32_e32 v149, v152, v148
	v_mul_f32_e32 v131, 0x3fb8aa3b, v131
	v_exp_f32_e32 v130, v130
	v_fma_f32 v133, s30, v133, -v159
	v_exp_f32_e32 v132, v132
	v_add_f32_e32 v151, v149, v147
	v_cndmask_b32_e64 v149, 0, v153, s8
	v_exp_f32_e32 v131, v131
	v_cndmask_b32_e64 v152, 0, v129, s9
	v_mul_f32_e32 v133, 0x3fb8aa3b, v133
	v_add_f32_e32 v151, v151, v150
	v_cmp_gt_u32_e64 s2, 16, v142
	s_delay_alu instid0(VALU_DEP_3) | instskip(NEXT) | instid1(VALU_DEP_2)
	v_exp_f32_e32 v133, v133
	v_add_f32_e32 v129, v151, v149
	v_cndmask_b32_e64 v151, 0, v130, s10
	v_fma_f32 v130, s30, v135, -v159
	s_delay_alu instid0(TRANS32_DEP_2)
	v_cndmask_b32_e64 v154, 0, v131, s11
	v_exp_f32_e32 v131, v134
	v_add_f32_e32 v129, v129, v152
	v_cndmask_b32_e64 v153, 0, v132, s12
	v_mul_f32_e32 v130, 0x3fb8aa3b, v130
	v_fma_f32 v132, s30, v136, -v159
	v_cndmask_b32_e64 v156, 0, v133, s13
	v_add_f32_e32 v129, v129, v151
	s_delay_alu instid0(VALU_DEP_4) | instskip(NEXT) | instid1(VALU_DEP_3)
	v_exp_f32_e32 v130, v130
	v_mul_f32_e32 v132, 0x3fb8aa3b, v132
	s_delay_alu instid0(TRANS32_DEP_2) | instskip(NEXT) | instid1(VALU_DEP_3)
	v_cndmask_b32_e64 v155, 0, v131, s15
	v_add_f32_e32 v129, v129, v154
	s_delay_alu instid0(VALU_DEP_3) | instskip(NEXT) | instid1(VALU_DEP_1)
	v_exp_f32_e32 v131, v132
	v_add_f32_e32 v129, v129, v153
	s_waitcnt_depctr 0xfff
	v_cndmask_b32_e64 v158, 0, v130, s16
	v_add_f32_e32 v129, v129, v156
	v_cndmask_b32_e64 v157, 0, v131, s17
	s_delay_alu instid0(VALU_DEP_2) | instskip(NEXT) | instid1(VALU_DEP_1)
	v_add_f32_e32 v129, v129, v155
	v_add_f32_e32 v129, v129, v158
	s_delay_alu instid0(VALU_DEP_1)
	v_add_f32_e32 v129, v129, v157
	ds_bpermute_b32 v130, v160, v129
	s_and_saveexec_b32 s3, s2
	s_cbranch_execz .LBB294_12
; %bb.11:
	v_mul_u32_u24_e32 v131, 0x44, v141
	s_delay_alu instid0(VALU_DEP_1) | instskip(SKIP_1) | instid1(VALU_DEP_1)
	v_lshl_add_u32 v131, v140, 2, v131
	s_waitcnt lgkmcnt(0)
	v_dual_add_f32 v129, v129, v130 :: v_dual_add_nc_u32 v130, 0x4000, v131
	ds_store_2addr_b32 v130, v159, v129 offset1:136
.LBB294_12:
	s_or_b32 exec_lo, exec_lo, s3
	v_lshlrev_b32_e32 v129, 2, v140
	s_load_b32 s35, s[0:1], 0x94
	s_waitcnt lgkmcnt(0)
	s_barrier
	buffer_gl0_inv
	v_add_nc_u32_e32 v135, 0x4000, v129
	v_cmp_eq_u32_e32 vcc_lo, 1, v141
	v_cmp_eq_u32_e64 s3, 2, v141
	v_cmp_eq_u32_e64 s4, 3, v141
	;; [unrolled: 1-line block ×3, first 2 shown]
	ds_load_2addr_b32 v[129:130], v135 offset1:17
	ds_load_2addr_b32 v[131:132], v135 offset0:34 offset1:51
	ds_load_2addr_b32 v[133:134], v135 offset0:68 offset1:85
	ds_load_2addr_b32 v[159:160], v135 offset0:102 offset1:119
	v_cmp_eq_u32_e64 s6, 5, v141
	v_cmp_eq_u32_e64 s7, 7, v141
	s_waitcnt lgkmcnt(3)
	v_max3_f32 v136, v129, 0xff7fffff, v130
	s_waitcnt lgkmcnt(2)
	s_delay_alu instid0(VALU_DEP_1) | instskip(SKIP_1) | instid1(VALU_DEP_1)
	v_max3_f32 v136, v136, v131, v132
	s_waitcnt lgkmcnt(1)
	v_max3_f32 v136, v136, v133, v134
	s_waitcnt lgkmcnt(0)
	s_delay_alu instid0(VALU_DEP_1) | instskip(NEXT) | instid1(VALU_DEP_1)
	v_max3_f32 v136, v136, v159, v160
	v_sub_f32_e32 v142, v130, v136
	ds_load_2addr_b32 v[161:162], v135 offset0:136 offset1:153
	v_sub_f32_e32 v164, v132, v136
	v_mul_f32_e32 v142, 0x3fb8aa3b, v142
	s_delay_alu instid0(VALU_DEP_2) | instskip(NEXT) | instid1(VALU_DEP_2)
	v_mul_f32_e32 v164, 0x3fb8aa3b, v164
	v_exp_f32_e32 v166, v142
	v_sub_f32_e32 v129, v129, v136
	s_delay_alu instid0(VALU_DEP_2) | instskip(NEXT) | instid1(VALU_DEP_1)
	v_exp_f32_e32 v164, v164
	v_mul_f32_e32 v163, 0x3fb8aa3b, v129
	ds_load_2addr_b32 v[129:130], v135 offset0:170 offset1:187
	v_exp_f32_e32 v163, v163
	s_waitcnt lgkmcnt(1)
	s_waitcnt_depctr 0xfff
	v_fma_f32 v142, v163, v161, 0
	v_sub_f32_e32 v161, v134, v136
	s_delay_alu instid0(VALU_DEP_2) | instskip(NEXT) | instid1(VALU_DEP_1)
	v_dual_fmac_f32 v142, v166, v162 :: v_dual_sub_f32 v131, v131, v136
	v_mul_f32_e32 v165, 0x3fb8aa3b, v131
	ds_load_2addr_b32 v[131:132], v135 offset0:204 offset1:221
	v_exp_f32_e32 v165, v165
	s_waitcnt lgkmcnt(1)
	s_waitcnt_depctr 0xfff
	v_fmac_f32_e32 v142, v165, v129
	v_sub_f32_e32 v133, v133, v136
	v_sub_f32_e32 v129, v160, v136
	s_delay_alu instid0(VALU_DEP_2) | instskip(NEXT) | instid1(VALU_DEP_2)
	v_dual_fmac_f32 v142, v164, v130 :: v_dual_mul_f32 v167, 0x3fb8aa3b, v133
	v_mul_f32_e32 v129, 0x3fb8aa3b, v129
	ds_load_2addr_b32 v[133:134], v135 offset0:238 offset1:255
	v_cndmask_b32_e32 v130, v163, v166, vcc_lo
	s_waitcnt lgkmcnt(0)
	s_barrier
	v_exp_f32_e32 v162, v129
	v_sub_f32_e32 v135, v159, v136
	v_mul_f32_e32 v159, 0x3fb8aa3b, v161
	v_exp_f32_e32 v161, v167
	buffer_gl0_inv
	v_exp_f32_e32 v159, v159
	v_fmac_f32_e32 v142, v161, v131
	s_waitcnt_depctr 0xfff
	v_dual_mul_f32 v135, 0x3fb8aa3b, v135 :: v_dual_fmac_f32 v142, v159, v132
	s_delay_alu instid0(VALU_DEP_1) | instskip(SKIP_2) | instid1(VALU_DEP_1)
	v_exp_f32_e32 v160, v135
	s_waitcnt_depctr 0xfff
	v_dual_fmac_f32 v142, v160, v133 :: v_dual_lshlrev_b32 v133, 6, v140
	v_fmac_f32_e32 v142, v162, v134
	s_delay_alu instid0(VALU_DEP_2) | instskip(NEXT) | instid1(VALU_DEP_2)
	v_lshl_or_b32 v135, v141, 11, v133
	v_add_f32_e32 v134, 0x358637bd, v142
	s_delay_alu instid0(VALU_DEP_1) | instskip(SKIP_1) | instid1(VALU_DEP_2)
	v_div_scale_f32 v167, null, v134, v134, 1.0
	v_div_scale_f32 v163, vcc_lo, 1.0, v134, 1.0
	v_rcp_f32_e32 v168, v167
	s_waitcnt_depctr 0xfff
	v_fma_f32 v129, -v167, v168, 1.0
	s_delay_alu instid0(VALU_DEP_1) | instskip(SKIP_2) | instid1(VALU_DEP_2)
	v_fmac_f32_e32 v168, v129, v168
	v_cndmask_b32_e64 v129, v130, v165, s3
	v_cmp_eq_u32_e64 s3, 6, v141
	v_cndmask_b32_e64 v130, v129, v164, s4
	v_lshlrev_b32_e32 v129, 2, v138
	v_mul_f32_e32 v165, v163, v168
	s_delay_alu instid0(VALU_DEP_3) | instskip(NEXT) | instid1(VALU_DEP_3)
	v_cndmask_b32_e64 v161, v130, v161, s5
	v_or_b32_e32 v130, 1, v129
	s_delay_alu instid0(VALU_DEP_3)
	v_fma_f32 v131, -v167, v165, v163
	v_or_b32_e32 v132, 2, v129
	v_cmp_eq_u32_e64 s4, 1, v129
	v_cndmask_b32_e64 v141, v161, v159, s6
	v_cmp_eq_u32_e64 s9, 1, v130
	v_fmac_f32_e32 v165, v131, v168
	v_or_b32_e32 v131, 3, v129
	v_cmp_eq_u32_e64 s10, 1, v132
	v_cndmask_b32_e64 v141, v141, v160, s3
	v_cmp_eq_u32_e64 s5, 2, v129
	v_fma_f32 v159, -v167, v165, v163
	v_cmp_eq_u32_e64 s11, 1, v131
	v_cmp_eq_u32_e64 s16, 2, v131
	v_cndmask_b32_e64 v141, v141, v162, s7
	v_cmp_eq_u32_e64 s12, 2, v130
	v_div_fmas_f32 v159, v159, v168, v165
	v_cmp_eq_u32_e64 s18, 3, v131
	v_cmp_eq_u32_e32 vcc_lo, 3, v129
	v_cmp_eq_u32_e64 s13, 3, v130
	v_cmp_eq_u32_e64 s15, 2, v132
	v_div_fixup_f32 v159, v159, v134, 1.0
	v_lshl_or_b32 v134, v138, 4, v135
	v_cmp_eq_u32_e64 s22, 4, v131
	v_cmp_eq_u32_e64 s3, 4, v129
	;; [unrolled: 1-line block ×3, first 2 shown]
	v_mul_f32_e32 v141, v141, v159
	v_cmp_eq_u32_e64 s19, 4, v130
	v_cmp_eq_u32_e64 s24, 5, v131
	;; [unrolled: 1-line block ×4, first 2 shown]
	v_fma_mixlo_f16 v159, v141, v144, 0
	v_fma_mixlo_f16 v160, v141, v146, 0
	;; [unrolled: 1-line block ×8, first 2 shown]
	v_fma_mixhi_f16 v159, v141, v143, 0
	v_fma_mixhi_f16 v160, v141, v145, 0
	;; [unrolled: 1-line block ×8, first 2 shown]
	ds_store_b128 v134, v[159:162]
	ds_store_b128 v134, v[163:166] offset:1024
	s_waitcnt lgkmcnt(0)
	s_barrier
	buffer_gl0_inv
	ds_load_b128 v[143:146], v135
	ds_load_b128 v[147:150], v135 offset:16
	ds_load_b128 v[151:154], v135 offset:1024
	;; [unrolled: 1-line block ×3, first 2 shown]
	v_cmp_eq_u32_e64 s21, 4, v132
	v_cmp_eq_u32_e64 s27, 6, v131
	v_cmp_eq_u32_e64 s7, 6, v129
	v_cmp_eq_u32_e64 s23, 5, v132
	v_cmp_eq_u32_e64 s25, 6, v130
	v_cmp_eq_u32_e64 s29, 7, v131
	v_cmp_eq_u32_e64 s8, 7, v129
	v_cmp_eq_u32_e64 s26, 6, v132
	v_cmp_eq_u32_e64 s30, 7, v130
	v_cmp_eq_u32_e64 s28, 7, v132
	s_waitcnt lgkmcnt(3)
	v_lshrrev_b32_e32 v141, 16, v143
	s_waitcnt lgkmcnt(2)
	v_lshrrev_b32_e32 v162, 16, v147
	v_lshrrev_b32_e32 v159, 16, v144
	;; [unrolled: 1-line block ×3, first 2 shown]
	s_waitcnt lgkmcnt(1)
	v_lshrrev_b32_e32 v166, 16, v151
	v_cndmask_b32_e64 v174, v143, v141, s4
	v_cndmask_b32_e64 v176, v143, v141, s9
	;; [unrolled: 1-line block ×5, first 2 shown]
	s_waitcnt lgkmcnt(0)
	v_lshrrev_b32_e32 v170, 16, v155
	v_cndmask_b32_e64 v175, v147, v162, s4
	v_cndmask_b32_e64 v177, v147, v162, s9
	;; [unrolled: 1-line block ×19, first 2 shown]
	v_lshrrev_b32_e32 v160, 16, v145
	v_lshrrev_b32_e32 v164, 16, v149
	;; [unrolled: 1-line block ×4, first 2 shown]
	v_cndmask_b32_e64 v176, v178, v144, s15
	v_cndmask_b32_e64 v177, v179, v148, s15
	;; [unrolled: 1-line block ×8, first 2 shown]
	v_cndmask_b32_e32 v155, v166, v159, vcc_lo
	v_cndmask_b32_e32 v166, v170, v163, vcc_lo
	v_cndmask_b32_e64 v170, v174, v159, s13
	v_cndmask_b32_e64 v174, v175, v163, s13
	;; [unrolled: 1-line block ×6, first 2 shown]
	v_cndmask_b32_e32 v144, v144, v167, vcc_lo
	v_cndmask_b32_e32 v147, v147, v171, vcc_lo
	v_cndmask_b32_e64 v148, v148, v167, s13
	v_cndmask_b32_e64 v155, v155, v145, s3
	;; [unrolled: 1-line block ×7, first 2 shown]
	v_lshrrev_b32_e32 v161, 16, v146
	v_lshrrev_b32_e32 v165, 16, v150
	;; [unrolled: 1-line block ×4, first 2 shown]
	v_cndmask_b32_e64 v170, v175, v145, s21
	v_cndmask_b32_e64 v174, v176, v149, s21
	;; [unrolled: 1-line block ×22, first 2 shown]
	v_lshrrev_b32_e32 v169, 16, v154
	v_cndmask_b32_e64 v160, v163, v146, s26
	v_cndmask_b32_e64 v163, v166, v150, s26
	;; [unrolled: 1-line block ×9, first 2 shown]
	v_perm_b32 v146, v143, v141, 0x5040100
	v_cndmask_b32_e64 v141, v183, v156, s15
	v_cndmask_b32_e64 v143, v181, v156, s12
	;; [unrolled: 1-line block ×4, first 2 shown]
	v_perm_b32 v144, v159, v149, 0x5040100
	v_cndmask_b32_e64 v149, v162, v167, s17
	v_cndmask_b32_e64 v151, v151, v167, s18
	;; [unrolled: 1-line block ×15, first 2 shown]
	v_lshrrev_b32_e32 v173, 16, v158
	v_cndmask_b32_e64 v149, v149, v154, s26
	v_cndmask_b32_e64 v151, v151, v154, s27
	;; [unrolled: 1-line block ×13, first 2 shown]
	v_perm_b32 v145, v160, v155, 0x5040100
	v_perm_b32 v143, v148, v147, 0x5040100
	;; [unrolled: 1-line block ×6, first 2 shown]
	s_mul_i32 s7, s33, 9
	s_mov_b32 s3, exec_lo
	ds_store_b128 v134, v[143:146]
	ds_store_b128 v134, v[147:150] offset:1024
	v_cmpx_gt_u32_e32 9, v0
	s_cbranch_execz .LBB294_14
; %bb.13:
	s_mul_i32 s4, s7, s34
	s_load_b128 s[8:11], s[0:1], 0x58
	v_add3_u32 v143, s4, s31, v140
	s_delay_alu instid0(VALU_DEP_1) | instskip(NEXT) | instid1(VALU_DEP_1)
	v_mad_u64_u32 v[140:141], null, v143, s35, s[14:15]
	v_ashrrev_i32_e32 v141, 31, v140
	s_delay_alu instid0(VALU_DEP_1) | instskip(SKIP_1) | instid1(VALU_DEP_1)
	v_lshlrev_b64 v[140:141], 2, v[140:141]
	s_waitcnt lgkmcnt(0)
	v_add_co_u32 v143, vcc_lo, s10, v140
	s_delay_alu instid0(VALU_DEP_2)
	v_add_co_ci_u32_e32 v144, vcc_lo, s11, v141, vcc_lo
	v_add_co_u32 v140, vcc_lo, s8, v140
	v_add_co_ci_u32_e32 v141, vcc_lo, s9, v141, vcc_lo
	global_store_b32 v[143:144], v136, off
	global_store_b32 v[140:141], v142, off
.LBB294_14:
	s_or_b32 exec_lo, exec_lo, s3
	s_waitcnt lgkmcnt(0)
	s_waitcnt_vscnt null, 0x0
	s_barrier
	buffer_gl0_inv
	ds_load_b128 v[148:151], v133
	ds_load_b128 v[152:155], v133 offset:16
	ds_load_b128 v[160:163], v133 offset:1040
	;; [unrolled: 1-line block ×5, first 2 shown]
	v_cmp_eq_u32_e32 vcc_lo, 1, v132
	v_mov_b32_e32 v140, 0
	ds_load_b128 v[176:179], v133 offset:3088
	ds_load_b128 v[172:175], v133 offset:3072
	ds_load_b128 v[184:187], v133 offset:4112
	ds_load_b128 v[180:183], v133 offset:4096
	v_cmp_eq_u32_e64 s3, 1, v129
	v_cmp_eq_u32_e64 s4, 1, v131
	v_cmp_eq_u32_e64 s5, 1, v130
	v_mov_b32_e32 v141, v140
	v_mov_b32_e32 v142, v140
	;; [unrolled: 1-line block ×7, first 2 shown]
	v_cmp_eq_u32_e64 s6, 2, v129
	s_waitcnt lgkmcnt(8)
	s_delay_alu instid0(VALU_DEP_2)
	v_wmma_f32_16x16x16_f16 v[140:147], v[121:128], v[148:155], v[140:147]
	ds_load_b128 v[125:128], v133 offset:5136
	ds_load_b128 v[121:124], v133 offset:5120
	s_waitcnt lgkmcnt(8)
	v_wmma_f32_16x16x16_f16 v[140:147], v[113:120], v[156:163], v[140:147]
	ds_load_b128 v[117:120], v133 offset:6160
	ds_load_b128 v[113:116], v133 offset:6144
	s_waitcnt lgkmcnt(8)
	;; [unrolled: 4-line block ×11, first 2 shown]
	s_barrier
	buffer_gl0_inv
	v_wmma_f32_16x16x16_f16 v[140:147], v[1:8], v[73:80], v[140:147]
	s_delay_alu instid0(VALU_DEP_1) | instskip(NEXT) | instid1(VALU_DEP_1)
	v_wmma_f32_16x16x16_f16 v[140:147], v[9:16], v[65:72], v[140:147]
	v_wmma_f32_16x16x16_f16 v[140:147], v[33:40], v[57:64], v[140:147]
	s_delay_alu instid0(VALU_DEP_1) | instskip(NEXT) | instid1(VALU_DEP_1)
	v_wmma_f32_16x16x16_f16 v[140:147], v[41:48], v[49:56], v[140:147]
	v_wmma_f32_16x16x16_f16 v[140:147], v[17:24], v[25:32], v[140:147]
	s_delay_alu instid0(VALU_DEP_1) | instskip(NEXT) | instid1(VALU_DEP_2)
	v_cvt_f16_f32_e64 v1, v140
	v_cvt_f16_f32_e64 v2, v141
	s_delay_alu instid0(VALU_DEP_3) | instskip(NEXT) | instid1(VALU_DEP_4)
	v_cvt_f16_f32_e64 v3, v142
	v_cvt_f16_f32_e64 v4, v143
	;; [unrolled: 1-line block ×6, first 2 shown]
	v_pack_b32_f16 v1, v1, v2
	v_pack_b32_f16 v2, v3, v4
	;; [unrolled: 1-line block ×3, first 2 shown]
	s_delay_alu instid0(VALU_DEP_4)
	v_pack_b32_f16 v4, v7, v8
	ds_store_b128 v134, v[1:4]
	s_waitcnt lgkmcnt(0)
	s_barrier
	buffer_gl0_inv
	ds_load_b128 v[1:4], v135
	ds_load_b128 v[5:8], v135 offset:16
	s_waitcnt lgkmcnt(1)
	v_lshrrev_b32_e32 v9, 16, v1
	s_waitcnt lgkmcnt(0)
	v_lshrrev_b32_e32 v13, 16, v5
	v_lshrrev_b32_e32 v10, 16, v2
	;; [unrolled: 1-line block ×4, first 2 shown]
	v_cndmask_b32_e64 v17, v1, v9, s3
	v_cndmask_b32_e64 v18, v5, v13, s3
	;; [unrolled: 1-line block ×3, first 2 shown]
	v_cmp_eq_u32_e64 s3, 2, v130
	v_cndmask_b32_e64 v20, v5, v13, s5
	v_cndmask_b32_e32 v21, v1, v9, vcc_lo
	v_cndmask_b32_e32 v22, v5, v13, vcc_lo
	v_cndmask_b32_e64 v1, v1, v9, s4
	v_cndmask_b32_e64 v5, v5, v13, s4
	v_cmp_eq_u32_e32 vcc_lo, 2, v132
	v_cmp_eq_u32_e64 s4, 2, v131
	v_cndmask_b32_e64 v9, v17, v2, s6
	v_cndmask_b32_e64 v13, v18, v6, s6
	;; [unrolled: 1-line block ×4, first 2 shown]
	v_cndmask_b32_e32 v19, v21, v2, vcc_lo
	v_cmp_eq_u32_e64 s3, 3, v132
	v_cndmask_b32_e32 v20, v22, v6, vcc_lo
	v_cndmask_b32_e64 v1, v1, v2, s4
	v_cmp_eq_u32_e32 vcc_lo, 3, v131
	v_cmp_eq_u32_e64 s5, 3, v129
	v_cndmask_b32_e64 v2, v5, v6, s4
	v_cmp_eq_u32_e64 s4, 3, v130
	v_cmp_eq_u32_e64 s6, 4, v129
	v_cndmask_b32_e32 v1, v1, v10, vcc_lo
	v_cndmask_b32_e64 v5, v9, v10, s5
	v_cndmask_b32_e64 v6, v13, v14, s5
	;; [unrolled: 1-line block ×3, first 2 shown]
	v_cmp_eq_u32_e64 s5, 4, v130
	v_cndmask_b32_e64 v13, v18, v14, s4
	v_cndmask_b32_e64 v17, v19, v10, s3
	;; [unrolled: 1-line block ×3, first 2 shown]
	v_cndmask_b32_e32 v2, v2, v14, vcc_lo
	v_cmp_eq_u32_e32 vcc_lo, 4, v132
	v_cmp_eq_u32_e64 s4, 4, v131
	v_lshrrev_b32_e32 v15, 16, v7
	v_cndmask_b32_e64 v5, v5, v3, s6
	v_cndmask_b32_e64 v6, v6, v7, s6
	v_cndmask_b32_e32 v14, v18, v7, vcc_lo
	v_cndmask_b32_e64 v9, v9, v3, s5
	v_cndmask_b32_e64 v10, v13, v7, s5
	v_cndmask_b32_e32 v13, v17, v3, vcc_lo
	v_cmp_eq_u32_e64 s3, 5, v132
	v_cndmask_b32_e64 v1, v1, v3, s4
	v_cmp_eq_u32_e32 vcc_lo, 5, v131
	v_cmp_eq_u32_e64 s5, 5, v129
	v_cndmask_b32_e64 v2, v2, v7, s4
	v_cmp_eq_u32_e64 s4, 5, v130
	v_cmp_eq_u32_e64 s6, 6, v129
	v_lshrrev_b32_e32 v12, 16, v4
	v_cndmask_b32_e64 v3, v5, v11, s5
	v_cndmask_b32_e64 v5, v6, v15, s5
	;; [unrolled: 1-line block ×3, first 2 shown]
	v_cmp_eq_u32_e64 s5, 6, v130
	v_cndmask_b32_e64 v7, v10, v15, s4
	v_cndmask_b32_e64 v9, v13, v11, s3
	;; [unrolled: 1-line block ×3, first 2 shown]
	v_cndmask_b32_e32 v1, v1, v11, vcc_lo
	v_cndmask_b32_e32 v2, v2, v15, vcc_lo
	v_cmp_eq_u32_e32 vcc_lo, 6, v132
	v_cmp_eq_u32_e64 s3, 6, v131
	v_lshrrev_b32_e32 v16, 16, v8
	v_cndmask_b32_e64 v3, v3, v4, s6
	v_cndmask_b32_e64 v5, v5, v8, s6
	v_cndmask_b32_e32 v9, v9, v4, vcc_lo
	v_cndmask_b32_e64 v6, v6, v4, s5
	v_cndmask_b32_e64 v7, v7, v8, s5
	v_cmp_eq_u32_e64 s4, 7, v132
	v_cndmask_b32_e32 v10, v10, v8, vcc_lo
	v_cndmask_b32_e64 v1, v1, v4, s3
	v_cmp_eq_u32_e32 vcc_lo, 7, v131
	v_cndmask_b32_e64 v2, v2, v8, s3
	v_cmp_eq_u32_e64 s3, 7, v129
	v_cmp_eq_u32_e64 s5, 7, v130
	v_cndmask_b32_e32 v1, v1, v12, vcc_lo
	s_delay_alu instid0(VALU_DEP_4) | instskip(NEXT) | instid1(VALU_DEP_4)
	v_cndmask_b32_e32 v2, v2, v16, vcc_lo
	v_cndmask_b32_e64 v8, v3, v12, s3
	s_delay_alu instid0(VALU_DEP_4)
	v_cndmask_b32_e64 v6, v6, v12, s5
	v_cndmask_b32_e64 v3, v9, v12, s4
	;; [unrolled: 1-line block ×5, first 2 shown]
	v_perm_b32 v4, v2, v1, 0x5040100
	s_mov_b32 s3, exec_lo
	v_perm_b32 v3, v9, v3, 0x5040100
	v_perm_b32 v2, v7, v6, 0x5040100
	;; [unrolled: 1-line block ×3, first 2 shown]
	ds_store_b128 v134, v[1:4]
	s_waitcnt lgkmcnt(0)
	s_barrier
	buffer_gl0_inv
	v_cmpx_gt_u32_e32 32, v0
	s_cbranch_execz .LBB294_2
; %bb.15:
	s_load_b64 s[4:5], s[0:1], 0x68
	v_lshlrev_b32_e32 v0, 10, v0
	v_lshlrev_b32_e32 v1, 4, v139
	s_lshl_b32 s0, s35, 7
	v_add_nc_u32_e32 v2, s31, v138
	s_mul_i32 s1, s0, s34
	s_delay_alu instid0(SALU_CYCLE_1) | instskip(SKIP_1) | instid1(VALU_DEP_2)
	s_mul_i32 s6, s1, s7
	v_and_or_b32 v0, 0x3800, v0, v1
	v_mul_lo_u32 v1, v2, s0
	s_ashr_i32 s7, s6, 31
	v_add_nc_u32_e32 v3, 2, v2
	s_lshl_b64 s[6:7], s[6:7], 1
	v_add_nc_u32_e32 v4, 4, v2
	v_add_nc_u32_e32 v5, 6, v2
	v_lshl_or_b32 v15, v138, 6, v0
	v_mul_lo_u32 v3, v3, s0
	v_ashrrev_i32_e32 v2, 31, v1
	v_mul_lo_u32 v19, v4, s0
	v_mul_lo_u32 v21, v5, s0
	s_waitcnt lgkmcnt(0)
	s_add_u32 s1, s4, s6
	s_addc_u32 s3, s5, s7
	s_lshl_b32 s4, s14, 7
	v_lshlrev_b64 v[5:6], 1, v[1:2]
	s_ashr_i32 s5, s4, 31
	v_ashrrev_i32_e32 v4, 31, v3
	s_lshl_b64 s[4:5], s[4:5], 1
	v_ashrrev_i32_e32 v20, 31, v19
	s_add_u32 s1, s1, s4
	s_addc_u32 s3, s3, s5
	v_add_co_u32 v1, s1, s1, v137
	s_delay_alu instid0(VALU_DEP_1) | instskip(SKIP_1) | instid1(VALU_DEP_3)
	v_add_co_ci_u32_e64 v2, null, s3, 0, s1
	v_lshlrev_b64 v[25:26], 1, v[3:4]
	v_add_co_u32 v23, vcc_lo, v1, v5
	s_delay_alu instid0(VALU_DEP_3)
	v_add_co_ci_u32_e32 v24, vcc_lo, v2, v6, vcc_lo
	ds_load_b128 v[3:6], v15
	ds_load_b128 v[7:10], v15 offset:128
	ds_load_b128 v[11:14], v15 offset:256
	ds_load_b128 v[15:18], v15 offset:384
	v_ashrrev_i32_e32 v22, 31, v21
	v_lshlrev_b64 v[19:20], 1, v[19:20]
	v_add_co_u32 v25, vcc_lo, v1, v25
	v_add_co_ci_u32_e32 v26, vcc_lo, v2, v26, vcc_lo
	s_delay_alu instid0(VALU_DEP_4) | instskip(NEXT) | instid1(VALU_DEP_4)
	v_lshlrev_b64 v[21:22], 1, v[21:22]
	v_add_co_u32 v19, vcc_lo, v1, v19
	v_add_co_ci_u32_e32 v20, vcc_lo, v2, v20, vcc_lo
	s_delay_alu instid0(VALU_DEP_3) | instskip(NEXT) | instid1(VALU_DEP_4)
	v_add_co_u32 v21, vcc_lo, v1, v21
	v_add_co_ci_u32_e32 v22, vcc_lo, v2, v22, vcc_lo
	s_waitcnt lgkmcnt(3)
	global_store_b128 v[23:24], v[3:6], off
	s_waitcnt lgkmcnt(2)
	global_store_b128 v[25:26], v[7:10], off
	;; [unrolled: 2-line block ×4, first 2 shown]
	s_and_b32 exec_lo, exec_lo, s2
	s_cbranch_execz .LBB294_2
; %bb.16:
	ds_load_b128 v[3:6], v0 offset:512
	s_add_i32 s1, s31, 8
	s_delay_alu instid0(SALU_CYCLE_1) | instskip(NEXT) | instid1(SALU_CYCLE_1)
	s_mul_i32 s0, s1, s0
	s_ashr_i32 s1, s0, 31
	s_delay_alu instid0(SALU_CYCLE_1) | instskip(NEXT) | instid1(SALU_CYCLE_1)
	s_lshl_b64 s[0:1], s[0:1], 1
	v_add_co_u32 v0, vcc_lo, v1, s0
	v_add_co_ci_u32_e32 v1, vcc_lo, s1, v2, vcc_lo
	s_waitcnt lgkmcnt(0)
	global_store_b128 v[0:1], v[3:6], off
	s_nop 0
	s_sendmsg sendmsg(MSG_DEALLOC_VGPRS)
	s_endpgm
	.section	.rodata,"a",@progbits
	.p2align	6, 0x0
	.amdhsa_kernel _Z39paged_attention_ll4mi_QKV_mfma16_kernelIDF16_DF16_LN4vllm18Fp8KVCacheDataTypeE0EDF16_Li16ELi128ELi256ELb0ELi9EL8MFMAType0EEvPKT_PKT0_S8_ifPKiSA_SA_iPKfiiiPfSD_PS3_PT2_iSC_SC_
		.amdhsa_group_segment_fixed_size 17472
		.amdhsa_private_segment_fixed_size 0
		.amdhsa_kernarg_size 400
		.amdhsa_user_sgpr_count 13
		.amdhsa_user_sgpr_dispatch_ptr 0
		.amdhsa_user_sgpr_queue_ptr 0
		.amdhsa_user_sgpr_kernarg_segment_ptr 1
		.amdhsa_user_sgpr_dispatch_id 0
		.amdhsa_user_sgpr_private_segment_size 0
		.amdhsa_wavefront_size32 1
		.amdhsa_uses_dynamic_stack 0
		.amdhsa_enable_private_segment 0
		.amdhsa_system_sgpr_workgroup_id_x 1
		.amdhsa_system_sgpr_workgroup_id_y 1
		.amdhsa_system_sgpr_workgroup_id_z 1
		.amdhsa_system_sgpr_workgroup_info 0
		.amdhsa_system_vgpr_workitem_id 0
		.amdhsa_next_free_vgpr 218
		.amdhsa_next_free_sgpr 52
		.amdhsa_reserve_vcc 1
		.amdhsa_float_round_mode_32 0
		.amdhsa_float_round_mode_16_64 0
		.amdhsa_float_denorm_mode_32 3
		.amdhsa_float_denorm_mode_16_64 3
		.amdhsa_dx10_clamp 1
		.amdhsa_ieee_mode 1
		.amdhsa_fp16_overflow 0
		.amdhsa_workgroup_processor_mode 1
		.amdhsa_memory_ordered 1
		.amdhsa_forward_progress 0
		.amdhsa_shared_vgpr_count 0
		.amdhsa_exception_fp_ieee_invalid_op 0
		.amdhsa_exception_fp_denorm_src 0
		.amdhsa_exception_fp_ieee_div_zero 0
		.amdhsa_exception_fp_ieee_overflow 0
		.amdhsa_exception_fp_ieee_underflow 0
		.amdhsa_exception_fp_ieee_inexact 0
		.amdhsa_exception_int_div_zero 0
	.end_amdhsa_kernel
	.section	.text._Z39paged_attention_ll4mi_QKV_mfma16_kernelIDF16_DF16_LN4vllm18Fp8KVCacheDataTypeE0EDF16_Li16ELi128ELi256ELb0ELi9EL8MFMAType0EEvPKT_PKT0_S8_ifPKiSA_SA_iPKfiiiPfSD_PS3_PT2_iSC_SC_,"axG",@progbits,_Z39paged_attention_ll4mi_QKV_mfma16_kernelIDF16_DF16_LN4vllm18Fp8KVCacheDataTypeE0EDF16_Li16ELi128ELi256ELb0ELi9EL8MFMAType0EEvPKT_PKT0_S8_ifPKiSA_SA_iPKfiiiPfSD_PS3_PT2_iSC_SC_,comdat
.Lfunc_end294:
	.size	_Z39paged_attention_ll4mi_QKV_mfma16_kernelIDF16_DF16_LN4vllm18Fp8KVCacheDataTypeE0EDF16_Li16ELi128ELi256ELb0ELi9EL8MFMAType0EEvPKT_PKT0_S8_ifPKiSA_SA_iPKfiiiPfSD_PS3_PT2_iSC_SC_, .Lfunc_end294-_Z39paged_attention_ll4mi_QKV_mfma16_kernelIDF16_DF16_LN4vllm18Fp8KVCacheDataTypeE0EDF16_Li16ELi128ELi256ELb0ELi9EL8MFMAType0EEvPKT_PKT0_S8_ifPKiSA_SA_iPKfiiiPfSD_PS3_PT2_iSC_SC_
                                        ; -- End function
	.section	.AMDGPU.csdata,"",@progbits
; Kernel info:
; codeLenInByte = 8152
; NumSgprs: 54
; NumVgprs: 218
; ScratchSize: 0
; MemoryBound: 0
; FloatMode: 240
; IeeeMode: 1
; LDSByteSize: 17472 bytes/workgroup (compile time only)
; SGPRBlocks: 6
; VGPRBlocks: 27
; NumSGPRsForWavesPerEU: 54
; NumVGPRsForWavesPerEU: 218
; Occupancy: 6
; WaveLimiterHint : 1
; COMPUTE_PGM_RSRC2:SCRATCH_EN: 0
; COMPUTE_PGM_RSRC2:USER_SGPR: 13
; COMPUTE_PGM_RSRC2:TRAP_HANDLER: 0
; COMPUTE_PGM_RSRC2:TGID_X_EN: 1
; COMPUTE_PGM_RSRC2:TGID_Y_EN: 1
; COMPUTE_PGM_RSRC2:TGID_Z_EN: 1
; COMPUTE_PGM_RSRC2:TIDIG_COMP_CNT: 0
	.section	.text._Z39paged_attention_ll4mi_QKV_mfma16_kernelIDF16_DF16_LN4vllm18Fp8KVCacheDataTypeE0EDF16_Li16ELi128ELi256ELb0ELi10EL8MFMAType0EEvPKT_PKT0_S8_ifPKiSA_SA_iPKfiiiPfSD_PS3_PT2_iSC_SC_,"axG",@progbits,_Z39paged_attention_ll4mi_QKV_mfma16_kernelIDF16_DF16_LN4vllm18Fp8KVCacheDataTypeE0EDF16_Li16ELi128ELi256ELb0ELi10EL8MFMAType0EEvPKT_PKT0_S8_ifPKiSA_SA_iPKfiiiPfSD_PS3_PT2_iSC_SC_,comdat
	.protected	_Z39paged_attention_ll4mi_QKV_mfma16_kernelIDF16_DF16_LN4vllm18Fp8KVCacheDataTypeE0EDF16_Li16ELi128ELi256ELb0ELi10EL8MFMAType0EEvPKT_PKT0_S8_ifPKiSA_SA_iPKfiiiPfSD_PS3_PT2_iSC_SC_ ; -- Begin function _Z39paged_attention_ll4mi_QKV_mfma16_kernelIDF16_DF16_LN4vllm18Fp8KVCacheDataTypeE0EDF16_Li16ELi128ELi256ELb0ELi10EL8MFMAType0EEvPKT_PKT0_S8_ifPKiSA_SA_iPKfiiiPfSD_PS3_PT2_iSC_SC_
	.globl	_Z39paged_attention_ll4mi_QKV_mfma16_kernelIDF16_DF16_LN4vllm18Fp8KVCacheDataTypeE0EDF16_Li16ELi128ELi256ELb0ELi10EL8MFMAType0EEvPKT_PKT0_S8_ifPKiSA_SA_iPKfiiiPfSD_PS3_PT2_iSC_SC_
	.p2align	8
	.type	_Z39paged_attention_ll4mi_QKV_mfma16_kernelIDF16_DF16_LN4vllm18Fp8KVCacheDataTypeE0EDF16_Li16ELi128ELi256ELb0ELi10EL8MFMAType0EEvPKT_PKT0_S8_ifPKiSA_SA_iPKfiiiPfSD_PS3_PT2_iSC_SC_,@function
_Z39paged_attention_ll4mi_QKV_mfma16_kernelIDF16_DF16_LN4vllm18Fp8KVCacheDataTypeE0EDF16_Li16ELi128ELi256ELb0ELi10EL8MFMAType0EEvPKT_PKT0_S8_ifPKiSA_SA_iPKfiiiPfSD_PS3_PT2_iSC_SC_: ; @_Z39paged_attention_ll4mi_QKV_mfma16_kernelIDF16_DF16_LN4vllm18Fp8KVCacheDataTypeE0EDF16_Li16ELi128ELi256ELb0ELi10EL8MFMAType0EEvPKT_PKT0_S8_ifPKiSA_SA_iPKfiiiPfSD_PS3_PT2_iSC_SC_
; %bb.0:
	s_load_b64 s[4:5], s[0:1], 0x30
	s_mov_b32 s30, s13
	s_waitcnt lgkmcnt(0)
	s_cmp_lg_u64 s[4:5], 0
	s_cselect_b32 s8, -1, 0
	s_ashr_i32 s31, s13, 31
	s_cmp_eq_u64 s[4:5], 0
	s_cbranch_scc1 .LBB295_3
; %bb.1:
	s_lshl_b64 s[2:3], s[30:31], 2
	s_delay_alu instid0(SALU_CYCLE_1) | instskip(SKIP_4) | instid1(SALU_CYCLE_1)
	s_add_u32 s2, s4, s2
	s_addc_u32 s3, s5, s3
	s_load_b64 s[2:3], s[2:3], 0x0
	s_waitcnt lgkmcnt(0)
	s_sub_i32 s2, s3, s2
	s_cmp_eq_u32 s2, 1
	s_cselect_b32 s2, -1, 0
	s_delay_alu instid0(SALU_CYCLE_1)
	s_and_not1_b32 vcc_lo, exec_lo, s2
	s_cbranch_vccz .LBB295_4
.LBB295_2:
	s_endpgm
.LBB295_3:
.LBB295_4:
	s_load_b64 s[2:3], s[0:1], 0x28
	s_lshl_b64 s[6:7], s[30:31], 2
	s_waitcnt lgkmcnt(0)
	s_add_u32 s2, s2, s6
	s_addc_u32 s3, s3, s7
	s_lshl_b32 s29, s14, 8
	s_load_b32 s28, s[2:3], 0x0
	s_waitcnt lgkmcnt(0)
	s_cmp_ge_i32 s29, s28
	s_cbranch_scc1 .LBB295_2
; %bb.5:
	s_clause 0x1
	s_load_b128 s[20:23], s[0:1], 0x8
	s_load_b64 s[2:3], s[0:1], 0x20
	s_and_not1_b32 vcc_lo, exec_lo, s8
	s_cbranch_vccnz .LBB295_7
; %bb.6:
	s_add_u32 s4, s4, s6
	s_addc_u32 s5, s5, s7
	s_load_b32 s5, s[4:5], 0x0
	s_branch .LBB295_8
.LBB295_7:
	s_mov_b32 s5, s30
.LBB295_8:
	s_load_b128 s[16:19], s[0:1], 0x48
	v_and_b32_e32 v140, 15, v0
	v_lshrrev_b32_e32 v141, 5, v0
	v_and_b32_e32 v142, 31, v0
	v_and_b32_e32 v139, 1, v0
	v_bfe_u32 v138, v0, 4, 1
	v_lshlrev_b32_e32 v1, 3, v140
	s_mul_i32 s31, s15, 10
	s_mov_b32 s4, exec_lo
	s_delay_alu instid0(VALU_DEP_1)
	v_lshlrev_b32_e32 v137, 1, v1
	v_cmpx_gt_u32_e32 0xa0, v0
	s_cbranch_execz .LBB295_10
; %bb.9:
	s_load_b64 s[6:7], s[0:1], 0x0
	v_lshl_or_b32 v5, v141, 1, v138
	s_waitcnt lgkmcnt(0)
	s_mul_hi_i32 s9, s5, s16
	s_mul_i32 s8, s5, s16
	v_lshlrev_b32_e32 v6, 10, v140
	s_lshl_b64 s[8:9], s[8:9], 1
	v_add_lshl_u32 v1, v5, s31, 7
	v_lshlrev_b32_e32 v5, 6, v5
	v_lshlrev_b32_e32 v7, 10, v139
	v_and_b32_e32 v6, 0x3800, v6
	s_delay_alu instid0(VALU_DEP_4) | instskip(NEXT) | instid1(VALU_DEP_2)
	v_ashrrev_i32_e32 v2, 31, v1
	v_or3_b32 v5, v6, v7, v5
	s_delay_alu instid0(VALU_DEP_2) | instskip(SKIP_2) | instid1(VALU_DEP_1)
	v_lshlrev_b64 v[1:2], 1, v[1:2]
	s_add_u32 s5, s6, s8
	s_addc_u32 s6, s7, s9
	v_add_co_u32 v1, vcc_lo, s5, v1
	s_delay_alu instid0(VALU_DEP_2) | instskip(NEXT) | instid1(VALU_DEP_2)
	v_add_co_ci_u32_e32 v2, vcc_lo, s6, v2, vcc_lo
	v_add_co_u32 v1, vcc_lo, v1, v137
	s_delay_alu instid0(VALU_DEP_2)
	v_add_co_ci_u32_e32 v2, vcc_lo, 0, v2, vcc_lo
	global_load_b128 v[1:4], v[1:2], off
	s_waitcnt vmcnt(0)
	ds_store_b128 v5, v[1:4]
.LBB295_10:
	s_or_b32 exec_lo, exec_lo, s4
	v_and_b32_e32 v1, 0xef, v0
	s_waitcnt lgkmcnt(0)
	s_add_i32 s5, s28, 15
	s_clause 0x1
	s_load_b32 s4, s[0:1], 0x38
	s_load_b32 s33, s[0:1], 0x98
	s_ashr_i32 s6, s5, 31
	v_add_nc_u32_e32 v1, s29, v1
	s_lshr_b32 s6, s6, 28
	s_load_b32 s34, s[0:1], 0x1c
	s_add_i32 s5, s5, s6
	s_waitcnt lgkmcnt(0)
	v_ashrrev_i32_e32 v2, 31, v1
	v_cmp_gt_i32_e32 vcc_lo, s28, v1
	s_ashr_i32 s16, s5, 4
	s_barrier
	s_add_i32 s16, s16, -1
	v_lshrrev_b32_e32 v3, 28, v2
	v_or_b32_e32 v2, 16, v1
	buffer_gl0_inv
	v_add_nc_u32_e32 v105, -10, v140
	v_lshlrev_b32_e32 v106, 5, v140
	v_add_nc_u32_e32 v4, v1, v3
	v_add_nc_u32_e32 v3, v2, v3
	s_mul_i32 s4, s30, s4
	s_delay_alu instid0(SALU_CYCLE_1) | instskip(NEXT) | instid1(VALU_DEP_2)
	s_ashr_i32 s5, s4, 31
	v_ashrrev_i32_e32 v4, 4, v4
	s_delay_alu instid0(VALU_DEP_2)
	v_ashrrev_i32_e32 v3, 4, v3
	s_lshl_b64 s[4:5], s[4:5], 2
	v_lshl_or_b32 v125, v141, 9, v106
	s_add_u32 s35, s2, s4
	v_cndmask_b32_e32 v1, s16, v4, vcc_lo
	v_cmp_gt_i32_e32 vcc_lo, s28, v2
	s_addc_u32 s36, s3, s5
	s_mul_i32 s2, s15, s18
	s_delay_alu instid0(VALU_DEP_2) | instskip(SKIP_2) | instid1(SALU_CYCLE_1)
	v_ashrrev_i32_e32 v2, 31, v1
	v_cndmask_b32_e32 v3, s16, v3, vcc_lo
	s_ashr_i32 s3, s2, 31
	s_lshl_b64 s[2:3], s[2:3], 1
	s_delay_alu instid0(VALU_DEP_2) | instskip(NEXT) | instid1(VALU_DEP_2)
	v_lshlrev_b64 v[1:2], 2, v[1:2]
	v_ashrrev_i32_e32 v4, 31, v3
	s_add_u32 s24, s20, s2
	s_addc_u32 s25, s21, s3
	s_lshl_b32 s4, s14, 4
	s_delay_alu instid0(VALU_DEP_1) | instskip(SKIP_3) | instid1(VALU_DEP_3)
	v_lshlrev_b64 v[3:4], 2, v[3:4]
	v_add_co_u32 v1, vcc_lo, s35, v1
	v_add_co_ci_u32_e32 v2, vcc_lo, s36, v2, vcc_lo
	s_ashr_i32 s5, s4, 31
	v_add_co_u32 v3, vcc_lo, s35, v3
	s_delay_alu instid0(VALU_DEP_4)
	v_add_co_ci_u32_e32 v4, vcc_lo, s36, v4, vcc_lo
	s_lshl_b64 s[4:5], s[4:5], 2
	s_clause 0x1
	global_load_b32 v5, v[1:2], off
	global_load_b32 v6, v[3:4], off
	s_add_u32 s4, s35, s4
	s_addc_u32 s5, s36, s5
	s_or_b32 s6, s29, 16
	v_lshlrev_b32_e32 v3, 4, v0
	s_ashr_i32 s7, s6, 4
	s_cmp_lt_i32 s6, s28
	s_cselect_b32 s6, s7, s16
	s_delay_alu instid0(SALU_CYCLE_1) | instskip(NEXT) | instid1(SALU_CYCLE_1)
	s_ashr_i32 s7, s6, 31
	s_lshl_b64 s[6:7], s[6:7], 2
	s_delay_alu instid0(SALU_CYCLE_1) | instskip(SKIP_2) | instid1(SALU_CYCLE_1)
	s_add_u32 s6, s35, s6
	s_addc_u32 s7, s36, s7
	s_or_b32 s8, s29, 32
	s_ashr_i32 s9, s8, 4
	s_cmp_lt_i32 s8, s28
	s_cselect_b32 s8, s9, s16
	s_delay_alu instid0(SALU_CYCLE_1) | instskip(NEXT) | instid1(SALU_CYCLE_1)
	s_ashr_i32 s9, s8, 31
	s_lshl_b64 s[8:9], s[8:9], 2
	s_delay_alu instid0(SALU_CYCLE_1) | instskip(SKIP_2) | instid1(SALU_CYCLE_1)
	s_add_u32 s8, s35, s8
	s_addc_u32 s9, s36, s9
	s_or_b32 s10, s29, 48
	;; [unrolled: 10-line block ×4, first 2 shown]
	s_ashr_i32 s13, s12, 4
	s_cmp_lt_i32 s12, s28
	s_cselect_b32 s12, s13, s16
	s_delay_alu instid0(SALU_CYCLE_1) | instskip(NEXT) | instid1(SALU_CYCLE_1)
	s_ashr_i32 s13, s12, 31
	s_lshl_b64 s[12:13], s[12:13], 2
	s_delay_alu instid0(SALU_CYCLE_1)
	s_add_u32 s20, s35, s12
	s_addc_u32 s21, s36, s13
	s_clause 0x5
	s_load_b32 s37, s[4:5], 0x0
	s_load_b32 s27, s[6:7], 0x0
	s_load_b32 s26, s[8:9], 0x0
	s_load_b32 s13, s[10:11], 0x0
	s_load_b32 s12, s[18:19], 0x0
	s_load_b32 s15, s[20:21], 0x0
	s_waitcnt vmcnt(1)
	v_mad_i64_i32 v[1:2], null, v5, s17, 0
	v_and_b32_e32 v5, 0xf0, v3
	s_waitcnt vmcnt(0)
	v_mad_i64_i32 v[3:4], null, v6, s17, 0
	s_delay_alu instid0(VALU_DEP_2) | instskip(NEXT) | instid1(VALU_DEP_4)
	v_add_co_u32 v5, s4, s24, v5
	v_lshlrev_b64 v[1:2], 1, v[1:2]
	v_add_co_ci_u32_e64 v6, null, s25, 0, s4
	s_delay_alu instid0(VALU_DEP_4) | instskip(SKIP_1) | instid1(VALU_DEP_3)
	v_lshlrev_b64 v[3:4], 1, v[3:4]
	s_or_b32 s4, s29, 0x60
	v_add_co_u32 v121, vcc_lo, v5, v1
	s_delay_alu instid0(VALU_DEP_3) | instskip(NEXT) | instid1(VALU_DEP_3)
	v_add_co_ci_u32_e32 v122, vcc_lo, v6, v2, vcc_lo
	v_add_co_u32 v123, vcc_lo, v5, v3
	s_delay_alu instid0(VALU_DEP_4)
	v_add_co_ci_u32_e32 v124, vcc_lo, v6, v4, vcc_lo
	s_clause 0x19
	global_load_b128 v[89:92], v[121:122], off
	global_load_b128 v[93:96], v[121:122], off offset:256
	global_load_b128 v[97:100], v[123:124], off
	global_load_b128 v[101:104], v[123:124], off offset:256
	global_load_b128 v[81:84], v[121:122], off offset:512
	;; [unrolled: 1-line block ×23, first 2 shown]
	s_ashr_i32 s5, s4, 4
	s_cmp_lt_i32 s4, s28
	v_cmp_gt_u32_e32 vcc_lo, 10, v140
	s_cselect_b32 s4, s5, s16
	s_delay_alu instid0(SALU_CYCLE_1) | instskip(NEXT) | instid1(SALU_CYCLE_1)
	s_ashr_i32 s5, s4, 31
	s_lshl_b64 s[4:5], s[4:5], 2
	v_cndmask_b32_e32 v105, v105, v140, vcc_lo
	s_add_u32 s18, s35, s4
	s_addc_u32 s19, s36, s5
	s_or_b32 s4, s29, 0x70
	s_delay_alu instid0(SALU_CYCLE_1)
	s_ashr_i32 s5, s4, 4
	s_cmp_lt_i32 s4, s28
	v_lshlrev_b32_e32 v215, 6, v105
	s_cselect_b32 s6, s5, s16
	ds_load_b128 v[105:108], v215
	ds_load_b128 v[109:112], v215 offset:1024
	s_ashr_i32 s7, s6, 31
	ds_load_b128 v[113:116], v215 offset:2048
	ds_load_b128 v[117:120], v215 offset:3072
	;; [unrolled: 1-line block ×8, first 2 shown]
	s_clause 0x1
	global_load_b128 v[167:170], v[123:124], off offset:3072
	global_load_b128 v[171:174], v[123:124], off offset:3328
	s_lshl_b64 s[6:7], s[6:7], 2
	s_mov_b32 s4, 0
	s_add_u32 s20, s35, s6
	s_addc_u32 s21, s36, s7
	s_clause 0x1
	s_load_b32 s41, s[18:19], 0x0
	s_load_b32 s46, s[20:21], 0x0
	s_clause 0x3
	global_load_b128 v[175:178], v[121:122], off offset:3584
	global_load_b128 v[179:182], v[121:122], off offset:3840
	;; [unrolled: 1-line block ×4, first 2 shown]
	s_or_b32 s7, s29, 0x80
	s_mov_b32 s5, s4
	s_ashr_i32 s8, s7, 4
	s_cmp_lt_i32 s7, s28
	s_mov_b32 s6, s4
	s_cselect_b32 s10, s8, s16
	s_mov_b32 s7, s4
	s_ashr_i32 s11, s10, 31
	s_mov_b32 s8, s4
	s_lshl_b64 s[24:25], s[10:11], 2
	s_mov_b32 s9, s4
	s_add_u32 s24, s35, s24
	s_addc_u32 s25, s36, s25
	s_or_b32 s11, s29, 0x90
	s_mov_b32 s10, s4
	s_ashr_i32 s38, s11, 4
	s_cmp_lt_i32 s11, s28
	s_mov_b32 s11, s4
	s_cselect_b32 s38, s38, s16
	v_mov_b32_e32 v136, s11
	s_ashr_i32 s39, s38, 31
	v_dual_mov_b32 v135, s10 :: v_dual_mov_b32 v134, s9
	v_dual_mov_b32 v133, s8 :: v_dual_mov_b32 v132, s7
	;; [unrolled: 1-line block ×3, first 2 shown]
	v_mov_b32_e32 v129, s4
	s_lshl_b64 s[4:5], s[38:39], 2
	s_waitcnt lgkmcnt(0)
	s_mul_hi_i32 s7, s27, s17
	s_add_u32 s38, s35, s4
	s_addc_u32 s39, s36, s5
	s_or_b32 s4, s29, 0xa0
	s_load_b32 s40, s[38:39], 0x0
	s_ashr_i32 s5, s4, 4
	s_cmp_lt_i32 s4, s28
	s_cselect_b32 s4, s5, s16
	s_delay_alu instid0(SALU_CYCLE_1) | instskip(NEXT) | instid1(SALU_CYCLE_1)
	s_ashr_i32 s5, s4, 31
	s_lshl_b64 s[4:5], s[4:5], 2
	s_delay_alu instid0(SALU_CYCLE_1)
	s_add_u32 s42, s35, s4
	s_addc_u32 s43, s36, s5
	s_or_b32 s4, s29, 0xb0
	s_load_b32 s39, s[42:43], 0x0
	s_ashr_i32 s6, s4, 4
	s_cmp_lt_i32 s4, s28
	s_mul_hi_i32 s5, s37, s17
	s_cselect_b32 s8, s6, s16
	s_mul_i32 s6, s27, s17
	s_ashr_i32 s9, s8, 31
	s_mul_i32 s4, s37, s17
	s_lshl_b64 s[10:11], s[8:9], 2
	s_mul_hi_i32 s9, s26, s17
	s_add_u32 s44, s35, s10
	s_addc_u32 s45, s36, s11
	s_or_b32 s10, s29, 0xc0
	s_mul_i32 s8, s26, s17
	s_ashr_i32 s26, s10, 4
	s_cmp_lt_i32 s10, s28
	s_mul_hi_i32 s11, s13, s17
	s_cselect_b32 s26, s26, s16
	s_mul_i32 s10, s13, s17
	s_ashr_i32 s27, s26, 31
	s_mul_hi_i32 s13, s12, s17
	s_lshl_b64 s[26:27], s[26:27], 2
	s_mul_i32 s12, s12, s17
	s_add_u32 s20, s35, s26
	s_addc_u32 s21, s36, s27
	s_or_b32 s18, s29, 0xd0
	s_load_b32 s26, s[24:25], 0x0
	s_ashr_i32 s19, s18, 4
	s_cmp_lt_i32 s18, s28
	s_mul_i32 s18, s15, s17
	s_cselect_b32 s24, s19, s16
	s_mul_hi_i32 s19, s15, s17
	s_ashr_i32 s25, s24, 31
	s_delay_alu instid0(SALU_CYCLE_1) | instskip(NEXT) | instid1(SALU_CYCLE_1)
	s_lshl_b64 s[24:25], s[24:25], 2
	s_add_u32 s24, s35, s24
	s_addc_u32 s25, s36, s25
	s_or_b32 s42, s29, 0xe0
	s_clause 0x2
	s_load_b32 s38, s[44:45], 0x0
	s_load_b32 s37, s[20:21], 0x0
	;; [unrolled: 1-line block ×3, first 2 shown]
	s_ashr_i32 s43, s42, 4
	s_cmp_lt_i32 s42, s28
	s_mul_hi_i32 s25, s46, s17
	s_cselect_b32 s42, s43, s16
	s_mul_i32 s24, s46, s17
	s_ashr_i32 s43, s42, 31
	s_mul_hi_i32 s21, s41, s17
	s_lshl_b64 s[42:43], s[42:43], 2
	s_mul_i32 s20, s41, s17
	s_add_u32 s42, s35, s42
	s_addc_u32 s43, s36, s43
	s_or_b32 s46, s29, 0xf0
	s_waitcnt lgkmcnt(0)
	s_mul_hi_i32 s27, s26, s17
	s_ashr_i32 s47, s46, 4
	s_cmp_lt_i32 s46, s28
	s_mul_i32 s26, s26, s17
	s_cselect_b32 s46, s47, s16
	s_mul_hi_i32 s41, s40, s17
	s_ashr_i32 s47, s46, 31
	s_mul_hi_i32 s51, s15, s17
	s_lshl_b64 s[46:47], s[46:47], 2
	s_mul_i32 s50, s15, s17
	s_add_u32 s46, s35, s46
	s_addc_u32 s47, s36, s47
	s_add_u32 s15, s22, s2
	s_addc_u32 s16, s23, s3
	v_add_co_u32 v216, s15, s15, v125
	s_delay_alu instid0(VALU_DEP_1) | instskip(SKIP_2) | instid1(VALU_DEP_2)
	v_add_co_ci_u32_e64 v217, null, s16, 0, s15
	s_lshl_b64 s[2:3], s[4:5], 1
	s_lshl_b64 s[4:5], s[6:7], 1
	v_add_co_u32 v125, vcc_lo, v216, s2
	s_delay_alu instid0(VALU_DEP_2)
	v_add_co_ci_u32_e32 v126, vcc_lo, s3, v217, vcc_lo
	v_add_co_u32 v199, vcc_lo, v216, s4
	s_lshl_b64 s[6:7], s[8:9], 1
	v_add_co_ci_u32_e32 v200, vcc_lo, s5, v217, vcc_lo
	s_lshl_b64 s[8:9], s[10:11], 1
	s_lshl_b64 s[10:11], s[12:13], 1
	;; [unrolled: 1-line block ×6, first 2 shown]
	s_mul_i32 s40, s40, s17
	s_mul_hi_i32 s45, s39, s17
	s_lshl_b64 s[24:25], s[40:41], 1
	s_mul_i32 s44, s39, s17
	s_mul_hi_i32 s39, s38, s17
	s_lshl_b64 s[26:27], s[44:45], 1
	s_mul_i32 s38, s38, s17
	s_mul_hi_i32 s49, s37, s17
	s_mul_i32 s48, s37, s17
	s_lshl_b64 s[36:37], s[38:39], 1
	s_lshl_b64 s[38:39], s[48:49], 1
	s_clause 0x1
	s_load_b32 s15, s[42:43], 0x0
	s_load_b32 s16, s[46:47], 0x0
	s_lshl_b64 s[40:41], s[50:51], 1
	s_waitcnt lgkmcnt(0)
	s_mul_hi_i32 s3, s15, s17
	s_mul_i32 s2, s15, s17
	s_mul_hi_i32 s5, s16, s17
	s_lshl_b64 s[2:3], s[2:3], 1
	s_mul_i32 s4, s16, s17
	s_waitcnt vmcnt(30)
	v_wmma_f32_16x16x16_f16 v[191:198], v[89:96], v[105:112], v[129:136]
	v_add_co_u32 v89, vcc_lo, v216, s6
	v_add_co_ci_u32_e32 v90, vcc_lo, s7, v217, vcc_lo
	v_add_co_u32 v91, vcc_lo, v216, s8
	v_add_co_ci_u32_e32 v92, vcc_lo, s9, v217, vcc_lo
	;; [unrolled: 2-line block ×5, first 2 shown]
	v_add_co_u32 v205, vcc_lo, v216, s20
	s_waitcnt vmcnt(28)
	v_wmma_f32_16x16x16_f16 v[129:136], v[97:104], v[105:112], v[129:136]
	v_add_co_ci_u32_e32 v206, vcc_lo, s21, v217, vcc_lo
	v_add_co_u32 v207, vcc_lo, v216, s22
	v_add_co_ci_u32_e32 v208, vcc_lo, s23, v217, vcc_lo
	v_add_co_u32 v209, vcc_lo, v216, s24
	s_waitcnt vmcnt(26)
	v_wmma_f32_16x16x16_f16 v[191:198], v[81:88], v[113:120], v[191:198]
	s_waitcnt vmcnt(24)
	v_wmma_f32_16x16x16_f16 v[129:136], v[73:80], v[113:120], v[129:136]
	v_add_co_ci_u32_e32 v210, vcc_lo, s25, v217, vcc_lo
	v_add_co_u32 v211, vcc_lo, v216, s26
	v_add_co_ci_u32_e32 v212, vcc_lo, s27, v217, vcc_lo
	v_add_co_u32 v213, vcc_lo, v216, s36
	s_waitcnt vmcnt(22)
	v_wmma_f32_16x16x16_f16 v[191:198], v[65:72], v[143:150], v[191:198]
	s_waitcnt vmcnt(20)
	v_wmma_f32_16x16x16_f16 v[129:136], v[57:64], v[143:150], v[129:136]
	v_add_co_ci_u32_e32 v214, vcc_lo, s37, v217, vcc_lo
	v_add_co_u32 v143, vcc_lo, v216, s38
	s_waitcnt vmcnt(18)
	v_wmma_f32_16x16x16_f16 v[191:198], v[49:56], v[151:158], v[191:198]
	s_waitcnt vmcnt(16)
	v_wmma_f32_16x16x16_f16 v[129:136], v[25:32], v[151:158], v[129:136]
	v_add_co_ci_u32_e32 v144, vcc_lo, s39, v217, vcc_lo
	s_clause 0x15
	global_load_b128 v[121:124], v[125:126], off
	global_load_b128 v[125:128], v[125:126], off offset:16
	global_load_b128 v[113:116], v[199:200], off
	global_load_b128 v[117:120], v[199:200], off offset:16
	;; [unrolled: 2-line block ×11, first 2 shown]
	s_waitcnt vmcnt(36)
	v_wmma_f32_16x16x16_f16 v[191:198], v[1:8], v[159:166], v[191:198]
	s_clause 0x1
	global_load_b128 v[1:4], v[213:214], off
	global_load_b128 v[5:8], v[213:214], off offset:16
	s_waitcnt vmcnt(36)
	v_wmma_f32_16x16x16_f16 v[129:136], v[9:16], v[159:166], v[129:136]
	s_clause 0x1
	global_load_b128 v[9:12], v[143:144], off
	global_load_b128 v[13:16], v[143:144], off offset:16
	ds_load_b128 v[143:146], v215 offset:10240
	ds_load_b128 v[147:150], v215 offset:11264
	;; [unrolled: 1-line block ×4, first 2 shown]
	v_add_co_u32 v199, vcc_lo, v216, s40
	v_add_co_ci_u32_e32 v200, vcc_lo, s41, v217, vcc_lo
	v_add_co_u32 v159, vcc_lo, v216, s2
	v_add_co_ci_u32_e32 v160, vcc_lo, s3, v217, vcc_lo
	s_lshl_b64 s[2:3], s[4:5], 1
	s_delay_alu instid0(SALU_CYCLE_1)
	v_add_co_u32 v161, vcc_lo, v216, s2
	v_add_co_ci_u32_e32 v162, vcc_lo, s3, v217, vcc_lo
	s_waitcnt vmcnt(36) lgkmcnt(2)
	v_wmma_f32_16x16x16_f16 v[191:198], v[33:40], v[143:150], v[191:198]
	s_waitcnt vmcnt(34)
	v_wmma_f32_16x16x16_f16 v[129:136], v[41:48], v[143:150], v[129:136]
	s_clause 0x3
	global_load_b128 v[33:36], v[199:200], off
	global_load_b128 v[37:40], v[199:200], off offset:16
	global_load_b128 v[41:44], v[159:160], off
	global_load_b128 v[45:48], v[159:160], off offset:16
	v_and_b32_e32 v143, 0xe0, v0
	v_mbcnt_lo_u32_b32 v159, -1, 0
	s_waitcnt vmcnt(36) lgkmcnt(0)
	v_wmma_f32_16x16x16_f16 v[191:198], v[17:24], v[151:158], v[191:198]
	s_clause 0x1
	global_load_b128 v[17:20], v[161:162], off
	global_load_b128 v[21:24], v[161:162], off offset:16
	s_waitcnt vmcnt(36)
	v_wmma_f32_16x16x16_f16 v[129:136], v[167:174], v[151:158], v[129:136]
	v_add_nc_u32_e32 v160, s29, v143
	ds_load_b128 v[143:146], v215 offset:14336
	ds_load_b128 v[147:150], v215 offset:15360
	v_xor_b32_e32 v151, 16, v159
	s_waitcnt vmcnt(0) lgkmcnt(0)
	s_barrier
	v_or_b32_e32 v152, v160, v138
	buffer_gl0_inv
	v_cmp_gt_i32_e32 vcc_lo, 32, v151
	v_or_b32_e32 v153, 2, v152
	v_or_b32_e32 v154, 4, v152
	;; [unrolled: 1-line block ×5, first 2 shown]
	v_cmp_gt_i32_e64 s2, s28, v153
	v_cmp_gt_i32_e64 s3, s28, v154
	;; [unrolled: 1-line block ×3, first 2 shown]
	v_or_b32_e32 v158, 12, v152
	v_cmp_gt_i32_e64 s5, s28, v156
	v_cmp_gt_i32_e64 s6, s28, v157
	v_wmma_f32_16x16x16_f16 v[191:198], v[175:182], v[143:150], v[191:198]
	v_wmma_f32_16x16x16_f16 v[129:136], v[183:190], v[143:150], v[129:136]
	v_cndmask_b32_e32 v151, v159, v151, vcc_lo
	v_cmp_gt_i32_e32 vcc_lo, s28, v152
	v_or_b32_e32 v159, 14, v152
	v_dual_mul_f32 v149, s34, v192 :: v_dual_mul_f32 v150, s34, v191
	v_dual_mul_f32 v147, s34, v194 :: v_dual_mul_f32 v148, s34, v193
	v_mul_f32_e32 v145, s34, v196
	s_delay_alu instid0(VALU_DEP_3) | instskip(NEXT) | instid1(VALU_DEP_4)
	v_cndmask_b32_e64 v149, 0xff7fffff, v149, s2
	v_cndmask_b32_e32 v150, 0xff7fffff, v150, vcc_lo
	v_mul_f32_e32 v146, s34, v195
	v_cndmask_b32_e64 v148, 0xff7fffff, v148, s3
	v_cndmask_b32_e64 v147, 0xff7fffff, v147, s4
	v_or_b32_e32 v160, 16, v152
	v_max3_f32 v149, v150, 0xff7fffff, v149
	v_or_b32_e32 v161, 18, v152
	v_dual_mul_f32 v143, s34, v198 :: v_dual_mul_f32 v144, s34, v197
	v_cndmask_b32_e64 v146, 0xff7fffff, v146, s5
	v_cndmask_b32_e64 v145, 0xff7fffff, v145, s6
	v_max3_f32 v147, v149, v148, v147
	v_cmp_gt_i32_e64 s7, s28, v158
	v_cmp_gt_i32_e64 s8, s28, v159
	v_or_b32_e32 v162, 20, v152
	v_or_b32_e32 v163, 22, v152
	v_dual_mul_f32 v174, s34, v130 :: v_dual_mul_f32 v175, s34, v129
	v_cndmask_b32_e64 v144, 0xff7fffff, v144, s7
	v_cndmask_b32_e64 v143, 0xff7fffff, v143, s8
	v_max3_f32 v145, v147, v146, v145
	v_cmp_gt_i32_e64 s9, s28, v160
	v_cmp_gt_i32_e64 s10, s28, v161
	v_or_b32_e32 v164, 24, v152
	;; [unrolled: 8-line block ×3, first 2 shown]
	v_or_b32_e32 v167, 30, v152
	v_dual_mul_f32 v170, s34, v134 :: v_dual_mul_f32 v171, s34, v133
	v_cndmask_b32_e64 v144, 0xff7fffff, v173, s11
	v_cndmask_b32_e64 v145, 0xff7fffff, v172, s12
	v_max3_f32 v143, v143, v146, v147
	v_cmp_gt_i32_e64 s13, s28, v164
	v_cmp_gt_i32_e64 s15, s28, v165
	v_dual_mul_f32 v168, s34, v136 :: v_dual_mul_f32 v169, s34, v135
	s_delay_alu instid0(VALU_DEP_4) | instskip(NEXT) | instid1(VALU_DEP_4)
	v_max3_f32 v143, v143, v144, v145
	v_cndmask_b32_e64 v146, 0xff7fffff, v171, s13
	s_delay_alu instid0(VALU_DEP_4) | instskip(SKIP_3) | instid1(VALU_DEP_4)
	v_cndmask_b32_e64 v147, 0xff7fffff, v170, s15
	v_cmp_gt_i32_e64 s16, s28, v166
	v_cmp_gt_i32_e64 s17, s28, v167
	v_lshlrev_b32_e32 v160, 2, v151
	v_max3_f32 v143, v143, v146, v147
	s_delay_alu instid0(VALU_DEP_4) | instskip(NEXT) | instid1(VALU_DEP_4)
	v_cndmask_b32_e64 v144, 0xff7fffff, v169, s16
	v_cndmask_b32_e64 v145, 0xff7fffff, v168, s17
	s_delay_alu instid0(VALU_DEP_1) | instskip(SKIP_3) | instid1(VALU_DEP_1)
	v_max3_f32 v143, v143, v144, v145
	ds_bpermute_b32 v144, v160, v143
	s_waitcnt lgkmcnt(0)
	v_max_f32_e32 v144, v144, v144
	v_max_f32_e32 v159, v143, v144
	s_delay_alu instid0(VALU_DEP_1) | instskip(SKIP_4) | instid1(VALU_DEP_4)
	v_fma_f32 v143, s34, v191, -v159
	v_fma_f32 v144, s34, v192, -v159
	;; [unrolled: 1-line block ×5, first 2 shown]
	v_dual_mul_f32 v143, 0x3fb8aa3b, v143 :: v_dual_mul_f32 v144, 0x3fb8aa3b, v144
	s_delay_alu instid0(VALU_DEP_4) | instskip(SKIP_2) | instid1(VALU_DEP_4)
	v_mul_f32_e32 v132, 0x3fb8aa3b, v132
	v_fma_f32 v134, s34, v134, -v159
	v_mul_f32_e32 v145, 0x3fb8aa3b, v145
	v_exp_f32_e32 v143, v143
	v_exp_f32_e32 v147, v144
	v_fma_f32 v148, s34, v195, -v159
	v_mul_f32_e32 v134, 0x3fb8aa3b, v134
	v_mul_f32_e32 v146, 0x3fb8aa3b, v146
	v_exp_f32_e32 v145, v145
	v_fma_f32 v149, s34, v196, -v159
	v_mul_f32_e32 v148, 0x3fb8aa3b, v148
	v_fma_f32 v151, s34, v197, -v159
	v_exp_f32_e32 v150, v146
	v_cndmask_b32_e32 v144, 0, v143, vcc_lo
	v_cndmask_b32_e64 v143, 0, v147, s2
	v_mul_f32_e32 v149, 0x3fb8aa3b, v149
	v_exp_f32_e32 v148, v148
	v_fma_f32 v152, s34, v198, -v159
	v_add_f32_e32 v147, 0, v144
	v_cndmask_b32_e64 v146, 0, v145, s3
	v_mul_f32_e32 v151, 0x3fb8aa3b, v151
	v_exp_f32_e32 v149, v149
	v_cndmask_b32_e64 v145, 0, v150, s4
	v_add_f32_e32 v147, v147, v143
	v_fma_f32 v129, s34, v129, -v159
	v_mul_f32_e32 v150, 0x3fb8aa3b, v152
	v_exp_f32_e32 v151, v151
	v_cndmask_b32_e64 v148, 0, v148, s5
	v_add_f32_e32 v147, v147, v146
	v_fma_f32 v130, s34, v130, -v159
	v_mul_f32_e32 v129, 0x3fb8aa3b, v129
	v_exp_f32_e32 v153, v150
	v_fma_f32 v131, s34, v131, -v159
	v_add_f32_e32 v152, v147, v145
	v_cndmask_b32_e64 v147, 0, v149, s6
	v_mul_f32_e32 v130, 0x3fb8aa3b, v130
	v_exp_f32_e32 v129, v129
	v_cndmask_b32_e64 v150, 0, v151, s7
	v_add_f32_e32 v149, v152, v148
	v_mul_f32_e32 v131, 0x3fb8aa3b, v131
	v_exp_f32_e32 v130, v130
	v_fma_f32 v133, s34, v133, -v159
	v_exp_f32_e32 v132, v132
	v_add_f32_e32 v151, v149, v147
	v_cndmask_b32_e64 v149, 0, v153, s8
	v_exp_f32_e32 v131, v131
	v_cndmask_b32_e64 v152, 0, v129, s9
	v_mul_f32_e32 v133, 0x3fb8aa3b, v133
	v_add_f32_e32 v151, v151, v150
	s_mov_b32 s2, exec_lo
	s_delay_alu instid0(VALU_DEP_2) | instskip(NEXT) | instid1(VALU_DEP_1)
	v_exp_f32_e32 v133, v133
	v_add_f32_e32 v129, v151, v149
	v_cndmask_b32_e64 v151, 0, v130, s10
	v_fma_f32 v130, s34, v135, -v159
	s_delay_alu instid0(TRANS32_DEP_2)
	v_cndmask_b32_e64 v154, 0, v131, s11
	v_exp_f32_e32 v131, v134
	v_add_f32_e32 v129, v129, v152
	v_cndmask_b32_e64 v153, 0, v132, s12
	v_mul_f32_e32 v130, 0x3fb8aa3b, v130
	v_fma_f32 v132, s34, v136, -v159
	v_cndmask_b32_e64 v156, 0, v133, s13
	v_add_f32_e32 v129, v129, v151
	s_delay_alu instid0(VALU_DEP_4) | instskip(NEXT) | instid1(VALU_DEP_3)
	v_exp_f32_e32 v130, v130
	v_mul_f32_e32 v132, 0x3fb8aa3b, v132
	s_delay_alu instid0(TRANS32_DEP_2) | instskip(NEXT) | instid1(VALU_DEP_3)
	v_cndmask_b32_e64 v155, 0, v131, s15
	v_add_f32_e32 v129, v129, v154
	s_delay_alu instid0(VALU_DEP_3) | instskip(NEXT) | instid1(VALU_DEP_1)
	v_exp_f32_e32 v131, v132
	v_add_f32_e32 v129, v129, v153
	s_waitcnt_depctr 0xfff
	v_cndmask_b32_e64 v158, 0, v130, s16
	v_add_f32_e32 v129, v129, v156
	v_cndmask_b32_e64 v157, 0, v131, s17
	s_delay_alu instid0(VALU_DEP_2) | instskip(NEXT) | instid1(VALU_DEP_1)
	v_add_f32_e32 v129, v129, v155
	v_add_f32_e32 v129, v129, v158
	s_delay_alu instid0(VALU_DEP_1)
	v_add_f32_e32 v129, v129, v157
	ds_bpermute_b32 v130, v160, v129
	v_cmpx_gt_u32_e32 16, v142
	s_cbranch_execz .LBB295_12
; %bb.11:
	v_mul_u32_u24_e32 v131, 0x44, v141
	s_delay_alu instid0(VALU_DEP_1) | instskip(SKIP_1) | instid1(VALU_DEP_1)
	v_lshl_add_u32 v131, v140, 2, v131
	s_waitcnt lgkmcnt(0)
	v_dual_add_f32 v129, v129, v130 :: v_dual_add_nc_u32 v130, 0x4000, v131
	ds_store_2addr_b32 v130, v159, v129 offset1:136
.LBB295_12:
	s_or_b32 exec_lo, exec_lo, s2
	v_lshlrev_b32_e32 v129, 2, v140
	s_load_b32 s34, s[0:1], 0x94
	s_waitcnt lgkmcnt(0)
	s_barrier
	buffer_gl0_inv
	v_add_nc_u32_e32 v135, 0x4000, v129
	v_cmp_eq_u32_e32 vcc_lo, 1, v141
	v_cmp_eq_u32_e64 s2, 2, v141
	v_cmp_eq_u32_e64 s3, 3, v141
	;; [unrolled: 1-line block ×3, first 2 shown]
	ds_load_2addr_b32 v[129:130], v135 offset1:17
	ds_load_2addr_b32 v[131:132], v135 offset0:34 offset1:51
	ds_load_2addr_b32 v[133:134], v135 offset0:68 offset1:85
	;; [unrolled: 1-line block ×3, first 2 shown]
	v_cmp_eq_u32_e64 s5, 5, v141
	v_cmp_eq_u32_e64 s6, 7, v141
	s_waitcnt lgkmcnt(3)
	v_max3_f32 v136, v129, 0xff7fffff, v130
	s_waitcnt lgkmcnt(2)
	s_delay_alu instid0(VALU_DEP_1) | instskip(SKIP_1) | instid1(VALU_DEP_1)
	v_max3_f32 v136, v136, v131, v132
	s_waitcnt lgkmcnt(1)
	v_max3_f32 v136, v136, v133, v134
	s_waitcnt lgkmcnt(0)
	s_delay_alu instid0(VALU_DEP_1) | instskip(NEXT) | instid1(VALU_DEP_1)
	v_max3_f32 v136, v136, v159, v160
	v_sub_f32_e32 v142, v130, v136
	ds_load_2addr_b32 v[161:162], v135 offset0:136 offset1:153
	v_sub_f32_e32 v164, v132, v136
	v_mul_f32_e32 v142, 0x3fb8aa3b, v142
	s_delay_alu instid0(VALU_DEP_2) | instskip(NEXT) | instid1(VALU_DEP_2)
	v_mul_f32_e32 v164, 0x3fb8aa3b, v164
	v_exp_f32_e32 v166, v142
	v_sub_f32_e32 v129, v129, v136
	s_delay_alu instid0(VALU_DEP_2) | instskip(NEXT) | instid1(VALU_DEP_1)
	v_exp_f32_e32 v164, v164
	v_mul_f32_e32 v163, 0x3fb8aa3b, v129
	ds_load_2addr_b32 v[129:130], v135 offset0:170 offset1:187
	v_exp_f32_e32 v163, v163
	s_waitcnt lgkmcnt(1)
	s_waitcnt_depctr 0xfff
	v_fma_f32 v142, v163, v161, 0
	v_sub_f32_e32 v161, v134, v136
	s_delay_alu instid0(VALU_DEP_2) | instskip(NEXT) | instid1(VALU_DEP_1)
	v_dual_fmac_f32 v142, v166, v162 :: v_dual_sub_f32 v131, v131, v136
	v_mul_f32_e32 v165, 0x3fb8aa3b, v131
	ds_load_2addr_b32 v[131:132], v135 offset0:204 offset1:221
	v_exp_f32_e32 v165, v165
	s_waitcnt lgkmcnt(1)
	s_waitcnt_depctr 0xfff
	v_fmac_f32_e32 v142, v165, v129
	v_sub_f32_e32 v133, v133, v136
	v_sub_f32_e32 v129, v160, v136
	s_delay_alu instid0(VALU_DEP_2) | instskip(NEXT) | instid1(VALU_DEP_2)
	v_dual_fmac_f32 v142, v164, v130 :: v_dual_mul_f32 v167, 0x3fb8aa3b, v133
	v_mul_f32_e32 v129, 0x3fb8aa3b, v129
	ds_load_2addr_b32 v[133:134], v135 offset0:238 offset1:255
	v_cndmask_b32_e32 v130, v163, v166, vcc_lo
	s_waitcnt lgkmcnt(0)
	s_barrier
	v_exp_f32_e32 v162, v129
	v_sub_f32_e32 v135, v159, v136
	v_mul_f32_e32 v159, 0x3fb8aa3b, v161
	v_exp_f32_e32 v161, v167
	buffer_gl0_inv
	v_exp_f32_e32 v159, v159
	v_fmac_f32_e32 v142, v161, v131
	s_waitcnt_depctr 0xfff
	v_dual_mul_f32 v135, 0x3fb8aa3b, v135 :: v_dual_fmac_f32 v142, v159, v132
	s_delay_alu instid0(VALU_DEP_1) | instskip(SKIP_2) | instid1(VALU_DEP_1)
	v_exp_f32_e32 v160, v135
	s_waitcnt_depctr 0xfff
	v_dual_fmac_f32 v142, v160, v133 :: v_dual_lshlrev_b32 v133, 6, v140
	v_fmac_f32_e32 v142, v162, v134
	s_delay_alu instid0(VALU_DEP_2) | instskip(NEXT) | instid1(VALU_DEP_2)
	v_lshl_or_b32 v135, v141, 11, v133
	v_add_f32_e32 v134, 0x358637bd, v142
	s_delay_alu instid0(VALU_DEP_1) | instskip(SKIP_1) | instid1(VALU_DEP_2)
	v_div_scale_f32 v167, null, v134, v134, 1.0
	v_div_scale_f32 v163, vcc_lo, 1.0, v134, 1.0
	v_rcp_f32_e32 v168, v167
	s_waitcnt_depctr 0xfff
	v_fma_f32 v129, -v167, v168, 1.0
	s_delay_alu instid0(VALU_DEP_1) | instskip(SKIP_2) | instid1(VALU_DEP_2)
	v_fmac_f32_e32 v168, v129, v168
	v_cndmask_b32_e64 v129, v130, v165, s2
	v_cmp_eq_u32_e64 s2, 6, v141
	v_cndmask_b32_e64 v130, v129, v164, s3
	v_lshlrev_b32_e32 v129, 2, v138
	v_mul_f32_e32 v165, v163, v168
	s_delay_alu instid0(VALU_DEP_3) | instskip(NEXT) | instid1(VALU_DEP_3)
	v_cndmask_b32_e64 v161, v130, v161, s4
	v_or_b32_e32 v130, 1, v129
	s_delay_alu instid0(VALU_DEP_3)
	v_fma_f32 v131, -v167, v165, v163
	v_or_b32_e32 v132, 2, v129
	v_cmp_eq_u32_e64 s3, 1, v129
	v_cndmask_b32_e64 v141, v161, v159, s5
	v_cmp_eq_u32_e64 s8, 1, v130
	v_fmac_f32_e32 v165, v131, v168
	v_or_b32_e32 v131, 3, v129
	v_cmp_eq_u32_e64 s9, 1, v132
	v_cndmask_b32_e64 v141, v141, v160, s2
	v_cmp_eq_u32_e64 s4, 2, v129
	v_fma_f32 v159, -v167, v165, v163
	v_cmp_eq_u32_e64 s10, 1, v131
	v_cmp_eq_u32_e64 s15, 2, v131
	v_cndmask_b32_e64 v141, v141, v162, s6
	v_cmp_eq_u32_e64 s11, 2, v130
	v_div_fmas_f32 v159, v159, v168, v165
	v_cmp_eq_u32_e64 s17, 3, v131
	v_cmp_eq_u32_e32 vcc_lo, 3, v129
	v_cmp_eq_u32_e64 s12, 3, v130
	v_cmp_eq_u32_e64 s13, 2, v132
	v_div_fixup_f32 v159, v159, v134, 1.0
	v_lshl_or_b32 v134, v138, 4, v135
	v_cmp_eq_u32_e64 s21, 4, v131
	v_cmp_eq_u32_e64 s2, 4, v129
	;; [unrolled: 1-line block ×3, first 2 shown]
	v_mul_f32_e32 v141, v141, v159
	v_cmp_eq_u32_e64 s18, 4, v130
	v_cmp_eq_u32_e64 s23, 5, v131
	v_cmp_eq_u32_e64 s5, 5, v129
	v_cmp_eq_u32_e64 s19, 5, v130
	v_fma_mixlo_f16 v159, v141, v144, 0
	v_fma_mixlo_f16 v160, v141, v146, 0
	;; [unrolled: 1-line block ×8, first 2 shown]
	v_fma_mixhi_f16 v159, v141, v143, 0
	v_fma_mixhi_f16 v160, v141, v145, 0
	;; [unrolled: 1-line block ×8, first 2 shown]
	ds_store_b128 v134, v[159:162]
	ds_store_b128 v134, v[163:166] offset:1024
	s_waitcnt lgkmcnt(0)
	s_barrier
	buffer_gl0_inv
	ds_load_b128 v[143:146], v135
	ds_load_b128 v[147:150], v135 offset:16
	ds_load_b128 v[151:154], v135 offset:1024
	;; [unrolled: 1-line block ×3, first 2 shown]
	v_cmp_eq_u32_e64 s20, 4, v132
	v_cmp_eq_u32_e64 s26, 6, v131
	v_cmp_eq_u32_e64 s6, 6, v129
	v_cmp_eq_u32_e64 s22, 5, v132
	v_cmp_eq_u32_e64 s24, 6, v130
	v_cmp_eq_u32_e64 s28, 7, v131
	v_cmp_eq_u32_e64 s7, 7, v129
	v_cmp_eq_u32_e64 s25, 6, v132
	v_cmp_eq_u32_e64 s29, 7, v130
	v_cmp_eq_u32_e64 s27, 7, v132
	s_waitcnt lgkmcnt(3)
	v_lshrrev_b32_e32 v141, 16, v143
	s_waitcnt lgkmcnt(2)
	v_lshrrev_b32_e32 v162, 16, v147
	v_lshrrev_b32_e32 v159, 16, v144
	;; [unrolled: 1-line block ×3, first 2 shown]
	s_waitcnt lgkmcnt(1)
	v_lshrrev_b32_e32 v166, 16, v151
	v_cndmask_b32_e64 v174, v143, v141, s3
	v_cndmask_b32_e64 v176, v143, v141, s8
	;; [unrolled: 1-line block ×5, first 2 shown]
	s_waitcnt lgkmcnt(0)
	v_lshrrev_b32_e32 v170, 16, v155
	v_cndmask_b32_e64 v175, v147, v162, s3
	v_cndmask_b32_e64 v177, v147, v162, s8
	v_cndmask_b32_e64 v141, v141, v144, s15
	v_cndmask_b32_e64 v143, v143, v148, s15
	v_cndmask_b32_e64 v179, v147, v162, s9
	v_cndmask_b32_e64 v147, v151, v166, s3
	v_cndmask_b32_e64 v162, v155, v170, s3
	v_cndmask_b32_e64 v180, v151, v166, s8
	v_cndmask_b32_e64 v181, v155, v170, s8
	v_cndmask_b32_e64 v182, v151, v166, s9
	v_cndmask_b32_e64 v183, v155, v170, s9
	v_cndmask_b32_e64 v151, v151, v166, s10
	v_cndmask_b32_e64 v155, v155, v170, s10
	v_cndmask_b32_e64 v166, v174, v144, s4
	v_cndmask_b32_e64 v170, v175, v148, s4
	v_cndmask_b32_e64 v174, v176, v144, s11
	v_cndmask_b32_e64 v175, v177, v148, s11
	v_cndmask_b32_e64 v141, v141, v159, s17
	v_cndmask_b32_e64 v143, v143, v163, s17
	v_lshrrev_b32_e32 v160, 16, v145
	v_lshrrev_b32_e32 v164, 16, v149
	;; [unrolled: 1-line block ×4, first 2 shown]
	v_cndmask_b32_e64 v176, v178, v144, s13
	v_cndmask_b32_e64 v177, v179, v148, s13
	;; [unrolled: 1-line block ×8, first 2 shown]
	v_cndmask_b32_e32 v155, v166, v159, vcc_lo
	v_cndmask_b32_e32 v166, v170, v163, vcc_lo
	v_cndmask_b32_e64 v170, v174, v159, s12
	v_cndmask_b32_e64 v174, v175, v163, s12
	;; [unrolled: 1-line block ×6, first 2 shown]
	v_cndmask_b32_e32 v144, v144, v167, vcc_lo
	v_cndmask_b32_e32 v147, v147, v171, vcc_lo
	v_cndmask_b32_e64 v148, v148, v167, s12
	v_cndmask_b32_e64 v155, v155, v145, s2
	;; [unrolled: 1-line block ×7, first 2 shown]
	v_lshrrev_b32_e32 v161, 16, v146
	v_lshrrev_b32_e32 v165, 16, v150
	;; [unrolled: 1-line block ×4, first 2 shown]
	v_cndmask_b32_e64 v170, v175, v145, s20
	v_cndmask_b32_e64 v174, v176, v149, s20
	v_cndmask_b32_e64 v144, v144, v153, s2
	v_cndmask_b32_e64 v145, v147, v157, s2
	v_cndmask_b32_e64 v147, v148, v153, s18
	v_cndmask_b32_e64 v148, v155, v160, s5
	v_cndmask_b32_e64 v149, v159, v164, s5
	v_cndmask_b32_e64 v155, v163, v160, s19
	v_cndmask_b32_e64 v159, v166, v164, s19
	v_cndmask_b32_e64 v141, v141, v146, s26
	v_cndmask_b32_e64 v143, v143, v150, s26
	v_cndmask_b32_e64 v163, v170, v160, s22
	v_cndmask_b32_e64 v166, v174, v164, s22
	v_cndmask_b32_e64 v144, v144, v168, s5
	v_cndmask_b32_e64 v145, v145, v172, s5
	v_cndmask_b32_e64 v147, v147, v168, s19
	v_cndmask_b32_e64 v148, v148, v146, s6
	v_cndmask_b32_e64 v149, v149, v150, s6
	v_cndmask_b32_e64 v155, v155, v146, s24
	v_cndmask_b32_e64 v159, v159, v150, s24
	v_cndmask_b32_e64 v141, v141, v161, s28
	v_cndmask_b32_e64 v143, v143, v165, s28
	v_lshrrev_b32_e32 v169, 16, v154
	v_cndmask_b32_e64 v160, v163, v146, s25
	v_cndmask_b32_e64 v163, v166, v150, s25
	;; [unrolled: 1-line block ×9, first 2 shown]
	v_perm_b32 v146, v143, v141, 0x5040100
	v_cndmask_b32_e64 v141, v183, v156, s13
	v_cndmask_b32_e64 v143, v181, v156, s11
	;; [unrolled: 1-line block ×4, first 2 shown]
	v_perm_b32 v144, v159, v149, 0x5040100
	v_cndmask_b32_e64 v149, v162, v167, s16
	v_cndmask_b32_e64 v151, v151, v167, s17
	;; [unrolled: 1-line block ×15, first 2 shown]
	v_lshrrev_b32_e32 v173, 16, v158
	v_cndmask_b32_e64 v149, v149, v154, s25
	v_cndmask_b32_e64 v151, v151, v154, s26
	v_cndmask_b32_e64 v152, v152, v158, s26
	v_cndmask_b32_e64 v141, v141, v158, s25
	v_cndmask_b32_e64 v143, v143, v158, s24
	v_cndmask_b32_e64 v160, v163, v165, s27
	v_cndmask_b32_e64 v163, v145, v169, s29
	v_cndmask_b32_e64 v149, v149, v169, s27
	v_cndmask_b32_e64 v151, v151, v169, s28
	v_cndmask_b32_e64 v152, v152, v173, s28
	v_cndmask_b32_e64 v141, v141, v173, s27
	v_cndmask_b32_e64 v153, v143, v173, s29
	v_cndmask_b32_e64 v154, v150, v173, s7
	v_perm_b32 v145, v160, v155, 0x5040100
	v_perm_b32 v143, v148, v147, 0x5040100
	;; [unrolled: 1-line block ×6, first 2 shown]
	s_mul_i32 s6, s33, 10
	s_mov_b32 s2, exec_lo
	ds_store_b128 v134, v[143:146]
	ds_store_b128 v134, v[147:150] offset:1024
	v_cmpx_gt_u32_e32 10, v0
	s_cbranch_execz .LBB295_14
; %bb.13:
	s_mul_i32 s3, s6, s30
	s_load_b128 s[8:11], s[0:1], 0x58
	v_add3_u32 v143, s3, s31, v140
	s_delay_alu instid0(VALU_DEP_1) | instskip(NEXT) | instid1(VALU_DEP_1)
	v_mad_u64_u32 v[140:141], null, v143, s34, s[14:15]
	v_ashrrev_i32_e32 v141, 31, v140
	s_delay_alu instid0(VALU_DEP_1) | instskip(SKIP_1) | instid1(VALU_DEP_1)
	v_lshlrev_b64 v[140:141], 2, v[140:141]
	s_waitcnt lgkmcnt(0)
	v_add_co_u32 v143, vcc_lo, s10, v140
	s_delay_alu instid0(VALU_DEP_2)
	v_add_co_ci_u32_e32 v144, vcc_lo, s11, v141, vcc_lo
	v_add_co_u32 v140, vcc_lo, s8, v140
	v_add_co_ci_u32_e32 v141, vcc_lo, s9, v141, vcc_lo
	global_store_b32 v[143:144], v136, off
	global_store_b32 v[140:141], v142, off
.LBB295_14:
	s_or_b32 exec_lo, exec_lo, s2
	s_waitcnt lgkmcnt(0)
	s_waitcnt_vscnt null, 0x0
	s_barrier
	buffer_gl0_inv
	ds_load_b128 v[148:151], v133
	ds_load_b128 v[152:155], v133 offset:16
	ds_load_b128 v[160:163], v133 offset:1040
	;; [unrolled: 1-line block ×5, first 2 shown]
	v_cmp_eq_u32_e32 vcc_lo, 1, v132
	v_mov_b32_e32 v140, 0
	ds_load_b128 v[176:179], v133 offset:3088
	ds_load_b128 v[172:175], v133 offset:3072
	;; [unrolled: 1-line block ×4, first 2 shown]
	v_cmp_eq_u32_e64 s2, 1, v129
	v_cmp_eq_u32_e64 s3, 1, v131
	;; [unrolled: 1-line block ×3, first 2 shown]
	v_mov_b32_e32 v141, v140
	v_mov_b32_e32 v142, v140
	;; [unrolled: 1-line block ×7, first 2 shown]
	v_cmp_eq_u32_e64 s5, 2, v129
	s_waitcnt lgkmcnt(8)
	s_delay_alu instid0(VALU_DEP_2)
	v_wmma_f32_16x16x16_f16 v[140:147], v[121:128], v[148:155], v[140:147]
	ds_load_b128 v[125:128], v133 offset:5136
	ds_load_b128 v[121:124], v133 offset:5120
	s_waitcnt lgkmcnt(8)
	v_wmma_f32_16x16x16_f16 v[140:147], v[113:120], v[156:163], v[140:147]
	ds_load_b128 v[117:120], v133 offset:6160
	ds_load_b128 v[113:116], v133 offset:6144
	s_waitcnt lgkmcnt(8)
	v_wmma_f32_16x16x16_f16 v[140:147], v[105:112], v[164:171], v[140:147]
	ds_load_b128 v[109:112], v133 offset:7184
	ds_load_b128 v[105:108], v133 offset:7168
	s_waitcnt lgkmcnt(8)
	v_wmma_f32_16x16x16_f16 v[140:147], v[97:104], v[172:179], v[140:147]
	ds_load_b128 v[101:104], v133 offset:8208
	ds_load_b128 v[97:100], v133 offset:8192
	s_waitcnt lgkmcnt(8)
	v_wmma_f32_16x16x16_f16 v[140:147], v[89:96], v[180:187], v[140:147]
	ds_load_b128 v[93:96], v133 offset:9232
	ds_load_b128 v[89:92], v133 offset:9216
	s_waitcnt lgkmcnt(8)
	v_wmma_f32_16x16x16_f16 v[140:147], v[81:88], v[121:128], v[140:147]
	ds_load_b128 v[85:88], v133 offset:10256
	ds_load_b128 v[81:84], v133 offset:10240
	s_waitcnt lgkmcnt(8)
	v_wmma_f32_16x16x16_f16 v[140:147], v[73:80], v[113:120], v[140:147]
	ds_load_b128 v[77:80], v133 offset:11280
	ds_load_b128 v[73:76], v133 offset:11264
	s_waitcnt lgkmcnt(8)
	v_wmma_f32_16x16x16_f16 v[140:147], v[65:72], v[105:112], v[140:147]
	ds_load_b128 v[69:72], v133 offset:12304
	ds_load_b128 v[65:68], v133 offset:12288
	s_waitcnt lgkmcnt(8)
	v_wmma_f32_16x16x16_f16 v[140:147], v[57:64], v[97:104], v[140:147]
	ds_load_b128 v[61:64], v133 offset:13328
	ds_load_b128 v[57:60], v133 offset:13312
	s_waitcnt lgkmcnt(8)
	v_wmma_f32_16x16x16_f16 v[140:147], v[49:56], v[89:96], v[140:147]
	ds_load_b128 v[53:56], v133 offset:14352
	ds_load_b128 v[49:52], v133 offset:14336
	s_waitcnt lgkmcnt(8)
	v_wmma_f32_16x16x16_f16 v[140:147], v[25:32], v[81:88], v[140:147]
	ds_load_b128 v[29:32], v133 offset:15376
	ds_load_b128 v[25:28], v133 offset:15360
	s_waitcnt lgkmcnt(0)
	s_barrier
	buffer_gl0_inv
	v_wmma_f32_16x16x16_f16 v[140:147], v[1:8], v[73:80], v[140:147]
	s_delay_alu instid0(VALU_DEP_1) | instskip(NEXT) | instid1(VALU_DEP_1)
	v_wmma_f32_16x16x16_f16 v[140:147], v[9:16], v[65:72], v[140:147]
	v_wmma_f32_16x16x16_f16 v[140:147], v[33:40], v[57:64], v[140:147]
	s_delay_alu instid0(VALU_DEP_1) | instskip(NEXT) | instid1(VALU_DEP_1)
	v_wmma_f32_16x16x16_f16 v[140:147], v[41:48], v[49:56], v[140:147]
	v_wmma_f32_16x16x16_f16 v[140:147], v[17:24], v[25:32], v[140:147]
	s_delay_alu instid0(VALU_DEP_1) | instskip(NEXT) | instid1(VALU_DEP_2)
	v_cvt_f16_f32_e64 v1, v140
	v_cvt_f16_f32_e64 v2, v141
	s_delay_alu instid0(VALU_DEP_3) | instskip(NEXT) | instid1(VALU_DEP_4)
	v_cvt_f16_f32_e64 v3, v142
	v_cvt_f16_f32_e64 v4, v143
	;; [unrolled: 1-line block ×6, first 2 shown]
	v_pack_b32_f16 v1, v1, v2
	v_pack_b32_f16 v2, v3, v4
	;; [unrolled: 1-line block ×3, first 2 shown]
	s_delay_alu instid0(VALU_DEP_4)
	v_pack_b32_f16 v4, v7, v8
	ds_store_b128 v134, v[1:4]
	s_waitcnt lgkmcnt(0)
	s_barrier
	buffer_gl0_inv
	ds_load_b128 v[1:4], v135
	ds_load_b128 v[5:8], v135 offset:16
	s_waitcnt lgkmcnt(1)
	v_lshrrev_b32_e32 v9, 16, v1
	s_waitcnt lgkmcnt(0)
	v_lshrrev_b32_e32 v13, 16, v5
	v_lshrrev_b32_e32 v10, 16, v2
	;; [unrolled: 1-line block ×4, first 2 shown]
	v_cndmask_b32_e64 v17, v1, v9, s2
	v_cndmask_b32_e64 v18, v5, v13, s2
	;; [unrolled: 1-line block ×3, first 2 shown]
	v_cmp_eq_u32_e64 s2, 2, v130
	v_cndmask_b32_e64 v20, v5, v13, s4
	v_cndmask_b32_e32 v21, v1, v9, vcc_lo
	v_cndmask_b32_e32 v22, v5, v13, vcc_lo
	v_cndmask_b32_e64 v1, v1, v9, s3
	v_cndmask_b32_e64 v5, v5, v13, s3
	v_cmp_eq_u32_e32 vcc_lo, 2, v132
	v_cmp_eq_u32_e64 s3, 2, v131
	v_cndmask_b32_e64 v9, v17, v2, s5
	v_cndmask_b32_e64 v13, v18, v6, s5
	;; [unrolled: 1-line block ×4, first 2 shown]
	v_cndmask_b32_e32 v19, v21, v2, vcc_lo
	v_cmp_eq_u32_e64 s2, 3, v132
	v_cndmask_b32_e32 v20, v22, v6, vcc_lo
	v_cndmask_b32_e64 v1, v1, v2, s3
	v_cmp_eq_u32_e32 vcc_lo, 3, v131
	v_cmp_eq_u32_e64 s4, 3, v129
	v_cndmask_b32_e64 v2, v5, v6, s3
	v_cmp_eq_u32_e64 s3, 3, v130
	v_cmp_eq_u32_e64 s5, 4, v129
	v_cndmask_b32_e32 v1, v1, v10, vcc_lo
	v_cndmask_b32_e64 v5, v9, v10, s4
	v_cndmask_b32_e64 v6, v13, v14, s4
	;; [unrolled: 1-line block ×3, first 2 shown]
	v_cmp_eq_u32_e64 s4, 4, v130
	v_cndmask_b32_e64 v13, v18, v14, s3
	v_cndmask_b32_e64 v17, v19, v10, s2
	;; [unrolled: 1-line block ×3, first 2 shown]
	v_cndmask_b32_e32 v2, v2, v14, vcc_lo
	v_cmp_eq_u32_e32 vcc_lo, 4, v132
	v_cmp_eq_u32_e64 s3, 4, v131
	v_lshrrev_b32_e32 v15, 16, v7
	v_cndmask_b32_e64 v5, v5, v3, s5
	v_cndmask_b32_e64 v6, v6, v7, s5
	v_cndmask_b32_e32 v14, v18, v7, vcc_lo
	v_cndmask_b32_e64 v9, v9, v3, s4
	v_cndmask_b32_e64 v10, v13, v7, s4
	v_cndmask_b32_e32 v13, v17, v3, vcc_lo
	v_cmp_eq_u32_e64 s2, 5, v132
	v_cndmask_b32_e64 v1, v1, v3, s3
	v_cmp_eq_u32_e32 vcc_lo, 5, v131
	v_cmp_eq_u32_e64 s4, 5, v129
	v_cndmask_b32_e64 v2, v2, v7, s3
	v_cmp_eq_u32_e64 s3, 5, v130
	v_cmp_eq_u32_e64 s5, 6, v129
	v_lshrrev_b32_e32 v12, 16, v4
	v_cndmask_b32_e64 v3, v5, v11, s4
	v_cndmask_b32_e64 v5, v6, v15, s4
	;; [unrolled: 1-line block ×3, first 2 shown]
	v_cmp_eq_u32_e64 s4, 6, v130
	v_cndmask_b32_e64 v7, v10, v15, s3
	v_cndmask_b32_e64 v9, v13, v11, s2
	;; [unrolled: 1-line block ×3, first 2 shown]
	v_cndmask_b32_e32 v1, v1, v11, vcc_lo
	v_cndmask_b32_e32 v2, v2, v15, vcc_lo
	v_cmp_eq_u32_e32 vcc_lo, 6, v132
	v_cmp_eq_u32_e64 s2, 6, v131
	v_lshrrev_b32_e32 v16, 16, v8
	v_cndmask_b32_e64 v3, v3, v4, s5
	v_cndmask_b32_e64 v5, v5, v8, s5
	v_cndmask_b32_e32 v9, v9, v4, vcc_lo
	v_cndmask_b32_e64 v6, v6, v4, s4
	v_cndmask_b32_e64 v7, v7, v8, s4
	v_cmp_eq_u32_e64 s3, 7, v132
	v_cndmask_b32_e32 v10, v10, v8, vcc_lo
	v_cndmask_b32_e64 v1, v1, v4, s2
	v_cmp_eq_u32_e32 vcc_lo, 7, v131
	v_cndmask_b32_e64 v2, v2, v8, s2
	v_cmp_eq_u32_e64 s2, 7, v129
	v_cmp_eq_u32_e64 s4, 7, v130
	v_cndmask_b32_e32 v1, v1, v12, vcc_lo
	s_delay_alu instid0(VALU_DEP_4) | instskip(NEXT) | instid1(VALU_DEP_4)
	v_cndmask_b32_e32 v2, v2, v16, vcc_lo
	v_cndmask_b32_e64 v8, v3, v12, s2
	s_delay_alu instid0(VALU_DEP_4)
	v_cndmask_b32_e64 v6, v6, v12, s4
	v_cndmask_b32_e64 v3, v9, v12, s3
	;; [unrolled: 1-line block ×5, first 2 shown]
	v_perm_b32 v4, v2, v1, 0x5040100
	s_mov_b32 s2, exec_lo
	v_perm_b32 v3, v9, v3, 0x5040100
	v_perm_b32 v2, v7, v6, 0x5040100
	;; [unrolled: 1-line block ×3, first 2 shown]
	ds_store_b128 v134, v[1:4]
	s_waitcnt lgkmcnt(0)
	s_barrier
	buffer_gl0_inv
	v_cmpx_gt_u32_e32 32, v0
	s_cbranch_execz .LBB295_2
; %bb.15:
	s_load_b64 s[0:1], s[0:1], 0x68
	s_lshl_b32 s4, s34, 7
	v_or_b32_e32 v2, s31, v138
	s_mul_i32 s2, s4, s30
	v_lshlrev_b32_e32 v0, 10, v0
	s_mul_i32 s2, s2, s6
	v_lshlrev_b32_e32 v1, 4, v139
	s_ashr_i32 s3, s2, 31
	v_mul_lo_u32 v20, v2, s4
	s_lshl_b64 s[2:3], s[2:3], 1
	v_lshlrev_b32_e32 v3, 6, v138
	v_and_b32_e32 v0, 0x3800, v0
	s_delay_alu instid0(VALU_DEP_1) | instskip(NEXT) | instid1(VALU_DEP_4)
	v_or3_b32 v16, v0, v1, v3
	v_ashrrev_i32_e32 v21, 31, v20
	ds_load_b128 v[0:3], v16
	ds_load_b128 v[4:7], v16 offset:128
	s_waitcnt lgkmcnt(0)
	s_add_u32 s2, s0, s2
	s_addc_u32 s3, s1, s3
	s_lshl_b32 s0, s14, 7
	ds_load_b128 v[8:11], v16 offset:256
	ds_load_b128 v[12:15], v16 offset:384
	;; [unrolled: 1-line block ×3, first 2 shown]
	s_ashr_i32 s1, s0, 31
	s_delay_alu instid0(SALU_CYCLE_1) | instskip(NEXT) | instid1(SALU_CYCLE_1)
	s_lshl_b64 s[0:1], s[0:1], 1
	s_add_u32 s0, s2, s0
	s_addc_u32 s1, s3, s1
	s_lshl_b32 s2, s34, 8
	v_add_co_u32 v30, s0, s0, v137
	v_add_nc_u32_e32 v22, s2, v20
	v_lshlrev_b64 v[20:21], 1, v[20:21]
	v_add_co_ci_u32_e64 v31, null, s1, 0, s0
	s_delay_alu instid0(VALU_DEP_3) | instskip(SKIP_1) | instid1(VALU_DEP_4)
	v_add_nc_u32_e32 v24, s2, v22
	v_ashrrev_i32_e32 v23, 31, v22
	v_add_co_u32 v20, vcc_lo, v30, v20
	s_delay_alu instid0(VALU_DEP_4) | instskip(NEXT) | instid1(VALU_DEP_4)
	v_add_co_ci_u32_e32 v21, vcc_lo, v31, v21, vcc_lo
	v_add_nc_u32_e32 v26, s2, v24
	v_ashrrev_i32_e32 v25, 31, v24
	v_lshlrev_b64 v[22:23], 1, v[22:23]
	s_delay_alu instid0(VALU_DEP_3) | instskip(SKIP_1) | instid1(VALU_DEP_4)
	v_add_nc_u32_e32 v28, s2, v26
	v_ashrrev_i32_e32 v27, 31, v26
	v_lshlrev_b64 v[24:25], 1, v[24:25]
	s_delay_alu instid0(VALU_DEP_4) | instskip(NEXT) | instid1(VALU_DEP_4)
	v_add_co_u32 v22, vcc_lo, v30, v22
	v_ashrrev_i32_e32 v29, 31, v28
	s_delay_alu instid0(VALU_DEP_4) | instskip(SKIP_2) | instid1(VALU_DEP_4)
	v_lshlrev_b64 v[26:27], 1, v[26:27]
	v_add_co_ci_u32_e32 v23, vcc_lo, v31, v23, vcc_lo
	v_add_co_u32 v24, vcc_lo, v30, v24
	v_lshlrev_b64 v[28:29], 1, v[28:29]
	v_add_co_ci_u32_e32 v25, vcc_lo, v31, v25, vcc_lo
	v_add_co_u32 v26, vcc_lo, v30, v26
	v_add_co_ci_u32_e32 v27, vcc_lo, v31, v27, vcc_lo
	s_delay_alu instid0(VALU_DEP_4)
	v_add_co_u32 v28, vcc_lo, v30, v28
	v_add_co_ci_u32_e32 v29, vcc_lo, v31, v29, vcc_lo
	s_clause 0x1
	global_store_b128 v[20:21], v[0:3], off
	global_store_b128 v[22:23], v[4:7], off
	s_waitcnt lgkmcnt(2)
	global_store_b128 v[24:25], v[8:11], off
	s_waitcnt lgkmcnt(1)
	;; [unrolled: 2-line block ×3, first 2 shown]
	global_store_b128 v[28:29], v[16:19], off
	s_nop 0
	s_sendmsg sendmsg(MSG_DEALLOC_VGPRS)
	s_endpgm
	.section	.rodata,"a",@progbits
	.p2align	6, 0x0
	.amdhsa_kernel _Z39paged_attention_ll4mi_QKV_mfma16_kernelIDF16_DF16_LN4vllm18Fp8KVCacheDataTypeE0EDF16_Li16ELi128ELi256ELb0ELi10EL8MFMAType0EEvPKT_PKT0_S8_ifPKiSA_SA_iPKfiiiPfSD_PS3_PT2_iSC_SC_
		.amdhsa_group_segment_fixed_size 17472
		.amdhsa_private_segment_fixed_size 0
		.amdhsa_kernarg_size 400
		.amdhsa_user_sgpr_count 13
		.amdhsa_user_sgpr_dispatch_ptr 0
		.amdhsa_user_sgpr_queue_ptr 0
		.amdhsa_user_sgpr_kernarg_segment_ptr 1
		.amdhsa_user_sgpr_dispatch_id 0
		.amdhsa_user_sgpr_private_segment_size 0
		.amdhsa_wavefront_size32 1
		.amdhsa_uses_dynamic_stack 0
		.amdhsa_enable_private_segment 0
		.amdhsa_system_sgpr_workgroup_id_x 1
		.amdhsa_system_sgpr_workgroup_id_y 1
		.amdhsa_system_sgpr_workgroup_id_z 1
		.amdhsa_system_sgpr_workgroup_info 0
		.amdhsa_system_vgpr_workitem_id 0
		.amdhsa_next_free_vgpr 218
		.amdhsa_next_free_sgpr 52
		.amdhsa_reserve_vcc 1
		.amdhsa_float_round_mode_32 0
		.amdhsa_float_round_mode_16_64 0
		.amdhsa_float_denorm_mode_32 3
		.amdhsa_float_denorm_mode_16_64 3
		.amdhsa_dx10_clamp 1
		.amdhsa_ieee_mode 1
		.amdhsa_fp16_overflow 0
		.amdhsa_workgroup_processor_mode 1
		.amdhsa_memory_ordered 1
		.amdhsa_forward_progress 0
		.amdhsa_shared_vgpr_count 0
		.amdhsa_exception_fp_ieee_invalid_op 0
		.amdhsa_exception_fp_denorm_src 0
		.amdhsa_exception_fp_ieee_div_zero 0
		.amdhsa_exception_fp_ieee_overflow 0
		.amdhsa_exception_fp_ieee_underflow 0
		.amdhsa_exception_fp_ieee_inexact 0
		.amdhsa_exception_int_div_zero 0
	.end_amdhsa_kernel
	.section	.text._Z39paged_attention_ll4mi_QKV_mfma16_kernelIDF16_DF16_LN4vllm18Fp8KVCacheDataTypeE0EDF16_Li16ELi128ELi256ELb0ELi10EL8MFMAType0EEvPKT_PKT0_S8_ifPKiSA_SA_iPKfiiiPfSD_PS3_PT2_iSC_SC_,"axG",@progbits,_Z39paged_attention_ll4mi_QKV_mfma16_kernelIDF16_DF16_LN4vllm18Fp8KVCacheDataTypeE0EDF16_Li16ELi128ELi256ELb0ELi10EL8MFMAType0EEvPKT_PKT0_S8_ifPKiSA_SA_iPKfiiiPfSD_PS3_PT2_iSC_SC_,comdat
.Lfunc_end295:
	.size	_Z39paged_attention_ll4mi_QKV_mfma16_kernelIDF16_DF16_LN4vllm18Fp8KVCacheDataTypeE0EDF16_Li16ELi128ELi256ELb0ELi10EL8MFMAType0EEvPKT_PKT0_S8_ifPKiSA_SA_iPKfiiiPfSD_PS3_PT2_iSC_SC_, .Lfunc_end295-_Z39paged_attention_ll4mi_QKV_mfma16_kernelIDF16_DF16_LN4vllm18Fp8KVCacheDataTypeE0EDF16_Li16ELi128ELi256ELb0ELi10EL8MFMAType0EEvPKT_PKT0_S8_ifPKiSA_SA_iPKfiiiPfSD_PS3_PT2_iSC_SC_
                                        ; -- End function
	.section	.AMDGPU.csdata,"",@progbits
; Kernel info:
; codeLenInByte = 8120
; NumSgprs: 54
; NumVgprs: 218
; ScratchSize: 0
; MemoryBound: 0
; FloatMode: 240
; IeeeMode: 1
; LDSByteSize: 17472 bytes/workgroup (compile time only)
; SGPRBlocks: 6
; VGPRBlocks: 27
; NumSGPRsForWavesPerEU: 54
; NumVGPRsForWavesPerEU: 218
; Occupancy: 6
; WaveLimiterHint : 1
; COMPUTE_PGM_RSRC2:SCRATCH_EN: 0
; COMPUTE_PGM_RSRC2:USER_SGPR: 13
; COMPUTE_PGM_RSRC2:TRAP_HANDLER: 0
; COMPUTE_PGM_RSRC2:TGID_X_EN: 1
; COMPUTE_PGM_RSRC2:TGID_Y_EN: 1
; COMPUTE_PGM_RSRC2:TGID_Z_EN: 1
; COMPUTE_PGM_RSRC2:TIDIG_COMP_CNT: 0
	.section	.text._Z39paged_attention_ll4mi_QKV_mfma16_kernelIDF16_DF16_LN4vllm18Fp8KVCacheDataTypeE0EDF16_Li16ELi128ELi256ELb0ELi11EL8MFMAType0EEvPKT_PKT0_S8_ifPKiSA_SA_iPKfiiiPfSD_PS3_PT2_iSC_SC_,"axG",@progbits,_Z39paged_attention_ll4mi_QKV_mfma16_kernelIDF16_DF16_LN4vllm18Fp8KVCacheDataTypeE0EDF16_Li16ELi128ELi256ELb0ELi11EL8MFMAType0EEvPKT_PKT0_S8_ifPKiSA_SA_iPKfiiiPfSD_PS3_PT2_iSC_SC_,comdat
	.protected	_Z39paged_attention_ll4mi_QKV_mfma16_kernelIDF16_DF16_LN4vllm18Fp8KVCacheDataTypeE0EDF16_Li16ELi128ELi256ELb0ELi11EL8MFMAType0EEvPKT_PKT0_S8_ifPKiSA_SA_iPKfiiiPfSD_PS3_PT2_iSC_SC_ ; -- Begin function _Z39paged_attention_ll4mi_QKV_mfma16_kernelIDF16_DF16_LN4vllm18Fp8KVCacheDataTypeE0EDF16_Li16ELi128ELi256ELb0ELi11EL8MFMAType0EEvPKT_PKT0_S8_ifPKiSA_SA_iPKfiiiPfSD_PS3_PT2_iSC_SC_
	.globl	_Z39paged_attention_ll4mi_QKV_mfma16_kernelIDF16_DF16_LN4vllm18Fp8KVCacheDataTypeE0EDF16_Li16ELi128ELi256ELb0ELi11EL8MFMAType0EEvPKT_PKT0_S8_ifPKiSA_SA_iPKfiiiPfSD_PS3_PT2_iSC_SC_
	.p2align	8
	.type	_Z39paged_attention_ll4mi_QKV_mfma16_kernelIDF16_DF16_LN4vllm18Fp8KVCacheDataTypeE0EDF16_Li16ELi128ELi256ELb0ELi11EL8MFMAType0EEvPKT_PKT0_S8_ifPKiSA_SA_iPKfiiiPfSD_PS3_PT2_iSC_SC_,@function
_Z39paged_attention_ll4mi_QKV_mfma16_kernelIDF16_DF16_LN4vllm18Fp8KVCacheDataTypeE0EDF16_Li16ELi128ELi256ELb0ELi11EL8MFMAType0EEvPKT_PKT0_S8_ifPKiSA_SA_iPKfiiiPfSD_PS3_PT2_iSC_SC_: ; @_Z39paged_attention_ll4mi_QKV_mfma16_kernelIDF16_DF16_LN4vllm18Fp8KVCacheDataTypeE0EDF16_Li16ELi128ELi256ELb0ELi11EL8MFMAType0EEvPKT_PKT0_S8_ifPKiSA_SA_iPKfiiiPfSD_PS3_PT2_iSC_SC_
; %bb.0:
	s_load_b64 s[4:5], s[0:1], 0x30
	s_mov_b32 s34, s13
	s_waitcnt lgkmcnt(0)
	s_cmp_lg_u64 s[4:5], 0
	s_cselect_b32 s8, -1, 0
	s_ashr_i32 s35, s13, 31
	s_cmp_eq_u64 s[4:5], 0
	s_cbranch_scc1 .LBB296_3
; %bb.1:
	s_lshl_b64 s[2:3], s[34:35], 2
	s_delay_alu instid0(SALU_CYCLE_1) | instskip(SKIP_4) | instid1(SALU_CYCLE_1)
	s_add_u32 s2, s4, s2
	s_addc_u32 s3, s5, s3
	s_load_b64 s[2:3], s[2:3], 0x0
	s_waitcnt lgkmcnt(0)
	s_sub_i32 s2, s3, s2
	s_cmp_eq_u32 s2, 1
	s_cselect_b32 s2, -1, 0
	s_delay_alu instid0(SALU_CYCLE_1)
	s_and_not1_b32 vcc_lo, exec_lo, s2
	s_cbranch_vccz .LBB296_4
.LBB296_2:
	s_nop 0
	s_sendmsg sendmsg(MSG_DEALLOC_VGPRS)
	s_endpgm
.LBB296_3:
.LBB296_4:
	s_load_b64 s[2:3], s[0:1], 0x28
	s_lshl_b64 s[6:7], s[34:35], 2
	s_waitcnt lgkmcnt(0)
	s_add_u32 s2, s2, s6
	s_addc_u32 s3, s3, s7
	s_lshl_b32 s29, s14, 8
	s_load_b32 s28, s[2:3], 0x0
	s_waitcnt lgkmcnt(0)
	s_cmp_ge_i32 s29, s28
	s_cbranch_scc1 .LBB296_2
; %bb.5:
	s_clause 0x1
	s_load_b128 s[20:23], s[0:1], 0x8
	s_load_b64 s[2:3], s[0:1], 0x20
	s_and_not1_b32 vcc_lo, exec_lo, s8
	s_cbranch_vccnz .LBB296_7
; %bb.6:
	s_add_u32 s4, s4, s6
	s_addc_u32 s5, s5, s7
	s_load_b32 s5, s[4:5], 0x0
	s_branch .LBB296_8
.LBB296_7:
	s_mov_b32 s5, s34
.LBB296_8:
	s_load_b128 s[16:19], s[0:1], 0x48
	v_and_b32_e32 v140, 15, v0
	v_lshrrev_b32_e32 v141, 5, v0
	v_bfe_u32 v138, v0, 4, 1
	v_and_b32_e32 v142, 31, v0
	v_and_b32_e32 v139, 1, v0
	v_lshlrev_b32_e32 v2, 3, v140
	s_mul_i32 s31, s15, 11
	v_lshl_or_b32 v1, v141, 1, v138
	s_mov_b32 s4, exec_lo
	s_delay_alu instid0(VALU_DEP_2) | instskip(NEXT) | instid1(VALU_DEP_2)
	v_lshlrev_b32_e32 v137, 1, v2
	v_cmpx_gt_u32_e32 11, v1
	s_cbranch_execz .LBB296_10
; %bb.9:
	s_load_b64 s[6:7], s[0:1], 0x0
	v_add_lshl_u32 v2, v1, s31, 7
	s_waitcnt lgkmcnt(0)
	s_mul_hi_i32 s9, s5, s16
	s_mul_i32 s8, s5, s16
	v_lshlrev_b32_e32 v6, 10, v140
	s_lshl_b64 s[8:9], s[8:9], 1
	v_ashrrev_i32_e32 v3, 31, v2
	v_lshlrev_b32_e32 v1, 6, v1
	v_lshlrev_b32_e32 v7, 10, v139
	v_and_b32_e32 v6, 0x3800, v6
	s_delay_alu instid0(VALU_DEP_4) | instskip(NEXT) | instid1(VALU_DEP_2)
	v_lshlrev_b64 v[2:3], 1, v[2:3]
	v_or3_b32 v1, v6, v7, v1
	s_add_u32 s5, s6, s8
	s_addc_u32 s6, s7, s9
	s_delay_alu instid0(VALU_DEP_2) | instskip(NEXT) | instid1(VALU_DEP_3)
	v_add_co_u32 v2, vcc_lo, s5, v2
	v_add_co_ci_u32_e32 v3, vcc_lo, s6, v3, vcc_lo
	s_delay_alu instid0(VALU_DEP_2) | instskip(NEXT) | instid1(VALU_DEP_2)
	v_add_co_u32 v2, vcc_lo, v2, v137
	v_add_co_ci_u32_e32 v3, vcc_lo, 0, v3, vcc_lo
	global_load_b128 v[2:5], v[2:3], off
	s_waitcnt vmcnt(0)
	ds_store_b128 v1, v[2:5]
.LBB296_10:
	s_or_b32 exec_lo, exec_lo, s4
	v_and_b32_e32 v1, 0xef, v0
	s_waitcnt lgkmcnt(0)
	s_add_i32 s5, s28, 15
	s_clause 0x1
	s_load_b32 s4, s[0:1], 0x38
	s_load_b32 s33, s[0:1], 0x98
	s_ashr_i32 s6, s5, 31
	v_add_nc_u32_e32 v1, s29, v1
	s_lshr_b32 s6, s6, 28
	s_load_b32 s30, s[0:1], 0x1c
	s_add_i32 s5, s5, s6
	s_waitcnt lgkmcnt(0)
	v_ashrrev_i32_e32 v2, 31, v1
	v_cmp_gt_i32_e32 vcc_lo, s28, v1
	s_ashr_i32 s16, s5, 4
	s_barrier
	s_add_i32 s16, s16, -1
	v_lshrrev_b32_e32 v3, 28, v2
	v_or_b32_e32 v2, 16, v1
	buffer_gl0_inv
	v_add_nc_u32_e32 v105, -11, v140
	v_lshlrev_b32_e32 v106, 5, v140
	v_add_nc_u32_e32 v4, v1, v3
	v_add_nc_u32_e32 v3, v2, v3
	s_mul_i32 s4, s34, s4
	s_delay_alu instid0(SALU_CYCLE_1) | instskip(NEXT) | instid1(VALU_DEP_2)
	s_ashr_i32 s5, s4, 31
	v_ashrrev_i32_e32 v4, 4, v4
	s_delay_alu instid0(VALU_DEP_2)
	v_ashrrev_i32_e32 v3, 4, v3
	s_lshl_b64 s[4:5], s[4:5], 2
	v_lshl_or_b32 v125, v141, 9, v106
	s_add_u32 s35, s2, s4
	v_cndmask_b32_e32 v1, s16, v4, vcc_lo
	v_cmp_gt_i32_e32 vcc_lo, s28, v2
	s_addc_u32 s36, s3, s5
	s_mul_i32 s2, s15, s18
	s_delay_alu instid0(VALU_DEP_2) | instskip(SKIP_2) | instid1(SALU_CYCLE_1)
	v_ashrrev_i32_e32 v2, 31, v1
	v_cndmask_b32_e32 v3, s16, v3, vcc_lo
	s_ashr_i32 s3, s2, 31
	s_lshl_b64 s[2:3], s[2:3], 1
	s_delay_alu instid0(VALU_DEP_2) | instskip(NEXT) | instid1(VALU_DEP_2)
	v_lshlrev_b64 v[1:2], 2, v[1:2]
	v_ashrrev_i32_e32 v4, 31, v3
	s_add_u32 s24, s20, s2
	s_addc_u32 s25, s21, s3
	s_lshl_b32 s4, s14, 4
	s_delay_alu instid0(VALU_DEP_1) | instskip(SKIP_3) | instid1(VALU_DEP_3)
	v_lshlrev_b64 v[3:4], 2, v[3:4]
	v_add_co_u32 v1, vcc_lo, s35, v1
	v_add_co_ci_u32_e32 v2, vcc_lo, s36, v2, vcc_lo
	s_ashr_i32 s5, s4, 31
	v_add_co_u32 v3, vcc_lo, s35, v3
	s_delay_alu instid0(VALU_DEP_4)
	v_add_co_ci_u32_e32 v4, vcc_lo, s36, v4, vcc_lo
	s_lshl_b64 s[4:5], s[4:5], 2
	s_clause 0x1
	global_load_b32 v5, v[1:2], off
	global_load_b32 v6, v[3:4], off
	s_add_u32 s4, s35, s4
	s_addc_u32 s5, s36, s5
	s_or_b32 s6, s29, 16
	v_lshlrev_b32_e32 v3, 4, v0
	s_ashr_i32 s7, s6, 4
	s_cmp_lt_i32 s6, s28
	s_cselect_b32 s6, s7, s16
	s_delay_alu instid0(SALU_CYCLE_1) | instskip(NEXT) | instid1(SALU_CYCLE_1)
	s_ashr_i32 s7, s6, 31
	s_lshl_b64 s[6:7], s[6:7], 2
	s_delay_alu instid0(SALU_CYCLE_1) | instskip(SKIP_2) | instid1(SALU_CYCLE_1)
	s_add_u32 s6, s35, s6
	s_addc_u32 s7, s36, s7
	s_or_b32 s8, s29, 32
	s_ashr_i32 s9, s8, 4
	s_cmp_lt_i32 s8, s28
	s_cselect_b32 s8, s9, s16
	s_delay_alu instid0(SALU_CYCLE_1) | instskip(NEXT) | instid1(SALU_CYCLE_1)
	s_ashr_i32 s9, s8, 31
	s_lshl_b64 s[8:9], s[8:9], 2
	s_delay_alu instid0(SALU_CYCLE_1) | instskip(SKIP_2) | instid1(SALU_CYCLE_1)
	s_add_u32 s8, s35, s8
	s_addc_u32 s9, s36, s9
	s_or_b32 s10, s29, 48
	s_ashr_i32 s11, s10, 4
	s_cmp_lt_i32 s10, s28
	s_cselect_b32 s10, s11, s16
	s_delay_alu instid0(SALU_CYCLE_1) | instskip(NEXT) | instid1(SALU_CYCLE_1)
	s_ashr_i32 s11, s10, 31
	s_lshl_b64 s[10:11], s[10:11], 2
	s_delay_alu instid0(SALU_CYCLE_1) | instskip(SKIP_2) | instid1(SALU_CYCLE_1)
	s_add_u32 s10, s35, s10
	s_addc_u32 s11, s36, s11
	s_or_b32 s12, s29, 64
	s_ashr_i32 s13, s12, 4
	s_cmp_lt_i32 s12, s28
	s_cselect_b32 s12, s13, s16
	s_delay_alu instid0(SALU_CYCLE_1) | instskip(NEXT) | instid1(SALU_CYCLE_1)
	s_ashr_i32 s13, s12, 31
	s_lshl_b64 s[12:13], s[12:13], 2
	s_delay_alu instid0(SALU_CYCLE_1) | instskip(SKIP_2) | instid1(SALU_CYCLE_1)
	s_add_u32 s18, s35, s12
	s_addc_u32 s19, s36, s13
	s_or_b32 s12, s29, 0x50
	s_ashr_i32 s13, s12, 4
	s_cmp_lt_i32 s12, s28
	s_cselect_b32 s12, s13, s16
	s_delay_alu instid0(SALU_CYCLE_1) | instskip(NEXT) | instid1(SALU_CYCLE_1)
	s_ashr_i32 s13, s12, 31
	s_lshl_b64 s[12:13], s[12:13], 2
	s_delay_alu instid0(SALU_CYCLE_1)
	s_add_u32 s20, s35, s12
	s_addc_u32 s21, s36, s13
	s_clause 0x5
	s_load_b32 s37, s[4:5], 0x0
	s_load_b32 s27, s[6:7], 0x0
	;; [unrolled: 1-line block ×6, first 2 shown]
	s_waitcnt vmcnt(1)
	v_mad_i64_i32 v[1:2], null, v5, s17, 0
	v_and_b32_e32 v5, 0xf0, v3
	s_waitcnt vmcnt(0)
	v_mad_i64_i32 v[3:4], null, v6, s17, 0
	s_delay_alu instid0(VALU_DEP_2) | instskip(NEXT) | instid1(VALU_DEP_4)
	v_add_co_u32 v5, s4, s24, v5
	v_lshlrev_b64 v[1:2], 1, v[1:2]
	v_add_co_ci_u32_e64 v6, null, s25, 0, s4
	s_delay_alu instid0(VALU_DEP_4) | instskip(SKIP_1) | instid1(VALU_DEP_3)
	v_lshlrev_b64 v[3:4], 1, v[3:4]
	s_or_b32 s4, s29, 0x60
	v_add_co_u32 v121, vcc_lo, v5, v1
	s_delay_alu instid0(VALU_DEP_3) | instskip(NEXT) | instid1(VALU_DEP_3)
	v_add_co_ci_u32_e32 v122, vcc_lo, v6, v2, vcc_lo
	v_add_co_u32 v123, vcc_lo, v5, v3
	s_delay_alu instid0(VALU_DEP_4)
	v_add_co_ci_u32_e32 v124, vcc_lo, v6, v4, vcc_lo
	s_clause 0x19
	global_load_b128 v[89:92], v[121:122], off
	global_load_b128 v[93:96], v[121:122], off offset:256
	global_load_b128 v[97:100], v[123:124], off
	global_load_b128 v[101:104], v[123:124], off offset:256
	global_load_b128 v[81:84], v[121:122], off offset:512
	;; [unrolled: 1-line block ×23, first 2 shown]
	s_ashr_i32 s5, s4, 4
	s_cmp_lt_i32 s4, s28
	v_cmp_gt_u32_e32 vcc_lo, 11, v140
	s_cselect_b32 s4, s5, s16
	s_delay_alu instid0(SALU_CYCLE_1) | instskip(NEXT) | instid1(SALU_CYCLE_1)
	s_ashr_i32 s5, s4, 31
	s_lshl_b64 s[4:5], s[4:5], 2
	v_cndmask_b32_e32 v105, v105, v140, vcc_lo
	s_add_u32 s18, s35, s4
	s_addc_u32 s19, s36, s5
	s_or_b32 s4, s29, 0x70
	s_delay_alu instid0(SALU_CYCLE_1)
	s_ashr_i32 s5, s4, 4
	s_cmp_lt_i32 s4, s28
	v_lshlrev_b32_e32 v215, 6, v105
	s_cselect_b32 s6, s5, s16
	ds_load_b128 v[105:108], v215
	ds_load_b128 v[109:112], v215 offset:1024
	s_ashr_i32 s7, s6, 31
	ds_load_b128 v[113:116], v215 offset:2048
	ds_load_b128 v[117:120], v215 offset:3072
	ds_load_b128 v[143:146], v215 offset:4096
	ds_load_b128 v[147:150], v215 offset:5120
	ds_load_b128 v[151:154], v215 offset:6144
	ds_load_b128 v[155:158], v215 offset:7168
	ds_load_b128 v[159:162], v215 offset:8192
	ds_load_b128 v[163:166], v215 offset:9216
	s_clause 0x1
	global_load_b128 v[167:170], v[123:124], off offset:3072
	global_load_b128 v[171:174], v[123:124], off offset:3328
	s_lshl_b64 s[6:7], s[6:7], 2
	s_mov_b32 s4, 0
	s_add_u32 s20, s35, s6
	s_addc_u32 s21, s36, s7
	s_clause 0x1
	s_load_b32 s41, s[18:19], 0x0
	s_load_b32 s46, s[20:21], 0x0
	s_clause 0x3
	global_load_b128 v[175:178], v[121:122], off offset:3584
	global_load_b128 v[179:182], v[121:122], off offset:3840
	;; [unrolled: 1-line block ×4, first 2 shown]
	s_or_b32 s7, s29, 0x80
	s_mov_b32 s5, s4
	s_ashr_i32 s8, s7, 4
	s_cmp_lt_i32 s7, s28
	s_mov_b32 s6, s4
	s_cselect_b32 s10, s8, s16
	s_mov_b32 s7, s4
	s_ashr_i32 s11, s10, 31
	s_mov_b32 s8, s4
	s_lshl_b64 s[24:25], s[10:11], 2
	s_mov_b32 s9, s4
	s_add_u32 s24, s35, s24
	s_addc_u32 s25, s36, s25
	s_or_b32 s11, s29, 0x90
	s_mov_b32 s10, s4
	s_ashr_i32 s38, s11, 4
	s_cmp_lt_i32 s11, s28
	s_mov_b32 s11, s4
	s_cselect_b32 s38, s38, s16
	v_mov_b32_e32 v136, s11
	s_ashr_i32 s39, s38, 31
	v_dual_mov_b32 v135, s10 :: v_dual_mov_b32 v134, s9
	v_dual_mov_b32 v133, s8 :: v_dual_mov_b32 v132, s7
	;; [unrolled: 1-line block ×3, first 2 shown]
	v_mov_b32_e32 v129, s4
	s_lshl_b64 s[4:5], s[38:39], 2
	s_waitcnt lgkmcnt(0)
	s_mul_hi_i32 s7, s27, s17
	s_add_u32 s38, s35, s4
	s_addc_u32 s39, s36, s5
	s_or_b32 s4, s29, 0xa0
	s_load_b32 s40, s[38:39], 0x0
	s_ashr_i32 s5, s4, 4
	s_cmp_lt_i32 s4, s28
	s_cselect_b32 s4, s5, s16
	s_delay_alu instid0(SALU_CYCLE_1) | instskip(NEXT) | instid1(SALU_CYCLE_1)
	s_ashr_i32 s5, s4, 31
	s_lshl_b64 s[4:5], s[4:5], 2
	s_delay_alu instid0(SALU_CYCLE_1)
	s_add_u32 s42, s35, s4
	s_addc_u32 s43, s36, s5
	s_or_b32 s4, s29, 0xb0
	s_load_b32 s39, s[42:43], 0x0
	s_ashr_i32 s6, s4, 4
	s_cmp_lt_i32 s4, s28
	s_mul_hi_i32 s5, s37, s17
	s_cselect_b32 s8, s6, s16
	s_mul_i32 s6, s27, s17
	s_ashr_i32 s9, s8, 31
	s_mul_i32 s4, s37, s17
	s_lshl_b64 s[10:11], s[8:9], 2
	s_mul_hi_i32 s9, s26, s17
	s_add_u32 s44, s35, s10
	s_addc_u32 s45, s36, s11
	s_or_b32 s10, s29, 0xc0
	s_mul_i32 s8, s26, s17
	s_ashr_i32 s26, s10, 4
	s_cmp_lt_i32 s10, s28
	s_mul_hi_i32 s11, s13, s17
	s_cselect_b32 s26, s26, s16
	s_mul_i32 s10, s13, s17
	s_ashr_i32 s27, s26, 31
	s_mul_hi_i32 s13, s12, s17
	s_lshl_b64 s[26:27], s[26:27], 2
	s_mul_i32 s12, s12, s17
	s_add_u32 s20, s35, s26
	s_addc_u32 s21, s36, s27
	s_or_b32 s18, s29, 0xd0
	s_load_b32 s26, s[24:25], 0x0
	s_ashr_i32 s19, s18, 4
	s_cmp_lt_i32 s18, s28
	s_mul_i32 s18, s15, s17
	s_cselect_b32 s24, s19, s16
	s_mul_hi_i32 s19, s15, s17
	s_ashr_i32 s25, s24, 31
	s_delay_alu instid0(SALU_CYCLE_1) | instskip(NEXT) | instid1(SALU_CYCLE_1)
	s_lshl_b64 s[24:25], s[24:25], 2
	s_add_u32 s24, s35, s24
	s_addc_u32 s25, s36, s25
	s_or_b32 s42, s29, 0xe0
	s_clause 0x2
	s_load_b32 s38, s[44:45], 0x0
	s_load_b32 s37, s[20:21], 0x0
	;; [unrolled: 1-line block ×3, first 2 shown]
	s_ashr_i32 s43, s42, 4
	s_cmp_lt_i32 s42, s28
	s_mul_hi_i32 s25, s46, s17
	s_cselect_b32 s42, s43, s16
	s_mul_i32 s24, s46, s17
	s_ashr_i32 s43, s42, 31
	s_mul_hi_i32 s21, s41, s17
	s_lshl_b64 s[42:43], s[42:43], 2
	s_mul_i32 s20, s41, s17
	s_add_u32 s42, s35, s42
	s_addc_u32 s43, s36, s43
	s_or_b32 s46, s29, 0xf0
	s_waitcnt lgkmcnt(0)
	s_mul_hi_i32 s27, s26, s17
	s_ashr_i32 s47, s46, 4
	s_cmp_lt_i32 s46, s28
	s_mul_i32 s26, s26, s17
	s_cselect_b32 s46, s47, s16
	s_mul_hi_i32 s41, s40, s17
	s_ashr_i32 s47, s46, 31
	s_mul_hi_i32 s51, s15, s17
	s_lshl_b64 s[46:47], s[46:47], 2
	s_mul_i32 s50, s15, s17
	s_add_u32 s46, s35, s46
	s_addc_u32 s47, s36, s47
	s_add_u32 s15, s22, s2
	s_addc_u32 s16, s23, s3
	v_add_co_u32 v216, s15, s15, v125
	s_delay_alu instid0(VALU_DEP_1) | instskip(SKIP_2) | instid1(VALU_DEP_2)
	v_add_co_ci_u32_e64 v217, null, s16, 0, s15
	s_lshl_b64 s[2:3], s[4:5], 1
	s_lshl_b64 s[4:5], s[6:7], 1
	v_add_co_u32 v125, vcc_lo, v216, s2
	s_delay_alu instid0(VALU_DEP_2)
	v_add_co_ci_u32_e32 v126, vcc_lo, s3, v217, vcc_lo
	v_add_co_u32 v199, vcc_lo, v216, s4
	s_lshl_b64 s[6:7], s[8:9], 1
	v_add_co_ci_u32_e32 v200, vcc_lo, s5, v217, vcc_lo
	s_lshl_b64 s[8:9], s[10:11], 1
	s_lshl_b64 s[10:11], s[12:13], 1
	s_lshl_b64 s[12:13], s[18:19], 1
	s_lshl_b64 s[18:19], s[20:21], 1
	s_lshl_b64 s[20:21], s[24:25], 1
	s_lshl_b64 s[22:23], s[26:27], 1
	s_mul_i32 s40, s40, s17
	s_mul_hi_i32 s45, s39, s17
	s_lshl_b64 s[24:25], s[40:41], 1
	s_mul_i32 s44, s39, s17
	s_mul_hi_i32 s39, s38, s17
	s_lshl_b64 s[26:27], s[44:45], 1
	s_mul_i32 s38, s38, s17
	s_mul_hi_i32 s49, s37, s17
	s_mul_i32 s48, s37, s17
	s_lshl_b64 s[36:37], s[38:39], 1
	s_lshl_b64 s[38:39], s[48:49], 1
	s_clause 0x1
	s_load_b32 s15, s[42:43], 0x0
	s_load_b32 s16, s[46:47], 0x0
	s_lshl_b64 s[40:41], s[50:51], 1
	s_waitcnt lgkmcnt(0)
	s_mul_hi_i32 s3, s15, s17
	s_mul_i32 s2, s15, s17
	s_mul_hi_i32 s5, s16, s17
	s_lshl_b64 s[2:3], s[2:3], 1
	s_mul_i32 s4, s16, s17
	s_waitcnt vmcnt(30)
	v_wmma_f32_16x16x16_f16 v[191:198], v[89:96], v[105:112], v[129:136]
	v_add_co_u32 v89, vcc_lo, v216, s6
	v_add_co_ci_u32_e32 v90, vcc_lo, s7, v217, vcc_lo
	v_add_co_u32 v91, vcc_lo, v216, s8
	v_add_co_ci_u32_e32 v92, vcc_lo, s9, v217, vcc_lo
	;; [unrolled: 2-line block ×5, first 2 shown]
	v_add_co_u32 v205, vcc_lo, v216, s20
	s_waitcnt vmcnt(28)
	v_wmma_f32_16x16x16_f16 v[129:136], v[97:104], v[105:112], v[129:136]
	v_add_co_ci_u32_e32 v206, vcc_lo, s21, v217, vcc_lo
	v_add_co_u32 v207, vcc_lo, v216, s22
	v_add_co_ci_u32_e32 v208, vcc_lo, s23, v217, vcc_lo
	v_add_co_u32 v209, vcc_lo, v216, s24
	s_waitcnt vmcnt(26)
	v_wmma_f32_16x16x16_f16 v[191:198], v[81:88], v[113:120], v[191:198]
	s_waitcnt vmcnt(24)
	v_wmma_f32_16x16x16_f16 v[129:136], v[73:80], v[113:120], v[129:136]
	v_add_co_ci_u32_e32 v210, vcc_lo, s25, v217, vcc_lo
	v_add_co_u32 v211, vcc_lo, v216, s26
	v_add_co_ci_u32_e32 v212, vcc_lo, s27, v217, vcc_lo
	v_add_co_u32 v213, vcc_lo, v216, s36
	s_waitcnt vmcnt(22)
	v_wmma_f32_16x16x16_f16 v[191:198], v[65:72], v[143:150], v[191:198]
	s_waitcnt vmcnt(20)
	v_wmma_f32_16x16x16_f16 v[129:136], v[57:64], v[143:150], v[129:136]
	v_add_co_ci_u32_e32 v214, vcc_lo, s37, v217, vcc_lo
	v_add_co_u32 v143, vcc_lo, v216, s38
	s_waitcnt vmcnt(18)
	v_wmma_f32_16x16x16_f16 v[191:198], v[49:56], v[151:158], v[191:198]
	s_waitcnt vmcnt(16)
	v_wmma_f32_16x16x16_f16 v[129:136], v[25:32], v[151:158], v[129:136]
	v_add_co_ci_u32_e32 v144, vcc_lo, s39, v217, vcc_lo
	s_clause 0x15
	global_load_b128 v[121:124], v[125:126], off
	global_load_b128 v[125:128], v[125:126], off offset:16
	global_load_b128 v[113:116], v[199:200], off
	global_load_b128 v[117:120], v[199:200], off offset:16
	global_load_b128 v[105:108], v[89:90], off
	global_load_b128 v[109:112], v[89:90], off offset:16
	global_load_b128 v[97:100], v[91:92], off
	global_load_b128 v[101:104], v[91:92], off offset:16
	global_load_b128 v[89:92], v[93:94], off
	global_load_b128 v[93:96], v[93:94], off offset:16
	global_load_b128 v[81:84], v[201:202], off
	global_load_b128 v[85:88], v[201:202], off offset:16
	global_load_b128 v[73:76], v[203:204], off
	global_load_b128 v[77:80], v[203:204], off offset:16
	global_load_b128 v[65:68], v[205:206], off
	global_load_b128 v[69:72], v[205:206], off offset:16
	global_load_b128 v[57:60], v[207:208], off
	global_load_b128 v[61:64], v[207:208], off offset:16
	global_load_b128 v[49:52], v[209:210], off
	global_load_b128 v[53:56], v[209:210], off offset:16
	global_load_b128 v[25:28], v[211:212], off
	global_load_b128 v[29:32], v[211:212], off offset:16
	s_waitcnt vmcnt(36)
	v_wmma_f32_16x16x16_f16 v[191:198], v[1:8], v[159:166], v[191:198]
	s_clause 0x1
	global_load_b128 v[1:4], v[213:214], off
	global_load_b128 v[5:8], v[213:214], off offset:16
	s_waitcnt vmcnt(36)
	v_wmma_f32_16x16x16_f16 v[129:136], v[9:16], v[159:166], v[129:136]
	s_clause 0x1
	global_load_b128 v[9:12], v[143:144], off
	global_load_b128 v[13:16], v[143:144], off offset:16
	ds_load_b128 v[143:146], v215 offset:10240
	ds_load_b128 v[147:150], v215 offset:11264
	;; [unrolled: 1-line block ×4, first 2 shown]
	v_add_co_u32 v199, vcc_lo, v216, s40
	v_add_co_ci_u32_e32 v200, vcc_lo, s41, v217, vcc_lo
	v_add_co_u32 v159, vcc_lo, v216, s2
	v_add_co_ci_u32_e32 v160, vcc_lo, s3, v217, vcc_lo
	s_lshl_b64 s[2:3], s[4:5], 1
	s_delay_alu instid0(SALU_CYCLE_1)
	v_add_co_u32 v161, vcc_lo, v216, s2
	v_add_co_ci_u32_e32 v162, vcc_lo, s3, v217, vcc_lo
	s_waitcnt vmcnt(36) lgkmcnt(2)
	v_wmma_f32_16x16x16_f16 v[191:198], v[33:40], v[143:150], v[191:198]
	s_waitcnt vmcnt(34)
	v_wmma_f32_16x16x16_f16 v[129:136], v[41:48], v[143:150], v[129:136]
	s_clause 0x3
	global_load_b128 v[33:36], v[199:200], off
	global_load_b128 v[37:40], v[199:200], off offset:16
	global_load_b128 v[41:44], v[159:160], off
	global_load_b128 v[45:48], v[159:160], off offset:16
	v_and_b32_e32 v143, 0xe0, v0
	v_mbcnt_lo_u32_b32 v159, -1, 0
	s_waitcnt vmcnt(36) lgkmcnt(0)
	v_wmma_f32_16x16x16_f16 v[191:198], v[17:24], v[151:158], v[191:198]
	s_clause 0x1
	global_load_b128 v[17:20], v[161:162], off
	global_load_b128 v[21:24], v[161:162], off offset:16
	s_waitcnt vmcnt(36)
	v_wmma_f32_16x16x16_f16 v[129:136], v[167:174], v[151:158], v[129:136]
	v_add_nc_u32_e32 v160, s29, v143
	ds_load_b128 v[143:146], v215 offset:14336
	ds_load_b128 v[147:150], v215 offset:15360
	v_xor_b32_e32 v151, 16, v159
	s_waitcnt vmcnt(0) lgkmcnt(0)
	s_barrier
	v_or_b32_e32 v152, v160, v138
	buffer_gl0_inv
	v_cmp_gt_i32_e32 vcc_lo, 32, v151
	v_or_b32_e32 v153, 2, v152
	v_or_b32_e32 v154, 4, v152
	v_or_b32_e32 v155, 6, v152
	v_or_b32_e32 v156, 8, v152
	v_or_b32_e32 v157, 10, v152
	v_cmp_gt_i32_e64 s2, s28, v153
	v_cmp_gt_i32_e64 s3, s28, v154
	;; [unrolled: 1-line block ×3, first 2 shown]
	v_or_b32_e32 v158, 12, v152
	v_cmp_gt_i32_e64 s5, s28, v156
	v_cmp_gt_i32_e64 s6, s28, v157
	v_wmma_f32_16x16x16_f16 v[191:198], v[175:182], v[143:150], v[191:198]
	v_wmma_f32_16x16x16_f16 v[129:136], v[183:190], v[143:150], v[129:136]
	v_cndmask_b32_e32 v151, v159, v151, vcc_lo
	v_cmp_gt_i32_e32 vcc_lo, s28, v152
	v_or_b32_e32 v159, 14, v152
	v_dual_mul_f32 v149, s30, v192 :: v_dual_mul_f32 v150, s30, v191
	v_dual_mul_f32 v147, s30, v194 :: v_dual_mul_f32 v148, s30, v193
	v_mul_f32_e32 v145, s30, v196
	s_delay_alu instid0(VALU_DEP_3) | instskip(NEXT) | instid1(VALU_DEP_4)
	v_cndmask_b32_e64 v149, 0xff7fffff, v149, s2
	v_cndmask_b32_e32 v150, 0xff7fffff, v150, vcc_lo
	v_mul_f32_e32 v146, s30, v195
	v_cndmask_b32_e64 v148, 0xff7fffff, v148, s3
	v_cndmask_b32_e64 v147, 0xff7fffff, v147, s4
	v_or_b32_e32 v160, 16, v152
	v_max3_f32 v149, v150, 0xff7fffff, v149
	v_or_b32_e32 v161, 18, v152
	v_dual_mul_f32 v143, s30, v198 :: v_dual_mul_f32 v144, s30, v197
	v_cndmask_b32_e64 v146, 0xff7fffff, v146, s5
	v_cndmask_b32_e64 v145, 0xff7fffff, v145, s6
	v_max3_f32 v147, v149, v148, v147
	v_cmp_gt_i32_e64 s7, s28, v158
	v_cmp_gt_i32_e64 s8, s28, v159
	v_or_b32_e32 v162, 20, v152
	v_or_b32_e32 v163, 22, v152
	v_dual_mul_f32 v174, s30, v130 :: v_dual_mul_f32 v175, s30, v129
	v_cndmask_b32_e64 v144, 0xff7fffff, v144, s7
	v_cndmask_b32_e64 v143, 0xff7fffff, v143, s8
	v_max3_f32 v145, v147, v146, v145
	v_cmp_gt_i32_e64 s9, s28, v160
	v_cmp_gt_i32_e64 s10, s28, v161
	v_or_b32_e32 v164, 24, v152
	;; [unrolled: 8-line block ×3, first 2 shown]
	v_or_b32_e32 v167, 30, v152
	v_dual_mul_f32 v170, s30, v134 :: v_dual_mul_f32 v171, s30, v133
	v_cndmask_b32_e64 v144, 0xff7fffff, v173, s11
	v_cndmask_b32_e64 v145, 0xff7fffff, v172, s12
	v_max3_f32 v143, v143, v146, v147
	v_cmp_gt_i32_e64 s13, s28, v164
	v_cmp_gt_i32_e64 s15, s28, v165
	v_dual_mul_f32 v168, s30, v136 :: v_dual_mul_f32 v169, s30, v135
	s_delay_alu instid0(VALU_DEP_4) | instskip(NEXT) | instid1(VALU_DEP_4)
	v_max3_f32 v143, v143, v144, v145
	v_cndmask_b32_e64 v146, 0xff7fffff, v171, s13
	s_delay_alu instid0(VALU_DEP_4) | instskip(SKIP_3) | instid1(VALU_DEP_4)
	v_cndmask_b32_e64 v147, 0xff7fffff, v170, s15
	v_cmp_gt_i32_e64 s16, s28, v166
	v_cmp_gt_i32_e64 s17, s28, v167
	v_lshlrev_b32_e32 v160, 2, v151
	v_max3_f32 v143, v143, v146, v147
	s_delay_alu instid0(VALU_DEP_4) | instskip(NEXT) | instid1(VALU_DEP_4)
	v_cndmask_b32_e64 v144, 0xff7fffff, v169, s16
	v_cndmask_b32_e64 v145, 0xff7fffff, v168, s17
	s_delay_alu instid0(VALU_DEP_1) | instskip(SKIP_3) | instid1(VALU_DEP_1)
	v_max3_f32 v143, v143, v144, v145
	ds_bpermute_b32 v144, v160, v143
	s_waitcnt lgkmcnt(0)
	v_max_f32_e32 v144, v144, v144
	v_max_f32_e32 v159, v143, v144
	s_delay_alu instid0(VALU_DEP_1) | instskip(SKIP_4) | instid1(VALU_DEP_4)
	v_fma_f32 v143, s30, v191, -v159
	v_fma_f32 v144, s30, v192, -v159
	;; [unrolled: 1-line block ×5, first 2 shown]
	v_dual_mul_f32 v143, 0x3fb8aa3b, v143 :: v_dual_mul_f32 v144, 0x3fb8aa3b, v144
	s_delay_alu instid0(VALU_DEP_4) | instskip(SKIP_2) | instid1(VALU_DEP_4)
	v_mul_f32_e32 v132, 0x3fb8aa3b, v132
	v_fma_f32 v134, s30, v134, -v159
	v_mul_f32_e32 v145, 0x3fb8aa3b, v145
	v_exp_f32_e32 v143, v143
	v_exp_f32_e32 v147, v144
	v_fma_f32 v148, s30, v195, -v159
	v_mul_f32_e32 v134, 0x3fb8aa3b, v134
	v_mul_f32_e32 v146, 0x3fb8aa3b, v146
	v_exp_f32_e32 v145, v145
	v_fma_f32 v149, s30, v196, -v159
	v_mul_f32_e32 v148, 0x3fb8aa3b, v148
	v_fma_f32 v151, s30, v197, -v159
	v_exp_f32_e32 v150, v146
	v_cndmask_b32_e32 v144, 0, v143, vcc_lo
	v_cndmask_b32_e64 v143, 0, v147, s2
	v_mul_f32_e32 v149, 0x3fb8aa3b, v149
	v_exp_f32_e32 v148, v148
	v_fma_f32 v152, s30, v198, -v159
	v_add_f32_e32 v147, 0, v144
	v_cndmask_b32_e64 v146, 0, v145, s3
	v_mul_f32_e32 v151, 0x3fb8aa3b, v151
	v_exp_f32_e32 v149, v149
	v_cndmask_b32_e64 v145, 0, v150, s4
	v_add_f32_e32 v147, v147, v143
	v_fma_f32 v129, s30, v129, -v159
	v_mul_f32_e32 v150, 0x3fb8aa3b, v152
	v_exp_f32_e32 v151, v151
	v_cndmask_b32_e64 v148, 0, v148, s5
	v_add_f32_e32 v147, v147, v146
	v_fma_f32 v130, s30, v130, -v159
	v_mul_f32_e32 v129, 0x3fb8aa3b, v129
	v_exp_f32_e32 v153, v150
	v_fma_f32 v131, s30, v131, -v159
	v_add_f32_e32 v152, v147, v145
	v_cndmask_b32_e64 v147, 0, v149, s6
	v_mul_f32_e32 v130, 0x3fb8aa3b, v130
	v_exp_f32_e32 v129, v129
	v_cndmask_b32_e64 v150, 0, v151, s7
	v_add_f32_e32 v149, v152, v148
	v_mul_f32_e32 v131, 0x3fb8aa3b, v131
	v_exp_f32_e32 v130, v130
	v_fma_f32 v133, s30, v133, -v159
	v_exp_f32_e32 v132, v132
	v_add_f32_e32 v151, v149, v147
	v_cndmask_b32_e64 v149, 0, v153, s8
	v_exp_f32_e32 v131, v131
	v_cndmask_b32_e64 v152, 0, v129, s9
	v_mul_f32_e32 v133, 0x3fb8aa3b, v133
	v_add_f32_e32 v151, v151, v150
	v_cmp_gt_u32_e64 s2, 16, v142
	s_delay_alu instid0(VALU_DEP_3) | instskip(NEXT) | instid1(VALU_DEP_2)
	v_exp_f32_e32 v133, v133
	v_add_f32_e32 v129, v151, v149
	v_cndmask_b32_e64 v151, 0, v130, s10
	v_fma_f32 v130, s30, v135, -v159
	s_delay_alu instid0(TRANS32_DEP_2)
	v_cndmask_b32_e64 v154, 0, v131, s11
	v_exp_f32_e32 v131, v134
	v_add_f32_e32 v129, v129, v152
	v_cndmask_b32_e64 v153, 0, v132, s12
	v_mul_f32_e32 v130, 0x3fb8aa3b, v130
	v_fma_f32 v132, s30, v136, -v159
	v_cndmask_b32_e64 v156, 0, v133, s13
	v_add_f32_e32 v129, v129, v151
	s_delay_alu instid0(VALU_DEP_4) | instskip(NEXT) | instid1(VALU_DEP_3)
	v_exp_f32_e32 v130, v130
	v_mul_f32_e32 v132, 0x3fb8aa3b, v132
	s_delay_alu instid0(TRANS32_DEP_2) | instskip(NEXT) | instid1(VALU_DEP_3)
	v_cndmask_b32_e64 v155, 0, v131, s15
	v_add_f32_e32 v129, v129, v154
	s_delay_alu instid0(VALU_DEP_3) | instskip(NEXT) | instid1(VALU_DEP_1)
	v_exp_f32_e32 v131, v132
	v_add_f32_e32 v129, v129, v153
	s_waitcnt_depctr 0xfff
	v_cndmask_b32_e64 v158, 0, v130, s16
	v_add_f32_e32 v129, v129, v156
	v_cndmask_b32_e64 v157, 0, v131, s17
	s_delay_alu instid0(VALU_DEP_2) | instskip(NEXT) | instid1(VALU_DEP_1)
	v_add_f32_e32 v129, v129, v155
	v_add_f32_e32 v129, v129, v158
	s_delay_alu instid0(VALU_DEP_1)
	v_add_f32_e32 v129, v129, v157
	ds_bpermute_b32 v130, v160, v129
	s_and_saveexec_b32 s3, s2
	s_cbranch_execz .LBB296_12
; %bb.11:
	v_mul_u32_u24_e32 v131, 0x44, v141
	s_delay_alu instid0(VALU_DEP_1) | instskip(SKIP_1) | instid1(VALU_DEP_1)
	v_lshl_add_u32 v131, v140, 2, v131
	s_waitcnt lgkmcnt(0)
	v_dual_add_f32 v129, v129, v130 :: v_dual_add_nc_u32 v130, 0x4000, v131
	ds_store_2addr_b32 v130, v159, v129 offset1:136
.LBB296_12:
	s_or_b32 exec_lo, exec_lo, s3
	v_lshlrev_b32_e32 v129, 2, v140
	s_load_b32 s35, s[0:1], 0x94
	s_waitcnt lgkmcnt(0)
	s_barrier
	buffer_gl0_inv
	v_add_nc_u32_e32 v135, 0x4000, v129
	v_cmp_eq_u32_e32 vcc_lo, 1, v141
	v_cmp_eq_u32_e64 s3, 2, v141
	v_cmp_eq_u32_e64 s4, 3, v141
	;; [unrolled: 1-line block ×3, first 2 shown]
	ds_load_2addr_b32 v[129:130], v135 offset1:17
	ds_load_2addr_b32 v[131:132], v135 offset0:34 offset1:51
	ds_load_2addr_b32 v[133:134], v135 offset0:68 offset1:85
	;; [unrolled: 1-line block ×3, first 2 shown]
	v_cmp_eq_u32_e64 s6, 5, v141
	v_cmp_eq_u32_e64 s7, 7, v141
	s_waitcnt lgkmcnt(3)
	v_max3_f32 v136, v129, 0xff7fffff, v130
	s_waitcnt lgkmcnt(2)
	s_delay_alu instid0(VALU_DEP_1) | instskip(SKIP_1) | instid1(VALU_DEP_1)
	v_max3_f32 v136, v136, v131, v132
	s_waitcnt lgkmcnt(1)
	v_max3_f32 v136, v136, v133, v134
	s_waitcnt lgkmcnt(0)
	s_delay_alu instid0(VALU_DEP_1) | instskip(NEXT) | instid1(VALU_DEP_1)
	v_max3_f32 v136, v136, v159, v160
	v_sub_f32_e32 v142, v130, v136
	ds_load_2addr_b32 v[161:162], v135 offset0:136 offset1:153
	v_sub_f32_e32 v164, v132, v136
	v_mul_f32_e32 v142, 0x3fb8aa3b, v142
	s_delay_alu instid0(VALU_DEP_2) | instskip(NEXT) | instid1(VALU_DEP_2)
	v_mul_f32_e32 v164, 0x3fb8aa3b, v164
	v_exp_f32_e32 v166, v142
	v_sub_f32_e32 v129, v129, v136
	s_delay_alu instid0(VALU_DEP_2) | instskip(NEXT) | instid1(VALU_DEP_1)
	v_exp_f32_e32 v164, v164
	v_mul_f32_e32 v163, 0x3fb8aa3b, v129
	ds_load_2addr_b32 v[129:130], v135 offset0:170 offset1:187
	v_exp_f32_e32 v163, v163
	s_waitcnt lgkmcnt(1)
	s_waitcnt_depctr 0xfff
	v_fma_f32 v142, v163, v161, 0
	v_sub_f32_e32 v161, v134, v136
	s_delay_alu instid0(VALU_DEP_2) | instskip(NEXT) | instid1(VALU_DEP_1)
	v_dual_fmac_f32 v142, v166, v162 :: v_dual_sub_f32 v131, v131, v136
	v_mul_f32_e32 v165, 0x3fb8aa3b, v131
	ds_load_2addr_b32 v[131:132], v135 offset0:204 offset1:221
	v_exp_f32_e32 v165, v165
	s_waitcnt lgkmcnt(1)
	s_waitcnt_depctr 0xfff
	v_fmac_f32_e32 v142, v165, v129
	v_sub_f32_e32 v133, v133, v136
	v_sub_f32_e32 v129, v160, v136
	s_delay_alu instid0(VALU_DEP_2) | instskip(NEXT) | instid1(VALU_DEP_2)
	v_dual_fmac_f32 v142, v164, v130 :: v_dual_mul_f32 v167, 0x3fb8aa3b, v133
	v_mul_f32_e32 v129, 0x3fb8aa3b, v129
	ds_load_2addr_b32 v[133:134], v135 offset0:238 offset1:255
	v_cndmask_b32_e32 v130, v163, v166, vcc_lo
	s_waitcnt lgkmcnt(0)
	s_barrier
	v_exp_f32_e32 v162, v129
	v_sub_f32_e32 v135, v159, v136
	v_mul_f32_e32 v159, 0x3fb8aa3b, v161
	v_exp_f32_e32 v161, v167
	buffer_gl0_inv
	v_exp_f32_e32 v159, v159
	v_fmac_f32_e32 v142, v161, v131
	s_waitcnt_depctr 0xfff
	v_dual_mul_f32 v135, 0x3fb8aa3b, v135 :: v_dual_fmac_f32 v142, v159, v132
	s_delay_alu instid0(VALU_DEP_1) | instskip(SKIP_2) | instid1(VALU_DEP_1)
	v_exp_f32_e32 v160, v135
	s_waitcnt_depctr 0xfff
	v_dual_fmac_f32 v142, v160, v133 :: v_dual_lshlrev_b32 v133, 6, v140
	v_fmac_f32_e32 v142, v162, v134
	s_delay_alu instid0(VALU_DEP_2) | instskip(NEXT) | instid1(VALU_DEP_2)
	v_lshl_or_b32 v135, v141, 11, v133
	v_add_f32_e32 v134, 0x358637bd, v142
	s_delay_alu instid0(VALU_DEP_1) | instskip(SKIP_1) | instid1(VALU_DEP_2)
	v_div_scale_f32 v167, null, v134, v134, 1.0
	v_div_scale_f32 v163, vcc_lo, 1.0, v134, 1.0
	v_rcp_f32_e32 v168, v167
	s_waitcnt_depctr 0xfff
	v_fma_f32 v129, -v167, v168, 1.0
	s_delay_alu instid0(VALU_DEP_1) | instskip(SKIP_2) | instid1(VALU_DEP_2)
	v_fmac_f32_e32 v168, v129, v168
	v_cndmask_b32_e64 v129, v130, v165, s3
	v_cmp_eq_u32_e64 s3, 6, v141
	v_cndmask_b32_e64 v130, v129, v164, s4
	v_lshlrev_b32_e32 v129, 2, v138
	v_mul_f32_e32 v165, v163, v168
	s_delay_alu instid0(VALU_DEP_3) | instskip(NEXT) | instid1(VALU_DEP_3)
	v_cndmask_b32_e64 v161, v130, v161, s5
	v_or_b32_e32 v130, 1, v129
	s_delay_alu instid0(VALU_DEP_3)
	v_fma_f32 v131, -v167, v165, v163
	v_or_b32_e32 v132, 2, v129
	v_cmp_eq_u32_e64 s4, 1, v129
	v_cndmask_b32_e64 v141, v161, v159, s6
	v_cmp_eq_u32_e64 s9, 1, v130
	v_fmac_f32_e32 v165, v131, v168
	v_or_b32_e32 v131, 3, v129
	v_cmp_eq_u32_e64 s10, 1, v132
	v_cndmask_b32_e64 v141, v141, v160, s3
	v_cmp_eq_u32_e64 s5, 2, v129
	v_fma_f32 v159, -v167, v165, v163
	v_cmp_eq_u32_e64 s11, 1, v131
	v_cmp_eq_u32_e64 s16, 2, v131
	v_cndmask_b32_e64 v141, v141, v162, s7
	v_cmp_eq_u32_e64 s12, 2, v130
	v_div_fmas_f32 v159, v159, v168, v165
	v_cmp_eq_u32_e64 s18, 3, v131
	v_cmp_eq_u32_e32 vcc_lo, 3, v129
	v_cmp_eq_u32_e64 s13, 3, v130
	v_cmp_eq_u32_e64 s15, 2, v132
	v_div_fixup_f32 v159, v159, v134, 1.0
	v_lshl_or_b32 v134, v138, 4, v135
	v_cmp_eq_u32_e64 s22, 4, v131
	v_cmp_eq_u32_e64 s3, 4, v129
	v_cmp_eq_u32_e64 s17, 3, v132
	v_mul_f32_e32 v141, v141, v159
	v_cmp_eq_u32_e64 s19, 4, v130
	v_cmp_eq_u32_e64 s24, 5, v131
	;; [unrolled: 1-line block ×4, first 2 shown]
	v_fma_mixlo_f16 v159, v141, v144, 0
	v_fma_mixlo_f16 v160, v141, v146, 0
	;; [unrolled: 1-line block ×8, first 2 shown]
	v_fma_mixhi_f16 v159, v141, v143, 0
	v_fma_mixhi_f16 v160, v141, v145, 0
	;; [unrolled: 1-line block ×8, first 2 shown]
	ds_store_b128 v134, v[159:162]
	ds_store_b128 v134, v[163:166] offset:1024
	s_waitcnt lgkmcnt(0)
	s_barrier
	buffer_gl0_inv
	ds_load_b128 v[143:146], v135
	ds_load_b128 v[147:150], v135 offset:16
	ds_load_b128 v[151:154], v135 offset:1024
	;; [unrolled: 1-line block ×3, first 2 shown]
	v_cmp_eq_u32_e64 s21, 4, v132
	v_cmp_eq_u32_e64 s27, 6, v131
	;; [unrolled: 1-line block ×10, first 2 shown]
	s_waitcnt lgkmcnt(3)
	v_lshrrev_b32_e32 v141, 16, v143
	s_waitcnt lgkmcnt(2)
	v_lshrrev_b32_e32 v162, 16, v147
	v_lshrrev_b32_e32 v159, 16, v144
	;; [unrolled: 1-line block ×3, first 2 shown]
	s_waitcnt lgkmcnt(1)
	v_lshrrev_b32_e32 v166, 16, v151
	v_cndmask_b32_e64 v174, v143, v141, s4
	v_cndmask_b32_e64 v176, v143, v141, s9
	;; [unrolled: 1-line block ×5, first 2 shown]
	s_waitcnt lgkmcnt(0)
	v_lshrrev_b32_e32 v170, 16, v155
	v_cndmask_b32_e64 v175, v147, v162, s4
	v_cndmask_b32_e64 v177, v147, v162, s9
	;; [unrolled: 1-line block ×19, first 2 shown]
	v_lshrrev_b32_e32 v160, 16, v145
	v_lshrrev_b32_e32 v164, 16, v149
	;; [unrolled: 1-line block ×4, first 2 shown]
	v_cndmask_b32_e64 v176, v178, v144, s15
	v_cndmask_b32_e64 v177, v179, v148, s15
	v_cndmask_b32_e64 v144, v147, v152, s5
	v_cndmask_b32_e64 v147, v162, v156, s5
	v_cndmask_b32_e64 v148, v180, v152, s12
	v_cndmask_b32_e64 v162, v182, v152, s15
	v_cndmask_b32_e64 v151, v151, v152, s16
	v_cndmask_b32_e64 v152, v155, v156, s16
	v_cndmask_b32_e32 v155, v166, v159, vcc_lo
	v_cndmask_b32_e32 v166, v170, v163, vcc_lo
	v_cndmask_b32_e64 v170, v174, v159, s13
	v_cndmask_b32_e64 v174, v175, v163, s13
	;; [unrolled: 1-line block ×6, first 2 shown]
	v_cndmask_b32_e32 v144, v144, v167, vcc_lo
	v_cndmask_b32_e32 v147, v147, v171, vcc_lo
	v_cndmask_b32_e64 v148, v148, v167, s13
	v_cndmask_b32_e64 v155, v155, v145, s3
	;; [unrolled: 1-line block ×7, first 2 shown]
	v_lshrrev_b32_e32 v161, 16, v146
	v_lshrrev_b32_e32 v165, 16, v150
	;; [unrolled: 1-line block ×4, first 2 shown]
	v_cndmask_b32_e64 v170, v175, v145, s21
	v_cndmask_b32_e64 v174, v176, v149, s21
	;; [unrolled: 1-line block ×22, first 2 shown]
	v_lshrrev_b32_e32 v169, 16, v154
	v_cndmask_b32_e64 v160, v163, v146, s26
	v_cndmask_b32_e64 v163, v166, v150, s26
	;; [unrolled: 1-line block ×9, first 2 shown]
	v_perm_b32 v146, v143, v141, 0x5040100
	v_cndmask_b32_e64 v141, v183, v156, s15
	v_cndmask_b32_e64 v143, v181, v156, s12
	v_cndmask_b32_e64 v155, v160, v161, s28
	v_cndmask_b32_e64 v161, v144, v169, s8
	v_perm_b32 v144, v159, v149, 0x5040100
	v_cndmask_b32_e64 v149, v162, v167, s17
	v_cndmask_b32_e64 v151, v151, v167, s18
	;; [unrolled: 1-line block ×15, first 2 shown]
	v_lshrrev_b32_e32 v173, 16, v158
	v_cndmask_b32_e64 v149, v149, v154, s26
	v_cndmask_b32_e64 v151, v151, v154, s27
	;; [unrolled: 1-line block ×13, first 2 shown]
	v_perm_b32 v145, v160, v155, 0x5040100
	v_perm_b32 v143, v148, v147, 0x5040100
	;; [unrolled: 1-line block ×6, first 2 shown]
	s_mul_i32 s7, s33, 11
	s_mov_b32 s3, exec_lo
	ds_store_b128 v134, v[143:146]
	ds_store_b128 v134, v[147:150] offset:1024
	v_cmpx_gt_u32_e32 11, v0
	s_cbranch_execz .LBB296_14
; %bb.13:
	s_mul_i32 s4, s7, s34
	s_load_b128 s[8:11], s[0:1], 0x58
	v_add3_u32 v143, s4, s31, v140
	s_delay_alu instid0(VALU_DEP_1) | instskip(NEXT) | instid1(VALU_DEP_1)
	v_mad_u64_u32 v[140:141], null, v143, s35, s[14:15]
	v_ashrrev_i32_e32 v141, 31, v140
	s_delay_alu instid0(VALU_DEP_1) | instskip(SKIP_1) | instid1(VALU_DEP_1)
	v_lshlrev_b64 v[140:141], 2, v[140:141]
	s_waitcnt lgkmcnt(0)
	v_add_co_u32 v143, vcc_lo, s10, v140
	s_delay_alu instid0(VALU_DEP_2)
	v_add_co_ci_u32_e32 v144, vcc_lo, s11, v141, vcc_lo
	v_add_co_u32 v140, vcc_lo, s8, v140
	v_add_co_ci_u32_e32 v141, vcc_lo, s9, v141, vcc_lo
	global_store_b32 v[143:144], v136, off
	global_store_b32 v[140:141], v142, off
.LBB296_14:
	s_or_b32 exec_lo, exec_lo, s3
	s_waitcnt lgkmcnt(0)
	s_waitcnt_vscnt null, 0x0
	s_barrier
	buffer_gl0_inv
	ds_load_b128 v[148:151], v133
	ds_load_b128 v[152:155], v133 offset:16
	ds_load_b128 v[160:163], v133 offset:1040
	;; [unrolled: 1-line block ×5, first 2 shown]
	v_cmp_eq_u32_e32 vcc_lo, 1, v132
	v_mov_b32_e32 v140, 0
	ds_load_b128 v[176:179], v133 offset:3088
	ds_load_b128 v[172:175], v133 offset:3072
	;; [unrolled: 1-line block ×4, first 2 shown]
	v_cmp_eq_u32_e64 s3, 1, v129
	v_cmp_eq_u32_e64 s4, 1, v131
	;; [unrolled: 1-line block ×3, first 2 shown]
	v_mov_b32_e32 v141, v140
	v_mov_b32_e32 v142, v140
	;; [unrolled: 1-line block ×7, first 2 shown]
	v_cmp_eq_u32_e64 s6, 2, v129
	s_waitcnt lgkmcnt(8)
	s_delay_alu instid0(VALU_DEP_2)
	v_wmma_f32_16x16x16_f16 v[140:147], v[121:128], v[148:155], v[140:147]
	ds_load_b128 v[125:128], v133 offset:5136
	ds_load_b128 v[121:124], v133 offset:5120
	s_waitcnt lgkmcnt(8)
	v_wmma_f32_16x16x16_f16 v[140:147], v[113:120], v[156:163], v[140:147]
	ds_load_b128 v[117:120], v133 offset:6160
	ds_load_b128 v[113:116], v133 offset:6144
	s_waitcnt lgkmcnt(8)
	;; [unrolled: 4-line block ×11, first 2 shown]
	s_barrier
	buffer_gl0_inv
	v_wmma_f32_16x16x16_f16 v[140:147], v[1:8], v[73:80], v[140:147]
	s_delay_alu instid0(VALU_DEP_1) | instskip(NEXT) | instid1(VALU_DEP_1)
	v_wmma_f32_16x16x16_f16 v[140:147], v[9:16], v[65:72], v[140:147]
	v_wmma_f32_16x16x16_f16 v[140:147], v[33:40], v[57:64], v[140:147]
	s_delay_alu instid0(VALU_DEP_1) | instskip(NEXT) | instid1(VALU_DEP_1)
	v_wmma_f32_16x16x16_f16 v[140:147], v[41:48], v[49:56], v[140:147]
	v_wmma_f32_16x16x16_f16 v[140:147], v[17:24], v[25:32], v[140:147]
	s_delay_alu instid0(VALU_DEP_1) | instskip(NEXT) | instid1(VALU_DEP_2)
	v_cvt_f16_f32_e64 v1, v140
	v_cvt_f16_f32_e64 v2, v141
	s_delay_alu instid0(VALU_DEP_3) | instskip(NEXT) | instid1(VALU_DEP_4)
	v_cvt_f16_f32_e64 v3, v142
	v_cvt_f16_f32_e64 v4, v143
	;; [unrolled: 1-line block ×6, first 2 shown]
	v_pack_b32_f16 v1, v1, v2
	v_pack_b32_f16 v2, v3, v4
	;; [unrolled: 1-line block ×3, first 2 shown]
	s_delay_alu instid0(VALU_DEP_4)
	v_pack_b32_f16 v4, v7, v8
	ds_store_b128 v134, v[1:4]
	s_waitcnt lgkmcnt(0)
	s_barrier
	buffer_gl0_inv
	ds_load_b128 v[1:4], v135
	ds_load_b128 v[5:8], v135 offset:16
	s_waitcnt lgkmcnt(1)
	v_lshrrev_b32_e32 v9, 16, v1
	s_waitcnt lgkmcnt(0)
	v_lshrrev_b32_e32 v13, 16, v5
	v_lshrrev_b32_e32 v10, 16, v2
	;; [unrolled: 1-line block ×4, first 2 shown]
	v_cndmask_b32_e64 v17, v1, v9, s3
	v_cndmask_b32_e64 v18, v5, v13, s3
	;; [unrolled: 1-line block ×3, first 2 shown]
	v_cmp_eq_u32_e64 s3, 2, v130
	v_cndmask_b32_e64 v20, v5, v13, s5
	v_cndmask_b32_e32 v21, v1, v9, vcc_lo
	v_cndmask_b32_e32 v22, v5, v13, vcc_lo
	v_cndmask_b32_e64 v1, v1, v9, s4
	v_cndmask_b32_e64 v5, v5, v13, s4
	v_cmp_eq_u32_e32 vcc_lo, 2, v132
	v_cmp_eq_u32_e64 s4, 2, v131
	v_cndmask_b32_e64 v9, v17, v2, s6
	v_cndmask_b32_e64 v13, v18, v6, s6
	;; [unrolled: 1-line block ×4, first 2 shown]
	v_cndmask_b32_e32 v19, v21, v2, vcc_lo
	v_cmp_eq_u32_e64 s3, 3, v132
	v_cndmask_b32_e32 v20, v22, v6, vcc_lo
	v_cndmask_b32_e64 v1, v1, v2, s4
	v_cmp_eq_u32_e32 vcc_lo, 3, v131
	v_cmp_eq_u32_e64 s5, 3, v129
	v_cndmask_b32_e64 v2, v5, v6, s4
	v_cmp_eq_u32_e64 s4, 3, v130
	v_cmp_eq_u32_e64 s6, 4, v129
	v_cndmask_b32_e32 v1, v1, v10, vcc_lo
	v_cndmask_b32_e64 v5, v9, v10, s5
	v_cndmask_b32_e64 v6, v13, v14, s5
	;; [unrolled: 1-line block ×3, first 2 shown]
	v_cmp_eq_u32_e64 s5, 4, v130
	v_cndmask_b32_e64 v13, v18, v14, s4
	v_cndmask_b32_e64 v17, v19, v10, s3
	;; [unrolled: 1-line block ×3, first 2 shown]
	v_cndmask_b32_e32 v2, v2, v14, vcc_lo
	v_cmp_eq_u32_e32 vcc_lo, 4, v132
	v_cmp_eq_u32_e64 s4, 4, v131
	v_lshrrev_b32_e32 v15, 16, v7
	v_cndmask_b32_e64 v5, v5, v3, s6
	v_cndmask_b32_e64 v6, v6, v7, s6
	v_cndmask_b32_e32 v14, v18, v7, vcc_lo
	v_cndmask_b32_e64 v9, v9, v3, s5
	v_cndmask_b32_e64 v10, v13, v7, s5
	v_cndmask_b32_e32 v13, v17, v3, vcc_lo
	v_cmp_eq_u32_e64 s3, 5, v132
	v_cndmask_b32_e64 v1, v1, v3, s4
	v_cmp_eq_u32_e32 vcc_lo, 5, v131
	v_cmp_eq_u32_e64 s5, 5, v129
	v_cndmask_b32_e64 v2, v2, v7, s4
	v_cmp_eq_u32_e64 s4, 5, v130
	v_cmp_eq_u32_e64 s6, 6, v129
	v_lshrrev_b32_e32 v12, 16, v4
	v_cndmask_b32_e64 v3, v5, v11, s5
	v_cndmask_b32_e64 v5, v6, v15, s5
	;; [unrolled: 1-line block ×3, first 2 shown]
	v_cmp_eq_u32_e64 s5, 6, v130
	v_cndmask_b32_e64 v7, v10, v15, s4
	v_cndmask_b32_e64 v9, v13, v11, s3
	;; [unrolled: 1-line block ×3, first 2 shown]
	v_cndmask_b32_e32 v1, v1, v11, vcc_lo
	v_cndmask_b32_e32 v2, v2, v15, vcc_lo
	v_cmp_eq_u32_e32 vcc_lo, 6, v132
	v_cmp_eq_u32_e64 s3, 6, v131
	v_lshrrev_b32_e32 v16, 16, v8
	v_cndmask_b32_e64 v3, v3, v4, s6
	v_cndmask_b32_e64 v5, v5, v8, s6
	v_cndmask_b32_e32 v9, v9, v4, vcc_lo
	v_cndmask_b32_e64 v6, v6, v4, s5
	v_cndmask_b32_e64 v7, v7, v8, s5
	v_cmp_eq_u32_e64 s4, 7, v132
	v_cndmask_b32_e32 v10, v10, v8, vcc_lo
	v_cndmask_b32_e64 v1, v1, v4, s3
	v_cmp_eq_u32_e32 vcc_lo, 7, v131
	v_cndmask_b32_e64 v2, v2, v8, s3
	v_cmp_eq_u32_e64 s3, 7, v129
	v_cmp_eq_u32_e64 s5, 7, v130
	v_cndmask_b32_e32 v1, v1, v12, vcc_lo
	s_delay_alu instid0(VALU_DEP_4) | instskip(NEXT) | instid1(VALU_DEP_4)
	v_cndmask_b32_e32 v2, v2, v16, vcc_lo
	v_cndmask_b32_e64 v8, v3, v12, s3
	s_delay_alu instid0(VALU_DEP_4)
	v_cndmask_b32_e64 v6, v6, v12, s5
	v_cndmask_b32_e64 v3, v9, v12, s4
	;; [unrolled: 1-line block ×5, first 2 shown]
	v_perm_b32 v4, v2, v1, 0x5040100
	s_mov_b32 s3, exec_lo
	v_perm_b32 v3, v9, v3, 0x5040100
	v_perm_b32 v2, v7, v6, 0x5040100
	;; [unrolled: 1-line block ×3, first 2 shown]
	ds_store_b128 v134, v[1:4]
	s_waitcnt lgkmcnt(0)
	s_barrier
	buffer_gl0_inv
	v_cmpx_gt_u32_e32 32, v0
	s_cbranch_execz .LBB296_2
; %bb.15:
	s_load_b64 s[4:5], s[0:1], 0x68
	v_lshlrev_b32_e32 v0, 10, v0
	v_lshlrev_b32_e32 v1, 4, v139
	s_lshl_b32 s0, s35, 7
	v_add_nc_u32_e32 v7, s31, v138
	s_mul_i32 s1, s0, s34
	s_delay_alu instid0(SALU_CYCLE_1) | instskip(SKIP_1) | instid1(VALU_DEP_2)
	s_mul_i32 s6, s1, s7
	v_and_or_b32 v0, 0x3800, v0, v1
	v_mul_lo_u32 v1, v7, s0
	v_add_nc_u32_e32 v2, 2, v7
	s_ashr_i32 s7, s6, 31
	v_add_nc_u32_e32 v4, 4, v7
	s_lshl_b64 s[6:7], s[6:7], 1
	v_add_nc_u32_e32 v8, 6, v7
	v_mul_lo_u32 v3, v2, s0
	v_lshl_or_b32 v19, v138, 6, v0
	v_ashrrev_i32_e32 v2, 31, v1
	v_mul_lo_u32 v11, v4, s0
	v_mul_lo_u32 v25, v8, s0
	s_waitcnt lgkmcnt(0)
	s_add_u32 s1, s4, s6
	s_addc_u32 s3, s5, s7
	s_lshl_b32 s4, s14, 7
	v_lshlrev_b64 v[5:6], 1, v[1:2]
	s_ashr_i32 s5, s4, 31
	v_ashrrev_i32_e32 v4, 31, v3
	s_lshl_b64 s[4:5], s[4:5], 1
	v_ashrrev_i32_e32 v12, 31, v11
	s_add_u32 s1, s1, s4
	s_addc_u32 s3, s3, s5
	v_add_co_u32 v1, s1, s1, v137
	s_delay_alu instid0(VALU_DEP_1) | instskip(SKIP_1) | instid1(VALU_DEP_3)
	v_add_co_ci_u32_e64 v2, null, s3, 0, s1
	v_lshlrev_b64 v[3:4], 1, v[3:4]
	v_add_co_u32 v23, vcc_lo, v1, v5
	v_add_nc_u32_e32 v5, 8, v7
	s_delay_alu instid0(VALU_DEP_4) | instskip(NEXT) | instid1(VALU_DEP_4)
	v_add_co_ci_u32_e32 v24, vcc_lo, v2, v6, vcc_lo
	v_add_co_u32 v27, vcc_lo, v1, v3
	s_delay_alu instid0(VALU_DEP_3)
	v_mul_lo_u32 v29, v5, s0
	v_add_co_ci_u32_e32 v28, vcc_lo, v2, v4, vcc_lo
	ds_load_b128 v[3:6], v19
	ds_load_b128 v[7:10], v19 offset:128
	v_lshlrev_b64 v[31:32], 1, v[11:12]
	ds_load_b128 v[11:14], v19 offset:256
	ds_load_b128 v[15:18], v19 offset:384
	;; [unrolled: 1-line block ×3, first 2 shown]
	v_ashrrev_i32_e32 v26, 31, v25
	v_ashrrev_i32_e32 v30, 31, v29
	v_add_co_u32 v31, vcc_lo, v1, v31
	s_delay_alu instid0(VALU_DEP_3) | instskip(NEXT) | instid1(VALU_DEP_3)
	v_lshlrev_b64 v[25:26], 1, v[25:26]
	v_lshlrev_b64 v[29:30], 1, v[29:30]
	v_add_co_ci_u32_e32 v32, vcc_lo, v2, v32, vcc_lo
	s_delay_alu instid0(VALU_DEP_3) | instskip(NEXT) | instid1(VALU_DEP_4)
	v_add_co_u32 v25, vcc_lo, v1, v25
	v_add_co_ci_u32_e32 v26, vcc_lo, v2, v26, vcc_lo
	s_delay_alu instid0(VALU_DEP_4)
	v_add_co_u32 v29, vcc_lo, v1, v29
	v_add_co_ci_u32_e32 v30, vcc_lo, v2, v30, vcc_lo
	s_waitcnt lgkmcnt(4)
	global_store_b128 v[23:24], v[3:6], off
	s_waitcnt lgkmcnt(3)
	global_store_b128 v[27:28], v[7:10], off
	;; [unrolled: 2-line block ×5, first 2 shown]
	s_and_b32 exec_lo, exec_lo, s2
	s_cbranch_execz .LBB296_2
; %bb.16:
	ds_load_b128 v[3:6], v0 offset:640
	s_add_i32 s1, s31, 10
	s_delay_alu instid0(SALU_CYCLE_1) | instskip(NEXT) | instid1(SALU_CYCLE_1)
	s_mul_i32 s0, s1, s0
	s_ashr_i32 s1, s0, 31
	s_delay_alu instid0(SALU_CYCLE_1) | instskip(NEXT) | instid1(SALU_CYCLE_1)
	s_lshl_b64 s[0:1], s[0:1], 1
	v_add_co_u32 v0, vcc_lo, v1, s0
	v_add_co_ci_u32_e32 v1, vcc_lo, s1, v2, vcc_lo
	s_waitcnt lgkmcnt(0)
	global_store_b128 v[0:1], v[3:6], off
	s_nop 0
	s_sendmsg sendmsg(MSG_DEALLOC_VGPRS)
	s_endpgm
	.section	.rodata,"a",@progbits
	.p2align	6, 0x0
	.amdhsa_kernel _Z39paged_attention_ll4mi_QKV_mfma16_kernelIDF16_DF16_LN4vllm18Fp8KVCacheDataTypeE0EDF16_Li16ELi128ELi256ELb0ELi11EL8MFMAType0EEvPKT_PKT0_S8_ifPKiSA_SA_iPKfiiiPfSD_PS3_PT2_iSC_SC_
		.amdhsa_group_segment_fixed_size 17472
		.amdhsa_private_segment_fixed_size 0
		.amdhsa_kernarg_size 400
		.amdhsa_user_sgpr_count 13
		.amdhsa_user_sgpr_dispatch_ptr 0
		.amdhsa_user_sgpr_queue_ptr 0
		.amdhsa_user_sgpr_kernarg_segment_ptr 1
		.amdhsa_user_sgpr_dispatch_id 0
		.amdhsa_user_sgpr_private_segment_size 0
		.amdhsa_wavefront_size32 1
		.amdhsa_uses_dynamic_stack 0
		.amdhsa_enable_private_segment 0
		.amdhsa_system_sgpr_workgroup_id_x 1
		.amdhsa_system_sgpr_workgroup_id_y 1
		.amdhsa_system_sgpr_workgroup_id_z 1
		.amdhsa_system_sgpr_workgroup_info 0
		.amdhsa_system_vgpr_workitem_id 0
		.amdhsa_next_free_vgpr 218
		.amdhsa_next_free_sgpr 52
		.amdhsa_reserve_vcc 1
		.amdhsa_float_round_mode_32 0
		.amdhsa_float_round_mode_16_64 0
		.amdhsa_float_denorm_mode_32 3
		.amdhsa_float_denorm_mode_16_64 3
		.amdhsa_dx10_clamp 1
		.amdhsa_ieee_mode 1
		.amdhsa_fp16_overflow 0
		.amdhsa_workgroup_processor_mode 1
		.amdhsa_memory_ordered 1
		.amdhsa_forward_progress 0
		.amdhsa_shared_vgpr_count 0
		.amdhsa_exception_fp_ieee_invalid_op 0
		.amdhsa_exception_fp_denorm_src 0
		.amdhsa_exception_fp_ieee_div_zero 0
		.amdhsa_exception_fp_ieee_overflow 0
		.amdhsa_exception_fp_ieee_underflow 0
		.amdhsa_exception_fp_ieee_inexact 0
		.amdhsa_exception_int_div_zero 0
	.end_amdhsa_kernel
	.section	.text._Z39paged_attention_ll4mi_QKV_mfma16_kernelIDF16_DF16_LN4vllm18Fp8KVCacheDataTypeE0EDF16_Li16ELi128ELi256ELb0ELi11EL8MFMAType0EEvPKT_PKT0_S8_ifPKiSA_SA_iPKfiiiPfSD_PS3_PT2_iSC_SC_,"axG",@progbits,_Z39paged_attention_ll4mi_QKV_mfma16_kernelIDF16_DF16_LN4vllm18Fp8KVCacheDataTypeE0EDF16_Li16ELi128ELi256ELb0ELi11EL8MFMAType0EEvPKT_PKT0_S8_ifPKiSA_SA_iPKfiiiPfSD_PS3_PT2_iSC_SC_,comdat
.Lfunc_end296:
	.size	_Z39paged_attention_ll4mi_QKV_mfma16_kernelIDF16_DF16_LN4vllm18Fp8KVCacheDataTypeE0EDF16_Li16ELi128ELi256ELb0ELi11EL8MFMAType0EEvPKT_PKT0_S8_ifPKiSA_SA_iPKfiiiPfSD_PS3_PT2_iSC_SC_, .Lfunc_end296-_Z39paged_attention_ll4mi_QKV_mfma16_kernelIDF16_DF16_LN4vllm18Fp8KVCacheDataTypeE0EDF16_Li16ELi128ELi256ELb0ELi11EL8MFMAType0EEvPKT_PKT0_S8_ifPKiSA_SA_iPKfiiiPfSD_PS3_PT2_iSC_SC_
                                        ; -- End function
	.section	.AMDGPU.csdata,"",@progbits
; Kernel info:
; codeLenInByte = 8216
; NumSgprs: 54
; NumVgprs: 218
; ScratchSize: 0
; MemoryBound: 0
; FloatMode: 240
; IeeeMode: 1
; LDSByteSize: 17472 bytes/workgroup (compile time only)
; SGPRBlocks: 6
; VGPRBlocks: 27
; NumSGPRsForWavesPerEU: 54
; NumVGPRsForWavesPerEU: 218
; Occupancy: 6
; WaveLimiterHint : 1
; COMPUTE_PGM_RSRC2:SCRATCH_EN: 0
; COMPUTE_PGM_RSRC2:USER_SGPR: 13
; COMPUTE_PGM_RSRC2:TRAP_HANDLER: 0
; COMPUTE_PGM_RSRC2:TGID_X_EN: 1
; COMPUTE_PGM_RSRC2:TGID_Y_EN: 1
; COMPUTE_PGM_RSRC2:TGID_Z_EN: 1
; COMPUTE_PGM_RSRC2:TIDIG_COMP_CNT: 0
	.section	.text._Z39paged_attention_ll4mi_QKV_mfma16_kernelIDF16_DF16_LN4vllm18Fp8KVCacheDataTypeE0EDF16_Li16ELi128ELi256ELb0ELi12EL8MFMAType0EEvPKT_PKT0_S8_ifPKiSA_SA_iPKfiiiPfSD_PS3_PT2_iSC_SC_,"axG",@progbits,_Z39paged_attention_ll4mi_QKV_mfma16_kernelIDF16_DF16_LN4vllm18Fp8KVCacheDataTypeE0EDF16_Li16ELi128ELi256ELb0ELi12EL8MFMAType0EEvPKT_PKT0_S8_ifPKiSA_SA_iPKfiiiPfSD_PS3_PT2_iSC_SC_,comdat
	.protected	_Z39paged_attention_ll4mi_QKV_mfma16_kernelIDF16_DF16_LN4vllm18Fp8KVCacheDataTypeE0EDF16_Li16ELi128ELi256ELb0ELi12EL8MFMAType0EEvPKT_PKT0_S8_ifPKiSA_SA_iPKfiiiPfSD_PS3_PT2_iSC_SC_ ; -- Begin function _Z39paged_attention_ll4mi_QKV_mfma16_kernelIDF16_DF16_LN4vllm18Fp8KVCacheDataTypeE0EDF16_Li16ELi128ELi256ELb0ELi12EL8MFMAType0EEvPKT_PKT0_S8_ifPKiSA_SA_iPKfiiiPfSD_PS3_PT2_iSC_SC_
	.globl	_Z39paged_attention_ll4mi_QKV_mfma16_kernelIDF16_DF16_LN4vllm18Fp8KVCacheDataTypeE0EDF16_Li16ELi128ELi256ELb0ELi12EL8MFMAType0EEvPKT_PKT0_S8_ifPKiSA_SA_iPKfiiiPfSD_PS3_PT2_iSC_SC_
	.p2align	8
	.type	_Z39paged_attention_ll4mi_QKV_mfma16_kernelIDF16_DF16_LN4vllm18Fp8KVCacheDataTypeE0EDF16_Li16ELi128ELi256ELb0ELi12EL8MFMAType0EEvPKT_PKT0_S8_ifPKiSA_SA_iPKfiiiPfSD_PS3_PT2_iSC_SC_,@function
_Z39paged_attention_ll4mi_QKV_mfma16_kernelIDF16_DF16_LN4vllm18Fp8KVCacheDataTypeE0EDF16_Li16ELi128ELi256ELb0ELi12EL8MFMAType0EEvPKT_PKT0_S8_ifPKiSA_SA_iPKfiiiPfSD_PS3_PT2_iSC_SC_: ; @_Z39paged_attention_ll4mi_QKV_mfma16_kernelIDF16_DF16_LN4vllm18Fp8KVCacheDataTypeE0EDF16_Li16ELi128ELi256ELb0ELi12EL8MFMAType0EEvPKT_PKT0_S8_ifPKiSA_SA_iPKfiiiPfSD_PS3_PT2_iSC_SC_
; %bb.0:
	s_load_b64 s[4:5], s[0:1], 0x30
	s_mov_b32 s30, s13
	s_waitcnt lgkmcnt(0)
	s_cmp_lg_u64 s[4:5], 0
	s_cselect_b32 s8, -1, 0
	s_ashr_i32 s31, s13, 31
	s_cmp_eq_u64 s[4:5], 0
	s_cbranch_scc1 .LBB297_3
; %bb.1:
	s_lshl_b64 s[2:3], s[30:31], 2
	s_delay_alu instid0(SALU_CYCLE_1) | instskip(SKIP_4) | instid1(SALU_CYCLE_1)
	s_add_u32 s2, s4, s2
	s_addc_u32 s3, s5, s3
	s_load_b64 s[2:3], s[2:3], 0x0
	s_waitcnt lgkmcnt(0)
	s_sub_i32 s2, s3, s2
	s_cmp_eq_u32 s2, 1
	s_cselect_b32 s2, -1, 0
	s_delay_alu instid0(SALU_CYCLE_1)
	s_and_not1_b32 vcc_lo, exec_lo, s2
	s_cbranch_vccz .LBB297_4
.LBB297_2:
	s_endpgm
.LBB297_3:
.LBB297_4:
	s_load_b64 s[2:3], s[0:1], 0x28
	s_lshl_b64 s[6:7], s[30:31], 2
	s_waitcnt lgkmcnt(0)
	s_add_u32 s2, s2, s6
	s_addc_u32 s3, s3, s7
	s_lshl_b32 s29, s14, 8
	s_load_b32 s28, s[2:3], 0x0
	s_waitcnt lgkmcnt(0)
	s_cmp_ge_i32 s29, s28
	s_cbranch_scc1 .LBB297_2
; %bb.5:
	s_clause 0x1
	s_load_b128 s[20:23], s[0:1], 0x8
	s_load_b64 s[2:3], s[0:1], 0x20
	s_and_not1_b32 vcc_lo, exec_lo, s8
	s_cbranch_vccnz .LBB297_7
; %bb.6:
	s_add_u32 s4, s4, s6
	s_addc_u32 s5, s5, s7
	s_load_b32 s5, s[4:5], 0x0
	s_branch .LBB297_8
.LBB297_7:
	s_mov_b32 s5, s30
.LBB297_8:
	s_load_b128 s[16:19], s[0:1], 0x48
	v_and_b32_e32 v140, 15, v0
	v_lshrrev_b32_e32 v141, 5, v0
	v_and_b32_e32 v142, 31, v0
	v_and_b32_e32 v139, 1, v0
	v_bfe_u32 v138, v0, 4, 1
	v_lshlrev_b32_e32 v1, 3, v140
	s_mul_i32 s31, s15, 12
	s_mov_b32 s4, exec_lo
	s_delay_alu instid0(VALU_DEP_1)
	v_lshlrev_b32_e32 v137, 1, v1
	v_cmpx_gt_u32_e32 0xc0, v0
	s_cbranch_execz .LBB297_10
; %bb.9:
	s_load_b64 s[6:7], s[0:1], 0x0
	v_lshl_or_b32 v5, v141, 1, v138
	s_waitcnt lgkmcnt(0)
	s_mul_hi_i32 s9, s5, s16
	s_mul_i32 s8, s5, s16
	v_lshlrev_b32_e32 v6, 10, v140
	s_lshl_b64 s[8:9], s[8:9], 1
	v_add_lshl_u32 v1, v5, s31, 7
	v_lshlrev_b32_e32 v5, 6, v5
	v_lshlrev_b32_e32 v7, 10, v139
	v_and_b32_e32 v6, 0x3800, v6
	s_delay_alu instid0(VALU_DEP_4) | instskip(NEXT) | instid1(VALU_DEP_2)
	v_ashrrev_i32_e32 v2, 31, v1
	v_or3_b32 v5, v6, v7, v5
	s_delay_alu instid0(VALU_DEP_2) | instskip(SKIP_2) | instid1(VALU_DEP_1)
	v_lshlrev_b64 v[1:2], 1, v[1:2]
	s_add_u32 s5, s6, s8
	s_addc_u32 s6, s7, s9
	v_add_co_u32 v1, vcc_lo, s5, v1
	s_delay_alu instid0(VALU_DEP_2) | instskip(NEXT) | instid1(VALU_DEP_2)
	v_add_co_ci_u32_e32 v2, vcc_lo, s6, v2, vcc_lo
	v_add_co_u32 v1, vcc_lo, v1, v137
	s_delay_alu instid0(VALU_DEP_2)
	v_add_co_ci_u32_e32 v2, vcc_lo, 0, v2, vcc_lo
	global_load_b128 v[1:4], v[1:2], off
	s_waitcnt vmcnt(0)
	ds_store_b128 v5, v[1:4]
.LBB297_10:
	s_or_b32 exec_lo, exec_lo, s4
	v_and_b32_e32 v1, 0xef, v0
	s_waitcnt lgkmcnt(0)
	s_add_i32 s5, s28, 15
	s_clause 0x1
	s_load_b32 s4, s[0:1], 0x38
	s_load_b32 s33, s[0:1], 0x98
	s_ashr_i32 s6, s5, 31
	v_add_nc_u32_e32 v1, s29, v1
	s_lshr_b32 s6, s6, 28
	s_load_b32 s34, s[0:1], 0x1c
	s_add_i32 s5, s5, s6
	s_waitcnt lgkmcnt(0)
	v_ashrrev_i32_e32 v2, 31, v1
	v_cmp_gt_i32_e32 vcc_lo, s28, v1
	s_ashr_i32 s16, s5, 4
	s_barrier
	s_add_i32 s16, s16, -1
	v_lshrrev_b32_e32 v3, 28, v2
	v_or_b32_e32 v2, 16, v1
	buffer_gl0_inv
	v_add_nc_u32_e32 v105, -12, v140
	v_lshlrev_b32_e32 v106, 5, v140
	v_add_nc_u32_e32 v4, v1, v3
	v_add_nc_u32_e32 v3, v2, v3
	s_mul_i32 s4, s30, s4
	s_delay_alu instid0(SALU_CYCLE_1) | instskip(NEXT) | instid1(VALU_DEP_2)
	s_ashr_i32 s5, s4, 31
	v_ashrrev_i32_e32 v4, 4, v4
	s_delay_alu instid0(VALU_DEP_2)
	v_ashrrev_i32_e32 v3, 4, v3
	s_lshl_b64 s[4:5], s[4:5], 2
	v_lshl_or_b32 v125, v141, 9, v106
	s_add_u32 s35, s2, s4
	v_cndmask_b32_e32 v1, s16, v4, vcc_lo
	v_cmp_gt_i32_e32 vcc_lo, s28, v2
	s_addc_u32 s36, s3, s5
	s_mul_i32 s2, s15, s18
	s_delay_alu instid0(VALU_DEP_2) | instskip(SKIP_2) | instid1(SALU_CYCLE_1)
	v_ashrrev_i32_e32 v2, 31, v1
	v_cndmask_b32_e32 v3, s16, v3, vcc_lo
	s_ashr_i32 s3, s2, 31
	s_lshl_b64 s[2:3], s[2:3], 1
	s_delay_alu instid0(VALU_DEP_2) | instskip(NEXT) | instid1(VALU_DEP_2)
	v_lshlrev_b64 v[1:2], 2, v[1:2]
	v_ashrrev_i32_e32 v4, 31, v3
	s_add_u32 s24, s20, s2
	s_addc_u32 s25, s21, s3
	s_lshl_b32 s4, s14, 4
	s_delay_alu instid0(VALU_DEP_1) | instskip(SKIP_3) | instid1(VALU_DEP_3)
	v_lshlrev_b64 v[3:4], 2, v[3:4]
	v_add_co_u32 v1, vcc_lo, s35, v1
	v_add_co_ci_u32_e32 v2, vcc_lo, s36, v2, vcc_lo
	s_ashr_i32 s5, s4, 31
	v_add_co_u32 v3, vcc_lo, s35, v3
	s_delay_alu instid0(VALU_DEP_4)
	v_add_co_ci_u32_e32 v4, vcc_lo, s36, v4, vcc_lo
	s_lshl_b64 s[4:5], s[4:5], 2
	s_clause 0x1
	global_load_b32 v5, v[1:2], off
	global_load_b32 v6, v[3:4], off
	s_add_u32 s4, s35, s4
	s_addc_u32 s5, s36, s5
	s_or_b32 s6, s29, 16
	v_lshlrev_b32_e32 v3, 4, v0
	s_ashr_i32 s7, s6, 4
	s_cmp_lt_i32 s6, s28
	s_cselect_b32 s6, s7, s16
	s_delay_alu instid0(SALU_CYCLE_1) | instskip(NEXT) | instid1(SALU_CYCLE_1)
	s_ashr_i32 s7, s6, 31
	s_lshl_b64 s[6:7], s[6:7], 2
	s_delay_alu instid0(SALU_CYCLE_1) | instskip(SKIP_2) | instid1(SALU_CYCLE_1)
	s_add_u32 s6, s35, s6
	s_addc_u32 s7, s36, s7
	s_or_b32 s8, s29, 32
	s_ashr_i32 s9, s8, 4
	s_cmp_lt_i32 s8, s28
	s_cselect_b32 s8, s9, s16
	s_delay_alu instid0(SALU_CYCLE_1) | instskip(NEXT) | instid1(SALU_CYCLE_1)
	s_ashr_i32 s9, s8, 31
	s_lshl_b64 s[8:9], s[8:9], 2
	s_delay_alu instid0(SALU_CYCLE_1) | instskip(SKIP_2) | instid1(SALU_CYCLE_1)
	s_add_u32 s8, s35, s8
	s_addc_u32 s9, s36, s9
	s_or_b32 s10, s29, 48
	;; [unrolled: 10-line block ×4, first 2 shown]
	s_ashr_i32 s13, s12, 4
	s_cmp_lt_i32 s12, s28
	s_cselect_b32 s12, s13, s16
	s_delay_alu instid0(SALU_CYCLE_1) | instskip(NEXT) | instid1(SALU_CYCLE_1)
	s_ashr_i32 s13, s12, 31
	s_lshl_b64 s[12:13], s[12:13], 2
	s_delay_alu instid0(SALU_CYCLE_1)
	s_add_u32 s20, s35, s12
	s_addc_u32 s21, s36, s13
	s_clause 0x5
	s_load_b32 s37, s[4:5], 0x0
	s_load_b32 s27, s[6:7], 0x0
	;; [unrolled: 1-line block ×6, first 2 shown]
	s_waitcnt vmcnt(1)
	v_mad_i64_i32 v[1:2], null, v5, s17, 0
	v_and_b32_e32 v5, 0xf0, v3
	s_waitcnt vmcnt(0)
	v_mad_i64_i32 v[3:4], null, v6, s17, 0
	s_delay_alu instid0(VALU_DEP_2) | instskip(NEXT) | instid1(VALU_DEP_4)
	v_add_co_u32 v5, s4, s24, v5
	v_lshlrev_b64 v[1:2], 1, v[1:2]
	v_add_co_ci_u32_e64 v6, null, s25, 0, s4
	s_delay_alu instid0(VALU_DEP_4) | instskip(SKIP_1) | instid1(VALU_DEP_3)
	v_lshlrev_b64 v[3:4], 1, v[3:4]
	s_or_b32 s4, s29, 0x60
	v_add_co_u32 v121, vcc_lo, v5, v1
	s_delay_alu instid0(VALU_DEP_3) | instskip(NEXT) | instid1(VALU_DEP_3)
	v_add_co_ci_u32_e32 v122, vcc_lo, v6, v2, vcc_lo
	v_add_co_u32 v123, vcc_lo, v5, v3
	s_delay_alu instid0(VALU_DEP_4)
	v_add_co_ci_u32_e32 v124, vcc_lo, v6, v4, vcc_lo
	s_clause 0x19
	global_load_b128 v[89:92], v[121:122], off
	global_load_b128 v[93:96], v[121:122], off offset:256
	global_load_b128 v[97:100], v[123:124], off
	global_load_b128 v[101:104], v[123:124], off offset:256
	global_load_b128 v[81:84], v[121:122], off offset:512
	;; [unrolled: 1-line block ×23, first 2 shown]
	s_ashr_i32 s5, s4, 4
	s_cmp_lt_i32 s4, s28
	v_cmp_gt_u32_e32 vcc_lo, 12, v140
	s_cselect_b32 s4, s5, s16
	s_delay_alu instid0(SALU_CYCLE_1) | instskip(NEXT) | instid1(SALU_CYCLE_1)
	s_ashr_i32 s5, s4, 31
	s_lshl_b64 s[4:5], s[4:5], 2
	v_cndmask_b32_e32 v105, v105, v140, vcc_lo
	s_add_u32 s18, s35, s4
	s_addc_u32 s19, s36, s5
	s_or_b32 s4, s29, 0x70
	s_delay_alu instid0(SALU_CYCLE_1)
	s_ashr_i32 s5, s4, 4
	s_cmp_lt_i32 s4, s28
	v_lshlrev_b32_e32 v215, 6, v105
	s_cselect_b32 s6, s5, s16
	ds_load_b128 v[105:108], v215
	ds_load_b128 v[109:112], v215 offset:1024
	s_ashr_i32 s7, s6, 31
	ds_load_b128 v[113:116], v215 offset:2048
	ds_load_b128 v[117:120], v215 offset:3072
	;; [unrolled: 1-line block ×8, first 2 shown]
	s_clause 0x1
	global_load_b128 v[167:170], v[123:124], off offset:3072
	global_load_b128 v[171:174], v[123:124], off offset:3328
	s_lshl_b64 s[6:7], s[6:7], 2
	s_mov_b32 s4, 0
	s_add_u32 s20, s35, s6
	s_addc_u32 s21, s36, s7
	s_clause 0x1
	s_load_b32 s41, s[18:19], 0x0
	s_load_b32 s46, s[20:21], 0x0
	s_clause 0x3
	global_load_b128 v[175:178], v[121:122], off offset:3584
	global_load_b128 v[179:182], v[121:122], off offset:3840
	global_load_b128 v[183:186], v[123:124], off offset:3584
	global_load_b128 v[187:190], v[123:124], off offset:3840
	s_or_b32 s7, s29, 0x80
	s_mov_b32 s5, s4
	s_ashr_i32 s8, s7, 4
	s_cmp_lt_i32 s7, s28
	s_mov_b32 s6, s4
	s_cselect_b32 s10, s8, s16
	s_mov_b32 s7, s4
	s_ashr_i32 s11, s10, 31
	s_mov_b32 s8, s4
	s_lshl_b64 s[24:25], s[10:11], 2
	s_mov_b32 s9, s4
	s_add_u32 s24, s35, s24
	s_addc_u32 s25, s36, s25
	s_or_b32 s11, s29, 0x90
	s_mov_b32 s10, s4
	s_ashr_i32 s38, s11, 4
	s_cmp_lt_i32 s11, s28
	s_mov_b32 s11, s4
	s_cselect_b32 s38, s38, s16
	v_mov_b32_e32 v136, s11
	s_ashr_i32 s39, s38, 31
	v_dual_mov_b32 v135, s10 :: v_dual_mov_b32 v134, s9
	v_dual_mov_b32 v133, s8 :: v_dual_mov_b32 v132, s7
	;; [unrolled: 1-line block ×3, first 2 shown]
	v_mov_b32_e32 v129, s4
	s_lshl_b64 s[4:5], s[38:39], 2
	s_waitcnt lgkmcnt(0)
	s_mul_hi_i32 s7, s27, s17
	s_add_u32 s38, s35, s4
	s_addc_u32 s39, s36, s5
	s_or_b32 s4, s29, 0xa0
	s_load_b32 s40, s[38:39], 0x0
	s_ashr_i32 s5, s4, 4
	s_cmp_lt_i32 s4, s28
	s_cselect_b32 s4, s5, s16
	s_delay_alu instid0(SALU_CYCLE_1) | instskip(NEXT) | instid1(SALU_CYCLE_1)
	s_ashr_i32 s5, s4, 31
	s_lshl_b64 s[4:5], s[4:5], 2
	s_delay_alu instid0(SALU_CYCLE_1)
	s_add_u32 s42, s35, s4
	s_addc_u32 s43, s36, s5
	s_or_b32 s4, s29, 0xb0
	s_load_b32 s39, s[42:43], 0x0
	s_ashr_i32 s6, s4, 4
	s_cmp_lt_i32 s4, s28
	s_mul_hi_i32 s5, s37, s17
	s_cselect_b32 s8, s6, s16
	s_mul_i32 s6, s27, s17
	s_ashr_i32 s9, s8, 31
	s_mul_i32 s4, s37, s17
	s_lshl_b64 s[10:11], s[8:9], 2
	s_mul_hi_i32 s9, s26, s17
	s_add_u32 s44, s35, s10
	s_addc_u32 s45, s36, s11
	s_or_b32 s10, s29, 0xc0
	s_mul_i32 s8, s26, s17
	s_ashr_i32 s26, s10, 4
	s_cmp_lt_i32 s10, s28
	s_mul_hi_i32 s11, s13, s17
	s_cselect_b32 s26, s26, s16
	s_mul_i32 s10, s13, s17
	s_ashr_i32 s27, s26, 31
	s_mul_hi_i32 s13, s12, s17
	s_lshl_b64 s[26:27], s[26:27], 2
	s_mul_i32 s12, s12, s17
	s_add_u32 s20, s35, s26
	s_addc_u32 s21, s36, s27
	s_or_b32 s18, s29, 0xd0
	s_load_b32 s26, s[24:25], 0x0
	s_ashr_i32 s19, s18, 4
	s_cmp_lt_i32 s18, s28
	s_mul_i32 s18, s15, s17
	s_cselect_b32 s24, s19, s16
	s_mul_hi_i32 s19, s15, s17
	s_ashr_i32 s25, s24, 31
	s_delay_alu instid0(SALU_CYCLE_1) | instskip(NEXT) | instid1(SALU_CYCLE_1)
	s_lshl_b64 s[24:25], s[24:25], 2
	s_add_u32 s24, s35, s24
	s_addc_u32 s25, s36, s25
	s_or_b32 s42, s29, 0xe0
	s_clause 0x2
	s_load_b32 s38, s[44:45], 0x0
	s_load_b32 s37, s[20:21], 0x0
	;; [unrolled: 1-line block ×3, first 2 shown]
	s_ashr_i32 s43, s42, 4
	s_cmp_lt_i32 s42, s28
	s_mul_hi_i32 s25, s46, s17
	s_cselect_b32 s42, s43, s16
	s_mul_i32 s24, s46, s17
	s_ashr_i32 s43, s42, 31
	s_mul_hi_i32 s21, s41, s17
	s_lshl_b64 s[42:43], s[42:43], 2
	s_mul_i32 s20, s41, s17
	s_add_u32 s42, s35, s42
	s_addc_u32 s43, s36, s43
	s_or_b32 s46, s29, 0xf0
	s_waitcnt lgkmcnt(0)
	s_mul_hi_i32 s27, s26, s17
	s_ashr_i32 s47, s46, 4
	s_cmp_lt_i32 s46, s28
	s_mul_i32 s26, s26, s17
	s_cselect_b32 s46, s47, s16
	s_mul_hi_i32 s41, s40, s17
	s_ashr_i32 s47, s46, 31
	s_mul_hi_i32 s51, s15, s17
	s_lshl_b64 s[46:47], s[46:47], 2
	s_mul_i32 s50, s15, s17
	s_add_u32 s46, s35, s46
	s_addc_u32 s47, s36, s47
	s_add_u32 s15, s22, s2
	s_addc_u32 s16, s23, s3
	v_add_co_u32 v216, s15, s15, v125
	s_delay_alu instid0(VALU_DEP_1) | instskip(SKIP_2) | instid1(VALU_DEP_2)
	v_add_co_ci_u32_e64 v217, null, s16, 0, s15
	s_lshl_b64 s[2:3], s[4:5], 1
	s_lshl_b64 s[4:5], s[6:7], 1
	v_add_co_u32 v125, vcc_lo, v216, s2
	s_delay_alu instid0(VALU_DEP_2)
	v_add_co_ci_u32_e32 v126, vcc_lo, s3, v217, vcc_lo
	v_add_co_u32 v199, vcc_lo, v216, s4
	s_lshl_b64 s[6:7], s[8:9], 1
	v_add_co_ci_u32_e32 v200, vcc_lo, s5, v217, vcc_lo
	s_lshl_b64 s[8:9], s[10:11], 1
	s_lshl_b64 s[10:11], s[12:13], 1
	;; [unrolled: 1-line block ×6, first 2 shown]
	s_mul_i32 s40, s40, s17
	s_mul_hi_i32 s45, s39, s17
	s_lshl_b64 s[24:25], s[40:41], 1
	s_mul_i32 s44, s39, s17
	s_mul_hi_i32 s39, s38, s17
	s_lshl_b64 s[26:27], s[44:45], 1
	s_mul_i32 s38, s38, s17
	s_mul_hi_i32 s49, s37, s17
	s_mul_i32 s48, s37, s17
	s_lshl_b64 s[36:37], s[38:39], 1
	s_lshl_b64 s[38:39], s[48:49], 1
	s_clause 0x1
	s_load_b32 s15, s[42:43], 0x0
	s_load_b32 s16, s[46:47], 0x0
	s_lshl_b64 s[40:41], s[50:51], 1
	s_waitcnt lgkmcnt(0)
	s_mul_hi_i32 s3, s15, s17
	s_mul_i32 s2, s15, s17
	s_mul_hi_i32 s5, s16, s17
	s_lshl_b64 s[2:3], s[2:3], 1
	s_mul_i32 s4, s16, s17
	s_waitcnt vmcnt(30)
	v_wmma_f32_16x16x16_f16 v[191:198], v[89:96], v[105:112], v[129:136]
	v_add_co_u32 v89, vcc_lo, v216, s6
	v_add_co_ci_u32_e32 v90, vcc_lo, s7, v217, vcc_lo
	v_add_co_u32 v91, vcc_lo, v216, s8
	v_add_co_ci_u32_e32 v92, vcc_lo, s9, v217, vcc_lo
	;; [unrolled: 2-line block ×5, first 2 shown]
	v_add_co_u32 v205, vcc_lo, v216, s20
	s_waitcnt vmcnt(28)
	v_wmma_f32_16x16x16_f16 v[129:136], v[97:104], v[105:112], v[129:136]
	v_add_co_ci_u32_e32 v206, vcc_lo, s21, v217, vcc_lo
	v_add_co_u32 v207, vcc_lo, v216, s22
	v_add_co_ci_u32_e32 v208, vcc_lo, s23, v217, vcc_lo
	v_add_co_u32 v209, vcc_lo, v216, s24
	s_waitcnt vmcnt(26)
	v_wmma_f32_16x16x16_f16 v[191:198], v[81:88], v[113:120], v[191:198]
	s_waitcnt vmcnt(24)
	v_wmma_f32_16x16x16_f16 v[129:136], v[73:80], v[113:120], v[129:136]
	v_add_co_ci_u32_e32 v210, vcc_lo, s25, v217, vcc_lo
	v_add_co_u32 v211, vcc_lo, v216, s26
	v_add_co_ci_u32_e32 v212, vcc_lo, s27, v217, vcc_lo
	v_add_co_u32 v213, vcc_lo, v216, s36
	s_waitcnt vmcnt(22)
	v_wmma_f32_16x16x16_f16 v[191:198], v[65:72], v[143:150], v[191:198]
	s_waitcnt vmcnt(20)
	v_wmma_f32_16x16x16_f16 v[129:136], v[57:64], v[143:150], v[129:136]
	v_add_co_ci_u32_e32 v214, vcc_lo, s37, v217, vcc_lo
	v_add_co_u32 v143, vcc_lo, v216, s38
	s_waitcnt vmcnt(18)
	v_wmma_f32_16x16x16_f16 v[191:198], v[49:56], v[151:158], v[191:198]
	s_waitcnt vmcnt(16)
	v_wmma_f32_16x16x16_f16 v[129:136], v[25:32], v[151:158], v[129:136]
	v_add_co_ci_u32_e32 v144, vcc_lo, s39, v217, vcc_lo
	s_clause 0x15
	global_load_b128 v[121:124], v[125:126], off
	global_load_b128 v[125:128], v[125:126], off offset:16
	global_load_b128 v[113:116], v[199:200], off
	global_load_b128 v[117:120], v[199:200], off offset:16
	;; [unrolled: 2-line block ×11, first 2 shown]
	s_waitcnt vmcnt(36)
	v_wmma_f32_16x16x16_f16 v[191:198], v[1:8], v[159:166], v[191:198]
	s_clause 0x1
	global_load_b128 v[1:4], v[213:214], off
	global_load_b128 v[5:8], v[213:214], off offset:16
	s_waitcnt vmcnt(36)
	v_wmma_f32_16x16x16_f16 v[129:136], v[9:16], v[159:166], v[129:136]
	s_clause 0x1
	global_load_b128 v[9:12], v[143:144], off
	global_load_b128 v[13:16], v[143:144], off offset:16
	ds_load_b128 v[143:146], v215 offset:10240
	ds_load_b128 v[147:150], v215 offset:11264
	;; [unrolled: 1-line block ×4, first 2 shown]
	v_add_co_u32 v199, vcc_lo, v216, s40
	v_add_co_ci_u32_e32 v200, vcc_lo, s41, v217, vcc_lo
	v_add_co_u32 v159, vcc_lo, v216, s2
	v_add_co_ci_u32_e32 v160, vcc_lo, s3, v217, vcc_lo
	s_lshl_b64 s[2:3], s[4:5], 1
	s_delay_alu instid0(SALU_CYCLE_1)
	v_add_co_u32 v161, vcc_lo, v216, s2
	v_add_co_ci_u32_e32 v162, vcc_lo, s3, v217, vcc_lo
	s_waitcnt vmcnt(36) lgkmcnt(2)
	v_wmma_f32_16x16x16_f16 v[191:198], v[33:40], v[143:150], v[191:198]
	s_waitcnt vmcnt(34)
	v_wmma_f32_16x16x16_f16 v[129:136], v[41:48], v[143:150], v[129:136]
	s_clause 0x3
	global_load_b128 v[33:36], v[199:200], off
	global_load_b128 v[37:40], v[199:200], off offset:16
	global_load_b128 v[41:44], v[159:160], off
	global_load_b128 v[45:48], v[159:160], off offset:16
	v_and_b32_e32 v143, 0xe0, v0
	v_mbcnt_lo_u32_b32 v159, -1, 0
	s_waitcnt vmcnt(36) lgkmcnt(0)
	v_wmma_f32_16x16x16_f16 v[191:198], v[17:24], v[151:158], v[191:198]
	s_clause 0x1
	global_load_b128 v[17:20], v[161:162], off
	global_load_b128 v[21:24], v[161:162], off offset:16
	s_waitcnt vmcnt(36)
	v_wmma_f32_16x16x16_f16 v[129:136], v[167:174], v[151:158], v[129:136]
	v_add_nc_u32_e32 v160, s29, v143
	ds_load_b128 v[143:146], v215 offset:14336
	ds_load_b128 v[147:150], v215 offset:15360
	v_xor_b32_e32 v151, 16, v159
	s_waitcnt vmcnt(0) lgkmcnt(0)
	s_barrier
	v_or_b32_e32 v152, v160, v138
	buffer_gl0_inv
	v_cmp_gt_i32_e32 vcc_lo, 32, v151
	v_or_b32_e32 v153, 2, v152
	v_or_b32_e32 v154, 4, v152
	v_or_b32_e32 v155, 6, v152
	v_or_b32_e32 v156, 8, v152
	v_or_b32_e32 v157, 10, v152
	v_cmp_gt_i32_e64 s2, s28, v153
	v_cmp_gt_i32_e64 s3, s28, v154
	;; [unrolled: 1-line block ×3, first 2 shown]
	v_or_b32_e32 v158, 12, v152
	v_cmp_gt_i32_e64 s5, s28, v156
	v_cmp_gt_i32_e64 s6, s28, v157
	v_wmma_f32_16x16x16_f16 v[191:198], v[175:182], v[143:150], v[191:198]
	v_wmma_f32_16x16x16_f16 v[129:136], v[183:190], v[143:150], v[129:136]
	v_cndmask_b32_e32 v151, v159, v151, vcc_lo
	v_cmp_gt_i32_e32 vcc_lo, s28, v152
	v_or_b32_e32 v159, 14, v152
	v_dual_mul_f32 v149, s34, v192 :: v_dual_mul_f32 v150, s34, v191
	v_dual_mul_f32 v147, s34, v194 :: v_dual_mul_f32 v148, s34, v193
	v_mul_f32_e32 v145, s34, v196
	s_delay_alu instid0(VALU_DEP_3) | instskip(NEXT) | instid1(VALU_DEP_4)
	v_cndmask_b32_e64 v149, 0xff7fffff, v149, s2
	v_cndmask_b32_e32 v150, 0xff7fffff, v150, vcc_lo
	v_mul_f32_e32 v146, s34, v195
	v_cndmask_b32_e64 v148, 0xff7fffff, v148, s3
	v_cndmask_b32_e64 v147, 0xff7fffff, v147, s4
	v_or_b32_e32 v160, 16, v152
	v_max3_f32 v149, v150, 0xff7fffff, v149
	v_or_b32_e32 v161, 18, v152
	v_dual_mul_f32 v143, s34, v198 :: v_dual_mul_f32 v144, s34, v197
	v_cndmask_b32_e64 v146, 0xff7fffff, v146, s5
	v_cndmask_b32_e64 v145, 0xff7fffff, v145, s6
	v_max3_f32 v147, v149, v148, v147
	v_cmp_gt_i32_e64 s7, s28, v158
	v_cmp_gt_i32_e64 s8, s28, v159
	v_or_b32_e32 v162, 20, v152
	v_or_b32_e32 v163, 22, v152
	v_dual_mul_f32 v174, s34, v130 :: v_dual_mul_f32 v175, s34, v129
	v_cndmask_b32_e64 v144, 0xff7fffff, v144, s7
	v_cndmask_b32_e64 v143, 0xff7fffff, v143, s8
	v_max3_f32 v145, v147, v146, v145
	v_cmp_gt_i32_e64 s9, s28, v160
	v_cmp_gt_i32_e64 s10, s28, v161
	v_or_b32_e32 v164, 24, v152
	v_or_b32_e32 v165, 26, v152
	v_dual_mul_f32 v172, s34, v132 :: v_dual_mul_f32 v173, s34, v131
	v_cndmask_b32_e64 v146, 0xff7fffff, v175, s9
	v_cndmask_b32_e64 v147, 0xff7fffff, v174, s10
	v_max3_f32 v143, v145, v144, v143
	v_cmp_gt_i32_e64 s11, s28, v162
	v_cmp_gt_i32_e64 s12, s28, v163
	v_or_b32_e32 v166, 28, v152
	v_or_b32_e32 v167, 30, v152
	v_dual_mul_f32 v170, s34, v134 :: v_dual_mul_f32 v171, s34, v133
	v_cndmask_b32_e64 v144, 0xff7fffff, v173, s11
	v_cndmask_b32_e64 v145, 0xff7fffff, v172, s12
	v_max3_f32 v143, v143, v146, v147
	v_cmp_gt_i32_e64 s13, s28, v164
	v_cmp_gt_i32_e64 s15, s28, v165
	v_dual_mul_f32 v168, s34, v136 :: v_dual_mul_f32 v169, s34, v135
	s_delay_alu instid0(VALU_DEP_4) | instskip(NEXT) | instid1(VALU_DEP_4)
	v_max3_f32 v143, v143, v144, v145
	v_cndmask_b32_e64 v146, 0xff7fffff, v171, s13
	s_delay_alu instid0(VALU_DEP_4) | instskip(SKIP_3) | instid1(VALU_DEP_4)
	v_cndmask_b32_e64 v147, 0xff7fffff, v170, s15
	v_cmp_gt_i32_e64 s16, s28, v166
	v_cmp_gt_i32_e64 s17, s28, v167
	v_lshlrev_b32_e32 v160, 2, v151
	v_max3_f32 v143, v143, v146, v147
	s_delay_alu instid0(VALU_DEP_4) | instskip(NEXT) | instid1(VALU_DEP_4)
	v_cndmask_b32_e64 v144, 0xff7fffff, v169, s16
	v_cndmask_b32_e64 v145, 0xff7fffff, v168, s17
	s_delay_alu instid0(VALU_DEP_1) | instskip(SKIP_3) | instid1(VALU_DEP_1)
	v_max3_f32 v143, v143, v144, v145
	ds_bpermute_b32 v144, v160, v143
	s_waitcnt lgkmcnt(0)
	v_max_f32_e32 v144, v144, v144
	v_max_f32_e32 v159, v143, v144
	s_delay_alu instid0(VALU_DEP_1) | instskip(SKIP_4) | instid1(VALU_DEP_4)
	v_fma_f32 v143, s34, v191, -v159
	v_fma_f32 v144, s34, v192, -v159
	;; [unrolled: 1-line block ×5, first 2 shown]
	v_dual_mul_f32 v143, 0x3fb8aa3b, v143 :: v_dual_mul_f32 v144, 0x3fb8aa3b, v144
	s_delay_alu instid0(VALU_DEP_4) | instskip(SKIP_2) | instid1(VALU_DEP_4)
	v_mul_f32_e32 v132, 0x3fb8aa3b, v132
	v_fma_f32 v134, s34, v134, -v159
	v_mul_f32_e32 v145, 0x3fb8aa3b, v145
	v_exp_f32_e32 v143, v143
	v_exp_f32_e32 v147, v144
	v_fma_f32 v148, s34, v195, -v159
	v_mul_f32_e32 v134, 0x3fb8aa3b, v134
	v_mul_f32_e32 v146, 0x3fb8aa3b, v146
	v_exp_f32_e32 v145, v145
	v_fma_f32 v149, s34, v196, -v159
	v_mul_f32_e32 v148, 0x3fb8aa3b, v148
	v_fma_f32 v151, s34, v197, -v159
	v_exp_f32_e32 v150, v146
	v_cndmask_b32_e32 v144, 0, v143, vcc_lo
	v_cndmask_b32_e64 v143, 0, v147, s2
	v_mul_f32_e32 v149, 0x3fb8aa3b, v149
	v_exp_f32_e32 v148, v148
	v_fma_f32 v152, s34, v198, -v159
	v_add_f32_e32 v147, 0, v144
	v_cndmask_b32_e64 v146, 0, v145, s3
	v_mul_f32_e32 v151, 0x3fb8aa3b, v151
	v_exp_f32_e32 v149, v149
	v_cndmask_b32_e64 v145, 0, v150, s4
	v_add_f32_e32 v147, v147, v143
	v_fma_f32 v129, s34, v129, -v159
	v_mul_f32_e32 v150, 0x3fb8aa3b, v152
	v_exp_f32_e32 v151, v151
	v_cndmask_b32_e64 v148, 0, v148, s5
	v_add_f32_e32 v147, v147, v146
	v_fma_f32 v130, s34, v130, -v159
	v_mul_f32_e32 v129, 0x3fb8aa3b, v129
	v_exp_f32_e32 v153, v150
	v_fma_f32 v131, s34, v131, -v159
	v_add_f32_e32 v152, v147, v145
	v_cndmask_b32_e64 v147, 0, v149, s6
	v_mul_f32_e32 v130, 0x3fb8aa3b, v130
	v_exp_f32_e32 v129, v129
	v_cndmask_b32_e64 v150, 0, v151, s7
	v_add_f32_e32 v149, v152, v148
	v_mul_f32_e32 v131, 0x3fb8aa3b, v131
	v_exp_f32_e32 v130, v130
	v_fma_f32 v133, s34, v133, -v159
	v_exp_f32_e32 v132, v132
	v_add_f32_e32 v151, v149, v147
	v_cndmask_b32_e64 v149, 0, v153, s8
	v_exp_f32_e32 v131, v131
	v_cndmask_b32_e64 v152, 0, v129, s9
	v_mul_f32_e32 v133, 0x3fb8aa3b, v133
	v_add_f32_e32 v151, v151, v150
	s_mov_b32 s2, exec_lo
	s_delay_alu instid0(VALU_DEP_2) | instskip(NEXT) | instid1(VALU_DEP_1)
	v_exp_f32_e32 v133, v133
	v_add_f32_e32 v129, v151, v149
	v_cndmask_b32_e64 v151, 0, v130, s10
	v_fma_f32 v130, s34, v135, -v159
	s_delay_alu instid0(TRANS32_DEP_2)
	v_cndmask_b32_e64 v154, 0, v131, s11
	v_exp_f32_e32 v131, v134
	v_add_f32_e32 v129, v129, v152
	v_cndmask_b32_e64 v153, 0, v132, s12
	v_mul_f32_e32 v130, 0x3fb8aa3b, v130
	v_fma_f32 v132, s34, v136, -v159
	v_cndmask_b32_e64 v156, 0, v133, s13
	v_add_f32_e32 v129, v129, v151
	s_delay_alu instid0(VALU_DEP_4) | instskip(NEXT) | instid1(VALU_DEP_3)
	v_exp_f32_e32 v130, v130
	v_mul_f32_e32 v132, 0x3fb8aa3b, v132
	s_delay_alu instid0(TRANS32_DEP_2) | instskip(NEXT) | instid1(VALU_DEP_3)
	v_cndmask_b32_e64 v155, 0, v131, s15
	v_add_f32_e32 v129, v129, v154
	s_delay_alu instid0(VALU_DEP_3) | instskip(NEXT) | instid1(VALU_DEP_1)
	v_exp_f32_e32 v131, v132
	v_add_f32_e32 v129, v129, v153
	s_waitcnt_depctr 0xfff
	v_cndmask_b32_e64 v158, 0, v130, s16
	v_add_f32_e32 v129, v129, v156
	v_cndmask_b32_e64 v157, 0, v131, s17
	s_delay_alu instid0(VALU_DEP_2) | instskip(NEXT) | instid1(VALU_DEP_1)
	v_add_f32_e32 v129, v129, v155
	v_add_f32_e32 v129, v129, v158
	s_delay_alu instid0(VALU_DEP_1)
	v_add_f32_e32 v129, v129, v157
	ds_bpermute_b32 v130, v160, v129
	v_cmpx_gt_u32_e32 16, v142
	s_cbranch_execz .LBB297_12
; %bb.11:
	v_mul_u32_u24_e32 v131, 0x44, v141
	s_delay_alu instid0(VALU_DEP_1) | instskip(SKIP_1) | instid1(VALU_DEP_1)
	v_lshl_add_u32 v131, v140, 2, v131
	s_waitcnt lgkmcnt(0)
	v_dual_add_f32 v129, v129, v130 :: v_dual_add_nc_u32 v130, 0x4000, v131
	ds_store_2addr_b32 v130, v159, v129 offset1:136
.LBB297_12:
	s_or_b32 exec_lo, exec_lo, s2
	v_lshlrev_b32_e32 v129, 2, v140
	s_load_b32 s34, s[0:1], 0x94
	s_waitcnt lgkmcnt(0)
	s_barrier
	buffer_gl0_inv
	v_add_nc_u32_e32 v135, 0x4000, v129
	v_cmp_eq_u32_e32 vcc_lo, 1, v141
	v_cmp_eq_u32_e64 s2, 2, v141
	v_cmp_eq_u32_e64 s3, 3, v141
	;; [unrolled: 1-line block ×3, first 2 shown]
	ds_load_2addr_b32 v[129:130], v135 offset1:17
	ds_load_2addr_b32 v[131:132], v135 offset0:34 offset1:51
	ds_load_2addr_b32 v[133:134], v135 offset0:68 offset1:85
	;; [unrolled: 1-line block ×3, first 2 shown]
	v_cmp_eq_u32_e64 s5, 5, v141
	v_cmp_eq_u32_e64 s6, 7, v141
	s_waitcnt lgkmcnt(3)
	v_max3_f32 v136, v129, 0xff7fffff, v130
	s_waitcnt lgkmcnt(2)
	s_delay_alu instid0(VALU_DEP_1) | instskip(SKIP_1) | instid1(VALU_DEP_1)
	v_max3_f32 v136, v136, v131, v132
	s_waitcnt lgkmcnt(1)
	v_max3_f32 v136, v136, v133, v134
	s_waitcnt lgkmcnt(0)
	s_delay_alu instid0(VALU_DEP_1) | instskip(NEXT) | instid1(VALU_DEP_1)
	v_max3_f32 v136, v136, v159, v160
	v_sub_f32_e32 v142, v130, v136
	ds_load_2addr_b32 v[161:162], v135 offset0:136 offset1:153
	v_sub_f32_e32 v164, v132, v136
	v_mul_f32_e32 v142, 0x3fb8aa3b, v142
	s_delay_alu instid0(VALU_DEP_2) | instskip(NEXT) | instid1(VALU_DEP_2)
	v_mul_f32_e32 v164, 0x3fb8aa3b, v164
	v_exp_f32_e32 v166, v142
	v_sub_f32_e32 v129, v129, v136
	s_delay_alu instid0(VALU_DEP_2) | instskip(NEXT) | instid1(VALU_DEP_1)
	v_exp_f32_e32 v164, v164
	v_mul_f32_e32 v163, 0x3fb8aa3b, v129
	ds_load_2addr_b32 v[129:130], v135 offset0:170 offset1:187
	v_exp_f32_e32 v163, v163
	s_waitcnt lgkmcnt(1)
	s_waitcnt_depctr 0xfff
	v_fma_f32 v142, v163, v161, 0
	v_sub_f32_e32 v161, v134, v136
	s_delay_alu instid0(VALU_DEP_2) | instskip(NEXT) | instid1(VALU_DEP_1)
	v_dual_fmac_f32 v142, v166, v162 :: v_dual_sub_f32 v131, v131, v136
	v_mul_f32_e32 v165, 0x3fb8aa3b, v131
	ds_load_2addr_b32 v[131:132], v135 offset0:204 offset1:221
	v_exp_f32_e32 v165, v165
	s_waitcnt lgkmcnt(1)
	s_waitcnt_depctr 0xfff
	v_fmac_f32_e32 v142, v165, v129
	v_sub_f32_e32 v133, v133, v136
	v_sub_f32_e32 v129, v160, v136
	s_delay_alu instid0(VALU_DEP_2) | instskip(NEXT) | instid1(VALU_DEP_2)
	v_dual_fmac_f32 v142, v164, v130 :: v_dual_mul_f32 v167, 0x3fb8aa3b, v133
	v_mul_f32_e32 v129, 0x3fb8aa3b, v129
	ds_load_2addr_b32 v[133:134], v135 offset0:238 offset1:255
	v_cndmask_b32_e32 v130, v163, v166, vcc_lo
	s_waitcnt lgkmcnt(0)
	s_barrier
	v_exp_f32_e32 v162, v129
	v_sub_f32_e32 v135, v159, v136
	v_mul_f32_e32 v159, 0x3fb8aa3b, v161
	v_exp_f32_e32 v161, v167
	buffer_gl0_inv
	v_exp_f32_e32 v159, v159
	v_fmac_f32_e32 v142, v161, v131
	s_waitcnt_depctr 0xfff
	v_dual_mul_f32 v135, 0x3fb8aa3b, v135 :: v_dual_fmac_f32 v142, v159, v132
	s_delay_alu instid0(VALU_DEP_1) | instskip(SKIP_2) | instid1(VALU_DEP_1)
	v_exp_f32_e32 v160, v135
	s_waitcnt_depctr 0xfff
	v_dual_fmac_f32 v142, v160, v133 :: v_dual_lshlrev_b32 v133, 6, v140
	v_fmac_f32_e32 v142, v162, v134
	s_delay_alu instid0(VALU_DEP_2) | instskip(NEXT) | instid1(VALU_DEP_2)
	v_lshl_or_b32 v135, v141, 11, v133
	v_add_f32_e32 v134, 0x358637bd, v142
	s_delay_alu instid0(VALU_DEP_1) | instskip(SKIP_1) | instid1(VALU_DEP_2)
	v_div_scale_f32 v167, null, v134, v134, 1.0
	v_div_scale_f32 v163, vcc_lo, 1.0, v134, 1.0
	v_rcp_f32_e32 v168, v167
	s_waitcnt_depctr 0xfff
	v_fma_f32 v129, -v167, v168, 1.0
	s_delay_alu instid0(VALU_DEP_1) | instskip(SKIP_2) | instid1(VALU_DEP_2)
	v_fmac_f32_e32 v168, v129, v168
	v_cndmask_b32_e64 v129, v130, v165, s2
	v_cmp_eq_u32_e64 s2, 6, v141
	v_cndmask_b32_e64 v130, v129, v164, s3
	v_lshlrev_b32_e32 v129, 2, v138
	v_mul_f32_e32 v165, v163, v168
	s_delay_alu instid0(VALU_DEP_3) | instskip(NEXT) | instid1(VALU_DEP_3)
	v_cndmask_b32_e64 v161, v130, v161, s4
	v_or_b32_e32 v130, 1, v129
	s_delay_alu instid0(VALU_DEP_3)
	v_fma_f32 v131, -v167, v165, v163
	v_or_b32_e32 v132, 2, v129
	v_cmp_eq_u32_e64 s3, 1, v129
	v_cndmask_b32_e64 v141, v161, v159, s5
	v_cmp_eq_u32_e64 s8, 1, v130
	v_fmac_f32_e32 v165, v131, v168
	v_or_b32_e32 v131, 3, v129
	v_cmp_eq_u32_e64 s9, 1, v132
	v_cndmask_b32_e64 v141, v141, v160, s2
	v_cmp_eq_u32_e64 s4, 2, v129
	v_fma_f32 v159, -v167, v165, v163
	v_cmp_eq_u32_e64 s10, 1, v131
	v_cmp_eq_u32_e64 s15, 2, v131
	v_cndmask_b32_e64 v141, v141, v162, s6
	v_cmp_eq_u32_e64 s11, 2, v130
	v_div_fmas_f32 v159, v159, v168, v165
	v_cmp_eq_u32_e64 s17, 3, v131
	v_cmp_eq_u32_e32 vcc_lo, 3, v129
	v_cmp_eq_u32_e64 s12, 3, v130
	v_cmp_eq_u32_e64 s13, 2, v132
	v_div_fixup_f32 v159, v159, v134, 1.0
	v_lshl_or_b32 v134, v138, 4, v135
	v_cmp_eq_u32_e64 s21, 4, v131
	v_cmp_eq_u32_e64 s2, 4, v129
	;; [unrolled: 1-line block ×3, first 2 shown]
	v_mul_f32_e32 v141, v141, v159
	v_cmp_eq_u32_e64 s18, 4, v130
	v_cmp_eq_u32_e64 s23, 5, v131
	;; [unrolled: 1-line block ×4, first 2 shown]
	v_fma_mixlo_f16 v159, v141, v144, 0
	v_fma_mixlo_f16 v160, v141, v146, 0
	;; [unrolled: 1-line block ×8, first 2 shown]
	v_fma_mixhi_f16 v159, v141, v143, 0
	v_fma_mixhi_f16 v160, v141, v145, 0
	v_fma_mixhi_f16 v161, v141, v147, 0
	v_fma_mixhi_f16 v162, v141, v149, 0
	v_fma_mixhi_f16 v163, v141, v151, 0
	v_fma_mixhi_f16 v164, v141, v153, 0
	v_fma_mixhi_f16 v165, v141, v155, 0
	v_fma_mixhi_f16 v166, v141, v157, 0
	ds_store_b128 v134, v[159:162]
	ds_store_b128 v134, v[163:166] offset:1024
	s_waitcnt lgkmcnt(0)
	s_barrier
	buffer_gl0_inv
	ds_load_b128 v[143:146], v135
	ds_load_b128 v[147:150], v135 offset:16
	ds_load_b128 v[151:154], v135 offset:1024
	;; [unrolled: 1-line block ×3, first 2 shown]
	v_cmp_eq_u32_e64 s20, 4, v132
	v_cmp_eq_u32_e64 s26, 6, v131
	;; [unrolled: 1-line block ×10, first 2 shown]
	s_waitcnt lgkmcnt(3)
	v_lshrrev_b32_e32 v141, 16, v143
	s_waitcnt lgkmcnt(2)
	v_lshrrev_b32_e32 v162, 16, v147
	v_lshrrev_b32_e32 v159, 16, v144
	;; [unrolled: 1-line block ×3, first 2 shown]
	s_waitcnt lgkmcnt(1)
	v_lshrrev_b32_e32 v166, 16, v151
	v_cndmask_b32_e64 v174, v143, v141, s3
	v_cndmask_b32_e64 v176, v143, v141, s8
	;; [unrolled: 1-line block ×5, first 2 shown]
	s_waitcnt lgkmcnt(0)
	v_lshrrev_b32_e32 v170, 16, v155
	v_cndmask_b32_e64 v175, v147, v162, s3
	v_cndmask_b32_e64 v177, v147, v162, s8
	;; [unrolled: 1-line block ×19, first 2 shown]
	v_lshrrev_b32_e32 v160, 16, v145
	v_lshrrev_b32_e32 v164, 16, v149
	;; [unrolled: 1-line block ×4, first 2 shown]
	v_cndmask_b32_e64 v176, v178, v144, s13
	v_cndmask_b32_e64 v177, v179, v148, s13
	;; [unrolled: 1-line block ×8, first 2 shown]
	v_cndmask_b32_e32 v155, v166, v159, vcc_lo
	v_cndmask_b32_e32 v166, v170, v163, vcc_lo
	v_cndmask_b32_e64 v170, v174, v159, s12
	v_cndmask_b32_e64 v174, v175, v163, s12
	;; [unrolled: 1-line block ×6, first 2 shown]
	v_cndmask_b32_e32 v144, v144, v167, vcc_lo
	v_cndmask_b32_e32 v147, v147, v171, vcc_lo
	v_cndmask_b32_e64 v148, v148, v167, s12
	v_cndmask_b32_e64 v155, v155, v145, s2
	;; [unrolled: 1-line block ×7, first 2 shown]
	v_lshrrev_b32_e32 v161, 16, v146
	v_lshrrev_b32_e32 v165, 16, v150
	;; [unrolled: 1-line block ×4, first 2 shown]
	v_cndmask_b32_e64 v170, v175, v145, s20
	v_cndmask_b32_e64 v174, v176, v149, s20
	;; [unrolled: 1-line block ×22, first 2 shown]
	v_lshrrev_b32_e32 v169, 16, v154
	v_cndmask_b32_e64 v160, v163, v146, s25
	v_cndmask_b32_e64 v163, v166, v150, s25
	v_cndmask_b32_e64 v144, v144, v154, s6
	v_cndmask_b32_e64 v150, v145, v158, s6
	v_cndmask_b32_e64 v145, v147, v154, s24
	v_cndmask_b32_e64 v147, v148, v161, s7
	v_cndmask_b32_e64 v148, v149, v165, s7
	v_cndmask_b32_e64 v149, v155, v161, s29
	v_cndmask_b32_e64 v159, v159, v165, s29
	v_perm_b32 v146, v143, v141, 0x5040100
	v_cndmask_b32_e64 v141, v183, v156, s13
	v_cndmask_b32_e64 v143, v181, v156, s11
	;; [unrolled: 1-line block ×4, first 2 shown]
	v_perm_b32 v144, v159, v149, 0x5040100
	v_cndmask_b32_e64 v149, v162, v167, s16
	v_cndmask_b32_e64 v151, v151, v167, s17
	v_cndmask_b32_e64 v152, v152, v171, s17
	v_cndmask_b32_e64 v141, v141, v171, s16
	v_cndmask_b32_e64 v143, v143, v171, s12
	v_cndmask_b32_e64 v149, v149, v153, s20
	v_cndmask_b32_e64 v151, v151, v153, s21
	v_cndmask_b32_e64 v152, v152, v157, s21
	v_cndmask_b32_e64 v141, v141, v157, s20
	v_cndmask_b32_e64 v143, v143, v157, s18
	v_cndmask_b32_e64 v149, v149, v168, s22
	v_cndmask_b32_e64 v151, v151, v168, s23
	v_cndmask_b32_e64 v152, v152, v172, s23
	v_cndmask_b32_e64 v141, v141, v172, s22
	v_cndmask_b32_e64 v143, v143, v172, s19
	v_lshrrev_b32_e32 v173, 16, v158
	v_cndmask_b32_e64 v149, v149, v154, s25
	v_cndmask_b32_e64 v151, v151, v154, s26
	;; [unrolled: 1-line block ×13, first 2 shown]
	v_perm_b32 v145, v160, v155, 0x5040100
	v_perm_b32 v143, v148, v147, 0x5040100
	;; [unrolled: 1-line block ×6, first 2 shown]
	s_mul_i32 s6, s33, 12
	s_mov_b32 s2, exec_lo
	ds_store_b128 v134, v[143:146]
	ds_store_b128 v134, v[147:150] offset:1024
	v_cmpx_gt_u32_e32 12, v0
	s_cbranch_execz .LBB297_14
; %bb.13:
	s_mul_i32 s3, s6, s30
	s_load_b128 s[8:11], s[0:1], 0x58
	v_add3_u32 v143, s3, s31, v140
	s_delay_alu instid0(VALU_DEP_1) | instskip(NEXT) | instid1(VALU_DEP_1)
	v_mad_u64_u32 v[140:141], null, v143, s34, s[14:15]
	v_ashrrev_i32_e32 v141, 31, v140
	s_delay_alu instid0(VALU_DEP_1) | instskip(SKIP_1) | instid1(VALU_DEP_1)
	v_lshlrev_b64 v[140:141], 2, v[140:141]
	s_waitcnt lgkmcnt(0)
	v_add_co_u32 v143, vcc_lo, s10, v140
	s_delay_alu instid0(VALU_DEP_2)
	v_add_co_ci_u32_e32 v144, vcc_lo, s11, v141, vcc_lo
	v_add_co_u32 v140, vcc_lo, s8, v140
	v_add_co_ci_u32_e32 v141, vcc_lo, s9, v141, vcc_lo
	global_store_b32 v[143:144], v136, off
	global_store_b32 v[140:141], v142, off
.LBB297_14:
	s_or_b32 exec_lo, exec_lo, s2
	s_waitcnt lgkmcnt(0)
	s_waitcnt_vscnt null, 0x0
	s_barrier
	buffer_gl0_inv
	ds_load_b128 v[148:151], v133
	ds_load_b128 v[152:155], v133 offset:16
	ds_load_b128 v[160:163], v133 offset:1040
	;; [unrolled: 1-line block ×5, first 2 shown]
	v_cmp_eq_u32_e32 vcc_lo, 1, v132
	v_mov_b32_e32 v140, 0
	ds_load_b128 v[176:179], v133 offset:3088
	ds_load_b128 v[172:175], v133 offset:3072
	;; [unrolled: 1-line block ×4, first 2 shown]
	v_cmp_eq_u32_e64 s2, 1, v129
	v_cmp_eq_u32_e64 s3, 1, v131
	;; [unrolled: 1-line block ×3, first 2 shown]
	v_mov_b32_e32 v141, v140
	v_mov_b32_e32 v142, v140
	;; [unrolled: 1-line block ×7, first 2 shown]
	v_cmp_eq_u32_e64 s5, 2, v129
	s_waitcnt lgkmcnt(8)
	s_delay_alu instid0(VALU_DEP_2)
	v_wmma_f32_16x16x16_f16 v[140:147], v[121:128], v[148:155], v[140:147]
	ds_load_b128 v[125:128], v133 offset:5136
	ds_load_b128 v[121:124], v133 offset:5120
	s_waitcnt lgkmcnt(8)
	v_wmma_f32_16x16x16_f16 v[140:147], v[113:120], v[156:163], v[140:147]
	ds_load_b128 v[117:120], v133 offset:6160
	ds_load_b128 v[113:116], v133 offset:6144
	s_waitcnt lgkmcnt(8)
	;; [unrolled: 4-line block ×11, first 2 shown]
	s_barrier
	buffer_gl0_inv
	v_wmma_f32_16x16x16_f16 v[140:147], v[1:8], v[73:80], v[140:147]
	s_delay_alu instid0(VALU_DEP_1) | instskip(NEXT) | instid1(VALU_DEP_1)
	v_wmma_f32_16x16x16_f16 v[140:147], v[9:16], v[65:72], v[140:147]
	v_wmma_f32_16x16x16_f16 v[140:147], v[33:40], v[57:64], v[140:147]
	s_delay_alu instid0(VALU_DEP_1) | instskip(NEXT) | instid1(VALU_DEP_1)
	v_wmma_f32_16x16x16_f16 v[140:147], v[41:48], v[49:56], v[140:147]
	v_wmma_f32_16x16x16_f16 v[140:147], v[17:24], v[25:32], v[140:147]
	s_delay_alu instid0(VALU_DEP_1) | instskip(NEXT) | instid1(VALU_DEP_2)
	v_cvt_f16_f32_e64 v1, v140
	v_cvt_f16_f32_e64 v2, v141
	s_delay_alu instid0(VALU_DEP_3) | instskip(NEXT) | instid1(VALU_DEP_4)
	v_cvt_f16_f32_e64 v3, v142
	v_cvt_f16_f32_e64 v4, v143
	;; [unrolled: 1-line block ×6, first 2 shown]
	v_pack_b32_f16 v1, v1, v2
	v_pack_b32_f16 v2, v3, v4
	;; [unrolled: 1-line block ×3, first 2 shown]
	s_delay_alu instid0(VALU_DEP_4)
	v_pack_b32_f16 v4, v7, v8
	ds_store_b128 v134, v[1:4]
	s_waitcnt lgkmcnt(0)
	s_barrier
	buffer_gl0_inv
	ds_load_b128 v[1:4], v135
	ds_load_b128 v[5:8], v135 offset:16
	s_waitcnt lgkmcnt(1)
	v_lshrrev_b32_e32 v9, 16, v1
	s_waitcnt lgkmcnt(0)
	v_lshrrev_b32_e32 v13, 16, v5
	v_lshrrev_b32_e32 v10, 16, v2
	;; [unrolled: 1-line block ×4, first 2 shown]
	v_cndmask_b32_e64 v17, v1, v9, s2
	v_cndmask_b32_e64 v18, v5, v13, s2
	;; [unrolled: 1-line block ×3, first 2 shown]
	v_cmp_eq_u32_e64 s2, 2, v130
	v_cndmask_b32_e64 v20, v5, v13, s4
	v_cndmask_b32_e32 v21, v1, v9, vcc_lo
	v_cndmask_b32_e32 v22, v5, v13, vcc_lo
	v_cndmask_b32_e64 v1, v1, v9, s3
	v_cndmask_b32_e64 v5, v5, v13, s3
	v_cmp_eq_u32_e32 vcc_lo, 2, v132
	v_cmp_eq_u32_e64 s3, 2, v131
	v_cndmask_b32_e64 v9, v17, v2, s5
	v_cndmask_b32_e64 v13, v18, v6, s5
	;; [unrolled: 1-line block ×4, first 2 shown]
	v_cndmask_b32_e32 v19, v21, v2, vcc_lo
	v_cmp_eq_u32_e64 s2, 3, v132
	v_cndmask_b32_e32 v20, v22, v6, vcc_lo
	v_cndmask_b32_e64 v1, v1, v2, s3
	v_cmp_eq_u32_e32 vcc_lo, 3, v131
	v_cmp_eq_u32_e64 s4, 3, v129
	v_cndmask_b32_e64 v2, v5, v6, s3
	v_cmp_eq_u32_e64 s3, 3, v130
	v_cmp_eq_u32_e64 s5, 4, v129
	v_cndmask_b32_e32 v1, v1, v10, vcc_lo
	v_cndmask_b32_e64 v5, v9, v10, s4
	v_cndmask_b32_e64 v6, v13, v14, s4
	;; [unrolled: 1-line block ×3, first 2 shown]
	v_cmp_eq_u32_e64 s4, 4, v130
	v_cndmask_b32_e64 v13, v18, v14, s3
	v_cndmask_b32_e64 v17, v19, v10, s2
	;; [unrolled: 1-line block ×3, first 2 shown]
	v_cndmask_b32_e32 v2, v2, v14, vcc_lo
	v_cmp_eq_u32_e32 vcc_lo, 4, v132
	v_cmp_eq_u32_e64 s3, 4, v131
	v_lshrrev_b32_e32 v15, 16, v7
	v_cndmask_b32_e64 v5, v5, v3, s5
	v_cndmask_b32_e64 v6, v6, v7, s5
	v_cndmask_b32_e32 v14, v18, v7, vcc_lo
	v_cndmask_b32_e64 v9, v9, v3, s4
	v_cndmask_b32_e64 v10, v13, v7, s4
	v_cndmask_b32_e32 v13, v17, v3, vcc_lo
	v_cmp_eq_u32_e64 s2, 5, v132
	v_cndmask_b32_e64 v1, v1, v3, s3
	v_cmp_eq_u32_e32 vcc_lo, 5, v131
	v_cmp_eq_u32_e64 s4, 5, v129
	v_cndmask_b32_e64 v2, v2, v7, s3
	v_cmp_eq_u32_e64 s3, 5, v130
	v_cmp_eq_u32_e64 s5, 6, v129
	v_lshrrev_b32_e32 v12, 16, v4
	v_cndmask_b32_e64 v3, v5, v11, s4
	v_cndmask_b32_e64 v5, v6, v15, s4
	;; [unrolled: 1-line block ×3, first 2 shown]
	v_cmp_eq_u32_e64 s4, 6, v130
	v_cndmask_b32_e64 v7, v10, v15, s3
	v_cndmask_b32_e64 v9, v13, v11, s2
	;; [unrolled: 1-line block ×3, first 2 shown]
	v_cndmask_b32_e32 v1, v1, v11, vcc_lo
	v_cndmask_b32_e32 v2, v2, v15, vcc_lo
	v_cmp_eq_u32_e32 vcc_lo, 6, v132
	v_cmp_eq_u32_e64 s2, 6, v131
	v_lshrrev_b32_e32 v16, 16, v8
	v_cndmask_b32_e64 v3, v3, v4, s5
	v_cndmask_b32_e64 v5, v5, v8, s5
	v_cndmask_b32_e32 v9, v9, v4, vcc_lo
	v_cndmask_b32_e64 v6, v6, v4, s4
	v_cndmask_b32_e64 v7, v7, v8, s4
	v_cmp_eq_u32_e64 s3, 7, v132
	v_cndmask_b32_e32 v10, v10, v8, vcc_lo
	v_cndmask_b32_e64 v1, v1, v4, s2
	v_cmp_eq_u32_e32 vcc_lo, 7, v131
	v_cndmask_b32_e64 v2, v2, v8, s2
	v_cmp_eq_u32_e64 s2, 7, v129
	v_cmp_eq_u32_e64 s4, 7, v130
	v_cndmask_b32_e32 v1, v1, v12, vcc_lo
	s_delay_alu instid0(VALU_DEP_4) | instskip(NEXT) | instid1(VALU_DEP_4)
	v_cndmask_b32_e32 v2, v2, v16, vcc_lo
	v_cndmask_b32_e64 v8, v3, v12, s2
	s_delay_alu instid0(VALU_DEP_4)
	v_cndmask_b32_e64 v6, v6, v12, s4
	v_cndmask_b32_e64 v3, v9, v12, s3
	;; [unrolled: 1-line block ×5, first 2 shown]
	v_perm_b32 v4, v2, v1, 0x5040100
	s_mov_b32 s2, exec_lo
	v_perm_b32 v3, v9, v3, 0x5040100
	v_perm_b32 v2, v7, v6, 0x5040100
	v_perm_b32 v1, v5, v8, 0x5040100
	ds_store_b128 v134, v[1:4]
	s_waitcnt lgkmcnt(0)
	s_barrier
	buffer_gl0_inv
	v_cmpx_gt_u32_e32 32, v0
	s_cbranch_execz .LBB297_2
; %bb.15:
	s_load_b64 s[0:1], s[0:1], 0x68
	v_lshlrev_b32_e32 v0, 10, v0
	s_lshl_b32 s4, s34, 7
	v_or_b32_e32 v3, s31, v138
	s_mul_i32 s2, s4, s30
	v_lshlrev_b32_e32 v1, 4, v139
	s_mul_i32 s2, s2, s6
	v_lshlrev_b32_e32 v2, 6, v138
	v_and_b32_e32 v0, 0x3800, v0
	s_ashr_i32 s3, s2, 31
	v_mul_lo_u32 v4, v3, s4
	s_lshl_b64 s[2:3], s[2:3], 1
	s_delay_alu instid0(VALU_DEP_2) | instskip(NEXT) | instid1(VALU_DEP_2)
	v_or3_b32 v16, v0, v1, v2
	v_ashrrev_i32_e32 v5, 31, v4
	ds_load_b128 v[0:3], v16
	s_waitcnt lgkmcnt(0)
	s_add_u32 s2, s0, s2
	s_addc_u32 s3, s1, s3
	s_lshl_b32 s0, s14, 7
	v_lshlrev_b64 v[5:6], 1, v[4:5]
	s_ashr_i32 s1, s0, 31
	s_delay_alu instid0(SALU_CYCLE_1) | instskip(NEXT) | instid1(SALU_CYCLE_1)
	s_lshl_b64 s[0:1], s[0:1], 1
	s_add_u32 s0, s2, s0
	s_addc_u32 s1, s3, s1
	s_lshl_b32 s2, s34, 8
	v_add_co_u32 v30, s0, s0, v137
	v_add_nc_u32_e32 v8, s2, v4
	v_add_co_ci_u32_e64 v31, null, s1, 0, s0
	s_delay_alu instid0(VALU_DEP_3) | instskip(NEXT) | instid1(VALU_DEP_3)
	v_add_co_u32 v12, vcc_lo, v30, v5
	v_add_nc_u32_e32 v10, s2, v8
	v_ashrrev_i32_e32 v9, 31, v8
	s_delay_alu instid0(VALU_DEP_4)
	v_add_co_ci_u32_e32 v13, vcc_lo, v31, v6, vcc_lo
	ds_load_b128 v[4:7], v16 offset:128
	v_ashrrev_i32_e32 v11, 31, v10
	v_lshlrev_b64 v[8:9], 1, v[8:9]
	v_add_nc_u32_e32 v14, s2, v10
	global_store_b128 v[12:13], v[0:3], off
	v_lshlrev_b64 v[0:1], 1, v[10:11]
	v_ashrrev_i32_e32 v15, 31, v14
	v_add_co_u32 v22, vcc_lo, v30, v8
	v_add_nc_u32_e32 v20, s2, v14
	v_add_co_ci_u32_e32 v23, vcc_lo, v31, v9, vcc_lo
	v_add_co_u32 v26, vcc_lo, v30, v0
	v_lshlrev_b64 v[24:25], 1, v[14:15]
	v_add_co_ci_u32_e32 v27, vcc_lo, v31, v1, vcc_lo
	ds_load_b128 v[0:3], v16 offset:256
	ds_load_b128 v[8:11], v16 offset:384
	;; [unrolled: 1-line block ×4, first 2 shown]
	v_add_nc_u32_e32 v28, s2, v20
	v_ashrrev_i32_e32 v21, 31, v20
	v_add_co_u32 v24, vcc_lo, v30, v24
	v_add_co_ci_u32_e32 v25, vcc_lo, v31, v25, vcc_lo
	s_delay_alu instid0(VALU_DEP_4) | instskip(NEXT) | instid1(VALU_DEP_4)
	v_ashrrev_i32_e32 v29, 31, v28
	v_lshlrev_b64 v[20:21], 1, v[20:21]
	s_delay_alu instid0(VALU_DEP_2) | instskip(NEXT) | instid1(VALU_DEP_2)
	v_lshlrev_b64 v[28:29], 1, v[28:29]
	v_add_co_u32 v20, vcc_lo, v30, v20
	s_delay_alu instid0(VALU_DEP_3) | instskip(NEXT) | instid1(VALU_DEP_3)
	v_add_co_ci_u32_e32 v21, vcc_lo, v31, v21, vcc_lo
	v_add_co_u32 v28, vcc_lo, v30, v28
	s_delay_alu instid0(VALU_DEP_4)
	v_add_co_ci_u32_e32 v29, vcc_lo, v31, v29, vcc_lo
	s_waitcnt lgkmcnt(4)
	global_store_b128 v[22:23], v[4:7], off
	s_waitcnt lgkmcnt(3)
	global_store_b128 v[26:27], v[0:3], off
	;; [unrolled: 2-line block ×5, first 2 shown]
	s_nop 0
	s_sendmsg sendmsg(MSG_DEALLOC_VGPRS)
	s_endpgm
	.section	.rodata,"a",@progbits
	.p2align	6, 0x0
	.amdhsa_kernel _Z39paged_attention_ll4mi_QKV_mfma16_kernelIDF16_DF16_LN4vllm18Fp8KVCacheDataTypeE0EDF16_Li16ELi128ELi256ELb0ELi12EL8MFMAType0EEvPKT_PKT0_S8_ifPKiSA_SA_iPKfiiiPfSD_PS3_PT2_iSC_SC_
		.amdhsa_group_segment_fixed_size 17472
		.amdhsa_private_segment_fixed_size 0
		.amdhsa_kernarg_size 400
		.amdhsa_user_sgpr_count 13
		.amdhsa_user_sgpr_dispatch_ptr 0
		.amdhsa_user_sgpr_queue_ptr 0
		.amdhsa_user_sgpr_kernarg_segment_ptr 1
		.amdhsa_user_sgpr_dispatch_id 0
		.amdhsa_user_sgpr_private_segment_size 0
		.amdhsa_wavefront_size32 1
		.amdhsa_uses_dynamic_stack 0
		.amdhsa_enable_private_segment 0
		.amdhsa_system_sgpr_workgroup_id_x 1
		.amdhsa_system_sgpr_workgroup_id_y 1
		.amdhsa_system_sgpr_workgroup_id_z 1
		.amdhsa_system_sgpr_workgroup_info 0
		.amdhsa_system_vgpr_workitem_id 0
		.amdhsa_next_free_vgpr 218
		.amdhsa_next_free_sgpr 52
		.amdhsa_reserve_vcc 1
		.amdhsa_float_round_mode_32 0
		.amdhsa_float_round_mode_16_64 0
		.amdhsa_float_denorm_mode_32 3
		.amdhsa_float_denorm_mode_16_64 3
		.amdhsa_dx10_clamp 1
		.amdhsa_ieee_mode 1
		.amdhsa_fp16_overflow 0
		.amdhsa_workgroup_processor_mode 1
		.amdhsa_memory_ordered 1
		.amdhsa_forward_progress 0
		.amdhsa_shared_vgpr_count 0
		.amdhsa_exception_fp_ieee_invalid_op 0
		.amdhsa_exception_fp_denorm_src 0
		.amdhsa_exception_fp_ieee_div_zero 0
		.amdhsa_exception_fp_ieee_overflow 0
		.amdhsa_exception_fp_ieee_underflow 0
		.amdhsa_exception_fp_ieee_inexact 0
		.amdhsa_exception_int_div_zero 0
	.end_amdhsa_kernel
	.section	.text._Z39paged_attention_ll4mi_QKV_mfma16_kernelIDF16_DF16_LN4vllm18Fp8KVCacheDataTypeE0EDF16_Li16ELi128ELi256ELb0ELi12EL8MFMAType0EEvPKT_PKT0_S8_ifPKiSA_SA_iPKfiiiPfSD_PS3_PT2_iSC_SC_,"axG",@progbits,_Z39paged_attention_ll4mi_QKV_mfma16_kernelIDF16_DF16_LN4vllm18Fp8KVCacheDataTypeE0EDF16_Li16ELi128ELi256ELb0ELi12EL8MFMAType0EEvPKT_PKT0_S8_ifPKiSA_SA_iPKfiiiPfSD_PS3_PT2_iSC_SC_,comdat
.Lfunc_end297:
	.size	_Z39paged_attention_ll4mi_QKV_mfma16_kernelIDF16_DF16_LN4vllm18Fp8KVCacheDataTypeE0EDF16_Li16ELi128ELi256ELb0ELi12EL8MFMAType0EEvPKT_PKT0_S8_ifPKiSA_SA_iPKfiiiPfSD_PS3_PT2_iSC_SC_, .Lfunc_end297-_Z39paged_attention_ll4mi_QKV_mfma16_kernelIDF16_DF16_LN4vllm18Fp8KVCacheDataTypeE0EDF16_Li16ELi128ELi256ELb0ELi12EL8MFMAType0EEvPKT_PKT0_S8_ifPKiSA_SA_iPKfiiiPfSD_PS3_PT2_iSC_SC_
                                        ; -- End function
	.section	.AMDGPU.csdata,"",@progbits
; Kernel info:
; codeLenInByte = 8168
; NumSgprs: 54
; NumVgprs: 218
; ScratchSize: 0
; MemoryBound: 0
; FloatMode: 240
; IeeeMode: 1
; LDSByteSize: 17472 bytes/workgroup (compile time only)
; SGPRBlocks: 6
; VGPRBlocks: 27
; NumSGPRsForWavesPerEU: 54
; NumVGPRsForWavesPerEU: 218
; Occupancy: 6
; WaveLimiterHint : 1
; COMPUTE_PGM_RSRC2:SCRATCH_EN: 0
; COMPUTE_PGM_RSRC2:USER_SGPR: 13
; COMPUTE_PGM_RSRC2:TRAP_HANDLER: 0
; COMPUTE_PGM_RSRC2:TGID_X_EN: 1
; COMPUTE_PGM_RSRC2:TGID_Y_EN: 1
; COMPUTE_PGM_RSRC2:TGID_Z_EN: 1
; COMPUTE_PGM_RSRC2:TIDIG_COMP_CNT: 0
	.section	.text._Z39paged_attention_ll4mi_QKV_mfma16_kernelIDF16_DF16_LN4vllm18Fp8KVCacheDataTypeE0EDF16_Li16ELi128ELi256ELb0ELi13EL8MFMAType0EEvPKT_PKT0_S8_ifPKiSA_SA_iPKfiiiPfSD_PS3_PT2_iSC_SC_,"axG",@progbits,_Z39paged_attention_ll4mi_QKV_mfma16_kernelIDF16_DF16_LN4vllm18Fp8KVCacheDataTypeE0EDF16_Li16ELi128ELi256ELb0ELi13EL8MFMAType0EEvPKT_PKT0_S8_ifPKiSA_SA_iPKfiiiPfSD_PS3_PT2_iSC_SC_,comdat
	.protected	_Z39paged_attention_ll4mi_QKV_mfma16_kernelIDF16_DF16_LN4vllm18Fp8KVCacheDataTypeE0EDF16_Li16ELi128ELi256ELb0ELi13EL8MFMAType0EEvPKT_PKT0_S8_ifPKiSA_SA_iPKfiiiPfSD_PS3_PT2_iSC_SC_ ; -- Begin function _Z39paged_attention_ll4mi_QKV_mfma16_kernelIDF16_DF16_LN4vllm18Fp8KVCacheDataTypeE0EDF16_Li16ELi128ELi256ELb0ELi13EL8MFMAType0EEvPKT_PKT0_S8_ifPKiSA_SA_iPKfiiiPfSD_PS3_PT2_iSC_SC_
	.globl	_Z39paged_attention_ll4mi_QKV_mfma16_kernelIDF16_DF16_LN4vllm18Fp8KVCacheDataTypeE0EDF16_Li16ELi128ELi256ELb0ELi13EL8MFMAType0EEvPKT_PKT0_S8_ifPKiSA_SA_iPKfiiiPfSD_PS3_PT2_iSC_SC_
	.p2align	8
	.type	_Z39paged_attention_ll4mi_QKV_mfma16_kernelIDF16_DF16_LN4vllm18Fp8KVCacheDataTypeE0EDF16_Li16ELi128ELi256ELb0ELi13EL8MFMAType0EEvPKT_PKT0_S8_ifPKiSA_SA_iPKfiiiPfSD_PS3_PT2_iSC_SC_,@function
_Z39paged_attention_ll4mi_QKV_mfma16_kernelIDF16_DF16_LN4vllm18Fp8KVCacheDataTypeE0EDF16_Li16ELi128ELi256ELb0ELi13EL8MFMAType0EEvPKT_PKT0_S8_ifPKiSA_SA_iPKfiiiPfSD_PS3_PT2_iSC_SC_: ; @_Z39paged_attention_ll4mi_QKV_mfma16_kernelIDF16_DF16_LN4vllm18Fp8KVCacheDataTypeE0EDF16_Li16ELi128ELi256ELb0ELi13EL8MFMAType0EEvPKT_PKT0_S8_ifPKiSA_SA_iPKfiiiPfSD_PS3_PT2_iSC_SC_
; %bb.0:
	s_load_b64 s[4:5], s[0:1], 0x30
	s_mov_b32 s34, s13
	s_waitcnt lgkmcnt(0)
	s_cmp_lg_u64 s[4:5], 0
	s_cselect_b32 s8, -1, 0
	s_ashr_i32 s35, s13, 31
	s_cmp_eq_u64 s[4:5], 0
	s_cbranch_scc1 .LBB298_3
; %bb.1:
	s_lshl_b64 s[2:3], s[34:35], 2
	s_delay_alu instid0(SALU_CYCLE_1) | instskip(SKIP_4) | instid1(SALU_CYCLE_1)
	s_add_u32 s2, s4, s2
	s_addc_u32 s3, s5, s3
	s_load_b64 s[2:3], s[2:3], 0x0
	s_waitcnt lgkmcnt(0)
	s_sub_i32 s2, s3, s2
	s_cmp_eq_u32 s2, 1
	s_cselect_b32 s2, -1, 0
	s_delay_alu instid0(SALU_CYCLE_1)
	s_and_not1_b32 vcc_lo, exec_lo, s2
	s_cbranch_vccz .LBB298_4
.LBB298_2:
	s_nop 0
	s_sendmsg sendmsg(MSG_DEALLOC_VGPRS)
	s_endpgm
.LBB298_3:
.LBB298_4:
	s_load_b64 s[2:3], s[0:1], 0x28
	s_lshl_b64 s[6:7], s[34:35], 2
	s_waitcnt lgkmcnt(0)
	s_add_u32 s2, s2, s6
	s_addc_u32 s3, s3, s7
	s_lshl_b32 s29, s14, 8
	s_load_b32 s28, s[2:3], 0x0
	s_waitcnt lgkmcnt(0)
	s_cmp_ge_i32 s29, s28
	s_cbranch_scc1 .LBB298_2
; %bb.5:
	s_clause 0x1
	s_load_b128 s[20:23], s[0:1], 0x8
	s_load_b64 s[2:3], s[0:1], 0x20
	s_and_not1_b32 vcc_lo, exec_lo, s8
	s_cbranch_vccnz .LBB298_7
; %bb.6:
	s_add_u32 s4, s4, s6
	s_addc_u32 s5, s5, s7
	s_load_b32 s5, s[4:5], 0x0
	s_branch .LBB298_8
.LBB298_7:
	s_mov_b32 s5, s34
.LBB298_8:
	s_load_b128 s[16:19], s[0:1], 0x48
	v_and_b32_e32 v140, 15, v0
	v_lshrrev_b32_e32 v141, 5, v0
	v_bfe_u32 v138, v0, 4, 1
	v_and_b32_e32 v142, 31, v0
	v_and_b32_e32 v139, 1, v0
	v_lshlrev_b32_e32 v2, 3, v140
	s_mul_i32 s31, s15, 13
	v_lshl_or_b32 v1, v141, 1, v138
	s_mov_b32 s4, exec_lo
	s_delay_alu instid0(VALU_DEP_2) | instskip(NEXT) | instid1(VALU_DEP_2)
	v_lshlrev_b32_e32 v137, 1, v2
	v_cmpx_gt_u32_e32 13, v1
	s_cbranch_execz .LBB298_10
; %bb.9:
	s_load_b64 s[6:7], s[0:1], 0x0
	v_add_lshl_u32 v2, v1, s31, 7
	s_waitcnt lgkmcnt(0)
	s_mul_hi_i32 s9, s5, s16
	s_mul_i32 s8, s5, s16
	v_lshlrev_b32_e32 v6, 10, v140
	s_lshl_b64 s[8:9], s[8:9], 1
	v_ashrrev_i32_e32 v3, 31, v2
	v_lshlrev_b32_e32 v1, 6, v1
	v_lshlrev_b32_e32 v7, 10, v139
	v_and_b32_e32 v6, 0x3800, v6
	s_delay_alu instid0(VALU_DEP_4) | instskip(NEXT) | instid1(VALU_DEP_2)
	v_lshlrev_b64 v[2:3], 1, v[2:3]
	v_or3_b32 v1, v6, v7, v1
	s_add_u32 s5, s6, s8
	s_addc_u32 s6, s7, s9
	s_delay_alu instid0(VALU_DEP_2) | instskip(NEXT) | instid1(VALU_DEP_3)
	v_add_co_u32 v2, vcc_lo, s5, v2
	v_add_co_ci_u32_e32 v3, vcc_lo, s6, v3, vcc_lo
	s_delay_alu instid0(VALU_DEP_2) | instskip(NEXT) | instid1(VALU_DEP_2)
	v_add_co_u32 v2, vcc_lo, v2, v137
	v_add_co_ci_u32_e32 v3, vcc_lo, 0, v3, vcc_lo
	global_load_b128 v[2:5], v[2:3], off
	s_waitcnt vmcnt(0)
	ds_store_b128 v1, v[2:5]
.LBB298_10:
	s_or_b32 exec_lo, exec_lo, s4
	v_and_b32_e32 v1, 0xef, v0
	s_waitcnt lgkmcnt(0)
	s_add_i32 s5, s28, 15
	s_clause 0x1
	s_load_b32 s4, s[0:1], 0x38
	s_load_b32 s33, s[0:1], 0x98
	s_ashr_i32 s6, s5, 31
	v_add_nc_u32_e32 v1, s29, v1
	s_lshr_b32 s6, s6, 28
	s_load_b32 s30, s[0:1], 0x1c
	s_add_i32 s5, s5, s6
	s_waitcnt lgkmcnt(0)
	v_ashrrev_i32_e32 v2, 31, v1
	v_cmp_gt_i32_e32 vcc_lo, s28, v1
	s_ashr_i32 s16, s5, 4
	s_barrier
	s_add_i32 s16, s16, -1
	v_lshrrev_b32_e32 v3, 28, v2
	v_or_b32_e32 v2, 16, v1
	buffer_gl0_inv
	v_add_nc_u32_e32 v105, -13, v140
	v_lshlrev_b32_e32 v106, 5, v140
	v_add_nc_u32_e32 v4, v1, v3
	v_add_nc_u32_e32 v3, v2, v3
	s_mul_i32 s4, s34, s4
	s_delay_alu instid0(SALU_CYCLE_1) | instskip(NEXT) | instid1(VALU_DEP_2)
	s_ashr_i32 s5, s4, 31
	v_ashrrev_i32_e32 v4, 4, v4
	s_delay_alu instid0(VALU_DEP_2)
	v_ashrrev_i32_e32 v3, 4, v3
	s_lshl_b64 s[4:5], s[4:5], 2
	v_lshl_or_b32 v125, v141, 9, v106
	s_add_u32 s35, s2, s4
	v_cndmask_b32_e32 v1, s16, v4, vcc_lo
	v_cmp_gt_i32_e32 vcc_lo, s28, v2
	s_addc_u32 s36, s3, s5
	s_mul_i32 s2, s15, s18
	s_delay_alu instid0(VALU_DEP_2) | instskip(SKIP_2) | instid1(SALU_CYCLE_1)
	v_ashrrev_i32_e32 v2, 31, v1
	v_cndmask_b32_e32 v3, s16, v3, vcc_lo
	s_ashr_i32 s3, s2, 31
	s_lshl_b64 s[2:3], s[2:3], 1
	s_delay_alu instid0(VALU_DEP_2) | instskip(NEXT) | instid1(VALU_DEP_2)
	v_lshlrev_b64 v[1:2], 2, v[1:2]
	v_ashrrev_i32_e32 v4, 31, v3
	s_add_u32 s24, s20, s2
	s_addc_u32 s25, s21, s3
	s_lshl_b32 s4, s14, 4
	s_delay_alu instid0(VALU_DEP_1) | instskip(SKIP_3) | instid1(VALU_DEP_3)
	v_lshlrev_b64 v[3:4], 2, v[3:4]
	v_add_co_u32 v1, vcc_lo, s35, v1
	v_add_co_ci_u32_e32 v2, vcc_lo, s36, v2, vcc_lo
	s_ashr_i32 s5, s4, 31
	v_add_co_u32 v3, vcc_lo, s35, v3
	s_delay_alu instid0(VALU_DEP_4)
	v_add_co_ci_u32_e32 v4, vcc_lo, s36, v4, vcc_lo
	s_lshl_b64 s[4:5], s[4:5], 2
	s_clause 0x1
	global_load_b32 v5, v[1:2], off
	global_load_b32 v6, v[3:4], off
	s_add_u32 s4, s35, s4
	s_addc_u32 s5, s36, s5
	s_or_b32 s6, s29, 16
	v_lshlrev_b32_e32 v3, 4, v0
	s_ashr_i32 s7, s6, 4
	s_cmp_lt_i32 s6, s28
	s_cselect_b32 s6, s7, s16
	s_delay_alu instid0(SALU_CYCLE_1) | instskip(NEXT) | instid1(SALU_CYCLE_1)
	s_ashr_i32 s7, s6, 31
	s_lshl_b64 s[6:7], s[6:7], 2
	s_delay_alu instid0(SALU_CYCLE_1) | instskip(SKIP_2) | instid1(SALU_CYCLE_1)
	s_add_u32 s6, s35, s6
	s_addc_u32 s7, s36, s7
	s_or_b32 s8, s29, 32
	s_ashr_i32 s9, s8, 4
	s_cmp_lt_i32 s8, s28
	s_cselect_b32 s8, s9, s16
	s_delay_alu instid0(SALU_CYCLE_1) | instskip(NEXT) | instid1(SALU_CYCLE_1)
	s_ashr_i32 s9, s8, 31
	s_lshl_b64 s[8:9], s[8:9], 2
	s_delay_alu instid0(SALU_CYCLE_1) | instskip(SKIP_2) | instid1(SALU_CYCLE_1)
	s_add_u32 s8, s35, s8
	s_addc_u32 s9, s36, s9
	s_or_b32 s10, s29, 48
	;; [unrolled: 10-line block ×4, first 2 shown]
	s_ashr_i32 s13, s12, 4
	s_cmp_lt_i32 s12, s28
	s_cselect_b32 s12, s13, s16
	s_delay_alu instid0(SALU_CYCLE_1) | instskip(NEXT) | instid1(SALU_CYCLE_1)
	s_ashr_i32 s13, s12, 31
	s_lshl_b64 s[12:13], s[12:13], 2
	s_delay_alu instid0(SALU_CYCLE_1)
	s_add_u32 s20, s35, s12
	s_addc_u32 s21, s36, s13
	s_clause 0x5
	s_load_b32 s37, s[4:5], 0x0
	s_load_b32 s27, s[6:7], 0x0
	;; [unrolled: 1-line block ×6, first 2 shown]
	s_waitcnt vmcnt(1)
	v_mad_i64_i32 v[1:2], null, v5, s17, 0
	v_and_b32_e32 v5, 0xf0, v3
	s_waitcnt vmcnt(0)
	v_mad_i64_i32 v[3:4], null, v6, s17, 0
	s_delay_alu instid0(VALU_DEP_2) | instskip(NEXT) | instid1(VALU_DEP_4)
	v_add_co_u32 v5, s4, s24, v5
	v_lshlrev_b64 v[1:2], 1, v[1:2]
	v_add_co_ci_u32_e64 v6, null, s25, 0, s4
	s_delay_alu instid0(VALU_DEP_4) | instskip(SKIP_1) | instid1(VALU_DEP_3)
	v_lshlrev_b64 v[3:4], 1, v[3:4]
	s_or_b32 s4, s29, 0x60
	v_add_co_u32 v121, vcc_lo, v5, v1
	s_delay_alu instid0(VALU_DEP_3) | instskip(NEXT) | instid1(VALU_DEP_3)
	v_add_co_ci_u32_e32 v122, vcc_lo, v6, v2, vcc_lo
	v_add_co_u32 v123, vcc_lo, v5, v3
	s_delay_alu instid0(VALU_DEP_4)
	v_add_co_ci_u32_e32 v124, vcc_lo, v6, v4, vcc_lo
	s_clause 0x19
	global_load_b128 v[89:92], v[121:122], off
	global_load_b128 v[93:96], v[121:122], off offset:256
	global_load_b128 v[97:100], v[123:124], off
	global_load_b128 v[101:104], v[123:124], off offset:256
	global_load_b128 v[81:84], v[121:122], off offset:512
	;; [unrolled: 1-line block ×23, first 2 shown]
	s_ashr_i32 s5, s4, 4
	s_cmp_lt_i32 s4, s28
	v_cmp_gt_u32_e32 vcc_lo, 13, v140
	s_cselect_b32 s4, s5, s16
	s_delay_alu instid0(SALU_CYCLE_1) | instskip(NEXT) | instid1(SALU_CYCLE_1)
	s_ashr_i32 s5, s4, 31
	s_lshl_b64 s[4:5], s[4:5], 2
	v_cndmask_b32_e32 v105, v105, v140, vcc_lo
	s_add_u32 s18, s35, s4
	s_addc_u32 s19, s36, s5
	s_or_b32 s4, s29, 0x70
	s_delay_alu instid0(SALU_CYCLE_1)
	s_ashr_i32 s5, s4, 4
	s_cmp_lt_i32 s4, s28
	v_lshlrev_b32_e32 v215, 6, v105
	s_cselect_b32 s6, s5, s16
	ds_load_b128 v[105:108], v215
	ds_load_b128 v[109:112], v215 offset:1024
	s_ashr_i32 s7, s6, 31
	ds_load_b128 v[113:116], v215 offset:2048
	ds_load_b128 v[117:120], v215 offset:3072
	;; [unrolled: 1-line block ×8, first 2 shown]
	s_clause 0x1
	global_load_b128 v[167:170], v[123:124], off offset:3072
	global_load_b128 v[171:174], v[123:124], off offset:3328
	s_lshl_b64 s[6:7], s[6:7], 2
	s_mov_b32 s4, 0
	s_add_u32 s20, s35, s6
	s_addc_u32 s21, s36, s7
	s_clause 0x1
	s_load_b32 s41, s[18:19], 0x0
	s_load_b32 s46, s[20:21], 0x0
	s_clause 0x3
	global_load_b128 v[175:178], v[121:122], off offset:3584
	global_load_b128 v[179:182], v[121:122], off offset:3840
	;; [unrolled: 1-line block ×4, first 2 shown]
	s_or_b32 s7, s29, 0x80
	s_mov_b32 s5, s4
	s_ashr_i32 s8, s7, 4
	s_cmp_lt_i32 s7, s28
	s_mov_b32 s6, s4
	s_cselect_b32 s10, s8, s16
	s_mov_b32 s7, s4
	s_ashr_i32 s11, s10, 31
	s_mov_b32 s8, s4
	s_lshl_b64 s[24:25], s[10:11], 2
	s_mov_b32 s9, s4
	s_add_u32 s24, s35, s24
	s_addc_u32 s25, s36, s25
	s_or_b32 s11, s29, 0x90
	s_mov_b32 s10, s4
	s_ashr_i32 s38, s11, 4
	s_cmp_lt_i32 s11, s28
	s_mov_b32 s11, s4
	s_cselect_b32 s38, s38, s16
	v_mov_b32_e32 v136, s11
	s_ashr_i32 s39, s38, 31
	v_dual_mov_b32 v135, s10 :: v_dual_mov_b32 v134, s9
	v_dual_mov_b32 v133, s8 :: v_dual_mov_b32 v132, s7
	;; [unrolled: 1-line block ×3, first 2 shown]
	v_mov_b32_e32 v129, s4
	s_lshl_b64 s[4:5], s[38:39], 2
	s_waitcnt lgkmcnt(0)
	s_mul_hi_i32 s7, s27, s17
	s_add_u32 s38, s35, s4
	s_addc_u32 s39, s36, s5
	s_or_b32 s4, s29, 0xa0
	s_load_b32 s40, s[38:39], 0x0
	s_ashr_i32 s5, s4, 4
	s_cmp_lt_i32 s4, s28
	s_cselect_b32 s4, s5, s16
	s_delay_alu instid0(SALU_CYCLE_1) | instskip(NEXT) | instid1(SALU_CYCLE_1)
	s_ashr_i32 s5, s4, 31
	s_lshl_b64 s[4:5], s[4:5], 2
	s_delay_alu instid0(SALU_CYCLE_1)
	s_add_u32 s42, s35, s4
	s_addc_u32 s43, s36, s5
	s_or_b32 s4, s29, 0xb0
	s_load_b32 s39, s[42:43], 0x0
	s_ashr_i32 s6, s4, 4
	s_cmp_lt_i32 s4, s28
	s_mul_hi_i32 s5, s37, s17
	s_cselect_b32 s8, s6, s16
	s_mul_i32 s6, s27, s17
	s_ashr_i32 s9, s8, 31
	s_mul_i32 s4, s37, s17
	s_lshl_b64 s[10:11], s[8:9], 2
	s_mul_hi_i32 s9, s26, s17
	s_add_u32 s44, s35, s10
	s_addc_u32 s45, s36, s11
	s_or_b32 s10, s29, 0xc0
	s_mul_i32 s8, s26, s17
	s_ashr_i32 s26, s10, 4
	s_cmp_lt_i32 s10, s28
	s_mul_hi_i32 s11, s13, s17
	s_cselect_b32 s26, s26, s16
	s_mul_i32 s10, s13, s17
	s_ashr_i32 s27, s26, 31
	s_mul_hi_i32 s13, s12, s17
	s_lshl_b64 s[26:27], s[26:27], 2
	s_mul_i32 s12, s12, s17
	s_add_u32 s20, s35, s26
	s_addc_u32 s21, s36, s27
	s_or_b32 s18, s29, 0xd0
	s_load_b32 s26, s[24:25], 0x0
	s_ashr_i32 s19, s18, 4
	s_cmp_lt_i32 s18, s28
	s_mul_i32 s18, s15, s17
	s_cselect_b32 s24, s19, s16
	s_mul_hi_i32 s19, s15, s17
	s_ashr_i32 s25, s24, 31
	s_delay_alu instid0(SALU_CYCLE_1) | instskip(NEXT) | instid1(SALU_CYCLE_1)
	s_lshl_b64 s[24:25], s[24:25], 2
	s_add_u32 s24, s35, s24
	s_addc_u32 s25, s36, s25
	s_or_b32 s42, s29, 0xe0
	s_clause 0x2
	s_load_b32 s38, s[44:45], 0x0
	s_load_b32 s37, s[20:21], 0x0
	;; [unrolled: 1-line block ×3, first 2 shown]
	s_ashr_i32 s43, s42, 4
	s_cmp_lt_i32 s42, s28
	s_mul_hi_i32 s25, s46, s17
	s_cselect_b32 s42, s43, s16
	s_mul_i32 s24, s46, s17
	s_ashr_i32 s43, s42, 31
	s_mul_hi_i32 s21, s41, s17
	s_lshl_b64 s[42:43], s[42:43], 2
	s_mul_i32 s20, s41, s17
	s_add_u32 s42, s35, s42
	s_addc_u32 s43, s36, s43
	s_or_b32 s46, s29, 0xf0
	s_waitcnt lgkmcnt(0)
	s_mul_hi_i32 s27, s26, s17
	s_ashr_i32 s47, s46, 4
	s_cmp_lt_i32 s46, s28
	s_mul_i32 s26, s26, s17
	s_cselect_b32 s46, s47, s16
	s_mul_hi_i32 s41, s40, s17
	s_ashr_i32 s47, s46, 31
	s_mul_hi_i32 s51, s15, s17
	s_lshl_b64 s[46:47], s[46:47], 2
	s_mul_i32 s50, s15, s17
	s_add_u32 s46, s35, s46
	s_addc_u32 s47, s36, s47
	s_add_u32 s15, s22, s2
	s_addc_u32 s16, s23, s3
	v_add_co_u32 v216, s15, s15, v125
	s_delay_alu instid0(VALU_DEP_1) | instskip(SKIP_2) | instid1(VALU_DEP_2)
	v_add_co_ci_u32_e64 v217, null, s16, 0, s15
	s_lshl_b64 s[2:3], s[4:5], 1
	s_lshl_b64 s[4:5], s[6:7], 1
	v_add_co_u32 v125, vcc_lo, v216, s2
	s_delay_alu instid0(VALU_DEP_2)
	v_add_co_ci_u32_e32 v126, vcc_lo, s3, v217, vcc_lo
	v_add_co_u32 v199, vcc_lo, v216, s4
	s_lshl_b64 s[6:7], s[8:9], 1
	v_add_co_ci_u32_e32 v200, vcc_lo, s5, v217, vcc_lo
	s_lshl_b64 s[8:9], s[10:11], 1
	s_lshl_b64 s[10:11], s[12:13], 1
	;; [unrolled: 1-line block ×6, first 2 shown]
	s_mul_i32 s40, s40, s17
	s_mul_hi_i32 s45, s39, s17
	s_lshl_b64 s[24:25], s[40:41], 1
	s_mul_i32 s44, s39, s17
	s_mul_hi_i32 s39, s38, s17
	s_lshl_b64 s[26:27], s[44:45], 1
	s_mul_i32 s38, s38, s17
	s_mul_hi_i32 s49, s37, s17
	s_mul_i32 s48, s37, s17
	s_lshl_b64 s[36:37], s[38:39], 1
	s_lshl_b64 s[38:39], s[48:49], 1
	s_clause 0x1
	s_load_b32 s15, s[42:43], 0x0
	s_load_b32 s16, s[46:47], 0x0
	s_lshl_b64 s[40:41], s[50:51], 1
	s_waitcnt lgkmcnt(0)
	s_mul_hi_i32 s3, s15, s17
	s_mul_i32 s2, s15, s17
	s_mul_hi_i32 s5, s16, s17
	s_lshl_b64 s[2:3], s[2:3], 1
	s_mul_i32 s4, s16, s17
	s_waitcnt vmcnt(30)
	v_wmma_f32_16x16x16_f16 v[191:198], v[89:96], v[105:112], v[129:136]
	v_add_co_u32 v89, vcc_lo, v216, s6
	v_add_co_ci_u32_e32 v90, vcc_lo, s7, v217, vcc_lo
	v_add_co_u32 v91, vcc_lo, v216, s8
	v_add_co_ci_u32_e32 v92, vcc_lo, s9, v217, vcc_lo
	;; [unrolled: 2-line block ×5, first 2 shown]
	v_add_co_u32 v205, vcc_lo, v216, s20
	s_waitcnt vmcnt(28)
	v_wmma_f32_16x16x16_f16 v[129:136], v[97:104], v[105:112], v[129:136]
	v_add_co_ci_u32_e32 v206, vcc_lo, s21, v217, vcc_lo
	v_add_co_u32 v207, vcc_lo, v216, s22
	v_add_co_ci_u32_e32 v208, vcc_lo, s23, v217, vcc_lo
	v_add_co_u32 v209, vcc_lo, v216, s24
	s_waitcnt vmcnt(26)
	v_wmma_f32_16x16x16_f16 v[191:198], v[81:88], v[113:120], v[191:198]
	s_waitcnt vmcnt(24)
	v_wmma_f32_16x16x16_f16 v[129:136], v[73:80], v[113:120], v[129:136]
	v_add_co_ci_u32_e32 v210, vcc_lo, s25, v217, vcc_lo
	v_add_co_u32 v211, vcc_lo, v216, s26
	v_add_co_ci_u32_e32 v212, vcc_lo, s27, v217, vcc_lo
	v_add_co_u32 v213, vcc_lo, v216, s36
	s_waitcnt vmcnt(22)
	v_wmma_f32_16x16x16_f16 v[191:198], v[65:72], v[143:150], v[191:198]
	s_waitcnt vmcnt(20)
	v_wmma_f32_16x16x16_f16 v[129:136], v[57:64], v[143:150], v[129:136]
	v_add_co_ci_u32_e32 v214, vcc_lo, s37, v217, vcc_lo
	v_add_co_u32 v143, vcc_lo, v216, s38
	s_waitcnt vmcnt(18)
	v_wmma_f32_16x16x16_f16 v[191:198], v[49:56], v[151:158], v[191:198]
	s_waitcnt vmcnt(16)
	v_wmma_f32_16x16x16_f16 v[129:136], v[25:32], v[151:158], v[129:136]
	v_add_co_ci_u32_e32 v144, vcc_lo, s39, v217, vcc_lo
	s_clause 0x15
	global_load_b128 v[121:124], v[125:126], off
	global_load_b128 v[125:128], v[125:126], off offset:16
	global_load_b128 v[113:116], v[199:200], off
	global_load_b128 v[117:120], v[199:200], off offset:16
	;; [unrolled: 2-line block ×11, first 2 shown]
	s_waitcnt vmcnt(36)
	v_wmma_f32_16x16x16_f16 v[191:198], v[1:8], v[159:166], v[191:198]
	s_clause 0x1
	global_load_b128 v[1:4], v[213:214], off
	global_load_b128 v[5:8], v[213:214], off offset:16
	s_waitcnt vmcnt(36)
	v_wmma_f32_16x16x16_f16 v[129:136], v[9:16], v[159:166], v[129:136]
	s_clause 0x1
	global_load_b128 v[9:12], v[143:144], off
	global_load_b128 v[13:16], v[143:144], off offset:16
	ds_load_b128 v[143:146], v215 offset:10240
	ds_load_b128 v[147:150], v215 offset:11264
	;; [unrolled: 1-line block ×4, first 2 shown]
	v_add_co_u32 v199, vcc_lo, v216, s40
	v_add_co_ci_u32_e32 v200, vcc_lo, s41, v217, vcc_lo
	v_add_co_u32 v159, vcc_lo, v216, s2
	v_add_co_ci_u32_e32 v160, vcc_lo, s3, v217, vcc_lo
	s_lshl_b64 s[2:3], s[4:5], 1
	s_delay_alu instid0(SALU_CYCLE_1)
	v_add_co_u32 v161, vcc_lo, v216, s2
	v_add_co_ci_u32_e32 v162, vcc_lo, s3, v217, vcc_lo
	s_waitcnt vmcnt(36) lgkmcnt(2)
	v_wmma_f32_16x16x16_f16 v[191:198], v[33:40], v[143:150], v[191:198]
	s_waitcnt vmcnt(34)
	v_wmma_f32_16x16x16_f16 v[129:136], v[41:48], v[143:150], v[129:136]
	s_clause 0x3
	global_load_b128 v[33:36], v[199:200], off
	global_load_b128 v[37:40], v[199:200], off offset:16
	global_load_b128 v[41:44], v[159:160], off
	global_load_b128 v[45:48], v[159:160], off offset:16
	v_and_b32_e32 v143, 0xe0, v0
	v_mbcnt_lo_u32_b32 v159, -1, 0
	s_waitcnt vmcnt(36) lgkmcnt(0)
	v_wmma_f32_16x16x16_f16 v[191:198], v[17:24], v[151:158], v[191:198]
	s_clause 0x1
	global_load_b128 v[17:20], v[161:162], off
	global_load_b128 v[21:24], v[161:162], off offset:16
	s_waitcnt vmcnt(36)
	v_wmma_f32_16x16x16_f16 v[129:136], v[167:174], v[151:158], v[129:136]
	v_add_nc_u32_e32 v160, s29, v143
	ds_load_b128 v[143:146], v215 offset:14336
	ds_load_b128 v[147:150], v215 offset:15360
	v_xor_b32_e32 v151, 16, v159
	s_waitcnt vmcnt(0) lgkmcnt(0)
	s_barrier
	v_or_b32_e32 v152, v160, v138
	buffer_gl0_inv
	v_cmp_gt_i32_e32 vcc_lo, 32, v151
	v_or_b32_e32 v153, 2, v152
	v_or_b32_e32 v154, 4, v152
	;; [unrolled: 1-line block ×5, first 2 shown]
	v_cmp_gt_i32_e64 s2, s28, v153
	v_cmp_gt_i32_e64 s3, s28, v154
	v_cmp_gt_i32_e64 s4, s28, v155
	v_or_b32_e32 v158, 12, v152
	v_cmp_gt_i32_e64 s5, s28, v156
	v_cmp_gt_i32_e64 s6, s28, v157
	v_wmma_f32_16x16x16_f16 v[191:198], v[175:182], v[143:150], v[191:198]
	v_wmma_f32_16x16x16_f16 v[129:136], v[183:190], v[143:150], v[129:136]
	v_cndmask_b32_e32 v151, v159, v151, vcc_lo
	v_cmp_gt_i32_e32 vcc_lo, s28, v152
	v_or_b32_e32 v159, 14, v152
	v_dual_mul_f32 v149, s30, v192 :: v_dual_mul_f32 v150, s30, v191
	v_dual_mul_f32 v147, s30, v194 :: v_dual_mul_f32 v148, s30, v193
	v_mul_f32_e32 v145, s30, v196
	s_delay_alu instid0(VALU_DEP_3) | instskip(NEXT) | instid1(VALU_DEP_4)
	v_cndmask_b32_e64 v149, 0xff7fffff, v149, s2
	v_cndmask_b32_e32 v150, 0xff7fffff, v150, vcc_lo
	v_mul_f32_e32 v146, s30, v195
	v_cndmask_b32_e64 v148, 0xff7fffff, v148, s3
	v_cndmask_b32_e64 v147, 0xff7fffff, v147, s4
	v_or_b32_e32 v160, 16, v152
	v_max3_f32 v149, v150, 0xff7fffff, v149
	v_or_b32_e32 v161, 18, v152
	v_dual_mul_f32 v143, s30, v198 :: v_dual_mul_f32 v144, s30, v197
	v_cndmask_b32_e64 v146, 0xff7fffff, v146, s5
	v_cndmask_b32_e64 v145, 0xff7fffff, v145, s6
	v_max3_f32 v147, v149, v148, v147
	v_cmp_gt_i32_e64 s7, s28, v158
	v_cmp_gt_i32_e64 s8, s28, v159
	v_or_b32_e32 v162, 20, v152
	v_or_b32_e32 v163, 22, v152
	v_dual_mul_f32 v174, s30, v130 :: v_dual_mul_f32 v175, s30, v129
	v_cndmask_b32_e64 v144, 0xff7fffff, v144, s7
	v_cndmask_b32_e64 v143, 0xff7fffff, v143, s8
	v_max3_f32 v145, v147, v146, v145
	v_cmp_gt_i32_e64 s9, s28, v160
	v_cmp_gt_i32_e64 s10, s28, v161
	v_or_b32_e32 v164, 24, v152
	;; [unrolled: 8-line block ×3, first 2 shown]
	v_or_b32_e32 v167, 30, v152
	v_dual_mul_f32 v170, s30, v134 :: v_dual_mul_f32 v171, s30, v133
	v_cndmask_b32_e64 v144, 0xff7fffff, v173, s11
	v_cndmask_b32_e64 v145, 0xff7fffff, v172, s12
	v_max3_f32 v143, v143, v146, v147
	v_cmp_gt_i32_e64 s13, s28, v164
	v_cmp_gt_i32_e64 s15, s28, v165
	v_dual_mul_f32 v168, s30, v136 :: v_dual_mul_f32 v169, s30, v135
	s_delay_alu instid0(VALU_DEP_4) | instskip(NEXT) | instid1(VALU_DEP_4)
	v_max3_f32 v143, v143, v144, v145
	v_cndmask_b32_e64 v146, 0xff7fffff, v171, s13
	s_delay_alu instid0(VALU_DEP_4) | instskip(SKIP_3) | instid1(VALU_DEP_4)
	v_cndmask_b32_e64 v147, 0xff7fffff, v170, s15
	v_cmp_gt_i32_e64 s16, s28, v166
	v_cmp_gt_i32_e64 s17, s28, v167
	v_lshlrev_b32_e32 v160, 2, v151
	v_max3_f32 v143, v143, v146, v147
	s_delay_alu instid0(VALU_DEP_4) | instskip(NEXT) | instid1(VALU_DEP_4)
	v_cndmask_b32_e64 v144, 0xff7fffff, v169, s16
	v_cndmask_b32_e64 v145, 0xff7fffff, v168, s17
	s_delay_alu instid0(VALU_DEP_1) | instskip(SKIP_3) | instid1(VALU_DEP_1)
	v_max3_f32 v143, v143, v144, v145
	ds_bpermute_b32 v144, v160, v143
	s_waitcnt lgkmcnt(0)
	v_max_f32_e32 v144, v144, v144
	v_max_f32_e32 v159, v143, v144
	s_delay_alu instid0(VALU_DEP_1) | instskip(SKIP_4) | instid1(VALU_DEP_4)
	v_fma_f32 v143, s30, v191, -v159
	v_fma_f32 v144, s30, v192, -v159
	;; [unrolled: 1-line block ×5, first 2 shown]
	v_dual_mul_f32 v143, 0x3fb8aa3b, v143 :: v_dual_mul_f32 v144, 0x3fb8aa3b, v144
	s_delay_alu instid0(VALU_DEP_4) | instskip(SKIP_2) | instid1(VALU_DEP_4)
	v_mul_f32_e32 v132, 0x3fb8aa3b, v132
	v_fma_f32 v134, s30, v134, -v159
	v_mul_f32_e32 v145, 0x3fb8aa3b, v145
	v_exp_f32_e32 v143, v143
	v_exp_f32_e32 v147, v144
	v_fma_f32 v148, s30, v195, -v159
	v_mul_f32_e32 v134, 0x3fb8aa3b, v134
	v_mul_f32_e32 v146, 0x3fb8aa3b, v146
	v_exp_f32_e32 v145, v145
	v_fma_f32 v149, s30, v196, -v159
	v_mul_f32_e32 v148, 0x3fb8aa3b, v148
	v_fma_f32 v151, s30, v197, -v159
	v_exp_f32_e32 v150, v146
	v_cndmask_b32_e32 v144, 0, v143, vcc_lo
	v_cndmask_b32_e64 v143, 0, v147, s2
	v_mul_f32_e32 v149, 0x3fb8aa3b, v149
	v_exp_f32_e32 v148, v148
	v_fma_f32 v152, s30, v198, -v159
	v_add_f32_e32 v147, 0, v144
	v_cndmask_b32_e64 v146, 0, v145, s3
	v_mul_f32_e32 v151, 0x3fb8aa3b, v151
	v_exp_f32_e32 v149, v149
	v_cndmask_b32_e64 v145, 0, v150, s4
	v_add_f32_e32 v147, v147, v143
	v_fma_f32 v129, s30, v129, -v159
	v_mul_f32_e32 v150, 0x3fb8aa3b, v152
	v_exp_f32_e32 v151, v151
	v_cndmask_b32_e64 v148, 0, v148, s5
	v_add_f32_e32 v147, v147, v146
	v_fma_f32 v130, s30, v130, -v159
	v_mul_f32_e32 v129, 0x3fb8aa3b, v129
	v_exp_f32_e32 v153, v150
	v_fma_f32 v131, s30, v131, -v159
	v_add_f32_e32 v152, v147, v145
	v_cndmask_b32_e64 v147, 0, v149, s6
	v_mul_f32_e32 v130, 0x3fb8aa3b, v130
	v_exp_f32_e32 v129, v129
	v_cndmask_b32_e64 v150, 0, v151, s7
	v_add_f32_e32 v149, v152, v148
	v_mul_f32_e32 v131, 0x3fb8aa3b, v131
	v_exp_f32_e32 v130, v130
	v_fma_f32 v133, s30, v133, -v159
	v_exp_f32_e32 v132, v132
	v_add_f32_e32 v151, v149, v147
	v_cndmask_b32_e64 v149, 0, v153, s8
	v_exp_f32_e32 v131, v131
	v_cndmask_b32_e64 v152, 0, v129, s9
	v_mul_f32_e32 v133, 0x3fb8aa3b, v133
	v_add_f32_e32 v151, v151, v150
	v_cmp_gt_u32_e64 s2, 16, v142
	s_delay_alu instid0(VALU_DEP_3) | instskip(NEXT) | instid1(VALU_DEP_2)
	v_exp_f32_e32 v133, v133
	v_add_f32_e32 v129, v151, v149
	v_cndmask_b32_e64 v151, 0, v130, s10
	v_fma_f32 v130, s30, v135, -v159
	s_delay_alu instid0(TRANS32_DEP_2)
	v_cndmask_b32_e64 v154, 0, v131, s11
	v_exp_f32_e32 v131, v134
	v_add_f32_e32 v129, v129, v152
	v_cndmask_b32_e64 v153, 0, v132, s12
	v_mul_f32_e32 v130, 0x3fb8aa3b, v130
	v_fma_f32 v132, s30, v136, -v159
	v_cndmask_b32_e64 v156, 0, v133, s13
	v_add_f32_e32 v129, v129, v151
	s_delay_alu instid0(VALU_DEP_4) | instskip(NEXT) | instid1(VALU_DEP_3)
	v_exp_f32_e32 v130, v130
	v_mul_f32_e32 v132, 0x3fb8aa3b, v132
	s_delay_alu instid0(TRANS32_DEP_2) | instskip(NEXT) | instid1(VALU_DEP_3)
	v_cndmask_b32_e64 v155, 0, v131, s15
	v_add_f32_e32 v129, v129, v154
	s_delay_alu instid0(VALU_DEP_3) | instskip(NEXT) | instid1(VALU_DEP_1)
	v_exp_f32_e32 v131, v132
	v_add_f32_e32 v129, v129, v153
	s_waitcnt_depctr 0xfff
	v_cndmask_b32_e64 v158, 0, v130, s16
	v_add_f32_e32 v129, v129, v156
	v_cndmask_b32_e64 v157, 0, v131, s17
	s_delay_alu instid0(VALU_DEP_2) | instskip(NEXT) | instid1(VALU_DEP_1)
	v_add_f32_e32 v129, v129, v155
	v_add_f32_e32 v129, v129, v158
	s_delay_alu instid0(VALU_DEP_1)
	v_add_f32_e32 v129, v129, v157
	ds_bpermute_b32 v130, v160, v129
	s_and_saveexec_b32 s3, s2
	s_cbranch_execz .LBB298_12
; %bb.11:
	v_mul_u32_u24_e32 v131, 0x44, v141
	s_delay_alu instid0(VALU_DEP_1) | instskip(SKIP_1) | instid1(VALU_DEP_1)
	v_lshl_add_u32 v131, v140, 2, v131
	s_waitcnt lgkmcnt(0)
	v_dual_add_f32 v129, v129, v130 :: v_dual_add_nc_u32 v130, 0x4000, v131
	ds_store_2addr_b32 v130, v159, v129 offset1:136
.LBB298_12:
	s_or_b32 exec_lo, exec_lo, s3
	v_lshlrev_b32_e32 v129, 2, v140
	s_load_b32 s35, s[0:1], 0x94
	s_waitcnt lgkmcnt(0)
	s_barrier
	buffer_gl0_inv
	v_add_nc_u32_e32 v135, 0x4000, v129
	v_cmp_eq_u32_e32 vcc_lo, 1, v141
	v_cmp_eq_u32_e64 s3, 2, v141
	v_cmp_eq_u32_e64 s4, 3, v141
	;; [unrolled: 1-line block ×3, first 2 shown]
	ds_load_2addr_b32 v[129:130], v135 offset1:17
	ds_load_2addr_b32 v[131:132], v135 offset0:34 offset1:51
	ds_load_2addr_b32 v[133:134], v135 offset0:68 offset1:85
	ds_load_2addr_b32 v[159:160], v135 offset0:102 offset1:119
	v_cmp_eq_u32_e64 s6, 5, v141
	v_cmp_eq_u32_e64 s7, 7, v141
	s_waitcnt lgkmcnt(3)
	v_max3_f32 v136, v129, 0xff7fffff, v130
	s_waitcnt lgkmcnt(2)
	s_delay_alu instid0(VALU_DEP_1) | instskip(SKIP_1) | instid1(VALU_DEP_1)
	v_max3_f32 v136, v136, v131, v132
	s_waitcnt lgkmcnt(1)
	v_max3_f32 v136, v136, v133, v134
	s_waitcnt lgkmcnt(0)
	s_delay_alu instid0(VALU_DEP_1) | instskip(NEXT) | instid1(VALU_DEP_1)
	v_max3_f32 v136, v136, v159, v160
	v_sub_f32_e32 v142, v130, v136
	ds_load_2addr_b32 v[161:162], v135 offset0:136 offset1:153
	v_sub_f32_e32 v164, v132, v136
	v_mul_f32_e32 v142, 0x3fb8aa3b, v142
	s_delay_alu instid0(VALU_DEP_2) | instskip(NEXT) | instid1(VALU_DEP_2)
	v_mul_f32_e32 v164, 0x3fb8aa3b, v164
	v_exp_f32_e32 v166, v142
	v_sub_f32_e32 v129, v129, v136
	s_delay_alu instid0(VALU_DEP_2) | instskip(NEXT) | instid1(VALU_DEP_1)
	v_exp_f32_e32 v164, v164
	v_mul_f32_e32 v163, 0x3fb8aa3b, v129
	ds_load_2addr_b32 v[129:130], v135 offset0:170 offset1:187
	v_exp_f32_e32 v163, v163
	s_waitcnt lgkmcnt(1)
	s_waitcnt_depctr 0xfff
	v_fma_f32 v142, v163, v161, 0
	v_sub_f32_e32 v161, v134, v136
	s_delay_alu instid0(VALU_DEP_2) | instskip(NEXT) | instid1(VALU_DEP_1)
	v_dual_fmac_f32 v142, v166, v162 :: v_dual_sub_f32 v131, v131, v136
	v_mul_f32_e32 v165, 0x3fb8aa3b, v131
	ds_load_2addr_b32 v[131:132], v135 offset0:204 offset1:221
	v_exp_f32_e32 v165, v165
	s_waitcnt lgkmcnt(1)
	s_waitcnt_depctr 0xfff
	v_fmac_f32_e32 v142, v165, v129
	v_sub_f32_e32 v133, v133, v136
	v_sub_f32_e32 v129, v160, v136
	s_delay_alu instid0(VALU_DEP_2) | instskip(NEXT) | instid1(VALU_DEP_2)
	v_dual_fmac_f32 v142, v164, v130 :: v_dual_mul_f32 v167, 0x3fb8aa3b, v133
	v_mul_f32_e32 v129, 0x3fb8aa3b, v129
	ds_load_2addr_b32 v[133:134], v135 offset0:238 offset1:255
	v_cndmask_b32_e32 v130, v163, v166, vcc_lo
	s_waitcnt lgkmcnt(0)
	s_barrier
	v_exp_f32_e32 v162, v129
	v_sub_f32_e32 v135, v159, v136
	v_mul_f32_e32 v159, 0x3fb8aa3b, v161
	v_exp_f32_e32 v161, v167
	buffer_gl0_inv
	v_exp_f32_e32 v159, v159
	v_fmac_f32_e32 v142, v161, v131
	s_waitcnt_depctr 0xfff
	v_dual_mul_f32 v135, 0x3fb8aa3b, v135 :: v_dual_fmac_f32 v142, v159, v132
	s_delay_alu instid0(VALU_DEP_1) | instskip(SKIP_2) | instid1(VALU_DEP_1)
	v_exp_f32_e32 v160, v135
	s_waitcnt_depctr 0xfff
	v_dual_fmac_f32 v142, v160, v133 :: v_dual_lshlrev_b32 v133, 6, v140
	v_fmac_f32_e32 v142, v162, v134
	s_delay_alu instid0(VALU_DEP_2) | instskip(NEXT) | instid1(VALU_DEP_2)
	v_lshl_or_b32 v135, v141, 11, v133
	v_add_f32_e32 v134, 0x358637bd, v142
	s_delay_alu instid0(VALU_DEP_1) | instskip(SKIP_1) | instid1(VALU_DEP_2)
	v_div_scale_f32 v167, null, v134, v134, 1.0
	v_div_scale_f32 v163, vcc_lo, 1.0, v134, 1.0
	v_rcp_f32_e32 v168, v167
	s_waitcnt_depctr 0xfff
	v_fma_f32 v129, -v167, v168, 1.0
	s_delay_alu instid0(VALU_DEP_1) | instskip(SKIP_2) | instid1(VALU_DEP_2)
	v_fmac_f32_e32 v168, v129, v168
	v_cndmask_b32_e64 v129, v130, v165, s3
	v_cmp_eq_u32_e64 s3, 6, v141
	v_cndmask_b32_e64 v130, v129, v164, s4
	v_lshlrev_b32_e32 v129, 2, v138
	v_mul_f32_e32 v165, v163, v168
	s_delay_alu instid0(VALU_DEP_3) | instskip(NEXT) | instid1(VALU_DEP_3)
	v_cndmask_b32_e64 v161, v130, v161, s5
	v_or_b32_e32 v130, 1, v129
	s_delay_alu instid0(VALU_DEP_3)
	v_fma_f32 v131, -v167, v165, v163
	v_or_b32_e32 v132, 2, v129
	v_cmp_eq_u32_e64 s4, 1, v129
	v_cndmask_b32_e64 v141, v161, v159, s6
	v_cmp_eq_u32_e64 s9, 1, v130
	v_fmac_f32_e32 v165, v131, v168
	v_or_b32_e32 v131, 3, v129
	v_cmp_eq_u32_e64 s10, 1, v132
	v_cndmask_b32_e64 v141, v141, v160, s3
	v_cmp_eq_u32_e64 s5, 2, v129
	v_fma_f32 v159, -v167, v165, v163
	v_cmp_eq_u32_e64 s11, 1, v131
	v_cmp_eq_u32_e64 s16, 2, v131
	v_cndmask_b32_e64 v141, v141, v162, s7
	v_cmp_eq_u32_e64 s12, 2, v130
	v_div_fmas_f32 v159, v159, v168, v165
	v_cmp_eq_u32_e64 s18, 3, v131
	v_cmp_eq_u32_e32 vcc_lo, 3, v129
	v_cmp_eq_u32_e64 s13, 3, v130
	v_cmp_eq_u32_e64 s15, 2, v132
	v_div_fixup_f32 v159, v159, v134, 1.0
	v_lshl_or_b32 v134, v138, 4, v135
	v_cmp_eq_u32_e64 s22, 4, v131
	v_cmp_eq_u32_e64 s3, 4, v129
	;; [unrolled: 1-line block ×3, first 2 shown]
	v_mul_f32_e32 v141, v141, v159
	v_cmp_eq_u32_e64 s19, 4, v130
	v_cmp_eq_u32_e64 s24, 5, v131
	;; [unrolled: 1-line block ×4, first 2 shown]
	v_fma_mixlo_f16 v159, v141, v144, 0
	v_fma_mixlo_f16 v160, v141, v146, 0
	;; [unrolled: 1-line block ×8, first 2 shown]
	v_fma_mixhi_f16 v159, v141, v143, 0
	v_fma_mixhi_f16 v160, v141, v145, 0
	v_fma_mixhi_f16 v161, v141, v147, 0
	v_fma_mixhi_f16 v162, v141, v149, 0
	v_fma_mixhi_f16 v163, v141, v151, 0
	v_fma_mixhi_f16 v164, v141, v153, 0
	v_fma_mixhi_f16 v165, v141, v155, 0
	v_fma_mixhi_f16 v166, v141, v157, 0
	ds_store_b128 v134, v[159:162]
	ds_store_b128 v134, v[163:166] offset:1024
	s_waitcnt lgkmcnt(0)
	s_barrier
	buffer_gl0_inv
	ds_load_b128 v[143:146], v135
	ds_load_b128 v[147:150], v135 offset:16
	ds_load_b128 v[151:154], v135 offset:1024
	ds_load_b128 v[155:158], v135 offset:1040
	v_cmp_eq_u32_e64 s21, 4, v132
	v_cmp_eq_u32_e64 s27, 6, v131
	;; [unrolled: 1-line block ×10, first 2 shown]
	s_waitcnt lgkmcnt(3)
	v_lshrrev_b32_e32 v141, 16, v143
	s_waitcnt lgkmcnt(2)
	v_lshrrev_b32_e32 v162, 16, v147
	v_lshrrev_b32_e32 v159, 16, v144
	;; [unrolled: 1-line block ×3, first 2 shown]
	s_waitcnt lgkmcnt(1)
	v_lshrrev_b32_e32 v166, 16, v151
	v_cndmask_b32_e64 v174, v143, v141, s4
	v_cndmask_b32_e64 v176, v143, v141, s9
	;; [unrolled: 1-line block ×5, first 2 shown]
	s_waitcnt lgkmcnt(0)
	v_lshrrev_b32_e32 v170, 16, v155
	v_cndmask_b32_e64 v175, v147, v162, s4
	v_cndmask_b32_e64 v177, v147, v162, s9
	;; [unrolled: 1-line block ×19, first 2 shown]
	v_lshrrev_b32_e32 v160, 16, v145
	v_lshrrev_b32_e32 v164, 16, v149
	;; [unrolled: 1-line block ×4, first 2 shown]
	v_cndmask_b32_e64 v176, v178, v144, s15
	v_cndmask_b32_e64 v177, v179, v148, s15
	v_cndmask_b32_e64 v144, v147, v152, s5
	v_cndmask_b32_e64 v147, v162, v156, s5
	v_cndmask_b32_e64 v148, v180, v152, s12
	v_cndmask_b32_e64 v162, v182, v152, s15
	v_cndmask_b32_e64 v151, v151, v152, s16
	v_cndmask_b32_e64 v152, v155, v156, s16
	v_cndmask_b32_e32 v155, v166, v159, vcc_lo
	v_cndmask_b32_e32 v166, v170, v163, vcc_lo
	v_cndmask_b32_e64 v170, v174, v159, s13
	v_cndmask_b32_e64 v174, v175, v163, s13
	;; [unrolled: 1-line block ×6, first 2 shown]
	v_cndmask_b32_e32 v144, v144, v167, vcc_lo
	v_cndmask_b32_e32 v147, v147, v171, vcc_lo
	v_cndmask_b32_e64 v148, v148, v167, s13
	v_cndmask_b32_e64 v155, v155, v145, s3
	;; [unrolled: 1-line block ×7, first 2 shown]
	v_lshrrev_b32_e32 v161, 16, v146
	v_lshrrev_b32_e32 v165, 16, v150
	;; [unrolled: 1-line block ×4, first 2 shown]
	v_cndmask_b32_e64 v170, v175, v145, s21
	v_cndmask_b32_e64 v174, v176, v149, s21
	;; [unrolled: 1-line block ×22, first 2 shown]
	v_lshrrev_b32_e32 v169, 16, v154
	v_cndmask_b32_e64 v160, v163, v146, s26
	v_cndmask_b32_e64 v163, v166, v150, s26
	;; [unrolled: 1-line block ×9, first 2 shown]
	v_perm_b32 v146, v143, v141, 0x5040100
	v_cndmask_b32_e64 v141, v183, v156, s15
	v_cndmask_b32_e64 v143, v181, v156, s12
	;; [unrolled: 1-line block ×4, first 2 shown]
	v_perm_b32 v144, v159, v149, 0x5040100
	v_cndmask_b32_e64 v149, v162, v167, s17
	v_cndmask_b32_e64 v151, v151, v167, s18
	;; [unrolled: 1-line block ×15, first 2 shown]
	v_lshrrev_b32_e32 v173, 16, v158
	v_cndmask_b32_e64 v149, v149, v154, s26
	v_cndmask_b32_e64 v151, v151, v154, s27
	;; [unrolled: 1-line block ×13, first 2 shown]
	v_perm_b32 v145, v160, v155, 0x5040100
	v_perm_b32 v143, v148, v147, 0x5040100
	;; [unrolled: 1-line block ×6, first 2 shown]
	s_mul_i32 s7, s33, 13
	s_mov_b32 s3, exec_lo
	ds_store_b128 v134, v[143:146]
	ds_store_b128 v134, v[147:150] offset:1024
	v_cmpx_gt_u32_e32 13, v0
	s_cbranch_execz .LBB298_14
; %bb.13:
	s_mul_i32 s4, s7, s34
	s_load_b128 s[8:11], s[0:1], 0x58
	v_add3_u32 v143, s4, s31, v140
	s_delay_alu instid0(VALU_DEP_1) | instskip(NEXT) | instid1(VALU_DEP_1)
	v_mad_u64_u32 v[140:141], null, v143, s35, s[14:15]
	v_ashrrev_i32_e32 v141, 31, v140
	s_delay_alu instid0(VALU_DEP_1) | instskip(SKIP_1) | instid1(VALU_DEP_1)
	v_lshlrev_b64 v[140:141], 2, v[140:141]
	s_waitcnt lgkmcnt(0)
	v_add_co_u32 v143, vcc_lo, s10, v140
	s_delay_alu instid0(VALU_DEP_2)
	v_add_co_ci_u32_e32 v144, vcc_lo, s11, v141, vcc_lo
	v_add_co_u32 v140, vcc_lo, s8, v140
	v_add_co_ci_u32_e32 v141, vcc_lo, s9, v141, vcc_lo
	global_store_b32 v[143:144], v136, off
	global_store_b32 v[140:141], v142, off
.LBB298_14:
	s_or_b32 exec_lo, exec_lo, s3
	s_waitcnt lgkmcnt(0)
	s_waitcnt_vscnt null, 0x0
	s_barrier
	buffer_gl0_inv
	ds_load_b128 v[148:151], v133
	ds_load_b128 v[152:155], v133 offset:16
	ds_load_b128 v[160:163], v133 offset:1040
	;; [unrolled: 1-line block ×5, first 2 shown]
	v_cmp_eq_u32_e32 vcc_lo, 1, v132
	v_mov_b32_e32 v140, 0
	ds_load_b128 v[176:179], v133 offset:3088
	ds_load_b128 v[172:175], v133 offset:3072
	;; [unrolled: 1-line block ×4, first 2 shown]
	v_cmp_eq_u32_e64 s3, 1, v129
	v_cmp_eq_u32_e64 s4, 1, v131
	;; [unrolled: 1-line block ×3, first 2 shown]
	v_mov_b32_e32 v141, v140
	v_mov_b32_e32 v142, v140
	;; [unrolled: 1-line block ×7, first 2 shown]
	v_cmp_eq_u32_e64 s6, 2, v129
	s_waitcnt lgkmcnt(8)
	s_delay_alu instid0(VALU_DEP_2)
	v_wmma_f32_16x16x16_f16 v[140:147], v[121:128], v[148:155], v[140:147]
	ds_load_b128 v[125:128], v133 offset:5136
	ds_load_b128 v[121:124], v133 offset:5120
	s_waitcnt lgkmcnt(8)
	v_wmma_f32_16x16x16_f16 v[140:147], v[113:120], v[156:163], v[140:147]
	ds_load_b128 v[117:120], v133 offset:6160
	ds_load_b128 v[113:116], v133 offset:6144
	s_waitcnt lgkmcnt(8)
	v_wmma_f32_16x16x16_f16 v[140:147], v[105:112], v[164:171], v[140:147]
	ds_load_b128 v[109:112], v133 offset:7184
	ds_load_b128 v[105:108], v133 offset:7168
	s_waitcnt lgkmcnt(8)
	v_wmma_f32_16x16x16_f16 v[140:147], v[97:104], v[172:179], v[140:147]
	ds_load_b128 v[101:104], v133 offset:8208
	ds_load_b128 v[97:100], v133 offset:8192
	s_waitcnt lgkmcnt(8)
	v_wmma_f32_16x16x16_f16 v[140:147], v[89:96], v[180:187], v[140:147]
	ds_load_b128 v[93:96], v133 offset:9232
	ds_load_b128 v[89:92], v133 offset:9216
	s_waitcnt lgkmcnt(8)
	v_wmma_f32_16x16x16_f16 v[140:147], v[81:88], v[121:128], v[140:147]
	ds_load_b128 v[85:88], v133 offset:10256
	ds_load_b128 v[81:84], v133 offset:10240
	s_waitcnt lgkmcnt(8)
	v_wmma_f32_16x16x16_f16 v[140:147], v[73:80], v[113:120], v[140:147]
	ds_load_b128 v[77:80], v133 offset:11280
	ds_load_b128 v[73:76], v133 offset:11264
	s_waitcnt lgkmcnt(8)
	v_wmma_f32_16x16x16_f16 v[140:147], v[65:72], v[105:112], v[140:147]
	ds_load_b128 v[69:72], v133 offset:12304
	ds_load_b128 v[65:68], v133 offset:12288
	s_waitcnt lgkmcnt(8)
	v_wmma_f32_16x16x16_f16 v[140:147], v[57:64], v[97:104], v[140:147]
	ds_load_b128 v[61:64], v133 offset:13328
	ds_load_b128 v[57:60], v133 offset:13312
	s_waitcnt lgkmcnt(8)
	v_wmma_f32_16x16x16_f16 v[140:147], v[49:56], v[89:96], v[140:147]
	ds_load_b128 v[53:56], v133 offset:14352
	ds_load_b128 v[49:52], v133 offset:14336
	s_waitcnt lgkmcnt(8)
	v_wmma_f32_16x16x16_f16 v[140:147], v[25:32], v[81:88], v[140:147]
	ds_load_b128 v[29:32], v133 offset:15376
	ds_load_b128 v[25:28], v133 offset:15360
	s_waitcnt lgkmcnt(0)
	s_barrier
	buffer_gl0_inv
	v_wmma_f32_16x16x16_f16 v[140:147], v[1:8], v[73:80], v[140:147]
	s_delay_alu instid0(VALU_DEP_1) | instskip(NEXT) | instid1(VALU_DEP_1)
	v_wmma_f32_16x16x16_f16 v[140:147], v[9:16], v[65:72], v[140:147]
	v_wmma_f32_16x16x16_f16 v[140:147], v[33:40], v[57:64], v[140:147]
	s_delay_alu instid0(VALU_DEP_1) | instskip(NEXT) | instid1(VALU_DEP_1)
	v_wmma_f32_16x16x16_f16 v[140:147], v[41:48], v[49:56], v[140:147]
	v_wmma_f32_16x16x16_f16 v[140:147], v[17:24], v[25:32], v[140:147]
	s_delay_alu instid0(VALU_DEP_1) | instskip(NEXT) | instid1(VALU_DEP_2)
	v_cvt_f16_f32_e64 v1, v140
	v_cvt_f16_f32_e64 v2, v141
	s_delay_alu instid0(VALU_DEP_3) | instskip(NEXT) | instid1(VALU_DEP_4)
	v_cvt_f16_f32_e64 v3, v142
	v_cvt_f16_f32_e64 v4, v143
	;; [unrolled: 1-line block ×6, first 2 shown]
	v_pack_b32_f16 v1, v1, v2
	v_pack_b32_f16 v2, v3, v4
	;; [unrolled: 1-line block ×3, first 2 shown]
	s_delay_alu instid0(VALU_DEP_4)
	v_pack_b32_f16 v4, v7, v8
	ds_store_b128 v134, v[1:4]
	s_waitcnt lgkmcnt(0)
	s_barrier
	buffer_gl0_inv
	ds_load_b128 v[1:4], v135
	ds_load_b128 v[5:8], v135 offset:16
	s_waitcnt lgkmcnt(1)
	v_lshrrev_b32_e32 v9, 16, v1
	s_waitcnt lgkmcnt(0)
	v_lshrrev_b32_e32 v13, 16, v5
	v_lshrrev_b32_e32 v10, 16, v2
	;; [unrolled: 1-line block ×4, first 2 shown]
	v_cndmask_b32_e64 v17, v1, v9, s3
	v_cndmask_b32_e64 v18, v5, v13, s3
	;; [unrolled: 1-line block ×3, first 2 shown]
	v_cmp_eq_u32_e64 s3, 2, v130
	v_cndmask_b32_e64 v20, v5, v13, s5
	v_cndmask_b32_e32 v21, v1, v9, vcc_lo
	v_cndmask_b32_e32 v22, v5, v13, vcc_lo
	v_cndmask_b32_e64 v1, v1, v9, s4
	v_cndmask_b32_e64 v5, v5, v13, s4
	v_cmp_eq_u32_e32 vcc_lo, 2, v132
	v_cmp_eq_u32_e64 s4, 2, v131
	v_cndmask_b32_e64 v9, v17, v2, s6
	v_cndmask_b32_e64 v13, v18, v6, s6
	;; [unrolled: 1-line block ×4, first 2 shown]
	v_cndmask_b32_e32 v19, v21, v2, vcc_lo
	v_cmp_eq_u32_e64 s3, 3, v132
	v_cndmask_b32_e32 v20, v22, v6, vcc_lo
	v_cndmask_b32_e64 v1, v1, v2, s4
	v_cmp_eq_u32_e32 vcc_lo, 3, v131
	v_cmp_eq_u32_e64 s5, 3, v129
	v_cndmask_b32_e64 v2, v5, v6, s4
	v_cmp_eq_u32_e64 s4, 3, v130
	v_cmp_eq_u32_e64 s6, 4, v129
	v_cndmask_b32_e32 v1, v1, v10, vcc_lo
	v_cndmask_b32_e64 v5, v9, v10, s5
	v_cndmask_b32_e64 v6, v13, v14, s5
	;; [unrolled: 1-line block ×3, first 2 shown]
	v_cmp_eq_u32_e64 s5, 4, v130
	v_cndmask_b32_e64 v13, v18, v14, s4
	v_cndmask_b32_e64 v17, v19, v10, s3
	;; [unrolled: 1-line block ×3, first 2 shown]
	v_cndmask_b32_e32 v2, v2, v14, vcc_lo
	v_cmp_eq_u32_e32 vcc_lo, 4, v132
	v_cmp_eq_u32_e64 s4, 4, v131
	v_lshrrev_b32_e32 v15, 16, v7
	v_cndmask_b32_e64 v5, v5, v3, s6
	v_cndmask_b32_e64 v6, v6, v7, s6
	v_cndmask_b32_e32 v14, v18, v7, vcc_lo
	v_cndmask_b32_e64 v9, v9, v3, s5
	v_cndmask_b32_e64 v10, v13, v7, s5
	v_cndmask_b32_e32 v13, v17, v3, vcc_lo
	v_cmp_eq_u32_e64 s3, 5, v132
	v_cndmask_b32_e64 v1, v1, v3, s4
	v_cmp_eq_u32_e32 vcc_lo, 5, v131
	v_cmp_eq_u32_e64 s5, 5, v129
	v_cndmask_b32_e64 v2, v2, v7, s4
	v_cmp_eq_u32_e64 s4, 5, v130
	v_cmp_eq_u32_e64 s6, 6, v129
	v_lshrrev_b32_e32 v12, 16, v4
	v_cndmask_b32_e64 v3, v5, v11, s5
	v_cndmask_b32_e64 v5, v6, v15, s5
	;; [unrolled: 1-line block ×3, first 2 shown]
	v_cmp_eq_u32_e64 s5, 6, v130
	v_cndmask_b32_e64 v7, v10, v15, s4
	v_cndmask_b32_e64 v9, v13, v11, s3
	;; [unrolled: 1-line block ×3, first 2 shown]
	v_cndmask_b32_e32 v1, v1, v11, vcc_lo
	v_cndmask_b32_e32 v2, v2, v15, vcc_lo
	v_cmp_eq_u32_e32 vcc_lo, 6, v132
	v_cmp_eq_u32_e64 s3, 6, v131
	v_lshrrev_b32_e32 v16, 16, v8
	v_cndmask_b32_e64 v3, v3, v4, s6
	v_cndmask_b32_e64 v5, v5, v8, s6
	v_cndmask_b32_e32 v9, v9, v4, vcc_lo
	v_cndmask_b32_e64 v6, v6, v4, s5
	v_cndmask_b32_e64 v7, v7, v8, s5
	v_cmp_eq_u32_e64 s4, 7, v132
	v_cndmask_b32_e32 v10, v10, v8, vcc_lo
	v_cndmask_b32_e64 v1, v1, v4, s3
	v_cmp_eq_u32_e32 vcc_lo, 7, v131
	v_cndmask_b32_e64 v2, v2, v8, s3
	v_cmp_eq_u32_e64 s3, 7, v129
	v_cmp_eq_u32_e64 s5, 7, v130
	v_cndmask_b32_e32 v1, v1, v12, vcc_lo
	s_delay_alu instid0(VALU_DEP_4) | instskip(NEXT) | instid1(VALU_DEP_4)
	v_cndmask_b32_e32 v2, v2, v16, vcc_lo
	v_cndmask_b32_e64 v8, v3, v12, s3
	s_delay_alu instid0(VALU_DEP_4)
	v_cndmask_b32_e64 v6, v6, v12, s5
	v_cndmask_b32_e64 v3, v9, v12, s4
	;; [unrolled: 1-line block ×5, first 2 shown]
	v_perm_b32 v4, v2, v1, 0x5040100
	s_mov_b32 s3, exec_lo
	v_perm_b32 v3, v9, v3, 0x5040100
	v_perm_b32 v2, v7, v6, 0x5040100
	v_perm_b32 v1, v5, v8, 0x5040100
	ds_store_b128 v134, v[1:4]
	s_waitcnt lgkmcnt(0)
	s_barrier
	buffer_gl0_inv
	v_cmpx_gt_u32_e32 32, v0
	s_cbranch_execz .LBB298_2
; %bb.15:
	s_load_b64 s[4:5], s[0:1], 0x68
	v_lshlrev_b32_e32 v0, 10, v0
	v_lshlrev_b32_e32 v1, 4, v139
	s_lshl_b32 s0, s35, 7
	v_add_nc_u32_e32 v18, s31, v138
	s_mul_i32 s1, s0, s34
	s_delay_alu instid0(VALU_DEP_2) | instskip(SKIP_1) | instid1(VALU_DEP_2)
	v_and_or_b32 v0, 0x3800, v0, v1
	s_mul_i32 s6, s1, s7
	v_mul_lo_u32 v1, v18, s0
	s_ashr_i32 s7, s6, 31
	v_add_nc_u32_e32 v2, 2, v18
	v_lshl_or_b32 v19, v138, 6, v0
	s_lshl_b64 s[6:7], s[6:7], 1
	v_add_nc_u32_e32 v8, 4, v18
	v_add_nc_u32_e32 v15, 6, v18
	v_mul_lo_u32 v7, v2, s0
	ds_load_b128 v[3:6], v19
	v_ashrrev_i32_e32 v2, 31, v1
	v_mul_lo_u32 v11, v8, s0
	s_waitcnt lgkmcnt(0)
	s_add_u32 s1, s4, s6
	s_addc_u32 s3, s5, s7
	s_lshl_b32 s4, s14, 7
	v_lshlrev_b64 v[9:10], 1, v[1:2]
	s_ashr_i32 s5, s4, 31
	v_ashrrev_i32_e32 v8, 31, v7
	s_lshl_b64 s[4:5], s[4:5], 1
	v_ashrrev_i32_e32 v12, 31, v11
	s_add_u32 s1, s1, s4
	s_addc_u32 s3, s3, s5
	v_add_co_u32 v1, s1, s1, v137
	s_delay_alu instid0(VALU_DEP_1) | instskip(SKIP_1) | instid1(VALU_DEP_3)
	v_add_co_ci_u32_e64 v2, null, s3, 0, s1
	v_mul_lo_u32 v15, v15, s0
	v_add_co_u32 v13, vcc_lo, v1, v9
	s_delay_alu instid0(VALU_DEP_3)
	v_add_co_ci_u32_e32 v14, vcc_lo, v2, v10, vcc_lo
	v_lshlrev_b64 v[16:17], 1, v[7:8]
	ds_load_b128 v[7:10], v19 offset:128
	global_store_b128 v[13:14], v[3:6], off
	v_add_nc_u32_e32 v5, 8, v18
	v_lshlrev_b64 v[3:4], 1, v[11:12]
	v_add_co_u32 v23, vcc_lo, v1, v16
	v_ashrrev_i32_e32 v16, 31, v15
	s_delay_alu instid0(VALU_DEP_4) | instskip(SKIP_3) | instid1(VALU_DEP_3)
	v_mul_lo_u32 v25, v5, s0
	v_add_nc_u32_e32 v5, 10, v18
	v_add_co_ci_u32_e32 v24, vcc_lo, v2, v17, vcc_lo
	v_add_co_u32 v27, vcc_lo, v1, v3
	v_mul_lo_u32 v29, v5, s0
	v_add_co_ci_u32_e32 v28, vcc_lo, v2, v4, vcc_lo
	v_lshlrev_b64 v[31:32], 1, v[15:16]
	ds_load_b128 v[3:6], v19 offset:256
	ds_load_b128 v[11:14], v19 offset:384
	;; [unrolled: 1-line block ×4, first 2 shown]
	v_ashrrev_i32_e32 v26, 31, v25
	v_ashrrev_i32_e32 v30, 31, v29
	v_add_co_u32 v31, vcc_lo, v1, v31
	s_delay_alu instid0(VALU_DEP_3) | instskip(SKIP_1) | instid1(VALU_DEP_4)
	v_lshlrev_b64 v[25:26], 1, v[25:26]
	v_add_co_ci_u32_e32 v32, vcc_lo, v2, v32, vcc_lo
	v_lshlrev_b64 v[29:30], 1, v[29:30]
	s_delay_alu instid0(VALU_DEP_3) | instskip(NEXT) | instid1(VALU_DEP_4)
	v_add_co_u32 v25, vcc_lo, v1, v25
	v_add_co_ci_u32_e32 v26, vcc_lo, v2, v26, vcc_lo
	s_delay_alu instid0(VALU_DEP_3) | instskip(NEXT) | instid1(VALU_DEP_4)
	v_add_co_u32 v29, vcc_lo, v1, v29
	v_add_co_ci_u32_e32 v30, vcc_lo, v2, v30, vcc_lo
	s_waitcnt lgkmcnt(4)
	global_store_b128 v[23:24], v[7:10], off
	s_waitcnt lgkmcnt(3)
	global_store_b128 v[27:28], v[3:6], off
	;; [unrolled: 2-line block ×5, first 2 shown]
	s_and_b32 exec_lo, exec_lo, s2
	s_cbranch_execz .LBB298_2
; %bb.16:
	ds_load_b128 v[3:6], v0 offset:768
	s_add_i32 s1, s31, 12
	s_delay_alu instid0(SALU_CYCLE_1) | instskip(NEXT) | instid1(SALU_CYCLE_1)
	s_mul_i32 s0, s1, s0
	s_ashr_i32 s1, s0, 31
	s_delay_alu instid0(SALU_CYCLE_1) | instskip(NEXT) | instid1(SALU_CYCLE_1)
	s_lshl_b64 s[0:1], s[0:1], 1
	v_add_co_u32 v0, vcc_lo, v1, s0
	v_add_co_ci_u32_e32 v1, vcc_lo, s1, v2, vcc_lo
	s_waitcnt lgkmcnt(0)
	global_store_b128 v[0:1], v[3:6], off
	s_nop 0
	s_sendmsg sendmsg(MSG_DEALLOC_VGPRS)
	s_endpgm
	.section	.rodata,"a",@progbits
	.p2align	6, 0x0
	.amdhsa_kernel _Z39paged_attention_ll4mi_QKV_mfma16_kernelIDF16_DF16_LN4vllm18Fp8KVCacheDataTypeE0EDF16_Li16ELi128ELi256ELb0ELi13EL8MFMAType0EEvPKT_PKT0_S8_ifPKiSA_SA_iPKfiiiPfSD_PS3_PT2_iSC_SC_
		.amdhsa_group_segment_fixed_size 17472
		.amdhsa_private_segment_fixed_size 0
		.amdhsa_kernarg_size 400
		.amdhsa_user_sgpr_count 13
		.amdhsa_user_sgpr_dispatch_ptr 0
		.amdhsa_user_sgpr_queue_ptr 0
		.amdhsa_user_sgpr_kernarg_segment_ptr 1
		.amdhsa_user_sgpr_dispatch_id 0
		.amdhsa_user_sgpr_private_segment_size 0
		.amdhsa_wavefront_size32 1
		.amdhsa_uses_dynamic_stack 0
		.amdhsa_enable_private_segment 0
		.amdhsa_system_sgpr_workgroup_id_x 1
		.amdhsa_system_sgpr_workgroup_id_y 1
		.amdhsa_system_sgpr_workgroup_id_z 1
		.amdhsa_system_sgpr_workgroup_info 0
		.amdhsa_system_vgpr_workitem_id 0
		.amdhsa_next_free_vgpr 218
		.amdhsa_next_free_sgpr 52
		.amdhsa_reserve_vcc 1
		.amdhsa_float_round_mode_32 0
		.amdhsa_float_round_mode_16_64 0
		.amdhsa_float_denorm_mode_32 3
		.amdhsa_float_denorm_mode_16_64 3
		.amdhsa_dx10_clamp 1
		.amdhsa_ieee_mode 1
		.amdhsa_fp16_overflow 0
		.amdhsa_workgroup_processor_mode 1
		.amdhsa_memory_ordered 1
		.amdhsa_forward_progress 0
		.amdhsa_shared_vgpr_count 0
		.amdhsa_exception_fp_ieee_invalid_op 0
		.amdhsa_exception_fp_denorm_src 0
		.amdhsa_exception_fp_ieee_div_zero 0
		.amdhsa_exception_fp_ieee_overflow 0
		.amdhsa_exception_fp_ieee_underflow 0
		.amdhsa_exception_fp_ieee_inexact 0
		.amdhsa_exception_int_div_zero 0
	.end_amdhsa_kernel
	.section	.text._Z39paged_attention_ll4mi_QKV_mfma16_kernelIDF16_DF16_LN4vllm18Fp8KVCacheDataTypeE0EDF16_Li16ELi128ELi256ELb0ELi13EL8MFMAType0EEvPKT_PKT0_S8_ifPKiSA_SA_iPKfiiiPfSD_PS3_PT2_iSC_SC_,"axG",@progbits,_Z39paged_attention_ll4mi_QKV_mfma16_kernelIDF16_DF16_LN4vllm18Fp8KVCacheDataTypeE0EDF16_Li16ELi128ELi256ELb0ELi13EL8MFMAType0EEvPKT_PKT0_S8_ifPKiSA_SA_iPKfiiiPfSD_PS3_PT2_iSC_SC_,comdat
.Lfunc_end298:
	.size	_Z39paged_attention_ll4mi_QKV_mfma16_kernelIDF16_DF16_LN4vllm18Fp8KVCacheDataTypeE0EDF16_Li16ELi128ELi256ELb0ELi13EL8MFMAType0EEvPKT_PKT0_S8_ifPKiSA_SA_iPKfiiiPfSD_PS3_PT2_iSC_SC_, .Lfunc_end298-_Z39paged_attention_ll4mi_QKV_mfma16_kernelIDF16_DF16_LN4vllm18Fp8KVCacheDataTypeE0EDF16_Li16ELi128ELi256ELb0ELi13EL8MFMAType0EEvPKT_PKT0_S8_ifPKiSA_SA_iPKfiiiPfSD_PS3_PT2_iSC_SC_
                                        ; -- End function
	.section	.AMDGPU.csdata,"",@progbits
; Kernel info:
; codeLenInByte = 8268
; NumSgprs: 54
; NumVgprs: 218
; ScratchSize: 0
; MemoryBound: 0
; FloatMode: 240
; IeeeMode: 1
; LDSByteSize: 17472 bytes/workgroup (compile time only)
; SGPRBlocks: 6
; VGPRBlocks: 27
; NumSGPRsForWavesPerEU: 54
; NumVGPRsForWavesPerEU: 218
; Occupancy: 6
; WaveLimiterHint : 1
; COMPUTE_PGM_RSRC2:SCRATCH_EN: 0
; COMPUTE_PGM_RSRC2:USER_SGPR: 13
; COMPUTE_PGM_RSRC2:TRAP_HANDLER: 0
; COMPUTE_PGM_RSRC2:TGID_X_EN: 1
; COMPUTE_PGM_RSRC2:TGID_Y_EN: 1
; COMPUTE_PGM_RSRC2:TGID_Z_EN: 1
; COMPUTE_PGM_RSRC2:TIDIG_COMP_CNT: 0
	.section	.text._Z39paged_attention_ll4mi_QKV_mfma16_kernelIDF16_DF16_LN4vllm18Fp8KVCacheDataTypeE0EDF16_Li16ELi128ELi256ELb0ELi14EL8MFMAType0EEvPKT_PKT0_S8_ifPKiSA_SA_iPKfiiiPfSD_PS3_PT2_iSC_SC_,"axG",@progbits,_Z39paged_attention_ll4mi_QKV_mfma16_kernelIDF16_DF16_LN4vllm18Fp8KVCacheDataTypeE0EDF16_Li16ELi128ELi256ELb0ELi14EL8MFMAType0EEvPKT_PKT0_S8_ifPKiSA_SA_iPKfiiiPfSD_PS3_PT2_iSC_SC_,comdat
	.protected	_Z39paged_attention_ll4mi_QKV_mfma16_kernelIDF16_DF16_LN4vllm18Fp8KVCacheDataTypeE0EDF16_Li16ELi128ELi256ELb0ELi14EL8MFMAType0EEvPKT_PKT0_S8_ifPKiSA_SA_iPKfiiiPfSD_PS3_PT2_iSC_SC_ ; -- Begin function _Z39paged_attention_ll4mi_QKV_mfma16_kernelIDF16_DF16_LN4vllm18Fp8KVCacheDataTypeE0EDF16_Li16ELi128ELi256ELb0ELi14EL8MFMAType0EEvPKT_PKT0_S8_ifPKiSA_SA_iPKfiiiPfSD_PS3_PT2_iSC_SC_
	.globl	_Z39paged_attention_ll4mi_QKV_mfma16_kernelIDF16_DF16_LN4vllm18Fp8KVCacheDataTypeE0EDF16_Li16ELi128ELi256ELb0ELi14EL8MFMAType0EEvPKT_PKT0_S8_ifPKiSA_SA_iPKfiiiPfSD_PS3_PT2_iSC_SC_
	.p2align	8
	.type	_Z39paged_attention_ll4mi_QKV_mfma16_kernelIDF16_DF16_LN4vllm18Fp8KVCacheDataTypeE0EDF16_Li16ELi128ELi256ELb0ELi14EL8MFMAType0EEvPKT_PKT0_S8_ifPKiSA_SA_iPKfiiiPfSD_PS3_PT2_iSC_SC_,@function
_Z39paged_attention_ll4mi_QKV_mfma16_kernelIDF16_DF16_LN4vllm18Fp8KVCacheDataTypeE0EDF16_Li16ELi128ELi256ELb0ELi14EL8MFMAType0EEvPKT_PKT0_S8_ifPKiSA_SA_iPKfiiiPfSD_PS3_PT2_iSC_SC_: ; @_Z39paged_attention_ll4mi_QKV_mfma16_kernelIDF16_DF16_LN4vllm18Fp8KVCacheDataTypeE0EDF16_Li16ELi128ELi256ELb0ELi14EL8MFMAType0EEvPKT_PKT0_S8_ifPKiSA_SA_iPKfiiiPfSD_PS3_PT2_iSC_SC_
; %bb.0:
	s_load_b64 s[4:5], s[0:1], 0x30
	s_mov_b32 s30, s13
	s_waitcnt lgkmcnt(0)
	s_cmp_lg_u64 s[4:5], 0
	s_cselect_b32 s8, -1, 0
	s_ashr_i32 s31, s13, 31
	s_cmp_eq_u64 s[4:5], 0
	s_cbranch_scc1 .LBB299_3
; %bb.1:
	s_lshl_b64 s[2:3], s[30:31], 2
	s_delay_alu instid0(SALU_CYCLE_1) | instskip(SKIP_4) | instid1(SALU_CYCLE_1)
	s_add_u32 s2, s4, s2
	s_addc_u32 s3, s5, s3
	s_load_b64 s[2:3], s[2:3], 0x0
	s_waitcnt lgkmcnt(0)
	s_sub_i32 s2, s3, s2
	s_cmp_eq_u32 s2, 1
	s_cselect_b32 s2, -1, 0
	s_delay_alu instid0(SALU_CYCLE_1)
	s_and_not1_b32 vcc_lo, exec_lo, s2
	s_cbranch_vccz .LBB299_4
.LBB299_2:
	s_endpgm
.LBB299_3:
.LBB299_4:
	s_load_b64 s[2:3], s[0:1], 0x28
	s_lshl_b64 s[6:7], s[30:31], 2
	s_waitcnt lgkmcnt(0)
	s_add_u32 s2, s2, s6
	s_addc_u32 s3, s3, s7
	s_lshl_b32 s29, s14, 8
	s_load_b32 s28, s[2:3], 0x0
	s_waitcnt lgkmcnt(0)
	s_cmp_ge_i32 s29, s28
	s_cbranch_scc1 .LBB299_2
; %bb.5:
	s_clause 0x1
	s_load_b128 s[20:23], s[0:1], 0x8
	s_load_b64 s[2:3], s[0:1], 0x20
	s_and_not1_b32 vcc_lo, exec_lo, s8
	s_cbranch_vccnz .LBB299_7
; %bb.6:
	s_add_u32 s4, s4, s6
	s_addc_u32 s5, s5, s7
	s_load_b32 s5, s[4:5], 0x0
	s_branch .LBB299_8
.LBB299_7:
	s_mov_b32 s5, s30
.LBB299_8:
	s_load_b128 s[16:19], s[0:1], 0x48
	v_and_b32_e32 v140, 15, v0
	v_lshrrev_b32_e32 v141, 5, v0
	v_and_b32_e32 v142, 31, v0
	v_and_b32_e32 v139, 1, v0
	v_bfe_u32 v138, v0, 4, 1
	v_lshlrev_b32_e32 v1, 3, v140
	s_mul_i32 s31, s15, 14
	s_mov_b32 s4, exec_lo
	s_delay_alu instid0(VALU_DEP_1)
	v_lshlrev_b32_e32 v137, 1, v1
	v_cmpx_gt_u32_e32 0xe0, v0
	s_cbranch_execz .LBB299_10
; %bb.9:
	s_load_b64 s[6:7], s[0:1], 0x0
	v_lshl_or_b32 v5, v141, 1, v138
	s_waitcnt lgkmcnt(0)
	s_mul_hi_i32 s9, s5, s16
	s_mul_i32 s8, s5, s16
	v_lshlrev_b32_e32 v6, 10, v140
	s_lshl_b64 s[8:9], s[8:9], 1
	v_add_lshl_u32 v1, v5, s31, 7
	v_lshlrev_b32_e32 v5, 6, v5
	v_lshlrev_b32_e32 v7, 10, v139
	v_and_b32_e32 v6, 0x3800, v6
	s_delay_alu instid0(VALU_DEP_4) | instskip(NEXT) | instid1(VALU_DEP_2)
	v_ashrrev_i32_e32 v2, 31, v1
	v_or3_b32 v5, v6, v7, v5
	s_delay_alu instid0(VALU_DEP_2) | instskip(SKIP_2) | instid1(VALU_DEP_1)
	v_lshlrev_b64 v[1:2], 1, v[1:2]
	s_add_u32 s5, s6, s8
	s_addc_u32 s6, s7, s9
	v_add_co_u32 v1, vcc_lo, s5, v1
	s_delay_alu instid0(VALU_DEP_2) | instskip(NEXT) | instid1(VALU_DEP_2)
	v_add_co_ci_u32_e32 v2, vcc_lo, s6, v2, vcc_lo
	v_add_co_u32 v1, vcc_lo, v1, v137
	s_delay_alu instid0(VALU_DEP_2)
	v_add_co_ci_u32_e32 v2, vcc_lo, 0, v2, vcc_lo
	global_load_b128 v[1:4], v[1:2], off
	s_waitcnt vmcnt(0)
	ds_store_b128 v5, v[1:4]
.LBB299_10:
	s_or_b32 exec_lo, exec_lo, s4
	v_and_b32_e32 v1, 0xef, v0
	s_waitcnt lgkmcnt(0)
	s_add_i32 s5, s28, 15
	s_clause 0x1
	s_load_b32 s4, s[0:1], 0x38
	s_load_b32 s33, s[0:1], 0x98
	s_ashr_i32 s6, s5, 31
	v_add_nc_u32_e32 v1, s29, v1
	s_lshr_b32 s6, s6, 28
	s_load_b32 s34, s[0:1], 0x1c
	s_add_i32 s5, s5, s6
	s_waitcnt lgkmcnt(0)
	v_ashrrev_i32_e32 v2, 31, v1
	v_cmp_gt_i32_e32 vcc_lo, s28, v1
	s_ashr_i32 s16, s5, 4
	s_barrier
	s_add_i32 s16, s16, -1
	v_lshrrev_b32_e32 v3, 28, v2
	v_or_b32_e32 v2, 16, v1
	buffer_gl0_inv
	v_add_nc_u32_e32 v105, -14, v140
	v_lshlrev_b32_e32 v106, 5, v140
	v_add_nc_u32_e32 v4, v1, v3
	v_add_nc_u32_e32 v3, v2, v3
	s_mul_i32 s4, s30, s4
	s_delay_alu instid0(SALU_CYCLE_1) | instskip(NEXT) | instid1(VALU_DEP_2)
	s_ashr_i32 s5, s4, 31
	v_ashrrev_i32_e32 v4, 4, v4
	s_delay_alu instid0(VALU_DEP_2)
	v_ashrrev_i32_e32 v3, 4, v3
	s_lshl_b64 s[4:5], s[4:5], 2
	v_lshl_or_b32 v125, v141, 9, v106
	s_add_u32 s35, s2, s4
	v_cndmask_b32_e32 v1, s16, v4, vcc_lo
	v_cmp_gt_i32_e32 vcc_lo, s28, v2
	s_addc_u32 s36, s3, s5
	s_mul_i32 s2, s15, s18
	s_delay_alu instid0(VALU_DEP_2) | instskip(SKIP_2) | instid1(SALU_CYCLE_1)
	v_ashrrev_i32_e32 v2, 31, v1
	v_cndmask_b32_e32 v3, s16, v3, vcc_lo
	s_ashr_i32 s3, s2, 31
	s_lshl_b64 s[2:3], s[2:3], 1
	s_delay_alu instid0(VALU_DEP_2) | instskip(NEXT) | instid1(VALU_DEP_2)
	v_lshlrev_b64 v[1:2], 2, v[1:2]
	v_ashrrev_i32_e32 v4, 31, v3
	s_add_u32 s24, s20, s2
	s_addc_u32 s25, s21, s3
	s_lshl_b32 s4, s14, 4
	s_delay_alu instid0(VALU_DEP_1) | instskip(SKIP_3) | instid1(VALU_DEP_3)
	v_lshlrev_b64 v[3:4], 2, v[3:4]
	v_add_co_u32 v1, vcc_lo, s35, v1
	v_add_co_ci_u32_e32 v2, vcc_lo, s36, v2, vcc_lo
	s_ashr_i32 s5, s4, 31
	v_add_co_u32 v3, vcc_lo, s35, v3
	s_delay_alu instid0(VALU_DEP_4)
	v_add_co_ci_u32_e32 v4, vcc_lo, s36, v4, vcc_lo
	s_lshl_b64 s[4:5], s[4:5], 2
	s_clause 0x1
	global_load_b32 v5, v[1:2], off
	global_load_b32 v6, v[3:4], off
	s_add_u32 s4, s35, s4
	s_addc_u32 s5, s36, s5
	s_or_b32 s6, s29, 16
	v_lshlrev_b32_e32 v3, 4, v0
	s_ashr_i32 s7, s6, 4
	s_cmp_lt_i32 s6, s28
	s_cselect_b32 s6, s7, s16
	s_delay_alu instid0(SALU_CYCLE_1) | instskip(NEXT) | instid1(SALU_CYCLE_1)
	s_ashr_i32 s7, s6, 31
	s_lshl_b64 s[6:7], s[6:7], 2
	s_delay_alu instid0(SALU_CYCLE_1) | instskip(SKIP_2) | instid1(SALU_CYCLE_1)
	s_add_u32 s6, s35, s6
	s_addc_u32 s7, s36, s7
	s_or_b32 s8, s29, 32
	s_ashr_i32 s9, s8, 4
	s_cmp_lt_i32 s8, s28
	s_cselect_b32 s8, s9, s16
	s_delay_alu instid0(SALU_CYCLE_1) | instskip(NEXT) | instid1(SALU_CYCLE_1)
	s_ashr_i32 s9, s8, 31
	s_lshl_b64 s[8:9], s[8:9], 2
	s_delay_alu instid0(SALU_CYCLE_1) | instskip(SKIP_2) | instid1(SALU_CYCLE_1)
	s_add_u32 s8, s35, s8
	s_addc_u32 s9, s36, s9
	s_or_b32 s10, s29, 48
	;; [unrolled: 10-line block ×4, first 2 shown]
	s_ashr_i32 s13, s12, 4
	s_cmp_lt_i32 s12, s28
	s_cselect_b32 s12, s13, s16
	s_delay_alu instid0(SALU_CYCLE_1) | instskip(NEXT) | instid1(SALU_CYCLE_1)
	s_ashr_i32 s13, s12, 31
	s_lshl_b64 s[12:13], s[12:13], 2
	s_delay_alu instid0(SALU_CYCLE_1)
	s_add_u32 s20, s35, s12
	s_addc_u32 s21, s36, s13
	s_clause 0x5
	s_load_b32 s37, s[4:5], 0x0
	s_load_b32 s27, s[6:7], 0x0
	s_load_b32 s26, s[8:9], 0x0
	s_load_b32 s13, s[10:11], 0x0
	s_load_b32 s12, s[18:19], 0x0
	s_load_b32 s15, s[20:21], 0x0
	s_waitcnt vmcnt(1)
	v_mad_i64_i32 v[1:2], null, v5, s17, 0
	v_and_b32_e32 v5, 0xf0, v3
	s_waitcnt vmcnt(0)
	v_mad_i64_i32 v[3:4], null, v6, s17, 0
	s_delay_alu instid0(VALU_DEP_2) | instskip(NEXT) | instid1(VALU_DEP_4)
	v_add_co_u32 v5, s4, s24, v5
	v_lshlrev_b64 v[1:2], 1, v[1:2]
	v_add_co_ci_u32_e64 v6, null, s25, 0, s4
	s_delay_alu instid0(VALU_DEP_4) | instskip(SKIP_1) | instid1(VALU_DEP_3)
	v_lshlrev_b64 v[3:4], 1, v[3:4]
	s_or_b32 s4, s29, 0x60
	v_add_co_u32 v121, vcc_lo, v5, v1
	s_delay_alu instid0(VALU_DEP_3) | instskip(NEXT) | instid1(VALU_DEP_3)
	v_add_co_ci_u32_e32 v122, vcc_lo, v6, v2, vcc_lo
	v_add_co_u32 v123, vcc_lo, v5, v3
	s_delay_alu instid0(VALU_DEP_4)
	v_add_co_ci_u32_e32 v124, vcc_lo, v6, v4, vcc_lo
	s_clause 0x19
	global_load_b128 v[89:92], v[121:122], off
	global_load_b128 v[93:96], v[121:122], off offset:256
	global_load_b128 v[97:100], v[123:124], off
	global_load_b128 v[101:104], v[123:124], off offset:256
	global_load_b128 v[81:84], v[121:122], off offset:512
	;; [unrolled: 1-line block ×23, first 2 shown]
	s_ashr_i32 s5, s4, 4
	s_cmp_lt_i32 s4, s28
	v_cmp_gt_u32_e32 vcc_lo, 14, v140
	s_cselect_b32 s4, s5, s16
	s_delay_alu instid0(SALU_CYCLE_1) | instskip(NEXT) | instid1(SALU_CYCLE_1)
	s_ashr_i32 s5, s4, 31
	s_lshl_b64 s[4:5], s[4:5], 2
	v_cndmask_b32_e32 v105, v105, v140, vcc_lo
	s_add_u32 s18, s35, s4
	s_addc_u32 s19, s36, s5
	s_or_b32 s4, s29, 0x70
	s_delay_alu instid0(SALU_CYCLE_1)
	s_ashr_i32 s5, s4, 4
	s_cmp_lt_i32 s4, s28
	v_lshlrev_b32_e32 v215, 6, v105
	s_cselect_b32 s6, s5, s16
	ds_load_b128 v[105:108], v215
	ds_load_b128 v[109:112], v215 offset:1024
	s_ashr_i32 s7, s6, 31
	ds_load_b128 v[113:116], v215 offset:2048
	ds_load_b128 v[117:120], v215 offset:3072
	;; [unrolled: 1-line block ×8, first 2 shown]
	s_clause 0x1
	global_load_b128 v[167:170], v[123:124], off offset:3072
	global_load_b128 v[171:174], v[123:124], off offset:3328
	s_lshl_b64 s[6:7], s[6:7], 2
	s_mov_b32 s4, 0
	s_add_u32 s20, s35, s6
	s_addc_u32 s21, s36, s7
	s_clause 0x1
	s_load_b32 s41, s[18:19], 0x0
	s_load_b32 s46, s[20:21], 0x0
	s_clause 0x3
	global_load_b128 v[175:178], v[121:122], off offset:3584
	global_load_b128 v[179:182], v[121:122], off offset:3840
	;; [unrolled: 1-line block ×4, first 2 shown]
	s_or_b32 s7, s29, 0x80
	s_mov_b32 s5, s4
	s_ashr_i32 s8, s7, 4
	s_cmp_lt_i32 s7, s28
	s_mov_b32 s6, s4
	s_cselect_b32 s10, s8, s16
	s_mov_b32 s7, s4
	s_ashr_i32 s11, s10, 31
	s_mov_b32 s8, s4
	s_lshl_b64 s[24:25], s[10:11], 2
	s_mov_b32 s9, s4
	s_add_u32 s24, s35, s24
	s_addc_u32 s25, s36, s25
	s_or_b32 s11, s29, 0x90
	s_mov_b32 s10, s4
	s_ashr_i32 s38, s11, 4
	s_cmp_lt_i32 s11, s28
	s_mov_b32 s11, s4
	s_cselect_b32 s38, s38, s16
	v_mov_b32_e32 v136, s11
	s_ashr_i32 s39, s38, 31
	v_dual_mov_b32 v135, s10 :: v_dual_mov_b32 v134, s9
	v_dual_mov_b32 v133, s8 :: v_dual_mov_b32 v132, s7
	;; [unrolled: 1-line block ×3, first 2 shown]
	v_mov_b32_e32 v129, s4
	s_lshl_b64 s[4:5], s[38:39], 2
	s_waitcnt lgkmcnt(0)
	s_mul_hi_i32 s7, s27, s17
	s_add_u32 s38, s35, s4
	s_addc_u32 s39, s36, s5
	s_or_b32 s4, s29, 0xa0
	s_load_b32 s40, s[38:39], 0x0
	s_ashr_i32 s5, s4, 4
	s_cmp_lt_i32 s4, s28
	s_cselect_b32 s4, s5, s16
	s_delay_alu instid0(SALU_CYCLE_1) | instskip(NEXT) | instid1(SALU_CYCLE_1)
	s_ashr_i32 s5, s4, 31
	s_lshl_b64 s[4:5], s[4:5], 2
	s_delay_alu instid0(SALU_CYCLE_1)
	s_add_u32 s42, s35, s4
	s_addc_u32 s43, s36, s5
	s_or_b32 s4, s29, 0xb0
	s_load_b32 s39, s[42:43], 0x0
	s_ashr_i32 s6, s4, 4
	s_cmp_lt_i32 s4, s28
	s_mul_hi_i32 s5, s37, s17
	s_cselect_b32 s8, s6, s16
	s_mul_i32 s6, s27, s17
	s_ashr_i32 s9, s8, 31
	s_mul_i32 s4, s37, s17
	s_lshl_b64 s[10:11], s[8:9], 2
	s_mul_hi_i32 s9, s26, s17
	s_add_u32 s44, s35, s10
	s_addc_u32 s45, s36, s11
	s_or_b32 s10, s29, 0xc0
	s_mul_i32 s8, s26, s17
	s_ashr_i32 s26, s10, 4
	s_cmp_lt_i32 s10, s28
	s_mul_hi_i32 s11, s13, s17
	s_cselect_b32 s26, s26, s16
	s_mul_i32 s10, s13, s17
	s_ashr_i32 s27, s26, 31
	s_mul_hi_i32 s13, s12, s17
	s_lshl_b64 s[26:27], s[26:27], 2
	s_mul_i32 s12, s12, s17
	s_add_u32 s20, s35, s26
	s_addc_u32 s21, s36, s27
	s_or_b32 s18, s29, 0xd0
	s_load_b32 s26, s[24:25], 0x0
	s_ashr_i32 s19, s18, 4
	s_cmp_lt_i32 s18, s28
	s_mul_i32 s18, s15, s17
	s_cselect_b32 s24, s19, s16
	s_mul_hi_i32 s19, s15, s17
	s_ashr_i32 s25, s24, 31
	s_delay_alu instid0(SALU_CYCLE_1) | instskip(NEXT) | instid1(SALU_CYCLE_1)
	s_lshl_b64 s[24:25], s[24:25], 2
	s_add_u32 s24, s35, s24
	s_addc_u32 s25, s36, s25
	s_or_b32 s42, s29, 0xe0
	s_clause 0x2
	s_load_b32 s38, s[44:45], 0x0
	s_load_b32 s37, s[20:21], 0x0
	;; [unrolled: 1-line block ×3, first 2 shown]
	s_ashr_i32 s43, s42, 4
	s_cmp_lt_i32 s42, s28
	s_mul_hi_i32 s25, s46, s17
	s_cselect_b32 s42, s43, s16
	s_mul_i32 s24, s46, s17
	s_ashr_i32 s43, s42, 31
	s_mul_hi_i32 s21, s41, s17
	s_lshl_b64 s[42:43], s[42:43], 2
	s_mul_i32 s20, s41, s17
	s_add_u32 s42, s35, s42
	s_addc_u32 s43, s36, s43
	s_or_b32 s46, s29, 0xf0
	s_waitcnt lgkmcnt(0)
	s_mul_hi_i32 s27, s26, s17
	s_ashr_i32 s47, s46, 4
	s_cmp_lt_i32 s46, s28
	s_mul_i32 s26, s26, s17
	s_cselect_b32 s46, s47, s16
	s_mul_hi_i32 s41, s40, s17
	s_ashr_i32 s47, s46, 31
	s_mul_hi_i32 s51, s15, s17
	s_lshl_b64 s[46:47], s[46:47], 2
	s_mul_i32 s50, s15, s17
	s_add_u32 s46, s35, s46
	s_addc_u32 s47, s36, s47
	s_add_u32 s15, s22, s2
	s_addc_u32 s16, s23, s3
	v_add_co_u32 v216, s15, s15, v125
	s_delay_alu instid0(VALU_DEP_1) | instskip(SKIP_2) | instid1(VALU_DEP_2)
	v_add_co_ci_u32_e64 v217, null, s16, 0, s15
	s_lshl_b64 s[2:3], s[4:5], 1
	s_lshl_b64 s[4:5], s[6:7], 1
	v_add_co_u32 v125, vcc_lo, v216, s2
	s_delay_alu instid0(VALU_DEP_2)
	v_add_co_ci_u32_e32 v126, vcc_lo, s3, v217, vcc_lo
	v_add_co_u32 v199, vcc_lo, v216, s4
	s_lshl_b64 s[6:7], s[8:9], 1
	v_add_co_ci_u32_e32 v200, vcc_lo, s5, v217, vcc_lo
	s_lshl_b64 s[8:9], s[10:11], 1
	s_lshl_b64 s[10:11], s[12:13], 1
	;; [unrolled: 1-line block ×6, first 2 shown]
	s_mul_i32 s40, s40, s17
	s_mul_hi_i32 s45, s39, s17
	s_lshl_b64 s[24:25], s[40:41], 1
	s_mul_i32 s44, s39, s17
	s_mul_hi_i32 s39, s38, s17
	s_lshl_b64 s[26:27], s[44:45], 1
	s_mul_i32 s38, s38, s17
	s_mul_hi_i32 s49, s37, s17
	s_mul_i32 s48, s37, s17
	s_lshl_b64 s[36:37], s[38:39], 1
	s_lshl_b64 s[38:39], s[48:49], 1
	s_clause 0x1
	s_load_b32 s15, s[42:43], 0x0
	s_load_b32 s16, s[46:47], 0x0
	s_lshl_b64 s[40:41], s[50:51], 1
	s_waitcnt lgkmcnt(0)
	s_mul_hi_i32 s3, s15, s17
	s_mul_i32 s2, s15, s17
	s_mul_hi_i32 s5, s16, s17
	s_lshl_b64 s[2:3], s[2:3], 1
	s_mul_i32 s4, s16, s17
	s_waitcnt vmcnt(30)
	v_wmma_f32_16x16x16_f16 v[191:198], v[89:96], v[105:112], v[129:136]
	v_add_co_u32 v89, vcc_lo, v216, s6
	v_add_co_ci_u32_e32 v90, vcc_lo, s7, v217, vcc_lo
	v_add_co_u32 v91, vcc_lo, v216, s8
	v_add_co_ci_u32_e32 v92, vcc_lo, s9, v217, vcc_lo
	;; [unrolled: 2-line block ×5, first 2 shown]
	v_add_co_u32 v205, vcc_lo, v216, s20
	s_waitcnt vmcnt(28)
	v_wmma_f32_16x16x16_f16 v[129:136], v[97:104], v[105:112], v[129:136]
	v_add_co_ci_u32_e32 v206, vcc_lo, s21, v217, vcc_lo
	v_add_co_u32 v207, vcc_lo, v216, s22
	v_add_co_ci_u32_e32 v208, vcc_lo, s23, v217, vcc_lo
	v_add_co_u32 v209, vcc_lo, v216, s24
	s_waitcnt vmcnt(26)
	v_wmma_f32_16x16x16_f16 v[191:198], v[81:88], v[113:120], v[191:198]
	s_waitcnt vmcnt(24)
	v_wmma_f32_16x16x16_f16 v[129:136], v[73:80], v[113:120], v[129:136]
	v_add_co_ci_u32_e32 v210, vcc_lo, s25, v217, vcc_lo
	v_add_co_u32 v211, vcc_lo, v216, s26
	v_add_co_ci_u32_e32 v212, vcc_lo, s27, v217, vcc_lo
	v_add_co_u32 v213, vcc_lo, v216, s36
	s_waitcnt vmcnt(22)
	v_wmma_f32_16x16x16_f16 v[191:198], v[65:72], v[143:150], v[191:198]
	s_waitcnt vmcnt(20)
	v_wmma_f32_16x16x16_f16 v[129:136], v[57:64], v[143:150], v[129:136]
	v_add_co_ci_u32_e32 v214, vcc_lo, s37, v217, vcc_lo
	v_add_co_u32 v143, vcc_lo, v216, s38
	s_waitcnt vmcnt(18)
	v_wmma_f32_16x16x16_f16 v[191:198], v[49:56], v[151:158], v[191:198]
	s_waitcnt vmcnt(16)
	v_wmma_f32_16x16x16_f16 v[129:136], v[25:32], v[151:158], v[129:136]
	v_add_co_ci_u32_e32 v144, vcc_lo, s39, v217, vcc_lo
	s_clause 0x15
	global_load_b128 v[121:124], v[125:126], off
	global_load_b128 v[125:128], v[125:126], off offset:16
	global_load_b128 v[113:116], v[199:200], off
	global_load_b128 v[117:120], v[199:200], off offset:16
	;; [unrolled: 2-line block ×11, first 2 shown]
	s_waitcnt vmcnt(36)
	v_wmma_f32_16x16x16_f16 v[191:198], v[1:8], v[159:166], v[191:198]
	s_clause 0x1
	global_load_b128 v[1:4], v[213:214], off
	global_load_b128 v[5:8], v[213:214], off offset:16
	s_waitcnt vmcnt(36)
	v_wmma_f32_16x16x16_f16 v[129:136], v[9:16], v[159:166], v[129:136]
	s_clause 0x1
	global_load_b128 v[9:12], v[143:144], off
	global_load_b128 v[13:16], v[143:144], off offset:16
	ds_load_b128 v[143:146], v215 offset:10240
	ds_load_b128 v[147:150], v215 offset:11264
	;; [unrolled: 1-line block ×4, first 2 shown]
	v_add_co_u32 v199, vcc_lo, v216, s40
	v_add_co_ci_u32_e32 v200, vcc_lo, s41, v217, vcc_lo
	v_add_co_u32 v159, vcc_lo, v216, s2
	v_add_co_ci_u32_e32 v160, vcc_lo, s3, v217, vcc_lo
	s_lshl_b64 s[2:3], s[4:5], 1
	s_delay_alu instid0(SALU_CYCLE_1)
	v_add_co_u32 v161, vcc_lo, v216, s2
	v_add_co_ci_u32_e32 v162, vcc_lo, s3, v217, vcc_lo
	s_waitcnt vmcnt(36) lgkmcnt(2)
	v_wmma_f32_16x16x16_f16 v[191:198], v[33:40], v[143:150], v[191:198]
	s_waitcnt vmcnt(34)
	v_wmma_f32_16x16x16_f16 v[129:136], v[41:48], v[143:150], v[129:136]
	s_clause 0x3
	global_load_b128 v[33:36], v[199:200], off
	global_load_b128 v[37:40], v[199:200], off offset:16
	global_load_b128 v[41:44], v[159:160], off
	global_load_b128 v[45:48], v[159:160], off offset:16
	v_and_b32_e32 v143, 0xe0, v0
	v_mbcnt_lo_u32_b32 v159, -1, 0
	s_waitcnt vmcnt(36) lgkmcnt(0)
	v_wmma_f32_16x16x16_f16 v[191:198], v[17:24], v[151:158], v[191:198]
	s_clause 0x1
	global_load_b128 v[17:20], v[161:162], off
	global_load_b128 v[21:24], v[161:162], off offset:16
	s_waitcnt vmcnt(36)
	v_wmma_f32_16x16x16_f16 v[129:136], v[167:174], v[151:158], v[129:136]
	v_add_nc_u32_e32 v160, s29, v143
	ds_load_b128 v[143:146], v215 offset:14336
	ds_load_b128 v[147:150], v215 offset:15360
	v_xor_b32_e32 v151, 16, v159
	s_waitcnt vmcnt(0) lgkmcnt(0)
	s_barrier
	v_or_b32_e32 v152, v160, v138
	buffer_gl0_inv
	v_cmp_gt_i32_e32 vcc_lo, 32, v151
	v_or_b32_e32 v153, 2, v152
	v_or_b32_e32 v154, 4, v152
	;; [unrolled: 1-line block ×5, first 2 shown]
	v_cmp_gt_i32_e64 s2, s28, v153
	v_cmp_gt_i32_e64 s3, s28, v154
	;; [unrolled: 1-line block ×3, first 2 shown]
	v_or_b32_e32 v158, 12, v152
	v_cmp_gt_i32_e64 s5, s28, v156
	v_cmp_gt_i32_e64 s6, s28, v157
	v_wmma_f32_16x16x16_f16 v[191:198], v[175:182], v[143:150], v[191:198]
	v_wmma_f32_16x16x16_f16 v[129:136], v[183:190], v[143:150], v[129:136]
	v_cndmask_b32_e32 v151, v159, v151, vcc_lo
	v_cmp_gt_i32_e32 vcc_lo, s28, v152
	v_or_b32_e32 v159, 14, v152
	v_dual_mul_f32 v149, s34, v192 :: v_dual_mul_f32 v150, s34, v191
	v_dual_mul_f32 v147, s34, v194 :: v_dual_mul_f32 v148, s34, v193
	v_mul_f32_e32 v145, s34, v196
	s_delay_alu instid0(VALU_DEP_3) | instskip(NEXT) | instid1(VALU_DEP_4)
	v_cndmask_b32_e64 v149, 0xff7fffff, v149, s2
	v_cndmask_b32_e32 v150, 0xff7fffff, v150, vcc_lo
	v_mul_f32_e32 v146, s34, v195
	v_cndmask_b32_e64 v148, 0xff7fffff, v148, s3
	v_cndmask_b32_e64 v147, 0xff7fffff, v147, s4
	v_or_b32_e32 v160, 16, v152
	v_max3_f32 v149, v150, 0xff7fffff, v149
	v_or_b32_e32 v161, 18, v152
	v_dual_mul_f32 v143, s34, v198 :: v_dual_mul_f32 v144, s34, v197
	v_cndmask_b32_e64 v146, 0xff7fffff, v146, s5
	v_cndmask_b32_e64 v145, 0xff7fffff, v145, s6
	v_max3_f32 v147, v149, v148, v147
	v_cmp_gt_i32_e64 s7, s28, v158
	v_cmp_gt_i32_e64 s8, s28, v159
	v_or_b32_e32 v162, 20, v152
	v_or_b32_e32 v163, 22, v152
	v_dual_mul_f32 v174, s34, v130 :: v_dual_mul_f32 v175, s34, v129
	v_cndmask_b32_e64 v144, 0xff7fffff, v144, s7
	v_cndmask_b32_e64 v143, 0xff7fffff, v143, s8
	v_max3_f32 v145, v147, v146, v145
	v_cmp_gt_i32_e64 s9, s28, v160
	v_cmp_gt_i32_e64 s10, s28, v161
	v_or_b32_e32 v164, 24, v152
	;; [unrolled: 8-line block ×3, first 2 shown]
	v_or_b32_e32 v167, 30, v152
	v_dual_mul_f32 v170, s34, v134 :: v_dual_mul_f32 v171, s34, v133
	v_cndmask_b32_e64 v144, 0xff7fffff, v173, s11
	v_cndmask_b32_e64 v145, 0xff7fffff, v172, s12
	v_max3_f32 v143, v143, v146, v147
	v_cmp_gt_i32_e64 s13, s28, v164
	v_cmp_gt_i32_e64 s15, s28, v165
	v_dual_mul_f32 v168, s34, v136 :: v_dual_mul_f32 v169, s34, v135
	s_delay_alu instid0(VALU_DEP_4) | instskip(NEXT) | instid1(VALU_DEP_4)
	v_max3_f32 v143, v143, v144, v145
	v_cndmask_b32_e64 v146, 0xff7fffff, v171, s13
	s_delay_alu instid0(VALU_DEP_4) | instskip(SKIP_3) | instid1(VALU_DEP_4)
	v_cndmask_b32_e64 v147, 0xff7fffff, v170, s15
	v_cmp_gt_i32_e64 s16, s28, v166
	v_cmp_gt_i32_e64 s17, s28, v167
	v_lshlrev_b32_e32 v160, 2, v151
	v_max3_f32 v143, v143, v146, v147
	s_delay_alu instid0(VALU_DEP_4) | instskip(NEXT) | instid1(VALU_DEP_4)
	v_cndmask_b32_e64 v144, 0xff7fffff, v169, s16
	v_cndmask_b32_e64 v145, 0xff7fffff, v168, s17
	s_delay_alu instid0(VALU_DEP_1) | instskip(SKIP_3) | instid1(VALU_DEP_1)
	v_max3_f32 v143, v143, v144, v145
	ds_bpermute_b32 v144, v160, v143
	s_waitcnt lgkmcnt(0)
	v_max_f32_e32 v144, v144, v144
	v_max_f32_e32 v159, v143, v144
	s_delay_alu instid0(VALU_DEP_1) | instskip(SKIP_4) | instid1(VALU_DEP_4)
	v_fma_f32 v143, s34, v191, -v159
	v_fma_f32 v144, s34, v192, -v159
	;; [unrolled: 1-line block ×5, first 2 shown]
	v_dual_mul_f32 v143, 0x3fb8aa3b, v143 :: v_dual_mul_f32 v144, 0x3fb8aa3b, v144
	s_delay_alu instid0(VALU_DEP_4) | instskip(SKIP_2) | instid1(VALU_DEP_4)
	v_mul_f32_e32 v132, 0x3fb8aa3b, v132
	v_fma_f32 v134, s34, v134, -v159
	v_mul_f32_e32 v145, 0x3fb8aa3b, v145
	v_exp_f32_e32 v143, v143
	v_exp_f32_e32 v147, v144
	v_fma_f32 v148, s34, v195, -v159
	v_mul_f32_e32 v134, 0x3fb8aa3b, v134
	v_mul_f32_e32 v146, 0x3fb8aa3b, v146
	v_exp_f32_e32 v145, v145
	v_fma_f32 v149, s34, v196, -v159
	v_mul_f32_e32 v148, 0x3fb8aa3b, v148
	v_fma_f32 v151, s34, v197, -v159
	v_exp_f32_e32 v150, v146
	v_cndmask_b32_e32 v144, 0, v143, vcc_lo
	v_cndmask_b32_e64 v143, 0, v147, s2
	v_mul_f32_e32 v149, 0x3fb8aa3b, v149
	v_exp_f32_e32 v148, v148
	v_fma_f32 v152, s34, v198, -v159
	v_add_f32_e32 v147, 0, v144
	v_cndmask_b32_e64 v146, 0, v145, s3
	v_mul_f32_e32 v151, 0x3fb8aa3b, v151
	v_exp_f32_e32 v149, v149
	v_cndmask_b32_e64 v145, 0, v150, s4
	v_add_f32_e32 v147, v147, v143
	v_fma_f32 v129, s34, v129, -v159
	v_mul_f32_e32 v150, 0x3fb8aa3b, v152
	v_exp_f32_e32 v151, v151
	v_cndmask_b32_e64 v148, 0, v148, s5
	v_add_f32_e32 v147, v147, v146
	v_fma_f32 v130, s34, v130, -v159
	v_mul_f32_e32 v129, 0x3fb8aa3b, v129
	v_exp_f32_e32 v153, v150
	v_fma_f32 v131, s34, v131, -v159
	v_add_f32_e32 v152, v147, v145
	v_cndmask_b32_e64 v147, 0, v149, s6
	v_mul_f32_e32 v130, 0x3fb8aa3b, v130
	v_exp_f32_e32 v129, v129
	v_cndmask_b32_e64 v150, 0, v151, s7
	v_add_f32_e32 v149, v152, v148
	v_mul_f32_e32 v131, 0x3fb8aa3b, v131
	v_exp_f32_e32 v130, v130
	v_fma_f32 v133, s34, v133, -v159
	v_exp_f32_e32 v132, v132
	v_add_f32_e32 v151, v149, v147
	v_cndmask_b32_e64 v149, 0, v153, s8
	v_exp_f32_e32 v131, v131
	v_cndmask_b32_e64 v152, 0, v129, s9
	v_mul_f32_e32 v133, 0x3fb8aa3b, v133
	v_add_f32_e32 v151, v151, v150
	s_mov_b32 s2, exec_lo
	s_delay_alu instid0(VALU_DEP_2) | instskip(NEXT) | instid1(VALU_DEP_1)
	v_exp_f32_e32 v133, v133
	v_add_f32_e32 v129, v151, v149
	v_cndmask_b32_e64 v151, 0, v130, s10
	v_fma_f32 v130, s34, v135, -v159
	s_delay_alu instid0(TRANS32_DEP_2)
	v_cndmask_b32_e64 v154, 0, v131, s11
	v_exp_f32_e32 v131, v134
	v_add_f32_e32 v129, v129, v152
	v_cndmask_b32_e64 v153, 0, v132, s12
	v_mul_f32_e32 v130, 0x3fb8aa3b, v130
	v_fma_f32 v132, s34, v136, -v159
	v_cndmask_b32_e64 v156, 0, v133, s13
	v_add_f32_e32 v129, v129, v151
	s_delay_alu instid0(VALU_DEP_4) | instskip(NEXT) | instid1(VALU_DEP_3)
	v_exp_f32_e32 v130, v130
	v_mul_f32_e32 v132, 0x3fb8aa3b, v132
	s_delay_alu instid0(TRANS32_DEP_2) | instskip(NEXT) | instid1(VALU_DEP_3)
	v_cndmask_b32_e64 v155, 0, v131, s15
	v_add_f32_e32 v129, v129, v154
	s_delay_alu instid0(VALU_DEP_3) | instskip(NEXT) | instid1(VALU_DEP_1)
	v_exp_f32_e32 v131, v132
	v_add_f32_e32 v129, v129, v153
	s_waitcnt_depctr 0xfff
	v_cndmask_b32_e64 v158, 0, v130, s16
	v_add_f32_e32 v129, v129, v156
	v_cndmask_b32_e64 v157, 0, v131, s17
	s_delay_alu instid0(VALU_DEP_2) | instskip(NEXT) | instid1(VALU_DEP_1)
	v_add_f32_e32 v129, v129, v155
	v_add_f32_e32 v129, v129, v158
	s_delay_alu instid0(VALU_DEP_1)
	v_add_f32_e32 v129, v129, v157
	ds_bpermute_b32 v130, v160, v129
	v_cmpx_gt_u32_e32 16, v142
	s_cbranch_execz .LBB299_12
; %bb.11:
	v_mul_u32_u24_e32 v131, 0x44, v141
	s_delay_alu instid0(VALU_DEP_1) | instskip(SKIP_1) | instid1(VALU_DEP_1)
	v_lshl_add_u32 v131, v140, 2, v131
	s_waitcnt lgkmcnt(0)
	v_dual_add_f32 v129, v129, v130 :: v_dual_add_nc_u32 v130, 0x4000, v131
	ds_store_2addr_b32 v130, v159, v129 offset1:136
.LBB299_12:
	s_or_b32 exec_lo, exec_lo, s2
	v_lshlrev_b32_e32 v129, 2, v140
	s_load_b32 s34, s[0:1], 0x94
	s_waitcnt lgkmcnt(0)
	s_barrier
	buffer_gl0_inv
	v_add_nc_u32_e32 v135, 0x4000, v129
	v_cmp_eq_u32_e32 vcc_lo, 1, v141
	v_cmp_eq_u32_e64 s2, 2, v141
	v_cmp_eq_u32_e64 s3, 3, v141
	;; [unrolled: 1-line block ×3, first 2 shown]
	ds_load_2addr_b32 v[129:130], v135 offset1:17
	ds_load_2addr_b32 v[131:132], v135 offset0:34 offset1:51
	ds_load_2addr_b32 v[133:134], v135 offset0:68 offset1:85
	;; [unrolled: 1-line block ×3, first 2 shown]
	v_cmp_eq_u32_e64 s5, 5, v141
	v_cmp_eq_u32_e64 s6, 7, v141
	s_waitcnt lgkmcnt(3)
	v_max3_f32 v136, v129, 0xff7fffff, v130
	s_waitcnt lgkmcnt(2)
	s_delay_alu instid0(VALU_DEP_1) | instskip(SKIP_1) | instid1(VALU_DEP_1)
	v_max3_f32 v136, v136, v131, v132
	s_waitcnt lgkmcnt(1)
	v_max3_f32 v136, v136, v133, v134
	s_waitcnt lgkmcnt(0)
	s_delay_alu instid0(VALU_DEP_1) | instskip(NEXT) | instid1(VALU_DEP_1)
	v_max3_f32 v136, v136, v159, v160
	v_sub_f32_e32 v142, v130, v136
	ds_load_2addr_b32 v[161:162], v135 offset0:136 offset1:153
	v_sub_f32_e32 v164, v132, v136
	v_mul_f32_e32 v142, 0x3fb8aa3b, v142
	s_delay_alu instid0(VALU_DEP_2) | instskip(NEXT) | instid1(VALU_DEP_2)
	v_mul_f32_e32 v164, 0x3fb8aa3b, v164
	v_exp_f32_e32 v166, v142
	v_sub_f32_e32 v129, v129, v136
	s_delay_alu instid0(VALU_DEP_2) | instskip(NEXT) | instid1(VALU_DEP_1)
	v_exp_f32_e32 v164, v164
	v_mul_f32_e32 v163, 0x3fb8aa3b, v129
	ds_load_2addr_b32 v[129:130], v135 offset0:170 offset1:187
	v_exp_f32_e32 v163, v163
	s_waitcnt lgkmcnt(1)
	s_waitcnt_depctr 0xfff
	v_fma_f32 v142, v163, v161, 0
	v_sub_f32_e32 v161, v134, v136
	s_delay_alu instid0(VALU_DEP_2) | instskip(NEXT) | instid1(VALU_DEP_1)
	v_dual_fmac_f32 v142, v166, v162 :: v_dual_sub_f32 v131, v131, v136
	v_mul_f32_e32 v165, 0x3fb8aa3b, v131
	ds_load_2addr_b32 v[131:132], v135 offset0:204 offset1:221
	v_exp_f32_e32 v165, v165
	s_waitcnt lgkmcnt(1)
	s_waitcnt_depctr 0xfff
	v_fmac_f32_e32 v142, v165, v129
	v_sub_f32_e32 v133, v133, v136
	v_sub_f32_e32 v129, v160, v136
	s_delay_alu instid0(VALU_DEP_2) | instskip(NEXT) | instid1(VALU_DEP_2)
	v_dual_fmac_f32 v142, v164, v130 :: v_dual_mul_f32 v167, 0x3fb8aa3b, v133
	v_mul_f32_e32 v129, 0x3fb8aa3b, v129
	ds_load_2addr_b32 v[133:134], v135 offset0:238 offset1:255
	v_cndmask_b32_e32 v130, v163, v166, vcc_lo
	s_waitcnt lgkmcnt(0)
	s_barrier
	v_exp_f32_e32 v162, v129
	v_sub_f32_e32 v135, v159, v136
	v_mul_f32_e32 v159, 0x3fb8aa3b, v161
	v_exp_f32_e32 v161, v167
	buffer_gl0_inv
	v_exp_f32_e32 v159, v159
	v_fmac_f32_e32 v142, v161, v131
	s_waitcnt_depctr 0xfff
	v_dual_mul_f32 v135, 0x3fb8aa3b, v135 :: v_dual_fmac_f32 v142, v159, v132
	s_delay_alu instid0(VALU_DEP_1) | instskip(SKIP_2) | instid1(VALU_DEP_1)
	v_exp_f32_e32 v160, v135
	s_waitcnt_depctr 0xfff
	v_dual_fmac_f32 v142, v160, v133 :: v_dual_lshlrev_b32 v133, 6, v140
	v_fmac_f32_e32 v142, v162, v134
	s_delay_alu instid0(VALU_DEP_2) | instskip(NEXT) | instid1(VALU_DEP_2)
	v_lshl_or_b32 v135, v141, 11, v133
	v_add_f32_e32 v134, 0x358637bd, v142
	s_delay_alu instid0(VALU_DEP_1) | instskip(SKIP_1) | instid1(VALU_DEP_2)
	v_div_scale_f32 v167, null, v134, v134, 1.0
	v_div_scale_f32 v163, vcc_lo, 1.0, v134, 1.0
	v_rcp_f32_e32 v168, v167
	s_waitcnt_depctr 0xfff
	v_fma_f32 v129, -v167, v168, 1.0
	s_delay_alu instid0(VALU_DEP_1) | instskip(SKIP_2) | instid1(VALU_DEP_2)
	v_fmac_f32_e32 v168, v129, v168
	v_cndmask_b32_e64 v129, v130, v165, s2
	v_cmp_eq_u32_e64 s2, 6, v141
	v_cndmask_b32_e64 v130, v129, v164, s3
	v_lshlrev_b32_e32 v129, 2, v138
	v_mul_f32_e32 v165, v163, v168
	s_delay_alu instid0(VALU_DEP_3) | instskip(NEXT) | instid1(VALU_DEP_3)
	v_cndmask_b32_e64 v161, v130, v161, s4
	v_or_b32_e32 v130, 1, v129
	s_delay_alu instid0(VALU_DEP_3)
	v_fma_f32 v131, -v167, v165, v163
	v_or_b32_e32 v132, 2, v129
	v_cmp_eq_u32_e64 s3, 1, v129
	v_cndmask_b32_e64 v141, v161, v159, s5
	v_cmp_eq_u32_e64 s8, 1, v130
	v_fmac_f32_e32 v165, v131, v168
	v_or_b32_e32 v131, 3, v129
	v_cmp_eq_u32_e64 s9, 1, v132
	v_cndmask_b32_e64 v141, v141, v160, s2
	v_cmp_eq_u32_e64 s4, 2, v129
	v_fma_f32 v159, -v167, v165, v163
	v_cmp_eq_u32_e64 s10, 1, v131
	v_cmp_eq_u32_e64 s15, 2, v131
	v_cndmask_b32_e64 v141, v141, v162, s6
	v_cmp_eq_u32_e64 s11, 2, v130
	v_div_fmas_f32 v159, v159, v168, v165
	v_cmp_eq_u32_e64 s17, 3, v131
	v_cmp_eq_u32_e32 vcc_lo, 3, v129
	v_cmp_eq_u32_e64 s12, 3, v130
	v_cmp_eq_u32_e64 s13, 2, v132
	v_div_fixup_f32 v159, v159, v134, 1.0
	v_lshl_or_b32 v134, v138, 4, v135
	v_cmp_eq_u32_e64 s21, 4, v131
	v_cmp_eq_u32_e64 s2, 4, v129
	;; [unrolled: 1-line block ×3, first 2 shown]
	v_mul_f32_e32 v141, v141, v159
	v_cmp_eq_u32_e64 s18, 4, v130
	v_cmp_eq_u32_e64 s23, 5, v131
	;; [unrolled: 1-line block ×4, first 2 shown]
	v_fma_mixlo_f16 v159, v141, v144, 0
	v_fma_mixlo_f16 v160, v141, v146, 0
	;; [unrolled: 1-line block ×8, first 2 shown]
	v_fma_mixhi_f16 v159, v141, v143, 0
	v_fma_mixhi_f16 v160, v141, v145, 0
	;; [unrolled: 1-line block ×8, first 2 shown]
	ds_store_b128 v134, v[159:162]
	ds_store_b128 v134, v[163:166] offset:1024
	s_waitcnt lgkmcnt(0)
	s_barrier
	buffer_gl0_inv
	ds_load_b128 v[143:146], v135
	ds_load_b128 v[147:150], v135 offset:16
	ds_load_b128 v[151:154], v135 offset:1024
	;; [unrolled: 1-line block ×3, first 2 shown]
	v_cmp_eq_u32_e64 s20, 4, v132
	v_cmp_eq_u32_e64 s26, 6, v131
	;; [unrolled: 1-line block ×10, first 2 shown]
	s_waitcnt lgkmcnt(3)
	v_lshrrev_b32_e32 v141, 16, v143
	s_waitcnt lgkmcnt(2)
	v_lshrrev_b32_e32 v162, 16, v147
	v_lshrrev_b32_e32 v159, 16, v144
	;; [unrolled: 1-line block ×3, first 2 shown]
	s_waitcnt lgkmcnt(1)
	v_lshrrev_b32_e32 v166, 16, v151
	v_cndmask_b32_e64 v174, v143, v141, s3
	v_cndmask_b32_e64 v176, v143, v141, s8
	;; [unrolled: 1-line block ×5, first 2 shown]
	s_waitcnt lgkmcnt(0)
	v_lshrrev_b32_e32 v170, 16, v155
	v_cndmask_b32_e64 v175, v147, v162, s3
	v_cndmask_b32_e64 v177, v147, v162, s8
	v_cndmask_b32_e64 v141, v141, v144, s15
	v_cndmask_b32_e64 v143, v143, v148, s15
	v_cndmask_b32_e64 v179, v147, v162, s9
	v_cndmask_b32_e64 v147, v151, v166, s3
	v_cndmask_b32_e64 v162, v155, v170, s3
	v_cndmask_b32_e64 v180, v151, v166, s8
	v_cndmask_b32_e64 v181, v155, v170, s8
	v_cndmask_b32_e64 v182, v151, v166, s9
	v_cndmask_b32_e64 v183, v155, v170, s9
	v_cndmask_b32_e64 v151, v151, v166, s10
	v_cndmask_b32_e64 v155, v155, v170, s10
	v_cndmask_b32_e64 v166, v174, v144, s4
	v_cndmask_b32_e64 v170, v175, v148, s4
	v_cndmask_b32_e64 v174, v176, v144, s11
	v_cndmask_b32_e64 v175, v177, v148, s11
	v_cndmask_b32_e64 v141, v141, v159, s17
	v_cndmask_b32_e64 v143, v143, v163, s17
	v_lshrrev_b32_e32 v160, 16, v145
	v_lshrrev_b32_e32 v164, 16, v149
	;; [unrolled: 1-line block ×4, first 2 shown]
	v_cndmask_b32_e64 v176, v178, v144, s13
	v_cndmask_b32_e64 v177, v179, v148, s13
	;; [unrolled: 1-line block ×8, first 2 shown]
	v_cndmask_b32_e32 v155, v166, v159, vcc_lo
	v_cndmask_b32_e32 v166, v170, v163, vcc_lo
	v_cndmask_b32_e64 v170, v174, v159, s12
	v_cndmask_b32_e64 v174, v175, v163, s12
	;; [unrolled: 1-line block ×6, first 2 shown]
	v_cndmask_b32_e32 v144, v144, v167, vcc_lo
	v_cndmask_b32_e32 v147, v147, v171, vcc_lo
	v_cndmask_b32_e64 v148, v148, v167, s12
	v_cndmask_b32_e64 v155, v155, v145, s2
	;; [unrolled: 1-line block ×7, first 2 shown]
	v_lshrrev_b32_e32 v161, 16, v146
	v_lshrrev_b32_e32 v165, 16, v150
	;; [unrolled: 1-line block ×4, first 2 shown]
	v_cndmask_b32_e64 v170, v175, v145, s20
	v_cndmask_b32_e64 v174, v176, v149, s20
	;; [unrolled: 1-line block ×22, first 2 shown]
	v_lshrrev_b32_e32 v169, 16, v154
	v_cndmask_b32_e64 v160, v163, v146, s25
	v_cndmask_b32_e64 v163, v166, v150, s25
	;; [unrolled: 1-line block ×9, first 2 shown]
	v_perm_b32 v146, v143, v141, 0x5040100
	v_cndmask_b32_e64 v141, v183, v156, s13
	v_cndmask_b32_e64 v143, v181, v156, s11
	v_cndmask_b32_e64 v155, v160, v161, s27
	v_cndmask_b32_e64 v161, v144, v169, s7
	v_perm_b32 v144, v159, v149, 0x5040100
	v_cndmask_b32_e64 v149, v162, v167, s16
	v_cndmask_b32_e64 v151, v151, v167, s17
	;; [unrolled: 1-line block ×15, first 2 shown]
	v_lshrrev_b32_e32 v173, 16, v158
	v_cndmask_b32_e64 v149, v149, v154, s25
	v_cndmask_b32_e64 v151, v151, v154, s26
	;; [unrolled: 1-line block ×13, first 2 shown]
	v_perm_b32 v145, v160, v155, 0x5040100
	v_perm_b32 v143, v148, v147, 0x5040100
	;; [unrolled: 1-line block ×6, first 2 shown]
	s_mul_i32 s6, s33, 14
	s_mov_b32 s2, exec_lo
	ds_store_b128 v134, v[143:146]
	ds_store_b128 v134, v[147:150] offset:1024
	v_cmpx_gt_u32_e32 14, v0
	s_cbranch_execz .LBB299_14
; %bb.13:
	s_mul_i32 s3, s6, s30
	s_load_b128 s[8:11], s[0:1], 0x58
	v_add3_u32 v143, s3, s31, v140
	s_delay_alu instid0(VALU_DEP_1) | instskip(NEXT) | instid1(VALU_DEP_1)
	v_mad_u64_u32 v[140:141], null, v143, s34, s[14:15]
	v_ashrrev_i32_e32 v141, 31, v140
	s_delay_alu instid0(VALU_DEP_1) | instskip(SKIP_1) | instid1(VALU_DEP_1)
	v_lshlrev_b64 v[140:141], 2, v[140:141]
	s_waitcnt lgkmcnt(0)
	v_add_co_u32 v143, vcc_lo, s10, v140
	s_delay_alu instid0(VALU_DEP_2)
	v_add_co_ci_u32_e32 v144, vcc_lo, s11, v141, vcc_lo
	v_add_co_u32 v140, vcc_lo, s8, v140
	v_add_co_ci_u32_e32 v141, vcc_lo, s9, v141, vcc_lo
	global_store_b32 v[143:144], v136, off
	global_store_b32 v[140:141], v142, off
.LBB299_14:
	s_or_b32 exec_lo, exec_lo, s2
	s_waitcnt lgkmcnt(0)
	s_waitcnt_vscnt null, 0x0
	s_barrier
	buffer_gl0_inv
	ds_load_b128 v[148:151], v133
	ds_load_b128 v[152:155], v133 offset:16
	ds_load_b128 v[160:163], v133 offset:1040
	;; [unrolled: 1-line block ×5, first 2 shown]
	v_cmp_eq_u32_e32 vcc_lo, 1, v132
	v_mov_b32_e32 v140, 0
	ds_load_b128 v[176:179], v133 offset:3088
	ds_load_b128 v[172:175], v133 offset:3072
	;; [unrolled: 1-line block ×4, first 2 shown]
	v_cmp_eq_u32_e64 s2, 1, v129
	v_cmp_eq_u32_e64 s3, 1, v131
	;; [unrolled: 1-line block ×3, first 2 shown]
	v_mov_b32_e32 v141, v140
	v_mov_b32_e32 v142, v140
	v_mov_b32_e32 v143, v140
	v_mov_b32_e32 v144, v140
	v_mov_b32_e32 v145, v140
	v_mov_b32_e32 v146, v140
	v_mov_b32_e32 v147, v140
	v_cmp_eq_u32_e64 s5, 2, v129
	s_waitcnt lgkmcnt(8)
	s_delay_alu instid0(VALU_DEP_2)
	v_wmma_f32_16x16x16_f16 v[140:147], v[121:128], v[148:155], v[140:147]
	ds_load_b128 v[125:128], v133 offset:5136
	ds_load_b128 v[121:124], v133 offset:5120
	s_waitcnt lgkmcnt(8)
	v_wmma_f32_16x16x16_f16 v[140:147], v[113:120], v[156:163], v[140:147]
	ds_load_b128 v[117:120], v133 offset:6160
	ds_load_b128 v[113:116], v133 offset:6144
	s_waitcnt lgkmcnt(8)
	;; [unrolled: 4-line block ×11, first 2 shown]
	s_barrier
	buffer_gl0_inv
	v_wmma_f32_16x16x16_f16 v[140:147], v[1:8], v[73:80], v[140:147]
	s_delay_alu instid0(VALU_DEP_1) | instskip(NEXT) | instid1(VALU_DEP_1)
	v_wmma_f32_16x16x16_f16 v[140:147], v[9:16], v[65:72], v[140:147]
	v_wmma_f32_16x16x16_f16 v[140:147], v[33:40], v[57:64], v[140:147]
	s_delay_alu instid0(VALU_DEP_1) | instskip(NEXT) | instid1(VALU_DEP_1)
	v_wmma_f32_16x16x16_f16 v[140:147], v[41:48], v[49:56], v[140:147]
	v_wmma_f32_16x16x16_f16 v[140:147], v[17:24], v[25:32], v[140:147]
	s_delay_alu instid0(VALU_DEP_1) | instskip(NEXT) | instid1(VALU_DEP_2)
	v_cvt_f16_f32_e64 v1, v140
	v_cvt_f16_f32_e64 v2, v141
	s_delay_alu instid0(VALU_DEP_3) | instskip(NEXT) | instid1(VALU_DEP_4)
	v_cvt_f16_f32_e64 v3, v142
	v_cvt_f16_f32_e64 v4, v143
	;; [unrolled: 1-line block ×6, first 2 shown]
	v_pack_b32_f16 v1, v1, v2
	v_pack_b32_f16 v2, v3, v4
	;; [unrolled: 1-line block ×3, first 2 shown]
	s_delay_alu instid0(VALU_DEP_4)
	v_pack_b32_f16 v4, v7, v8
	ds_store_b128 v134, v[1:4]
	s_waitcnt lgkmcnt(0)
	s_barrier
	buffer_gl0_inv
	ds_load_b128 v[1:4], v135
	ds_load_b128 v[5:8], v135 offset:16
	s_waitcnt lgkmcnt(1)
	v_lshrrev_b32_e32 v9, 16, v1
	s_waitcnt lgkmcnt(0)
	v_lshrrev_b32_e32 v13, 16, v5
	v_lshrrev_b32_e32 v10, 16, v2
	;; [unrolled: 1-line block ×4, first 2 shown]
	v_cndmask_b32_e64 v17, v1, v9, s2
	v_cndmask_b32_e64 v18, v5, v13, s2
	;; [unrolled: 1-line block ×3, first 2 shown]
	v_cmp_eq_u32_e64 s2, 2, v130
	v_cndmask_b32_e64 v20, v5, v13, s4
	v_cndmask_b32_e32 v21, v1, v9, vcc_lo
	v_cndmask_b32_e32 v22, v5, v13, vcc_lo
	v_cndmask_b32_e64 v1, v1, v9, s3
	v_cndmask_b32_e64 v5, v5, v13, s3
	v_cmp_eq_u32_e32 vcc_lo, 2, v132
	v_cmp_eq_u32_e64 s3, 2, v131
	v_cndmask_b32_e64 v9, v17, v2, s5
	v_cndmask_b32_e64 v13, v18, v6, s5
	;; [unrolled: 1-line block ×4, first 2 shown]
	v_cndmask_b32_e32 v19, v21, v2, vcc_lo
	v_cmp_eq_u32_e64 s2, 3, v132
	v_cndmask_b32_e32 v20, v22, v6, vcc_lo
	v_cndmask_b32_e64 v1, v1, v2, s3
	v_cmp_eq_u32_e32 vcc_lo, 3, v131
	v_cmp_eq_u32_e64 s4, 3, v129
	v_cndmask_b32_e64 v2, v5, v6, s3
	v_cmp_eq_u32_e64 s3, 3, v130
	v_cmp_eq_u32_e64 s5, 4, v129
	v_cndmask_b32_e32 v1, v1, v10, vcc_lo
	v_cndmask_b32_e64 v5, v9, v10, s4
	v_cndmask_b32_e64 v6, v13, v14, s4
	;; [unrolled: 1-line block ×3, first 2 shown]
	v_cmp_eq_u32_e64 s4, 4, v130
	v_cndmask_b32_e64 v13, v18, v14, s3
	v_cndmask_b32_e64 v17, v19, v10, s2
	;; [unrolled: 1-line block ×3, first 2 shown]
	v_cndmask_b32_e32 v2, v2, v14, vcc_lo
	v_cmp_eq_u32_e32 vcc_lo, 4, v132
	v_cmp_eq_u32_e64 s3, 4, v131
	v_lshrrev_b32_e32 v15, 16, v7
	v_cndmask_b32_e64 v5, v5, v3, s5
	v_cndmask_b32_e64 v6, v6, v7, s5
	v_cndmask_b32_e32 v14, v18, v7, vcc_lo
	v_cndmask_b32_e64 v9, v9, v3, s4
	v_cndmask_b32_e64 v10, v13, v7, s4
	v_cndmask_b32_e32 v13, v17, v3, vcc_lo
	v_cmp_eq_u32_e64 s2, 5, v132
	v_cndmask_b32_e64 v1, v1, v3, s3
	v_cmp_eq_u32_e32 vcc_lo, 5, v131
	v_cmp_eq_u32_e64 s4, 5, v129
	v_cndmask_b32_e64 v2, v2, v7, s3
	v_cmp_eq_u32_e64 s3, 5, v130
	v_cmp_eq_u32_e64 s5, 6, v129
	v_lshrrev_b32_e32 v12, 16, v4
	v_cndmask_b32_e64 v3, v5, v11, s4
	v_cndmask_b32_e64 v5, v6, v15, s4
	;; [unrolled: 1-line block ×3, first 2 shown]
	v_cmp_eq_u32_e64 s4, 6, v130
	v_cndmask_b32_e64 v7, v10, v15, s3
	v_cndmask_b32_e64 v9, v13, v11, s2
	v_cndmask_b32_e64 v10, v14, v15, s2
	v_cndmask_b32_e32 v1, v1, v11, vcc_lo
	v_cndmask_b32_e32 v2, v2, v15, vcc_lo
	v_cmp_eq_u32_e32 vcc_lo, 6, v132
	v_cmp_eq_u32_e64 s2, 6, v131
	v_lshrrev_b32_e32 v16, 16, v8
	v_cndmask_b32_e64 v3, v3, v4, s5
	v_cndmask_b32_e64 v5, v5, v8, s5
	v_cndmask_b32_e32 v9, v9, v4, vcc_lo
	v_cndmask_b32_e64 v6, v6, v4, s4
	v_cndmask_b32_e64 v7, v7, v8, s4
	v_cmp_eq_u32_e64 s3, 7, v132
	v_cndmask_b32_e32 v10, v10, v8, vcc_lo
	v_cndmask_b32_e64 v1, v1, v4, s2
	v_cmp_eq_u32_e32 vcc_lo, 7, v131
	v_cndmask_b32_e64 v2, v2, v8, s2
	v_cmp_eq_u32_e64 s2, 7, v129
	v_cmp_eq_u32_e64 s4, 7, v130
	v_cndmask_b32_e32 v1, v1, v12, vcc_lo
	s_delay_alu instid0(VALU_DEP_4) | instskip(NEXT) | instid1(VALU_DEP_4)
	v_cndmask_b32_e32 v2, v2, v16, vcc_lo
	v_cndmask_b32_e64 v8, v3, v12, s2
	s_delay_alu instid0(VALU_DEP_4)
	v_cndmask_b32_e64 v6, v6, v12, s4
	v_cndmask_b32_e64 v3, v9, v12, s3
	;; [unrolled: 1-line block ×5, first 2 shown]
	v_perm_b32 v4, v2, v1, 0x5040100
	s_mov_b32 s2, exec_lo
	v_perm_b32 v3, v9, v3, 0x5040100
	v_perm_b32 v2, v7, v6, 0x5040100
	;; [unrolled: 1-line block ×3, first 2 shown]
	ds_store_b128 v134, v[1:4]
	s_waitcnt lgkmcnt(0)
	s_barrier
	buffer_gl0_inv
	v_cmpx_gt_u32_e32 32, v0
	s_cbranch_execz .LBB299_2
; %bb.15:
	s_load_b64 s[0:1], s[0:1], 0x68
	v_lshlrev_b32_e32 v0, 10, v0
	s_lshl_b32 s4, s34, 7
	v_or_b32_e32 v3, s31, v138
	s_mul_i32 s2, s4, s30
	v_lshlrev_b32_e32 v1, 4, v139
	v_lshlrev_b32_e32 v2, 6, v138
	v_and_b32_e32 v0, 0x3800, v0
	s_mul_i32 s2, s2, s6
	v_mul_lo_u32 v8, v3, s4
	s_ashr_i32 s3, s2, 31
	s_delay_alu instid0(SALU_CYCLE_1)
	s_lshl_b64 s[2:3], s[2:3], 1
	v_or3_b32 v16, v0, v1, v2
	ds_load_b128 v[0:3], v16
	ds_load_b128 v[4:7], v16 offset:128
	v_ashrrev_i32_e32 v9, 31, v8
	s_waitcnt lgkmcnt(0)
	s_add_u32 s2, s0, s2
	s_addc_u32 s3, s1, s3
	s_lshl_b32 s0, s14, 7
	s_delay_alu instid0(SALU_CYCLE_1) | instskip(SKIP_2) | instid1(SALU_CYCLE_1)
	s_ashr_i32 s1, s0, 31
	v_lshlrev_b64 v[9:10], 1, v[8:9]
	s_lshl_b64 s[0:1], s[0:1], 1
	s_add_u32 s0, s2, s0
	s_addc_u32 s1, s3, s1
	s_lshl_b32 s2, s34, 8
	v_add_co_u32 v30, s0, s0, v137
	v_add_nc_u32_e32 v11, s2, v8
	v_add_co_ci_u32_e64 v31, null, s1, 0, s0
	s_delay_alu instid0(VALU_DEP_3) | instskip(NEXT) | instid1(VALU_DEP_3)
	v_add_co_u32 v9, vcc_lo, v30, v9
	v_add_nc_u32_e32 v8, s2, v11
	s_delay_alu instid0(VALU_DEP_3) | instskip(SKIP_1) | instid1(VALU_DEP_3)
	v_add_co_ci_u32_e32 v10, vcc_lo, v31, v10, vcc_lo
	v_ashrrev_i32_e32 v12, 31, v11
	v_add_nc_u32_e32 v13, s2, v8
	global_store_b128 v[9:10], v[0:3], off
	v_ashrrev_i32_e32 v9, 31, v8
	v_lshlrev_b64 v[11:12], 1, v[11:12]
	v_ashrrev_i32_e32 v14, 31, v13
	v_add_nc_u32_e32 v10, s2, v13
	s_delay_alu instid0(VALU_DEP_4) | instskip(NEXT) | instid1(VALU_DEP_4)
	v_lshlrev_b64 v[2:3], 1, v[8:9]
	v_add_co_u32 v0, vcc_lo, v30, v11
	s_delay_alu instid0(VALU_DEP_4)
	v_lshlrev_b64 v[8:9], 1, v[13:14]
	v_add_co_ci_u32_e32 v1, vcc_lo, v31, v12, vcc_lo
	v_ashrrev_i32_e32 v11, 31, v10
	v_add_co_u32 v22, vcc_lo, v30, v2
	v_add_nc_u32_e32 v20, s2, v10
	v_add_co_ci_u32_e32 v23, vcc_lo, v31, v3, vcc_lo
	v_add_co_u32 v24, vcc_lo, v30, v8
	global_store_b128 v[0:1], v[4:7], off
	v_add_co_ci_u32_e32 v25, vcc_lo, v31, v9, vcc_lo
	ds_load_b128 v[0:3], v16 offset:256
	ds_load_b128 v[4:7], v16 offset:384
	v_lshlrev_b64 v[26:27], 1, v[10:11]
	ds_load_b128 v[8:11], v16 offset:512
	ds_load_b128 v[12:15], v16 offset:640
	;; [unrolled: 1-line block ×3, first 2 shown]
	v_add_nc_u32_e32 v28, s2, v20
	v_ashrrev_i32_e32 v21, 31, v20
	v_add_co_u32 v26, vcc_lo, v30, v26
	s_delay_alu instid0(VALU_DEP_3) | instskip(NEXT) | instid1(VALU_DEP_3)
	v_ashrrev_i32_e32 v29, 31, v28
	v_lshlrev_b64 v[20:21], 1, v[20:21]
	v_add_co_ci_u32_e32 v27, vcc_lo, v31, v27, vcc_lo
	s_delay_alu instid0(VALU_DEP_3) | instskip(NEXT) | instid1(VALU_DEP_3)
	v_lshlrev_b64 v[28:29], 1, v[28:29]
	v_add_co_u32 v20, vcc_lo, v30, v20
	s_delay_alu instid0(VALU_DEP_4) | instskip(NEXT) | instid1(VALU_DEP_3)
	v_add_co_ci_u32_e32 v21, vcc_lo, v31, v21, vcc_lo
	v_add_co_u32 v28, vcc_lo, v30, v28
	s_delay_alu instid0(VALU_DEP_4)
	v_add_co_ci_u32_e32 v29, vcc_lo, v31, v29, vcc_lo
	s_waitcnt lgkmcnt(4)
	global_store_b128 v[22:23], v[0:3], off
	s_waitcnt lgkmcnt(3)
	global_store_b128 v[24:25], v[4:7], off
	;; [unrolled: 2-line block ×5, first 2 shown]
	s_nop 0
	s_sendmsg sendmsg(MSG_DEALLOC_VGPRS)
	s_endpgm
	.section	.rodata,"a",@progbits
	.p2align	6, 0x0
	.amdhsa_kernel _Z39paged_attention_ll4mi_QKV_mfma16_kernelIDF16_DF16_LN4vllm18Fp8KVCacheDataTypeE0EDF16_Li16ELi128ELi256ELb0ELi14EL8MFMAType0EEvPKT_PKT0_S8_ifPKiSA_SA_iPKfiiiPfSD_PS3_PT2_iSC_SC_
		.amdhsa_group_segment_fixed_size 17472
		.amdhsa_private_segment_fixed_size 0
		.amdhsa_kernarg_size 400
		.amdhsa_user_sgpr_count 13
		.amdhsa_user_sgpr_dispatch_ptr 0
		.amdhsa_user_sgpr_queue_ptr 0
		.amdhsa_user_sgpr_kernarg_segment_ptr 1
		.amdhsa_user_sgpr_dispatch_id 0
		.amdhsa_user_sgpr_private_segment_size 0
		.amdhsa_wavefront_size32 1
		.amdhsa_uses_dynamic_stack 0
		.amdhsa_enable_private_segment 0
		.amdhsa_system_sgpr_workgroup_id_x 1
		.amdhsa_system_sgpr_workgroup_id_y 1
		.amdhsa_system_sgpr_workgroup_id_z 1
		.amdhsa_system_sgpr_workgroup_info 0
		.amdhsa_system_vgpr_workitem_id 0
		.amdhsa_next_free_vgpr 218
		.amdhsa_next_free_sgpr 52
		.amdhsa_reserve_vcc 1
		.amdhsa_float_round_mode_32 0
		.amdhsa_float_round_mode_16_64 0
		.amdhsa_float_denorm_mode_32 3
		.amdhsa_float_denorm_mode_16_64 3
		.amdhsa_dx10_clamp 1
		.amdhsa_ieee_mode 1
		.amdhsa_fp16_overflow 0
		.amdhsa_workgroup_processor_mode 1
		.amdhsa_memory_ordered 1
		.amdhsa_forward_progress 0
		.amdhsa_shared_vgpr_count 0
		.amdhsa_exception_fp_ieee_invalid_op 0
		.amdhsa_exception_fp_denorm_src 0
		.amdhsa_exception_fp_ieee_div_zero 0
		.amdhsa_exception_fp_ieee_overflow 0
		.amdhsa_exception_fp_ieee_underflow 0
		.amdhsa_exception_fp_ieee_inexact 0
		.amdhsa_exception_int_div_zero 0
	.end_amdhsa_kernel
	.section	.text._Z39paged_attention_ll4mi_QKV_mfma16_kernelIDF16_DF16_LN4vllm18Fp8KVCacheDataTypeE0EDF16_Li16ELi128ELi256ELb0ELi14EL8MFMAType0EEvPKT_PKT0_S8_ifPKiSA_SA_iPKfiiiPfSD_PS3_PT2_iSC_SC_,"axG",@progbits,_Z39paged_attention_ll4mi_QKV_mfma16_kernelIDF16_DF16_LN4vllm18Fp8KVCacheDataTypeE0EDF16_Li16ELi128ELi256ELb0ELi14EL8MFMAType0EEvPKT_PKT0_S8_ifPKiSA_SA_iPKfiiiPfSD_PS3_PT2_iSC_SC_,comdat
.Lfunc_end299:
	.size	_Z39paged_attention_ll4mi_QKV_mfma16_kernelIDF16_DF16_LN4vllm18Fp8KVCacheDataTypeE0EDF16_Li16ELi128ELi256ELb0ELi14EL8MFMAType0EEvPKT_PKT0_S8_ifPKiSA_SA_iPKfiiiPfSD_PS3_PT2_iSC_SC_, .Lfunc_end299-_Z39paged_attention_ll4mi_QKV_mfma16_kernelIDF16_DF16_LN4vllm18Fp8KVCacheDataTypeE0EDF16_Li16ELi128ELi256ELb0ELi14EL8MFMAType0EEvPKT_PKT0_S8_ifPKiSA_SA_iPKfiiiPfSD_PS3_PT2_iSC_SC_
                                        ; -- End function
	.section	.AMDGPU.csdata,"",@progbits
; Kernel info:
; codeLenInByte = 8220
; NumSgprs: 54
; NumVgprs: 218
; ScratchSize: 0
; MemoryBound: 0
; FloatMode: 240
; IeeeMode: 1
; LDSByteSize: 17472 bytes/workgroup (compile time only)
; SGPRBlocks: 6
; VGPRBlocks: 27
; NumSGPRsForWavesPerEU: 54
; NumVGPRsForWavesPerEU: 218
; Occupancy: 6
; WaveLimiterHint : 1
; COMPUTE_PGM_RSRC2:SCRATCH_EN: 0
; COMPUTE_PGM_RSRC2:USER_SGPR: 13
; COMPUTE_PGM_RSRC2:TRAP_HANDLER: 0
; COMPUTE_PGM_RSRC2:TGID_X_EN: 1
; COMPUTE_PGM_RSRC2:TGID_Y_EN: 1
; COMPUTE_PGM_RSRC2:TGID_Z_EN: 1
; COMPUTE_PGM_RSRC2:TIDIG_COMP_CNT: 0
	.section	.text._Z39paged_attention_ll4mi_QKV_mfma16_kernelIDF16_DF16_LN4vllm18Fp8KVCacheDataTypeE0EDF16_Li16ELi128ELi256ELb0ELi15EL8MFMAType0EEvPKT_PKT0_S8_ifPKiSA_SA_iPKfiiiPfSD_PS3_PT2_iSC_SC_,"axG",@progbits,_Z39paged_attention_ll4mi_QKV_mfma16_kernelIDF16_DF16_LN4vllm18Fp8KVCacheDataTypeE0EDF16_Li16ELi128ELi256ELb0ELi15EL8MFMAType0EEvPKT_PKT0_S8_ifPKiSA_SA_iPKfiiiPfSD_PS3_PT2_iSC_SC_,comdat
	.protected	_Z39paged_attention_ll4mi_QKV_mfma16_kernelIDF16_DF16_LN4vllm18Fp8KVCacheDataTypeE0EDF16_Li16ELi128ELi256ELb0ELi15EL8MFMAType0EEvPKT_PKT0_S8_ifPKiSA_SA_iPKfiiiPfSD_PS3_PT2_iSC_SC_ ; -- Begin function _Z39paged_attention_ll4mi_QKV_mfma16_kernelIDF16_DF16_LN4vllm18Fp8KVCacheDataTypeE0EDF16_Li16ELi128ELi256ELb0ELi15EL8MFMAType0EEvPKT_PKT0_S8_ifPKiSA_SA_iPKfiiiPfSD_PS3_PT2_iSC_SC_
	.globl	_Z39paged_attention_ll4mi_QKV_mfma16_kernelIDF16_DF16_LN4vllm18Fp8KVCacheDataTypeE0EDF16_Li16ELi128ELi256ELb0ELi15EL8MFMAType0EEvPKT_PKT0_S8_ifPKiSA_SA_iPKfiiiPfSD_PS3_PT2_iSC_SC_
	.p2align	8
	.type	_Z39paged_attention_ll4mi_QKV_mfma16_kernelIDF16_DF16_LN4vllm18Fp8KVCacheDataTypeE0EDF16_Li16ELi128ELi256ELb0ELi15EL8MFMAType0EEvPKT_PKT0_S8_ifPKiSA_SA_iPKfiiiPfSD_PS3_PT2_iSC_SC_,@function
_Z39paged_attention_ll4mi_QKV_mfma16_kernelIDF16_DF16_LN4vllm18Fp8KVCacheDataTypeE0EDF16_Li16ELi128ELi256ELb0ELi15EL8MFMAType0EEvPKT_PKT0_S8_ifPKiSA_SA_iPKfiiiPfSD_PS3_PT2_iSC_SC_: ; @_Z39paged_attention_ll4mi_QKV_mfma16_kernelIDF16_DF16_LN4vllm18Fp8KVCacheDataTypeE0EDF16_Li16ELi128ELi256ELb0ELi15EL8MFMAType0EEvPKT_PKT0_S8_ifPKiSA_SA_iPKfiiiPfSD_PS3_PT2_iSC_SC_
; %bb.0:
	s_load_b64 s[4:5], s[0:1], 0x30
	s_mov_b32 s34, s13
	s_waitcnt lgkmcnt(0)
	s_cmp_lg_u64 s[4:5], 0
	s_cselect_b32 s12, -1, 0
	s_ashr_i32 s35, s13, 31
	s_cmp_eq_u64 s[4:5], 0
	s_cbranch_scc1 .LBB300_3
; %bb.1:
	s_lshl_b64 s[2:3], s[34:35], 2
	s_delay_alu instid0(SALU_CYCLE_1) | instskip(SKIP_4) | instid1(SALU_CYCLE_1)
	s_add_u32 s2, s4, s2
	s_addc_u32 s3, s5, s3
	s_load_b64 s[2:3], s[2:3], 0x0
	s_waitcnt lgkmcnt(0)
	s_sub_i32 s2, s3, s2
	s_cmp_eq_u32 s2, 1
	s_cselect_b32 s2, -1, 0
	s_delay_alu instid0(SALU_CYCLE_1)
	s_and_not1_b32 vcc_lo, exec_lo, s2
	s_cbranch_vccz .LBB300_4
.LBB300_2:
	s_nop 0
	s_sendmsg sendmsg(MSG_DEALLOC_VGPRS)
	s_endpgm
.LBB300_3:
.LBB300_4:
	s_load_b64 s[2:3], s[0:1], 0x28
	s_lshl_b64 s[6:7], s[34:35], 2
	s_waitcnt lgkmcnt(0)
	s_add_u32 s2, s2, s6
	s_addc_u32 s3, s3, s7
	s_lshl_b32 s29, s14, 8
	s_load_b32 s28, s[2:3], 0x0
	s_waitcnt lgkmcnt(0)
	s_cmp_ge_i32 s29, s28
	s_cbranch_scc1 .LBB300_2
; %bb.5:
	s_clause 0x1
	s_load_b128 s[8:11], s[0:1], 0x8
	s_load_b64 s[2:3], s[0:1], 0x20
	s_and_not1_b32 vcc_lo, exec_lo, s12
	s_cbranch_vccnz .LBB300_7
; %bb.6:
	s_add_u32 s4, s4, s6
	s_addc_u32 s5, s5, s7
	s_load_b32 s12, s[4:5], 0x0
	s_branch .LBB300_8
.LBB300_7:
	s_mov_b32 s12, s34
.LBB300_8:
	s_load_b128 s[4:7], s[0:1], 0x48
	v_and_b32_e32 v140, 15, v0
	v_lshrrev_b32_e32 v141, 5, v0
	v_bfe_u32 v138, v0, 4, 1
	v_and_b32_e32 v142, 31, v0
	v_and_b32_e32 v139, 1, v0
	v_lshlrev_b32_e32 v2, 3, v140
	s_mul_i32 s31, s15, 15
	v_lshl_or_b32 v1, v141, 1, v138
	s_waitcnt lgkmcnt(0)
	s_mov_b32 s7, exec_lo
	v_lshlrev_b32_e32 v137, 1, v2
	s_delay_alu instid0(VALU_DEP_2)
	v_cmpx_gt_u32_e32 15, v1
	s_cbranch_execz .LBB300_10
; %bb.9:
	s_load_b64 s[16:17], s[0:1], 0x0
	v_add_lshl_u32 v2, v1, s31, 7
	s_mul_hi_i32 s13, s12, s4
	s_mul_i32 s12, s12, s4
	v_lshlrev_b32_e32 v6, 10, v140
	s_lshl_b64 s[12:13], s[12:13], 1
	v_ashrrev_i32_e32 v3, 31, v2
	v_lshlrev_b32_e32 v1, 6, v1
	v_lshlrev_b32_e32 v7, 10, v139
	v_and_b32_e32 v6, 0x3800, v6
	s_delay_alu instid0(VALU_DEP_4) | instskip(NEXT) | instid1(VALU_DEP_2)
	v_lshlrev_b64 v[2:3], 1, v[2:3]
	v_or3_b32 v1, v6, v7, v1
	s_waitcnt lgkmcnt(0)
	s_add_u32 s4, s16, s12
	s_addc_u32 s12, s17, s13
	s_delay_alu instid0(VALU_DEP_2) | instskip(SKIP_1) | instid1(VALU_DEP_2)
	v_add_co_u32 v2, vcc_lo, s4, v2
	v_add_co_ci_u32_e32 v3, vcc_lo, s12, v3, vcc_lo
	v_add_co_u32 v2, vcc_lo, v2, v137
	s_delay_alu instid0(VALU_DEP_2)
	v_add_co_ci_u32_e32 v3, vcc_lo, 0, v3, vcc_lo
	global_load_b128 v[2:5], v[2:3], off
	s_waitcnt vmcnt(0)
	ds_store_b128 v1, v[2:5]
.LBB300_10:
	s_or_b32 exec_lo, exec_lo, s7
	s_mov_b32 s40, 0
	s_add_i32 s4, s28, 15
	s_mov_b32 s41, s40
	s_mov_b32 s42, s40
	;; [unrolled: 1-line block ×7, first 2 shown]
	s_delay_alu instid0(SALU_CYCLE_1)
	v_dual_mov_b32 v136, s47 :: v_dual_and_b32 v1, 0xef, v0
	v_mov_b32_e32 v134, s45
	s_clause 0x1
	s_load_b32 s7, s[0:1], 0x38
	s_load_b32 s33, s[0:1], 0x98
	v_add_nc_u32_e32 v1, s29, v1
	s_ashr_i32 s12, s4, 31
	s_load_b32 s30, s[0:1], 0x1c
	s_lshr_b32 s12, s12, 28
	s_waitcnt lgkmcnt(0)
	v_ashrrev_i32_e32 v2, 31, v1
	s_add_i32 s4, s4, s12
	v_cmp_gt_i32_e32 vcc_lo, s28, v1
	s_ashr_i32 s4, s4, 4
	v_mov_b32_e32 v132, s43
	v_lshrrev_b32_e32 v3, 28, v2
	v_or_b32_e32 v2, 16, v1
	s_add_i32 s4, s4, -1
	s_barrier
	buffer_gl0_inv
	v_add_nc_u32_e32 v4, v1, v3
	v_add_nc_u32_e32 v3, v2, v3
	v_mov_b32_e32 v135, s46
	s_mul_i32 s12, s34, s7
	v_mov_b32_e32 v133, s44
	v_ashrrev_i32_e32 v4, 4, v4
	v_ashrrev_i32_e32 v3, 4, v3
	s_ashr_i32 s13, s12, 31
	v_lshlrev_b32_e32 v106, 5, v140
	s_lshl_b64 s[12:13], s[12:13], 2
	v_cndmask_b32_e32 v1, s4, v4, vcc_lo
	v_cmp_gt_i32_e32 vcc_lo, s28, v2
	s_add_u32 s35, s2, s12
	s_addc_u32 s36, s3, s13
	s_mul_i32 s2, s15, s6
	v_ashrrev_i32_e32 v2, 31, v1
	v_cndmask_b32_e32 v3, s4, v3, vcc_lo
	s_ashr_i32 s3, s2, 31
	v_lshl_or_b32 v125, v141, 9, v106
	s_lshl_b64 s[2:3], s[2:3], 1
	v_lshlrev_b64 v[1:2], 2, v[1:2]
	v_ashrrev_i32_e32 v4, 31, v3
	s_add_u32 s22, s8, s2
	s_addc_u32 s23, s9, s3
	s_lshl_b32 s6, s14, 4
	v_mov_b32_e32 v131, s42
	v_lshlrev_b64 v[3:4], 2, v[3:4]
	v_add_co_u32 v1, vcc_lo, s35, v1
	v_add_co_ci_u32_e32 v2, vcc_lo, s36, v2, vcc_lo
	s_ashr_i32 s7, s6, 31
	s_delay_alu instid0(VALU_DEP_3) | instskip(NEXT) | instid1(VALU_DEP_4)
	v_add_co_u32 v3, vcc_lo, s35, v3
	v_add_co_ci_u32_e32 v4, vcc_lo, s36, v4, vcc_lo
	s_clause 0x1
	global_load_b32 v5, v[1:2], off
	global_load_b32 v6, v[3:4], off
	s_lshl_b64 s[6:7], s[6:7], 2
	v_dual_mov_b32 v130, s41 :: v_dual_lshlrev_b32 v3, 4, v0
	s_add_u32 s6, s35, s6
	s_addc_u32 s7, s36, s7
	s_or_b32 s8, s29, 16
	v_mov_b32_e32 v129, s40
	s_ashr_i32 s9, s8, 4
	s_cmp_lt_i32 s8, s28
	s_cselect_b32 s8, s9, s4
	s_delay_alu instid0(SALU_CYCLE_1) | instskip(NEXT) | instid1(SALU_CYCLE_1)
	s_ashr_i32 s9, s8, 31
	s_lshl_b64 s[8:9], s[8:9], 2
	s_delay_alu instid0(SALU_CYCLE_1) | instskip(SKIP_2) | instid1(SALU_CYCLE_1)
	s_add_u32 s8, s35, s8
	s_addc_u32 s9, s36, s9
	s_or_b32 s12, s29, 32
	s_ashr_i32 s13, s12, 4
	s_cmp_lt_i32 s12, s28
	s_cselect_b32 s12, s13, s4
	s_delay_alu instid0(SALU_CYCLE_1) | instskip(NEXT) | instid1(SALU_CYCLE_1)
	s_ashr_i32 s13, s12, 31
	s_lshl_b64 s[12:13], s[12:13], 2
	s_delay_alu instid0(SALU_CYCLE_1) | instskip(SKIP_2) | instid1(SALU_CYCLE_1)
	s_add_u32 s12, s35, s12
	s_addc_u32 s13, s36, s13
	s_or_b32 s15, s29, 48
	;; [unrolled: 10-line block ×4, first 2 shown]
	s_ashr_i32 s20, s15, 4
	s_cmp_lt_i32 s15, s28
	s_cselect_b32 s20, s20, s4
	s_delay_alu instid0(SALU_CYCLE_1) | instskip(NEXT) | instid1(SALU_CYCLE_1)
	s_ashr_i32 s21, s20, 31
	s_lshl_b64 s[20:21], s[20:21], 2
	s_delay_alu instid0(SALU_CYCLE_1)
	s_add_u32 s20, s35, s20
	s_addc_u32 s21, s36, s21
	s_clause 0x5
	s_load_b32 s6, s[6:7], 0x0
	s_load_b32 s8, s[8:9], 0x0
	;; [unrolled: 1-line block ×6, first 2 shown]
	s_waitcnt vmcnt(1)
	v_mad_i64_i32 v[1:2], null, v5, s5, 0
	v_and_b32_e32 v5, 0xf0, v3
	s_waitcnt vmcnt(0)
	v_mad_i64_i32 v[3:4], null, v6, s5, 0
	s_delay_alu instid0(VALU_DEP_2) | instskip(NEXT) | instid1(VALU_DEP_4)
	v_add_co_u32 v5, s7, s22, v5
	v_lshlrev_b64 v[1:2], 1, v[1:2]
	v_add_co_ci_u32_e64 v6, null, s23, 0, s7
	s_delay_alu instid0(VALU_DEP_4) | instskip(SKIP_1) | instid1(VALU_DEP_3)
	v_lshlrev_b64 v[3:4], 1, v[3:4]
	s_or_b32 s7, s29, 0x60
	v_add_co_u32 v121, vcc_lo, v5, v1
	s_delay_alu instid0(VALU_DEP_3) | instskip(NEXT) | instid1(VALU_DEP_3)
	v_add_co_ci_u32_e32 v122, vcc_lo, v6, v2, vcc_lo
	v_add_co_u32 v123, vcc_lo, v5, v3
	s_delay_alu instid0(VALU_DEP_4)
	v_add_co_ci_u32_e32 v124, vcc_lo, v6, v4, vcc_lo
	s_clause 0x19
	global_load_b128 v[89:92], v[121:122], off
	global_load_b128 v[93:96], v[121:122], off offset:256
	global_load_b128 v[97:100], v[123:124], off
	global_load_b128 v[101:104], v[123:124], off offset:256
	global_load_b128 v[81:84], v[121:122], off offset:512
	;; [unrolled: 1-line block ×23, first 2 shown]
	s_ashr_i32 s9, s7, 4
	s_cmp_lt_i32 s7, s28
	v_cmp_ne_u32_e32 vcc_lo, 15, v140
	s_cselect_b32 s20, s9, s4
	s_delay_alu instid0(SALU_CYCLE_1) | instskip(NEXT) | instid1(SALU_CYCLE_1)
	s_ashr_i32 s21, s20, 31
	s_lshl_b64 s[20:21], s[20:21], 2
	v_cndmask_b32_e32 v105, 0, v140, vcc_lo
	s_add_u32 s20, s35, s20
	s_addc_u32 s21, s36, s21
	s_or_b32 s7, s29, 0x70
	s_delay_alu instid0(SALU_CYCLE_1)
	s_ashr_i32 s9, s7, 4
	s_cmp_lt_i32 s7, s28
	v_lshlrev_b32_e32 v215, 6, v105
	s_cselect_b32 s22, s9, s4
	ds_load_b128 v[105:108], v215
	ds_load_b128 v[109:112], v215 offset:1024
	s_ashr_i32 s23, s22, 31
	ds_load_b128 v[113:116], v215 offset:2048
	ds_load_b128 v[117:120], v215 offset:3072
	;; [unrolled: 1-line block ×8, first 2 shown]
	s_clause 0x1
	global_load_b128 v[167:170], v[123:124], off offset:3072
	global_load_b128 v[171:174], v[123:124], off offset:3328
	s_lshl_b64 s[22:23], s[22:23], 2
	s_delay_alu instid0(SALU_CYCLE_1)
	s_add_u32 s22, s35, s22
	s_addc_u32 s23, s36, s23
	s_clause 0x1
	s_load_b32 s44, s[20:21], 0x0
	s_load_b32 s45, s[22:23], 0x0
	s_clause 0x3
	global_load_b128 v[175:178], v[121:122], off offset:3584
	global_load_b128 v[179:182], v[121:122], off offset:3840
	;; [unrolled: 1-line block ×4, first 2 shown]
	s_or_b32 s7, s29, 0x80
	s_delay_alu instid0(SALU_CYCLE_1) | instskip(SKIP_2) | instid1(SALU_CYCLE_1)
	s_ashr_i32 s9, s7, 4
	s_cmp_lt_i32 s7, s28
	s_cselect_b32 s24, s9, s4
	s_ashr_i32 s25, s24, 31
	s_delay_alu instid0(SALU_CYCLE_1) | instskip(NEXT) | instid1(SALU_CYCLE_1)
	s_lshl_b64 s[24:25], s[24:25], 2
	s_add_u32 s24, s35, s24
	s_addc_u32 s25, s36, s25
	s_or_b32 s7, s29, 0x90
	s_delay_alu instid0(SALU_CYCLE_1) | instskip(SKIP_2) | instid1(SALU_CYCLE_1)
	s_ashr_i32 s9, s7, 4
	s_cmp_lt_i32 s7, s28
	s_cselect_b32 s26, s9, s4
	s_ashr_i32 s27, s26, 31
	s_delay_alu instid0(SALU_CYCLE_1) | instskip(NEXT) | instid1(SALU_CYCLE_1)
	s_lshl_b64 s[26:27], s[26:27], 2
	s_add_u32 s26, s35, s26
	s_addc_u32 s27, s36, s27
	s_or_b32 s7, s29, 0xa0
	s_delay_alu instid0(SALU_CYCLE_1)
	s_ashr_i32 s9, s7, 4
	s_cmp_lt_i32 s7, s28
	s_waitcnt lgkmcnt(0)
	s_mul_hi_i32 s7, s6, s5
	s_cselect_b32 s38, s9, s4
	s_mul_i32 s6, s6, s5
	s_ashr_i32 s39, s38, 31
	s_delay_alu instid0(SALU_CYCLE_1) | instskip(NEXT) | instid1(SALU_CYCLE_1)
	s_lshl_b64 s[38:39], s[38:39], 2
	s_add_u32 s38, s35, s38
	s_addc_u32 s39, s36, s39
	s_or_b32 s9, s29, 0xb0
	s_load_b32 s39, s[38:39], 0x0
	s_ashr_i32 s13, s9, 4
	s_cmp_lt_i32 s9, s28
	s_mul_hi_i32 s9, s8, s5
	s_cselect_b32 s40, s13, s4
	s_mul_i32 s8, s8, s5
	s_ashr_i32 s41, s40, 31
	s_mul_hi_i32 s13, s12, s5
	s_lshl_b64 s[40:41], s[40:41], 2
	s_mul_i32 s12, s12, s5
	s_add_u32 s42, s35, s40
	s_addc_u32 s43, s36, s41
	s_or_b32 s17, s29, 0xc0
	s_delay_alu instid0(SALU_CYCLE_1)
	s_ashr_i32 s19, s17, 4
	s_cmp_lt_i32 s17, s28
	s_mul_hi_i32 s17, s16, s5
	s_cselect_b32 s40, s19, s4
	s_mul_i32 s16, s16, s5
	s_ashr_i32 s41, s40, 31
	s_mul_hi_i32 s19, s18, s5
	s_lshl_b64 s[40:41], s[40:41], 2
	s_mul_i32 s18, s18, s5
	s_add_u32 s22, s35, s40
	s_addc_u32 s23, s36, s41
	s_or_b32 s20, s29, 0xd0
	s_clause 0x1
	s_load_b32 s41, s[24:25], 0x0
	s_load_b32 s40, s[26:27], 0x0
	s_ashr_i32 s21, s20, 4
	s_cmp_lt_i32 s20, s28
	s_mul_i32 s20, s15, s5
	s_cselect_b32 s24, s21, s4
	s_mul_hi_i32 s21, s15, s5
	s_ashr_i32 s25, s24, 31
	s_delay_alu instid0(SALU_CYCLE_1) | instskip(NEXT) | instid1(SALU_CYCLE_1)
	s_lshl_b64 s[24:25], s[24:25], 2
	s_add_u32 s24, s35, s24
	s_addc_u32 s25, s36, s25
	s_or_b32 s46, s29, 0xe0
	s_clause 0x2
	s_load_b32 s38, s[42:43], 0x0
	s_load_b32 s37, s[22:23], 0x0
	;; [unrolled: 1-line block ×3, first 2 shown]
	s_ashr_i32 s47, s46, 4
	s_cmp_lt_i32 s46, s28
	s_mul_hi_i32 s23, s44, s5
	s_cselect_b32 s42, s47, s4
	s_mul_i32 s22, s44, s5
	s_ashr_i32 s43, s42, 31
	s_mul_hi_i32 s25, s45, s5
	s_lshl_b64 s[42:43], s[42:43], 2
	s_mul_i32 s24, s45, s5
	s_add_u32 s42, s35, s42
	s_addc_u32 s43, s36, s43
	s_or_b32 s46, s29, 0xf0
	s_waitcnt lgkmcnt(0)
	s_mul_hi_i32 s27, s41, s5
	s_ashr_i32 s47, s46, 4
	s_cmp_lt_i32 s46, s28
	s_mul_i32 s26, s41, s5
	s_cselect_b32 s46, s47, s4
	s_mul_hi_i32 s41, s40, s5
	s_ashr_i32 s47, s46, 31
	s_mul_hi_i32 s51, s15, s5
	s_lshl_b64 s[46:47], s[46:47], 2
	s_mul_i32 s50, s15, s5
	s_add_u32 s46, s35, s46
	s_addc_u32 s47, s36, s47
	s_add_u32 s4, s10, s2
	s_addc_u32 s15, s11, s3
	v_add_co_u32 v216, s4, s4, v125
	s_delay_alu instid0(VALU_DEP_1) | instskip(SKIP_2) | instid1(VALU_DEP_2)
	v_add_co_ci_u32_e64 v217, null, s15, 0, s4
	s_lshl_b64 s[2:3], s[6:7], 1
	s_lshl_b64 s[6:7], s[8:9], 1
	v_add_co_u32 v125, vcc_lo, v216, s2
	s_delay_alu instid0(VALU_DEP_2)
	v_add_co_ci_u32_e32 v126, vcc_lo, s3, v217, vcc_lo
	v_add_co_u32 v199, vcc_lo, v216, s6
	s_lshl_b64 s[8:9], s[12:13], 1
	v_add_co_ci_u32_e32 v200, vcc_lo, s7, v217, vcc_lo
	s_lshl_b64 s[10:11], s[16:17], 1
	s_lshl_b64 s[12:13], s[18:19], 1
	;; [unrolled: 1-line block ×6, first 2 shown]
	s_mul_i32 s40, s40, s5
	s_mul_hi_i32 s45, s39, s5
	s_lshl_b64 s[24:25], s[40:41], 1
	s_mul_i32 s44, s39, s5
	s_mul_hi_i32 s39, s38, s5
	s_lshl_b64 s[26:27], s[44:45], 1
	s_mul_i32 s38, s38, s5
	s_mul_hi_i32 s49, s37, s5
	s_mul_i32 s48, s37, s5
	s_lshl_b64 s[36:37], s[38:39], 1
	s_lshl_b64 s[38:39], s[48:49], 1
	s_clause 0x1
	s_load_b32 s4, s[42:43], 0x0
	s_load_b32 s15, s[46:47], 0x0
	s_lshl_b64 s[40:41], s[50:51], 1
	s_waitcnt lgkmcnt(0)
	s_mul_hi_i32 s3, s4, s5
	s_mul_i32 s2, s4, s5
	s_mul_hi_i32 s7, s15, s5
	s_lshl_b64 s[2:3], s[2:3], 1
	s_mul_i32 s6, s15, s5
	s_waitcnt vmcnt(30)
	v_wmma_f32_16x16x16_f16 v[191:198], v[89:96], v[105:112], v[129:136]
	v_add_co_u32 v89, vcc_lo, v216, s8
	v_add_co_ci_u32_e32 v90, vcc_lo, s9, v217, vcc_lo
	v_add_co_u32 v91, vcc_lo, v216, s10
	v_add_co_ci_u32_e32 v92, vcc_lo, s11, v217, vcc_lo
	;; [unrolled: 2-line block ×5, first 2 shown]
	v_add_co_u32 v205, vcc_lo, v216, s20
	s_waitcnt vmcnt(28)
	v_wmma_f32_16x16x16_f16 v[129:136], v[97:104], v[105:112], v[129:136]
	v_add_co_ci_u32_e32 v206, vcc_lo, s21, v217, vcc_lo
	v_add_co_u32 v207, vcc_lo, v216, s22
	v_add_co_ci_u32_e32 v208, vcc_lo, s23, v217, vcc_lo
	v_add_co_u32 v209, vcc_lo, v216, s24
	s_waitcnt vmcnt(26)
	v_wmma_f32_16x16x16_f16 v[191:198], v[81:88], v[113:120], v[191:198]
	s_waitcnt vmcnt(24)
	v_wmma_f32_16x16x16_f16 v[129:136], v[73:80], v[113:120], v[129:136]
	v_add_co_ci_u32_e32 v210, vcc_lo, s25, v217, vcc_lo
	v_add_co_u32 v211, vcc_lo, v216, s26
	v_add_co_ci_u32_e32 v212, vcc_lo, s27, v217, vcc_lo
	v_add_co_u32 v213, vcc_lo, v216, s36
	s_waitcnt vmcnt(22)
	v_wmma_f32_16x16x16_f16 v[191:198], v[65:72], v[143:150], v[191:198]
	s_waitcnt vmcnt(20)
	v_wmma_f32_16x16x16_f16 v[129:136], v[57:64], v[143:150], v[129:136]
	v_add_co_ci_u32_e32 v214, vcc_lo, s37, v217, vcc_lo
	v_add_co_u32 v143, vcc_lo, v216, s38
	s_waitcnt vmcnt(18)
	v_wmma_f32_16x16x16_f16 v[191:198], v[49:56], v[151:158], v[191:198]
	s_waitcnt vmcnt(16)
	v_wmma_f32_16x16x16_f16 v[129:136], v[25:32], v[151:158], v[129:136]
	v_add_co_ci_u32_e32 v144, vcc_lo, s39, v217, vcc_lo
	s_clause 0x15
	global_load_b128 v[121:124], v[125:126], off
	global_load_b128 v[125:128], v[125:126], off offset:16
	global_load_b128 v[113:116], v[199:200], off
	global_load_b128 v[117:120], v[199:200], off offset:16
	;; [unrolled: 2-line block ×11, first 2 shown]
	s_waitcnt vmcnt(36)
	v_wmma_f32_16x16x16_f16 v[191:198], v[1:8], v[159:166], v[191:198]
	s_clause 0x1
	global_load_b128 v[1:4], v[213:214], off
	global_load_b128 v[5:8], v[213:214], off offset:16
	s_waitcnt vmcnt(36)
	v_wmma_f32_16x16x16_f16 v[129:136], v[9:16], v[159:166], v[129:136]
	s_clause 0x1
	global_load_b128 v[9:12], v[143:144], off
	global_load_b128 v[13:16], v[143:144], off offset:16
	ds_load_b128 v[143:146], v215 offset:10240
	ds_load_b128 v[147:150], v215 offset:11264
	;; [unrolled: 1-line block ×4, first 2 shown]
	v_add_co_u32 v199, vcc_lo, v216, s40
	v_add_co_ci_u32_e32 v200, vcc_lo, s41, v217, vcc_lo
	v_add_co_u32 v159, vcc_lo, v216, s2
	v_add_co_ci_u32_e32 v160, vcc_lo, s3, v217, vcc_lo
	s_lshl_b64 s[2:3], s[6:7], 1
	s_delay_alu instid0(SALU_CYCLE_1)
	v_add_co_u32 v161, vcc_lo, v216, s2
	v_add_co_ci_u32_e32 v162, vcc_lo, s3, v217, vcc_lo
	s_waitcnt vmcnt(36) lgkmcnt(2)
	v_wmma_f32_16x16x16_f16 v[191:198], v[33:40], v[143:150], v[191:198]
	s_waitcnt vmcnt(34)
	v_wmma_f32_16x16x16_f16 v[129:136], v[41:48], v[143:150], v[129:136]
	s_clause 0x3
	global_load_b128 v[33:36], v[199:200], off
	global_load_b128 v[37:40], v[199:200], off offset:16
	global_load_b128 v[41:44], v[159:160], off
	global_load_b128 v[45:48], v[159:160], off offset:16
	v_and_b32_e32 v143, 0xe0, v0
	v_mbcnt_lo_u32_b32 v159, -1, 0
	s_waitcnt vmcnt(36) lgkmcnt(0)
	v_wmma_f32_16x16x16_f16 v[191:198], v[17:24], v[151:158], v[191:198]
	s_clause 0x1
	global_load_b128 v[17:20], v[161:162], off
	global_load_b128 v[21:24], v[161:162], off offset:16
	s_waitcnt vmcnt(36)
	v_wmma_f32_16x16x16_f16 v[129:136], v[167:174], v[151:158], v[129:136]
	v_add_nc_u32_e32 v160, s29, v143
	ds_load_b128 v[143:146], v215 offset:14336
	ds_load_b128 v[147:150], v215 offset:15360
	v_xor_b32_e32 v151, 16, v159
	s_waitcnt vmcnt(0) lgkmcnt(0)
	s_barrier
	v_or_b32_e32 v152, v160, v138
	buffer_gl0_inv
	v_cmp_gt_i32_e32 vcc_lo, 32, v151
	v_or_b32_e32 v153, 2, v152
	v_or_b32_e32 v154, 4, v152
	;; [unrolled: 1-line block ×5, first 2 shown]
	v_cmp_gt_i32_e64 s2, s28, v153
	v_cmp_gt_i32_e64 s3, s28, v154
	;; [unrolled: 1-line block ×3, first 2 shown]
	v_or_b32_e32 v158, 12, v152
	v_cmp_gt_i32_e64 s5, s28, v156
	v_cmp_gt_i32_e64 s6, s28, v157
	v_wmma_f32_16x16x16_f16 v[191:198], v[175:182], v[143:150], v[191:198]
	v_wmma_f32_16x16x16_f16 v[129:136], v[183:190], v[143:150], v[129:136]
	v_cndmask_b32_e32 v151, v159, v151, vcc_lo
	v_cmp_gt_i32_e32 vcc_lo, s28, v152
	v_or_b32_e32 v159, 14, v152
	v_dual_mul_f32 v149, s30, v192 :: v_dual_mul_f32 v150, s30, v191
	v_dual_mul_f32 v147, s30, v194 :: v_dual_mul_f32 v148, s30, v193
	;; [unrolled: 1-line block ×3, first 2 shown]
	s_delay_alu instid0(VALU_DEP_3) | instskip(NEXT) | instid1(VALU_DEP_4)
	v_cndmask_b32_e32 v150, 0xff7fffff, v150, vcc_lo
	v_cndmask_b32_e64 v149, 0xff7fffff, v149, s2
	v_mul_f32_e32 v146, s30, v195
	v_cndmask_b32_e64 v148, 0xff7fffff, v148, s3
	v_cndmask_b32_e64 v147, 0xff7fffff, v147, s4
	v_or_b32_e32 v160, 16, v152
	v_max3_f32 v149, v150, 0xff7fffff, v149
	v_or_b32_e32 v161, 18, v152
	v_dual_mul_f32 v143, s30, v198 :: v_dual_mul_f32 v144, s30, v197
	v_cndmask_b32_e64 v146, 0xff7fffff, v146, s5
	v_cndmask_b32_e64 v145, 0xff7fffff, v145, s6
	v_max3_f32 v147, v149, v148, v147
	v_cmp_gt_i32_e64 s7, s28, v158
	v_cmp_gt_i32_e64 s8, s28, v159
	v_or_b32_e32 v162, 20, v152
	v_or_b32_e32 v163, 22, v152
	v_mul_f32_e32 v175, s30, v129
	v_cndmask_b32_e64 v144, 0xff7fffff, v144, s7
	v_cndmask_b32_e64 v143, 0xff7fffff, v143, s8
	v_max3_f32 v145, v147, v146, v145
	v_cmp_gt_i32_e64 s9, s28, v160
	v_cmp_gt_i32_e64 s10, s28, v161
	v_or_b32_e32 v164, 24, v152
	v_or_b32_e32 v165, 26, v152
	v_dual_mul_f32 v172, s30, v132 :: v_dual_mul_f32 v173, s30, v131
	v_cndmask_b32_e64 v146, 0xff7fffff, v175, s9
	v_cndmask_b32_e64 v147, 0xff7fffff, v174, s10
	v_max3_f32 v143, v145, v144, v143
	v_cmp_gt_i32_e64 s11, s28, v162
	v_cmp_gt_i32_e64 s12, s28, v163
	v_or_b32_e32 v166, 28, v152
	v_or_b32_e32 v167, 30, v152
	v_dual_mul_f32 v170, s30, v134 :: v_dual_mul_f32 v171, s30, v133
	v_cndmask_b32_e64 v144, 0xff7fffff, v173, s11
	v_cndmask_b32_e64 v145, 0xff7fffff, v172, s12
	v_max3_f32 v143, v143, v146, v147
	v_cmp_gt_i32_e64 s13, s28, v164
	v_cmp_gt_i32_e64 s15, s28, v165
	v_dual_mul_f32 v168, s30, v136 :: v_dual_mul_f32 v169, s30, v135
	s_delay_alu instid0(VALU_DEP_4) | instskip(NEXT) | instid1(VALU_DEP_4)
	v_max3_f32 v143, v143, v144, v145
	v_cndmask_b32_e64 v146, 0xff7fffff, v171, s13
	s_delay_alu instid0(VALU_DEP_4) | instskip(SKIP_3) | instid1(VALU_DEP_4)
	v_cndmask_b32_e64 v147, 0xff7fffff, v170, s15
	v_cmp_gt_i32_e64 s16, s28, v166
	v_cmp_gt_i32_e64 s17, s28, v167
	v_lshlrev_b32_e32 v160, 2, v151
	v_max3_f32 v143, v143, v146, v147
	s_delay_alu instid0(VALU_DEP_4) | instskip(NEXT) | instid1(VALU_DEP_4)
	v_cndmask_b32_e64 v144, 0xff7fffff, v169, s16
	v_cndmask_b32_e64 v145, 0xff7fffff, v168, s17
	s_delay_alu instid0(VALU_DEP_1) | instskip(SKIP_3) | instid1(VALU_DEP_1)
	v_max3_f32 v143, v143, v144, v145
	ds_bpermute_b32 v144, v160, v143
	s_waitcnt lgkmcnt(0)
	v_max_f32_e32 v144, v144, v144
	v_max_f32_e32 v159, v143, v144
	s_delay_alu instid0(VALU_DEP_1) | instskip(SKIP_4) | instid1(VALU_DEP_4)
	v_fma_f32 v145, s30, v193, -v159
	v_fma_f32 v146, s30, v194, -v159
	v_fma_f32 v132, s30, v132, -v159
	v_fma_f32 v143, s30, v191, -v159
	v_fma_f32 v144, s30, v192, -v159
	v_dual_mul_f32 v145, 0x3fb8aa3b, v145 :: v_dual_mul_f32 v146, 0x3fb8aa3b, v146
	s_delay_alu instid0(VALU_DEP_4) | instskip(SKIP_1) | instid1(VALU_DEP_4)
	v_mul_f32_e32 v132, 0x3fb8aa3b, v132
	v_fma_f32 v148, s30, v195, -v159
	v_mul_f32_e32 v144, 0x3fb8aa3b, v144
	s_delay_alu instid0(VALU_DEP_4)
	v_exp_f32_e32 v145, v145
	v_exp_f32_e32 v150, v146
	v_fma_f32 v149, s30, v196, -v159
	v_mul_f32_e32 v148, 0x3fb8aa3b, v148
	v_exp_f32_e32 v147, v144
	v_fma_f32 v134, s30, v134, -v159
	v_fma_f32 v151, s30, v197, -v159
	v_mul_f32_e32 v149, 0x3fb8aa3b, v149
	v_exp_f32_e32 v148, v148
	v_fma_f32 v152, s30, v198, -v159
	v_cndmask_b32_e64 v146, 0, v145, s3
	v_cndmask_b32_e64 v145, 0, v150, s4
	v_dual_mul_f32 v143, 0x3fb8aa3b, v143 :: v_dual_mul_f32 v134, 0x3fb8aa3b, v134
	v_mul_f32_e32 v151, 0x3fb8aa3b, v151
	v_exp_f32_e32 v149, v149
	v_fma_f32 v129, s30, v129, -v159
	s_delay_alu instid0(VALU_DEP_3)
	v_exp_f32_e32 v143, v143
	v_mul_f32_e32 v150, 0x3fb8aa3b, v152
	v_exp_f32_e32 v151, v151
	v_cndmask_b32_e64 v148, 0, v148, s5
	v_fma_f32 v130, s30, v130, -v159
	v_mul_f32_e32 v129, 0x3fb8aa3b, v129
	v_exp_f32_e32 v153, v150
	v_fma_f32 v131, s30, v131, -v159
	v_fma_f32 v133, s30, v133, -v159
	v_mul_f32_e32 v130, 0x3fb8aa3b, v130
	v_cndmask_b32_e32 v144, 0, v143, vcc_lo
	v_cndmask_b32_e64 v143, 0, v147, s2
	v_exp_f32_e32 v129, v129
	v_cndmask_b32_e64 v150, 0, v151, s7
	v_mul_f32_e32 v131, 0x3fb8aa3b, v131
	v_add_f32_e32 v147, 0, v144
	v_exp_f32_e32 v130, v130
	v_mul_f32_e32 v133, 0x3fb8aa3b, v133
	v_exp_f32_e32 v132, v132
	v_exp_f32_e32 v131, v131
	v_add_f32_e32 v147, v147, v143
	v_cmp_gt_u32_e64 s2, 16, v142
	v_exp_f32_e32 v133, v133
	s_delay_alu instid0(VALU_DEP_2)
	v_add_f32_e32 v147, v147, v146
	s_waitcnt_depctr 0xfff
	v_cndmask_b32_e64 v154, 0, v131, s11
	v_add_f32_e32 v152, v147, v145
	v_cndmask_b32_e64 v147, 0, v149, s6
	v_exp_f32_e32 v131, v134
	v_cndmask_b32_e64 v156, 0, v133, s13
	s_delay_alu instid0(VALU_DEP_3) | instskip(SKIP_1) | instid1(VALU_DEP_2)
	v_add_f32_e32 v149, v152, v148
	v_cndmask_b32_e64 v152, 0, v129, s9
	v_add_f32_e32 v151, v149, v147
	v_cndmask_b32_e64 v149, 0, v153, s8
	v_cndmask_b32_e64 v153, 0, v132, s12
	v_fma_f32 v132, s30, v136, -v159
	s_delay_alu instid0(TRANS32_DEP_1) | instskip(NEXT) | instid1(VALU_DEP_2)
	v_cndmask_b32_e64 v155, 0, v131, s15
	v_dual_add_f32 v151, v151, v150 :: v_dual_mul_f32 v132, 0x3fb8aa3b, v132
	s_delay_alu instid0(VALU_DEP_1) | instskip(SKIP_2) | instid1(VALU_DEP_4)
	v_add_f32_e32 v129, v151, v149
	v_cndmask_b32_e64 v151, 0, v130, s10
	v_fma_f32 v130, s30, v135, -v159
	v_exp_f32_e32 v131, v132
	s_delay_alu instid0(VALU_DEP_1) | instskip(NEXT) | instid1(VALU_DEP_1)
	v_dual_add_f32 v129, v129, v152 :: v_dual_mul_f32 v130, 0x3fb8aa3b, v130
	v_add_f32_e32 v129, v129, v151
	s_delay_alu instid0(VALU_DEP_2) | instskip(SKIP_3) | instid1(VALU_DEP_1)
	v_exp_f32_e32 v130, v130
	s_waitcnt_depctr 0xfff
	v_cndmask_b32_e64 v157, 0, v131, s17
	v_add_f32_e32 v129, v129, v154
	v_add_f32_e32 v129, v129, v153
	v_cndmask_b32_e64 v158, 0, v130, s16
	s_delay_alu instid0(VALU_DEP_2) | instskip(NEXT) | instid1(VALU_DEP_1)
	v_add_f32_e32 v129, v129, v156
	v_add_f32_e32 v129, v129, v155
	s_delay_alu instid0(VALU_DEP_1) | instskip(NEXT) | instid1(VALU_DEP_1)
	v_add_f32_e32 v129, v129, v158
	v_add_f32_e32 v129, v129, v157
	ds_bpermute_b32 v130, v160, v129
	s_and_saveexec_b32 s3, s2
	s_cbranch_execz .LBB300_12
; %bb.11:
	v_mul_u32_u24_e32 v131, 0x44, v141
	s_delay_alu instid0(VALU_DEP_1) | instskip(SKIP_1) | instid1(VALU_DEP_1)
	v_lshl_add_u32 v131, v140, 2, v131
	s_waitcnt lgkmcnt(0)
	v_dual_add_f32 v129, v129, v130 :: v_dual_add_nc_u32 v130, 0x4000, v131
	ds_store_2addr_b32 v130, v159, v129 offset1:136
.LBB300_12:
	s_or_b32 exec_lo, exec_lo, s3
	v_lshlrev_b32_e32 v129, 2, v140
	s_load_b32 s35, s[0:1], 0x94
	s_waitcnt lgkmcnt(0)
	s_barrier
	buffer_gl0_inv
	v_add_nc_u32_e32 v135, 0x4000, v129
	v_cmp_eq_u32_e32 vcc_lo, 1, v141
	v_cmp_eq_u32_e64 s3, 2, v141
	v_cmp_eq_u32_e64 s4, 3, v141
	;; [unrolled: 1-line block ×3, first 2 shown]
	ds_load_2addr_b32 v[129:130], v135 offset1:17
	ds_load_2addr_b32 v[131:132], v135 offset0:34 offset1:51
	ds_load_2addr_b32 v[133:134], v135 offset0:68 offset1:85
	;; [unrolled: 1-line block ×3, first 2 shown]
	v_cmp_eq_u32_e64 s6, 5, v141
	v_cmp_eq_u32_e64 s7, 7, v141
	s_waitcnt lgkmcnt(3)
	v_max3_f32 v136, v129, 0xff7fffff, v130
	s_waitcnt lgkmcnt(2)
	s_delay_alu instid0(VALU_DEP_1) | instskip(SKIP_1) | instid1(VALU_DEP_1)
	v_max3_f32 v136, v136, v131, v132
	s_waitcnt lgkmcnt(1)
	v_max3_f32 v136, v136, v133, v134
	s_waitcnt lgkmcnt(0)
	s_delay_alu instid0(VALU_DEP_1) | instskip(NEXT) | instid1(VALU_DEP_1)
	v_max3_f32 v136, v136, v159, v160
	v_sub_f32_e32 v142, v130, v136
	ds_load_2addr_b32 v[161:162], v135 offset0:136 offset1:153
	v_sub_f32_e32 v164, v132, v136
	v_mul_f32_e32 v142, 0x3fb8aa3b, v142
	s_delay_alu instid0(VALU_DEP_2) | instskip(NEXT) | instid1(VALU_DEP_2)
	v_mul_f32_e32 v164, 0x3fb8aa3b, v164
	v_exp_f32_e32 v166, v142
	v_sub_f32_e32 v129, v129, v136
	s_delay_alu instid0(VALU_DEP_2) | instskip(NEXT) | instid1(VALU_DEP_1)
	v_exp_f32_e32 v164, v164
	v_mul_f32_e32 v163, 0x3fb8aa3b, v129
	ds_load_2addr_b32 v[129:130], v135 offset0:170 offset1:187
	v_exp_f32_e32 v163, v163
	s_waitcnt lgkmcnt(1)
	s_waitcnt_depctr 0xfff
	v_fma_f32 v142, v163, v161, 0
	v_sub_f32_e32 v161, v134, v136
	s_delay_alu instid0(VALU_DEP_2) | instskip(NEXT) | instid1(VALU_DEP_1)
	v_dual_fmac_f32 v142, v166, v162 :: v_dual_sub_f32 v131, v131, v136
	v_mul_f32_e32 v165, 0x3fb8aa3b, v131
	ds_load_2addr_b32 v[131:132], v135 offset0:204 offset1:221
	v_exp_f32_e32 v165, v165
	s_waitcnt lgkmcnt(1)
	s_waitcnt_depctr 0xfff
	v_fmac_f32_e32 v142, v165, v129
	v_sub_f32_e32 v133, v133, v136
	v_sub_f32_e32 v129, v160, v136
	s_delay_alu instid0(VALU_DEP_2) | instskip(NEXT) | instid1(VALU_DEP_2)
	v_dual_fmac_f32 v142, v164, v130 :: v_dual_mul_f32 v167, 0x3fb8aa3b, v133
	v_mul_f32_e32 v129, 0x3fb8aa3b, v129
	ds_load_2addr_b32 v[133:134], v135 offset0:238 offset1:255
	v_cndmask_b32_e32 v130, v163, v166, vcc_lo
	s_waitcnt lgkmcnt(0)
	s_barrier
	v_exp_f32_e32 v162, v129
	v_sub_f32_e32 v135, v159, v136
	v_mul_f32_e32 v159, 0x3fb8aa3b, v161
	v_exp_f32_e32 v161, v167
	buffer_gl0_inv
	v_exp_f32_e32 v159, v159
	v_fmac_f32_e32 v142, v161, v131
	s_waitcnt_depctr 0xfff
	v_dual_mul_f32 v135, 0x3fb8aa3b, v135 :: v_dual_fmac_f32 v142, v159, v132
	s_delay_alu instid0(VALU_DEP_1) | instskip(SKIP_2) | instid1(VALU_DEP_1)
	v_exp_f32_e32 v160, v135
	s_waitcnt_depctr 0xfff
	v_dual_fmac_f32 v142, v160, v133 :: v_dual_lshlrev_b32 v133, 6, v140
	v_fmac_f32_e32 v142, v162, v134
	s_delay_alu instid0(VALU_DEP_2) | instskip(NEXT) | instid1(VALU_DEP_2)
	v_lshl_or_b32 v135, v141, 11, v133
	v_add_f32_e32 v134, 0x358637bd, v142
	s_delay_alu instid0(VALU_DEP_1) | instskip(SKIP_1) | instid1(VALU_DEP_2)
	v_div_scale_f32 v167, null, v134, v134, 1.0
	v_div_scale_f32 v163, vcc_lo, 1.0, v134, 1.0
	v_rcp_f32_e32 v168, v167
	s_waitcnt_depctr 0xfff
	v_fma_f32 v129, -v167, v168, 1.0
	s_delay_alu instid0(VALU_DEP_1) | instskip(SKIP_2) | instid1(VALU_DEP_2)
	v_fmac_f32_e32 v168, v129, v168
	v_cndmask_b32_e64 v129, v130, v165, s3
	v_cmp_eq_u32_e64 s3, 6, v141
	v_cndmask_b32_e64 v130, v129, v164, s4
	v_lshlrev_b32_e32 v129, 2, v138
	v_mul_f32_e32 v165, v163, v168
	s_delay_alu instid0(VALU_DEP_3) | instskip(NEXT) | instid1(VALU_DEP_3)
	v_cndmask_b32_e64 v161, v130, v161, s5
	v_or_b32_e32 v130, 1, v129
	s_delay_alu instid0(VALU_DEP_3)
	v_fma_f32 v131, -v167, v165, v163
	v_or_b32_e32 v132, 2, v129
	v_cmp_eq_u32_e64 s4, 1, v129
	v_cndmask_b32_e64 v141, v161, v159, s6
	v_cmp_eq_u32_e64 s9, 1, v130
	v_fmac_f32_e32 v165, v131, v168
	v_or_b32_e32 v131, 3, v129
	v_cmp_eq_u32_e64 s10, 1, v132
	v_cndmask_b32_e64 v141, v141, v160, s3
	v_cmp_eq_u32_e64 s5, 2, v129
	v_fma_f32 v159, -v167, v165, v163
	v_cmp_eq_u32_e64 s11, 1, v131
	v_cmp_eq_u32_e64 s16, 2, v131
	v_cndmask_b32_e64 v141, v141, v162, s7
	v_cmp_eq_u32_e64 s12, 2, v130
	v_div_fmas_f32 v159, v159, v168, v165
	v_cmp_eq_u32_e64 s18, 3, v131
	v_cmp_eq_u32_e32 vcc_lo, 3, v129
	v_cmp_eq_u32_e64 s13, 3, v130
	v_cmp_eq_u32_e64 s15, 2, v132
	v_div_fixup_f32 v159, v159, v134, 1.0
	v_lshl_or_b32 v134, v138, 4, v135
	v_cmp_eq_u32_e64 s22, 4, v131
	v_cmp_eq_u32_e64 s3, 4, v129
	;; [unrolled: 1-line block ×3, first 2 shown]
	v_mul_f32_e32 v141, v141, v159
	v_cmp_eq_u32_e64 s19, 4, v130
	v_cmp_eq_u32_e64 s24, 5, v131
	;; [unrolled: 1-line block ×4, first 2 shown]
	v_fma_mixlo_f16 v159, v141, v144, 0
	v_fma_mixlo_f16 v160, v141, v146, 0
	v_fma_mixlo_f16 v161, v141, v148, 0
	v_fma_mixlo_f16 v162, v141, v150, 0
	v_fma_mixlo_f16 v163, v141, v152, 0
	v_fma_mixlo_f16 v164, v141, v154, 0
	v_fma_mixlo_f16 v165, v141, v156, 0
	v_fma_mixlo_f16 v166, v141, v158, 0
	v_fma_mixhi_f16 v159, v141, v143, 0
	v_fma_mixhi_f16 v160, v141, v145, 0
	;; [unrolled: 1-line block ×8, first 2 shown]
	ds_store_b128 v134, v[159:162]
	ds_store_b128 v134, v[163:166] offset:1024
	s_waitcnt lgkmcnt(0)
	s_barrier
	buffer_gl0_inv
	ds_load_b128 v[143:146], v135
	ds_load_b128 v[147:150], v135 offset:16
	ds_load_b128 v[151:154], v135 offset:1024
	;; [unrolled: 1-line block ×3, first 2 shown]
	v_cmp_eq_u32_e64 s21, 4, v132
	v_cmp_eq_u32_e64 s27, 6, v131
	;; [unrolled: 1-line block ×10, first 2 shown]
	s_waitcnt lgkmcnt(3)
	v_lshrrev_b32_e32 v141, 16, v143
	s_waitcnt lgkmcnt(2)
	v_lshrrev_b32_e32 v162, 16, v147
	v_lshrrev_b32_e32 v159, 16, v144
	;; [unrolled: 1-line block ×3, first 2 shown]
	s_waitcnt lgkmcnt(1)
	v_lshrrev_b32_e32 v166, 16, v151
	v_cndmask_b32_e64 v174, v143, v141, s4
	v_cndmask_b32_e64 v176, v143, v141, s9
	;; [unrolled: 1-line block ×5, first 2 shown]
	s_waitcnt lgkmcnt(0)
	v_lshrrev_b32_e32 v170, 16, v155
	v_cndmask_b32_e64 v175, v147, v162, s4
	v_cndmask_b32_e64 v177, v147, v162, s9
	;; [unrolled: 1-line block ×19, first 2 shown]
	v_lshrrev_b32_e32 v160, 16, v145
	v_lshrrev_b32_e32 v164, 16, v149
	;; [unrolled: 1-line block ×4, first 2 shown]
	v_cndmask_b32_e64 v176, v178, v144, s15
	v_cndmask_b32_e64 v177, v179, v148, s15
	;; [unrolled: 1-line block ×8, first 2 shown]
	v_cndmask_b32_e32 v155, v166, v159, vcc_lo
	v_cndmask_b32_e32 v166, v170, v163, vcc_lo
	v_cndmask_b32_e64 v170, v174, v159, s13
	v_cndmask_b32_e64 v174, v175, v163, s13
	;; [unrolled: 1-line block ×6, first 2 shown]
	v_cndmask_b32_e32 v144, v144, v167, vcc_lo
	v_cndmask_b32_e32 v147, v147, v171, vcc_lo
	v_cndmask_b32_e64 v148, v148, v167, s13
	v_cndmask_b32_e64 v155, v155, v145, s3
	;; [unrolled: 1-line block ×7, first 2 shown]
	v_lshrrev_b32_e32 v161, 16, v146
	v_lshrrev_b32_e32 v165, 16, v150
	;; [unrolled: 1-line block ×4, first 2 shown]
	v_cndmask_b32_e64 v170, v175, v145, s21
	v_cndmask_b32_e64 v174, v176, v149, s21
	;; [unrolled: 1-line block ×22, first 2 shown]
	v_lshrrev_b32_e32 v169, 16, v154
	v_cndmask_b32_e64 v160, v163, v146, s26
	v_cndmask_b32_e64 v163, v166, v150, s26
	;; [unrolled: 1-line block ×9, first 2 shown]
	v_perm_b32 v146, v143, v141, 0x5040100
	v_cndmask_b32_e64 v141, v183, v156, s15
	v_cndmask_b32_e64 v143, v181, v156, s12
	;; [unrolled: 1-line block ×4, first 2 shown]
	v_perm_b32 v144, v159, v149, 0x5040100
	v_cndmask_b32_e64 v149, v162, v167, s17
	v_cndmask_b32_e64 v151, v151, v167, s18
	;; [unrolled: 1-line block ×15, first 2 shown]
	v_lshrrev_b32_e32 v173, 16, v158
	v_cndmask_b32_e64 v149, v149, v154, s26
	v_cndmask_b32_e64 v151, v151, v154, s27
	;; [unrolled: 1-line block ×13, first 2 shown]
	v_perm_b32 v145, v160, v155, 0x5040100
	v_perm_b32 v143, v148, v147, 0x5040100
	;; [unrolled: 1-line block ×6, first 2 shown]
	s_mul_i32 s7, s33, 15
	s_mov_b32 s3, exec_lo
	ds_store_b128 v134, v[143:146]
	ds_store_b128 v134, v[147:150] offset:1024
	v_cmpx_gt_u32_e32 15, v0
	s_cbranch_execz .LBB300_14
; %bb.13:
	s_mul_i32 s4, s7, s34
	s_load_b128 s[8:11], s[0:1], 0x58
	v_add3_u32 v143, s4, s31, v140
	s_delay_alu instid0(VALU_DEP_1) | instskip(NEXT) | instid1(VALU_DEP_1)
	v_mad_u64_u32 v[140:141], null, v143, s35, s[14:15]
	v_ashrrev_i32_e32 v141, 31, v140
	s_delay_alu instid0(VALU_DEP_1) | instskip(SKIP_1) | instid1(VALU_DEP_1)
	v_lshlrev_b64 v[140:141], 2, v[140:141]
	s_waitcnt lgkmcnt(0)
	v_add_co_u32 v143, vcc_lo, s10, v140
	s_delay_alu instid0(VALU_DEP_2)
	v_add_co_ci_u32_e32 v144, vcc_lo, s11, v141, vcc_lo
	v_add_co_u32 v140, vcc_lo, s8, v140
	v_add_co_ci_u32_e32 v141, vcc_lo, s9, v141, vcc_lo
	global_store_b32 v[143:144], v136, off
	global_store_b32 v[140:141], v142, off
.LBB300_14:
	s_or_b32 exec_lo, exec_lo, s3
	s_waitcnt lgkmcnt(0)
	s_waitcnt_vscnt null, 0x0
	s_barrier
	buffer_gl0_inv
	ds_load_b128 v[148:151], v133
	ds_load_b128 v[152:155], v133 offset:16
	ds_load_b128 v[160:163], v133 offset:1040
	;; [unrolled: 1-line block ×5, first 2 shown]
	v_cmp_eq_u32_e32 vcc_lo, 1, v132
	v_mov_b32_e32 v140, 0
	ds_load_b128 v[176:179], v133 offset:3088
	ds_load_b128 v[172:175], v133 offset:3072
	;; [unrolled: 1-line block ×4, first 2 shown]
	v_cmp_eq_u32_e64 s3, 1, v129
	v_cmp_eq_u32_e64 s4, 1, v131
	;; [unrolled: 1-line block ×3, first 2 shown]
	v_mov_b32_e32 v141, v140
	v_mov_b32_e32 v142, v140
	;; [unrolled: 1-line block ×7, first 2 shown]
	v_cmp_eq_u32_e64 s6, 2, v129
	s_waitcnt lgkmcnt(8)
	s_delay_alu instid0(VALU_DEP_2)
	v_wmma_f32_16x16x16_f16 v[140:147], v[121:128], v[148:155], v[140:147]
	ds_load_b128 v[125:128], v133 offset:5136
	ds_load_b128 v[121:124], v133 offset:5120
	s_waitcnt lgkmcnt(8)
	v_wmma_f32_16x16x16_f16 v[140:147], v[113:120], v[156:163], v[140:147]
	ds_load_b128 v[117:120], v133 offset:6160
	ds_load_b128 v[113:116], v133 offset:6144
	s_waitcnt lgkmcnt(8)
	v_wmma_f32_16x16x16_f16 v[140:147], v[105:112], v[164:171], v[140:147]
	ds_load_b128 v[109:112], v133 offset:7184
	ds_load_b128 v[105:108], v133 offset:7168
	s_waitcnt lgkmcnt(8)
	v_wmma_f32_16x16x16_f16 v[140:147], v[97:104], v[172:179], v[140:147]
	ds_load_b128 v[101:104], v133 offset:8208
	ds_load_b128 v[97:100], v133 offset:8192
	s_waitcnt lgkmcnt(8)
	v_wmma_f32_16x16x16_f16 v[140:147], v[89:96], v[180:187], v[140:147]
	ds_load_b128 v[93:96], v133 offset:9232
	ds_load_b128 v[89:92], v133 offset:9216
	s_waitcnt lgkmcnt(8)
	v_wmma_f32_16x16x16_f16 v[140:147], v[81:88], v[121:128], v[140:147]
	ds_load_b128 v[85:88], v133 offset:10256
	ds_load_b128 v[81:84], v133 offset:10240
	s_waitcnt lgkmcnt(8)
	v_wmma_f32_16x16x16_f16 v[140:147], v[73:80], v[113:120], v[140:147]
	ds_load_b128 v[77:80], v133 offset:11280
	ds_load_b128 v[73:76], v133 offset:11264
	s_waitcnt lgkmcnt(8)
	v_wmma_f32_16x16x16_f16 v[140:147], v[65:72], v[105:112], v[140:147]
	ds_load_b128 v[69:72], v133 offset:12304
	ds_load_b128 v[65:68], v133 offset:12288
	s_waitcnt lgkmcnt(8)
	v_wmma_f32_16x16x16_f16 v[140:147], v[57:64], v[97:104], v[140:147]
	ds_load_b128 v[61:64], v133 offset:13328
	ds_load_b128 v[57:60], v133 offset:13312
	s_waitcnt lgkmcnt(8)
	v_wmma_f32_16x16x16_f16 v[140:147], v[49:56], v[89:96], v[140:147]
	ds_load_b128 v[53:56], v133 offset:14352
	ds_load_b128 v[49:52], v133 offset:14336
	s_waitcnt lgkmcnt(8)
	v_wmma_f32_16x16x16_f16 v[140:147], v[25:32], v[81:88], v[140:147]
	ds_load_b128 v[29:32], v133 offset:15376
	ds_load_b128 v[25:28], v133 offset:15360
	s_waitcnt lgkmcnt(0)
	s_barrier
	buffer_gl0_inv
	v_wmma_f32_16x16x16_f16 v[140:147], v[1:8], v[73:80], v[140:147]
	s_delay_alu instid0(VALU_DEP_1) | instskip(NEXT) | instid1(VALU_DEP_1)
	v_wmma_f32_16x16x16_f16 v[140:147], v[9:16], v[65:72], v[140:147]
	v_wmma_f32_16x16x16_f16 v[140:147], v[33:40], v[57:64], v[140:147]
	s_delay_alu instid0(VALU_DEP_1) | instskip(NEXT) | instid1(VALU_DEP_1)
	v_wmma_f32_16x16x16_f16 v[140:147], v[41:48], v[49:56], v[140:147]
	v_wmma_f32_16x16x16_f16 v[140:147], v[17:24], v[25:32], v[140:147]
	s_delay_alu instid0(VALU_DEP_1) | instskip(NEXT) | instid1(VALU_DEP_2)
	v_cvt_f16_f32_e64 v1, v140
	v_cvt_f16_f32_e64 v2, v141
	s_delay_alu instid0(VALU_DEP_3) | instskip(NEXT) | instid1(VALU_DEP_4)
	v_cvt_f16_f32_e64 v3, v142
	v_cvt_f16_f32_e64 v4, v143
	;; [unrolled: 1-line block ×6, first 2 shown]
	v_pack_b32_f16 v1, v1, v2
	v_pack_b32_f16 v2, v3, v4
	;; [unrolled: 1-line block ×3, first 2 shown]
	s_delay_alu instid0(VALU_DEP_4)
	v_pack_b32_f16 v4, v7, v8
	ds_store_b128 v134, v[1:4]
	s_waitcnt lgkmcnt(0)
	s_barrier
	buffer_gl0_inv
	ds_load_b128 v[1:4], v135
	ds_load_b128 v[5:8], v135 offset:16
	s_waitcnt lgkmcnt(1)
	v_lshrrev_b32_e32 v9, 16, v1
	s_waitcnt lgkmcnt(0)
	v_lshrrev_b32_e32 v13, 16, v5
	v_lshrrev_b32_e32 v10, 16, v2
	;; [unrolled: 1-line block ×4, first 2 shown]
	v_cndmask_b32_e64 v17, v1, v9, s3
	v_cndmask_b32_e64 v18, v5, v13, s3
	;; [unrolled: 1-line block ×3, first 2 shown]
	v_cmp_eq_u32_e64 s3, 2, v130
	v_cndmask_b32_e64 v20, v5, v13, s5
	v_cndmask_b32_e32 v21, v1, v9, vcc_lo
	v_cndmask_b32_e32 v22, v5, v13, vcc_lo
	v_cndmask_b32_e64 v1, v1, v9, s4
	v_cndmask_b32_e64 v5, v5, v13, s4
	v_cmp_eq_u32_e32 vcc_lo, 2, v132
	v_cmp_eq_u32_e64 s4, 2, v131
	v_cndmask_b32_e64 v9, v17, v2, s6
	v_cndmask_b32_e64 v13, v18, v6, s6
	v_cndmask_b32_e64 v17, v19, v2, s3
	v_cndmask_b32_e64 v18, v20, v6, s3
	v_cndmask_b32_e32 v19, v21, v2, vcc_lo
	v_cmp_eq_u32_e64 s3, 3, v132
	v_cndmask_b32_e32 v20, v22, v6, vcc_lo
	v_cndmask_b32_e64 v1, v1, v2, s4
	v_cmp_eq_u32_e32 vcc_lo, 3, v131
	v_cmp_eq_u32_e64 s5, 3, v129
	v_cndmask_b32_e64 v2, v5, v6, s4
	v_cmp_eq_u32_e64 s4, 3, v130
	v_cmp_eq_u32_e64 s6, 4, v129
	v_cndmask_b32_e32 v1, v1, v10, vcc_lo
	v_cndmask_b32_e64 v5, v9, v10, s5
	v_cndmask_b32_e64 v6, v13, v14, s5
	;; [unrolled: 1-line block ×3, first 2 shown]
	v_cmp_eq_u32_e64 s5, 4, v130
	v_cndmask_b32_e64 v13, v18, v14, s4
	v_cndmask_b32_e64 v17, v19, v10, s3
	;; [unrolled: 1-line block ×3, first 2 shown]
	v_cndmask_b32_e32 v2, v2, v14, vcc_lo
	v_cmp_eq_u32_e32 vcc_lo, 4, v132
	v_cmp_eq_u32_e64 s4, 4, v131
	v_lshrrev_b32_e32 v15, 16, v7
	v_cndmask_b32_e64 v5, v5, v3, s6
	v_cndmask_b32_e64 v6, v6, v7, s6
	v_cndmask_b32_e32 v14, v18, v7, vcc_lo
	v_cndmask_b32_e64 v9, v9, v3, s5
	v_cndmask_b32_e64 v10, v13, v7, s5
	v_cndmask_b32_e32 v13, v17, v3, vcc_lo
	v_cmp_eq_u32_e64 s3, 5, v132
	v_cndmask_b32_e64 v1, v1, v3, s4
	v_cmp_eq_u32_e32 vcc_lo, 5, v131
	v_cmp_eq_u32_e64 s5, 5, v129
	v_cndmask_b32_e64 v2, v2, v7, s4
	v_cmp_eq_u32_e64 s4, 5, v130
	v_cmp_eq_u32_e64 s6, 6, v129
	v_lshrrev_b32_e32 v12, 16, v4
	v_cndmask_b32_e64 v3, v5, v11, s5
	v_cndmask_b32_e64 v5, v6, v15, s5
	;; [unrolled: 1-line block ×3, first 2 shown]
	v_cmp_eq_u32_e64 s5, 6, v130
	v_cndmask_b32_e64 v7, v10, v15, s4
	v_cndmask_b32_e64 v9, v13, v11, s3
	;; [unrolled: 1-line block ×3, first 2 shown]
	v_cndmask_b32_e32 v1, v1, v11, vcc_lo
	v_cndmask_b32_e32 v2, v2, v15, vcc_lo
	v_cmp_eq_u32_e32 vcc_lo, 6, v132
	v_cmp_eq_u32_e64 s3, 6, v131
	v_lshrrev_b32_e32 v16, 16, v8
	v_cndmask_b32_e64 v3, v3, v4, s6
	v_cndmask_b32_e64 v5, v5, v8, s6
	v_cndmask_b32_e32 v9, v9, v4, vcc_lo
	v_cndmask_b32_e64 v6, v6, v4, s5
	v_cndmask_b32_e64 v7, v7, v8, s5
	v_cmp_eq_u32_e64 s4, 7, v132
	v_cndmask_b32_e32 v10, v10, v8, vcc_lo
	v_cndmask_b32_e64 v1, v1, v4, s3
	v_cmp_eq_u32_e32 vcc_lo, 7, v131
	v_cndmask_b32_e64 v2, v2, v8, s3
	v_cmp_eq_u32_e64 s3, 7, v129
	v_cmp_eq_u32_e64 s5, 7, v130
	v_cndmask_b32_e32 v1, v1, v12, vcc_lo
	s_delay_alu instid0(VALU_DEP_4) | instskip(NEXT) | instid1(VALU_DEP_4)
	v_cndmask_b32_e32 v2, v2, v16, vcc_lo
	v_cndmask_b32_e64 v8, v3, v12, s3
	s_delay_alu instid0(VALU_DEP_4)
	v_cndmask_b32_e64 v6, v6, v12, s5
	v_cndmask_b32_e64 v3, v9, v12, s4
	;; [unrolled: 1-line block ×5, first 2 shown]
	v_perm_b32 v4, v2, v1, 0x5040100
	s_mov_b32 s3, exec_lo
	v_perm_b32 v3, v9, v3, 0x5040100
	v_perm_b32 v2, v7, v6, 0x5040100
	;; [unrolled: 1-line block ×3, first 2 shown]
	ds_store_b128 v134, v[1:4]
	s_waitcnt lgkmcnt(0)
	s_barrier
	buffer_gl0_inv
	v_cmpx_gt_u32_e32 32, v0
	s_cbranch_execz .LBB300_2
; %bb.15:
	s_load_b64 s[4:5], s[0:1], 0x68
	v_add_nc_u32_e32 v20, s31, v138
	v_lshlrev_b32_e32 v0, 10, v0
	v_lshlrev_b32_e32 v1, 4, v139
	s_lshl_b32 s0, s35, 7
	s_delay_alu instid0(SALU_CYCLE_1)
	s_mul_i32 s1, s0, s34
	v_add_nc_u32_e32 v2, 2, v20
	s_mul_i32 s6, s1, s7
	v_and_or_b32 v0, 0x3800, v0, v1
	v_mul_lo_u32 v1, v20, s0
	s_ashr_i32 s7, s6, 31
	v_mul_lo_u32 v11, v2, s0
	s_lshl_b64 s[6:7], s[6:7], 1
	v_add_nc_u32_e32 v3, 4, v20
	v_lshl_or_b32 v21, v138, 6, v0
	v_add_nc_u32_e32 v16, 6, v20
	v_ashrrev_i32_e32 v2, 31, v1
	s_delay_alu instid0(VALU_DEP_4)
	v_mul_lo_u32 v13, v3, s0
	s_waitcnt lgkmcnt(0)
	s_add_u32 s1, s4, s6
	s_addc_u32 s3, s5, s7
	s_lshl_b32 s4, s14, 7
	ds_load_b128 v[3:6], v21
	ds_load_b128 v[7:10], v21 offset:128
	s_ashr_i32 s5, s4, 31
	v_ashrrev_i32_e32 v12, 31, v11
	s_lshl_b64 s[4:5], s[4:5], 1
	v_lshlrev_b64 v[14:15], 1, v[1:2]
	s_add_u32 s1, s1, s4
	s_addc_u32 s3, s3, s5
	v_add_co_u32 v1, s1, s1, v137
	s_delay_alu instid0(VALU_DEP_1) | instskip(SKIP_1) | instid1(VALU_DEP_3)
	v_add_co_ci_u32_e64 v2, null, s3, 0, s1
	v_lshlrev_b64 v[11:12], 1, v[11:12]
	v_add_co_u32 v18, vcc_lo, v1, v14
	v_mul_lo_u32 v16, v16, s0
	s_delay_alu instid0(VALU_DEP_4) | instskip(NEXT) | instid1(VALU_DEP_4)
	v_add_co_ci_u32_e32 v19, vcc_lo, v2, v15, vcc_lo
	v_add_co_u32 v11, vcc_lo, v1, v11
	v_ashrrev_i32_e32 v14, 31, v13
	v_add_co_ci_u32_e32 v12, vcc_lo, v2, v12, vcc_lo
	v_add_nc_u32_e32 v15, 8, v20
	v_ashrrev_i32_e32 v17, 31, v16
	s_waitcnt lgkmcnt(1)
	global_store_b128 v[18:19], v[3:6], off
	v_lshlrev_b64 v[3:4], 1, v[13:14]
	s_waitcnt lgkmcnt(0)
	global_store_b128 v[11:12], v[7:10], off
	v_mul_lo_u32 v11, v15, s0
	v_add_nc_u32_e32 v7, 10, v20
	v_lshlrev_b64 v[5:6], 1, v[16:17]
	v_add_co_u32 v23, vcc_lo, v1, v3
	v_add_nc_u32_e32 v3, 12, v20
	s_delay_alu instid0(VALU_DEP_4)
	v_mul_lo_u32 v25, v7, s0
	v_ashrrev_i32_e32 v12, 31, v11
	v_add_co_ci_u32_e32 v24, vcc_lo, v2, v4, vcc_lo
	v_add_co_u32 v27, vcc_lo, v1, v5
	v_mul_lo_u32 v29, v3, s0
	v_add_co_ci_u32_e32 v28, vcc_lo, v2, v6, vcc_lo
	ds_load_b128 v[3:6], v21 offset:256
	ds_load_b128 v[7:10], v21 offset:384
	v_lshlrev_b64 v[31:32], 1, v[11:12]
	ds_load_b128 v[11:14], v21 offset:512
	ds_load_b128 v[15:18], v21 offset:640
	;; [unrolled: 1-line block ×3, first 2 shown]
	v_ashrrev_i32_e32 v26, 31, v25
	v_ashrrev_i32_e32 v30, 31, v29
	v_add_co_u32 v31, vcc_lo, v1, v31
	s_delay_alu instid0(VALU_DEP_3) | instskip(NEXT) | instid1(VALU_DEP_3)
	v_lshlrev_b64 v[25:26], 1, v[25:26]
	v_lshlrev_b64 v[29:30], 1, v[29:30]
	v_add_co_ci_u32_e32 v32, vcc_lo, v2, v32, vcc_lo
	s_delay_alu instid0(VALU_DEP_3) | instskip(NEXT) | instid1(VALU_DEP_4)
	v_add_co_u32 v25, vcc_lo, v1, v25
	v_add_co_ci_u32_e32 v26, vcc_lo, v2, v26, vcc_lo
	s_delay_alu instid0(VALU_DEP_4)
	v_add_co_u32 v29, vcc_lo, v1, v29
	v_add_co_ci_u32_e32 v30, vcc_lo, v2, v30, vcc_lo
	s_waitcnt lgkmcnt(4)
	global_store_b128 v[23:24], v[3:6], off
	s_waitcnt lgkmcnt(3)
	global_store_b128 v[27:28], v[7:10], off
	;; [unrolled: 2-line block ×5, first 2 shown]
	s_and_b32 exec_lo, exec_lo, s2
	s_cbranch_execz .LBB300_2
; %bb.16:
	ds_load_b128 v[3:6], v0 offset:896
	s_add_i32 s1, s31, 14
	s_delay_alu instid0(SALU_CYCLE_1) | instskip(NEXT) | instid1(SALU_CYCLE_1)
	s_mul_i32 s0, s1, s0
	s_ashr_i32 s1, s0, 31
	s_delay_alu instid0(SALU_CYCLE_1) | instskip(NEXT) | instid1(SALU_CYCLE_1)
	s_lshl_b64 s[0:1], s[0:1], 1
	v_add_co_u32 v0, vcc_lo, v1, s0
	v_add_co_ci_u32_e32 v1, vcc_lo, s1, v2, vcc_lo
	s_waitcnt lgkmcnt(0)
	global_store_b128 v[0:1], v[3:6], off
	s_nop 0
	s_sendmsg sendmsg(MSG_DEALLOC_VGPRS)
	s_endpgm
	.section	.rodata,"a",@progbits
	.p2align	6, 0x0
	.amdhsa_kernel _Z39paged_attention_ll4mi_QKV_mfma16_kernelIDF16_DF16_LN4vllm18Fp8KVCacheDataTypeE0EDF16_Li16ELi128ELi256ELb0ELi15EL8MFMAType0EEvPKT_PKT0_S8_ifPKiSA_SA_iPKfiiiPfSD_PS3_PT2_iSC_SC_
		.amdhsa_group_segment_fixed_size 17472
		.amdhsa_private_segment_fixed_size 0
		.amdhsa_kernarg_size 400
		.amdhsa_user_sgpr_count 13
		.amdhsa_user_sgpr_dispatch_ptr 0
		.amdhsa_user_sgpr_queue_ptr 0
		.amdhsa_user_sgpr_kernarg_segment_ptr 1
		.amdhsa_user_sgpr_dispatch_id 0
		.amdhsa_user_sgpr_private_segment_size 0
		.amdhsa_wavefront_size32 1
		.amdhsa_uses_dynamic_stack 0
		.amdhsa_enable_private_segment 0
		.amdhsa_system_sgpr_workgroup_id_x 1
		.amdhsa_system_sgpr_workgroup_id_y 1
		.amdhsa_system_sgpr_workgroup_id_z 1
		.amdhsa_system_sgpr_workgroup_info 0
		.amdhsa_system_vgpr_workitem_id 0
		.amdhsa_next_free_vgpr 218
		.amdhsa_next_free_sgpr 52
		.amdhsa_reserve_vcc 1
		.amdhsa_float_round_mode_32 0
		.amdhsa_float_round_mode_16_64 0
		.amdhsa_float_denorm_mode_32 3
		.amdhsa_float_denorm_mode_16_64 3
		.amdhsa_dx10_clamp 1
		.amdhsa_ieee_mode 1
		.amdhsa_fp16_overflow 0
		.amdhsa_workgroup_processor_mode 1
		.amdhsa_memory_ordered 1
		.amdhsa_forward_progress 0
		.amdhsa_shared_vgpr_count 0
		.amdhsa_exception_fp_ieee_invalid_op 0
		.amdhsa_exception_fp_denorm_src 0
		.amdhsa_exception_fp_ieee_div_zero 0
		.amdhsa_exception_fp_ieee_overflow 0
		.amdhsa_exception_fp_ieee_underflow 0
		.amdhsa_exception_fp_ieee_inexact 0
		.amdhsa_exception_int_div_zero 0
	.end_amdhsa_kernel
	.section	.text._Z39paged_attention_ll4mi_QKV_mfma16_kernelIDF16_DF16_LN4vllm18Fp8KVCacheDataTypeE0EDF16_Li16ELi128ELi256ELb0ELi15EL8MFMAType0EEvPKT_PKT0_S8_ifPKiSA_SA_iPKfiiiPfSD_PS3_PT2_iSC_SC_,"axG",@progbits,_Z39paged_attention_ll4mi_QKV_mfma16_kernelIDF16_DF16_LN4vllm18Fp8KVCacheDataTypeE0EDF16_Li16ELi128ELi256ELb0ELi15EL8MFMAType0EEvPKT_PKT0_S8_ifPKiSA_SA_iPKfiiiPfSD_PS3_PT2_iSC_SC_,comdat
.Lfunc_end300:
	.size	_Z39paged_attention_ll4mi_QKV_mfma16_kernelIDF16_DF16_LN4vllm18Fp8KVCacheDataTypeE0EDF16_Li16ELi128ELi256ELb0ELi15EL8MFMAType0EEvPKT_PKT0_S8_ifPKiSA_SA_iPKfiiiPfSD_PS3_PT2_iSC_SC_, .Lfunc_end300-_Z39paged_attention_ll4mi_QKV_mfma16_kernelIDF16_DF16_LN4vllm18Fp8KVCacheDataTypeE0EDF16_Li16ELi128ELi256ELb0ELi15EL8MFMAType0EEvPKT_PKT0_S8_ifPKiSA_SA_iPKfiiiPfSD_PS3_PT2_iSC_SC_
                                        ; -- End function
	.section	.AMDGPU.csdata,"",@progbits
; Kernel info:
; codeLenInByte = 8352
; NumSgprs: 54
; NumVgprs: 218
; ScratchSize: 0
; MemoryBound: 0
; FloatMode: 240
; IeeeMode: 1
; LDSByteSize: 17472 bytes/workgroup (compile time only)
; SGPRBlocks: 6
; VGPRBlocks: 27
; NumSGPRsForWavesPerEU: 54
; NumVGPRsForWavesPerEU: 218
; Occupancy: 6
; WaveLimiterHint : 1
; COMPUTE_PGM_RSRC2:SCRATCH_EN: 0
; COMPUTE_PGM_RSRC2:USER_SGPR: 13
; COMPUTE_PGM_RSRC2:TRAP_HANDLER: 0
; COMPUTE_PGM_RSRC2:TGID_X_EN: 1
; COMPUTE_PGM_RSRC2:TGID_Y_EN: 1
; COMPUTE_PGM_RSRC2:TGID_Z_EN: 1
; COMPUTE_PGM_RSRC2:TIDIG_COMP_CNT: 0
	.section	.text._Z39paged_attention_ll4mi_QKV_mfma16_kernelIDF16_DF16_LN4vllm18Fp8KVCacheDataTypeE0EDF16_Li16ELi128ELi256ELb0ELi16EL8MFMAType0EEvPKT_PKT0_S8_ifPKiSA_SA_iPKfiiiPfSD_PS3_PT2_iSC_SC_,"axG",@progbits,_Z39paged_attention_ll4mi_QKV_mfma16_kernelIDF16_DF16_LN4vllm18Fp8KVCacheDataTypeE0EDF16_Li16ELi128ELi256ELb0ELi16EL8MFMAType0EEvPKT_PKT0_S8_ifPKiSA_SA_iPKfiiiPfSD_PS3_PT2_iSC_SC_,comdat
	.protected	_Z39paged_attention_ll4mi_QKV_mfma16_kernelIDF16_DF16_LN4vllm18Fp8KVCacheDataTypeE0EDF16_Li16ELi128ELi256ELb0ELi16EL8MFMAType0EEvPKT_PKT0_S8_ifPKiSA_SA_iPKfiiiPfSD_PS3_PT2_iSC_SC_ ; -- Begin function _Z39paged_attention_ll4mi_QKV_mfma16_kernelIDF16_DF16_LN4vllm18Fp8KVCacheDataTypeE0EDF16_Li16ELi128ELi256ELb0ELi16EL8MFMAType0EEvPKT_PKT0_S8_ifPKiSA_SA_iPKfiiiPfSD_PS3_PT2_iSC_SC_
	.globl	_Z39paged_attention_ll4mi_QKV_mfma16_kernelIDF16_DF16_LN4vllm18Fp8KVCacheDataTypeE0EDF16_Li16ELi128ELi256ELb0ELi16EL8MFMAType0EEvPKT_PKT0_S8_ifPKiSA_SA_iPKfiiiPfSD_PS3_PT2_iSC_SC_
	.p2align	8
	.type	_Z39paged_attention_ll4mi_QKV_mfma16_kernelIDF16_DF16_LN4vllm18Fp8KVCacheDataTypeE0EDF16_Li16ELi128ELi256ELb0ELi16EL8MFMAType0EEvPKT_PKT0_S8_ifPKiSA_SA_iPKfiiiPfSD_PS3_PT2_iSC_SC_,@function
_Z39paged_attention_ll4mi_QKV_mfma16_kernelIDF16_DF16_LN4vllm18Fp8KVCacheDataTypeE0EDF16_Li16ELi128ELi256ELb0ELi16EL8MFMAType0EEvPKT_PKT0_S8_ifPKiSA_SA_iPKfiiiPfSD_PS3_PT2_iSC_SC_: ; @_Z39paged_attention_ll4mi_QKV_mfma16_kernelIDF16_DF16_LN4vllm18Fp8KVCacheDataTypeE0EDF16_Li16ELi128ELi256ELb0ELi16EL8MFMAType0EEvPKT_PKT0_S8_ifPKiSA_SA_iPKfiiiPfSD_PS3_PT2_iSC_SC_
; %bb.0:
	s_load_b64 s[4:5], s[0:1], 0x30
	s_mov_b32 s30, s13
	s_waitcnt lgkmcnt(0)
	s_cmp_lg_u64 s[4:5], 0
	s_cselect_b32 s12, -1, 0
	s_ashr_i32 s31, s13, 31
	s_cmp_eq_u64 s[4:5], 0
	s_cbranch_scc1 .LBB301_3
; %bb.1:
	s_lshl_b64 s[2:3], s[30:31], 2
	s_delay_alu instid0(SALU_CYCLE_1) | instskip(SKIP_4) | instid1(SALU_CYCLE_1)
	s_add_u32 s2, s4, s2
	s_addc_u32 s3, s5, s3
	s_load_b64 s[2:3], s[2:3], 0x0
	s_waitcnt lgkmcnt(0)
	s_sub_i32 s2, s3, s2
	s_cmp_eq_u32 s2, 1
	s_cselect_b32 s2, -1, 0
	s_delay_alu instid0(SALU_CYCLE_1)
	s_and_not1_b32 vcc_lo, exec_lo, s2
	s_cbranch_vccz .LBB301_4
.LBB301_2:
	s_endpgm
.LBB301_3:
.LBB301_4:
	s_load_b64 s[2:3], s[0:1], 0x28
	s_lshl_b64 s[6:7], s[30:31], 2
	s_waitcnt lgkmcnt(0)
	s_add_u32 s2, s2, s6
	s_addc_u32 s3, s3, s7
	s_lshl_b32 s29, s14, 8
	s_load_b32 s28, s[2:3], 0x0
	s_waitcnt lgkmcnt(0)
	s_cmp_ge_i32 s29, s28
	s_cbranch_scc1 .LBB301_2
; %bb.5:
	s_clause 0x1
	s_load_b128 s[8:11], s[0:1], 0x8
	s_load_b64 s[2:3], s[0:1], 0x20
	s_and_not1_b32 vcc_lo, exec_lo, s12
	s_cbranch_vccnz .LBB301_7
; %bb.6:
	s_add_u32 s4, s4, s6
	s_addc_u32 s5, s5, s7
	s_load_b32 s12, s[4:5], 0x0
	s_branch .LBB301_8
.LBB301_7:
	s_mov_b32 s12, s30
.LBB301_8:
	s_load_b128 s[4:7], s[0:1], 0x48
	v_and_b32_e32 v141, 15, v0
	v_lshrrev_b32_e32 v140, 5, v0
	v_and_b32_e32 v143, 31, v0
	v_and_b32_e32 v139, 1, v0
	v_bfe_u32 v138, v0, 4, 1
	v_lshlrev_b32_e32 v1, 3, v141
	s_lshl_b32 s31, s15, 4
	s_waitcnt lgkmcnt(0)
	s_mov_b32 s7, exec_lo
	s_delay_alu instid0(VALU_DEP_1)
	v_lshlrev_b32_e32 v137, 1, v1
	v_cmpx_gt_u32_e32 0x100, v0
	s_cbranch_execz .LBB301_10
; %bb.9:
	v_lshl_or_b32 v5, v140, 1, v138
	s_load_b64 s[16:17], s[0:1], 0x0
	s_mul_hi_i32 s13, s12, s4
	s_mul_i32 s12, s12, s4
	v_lshlrev_b32_e32 v6, 10, v141
	v_or_b32_e32 v1, s31, v5
	s_lshl_b64 s[12:13], s[12:13], 1
	v_lshlrev_b32_e32 v5, 6, v5
	v_lshlrev_b32_e32 v7, 10, v139
	v_and_b32_e32 v6, 0x3800, v6
	v_lshlrev_b32_e32 v1, 7, v1
	s_delay_alu instid0(VALU_DEP_2) | instskip(NEXT) | instid1(VALU_DEP_2)
	v_or3_b32 v5, v6, v7, v5
	v_ashrrev_i32_e32 v2, 31, v1
	s_delay_alu instid0(VALU_DEP_1) | instskip(SKIP_3) | instid1(VALU_DEP_1)
	v_lshlrev_b64 v[1:2], 1, v[1:2]
	s_waitcnt lgkmcnt(0)
	s_add_u32 s4, s16, s12
	s_addc_u32 s12, s17, s13
	v_add_co_u32 v1, vcc_lo, s4, v1
	s_delay_alu instid0(VALU_DEP_2) | instskip(NEXT) | instid1(VALU_DEP_2)
	v_add_co_ci_u32_e32 v2, vcc_lo, s12, v2, vcc_lo
	v_add_co_u32 v1, vcc_lo, v1, v137
	s_delay_alu instid0(VALU_DEP_2)
	v_add_co_ci_u32_e32 v2, vcc_lo, 0, v2, vcc_lo
	global_load_b128 v[1:4], v[1:2], off
	s_waitcnt vmcnt(0)
	ds_store_b128 v5, v[1:4]
.LBB301_10:
	s_or_b32 exec_lo, exec_lo, s7
	s_mov_b32 s40, 0
	s_add_i32 s4, s28, 15
	s_mov_b32 s41, s40
	s_mov_b32 s42, s40
	;; [unrolled: 1-line block ×7, first 2 shown]
	s_delay_alu instid0(SALU_CYCLE_1)
	v_dual_mov_b32 v136, s47 :: v_dual_and_b32 v1, 0xef, v0
	v_mov_b32_e32 v134, s45
	s_clause 0x1
	s_load_b32 s7, s[0:1], 0x38
	s_load_b32 s33, s[0:1], 0x98
	v_add_nc_u32_e32 v1, s29, v1
	s_ashr_i32 s12, s4, 31
	s_load_b32 s34, s[0:1], 0x1c
	s_lshr_b32 s12, s12, 28
	s_waitcnt lgkmcnt(0)
	v_ashrrev_i32_e32 v2, 31, v1
	s_add_i32 s4, s4, s12
	v_cmp_gt_i32_e32 vcc_lo, s28, v1
	v_mov_b32_e32 v135, s46
	s_ashr_i32 s4, s4, 4
	v_lshrrev_b32_e32 v3, 28, v2
	v_or_b32_e32 v2, 16, v1
	s_add_i32 s4, s4, -1
	v_mov_b32_e32 v132, s43
	s_barrier
	v_add_nc_u32_e32 v4, v1, v3
	v_add_nc_u32_e32 v3, v2, v3
	buffer_gl0_inv
	v_lshlrev_b32_e32 v142, 6, v141
	s_mul_i32 s12, s30, s7
	v_ashrrev_i32_e32 v4, 4, v4
	v_ashrrev_i32_e32 v3, 4, v3
	s_ashr_i32 s13, s12, 31
	v_mov_b32_e32 v133, s44
	s_lshl_b64 s[12:13], s[12:13], 2
	v_cndmask_b32_e32 v1, s4, v4, vcc_lo
	v_cmp_gt_i32_e32 vcc_lo, s28, v2
	s_add_u32 s35, s2, s12
	s_addc_u32 s36, s3, s13
	s_mul_i32 s2, s15, s6
	v_ashrrev_i32_e32 v2, 31, v1
	v_cndmask_b32_e32 v3, s4, v3, vcc_lo
	s_ashr_i32 s3, s2, 31
	v_mov_b32_e32 v131, s42
	s_lshl_b64 s[2:3], s[2:3], 1
	v_lshlrev_b64 v[1:2], 2, v[1:2]
	v_ashrrev_i32_e32 v4, 31, v3
	s_add_u32 s22, s8, s2
	s_addc_u32 s23, s9, s3
	s_lshl_b32 s6, s14, 4
	v_mov_b32_e32 v129, s40
	v_lshlrev_b64 v[3:4], 2, v[3:4]
	v_add_co_u32 v1, vcc_lo, s35, v1
	v_add_co_ci_u32_e32 v2, vcc_lo, s36, v2, vcc_lo
	s_ashr_i32 s7, s6, 31
	s_delay_alu instid0(VALU_DEP_3) | instskip(NEXT) | instid1(VALU_DEP_4)
	v_add_co_u32 v3, vcc_lo, s35, v3
	v_add_co_ci_u32_e32 v4, vcc_lo, s36, v4, vcc_lo
	s_clause 0x1
	global_load_b32 v5, v[1:2], off
	global_load_b32 v6, v[3:4], off
	s_lshl_b64 s[6:7], s[6:7], 2
	v_dual_mov_b32 v130, s41 :: v_dual_lshlrev_b32 v3, 4, v0
	s_add_u32 s6, s35, s6
	s_addc_u32 s7, s36, s7
	s_or_b32 s8, s29, 16
	v_lshlrev_b32_e32 v125, 5, v141
	s_ashr_i32 s9, s8, 4
	s_cmp_lt_i32 s8, s28
	s_cselect_b32 s8, s9, s4
	s_delay_alu instid0(VALU_DEP_1) | instskip(SKIP_1) | instid1(SALU_CYCLE_1)
	v_lshl_or_b32 v125, v140, 9, v125
	s_ashr_i32 s9, s8, 31
	s_lshl_b64 s[8:9], s[8:9], 2
	s_delay_alu instid0(SALU_CYCLE_1) | instskip(SKIP_2) | instid1(SALU_CYCLE_1)
	s_add_u32 s8, s35, s8
	s_addc_u32 s9, s36, s9
	s_or_b32 s12, s29, 32
	s_ashr_i32 s13, s12, 4
	s_cmp_lt_i32 s12, s28
	s_cselect_b32 s12, s13, s4
	s_delay_alu instid0(SALU_CYCLE_1) | instskip(NEXT) | instid1(SALU_CYCLE_1)
	s_ashr_i32 s13, s12, 31
	s_lshl_b64 s[12:13], s[12:13], 2
	s_delay_alu instid0(SALU_CYCLE_1) | instskip(SKIP_2) | instid1(SALU_CYCLE_1)
	s_add_u32 s12, s35, s12
	s_addc_u32 s13, s36, s13
	s_or_b32 s15, s29, 48
	s_ashr_i32 s16, s15, 4
	s_cmp_lt_i32 s15, s28
	s_cselect_b32 s16, s16, s4
	s_delay_alu instid0(SALU_CYCLE_1) | instskip(NEXT) | instid1(SALU_CYCLE_1)
	;; [unrolled: 10-line block ×4, first 2 shown]
	s_ashr_i32 s21, s20, 31
	s_lshl_b64 s[20:21], s[20:21], 2
	s_delay_alu instid0(SALU_CYCLE_1)
	s_add_u32 s20, s35, s20
	s_addc_u32 s21, s36, s21
	s_clause 0x5
	s_load_b32 s6, s[6:7], 0x0
	s_load_b32 s8, s[8:9], 0x0
	;; [unrolled: 1-line block ×6, first 2 shown]
	s_waitcnt vmcnt(1)
	v_mad_i64_i32 v[1:2], null, v5, s5, 0
	v_and_b32_e32 v5, 0xf0, v3
	s_waitcnt vmcnt(0)
	v_mad_i64_i32 v[3:4], null, v6, s5, 0
	s_delay_alu instid0(VALU_DEP_2) | instskip(NEXT) | instid1(VALU_DEP_4)
	v_add_co_u32 v5, s7, s22, v5
	v_lshlrev_b64 v[1:2], 1, v[1:2]
	v_add_co_ci_u32_e64 v6, null, s23, 0, s7
	s_delay_alu instid0(VALU_DEP_4) | instskip(SKIP_1) | instid1(VALU_DEP_3)
	v_lshlrev_b64 v[3:4], 1, v[3:4]
	s_or_b32 s7, s29, 0x60
	v_add_co_u32 v121, vcc_lo, v5, v1
	s_delay_alu instid0(VALU_DEP_3) | instskip(NEXT) | instid1(VALU_DEP_3)
	v_add_co_ci_u32_e32 v122, vcc_lo, v6, v2, vcc_lo
	v_add_co_u32 v123, vcc_lo, v5, v3
	s_delay_alu instid0(VALU_DEP_4)
	v_add_co_ci_u32_e32 v124, vcc_lo, v6, v4, vcc_lo
	s_clause 0x19
	global_load_b128 v[89:92], v[121:122], off
	global_load_b128 v[93:96], v[121:122], off offset:256
	global_load_b128 v[97:100], v[123:124], off
	global_load_b128 v[101:104], v[123:124], off offset:256
	global_load_b128 v[81:84], v[121:122], off offset:512
	;; [unrolled: 1-line block ×23, first 2 shown]
	s_ashr_i32 s9, s7, 4
	s_cmp_lt_i32 s7, s28
	ds_load_b128 v[105:108], v142
	ds_load_b128 v[109:112], v142 offset:1024
	s_cselect_b32 s20, s9, s4
	ds_load_b128 v[113:116], v142 offset:2048
	ds_load_b128 v[117:120], v142 offset:3072
	s_ashr_i32 s21, s20, 31
	ds_load_b128 v[144:147], v142 offset:4096
	ds_load_b128 v[148:151], v142 offset:5120
	s_lshl_b64 s[20:21], s[20:21], 2
	ds_load_b128 v[152:155], v142 offset:6144
	ds_load_b128 v[156:159], v142 offset:7168
	s_add_u32 s20, s35, s20
	s_addc_u32 s21, s36, s21
	s_or_b32 s7, s29, 0x70
	ds_load_b128 v[160:163], v142 offset:8192
	ds_load_b128 v[164:167], v142 offset:9216
	s_ashr_i32 s9, s7, 4
	s_cmp_lt_i32 s7, s28
	s_clause 0x1
	global_load_b128 v[168:171], v[123:124], off offset:3072
	global_load_b128 v[172:175], v[123:124], off offset:3328
	s_cselect_b32 s22, s9, s4
	s_delay_alu instid0(SALU_CYCLE_1) | instskip(NEXT) | instid1(SALU_CYCLE_1)
	s_ashr_i32 s23, s22, 31
	s_lshl_b64 s[22:23], s[22:23], 2
	s_delay_alu instid0(SALU_CYCLE_1)
	s_add_u32 s22, s35, s22
	s_addc_u32 s23, s36, s23
	s_clause 0x1
	s_load_b32 s44, s[20:21], 0x0
	s_load_b32 s45, s[22:23], 0x0
	s_clause 0x3
	global_load_b128 v[176:179], v[121:122], off offset:3584
	global_load_b128 v[180:183], v[121:122], off offset:3840
	;; [unrolled: 1-line block ×4, first 2 shown]
	s_or_b32 s7, s29, 0x80
	s_delay_alu instid0(SALU_CYCLE_1) | instskip(SKIP_2) | instid1(SALU_CYCLE_1)
	s_ashr_i32 s9, s7, 4
	s_cmp_lt_i32 s7, s28
	s_cselect_b32 s24, s9, s4
	s_ashr_i32 s25, s24, 31
	s_delay_alu instid0(SALU_CYCLE_1) | instskip(NEXT) | instid1(SALU_CYCLE_1)
	s_lshl_b64 s[24:25], s[24:25], 2
	s_add_u32 s24, s35, s24
	s_addc_u32 s25, s36, s25
	s_or_b32 s7, s29, 0x90
	s_delay_alu instid0(SALU_CYCLE_1) | instskip(SKIP_2) | instid1(SALU_CYCLE_1)
	s_ashr_i32 s9, s7, 4
	s_cmp_lt_i32 s7, s28
	s_cselect_b32 s26, s9, s4
	s_ashr_i32 s27, s26, 31
	s_delay_alu instid0(SALU_CYCLE_1) | instskip(NEXT) | instid1(SALU_CYCLE_1)
	s_lshl_b64 s[26:27], s[26:27], 2
	s_add_u32 s26, s35, s26
	s_addc_u32 s27, s36, s27
	s_or_b32 s7, s29, 0xa0
	s_delay_alu instid0(SALU_CYCLE_1)
	s_ashr_i32 s9, s7, 4
	s_cmp_lt_i32 s7, s28
	s_waitcnt lgkmcnt(0)
	s_mul_hi_i32 s7, s6, s5
	s_cselect_b32 s38, s9, s4
	s_mul_i32 s6, s6, s5
	s_ashr_i32 s39, s38, 31
	s_delay_alu instid0(SALU_CYCLE_1) | instskip(NEXT) | instid1(SALU_CYCLE_1)
	s_lshl_b64 s[38:39], s[38:39], 2
	s_add_u32 s38, s35, s38
	s_addc_u32 s39, s36, s39
	s_or_b32 s9, s29, 0xb0
	s_load_b32 s39, s[38:39], 0x0
	s_ashr_i32 s13, s9, 4
	s_cmp_lt_i32 s9, s28
	s_mul_hi_i32 s9, s8, s5
	s_cselect_b32 s40, s13, s4
	s_mul_i32 s8, s8, s5
	s_ashr_i32 s41, s40, 31
	s_mul_hi_i32 s13, s12, s5
	s_lshl_b64 s[40:41], s[40:41], 2
	s_mul_i32 s12, s12, s5
	s_add_u32 s42, s35, s40
	s_addc_u32 s43, s36, s41
	s_or_b32 s17, s29, 0xc0
	s_delay_alu instid0(SALU_CYCLE_1)
	s_ashr_i32 s19, s17, 4
	s_cmp_lt_i32 s17, s28
	s_mul_hi_i32 s17, s16, s5
	s_cselect_b32 s40, s19, s4
	s_mul_i32 s16, s16, s5
	s_ashr_i32 s41, s40, 31
	s_mul_hi_i32 s19, s18, s5
	s_lshl_b64 s[40:41], s[40:41], 2
	s_mul_i32 s18, s18, s5
	s_add_u32 s22, s35, s40
	s_addc_u32 s23, s36, s41
	s_or_b32 s20, s29, 0xd0
	s_clause 0x1
	s_load_b32 s41, s[24:25], 0x0
	s_load_b32 s40, s[26:27], 0x0
	s_ashr_i32 s21, s20, 4
	s_cmp_lt_i32 s20, s28
	s_mul_i32 s20, s15, s5
	s_cselect_b32 s24, s21, s4
	s_mul_hi_i32 s21, s15, s5
	s_ashr_i32 s25, s24, 31
	s_delay_alu instid0(SALU_CYCLE_1) | instskip(NEXT) | instid1(SALU_CYCLE_1)
	s_lshl_b64 s[24:25], s[24:25], 2
	s_add_u32 s24, s35, s24
	s_addc_u32 s25, s36, s25
	s_or_b32 s46, s29, 0xe0
	s_clause 0x2
	s_load_b32 s38, s[42:43], 0x0
	s_load_b32 s37, s[22:23], 0x0
	;; [unrolled: 1-line block ×3, first 2 shown]
	s_ashr_i32 s47, s46, 4
	s_cmp_lt_i32 s46, s28
	s_mul_hi_i32 s23, s44, s5
	s_cselect_b32 s42, s47, s4
	s_mul_i32 s22, s44, s5
	s_ashr_i32 s43, s42, 31
	s_mul_hi_i32 s25, s45, s5
	s_lshl_b64 s[42:43], s[42:43], 2
	s_mul_i32 s24, s45, s5
	s_add_u32 s42, s35, s42
	s_addc_u32 s43, s36, s43
	s_or_b32 s46, s29, 0xf0
	s_waitcnt lgkmcnt(0)
	s_mul_hi_i32 s27, s41, s5
	s_ashr_i32 s47, s46, 4
	s_cmp_lt_i32 s46, s28
	s_mul_i32 s26, s41, s5
	s_cselect_b32 s46, s47, s4
	s_mul_hi_i32 s41, s40, s5
	s_ashr_i32 s47, s46, 31
	s_mul_hi_i32 s51, s15, s5
	s_lshl_b64 s[46:47], s[46:47], 2
	s_mul_i32 s50, s15, s5
	s_add_u32 s46, s35, s46
	s_addc_u32 s47, s36, s47
	s_add_u32 s4, s10, s2
	s_addc_u32 s15, s11, s3
	v_add_co_u32 v216, s4, s4, v125
	s_delay_alu instid0(VALU_DEP_1) | instskip(SKIP_2) | instid1(VALU_DEP_2)
	v_add_co_ci_u32_e64 v217, null, s15, 0, s4
	s_lshl_b64 s[2:3], s[6:7], 1
	s_lshl_b64 s[6:7], s[8:9], 1
	v_add_co_u32 v125, vcc_lo, v216, s2
	s_delay_alu instid0(VALU_DEP_2)
	v_add_co_ci_u32_e32 v126, vcc_lo, s3, v217, vcc_lo
	v_add_co_u32 v200, vcc_lo, v216, s6
	s_lshl_b64 s[8:9], s[12:13], 1
	v_add_co_ci_u32_e32 v201, vcc_lo, s7, v217, vcc_lo
	s_lshl_b64 s[10:11], s[16:17], 1
	s_lshl_b64 s[12:13], s[18:19], 1
	;; [unrolled: 1-line block ×6, first 2 shown]
	s_mul_i32 s40, s40, s5
	s_mul_hi_i32 s45, s39, s5
	s_lshl_b64 s[24:25], s[40:41], 1
	s_mul_i32 s44, s39, s5
	s_mul_hi_i32 s39, s38, s5
	s_lshl_b64 s[26:27], s[44:45], 1
	s_mul_i32 s38, s38, s5
	s_mul_hi_i32 s49, s37, s5
	s_mul_i32 s48, s37, s5
	s_lshl_b64 s[36:37], s[38:39], 1
	s_lshl_b64 s[38:39], s[48:49], 1
	s_clause 0x1
	s_load_b32 s4, s[42:43], 0x0
	s_load_b32 s15, s[46:47], 0x0
	s_lshl_b64 s[40:41], s[50:51], 1
	s_waitcnt lgkmcnt(0)
	s_mul_hi_i32 s3, s4, s5
	s_mul_i32 s2, s4, s5
	s_mul_hi_i32 s7, s15, s5
	s_lshl_b64 s[2:3], s[2:3], 1
	s_mul_i32 s6, s15, s5
	s_waitcnt vmcnt(30)
	v_wmma_f32_16x16x16_f16 v[192:199], v[89:96], v[105:112], v[129:136]
	v_add_co_u32 v89, vcc_lo, v216, s8
	v_add_co_ci_u32_e32 v90, vcc_lo, s9, v217, vcc_lo
	v_add_co_u32 v91, vcc_lo, v216, s10
	v_add_co_ci_u32_e32 v92, vcc_lo, s11, v217, vcc_lo
	;; [unrolled: 2-line block ×5, first 2 shown]
	v_add_co_u32 v206, vcc_lo, v216, s20
	s_waitcnt vmcnt(28)
	v_wmma_f32_16x16x16_f16 v[129:136], v[97:104], v[105:112], v[129:136]
	v_add_co_ci_u32_e32 v207, vcc_lo, s21, v217, vcc_lo
	v_add_co_u32 v208, vcc_lo, v216, s22
	v_add_co_ci_u32_e32 v209, vcc_lo, s23, v217, vcc_lo
	v_add_co_u32 v210, vcc_lo, v216, s24
	s_waitcnt vmcnt(26)
	v_wmma_f32_16x16x16_f16 v[192:199], v[81:88], v[113:120], v[192:199]
	s_waitcnt vmcnt(24)
	v_wmma_f32_16x16x16_f16 v[129:136], v[73:80], v[113:120], v[129:136]
	v_add_co_ci_u32_e32 v211, vcc_lo, s25, v217, vcc_lo
	v_add_co_u32 v212, vcc_lo, v216, s26
	v_add_co_ci_u32_e32 v213, vcc_lo, s27, v217, vcc_lo
	v_add_co_u32 v214, vcc_lo, v216, s36
	s_waitcnt vmcnt(22)
	v_wmma_f32_16x16x16_f16 v[192:199], v[65:72], v[144:151], v[192:199]
	s_waitcnt vmcnt(20)
	v_wmma_f32_16x16x16_f16 v[129:136], v[57:64], v[144:151], v[129:136]
	v_add_co_ci_u32_e32 v215, vcc_lo, s37, v217, vcc_lo
	v_add_co_u32 v144, vcc_lo, v216, s38
	s_waitcnt vmcnt(18)
	v_wmma_f32_16x16x16_f16 v[192:199], v[49:56], v[152:159], v[192:199]
	s_waitcnt vmcnt(16)
	v_wmma_f32_16x16x16_f16 v[129:136], v[25:32], v[152:159], v[129:136]
	v_add_co_ci_u32_e32 v145, vcc_lo, s39, v217, vcc_lo
	s_clause 0x15
	global_load_b128 v[121:124], v[125:126], off
	global_load_b128 v[125:128], v[125:126], off offset:16
	global_load_b128 v[113:116], v[200:201], off
	global_load_b128 v[117:120], v[200:201], off offset:16
	;; [unrolled: 2-line block ×11, first 2 shown]
	s_waitcnt vmcnt(36)
	v_wmma_f32_16x16x16_f16 v[192:199], v[1:8], v[160:167], v[192:199]
	s_clause 0x1
	global_load_b128 v[1:4], v[214:215], off
	global_load_b128 v[5:8], v[214:215], off offset:16
	s_waitcnt vmcnt(36)
	v_wmma_f32_16x16x16_f16 v[129:136], v[9:16], v[160:167], v[129:136]
	s_clause 0x1
	global_load_b128 v[9:12], v[144:145], off
	global_load_b128 v[13:16], v[144:145], off offset:16
	ds_load_b128 v[144:147], v142 offset:10240
	ds_load_b128 v[148:151], v142 offset:11264
	ds_load_b128 v[152:155], v142 offset:12288
	ds_load_b128 v[156:159], v142 offset:13312
	v_add_co_u32 v200, vcc_lo, v216, s40
	v_add_co_ci_u32_e32 v201, vcc_lo, s41, v217, vcc_lo
	v_add_co_u32 v160, vcc_lo, v216, s2
	v_add_co_ci_u32_e32 v161, vcc_lo, s3, v217, vcc_lo
	s_lshl_b64 s[2:3], s[6:7], 1
	s_delay_alu instid0(SALU_CYCLE_1)
	v_add_co_u32 v162, vcc_lo, v216, s2
	v_add_co_ci_u32_e32 v163, vcc_lo, s3, v217, vcc_lo
	s_waitcnt vmcnt(36) lgkmcnt(2)
	v_wmma_f32_16x16x16_f16 v[192:199], v[41:48], v[144:151], v[192:199]
	s_waitcnt vmcnt(34)
	v_wmma_f32_16x16x16_f16 v[129:136], v[33:40], v[144:151], v[129:136]
	s_clause 0x3
	global_load_b128 v[33:36], v[200:201], off
	global_load_b128 v[37:40], v[200:201], off offset:16
	global_load_b128 v[41:44], v[160:161], off
	global_load_b128 v[45:48], v[160:161], off offset:16
	v_and_b32_e32 v144, 0xe0, v0
	v_mbcnt_lo_u32_b32 v160, -1, 0
	s_waitcnt vmcnt(36) lgkmcnt(0)
	v_wmma_f32_16x16x16_f16 v[192:199], v[17:24], v[152:159], v[192:199]
	s_clause 0x1
	global_load_b128 v[17:20], v[162:163], off
	global_load_b128 v[21:24], v[162:163], off offset:16
	s_waitcnt vmcnt(36)
	v_wmma_f32_16x16x16_f16 v[129:136], v[168:175], v[152:159], v[129:136]
	v_add_nc_u32_e32 v161, s29, v144
	ds_load_b128 v[144:147], v142 offset:14336
	ds_load_b128 v[148:151], v142 offset:15360
	v_xor_b32_e32 v152, 16, v160
	s_waitcnt vmcnt(0) lgkmcnt(0)
	s_barrier
	buffer_gl0_inv
	v_cmp_gt_i32_e32 vcc_lo, 32, v152
	v_cndmask_b32_e32 v152, v160, v152, vcc_lo
	v_wmma_f32_16x16x16_f16 v[192:199], v[176:183], v[144:151], v[192:199]
	v_wmma_f32_16x16x16_f16 v[129:136], v[184:191], v[144:151], v[129:136]
	s_delay_alu instid0(VALU_DEP_2) | instskip(SKIP_1) | instid1(VALU_DEP_3)
	v_mul_f32_e32 v150, s34, v193
	v_or_b32_e32 v153, v161, v138
	v_dual_mul_f32 v151, s34, v192 :: v_dual_mul_f32 v176, s34, v129
	v_dual_mul_f32 v148, s34, v195 :: v_dual_mul_f32 v149, s34, v194
	v_mul_f32_e32 v174, s34, v131
	s_delay_alu instid0(VALU_DEP_4)
	v_or_b32_e32 v154, 2, v153
	v_or_b32_e32 v155, 4, v153
	v_or_b32_e32 v156, 6, v153
	v_cmp_gt_i32_e32 vcc_lo, s28, v153
	v_or_b32_e32 v157, 8, v153
	v_cmp_gt_i32_e64 s2, s28, v154
	v_or_b32_e32 v158, 10, v153
	v_cmp_gt_i32_e64 s3, s28, v155
	v_cndmask_b32_e32 v151, 0xff7fffff, v151, vcc_lo
	v_cmp_gt_i32_e64 s4, s28, v156
	v_cndmask_b32_e64 v150, 0xff7fffff, v150, s2
	v_or_b32_e32 v159, 12, v153
	v_or_b32_e32 v160, 14, v153
	v_dual_mul_f32 v146, s34, v197 :: v_dual_mul_f32 v147, s34, v196
	v_mul_f32_e32 v172, s34, v133
	v_cndmask_b32_e64 v149, 0xff7fffff, v149, s3
	v_cndmask_b32_e64 v148, 0xff7fffff, v148, s4
	v_max3_f32 v150, v151, 0xff7fffff, v150
	v_cmp_gt_i32_e64 s5, s28, v157
	v_cmp_gt_i32_e64 s6, s28, v158
	v_or_b32_e32 v161, 16, v153
	v_or_b32_e32 v162, 18, v153
	v_dual_mul_f32 v144, s34, v199 :: v_dual_mul_f32 v145, s34, v198
	v_mul_f32_e32 v170, s34, v135
	v_cndmask_b32_e64 v147, 0xff7fffff, v147, s5
	v_cndmask_b32_e64 v146, 0xff7fffff, v146, s6
	v_max3_f32 v148, v150, v149, v148
	v_cmp_gt_i32_e64 s7, s28, v159
	v_cmp_gt_i32_e64 s8, s28, v160
	v_or_b32_e32 v163, 20, v153
	v_or_b32_e32 v164, 22, v153
	v_mul_f32_e32 v175, s34, v130
	v_cndmask_b32_e64 v145, 0xff7fffff, v145, s7
	v_cndmask_b32_e64 v144, 0xff7fffff, v144, s8
	v_max3_f32 v146, v148, v147, v146
	v_cmp_gt_i32_e64 s9, s28, v161
	v_cmp_gt_i32_e64 s10, s28, v162
	v_or_b32_e32 v165, 24, v153
	v_or_b32_e32 v166, 26, v153
	;; [unrolled: 8-line block ×3, first 2 shown]
	v_mul_f32_e32 v171, s34, v134
	v_cndmask_b32_e64 v145, 0xff7fffff, v174, s11
	v_cndmask_b32_e64 v146, 0xff7fffff, v173, s12
	v_max3_f32 v144, v144, v147, v148
	v_cmp_gt_i32_e64 s13, s28, v165
	v_cmp_gt_i32_e64 s15, s28, v166
	v_mul_f32_e32 v169, s34, v136
	v_cmp_gt_i32_e64 s16, s28, v167
	v_max3_f32 v144, v144, v145, v146
	v_cndmask_b32_e64 v147, 0xff7fffff, v172, s13
	v_cndmask_b32_e64 v148, 0xff7fffff, v171, s15
	v_cmp_gt_i32_e64 s17, s28, v168
	v_cndmask_b32_e64 v145, 0xff7fffff, v170, s16
	v_lshlrev_b32_e32 v161, 2, v152
	s_delay_alu instid0(VALU_DEP_4) | instskip(NEXT) | instid1(VALU_DEP_4)
	v_max3_f32 v144, v144, v147, v148
	v_cndmask_b32_e64 v146, 0xff7fffff, v169, s17
	s_delay_alu instid0(VALU_DEP_1) | instskip(SKIP_3) | instid1(VALU_DEP_1)
	v_max3_f32 v144, v144, v145, v146
	ds_bpermute_b32 v145, v161, v144
	s_waitcnt lgkmcnt(0)
	v_max_f32_e32 v145, v145, v145
	v_max_f32_e32 v160, v144, v145
	s_delay_alu instid0(VALU_DEP_1) | instskip(SKIP_4) | instid1(VALU_DEP_4)
	v_fma_f32 v146, s34, v194, -v160
	v_fma_f32 v147, s34, v195, -v160
	;; [unrolled: 1-line block ×5, first 2 shown]
	v_dual_mul_f32 v146, 0x3fb8aa3b, v146 :: v_dual_mul_f32 v147, 0x3fb8aa3b, v147
	v_fma_f32 v145, s34, v193, -v160
	v_mul_f32_e32 v144, 0x3fb8aa3b, v144
	s_delay_alu instid0(VALU_DEP_4) | instskip(NEXT) | instid1(VALU_DEP_4)
	v_mul_f32_e32 v130, 0x3fb8aa3b, v130
	v_exp_f32_e32 v146, v146
	v_exp_f32_e32 v151, v147
	v_mul_f32_e32 v152, 0x3fb8aa3b, v152
	v_exp_f32_e32 v144, v144
	v_fma_f32 v153, s34, v199, -v160
	v_fma_f32 v132, s34, v132, -v160
	;; [unrolled: 1-line block ×3, first 2 shown]
	v_exp_f32_e32 v152, v152
	v_fma_f32 v149, s34, v196, -v160
	v_fma_f32 v129, s34, v129, -v160
	v_cndmask_b32_e64 v147, 0, v146, s3
	v_mul_f32_e32 v145, 0x3fb8aa3b, v145
	v_cndmask_b32_e64 v146, 0, v151, s4
	v_dual_mul_f32 v151, 0x3fb8aa3b, v153 :: v_dual_mul_f32 v132, 0x3fb8aa3b, v132
	v_mul_f32_e32 v150, 0x3fb8aa3b, v150
	s_delay_alu instid0(VALU_DEP_4) | instskip(SKIP_1) | instid1(VALU_DEP_3)
	v_exp_f32_e32 v148, v145
	v_fma_f32 v134, s34, v134, -v160
	v_exp_f32_e32 v154, v151
	v_cndmask_b32_e64 v151, 0, v152, s7
	v_cndmask_b32_e32 v145, 0, v144, vcc_lo
	v_exp_f32_e32 v150, v150
	v_dual_mul_f32 v129, 0x3fb8aa3b, v129 :: v_dual_mul_f32 v134, 0x3fb8aa3b, v134
	v_exp_f32_e32 v130, v130
	v_fma_f32 v131, s34, v131, -v160
	v_cndmask_b32_e64 v144, 0, v148, s2
	v_add_f32_e32 v148, 0, v145
	v_exp_f32_e32 v129, v129
	v_fma_f32 v133, s34, v133, -v160
	v_exp_f32_e32 v132, v132
	s_mov_b32 s2, exec_lo
	s_delay_alu instid0(VALU_DEP_1) | instskip(NEXT) | instid1(VALU_DEP_1)
	v_dual_add_f32 v148, v148, v144 :: v_dual_mul_f32 v133, 0x3fb8aa3b, v133
	v_add_f32_e32 v148, v148, v147
	s_delay_alu instid0(VALU_DEP_2) | instskip(NEXT) | instid1(VALU_DEP_1)
	v_exp_f32_e32 v133, v133
	v_add_f32_e32 v153, v148, v146
	v_cndmask_b32_e64 v148, 0, v150, s6
	v_mul_f32_e32 v149, 0x3fb8aa3b, v149
	s_delay_alu instid0(VALU_DEP_1) | instskip(SKIP_3) | instid1(VALU_DEP_1)
	v_exp_f32_e32 v149, v149
	s_waitcnt_depctr 0xfff
	v_cndmask_b32_e64 v157, 0, v133, s13
	v_cndmask_b32_e64 v149, 0, v149, s5
	v_add_f32_e32 v150, v153, v149
	v_cndmask_b32_e64 v153, 0, v129, s9
	s_delay_alu instid0(VALU_DEP_2) | instskip(SKIP_3) | instid1(VALU_DEP_4)
	v_add_f32_e32 v152, v150, v148
	v_cndmask_b32_e64 v150, 0, v154, s8
	v_cndmask_b32_e64 v154, 0, v132, s12
	v_fma_f32 v132, s34, v136, -v160
	v_add_f32_e32 v152, v152, v151
	s_delay_alu instid0(VALU_DEP_1) | instskip(SKIP_3) | instid1(VALU_DEP_2)
	v_dual_mul_f32 v132, 0x3fb8aa3b, v132 :: v_dual_add_f32 v129, v152, v150
	v_cndmask_b32_e64 v152, 0, v130, s10
	v_fma_f32 v130, s34, v135, -v160
	v_mul_f32_e32 v131, 0x3fb8aa3b, v131
	v_dual_add_f32 v129, v129, v153 :: v_dual_mul_f32 v130, 0x3fb8aa3b, v130
	s_delay_alu instid0(VALU_DEP_2) | instskip(NEXT) | instid1(VALU_DEP_1)
	v_exp_f32_e32 v131, v131
	v_add_f32_e32 v129, v129, v152
	s_delay_alu instid0(VALU_DEP_2) | instskip(SKIP_4) | instid1(VALU_DEP_2)
	v_exp_f32_e32 v130, v130
	s_waitcnt_depctr 0xfff
	v_cndmask_b32_e64 v155, 0, v131, s11
	v_exp_f32_e32 v131, v134
	v_cndmask_b32_e64 v159, 0, v130, s16
	v_add_f32_e32 v129, v129, v155
	s_delay_alu instid0(VALU_DEP_1) | instskip(SKIP_4) | instid1(VALU_DEP_1)
	v_add_f32_e32 v129, v129, v154
	s_waitcnt_depctr 0xfff
	v_cndmask_b32_e64 v156, 0, v131, s15
	v_exp_f32_e32 v131, v132
	v_add_f32_e32 v129, v129, v157
	v_add_f32_e32 v129, v129, v156
	s_waitcnt_depctr 0xfff
	v_cndmask_b32_e64 v158, 0, v131, s17
	v_add_f32_e32 v129, v129, v159
	s_delay_alu instid0(VALU_DEP_1)
	v_add_f32_e32 v129, v129, v158
	ds_bpermute_b32 v130, v161, v129
	v_cmpx_gt_u32_e32 16, v143
	s_cbranch_execz .LBB301_12
; %bb.11:
	v_mul_u32_u24_e32 v131, 0x44, v140
	s_delay_alu instid0(VALU_DEP_1) | instskip(SKIP_1) | instid1(VALU_DEP_1)
	v_lshl_add_u32 v131, v141, 2, v131
	s_waitcnt lgkmcnt(0)
	v_dual_add_f32 v129, v129, v130 :: v_dual_add_nc_u32 v130, 0x4000, v131
	ds_store_2addr_b32 v130, v160, v129 offset1:136
.LBB301_12:
	s_or_b32 exec_lo, exec_lo, s2
	v_lshlrev_b32_e32 v129, 2, v141
	s_load_b32 s34, s[0:1], 0x94
	s_waitcnt lgkmcnt(0)
	s_barrier
	buffer_gl0_inv
	v_add_nc_u32_e32 v141, 0x4000, v129
	v_cmp_eq_u32_e32 vcc_lo, 1, v140
	v_cmp_eq_u32_e64 s2, 2, v140
	v_cmp_eq_u32_e64 s3, 3, v140
	;; [unrolled: 1-line block ×3, first 2 shown]
	ds_load_2addr_b32 v[129:130], v141 offset1:17
	ds_load_2addr_b32 v[131:132], v141 offset0:34 offset1:51
	ds_load_2addr_b32 v[133:134], v141 offset0:68 offset1:85
	;; [unrolled: 1-line block ×3, first 2 shown]
	v_cmp_eq_u32_e64 s5, 7, v140
	s_waitcnt lgkmcnt(3)
	v_max3_f32 v135, v129, 0xff7fffff, v130
	s_waitcnt lgkmcnt(2)
	s_delay_alu instid0(VALU_DEP_1) | instskip(SKIP_1) | instid1(VALU_DEP_1)
	v_max3_f32 v135, v135, v131, v132
	s_waitcnt lgkmcnt(1)
	v_max3_f32 v135, v135, v133, v134
	s_waitcnt lgkmcnt(0)
	s_delay_alu instid0(VALU_DEP_1) | instskip(NEXT) | instid1(VALU_DEP_1)
	v_max3_f32 v135, v135, v160, v161
	v_sub_f32_e32 v164, v132, v135
	ds_load_2addr_b32 v[162:163], v141 offset0:136 offset1:153
	v_sub_f32_e32 v136, v130, v135
	v_dual_sub_f32 v129, v129, v135 :: v_dual_mul_f32 v164, 0x3fb8aa3b, v164
	s_delay_alu instid0(VALU_DEP_1)
	v_dual_mul_f32 v136, 0x3fb8aa3b, v136 :: v_dual_mul_f32 v143, 0x3fb8aa3b, v129
	ds_load_2addr_b32 v[129:130], v141 offset0:170 offset1:187
	v_exp_f32_e32 v164, v164
	v_exp_f32_e32 v166, v136
	;; [unrolled: 1-line block ×3, first 2 shown]
	s_waitcnt lgkmcnt(1)
	s_waitcnt_depctr 0xfff
	v_fma_f32 v136, v143, v162, 0
	v_sub_f32_e32 v162, v134, v135
	v_sub_f32_e32 v131, v131, v135
	s_delay_alu instid0(VALU_DEP_1) | instskip(SKIP_3) | instid1(VALU_DEP_1)
	v_mul_f32_e32 v165, 0x3fb8aa3b, v131
	ds_load_2addr_b32 v[131:132], v141 offset0:204 offset1:221
	v_sub_f32_e32 v133, v133, v135
	v_exp_f32_e32 v165, v165
	v_mul_f32_e32 v167, 0x3fb8aa3b, v133
	ds_load_2addr_b32 v[133:134], v141 offset0:238 offset1:255
	v_sub_f32_e32 v141, v160, v135
	v_fmac_f32_e32 v136, v166, v163
	v_mul_f32_e32 v160, 0x3fb8aa3b, v162
	v_exp_f32_e32 v162, v167
	s_waitcnt lgkmcnt(0)
	v_mul_f32_e32 v141, 0x3fb8aa3b, v141
	v_fmac_f32_e32 v136, v165, v129
	v_sub_f32_e32 v129, v161, v135
	v_exp_f32_e32 v160, v160
	s_barrier
	v_exp_f32_e32 v141, v141
	v_fmac_f32_e32 v136, v164, v130
	v_dual_cndmask_b32 v130, v143, v166 :: v_dual_mul_f32 v129, 0x3fb8aa3b, v129
	buffer_gl0_inv
	v_fmac_f32_e32 v136, v162, v131
	v_lshl_or_b32 v131, v140, 11, v142
	v_exp_f32_e32 v161, v129
	s_delay_alu instid0(VALU_DEP_2) | instskip(NEXT) | instid1(VALU_DEP_1)
	v_fmac_f32_e32 v136, v160, v132
	v_fmac_f32_e32 v136, v141, v133
	s_waitcnt_depctr 0xfff
	v_fmac_f32_e32 v136, v161, v134
	s_delay_alu instid0(VALU_DEP_1) | instskip(NEXT) | instid1(VALU_DEP_1)
	v_add_f32_e32 v163, 0x358637bd, v136
	v_div_scale_f32 v167, null, v163, v163, 1.0
	s_delay_alu instid0(VALU_DEP_1) | instskip(SKIP_2) | instid1(VALU_DEP_1)
	v_rcp_f32_e32 v168, v167
	s_waitcnt_depctr 0xfff
	v_fma_f32 v129, -v167, v168, 1.0
	v_fmac_f32_e32 v168, v129, v168
	v_cndmask_b32_e64 v129, v130, v165, s2
	v_lshlrev_b32_e32 v130, 2, v138
	v_div_scale_f32 v143, vcc_lo, 1.0, v163, 1.0
	v_cmp_eq_u32_e64 s2, 4, v140
	s_delay_alu instid0(VALU_DEP_4) | instskip(SKIP_1) | instid1(VALU_DEP_4)
	v_cndmask_b32_e64 v129, v129, v164, s3
	v_cmp_eq_u32_e64 s3, 6, v140
	v_mul_f32_e32 v165, v143, v168
	v_or_b32_e32 v134, 2, v130
	v_cmp_eq_u32_e64 s6, 6, v130
	v_cndmask_b32_e64 v133, v129, v162, s2
	v_lshl_or_b32 v129, v138, 4, v131
	v_fma_f32 v132, -v167, v165, v143
	v_cmp_eq_u32_e64 s2, 1, v130
	v_cmp_eq_u32_e64 s9, 1, v134
	v_cndmask_b32_e64 v140, v133, v160, s4
	v_or_b32_e32 v133, 3, v130
	v_fmac_f32_e32 v165, v132, v168
	v_or_b32_e32 v132, 1, v130
	v_cmp_eq_u32_e64 s13, 2, v134
	v_cndmask_b32_e64 v140, v140, v141, s3
	v_cmp_eq_u32_e64 s10, 1, v133
	v_fma_f32 v143, -v167, v165, v143
	v_cmp_eq_u32_e64 s8, 1, v132
	v_cmp_eq_u32_e64 s11, 2, v132
	v_cndmask_b32_e64 v140, v140, v161, s5
	v_cmp_eq_u32_e64 s15, 2, v133
	v_div_fmas_f32 v141, v143, v168, v165
	v_cmp_eq_u32_e32 vcc_lo, 2, v130
	v_cmp_eq_u32_e64 s3, 3, v130
	v_cmp_eq_u32_e64 s12, 3, v132
	v_cmp_eq_u32_e64 s16, 3, v134
	v_div_fixup_f32 v141, v141, v163, 1.0
	v_cmp_eq_u32_e64 s17, 3, v133
	v_cmp_eq_u32_e64 s21, 4, v133
	;; [unrolled: 1-line block ×4, first 2 shown]
	v_mul_f32_e32 v140, v140, v141
	v_cmp_eq_u32_e64 s23, 5, v133
	v_cmp_eq_u32_e64 s5, 5, v130
	;; [unrolled: 1-line block ×4, first 2 shown]
	v_fma_mixlo_f16 v160, v140, v145, 0
	v_fma_mixlo_f16 v161, v140, v147, 0
	;; [unrolled: 1-line block ×8, first 2 shown]
	v_fma_mixhi_f16 v160, v140, v144, 0
	v_fma_mixhi_f16 v161, v140, v146, 0
	;; [unrolled: 1-line block ×8, first 2 shown]
	ds_store_b128 v129, v[160:163]
	ds_store_b128 v129, v[164:167] offset:1024
	s_waitcnt lgkmcnt(0)
	s_barrier
	buffer_gl0_inv
	ds_load_b128 v[143:146], v131
	ds_load_b128 v[147:150], v131 offset:16
	ds_load_b128 v[151:154], v131 offset:1024
	;; [unrolled: 1-line block ×3, first 2 shown]
	v_cmp_eq_u32_e64 s26, 6, v133
	v_cmp_eq_u32_e64 s22, 5, v134
	v_cmp_eq_u32_e64 s24, 6, v132
	v_cmp_eq_u32_e64 s28, 7, v133
	v_cmp_eq_u32_e64 s25, 6, v134
	v_cmp_eq_u32_e64 s29, 7, v132
	v_cmp_eq_u32_e64 s7, 7, v130
	v_cmp_eq_u32_e64 s27, 7, v134
	s_waitcnt lgkmcnt(3)
	v_lshrrev_b32_e32 v140, 16, v143
	s_waitcnt lgkmcnt(2)
	v_lshrrev_b32_e32 v161, 16, v147
	;; [unrolled: 2-line block ×4, first 2 shown]
	v_lshrrev_b32_e32 v141, 16, v144
	v_cndmask_b32_e64 v173, v143, v140, s2
	v_cndmask_b32_e64 v174, v147, v161, s2
	;; [unrolled: 1-line block ×7, first 2 shown]
	v_lshrrev_b32_e32 v162, 16, v148
	v_cndmask_b32_e64 v178, v147, v161, s9
	v_cndmask_b32_e64 v147, v151, v165, s2
	;; [unrolled: 1-line block ×9, first 2 shown]
	v_cndmask_b32_e32 v165, v173, v144, vcc_lo
	v_cndmask_b32_e32 v169, v174, v148, vcc_lo
	v_cndmask_b32_e64 v173, v175, v144, s11
	v_cndmask_b32_e64 v174, v176, v148, s11
	;; [unrolled: 1-line block ×5, first 2 shown]
	v_lshrrev_b32_e32 v166, 16, v152
	v_cndmask_b32_e64 v176, v178, v148, s13
	v_cndmask_b32_e32 v144, v147, v152, vcc_lo
	v_cndmask_b32_e32 v147, v161, v156, vcc_lo
	v_cndmask_b32_e64 v148, v179, v152, s11
	v_cndmask_b32_e64 v161, v181, v152, s13
	;; [unrolled: 1-line block ×11, first 2 shown]
	v_lshrrev_b32_e32 v159, 16, v145
	v_lshrrev_b32_e32 v163, 16, v149
	;; [unrolled: 1-line block ×3, first 2 shown]
	v_cndmask_b32_e64 v140, v140, v145, s21
	v_cndmask_b32_e64 v141, v141, v149, s21
	;; [unrolled: 1-line block ×12, first 2 shown]
	v_lshrrev_b32_e32 v160, 16, v146
	v_lshrrev_b32_e32 v164, 16, v150
	;; [unrolled: 1-line block ×4, first 2 shown]
	v_cndmask_b32_e64 v169, v174, v145, s20
	v_cndmask_b32_e64 v173, v175, v149, s20
	;; [unrolled: 1-line block ×20, first 2 shown]
	v_lshrrev_b32_e32 v168, 16, v154
	v_cndmask_b32_e64 v177, v182, v156, s13
	v_cndmask_b32_e64 v147, v147, v146, s6
	;; [unrolled: 1-line block ×10, first 2 shown]
	v_perm_b32 v146, v141, v140, 0x5040100
	v_cndmask_b32_e64 v140, v180, v156, s11
	v_cndmask_b32_e64 v147, v147, v160, s7
	;; [unrolled: 1-line block ×6, first 2 shown]
	v_perm_b32 v144, v155, v149, 0x5040100
	v_cndmask_b32_e64 v141, v161, v166, s16
	v_cndmask_b32_e64 v143, v151, v166, s17
	;; [unrolled: 1-line block ×15, first 2 shown]
	v_lshrrev_b32_e32 v172, 16, v158
	v_cndmask_b32_e64 v141, v141, v154, s25
	v_cndmask_b32_e64 v143, v143, v154, s26
	v_cndmask_b32_e64 v149, v149, v158, s26
	v_cndmask_b32_e64 v151, v151, v158, s25
	v_cndmask_b32_e64 v140, v140, v158, s24
	v_cndmask_b32_e64 v148, v148, v164, s7
	v_cndmask_b32_e64 v141, v141, v168, s27
	v_cndmask_b32_e64 v152, v143, v168, s28
	v_cndmask_b32_e64 v149, v149, v172, s28
	v_cndmask_b32_e64 v151, v151, v172, s27
	v_cndmask_b32_e64 v140, v140, v172, s29
	v_cndmask_b32_e64 v153, v150, v172, s7
	v_perm_b32 v145, v159, v145, 0x5040100
	v_perm_b32 v143, v148, v147, 0x5040100
	;; [unrolled: 1-line block ×6, first 2 shown]
	s_lshl_b32 s6, s33, 4
	s_mov_b32 s2, exec_lo
	ds_store_b128 v129, v[143:146]
	ds_store_b128 v129, v[147:150] offset:1024
	v_cmpx_gt_u32_e32 16, v0
	s_cbranch_execz .LBB301_14
; %bb.13:
	v_or_b32_e32 v140, s31, v0
	s_load_b128 s[8:11], s[0:1], 0x58
	s_delay_alu instid0(VALU_DEP_1) | instskip(NEXT) | instid1(VALU_DEP_1)
	v_mad_u64_u32 v[143:144], null, s6, s30, v[140:141]
	v_mad_u64_u32 v[140:141], null, v143, s34, s[14:15]
	s_delay_alu instid0(VALU_DEP_1) | instskip(NEXT) | instid1(VALU_DEP_1)
	v_ashrrev_i32_e32 v141, 31, v140
	v_lshlrev_b64 v[140:141], 2, v[140:141]
	s_waitcnt lgkmcnt(0)
	s_delay_alu instid0(VALU_DEP_1) | instskip(NEXT) | instid1(VALU_DEP_2)
	v_add_co_u32 v143, vcc_lo, s10, v140
	v_add_co_ci_u32_e32 v144, vcc_lo, s11, v141, vcc_lo
	v_add_co_u32 v140, vcc_lo, s8, v140
	v_add_co_ci_u32_e32 v141, vcc_lo, s9, v141, vcc_lo
	global_store_b32 v[143:144], v135, off
	global_store_b32 v[140:141], v136, off
.LBB301_14:
	s_or_b32 exec_lo, exec_lo, s2
	s_waitcnt lgkmcnt(0)
	s_waitcnt_vscnt null, 0x0
	s_barrier
	buffer_gl0_inv
	ds_load_b128 v[151:154], v142
	ds_load_b128 v[155:158], v142 offset:16
	ds_load_b128 v[163:166], v142 offset:1040
	ds_load_b128 v[159:162], v142 offset:1024
	ds_load_b128 v[171:174], v142 offset:2064
	ds_load_b128 v[167:170], v142 offset:2048
	v_cmp_eq_u32_e32 vcc_lo, 1, v134
	v_mov_b32_e32 v143, 0
	ds_load_b128 v[179:182], v142 offset:3088
	ds_load_b128 v[175:178], v142 offset:3072
	;; [unrolled: 1-line block ×4, first 2 shown]
	v_cmp_eq_u32_e64 s2, 1, v130
	v_cmp_eq_u32_e64 s3, 1, v133
	;; [unrolled: 1-line block ×3, first 2 shown]
	v_mov_b32_e32 v144, v143
	v_mov_b32_e32 v145, v143
	;; [unrolled: 1-line block ×7, first 2 shown]
	v_cmp_eq_u32_e64 s5, 2, v130
	s_waitcnt lgkmcnt(8)
	s_delay_alu instid0(VALU_DEP_2)
	v_wmma_f32_16x16x16_f16 v[143:150], v[121:128], v[151:158], v[143:150]
	ds_load_b128 v[125:128], v142 offset:5136
	ds_load_b128 v[121:124], v142 offset:5120
	s_waitcnt lgkmcnt(8)
	v_wmma_f32_16x16x16_f16 v[143:150], v[113:120], v[159:166], v[143:150]
	ds_load_b128 v[117:120], v142 offset:6160
	ds_load_b128 v[113:116], v142 offset:6144
	s_waitcnt lgkmcnt(8)
	;; [unrolled: 4-line block ×11, first 2 shown]
	s_barrier
	buffer_gl0_inv
	v_wmma_f32_16x16x16_f16 v[143:150], v[1:8], v[73:80], v[143:150]
	s_delay_alu instid0(VALU_DEP_1) | instskip(NEXT) | instid1(VALU_DEP_1)
	v_wmma_f32_16x16x16_f16 v[143:150], v[9:16], v[65:72], v[143:150]
	v_wmma_f32_16x16x16_f16 v[143:150], v[33:40], v[57:64], v[143:150]
	s_delay_alu instid0(VALU_DEP_1) | instskip(NEXT) | instid1(VALU_DEP_1)
	v_wmma_f32_16x16x16_f16 v[143:150], v[41:48], v[49:56], v[143:150]
	v_wmma_f32_16x16x16_f16 v[143:150], v[17:24], v[25:32], v[143:150]
	s_delay_alu instid0(VALU_DEP_1) | instskip(NEXT) | instid1(VALU_DEP_2)
	v_cvt_f16_f32_e64 v1, v143
	v_cvt_f16_f32_e64 v2, v144
	s_delay_alu instid0(VALU_DEP_3) | instskip(NEXT) | instid1(VALU_DEP_4)
	v_cvt_f16_f32_e64 v3, v145
	v_cvt_f16_f32_e64 v4, v146
	;; [unrolled: 1-line block ×6, first 2 shown]
	v_pack_b32_f16 v1, v1, v2
	v_pack_b32_f16 v2, v3, v4
	;; [unrolled: 1-line block ×3, first 2 shown]
	s_delay_alu instid0(VALU_DEP_4)
	v_pack_b32_f16 v4, v7, v8
	ds_store_b128 v129, v[1:4]
	s_waitcnt lgkmcnt(0)
	s_barrier
	buffer_gl0_inv
	ds_load_b128 v[1:4], v131
	ds_load_b128 v[5:8], v131 offset:16
	s_waitcnt lgkmcnt(1)
	v_lshrrev_b32_e32 v9, 16, v1
	s_waitcnt lgkmcnt(0)
	v_lshrrev_b32_e32 v13, 16, v5
	v_lshrrev_b32_e32 v10, 16, v2
	v_lshrrev_b32_e32 v14, 16, v6
	v_lshrrev_b32_e32 v11, 16, v3
	v_cndmask_b32_e64 v17, v1, v9, s2
	v_cndmask_b32_e64 v18, v5, v13, s2
	;; [unrolled: 1-line block ×3, first 2 shown]
	v_cmp_eq_u32_e64 s2, 2, v132
	v_cndmask_b32_e64 v20, v5, v13, s4
	v_cndmask_b32_e32 v21, v1, v9, vcc_lo
	v_cndmask_b32_e32 v22, v5, v13, vcc_lo
	v_cndmask_b32_e64 v1, v1, v9, s3
	v_cndmask_b32_e64 v5, v5, v13, s3
	v_cmp_eq_u32_e32 vcc_lo, 2, v134
	v_cmp_eq_u32_e64 s3, 2, v133
	v_cndmask_b32_e64 v9, v17, v2, s5
	v_cndmask_b32_e64 v13, v18, v6, s5
	v_cndmask_b32_e64 v17, v19, v2, s2
	v_cndmask_b32_e64 v18, v20, v6, s2
	v_cndmask_b32_e32 v19, v21, v2, vcc_lo
	v_cmp_eq_u32_e64 s2, 3, v134
	v_cndmask_b32_e32 v20, v22, v6, vcc_lo
	v_cndmask_b32_e64 v1, v1, v2, s3
	v_cmp_eq_u32_e32 vcc_lo, 3, v133
	v_cmp_eq_u32_e64 s4, 3, v130
	v_cndmask_b32_e64 v2, v5, v6, s3
	v_cmp_eq_u32_e64 s3, 3, v132
	v_cmp_eq_u32_e64 s5, 4, v130
	v_cndmask_b32_e32 v1, v1, v10, vcc_lo
	v_cndmask_b32_e64 v5, v9, v10, s4
	v_cndmask_b32_e64 v6, v13, v14, s4
	v_cndmask_b32_e64 v9, v17, v10, s3
	v_cmp_eq_u32_e64 s4, 4, v132
	v_cndmask_b32_e64 v13, v18, v14, s3
	v_cndmask_b32_e64 v17, v19, v10, s2
	;; [unrolled: 1-line block ×3, first 2 shown]
	v_cndmask_b32_e32 v2, v2, v14, vcc_lo
	v_cmp_eq_u32_e32 vcc_lo, 4, v134
	v_cmp_eq_u32_e64 s3, 4, v133
	v_lshrrev_b32_e32 v15, 16, v7
	v_cndmask_b32_e64 v5, v5, v3, s5
	v_cndmask_b32_e64 v6, v6, v7, s5
	;; [unrolled: 1-line block ×4, first 2 shown]
	v_cndmask_b32_e32 v13, v17, v3, vcc_lo
	v_cmp_eq_u32_e64 s2, 5, v134
	v_cndmask_b32_e32 v14, v18, v7, vcc_lo
	v_cndmask_b32_e64 v1, v1, v3, s3
	v_cmp_eq_u32_e32 vcc_lo, 5, v133
	v_cmp_eq_u32_e64 s4, 5, v130
	v_cndmask_b32_e64 v2, v2, v7, s3
	v_cmp_eq_u32_e64 s3, 5, v132
	v_cmp_eq_u32_e64 s5, 6, v130
	v_lshrrev_b32_e32 v12, 16, v4
	v_cndmask_b32_e64 v3, v5, v11, s4
	v_cndmask_b32_e64 v5, v6, v15, s4
	;; [unrolled: 1-line block ×3, first 2 shown]
	v_cmp_eq_u32_e64 s4, 6, v132
	v_cndmask_b32_e64 v7, v10, v15, s3
	v_cndmask_b32_e64 v9, v13, v11, s2
	;; [unrolled: 1-line block ×3, first 2 shown]
	v_cndmask_b32_e32 v1, v1, v11, vcc_lo
	v_cndmask_b32_e32 v2, v2, v15, vcc_lo
	v_cmp_eq_u32_e32 vcc_lo, 6, v134
	v_cmp_eq_u32_e64 s2, 6, v133
	v_lshrrev_b32_e32 v16, 16, v8
	v_cndmask_b32_e64 v3, v3, v4, s5
	v_cndmask_b32_e64 v5, v5, v8, s5
	v_cndmask_b32_e32 v9, v9, v4, vcc_lo
	v_cndmask_b32_e64 v6, v6, v4, s4
	v_cndmask_b32_e64 v7, v7, v8, s4
	v_cmp_eq_u32_e64 s3, 7, v134
	v_cndmask_b32_e32 v10, v10, v8, vcc_lo
	v_cndmask_b32_e64 v1, v1, v4, s2
	v_cmp_eq_u32_e32 vcc_lo, 7, v133
	v_cndmask_b32_e64 v2, v2, v8, s2
	v_cmp_eq_u32_e64 s2, 7, v130
	v_cmp_eq_u32_e64 s4, 7, v132
	v_cndmask_b32_e32 v1, v1, v12, vcc_lo
	s_delay_alu instid0(VALU_DEP_4) | instskip(NEXT) | instid1(VALU_DEP_4)
	v_cndmask_b32_e32 v2, v2, v16, vcc_lo
	v_cndmask_b32_e64 v8, v3, v12, s2
	s_delay_alu instid0(VALU_DEP_4)
	v_cndmask_b32_e64 v6, v6, v12, s4
	v_cndmask_b32_e64 v3, v9, v12, s3
	;; [unrolled: 1-line block ×5, first 2 shown]
	v_perm_b32 v4, v2, v1, 0x5040100
	s_mov_b32 s2, exec_lo
	v_perm_b32 v3, v9, v3, 0x5040100
	v_perm_b32 v2, v7, v6, 0x5040100
	;; [unrolled: 1-line block ×3, first 2 shown]
	ds_store_b128 v129, v[1:4]
	s_waitcnt lgkmcnt(0)
	s_barrier
	buffer_gl0_inv
	v_cmpx_gt_u32_e32 32, v0
	s_cbranch_execz .LBB301_2
; %bb.15:
	s_load_b64 s[0:1], s[0:1], 0x68
	v_lshlrev_b32_e32 v0, 10, v0
	s_lshl_b32 s4, s34, 7
	v_or_b32_e32 v23, s31, v138
	s_mul_i32 s2, s4, s30
	v_lshlrev_b32_e32 v1, 4, v139
	v_lshlrev_b32_e32 v2, 6, v138
	s_mul_i32 s2, s2, s6
	v_and_b32_e32 v0, 0x3800, v0
	v_mul_lo_u32 v8, v23, s4
	s_ashr_i32 s3, s2, 31
	v_or_b32_e32 v3, 2, v23
	s_lshl_b64 s[2:3], s[2:3], 1
	v_or3_b32 v27, v0, v1, v2
	v_or_b32_e32 v11, 4, v23
	v_or_b32_e32 v18, 6, v23
	v_mul_lo_u32 v10, v3, s4
	v_ashrrev_i32_e32 v9, 31, v8
	ds_load_b128 v[0:3], v27
	ds_load_b128 v[4:7], v27 offset:128
	v_mul_lo_u32 v12, v11, s4
	s_waitcnt lgkmcnt(0)
	s_add_u32 s2, s0, s2
	s_addc_u32 s3, s1, s3
	s_lshl_b32 s0, s14, 7
	v_lshlrev_b64 v[8:9], 1, v[8:9]
	s_ashr_i32 s1, s0, 31
	v_ashrrev_i32_e32 v11, 31, v10
	s_lshl_b64 s[0:1], s[0:1], 1
	v_ashrrev_i32_e32 v13, 31, v12
	s_add_u32 s0, s2, s0
	s_addc_u32 s1, s3, s1
	v_add_co_u32 v30, s0, s0, v137
	s_delay_alu instid0(VALU_DEP_1) | instskip(SKIP_1) | instid1(VALU_DEP_3)
	v_add_co_ci_u32_e64 v31, null, s1, 0, s0
	v_lshlrev_b64 v[16:17], 1, v[10:11]
	v_add_co_u32 v14, vcc_lo, v30, v8
	s_delay_alu instid0(VALU_DEP_3)
	v_add_co_ci_u32_e32 v15, vcc_lo, v31, v9, vcc_lo
	ds_load_b128 v[8:11], v27 offset:256
	v_mul_lo_u32 v18, v18, s4
	v_or_b32_e32 v19, 8, v23
	v_add_co_u32 v16, vcc_lo, v30, v16
	global_store_b128 v[14:15], v[0:3], off
	v_lshlrev_b64 v[0:1], 1, v[12:13]
	v_add_co_ci_u32_e32 v17, vcc_lo, v31, v17, vcc_lo
	v_mul_lo_u32 v12, v19, s4
	v_ashrrev_i32_e32 v19, 31, v18
	v_or_b32_e32 v14, 10, v23
	global_store_b128 v[16:17], v[4:7], off
	v_add_co_u32 v4, vcc_lo, v30, v0
	v_add_co_ci_u32_e32 v5, vcc_lo, v31, v1, vcc_lo
	ds_load_b128 v[0:3], v27 offset:384
	v_ashrrev_i32_e32 v13, 31, v12
	v_lshlrev_b64 v[6:7], 1, v[18:19]
	v_mul_lo_u32 v14, v14, s4
	s_waitcnt lgkmcnt(1)
	global_store_b128 v[4:5], v[8:11], off
	v_or_b32_e32 v8, 12, v23
	v_lshlrev_b64 v[4:5], 1, v[12:13]
	v_add_co_u32 v20, vcc_lo, v30, v6
	v_or_b32_e32 v6, 14, v23
	v_ashrrev_i32_e32 v15, 31, v14
	v_mul_lo_u32 v22, v8, s4
	v_add_co_ci_u32_e32 v21, vcc_lo, v31, v7, vcc_lo
	v_add_co_u32 v24, vcc_lo, v30, v4
	v_mul_lo_u32 v26, v6, s4
	v_add_co_ci_u32_e32 v25, vcc_lo, v31, v5, vcc_lo
	v_lshlrev_b64 v[28:29], 1, v[14:15]
	ds_load_b128 v[4:7], v27 offset:512
	ds_load_b128 v[8:11], v27 offset:640
	;; [unrolled: 1-line block ×4, first 2 shown]
	v_ashrrev_i32_e32 v23, 31, v22
	v_ashrrev_i32_e32 v27, 31, v26
	v_add_co_u32 v28, vcc_lo, v30, v28
	s_delay_alu instid0(VALU_DEP_3) | instskip(SKIP_1) | instid1(VALU_DEP_4)
	v_lshlrev_b64 v[22:23], 1, v[22:23]
	v_add_co_ci_u32_e32 v29, vcc_lo, v31, v29, vcc_lo
	v_lshlrev_b64 v[26:27], 1, v[26:27]
	s_delay_alu instid0(VALU_DEP_3) | instskip(NEXT) | instid1(VALU_DEP_4)
	v_add_co_u32 v22, vcc_lo, v30, v22
	v_add_co_ci_u32_e32 v23, vcc_lo, v31, v23, vcc_lo
	s_delay_alu instid0(VALU_DEP_3) | instskip(NEXT) | instid1(VALU_DEP_4)
	v_add_co_u32 v26, vcc_lo, v30, v26
	v_add_co_ci_u32_e32 v27, vcc_lo, v31, v27, vcc_lo
	s_waitcnt lgkmcnt(4)
	global_store_b128 v[20:21], v[0:3], off
	s_waitcnt lgkmcnt(3)
	global_store_b128 v[24:25], v[4:7], off
	;; [unrolled: 2-line block ×5, first 2 shown]
	s_nop 0
	s_sendmsg sendmsg(MSG_DEALLOC_VGPRS)
	s_endpgm
	.section	.rodata,"a",@progbits
	.p2align	6, 0x0
	.amdhsa_kernel _Z39paged_attention_ll4mi_QKV_mfma16_kernelIDF16_DF16_LN4vllm18Fp8KVCacheDataTypeE0EDF16_Li16ELi128ELi256ELb0ELi16EL8MFMAType0EEvPKT_PKT0_S8_ifPKiSA_SA_iPKfiiiPfSD_PS3_PT2_iSC_SC_
		.amdhsa_group_segment_fixed_size 17472
		.amdhsa_private_segment_fixed_size 0
		.amdhsa_kernarg_size 400
		.amdhsa_user_sgpr_count 13
		.amdhsa_user_sgpr_dispatch_ptr 0
		.amdhsa_user_sgpr_queue_ptr 0
		.amdhsa_user_sgpr_kernarg_segment_ptr 1
		.amdhsa_user_sgpr_dispatch_id 0
		.amdhsa_user_sgpr_private_segment_size 0
		.amdhsa_wavefront_size32 1
		.amdhsa_uses_dynamic_stack 0
		.amdhsa_enable_private_segment 0
		.amdhsa_system_sgpr_workgroup_id_x 1
		.amdhsa_system_sgpr_workgroup_id_y 1
		.amdhsa_system_sgpr_workgroup_id_z 1
		.amdhsa_system_sgpr_workgroup_info 0
		.amdhsa_system_vgpr_workitem_id 0
		.amdhsa_next_free_vgpr 218
		.amdhsa_next_free_sgpr 52
		.amdhsa_reserve_vcc 1
		.amdhsa_float_round_mode_32 0
		.amdhsa_float_round_mode_16_64 0
		.amdhsa_float_denorm_mode_32 3
		.amdhsa_float_denorm_mode_16_64 3
		.amdhsa_dx10_clamp 1
		.amdhsa_ieee_mode 1
		.amdhsa_fp16_overflow 0
		.amdhsa_workgroup_processor_mode 1
		.amdhsa_memory_ordered 1
		.amdhsa_forward_progress 0
		.amdhsa_shared_vgpr_count 0
		.amdhsa_exception_fp_ieee_invalid_op 0
		.amdhsa_exception_fp_denorm_src 0
		.amdhsa_exception_fp_ieee_div_zero 0
		.amdhsa_exception_fp_ieee_overflow 0
		.amdhsa_exception_fp_ieee_underflow 0
		.amdhsa_exception_fp_ieee_inexact 0
		.amdhsa_exception_int_div_zero 0
	.end_amdhsa_kernel
	.section	.text._Z39paged_attention_ll4mi_QKV_mfma16_kernelIDF16_DF16_LN4vllm18Fp8KVCacheDataTypeE0EDF16_Li16ELi128ELi256ELb0ELi16EL8MFMAType0EEvPKT_PKT0_S8_ifPKiSA_SA_iPKfiiiPfSD_PS3_PT2_iSC_SC_,"axG",@progbits,_Z39paged_attention_ll4mi_QKV_mfma16_kernelIDF16_DF16_LN4vllm18Fp8KVCacheDataTypeE0EDF16_Li16ELi128ELi256ELb0ELi16EL8MFMAType0EEvPKT_PKT0_S8_ifPKiSA_SA_iPKfiiiPfSD_PS3_PT2_iSC_SC_,comdat
.Lfunc_end301:
	.size	_Z39paged_attention_ll4mi_QKV_mfma16_kernelIDF16_DF16_LN4vllm18Fp8KVCacheDataTypeE0EDF16_Li16ELi128ELi256ELb0ELi16EL8MFMAType0EEvPKT_PKT0_S8_ifPKiSA_SA_iPKfiiiPfSD_PS3_PT2_iSC_SC_, .Lfunc_end301-_Z39paged_attention_ll4mi_QKV_mfma16_kernelIDF16_DF16_LN4vllm18Fp8KVCacheDataTypeE0EDF16_Li16ELi128ELi256ELb0ELi16EL8MFMAType0EEvPKT_PKT0_S8_ifPKiSA_SA_iPKfiiiPfSD_PS3_PT2_iSC_SC_
                                        ; -- End function
	.section	.AMDGPU.csdata,"",@progbits
; Kernel info:
; codeLenInByte = 8272
; NumSgprs: 54
; NumVgprs: 218
; ScratchSize: 0
; MemoryBound: 0
; FloatMode: 240
; IeeeMode: 1
; LDSByteSize: 17472 bytes/workgroup (compile time only)
; SGPRBlocks: 6
; VGPRBlocks: 27
; NumSGPRsForWavesPerEU: 54
; NumVGPRsForWavesPerEU: 218
; Occupancy: 6
; WaveLimiterHint : 1
; COMPUTE_PGM_RSRC2:SCRATCH_EN: 0
; COMPUTE_PGM_RSRC2:USER_SGPR: 13
; COMPUTE_PGM_RSRC2:TRAP_HANDLER: 0
; COMPUTE_PGM_RSRC2:TGID_X_EN: 1
; COMPUTE_PGM_RSRC2:TGID_Y_EN: 1
; COMPUTE_PGM_RSRC2:TGID_Z_EN: 1
; COMPUTE_PGM_RSRC2:TIDIG_COMP_CNT: 0
	.section	.text._Z39paged_attention_ll4mi_QKV_mfma16_kernelIDF16_DF16_LN4vllm18Fp8KVCacheDataTypeE0EDF16_Li16ELi128ELi256ELb0ELi1EL8MFMAType0EEvPKT_PKT0_S8_ifPKiSA_SA_iPKfiiiPfSD_PS3_PT2_iSC_SC_,"axG",@progbits,_Z39paged_attention_ll4mi_QKV_mfma16_kernelIDF16_DF16_LN4vllm18Fp8KVCacheDataTypeE0EDF16_Li16ELi128ELi256ELb0ELi1EL8MFMAType0EEvPKT_PKT0_S8_ifPKiSA_SA_iPKfiiiPfSD_PS3_PT2_iSC_SC_,comdat
	.protected	_Z39paged_attention_ll4mi_QKV_mfma16_kernelIDF16_DF16_LN4vllm18Fp8KVCacheDataTypeE0EDF16_Li16ELi128ELi256ELb0ELi1EL8MFMAType0EEvPKT_PKT0_S8_ifPKiSA_SA_iPKfiiiPfSD_PS3_PT2_iSC_SC_ ; -- Begin function _Z39paged_attention_ll4mi_QKV_mfma16_kernelIDF16_DF16_LN4vllm18Fp8KVCacheDataTypeE0EDF16_Li16ELi128ELi256ELb0ELi1EL8MFMAType0EEvPKT_PKT0_S8_ifPKiSA_SA_iPKfiiiPfSD_PS3_PT2_iSC_SC_
	.globl	_Z39paged_attention_ll4mi_QKV_mfma16_kernelIDF16_DF16_LN4vllm18Fp8KVCacheDataTypeE0EDF16_Li16ELi128ELi256ELb0ELi1EL8MFMAType0EEvPKT_PKT0_S8_ifPKiSA_SA_iPKfiiiPfSD_PS3_PT2_iSC_SC_
	.p2align	8
	.type	_Z39paged_attention_ll4mi_QKV_mfma16_kernelIDF16_DF16_LN4vllm18Fp8KVCacheDataTypeE0EDF16_Li16ELi128ELi256ELb0ELi1EL8MFMAType0EEvPKT_PKT0_S8_ifPKiSA_SA_iPKfiiiPfSD_PS3_PT2_iSC_SC_,@function
_Z39paged_attention_ll4mi_QKV_mfma16_kernelIDF16_DF16_LN4vllm18Fp8KVCacheDataTypeE0EDF16_Li16ELi128ELi256ELb0ELi1EL8MFMAType0EEvPKT_PKT0_S8_ifPKiSA_SA_iPKfiiiPfSD_PS3_PT2_iSC_SC_: ; @_Z39paged_attention_ll4mi_QKV_mfma16_kernelIDF16_DF16_LN4vllm18Fp8KVCacheDataTypeE0EDF16_Li16ELi128ELi256ELb0ELi1EL8MFMAType0EEvPKT_PKT0_S8_ifPKiSA_SA_iPKfiiiPfSD_PS3_PT2_iSC_SC_
; %bb.0:
	s_load_b64 s[4:5], s[0:1], 0x30
	s_mov_b32 s34, s13
	s_waitcnt lgkmcnt(0)
	s_cmp_lg_u64 s[4:5], 0
	s_cselect_b32 s6, -1, 0
	s_ashr_i32 s35, s13, 31
	s_cmp_eq_u64 s[4:5], 0
	s_cbranch_scc1 .LBB302_3
; %bb.1:
	s_lshl_b64 s[2:3], s[34:35], 2
	s_delay_alu instid0(SALU_CYCLE_1) | instskip(SKIP_4) | instid1(SALU_CYCLE_1)
	s_add_u32 s2, s4, s2
	s_addc_u32 s3, s5, s3
	s_load_b64 s[2:3], s[2:3], 0x0
	s_waitcnt lgkmcnt(0)
	s_sub_i32 s2, s3, s2
	s_cmp_eq_u32 s2, 1
	s_cselect_b32 s2, -1, 0
	s_delay_alu instid0(SALU_CYCLE_1)
	s_and_not1_b32 vcc_lo, exec_lo, s2
	s_cbranch_vccz .LBB302_4
.LBB302_2:
	s_endpgm
.LBB302_3:
.LBB302_4:
	s_load_b64 s[2:3], s[0:1], 0x28
	s_lshl_b64 s[8:9], s[34:35], 2
	s_waitcnt lgkmcnt(0)
	s_add_u32 s2, s2, s8
	s_addc_u32 s3, s3, s9
	s_lshl_b32 s84, s14, 8
	s_load_b32 s33, s[2:3], 0x0
	s_waitcnt lgkmcnt(0)
	s_cmp_ge_i32 s84, s33
	s_cbranch_scc1 .LBB302_2
; %bb.5:
	s_clause 0x1
	s_load_b128 s[80:83], s[0:1], 0x8
	s_load_b64 s[2:3], s[0:1], 0x20
	s_and_not1_b32 vcc_lo, exec_lo, s6
	s_mov_b64 s[6:7], s[34:35]
	s_cbranch_vccnz .LBB302_7
; %bb.6:
	s_add_u32 s4, s4, s8
	s_addc_u32 s5, s5, s9
	s_load_b32 s6, s[4:5], 0x0
.LBB302_7:
	s_load_b128 s[76:79], s[0:1], 0x48
	v_and_b32_e32 v137, 15, v0
	s_mov_b32 s12, exec_lo
                                        ; implicit-def: $sgpr68
                                        ; implicit-def: $sgpr60
                                        ; implicit-def: $sgpr24
                                        ; implicit-def: $sgpr44
                                        ; implicit-def: $sgpr52
                                        ; implicit-def: $sgpr36
                                        ; implicit-def: $sgpr16
                                        ; implicit-def: $sgpr4
	s_delay_alu instid0(VALU_DEP_1)
	v_cmpx_eq_u32_e32 0, v137
	s_cbranch_execz .LBB302_9
; %bb.8:
	s_load_b64 s[4:5], s[0:1], 0x0
	s_waitcnt lgkmcnt(0)
	s_mul_hi_i32 s7, s6, s76
	s_mul_i32 s6, s6, s76
	s_delay_alu instid0(SALU_CYCLE_1) | instskip(NEXT) | instid1(SALU_CYCLE_1)
	s_lshl_b64 s[6:7], s[6:7], 1
	s_add_u32 s6, s4, s6
	s_addc_u32 s7, s5, s7
	s_lshl_b32 s4, s15, 7
	s_delay_alu instid0(SALU_CYCLE_1) | instskip(NEXT) | instid1(SALU_CYCLE_1)
	s_ashr_i32 s5, s4, 31
	s_lshl_b64 s[4:5], s[4:5], 1
	s_delay_alu instid0(SALU_CYCLE_1)
	s_add_u32 s4, s6, s4
	s_addc_u32 s5, s7, s5
	s_clause 0x7
	s_load_b256 s[68:75], s[4:5], 0x0
	s_load_b256 s[60:67], s[4:5], 0x20
	;; [unrolled: 1-line block ×8, first 2 shown]
.LBB302_9:
	s_or_b32 exec_lo, exec_lo, s12
	s_waitcnt lgkmcnt(0)
	v_dual_mov_b32 v112, s75 :: v_dual_and_b32 v1, 0xef, v0
	s_add_i32 s76, s33, 15
	s_clause 0x1
	s_load_b32 s13, s[0:1], 0x38
	s_load_b32 s35, s[0:1], 0x1c
	v_dual_mov_b32 v111, s74 :: v_dual_add_nc_u32 v2, s84, v1
	s_mul_i32 s12, s15, s78
	s_ashr_i32 s78, s76, 31
	v_mov_b32_e32 v109, s72
	s_delay_alu instid0(VALU_DEP_2)
	v_ashrrev_i32_e32 v1, 31, v2
	v_cmp_gt_i32_e32 vcc_lo, s33, v2
	s_lshr_b32 s79, s78, 28
	v_mov_b32_e32 v107, s70
	s_add_i32 s76, s76, s79
	v_lshrrev_b32_e32 v3, 28, v1
	s_ashr_i32 s86, s76, 4
	v_mov_b32_e32 v105, s68
	s_add_i32 s86, s86, -1
	v_lshrrev_b32_e32 v140, 5, v0
	v_dual_mov_b32 v110, s73 :: v_dual_add_nc_u32 v1, v2, v3
	v_or_b32_e32 v2, 16, v2
	s_waitcnt lgkmcnt(0)
	s_mul_i32 s78, s34, s13
	v_mov_b32_e32 v108, s71
	v_ashrrev_i32_e32 v1, 4, v1
	s_ashr_i32 s79, s78, 31
	v_add_nc_u32_e32 v3, v2, v3
	s_lshl_b64 s[78:79], s[78:79], 2
	v_mov_b32_e32 v106, s69
	v_cndmask_b32_e32 v1, s86, v1, vcc_lo
	v_cmp_gt_i32_e32 vcc_lo, s33, v2
	v_ashrrev_i32_e32 v3, 4, v3
	s_add_u32 s76, s2, s78
	s_addc_u32 s85, s3, s79
	v_ashrrev_i32_e32 v2, 31, v1
	s_ashr_i32 s13, s12, 31
	v_cndmask_b32_e32 v3, s86, v3, vcc_lo
	s_lshl_b64 s[2:3], s[12:13], 1
	s_mov_b32 s68, 0
	v_lshlrev_b64 v[1:2], 2, v[1:2]
	s_add_u32 s96, s80, s2
	v_ashrrev_i32_e32 v4, 31, v3
	s_addc_u32 s97, s81, s3
	s_lshl_b32 s12, s14, 4
	s_mov_b32 s69, s68
	v_add_co_u32 v1, vcc_lo, s76, v1
	v_lshlrev_b64 v[3:4], 2, v[3:4]
	v_add_co_ci_u32_e32 v2, vcc_lo, s85, v2, vcc_lo
	s_ashr_i32 s13, s12, 31
	s_mov_b32 s72, s68
	s_lshl_b64 s[12:13], s[12:13], 2
	s_delay_alu instid0(VALU_DEP_2)
	v_add_co_u32 v3, vcc_lo, s76, v3
	v_add_co_ci_u32_e32 v4, vcc_lo, s85, v4, vcc_lo
	s_clause 0x1
	global_load_b32 v5, v[1:2], off
	global_load_b32 v6, v[3:4], off
	s_add_u32 s12, s76, s12
	s_addc_u32 s13, s85, s13
	s_or_b32 s78, s84, 16
	v_lshlrev_b32_e32 v3, 4, v0
	s_ashr_i32 s79, s78, 4
	s_cmp_lt_i32 s78, s33
	s_mov_b32 s73, s68
	s_cselect_b32 s78, s79, s86
	s_mov_b32 s74, s68
	s_ashr_i32 s79, s78, 31
	s_mov_b32 s75, s68
	s_lshl_b64 s[78:79], s[78:79], 2
	v_mov_b32_e32 v104, s67
	s_add_u32 s78, s76, s78
	s_addc_u32 s79, s85, s79
	s_or_b32 s80, s84, 32
	v_dual_mov_b32 v103, s66 :: v_dual_mov_b32 v148, s31
	s_ashr_i32 s81, s80, 4
	s_cmp_lt_i32 s80, s33
	v_mov_b32_e32 v102, s65
	s_cselect_b32 s80, s81, s86
	v_dual_mov_b32 v101, s64 :: v_dual_mov_b32 v146, s29
	s_ashr_i32 s81, s80, 31
	v_mov_b32_e32 v100, s63
	s_lshl_b64 s[80:81], s[80:81], 2
	v_dual_mov_b32 v99, s62 :: v_dual_mov_b32 v144, s27
	s_add_u32 s80, s76, s80
	s_addc_u32 s81, s85, s81
	s_or_b32 s87, s84, 48
	v_mov_b32_e32 v98, s61
	s_ashr_i32 s88, s87, 4
	s_cmp_lt_i32 s87, s33
	v_dual_mov_b32 v97, s60 :: v_dual_mov_b32 v142, s25
	s_cselect_b32 s88, s88, s86
	v_dual_mov_b32 v147, s30 :: v_dual_mov_b32 v156, s51
	s_ashr_i32 s89, s88, 31
	v_dual_mov_b32 v145, s28 :: v_dual_mov_b32 v154, s49
	s_lshl_b64 s[88:89], s[88:89], 2
	v_dual_mov_b32 v143, s26 :: v_dual_mov_b32 v152, s47
	s_add_u32 s90, s76, s88
	s_addc_u32 s91, s85, s89
	s_or_b32 s87, s84, 64
	v_dual_mov_b32 v141, s24 :: v_dual_mov_b32 v150, s45
	s_ashr_i32 s88, s87, 4
	s_cmp_lt_i32 s87, s33
	v_dual_mov_b32 v155, s50 :: v_dual_mov_b32 v164, s59
	s_cselect_b32 s88, s88, s86
	v_dual_mov_b32 v153, s48 :: v_dual_mov_b32 v162, s57
	s_ashr_i32 s89, s88, 31
	v_dual_mov_b32 v151, s46 :: v_dual_mov_b32 v160, s55
	s_lshl_b64 s[88:89], s[88:89], 2
	v_dual_mov_b32 v149, s44 :: v_dual_mov_b32 v158, s53
	s_add_u32 s92, s76, s88
	s_addc_u32 s93, s85, s89
	s_or_b32 s87, s84, 0x50
	v_dual_mov_b32 v163, s58 :: v_dual_mov_b32 v188, s43
	s_ashr_i32 s88, s87, 4
	s_cmp_lt_i32 s87, s33
	v_dual_mov_b32 v161, s56 :: v_dual_mov_b32 v186, s41
	s_cselect_b32 s88, s88, s86
	v_dual_mov_b32 v159, s54 :: v_dual_mov_b32 v184, s39
	s_ashr_i32 s89, s88, 31
	v_dual_mov_b32 v157, s52 :: v_dual_mov_b32 v182, s37
	s_lshl_b64 s[88:89], s[88:89], 2
	v_mov_b32_e32 v181, s36
	s_add_u32 s94, s76, s88
	s_addc_u32 s95, s85, s89
	s_clause 0x5
	s_load_b32 s12, s[12:13], 0x0
	s_load_b32 s89, s[78:79], 0x0
	;; [unrolled: 1-line block ×6, first 2 shown]
	s_waitcnt lgkmcnt(0)
	s_mul_hi_i32 s29, s87, s77
	s_waitcnt vmcnt(1)
	v_mad_i64_i32 v[1:2], null, v5, s77, 0
	v_and_b32_e32 v5, 0xf0, v3
	s_waitcnt vmcnt(0)
	v_mad_i64_i32 v[3:4], null, v6, s77, 0
	s_delay_alu instid0(VALU_DEP_2) | instskip(NEXT) | instid1(VALU_DEP_4)
	v_add_co_u32 v5, s13, s96, v5
	v_lshlrev_b64 v[1:2], 1, v[1:2]
	v_add_co_ci_u32_e64 v6, null, s97, 0, s13
	s_delay_alu instid0(VALU_DEP_4) | instskip(SKIP_1) | instid1(VALU_DEP_3)
	v_lshlrev_b64 v[3:4], 1, v[3:4]
	s_or_b32 s13, s84, 0x60
	v_add_co_u32 v113, vcc_lo, v5, v1
	s_delay_alu instid0(VALU_DEP_3) | instskip(NEXT) | instid1(VALU_DEP_3)
	v_add_co_ci_u32_e32 v114, vcc_lo, v6, v2, vcc_lo
	v_add_co_u32 v115, vcc_lo, v5, v3
	s_delay_alu instid0(VALU_DEP_4)
	v_add_co_ci_u32_e32 v116, vcc_lo, v6, v4, vcc_lo
	s_clause 0x1f
	global_load_b128 v[81:84], v[113:114], off
	global_load_b128 v[85:88], v[113:114], off offset:256
	global_load_b128 v[89:92], v[115:116], off
	global_load_b128 v[93:96], v[115:116], off offset:256
	global_load_b128 v[73:76], v[113:114], off offset:512
	;; [unrolled: 1-line block ×29, first 2 shown]
	s_ashr_i32 s78, s13, 4
	s_cmp_lt_i32 s13, s33
	s_cselect_b32 s78, s78, s86
	s_delay_alu instid0(SALU_CYCLE_1) | instskip(NEXT) | instid1(SALU_CYCLE_1)
	s_ashr_i32 s79, s78, 31
	s_lshl_b64 s[78:79], s[78:79], 2
	s_delay_alu instid0(SALU_CYCLE_1)
	s_add_u32 s78, s76, s78
	s_addc_u32 s79, s85, s79
	s_or_b32 s13, s84, 0x70
	s_load_b32 s49, s[78:79], 0x0
	s_ashr_i32 s90, s13, 4
	s_cmp_lt_i32 s13, s33
	s_cselect_b32 s90, s90, s86
	s_delay_alu instid0(SALU_CYCLE_1) | instskip(NEXT) | instid1(SALU_CYCLE_1)
	s_ashr_i32 s91, s90, 31
	s_lshl_b64 s[70:71], s[90:91], 2
	s_delay_alu instid0(SALU_CYCLE_1)
	s_add_u32 s60, s76, s70
	s_addc_u32 s61, s85, s71
	s_or_b32 s13, s84, 0x80
	s_load_b32 s50, s[60:61], 0x0
	s_ashr_i32 s24, s13, 4
	s_cmp_lt_i32 s13, s33
	s_mov_b32 s70, s68
	s_cselect_b32 s24, s24, s86
	s_mov_b32 s71, s68
	s_ashr_i32 s25, s24, 31
	v_mov_b32_e32 v187, s42
	s_lshl_b64 s[24:25], s[24:25], 2
	v_mov_b32_e32 v185, s40
	s_add_u32 s44, s76, s24
	s_addc_u32 s45, s85, s25
	s_or_b32 s13, s84, 0x90
	v_mov_b32_e32 v183, s38
	s_ashr_i32 s24, s13, 4
	s_cmp_lt_i32 s13, s33
	s_load_b32 s51, s[44:45], 0x0
	s_cselect_b32 s24, s24, s86
	v_dual_mov_b32 v136, s75 :: v_dual_lshlrev_b32 v117, 5, v137
	s_ashr_i32 s25, s24, 31
	v_mov_b32_e32 v135, s74
	s_lshl_b64 s[24:25], s[24:25], 2
	s_delay_alu instid0(VALU_DEP_2)
	v_lshl_or_b32 v113, v140, 9, v117
	s_add_u32 s36, s76, s24
	s_addc_u32 s37, s85, s25
	s_or_b32 s13, s84, 0xa0
	s_load_b32 s48, s[36:37], 0x0
	s_ashr_i32 s24, s13, 4
	s_cmp_lt_i32 s13, s33
	v_mov_b32_e32 v134, s73
	s_cselect_b32 s24, s24, s86
	v_mov_b32_e32 v133, s72
	s_ashr_i32 s25, s24, 31
	v_mov_b32_e32 v132, s71
	s_lshl_b64 s[24:25], s[24:25], 2
	v_mov_b32_e32 v131, s70
	s_add_u32 s38, s76, s24
	s_addc_u32 s39, s85, s25
	s_or_b32 s13, s84, 0xb0
	s_load_b32 s47, s[38:39], 0x0
	s_ashr_i32 s24, s13, 4
	s_cmp_lt_i32 s13, s33
	s_mul_hi_i32 s13, s12, s77
	s_cselect_b32 s26, s24, s86
	s_mul_i32 s12, s12, s77
	s_ashr_i32 s27, s26, 31
	s_mul_hi_i32 s25, s89, s77
	s_lshl_b64 s[26:27], s[26:27], 2
	s_mul_i32 s24, s89, s77
	s_add_u32 s40, s76, s26
	s_addc_u32 s41, s85, s27
	s_or_b32 s26, s84, 0xc0
	s_mul_hi_i32 s27, s88, s77
	s_ashr_i32 s28, s26, 4
	s_cmp_lt_i32 s26, s33
	s_mul_i32 s26, s88, s77
	s_cselect_b32 s30, s28, s86
	s_mul_i32 s28, s87, s77
	s_ashr_i32 s31, s30, 31
	s_mul_hi_i32 s37, s80, s77
	s_lshl_b64 s[42:43], s[30:31], 2
	s_mul_hi_i32 s31, s81, s77
	s_add_u32 s42, s76, s42
	s_addc_u32 s43, s85, s43
	s_or_b32 s30, s84, 0xd0
	s_mul_i32 s36, s80, s77
	s_ashr_i32 s46, s30, 4
	s_cmp_lt_i32 s30, s33
	s_mul_i32 s30, s81, s77
	s_cselect_b32 s44, s46, s86
	v_mov_b32_e32 v130, s69
	s_ashr_i32 s45, s44, 31
	v_mov_b32_e32 v129, s68
	s_lshl_b64 s[44:45], s[44:45], 2
	s_delay_alu instid0(SALU_CYCLE_1)
	s_add_u32 s38, s76, s44
	s_addc_u32 s39, s85, s45
	s_or_b32 s52, s84, 0xe0
	s_clause 0x2
	s_load_b32 s46, s[40:41], 0x0
	s_load_b32 s45, s[42:43], 0x0
	;; [unrolled: 1-line block ×3, first 2 shown]
	s_ashr_i32 s53, s52, 4
	s_cmp_lt_i32 s52, s33
	s_waitcnt lgkmcnt(0)
	s_mul_hi_i32 s41, s50, s77
	s_mul_i32 s40, s50, s77
	s_cselect_b32 s50, s53, s86
	s_mul_hi_i32 s43, s51, s77
	s_mul_i32 s42, s51, s77
	s_ashr_i32 s51, s50, 31
	s_mul_hi_i32 s39, s49, s77
	s_lshl_b64 s[50:51], s[50:51], 2
	s_mul_i32 s38, s49, s77
	s_add_u32 s50, s76, s50
	s_addc_u32 s51, s85, s51
	s_or_b32 s54, s84, 0xf0
	s_mul_hi_i32 s49, s48, s77
	s_ashr_i32 s55, s54, 4
	s_cmp_lt_i32 s54, s33
	s_mul_i32 s48, s48, s77
	s_cselect_b32 s54, s55, s86
	s_mul_hi_i32 s53, s47, s77
	s_ashr_i32 s55, s54, 31
	s_mul_i32 s52, s47, s77
	s_lshl_b64 s[54:55], s[54:55], 2
	s_mul_hi_i32 s57, s45, s77
	s_add_u32 s54, s76, s54
	s_addc_u32 s55, s85, s55
	s_mul_i32 s56, s45, s77
	s_add_u32 s58, s82, s2
	s_addc_u32 s59, s83, s3
	s_lshl_b64 s[2:3], s[12:13], 1
	s_lshl_b64 s[12:13], s[24:25], 1
	;; [unrolled: 1-line block ×12, first 2 shown]
	v_add_co_u32 v225, s56, s58, v113
	s_delay_alu instid0(VALU_DEP_1)
	v_add_co_ci_u32_e64 v226, null, s59, 0, s56
	s_clause 0x1
	s_load_b32 s50, s[50:51], 0x0
	s_load_b32 s51, s[54:55], 0x0
	s_mul_hi_i32 s47, s46, s77
	s_mul_i32 s46, s46, s77
	s_mul_hi_i32 s45, s44, s77
	s_lshl_b64 s[46:47], s[46:47], 1
	s_mul_i32 s44, s44, s77
	s_delay_alu instid0(SALU_CYCLE_1)
	s_lshl_b64 s[44:45], s[44:45], 1
	s_waitcnt vmcnt(30)
	v_wmma_f32_16x16x16_f16 v[205:212], v[81:88], v[105:112], v[129:136]
	v_add_co_u32 v81, vcc_lo, v225, s2
	v_add_co_ci_u32_e32 v82, vcc_lo, s3, v226, vcc_lo
	v_add_co_u32 v83, vcc_lo, v225, s12
	v_add_co_ci_u32_e32 v84, vcc_lo, s13, v226, vcc_lo
	;; [unrolled: 2-line block ×4, first 2 shown]
	s_waitcnt vmcnt(28)
	v_wmma_f32_16x16x16_f16 v[129:136], v[89:96], v[105:112], v[129:136]
	v_add_co_u32 v93, vcc_lo, v225, s28
	v_add_co_ci_u32_e32 v94, vcc_lo, s29, v226, vcc_lo
	v_add_co_u32 v138, vcc_lo, v225, s30
	v_add_co_ci_u32_e32 v139, vcc_lo, s31, v226, vcc_lo
	;; [unrolled: 2-line block ×4, first 2 shown]
	v_add_co_u32 v217, vcc_lo, v225, s40
	s_waitcnt vmcnt(26)
	v_wmma_f32_16x16x16_f16 v[205:212], v[73:80], v[97:104], v[205:212]
	v_add_co_ci_u32_e32 v218, vcc_lo, s41, v226, vcc_lo
	v_add_co_u32 v219, vcc_lo, v225, s42
	v_add_co_ci_u32_e32 v220, vcc_lo, s43, v226, vcc_lo
	v_add_co_u32 v221, vcc_lo, v225, s48
	s_waitcnt vmcnt(24)
	v_wmma_f32_16x16x16_f16 v[129:136], v[65:72], v[97:104], v[129:136]
	s_waitcnt vmcnt(22)
	v_wmma_f32_16x16x16_f16 v[205:212], v[57:64], v[141:148], v[205:212]
	v_add_co_ci_u32_e32 v222, vcc_lo, s49, v226, vcc_lo
	v_add_co_u32 v223, vcc_lo, v225, s46
	v_add_co_ci_u32_e32 v224, vcc_lo, s47, v226, vcc_lo
	s_waitcnt vmcnt(20)
	v_wmma_f32_16x16x16_f16 v[129:136], v[49:56], v[141:148], v[129:136]
	s_waitcnt vmcnt(18)
	v_wmma_f32_16x16x16_f16 v[205:212], v[41:48], v[149:156], v[205:212]
	v_add_co_u32 v41, vcc_lo, v225, s52
	v_add_co_ci_u32_e32 v42, vcc_lo, s53, v226, vcc_lo
	s_waitcnt lgkmcnt(0)
	s_mul_hi_i32 s3, s50, s77
	s_mul_i32 s2, s50, s77
	v_add_co_u32 v43, vcc_lo, v225, s44
	s_lshl_b64 s[2:3], s[2:3], 1
	s_waitcnt vmcnt(16)
	v_wmma_f32_16x16x16_f16 v[129:136], v[33:40], v[149:156], v[129:136]
	v_add_co_ci_u32_e32 v44, vcc_lo, s45, v226, vcc_lo
	s_mul_hi_i32 s13, s51, s77
	s_mul_i32 s12, s51, s77
	v_add_co_u32 v45, vcc_lo, v225, s2
	v_add_co_ci_u32_e32 v46, vcc_lo, s3, v226, vcc_lo
	s_lshl_b64 s[2:3], s[12:13], 1
	s_clause 0xb
	global_load_b128 v[121:124], v[81:82], off
	global_load_b128 v[125:128], v[81:82], off offset:16
	global_load_b128 v[113:116], v[83:84], off
	global_load_b128 v[117:120], v[83:84], off offset:16
	;; [unrolled: 2-line block ×6, first 2 shown]
	s_waitcnt vmcnt(26)
	v_wmma_f32_16x16x16_f16 v[205:212], v[9:16], v[157:164], v[205:212]
	s_waitcnt vmcnt(24)
	v_wmma_f32_16x16x16_f16 v[129:136], v[1:8], v[157:164], v[129:136]
	v_add_co_u32 v138, vcc_lo, v225, s2
	v_add_co_ci_u32_e32 v139, vcc_lo, s3, v226, vcc_lo
	s_clause 0xd
	global_load_b128 v[73:76], v[213:214], off
	global_load_b128 v[77:80], v[213:214], off offset:16
	global_load_b128 v[65:68], v[215:216], off
	global_load_b128 v[69:72], v[215:216], off offset:16
	;; [unrolled: 2-line block ×7, first 2 shown]
	v_mov_b32_e32 v148, s23
	s_waitcnt vmcnt(36)
	v_wmma_f32_16x16x16_f16 v[205:212], v[25:32], v[181:188], v[205:212]
	s_clause 0x1
	global_load_b128 v[25:28], v[43:44], off
	global_load_b128 v[29:32], v[43:44], off offset:16
	s_waitcnt vmcnt(36)
	v_wmma_f32_16x16x16_f16 v[129:136], v[17:24], v[181:188], v[129:136]
	s_clause 0x3
	global_load_b128 v[41:44], v[45:46], off
	global_load_b128 v[45:48], v[45:46], off offset:16
	global_load_b128 v[17:20], v[138:139], off
	global_load_b128 v[21:24], v[138:139], off offset:16
	v_dual_mov_b32 v147, s22 :: v_dual_mov_b32 v146, s21
	v_dual_mov_b32 v145, s20 :: v_dual_mov_b32 v144, s19
	;; [unrolled: 1-line block ×3, first 2 shown]
	v_mov_b32_e32 v141, s16
	v_mbcnt_lo_u32_b32 v149, -1, 0
	v_bfe_u32 v138, v0, 4, 1
	s_waitcnt vmcnt(0)
	s_barrier
	v_wmma_f32_16x16x16_f16 v[205:212], v[165:172], v[141:148], v[205:212]
	v_wmma_f32_16x16x16_f16 v[129:136], v[173:180], v[141:148], v[129:136]
	v_dual_mov_b32 v148, s11 :: v_dual_mov_b32 v147, s10
	v_dual_mov_b32 v146, s9 :: v_dual_mov_b32 v145, s8
	;; [unrolled: 1-line block ×4, first 2 shown]
	v_xor_b32_e32 v150, 16, v149
	buffer_gl0_inv
	v_wmma_f32_16x16x16_f16 v[129:136], v[197:204], v[141:148], v[129:136]
	v_cmp_gt_i32_e32 vcc_lo, 32, v150
	s_delay_alu instid0(VALU_DEP_2) | instskip(NEXT) | instid1(VALU_DEP_3)
	v_mul_f32_e32 v170, s35, v131
	v_mul_f32_e32 v166, s35, v135
	s_delay_alu instid0(VALU_DEP_4) | instskip(SKIP_3) | instid1(VALU_DEP_3)
	v_mul_f32_e32 v168, s35, v133
	v_wmma_f32_16x16x16_f16 v[205:212], v[189:196], v[141:148], v[205:212]
	v_and_b32_e32 v139, 0xe0, v0
	v_dual_cndmask_b32 v149, v149, v150 :: v_dual_mul_f32 v172, s35, v129
	v_dual_mul_f32 v171, s35, v130 :: v_dual_mul_f32 v144, s35, v209
	s_delay_alu instid0(VALU_DEP_3) | instskip(SKIP_2) | instid1(VALU_DEP_3)
	v_dual_mul_f32 v148, s35, v205 :: v_dual_add_nc_u32 v139, s84, v139
	v_mul_f32_e32 v147, s35, v206
	v_dual_mul_f32 v145, s35, v208 :: v_dual_mul_f32 v146, s35, v207
	v_or_b32_e32 v139, v139, v138
	v_mul_f32_e32 v143, s35, v210
	v_dual_mul_f32 v141, s35, v212 :: v_dual_mul_f32 v142, s35, v211
	v_mul_f32_e32 v169, s35, v132
	s_delay_alu instid0(VALU_DEP_4)
	v_or_b32_e32 v150, 2, v139
	v_or_b32_e32 v151, 4, v139
	;; [unrolled: 1-line block ×3, first 2 shown]
	v_cmp_gt_i32_e32 vcc_lo, s33, v139
	v_or_b32_e32 v153, 8, v139
	v_cmp_gt_i32_e64 s2, s33, v150
	v_or_b32_e32 v154, 10, v139
	v_or_b32_e32 v155, 12, v139
	;; [unrolled: 1-line block ×11, first 2 shown]
	v_cndmask_b32_e32 v139, 0xff7fffff, v148, vcc_lo
	v_cndmask_b32_e64 v147, 0xff7fffff, v147, s2
	v_cmp_gt_i32_e64 s3, s33, v151
	v_cmp_gt_i32_e64 s4, s33, v152
	;; [unrolled: 1-line block ×4, first 2 shown]
	v_max3_f32 v139, v139, 0xff7fffff, v147
	v_cndmask_b32_e64 v146, 0xff7fffff, v146, s3
	v_cndmask_b32_e64 v145, 0xff7fffff, v145, s4
	;; [unrolled: 1-line block ×4, first 2 shown]
	v_cmp_gt_i32_e64 s7, s33, v155
	v_cmp_gt_i32_e64 s8, s33, v156
	v_max3_f32 v139, v139, v146, v145
	v_cmp_gt_i32_e64 s9, s33, v157
	v_cmp_gt_i32_e64 s10, s33, v158
	v_cndmask_b32_e64 v142, 0xff7fffff, v142, s7
	v_cndmask_b32_e64 v141, 0xff7fffff, v141, s8
	v_max3_f32 v139, v139, v144, v143
	v_cndmask_b32_e64 v143, 0xff7fffff, v172, s9
	v_cndmask_b32_e64 v144, 0xff7fffff, v171, s10
	v_cmp_gt_i32_e64 s11, s33, v159
	v_cmp_gt_i32_e64 s12, s33, v160
	v_max3_f32 v139, v139, v142, v141
	v_mul_f32_e32 v167, s35, v134
	v_cmp_gt_i32_e64 s13, s33, v161
	v_cndmask_b32_e64 v141, 0xff7fffff, v170, s11
	v_cndmask_b32_e64 v142, 0xff7fffff, v169, s12
	v_max3_f32 v139, v139, v143, v144
	v_cmp_gt_i32_e64 s16, s33, v162
	v_mul_f32_e32 v165, s35, v136
	v_cndmask_b32_e64 v143, 0xff7fffff, v168, s13
	v_cmp_gt_i32_e64 s17, s33, v163
	v_max3_f32 v139, v139, v141, v142
	v_cndmask_b32_e64 v144, 0xff7fffff, v167, s16
	v_cmp_gt_i32_e64 s18, s33, v164
	s_delay_alu instid0(VALU_DEP_4) | instskip(NEXT) | instid1(VALU_DEP_3)
	v_cndmask_b32_e64 v141, 0xff7fffff, v166, s17
	v_max3_f32 v139, v139, v143, v144
	s_delay_alu instid0(VALU_DEP_3) | instskip(SKIP_1) | instid1(VALU_DEP_2)
	v_cndmask_b32_e64 v142, 0xff7fffff, v165, s18
	v_lshlrev_b32_e32 v143, 2, v149
	v_max3_f32 v139, v139, v141, v142
	ds_bpermute_b32 v141, v143, v139
	s_waitcnt lgkmcnt(0)
	v_max_f32_e32 v141, v141, v141
	s_delay_alu instid0(VALU_DEP_1) | instskip(NEXT) | instid1(VALU_DEP_1)
	v_max_f32_e32 v139, v139, v141
	v_fma_f32 v141, s35, v205, -v139
	v_fma_f32 v142, s35, v206, -v139
	;; [unrolled: 1-line block ×5, first 2 shown]
	s_delay_alu instid0(VALU_DEP_4) | instskip(NEXT) | instid1(VALU_DEP_3)
	v_dual_mul_f32 v141, 0x3fb8aa3b, v141 :: v_dual_mul_f32 v142, 0x3fb8aa3b, v142
	v_dual_mul_f32 v144, 0x3fb8aa3b, v144 :: v_dual_mul_f32 v145, 0x3fb8aa3b, v145
	s_delay_alu instid0(VALU_DEP_3) | instskip(NEXT) | instid1(VALU_DEP_3)
	v_mul_f32_e32 v148, 0x3fb8aa3b, v146
	v_exp_f32_e32 v141, v141
	s_delay_alu instid0(VALU_DEP_3) | instskip(NEXT) | instid1(VALU_DEP_2)
	v_exp_f32_e32 v142, v142
	v_exp_f32_e32 v144, v144
	;; [unrolled: 1-line block ×3, first 2 shown]
	v_fma_f32 v150, s35, v211, -v139
	v_exp_f32_e32 v151, v148
	v_fma_f32 v129, s35, v129, -v139
	v_fma_f32 v130, s35, v130, -v139
	;; [unrolled: 1-line block ×3, first 2 shown]
	v_dual_mul_f32 v150, 0x3fb8aa3b, v150 :: v_dual_cndmask_b32 v147, 0, v141
	v_fma_f32 v141, s35, v210, -v139
	v_cndmask_b32_e64 v146, 0, v142, s2
	v_cndmask_b32_e64 v149, 0, v144, s3
	v_fma_f32 v144, s35, v212, -v139
	s_delay_alu instid0(VALU_DEP_4) | instskip(SKIP_2) | instid1(VALU_DEP_3)
	v_dual_add_f32 v142, 0, v147 :: v_dual_mul_f32 v141, 0x3fb8aa3b, v141
	v_cndmask_b32_e64 v148, 0, v145, s4
	v_exp_f32_e32 v145, v150
	v_mul_f32_e32 v144, 0x3fb8aa3b, v144
	s_delay_alu instid0(VALU_DEP_3)
	v_add_f32_e32 v142, v142, v146
	v_exp_f32_e32 v141, v141
	v_cndmask_b32_e64 v151, 0, v151, s5
	v_mul_f32_e32 v129, 0x3fb8aa3b, v129
	v_exp_f32_e32 v144, v144
	v_add_f32_e32 v142, v142, v149
	v_mul_f32_e32 v130, 0x3fb8aa3b, v130
	s_mov_b32 s3, exec_lo
	v_exp_f32_e32 v129, v129
	v_cndmask_b32_e64 v152, 0, v145, s7
	v_add_f32_e32 v142, v142, v148
	v_cndmask_b32_e64 v150, 0, v141, s6
	v_exp_f32_e32 v130, v130
	s_delay_alu instid0(VALU_DEP_2) | instskip(SKIP_2) | instid1(TRANS32_DEP_2)
	v_add_f32_e32 v141, v142, v151
	v_fma_f32 v142, s35, v132, -v139
	v_cndmask_b32_e64 v132, 0, v144, s8
	v_cndmask_b32_e64 v153, 0, v129, s9
	s_delay_alu instid0(VALU_DEP_4) | instskip(NEXT) | instid1(VALU_DEP_1)
	v_add_f32_e32 v141, v141, v150
	v_dual_mul_f32 v142, 0x3fb8aa3b, v142 :: v_dual_add_f32 v141, v141, v152
	s_delay_alu instid0(VALU_DEP_1) | instskip(NEXT) | instid1(VALU_DEP_1)
	v_exp_f32_e32 v142, v142
	v_add_f32_e32 v129, v141, v132
	v_mul_f32_e32 v141, 0x3fb8aa3b, v133
	v_cndmask_b32_e64 v133, 0, v130, s10
	v_fma_f32 v130, s35, v135, -v139
	s_delay_alu instid0(VALU_DEP_4) | instskip(NEXT) | instid1(VALU_DEP_4)
	v_add_f32_e32 v129, v129, v153
	v_exp_f32_e32 v141, v141
	s_delay_alu instid0(VALU_DEP_2)
	v_mul_f32_e32 v130, 0x3fb8aa3b, v130
	v_fma_f32 v131, s35, v131, -v139
	v_fma_f32 v134, s35, v134, -v139
	v_add_f32_e32 v129, v129, v133
	v_fma_f32 v136, s35, v136, -v139
	v_exp_f32_e32 v130, v130
	s_delay_alu instid0(VALU_DEP_3) | instskip(NEXT) | instid1(TRANS32_DEP_2)
	v_dual_mul_f32 v131, 0x3fb8aa3b, v131 :: v_dual_mul_f32 v134, 0x3fb8aa3b, v134
	v_cndmask_b32_e64 v154, 0, v141, s13
	s_delay_alu instid0(VALU_DEP_3) | instskip(NEXT) | instid1(VALU_DEP_3)
	v_mul_f32_e32 v141, 0x3fb8aa3b, v136
	v_exp_f32_e32 v131, v131
	s_waitcnt_depctr 0xfff
	v_cndmask_b32_e64 v156, 0, v130, s17
	v_cndmask_b32_e64 v135, 0, v131, s11
	v_exp_f32_e32 v131, v134
	v_cndmask_b32_e64 v134, 0, v142, s12
	s_delay_alu instid0(VALU_DEP_2) | instskip(NEXT) | instid1(VALU_DEP_1)
	v_add_f32_e32 v129, v129, v135
	v_add_f32_e32 v129, v129, v134
	s_waitcnt_depctr 0xfff
	v_cndmask_b32_e64 v136, 0, v131, s16
	v_exp_f32_e32 v131, v141
	v_add_f32_e32 v129, v129, v154
	s_delay_alu instid0(VALU_DEP_1) | instskip(SKIP_4) | instid1(VALU_DEP_2)
	v_add_f32_e32 v129, v129, v136
	s_waitcnt_depctr 0xfff
	v_cndmask_b32_e64 v155, 0, v131, s18
	v_and_b32_e32 v131, 31, v0
	v_add_f32_e32 v129, v129, v156
	v_cmp_lt_u32_e64 s2, 15, v131
	s_delay_alu instid0(VALU_DEP_2)
	v_add_f32_e32 v129, v129, v155
	ds_bpermute_b32 v130, v143, v129
	v_cmpx_gt_u32_e32 16, v131
	s_cbranch_execz .LBB302_11
; %bb.10:
	v_mul_u32_u24_e32 v131, 0x44, v140
	s_delay_alu instid0(VALU_DEP_1) | instskip(SKIP_1) | instid1(VALU_DEP_1)
	v_lshl_add_u32 v131, v137, 2, v131
	s_waitcnt lgkmcnt(0)
	v_dual_add_f32 v129, v129, v130 :: v_dual_add_nc_u32 v130, 0x4000, v131
	ds_store_2addr_b32 v130, v139, v129 offset1:136
.LBB302_11:
	s_or_b32 exec_lo, exec_lo, s3
	v_lshlrev_b32_e32 v129, 2, v137
	s_load_b64 s[36:37], s[0:1], 0x94
	s_waitcnt lgkmcnt(0)
	s_barrier
	buffer_gl0_inv
	v_add_nc_u32_e32 v129, 0x4000, v129
	v_cmp_eq_u32_e32 vcc_lo, 1, v140
	v_cmp_eq_u32_e64 s3, 2, v140
	v_cmp_eq_u32_e64 s5, 3, v140
	;; [unrolled: 1-line block ×3, first 2 shown]
	ds_load_2addr_b32 v[141:142], v129 offset1:17
	ds_load_2addr_b32 v[143:144], v129 offset0:34 offset1:51
	ds_load_2addr_b32 v[157:158], v129 offset0:68 offset1:85
	;; [unrolled: 1-line block ×4, first 2 shown]
	v_cmp_eq_u32_e64 s7, 5, v140
	v_cmp_eq_u32_e64 s4, 6, v140
	s_waitcnt lgkmcnt(4)
	v_max3_f32 v130, v141, 0xff7fffff, v142
	s_waitcnt lgkmcnt(3)
	s_delay_alu instid0(VALU_DEP_1) | instskip(SKIP_1) | instid1(VALU_DEP_1)
	v_max3_f32 v130, v130, v143, v144
	s_waitcnt lgkmcnt(2)
	v_max3_f32 v130, v130, v157, v158
	s_waitcnt lgkmcnt(1)
	s_delay_alu instid0(VALU_DEP_1) | instskip(NEXT) | instid1(VALU_DEP_1)
	v_max3_f32 v130, v130, v159, v160
	v_sub_f32_e32 v131, v141, v130
	v_sub_f32_e32 v139, v142, v130
	ds_load_2addr_b32 v[141:142], v129 offset0:170 offset1:187
	v_sub_f32_e32 v143, v143, v130
	v_sub_f32_e32 v157, v157, v130
	v_mul_f32_e32 v131, 0x3fb8aa3b, v131
	v_mul_f32_e32 v139, 0x3fb8aa3b, v139
	s_delay_alu instid0(VALU_DEP_4) | instskip(NEXT) | instid1(VALU_DEP_4)
	v_mul_f32_e32 v163, 0x3fb8aa3b, v143
	v_mul_f32_e32 v165, 0x3fb8aa3b, v157
	s_delay_alu instid0(VALU_DEP_4)
	v_exp_f32_e32 v145, v131
	v_sub_f32_e32 v131, v144, v130
	v_exp_f32_e32 v139, v139
	ds_load_2addr_b32 v[143:144], v129 offset0:204 offset1:221
	v_exp_f32_e32 v163, v163
	v_mul_f32_e32 v164, 0x3fb8aa3b, v131
	s_waitcnt lgkmcnt(2)
	v_fma_f32 v131, v145, v161, 0
	v_sub_f32_e32 v161, v158, v130
	s_delay_alu instid0(VALU_DEP_3)
	v_exp_f32_e32 v164, v164
	ds_load_2addr_b32 v[157:158], v129 offset0:238 offset1:255
	v_sub_f32_e32 v129, v159, v130
	v_fmac_f32_e32 v131, v139, v162
	v_mul_f32_e32 v159, 0x3fb8aa3b, v161
	v_exp_f32_e32 v161, v165
	v_cndmask_b32_e32 v139, v145, v139, vcc_lo
	v_mul_f32_e32 v129, 0x3fb8aa3b, v129
	s_waitcnt lgkmcnt(2)
	v_fmac_f32_e32 v131, v163, v141
	v_sub_f32_e32 v141, v160, v130
	v_exp_f32_e32 v159, v159
	s_waitcnt lgkmcnt(0)
	v_exp_f32_e32 v160, v129
	v_fmac_f32_e32 v131, v164, v142
	v_mul_f32_e32 v141, 0x3fb8aa3b, v141
	s_barrier
	buffer_gl0_inv
	v_fmac_f32_e32 v131, v161, v143
	v_exp_f32_e32 v162, v141
	v_lshlrev_b32_e32 v143, 6, v137
	s_delay_alu instid0(VALU_DEP_2) | instskip(NEXT) | instid1(VALU_DEP_2)
	v_fmac_f32_e32 v131, v159, v144
	v_lshl_or_b32 v145, v140, 11, v143
	s_delay_alu instid0(VALU_DEP_2) | instskip(SKIP_2) | instid1(VALU_DEP_1)
	v_fmac_f32_e32 v131, v160, v157
	s_waitcnt_depctr 0xfff
	v_fmac_f32_e32 v131, v162, v158
	v_add_f32_e32 v144, 0x358637bd, v131
	s_delay_alu instid0(VALU_DEP_1) | instskip(SKIP_1) | instid1(VALU_DEP_2)
	v_div_scale_f32 v157, null, v144, v144, 1.0
	v_div_scale_f32 v165, vcc_lo, 1.0, v144, 1.0
	v_rcp_f32_e32 v158, v157
	s_waitcnt_depctr 0xfff
	v_fma_f32 v129, -v157, v158, 1.0
	s_delay_alu instid0(VALU_DEP_1) | instskip(SKIP_3) | instid1(VALU_DEP_4)
	v_fmac_f32_e32 v158, v129, v158
	v_cndmask_b32_e64 v129, v139, v163, s3
	v_cmp_eq_u32_e64 s3, 7, v140
	v_lshlrev_b32_e32 v139, 2, v138
	v_mul_f32_e32 v163, v165, v158
	s_delay_alu instid0(VALU_DEP_4) | instskip(SKIP_1) | instid1(VALU_DEP_4)
	v_cndmask_b32_e64 v141, v129, v164, s5
	v_mov_b32_e32 v129, 0
	v_or_b32_e32 v140, 1, v139
	v_cmp_eq_u32_e64 s5, 1, v139
	v_fma_f32 v142, -v157, v163, v165
	v_cndmask_b32_e64 v141, v141, v161, s6
	v_cmp_eq_u32_e64 s6, 2, v139
	v_cmp_eq_u32_e64 s9, 1, v140
	v_cmp_eq_u32_e64 s12, 2, v140
	v_fmac_f32_e32 v163, v142, v158
	v_cndmask_b32_e64 v159, v141, v159, s7
	v_or_b32_e32 v142, 2, v139
	v_or_b32_e32 v141, 3, v139
	v_cmp_eq_u32_e64 s13, 3, v140
	v_fma_f32 v157, -v157, v163, v165
	v_cndmask_b32_e64 v159, v159, v160, s4
	v_cmp_eq_u32_e64 s10, 1, v142
	v_cmp_eq_u32_e64 s11, 1, v141
	v_cmp_eq_u32_e64 s16, 2, v142
	v_div_fmas_f32 v157, v157, v158, v163
	v_cndmask_b32_e64 v158, v159, v162, s3
	v_cmp_eq_u32_e64 s17, 2, v141
	v_cmp_eq_u32_e32 vcc_lo, 3, v139
	v_cmp_eq_u32_e64 s18, 3, v142
	v_div_fixup_f32 v157, v157, v144, 1.0
	v_lshl_or_b32 v144, v138, 4, v145
	v_cmp_eq_u32_e64 s19, 3, v141
	v_cmp_eq_u32_e64 s4, 4, v139
	;; [unrolled: 1-line block ×3, first 2 shown]
	v_mul_f32_e32 v161, v158, v157
	v_cmp_eq_u32_e64 s22, 4, v142
	v_cmp_eq_u32_e64 s23, 4, v141
	;; [unrolled: 1-line block ×4, first 2 shown]
	v_fma_mixlo_f16 v157, v161, v147, 0
	v_fma_mixlo_f16 v158, v161, v149, 0
	;; [unrolled: 1-line block ×8, first 2 shown]
	v_fma_mixhi_f16 v157, v161, v146, 0
	v_fma_mixhi_f16 v158, v161, v148, 0
	;; [unrolled: 1-line block ×8, first 2 shown]
	ds_store_b128 v144, v[157:160]
	ds_store_b128 v144, v[151:154] offset:1024
	s_waitcnt lgkmcnt(0)
	s_barrier
	buffer_gl0_inv
	ds_load_b128 v[132:135], v145
	ds_load_b128 v[146:149], v145 offset:16
	ds_load_b128 v[150:153], v145 offset:1024
	;; [unrolled: 1-line block ×3, first 2 shown]
	v_cmp_eq_u32_e64 s24, 5, v142
	v_cmp_eq_u32_e64 s25, 5, v141
	;; [unrolled: 1-line block ×10, first 2 shown]
	s_waitcnt lgkmcnt(3)
	v_lshrrev_b32_e32 v136, 16, v132
	s_waitcnt lgkmcnt(2)
	v_lshrrev_b32_e32 v161, 16, v146
	;; [unrolled: 2-line block ×4, first 2 shown]
	v_lshrrev_b32_e32 v158, 16, v133
	v_cndmask_b32_e64 v173, v132, v136, s5
	v_cndmask_b32_e64 v174, v146, v161, s5
	;; [unrolled: 1-line block ×8, first 2 shown]
	v_lshrrev_b32_e32 v162, 16, v147
	v_cndmask_b32_e64 v146, v150, v165, s5
	v_cndmask_b32_e64 v161, v154, v169, s5
	;; [unrolled: 1-line block ×16, first 2 shown]
	v_lshrrev_b32_e32 v166, 16, v151
	v_lshrrev_b32_e32 v170, 16, v155
	v_cndmask_b32_e64 v136, v146, v151, s6
	v_cndmask_b32_e64 v146, v161, v155, s6
	;; [unrolled: 1-line block ×5, first 2 shown]
	v_cndmask_b32_e32 v151, v165, v158, vcc_lo
	v_cndmask_b32_e32 v165, v169, v162, vcc_lo
	v_cndmask_b32_e64 v169, v173, v158, s13
	v_cndmask_b32_e64 v173, v174, v162, s13
	;; [unrolled: 1-line block ×6, first 2 shown]
	v_lshrrev_b32_e32 v159, 16, v134
	v_lshrrev_b32_e32 v163, 16, v148
	v_cndmask_b32_e32 v136, v136, v166, vcc_lo
	v_cndmask_b32_e32 v146, v146, v170, vcc_lo
	v_cndmask_b32_e64 v147, v147, v166, s13
	v_cndmask_b32_e64 v151, v151, v134, s4
	;; [unrolled: 1-line block ×9, first 2 shown]
	v_lshrrev_b32_e32 v167, 16, v152
	v_cndmask_b32_e64 v134, v136, v152, s4
	v_cndmask_b32_e64 v136, v146, v156, s4
	;; [unrolled: 1-line block ×11, first 2 shown]
	v_lshrrev_b32_e32 v160, 16, v135
	v_lshrrev_b32_e32 v164, 16, v149
	v_cndmask_b32_e64 v134, v134, v167, s7
	v_cndmask_b32_e64 v146, v146, v167, s21
	;; [unrolled: 1-line block ×10, first 2 shown]
	v_lshrrev_b32_e32 v168, 16, v153
	v_cndmask_b32_e64 v134, v134, v153, s3
	v_cndmask_b32_e64 v135, v146, v153, s26
	;; [unrolled: 1-line block ×12, first 2 shown]
	v_perm_b32 v135, v133, v132, 0x5040100
	v_perm_b32 v134, v151, v149, 0x5040100
	;; [unrolled: 1-line block ×3, first 2 shown]
	v_cndmask_b32_e64 v132, v154, v155, s17
	v_cndmask_b32_e64 v148, v182, v155, s16
	v_cndmask_b32_e64 v149, v180, v155, s12
	v_cndmask_b32_e64 v151, v161, v166, s18
	v_cndmask_b32_e64 v150, v150, v166, s19
	v_cndmask_b32_e64 v132, v132, v170, s19
	v_cndmask_b32_e64 v148, v148, v170, s18
	v_cndmask_b32_e64 v149, v149, v170, s13
	v_lshrrev_b32_e32 v171, 16, v156
	v_cndmask_b32_e64 v151, v151, v152, s22
	v_cndmask_b32_e64 v150, v150, v152, s23
	;; [unrolled: 1-line block ×11, first 2 shown]
	v_lshrrev_b32_e32 v172, 16, v157
	v_cndmask_b32_e64 v136, v136, v157, s3
	v_cndmask_b32_e64 v151, v151, v153, s27
	;; [unrolled: 1-line block ×12, first 2 shown]
	v_perm_b32 v132, v147, v146, 0x5040100
	v_perm_b32 v149, v152, v150, 0x5040100
	;; [unrolled: 1-line block ×5, first 2 shown]
	s_mov_b32 s3, exec_lo
	ds_store_b128 v144, v[132:135]
	ds_store_b128 v144, v[146:149] offset:1024
	v_cmpx_eq_u32_e32 0, v0
	s_cbranch_execz .LBB302_13
; %bb.12:
	s_load_b128 s[4:7], s[0:1], 0x58
	s_mul_i32 s8, s37, s34
	s_delay_alu instid0(SALU_CYCLE_1) | instskip(NEXT) | instid1(SALU_CYCLE_1)
	s_add_i32 s8, s8, s15
	s_mul_i32 s8, s8, s36
	s_delay_alu instid0(SALU_CYCLE_1) | instskip(NEXT) | instid1(SALU_CYCLE_1)
	s_add_i32 s8, s8, s14
	s_ashr_i32 s9, s8, 31
	s_delay_alu instid0(SALU_CYCLE_1)
	s_lshl_b64 s[8:9], s[8:9], 2
	s_waitcnt lgkmcnt(0)
	s_add_u32 s6, s6, s8
	s_addc_u32 s7, s7, s9
	s_add_u32 s4, s4, s8
	s_addc_u32 s5, s5, s9
	s_clause 0x1
	global_store_b32 v129, v130, s[6:7]
	global_store_b32 v129, v131, s[4:5]
.LBB302_13:
	s_or_b32 exec_lo, exec_lo, s3
	s_waitcnt lgkmcnt(0)
	s_waitcnt_vscnt null, 0x0
	s_barrier
	buffer_gl0_inv
	ds_load_b128 v[146:149], v143
	ds_load_b128 v[150:153], v143 offset:16
	ds_load_b128 v[158:161], v143 offset:1040
	;; [unrolled: 1-line block ×5, first 2 shown]
	v_mov_b32_e32 v130, v129
	v_mov_b32_e32 v131, v129
	;; [unrolled: 1-line block ×7, first 2 shown]
	ds_load_b128 v[174:177], v143 offset:3088
	ds_load_b128 v[170:173], v143 offset:3072
	;; [unrolled: 1-line block ×4, first 2 shown]
	v_cmp_eq_u32_e32 vcc_lo, 1, v142
	v_cmp_eq_u32_e64 s3, 1, v139
	v_cmp_eq_u32_e64 s4, 1, v141
	;; [unrolled: 1-line block ×4, first 2 shown]
	s_xor_b32 s2, s2, -1
	s_waitcnt lgkmcnt(8)
	v_wmma_f32_16x16x16_f16 v[129:136], v[121:128], v[146:153], v[129:136]
	ds_load_b128 v[125:128], v143 offset:5136
	ds_load_b128 v[121:124], v143 offset:5120
	s_waitcnt lgkmcnt(8)
	v_wmma_f32_16x16x16_f16 v[129:136], v[113:120], v[154:161], v[129:136]
	ds_load_b128 v[117:120], v143 offset:6160
	ds_load_b128 v[113:116], v143 offset:6144
	;; [unrolled: 4-line block ×11, first 2 shown]
	s_waitcnt lgkmcnt(0)
	s_barrier
	buffer_gl0_inv
	v_wmma_f32_16x16x16_f16 v[129:136], v[1:8], v[73:80], v[129:136]
	s_delay_alu instid0(VALU_DEP_1) | instskip(NEXT) | instid1(VALU_DEP_1)
	v_wmma_f32_16x16x16_f16 v[129:136], v[9:16], v[65:72], v[129:136]
	v_wmma_f32_16x16x16_f16 v[129:136], v[25:32], v[57:64], v[129:136]
	s_delay_alu instid0(VALU_DEP_1) | instskip(NEXT) | instid1(VALU_DEP_1)
	v_wmma_f32_16x16x16_f16 v[129:136], v[41:48], v[49:56], v[129:136]
	v_wmma_f32_16x16x16_f16 v[129:136], v[17:24], v[33:40], v[129:136]
	s_delay_alu instid0(VALU_DEP_1) | instskip(NEXT) | instid1(VALU_DEP_2)
	v_cvt_f16_f32_e64 v1, v129
	v_cvt_f16_f32_e64 v2, v130
	s_delay_alu instid0(VALU_DEP_3) | instskip(NEXT) | instid1(VALU_DEP_4)
	v_cvt_f16_f32_e64 v3, v131
	v_cvt_f16_f32_e64 v4, v132
	;; [unrolled: 1-line block ×6, first 2 shown]
	v_pack_b32_f16 v1, v1, v2
	v_pack_b32_f16 v2, v3, v4
	;; [unrolled: 1-line block ×3, first 2 shown]
	s_delay_alu instid0(VALU_DEP_4)
	v_pack_b32_f16 v4, v7, v8
	ds_store_b128 v144, v[1:4]
	s_waitcnt lgkmcnt(0)
	s_barrier
	buffer_gl0_inv
	ds_load_b128 v[1:4], v145
	ds_load_b128 v[5:8], v145 offset:16
	s_waitcnt lgkmcnt(1)
	v_lshrrev_b32_e32 v9, 16, v1
	s_waitcnt lgkmcnt(0)
	v_lshrrev_b32_e32 v13, 16, v5
	v_lshrrev_b32_e32 v15, 16, v7
	;; [unrolled: 1-line block ×4, first 2 shown]
	v_cndmask_b32_e64 v17, v1, v9, s3
	v_cndmask_b32_e64 v18, v5, v13, s3
	;; [unrolled: 1-line block ×3, first 2 shown]
	v_cmp_eq_u32_e64 s3, 2, v140
	v_cndmask_b32_e64 v20, v5, v13, s5
	v_cndmask_b32_e32 v21, v1, v9, vcc_lo
	v_cndmask_b32_e32 v22, v5, v13, vcc_lo
	v_cndmask_b32_e64 v1, v1, v9, s4
	v_cndmask_b32_e64 v5, v5, v13, s4
	v_cmp_eq_u32_e32 vcc_lo, 2, v142
	v_cmp_eq_u32_e64 s4, 2, v141
	v_cndmask_b32_e64 v9, v17, v2, s6
	v_cndmask_b32_e64 v13, v18, v6, s6
	;; [unrolled: 1-line block ×4, first 2 shown]
	v_cndmask_b32_e32 v19, v21, v2, vcc_lo
	v_cmp_eq_u32_e64 s3, 3, v142
	v_cndmask_b32_e32 v20, v22, v6, vcc_lo
	v_cndmask_b32_e64 v1, v1, v2, s4
	v_cmp_eq_u32_e32 vcc_lo, 3, v141
	v_cmp_eq_u32_e64 s5, 3, v139
	v_cndmask_b32_e64 v2, v5, v6, s4
	v_cmp_eq_u32_e64 s4, 3, v140
	v_lshrrev_b32_e32 v16, 16, v8
	v_cmp_eq_u32_e64 s6, 4, v139
	v_cndmask_b32_e64 v5, v9, v10, s5
	v_cndmask_b32_e64 v6, v13, v14, s5
	;; [unrolled: 1-line block ×3, first 2 shown]
	v_cmp_eq_u32_e64 s5, 4, v140
	v_cndmask_b32_e64 v13, v18, v14, s4
	v_cndmask_b32_e64 v17, v19, v10, s3
	;; [unrolled: 1-line block ×3, first 2 shown]
	v_cndmask_b32_e32 v1, v1, v10, vcc_lo
	v_cndmask_b32_e32 v2, v2, v14, vcc_lo
	v_cmp_eq_u32_e32 vcc_lo, 4, v142
	v_cmp_eq_u32_e64 s4, 4, v141
	v_lshrrev_b32_e32 v11, 16, v3
	v_cndmask_b32_e64 v5, v5, v3, s6
	v_cndmask_b32_e64 v6, v6, v7, s6
	;; [unrolled: 1-line block ×4, first 2 shown]
	v_cndmask_b32_e32 v13, v17, v3, vcc_lo
	v_cmp_eq_u32_e64 s3, 5, v142
	v_cndmask_b32_e32 v14, v18, v7, vcc_lo
	v_cndmask_b32_e64 v1, v1, v3, s4
	v_cmp_eq_u32_e32 vcc_lo, 5, v141
	v_cmp_eq_u32_e64 s5, 5, v139
	v_cndmask_b32_e64 v2, v2, v7, s4
	v_cmp_eq_u32_e64 s4, 5, v140
	v_cmp_eq_u32_e64 s6, 6, v139
	v_cndmask_b32_e32 v1, v1, v11, vcc_lo
	v_cndmask_b32_e64 v3, v5, v11, s5
	v_cndmask_b32_e64 v5, v6, v15, s5
	;; [unrolled: 1-line block ×3, first 2 shown]
	v_cmp_eq_u32_e64 s5, 6, v140
	v_cndmask_b32_e64 v7, v10, v15, s4
	v_cndmask_b32_e64 v9, v13, v11, s3
	;; [unrolled: 1-line block ×3, first 2 shown]
	v_cndmask_b32_e32 v2, v2, v15, vcc_lo
	v_cmp_eq_u32_e32 vcc_lo, 6, v142
	v_cmp_eq_u32_e64 s3, 6, v141
	v_lshrrev_b32_e32 v12, 16, v4
	v_cndmask_b32_e64 v3, v3, v4, s6
	v_cndmask_b32_e64 v5, v5, v8, s6
	;; [unrolled: 1-line block ×4, first 2 shown]
	v_cndmask_b32_e32 v9, v9, v4, vcc_lo
	v_cmp_eq_u32_e64 s4, 7, v142
	v_cndmask_b32_e32 v10, v10, v8, vcc_lo
	v_cndmask_b32_e64 v1, v1, v4, s3
	v_cmp_eq_u32_e32 vcc_lo, 7, v141
	v_cndmask_b32_e64 v2, v2, v8, s3
	v_cmp_eq_u32_e64 s3, 7, v139
	v_cmp_eq_u32_e64 s5, 7, v140
	v_cndmask_b32_e32 v1, v1, v12, vcc_lo
	s_delay_alu instid0(VALU_DEP_4) | instskip(NEXT) | instid1(VALU_DEP_4)
	v_cndmask_b32_e32 v2, v2, v16, vcc_lo
	v_cndmask_b32_e64 v8, v3, v12, s3
	s_delay_alu instid0(VALU_DEP_4)
	v_cndmask_b32_e64 v6, v6, v12, s5
	v_cndmask_b32_e64 v3, v9, v12, s4
	;; [unrolled: 1-line block ×5, first 2 shown]
	v_cmp_gt_u32_e32 vcc_lo, 32, v0
	v_perm_b32 v4, v2, v1, 0x5040100
	v_perm_b32 v3, v9, v3, 0x5040100
	;; [unrolled: 1-line block ×4, first 2 shown]
	s_and_b32 s2, vcc_lo, s2
	ds_store_b128 v144, v[1:4]
	s_waitcnt lgkmcnt(0)
	s_barrier
	buffer_gl0_inv
	s_and_saveexec_b32 s3, s2
	s_cbranch_execz .LBB302_2
; %bb.14:
	s_load_b64 s[0:1], s[0:1], 0x68
	v_lshlrev_b32_e32 v1, 10, v0
	v_and_b32_e32 v0, 1, v0
	v_lshlrev_b32_e32 v2, 6, v138
	s_lshl_b32 s4, s36, 7
	v_lshlrev_b32_e32 v4, 4, v137
	v_and_b32_e32 v1, 0x3800, v1
	v_lshlrev_b32_e32 v0, 4, v0
	s_mul_i32 s2, s4, s34
	s_delay_alu instid0(SALU_CYCLE_1) | instskip(NEXT) | instid1(VALU_DEP_1)
	s_mul_i32 s2, s2, s37
	v_or3_b32 v0, v1, v2, v0
	s_ashr_i32 s3, s2, 31
	s_delay_alu instid0(SALU_CYCLE_1)
	s_lshl_b64 s[2:3], s[2:3], 1
	ds_load_b128 v[0:3], v0
	s_waitcnt lgkmcnt(0)
	s_add_u32 s5, s0, s2
	s_addc_u32 s3, s1, s3
	s_lshl_b32 s0, s14, 7
	s_mul_i32 s2, s4, s15
	s_ashr_i32 s1, s0, 31
	s_delay_alu instid0(SALU_CYCLE_1) | instskip(NEXT) | instid1(SALU_CYCLE_1)
	s_lshl_b64 s[0:1], s[0:1], 1
	s_add_u32 s4, s5, s0
	s_addc_u32 s5, s3, s1
	s_ashr_i32 s3, s2, 31
	s_delay_alu instid0(SALU_CYCLE_1) | instskip(NEXT) | instid1(SALU_CYCLE_1)
	s_lshl_b64 s[0:1], s[2:3], 1
	s_add_u32 s0, s4, s0
	s_addc_u32 s1, s5, s1
	global_store_b128 v4, v[0:3], s[0:1]
	s_nop 0
	s_sendmsg sendmsg(MSG_DEALLOC_VGPRS)
	s_endpgm
	.section	.rodata,"a",@progbits
	.p2align	6, 0x0
	.amdhsa_kernel _Z39paged_attention_ll4mi_QKV_mfma16_kernelIDF16_DF16_LN4vllm18Fp8KVCacheDataTypeE0EDF16_Li16ELi128ELi256ELb0ELi1EL8MFMAType0EEvPKT_PKT0_S8_ifPKiSA_SA_iPKfiiiPfSD_PS3_PT2_iSC_SC_
		.amdhsa_group_segment_fixed_size 17472
		.amdhsa_private_segment_fixed_size 0
		.amdhsa_kernarg_size 400
		.amdhsa_user_sgpr_count 13
		.amdhsa_user_sgpr_dispatch_ptr 0
		.amdhsa_user_sgpr_queue_ptr 0
		.amdhsa_user_sgpr_kernarg_segment_ptr 1
		.amdhsa_user_sgpr_dispatch_id 0
		.amdhsa_user_sgpr_private_segment_size 0
		.amdhsa_wavefront_size32 1
		.amdhsa_uses_dynamic_stack 0
		.amdhsa_enable_private_segment 0
		.amdhsa_system_sgpr_workgroup_id_x 1
		.amdhsa_system_sgpr_workgroup_id_y 1
		.amdhsa_system_sgpr_workgroup_id_z 1
		.amdhsa_system_sgpr_workgroup_info 0
		.amdhsa_system_vgpr_workitem_id 0
		.amdhsa_next_free_vgpr 227
		.amdhsa_next_free_sgpr 98
		.amdhsa_reserve_vcc 1
		.amdhsa_float_round_mode_32 0
		.amdhsa_float_round_mode_16_64 0
		.amdhsa_float_denorm_mode_32 3
		.amdhsa_float_denorm_mode_16_64 3
		.amdhsa_dx10_clamp 1
		.amdhsa_ieee_mode 1
		.amdhsa_fp16_overflow 0
		.amdhsa_workgroup_processor_mode 1
		.amdhsa_memory_ordered 1
		.amdhsa_forward_progress 0
		.amdhsa_shared_vgpr_count 0
		.amdhsa_exception_fp_ieee_invalid_op 0
		.amdhsa_exception_fp_denorm_src 0
		.amdhsa_exception_fp_ieee_div_zero 0
		.amdhsa_exception_fp_ieee_overflow 0
		.amdhsa_exception_fp_ieee_underflow 0
		.amdhsa_exception_fp_ieee_inexact 0
		.amdhsa_exception_int_div_zero 0
	.end_amdhsa_kernel
	.section	.text._Z39paged_attention_ll4mi_QKV_mfma16_kernelIDF16_DF16_LN4vllm18Fp8KVCacheDataTypeE0EDF16_Li16ELi128ELi256ELb0ELi1EL8MFMAType0EEvPKT_PKT0_S8_ifPKiSA_SA_iPKfiiiPfSD_PS3_PT2_iSC_SC_,"axG",@progbits,_Z39paged_attention_ll4mi_QKV_mfma16_kernelIDF16_DF16_LN4vllm18Fp8KVCacheDataTypeE0EDF16_Li16ELi128ELi256ELb0ELi1EL8MFMAType0EEvPKT_PKT0_S8_ifPKiSA_SA_iPKfiiiPfSD_PS3_PT2_iSC_SC_,comdat
.Lfunc_end302:
	.size	_Z39paged_attention_ll4mi_QKV_mfma16_kernelIDF16_DF16_LN4vllm18Fp8KVCacheDataTypeE0EDF16_Li16ELi128ELi256ELb0ELi1EL8MFMAType0EEvPKT_PKT0_S8_ifPKiSA_SA_iPKfiiiPfSD_PS3_PT2_iSC_SC_, .Lfunc_end302-_Z39paged_attention_ll4mi_QKV_mfma16_kernelIDF16_DF16_LN4vllm18Fp8KVCacheDataTypeE0EDF16_Li16ELi128ELi256ELb0ELi1EL8MFMAType0EEvPKT_PKT0_S8_ifPKiSA_SA_iPKfiiiPfSD_PS3_PT2_iSC_SC_
                                        ; -- End function
	.section	.AMDGPU.csdata,"",@progbits
; Kernel info:
; codeLenInByte = 7864
; NumSgprs: 100
; NumVgprs: 227
; ScratchSize: 0
; MemoryBound: 1
; FloatMode: 240
; IeeeMode: 1
; LDSByteSize: 17472 bytes/workgroup (compile time only)
; SGPRBlocks: 12
; VGPRBlocks: 28
; NumSGPRsForWavesPerEU: 100
; NumVGPRsForWavesPerEU: 227
; Occupancy: 6
; WaveLimiterHint : 1
; COMPUTE_PGM_RSRC2:SCRATCH_EN: 0
; COMPUTE_PGM_RSRC2:USER_SGPR: 13
; COMPUTE_PGM_RSRC2:TRAP_HANDLER: 0
; COMPUTE_PGM_RSRC2:TGID_X_EN: 1
; COMPUTE_PGM_RSRC2:TGID_Y_EN: 1
; COMPUTE_PGM_RSRC2:TGID_Z_EN: 1
; COMPUTE_PGM_RSRC2:TIDIG_COMP_CNT: 0
	.section	.text._Z39paged_attention_ll4mi_QKV_mfma16_kernelIDF16_DF16_LN4vllm18Fp8KVCacheDataTypeE0EDF16_Li16ELi128ELi256ELb0ELi2EL8MFMAType0EEvPKT_PKT0_S8_ifPKiSA_SA_iPKfiiiPfSD_PS3_PT2_iSC_SC_,"axG",@progbits,_Z39paged_attention_ll4mi_QKV_mfma16_kernelIDF16_DF16_LN4vllm18Fp8KVCacheDataTypeE0EDF16_Li16ELi128ELi256ELb0ELi2EL8MFMAType0EEvPKT_PKT0_S8_ifPKiSA_SA_iPKfiiiPfSD_PS3_PT2_iSC_SC_,comdat
	.protected	_Z39paged_attention_ll4mi_QKV_mfma16_kernelIDF16_DF16_LN4vllm18Fp8KVCacheDataTypeE0EDF16_Li16ELi128ELi256ELb0ELi2EL8MFMAType0EEvPKT_PKT0_S8_ifPKiSA_SA_iPKfiiiPfSD_PS3_PT2_iSC_SC_ ; -- Begin function _Z39paged_attention_ll4mi_QKV_mfma16_kernelIDF16_DF16_LN4vllm18Fp8KVCacheDataTypeE0EDF16_Li16ELi128ELi256ELb0ELi2EL8MFMAType0EEvPKT_PKT0_S8_ifPKiSA_SA_iPKfiiiPfSD_PS3_PT2_iSC_SC_
	.globl	_Z39paged_attention_ll4mi_QKV_mfma16_kernelIDF16_DF16_LN4vllm18Fp8KVCacheDataTypeE0EDF16_Li16ELi128ELi256ELb0ELi2EL8MFMAType0EEvPKT_PKT0_S8_ifPKiSA_SA_iPKfiiiPfSD_PS3_PT2_iSC_SC_
	.p2align	8
	.type	_Z39paged_attention_ll4mi_QKV_mfma16_kernelIDF16_DF16_LN4vllm18Fp8KVCacheDataTypeE0EDF16_Li16ELi128ELi256ELb0ELi2EL8MFMAType0EEvPKT_PKT0_S8_ifPKiSA_SA_iPKfiiiPfSD_PS3_PT2_iSC_SC_,@function
_Z39paged_attention_ll4mi_QKV_mfma16_kernelIDF16_DF16_LN4vllm18Fp8KVCacheDataTypeE0EDF16_Li16ELi128ELi256ELb0ELi2EL8MFMAType0EEvPKT_PKT0_S8_ifPKiSA_SA_iPKfiiiPfSD_PS3_PT2_iSC_SC_: ; @_Z39paged_attention_ll4mi_QKV_mfma16_kernelIDF16_DF16_LN4vllm18Fp8KVCacheDataTypeE0EDF16_Li16ELi128ELi256ELb0ELi2EL8MFMAType0EEvPKT_PKT0_S8_ifPKiSA_SA_iPKfiiiPfSD_PS3_PT2_iSC_SC_
; %bb.0:
	s_load_b64 s[2:3], s[0:1], 0x30
	s_mov_b32 s34, s13
	s_waitcnt lgkmcnt(0)
	s_cmp_lg_u64 s[2:3], 0
	s_cselect_b32 s8, -1, 0
	s_ashr_i32 s35, s13, 31
	s_cmp_eq_u64 s[2:3], 0
	s_cbranch_scc1 .LBB303_3
; %bb.1:
	s_lshl_b64 s[4:5], s[34:35], 2
	s_delay_alu instid0(SALU_CYCLE_1) | instskip(SKIP_4) | instid1(SALU_CYCLE_1)
	s_add_u32 s4, s2, s4
	s_addc_u32 s5, s3, s5
	s_load_b64 s[4:5], s[4:5], 0x0
	s_waitcnt lgkmcnt(0)
	s_sub_i32 s4, s5, s4
	s_cmp_eq_u32 s4, 1
	s_cselect_b32 s4, -1, 0
	s_delay_alu instid0(SALU_CYCLE_1)
	s_and_not1_b32 vcc_lo, exec_lo, s4
	s_cbranch_vccz .LBB303_4
.LBB303_2:
	s_endpgm
.LBB303_3:
.LBB303_4:
	s_load_b64 s[4:5], s[0:1], 0x28
	s_lshl_b64 s[6:7], s[34:35], 2
	s_waitcnt lgkmcnt(0)
	s_add_u32 s4, s4, s6
	s_addc_u32 s5, s5, s7
	s_lshl_b32 s35, s14, 8
	s_load_b32 s30, s[4:5], 0x0
	s_waitcnt lgkmcnt(0)
	s_cmp_ge_i32 s35, s30
	s_cbranch_scc1 .LBB303_2
; %bb.5:
	s_clause 0x1
	s_load_b128 s[20:23], s[0:1], 0x8
	s_load_b64 s[4:5], s[0:1], 0x20
	s_and_not1_b32 vcc_lo, exec_lo, s8
	s_cbranch_vccnz .LBB303_7
; %bb.6:
	s_add_u32 s2, s2, s6
	s_addc_u32 s3, s3, s7
	s_load_b32 s3, s[2:3], 0x0
	s_branch .LBB303_8
.LBB303_7:
	s_mov_b32 s3, s34
.LBB303_8:
	s_load_b128 s[16:19], s[0:1], 0x48
	v_and_b32_e32 v150, 15, v0
	v_bfe_u32 v149, v0, 4, 1
	s_lshl_b32 s31, s15, 1
	v_and_b32_e32 v151, 31, v0
	v_and_b32_e32 v148, 1, v0
	v_lshlrev_b32_e32 v1, 3, v150
	v_cmp_gt_u32_e64 s2, 32, v0
	v_or_b32_e32 v147, s31, v149
	v_lshlrev_b32_e32 v146, 6, v149
	s_delay_alu instid0(VALU_DEP_4) | instskip(NEXT) | instid1(VALU_DEP_4)
	v_lshlrev_b32_e32 v145, 1, v1
	s_and_saveexec_b32 s6, s2
	s_cbranch_execz .LBB303_10
; %bb.9:
	s_load_b64 s[8:9], s[0:1], 0x0
	v_lshlrev_b32_e32 v1, 7, v147
	s_waitcnt lgkmcnt(0)
	s_mul_hi_i32 s11, s3, s16
	s_mul_i32 s10, s3, s16
	v_lshlrev_b32_e32 v5, 10, v150
	s_lshl_b64 s[10:11], s[10:11], 1
	v_ashrrev_i32_e32 v2, 31, v1
	v_lshlrev_b32_e32 v6, 10, v148
	s_delay_alu instid0(VALU_DEP_3) | instskip(NEXT) | instid1(VALU_DEP_3)
	v_and_b32_e32 v5, 0x3800, v5
	v_lshlrev_b64 v[1:2], 1, v[1:2]
	s_delay_alu instid0(VALU_DEP_2) | instskip(SKIP_2) | instid1(VALU_DEP_2)
	v_or3_b32 v5, v5, v6, v146
	s_add_u32 s3, s8, s10
	s_addc_u32 s7, s9, s11
	v_add_co_u32 v1, vcc_lo, s3, v1
	s_delay_alu instid0(VALU_DEP_3) | instskip(NEXT) | instid1(VALU_DEP_2)
	v_add_co_ci_u32_e32 v2, vcc_lo, s7, v2, vcc_lo
	v_add_co_u32 v1, vcc_lo, v1, v145
	s_delay_alu instid0(VALU_DEP_2)
	v_add_co_ci_u32_e32 v2, vcc_lo, 0, v2, vcc_lo
	global_load_b128 v[1:4], v[1:2], off
	s_waitcnt vmcnt(0)
	ds_store_b128 v5, v[1:4]
.LBB303_10:
	s_or_b32 exec_lo, exec_lo, s6
	v_and_b32_e32 v1, 0xef, v0
	s_waitcnt lgkmcnt(0)
	s_add_i32 s3, s30, 15
	s_clause 0x1
	s_load_b32 s6, s[0:1], 0x38
	s_load_b32 s33, s[0:1], 0x98
	s_ashr_i32 s7, s3, 31
	v_add_nc_u32_e32 v1, s35, v1
	s_lshr_b32 s7, s7, 28
	s_load_b32 s36, s[0:1], 0x1c
	s_add_i32 s3, s3, s7
	s_waitcnt lgkmcnt(0)
	v_ashrrev_i32_e32 v2, 31, v1
	v_cmp_gt_i32_e32 vcc_lo, s30, v1
	s_ashr_i32 s3, s3, 4
	s_barrier
	s_add_i32 s3, s3, -1
	v_lshrrev_b32_e32 v3, 28, v2
	v_or_b32_e32 v2, 16, v1
	buffer_gl0_inv
	v_lshlrev_b32_e32 v153, 6, v148
	v_lshrrev_b32_e32 v152, 5, v0
	v_add_nc_u32_e32 v4, v1, v3
	v_add_nc_u32_e32 v3, v2, v3
	s_mul_i32 s6, s34, s6
	v_lshlrev_b32_e32 v125, 5, v150
	s_ashr_i32 s7, s6, 31
	v_ashrrev_i32_e32 v4, 4, v4
	v_ashrrev_i32_e32 v3, 4, v3
	s_lshl_b64 s[6:7], s[6:7], 2
	s_delay_alu instid0(SALU_CYCLE_1) | instskip(NEXT) | instid1(VALU_DEP_2)
	s_add_u32 s16, s4, s6
	v_cndmask_b32_e32 v1, s3, v4, vcc_lo
	v_cmp_gt_i32_e32 vcc_lo, s30, v2
	s_addc_u32 s37, s5, s7
	s_mul_i32 s4, s15, s18
	s_delay_alu instid0(SALU_CYCLE_1) | instskip(SKIP_3) | instid1(SALU_CYCLE_1)
	s_ashr_i32 s5, s4, 31
	v_cndmask_b32_e32 v3, s3, v3, vcc_lo
	v_ashrrev_i32_e32 v2, 31, v1
	s_lshl_b64 s[12:13], s[4:5], 1
	s_add_u32 s26, s20, s12
	s_delay_alu instid0(VALU_DEP_2) | instskip(NEXT) | instid1(VALU_DEP_2)
	v_ashrrev_i32_e32 v4, 31, v3
	v_lshlrev_b64 v[1:2], 2, v[1:2]
	s_addc_u32 s27, s21, s13
	s_lshl_b32 s4, s14, 4
	s_delay_alu instid0(VALU_DEP_2) | instskip(SKIP_1) | instid1(VALU_DEP_2)
	v_lshlrev_b64 v[3:4], 2, v[3:4]
	s_ashr_i32 s5, s4, 31
	v_add_co_u32 v1, vcc_lo, s16, v1
	v_add_co_ci_u32_e32 v2, vcc_lo, s37, v2, vcc_lo
	s_delay_alu instid0(VALU_DEP_3) | instskip(NEXT) | instid1(VALU_DEP_4)
	v_add_co_u32 v3, vcc_lo, s16, v3
	v_add_co_ci_u32_e32 v4, vcc_lo, s37, v4, vcc_lo
	s_lshl_b64 s[4:5], s[4:5], 2
	s_clause 0x1
	global_load_b32 v5, v[1:2], off
	global_load_b32 v6, v[3:4], off
	s_add_u32 s4, s16, s4
	s_addc_u32 s5, s37, s5
	s_or_b32 s6, s35, 16
	v_lshlrev_b32_e32 v3, 4, v0
	s_ashr_i32 s7, s6, 4
	s_cmp_lt_i32 s6, s30
	s_cselect_b32 s6, s7, s3
	s_delay_alu instid0(SALU_CYCLE_1) | instskip(NEXT) | instid1(SALU_CYCLE_1)
	s_ashr_i32 s7, s6, 31
	s_lshl_b64 s[6:7], s[6:7], 2
	s_delay_alu instid0(SALU_CYCLE_1) | instskip(SKIP_2) | instid1(SALU_CYCLE_1)
	s_add_u32 s6, s16, s6
	s_addc_u32 s7, s37, s7
	s_or_b32 s8, s35, 32
	s_ashr_i32 s9, s8, 4
	s_cmp_lt_i32 s8, s30
	s_cselect_b32 s8, s9, s3
	s_delay_alu instid0(SALU_CYCLE_1) | instskip(NEXT) | instid1(SALU_CYCLE_1)
	s_ashr_i32 s9, s8, 31
	s_lshl_b64 s[8:9], s[8:9], 2
	s_delay_alu instid0(SALU_CYCLE_1) | instskip(SKIP_2) | instid1(SALU_CYCLE_1)
	s_add_u32 s8, s16, s8
	s_addc_u32 s9, s37, s9
	s_or_b32 s10, s35, 48
	;; [unrolled: 10-line block ×4, first 2 shown]
	s_ashr_i32 s18, s15, 4
	s_cmp_lt_i32 s15, s30
	s_cselect_b32 s18, s18, s3
	s_delay_alu instid0(SALU_CYCLE_1) | instskip(NEXT) | instid1(SALU_CYCLE_1)
	s_ashr_i32 s19, s18, 31
	s_lshl_b64 s[18:19], s[18:19], 2
	s_delay_alu instid0(SALU_CYCLE_1)
	s_add_u32 s24, s16, s18
	s_addc_u32 s25, s37, s19
	s_clause 0x5
	s_load_b32 s38, s[4:5], 0x0
	s_load_b32 s29, s[6:7], 0x0
	s_load_b32 s28, s[8:9], 0x0
	s_load_b32 s19, s[10:11], 0x0
	s_load_b32 s18, s[20:21], 0x0
	s_load_b32 s15, s[24:25], 0x0
	s_waitcnt vmcnt(1)
	v_mad_i64_i32 v[1:2], null, v5, s17, 0
	v_and_b32_e32 v5, 0xf0, v3
	s_waitcnt vmcnt(0)
	v_mad_i64_i32 v[3:4], null, v6, s17, 0
	s_delay_alu instid0(VALU_DEP_2) | instskip(NEXT) | instid1(VALU_DEP_4)
	v_add_co_u32 v5, s4, s26, v5
	v_lshlrev_b64 v[1:2], 1, v[1:2]
	v_add_co_ci_u32_e64 v6, null, s27, 0, s4
	s_delay_alu instid0(VALU_DEP_4) | instskip(SKIP_1) | instid1(VALU_DEP_3)
	v_lshlrev_b64 v[3:4], 1, v[3:4]
	s_or_b32 s4, s35, 0x60
	v_add_co_u32 v121, vcc_lo, v5, v1
	s_delay_alu instid0(VALU_DEP_3) | instskip(NEXT) | instid1(VALU_DEP_3)
	v_add_co_ci_u32_e32 v122, vcc_lo, v6, v2, vcc_lo
	v_add_co_u32 v123, vcc_lo, v5, v3
	s_delay_alu instid0(VALU_DEP_4)
	v_add_co_ci_u32_e32 v124, vcc_lo, v6, v4, vcc_lo
	s_clause 0x1b
	global_load_b128 v[89:92], v[121:122], off
	global_load_b128 v[93:96], v[121:122], off offset:256
	global_load_b128 v[97:100], v[123:124], off
	global_load_b128 v[101:104], v[123:124], off offset:256
	global_load_b128 v[81:84], v[121:122], off offset:512
	;; [unrolled: 1-line block ×25, first 2 shown]
	ds_load_b128 v[105:108], v153
	ds_load_b128 v[109:112], v153 offset:1024
	ds_load_b128 v[113:116], v153 offset:2048
	;; [unrolled: 1-line block ×9, first 2 shown]
	s_clause 0x3
	global_load_b128 v[186:189], v[121:122], off offset:3584
	global_load_b128 v[190:193], v[121:122], off offset:3840
	;; [unrolled: 1-line block ×4, first 2 shown]
	s_ashr_i32 s5, s4, 4
	s_cmp_lt_i32 s4, s30
	ds_load_b128 v[202:205], v153 offset:10240
	ds_load_b128 v[206:209], v153 offset:11264
	s_cselect_b32 s4, s5, s3
	ds_load_b128 v[210:213], v153 offset:12288
	ds_load_b128 v[214:217], v153 offset:13312
	s_ashr_i32 s5, s4, 31
	s_delay_alu instid0(SALU_CYCLE_1) | instskip(NEXT) | instid1(SALU_CYCLE_1)
	s_lshl_b64 s[4:5], s[4:5], 2
	s_add_u32 s20, s16, s4
	s_addc_u32 s21, s37, s5
	s_or_b32 s4, s35, 0x70
	s_load_b32 s45, s[20:21], 0x0
	s_ashr_i32 s5, s4, 4
	s_cmp_lt_i32 s4, s30
	s_mov_b32 s4, 0
	s_cselect_b32 s6, s5, s3
	s_mov_b32 s5, s4
	s_ashr_i32 s7, s6, 31
	s_mov_b32 s9, s4
	s_lshl_b64 s[6:7], s[6:7], 2
	s_delay_alu instid0(SALU_CYCLE_1)
	s_add_u32 s24, s16, s6
	s_addc_u32 s25, s37, s7
	s_or_b32 s7, s35, 0x80
	s_load_b32 s46, s[24:25], 0x0
	s_ashr_i32 s8, s7, 4
	s_cmp_lt_i32 s7, s30
	s_mov_b32 s6, s4
	s_cselect_b32 s10, s8, s3
	s_mov_b32 s7, s4
	s_ashr_i32 s11, s10, 31
	s_mov_b32 s8, s4
	s_lshl_b64 s[26:27], s[10:11], 2
	s_mov_b32 s11, s4
	s_add_u32 s26, s16, s26
	s_addc_u32 s27, s37, s27
	s_or_b32 s39, s35, 0x90
	s_mov_b32 s10, s4
	s_ashr_i32 s40, s39, 4
	s_cmp_lt_i32 s39, s30
	v_dual_mov_b32 v136, s11 :: v_dual_mov_b32 v135, s10
	v_dual_mov_b32 v134, s9 :: v_dual_mov_b32 v133, s8
	v_dual_mov_b32 v132, s7 :: v_dual_mov_b32 v131, s6
	v_dual_mov_b32 v130, s5 :: v_dual_mov_b32 v129, s4
	s_cselect_b32 s4, s40, s3
	s_waitcnt lgkmcnt(0)
	s_mul_hi_i32 s7, s29, s17
	s_ashr_i32 s5, s4, 31
	s_mul_hi_i32 s11, s19, s17
	s_lshl_b64 s[4:5], s[4:5], 2
	s_delay_alu instid0(SALU_CYCLE_1)
	s_add_u32 s40, s16, s4
	s_addc_u32 s41, s37, s5
	s_or_b32 s4, s35, 0xa0
	s_load_b32 s41, s[40:41], 0x0
	s_ashr_i32 s5, s4, 4
	s_cmp_lt_i32 s4, s30
	s_mul_hi_i32 s21, s15, s17
	s_cselect_b32 s4, s5, s3
	s_delay_alu instid0(SALU_CYCLE_1) | instskip(NEXT) | instid1(SALU_CYCLE_1)
	s_ashr_i32 s5, s4, 31
	s_lshl_b64 s[4:5], s[4:5], 2
	s_delay_alu instid0(SALU_CYCLE_1)
	s_add_u32 s42, s16, s4
	s_addc_u32 s43, s37, s5
	s_or_b32 s4, s35, 0xb0
	s_mul_hi_i32 s5, s38, s17
	s_ashr_i32 s6, s4, 4
	s_cmp_lt_i32 s4, s30
	s_mul_i32 s4, s38, s17
	s_cselect_b32 s8, s6, s3
	s_mul_i32 s6, s29, s17
	s_ashr_i32 s9, s8, 31
	s_load_b32 s40, s[42:43], 0x0
	s_lshl_b64 s[8:9], s[8:9], 2
	s_waitcnt lgkmcnt(0)
	s_mul_hi_i32 s43, s41, s17
	s_add_u32 s38, s16, s8
	s_addc_u32 s39, s37, s9
	s_or_b32 s8, s35, 0xc0
	s_mul_hi_i32 s9, s28, s17
	s_ashr_i32 s10, s8, 4
	s_cmp_lt_i32 s8, s30
	s_mul_i32 s8, s28, s17
	s_cselect_b32 s28, s10, s3
	s_mul_i32 s10, s19, s17
	s_ashr_i32 s29, s28, 31
	s_mul_hi_i32 s19, s18, s17
	s_lshl_b64 s[28:29], s[28:29], 2
	s_mul_i32 s18, s18, s17
	s_add_u32 s28, s16, s28
	s_addc_u32 s29, s37, s29
	s_or_b32 s44, s35, 0xd0
	s_delay_alu instid0(SALU_CYCLE_1)
	s_ashr_i32 s20, s44, 4
	s_cmp_lt_i32 s44, s30
	s_load_b32 s44, s[26:27], 0x0
	s_cselect_b32 s24, s20, s3
	s_mul_i32 s20, s15, s17
	s_ashr_i32 s25, s24, 31
	s_mul_hi_i32 s27, s46, s17
	s_lshl_b64 s[24:25], s[24:25], 2
	s_mul_i32 s26, s46, s17
	s_add_u32 s24, s16, s24
	s_addc_u32 s25, s37, s25
	s_or_b32 s42, s35, 0xe0
	s_clause 0x2
	s_load_b32 s39, s[38:39], 0x0
	s_load_b32 s38, s[28:29], 0x0
	;; [unrolled: 1-line block ×3, first 2 shown]
	s_ashr_i32 s47, s42, 4
	s_cmp_lt_i32 s42, s30
	s_mul_hi_i32 s25, s45, s17
	s_mul_i32 s24, s45, s17
	s_mul_i32 s42, s41, s17
	s_mul_hi_i32 s41, s40, s17
	s_mul_i32 s40, s40, s17
	s_waitcnt lgkmcnt(0)
	s_mul_hi_i32 s29, s44, s17
	s_mul_i32 s28, s44, s17
	s_cselect_b32 s44, s47, s3
	s_delay_alu instid0(SALU_CYCLE_1) | instskip(NEXT) | instid1(SALU_CYCLE_1)
	s_ashr_i32 s45, s44, 31
	s_lshl_b64 s[44:45], s[44:45], 2
	s_delay_alu instid0(SALU_CYCLE_1)
	s_add_u32 s44, s16, s44
	s_addc_u32 s45, s37, s45
	s_or_b32 s46, s35, 0xf0
	s_mul_hi_i32 s51, s15, s17
	s_ashr_i32 s48, s46, 4
	s_cmp_lt_i32 s46, s30
	s_mul_i32 s50, s15, s17
	s_cselect_b32 s48, s48, s3
	s_mul_hi_i32 s47, s39, s17
	s_ashr_i32 s49, s48, 31
	s_mul_i32 s46, s39, s17
	s_lshl_b64 s[48:49], s[48:49], 2
	s_mul_hi_i32 s39, s38, s17
	s_add_u32 s48, s16, s48
	s_addc_u32 s49, s37, s49
	s_add_u32 s3, s22, s12
	s_addc_u32 s15, s23, s13
	s_lshl_b64 s[4:5], s[4:5], 1
	s_lshl_b64 s[6:7], s[6:7], 1
	;; [unrolled: 1-line block ×12, first 2 shown]
	s_mul_i32 s38, s38, s17
	s_delay_alu instid0(SALU_CYCLE_1)
	s_lshl_b64 s[38:39], s[38:39], 1
	s_waitcnt vmcnt(30)
	v_wmma_f32_16x16x16_f16 v[137:144], v[89:96], v[105:112], v[129:136]
	v_lshl_or_b32 v89, v152, 9, v125
	s_waitcnt vmcnt(28)
	v_wmma_f32_16x16x16_f16 v[129:136], v[97:104], v[105:112], v[129:136]
	s_waitcnt vmcnt(26)
	v_wmma_f32_16x16x16_f16 v[137:144], v[81:88], v[113:120], v[137:144]
	v_add_co_u32 v228, s3, s3, v89
	s_delay_alu instid0(VALU_DEP_1) | instskip(SKIP_2) | instid1(VALU_DEP_3)
	v_add_co_ci_u32_e64 v229, null, s15, 0, s3
	s_waitcnt vmcnt(24)
	v_wmma_f32_16x16x16_f16 v[129:136], v[73:80], v[113:120], v[129:136]
	v_add_co_u32 v89, vcc_lo, v228, s4
	s_delay_alu instid0(VALU_DEP_3)
	v_add_co_ci_u32_e32 v90, vcc_lo, s5, v229, vcc_lo
	v_add_co_u32 v81, vcc_lo, v228, s6
	v_add_co_ci_u32_e32 v82, vcc_lo, s7, v229, vcc_lo
	v_add_co_u32 v83, vcc_lo, v228, s8
	;; [unrolled: 2-line block ×7, first 2 shown]
	v_add_co_ci_u32_e32 v219, vcc_lo, s23, v229, vcc_lo
	s_clause 0x1
	s_load_b32 s3, s[44:45], 0x0
	s_load_b32 s15, s[48:49], 0x0
	v_add_co_u32 v220, vcc_lo, v228, s24
	v_add_co_ci_u32_e32 v221, vcc_lo, s25, v229, vcc_lo
	v_add_co_u32 v222, vcc_lo, v228, s26
	s_waitcnt vmcnt(22)
	v_wmma_f32_16x16x16_f16 v[137:144], v[65:72], v[162:169], v[137:144]
	v_add_co_ci_u32_e32 v223, vcc_lo, s27, v229, vcc_lo
	v_add_co_u32 v224, vcc_lo, v228, s28
	s_waitcnt vmcnt(20)
	v_wmma_f32_16x16x16_f16 v[129:136], v[57:64], v[162:169], v[129:136]
	;; [unrolled: 4-line block ×3, first 2 shown]
	v_add_co_ci_u32_e32 v227, vcc_lo, s41, v229, vcc_lo
	s_waitcnt vmcnt(16)
	v_wmma_f32_16x16x16_f16 v[129:136], v[41:48], v[170:177], v[129:136]
	v_add_co_u32 v41, vcc_lo, v228, s38
	s_waitcnt vmcnt(14)
	v_wmma_f32_16x16x16_f16 v[137:144], v[25:32], v[178:185], v[137:144]
	v_add_co_ci_u32_e32 v42, vcc_lo, s39, v229, vcc_lo
	s_lshl_b64 s[4:5], s[50:51], 1
	s_clause 0x11
	global_load_b128 v[121:124], v[89:90], off
	global_load_b128 v[125:128], v[89:90], off offset:16
	global_load_b128 v[113:116], v[81:82], off
	global_load_b128 v[117:120], v[81:82], off offset:16
	;; [unrolled: 2-line block ×9, first 2 shown]
	s_waitcnt vmcnt(30)
	v_wmma_f32_16x16x16_f16 v[129:136], v[1:8], v[178:185], v[129:136]
	s_clause 0x5
	global_load_b128 v[49:52], v[222:223], off
	global_load_b128 v[53:56], v[222:223], off offset:16
	global_load_b128 v[25:28], v[224:225], off
	global_load_b128 v[29:32], v[224:225], off offset:16
	;; [unrolled: 2-line block ×3, first 2 shown]
	s_waitcnt lgkmcnt(0)
	s_mul_hi_i32 s7, s3, s17
	s_mul_i32 s6, s3, s17
	s_waitcnt vmcnt(34)
	v_wmma_f32_16x16x16_f16 v[137:144], v[9:16], v[202:209], v[137:144]
	s_clause 0x1
	global_load_b128 v[9:12], v[41:42], off
	global_load_b128 v[13:16], v[41:42], off offset:16
	v_add_co_u32 v41, vcc_lo, v228, s4
	v_add_co_ci_u32_e32 v42, vcc_lo, s5, v229, vcc_lo
	s_lshl_b64 s[4:5], s[6:7], 1
	s_mul_hi_i32 s7, s15, s17
	s_mul_i32 s6, s15, s17
	v_add_co_u32 v45, vcc_lo, v228, s4
	v_add_co_ci_u32_e32 v46, vcc_lo, s5, v229, vcc_lo
	s_lshl_b64 s[4:5], s[6:7], 1
	s_waitcnt vmcnt(34)
	v_wmma_f32_16x16x16_f16 v[129:136], v[33:40], v[202:209], v[129:136]
	v_add_co_u32 v162, vcc_lo, v228, s4
	v_add_co_ci_u32_e32 v163, vcc_lo, s5, v229, vcc_lo
	s_clause 0x3
	global_load_b128 v[33:36], v[41:42], off
	global_load_b128 v[37:40], v[41:42], off offset:16
	global_load_b128 v[41:44], v[45:46], off
	global_load_b128 v[45:48], v[45:46], off offset:16
	s_waitcnt vmcnt(36)
	v_wmma_f32_16x16x16_f16 v[137:144], v[17:24], v[210:217], v[137:144]
	s_clause 0x1
	global_load_b128 v[17:20], v[162:163], off
	global_load_b128 v[21:24], v[162:163], off offset:16
	s_waitcnt vmcnt(36)
	v_wmma_f32_16x16x16_f16 v[129:136], v[154:161], v[210:217], v[129:136]
	ds_load_b128 v[154:157], v153 offset:14336
	ds_load_b128 v[158:161], v153 offset:15360
	v_and_b32_e32 v162, 0xe0, v0
	v_mbcnt_lo_u32_b32 v163, -1, 0
	s_waitcnt vmcnt(0) lgkmcnt(0)
	s_barrier
	buffer_gl0_inv
	v_add_nc_u32_e32 v162, s35, v162
	v_xor_b32_e32 v153, 16, v163
	s_delay_alu instid0(VALU_DEP_2) | instskip(NEXT) | instid1(VALU_DEP_2)
	v_or_b32_e32 v162, v162, v149
	v_cmp_gt_i32_e32 vcc_lo, 32, v153
	s_delay_alu instid0(VALU_DEP_2)
	v_or_b32_e32 v164, 4, v162
	v_or_b32_e32 v165, 6, v162
	v_or_b32_e32 v166, 8, v162
	v_or_b32_e32 v167, 10, v162
	v_wmma_f32_16x16x16_f16 v[137:144], v[186:193], v[154:161], v[137:144]
	v_wmma_f32_16x16x16_f16 v[129:136], v[194:201], v[154:161], v[129:136]
	v_cndmask_b32_e32 v153, v163, v153, vcc_lo
	v_or_b32_e32 v163, 2, v162
	v_cmp_gt_i32_e32 vcc_lo, s30, v162
	v_mul_f32_e32 v160, s36, v138
	v_dual_mul_f32 v178, s36, v136 :: v_dual_mul_f32 v161, s36, v137
	s_delay_alu instid0(VALU_DEP_4) | instskip(SKIP_2) | instid1(VALU_DEP_4)
	v_cmp_gt_i32_e64 s3, s30, v163
	v_dual_mul_f32 v158, s36, v140 :: v_dual_mul_f32 v159, s36, v139
	v_mul_f32_e32 v184, s36, v130
	v_cndmask_b32_e32 v161, 0xff7fffff, v161, vcc_lo
	s_delay_alu instid0(VALU_DEP_4)
	v_cndmask_b32_e64 v160, 0xff7fffff, v160, s3
	v_cmp_gt_i32_e64 s4, s30, v164
	v_cmp_gt_i32_e64 s5, s30, v165
	v_or_b32_e32 v168, 12, v162
	v_or_b32_e32 v169, 14, v162
	v_dual_mul_f32 v156, s36, v142 :: v_dual_mul_f32 v157, s36, v141
	v_mul_f32_e32 v182, s36, v132
	v_cndmask_b32_e64 v159, 0xff7fffff, v159, s4
	v_cndmask_b32_e64 v158, 0xff7fffff, v158, s5
	v_max3_f32 v160, v161, 0xff7fffff, v160
	v_cmp_gt_i32_e64 s6, s30, v166
	v_cmp_gt_i32_e64 s7, s30, v167
	v_or_b32_e32 v170, 16, v162
	v_or_b32_e32 v171, 18, v162
	v_dual_mul_f32 v154, s36, v144 :: v_dual_mul_f32 v155, s36, v143
	v_mul_f32_e32 v180, s36, v134
	v_cndmask_b32_e64 v157, 0xff7fffff, v157, s6
	v_cndmask_b32_e64 v156, 0xff7fffff, v156, s7
	v_max3_f32 v158, v160, v159, v158
	v_cmp_gt_i32_e64 s8, s30, v168
	v_cmp_gt_i32_e64 s9, s30, v169
	v_or_b32_e32 v172, 20, v162
	v_or_b32_e32 v173, 22, v162
	v_mul_f32_e32 v185, s36, v129
	v_cndmask_b32_e64 v155, 0xff7fffff, v155, s8
	v_cndmask_b32_e64 v154, 0xff7fffff, v154, s9
	v_max3_f32 v156, v158, v157, v156
	v_cmp_gt_i32_e64 s10, s30, v170
	v_cmp_gt_i32_e64 s11, s30, v171
	v_or_b32_e32 v174, 24, v162
	v_or_b32_e32 v175, 26, v162
	;; [unrolled: 8-line block ×3, first 2 shown]
	v_mul_f32_e32 v181, s36, v133
	v_cndmask_b32_e64 v155, 0xff7fffff, v183, s12
	v_cndmask_b32_e64 v156, 0xff7fffff, v182, s13
	v_max3_f32 v154, v154, v157, v158
	v_cmp_gt_i32_e64 s15, s30, v174
	v_cmp_gt_i32_e64 s16, s30, v175
	v_mul_f32_e32 v179, s36, v135
	v_cmp_gt_i32_e64 s17, s30, v176
	v_max3_f32 v154, v154, v155, v156
	v_cndmask_b32_e64 v157, 0xff7fffff, v181, s15
	v_cndmask_b32_e64 v158, 0xff7fffff, v180, s16
	v_cmp_gt_i32_e64 s18, s30, v177
	v_cndmask_b32_e64 v155, 0xff7fffff, v179, s17
	v_lshlrev_b32_e32 v163, 2, v153
	s_delay_alu instid0(VALU_DEP_4) | instskip(NEXT) | instid1(VALU_DEP_4)
	v_max3_f32 v154, v154, v157, v158
	v_cndmask_b32_e64 v156, 0xff7fffff, v178, s18
	s_delay_alu instid0(VALU_DEP_1) | instskip(SKIP_3) | instid1(VALU_DEP_1)
	v_max3_f32 v153, v154, v155, v156
	ds_bpermute_b32 v154, v163, v153
	s_waitcnt lgkmcnt(0)
	v_max_f32_e32 v154, v154, v154
	v_max_f32_e32 v162, v153, v154
	s_delay_alu instid0(VALU_DEP_1) | instskip(SKIP_4) | instid1(VALU_DEP_4)
	v_fma_f32 v137, s36, v137, -v162
	v_fma_f32 v138, s36, v138, -v162
	;; [unrolled: 1-line block ×5, first 2 shown]
	v_dual_mul_f32 v137, 0x3fb8aa3b, v137 :: v_dual_mul_f32 v138, 0x3fb8aa3b, v138
	s_delay_alu instid0(VALU_DEP_3) | instskip(SKIP_1) | instid1(VALU_DEP_3)
	v_dual_mul_f32 v132, 0x3fb8aa3b, v132 :: v_dual_mul_f32 v139, 0x3fb8aa3b, v139
	v_fma_f32 v141, s36, v141, -v162
	v_exp_f32_e32 v137, v137
	s_delay_alu instid0(VALU_DEP_3)
	v_exp_f32_e32 v138, v138
	v_mul_f32_e32 v140, 0x3fb8aa3b, v140
	v_exp_f32_e32 v153, v139
	v_fma_f32 v134, s36, v134, -v162
	v_exp_f32_e32 v132, v132
	v_mul_f32_e32 v141, 0x3fb8aa3b, v141
	v_exp_f32_e32 v140, v140
	v_fma_f32 v143, s36, v143, -v162
	v_dual_mul_f32 v134, 0x3fb8aa3b, v134 :: v_dual_cndmask_b32 v139, 0, v137
	v_fma_f32 v137, s36, v142, -v162
	v_cndmask_b32_e64 v138, 0, v138, s3
	v_exp_f32_e32 v154, v141
	v_cndmask_b32_e64 v141, 0, v153, s4
	v_add_f32_e32 v142, 0, v139
	v_cndmask_b32_e64 v156, 0, v132, s13
	v_fma_f32 v132, s36, v136, -v162
	v_mul_f32_e32 v137, 0x3fb8aa3b, v137
	v_fma_f32 v144, s36, v144, -v162
	v_dual_add_f32 v142, v142, v138 :: v_dual_mul_f32 v143, 0x3fb8aa3b, v143
	s_delay_alu instid0(VALU_DEP_4) | instskip(NEXT) | instid1(VALU_DEP_4)
	v_mul_f32_e32 v132, 0x3fb8aa3b, v132
	v_exp_f32_e32 v137, v137
	v_cndmask_b32_e64 v140, 0, v140, s5
	s_delay_alu instid0(VALU_DEP_3)
	v_add_f32_e32 v142, v142, v141
	v_fma_f32 v129, s36, v129, -v162
	v_mul_f32_e32 v144, 0x3fb8aa3b, v144
	v_exp_f32_e32 v153, v143
	v_cndmask_b32_e64 v143, 0, v154, s6
	v_add_f32_e32 v154, v142, v140
	v_fma_f32 v130, s36, v130, -v162
	v_mul_f32_e32 v129, 0x3fb8aa3b, v129
	v_exp_f32_e32 v144, v144
	v_cndmask_b32_e64 v142, 0, v137, s7
	v_add_f32_e32 v137, v154, v143
	v_fma_f32 v131, s36, v131, -v162
	v_mul_f32_e32 v130, 0x3fb8aa3b, v130
	v_exp_f32_e32 v129, v129
	v_cndmask_b32_e64 v153, 0, v153, s8
	v_add_f32_e32 v137, v137, v142
	v_mul_f32_e32 v131, 0x3fb8aa3b, v131
	v_exp_f32_e32 v130, v130
	v_cndmask_b32_e64 v144, 0, v144, s9
	v_fma_f32 v133, s36, v133, -v162
	v_add_f32_e32 v137, v137, v153
	v_exp_f32_e32 v131, v131
	s_mov_b32 s3, exec_lo
	v_cndmask_b32_e64 v155, 0, v129, s10
	v_mul_f32_e32 v133, 0x3fb8aa3b, v133
	v_add_f32_e32 v129, v137, v144
	s_delay_alu instid0(TRANS32_DEP_2) | instskip(SKIP_1) | instid1(VALU_DEP_4)
	v_cndmask_b32_e64 v154, 0, v130, s11
	v_fma_f32 v130, s36, v135, -v162
	v_exp_f32_e32 v133, v133
	s_delay_alu instid0(VALU_DEP_3) | instskip(NEXT) | instid1(TRANS32_DEP_2)
	v_add_f32_e32 v129, v129, v155
	v_cndmask_b32_e64 v157, 0, v131, s12
	v_exp_f32_e32 v131, v134
	v_mul_f32_e32 v130, 0x3fb8aa3b, v130
	s_delay_alu instid0(VALU_DEP_3) | instskip(NEXT) | instid1(VALU_DEP_2)
	v_add_f32_e32 v129, v129, v154
	v_exp_f32_e32 v130, v130
	s_delay_alu instid0(TRANS32_DEP_3) | instskip(NEXT) | instid1(VALU_DEP_2)
	v_cndmask_b32_e64 v159, 0, v133, s15
	v_add_f32_e32 v129, v129, v157
	s_waitcnt_depctr 0xfff
	v_cndmask_b32_e64 v158, 0, v131, s16
	v_exp_f32_e32 v131, v132
	v_add_f32_e32 v129, v129, v156
	v_cndmask_b32_e64 v161, 0, v130, s17
	s_delay_alu instid0(VALU_DEP_2) | instskip(SKIP_3) | instid1(VALU_DEP_1)
	v_add_f32_e32 v129, v129, v159
	s_waitcnt_depctr 0xfff
	v_cndmask_b32_e64 v160, 0, v131, s18
	v_add_f32_e32 v129, v129, v158
	v_add_f32_e32 v129, v129, v161
	s_delay_alu instid0(VALU_DEP_1)
	v_add_f32_e32 v129, v129, v160
	ds_bpermute_b32 v130, v163, v129
	v_cmpx_gt_u32_e32 16, v151
	s_cbranch_execz .LBB303_12
; %bb.11:
	v_mul_u32_u24_e32 v131, 0x44, v152
	s_delay_alu instid0(VALU_DEP_1) | instskip(SKIP_1) | instid1(VALU_DEP_1)
	v_lshl_add_u32 v131, v150, 2, v131
	s_waitcnt lgkmcnt(0)
	v_dual_add_f32 v129, v129, v130 :: v_dual_add_nc_u32 v130, 0x4000, v131
	ds_store_2addr_b32 v130, v162, v129 offset1:136
.LBB303_12:
	s_or_b32 exec_lo, exec_lo, s3
	v_lshlrev_b32_e32 v129, 2, v150
	s_load_b32 s35, s[0:1], 0x94
	s_waitcnt lgkmcnt(0)
	s_barrier
	buffer_gl0_inv
	v_add_nc_u32_e32 v135, 0x4000, v129
	v_cmp_eq_u32_e32 vcc_lo, 1, v152
	v_cmp_eq_u32_e64 s3, 2, v152
	v_cmp_eq_u32_e64 s4, 3, v152
	v_cmp_eq_u32_e64 s5, 4, v152
	ds_load_2addr_b32 v[129:130], v135 offset1:17
	ds_load_2addr_b32 v[131:132], v135 offset0:34 offset1:51
	ds_load_2addr_b32 v[133:134], v135 offset0:68 offset1:85
	;; [unrolled: 1-line block ×4, first 2 shown]
	v_cmp_eq_u32_e64 s6, 5, v152
	v_cmp_eq_u32_e64 s7, 7, v152
	s_waitcnt lgkmcnt(4)
	v_max3_f32 v136, v129, 0xff7fffff, v130
	s_waitcnt lgkmcnt(3)
	s_delay_alu instid0(VALU_DEP_1) | instskip(SKIP_1) | instid1(VALU_DEP_1)
	v_max3_f32 v136, v136, v131, v132
	s_waitcnt lgkmcnt(2)
	v_max3_f32 v136, v136, v133, v134
	s_waitcnt lgkmcnt(1)
	s_delay_alu instid0(VALU_DEP_1) | instskip(NEXT) | instid1(VALU_DEP_1)
	v_max3_f32 v136, v136, v162, v163
	v_sub_f32_e32 v166, v132, v136
	v_sub_f32_e32 v129, v129, v136
	;; [unrolled: 1-line block ×4, first 2 shown]
	s_delay_alu instid0(VALU_DEP_4) | instskip(NEXT) | instid1(VALU_DEP_4)
	v_dual_sub_f32 v133, v133, v136 :: v_dual_mul_f32 v166, 0x3fb8aa3b, v166
	v_mul_f32_e32 v151, 0x3fb8aa3b, v129
	s_delay_alu instid0(VALU_DEP_3) | instskip(NEXT) | instid1(VALU_DEP_3)
	v_mul_f32_e32 v167, 0x3fb8aa3b, v131
	v_mul_f32_e32 v169, 0x3fb8aa3b, v133
	s_delay_alu instid0(VALU_DEP_4) | instskip(NEXT) | instid1(VALU_DEP_3)
	v_exp_f32_e32 v166, v166
	v_exp_f32_e32 v151, v151
	v_mul_f32_e32 v137, 0x3fb8aa3b, v137
	v_exp_f32_e32 v167, v167
	s_delay_alu instid0(VALU_DEP_1) | instskip(SKIP_1) | instid1(TRANS32_DEP_3)
	v_exp_f32_e32 v168, v137
	s_waitcnt lgkmcnt(0)
	v_fma_f32 v137, v151, v164, 0
	v_sub_f32_e32 v164, v134, v136
	ds_load_2addr_b32 v[129:130], v135 offset0:170 offset1:187
	ds_load_2addr_b32 v[131:132], v135 offset0:204 offset1:221
	;; [unrolled: 1-line block ×3, first 2 shown]
	v_sub_f32_e32 v135, v162, v136
	v_dual_fmac_f32 v137, v168, v165 :: v_dual_mul_f32 v162, 0x3fb8aa3b, v164
	v_exp_f32_e32 v164, v169
	s_waitcnt lgkmcnt(0)
	s_delay_alu instid0(VALU_DEP_2)
	v_mul_f32_e32 v135, 0x3fb8aa3b, v135
	s_barrier
	v_exp_f32_e32 v162, v162
	buffer_gl0_inv
	v_exp_f32_e32 v135, v135
	v_fmac_f32_e32 v137, v167, v129
	v_sub_f32_e32 v129, v163, v136
	s_delay_alu instid0(VALU_DEP_2) | instskip(NEXT) | instid1(VALU_DEP_2)
	v_dual_fmac_f32 v137, v166, v130 :: v_dual_cndmask_b32 v130, v151, v168
	v_mul_f32_e32 v129, 0x3fb8aa3b, v129
	s_delay_alu instid0(VALU_DEP_2) | instskip(NEXT) | instid1(VALU_DEP_2)
	v_fmac_f32_e32 v137, v164, v131
	v_exp_f32_e32 v163, v129
	s_delay_alu instid0(VALU_DEP_1)
	v_fmac_f32_e32 v137, v162, v132
	s_delay_alu instid0(TRANS32_DEP_2) | instid1(VALU_DEP_1)
	v_fmac_f32_e32 v137, v135, v133
	v_lshlrev_b32_e32 v133, 6, v150
	s_waitcnt_depctr 0xfff
	v_fmac_f32_e32 v137, v163, v134
	v_lshl_or_b32 v134, v152, 11, v133
	s_delay_alu instid0(VALU_DEP_2) | instskip(NEXT) | instid1(VALU_DEP_1)
	v_add_f32_e32 v165, 0x358637bd, v137
	v_div_scale_f32 v169, null, v165, v165, 1.0
	v_div_scale_f32 v151, vcc_lo, 1.0, v165, 1.0
	s_delay_alu instid0(VALU_DEP_2) | instskip(SKIP_2) | instid1(VALU_DEP_1)
	v_rcp_f32_e32 v170, v169
	s_waitcnt_depctr 0xfff
	v_fma_f32 v129, -v169, v170, 1.0
	v_fmac_f32_e32 v170, v129, v170
	v_cndmask_b32_e64 v129, v130, v167, s3
	v_cmp_eq_u32_e64 s3, 6, v152
	s_delay_alu instid0(VALU_DEP_3) | instskip(NEXT) | instid1(VALU_DEP_3)
	v_mul_f32_e32 v167, v151, v170
	v_cndmask_b32_e64 v130, v129, v166, s4
	v_lshlrev_b32_e32 v129, 2, v149
	s_delay_alu instid0(VALU_DEP_3) | instskip(NEXT) | instid1(VALU_DEP_3)
	v_fma_f32 v131, -v169, v167, v151
	v_cndmask_b32_e64 v150, v130, v164, s5
	s_delay_alu instid0(VALU_DEP_3)
	v_or_b32_e32 v130, 1, v129
	v_or_b32_e32 v132, 2, v129
	v_cmp_eq_u32_e64 s4, 1, v129
	v_fmac_f32_e32 v167, v131, v170
	v_cndmask_b32_e64 v150, v150, v162, s6
	v_or_b32_e32 v131, 3, v129
	v_cmp_eq_u32_e64 s9, 1, v130
	v_cmp_eq_u32_e64 s10, 1, v132
	v_fma_f32 v151, -v169, v167, v151
	v_cndmask_b32_e64 v135, v150, v135, s3
	v_cmp_eq_u32_e64 s11, 1, v131
	v_cmp_eq_u32_e64 s5, 2, v129
	;; [unrolled: 1-line block ×3, first 2 shown]
	v_div_fmas_f32 v150, v151, v170, v167
	v_cndmask_b32_e64 v151, v135, v163, s7
	v_lshl_or_b32 v135, v149, 4, v134
	v_cmp_eq_u32_e64 s15, 2, v132
	v_cmp_eq_u32_e64 s16, 2, v131
	v_div_fixup_f32 v150, v150, v165, 1.0
	v_cmp_eq_u32_e32 vcc_lo, 3, v129
	v_cmp_eq_u32_e64 s13, 3, v130
	v_cmp_eq_u32_e64 s18, 3, v131
	;; [unrolled: 1-line block ×3, first 2 shown]
	v_mul_f32_e32 v166, v151, v150
	v_cmp_eq_u32_e64 s17, 3, v132
	v_cmp_eq_u32_e64 s19, 4, v130
	;; [unrolled: 1-line block ×4, first 2 shown]
	v_fma_mixlo_f16 v149, v166, v139, 0
	v_fma_mixlo_f16 v150, v166, v141, 0
	;; [unrolled: 1-line block ×8, first 2 shown]
	v_fma_mixhi_f16 v149, v166, v138, 0
	v_fma_mixhi_f16 v150, v166, v140, 0
	v_fma_mixhi_f16 v151, v166, v142, 0
	v_fma_mixhi_f16 v152, v166, v144, 0
	v_fma_mixhi_f16 v162, v166, v154, 0
	v_fma_mixhi_f16 v163, v166, v156, 0
	v_fma_mixhi_f16 v164, v166, v158, 0
	v_fma_mixhi_f16 v165, v166, v160, 0
	ds_store_b128 v135, v[149:152]
	ds_store_b128 v135, v[162:165] offset:1024
	s_waitcnt lgkmcnt(0)
	s_barrier
	buffer_gl0_inv
	ds_load_b128 v[138:141], v134
	ds_load_b128 v[149:152], v134 offset:16
	ds_load_b128 v[153:156], v134 offset:1024
	;; [unrolled: 1-line block ×3, first 2 shown]
	v_cmp_eq_u32_e64 s20, 5, v130
	v_cmp_eq_u32_e64 s21, 4, v132
	;; [unrolled: 1-line block ×12, first 2 shown]
	s_waitcnt lgkmcnt(3)
	v_lshrrev_b32_e32 v142, 16, v138
	s_waitcnt lgkmcnt(2)
	v_lshrrev_b32_e32 v162, 16, v149
	;; [unrolled: 2-line block ×4, first 2 shown]
	v_lshrrev_b32_e32 v143, 16, v139
	v_cndmask_b32_e64 v174, v138, v142, s4
	v_cndmask_b32_e64 v175, v149, v162, s4
	;; [unrolled: 1-line block ×7, first 2 shown]
	v_lshrrev_b32_e32 v163, 16, v150
	v_cndmask_b32_e64 v179, v149, v162, s10
	v_cndmask_b32_e64 v149, v153, v166, s4
	;; [unrolled: 1-line block ×16, first 2 shown]
	v_lshrrev_b32_e32 v167, 16, v154
	v_lshrrev_b32_e32 v171, 16, v158
	v_cndmask_b32_e64 v177, v179, v150, s15
	v_cndmask_b32_e64 v142, v149, v154, s5
	;; [unrolled: 1-line block ×7, first 2 shown]
	v_cndmask_b32_e32 v157, v166, v143, vcc_lo
	v_cndmask_b32_e32 v166, v170, v163, vcc_lo
	v_cndmask_b32_e64 v170, v174, v143, s13
	v_cndmask_b32_e64 v174, v175, v163, s13
	;; [unrolled: 1-line block ×4, first 2 shown]
	v_lshrrev_b32_e32 v144, 16, v140
	v_lshrrev_b32_e32 v164, 16, v151
	v_cndmask_b32_e64 v175, v176, v143, s17
	v_cndmask_b32_e64 v176, v177, v163, s17
	v_cndmask_b32_e32 v142, v142, v167, vcc_lo
	v_cndmask_b32_e32 v143, v149, v171, vcc_lo
	v_cndmask_b32_e64 v149, v150, v167, s13
	v_cndmask_b32_e64 v150, v157, v140, s3
	;; [unrolled: 1-line block ×7, first 2 shown]
	v_lshrrev_b32_e32 v168, 16, v155
	v_cndmask_b32_e64 v170, v175, v140, s21
	v_cndmask_b32_e64 v174, v176, v151, s21
	;; [unrolled: 1-line block ×11, first 2 shown]
	v_lshrrev_b32_e32 v161, 16, v141
	v_lshrrev_b32_e32 v165, 16, v152
	v_cndmask_b32_e64 v163, v170, v144, s23
	v_cndmask_b32_e64 v166, v174, v164, s23
	;; [unrolled: 1-line block ×9, first 2 shown]
	v_lshrrev_b32_e32 v169, 16, v156
	v_cndmask_b32_e64 v140, v140, v168, s6
	v_cndmask_b32_e64 v157, v163, v141, s26
	;; [unrolled: 1-line block ×14, first 2 shown]
	v_perm_b32 v141, v139, v138, 0x5040100
	v_perm_b32 v139, v151, v149, 0x5040100
	v_cndmask_b32_e64 v138, v183, v158, s15
	v_cndmask_b32_e64 v149, v181, v158, s12
	v_cndmask_b32_e64 v157, v140, v169, s8
	v_perm_b32 v140, v152, v150, 0x5040100
	v_cndmask_b32_e64 v150, v162, v167, s17
	v_cndmask_b32_e64 v151, v153, v167, s18
	;; [unrolled: 1-line block ×5, first 2 shown]
	v_lshrrev_b32_e32 v172, 16, v159
	v_cndmask_b32_e64 v150, v150, v155, s21
	v_cndmask_b32_e64 v151, v151, v155, s22
	;; [unrolled: 1-line block ×11, first 2 shown]
	v_lshrrev_b32_e32 v173, 16, v160
	v_cndmask_b32_e64 v142, v142, v160, s7
	v_cndmask_b32_e64 v150, v150, v156, s26
	;; [unrolled: 1-line block ×12, first 2 shown]
	v_perm_b32 v138, v144, v143, 0x5040100
	v_perm_b32 v152, v152, v151, 0x5040100
	;; [unrolled: 1-line block ×5, first 2 shown]
	s_lshl_b32 s7, s33, 1
	s_mov_b32 s3, exec_lo
	ds_store_b128 v135, v[138:141]
	ds_store_b128 v135, v[149:152] offset:1024
	v_cmpx_gt_u32_e32 2, v0
	s_cbranch_execz .LBB303_14
; %bb.13:
	v_or_b32_e32 v138, s31, v0
	s_load_b128 s[8:11], s[0:1], 0x58
	s_delay_alu instid0(VALU_DEP_1) | instskip(NEXT) | instid1(VALU_DEP_1)
	v_mad_u64_u32 v[139:140], null, s7, s34, v[138:139]
	v_mad_u64_u32 v[140:141], null, v139, s35, s[14:15]
	s_delay_alu instid0(VALU_DEP_1) | instskip(NEXT) | instid1(VALU_DEP_1)
	v_ashrrev_i32_e32 v141, 31, v140
	v_lshlrev_b64 v[138:139], 2, v[140:141]
	s_waitcnt lgkmcnt(0)
	s_delay_alu instid0(VALU_DEP_1) | instskip(NEXT) | instid1(VALU_DEP_2)
	v_add_co_u32 v140, vcc_lo, s10, v138
	v_add_co_ci_u32_e32 v141, vcc_lo, s11, v139, vcc_lo
	v_add_co_u32 v138, vcc_lo, s8, v138
	v_add_co_ci_u32_e32 v139, vcc_lo, s9, v139, vcc_lo
	global_store_b32 v[140:141], v136, off
	global_store_b32 v[138:139], v137, off
.LBB303_14:
	s_or_b32 exec_lo, exec_lo, s3
	s_waitcnt lgkmcnt(0)
	s_waitcnt_vscnt null, 0x0
	s_barrier
	buffer_gl0_inv
	ds_load_b128 v[149:152], v133
	ds_load_b128 v[153:156], v133 offset:16
	ds_load_b128 v[161:164], v133 offset:1040
	;; [unrolled: 1-line block ×5, first 2 shown]
	v_cmp_eq_u32_e32 vcc_lo, 1, v132
	v_mov_b32_e32 v136, 0
	ds_load_b128 v[177:180], v133 offset:3088
	ds_load_b128 v[173:176], v133 offset:3072
	;; [unrolled: 1-line block ×4, first 2 shown]
	v_cmp_eq_u32_e64 s3, 1, v129
	v_cmp_eq_u32_e64 s4, 1, v131
	;; [unrolled: 1-line block ×3, first 2 shown]
	v_mov_b32_e32 v137, v136
	v_mov_b32_e32 v138, v136
	;; [unrolled: 1-line block ×7, first 2 shown]
	v_cmp_eq_u32_e64 s6, 2, v129
	s_waitcnt lgkmcnt(8)
	s_delay_alu instid0(VALU_DEP_2)
	v_wmma_f32_16x16x16_f16 v[136:143], v[121:128], v[149:156], v[136:143]
	ds_load_b128 v[125:128], v133 offset:5136
	ds_load_b128 v[121:124], v133 offset:5120
	s_waitcnt lgkmcnt(8)
	v_wmma_f32_16x16x16_f16 v[136:143], v[113:120], v[157:164], v[136:143]
	ds_load_b128 v[117:120], v133 offset:6160
	ds_load_b128 v[113:116], v133 offset:6144
	s_waitcnt lgkmcnt(8)
	;; [unrolled: 4-line block ×11, first 2 shown]
	s_barrier
	buffer_gl0_inv
	v_wmma_f32_16x16x16_f16 v[136:143], v[1:8], v[73:80], v[136:143]
	s_delay_alu instid0(VALU_DEP_1) | instskip(NEXT) | instid1(VALU_DEP_1)
	v_wmma_f32_16x16x16_f16 v[136:143], v[9:16], v[65:72], v[136:143]
	v_wmma_f32_16x16x16_f16 v[136:143], v[33:40], v[57:64], v[136:143]
	s_delay_alu instid0(VALU_DEP_1) | instskip(NEXT) | instid1(VALU_DEP_1)
	v_wmma_f32_16x16x16_f16 v[136:143], v[41:48], v[49:56], v[136:143]
	v_wmma_f32_16x16x16_f16 v[136:143], v[17:24], v[25:32], v[136:143]
	s_delay_alu instid0(VALU_DEP_1) | instskip(NEXT) | instid1(VALU_DEP_2)
	v_cvt_f16_f32_e64 v1, v136
	v_cvt_f16_f32_e64 v2, v137
	s_delay_alu instid0(VALU_DEP_3) | instskip(NEXT) | instid1(VALU_DEP_4)
	v_cvt_f16_f32_e64 v3, v138
	v_cvt_f16_f32_e64 v4, v139
	;; [unrolled: 1-line block ×6, first 2 shown]
	v_pack_b32_f16 v1, v1, v2
	v_pack_b32_f16 v2, v3, v4
	v_pack_b32_f16 v3, v5, v6
	s_delay_alu instid0(VALU_DEP_4)
	v_pack_b32_f16 v4, v7, v8
	ds_store_b128 v135, v[1:4]
	s_waitcnt lgkmcnt(0)
	s_barrier
	buffer_gl0_inv
	ds_load_b128 v[1:4], v134
	ds_load_b128 v[5:8], v134 offset:16
	s_waitcnt lgkmcnt(1)
	v_lshrrev_b32_e32 v9, 16, v1
	s_waitcnt lgkmcnt(0)
	v_lshrrev_b32_e32 v13, 16, v5
	v_lshrrev_b32_e32 v10, 16, v2
	;; [unrolled: 1-line block ×4, first 2 shown]
	v_cndmask_b32_e64 v17, v1, v9, s3
	v_cndmask_b32_e64 v18, v5, v13, s3
	;; [unrolled: 1-line block ×3, first 2 shown]
	v_cmp_eq_u32_e64 s3, 2, v130
	v_cndmask_b32_e64 v20, v5, v13, s5
	v_cndmask_b32_e32 v21, v1, v9, vcc_lo
	v_cndmask_b32_e32 v22, v5, v13, vcc_lo
	v_cndmask_b32_e64 v1, v1, v9, s4
	v_cndmask_b32_e64 v5, v5, v13, s4
	v_cmp_eq_u32_e32 vcc_lo, 2, v132
	v_cmp_eq_u32_e64 s4, 2, v131
	v_cndmask_b32_e64 v9, v17, v2, s6
	v_cndmask_b32_e64 v13, v18, v6, s6
	v_cndmask_b32_e64 v17, v19, v2, s3
	v_cndmask_b32_e64 v18, v20, v6, s3
	v_cndmask_b32_e32 v19, v21, v2, vcc_lo
	v_cmp_eq_u32_e64 s3, 3, v132
	v_cndmask_b32_e32 v20, v22, v6, vcc_lo
	v_cndmask_b32_e64 v1, v1, v2, s4
	v_cmp_eq_u32_e32 vcc_lo, 3, v131
	v_cmp_eq_u32_e64 s5, 3, v129
	v_cndmask_b32_e64 v2, v5, v6, s4
	v_cmp_eq_u32_e64 s4, 3, v130
	v_cmp_eq_u32_e64 s6, 4, v129
	v_cndmask_b32_e32 v1, v1, v10, vcc_lo
	v_cndmask_b32_e64 v5, v9, v10, s5
	v_cndmask_b32_e64 v6, v13, v14, s5
	;; [unrolled: 1-line block ×3, first 2 shown]
	v_cmp_eq_u32_e64 s5, 4, v130
	v_cndmask_b32_e64 v13, v18, v14, s4
	v_cndmask_b32_e64 v17, v19, v10, s3
	;; [unrolled: 1-line block ×3, first 2 shown]
	v_cndmask_b32_e32 v2, v2, v14, vcc_lo
	v_cmp_eq_u32_e32 vcc_lo, 4, v132
	v_cmp_eq_u32_e64 s4, 4, v131
	v_lshrrev_b32_e32 v15, 16, v7
	v_cndmask_b32_e64 v5, v5, v3, s6
	v_cndmask_b32_e64 v6, v6, v7, s6
	v_cndmask_b32_e32 v14, v18, v7, vcc_lo
	v_cndmask_b32_e64 v9, v9, v3, s5
	v_cndmask_b32_e64 v10, v13, v7, s5
	v_cndmask_b32_e32 v13, v17, v3, vcc_lo
	v_cmp_eq_u32_e64 s3, 5, v132
	v_cndmask_b32_e64 v1, v1, v3, s4
	v_cmp_eq_u32_e32 vcc_lo, 5, v131
	v_cmp_eq_u32_e64 s5, 5, v129
	v_cndmask_b32_e64 v2, v2, v7, s4
	v_cmp_eq_u32_e64 s4, 5, v130
	v_cmp_eq_u32_e64 s6, 6, v129
	v_lshrrev_b32_e32 v12, 16, v4
	v_cndmask_b32_e64 v3, v5, v11, s5
	v_cndmask_b32_e64 v5, v6, v15, s5
	;; [unrolled: 1-line block ×3, first 2 shown]
	v_cmp_eq_u32_e64 s5, 6, v130
	v_cndmask_b32_e64 v7, v10, v15, s4
	v_cndmask_b32_e64 v9, v13, v11, s3
	;; [unrolled: 1-line block ×3, first 2 shown]
	v_cndmask_b32_e32 v1, v1, v11, vcc_lo
	v_cndmask_b32_e32 v2, v2, v15, vcc_lo
	v_cmp_eq_u32_e32 vcc_lo, 6, v132
	v_cmp_eq_u32_e64 s3, 6, v131
	v_lshrrev_b32_e32 v16, 16, v8
	v_cndmask_b32_e64 v3, v3, v4, s6
	v_cndmask_b32_e64 v5, v5, v8, s6
	v_cndmask_b32_e32 v9, v9, v4, vcc_lo
	v_cndmask_b32_e64 v6, v6, v4, s5
	v_cndmask_b32_e64 v7, v7, v8, s5
	v_cmp_eq_u32_e64 s4, 7, v132
	v_cndmask_b32_e32 v10, v10, v8, vcc_lo
	v_cndmask_b32_e64 v1, v1, v4, s3
	v_cmp_eq_u32_e32 vcc_lo, 7, v131
	v_cndmask_b32_e64 v2, v2, v8, s3
	v_cmp_eq_u32_e64 s3, 7, v129
	v_cmp_eq_u32_e64 s5, 7, v130
	v_cndmask_b32_e32 v1, v1, v12, vcc_lo
	s_delay_alu instid0(VALU_DEP_4) | instskip(NEXT) | instid1(VALU_DEP_4)
	v_cndmask_b32_e32 v2, v2, v16, vcc_lo
	v_cndmask_b32_e64 v8, v3, v12, s3
	s_delay_alu instid0(VALU_DEP_4)
	v_cndmask_b32_e64 v6, v6, v12, s5
	v_cndmask_b32_e64 v3, v9, v12, s4
	;; [unrolled: 1-line block ×5, first 2 shown]
	v_perm_b32 v4, v2, v1, 0x5040100
	s_delay_alu instid0(VALU_DEP_4) | instskip(NEXT) | instid1(VALU_DEP_4)
	v_perm_b32 v3, v9, v3, 0x5040100
	v_perm_b32 v2, v7, v6, 0x5040100
	s_delay_alu instid0(VALU_DEP_4)
	v_perm_b32 v1, v5, v8, 0x5040100
	ds_store_b128 v135, v[1:4]
	s_waitcnt lgkmcnt(0)
	s_barrier
	buffer_gl0_inv
	s_and_saveexec_b32 s3, s2
	s_cbranch_execz .LBB303_2
; %bb.15:
	s_load_b64 s[0:1], s[0:1], 0x68
	v_lshlrev_b32_e32 v0, 10, v0
	s_lshl_b32 s2, s35, 7
	v_lshlrev_b32_e32 v1, 4, v148
	v_mul_lo_u32 v4, s2, v147
	s_mul_i32 s3, s2, s34
	v_and_b32_e32 v0, 0x3800, v0
	s_mul_i32 s2, s3, s7
	s_delay_alu instid0(SALU_CYCLE_1) | instskip(NEXT) | instid1(VALU_DEP_1)
	s_ashr_i32 s3, s2, 31
	v_or3_b32 v0, v0, v146, v1
	s_lshl_b64 s[2:3], s[2:3], 1
	s_delay_alu instid0(VALU_DEP_3)
	v_ashrrev_i32_e32 v5, 31, v4
	ds_load_b128 v[0:3], v0
	v_lshlrev_b64 v[4:5], 1, v[4:5]
	s_waitcnt lgkmcnt(0)
	s_add_u32 s2, s0, s2
	s_addc_u32 s3, s1, s3
	s_lshl_b32 s0, s14, 7
	s_delay_alu instid0(SALU_CYCLE_1) | instskip(NEXT) | instid1(SALU_CYCLE_1)
	s_ashr_i32 s1, s0, 31
	s_lshl_b64 s[0:1], s[0:1], 1
	s_delay_alu instid0(SALU_CYCLE_1) | instskip(SKIP_3) | instid1(VALU_DEP_2)
	s_add_u32 s0, s2, s0
	s_addc_u32 s1, s3, s1
	v_add_co_u32 v4, vcc_lo, s0, v4
	v_add_co_ci_u32_e32 v5, vcc_lo, s1, v5, vcc_lo
	v_add_co_u32 v4, vcc_lo, v4, v145
	s_delay_alu instid0(VALU_DEP_2)
	v_add_co_ci_u32_e32 v5, vcc_lo, 0, v5, vcc_lo
	global_store_b128 v[4:5], v[0:3], off
	s_nop 0
	s_sendmsg sendmsg(MSG_DEALLOC_VGPRS)
	s_endpgm
	.section	.rodata,"a",@progbits
	.p2align	6, 0x0
	.amdhsa_kernel _Z39paged_attention_ll4mi_QKV_mfma16_kernelIDF16_DF16_LN4vllm18Fp8KVCacheDataTypeE0EDF16_Li16ELi128ELi256ELb0ELi2EL8MFMAType0EEvPKT_PKT0_S8_ifPKiSA_SA_iPKfiiiPfSD_PS3_PT2_iSC_SC_
		.amdhsa_group_segment_fixed_size 17472
		.amdhsa_private_segment_fixed_size 0
		.amdhsa_kernarg_size 400
		.amdhsa_user_sgpr_count 13
		.amdhsa_user_sgpr_dispatch_ptr 0
		.amdhsa_user_sgpr_queue_ptr 0
		.amdhsa_user_sgpr_kernarg_segment_ptr 1
		.amdhsa_user_sgpr_dispatch_id 0
		.amdhsa_user_sgpr_private_segment_size 0
		.amdhsa_wavefront_size32 1
		.amdhsa_uses_dynamic_stack 0
		.amdhsa_enable_private_segment 0
		.amdhsa_system_sgpr_workgroup_id_x 1
		.amdhsa_system_sgpr_workgroup_id_y 1
		.amdhsa_system_sgpr_workgroup_id_z 1
		.amdhsa_system_sgpr_workgroup_info 0
		.amdhsa_system_vgpr_workitem_id 0
		.amdhsa_next_free_vgpr 230
		.amdhsa_next_free_sgpr 52
		.amdhsa_reserve_vcc 1
		.amdhsa_float_round_mode_32 0
		.amdhsa_float_round_mode_16_64 0
		.amdhsa_float_denorm_mode_32 3
		.amdhsa_float_denorm_mode_16_64 3
		.amdhsa_dx10_clamp 1
		.amdhsa_ieee_mode 1
		.amdhsa_fp16_overflow 0
		.amdhsa_workgroup_processor_mode 1
		.amdhsa_memory_ordered 1
		.amdhsa_forward_progress 0
		.amdhsa_shared_vgpr_count 0
		.amdhsa_exception_fp_ieee_invalid_op 0
		.amdhsa_exception_fp_denorm_src 0
		.amdhsa_exception_fp_ieee_div_zero 0
		.amdhsa_exception_fp_ieee_overflow 0
		.amdhsa_exception_fp_ieee_underflow 0
		.amdhsa_exception_fp_ieee_inexact 0
		.amdhsa_exception_int_div_zero 0
	.end_amdhsa_kernel
	.section	.text._Z39paged_attention_ll4mi_QKV_mfma16_kernelIDF16_DF16_LN4vllm18Fp8KVCacheDataTypeE0EDF16_Li16ELi128ELi256ELb0ELi2EL8MFMAType0EEvPKT_PKT0_S8_ifPKiSA_SA_iPKfiiiPfSD_PS3_PT2_iSC_SC_,"axG",@progbits,_Z39paged_attention_ll4mi_QKV_mfma16_kernelIDF16_DF16_LN4vllm18Fp8KVCacheDataTypeE0EDF16_Li16ELi128ELi256ELb0ELi2EL8MFMAType0EEvPKT_PKT0_S8_ifPKiSA_SA_iPKfiiiPfSD_PS3_PT2_iSC_SC_,comdat
.Lfunc_end303:
	.size	_Z39paged_attention_ll4mi_QKV_mfma16_kernelIDF16_DF16_LN4vllm18Fp8KVCacheDataTypeE0EDF16_Li16ELi128ELi256ELb0ELi2EL8MFMAType0EEvPKT_PKT0_S8_ifPKiSA_SA_iPKfiiiPfSD_PS3_PT2_iSC_SC_, .Lfunc_end303-_Z39paged_attention_ll4mi_QKV_mfma16_kernelIDF16_DF16_LN4vllm18Fp8KVCacheDataTypeE0EDF16_Li16ELi128ELi256ELb0ELi2EL8MFMAType0EEvPKT_PKT0_S8_ifPKiSA_SA_iPKfiiiPfSD_PS3_PT2_iSC_SC_
                                        ; -- End function
	.section	.AMDGPU.csdata,"",@progbits
; Kernel info:
; codeLenInByte = 7900
; NumSgprs: 54
; NumVgprs: 230
; ScratchSize: 0
; MemoryBound: 0
; FloatMode: 240
; IeeeMode: 1
; LDSByteSize: 17472 bytes/workgroup (compile time only)
; SGPRBlocks: 6
; VGPRBlocks: 28
; NumSGPRsForWavesPerEU: 54
; NumVGPRsForWavesPerEU: 230
; Occupancy: 6
; WaveLimiterHint : 1
; COMPUTE_PGM_RSRC2:SCRATCH_EN: 0
; COMPUTE_PGM_RSRC2:USER_SGPR: 13
; COMPUTE_PGM_RSRC2:TRAP_HANDLER: 0
; COMPUTE_PGM_RSRC2:TGID_X_EN: 1
; COMPUTE_PGM_RSRC2:TGID_Y_EN: 1
; COMPUTE_PGM_RSRC2:TGID_Z_EN: 1
; COMPUTE_PGM_RSRC2:TIDIG_COMP_CNT: 0
	.section	.text._Z39paged_attention_ll4mi_QKV_mfma16_kernelIDF16_DF16_LN4vllm18Fp8KVCacheDataTypeE0EDF16_Li16ELi128ELi256ELb0ELi3EL8MFMAType0EEvPKT_PKT0_S8_ifPKiSA_SA_iPKfiiiPfSD_PS3_PT2_iSC_SC_,"axG",@progbits,_Z39paged_attention_ll4mi_QKV_mfma16_kernelIDF16_DF16_LN4vllm18Fp8KVCacheDataTypeE0EDF16_Li16ELi128ELi256ELb0ELi3EL8MFMAType0EEvPKT_PKT0_S8_ifPKiSA_SA_iPKfiiiPfSD_PS3_PT2_iSC_SC_,comdat
	.protected	_Z39paged_attention_ll4mi_QKV_mfma16_kernelIDF16_DF16_LN4vllm18Fp8KVCacheDataTypeE0EDF16_Li16ELi128ELi256ELb0ELi3EL8MFMAType0EEvPKT_PKT0_S8_ifPKiSA_SA_iPKfiiiPfSD_PS3_PT2_iSC_SC_ ; -- Begin function _Z39paged_attention_ll4mi_QKV_mfma16_kernelIDF16_DF16_LN4vllm18Fp8KVCacheDataTypeE0EDF16_Li16ELi128ELi256ELb0ELi3EL8MFMAType0EEvPKT_PKT0_S8_ifPKiSA_SA_iPKfiiiPfSD_PS3_PT2_iSC_SC_
	.globl	_Z39paged_attention_ll4mi_QKV_mfma16_kernelIDF16_DF16_LN4vllm18Fp8KVCacheDataTypeE0EDF16_Li16ELi128ELi256ELb0ELi3EL8MFMAType0EEvPKT_PKT0_S8_ifPKiSA_SA_iPKfiiiPfSD_PS3_PT2_iSC_SC_
	.p2align	8
	.type	_Z39paged_attention_ll4mi_QKV_mfma16_kernelIDF16_DF16_LN4vllm18Fp8KVCacheDataTypeE0EDF16_Li16ELi128ELi256ELb0ELi3EL8MFMAType0EEvPKT_PKT0_S8_ifPKiSA_SA_iPKfiiiPfSD_PS3_PT2_iSC_SC_,@function
_Z39paged_attention_ll4mi_QKV_mfma16_kernelIDF16_DF16_LN4vllm18Fp8KVCacheDataTypeE0EDF16_Li16ELi128ELi256ELb0ELi3EL8MFMAType0EEvPKT_PKT0_S8_ifPKiSA_SA_iPKfiiiPfSD_PS3_PT2_iSC_SC_: ; @_Z39paged_attention_ll4mi_QKV_mfma16_kernelIDF16_DF16_LN4vllm18Fp8KVCacheDataTypeE0EDF16_Li16ELi128ELi256ELb0ELi3EL8MFMAType0EEvPKT_PKT0_S8_ifPKiSA_SA_iPKfiiiPfSD_PS3_PT2_iSC_SC_
; %bb.0:
	s_load_b64 s[4:5], s[0:1], 0x30
	s_mov_b32 s34, s13
	s_waitcnt lgkmcnt(0)
	s_cmp_lg_u64 s[4:5], 0
	s_cselect_b32 s8, -1, 0
	s_ashr_i32 s35, s13, 31
	s_cmp_eq_u64 s[4:5], 0
	s_cbranch_scc1 .LBB304_3
; %bb.1:
	s_lshl_b64 s[2:3], s[34:35], 2
	s_delay_alu instid0(SALU_CYCLE_1) | instskip(SKIP_4) | instid1(SALU_CYCLE_1)
	s_add_u32 s2, s4, s2
	s_addc_u32 s3, s5, s3
	s_load_b64 s[2:3], s[2:3], 0x0
	s_waitcnt lgkmcnt(0)
	s_sub_i32 s2, s3, s2
	s_cmp_eq_u32 s2, 1
	s_cselect_b32 s2, -1, 0
	s_delay_alu instid0(SALU_CYCLE_1)
	s_and_not1_b32 vcc_lo, exec_lo, s2
	s_cbranch_vccz .LBB304_4
.LBB304_2:
	s_nop 0
	s_sendmsg sendmsg(MSG_DEALLOC_VGPRS)
	s_endpgm
.LBB304_3:
.LBB304_4:
	s_load_b64 s[2:3], s[0:1], 0x28
	s_lshl_b64 s[6:7], s[34:35], 2
	s_waitcnt lgkmcnt(0)
	s_add_u32 s2, s2, s6
	s_addc_u32 s3, s3, s7
	s_lshl_b32 s29, s14, 8
	s_load_b32 s28, s[2:3], 0x0
	s_waitcnt lgkmcnt(0)
	s_cmp_ge_i32 s29, s28
	s_cbranch_scc1 .LBB304_2
; %bb.5:
	s_clause 0x1
	s_load_b128 s[20:23], s[0:1], 0x8
	s_load_b64 s[2:3], s[0:1], 0x20
	s_and_not1_b32 vcc_lo, exec_lo, s8
	s_cbranch_vccnz .LBB304_7
; %bb.6:
	s_add_u32 s4, s4, s6
	s_addc_u32 s5, s5, s7
	s_load_b32 s5, s[4:5], 0x0
	s_branch .LBB304_8
.LBB304_7:
	s_mov_b32 s5, s34
.LBB304_8:
	s_load_b128 s[16:19], s[0:1], 0x48
	v_and_b32_e32 v140, 15, v0
	v_lshrrev_b32_e32 v141, 5, v0
	v_bfe_u32 v138, v0, 4, 1
	v_and_b32_e32 v142, 31, v0
	v_and_b32_e32 v139, 1, v0
	v_lshlrev_b32_e32 v2, 3, v140
	s_mul_i32 s31, s15, 3
	v_lshl_or_b32 v1, v141, 1, v138
	s_mov_b32 s4, exec_lo
	s_delay_alu instid0(VALU_DEP_2) | instskip(NEXT) | instid1(VALU_DEP_2)
	v_lshlrev_b32_e32 v137, 1, v2
	v_cmpx_gt_u32_e32 3, v1
	s_cbranch_execz .LBB304_10
; %bb.9:
	s_load_b64 s[6:7], s[0:1], 0x0
	v_add_lshl_u32 v2, v1, s31, 7
	s_waitcnt lgkmcnt(0)
	s_mul_hi_i32 s9, s5, s16
	s_mul_i32 s8, s5, s16
	v_lshlrev_b32_e32 v6, 10, v140
	s_lshl_b64 s[8:9], s[8:9], 1
	v_ashrrev_i32_e32 v3, 31, v2
	v_lshlrev_b32_e32 v1, 6, v1
	v_lshlrev_b32_e32 v7, 10, v139
	v_and_b32_e32 v6, 0x3800, v6
	s_delay_alu instid0(VALU_DEP_4) | instskip(NEXT) | instid1(VALU_DEP_2)
	v_lshlrev_b64 v[2:3], 1, v[2:3]
	v_or3_b32 v1, v6, v7, v1
	s_add_u32 s5, s6, s8
	s_addc_u32 s6, s7, s9
	s_delay_alu instid0(VALU_DEP_2) | instskip(NEXT) | instid1(VALU_DEP_3)
	v_add_co_u32 v2, vcc_lo, s5, v2
	v_add_co_ci_u32_e32 v3, vcc_lo, s6, v3, vcc_lo
	s_delay_alu instid0(VALU_DEP_2) | instskip(NEXT) | instid1(VALU_DEP_2)
	v_add_co_u32 v2, vcc_lo, v2, v137
	v_add_co_ci_u32_e32 v3, vcc_lo, 0, v3, vcc_lo
	global_load_b128 v[2:5], v[2:3], off
	s_waitcnt vmcnt(0)
	ds_store_b128 v1, v[2:5]
.LBB304_10:
	s_or_b32 exec_lo, exec_lo, s4
	v_and_b32_e32 v1, 0xef, v0
	s_waitcnt lgkmcnt(0)
	s_add_i32 s5, s28, 15
	s_clause 0x1
	s_load_b32 s4, s[0:1], 0x38
	s_load_b32 s33, s[0:1], 0x98
	s_ashr_i32 s6, s5, 31
	v_add_nc_u32_e32 v1, s29, v1
	s_lshr_b32 s6, s6, 28
	s_load_b32 s30, s[0:1], 0x1c
	s_add_i32 s5, s5, s6
	s_waitcnt lgkmcnt(0)
	v_ashrrev_i32_e32 v2, 31, v1
	v_cmp_gt_i32_e32 vcc_lo, s28, v1
	s_ashr_i32 s16, s5, 4
	s_barrier
	s_add_i32 s16, s16, -1
	v_lshrrev_b32_e32 v3, 28, v2
	v_or_b32_e32 v2, 16, v1
	buffer_gl0_inv
	v_mul_lo_u16 v105, 0x56, v140
	v_lshlrev_b32_e32 v106, 5, v140
	v_add_nc_u32_e32 v4, v1, v3
	v_add_nc_u32_e32 v3, v2, v3
	s_mul_i32 s4, s34, s4
	v_lshrrev_b16 v105, 8, v105
	s_ashr_i32 s5, s4, 31
	v_ashrrev_i32_e32 v4, 4, v4
	v_ashrrev_i32_e32 v3, 4, v3
	s_lshl_b64 s[4:5], s[4:5], 2
	v_mul_lo_u16 v105, v105, 3
	s_add_u32 s35, s2, s4
	v_cndmask_b32_e32 v1, s16, v4, vcc_lo
	v_cmp_gt_i32_e32 vcc_lo, s28, v2
	s_addc_u32 s36, s3, s5
	s_mul_i32 s2, s15, s18
	v_sub_nc_u16 v105, v140, v105
	v_ashrrev_i32_e32 v2, 31, v1
	v_cndmask_b32_e32 v3, s16, v3, vcc_lo
	s_ashr_i32 s3, s2, 31
	v_lshl_or_b32 v125, v141, 9, v106
	s_lshl_b64 s[2:3], s[2:3], 1
	v_lshlrev_b64 v[1:2], 2, v[1:2]
	v_ashrrev_i32_e32 v4, 31, v3
	s_add_u32 s24, s20, s2
	s_addc_u32 s25, s21, s3
	s_lshl_b32 s4, s14, 4
	v_and_b32_e32 v105, 0xff, v105
	v_lshlrev_b64 v[3:4], 2, v[3:4]
	v_add_co_u32 v1, vcc_lo, s35, v1
	v_add_co_ci_u32_e32 v2, vcc_lo, s36, v2, vcc_lo
	s_ashr_i32 s5, s4, 31
	s_delay_alu instid0(VALU_DEP_3) | instskip(NEXT) | instid1(VALU_DEP_4)
	v_add_co_u32 v3, vcc_lo, s35, v3
	v_add_co_ci_u32_e32 v4, vcc_lo, s36, v4, vcc_lo
	s_lshl_b64 s[4:5], s[4:5], 2
	s_clause 0x1
	global_load_b32 v5, v[1:2], off
	global_load_b32 v6, v[3:4], off
	s_add_u32 s4, s35, s4
	s_addc_u32 s5, s36, s5
	s_or_b32 s6, s29, 16
	v_lshlrev_b32_e32 v3, 4, v0
	s_ashr_i32 s7, s6, 4
	s_cmp_lt_i32 s6, s28
	v_lshlrev_b32_e32 v215, 6, v105
	s_cselect_b32 s6, s7, s16
	s_delay_alu instid0(SALU_CYCLE_1) | instskip(NEXT) | instid1(SALU_CYCLE_1)
	s_ashr_i32 s7, s6, 31
	s_lshl_b64 s[6:7], s[6:7], 2
	s_delay_alu instid0(SALU_CYCLE_1) | instskip(SKIP_2) | instid1(SALU_CYCLE_1)
	s_add_u32 s6, s35, s6
	s_addc_u32 s7, s36, s7
	s_or_b32 s8, s29, 32
	s_ashr_i32 s9, s8, 4
	s_cmp_lt_i32 s8, s28
	s_cselect_b32 s8, s9, s16
	s_delay_alu instid0(SALU_CYCLE_1) | instskip(NEXT) | instid1(SALU_CYCLE_1)
	s_ashr_i32 s9, s8, 31
	s_lshl_b64 s[8:9], s[8:9], 2
	s_delay_alu instid0(SALU_CYCLE_1) | instskip(SKIP_2) | instid1(SALU_CYCLE_1)
	s_add_u32 s8, s35, s8
	s_addc_u32 s9, s36, s9
	s_or_b32 s10, s29, 48
	s_ashr_i32 s11, s10, 4
	s_cmp_lt_i32 s10, s28
	;; [unrolled: 10-line block ×4, first 2 shown]
	s_cselect_b32 s12, s13, s16
	s_delay_alu instid0(SALU_CYCLE_1) | instskip(NEXT) | instid1(SALU_CYCLE_1)
	s_ashr_i32 s13, s12, 31
	s_lshl_b64 s[12:13], s[12:13], 2
	s_delay_alu instid0(SALU_CYCLE_1)
	s_add_u32 s20, s35, s12
	s_addc_u32 s21, s36, s13
	s_clause 0x5
	s_load_b32 s39, s[4:5], 0x0
	s_load_b32 s38, s[6:7], 0x0
	;; [unrolled: 1-line block ×6, first 2 shown]
	s_waitcnt vmcnt(1)
	v_mad_i64_i32 v[1:2], null, v5, s17, 0
	v_and_b32_e32 v5, 0xf0, v3
	s_waitcnt vmcnt(0)
	v_mad_i64_i32 v[3:4], null, v6, s17, 0
	s_delay_alu instid0(VALU_DEP_2) | instskip(NEXT) | instid1(VALU_DEP_4)
	v_add_co_u32 v5, s4, s24, v5
	v_lshlrev_b64 v[1:2], 1, v[1:2]
	v_add_co_ci_u32_e64 v6, null, s25, 0, s4
	s_delay_alu instid0(VALU_DEP_4) | instskip(SKIP_1) | instid1(VALU_DEP_3)
	v_lshlrev_b64 v[3:4], 1, v[3:4]
	s_or_b32 s4, s29, 0x60
	v_add_co_u32 v121, vcc_lo, v5, v1
	s_delay_alu instid0(VALU_DEP_3) | instskip(NEXT) | instid1(VALU_DEP_3)
	v_add_co_ci_u32_e32 v122, vcc_lo, v6, v2, vcc_lo
	v_add_co_u32 v123, vcc_lo, v5, v3
	s_delay_alu instid0(VALU_DEP_4)
	v_add_co_ci_u32_e32 v124, vcc_lo, v6, v4, vcc_lo
	s_clause 0x19
	global_load_b128 v[89:92], v[121:122], off
	global_load_b128 v[93:96], v[121:122], off offset:256
	global_load_b128 v[97:100], v[123:124], off
	global_load_b128 v[101:104], v[123:124], off offset:256
	global_load_b128 v[81:84], v[121:122], off offset:512
	;; [unrolled: 1-line block ×23, first 2 shown]
	s_ashr_i32 s5, s4, 4
	s_cmp_lt_i32 s4, s28
	ds_load_b128 v[105:108], v215
	ds_load_b128 v[109:112], v215 offset:1024
	s_cselect_b32 s4, s5, s16
	ds_load_b128 v[113:116], v215 offset:2048
	ds_load_b128 v[117:120], v215 offset:3072
	s_ashr_i32 s5, s4, 31
	ds_load_b128 v[143:146], v215 offset:4096
	ds_load_b128 v[147:150], v215 offset:5120
	s_lshl_b64 s[6:7], s[4:5], 2
	ds_load_b128 v[151:154], v215 offset:6144
	ds_load_b128 v[155:158], v215 offset:7168
	s_add_u32 s18, s35, s6
	s_addc_u32 s19, s36, s7
	s_or_b32 s5, s29, 0x70
	ds_load_b128 v[159:162], v215 offset:8192
	ds_load_b128 v[163:166], v215 offset:9216
	s_ashr_i32 s6, s5, 4
	s_cmp_lt_i32 s5, s28
	s_clause 0x1
	global_load_b128 v[167:170], v[123:124], off offset:3072
	global_load_b128 v[171:174], v[123:124], off offset:3328
	s_cselect_b32 s8, s6, s16
	s_mov_b32 s4, 0
	s_ashr_i32 s9, s8, 31
	s_mov_b32 s5, s4
	s_lshl_b64 s[8:9], s[8:9], 2
	s_mov_b32 s6, s4
	s_add_u32 s20, s35, s8
	s_addc_u32 s21, s36, s9
	s_clause 0x1
	s_load_b32 s41, s[18:19], 0x0
	s_load_b32 s46, s[20:21], 0x0
	s_clause 0x3
	global_load_b128 v[175:178], v[121:122], off offset:3584
	global_load_b128 v[179:182], v[121:122], off offset:3840
	;; [unrolled: 1-line block ×4, first 2 shown]
	s_or_b32 s8, s29, 0x80
	s_mov_b32 s7, s4
	s_ashr_i32 s9, s8, 4
	s_cmp_lt_i32 s8, s28
	s_mov_b32 s8, s4
	s_cselect_b32 s10, s9, s16
	s_mov_b32 s9, s4
	s_ashr_i32 s11, s10, 31
	s_delay_alu instid0(SALU_CYCLE_1)
	s_lshl_b64 s[24:25], s[10:11], 2
	s_mov_b32 s10, s4
	s_add_u32 s24, s35, s24
	s_addc_u32 s25, s36, s25
	s_or_b32 s11, s29, 0x90
	s_load_b32 s47, s[24:25], 0x0
	s_ashr_i32 s26, s11, 4
	s_cmp_lt_i32 s11, s28
	s_mov_b32 s11, s4
	s_cselect_b32 s26, s26, s16
	v_mov_b32_e32 v136, s11
	s_ashr_i32 s27, s26, 31
	v_dual_mov_b32 v135, s10 :: v_dual_mov_b32 v134, s9
	v_dual_mov_b32 v133, s8 :: v_dual_mov_b32 v132, s7
	;; [unrolled: 1-line block ×3, first 2 shown]
	v_mov_b32_e32 v129, s4
	s_lshl_b64 s[4:5], s[26:27], 2
	s_waitcnt lgkmcnt(0)
	s_mul_hi_i32 s7, s38, s17
	s_add_u32 s26, s35, s4
	s_addc_u32 s27, s36, s5
	s_or_b32 s4, s29, 0xa0
	s_load_b32 s40, s[26:27], 0x0
	s_ashr_i32 s5, s4, 4
	s_cmp_lt_i32 s4, s28
	s_cselect_b32 s4, s5, s16
	s_delay_alu instid0(SALU_CYCLE_1) | instskip(NEXT) | instid1(SALU_CYCLE_1)
	s_ashr_i32 s5, s4, 31
	s_lshl_b64 s[4:5], s[4:5], 2
	s_delay_alu instid0(SALU_CYCLE_1)
	s_add_u32 s42, s35, s4
	s_addc_u32 s43, s36, s5
	s_or_b32 s4, s29, 0xb0
	s_mul_hi_i32 s5, s39, s17
	s_ashr_i32 s6, s4, 4
	s_cmp_lt_i32 s4, s28
	s_mul_i32 s4, s39, s17
	s_cselect_b32 s8, s6, s16
	s_mul_i32 s6, s38, s17
	s_ashr_i32 s9, s8, 31
	s_delay_alu instid0(SALU_CYCLE_1)
	s_lshl_b64 s[10:11], s[8:9], 2
	s_mul_hi_i32 s9, s37, s17
	s_add_u32 s44, s35, s10
	s_addc_u32 s45, s36, s11
	s_or_b32 s10, s29, 0xc0
	s_mul_i32 s8, s37, s17
	s_ashr_i32 s37, s10, 4
	s_cmp_lt_i32 s10, s28
	s_mul_hi_i32 s11, s13, s17
	s_cselect_b32 s38, s37, s16
	s_mul_i32 s10, s13, s17
	s_ashr_i32 s39, s38, 31
	s_mul_hi_i32 s13, s12, s17
	s_lshl_b64 s[38:39], s[38:39], 2
	s_mul_i32 s12, s12, s17
	s_add_u32 s20, s35, s38
	s_addc_u32 s21, s36, s39
	s_load_b32 s39, s[42:43], 0x0
	s_or_b32 s18, s29, 0xd0
	s_mul_hi_i32 s27, s47, s17
	s_ashr_i32 s19, s18, 4
	s_cmp_lt_i32 s18, s28
	s_mul_i32 s18, s15, s17
	s_cselect_b32 s24, s19, s16
	s_mul_hi_i32 s19, s15, s17
	s_ashr_i32 s25, s24, 31
	s_mul_i32 s26, s47, s17
	s_lshl_b64 s[24:25], s[24:25], 2
	s_delay_alu instid0(SALU_CYCLE_1)
	s_add_u32 s24, s35, s24
	s_addc_u32 s25, s36, s25
	s_or_b32 s42, s29, 0xe0
	s_clause 0x2
	s_load_b32 s38, s[44:45], 0x0
	s_load_b32 s37, s[20:21], 0x0
	;; [unrolled: 1-line block ×3, first 2 shown]
	s_ashr_i32 s43, s42, 4
	s_cmp_lt_i32 s42, s28
	s_mul_hi_i32 s25, s46, s17
	s_cselect_b32 s42, s43, s16
	s_mul_i32 s24, s46, s17
	s_ashr_i32 s43, s42, 31
	s_mul_hi_i32 s21, s41, s17
	s_lshl_b64 s[42:43], s[42:43], 2
	s_mul_i32 s20, s41, s17
	s_add_u32 s42, s35, s42
	s_addc_u32 s43, s36, s43
	s_or_b32 s46, s29, 0xf0
	s_waitcnt lgkmcnt(0)
	s_mul_hi_i32 s41, s40, s17
	s_ashr_i32 s47, s46, 4
	s_cmp_lt_i32 s46, s28
	s_mul_i32 s40, s40, s17
	s_cselect_b32 s46, s47, s16
	s_mul_hi_i32 s45, s39, s17
	s_ashr_i32 s47, s46, 31
	s_mul_hi_i32 s51, s15, s17
	s_lshl_b64 s[46:47], s[46:47], 2
	s_mul_i32 s50, s15, s17
	s_add_u32 s46, s35, s46
	s_addc_u32 s47, s36, s47
	s_add_u32 s15, s22, s2
	s_addc_u32 s16, s23, s3
	v_add_co_u32 v216, s15, s15, v125
	s_delay_alu instid0(VALU_DEP_1) | instskip(SKIP_2) | instid1(VALU_DEP_2)
	v_add_co_ci_u32_e64 v217, null, s16, 0, s15
	s_lshl_b64 s[2:3], s[4:5], 1
	s_lshl_b64 s[4:5], s[6:7], 1
	v_add_co_u32 v125, vcc_lo, v216, s2
	s_delay_alu instid0(VALU_DEP_2)
	v_add_co_ci_u32_e32 v126, vcc_lo, s3, v217, vcc_lo
	v_add_co_u32 v199, vcc_lo, v216, s4
	s_lshl_b64 s[6:7], s[8:9], 1
	v_add_co_ci_u32_e32 v200, vcc_lo, s5, v217, vcc_lo
	s_lshl_b64 s[8:9], s[10:11], 1
	s_lshl_b64 s[10:11], s[12:13], 1
	;; [unrolled: 1-line block ×7, first 2 shown]
	s_mul_i32 s44, s39, s17
	s_mul_hi_i32 s39, s38, s17
	s_lshl_b64 s[26:27], s[44:45], 1
	s_mul_i32 s38, s38, s17
	s_mul_hi_i32 s49, s37, s17
	s_mul_i32 s48, s37, s17
	s_lshl_b64 s[36:37], s[38:39], 1
	s_lshl_b64 s[38:39], s[48:49], 1
	s_clause 0x1
	s_load_b32 s15, s[42:43], 0x0
	s_load_b32 s16, s[46:47], 0x0
	s_lshl_b64 s[40:41], s[50:51], 1
	s_waitcnt lgkmcnt(0)
	s_mul_hi_i32 s3, s15, s17
	s_mul_i32 s2, s15, s17
	s_mul_hi_i32 s5, s16, s17
	s_lshl_b64 s[2:3], s[2:3], 1
	s_mul_i32 s4, s16, s17
	s_waitcnt vmcnt(30)
	v_wmma_f32_16x16x16_f16 v[191:198], v[89:96], v[105:112], v[129:136]
	v_add_co_u32 v89, vcc_lo, v216, s6
	v_add_co_ci_u32_e32 v90, vcc_lo, s7, v217, vcc_lo
	v_add_co_u32 v91, vcc_lo, v216, s8
	v_add_co_ci_u32_e32 v92, vcc_lo, s9, v217, vcc_lo
	;; [unrolled: 2-line block ×5, first 2 shown]
	v_add_co_u32 v205, vcc_lo, v216, s20
	s_waitcnt vmcnt(28)
	v_wmma_f32_16x16x16_f16 v[129:136], v[97:104], v[105:112], v[129:136]
	v_add_co_ci_u32_e32 v206, vcc_lo, s21, v217, vcc_lo
	v_add_co_u32 v207, vcc_lo, v216, s22
	v_add_co_ci_u32_e32 v208, vcc_lo, s23, v217, vcc_lo
	v_add_co_u32 v209, vcc_lo, v216, s24
	s_waitcnt vmcnt(26)
	v_wmma_f32_16x16x16_f16 v[191:198], v[81:88], v[113:120], v[191:198]
	s_waitcnt vmcnt(24)
	v_wmma_f32_16x16x16_f16 v[129:136], v[73:80], v[113:120], v[129:136]
	v_add_co_ci_u32_e32 v210, vcc_lo, s25, v217, vcc_lo
	v_add_co_u32 v211, vcc_lo, v216, s26
	v_add_co_ci_u32_e32 v212, vcc_lo, s27, v217, vcc_lo
	v_add_co_u32 v213, vcc_lo, v216, s36
	s_waitcnt vmcnt(22)
	v_wmma_f32_16x16x16_f16 v[191:198], v[65:72], v[143:150], v[191:198]
	s_waitcnt vmcnt(20)
	v_wmma_f32_16x16x16_f16 v[129:136], v[57:64], v[143:150], v[129:136]
	v_add_co_ci_u32_e32 v214, vcc_lo, s37, v217, vcc_lo
	v_add_co_u32 v143, vcc_lo, v216, s38
	s_waitcnt vmcnt(18)
	v_wmma_f32_16x16x16_f16 v[191:198], v[49:56], v[151:158], v[191:198]
	s_waitcnt vmcnt(16)
	v_wmma_f32_16x16x16_f16 v[129:136], v[25:32], v[151:158], v[129:136]
	v_add_co_ci_u32_e32 v144, vcc_lo, s39, v217, vcc_lo
	s_clause 0x15
	global_load_b128 v[121:124], v[125:126], off
	global_load_b128 v[125:128], v[125:126], off offset:16
	global_load_b128 v[113:116], v[199:200], off
	global_load_b128 v[117:120], v[199:200], off offset:16
	;; [unrolled: 2-line block ×11, first 2 shown]
	s_waitcnt vmcnt(36)
	v_wmma_f32_16x16x16_f16 v[191:198], v[1:8], v[159:166], v[191:198]
	s_clause 0x1
	global_load_b128 v[1:4], v[213:214], off
	global_load_b128 v[5:8], v[213:214], off offset:16
	s_waitcnt vmcnt(36)
	v_wmma_f32_16x16x16_f16 v[129:136], v[9:16], v[159:166], v[129:136]
	s_clause 0x1
	global_load_b128 v[9:12], v[143:144], off
	global_load_b128 v[13:16], v[143:144], off offset:16
	ds_load_b128 v[143:146], v215 offset:10240
	ds_load_b128 v[147:150], v215 offset:11264
	ds_load_b128 v[151:154], v215 offset:12288
	ds_load_b128 v[155:158], v215 offset:13312
	v_add_co_u32 v199, vcc_lo, v216, s40
	v_add_co_ci_u32_e32 v200, vcc_lo, s41, v217, vcc_lo
	v_add_co_u32 v159, vcc_lo, v216, s2
	v_add_co_ci_u32_e32 v160, vcc_lo, s3, v217, vcc_lo
	s_lshl_b64 s[2:3], s[4:5], 1
	s_delay_alu instid0(SALU_CYCLE_1)
	v_add_co_u32 v161, vcc_lo, v216, s2
	v_add_co_ci_u32_e32 v162, vcc_lo, s3, v217, vcc_lo
	s_waitcnt vmcnt(36) lgkmcnt(2)
	v_wmma_f32_16x16x16_f16 v[191:198], v[41:48], v[143:150], v[191:198]
	s_waitcnt vmcnt(34)
	v_wmma_f32_16x16x16_f16 v[129:136], v[33:40], v[143:150], v[129:136]
	s_clause 0x3
	global_load_b128 v[33:36], v[199:200], off
	global_load_b128 v[37:40], v[199:200], off offset:16
	global_load_b128 v[41:44], v[159:160], off
	global_load_b128 v[45:48], v[159:160], off offset:16
	v_and_b32_e32 v143, 0xe0, v0
	v_mbcnt_lo_u32_b32 v159, -1, 0
	s_waitcnt vmcnt(36) lgkmcnt(0)
	v_wmma_f32_16x16x16_f16 v[191:198], v[17:24], v[151:158], v[191:198]
	s_clause 0x1
	global_load_b128 v[17:20], v[161:162], off
	global_load_b128 v[21:24], v[161:162], off offset:16
	s_waitcnt vmcnt(36)
	v_wmma_f32_16x16x16_f16 v[129:136], v[167:174], v[151:158], v[129:136]
	v_add_nc_u32_e32 v160, s29, v143
	ds_load_b128 v[143:146], v215 offset:14336
	ds_load_b128 v[147:150], v215 offset:15360
	v_xor_b32_e32 v151, 16, v159
	s_waitcnt vmcnt(0) lgkmcnt(0)
	s_barrier
	v_or_b32_e32 v152, v160, v138
	buffer_gl0_inv
	v_cmp_gt_i32_e32 vcc_lo, 32, v151
	v_or_b32_e32 v153, 2, v152
	v_or_b32_e32 v154, 4, v152
	;; [unrolled: 1-line block ×5, first 2 shown]
	v_cmp_gt_i32_e64 s2, s28, v153
	v_cmp_gt_i32_e64 s3, s28, v154
	;; [unrolled: 1-line block ×3, first 2 shown]
	v_or_b32_e32 v158, 12, v152
	v_cmp_gt_i32_e64 s5, s28, v156
	v_cmp_gt_i32_e64 s6, s28, v157
	v_wmma_f32_16x16x16_f16 v[191:198], v[175:182], v[143:150], v[191:198]
	v_wmma_f32_16x16x16_f16 v[129:136], v[183:190], v[143:150], v[129:136]
	v_cndmask_b32_e32 v151, v159, v151, vcc_lo
	v_cmp_gt_i32_e32 vcc_lo, s28, v152
	v_or_b32_e32 v159, 14, v152
	v_dual_mul_f32 v149, s30, v192 :: v_dual_mul_f32 v150, s30, v191
	v_dual_mul_f32 v147, s30, v194 :: v_dual_mul_f32 v148, s30, v193
	;; [unrolled: 1-line block ×3, first 2 shown]
	s_delay_alu instid0(VALU_DEP_3) | instskip(NEXT) | instid1(VALU_DEP_4)
	v_cndmask_b32_e32 v150, 0xff7fffff, v150, vcc_lo
	v_cndmask_b32_e64 v149, 0xff7fffff, v149, s2
	v_mul_f32_e32 v146, s30, v195
	v_cndmask_b32_e64 v148, 0xff7fffff, v148, s3
	v_cndmask_b32_e64 v147, 0xff7fffff, v147, s4
	v_or_b32_e32 v160, 16, v152
	v_max3_f32 v149, v150, 0xff7fffff, v149
	v_or_b32_e32 v161, 18, v152
	v_dual_mul_f32 v143, s30, v198 :: v_dual_mul_f32 v144, s30, v197
	v_cndmask_b32_e64 v146, 0xff7fffff, v146, s5
	v_cndmask_b32_e64 v145, 0xff7fffff, v145, s6
	v_max3_f32 v147, v149, v148, v147
	v_cmp_gt_i32_e64 s7, s28, v158
	v_cmp_gt_i32_e64 s8, s28, v159
	v_or_b32_e32 v162, 20, v152
	v_or_b32_e32 v163, 22, v152
	v_mul_f32_e32 v175, s30, v129
	v_cndmask_b32_e64 v144, 0xff7fffff, v144, s7
	v_cndmask_b32_e64 v143, 0xff7fffff, v143, s8
	v_max3_f32 v145, v147, v146, v145
	v_cmp_gt_i32_e64 s9, s28, v160
	v_cmp_gt_i32_e64 s10, s28, v161
	v_or_b32_e32 v164, 24, v152
	v_or_b32_e32 v165, 26, v152
	v_dual_mul_f32 v172, s30, v132 :: v_dual_mul_f32 v173, s30, v131
	v_cndmask_b32_e64 v146, 0xff7fffff, v175, s9
	v_cndmask_b32_e64 v147, 0xff7fffff, v174, s10
	v_max3_f32 v143, v145, v144, v143
	v_cmp_gt_i32_e64 s11, s28, v162
	v_cmp_gt_i32_e64 s12, s28, v163
	v_or_b32_e32 v166, 28, v152
	v_or_b32_e32 v167, 30, v152
	v_dual_mul_f32 v170, s30, v134 :: v_dual_mul_f32 v171, s30, v133
	v_cndmask_b32_e64 v144, 0xff7fffff, v173, s11
	v_cndmask_b32_e64 v145, 0xff7fffff, v172, s12
	v_max3_f32 v143, v143, v146, v147
	v_cmp_gt_i32_e64 s13, s28, v164
	v_cmp_gt_i32_e64 s15, s28, v165
	v_dual_mul_f32 v168, s30, v136 :: v_dual_mul_f32 v169, s30, v135
	s_delay_alu instid0(VALU_DEP_4) | instskip(NEXT) | instid1(VALU_DEP_4)
	v_max3_f32 v143, v143, v144, v145
	v_cndmask_b32_e64 v146, 0xff7fffff, v171, s13
	s_delay_alu instid0(VALU_DEP_4) | instskip(SKIP_3) | instid1(VALU_DEP_4)
	v_cndmask_b32_e64 v147, 0xff7fffff, v170, s15
	v_cmp_gt_i32_e64 s16, s28, v166
	v_cmp_gt_i32_e64 s17, s28, v167
	v_lshlrev_b32_e32 v160, 2, v151
	v_max3_f32 v143, v143, v146, v147
	s_delay_alu instid0(VALU_DEP_4) | instskip(NEXT) | instid1(VALU_DEP_4)
	v_cndmask_b32_e64 v144, 0xff7fffff, v169, s16
	v_cndmask_b32_e64 v145, 0xff7fffff, v168, s17
	s_delay_alu instid0(VALU_DEP_1) | instskip(SKIP_3) | instid1(VALU_DEP_1)
	v_max3_f32 v143, v143, v144, v145
	ds_bpermute_b32 v144, v160, v143
	s_waitcnt lgkmcnt(0)
	v_max_f32_e32 v144, v144, v144
	v_max_f32_e32 v159, v143, v144
	s_delay_alu instid0(VALU_DEP_1) | instskip(SKIP_4) | instid1(VALU_DEP_4)
	v_fma_f32 v145, s30, v193, -v159
	v_fma_f32 v146, s30, v194, -v159
	;; [unrolled: 1-line block ×5, first 2 shown]
	v_dual_mul_f32 v145, 0x3fb8aa3b, v145 :: v_dual_mul_f32 v146, 0x3fb8aa3b, v146
	s_delay_alu instid0(VALU_DEP_4) | instskip(SKIP_1) | instid1(VALU_DEP_4)
	v_mul_f32_e32 v132, 0x3fb8aa3b, v132
	v_fma_f32 v148, s30, v195, -v159
	v_mul_f32_e32 v144, 0x3fb8aa3b, v144
	s_delay_alu instid0(VALU_DEP_4)
	v_exp_f32_e32 v145, v145
	v_exp_f32_e32 v150, v146
	v_fma_f32 v149, s30, v196, -v159
	v_mul_f32_e32 v148, 0x3fb8aa3b, v148
	v_exp_f32_e32 v147, v144
	v_fma_f32 v134, s30, v134, -v159
	v_fma_f32 v151, s30, v197, -v159
	v_mul_f32_e32 v149, 0x3fb8aa3b, v149
	v_exp_f32_e32 v148, v148
	v_fma_f32 v152, s30, v198, -v159
	v_cndmask_b32_e64 v146, 0, v145, s3
	v_cndmask_b32_e64 v145, 0, v150, s4
	v_dual_mul_f32 v143, 0x3fb8aa3b, v143 :: v_dual_mul_f32 v134, 0x3fb8aa3b, v134
	v_mul_f32_e32 v151, 0x3fb8aa3b, v151
	v_exp_f32_e32 v149, v149
	v_fma_f32 v129, s30, v129, -v159
	s_delay_alu instid0(VALU_DEP_3)
	v_exp_f32_e32 v143, v143
	v_mul_f32_e32 v150, 0x3fb8aa3b, v152
	v_exp_f32_e32 v151, v151
	v_cndmask_b32_e64 v148, 0, v148, s5
	v_fma_f32 v130, s30, v130, -v159
	v_mul_f32_e32 v129, 0x3fb8aa3b, v129
	v_exp_f32_e32 v153, v150
	v_fma_f32 v131, s30, v131, -v159
	v_fma_f32 v133, s30, v133, -v159
	v_mul_f32_e32 v130, 0x3fb8aa3b, v130
	v_cndmask_b32_e32 v144, 0, v143, vcc_lo
	v_cndmask_b32_e64 v143, 0, v147, s2
	v_exp_f32_e32 v129, v129
	v_cndmask_b32_e64 v150, 0, v151, s7
	v_mul_f32_e32 v131, 0x3fb8aa3b, v131
	v_add_f32_e32 v147, 0, v144
	v_exp_f32_e32 v130, v130
	v_mul_f32_e32 v133, 0x3fb8aa3b, v133
	v_exp_f32_e32 v132, v132
	v_exp_f32_e32 v131, v131
	v_add_f32_e32 v147, v147, v143
	v_cmp_gt_u32_e64 s2, 16, v142
	v_exp_f32_e32 v133, v133
	s_delay_alu instid0(VALU_DEP_2)
	v_add_f32_e32 v147, v147, v146
	s_waitcnt_depctr 0xfff
	v_cndmask_b32_e64 v154, 0, v131, s11
	v_add_f32_e32 v152, v147, v145
	v_cndmask_b32_e64 v147, 0, v149, s6
	v_exp_f32_e32 v131, v134
	v_cndmask_b32_e64 v156, 0, v133, s13
	s_delay_alu instid0(VALU_DEP_3) | instskip(SKIP_1) | instid1(VALU_DEP_2)
	v_add_f32_e32 v149, v152, v148
	v_cndmask_b32_e64 v152, 0, v129, s9
	v_add_f32_e32 v151, v149, v147
	v_cndmask_b32_e64 v149, 0, v153, s8
	v_cndmask_b32_e64 v153, 0, v132, s12
	v_fma_f32 v132, s30, v136, -v159
	s_delay_alu instid0(TRANS32_DEP_1) | instskip(NEXT) | instid1(VALU_DEP_2)
	v_cndmask_b32_e64 v155, 0, v131, s15
	v_dual_add_f32 v151, v151, v150 :: v_dual_mul_f32 v132, 0x3fb8aa3b, v132
	s_delay_alu instid0(VALU_DEP_1) | instskip(SKIP_2) | instid1(VALU_DEP_4)
	v_add_f32_e32 v129, v151, v149
	v_cndmask_b32_e64 v151, 0, v130, s10
	v_fma_f32 v130, s30, v135, -v159
	v_exp_f32_e32 v131, v132
	s_delay_alu instid0(VALU_DEP_1) | instskip(NEXT) | instid1(VALU_DEP_1)
	v_dual_add_f32 v129, v129, v152 :: v_dual_mul_f32 v130, 0x3fb8aa3b, v130
	v_add_f32_e32 v129, v129, v151
	s_delay_alu instid0(VALU_DEP_2) | instskip(SKIP_3) | instid1(VALU_DEP_1)
	v_exp_f32_e32 v130, v130
	s_waitcnt_depctr 0xfff
	v_cndmask_b32_e64 v157, 0, v131, s17
	v_add_f32_e32 v129, v129, v154
	v_add_f32_e32 v129, v129, v153
	v_cndmask_b32_e64 v158, 0, v130, s16
	s_delay_alu instid0(VALU_DEP_2) | instskip(NEXT) | instid1(VALU_DEP_1)
	v_add_f32_e32 v129, v129, v156
	v_add_f32_e32 v129, v129, v155
	s_delay_alu instid0(VALU_DEP_1) | instskip(NEXT) | instid1(VALU_DEP_1)
	v_add_f32_e32 v129, v129, v158
	v_add_f32_e32 v129, v129, v157
	ds_bpermute_b32 v130, v160, v129
	s_and_saveexec_b32 s3, s2
	s_cbranch_execz .LBB304_12
; %bb.11:
	v_mul_u32_u24_e32 v131, 0x44, v141
	s_delay_alu instid0(VALU_DEP_1) | instskip(SKIP_1) | instid1(VALU_DEP_1)
	v_lshl_add_u32 v131, v140, 2, v131
	s_waitcnt lgkmcnt(0)
	v_dual_add_f32 v129, v129, v130 :: v_dual_add_nc_u32 v130, 0x4000, v131
	ds_store_2addr_b32 v130, v159, v129 offset1:136
.LBB304_12:
	s_or_b32 exec_lo, exec_lo, s3
	v_lshlrev_b32_e32 v129, 2, v140
	s_load_b32 s35, s[0:1], 0x94
	s_waitcnt lgkmcnt(0)
	s_barrier
	buffer_gl0_inv
	v_add_nc_u32_e32 v135, 0x4000, v129
	v_cmp_eq_u32_e32 vcc_lo, 1, v141
	v_cmp_eq_u32_e64 s3, 2, v141
	v_cmp_eq_u32_e64 s4, 3, v141
	;; [unrolled: 1-line block ×3, first 2 shown]
	ds_load_2addr_b32 v[129:130], v135 offset1:17
	ds_load_2addr_b32 v[131:132], v135 offset0:34 offset1:51
	ds_load_2addr_b32 v[133:134], v135 offset0:68 offset1:85
	;; [unrolled: 1-line block ×3, first 2 shown]
	v_cmp_eq_u32_e64 s6, 5, v141
	v_cmp_eq_u32_e64 s7, 7, v141
	s_waitcnt lgkmcnt(3)
	v_max3_f32 v136, v129, 0xff7fffff, v130
	s_waitcnt lgkmcnt(2)
	s_delay_alu instid0(VALU_DEP_1) | instskip(SKIP_1) | instid1(VALU_DEP_1)
	v_max3_f32 v136, v136, v131, v132
	s_waitcnt lgkmcnt(1)
	v_max3_f32 v136, v136, v133, v134
	s_waitcnt lgkmcnt(0)
	s_delay_alu instid0(VALU_DEP_1) | instskip(NEXT) | instid1(VALU_DEP_1)
	v_max3_f32 v136, v136, v159, v160
	v_sub_f32_e32 v142, v130, v136
	ds_load_2addr_b32 v[161:162], v135 offset0:136 offset1:153
	v_sub_f32_e32 v164, v132, v136
	v_mul_f32_e32 v142, 0x3fb8aa3b, v142
	s_delay_alu instid0(VALU_DEP_2) | instskip(NEXT) | instid1(VALU_DEP_2)
	v_mul_f32_e32 v164, 0x3fb8aa3b, v164
	v_exp_f32_e32 v166, v142
	v_sub_f32_e32 v129, v129, v136
	s_delay_alu instid0(VALU_DEP_2) | instskip(NEXT) | instid1(VALU_DEP_1)
	v_exp_f32_e32 v164, v164
	v_mul_f32_e32 v163, 0x3fb8aa3b, v129
	ds_load_2addr_b32 v[129:130], v135 offset0:170 offset1:187
	v_exp_f32_e32 v163, v163
	s_waitcnt lgkmcnt(1)
	s_waitcnt_depctr 0xfff
	v_fma_f32 v142, v163, v161, 0
	v_sub_f32_e32 v161, v134, v136
	s_delay_alu instid0(VALU_DEP_2) | instskip(NEXT) | instid1(VALU_DEP_1)
	v_dual_fmac_f32 v142, v166, v162 :: v_dual_sub_f32 v131, v131, v136
	v_mul_f32_e32 v165, 0x3fb8aa3b, v131
	ds_load_2addr_b32 v[131:132], v135 offset0:204 offset1:221
	v_exp_f32_e32 v165, v165
	s_waitcnt lgkmcnt(1)
	s_waitcnt_depctr 0xfff
	v_fmac_f32_e32 v142, v165, v129
	v_sub_f32_e32 v133, v133, v136
	v_sub_f32_e32 v129, v160, v136
	s_delay_alu instid0(VALU_DEP_2) | instskip(NEXT) | instid1(VALU_DEP_2)
	v_dual_fmac_f32 v142, v164, v130 :: v_dual_mul_f32 v167, 0x3fb8aa3b, v133
	v_mul_f32_e32 v129, 0x3fb8aa3b, v129
	ds_load_2addr_b32 v[133:134], v135 offset0:238 offset1:255
	v_cndmask_b32_e32 v130, v163, v166, vcc_lo
	s_waitcnt lgkmcnt(0)
	s_barrier
	v_exp_f32_e32 v162, v129
	v_sub_f32_e32 v135, v159, v136
	v_mul_f32_e32 v159, 0x3fb8aa3b, v161
	v_exp_f32_e32 v161, v167
	buffer_gl0_inv
	v_exp_f32_e32 v159, v159
	v_fmac_f32_e32 v142, v161, v131
	s_waitcnt_depctr 0xfff
	v_dual_mul_f32 v135, 0x3fb8aa3b, v135 :: v_dual_fmac_f32 v142, v159, v132
	s_delay_alu instid0(VALU_DEP_1) | instskip(SKIP_2) | instid1(VALU_DEP_1)
	v_exp_f32_e32 v160, v135
	s_waitcnt_depctr 0xfff
	v_dual_fmac_f32 v142, v160, v133 :: v_dual_lshlrev_b32 v133, 6, v140
	v_fmac_f32_e32 v142, v162, v134
	s_delay_alu instid0(VALU_DEP_2) | instskip(NEXT) | instid1(VALU_DEP_2)
	v_lshl_or_b32 v135, v141, 11, v133
	v_add_f32_e32 v134, 0x358637bd, v142
	s_delay_alu instid0(VALU_DEP_1) | instskip(SKIP_1) | instid1(VALU_DEP_2)
	v_div_scale_f32 v167, null, v134, v134, 1.0
	v_div_scale_f32 v163, vcc_lo, 1.0, v134, 1.0
	v_rcp_f32_e32 v168, v167
	s_waitcnt_depctr 0xfff
	v_fma_f32 v129, -v167, v168, 1.0
	s_delay_alu instid0(VALU_DEP_1) | instskip(SKIP_2) | instid1(VALU_DEP_2)
	v_fmac_f32_e32 v168, v129, v168
	v_cndmask_b32_e64 v129, v130, v165, s3
	v_cmp_eq_u32_e64 s3, 6, v141
	v_cndmask_b32_e64 v130, v129, v164, s4
	v_lshlrev_b32_e32 v129, 2, v138
	v_mul_f32_e32 v165, v163, v168
	s_delay_alu instid0(VALU_DEP_3) | instskip(NEXT) | instid1(VALU_DEP_3)
	v_cndmask_b32_e64 v161, v130, v161, s5
	v_or_b32_e32 v130, 1, v129
	s_delay_alu instid0(VALU_DEP_3)
	v_fma_f32 v131, -v167, v165, v163
	v_or_b32_e32 v132, 2, v129
	v_cmp_eq_u32_e64 s4, 1, v129
	v_cndmask_b32_e64 v141, v161, v159, s6
	v_cmp_eq_u32_e64 s9, 1, v130
	v_fmac_f32_e32 v165, v131, v168
	v_or_b32_e32 v131, 3, v129
	v_cmp_eq_u32_e64 s10, 1, v132
	v_cndmask_b32_e64 v141, v141, v160, s3
	v_cmp_eq_u32_e64 s5, 2, v129
	v_fma_f32 v159, -v167, v165, v163
	v_cmp_eq_u32_e64 s11, 1, v131
	v_cmp_eq_u32_e64 s16, 2, v131
	v_cndmask_b32_e64 v141, v141, v162, s7
	v_cmp_eq_u32_e64 s12, 2, v130
	v_div_fmas_f32 v159, v159, v168, v165
	v_cmp_eq_u32_e64 s18, 3, v131
	v_cmp_eq_u32_e32 vcc_lo, 3, v129
	v_cmp_eq_u32_e64 s13, 3, v130
	v_cmp_eq_u32_e64 s15, 2, v132
	v_div_fixup_f32 v159, v159, v134, 1.0
	v_lshl_or_b32 v134, v138, 4, v135
	v_cmp_eq_u32_e64 s22, 4, v131
	v_cmp_eq_u32_e64 s3, 4, v129
	;; [unrolled: 1-line block ×3, first 2 shown]
	v_mul_f32_e32 v141, v141, v159
	v_cmp_eq_u32_e64 s19, 4, v130
	v_cmp_eq_u32_e64 s24, 5, v131
	;; [unrolled: 1-line block ×4, first 2 shown]
	v_fma_mixlo_f16 v159, v141, v144, 0
	v_fma_mixlo_f16 v160, v141, v146, 0
	;; [unrolled: 1-line block ×8, first 2 shown]
	v_fma_mixhi_f16 v159, v141, v143, 0
	v_fma_mixhi_f16 v160, v141, v145, 0
	;; [unrolled: 1-line block ×8, first 2 shown]
	ds_store_b128 v134, v[159:162]
	ds_store_b128 v134, v[163:166] offset:1024
	s_waitcnt lgkmcnt(0)
	s_barrier
	buffer_gl0_inv
	ds_load_b128 v[143:146], v135
	ds_load_b128 v[147:150], v135 offset:16
	ds_load_b128 v[151:154], v135 offset:1024
	;; [unrolled: 1-line block ×3, first 2 shown]
	v_cmp_eq_u32_e64 s21, 4, v132
	v_cmp_eq_u32_e64 s27, 6, v131
	;; [unrolled: 1-line block ×10, first 2 shown]
	s_waitcnt lgkmcnt(3)
	v_lshrrev_b32_e32 v141, 16, v143
	s_waitcnt lgkmcnt(2)
	v_lshrrev_b32_e32 v162, 16, v147
	v_lshrrev_b32_e32 v159, 16, v144
	;; [unrolled: 1-line block ×3, first 2 shown]
	s_waitcnt lgkmcnt(1)
	v_lshrrev_b32_e32 v166, 16, v151
	v_cndmask_b32_e64 v174, v143, v141, s4
	v_cndmask_b32_e64 v176, v143, v141, s9
	;; [unrolled: 1-line block ×5, first 2 shown]
	s_waitcnt lgkmcnt(0)
	v_lshrrev_b32_e32 v170, 16, v155
	v_cndmask_b32_e64 v175, v147, v162, s4
	v_cndmask_b32_e64 v177, v147, v162, s9
	;; [unrolled: 1-line block ×19, first 2 shown]
	v_lshrrev_b32_e32 v160, 16, v145
	v_lshrrev_b32_e32 v164, 16, v149
	v_lshrrev_b32_e32 v167, 16, v152
	v_lshrrev_b32_e32 v171, 16, v156
	v_cndmask_b32_e64 v176, v178, v144, s15
	v_cndmask_b32_e64 v177, v179, v148, s15
	;; [unrolled: 1-line block ×8, first 2 shown]
	v_cndmask_b32_e32 v155, v166, v159, vcc_lo
	v_cndmask_b32_e32 v166, v170, v163, vcc_lo
	v_cndmask_b32_e64 v170, v174, v159, s13
	v_cndmask_b32_e64 v174, v175, v163, s13
	;; [unrolled: 1-line block ×6, first 2 shown]
	v_cndmask_b32_e32 v144, v144, v167, vcc_lo
	v_cndmask_b32_e32 v147, v147, v171, vcc_lo
	v_cndmask_b32_e64 v148, v148, v167, s13
	v_cndmask_b32_e64 v155, v155, v145, s3
	;; [unrolled: 1-line block ×7, first 2 shown]
	v_lshrrev_b32_e32 v161, 16, v146
	v_lshrrev_b32_e32 v165, 16, v150
	;; [unrolled: 1-line block ×4, first 2 shown]
	v_cndmask_b32_e64 v170, v175, v145, s21
	v_cndmask_b32_e64 v174, v176, v149, s21
	v_cndmask_b32_e64 v144, v144, v153, s3
	v_cndmask_b32_e64 v145, v147, v157, s3
	v_cndmask_b32_e64 v147, v148, v153, s19
	v_cndmask_b32_e64 v148, v155, v160, s6
	v_cndmask_b32_e64 v149, v159, v164, s6
	v_cndmask_b32_e64 v155, v163, v160, s20
	v_cndmask_b32_e64 v159, v166, v164, s20
	v_cndmask_b32_e64 v141, v141, v146, s27
	v_cndmask_b32_e64 v143, v143, v150, s27
	v_cndmask_b32_e64 v163, v170, v160, s23
	v_cndmask_b32_e64 v166, v174, v164, s23
	v_cndmask_b32_e64 v144, v144, v168, s6
	v_cndmask_b32_e64 v145, v145, v172, s6
	v_cndmask_b32_e64 v147, v147, v168, s20
	v_cndmask_b32_e64 v148, v148, v146, s7
	v_cndmask_b32_e64 v149, v149, v150, s7
	v_cndmask_b32_e64 v155, v155, v146, s25
	v_cndmask_b32_e64 v159, v159, v150, s25
	v_cndmask_b32_e64 v141, v141, v161, s29
	v_cndmask_b32_e64 v143, v143, v165, s29
	v_lshrrev_b32_e32 v169, 16, v154
	v_cndmask_b32_e64 v160, v163, v146, s26
	v_cndmask_b32_e64 v163, v166, v150, s26
	;; [unrolled: 1-line block ×9, first 2 shown]
	v_perm_b32 v146, v143, v141, 0x5040100
	v_cndmask_b32_e64 v141, v183, v156, s15
	v_cndmask_b32_e64 v143, v181, v156, s12
	;; [unrolled: 1-line block ×4, first 2 shown]
	v_perm_b32 v144, v159, v149, 0x5040100
	v_cndmask_b32_e64 v149, v162, v167, s17
	v_cndmask_b32_e64 v151, v151, v167, s18
	;; [unrolled: 1-line block ×15, first 2 shown]
	v_lshrrev_b32_e32 v173, 16, v158
	v_cndmask_b32_e64 v149, v149, v154, s26
	v_cndmask_b32_e64 v151, v151, v154, s27
	;; [unrolled: 1-line block ×13, first 2 shown]
	v_perm_b32 v145, v160, v155, 0x5040100
	v_perm_b32 v143, v148, v147, 0x5040100
	;; [unrolled: 1-line block ×6, first 2 shown]
	s_mul_i32 s7, s33, 3
	s_mov_b32 s3, exec_lo
	ds_store_b128 v134, v[143:146]
	ds_store_b128 v134, v[147:150] offset:1024
	v_cmpx_gt_u32_e32 3, v0
	s_cbranch_execz .LBB304_14
; %bb.13:
	s_mul_i32 s4, s7, s34
	s_load_b128 s[8:11], s[0:1], 0x58
	v_add3_u32 v143, s4, s31, v140
	s_delay_alu instid0(VALU_DEP_1) | instskip(NEXT) | instid1(VALU_DEP_1)
	v_mad_u64_u32 v[140:141], null, v143, s35, s[14:15]
	v_ashrrev_i32_e32 v141, 31, v140
	s_delay_alu instid0(VALU_DEP_1) | instskip(SKIP_1) | instid1(VALU_DEP_1)
	v_lshlrev_b64 v[140:141], 2, v[140:141]
	s_waitcnt lgkmcnt(0)
	v_add_co_u32 v143, vcc_lo, s10, v140
	s_delay_alu instid0(VALU_DEP_2)
	v_add_co_ci_u32_e32 v144, vcc_lo, s11, v141, vcc_lo
	v_add_co_u32 v140, vcc_lo, s8, v140
	v_add_co_ci_u32_e32 v141, vcc_lo, s9, v141, vcc_lo
	global_store_b32 v[143:144], v136, off
	global_store_b32 v[140:141], v142, off
.LBB304_14:
	s_or_b32 exec_lo, exec_lo, s3
	s_waitcnt lgkmcnt(0)
	s_waitcnt_vscnt null, 0x0
	s_barrier
	buffer_gl0_inv
	ds_load_b128 v[148:151], v133
	ds_load_b128 v[152:155], v133 offset:16
	ds_load_b128 v[160:163], v133 offset:1040
	;; [unrolled: 1-line block ×5, first 2 shown]
	v_cmp_eq_u32_e32 vcc_lo, 1, v132
	v_mov_b32_e32 v140, 0
	ds_load_b128 v[176:179], v133 offset:3088
	ds_load_b128 v[172:175], v133 offset:3072
	;; [unrolled: 1-line block ×4, first 2 shown]
	v_cmp_eq_u32_e64 s3, 1, v129
	v_cmp_eq_u32_e64 s4, 1, v131
	;; [unrolled: 1-line block ×3, first 2 shown]
	v_mov_b32_e32 v141, v140
	v_mov_b32_e32 v142, v140
	;; [unrolled: 1-line block ×7, first 2 shown]
	v_cmp_eq_u32_e64 s6, 2, v129
	s_waitcnt lgkmcnt(8)
	s_delay_alu instid0(VALU_DEP_2)
	v_wmma_f32_16x16x16_f16 v[140:147], v[121:128], v[148:155], v[140:147]
	ds_load_b128 v[125:128], v133 offset:5136
	ds_load_b128 v[121:124], v133 offset:5120
	s_waitcnt lgkmcnt(8)
	v_wmma_f32_16x16x16_f16 v[140:147], v[113:120], v[156:163], v[140:147]
	ds_load_b128 v[117:120], v133 offset:6160
	ds_load_b128 v[113:116], v133 offset:6144
	s_waitcnt lgkmcnt(8)
	;; [unrolled: 4-line block ×11, first 2 shown]
	s_barrier
	buffer_gl0_inv
	v_wmma_f32_16x16x16_f16 v[140:147], v[1:8], v[73:80], v[140:147]
	s_delay_alu instid0(VALU_DEP_1) | instskip(NEXT) | instid1(VALU_DEP_1)
	v_wmma_f32_16x16x16_f16 v[140:147], v[9:16], v[65:72], v[140:147]
	v_wmma_f32_16x16x16_f16 v[140:147], v[33:40], v[57:64], v[140:147]
	s_delay_alu instid0(VALU_DEP_1) | instskip(NEXT) | instid1(VALU_DEP_1)
	v_wmma_f32_16x16x16_f16 v[140:147], v[41:48], v[49:56], v[140:147]
	v_wmma_f32_16x16x16_f16 v[140:147], v[17:24], v[25:32], v[140:147]
	s_delay_alu instid0(VALU_DEP_1) | instskip(NEXT) | instid1(VALU_DEP_2)
	v_cvt_f16_f32_e64 v1, v140
	v_cvt_f16_f32_e64 v2, v141
	s_delay_alu instid0(VALU_DEP_3) | instskip(NEXT) | instid1(VALU_DEP_4)
	v_cvt_f16_f32_e64 v3, v142
	v_cvt_f16_f32_e64 v4, v143
	;; [unrolled: 1-line block ×6, first 2 shown]
	v_pack_b32_f16 v1, v1, v2
	v_pack_b32_f16 v2, v3, v4
	;; [unrolled: 1-line block ×3, first 2 shown]
	s_delay_alu instid0(VALU_DEP_4)
	v_pack_b32_f16 v4, v7, v8
	ds_store_b128 v134, v[1:4]
	s_waitcnt lgkmcnt(0)
	s_barrier
	buffer_gl0_inv
	ds_load_b128 v[1:4], v135
	ds_load_b128 v[5:8], v135 offset:16
	s_waitcnt lgkmcnt(1)
	v_lshrrev_b32_e32 v9, 16, v1
	s_waitcnt lgkmcnt(0)
	v_lshrrev_b32_e32 v13, 16, v5
	v_lshrrev_b32_e32 v10, 16, v2
	;; [unrolled: 1-line block ×4, first 2 shown]
	v_cndmask_b32_e64 v17, v1, v9, s3
	v_cndmask_b32_e64 v18, v5, v13, s3
	;; [unrolled: 1-line block ×3, first 2 shown]
	v_cmp_eq_u32_e64 s3, 2, v130
	v_cndmask_b32_e64 v20, v5, v13, s5
	v_cndmask_b32_e32 v21, v1, v9, vcc_lo
	v_cndmask_b32_e32 v22, v5, v13, vcc_lo
	v_cndmask_b32_e64 v1, v1, v9, s4
	v_cndmask_b32_e64 v5, v5, v13, s4
	v_cmp_eq_u32_e32 vcc_lo, 2, v132
	v_cmp_eq_u32_e64 s4, 2, v131
	v_cndmask_b32_e64 v9, v17, v2, s6
	v_cndmask_b32_e64 v13, v18, v6, s6
	;; [unrolled: 1-line block ×4, first 2 shown]
	v_cndmask_b32_e32 v19, v21, v2, vcc_lo
	v_cmp_eq_u32_e64 s3, 3, v132
	v_cndmask_b32_e32 v20, v22, v6, vcc_lo
	v_cndmask_b32_e64 v1, v1, v2, s4
	v_cmp_eq_u32_e32 vcc_lo, 3, v131
	v_cmp_eq_u32_e64 s5, 3, v129
	v_cndmask_b32_e64 v2, v5, v6, s4
	v_cmp_eq_u32_e64 s4, 3, v130
	v_cmp_eq_u32_e64 s6, 4, v129
	v_cndmask_b32_e32 v1, v1, v10, vcc_lo
	v_cndmask_b32_e64 v5, v9, v10, s5
	v_cndmask_b32_e64 v6, v13, v14, s5
	;; [unrolled: 1-line block ×3, first 2 shown]
	v_cmp_eq_u32_e64 s5, 4, v130
	v_cndmask_b32_e64 v13, v18, v14, s4
	v_cndmask_b32_e64 v17, v19, v10, s3
	;; [unrolled: 1-line block ×3, first 2 shown]
	v_cndmask_b32_e32 v2, v2, v14, vcc_lo
	v_cmp_eq_u32_e32 vcc_lo, 4, v132
	v_cmp_eq_u32_e64 s4, 4, v131
	v_lshrrev_b32_e32 v15, 16, v7
	v_cndmask_b32_e64 v5, v5, v3, s6
	v_cndmask_b32_e64 v6, v6, v7, s6
	v_cndmask_b32_e32 v14, v18, v7, vcc_lo
	v_cndmask_b32_e64 v9, v9, v3, s5
	v_cndmask_b32_e64 v10, v13, v7, s5
	v_cndmask_b32_e32 v13, v17, v3, vcc_lo
	v_cmp_eq_u32_e64 s3, 5, v132
	v_cndmask_b32_e64 v1, v1, v3, s4
	v_cmp_eq_u32_e32 vcc_lo, 5, v131
	v_cmp_eq_u32_e64 s5, 5, v129
	v_cndmask_b32_e64 v2, v2, v7, s4
	v_cmp_eq_u32_e64 s4, 5, v130
	v_cmp_eq_u32_e64 s6, 6, v129
	v_lshrrev_b32_e32 v12, 16, v4
	v_cndmask_b32_e64 v3, v5, v11, s5
	v_cndmask_b32_e64 v5, v6, v15, s5
	;; [unrolled: 1-line block ×3, first 2 shown]
	v_cmp_eq_u32_e64 s5, 6, v130
	v_cndmask_b32_e64 v7, v10, v15, s4
	v_cndmask_b32_e64 v9, v13, v11, s3
	;; [unrolled: 1-line block ×3, first 2 shown]
	v_cndmask_b32_e32 v1, v1, v11, vcc_lo
	v_cndmask_b32_e32 v2, v2, v15, vcc_lo
	v_cmp_eq_u32_e32 vcc_lo, 6, v132
	v_cmp_eq_u32_e64 s3, 6, v131
	v_lshrrev_b32_e32 v16, 16, v8
	v_cndmask_b32_e64 v3, v3, v4, s6
	v_cndmask_b32_e64 v5, v5, v8, s6
	v_cndmask_b32_e32 v9, v9, v4, vcc_lo
	v_cndmask_b32_e64 v6, v6, v4, s5
	v_cndmask_b32_e64 v7, v7, v8, s5
	v_cmp_eq_u32_e64 s4, 7, v132
	v_cndmask_b32_e32 v10, v10, v8, vcc_lo
	v_cndmask_b32_e64 v1, v1, v4, s3
	v_cmp_eq_u32_e32 vcc_lo, 7, v131
	v_cndmask_b32_e64 v2, v2, v8, s3
	v_cmp_eq_u32_e64 s3, 7, v129
	v_cmp_eq_u32_e64 s5, 7, v130
	v_cndmask_b32_e32 v1, v1, v12, vcc_lo
	s_delay_alu instid0(VALU_DEP_4) | instskip(NEXT) | instid1(VALU_DEP_4)
	v_cndmask_b32_e32 v2, v2, v16, vcc_lo
	v_cndmask_b32_e64 v8, v3, v12, s3
	s_delay_alu instid0(VALU_DEP_4)
	v_cndmask_b32_e64 v6, v6, v12, s5
	v_cndmask_b32_e64 v3, v9, v12, s4
	;; [unrolled: 1-line block ×5, first 2 shown]
	v_perm_b32 v4, v2, v1, 0x5040100
	s_mov_b32 s3, exec_lo
	v_perm_b32 v3, v9, v3, 0x5040100
	v_perm_b32 v2, v7, v6, 0x5040100
	;; [unrolled: 1-line block ×3, first 2 shown]
	ds_store_b128 v134, v[1:4]
	s_waitcnt lgkmcnt(0)
	s_barrier
	buffer_gl0_inv
	v_cmpx_gt_u32_e32 32, v0
	s_cbranch_execz .LBB304_2
; %bb.15:
	s_load_b64 s[4:5], s[0:1], 0x68
	v_lshlrev_b32_e32 v0, 10, v0
	v_lshlrev_b32_e32 v2, 4, v139
	v_add_nc_u32_e32 v1, s31, v138
	s_lshl_b32 s0, s35, 7
	s_delay_alu instid0(SALU_CYCLE_1) | instskip(NEXT) | instid1(VALU_DEP_2)
	s_mul_i32 s1, s0, s34
	v_and_or_b32 v0, 0x3800, v0, v2
	s_mul_i32 s6, s1, s7
	v_mul_lo_u32 v1, v1, s0
	s_ashr_i32 s7, s6, 31
	s_delay_alu instid0(VALU_DEP_2) | instskip(SKIP_1) | instid1(VALU_DEP_2)
	v_lshl_or_b32 v3, v138, 6, v0
	s_lshl_b64 s[6:7], s[6:7], 1
	v_ashrrev_i32_e32 v2, 31, v1
	ds_load_b128 v[3:6], v3
	s_waitcnt lgkmcnt(0)
	s_add_u32 s1, s4, s6
	s_addc_u32 s3, s5, s7
	s_lshl_b32 s4, s14, 7
	v_lshlrev_b64 v[7:8], 1, v[1:2]
	s_ashr_i32 s5, s4, 31
	s_delay_alu instid0(SALU_CYCLE_1) | instskip(NEXT) | instid1(SALU_CYCLE_1)
	s_lshl_b64 s[4:5], s[4:5], 1
	s_add_u32 s1, s1, s4
	s_addc_u32 s3, s3, s5
	v_add_co_u32 v1, s1, s1, v137
	s_delay_alu instid0(VALU_DEP_1) | instskip(NEXT) | instid1(VALU_DEP_2)
	v_add_co_ci_u32_e64 v2, null, s3, 0, s1
	v_add_co_u32 v7, vcc_lo, v1, v7
	s_delay_alu instid0(VALU_DEP_2)
	v_add_co_ci_u32_e32 v8, vcc_lo, v2, v8, vcc_lo
	global_store_b128 v[7:8], v[3:6], off
	s_and_b32 exec_lo, exec_lo, s2
	s_cbranch_execz .LBB304_2
; %bb.16:
	ds_load_b128 v[3:6], v0 offset:128
	s_add_i32 s1, s31, 2
	s_delay_alu instid0(SALU_CYCLE_1) | instskip(NEXT) | instid1(SALU_CYCLE_1)
	s_mul_i32 s0, s1, s0
	s_ashr_i32 s1, s0, 31
	s_delay_alu instid0(SALU_CYCLE_1) | instskip(NEXT) | instid1(SALU_CYCLE_1)
	s_lshl_b64 s[0:1], s[0:1], 1
	v_add_co_u32 v0, vcc_lo, v1, s0
	v_add_co_ci_u32_e32 v1, vcc_lo, s1, v2, vcc_lo
	s_waitcnt lgkmcnt(0)
	global_store_b128 v[0:1], v[3:6], off
	s_nop 0
	s_sendmsg sendmsg(MSG_DEALLOC_VGPRS)
	s_endpgm
	.section	.rodata,"a",@progbits
	.p2align	6, 0x0
	.amdhsa_kernel _Z39paged_attention_ll4mi_QKV_mfma16_kernelIDF16_DF16_LN4vllm18Fp8KVCacheDataTypeE0EDF16_Li16ELi128ELi256ELb0ELi3EL8MFMAType0EEvPKT_PKT0_S8_ifPKiSA_SA_iPKfiiiPfSD_PS3_PT2_iSC_SC_
		.amdhsa_group_segment_fixed_size 17472
		.amdhsa_private_segment_fixed_size 0
		.amdhsa_kernarg_size 400
		.amdhsa_user_sgpr_count 13
		.amdhsa_user_sgpr_dispatch_ptr 0
		.amdhsa_user_sgpr_queue_ptr 0
		.amdhsa_user_sgpr_kernarg_segment_ptr 1
		.amdhsa_user_sgpr_dispatch_id 0
		.amdhsa_user_sgpr_private_segment_size 0
		.amdhsa_wavefront_size32 1
		.amdhsa_uses_dynamic_stack 0
		.amdhsa_enable_private_segment 0
		.amdhsa_system_sgpr_workgroup_id_x 1
		.amdhsa_system_sgpr_workgroup_id_y 1
		.amdhsa_system_sgpr_workgroup_id_z 1
		.amdhsa_system_sgpr_workgroup_info 0
		.amdhsa_system_vgpr_workitem_id 0
		.amdhsa_next_free_vgpr 218
		.amdhsa_next_free_sgpr 52
		.amdhsa_reserve_vcc 1
		.amdhsa_float_round_mode_32 0
		.amdhsa_float_round_mode_16_64 0
		.amdhsa_float_denorm_mode_32 3
		.amdhsa_float_denorm_mode_16_64 3
		.amdhsa_dx10_clamp 1
		.amdhsa_ieee_mode 1
		.amdhsa_fp16_overflow 0
		.amdhsa_workgroup_processor_mode 1
		.amdhsa_memory_ordered 1
		.amdhsa_forward_progress 0
		.amdhsa_shared_vgpr_count 0
		.amdhsa_exception_fp_ieee_invalid_op 0
		.amdhsa_exception_fp_denorm_src 0
		.amdhsa_exception_fp_ieee_div_zero 0
		.amdhsa_exception_fp_ieee_overflow 0
		.amdhsa_exception_fp_ieee_underflow 0
		.amdhsa_exception_fp_ieee_inexact 0
		.amdhsa_exception_int_div_zero 0
	.end_amdhsa_kernel
	.section	.text._Z39paged_attention_ll4mi_QKV_mfma16_kernelIDF16_DF16_LN4vllm18Fp8KVCacheDataTypeE0EDF16_Li16ELi128ELi256ELb0ELi3EL8MFMAType0EEvPKT_PKT0_S8_ifPKiSA_SA_iPKfiiiPfSD_PS3_PT2_iSC_SC_,"axG",@progbits,_Z39paged_attention_ll4mi_QKV_mfma16_kernelIDF16_DF16_LN4vllm18Fp8KVCacheDataTypeE0EDF16_Li16ELi128ELi256ELb0ELi3EL8MFMAType0EEvPKT_PKT0_S8_ifPKiSA_SA_iPKfiiiPfSD_PS3_PT2_iSC_SC_,comdat
.Lfunc_end304:
	.size	_Z39paged_attention_ll4mi_QKV_mfma16_kernelIDF16_DF16_LN4vllm18Fp8KVCacheDataTypeE0EDF16_Li16ELi128ELi256ELb0ELi3EL8MFMAType0EEvPKT_PKT0_S8_ifPKiSA_SA_iPKfiiiPfSD_PS3_PT2_iSC_SC_, .Lfunc_end304-_Z39paged_attention_ll4mi_QKV_mfma16_kernelIDF16_DF16_LN4vllm18Fp8KVCacheDataTypeE0EDF16_Li16ELi128ELi256ELb0ELi3EL8MFMAType0EEvPKT_PKT0_S8_ifPKiSA_SA_iPKfiiiPfSD_PS3_PT2_iSC_SC_
                                        ; -- End function
	.section	.AMDGPU.csdata,"",@progbits
; Kernel info:
; codeLenInByte = 8004
; NumSgprs: 54
; NumVgprs: 218
; ScratchSize: 0
; MemoryBound: 0
; FloatMode: 240
; IeeeMode: 1
; LDSByteSize: 17472 bytes/workgroup (compile time only)
; SGPRBlocks: 6
; VGPRBlocks: 27
; NumSGPRsForWavesPerEU: 54
; NumVGPRsForWavesPerEU: 218
; Occupancy: 6
; WaveLimiterHint : 1
; COMPUTE_PGM_RSRC2:SCRATCH_EN: 0
; COMPUTE_PGM_RSRC2:USER_SGPR: 13
; COMPUTE_PGM_RSRC2:TRAP_HANDLER: 0
; COMPUTE_PGM_RSRC2:TGID_X_EN: 1
; COMPUTE_PGM_RSRC2:TGID_Y_EN: 1
; COMPUTE_PGM_RSRC2:TGID_Z_EN: 1
; COMPUTE_PGM_RSRC2:TIDIG_COMP_CNT: 0
	.section	.text._Z39paged_attention_ll4mi_QKV_mfma16_kernelIDF16_DF16_LN4vllm18Fp8KVCacheDataTypeE0EDF16_Li16ELi128ELi256ELb0ELi4EL8MFMAType0EEvPKT_PKT0_S8_ifPKiSA_SA_iPKfiiiPfSD_PS3_PT2_iSC_SC_,"axG",@progbits,_Z39paged_attention_ll4mi_QKV_mfma16_kernelIDF16_DF16_LN4vllm18Fp8KVCacheDataTypeE0EDF16_Li16ELi128ELi256ELb0ELi4EL8MFMAType0EEvPKT_PKT0_S8_ifPKiSA_SA_iPKfiiiPfSD_PS3_PT2_iSC_SC_,comdat
	.protected	_Z39paged_attention_ll4mi_QKV_mfma16_kernelIDF16_DF16_LN4vllm18Fp8KVCacheDataTypeE0EDF16_Li16ELi128ELi256ELb0ELi4EL8MFMAType0EEvPKT_PKT0_S8_ifPKiSA_SA_iPKfiiiPfSD_PS3_PT2_iSC_SC_ ; -- Begin function _Z39paged_attention_ll4mi_QKV_mfma16_kernelIDF16_DF16_LN4vllm18Fp8KVCacheDataTypeE0EDF16_Li16ELi128ELi256ELb0ELi4EL8MFMAType0EEvPKT_PKT0_S8_ifPKiSA_SA_iPKfiiiPfSD_PS3_PT2_iSC_SC_
	.globl	_Z39paged_attention_ll4mi_QKV_mfma16_kernelIDF16_DF16_LN4vllm18Fp8KVCacheDataTypeE0EDF16_Li16ELi128ELi256ELb0ELi4EL8MFMAType0EEvPKT_PKT0_S8_ifPKiSA_SA_iPKfiiiPfSD_PS3_PT2_iSC_SC_
	.p2align	8
	.type	_Z39paged_attention_ll4mi_QKV_mfma16_kernelIDF16_DF16_LN4vllm18Fp8KVCacheDataTypeE0EDF16_Li16ELi128ELi256ELb0ELi4EL8MFMAType0EEvPKT_PKT0_S8_ifPKiSA_SA_iPKfiiiPfSD_PS3_PT2_iSC_SC_,@function
_Z39paged_attention_ll4mi_QKV_mfma16_kernelIDF16_DF16_LN4vllm18Fp8KVCacheDataTypeE0EDF16_Li16ELi128ELi256ELb0ELi4EL8MFMAType0EEvPKT_PKT0_S8_ifPKiSA_SA_iPKfiiiPfSD_PS3_PT2_iSC_SC_: ; @_Z39paged_attention_ll4mi_QKV_mfma16_kernelIDF16_DF16_LN4vllm18Fp8KVCacheDataTypeE0EDF16_Li16ELi128ELi256ELb0ELi4EL8MFMAType0EEvPKT_PKT0_S8_ifPKiSA_SA_iPKfiiiPfSD_PS3_PT2_iSC_SC_
; %bb.0:
	s_load_b64 s[4:5], s[0:1], 0x30
	s_mov_b32 s30, s13
	s_waitcnt lgkmcnt(0)
	s_cmp_lg_u64 s[4:5], 0
	s_cselect_b32 s12, -1, 0
	s_ashr_i32 s31, s13, 31
	s_cmp_eq_u64 s[4:5], 0
	s_cbranch_scc1 .LBB305_3
; %bb.1:
	s_lshl_b64 s[2:3], s[30:31], 2
	s_delay_alu instid0(SALU_CYCLE_1) | instskip(SKIP_4) | instid1(SALU_CYCLE_1)
	s_add_u32 s2, s4, s2
	s_addc_u32 s3, s5, s3
	s_load_b64 s[2:3], s[2:3], 0x0
	s_waitcnt lgkmcnt(0)
	s_sub_i32 s2, s3, s2
	s_cmp_eq_u32 s2, 1
	s_cselect_b32 s2, -1, 0
	s_delay_alu instid0(SALU_CYCLE_1)
	s_and_not1_b32 vcc_lo, exec_lo, s2
	s_cbranch_vccz .LBB305_4
.LBB305_2:
	s_endpgm
.LBB305_3:
.LBB305_4:
	s_load_b64 s[2:3], s[0:1], 0x28
	s_lshl_b64 s[6:7], s[30:31], 2
	s_waitcnt lgkmcnt(0)
	s_add_u32 s2, s2, s6
	s_addc_u32 s3, s3, s7
	s_lshl_b32 s29, s14, 8
	s_load_b32 s28, s[2:3], 0x0
	s_waitcnt lgkmcnt(0)
	s_cmp_ge_i32 s29, s28
	s_cbranch_scc1 .LBB305_2
; %bb.5:
	s_clause 0x1
	s_load_b128 s[8:11], s[0:1], 0x8
	s_load_b64 s[2:3], s[0:1], 0x20
	s_and_not1_b32 vcc_lo, exec_lo, s12
	s_cbranch_vccnz .LBB305_7
; %bb.6:
	s_add_u32 s4, s4, s6
	s_addc_u32 s5, s5, s7
	s_load_b32 s12, s[4:5], 0x0
	s_branch .LBB305_8
.LBB305_7:
	s_mov_b32 s12, s30
.LBB305_8:
	s_load_b128 s[4:7], s[0:1], 0x48
	v_and_b32_e32 v141, 15, v0
	v_lshrrev_b32_e32 v140, 5, v0
	v_and_b32_e32 v142, 31, v0
	v_and_b32_e32 v139, 1, v0
	v_bfe_u32 v138, v0, 4, 1
	v_lshlrev_b32_e32 v1, 3, v141
	s_lshl_b32 s31, s15, 2
	s_waitcnt lgkmcnt(0)
	s_mov_b32 s7, exec_lo
	s_delay_alu instid0(VALU_DEP_1)
	v_lshlrev_b32_e32 v137, 1, v1
	v_cmpx_gt_u32_e32 64, v0
	s_cbranch_execz .LBB305_10
; %bb.9:
	v_lshl_or_b32 v5, v140, 1, v138
	s_load_b64 s[16:17], s[0:1], 0x0
	s_mul_hi_i32 s13, s12, s4
	s_mul_i32 s12, s12, s4
	v_lshlrev_b32_e32 v6, 10, v141
	v_or_b32_e32 v1, s31, v5
	s_lshl_b64 s[12:13], s[12:13], 1
	v_lshlrev_b32_e32 v5, 6, v5
	v_lshlrev_b32_e32 v7, 10, v139
	v_and_b32_e32 v6, 0x3800, v6
	v_lshlrev_b32_e32 v1, 7, v1
	s_delay_alu instid0(VALU_DEP_2) | instskip(NEXT) | instid1(VALU_DEP_2)
	v_or3_b32 v5, v6, v7, v5
	v_ashrrev_i32_e32 v2, 31, v1
	s_delay_alu instid0(VALU_DEP_1) | instskip(SKIP_3) | instid1(VALU_DEP_1)
	v_lshlrev_b64 v[1:2], 1, v[1:2]
	s_waitcnt lgkmcnt(0)
	s_add_u32 s4, s16, s12
	s_addc_u32 s12, s17, s13
	v_add_co_u32 v1, vcc_lo, s4, v1
	s_delay_alu instid0(VALU_DEP_2) | instskip(NEXT) | instid1(VALU_DEP_2)
	v_add_co_ci_u32_e32 v2, vcc_lo, s12, v2, vcc_lo
	v_add_co_u32 v1, vcc_lo, v1, v137
	s_delay_alu instid0(VALU_DEP_2)
	v_add_co_ci_u32_e32 v2, vcc_lo, 0, v2, vcc_lo
	global_load_b128 v[1:4], v[1:2], off
	s_waitcnt vmcnt(0)
	ds_store_b128 v5, v[1:4]
.LBB305_10:
	s_or_b32 exec_lo, exec_lo, s7
	s_mov_b32 s40, 0
	s_add_i32 s4, s28, 15
	s_mov_b32 s41, s40
	s_mov_b32 s42, s40
	;; [unrolled: 1-line block ×7, first 2 shown]
	s_delay_alu instid0(SALU_CYCLE_1)
	v_dual_mov_b32 v136, s47 :: v_dual_and_b32 v1, 0xef, v0
	v_mov_b32_e32 v134, s45
	s_clause 0x1
	s_load_b32 s7, s[0:1], 0x38
	s_load_b32 s33, s[0:1], 0x98
	v_add_nc_u32_e32 v1, s29, v1
	s_ashr_i32 s12, s4, 31
	s_load_b32 s34, s[0:1], 0x1c
	s_lshr_b32 s12, s12, 28
	s_waitcnt lgkmcnt(0)
	v_ashrrev_i32_e32 v2, 31, v1
	s_add_i32 s4, s4, s12
	v_cmp_gt_i32_e32 vcc_lo, s28, v1
	v_mov_b32_e32 v135, s46
	s_ashr_i32 s4, s4, 4
	v_lshrrev_b32_e32 v3, 28, v2
	v_or_b32_e32 v2, 16, v1
	s_add_i32 s4, s4, -1
	v_mov_b32_e32 v132, s43
	s_barrier
	v_add_nc_u32_e32 v4, v1, v3
	v_add_nc_u32_e32 v3, v2, v3
	buffer_gl0_inv
	v_lshlrev_b32_e32 v106, 5, v141
	s_mul_i32 s12, s30, s7
	v_ashrrev_i32_e32 v4, 4, v4
	v_ashrrev_i32_e32 v3, 4, v3
	s_ashr_i32 s13, s12, 31
	v_and_b32_e32 v105, 3, v0
	s_lshl_b64 s[12:13], s[12:13], 2
	v_cndmask_b32_e32 v1, s4, v4, vcc_lo
	v_cmp_gt_i32_e32 vcc_lo, s28, v2
	s_add_u32 s35, s2, s12
	s_addc_u32 s36, s3, s13
	s_mul_i32 s2, s15, s6
	v_ashrrev_i32_e32 v2, 31, v1
	v_cndmask_b32_e32 v3, s4, v3, vcc_lo
	s_ashr_i32 s3, s2, 31
	v_lshlrev_b32_e32 v215, 6, v105
	s_lshl_b64 s[2:3], s[2:3], 1
	v_lshlrev_b64 v[1:2], 2, v[1:2]
	v_ashrrev_i32_e32 v4, 31, v3
	s_add_u32 s22, s8, s2
	s_addc_u32 s23, s9, s3
	s_lshl_b32 s6, s14, 4
	v_lshl_or_b32 v125, v140, 9, v106
	v_lshlrev_b64 v[3:4], 2, v[3:4]
	v_add_co_u32 v1, vcc_lo, s35, v1
	v_add_co_ci_u32_e32 v2, vcc_lo, s36, v2, vcc_lo
	s_ashr_i32 s7, s6, 31
	s_delay_alu instid0(VALU_DEP_3) | instskip(NEXT) | instid1(VALU_DEP_4)
	v_add_co_u32 v3, vcc_lo, s35, v3
	v_add_co_ci_u32_e32 v4, vcc_lo, s36, v4, vcc_lo
	s_clause 0x1
	global_load_b32 v5, v[1:2], off
	global_load_b32 v6, v[3:4], off
	s_lshl_b64 s[6:7], s[6:7], 2
	v_dual_mov_b32 v130, s41 :: v_dual_lshlrev_b32 v3, 4, v0
	s_add_u32 s6, s35, s6
	s_addc_u32 s7, s36, s7
	s_or_b32 s8, s29, 16
	v_mov_b32_e32 v133, s44
	s_ashr_i32 s9, s8, 4
	s_cmp_lt_i32 s8, s28
	v_mov_b32_e32 v131, s42
	s_cselect_b32 s8, s9, s4
	v_mov_b32_e32 v129, s40
	s_ashr_i32 s9, s8, 31
	s_delay_alu instid0(SALU_CYCLE_1) | instskip(NEXT) | instid1(SALU_CYCLE_1)
	s_lshl_b64 s[8:9], s[8:9], 2
	s_add_u32 s8, s35, s8
	s_addc_u32 s9, s36, s9
	s_or_b32 s12, s29, 32
	s_delay_alu instid0(SALU_CYCLE_1) | instskip(SKIP_2) | instid1(SALU_CYCLE_1)
	s_ashr_i32 s13, s12, 4
	s_cmp_lt_i32 s12, s28
	s_cselect_b32 s12, s13, s4
	s_ashr_i32 s13, s12, 31
	s_delay_alu instid0(SALU_CYCLE_1) | instskip(NEXT) | instid1(SALU_CYCLE_1)
	s_lshl_b64 s[12:13], s[12:13], 2
	s_add_u32 s12, s35, s12
	s_addc_u32 s13, s36, s13
	s_or_b32 s15, s29, 48
	s_delay_alu instid0(SALU_CYCLE_1) | instskip(SKIP_2) | instid1(SALU_CYCLE_1)
	s_ashr_i32 s16, s15, 4
	s_cmp_lt_i32 s15, s28
	s_cselect_b32 s16, s16, s4
	;; [unrolled: 10-line block ×4, first 2 shown]
	s_ashr_i32 s21, s20, 31
	s_delay_alu instid0(SALU_CYCLE_1) | instskip(NEXT) | instid1(SALU_CYCLE_1)
	s_lshl_b64 s[20:21], s[20:21], 2
	s_add_u32 s20, s35, s20
	s_addc_u32 s21, s36, s21
	s_clause 0x5
	s_load_b32 s6, s[6:7], 0x0
	s_load_b32 s8, s[8:9], 0x0
	;; [unrolled: 1-line block ×6, first 2 shown]
	s_waitcnt vmcnt(1)
	v_mad_i64_i32 v[1:2], null, v5, s5, 0
	v_and_b32_e32 v5, 0xf0, v3
	s_waitcnt vmcnt(0)
	v_mad_i64_i32 v[3:4], null, v6, s5, 0
	s_delay_alu instid0(VALU_DEP_2) | instskip(NEXT) | instid1(VALU_DEP_4)
	v_add_co_u32 v5, s7, s22, v5
	v_lshlrev_b64 v[1:2], 1, v[1:2]
	v_add_co_ci_u32_e64 v6, null, s23, 0, s7
	s_delay_alu instid0(VALU_DEP_4) | instskip(SKIP_1) | instid1(VALU_DEP_3)
	v_lshlrev_b64 v[3:4], 1, v[3:4]
	s_or_b32 s7, s29, 0x60
	v_add_co_u32 v121, vcc_lo, v5, v1
	s_delay_alu instid0(VALU_DEP_3) | instskip(NEXT) | instid1(VALU_DEP_3)
	v_add_co_ci_u32_e32 v122, vcc_lo, v6, v2, vcc_lo
	v_add_co_u32 v123, vcc_lo, v5, v3
	s_delay_alu instid0(VALU_DEP_4)
	v_add_co_ci_u32_e32 v124, vcc_lo, v6, v4, vcc_lo
	s_clause 0x19
	global_load_b128 v[89:92], v[121:122], off
	global_load_b128 v[93:96], v[121:122], off offset:256
	global_load_b128 v[97:100], v[123:124], off
	global_load_b128 v[101:104], v[123:124], off offset:256
	global_load_b128 v[81:84], v[121:122], off offset:512
	;; [unrolled: 1-line block ×23, first 2 shown]
	s_ashr_i32 s9, s7, 4
	s_cmp_lt_i32 s7, s28
	ds_load_b128 v[105:108], v215
	ds_load_b128 v[109:112], v215 offset:1024
	s_cselect_b32 s20, s9, s4
	ds_load_b128 v[113:116], v215 offset:2048
	ds_load_b128 v[117:120], v215 offset:3072
	s_ashr_i32 s21, s20, 31
	ds_load_b128 v[143:146], v215 offset:4096
	ds_load_b128 v[147:150], v215 offset:5120
	s_lshl_b64 s[20:21], s[20:21], 2
	ds_load_b128 v[151:154], v215 offset:6144
	ds_load_b128 v[155:158], v215 offset:7168
	s_add_u32 s20, s35, s20
	s_addc_u32 s21, s36, s21
	s_or_b32 s7, s29, 0x70
	ds_load_b128 v[159:162], v215 offset:8192
	ds_load_b128 v[163:166], v215 offset:9216
	s_ashr_i32 s9, s7, 4
	s_cmp_lt_i32 s7, s28
	s_clause 0x1
	global_load_b128 v[167:170], v[123:124], off offset:3072
	global_load_b128 v[171:174], v[123:124], off offset:3328
	s_cselect_b32 s22, s9, s4
	s_delay_alu instid0(SALU_CYCLE_1) | instskip(NEXT) | instid1(SALU_CYCLE_1)
	s_ashr_i32 s23, s22, 31
	s_lshl_b64 s[22:23], s[22:23], 2
	s_delay_alu instid0(SALU_CYCLE_1)
	s_add_u32 s22, s35, s22
	s_addc_u32 s23, s36, s23
	s_clause 0x1
	s_load_b32 s44, s[20:21], 0x0
	s_load_b32 s45, s[22:23], 0x0
	s_clause 0x3
	global_load_b128 v[175:178], v[121:122], off offset:3584
	global_load_b128 v[179:182], v[121:122], off offset:3840
	;; [unrolled: 1-line block ×4, first 2 shown]
	s_or_b32 s7, s29, 0x80
	s_delay_alu instid0(SALU_CYCLE_1) | instskip(SKIP_2) | instid1(SALU_CYCLE_1)
	s_ashr_i32 s9, s7, 4
	s_cmp_lt_i32 s7, s28
	s_cselect_b32 s24, s9, s4
	s_ashr_i32 s25, s24, 31
	s_delay_alu instid0(SALU_CYCLE_1) | instskip(NEXT) | instid1(SALU_CYCLE_1)
	s_lshl_b64 s[24:25], s[24:25], 2
	s_add_u32 s24, s35, s24
	s_addc_u32 s25, s36, s25
	s_or_b32 s7, s29, 0x90
	s_delay_alu instid0(SALU_CYCLE_1) | instskip(SKIP_2) | instid1(SALU_CYCLE_1)
	s_ashr_i32 s9, s7, 4
	s_cmp_lt_i32 s7, s28
	s_cselect_b32 s26, s9, s4
	s_ashr_i32 s27, s26, 31
	s_delay_alu instid0(SALU_CYCLE_1) | instskip(NEXT) | instid1(SALU_CYCLE_1)
	s_lshl_b64 s[26:27], s[26:27], 2
	s_add_u32 s26, s35, s26
	s_addc_u32 s27, s36, s27
	s_or_b32 s7, s29, 0xa0
	s_delay_alu instid0(SALU_CYCLE_1)
	s_ashr_i32 s9, s7, 4
	s_cmp_lt_i32 s7, s28
	s_waitcnt lgkmcnt(0)
	s_mul_hi_i32 s7, s6, s5
	s_cselect_b32 s38, s9, s4
	s_mul_i32 s6, s6, s5
	s_ashr_i32 s39, s38, 31
	s_delay_alu instid0(SALU_CYCLE_1) | instskip(NEXT) | instid1(SALU_CYCLE_1)
	s_lshl_b64 s[38:39], s[38:39], 2
	s_add_u32 s38, s35, s38
	s_addc_u32 s39, s36, s39
	s_or_b32 s9, s29, 0xb0
	s_load_b32 s39, s[38:39], 0x0
	s_ashr_i32 s13, s9, 4
	s_cmp_lt_i32 s9, s28
	s_mul_hi_i32 s9, s8, s5
	s_cselect_b32 s40, s13, s4
	s_mul_i32 s8, s8, s5
	s_ashr_i32 s41, s40, 31
	s_mul_hi_i32 s13, s12, s5
	s_lshl_b64 s[40:41], s[40:41], 2
	s_mul_i32 s12, s12, s5
	s_add_u32 s42, s35, s40
	s_addc_u32 s43, s36, s41
	s_or_b32 s17, s29, 0xc0
	s_delay_alu instid0(SALU_CYCLE_1)
	s_ashr_i32 s19, s17, 4
	s_cmp_lt_i32 s17, s28
	s_mul_hi_i32 s17, s16, s5
	s_cselect_b32 s40, s19, s4
	s_mul_i32 s16, s16, s5
	s_ashr_i32 s41, s40, 31
	s_mul_hi_i32 s19, s18, s5
	s_lshl_b64 s[40:41], s[40:41], 2
	s_mul_i32 s18, s18, s5
	s_add_u32 s22, s35, s40
	s_addc_u32 s23, s36, s41
	s_or_b32 s20, s29, 0xd0
	s_clause 0x1
	s_load_b32 s41, s[24:25], 0x0
	s_load_b32 s40, s[26:27], 0x0
	s_ashr_i32 s21, s20, 4
	s_cmp_lt_i32 s20, s28
	s_mul_i32 s20, s15, s5
	s_cselect_b32 s24, s21, s4
	s_mul_hi_i32 s21, s15, s5
	s_ashr_i32 s25, s24, 31
	s_delay_alu instid0(SALU_CYCLE_1) | instskip(NEXT) | instid1(SALU_CYCLE_1)
	s_lshl_b64 s[24:25], s[24:25], 2
	s_add_u32 s24, s35, s24
	s_addc_u32 s25, s36, s25
	s_or_b32 s46, s29, 0xe0
	s_clause 0x2
	s_load_b32 s38, s[42:43], 0x0
	s_load_b32 s37, s[22:23], 0x0
	;; [unrolled: 1-line block ×3, first 2 shown]
	s_ashr_i32 s47, s46, 4
	s_cmp_lt_i32 s46, s28
	s_mul_hi_i32 s23, s44, s5
	s_cselect_b32 s42, s47, s4
	s_mul_i32 s22, s44, s5
	s_ashr_i32 s43, s42, 31
	s_mul_hi_i32 s25, s45, s5
	s_lshl_b64 s[42:43], s[42:43], 2
	s_mul_i32 s24, s45, s5
	s_add_u32 s42, s35, s42
	s_addc_u32 s43, s36, s43
	s_or_b32 s46, s29, 0xf0
	s_waitcnt lgkmcnt(0)
	s_mul_hi_i32 s27, s41, s5
	s_ashr_i32 s47, s46, 4
	s_cmp_lt_i32 s46, s28
	s_mul_i32 s26, s41, s5
	s_cselect_b32 s46, s47, s4
	s_mul_hi_i32 s41, s40, s5
	s_ashr_i32 s47, s46, 31
	s_mul_hi_i32 s51, s15, s5
	s_lshl_b64 s[46:47], s[46:47], 2
	s_mul_i32 s50, s15, s5
	s_add_u32 s46, s35, s46
	s_addc_u32 s47, s36, s47
	s_add_u32 s4, s10, s2
	s_addc_u32 s15, s11, s3
	v_add_co_u32 v216, s4, s4, v125
	s_delay_alu instid0(VALU_DEP_1) | instskip(SKIP_2) | instid1(VALU_DEP_2)
	v_add_co_ci_u32_e64 v217, null, s15, 0, s4
	s_lshl_b64 s[2:3], s[6:7], 1
	s_lshl_b64 s[6:7], s[8:9], 1
	v_add_co_u32 v125, vcc_lo, v216, s2
	s_delay_alu instid0(VALU_DEP_2)
	v_add_co_ci_u32_e32 v126, vcc_lo, s3, v217, vcc_lo
	v_add_co_u32 v199, vcc_lo, v216, s6
	s_lshl_b64 s[8:9], s[12:13], 1
	v_add_co_ci_u32_e32 v200, vcc_lo, s7, v217, vcc_lo
	s_lshl_b64 s[10:11], s[16:17], 1
	s_lshl_b64 s[12:13], s[18:19], 1
	;; [unrolled: 1-line block ×6, first 2 shown]
	s_mul_i32 s40, s40, s5
	s_mul_hi_i32 s45, s39, s5
	s_lshl_b64 s[24:25], s[40:41], 1
	s_mul_i32 s44, s39, s5
	s_mul_hi_i32 s39, s38, s5
	s_lshl_b64 s[26:27], s[44:45], 1
	s_mul_i32 s38, s38, s5
	s_mul_hi_i32 s49, s37, s5
	s_mul_i32 s48, s37, s5
	s_lshl_b64 s[36:37], s[38:39], 1
	s_lshl_b64 s[38:39], s[48:49], 1
	s_clause 0x1
	s_load_b32 s4, s[42:43], 0x0
	s_load_b32 s15, s[46:47], 0x0
	s_lshl_b64 s[40:41], s[50:51], 1
	s_waitcnt lgkmcnt(0)
	s_mul_hi_i32 s3, s4, s5
	s_mul_i32 s2, s4, s5
	s_mul_hi_i32 s7, s15, s5
	s_lshl_b64 s[2:3], s[2:3], 1
	s_mul_i32 s6, s15, s5
	s_waitcnt vmcnt(30)
	v_wmma_f32_16x16x16_f16 v[191:198], v[89:96], v[105:112], v[129:136]
	v_add_co_u32 v89, vcc_lo, v216, s8
	v_add_co_ci_u32_e32 v90, vcc_lo, s9, v217, vcc_lo
	v_add_co_u32 v91, vcc_lo, v216, s10
	v_add_co_ci_u32_e32 v92, vcc_lo, s11, v217, vcc_lo
	;; [unrolled: 2-line block ×5, first 2 shown]
	v_add_co_u32 v205, vcc_lo, v216, s20
	s_waitcnt vmcnt(28)
	v_wmma_f32_16x16x16_f16 v[129:136], v[97:104], v[105:112], v[129:136]
	v_add_co_ci_u32_e32 v206, vcc_lo, s21, v217, vcc_lo
	v_add_co_u32 v207, vcc_lo, v216, s22
	v_add_co_ci_u32_e32 v208, vcc_lo, s23, v217, vcc_lo
	v_add_co_u32 v209, vcc_lo, v216, s24
	s_waitcnt vmcnt(26)
	v_wmma_f32_16x16x16_f16 v[191:198], v[81:88], v[113:120], v[191:198]
	s_waitcnt vmcnt(24)
	v_wmma_f32_16x16x16_f16 v[129:136], v[73:80], v[113:120], v[129:136]
	v_add_co_ci_u32_e32 v210, vcc_lo, s25, v217, vcc_lo
	v_add_co_u32 v211, vcc_lo, v216, s26
	v_add_co_ci_u32_e32 v212, vcc_lo, s27, v217, vcc_lo
	v_add_co_u32 v213, vcc_lo, v216, s36
	s_waitcnt vmcnt(22)
	v_wmma_f32_16x16x16_f16 v[191:198], v[65:72], v[143:150], v[191:198]
	s_waitcnt vmcnt(20)
	v_wmma_f32_16x16x16_f16 v[129:136], v[57:64], v[143:150], v[129:136]
	v_add_co_ci_u32_e32 v214, vcc_lo, s37, v217, vcc_lo
	v_add_co_u32 v143, vcc_lo, v216, s38
	s_waitcnt vmcnt(18)
	v_wmma_f32_16x16x16_f16 v[191:198], v[49:56], v[151:158], v[191:198]
	s_waitcnt vmcnt(16)
	v_wmma_f32_16x16x16_f16 v[129:136], v[25:32], v[151:158], v[129:136]
	v_add_co_ci_u32_e32 v144, vcc_lo, s39, v217, vcc_lo
	s_clause 0x15
	global_load_b128 v[121:124], v[125:126], off
	global_load_b128 v[125:128], v[125:126], off offset:16
	global_load_b128 v[113:116], v[199:200], off
	global_load_b128 v[117:120], v[199:200], off offset:16
	;; [unrolled: 2-line block ×11, first 2 shown]
	s_waitcnt vmcnt(36)
	v_wmma_f32_16x16x16_f16 v[191:198], v[1:8], v[159:166], v[191:198]
	s_clause 0x1
	global_load_b128 v[1:4], v[213:214], off
	global_load_b128 v[5:8], v[213:214], off offset:16
	s_waitcnt vmcnt(36)
	v_wmma_f32_16x16x16_f16 v[129:136], v[9:16], v[159:166], v[129:136]
	s_clause 0x1
	global_load_b128 v[9:12], v[143:144], off
	global_load_b128 v[13:16], v[143:144], off offset:16
	ds_load_b128 v[143:146], v215 offset:10240
	ds_load_b128 v[147:150], v215 offset:11264
	;; [unrolled: 1-line block ×4, first 2 shown]
	v_add_co_u32 v199, vcc_lo, v216, s40
	v_add_co_ci_u32_e32 v200, vcc_lo, s41, v217, vcc_lo
	v_add_co_u32 v159, vcc_lo, v216, s2
	v_add_co_ci_u32_e32 v160, vcc_lo, s3, v217, vcc_lo
	s_lshl_b64 s[2:3], s[6:7], 1
	s_delay_alu instid0(SALU_CYCLE_1)
	v_add_co_u32 v161, vcc_lo, v216, s2
	v_add_co_ci_u32_e32 v162, vcc_lo, s3, v217, vcc_lo
	s_waitcnt vmcnt(36) lgkmcnt(2)
	v_wmma_f32_16x16x16_f16 v[191:198], v[41:48], v[143:150], v[191:198]
	s_waitcnt vmcnt(34)
	v_wmma_f32_16x16x16_f16 v[129:136], v[33:40], v[143:150], v[129:136]
	s_clause 0x3
	global_load_b128 v[33:36], v[199:200], off
	global_load_b128 v[37:40], v[199:200], off offset:16
	global_load_b128 v[41:44], v[159:160], off
	global_load_b128 v[45:48], v[159:160], off offset:16
	v_and_b32_e32 v143, 0xe0, v0
	v_mbcnt_lo_u32_b32 v159, -1, 0
	s_waitcnt vmcnt(36) lgkmcnt(0)
	v_wmma_f32_16x16x16_f16 v[191:198], v[17:24], v[151:158], v[191:198]
	s_clause 0x1
	global_load_b128 v[17:20], v[161:162], off
	global_load_b128 v[21:24], v[161:162], off offset:16
	s_waitcnt vmcnt(36)
	v_wmma_f32_16x16x16_f16 v[129:136], v[167:174], v[151:158], v[129:136]
	v_add_nc_u32_e32 v160, s29, v143
	ds_load_b128 v[143:146], v215 offset:14336
	ds_load_b128 v[147:150], v215 offset:15360
	v_xor_b32_e32 v151, 16, v159
	s_waitcnt vmcnt(0) lgkmcnt(0)
	s_barrier
	v_or_b32_e32 v152, v160, v138
	buffer_gl0_inv
	v_cmp_gt_i32_e32 vcc_lo, 32, v151
	v_or_b32_e32 v153, 2, v152
	v_or_b32_e32 v154, 4, v152
	;; [unrolled: 1-line block ×5, first 2 shown]
	v_cmp_gt_i32_e64 s2, s28, v153
	v_cmp_gt_i32_e64 s3, s28, v154
	;; [unrolled: 1-line block ×3, first 2 shown]
	v_or_b32_e32 v158, 12, v152
	v_cmp_gt_i32_e64 s5, s28, v156
	v_cmp_gt_i32_e64 s6, s28, v157
	v_wmma_f32_16x16x16_f16 v[191:198], v[175:182], v[143:150], v[191:198]
	v_wmma_f32_16x16x16_f16 v[129:136], v[183:190], v[143:150], v[129:136]
	v_cndmask_b32_e32 v151, v159, v151, vcc_lo
	v_cmp_gt_i32_e32 vcc_lo, s28, v152
	v_or_b32_e32 v159, 14, v152
	v_dual_mul_f32 v149, s34, v192 :: v_dual_mul_f32 v150, s34, v191
	v_dual_mul_f32 v147, s34, v194 :: v_dual_mul_f32 v148, s34, v193
	;; [unrolled: 1-line block ×3, first 2 shown]
	s_delay_alu instid0(VALU_DEP_3) | instskip(NEXT) | instid1(VALU_DEP_4)
	v_cndmask_b32_e32 v150, 0xff7fffff, v150, vcc_lo
	v_cndmask_b32_e64 v149, 0xff7fffff, v149, s2
	v_mul_f32_e32 v146, s34, v195
	v_cndmask_b32_e64 v148, 0xff7fffff, v148, s3
	v_cndmask_b32_e64 v147, 0xff7fffff, v147, s4
	v_or_b32_e32 v160, 16, v152
	v_max3_f32 v149, v150, 0xff7fffff, v149
	v_or_b32_e32 v161, 18, v152
	v_mul_f32_e32 v144, s34, v197
	v_dual_mul_f32 v172, s34, v132 :: v_dual_mul_f32 v143, s34, v198
	v_cndmask_b32_e64 v146, 0xff7fffff, v146, s5
	v_cndmask_b32_e64 v145, 0xff7fffff, v145, s6
	v_max3_f32 v147, v149, v148, v147
	v_cmp_gt_i32_e64 s7, s28, v158
	v_cmp_gt_i32_e64 s8, s28, v159
	v_or_b32_e32 v162, 20, v152
	v_or_b32_e32 v163, 22, v152
	v_mul_f32_e32 v175, s34, v129
	v_cndmask_b32_e64 v144, 0xff7fffff, v144, s7
	v_max3_f32 v145, v147, v146, v145
	v_cmp_gt_i32_e64 s9, s28, v160
	v_cmp_gt_i32_e64 s10, s28, v161
	v_lshlrev_b32_e32 v160, 2, v151
	v_cndmask_b32_e64 v143, 0xff7fffff, v143, s8
	v_or_b32_e32 v164, 24, v152
	v_or_b32_e32 v165, 26, v152
	v_mul_f32_e32 v173, s34, v131
	v_cndmask_b32_e64 v146, 0xff7fffff, v175, s9
	v_cndmask_b32_e64 v147, 0xff7fffff, v174, s10
	v_max3_f32 v143, v145, v144, v143
	v_cmp_gt_i32_e64 s11, s28, v162
	v_cmp_gt_i32_e64 s12, s28, v163
	v_or_b32_e32 v166, 28, v152
	v_or_b32_e32 v167, 30, v152
	v_dual_mul_f32 v170, s34, v134 :: v_dual_mul_f32 v171, s34, v133
	v_cndmask_b32_e64 v144, 0xff7fffff, v173, s11
	v_cndmask_b32_e64 v145, 0xff7fffff, v172, s12
	v_max3_f32 v143, v143, v146, v147
	v_cmp_gt_i32_e64 s13, s28, v164
	v_cmp_gt_i32_e64 s15, s28, v165
	v_dual_mul_f32 v168, s34, v136 :: v_dual_mul_f32 v169, s34, v135
	s_delay_alu instid0(VALU_DEP_4) | instskip(NEXT) | instid1(VALU_DEP_4)
	v_max3_f32 v143, v143, v144, v145
	v_cndmask_b32_e64 v146, 0xff7fffff, v171, s13
	s_delay_alu instid0(VALU_DEP_4) | instskip(SKIP_2) | instid1(VALU_DEP_3)
	v_cndmask_b32_e64 v147, 0xff7fffff, v170, s15
	v_cmp_gt_i32_e64 s16, s28, v166
	v_cmp_gt_i32_e64 s17, s28, v167
	v_max3_f32 v143, v143, v146, v147
	s_delay_alu instid0(VALU_DEP_3) | instskip(NEXT) | instid1(VALU_DEP_3)
	v_cndmask_b32_e64 v144, 0xff7fffff, v169, s16
	v_cndmask_b32_e64 v145, 0xff7fffff, v168, s17
	s_delay_alu instid0(VALU_DEP_1) | instskip(SKIP_3) | instid1(VALU_DEP_1)
	v_max3_f32 v143, v143, v144, v145
	ds_bpermute_b32 v144, v160, v143
	s_waitcnt lgkmcnt(0)
	v_max_f32_e32 v144, v144, v144
	v_max_f32_e32 v159, v143, v144
	s_delay_alu instid0(VALU_DEP_1) | instskip(SKIP_4) | instid1(VALU_DEP_4)
	v_fma_f32 v145, s34, v193, -v159
	v_fma_f32 v146, s34, v194, -v159
	;; [unrolled: 1-line block ×5, first 2 shown]
	v_dual_mul_f32 v145, 0x3fb8aa3b, v145 :: v_dual_mul_f32 v146, 0x3fb8aa3b, v146
	s_delay_alu instid0(VALU_DEP_4) | instskip(SKIP_1) | instid1(VALU_DEP_4)
	v_mul_f32_e32 v132, 0x3fb8aa3b, v132
	v_fma_f32 v148, s34, v195, -v159
	v_mul_f32_e32 v144, 0x3fb8aa3b, v144
	s_delay_alu instid0(VALU_DEP_4)
	v_exp_f32_e32 v145, v145
	v_exp_f32_e32 v150, v146
	v_fma_f32 v149, s34, v196, -v159
	v_mul_f32_e32 v148, 0x3fb8aa3b, v148
	v_exp_f32_e32 v147, v144
	v_fma_f32 v134, s34, v134, -v159
	v_fma_f32 v151, s34, v197, -v159
	v_mul_f32_e32 v149, 0x3fb8aa3b, v149
	v_exp_f32_e32 v148, v148
	v_fma_f32 v152, s34, v198, -v159
	v_cndmask_b32_e64 v146, 0, v145, s3
	v_cndmask_b32_e64 v145, 0, v150, s4
	v_dual_mul_f32 v143, 0x3fb8aa3b, v143 :: v_dual_mul_f32 v134, 0x3fb8aa3b, v134
	v_mul_f32_e32 v151, 0x3fb8aa3b, v151
	v_exp_f32_e32 v149, v149
	v_fma_f32 v129, s34, v129, -v159
	s_delay_alu instid0(VALU_DEP_3)
	v_exp_f32_e32 v143, v143
	v_mul_f32_e32 v150, 0x3fb8aa3b, v152
	v_exp_f32_e32 v151, v151
	v_cndmask_b32_e64 v148, 0, v148, s5
	v_fma_f32 v130, s34, v130, -v159
	v_mul_f32_e32 v129, 0x3fb8aa3b, v129
	v_exp_f32_e32 v153, v150
	v_fma_f32 v131, s34, v131, -v159
	v_fma_f32 v133, s34, v133, -v159
	v_mul_f32_e32 v130, 0x3fb8aa3b, v130
	v_cndmask_b32_e32 v144, 0, v143, vcc_lo
	v_cndmask_b32_e64 v143, 0, v147, s2
	v_exp_f32_e32 v129, v129
	v_cndmask_b32_e64 v150, 0, v151, s7
	v_mul_f32_e32 v131, 0x3fb8aa3b, v131
	v_add_f32_e32 v147, 0, v144
	v_exp_f32_e32 v130, v130
	v_mul_f32_e32 v133, 0x3fb8aa3b, v133
	v_exp_f32_e32 v132, v132
	v_exp_f32_e32 v131, v131
	v_add_f32_e32 v147, v147, v143
	s_mov_b32 s2, exec_lo
	v_exp_f32_e32 v133, v133
	s_delay_alu instid0(VALU_DEP_1)
	v_add_f32_e32 v147, v147, v146
	s_waitcnt_depctr 0xfff
	v_cndmask_b32_e64 v154, 0, v131, s11
	v_add_f32_e32 v152, v147, v145
	v_cndmask_b32_e64 v147, 0, v149, s6
	v_exp_f32_e32 v131, v134
	v_cndmask_b32_e64 v156, 0, v133, s13
	s_delay_alu instid0(VALU_DEP_3) | instskip(SKIP_1) | instid1(VALU_DEP_2)
	v_add_f32_e32 v149, v152, v148
	v_cndmask_b32_e64 v152, 0, v129, s9
	v_add_f32_e32 v151, v149, v147
	v_cndmask_b32_e64 v149, 0, v153, s8
	v_cndmask_b32_e64 v153, 0, v132, s12
	v_fma_f32 v132, s34, v136, -v159
	s_delay_alu instid0(TRANS32_DEP_1) | instskip(NEXT) | instid1(VALU_DEP_2)
	v_cndmask_b32_e64 v155, 0, v131, s15
	v_dual_add_f32 v151, v151, v150 :: v_dual_mul_f32 v132, 0x3fb8aa3b, v132
	s_delay_alu instid0(VALU_DEP_1) | instskip(SKIP_2) | instid1(VALU_DEP_4)
	v_add_f32_e32 v129, v151, v149
	v_cndmask_b32_e64 v151, 0, v130, s10
	v_fma_f32 v130, s34, v135, -v159
	v_exp_f32_e32 v131, v132
	s_delay_alu instid0(VALU_DEP_1) | instskip(NEXT) | instid1(VALU_DEP_1)
	v_dual_add_f32 v129, v129, v152 :: v_dual_mul_f32 v130, 0x3fb8aa3b, v130
	v_add_f32_e32 v129, v129, v151
	s_delay_alu instid0(VALU_DEP_2) | instskip(SKIP_3) | instid1(VALU_DEP_1)
	v_exp_f32_e32 v130, v130
	s_waitcnt_depctr 0xfff
	v_cndmask_b32_e64 v157, 0, v131, s17
	v_add_f32_e32 v129, v129, v154
	v_add_f32_e32 v129, v129, v153
	v_cndmask_b32_e64 v158, 0, v130, s16
	s_delay_alu instid0(VALU_DEP_2) | instskip(NEXT) | instid1(VALU_DEP_1)
	v_add_f32_e32 v129, v129, v156
	v_add_f32_e32 v129, v129, v155
	s_delay_alu instid0(VALU_DEP_1) | instskip(NEXT) | instid1(VALU_DEP_1)
	v_add_f32_e32 v129, v129, v158
	v_add_f32_e32 v129, v129, v157
	ds_bpermute_b32 v130, v160, v129
	v_cmpx_gt_u32_e32 16, v142
	s_cbranch_execz .LBB305_12
; %bb.11:
	v_mul_u32_u24_e32 v131, 0x44, v140
	s_delay_alu instid0(VALU_DEP_1) | instskip(SKIP_1) | instid1(VALU_DEP_1)
	v_lshl_add_u32 v131, v141, 2, v131
	s_waitcnt lgkmcnt(0)
	v_dual_add_f32 v129, v129, v130 :: v_dual_add_nc_u32 v130, 0x4000, v131
	ds_store_2addr_b32 v130, v159, v129 offset1:136
.LBB305_12:
	s_or_b32 exec_lo, exec_lo, s2
	v_lshlrev_b32_e32 v129, 2, v141
	s_load_b32 s34, s[0:1], 0x94
	s_waitcnt lgkmcnt(0)
	s_barrier
	buffer_gl0_inv
	v_add_nc_u32_e32 v135, 0x4000, v129
	v_cmp_eq_u32_e32 vcc_lo, 1, v140
	v_cmp_eq_u32_e64 s2, 2, v140
	v_cmp_eq_u32_e64 s3, 3, v140
	;; [unrolled: 1-line block ×3, first 2 shown]
	ds_load_2addr_b32 v[129:130], v135 offset1:17
	ds_load_2addr_b32 v[131:132], v135 offset0:34 offset1:51
	ds_load_2addr_b32 v[133:134], v135 offset0:68 offset1:85
	;; [unrolled: 1-line block ×3, first 2 shown]
	v_cmp_eq_u32_e64 s5, 5, v140
	v_cmp_eq_u32_e64 s6, 7, v140
	s_waitcnt lgkmcnt(3)
	v_max3_f32 v136, v129, 0xff7fffff, v130
	s_waitcnt lgkmcnt(2)
	s_delay_alu instid0(VALU_DEP_1) | instskip(SKIP_1) | instid1(VALU_DEP_1)
	v_max3_f32 v136, v136, v131, v132
	s_waitcnt lgkmcnt(1)
	v_max3_f32 v136, v136, v133, v134
	s_waitcnt lgkmcnt(0)
	s_delay_alu instid0(VALU_DEP_1) | instskip(NEXT) | instid1(VALU_DEP_1)
	v_max3_f32 v136, v136, v159, v160
	v_sub_f32_e32 v164, v132, v136
	ds_load_2addr_b32 v[161:162], v135 offset0:136 offset1:153
	v_sub_f32_e32 v142, v130, v136
	v_sub_f32_e32 v129, v129, v136
	v_mul_f32_e32 v164, 0x3fb8aa3b, v164
	s_delay_alu instid0(VALU_DEP_2)
	v_dual_mul_f32 v142, 0x3fb8aa3b, v142 :: v_dual_mul_f32 v163, 0x3fb8aa3b, v129
	ds_load_2addr_b32 v[129:130], v135 offset0:170 offset1:187
	v_exp_f32_e32 v164, v164
	v_exp_f32_e32 v166, v142
	;; [unrolled: 1-line block ×3, first 2 shown]
	s_waitcnt lgkmcnt(1)
	s_waitcnt_depctr 0xfff
	v_fma_f32 v142, v163, v161, 0
	s_delay_alu instid0(VALU_DEP_1) | instskip(NEXT) | instid1(VALU_DEP_1)
	v_dual_sub_f32 v131, v131, v136 :: v_dual_fmac_f32 v142, v166, v162
	v_mul_f32_e32 v165, 0x3fb8aa3b, v131
	ds_load_2addr_b32 v[131:132], v135 offset0:204 offset1:221
	v_exp_f32_e32 v165, v165
	s_waitcnt lgkmcnt(1)
	s_waitcnt_depctr 0xfff
	v_dual_sub_f32 v161, v134, v136 :: v_dual_fmac_f32 v142, v165, v129
	v_sub_f32_e32 v129, v160, v136
	s_delay_alu instid0(VALU_DEP_1) | instskip(SKIP_1) | instid1(VALU_DEP_2)
	v_dual_fmac_f32 v142, v164, v130 :: v_dual_mul_f32 v129, 0x3fb8aa3b, v129
	v_cndmask_b32_e32 v130, v163, v166, vcc_lo
	v_exp_f32_e32 v162, v129
	v_sub_f32_e32 v133, v133, v136
	s_delay_alu instid0(VALU_DEP_1)
	v_mul_f32_e32 v167, 0x3fb8aa3b, v133
	ds_load_2addr_b32 v[133:134], v135 offset0:238 offset1:255
	v_sub_f32_e32 v135, v159, v136
	v_mul_f32_e32 v159, 0x3fb8aa3b, v161
	s_waitcnt lgkmcnt(0)
	v_exp_f32_e32 v161, v167
	s_barrier
	buffer_gl0_inv
	v_exp_f32_e32 v159, v159
	v_fmac_f32_e32 v142, v161, v131
	s_waitcnt_depctr 0xfff
	v_dual_mul_f32 v135, 0x3fb8aa3b, v135 :: v_dual_fmac_f32 v142, v159, v132
	s_delay_alu instid0(VALU_DEP_1) | instskip(SKIP_2) | instid1(VALU_DEP_1)
	v_exp_f32_e32 v160, v135
	s_waitcnt_depctr 0xfff
	v_fmac_f32_e32 v142, v160, v133
	v_dual_fmac_f32 v142, v162, v134 :: v_dual_lshlrev_b32 v133, 6, v141
	s_delay_alu instid0(VALU_DEP_1) | instskip(NEXT) | instid1(VALU_DEP_2)
	v_lshl_or_b32 v135, v140, 11, v133
	v_add_f32_e32 v134, 0x358637bd, v142
	s_delay_alu instid0(VALU_DEP_1) | instskip(SKIP_1) | instid1(VALU_DEP_2)
	v_div_scale_f32 v167, null, v134, v134, 1.0
	v_div_scale_f32 v163, vcc_lo, 1.0, v134, 1.0
	v_rcp_f32_e32 v168, v167
	s_waitcnt_depctr 0xfff
	v_fma_f32 v129, -v167, v168, 1.0
	s_delay_alu instid0(VALU_DEP_1) | instskip(SKIP_2) | instid1(VALU_DEP_2)
	v_fmac_f32_e32 v168, v129, v168
	v_cndmask_b32_e64 v129, v130, v165, s2
	v_cmp_eq_u32_e64 s2, 6, v140
	v_cndmask_b32_e64 v130, v129, v164, s3
	v_lshlrev_b32_e32 v129, 2, v138
	s_delay_alu instid0(VALU_DEP_2) | instskip(NEXT) | instid1(VALU_DEP_2)
	v_cndmask_b32_e64 v141, v130, v161, s4
	v_or_b32_e32 v130, 1, v129
	v_or_b32_e32 v132, 2, v129
	v_cmp_eq_u32_e64 s3, 1, v129
	v_cmp_eq_u32_e64 s4, 2, v129
	v_cndmask_b32_e64 v140, v141, v159, s5
	v_cmp_eq_u32_e64 s8, 1, v130
	v_cmp_eq_u32_e64 s9, 1, v132
	;; [unrolled: 1-line block ×4, first 2 shown]
	v_cndmask_b32_e64 v140, v140, v160, s2
	v_cmp_eq_u32_e64 s12, 3, v130
	v_cmp_eq_u32_e64 s16, 3, v132
	;; [unrolled: 1-line block ×4, first 2 shown]
	v_cndmask_b32_e64 v140, v140, v162, s6
	v_mul_f32_e32 v165, v163, v168
	v_cmp_eq_u32_e64 s5, 5, v129
	v_cmp_eq_u32_e64 s19, 5, v130
	;; [unrolled: 1-line block ×4, first 2 shown]
	v_fma_f32 v131, -v167, v165, v163
	v_cmp_eq_u32_e64 s24, 6, v130
	v_cmp_eq_u32_e64 s6, 6, v129
	;; [unrolled: 1-line block ×4, first 2 shown]
	v_fmac_f32_e32 v165, v131, v168
	v_or_b32_e32 v131, 3, v129
	v_cmp_eq_u32_e64 s7, 7, v129
	v_cmp_eq_u32_e64 s27, 7, v132
	s_delay_alu instid0(VALU_DEP_4) | instskip(NEXT) | instid1(VALU_DEP_4)
	v_fma_f32 v141, -v167, v165, v163
	v_cmp_eq_u32_e64 s10, 1, v131
	v_cmp_eq_u32_e64 s15, 2, v131
	;; [unrolled: 1-line block ×4, first 2 shown]
	v_div_fmas_f32 v141, v141, v168, v165
	v_cmp_eq_u32_e32 vcc_lo, 3, v129
	v_cmp_eq_u32_e64 s23, 5, v131
	v_cmp_eq_u32_e64 s26, 6, v131
	v_cmp_eq_u32_e64 s28, 7, v131
	v_div_fixup_f32 v141, v141, v134, 1.0
	v_lshl_or_b32 v134, v138, 4, v135
	s_delay_alu instid0(VALU_DEP_2) | instskip(NEXT) | instid1(VALU_DEP_1)
	v_mul_f32_e32 v140, v140, v141
	v_fma_mixlo_f16 v159, v140, v144, 0
	v_fma_mixlo_f16 v160, v140, v146, 0
	;; [unrolled: 1-line block ×8, first 2 shown]
	v_fma_mixhi_f16 v159, v140, v143, 0
	v_fma_mixhi_f16 v160, v140, v145, 0
	;; [unrolled: 1-line block ×8, first 2 shown]
	ds_store_b128 v134, v[159:162]
	ds_store_b128 v134, v[163:166] offset:1024
	s_waitcnt lgkmcnt(0)
	s_barrier
	buffer_gl0_inv
	ds_load_b128 v[143:146], v135
	ds_load_b128 v[147:150], v135 offset:16
	ds_load_b128 v[151:154], v135 offset:1024
	;; [unrolled: 1-line block ×3, first 2 shown]
	s_waitcnt lgkmcnt(3)
	v_lshrrev_b32_e32 v140, 16, v143
	s_waitcnt lgkmcnt(2)
	v_lshrrev_b32_e32 v161, 16, v147
	;; [unrolled: 2-line block ×4, first 2 shown]
	v_lshrrev_b32_e32 v141, 16, v144
	v_cndmask_b32_e64 v173, v143, v140, s3
	v_cndmask_b32_e64 v174, v147, v161, s3
	;; [unrolled: 1-line block ×7, first 2 shown]
	v_lshrrev_b32_e32 v162, 16, v148
	v_cndmask_b32_e64 v178, v147, v161, s9
	v_cndmask_b32_e64 v147, v151, v165, s3
	;; [unrolled: 1-line block ×16, first 2 shown]
	v_lshrrev_b32_e32 v166, 16, v152
	v_cndmask_b32_e64 v176, v178, v148, s13
	v_cndmask_b32_e64 v144, v147, v152, s4
	;; [unrolled: 1-line block ×7, first 2 shown]
	v_cndmask_b32_e32 v155, v165, v141, vcc_lo
	v_cndmask_b32_e32 v165, v169, v162, vcc_lo
	v_cndmask_b32_e64 v169, v173, v141, s12
	v_cndmask_b32_e64 v173, v174, v162, s12
	;; [unrolled: 1-line block ×5, first 2 shown]
	v_lshrrev_b32_e32 v159, 16, v145
	v_lshrrev_b32_e32 v163, 16, v149
	v_lshrrev_b32_e32 v170, 16, v156
	v_cndmask_b32_e64 v140, v140, v145, s21
	v_cndmask_b32_e64 v141, v141, v149, s21
	;; [unrolled: 1-line block ×3, first 2 shown]
	v_cndmask_b32_e32 v143, v144, v166, vcc_lo
	v_cndmask_b32_e32 v144, v147, v170, vcc_lo
	v_cndmask_b32_e64 v147, v148, v166, s12
	v_cndmask_b32_e64 v148, v155, v145, s2
	;; [unrolled: 1-line block ×7, first 2 shown]
	v_lshrrev_b32_e32 v160, 16, v146
	v_lshrrev_b32_e32 v164, 16, v150
	;; [unrolled: 1-line block ×4, first 2 shown]
	v_cndmask_b32_e64 v169, v174, v145, s20
	v_cndmask_b32_e64 v173, v175, v149, s20
	;; [unrolled: 1-line block ×20, first 2 shown]
	v_lshrrev_b32_e32 v168, 16, v154
	v_cndmask_b32_e64 v147, v147, v146, s6
	v_cndmask_b32_e64 v148, v148, v150, s6
	;; [unrolled: 1-line block ×9, first 2 shown]
	v_perm_b32 v146, v141, v140, 0x5040100
	v_cndmask_b32_e64 v140, v182, v156, s13
	v_cndmask_b32_e64 v141, v180, v156, s11
	;; [unrolled: 1-line block ×7, first 2 shown]
	v_perm_b32 v144, v155, v149, 0x5040100
	v_cndmask_b32_e64 v143, v161, v166, s16
	v_cndmask_b32_e64 v149, v151, v166, s17
	;; [unrolled: 1-line block ×15, first 2 shown]
	v_lshrrev_b32_e32 v172, 16, v158
	v_cndmask_b32_e64 v143, v143, v154, s25
	v_cndmask_b32_e64 v149, v149, v154, s26
	;; [unrolled: 1-line block ×12, first 2 shown]
	v_perm_b32 v145, v159, v145, 0x5040100
	v_perm_b32 v143, v148, v147, 0x5040100
	;; [unrolled: 1-line block ×6, first 2 shown]
	s_lshl_b32 s6, s33, 2
	s_mov_b32 s2, exec_lo
	ds_store_b128 v134, v[143:146]
	ds_store_b128 v134, v[147:150] offset:1024
	v_cmpx_gt_u32_e32 4, v0
	s_cbranch_execz .LBB305_14
; %bb.13:
	v_or_b32_e32 v140, s31, v0
	s_load_b128 s[8:11], s[0:1], 0x58
	s_delay_alu instid0(VALU_DEP_1) | instskip(NEXT) | instid1(VALU_DEP_1)
	v_mad_u64_u32 v[143:144], null, s6, s30, v[140:141]
	v_mad_u64_u32 v[140:141], null, v143, s34, s[14:15]
	s_delay_alu instid0(VALU_DEP_1) | instskip(NEXT) | instid1(VALU_DEP_1)
	v_ashrrev_i32_e32 v141, 31, v140
	v_lshlrev_b64 v[140:141], 2, v[140:141]
	s_waitcnt lgkmcnt(0)
	s_delay_alu instid0(VALU_DEP_1) | instskip(NEXT) | instid1(VALU_DEP_2)
	v_add_co_u32 v143, vcc_lo, s10, v140
	v_add_co_ci_u32_e32 v144, vcc_lo, s11, v141, vcc_lo
	v_add_co_u32 v140, vcc_lo, s8, v140
	v_add_co_ci_u32_e32 v141, vcc_lo, s9, v141, vcc_lo
	global_store_b32 v[143:144], v136, off
	global_store_b32 v[140:141], v142, off
.LBB305_14:
	s_or_b32 exec_lo, exec_lo, s2
	s_waitcnt lgkmcnt(0)
	s_waitcnt_vscnt null, 0x0
	s_barrier
	buffer_gl0_inv
	ds_load_b128 v[148:151], v133
	ds_load_b128 v[152:155], v133 offset:16
	ds_load_b128 v[160:163], v133 offset:1040
	;; [unrolled: 1-line block ×5, first 2 shown]
	v_cmp_eq_u32_e32 vcc_lo, 1, v132
	v_mov_b32_e32 v140, 0
	ds_load_b128 v[176:179], v133 offset:3088
	ds_load_b128 v[172:175], v133 offset:3072
	;; [unrolled: 1-line block ×4, first 2 shown]
	v_cmp_eq_u32_e64 s2, 1, v129
	v_cmp_eq_u32_e64 s3, 1, v131
	;; [unrolled: 1-line block ×3, first 2 shown]
	v_mov_b32_e32 v141, v140
	v_mov_b32_e32 v142, v140
	;; [unrolled: 1-line block ×7, first 2 shown]
	v_cmp_eq_u32_e64 s5, 2, v129
	s_waitcnt lgkmcnt(8)
	s_delay_alu instid0(VALU_DEP_2)
	v_wmma_f32_16x16x16_f16 v[140:147], v[121:128], v[148:155], v[140:147]
	ds_load_b128 v[125:128], v133 offset:5136
	ds_load_b128 v[121:124], v133 offset:5120
	s_waitcnt lgkmcnt(8)
	v_wmma_f32_16x16x16_f16 v[140:147], v[113:120], v[156:163], v[140:147]
	ds_load_b128 v[117:120], v133 offset:6160
	ds_load_b128 v[113:116], v133 offset:6144
	s_waitcnt lgkmcnt(8)
	;; [unrolled: 4-line block ×11, first 2 shown]
	s_barrier
	buffer_gl0_inv
	v_wmma_f32_16x16x16_f16 v[140:147], v[1:8], v[73:80], v[140:147]
	s_delay_alu instid0(VALU_DEP_1) | instskip(NEXT) | instid1(VALU_DEP_1)
	v_wmma_f32_16x16x16_f16 v[140:147], v[9:16], v[65:72], v[140:147]
	v_wmma_f32_16x16x16_f16 v[140:147], v[33:40], v[57:64], v[140:147]
	s_delay_alu instid0(VALU_DEP_1) | instskip(NEXT) | instid1(VALU_DEP_1)
	v_wmma_f32_16x16x16_f16 v[140:147], v[41:48], v[49:56], v[140:147]
	v_wmma_f32_16x16x16_f16 v[140:147], v[17:24], v[25:32], v[140:147]
	s_delay_alu instid0(VALU_DEP_1) | instskip(NEXT) | instid1(VALU_DEP_2)
	v_cvt_f16_f32_e64 v1, v140
	v_cvt_f16_f32_e64 v2, v141
	s_delay_alu instid0(VALU_DEP_3) | instskip(NEXT) | instid1(VALU_DEP_4)
	v_cvt_f16_f32_e64 v3, v142
	v_cvt_f16_f32_e64 v4, v143
	;; [unrolled: 1-line block ×6, first 2 shown]
	v_pack_b32_f16 v1, v1, v2
	v_pack_b32_f16 v2, v3, v4
	;; [unrolled: 1-line block ×3, first 2 shown]
	s_delay_alu instid0(VALU_DEP_4)
	v_pack_b32_f16 v4, v7, v8
	ds_store_b128 v134, v[1:4]
	s_waitcnt lgkmcnt(0)
	s_barrier
	buffer_gl0_inv
	ds_load_b128 v[1:4], v135
	ds_load_b128 v[5:8], v135 offset:16
	s_waitcnt lgkmcnt(1)
	v_lshrrev_b32_e32 v9, 16, v1
	s_waitcnt lgkmcnt(0)
	v_lshrrev_b32_e32 v13, 16, v5
	v_lshrrev_b32_e32 v10, 16, v2
	;; [unrolled: 1-line block ×4, first 2 shown]
	v_cndmask_b32_e64 v17, v1, v9, s2
	v_cndmask_b32_e64 v18, v5, v13, s2
	v_cndmask_b32_e64 v19, v1, v9, s4
	v_cmp_eq_u32_e64 s2, 2, v130
	v_cndmask_b32_e64 v20, v5, v13, s4
	v_cndmask_b32_e32 v21, v1, v9, vcc_lo
	v_cndmask_b32_e32 v22, v5, v13, vcc_lo
	v_cndmask_b32_e64 v1, v1, v9, s3
	v_cndmask_b32_e64 v5, v5, v13, s3
	v_cmp_eq_u32_e32 vcc_lo, 2, v132
	v_cmp_eq_u32_e64 s3, 2, v131
	v_cndmask_b32_e64 v9, v17, v2, s5
	v_cndmask_b32_e64 v13, v18, v6, s5
	;; [unrolled: 1-line block ×4, first 2 shown]
	v_cndmask_b32_e32 v19, v21, v2, vcc_lo
	v_cmp_eq_u32_e64 s2, 3, v132
	v_cndmask_b32_e32 v20, v22, v6, vcc_lo
	v_cndmask_b32_e64 v1, v1, v2, s3
	v_cmp_eq_u32_e32 vcc_lo, 3, v131
	v_cmp_eq_u32_e64 s4, 3, v129
	v_cndmask_b32_e64 v2, v5, v6, s3
	v_cmp_eq_u32_e64 s3, 3, v130
	v_cmp_eq_u32_e64 s5, 4, v129
	v_cndmask_b32_e32 v1, v1, v10, vcc_lo
	v_cndmask_b32_e64 v5, v9, v10, s4
	v_cndmask_b32_e64 v6, v13, v14, s4
	;; [unrolled: 1-line block ×3, first 2 shown]
	v_cmp_eq_u32_e64 s4, 4, v130
	v_cndmask_b32_e64 v13, v18, v14, s3
	v_cndmask_b32_e64 v17, v19, v10, s2
	;; [unrolled: 1-line block ×3, first 2 shown]
	v_cndmask_b32_e32 v2, v2, v14, vcc_lo
	v_cmp_eq_u32_e32 vcc_lo, 4, v132
	v_cmp_eq_u32_e64 s3, 4, v131
	v_lshrrev_b32_e32 v15, 16, v7
	v_cndmask_b32_e64 v5, v5, v3, s5
	v_cndmask_b32_e64 v6, v6, v7, s5
	v_cndmask_b32_e32 v14, v18, v7, vcc_lo
	v_cndmask_b32_e64 v9, v9, v3, s4
	v_cndmask_b32_e64 v10, v13, v7, s4
	v_cndmask_b32_e32 v13, v17, v3, vcc_lo
	v_cmp_eq_u32_e64 s2, 5, v132
	v_cndmask_b32_e64 v1, v1, v3, s3
	v_cmp_eq_u32_e32 vcc_lo, 5, v131
	v_cmp_eq_u32_e64 s4, 5, v129
	v_cndmask_b32_e64 v2, v2, v7, s3
	v_cmp_eq_u32_e64 s3, 5, v130
	v_cmp_eq_u32_e64 s5, 6, v129
	v_lshrrev_b32_e32 v12, 16, v4
	v_cndmask_b32_e64 v3, v5, v11, s4
	v_cndmask_b32_e64 v5, v6, v15, s4
	;; [unrolled: 1-line block ×3, first 2 shown]
	v_cmp_eq_u32_e64 s4, 6, v130
	v_cndmask_b32_e64 v7, v10, v15, s3
	v_cndmask_b32_e64 v9, v13, v11, s2
	;; [unrolled: 1-line block ×3, first 2 shown]
	v_cndmask_b32_e32 v1, v1, v11, vcc_lo
	v_cndmask_b32_e32 v2, v2, v15, vcc_lo
	v_cmp_eq_u32_e32 vcc_lo, 6, v132
	v_cmp_eq_u32_e64 s2, 6, v131
	v_lshrrev_b32_e32 v16, 16, v8
	v_cndmask_b32_e64 v3, v3, v4, s5
	v_cndmask_b32_e64 v5, v5, v8, s5
	v_cndmask_b32_e32 v9, v9, v4, vcc_lo
	v_cndmask_b32_e64 v6, v6, v4, s4
	v_cndmask_b32_e64 v7, v7, v8, s4
	v_cmp_eq_u32_e64 s3, 7, v132
	v_cndmask_b32_e32 v10, v10, v8, vcc_lo
	v_cndmask_b32_e64 v1, v1, v4, s2
	v_cmp_eq_u32_e32 vcc_lo, 7, v131
	v_cndmask_b32_e64 v2, v2, v8, s2
	v_cmp_eq_u32_e64 s2, 7, v129
	v_cmp_eq_u32_e64 s4, 7, v130
	v_cndmask_b32_e32 v1, v1, v12, vcc_lo
	s_delay_alu instid0(VALU_DEP_4) | instskip(NEXT) | instid1(VALU_DEP_4)
	v_cndmask_b32_e32 v2, v2, v16, vcc_lo
	v_cndmask_b32_e64 v8, v3, v12, s2
	s_delay_alu instid0(VALU_DEP_4)
	v_cndmask_b32_e64 v6, v6, v12, s4
	v_cndmask_b32_e64 v3, v9, v12, s3
	;; [unrolled: 1-line block ×5, first 2 shown]
	v_perm_b32 v4, v2, v1, 0x5040100
	s_mov_b32 s2, exec_lo
	v_perm_b32 v3, v9, v3, 0x5040100
	v_perm_b32 v2, v7, v6, 0x5040100
	;; [unrolled: 1-line block ×3, first 2 shown]
	ds_store_b128 v134, v[1:4]
	s_waitcnt lgkmcnt(0)
	s_barrier
	buffer_gl0_inv
	v_cmpx_gt_u32_e32 32, v0
	s_cbranch_execz .LBB305_2
; %bb.15:
	s_load_b64 s[0:1], s[0:1], 0x68
	v_lshlrev_b32_e32 v0, 10, v0
	v_or_b32_e32 v1, s31, v138
	s_lshl_b32 s4, s34, 7
	v_lshlrev_b32_e32 v2, 4, v139
	s_mul_i32 s2, s4, s30
	v_lshlrev_b32_e32 v3, 6, v138
	v_mul_lo_u32 v8, v1, s4
	v_and_b32_e32 v0, 0x3800, v0
	v_or_b32_e32 v1, 2, v1
	s_mul_i32 s2, s2, s6
	s_delay_alu instid0(SALU_CYCLE_1) | instskip(NEXT) | instid1(VALU_DEP_2)
	s_ashr_i32 s3, s2, 31
	v_or3_b32 v4, v0, v2, v3
	s_lshl_b64 s[2:3], s[2:3], 1
	v_mul_lo_u32 v10, v1, s4
	v_ashrrev_i32_e32 v9, 31, v8
	ds_load_b128 v[0:3], v4
	ds_load_b128 v[4:7], v4 offset:128
	s_waitcnt lgkmcnt(0)
	s_add_u32 s2, s0, s2
	s_addc_u32 s3, s1, s3
	s_lshl_b32 s0, s14, 7
	v_ashrrev_i32_e32 v11, 31, v10
	s_ashr_i32 s1, s0, 31
	v_lshlrev_b64 v[8:9], 1, v[8:9]
	s_lshl_b64 s[0:1], s[0:1], 1
	s_delay_alu instid0(SALU_CYCLE_1) | instskip(SKIP_2) | instid1(VALU_DEP_1)
	s_add_u32 s0, s2, s0
	s_addc_u32 s1, s3, s1
	v_add_co_u32 v12, s0, s0, v137
	v_add_co_ci_u32_e64 v13, null, s1, 0, s0
	v_lshlrev_b64 v[10:11], 1, v[10:11]
	s_delay_alu instid0(VALU_DEP_3) | instskip(NEXT) | instid1(VALU_DEP_3)
	v_add_co_u32 v8, vcc_lo, v12, v8
	v_add_co_ci_u32_e32 v9, vcc_lo, v13, v9, vcc_lo
	s_delay_alu instid0(VALU_DEP_3) | instskip(NEXT) | instid1(VALU_DEP_4)
	v_add_co_u32 v10, vcc_lo, v12, v10
	v_add_co_ci_u32_e32 v11, vcc_lo, v13, v11, vcc_lo
	s_clause 0x1
	global_store_b128 v[8:9], v[0:3], off
	global_store_b128 v[10:11], v[4:7], off
	s_nop 0
	s_sendmsg sendmsg(MSG_DEALLOC_VGPRS)
	s_endpgm
	.section	.rodata,"a",@progbits
	.p2align	6, 0x0
	.amdhsa_kernel _Z39paged_attention_ll4mi_QKV_mfma16_kernelIDF16_DF16_LN4vllm18Fp8KVCacheDataTypeE0EDF16_Li16ELi128ELi256ELb0ELi4EL8MFMAType0EEvPKT_PKT0_S8_ifPKiSA_SA_iPKfiiiPfSD_PS3_PT2_iSC_SC_
		.amdhsa_group_segment_fixed_size 17472
		.amdhsa_private_segment_fixed_size 0
		.amdhsa_kernarg_size 400
		.amdhsa_user_sgpr_count 13
		.amdhsa_user_sgpr_dispatch_ptr 0
		.amdhsa_user_sgpr_queue_ptr 0
		.amdhsa_user_sgpr_kernarg_segment_ptr 1
		.amdhsa_user_sgpr_dispatch_id 0
		.amdhsa_user_sgpr_private_segment_size 0
		.amdhsa_wavefront_size32 1
		.amdhsa_uses_dynamic_stack 0
		.amdhsa_enable_private_segment 0
		.amdhsa_system_sgpr_workgroup_id_x 1
		.amdhsa_system_sgpr_workgroup_id_y 1
		.amdhsa_system_sgpr_workgroup_id_z 1
		.amdhsa_system_sgpr_workgroup_info 0
		.amdhsa_system_vgpr_workitem_id 0
		.amdhsa_next_free_vgpr 218
		.amdhsa_next_free_sgpr 52
		.amdhsa_reserve_vcc 1
		.amdhsa_float_round_mode_32 0
		.amdhsa_float_round_mode_16_64 0
		.amdhsa_float_denorm_mode_32 3
		.amdhsa_float_denorm_mode_16_64 3
		.amdhsa_dx10_clamp 1
		.amdhsa_ieee_mode 1
		.amdhsa_fp16_overflow 0
		.amdhsa_workgroup_processor_mode 1
		.amdhsa_memory_ordered 1
		.amdhsa_forward_progress 0
		.amdhsa_shared_vgpr_count 0
		.amdhsa_exception_fp_ieee_invalid_op 0
		.amdhsa_exception_fp_denorm_src 0
		.amdhsa_exception_fp_ieee_div_zero 0
		.amdhsa_exception_fp_ieee_overflow 0
		.amdhsa_exception_fp_ieee_underflow 0
		.amdhsa_exception_fp_ieee_inexact 0
		.amdhsa_exception_int_div_zero 0
	.end_amdhsa_kernel
	.section	.text._Z39paged_attention_ll4mi_QKV_mfma16_kernelIDF16_DF16_LN4vllm18Fp8KVCacheDataTypeE0EDF16_Li16ELi128ELi256ELb0ELi4EL8MFMAType0EEvPKT_PKT0_S8_ifPKiSA_SA_iPKfiiiPfSD_PS3_PT2_iSC_SC_,"axG",@progbits,_Z39paged_attention_ll4mi_QKV_mfma16_kernelIDF16_DF16_LN4vllm18Fp8KVCacheDataTypeE0EDF16_Li16ELi128ELi256ELb0ELi4EL8MFMAType0EEvPKT_PKT0_S8_ifPKiSA_SA_iPKfiiiPfSD_PS3_PT2_iSC_SC_,comdat
.Lfunc_end305:
	.size	_Z39paged_attention_ll4mi_QKV_mfma16_kernelIDF16_DF16_LN4vllm18Fp8KVCacheDataTypeE0EDF16_Li16ELi128ELi256ELb0ELi4EL8MFMAType0EEvPKT_PKT0_S8_ifPKiSA_SA_iPKfiiiPfSD_PS3_PT2_iSC_SC_, .Lfunc_end305-_Z39paged_attention_ll4mi_QKV_mfma16_kernelIDF16_DF16_LN4vllm18Fp8KVCacheDataTypeE0EDF16_Li16ELi128ELi256ELb0ELi4EL8MFMAType0EEvPKT_PKT0_S8_ifPKiSA_SA_iPKfiiiPfSD_PS3_PT2_iSC_SC_
                                        ; -- End function
	.section	.AMDGPU.csdata,"",@progbits
; Kernel info:
; codeLenInByte = 7968
; NumSgprs: 54
; NumVgprs: 218
; ScratchSize: 0
; MemoryBound: 0
; FloatMode: 240
; IeeeMode: 1
; LDSByteSize: 17472 bytes/workgroup (compile time only)
; SGPRBlocks: 6
; VGPRBlocks: 27
; NumSGPRsForWavesPerEU: 54
; NumVGPRsForWavesPerEU: 218
; Occupancy: 6
; WaveLimiterHint : 1
; COMPUTE_PGM_RSRC2:SCRATCH_EN: 0
; COMPUTE_PGM_RSRC2:USER_SGPR: 13
; COMPUTE_PGM_RSRC2:TRAP_HANDLER: 0
; COMPUTE_PGM_RSRC2:TGID_X_EN: 1
; COMPUTE_PGM_RSRC2:TGID_Y_EN: 1
; COMPUTE_PGM_RSRC2:TGID_Z_EN: 1
; COMPUTE_PGM_RSRC2:TIDIG_COMP_CNT: 0
	.section	.text._Z38paged_attention_ll4mi_QKV_mfma4_kernelIDF16_DF16_LN4vllm18Fp8KVCacheDataTypeE0EhLi32ELi128ELi256ELb1ELi1EEvPKT_PKT0_S7_ifPKiS9_S9_iPKfiiiPfSC_PS2_PT2_iSB_SB_,"axG",@progbits,_Z38paged_attention_ll4mi_QKV_mfma4_kernelIDF16_DF16_LN4vllm18Fp8KVCacheDataTypeE0EhLi32ELi128ELi256ELb1ELi1EEvPKT_PKT0_S7_ifPKiS9_S9_iPKfiiiPfSC_PS2_PT2_iSB_SB_,comdat
	.protected	_Z38paged_attention_ll4mi_QKV_mfma4_kernelIDF16_DF16_LN4vllm18Fp8KVCacheDataTypeE0EhLi32ELi128ELi256ELb1ELi1EEvPKT_PKT0_S7_ifPKiS9_S9_iPKfiiiPfSC_PS2_PT2_iSB_SB_ ; -- Begin function _Z38paged_attention_ll4mi_QKV_mfma4_kernelIDF16_DF16_LN4vllm18Fp8KVCacheDataTypeE0EhLi32ELi128ELi256ELb1ELi1EEvPKT_PKT0_S7_ifPKiS9_S9_iPKfiiiPfSC_PS2_PT2_iSB_SB_
	.globl	_Z38paged_attention_ll4mi_QKV_mfma4_kernelIDF16_DF16_LN4vllm18Fp8KVCacheDataTypeE0EhLi32ELi128ELi256ELb1ELi1EEvPKT_PKT0_S7_ifPKiS9_S9_iPKfiiiPfSC_PS2_PT2_iSB_SB_
	.p2align	8
	.type	_Z38paged_attention_ll4mi_QKV_mfma4_kernelIDF16_DF16_LN4vllm18Fp8KVCacheDataTypeE0EhLi32ELi128ELi256ELb1ELi1EEvPKT_PKT0_S7_ifPKiS9_S9_iPKfiiiPfSC_PS2_PT2_iSB_SB_,@function
_Z38paged_attention_ll4mi_QKV_mfma4_kernelIDF16_DF16_LN4vllm18Fp8KVCacheDataTypeE0EhLi32ELi128ELi256ELb1ELi1EEvPKT_PKT0_S7_ifPKiS9_S9_iPKfiiiPfSC_PS2_PT2_iSB_SB_: ; @_Z38paged_attention_ll4mi_QKV_mfma4_kernelIDF16_DF16_LN4vllm18Fp8KVCacheDataTypeE0EhLi32ELi128ELi256ELb1ELi1EEvPKT_PKT0_S7_ifPKiS9_S9_iPKfiiiPfSC_PS2_PT2_iSB_SB_
; %bb.0:
	s_add_u32 s8, s0, 0x90
	s_addc_u32 s9, s1, 0
	s_getpc_b64 s[0:1]
	s_add_u32 s0, s0, __PRETTY_FUNCTION__._Z38paged_attention_ll4mi_QKV_mfma4_kernelIDF16_DF16_LN4vllm18Fp8KVCacheDataTypeE0EhLi32ELi128ELi256ELb1ELi1EEvPKT_PKT0_S7_ifPKiS9_S9_iPKfiiiPfSC_PS2_PT2_iSB_SB_@rel32@lo+4
	s_addc_u32 s1, s1, __PRETTY_FUNCTION__._Z38paged_attention_ll4mi_QKV_mfma4_kernelIDF16_DF16_LN4vllm18Fp8KVCacheDataTypeE0EhLi32ELi128ELi256ELb1ELi1EEvPKT_PKT0_S7_ifPKiS9_S9_iPKfiiiPfSC_PS2_PT2_iSB_SB_@rel32@hi+12
	s_delay_alu instid0(SALU_CYCLE_1) | instskip(SKIP_4) | instid1(SALU_CYCLE_1)
	v_dual_mov_b32 v0, s0 :: v_dual_mov_b32 v1, s1
	s_mov_b32 s32, 0
	s_getpc_b64 s[2:3]
	s_add_u32 s2, s2, __assert_fail@rel32@lo+4
	s_addc_u32 s3, s3, __assert_fail@rel32@hi+12
	s_swappc_b64 s[30:31], s[2:3]
	.section	.rodata,"a",@progbits
	.p2align	6, 0x0
	.amdhsa_kernel _Z38paged_attention_ll4mi_QKV_mfma4_kernelIDF16_DF16_LN4vllm18Fp8KVCacheDataTypeE0EhLi32ELi128ELi256ELb1ELi1EEvPKT_PKT0_S7_ifPKiS9_S9_iPKfiiiPfSC_PS2_PT2_iSB_SB_
		.amdhsa_group_segment_fixed_size 0
		.amdhsa_private_segment_fixed_size 64
		.amdhsa_kernarg_size 400
		.amdhsa_user_sgpr_count 15
		.amdhsa_user_sgpr_dispatch_ptr 0
		.amdhsa_user_sgpr_queue_ptr 0
		.amdhsa_user_sgpr_kernarg_segment_ptr 1
		.amdhsa_user_sgpr_dispatch_id 0
		.amdhsa_user_sgpr_private_segment_size 0
		.amdhsa_wavefront_size32 1
		.amdhsa_uses_dynamic_stack 0
		.amdhsa_enable_private_segment 1
		.amdhsa_system_sgpr_workgroup_id_x 1
		.amdhsa_system_sgpr_workgroup_id_y 0
		.amdhsa_system_sgpr_workgroup_id_z 0
		.amdhsa_system_sgpr_workgroup_info 0
		.amdhsa_system_vgpr_workitem_id 0
		.amdhsa_next_free_vgpr 41
		.amdhsa_next_free_sgpr 34
		.amdhsa_reserve_vcc 1
		.amdhsa_float_round_mode_32 0
		.amdhsa_float_round_mode_16_64 0
		.amdhsa_float_denorm_mode_32 3
		.amdhsa_float_denorm_mode_16_64 3
		.amdhsa_dx10_clamp 1
		.amdhsa_ieee_mode 1
		.amdhsa_fp16_overflow 0
		.amdhsa_workgroup_processor_mode 1
		.amdhsa_memory_ordered 1
		.amdhsa_forward_progress 0
		.amdhsa_shared_vgpr_count 0
		.amdhsa_exception_fp_ieee_invalid_op 0
		.amdhsa_exception_fp_denorm_src 0
		.amdhsa_exception_fp_ieee_div_zero 0
		.amdhsa_exception_fp_ieee_overflow 0
		.amdhsa_exception_fp_ieee_underflow 0
		.amdhsa_exception_fp_ieee_inexact 0
		.amdhsa_exception_int_div_zero 0
	.end_amdhsa_kernel
	.section	.text._Z38paged_attention_ll4mi_QKV_mfma4_kernelIDF16_DF16_LN4vllm18Fp8KVCacheDataTypeE0EhLi32ELi128ELi256ELb1ELi1EEvPKT_PKT0_S7_ifPKiS9_S9_iPKfiiiPfSC_PS2_PT2_iSB_SB_,"axG",@progbits,_Z38paged_attention_ll4mi_QKV_mfma4_kernelIDF16_DF16_LN4vllm18Fp8KVCacheDataTypeE0EhLi32ELi128ELi256ELb1ELi1EEvPKT_PKT0_S7_ifPKiS9_S9_iPKfiiiPfSC_PS2_PT2_iSB_SB_,comdat
.Lfunc_end306:
	.size	_Z38paged_attention_ll4mi_QKV_mfma4_kernelIDF16_DF16_LN4vllm18Fp8KVCacheDataTypeE0EhLi32ELi128ELi256ELb1ELi1EEvPKT_PKT0_S7_ifPKiS9_S9_iPKfiiiPfSC_PS2_PT2_iSB_SB_, .Lfunc_end306-_Z38paged_attention_ll4mi_QKV_mfma4_kernelIDF16_DF16_LN4vllm18Fp8KVCacheDataTypeE0EhLi32ELi128ELi256ELb1ELi1EEvPKT_PKT0_S7_ifPKiS9_S9_iPKfiiiPfSC_PS2_PT2_iSB_SB_
                                        ; -- End function
	.section	.AMDGPU.csdata,"",@progbits
; Kernel info:
; codeLenInByte = 72
; NumSgprs: 36
; NumVgprs: 41
; ScratchSize: 64
; MemoryBound: 0
; FloatMode: 240
; IeeeMode: 1
; LDSByteSize: 0 bytes/workgroup (compile time only)
; SGPRBlocks: 4
; VGPRBlocks: 5
; NumSGPRsForWavesPerEU: 36
; NumVGPRsForWavesPerEU: 41
; Occupancy: 16
; WaveLimiterHint : 1
; COMPUTE_PGM_RSRC2:SCRATCH_EN: 1
; COMPUTE_PGM_RSRC2:USER_SGPR: 15
; COMPUTE_PGM_RSRC2:TRAP_HANDLER: 0
; COMPUTE_PGM_RSRC2:TGID_X_EN: 1
; COMPUTE_PGM_RSRC2:TGID_Y_EN: 0
; COMPUTE_PGM_RSRC2:TGID_Z_EN: 0
; COMPUTE_PGM_RSRC2:TIDIG_COMP_CNT: 0
	.section	.text._Z38paged_attention_ll4mi_QKV_mfma4_kernelIDF16_DF16_LN4vllm18Fp8KVCacheDataTypeE0EhLi32ELi128ELi256ELb1ELi2EEvPKT_PKT0_S7_ifPKiS9_S9_iPKfiiiPfSC_PS2_PT2_iSB_SB_,"axG",@progbits,_Z38paged_attention_ll4mi_QKV_mfma4_kernelIDF16_DF16_LN4vllm18Fp8KVCacheDataTypeE0EhLi32ELi128ELi256ELb1ELi2EEvPKT_PKT0_S7_ifPKiS9_S9_iPKfiiiPfSC_PS2_PT2_iSB_SB_,comdat
	.protected	_Z38paged_attention_ll4mi_QKV_mfma4_kernelIDF16_DF16_LN4vllm18Fp8KVCacheDataTypeE0EhLi32ELi128ELi256ELb1ELi2EEvPKT_PKT0_S7_ifPKiS9_S9_iPKfiiiPfSC_PS2_PT2_iSB_SB_ ; -- Begin function _Z38paged_attention_ll4mi_QKV_mfma4_kernelIDF16_DF16_LN4vllm18Fp8KVCacheDataTypeE0EhLi32ELi128ELi256ELb1ELi2EEvPKT_PKT0_S7_ifPKiS9_S9_iPKfiiiPfSC_PS2_PT2_iSB_SB_
	.globl	_Z38paged_attention_ll4mi_QKV_mfma4_kernelIDF16_DF16_LN4vllm18Fp8KVCacheDataTypeE0EhLi32ELi128ELi256ELb1ELi2EEvPKT_PKT0_S7_ifPKiS9_S9_iPKfiiiPfSC_PS2_PT2_iSB_SB_
	.p2align	8
	.type	_Z38paged_attention_ll4mi_QKV_mfma4_kernelIDF16_DF16_LN4vllm18Fp8KVCacheDataTypeE0EhLi32ELi128ELi256ELb1ELi2EEvPKT_PKT0_S7_ifPKiS9_S9_iPKfiiiPfSC_PS2_PT2_iSB_SB_,@function
_Z38paged_attention_ll4mi_QKV_mfma4_kernelIDF16_DF16_LN4vllm18Fp8KVCacheDataTypeE0EhLi32ELi128ELi256ELb1ELi2EEvPKT_PKT0_S7_ifPKiS9_S9_iPKfiiiPfSC_PS2_PT2_iSB_SB_: ; @_Z38paged_attention_ll4mi_QKV_mfma4_kernelIDF16_DF16_LN4vllm18Fp8KVCacheDataTypeE0EhLi32ELi128ELi256ELb1ELi2EEvPKT_PKT0_S7_ifPKiS9_S9_iPKfiiiPfSC_PS2_PT2_iSB_SB_
; %bb.0:
	s_add_u32 s8, s0, 0x90
	s_addc_u32 s9, s1, 0
	s_getpc_b64 s[0:1]
	s_add_u32 s0, s0, __PRETTY_FUNCTION__._Z38paged_attention_ll4mi_QKV_mfma4_kernelIDF16_DF16_LN4vllm18Fp8KVCacheDataTypeE0EhLi32ELi128ELi256ELb1ELi2EEvPKT_PKT0_S7_ifPKiS9_S9_iPKfiiiPfSC_PS2_PT2_iSB_SB_@rel32@lo+4
	s_addc_u32 s1, s1, __PRETTY_FUNCTION__._Z38paged_attention_ll4mi_QKV_mfma4_kernelIDF16_DF16_LN4vllm18Fp8KVCacheDataTypeE0EhLi32ELi128ELi256ELb1ELi2EEvPKT_PKT0_S7_ifPKiS9_S9_iPKfiiiPfSC_PS2_PT2_iSB_SB_@rel32@hi+12
	s_delay_alu instid0(SALU_CYCLE_1) | instskip(SKIP_4) | instid1(SALU_CYCLE_1)
	v_dual_mov_b32 v0, s0 :: v_dual_mov_b32 v1, s1
	s_mov_b32 s32, 0
	s_getpc_b64 s[2:3]
	s_add_u32 s2, s2, __assert_fail@rel32@lo+4
	s_addc_u32 s3, s3, __assert_fail@rel32@hi+12
	s_swappc_b64 s[30:31], s[2:3]
	.section	.rodata,"a",@progbits
	.p2align	6, 0x0
	.amdhsa_kernel _Z38paged_attention_ll4mi_QKV_mfma4_kernelIDF16_DF16_LN4vllm18Fp8KVCacheDataTypeE0EhLi32ELi128ELi256ELb1ELi2EEvPKT_PKT0_S7_ifPKiS9_S9_iPKfiiiPfSC_PS2_PT2_iSB_SB_
		.amdhsa_group_segment_fixed_size 0
		.amdhsa_private_segment_fixed_size 64
		.amdhsa_kernarg_size 400
		.amdhsa_user_sgpr_count 15
		.amdhsa_user_sgpr_dispatch_ptr 0
		.amdhsa_user_sgpr_queue_ptr 0
		.amdhsa_user_sgpr_kernarg_segment_ptr 1
		.amdhsa_user_sgpr_dispatch_id 0
		.amdhsa_user_sgpr_private_segment_size 0
		.amdhsa_wavefront_size32 1
		.amdhsa_uses_dynamic_stack 0
		.amdhsa_enable_private_segment 1
		.amdhsa_system_sgpr_workgroup_id_x 1
		.amdhsa_system_sgpr_workgroup_id_y 0
		.amdhsa_system_sgpr_workgroup_id_z 0
		.amdhsa_system_sgpr_workgroup_info 0
		.amdhsa_system_vgpr_workitem_id 0
		.amdhsa_next_free_vgpr 41
		.amdhsa_next_free_sgpr 34
		.amdhsa_reserve_vcc 1
		.amdhsa_float_round_mode_32 0
		.amdhsa_float_round_mode_16_64 0
		.amdhsa_float_denorm_mode_32 3
		.amdhsa_float_denorm_mode_16_64 3
		.amdhsa_dx10_clamp 1
		.amdhsa_ieee_mode 1
		.amdhsa_fp16_overflow 0
		.amdhsa_workgroup_processor_mode 1
		.amdhsa_memory_ordered 1
		.amdhsa_forward_progress 0
		.amdhsa_shared_vgpr_count 0
		.amdhsa_exception_fp_ieee_invalid_op 0
		.amdhsa_exception_fp_denorm_src 0
		.amdhsa_exception_fp_ieee_div_zero 0
		.amdhsa_exception_fp_ieee_overflow 0
		.amdhsa_exception_fp_ieee_underflow 0
		.amdhsa_exception_fp_ieee_inexact 0
		.amdhsa_exception_int_div_zero 0
	.end_amdhsa_kernel
	.section	.text._Z38paged_attention_ll4mi_QKV_mfma4_kernelIDF16_DF16_LN4vllm18Fp8KVCacheDataTypeE0EhLi32ELi128ELi256ELb1ELi2EEvPKT_PKT0_S7_ifPKiS9_S9_iPKfiiiPfSC_PS2_PT2_iSB_SB_,"axG",@progbits,_Z38paged_attention_ll4mi_QKV_mfma4_kernelIDF16_DF16_LN4vllm18Fp8KVCacheDataTypeE0EhLi32ELi128ELi256ELb1ELi2EEvPKT_PKT0_S7_ifPKiS9_S9_iPKfiiiPfSC_PS2_PT2_iSB_SB_,comdat
.Lfunc_end307:
	.size	_Z38paged_attention_ll4mi_QKV_mfma4_kernelIDF16_DF16_LN4vllm18Fp8KVCacheDataTypeE0EhLi32ELi128ELi256ELb1ELi2EEvPKT_PKT0_S7_ifPKiS9_S9_iPKfiiiPfSC_PS2_PT2_iSB_SB_, .Lfunc_end307-_Z38paged_attention_ll4mi_QKV_mfma4_kernelIDF16_DF16_LN4vllm18Fp8KVCacheDataTypeE0EhLi32ELi128ELi256ELb1ELi2EEvPKT_PKT0_S7_ifPKiS9_S9_iPKfiiiPfSC_PS2_PT2_iSB_SB_
                                        ; -- End function
	.section	.AMDGPU.csdata,"",@progbits
; Kernel info:
; codeLenInByte = 72
; NumSgprs: 36
; NumVgprs: 41
; ScratchSize: 64
; MemoryBound: 0
; FloatMode: 240
; IeeeMode: 1
; LDSByteSize: 0 bytes/workgroup (compile time only)
; SGPRBlocks: 4
; VGPRBlocks: 5
; NumSGPRsForWavesPerEU: 36
; NumVGPRsForWavesPerEU: 41
; Occupancy: 16
; WaveLimiterHint : 1
; COMPUTE_PGM_RSRC2:SCRATCH_EN: 1
; COMPUTE_PGM_RSRC2:USER_SGPR: 15
; COMPUTE_PGM_RSRC2:TRAP_HANDLER: 0
; COMPUTE_PGM_RSRC2:TGID_X_EN: 1
; COMPUTE_PGM_RSRC2:TGID_Y_EN: 0
; COMPUTE_PGM_RSRC2:TGID_Z_EN: 0
; COMPUTE_PGM_RSRC2:TIDIG_COMP_CNT: 0
	.section	.text._Z38paged_attention_ll4mi_QKV_mfma4_kernelIDF16_DF16_LN4vllm18Fp8KVCacheDataTypeE0EhLi32ELi128ELi256ELb1ELi3EEvPKT_PKT0_S7_ifPKiS9_S9_iPKfiiiPfSC_PS2_PT2_iSB_SB_,"axG",@progbits,_Z38paged_attention_ll4mi_QKV_mfma4_kernelIDF16_DF16_LN4vllm18Fp8KVCacheDataTypeE0EhLi32ELi128ELi256ELb1ELi3EEvPKT_PKT0_S7_ifPKiS9_S9_iPKfiiiPfSC_PS2_PT2_iSB_SB_,comdat
	.protected	_Z38paged_attention_ll4mi_QKV_mfma4_kernelIDF16_DF16_LN4vllm18Fp8KVCacheDataTypeE0EhLi32ELi128ELi256ELb1ELi3EEvPKT_PKT0_S7_ifPKiS9_S9_iPKfiiiPfSC_PS2_PT2_iSB_SB_ ; -- Begin function _Z38paged_attention_ll4mi_QKV_mfma4_kernelIDF16_DF16_LN4vllm18Fp8KVCacheDataTypeE0EhLi32ELi128ELi256ELb1ELi3EEvPKT_PKT0_S7_ifPKiS9_S9_iPKfiiiPfSC_PS2_PT2_iSB_SB_
	.globl	_Z38paged_attention_ll4mi_QKV_mfma4_kernelIDF16_DF16_LN4vllm18Fp8KVCacheDataTypeE0EhLi32ELi128ELi256ELb1ELi3EEvPKT_PKT0_S7_ifPKiS9_S9_iPKfiiiPfSC_PS2_PT2_iSB_SB_
	.p2align	8
	.type	_Z38paged_attention_ll4mi_QKV_mfma4_kernelIDF16_DF16_LN4vllm18Fp8KVCacheDataTypeE0EhLi32ELi128ELi256ELb1ELi3EEvPKT_PKT0_S7_ifPKiS9_S9_iPKfiiiPfSC_PS2_PT2_iSB_SB_,@function
_Z38paged_attention_ll4mi_QKV_mfma4_kernelIDF16_DF16_LN4vllm18Fp8KVCacheDataTypeE0EhLi32ELi128ELi256ELb1ELi3EEvPKT_PKT0_S7_ifPKiS9_S9_iPKfiiiPfSC_PS2_PT2_iSB_SB_: ; @_Z38paged_attention_ll4mi_QKV_mfma4_kernelIDF16_DF16_LN4vllm18Fp8KVCacheDataTypeE0EhLi32ELi128ELi256ELb1ELi3EEvPKT_PKT0_S7_ifPKiS9_S9_iPKfiiiPfSC_PS2_PT2_iSB_SB_
; %bb.0:
	s_add_u32 s8, s0, 0x90
	s_addc_u32 s9, s1, 0
	s_getpc_b64 s[0:1]
	s_add_u32 s0, s0, __PRETTY_FUNCTION__._Z38paged_attention_ll4mi_QKV_mfma4_kernelIDF16_DF16_LN4vllm18Fp8KVCacheDataTypeE0EhLi32ELi128ELi256ELb1ELi3EEvPKT_PKT0_S7_ifPKiS9_S9_iPKfiiiPfSC_PS2_PT2_iSB_SB_@rel32@lo+4
	s_addc_u32 s1, s1, __PRETTY_FUNCTION__._Z38paged_attention_ll4mi_QKV_mfma4_kernelIDF16_DF16_LN4vllm18Fp8KVCacheDataTypeE0EhLi32ELi128ELi256ELb1ELi3EEvPKT_PKT0_S7_ifPKiS9_S9_iPKfiiiPfSC_PS2_PT2_iSB_SB_@rel32@hi+12
	s_delay_alu instid0(SALU_CYCLE_1) | instskip(SKIP_4) | instid1(SALU_CYCLE_1)
	v_dual_mov_b32 v0, s0 :: v_dual_mov_b32 v1, s1
	s_mov_b32 s32, 0
	s_getpc_b64 s[2:3]
	s_add_u32 s2, s2, __assert_fail@rel32@lo+4
	s_addc_u32 s3, s3, __assert_fail@rel32@hi+12
	s_swappc_b64 s[30:31], s[2:3]
	.section	.rodata,"a",@progbits
	.p2align	6, 0x0
	.amdhsa_kernel _Z38paged_attention_ll4mi_QKV_mfma4_kernelIDF16_DF16_LN4vllm18Fp8KVCacheDataTypeE0EhLi32ELi128ELi256ELb1ELi3EEvPKT_PKT0_S7_ifPKiS9_S9_iPKfiiiPfSC_PS2_PT2_iSB_SB_
		.amdhsa_group_segment_fixed_size 0
		.amdhsa_private_segment_fixed_size 64
		.amdhsa_kernarg_size 400
		.amdhsa_user_sgpr_count 15
		.amdhsa_user_sgpr_dispatch_ptr 0
		.amdhsa_user_sgpr_queue_ptr 0
		.amdhsa_user_sgpr_kernarg_segment_ptr 1
		.amdhsa_user_sgpr_dispatch_id 0
		.amdhsa_user_sgpr_private_segment_size 0
		.amdhsa_wavefront_size32 1
		.amdhsa_uses_dynamic_stack 0
		.amdhsa_enable_private_segment 1
		.amdhsa_system_sgpr_workgroup_id_x 1
		.amdhsa_system_sgpr_workgroup_id_y 0
		.amdhsa_system_sgpr_workgroup_id_z 0
		.amdhsa_system_sgpr_workgroup_info 0
		.amdhsa_system_vgpr_workitem_id 0
		.amdhsa_next_free_vgpr 41
		.amdhsa_next_free_sgpr 34
		.amdhsa_reserve_vcc 1
		.amdhsa_float_round_mode_32 0
		.amdhsa_float_round_mode_16_64 0
		.amdhsa_float_denorm_mode_32 3
		.amdhsa_float_denorm_mode_16_64 3
		.amdhsa_dx10_clamp 1
		.amdhsa_ieee_mode 1
		.amdhsa_fp16_overflow 0
		.amdhsa_workgroup_processor_mode 1
		.amdhsa_memory_ordered 1
		.amdhsa_forward_progress 0
		.amdhsa_shared_vgpr_count 0
		.amdhsa_exception_fp_ieee_invalid_op 0
		.amdhsa_exception_fp_denorm_src 0
		.amdhsa_exception_fp_ieee_div_zero 0
		.amdhsa_exception_fp_ieee_overflow 0
		.amdhsa_exception_fp_ieee_underflow 0
		.amdhsa_exception_fp_ieee_inexact 0
		.amdhsa_exception_int_div_zero 0
	.end_amdhsa_kernel
	.section	.text._Z38paged_attention_ll4mi_QKV_mfma4_kernelIDF16_DF16_LN4vllm18Fp8KVCacheDataTypeE0EhLi32ELi128ELi256ELb1ELi3EEvPKT_PKT0_S7_ifPKiS9_S9_iPKfiiiPfSC_PS2_PT2_iSB_SB_,"axG",@progbits,_Z38paged_attention_ll4mi_QKV_mfma4_kernelIDF16_DF16_LN4vllm18Fp8KVCacheDataTypeE0EhLi32ELi128ELi256ELb1ELi3EEvPKT_PKT0_S7_ifPKiS9_S9_iPKfiiiPfSC_PS2_PT2_iSB_SB_,comdat
.Lfunc_end308:
	.size	_Z38paged_attention_ll4mi_QKV_mfma4_kernelIDF16_DF16_LN4vllm18Fp8KVCacheDataTypeE0EhLi32ELi128ELi256ELb1ELi3EEvPKT_PKT0_S7_ifPKiS9_S9_iPKfiiiPfSC_PS2_PT2_iSB_SB_, .Lfunc_end308-_Z38paged_attention_ll4mi_QKV_mfma4_kernelIDF16_DF16_LN4vllm18Fp8KVCacheDataTypeE0EhLi32ELi128ELi256ELb1ELi3EEvPKT_PKT0_S7_ifPKiS9_S9_iPKfiiiPfSC_PS2_PT2_iSB_SB_
                                        ; -- End function
	.section	.AMDGPU.csdata,"",@progbits
; Kernel info:
; codeLenInByte = 72
; NumSgprs: 36
; NumVgprs: 41
; ScratchSize: 64
; MemoryBound: 0
; FloatMode: 240
; IeeeMode: 1
; LDSByteSize: 0 bytes/workgroup (compile time only)
; SGPRBlocks: 4
; VGPRBlocks: 5
; NumSGPRsForWavesPerEU: 36
; NumVGPRsForWavesPerEU: 41
; Occupancy: 16
; WaveLimiterHint : 1
; COMPUTE_PGM_RSRC2:SCRATCH_EN: 1
; COMPUTE_PGM_RSRC2:USER_SGPR: 15
; COMPUTE_PGM_RSRC2:TRAP_HANDLER: 0
; COMPUTE_PGM_RSRC2:TGID_X_EN: 1
; COMPUTE_PGM_RSRC2:TGID_Y_EN: 0
; COMPUTE_PGM_RSRC2:TGID_Z_EN: 0
; COMPUTE_PGM_RSRC2:TIDIG_COMP_CNT: 0
	.section	.text._Z38paged_attention_ll4mi_QKV_mfma4_kernelIDF16_DF16_LN4vllm18Fp8KVCacheDataTypeE0EhLi32ELi128ELi256ELb1ELi4EEvPKT_PKT0_S7_ifPKiS9_S9_iPKfiiiPfSC_PS2_PT2_iSB_SB_,"axG",@progbits,_Z38paged_attention_ll4mi_QKV_mfma4_kernelIDF16_DF16_LN4vllm18Fp8KVCacheDataTypeE0EhLi32ELi128ELi256ELb1ELi4EEvPKT_PKT0_S7_ifPKiS9_S9_iPKfiiiPfSC_PS2_PT2_iSB_SB_,comdat
	.protected	_Z38paged_attention_ll4mi_QKV_mfma4_kernelIDF16_DF16_LN4vllm18Fp8KVCacheDataTypeE0EhLi32ELi128ELi256ELb1ELi4EEvPKT_PKT0_S7_ifPKiS9_S9_iPKfiiiPfSC_PS2_PT2_iSB_SB_ ; -- Begin function _Z38paged_attention_ll4mi_QKV_mfma4_kernelIDF16_DF16_LN4vllm18Fp8KVCacheDataTypeE0EhLi32ELi128ELi256ELb1ELi4EEvPKT_PKT0_S7_ifPKiS9_S9_iPKfiiiPfSC_PS2_PT2_iSB_SB_
	.globl	_Z38paged_attention_ll4mi_QKV_mfma4_kernelIDF16_DF16_LN4vllm18Fp8KVCacheDataTypeE0EhLi32ELi128ELi256ELb1ELi4EEvPKT_PKT0_S7_ifPKiS9_S9_iPKfiiiPfSC_PS2_PT2_iSB_SB_
	.p2align	8
	.type	_Z38paged_attention_ll4mi_QKV_mfma4_kernelIDF16_DF16_LN4vllm18Fp8KVCacheDataTypeE0EhLi32ELi128ELi256ELb1ELi4EEvPKT_PKT0_S7_ifPKiS9_S9_iPKfiiiPfSC_PS2_PT2_iSB_SB_,@function
_Z38paged_attention_ll4mi_QKV_mfma4_kernelIDF16_DF16_LN4vllm18Fp8KVCacheDataTypeE0EhLi32ELi128ELi256ELb1ELi4EEvPKT_PKT0_S7_ifPKiS9_S9_iPKfiiiPfSC_PS2_PT2_iSB_SB_: ; @_Z38paged_attention_ll4mi_QKV_mfma4_kernelIDF16_DF16_LN4vllm18Fp8KVCacheDataTypeE0EhLi32ELi128ELi256ELb1ELi4EEvPKT_PKT0_S7_ifPKiS9_S9_iPKfiiiPfSC_PS2_PT2_iSB_SB_
; %bb.0:
	s_add_u32 s8, s0, 0x90
	s_addc_u32 s9, s1, 0
	s_getpc_b64 s[0:1]
	s_add_u32 s0, s0, __PRETTY_FUNCTION__._Z38paged_attention_ll4mi_QKV_mfma4_kernelIDF16_DF16_LN4vllm18Fp8KVCacheDataTypeE0EhLi32ELi128ELi256ELb1ELi4EEvPKT_PKT0_S7_ifPKiS9_S9_iPKfiiiPfSC_PS2_PT2_iSB_SB_@rel32@lo+4
	s_addc_u32 s1, s1, __PRETTY_FUNCTION__._Z38paged_attention_ll4mi_QKV_mfma4_kernelIDF16_DF16_LN4vllm18Fp8KVCacheDataTypeE0EhLi32ELi128ELi256ELb1ELi4EEvPKT_PKT0_S7_ifPKiS9_S9_iPKfiiiPfSC_PS2_PT2_iSB_SB_@rel32@hi+12
	s_delay_alu instid0(SALU_CYCLE_1) | instskip(SKIP_4) | instid1(SALU_CYCLE_1)
	v_dual_mov_b32 v0, s0 :: v_dual_mov_b32 v1, s1
	s_mov_b32 s32, 0
	s_getpc_b64 s[2:3]
	s_add_u32 s2, s2, __assert_fail@rel32@lo+4
	s_addc_u32 s3, s3, __assert_fail@rel32@hi+12
	s_swappc_b64 s[30:31], s[2:3]
	.section	.rodata,"a",@progbits
	.p2align	6, 0x0
	.amdhsa_kernel _Z38paged_attention_ll4mi_QKV_mfma4_kernelIDF16_DF16_LN4vllm18Fp8KVCacheDataTypeE0EhLi32ELi128ELi256ELb1ELi4EEvPKT_PKT0_S7_ifPKiS9_S9_iPKfiiiPfSC_PS2_PT2_iSB_SB_
		.amdhsa_group_segment_fixed_size 0
		.amdhsa_private_segment_fixed_size 64
		.amdhsa_kernarg_size 400
		.amdhsa_user_sgpr_count 15
		.amdhsa_user_sgpr_dispatch_ptr 0
		.amdhsa_user_sgpr_queue_ptr 0
		.amdhsa_user_sgpr_kernarg_segment_ptr 1
		.amdhsa_user_sgpr_dispatch_id 0
		.amdhsa_user_sgpr_private_segment_size 0
		.amdhsa_wavefront_size32 1
		.amdhsa_uses_dynamic_stack 0
		.amdhsa_enable_private_segment 1
		.amdhsa_system_sgpr_workgroup_id_x 1
		.amdhsa_system_sgpr_workgroup_id_y 0
		.amdhsa_system_sgpr_workgroup_id_z 0
		.amdhsa_system_sgpr_workgroup_info 0
		.amdhsa_system_vgpr_workitem_id 0
		.amdhsa_next_free_vgpr 41
		.amdhsa_next_free_sgpr 34
		.amdhsa_reserve_vcc 1
		.amdhsa_float_round_mode_32 0
		.amdhsa_float_round_mode_16_64 0
		.amdhsa_float_denorm_mode_32 3
		.amdhsa_float_denorm_mode_16_64 3
		.amdhsa_dx10_clamp 1
		.amdhsa_ieee_mode 1
		.amdhsa_fp16_overflow 0
		.amdhsa_workgroup_processor_mode 1
		.amdhsa_memory_ordered 1
		.amdhsa_forward_progress 0
		.amdhsa_shared_vgpr_count 0
		.amdhsa_exception_fp_ieee_invalid_op 0
		.amdhsa_exception_fp_denorm_src 0
		.amdhsa_exception_fp_ieee_div_zero 0
		.amdhsa_exception_fp_ieee_overflow 0
		.amdhsa_exception_fp_ieee_underflow 0
		.amdhsa_exception_fp_ieee_inexact 0
		.amdhsa_exception_int_div_zero 0
	.end_amdhsa_kernel
	.section	.text._Z38paged_attention_ll4mi_QKV_mfma4_kernelIDF16_DF16_LN4vllm18Fp8KVCacheDataTypeE0EhLi32ELi128ELi256ELb1ELi4EEvPKT_PKT0_S7_ifPKiS9_S9_iPKfiiiPfSC_PS2_PT2_iSB_SB_,"axG",@progbits,_Z38paged_attention_ll4mi_QKV_mfma4_kernelIDF16_DF16_LN4vllm18Fp8KVCacheDataTypeE0EhLi32ELi128ELi256ELb1ELi4EEvPKT_PKT0_S7_ifPKiS9_S9_iPKfiiiPfSC_PS2_PT2_iSB_SB_,comdat
.Lfunc_end309:
	.size	_Z38paged_attention_ll4mi_QKV_mfma4_kernelIDF16_DF16_LN4vllm18Fp8KVCacheDataTypeE0EhLi32ELi128ELi256ELb1ELi4EEvPKT_PKT0_S7_ifPKiS9_S9_iPKfiiiPfSC_PS2_PT2_iSB_SB_, .Lfunc_end309-_Z38paged_attention_ll4mi_QKV_mfma4_kernelIDF16_DF16_LN4vllm18Fp8KVCacheDataTypeE0EhLi32ELi128ELi256ELb1ELi4EEvPKT_PKT0_S7_ifPKiS9_S9_iPKfiiiPfSC_PS2_PT2_iSB_SB_
                                        ; -- End function
	.section	.AMDGPU.csdata,"",@progbits
; Kernel info:
; codeLenInByte = 72
; NumSgprs: 36
; NumVgprs: 41
; ScratchSize: 64
; MemoryBound: 0
; FloatMode: 240
; IeeeMode: 1
; LDSByteSize: 0 bytes/workgroup (compile time only)
; SGPRBlocks: 4
; VGPRBlocks: 5
; NumSGPRsForWavesPerEU: 36
; NumVGPRsForWavesPerEU: 41
; Occupancy: 16
; WaveLimiterHint : 1
; COMPUTE_PGM_RSRC2:SCRATCH_EN: 1
; COMPUTE_PGM_RSRC2:USER_SGPR: 15
; COMPUTE_PGM_RSRC2:TRAP_HANDLER: 0
; COMPUTE_PGM_RSRC2:TGID_X_EN: 1
; COMPUTE_PGM_RSRC2:TGID_Y_EN: 0
; COMPUTE_PGM_RSRC2:TGID_Z_EN: 0
; COMPUTE_PGM_RSRC2:TIDIG_COMP_CNT: 0
	.section	.text._Z39paged_attention_ll4mi_QKV_mfma16_kernelIDF16_DF16_LN4vllm18Fp8KVCacheDataTypeE0EhLi32ELi128ELi256ELb1ELi5EL8MFMAType0EEvPKT_PKT0_S8_ifPKiSA_SA_iPKfiiiPfSD_PS3_PT2_iSC_SC_,"axG",@progbits,_Z39paged_attention_ll4mi_QKV_mfma16_kernelIDF16_DF16_LN4vllm18Fp8KVCacheDataTypeE0EhLi32ELi128ELi256ELb1ELi5EL8MFMAType0EEvPKT_PKT0_S8_ifPKiSA_SA_iPKfiiiPfSD_PS3_PT2_iSC_SC_,comdat
	.protected	_Z39paged_attention_ll4mi_QKV_mfma16_kernelIDF16_DF16_LN4vllm18Fp8KVCacheDataTypeE0EhLi32ELi128ELi256ELb1ELi5EL8MFMAType0EEvPKT_PKT0_S8_ifPKiSA_SA_iPKfiiiPfSD_PS3_PT2_iSC_SC_ ; -- Begin function _Z39paged_attention_ll4mi_QKV_mfma16_kernelIDF16_DF16_LN4vllm18Fp8KVCacheDataTypeE0EhLi32ELi128ELi256ELb1ELi5EL8MFMAType0EEvPKT_PKT0_S8_ifPKiSA_SA_iPKfiiiPfSD_PS3_PT2_iSC_SC_
	.globl	_Z39paged_attention_ll4mi_QKV_mfma16_kernelIDF16_DF16_LN4vllm18Fp8KVCacheDataTypeE0EhLi32ELi128ELi256ELb1ELi5EL8MFMAType0EEvPKT_PKT0_S8_ifPKiSA_SA_iPKfiiiPfSD_PS3_PT2_iSC_SC_
	.p2align	8
	.type	_Z39paged_attention_ll4mi_QKV_mfma16_kernelIDF16_DF16_LN4vllm18Fp8KVCacheDataTypeE0EhLi32ELi128ELi256ELb1ELi5EL8MFMAType0EEvPKT_PKT0_S8_ifPKiSA_SA_iPKfiiiPfSD_PS3_PT2_iSC_SC_,@function
_Z39paged_attention_ll4mi_QKV_mfma16_kernelIDF16_DF16_LN4vllm18Fp8KVCacheDataTypeE0EhLi32ELi128ELi256ELb1ELi5EL8MFMAType0EEvPKT_PKT0_S8_ifPKiSA_SA_iPKfiiiPfSD_PS3_PT2_iSC_SC_: ; @_Z39paged_attention_ll4mi_QKV_mfma16_kernelIDF16_DF16_LN4vllm18Fp8KVCacheDataTypeE0EhLi32ELi128ELi256ELb1ELi5EL8MFMAType0EEvPKT_PKT0_S8_ifPKiSA_SA_iPKfiiiPfSD_PS3_PT2_iSC_SC_
; %bb.0:
	s_load_b64 s[2:3], s[0:1], 0x30
	s_mov_b32 s34, s13
	s_waitcnt lgkmcnt(0)
	s_cmp_lg_u64 s[2:3], 0
	s_cselect_b32 s6, -1, 0
	s_ashr_i32 s35, s13, 31
	s_cmp_eq_u64 s[2:3], 0
	s_cbranch_scc1 .LBB310_3
; %bb.1:
	s_lshl_b64 s[4:5], s[34:35], 2
	s_delay_alu instid0(SALU_CYCLE_1) | instskip(SKIP_4) | instid1(SALU_CYCLE_1)
	s_add_u32 s4, s2, s4
	s_addc_u32 s5, s3, s5
	s_load_b64 s[4:5], s[4:5], 0x0
	s_waitcnt lgkmcnt(0)
	s_sub_i32 s4, s5, s4
	s_cmp_eq_u32 s4, 1
	s_cselect_b32 s4, -1, 0
	s_delay_alu instid0(SALU_CYCLE_1)
	s_and_not1_b32 vcc_lo, exec_lo, s4
	s_cbranch_vccz .LBB310_4
.LBB310_2:
	s_nop 0
	s_sendmsg sendmsg(MSG_DEALLOC_VGPRS)
	s_endpgm
.LBB310_3:
.LBB310_4:
	s_load_b64 s[8:9], s[0:1], 0x28
	s_lshl_b64 s[4:5], s[34:35], 2
	s_waitcnt lgkmcnt(0)
	s_add_u32 s8, s8, s4
	s_addc_u32 s9, s9, s5
	s_lshl_b32 s12, s14, 8
	s_load_b32 s17, s[8:9], 0x0
	s_waitcnt lgkmcnt(0)
	s_cmp_ge_i32 s12, s17
	s_cbranch_scc1 .LBB310_2
; %bb.5:
	s_and_not1_b32 vcc_lo, exec_lo, s6
	s_cbranch_vccnz .LBB310_7
; %bb.6:
	s_add_u32 s2, s2, s4
	s_addc_u32 s3, s3, s5
	s_load_b32 s13, s[2:3], 0x0
	s_branch .LBB310_8
.LBB310_7:
	s_mov_b32 s13, s34
.LBB310_8:
	s_clause 0x2
	s_load_b128 s[8:11], s[0:1], 0x8
	s_load_b64 s[2:3], s[0:1], 0x20
	s_load_b128 s[4:7], s[0:1], 0x48
	v_lshrrev_b32_e32 v78, 5, v0
	v_bfe_u32 v75, v0, 4, 1
	v_and_b32_e32 v77, 15, v0
	s_waitcnt lgkmcnt(0)
	s_mov_b32 s7, exec_lo
	s_delay_alu instid0(VALU_DEP_2) | instskip(NEXT) | instid1(VALU_DEP_2)
	v_lshl_or_b32 v3, v78, 1, v75
	v_lshlrev_b32_e32 v1, 3, v77
	s_delay_alu instid0(VALU_DEP_2)
	v_cmpx_lt_u32_e32 4, v3
	s_xor_b32 s7, exec_lo, s7
; %bb.9:
	v_mov_b32_e32 v2, 0
                                        ; implicit-def: $vgpr3
; %bb.10:
	s_or_saveexec_b32 s7, s7
	v_and_b32_e32 v80, 31, v0
	v_and_b32_e32 v76, 1, v0
	s_mul_i32 s31, s15, 5
	s_xor_b32 exec_lo, exec_lo, s7
	s_cbranch_execz .LBB310_12
; %bb.11:
	s_load_b64 s[18:19], s[0:1], 0x0
	v_add_lshl_u32 v4, v3, s31, 7
	s_mul_hi_i32 s21, s13, s4
	s_mul_i32 s20, s13, s4
	v_lshlrev_b32_e32 v2, 1, v1
	s_lshl_b64 s[20:21], s[20:21], 1
	v_ashrrev_i32_e32 v5, 31, v4
	v_lshlrev_b32_e32 v3, 6, v3
	v_lshlrev_b32_e32 v8, 10, v76
	s_delay_alu instid0(VALU_DEP_3) | instskip(SKIP_3) | instid1(VALU_DEP_1)
	v_lshlrev_b64 v[4:5], 1, v[4:5]
	s_waitcnt lgkmcnt(0)
	s_add_u32 s4, s18, s20
	s_addc_u32 s13, s19, s21
	v_add_co_u32 v4, vcc_lo, s4, v4
	s_delay_alu instid0(VALU_DEP_2) | instskip(NEXT) | instid1(VALU_DEP_2)
	v_add_co_ci_u32_e32 v5, vcc_lo, s13, v5, vcc_lo
	v_add_co_u32 v4, vcc_lo, v4, v2
	s_delay_alu instid0(VALU_DEP_2) | instskip(SKIP_3) | instid1(VALU_DEP_1)
	v_add_co_ci_u32_e32 v5, vcc_lo, 0, v5, vcc_lo
	v_lshlrev_b32_e32 v2, 10, v77
	global_load_b128 v[4:7], v[4:5], off
	v_and_b32_e32 v2, 0x3800, v2
	v_or3_b32 v3, v2, v8, v3
	v_mov_b32_e32 v2, 0
	s_waitcnt vmcnt(0)
	ds_store_b128 v3, v[4:7]
.LBB310_12:
	s_or_b32 exec_lo, exec_lo, s7
	v_and_b32_e32 v3, 0xef, v0
	s_add_i32 s4, s17, 31
	s_clause 0x1
	s_load_b32 s7, s[0:1], 0x38
	s_load_b32 s33, s[0:1], 0x98
	s_ashr_i32 s13, s4, 31
	v_add_nc_u32_e32 v3, s12, v3
	s_lshr_b32 s13, s13, 27
	s_load_b32 s18, s[0:1], 0x1c
	s_add_i32 s4, s4, s13
	s_waitcnt lgkmcnt(0)
	v_ashrrev_i32_e32 v4, 31, v3
	v_cmp_gt_i32_e32 vcc_lo, s17, v3
	s_ashr_i32 s4, s4, 5
	s_barrier
	s_add_i32 s4, s4, -1
	v_lshrrev_b32_e32 v5, 27, v4
	v_or_b32_e32 v4, 16, v3
	buffer_gl0_inv
	v_lshlrev_b64 v[73:74], 1, v[1:2]
	v_lshlrev_b32_e32 v79, 6, v77
	v_add_nc_u32_e32 v6, v3, v5
	v_add_nc_u32_e32 v5, v4, v5
	s_mul_i32 s20, s34, s7
	s_delay_alu instid0(SALU_CYCLE_1) | instskip(NEXT) | instid1(VALU_DEP_2)
	s_ashr_i32 s21, s20, 31
	v_ashrrev_i32_e32 v6, 5, v6
	s_delay_alu instid0(VALU_DEP_2) | instskip(SKIP_1) | instid1(SALU_CYCLE_1)
	v_ashrrev_i32_e32 v5, 5, v5
	s_lshl_b64 s[20:21], s[20:21], 2
	s_add_u32 s13, s2, s20
	s_delay_alu instid0(VALU_DEP_2) | instskip(SKIP_3) | instid1(SALU_CYCLE_1)
	v_cndmask_b32_e32 v3, s4, v6, vcc_lo
	v_cmp_gt_i32_e32 vcc_lo, s17, v4
	s_addc_u32 s16, s3, s21
	s_mul_i32 s2, s15, s6
	s_ashr_i32 s3, s2, 31
	v_cndmask_b32_e32 v5, s4, v5, vcc_lo
	v_ashrrev_i32_e32 v4, 31, v3
	s_lshl_b64 s[2:3], s[2:3], 1
	s_delay_alu instid0(SALU_CYCLE_1) | instskip(NEXT) | instid1(VALU_DEP_2)
	s_add_u32 s15, s8, s2
	v_ashrrev_i32_e32 v6, 31, v5
	s_delay_alu instid0(VALU_DEP_2) | instskip(SKIP_2) | instid1(VALU_DEP_2)
	v_lshlrev_b64 v[3:4], 2, v[3:4]
	s_addc_u32 s19, s9, s3
	s_lshl_b32 s6, s14, 3
	v_lshlrev_b64 v[5:6], 2, v[5:6]
	s_ashr_i32 s7, s6, 31
	s_delay_alu instid0(VALU_DEP_2) | instskip(SKIP_1) | instid1(VALU_DEP_3)
	v_add_co_u32 v3, vcc_lo, s13, v3
	v_add_co_ci_u32_e32 v4, vcc_lo, s16, v4, vcc_lo
	v_add_co_u32 v5, vcc_lo, s13, v5
	s_delay_alu instid0(VALU_DEP_4)
	v_add_co_ci_u32_e32 v6, vcc_lo, s16, v6, vcc_lo
	s_lshl_b64 s[6:7], s[6:7], 2
	s_clause 0x1
	global_load_b32 v7, v[3:4], off
	global_load_b32 v8, v[5:6], off
	s_add_u32 s6, s13, s6
	s_addc_u32 s7, s16, s7
	s_or_b32 s8, s12, 32
	s_delay_alu instid0(SALU_CYCLE_1) | instskip(SKIP_2) | instid1(SALU_CYCLE_1)
	s_ashr_i32 s9, s8, 5
	s_cmp_lt_i32 s8, s17
	s_cselect_b32 s8, s9, s4
	s_ashr_i32 s9, s8, 31
	s_delay_alu instid0(SALU_CYCLE_1) | instskip(NEXT) | instid1(SALU_CYCLE_1)
	s_lshl_b64 s[8:9], s[8:9], 2
	s_add_u32 s8, s13, s8
	s_addc_u32 s9, s16, s9
	s_or_b32 s20, s12, 64
	s_delay_alu instid0(SALU_CYCLE_1) | instskip(SKIP_2) | instid1(SALU_CYCLE_1)
	s_ashr_i32 s21, s20, 5
	s_cmp_lt_i32 s20, s17
	s_cselect_b32 s20, s21, s4
	s_ashr_i32 s21, s20, 31
	s_delay_alu instid0(SALU_CYCLE_1) | instskip(NEXT) | instid1(SALU_CYCLE_1)
	s_lshl_b64 s[20:21], s[20:21], 2
	;; [unrolled: 10-line block ×5, first 2 shown]
	s_add_u32 s26, s13, s26
	s_addc_u32 s27, s16, s27
	s_clause 0x5
	s_load_b32 s28, s[6:7], 0x0
	s_load_b32 s29, s[8:9], 0x0
	;; [unrolled: 1-line block ×6, first 2 shown]
	s_mov_b32 s20, 0
	s_or_b32 s6, s12, 0xc0
	s_mov_b32 s21, s20
	s_mov_b32 s22, s20
	;; [unrolled: 1-line block ×7, first 2 shown]
	s_ashr_i32 s7, s6, 5
	v_mov_b32_e32 v128, s27
	s_cmp_lt_i32 s6, s17
	v_mov_b32_e32 v127, s26
	s_cselect_b32 s6, s7, s4
	v_mov_b32_e32 v126, s25
	s_ashr_i32 s7, s6, 31
	v_mov_b32_e32 v125, s24
	s_lshl_b64 s[6:7], s[6:7], 2
	v_mov_b32_e32 v124, s23
	s_add_u32 s6, s13, s6
	s_addc_u32 s7, s16, s7
	v_mov_b32_e32 v123, s22
	v_mov_b32_e32 v121, s20
	s_waitcnt lgkmcnt(0)
	s_mul_hi_i32 s9, s28, s5
	s_mul_i32 s8, s28, s5
	s_mul_hi_i32 s37, s38, s5
	v_mov_b32_e32 v122, s21
	s_mul_hi_i32 s21, s29, s5
	s_mul_i32 s20, s29, s5
	s_mul_hi_i32 s25, s30, s5
	s_mul_i32 s24, s30, s5
	;; [unrolled: 2-line block ×3, first 2 shown]
	s_waitcnt vmcnt(1)
	v_mad_i64_i32 v[3:4], null, v7, s5, 0
	s_waitcnt vmcnt(0)
	v_mad_i64_i32 v[5:6], null, v8, s5, 0
	s_delay_alu instid0(VALU_DEP_2) | instskip(NEXT) | instid1(VALU_DEP_2)
	v_lshlrev_b64 v[3:4], 1, v[3:4]
	v_lshlrev_b64 v[1:2], 1, v[5:6]
	s_delay_alu instid0(VALU_DEP_2) | instskip(NEXT) | instid1(VALU_DEP_3)
	v_add_co_u32 v3, vcc_lo, s15, v3
	v_add_co_ci_u32_e32 v4, vcc_lo, s19, v4, vcc_lo
	s_delay_alu instid0(VALU_DEP_3) | instskip(NEXT) | instid1(VALU_DEP_4)
	v_add_co_u32 v1, vcc_lo, s15, v1
	v_add_co_ci_u32_e32 v2, vcc_lo, s19, v2, vcc_lo
	s_delay_alu instid0(VALU_DEP_4) | instskip(NEXT) | instid1(VALU_DEP_4)
	v_add_co_u32 v65, vcc_lo, v3, v73
	v_add_co_ci_u32_e32 v66, vcc_lo, v4, v74, vcc_lo
	s_delay_alu instid0(VALU_DEP_4) | instskip(NEXT) | instid1(VALU_DEP_4)
	v_add_co_u32 v67, vcc_lo, v1, v73
	v_add_co_ci_u32_e32 v68, vcc_lo, v2, v74, vcc_lo
	s_clause 0xf
	global_load_b128 v[1:4], v[65:66], off
	global_load_b128 v[5:8], v[65:66], off offset:512
	global_load_b128 v[9:12], v[67:68], off offset:256
	;; [unrolled: 1-line block ×15, first 2 shown]
	v_add_co_u32 v157, vcc_lo, 0x1000, v65
	v_add_co_ci_u32_e32 v158, vcc_lo, 0, v66, vcc_lo
	v_add_co_u32 v165, vcc_lo, 0x1000, v67
	v_add_co_ci_u32_e32 v166, vcc_lo, 0, v68, vcc_lo
	s_clause 0x7
	global_load_b128 v[81:84], v[157:158], off
	global_load_b128 v[85:88], v[157:158], off offset:512
	global_load_b128 v[89:92], v[165:166], off offset:256
	;; [unrolled: 1-line block ×7, first 2 shown]
	v_mul_lo_u16 v65, v77, 52
	s_or_b32 s15, s12, 0xe0
	s_delay_alu instid0(SALU_CYCLE_1) | instskip(SKIP_1) | instid1(VALU_DEP_1)
	s_ashr_i32 s19, s15, 5
	s_cmp_lt_i32 s15, s17
	v_lshrrev_b16 v65, 8, v65
	s_cselect_b32 s22, s19, s4
	s_delay_alu instid0(SALU_CYCLE_1) | instskip(NEXT) | instid1(VALU_DEP_1)
	s_ashr_i32 s23, s22, 31
	v_mul_lo_u16 v65, v65, 5
	s_lshl_b64 s[22:23], s[22:23], 2
	s_delay_alu instid0(SALU_CYCLE_1) | instskip(SKIP_1) | instid1(VALU_DEP_1)
	s_add_u32 s22, s13, s22
	s_addc_u32 s23, s16, s23
	v_sub_nc_u16 v65, v77, v65
	s_add_i32 s15, s12, 0x100
	s_delay_alu instid0(SALU_CYCLE_1) | instskip(SKIP_1) | instid1(VALU_DEP_1)
	s_ashr_i32 s19, s15, 5
	s_cmp_lt_i32 s15, s17
	v_and_b32_e32 v65, 0xff, v65
	s_cselect_b32 s28, s19, s4
	s_delay_alu instid0(SALU_CYCLE_1) | instskip(NEXT) | instid1(VALU_DEP_1)
	s_ashr_i32 s29, s28, 31
	v_lshlrev_b32_e32 v169, 6, v65
	ds_load_b128 v[65:68], v169
	ds_load_b128 v[69:72], v169 offset:1024
	s_clause 0x1
	global_load_b128 v[113:116], v[157:158], off offset:2048
	global_load_b128 v[117:120], v[157:158], off offset:2560
	ds_load_b128 v[129:132], v169 offset:2048
	ds_load_b128 v[133:136], v169 offset:3072
	s_clause 0x5
	global_load_b128 v[145:148], v[165:166], off offset:2304
	global_load_b128 v[149:152], v[165:166], off offset:2816
	;; [unrolled: 1-line block ×6, first 2 shown]
	s_lshl_b64 s[28:29], s[28:29], 2
	s_delay_alu instid0(SALU_CYCLE_1)
	s_add_u32 s28, s13, s28
	s_addc_u32 s29, s16, s29
	s_add_u32 s4, s10, s2
	s_addc_u32 s19, s11, s3
	s_lshl_b64 s[2:3], s[8:9], 1
	s_lshl_b64 s[8:9], s[20:21], 1
	;; [unrolled: 1-line block ×4, first 2 shown]
	s_waitcnt vmcnt(30) lgkmcnt(2)
	v_wmma_f32_16x16x16_f16 v[137:144], v[1:8], v[65:72], v[121:128]
	ds_load_b128 v[1:4], v169 offset:4096
	ds_load_b128 v[5:8], v169 offset:5120
	s_waitcnt vmcnt(28)
	v_wmma_f32_16x16x16_f16 v[121:128], v[9:16], v[65:72], v[121:128]
	ds_load_b128 v[9:12], v169 offset:6144
	ds_load_b128 v[13:16], v169 offset:7168
	s_waitcnt vmcnt(26) lgkmcnt(4)
	v_wmma_f32_16x16x16_f16 v[137:144], v[17:24], v[129:136], v[137:144]
	ds_load_b128 v[17:20], v169 offset:8192
	ds_load_b128 v[21:24], v169 offset:9216
	s_waitcnt vmcnt(24)
	v_wmma_f32_16x16x16_f16 v[121:128], v[25:32], v[129:136], v[121:128]
	v_lshl_or_b32 v25, v78, 10, v79
	ds_load_b128 v[129:132], v169 offset:10240
	ds_load_b128 v[133:136], v169 offset:11264
	s_clause 0x2
	s_load_b32 s15, s[6:7], 0x0
	s_load_b32 s13, s[22:23], 0x0
	s_load_b32 s16, s[28:29], 0x0
	s_mul_hi_i32 s7, s36, s5
	v_add_co_u32 v170, s4, s4, v25
	s_delay_alu instid0(VALU_DEP_1)
	v_add_co_ci_u32_e64 v171, null, s19, 0, s4
	s_mul_i32 s6, s36, s5
	s_mul_i32 s36, s38, s5
	s_lshl_b64 s[6:7], s[6:7], 1
	s_lshl_b64 s[22:23], s[36:37], 1
	s_waitcnt vmcnt(22) lgkmcnt(0)
	v_wmma_f32_16x16x16_f16 v[137:144], v[33:40], v[1:8], v[137:144]
	s_waitcnt vmcnt(20)
	v_wmma_f32_16x16x16_f16 v[121:128], v[41:48], v[1:8], v[121:128]
	v_add_co_u32 v1, vcc_lo, v170, s2
	v_add_co_ci_u32_e32 v2, vcc_lo, s3, v171, vcc_lo
	v_add_co_u32 v3, vcc_lo, v170, s8
	v_add_co_ci_u32_e32 v4, vcc_lo, s9, v171, vcc_lo
	;; [unrolled: 2-line block ×4, first 2 shown]
	v_add_co_u32 v25, vcc_lo, v170, s6
	s_mul_hi_i32 s25, s15, s5
	s_mul_i32 s24, s15, s5
	v_add_co_ci_u32_e32 v26, vcc_lo, s7, v171, vcc_lo
	v_add_co_u32 v27, vcc_lo, v170, s22
	s_lshl_b64 s[24:25], s[24:25], 1
	s_waitcnt vmcnt(18)
	v_wmma_f32_16x16x16_f16 v[137:144], v[49:56], v[9:16], v[137:144]
	s_waitcnt vmcnt(16)
	v_wmma_f32_16x16x16_f16 v[121:128], v[57:64], v[9:16], v[121:128]
	v_add_co_ci_u32_e32 v28, vcc_lo, s23, v171, vcc_lo
	s_mul_hi_i32 s3, s13, s5
	s_mul_i32 s2, s13, s5
	v_add_co_u32 v29, vcc_lo, v170, s24
	s_lshl_b64 s[2:3], s[2:3], 1
	v_add_co_ci_u32_e32 v30, vcc_lo, s25, v171, vcc_lo
	s_waitcnt vmcnt(14)
	v_wmma_f32_16x16x16_f16 v[137:144], v[81:88], v[17:24], v[137:144]
	s_waitcnt vmcnt(12)
	v_wmma_f32_16x16x16_f16 v[121:128], v[89:96], v[17:24], v[121:128]
	v_add_co_u32 v17, vcc_lo, v170, s2
	v_add_co_ci_u32_e32 v18, vcc_lo, s3, v171, vcc_lo
	s_mul_hi_i32 s3, s16, s5
	s_mul_i32 s2, s16, s5
	s_clause 0x5
	global_load_b128 v[65:68], v[1:2], off
	global_load_b128 v[69:72], v[1:2], off offset:16
	global_load_b128 v[57:60], v[3:4], off
	global_load_b128 v[61:64], v[3:4], off offset:16
	;; [unrolled: 2-line block ×3, first 2 shown]
	s_lshl_b64 s[2:3], s[2:3], 1
	s_clause 0x1
	global_load_b128 v[41:44], v[7:8], off
	global_load_b128 v[45:48], v[7:8], off offset:16
	v_add_co_u32 v21, vcc_lo, v170, s2
	v_add_co_ci_u32_e32 v22, vcc_lo, s3, v171, vcc_lo
	s_clause 0x9
	global_load_b128 v[9:12], v[25:26], off
	global_load_b128 v[13:16], v[25:26], off offset:16
	global_load_b128 v[1:4], v[27:28], off
	global_load_b128 v[5:8], v[27:28], off offset:16
	;; [unrolled: 2-line block ×5, first 2 shown]
	ds_load_b128 v[81:84], v169 offset:12288
	ds_load_b128 v[85:88], v169 offset:13312
	v_and_b32_e32 v89, 0xe0, v0
	s_waitcnt vmcnt(28)
	v_wmma_f32_16x16x16_f16 v[137:144], v[97:104], v[129:136], v[137:144]
	v_mbcnt_lo_u32_b32 v97, -1, 0
	s_waitcnt vmcnt(26)
	v_wmma_f32_16x16x16_f16 v[121:128], v[105:112], v[129:136], v[121:128]
	v_add_nc_u32_e32 v98, s12, v89
	ds_load_b128 v[89:92], v169 offset:14336
	ds_load_b128 v[93:96], v169 offset:15360
	v_xor_b32_e32 v99, 16, v97
	s_waitcnt vmcnt(0) lgkmcnt(0)
	s_barrier
	v_or_b32_e32 v98, v98, v75
	buffer_gl0_inv
	v_cmp_gt_i32_e32 vcc_lo, 32, v99
	v_or_b32_e32 v100, 4, v98
	v_or_b32_e32 v101, 22, v98
	;; [unrolled: 1-line block ×4, first 2 shown]
	v_wmma_f32_16x16x16_f16 v[137:144], v[113:120], v[81:88], v[137:144]
	v_wmma_f32_16x16x16_f16 v[121:128], v[145:152], v[81:88], v[121:128]
	v_or_b32_e32 v81, 6, v98
	v_or_b32_e32 v82, 8, v98
	;; [unrolled: 1-line block ×3, first 2 shown]
	v_cmp_gt_i32_e64 s3, s17, v100
	v_or_b32_e32 v84, 12, v98
	v_wmma_f32_16x16x16_f16 v[137:144], v[153:160], v[89:96], v[137:144]
	v_wmma_f32_16x16x16_f16 v[121:128], v[161:168], v[89:96], v[121:128]
	v_cndmask_b32_e32 v97, v97, v99, vcc_lo
	v_or_b32_e32 v99, 2, v98
	v_cmp_gt_i32_e32 vcc_lo, s17, v98
	v_dual_mul_f32 v95, s18, v138 :: v_dual_mul_f32 v96, s18, v137
	v_mul_f32_e32 v93, s18, v140
	s_delay_alu instid0(VALU_DEP_4)
	v_cmp_gt_i32_e64 s2, s17, v99
	v_mul_f32_e32 v94, s18, v139
	v_mul_f32_e32 v108, s18, v126
	v_cndmask_b32_e32 v96, 0xff7fffff, v96, vcc_lo
	v_cmp_gt_i32_e64 s4, s17, v81
	v_cndmask_b32_e64 v95, 0xff7fffff, v95, s2
	v_or_b32_e32 v85, 14, v98
	v_dual_mul_f32 v91, s18, v142 :: v_dual_mul_f32 v110, s18, v124
	v_mul_f32_e32 v92, s18, v141
	v_cndmask_b32_e64 v94, 0xff7fffff, v94, s3
	v_cndmask_b32_e64 v81, 0xff7fffff, v93, s4
	v_max3_f32 v93, v96, 0xff7fffff, v95
	v_cmp_gt_i32_e64 s5, s17, v82
	v_cmp_gt_i32_e64 s6, s17, v83
	v_or_b32_e32 v86, 16, v98
	v_or_b32_e32 v87, 18, v98
	v_dual_mul_f32 v89, s18, v144 :: v_dual_mul_f32 v112, s18, v122
	v_mul_f32_e32 v90, s18, v143
	v_cndmask_b32_e64 v82, 0xff7fffff, v92, s5
	v_cndmask_b32_e64 v83, 0xff7fffff, v91, s6
	v_max3_f32 v81, v93, v94, v81
	v_cmp_gt_i32_e64 s7, s17, v84
	v_cmp_gt_i32_e64 s8, s17, v85
	v_or_b32_e32 v88, 20, v98
	v_mul_f32_e32 v113, s18, v121
	v_max3_f32 v81, v81, v82, v83
	v_cndmask_b32_e64 v84, 0xff7fffff, v90, s7
	v_cndmask_b32_e64 v85, 0xff7fffff, v89, s8
	v_cmp_gt_i32_e64 s9, s17, v86
	v_cmp_gt_i32_e64 s10, s17, v87
	v_mul_f32_e32 v111, s18, v123
	v_cmp_gt_i32_e64 s11, s17, v88
	v_max3_f32 v81, v81, v84, v85
	v_cndmask_b32_e64 v82, 0xff7fffff, v113, s9
	v_cndmask_b32_e64 v83, 0xff7fffff, v112, s10
	v_cmp_gt_i32_e64 s12, s17, v101
	v_or_b32_e32 v104, 28, v98
	v_or_b32_e32 v105, 30, v98
	v_mul_f32_e32 v109, s18, v125
	v_cndmask_b32_e64 v84, 0xff7fffff, v111, s11
	v_cndmask_b32_e64 v85, 0xff7fffff, v110, s12
	v_max3_f32 v81, v81, v82, v83
	v_cmp_gt_i32_e64 s13, s17, v102
	v_cmp_gt_i32_e64 s15, s17, v103
	v_dual_mul_f32 v106, s18, v128 :: v_dual_mul_f32 v107, s18, v127
	s_delay_alu instid0(VALU_DEP_4) | instskip(NEXT) | instid1(VALU_DEP_4)
	v_max3_f32 v81, v81, v84, v85
	v_cndmask_b32_e64 v82, 0xff7fffff, v109, s13
	s_delay_alu instid0(VALU_DEP_4) | instskip(SKIP_2) | instid1(VALU_DEP_3)
	v_cndmask_b32_e64 v83, 0xff7fffff, v108, s15
	v_cmp_gt_i32_e64 s16, s17, v104
	v_cmp_gt_i32_e64 s17, s17, v105
	v_max3_f32 v81, v81, v82, v83
	s_delay_alu instid0(VALU_DEP_3) | instskip(NEXT) | instid1(VALU_DEP_3)
	v_cndmask_b32_e64 v84, 0xff7fffff, v107, s16
	v_cndmask_b32_e64 v85, 0xff7fffff, v106, s17
	v_lshlrev_b32_e32 v83, 2, v97
	s_delay_alu instid0(VALU_DEP_2) | instskip(SKIP_3) | instid1(VALU_DEP_1)
	v_max3_f32 v81, v81, v84, v85
	ds_bpermute_b32 v82, v83, v81
	s_waitcnt lgkmcnt(0)
	v_max_f32_e32 v82, v82, v82
	v_max_f32_e32 v81, v81, v82
	s_delay_alu instid0(VALU_DEP_1)
	v_fma_f32 v82, s18, v137, -v81
	v_fma_f32 v84, s18, v138, -v81
	;; [unrolled: 1-line block ×5, first 2 shown]
	v_mul_f32_e32 v82, 0x3fb8aa3b, v82
	s_delay_alu instid0(VALU_DEP_4) | instskip(NEXT) | instid1(VALU_DEP_3)
	v_dual_mul_f32 v84, 0x3fb8aa3b, v84 :: v_dual_mul_f32 v89, 0x3fb8aa3b, v87
	v_mul_f32_e32 v86, 0x3fb8aa3b, v86
	s_delay_alu instid0(VALU_DEP_3) | instskip(NEXT) | instid1(VALU_DEP_2)
	v_exp_f32_e32 v82, v82
	v_exp_f32_e32 v84, v84
	s_delay_alu instid0(VALU_DEP_2) | instskip(NEXT) | instid1(VALU_DEP_1)
	v_exp_f32_e32 v92, v89
	v_exp_f32_e32 v86, v86
	v_cndmask_b32_e32 v88, 0, v82, vcc_lo
	s_delay_alu instid0(TRANS32_DEP_3)
	v_cndmask_b32_e64 v87, 0, v84, s2
	s_waitcnt_depctr 0xfff
	v_cndmask_b32_e64 v92, 0, v92, s5
	v_cmp_gt_u32_e64 s2, 16, v80
	v_cndmask_b32_e64 v89, 0, v86, s4
	v_add_f32_e32 v84, 0, v88
	s_delay_alu instid0(VALU_DEP_1) | instskip(NEXT) | instid1(VALU_DEP_1)
	v_dual_add_f32 v84, v84, v87 :: v_dual_mul_f32 v85, 0x3fb8aa3b, v85
	v_exp_f32_e32 v85, v85
	s_waitcnt_depctr 0xfff
	v_cndmask_b32_e64 v90, 0, v85, s3
	s_delay_alu instid0(VALU_DEP_1) | instskip(NEXT) | instid1(VALU_DEP_1)
	v_add_f32_e32 v84, v84, v90
	v_add_f32_e32 v84, v84, v89
	v_fma_f32 v82, s18, v142, -v81
	v_fma_f32 v91, s18, v143, -v81
	v_fma_f32 v85, s18, v144, -v81
	v_fma_f32 v86, s18, v121, -v81
	v_fma_f32 v94, s18, v122, -v81
	s_delay_alu instid0(VALU_DEP_4) | instskip(SKIP_1) | instid1(VALU_DEP_4)
	v_dual_mul_f32 v82, 0x3fb8aa3b, v82 :: v_dual_mul_f32 v91, 0x3fb8aa3b, v91
	v_fma_f32 v96, s18, v124, -v81
	v_mul_f32_e32 v86, 0x3fb8aa3b, v86
	v_fma_f32 v99, s18, v127, -v81
	s_delay_alu instid0(VALU_DEP_4) | instskip(SKIP_3) | instid1(VALU_DEP_1)
	v_exp_f32_e32 v82, v82
	v_exp_f32_e32 v93, v91
	v_mul_f32_e32 v97, 0x3fb8aa3b, v96
	v_exp_f32_e32 v86, v86
	v_exp_f32_e32 v97, v97
	v_cndmask_b32_e64 v91, 0, v82, s6
	v_dual_add_f32 v82, v84, v92 :: v_dual_mul_f32 v85, 0x3fb8aa3b, v85
	v_fma_f32 v84, s18, v123, -v81
	v_mul_f32_e32 v95, 0x3fb8aa3b, v94
	s_delay_alu instid0(TRANS32_DEP_3) | instskip(NEXT) | instid1(VALU_DEP_4)
	v_cndmask_b32_e64 v94, 0, v93, s7
	v_add_f32_e32 v82, v82, v91
	v_exp_f32_e32 v85, v85
	v_mul_f32_e32 v84, 0x3fb8aa3b, v84
	v_cndmask_b32_e64 v96, 0, v86, s9
	v_exp_f32_e32 v95, v95
	v_add_f32_e32 v82, v82, v94
	v_fma_f32 v86, s18, v126, -v81
	v_exp_f32_e32 v84, v84
	v_cndmask_b32_e64 v97, 0, v97, s12
	s_delay_alu instid0(TRANS32_DEP_3) | instskip(SKIP_2) | instid1(TRANS32_DEP_2)
	v_cndmask_b32_e64 v93, 0, v85, s8
	v_fma_f32 v85, s18, v125, -v81
	v_mul_f32_e32 v86, 0x3fb8aa3b, v86
	v_cndmask_b32_e64 v95, 0, v95, s10
	s_waitcnt_depctr 0xfff
	v_cndmask_b32_e64 v98, 0, v84, s11
	v_mul_f32_e32 v84, 0x3fb8aa3b, v99
	v_fma_f32 v99, s18, v128, -v81
	v_add_f32_e32 v82, v82, v93
	v_mul_f32_e32 v85, 0x3fb8aa3b, v85
	v_exp_f32_e32 v86, v86
	v_exp_f32_e32 v84, v84
	s_delay_alu instid0(VALU_DEP_1)
	v_exp_f32_e32 v85, v85
	s_waitcnt_depctr 0xfff
	v_cndmask_b32_e64 v102, 0, v84, s16
	v_cndmask_b32_e64 v100, 0, v85, s13
	v_dual_mul_f32 v85, 0x3fb8aa3b, v99 :: v_dual_add_f32 v82, v82, v96
	v_cndmask_b32_e64 v99, 0, v86, s15
	s_delay_alu instid0(VALU_DEP_2) | instskip(NEXT) | instid1(VALU_DEP_2)
	v_exp_f32_e32 v85, v85
	v_add_f32_e32 v82, v82, v95
	s_delay_alu instid0(VALU_DEP_1) | instskip(SKIP_3) | instid1(VALU_DEP_1)
	v_add_f32_e32 v82, v82, v98
	s_waitcnt_depctr 0xfff
	v_cndmask_b32_e64 v101, 0, v85, s17
	v_add_f32_e32 v82, v82, v97
	v_add_f32_e32 v82, v82, v100
	s_delay_alu instid0(VALU_DEP_1) | instskip(NEXT) | instid1(VALU_DEP_1)
	v_add_f32_e32 v82, v82, v99
	v_add_f32_e32 v82, v82, v102
	s_delay_alu instid0(VALU_DEP_1)
	v_add_f32_e32 v82, v82, v101
	ds_bpermute_b32 v83, v83, v82
	s_and_saveexec_b32 s3, s2
	s_cbranch_execz .LBB310_14
; %bb.13:
	v_mul_u32_u24_e32 v80, 0x44, v78
	s_waitcnt lgkmcnt(0)
	v_add_f32_e32 v82, v82, v83
	s_delay_alu instid0(VALU_DEP_2) | instskip(NEXT) | instid1(VALU_DEP_1)
	v_lshl_add_u32 v80, v77, 2, v80
	v_add_nc_u32_e32 v80, 0x4000, v80
	ds_store_2addr_b32 v80, v81, v82 offset1:136
.LBB310_14:
	s_or_b32 exec_lo, exec_lo, s3
	v_lshlrev_b32_e32 v80, 2, v77
	s_load_b32 s35, s[0:1], 0x94
	s_waitcnt lgkmcnt(0)
	s_barrier
	buffer_gl0_inv
	v_add_nc_u32_e32 v84, 0x4000, v80
	v_cmp_eq_u32_e32 vcc_lo, 1, v78
	v_cmp_eq_u32_e64 s3, 2, v78
	v_cmp_eq_u32_e64 s4, 3, v78
	;; [unrolled: 1-line block ×3, first 2 shown]
	ds_load_2addr_b32 v[80:81], v84 offset1:17
	ds_load_2addr_b32 v[82:83], v84 offset0:34 offset1:51
	ds_load_2addr_b32 v[103:104], v84 offset0:68 offset1:85
	;; [unrolled: 1-line block ×3, first 2 shown]
	v_cmp_eq_u32_e64 s6, 7, v78
	s_waitcnt lgkmcnt(3)
	v_max3_f32 v85, v80, 0xff7fffff, v81
	s_waitcnt lgkmcnt(2)
	s_delay_alu instid0(VALU_DEP_1) | instskip(SKIP_1) | instid1(VALU_DEP_1)
	v_max3_f32 v85, v85, v82, v83
	s_waitcnt lgkmcnt(1)
	v_max3_f32 v85, v85, v103, v104
	s_waitcnt lgkmcnt(0)
	s_delay_alu instid0(VALU_DEP_1) | instskip(NEXT) | instid1(VALU_DEP_1)
	v_max3_f32 v85, v85, v105, v106
	v_sub_f32_e32 v103, v103, v85
	ds_load_2addr_b32 v[107:108], v84 offset0:136 offset1:153
	v_sub_f32_e32 v80, v80, v85
	v_dual_sub_f32 v110, v83, v85 :: v_dual_mul_f32 v113, 0x3fb8aa3b, v103
	s_delay_alu instid0(VALU_DEP_2) | instskip(SKIP_3) | instid1(VALU_DEP_1)
	v_dual_sub_f32 v86, v81, v85 :: v_dual_mul_f32 v109, 0x3fb8aa3b, v80
	ds_load_2addr_b32 v[80:81], v84 offset0:170 offset1:187
	v_mul_f32_e32 v86, 0x3fb8aa3b, v86
	v_exp_f32_e32 v109, v109
	v_exp_f32_e32 v112, v86
	v_mul_f32_e32 v110, 0x3fb8aa3b, v110
	s_waitcnt lgkmcnt(1)
	s_waitcnt_depctr 0xfff
	v_fma_f32 v86, v109, v107, 0
	v_sub_f32_e32 v107, v104, v85
	v_sub_f32_e32 v82, v82, v85
	v_exp_f32_e32 v110, v110
	ds_load_2addr_b32 v[103:104], v84 offset0:238 offset1:255
	v_dual_fmac_f32 v86, v112, v108 :: v_dual_mul_f32 v111, 0x3fb8aa3b, v82
	ds_load_2addr_b32 v[82:83], v84 offset0:204 offset1:221
	v_dual_sub_f32 v84, v105, v85 :: v_dual_mul_f32 v105, 0x3fb8aa3b, v107
	v_exp_f32_e32 v107, v113
	v_exp_f32_e32 v111, v111
	s_waitcnt lgkmcnt(0)
	s_delay_alu instid0(VALU_DEP_1)
	v_mul_f32_e32 v84, 0x3fb8aa3b, v84
	v_exp_f32_e32 v105, v105
	s_barrier
	buffer_gl0_inv
	v_fmac_f32_e32 v86, v111, v80
	v_sub_f32_e32 v80, v106, v85
	v_exp_f32_e32 v106, v84
	s_delay_alu instid0(VALU_DEP_2) | instskip(NEXT) | instid1(VALU_DEP_2)
	v_fmac_f32_e32 v86, v110, v81
	v_mul_f32_e32 v80, 0x3fb8aa3b, v80
	s_delay_alu instid0(VALU_DEP_2) | instskip(NEXT) | instid1(VALU_DEP_2)
	v_dual_cndmask_b32 v81, v109, v112 :: v_dual_fmac_f32 v86, v107, v82
	v_exp_f32_e32 v108, v80
	s_delay_alu instid0(VALU_DEP_1) | instskip(SKIP_2) | instid1(VALU_DEP_1)
	v_fmac_f32_e32 v86, v105, v83
	s_waitcnt_depctr 0xfff
	v_fmac_f32_e32 v86, v106, v103
	v_fmac_f32_e32 v86, v108, v104
	s_delay_alu instid0(VALU_DEP_1) | instskip(NEXT) | instid1(VALU_DEP_1)
	v_add_f32_e32 v103, 0x358637bd, v86
	v_div_scale_f32 v104, null, v103, v103, 1.0
	v_div_scale_f32 v109, vcc_lo, 1.0, v103, 1.0
	s_delay_alu instid0(VALU_DEP_2) | instskip(SKIP_2) | instid1(VALU_DEP_1)
	v_rcp_f32_e32 v113, v104
	s_waitcnt_depctr 0xfff
	v_fma_f32 v80, -v104, v113, 1.0
	v_fmac_f32_e32 v113, v80, v113
	v_cndmask_b32_e64 v80, v81, v111, s3
	v_cmp_eq_u32_e64 s3, 4, v78
	v_lshl_or_b32 v81, v78, 11, v79
	s_delay_alu instid0(VALU_DEP_4) | instskip(NEXT) | instid1(VALU_DEP_4)
	v_mul_f32_e32 v111, v109, v113
	v_cndmask_b32_e64 v82, v80, v110, s4
	v_cmp_eq_u32_e64 s4, 6, v78
	s_delay_alu instid0(VALU_DEP_4) | instskip(SKIP_3) | instid1(VALU_DEP_3)
	v_lshl_or_b32 v78, v75, 4, v81
	v_lshlrev_b32_e32 v80, 2, v75
	v_fma_f32 v83, -v104, v111, v109
	v_cndmask_b32_e64 v84, v82, v107, s3
	v_or_b32_e32 v82, 1, v80
	s_delay_alu instid0(VALU_DEP_3) | instskip(NEXT) | instid1(VALU_DEP_3)
	v_fmac_f32_e32 v111, v83, v113
	v_cndmask_b32_e64 v105, v84, v105, s5
	v_or_b32_e32 v84, 2, v80
	v_or_b32_e32 v83, 3, v80
	v_cmp_eq_u32_e64 s3, 1, v80
	v_fma_f32 v104, -v104, v111, v109
	v_cndmask_b32_e64 v105, v105, v106, s4
	v_cmp_eq_u32_e64 s9, 1, v82
	v_cmp_eq_u32_e64 s10, 1, v84
	;; [unrolled: 1-line block ×3, first 2 shown]
	v_div_fmas_f32 v104, v104, v113, v111
	v_cndmask_b32_e64 v105, v105, v108, s6
	v_cmp_eq_u32_e32 vcc_lo, 2, v80
	v_cmp_eq_u32_e64 s12, 2, v82
	v_cmp_eq_u32_e64 s15, 2, v84
	v_div_fixup_f32 v103, v104, v103, 1.0
	v_cmp_eq_u32_e64 s16, 2, v83
	v_cmp_eq_u32_e64 s18, 3, v83
	;; [unrolled: 1-line block ×4, first 2 shown]
	v_mul_f32_e32 v111, v105, v103
	v_cmp_eq_u32_e64 s17, 3, v84
	v_cmp_eq_u32_e64 s22, 4, v83
	v_cmp_eq_u32_e64 s5, 4, v80
	v_cmp_eq_u32_e64 s19, 4, v82
	v_fma_mixlo_f16 v103, v111, v88, 0
	v_fma_mixlo_f16 v104, v111, v90, 0
	v_fma_mixlo_f16 v105, v111, v92, 0
	v_fma_mixlo_f16 v106, v111, v94, 0
	v_fma_mixlo_f16 v107, v111, v96, 0
	v_fma_mixlo_f16 v108, v111, v98, 0
	v_fma_mixlo_f16 v109, v111, v100, 0
	v_fma_mixlo_f16 v110, v111, v102, 0
	v_fma_mixhi_f16 v103, v111, v87, 0
	v_fma_mixhi_f16 v104, v111, v89, 0
	;; [unrolled: 1-line block ×8, first 2 shown]
	ds_store_b128 v78, v[103:106]
	ds_store_b128 v78, v[107:110] offset:1024
	s_waitcnt lgkmcnt(0)
	s_barrier
	buffer_gl0_inv
	ds_load_b128 v[87:90], v81
	ds_load_b128 v[91:94], v81 offset:16
	ds_load_b128 v[95:98], v81 offset:1024
	;; [unrolled: 1-line block ×3, first 2 shown]
	v_cmp_eq_u32_e64 s21, 4, v84
	v_cmp_eq_u32_e64 s24, 5, v83
	;; [unrolled: 1-line block ×13, first 2 shown]
	s_waitcnt lgkmcnt(3)
	v_lshrrev_b32_e32 v103, 16, v87
	s_waitcnt lgkmcnt(2)
	v_lshrrev_b32_e32 v107, 16, v91
	;; [unrolled: 2-line block ×4, first 2 shown]
	v_lshrrev_b32_e32 v104, 16, v88
	v_cndmask_b32_e64 v119, v87, v103, s3
	v_cndmask_b32_e64 v120, v91, v107, s3
	;; [unrolled: 1-line block ×8, first 2 shown]
	v_lshrrev_b32_e32 v108, 16, v92
	v_cndmask_b32_e64 v103, v95, v111, s3
	v_cndmask_b32_e64 v107, v99, v115, s3
	;; [unrolled: 1-line block ×5, first 2 shown]
	v_cndmask_b32_e32 v111, v119, v88, vcc_lo
	v_cndmask_b32_e64 v119, v121, v88, s12
	v_cndmask_b32_e64 v121, v123, v88, s15
	;; [unrolled: 1-line block ×4, first 2 shown]
	v_lshrrev_b32_e32 v112, 16, v96
	v_lshrrev_b32_e32 v116, 16, v100
	v_cndmask_b32_e64 v126, v99, v115, s9
	v_cndmask_b32_e64 v128, v99, v115, s10
	;; [unrolled: 1-line block ×3, first 2 shown]
	v_cndmask_b32_e32 v115, v120, v92, vcc_lo
	v_cndmask_b32_e64 v120, v122, v92, s12
	v_cndmask_b32_e64 v122, v124, v92, s15
	v_cndmask_b32_e32 v91, v103, v96, vcc_lo
	v_cndmask_b32_e32 v92, v107, v100, vcc_lo
	v_cndmask_b32_e64 v103, v125, v96, s12
	v_cndmask_b32_e64 v87, v87, v104, s18
	;; [unrolled: 1-line block ×3, first 2 shown]
	v_lshrrev_b32_e32 v105, 16, v89
	v_lshrrev_b32_e32 v109, 16, v93
	v_cndmask_b32_e64 v107, v127, v96, s15
	v_cndmask_b32_e64 v95, v95, v96, s16
	;; [unrolled: 1-line block ×14, first 2 shown]
	v_lshrrev_b32_e32 v113, 16, v97
	v_cndmask_b32_e64 v99, v99, v89, s5
	v_cndmask_b32_e64 v104, v111, v93, s5
	;; [unrolled: 1-line block ×11, first 2 shown]
	v_lshrrev_b32_e32 v106, 16, v90
	v_lshrrev_b32_e32 v110, 16, v94
	v_cndmask_b32_e64 v93, v99, v105, s6
	v_cndmask_b32_e64 v99, v104, v109, s6
	;; [unrolled: 1-line block ×9, first 2 shown]
	v_lshrrev_b32_e32 v114, 16, v98
	v_cndmask_b32_e64 v89, v89, v113, s6
	v_cndmask_b32_e64 v93, v93, v90, s7
	;; [unrolled: 1-line block ×19, first 2 shown]
	v_perm_b32 v90, v88, v87, 0x5040100
	v_cndmask_b32_e64 v87, v126, v100, s12
	v_cndmask_b32_e64 v105, v89, v114, s8
	v_perm_b32 v89, v103, v99, 0x5040100
	v_perm_b32 v88, v104, v94, 0x5040100
	v_cndmask_b32_e64 v94, v107, v112, s17
	v_cndmask_b32_e64 v95, v95, v112, s18
	;; [unrolled: 1-line block ×5, first 2 shown]
	v_lshrrev_b32_e32 v117, 16, v101
	v_cndmask_b32_e64 v94, v94, v97, s21
	v_cndmask_b32_e64 v95, v95, v97, s22
	;; [unrolled: 1-line block ×11, first 2 shown]
	v_lshrrev_b32_e32 v118, 16, v102
	v_cndmask_b32_e64 v91, v91, v102, s7
	v_cndmask_b32_e64 v94, v94, v98, s26
	;; [unrolled: 1-line block ×12, first 2 shown]
	v_perm_b32 v87, v93, v92, 0x5040100
	v_perm_b32 v94, v95, v94, 0x5040100
	;; [unrolled: 1-line block ×5, first 2 shown]
	s_mul_i32 s7, s33, 5
	s_mov_b32 s3, exec_lo
	ds_store_b128 v78, v[87:90]
	ds_store_b128 v78, v[91:94] offset:1024
	v_cmpx_gt_u32_e32 5, v0
	s_cbranch_execz .LBB310_16
; %bb.15:
	s_mul_i32 s4, s7, s34
	s_load_b128 s[8:11], s[0:1], 0x58
	v_add3_u32 v77, s4, s31, v77
	s_delay_alu instid0(VALU_DEP_1) | instskip(NEXT) | instid1(VALU_DEP_1)
	v_mad_u64_u32 v[87:88], null, v77, s35, s[14:15]
	v_ashrrev_i32_e32 v88, 31, v87
	s_delay_alu instid0(VALU_DEP_1) | instskip(SKIP_1) | instid1(VALU_DEP_1)
	v_lshlrev_b64 v[87:88], 2, v[87:88]
	s_waitcnt lgkmcnt(0)
	v_add_co_u32 v89, vcc_lo, s10, v87
	s_delay_alu instid0(VALU_DEP_2)
	v_add_co_ci_u32_e32 v90, vcc_lo, s11, v88, vcc_lo
	v_add_co_u32 v87, vcc_lo, s8, v87
	v_add_co_ci_u32_e32 v88, vcc_lo, s9, v88, vcc_lo
	global_store_b32 v[89:90], v85, off
	global_store_b32 v[87:88], v86, off
.LBB310_16:
	s_or_b32 exec_lo, exec_lo, s3
	s_waitcnt lgkmcnt(0)
	s_waitcnt_vscnt null, 0x0
	s_barrier
	buffer_gl0_inv
	ds_load_b128 v[93:96], v79
	ds_load_b128 v[97:100], v79 offset:16
	ds_load_b128 v[105:108], v79 offset:1040
	;; [unrolled: 1-line block ×5, first 2 shown]
	v_cmp_eq_u32_e32 vcc_lo, 1, v84
	v_mov_b32_e32 v85, 0
	ds_load_b128 v[121:124], v79 offset:3088
	ds_load_b128 v[117:120], v79 offset:3072
	;; [unrolled: 1-line block ×4, first 2 shown]
	v_cmp_eq_u32_e64 s3, 1, v80
	v_cmp_eq_u32_e64 s4, 1, v83
	;; [unrolled: 1-line block ×3, first 2 shown]
	v_mov_b32_e32 v86, v85
	v_mov_b32_e32 v87, v85
	;; [unrolled: 1-line block ×7, first 2 shown]
	v_cmp_eq_u32_e64 s6, 2, v80
	s_waitcnt lgkmcnt(8)
	s_delay_alu instid0(VALU_DEP_2)
	v_wmma_f32_16x16x16_f16 v[85:92], v[65:72], v[93:100], v[85:92]
	ds_load_b128 v[69:72], v79 offset:5136
	ds_load_b128 v[65:68], v79 offset:5120
	;; [unrolled: 1-line block ×4, first 2 shown]
	s_waitcnt lgkmcnt(10)
	v_wmma_f32_16x16x16_f16 v[85:92], v[57:64], v[101:108], v[85:92]
	s_waitcnt lgkmcnt(8)
	s_delay_alu instid0(VALU_DEP_1)
	v_wmma_f32_16x16x16_f16 v[85:92], v[57:64], v[109:116], v[85:92]
	ds_load_b128 v[61:64], v79 offset:7184
	ds_load_b128 v[57:60], v79 offset:7168
	;; [unrolled: 1-line block ×4, first 2 shown]
	s_waitcnt lgkmcnt(10)
	v_wmma_f32_16x16x16_f16 v[85:92], v[49:56], v[117:124], v[85:92]
	s_waitcnt lgkmcnt(8)
	s_delay_alu instid0(VALU_DEP_1)
	v_wmma_f32_16x16x16_f16 v[85:92], v[49:56], v[125:132], v[85:92]
	ds_load_b128 v[53:56], v79 offset:9232
	ds_load_b128 v[49:52], v79 offset:9216
	s_waitcnt lgkmcnt(8)
	v_wmma_f32_16x16x16_f16 v[85:92], v[41:48], v[65:72], v[85:92]
	ds_load_b128 v[69:72], v79 offset:10256
	ds_load_b128 v[65:68], v79 offset:10240
	s_waitcnt lgkmcnt(8)
	;; [unrolled: 4-line block ×7, first 2 shown]
	s_barrier
	buffer_gl0_inv
	v_wmma_f32_16x16x16_f16 v[85:92], v[33:40], v[41:48], v[85:92]
	s_delay_alu instid0(VALU_DEP_1) | instskip(NEXT) | instid1(VALU_DEP_1)
	v_wmma_f32_16x16x16_f16 v[85:92], v[33:40], v[57:64], v[85:92]
	v_wmma_f32_16x16x16_f16 v[85:92], v[25:32], v[9:16], v[85:92]
	s_delay_alu instid0(VALU_DEP_1) | instskip(NEXT) | instid1(VALU_DEP_1)
	v_wmma_f32_16x16x16_f16 v[85:92], v[25:32], v[49:56], v[85:92]
	v_wmma_f32_16x16x16_f16 v[85:92], v[17:24], v[1:8], v[85:92]
	s_delay_alu instid0(VALU_DEP_1) | instskip(NEXT) | instid1(VALU_DEP_2)
	v_cvt_f16_f32_e32 v1, v85
	v_cvt_f16_f32_e32 v2, v86
	s_delay_alu instid0(VALU_DEP_3) | instskip(NEXT) | instid1(VALU_DEP_4)
	v_cvt_f16_f32_e32 v3, v87
	v_cvt_f16_f32_e32 v4, v88
	;; [unrolled: 1-line block ×6, first 2 shown]
	v_pack_b32_f16 v1, v1, v2
	v_pack_b32_f16 v2, v3, v4
	v_pack_b32_f16 v3, v5, v6
	s_delay_alu instid0(VALU_DEP_4)
	v_pack_b32_f16 v4, v7, v8
	ds_store_b128 v78, v[1:4]
	s_waitcnt lgkmcnt(0)
	s_barrier
	buffer_gl0_inv
	ds_load_b128 v[1:4], v81
	ds_load_b128 v[5:8], v81 offset:16
	s_waitcnt lgkmcnt(1)
	v_lshrrev_b32_e32 v9, 16, v1
	s_waitcnt lgkmcnt(0)
	v_lshrrev_b32_e32 v13, 16, v5
	v_lshrrev_b32_e32 v15, 16, v7
	;; [unrolled: 1-line block ×4, first 2 shown]
	v_cndmask_b32_e64 v17, v1, v9, s3
	v_cndmask_b32_e64 v18, v5, v13, s3
	;; [unrolled: 1-line block ×3, first 2 shown]
	v_cmp_eq_u32_e64 s3, 2, v82
	v_cndmask_b32_e64 v20, v5, v13, s5
	v_cndmask_b32_e32 v21, v1, v9, vcc_lo
	v_cndmask_b32_e32 v22, v5, v13, vcc_lo
	v_cndmask_b32_e64 v1, v1, v9, s4
	v_cndmask_b32_e64 v5, v5, v13, s4
	v_cmp_eq_u32_e32 vcc_lo, 2, v84
	v_cmp_eq_u32_e64 s4, 2, v83
	v_cndmask_b32_e64 v9, v17, v2, s6
	v_cndmask_b32_e64 v13, v18, v6, s6
	;; [unrolled: 1-line block ×4, first 2 shown]
	v_cndmask_b32_e32 v19, v21, v2, vcc_lo
	v_cmp_eq_u32_e64 s3, 3, v84
	v_cndmask_b32_e32 v20, v22, v6, vcc_lo
	v_cndmask_b32_e64 v1, v1, v2, s4
	v_cmp_eq_u32_e32 vcc_lo, 3, v83
	v_cmp_eq_u32_e64 s5, 3, v80
	v_cndmask_b32_e64 v2, v5, v6, s4
	v_cmp_eq_u32_e64 s4, 3, v82
	v_lshrrev_b32_e32 v16, 16, v8
	v_cmp_eq_u32_e64 s6, 4, v80
	v_cndmask_b32_e64 v5, v9, v10, s5
	v_cndmask_b32_e64 v6, v13, v14, s5
	;; [unrolled: 1-line block ×3, first 2 shown]
	v_cmp_eq_u32_e64 s5, 4, v82
	v_cndmask_b32_e64 v13, v18, v14, s4
	v_cndmask_b32_e64 v17, v19, v10, s3
	;; [unrolled: 1-line block ×3, first 2 shown]
	v_cndmask_b32_e32 v1, v1, v10, vcc_lo
	v_cndmask_b32_e32 v2, v2, v14, vcc_lo
	v_cmp_eq_u32_e32 vcc_lo, 4, v84
	v_cmp_eq_u32_e64 s4, 4, v83
	v_lshrrev_b32_e32 v11, 16, v3
	v_cndmask_b32_e64 v5, v5, v3, s6
	v_cndmask_b32_e64 v6, v6, v7, s6
	;; [unrolled: 1-line block ×4, first 2 shown]
	v_cndmask_b32_e32 v13, v17, v3, vcc_lo
	v_cmp_eq_u32_e64 s3, 5, v84
	v_cndmask_b32_e32 v14, v18, v7, vcc_lo
	v_cndmask_b32_e64 v1, v1, v3, s4
	v_cmp_eq_u32_e32 vcc_lo, 5, v83
	v_cmp_eq_u32_e64 s5, 5, v80
	v_cndmask_b32_e64 v2, v2, v7, s4
	v_cmp_eq_u32_e64 s4, 5, v82
	v_cmp_eq_u32_e64 s6, 6, v80
	v_cndmask_b32_e32 v1, v1, v11, vcc_lo
	v_cndmask_b32_e64 v3, v5, v11, s5
	v_cndmask_b32_e64 v5, v6, v15, s5
	;; [unrolled: 1-line block ×3, first 2 shown]
	v_cmp_eq_u32_e64 s5, 6, v82
	v_cndmask_b32_e64 v7, v10, v15, s4
	v_cndmask_b32_e64 v9, v13, v11, s3
	;; [unrolled: 1-line block ×3, first 2 shown]
	v_cndmask_b32_e32 v2, v2, v15, vcc_lo
	v_cmp_eq_u32_e32 vcc_lo, 6, v84
	v_cmp_eq_u32_e64 s3, 6, v83
	v_lshrrev_b32_e32 v12, 16, v4
	v_cndmask_b32_e64 v3, v3, v4, s6
	v_cndmask_b32_e64 v5, v5, v8, s6
	;; [unrolled: 1-line block ×4, first 2 shown]
	v_cndmask_b32_e32 v9, v9, v4, vcc_lo
	v_cmp_eq_u32_e64 s4, 7, v84
	v_cndmask_b32_e32 v10, v10, v8, vcc_lo
	v_cndmask_b32_e64 v1, v1, v4, s3
	v_cmp_eq_u32_e32 vcc_lo, 7, v83
	v_cndmask_b32_e64 v2, v2, v8, s3
	v_cmp_eq_u32_e64 s3, 7, v80
	v_cmp_eq_u32_e64 s5, 7, v82
	v_cndmask_b32_e32 v1, v1, v12, vcc_lo
	s_delay_alu instid0(VALU_DEP_4) | instskip(NEXT) | instid1(VALU_DEP_4)
	v_cndmask_b32_e32 v2, v2, v16, vcc_lo
	v_cndmask_b32_e64 v8, v3, v12, s3
	s_delay_alu instid0(VALU_DEP_4)
	v_cndmask_b32_e64 v6, v6, v12, s5
	v_cndmask_b32_e64 v3, v9, v12, s4
	;; [unrolled: 1-line block ×5, first 2 shown]
	v_perm_b32 v4, v2, v1, 0x5040100
	s_mov_b32 s3, exec_lo
	v_perm_b32 v3, v9, v3, 0x5040100
	v_perm_b32 v2, v7, v6, 0x5040100
	;; [unrolled: 1-line block ×3, first 2 shown]
	ds_store_b128 v78, v[1:4]
	s_waitcnt lgkmcnt(0)
	s_barrier
	buffer_gl0_inv
	v_cmpx_gt_u32_e32 32, v0
	s_cbranch_execz .LBB310_2
; %bb.17:
	s_load_b64 s[4:5], s[0:1], 0x68
	v_lshlrev_b32_e32 v0, 10, v0
	v_add_nc_u32_e32 v2, s31, v75
	v_lshlrev_b32_e32 v3, 4, v76
	s_lshl_b32 s0, s35, 7
	s_delay_alu instid0(SALU_CYCLE_1) | instskip(NEXT) | instid1(VALU_DEP_2)
	s_mul_i32 s1, s0, s34
	v_mul_lo_u32 v1, v2, s0
	s_delay_alu instid0(VALU_DEP_2) | instskip(SKIP_2) | instid1(SALU_CYCLE_1)
	v_and_or_b32 v0, 0x3800, v0, v3
	v_add_nc_u32_e32 v2, 2, v2
	s_mul_i32 s6, s1, s7
	s_ashr_i32 s7, s6, 31
	s_delay_alu instid0(VALU_DEP_2)
	v_lshl_or_b32 v7, v75, 6, v0
	s_lshl_b64 s[6:7], s[6:7], 1
	v_mul_lo_u32 v11, v2, s0
	v_ashrrev_i32_e32 v2, 31, v1
	ds_load_b128 v[3:6], v7
	ds_load_b128 v[7:10], v7 offset:128
	s_waitcnt lgkmcnt(0)
	s_add_u32 s1, s4, s6
	s_addc_u32 s3, s5, s7
	s_lshl_b32 s4, s14, 7
	v_ashrrev_i32_e32 v12, 31, v11
	s_ashr_i32 s5, s4, 31
	v_lshlrev_b64 v[13:14], 1, v[1:2]
	s_lshl_b64 s[4:5], s[4:5], 1
	s_delay_alu instid0(SALU_CYCLE_1) | instskip(SKIP_4) | instid1(VALU_DEP_3)
	s_add_u32 s1, s1, s4
	s_addc_u32 s3, s3, s5
	v_add_co_u32 v1, vcc_lo, s1, v73
	v_add_co_ci_u32_e32 v2, vcc_lo, s3, v74, vcc_lo
	v_lshlrev_b64 v[11:12], 1, v[11:12]
	v_add_co_u32 v13, vcc_lo, v1, v13
	s_delay_alu instid0(VALU_DEP_3) | instskip(NEXT) | instid1(VALU_DEP_3)
	v_add_co_ci_u32_e32 v14, vcc_lo, v2, v14, vcc_lo
	v_add_co_u32 v11, vcc_lo, v1, v11
	s_delay_alu instid0(VALU_DEP_4)
	v_add_co_ci_u32_e32 v12, vcc_lo, v2, v12, vcc_lo
	s_clause 0x1
	global_store_b128 v[13:14], v[3:6], off
	global_store_b128 v[11:12], v[7:10], off
	s_and_b32 exec_lo, exec_lo, s2
	s_cbranch_execz .LBB310_2
; %bb.18:
	ds_load_b128 v[3:6], v0 offset:256
	s_add_i32 s1, s31, 4
	s_delay_alu instid0(SALU_CYCLE_1) | instskip(NEXT) | instid1(SALU_CYCLE_1)
	s_mul_i32 s0, s1, s0
	s_ashr_i32 s1, s0, 31
	s_delay_alu instid0(SALU_CYCLE_1) | instskip(NEXT) | instid1(SALU_CYCLE_1)
	s_lshl_b64 s[0:1], s[0:1], 1
	v_add_co_u32 v0, vcc_lo, v1, s0
	v_add_co_ci_u32_e32 v1, vcc_lo, s1, v2, vcc_lo
	s_waitcnt lgkmcnt(0)
	global_store_b128 v[0:1], v[3:6], off
	s_nop 0
	s_sendmsg sendmsg(MSG_DEALLOC_VGPRS)
	s_endpgm
	.section	.rodata,"a",@progbits
	.p2align	6, 0x0
	.amdhsa_kernel _Z39paged_attention_ll4mi_QKV_mfma16_kernelIDF16_DF16_LN4vllm18Fp8KVCacheDataTypeE0EhLi32ELi128ELi256ELb1ELi5EL8MFMAType0EEvPKT_PKT0_S8_ifPKiSA_SA_iPKfiiiPfSD_PS3_PT2_iSC_SC_
		.amdhsa_group_segment_fixed_size 17472
		.amdhsa_private_segment_fixed_size 0
		.amdhsa_kernarg_size 400
		.amdhsa_user_sgpr_count 13
		.amdhsa_user_sgpr_dispatch_ptr 0
		.amdhsa_user_sgpr_queue_ptr 0
		.amdhsa_user_sgpr_kernarg_segment_ptr 1
		.amdhsa_user_sgpr_dispatch_id 0
		.amdhsa_user_sgpr_private_segment_size 0
		.amdhsa_wavefront_size32 1
		.amdhsa_uses_dynamic_stack 0
		.amdhsa_enable_private_segment 0
		.amdhsa_system_sgpr_workgroup_id_x 1
		.amdhsa_system_sgpr_workgroup_id_y 1
		.amdhsa_system_sgpr_workgroup_id_z 1
		.amdhsa_system_sgpr_workgroup_info 0
		.amdhsa_system_vgpr_workitem_id 0
		.amdhsa_next_free_vgpr 172
		.amdhsa_next_free_sgpr 39
		.amdhsa_reserve_vcc 1
		.amdhsa_float_round_mode_32 0
		.amdhsa_float_round_mode_16_64 0
		.amdhsa_float_denorm_mode_32 3
		.amdhsa_float_denorm_mode_16_64 3
		.amdhsa_dx10_clamp 1
		.amdhsa_ieee_mode 1
		.amdhsa_fp16_overflow 0
		.amdhsa_workgroup_processor_mode 1
		.amdhsa_memory_ordered 1
		.amdhsa_forward_progress 0
		.amdhsa_shared_vgpr_count 0
		.amdhsa_exception_fp_ieee_invalid_op 0
		.amdhsa_exception_fp_denorm_src 0
		.amdhsa_exception_fp_ieee_div_zero 0
		.amdhsa_exception_fp_ieee_overflow 0
		.amdhsa_exception_fp_ieee_underflow 0
		.amdhsa_exception_fp_ieee_inexact 0
		.amdhsa_exception_int_div_zero 0
	.end_amdhsa_kernel
	.section	.text._Z39paged_attention_ll4mi_QKV_mfma16_kernelIDF16_DF16_LN4vllm18Fp8KVCacheDataTypeE0EhLi32ELi128ELi256ELb1ELi5EL8MFMAType0EEvPKT_PKT0_S8_ifPKiSA_SA_iPKfiiiPfSD_PS3_PT2_iSC_SC_,"axG",@progbits,_Z39paged_attention_ll4mi_QKV_mfma16_kernelIDF16_DF16_LN4vllm18Fp8KVCacheDataTypeE0EhLi32ELi128ELi256ELb1ELi5EL8MFMAType0EEvPKT_PKT0_S8_ifPKiSA_SA_iPKfiiiPfSD_PS3_PT2_iSC_SC_,comdat
.Lfunc_end310:
	.size	_Z39paged_attention_ll4mi_QKV_mfma16_kernelIDF16_DF16_LN4vllm18Fp8KVCacheDataTypeE0EhLi32ELi128ELi256ELb1ELi5EL8MFMAType0EEvPKT_PKT0_S8_ifPKiSA_SA_iPKfiiiPfSD_PS3_PT2_iSC_SC_, .Lfunc_end310-_Z39paged_attention_ll4mi_QKV_mfma16_kernelIDF16_DF16_LN4vllm18Fp8KVCacheDataTypeE0EhLi32ELi128ELi256ELb1ELi5EL8MFMAType0EEvPKT_PKT0_S8_ifPKiSA_SA_iPKfiiiPfSD_PS3_PT2_iSC_SC_
                                        ; -- End function
	.section	.AMDGPU.csdata,"",@progbits
; Kernel info:
; codeLenInByte = 7520
; NumSgprs: 41
; NumVgprs: 172
; ScratchSize: 0
; MemoryBound: 0
; FloatMode: 240
; IeeeMode: 1
; LDSByteSize: 17472 bytes/workgroup (compile time only)
; SGPRBlocks: 5
; VGPRBlocks: 21
; NumSGPRsForWavesPerEU: 41
; NumVGPRsForWavesPerEU: 172
; Occupancy: 8
; WaveLimiterHint : 1
; COMPUTE_PGM_RSRC2:SCRATCH_EN: 0
; COMPUTE_PGM_RSRC2:USER_SGPR: 13
; COMPUTE_PGM_RSRC2:TRAP_HANDLER: 0
; COMPUTE_PGM_RSRC2:TGID_X_EN: 1
; COMPUTE_PGM_RSRC2:TGID_Y_EN: 1
; COMPUTE_PGM_RSRC2:TGID_Z_EN: 1
; COMPUTE_PGM_RSRC2:TIDIG_COMP_CNT: 0
	.section	.text._Z39paged_attention_ll4mi_QKV_mfma16_kernelIDF16_DF16_LN4vllm18Fp8KVCacheDataTypeE0EhLi32ELi128ELi256ELb1ELi6EL8MFMAType0EEvPKT_PKT0_S8_ifPKiSA_SA_iPKfiiiPfSD_PS3_PT2_iSC_SC_,"axG",@progbits,_Z39paged_attention_ll4mi_QKV_mfma16_kernelIDF16_DF16_LN4vllm18Fp8KVCacheDataTypeE0EhLi32ELi128ELi256ELb1ELi6EL8MFMAType0EEvPKT_PKT0_S8_ifPKiSA_SA_iPKfiiiPfSD_PS3_PT2_iSC_SC_,comdat
	.protected	_Z39paged_attention_ll4mi_QKV_mfma16_kernelIDF16_DF16_LN4vllm18Fp8KVCacheDataTypeE0EhLi32ELi128ELi256ELb1ELi6EL8MFMAType0EEvPKT_PKT0_S8_ifPKiSA_SA_iPKfiiiPfSD_PS3_PT2_iSC_SC_ ; -- Begin function _Z39paged_attention_ll4mi_QKV_mfma16_kernelIDF16_DF16_LN4vllm18Fp8KVCacheDataTypeE0EhLi32ELi128ELi256ELb1ELi6EL8MFMAType0EEvPKT_PKT0_S8_ifPKiSA_SA_iPKfiiiPfSD_PS3_PT2_iSC_SC_
	.globl	_Z39paged_attention_ll4mi_QKV_mfma16_kernelIDF16_DF16_LN4vllm18Fp8KVCacheDataTypeE0EhLi32ELi128ELi256ELb1ELi6EL8MFMAType0EEvPKT_PKT0_S8_ifPKiSA_SA_iPKfiiiPfSD_PS3_PT2_iSC_SC_
	.p2align	8
	.type	_Z39paged_attention_ll4mi_QKV_mfma16_kernelIDF16_DF16_LN4vllm18Fp8KVCacheDataTypeE0EhLi32ELi128ELi256ELb1ELi6EL8MFMAType0EEvPKT_PKT0_S8_ifPKiSA_SA_iPKfiiiPfSD_PS3_PT2_iSC_SC_,@function
_Z39paged_attention_ll4mi_QKV_mfma16_kernelIDF16_DF16_LN4vllm18Fp8KVCacheDataTypeE0EhLi32ELi128ELi256ELb1ELi6EL8MFMAType0EEvPKT_PKT0_S8_ifPKiSA_SA_iPKfiiiPfSD_PS3_PT2_iSC_SC_: ; @_Z39paged_attention_ll4mi_QKV_mfma16_kernelIDF16_DF16_LN4vllm18Fp8KVCacheDataTypeE0EhLi32ELi128ELi256ELb1ELi6EL8MFMAType0EEvPKT_PKT0_S8_ifPKiSA_SA_iPKfiiiPfSD_PS3_PT2_iSC_SC_
; %bb.0:
	s_load_b64 s[2:3], s[0:1], 0x30
	s_mov_b32 s30, s13
	s_waitcnt lgkmcnt(0)
	s_cmp_lg_u64 s[2:3], 0
	s_cselect_b32 s6, -1, 0
	s_ashr_i32 s31, s13, 31
	s_cmp_eq_u64 s[2:3], 0
	s_cbranch_scc1 .LBB311_3
; %bb.1:
	s_lshl_b64 s[4:5], s[30:31], 2
	s_delay_alu instid0(SALU_CYCLE_1) | instskip(SKIP_4) | instid1(SALU_CYCLE_1)
	s_add_u32 s4, s2, s4
	s_addc_u32 s5, s3, s5
	s_load_b64 s[4:5], s[4:5], 0x0
	s_waitcnt lgkmcnt(0)
	s_sub_i32 s4, s5, s4
	s_cmp_eq_u32 s4, 1
	s_cselect_b32 s4, -1, 0
	s_delay_alu instid0(SALU_CYCLE_1)
	s_and_not1_b32 vcc_lo, exec_lo, s4
	s_cbranch_vccz .LBB311_4
.LBB311_2:
	s_endpgm
.LBB311_3:
.LBB311_4:
	s_load_b64 s[8:9], s[0:1], 0x28
	s_lshl_b64 s[4:5], s[30:31], 2
	s_waitcnt lgkmcnt(0)
	s_add_u32 s8, s8, s4
	s_addc_u32 s9, s9, s5
	s_lshl_b32 s12, s14, 8
	s_load_b32 s17, s[8:9], 0x0
	s_waitcnt lgkmcnt(0)
	s_cmp_ge_i32 s12, s17
	s_cbranch_scc1 .LBB311_2
; %bb.5:
	s_and_not1_b32 vcc_lo, exec_lo, s6
	s_cbranch_vccnz .LBB311_7
; %bb.6:
	s_add_u32 s2, s2, s4
	s_addc_u32 s3, s3, s5
	s_load_b32 s13, s[2:3], 0x0
	s_branch .LBB311_8
.LBB311_7:
	s_mov_b32 s13, s30
.LBB311_8:
	s_clause 0x2
	s_load_b128 s[8:11], s[0:1], 0x8
	s_load_b64 s[2:3], s[0:1], 0x20
	s_load_b128 s[4:7], s[0:1], 0x48
	v_and_b32_e32 v77, 15, v0
	s_waitcnt lgkmcnt(0)
	s_mov_b32 s7, exec_lo
	s_delay_alu instid0(VALU_DEP_1)
	v_lshlrev_b32_e32 v1, 3, v77
	v_cmpx_lt_u32_e32 0x5f, v0
	s_xor_b32 s7, exec_lo, s7
; %bb.9:
	v_mov_b32_e32 v2, 0
; %bb.10:
	s_or_saveexec_b32 s7, s7
	v_lshrrev_b32_e32 v78, 5, v0
	v_and_b32_e32 v80, 31, v0
	v_and_b32_e32 v76, 1, v0
	v_bfe_u32 v75, v0, 4, 1
	s_mul_i32 s31, s15, 6
	s_xor_b32 exec_lo, exec_lo, s7
	s_cbranch_execz .LBB311_12
; %bb.11:
	s_load_b64 s[18:19], s[0:1], 0x0
	v_lshl_or_b32 v7, v78, 1, v75
	s_mul_hi_i32 s21, s13, s4
	s_mul_i32 s20, s13, s4
	v_lshlrev_b32_e32 v4, 1, v1
	s_lshl_b64 s[20:21], s[20:21], 1
	v_add_lshl_u32 v2, v7, s31, 7
	v_lshlrev_b32_e32 v7, 6, v7
	v_lshlrev_b32_e32 v8, 10, v76
	s_delay_alu instid0(VALU_DEP_3) | instskip(NEXT) | instid1(VALU_DEP_1)
	v_ashrrev_i32_e32 v3, 31, v2
	v_lshlrev_b64 v[2:3], 1, v[2:3]
	s_waitcnt lgkmcnt(0)
	s_add_u32 s4, s18, s20
	s_addc_u32 s13, s19, s21
	s_delay_alu instid0(VALU_DEP_1) | instskip(NEXT) | instid1(VALU_DEP_2)
	v_add_co_u32 v2, vcc_lo, s4, v2
	v_add_co_ci_u32_e32 v3, vcc_lo, s13, v3, vcc_lo
	s_delay_alu instid0(VALU_DEP_2) | instskip(NEXT) | instid1(VALU_DEP_2)
	v_add_co_u32 v2, vcc_lo, v2, v4
	v_add_co_ci_u32_e32 v3, vcc_lo, 0, v3, vcc_lo
	global_load_b128 v[3:6], v[2:3], off
	v_lshlrev_b32_e32 v2, 10, v77
	s_delay_alu instid0(VALU_DEP_1) | instskip(NEXT) | instid1(VALU_DEP_1)
	v_and_b32_e32 v2, 0x3800, v2
	v_or3_b32 v7, v2, v8, v7
	v_mov_b32_e32 v2, 0
	s_waitcnt vmcnt(0)
	ds_store_b128 v7, v[3:6]
.LBB311_12:
	s_or_b32 exec_lo, exec_lo, s7
	v_and_b32_e32 v3, 0xef, v0
	s_add_i32 s4, s17, 31
	s_clause 0x1
	s_load_b32 s7, s[0:1], 0x38
	s_load_b32 s33, s[0:1], 0x98
	s_ashr_i32 s13, s4, 31
	v_add_nc_u32_e32 v3, s12, v3
	s_lshr_b32 s13, s13, 27
	s_load_b32 s18, s[0:1], 0x1c
	s_add_i32 s4, s4, s13
	s_waitcnt lgkmcnt(0)
	v_ashrrev_i32_e32 v4, 31, v3
	v_cmp_gt_i32_e32 vcc_lo, s17, v3
	s_ashr_i32 s4, s4, 5
	s_barrier
	s_add_i32 s4, s4, -1
	v_lshrrev_b32_e32 v5, 27, v4
	v_or_b32_e32 v4, 16, v3
	buffer_gl0_inv
	v_lshlrev_b64 v[73:74], 1, v[1:2]
	v_lshlrev_b32_e32 v79, 6, v77
	v_add_nc_u32_e32 v6, v3, v5
	v_add_nc_u32_e32 v5, v4, v5
	s_mul_i32 s20, s30, s7
	s_delay_alu instid0(SALU_CYCLE_1) | instskip(NEXT) | instid1(VALU_DEP_2)
	s_ashr_i32 s21, s20, 31
	v_ashrrev_i32_e32 v6, 5, v6
	s_delay_alu instid0(VALU_DEP_2) | instskip(SKIP_1) | instid1(SALU_CYCLE_1)
	v_ashrrev_i32_e32 v5, 5, v5
	s_lshl_b64 s[20:21], s[20:21], 2
	s_add_u32 s13, s2, s20
	s_delay_alu instid0(VALU_DEP_2) | instskip(SKIP_3) | instid1(SALU_CYCLE_1)
	v_cndmask_b32_e32 v3, s4, v6, vcc_lo
	v_cmp_gt_i32_e32 vcc_lo, s17, v4
	s_addc_u32 s16, s3, s21
	s_mul_i32 s2, s15, s6
	s_ashr_i32 s3, s2, 31
	v_cndmask_b32_e32 v5, s4, v5, vcc_lo
	v_ashrrev_i32_e32 v4, 31, v3
	s_lshl_b64 s[2:3], s[2:3], 1
	s_delay_alu instid0(SALU_CYCLE_1) | instskip(NEXT) | instid1(VALU_DEP_2)
	s_add_u32 s15, s8, s2
	v_ashrrev_i32_e32 v6, 31, v5
	s_delay_alu instid0(VALU_DEP_2) | instskip(SKIP_2) | instid1(VALU_DEP_2)
	v_lshlrev_b64 v[3:4], 2, v[3:4]
	s_addc_u32 s19, s9, s3
	s_lshl_b32 s6, s14, 3
	v_lshlrev_b64 v[5:6], 2, v[5:6]
	s_ashr_i32 s7, s6, 31
	s_delay_alu instid0(VALU_DEP_2) | instskip(SKIP_1) | instid1(VALU_DEP_3)
	v_add_co_u32 v3, vcc_lo, s13, v3
	v_add_co_ci_u32_e32 v4, vcc_lo, s16, v4, vcc_lo
	v_add_co_u32 v5, vcc_lo, s13, v5
	s_delay_alu instid0(VALU_DEP_4)
	v_add_co_ci_u32_e32 v6, vcc_lo, s16, v6, vcc_lo
	s_lshl_b64 s[6:7], s[6:7], 2
	s_clause 0x1
	global_load_b32 v7, v[3:4], off
	global_load_b32 v8, v[5:6], off
	s_add_u32 s6, s13, s6
	s_addc_u32 s7, s16, s7
	s_or_b32 s8, s12, 32
	s_delay_alu instid0(SALU_CYCLE_1) | instskip(SKIP_2) | instid1(SALU_CYCLE_1)
	s_ashr_i32 s9, s8, 5
	s_cmp_lt_i32 s8, s17
	s_cselect_b32 s8, s9, s4
	s_ashr_i32 s9, s8, 31
	s_delay_alu instid0(SALU_CYCLE_1) | instskip(NEXT) | instid1(SALU_CYCLE_1)
	s_lshl_b64 s[8:9], s[8:9], 2
	s_add_u32 s8, s13, s8
	s_addc_u32 s9, s16, s9
	s_or_b32 s20, s12, 64
	s_delay_alu instid0(SALU_CYCLE_1) | instskip(SKIP_2) | instid1(SALU_CYCLE_1)
	s_ashr_i32 s21, s20, 5
	s_cmp_lt_i32 s20, s17
	s_cselect_b32 s20, s21, s4
	s_ashr_i32 s21, s20, 31
	s_delay_alu instid0(SALU_CYCLE_1) | instskip(NEXT) | instid1(SALU_CYCLE_1)
	s_lshl_b64 s[20:21], s[20:21], 2
	;; [unrolled: 10-line block ×5, first 2 shown]
	s_add_u32 s26, s13, s26
	s_addc_u32 s27, s16, s27
	s_clause 0x5
	s_load_b32 s28, s[6:7], 0x0
	s_load_b32 s29, s[8:9], 0x0
	;; [unrolled: 1-line block ×6, first 2 shown]
	s_mov_b32 s20, 0
	s_or_b32 s6, s12, 0xc0
	s_mov_b32 s21, s20
	s_mov_b32 s22, s20
	;; [unrolled: 1-line block ×7, first 2 shown]
	s_ashr_i32 s7, s6, 5
	v_mov_b32_e32 v128, s27
	s_cmp_lt_i32 s6, s17
	v_mov_b32_e32 v127, s26
	s_cselect_b32 s6, s7, s4
	v_mov_b32_e32 v126, s25
	s_ashr_i32 s7, s6, 31
	v_mov_b32_e32 v125, s24
	s_lshl_b64 s[6:7], s[6:7], 2
	v_mov_b32_e32 v124, s23
	s_add_u32 s6, s13, s6
	s_addc_u32 s7, s16, s7
	v_mov_b32_e32 v123, s22
	v_mov_b32_e32 v121, s20
	s_waitcnt lgkmcnt(0)
	s_mul_hi_i32 s9, s28, s5
	s_mul_i32 s8, s28, s5
	v_mov_b32_e32 v122, s21
	s_mul_hi_i32 s21, s29, s5
	s_mul_i32 s20, s29, s5
	s_mul_hi_i32 s25, s34, s5
	s_mul_i32 s24, s34, s5
	;; [unrolled: 2-line block ×4, first 2 shown]
	s_waitcnt vmcnt(1)
	v_mad_i64_i32 v[3:4], null, v7, s5, 0
	s_waitcnt vmcnt(0)
	v_mad_i64_i32 v[5:6], null, v8, s5, 0
	s_delay_alu instid0(VALU_DEP_2) | instskip(NEXT) | instid1(VALU_DEP_2)
	v_lshlrev_b64 v[3:4], 1, v[3:4]
	v_lshlrev_b64 v[1:2], 1, v[5:6]
	s_delay_alu instid0(VALU_DEP_2) | instskip(NEXT) | instid1(VALU_DEP_3)
	v_add_co_u32 v3, vcc_lo, s15, v3
	v_add_co_ci_u32_e32 v4, vcc_lo, s19, v4, vcc_lo
	s_delay_alu instid0(VALU_DEP_3) | instskip(NEXT) | instid1(VALU_DEP_4)
	v_add_co_u32 v1, vcc_lo, s15, v1
	v_add_co_ci_u32_e32 v2, vcc_lo, s19, v2, vcc_lo
	s_delay_alu instid0(VALU_DEP_4) | instskip(NEXT) | instid1(VALU_DEP_4)
	v_add_co_u32 v65, vcc_lo, v3, v73
	v_add_co_ci_u32_e32 v66, vcc_lo, v4, v74, vcc_lo
	s_delay_alu instid0(VALU_DEP_4) | instskip(NEXT) | instid1(VALU_DEP_4)
	v_add_co_u32 v67, vcc_lo, v1, v73
	v_add_co_ci_u32_e32 v68, vcc_lo, v2, v74, vcc_lo
	s_clause 0xf
	global_load_b128 v[1:4], v[65:66], off
	global_load_b128 v[5:8], v[65:66], off offset:512
	global_load_b128 v[9:12], v[67:68], off offset:256
	;; [unrolled: 1-line block ×15, first 2 shown]
	v_add_co_u32 v157, vcc_lo, 0x1000, v65
	v_add_co_ci_u32_e32 v158, vcc_lo, 0, v66, vcc_lo
	v_add_co_u32 v165, vcc_lo, 0x1000, v67
	v_add_co_ci_u32_e32 v166, vcc_lo, 0, v68, vcc_lo
	s_clause 0x7
	global_load_b128 v[81:84], v[157:158], off
	global_load_b128 v[85:88], v[157:158], off offset:512
	global_load_b128 v[89:92], v[165:166], off offset:256
	;; [unrolled: 1-line block ×7, first 2 shown]
	v_mul_lo_u16 v65, v77, 43
	s_or_b32 s15, s12, 0xe0
	s_delay_alu instid0(SALU_CYCLE_1) | instskip(SKIP_1) | instid1(VALU_DEP_1)
	s_ashr_i32 s19, s15, 5
	s_cmp_lt_i32 s15, s17
	v_lshrrev_b16 v65, 8, v65
	s_cselect_b32 s22, s19, s4
	s_delay_alu instid0(SALU_CYCLE_1) | instskip(NEXT) | instid1(VALU_DEP_1)
	s_ashr_i32 s23, s22, 31
	v_mul_lo_u16 v65, v65, 6
	s_lshl_b64 s[22:23], s[22:23], 2
	s_delay_alu instid0(SALU_CYCLE_1) | instskip(SKIP_1) | instid1(VALU_DEP_1)
	s_add_u32 s22, s13, s22
	s_addc_u32 s23, s16, s23
	v_sub_nc_u16 v65, v77, v65
	s_add_i32 s15, s12, 0x100
	s_delay_alu instid0(SALU_CYCLE_1) | instskip(SKIP_1) | instid1(VALU_DEP_1)
	s_ashr_i32 s19, s15, 5
	s_cmp_lt_i32 s15, s17
	v_and_b32_e32 v65, 0xff, v65
	s_cselect_b32 s28, s19, s4
	s_delay_alu instid0(SALU_CYCLE_1) | instskip(NEXT) | instid1(VALU_DEP_1)
	s_ashr_i32 s29, s28, 31
	v_lshlrev_b32_e32 v169, 6, v65
	ds_load_b128 v[65:68], v169
	ds_load_b128 v[69:72], v169 offset:1024
	s_clause 0x1
	global_load_b128 v[113:116], v[157:158], off offset:2048
	global_load_b128 v[117:120], v[157:158], off offset:2560
	ds_load_b128 v[129:132], v169 offset:2048
	ds_load_b128 v[133:136], v169 offset:3072
	s_clause 0x5
	global_load_b128 v[145:148], v[165:166], off offset:2304
	global_load_b128 v[149:152], v[165:166], off offset:2816
	;; [unrolled: 1-line block ×6, first 2 shown]
	s_lshl_b64 s[28:29], s[28:29], 2
	s_delay_alu instid0(SALU_CYCLE_1)
	s_add_u32 s28, s13, s28
	s_addc_u32 s29, s16, s29
	s_add_u32 s4, s10, s2
	s_addc_u32 s19, s11, s3
	s_lshl_b64 s[2:3], s[8:9], 1
	s_lshl_b64 s[8:9], s[20:21], 1
	;; [unrolled: 1-line block ×4, first 2 shown]
	s_waitcnt vmcnt(30) lgkmcnt(2)
	v_wmma_f32_16x16x16_f16 v[137:144], v[1:8], v[65:72], v[121:128]
	ds_load_b128 v[1:4], v169 offset:4096
	ds_load_b128 v[5:8], v169 offset:5120
	s_waitcnt vmcnt(28)
	v_wmma_f32_16x16x16_f16 v[121:128], v[9:16], v[65:72], v[121:128]
	ds_load_b128 v[9:12], v169 offset:6144
	ds_load_b128 v[13:16], v169 offset:7168
	s_waitcnt vmcnt(26) lgkmcnt(4)
	v_wmma_f32_16x16x16_f16 v[137:144], v[17:24], v[129:136], v[137:144]
	ds_load_b128 v[17:20], v169 offset:8192
	ds_load_b128 v[21:24], v169 offset:9216
	s_waitcnt vmcnt(24)
	v_wmma_f32_16x16x16_f16 v[121:128], v[25:32], v[129:136], v[121:128]
	v_lshl_or_b32 v25, v78, 10, v79
	ds_load_b128 v[129:132], v169 offset:10240
	ds_load_b128 v[133:136], v169 offset:11264
	s_clause 0x2
	s_load_b32 s15, s[6:7], 0x0
	s_load_b32 s13, s[22:23], 0x0
	;; [unrolled: 1-line block ×3, first 2 shown]
	s_mul_hi_i32 s7, s36, s5
	v_add_co_u32 v170, s4, s4, v25
	s_delay_alu instid0(VALU_DEP_1)
	v_add_co_ci_u32_e64 v171, null, s19, 0, s4
	s_mul_i32 s6, s36, s5
	s_lshl_b64 s[22:23], s[34:35], 1
	s_lshl_b64 s[6:7], s[6:7], 1
	s_waitcnt vmcnt(22) lgkmcnt(0)
	v_wmma_f32_16x16x16_f16 v[137:144], v[33:40], v[1:8], v[137:144]
	s_waitcnt vmcnt(20)
	v_wmma_f32_16x16x16_f16 v[121:128], v[41:48], v[1:8], v[121:128]
	v_add_co_u32 v1, vcc_lo, v170, s2
	v_add_co_ci_u32_e32 v2, vcc_lo, s3, v171, vcc_lo
	v_add_co_u32 v3, vcc_lo, v170, s8
	v_add_co_ci_u32_e32 v4, vcc_lo, s9, v171, vcc_lo
	;; [unrolled: 2-line block ×4, first 2 shown]
	v_add_co_u32 v25, vcc_lo, v170, s6
	s_mul_hi_i32 s25, s15, s5
	s_mul_i32 s24, s15, s5
	v_add_co_ci_u32_e32 v26, vcc_lo, s7, v171, vcc_lo
	v_add_co_u32 v27, vcc_lo, v170, s22
	s_lshl_b64 s[24:25], s[24:25], 1
	s_waitcnt vmcnt(18)
	v_wmma_f32_16x16x16_f16 v[137:144], v[49:56], v[9:16], v[137:144]
	s_waitcnt vmcnt(16)
	v_wmma_f32_16x16x16_f16 v[121:128], v[57:64], v[9:16], v[121:128]
	v_add_co_ci_u32_e32 v28, vcc_lo, s23, v171, vcc_lo
	s_mul_hi_i32 s3, s13, s5
	s_mul_i32 s2, s13, s5
	v_add_co_u32 v29, vcc_lo, v170, s24
	s_lshl_b64 s[2:3], s[2:3], 1
	v_add_co_ci_u32_e32 v30, vcc_lo, s25, v171, vcc_lo
	s_waitcnt vmcnt(14)
	v_wmma_f32_16x16x16_f16 v[137:144], v[81:88], v[17:24], v[137:144]
	s_waitcnt vmcnt(12)
	v_wmma_f32_16x16x16_f16 v[121:128], v[89:96], v[17:24], v[121:128]
	v_add_co_u32 v17, vcc_lo, v170, s2
	v_add_co_ci_u32_e32 v18, vcc_lo, s3, v171, vcc_lo
	s_mul_hi_i32 s3, s16, s5
	s_mul_i32 s2, s16, s5
	s_clause 0x5
	global_load_b128 v[65:68], v[1:2], off
	global_load_b128 v[69:72], v[1:2], off offset:16
	global_load_b128 v[57:60], v[3:4], off
	global_load_b128 v[61:64], v[3:4], off offset:16
	;; [unrolled: 2-line block ×3, first 2 shown]
	s_lshl_b64 s[2:3], s[2:3], 1
	s_clause 0x1
	global_load_b128 v[41:44], v[7:8], off
	global_load_b128 v[45:48], v[7:8], off offset:16
	v_add_co_u32 v21, vcc_lo, v170, s2
	v_add_co_ci_u32_e32 v22, vcc_lo, s3, v171, vcc_lo
	s_clause 0x9
	global_load_b128 v[9:12], v[25:26], off
	global_load_b128 v[13:16], v[25:26], off offset:16
	global_load_b128 v[1:4], v[27:28], off
	global_load_b128 v[5:8], v[27:28], off offset:16
	;; [unrolled: 2-line block ×5, first 2 shown]
	ds_load_b128 v[81:84], v169 offset:12288
	ds_load_b128 v[85:88], v169 offset:13312
	v_and_b32_e32 v89, 0xe0, v0
	s_waitcnt vmcnt(28)
	v_wmma_f32_16x16x16_f16 v[137:144], v[97:104], v[129:136], v[137:144]
	v_mbcnt_lo_u32_b32 v97, -1, 0
	s_waitcnt vmcnt(26)
	v_wmma_f32_16x16x16_f16 v[121:128], v[105:112], v[129:136], v[121:128]
	v_add_nc_u32_e32 v98, s12, v89
	ds_load_b128 v[89:92], v169 offset:14336
	ds_load_b128 v[93:96], v169 offset:15360
	v_xor_b32_e32 v99, 16, v97
	s_waitcnt vmcnt(0) lgkmcnt(0)
	s_barrier
	v_or_b32_e32 v98, v98, v75
	buffer_gl0_inv
	v_cmp_gt_i32_e32 vcc_lo, 32, v99
	v_or_b32_e32 v100, 4, v98
	v_or_b32_e32 v101, 22, v98
	;; [unrolled: 1-line block ×4, first 2 shown]
	v_wmma_f32_16x16x16_f16 v[137:144], v[113:120], v[81:88], v[137:144]
	v_wmma_f32_16x16x16_f16 v[121:128], v[145:152], v[81:88], v[121:128]
	v_or_b32_e32 v81, 6, v98
	v_or_b32_e32 v82, 8, v98
	v_or_b32_e32 v83, 10, v98
	v_cmp_gt_i32_e64 s3, s17, v100
	v_or_b32_e32 v84, 12, v98
	v_wmma_f32_16x16x16_f16 v[137:144], v[153:160], v[89:96], v[137:144]
	v_wmma_f32_16x16x16_f16 v[121:128], v[161:168], v[89:96], v[121:128]
	v_cndmask_b32_e32 v97, v97, v99, vcc_lo
	v_or_b32_e32 v99, 2, v98
	v_cmp_gt_i32_e32 vcc_lo, s17, v98
	v_dual_mul_f32 v95, s18, v138 :: v_dual_mul_f32 v96, s18, v137
	v_mul_f32_e32 v93, s18, v140
	s_delay_alu instid0(VALU_DEP_4)
	v_cmp_gt_i32_e64 s2, s17, v99
	v_mul_f32_e32 v94, s18, v139
	v_mul_f32_e32 v108, s18, v126
	v_cndmask_b32_e32 v96, 0xff7fffff, v96, vcc_lo
	v_cmp_gt_i32_e64 s4, s17, v81
	v_cndmask_b32_e64 v95, 0xff7fffff, v95, s2
	v_or_b32_e32 v85, 14, v98
	v_dual_mul_f32 v91, s18, v142 :: v_dual_mul_f32 v110, s18, v124
	v_mul_f32_e32 v92, s18, v141
	v_cndmask_b32_e64 v94, 0xff7fffff, v94, s3
	v_cndmask_b32_e64 v81, 0xff7fffff, v93, s4
	v_max3_f32 v93, v96, 0xff7fffff, v95
	v_cmp_gt_i32_e64 s5, s17, v82
	v_cmp_gt_i32_e64 s6, s17, v83
	v_or_b32_e32 v86, 16, v98
	v_or_b32_e32 v87, 18, v98
	v_dual_mul_f32 v89, s18, v144 :: v_dual_mul_f32 v112, s18, v122
	v_mul_f32_e32 v90, s18, v143
	v_cndmask_b32_e64 v82, 0xff7fffff, v92, s5
	v_cndmask_b32_e64 v83, 0xff7fffff, v91, s6
	v_max3_f32 v81, v93, v94, v81
	v_cmp_gt_i32_e64 s7, s17, v84
	v_cmp_gt_i32_e64 s8, s17, v85
	v_or_b32_e32 v88, 20, v98
	v_mul_f32_e32 v113, s18, v121
	v_max3_f32 v81, v81, v82, v83
	v_cndmask_b32_e64 v84, 0xff7fffff, v90, s7
	v_cndmask_b32_e64 v85, 0xff7fffff, v89, s8
	v_cmp_gt_i32_e64 s9, s17, v86
	v_cmp_gt_i32_e64 s10, s17, v87
	v_mul_f32_e32 v111, s18, v123
	v_cmp_gt_i32_e64 s11, s17, v88
	v_max3_f32 v81, v81, v84, v85
	v_cndmask_b32_e64 v82, 0xff7fffff, v113, s9
	v_cndmask_b32_e64 v83, 0xff7fffff, v112, s10
	v_cmp_gt_i32_e64 s12, s17, v101
	v_or_b32_e32 v104, 28, v98
	v_or_b32_e32 v105, 30, v98
	v_mul_f32_e32 v109, s18, v125
	v_cndmask_b32_e64 v84, 0xff7fffff, v111, s11
	v_cndmask_b32_e64 v85, 0xff7fffff, v110, s12
	v_max3_f32 v81, v81, v82, v83
	v_cmp_gt_i32_e64 s13, s17, v102
	v_cmp_gt_i32_e64 s15, s17, v103
	v_dual_mul_f32 v106, s18, v128 :: v_dual_mul_f32 v107, s18, v127
	s_delay_alu instid0(VALU_DEP_4) | instskip(NEXT) | instid1(VALU_DEP_4)
	v_max3_f32 v81, v81, v84, v85
	v_cndmask_b32_e64 v82, 0xff7fffff, v109, s13
	s_delay_alu instid0(VALU_DEP_4) | instskip(SKIP_2) | instid1(VALU_DEP_3)
	v_cndmask_b32_e64 v83, 0xff7fffff, v108, s15
	v_cmp_gt_i32_e64 s16, s17, v104
	v_cmp_gt_i32_e64 s17, s17, v105
	v_max3_f32 v81, v81, v82, v83
	s_delay_alu instid0(VALU_DEP_3) | instskip(NEXT) | instid1(VALU_DEP_3)
	v_cndmask_b32_e64 v84, 0xff7fffff, v107, s16
	v_cndmask_b32_e64 v85, 0xff7fffff, v106, s17
	v_lshlrev_b32_e32 v83, 2, v97
	s_delay_alu instid0(VALU_DEP_2) | instskip(SKIP_3) | instid1(VALU_DEP_1)
	v_max3_f32 v81, v81, v84, v85
	ds_bpermute_b32 v82, v83, v81
	s_waitcnt lgkmcnt(0)
	v_max_f32_e32 v82, v82, v82
	v_max_f32_e32 v81, v81, v82
	s_delay_alu instid0(VALU_DEP_1)
	v_fma_f32 v82, s18, v137, -v81
	v_fma_f32 v84, s18, v138, -v81
	;; [unrolled: 1-line block ×5, first 2 shown]
	v_mul_f32_e32 v82, 0x3fb8aa3b, v82
	s_delay_alu instid0(VALU_DEP_4) | instskip(NEXT) | instid1(VALU_DEP_3)
	v_dual_mul_f32 v84, 0x3fb8aa3b, v84 :: v_dual_mul_f32 v89, 0x3fb8aa3b, v87
	v_mul_f32_e32 v86, 0x3fb8aa3b, v86
	s_delay_alu instid0(VALU_DEP_3) | instskip(NEXT) | instid1(VALU_DEP_2)
	v_exp_f32_e32 v82, v82
	v_exp_f32_e32 v84, v84
	s_delay_alu instid0(VALU_DEP_2) | instskip(NEXT) | instid1(VALU_DEP_1)
	v_exp_f32_e32 v92, v89
	v_exp_f32_e32 v86, v86
	v_cndmask_b32_e32 v88, 0, v82, vcc_lo
	s_delay_alu instid0(TRANS32_DEP_3)
	v_cndmask_b32_e64 v87, 0, v84, s2
	s_waitcnt_depctr 0xfff
	v_cndmask_b32_e64 v92, 0, v92, s5
	s_mov_b32 s2, exec_lo
	v_cndmask_b32_e64 v89, 0, v86, s4
	v_add_f32_e32 v84, 0, v88
	s_delay_alu instid0(VALU_DEP_1) | instskip(NEXT) | instid1(VALU_DEP_1)
	v_dual_add_f32 v84, v84, v87 :: v_dual_mul_f32 v85, 0x3fb8aa3b, v85
	v_exp_f32_e32 v85, v85
	s_waitcnt_depctr 0xfff
	v_cndmask_b32_e64 v90, 0, v85, s3
	s_delay_alu instid0(VALU_DEP_1) | instskip(NEXT) | instid1(VALU_DEP_1)
	v_add_f32_e32 v84, v84, v90
	v_add_f32_e32 v84, v84, v89
	v_fma_f32 v82, s18, v142, -v81
	v_fma_f32 v91, s18, v143, -v81
	;; [unrolled: 1-line block ×5, first 2 shown]
	s_delay_alu instid0(VALU_DEP_4) | instskip(SKIP_1) | instid1(VALU_DEP_4)
	v_dual_mul_f32 v82, 0x3fb8aa3b, v82 :: v_dual_mul_f32 v91, 0x3fb8aa3b, v91
	v_fma_f32 v96, s18, v124, -v81
	v_mul_f32_e32 v86, 0x3fb8aa3b, v86
	v_fma_f32 v99, s18, v127, -v81
	s_delay_alu instid0(VALU_DEP_4) | instskip(SKIP_3) | instid1(VALU_DEP_1)
	v_exp_f32_e32 v82, v82
	v_exp_f32_e32 v93, v91
	v_mul_f32_e32 v97, 0x3fb8aa3b, v96
	v_exp_f32_e32 v86, v86
	v_exp_f32_e32 v97, v97
	v_cndmask_b32_e64 v91, 0, v82, s6
	v_dual_add_f32 v82, v84, v92 :: v_dual_mul_f32 v85, 0x3fb8aa3b, v85
	v_fma_f32 v84, s18, v123, -v81
	v_mul_f32_e32 v95, 0x3fb8aa3b, v94
	s_delay_alu instid0(TRANS32_DEP_3) | instskip(NEXT) | instid1(VALU_DEP_4)
	v_cndmask_b32_e64 v94, 0, v93, s7
	v_add_f32_e32 v82, v82, v91
	v_exp_f32_e32 v85, v85
	v_mul_f32_e32 v84, 0x3fb8aa3b, v84
	v_cndmask_b32_e64 v96, 0, v86, s9
	v_exp_f32_e32 v95, v95
	v_add_f32_e32 v82, v82, v94
	v_fma_f32 v86, s18, v126, -v81
	v_exp_f32_e32 v84, v84
	v_cndmask_b32_e64 v97, 0, v97, s12
	s_delay_alu instid0(TRANS32_DEP_3) | instskip(SKIP_2) | instid1(TRANS32_DEP_2)
	v_cndmask_b32_e64 v93, 0, v85, s8
	v_fma_f32 v85, s18, v125, -v81
	v_mul_f32_e32 v86, 0x3fb8aa3b, v86
	v_cndmask_b32_e64 v95, 0, v95, s10
	s_waitcnt_depctr 0xfff
	v_cndmask_b32_e64 v98, 0, v84, s11
	v_mul_f32_e32 v84, 0x3fb8aa3b, v99
	v_fma_f32 v99, s18, v128, -v81
	v_add_f32_e32 v82, v82, v93
	v_mul_f32_e32 v85, 0x3fb8aa3b, v85
	v_exp_f32_e32 v86, v86
	v_exp_f32_e32 v84, v84
	s_delay_alu instid0(VALU_DEP_1)
	v_exp_f32_e32 v85, v85
	s_waitcnt_depctr 0xfff
	v_cndmask_b32_e64 v102, 0, v84, s16
	v_cndmask_b32_e64 v100, 0, v85, s13
	v_dual_mul_f32 v85, 0x3fb8aa3b, v99 :: v_dual_add_f32 v82, v82, v96
	v_cndmask_b32_e64 v99, 0, v86, s15
	s_delay_alu instid0(VALU_DEP_2) | instskip(NEXT) | instid1(VALU_DEP_2)
	v_exp_f32_e32 v85, v85
	v_add_f32_e32 v82, v82, v95
	s_delay_alu instid0(VALU_DEP_1) | instskip(SKIP_3) | instid1(VALU_DEP_1)
	v_add_f32_e32 v82, v82, v98
	s_waitcnt_depctr 0xfff
	v_cndmask_b32_e64 v101, 0, v85, s17
	v_add_f32_e32 v82, v82, v97
	v_add_f32_e32 v82, v82, v100
	s_delay_alu instid0(VALU_DEP_1) | instskip(NEXT) | instid1(VALU_DEP_1)
	v_add_f32_e32 v82, v82, v99
	v_add_f32_e32 v82, v82, v102
	s_delay_alu instid0(VALU_DEP_1)
	v_add_f32_e32 v82, v82, v101
	ds_bpermute_b32 v83, v83, v82
	v_cmpx_gt_u32_e32 16, v80
	s_cbranch_execz .LBB311_14
; %bb.13:
	v_mul_u32_u24_e32 v80, 0x44, v78
	s_waitcnt lgkmcnt(0)
	v_add_f32_e32 v82, v82, v83
	s_delay_alu instid0(VALU_DEP_2) | instskip(NEXT) | instid1(VALU_DEP_1)
	v_lshl_add_u32 v80, v77, 2, v80
	v_add_nc_u32_e32 v80, 0x4000, v80
	ds_store_2addr_b32 v80, v81, v82 offset1:136
.LBB311_14:
	s_or_b32 exec_lo, exec_lo, s2
	v_lshlrev_b32_e32 v80, 2, v77
	s_load_b32 s34, s[0:1], 0x94
	s_waitcnt lgkmcnt(0)
	s_barrier
	buffer_gl0_inv
	v_add_nc_u32_e32 v84, 0x4000, v80
	v_cmp_eq_u32_e32 vcc_lo, 1, v78
	v_cmp_eq_u32_e64 s2, 2, v78
	v_cmp_eq_u32_e64 s3, 3, v78
	;; [unrolled: 1-line block ×3, first 2 shown]
	ds_load_2addr_b32 v[80:81], v84 offset1:17
	ds_load_2addr_b32 v[82:83], v84 offset0:34 offset1:51
	ds_load_2addr_b32 v[103:104], v84 offset0:68 offset1:85
	;; [unrolled: 1-line block ×3, first 2 shown]
	v_cmp_eq_u32_e64 s5, 7, v78
	s_waitcnt lgkmcnt(3)
	v_max3_f32 v85, v80, 0xff7fffff, v81
	s_waitcnt lgkmcnt(2)
	s_delay_alu instid0(VALU_DEP_1) | instskip(SKIP_1) | instid1(VALU_DEP_1)
	v_max3_f32 v85, v85, v82, v83
	s_waitcnt lgkmcnt(1)
	v_max3_f32 v85, v85, v103, v104
	s_waitcnt lgkmcnt(0)
	s_delay_alu instid0(VALU_DEP_1) | instskip(NEXT) | instid1(VALU_DEP_1)
	v_max3_f32 v85, v85, v105, v106
	v_sub_f32_e32 v103, v103, v85
	ds_load_2addr_b32 v[107:108], v84 offset0:136 offset1:153
	v_sub_f32_e32 v80, v80, v85
	v_dual_sub_f32 v110, v83, v85 :: v_dual_mul_f32 v113, 0x3fb8aa3b, v103
	s_delay_alu instid0(VALU_DEP_2) | instskip(SKIP_3) | instid1(VALU_DEP_1)
	v_dual_sub_f32 v86, v81, v85 :: v_dual_mul_f32 v109, 0x3fb8aa3b, v80
	ds_load_2addr_b32 v[80:81], v84 offset0:170 offset1:187
	v_mul_f32_e32 v86, 0x3fb8aa3b, v86
	v_exp_f32_e32 v109, v109
	v_exp_f32_e32 v112, v86
	v_mul_f32_e32 v110, 0x3fb8aa3b, v110
	s_waitcnt lgkmcnt(1)
	s_waitcnt_depctr 0xfff
	v_fma_f32 v86, v109, v107, 0
	v_sub_f32_e32 v107, v104, v85
	v_sub_f32_e32 v82, v82, v85
	v_exp_f32_e32 v110, v110
	ds_load_2addr_b32 v[103:104], v84 offset0:238 offset1:255
	v_dual_fmac_f32 v86, v112, v108 :: v_dual_mul_f32 v111, 0x3fb8aa3b, v82
	ds_load_2addr_b32 v[82:83], v84 offset0:204 offset1:221
	v_dual_sub_f32 v84, v105, v85 :: v_dual_mul_f32 v105, 0x3fb8aa3b, v107
	v_exp_f32_e32 v107, v113
	v_exp_f32_e32 v111, v111
	s_waitcnt lgkmcnt(0)
	s_delay_alu instid0(VALU_DEP_1)
	v_mul_f32_e32 v84, 0x3fb8aa3b, v84
	v_exp_f32_e32 v105, v105
	s_barrier
	buffer_gl0_inv
	v_fmac_f32_e32 v86, v111, v80
	v_sub_f32_e32 v80, v106, v85
	v_exp_f32_e32 v106, v84
	s_delay_alu instid0(VALU_DEP_2) | instskip(NEXT) | instid1(VALU_DEP_2)
	v_fmac_f32_e32 v86, v110, v81
	v_mul_f32_e32 v80, 0x3fb8aa3b, v80
	s_delay_alu instid0(VALU_DEP_2) | instskip(NEXT) | instid1(VALU_DEP_2)
	v_dual_cndmask_b32 v81, v109, v112 :: v_dual_fmac_f32 v86, v107, v82
	v_exp_f32_e32 v108, v80
	s_delay_alu instid0(VALU_DEP_1) | instskip(SKIP_2) | instid1(VALU_DEP_1)
	v_fmac_f32_e32 v86, v105, v83
	s_waitcnt_depctr 0xfff
	v_fmac_f32_e32 v86, v106, v103
	v_fmac_f32_e32 v86, v108, v104
	s_delay_alu instid0(VALU_DEP_1) | instskip(NEXT) | instid1(VALU_DEP_1)
	v_add_f32_e32 v103, 0x358637bd, v86
	v_div_scale_f32 v104, null, v103, v103, 1.0
	v_div_scale_f32 v109, vcc_lo, 1.0, v103, 1.0
	s_delay_alu instid0(VALU_DEP_2) | instskip(SKIP_2) | instid1(VALU_DEP_1)
	v_rcp_f32_e32 v113, v104
	s_waitcnt_depctr 0xfff
	v_fma_f32 v80, -v104, v113, 1.0
	v_fmac_f32_e32 v113, v80, v113
	v_cndmask_b32_e64 v80, v81, v111, s2
	v_cmp_eq_u32_e64 s2, 4, v78
	v_lshl_or_b32 v81, v78, 11, v79
	s_delay_alu instid0(VALU_DEP_4) | instskip(NEXT) | instid1(VALU_DEP_4)
	v_mul_f32_e32 v111, v109, v113
	v_cndmask_b32_e64 v82, v80, v110, s3
	v_cmp_eq_u32_e64 s3, 6, v78
	s_delay_alu instid0(VALU_DEP_4) | instskip(SKIP_3) | instid1(VALU_DEP_3)
	v_lshl_or_b32 v78, v75, 4, v81
	v_lshlrev_b32_e32 v80, 2, v75
	v_fma_f32 v83, -v104, v111, v109
	v_cndmask_b32_e64 v84, v82, v107, s2
	v_or_b32_e32 v82, 1, v80
	s_delay_alu instid0(VALU_DEP_3) | instskip(NEXT) | instid1(VALU_DEP_3)
	v_fmac_f32_e32 v111, v83, v113
	v_cndmask_b32_e64 v105, v84, v105, s4
	v_or_b32_e32 v84, 2, v80
	v_or_b32_e32 v83, 3, v80
	v_cmp_eq_u32_e64 s2, 1, v80
	v_fma_f32 v104, -v104, v111, v109
	v_cndmask_b32_e64 v105, v105, v106, s3
	v_cmp_eq_u32_e64 s8, 1, v82
	v_cmp_eq_u32_e64 s9, 1, v84
	;; [unrolled: 1-line block ×3, first 2 shown]
	v_div_fmas_f32 v104, v104, v113, v111
	v_cndmask_b32_e64 v105, v105, v108, s5
	v_cmp_eq_u32_e32 vcc_lo, 2, v80
	v_cmp_eq_u32_e64 s11, 2, v82
	v_cmp_eq_u32_e64 s13, 2, v84
	v_div_fixup_f32 v103, v104, v103, 1.0
	v_cmp_eq_u32_e64 s15, 2, v83
	v_cmp_eq_u32_e64 s17, 3, v83
	;; [unrolled: 1-line block ×4, first 2 shown]
	v_mul_f32_e32 v111, v105, v103
	v_cmp_eq_u32_e64 s16, 3, v84
	v_cmp_eq_u32_e64 s21, 4, v83
	;; [unrolled: 1-line block ×4, first 2 shown]
	v_fma_mixlo_f16 v103, v111, v88, 0
	v_fma_mixlo_f16 v104, v111, v90, 0
	;; [unrolled: 1-line block ×8, first 2 shown]
	v_fma_mixhi_f16 v103, v111, v87, 0
	v_fma_mixhi_f16 v104, v111, v89, 0
	;; [unrolled: 1-line block ×8, first 2 shown]
	ds_store_b128 v78, v[103:106]
	ds_store_b128 v78, v[107:110] offset:1024
	s_waitcnt lgkmcnt(0)
	s_barrier
	buffer_gl0_inv
	ds_load_b128 v[87:90], v81
	ds_load_b128 v[91:94], v81 offset:16
	ds_load_b128 v[95:98], v81 offset:1024
	;; [unrolled: 1-line block ×3, first 2 shown]
	v_cmp_eq_u32_e64 s20, 4, v84
	v_cmp_eq_u32_e64 s23, 5, v83
	;; [unrolled: 1-line block ×13, first 2 shown]
	s_waitcnt lgkmcnt(3)
	v_lshrrev_b32_e32 v103, 16, v87
	s_waitcnt lgkmcnt(2)
	v_lshrrev_b32_e32 v107, 16, v91
	;; [unrolled: 2-line block ×4, first 2 shown]
	v_lshrrev_b32_e32 v104, 16, v88
	v_cndmask_b32_e64 v119, v87, v103, s2
	v_cndmask_b32_e64 v120, v91, v107, s2
	;; [unrolled: 1-line block ×8, first 2 shown]
	v_lshrrev_b32_e32 v108, 16, v92
	v_cndmask_b32_e64 v103, v95, v111, s2
	v_cndmask_b32_e64 v107, v99, v115, s2
	;; [unrolled: 1-line block ×5, first 2 shown]
	v_cndmask_b32_e32 v111, v119, v88, vcc_lo
	v_cndmask_b32_e64 v119, v121, v88, s11
	v_cndmask_b32_e64 v121, v123, v88, s13
	;; [unrolled: 1-line block ×4, first 2 shown]
	v_lshrrev_b32_e32 v112, 16, v96
	v_lshrrev_b32_e32 v116, 16, v100
	v_cndmask_b32_e64 v126, v99, v115, s8
	v_cndmask_b32_e64 v128, v99, v115, s9
	;; [unrolled: 1-line block ×3, first 2 shown]
	v_cndmask_b32_e32 v115, v120, v92, vcc_lo
	v_cndmask_b32_e64 v120, v122, v92, s11
	v_cndmask_b32_e64 v122, v124, v92, s13
	v_cndmask_b32_e32 v91, v103, v96, vcc_lo
	v_cndmask_b32_e32 v92, v107, v100, vcc_lo
	v_cndmask_b32_e64 v103, v125, v96, s11
	v_cndmask_b32_e64 v87, v87, v104, s17
	;; [unrolled: 1-line block ×3, first 2 shown]
	v_lshrrev_b32_e32 v105, 16, v89
	v_lshrrev_b32_e32 v109, 16, v93
	v_cndmask_b32_e64 v107, v127, v96, s13
	v_cndmask_b32_e64 v95, v95, v96, s15
	;; [unrolled: 1-line block ×14, first 2 shown]
	v_lshrrev_b32_e32 v113, 16, v97
	v_cndmask_b32_e64 v99, v99, v89, s4
	v_cndmask_b32_e64 v104, v111, v93, s4
	;; [unrolled: 1-line block ×11, first 2 shown]
	v_lshrrev_b32_e32 v106, 16, v90
	v_lshrrev_b32_e32 v110, 16, v94
	v_cndmask_b32_e64 v93, v99, v105, s5
	v_cndmask_b32_e64 v99, v104, v109, s5
	;; [unrolled: 1-line block ×9, first 2 shown]
	v_lshrrev_b32_e32 v114, 16, v98
	v_cndmask_b32_e64 v89, v89, v113, s5
	v_cndmask_b32_e64 v93, v93, v90, s6
	;; [unrolled: 1-line block ×19, first 2 shown]
	v_perm_b32 v90, v88, v87, 0x5040100
	v_cndmask_b32_e64 v87, v126, v100, s11
	v_cndmask_b32_e64 v105, v89, v114, s7
	v_perm_b32 v89, v103, v99, 0x5040100
	v_perm_b32 v88, v104, v94, 0x5040100
	v_cndmask_b32_e64 v94, v107, v112, s16
	v_cndmask_b32_e64 v95, v95, v112, s17
	;; [unrolled: 1-line block ×5, first 2 shown]
	v_lshrrev_b32_e32 v117, 16, v101
	v_cndmask_b32_e64 v94, v94, v97, s20
	v_cndmask_b32_e64 v95, v95, v97, s21
	;; [unrolled: 1-line block ×11, first 2 shown]
	v_lshrrev_b32_e32 v118, 16, v102
	v_cndmask_b32_e64 v91, v91, v102, s6
	v_cndmask_b32_e64 v94, v94, v98, s25
	;; [unrolled: 1-line block ×12, first 2 shown]
	v_perm_b32 v87, v93, v92, 0x5040100
	v_perm_b32 v94, v95, v94, 0x5040100
	;; [unrolled: 1-line block ×5, first 2 shown]
	s_mul_i32 s6, s33, 6
	s_mov_b32 s2, exec_lo
	ds_store_b128 v78, v[87:90]
	ds_store_b128 v78, v[91:94] offset:1024
	v_cmpx_gt_u32_e32 6, v0
	s_cbranch_execz .LBB311_16
; %bb.15:
	s_mul_i32 s3, s6, s30
	s_load_b128 s[8:11], s[0:1], 0x58
	v_add3_u32 v77, s3, s31, v77
	s_delay_alu instid0(VALU_DEP_1) | instskip(NEXT) | instid1(VALU_DEP_1)
	v_mad_u64_u32 v[87:88], null, v77, s34, s[14:15]
	v_ashrrev_i32_e32 v88, 31, v87
	s_delay_alu instid0(VALU_DEP_1) | instskip(SKIP_1) | instid1(VALU_DEP_1)
	v_lshlrev_b64 v[87:88], 2, v[87:88]
	s_waitcnt lgkmcnt(0)
	v_add_co_u32 v89, vcc_lo, s10, v87
	s_delay_alu instid0(VALU_DEP_2)
	v_add_co_ci_u32_e32 v90, vcc_lo, s11, v88, vcc_lo
	v_add_co_u32 v87, vcc_lo, s8, v87
	v_add_co_ci_u32_e32 v88, vcc_lo, s9, v88, vcc_lo
	global_store_b32 v[89:90], v85, off
	global_store_b32 v[87:88], v86, off
.LBB311_16:
	s_or_b32 exec_lo, exec_lo, s2
	s_waitcnt lgkmcnt(0)
	s_waitcnt_vscnt null, 0x0
	s_barrier
	buffer_gl0_inv
	ds_load_b128 v[93:96], v79
	ds_load_b128 v[97:100], v79 offset:16
	ds_load_b128 v[105:108], v79 offset:1040
	ds_load_b128 v[101:104], v79 offset:1024
	ds_load_b128 v[113:116], v79 offset:2064
	ds_load_b128 v[109:112], v79 offset:2048
	v_cmp_eq_u32_e32 vcc_lo, 1, v84
	v_mov_b32_e32 v85, 0
	ds_load_b128 v[121:124], v79 offset:3088
	ds_load_b128 v[117:120], v79 offset:3072
	;; [unrolled: 1-line block ×4, first 2 shown]
	v_cmp_eq_u32_e64 s2, 1, v80
	v_cmp_eq_u32_e64 s3, 1, v83
	;; [unrolled: 1-line block ×3, first 2 shown]
	v_mov_b32_e32 v86, v85
	v_mov_b32_e32 v87, v85
	;; [unrolled: 1-line block ×7, first 2 shown]
	v_cmp_eq_u32_e64 s5, 2, v80
	s_waitcnt lgkmcnt(8)
	s_delay_alu instid0(VALU_DEP_2)
	v_wmma_f32_16x16x16_f16 v[85:92], v[65:72], v[93:100], v[85:92]
	ds_load_b128 v[69:72], v79 offset:5136
	ds_load_b128 v[65:68], v79 offset:5120
	;; [unrolled: 1-line block ×4, first 2 shown]
	s_waitcnt lgkmcnt(10)
	v_wmma_f32_16x16x16_f16 v[85:92], v[57:64], v[101:108], v[85:92]
	s_waitcnt lgkmcnt(8)
	s_delay_alu instid0(VALU_DEP_1)
	v_wmma_f32_16x16x16_f16 v[85:92], v[57:64], v[109:116], v[85:92]
	ds_load_b128 v[61:64], v79 offset:7184
	ds_load_b128 v[57:60], v79 offset:7168
	;; [unrolled: 1-line block ×4, first 2 shown]
	s_waitcnt lgkmcnt(10)
	v_wmma_f32_16x16x16_f16 v[85:92], v[49:56], v[117:124], v[85:92]
	s_waitcnt lgkmcnt(8)
	s_delay_alu instid0(VALU_DEP_1)
	v_wmma_f32_16x16x16_f16 v[85:92], v[49:56], v[125:132], v[85:92]
	ds_load_b128 v[53:56], v79 offset:9232
	ds_load_b128 v[49:52], v79 offset:9216
	s_waitcnt lgkmcnt(8)
	v_wmma_f32_16x16x16_f16 v[85:92], v[41:48], v[65:72], v[85:92]
	ds_load_b128 v[69:72], v79 offset:10256
	ds_load_b128 v[65:68], v79 offset:10240
	s_waitcnt lgkmcnt(8)
	v_wmma_f32_16x16x16_f16 v[85:92], v[41:48], v[93:100], v[85:92]
	ds_load_b128 v[45:48], v79 offset:11280
	ds_load_b128 v[41:44], v79 offset:11264
	s_waitcnt lgkmcnt(8)
	v_wmma_f32_16x16x16_f16 v[85:92], v[9:16], v[57:64], v[85:92]
	ds_load_b128 v[61:64], v79 offset:12304
	ds_load_b128 v[57:60], v79 offset:12288
	s_waitcnt lgkmcnt(8)
	v_wmma_f32_16x16x16_f16 v[85:92], v[9:16], v[101:108], v[85:92]
	ds_load_b128 v[13:16], v79 offset:13328
	ds_load_b128 v[9:12], v79 offset:13312
	s_waitcnt lgkmcnt(8)
	v_wmma_f32_16x16x16_f16 v[85:92], v[1:8], v[49:56], v[85:92]
	ds_load_b128 v[53:56], v79 offset:14352
	ds_load_b128 v[49:52], v79 offset:14336
	s_waitcnt lgkmcnt(8)
	v_wmma_f32_16x16x16_f16 v[85:92], v[1:8], v[65:72], v[85:92]
	ds_load_b128 v[5:8], v79 offset:15376
	ds_load_b128 v[1:4], v79 offset:15360
	s_waitcnt lgkmcnt(0)
	s_barrier
	buffer_gl0_inv
	v_wmma_f32_16x16x16_f16 v[85:92], v[33:40], v[41:48], v[85:92]
	s_delay_alu instid0(VALU_DEP_1) | instskip(NEXT) | instid1(VALU_DEP_1)
	v_wmma_f32_16x16x16_f16 v[85:92], v[33:40], v[57:64], v[85:92]
	v_wmma_f32_16x16x16_f16 v[85:92], v[25:32], v[9:16], v[85:92]
	s_delay_alu instid0(VALU_DEP_1) | instskip(NEXT) | instid1(VALU_DEP_1)
	v_wmma_f32_16x16x16_f16 v[85:92], v[25:32], v[49:56], v[85:92]
	v_wmma_f32_16x16x16_f16 v[85:92], v[17:24], v[1:8], v[85:92]
	s_delay_alu instid0(VALU_DEP_1) | instskip(NEXT) | instid1(VALU_DEP_2)
	v_cvt_f16_f32_e32 v1, v85
	v_cvt_f16_f32_e32 v2, v86
	s_delay_alu instid0(VALU_DEP_3) | instskip(NEXT) | instid1(VALU_DEP_4)
	v_cvt_f16_f32_e32 v3, v87
	v_cvt_f16_f32_e32 v4, v88
	;; [unrolled: 1-line block ×6, first 2 shown]
	v_pack_b32_f16 v1, v1, v2
	v_pack_b32_f16 v2, v3, v4
	;; [unrolled: 1-line block ×3, first 2 shown]
	s_delay_alu instid0(VALU_DEP_4)
	v_pack_b32_f16 v4, v7, v8
	ds_store_b128 v78, v[1:4]
	s_waitcnt lgkmcnt(0)
	s_barrier
	buffer_gl0_inv
	ds_load_b128 v[1:4], v81
	ds_load_b128 v[5:8], v81 offset:16
	s_waitcnt lgkmcnt(1)
	v_lshrrev_b32_e32 v9, 16, v1
	s_waitcnt lgkmcnt(0)
	v_lshrrev_b32_e32 v13, 16, v5
	v_lshrrev_b32_e32 v15, 16, v7
	;; [unrolled: 1-line block ×4, first 2 shown]
	v_cndmask_b32_e64 v17, v1, v9, s2
	v_cndmask_b32_e64 v18, v5, v13, s2
	;; [unrolled: 1-line block ×3, first 2 shown]
	v_cmp_eq_u32_e64 s2, 2, v82
	v_cndmask_b32_e64 v20, v5, v13, s4
	v_cndmask_b32_e32 v21, v1, v9, vcc_lo
	v_cndmask_b32_e32 v22, v5, v13, vcc_lo
	v_cndmask_b32_e64 v1, v1, v9, s3
	v_cndmask_b32_e64 v5, v5, v13, s3
	v_cmp_eq_u32_e32 vcc_lo, 2, v84
	v_cmp_eq_u32_e64 s3, 2, v83
	v_cndmask_b32_e64 v9, v17, v2, s5
	v_cndmask_b32_e64 v13, v18, v6, s5
	;; [unrolled: 1-line block ×4, first 2 shown]
	v_cndmask_b32_e32 v19, v21, v2, vcc_lo
	v_cmp_eq_u32_e64 s2, 3, v84
	v_cndmask_b32_e32 v20, v22, v6, vcc_lo
	v_cndmask_b32_e64 v1, v1, v2, s3
	v_cmp_eq_u32_e32 vcc_lo, 3, v83
	v_cmp_eq_u32_e64 s4, 3, v80
	v_cndmask_b32_e64 v2, v5, v6, s3
	v_cmp_eq_u32_e64 s3, 3, v82
	v_lshrrev_b32_e32 v16, 16, v8
	v_cmp_eq_u32_e64 s5, 4, v80
	v_cndmask_b32_e64 v5, v9, v10, s4
	v_cndmask_b32_e64 v6, v13, v14, s4
	v_cndmask_b32_e64 v9, v17, v10, s3
	v_cmp_eq_u32_e64 s4, 4, v82
	v_cndmask_b32_e64 v13, v18, v14, s3
	v_cndmask_b32_e64 v17, v19, v10, s2
	;; [unrolled: 1-line block ×3, first 2 shown]
	v_cndmask_b32_e32 v1, v1, v10, vcc_lo
	v_cndmask_b32_e32 v2, v2, v14, vcc_lo
	v_cmp_eq_u32_e32 vcc_lo, 4, v84
	v_cmp_eq_u32_e64 s3, 4, v83
	v_lshrrev_b32_e32 v11, 16, v3
	v_cndmask_b32_e64 v5, v5, v3, s5
	v_cndmask_b32_e64 v6, v6, v7, s5
	;; [unrolled: 1-line block ×4, first 2 shown]
	v_cndmask_b32_e32 v13, v17, v3, vcc_lo
	v_cmp_eq_u32_e64 s2, 5, v84
	v_cndmask_b32_e32 v14, v18, v7, vcc_lo
	v_cndmask_b32_e64 v1, v1, v3, s3
	v_cmp_eq_u32_e32 vcc_lo, 5, v83
	v_cmp_eq_u32_e64 s4, 5, v80
	v_cndmask_b32_e64 v2, v2, v7, s3
	v_cmp_eq_u32_e64 s3, 5, v82
	v_cmp_eq_u32_e64 s5, 6, v80
	v_cndmask_b32_e32 v1, v1, v11, vcc_lo
	v_cndmask_b32_e64 v3, v5, v11, s4
	v_cndmask_b32_e64 v5, v6, v15, s4
	;; [unrolled: 1-line block ×3, first 2 shown]
	v_cmp_eq_u32_e64 s4, 6, v82
	v_cndmask_b32_e64 v7, v10, v15, s3
	v_cndmask_b32_e64 v9, v13, v11, s2
	;; [unrolled: 1-line block ×3, first 2 shown]
	v_cndmask_b32_e32 v2, v2, v15, vcc_lo
	v_cmp_eq_u32_e32 vcc_lo, 6, v84
	v_cmp_eq_u32_e64 s2, 6, v83
	v_lshrrev_b32_e32 v12, 16, v4
	v_cndmask_b32_e64 v3, v3, v4, s5
	v_cndmask_b32_e64 v5, v5, v8, s5
	;; [unrolled: 1-line block ×4, first 2 shown]
	v_cndmask_b32_e32 v9, v9, v4, vcc_lo
	v_cmp_eq_u32_e64 s3, 7, v84
	v_cndmask_b32_e32 v10, v10, v8, vcc_lo
	v_cndmask_b32_e64 v1, v1, v4, s2
	v_cmp_eq_u32_e32 vcc_lo, 7, v83
	v_cndmask_b32_e64 v2, v2, v8, s2
	v_cmp_eq_u32_e64 s2, 7, v80
	v_cmp_eq_u32_e64 s4, 7, v82
	v_cndmask_b32_e32 v1, v1, v12, vcc_lo
	s_delay_alu instid0(VALU_DEP_4) | instskip(NEXT) | instid1(VALU_DEP_4)
	v_cndmask_b32_e32 v2, v2, v16, vcc_lo
	v_cndmask_b32_e64 v8, v3, v12, s2
	s_delay_alu instid0(VALU_DEP_4)
	v_cndmask_b32_e64 v6, v6, v12, s4
	v_cndmask_b32_e64 v3, v9, v12, s3
	;; [unrolled: 1-line block ×5, first 2 shown]
	v_perm_b32 v4, v2, v1, 0x5040100
	s_mov_b32 s2, exec_lo
	v_perm_b32 v3, v9, v3, 0x5040100
	v_perm_b32 v2, v7, v6, 0x5040100
	v_perm_b32 v1, v5, v8, 0x5040100
	ds_store_b128 v78, v[1:4]
	s_waitcnt lgkmcnt(0)
	s_barrier
	buffer_gl0_inv
	v_cmpx_gt_u32_e32 32, v0
	s_cbranch_execz .LBB311_2
; %bb.17:
	s_load_b64 s[0:1], s[0:1], 0x68
	s_lshl_b32 s4, s34, 7
	v_or_b32_e32 v3, s31, v75
	s_mul_i32 s2, s4, s30
	v_lshlrev_b32_e32 v0, 10, v0
	s_mul_i32 s2, s2, s6
	v_lshlrev_b32_e32 v1, 4, v76
	s_ashr_i32 s3, s2, 31
	v_mul_lo_u32 v12, v3, s4
	s_lshl_b64 s[2:3], s[2:3], 1
	v_lshlrev_b32_e32 v2, 6, v75
	v_and_b32_e32 v0, 0x3800, v0
	s_delay_alu instid0(VALU_DEP_1) | instskip(NEXT) | instid1(VALU_DEP_4)
	v_or3_b32 v8, v0, v1, v2
	v_ashrrev_i32_e32 v13, 31, v12
	ds_load_b128 v[0:3], v8
	ds_load_b128 v[4:7], v8 offset:128
	ds_load_b128 v[8:11], v8 offset:256
	s_waitcnt lgkmcnt(0)
	s_add_u32 s2, s0, s2
	s_addc_u32 s3, s1, s3
	s_lshl_b32 s0, s14, 7
	s_delay_alu instid0(SALU_CYCLE_1) | instskip(NEXT) | instid1(SALU_CYCLE_1)
	s_ashr_i32 s1, s0, 31
	s_lshl_b64 s[0:1], s[0:1], 1
	s_delay_alu instid0(SALU_CYCLE_1)
	s_add_u32 s0, s2, s0
	s_addc_u32 s1, s3, s1
	s_lshl_b32 s2, s34, 8
	v_add_co_u32 v18, vcc_lo, s0, v73
	v_add_nc_u32_e32 v14, s2, v12
	v_lshlrev_b64 v[12:13], 1, v[12:13]
	v_add_co_ci_u32_e32 v19, vcc_lo, s1, v74, vcc_lo
	s_delay_alu instid0(VALU_DEP_3) | instskip(SKIP_1) | instid1(VALU_DEP_4)
	v_add_nc_u32_e32 v16, s2, v14
	v_ashrrev_i32_e32 v15, 31, v14
	v_add_co_u32 v12, vcc_lo, v18, v12
	s_delay_alu instid0(VALU_DEP_4) | instskip(NEXT) | instid1(VALU_DEP_4)
	v_add_co_ci_u32_e32 v13, vcc_lo, v19, v13, vcc_lo
	v_ashrrev_i32_e32 v17, 31, v16
	s_delay_alu instid0(VALU_DEP_4) | instskip(NEXT) | instid1(VALU_DEP_2)
	v_lshlrev_b64 v[14:15], 1, v[14:15]
	v_lshlrev_b64 v[16:17], 1, v[16:17]
	s_delay_alu instid0(VALU_DEP_2) | instskip(NEXT) | instid1(VALU_DEP_3)
	v_add_co_u32 v14, vcc_lo, v18, v14
	v_add_co_ci_u32_e32 v15, vcc_lo, v19, v15, vcc_lo
	s_delay_alu instid0(VALU_DEP_3) | instskip(NEXT) | instid1(VALU_DEP_4)
	v_add_co_u32 v16, vcc_lo, v18, v16
	v_add_co_ci_u32_e32 v17, vcc_lo, v19, v17, vcc_lo
	s_clause 0x2
	global_store_b128 v[12:13], v[0:3], off
	global_store_b128 v[14:15], v[4:7], off
	;; [unrolled: 1-line block ×3, first 2 shown]
	s_nop 0
	s_sendmsg sendmsg(MSG_DEALLOC_VGPRS)
	s_endpgm
	.section	.rodata,"a",@progbits
	.p2align	6, 0x0
	.amdhsa_kernel _Z39paged_attention_ll4mi_QKV_mfma16_kernelIDF16_DF16_LN4vllm18Fp8KVCacheDataTypeE0EhLi32ELi128ELi256ELb1ELi6EL8MFMAType0EEvPKT_PKT0_S8_ifPKiSA_SA_iPKfiiiPfSD_PS3_PT2_iSC_SC_
		.amdhsa_group_segment_fixed_size 17472
		.amdhsa_private_segment_fixed_size 0
		.amdhsa_kernarg_size 400
		.amdhsa_user_sgpr_count 13
		.amdhsa_user_sgpr_dispatch_ptr 0
		.amdhsa_user_sgpr_queue_ptr 0
		.amdhsa_user_sgpr_kernarg_segment_ptr 1
		.amdhsa_user_sgpr_dispatch_id 0
		.amdhsa_user_sgpr_private_segment_size 0
		.amdhsa_wavefront_size32 1
		.amdhsa_uses_dynamic_stack 0
		.amdhsa_enable_private_segment 0
		.amdhsa_system_sgpr_workgroup_id_x 1
		.amdhsa_system_sgpr_workgroup_id_y 1
		.amdhsa_system_sgpr_workgroup_id_z 1
		.amdhsa_system_sgpr_workgroup_info 0
		.amdhsa_system_vgpr_workitem_id 0
		.amdhsa_next_free_vgpr 172
		.amdhsa_next_free_sgpr 38
		.amdhsa_reserve_vcc 1
		.amdhsa_float_round_mode_32 0
		.amdhsa_float_round_mode_16_64 0
		.amdhsa_float_denorm_mode_32 3
		.amdhsa_float_denorm_mode_16_64 3
		.amdhsa_dx10_clamp 1
		.amdhsa_ieee_mode 1
		.amdhsa_fp16_overflow 0
		.amdhsa_workgroup_processor_mode 1
		.amdhsa_memory_ordered 1
		.amdhsa_forward_progress 0
		.amdhsa_shared_vgpr_count 0
		.amdhsa_exception_fp_ieee_invalid_op 0
		.amdhsa_exception_fp_denorm_src 0
		.amdhsa_exception_fp_ieee_div_zero 0
		.amdhsa_exception_fp_ieee_overflow 0
		.amdhsa_exception_fp_ieee_underflow 0
		.amdhsa_exception_fp_ieee_inexact 0
		.amdhsa_exception_int_div_zero 0
	.end_amdhsa_kernel
	.section	.text._Z39paged_attention_ll4mi_QKV_mfma16_kernelIDF16_DF16_LN4vllm18Fp8KVCacheDataTypeE0EhLi32ELi128ELi256ELb1ELi6EL8MFMAType0EEvPKT_PKT0_S8_ifPKiSA_SA_iPKfiiiPfSD_PS3_PT2_iSC_SC_,"axG",@progbits,_Z39paged_attention_ll4mi_QKV_mfma16_kernelIDF16_DF16_LN4vllm18Fp8KVCacheDataTypeE0EhLi32ELi128ELi256ELb1ELi6EL8MFMAType0EEvPKT_PKT0_S8_ifPKiSA_SA_iPKfiiiPfSD_PS3_PT2_iSC_SC_,comdat
.Lfunc_end311:
	.size	_Z39paged_attention_ll4mi_QKV_mfma16_kernelIDF16_DF16_LN4vllm18Fp8KVCacheDataTypeE0EhLi32ELi128ELi256ELb1ELi6EL8MFMAType0EEvPKT_PKT0_S8_ifPKiSA_SA_iPKfiiiPfSD_PS3_PT2_iSC_SC_, .Lfunc_end311-_Z39paged_attention_ll4mi_QKV_mfma16_kernelIDF16_DF16_LN4vllm18Fp8KVCacheDataTypeE0EhLi32ELi128ELi256ELb1ELi6EL8MFMAType0EEvPKT_PKT0_S8_ifPKiSA_SA_iPKfiiiPfSD_PS3_PT2_iSC_SC_
                                        ; -- End function
	.section	.AMDGPU.csdata,"",@progbits
; Kernel info:
; codeLenInByte = 7496
; NumSgprs: 40
; NumVgprs: 172
; ScratchSize: 0
; MemoryBound: 0
; FloatMode: 240
; IeeeMode: 1
; LDSByteSize: 17472 bytes/workgroup (compile time only)
; SGPRBlocks: 4
; VGPRBlocks: 21
; NumSGPRsForWavesPerEU: 40
; NumVGPRsForWavesPerEU: 172
; Occupancy: 8
; WaveLimiterHint : 1
; COMPUTE_PGM_RSRC2:SCRATCH_EN: 0
; COMPUTE_PGM_RSRC2:USER_SGPR: 13
; COMPUTE_PGM_RSRC2:TRAP_HANDLER: 0
; COMPUTE_PGM_RSRC2:TGID_X_EN: 1
; COMPUTE_PGM_RSRC2:TGID_Y_EN: 1
; COMPUTE_PGM_RSRC2:TGID_Z_EN: 1
; COMPUTE_PGM_RSRC2:TIDIG_COMP_CNT: 0
	.section	.text._Z39paged_attention_ll4mi_QKV_mfma16_kernelIDF16_DF16_LN4vllm18Fp8KVCacheDataTypeE0EhLi32ELi128ELi256ELb1ELi7EL8MFMAType0EEvPKT_PKT0_S8_ifPKiSA_SA_iPKfiiiPfSD_PS3_PT2_iSC_SC_,"axG",@progbits,_Z39paged_attention_ll4mi_QKV_mfma16_kernelIDF16_DF16_LN4vllm18Fp8KVCacheDataTypeE0EhLi32ELi128ELi256ELb1ELi7EL8MFMAType0EEvPKT_PKT0_S8_ifPKiSA_SA_iPKfiiiPfSD_PS3_PT2_iSC_SC_,comdat
	.protected	_Z39paged_attention_ll4mi_QKV_mfma16_kernelIDF16_DF16_LN4vllm18Fp8KVCacheDataTypeE0EhLi32ELi128ELi256ELb1ELi7EL8MFMAType0EEvPKT_PKT0_S8_ifPKiSA_SA_iPKfiiiPfSD_PS3_PT2_iSC_SC_ ; -- Begin function _Z39paged_attention_ll4mi_QKV_mfma16_kernelIDF16_DF16_LN4vllm18Fp8KVCacheDataTypeE0EhLi32ELi128ELi256ELb1ELi7EL8MFMAType0EEvPKT_PKT0_S8_ifPKiSA_SA_iPKfiiiPfSD_PS3_PT2_iSC_SC_
	.globl	_Z39paged_attention_ll4mi_QKV_mfma16_kernelIDF16_DF16_LN4vllm18Fp8KVCacheDataTypeE0EhLi32ELi128ELi256ELb1ELi7EL8MFMAType0EEvPKT_PKT0_S8_ifPKiSA_SA_iPKfiiiPfSD_PS3_PT2_iSC_SC_
	.p2align	8
	.type	_Z39paged_attention_ll4mi_QKV_mfma16_kernelIDF16_DF16_LN4vllm18Fp8KVCacheDataTypeE0EhLi32ELi128ELi256ELb1ELi7EL8MFMAType0EEvPKT_PKT0_S8_ifPKiSA_SA_iPKfiiiPfSD_PS3_PT2_iSC_SC_,@function
_Z39paged_attention_ll4mi_QKV_mfma16_kernelIDF16_DF16_LN4vllm18Fp8KVCacheDataTypeE0EhLi32ELi128ELi256ELb1ELi7EL8MFMAType0EEvPKT_PKT0_S8_ifPKiSA_SA_iPKfiiiPfSD_PS3_PT2_iSC_SC_: ; @_Z39paged_attention_ll4mi_QKV_mfma16_kernelIDF16_DF16_LN4vllm18Fp8KVCacheDataTypeE0EhLi32ELi128ELi256ELb1ELi7EL8MFMAType0EEvPKT_PKT0_S8_ifPKiSA_SA_iPKfiiiPfSD_PS3_PT2_iSC_SC_
; %bb.0:
	s_load_b64 s[2:3], s[0:1], 0x30
	s_mov_b32 s34, s13
	s_waitcnt lgkmcnt(0)
	s_cmp_lg_u64 s[2:3], 0
	s_cselect_b32 s6, -1, 0
	s_ashr_i32 s35, s13, 31
	s_cmp_eq_u64 s[2:3], 0
	s_cbranch_scc1 .LBB312_3
; %bb.1:
	s_lshl_b64 s[4:5], s[34:35], 2
	s_delay_alu instid0(SALU_CYCLE_1) | instskip(SKIP_4) | instid1(SALU_CYCLE_1)
	s_add_u32 s4, s2, s4
	s_addc_u32 s5, s3, s5
	s_load_b64 s[4:5], s[4:5], 0x0
	s_waitcnt lgkmcnt(0)
	s_sub_i32 s4, s5, s4
	s_cmp_eq_u32 s4, 1
	s_cselect_b32 s4, -1, 0
	s_delay_alu instid0(SALU_CYCLE_1)
	s_and_not1_b32 vcc_lo, exec_lo, s4
	s_cbranch_vccz .LBB312_4
.LBB312_2:
	s_nop 0
	s_sendmsg sendmsg(MSG_DEALLOC_VGPRS)
	s_endpgm
.LBB312_3:
.LBB312_4:
	s_load_b64 s[8:9], s[0:1], 0x28
	s_lshl_b64 s[4:5], s[34:35], 2
	s_waitcnt lgkmcnt(0)
	s_add_u32 s8, s8, s4
	s_addc_u32 s9, s9, s5
	s_lshl_b32 s12, s14, 8
	s_load_b32 s17, s[8:9], 0x0
	s_waitcnt lgkmcnt(0)
	s_cmp_ge_i32 s12, s17
	s_cbranch_scc1 .LBB312_2
; %bb.5:
	s_and_not1_b32 vcc_lo, exec_lo, s6
	s_cbranch_vccnz .LBB312_7
; %bb.6:
	s_add_u32 s2, s2, s4
	s_addc_u32 s3, s3, s5
	s_load_b32 s13, s[2:3], 0x0
	s_branch .LBB312_8
.LBB312_7:
	s_mov_b32 s13, s34
.LBB312_8:
	s_clause 0x2
	s_load_b128 s[8:11], s[0:1], 0x8
	s_load_b64 s[2:3], s[0:1], 0x20
	s_load_b128 s[4:7], s[0:1], 0x48
	v_lshrrev_b32_e32 v78, 5, v0
	v_bfe_u32 v75, v0, 4, 1
	v_and_b32_e32 v77, 15, v0
	s_waitcnt lgkmcnt(0)
	s_mov_b32 s7, exec_lo
	s_delay_alu instid0(VALU_DEP_2) | instskip(NEXT) | instid1(VALU_DEP_2)
	v_lshl_or_b32 v3, v78, 1, v75
	v_lshlrev_b32_e32 v1, 3, v77
	s_delay_alu instid0(VALU_DEP_2)
	v_cmpx_lt_u32_e32 6, v3
	s_xor_b32 s7, exec_lo, s7
; %bb.9:
	v_mov_b32_e32 v2, 0
                                        ; implicit-def: $vgpr3
; %bb.10:
	s_or_saveexec_b32 s7, s7
	v_and_b32_e32 v80, 31, v0
	v_and_b32_e32 v76, 1, v0
	s_mul_i32 s31, s15, 7
	s_xor_b32 exec_lo, exec_lo, s7
	s_cbranch_execz .LBB312_12
; %bb.11:
	s_load_b64 s[18:19], s[0:1], 0x0
	v_add_lshl_u32 v4, v3, s31, 7
	s_mul_hi_i32 s21, s13, s4
	s_mul_i32 s20, s13, s4
	v_lshlrev_b32_e32 v2, 1, v1
	s_lshl_b64 s[20:21], s[20:21], 1
	v_ashrrev_i32_e32 v5, 31, v4
	v_lshlrev_b32_e32 v3, 6, v3
	v_lshlrev_b32_e32 v8, 10, v76
	s_delay_alu instid0(VALU_DEP_3) | instskip(SKIP_3) | instid1(VALU_DEP_1)
	v_lshlrev_b64 v[4:5], 1, v[4:5]
	s_waitcnt lgkmcnt(0)
	s_add_u32 s4, s18, s20
	s_addc_u32 s13, s19, s21
	v_add_co_u32 v4, vcc_lo, s4, v4
	s_delay_alu instid0(VALU_DEP_2) | instskip(NEXT) | instid1(VALU_DEP_2)
	v_add_co_ci_u32_e32 v5, vcc_lo, s13, v5, vcc_lo
	v_add_co_u32 v4, vcc_lo, v4, v2
	s_delay_alu instid0(VALU_DEP_2) | instskip(SKIP_3) | instid1(VALU_DEP_1)
	v_add_co_ci_u32_e32 v5, vcc_lo, 0, v5, vcc_lo
	v_lshlrev_b32_e32 v2, 10, v77
	global_load_b128 v[4:7], v[4:5], off
	v_and_b32_e32 v2, 0x3800, v2
	v_or3_b32 v3, v2, v8, v3
	v_mov_b32_e32 v2, 0
	s_waitcnt vmcnt(0)
	ds_store_b128 v3, v[4:7]
.LBB312_12:
	s_or_b32 exec_lo, exec_lo, s7
	v_and_b32_e32 v3, 0xef, v0
	s_add_i32 s4, s17, 31
	s_clause 0x1
	s_load_b32 s7, s[0:1], 0x38
	s_load_b32 s33, s[0:1], 0x98
	s_ashr_i32 s13, s4, 31
	v_add_nc_u32_e32 v3, s12, v3
	s_lshr_b32 s13, s13, 27
	s_load_b32 s18, s[0:1], 0x1c
	s_add_i32 s4, s4, s13
	s_waitcnt lgkmcnt(0)
	v_ashrrev_i32_e32 v4, 31, v3
	v_cmp_gt_i32_e32 vcc_lo, s17, v3
	s_ashr_i32 s4, s4, 5
	s_barrier
	s_add_i32 s4, s4, -1
	v_lshrrev_b32_e32 v5, 27, v4
	v_or_b32_e32 v4, 16, v3
	buffer_gl0_inv
	v_lshlrev_b64 v[73:74], 1, v[1:2]
	v_lshlrev_b32_e32 v79, 6, v77
	v_add_nc_u32_e32 v6, v3, v5
	v_add_nc_u32_e32 v5, v4, v5
	s_mul_i32 s20, s34, s7
	s_delay_alu instid0(SALU_CYCLE_1) | instskip(NEXT) | instid1(VALU_DEP_2)
	s_ashr_i32 s21, s20, 31
	v_ashrrev_i32_e32 v6, 5, v6
	s_delay_alu instid0(VALU_DEP_2) | instskip(SKIP_1) | instid1(SALU_CYCLE_1)
	v_ashrrev_i32_e32 v5, 5, v5
	s_lshl_b64 s[20:21], s[20:21], 2
	s_add_u32 s13, s2, s20
	s_delay_alu instid0(VALU_DEP_2) | instskip(SKIP_3) | instid1(SALU_CYCLE_1)
	v_cndmask_b32_e32 v3, s4, v6, vcc_lo
	v_cmp_gt_i32_e32 vcc_lo, s17, v4
	s_addc_u32 s16, s3, s21
	s_mul_i32 s2, s15, s6
	s_ashr_i32 s3, s2, 31
	v_cndmask_b32_e32 v5, s4, v5, vcc_lo
	v_ashrrev_i32_e32 v4, 31, v3
	s_lshl_b64 s[2:3], s[2:3], 1
	s_delay_alu instid0(SALU_CYCLE_1) | instskip(NEXT) | instid1(VALU_DEP_2)
	s_add_u32 s15, s8, s2
	v_ashrrev_i32_e32 v6, 31, v5
	s_delay_alu instid0(VALU_DEP_2) | instskip(SKIP_2) | instid1(VALU_DEP_2)
	v_lshlrev_b64 v[3:4], 2, v[3:4]
	s_addc_u32 s19, s9, s3
	s_lshl_b32 s6, s14, 3
	v_lshlrev_b64 v[5:6], 2, v[5:6]
	s_ashr_i32 s7, s6, 31
	s_delay_alu instid0(VALU_DEP_2) | instskip(SKIP_1) | instid1(VALU_DEP_3)
	v_add_co_u32 v3, vcc_lo, s13, v3
	v_add_co_ci_u32_e32 v4, vcc_lo, s16, v4, vcc_lo
	v_add_co_u32 v5, vcc_lo, s13, v5
	s_delay_alu instid0(VALU_DEP_4)
	v_add_co_ci_u32_e32 v6, vcc_lo, s16, v6, vcc_lo
	s_lshl_b64 s[6:7], s[6:7], 2
	s_clause 0x1
	global_load_b32 v7, v[3:4], off
	global_load_b32 v8, v[5:6], off
	s_add_u32 s6, s13, s6
	s_addc_u32 s7, s16, s7
	s_or_b32 s8, s12, 32
	s_delay_alu instid0(SALU_CYCLE_1) | instskip(SKIP_2) | instid1(SALU_CYCLE_1)
	s_ashr_i32 s9, s8, 5
	s_cmp_lt_i32 s8, s17
	s_cselect_b32 s8, s9, s4
	s_ashr_i32 s9, s8, 31
	s_delay_alu instid0(SALU_CYCLE_1) | instskip(NEXT) | instid1(SALU_CYCLE_1)
	s_lshl_b64 s[8:9], s[8:9], 2
	s_add_u32 s8, s13, s8
	s_addc_u32 s9, s16, s9
	s_or_b32 s20, s12, 64
	s_delay_alu instid0(SALU_CYCLE_1) | instskip(SKIP_2) | instid1(SALU_CYCLE_1)
	s_ashr_i32 s21, s20, 5
	s_cmp_lt_i32 s20, s17
	s_cselect_b32 s20, s21, s4
	s_ashr_i32 s21, s20, 31
	s_delay_alu instid0(SALU_CYCLE_1) | instskip(NEXT) | instid1(SALU_CYCLE_1)
	s_lshl_b64 s[20:21], s[20:21], 2
	;; [unrolled: 10-line block ×5, first 2 shown]
	s_add_u32 s26, s13, s26
	s_addc_u32 s27, s16, s27
	s_clause 0x5
	s_load_b32 s28, s[6:7], 0x0
	s_load_b32 s29, s[8:9], 0x0
	;; [unrolled: 1-line block ×6, first 2 shown]
	s_mov_b32 s20, 0
	s_or_b32 s6, s12, 0xc0
	s_mov_b32 s21, s20
	s_mov_b32 s22, s20
	s_mov_b32 s23, s20
	s_mov_b32 s24, s20
	s_mov_b32 s25, s20
	s_mov_b32 s26, s20
	s_mov_b32 s27, s20
	s_ashr_i32 s7, s6, 5
	v_mov_b32_e32 v128, s27
	s_cmp_lt_i32 s6, s17
	v_mov_b32_e32 v127, s26
	s_cselect_b32 s6, s7, s4
	v_mov_b32_e32 v126, s25
	s_ashr_i32 s7, s6, 31
	v_mov_b32_e32 v125, s24
	s_lshl_b64 s[6:7], s[6:7], 2
	v_mov_b32_e32 v124, s23
	s_add_u32 s6, s13, s6
	s_addc_u32 s7, s16, s7
	v_mov_b32_e32 v123, s22
	v_mov_b32_e32 v121, s20
	s_waitcnt lgkmcnt(0)
	s_mul_hi_i32 s9, s28, s5
	s_mul_i32 s8, s28, s5
	s_mul_hi_i32 s37, s38, s5
	v_mov_b32_e32 v122, s21
	s_mul_hi_i32 s21, s29, s5
	s_mul_i32 s20, s29, s5
	s_mul_hi_i32 s25, s30, s5
	s_mul_i32 s24, s30, s5
	;; [unrolled: 2-line block ×3, first 2 shown]
	s_waitcnt vmcnt(1)
	v_mad_i64_i32 v[3:4], null, v7, s5, 0
	s_waitcnt vmcnt(0)
	v_mad_i64_i32 v[5:6], null, v8, s5, 0
	s_delay_alu instid0(VALU_DEP_2) | instskip(NEXT) | instid1(VALU_DEP_2)
	v_lshlrev_b64 v[3:4], 1, v[3:4]
	v_lshlrev_b64 v[1:2], 1, v[5:6]
	s_delay_alu instid0(VALU_DEP_2) | instskip(NEXT) | instid1(VALU_DEP_3)
	v_add_co_u32 v3, vcc_lo, s15, v3
	v_add_co_ci_u32_e32 v4, vcc_lo, s19, v4, vcc_lo
	s_delay_alu instid0(VALU_DEP_3) | instskip(NEXT) | instid1(VALU_DEP_4)
	v_add_co_u32 v1, vcc_lo, s15, v1
	v_add_co_ci_u32_e32 v2, vcc_lo, s19, v2, vcc_lo
	s_delay_alu instid0(VALU_DEP_4) | instskip(NEXT) | instid1(VALU_DEP_4)
	v_add_co_u32 v65, vcc_lo, v3, v73
	v_add_co_ci_u32_e32 v66, vcc_lo, v4, v74, vcc_lo
	s_delay_alu instid0(VALU_DEP_4) | instskip(NEXT) | instid1(VALU_DEP_4)
	v_add_co_u32 v67, vcc_lo, v1, v73
	v_add_co_ci_u32_e32 v68, vcc_lo, v2, v74, vcc_lo
	s_clause 0xf
	global_load_b128 v[1:4], v[65:66], off
	global_load_b128 v[5:8], v[65:66], off offset:512
	global_load_b128 v[9:12], v[67:68], off offset:256
	;; [unrolled: 1-line block ×15, first 2 shown]
	v_add_co_u32 v157, vcc_lo, 0x1000, v65
	v_add_co_ci_u32_e32 v158, vcc_lo, 0, v66, vcc_lo
	v_add_co_u32 v165, vcc_lo, 0x1000, v67
	v_add_co_ci_u32_e32 v166, vcc_lo, 0, v68, vcc_lo
	s_clause 0x7
	global_load_b128 v[81:84], v[157:158], off
	global_load_b128 v[85:88], v[157:158], off offset:512
	global_load_b128 v[89:92], v[165:166], off offset:256
	;; [unrolled: 1-line block ×7, first 2 shown]
	v_mul_lo_u16 v65, v77, 37
	s_or_b32 s15, s12, 0xe0
	s_delay_alu instid0(SALU_CYCLE_1) | instskip(SKIP_1) | instid1(VALU_DEP_1)
	s_ashr_i32 s19, s15, 5
	s_cmp_lt_i32 s15, s17
	v_lshrrev_b16 v65, 8, v65
	s_cselect_b32 s22, s19, s4
	s_delay_alu instid0(SALU_CYCLE_1) | instskip(NEXT) | instid1(VALU_DEP_1)
	s_ashr_i32 s23, s22, 31
	v_mul_lo_u16 v65, v65, 7
	s_lshl_b64 s[22:23], s[22:23], 2
	s_delay_alu instid0(SALU_CYCLE_1) | instskip(SKIP_1) | instid1(VALU_DEP_1)
	s_add_u32 s22, s13, s22
	s_addc_u32 s23, s16, s23
	v_sub_nc_u16 v65, v77, v65
	s_add_i32 s15, s12, 0x100
	s_delay_alu instid0(SALU_CYCLE_1) | instskip(SKIP_1) | instid1(VALU_DEP_1)
	s_ashr_i32 s19, s15, 5
	s_cmp_lt_i32 s15, s17
	v_and_b32_e32 v65, 0xff, v65
	s_cselect_b32 s28, s19, s4
	s_delay_alu instid0(SALU_CYCLE_1) | instskip(NEXT) | instid1(VALU_DEP_1)
	s_ashr_i32 s29, s28, 31
	v_lshlrev_b32_e32 v169, 6, v65
	ds_load_b128 v[65:68], v169
	ds_load_b128 v[69:72], v169 offset:1024
	s_clause 0x1
	global_load_b128 v[113:116], v[157:158], off offset:2048
	global_load_b128 v[117:120], v[157:158], off offset:2560
	ds_load_b128 v[129:132], v169 offset:2048
	ds_load_b128 v[133:136], v169 offset:3072
	s_clause 0x5
	global_load_b128 v[145:148], v[165:166], off offset:2304
	global_load_b128 v[149:152], v[165:166], off offset:2816
	;; [unrolled: 1-line block ×6, first 2 shown]
	s_lshl_b64 s[28:29], s[28:29], 2
	s_delay_alu instid0(SALU_CYCLE_1)
	s_add_u32 s28, s13, s28
	s_addc_u32 s29, s16, s29
	s_add_u32 s4, s10, s2
	s_addc_u32 s19, s11, s3
	s_lshl_b64 s[2:3], s[8:9], 1
	s_lshl_b64 s[8:9], s[20:21], 1
	;; [unrolled: 1-line block ×4, first 2 shown]
	s_waitcnt vmcnt(30) lgkmcnt(2)
	v_wmma_f32_16x16x16_f16 v[137:144], v[1:8], v[65:72], v[121:128]
	ds_load_b128 v[1:4], v169 offset:4096
	ds_load_b128 v[5:8], v169 offset:5120
	s_waitcnt vmcnt(28)
	v_wmma_f32_16x16x16_f16 v[121:128], v[9:16], v[65:72], v[121:128]
	ds_load_b128 v[9:12], v169 offset:6144
	ds_load_b128 v[13:16], v169 offset:7168
	s_waitcnt vmcnt(26) lgkmcnt(4)
	v_wmma_f32_16x16x16_f16 v[137:144], v[17:24], v[129:136], v[137:144]
	ds_load_b128 v[17:20], v169 offset:8192
	ds_load_b128 v[21:24], v169 offset:9216
	s_waitcnt vmcnt(24)
	v_wmma_f32_16x16x16_f16 v[121:128], v[25:32], v[129:136], v[121:128]
	v_lshl_or_b32 v25, v78, 10, v79
	ds_load_b128 v[129:132], v169 offset:10240
	ds_load_b128 v[133:136], v169 offset:11264
	s_clause 0x2
	s_load_b32 s15, s[6:7], 0x0
	s_load_b32 s13, s[22:23], 0x0
	;; [unrolled: 1-line block ×3, first 2 shown]
	s_mul_hi_i32 s7, s36, s5
	v_add_co_u32 v170, s4, s4, v25
	s_delay_alu instid0(VALU_DEP_1)
	v_add_co_ci_u32_e64 v171, null, s19, 0, s4
	s_mul_i32 s6, s36, s5
	s_mul_i32 s36, s38, s5
	s_lshl_b64 s[6:7], s[6:7], 1
	s_lshl_b64 s[22:23], s[36:37], 1
	s_waitcnt vmcnt(22) lgkmcnt(0)
	v_wmma_f32_16x16x16_f16 v[137:144], v[33:40], v[1:8], v[137:144]
	s_waitcnt vmcnt(20)
	v_wmma_f32_16x16x16_f16 v[121:128], v[41:48], v[1:8], v[121:128]
	v_add_co_u32 v1, vcc_lo, v170, s2
	v_add_co_ci_u32_e32 v2, vcc_lo, s3, v171, vcc_lo
	v_add_co_u32 v3, vcc_lo, v170, s8
	v_add_co_ci_u32_e32 v4, vcc_lo, s9, v171, vcc_lo
	;; [unrolled: 2-line block ×4, first 2 shown]
	v_add_co_u32 v25, vcc_lo, v170, s6
	s_mul_hi_i32 s25, s15, s5
	s_mul_i32 s24, s15, s5
	v_add_co_ci_u32_e32 v26, vcc_lo, s7, v171, vcc_lo
	v_add_co_u32 v27, vcc_lo, v170, s22
	s_lshl_b64 s[24:25], s[24:25], 1
	s_waitcnt vmcnt(18)
	v_wmma_f32_16x16x16_f16 v[137:144], v[49:56], v[9:16], v[137:144]
	s_waitcnt vmcnt(16)
	v_wmma_f32_16x16x16_f16 v[121:128], v[57:64], v[9:16], v[121:128]
	v_add_co_ci_u32_e32 v28, vcc_lo, s23, v171, vcc_lo
	s_mul_hi_i32 s3, s13, s5
	s_mul_i32 s2, s13, s5
	v_add_co_u32 v29, vcc_lo, v170, s24
	s_lshl_b64 s[2:3], s[2:3], 1
	v_add_co_ci_u32_e32 v30, vcc_lo, s25, v171, vcc_lo
	s_waitcnt vmcnt(14)
	v_wmma_f32_16x16x16_f16 v[137:144], v[81:88], v[17:24], v[137:144]
	s_waitcnt vmcnt(12)
	v_wmma_f32_16x16x16_f16 v[121:128], v[89:96], v[17:24], v[121:128]
	v_add_co_u32 v17, vcc_lo, v170, s2
	v_add_co_ci_u32_e32 v18, vcc_lo, s3, v171, vcc_lo
	s_mul_hi_i32 s3, s16, s5
	s_mul_i32 s2, s16, s5
	s_clause 0x5
	global_load_b128 v[65:68], v[1:2], off
	global_load_b128 v[69:72], v[1:2], off offset:16
	global_load_b128 v[57:60], v[3:4], off
	global_load_b128 v[61:64], v[3:4], off offset:16
	;; [unrolled: 2-line block ×3, first 2 shown]
	s_lshl_b64 s[2:3], s[2:3], 1
	s_clause 0x1
	global_load_b128 v[41:44], v[7:8], off
	global_load_b128 v[45:48], v[7:8], off offset:16
	v_add_co_u32 v21, vcc_lo, v170, s2
	v_add_co_ci_u32_e32 v22, vcc_lo, s3, v171, vcc_lo
	s_clause 0x9
	global_load_b128 v[9:12], v[25:26], off
	global_load_b128 v[13:16], v[25:26], off offset:16
	global_load_b128 v[1:4], v[27:28], off
	global_load_b128 v[5:8], v[27:28], off offset:16
	;; [unrolled: 2-line block ×5, first 2 shown]
	ds_load_b128 v[81:84], v169 offset:12288
	ds_load_b128 v[85:88], v169 offset:13312
	v_and_b32_e32 v89, 0xe0, v0
	s_waitcnt vmcnt(28)
	v_wmma_f32_16x16x16_f16 v[137:144], v[97:104], v[129:136], v[137:144]
	v_mbcnt_lo_u32_b32 v97, -1, 0
	s_waitcnt vmcnt(26)
	v_wmma_f32_16x16x16_f16 v[121:128], v[105:112], v[129:136], v[121:128]
	v_add_nc_u32_e32 v98, s12, v89
	ds_load_b128 v[89:92], v169 offset:14336
	ds_load_b128 v[93:96], v169 offset:15360
	v_xor_b32_e32 v99, 16, v97
	s_waitcnt vmcnt(0) lgkmcnt(0)
	s_barrier
	v_or_b32_e32 v98, v98, v75
	buffer_gl0_inv
	v_cmp_gt_i32_e32 vcc_lo, 32, v99
	v_or_b32_e32 v100, 4, v98
	v_or_b32_e32 v101, 22, v98
	;; [unrolled: 1-line block ×4, first 2 shown]
	v_wmma_f32_16x16x16_f16 v[137:144], v[113:120], v[81:88], v[137:144]
	v_wmma_f32_16x16x16_f16 v[121:128], v[145:152], v[81:88], v[121:128]
	v_or_b32_e32 v81, 6, v98
	v_or_b32_e32 v82, 8, v98
	;; [unrolled: 1-line block ×3, first 2 shown]
	v_cmp_gt_i32_e64 s3, s17, v100
	v_or_b32_e32 v84, 12, v98
	v_wmma_f32_16x16x16_f16 v[137:144], v[153:160], v[89:96], v[137:144]
	v_wmma_f32_16x16x16_f16 v[121:128], v[161:168], v[89:96], v[121:128]
	v_cndmask_b32_e32 v97, v97, v99, vcc_lo
	v_or_b32_e32 v99, 2, v98
	v_cmp_gt_i32_e32 vcc_lo, s17, v98
	v_dual_mul_f32 v95, s18, v138 :: v_dual_mul_f32 v96, s18, v137
	v_mul_f32_e32 v93, s18, v140
	s_delay_alu instid0(VALU_DEP_4)
	v_cmp_gt_i32_e64 s2, s17, v99
	v_mul_f32_e32 v94, s18, v139
	v_mul_f32_e32 v108, s18, v126
	v_cndmask_b32_e32 v96, 0xff7fffff, v96, vcc_lo
	v_cmp_gt_i32_e64 s4, s17, v81
	v_cndmask_b32_e64 v95, 0xff7fffff, v95, s2
	v_or_b32_e32 v85, 14, v98
	v_dual_mul_f32 v91, s18, v142 :: v_dual_mul_f32 v110, s18, v124
	v_mul_f32_e32 v92, s18, v141
	v_cndmask_b32_e64 v94, 0xff7fffff, v94, s3
	v_cndmask_b32_e64 v81, 0xff7fffff, v93, s4
	v_max3_f32 v93, v96, 0xff7fffff, v95
	v_cmp_gt_i32_e64 s5, s17, v82
	v_cmp_gt_i32_e64 s6, s17, v83
	v_or_b32_e32 v86, 16, v98
	v_or_b32_e32 v87, 18, v98
	v_dual_mul_f32 v89, s18, v144 :: v_dual_mul_f32 v112, s18, v122
	v_mul_f32_e32 v90, s18, v143
	v_cndmask_b32_e64 v82, 0xff7fffff, v92, s5
	v_cndmask_b32_e64 v83, 0xff7fffff, v91, s6
	v_max3_f32 v81, v93, v94, v81
	v_cmp_gt_i32_e64 s7, s17, v84
	v_cmp_gt_i32_e64 s8, s17, v85
	v_or_b32_e32 v88, 20, v98
	v_mul_f32_e32 v113, s18, v121
	v_max3_f32 v81, v81, v82, v83
	v_cndmask_b32_e64 v84, 0xff7fffff, v90, s7
	v_cndmask_b32_e64 v85, 0xff7fffff, v89, s8
	v_cmp_gt_i32_e64 s9, s17, v86
	v_cmp_gt_i32_e64 s10, s17, v87
	v_mul_f32_e32 v111, s18, v123
	v_cmp_gt_i32_e64 s11, s17, v88
	v_max3_f32 v81, v81, v84, v85
	v_cndmask_b32_e64 v82, 0xff7fffff, v113, s9
	v_cndmask_b32_e64 v83, 0xff7fffff, v112, s10
	v_cmp_gt_i32_e64 s12, s17, v101
	v_or_b32_e32 v104, 28, v98
	v_or_b32_e32 v105, 30, v98
	v_mul_f32_e32 v109, s18, v125
	v_cndmask_b32_e64 v84, 0xff7fffff, v111, s11
	v_cndmask_b32_e64 v85, 0xff7fffff, v110, s12
	v_max3_f32 v81, v81, v82, v83
	v_cmp_gt_i32_e64 s13, s17, v102
	v_cmp_gt_i32_e64 s15, s17, v103
	v_dual_mul_f32 v106, s18, v128 :: v_dual_mul_f32 v107, s18, v127
	s_delay_alu instid0(VALU_DEP_4) | instskip(NEXT) | instid1(VALU_DEP_4)
	v_max3_f32 v81, v81, v84, v85
	v_cndmask_b32_e64 v82, 0xff7fffff, v109, s13
	s_delay_alu instid0(VALU_DEP_4) | instskip(SKIP_2) | instid1(VALU_DEP_3)
	v_cndmask_b32_e64 v83, 0xff7fffff, v108, s15
	v_cmp_gt_i32_e64 s16, s17, v104
	v_cmp_gt_i32_e64 s17, s17, v105
	v_max3_f32 v81, v81, v82, v83
	s_delay_alu instid0(VALU_DEP_3) | instskip(NEXT) | instid1(VALU_DEP_3)
	v_cndmask_b32_e64 v84, 0xff7fffff, v107, s16
	v_cndmask_b32_e64 v85, 0xff7fffff, v106, s17
	v_lshlrev_b32_e32 v83, 2, v97
	s_delay_alu instid0(VALU_DEP_2) | instskip(SKIP_3) | instid1(VALU_DEP_1)
	v_max3_f32 v81, v81, v84, v85
	ds_bpermute_b32 v82, v83, v81
	s_waitcnt lgkmcnt(0)
	v_max_f32_e32 v82, v82, v82
	v_max_f32_e32 v81, v81, v82
	s_delay_alu instid0(VALU_DEP_1)
	v_fma_f32 v82, s18, v137, -v81
	v_fma_f32 v84, s18, v138, -v81
	;; [unrolled: 1-line block ×5, first 2 shown]
	v_mul_f32_e32 v82, 0x3fb8aa3b, v82
	s_delay_alu instid0(VALU_DEP_4) | instskip(NEXT) | instid1(VALU_DEP_3)
	v_dual_mul_f32 v84, 0x3fb8aa3b, v84 :: v_dual_mul_f32 v89, 0x3fb8aa3b, v87
	v_mul_f32_e32 v86, 0x3fb8aa3b, v86
	s_delay_alu instid0(VALU_DEP_3) | instskip(NEXT) | instid1(VALU_DEP_2)
	v_exp_f32_e32 v82, v82
	v_exp_f32_e32 v84, v84
	s_delay_alu instid0(VALU_DEP_2) | instskip(NEXT) | instid1(VALU_DEP_1)
	v_exp_f32_e32 v92, v89
	v_exp_f32_e32 v86, v86
	v_cndmask_b32_e32 v88, 0, v82, vcc_lo
	s_delay_alu instid0(TRANS32_DEP_3)
	v_cndmask_b32_e64 v87, 0, v84, s2
	s_waitcnt_depctr 0xfff
	v_cndmask_b32_e64 v92, 0, v92, s5
	v_cmp_gt_u32_e64 s2, 16, v80
	v_cndmask_b32_e64 v89, 0, v86, s4
	v_add_f32_e32 v84, 0, v88
	s_delay_alu instid0(VALU_DEP_1) | instskip(NEXT) | instid1(VALU_DEP_1)
	v_dual_add_f32 v84, v84, v87 :: v_dual_mul_f32 v85, 0x3fb8aa3b, v85
	v_exp_f32_e32 v85, v85
	s_waitcnt_depctr 0xfff
	v_cndmask_b32_e64 v90, 0, v85, s3
	s_delay_alu instid0(VALU_DEP_1) | instskip(NEXT) | instid1(VALU_DEP_1)
	v_add_f32_e32 v84, v84, v90
	v_add_f32_e32 v84, v84, v89
	v_fma_f32 v82, s18, v142, -v81
	v_fma_f32 v91, s18, v143, -v81
	;; [unrolled: 1-line block ×5, first 2 shown]
	s_delay_alu instid0(VALU_DEP_4) | instskip(SKIP_1) | instid1(VALU_DEP_4)
	v_dual_mul_f32 v82, 0x3fb8aa3b, v82 :: v_dual_mul_f32 v91, 0x3fb8aa3b, v91
	v_fma_f32 v96, s18, v124, -v81
	v_mul_f32_e32 v86, 0x3fb8aa3b, v86
	v_fma_f32 v99, s18, v127, -v81
	s_delay_alu instid0(VALU_DEP_4) | instskip(SKIP_3) | instid1(VALU_DEP_1)
	v_exp_f32_e32 v82, v82
	v_exp_f32_e32 v93, v91
	v_mul_f32_e32 v97, 0x3fb8aa3b, v96
	v_exp_f32_e32 v86, v86
	v_exp_f32_e32 v97, v97
	v_cndmask_b32_e64 v91, 0, v82, s6
	v_dual_add_f32 v82, v84, v92 :: v_dual_mul_f32 v85, 0x3fb8aa3b, v85
	v_fma_f32 v84, s18, v123, -v81
	v_mul_f32_e32 v95, 0x3fb8aa3b, v94
	s_delay_alu instid0(TRANS32_DEP_3) | instskip(NEXT) | instid1(VALU_DEP_4)
	v_cndmask_b32_e64 v94, 0, v93, s7
	v_add_f32_e32 v82, v82, v91
	v_exp_f32_e32 v85, v85
	v_mul_f32_e32 v84, 0x3fb8aa3b, v84
	v_cndmask_b32_e64 v96, 0, v86, s9
	v_exp_f32_e32 v95, v95
	v_add_f32_e32 v82, v82, v94
	v_fma_f32 v86, s18, v126, -v81
	v_exp_f32_e32 v84, v84
	v_cndmask_b32_e64 v97, 0, v97, s12
	s_delay_alu instid0(TRANS32_DEP_3) | instskip(SKIP_2) | instid1(TRANS32_DEP_2)
	v_cndmask_b32_e64 v93, 0, v85, s8
	v_fma_f32 v85, s18, v125, -v81
	v_mul_f32_e32 v86, 0x3fb8aa3b, v86
	v_cndmask_b32_e64 v95, 0, v95, s10
	s_waitcnt_depctr 0xfff
	v_cndmask_b32_e64 v98, 0, v84, s11
	v_mul_f32_e32 v84, 0x3fb8aa3b, v99
	v_fma_f32 v99, s18, v128, -v81
	v_add_f32_e32 v82, v82, v93
	v_mul_f32_e32 v85, 0x3fb8aa3b, v85
	v_exp_f32_e32 v86, v86
	v_exp_f32_e32 v84, v84
	s_delay_alu instid0(VALU_DEP_1)
	v_exp_f32_e32 v85, v85
	s_waitcnt_depctr 0xfff
	v_cndmask_b32_e64 v102, 0, v84, s16
	v_cndmask_b32_e64 v100, 0, v85, s13
	v_dual_mul_f32 v85, 0x3fb8aa3b, v99 :: v_dual_add_f32 v82, v82, v96
	v_cndmask_b32_e64 v99, 0, v86, s15
	s_delay_alu instid0(VALU_DEP_2) | instskip(NEXT) | instid1(VALU_DEP_2)
	v_exp_f32_e32 v85, v85
	v_add_f32_e32 v82, v82, v95
	s_delay_alu instid0(VALU_DEP_1) | instskip(SKIP_3) | instid1(VALU_DEP_1)
	v_add_f32_e32 v82, v82, v98
	s_waitcnt_depctr 0xfff
	v_cndmask_b32_e64 v101, 0, v85, s17
	v_add_f32_e32 v82, v82, v97
	v_add_f32_e32 v82, v82, v100
	s_delay_alu instid0(VALU_DEP_1) | instskip(NEXT) | instid1(VALU_DEP_1)
	v_add_f32_e32 v82, v82, v99
	v_add_f32_e32 v82, v82, v102
	s_delay_alu instid0(VALU_DEP_1)
	v_add_f32_e32 v82, v82, v101
	ds_bpermute_b32 v83, v83, v82
	s_and_saveexec_b32 s3, s2
	s_cbranch_execz .LBB312_14
; %bb.13:
	v_mul_u32_u24_e32 v80, 0x44, v78
	s_waitcnt lgkmcnt(0)
	v_add_f32_e32 v82, v82, v83
	s_delay_alu instid0(VALU_DEP_2) | instskip(NEXT) | instid1(VALU_DEP_1)
	v_lshl_add_u32 v80, v77, 2, v80
	v_add_nc_u32_e32 v80, 0x4000, v80
	ds_store_2addr_b32 v80, v81, v82 offset1:136
.LBB312_14:
	s_or_b32 exec_lo, exec_lo, s3
	v_lshlrev_b32_e32 v80, 2, v77
	s_load_b32 s35, s[0:1], 0x94
	s_waitcnt lgkmcnt(0)
	s_barrier
	buffer_gl0_inv
	v_add_nc_u32_e32 v84, 0x4000, v80
	v_cmp_eq_u32_e32 vcc_lo, 1, v78
	v_cmp_eq_u32_e64 s3, 2, v78
	v_cmp_eq_u32_e64 s4, 3, v78
	;; [unrolled: 1-line block ×3, first 2 shown]
	ds_load_2addr_b32 v[80:81], v84 offset1:17
	ds_load_2addr_b32 v[82:83], v84 offset0:34 offset1:51
	ds_load_2addr_b32 v[103:104], v84 offset0:68 offset1:85
	ds_load_2addr_b32 v[105:106], v84 offset0:102 offset1:119
	v_cmp_eq_u32_e64 s6, 7, v78
	s_waitcnt lgkmcnt(3)
	v_max3_f32 v85, v80, 0xff7fffff, v81
	s_waitcnt lgkmcnt(2)
	s_delay_alu instid0(VALU_DEP_1) | instskip(SKIP_1) | instid1(VALU_DEP_1)
	v_max3_f32 v85, v85, v82, v83
	s_waitcnt lgkmcnt(1)
	v_max3_f32 v85, v85, v103, v104
	s_waitcnt lgkmcnt(0)
	s_delay_alu instid0(VALU_DEP_1) | instskip(NEXT) | instid1(VALU_DEP_1)
	v_max3_f32 v85, v85, v105, v106
	v_sub_f32_e32 v103, v103, v85
	ds_load_2addr_b32 v[107:108], v84 offset0:136 offset1:153
	v_sub_f32_e32 v80, v80, v85
	v_dual_sub_f32 v110, v83, v85 :: v_dual_mul_f32 v113, 0x3fb8aa3b, v103
	s_delay_alu instid0(VALU_DEP_2) | instskip(SKIP_3) | instid1(VALU_DEP_1)
	v_dual_sub_f32 v86, v81, v85 :: v_dual_mul_f32 v109, 0x3fb8aa3b, v80
	ds_load_2addr_b32 v[80:81], v84 offset0:170 offset1:187
	v_mul_f32_e32 v86, 0x3fb8aa3b, v86
	v_exp_f32_e32 v109, v109
	v_exp_f32_e32 v112, v86
	v_mul_f32_e32 v110, 0x3fb8aa3b, v110
	s_waitcnt lgkmcnt(1)
	s_waitcnt_depctr 0xfff
	v_fma_f32 v86, v109, v107, 0
	v_sub_f32_e32 v107, v104, v85
	v_sub_f32_e32 v82, v82, v85
	v_exp_f32_e32 v110, v110
	ds_load_2addr_b32 v[103:104], v84 offset0:238 offset1:255
	v_dual_fmac_f32 v86, v112, v108 :: v_dual_mul_f32 v111, 0x3fb8aa3b, v82
	ds_load_2addr_b32 v[82:83], v84 offset0:204 offset1:221
	v_dual_sub_f32 v84, v105, v85 :: v_dual_mul_f32 v105, 0x3fb8aa3b, v107
	v_exp_f32_e32 v107, v113
	v_exp_f32_e32 v111, v111
	s_waitcnt lgkmcnt(0)
	s_delay_alu instid0(VALU_DEP_1)
	v_mul_f32_e32 v84, 0x3fb8aa3b, v84
	v_exp_f32_e32 v105, v105
	s_barrier
	buffer_gl0_inv
	v_fmac_f32_e32 v86, v111, v80
	v_sub_f32_e32 v80, v106, v85
	v_exp_f32_e32 v106, v84
	s_delay_alu instid0(VALU_DEP_2) | instskip(NEXT) | instid1(VALU_DEP_2)
	v_fmac_f32_e32 v86, v110, v81
	v_mul_f32_e32 v80, 0x3fb8aa3b, v80
	s_delay_alu instid0(VALU_DEP_2) | instskip(NEXT) | instid1(VALU_DEP_2)
	v_dual_cndmask_b32 v81, v109, v112 :: v_dual_fmac_f32 v86, v107, v82
	v_exp_f32_e32 v108, v80
	s_delay_alu instid0(VALU_DEP_1) | instskip(SKIP_2) | instid1(VALU_DEP_1)
	v_fmac_f32_e32 v86, v105, v83
	s_waitcnt_depctr 0xfff
	v_fmac_f32_e32 v86, v106, v103
	v_fmac_f32_e32 v86, v108, v104
	s_delay_alu instid0(VALU_DEP_1) | instskip(NEXT) | instid1(VALU_DEP_1)
	v_add_f32_e32 v103, 0x358637bd, v86
	v_div_scale_f32 v104, null, v103, v103, 1.0
	v_div_scale_f32 v109, vcc_lo, 1.0, v103, 1.0
	s_delay_alu instid0(VALU_DEP_2) | instskip(SKIP_2) | instid1(VALU_DEP_1)
	v_rcp_f32_e32 v113, v104
	s_waitcnt_depctr 0xfff
	v_fma_f32 v80, -v104, v113, 1.0
	v_fmac_f32_e32 v113, v80, v113
	v_cndmask_b32_e64 v80, v81, v111, s3
	v_cmp_eq_u32_e64 s3, 4, v78
	v_lshl_or_b32 v81, v78, 11, v79
	s_delay_alu instid0(VALU_DEP_4) | instskip(NEXT) | instid1(VALU_DEP_4)
	v_mul_f32_e32 v111, v109, v113
	v_cndmask_b32_e64 v82, v80, v110, s4
	v_cmp_eq_u32_e64 s4, 6, v78
	s_delay_alu instid0(VALU_DEP_4) | instskip(SKIP_3) | instid1(VALU_DEP_3)
	v_lshl_or_b32 v78, v75, 4, v81
	v_lshlrev_b32_e32 v80, 2, v75
	v_fma_f32 v83, -v104, v111, v109
	v_cndmask_b32_e64 v84, v82, v107, s3
	v_or_b32_e32 v82, 1, v80
	s_delay_alu instid0(VALU_DEP_3) | instskip(NEXT) | instid1(VALU_DEP_3)
	v_fmac_f32_e32 v111, v83, v113
	v_cndmask_b32_e64 v105, v84, v105, s5
	v_or_b32_e32 v84, 2, v80
	v_or_b32_e32 v83, 3, v80
	v_cmp_eq_u32_e64 s3, 1, v80
	v_fma_f32 v104, -v104, v111, v109
	v_cndmask_b32_e64 v105, v105, v106, s4
	v_cmp_eq_u32_e64 s9, 1, v82
	v_cmp_eq_u32_e64 s10, 1, v84
	;; [unrolled: 1-line block ×3, first 2 shown]
	v_div_fmas_f32 v104, v104, v113, v111
	v_cndmask_b32_e64 v105, v105, v108, s6
	v_cmp_eq_u32_e32 vcc_lo, 2, v80
	v_cmp_eq_u32_e64 s12, 2, v82
	v_cmp_eq_u32_e64 s15, 2, v84
	v_div_fixup_f32 v103, v104, v103, 1.0
	v_cmp_eq_u32_e64 s16, 2, v83
	v_cmp_eq_u32_e64 s18, 3, v83
	v_cmp_eq_u32_e64 s4, 3, v80
	v_cmp_eq_u32_e64 s13, 3, v82
	v_mul_f32_e32 v111, v105, v103
	v_cmp_eq_u32_e64 s17, 3, v84
	v_cmp_eq_u32_e64 s22, 4, v83
	;; [unrolled: 1-line block ×4, first 2 shown]
	v_fma_mixlo_f16 v103, v111, v88, 0
	v_fma_mixlo_f16 v104, v111, v90, 0
	;; [unrolled: 1-line block ×8, first 2 shown]
	v_fma_mixhi_f16 v103, v111, v87, 0
	v_fma_mixhi_f16 v104, v111, v89, 0
	;; [unrolled: 1-line block ×8, first 2 shown]
	ds_store_b128 v78, v[103:106]
	ds_store_b128 v78, v[107:110] offset:1024
	s_waitcnt lgkmcnt(0)
	s_barrier
	buffer_gl0_inv
	ds_load_b128 v[87:90], v81
	ds_load_b128 v[91:94], v81 offset:16
	ds_load_b128 v[95:98], v81 offset:1024
	;; [unrolled: 1-line block ×3, first 2 shown]
	v_cmp_eq_u32_e64 s21, 4, v84
	v_cmp_eq_u32_e64 s24, 5, v83
	;; [unrolled: 1-line block ×13, first 2 shown]
	s_waitcnt lgkmcnt(3)
	v_lshrrev_b32_e32 v103, 16, v87
	s_waitcnt lgkmcnt(2)
	v_lshrrev_b32_e32 v107, 16, v91
	;; [unrolled: 2-line block ×4, first 2 shown]
	v_lshrrev_b32_e32 v104, 16, v88
	v_cndmask_b32_e64 v119, v87, v103, s3
	v_cndmask_b32_e64 v120, v91, v107, s3
	;; [unrolled: 1-line block ×8, first 2 shown]
	v_lshrrev_b32_e32 v108, 16, v92
	v_cndmask_b32_e64 v103, v95, v111, s3
	v_cndmask_b32_e64 v107, v99, v115, s3
	v_cndmask_b32_e64 v125, v95, v111, s9
	v_cndmask_b32_e64 v127, v95, v111, s10
	v_cndmask_b32_e64 v95, v95, v111, s11
	v_cndmask_b32_e32 v111, v119, v88, vcc_lo
	v_cndmask_b32_e64 v119, v121, v88, s12
	v_cndmask_b32_e64 v121, v123, v88, s15
	;; [unrolled: 1-line block ×4, first 2 shown]
	v_lshrrev_b32_e32 v112, 16, v96
	v_lshrrev_b32_e32 v116, 16, v100
	v_cndmask_b32_e64 v126, v99, v115, s9
	v_cndmask_b32_e64 v128, v99, v115, s10
	;; [unrolled: 1-line block ×3, first 2 shown]
	v_cndmask_b32_e32 v115, v120, v92, vcc_lo
	v_cndmask_b32_e64 v120, v122, v92, s12
	v_cndmask_b32_e64 v122, v124, v92, s15
	v_cndmask_b32_e32 v91, v103, v96, vcc_lo
	v_cndmask_b32_e32 v92, v107, v100, vcc_lo
	v_cndmask_b32_e64 v103, v125, v96, s12
	v_cndmask_b32_e64 v87, v87, v104, s18
	v_cndmask_b32_e64 v88, v88, v108, s18
	v_lshrrev_b32_e32 v105, 16, v89
	v_lshrrev_b32_e32 v109, 16, v93
	v_cndmask_b32_e64 v107, v127, v96, s15
	v_cndmask_b32_e64 v95, v95, v96, s16
	;; [unrolled: 1-line block ×14, first 2 shown]
	v_lshrrev_b32_e32 v113, 16, v97
	v_cndmask_b32_e64 v99, v99, v89, s5
	v_cndmask_b32_e64 v104, v111, v93, s5
	;; [unrolled: 1-line block ×11, first 2 shown]
	v_lshrrev_b32_e32 v106, 16, v90
	v_lshrrev_b32_e32 v110, 16, v94
	v_cndmask_b32_e64 v93, v99, v105, s6
	v_cndmask_b32_e64 v99, v104, v109, s6
	;; [unrolled: 1-line block ×9, first 2 shown]
	v_lshrrev_b32_e32 v114, 16, v98
	v_cndmask_b32_e64 v89, v89, v113, s6
	v_cndmask_b32_e64 v93, v93, v90, s7
	v_cndmask_b32_e64 v99, v99, v94, s7
	v_cndmask_b32_e64 v103, v103, v90, s25
	v_cndmask_b32_e64 v104, v104, v94, s25
	v_cndmask_b32_e64 v105, v108, v90, s26
	v_cndmask_b32_e64 v108, v111, v94, s26
	v_cndmask_b32_e64 v90, v92, v98, s25
	v_cndmask_b32_e64 v87, v87, v106, s29
	v_cndmask_b32_e64 v88, v88, v110, s29
	v_cndmask_b32_e64 v123, v128, v100, s15
	v_cndmask_b32_e64 v89, v89, v98, s7
	v_cndmask_b32_e64 v92, v93, v106, s8
	v_cndmask_b32_e64 v93, v99, v110, s8
	v_cndmask_b32_e64 v94, v103, v106, s30
	v_cndmask_b32_e64 v99, v105, v106, s28
	v_cndmask_b32_e64 v103, v108, v110, s28
	v_cndmask_b32_e64 v104, v104, v110, s30
	v_cndmask_b32_e64 v106, v90, v114, s30
	v_perm_b32 v90, v88, v87, 0x5040100
	v_cndmask_b32_e64 v87, v126, v100, s12
	v_cndmask_b32_e64 v105, v89, v114, s8
	v_perm_b32 v89, v103, v99, 0x5040100
	v_perm_b32 v88, v104, v94, 0x5040100
	v_cndmask_b32_e64 v94, v107, v112, s17
	v_cndmask_b32_e64 v95, v95, v112, s18
	;; [unrolled: 1-line block ×5, first 2 shown]
	v_lshrrev_b32_e32 v117, 16, v101
	v_cndmask_b32_e64 v94, v94, v97, s21
	v_cndmask_b32_e64 v95, v95, v97, s22
	;; [unrolled: 1-line block ×11, first 2 shown]
	v_lshrrev_b32_e32 v118, 16, v102
	v_cndmask_b32_e64 v91, v91, v102, s7
	v_cndmask_b32_e64 v94, v94, v98, s26
	;; [unrolled: 1-line block ×12, first 2 shown]
	v_perm_b32 v87, v93, v92, 0x5040100
	v_perm_b32 v94, v95, v94, 0x5040100
	;; [unrolled: 1-line block ×5, first 2 shown]
	s_mul_i32 s7, s33, 7
	s_mov_b32 s3, exec_lo
	ds_store_b128 v78, v[87:90]
	ds_store_b128 v78, v[91:94] offset:1024
	v_cmpx_gt_u32_e32 7, v0
	s_cbranch_execz .LBB312_16
; %bb.15:
	s_mul_i32 s4, s7, s34
	s_load_b128 s[8:11], s[0:1], 0x58
	v_add3_u32 v77, s4, s31, v77
	s_delay_alu instid0(VALU_DEP_1) | instskip(NEXT) | instid1(VALU_DEP_1)
	v_mad_u64_u32 v[87:88], null, v77, s35, s[14:15]
	v_ashrrev_i32_e32 v88, 31, v87
	s_delay_alu instid0(VALU_DEP_1) | instskip(SKIP_1) | instid1(VALU_DEP_1)
	v_lshlrev_b64 v[87:88], 2, v[87:88]
	s_waitcnt lgkmcnt(0)
	v_add_co_u32 v89, vcc_lo, s10, v87
	s_delay_alu instid0(VALU_DEP_2)
	v_add_co_ci_u32_e32 v90, vcc_lo, s11, v88, vcc_lo
	v_add_co_u32 v87, vcc_lo, s8, v87
	v_add_co_ci_u32_e32 v88, vcc_lo, s9, v88, vcc_lo
	global_store_b32 v[89:90], v85, off
	global_store_b32 v[87:88], v86, off
.LBB312_16:
	s_or_b32 exec_lo, exec_lo, s3
	s_waitcnt lgkmcnt(0)
	s_waitcnt_vscnt null, 0x0
	s_barrier
	buffer_gl0_inv
	ds_load_b128 v[93:96], v79
	ds_load_b128 v[97:100], v79 offset:16
	ds_load_b128 v[105:108], v79 offset:1040
	;; [unrolled: 1-line block ×5, first 2 shown]
	v_cmp_eq_u32_e32 vcc_lo, 1, v84
	v_mov_b32_e32 v85, 0
	ds_load_b128 v[121:124], v79 offset:3088
	ds_load_b128 v[117:120], v79 offset:3072
	;; [unrolled: 1-line block ×4, first 2 shown]
	v_cmp_eq_u32_e64 s3, 1, v80
	v_cmp_eq_u32_e64 s4, 1, v83
	v_cmp_eq_u32_e64 s5, 1, v82
	v_mov_b32_e32 v86, v85
	v_mov_b32_e32 v87, v85
	;; [unrolled: 1-line block ×7, first 2 shown]
	v_cmp_eq_u32_e64 s6, 2, v80
	s_waitcnt lgkmcnt(8)
	s_delay_alu instid0(VALU_DEP_2)
	v_wmma_f32_16x16x16_f16 v[85:92], v[65:72], v[93:100], v[85:92]
	ds_load_b128 v[69:72], v79 offset:5136
	ds_load_b128 v[65:68], v79 offset:5120
	;; [unrolled: 1-line block ×4, first 2 shown]
	s_waitcnt lgkmcnt(10)
	v_wmma_f32_16x16x16_f16 v[85:92], v[57:64], v[101:108], v[85:92]
	s_waitcnt lgkmcnt(8)
	s_delay_alu instid0(VALU_DEP_1)
	v_wmma_f32_16x16x16_f16 v[85:92], v[57:64], v[109:116], v[85:92]
	ds_load_b128 v[61:64], v79 offset:7184
	ds_load_b128 v[57:60], v79 offset:7168
	;; [unrolled: 1-line block ×4, first 2 shown]
	s_waitcnt lgkmcnt(10)
	v_wmma_f32_16x16x16_f16 v[85:92], v[49:56], v[117:124], v[85:92]
	s_waitcnt lgkmcnt(8)
	s_delay_alu instid0(VALU_DEP_1)
	v_wmma_f32_16x16x16_f16 v[85:92], v[49:56], v[125:132], v[85:92]
	ds_load_b128 v[53:56], v79 offset:9232
	ds_load_b128 v[49:52], v79 offset:9216
	s_waitcnt lgkmcnt(8)
	v_wmma_f32_16x16x16_f16 v[85:92], v[41:48], v[65:72], v[85:92]
	ds_load_b128 v[69:72], v79 offset:10256
	ds_load_b128 v[65:68], v79 offset:10240
	s_waitcnt lgkmcnt(8)
	;; [unrolled: 4-line block ×7, first 2 shown]
	s_barrier
	buffer_gl0_inv
	v_wmma_f32_16x16x16_f16 v[85:92], v[33:40], v[41:48], v[85:92]
	s_delay_alu instid0(VALU_DEP_1) | instskip(NEXT) | instid1(VALU_DEP_1)
	v_wmma_f32_16x16x16_f16 v[85:92], v[33:40], v[57:64], v[85:92]
	v_wmma_f32_16x16x16_f16 v[85:92], v[25:32], v[9:16], v[85:92]
	s_delay_alu instid0(VALU_DEP_1) | instskip(NEXT) | instid1(VALU_DEP_1)
	v_wmma_f32_16x16x16_f16 v[85:92], v[25:32], v[49:56], v[85:92]
	v_wmma_f32_16x16x16_f16 v[85:92], v[17:24], v[1:8], v[85:92]
	s_delay_alu instid0(VALU_DEP_1) | instskip(NEXT) | instid1(VALU_DEP_2)
	v_cvt_f16_f32_e32 v1, v85
	v_cvt_f16_f32_e32 v2, v86
	s_delay_alu instid0(VALU_DEP_3) | instskip(NEXT) | instid1(VALU_DEP_4)
	v_cvt_f16_f32_e32 v3, v87
	v_cvt_f16_f32_e32 v4, v88
	;; [unrolled: 1-line block ×6, first 2 shown]
	v_pack_b32_f16 v1, v1, v2
	v_pack_b32_f16 v2, v3, v4
	;; [unrolled: 1-line block ×3, first 2 shown]
	s_delay_alu instid0(VALU_DEP_4)
	v_pack_b32_f16 v4, v7, v8
	ds_store_b128 v78, v[1:4]
	s_waitcnt lgkmcnt(0)
	s_barrier
	buffer_gl0_inv
	ds_load_b128 v[1:4], v81
	ds_load_b128 v[5:8], v81 offset:16
	s_waitcnt lgkmcnt(1)
	v_lshrrev_b32_e32 v9, 16, v1
	s_waitcnt lgkmcnt(0)
	v_lshrrev_b32_e32 v13, 16, v5
	v_lshrrev_b32_e32 v15, 16, v7
	;; [unrolled: 1-line block ×4, first 2 shown]
	v_cndmask_b32_e64 v17, v1, v9, s3
	v_cndmask_b32_e64 v18, v5, v13, s3
	;; [unrolled: 1-line block ×3, first 2 shown]
	v_cmp_eq_u32_e64 s3, 2, v82
	v_cndmask_b32_e64 v20, v5, v13, s5
	v_cndmask_b32_e32 v21, v1, v9, vcc_lo
	v_cndmask_b32_e32 v22, v5, v13, vcc_lo
	v_cndmask_b32_e64 v1, v1, v9, s4
	v_cndmask_b32_e64 v5, v5, v13, s4
	v_cmp_eq_u32_e32 vcc_lo, 2, v84
	v_cmp_eq_u32_e64 s4, 2, v83
	v_cndmask_b32_e64 v9, v17, v2, s6
	v_cndmask_b32_e64 v13, v18, v6, s6
	;; [unrolled: 1-line block ×4, first 2 shown]
	v_cndmask_b32_e32 v19, v21, v2, vcc_lo
	v_cmp_eq_u32_e64 s3, 3, v84
	v_cndmask_b32_e32 v20, v22, v6, vcc_lo
	v_cndmask_b32_e64 v1, v1, v2, s4
	v_cmp_eq_u32_e32 vcc_lo, 3, v83
	v_cmp_eq_u32_e64 s5, 3, v80
	v_cndmask_b32_e64 v2, v5, v6, s4
	v_cmp_eq_u32_e64 s4, 3, v82
	v_lshrrev_b32_e32 v16, 16, v8
	v_cmp_eq_u32_e64 s6, 4, v80
	v_cndmask_b32_e64 v5, v9, v10, s5
	v_cndmask_b32_e64 v6, v13, v14, s5
	;; [unrolled: 1-line block ×3, first 2 shown]
	v_cmp_eq_u32_e64 s5, 4, v82
	v_cndmask_b32_e64 v13, v18, v14, s4
	v_cndmask_b32_e64 v17, v19, v10, s3
	;; [unrolled: 1-line block ×3, first 2 shown]
	v_cndmask_b32_e32 v1, v1, v10, vcc_lo
	v_cndmask_b32_e32 v2, v2, v14, vcc_lo
	v_cmp_eq_u32_e32 vcc_lo, 4, v84
	v_cmp_eq_u32_e64 s4, 4, v83
	v_lshrrev_b32_e32 v11, 16, v3
	v_cndmask_b32_e64 v5, v5, v3, s6
	v_cndmask_b32_e64 v6, v6, v7, s6
	;; [unrolled: 1-line block ×4, first 2 shown]
	v_cndmask_b32_e32 v13, v17, v3, vcc_lo
	v_cmp_eq_u32_e64 s3, 5, v84
	v_cndmask_b32_e32 v14, v18, v7, vcc_lo
	v_cndmask_b32_e64 v1, v1, v3, s4
	v_cmp_eq_u32_e32 vcc_lo, 5, v83
	v_cmp_eq_u32_e64 s5, 5, v80
	v_cndmask_b32_e64 v2, v2, v7, s4
	v_cmp_eq_u32_e64 s4, 5, v82
	v_cmp_eq_u32_e64 s6, 6, v80
	v_cndmask_b32_e32 v1, v1, v11, vcc_lo
	v_cndmask_b32_e64 v3, v5, v11, s5
	v_cndmask_b32_e64 v5, v6, v15, s5
	;; [unrolled: 1-line block ×3, first 2 shown]
	v_cmp_eq_u32_e64 s5, 6, v82
	v_cndmask_b32_e64 v7, v10, v15, s4
	v_cndmask_b32_e64 v9, v13, v11, s3
	;; [unrolled: 1-line block ×3, first 2 shown]
	v_cndmask_b32_e32 v2, v2, v15, vcc_lo
	v_cmp_eq_u32_e32 vcc_lo, 6, v84
	v_cmp_eq_u32_e64 s3, 6, v83
	v_lshrrev_b32_e32 v12, 16, v4
	v_cndmask_b32_e64 v3, v3, v4, s6
	v_cndmask_b32_e64 v5, v5, v8, s6
	;; [unrolled: 1-line block ×4, first 2 shown]
	v_cndmask_b32_e32 v9, v9, v4, vcc_lo
	v_cmp_eq_u32_e64 s4, 7, v84
	v_cndmask_b32_e32 v10, v10, v8, vcc_lo
	v_cndmask_b32_e64 v1, v1, v4, s3
	v_cmp_eq_u32_e32 vcc_lo, 7, v83
	v_cndmask_b32_e64 v2, v2, v8, s3
	v_cmp_eq_u32_e64 s3, 7, v80
	v_cmp_eq_u32_e64 s5, 7, v82
	v_cndmask_b32_e32 v1, v1, v12, vcc_lo
	s_delay_alu instid0(VALU_DEP_4) | instskip(NEXT) | instid1(VALU_DEP_4)
	v_cndmask_b32_e32 v2, v2, v16, vcc_lo
	v_cndmask_b32_e64 v8, v3, v12, s3
	s_delay_alu instid0(VALU_DEP_4)
	v_cndmask_b32_e64 v6, v6, v12, s5
	v_cndmask_b32_e64 v3, v9, v12, s4
	;; [unrolled: 1-line block ×5, first 2 shown]
	v_perm_b32 v4, v2, v1, 0x5040100
	s_mov_b32 s3, exec_lo
	v_perm_b32 v3, v9, v3, 0x5040100
	v_perm_b32 v2, v7, v6, 0x5040100
	;; [unrolled: 1-line block ×3, first 2 shown]
	ds_store_b128 v78, v[1:4]
	s_waitcnt lgkmcnt(0)
	s_barrier
	buffer_gl0_inv
	v_cmpx_gt_u32_e32 32, v0
	s_cbranch_execz .LBB312_2
; %bb.17:
	s_load_b64 s[4:5], s[0:1], 0x68
	v_lshlrev_b32_e32 v0, 10, v0
	v_add_nc_u32_e32 v2, s31, v75
	v_lshlrev_b32_e32 v3, 4, v76
	s_lshl_b32 s0, s35, 7
	s_delay_alu instid0(SALU_CYCLE_1) | instskip(NEXT) | instid1(VALU_DEP_2)
	s_mul_i32 s1, s0, s34
	v_mul_lo_u32 v1, v2, s0
	s_delay_alu instid0(VALU_DEP_2)
	v_and_or_b32 v0, 0x3800, v0, v3
	v_add_nc_u32_e32 v3, 2, v2
	s_mul_i32 s6, s1, s7
	v_add_nc_u32_e32 v4, 4, v2
	s_ashr_i32 s7, s6, 31
	v_lshl_or_b32 v11, v75, 6, v0
	s_lshl_b64 s[6:7], s[6:7], 1
	v_mul_lo_u32 v15, v3, s0
	v_mul_lo_u32 v17, v4, s0
	v_ashrrev_i32_e32 v2, 31, v1
	ds_load_b128 v[3:6], v11
	ds_load_b128 v[7:10], v11 offset:128
	ds_load_b128 v[11:14], v11 offset:256
	s_waitcnt lgkmcnt(0)
	s_add_u32 s1, s4, s6
	s_addc_u32 s3, s5, s7
	s_lshl_b32 s4, s14, 7
	v_ashrrev_i32_e32 v16, 31, v15
	s_ashr_i32 s5, s4, 31
	v_lshlrev_b64 v[19:20], 1, v[1:2]
	s_lshl_b64 s[4:5], s[4:5], 1
	v_ashrrev_i32_e32 v18, 31, v17
	s_add_u32 s1, s1, s4
	s_addc_u32 s3, s3, s5
	v_add_co_u32 v1, vcc_lo, s1, v73
	v_add_co_ci_u32_e32 v2, vcc_lo, s3, v74, vcc_lo
	v_lshlrev_b64 v[15:16], 1, v[15:16]
	s_delay_alu instid0(VALU_DEP_3) | instskip(SKIP_1) | instid1(VALU_DEP_4)
	v_add_co_u32 v19, vcc_lo, v1, v19
	v_lshlrev_b64 v[17:18], 1, v[17:18]
	v_add_co_ci_u32_e32 v20, vcc_lo, v2, v20, vcc_lo
	s_delay_alu instid0(VALU_DEP_4) | instskip(SKIP_1) | instid1(VALU_DEP_4)
	v_add_co_u32 v15, vcc_lo, v1, v15
	v_add_co_ci_u32_e32 v16, vcc_lo, v2, v16, vcc_lo
	v_add_co_u32 v17, vcc_lo, v1, v17
	v_add_co_ci_u32_e32 v18, vcc_lo, v2, v18, vcc_lo
	s_clause 0x2
	global_store_b128 v[19:20], v[3:6], off
	global_store_b128 v[15:16], v[7:10], off
	global_store_b128 v[17:18], v[11:14], off
	s_and_b32 exec_lo, exec_lo, s2
	s_cbranch_execz .LBB312_2
; %bb.18:
	ds_load_b128 v[3:6], v0 offset:384
	s_add_i32 s1, s31, 6
	s_delay_alu instid0(SALU_CYCLE_1) | instskip(NEXT) | instid1(SALU_CYCLE_1)
	s_mul_i32 s0, s1, s0
	s_ashr_i32 s1, s0, 31
	s_delay_alu instid0(SALU_CYCLE_1) | instskip(NEXT) | instid1(SALU_CYCLE_1)
	s_lshl_b64 s[0:1], s[0:1], 1
	v_add_co_u32 v0, vcc_lo, v1, s0
	v_add_co_ci_u32_e32 v1, vcc_lo, s1, v2, vcc_lo
	s_waitcnt lgkmcnt(0)
	global_store_b128 v[0:1], v[3:6], off
	s_nop 0
	s_sendmsg sendmsg(MSG_DEALLOC_VGPRS)
	s_endpgm
	.section	.rodata,"a",@progbits
	.p2align	6, 0x0
	.amdhsa_kernel _Z39paged_attention_ll4mi_QKV_mfma16_kernelIDF16_DF16_LN4vllm18Fp8KVCacheDataTypeE0EhLi32ELi128ELi256ELb1ELi7EL8MFMAType0EEvPKT_PKT0_S8_ifPKiSA_SA_iPKfiiiPfSD_PS3_PT2_iSC_SC_
		.amdhsa_group_segment_fixed_size 17472
		.amdhsa_private_segment_fixed_size 0
		.amdhsa_kernarg_size 400
		.amdhsa_user_sgpr_count 13
		.amdhsa_user_sgpr_dispatch_ptr 0
		.amdhsa_user_sgpr_queue_ptr 0
		.amdhsa_user_sgpr_kernarg_segment_ptr 1
		.amdhsa_user_sgpr_dispatch_id 0
		.amdhsa_user_sgpr_private_segment_size 0
		.amdhsa_wavefront_size32 1
		.amdhsa_uses_dynamic_stack 0
		.amdhsa_enable_private_segment 0
		.amdhsa_system_sgpr_workgroup_id_x 1
		.amdhsa_system_sgpr_workgroup_id_y 1
		.amdhsa_system_sgpr_workgroup_id_z 1
		.amdhsa_system_sgpr_workgroup_info 0
		.amdhsa_system_vgpr_workitem_id 0
		.amdhsa_next_free_vgpr 172
		.amdhsa_next_free_sgpr 39
		.amdhsa_reserve_vcc 1
		.amdhsa_float_round_mode_32 0
		.amdhsa_float_round_mode_16_64 0
		.amdhsa_float_denorm_mode_32 3
		.amdhsa_float_denorm_mode_16_64 3
		.amdhsa_dx10_clamp 1
		.amdhsa_ieee_mode 1
		.amdhsa_fp16_overflow 0
		.amdhsa_workgroup_processor_mode 1
		.amdhsa_memory_ordered 1
		.amdhsa_forward_progress 0
		.amdhsa_shared_vgpr_count 0
		.amdhsa_exception_fp_ieee_invalid_op 0
		.amdhsa_exception_fp_denorm_src 0
		.amdhsa_exception_fp_ieee_div_zero 0
		.amdhsa_exception_fp_ieee_overflow 0
		.amdhsa_exception_fp_ieee_underflow 0
		.amdhsa_exception_fp_ieee_inexact 0
		.amdhsa_exception_int_div_zero 0
	.end_amdhsa_kernel
	.section	.text._Z39paged_attention_ll4mi_QKV_mfma16_kernelIDF16_DF16_LN4vllm18Fp8KVCacheDataTypeE0EhLi32ELi128ELi256ELb1ELi7EL8MFMAType0EEvPKT_PKT0_S8_ifPKiSA_SA_iPKfiiiPfSD_PS3_PT2_iSC_SC_,"axG",@progbits,_Z39paged_attention_ll4mi_QKV_mfma16_kernelIDF16_DF16_LN4vllm18Fp8KVCacheDataTypeE0EhLi32ELi128ELi256ELb1ELi7EL8MFMAType0EEvPKT_PKT0_S8_ifPKiSA_SA_iPKfiiiPfSD_PS3_PT2_iSC_SC_,comdat
.Lfunc_end312:
	.size	_Z39paged_attention_ll4mi_QKV_mfma16_kernelIDF16_DF16_LN4vllm18Fp8KVCacheDataTypeE0EhLi32ELi128ELi256ELb1ELi7EL8MFMAType0EEvPKT_PKT0_S8_ifPKiSA_SA_iPKfiiiPfSD_PS3_PT2_iSC_SC_, .Lfunc_end312-_Z39paged_attention_ll4mi_QKV_mfma16_kernelIDF16_DF16_LN4vllm18Fp8KVCacheDataTypeE0EhLi32ELi128ELi256ELb1ELi7EL8MFMAType0EEvPKT_PKT0_S8_ifPKiSA_SA_iPKfiiiPfSD_PS3_PT2_iSC_SC_
                                        ; -- End function
	.section	.AMDGPU.csdata,"",@progbits
; Kernel info:
; codeLenInByte = 7564
; NumSgprs: 41
; NumVgprs: 172
; ScratchSize: 0
; MemoryBound: 0
; FloatMode: 240
; IeeeMode: 1
; LDSByteSize: 17472 bytes/workgroup (compile time only)
; SGPRBlocks: 5
; VGPRBlocks: 21
; NumSGPRsForWavesPerEU: 41
; NumVGPRsForWavesPerEU: 172
; Occupancy: 8
; WaveLimiterHint : 1
; COMPUTE_PGM_RSRC2:SCRATCH_EN: 0
; COMPUTE_PGM_RSRC2:USER_SGPR: 13
; COMPUTE_PGM_RSRC2:TRAP_HANDLER: 0
; COMPUTE_PGM_RSRC2:TGID_X_EN: 1
; COMPUTE_PGM_RSRC2:TGID_Y_EN: 1
; COMPUTE_PGM_RSRC2:TGID_Z_EN: 1
; COMPUTE_PGM_RSRC2:TIDIG_COMP_CNT: 0
	.section	.text._Z39paged_attention_ll4mi_QKV_mfma16_kernelIDF16_DF16_LN4vllm18Fp8KVCacheDataTypeE0EhLi32ELi128ELi256ELb1ELi8EL8MFMAType0EEvPKT_PKT0_S8_ifPKiSA_SA_iPKfiiiPfSD_PS3_PT2_iSC_SC_,"axG",@progbits,_Z39paged_attention_ll4mi_QKV_mfma16_kernelIDF16_DF16_LN4vllm18Fp8KVCacheDataTypeE0EhLi32ELi128ELi256ELb1ELi8EL8MFMAType0EEvPKT_PKT0_S8_ifPKiSA_SA_iPKfiiiPfSD_PS3_PT2_iSC_SC_,comdat
	.protected	_Z39paged_attention_ll4mi_QKV_mfma16_kernelIDF16_DF16_LN4vllm18Fp8KVCacheDataTypeE0EhLi32ELi128ELi256ELb1ELi8EL8MFMAType0EEvPKT_PKT0_S8_ifPKiSA_SA_iPKfiiiPfSD_PS3_PT2_iSC_SC_ ; -- Begin function _Z39paged_attention_ll4mi_QKV_mfma16_kernelIDF16_DF16_LN4vllm18Fp8KVCacheDataTypeE0EhLi32ELi128ELi256ELb1ELi8EL8MFMAType0EEvPKT_PKT0_S8_ifPKiSA_SA_iPKfiiiPfSD_PS3_PT2_iSC_SC_
	.globl	_Z39paged_attention_ll4mi_QKV_mfma16_kernelIDF16_DF16_LN4vllm18Fp8KVCacheDataTypeE0EhLi32ELi128ELi256ELb1ELi8EL8MFMAType0EEvPKT_PKT0_S8_ifPKiSA_SA_iPKfiiiPfSD_PS3_PT2_iSC_SC_
	.p2align	8
	.type	_Z39paged_attention_ll4mi_QKV_mfma16_kernelIDF16_DF16_LN4vllm18Fp8KVCacheDataTypeE0EhLi32ELi128ELi256ELb1ELi8EL8MFMAType0EEvPKT_PKT0_S8_ifPKiSA_SA_iPKfiiiPfSD_PS3_PT2_iSC_SC_,@function
_Z39paged_attention_ll4mi_QKV_mfma16_kernelIDF16_DF16_LN4vllm18Fp8KVCacheDataTypeE0EhLi32ELi128ELi256ELb1ELi8EL8MFMAType0EEvPKT_PKT0_S8_ifPKiSA_SA_iPKfiiiPfSD_PS3_PT2_iSC_SC_: ; @_Z39paged_attention_ll4mi_QKV_mfma16_kernelIDF16_DF16_LN4vllm18Fp8KVCacheDataTypeE0EhLi32ELi128ELi256ELb1ELi8EL8MFMAType0EEvPKT_PKT0_S8_ifPKiSA_SA_iPKfiiiPfSD_PS3_PT2_iSC_SC_
; %bb.0:
	s_load_b64 s[2:3], s[0:1], 0x30
	s_mov_b32 s30, s13
	s_waitcnt lgkmcnt(0)
	s_cmp_lg_u64 s[2:3], 0
	s_cselect_b32 s6, -1, 0
	s_ashr_i32 s31, s13, 31
	s_cmp_eq_u64 s[2:3], 0
	s_cbranch_scc1 .LBB313_3
; %bb.1:
	s_lshl_b64 s[4:5], s[30:31], 2
	s_delay_alu instid0(SALU_CYCLE_1) | instskip(SKIP_4) | instid1(SALU_CYCLE_1)
	s_add_u32 s4, s2, s4
	s_addc_u32 s5, s3, s5
	s_load_b64 s[4:5], s[4:5], 0x0
	s_waitcnt lgkmcnt(0)
	s_sub_i32 s4, s5, s4
	s_cmp_eq_u32 s4, 1
	s_cselect_b32 s4, -1, 0
	s_delay_alu instid0(SALU_CYCLE_1)
	s_and_not1_b32 vcc_lo, exec_lo, s4
	s_cbranch_vccz .LBB313_4
.LBB313_2:
	s_endpgm
.LBB313_3:
.LBB313_4:
	s_load_b64 s[8:9], s[0:1], 0x28
	s_lshl_b64 s[4:5], s[30:31], 2
	s_waitcnt lgkmcnt(0)
	s_add_u32 s8, s8, s4
	s_addc_u32 s9, s9, s5
	s_lshl_b32 s12, s14, 8
	s_load_b32 s17, s[8:9], 0x0
	s_waitcnt lgkmcnt(0)
	s_cmp_ge_i32 s12, s17
	s_cbranch_scc1 .LBB313_2
; %bb.5:
	s_and_not1_b32 vcc_lo, exec_lo, s6
	s_cbranch_vccnz .LBB313_7
; %bb.6:
	s_add_u32 s2, s2, s4
	s_addc_u32 s3, s3, s5
	s_load_b32 s13, s[2:3], 0x0
	s_branch .LBB313_8
.LBB313_7:
	s_mov_b32 s13, s30
.LBB313_8:
	s_clause 0x2
	s_load_b128 s[8:11], s[0:1], 0x8
	s_load_b64 s[2:3], s[0:1], 0x20
	s_load_b128 s[4:7], s[0:1], 0x48
	v_and_b32_e32 v78, 15, v0
	s_waitcnt lgkmcnt(0)
	s_mov_b32 s7, exec_lo
	s_delay_alu instid0(VALU_DEP_1)
	v_lshlrev_b32_e32 v1, 3, v78
	v_cmpx_lt_u32_e32 0x7f, v0
	s_xor_b32 s7, exec_lo, s7
; %bb.9:
	v_mov_b32_e32 v2, 0
; %bb.10:
	s_or_saveexec_b32 s7, s7
	v_lshrrev_b32_e32 v77, 5, v0
	v_and_b32_e32 v80, 31, v0
	v_and_b32_e32 v76, 1, v0
	v_bfe_u32 v75, v0, 4, 1
	s_lshl_b32 s31, s15, 3
	s_xor_b32 exec_lo, exec_lo, s7
	s_cbranch_execz .LBB313_12
; %bb.11:
	s_delay_alu instid0(VALU_DEP_1)
	v_lshl_or_b32 v7, v77, 1, v75
	s_load_b64 s[18:19], s[0:1], 0x0
	s_mul_hi_i32 s21, s13, s4
	s_mul_i32 s20, s13, s4
	v_lshlrev_b32_e32 v4, 1, v1
	v_or_b32_e32 v2, s31, v7
	s_lshl_b64 s[20:21], s[20:21], 1
	v_lshlrev_b32_e32 v7, 6, v7
	v_lshlrev_b32_e32 v8, 10, v76
	s_delay_alu instid0(VALU_DEP_3) | instskip(NEXT) | instid1(VALU_DEP_1)
	v_lshlrev_b32_e32 v2, 7, v2
	v_ashrrev_i32_e32 v3, 31, v2
	s_delay_alu instid0(VALU_DEP_1) | instskip(SKIP_3) | instid1(VALU_DEP_1)
	v_lshlrev_b64 v[2:3], 1, v[2:3]
	s_waitcnt lgkmcnt(0)
	s_add_u32 s4, s18, s20
	s_addc_u32 s13, s19, s21
	v_add_co_u32 v2, vcc_lo, s4, v2
	s_delay_alu instid0(VALU_DEP_2) | instskip(NEXT) | instid1(VALU_DEP_2)
	v_add_co_ci_u32_e32 v3, vcc_lo, s13, v3, vcc_lo
	v_add_co_u32 v2, vcc_lo, v2, v4
	s_delay_alu instid0(VALU_DEP_2) | instskip(SKIP_2) | instid1(VALU_DEP_1)
	v_add_co_ci_u32_e32 v3, vcc_lo, 0, v3, vcc_lo
	global_load_b128 v[3:6], v[2:3], off
	v_lshlrev_b32_e32 v2, 10, v78
	v_and_b32_e32 v2, 0x3800, v2
	s_delay_alu instid0(VALU_DEP_1)
	v_or3_b32 v7, v2, v8, v7
	v_mov_b32_e32 v2, 0
	s_waitcnt vmcnt(0)
	ds_store_b128 v7, v[3:6]
.LBB313_12:
	s_or_b32 exec_lo, exec_lo, s7
	v_and_b32_e32 v3, 0xef, v0
	s_add_i32 s4, s17, 31
	s_clause 0x1
	s_load_b32 s7, s[0:1], 0x38
	s_load_b32 s33, s[0:1], 0x98
	s_ashr_i32 s13, s4, 31
	v_add_nc_u32_e32 v3, s12, v3
	s_lshr_b32 s13, s13, 27
	s_load_b32 s18, s[0:1], 0x1c
	s_add_i32 s4, s4, s13
	s_waitcnt lgkmcnt(0)
	v_ashrrev_i32_e32 v4, 31, v3
	v_cmp_gt_i32_e32 vcc_lo, s17, v3
	s_ashr_i32 s4, s4, 5
	s_barrier
	s_add_i32 s4, s4, -1
	v_lshrrev_b32_e32 v5, 27, v4
	v_or_b32_e32 v4, 16, v3
	buffer_gl0_inv
	v_lshlrev_b64 v[73:74], 1, v[1:2]
	v_lshlrev_b32_e32 v79, 6, v78
	v_add_nc_u32_e32 v6, v3, v5
	v_add_nc_u32_e32 v5, v4, v5
	s_mul_i32 s20, s30, s7
	s_delay_alu instid0(SALU_CYCLE_1) | instskip(NEXT) | instid1(VALU_DEP_2)
	s_ashr_i32 s21, s20, 31
	v_ashrrev_i32_e32 v6, 5, v6
	s_delay_alu instid0(VALU_DEP_2) | instskip(SKIP_1) | instid1(SALU_CYCLE_1)
	v_ashrrev_i32_e32 v5, 5, v5
	s_lshl_b64 s[20:21], s[20:21], 2
	s_add_u32 s13, s2, s20
	s_delay_alu instid0(VALU_DEP_2) | instskip(SKIP_3) | instid1(SALU_CYCLE_1)
	v_cndmask_b32_e32 v3, s4, v6, vcc_lo
	v_cmp_gt_i32_e32 vcc_lo, s17, v4
	s_addc_u32 s16, s3, s21
	s_mul_i32 s2, s15, s6
	s_ashr_i32 s3, s2, 31
	v_cndmask_b32_e32 v5, s4, v5, vcc_lo
	v_ashrrev_i32_e32 v4, 31, v3
	s_lshl_b64 s[2:3], s[2:3], 1
	s_delay_alu instid0(SALU_CYCLE_1) | instskip(NEXT) | instid1(VALU_DEP_2)
	s_add_u32 s15, s8, s2
	v_ashrrev_i32_e32 v6, 31, v5
	s_delay_alu instid0(VALU_DEP_2) | instskip(SKIP_2) | instid1(VALU_DEP_2)
	v_lshlrev_b64 v[3:4], 2, v[3:4]
	s_addc_u32 s19, s9, s3
	s_lshl_b32 s6, s14, 3
	v_lshlrev_b64 v[5:6], 2, v[5:6]
	s_ashr_i32 s7, s6, 31
	s_delay_alu instid0(VALU_DEP_2) | instskip(SKIP_1) | instid1(VALU_DEP_3)
	v_add_co_u32 v3, vcc_lo, s13, v3
	v_add_co_ci_u32_e32 v4, vcc_lo, s16, v4, vcc_lo
	v_add_co_u32 v5, vcc_lo, s13, v5
	s_delay_alu instid0(VALU_DEP_4)
	v_add_co_ci_u32_e32 v6, vcc_lo, s16, v6, vcc_lo
	s_lshl_b64 s[6:7], s[6:7], 2
	s_clause 0x1
	global_load_b32 v7, v[3:4], off
	global_load_b32 v8, v[5:6], off
	s_add_u32 s6, s13, s6
	s_addc_u32 s7, s16, s7
	s_or_b32 s8, s12, 32
	s_delay_alu instid0(SALU_CYCLE_1) | instskip(SKIP_2) | instid1(SALU_CYCLE_1)
	s_ashr_i32 s9, s8, 5
	s_cmp_lt_i32 s8, s17
	s_cselect_b32 s8, s9, s4
	s_ashr_i32 s9, s8, 31
	s_delay_alu instid0(SALU_CYCLE_1) | instskip(NEXT) | instid1(SALU_CYCLE_1)
	s_lshl_b64 s[8:9], s[8:9], 2
	s_add_u32 s8, s13, s8
	s_addc_u32 s9, s16, s9
	s_or_b32 s20, s12, 64
	s_delay_alu instid0(SALU_CYCLE_1) | instskip(SKIP_2) | instid1(SALU_CYCLE_1)
	s_ashr_i32 s21, s20, 5
	s_cmp_lt_i32 s20, s17
	s_cselect_b32 s20, s21, s4
	s_ashr_i32 s21, s20, 31
	s_delay_alu instid0(SALU_CYCLE_1) | instskip(NEXT) | instid1(SALU_CYCLE_1)
	s_lshl_b64 s[20:21], s[20:21], 2
	;; [unrolled: 10-line block ×5, first 2 shown]
	s_add_u32 s26, s13, s26
	s_addc_u32 s27, s16, s27
	s_clause 0x5
	s_load_b32 s28, s[6:7], 0x0
	s_load_b32 s29, s[8:9], 0x0
	;; [unrolled: 1-line block ×6, first 2 shown]
	s_mov_b32 s20, 0
	s_or_b32 s6, s12, 0xc0
	s_mov_b32 s21, s20
	s_mov_b32 s22, s20
	;; [unrolled: 1-line block ×7, first 2 shown]
	s_ashr_i32 s7, s6, 5
	v_mov_b32_e32 v128, s27
	s_cmp_lt_i32 s6, s17
	v_mov_b32_e32 v127, s26
	s_cselect_b32 s6, s7, s4
	v_mov_b32_e32 v126, s25
	s_ashr_i32 s7, s6, 31
	v_mov_b32_e32 v125, s24
	s_lshl_b64 s[6:7], s[6:7], 2
	v_mov_b32_e32 v124, s23
	s_add_u32 s6, s13, s6
	s_addc_u32 s7, s16, s7
	v_mov_b32_e32 v123, s22
	v_mov_b32_e32 v121, s20
	s_waitcnt lgkmcnt(0)
	s_mul_hi_i32 s9, s28, s5
	s_mul_i32 s8, s28, s5
	v_mov_b32_e32 v122, s21
	s_mul_hi_i32 s21, s29, s5
	s_mul_i32 s20, s29, s5
	s_mul_hi_i32 s25, s34, s5
	s_mul_i32 s24, s34, s5
	;; [unrolled: 2-line block ×4, first 2 shown]
	s_waitcnt vmcnt(1)
	v_mad_i64_i32 v[3:4], null, v7, s5, 0
	s_waitcnt vmcnt(0)
	v_mad_i64_i32 v[5:6], null, v8, s5, 0
	s_delay_alu instid0(VALU_DEP_2) | instskip(NEXT) | instid1(VALU_DEP_2)
	v_lshlrev_b64 v[3:4], 1, v[3:4]
	v_lshlrev_b64 v[1:2], 1, v[5:6]
	s_delay_alu instid0(VALU_DEP_2) | instskip(NEXT) | instid1(VALU_DEP_3)
	v_add_co_u32 v3, vcc_lo, s15, v3
	v_add_co_ci_u32_e32 v4, vcc_lo, s19, v4, vcc_lo
	s_delay_alu instid0(VALU_DEP_3) | instskip(NEXT) | instid1(VALU_DEP_4)
	v_add_co_u32 v1, vcc_lo, s15, v1
	v_add_co_ci_u32_e32 v2, vcc_lo, s19, v2, vcc_lo
	s_delay_alu instid0(VALU_DEP_4) | instskip(NEXT) | instid1(VALU_DEP_4)
	v_add_co_u32 v65, vcc_lo, v3, v73
	v_add_co_ci_u32_e32 v66, vcc_lo, v4, v74, vcc_lo
	s_delay_alu instid0(VALU_DEP_4) | instskip(NEXT) | instid1(VALU_DEP_4)
	v_add_co_u32 v67, vcc_lo, v1, v73
	v_add_co_ci_u32_e32 v68, vcc_lo, v2, v74, vcc_lo
	s_clause 0xf
	global_load_b128 v[1:4], v[65:66], off
	global_load_b128 v[5:8], v[65:66], off offset:512
	global_load_b128 v[9:12], v[67:68], off offset:256
	;; [unrolled: 1-line block ×15, first 2 shown]
	v_add_co_u32 v157, vcc_lo, 0x1000, v65
	v_add_co_ci_u32_e32 v158, vcc_lo, 0, v66, vcc_lo
	v_add_co_u32 v165, vcc_lo, 0x1000, v67
	v_add_co_ci_u32_e32 v166, vcc_lo, 0, v68, vcc_lo
	s_clause 0x7
	global_load_b128 v[81:84], v[157:158], off
	global_load_b128 v[85:88], v[157:158], off offset:512
	global_load_b128 v[89:92], v[165:166], off offset:256
	global_load_b128 v[93:96], v[165:166], off offset:768
	global_load_b128 v[97:100], v[157:158], off offset:1024
	global_load_b128 v[101:104], v[157:158], off offset:1536
	global_load_b128 v[105:108], v[165:166], off offset:1280
	global_load_b128 v[109:112], v[165:166], off offset:1792
	v_and_b32_e32 v65, 7, v0
	s_or_b32 s15, s12, 0xe0
	s_delay_alu instid0(SALU_CYCLE_1) | instskip(SKIP_1) | instid1(VALU_DEP_1)
	s_ashr_i32 s19, s15, 5
	s_cmp_lt_i32 s15, s17
	v_lshlrev_b32_e32 v169, 6, v65
	ds_load_b128 v[65:68], v169
	ds_load_b128 v[69:72], v169 offset:1024
	s_clause 0x1
	global_load_b128 v[113:116], v[157:158], off offset:2048
	global_load_b128 v[117:120], v[157:158], off offset:2560
	ds_load_b128 v[129:132], v169 offset:2048
	ds_load_b128 v[133:136], v169 offset:3072
	s_clause 0x5
	global_load_b128 v[145:148], v[165:166], off offset:2304
	global_load_b128 v[149:152], v[165:166], off offset:2816
	;; [unrolled: 1-line block ×6, first 2 shown]
	s_cselect_b32 s22, s19, s4
	s_delay_alu instid0(SALU_CYCLE_1) | instskip(NEXT) | instid1(SALU_CYCLE_1)
	s_ashr_i32 s23, s22, 31
	s_lshl_b64 s[22:23], s[22:23], 2
	s_delay_alu instid0(SALU_CYCLE_1) | instskip(SKIP_2) | instid1(SALU_CYCLE_1)
	s_add_u32 s22, s13, s22
	s_addc_u32 s23, s16, s23
	s_add_i32 s15, s12, 0x100
	s_ashr_i32 s19, s15, 5
	s_cmp_lt_i32 s15, s17
	s_cselect_b32 s28, s19, s4
	s_delay_alu instid0(SALU_CYCLE_1) | instskip(NEXT) | instid1(SALU_CYCLE_1)
	s_ashr_i32 s29, s28, 31
	s_lshl_b64 s[28:29], s[28:29], 2
	s_delay_alu instid0(SALU_CYCLE_1)
	s_add_u32 s28, s13, s28
	s_addc_u32 s29, s16, s29
	s_add_u32 s4, s10, s2
	s_addc_u32 s19, s11, s3
	s_lshl_b64 s[2:3], s[8:9], 1
	s_lshl_b64 s[8:9], s[20:21], 1
	;; [unrolled: 1-line block ×4, first 2 shown]
	s_waitcnt vmcnt(30) lgkmcnt(2)
	v_wmma_f32_16x16x16_f16 v[137:144], v[1:8], v[65:72], v[121:128]
	ds_load_b128 v[1:4], v169 offset:4096
	ds_load_b128 v[5:8], v169 offset:5120
	s_waitcnt vmcnt(28)
	v_wmma_f32_16x16x16_f16 v[121:128], v[9:16], v[65:72], v[121:128]
	ds_load_b128 v[9:12], v169 offset:6144
	ds_load_b128 v[13:16], v169 offset:7168
	s_waitcnt vmcnt(26) lgkmcnt(4)
	v_wmma_f32_16x16x16_f16 v[137:144], v[17:24], v[129:136], v[137:144]
	ds_load_b128 v[17:20], v169 offset:8192
	ds_load_b128 v[21:24], v169 offset:9216
	s_waitcnt vmcnt(24)
	v_wmma_f32_16x16x16_f16 v[121:128], v[25:32], v[129:136], v[121:128]
	v_lshl_or_b32 v25, v77, 10, v79
	ds_load_b128 v[129:132], v169 offset:10240
	ds_load_b128 v[133:136], v169 offset:11264
	s_clause 0x2
	s_load_b32 s15, s[6:7], 0x0
	s_load_b32 s13, s[22:23], 0x0
	;; [unrolled: 1-line block ×3, first 2 shown]
	s_mul_hi_i32 s7, s36, s5
	v_add_co_u32 v170, s4, s4, v25
	s_delay_alu instid0(VALU_DEP_1)
	v_add_co_ci_u32_e64 v171, null, s19, 0, s4
	s_mul_i32 s6, s36, s5
	s_lshl_b64 s[22:23], s[34:35], 1
	s_lshl_b64 s[6:7], s[6:7], 1
	s_waitcnt vmcnt(22) lgkmcnt(0)
	v_wmma_f32_16x16x16_f16 v[137:144], v[33:40], v[1:8], v[137:144]
	s_waitcnt vmcnt(20)
	v_wmma_f32_16x16x16_f16 v[121:128], v[41:48], v[1:8], v[121:128]
	v_add_co_u32 v1, vcc_lo, v170, s2
	v_add_co_ci_u32_e32 v2, vcc_lo, s3, v171, vcc_lo
	v_add_co_u32 v3, vcc_lo, v170, s8
	v_add_co_ci_u32_e32 v4, vcc_lo, s9, v171, vcc_lo
	;; [unrolled: 2-line block ×4, first 2 shown]
	v_add_co_u32 v25, vcc_lo, v170, s6
	s_mul_hi_i32 s25, s15, s5
	s_mul_i32 s24, s15, s5
	v_add_co_ci_u32_e32 v26, vcc_lo, s7, v171, vcc_lo
	v_add_co_u32 v27, vcc_lo, v170, s22
	s_lshl_b64 s[24:25], s[24:25], 1
	s_waitcnt vmcnt(18)
	v_wmma_f32_16x16x16_f16 v[137:144], v[49:56], v[9:16], v[137:144]
	s_waitcnt vmcnt(16)
	v_wmma_f32_16x16x16_f16 v[121:128], v[57:64], v[9:16], v[121:128]
	v_add_co_ci_u32_e32 v28, vcc_lo, s23, v171, vcc_lo
	s_mul_hi_i32 s3, s13, s5
	s_mul_i32 s2, s13, s5
	v_add_co_u32 v29, vcc_lo, v170, s24
	s_lshl_b64 s[2:3], s[2:3], 1
	v_add_co_ci_u32_e32 v30, vcc_lo, s25, v171, vcc_lo
	s_waitcnt vmcnt(14)
	v_wmma_f32_16x16x16_f16 v[137:144], v[81:88], v[17:24], v[137:144]
	s_waitcnt vmcnt(12)
	v_wmma_f32_16x16x16_f16 v[121:128], v[89:96], v[17:24], v[121:128]
	v_add_co_u32 v17, vcc_lo, v170, s2
	v_add_co_ci_u32_e32 v18, vcc_lo, s3, v171, vcc_lo
	s_mul_hi_i32 s3, s16, s5
	s_mul_i32 s2, s16, s5
	s_clause 0x5
	global_load_b128 v[65:68], v[1:2], off
	global_load_b128 v[69:72], v[1:2], off offset:16
	global_load_b128 v[57:60], v[3:4], off
	global_load_b128 v[61:64], v[3:4], off offset:16
	;; [unrolled: 2-line block ×3, first 2 shown]
	s_lshl_b64 s[2:3], s[2:3], 1
	s_clause 0x1
	global_load_b128 v[41:44], v[7:8], off
	global_load_b128 v[45:48], v[7:8], off offset:16
	v_add_co_u32 v21, vcc_lo, v170, s2
	v_add_co_ci_u32_e32 v22, vcc_lo, s3, v171, vcc_lo
	s_clause 0x9
	global_load_b128 v[9:12], v[25:26], off
	global_load_b128 v[13:16], v[25:26], off offset:16
	global_load_b128 v[1:4], v[27:28], off
	global_load_b128 v[5:8], v[27:28], off offset:16
	;; [unrolled: 2-line block ×5, first 2 shown]
	ds_load_b128 v[81:84], v169 offset:12288
	ds_load_b128 v[85:88], v169 offset:13312
	v_and_b32_e32 v89, 0xe0, v0
	s_waitcnt vmcnt(28)
	v_wmma_f32_16x16x16_f16 v[137:144], v[97:104], v[129:136], v[137:144]
	v_mbcnt_lo_u32_b32 v97, -1, 0
	s_waitcnt vmcnt(26)
	v_wmma_f32_16x16x16_f16 v[121:128], v[105:112], v[129:136], v[121:128]
	v_add_nc_u32_e32 v98, s12, v89
	ds_load_b128 v[89:92], v169 offset:14336
	ds_load_b128 v[93:96], v169 offset:15360
	v_xor_b32_e32 v99, 16, v97
	s_waitcnt vmcnt(0) lgkmcnt(0)
	s_barrier
	v_or_b32_e32 v98, v98, v75
	buffer_gl0_inv
	v_cmp_gt_i32_e32 vcc_lo, 32, v99
	v_or_b32_e32 v100, 4, v98
	v_or_b32_e32 v101, 22, v98
	;; [unrolled: 1-line block ×4, first 2 shown]
	v_wmma_f32_16x16x16_f16 v[137:144], v[113:120], v[81:88], v[137:144]
	v_wmma_f32_16x16x16_f16 v[121:128], v[145:152], v[81:88], v[121:128]
	v_or_b32_e32 v81, 6, v98
	v_or_b32_e32 v82, 8, v98
	;; [unrolled: 1-line block ×3, first 2 shown]
	v_cmp_gt_i32_e64 s3, s17, v100
	v_or_b32_e32 v84, 12, v98
	v_wmma_f32_16x16x16_f16 v[137:144], v[153:160], v[89:96], v[137:144]
	v_wmma_f32_16x16x16_f16 v[121:128], v[161:168], v[89:96], v[121:128]
	v_cndmask_b32_e32 v97, v97, v99, vcc_lo
	v_or_b32_e32 v99, 2, v98
	v_cmp_gt_i32_e32 vcc_lo, s17, v98
	v_dual_mul_f32 v95, s18, v138 :: v_dual_mul_f32 v96, s18, v137
	v_mul_f32_e32 v93, s18, v140
	s_delay_alu instid0(VALU_DEP_4)
	v_cmp_gt_i32_e64 s2, s17, v99
	v_mul_f32_e32 v94, s18, v139
	v_mul_f32_e32 v106, s18, v128
	v_cndmask_b32_e32 v96, 0xff7fffff, v96, vcc_lo
	v_cmp_gt_i32_e64 s4, s17, v81
	v_cndmask_b32_e64 v95, 0xff7fffff, v95, s2
	v_or_b32_e32 v85, 14, v98
	v_dual_mul_f32 v91, s18, v142 :: v_dual_mul_f32 v110, s18, v124
	v_mul_f32_e32 v92, s18, v141
	v_cndmask_b32_e64 v94, 0xff7fffff, v94, s3
	v_cndmask_b32_e64 v81, 0xff7fffff, v93, s4
	v_max3_f32 v93, v96, 0xff7fffff, v95
	v_cmp_gt_i32_e64 s5, s17, v82
	v_cmp_gt_i32_e64 s6, s17, v83
	v_or_b32_e32 v86, 16, v98
	v_or_b32_e32 v87, 18, v98
	v_dual_mul_f32 v89, s18, v144 :: v_dual_mul_f32 v112, s18, v122
	v_mul_f32_e32 v90, s18, v143
	v_cndmask_b32_e64 v82, 0xff7fffff, v92, s5
	v_cndmask_b32_e64 v83, 0xff7fffff, v91, s6
	v_max3_f32 v81, v93, v94, v81
	v_cmp_gt_i32_e64 s7, s17, v84
	v_cmp_gt_i32_e64 s8, s17, v85
	v_or_b32_e32 v88, 20, v98
	v_mul_f32_e32 v113, s18, v121
	v_max3_f32 v81, v81, v82, v83
	v_cndmask_b32_e64 v84, 0xff7fffff, v90, s7
	v_cndmask_b32_e64 v85, 0xff7fffff, v89, s8
	v_cmp_gt_i32_e64 s9, s17, v86
	v_cmp_gt_i32_e64 s10, s17, v87
	v_mul_f32_e32 v111, s18, v123
	v_cmp_gt_i32_e64 s11, s17, v88
	v_max3_f32 v81, v81, v84, v85
	v_cndmask_b32_e64 v82, 0xff7fffff, v113, s9
	v_cndmask_b32_e64 v83, 0xff7fffff, v112, s10
	v_cmp_gt_i32_e64 s12, s17, v101
	v_or_b32_e32 v104, 28, v98
	v_or_b32_e32 v105, 30, v98
	v_dual_mul_f32 v108, s18, v126 :: v_dual_mul_f32 v109, s18, v125
	v_cndmask_b32_e64 v84, 0xff7fffff, v111, s11
	v_cndmask_b32_e64 v85, 0xff7fffff, v110, s12
	v_max3_f32 v81, v81, v82, v83
	v_cmp_gt_i32_e64 s13, s17, v102
	v_cmp_gt_i32_e64 s15, s17, v103
	v_mul_f32_e32 v107, s18, v127
	v_cmp_gt_i32_e64 s16, s17, v104
	v_max3_f32 v81, v81, v84, v85
	v_cndmask_b32_e64 v82, 0xff7fffff, v109, s13
	v_cndmask_b32_e64 v83, 0xff7fffff, v108, s15
	v_cmp_gt_i32_e64 s17, s17, v105
	v_cndmask_b32_e64 v84, 0xff7fffff, v107, s16
	s_delay_alu instid0(VALU_DEP_3) | instskip(NEXT) | instid1(VALU_DEP_3)
	v_max3_f32 v81, v81, v82, v83
	v_cndmask_b32_e64 v85, 0xff7fffff, v106, s17
	v_lshlrev_b32_e32 v83, 2, v97
	s_delay_alu instid0(VALU_DEP_2) | instskip(SKIP_3) | instid1(VALU_DEP_1)
	v_max3_f32 v81, v81, v84, v85
	ds_bpermute_b32 v82, v83, v81
	s_waitcnt lgkmcnt(0)
	v_max_f32_e32 v82, v82, v82
	v_max_f32_e32 v81, v81, v82
	s_delay_alu instid0(VALU_DEP_1) | instskip(SKIP_3) | instid1(VALU_DEP_4)
	v_fma_f32 v82, s18, v137, -v81
	v_fma_f32 v84, s18, v138, -v81
	;; [unrolled: 1-line block ×4, first 2 shown]
	v_mul_f32_e32 v82, 0x3fb8aa3b, v82
	s_delay_alu instid0(VALU_DEP_3) | instskip(NEXT) | instid1(VALU_DEP_3)
	v_dual_mul_f32 v84, 0x3fb8aa3b, v84 :: v_dual_mul_f32 v85, 0x3fb8aa3b, v85
	v_mul_f32_e32 v86, 0x3fb8aa3b, v86
	s_delay_alu instid0(VALU_DEP_3) | instskip(NEXT) | instid1(VALU_DEP_2)
	v_exp_f32_e32 v82, v82
	v_exp_f32_e32 v84, v84
	s_delay_alu instid0(VALU_DEP_2) | instskip(NEXT) | instid1(VALU_DEP_1)
	v_exp_f32_e32 v85, v85
	v_exp_f32_e32 v90, v86
	v_cndmask_b32_e32 v87, 0, v82, vcc_lo
	s_delay_alu instid0(TRANS32_DEP_3) | instskip(SKIP_4) | instid1(VALU_DEP_1)
	v_cndmask_b32_e64 v86, 0, v84, s2
	s_waitcnt_depctr 0xfff
	v_cndmask_b32_e64 v89, 0, v85, s3
	s_mov_b32 s2, exec_lo
	v_add_f32_e32 v84, 0, v87
	v_add_f32_e32 v84, v84, v86
	s_delay_alu instid0(VALU_DEP_1)
	v_add_f32_e32 v84, v84, v89
	v_fma_f32 v88, s18, v141, -v81
	v_fma_f32 v91, s18, v143, -v81
	;; [unrolled: 1-line block ×5, first 2 shown]
	v_mul_f32_e32 v88, 0x3fb8aa3b, v88
	v_fma_f32 v100, s18, v128, -v81
	v_mul_f32_e32 v82, 0x3fb8aa3b, v82
	v_fma_f32 v98, s18, v126, -v81
	v_mul_f32_e32 v97, 0x3fb8aa3b, v95
	v_exp_f32_e32 v92, v88
	v_cndmask_b32_e64 v88, 0, v90, s4
	v_fma_f32 v90, s18, v121, -v81
	v_mul_f32_e32 v91, 0x3fb8aa3b, v91
	v_exp_f32_e32 v82, v82
	v_exp_f32_e32 v99, v97
	v_add_f32_e32 v84, v84, v88
	v_mul_f32_e32 v94, 0x3fb8aa3b, v90
	v_exp_f32_e32 v93, v91
	v_mul_f32_e32 v98, 0x3fb8aa3b, v98
	v_cndmask_b32_e64 v91, 0, v92, s5
	v_fma_f32 v92, s18, v122, -v81
	v_mul_f32_e32 v85, 0x3fb8aa3b, v85
	v_exp_f32_e32 v94, v94
	v_cndmask_b32_e64 v90, 0, v82, s6
	v_add_f32_e32 v82, v84, v91
	v_mul_f32_e32 v92, 0x3fb8aa3b, v92
	v_exp_f32_e32 v85, v85
	v_fma_f32 v84, s18, v123, -v81
	v_cndmask_b32_e64 v93, 0, v93, s7
	v_add_f32_e32 v82, v82, v90
	v_exp_f32_e32 v96, v92
	v_exp_f32_e32 v98, v98
	v_cndmask_b32_e64 v95, 0, v94, s9
	s_delay_alu instid0(VALU_DEP_2) | instskip(NEXT) | instid1(TRANS32_DEP_3)
	v_add_f32_e32 v82, v82, v93
	v_cndmask_b32_e64 v92, 0, v85, s8
	v_fma_f32 v85, s18, v125, -v81
	v_mul_f32_e32 v84, 0x3fb8aa3b, v84
	s_delay_alu instid0(TRANS32_DEP_2) | instskip(SKIP_1) | instid1(VALU_DEP_4)
	v_cndmask_b32_e64 v94, 0, v96, s10
	v_fma_f32 v96, s18, v127, -v81
	v_mul_f32_e32 v85, 0x3fb8aa3b, v85
	s_delay_alu instid0(VALU_DEP_4) | instskip(SKIP_1) | instid1(VALU_DEP_2)
	v_exp_f32_e32 v84, v84
	v_cndmask_b32_e64 v98, 0, v98, s15
	v_exp_f32_e32 v85, v85
	s_waitcnt_depctr 0xfff
	v_cndmask_b32_e64 v97, 0, v84, s11
	v_mul_f32_e32 v84, 0x3fb8aa3b, v96
	v_cndmask_b32_e64 v96, 0, v99, s12
	v_cndmask_b32_e64 v99, 0, v85, s13
	v_mul_f32_e32 v85, 0x3fb8aa3b, v100
	v_add_f32_e32 v82, v82, v92
	v_exp_f32_e32 v84, v84
	s_delay_alu instid0(VALU_DEP_2) | instskip(NEXT) | instid1(VALU_DEP_1)
	v_exp_f32_e32 v85, v85
	v_add_f32_e32 v82, v82, v95
	s_delay_alu instid0(VALU_DEP_1) | instskip(SKIP_4) | instid1(VALU_DEP_1)
	v_add_f32_e32 v82, v82, v94
	s_waitcnt_depctr 0xfff
	v_cndmask_b32_e64 v101, 0, v84, s16
	v_cndmask_b32_e64 v100, 0, v85, s17
	v_add_f32_e32 v82, v82, v97
	v_add_f32_e32 v82, v82, v96
	s_delay_alu instid0(VALU_DEP_1) | instskip(NEXT) | instid1(VALU_DEP_1)
	v_add_f32_e32 v82, v82, v99
	v_add_f32_e32 v82, v82, v98
	s_delay_alu instid0(VALU_DEP_1) | instskip(NEXT) | instid1(VALU_DEP_1)
	v_add_f32_e32 v82, v82, v101
	v_add_f32_e32 v82, v82, v100
	ds_bpermute_b32 v83, v83, v82
	v_cmpx_gt_u32_e32 16, v80
	s_cbranch_execz .LBB313_14
; %bb.13:
	v_mul_u32_u24_e32 v80, 0x44, v77
	s_waitcnt lgkmcnt(0)
	v_add_f32_e32 v82, v82, v83
	s_delay_alu instid0(VALU_DEP_2) | instskip(NEXT) | instid1(VALU_DEP_1)
	v_lshl_add_u32 v80, v78, 2, v80
	v_add_nc_u32_e32 v80, 0x4000, v80
	ds_store_2addr_b32 v80, v81, v82 offset1:136
.LBB313_14:
	s_or_b32 exec_lo, exec_lo, s2
	v_lshlrev_b32_e32 v78, 2, v78
	s_load_b32 s34, s[0:1], 0x94
	s_waitcnt lgkmcnt(0)
	s_barrier
	buffer_gl0_inv
	v_add_nc_u32_e32 v78, 0x4000, v78
	v_cmp_eq_u32_e32 vcc_lo, 1, v77
	v_cmp_eq_u32_e64 s2, 2, v77
	v_cmp_eq_u32_e64 s3, 3, v77
	;; [unrolled: 1-line block ×3, first 2 shown]
	ds_load_2addr_b32 v[80:81], v78 offset1:17
	ds_load_2addr_b32 v[82:83], v78 offset0:34 offset1:51
	ds_load_2addr_b32 v[102:103], v78 offset0:68 offset1:85
	;; [unrolled: 1-line block ×3, first 2 shown]
	v_cmp_eq_u32_e64 s5, 7, v77
	s_waitcnt lgkmcnt(3)
	v_max3_f32 v84, v80, 0xff7fffff, v81
	s_waitcnt lgkmcnt(2)
	s_delay_alu instid0(VALU_DEP_1) | instskip(SKIP_1) | instid1(VALU_DEP_1)
	v_max3_f32 v84, v84, v82, v83
	s_waitcnt lgkmcnt(1)
	v_max3_f32 v84, v84, v102, v103
	s_waitcnt lgkmcnt(0)
	s_delay_alu instid0(VALU_DEP_1) | instskip(NEXT) | instid1(VALU_DEP_1)
	v_max3_f32 v84, v84, v104, v105
	v_sub_f32_e32 v109, v83, v84
	ds_load_2addr_b32 v[106:107], v78 offset0:136 offset1:153
	v_sub_f32_e32 v85, v81, v84
	v_dual_sub_f32 v80, v80, v84 :: v_dual_mul_f32 v109, 0x3fb8aa3b, v109
	s_delay_alu instid0(VALU_DEP_1)
	v_dual_mul_f32 v85, 0x3fb8aa3b, v85 :: v_dual_mul_f32 v108, 0x3fb8aa3b, v80
	ds_load_2addr_b32 v[80:81], v78 offset0:170 offset1:187
	v_exp_f32_e32 v109, v109
	v_exp_f32_e32 v111, v85
	;; [unrolled: 1-line block ×3, first 2 shown]
	s_waitcnt lgkmcnt(1)
	s_waitcnt_depctr 0xfff
	v_fma_f32 v85, v108, v106, 0
	v_sub_f32_e32 v82, v82, v84
	v_sub_f32_e32 v106, v103, v84
	s_delay_alu instid0(VALU_DEP_2) | instskip(SKIP_3) | instid1(VALU_DEP_1)
	v_dual_fmac_f32 v85, v111, v107 :: v_dual_mul_f32 v110, 0x3fb8aa3b, v82
	ds_load_2addr_b32 v[82:83], v78 offset0:204 offset1:221
	v_sub_f32_e32 v102, v102, v84
	v_exp_f32_e32 v110, v110
	v_mul_f32_e32 v112, 0x3fb8aa3b, v102
	ds_load_2addr_b32 v[102:103], v78 offset0:238 offset1:255
	s_waitcnt lgkmcnt(0)
	s_barrier
	buffer_gl0_inv
	v_fmac_f32_e32 v85, v110, v80
	v_sub_f32_e32 v80, v105, v84
	s_delay_alu instid0(VALU_DEP_1) | instskip(SKIP_1) | instid1(VALU_DEP_2)
	v_dual_fmac_f32 v85, v109, v81 :: v_dual_mul_f32 v80, 0x3fb8aa3b, v80
	v_sub_f32_e32 v78, v104, v84
	v_exp_f32_e32 v107, v80
	v_mul_f32_e32 v104, 0x3fb8aa3b, v106
	v_exp_f32_e32 v106, v112
	v_cndmask_b32_e32 v80, v108, v111, vcc_lo
	s_delay_alu instid0(VALU_DEP_2) | instskip(SKIP_2) | instid1(VALU_DEP_1)
	v_exp_f32_e32 v104, v104
	s_waitcnt_depctr 0xfff
	v_fmac_f32_e32 v85, v106, v82
	v_dual_mul_f32 v78, 0x3fb8aa3b, v78 :: v_dual_fmac_f32 v85, v104, v83
	s_delay_alu instid0(VALU_DEP_1) | instskip(SKIP_2) | instid1(VALU_DEP_1)
	v_exp_f32_e32 v105, v78
	s_waitcnt_depctr 0xfff
	v_fmac_f32_e32 v85, v105, v102
	v_fmac_f32_e32 v85, v107, v103
	s_delay_alu instid0(VALU_DEP_1) | instskip(NEXT) | instid1(VALU_DEP_1)
	v_add_f32_e32 v102, 0x358637bd, v85
	v_div_scale_f32 v103, null, v102, v102, 1.0
	v_div_scale_f32 v108, vcc_lo, 1.0, v102, 1.0
	s_delay_alu instid0(VALU_DEP_2) | instskip(SKIP_2) | instid1(VALU_DEP_1)
	v_rcp_f32_e32 v112, v103
	s_waitcnt_depctr 0xfff
	v_fma_f32 v78, -v103, v112, 1.0
	v_fmac_f32_e32 v112, v78, v112
	v_cndmask_b32_e64 v78, v80, v110, s2
	v_cmp_eq_u32_e64 s2, 4, v77
	v_lshl_or_b32 v80, v77, 11, v79
	s_delay_alu instid0(VALU_DEP_4) | instskip(NEXT) | instid1(VALU_DEP_4)
	v_mul_f32_e32 v110, v108, v112
	v_cndmask_b32_e64 v81, v78, v109, s3
	v_cmp_eq_u32_e64 s3, 6, v77
	s_delay_alu instid0(VALU_DEP_4) | instskip(SKIP_3) | instid1(VALU_DEP_3)
	v_lshl_or_b32 v77, v75, 4, v80
	v_lshlrev_b32_e32 v78, 2, v75
	v_fma_f32 v82, -v103, v110, v108
	v_cndmask_b32_e64 v83, v81, v106, s2
	v_or_b32_e32 v81, 1, v78
	s_delay_alu instid0(VALU_DEP_3) | instskip(NEXT) | instid1(VALU_DEP_3)
	v_fmac_f32_e32 v110, v82, v112
	v_cndmask_b32_e64 v104, v83, v104, s4
	v_or_b32_e32 v83, 2, v78
	v_or_b32_e32 v82, 3, v78
	v_cmp_eq_u32_e64 s2, 1, v78
	v_fma_f32 v103, -v103, v110, v108
	v_cndmask_b32_e64 v104, v104, v105, s3
	v_cmp_eq_u32_e64 s8, 1, v81
	v_cmp_eq_u32_e64 s9, 1, v83
	;; [unrolled: 1-line block ×3, first 2 shown]
	v_div_fmas_f32 v103, v103, v112, v110
	v_cndmask_b32_e64 v104, v104, v107, s5
	v_cmp_eq_u32_e32 vcc_lo, 2, v78
	v_cmp_eq_u32_e64 s11, 2, v81
	v_cmp_eq_u32_e64 s13, 2, v83
	v_div_fixup_f32 v102, v103, v102, 1.0
	v_cmp_eq_u32_e64 s15, 2, v82
	v_cmp_eq_u32_e64 s17, 3, v82
	;; [unrolled: 1-line block ×4, first 2 shown]
	v_mul_f32_e32 v110, v104, v102
	v_cmp_eq_u32_e64 s16, 3, v83
	v_cmp_eq_u32_e64 s21, 4, v82
	;; [unrolled: 1-line block ×4, first 2 shown]
	v_fma_mixlo_f16 v102, v110, v87, 0
	v_fma_mixlo_f16 v103, v110, v89, 0
	;; [unrolled: 1-line block ×8, first 2 shown]
	v_fma_mixhi_f16 v102, v110, v86, 0
	v_fma_mixhi_f16 v103, v110, v88, 0
	;; [unrolled: 1-line block ×8, first 2 shown]
	ds_store_b128 v77, v[102:105]
	ds_store_b128 v77, v[106:109] offset:1024
	s_waitcnt lgkmcnt(0)
	s_barrier
	buffer_gl0_inv
	ds_load_b128 v[86:89], v80
	ds_load_b128 v[90:93], v80 offset:16
	ds_load_b128 v[94:97], v80 offset:1024
	;; [unrolled: 1-line block ×3, first 2 shown]
	v_cmp_eq_u32_e64 s20, 4, v83
	v_cmp_eq_u32_e64 s23, 5, v82
	;; [unrolled: 1-line block ×13, first 2 shown]
	s_waitcnt lgkmcnt(3)
	v_lshrrev_b32_e32 v102, 16, v86
	s_waitcnt lgkmcnt(2)
	v_lshrrev_b32_e32 v106, 16, v90
	;; [unrolled: 2-line block ×4, first 2 shown]
	v_lshrrev_b32_e32 v103, 16, v87
	v_cndmask_b32_e64 v118, v86, v102, s2
	v_cndmask_b32_e64 v119, v90, v106, s2
	;; [unrolled: 1-line block ×8, first 2 shown]
	v_lshrrev_b32_e32 v107, 16, v91
	v_cndmask_b32_e64 v102, v94, v110, s2
	v_cndmask_b32_e64 v106, v98, v114, s2
	;; [unrolled: 1-line block ×5, first 2 shown]
	v_cndmask_b32_e32 v110, v118, v87, vcc_lo
	v_cndmask_b32_e64 v118, v120, v87, s11
	v_cndmask_b32_e64 v120, v122, v87, s13
	;; [unrolled: 1-line block ×4, first 2 shown]
	v_lshrrev_b32_e32 v111, 16, v95
	v_lshrrev_b32_e32 v115, 16, v99
	v_cndmask_b32_e64 v125, v98, v114, s8
	v_cndmask_b32_e64 v127, v98, v114, s9
	v_cndmask_b32_e64 v98, v98, v114, s10
	v_cndmask_b32_e32 v114, v119, v91, vcc_lo
	v_cndmask_b32_e64 v119, v121, v91, s11
	v_cndmask_b32_e64 v121, v123, v91, s13
	v_cndmask_b32_e32 v90, v102, v95, vcc_lo
	v_cndmask_b32_e32 v91, v106, v99, vcc_lo
	v_cndmask_b32_e64 v102, v124, v95, s11
	v_cndmask_b32_e64 v86, v86, v103, s17
	;; [unrolled: 1-line block ×3, first 2 shown]
	v_lshrrev_b32_e32 v104, 16, v88
	v_lshrrev_b32_e32 v108, 16, v92
	v_cndmask_b32_e64 v106, v126, v95, s13
	v_cndmask_b32_e64 v94, v94, v95, s15
	;; [unrolled: 1-line block ×14, first 2 shown]
	v_lshrrev_b32_e32 v112, 16, v96
	v_cndmask_b32_e64 v98, v98, v88, s4
	v_cndmask_b32_e64 v103, v110, v92, s4
	;; [unrolled: 1-line block ×11, first 2 shown]
	v_lshrrev_b32_e32 v105, 16, v89
	v_lshrrev_b32_e32 v109, 16, v93
	v_cndmask_b32_e64 v92, v98, v104, s5
	v_cndmask_b32_e64 v98, v103, v108, s5
	;; [unrolled: 1-line block ×9, first 2 shown]
	v_lshrrev_b32_e32 v113, 16, v97
	v_cndmask_b32_e64 v88, v88, v112, s5
	v_cndmask_b32_e64 v92, v92, v89, s6
	;; [unrolled: 1-line block ×19, first 2 shown]
	v_perm_b32 v89, v87, v86, 0x5040100
	v_cndmask_b32_e64 v86, v125, v99, s11
	v_cndmask_b32_e64 v104, v88, v113, s7
	v_perm_b32 v88, v102, v98, 0x5040100
	v_perm_b32 v87, v103, v93, 0x5040100
	v_cndmask_b32_e64 v93, v106, v111, s16
	v_cndmask_b32_e64 v94, v94, v111, s17
	;; [unrolled: 1-line block ×5, first 2 shown]
	v_lshrrev_b32_e32 v116, 16, v100
	v_cndmask_b32_e64 v93, v93, v96, s20
	v_cndmask_b32_e64 v94, v94, v96, s21
	;; [unrolled: 1-line block ×11, first 2 shown]
	v_lshrrev_b32_e32 v117, 16, v101
	v_cndmask_b32_e64 v90, v90, v101, s6
	v_cndmask_b32_e64 v93, v93, v97, s25
	;; [unrolled: 1-line block ×12, first 2 shown]
	v_perm_b32 v86, v92, v91, 0x5040100
	v_perm_b32 v93, v94, v93, 0x5040100
	;; [unrolled: 1-line block ×5, first 2 shown]
	s_lshl_b32 s6, s33, 3
	s_mov_b32 s2, exec_lo
	ds_store_b128 v77, v[86:89]
	ds_store_b128 v77, v[90:93] offset:1024
	v_cmpx_gt_u32_e32 8, v0
	s_cbranch_execz .LBB313_16
; %bb.15:
	v_or_b32_e32 v86, s31, v0
	s_load_b128 s[8:11], s[0:1], 0x58
	s_delay_alu instid0(VALU_DEP_1) | instskip(NEXT) | instid1(VALU_DEP_1)
	v_mad_u64_u32 v[87:88], null, s6, s30, v[86:87]
	v_mad_u64_u32 v[88:89], null, v87, s34, s[14:15]
	s_delay_alu instid0(VALU_DEP_1) | instskip(NEXT) | instid1(VALU_DEP_1)
	v_ashrrev_i32_e32 v89, 31, v88
	v_lshlrev_b64 v[86:87], 2, v[88:89]
	s_waitcnt lgkmcnt(0)
	s_delay_alu instid0(VALU_DEP_1) | instskip(NEXT) | instid1(VALU_DEP_2)
	v_add_co_u32 v88, vcc_lo, s10, v86
	v_add_co_ci_u32_e32 v89, vcc_lo, s11, v87, vcc_lo
	v_add_co_u32 v86, vcc_lo, s8, v86
	v_add_co_ci_u32_e32 v87, vcc_lo, s9, v87, vcc_lo
	global_store_b32 v[88:89], v84, off
	global_store_b32 v[86:87], v85, off
.LBB313_16:
	s_or_b32 exec_lo, exec_lo, s2
	s_waitcnt lgkmcnt(0)
	s_waitcnt_vscnt null, 0x0
	s_barrier
	buffer_gl0_inv
	ds_load_b128 v[92:95], v79
	ds_load_b128 v[96:99], v79 offset:16
	ds_load_b128 v[104:107], v79 offset:1040
	;; [unrolled: 1-line block ×5, first 2 shown]
	v_cmp_eq_u32_e32 vcc_lo, 1, v83
	v_mov_b32_e32 v84, 0
	ds_load_b128 v[120:123], v79 offset:3088
	ds_load_b128 v[116:119], v79 offset:3072
	;; [unrolled: 1-line block ×4, first 2 shown]
	v_cmp_eq_u32_e64 s2, 1, v78
	v_cmp_eq_u32_e64 s3, 1, v82
	;; [unrolled: 1-line block ×3, first 2 shown]
	v_mov_b32_e32 v85, v84
	v_mov_b32_e32 v86, v84
	;; [unrolled: 1-line block ×7, first 2 shown]
	v_cmp_eq_u32_e64 s5, 2, v78
	s_waitcnt lgkmcnt(8)
	s_delay_alu instid0(VALU_DEP_2)
	v_wmma_f32_16x16x16_f16 v[84:91], v[65:72], v[92:99], v[84:91]
	ds_load_b128 v[69:72], v79 offset:5136
	ds_load_b128 v[65:68], v79 offset:5120
	;; [unrolled: 1-line block ×4, first 2 shown]
	s_waitcnt lgkmcnt(10)
	v_wmma_f32_16x16x16_f16 v[84:91], v[57:64], v[100:107], v[84:91]
	s_waitcnt lgkmcnt(8)
	s_delay_alu instid0(VALU_DEP_1)
	v_wmma_f32_16x16x16_f16 v[84:91], v[57:64], v[108:115], v[84:91]
	ds_load_b128 v[61:64], v79 offset:7184
	ds_load_b128 v[57:60], v79 offset:7168
	;; [unrolled: 1-line block ×4, first 2 shown]
	s_waitcnt lgkmcnt(10)
	v_wmma_f32_16x16x16_f16 v[84:91], v[49:56], v[116:123], v[84:91]
	s_waitcnt lgkmcnt(8)
	s_delay_alu instid0(VALU_DEP_1)
	v_wmma_f32_16x16x16_f16 v[84:91], v[49:56], v[124:131], v[84:91]
	ds_load_b128 v[53:56], v79 offset:9232
	ds_load_b128 v[49:52], v79 offset:9216
	s_waitcnt lgkmcnt(8)
	v_wmma_f32_16x16x16_f16 v[84:91], v[41:48], v[65:72], v[84:91]
	ds_load_b128 v[69:72], v79 offset:10256
	ds_load_b128 v[65:68], v79 offset:10240
	s_waitcnt lgkmcnt(8)
	;; [unrolled: 4-line block ×7, first 2 shown]
	s_barrier
	buffer_gl0_inv
	v_wmma_f32_16x16x16_f16 v[84:91], v[33:40], v[41:48], v[84:91]
	s_delay_alu instid0(VALU_DEP_1) | instskip(NEXT) | instid1(VALU_DEP_1)
	v_wmma_f32_16x16x16_f16 v[84:91], v[33:40], v[57:64], v[84:91]
	v_wmma_f32_16x16x16_f16 v[84:91], v[25:32], v[9:16], v[84:91]
	s_delay_alu instid0(VALU_DEP_1) | instskip(NEXT) | instid1(VALU_DEP_1)
	v_wmma_f32_16x16x16_f16 v[84:91], v[25:32], v[49:56], v[84:91]
	v_wmma_f32_16x16x16_f16 v[84:91], v[17:24], v[1:8], v[84:91]
	s_delay_alu instid0(VALU_DEP_1) | instskip(NEXT) | instid1(VALU_DEP_2)
	v_cvt_f16_f32_e32 v1, v84
	v_cvt_f16_f32_e32 v2, v85
	s_delay_alu instid0(VALU_DEP_3) | instskip(NEXT) | instid1(VALU_DEP_4)
	v_cvt_f16_f32_e32 v3, v86
	v_cvt_f16_f32_e32 v4, v87
	;; [unrolled: 1-line block ×6, first 2 shown]
	v_pack_b32_f16 v1, v1, v2
	v_pack_b32_f16 v2, v3, v4
	;; [unrolled: 1-line block ×3, first 2 shown]
	s_delay_alu instid0(VALU_DEP_4)
	v_pack_b32_f16 v4, v7, v8
	ds_store_b128 v77, v[1:4]
	s_waitcnt lgkmcnt(0)
	s_barrier
	buffer_gl0_inv
	ds_load_b128 v[1:4], v80
	ds_load_b128 v[5:8], v80 offset:16
	s_waitcnt lgkmcnt(1)
	v_lshrrev_b32_e32 v9, 16, v1
	s_waitcnt lgkmcnt(0)
	v_lshrrev_b32_e32 v13, 16, v5
	v_lshrrev_b32_e32 v10, 16, v2
	;; [unrolled: 1-line block ×4, first 2 shown]
	v_cndmask_b32_e64 v17, v1, v9, s2
	v_cndmask_b32_e64 v18, v5, v13, s2
	;; [unrolled: 1-line block ×3, first 2 shown]
	v_cmp_eq_u32_e64 s2, 2, v81
	v_cndmask_b32_e64 v20, v5, v13, s4
	v_cndmask_b32_e32 v21, v1, v9, vcc_lo
	v_cndmask_b32_e32 v22, v5, v13, vcc_lo
	v_cndmask_b32_e64 v1, v1, v9, s3
	v_cndmask_b32_e64 v5, v5, v13, s3
	v_cmp_eq_u32_e32 vcc_lo, 2, v83
	v_cmp_eq_u32_e64 s3, 2, v82
	v_cndmask_b32_e64 v9, v17, v2, s5
	v_cndmask_b32_e64 v13, v18, v6, s5
	;; [unrolled: 1-line block ×4, first 2 shown]
	v_cndmask_b32_e32 v19, v21, v2, vcc_lo
	v_cmp_eq_u32_e64 s2, 3, v83
	v_cndmask_b32_e32 v20, v22, v6, vcc_lo
	v_cndmask_b32_e64 v1, v1, v2, s3
	v_cmp_eq_u32_e32 vcc_lo, 3, v82
	v_cmp_eq_u32_e64 s4, 3, v78
	v_cndmask_b32_e64 v2, v5, v6, s3
	v_cmp_eq_u32_e64 s3, 3, v81
	v_cmp_eq_u32_e64 s5, 4, v78
	v_cndmask_b32_e32 v1, v1, v10, vcc_lo
	v_cndmask_b32_e64 v5, v9, v10, s4
	v_cndmask_b32_e64 v6, v13, v14, s4
	;; [unrolled: 1-line block ×3, first 2 shown]
	v_cmp_eq_u32_e64 s4, 4, v81
	v_cndmask_b32_e64 v13, v18, v14, s3
	v_cndmask_b32_e64 v17, v19, v10, s2
	;; [unrolled: 1-line block ×3, first 2 shown]
	v_cndmask_b32_e32 v2, v2, v14, vcc_lo
	v_cmp_eq_u32_e32 vcc_lo, 4, v83
	v_cmp_eq_u32_e64 s3, 4, v82
	v_lshrrev_b32_e32 v15, 16, v7
	v_cndmask_b32_e64 v5, v5, v3, s5
	v_cndmask_b32_e64 v6, v6, v7, s5
	v_cndmask_b32_e32 v14, v18, v7, vcc_lo
	v_cndmask_b32_e64 v9, v9, v3, s4
	v_cndmask_b32_e64 v10, v13, v7, s4
	v_cndmask_b32_e32 v13, v17, v3, vcc_lo
	v_cmp_eq_u32_e64 s2, 5, v83
	v_cndmask_b32_e64 v1, v1, v3, s3
	v_cmp_eq_u32_e32 vcc_lo, 5, v82
	v_cmp_eq_u32_e64 s4, 5, v78
	v_cndmask_b32_e64 v2, v2, v7, s3
	v_cmp_eq_u32_e64 s3, 5, v81
	v_cmp_eq_u32_e64 s5, 6, v78
	v_lshrrev_b32_e32 v12, 16, v4
	v_cndmask_b32_e64 v3, v5, v11, s4
	v_cndmask_b32_e64 v5, v6, v15, s4
	;; [unrolled: 1-line block ×3, first 2 shown]
	v_cmp_eq_u32_e64 s4, 6, v81
	v_cndmask_b32_e64 v7, v10, v15, s3
	v_cndmask_b32_e64 v9, v13, v11, s2
	;; [unrolled: 1-line block ×3, first 2 shown]
	v_cndmask_b32_e32 v1, v1, v11, vcc_lo
	v_cndmask_b32_e32 v2, v2, v15, vcc_lo
	v_cmp_eq_u32_e32 vcc_lo, 6, v83
	v_cmp_eq_u32_e64 s2, 6, v82
	v_lshrrev_b32_e32 v16, 16, v8
	v_cndmask_b32_e64 v3, v3, v4, s5
	v_cndmask_b32_e64 v5, v5, v8, s5
	v_cndmask_b32_e32 v9, v9, v4, vcc_lo
	v_cndmask_b32_e64 v6, v6, v4, s4
	v_cndmask_b32_e64 v7, v7, v8, s4
	v_cmp_eq_u32_e64 s3, 7, v83
	v_cndmask_b32_e32 v10, v10, v8, vcc_lo
	v_cndmask_b32_e64 v1, v1, v4, s2
	v_cmp_eq_u32_e32 vcc_lo, 7, v82
	v_cndmask_b32_e64 v2, v2, v8, s2
	v_cmp_eq_u32_e64 s2, 7, v78
	v_cmp_eq_u32_e64 s4, 7, v81
	v_cndmask_b32_e32 v1, v1, v12, vcc_lo
	s_delay_alu instid0(VALU_DEP_4) | instskip(NEXT) | instid1(VALU_DEP_4)
	v_cndmask_b32_e32 v2, v2, v16, vcc_lo
	v_cndmask_b32_e64 v8, v3, v12, s2
	s_delay_alu instid0(VALU_DEP_4)
	v_cndmask_b32_e64 v6, v6, v12, s4
	v_cndmask_b32_e64 v3, v9, v12, s3
	;; [unrolled: 1-line block ×5, first 2 shown]
	v_perm_b32 v4, v2, v1, 0x5040100
	s_mov_b32 s2, exec_lo
	v_perm_b32 v3, v9, v3, 0x5040100
	v_perm_b32 v2, v7, v6, 0x5040100
	;; [unrolled: 1-line block ×3, first 2 shown]
	ds_store_b128 v77, v[1:4]
	s_waitcnt lgkmcnt(0)
	s_barrier
	buffer_gl0_inv
	v_cmpx_gt_u32_e32 32, v0
	s_cbranch_execz .LBB313_2
; %bb.17:
	s_load_b64 s[0:1], s[0:1], 0x68
	s_lshl_b32 s4, s34, 7
	v_or_b32_e32 v2, s31, v75
	s_mul_i32 s2, s4, s30
	v_lshlrev_b32_e32 v1, 10, v0
	s_mul_i32 s2, s2, s6
	v_lshlrev_b32_e32 v3, 4, v76
	v_mul_lo_u32 v0, v2, s4
	s_ashr_i32 s3, s2, 31
	v_lshlrev_b32_e32 v4, 6, v75
	v_and_b32_e32 v1, 0x3800, v1
	v_or_b32_e32 v5, 2, v2
	s_lshl_b64 s[2:3], s[2:3], 1
	v_or_b32_e32 v6, 4, v2
	v_or_b32_e32 v7, 6, v2
	v_or3_b32 v12, v1, v3, v4
	v_ashrrev_i32_e32 v1, 31, v0
	v_mul_lo_u32 v2, v5, s4
	v_mul_lo_u32 v16, v6, s4
	;; [unrolled: 1-line block ×3, first 2 shown]
	s_waitcnt lgkmcnt(0)
	s_add_u32 s2, s0, s2
	s_addc_u32 s3, s1, s3
	s_lshl_b32 s0, s14, 7
	v_lshlrev_b64 v[0:1], 1, v[0:1]
	s_ashr_i32 s1, s0, 31
	v_ashrrev_i32_e32 v3, 31, v2
	s_lshl_b64 s[0:1], s[0:1], 1
	v_ashrrev_i32_e32 v17, 31, v16
	s_add_u32 s0, s2, s0
	s_addc_u32 s1, s3, s1
	v_add_co_u32 v24, vcc_lo, s0, v73
	v_add_co_ci_u32_e32 v25, vcc_lo, s1, v74, vcc_lo
	v_lshlrev_b64 v[22:23], 1, v[2:3]
	s_delay_alu instid0(VALU_DEP_3) | instskip(NEXT) | instid1(VALU_DEP_3)
	v_add_co_u32 v18, vcc_lo, v24, v0
	v_add_co_ci_u32_e32 v19, vcc_lo, v25, v1, vcc_lo
	ds_load_b128 v[0:3], v12
	ds_load_b128 v[4:7], v12 offset:128
	ds_load_b128 v[8:11], v12 offset:256
	;; [unrolled: 1-line block ×3, first 2 shown]
	v_ashrrev_i32_e32 v21, 31, v20
	v_lshlrev_b64 v[16:17], 1, v[16:17]
	v_add_co_u32 v22, vcc_lo, v24, v22
	v_add_co_ci_u32_e32 v23, vcc_lo, v25, v23, vcc_lo
	s_delay_alu instid0(VALU_DEP_4) | instskip(NEXT) | instid1(VALU_DEP_4)
	v_lshlrev_b64 v[20:21], 1, v[20:21]
	v_add_co_u32 v16, vcc_lo, v24, v16
	v_add_co_ci_u32_e32 v17, vcc_lo, v25, v17, vcc_lo
	s_delay_alu instid0(VALU_DEP_3) | instskip(NEXT) | instid1(VALU_DEP_4)
	v_add_co_u32 v20, vcc_lo, v24, v20
	v_add_co_ci_u32_e32 v21, vcc_lo, v25, v21, vcc_lo
	s_waitcnt lgkmcnt(3)
	global_store_b128 v[18:19], v[0:3], off
	s_waitcnt lgkmcnt(2)
	global_store_b128 v[22:23], v[4:7], off
	;; [unrolled: 2-line block ×4, first 2 shown]
	s_nop 0
	s_sendmsg sendmsg(MSG_DEALLOC_VGPRS)
	s_endpgm
	.section	.rodata,"a",@progbits
	.p2align	6, 0x0
	.amdhsa_kernel _Z39paged_attention_ll4mi_QKV_mfma16_kernelIDF16_DF16_LN4vllm18Fp8KVCacheDataTypeE0EhLi32ELi128ELi256ELb1ELi8EL8MFMAType0EEvPKT_PKT0_S8_ifPKiSA_SA_iPKfiiiPfSD_PS3_PT2_iSC_SC_
		.amdhsa_group_segment_fixed_size 17472
		.amdhsa_private_segment_fixed_size 0
		.amdhsa_kernarg_size 400
		.amdhsa_user_sgpr_count 13
		.amdhsa_user_sgpr_dispatch_ptr 0
		.amdhsa_user_sgpr_queue_ptr 0
		.amdhsa_user_sgpr_kernarg_segment_ptr 1
		.amdhsa_user_sgpr_dispatch_id 0
		.amdhsa_user_sgpr_private_segment_size 0
		.amdhsa_wavefront_size32 1
		.amdhsa_uses_dynamic_stack 0
		.amdhsa_enable_private_segment 0
		.amdhsa_system_sgpr_workgroup_id_x 1
		.amdhsa_system_sgpr_workgroup_id_y 1
		.amdhsa_system_sgpr_workgroup_id_z 1
		.amdhsa_system_sgpr_workgroup_info 0
		.amdhsa_system_vgpr_workitem_id 0
		.amdhsa_next_free_vgpr 172
		.amdhsa_next_free_sgpr 38
		.amdhsa_reserve_vcc 1
		.amdhsa_float_round_mode_32 0
		.amdhsa_float_round_mode_16_64 0
		.amdhsa_float_denorm_mode_32 3
		.amdhsa_float_denorm_mode_16_64 3
		.amdhsa_dx10_clamp 1
		.amdhsa_ieee_mode 1
		.amdhsa_fp16_overflow 0
		.amdhsa_workgroup_processor_mode 1
		.amdhsa_memory_ordered 1
		.amdhsa_forward_progress 0
		.amdhsa_shared_vgpr_count 0
		.amdhsa_exception_fp_ieee_invalid_op 0
		.amdhsa_exception_fp_denorm_src 0
		.amdhsa_exception_fp_ieee_div_zero 0
		.amdhsa_exception_fp_ieee_overflow 0
		.amdhsa_exception_fp_ieee_underflow 0
		.amdhsa_exception_fp_ieee_inexact 0
		.amdhsa_exception_int_div_zero 0
	.end_amdhsa_kernel
	.section	.text._Z39paged_attention_ll4mi_QKV_mfma16_kernelIDF16_DF16_LN4vllm18Fp8KVCacheDataTypeE0EhLi32ELi128ELi256ELb1ELi8EL8MFMAType0EEvPKT_PKT0_S8_ifPKiSA_SA_iPKfiiiPfSD_PS3_PT2_iSC_SC_,"axG",@progbits,_Z39paged_attention_ll4mi_QKV_mfma16_kernelIDF16_DF16_LN4vllm18Fp8KVCacheDataTypeE0EhLi32ELi128ELi256ELb1ELi8EL8MFMAType0EEvPKT_PKT0_S8_ifPKiSA_SA_iPKfiiiPfSD_PS3_PT2_iSC_SC_,comdat
.Lfunc_end313:
	.size	_Z39paged_attention_ll4mi_QKV_mfma16_kernelIDF16_DF16_LN4vllm18Fp8KVCacheDataTypeE0EhLi32ELi128ELi256ELb1ELi8EL8MFMAType0EEvPKT_PKT0_S8_ifPKiSA_SA_iPKfiiiPfSD_PS3_PT2_iSC_SC_, .Lfunc_end313-_Z39paged_attention_ll4mi_QKV_mfma16_kernelIDF16_DF16_LN4vllm18Fp8KVCacheDataTypeE0EhLi32ELi128ELi256ELb1ELi8EL8MFMAType0EEvPKT_PKT0_S8_ifPKiSA_SA_iPKfiiiPfSD_PS3_PT2_iSC_SC_
                                        ; -- End function
	.section	.AMDGPU.csdata,"",@progbits
; Kernel info:
; codeLenInByte = 7496
; NumSgprs: 40
; NumVgprs: 172
; ScratchSize: 0
; MemoryBound: 0
; FloatMode: 240
; IeeeMode: 1
; LDSByteSize: 17472 bytes/workgroup (compile time only)
; SGPRBlocks: 4
; VGPRBlocks: 21
; NumSGPRsForWavesPerEU: 40
; NumVGPRsForWavesPerEU: 172
; Occupancy: 8
; WaveLimiterHint : 1
; COMPUTE_PGM_RSRC2:SCRATCH_EN: 0
; COMPUTE_PGM_RSRC2:USER_SGPR: 13
; COMPUTE_PGM_RSRC2:TRAP_HANDLER: 0
; COMPUTE_PGM_RSRC2:TGID_X_EN: 1
; COMPUTE_PGM_RSRC2:TGID_Y_EN: 1
; COMPUTE_PGM_RSRC2:TGID_Z_EN: 1
; COMPUTE_PGM_RSRC2:TIDIG_COMP_CNT: 0
	.section	.text._Z39paged_attention_ll4mi_QKV_mfma16_kernelIDF16_DF16_LN4vllm18Fp8KVCacheDataTypeE0EhLi32ELi128ELi256ELb1ELi9EL8MFMAType0EEvPKT_PKT0_S8_ifPKiSA_SA_iPKfiiiPfSD_PS3_PT2_iSC_SC_,"axG",@progbits,_Z39paged_attention_ll4mi_QKV_mfma16_kernelIDF16_DF16_LN4vllm18Fp8KVCacheDataTypeE0EhLi32ELi128ELi256ELb1ELi9EL8MFMAType0EEvPKT_PKT0_S8_ifPKiSA_SA_iPKfiiiPfSD_PS3_PT2_iSC_SC_,comdat
	.protected	_Z39paged_attention_ll4mi_QKV_mfma16_kernelIDF16_DF16_LN4vllm18Fp8KVCacheDataTypeE0EhLi32ELi128ELi256ELb1ELi9EL8MFMAType0EEvPKT_PKT0_S8_ifPKiSA_SA_iPKfiiiPfSD_PS3_PT2_iSC_SC_ ; -- Begin function _Z39paged_attention_ll4mi_QKV_mfma16_kernelIDF16_DF16_LN4vllm18Fp8KVCacheDataTypeE0EhLi32ELi128ELi256ELb1ELi9EL8MFMAType0EEvPKT_PKT0_S8_ifPKiSA_SA_iPKfiiiPfSD_PS3_PT2_iSC_SC_
	.globl	_Z39paged_attention_ll4mi_QKV_mfma16_kernelIDF16_DF16_LN4vllm18Fp8KVCacheDataTypeE0EhLi32ELi128ELi256ELb1ELi9EL8MFMAType0EEvPKT_PKT0_S8_ifPKiSA_SA_iPKfiiiPfSD_PS3_PT2_iSC_SC_
	.p2align	8
	.type	_Z39paged_attention_ll4mi_QKV_mfma16_kernelIDF16_DF16_LN4vllm18Fp8KVCacheDataTypeE0EhLi32ELi128ELi256ELb1ELi9EL8MFMAType0EEvPKT_PKT0_S8_ifPKiSA_SA_iPKfiiiPfSD_PS3_PT2_iSC_SC_,@function
_Z39paged_attention_ll4mi_QKV_mfma16_kernelIDF16_DF16_LN4vllm18Fp8KVCacheDataTypeE0EhLi32ELi128ELi256ELb1ELi9EL8MFMAType0EEvPKT_PKT0_S8_ifPKiSA_SA_iPKfiiiPfSD_PS3_PT2_iSC_SC_: ; @_Z39paged_attention_ll4mi_QKV_mfma16_kernelIDF16_DF16_LN4vllm18Fp8KVCacheDataTypeE0EhLi32ELi128ELi256ELb1ELi9EL8MFMAType0EEvPKT_PKT0_S8_ifPKiSA_SA_iPKfiiiPfSD_PS3_PT2_iSC_SC_
; %bb.0:
	s_load_b64 s[2:3], s[0:1], 0x30
	s_mov_b32 s34, s13
	s_waitcnt lgkmcnt(0)
	s_cmp_lg_u64 s[2:3], 0
	s_cselect_b32 s6, -1, 0
	s_ashr_i32 s35, s13, 31
	s_cmp_eq_u64 s[2:3], 0
	s_cbranch_scc1 .LBB314_3
; %bb.1:
	s_lshl_b64 s[4:5], s[34:35], 2
	s_delay_alu instid0(SALU_CYCLE_1) | instskip(SKIP_4) | instid1(SALU_CYCLE_1)
	s_add_u32 s4, s2, s4
	s_addc_u32 s5, s3, s5
	s_load_b64 s[4:5], s[4:5], 0x0
	s_waitcnt lgkmcnt(0)
	s_sub_i32 s4, s5, s4
	s_cmp_eq_u32 s4, 1
	s_cselect_b32 s4, -1, 0
	s_delay_alu instid0(SALU_CYCLE_1)
	s_and_not1_b32 vcc_lo, exec_lo, s4
	s_cbranch_vccz .LBB314_4
.LBB314_2:
	s_nop 0
	s_sendmsg sendmsg(MSG_DEALLOC_VGPRS)
	s_endpgm
.LBB314_3:
.LBB314_4:
	s_load_b64 s[8:9], s[0:1], 0x28
	s_lshl_b64 s[4:5], s[34:35], 2
	s_waitcnt lgkmcnt(0)
	s_add_u32 s8, s8, s4
	s_addc_u32 s9, s9, s5
	s_lshl_b32 s12, s14, 8
	s_load_b32 s17, s[8:9], 0x0
	s_waitcnt lgkmcnt(0)
	s_cmp_ge_i32 s12, s17
	s_cbranch_scc1 .LBB314_2
; %bb.5:
	s_and_not1_b32 vcc_lo, exec_lo, s6
	s_cbranch_vccnz .LBB314_7
; %bb.6:
	s_add_u32 s2, s2, s4
	s_addc_u32 s3, s3, s5
	s_load_b32 s13, s[2:3], 0x0
	s_branch .LBB314_8
.LBB314_7:
	s_mov_b32 s13, s34
.LBB314_8:
	s_clause 0x2
	s_load_b128 s[8:11], s[0:1], 0x8
	s_load_b64 s[2:3], s[0:1], 0x20
	s_load_b128 s[4:7], s[0:1], 0x48
	v_lshrrev_b32_e32 v78, 5, v0
	v_bfe_u32 v75, v0, 4, 1
	v_and_b32_e32 v77, 15, v0
	s_waitcnt lgkmcnt(0)
	s_mov_b32 s7, exec_lo
	s_delay_alu instid0(VALU_DEP_2) | instskip(NEXT) | instid1(VALU_DEP_2)
	v_lshl_or_b32 v3, v78, 1, v75
	v_lshlrev_b32_e32 v1, 3, v77
	s_delay_alu instid0(VALU_DEP_2)
	v_cmpx_lt_u32_e32 8, v3
	s_xor_b32 s7, exec_lo, s7
; %bb.9:
	v_mov_b32_e32 v2, 0
                                        ; implicit-def: $vgpr3
; %bb.10:
	s_or_saveexec_b32 s7, s7
	v_and_b32_e32 v80, 31, v0
	v_and_b32_e32 v76, 1, v0
	s_mul_i32 s31, s15, 9
	s_xor_b32 exec_lo, exec_lo, s7
	s_cbranch_execz .LBB314_12
; %bb.11:
	s_load_b64 s[18:19], s[0:1], 0x0
	v_add_lshl_u32 v4, v3, s31, 7
	s_mul_hi_i32 s21, s13, s4
	s_mul_i32 s20, s13, s4
	v_lshlrev_b32_e32 v2, 1, v1
	s_lshl_b64 s[20:21], s[20:21], 1
	v_ashrrev_i32_e32 v5, 31, v4
	v_lshlrev_b32_e32 v3, 6, v3
	v_lshlrev_b32_e32 v8, 10, v76
	s_delay_alu instid0(VALU_DEP_3) | instskip(SKIP_3) | instid1(VALU_DEP_1)
	v_lshlrev_b64 v[4:5], 1, v[4:5]
	s_waitcnt lgkmcnt(0)
	s_add_u32 s4, s18, s20
	s_addc_u32 s13, s19, s21
	v_add_co_u32 v4, vcc_lo, s4, v4
	s_delay_alu instid0(VALU_DEP_2) | instskip(NEXT) | instid1(VALU_DEP_2)
	v_add_co_ci_u32_e32 v5, vcc_lo, s13, v5, vcc_lo
	v_add_co_u32 v4, vcc_lo, v4, v2
	s_delay_alu instid0(VALU_DEP_2) | instskip(SKIP_3) | instid1(VALU_DEP_1)
	v_add_co_ci_u32_e32 v5, vcc_lo, 0, v5, vcc_lo
	v_lshlrev_b32_e32 v2, 10, v77
	global_load_b128 v[4:7], v[4:5], off
	v_and_b32_e32 v2, 0x3800, v2
	v_or3_b32 v3, v2, v8, v3
	v_mov_b32_e32 v2, 0
	s_waitcnt vmcnt(0)
	ds_store_b128 v3, v[4:7]
.LBB314_12:
	s_or_b32 exec_lo, exec_lo, s7
	v_and_b32_e32 v3, 0xef, v0
	s_add_i32 s4, s17, 31
	s_clause 0x1
	s_load_b32 s7, s[0:1], 0x38
	s_load_b32 s33, s[0:1], 0x98
	s_ashr_i32 s13, s4, 31
	v_add_nc_u32_e32 v3, s12, v3
	s_lshr_b32 s13, s13, 27
	s_load_b32 s18, s[0:1], 0x1c
	s_add_i32 s4, s4, s13
	s_waitcnt lgkmcnt(0)
	v_ashrrev_i32_e32 v4, 31, v3
	v_cmp_gt_i32_e32 vcc_lo, s17, v3
	s_ashr_i32 s4, s4, 5
	s_barrier
	s_add_i32 s4, s4, -1
	v_lshrrev_b32_e32 v5, 27, v4
	v_or_b32_e32 v4, 16, v3
	buffer_gl0_inv
	v_lshlrev_b64 v[73:74], 1, v[1:2]
	v_lshlrev_b32_e32 v79, 6, v77
	v_add_nc_u32_e32 v6, v3, v5
	v_add_nc_u32_e32 v5, v4, v5
	s_mul_i32 s20, s34, s7
	s_delay_alu instid0(SALU_CYCLE_1) | instskip(NEXT) | instid1(VALU_DEP_2)
	s_ashr_i32 s21, s20, 31
	v_ashrrev_i32_e32 v6, 5, v6
	s_delay_alu instid0(VALU_DEP_2) | instskip(SKIP_1) | instid1(SALU_CYCLE_1)
	v_ashrrev_i32_e32 v5, 5, v5
	s_lshl_b64 s[20:21], s[20:21], 2
	s_add_u32 s13, s2, s20
	s_delay_alu instid0(VALU_DEP_2) | instskip(SKIP_3) | instid1(SALU_CYCLE_1)
	v_cndmask_b32_e32 v3, s4, v6, vcc_lo
	v_cmp_gt_i32_e32 vcc_lo, s17, v4
	s_addc_u32 s16, s3, s21
	s_mul_i32 s2, s15, s6
	s_ashr_i32 s3, s2, 31
	v_cndmask_b32_e32 v5, s4, v5, vcc_lo
	v_ashrrev_i32_e32 v4, 31, v3
	s_lshl_b64 s[2:3], s[2:3], 1
	s_delay_alu instid0(SALU_CYCLE_1) | instskip(NEXT) | instid1(VALU_DEP_2)
	s_add_u32 s15, s8, s2
	v_ashrrev_i32_e32 v6, 31, v5
	s_delay_alu instid0(VALU_DEP_2) | instskip(SKIP_2) | instid1(VALU_DEP_2)
	v_lshlrev_b64 v[3:4], 2, v[3:4]
	s_addc_u32 s19, s9, s3
	s_lshl_b32 s6, s14, 3
	v_lshlrev_b64 v[5:6], 2, v[5:6]
	s_ashr_i32 s7, s6, 31
	s_delay_alu instid0(VALU_DEP_2) | instskip(SKIP_1) | instid1(VALU_DEP_3)
	v_add_co_u32 v3, vcc_lo, s13, v3
	v_add_co_ci_u32_e32 v4, vcc_lo, s16, v4, vcc_lo
	v_add_co_u32 v5, vcc_lo, s13, v5
	s_delay_alu instid0(VALU_DEP_4)
	v_add_co_ci_u32_e32 v6, vcc_lo, s16, v6, vcc_lo
	s_lshl_b64 s[6:7], s[6:7], 2
	s_clause 0x1
	global_load_b32 v7, v[3:4], off
	global_load_b32 v8, v[5:6], off
	s_add_u32 s6, s13, s6
	s_addc_u32 s7, s16, s7
	s_or_b32 s8, s12, 32
	s_delay_alu instid0(SALU_CYCLE_1) | instskip(SKIP_2) | instid1(SALU_CYCLE_1)
	s_ashr_i32 s9, s8, 5
	s_cmp_lt_i32 s8, s17
	s_cselect_b32 s8, s9, s4
	s_ashr_i32 s9, s8, 31
	s_delay_alu instid0(SALU_CYCLE_1) | instskip(NEXT) | instid1(SALU_CYCLE_1)
	s_lshl_b64 s[8:9], s[8:9], 2
	s_add_u32 s8, s13, s8
	s_addc_u32 s9, s16, s9
	s_or_b32 s20, s12, 64
	s_delay_alu instid0(SALU_CYCLE_1) | instskip(SKIP_2) | instid1(SALU_CYCLE_1)
	s_ashr_i32 s21, s20, 5
	s_cmp_lt_i32 s20, s17
	s_cselect_b32 s20, s21, s4
	s_ashr_i32 s21, s20, 31
	s_delay_alu instid0(SALU_CYCLE_1) | instskip(NEXT) | instid1(SALU_CYCLE_1)
	s_lshl_b64 s[20:21], s[20:21], 2
	;; [unrolled: 10-line block ×5, first 2 shown]
	s_add_u32 s26, s13, s26
	s_addc_u32 s27, s16, s27
	s_clause 0x5
	s_load_b32 s28, s[6:7], 0x0
	s_load_b32 s29, s[8:9], 0x0
	s_load_b32 s30, s[20:21], 0x0
	s_load_b32 s35, s[22:23], 0x0
	s_load_b32 s36, s[24:25], 0x0
	s_load_b32 s38, s[26:27], 0x0
	s_mov_b32 s20, 0
	s_or_b32 s6, s12, 0xc0
	s_mov_b32 s21, s20
	s_mov_b32 s22, s20
	;; [unrolled: 1-line block ×7, first 2 shown]
	s_ashr_i32 s7, s6, 5
	v_mov_b32_e32 v128, s27
	s_cmp_lt_i32 s6, s17
	v_mov_b32_e32 v127, s26
	s_cselect_b32 s6, s7, s4
	v_mov_b32_e32 v126, s25
	s_ashr_i32 s7, s6, 31
	v_mov_b32_e32 v125, s24
	s_lshl_b64 s[6:7], s[6:7], 2
	v_mov_b32_e32 v124, s23
	s_add_u32 s6, s13, s6
	s_addc_u32 s7, s16, s7
	v_mov_b32_e32 v123, s22
	v_mov_b32_e32 v121, s20
	s_waitcnt lgkmcnt(0)
	s_mul_hi_i32 s9, s28, s5
	s_mul_i32 s8, s28, s5
	s_mul_hi_i32 s37, s38, s5
	v_mov_b32_e32 v122, s21
	s_mul_hi_i32 s21, s29, s5
	s_mul_i32 s20, s29, s5
	s_mul_hi_i32 s25, s30, s5
	s_mul_i32 s24, s30, s5
	;; [unrolled: 2-line block ×3, first 2 shown]
	s_waitcnt vmcnt(1)
	v_mad_i64_i32 v[3:4], null, v7, s5, 0
	s_waitcnt vmcnt(0)
	v_mad_i64_i32 v[5:6], null, v8, s5, 0
	s_delay_alu instid0(VALU_DEP_2) | instskip(NEXT) | instid1(VALU_DEP_2)
	v_lshlrev_b64 v[3:4], 1, v[3:4]
	v_lshlrev_b64 v[1:2], 1, v[5:6]
	s_delay_alu instid0(VALU_DEP_2) | instskip(NEXT) | instid1(VALU_DEP_3)
	v_add_co_u32 v3, vcc_lo, s15, v3
	v_add_co_ci_u32_e32 v4, vcc_lo, s19, v4, vcc_lo
	s_delay_alu instid0(VALU_DEP_3) | instskip(NEXT) | instid1(VALU_DEP_4)
	v_add_co_u32 v1, vcc_lo, s15, v1
	v_add_co_ci_u32_e32 v2, vcc_lo, s19, v2, vcc_lo
	s_delay_alu instid0(VALU_DEP_4) | instskip(NEXT) | instid1(VALU_DEP_4)
	v_add_co_u32 v65, vcc_lo, v3, v73
	v_add_co_ci_u32_e32 v66, vcc_lo, v4, v74, vcc_lo
	s_delay_alu instid0(VALU_DEP_4) | instskip(NEXT) | instid1(VALU_DEP_4)
	v_add_co_u32 v67, vcc_lo, v1, v73
	v_add_co_ci_u32_e32 v68, vcc_lo, v2, v74, vcc_lo
	s_clause 0xf
	global_load_b128 v[1:4], v[65:66], off
	global_load_b128 v[5:8], v[65:66], off offset:512
	global_load_b128 v[9:12], v[67:68], off offset:256
	;; [unrolled: 1-line block ×15, first 2 shown]
	v_add_co_u32 v157, vcc_lo, 0x1000, v65
	v_add_co_ci_u32_e32 v158, vcc_lo, 0, v66, vcc_lo
	v_add_co_u32 v165, vcc_lo, 0x1000, v67
	v_add_co_ci_u32_e32 v166, vcc_lo, 0, v68, vcc_lo
	s_clause 0x7
	global_load_b128 v[81:84], v[157:158], off
	global_load_b128 v[85:88], v[157:158], off offset:512
	global_load_b128 v[89:92], v[165:166], off offset:256
	;; [unrolled: 1-line block ×7, first 2 shown]
	v_add_nc_u32_e32 v65, -9, v77
	v_cmp_gt_u32_e32 vcc_lo, 9, v77
	s_or_b32 s15, s12, 0xe0
	s_delay_alu instid0(SALU_CYCLE_1) | instskip(SKIP_3) | instid1(SALU_CYCLE_1)
	s_ashr_i32 s19, s15, 5
	s_cmp_lt_i32 s15, s17
	v_cndmask_b32_e32 v65, v65, v77, vcc_lo
	s_cselect_b32 s22, s19, s4
	s_ashr_i32 s23, s22, 31
	s_delay_alu instid0(VALU_DEP_1)
	v_lshlrev_b32_e32 v169, 6, v65
	ds_load_b128 v[65:68], v169
	ds_load_b128 v[69:72], v169 offset:1024
	s_clause 0x1
	global_load_b128 v[113:116], v[157:158], off offset:2048
	global_load_b128 v[117:120], v[157:158], off offset:2560
	ds_load_b128 v[129:132], v169 offset:2048
	ds_load_b128 v[133:136], v169 offset:3072
	s_clause 0x5
	global_load_b128 v[145:148], v[165:166], off offset:2304
	global_load_b128 v[149:152], v[165:166], off offset:2816
	;; [unrolled: 1-line block ×6, first 2 shown]
	s_lshl_b64 s[22:23], s[22:23], 2
	s_delay_alu instid0(SALU_CYCLE_1) | instskip(SKIP_2) | instid1(SALU_CYCLE_1)
	s_add_u32 s22, s13, s22
	s_addc_u32 s23, s16, s23
	s_add_i32 s15, s12, 0x100
	s_ashr_i32 s19, s15, 5
	s_cmp_lt_i32 s15, s17
	s_cselect_b32 s28, s19, s4
	s_delay_alu instid0(SALU_CYCLE_1) | instskip(NEXT) | instid1(SALU_CYCLE_1)
	s_ashr_i32 s29, s28, 31
	s_lshl_b64 s[28:29], s[28:29], 2
	s_delay_alu instid0(SALU_CYCLE_1)
	s_add_u32 s28, s13, s28
	s_addc_u32 s29, s16, s29
	s_add_u32 s4, s10, s2
	s_addc_u32 s19, s11, s3
	s_lshl_b64 s[2:3], s[8:9], 1
	s_lshl_b64 s[8:9], s[20:21], 1
	;; [unrolled: 1-line block ×4, first 2 shown]
	s_waitcnt vmcnt(30) lgkmcnt(2)
	v_wmma_f32_16x16x16_f16 v[137:144], v[1:8], v[65:72], v[121:128]
	ds_load_b128 v[1:4], v169 offset:4096
	ds_load_b128 v[5:8], v169 offset:5120
	s_waitcnt vmcnt(28)
	v_wmma_f32_16x16x16_f16 v[121:128], v[9:16], v[65:72], v[121:128]
	ds_load_b128 v[9:12], v169 offset:6144
	ds_load_b128 v[13:16], v169 offset:7168
	s_waitcnt vmcnt(26) lgkmcnt(4)
	v_wmma_f32_16x16x16_f16 v[137:144], v[17:24], v[129:136], v[137:144]
	ds_load_b128 v[17:20], v169 offset:8192
	ds_load_b128 v[21:24], v169 offset:9216
	s_waitcnt vmcnt(24)
	v_wmma_f32_16x16x16_f16 v[121:128], v[25:32], v[129:136], v[121:128]
	v_lshl_or_b32 v25, v78, 10, v79
	ds_load_b128 v[129:132], v169 offset:10240
	ds_load_b128 v[133:136], v169 offset:11264
	s_clause 0x2
	s_load_b32 s15, s[6:7], 0x0
	s_load_b32 s13, s[22:23], 0x0
	;; [unrolled: 1-line block ×3, first 2 shown]
	s_mul_hi_i32 s7, s36, s5
	v_add_co_u32 v170, s4, s4, v25
	s_delay_alu instid0(VALU_DEP_1)
	v_add_co_ci_u32_e64 v171, null, s19, 0, s4
	s_mul_i32 s6, s36, s5
	s_mul_i32 s36, s38, s5
	s_lshl_b64 s[6:7], s[6:7], 1
	s_lshl_b64 s[22:23], s[36:37], 1
	s_waitcnt vmcnt(22) lgkmcnt(0)
	v_wmma_f32_16x16x16_f16 v[137:144], v[33:40], v[1:8], v[137:144]
	s_waitcnt vmcnt(20)
	v_wmma_f32_16x16x16_f16 v[121:128], v[41:48], v[1:8], v[121:128]
	v_add_co_u32 v1, vcc_lo, v170, s2
	v_add_co_ci_u32_e32 v2, vcc_lo, s3, v171, vcc_lo
	v_add_co_u32 v3, vcc_lo, v170, s8
	v_add_co_ci_u32_e32 v4, vcc_lo, s9, v171, vcc_lo
	v_add_co_u32 v5, vcc_lo, v170, s10
	v_add_co_ci_u32_e32 v6, vcc_lo, s11, v171, vcc_lo
	v_add_co_u32 v7, vcc_lo, v170, s20
	v_add_co_ci_u32_e32 v8, vcc_lo, s21, v171, vcc_lo
	v_add_co_u32 v25, vcc_lo, v170, s6
	s_mul_hi_i32 s25, s15, s5
	s_mul_i32 s24, s15, s5
	v_add_co_ci_u32_e32 v26, vcc_lo, s7, v171, vcc_lo
	v_add_co_u32 v27, vcc_lo, v170, s22
	s_lshl_b64 s[24:25], s[24:25], 1
	s_waitcnt vmcnt(18)
	v_wmma_f32_16x16x16_f16 v[137:144], v[49:56], v[9:16], v[137:144]
	s_waitcnt vmcnt(16)
	v_wmma_f32_16x16x16_f16 v[121:128], v[57:64], v[9:16], v[121:128]
	v_add_co_ci_u32_e32 v28, vcc_lo, s23, v171, vcc_lo
	s_mul_hi_i32 s3, s13, s5
	s_mul_i32 s2, s13, s5
	v_add_co_u32 v29, vcc_lo, v170, s24
	s_lshl_b64 s[2:3], s[2:3], 1
	v_add_co_ci_u32_e32 v30, vcc_lo, s25, v171, vcc_lo
	s_waitcnt vmcnt(14)
	v_wmma_f32_16x16x16_f16 v[137:144], v[81:88], v[17:24], v[137:144]
	s_waitcnt vmcnt(12)
	v_wmma_f32_16x16x16_f16 v[121:128], v[89:96], v[17:24], v[121:128]
	v_add_co_u32 v17, vcc_lo, v170, s2
	v_add_co_ci_u32_e32 v18, vcc_lo, s3, v171, vcc_lo
	s_mul_hi_i32 s3, s16, s5
	s_mul_i32 s2, s16, s5
	s_clause 0x5
	global_load_b128 v[65:68], v[1:2], off
	global_load_b128 v[69:72], v[1:2], off offset:16
	global_load_b128 v[57:60], v[3:4], off
	global_load_b128 v[61:64], v[3:4], off offset:16
	;; [unrolled: 2-line block ×3, first 2 shown]
	s_lshl_b64 s[2:3], s[2:3], 1
	s_clause 0x1
	global_load_b128 v[41:44], v[7:8], off
	global_load_b128 v[45:48], v[7:8], off offset:16
	v_add_co_u32 v21, vcc_lo, v170, s2
	v_add_co_ci_u32_e32 v22, vcc_lo, s3, v171, vcc_lo
	s_clause 0x9
	global_load_b128 v[9:12], v[25:26], off
	global_load_b128 v[13:16], v[25:26], off offset:16
	global_load_b128 v[1:4], v[27:28], off
	global_load_b128 v[5:8], v[27:28], off offset:16
	;; [unrolled: 2-line block ×5, first 2 shown]
	ds_load_b128 v[81:84], v169 offset:12288
	ds_load_b128 v[85:88], v169 offset:13312
	v_and_b32_e32 v89, 0xe0, v0
	s_waitcnt vmcnt(28)
	v_wmma_f32_16x16x16_f16 v[137:144], v[97:104], v[129:136], v[137:144]
	v_mbcnt_lo_u32_b32 v97, -1, 0
	s_waitcnt vmcnt(26)
	v_wmma_f32_16x16x16_f16 v[121:128], v[105:112], v[129:136], v[121:128]
	v_add_nc_u32_e32 v98, s12, v89
	ds_load_b128 v[89:92], v169 offset:14336
	ds_load_b128 v[93:96], v169 offset:15360
	v_xor_b32_e32 v99, 16, v97
	s_waitcnt vmcnt(0) lgkmcnt(0)
	s_barrier
	v_or_b32_e32 v98, v98, v75
	buffer_gl0_inv
	v_cmp_gt_i32_e32 vcc_lo, 32, v99
	v_or_b32_e32 v100, 4, v98
	v_or_b32_e32 v101, 22, v98
	;; [unrolled: 1-line block ×4, first 2 shown]
	v_wmma_f32_16x16x16_f16 v[137:144], v[113:120], v[81:88], v[137:144]
	v_wmma_f32_16x16x16_f16 v[121:128], v[145:152], v[81:88], v[121:128]
	v_or_b32_e32 v81, 6, v98
	v_or_b32_e32 v82, 8, v98
	v_or_b32_e32 v83, 10, v98
	v_cmp_gt_i32_e64 s3, s17, v100
	v_or_b32_e32 v84, 12, v98
	v_wmma_f32_16x16x16_f16 v[137:144], v[153:160], v[89:96], v[137:144]
	v_wmma_f32_16x16x16_f16 v[121:128], v[161:168], v[89:96], v[121:128]
	v_cndmask_b32_e32 v97, v97, v99, vcc_lo
	v_or_b32_e32 v99, 2, v98
	v_cmp_gt_i32_e32 vcc_lo, s17, v98
	v_dual_mul_f32 v95, s18, v138 :: v_dual_mul_f32 v96, s18, v137
	v_mul_f32_e32 v93, s18, v140
	s_delay_alu instid0(VALU_DEP_4)
	v_cmp_gt_i32_e64 s2, s17, v99
	v_mul_f32_e32 v94, s18, v139
	v_mul_f32_e32 v110, s18, v124
	v_cndmask_b32_e32 v96, 0xff7fffff, v96, vcc_lo
	v_cmp_gt_i32_e64 s4, s17, v81
	v_cndmask_b32_e64 v95, 0xff7fffff, v95, s2
	v_or_b32_e32 v85, 14, v98
	v_dual_mul_f32 v91, s18, v142 :: v_dual_mul_f32 v92, s18, v141
	v_cndmask_b32_e64 v94, 0xff7fffff, v94, s3
	v_cndmask_b32_e64 v81, 0xff7fffff, v93, s4
	v_max3_f32 v93, v96, 0xff7fffff, v95
	v_cmp_gt_i32_e64 s5, s17, v82
	v_cmp_gt_i32_e64 s6, s17, v83
	v_or_b32_e32 v86, 16, v98
	v_or_b32_e32 v87, 18, v98
	v_dual_mul_f32 v89, s18, v144 :: v_dual_mul_f32 v112, s18, v122
	v_mul_f32_e32 v90, s18, v143
	v_cndmask_b32_e64 v82, 0xff7fffff, v92, s5
	v_cndmask_b32_e64 v83, 0xff7fffff, v91, s6
	v_max3_f32 v81, v93, v94, v81
	v_cmp_gt_i32_e64 s7, s17, v84
	v_cmp_gt_i32_e64 s8, s17, v85
	v_or_b32_e32 v88, 20, v98
	v_mul_f32_e32 v113, s18, v121
	v_max3_f32 v81, v81, v82, v83
	v_cndmask_b32_e64 v84, 0xff7fffff, v90, s7
	v_cndmask_b32_e64 v85, 0xff7fffff, v89, s8
	v_cmp_gt_i32_e64 s9, s17, v86
	v_cmp_gt_i32_e64 s10, s17, v87
	v_mul_f32_e32 v111, s18, v123
	v_cmp_gt_i32_e64 s11, s17, v88
	v_max3_f32 v81, v81, v84, v85
	v_cndmask_b32_e64 v82, 0xff7fffff, v113, s9
	v_cndmask_b32_e64 v83, 0xff7fffff, v112, s10
	v_cmp_gt_i32_e64 s12, s17, v101
	v_or_b32_e32 v104, 28, v98
	v_or_b32_e32 v105, 30, v98
	v_dual_mul_f32 v108, s18, v126 :: v_dual_mul_f32 v109, s18, v125
	v_cndmask_b32_e64 v84, 0xff7fffff, v111, s11
	v_cndmask_b32_e64 v85, 0xff7fffff, v110, s12
	v_max3_f32 v81, v81, v82, v83
	v_cmp_gt_i32_e64 s13, s17, v102
	v_cmp_gt_i32_e64 s15, s17, v103
	v_dual_mul_f32 v106, s18, v128 :: v_dual_mul_f32 v107, s18, v127
	s_delay_alu instid0(VALU_DEP_4) | instskip(NEXT) | instid1(VALU_DEP_4)
	v_max3_f32 v81, v81, v84, v85
	v_cndmask_b32_e64 v82, 0xff7fffff, v109, s13
	s_delay_alu instid0(VALU_DEP_4) | instskip(SKIP_2) | instid1(VALU_DEP_3)
	v_cndmask_b32_e64 v83, 0xff7fffff, v108, s15
	v_cmp_gt_i32_e64 s16, s17, v104
	v_cmp_gt_i32_e64 s17, s17, v105
	v_max3_f32 v81, v81, v82, v83
	s_delay_alu instid0(VALU_DEP_3) | instskip(NEXT) | instid1(VALU_DEP_3)
	v_cndmask_b32_e64 v84, 0xff7fffff, v107, s16
	v_cndmask_b32_e64 v85, 0xff7fffff, v106, s17
	v_lshlrev_b32_e32 v83, 2, v97
	s_delay_alu instid0(VALU_DEP_2) | instskip(SKIP_3) | instid1(VALU_DEP_1)
	v_max3_f32 v81, v81, v84, v85
	ds_bpermute_b32 v82, v83, v81
	s_waitcnt lgkmcnt(0)
	v_max_f32_e32 v82, v82, v82
	v_max_f32_e32 v81, v81, v82
	s_delay_alu instid0(VALU_DEP_1)
	v_fma_f32 v82, s18, v137, -v81
	v_fma_f32 v84, s18, v138, -v81
	;; [unrolled: 1-line block ×5, first 2 shown]
	v_mul_f32_e32 v82, 0x3fb8aa3b, v82
	s_delay_alu instid0(VALU_DEP_4) | instskip(NEXT) | instid1(VALU_DEP_3)
	v_dual_mul_f32 v84, 0x3fb8aa3b, v84 :: v_dual_mul_f32 v85, 0x3fb8aa3b, v85
	v_dual_mul_f32 v86, 0x3fb8aa3b, v86 :: v_dual_mul_f32 v89, 0x3fb8aa3b, v87
	s_delay_alu instid0(VALU_DEP_3) | instskip(NEXT) | instid1(VALU_DEP_2)
	v_exp_f32_e32 v82, v82
	v_exp_f32_e32 v84, v84
	s_delay_alu instid0(VALU_DEP_2) | instskip(NEXT) | instid1(VALU_DEP_1)
	v_exp_f32_e32 v85, v85
	v_exp_f32_e32 v86, v86
	;; [unrolled: 1-line block ×3, first 2 shown]
	v_cndmask_b32_e32 v88, 0, v82, vcc_lo
	v_cndmask_b32_e64 v87, 0, v84, s2
	s_delay_alu instid0(TRANS32_DEP_3)
	v_cndmask_b32_e64 v90, 0, v85, s3
	s_waitcnt_depctr 0xfff
	v_cndmask_b32_e64 v89, 0, v86, s4
	v_cndmask_b32_e64 v92, 0, v92, s5
	v_add_f32_e32 v84, 0, v88
	v_cmp_gt_u32_e64 s2, 16, v80
	s_delay_alu instid0(VALU_DEP_2) | instskip(NEXT) | instid1(VALU_DEP_1)
	v_add_f32_e32 v84, v84, v87
	v_add_f32_e32 v84, v84, v90
	s_delay_alu instid0(VALU_DEP_1)
	v_add_f32_e32 v84, v84, v89
	v_fma_f32 v82, s18, v142, -v81
	v_fma_f32 v91, s18, v143, -v81
	;; [unrolled: 1-line block ×5, first 2 shown]
	s_delay_alu instid0(VALU_DEP_4) | instskip(SKIP_1) | instid1(VALU_DEP_4)
	v_dual_mul_f32 v82, 0x3fb8aa3b, v82 :: v_dual_mul_f32 v91, 0x3fb8aa3b, v91
	v_fma_f32 v96, s18, v124, -v81
	v_mul_f32_e32 v86, 0x3fb8aa3b, v86
	s_delay_alu instid0(VALU_DEP_4) | instskip(NEXT) | instid1(VALU_DEP_4)
	v_mul_f32_e32 v95, 0x3fb8aa3b, v94
	v_exp_f32_e32 v82, v82
	v_exp_f32_e32 v93, v91
	v_mul_f32_e32 v97, 0x3fb8aa3b, v96
	v_exp_f32_e32 v86, v86
	v_fma_f32 v99, s18, v127, -v81
	s_delay_alu instid0(VALU_DEP_2) | instskip(SKIP_2) | instid1(TRANS32_DEP_3)
	v_exp_f32_e32 v97, v97
	v_cndmask_b32_e64 v91, 0, v82, s6
	v_dual_add_f32 v82, v84, v92 :: v_dual_mul_f32 v85, 0x3fb8aa3b, v85
	v_cndmask_b32_e64 v94, 0, v93, s7
	v_fma_f32 v84, s18, v123, -v81
	s_delay_alu instid0(TRANS32_DEP_2) | instskip(NEXT) | instid1(VALU_DEP_4)
	v_cndmask_b32_e64 v96, 0, v86, s9
	v_add_f32_e32 v82, v82, v91
	v_exp_f32_e32 v85, v85
	v_fma_f32 v86, s18, v126, -v81
	v_mul_f32_e32 v84, 0x3fb8aa3b, v84
	v_cndmask_b32_e64 v97, 0, v97, s12
	v_add_f32_e32 v82, v82, v94
	s_delay_alu instid0(VALU_DEP_3) | instskip(SKIP_3) | instid1(VALU_DEP_2)
	v_exp_f32_e32 v84, v84
	s_waitcnt_depctr 0xfff
	v_cndmask_b32_e64 v93, 0, v85, s8
	v_fma_f32 v85, s18, v125, -v81
	v_add_f32_e32 v82, v82, v93
	v_exp_f32_e32 v95, v95
	s_delay_alu instid0(VALU_DEP_2)
	v_mul_f32_e32 v85, 0x3fb8aa3b, v85
	v_cndmask_b32_e64 v98, 0, v84, s11
	v_mul_f32_e32 v84, 0x3fb8aa3b, v99
	v_add_f32_e32 v82, v82, v96
	v_fma_f32 v99, s18, v128, -v81
	v_exp_f32_e32 v85, v85
	v_mul_f32_e32 v86, 0x3fb8aa3b, v86
	v_exp_f32_e32 v84, v84
	s_delay_alu instid0(TRANS32_DEP_3) | instskip(NEXT) | instid1(VALU_DEP_1)
	v_cndmask_b32_e64 v95, 0, v95, s10
	v_add_f32_e32 v82, v82, v95
	s_waitcnt_depctr 0xfff
	v_cndmask_b32_e64 v100, 0, v85, s13
	v_mul_f32_e32 v85, 0x3fb8aa3b, v99
	v_exp_f32_e32 v86, v86
	v_cndmask_b32_e64 v102, 0, v84, s16
	v_add_f32_e32 v82, v82, v98
	s_delay_alu instid0(VALU_DEP_3) | instskip(NEXT) | instid1(VALU_DEP_1)
	v_exp_f32_e32 v85, v85
	v_add_f32_e32 v82, v82, v97
	s_waitcnt_depctr 0xfff
	v_cndmask_b32_e64 v99, 0, v86, s15
	v_add_f32_e32 v82, v82, v100
	v_cndmask_b32_e64 v101, 0, v85, s17
	s_delay_alu instid0(VALU_DEP_2) | instskip(NEXT) | instid1(VALU_DEP_1)
	v_add_f32_e32 v82, v82, v99
	v_add_f32_e32 v82, v82, v102
	s_delay_alu instid0(VALU_DEP_1)
	v_add_f32_e32 v82, v82, v101
	ds_bpermute_b32 v83, v83, v82
	s_and_saveexec_b32 s3, s2
	s_cbranch_execz .LBB314_14
; %bb.13:
	v_mul_u32_u24_e32 v80, 0x44, v78
	s_waitcnt lgkmcnt(0)
	v_add_f32_e32 v82, v82, v83
	s_delay_alu instid0(VALU_DEP_2) | instskip(NEXT) | instid1(VALU_DEP_1)
	v_lshl_add_u32 v80, v77, 2, v80
	v_add_nc_u32_e32 v80, 0x4000, v80
	ds_store_2addr_b32 v80, v81, v82 offset1:136
.LBB314_14:
	s_or_b32 exec_lo, exec_lo, s3
	v_lshlrev_b32_e32 v80, 2, v77
	s_load_b32 s35, s[0:1], 0x94
	s_waitcnt lgkmcnt(0)
	s_barrier
	buffer_gl0_inv
	v_add_nc_u32_e32 v84, 0x4000, v80
	v_cmp_eq_u32_e32 vcc_lo, 1, v78
	v_cmp_eq_u32_e64 s3, 2, v78
	v_cmp_eq_u32_e64 s4, 3, v78
	;; [unrolled: 1-line block ×3, first 2 shown]
	ds_load_2addr_b32 v[80:81], v84 offset1:17
	ds_load_2addr_b32 v[82:83], v84 offset0:34 offset1:51
	ds_load_2addr_b32 v[103:104], v84 offset0:68 offset1:85
	;; [unrolled: 1-line block ×3, first 2 shown]
	v_cmp_eq_u32_e64 s6, 7, v78
	s_waitcnt lgkmcnt(3)
	v_max3_f32 v85, v80, 0xff7fffff, v81
	s_waitcnt lgkmcnt(2)
	s_delay_alu instid0(VALU_DEP_1) | instskip(SKIP_1) | instid1(VALU_DEP_1)
	v_max3_f32 v85, v85, v82, v83
	s_waitcnt lgkmcnt(1)
	v_max3_f32 v85, v85, v103, v104
	s_waitcnt lgkmcnt(0)
	s_delay_alu instid0(VALU_DEP_1) | instskip(NEXT) | instid1(VALU_DEP_1)
	v_max3_f32 v85, v85, v105, v106
	v_sub_f32_e32 v103, v103, v85
	ds_load_2addr_b32 v[107:108], v84 offset0:136 offset1:153
	v_sub_f32_e32 v80, v80, v85
	v_dual_sub_f32 v110, v83, v85 :: v_dual_mul_f32 v113, 0x3fb8aa3b, v103
	s_delay_alu instid0(VALU_DEP_2) | instskip(SKIP_3) | instid1(VALU_DEP_1)
	v_dual_sub_f32 v86, v81, v85 :: v_dual_mul_f32 v109, 0x3fb8aa3b, v80
	ds_load_2addr_b32 v[80:81], v84 offset0:170 offset1:187
	v_mul_f32_e32 v86, 0x3fb8aa3b, v86
	v_exp_f32_e32 v109, v109
	v_exp_f32_e32 v112, v86
	v_mul_f32_e32 v110, 0x3fb8aa3b, v110
	s_waitcnt lgkmcnt(1)
	s_waitcnt_depctr 0xfff
	v_fma_f32 v86, v109, v107, 0
	v_sub_f32_e32 v107, v104, v85
	v_sub_f32_e32 v82, v82, v85
	v_exp_f32_e32 v110, v110
	ds_load_2addr_b32 v[103:104], v84 offset0:238 offset1:255
	v_dual_fmac_f32 v86, v112, v108 :: v_dual_mul_f32 v111, 0x3fb8aa3b, v82
	ds_load_2addr_b32 v[82:83], v84 offset0:204 offset1:221
	v_dual_sub_f32 v84, v105, v85 :: v_dual_mul_f32 v105, 0x3fb8aa3b, v107
	v_exp_f32_e32 v107, v113
	v_exp_f32_e32 v111, v111
	s_waitcnt lgkmcnt(0)
	s_delay_alu instid0(VALU_DEP_1)
	v_mul_f32_e32 v84, 0x3fb8aa3b, v84
	v_exp_f32_e32 v105, v105
	s_barrier
	buffer_gl0_inv
	v_fmac_f32_e32 v86, v111, v80
	v_sub_f32_e32 v80, v106, v85
	v_exp_f32_e32 v106, v84
	s_delay_alu instid0(VALU_DEP_2) | instskip(NEXT) | instid1(VALU_DEP_2)
	v_fmac_f32_e32 v86, v110, v81
	v_mul_f32_e32 v80, 0x3fb8aa3b, v80
	s_delay_alu instid0(VALU_DEP_2) | instskip(NEXT) | instid1(VALU_DEP_2)
	v_dual_cndmask_b32 v81, v109, v112 :: v_dual_fmac_f32 v86, v107, v82
	v_exp_f32_e32 v108, v80
	s_delay_alu instid0(VALU_DEP_1) | instskip(SKIP_2) | instid1(VALU_DEP_1)
	v_fmac_f32_e32 v86, v105, v83
	s_waitcnt_depctr 0xfff
	v_fmac_f32_e32 v86, v106, v103
	v_fmac_f32_e32 v86, v108, v104
	s_delay_alu instid0(VALU_DEP_1) | instskip(NEXT) | instid1(VALU_DEP_1)
	v_add_f32_e32 v103, 0x358637bd, v86
	v_div_scale_f32 v104, null, v103, v103, 1.0
	v_div_scale_f32 v109, vcc_lo, 1.0, v103, 1.0
	s_delay_alu instid0(VALU_DEP_2) | instskip(SKIP_2) | instid1(VALU_DEP_1)
	v_rcp_f32_e32 v113, v104
	s_waitcnt_depctr 0xfff
	v_fma_f32 v80, -v104, v113, 1.0
	v_fmac_f32_e32 v113, v80, v113
	v_cndmask_b32_e64 v80, v81, v111, s3
	v_cmp_eq_u32_e64 s3, 4, v78
	v_lshl_or_b32 v81, v78, 11, v79
	s_delay_alu instid0(VALU_DEP_4) | instskip(NEXT) | instid1(VALU_DEP_4)
	v_mul_f32_e32 v111, v109, v113
	v_cndmask_b32_e64 v82, v80, v110, s4
	v_cmp_eq_u32_e64 s4, 6, v78
	s_delay_alu instid0(VALU_DEP_4) | instskip(SKIP_3) | instid1(VALU_DEP_3)
	v_lshl_or_b32 v78, v75, 4, v81
	v_lshlrev_b32_e32 v80, 2, v75
	v_fma_f32 v83, -v104, v111, v109
	v_cndmask_b32_e64 v84, v82, v107, s3
	v_or_b32_e32 v82, 1, v80
	s_delay_alu instid0(VALU_DEP_3) | instskip(NEXT) | instid1(VALU_DEP_3)
	v_fmac_f32_e32 v111, v83, v113
	v_cndmask_b32_e64 v105, v84, v105, s5
	v_or_b32_e32 v84, 2, v80
	v_or_b32_e32 v83, 3, v80
	v_cmp_eq_u32_e64 s3, 1, v80
	v_fma_f32 v104, -v104, v111, v109
	v_cndmask_b32_e64 v105, v105, v106, s4
	v_cmp_eq_u32_e64 s9, 1, v82
	v_cmp_eq_u32_e64 s10, 1, v84
	;; [unrolled: 1-line block ×3, first 2 shown]
	v_div_fmas_f32 v104, v104, v113, v111
	v_cndmask_b32_e64 v105, v105, v108, s6
	v_cmp_eq_u32_e32 vcc_lo, 2, v80
	v_cmp_eq_u32_e64 s12, 2, v82
	v_cmp_eq_u32_e64 s15, 2, v84
	v_div_fixup_f32 v103, v104, v103, 1.0
	v_cmp_eq_u32_e64 s16, 2, v83
	v_cmp_eq_u32_e64 s18, 3, v83
	;; [unrolled: 1-line block ×4, first 2 shown]
	v_mul_f32_e32 v111, v105, v103
	v_cmp_eq_u32_e64 s17, 3, v84
	v_cmp_eq_u32_e64 s22, 4, v83
	;; [unrolled: 1-line block ×4, first 2 shown]
	v_fma_mixlo_f16 v103, v111, v88, 0
	v_fma_mixlo_f16 v104, v111, v90, 0
	;; [unrolled: 1-line block ×8, first 2 shown]
	v_fma_mixhi_f16 v103, v111, v87, 0
	v_fma_mixhi_f16 v104, v111, v89, 0
	;; [unrolled: 1-line block ×8, first 2 shown]
	ds_store_b128 v78, v[103:106]
	ds_store_b128 v78, v[107:110] offset:1024
	s_waitcnt lgkmcnt(0)
	s_barrier
	buffer_gl0_inv
	ds_load_b128 v[87:90], v81
	ds_load_b128 v[91:94], v81 offset:16
	ds_load_b128 v[95:98], v81 offset:1024
	;; [unrolled: 1-line block ×3, first 2 shown]
	v_cmp_eq_u32_e64 s21, 4, v84
	v_cmp_eq_u32_e64 s24, 5, v83
	;; [unrolled: 1-line block ×13, first 2 shown]
	s_waitcnt lgkmcnt(3)
	v_lshrrev_b32_e32 v103, 16, v87
	s_waitcnt lgkmcnt(2)
	v_lshrrev_b32_e32 v107, 16, v91
	;; [unrolled: 2-line block ×4, first 2 shown]
	v_lshrrev_b32_e32 v104, 16, v88
	v_cndmask_b32_e64 v119, v87, v103, s3
	v_cndmask_b32_e64 v120, v91, v107, s3
	;; [unrolled: 1-line block ×8, first 2 shown]
	v_lshrrev_b32_e32 v108, 16, v92
	v_cndmask_b32_e64 v103, v95, v111, s3
	v_cndmask_b32_e64 v107, v99, v115, s3
	;; [unrolled: 1-line block ×5, first 2 shown]
	v_cndmask_b32_e32 v111, v119, v88, vcc_lo
	v_cndmask_b32_e64 v119, v121, v88, s12
	v_cndmask_b32_e64 v121, v123, v88, s15
	;; [unrolled: 1-line block ×4, first 2 shown]
	v_lshrrev_b32_e32 v112, 16, v96
	v_lshrrev_b32_e32 v116, 16, v100
	v_cndmask_b32_e64 v126, v99, v115, s9
	v_cndmask_b32_e64 v128, v99, v115, s10
	;; [unrolled: 1-line block ×3, first 2 shown]
	v_cndmask_b32_e32 v115, v120, v92, vcc_lo
	v_cndmask_b32_e64 v120, v122, v92, s12
	v_cndmask_b32_e64 v122, v124, v92, s15
	v_cndmask_b32_e32 v91, v103, v96, vcc_lo
	v_cndmask_b32_e32 v92, v107, v100, vcc_lo
	v_cndmask_b32_e64 v103, v125, v96, s12
	v_cndmask_b32_e64 v87, v87, v104, s18
	;; [unrolled: 1-line block ×3, first 2 shown]
	v_lshrrev_b32_e32 v105, 16, v89
	v_lshrrev_b32_e32 v109, 16, v93
	v_cndmask_b32_e64 v107, v127, v96, s15
	v_cndmask_b32_e64 v95, v95, v96, s16
	;; [unrolled: 1-line block ×14, first 2 shown]
	v_lshrrev_b32_e32 v113, 16, v97
	v_cndmask_b32_e64 v99, v99, v89, s5
	v_cndmask_b32_e64 v104, v111, v93, s5
	v_cndmask_b32_e64 v108, v115, v89, s19
	v_cndmask_b32_e64 v111, v119, v93, s19
	v_cndmask_b32_e64 v115, v120, v89, s21
	v_cndmask_b32_e64 v119, v121, v93, s21
	v_cndmask_b32_e64 v89, v91, v97, s5
	v_cndmask_b32_e64 v91, v92, v101, s5
	v_cndmask_b32_e64 v92, v103, v97, s19
	v_cndmask_b32_e64 v87, v87, v105, s24
	v_cndmask_b32_e64 v88, v88, v109, s24
	v_lshrrev_b32_e32 v106, 16, v90
	v_lshrrev_b32_e32 v110, 16, v94
	v_cndmask_b32_e64 v93, v99, v105, s6
	v_cndmask_b32_e64 v99, v104, v109, s6
	v_cndmask_b32_e64 v103, v108, v105, s20
	v_cndmask_b32_e64 v104, v111, v109, s20
	v_cndmask_b32_e64 v108, v115, v105, s23
	v_cndmask_b32_e64 v111, v119, v109, s23
	v_cndmask_b32_e64 v92, v92, v113, s20
	v_cndmask_b32_e64 v87, v87, v90, s27
	v_cndmask_b32_e64 v88, v88, v94, s27
	v_lshrrev_b32_e32 v114, 16, v98
	v_cndmask_b32_e64 v89, v89, v113, s6
	v_cndmask_b32_e64 v93, v93, v90, s7
	v_cndmask_b32_e64 v99, v99, v94, s7
	v_cndmask_b32_e64 v103, v103, v90, s25
	v_cndmask_b32_e64 v104, v104, v94, s25
	v_cndmask_b32_e64 v105, v108, v90, s26
	v_cndmask_b32_e64 v108, v111, v94, s26
	v_cndmask_b32_e64 v90, v92, v98, s25
	v_cndmask_b32_e64 v87, v87, v106, s29
	v_cndmask_b32_e64 v88, v88, v110, s29
	v_cndmask_b32_e64 v123, v128, v100, s15
	v_cndmask_b32_e64 v89, v89, v98, s7
	v_cndmask_b32_e64 v92, v93, v106, s8
	v_cndmask_b32_e64 v93, v99, v110, s8
	v_cndmask_b32_e64 v94, v103, v106, s30
	v_cndmask_b32_e64 v99, v105, v106, s28
	v_cndmask_b32_e64 v103, v108, v110, s28
	v_cndmask_b32_e64 v104, v104, v110, s30
	v_cndmask_b32_e64 v106, v90, v114, s30
	v_perm_b32 v90, v88, v87, 0x5040100
	v_cndmask_b32_e64 v87, v126, v100, s12
	v_cndmask_b32_e64 v105, v89, v114, s8
	v_perm_b32 v89, v103, v99, 0x5040100
	v_perm_b32 v88, v104, v94, 0x5040100
	v_cndmask_b32_e64 v94, v107, v112, s17
	v_cndmask_b32_e64 v95, v95, v112, s18
	;; [unrolled: 1-line block ×5, first 2 shown]
	v_lshrrev_b32_e32 v117, 16, v101
	v_cndmask_b32_e64 v94, v94, v97, s21
	v_cndmask_b32_e64 v95, v95, v97, s22
	;; [unrolled: 1-line block ×11, first 2 shown]
	v_lshrrev_b32_e32 v118, 16, v102
	v_cndmask_b32_e64 v91, v91, v102, s7
	v_cndmask_b32_e64 v94, v94, v98, s26
	;; [unrolled: 1-line block ×12, first 2 shown]
	v_perm_b32 v87, v93, v92, 0x5040100
	v_perm_b32 v94, v95, v94, 0x5040100
	;; [unrolled: 1-line block ×5, first 2 shown]
	s_mul_i32 s7, s33, 9
	s_mov_b32 s3, exec_lo
	ds_store_b128 v78, v[87:90]
	ds_store_b128 v78, v[91:94] offset:1024
	v_cmpx_gt_u32_e32 9, v0
	s_cbranch_execz .LBB314_16
; %bb.15:
	s_mul_i32 s4, s7, s34
	s_load_b128 s[8:11], s[0:1], 0x58
	v_add3_u32 v77, s4, s31, v77
	s_delay_alu instid0(VALU_DEP_1) | instskip(NEXT) | instid1(VALU_DEP_1)
	v_mad_u64_u32 v[87:88], null, v77, s35, s[14:15]
	v_ashrrev_i32_e32 v88, 31, v87
	s_delay_alu instid0(VALU_DEP_1) | instskip(SKIP_1) | instid1(VALU_DEP_1)
	v_lshlrev_b64 v[87:88], 2, v[87:88]
	s_waitcnt lgkmcnt(0)
	v_add_co_u32 v89, vcc_lo, s10, v87
	s_delay_alu instid0(VALU_DEP_2)
	v_add_co_ci_u32_e32 v90, vcc_lo, s11, v88, vcc_lo
	v_add_co_u32 v87, vcc_lo, s8, v87
	v_add_co_ci_u32_e32 v88, vcc_lo, s9, v88, vcc_lo
	global_store_b32 v[89:90], v85, off
	global_store_b32 v[87:88], v86, off
.LBB314_16:
	s_or_b32 exec_lo, exec_lo, s3
	s_waitcnt lgkmcnt(0)
	s_waitcnt_vscnt null, 0x0
	s_barrier
	buffer_gl0_inv
	ds_load_b128 v[93:96], v79
	ds_load_b128 v[97:100], v79 offset:16
	ds_load_b128 v[105:108], v79 offset:1040
	;; [unrolled: 1-line block ×5, first 2 shown]
	v_cmp_eq_u32_e32 vcc_lo, 1, v84
	v_mov_b32_e32 v85, 0
	ds_load_b128 v[121:124], v79 offset:3088
	ds_load_b128 v[117:120], v79 offset:3072
	;; [unrolled: 1-line block ×4, first 2 shown]
	v_cmp_eq_u32_e64 s3, 1, v80
	v_cmp_eq_u32_e64 s4, 1, v83
	;; [unrolled: 1-line block ×3, first 2 shown]
	v_mov_b32_e32 v86, v85
	v_mov_b32_e32 v87, v85
	;; [unrolled: 1-line block ×7, first 2 shown]
	v_cmp_eq_u32_e64 s6, 2, v80
	s_waitcnt lgkmcnt(8)
	s_delay_alu instid0(VALU_DEP_2)
	v_wmma_f32_16x16x16_f16 v[85:92], v[65:72], v[93:100], v[85:92]
	ds_load_b128 v[69:72], v79 offset:5136
	ds_load_b128 v[65:68], v79 offset:5120
	;; [unrolled: 1-line block ×4, first 2 shown]
	s_waitcnt lgkmcnt(10)
	v_wmma_f32_16x16x16_f16 v[85:92], v[57:64], v[101:108], v[85:92]
	s_waitcnt lgkmcnt(8)
	s_delay_alu instid0(VALU_DEP_1)
	v_wmma_f32_16x16x16_f16 v[85:92], v[57:64], v[109:116], v[85:92]
	ds_load_b128 v[61:64], v79 offset:7184
	ds_load_b128 v[57:60], v79 offset:7168
	;; [unrolled: 1-line block ×4, first 2 shown]
	s_waitcnt lgkmcnt(10)
	v_wmma_f32_16x16x16_f16 v[85:92], v[49:56], v[117:124], v[85:92]
	s_waitcnt lgkmcnt(8)
	s_delay_alu instid0(VALU_DEP_1)
	v_wmma_f32_16x16x16_f16 v[85:92], v[49:56], v[125:132], v[85:92]
	ds_load_b128 v[53:56], v79 offset:9232
	ds_load_b128 v[49:52], v79 offset:9216
	s_waitcnt lgkmcnt(8)
	v_wmma_f32_16x16x16_f16 v[85:92], v[41:48], v[65:72], v[85:92]
	ds_load_b128 v[69:72], v79 offset:10256
	ds_load_b128 v[65:68], v79 offset:10240
	s_waitcnt lgkmcnt(8)
	;; [unrolled: 4-line block ×7, first 2 shown]
	s_barrier
	buffer_gl0_inv
	v_wmma_f32_16x16x16_f16 v[85:92], v[33:40], v[41:48], v[85:92]
	s_delay_alu instid0(VALU_DEP_1) | instskip(NEXT) | instid1(VALU_DEP_1)
	v_wmma_f32_16x16x16_f16 v[85:92], v[33:40], v[57:64], v[85:92]
	v_wmma_f32_16x16x16_f16 v[85:92], v[25:32], v[9:16], v[85:92]
	s_delay_alu instid0(VALU_DEP_1) | instskip(NEXT) | instid1(VALU_DEP_1)
	v_wmma_f32_16x16x16_f16 v[85:92], v[25:32], v[49:56], v[85:92]
	v_wmma_f32_16x16x16_f16 v[85:92], v[17:24], v[1:8], v[85:92]
	s_delay_alu instid0(VALU_DEP_1) | instskip(NEXT) | instid1(VALU_DEP_2)
	v_cvt_f16_f32_e32 v1, v85
	v_cvt_f16_f32_e32 v2, v86
	s_delay_alu instid0(VALU_DEP_3) | instskip(NEXT) | instid1(VALU_DEP_4)
	v_cvt_f16_f32_e32 v3, v87
	v_cvt_f16_f32_e32 v4, v88
	;; [unrolled: 1-line block ×6, first 2 shown]
	v_pack_b32_f16 v1, v1, v2
	v_pack_b32_f16 v2, v3, v4
	;; [unrolled: 1-line block ×3, first 2 shown]
	s_delay_alu instid0(VALU_DEP_4)
	v_pack_b32_f16 v4, v7, v8
	ds_store_b128 v78, v[1:4]
	s_waitcnt lgkmcnt(0)
	s_barrier
	buffer_gl0_inv
	ds_load_b128 v[1:4], v81
	ds_load_b128 v[5:8], v81 offset:16
	s_waitcnt lgkmcnt(1)
	v_lshrrev_b32_e32 v9, 16, v1
	s_waitcnt lgkmcnt(0)
	v_lshrrev_b32_e32 v13, 16, v5
	v_lshrrev_b32_e32 v15, 16, v7
	;; [unrolled: 1-line block ×4, first 2 shown]
	v_cndmask_b32_e64 v17, v1, v9, s3
	v_cndmask_b32_e64 v18, v5, v13, s3
	;; [unrolled: 1-line block ×3, first 2 shown]
	v_cmp_eq_u32_e64 s3, 2, v82
	v_cndmask_b32_e64 v20, v5, v13, s5
	v_cndmask_b32_e32 v21, v1, v9, vcc_lo
	v_cndmask_b32_e32 v22, v5, v13, vcc_lo
	v_cndmask_b32_e64 v1, v1, v9, s4
	v_cndmask_b32_e64 v5, v5, v13, s4
	v_cmp_eq_u32_e32 vcc_lo, 2, v84
	v_cmp_eq_u32_e64 s4, 2, v83
	v_cndmask_b32_e64 v9, v17, v2, s6
	v_cndmask_b32_e64 v13, v18, v6, s6
	v_cndmask_b32_e64 v17, v19, v2, s3
	v_cndmask_b32_e64 v18, v20, v6, s3
	v_cndmask_b32_e32 v19, v21, v2, vcc_lo
	v_cmp_eq_u32_e64 s3, 3, v84
	v_cndmask_b32_e32 v20, v22, v6, vcc_lo
	v_cndmask_b32_e64 v1, v1, v2, s4
	v_cmp_eq_u32_e32 vcc_lo, 3, v83
	v_cmp_eq_u32_e64 s5, 3, v80
	v_cndmask_b32_e64 v2, v5, v6, s4
	v_cmp_eq_u32_e64 s4, 3, v82
	v_lshrrev_b32_e32 v16, 16, v8
	v_cmp_eq_u32_e64 s6, 4, v80
	v_cndmask_b32_e64 v5, v9, v10, s5
	v_cndmask_b32_e64 v6, v13, v14, s5
	v_cndmask_b32_e64 v9, v17, v10, s4
	v_cmp_eq_u32_e64 s5, 4, v82
	v_cndmask_b32_e64 v13, v18, v14, s4
	v_cndmask_b32_e64 v17, v19, v10, s3
	;; [unrolled: 1-line block ×3, first 2 shown]
	v_cndmask_b32_e32 v1, v1, v10, vcc_lo
	v_cndmask_b32_e32 v2, v2, v14, vcc_lo
	v_cmp_eq_u32_e32 vcc_lo, 4, v84
	v_cmp_eq_u32_e64 s4, 4, v83
	v_lshrrev_b32_e32 v11, 16, v3
	v_cndmask_b32_e64 v5, v5, v3, s6
	v_cndmask_b32_e64 v6, v6, v7, s6
	;; [unrolled: 1-line block ×4, first 2 shown]
	v_cndmask_b32_e32 v13, v17, v3, vcc_lo
	v_cmp_eq_u32_e64 s3, 5, v84
	v_cndmask_b32_e32 v14, v18, v7, vcc_lo
	v_cndmask_b32_e64 v1, v1, v3, s4
	v_cmp_eq_u32_e32 vcc_lo, 5, v83
	v_cmp_eq_u32_e64 s5, 5, v80
	v_cndmask_b32_e64 v2, v2, v7, s4
	v_cmp_eq_u32_e64 s4, 5, v82
	v_cmp_eq_u32_e64 s6, 6, v80
	v_cndmask_b32_e32 v1, v1, v11, vcc_lo
	v_cndmask_b32_e64 v3, v5, v11, s5
	v_cndmask_b32_e64 v5, v6, v15, s5
	;; [unrolled: 1-line block ×3, first 2 shown]
	v_cmp_eq_u32_e64 s5, 6, v82
	v_cndmask_b32_e64 v7, v10, v15, s4
	v_cndmask_b32_e64 v9, v13, v11, s3
	;; [unrolled: 1-line block ×3, first 2 shown]
	v_cndmask_b32_e32 v2, v2, v15, vcc_lo
	v_cmp_eq_u32_e32 vcc_lo, 6, v84
	v_cmp_eq_u32_e64 s3, 6, v83
	v_lshrrev_b32_e32 v12, 16, v4
	v_cndmask_b32_e64 v3, v3, v4, s6
	v_cndmask_b32_e64 v5, v5, v8, s6
	;; [unrolled: 1-line block ×4, first 2 shown]
	v_cndmask_b32_e32 v9, v9, v4, vcc_lo
	v_cmp_eq_u32_e64 s4, 7, v84
	v_cndmask_b32_e32 v10, v10, v8, vcc_lo
	v_cndmask_b32_e64 v1, v1, v4, s3
	v_cmp_eq_u32_e32 vcc_lo, 7, v83
	v_cndmask_b32_e64 v2, v2, v8, s3
	v_cmp_eq_u32_e64 s3, 7, v80
	v_cmp_eq_u32_e64 s5, 7, v82
	v_cndmask_b32_e32 v1, v1, v12, vcc_lo
	s_delay_alu instid0(VALU_DEP_4) | instskip(NEXT) | instid1(VALU_DEP_4)
	v_cndmask_b32_e32 v2, v2, v16, vcc_lo
	v_cndmask_b32_e64 v8, v3, v12, s3
	s_delay_alu instid0(VALU_DEP_4)
	v_cndmask_b32_e64 v6, v6, v12, s5
	v_cndmask_b32_e64 v3, v9, v12, s4
	;; [unrolled: 1-line block ×5, first 2 shown]
	v_perm_b32 v4, v2, v1, 0x5040100
	s_mov_b32 s3, exec_lo
	v_perm_b32 v3, v9, v3, 0x5040100
	v_perm_b32 v2, v7, v6, 0x5040100
	;; [unrolled: 1-line block ×3, first 2 shown]
	ds_store_b128 v78, v[1:4]
	s_waitcnt lgkmcnt(0)
	s_barrier
	buffer_gl0_inv
	v_cmpx_gt_u32_e32 32, v0
	s_cbranch_execz .LBB314_2
; %bb.17:
	s_load_b64 s[4:5], s[0:1], 0x68
	v_lshlrev_b32_e32 v0, 10, v0
	v_lshlrev_b32_e32 v1, 4, v76
	s_lshl_b32 s0, s35, 7
	v_add_nc_u32_e32 v2, s31, v75
	s_mul_i32 s1, s0, s34
	s_delay_alu instid0(SALU_CYCLE_1) | instskip(SKIP_1) | instid1(VALU_DEP_2)
	s_mul_i32 s6, s1, s7
	v_and_or_b32 v0, 0x3800, v0, v1
	v_mul_lo_u32 v1, v2, s0
	s_ashr_i32 s7, s6, 31
	v_add_nc_u32_e32 v3, 2, v2
	s_lshl_b64 s[6:7], s[6:7], 1
	v_add_nc_u32_e32 v4, 4, v2
	v_add_nc_u32_e32 v5, 6, v2
	v_lshl_or_b32 v15, v75, 6, v0
	v_mul_lo_u32 v3, v3, s0
	v_ashrrev_i32_e32 v2, 31, v1
	v_mul_lo_u32 v19, v4, s0
	v_mul_lo_u32 v21, v5, s0
	s_waitcnt lgkmcnt(0)
	s_add_u32 s1, s4, s6
	s_addc_u32 s3, s5, s7
	s_lshl_b32 s4, s14, 7
	v_lshlrev_b64 v[5:6], 1, v[1:2]
	s_ashr_i32 s5, s4, 31
	v_ashrrev_i32_e32 v4, 31, v3
	s_lshl_b64 s[4:5], s[4:5], 1
	v_ashrrev_i32_e32 v20, 31, v19
	s_add_u32 s1, s1, s4
	s_addc_u32 s3, s3, s5
	v_add_co_u32 v1, vcc_lo, s1, v73
	v_add_co_ci_u32_e32 v2, vcc_lo, s3, v74, vcc_lo
	v_lshlrev_b64 v[25:26], 1, v[3:4]
	s_delay_alu instid0(VALU_DEP_3) | instskip(NEXT) | instid1(VALU_DEP_3)
	v_add_co_u32 v23, vcc_lo, v1, v5
	v_add_co_ci_u32_e32 v24, vcc_lo, v2, v6, vcc_lo
	ds_load_b128 v[3:6], v15
	ds_load_b128 v[7:10], v15 offset:128
	ds_load_b128 v[11:14], v15 offset:256
	;; [unrolled: 1-line block ×3, first 2 shown]
	v_ashrrev_i32_e32 v22, 31, v21
	v_lshlrev_b64 v[19:20], 1, v[19:20]
	v_add_co_u32 v25, vcc_lo, v1, v25
	v_add_co_ci_u32_e32 v26, vcc_lo, v2, v26, vcc_lo
	s_delay_alu instid0(VALU_DEP_4) | instskip(NEXT) | instid1(VALU_DEP_4)
	v_lshlrev_b64 v[21:22], 1, v[21:22]
	v_add_co_u32 v19, vcc_lo, v1, v19
	v_add_co_ci_u32_e32 v20, vcc_lo, v2, v20, vcc_lo
	s_delay_alu instid0(VALU_DEP_3) | instskip(NEXT) | instid1(VALU_DEP_4)
	v_add_co_u32 v21, vcc_lo, v1, v21
	v_add_co_ci_u32_e32 v22, vcc_lo, v2, v22, vcc_lo
	s_waitcnt lgkmcnt(3)
	global_store_b128 v[23:24], v[3:6], off
	s_waitcnt lgkmcnt(2)
	global_store_b128 v[25:26], v[7:10], off
	;; [unrolled: 2-line block ×4, first 2 shown]
	s_and_b32 exec_lo, exec_lo, s2
	s_cbranch_execz .LBB314_2
; %bb.18:
	ds_load_b128 v[3:6], v0 offset:512
	s_add_i32 s1, s31, 8
	s_delay_alu instid0(SALU_CYCLE_1) | instskip(NEXT) | instid1(SALU_CYCLE_1)
	s_mul_i32 s0, s1, s0
	s_ashr_i32 s1, s0, 31
	s_delay_alu instid0(SALU_CYCLE_1) | instskip(NEXT) | instid1(SALU_CYCLE_1)
	s_lshl_b64 s[0:1], s[0:1], 1
	v_add_co_u32 v0, vcc_lo, v1, s0
	v_add_co_ci_u32_e32 v1, vcc_lo, s1, v2, vcc_lo
	s_waitcnt lgkmcnt(0)
	global_store_b128 v[0:1], v[3:6], off
	s_nop 0
	s_sendmsg sendmsg(MSG_DEALLOC_VGPRS)
	s_endpgm
	.section	.rodata,"a",@progbits
	.p2align	6, 0x0
	.amdhsa_kernel _Z39paged_attention_ll4mi_QKV_mfma16_kernelIDF16_DF16_LN4vllm18Fp8KVCacheDataTypeE0EhLi32ELi128ELi256ELb1ELi9EL8MFMAType0EEvPKT_PKT0_S8_ifPKiSA_SA_iPKfiiiPfSD_PS3_PT2_iSC_SC_
		.amdhsa_group_segment_fixed_size 17472
		.amdhsa_private_segment_fixed_size 0
		.amdhsa_kernarg_size 400
		.amdhsa_user_sgpr_count 13
		.amdhsa_user_sgpr_dispatch_ptr 0
		.amdhsa_user_sgpr_queue_ptr 0
		.amdhsa_user_sgpr_kernarg_segment_ptr 1
		.amdhsa_user_sgpr_dispatch_id 0
		.amdhsa_user_sgpr_private_segment_size 0
		.amdhsa_wavefront_size32 1
		.amdhsa_uses_dynamic_stack 0
		.amdhsa_enable_private_segment 0
		.amdhsa_system_sgpr_workgroup_id_x 1
		.amdhsa_system_sgpr_workgroup_id_y 1
		.amdhsa_system_sgpr_workgroup_id_z 1
		.amdhsa_system_sgpr_workgroup_info 0
		.amdhsa_system_vgpr_workitem_id 0
		.amdhsa_next_free_vgpr 172
		.amdhsa_next_free_sgpr 39
		.amdhsa_reserve_vcc 1
		.amdhsa_float_round_mode_32 0
		.amdhsa_float_round_mode_16_64 0
		.amdhsa_float_denorm_mode_32 3
		.amdhsa_float_denorm_mode_16_64 3
		.amdhsa_dx10_clamp 1
		.amdhsa_ieee_mode 1
		.amdhsa_fp16_overflow 0
		.amdhsa_workgroup_processor_mode 1
		.amdhsa_memory_ordered 1
		.amdhsa_forward_progress 0
		.amdhsa_shared_vgpr_count 0
		.amdhsa_exception_fp_ieee_invalid_op 0
		.amdhsa_exception_fp_denorm_src 0
		.amdhsa_exception_fp_ieee_div_zero 0
		.amdhsa_exception_fp_ieee_overflow 0
		.amdhsa_exception_fp_ieee_underflow 0
		.amdhsa_exception_fp_ieee_inexact 0
		.amdhsa_exception_int_div_zero 0
	.end_amdhsa_kernel
	.section	.text._Z39paged_attention_ll4mi_QKV_mfma16_kernelIDF16_DF16_LN4vllm18Fp8KVCacheDataTypeE0EhLi32ELi128ELi256ELb1ELi9EL8MFMAType0EEvPKT_PKT0_S8_ifPKiSA_SA_iPKfiiiPfSD_PS3_PT2_iSC_SC_,"axG",@progbits,_Z39paged_attention_ll4mi_QKV_mfma16_kernelIDF16_DF16_LN4vllm18Fp8KVCacheDataTypeE0EhLi32ELi128ELi256ELb1ELi9EL8MFMAType0EEvPKT_PKT0_S8_ifPKiSA_SA_iPKfiiiPfSD_PS3_PT2_iSC_SC_,comdat
.Lfunc_end314:
	.size	_Z39paged_attention_ll4mi_QKV_mfma16_kernelIDF16_DF16_LN4vllm18Fp8KVCacheDataTypeE0EhLi32ELi128ELi256ELb1ELi9EL8MFMAType0EEvPKT_PKT0_S8_ifPKiSA_SA_iPKfiiiPfSD_PS3_PT2_iSC_SC_, .Lfunc_end314-_Z39paged_attention_ll4mi_QKV_mfma16_kernelIDF16_DF16_LN4vllm18Fp8KVCacheDataTypeE0EhLi32ELi128ELi256ELb1ELi9EL8MFMAType0EEvPKT_PKT0_S8_ifPKiSA_SA_iPKfiiiPfSD_PS3_PT2_iSC_SC_
                                        ; -- End function
	.section	.AMDGPU.csdata,"",@progbits
; Kernel info:
; codeLenInByte = 7592
; NumSgprs: 41
; NumVgprs: 172
; ScratchSize: 0
; MemoryBound: 0
; FloatMode: 240
; IeeeMode: 1
; LDSByteSize: 17472 bytes/workgroup (compile time only)
; SGPRBlocks: 5
; VGPRBlocks: 21
; NumSGPRsForWavesPerEU: 41
; NumVGPRsForWavesPerEU: 172
; Occupancy: 8
; WaveLimiterHint : 1
; COMPUTE_PGM_RSRC2:SCRATCH_EN: 0
; COMPUTE_PGM_RSRC2:USER_SGPR: 13
; COMPUTE_PGM_RSRC2:TRAP_HANDLER: 0
; COMPUTE_PGM_RSRC2:TGID_X_EN: 1
; COMPUTE_PGM_RSRC2:TGID_Y_EN: 1
; COMPUTE_PGM_RSRC2:TGID_Z_EN: 1
; COMPUTE_PGM_RSRC2:TIDIG_COMP_CNT: 0
	.section	.text._Z39paged_attention_ll4mi_QKV_mfma16_kernelIDF16_DF16_LN4vllm18Fp8KVCacheDataTypeE0EhLi32ELi128ELi256ELb1ELi10EL8MFMAType0EEvPKT_PKT0_S8_ifPKiSA_SA_iPKfiiiPfSD_PS3_PT2_iSC_SC_,"axG",@progbits,_Z39paged_attention_ll4mi_QKV_mfma16_kernelIDF16_DF16_LN4vllm18Fp8KVCacheDataTypeE0EhLi32ELi128ELi256ELb1ELi10EL8MFMAType0EEvPKT_PKT0_S8_ifPKiSA_SA_iPKfiiiPfSD_PS3_PT2_iSC_SC_,comdat
	.protected	_Z39paged_attention_ll4mi_QKV_mfma16_kernelIDF16_DF16_LN4vllm18Fp8KVCacheDataTypeE0EhLi32ELi128ELi256ELb1ELi10EL8MFMAType0EEvPKT_PKT0_S8_ifPKiSA_SA_iPKfiiiPfSD_PS3_PT2_iSC_SC_ ; -- Begin function _Z39paged_attention_ll4mi_QKV_mfma16_kernelIDF16_DF16_LN4vllm18Fp8KVCacheDataTypeE0EhLi32ELi128ELi256ELb1ELi10EL8MFMAType0EEvPKT_PKT0_S8_ifPKiSA_SA_iPKfiiiPfSD_PS3_PT2_iSC_SC_
	.globl	_Z39paged_attention_ll4mi_QKV_mfma16_kernelIDF16_DF16_LN4vllm18Fp8KVCacheDataTypeE0EhLi32ELi128ELi256ELb1ELi10EL8MFMAType0EEvPKT_PKT0_S8_ifPKiSA_SA_iPKfiiiPfSD_PS3_PT2_iSC_SC_
	.p2align	8
	.type	_Z39paged_attention_ll4mi_QKV_mfma16_kernelIDF16_DF16_LN4vllm18Fp8KVCacheDataTypeE0EhLi32ELi128ELi256ELb1ELi10EL8MFMAType0EEvPKT_PKT0_S8_ifPKiSA_SA_iPKfiiiPfSD_PS3_PT2_iSC_SC_,@function
_Z39paged_attention_ll4mi_QKV_mfma16_kernelIDF16_DF16_LN4vllm18Fp8KVCacheDataTypeE0EhLi32ELi128ELi256ELb1ELi10EL8MFMAType0EEvPKT_PKT0_S8_ifPKiSA_SA_iPKfiiiPfSD_PS3_PT2_iSC_SC_: ; @_Z39paged_attention_ll4mi_QKV_mfma16_kernelIDF16_DF16_LN4vllm18Fp8KVCacheDataTypeE0EhLi32ELi128ELi256ELb1ELi10EL8MFMAType0EEvPKT_PKT0_S8_ifPKiSA_SA_iPKfiiiPfSD_PS3_PT2_iSC_SC_
; %bb.0:
	s_load_b64 s[2:3], s[0:1], 0x30
	s_mov_b32 s30, s13
	s_waitcnt lgkmcnt(0)
	s_cmp_lg_u64 s[2:3], 0
	s_cselect_b32 s6, -1, 0
	s_ashr_i32 s31, s13, 31
	s_cmp_eq_u64 s[2:3], 0
	s_cbranch_scc1 .LBB315_3
; %bb.1:
	s_lshl_b64 s[4:5], s[30:31], 2
	s_delay_alu instid0(SALU_CYCLE_1) | instskip(SKIP_4) | instid1(SALU_CYCLE_1)
	s_add_u32 s4, s2, s4
	s_addc_u32 s5, s3, s5
	s_load_b64 s[4:5], s[4:5], 0x0
	s_waitcnt lgkmcnt(0)
	s_sub_i32 s4, s5, s4
	s_cmp_eq_u32 s4, 1
	s_cselect_b32 s4, -1, 0
	s_delay_alu instid0(SALU_CYCLE_1)
	s_and_not1_b32 vcc_lo, exec_lo, s4
	s_cbranch_vccz .LBB315_4
.LBB315_2:
	s_endpgm
.LBB315_3:
.LBB315_4:
	s_load_b64 s[8:9], s[0:1], 0x28
	s_lshl_b64 s[4:5], s[30:31], 2
	s_waitcnt lgkmcnt(0)
	s_add_u32 s8, s8, s4
	s_addc_u32 s9, s9, s5
	s_lshl_b32 s12, s14, 8
	s_load_b32 s17, s[8:9], 0x0
	s_waitcnt lgkmcnt(0)
	s_cmp_ge_i32 s12, s17
	s_cbranch_scc1 .LBB315_2
; %bb.5:
	s_and_not1_b32 vcc_lo, exec_lo, s6
	s_cbranch_vccnz .LBB315_7
; %bb.6:
	s_add_u32 s2, s2, s4
	s_addc_u32 s3, s3, s5
	s_load_b32 s13, s[2:3], 0x0
	s_branch .LBB315_8
.LBB315_7:
	s_mov_b32 s13, s30
.LBB315_8:
	s_clause 0x2
	s_load_b128 s[8:11], s[0:1], 0x8
	s_load_b64 s[2:3], s[0:1], 0x20
	s_load_b128 s[4:7], s[0:1], 0x48
	v_and_b32_e32 v77, 15, v0
	s_waitcnt lgkmcnt(0)
	s_mov_b32 s7, exec_lo
	s_delay_alu instid0(VALU_DEP_1)
	v_lshlrev_b32_e32 v1, 3, v77
	v_cmpx_lt_u32_e32 0x9f, v0
	s_xor_b32 s7, exec_lo, s7
; %bb.9:
	v_mov_b32_e32 v2, 0
; %bb.10:
	s_or_saveexec_b32 s7, s7
	v_lshrrev_b32_e32 v78, 5, v0
	v_and_b32_e32 v80, 31, v0
	v_and_b32_e32 v76, 1, v0
	v_bfe_u32 v75, v0, 4, 1
	s_mul_i32 s31, s15, 10
	s_xor_b32 exec_lo, exec_lo, s7
	s_cbranch_execz .LBB315_12
; %bb.11:
	s_load_b64 s[18:19], s[0:1], 0x0
	v_lshl_or_b32 v7, v78, 1, v75
	s_mul_hi_i32 s21, s13, s4
	s_mul_i32 s20, s13, s4
	v_lshlrev_b32_e32 v4, 1, v1
	s_lshl_b64 s[20:21], s[20:21], 1
	v_add_lshl_u32 v2, v7, s31, 7
	v_lshlrev_b32_e32 v7, 6, v7
	v_lshlrev_b32_e32 v8, 10, v76
	s_delay_alu instid0(VALU_DEP_3) | instskip(NEXT) | instid1(VALU_DEP_1)
	v_ashrrev_i32_e32 v3, 31, v2
	v_lshlrev_b64 v[2:3], 1, v[2:3]
	s_waitcnt lgkmcnt(0)
	s_add_u32 s4, s18, s20
	s_addc_u32 s13, s19, s21
	s_delay_alu instid0(VALU_DEP_1) | instskip(NEXT) | instid1(VALU_DEP_2)
	v_add_co_u32 v2, vcc_lo, s4, v2
	v_add_co_ci_u32_e32 v3, vcc_lo, s13, v3, vcc_lo
	s_delay_alu instid0(VALU_DEP_2) | instskip(NEXT) | instid1(VALU_DEP_2)
	v_add_co_u32 v2, vcc_lo, v2, v4
	v_add_co_ci_u32_e32 v3, vcc_lo, 0, v3, vcc_lo
	global_load_b128 v[3:6], v[2:3], off
	v_lshlrev_b32_e32 v2, 10, v77
	s_delay_alu instid0(VALU_DEP_1) | instskip(NEXT) | instid1(VALU_DEP_1)
	v_and_b32_e32 v2, 0x3800, v2
	v_or3_b32 v7, v2, v8, v7
	v_mov_b32_e32 v2, 0
	s_waitcnt vmcnt(0)
	ds_store_b128 v7, v[3:6]
.LBB315_12:
	s_or_b32 exec_lo, exec_lo, s7
	v_and_b32_e32 v3, 0xef, v0
	s_add_i32 s4, s17, 31
	s_clause 0x1
	s_load_b32 s7, s[0:1], 0x38
	s_load_b32 s33, s[0:1], 0x98
	s_ashr_i32 s13, s4, 31
	v_add_nc_u32_e32 v3, s12, v3
	s_lshr_b32 s13, s13, 27
	s_load_b32 s18, s[0:1], 0x1c
	s_add_i32 s4, s4, s13
	s_waitcnt lgkmcnt(0)
	v_ashrrev_i32_e32 v4, 31, v3
	v_cmp_gt_i32_e32 vcc_lo, s17, v3
	s_ashr_i32 s4, s4, 5
	s_barrier
	s_add_i32 s4, s4, -1
	v_lshrrev_b32_e32 v5, 27, v4
	v_or_b32_e32 v4, 16, v3
	buffer_gl0_inv
	v_lshlrev_b64 v[73:74], 1, v[1:2]
	v_lshlrev_b32_e32 v79, 6, v77
	v_add_nc_u32_e32 v6, v3, v5
	v_add_nc_u32_e32 v5, v4, v5
	s_mul_i32 s20, s30, s7
	s_delay_alu instid0(SALU_CYCLE_1) | instskip(NEXT) | instid1(VALU_DEP_2)
	s_ashr_i32 s21, s20, 31
	v_ashrrev_i32_e32 v6, 5, v6
	s_delay_alu instid0(VALU_DEP_2) | instskip(SKIP_1) | instid1(SALU_CYCLE_1)
	v_ashrrev_i32_e32 v5, 5, v5
	s_lshl_b64 s[20:21], s[20:21], 2
	s_add_u32 s13, s2, s20
	s_delay_alu instid0(VALU_DEP_2) | instskip(SKIP_3) | instid1(SALU_CYCLE_1)
	v_cndmask_b32_e32 v3, s4, v6, vcc_lo
	v_cmp_gt_i32_e32 vcc_lo, s17, v4
	s_addc_u32 s16, s3, s21
	s_mul_i32 s2, s15, s6
	s_ashr_i32 s3, s2, 31
	v_cndmask_b32_e32 v5, s4, v5, vcc_lo
	v_ashrrev_i32_e32 v4, 31, v3
	s_lshl_b64 s[2:3], s[2:3], 1
	s_delay_alu instid0(SALU_CYCLE_1) | instskip(NEXT) | instid1(VALU_DEP_2)
	s_add_u32 s15, s8, s2
	v_ashrrev_i32_e32 v6, 31, v5
	s_delay_alu instid0(VALU_DEP_2) | instskip(SKIP_2) | instid1(VALU_DEP_2)
	v_lshlrev_b64 v[3:4], 2, v[3:4]
	s_addc_u32 s19, s9, s3
	s_lshl_b32 s6, s14, 3
	v_lshlrev_b64 v[5:6], 2, v[5:6]
	s_ashr_i32 s7, s6, 31
	s_delay_alu instid0(VALU_DEP_2) | instskip(SKIP_1) | instid1(VALU_DEP_3)
	v_add_co_u32 v3, vcc_lo, s13, v3
	v_add_co_ci_u32_e32 v4, vcc_lo, s16, v4, vcc_lo
	v_add_co_u32 v5, vcc_lo, s13, v5
	s_delay_alu instid0(VALU_DEP_4)
	v_add_co_ci_u32_e32 v6, vcc_lo, s16, v6, vcc_lo
	s_lshl_b64 s[6:7], s[6:7], 2
	s_clause 0x1
	global_load_b32 v7, v[3:4], off
	global_load_b32 v8, v[5:6], off
	s_add_u32 s6, s13, s6
	s_addc_u32 s7, s16, s7
	s_or_b32 s8, s12, 32
	s_delay_alu instid0(SALU_CYCLE_1) | instskip(SKIP_2) | instid1(SALU_CYCLE_1)
	s_ashr_i32 s9, s8, 5
	s_cmp_lt_i32 s8, s17
	s_cselect_b32 s8, s9, s4
	s_ashr_i32 s9, s8, 31
	s_delay_alu instid0(SALU_CYCLE_1) | instskip(NEXT) | instid1(SALU_CYCLE_1)
	s_lshl_b64 s[8:9], s[8:9], 2
	s_add_u32 s8, s13, s8
	s_addc_u32 s9, s16, s9
	s_or_b32 s20, s12, 64
	s_delay_alu instid0(SALU_CYCLE_1) | instskip(SKIP_2) | instid1(SALU_CYCLE_1)
	s_ashr_i32 s21, s20, 5
	s_cmp_lt_i32 s20, s17
	s_cselect_b32 s20, s21, s4
	s_ashr_i32 s21, s20, 31
	s_delay_alu instid0(SALU_CYCLE_1) | instskip(NEXT) | instid1(SALU_CYCLE_1)
	s_lshl_b64 s[20:21], s[20:21], 2
	;; [unrolled: 10-line block ×5, first 2 shown]
	s_add_u32 s26, s13, s26
	s_addc_u32 s27, s16, s27
	s_clause 0x5
	s_load_b32 s28, s[6:7], 0x0
	s_load_b32 s29, s[8:9], 0x0
	;; [unrolled: 1-line block ×6, first 2 shown]
	s_mov_b32 s20, 0
	s_or_b32 s6, s12, 0xc0
	s_mov_b32 s21, s20
	s_mov_b32 s22, s20
	;; [unrolled: 1-line block ×7, first 2 shown]
	s_ashr_i32 s7, s6, 5
	v_mov_b32_e32 v128, s27
	s_cmp_lt_i32 s6, s17
	v_mov_b32_e32 v127, s26
	s_cselect_b32 s6, s7, s4
	v_mov_b32_e32 v126, s25
	s_ashr_i32 s7, s6, 31
	v_mov_b32_e32 v125, s24
	s_lshl_b64 s[6:7], s[6:7], 2
	v_mov_b32_e32 v124, s23
	s_add_u32 s6, s13, s6
	s_addc_u32 s7, s16, s7
	v_mov_b32_e32 v123, s22
	v_mov_b32_e32 v121, s20
	s_waitcnt lgkmcnt(0)
	s_mul_hi_i32 s9, s28, s5
	s_mul_i32 s8, s28, s5
	v_mov_b32_e32 v122, s21
	s_mul_hi_i32 s21, s29, s5
	s_mul_i32 s20, s29, s5
	s_mul_hi_i32 s25, s34, s5
	s_mul_i32 s24, s34, s5
	;; [unrolled: 2-line block ×4, first 2 shown]
	s_waitcnt vmcnt(1)
	v_mad_i64_i32 v[3:4], null, v7, s5, 0
	s_waitcnt vmcnt(0)
	v_mad_i64_i32 v[5:6], null, v8, s5, 0
	s_delay_alu instid0(VALU_DEP_2) | instskip(NEXT) | instid1(VALU_DEP_2)
	v_lshlrev_b64 v[3:4], 1, v[3:4]
	v_lshlrev_b64 v[1:2], 1, v[5:6]
	s_delay_alu instid0(VALU_DEP_2) | instskip(NEXT) | instid1(VALU_DEP_3)
	v_add_co_u32 v3, vcc_lo, s15, v3
	v_add_co_ci_u32_e32 v4, vcc_lo, s19, v4, vcc_lo
	s_delay_alu instid0(VALU_DEP_3) | instskip(NEXT) | instid1(VALU_DEP_4)
	v_add_co_u32 v1, vcc_lo, s15, v1
	v_add_co_ci_u32_e32 v2, vcc_lo, s19, v2, vcc_lo
	s_delay_alu instid0(VALU_DEP_4) | instskip(NEXT) | instid1(VALU_DEP_4)
	v_add_co_u32 v65, vcc_lo, v3, v73
	v_add_co_ci_u32_e32 v66, vcc_lo, v4, v74, vcc_lo
	s_delay_alu instid0(VALU_DEP_4) | instskip(NEXT) | instid1(VALU_DEP_4)
	v_add_co_u32 v67, vcc_lo, v1, v73
	v_add_co_ci_u32_e32 v68, vcc_lo, v2, v74, vcc_lo
	s_clause 0xf
	global_load_b128 v[1:4], v[65:66], off
	global_load_b128 v[5:8], v[65:66], off offset:512
	global_load_b128 v[9:12], v[67:68], off offset:256
	;; [unrolled: 1-line block ×15, first 2 shown]
	v_add_co_u32 v157, vcc_lo, 0x1000, v65
	v_add_co_ci_u32_e32 v158, vcc_lo, 0, v66, vcc_lo
	v_add_co_u32 v165, vcc_lo, 0x1000, v67
	v_add_co_ci_u32_e32 v166, vcc_lo, 0, v68, vcc_lo
	s_clause 0x7
	global_load_b128 v[81:84], v[157:158], off
	global_load_b128 v[85:88], v[157:158], off offset:512
	global_load_b128 v[89:92], v[165:166], off offset:256
	;; [unrolled: 1-line block ×7, first 2 shown]
	v_add_nc_u32_e32 v65, -10, v77
	v_cmp_gt_u32_e32 vcc_lo, 10, v77
	s_or_b32 s15, s12, 0xe0
	s_delay_alu instid0(SALU_CYCLE_1) | instskip(SKIP_3) | instid1(SALU_CYCLE_1)
	s_ashr_i32 s19, s15, 5
	s_cmp_lt_i32 s15, s17
	v_cndmask_b32_e32 v65, v65, v77, vcc_lo
	s_cselect_b32 s22, s19, s4
	s_ashr_i32 s23, s22, 31
	s_delay_alu instid0(VALU_DEP_1)
	v_lshlrev_b32_e32 v169, 6, v65
	ds_load_b128 v[65:68], v169
	ds_load_b128 v[69:72], v169 offset:1024
	s_clause 0x1
	global_load_b128 v[113:116], v[157:158], off offset:2048
	global_load_b128 v[117:120], v[157:158], off offset:2560
	ds_load_b128 v[129:132], v169 offset:2048
	ds_load_b128 v[133:136], v169 offset:3072
	s_clause 0x5
	global_load_b128 v[145:148], v[165:166], off offset:2304
	global_load_b128 v[149:152], v[165:166], off offset:2816
	;; [unrolled: 1-line block ×6, first 2 shown]
	s_lshl_b64 s[22:23], s[22:23], 2
	s_delay_alu instid0(SALU_CYCLE_1) | instskip(SKIP_2) | instid1(SALU_CYCLE_1)
	s_add_u32 s22, s13, s22
	s_addc_u32 s23, s16, s23
	s_add_i32 s15, s12, 0x100
	s_ashr_i32 s19, s15, 5
	s_cmp_lt_i32 s15, s17
	s_cselect_b32 s28, s19, s4
	s_delay_alu instid0(SALU_CYCLE_1) | instskip(NEXT) | instid1(SALU_CYCLE_1)
	s_ashr_i32 s29, s28, 31
	s_lshl_b64 s[28:29], s[28:29], 2
	s_delay_alu instid0(SALU_CYCLE_1)
	s_add_u32 s28, s13, s28
	s_addc_u32 s29, s16, s29
	s_add_u32 s4, s10, s2
	s_addc_u32 s19, s11, s3
	s_lshl_b64 s[2:3], s[8:9], 1
	s_lshl_b64 s[8:9], s[20:21], 1
	;; [unrolled: 1-line block ×4, first 2 shown]
	s_waitcnt vmcnt(30) lgkmcnt(2)
	v_wmma_f32_16x16x16_f16 v[137:144], v[1:8], v[65:72], v[121:128]
	ds_load_b128 v[1:4], v169 offset:4096
	ds_load_b128 v[5:8], v169 offset:5120
	s_waitcnt vmcnt(28)
	v_wmma_f32_16x16x16_f16 v[121:128], v[9:16], v[65:72], v[121:128]
	ds_load_b128 v[9:12], v169 offset:6144
	ds_load_b128 v[13:16], v169 offset:7168
	s_waitcnt vmcnt(26) lgkmcnt(4)
	v_wmma_f32_16x16x16_f16 v[137:144], v[17:24], v[129:136], v[137:144]
	ds_load_b128 v[17:20], v169 offset:8192
	ds_load_b128 v[21:24], v169 offset:9216
	s_waitcnt vmcnt(24)
	v_wmma_f32_16x16x16_f16 v[121:128], v[25:32], v[129:136], v[121:128]
	v_lshl_or_b32 v25, v78, 10, v79
	ds_load_b128 v[129:132], v169 offset:10240
	ds_load_b128 v[133:136], v169 offset:11264
	s_clause 0x2
	s_load_b32 s15, s[6:7], 0x0
	s_load_b32 s13, s[22:23], 0x0
	;; [unrolled: 1-line block ×3, first 2 shown]
	s_mul_hi_i32 s7, s36, s5
	v_add_co_u32 v170, s4, s4, v25
	s_delay_alu instid0(VALU_DEP_1)
	v_add_co_ci_u32_e64 v171, null, s19, 0, s4
	s_mul_i32 s6, s36, s5
	s_lshl_b64 s[22:23], s[34:35], 1
	s_lshl_b64 s[6:7], s[6:7], 1
	s_waitcnt vmcnt(22) lgkmcnt(0)
	v_wmma_f32_16x16x16_f16 v[137:144], v[33:40], v[1:8], v[137:144]
	s_waitcnt vmcnt(20)
	v_wmma_f32_16x16x16_f16 v[121:128], v[41:48], v[1:8], v[121:128]
	v_add_co_u32 v1, vcc_lo, v170, s2
	v_add_co_ci_u32_e32 v2, vcc_lo, s3, v171, vcc_lo
	v_add_co_u32 v3, vcc_lo, v170, s8
	v_add_co_ci_u32_e32 v4, vcc_lo, s9, v171, vcc_lo
	;; [unrolled: 2-line block ×4, first 2 shown]
	v_add_co_u32 v25, vcc_lo, v170, s6
	s_mul_hi_i32 s25, s15, s5
	s_mul_i32 s24, s15, s5
	v_add_co_ci_u32_e32 v26, vcc_lo, s7, v171, vcc_lo
	v_add_co_u32 v27, vcc_lo, v170, s22
	s_lshl_b64 s[24:25], s[24:25], 1
	s_waitcnt vmcnt(18)
	v_wmma_f32_16x16x16_f16 v[137:144], v[49:56], v[9:16], v[137:144]
	s_waitcnt vmcnt(16)
	v_wmma_f32_16x16x16_f16 v[121:128], v[57:64], v[9:16], v[121:128]
	v_add_co_ci_u32_e32 v28, vcc_lo, s23, v171, vcc_lo
	s_mul_hi_i32 s3, s13, s5
	s_mul_i32 s2, s13, s5
	v_add_co_u32 v29, vcc_lo, v170, s24
	s_lshl_b64 s[2:3], s[2:3], 1
	v_add_co_ci_u32_e32 v30, vcc_lo, s25, v171, vcc_lo
	s_waitcnt vmcnt(14)
	v_wmma_f32_16x16x16_f16 v[137:144], v[81:88], v[17:24], v[137:144]
	s_waitcnt vmcnt(12)
	v_wmma_f32_16x16x16_f16 v[121:128], v[89:96], v[17:24], v[121:128]
	v_add_co_u32 v17, vcc_lo, v170, s2
	v_add_co_ci_u32_e32 v18, vcc_lo, s3, v171, vcc_lo
	s_mul_hi_i32 s3, s16, s5
	s_mul_i32 s2, s16, s5
	s_clause 0x5
	global_load_b128 v[65:68], v[1:2], off
	global_load_b128 v[69:72], v[1:2], off offset:16
	global_load_b128 v[57:60], v[3:4], off
	global_load_b128 v[61:64], v[3:4], off offset:16
	global_load_b128 v[49:52], v[5:6], off
	global_load_b128 v[53:56], v[5:6], off offset:16
	s_lshl_b64 s[2:3], s[2:3], 1
	s_clause 0x1
	global_load_b128 v[41:44], v[7:8], off
	global_load_b128 v[45:48], v[7:8], off offset:16
	v_add_co_u32 v21, vcc_lo, v170, s2
	v_add_co_ci_u32_e32 v22, vcc_lo, s3, v171, vcc_lo
	s_clause 0x9
	global_load_b128 v[9:12], v[25:26], off
	global_load_b128 v[13:16], v[25:26], off offset:16
	global_load_b128 v[1:4], v[27:28], off
	global_load_b128 v[5:8], v[27:28], off offset:16
	;; [unrolled: 2-line block ×5, first 2 shown]
	ds_load_b128 v[81:84], v169 offset:12288
	ds_load_b128 v[85:88], v169 offset:13312
	v_and_b32_e32 v89, 0xe0, v0
	s_waitcnt vmcnt(28)
	v_wmma_f32_16x16x16_f16 v[137:144], v[97:104], v[129:136], v[137:144]
	v_mbcnt_lo_u32_b32 v97, -1, 0
	s_waitcnt vmcnt(26)
	v_wmma_f32_16x16x16_f16 v[121:128], v[105:112], v[129:136], v[121:128]
	v_add_nc_u32_e32 v98, s12, v89
	ds_load_b128 v[89:92], v169 offset:14336
	ds_load_b128 v[93:96], v169 offset:15360
	v_xor_b32_e32 v99, 16, v97
	s_waitcnt vmcnt(0) lgkmcnt(0)
	s_barrier
	v_or_b32_e32 v98, v98, v75
	buffer_gl0_inv
	v_cmp_gt_i32_e32 vcc_lo, 32, v99
	v_or_b32_e32 v100, 4, v98
	v_or_b32_e32 v101, 22, v98
	v_or_b32_e32 v102, 24, v98
	v_or_b32_e32 v103, 26, v98
	v_wmma_f32_16x16x16_f16 v[137:144], v[113:120], v[81:88], v[137:144]
	v_wmma_f32_16x16x16_f16 v[121:128], v[145:152], v[81:88], v[121:128]
	v_or_b32_e32 v81, 6, v98
	v_or_b32_e32 v82, 8, v98
	;; [unrolled: 1-line block ×3, first 2 shown]
	v_cmp_gt_i32_e64 s3, s17, v100
	v_or_b32_e32 v84, 12, v98
	v_wmma_f32_16x16x16_f16 v[137:144], v[153:160], v[89:96], v[137:144]
	v_wmma_f32_16x16x16_f16 v[121:128], v[161:168], v[89:96], v[121:128]
	v_cndmask_b32_e32 v97, v97, v99, vcc_lo
	v_or_b32_e32 v99, 2, v98
	v_cmp_gt_i32_e32 vcc_lo, s17, v98
	v_dual_mul_f32 v95, s18, v138 :: v_dual_mul_f32 v96, s18, v137
	v_mul_f32_e32 v93, s18, v140
	s_delay_alu instid0(VALU_DEP_4)
	v_cmp_gt_i32_e64 s2, s17, v99
	v_mul_f32_e32 v94, s18, v139
	v_mul_f32_e32 v110, s18, v124
	v_cndmask_b32_e32 v96, 0xff7fffff, v96, vcc_lo
	v_cmp_gt_i32_e64 s4, s17, v81
	v_cndmask_b32_e64 v95, 0xff7fffff, v95, s2
	v_or_b32_e32 v85, 14, v98
	v_dual_mul_f32 v91, s18, v142 :: v_dual_mul_f32 v92, s18, v141
	v_cndmask_b32_e64 v94, 0xff7fffff, v94, s3
	v_cndmask_b32_e64 v81, 0xff7fffff, v93, s4
	v_max3_f32 v93, v96, 0xff7fffff, v95
	v_cmp_gt_i32_e64 s5, s17, v82
	v_cmp_gt_i32_e64 s6, s17, v83
	v_or_b32_e32 v86, 16, v98
	v_or_b32_e32 v87, 18, v98
	v_dual_mul_f32 v89, s18, v144 :: v_dual_mul_f32 v112, s18, v122
	v_mul_f32_e32 v90, s18, v143
	v_cndmask_b32_e64 v82, 0xff7fffff, v92, s5
	v_cndmask_b32_e64 v83, 0xff7fffff, v91, s6
	v_max3_f32 v81, v93, v94, v81
	v_cmp_gt_i32_e64 s7, s17, v84
	v_cmp_gt_i32_e64 s8, s17, v85
	v_or_b32_e32 v88, 20, v98
	v_mul_f32_e32 v113, s18, v121
	v_max3_f32 v81, v81, v82, v83
	v_cndmask_b32_e64 v84, 0xff7fffff, v90, s7
	v_cndmask_b32_e64 v85, 0xff7fffff, v89, s8
	v_cmp_gt_i32_e64 s9, s17, v86
	v_cmp_gt_i32_e64 s10, s17, v87
	v_mul_f32_e32 v111, s18, v123
	v_cmp_gt_i32_e64 s11, s17, v88
	v_max3_f32 v81, v81, v84, v85
	v_cndmask_b32_e64 v82, 0xff7fffff, v113, s9
	v_cndmask_b32_e64 v83, 0xff7fffff, v112, s10
	v_cmp_gt_i32_e64 s12, s17, v101
	v_or_b32_e32 v104, 28, v98
	v_or_b32_e32 v105, 30, v98
	v_dual_mul_f32 v108, s18, v126 :: v_dual_mul_f32 v109, s18, v125
	v_cndmask_b32_e64 v84, 0xff7fffff, v111, s11
	v_cndmask_b32_e64 v85, 0xff7fffff, v110, s12
	v_max3_f32 v81, v81, v82, v83
	v_cmp_gt_i32_e64 s13, s17, v102
	v_cmp_gt_i32_e64 s15, s17, v103
	v_dual_mul_f32 v106, s18, v128 :: v_dual_mul_f32 v107, s18, v127
	s_delay_alu instid0(VALU_DEP_4) | instskip(NEXT) | instid1(VALU_DEP_4)
	v_max3_f32 v81, v81, v84, v85
	v_cndmask_b32_e64 v82, 0xff7fffff, v109, s13
	s_delay_alu instid0(VALU_DEP_4) | instskip(SKIP_2) | instid1(VALU_DEP_3)
	v_cndmask_b32_e64 v83, 0xff7fffff, v108, s15
	v_cmp_gt_i32_e64 s16, s17, v104
	v_cmp_gt_i32_e64 s17, s17, v105
	v_max3_f32 v81, v81, v82, v83
	s_delay_alu instid0(VALU_DEP_3) | instskip(NEXT) | instid1(VALU_DEP_3)
	v_cndmask_b32_e64 v84, 0xff7fffff, v107, s16
	v_cndmask_b32_e64 v85, 0xff7fffff, v106, s17
	v_lshlrev_b32_e32 v83, 2, v97
	s_delay_alu instid0(VALU_DEP_2) | instskip(SKIP_3) | instid1(VALU_DEP_1)
	v_max3_f32 v81, v81, v84, v85
	ds_bpermute_b32 v82, v83, v81
	s_waitcnt lgkmcnt(0)
	v_max_f32_e32 v82, v82, v82
	v_max_f32_e32 v81, v81, v82
	s_delay_alu instid0(VALU_DEP_1)
	v_fma_f32 v82, s18, v137, -v81
	v_fma_f32 v84, s18, v138, -v81
	;; [unrolled: 1-line block ×5, first 2 shown]
	v_mul_f32_e32 v82, 0x3fb8aa3b, v82
	s_delay_alu instid0(VALU_DEP_4) | instskip(NEXT) | instid1(VALU_DEP_3)
	v_dual_mul_f32 v84, 0x3fb8aa3b, v84 :: v_dual_mul_f32 v85, 0x3fb8aa3b, v85
	v_dual_mul_f32 v86, 0x3fb8aa3b, v86 :: v_dual_mul_f32 v89, 0x3fb8aa3b, v87
	s_delay_alu instid0(VALU_DEP_3) | instskip(NEXT) | instid1(VALU_DEP_2)
	v_exp_f32_e32 v82, v82
	v_exp_f32_e32 v84, v84
	s_delay_alu instid0(VALU_DEP_2) | instskip(NEXT) | instid1(VALU_DEP_1)
	v_exp_f32_e32 v85, v85
	v_exp_f32_e32 v86, v86
	;; [unrolled: 1-line block ×3, first 2 shown]
	v_cndmask_b32_e32 v88, 0, v82, vcc_lo
	v_cndmask_b32_e64 v87, 0, v84, s2
	s_delay_alu instid0(TRANS32_DEP_3)
	v_cndmask_b32_e64 v90, 0, v85, s3
	s_waitcnt_depctr 0xfff
	v_cndmask_b32_e64 v89, 0, v86, s4
	v_cndmask_b32_e64 v92, 0, v92, s5
	v_add_f32_e32 v84, 0, v88
	s_mov_b32 s2, exec_lo
	s_delay_alu instid0(VALU_DEP_1) | instskip(NEXT) | instid1(VALU_DEP_1)
	v_add_f32_e32 v84, v84, v87
	v_add_f32_e32 v84, v84, v90
	s_delay_alu instid0(VALU_DEP_1)
	v_add_f32_e32 v84, v84, v89
	v_fma_f32 v82, s18, v142, -v81
	v_fma_f32 v91, s18, v143, -v81
	;; [unrolled: 1-line block ×5, first 2 shown]
	s_delay_alu instid0(VALU_DEP_4) | instskip(SKIP_1) | instid1(VALU_DEP_4)
	v_dual_mul_f32 v82, 0x3fb8aa3b, v82 :: v_dual_mul_f32 v91, 0x3fb8aa3b, v91
	v_fma_f32 v96, s18, v124, -v81
	v_mul_f32_e32 v86, 0x3fb8aa3b, v86
	s_delay_alu instid0(VALU_DEP_4) | instskip(NEXT) | instid1(VALU_DEP_4)
	v_mul_f32_e32 v95, 0x3fb8aa3b, v94
	v_exp_f32_e32 v82, v82
	v_exp_f32_e32 v93, v91
	v_mul_f32_e32 v97, 0x3fb8aa3b, v96
	v_exp_f32_e32 v86, v86
	v_fma_f32 v99, s18, v127, -v81
	s_delay_alu instid0(VALU_DEP_2) | instskip(SKIP_2) | instid1(TRANS32_DEP_3)
	v_exp_f32_e32 v97, v97
	v_cndmask_b32_e64 v91, 0, v82, s6
	v_dual_add_f32 v82, v84, v92 :: v_dual_mul_f32 v85, 0x3fb8aa3b, v85
	v_cndmask_b32_e64 v94, 0, v93, s7
	v_fma_f32 v84, s18, v123, -v81
	s_delay_alu instid0(TRANS32_DEP_2) | instskip(NEXT) | instid1(VALU_DEP_4)
	v_cndmask_b32_e64 v96, 0, v86, s9
	v_add_f32_e32 v82, v82, v91
	v_exp_f32_e32 v85, v85
	v_fma_f32 v86, s18, v126, -v81
	v_mul_f32_e32 v84, 0x3fb8aa3b, v84
	v_cndmask_b32_e64 v97, 0, v97, s12
	v_add_f32_e32 v82, v82, v94
	s_delay_alu instid0(VALU_DEP_3) | instskip(SKIP_3) | instid1(VALU_DEP_2)
	v_exp_f32_e32 v84, v84
	s_waitcnt_depctr 0xfff
	v_cndmask_b32_e64 v93, 0, v85, s8
	v_fma_f32 v85, s18, v125, -v81
	v_add_f32_e32 v82, v82, v93
	v_exp_f32_e32 v95, v95
	s_delay_alu instid0(VALU_DEP_2)
	v_mul_f32_e32 v85, 0x3fb8aa3b, v85
	v_cndmask_b32_e64 v98, 0, v84, s11
	v_mul_f32_e32 v84, 0x3fb8aa3b, v99
	v_add_f32_e32 v82, v82, v96
	v_fma_f32 v99, s18, v128, -v81
	v_exp_f32_e32 v85, v85
	v_mul_f32_e32 v86, 0x3fb8aa3b, v86
	v_exp_f32_e32 v84, v84
	s_delay_alu instid0(TRANS32_DEP_3) | instskip(NEXT) | instid1(VALU_DEP_1)
	v_cndmask_b32_e64 v95, 0, v95, s10
	v_add_f32_e32 v82, v82, v95
	s_waitcnt_depctr 0xfff
	v_cndmask_b32_e64 v100, 0, v85, s13
	v_mul_f32_e32 v85, 0x3fb8aa3b, v99
	v_exp_f32_e32 v86, v86
	v_cndmask_b32_e64 v102, 0, v84, s16
	v_add_f32_e32 v82, v82, v98
	s_delay_alu instid0(VALU_DEP_3) | instskip(NEXT) | instid1(VALU_DEP_1)
	v_exp_f32_e32 v85, v85
	v_add_f32_e32 v82, v82, v97
	s_waitcnt_depctr 0xfff
	v_cndmask_b32_e64 v99, 0, v86, s15
	v_add_f32_e32 v82, v82, v100
	v_cndmask_b32_e64 v101, 0, v85, s17
	s_delay_alu instid0(VALU_DEP_2) | instskip(NEXT) | instid1(VALU_DEP_1)
	v_add_f32_e32 v82, v82, v99
	v_add_f32_e32 v82, v82, v102
	s_delay_alu instid0(VALU_DEP_1)
	v_add_f32_e32 v82, v82, v101
	ds_bpermute_b32 v83, v83, v82
	v_cmpx_gt_u32_e32 16, v80
	s_cbranch_execz .LBB315_14
; %bb.13:
	v_mul_u32_u24_e32 v80, 0x44, v78
	s_waitcnt lgkmcnt(0)
	v_add_f32_e32 v82, v82, v83
	s_delay_alu instid0(VALU_DEP_2) | instskip(NEXT) | instid1(VALU_DEP_1)
	v_lshl_add_u32 v80, v77, 2, v80
	v_add_nc_u32_e32 v80, 0x4000, v80
	ds_store_2addr_b32 v80, v81, v82 offset1:136
.LBB315_14:
	s_or_b32 exec_lo, exec_lo, s2
	v_lshlrev_b32_e32 v80, 2, v77
	s_load_b32 s34, s[0:1], 0x94
	s_waitcnt lgkmcnt(0)
	s_barrier
	buffer_gl0_inv
	v_add_nc_u32_e32 v84, 0x4000, v80
	v_cmp_eq_u32_e32 vcc_lo, 1, v78
	v_cmp_eq_u32_e64 s2, 2, v78
	v_cmp_eq_u32_e64 s3, 3, v78
	;; [unrolled: 1-line block ×3, first 2 shown]
	ds_load_2addr_b32 v[80:81], v84 offset1:17
	ds_load_2addr_b32 v[82:83], v84 offset0:34 offset1:51
	ds_load_2addr_b32 v[103:104], v84 offset0:68 offset1:85
	;; [unrolled: 1-line block ×3, first 2 shown]
	v_cmp_eq_u32_e64 s5, 7, v78
	s_waitcnt lgkmcnt(3)
	v_max3_f32 v85, v80, 0xff7fffff, v81
	s_waitcnt lgkmcnt(2)
	s_delay_alu instid0(VALU_DEP_1) | instskip(SKIP_1) | instid1(VALU_DEP_1)
	v_max3_f32 v85, v85, v82, v83
	s_waitcnt lgkmcnt(1)
	v_max3_f32 v85, v85, v103, v104
	s_waitcnt lgkmcnt(0)
	s_delay_alu instid0(VALU_DEP_1) | instskip(NEXT) | instid1(VALU_DEP_1)
	v_max3_f32 v85, v85, v105, v106
	v_sub_f32_e32 v103, v103, v85
	ds_load_2addr_b32 v[107:108], v84 offset0:136 offset1:153
	v_sub_f32_e32 v80, v80, v85
	v_dual_sub_f32 v110, v83, v85 :: v_dual_mul_f32 v113, 0x3fb8aa3b, v103
	s_delay_alu instid0(VALU_DEP_2) | instskip(SKIP_3) | instid1(VALU_DEP_1)
	v_dual_sub_f32 v86, v81, v85 :: v_dual_mul_f32 v109, 0x3fb8aa3b, v80
	ds_load_2addr_b32 v[80:81], v84 offset0:170 offset1:187
	v_mul_f32_e32 v86, 0x3fb8aa3b, v86
	v_exp_f32_e32 v109, v109
	v_exp_f32_e32 v112, v86
	v_mul_f32_e32 v110, 0x3fb8aa3b, v110
	s_waitcnt lgkmcnt(1)
	s_waitcnt_depctr 0xfff
	v_fma_f32 v86, v109, v107, 0
	v_sub_f32_e32 v107, v104, v85
	v_sub_f32_e32 v82, v82, v85
	v_exp_f32_e32 v110, v110
	ds_load_2addr_b32 v[103:104], v84 offset0:238 offset1:255
	v_dual_fmac_f32 v86, v112, v108 :: v_dual_mul_f32 v111, 0x3fb8aa3b, v82
	ds_load_2addr_b32 v[82:83], v84 offset0:204 offset1:221
	v_dual_sub_f32 v84, v105, v85 :: v_dual_mul_f32 v105, 0x3fb8aa3b, v107
	v_exp_f32_e32 v107, v113
	v_exp_f32_e32 v111, v111
	s_waitcnt lgkmcnt(0)
	s_delay_alu instid0(VALU_DEP_1)
	v_mul_f32_e32 v84, 0x3fb8aa3b, v84
	v_exp_f32_e32 v105, v105
	s_barrier
	buffer_gl0_inv
	v_fmac_f32_e32 v86, v111, v80
	v_sub_f32_e32 v80, v106, v85
	v_exp_f32_e32 v106, v84
	s_delay_alu instid0(VALU_DEP_2) | instskip(NEXT) | instid1(VALU_DEP_2)
	v_fmac_f32_e32 v86, v110, v81
	v_mul_f32_e32 v80, 0x3fb8aa3b, v80
	s_delay_alu instid0(VALU_DEP_2) | instskip(NEXT) | instid1(VALU_DEP_2)
	v_dual_cndmask_b32 v81, v109, v112 :: v_dual_fmac_f32 v86, v107, v82
	v_exp_f32_e32 v108, v80
	s_delay_alu instid0(VALU_DEP_1) | instskip(SKIP_2) | instid1(VALU_DEP_1)
	v_fmac_f32_e32 v86, v105, v83
	s_waitcnt_depctr 0xfff
	v_fmac_f32_e32 v86, v106, v103
	v_fmac_f32_e32 v86, v108, v104
	s_delay_alu instid0(VALU_DEP_1) | instskip(NEXT) | instid1(VALU_DEP_1)
	v_add_f32_e32 v103, 0x358637bd, v86
	v_div_scale_f32 v104, null, v103, v103, 1.0
	v_div_scale_f32 v109, vcc_lo, 1.0, v103, 1.0
	s_delay_alu instid0(VALU_DEP_2) | instskip(SKIP_2) | instid1(VALU_DEP_1)
	v_rcp_f32_e32 v113, v104
	s_waitcnt_depctr 0xfff
	v_fma_f32 v80, -v104, v113, 1.0
	v_fmac_f32_e32 v113, v80, v113
	v_cndmask_b32_e64 v80, v81, v111, s2
	v_cmp_eq_u32_e64 s2, 4, v78
	v_lshl_or_b32 v81, v78, 11, v79
	s_delay_alu instid0(VALU_DEP_4) | instskip(NEXT) | instid1(VALU_DEP_4)
	v_mul_f32_e32 v111, v109, v113
	v_cndmask_b32_e64 v82, v80, v110, s3
	v_cmp_eq_u32_e64 s3, 6, v78
	s_delay_alu instid0(VALU_DEP_4) | instskip(SKIP_3) | instid1(VALU_DEP_3)
	v_lshl_or_b32 v78, v75, 4, v81
	v_lshlrev_b32_e32 v80, 2, v75
	v_fma_f32 v83, -v104, v111, v109
	v_cndmask_b32_e64 v84, v82, v107, s2
	v_or_b32_e32 v82, 1, v80
	s_delay_alu instid0(VALU_DEP_3) | instskip(NEXT) | instid1(VALU_DEP_3)
	v_fmac_f32_e32 v111, v83, v113
	v_cndmask_b32_e64 v105, v84, v105, s4
	v_or_b32_e32 v84, 2, v80
	v_or_b32_e32 v83, 3, v80
	v_cmp_eq_u32_e64 s2, 1, v80
	v_fma_f32 v104, -v104, v111, v109
	v_cndmask_b32_e64 v105, v105, v106, s3
	v_cmp_eq_u32_e64 s8, 1, v82
	v_cmp_eq_u32_e64 s9, 1, v84
	;; [unrolled: 1-line block ×3, first 2 shown]
	v_div_fmas_f32 v104, v104, v113, v111
	v_cndmask_b32_e64 v105, v105, v108, s5
	v_cmp_eq_u32_e32 vcc_lo, 2, v80
	v_cmp_eq_u32_e64 s11, 2, v82
	v_cmp_eq_u32_e64 s13, 2, v84
	v_div_fixup_f32 v103, v104, v103, 1.0
	v_cmp_eq_u32_e64 s15, 2, v83
	v_cmp_eq_u32_e64 s17, 3, v83
	;; [unrolled: 1-line block ×4, first 2 shown]
	v_mul_f32_e32 v111, v105, v103
	v_cmp_eq_u32_e64 s16, 3, v84
	v_cmp_eq_u32_e64 s21, 4, v83
	v_cmp_eq_u32_e64 s4, 4, v80
	v_cmp_eq_u32_e64 s18, 4, v82
	v_fma_mixlo_f16 v103, v111, v88, 0
	v_fma_mixlo_f16 v104, v111, v90, 0
	;; [unrolled: 1-line block ×8, first 2 shown]
	v_fma_mixhi_f16 v103, v111, v87, 0
	v_fma_mixhi_f16 v104, v111, v89, 0
	;; [unrolled: 1-line block ×8, first 2 shown]
	ds_store_b128 v78, v[103:106]
	ds_store_b128 v78, v[107:110] offset:1024
	s_waitcnt lgkmcnt(0)
	s_barrier
	buffer_gl0_inv
	ds_load_b128 v[87:90], v81
	ds_load_b128 v[91:94], v81 offset:16
	ds_load_b128 v[95:98], v81 offset:1024
	ds_load_b128 v[99:102], v81 offset:1040
	v_cmp_eq_u32_e64 s20, 4, v84
	v_cmp_eq_u32_e64 s23, 5, v83
	;; [unrolled: 1-line block ×13, first 2 shown]
	s_waitcnt lgkmcnt(3)
	v_lshrrev_b32_e32 v103, 16, v87
	s_waitcnt lgkmcnt(2)
	v_lshrrev_b32_e32 v107, 16, v91
	;; [unrolled: 2-line block ×4, first 2 shown]
	v_lshrrev_b32_e32 v104, 16, v88
	v_cndmask_b32_e64 v119, v87, v103, s2
	v_cndmask_b32_e64 v120, v91, v107, s2
	;; [unrolled: 1-line block ×8, first 2 shown]
	v_lshrrev_b32_e32 v108, 16, v92
	v_cndmask_b32_e64 v103, v95, v111, s2
	v_cndmask_b32_e64 v107, v99, v115, s2
	v_cndmask_b32_e64 v125, v95, v111, s8
	v_cndmask_b32_e64 v127, v95, v111, s9
	v_cndmask_b32_e64 v95, v95, v111, s10
	v_cndmask_b32_e32 v111, v119, v88, vcc_lo
	v_cndmask_b32_e64 v119, v121, v88, s11
	v_cndmask_b32_e64 v121, v123, v88, s13
	;; [unrolled: 1-line block ×4, first 2 shown]
	v_lshrrev_b32_e32 v112, 16, v96
	v_lshrrev_b32_e32 v116, 16, v100
	v_cndmask_b32_e64 v126, v99, v115, s8
	v_cndmask_b32_e64 v128, v99, v115, s9
	;; [unrolled: 1-line block ×3, first 2 shown]
	v_cndmask_b32_e32 v115, v120, v92, vcc_lo
	v_cndmask_b32_e64 v120, v122, v92, s11
	v_cndmask_b32_e64 v122, v124, v92, s13
	v_cndmask_b32_e32 v91, v103, v96, vcc_lo
	v_cndmask_b32_e32 v92, v107, v100, vcc_lo
	v_cndmask_b32_e64 v103, v125, v96, s11
	v_cndmask_b32_e64 v87, v87, v104, s17
	;; [unrolled: 1-line block ×3, first 2 shown]
	v_lshrrev_b32_e32 v105, 16, v89
	v_lshrrev_b32_e32 v109, 16, v93
	v_cndmask_b32_e64 v107, v127, v96, s13
	v_cndmask_b32_e64 v95, v95, v96, s15
	;; [unrolled: 1-line block ×14, first 2 shown]
	v_lshrrev_b32_e32 v113, 16, v97
	v_cndmask_b32_e64 v99, v99, v89, s4
	v_cndmask_b32_e64 v104, v111, v93, s4
	v_cndmask_b32_e64 v108, v115, v89, s18
	v_cndmask_b32_e64 v111, v119, v93, s18
	v_cndmask_b32_e64 v115, v120, v89, s20
	v_cndmask_b32_e64 v119, v121, v93, s20
	v_cndmask_b32_e64 v89, v91, v97, s4
	v_cndmask_b32_e64 v91, v92, v101, s4
	v_cndmask_b32_e64 v92, v103, v97, s18
	v_cndmask_b32_e64 v87, v87, v105, s23
	v_cndmask_b32_e64 v88, v88, v109, s23
	v_lshrrev_b32_e32 v106, 16, v90
	v_lshrrev_b32_e32 v110, 16, v94
	v_cndmask_b32_e64 v93, v99, v105, s5
	v_cndmask_b32_e64 v99, v104, v109, s5
	v_cndmask_b32_e64 v103, v108, v105, s19
	v_cndmask_b32_e64 v104, v111, v109, s19
	v_cndmask_b32_e64 v108, v115, v105, s22
	v_cndmask_b32_e64 v111, v119, v109, s22
	v_cndmask_b32_e64 v92, v92, v113, s19
	v_cndmask_b32_e64 v87, v87, v90, s26
	v_cndmask_b32_e64 v88, v88, v94, s26
	v_lshrrev_b32_e32 v114, 16, v98
	v_cndmask_b32_e64 v89, v89, v113, s5
	v_cndmask_b32_e64 v93, v93, v90, s6
	v_cndmask_b32_e64 v99, v99, v94, s6
	v_cndmask_b32_e64 v103, v103, v90, s24
	v_cndmask_b32_e64 v104, v104, v94, s24
	v_cndmask_b32_e64 v105, v108, v90, s25
	v_cndmask_b32_e64 v108, v111, v94, s25
	v_cndmask_b32_e64 v90, v92, v98, s24
	v_cndmask_b32_e64 v87, v87, v106, s28
	v_cndmask_b32_e64 v88, v88, v110, s28
	v_cndmask_b32_e64 v123, v128, v100, s13
	v_cndmask_b32_e64 v89, v89, v98, s6
	v_cndmask_b32_e64 v92, v93, v106, s7
	v_cndmask_b32_e64 v93, v99, v110, s7
	v_cndmask_b32_e64 v94, v103, v106, s29
	v_cndmask_b32_e64 v99, v105, v106, s27
	v_cndmask_b32_e64 v103, v108, v110, s27
	v_cndmask_b32_e64 v104, v104, v110, s29
	v_cndmask_b32_e64 v106, v90, v114, s29
	v_perm_b32 v90, v88, v87, 0x5040100
	v_cndmask_b32_e64 v87, v126, v100, s11
	v_cndmask_b32_e64 v105, v89, v114, s7
	v_perm_b32 v89, v103, v99, 0x5040100
	v_perm_b32 v88, v104, v94, 0x5040100
	v_cndmask_b32_e64 v94, v107, v112, s16
	v_cndmask_b32_e64 v95, v95, v112, s17
	;; [unrolled: 1-line block ×5, first 2 shown]
	v_lshrrev_b32_e32 v117, 16, v101
	v_cndmask_b32_e64 v94, v94, v97, s20
	v_cndmask_b32_e64 v95, v95, v97, s21
	;; [unrolled: 1-line block ×11, first 2 shown]
	v_lshrrev_b32_e32 v118, 16, v102
	v_cndmask_b32_e64 v91, v91, v102, s6
	v_cndmask_b32_e64 v94, v94, v98, s25
	;; [unrolled: 1-line block ×12, first 2 shown]
	v_perm_b32 v87, v93, v92, 0x5040100
	v_perm_b32 v94, v95, v94, 0x5040100
	;; [unrolled: 1-line block ×5, first 2 shown]
	s_mul_i32 s6, s33, 10
	s_mov_b32 s2, exec_lo
	ds_store_b128 v78, v[87:90]
	ds_store_b128 v78, v[91:94] offset:1024
	v_cmpx_gt_u32_e32 10, v0
	s_cbranch_execz .LBB315_16
; %bb.15:
	s_mul_i32 s3, s6, s30
	s_load_b128 s[8:11], s[0:1], 0x58
	v_add3_u32 v77, s3, s31, v77
	s_delay_alu instid0(VALU_DEP_1) | instskip(NEXT) | instid1(VALU_DEP_1)
	v_mad_u64_u32 v[87:88], null, v77, s34, s[14:15]
	v_ashrrev_i32_e32 v88, 31, v87
	s_delay_alu instid0(VALU_DEP_1) | instskip(SKIP_1) | instid1(VALU_DEP_1)
	v_lshlrev_b64 v[87:88], 2, v[87:88]
	s_waitcnt lgkmcnt(0)
	v_add_co_u32 v89, vcc_lo, s10, v87
	s_delay_alu instid0(VALU_DEP_2)
	v_add_co_ci_u32_e32 v90, vcc_lo, s11, v88, vcc_lo
	v_add_co_u32 v87, vcc_lo, s8, v87
	v_add_co_ci_u32_e32 v88, vcc_lo, s9, v88, vcc_lo
	global_store_b32 v[89:90], v85, off
	global_store_b32 v[87:88], v86, off
.LBB315_16:
	s_or_b32 exec_lo, exec_lo, s2
	s_waitcnt lgkmcnt(0)
	s_waitcnt_vscnt null, 0x0
	s_barrier
	buffer_gl0_inv
	ds_load_b128 v[93:96], v79
	ds_load_b128 v[97:100], v79 offset:16
	ds_load_b128 v[105:108], v79 offset:1040
	;; [unrolled: 1-line block ×5, first 2 shown]
	v_cmp_eq_u32_e32 vcc_lo, 1, v84
	v_mov_b32_e32 v85, 0
	ds_load_b128 v[121:124], v79 offset:3088
	ds_load_b128 v[117:120], v79 offset:3072
	;; [unrolled: 1-line block ×4, first 2 shown]
	v_cmp_eq_u32_e64 s2, 1, v80
	v_cmp_eq_u32_e64 s3, 1, v83
	;; [unrolled: 1-line block ×3, first 2 shown]
	v_mov_b32_e32 v86, v85
	v_mov_b32_e32 v87, v85
	v_mov_b32_e32 v88, v85
	v_mov_b32_e32 v89, v85
	v_mov_b32_e32 v90, v85
	v_mov_b32_e32 v91, v85
	v_mov_b32_e32 v92, v85
	v_cmp_eq_u32_e64 s5, 2, v80
	s_waitcnt lgkmcnt(8)
	s_delay_alu instid0(VALU_DEP_2)
	v_wmma_f32_16x16x16_f16 v[85:92], v[65:72], v[93:100], v[85:92]
	ds_load_b128 v[69:72], v79 offset:5136
	ds_load_b128 v[65:68], v79 offset:5120
	;; [unrolled: 1-line block ×4, first 2 shown]
	s_waitcnt lgkmcnt(10)
	v_wmma_f32_16x16x16_f16 v[85:92], v[57:64], v[101:108], v[85:92]
	s_waitcnt lgkmcnt(8)
	s_delay_alu instid0(VALU_DEP_1)
	v_wmma_f32_16x16x16_f16 v[85:92], v[57:64], v[109:116], v[85:92]
	ds_load_b128 v[61:64], v79 offset:7184
	ds_load_b128 v[57:60], v79 offset:7168
	;; [unrolled: 1-line block ×4, first 2 shown]
	s_waitcnt lgkmcnt(10)
	v_wmma_f32_16x16x16_f16 v[85:92], v[49:56], v[117:124], v[85:92]
	s_waitcnt lgkmcnt(8)
	s_delay_alu instid0(VALU_DEP_1)
	v_wmma_f32_16x16x16_f16 v[85:92], v[49:56], v[125:132], v[85:92]
	ds_load_b128 v[53:56], v79 offset:9232
	ds_load_b128 v[49:52], v79 offset:9216
	s_waitcnt lgkmcnt(8)
	v_wmma_f32_16x16x16_f16 v[85:92], v[41:48], v[65:72], v[85:92]
	ds_load_b128 v[69:72], v79 offset:10256
	ds_load_b128 v[65:68], v79 offset:10240
	s_waitcnt lgkmcnt(8)
	;; [unrolled: 4-line block ×7, first 2 shown]
	s_barrier
	buffer_gl0_inv
	v_wmma_f32_16x16x16_f16 v[85:92], v[33:40], v[41:48], v[85:92]
	s_delay_alu instid0(VALU_DEP_1) | instskip(NEXT) | instid1(VALU_DEP_1)
	v_wmma_f32_16x16x16_f16 v[85:92], v[33:40], v[57:64], v[85:92]
	v_wmma_f32_16x16x16_f16 v[85:92], v[25:32], v[9:16], v[85:92]
	s_delay_alu instid0(VALU_DEP_1) | instskip(NEXT) | instid1(VALU_DEP_1)
	v_wmma_f32_16x16x16_f16 v[85:92], v[25:32], v[49:56], v[85:92]
	v_wmma_f32_16x16x16_f16 v[85:92], v[17:24], v[1:8], v[85:92]
	s_delay_alu instid0(VALU_DEP_1) | instskip(NEXT) | instid1(VALU_DEP_2)
	v_cvt_f16_f32_e32 v1, v85
	v_cvt_f16_f32_e32 v2, v86
	s_delay_alu instid0(VALU_DEP_3) | instskip(NEXT) | instid1(VALU_DEP_4)
	v_cvt_f16_f32_e32 v3, v87
	v_cvt_f16_f32_e32 v4, v88
	;; [unrolled: 1-line block ×6, first 2 shown]
	v_pack_b32_f16 v1, v1, v2
	v_pack_b32_f16 v2, v3, v4
	;; [unrolled: 1-line block ×3, first 2 shown]
	s_delay_alu instid0(VALU_DEP_4)
	v_pack_b32_f16 v4, v7, v8
	ds_store_b128 v78, v[1:4]
	s_waitcnt lgkmcnt(0)
	s_barrier
	buffer_gl0_inv
	ds_load_b128 v[1:4], v81
	ds_load_b128 v[5:8], v81 offset:16
	s_waitcnt lgkmcnt(1)
	v_lshrrev_b32_e32 v9, 16, v1
	s_waitcnt lgkmcnt(0)
	v_lshrrev_b32_e32 v13, 16, v5
	v_lshrrev_b32_e32 v15, 16, v7
	v_lshrrev_b32_e32 v10, 16, v2
	v_lshrrev_b32_e32 v14, 16, v6
	v_cndmask_b32_e64 v17, v1, v9, s2
	v_cndmask_b32_e64 v18, v5, v13, s2
	;; [unrolled: 1-line block ×3, first 2 shown]
	v_cmp_eq_u32_e64 s2, 2, v82
	v_cndmask_b32_e64 v20, v5, v13, s4
	v_cndmask_b32_e32 v21, v1, v9, vcc_lo
	v_cndmask_b32_e32 v22, v5, v13, vcc_lo
	v_cndmask_b32_e64 v1, v1, v9, s3
	v_cndmask_b32_e64 v5, v5, v13, s3
	v_cmp_eq_u32_e32 vcc_lo, 2, v84
	v_cmp_eq_u32_e64 s3, 2, v83
	v_cndmask_b32_e64 v9, v17, v2, s5
	v_cndmask_b32_e64 v13, v18, v6, s5
	;; [unrolled: 1-line block ×4, first 2 shown]
	v_cndmask_b32_e32 v19, v21, v2, vcc_lo
	v_cmp_eq_u32_e64 s2, 3, v84
	v_cndmask_b32_e32 v20, v22, v6, vcc_lo
	v_cndmask_b32_e64 v1, v1, v2, s3
	v_cmp_eq_u32_e32 vcc_lo, 3, v83
	v_cmp_eq_u32_e64 s4, 3, v80
	v_cndmask_b32_e64 v2, v5, v6, s3
	v_cmp_eq_u32_e64 s3, 3, v82
	v_lshrrev_b32_e32 v16, 16, v8
	v_cmp_eq_u32_e64 s5, 4, v80
	v_cndmask_b32_e64 v5, v9, v10, s4
	v_cndmask_b32_e64 v6, v13, v14, s4
	;; [unrolled: 1-line block ×3, first 2 shown]
	v_cmp_eq_u32_e64 s4, 4, v82
	v_cndmask_b32_e64 v13, v18, v14, s3
	v_cndmask_b32_e64 v17, v19, v10, s2
	;; [unrolled: 1-line block ×3, first 2 shown]
	v_cndmask_b32_e32 v1, v1, v10, vcc_lo
	v_cndmask_b32_e32 v2, v2, v14, vcc_lo
	v_cmp_eq_u32_e32 vcc_lo, 4, v84
	v_cmp_eq_u32_e64 s3, 4, v83
	v_lshrrev_b32_e32 v11, 16, v3
	v_cndmask_b32_e64 v5, v5, v3, s5
	v_cndmask_b32_e64 v6, v6, v7, s5
	;; [unrolled: 1-line block ×4, first 2 shown]
	v_cndmask_b32_e32 v13, v17, v3, vcc_lo
	v_cmp_eq_u32_e64 s2, 5, v84
	v_cndmask_b32_e32 v14, v18, v7, vcc_lo
	v_cndmask_b32_e64 v1, v1, v3, s3
	v_cmp_eq_u32_e32 vcc_lo, 5, v83
	v_cmp_eq_u32_e64 s4, 5, v80
	v_cndmask_b32_e64 v2, v2, v7, s3
	v_cmp_eq_u32_e64 s3, 5, v82
	v_cmp_eq_u32_e64 s5, 6, v80
	v_cndmask_b32_e32 v1, v1, v11, vcc_lo
	v_cndmask_b32_e64 v3, v5, v11, s4
	v_cndmask_b32_e64 v5, v6, v15, s4
	;; [unrolled: 1-line block ×3, first 2 shown]
	v_cmp_eq_u32_e64 s4, 6, v82
	v_cndmask_b32_e64 v7, v10, v15, s3
	v_cndmask_b32_e64 v9, v13, v11, s2
	v_cndmask_b32_e64 v10, v14, v15, s2
	v_cndmask_b32_e32 v2, v2, v15, vcc_lo
	v_cmp_eq_u32_e32 vcc_lo, 6, v84
	v_cmp_eq_u32_e64 s2, 6, v83
	v_lshrrev_b32_e32 v12, 16, v4
	v_cndmask_b32_e64 v3, v3, v4, s5
	v_cndmask_b32_e64 v5, v5, v8, s5
	;; [unrolled: 1-line block ×4, first 2 shown]
	v_cndmask_b32_e32 v9, v9, v4, vcc_lo
	v_cmp_eq_u32_e64 s3, 7, v84
	v_cndmask_b32_e32 v10, v10, v8, vcc_lo
	v_cndmask_b32_e64 v1, v1, v4, s2
	v_cmp_eq_u32_e32 vcc_lo, 7, v83
	v_cndmask_b32_e64 v2, v2, v8, s2
	v_cmp_eq_u32_e64 s2, 7, v80
	v_cmp_eq_u32_e64 s4, 7, v82
	v_cndmask_b32_e32 v1, v1, v12, vcc_lo
	s_delay_alu instid0(VALU_DEP_4) | instskip(NEXT) | instid1(VALU_DEP_4)
	v_cndmask_b32_e32 v2, v2, v16, vcc_lo
	v_cndmask_b32_e64 v8, v3, v12, s2
	s_delay_alu instid0(VALU_DEP_4)
	v_cndmask_b32_e64 v6, v6, v12, s4
	v_cndmask_b32_e64 v3, v9, v12, s3
	;; [unrolled: 1-line block ×5, first 2 shown]
	v_perm_b32 v4, v2, v1, 0x5040100
	s_mov_b32 s2, exec_lo
	v_perm_b32 v3, v9, v3, 0x5040100
	v_perm_b32 v2, v7, v6, 0x5040100
	;; [unrolled: 1-line block ×3, first 2 shown]
	ds_store_b128 v78, v[1:4]
	s_waitcnt lgkmcnt(0)
	s_barrier
	buffer_gl0_inv
	v_cmpx_gt_u32_e32 32, v0
	s_cbranch_execz .LBB315_2
; %bb.17:
	s_load_b64 s[0:1], s[0:1], 0x68
	s_lshl_b32 s4, s34, 7
	v_or_b32_e32 v2, s31, v75
	s_mul_i32 s2, s4, s30
	v_lshlrev_b32_e32 v0, 10, v0
	s_mul_i32 s2, s2, s6
	v_lshlrev_b32_e32 v1, 4, v76
	s_ashr_i32 s3, s2, 31
	v_mul_lo_u32 v20, v2, s4
	s_lshl_b64 s[2:3], s[2:3], 1
	v_lshlrev_b32_e32 v3, 6, v75
	v_and_b32_e32 v0, 0x3800, v0
	s_delay_alu instid0(VALU_DEP_1) | instskip(NEXT) | instid1(VALU_DEP_4)
	v_or3_b32 v16, v0, v1, v3
	v_ashrrev_i32_e32 v21, 31, v20
	ds_load_b128 v[0:3], v16
	ds_load_b128 v[4:7], v16 offset:128
	s_waitcnt lgkmcnt(0)
	s_add_u32 s2, s0, s2
	s_addc_u32 s3, s1, s3
	s_lshl_b32 s0, s14, 7
	ds_load_b128 v[8:11], v16 offset:256
	ds_load_b128 v[12:15], v16 offset:384
	;; [unrolled: 1-line block ×3, first 2 shown]
	s_ashr_i32 s1, s0, 31
	s_delay_alu instid0(SALU_CYCLE_1) | instskip(NEXT) | instid1(SALU_CYCLE_1)
	s_lshl_b64 s[0:1], s[0:1], 1
	s_add_u32 s0, s2, s0
	s_addc_u32 s1, s3, s1
	s_lshl_b32 s2, s34, 8
	v_add_co_u32 v30, vcc_lo, s0, v73
	v_add_nc_u32_e32 v22, s2, v20
	v_lshlrev_b64 v[20:21], 1, v[20:21]
	v_add_co_ci_u32_e32 v31, vcc_lo, s1, v74, vcc_lo
	s_delay_alu instid0(VALU_DEP_3) | instskip(SKIP_1) | instid1(VALU_DEP_4)
	v_add_nc_u32_e32 v24, s2, v22
	v_ashrrev_i32_e32 v23, 31, v22
	v_add_co_u32 v20, vcc_lo, v30, v20
	s_delay_alu instid0(VALU_DEP_4) | instskip(NEXT) | instid1(VALU_DEP_4)
	v_add_co_ci_u32_e32 v21, vcc_lo, v31, v21, vcc_lo
	v_add_nc_u32_e32 v26, s2, v24
	v_ashrrev_i32_e32 v25, 31, v24
	v_lshlrev_b64 v[22:23], 1, v[22:23]
	s_delay_alu instid0(VALU_DEP_3) | instskip(SKIP_1) | instid1(VALU_DEP_4)
	v_add_nc_u32_e32 v28, s2, v26
	v_ashrrev_i32_e32 v27, 31, v26
	v_lshlrev_b64 v[24:25], 1, v[24:25]
	s_delay_alu instid0(VALU_DEP_4) | instskip(NEXT) | instid1(VALU_DEP_4)
	v_add_co_u32 v22, vcc_lo, v30, v22
	v_ashrrev_i32_e32 v29, 31, v28
	s_delay_alu instid0(VALU_DEP_4) | instskip(SKIP_2) | instid1(VALU_DEP_4)
	v_lshlrev_b64 v[26:27], 1, v[26:27]
	v_add_co_ci_u32_e32 v23, vcc_lo, v31, v23, vcc_lo
	v_add_co_u32 v24, vcc_lo, v30, v24
	v_lshlrev_b64 v[28:29], 1, v[28:29]
	v_add_co_ci_u32_e32 v25, vcc_lo, v31, v25, vcc_lo
	v_add_co_u32 v26, vcc_lo, v30, v26
	v_add_co_ci_u32_e32 v27, vcc_lo, v31, v27, vcc_lo
	s_delay_alu instid0(VALU_DEP_4)
	v_add_co_u32 v28, vcc_lo, v30, v28
	v_add_co_ci_u32_e32 v29, vcc_lo, v31, v29, vcc_lo
	s_clause 0x1
	global_store_b128 v[20:21], v[0:3], off
	global_store_b128 v[22:23], v[4:7], off
	s_waitcnt lgkmcnt(2)
	global_store_b128 v[24:25], v[8:11], off
	s_waitcnt lgkmcnt(1)
	;; [unrolled: 2-line block ×3, first 2 shown]
	global_store_b128 v[28:29], v[16:19], off
	s_nop 0
	s_sendmsg sendmsg(MSG_DEALLOC_VGPRS)
	s_endpgm
	.section	.rodata,"a",@progbits
	.p2align	6, 0x0
	.amdhsa_kernel _Z39paged_attention_ll4mi_QKV_mfma16_kernelIDF16_DF16_LN4vllm18Fp8KVCacheDataTypeE0EhLi32ELi128ELi256ELb1ELi10EL8MFMAType0EEvPKT_PKT0_S8_ifPKiSA_SA_iPKfiiiPfSD_PS3_PT2_iSC_SC_
		.amdhsa_group_segment_fixed_size 17472
		.amdhsa_private_segment_fixed_size 0
		.amdhsa_kernarg_size 400
		.amdhsa_user_sgpr_count 13
		.amdhsa_user_sgpr_dispatch_ptr 0
		.amdhsa_user_sgpr_queue_ptr 0
		.amdhsa_user_sgpr_kernarg_segment_ptr 1
		.amdhsa_user_sgpr_dispatch_id 0
		.amdhsa_user_sgpr_private_segment_size 0
		.amdhsa_wavefront_size32 1
		.amdhsa_uses_dynamic_stack 0
		.amdhsa_enable_private_segment 0
		.amdhsa_system_sgpr_workgroup_id_x 1
		.amdhsa_system_sgpr_workgroup_id_y 1
		.amdhsa_system_sgpr_workgroup_id_z 1
		.amdhsa_system_sgpr_workgroup_info 0
		.amdhsa_system_vgpr_workitem_id 0
		.amdhsa_next_free_vgpr 172
		.amdhsa_next_free_sgpr 38
		.amdhsa_reserve_vcc 1
		.amdhsa_float_round_mode_32 0
		.amdhsa_float_round_mode_16_64 0
		.amdhsa_float_denorm_mode_32 3
		.amdhsa_float_denorm_mode_16_64 3
		.amdhsa_dx10_clamp 1
		.amdhsa_ieee_mode 1
		.amdhsa_fp16_overflow 0
		.amdhsa_workgroup_processor_mode 1
		.amdhsa_memory_ordered 1
		.amdhsa_forward_progress 0
		.amdhsa_shared_vgpr_count 0
		.amdhsa_exception_fp_ieee_invalid_op 0
		.amdhsa_exception_fp_denorm_src 0
		.amdhsa_exception_fp_ieee_div_zero 0
		.amdhsa_exception_fp_ieee_overflow 0
		.amdhsa_exception_fp_ieee_underflow 0
		.amdhsa_exception_fp_ieee_inexact 0
		.amdhsa_exception_int_div_zero 0
	.end_amdhsa_kernel
	.section	.text._Z39paged_attention_ll4mi_QKV_mfma16_kernelIDF16_DF16_LN4vllm18Fp8KVCacheDataTypeE0EhLi32ELi128ELi256ELb1ELi10EL8MFMAType0EEvPKT_PKT0_S8_ifPKiSA_SA_iPKfiiiPfSD_PS3_PT2_iSC_SC_,"axG",@progbits,_Z39paged_attention_ll4mi_QKV_mfma16_kernelIDF16_DF16_LN4vllm18Fp8KVCacheDataTypeE0EhLi32ELi128ELi256ELb1ELi10EL8MFMAType0EEvPKT_PKT0_S8_ifPKiSA_SA_iPKfiiiPfSD_PS3_PT2_iSC_SC_,comdat
.Lfunc_end315:
	.size	_Z39paged_attention_ll4mi_QKV_mfma16_kernelIDF16_DF16_LN4vllm18Fp8KVCacheDataTypeE0EhLi32ELi128ELi256ELb1ELi10EL8MFMAType0EEvPKT_PKT0_S8_ifPKiSA_SA_iPKfiiiPfSD_PS3_PT2_iSC_SC_, .Lfunc_end315-_Z39paged_attention_ll4mi_QKV_mfma16_kernelIDF16_DF16_LN4vllm18Fp8KVCacheDataTypeE0EhLi32ELi128ELi256ELb1ELi10EL8MFMAType0EEvPKT_PKT0_S8_ifPKiSA_SA_iPKfiiiPfSD_PS3_PT2_iSC_SC_
                                        ; -- End function
	.section	.AMDGPU.csdata,"",@progbits
; Kernel info:
; codeLenInByte = 7560
; NumSgprs: 40
; NumVgprs: 172
; ScratchSize: 0
; MemoryBound: 0
; FloatMode: 240
; IeeeMode: 1
; LDSByteSize: 17472 bytes/workgroup (compile time only)
; SGPRBlocks: 4
; VGPRBlocks: 21
; NumSGPRsForWavesPerEU: 40
; NumVGPRsForWavesPerEU: 172
; Occupancy: 8
; WaveLimiterHint : 1
; COMPUTE_PGM_RSRC2:SCRATCH_EN: 0
; COMPUTE_PGM_RSRC2:USER_SGPR: 13
; COMPUTE_PGM_RSRC2:TRAP_HANDLER: 0
; COMPUTE_PGM_RSRC2:TGID_X_EN: 1
; COMPUTE_PGM_RSRC2:TGID_Y_EN: 1
; COMPUTE_PGM_RSRC2:TGID_Z_EN: 1
; COMPUTE_PGM_RSRC2:TIDIG_COMP_CNT: 0
	.section	.text._Z39paged_attention_ll4mi_QKV_mfma16_kernelIDF16_DF16_LN4vllm18Fp8KVCacheDataTypeE0EhLi32ELi128ELi256ELb1ELi11EL8MFMAType0EEvPKT_PKT0_S8_ifPKiSA_SA_iPKfiiiPfSD_PS3_PT2_iSC_SC_,"axG",@progbits,_Z39paged_attention_ll4mi_QKV_mfma16_kernelIDF16_DF16_LN4vllm18Fp8KVCacheDataTypeE0EhLi32ELi128ELi256ELb1ELi11EL8MFMAType0EEvPKT_PKT0_S8_ifPKiSA_SA_iPKfiiiPfSD_PS3_PT2_iSC_SC_,comdat
	.protected	_Z39paged_attention_ll4mi_QKV_mfma16_kernelIDF16_DF16_LN4vllm18Fp8KVCacheDataTypeE0EhLi32ELi128ELi256ELb1ELi11EL8MFMAType0EEvPKT_PKT0_S8_ifPKiSA_SA_iPKfiiiPfSD_PS3_PT2_iSC_SC_ ; -- Begin function _Z39paged_attention_ll4mi_QKV_mfma16_kernelIDF16_DF16_LN4vllm18Fp8KVCacheDataTypeE0EhLi32ELi128ELi256ELb1ELi11EL8MFMAType0EEvPKT_PKT0_S8_ifPKiSA_SA_iPKfiiiPfSD_PS3_PT2_iSC_SC_
	.globl	_Z39paged_attention_ll4mi_QKV_mfma16_kernelIDF16_DF16_LN4vllm18Fp8KVCacheDataTypeE0EhLi32ELi128ELi256ELb1ELi11EL8MFMAType0EEvPKT_PKT0_S8_ifPKiSA_SA_iPKfiiiPfSD_PS3_PT2_iSC_SC_
	.p2align	8
	.type	_Z39paged_attention_ll4mi_QKV_mfma16_kernelIDF16_DF16_LN4vllm18Fp8KVCacheDataTypeE0EhLi32ELi128ELi256ELb1ELi11EL8MFMAType0EEvPKT_PKT0_S8_ifPKiSA_SA_iPKfiiiPfSD_PS3_PT2_iSC_SC_,@function
_Z39paged_attention_ll4mi_QKV_mfma16_kernelIDF16_DF16_LN4vllm18Fp8KVCacheDataTypeE0EhLi32ELi128ELi256ELb1ELi11EL8MFMAType0EEvPKT_PKT0_S8_ifPKiSA_SA_iPKfiiiPfSD_PS3_PT2_iSC_SC_: ; @_Z39paged_attention_ll4mi_QKV_mfma16_kernelIDF16_DF16_LN4vllm18Fp8KVCacheDataTypeE0EhLi32ELi128ELi256ELb1ELi11EL8MFMAType0EEvPKT_PKT0_S8_ifPKiSA_SA_iPKfiiiPfSD_PS3_PT2_iSC_SC_
; %bb.0:
	s_load_b64 s[2:3], s[0:1], 0x30
	s_mov_b32 s34, s13
	s_waitcnt lgkmcnt(0)
	s_cmp_lg_u64 s[2:3], 0
	s_cselect_b32 s6, -1, 0
	s_ashr_i32 s35, s13, 31
	s_cmp_eq_u64 s[2:3], 0
	s_cbranch_scc1 .LBB316_3
; %bb.1:
	s_lshl_b64 s[4:5], s[34:35], 2
	s_delay_alu instid0(SALU_CYCLE_1) | instskip(SKIP_4) | instid1(SALU_CYCLE_1)
	s_add_u32 s4, s2, s4
	s_addc_u32 s5, s3, s5
	s_load_b64 s[4:5], s[4:5], 0x0
	s_waitcnt lgkmcnt(0)
	s_sub_i32 s4, s5, s4
	s_cmp_eq_u32 s4, 1
	s_cselect_b32 s4, -1, 0
	s_delay_alu instid0(SALU_CYCLE_1)
	s_and_not1_b32 vcc_lo, exec_lo, s4
	s_cbranch_vccz .LBB316_4
.LBB316_2:
	s_nop 0
	s_sendmsg sendmsg(MSG_DEALLOC_VGPRS)
	s_endpgm
.LBB316_3:
.LBB316_4:
	s_load_b64 s[8:9], s[0:1], 0x28
	s_lshl_b64 s[4:5], s[34:35], 2
	s_waitcnt lgkmcnt(0)
	s_add_u32 s8, s8, s4
	s_addc_u32 s9, s9, s5
	s_lshl_b32 s12, s14, 8
	s_load_b32 s17, s[8:9], 0x0
	s_waitcnt lgkmcnt(0)
	s_cmp_ge_i32 s12, s17
	s_cbranch_scc1 .LBB316_2
; %bb.5:
	s_and_not1_b32 vcc_lo, exec_lo, s6
	s_cbranch_vccnz .LBB316_7
; %bb.6:
	s_add_u32 s2, s2, s4
	s_addc_u32 s3, s3, s5
	s_load_b32 s13, s[2:3], 0x0
	s_branch .LBB316_8
.LBB316_7:
	s_mov_b32 s13, s34
.LBB316_8:
	s_clause 0x2
	s_load_b128 s[8:11], s[0:1], 0x8
	s_load_b64 s[2:3], s[0:1], 0x20
	s_load_b128 s[4:7], s[0:1], 0x48
	v_lshrrev_b32_e32 v78, 5, v0
	v_bfe_u32 v75, v0, 4, 1
	v_and_b32_e32 v77, 15, v0
	s_waitcnt lgkmcnt(0)
	s_mov_b32 s7, exec_lo
	s_delay_alu instid0(VALU_DEP_2) | instskip(NEXT) | instid1(VALU_DEP_2)
	v_lshl_or_b32 v3, v78, 1, v75
	v_lshlrev_b32_e32 v1, 3, v77
	s_delay_alu instid0(VALU_DEP_2)
	v_cmpx_lt_u32_e32 10, v3
	s_xor_b32 s7, exec_lo, s7
; %bb.9:
	v_mov_b32_e32 v2, 0
                                        ; implicit-def: $vgpr3
; %bb.10:
	s_or_saveexec_b32 s7, s7
	v_and_b32_e32 v80, 31, v0
	v_and_b32_e32 v76, 1, v0
	s_mul_i32 s31, s15, 11
	s_xor_b32 exec_lo, exec_lo, s7
	s_cbranch_execz .LBB316_12
; %bb.11:
	s_load_b64 s[18:19], s[0:1], 0x0
	v_add_lshl_u32 v4, v3, s31, 7
	s_mul_hi_i32 s21, s13, s4
	s_mul_i32 s20, s13, s4
	v_lshlrev_b32_e32 v2, 1, v1
	s_lshl_b64 s[20:21], s[20:21], 1
	v_ashrrev_i32_e32 v5, 31, v4
	v_lshlrev_b32_e32 v3, 6, v3
	v_lshlrev_b32_e32 v8, 10, v76
	s_delay_alu instid0(VALU_DEP_3) | instskip(SKIP_3) | instid1(VALU_DEP_1)
	v_lshlrev_b64 v[4:5], 1, v[4:5]
	s_waitcnt lgkmcnt(0)
	s_add_u32 s4, s18, s20
	s_addc_u32 s13, s19, s21
	v_add_co_u32 v4, vcc_lo, s4, v4
	s_delay_alu instid0(VALU_DEP_2) | instskip(NEXT) | instid1(VALU_DEP_2)
	v_add_co_ci_u32_e32 v5, vcc_lo, s13, v5, vcc_lo
	v_add_co_u32 v4, vcc_lo, v4, v2
	s_delay_alu instid0(VALU_DEP_2) | instskip(SKIP_3) | instid1(VALU_DEP_1)
	v_add_co_ci_u32_e32 v5, vcc_lo, 0, v5, vcc_lo
	v_lshlrev_b32_e32 v2, 10, v77
	global_load_b128 v[4:7], v[4:5], off
	v_and_b32_e32 v2, 0x3800, v2
	v_or3_b32 v3, v2, v8, v3
	v_mov_b32_e32 v2, 0
	s_waitcnt vmcnt(0)
	ds_store_b128 v3, v[4:7]
.LBB316_12:
	s_or_b32 exec_lo, exec_lo, s7
	v_and_b32_e32 v3, 0xef, v0
	s_add_i32 s4, s17, 31
	s_clause 0x1
	s_load_b32 s7, s[0:1], 0x38
	s_load_b32 s33, s[0:1], 0x98
	s_ashr_i32 s13, s4, 31
	v_add_nc_u32_e32 v3, s12, v3
	s_lshr_b32 s13, s13, 27
	s_load_b32 s18, s[0:1], 0x1c
	s_add_i32 s4, s4, s13
	s_waitcnt lgkmcnt(0)
	v_ashrrev_i32_e32 v4, 31, v3
	v_cmp_gt_i32_e32 vcc_lo, s17, v3
	s_ashr_i32 s4, s4, 5
	s_barrier
	s_add_i32 s4, s4, -1
	v_lshrrev_b32_e32 v5, 27, v4
	v_or_b32_e32 v4, 16, v3
	buffer_gl0_inv
	v_lshlrev_b64 v[73:74], 1, v[1:2]
	v_lshlrev_b32_e32 v79, 6, v77
	v_add_nc_u32_e32 v6, v3, v5
	v_add_nc_u32_e32 v5, v4, v5
	s_mul_i32 s20, s34, s7
	s_delay_alu instid0(SALU_CYCLE_1) | instskip(NEXT) | instid1(VALU_DEP_2)
	s_ashr_i32 s21, s20, 31
	v_ashrrev_i32_e32 v6, 5, v6
	s_delay_alu instid0(VALU_DEP_2) | instskip(SKIP_1) | instid1(SALU_CYCLE_1)
	v_ashrrev_i32_e32 v5, 5, v5
	s_lshl_b64 s[20:21], s[20:21], 2
	s_add_u32 s13, s2, s20
	s_delay_alu instid0(VALU_DEP_2) | instskip(SKIP_3) | instid1(SALU_CYCLE_1)
	v_cndmask_b32_e32 v3, s4, v6, vcc_lo
	v_cmp_gt_i32_e32 vcc_lo, s17, v4
	s_addc_u32 s16, s3, s21
	s_mul_i32 s2, s15, s6
	s_ashr_i32 s3, s2, 31
	v_cndmask_b32_e32 v5, s4, v5, vcc_lo
	v_ashrrev_i32_e32 v4, 31, v3
	s_lshl_b64 s[2:3], s[2:3], 1
	s_delay_alu instid0(SALU_CYCLE_1) | instskip(NEXT) | instid1(VALU_DEP_2)
	s_add_u32 s15, s8, s2
	v_ashrrev_i32_e32 v6, 31, v5
	s_delay_alu instid0(VALU_DEP_2) | instskip(SKIP_2) | instid1(VALU_DEP_2)
	v_lshlrev_b64 v[3:4], 2, v[3:4]
	s_addc_u32 s19, s9, s3
	s_lshl_b32 s6, s14, 3
	v_lshlrev_b64 v[5:6], 2, v[5:6]
	s_ashr_i32 s7, s6, 31
	s_delay_alu instid0(VALU_DEP_2) | instskip(SKIP_1) | instid1(VALU_DEP_3)
	v_add_co_u32 v3, vcc_lo, s13, v3
	v_add_co_ci_u32_e32 v4, vcc_lo, s16, v4, vcc_lo
	v_add_co_u32 v5, vcc_lo, s13, v5
	s_delay_alu instid0(VALU_DEP_4)
	v_add_co_ci_u32_e32 v6, vcc_lo, s16, v6, vcc_lo
	s_lshl_b64 s[6:7], s[6:7], 2
	s_clause 0x1
	global_load_b32 v7, v[3:4], off
	global_load_b32 v8, v[5:6], off
	s_add_u32 s6, s13, s6
	s_addc_u32 s7, s16, s7
	s_or_b32 s8, s12, 32
	s_delay_alu instid0(SALU_CYCLE_1) | instskip(SKIP_2) | instid1(SALU_CYCLE_1)
	s_ashr_i32 s9, s8, 5
	s_cmp_lt_i32 s8, s17
	s_cselect_b32 s8, s9, s4
	s_ashr_i32 s9, s8, 31
	s_delay_alu instid0(SALU_CYCLE_1) | instskip(NEXT) | instid1(SALU_CYCLE_1)
	s_lshl_b64 s[8:9], s[8:9], 2
	s_add_u32 s8, s13, s8
	s_addc_u32 s9, s16, s9
	s_or_b32 s20, s12, 64
	s_delay_alu instid0(SALU_CYCLE_1) | instskip(SKIP_2) | instid1(SALU_CYCLE_1)
	s_ashr_i32 s21, s20, 5
	s_cmp_lt_i32 s20, s17
	s_cselect_b32 s20, s21, s4
	s_ashr_i32 s21, s20, 31
	s_delay_alu instid0(SALU_CYCLE_1) | instskip(NEXT) | instid1(SALU_CYCLE_1)
	s_lshl_b64 s[20:21], s[20:21], 2
	s_add_u32 s20, s13, s20
	s_addc_u32 s21, s16, s21
	s_or_b32 s22, s12, 0x60
	s_delay_alu instid0(SALU_CYCLE_1) | instskip(SKIP_2) | instid1(SALU_CYCLE_1)
	s_ashr_i32 s23, s22, 5
	s_cmp_lt_i32 s22, s17
	s_cselect_b32 s22, s23, s4
	s_ashr_i32 s23, s22, 31
	s_delay_alu instid0(SALU_CYCLE_1) | instskip(NEXT) | instid1(SALU_CYCLE_1)
	s_lshl_b64 s[22:23], s[22:23], 2
	s_add_u32 s22, s13, s22
	s_addc_u32 s23, s16, s23
	s_or_b32 s24, s12, 0x80
	s_delay_alu instid0(SALU_CYCLE_1) | instskip(SKIP_2) | instid1(SALU_CYCLE_1)
	s_ashr_i32 s25, s24, 5
	s_cmp_lt_i32 s24, s17
	s_cselect_b32 s24, s25, s4
	s_ashr_i32 s25, s24, 31
	s_delay_alu instid0(SALU_CYCLE_1) | instskip(NEXT) | instid1(SALU_CYCLE_1)
	s_lshl_b64 s[24:25], s[24:25], 2
	s_add_u32 s24, s13, s24
	s_addc_u32 s25, s16, s25
	s_or_b32 s26, s12, 0xa0
	s_delay_alu instid0(SALU_CYCLE_1) | instskip(SKIP_2) | instid1(SALU_CYCLE_1)
	s_ashr_i32 s27, s26, 5
	s_cmp_lt_i32 s26, s17
	s_cselect_b32 s26, s27, s4
	s_ashr_i32 s27, s26, 31
	s_delay_alu instid0(SALU_CYCLE_1) | instskip(NEXT) | instid1(SALU_CYCLE_1)
	s_lshl_b64 s[26:27], s[26:27], 2
	s_add_u32 s26, s13, s26
	s_addc_u32 s27, s16, s27
	s_clause 0x5
	s_load_b32 s28, s[6:7], 0x0
	s_load_b32 s29, s[8:9], 0x0
	;; [unrolled: 1-line block ×6, first 2 shown]
	s_mov_b32 s20, 0
	s_or_b32 s6, s12, 0xc0
	s_mov_b32 s21, s20
	s_mov_b32 s22, s20
	;; [unrolled: 1-line block ×7, first 2 shown]
	s_ashr_i32 s7, s6, 5
	v_mov_b32_e32 v128, s27
	s_cmp_lt_i32 s6, s17
	v_mov_b32_e32 v127, s26
	s_cselect_b32 s6, s7, s4
	v_mov_b32_e32 v126, s25
	s_ashr_i32 s7, s6, 31
	v_mov_b32_e32 v125, s24
	s_lshl_b64 s[6:7], s[6:7], 2
	v_mov_b32_e32 v124, s23
	s_add_u32 s6, s13, s6
	s_addc_u32 s7, s16, s7
	v_mov_b32_e32 v123, s22
	v_mov_b32_e32 v121, s20
	s_waitcnt lgkmcnt(0)
	s_mul_hi_i32 s9, s28, s5
	s_mul_i32 s8, s28, s5
	s_mul_hi_i32 s37, s38, s5
	v_mov_b32_e32 v122, s21
	s_mul_hi_i32 s21, s29, s5
	s_mul_i32 s20, s29, s5
	s_mul_hi_i32 s25, s30, s5
	s_mul_i32 s24, s30, s5
	;; [unrolled: 2-line block ×3, first 2 shown]
	s_waitcnt vmcnt(1)
	v_mad_i64_i32 v[3:4], null, v7, s5, 0
	s_waitcnt vmcnt(0)
	v_mad_i64_i32 v[5:6], null, v8, s5, 0
	s_delay_alu instid0(VALU_DEP_2) | instskip(NEXT) | instid1(VALU_DEP_2)
	v_lshlrev_b64 v[3:4], 1, v[3:4]
	v_lshlrev_b64 v[1:2], 1, v[5:6]
	s_delay_alu instid0(VALU_DEP_2) | instskip(NEXT) | instid1(VALU_DEP_3)
	v_add_co_u32 v3, vcc_lo, s15, v3
	v_add_co_ci_u32_e32 v4, vcc_lo, s19, v4, vcc_lo
	s_delay_alu instid0(VALU_DEP_3) | instskip(NEXT) | instid1(VALU_DEP_4)
	v_add_co_u32 v1, vcc_lo, s15, v1
	v_add_co_ci_u32_e32 v2, vcc_lo, s19, v2, vcc_lo
	s_delay_alu instid0(VALU_DEP_4) | instskip(NEXT) | instid1(VALU_DEP_4)
	v_add_co_u32 v65, vcc_lo, v3, v73
	v_add_co_ci_u32_e32 v66, vcc_lo, v4, v74, vcc_lo
	s_delay_alu instid0(VALU_DEP_4) | instskip(NEXT) | instid1(VALU_DEP_4)
	v_add_co_u32 v67, vcc_lo, v1, v73
	v_add_co_ci_u32_e32 v68, vcc_lo, v2, v74, vcc_lo
	s_clause 0xf
	global_load_b128 v[1:4], v[65:66], off
	global_load_b128 v[5:8], v[65:66], off offset:512
	global_load_b128 v[9:12], v[67:68], off offset:256
	;; [unrolled: 1-line block ×15, first 2 shown]
	v_add_co_u32 v157, vcc_lo, 0x1000, v65
	v_add_co_ci_u32_e32 v158, vcc_lo, 0, v66, vcc_lo
	v_add_co_u32 v165, vcc_lo, 0x1000, v67
	v_add_co_ci_u32_e32 v166, vcc_lo, 0, v68, vcc_lo
	s_clause 0x7
	global_load_b128 v[81:84], v[157:158], off
	global_load_b128 v[85:88], v[157:158], off offset:512
	global_load_b128 v[89:92], v[165:166], off offset:256
	;; [unrolled: 1-line block ×7, first 2 shown]
	v_add_nc_u32_e32 v65, -11, v77
	v_cmp_gt_u32_e32 vcc_lo, 11, v77
	s_or_b32 s15, s12, 0xe0
	s_delay_alu instid0(SALU_CYCLE_1) | instskip(SKIP_3) | instid1(SALU_CYCLE_1)
	s_ashr_i32 s19, s15, 5
	s_cmp_lt_i32 s15, s17
	v_cndmask_b32_e32 v65, v65, v77, vcc_lo
	s_cselect_b32 s22, s19, s4
	s_ashr_i32 s23, s22, 31
	s_delay_alu instid0(VALU_DEP_1)
	v_lshlrev_b32_e32 v169, 6, v65
	ds_load_b128 v[65:68], v169
	ds_load_b128 v[69:72], v169 offset:1024
	s_clause 0x1
	global_load_b128 v[113:116], v[157:158], off offset:2048
	global_load_b128 v[117:120], v[157:158], off offset:2560
	ds_load_b128 v[129:132], v169 offset:2048
	ds_load_b128 v[133:136], v169 offset:3072
	s_clause 0x5
	global_load_b128 v[145:148], v[165:166], off offset:2304
	global_load_b128 v[149:152], v[165:166], off offset:2816
	;; [unrolled: 1-line block ×6, first 2 shown]
	s_lshl_b64 s[22:23], s[22:23], 2
	s_delay_alu instid0(SALU_CYCLE_1) | instskip(SKIP_2) | instid1(SALU_CYCLE_1)
	s_add_u32 s22, s13, s22
	s_addc_u32 s23, s16, s23
	s_add_i32 s15, s12, 0x100
	s_ashr_i32 s19, s15, 5
	s_cmp_lt_i32 s15, s17
	s_cselect_b32 s28, s19, s4
	s_delay_alu instid0(SALU_CYCLE_1) | instskip(NEXT) | instid1(SALU_CYCLE_1)
	s_ashr_i32 s29, s28, 31
	s_lshl_b64 s[28:29], s[28:29], 2
	s_delay_alu instid0(SALU_CYCLE_1)
	s_add_u32 s28, s13, s28
	s_addc_u32 s29, s16, s29
	s_add_u32 s4, s10, s2
	s_addc_u32 s19, s11, s3
	s_lshl_b64 s[2:3], s[8:9], 1
	s_lshl_b64 s[8:9], s[20:21], 1
	s_lshl_b64 s[10:11], s[24:25], 1
	s_lshl_b64 s[20:21], s[26:27], 1
	s_waitcnt vmcnt(30) lgkmcnt(2)
	v_wmma_f32_16x16x16_f16 v[137:144], v[1:8], v[65:72], v[121:128]
	ds_load_b128 v[1:4], v169 offset:4096
	ds_load_b128 v[5:8], v169 offset:5120
	s_waitcnt vmcnt(28)
	v_wmma_f32_16x16x16_f16 v[121:128], v[9:16], v[65:72], v[121:128]
	ds_load_b128 v[9:12], v169 offset:6144
	ds_load_b128 v[13:16], v169 offset:7168
	s_waitcnt vmcnt(26) lgkmcnt(4)
	v_wmma_f32_16x16x16_f16 v[137:144], v[17:24], v[129:136], v[137:144]
	ds_load_b128 v[17:20], v169 offset:8192
	ds_load_b128 v[21:24], v169 offset:9216
	s_waitcnt vmcnt(24)
	v_wmma_f32_16x16x16_f16 v[121:128], v[25:32], v[129:136], v[121:128]
	v_lshl_or_b32 v25, v78, 10, v79
	ds_load_b128 v[129:132], v169 offset:10240
	ds_load_b128 v[133:136], v169 offset:11264
	s_clause 0x2
	s_load_b32 s15, s[6:7], 0x0
	s_load_b32 s13, s[22:23], 0x0
	;; [unrolled: 1-line block ×3, first 2 shown]
	s_mul_hi_i32 s7, s36, s5
	v_add_co_u32 v170, s4, s4, v25
	s_delay_alu instid0(VALU_DEP_1)
	v_add_co_ci_u32_e64 v171, null, s19, 0, s4
	s_mul_i32 s6, s36, s5
	s_mul_i32 s36, s38, s5
	s_lshl_b64 s[6:7], s[6:7], 1
	s_lshl_b64 s[22:23], s[36:37], 1
	s_waitcnt vmcnt(22) lgkmcnt(0)
	v_wmma_f32_16x16x16_f16 v[137:144], v[33:40], v[1:8], v[137:144]
	s_waitcnt vmcnt(20)
	v_wmma_f32_16x16x16_f16 v[121:128], v[41:48], v[1:8], v[121:128]
	v_add_co_u32 v1, vcc_lo, v170, s2
	v_add_co_ci_u32_e32 v2, vcc_lo, s3, v171, vcc_lo
	v_add_co_u32 v3, vcc_lo, v170, s8
	v_add_co_ci_u32_e32 v4, vcc_lo, s9, v171, vcc_lo
	;; [unrolled: 2-line block ×4, first 2 shown]
	v_add_co_u32 v25, vcc_lo, v170, s6
	s_mul_hi_i32 s25, s15, s5
	s_mul_i32 s24, s15, s5
	v_add_co_ci_u32_e32 v26, vcc_lo, s7, v171, vcc_lo
	v_add_co_u32 v27, vcc_lo, v170, s22
	s_lshl_b64 s[24:25], s[24:25], 1
	s_waitcnt vmcnt(18)
	v_wmma_f32_16x16x16_f16 v[137:144], v[49:56], v[9:16], v[137:144]
	s_waitcnt vmcnt(16)
	v_wmma_f32_16x16x16_f16 v[121:128], v[57:64], v[9:16], v[121:128]
	v_add_co_ci_u32_e32 v28, vcc_lo, s23, v171, vcc_lo
	s_mul_hi_i32 s3, s13, s5
	s_mul_i32 s2, s13, s5
	v_add_co_u32 v29, vcc_lo, v170, s24
	s_lshl_b64 s[2:3], s[2:3], 1
	v_add_co_ci_u32_e32 v30, vcc_lo, s25, v171, vcc_lo
	s_waitcnt vmcnt(14)
	v_wmma_f32_16x16x16_f16 v[137:144], v[81:88], v[17:24], v[137:144]
	s_waitcnt vmcnt(12)
	v_wmma_f32_16x16x16_f16 v[121:128], v[89:96], v[17:24], v[121:128]
	v_add_co_u32 v17, vcc_lo, v170, s2
	v_add_co_ci_u32_e32 v18, vcc_lo, s3, v171, vcc_lo
	s_mul_hi_i32 s3, s16, s5
	s_mul_i32 s2, s16, s5
	s_clause 0x5
	global_load_b128 v[65:68], v[1:2], off
	global_load_b128 v[69:72], v[1:2], off offset:16
	global_load_b128 v[57:60], v[3:4], off
	global_load_b128 v[61:64], v[3:4], off offset:16
	global_load_b128 v[49:52], v[5:6], off
	global_load_b128 v[53:56], v[5:6], off offset:16
	s_lshl_b64 s[2:3], s[2:3], 1
	s_clause 0x1
	global_load_b128 v[41:44], v[7:8], off
	global_load_b128 v[45:48], v[7:8], off offset:16
	v_add_co_u32 v21, vcc_lo, v170, s2
	v_add_co_ci_u32_e32 v22, vcc_lo, s3, v171, vcc_lo
	s_clause 0x9
	global_load_b128 v[9:12], v[25:26], off
	global_load_b128 v[13:16], v[25:26], off offset:16
	global_load_b128 v[1:4], v[27:28], off
	global_load_b128 v[5:8], v[27:28], off offset:16
	global_load_b128 v[33:36], v[29:30], off
	global_load_b128 v[37:40], v[29:30], off offset:16
	global_load_b128 v[25:28], v[17:18], off
	global_load_b128 v[29:32], v[17:18], off offset:16
	global_load_b128 v[17:20], v[21:22], off
	global_load_b128 v[21:24], v[21:22], off offset:16
	ds_load_b128 v[81:84], v169 offset:12288
	ds_load_b128 v[85:88], v169 offset:13312
	v_and_b32_e32 v89, 0xe0, v0
	s_waitcnt vmcnt(28)
	v_wmma_f32_16x16x16_f16 v[137:144], v[97:104], v[129:136], v[137:144]
	v_mbcnt_lo_u32_b32 v97, -1, 0
	s_waitcnt vmcnt(26)
	v_wmma_f32_16x16x16_f16 v[121:128], v[105:112], v[129:136], v[121:128]
	v_add_nc_u32_e32 v98, s12, v89
	ds_load_b128 v[89:92], v169 offset:14336
	ds_load_b128 v[93:96], v169 offset:15360
	v_xor_b32_e32 v99, 16, v97
	s_waitcnt vmcnt(0) lgkmcnt(0)
	s_barrier
	v_or_b32_e32 v98, v98, v75
	buffer_gl0_inv
	v_cmp_gt_i32_e32 vcc_lo, 32, v99
	v_or_b32_e32 v100, 4, v98
	v_or_b32_e32 v101, 22, v98
	;; [unrolled: 1-line block ×4, first 2 shown]
	v_wmma_f32_16x16x16_f16 v[137:144], v[113:120], v[81:88], v[137:144]
	v_wmma_f32_16x16x16_f16 v[121:128], v[145:152], v[81:88], v[121:128]
	v_or_b32_e32 v81, 6, v98
	v_or_b32_e32 v82, 8, v98
	;; [unrolled: 1-line block ×3, first 2 shown]
	v_cmp_gt_i32_e64 s3, s17, v100
	v_or_b32_e32 v84, 12, v98
	v_wmma_f32_16x16x16_f16 v[137:144], v[153:160], v[89:96], v[137:144]
	v_wmma_f32_16x16x16_f16 v[121:128], v[161:168], v[89:96], v[121:128]
	v_cndmask_b32_e32 v97, v97, v99, vcc_lo
	v_or_b32_e32 v99, 2, v98
	v_cmp_gt_i32_e32 vcc_lo, s17, v98
	v_dual_mul_f32 v95, s18, v138 :: v_dual_mul_f32 v96, s18, v137
	v_mul_f32_e32 v93, s18, v140
	s_delay_alu instid0(VALU_DEP_4)
	v_cmp_gt_i32_e64 s2, s17, v99
	v_mul_f32_e32 v94, s18, v139
	v_mul_f32_e32 v110, s18, v124
	v_cndmask_b32_e32 v96, 0xff7fffff, v96, vcc_lo
	v_cmp_gt_i32_e64 s4, s17, v81
	v_cndmask_b32_e64 v95, 0xff7fffff, v95, s2
	v_or_b32_e32 v85, 14, v98
	v_dual_mul_f32 v91, s18, v142 :: v_dual_mul_f32 v92, s18, v141
	v_cndmask_b32_e64 v94, 0xff7fffff, v94, s3
	v_cndmask_b32_e64 v81, 0xff7fffff, v93, s4
	v_max3_f32 v93, v96, 0xff7fffff, v95
	v_cmp_gt_i32_e64 s5, s17, v82
	v_cmp_gt_i32_e64 s6, s17, v83
	v_or_b32_e32 v86, 16, v98
	v_or_b32_e32 v87, 18, v98
	v_dual_mul_f32 v89, s18, v144 :: v_dual_mul_f32 v112, s18, v122
	v_mul_f32_e32 v90, s18, v143
	v_cndmask_b32_e64 v82, 0xff7fffff, v92, s5
	v_cndmask_b32_e64 v83, 0xff7fffff, v91, s6
	v_max3_f32 v81, v93, v94, v81
	v_cmp_gt_i32_e64 s7, s17, v84
	v_cmp_gt_i32_e64 s8, s17, v85
	v_or_b32_e32 v88, 20, v98
	v_mul_f32_e32 v113, s18, v121
	v_max3_f32 v81, v81, v82, v83
	v_cndmask_b32_e64 v84, 0xff7fffff, v90, s7
	v_cndmask_b32_e64 v85, 0xff7fffff, v89, s8
	v_cmp_gt_i32_e64 s9, s17, v86
	v_cmp_gt_i32_e64 s10, s17, v87
	v_mul_f32_e32 v111, s18, v123
	v_cmp_gt_i32_e64 s11, s17, v88
	v_max3_f32 v81, v81, v84, v85
	v_cndmask_b32_e64 v82, 0xff7fffff, v113, s9
	v_cndmask_b32_e64 v83, 0xff7fffff, v112, s10
	v_cmp_gt_i32_e64 s12, s17, v101
	v_or_b32_e32 v104, 28, v98
	v_or_b32_e32 v105, 30, v98
	v_dual_mul_f32 v108, s18, v126 :: v_dual_mul_f32 v109, s18, v125
	v_cndmask_b32_e64 v84, 0xff7fffff, v111, s11
	v_cndmask_b32_e64 v85, 0xff7fffff, v110, s12
	v_max3_f32 v81, v81, v82, v83
	v_cmp_gt_i32_e64 s13, s17, v102
	v_cmp_gt_i32_e64 s15, s17, v103
	v_dual_mul_f32 v106, s18, v128 :: v_dual_mul_f32 v107, s18, v127
	s_delay_alu instid0(VALU_DEP_4) | instskip(NEXT) | instid1(VALU_DEP_4)
	v_max3_f32 v81, v81, v84, v85
	v_cndmask_b32_e64 v82, 0xff7fffff, v109, s13
	s_delay_alu instid0(VALU_DEP_4) | instskip(SKIP_2) | instid1(VALU_DEP_3)
	v_cndmask_b32_e64 v83, 0xff7fffff, v108, s15
	v_cmp_gt_i32_e64 s16, s17, v104
	v_cmp_gt_i32_e64 s17, s17, v105
	v_max3_f32 v81, v81, v82, v83
	s_delay_alu instid0(VALU_DEP_3) | instskip(NEXT) | instid1(VALU_DEP_3)
	v_cndmask_b32_e64 v84, 0xff7fffff, v107, s16
	v_cndmask_b32_e64 v85, 0xff7fffff, v106, s17
	v_lshlrev_b32_e32 v83, 2, v97
	s_delay_alu instid0(VALU_DEP_2) | instskip(SKIP_3) | instid1(VALU_DEP_1)
	v_max3_f32 v81, v81, v84, v85
	ds_bpermute_b32 v82, v83, v81
	s_waitcnt lgkmcnt(0)
	v_max_f32_e32 v82, v82, v82
	v_max_f32_e32 v81, v81, v82
	s_delay_alu instid0(VALU_DEP_1)
	v_fma_f32 v82, s18, v137, -v81
	v_fma_f32 v84, s18, v138, -v81
	;; [unrolled: 1-line block ×5, first 2 shown]
	v_mul_f32_e32 v82, 0x3fb8aa3b, v82
	s_delay_alu instid0(VALU_DEP_4) | instskip(NEXT) | instid1(VALU_DEP_3)
	v_dual_mul_f32 v84, 0x3fb8aa3b, v84 :: v_dual_mul_f32 v85, 0x3fb8aa3b, v85
	v_dual_mul_f32 v86, 0x3fb8aa3b, v86 :: v_dual_mul_f32 v89, 0x3fb8aa3b, v87
	s_delay_alu instid0(VALU_DEP_3) | instskip(NEXT) | instid1(VALU_DEP_2)
	v_exp_f32_e32 v82, v82
	v_exp_f32_e32 v84, v84
	s_delay_alu instid0(VALU_DEP_2) | instskip(NEXT) | instid1(VALU_DEP_1)
	v_exp_f32_e32 v85, v85
	v_exp_f32_e32 v86, v86
	;; [unrolled: 1-line block ×3, first 2 shown]
	v_cndmask_b32_e32 v88, 0, v82, vcc_lo
	v_cndmask_b32_e64 v87, 0, v84, s2
	s_delay_alu instid0(TRANS32_DEP_3)
	v_cndmask_b32_e64 v90, 0, v85, s3
	s_waitcnt_depctr 0xfff
	v_cndmask_b32_e64 v89, 0, v86, s4
	v_cndmask_b32_e64 v92, 0, v92, s5
	v_add_f32_e32 v84, 0, v88
	v_cmp_gt_u32_e64 s2, 16, v80
	s_delay_alu instid0(VALU_DEP_2) | instskip(NEXT) | instid1(VALU_DEP_1)
	v_add_f32_e32 v84, v84, v87
	v_add_f32_e32 v84, v84, v90
	s_delay_alu instid0(VALU_DEP_1)
	v_add_f32_e32 v84, v84, v89
	v_fma_f32 v82, s18, v142, -v81
	v_fma_f32 v91, s18, v143, -v81
	;; [unrolled: 1-line block ×5, first 2 shown]
	s_delay_alu instid0(VALU_DEP_4) | instskip(SKIP_1) | instid1(VALU_DEP_4)
	v_dual_mul_f32 v82, 0x3fb8aa3b, v82 :: v_dual_mul_f32 v91, 0x3fb8aa3b, v91
	v_fma_f32 v96, s18, v124, -v81
	v_mul_f32_e32 v86, 0x3fb8aa3b, v86
	s_delay_alu instid0(VALU_DEP_4) | instskip(NEXT) | instid1(VALU_DEP_4)
	v_mul_f32_e32 v95, 0x3fb8aa3b, v94
	v_exp_f32_e32 v82, v82
	v_exp_f32_e32 v93, v91
	v_mul_f32_e32 v97, 0x3fb8aa3b, v96
	v_exp_f32_e32 v86, v86
	v_fma_f32 v99, s18, v127, -v81
	s_delay_alu instid0(VALU_DEP_2) | instskip(SKIP_2) | instid1(TRANS32_DEP_3)
	v_exp_f32_e32 v97, v97
	v_cndmask_b32_e64 v91, 0, v82, s6
	v_dual_add_f32 v82, v84, v92 :: v_dual_mul_f32 v85, 0x3fb8aa3b, v85
	v_cndmask_b32_e64 v94, 0, v93, s7
	v_fma_f32 v84, s18, v123, -v81
	s_delay_alu instid0(TRANS32_DEP_2) | instskip(NEXT) | instid1(VALU_DEP_4)
	v_cndmask_b32_e64 v96, 0, v86, s9
	v_add_f32_e32 v82, v82, v91
	v_exp_f32_e32 v85, v85
	v_fma_f32 v86, s18, v126, -v81
	v_mul_f32_e32 v84, 0x3fb8aa3b, v84
	v_cndmask_b32_e64 v97, 0, v97, s12
	v_add_f32_e32 v82, v82, v94
	s_delay_alu instid0(VALU_DEP_3) | instskip(SKIP_3) | instid1(VALU_DEP_2)
	v_exp_f32_e32 v84, v84
	s_waitcnt_depctr 0xfff
	v_cndmask_b32_e64 v93, 0, v85, s8
	v_fma_f32 v85, s18, v125, -v81
	v_add_f32_e32 v82, v82, v93
	v_exp_f32_e32 v95, v95
	s_delay_alu instid0(VALU_DEP_2)
	v_mul_f32_e32 v85, 0x3fb8aa3b, v85
	v_cndmask_b32_e64 v98, 0, v84, s11
	v_mul_f32_e32 v84, 0x3fb8aa3b, v99
	v_add_f32_e32 v82, v82, v96
	v_fma_f32 v99, s18, v128, -v81
	v_exp_f32_e32 v85, v85
	v_mul_f32_e32 v86, 0x3fb8aa3b, v86
	v_exp_f32_e32 v84, v84
	s_delay_alu instid0(TRANS32_DEP_3) | instskip(NEXT) | instid1(VALU_DEP_1)
	v_cndmask_b32_e64 v95, 0, v95, s10
	v_add_f32_e32 v82, v82, v95
	s_waitcnt_depctr 0xfff
	v_cndmask_b32_e64 v100, 0, v85, s13
	v_mul_f32_e32 v85, 0x3fb8aa3b, v99
	v_exp_f32_e32 v86, v86
	v_cndmask_b32_e64 v102, 0, v84, s16
	v_add_f32_e32 v82, v82, v98
	s_delay_alu instid0(VALU_DEP_3) | instskip(NEXT) | instid1(VALU_DEP_1)
	v_exp_f32_e32 v85, v85
	v_add_f32_e32 v82, v82, v97
	s_waitcnt_depctr 0xfff
	v_cndmask_b32_e64 v99, 0, v86, s15
	v_add_f32_e32 v82, v82, v100
	v_cndmask_b32_e64 v101, 0, v85, s17
	s_delay_alu instid0(VALU_DEP_2) | instskip(NEXT) | instid1(VALU_DEP_1)
	v_add_f32_e32 v82, v82, v99
	v_add_f32_e32 v82, v82, v102
	s_delay_alu instid0(VALU_DEP_1)
	v_add_f32_e32 v82, v82, v101
	ds_bpermute_b32 v83, v83, v82
	s_and_saveexec_b32 s3, s2
	s_cbranch_execz .LBB316_14
; %bb.13:
	v_mul_u32_u24_e32 v80, 0x44, v78
	s_waitcnt lgkmcnt(0)
	v_add_f32_e32 v82, v82, v83
	s_delay_alu instid0(VALU_DEP_2) | instskip(NEXT) | instid1(VALU_DEP_1)
	v_lshl_add_u32 v80, v77, 2, v80
	v_add_nc_u32_e32 v80, 0x4000, v80
	ds_store_2addr_b32 v80, v81, v82 offset1:136
.LBB316_14:
	s_or_b32 exec_lo, exec_lo, s3
	v_lshlrev_b32_e32 v80, 2, v77
	s_load_b32 s35, s[0:1], 0x94
	s_waitcnt lgkmcnt(0)
	s_barrier
	buffer_gl0_inv
	v_add_nc_u32_e32 v84, 0x4000, v80
	v_cmp_eq_u32_e32 vcc_lo, 1, v78
	v_cmp_eq_u32_e64 s3, 2, v78
	v_cmp_eq_u32_e64 s4, 3, v78
	;; [unrolled: 1-line block ×3, first 2 shown]
	ds_load_2addr_b32 v[80:81], v84 offset1:17
	ds_load_2addr_b32 v[82:83], v84 offset0:34 offset1:51
	ds_load_2addr_b32 v[103:104], v84 offset0:68 offset1:85
	;; [unrolled: 1-line block ×3, first 2 shown]
	v_cmp_eq_u32_e64 s6, 7, v78
	s_waitcnt lgkmcnt(3)
	v_max3_f32 v85, v80, 0xff7fffff, v81
	s_waitcnt lgkmcnt(2)
	s_delay_alu instid0(VALU_DEP_1) | instskip(SKIP_1) | instid1(VALU_DEP_1)
	v_max3_f32 v85, v85, v82, v83
	s_waitcnt lgkmcnt(1)
	v_max3_f32 v85, v85, v103, v104
	s_waitcnt lgkmcnt(0)
	s_delay_alu instid0(VALU_DEP_1) | instskip(NEXT) | instid1(VALU_DEP_1)
	v_max3_f32 v85, v85, v105, v106
	v_sub_f32_e32 v103, v103, v85
	ds_load_2addr_b32 v[107:108], v84 offset0:136 offset1:153
	v_sub_f32_e32 v80, v80, v85
	v_dual_sub_f32 v110, v83, v85 :: v_dual_mul_f32 v113, 0x3fb8aa3b, v103
	s_delay_alu instid0(VALU_DEP_2) | instskip(SKIP_3) | instid1(VALU_DEP_1)
	v_dual_sub_f32 v86, v81, v85 :: v_dual_mul_f32 v109, 0x3fb8aa3b, v80
	ds_load_2addr_b32 v[80:81], v84 offset0:170 offset1:187
	v_mul_f32_e32 v86, 0x3fb8aa3b, v86
	v_exp_f32_e32 v109, v109
	v_exp_f32_e32 v112, v86
	v_mul_f32_e32 v110, 0x3fb8aa3b, v110
	s_waitcnt lgkmcnt(1)
	s_waitcnt_depctr 0xfff
	v_fma_f32 v86, v109, v107, 0
	v_sub_f32_e32 v107, v104, v85
	v_sub_f32_e32 v82, v82, v85
	v_exp_f32_e32 v110, v110
	ds_load_2addr_b32 v[103:104], v84 offset0:238 offset1:255
	v_dual_fmac_f32 v86, v112, v108 :: v_dual_mul_f32 v111, 0x3fb8aa3b, v82
	ds_load_2addr_b32 v[82:83], v84 offset0:204 offset1:221
	v_dual_sub_f32 v84, v105, v85 :: v_dual_mul_f32 v105, 0x3fb8aa3b, v107
	v_exp_f32_e32 v107, v113
	v_exp_f32_e32 v111, v111
	s_waitcnt lgkmcnt(0)
	s_delay_alu instid0(VALU_DEP_1)
	v_mul_f32_e32 v84, 0x3fb8aa3b, v84
	v_exp_f32_e32 v105, v105
	s_barrier
	buffer_gl0_inv
	v_fmac_f32_e32 v86, v111, v80
	v_sub_f32_e32 v80, v106, v85
	v_exp_f32_e32 v106, v84
	s_delay_alu instid0(VALU_DEP_2) | instskip(NEXT) | instid1(VALU_DEP_2)
	v_fmac_f32_e32 v86, v110, v81
	v_mul_f32_e32 v80, 0x3fb8aa3b, v80
	s_delay_alu instid0(VALU_DEP_2) | instskip(NEXT) | instid1(VALU_DEP_2)
	v_dual_cndmask_b32 v81, v109, v112 :: v_dual_fmac_f32 v86, v107, v82
	v_exp_f32_e32 v108, v80
	s_delay_alu instid0(VALU_DEP_1) | instskip(SKIP_2) | instid1(VALU_DEP_1)
	v_fmac_f32_e32 v86, v105, v83
	s_waitcnt_depctr 0xfff
	v_fmac_f32_e32 v86, v106, v103
	v_fmac_f32_e32 v86, v108, v104
	s_delay_alu instid0(VALU_DEP_1) | instskip(NEXT) | instid1(VALU_DEP_1)
	v_add_f32_e32 v103, 0x358637bd, v86
	v_div_scale_f32 v104, null, v103, v103, 1.0
	v_div_scale_f32 v109, vcc_lo, 1.0, v103, 1.0
	s_delay_alu instid0(VALU_DEP_2) | instskip(SKIP_2) | instid1(VALU_DEP_1)
	v_rcp_f32_e32 v113, v104
	s_waitcnt_depctr 0xfff
	v_fma_f32 v80, -v104, v113, 1.0
	v_fmac_f32_e32 v113, v80, v113
	v_cndmask_b32_e64 v80, v81, v111, s3
	v_cmp_eq_u32_e64 s3, 4, v78
	v_lshl_or_b32 v81, v78, 11, v79
	s_delay_alu instid0(VALU_DEP_4) | instskip(NEXT) | instid1(VALU_DEP_4)
	v_mul_f32_e32 v111, v109, v113
	v_cndmask_b32_e64 v82, v80, v110, s4
	v_cmp_eq_u32_e64 s4, 6, v78
	s_delay_alu instid0(VALU_DEP_4) | instskip(SKIP_3) | instid1(VALU_DEP_3)
	v_lshl_or_b32 v78, v75, 4, v81
	v_lshlrev_b32_e32 v80, 2, v75
	v_fma_f32 v83, -v104, v111, v109
	v_cndmask_b32_e64 v84, v82, v107, s3
	v_or_b32_e32 v82, 1, v80
	s_delay_alu instid0(VALU_DEP_3) | instskip(NEXT) | instid1(VALU_DEP_3)
	v_fmac_f32_e32 v111, v83, v113
	v_cndmask_b32_e64 v105, v84, v105, s5
	v_or_b32_e32 v84, 2, v80
	v_or_b32_e32 v83, 3, v80
	v_cmp_eq_u32_e64 s3, 1, v80
	v_fma_f32 v104, -v104, v111, v109
	v_cndmask_b32_e64 v105, v105, v106, s4
	v_cmp_eq_u32_e64 s9, 1, v82
	v_cmp_eq_u32_e64 s10, 1, v84
	;; [unrolled: 1-line block ×3, first 2 shown]
	v_div_fmas_f32 v104, v104, v113, v111
	v_cndmask_b32_e64 v105, v105, v108, s6
	v_cmp_eq_u32_e32 vcc_lo, 2, v80
	v_cmp_eq_u32_e64 s12, 2, v82
	v_cmp_eq_u32_e64 s15, 2, v84
	v_div_fixup_f32 v103, v104, v103, 1.0
	v_cmp_eq_u32_e64 s16, 2, v83
	v_cmp_eq_u32_e64 s18, 3, v83
	;; [unrolled: 1-line block ×4, first 2 shown]
	v_mul_f32_e32 v111, v105, v103
	v_cmp_eq_u32_e64 s17, 3, v84
	v_cmp_eq_u32_e64 s22, 4, v83
	;; [unrolled: 1-line block ×4, first 2 shown]
	v_fma_mixlo_f16 v103, v111, v88, 0
	v_fma_mixlo_f16 v104, v111, v90, 0
	;; [unrolled: 1-line block ×8, first 2 shown]
	v_fma_mixhi_f16 v103, v111, v87, 0
	v_fma_mixhi_f16 v104, v111, v89, 0
	;; [unrolled: 1-line block ×8, first 2 shown]
	ds_store_b128 v78, v[103:106]
	ds_store_b128 v78, v[107:110] offset:1024
	s_waitcnt lgkmcnt(0)
	s_barrier
	buffer_gl0_inv
	ds_load_b128 v[87:90], v81
	ds_load_b128 v[91:94], v81 offset:16
	ds_load_b128 v[95:98], v81 offset:1024
	;; [unrolled: 1-line block ×3, first 2 shown]
	v_cmp_eq_u32_e64 s21, 4, v84
	v_cmp_eq_u32_e64 s24, 5, v83
	;; [unrolled: 1-line block ×13, first 2 shown]
	s_waitcnt lgkmcnt(3)
	v_lshrrev_b32_e32 v103, 16, v87
	s_waitcnt lgkmcnt(2)
	v_lshrrev_b32_e32 v107, 16, v91
	;; [unrolled: 2-line block ×4, first 2 shown]
	v_lshrrev_b32_e32 v104, 16, v88
	v_cndmask_b32_e64 v119, v87, v103, s3
	v_cndmask_b32_e64 v120, v91, v107, s3
	;; [unrolled: 1-line block ×8, first 2 shown]
	v_lshrrev_b32_e32 v108, 16, v92
	v_cndmask_b32_e64 v103, v95, v111, s3
	v_cndmask_b32_e64 v107, v99, v115, s3
	;; [unrolled: 1-line block ×5, first 2 shown]
	v_cndmask_b32_e32 v111, v119, v88, vcc_lo
	v_cndmask_b32_e64 v119, v121, v88, s12
	v_cndmask_b32_e64 v121, v123, v88, s15
	;; [unrolled: 1-line block ×4, first 2 shown]
	v_lshrrev_b32_e32 v112, 16, v96
	v_lshrrev_b32_e32 v116, 16, v100
	v_cndmask_b32_e64 v126, v99, v115, s9
	v_cndmask_b32_e64 v128, v99, v115, s10
	;; [unrolled: 1-line block ×3, first 2 shown]
	v_cndmask_b32_e32 v115, v120, v92, vcc_lo
	v_cndmask_b32_e64 v120, v122, v92, s12
	v_cndmask_b32_e64 v122, v124, v92, s15
	v_cndmask_b32_e32 v91, v103, v96, vcc_lo
	v_cndmask_b32_e32 v92, v107, v100, vcc_lo
	v_cndmask_b32_e64 v103, v125, v96, s12
	v_cndmask_b32_e64 v87, v87, v104, s18
	;; [unrolled: 1-line block ×3, first 2 shown]
	v_lshrrev_b32_e32 v105, 16, v89
	v_lshrrev_b32_e32 v109, 16, v93
	v_cndmask_b32_e64 v107, v127, v96, s15
	v_cndmask_b32_e64 v95, v95, v96, s16
	;; [unrolled: 1-line block ×14, first 2 shown]
	v_lshrrev_b32_e32 v113, 16, v97
	v_cndmask_b32_e64 v99, v99, v89, s5
	v_cndmask_b32_e64 v104, v111, v93, s5
	;; [unrolled: 1-line block ×11, first 2 shown]
	v_lshrrev_b32_e32 v106, 16, v90
	v_lshrrev_b32_e32 v110, 16, v94
	v_cndmask_b32_e64 v93, v99, v105, s6
	v_cndmask_b32_e64 v99, v104, v109, s6
	;; [unrolled: 1-line block ×9, first 2 shown]
	v_lshrrev_b32_e32 v114, 16, v98
	v_cndmask_b32_e64 v89, v89, v113, s6
	v_cndmask_b32_e64 v93, v93, v90, s7
	;; [unrolled: 1-line block ×19, first 2 shown]
	v_perm_b32 v90, v88, v87, 0x5040100
	v_cndmask_b32_e64 v87, v126, v100, s12
	v_cndmask_b32_e64 v105, v89, v114, s8
	v_perm_b32 v89, v103, v99, 0x5040100
	v_perm_b32 v88, v104, v94, 0x5040100
	v_cndmask_b32_e64 v94, v107, v112, s17
	v_cndmask_b32_e64 v95, v95, v112, s18
	;; [unrolled: 1-line block ×5, first 2 shown]
	v_lshrrev_b32_e32 v117, 16, v101
	v_cndmask_b32_e64 v94, v94, v97, s21
	v_cndmask_b32_e64 v95, v95, v97, s22
	;; [unrolled: 1-line block ×11, first 2 shown]
	v_lshrrev_b32_e32 v118, 16, v102
	v_cndmask_b32_e64 v91, v91, v102, s7
	v_cndmask_b32_e64 v94, v94, v98, s26
	;; [unrolled: 1-line block ×12, first 2 shown]
	v_perm_b32 v87, v93, v92, 0x5040100
	v_perm_b32 v94, v95, v94, 0x5040100
	;; [unrolled: 1-line block ×5, first 2 shown]
	s_mul_i32 s7, s33, 11
	s_mov_b32 s3, exec_lo
	ds_store_b128 v78, v[87:90]
	ds_store_b128 v78, v[91:94] offset:1024
	v_cmpx_gt_u32_e32 11, v0
	s_cbranch_execz .LBB316_16
; %bb.15:
	s_mul_i32 s4, s7, s34
	s_load_b128 s[8:11], s[0:1], 0x58
	v_add3_u32 v77, s4, s31, v77
	s_delay_alu instid0(VALU_DEP_1) | instskip(NEXT) | instid1(VALU_DEP_1)
	v_mad_u64_u32 v[87:88], null, v77, s35, s[14:15]
	v_ashrrev_i32_e32 v88, 31, v87
	s_delay_alu instid0(VALU_DEP_1) | instskip(SKIP_1) | instid1(VALU_DEP_1)
	v_lshlrev_b64 v[87:88], 2, v[87:88]
	s_waitcnt lgkmcnt(0)
	v_add_co_u32 v89, vcc_lo, s10, v87
	s_delay_alu instid0(VALU_DEP_2)
	v_add_co_ci_u32_e32 v90, vcc_lo, s11, v88, vcc_lo
	v_add_co_u32 v87, vcc_lo, s8, v87
	v_add_co_ci_u32_e32 v88, vcc_lo, s9, v88, vcc_lo
	global_store_b32 v[89:90], v85, off
	global_store_b32 v[87:88], v86, off
.LBB316_16:
	s_or_b32 exec_lo, exec_lo, s3
	s_waitcnt lgkmcnt(0)
	s_waitcnt_vscnt null, 0x0
	s_barrier
	buffer_gl0_inv
	ds_load_b128 v[93:96], v79
	ds_load_b128 v[97:100], v79 offset:16
	ds_load_b128 v[105:108], v79 offset:1040
	;; [unrolled: 1-line block ×5, first 2 shown]
	v_cmp_eq_u32_e32 vcc_lo, 1, v84
	v_mov_b32_e32 v85, 0
	ds_load_b128 v[121:124], v79 offset:3088
	ds_load_b128 v[117:120], v79 offset:3072
	;; [unrolled: 1-line block ×4, first 2 shown]
	v_cmp_eq_u32_e64 s3, 1, v80
	v_cmp_eq_u32_e64 s4, 1, v83
	;; [unrolled: 1-line block ×3, first 2 shown]
	v_mov_b32_e32 v86, v85
	v_mov_b32_e32 v87, v85
	;; [unrolled: 1-line block ×7, first 2 shown]
	v_cmp_eq_u32_e64 s6, 2, v80
	s_waitcnt lgkmcnt(8)
	s_delay_alu instid0(VALU_DEP_2)
	v_wmma_f32_16x16x16_f16 v[85:92], v[65:72], v[93:100], v[85:92]
	ds_load_b128 v[69:72], v79 offset:5136
	ds_load_b128 v[65:68], v79 offset:5120
	;; [unrolled: 1-line block ×4, first 2 shown]
	s_waitcnt lgkmcnt(10)
	v_wmma_f32_16x16x16_f16 v[85:92], v[57:64], v[101:108], v[85:92]
	s_waitcnt lgkmcnt(8)
	s_delay_alu instid0(VALU_DEP_1)
	v_wmma_f32_16x16x16_f16 v[85:92], v[57:64], v[109:116], v[85:92]
	ds_load_b128 v[61:64], v79 offset:7184
	ds_load_b128 v[57:60], v79 offset:7168
	;; [unrolled: 1-line block ×4, first 2 shown]
	s_waitcnt lgkmcnt(10)
	v_wmma_f32_16x16x16_f16 v[85:92], v[49:56], v[117:124], v[85:92]
	s_waitcnt lgkmcnt(8)
	s_delay_alu instid0(VALU_DEP_1)
	v_wmma_f32_16x16x16_f16 v[85:92], v[49:56], v[125:132], v[85:92]
	ds_load_b128 v[53:56], v79 offset:9232
	ds_load_b128 v[49:52], v79 offset:9216
	s_waitcnt lgkmcnt(8)
	v_wmma_f32_16x16x16_f16 v[85:92], v[41:48], v[65:72], v[85:92]
	ds_load_b128 v[69:72], v79 offset:10256
	ds_load_b128 v[65:68], v79 offset:10240
	s_waitcnt lgkmcnt(8)
	;; [unrolled: 4-line block ×7, first 2 shown]
	s_barrier
	buffer_gl0_inv
	v_wmma_f32_16x16x16_f16 v[85:92], v[33:40], v[41:48], v[85:92]
	s_delay_alu instid0(VALU_DEP_1) | instskip(NEXT) | instid1(VALU_DEP_1)
	v_wmma_f32_16x16x16_f16 v[85:92], v[33:40], v[57:64], v[85:92]
	v_wmma_f32_16x16x16_f16 v[85:92], v[25:32], v[9:16], v[85:92]
	s_delay_alu instid0(VALU_DEP_1) | instskip(NEXT) | instid1(VALU_DEP_1)
	v_wmma_f32_16x16x16_f16 v[85:92], v[25:32], v[49:56], v[85:92]
	v_wmma_f32_16x16x16_f16 v[85:92], v[17:24], v[1:8], v[85:92]
	s_delay_alu instid0(VALU_DEP_1) | instskip(NEXT) | instid1(VALU_DEP_2)
	v_cvt_f16_f32_e32 v1, v85
	v_cvt_f16_f32_e32 v2, v86
	s_delay_alu instid0(VALU_DEP_3) | instskip(NEXT) | instid1(VALU_DEP_4)
	v_cvt_f16_f32_e32 v3, v87
	v_cvt_f16_f32_e32 v4, v88
	;; [unrolled: 1-line block ×6, first 2 shown]
	v_pack_b32_f16 v1, v1, v2
	v_pack_b32_f16 v2, v3, v4
	;; [unrolled: 1-line block ×3, first 2 shown]
	s_delay_alu instid0(VALU_DEP_4)
	v_pack_b32_f16 v4, v7, v8
	ds_store_b128 v78, v[1:4]
	s_waitcnt lgkmcnt(0)
	s_barrier
	buffer_gl0_inv
	ds_load_b128 v[1:4], v81
	ds_load_b128 v[5:8], v81 offset:16
	s_waitcnt lgkmcnt(1)
	v_lshrrev_b32_e32 v9, 16, v1
	s_waitcnt lgkmcnt(0)
	v_lshrrev_b32_e32 v13, 16, v5
	v_lshrrev_b32_e32 v15, 16, v7
	;; [unrolled: 1-line block ×4, first 2 shown]
	v_cndmask_b32_e64 v17, v1, v9, s3
	v_cndmask_b32_e64 v18, v5, v13, s3
	;; [unrolled: 1-line block ×3, first 2 shown]
	v_cmp_eq_u32_e64 s3, 2, v82
	v_cndmask_b32_e64 v20, v5, v13, s5
	v_cndmask_b32_e32 v21, v1, v9, vcc_lo
	v_cndmask_b32_e32 v22, v5, v13, vcc_lo
	v_cndmask_b32_e64 v1, v1, v9, s4
	v_cndmask_b32_e64 v5, v5, v13, s4
	v_cmp_eq_u32_e32 vcc_lo, 2, v84
	v_cmp_eq_u32_e64 s4, 2, v83
	v_cndmask_b32_e64 v9, v17, v2, s6
	v_cndmask_b32_e64 v13, v18, v6, s6
	;; [unrolled: 1-line block ×4, first 2 shown]
	v_cndmask_b32_e32 v19, v21, v2, vcc_lo
	v_cmp_eq_u32_e64 s3, 3, v84
	v_cndmask_b32_e32 v20, v22, v6, vcc_lo
	v_cndmask_b32_e64 v1, v1, v2, s4
	v_cmp_eq_u32_e32 vcc_lo, 3, v83
	v_cmp_eq_u32_e64 s5, 3, v80
	v_cndmask_b32_e64 v2, v5, v6, s4
	v_cmp_eq_u32_e64 s4, 3, v82
	v_lshrrev_b32_e32 v16, 16, v8
	v_cmp_eq_u32_e64 s6, 4, v80
	v_cndmask_b32_e64 v5, v9, v10, s5
	v_cndmask_b32_e64 v6, v13, v14, s5
	;; [unrolled: 1-line block ×3, first 2 shown]
	v_cmp_eq_u32_e64 s5, 4, v82
	v_cndmask_b32_e64 v13, v18, v14, s4
	v_cndmask_b32_e64 v17, v19, v10, s3
	;; [unrolled: 1-line block ×3, first 2 shown]
	v_cndmask_b32_e32 v1, v1, v10, vcc_lo
	v_cndmask_b32_e32 v2, v2, v14, vcc_lo
	v_cmp_eq_u32_e32 vcc_lo, 4, v84
	v_cmp_eq_u32_e64 s4, 4, v83
	v_lshrrev_b32_e32 v11, 16, v3
	v_cndmask_b32_e64 v5, v5, v3, s6
	v_cndmask_b32_e64 v6, v6, v7, s6
	;; [unrolled: 1-line block ×4, first 2 shown]
	v_cndmask_b32_e32 v13, v17, v3, vcc_lo
	v_cmp_eq_u32_e64 s3, 5, v84
	v_cndmask_b32_e32 v14, v18, v7, vcc_lo
	v_cndmask_b32_e64 v1, v1, v3, s4
	v_cmp_eq_u32_e32 vcc_lo, 5, v83
	v_cmp_eq_u32_e64 s5, 5, v80
	v_cndmask_b32_e64 v2, v2, v7, s4
	v_cmp_eq_u32_e64 s4, 5, v82
	v_cmp_eq_u32_e64 s6, 6, v80
	v_cndmask_b32_e32 v1, v1, v11, vcc_lo
	v_cndmask_b32_e64 v3, v5, v11, s5
	v_cndmask_b32_e64 v5, v6, v15, s5
	;; [unrolled: 1-line block ×3, first 2 shown]
	v_cmp_eq_u32_e64 s5, 6, v82
	v_cndmask_b32_e64 v7, v10, v15, s4
	v_cndmask_b32_e64 v9, v13, v11, s3
	;; [unrolled: 1-line block ×3, first 2 shown]
	v_cndmask_b32_e32 v2, v2, v15, vcc_lo
	v_cmp_eq_u32_e32 vcc_lo, 6, v84
	v_cmp_eq_u32_e64 s3, 6, v83
	v_lshrrev_b32_e32 v12, 16, v4
	v_cndmask_b32_e64 v3, v3, v4, s6
	v_cndmask_b32_e64 v5, v5, v8, s6
	;; [unrolled: 1-line block ×4, first 2 shown]
	v_cndmask_b32_e32 v9, v9, v4, vcc_lo
	v_cmp_eq_u32_e64 s4, 7, v84
	v_cndmask_b32_e32 v10, v10, v8, vcc_lo
	v_cndmask_b32_e64 v1, v1, v4, s3
	v_cmp_eq_u32_e32 vcc_lo, 7, v83
	v_cndmask_b32_e64 v2, v2, v8, s3
	v_cmp_eq_u32_e64 s3, 7, v80
	v_cmp_eq_u32_e64 s5, 7, v82
	v_cndmask_b32_e32 v1, v1, v12, vcc_lo
	s_delay_alu instid0(VALU_DEP_4) | instskip(NEXT) | instid1(VALU_DEP_4)
	v_cndmask_b32_e32 v2, v2, v16, vcc_lo
	v_cndmask_b32_e64 v8, v3, v12, s3
	s_delay_alu instid0(VALU_DEP_4)
	v_cndmask_b32_e64 v6, v6, v12, s5
	v_cndmask_b32_e64 v3, v9, v12, s4
	;; [unrolled: 1-line block ×5, first 2 shown]
	v_perm_b32 v4, v2, v1, 0x5040100
	s_mov_b32 s3, exec_lo
	v_perm_b32 v3, v9, v3, 0x5040100
	v_perm_b32 v2, v7, v6, 0x5040100
	;; [unrolled: 1-line block ×3, first 2 shown]
	ds_store_b128 v78, v[1:4]
	s_waitcnt lgkmcnt(0)
	s_barrier
	buffer_gl0_inv
	v_cmpx_gt_u32_e32 32, v0
	s_cbranch_execz .LBB316_2
; %bb.17:
	s_load_b64 s[4:5], s[0:1], 0x68
	v_lshlrev_b32_e32 v0, 10, v0
	v_lshlrev_b32_e32 v1, 4, v76
	s_lshl_b32 s0, s35, 7
	v_add_nc_u32_e32 v7, s31, v75
	s_mul_i32 s1, s0, s34
	s_delay_alu instid0(SALU_CYCLE_1) | instskip(SKIP_1) | instid1(VALU_DEP_2)
	s_mul_i32 s6, s1, s7
	v_and_or_b32 v0, 0x3800, v0, v1
	v_mul_lo_u32 v1, v7, s0
	v_add_nc_u32_e32 v2, 2, v7
	s_ashr_i32 s7, s6, 31
	v_add_nc_u32_e32 v4, 4, v7
	s_lshl_b64 s[6:7], s[6:7], 1
	v_add_nc_u32_e32 v8, 6, v7
	v_mul_lo_u32 v3, v2, s0
	v_lshl_or_b32 v19, v75, 6, v0
	v_ashrrev_i32_e32 v2, 31, v1
	v_mul_lo_u32 v11, v4, s0
	v_mul_lo_u32 v25, v8, s0
	s_waitcnt lgkmcnt(0)
	s_add_u32 s1, s4, s6
	s_addc_u32 s3, s5, s7
	s_lshl_b32 s4, s14, 7
	v_lshlrev_b64 v[5:6], 1, v[1:2]
	s_ashr_i32 s5, s4, 31
	v_ashrrev_i32_e32 v4, 31, v3
	s_lshl_b64 s[4:5], s[4:5], 1
	v_ashrrev_i32_e32 v12, 31, v11
	s_add_u32 s1, s1, s4
	s_addc_u32 s3, s3, s5
	v_add_co_u32 v1, vcc_lo, s1, v73
	v_add_co_ci_u32_e32 v2, vcc_lo, s3, v74, vcc_lo
	v_lshlrev_b64 v[3:4], 1, v[3:4]
	s_delay_alu instid0(VALU_DEP_3) | instskip(SKIP_1) | instid1(VALU_DEP_4)
	v_add_co_u32 v23, vcc_lo, v1, v5
	v_add_nc_u32_e32 v5, 8, v7
	v_add_co_ci_u32_e32 v24, vcc_lo, v2, v6, vcc_lo
	s_delay_alu instid0(VALU_DEP_4) | instskip(NEXT) | instid1(VALU_DEP_3)
	v_add_co_u32 v27, vcc_lo, v1, v3
	v_mul_lo_u32 v29, v5, s0
	v_add_co_ci_u32_e32 v28, vcc_lo, v2, v4, vcc_lo
	ds_load_b128 v[3:6], v19
	ds_load_b128 v[7:10], v19 offset:128
	v_lshlrev_b64 v[31:32], 1, v[11:12]
	ds_load_b128 v[11:14], v19 offset:256
	ds_load_b128 v[15:18], v19 offset:384
	;; [unrolled: 1-line block ×3, first 2 shown]
	v_ashrrev_i32_e32 v26, 31, v25
	v_ashrrev_i32_e32 v30, 31, v29
	v_add_co_u32 v31, vcc_lo, v1, v31
	s_delay_alu instid0(VALU_DEP_3) | instskip(NEXT) | instid1(VALU_DEP_3)
	v_lshlrev_b64 v[25:26], 1, v[25:26]
	v_lshlrev_b64 v[29:30], 1, v[29:30]
	v_add_co_ci_u32_e32 v32, vcc_lo, v2, v32, vcc_lo
	s_delay_alu instid0(VALU_DEP_3) | instskip(NEXT) | instid1(VALU_DEP_4)
	v_add_co_u32 v25, vcc_lo, v1, v25
	v_add_co_ci_u32_e32 v26, vcc_lo, v2, v26, vcc_lo
	s_delay_alu instid0(VALU_DEP_4)
	v_add_co_u32 v29, vcc_lo, v1, v29
	v_add_co_ci_u32_e32 v30, vcc_lo, v2, v30, vcc_lo
	s_waitcnt lgkmcnt(4)
	global_store_b128 v[23:24], v[3:6], off
	s_waitcnt lgkmcnt(3)
	global_store_b128 v[27:28], v[7:10], off
	;; [unrolled: 2-line block ×5, first 2 shown]
	s_and_b32 exec_lo, exec_lo, s2
	s_cbranch_execz .LBB316_2
; %bb.18:
	ds_load_b128 v[3:6], v0 offset:640
	s_add_i32 s1, s31, 10
	s_delay_alu instid0(SALU_CYCLE_1) | instskip(NEXT) | instid1(SALU_CYCLE_1)
	s_mul_i32 s0, s1, s0
	s_ashr_i32 s1, s0, 31
	s_delay_alu instid0(SALU_CYCLE_1) | instskip(NEXT) | instid1(SALU_CYCLE_1)
	s_lshl_b64 s[0:1], s[0:1], 1
	v_add_co_u32 v0, vcc_lo, v1, s0
	v_add_co_ci_u32_e32 v1, vcc_lo, s1, v2, vcc_lo
	s_waitcnt lgkmcnt(0)
	global_store_b128 v[0:1], v[3:6], off
	s_nop 0
	s_sendmsg sendmsg(MSG_DEALLOC_VGPRS)
	s_endpgm
	.section	.rodata,"a",@progbits
	.p2align	6, 0x0
	.amdhsa_kernel _Z39paged_attention_ll4mi_QKV_mfma16_kernelIDF16_DF16_LN4vllm18Fp8KVCacheDataTypeE0EhLi32ELi128ELi256ELb1ELi11EL8MFMAType0EEvPKT_PKT0_S8_ifPKiSA_SA_iPKfiiiPfSD_PS3_PT2_iSC_SC_
		.amdhsa_group_segment_fixed_size 17472
		.amdhsa_private_segment_fixed_size 0
		.amdhsa_kernarg_size 400
		.amdhsa_user_sgpr_count 13
		.amdhsa_user_sgpr_dispatch_ptr 0
		.amdhsa_user_sgpr_queue_ptr 0
		.amdhsa_user_sgpr_kernarg_segment_ptr 1
		.amdhsa_user_sgpr_dispatch_id 0
		.amdhsa_user_sgpr_private_segment_size 0
		.amdhsa_wavefront_size32 1
		.amdhsa_uses_dynamic_stack 0
		.amdhsa_enable_private_segment 0
		.amdhsa_system_sgpr_workgroup_id_x 1
		.amdhsa_system_sgpr_workgroup_id_y 1
		.amdhsa_system_sgpr_workgroup_id_z 1
		.amdhsa_system_sgpr_workgroup_info 0
		.amdhsa_system_vgpr_workitem_id 0
		.amdhsa_next_free_vgpr 172
		.amdhsa_next_free_sgpr 39
		.amdhsa_reserve_vcc 1
		.amdhsa_float_round_mode_32 0
		.amdhsa_float_round_mode_16_64 0
		.amdhsa_float_denorm_mode_32 3
		.amdhsa_float_denorm_mode_16_64 3
		.amdhsa_dx10_clamp 1
		.amdhsa_ieee_mode 1
		.amdhsa_fp16_overflow 0
		.amdhsa_workgroup_processor_mode 1
		.amdhsa_memory_ordered 1
		.amdhsa_forward_progress 0
		.amdhsa_shared_vgpr_count 0
		.amdhsa_exception_fp_ieee_invalid_op 0
		.amdhsa_exception_fp_denorm_src 0
		.amdhsa_exception_fp_ieee_div_zero 0
		.amdhsa_exception_fp_ieee_overflow 0
		.amdhsa_exception_fp_ieee_underflow 0
		.amdhsa_exception_fp_ieee_inexact 0
		.amdhsa_exception_int_div_zero 0
	.end_amdhsa_kernel
	.section	.text._Z39paged_attention_ll4mi_QKV_mfma16_kernelIDF16_DF16_LN4vllm18Fp8KVCacheDataTypeE0EhLi32ELi128ELi256ELb1ELi11EL8MFMAType0EEvPKT_PKT0_S8_ifPKiSA_SA_iPKfiiiPfSD_PS3_PT2_iSC_SC_,"axG",@progbits,_Z39paged_attention_ll4mi_QKV_mfma16_kernelIDF16_DF16_LN4vllm18Fp8KVCacheDataTypeE0EhLi32ELi128ELi256ELb1ELi11EL8MFMAType0EEvPKT_PKT0_S8_ifPKiSA_SA_iPKfiiiPfSD_PS3_PT2_iSC_SC_,comdat
.Lfunc_end316:
	.size	_Z39paged_attention_ll4mi_QKV_mfma16_kernelIDF16_DF16_LN4vllm18Fp8KVCacheDataTypeE0EhLi32ELi128ELi256ELb1ELi11EL8MFMAType0EEvPKT_PKT0_S8_ifPKiSA_SA_iPKfiiiPfSD_PS3_PT2_iSC_SC_, .Lfunc_end316-_Z39paged_attention_ll4mi_QKV_mfma16_kernelIDF16_DF16_LN4vllm18Fp8KVCacheDataTypeE0EhLi32ELi128ELi256ELb1ELi11EL8MFMAType0EEvPKT_PKT0_S8_ifPKiSA_SA_iPKfiiiPfSD_PS3_PT2_iSC_SC_
                                        ; -- End function
	.section	.AMDGPU.csdata,"",@progbits
; Kernel info:
; codeLenInByte = 7656
; NumSgprs: 41
; NumVgprs: 172
; ScratchSize: 0
; MemoryBound: 0
; FloatMode: 240
; IeeeMode: 1
; LDSByteSize: 17472 bytes/workgroup (compile time only)
; SGPRBlocks: 5
; VGPRBlocks: 21
; NumSGPRsForWavesPerEU: 41
; NumVGPRsForWavesPerEU: 172
; Occupancy: 8
; WaveLimiterHint : 1
; COMPUTE_PGM_RSRC2:SCRATCH_EN: 0
; COMPUTE_PGM_RSRC2:USER_SGPR: 13
; COMPUTE_PGM_RSRC2:TRAP_HANDLER: 0
; COMPUTE_PGM_RSRC2:TGID_X_EN: 1
; COMPUTE_PGM_RSRC2:TGID_Y_EN: 1
; COMPUTE_PGM_RSRC2:TGID_Z_EN: 1
; COMPUTE_PGM_RSRC2:TIDIG_COMP_CNT: 0
	.section	.text._Z39paged_attention_ll4mi_QKV_mfma16_kernelIDF16_DF16_LN4vllm18Fp8KVCacheDataTypeE0EhLi32ELi128ELi256ELb1ELi12EL8MFMAType0EEvPKT_PKT0_S8_ifPKiSA_SA_iPKfiiiPfSD_PS3_PT2_iSC_SC_,"axG",@progbits,_Z39paged_attention_ll4mi_QKV_mfma16_kernelIDF16_DF16_LN4vllm18Fp8KVCacheDataTypeE0EhLi32ELi128ELi256ELb1ELi12EL8MFMAType0EEvPKT_PKT0_S8_ifPKiSA_SA_iPKfiiiPfSD_PS3_PT2_iSC_SC_,comdat
	.protected	_Z39paged_attention_ll4mi_QKV_mfma16_kernelIDF16_DF16_LN4vllm18Fp8KVCacheDataTypeE0EhLi32ELi128ELi256ELb1ELi12EL8MFMAType0EEvPKT_PKT0_S8_ifPKiSA_SA_iPKfiiiPfSD_PS3_PT2_iSC_SC_ ; -- Begin function _Z39paged_attention_ll4mi_QKV_mfma16_kernelIDF16_DF16_LN4vllm18Fp8KVCacheDataTypeE0EhLi32ELi128ELi256ELb1ELi12EL8MFMAType0EEvPKT_PKT0_S8_ifPKiSA_SA_iPKfiiiPfSD_PS3_PT2_iSC_SC_
	.globl	_Z39paged_attention_ll4mi_QKV_mfma16_kernelIDF16_DF16_LN4vllm18Fp8KVCacheDataTypeE0EhLi32ELi128ELi256ELb1ELi12EL8MFMAType0EEvPKT_PKT0_S8_ifPKiSA_SA_iPKfiiiPfSD_PS3_PT2_iSC_SC_
	.p2align	8
	.type	_Z39paged_attention_ll4mi_QKV_mfma16_kernelIDF16_DF16_LN4vllm18Fp8KVCacheDataTypeE0EhLi32ELi128ELi256ELb1ELi12EL8MFMAType0EEvPKT_PKT0_S8_ifPKiSA_SA_iPKfiiiPfSD_PS3_PT2_iSC_SC_,@function
_Z39paged_attention_ll4mi_QKV_mfma16_kernelIDF16_DF16_LN4vllm18Fp8KVCacheDataTypeE0EhLi32ELi128ELi256ELb1ELi12EL8MFMAType0EEvPKT_PKT0_S8_ifPKiSA_SA_iPKfiiiPfSD_PS3_PT2_iSC_SC_: ; @_Z39paged_attention_ll4mi_QKV_mfma16_kernelIDF16_DF16_LN4vllm18Fp8KVCacheDataTypeE0EhLi32ELi128ELi256ELb1ELi12EL8MFMAType0EEvPKT_PKT0_S8_ifPKiSA_SA_iPKfiiiPfSD_PS3_PT2_iSC_SC_
; %bb.0:
	s_load_b64 s[2:3], s[0:1], 0x30
	s_mov_b32 s30, s13
	s_waitcnt lgkmcnt(0)
	s_cmp_lg_u64 s[2:3], 0
	s_cselect_b32 s6, -1, 0
	s_ashr_i32 s31, s13, 31
	s_cmp_eq_u64 s[2:3], 0
	s_cbranch_scc1 .LBB317_3
; %bb.1:
	s_lshl_b64 s[4:5], s[30:31], 2
	s_delay_alu instid0(SALU_CYCLE_1) | instskip(SKIP_4) | instid1(SALU_CYCLE_1)
	s_add_u32 s4, s2, s4
	s_addc_u32 s5, s3, s5
	s_load_b64 s[4:5], s[4:5], 0x0
	s_waitcnt lgkmcnt(0)
	s_sub_i32 s4, s5, s4
	s_cmp_eq_u32 s4, 1
	s_cselect_b32 s4, -1, 0
	s_delay_alu instid0(SALU_CYCLE_1)
	s_and_not1_b32 vcc_lo, exec_lo, s4
	s_cbranch_vccz .LBB317_4
.LBB317_2:
	s_endpgm
.LBB317_3:
.LBB317_4:
	s_load_b64 s[8:9], s[0:1], 0x28
	s_lshl_b64 s[4:5], s[30:31], 2
	s_waitcnt lgkmcnt(0)
	s_add_u32 s8, s8, s4
	s_addc_u32 s9, s9, s5
	s_lshl_b32 s12, s14, 8
	s_load_b32 s17, s[8:9], 0x0
	s_waitcnt lgkmcnt(0)
	s_cmp_ge_i32 s12, s17
	s_cbranch_scc1 .LBB317_2
; %bb.5:
	s_and_not1_b32 vcc_lo, exec_lo, s6
	s_cbranch_vccnz .LBB317_7
; %bb.6:
	s_add_u32 s2, s2, s4
	s_addc_u32 s3, s3, s5
	s_load_b32 s13, s[2:3], 0x0
	s_branch .LBB317_8
.LBB317_7:
	s_mov_b32 s13, s30
.LBB317_8:
	s_clause 0x2
	s_load_b128 s[8:11], s[0:1], 0x8
	s_load_b64 s[2:3], s[0:1], 0x20
	s_load_b128 s[4:7], s[0:1], 0x48
	v_and_b32_e32 v77, 15, v0
	s_waitcnt lgkmcnt(0)
	s_mov_b32 s7, exec_lo
	s_delay_alu instid0(VALU_DEP_1)
	v_lshlrev_b32_e32 v1, 3, v77
	v_cmpx_lt_u32_e32 0xbf, v0
	s_xor_b32 s7, exec_lo, s7
; %bb.9:
	v_mov_b32_e32 v2, 0
; %bb.10:
	s_or_saveexec_b32 s7, s7
	v_lshrrev_b32_e32 v78, 5, v0
	v_and_b32_e32 v80, 31, v0
	v_and_b32_e32 v76, 1, v0
	v_bfe_u32 v75, v0, 4, 1
	s_mul_i32 s31, s15, 12
	s_xor_b32 exec_lo, exec_lo, s7
	s_cbranch_execz .LBB317_12
; %bb.11:
	s_load_b64 s[18:19], s[0:1], 0x0
	v_lshl_or_b32 v7, v78, 1, v75
	s_mul_hi_i32 s21, s13, s4
	s_mul_i32 s20, s13, s4
	v_lshlrev_b32_e32 v4, 1, v1
	s_lshl_b64 s[20:21], s[20:21], 1
	v_add_lshl_u32 v2, v7, s31, 7
	v_lshlrev_b32_e32 v7, 6, v7
	v_lshlrev_b32_e32 v8, 10, v76
	s_delay_alu instid0(VALU_DEP_3) | instskip(NEXT) | instid1(VALU_DEP_1)
	v_ashrrev_i32_e32 v3, 31, v2
	v_lshlrev_b64 v[2:3], 1, v[2:3]
	s_waitcnt lgkmcnt(0)
	s_add_u32 s4, s18, s20
	s_addc_u32 s13, s19, s21
	s_delay_alu instid0(VALU_DEP_1) | instskip(NEXT) | instid1(VALU_DEP_2)
	v_add_co_u32 v2, vcc_lo, s4, v2
	v_add_co_ci_u32_e32 v3, vcc_lo, s13, v3, vcc_lo
	s_delay_alu instid0(VALU_DEP_2) | instskip(NEXT) | instid1(VALU_DEP_2)
	v_add_co_u32 v2, vcc_lo, v2, v4
	v_add_co_ci_u32_e32 v3, vcc_lo, 0, v3, vcc_lo
	global_load_b128 v[3:6], v[2:3], off
	v_lshlrev_b32_e32 v2, 10, v77
	s_delay_alu instid0(VALU_DEP_1) | instskip(NEXT) | instid1(VALU_DEP_1)
	v_and_b32_e32 v2, 0x3800, v2
	v_or3_b32 v7, v2, v8, v7
	v_mov_b32_e32 v2, 0
	s_waitcnt vmcnt(0)
	ds_store_b128 v7, v[3:6]
.LBB317_12:
	s_or_b32 exec_lo, exec_lo, s7
	v_and_b32_e32 v3, 0xef, v0
	s_add_i32 s4, s17, 31
	s_clause 0x1
	s_load_b32 s7, s[0:1], 0x38
	s_load_b32 s33, s[0:1], 0x98
	s_ashr_i32 s13, s4, 31
	v_add_nc_u32_e32 v3, s12, v3
	s_lshr_b32 s13, s13, 27
	s_load_b32 s18, s[0:1], 0x1c
	s_add_i32 s4, s4, s13
	s_waitcnt lgkmcnt(0)
	v_ashrrev_i32_e32 v4, 31, v3
	v_cmp_gt_i32_e32 vcc_lo, s17, v3
	s_ashr_i32 s4, s4, 5
	s_barrier
	s_add_i32 s4, s4, -1
	v_lshrrev_b32_e32 v5, 27, v4
	v_or_b32_e32 v4, 16, v3
	buffer_gl0_inv
	v_lshlrev_b64 v[73:74], 1, v[1:2]
	v_lshlrev_b32_e32 v79, 6, v77
	v_add_nc_u32_e32 v6, v3, v5
	v_add_nc_u32_e32 v5, v4, v5
	s_mul_i32 s20, s30, s7
	s_delay_alu instid0(SALU_CYCLE_1) | instskip(NEXT) | instid1(VALU_DEP_2)
	s_ashr_i32 s21, s20, 31
	v_ashrrev_i32_e32 v6, 5, v6
	s_delay_alu instid0(VALU_DEP_2) | instskip(SKIP_1) | instid1(SALU_CYCLE_1)
	v_ashrrev_i32_e32 v5, 5, v5
	s_lshl_b64 s[20:21], s[20:21], 2
	s_add_u32 s13, s2, s20
	s_delay_alu instid0(VALU_DEP_2) | instskip(SKIP_3) | instid1(SALU_CYCLE_1)
	v_cndmask_b32_e32 v3, s4, v6, vcc_lo
	v_cmp_gt_i32_e32 vcc_lo, s17, v4
	s_addc_u32 s16, s3, s21
	s_mul_i32 s2, s15, s6
	s_ashr_i32 s3, s2, 31
	v_cndmask_b32_e32 v5, s4, v5, vcc_lo
	v_ashrrev_i32_e32 v4, 31, v3
	s_lshl_b64 s[2:3], s[2:3], 1
	s_delay_alu instid0(SALU_CYCLE_1) | instskip(NEXT) | instid1(VALU_DEP_2)
	s_add_u32 s15, s8, s2
	v_ashrrev_i32_e32 v6, 31, v5
	s_delay_alu instid0(VALU_DEP_2) | instskip(SKIP_2) | instid1(VALU_DEP_2)
	v_lshlrev_b64 v[3:4], 2, v[3:4]
	s_addc_u32 s19, s9, s3
	s_lshl_b32 s6, s14, 3
	v_lshlrev_b64 v[5:6], 2, v[5:6]
	s_ashr_i32 s7, s6, 31
	s_delay_alu instid0(VALU_DEP_2) | instskip(SKIP_1) | instid1(VALU_DEP_3)
	v_add_co_u32 v3, vcc_lo, s13, v3
	v_add_co_ci_u32_e32 v4, vcc_lo, s16, v4, vcc_lo
	v_add_co_u32 v5, vcc_lo, s13, v5
	s_delay_alu instid0(VALU_DEP_4)
	v_add_co_ci_u32_e32 v6, vcc_lo, s16, v6, vcc_lo
	s_lshl_b64 s[6:7], s[6:7], 2
	s_clause 0x1
	global_load_b32 v7, v[3:4], off
	global_load_b32 v8, v[5:6], off
	s_add_u32 s6, s13, s6
	s_addc_u32 s7, s16, s7
	s_or_b32 s8, s12, 32
	s_delay_alu instid0(SALU_CYCLE_1) | instskip(SKIP_2) | instid1(SALU_CYCLE_1)
	s_ashr_i32 s9, s8, 5
	s_cmp_lt_i32 s8, s17
	s_cselect_b32 s8, s9, s4
	s_ashr_i32 s9, s8, 31
	s_delay_alu instid0(SALU_CYCLE_1) | instskip(NEXT) | instid1(SALU_CYCLE_1)
	s_lshl_b64 s[8:9], s[8:9], 2
	s_add_u32 s8, s13, s8
	s_addc_u32 s9, s16, s9
	s_or_b32 s20, s12, 64
	s_delay_alu instid0(SALU_CYCLE_1) | instskip(SKIP_2) | instid1(SALU_CYCLE_1)
	s_ashr_i32 s21, s20, 5
	s_cmp_lt_i32 s20, s17
	s_cselect_b32 s20, s21, s4
	s_ashr_i32 s21, s20, 31
	s_delay_alu instid0(SALU_CYCLE_1) | instskip(NEXT) | instid1(SALU_CYCLE_1)
	s_lshl_b64 s[20:21], s[20:21], 2
	;; [unrolled: 10-line block ×5, first 2 shown]
	s_add_u32 s26, s13, s26
	s_addc_u32 s27, s16, s27
	s_clause 0x5
	s_load_b32 s28, s[6:7], 0x0
	s_load_b32 s29, s[8:9], 0x0
	;; [unrolled: 1-line block ×6, first 2 shown]
	s_mov_b32 s20, 0
	s_or_b32 s6, s12, 0xc0
	s_mov_b32 s21, s20
	s_mov_b32 s22, s20
	;; [unrolled: 1-line block ×7, first 2 shown]
	s_ashr_i32 s7, s6, 5
	v_mov_b32_e32 v128, s27
	s_cmp_lt_i32 s6, s17
	v_mov_b32_e32 v127, s26
	s_cselect_b32 s6, s7, s4
	v_mov_b32_e32 v126, s25
	s_ashr_i32 s7, s6, 31
	v_mov_b32_e32 v125, s24
	s_lshl_b64 s[6:7], s[6:7], 2
	v_mov_b32_e32 v124, s23
	s_add_u32 s6, s13, s6
	s_addc_u32 s7, s16, s7
	v_mov_b32_e32 v123, s22
	v_mov_b32_e32 v121, s20
	s_waitcnt lgkmcnt(0)
	s_mul_hi_i32 s9, s28, s5
	s_mul_i32 s8, s28, s5
	v_mov_b32_e32 v122, s21
	s_mul_hi_i32 s21, s29, s5
	s_mul_i32 s20, s29, s5
	s_mul_hi_i32 s25, s34, s5
	s_mul_i32 s24, s34, s5
	;; [unrolled: 2-line block ×4, first 2 shown]
	s_waitcnt vmcnt(1)
	v_mad_i64_i32 v[3:4], null, v7, s5, 0
	s_waitcnt vmcnt(0)
	v_mad_i64_i32 v[5:6], null, v8, s5, 0
	s_delay_alu instid0(VALU_DEP_2) | instskip(NEXT) | instid1(VALU_DEP_2)
	v_lshlrev_b64 v[3:4], 1, v[3:4]
	v_lshlrev_b64 v[1:2], 1, v[5:6]
	s_delay_alu instid0(VALU_DEP_2) | instskip(NEXT) | instid1(VALU_DEP_3)
	v_add_co_u32 v3, vcc_lo, s15, v3
	v_add_co_ci_u32_e32 v4, vcc_lo, s19, v4, vcc_lo
	s_delay_alu instid0(VALU_DEP_3) | instskip(NEXT) | instid1(VALU_DEP_4)
	v_add_co_u32 v1, vcc_lo, s15, v1
	v_add_co_ci_u32_e32 v2, vcc_lo, s19, v2, vcc_lo
	s_delay_alu instid0(VALU_DEP_4) | instskip(NEXT) | instid1(VALU_DEP_4)
	v_add_co_u32 v65, vcc_lo, v3, v73
	v_add_co_ci_u32_e32 v66, vcc_lo, v4, v74, vcc_lo
	s_delay_alu instid0(VALU_DEP_4) | instskip(NEXT) | instid1(VALU_DEP_4)
	v_add_co_u32 v67, vcc_lo, v1, v73
	v_add_co_ci_u32_e32 v68, vcc_lo, v2, v74, vcc_lo
	s_clause 0xf
	global_load_b128 v[1:4], v[65:66], off
	global_load_b128 v[5:8], v[65:66], off offset:512
	global_load_b128 v[9:12], v[67:68], off offset:256
	;; [unrolled: 1-line block ×15, first 2 shown]
	v_add_co_u32 v157, vcc_lo, 0x1000, v65
	v_add_co_ci_u32_e32 v158, vcc_lo, 0, v66, vcc_lo
	v_add_co_u32 v165, vcc_lo, 0x1000, v67
	v_add_co_ci_u32_e32 v166, vcc_lo, 0, v68, vcc_lo
	s_clause 0x7
	global_load_b128 v[81:84], v[157:158], off
	global_load_b128 v[85:88], v[157:158], off offset:512
	global_load_b128 v[89:92], v[165:166], off offset:256
	;; [unrolled: 1-line block ×7, first 2 shown]
	v_add_nc_u32_e32 v65, -12, v77
	v_cmp_gt_u32_e32 vcc_lo, 12, v77
	s_or_b32 s15, s12, 0xe0
	s_delay_alu instid0(SALU_CYCLE_1) | instskip(SKIP_3) | instid1(SALU_CYCLE_1)
	s_ashr_i32 s19, s15, 5
	s_cmp_lt_i32 s15, s17
	v_cndmask_b32_e32 v65, v65, v77, vcc_lo
	s_cselect_b32 s22, s19, s4
	s_ashr_i32 s23, s22, 31
	s_delay_alu instid0(VALU_DEP_1)
	v_lshlrev_b32_e32 v169, 6, v65
	ds_load_b128 v[65:68], v169
	ds_load_b128 v[69:72], v169 offset:1024
	s_clause 0x1
	global_load_b128 v[113:116], v[157:158], off offset:2048
	global_load_b128 v[117:120], v[157:158], off offset:2560
	ds_load_b128 v[129:132], v169 offset:2048
	ds_load_b128 v[133:136], v169 offset:3072
	s_clause 0x5
	global_load_b128 v[145:148], v[165:166], off offset:2304
	global_load_b128 v[149:152], v[165:166], off offset:2816
	;; [unrolled: 1-line block ×6, first 2 shown]
	s_lshl_b64 s[22:23], s[22:23], 2
	s_delay_alu instid0(SALU_CYCLE_1) | instskip(SKIP_2) | instid1(SALU_CYCLE_1)
	s_add_u32 s22, s13, s22
	s_addc_u32 s23, s16, s23
	s_add_i32 s15, s12, 0x100
	s_ashr_i32 s19, s15, 5
	s_cmp_lt_i32 s15, s17
	s_cselect_b32 s28, s19, s4
	s_delay_alu instid0(SALU_CYCLE_1) | instskip(NEXT) | instid1(SALU_CYCLE_1)
	s_ashr_i32 s29, s28, 31
	s_lshl_b64 s[28:29], s[28:29], 2
	s_delay_alu instid0(SALU_CYCLE_1)
	s_add_u32 s28, s13, s28
	s_addc_u32 s29, s16, s29
	s_add_u32 s4, s10, s2
	s_addc_u32 s19, s11, s3
	s_lshl_b64 s[2:3], s[8:9], 1
	s_lshl_b64 s[8:9], s[20:21], 1
	;; [unrolled: 1-line block ×4, first 2 shown]
	s_waitcnt vmcnt(30) lgkmcnt(2)
	v_wmma_f32_16x16x16_f16 v[137:144], v[1:8], v[65:72], v[121:128]
	ds_load_b128 v[1:4], v169 offset:4096
	ds_load_b128 v[5:8], v169 offset:5120
	s_waitcnt vmcnt(28)
	v_wmma_f32_16x16x16_f16 v[121:128], v[9:16], v[65:72], v[121:128]
	ds_load_b128 v[9:12], v169 offset:6144
	ds_load_b128 v[13:16], v169 offset:7168
	s_waitcnt vmcnt(26) lgkmcnt(4)
	v_wmma_f32_16x16x16_f16 v[137:144], v[17:24], v[129:136], v[137:144]
	ds_load_b128 v[17:20], v169 offset:8192
	ds_load_b128 v[21:24], v169 offset:9216
	s_waitcnt vmcnt(24)
	v_wmma_f32_16x16x16_f16 v[121:128], v[25:32], v[129:136], v[121:128]
	v_lshl_or_b32 v25, v78, 10, v79
	ds_load_b128 v[129:132], v169 offset:10240
	ds_load_b128 v[133:136], v169 offset:11264
	s_clause 0x2
	s_load_b32 s15, s[6:7], 0x0
	s_load_b32 s13, s[22:23], 0x0
	;; [unrolled: 1-line block ×3, first 2 shown]
	s_mul_hi_i32 s7, s36, s5
	v_add_co_u32 v170, s4, s4, v25
	s_delay_alu instid0(VALU_DEP_1)
	v_add_co_ci_u32_e64 v171, null, s19, 0, s4
	s_mul_i32 s6, s36, s5
	s_lshl_b64 s[22:23], s[34:35], 1
	s_lshl_b64 s[6:7], s[6:7], 1
	s_waitcnt vmcnt(22) lgkmcnt(0)
	v_wmma_f32_16x16x16_f16 v[137:144], v[33:40], v[1:8], v[137:144]
	s_waitcnt vmcnt(20)
	v_wmma_f32_16x16x16_f16 v[121:128], v[41:48], v[1:8], v[121:128]
	v_add_co_u32 v1, vcc_lo, v170, s2
	v_add_co_ci_u32_e32 v2, vcc_lo, s3, v171, vcc_lo
	v_add_co_u32 v3, vcc_lo, v170, s8
	v_add_co_ci_u32_e32 v4, vcc_lo, s9, v171, vcc_lo
	;; [unrolled: 2-line block ×4, first 2 shown]
	v_add_co_u32 v25, vcc_lo, v170, s6
	s_mul_hi_i32 s25, s15, s5
	s_mul_i32 s24, s15, s5
	v_add_co_ci_u32_e32 v26, vcc_lo, s7, v171, vcc_lo
	v_add_co_u32 v27, vcc_lo, v170, s22
	s_lshl_b64 s[24:25], s[24:25], 1
	s_waitcnt vmcnt(18)
	v_wmma_f32_16x16x16_f16 v[137:144], v[49:56], v[9:16], v[137:144]
	s_waitcnt vmcnt(16)
	v_wmma_f32_16x16x16_f16 v[121:128], v[57:64], v[9:16], v[121:128]
	v_add_co_ci_u32_e32 v28, vcc_lo, s23, v171, vcc_lo
	s_mul_hi_i32 s3, s13, s5
	s_mul_i32 s2, s13, s5
	v_add_co_u32 v29, vcc_lo, v170, s24
	s_lshl_b64 s[2:3], s[2:3], 1
	v_add_co_ci_u32_e32 v30, vcc_lo, s25, v171, vcc_lo
	s_waitcnt vmcnt(14)
	v_wmma_f32_16x16x16_f16 v[137:144], v[81:88], v[17:24], v[137:144]
	s_waitcnt vmcnt(12)
	v_wmma_f32_16x16x16_f16 v[121:128], v[89:96], v[17:24], v[121:128]
	v_add_co_u32 v17, vcc_lo, v170, s2
	v_add_co_ci_u32_e32 v18, vcc_lo, s3, v171, vcc_lo
	s_mul_hi_i32 s3, s16, s5
	s_mul_i32 s2, s16, s5
	s_clause 0x5
	global_load_b128 v[65:68], v[1:2], off
	global_load_b128 v[69:72], v[1:2], off offset:16
	global_load_b128 v[57:60], v[3:4], off
	global_load_b128 v[61:64], v[3:4], off offset:16
	;; [unrolled: 2-line block ×3, first 2 shown]
	s_lshl_b64 s[2:3], s[2:3], 1
	s_clause 0x1
	global_load_b128 v[41:44], v[7:8], off
	global_load_b128 v[45:48], v[7:8], off offset:16
	v_add_co_u32 v21, vcc_lo, v170, s2
	v_add_co_ci_u32_e32 v22, vcc_lo, s3, v171, vcc_lo
	s_clause 0x9
	global_load_b128 v[9:12], v[25:26], off
	global_load_b128 v[13:16], v[25:26], off offset:16
	global_load_b128 v[1:4], v[27:28], off
	global_load_b128 v[5:8], v[27:28], off offset:16
	;; [unrolled: 2-line block ×5, first 2 shown]
	ds_load_b128 v[81:84], v169 offset:12288
	ds_load_b128 v[85:88], v169 offset:13312
	v_and_b32_e32 v89, 0xe0, v0
	s_waitcnt vmcnt(28)
	v_wmma_f32_16x16x16_f16 v[137:144], v[97:104], v[129:136], v[137:144]
	v_mbcnt_lo_u32_b32 v97, -1, 0
	s_waitcnt vmcnt(26)
	v_wmma_f32_16x16x16_f16 v[121:128], v[105:112], v[129:136], v[121:128]
	v_add_nc_u32_e32 v98, s12, v89
	ds_load_b128 v[89:92], v169 offset:14336
	ds_load_b128 v[93:96], v169 offset:15360
	v_xor_b32_e32 v99, 16, v97
	s_waitcnt vmcnt(0) lgkmcnt(0)
	s_barrier
	v_or_b32_e32 v98, v98, v75
	buffer_gl0_inv
	v_cmp_gt_i32_e32 vcc_lo, 32, v99
	v_or_b32_e32 v100, 4, v98
	v_or_b32_e32 v101, 22, v98
	;; [unrolled: 1-line block ×4, first 2 shown]
	v_wmma_f32_16x16x16_f16 v[137:144], v[113:120], v[81:88], v[137:144]
	v_wmma_f32_16x16x16_f16 v[121:128], v[145:152], v[81:88], v[121:128]
	v_or_b32_e32 v81, 6, v98
	v_or_b32_e32 v82, 8, v98
	;; [unrolled: 1-line block ×3, first 2 shown]
	v_cmp_gt_i32_e64 s3, s17, v100
	v_or_b32_e32 v84, 12, v98
	v_wmma_f32_16x16x16_f16 v[137:144], v[153:160], v[89:96], v[137:144]
	v_wmma_f32_16x16x16_f16 v[121:128], v[161:168], v[89:96], v[121:128]
	v_cndmask_b32_e32 v97, v97, v99, vcc_lo
	v_or_b32_e32 v99, 2, v98
	v_cmp_gt_i32_e32 vcc_lo, s17, v98
	v_dual_mul_f32 v95, s18, v138 :: v_dual_mul_f32 v96, s18, v137
	v_mul_f32_e32 v93, s18, v140
	s_delay_alu instid0(VALU_DEP_4)
	v_cmp_gt_i32_e64 s2, s17, v99
	v_mul_f32_e32 v94, s18, v139
	v_mul_f32_e32 v110, s18, v124
	v_cndmask_b32_e32 v96, 0xff7fffff, v96, vcc_lo
	v_cmp_gt_i32_e64 s4, s17, v81
	v_cndmask_b32_e64 v95, 0xff7fffff, v95, s2
	v_or_b32_e32 v85, 14, v98
	v_dual_mul_f32 v91, s18, v142 :: v_dual_mul_f32 v92, s18, v141
	v_cndmask_b32_e64 v94, 0xff7fffff, v94, s3
	v_cndmask_b32_e64 v81, 0xff7fffff, v93, s4
	v_max3_f32 v93, v96, 0xff7fffff, v95
	v_cmp_gt_i32_e64 s5, s17, v82
	v_cmp_gt_i32_e64 s6, s17, v83
	v_or_b32_e32 v86, 16, v98
	v_or_b32_e32 v87, 18, v98
	v_dual_mul_f32 v89, s18, v144 :: v_dual_mul_f32 v112, s18, v122
	v_mul_f32_e32 v90, s18, v143
	v_cndmask_b32_e64 v82, 0xff7fffff, v92, s5
	v_cndmask_b32_e64 v83, 0xff7fffff, v91, s6
	v_max3_f32 v81, v93, v94, v81
	v_cmp_gt_i32_e64 s7, s17, v84
	v_cmp_gt_i32_e64 s8, s17, v85
	v_or_b32_e32 v88, 20, v98
	v_mul_f32_e32 v113, s18, v121
	v_max3_f32 v81, v81, v82, v83
	v_cndmask_b32_e64 v84, 0xff7fffff, v90, s7
	v_cndmask_b32_e64 v85, 0xff7fffff, v89, s8
	v_cmp_gt_i32_e64 s9, s17, v86
	v_cmp_gt_i32_e64 s10, s17, v87
	v_mul_f32_e32 v111, s18, v123
	v_cmp_gt_i32_e64 s11, s17, v88
	v_max3_f32 v81, v81, v84, v85
	v_cndmask_b32_e64 v82, 0xff7fffff, v113, s9
	v_cndmask_b32_e64 v83, 0xff7fffff, v112, s10
	v_cmp_gt_i32_e64 s12, s17, v101
	v_or_b32_e32 v104, 28, v98
	v_or_b32_e32 v105, 30, v98
	v_dual_mul_f32 v108, s18, v126 :: v_dual_mul_f32 v109, s18, v125
	v_cndmask_b32_e64 v84, 0xff7fffff, v111, s11
	v_cndmask_b32_e64 v85, 0xff7fffff, v110, s12
	v_max3_f32 v81, v81, v82, v83
	v_cmp_gt_i32_e64 s13, s17, v102
	v_cmp_gt_i32_e64 s15, s17, v103
	v_dual_mul_f32 v106, s18, v128 :: v_dual_mul_f32 v107, s18, v127
	s_delay_alu instid0(VALU_DEP_4) | instskip(NEXT) | instid1(VALU_DEP_4)
	v_max3_f32 v81, v81, v84, v85
	v_cndmask_b32_e64 v82, 0xff7fffff, v109, s13
	s_delay_alu instid0(VALU_DEP_4) | instskip(SKIP_2) | instid1(VALU_DEP_3)
	v_cndmask_b32_e64 v83, 0xff7fffff, v108, s15
	v_cmp_gt_i32_e64 s16, s17, v104
	v_cmp_gt_i32_e64 s17, s17, v105
	v_max3_f32 v81, v81, v82, v83
	s_delay_alu instid0(VALU_DEP_3) | instskip(NEXT) | instid1(VALU_DEP_3)
	v_cndmask_b32_e64 v84, 0xff7fffff, v107, s16
	v_cndmask_b32_e64 v85, 0xff7fffff, v106, s17
	v_lshlrev_b32_e32 v83, 2, v97
	s_delay_alu instid0(VALU_DEP_2) | instskip(SKIP_3) | instid1(VALU_DEP_1)
	v_max3_f32 v81, v81, v84, v85
	ds_bpermute_b32 v82, v83, v81
	s_waitcnt lgkmcnt(0)
	v_max_f32_e32 v82, v82, v82
	v_max_f32_e32 v81, v81, v82
	s_delay_alu instid0(VALU_DEP_1)
	v_fma_f32 v82, s18, v137, -v81
	v_fma_f32 v84, s18, v138, -v81
	;; [unrolled: 1-line block ×5, first 2 shown]
	v_mul_f32_e32 v82, 0x3fb8aa3b, v82
	s_delay_alu instid0(VALU_DEP_4) | instskip(NEXT) | instid1(VALU_DEP_3)
	v_dual_mul_f32 v84, 0x3fb8aa3b, v84 :: v_dual_mul_f32 v85, 0x3fb8aa3b, v85
	v_dual_mul_f32 v86, 0x3fb8aa3b, v86 :: v_dual_mul_f32 v89, 0x3fb8aa3b, v87
	s_delay_alu instid0(VALU_DEP_3) | instskip(NEXT) | instid1(VALU_DEP_2)
	v_exp_f32_e32 v82, v82
	v_exp_f32_e32 v84, v84
	s_delay_alu instid0(VALU_DEP_2) | instskip(NEXT) | instid1(VALU_DEP_1)
	v_exp_f32_e32 v85, v85
	v_exp_f32_e32 v86, v86
	;; [unrolled: 1-line block ×3, first 2 shown]
	v_cndmask_b32_e32 v88, 0, v82, vcc_lo
	v_cndmask_b32_e64 v87, 0, v84, s2
	s_delay_alu instid0(TRANS32_DEP_3)
	v_cndmask_b32_e64 v90, 0, v85, s3
	s_waitcnt_depctr 0xfff
	v_cndmask_b32_e64 v89, 0, v86, s4
	v_cndmask_b32_e64 v92, 0, v92, s5
	v_add_f32_e32 v84, 0, v88
	s_mov_b32 s2, exec_lo
	s_delay_alu instid0(VALU_DEP_1) | instskip(NEXT) | instid1(VALU_DEP_1)
	v_add_f32_e32 v84, v84, v87
	v_add_f32_e32 v84, v84, v90
	s_delay_alu instid0(VALU_DEP_1)
	v_add_f32_e32 v84, v84, v89
	v_fma_f32 v82, s18, v142, -v81
	v_fma_f32 v91, s18, v143, -v81
	;; [unrolled: 1-line block ×5, first 2 shown]
	s_delay_alu instid0(VALU_DEP_4) | instskip(SKIP_1) | instid1(VALU_DEP_4)
	v_dual_mul_f32 v82, 0x3fb8aa3b, v82 :: v_dual_mul_f32 v91, 0x3fb8aa3b, v91
	v_fma_f32 v96, s18, v124, -v81
	v_mul_f32_e32 v86, 0x3fb8aa3b, v86
	s_delay_alu instid0(VALU_DEP_4) | instskip(NEXT) | instid1(VALU_DEP_4)
	v_mul_f32_e32 v95, 0x3fb8aa3b, v94
	v_exp_f32_e32 v82, v82
	v_exp_f32_e32 v93, v91
	v_mul_f32_e32 v97, 0x3fb8aa3b, v96
	v_exp_f32_e32 v86, v86
	v_fma_f32 v99, s18, v127, -v81
	s_delay_alu instid0(VALU_DEP_2) | instskip(SKIP_2) | instid1(TRANS32_DEP_3)
	v_exp_f32_e32 v97, v97
	v_cndmask_b32_e64 v91, 0, v82, s6
	v_dual_add_f32 v82, v84, v92 :: v_dual_mul_f32 v85, 0x3fb8aa3b, v85
	v_cndmask_b32_e64 v94, 0, v93, s7
	v_fma_f32 v84, s18, v123, -v81
	s_delay_alu instid0(TRANS32_DEP_2) | instskip(NEXT) | instid1(VALU_DEP_4)
	v_cndmask_b32_e64 v96, 0, v86, s9
	v_add_f32_e32 v82, v82, v91
	v_exp_f32_e32 v85, v85
	v_fma_f32 v86, s18, v126, -v81
	v_mul_f32_e32 v84, 0x3fb8aa3b, v84
	v_cndmask_b32_e64 v97, 0, v97, s12
	v_add_f32_e32 v82, v82, v94
	s_delay_alu instid0(VALU_DEP_3) | instskip(SKIP_3) | instid1(VALU_DEP_2)
	v_exp_f32_e32 v84, v84
	s_waitcnt_depctr 0xfff
	v_cndmask_b32_e64 v93, 0, v85, s8
	v_fma_f32 v85, s18, v125, -v81
	v_add_f32_e32 v82, v82, v93
	v_exp_f32_e32 v95, v95
	s_delay_alu instid0(VALU_DEP_2)
	v_mul_f32_e32 v85, 0x3fb8aa3b, v85
	v_cndmask_b32_e64 v98, 0, v84, s11
	v_mul_f32_e32 v84, 0x3fb8aa3b, v99
	v_add_f32_e32 v82, v82, v96
	v_fma_f32 v99, s18, v128, -v81
	v_exp_f32_e32 v85, v85
	v_mul_f32_e32 v86, 0x3fb8aa3b, v86
	v_exp_f32_e32 v84, v84
	s_delay_alu instid0(TRANS32_DEP_3) | instskip(NEXT) | instid1(VALU_DEP_1)
	v_cndmask_b32_e64 v95, 0, v95, s10
	v_add_f32_e32 v82, v82, v95
	s_waitcnt_depctr 0xfff
	v_cndmask_b32_e64 v100, 0, v85, s13
	v_mul_f32_e32 v85, 0x3fb8aa3b, v99
	v_exp_f32_e32 v86, v86
	v_cndmask_b32_e64 v102, 0, v84, s16
	v_add_f32_e32 v82, v82, v98
	s_delay_alu instid0(VALU_DEP_3) | instskip(NEXT) | instid1(VALU_DEP_1)
	v_exp_f32_e32 v85, v85
	v_add_f32_e32 v82, v82, v97
	s_waitcnt_depctr 0xfff
	v_cndmask_b32_e64 v99, 0, v86, s15
	v_add_f32_e32 v82, v82, v100
	v_cndmask_b32_e64 v101, 0, v85, s17
	s_delay_alu instid0(VALU_DEP_2) | instskip(NEXT) | instid1(VALU_DEP_1)
	v_add_f32_e32 v82, v82, v99
	v_add_f32_e32 v82, v82, v102
	s_delay_alu instid0(VALU_DEP_1)
	v_add_f32_e32 v82, v82, v101
	ds_bpermute_b32 v83, v83, v82
	v_cmpx_gt_u32_e32 16, v80
	s_cbranch_execz .LBB317_14
; %bb.13:
	v_mul_u32_u24_e32 v80, 0x44, v78
	s_waitcnt lgkmcnt(0)
	v_add_f32_e32 v82, v82, v83
	s_delay_alu instid0(VALU_DEP_2) | instskip(NEXT) | instid1(VALU_DEP_1)
	v_lshl_add_u32 v80, v77, 2, v80
	v_add_nc_u32_e32 v80, 0x4000, v80
	ds_store_2addr_b32 v80, v81, v82 offset1:136
.LBB317_14:
	s_or_b32 exec_lo, exec_lo, s2
	v_lshlrev_b32_e32 v80, 2, v77
	s_load_b32 s34, s[0:1], 0x94
	s_waitcnt lgkmcnt(0)
	s_barrier
	buffer_gl0_inv
	v_add_nc_u32_e32 v84, 0x4000, v80
	v_cmp_eq_u32_e32 vcc_lo, 1, v78
	v_cmp_eq_u32_e64 s2, 2, v78
	v_cmp_eq_u32_e64 s3, 3, v78
	;; [unrolled: 1-line block ×3, first 2 shown]
	ds_load_2addr_b32 v[80:81], v84 offset1:17
	ds_load_2addr_b32 v[82:83], v84 offset0:34 offset1:51
	ds_load_2addr_b32 v[103:104], v84 offset0:68 offset1:85
	ds_load_2addr_b32 v[105:106], v84 offset0:102 offset1:119
	v_cmp_eq_u32_e64 s5, 7, v78
	s_waitcnt lgkmcnt(3)
	v_max3_f32 v85, v80, 0xff7fffff, v81
	s_waitcnt lgkmcnt(2)
	s_delay_alu instid0(VALU_DEP_1) | instskip(SKIP_1) | instid1(VALU_DEP_1)
	v_max3_f32 v85, v85, v82, v83
	s_waitcnt lgkmcnt(1)
	v_max3_f32 v85, v85, v103, v104
	s_waitcnt lgkmcnt(0)
	s_delay_alu instid0(VALU_DEP_1) | instskip(NEXT) | instid1(VALU_DEP_1)
	v_max3_f32 v85, v85, v105, v106
	v_sub_f32_e32 v103, v103, v85
	ds_load_2addr_b32 v[107:108], v84 offset0:136 offset1:153
	v_sub_f32_e32 v80, v80, v85
	v_dual_sub_f32 v110, v83, v85 :: v_dual_mul_f32 v113, 0x3fb8aa3b, v103
	s_delay_alu instid0(VALU_DEP_2) | instskip(SKIP_3) | instid1(VALU_DEP_1)
	v_dual_sub_f32 v86, v81, v85 :: v_dual_mul_f32 v109, 0x3fb8aa3b, v80
	ds_load_2addr_b32 v[80:81], v84 offset0:170 offset1:187
	v_mul_f32_e32 v86, 0x3fb8aa3b, v86
	v_exp_f32_e32 v109, v109
	v_exp_f32_e32 v112, v86
	v_mul_f32_e32 v110, 0x3fb8aa3b, v110
	s_waitcnt lgkmcnt(1)
	s_waitcnt_depctr 0xfff
	v_fma_f32 v86, v109, v107, 0
	v_sub_f32_e32 v107, v104, v85
	v_sub_f32_e32 v82, v82, v85
	v_exp_f32_e32 v110, v110
	ds_load_2addr_b32 v[103:104], v84 offset0:238 offset1:255
	v_dual_fmac_f32 v86, v112, v108 :: v_dual_mul_f32 v111, 0x3fb8aa3b, v82
	ds_load_2addr_b32 v[82:83], v84 offset0:204 offset1:221
	v_dual_sub_f32 v84, v105, v85 :: v_dual_mul_f32 v105, 0x3fb8aa3b, v107
	v_exp_f32_e32 v107, v113
	v_exp_f32_e32 v111, v111
	s_waitcnt lgkmcnt(0)
	s_delay_alu instid0(VALU_DEP_1)
	v_mul_f32_e32 v84, 0x3fb8aa3b, v84
	v_exp_f32_e32 v105, v105
	s_barrier
	buffer_gl0_inv
	v_fmac_f32_e32 v86, v111, v80
	v_sub_f32_e32 v80, v106, v85
	v_exp_f32_e32 v106, v84
	s_delay_alu instid0(VALU_DEP_2) | instskip(NEXT) | instid1(VALU_DEP_2)
	v_fmac_f32_e32 v86, v110, v81
	v_mul_f32_e32 v80, 0x3fb8aa3b, v80
	s_delay_alu instid0(VALU_DEP_2) | instskip(NEXT) | instid1(VALU_DEP_2)
	v_dual_cndmask_b32 v81, v109, v112 :: v_dual_fmac_f32 v86, v107, v82
	v_exp_f32_e32 v108, v80
	s_delay_alu instid0(VALU_DEP_1) | instskip(SKIP_2) | instid1(VALU_DEP_1)
	v_fmac_f32_e32 v86, v105, v83
	s_waitcnt_depctr 0xfff
	v_fmac_f32_e32 v86, v106, v103
	v_fmac_f32_e32 v86, v108, v104
	s_delay_alu instid0(VALU_DEP_1) | instskip(NEXT) | instid1(VALU_DEP_1)
	v_add_f32_e32 v103, 0x358637bd, v86
	v_div_scale_f32 v104, null, v103, v103, 1.0
	v_div_scale_f32 v109, vcc_lo, 1.0, v103, 1.0
	s_delay_alu instid0(VALU_DEP_2) | instskip(SKIP_2) | instid1(VALU_DEP_1)
	v_rcp_f32_e32 v113, v104
	s_waitcnt_depctr 0xfff
	v_fma_f32 v80, -v104, v113, 1.0
	v_fmac_f32_e32 v113, v80, v113
	v_cndmask_b32_e64 v80, v81, v111, s2
	v_cmp_eq_u32_e64 s2, 4, v78
	v_lshl_or_b32 v81, v78, 11, v79
	s_delay_alu instid0(VALU_DEP_4) | instskip(NEXT) | instid1(VALU_DEP_4)
	v_mul_f32_e32 v111, v109, v113
	v_cndmask_b32_e64 v82, v80, v110, s3
	v_cmp_eq_u32_e64 s3, 6, v78
	s_delay_alu instid0(VALU_DEP_4) | instskip(SKIP_3) | instid1(VALU_DEP_3)
	v_lshl_or_b32 v78, v75, 4, v81
	v_lshlrev_b32_e32 v80, 2, v75
	v_fma_f32 v83, -v104, v111, v109
	v_cndmask_b32_e64 v84, v82, v107, s2
	v_or_b32_e32 v82, 1, v80
	s_delay_alu instid0(VALU_DEP_3) | instskip(NEXT) | instid1(VALU_DEP_3)
	v_fmac_f32_e32 v111, v83, v113
	v_cndmask_b32_e64 v105, v84, v105, s4
	v_or_b32_e32 v84, 2, v80
	v_or_b32_e32 v83, 3, v80
	v_cmp_eq_u32_e64 s2, 1, v80
	v_fma_f32 v104, -v104, v111, v109
	v_cndmask_b32_e64 v105, v105, v106, s3
	v_cmp_eq_u32_e64 s8, 1, v82
	v_cmp_eq_u32_e64 s9, 1, v84
	;; [unrolled: 1-line block ×3, first 2 shown]
	v_div_fmas_f32 v104, v104, v113, v111
	v_cndmask_b32_e64 v105, v105, v108, s5
	v_cmp_eq_u32_e32 vcc_lo, 2, v80
	v_cmp_eq_u32_e64 s11, 2, v82
	v_cmp_eq_u32_e64 s13, 2, v84
	v_div_fixup_f32 v103, v104, v103, 1.0
	v_cmp_eq_u32_e64 s15, 2, v83
	v_cmp_eq_u32_e64 s17, 3, v83
	;; [unrolled: 1-line block ×4, first 2 shown]
	v_mul_f32_e32 v111, v105, v103
	v_cmp_eq_u32_e64 s16, 3, v84
	v_cmp_eq_u32_e64 s21, 4, v83
	;; [unrolled: 1-line block ×4, first 2 shown]
	v_fma_mixlo_f16 v103, v111, v88, 0
	v_fma_mixlo_f16 v104, v111, v90, 0
	;; [unrolled: 1-line block ×8, first 2 shown]
	v_fma_mixhi_f16 v103, v111, v87, 0
	v_fma_mixhi_f16 v104, v111, v89, 0
	;; [unrolled: 1-line block ×8, first 2 shown]
	ds_store_b128 v78, v[103:106]
	ds_store_b128 v78, v[107:110] offset:1024
	s_waitcnt lgkmcnt(0)
	s_barrier
	buffer_gl0_inv
	ds_load_b128 v[87:90], v81
	ds_load_b128 v[91:94], v81 offset:16
	ds_load_b128 v[95:98], v81 offset:1024
	;; [unrolled: 1-line block ×3, first 2 shown]
	v_cmp_eq_u32_e64 s20, 4, v84
	v_cmp_eq_u32_e64 s23, 5, v83
	;; [unrolled: 1-line block ×13, first 2 shown]
	s_waitcnt lgkmcnt(3)
	v_lshrrev_b32_e32 v103, 16, v87
	s_waitcnt lgkmcnt(2)
	v_lshrrev_b32_e32 v107, 16, v91
	;; [unrolled: 2-line block ×4, first 2 shown]
	v_lshrrev_b32_e32 v104, 16, v88
	v_cndmask_b32_e64 v119, v87, v103, s2
	v_cndmask_b32_e64 v120, v91, v107, s2
	;; [unrolled: 1-line block ×8, first 2 shown]
	v_lshrrev_b32_e32 v108, 16, v92
	v_cndmask_b32_e64 v103, v95, v111, s2
	v_cndmask_b32_e64 v107, v99, v115, s2
	;; [unrolled: 1-line block ×5, first 2 shown]
	v_cndmask_b32_e32 v111, v119, v88, vcc_lo
	v_cndmask_b32_e64 v119, v121, v88, s11
	v_cndmask_b32_e64 v121, v123, v88, s13
	;; [unrolled: 1-line block ×4, first 2 shown]
	v_lshrrev_b32_e32 v112, 16, v96
	v_lshrrev_b32_e32 v116, 16, v100
	v_cndmask_b32_e64 v126, v99, v115, s8
	v_cndmask_b32_e64 v128, v99, v115, s9
	;; [unrolled: 1-line block ×3, first 2 shown]
	v_cndmask_b32_e32 v115, v120, v92, vcc_lo
	v_cndmask_b32_e64 v120, v122, v92, s11
	v_cndmask_b32_e64 v122, v124, v92, s13
	v_cndmask_b32_e32 v91, v103, v96, vcc_lo
	v_cndmask_b32_e32 v92, v107, v100, vcc_lo
	v_cndmask_b32_e64 v103, v125, v96, s11
	v_cndmask_b32_e64 v87, v87, v104, s17
	v_cndmask_b32_e64 v88, v88, v108, s17
	v_lshrrev_b32_e32 v105, 16, v89
	v_lshrrev_b32_e32 v109, 16, v93
	v_cndmask_b32_e64 v107, v127, v96, s13
	v_cndmask_b32_e64 v95, v95, v96, s15
	;; [unrolled: 1-line block ×14, first 2 shown]
	v_lshrrev_b32_e32 v113, 16, v97
	v_cndmask_b32_e64 v99, v99, v89, s4
	v_cndmask_b32_e64 v104, v111, v93, s4
	;; [unrolled: 1-line block ×11, first 2 shown]
	v_lshrrev_b32_e32 v106, 16, v90
	v_lshrrev_b32_e32 v110, 16, v94
	v_cndmask_b32_e64 v93, v99, v105, s5
	v_cndmask_b32_e64 v99, v104, v109, s5
	;; [unrolled: 1-line block ×9, first 2 shown]
	v_lshrrev_b32_e32 v114, 16, v98
	v_cndmask_b32_e64 v89, v89, v113, s5
	v_cndmask_b32_e64 v93, v93, v90, s6
	;; [unrolled: 1-line block ×19, first 2 shown]
	v_perm_b32 v90, v88, v87, 0x5040100
	v_cndmask_b32_e64 v87, v126, v100, s11
	v_cndmask_b32_e64 v105, v89, v114, s7
	v_perm_b32 v89, v103, v99, 0x5040100
	v_perm_b32 v88, v104, v94, 0x5040100
	v_cndmask_b32_e64 v94, v107, v112, s16
	v_cndmask_b32_e64 v95, v95, v112, s17
	;; [unrolled: 1-line block ×5, first 2 shown]
	v_lshrrev_b32_e32 v117, 16, v101
	v_cndmask_b32_e64 v94, v94, v97, s20
	v_cndmask_b32_e64 v95, v95, v97, s21
	;; [unrolled: 1-line block ×11, first 2 shown]
	v_lshrrev_b32_e32 v118, 16, v102
	v_cndmask_b32_e64 v91, v91, v102, s6
	v_cndmask_b32_e64 v94, v94, v98, s25
	;; [unrolled: 1-line block ×12, first 2 shown]
	v_perm_b32 v87, v93, v92, 0x5040100
	v_perm_b32 v94, v95, v94, 0x5040100
	;; [unrolled: 1-line block ×5, first 2 shown]
	s_mul_i32 s6, s33, 12
	s_mov_b32 s2, exec_lo
	ds_store_b128 v78, v[87:90]
	ds_store_b128 v78, v[91:94] offset:1024
	v_cmpx_gt_u32_e32 12, v0
	s_cbranch_execz .LBB317_16
; %bb.15:
	s_mul_i32 s3, s6, s30
	s_load_b128 s[8:11], s[0:1], 0x58
	v_add3_u32 v77, s3, s31, v77
	s_delay_alu instid0(VALU_DEP_1) | instskip(NEXT) | instid1(VALU_DEP_1)
	v_mad_u64_u32 v[87:88], null, v77, s34, s[14:15]
	v_ashrrev_i32_e32 v88, 31, v87
	s_delay_alu instid0(VALU_DEP_1) | instskip(SKIP_1) | instid1(VALU_DEP_1)
	v_lshlrev_b64 v[87:88], 2, v[87:88]
	s_waitcnt lgkmcnt(0)
	v_add_co_u32 v89, vcc_lo, s10, v87
	s_delay_alu instid0(VALU_DEP_2)
	v_add_co_ci_u32_e32 v90, vcc_lo, s11, v88, vcc_lo
	v_add_co_u32 v87, vcc_lo, s8, v87
	v_add_co_ci_u32_e32 v88, vcc_lo, s9, v88, vcc_lo
	global_store_b32 v[89:90], v85, off
	global_store_b32 v[87:88], v86, off
.LBB317_16:
	s_or_b32 exec_lo, exec_lo, s2
	s_waitcnt lgkmcnt(0)
	s_waitcnt_vscnt null, 0x0
	s_barrier
	buffer_gl0_inv
	ds_load_b128 v[93:96], v79
	ds_load_b128 v[97:100], v79 offset:16
	ds_load_b128 v[105:108], v79 offset:1040
	;; [unrolled: 1-line block ×5, first 2 shown]
	v_cmp_eq_u32_e32 vcc_lo, 1, v84
	v_mov_b32_e32 v85, 0
	ds_load_b128 v[121:124], v79 offset:3088
	ds_load_b128 v[117:120], v79 offset:3072
	;; [unrolled: 1-line block ×4, first 2 shown]
	v_cmp_eq_u32_e64 s2, 1, v80
	v_cmp_eq_u32_e64 s3, 1, v83
	;; [unrolled: 1-line block ×3, first 2 shown]
	v_mov_b32_e32 v86, v85
	v_mov_b32_e32 v87, v85
	v_mov_b32_e32 v88, v85
	v_mov_b32_e32 v89, v85
	v_mov_b32_e32 v90, v85
	v_mov_b32_e32 v91, v85
	v_mov_b32_e32 v92, v85
	v_cmp_eq_u32_e64 s5, 2, v80
	s_waitcnt lgkmcnt(8)
	s_delay_alu instid0(VALU_DEP_2)
	v_wmma_f32_16x16x16_f16 v[85:92], v[65:72], v[93:100], v[85:92]
	ds_load_b128 v[69:72], v79 offset:5136
	ds_load_b128 v[65:68], v79 offset:5120
	;; [unrolled: 1-line block ×4, first 2 shown]
	s_waitcnt lgkmcnt(10)
	v_wmma_f32_16x16x16_f16 v[85:92], v[57:64], v[101:108], v[85:92]
	s_waitcnt lgkmcnt(8)
	s_delay_alu instid0(VALU_DEP_1)
	v_wmma_f32_16x16x16_f16 v[85:92], v[57:64], v[109:116], v[85:92]
	ds_load_b128 v[61:64], v79 offset:7184
	ds_load_b128 v[57:60], v79 offset:7168
	;; [unrolled: 1-line block ×4, first 2 shown]
	s_waitcnt lgkmcnt(10)
	v_wmma_f32_16x16x16_f16 v[85:92], v[49:56], v[117:124], v[85:92]
	s_waitcnt lgkmcnt(8)
	s_delay_alu instid0(VALU_DEP_1)
	v_wmma_f32_16x16x16_f16 v[85:92], v[49:56], v[125:132], v[85:92]
	ds_load_b128 v[53:56], v79 offset:9232
	ds_load_b128 v[49:52], v79 offset:9216
	s_waitcnt lgkmcnt(8)
	v_wmma_f32_16x16x16_f16 v[85:92], v[41:48], v[65:72], v[85:92]
	ds_load_b128 v[69:72], v79 offset:10256
	ds_load_b128 v[65:68], v79 offset:10240
	s_waitcnt lgkmcnt(8)
	;; [unrolled: 4-line block ×7, first 2 shown]
	s_barrier
	buffer_gl0_inv
	v_wmma_f32_16x16x16_f16 v[85:92], v[33:40], v[41:48], v[85:92]
	s_delay_alu instid0(VALU_DEP_1) | instskip(NEXT) | instid1(VALU_DEP_1)
	v_wmma_f32_16x16x16_f16 v[85:92], v[33:40], v[57:64], v[85:92]
	v_wmma_f32_16x16x16_f16 v[85:92], v[25:32], v[9:16], v[85:92]
	s_delay_alu instid0(VALU_DEP_1) | instskip(NEXT) | instid1(VALU_DEP_1)
	v_wmma_f32_16x16x16_f16 v[85:92], v[25:32], v[49:56], v[85:92]
	v_wmma_f32_16x16x16_f16 v[85:92], v[17:24], v[1:8], v[85:92]
	s_delay_alu instid0(VALU_DEP_1) | instskip(NEXT) | instid1(VALU_DEP_2)
	v_cvt_f16_f32_e32 v1, v85
	v_cvt_f16_f32_e32 v2, v86
	s_delay_alu instid0(VALU_DEP_3) | instskip(NEXT) | instid1(VALU_DEP_4)
	v_cvt_f16_f32_e32 v3, v87
	v_cvt_f16_f32_e32 v4, v88
	;; [unrolled: 1-line block ×6, first 2 shown]
	v_pack_b32_f16 v1, v1, v2
	v_pack_b32_f16 v2, v3, v4
	;; [unrolled: 1-line block ×3, first 2 shown]
	s_delay_alu instid0(VALU_DEP_4)
	v_pack_b32_f16 v4, v7, v8
	ds_store_b128 v78, v[1:4]
	s_waitcnt lgkmcnt(0)
	s_barrier
	buffer_gl0_inv
	ds_load_b128 v[1:4], v81
	ds_load_b128 v[5:8], v81 offset:16
	s_waitcnt lgkmcnt(1)
	v_lshrrev_b32_e32 v9, 16, v1
	s_waitcnt lgkmcnt(0)
	v_lshrrev_b32_e32 v13, 16, v5
	v_lshrrev_b32_e32 v15, 16, v7
	;; [unrolled: 1-line block ×4, first 2 shown]
	v_cndmask_b32_e64 v17, v1, v9, s2
	v_cndmask_b32_e64 v18, v5, v13, s2
	v_cndmask_b32_e64 v19, v1, v9, s4
	v_cmp_eq_u32_e64 s2, 2, v82
	v_cndmask_b32_e64 v20, v5, v13, s4
	v_cndmask_b32_e32 v21, v1, v9, vcc_lo
	v_cndmask_b32_e32 v22, v5, v13, vcc_lo
	v_cndmask_b32_e64 v1, v1, v9, s3
	v_cndmask_b32_e64 v5, v5, v13, s3
	v_cmp_eq_u32_e32 vcc_lo, 2, v84
	v_cmp_eq_u32_e64 s3, 2, v83
	v_cndmask_b32_e64 v9, v17, v2, s5
	v_cndmask_b32_e64 v13, v18, v6, s5
	v_cndmask_b32_e64 v17, v19, v2, s2
	v_cndmask_b32_e64 v18, v20, v6, s2
	v_cndmask_b32_e32 v19, v21, v2, vcc_lo
	v_cmp_eq_u32_e64 s2, 3, v84
	v_cndmask_b32_e32 v20, v22, v6, vcc_lo
	v_cndmask_b32_e64 v1, v1, v2, s3
	v_cmp_eq_u32_e32 vcc_lo, 3, v83
	v_cmp_eq_u32_e64 s4, 3, v80
	v_cndmask_b32_e64 v2, v5, v6, s3
	v_cmp_eq_u32_e64 s3, 3, v82
	v_lshrrev_b32_e32 v16, 16, v8
	v_cmp_eq_u32_e64 s5, 4, v80
	v_cndmask_b32_e64 v5, v9, v10, s4
	v_cndmask_b32_e64 v6, v13, v14, s4
	;; [unrolled: 1-line block ×3, first 2 shown]
	v_cmp_eq_u32_e64 s4, 4, v82
	v_cndmask_b32_e64 v13, v18, v14, s3
	v_cndmask_b32_e64 v17, v19, v10, s2
	;; [unrolled: 1-line block ×3, first 2 shown]
	v_cndmask_b32_e32 v1, v1, v10, vcc_lo
	v_cndmask_b32_e32 v2, v2, v14, vcc_lo
	v_cmp_eq_u32_e32 vcc_lo, 4, v84
	v_cmp_eq_u32_e64 s3, 4, v83
	v_lshrrev_b32_e32 v11, 16, v3
	v_cndmask_b32_e64 v5, v5, v3, s5
	v_cndmask_b32_e64 v6, v6, v7, s5
	;; [unrolled: 1-line block ×4, first 2 shown]
	v_cndmask_b32_e32 v13, v17, v3, vcc_lo
	v_cmp_eq_u32_e64 s2, 5, v84
	v_cndmask_b32_e32 v14, v18, v7, vcc_lo
	v_cndmask_b32_e64 v1, v1, v3, s3
	v_cmp_eq_u32_e32 vcc_lo, 5, v83
	v_cmp_eq_u32_e64 s4, 5, v80
	v_cndmask_b32_e64 v2, v2, v7, s3
	v_cmp_eq_u32_e64 s3, 5, v82
	v_cmp_eq_u32_e64 s5, 6, v80
	v_cndmask_b32_e32 v1, v1, v11, vcc_lo
	v_cndmask_b32_e64 v3, v5, v11, s4
	v_cndmask_b32_e64 v5, v6, v15, s4
	;; [unrolled: 1-line block ×3, first 2 shown]
	v_cmp_eq_u32_e64 s4, 6, v82
	v_cndmask_b32_e64 v7, v10, v15, s3
	v_cndmask_b32_e64 v9, v13, v11, s2
	;; [unrolled: 1-line block ×3, first 2 shown]
	v_cndmask_b32_e32 v2, v2, v15, vcc_lo
	v_cmp_eq_u32_e32 vcc_lo, 6, v84
	v_cmp_eq_u32_e64 s2, 6, v83
	v_lshrrev_b32_e32 v12, 16, v4
	v_cndmask_b32_e64 v3, v3, v4, s5
	v_cndmask_b32_e64 v5, v5, v8, s5
	;; [unrolled: 1-line block ×4, first 2 shown]
	v_cndmask_b32_e32 v9, v9, v4, vcc_lo
	v_cmp_eq_u32_e64 s3, 7, v84
	v_cndmask_b32_e32 v10, v10, v8, vcc_lo
	v_cndmask_b32_e64 v1, v1, v4, s2
	v_cmp_eq_u32_e32 vcc_lo, 7, v83
	v_cndmask_b32_e64 v2, v2, v8, s2
	v_cmp_eq_u32_e64 s2, 7, v80
	v_cmp_eq_u32_e64 s4, 7, v82
	v_cndmask_b32_e32 v1, v1, v12, vcc_lo
	s_delay_alu instid0(VALU_DEP_4) | instskip(NEXT) | instid1(VALU_DEP_4)
	v_cndmask_b32_e32 v2, v2, v16, vcc_lo
	v_cndmask_b32_e64 v8, v3, v12, s2
	s_delay_alu instid0(VALU_DEP_4)
	v_cndmask_b32_e64 v6, v6, v12, s4
	v_cndmask_b32_e64 v3, v9, v12, s3
	;; [unrolled: 1-line block ×5, first 2 shown]
	v_perm_b32 v4, v2, v1, 0x5040100
	s_mov_b32 s2, exec_lo
	v_perm_b32 v3, v9, v3, 0x5040100
	v_perm_b32 v2, v7, v6, 0x5040100
	;; [unrolled: 1-line block ×3, first 2 shown]
	ds_store_b128 v78, v[1:4]
	s_waitcnt lgkmcnt(0)
	s_barrier
	buffer_gl0_inv
	v_cmpx_gt_u32_e32 32, v0
	s_cbranch_execz .LBB317_2
; %bb.17:
	s_load_b64 s[0:1], s[0:1], 0x68
	v_lshlrev_b32_e32 v0, 10, v0
	s_lshl_b32 s4, s34, 7
	v_or_b32_e32 v3, s31, v75
	s_mul_i32 s2, s4, s30
	v_lshlrev_b32_e32 v1, 4, v76
	s_mul_i32 s2, s2, s6
	v_lshlrev_b32_e32 v2, 6, v75
	v_and_b32_e32 v0, 0x3800, v0
	s_ashr_i32 s3, s2, 31
	v_mul_lo_u32 v4, v3, s4
	s_lshl_b64 s[2:3], s[2:3], 1
	s_delay_alu instid0(VALU_DEP_2) | instskip(NEXT) | instid1(VALU_DEP_2)
	v_or3_b32 v16, v0, v1, v2
	v_ashrrev_i32_e32 v5, 31, v4
	ds_load_b128 v[0:3], v16
	s_waitcnt lgkmcnt(0)
	s_add_u32 s2, s0, s2
	s_addc_u32 s3, s1, s3
	s_lshl_b32 s0, s14, 7
	v_lshlrev_b64 v[5:6], 1, v[4:5]
	s_ashr_i32 s1, s0, 31
	s_delay_alu instid0(SALU_CYCLE_1) | instskip(NEXT) | instid1(SALU_CYCLE_1)
	s_lshl_b64 s[0:1], s[0:1], 1
	s_add_u32 s0, s2, s0
	s_addc_u32 s1, s3, s1
	s_lshl_b32 s2, s34, 8
	v_add_co_u32 v30, vcc_lo, s0, v73
	v_add_nc_u32_e32 v8, s2, v4
	v_add_co_ci_u32_e32 v31, vcc_lo, s1, v74, vcc_lo
	s_delay_alu instid0(VALU_DEP_3) | instskip(NEXT) | instid1(VALU_DEP_3)
	v_add_co_u32 v12, vcc_lo, v30, v5
	v_add_nc_u32_e32 v10, s2, v8
	v_ashrrev_i32_e32 v9, 31, v8
	s_delay_alu instid0(VALU_DEP_4)
	v_add_co_ci_u32_e32 v13, vcc_lo, v31, v6, vcc_lo
	ds_load_b128 v[4:7], v16 offset:128
	v_ashrrev_i32_e32 v11, 31, v10
	v_lshlrev_b64 v[8:9], 1, v[8:9]
	v_add_nc_u32_e32 v14, s2, v10
	global_store_b128 v[12:13], v[0:3], off
	v_lshlrev_b64 v[0:1], 1, v[10:11]
	v_ashrrev_i32_e32 v15, 31, v14
	v_add_co_u32 v22, vcc_lo, v30, v8
	v_add_nc_u32_e32 v20, s2, v14
	v_add_co_ci_u32_e32 v23, vcc_lo, v31, v9, vcc_lo
	v_add_co_u32 v26, vcc_lo, v30, v0
	v_lshlrev_b64 v[24:25], 1, v[14:15]
	v_add_co_ci_u32_e32 v27, vcc_lo, v31, v1, vcc_lo
	ds_load_b128 v[0:3], v16 offset:256
	ds_load_b128 v[8:11], v16 offset:384
	;; [unrolled: 1-line block ×4, first 2 shown]
	v_add_nc_u32_e32 v28, s2, v20
	v_ashrrev_i32_e32 v21, 31, v20
	v_add_co_u32 v24, vcc_lo, v30, v24
	v_add_co_ci_u32_e32 v25, vcc_lo, v31, v25, vcc_lo
	s_delay_alu instid0(VALU_DEP_4) | instskip(NEXT) | instid1(VALU_DEP_4)
	v_ashrrev_i32_e32 v29, 31, v28
	v_lshlrev_b64 v[20:21], 1, v[20:21]
	s_delay_alu instid0(VALU_DEP_2) | instskip(NEXT) | instid1(VALU_DEP_2)
	v_lshlrev_b64 v[28:29], 1, v[28:29]
	v_add_co_u32 v20, vcc_lo, v30, v20
	s_delay_alu instid0(VALU_DEP_3) | instskip(NEXT) | instid1(VALU_DEP_3)
	v_add_co_ci_u32_e32 v21, vcc_lo, v31, v21, vcc_lo
	v_add_co_u32 v28, vcc_lo, v30, v28
	s_delay_alu instid0(VALU_DEP_4)
	v_add_co_ci_u32_e32 v29, vcc_lo, v31, v29, vcc_lo
	s_waitcnt lgkmcnt(4)
	global_store_b128 v[22:23], v[4:7], off
	s_waitcnt lgkmcnt(3)
	global_store_b128 v[26:27], v[0:3], off
	;; [unrolled: 2-line block ×5, first 2 shown]
	s_nop 0
	s_sendmsg sendmsg(MSG_DEALLOC_VGPRS)
	s_endpgm
	.section	.rodata,"a",@progbits
	.p2align	6, 0x0
	.amdhsa_kernel _Z39paged_attention_ll4mi_QKV_mfma16_kernelIDF16_DF16_LN4vllm18Fp8KVCacheDataTypeE0EhLi32ELi128ELi256ELb1ELi12EL8MFMAType0EEvPKT_PKT0_S8_ifPKiSA_SA_iPKfiiiPfSD_PS3_PT2_iSC_SC_
		.amdhsa_group_segment_fixed_size 17472
		.amdhsa_private_segment_fixed_size 0
		.amdhsa_kernarg_size 400
		.amdhsa_user_sgpr_count 13
		.amdhsa_user_sgpr_dispatch_ptr 0
		.amdhsa_user_sgpr_queue_ptr 0
		.amdhsa_user_sgpr_kernarg_segment_ptr 1
		.amdhsa_user_sgpr_dispatch_id 0
		.amdhsa_user_sgpr_private_segment_size 0
		.amdhsa_wavefront_size32 1
		.amdhsa_uses_dynamic_stack 0
		.amdhsa_enable_private_segment 0
		.amdhsa_system_sgpr_workgroup_id_x 1
		.amdhsa_system_sgpr_workgroup_id_y 1
		.amdhsa_system_sgpr_workgroup_id_z 1
		.amdhsa_system_sgpr_workgroup_info 0
		.amdhsa_system_vgpr_workitem_id 0
		.amdhsa_next_free_vgpr 172
		.amdhsa_next_free_sgpr 38
		.amdhsa_reserve_vcc 1
		.amdhsa_float_round_mode_32 0
		.amdhsa_float_round_mode_16_64 0
		.amdhsa_float_denorm_mode_32 3
		.amdhsa_float_denorm_mode_16_64 3
		.amdhsa_dx10_clamp 1
		.amdhsa_ieee_mode 1
		.amdhsa_fp16_overflow 0
		.amdhsa_workgroup_processor_mode 1
		.amdhsa_memory_ordered 1
		.amdhsa_forward_progress 0
		.amdhsa_shared_vgpr_count 0
		.amdhsa_exception_fp_ieee_invalid_op 0
		.amdhsa_exception_fp_denorm_src 0
		.amdhsa_exception_fp_ieee_div_zero 0
		.amdhsa_exception_fp_ieee_overflow 0
		.amdhsa_exception_fp_ieee_underflow 0
		.amdhsa_exception_fp_ieee_inexact 0
		.amdhsa_exception_int_div_zero 0
	.end_amdhsa_kernel
	.section	.text._Z39paged_attention_ll4mi_QKV_mfma16_kernelIDF16_DF16_LN4vllm18Fp8KVCacheDataTypeE0EhLi32ELi128ELi256ELb1ELi12EL8MFMAType0EEvPKT_PKT0_S8_ifPKiSA_SA_iPKfiiiPfSD_PS3_PT2_iSC_SC_,"axG",@progbits,_Z39paged_attention_ll4mi_QKV_mfma16_kernelIDF16_DF16_LN4vllm18Fp8KVCacheDataTypeE0EhLi32ELi128ELi256ELb1ELi12EL8MFMAType0EEvPKT_PKT0_S8_ifPKiSA_SA_iPKfiiiPfSD_PS3_PT2_iSC_SC_,comdat
.Lfunc_end317:
	.size	_Z39paged_attention_ll4mi_QKV_mfma16_kernelIDF16_DF16_LN4vllm18Fp8KVCacheDataTypeE0EhLi32ELi128ELi256ELb1ELi12EL8MFMAType0EEvPKT_PKT0_S8_ifPKiSA_SA_iPKfiiiPfSD_PS3_PT2_iSC_SC_, .Lfunc_end317-_Z39paged_attention_ll4mi_QKV_mfma16_kernelIDF16_DF16_LN4vllm18Fp8KVCacheDataTypeE0EhLi32ELi128ELi256ELb1ELi12EL8MFMAType0EEvPKT_PKT0_S8_ifPKiSA_SA_iPKfiiiPfSD_PS3_PT2_iSC_SC_
                                        ; -- End function
	.section	.AMDGPU.csdata,"",@progbits
; Kernel info:
; codeLenInByte = 7608
; NumSgprs: 40
; NumVgprs: 172
; ScratchSize: 0
; MemoryBound: 0
; FloatMode: 240
; IeeeMode: 1
; LDSByteSize: 17472 bytes/workgroup (compile time only)
; SGPRBlocks: 4
; VGPRBlocks: 21
; NumSGPRsForWavesPerEU: 40
; NumVGPRsForWavesPerEU: 172
; Occupancy: 8
; WaveLimiterHint : 1
; COMPUTE_PGM_RSRC2:SCRATCH_EN: 0
; COMPUTE_PGM_RSRC2:USER_SGPR: 13
; COMPUTE_PGM_RSRC2:TRAP_HANDLER: 0
; COMPUTE_PGM_RSRC2:TGID_X_EN: 1
; COMPUTE_PGM_RSRC2:TGID_Y_EN: 1
; COMPUTE_PGM_RSRC2:TGID_Z_EN: 1
; COMPUTE_PGM_RSRC2:TIDIG_COMP_CNT: 0
	.section	.text._Z39paged_attention_ll4mi_QKV_mfma16_kernelIDF16_DF16_LN4vllm18Fp8KVCacheDataTypeE0EhLi32ELi128ELi256ELb1ELi13EL8MFMAType0EEvPKT_PKT0_S8_ifPKiSA_SA_iPKfiiiPfSD_PS3_PT2_iSC_SC_,"axG",@progbits,_Z39paged_attention_ll4mi_QKV_mfma16_kernelIDF16_DF16_LN4vllm18Fp8KVCacheDataTypeE0EhLi32ELi128ELi256ELb1ELi13EL8MFMAType0EEvPKT_PKT0_S8_ifPKiSA_SA_iPKfiiiPfSD_PS3_PT2_iSC_SC_,comdat
	.protected	_Z39paged_attention_ll4mi_QKV_mfma16_kernelIDF16_DF16_LN4vllm18Fp8KVCacheDataTypeE0EhLi32ELi128ELi256ELb1ELi13EL8MFMAType0EEvPKT_PKT0_S8_ifPKiSA_SA_iPKfiiiPfSD_PS3_PT2_iSC_SC_ ; -- Begin function _Z39paged_attention_ll4mi_QKV_mfma16_kernelIDF16_DF16_LN4vllm18Fp8KVCacheDataTypeE0EhLi32ELi128ELi256ELb1ELi13EL8MFMAType0EEvPKT_PKT0_S8_ifPKiSA_SA_iPKfiiiPfSD_PS3_PT2_iSC_SC_
	.globl	_Z39paged_attention_ll4mi_QKV_mfma16_kernelIDF16_DF16_LN4vllm18Fp8KVCacheDataTypeE0EhLi32ELi128ELi256ELb1ELi13EL8MFMAType0EEvPKT_PKT0_S8_ifPKiSA_SA_iPKfiiiPfSD_PS3_PT2_iSC_SC_
	.p2align	8
	.type	_Z39paged_attention_ll4mi_QKV_mfma16_kernelIDF16_DF16_LN4vllm18Fp8KVCacheDataTypeE0EhLi32ELi128ELi256ELb1ELi13EL8MFMAType0EEvPKT_PKT0_S8_ifPKiSA_SA_iPKfiiiPfSD_PS3_PT2_iSC_SC_,@function
_Z39paged_attention_ll4mi_QKV_mfma16_kernelIDF16_DF16_LN4vllm18Fp8KVCacheDataTypeE0EhLi32ELi128ELi256ELb1ELi13EL8MFMAType0EEvPKT_PKT0_S8_ifPKiSA_SA_iPKfiiiPfSD_PS3_PT2_iSC_SC_: ; @_Z39paged_attention_ll4mi_QKV_mfma16_kernelIDF16_DF16_LN4vllm18Fp8KVCacheDataTypeE0EhLi32ELi128ELi256ELb1ELi13EL8MFMAType0EEvPKT_PKT0_S8_ifPKiSA_SA_iPKfiiiPfSD_PS3_PT2_iSC_SC_
; %bb.0:
	s_load_b64 s[2:3], s[0:1], 0x30
	s_mov_b32 s34, s13
	s_waitcnt lgkmcnt(0)
	s_cmp_lg_u64 s[2:3], 0
	s_cselect_b32 s6, -1, 0
	s_ashr_i32 s35, s13, 31
	s_cmp_eq_u64 s[2:3], 0
	s_cbranch_scc1 .LBB318_3
; %bb.1:
	s_lshl_b64 s[4:5], s[34:35], 2
	s_delay_alu instid0(SALU_CYCLE_1) | instskip(SKIP_4) | instid1(SALU_CYCLE_1)
	s_add_u32 s4, s2, s4
	s_addc_u32 s5, s3, s5
	s_load_b64 s[4:5], s[4:5], 0x0
	s_waitcnt lgkmcnt(0)
	s_sub_i32 s4, s5, s4
	s_cmp_eq_u32 s4, 1
	s_cselect_b32 s4, -1, 0
	s_delay_alu instid0(SALU_CYCLE_1)
	s_and_not1_b32 vcc_lo, exec_lo, s4
	s_cbranch_vccz .LBB318_4
.LBB318_2:
	s_nop 0
	s_sendmsg sendmsg(MSG_DEALLOC_VGPRS)
	s_endpgm
.LBB318_3:
.LBB318_4:
	s_load_b64 s[8:9], s[0:1], 0x28
	s_lshl_b64 s[4:5], s[34:35], 2
	s_waitcnt lgkmcnt(0)
	s_add_u32 s8, s8, s4
	s_addc_u32 s9, s9, s5
	s_lshl_b32 s12, s14, 8
	s_load_b32 s17, s[8:9], 0x0
	s_waitcnt lgkmcnt(0)
	s_cmp_ge_i32 s12, s17
	s_cbranch_scc1 .LBB318_2
; %bb.5:
	s_and_not1_b32 vcc_lo, exec_lo, s6
	s_cbranch_vccnz .LBB318_7
; %bb.6:
	s_add_u32 s2, s2, s4
	s_addc_u32 s3, s3, s5
	s_load_b32 s13, s[2:3], 0x0
	s_branch .LBB318_8
.LBB318_7:
	s_mov_b32 s13, s34
.LBB318_8:
	s_clause 0x2
	s_load_b128 s[8:11], s[0:1], 0x8
	s_load_b64 s[2:3], s[0:1], 0x20
	s_load_b128 s[4:7], s[0:1], 0x48
	v_lshrrev_b32_e32 v78, 5, v0
	v_bfe_u32 v75, v0, 4, 1
	v_and_b32_e32 v77, 15, v0
	s_waitcnt lgkmcnt(0)
	s_mov_b32 s7, exec_lo
	s_delay_alu instid0(VALU_DEP_2) | instskip(NEXT) | instid1(VALU_DEP_2)
	v_lshl_or_b32 v3, v78, 1, v75
	v_lshlrev_b32_e32 v1, 3, v77
	s_delay_alu instid0(VALU_DEP_2)
	v_cmpx_lt_u32_e32 12, v3
	s_xor_b32 s7, exec_lo, s7
; %bb.9:
	v_mov_b32_e32 v2, 0
                                        ; implicit-def: $vgpr3
; %bb.10:
	s_or_saveexec_b32 s7, s7
	v_and_b32_e32 v80, 31, v0
	v_and_b32_e32 v76, 1, v0
	s_mul_i32 s31, s15, 13
	s_xor_b32 exec_lo, exec_lo, s7
	s_cbranch_execz .LBB318_12
; %bb.11:
	s_load_b64 s[18:19], s[0:1], 0x0
	v_add_lshl_u32 v4, v3, s31, 7
	s_mul_hi_i32 s21, s13, s4
	s_mul_i32 s20, s13, s4
	v_lshlrev_b32_e32 v2, 1, v1
	s_lshl_b64 s[20:21], s[20:21], 1
	v_ashrrev_i32_e32 v5, 31, v4
	v_lshlrev_b32_e32 v3, 6, v3
	v_lshlrev_b32_e32 v8, 10, v76
	s_delay_alu instid0(VALU_DEP_3) | instskip(SKIP_3) | instid1(VALU_DEP_1)
	v_lshlrev_b64 v[4:5], 1, v[4:5]
	s_waitcnt lgkmcnt(0)
	s_add_u32 s4, s18, s20
	s_addc_u32 s13, s19, s21
	v_add_co_u32 v4, vcc_lo, s4, v4
	s_delay_alu instid0(VALU_DEP_2) | instskip(NEXT) | instid1(VALU_DEP_2)
	v_add_co_ci_u32_e32 v5, vcc_lo, s13, v5, vcc_lo
	v_add_co_u32 v4, vcc_lo, v4, v2
	s_delay_alu instid0(VALU_DEP_2) | instskip(SKIP_3) | instid1(VALU_DEP_1)
	v_add_co_ci_u32_e32 v5, vcc_lo, 0, v5, vcc_lo
	v_lshlrev_b32_e32 v2, 10, v77
	global_load_b128 v[4:7], v[4:5], off
	v_and_b32_e32 v2, 0x3800, v2
	v_or3_b32 v3, v2, v8, v3
	v_mov_b32_e32 v2, 0
	s_waitcnt vmcnt(0)
	ds_store_b128 v3, v[4:7]
.LBB318_12:
	s_or_b32 exec_lo, exec_lo, s7
	v_and_b32_e32 v3, 0xef, v0
	s_add_i32 s4, s17, 31
	s_clause 0x1
	s_load_b32 s7, s[0:1], 0x38
	s_load_b32 s33, s[0:1], 0x98
	s_ashr_i32 s13, s4, 31
	v_add_nc_u32_e32 v3, s12, v3
	s_lshr_b32 s13, s13, 27
	s_load_b32 s18, s[0:1], 0x1c
	s_add_i32 s4, s4, s13
	s_waitcnt lgkmcnt(0)
	v_ashrrev_i32_e32 v4, 31, v3
	v_cmp_gt_i32_e32 vcc_lo, s17, v3
	s_ashr_i32 s4, s4, 5
	s_barrier
	s_add_i32 s4, s4, -1
	v_lshrrev_b32_e32 v5, 27, v4
	v_or_b32_e32 v4, 16, v3
	buffer_gl0_inv
	v_lshlrev_b64 v[73:74], 1, v[1:2]
	v_lshlrev_b32_e32 v79, 6, v77
	v_add_nc_u32_e32 v6, v3, v5
	v_add_nc_u32_e32 v5, v4, v5
	s_mul_i32 s20, s34, s7
	s_delay_alu instid0(SALU_CYCLE_1) | instskip(NEXT) | instid1(VALU_DEP_2)
	s_ashr_i32 s21, s20, 31
	v_ashrrev_i32_e32 v6, 5, v6
	s_delay_alu instid0(VALU_DEP_2) | instskip(SKIP_1) | instid1(SALU_CYCLE_1)
	v_ashrrev_i32_e32 v5, 5, v5
	s_lshl_b64 s[20:21], s[20:21], 2
	s_add_u32 s13, s2, s20
	s_delay_alu instid0(VALU_DEP_2) | instskip(SKIP_3) | instid1(SALU_CYCLE_1)
	v_cndmask_b32_e32 v3, s4, v6, vcc_lo
	v_cmp_gt_i32_e32 vcc_lo, s17, v4
	s_addc_u32 s16, s3, s21
	s_mul_i32 s2, s15, s6
	s_ashr_i32 s3, s2, 31
	v_cndmask_b32_e32 v5, s4, v5, vcc_lo
	v_ashrrev_i32_e32 v4, 31, v3
	s_lshl_b64 s[2:3], s[2:3], 1
	s_delay_alu instid0(SALU_CYCLE_1) | instskip(NEXT) | instid1(VALU_DEP_2)
	s_add_u32 s15, s8, s2
	v_ashrrev_i32_e32 v6, 31, v5
	s_delay_alu instid0(VALU_DEP_2) | instskip(SKIP_2) | instid1(VALU_DEP_2)
	v_lshlrev_b64 v[3:4], 2, v[3:4]
	s_addc_u32 s19, s9, s3
	s_lshl_b32 s6, s14, 3
	v_lshlrev_b64 v[5:6], 2, v[5:6]
	s_ashr_i32 s7, s6, 31
	s_delay_alu instid0(VALU_DEP_2) | instskip(SKIP_1) | instid1(VALU_DEP_3)
	v_add_co_u32 v3, vcc_lo, s13, v3
	v_add_co_ci_u32_e32 v4, vcc_lo, s16, v4, vcc_lo
	v_add_co_u32 v5, vcc_lo, s13, v5
	s_delay_alu instid0(VALU_DEP_4)
	v_add_co_ci_u32_e32 v6, vcc_lo, s16, v6, vcc_lo
	s_lshl_b64 s[6:7], s[6:7], 2
	s_clause 0x1
	global_load_b32 v7, v[3:4], off
	global_load_b32 v8, v[5:6], off
	s_add_u32 s6, s13, s6
	s_addc_u32 s7, s16, s7
	s_or_b32 s8, s12, 32
	s_delay_alu instid0(SALU_CYCLE_1) | instskip(SKIP_2) | instid1(SALU_CYCLE_1)
	s_ashr_i32 s9, s8, 5
	s_cmp_lt_i32 s8, s17
	s_cselect_b32 s8, s9, s4
	s_ashr_i32 s9, s8, 31
	s_delay_alu instid0(SALU_CYCLE_1) | instskip(NEXT) | instid1(SALU_CYCLE_1)
	s_lshl_b64 s[8:9], s[8:9], 2
	s_add_u32 s8, s13, s8
	s_addc_u32 s9, s16, s9
	s_or_b32 s20, s12, 64
	s_delay_alu instid0(SALU_CYCLE_1) | instskip(SKIP_2) | instid1(SALU_CYCLE_1)
	s_ashr_i32 s21, s20, 5
	s_cmp_lt_i32 s20, s17
	s_cselect_b32 s20, s21, s4
	s_ashr_i32 s21, s20, 31
	s_delay_alu instid0(SALU_CYCLE_1) | instskip(NEXT) | instid1(SALU_CYCLE_1)
	s_lshl_b64 s[20:21], s[20:21], 2
	;; [unrolled: 10-line block ×5, first 2 shown]
	s_add_u32 s26, s13, s26
	s_addc_u32 s27, s16, s27
	s_clause 0x5
	s_load_b32 s28, s[6:7], 0x0
	s_load_b32 s29, s[8:9], 0x0
	;; [unrolled: 1-line block ×6, first 2 shown]
	s_mov_b32 s20, 0
	s_or_b32 s6, s12, 0xc0
	s_mov_b32 s21, s20
	s_mov_b32 s22, s20
	;; [unrolled: 1-line block ×7, first 2 shown]
	s_ashr_i32 s7, s6, 5
	v_mov_b32_e32 v128, s27
	s_cmp_lt_i32 s6, s17
	v_mov_b32_e32 v127, s26
	s_cselect_b32 s6, s7, s4
	v_mov_b32_e32 v126, s25
	s_ashr_i32 s7, s6, 31
	v_mov_b32_e32 v125, s24
	s_lshl_b64 s[6:7], s[6:7], 2
	v_mov_b32_e32 v124, s23
	s_add_u32 s6, s13, s6
	s_addc_u32 s7, s16, s7
	v_mov_b32_e32 v123, s22
	v_mov_b32_e32 v121, s20
	s_waitcnt lgkmcnt(0)
	s_mul_hi_i32 s9, s28, s5
	s_mul_i32 s8, s28, s5
	s_mul_hi_i32 s37, s38, s5
	v_mov_b32_e32 v122, s21
	s_mul_hi_i32 s21, s29, s5
	s_mul_i32 s20, s29, s5
	s_mul_hi_i32 s25, s30, s5
	s_mul_i32 s24, s30, s5
	;; [unrolled: 2-line block ×3, first 2 shown]
	s_waitcnt vmcnt(1)
	v_mad_i64_i32 v[3:4], null, v7, s5, 0
	s_waitcnt vmcnt(0)
	v_mad_i64_i32 v[5:6], null, v8, s5, 0
	s_delay_alu instid0(VALU_DEP_2) | instskip(NEXT) | instid1(VALU_DEP_2)
	v_lshlrev_b64 v[3:4], 1, v[3:4]
	v_lshlrev_b64 v[1:2], 1, v[5:6]
	s_delay_alu instid0(VALU_DEP_2) | instskip(NEXT) | instid1(VALU_DEP_3)
	v_add_co_u32 v3, vcc_lo, s15, v3
	v_add_co_ci_u32_e32 v4, vcc_lo, s19, v4, vcc_lo
	s_delay_alu instid0(VALU_DEP_3) | instskip(NEXT) | instid1(VALU_DEP_4)
	v_add_co_u32 v1, vcc_lo, s15, v1
	v_add_co_ci_u32_e32 v2, vcc_lo, s19, v2, vcc_lo
	s_delay_alu instid0(VALU_DEP_4) | instskip(NEXT) | instid1(VALU_DEP_4)
	v_add_co_u32 v65, vcc_lo, v3, v73
	v_add_co_ci_u32_e32 v66, vcc_lo, v4, v74, vcc_lo
	s_delay_alu instid0(VALU_DEP_4) | instskip(NEXT) | instid1(VALU_DEP_4)
	v_add_co_u32 v67, vcc_lo, v1, v73
	v_add_co_ci_u32_e32 v68, vcc_lo, v2, v74, vcc_lo
	s_clause 0xf
	global_load_b128 v[1:4], v[65:66], off
	global_load_b128 v[5:8], v[65:66], off offset:512
	global_load_b128 v[9:12], v[67:68], off offset:256
	;; [unrolled: 1-line block ×15, first 2 shown]
	v_add_co_u32 v157, vcc_lo, 0x1000, v65
	v_add_co_ci_u32_e32 v158, vcc_lo, 0, v66, vcc_lo
	v_add_co_u32 v165, vcc_lo, 0x1000, v67
	v_add_co_ci_u32_e32 v166, vcc_lo, 0, v68, vcc_lo
	s_clause 0x7
	global_load_b128 v[81:84], v[157:158], off
	global_load_b128 v[85:88], v[157:158], off offset:512
	global_load_b128 v[89:92], v[165:166], off offset:256
	;; [unrolled: 1-line block ×7, first 2 shown]
	v_add_nc_u32_e32 v65, -13, v77
	v_cmp_gt_u32_e32 vcc_lo, 13, v77
	s_or_b32 s15, s12, 0xe0
	s_delay_alu instid0(SALU_CYCLE_1) | instskip(SKIP_3) | instid1(SALU_CYCLE_1)
	s_ashr_i32 s19, s15, 5
	s_cmp_lt_i32 s15, s17
	v_cndmask_b32_e32 v65, v65, v77, vcc_lo
	s_cselect_b32 s22, s19, s4
	s_ashr_i32 s23, s22, 31
	s_delay_alu instid0(VALU_DEP_1)
	v_lshlrev_b32_e32 v169, 6, v65
	ds_load_b128 v[65:68], v169
	ds_load_b128 v[69:72], v169 offset:1024
	s_clause 0x1
	global_load_b128 v[113:116], v[157:158], off offset:2048
	global_load_b128 v[117:120], v[157:158], off offset:2560
	ds_load_b128 v[129:132], v169 offset:2048
	ds_load_b128 v[133:136], v169 offset:3072
	s_clause 0x5
	global_load_b128 v[145:148], v[165:166], off offset:2304
	global_load_b128 v[149:152], v[165:166], off offset:2816
	;; [unrolled: 1-line block ×6, first 2 shown]
	s_lshl_b64 s[22:23], s[22:23], 2
	s_delay_alu instid0(SALU_CYCLE_1) | instskip(SKIP_2) | instid1(SALU_CYCLE_1)
	s_add_u32 s22, s13, s22
	s_addc_u32 s23, s16, s23
	s_add_i32 s15, s12, 0x100
	s_ashr_i32 s19, s15, 5
	s_cmp_lt_i32 s15, s17
	s_cselect_b32 s28, s19, s4
	s_delay_alu instid0(SALU_CYCLE_1) | instskip(NEXT) | instid1(SALU_CYCLE_1)
	s_ashr_i32 s29, s28, 31
	s_lshl_b64 s[28:29], s[28:29], 2
	s_delay_alu instid0(SALU_CYCLE_1)
	s_add_u32 s28, s13, s28
	s_addc_u32 s29, s16, s29
	s_add_u32 s4, s10, s2
	s_addc_u32 s19, s11, s3
	s_lshl_b64 s[2:3], s[8:9], 1
	s_lshl_b64 s[8:9], s[20:21], 1
	s_lshl_b64 s[10:11], s[24:25], 1
	s_lshl_b64 s[20:21], s[26:27], 1
	s_waitcnt vmcnt(30) lgkmcnt(2)
	v_wmma_f32_16x16x16_f16 v[137:144], v[1:8], v[65:72], v[121:128]
	ds_load_b128 v[1:4], v169 offset:4096
	ds_load_b128 v[5:8], v169 offset:5120
	s_waitcnt vmcnt(28)
	v_wmma_f32_16x16x16_f16 v[121:128], v[9:16], v[65:72], v[121:128]
	ds_load_b128 v[9:12], v169 offset:6144
	ds_load_b128 v[13:16], v169 offset:7168
	s_waitcnt vmcnt(26) lgkmcnt(4)
	v_wmma_f32_16x16x16_f16 v[137:144], v[17:24], v[129:136], v[137:144]
	ds_load_b128 v[17:20], v169 offset:8192
	ds_load_b128 v[21:24], v169 offset:9216
	s_waitcnt vmcnt(24)
	v_wmma_f32_16x16x16_f16 v[121:128], v[25:32], v[129:136], v[121:128]
	v_lshl_or_b32 v25, v78, 10, v79
	ds_load_b128 v[129:132], v169 offset:10240
	ds_load_b128 v[133:136], v169 offset:11264
	s_clause 0x2
	s_load_b32 s15, s[6:7], 0x0
	s_load_b32 s13, s[22:23], 0x0
	;; [unrolled: 1-line block ×3, first 2 shown]
	s_mul_hi_i32 s7, s36, s5
	v_add_co_u32 v170, s4, s4, v25
	s_delay_alu instid0(VALU_DEP_1)
	v_add_co_ci_u32_e64 v171, null, s19, 0, s4
	s_mul_i32 s6, s36, s5
	s_mul_i32 s36, s38, s5
	s_lshl_b64 s[6:7], s[6:7], 1
	s_lshl_b64 s[22:23], s[36:37], 1
	s_waitcnt vmcnt(22) lgkmcnt(0)
	v_wmma_f32_16x16x16_f16 v[137:144], v[33:40], v[1:8], v[137:144]
	s_waitcnt vmcnt(20)
	v_wmma_f32_16x16x16_f16 v[121:128], v[41:48], v[1:8], v[121:128]
	v_add_co_u32 v1, vcc_lo, v170, s2
	v_add_co_ci_u32_e32 v2, vcc_lo, s3, v171, vcc_lo
	v_add_co_u32 v3, vcc_lo, v170, s8
	v_add_co_ci_u32_e32 v4, vcc_lo, s9, v171, vcc_lo
	;; [unrolled: 2-line block ×4, first 2 shown]
	v_add_co_u32 v25, vcc_lo, v170, s6
	s_mul_hi_i32 s25, s15, s5
	s_mul_i32 s24, s15, s5
	v_add_co_ci_u32_e32 v26, vcc_lo, s7, v171, vcc_lo
	v_add_co_u32 v27, vcc_lo, v170, s22
	s_lshl_b64 s[24:25], s[24:25], 1
	s_waitcnt vmcnt(18)
	v_wmma_f32_16x16x16_f16 v[137:144], v[49:56], v[9:16], v[137:144]
	s_waitcnt vmcnt(16)
	v_wmma_f32_16x16x16_f16 v[121:128], v[57:64], v[9:16], v[121:128]
	v_add_co_ci_u32_e32 v28, vcc_lo, s23, v171, vcc_lo
	s_mul_hi_i32 s3, s13, s5
	s_mul_i32 s2, s13, s5
	v_add_co_u32 v29, vcc_lo, v170, s24
	s_lshl_b64 s[2:3], s[2:3], 1
	v_add_co_ci_u32_e32 v30, vcc_lo, s25, v171, vcc_lo
	s_waitcnt vmcnt(14)
	v_wmma_f32_16x16x16_f16 v[137:144], v[81:88], v[17:24], v[137:144]
	s_waitcnt vmcnt(12)
	v_wmma_f32_16x16x16_f16 v[121:128], v[89:96], v[17:24], v[121:128]
	v_add_co_u32 v17, vcc_lo, v170, s2
	v_add_co_ci_u32_e32 v18, vcc_lo, s3, v171, vcc_lo
	s_mul_hi_i32 s3, s16, s5
	s_mul_i32 s2, s16, s5
	s_clause 0x5
	global_load_b128 v[65:68], v[1:2], off
	global_load_b128 v[69:72], v[1:2], off offset:16
	global_load_b128 v[57:60], v[3:4], off
	global_load_b128 v[61:64], v[3:4], off offset:16
	global_load_b128 v[49:52], v[5:6], off
	global_load_b128 v[53:56], v[5:6], off offset:16
	s_lshl_b64 s[2:3], s[2:3], 1
	s_clause 0x1
	global_load_b128 v[41:44], v[7:8], off
	global_load_b128 v[45:48], v[7:8], off offset:16
	v_add_co_u32 v21, vcc_lo, v170, s2
	v_add_co_ci_u32_e32 v22, vcc_lo, s3, v171, vcc_lo
	s_clause 0x9
	global_load_b128 v[9:12], v[25:26], off
	global_load_b128 v[13:16], v[25:26], off offset:16
	global_load_b128 v[1:4], v[27:28], off
	global_load_b128 v[5:8], v[27:28], off offset:16
	;; [unrolled: 2-line block ×5, first 2 shown]
	ds_load_b128 v[81:84], v169 offset:12288
	ds_load_b128 v[85:88], v169 offset:13312
	v_and_b32_e32 v89, 0xe0, v0
	s_waitcnt vmcnt(28)
	v_wmma_f32_16x16x16_f16 v[137:144], v[97:104], v[129:136], v[137:144]
	v_mbcnt_lo_u32_b32 v97, -1, 0
	s_waitcnt vmcnt(26)
	v_wmma_f32_16x16x16_f16 v[121:128], v[105:112], v[129:136], v[121:128]
	v_add_nc_u32_e32 v98, s12, v89
	ds_load_b128 v[89:92], v169 offset:14336
	ds_load_b128 v[93:96], v169 offset:15360
	v_xor_b32_e32 v99, 16, v97
	s_waitcnt vmcnt(0) lgkmcnt(0)
	s_barrier
	v_or_b32_e32 v98, v98, v75
	buffer_gl0_inv
	v_cmp_gt_i32_e32 vcc_lo, 32, v99
	v_or_b32_e32 v100, 4, v98
	v_or_b32_e32 v101, 22, v98
	;; [unrolled: 1-line block ×4, first 2 shown]
	v_wmma_f32_16x16x16_f16 v[137:144], v[113:120], v[81:88], v[137:144]
	v_wmma_f32_16x16x16_f16 v[121:128], v[145:152], v[81:88], v[121:128]
	v_or_b32_e32 v81, 6, v98
	v_or_b32_e32 v82, 8, v98
	;; [unrolled: 1-line block ×3, first 2 shown]
	v_cmp_gt_i32_e64 s3, s17, v100
	v_or_b32_e32 v84, 12, v98
	v_wmma_f32_16x16x16_f16 v[137:144], v[153:160], v[89:96], v[137:144]
	v_wmma_f32_16x16x16_f16 v[121:128], v[161:168], v[89:96], v[121:128]
	v_cndmask_b32_e32 v97, v97, v99, vcc_lo
	v_or_b32_e32 v99, 2, v98
	v_cmp_gt_i32_e32 vcc_lo, s17, v98
	v_dual_mul_f32 v95, s18, v138 :: v_dual_mul_f32 v96, s18, v137
	v_mul_f32_e32 v93, s18, v140
	s_delay_alu instid0(VALU_DEP_4)
	v_cmp_gt_i32_e64 s2, s17, v99
	v_mul_f32_e32 v94, s18, v139
	v_mul_f32_e32 v110, s18, v124
	v_cndmask_b32_e32 v96, 0xff7fffff, v96, vcc_lo
	v_cmp_gt_i32_e64 s4, s17, v81
	v_cndmask_b32_e64 v95, 0xff7fffff, v95, s2
	v_or_b32_e32 v85, 14, v98
	v_dual_mul_f32 v91, s18, v142 :: v_dual_mul_f32 v92, s18, v141
	v_cndmask_b32_e64 v94, 0xff7fffff, v94, s3
	v_cndmask_b32_e64 v81, 0xff7fffff, v93, s4
	v_max3_f32 v93, v96, 0xff7fffff, v95
	v_cmp_gt_i32_e64 s5, s17, v82
	v_cmp_gt_i32_e64 s6, s17, v83
	v_or_b32_e32 v86, 16, v98
	v_or_b32_e32 v87, 18, v98
	v_dual_mul_f32 v89, s18, v144 :: v_dual_mul_f32 v112, s18, v122
	v_mul_f32_e32 v90, s18, v143
	v_cndmask_b32_e64 v82, 0xff7fffff, v92, s5
	v_cndmask_b32_e64 v83, 0xff7fffff, v91, s6
	v_max3_f32 v81, v93, v94, v81
	v_cmp_gt_i32_e64 s7, s17, v84
	v_cmp_gt_i32_e64 s8, s17, v85
	v_or_b32_e32 v88, 20, v98
	v_mul_f32_e32 v113, s18, v121
	v_max3_f32 v81, v81, v82, v83
	v_cndmask_b32_e64 v84, 0xff7fffff, v90, s7
	v_cndmask_b32_e64 v85, 0xff7fffff, v89, s8
	v_cmp_gt_i32_e64 s9, s17, v86
	v_cmp_gt_i32_e64 s10, s17, v87
	v_mul_f32_e32 v111, s18, v123
	v_cmp_gt_i32_e64 s11, s17, v88
	v_max3_f32 v81, v81, v84, v85
	v_cndmask_b32_e64 v82, 0xff7fffff, v113, s9
	v_cndmask_b32_e64 v83, 0xff7fffff, v112, s10
	v_cmp_gt_i32_e64 s12, s17, v101
	v_or_b32_e32 v104, 28, v98
	v_or_b32_e32 v105, 30, v98
	v_dual_mul_f32 v108, s18, v126 :: v_dual_mul_f32 v109, s18, v125
	v_cndmask_b32_e64 v84, 0xff7fffff, v111, s11
	v_cndmask_b32_e64 v85, 0xff7fffff, v110, s12
	v_max3_f32 v81, v81, v82, v83
	v_cmp_gt_i32_e64 s13, s17, v102
	v_cmp_gt_i32_e64 s15, s17, v103
	v_dual_mul_f32 v106, s18, v128 :: v_dual_mul_f32 v107, s18, v127
	s_delay_alu instid0(VALU_DEP_4) | instskip(NEXT) | instid1(VALU_DEP_4)
	v_max3_f32 v81, v81, v84, v85
	v_cndmask_b32_e64 v82, 0xff7fffff, v109, s13
	s_delay_alu instid0(VALU_DEP_4) | instskip(SKIP_2) | instid1(VALU_DEP_3)
	v_cndmask_b32_e64 v83, 0xff7fffff, v108, s15
	v_cmp_gt_i32_e64 s16, s17, v104
	v_cmp_gt_i32_e64 s17, s17, v105
	v_max3_f32 v81, v81, v82, v83
	s_delay_alu instid0(VALU_DEP_3) | instskip(NEXT) | instid1(VALU_DEP_3)
	v_cndmask_b32_e64 v84, 0xff7fffff, v107, s16
	v_cndmask_b32_e64 v85, 0xff7fffff, v106, s17
	v_lshlrev_b32_e32 v83, 2, v97
	s_delay_alu instid0(VALU_DEP_2) | instskip(SKIP_3) | instid1(VALU_DEP_1)
	v_max3_f32 v81, v81, v84, v85
	ds_bpermute_b32 v82, v83, v81
	s_waitcnt lgkmcnt(0)
	v_max_f32_e32 v82, v82, v82
	v_max_f32_e32 v81, v81, v82
	s_delay_alu instid0(VALU_DEP_1)
	v_fma_f32 v82, s18, v137, -v81
	v_fma_f32 v84, s18, v138, -v81
	;; [unrolled: 1-line block ×5, first 2 shown]
	v_mul_f32_e32 v82, 0x3fb8aa3b, v82
	s_delay_alu instid0(VALU_DEP_4) | instskip(NEXT) | instid1(VALU_DEP_3)
	v_dual_mul_f32 v84, 0x3fb8aa3b, v84 :: v_dual_mul_f32 v85, 0x3fb8aa3b, v85
	v_dual_mul_f32 v86, 0x3fb8aa3b, v86 :: v_dual_mul_f32 v89, 0x3fb8aa3b, v87
	s_delay_alu instid0(VALU_DEP_3) | instskip(NEXT) | instid1(VALU_DEP_2)
	v_exp_f32_e32 v82, v82
	v_exp_f32_e32 v84, v84
	s_delay_alu instid0(VALU_DEP_2) | instskip(NEXT) | instid1(VALU_DEP_1)
	v_exp_f32_e32 v85, v85
	v_exp_f32_e32 v86, v86
	;; [unrolled: 1-line block ×3, first 2 shown]
	v_cndmask_b32_e32 v88, 0, v82, vcc_lo
	v_cndmask_b32_e64 v87, 0, v84, s2
	s_delay_alu instid0(TRANS32_DEP_3)
	v_cndmask_b32_e64 v90, 0, v85, s3
	s_waitcnt_depctr 0xfff
	v_cndmask_b32_e64 v89, 0, v86, s4
	v_cndmask_b32_e64 v92, 0, v92, s5
	v_add_f32_e32 v84, 0, v88
	v_cmp_gt_u32_e64 s2, 16, v80
	s_delay_alu instid0(VALU_DEP_2) | instskip(NEXT) | instid1(VALU_DEP_1)
	v_add_f32_e32 v84, v84, v87
	v_add_f32_e32 v84, v84, v90
	s_delay_alu instid0(VALU_DEP_1)
	v_add_f32_e32 v84, v84, v89
	v_fma_f32 v82, s18, v142, -v81
	v_fma_f32 v91, s18, v143, -v81
	;; [unrolled: 1-line block ×5, first 2 shown]
	s_delay_alu instid0(VALU_DEP_4) | instskip(SKIP_1) | instid1(VALU_DEP_4)
	v_dual_mul_f32 v82, 0x3fb8aa3b, v82 :: v_dual_mul_f32 v91, 0x3fb8aa3b, v91
	v_fma_f32 v96, s18, v124, -v81
	v_mul_f32_e32 v86, 0x3fb8aa3b, v86
	s_delay_alu instid0(VALU_DEP_4) | instskip(NEXT) | instid1(VALU_DEP_4)
	v_mul_f32_e32 v95, 0x3fb8aa3b, v94
	v_exp_f32_e32 v82, v82
	v_exp_f32_e32 v93, v91
	v_mul_f32_e32 v97, 0x3fb8aa3b, v96
	v_exp_f32_e32 v86, v86
	v_fma_f32 v99, s18, v127, -v81
	s_delay_alu instid0(VALU_DEP_2) | instskip(SKIP_2) | instid1(TRANS32_DEP_3)
	v_exp_f32_e32 v97, v97
	v_cndmask_b32_e64 v91, 0, v82, s6
	v_dual_add_f32 v82, v84, v92 :: v_dual_mul_f32 v85, 0x3fb8aa3b, v85
	v_cndmask_b32_e64 v94, 0, v93, s7
	v_fma_f32 v84, s18, v123, -v81
	s_delay_alu instid0(TRANS32_DEP_2) | instskip(NEXT) | instid1(VALU_DEP_4)
	v_cndmask_b32_e64 v96, 0, v86, s9
	v_add_f32_e32 v82, v82, v91
	v_exp_f32_e32 v85, v85
	v_fma_f32 v86, s18, v126, -v81
	v_mul_f32_e32 v84, 0x3fb8aa3b, v84
	v_cndmask_b32_e64 v97, 0, v97, s12
	v_add_f32_e32 v82, v82, v94
	s_delay_alu instid0(VALU_DEP_3) | instskip(SKIP_3) | instid1(VALU_DEP_2)
	v_exp_f32_e32 v84, v84
	s_waitcnt_depctr 0xfff
	v_cndmask_b32_e64 v93, 0, v85, s8
	v_fma_f32 v85, s18, v125, -v81
	v_add_f32_e32 v82, v82, v93
	v_exp_f32_e32 v95, v95
	s_delay_alu instid0(VALU_DEP_2)
	v_mul_f32_e32 v85, 0x3fb8aa3b, v85
	v_cndmask_b32_e64 v98, 0, v84, s11
	v_mul_f32_e32 v84, 0x3fb8aa3b, v99
	v_add_f32_e32 v82, v82, v96
	v_fma_f32 v99, s18, v128, -v81
	v_exp_f32_e32 v85, v85
	v_mul_f32_e32 v86, 0x3fb8aa3b, v86
	v_exp_f32_e32 v84, v84
	s_delay_alu instid0(TRANS32_DEP_3) | instskip(NEXT) | instid1(VALU_DEP_1)
	v_cndmask_b32_e64 v95, 0, v95, s10
	v_add_f32_e32 v82, v82, v95
	s_waitcnt_depctr 0xfff
	v_cndmask_b32_e64 v100, 0, v85, s13
	v_mul_f32_e32 v85, 0x3fb8aa3b, v99
	v_exp_f32_e32 v86, v86
	v_cndmask_b32_e64 v102, 0, v84, s16
	v_add_f32_e32 v82, v82, v98
	s_delay_alu instid0(VALU_DEP_3) | instskip(NEXT) | instid1(VALU_DEP_1)
	v_exp_f32_e32 v85, v85
	v_add_f32_e32 v82, v82, v97
	s_waitcnt_depctr 0xfff
	v_cndmask_b32_e64 v99, 0, v86, s15
	v_add_f32_e32 v82, v82, v100
	v_cndmask_b32_e64 v101, 0, v85, s17
	s_delay_alu instid0(VALU_DEP_2) | instskip(NEXT) | instid1(VALU_DEP_1)
	v_add_f32_e32 v82, v82, v99
	v_add_f32_e32 v82, v82, v102
	s_delay_alu instid0(VALU_DEP_1)
	v_add_f32_e32 v82, v82, v101
	ds_bpermute_b32 v83, v83, v82
	s_and_saveexec_b32 s3, s2
	s_cbranch_execz .LBB318_14
; %bb.13:
	v_mul_u32_u24_e32 v80, 0x44, v78
	s_waitcnt lgkmcnt(0)
	v_add_f32_e32 v82, v82, v83
	s_delay_alu instid0(VALU_DEP_2) | instskip(NEXT) | instid1(VALU_DEP_1)
	v_lshl_add_u32 v80, v77, 2, v80
	v_add_nc_u32_e32 v80, 0x4000, v80
	ds_store_2addr_b32 v80, v81, v82 offset1:136
.LBB318_14:
	s_or_b32 exec_lo, exec_lo, s3
	v_lshlrev_b32_e32 v80, 2, v77
	s_load_b32 s35, s[0:1], 0x94
	s_waitcnt lgkmcnt(0)
	s_barrier
	buffer_gl0_inv
	v_add_nc_u32_e32 v84, 0x4000, v80
	v_cmp_eq_u32_e32 vcc_lo, 1, v78
	v_cmp_eq_u32_e64 s3, 2, v78
	v_cmp_eq_u32_e64 s4, 3, v78
	;; [unrolled: 1-line block ×3, first 2 shown]
	ds_load_2addr_b32 v[80:81], v84 offset1:17
	ds_load_2addr_b32 v[82:83], v84 offset0:34 offset1:51
	ds_load_2addr_b32 v[103:104], v84 offset0:68 offset1:85
	;; [unrolled: 1-line block ×3, first 2 shown]
	v_cmp_eq_u32_e64 s6, 7, v78
	s_waitcnt lgkmcnt(3)
	v_max3_f32 v85, v80, 0xff7fffff, v81
	s_waitcnt lgkmcnt(2)
	s_delay_alu instid0(VALU_DEP_1) | instskip(SKIP_1) | instid1(VALU_DEP_1)
	v_max3_f32 v85, v85, v82, v83
	s_waitcnt lgkmcnt(1)
	v_max3_f32 v85, v85, v103, v104
	s_waitcnt lgkmcnt(0)
	s_delay_alu instid0(VALU_DEP_1) | instskip(NEXT) | instid1(VALU_DEP_1)
	v_max3_f32 v85, v85, v105, v106
	v_sub_f32_e32 v103, v103, v85
	ds_load_2addr_b32 v[107:108], v84 offset0:136 offset1:153
	v_sub_f32_e32 v80, v80, v85
	v_dual_sub_f32 v110, v83, v85 :: v_dual_mul_f32 v113, 0x3fb8aa3b, v103
	s_delay_alu instid0(VALU_DEP_2) | instskip(SKIP_3) | instid1(VALU_DEP_1)
	v_dual_sub_f32 v86, v81, v85 :: v_dual_mul_f32 v109, 0x3fb8aa3b, v80
	ds_load_2addr_b32 v[80:81], v84 offset0:170 offset1:187
	v_mul_f32_e32 v86, 0x3fb8aa3b, v86
	v_exp_f32_e32 v109, v109
	v_exp_f32_e32 v112, v86
	v_mul_f32_e32 v110, 0x3fb8aa3b, v110
	s_waitcnt lgkmcnt(1)
	s_waitcnt_depctr 0xfff
	v_fma_f32 v86, v109, v107, 0
	v_sub_f32_e32 v107, v104, v85
	v_sub_f32_e32 v82, v82, v85
	v_exp_f32_e32 v110, v110
	ds_load_2addr_b32 v[103:104], v84 offset0:238 offset1:255
	v_dual_fmac_f32 v86, v112, v108 :: v_dual_mul_f32 v111, 0x3fb8aa3b, v82
	ds_load_2addr_b32 v[82:83], v84 offset0:204 offset1:221
	v_dual_sub_f32 v84, v105, v85 :: v_dual_mul_f32 v105, 0x3fb8aa3b, v107
	v_exp_f32_e32 v107, v113
	v_exp_f32_e32 v111, v111
	s_waitcnt lgkmcnt(0)
	s_delay_alu instid0(VALU_DEP_1)
	v_mul_f32_e32 v84, 0x3fb8aa3b, v84
	v_exp_f32_e32 v105, v105
	s_barrier
	buffer_gl0_inv
	v_fmac_f32_e32 v86, v111, v80
	v_sub_f32_e32 v80, v106, v85
	v_exp_f32_e32 v106, v84
	s_delay_alu instid0(VALU_DEP_2) | instskip(NEXT) | instid1(VALU_DEP_2)
	v_fmac_f32_e32 v86, v110, v81
	v_mul_f32_e32 v80, 0x3fb8aa3b, v80
	s_delay_alu instid0(VALU_DEP_2) | instskip(NEXT) | instid1(VALU_DEP_2)
	v_dual_cndmask_b32 v81, v109, v112 :: v_dual_fmac_f32 v86, v107, v82
	v_exp_f32_e32 v108, v80
	s_delay_alu instid0(VALU_DEP_1) | instskip(SKIP_2) | instid1(VALU_DEP_1)
	v_fmac_f32_e32 v86, v105, v83
	s_waitcnt_depctr 0xfff
	v_fmac_f32_e32 v86, v106, v103
	v_fmac_f32_e32 v86, v108, v104
	s_delay_alu instid0(VALU_DEP_1) | instskip(NEXT) | instid1(VALU_DEP_1)
	v_add_f32_e32 v103, 0x358637bd, v86
	v_div_scale_f32 v104, null, v103, v103, 1.0
	v_div_scale_f32 v109, vcc_lo, 1.0, v103, 1.0
	s_delay_alu instid0(VALU_DEP_2) | instskip(SKIP_2) | instid1(VALU_DEP_1)
	v_rcp_f32_e32 v113, v104
	s_waitcnt_depctr 0xfff
	v_fma_f32 v80, -v104, v113, 1.0
	v_fmac_f32_e32 v113, v80, v113
	v_cndmask_b32_e64 v80, v81, v111, s3
	v_cmp_eq_u32_e64 s3, 4, v78
	v_lshl_or_b32 v81, v78, 11, v79
	s_delay_alu instid0(VALU_DEP_4) | instskip(NEXT) | instid1(VALU_DEP_4)
	v_mul_f32_e32 v111, v109, v113
	v_cndmask_b32_e64 v82, v80, v110, s4
	v_cmp_eq_u32_e64 s4, 6, v78
	s_delay_alu instid0(VALU_DEP_4) | instskip(SKIP_3) | instid1(VALU_DEP_3)
	v_lshl_or_b32 v78, v75, 4, v81
	v_lshlrev_b32_e32 v80, 2, v75
	v_fma_f32 v83, -v104, v111, v109
	v_cndmask_b32_e64 v84, v82, v107, s3
	v_or_b32_e32 v82, 1, v80
	s_delay_alu instid0(VALU_DEP_3) | instskip(NEXT) | instid1(VALU_DEP_3)
	v_fmac_f32_e32 v111, v83, v113
	v_cndmask_b32_e64 v105, v84, v105, s5
	v_or_b32_e32 v84, 2, v80
	v_or_b32_e32 v83, 3, v80
	v_cmp_eq_u32_e64 s3, 1, v80
	v_fma_f32 v104, -v104, v111, v109
	v_cndmask_b32_e64 v105, v105, v106, s4
	v_cmp_eq_u32_e64 s9, 1, v82
	v_cmp_eq_u32_e64 s10, 1, v84
	;; [unrolled: 1-line block ×3, first 2 shown]
	v_div_fmas_f32 v104, v104, v113, v111
	v_cndmask_b32_e64 v105, v105, v108, s6
	v_cmp_eq_u32_e32 vcc_lo, 2, v80
	v_cmp_eq_u32_e64 s12, 2, v82
	v_cmp_eq_u32_e64 s15, 2, v84
	v_div_fixup_f32 v103, v104, v103, 1.0
	v_cmp_eq_u32_e64 s16, 2, v83
	v_cmp_eq_u32_e64 s18, 3, v83
	;; [unrolled: 1-line block ×4, first 2 shown]
	v_mul_f32_e32 v111, v105, v103
	v_cmp_eq_u32_e64 s17, 3, v84
	v_cmp_eq_u32_e64 s22, 4, v83
	;; [unrolled: 1-line block ×4, first 2 shown]
	v_fma_mixlo_f16 v103, v111, v88, 0
	v_fma_mixlo_f16 v104, v111, v90, 0
	v_fma_mixlo_f16 v105, v111, v92, 0
	v_fma_mixlo_f16 v106, v111, v94, 0
	v_fma_mixlo_f16 v107, v111, v96, 0
	v_fma_mixlo_f16 v108, v111, v98, 0
	v_fma_mixlo_f16 v109, v111, v100, 0
	v_fma_mixlo_f16 v110, v111, v102, 0
	v_fma_mixhi_f16 v103, v111, v87, 0
	v_fma_mixhi_f16 v104, v111, v89, 0
	;; [unrolled: 1-line block ×8, first 2 shown]
	ds_store_b128 v78, v[103:106]
	ds_store_b128 v78, v[107:110] offset:1024
	s_waitcnt lgkmcnt(0)
	s_barrier
	buffer_gl0_inv
	ds_load_b128 v[87:90], v81
	ds_load_b128 v[91:94], v81 offset:16
	ds_load_b128 v[95:98], v81 offset:1024
	;; [unrolled: 1-line block ×3, first 2 shown]
	v_cmp_eq_u32_e64 s21, 4, v84
	v_cmp_eq_u32_e64 s24, 5, v83
	;; [unrolled: 1-line block ×13, first 2 shown]
	s_waitcnt lgkmcnt(3)
	v_lshrrev_b32_e32 v103, 16, v87
	s_waitcnt lgkmcnt(2)
	v_lshrrev_b32_e32 v107, 16, v91
	;; [unrolled: 2-line block ×4, first 2 shown]
	v_lshrrev_b32_e32 v104, 16, v88
	v_cndmask_b32_e64 v119, v87, v103, s3
	v_cndmask_b32_e64 v120, v91, v107, s3
	;; [unrolled: 1-line block ×8, first 2 shown]
	v_lshrrev_b32_e32 v108, 16, v92
	v_cndmask_b32_e64 v103, v95, v111, s3
	v_cndmask_b32_e64 v107, v99, v115, s3
	;; [unrolled: 1-line block ×5, first 2 shown]
	v_cndmask_b32_e32 v111, v119, v88, vcc_lo
	v_cndmask_b32_e64 v119, v121, v88, s12
	v_cndmask_b32_e64 v121, v123, v88, s15
	;; [unrolled: 1-line block ×4, first 2 shown]
	v_lshrrev_b32_e32 v112, 16, v96
	v_lshrrev_b32_e32 v116, 16, v100
	v_cndmask_b32_e64 v126, v99, v115, s9
	v_cndmask_b32_e64 v128, v99, v115, s10
	;; [unrolled: 1-line block ×3, first 2 shown]
	v_cndmask_b32_e32 v115, v120, v92, vcc_lo
	v_cndmask_b32_e64 v120, v122, v92, s12
	v_cndmask_b32_e64 v122, v124, v92, s15
	v_cndmask_b32_e32 v91, v103, v96, vcc_lo
	v_cndmask_b32_e32 v92, v107, v100, vcc_lo
	v_cndmask_b32_e64 v103, v125, v96, s12
	v_cndmask_b32_e64 v87, v87, v104, s18
	v_cndmask_b32_e64 v88, v88, v108, s18
	v_lshrrev_b32_e32 v105, 16, v89
	v_lshrrev_b32_e32 v109, 16, v93
	v_cndmask_b32_e64 v107, v127, v96, s15
	v_cndmask_b32_e64 v95, v95, v96, s16
	;; [unrolled: 1-line block ×14, first 2 shown]
	v_lshrrev_b32_e32 v113, 16, v97
	v_cndmask_b32_e64 v99, v99, v89, s5
	v_cndmask_b32_e64 v104, v111, v93, s5
	;; [unrolled: 1-line block ×11, first 2 shown]
	v_lshrrev_b32_e32 v106, 16, v90
	v_lshrrev_b32_e32 v110, 16, v94
	v_cndmask_b32_e64 v93, v99, v105, s6
	v_cndmask_b32_e64 v99, v104, v109, s6
	v_cndmask_b32_e64 v103, v108, v105, s20
	v_cndmask_b32_e64 v104, v111, v109, s20
	v_cndmask_b32_e64 v108, v115, v105, s23
	v_cndmask_b32_e64 v111, v119, v109, s23
	v_cndmask_b32_e64 v92, v92, v113, s20
	v_cndmask_b32_e64 v87, v87, v90, s27
	v_cndmask_b32_e64 v88, v88, v94, s27
	v_lshrrev_b32_e32 v114, 16, v98
	v_cndmask_b32_e64 v89, v89, v113, s6
	v_cndmask_b32_e64 v93, v93, v90, s7
	;; [unrolled: 1-line block ×19, first 2 shown]
	v_perm_b32 v90, v88, v87, 0x5040100
	v_cndmask_b32_e64 v87, v126, v100, s12
	v_cndmask_b32_e64 v105, v89, v114, s8
	v_perm_b32 v89, v103, v99, 0x5040100
	v_perm_b32 v88, v104, v94, 0x5040100
	v_cndmask_b32_e64 v94, v107, v112, s17
	v_cndmask_b32_e64 v95, v95, v112, s18
	;; [unrolled: 1-line block ×5, first 2 shown]
	v_lshrrev_b32_e32 v117, 16, v101
	v_cndmask_b32_e64 v94, v94, v97, s21
	v_cndmask_b32_e64 v95, v95, v97, s22
	;; [unrolled: 1-line block ×11, first 2 shown]
	v_lshrrev_b32_e32 v118, 16, v102
	v_cndmask_b32_e64 v91, v91, v102, s7
	v_cndmask_b32_e64 v94, v94, v98, s26
	;; [unrolled: 1-line block ×12, first 2 shown]
	v_perm_b32 v87, v93, v92, 0x5040100
	v_perm_b32 v94, v95, v94, 0x5040100
	;; [unrolled: 1-line block ×5, first 2 shown]
	s_mul_i32 s7, s33, 13
	s_mov_b32 s3, exec_lo
	ds_store_b128 v78, v[87:90]
	ds_store_b128 v78, v[91:94] offset:1024
	v_cmpx_gt_u32_e32 13, v0
	s_cbranch_execz .LBB318_16
; %bb.15:
	s_mul_i32 s4, s7, s34
	s_load_b128 s[8:11], s[0:1], 0x58
	v_add3_u32 v77, s4, s31, v77
	s_delay_alu instid0(VALU_DEP_1) | instskip(NEXT) | instid1(VALU_DEP_1)
	v_mad_u64_u32 v[87:88], null, v77, s35, s[14:15]
	v_ashrrev_i32_e32 v88, 31, v87
	s_delay_alu instid0(VALU_DEP_1) | instskip(SKIP_1) | instid1(VALU_DEP_1)
	v_lshlrev_b64 v[87:88], 2, v[87:88]
	s_waitcnt lgkmcnt(0)
	v_add_co_u32 v89, vcc_lo, s10, v87
	s_delay_alu instid0(VALU_DEP_2)
	v_add_co_ci_u32_e32 v90, vcc_lo, s11, v88, vcc_lo
	v_add_co_u32 v87, vcc_lo, s8, v87
	v_add_co_ci_u32_e32 v88, vcc_lo, s9, v88, vcc_lo
	global_store_b32 v[89:90], v85, off
	global_store_b32 v[87:88], v86, off
.LBB318_16:
	s_or_b32 exec_lo, exec_lo, s3
	s_waitcnt lgkmcnt(0)
	s_waitcnt_vscnt null, 0x0
	s_barrier
	buffer_gl0_inv
	ds_load_b128 v[93:96], v79
	ds_load_b128 v[97:100], v79 offset:16
	ds_load_b128 v[105:108], v79 offset:1040
	;; [unrolled: 1-line block ×5, first 2 shown]
	v_cmp_eq_u32_e32 vcc_lo, 1, v84
	v_mov_b32_e32 v85, 0
	ds_load_b128 v[121:124], v79 offset:3088
	ds_load_b128 v[117:120], v79 offset:3072
	;; [unrolled: 1-line block ×4, first 2 shown]
	v_cmp_eq_u32_e64 s3, 1, v80
	v_cmp_eq_u32_e64 s4, 1, v83
	;; [unrolled: 1-line block ×3, first 2 shown]
	v_mov_b32_e32 v86, v85
	v_mov_b32_e32 v87, v85
	;; [unrolled: 1-line block ×7, first 2 shown]
	v_cmp_eq_u32_e64 s6, 2, v80
	s_waitcnt lgkmcnt(8)
	s_delay_alu instid0(VALU_DEP_2)
	v_wmma_f32_16x16x16_f16 v[85:92], v[65:72], v[93:100], v[85:92]
	ds_load_b128 v[69:72], v79 offset:5136
	ds_load_b128 v[65:68], v79 offset:5120
	;; [unrolled: 1-line block ×4, first 2 shown]
	s_waitcnt lgkmcnt(10)
	v_wmma_f32_16x16x16_f16 v[85:92], v[57:64], v[101:108], v[85:92]
	s_waitcnt lgkmcnt(8)
	s_delay_alu instid0(VALU_DEP_1)
	v_wmma_f32_16x16x16_f16 v[85:92], v[57:64], v[109:116], v[85:92]
	ds_load_b128 v[61:64], v79 offset:7184
	ds_load_b128 v[57:60], v79 offset:7168
	;; [unrolled: 1-line block ×4, first 2 shown]
	s_waitcnt lgkmcnt(10)
	v_wmma_f32_16x16x16_f16 v[85:92], v[49:56], v[117:124], v[85:92]
	s_waitcnt lgkmcnt(8)
	s_delay_alu instid0(VALU_DEP_1)
	v_wmma_f32_16x16x16_f16 v[85:92], v[49:56], v[125:132], v[85:92]
	ds_load_b128 v[53:56], v79 offset:9232
	ds_load_b128 v[49:52], v79 offset:9216
	s_waitcnt lgkmcnt(8)
	v_wmma_f32_16x16x16_f16 v[85:92], v[41:48], v[65:72], v[85:92]
	ds_load_b128 v[69:72], v79 offset:10256
	ds_load_b128 v[65:68], v79 offset:10240
	s_waitcnt lgkmcnt(8)
	;; [unrolled: 4-line block ×7, first 2 shown]
	s_barrier
	buffer_gl0_inv
	v_wmma_f32_16x16x16_f16 v[85:92], v[33:40], v[41:48], v[85:92]
	s_delay_alu instid0(VALU_DEP_1) | instskip(NEXT) | instid1(VALU_DEP_1)
	v_wmma_f32_16x16x16_f16 v[85:92], v[33:40], v[57:64], v[85:92]
	v_wmma_f32_16x16x16_f16 v[85:92], v[25:32], v[9:16], v[85:92]
	s_delay_alu instid0(VALU_DEP_1) | instskip(NEXT) | instid1(VALU_DEP_1)
	v_wmma_f32_16x16x16_f16 v[85:92], v[25:32], v[49:56], v[85:92]
	v_wmma_f32_16x16x16_f16 v[85:92], v[17:24], v[1:8], v[85:92]
	s_delay_alu instid0(VALU_DEP_1) | instskip(NEXT) | instid1(VALU_DEP_2)
	v_cvt_f16_f32_e32 v1, v85
	v_cvt_f16_f32_e32 v2, v86
	s_delay_alu instid0(VALU_DEP_3) | instskip(NEXT) | instid1(VALU_DEP_4)
	v_cvt_f16_f32_e32 v3, v87
	v_cvt_f16_f32_e32 v4, v88
	;; [unrolled: 1-line block ×6, first 2 shown]
	v_pack_b32_f16 v1, v1, v2
	v_pack_b32_f16 v2, v3, v4
	;; [unrolled: 1-line block ×3, first 2 shown]
	s_delay_alu instid0(VALU_DEP_4)
	v_pack_b32_f16 v4, v7, v8
	ds_store_b128 v78, v[1:4]
	s_waitcnt lgkmcnt(0)
	s_barrier
	buffer_gl0_inv
	ds_load_b128 v[1:4], v81
	ds_load_b128 v[5:8], v81 offset:16
	s_waitcnt lgkmcnt(1)
	v_lshrrev_b32_e32 v9, 16, v1
	s_waitcnt lgkmcnt(0)
	v_lshrrev_b32_e32 v13, 16, v5
	v_lshrrev_b32_e32 v15, 16, v7
	;; [unrolled: 1-line block ×4, first 2 shown]
	v_cndmask_b32_e64 v17, v1, v9, s3
	v_cndmask_b32_e64 v18, v5, v13, s3
	;; [unrolled: 1-line block ×3, first 2 shown]
	v_cmp_eq_u32_e64 s3, 2, v82
	v_cndmask_b32_e64 v20, v5, v13, s5
	v_cndmask_b32_e32 v21, v1, v9, vcc_lo
	v_cndmask_b32_e32 v22, v5, v13, vcc_lo
	v_cndmask_b32_e64 v1, v1, v9, s4
	v_cndmask_b32_e64 v5, v5, v13, s4
	v_cmp_eq_u32_e32 vcc_lo, 2, v84
	v_cmp_eq_u32_e64 s4, 2, v83
	v_cndmask_b32_e64 v9, v17, v2, s6
	v_cndmask_b32_e64 v13, v18, v6, s6
	;; [unrolled: 1-line block ×4, first 2 shown]
	v_cndmask_b32_e32 v19, v21, v2, vcc_lo
	v_cmp_eq_u32_e64 s3, 3, v84
	v_cndmask_b32_e32 v20, v22, v6, vcc_lo
	v_cndmask_b32_e64 v1, v1, v2, s4
	v_cmp_eq_u32_e32 vcc_lo, 3, v83
	v_cmp_eq_u32_e64 s5, 3, v80
	v_cndmask_b32_e64 v2, v5, v6, s4
	v_cmp_eq_u32_e64 s4, 3, v82
	v_lshrrev_b32_e32 v16, 16, v8
	v_cmp_eq_u32_e64 s6, 4, v80
	v_cndmask_b32_e64 v5, v9, v10, s5
	v_cndmask_b32_e64 v6, v13, v14, s5
	;; [unrolled: 1-line block ×3, first 2 shown]
	v_cmp_eq_u32_e64 s5, 4, v82
	v_cndmask_b32_e64 v13, v18, v14, s4
	v_cndmask_b32_e64 v17, v19, v10, s3
	;; [unrolled: 1-line block ×3, first 2 shown]
	v_cndmask_b32_e32 v1, v1, v10, vcc_lo
	v_cndmask_b32_e32 v2, v2, v14, vcc_lo
	v_cmp_eq_u32_e32 vcc_lo, 4, v84
	v_cmp_eq_u32_e64 s4, 4, v83
	v_lshrrev_b32_e32 v11, 16, v3
	v_cndmask_b32_e64 v5, v5, v3, s6
	v_cndmask_b32_e64 v6, v6, v7, s6
	;; [unrolled: 1-line block ×4, first 2 shown]
	v_cndmask_b32_e32 v13, v17, v3, vcc_lo
	v_cmp_eq_u32_e64 s3, 5, v84
	v_cndmask_b32_e32 v14, v18, v7, vcc_lo
	v_cndmask_b32_e64 v1, v1, v3, s4
	v_cmp_eq_u32_e32 vcc_lo, 5, v83
	v_cmp_eq_u32_e64 s5, 5, v80
	v_cndmask_b32_e64 v2, v2, v7, s4
	v_cmp_eq_u32_e64 s4, 5, v82
	v_cmp_eq_u32_e64 s6, 6, v80
	v_cndmask_b32_e32 v1, v1, v11, vcc_lo
	v_cndmask_b32_e64 v3, v5, v11, s5
	v_cndmask_b32_e64 v5, v6, v15, s5
	;; [unrolled: 1-line block ×3, first 2 shown]
	v_cmp_eq_u32_e64 s5, 6, v82
	v_cndmask_b32_e64 v7, v10, v15, s4
	v_cndmask_b32_e64 v9, v13, v11, s3
	;; [unrolled: 1-line block ×3, first 2 shown]
	v_cndmask_b32_e32 v2, v2, v15, vcc_lo
	v_cmp_eq_u32_e32 vcc_lo, 6, v84
	v_cmp_eq_u32_e64 s3, 6, v83
	v_lshrrev_b32_e32 v12, 16, v4
	v_cndmask_b32_e64 v3, v3, v4, s6
	v_cndmask_b32_e64 v5, v5, v8, s6
	;; [unrolled: 1-line block ×4, first 2 shown]
	v_cndmask_b32_e32 v9, v9, v4, vcc_lo
	v_cmp_eq_u32_e64 s4, 7, v84
	v_cndmask_b32_e32 v10, v10, v8, vcc_lo
	v_cndmask_b32_e64 v1, v1, v4, s3
	v_cmp_eq_u32_e32 vcc_lo, 7, v83
	v_cndmask_b32_e64 v2, v2, v8, s3
	v_cmp_eq_u32_e64 s3, 7, v80
	v_cmp_eq_u32_e64 s5, 7, v82
	v_cndmask_b32_e32 v1, v1, v12, vcc_lo
	s_delay_alu instid0(VALU_DEP_4) | instskip(NEXT) | instid1(VALU_DEP_4)
	v_cndmask_b32_e32 v2, v2, v16, vcc_lo
	v_cndmask_b32_e64 v8, v3, v12, s3
	s_delay_alu instid0(VALU_DEP_4)
	v_cndmask_b32_e64 v6, v6, v12, s5
	v_cndmask_b32_e64 v3, v9, v12, s4
	;; [unrolled: 1-line block ×5, first 2 shown]
	v_perm_b32 v4, v2, v1, 0x5040100
	s_mov_b32 s3, exec_lo
	v_perm_b32 v3, v9, v3, 0x5040100
	v_perm_b32 v2, v7, v6, 0x5040100
	;; [unrolled: 1-line block ×3, first 2 shown]
	ds_store_b128 v78, v[1:4]
	s_waitcnt lgkmcnt(0)
	s_barrier
	buffer_gl0_inv
	v_cmpx_gt_u32_e32 32, v0
	s_cbranch_execz .LBB318_2
; %bb.17:
	s_load_b64 s[4:5], s[0:1], 0x68
	v_lshlrev_b32_e32 v0, 10, v0
	v_lshlrev_b32_e32 v1, 4, v76
	s_lshl_b32 s0, s35, 7
	v_add_nc_u32_e32 v18, s31, v75
	s_mul_i32 s1, s0, s34
	s_delay_alu instid0(VALU_DEP_2) | instskip(SKIP_1) | instid1(VALU_DEP_2)
	v_and_or_b32 v0, 0x3800, v0, v1
	s_mul_i32 s6, s1, s7
	v_mul_lo_u32 v1, v18, s0
	s_ashr_i32 s7, s6, 31
	v_add_nc_u32_e32 v2, 2, v18
	v_lshl_or_b32 v19, v75, 6, v0
	s_lshl_b64 s[6:7], s[6:7], 1
	v_add_nc_u32_e32 v8, 4, v18
	v_add_nc_u32_e32 v15, 6, v18
	v_mul_lo_u32 v7, v2, s0
	ds_load_b128 v[3:6], v19
	v_ashrrev_i32_e32 v2, 31, v1
	v_mul_lo_u32 v11, v8, s0
	s_waitcnt lgkmcnt(0)
	s_add_u32 s1, s4, s6
	s_addc_u32 s3, s5, s7
	s_lshl_b32 s4, s14, 7
	v_lshlrev_b64 v[9:10], 1, v[1:2]
	s_ashr_i32 s5, s4, 31
	v_ashrrev_i32_e32 v8, 31, v7
	s_lshl_b64 s[4:5], s[4:5], 1
	v_ashrrev_i32_e32 v12, 31, v11
	s_add_u32 s1, s1, s4
	s_addc_u32 s3, s3, s5
	v_add_co_u32 v1, vcc_lo, s1, v73
	v_add_co_ci_u32_e32 v2, vcc_lo, s3, v74, vcc_lo
	v_mul_lo_u32 v15, v15, s0
	s_delay_alu instid0(VALU_DEP_3) | instskip(NEXT) | instid1(VALU_DEP_3)
	v_add_co_u32 v13, vcc_lo, v1, v9
	v_add_co_ci_u32_e32 v14, vcc_lo, v2, v10, vcc_lo
	v_lshlrev_b64 v[16:17], 1, v[7:8]
	ds_load_b128 v[7:10], v19 offset:128
	global_store_b128 v[13:14], v[3:6], off
	v_add_nc_u32_e32 v5, 8, v18
	v_lshlrev_b64 v[3:4], 1, v[11:12]
	v_add_co_u32 v23, vcc_lo, v1, v16
	v_ashrrev_i32_e32 v16, 31, v15
	s_delay_alu instid0(VALU_DEP_4) | instskip(SKIP_3) | instid1(VALU_DEP_3)
	v_mul_lo_u32 v25, v5, s0
	v_add_nc_u32_e32 v5, 10, v18
	v_add_co_ci_u32_e32 v24, vcc_lo, v2, v17, vcc_lo
	v_add_co_u32 v27, vcc_lo, v1, v3
	v_mul_lo_u32 v29, v5, s0
	v_add_co_ci_u32_e32 v28, vcc_lo, v2, v4, vcc_lo
	v_lshlrev_b64 v[31:32], 1, v[15:16]
	ds_load_b128 v[3:6], v19 offset:256
	ds_load_b128 v[11:14], v19 offset:384
	;; [unrolled: 1-line block ×4, first 2 shown]
	v_ashrrev_i32_e32 v26, 31, v25
	v_ashrrev_i32_e32 v30, 31, v29
	v_add_co_u32 v31, vcc_lo, v1, v31
	s_delay_alu instid0(VALU_DEP_3) | instskip(SKIP_1) | instid1(VALU_DEP_4)
	v_lshlrev_b64 v[25:26], 1, v[25:26]
	v_add_co_ci_u32_e32 v32, vcc_lo, v2, v32, vcc_lo
	v_lshlrev_b64 v[29:30], 1, v[29:30]
	s_delay_alu instid0(VALU_DEP_3) | instskip(NEXT) | instid1(VALU_DEP_4)
	v_add_co_u32 v25, vcc_lo, v1, v25
	v_add_co_ci_u32_e32 v26, vcc_lo, v2, v26, vcc_lo
	s_delay_alu instid0(VALU_DEP_3) | instskip(NEXT) | instid1(VALU_DEP_4)
	v_add_co_u32 v29, vcc_lo, v1, v29
	v_add_co_ci_u32_e32 v30, vcc_lo, v2, v30, vcc_lo
	s_waitcnt lgkmcnt(4)
	global_store_b128 v[23:24], v[7:10], off
	s_waitcnt lgkmcnt(3)
	global_store_b128 v[27:28], v[3:6], off
	;; [unrolled: 2-line block ×5, first 2 shown]
	s_and_b32 exec_lo, exec_lo, s2
	s_cbranch_execz .LBB318_2
; %bb.18:
	ds_load_b128 v[3:6], v0 offset:768
	s_add_i32 s1, s31, 12
	s_delay_alu instid0(SALU_CYCLE_1) | instskip(NEXT) | instid1(SALU_CYCLE_1)
	s_mul_i32 s0, s1, s0
	s_ashr_i32 s1, s0, 31
	s_delay_alu instid0(SALU_CYCLE_1) | instskip(NEXT) | instid1(SALU_CYCLE_1)
	s_lshl_b64 s[0:1], s[0:1], 1
	v_add_co_u32 v0, vcc_lo, v1, s0
	v_add_co_ci_u32_e32 v1, vcc_lo, s1, v2, vcc_lo
	s_waitcnt lgkmcnt(0)
	global_store_b128 v[0:1], v[3:6], off
	s_nop 0
	s_sendmsg sendmsg(MSG_DEALLOC_VGPRS)
	s_endpgm
	.section	.rodata,"a",@progbits
	.p2align	6, 0x0
	.amdhsa_kernel _Z39paged_attention_ll4mi_QKV_mfma16_kernelIDF16_DF16_LN4vllm18Fp8KVCacheDataTypeE0EhLi32ELi128ELi256ELb1ELi13EL8MFMAType0EEvPKT_PKT0_S8_ifPKiSA_SA_iPKfiiiPfSD_PS3_PT2_iSC_SC_
		.amdhsa_group_segment_fixed_size 17472
		.amdhsa_private_segment_fixed_size 0
		.amdhsa_kernarg_size 400
		.amdhsa_user_sgpr_count 13
		.amdhsa_user_sgpr_dispatch_ptr 0
		.amdhsa_user_sgpr_queue_ptr 0
		.amdhsa_user_sgpr_kernarg_segment_ptr 1
		.amdhsa_user_sgpr_dispatch_id 0
		.amdhsa_user_sgpr_private_segment_size 0
		.amdhsa_wavefront_size32 1
		.amdhsa_uses_dynamic_stack 0
		.amdhsa_enable_private_segment 0
		.amdhsa_system_sgpr_workgroup_id_x 1
		.amdhsa_system_sgpr_workgroup_id_y 1
		.amdhsa_system_sgpr_workgroup_id_z 1
		.amdhsa_system_sgpr_workgroup_info 0
		.amdhsa_system_vgpr_workitem_id 0
		.amdhsa_next_free_vgpr 172
		.amdhsa_next_free_sgpr 39
		.amdhsa_reserve_vcc 1
		.amdhsa_float_round_mode_32 0
		.amdhsa_float_round_mode_16_64 0
		.amdhsa_float_denorm_mode_32 3
		.amdhsa_float_denorm_mode_16_64 3
		.amdhsa_dx10_clamp 1
		.amdhsa_ieee_mode 1
		.amdhsa_fp16_overflow 0
		.amdhsa_workgroup_processor_mode 1
		.amdhsa_memory_ordered 1
		.amdhsa_forward_progress 0
		.amdhsa_shared_vgpr_count 0
		.amdhsa_exception_fp_ieee_invalid_op 0
		.amdhsa_exception_fp_denorm_src 0
		.amdhsa_exception_fp_ieee_div_zero 0
		.amdhsa_exception_fp_ieee_overflow 0
		.amdhsa_exception_fp_ieee_underflow 0
		.amdhsa_exception_fp_ieee_inexact 0
		.amdhsa_exception_int_div_zero 0
	.end_amdhsa_kernel
	.section	.text._Z39paged_attention_ll4mi_QKV_mfma16_kernelIDF16_DF16_LN4vllm18Fp8KVCacheDataTypeE0EhLi32ELi128ELi256ELb1ELi13EL8MFMAType0EEvPKT_PKT0_S8_ifPKiSA_SA_iPKfiiiPfSD_PS3_PT2_iSC_SC_,"axG",@progbits,_Z39paged_attention_ll4mi_QKV_mfma16_kernelIDF16_DF16_LN4vllm18Fp8KVCacheDataTypeE0EhLi32ELi128ELi256ELb1ELi13EL8MFMAType0EEvPKT_PKT0_S8_ifPKiSA_SA_iPKfiiiPfSD_PS3_PT2_iSC_SC_,comdat
.Lfunc_end318:
	.size	_Z39paged_attention_ll4mi_QKV_mfma16_kernelIDF16_DF16_LN4vllm18Fp8KVCacheDataTypeE0EhLi32ELi128ELi256ELb1ELi13EL8MFMAType0EEvPKT_PKT0_S8_ifPKiSA_SA_iPKfiiiPfSD_PS3_PT2_iSC_SC_, .Lfunc_end318-_Z39paged_attention_ll4mi_QKV_mfma16_kernelIDF16_DF16_LN4vllm18Fp8KVCacheDataTypeE0EhLi32ELi128ELi256ELb1ELi13EL8MFMAType0EEvPKT_PKT0_S8_ifPKiSA_SA_iPKfiiiPfSD_PS3_PT2_iSC_SC_
                                        ; -- End function
	.section	.AMDGPU.csdata,"",@progbits
; Kernel info:
; codeLenInByte = 7708
; NumSgprs: 41
; NumVgprs: 172
; ScratchSize: 0
; MemoryBound: 0
; FloatMode: 240
; IeeeMode: 1
; LDSByteSize: 17472 bytes/workgroup (compile time only)
; SGPRBlocks: 5
; VGPRBlocks: 21
; NumSGPRsForWavesPerEU: 41
; NumVGPRsForWavesPerEU: 172
; Occupancy: 8
; WaveLimiterHint : 1
; COMPUTE_PGM_RSRC2:SCRATCH_EN: 0
; COMPUTE_PGM_RSRC2:USER_SGPR: 13
; COMPUTE_PGM_RSRC2:TRAP_HANDLER: 0
; COMPUTE_PGM_RSRC2:TGID_X_EN: 1
; COMPUTE_PGM_RSRC2:TGID_Y_EN: 1
; COMPUTE_PGM_RSRC2:TGID_Z_EN: 1
; COMPUTE_PGM_RSRC2:TIDIG_COMP_CNT: 0
	.section	.text._Z39paged_attention_ll4mi_QKV_mfma16_kernelIDF16_DF16_LN4vllm18Fp8KVCacheDataTypeE0EhLi32ELi128ELi256ELb1ELi14EL8MFMAType0EEvPKT_PKT0_S8_ifPKiSA_SA_iPKfiiiPfSD_PS3_PT2_iSC_SC_,"axG",@progbits,_Z39paged_attention_ll4mi_QKV_mfma16_kernelIDF16_DF16_LN4vllm18Fp8KVCacheDataTypeE0EhLi32ELi128ELi256ELb1ELi14EL8MFMAType0EEvPKT_PKT0_S8_ifPKiSA_SA_iPKfiiiPfSD_PS3_PT2_iSC_SC_,comdat
	.protected	_Z39paged_attention_ll4mi_QKV_mfma16_kernelIDF16_DF16_LN4vllm18Fp8KVCacheDataTypeE0EhLi32ELi128ELi256ELb1ELi14EL8MFMAType0EEvPKT_PKT0_S8_ifPKiSA_SA_iPKfiiiPfSD_PS3_PT2_iSC_SC_ ; -- Begin function _Z39paged_attention_ll4mi_QKV_mfma16_kernelIDF16_DF16_LN4vllm18Fp8KVCacheDataTypeE0EhLi32ELi128ELi256ELb1ELi14EL8MFMAType0EEvPKT_PKT0_S8_ifPKiSA_SA_iPKfiiiPfSD_PS3_PT2_iSC_SC_
	.globl	_Z39paged_attention_ll4mi_QKV_mfma16_kernelIDF16_DF16_LN4vllm18Fp8KVCacheDataTypeE0EhLi32ELi128ELi256ELb1ELi14EL8MFMAType0EEvPKT_PKT0_S8_ifPKiSA_SA_iPKfiiiPfSD_PS3_PT2_iSC_SC_
	.p2align	8
	.type	_Z39paged_attention_ll4mi_QKV_mfma16_kernelIDF16_DF16_LN4vllm18Fp8KVCacheDataTypeE0EhLi32ELi128ELi256ELb1ELi14EL8MFMAType0EEvPKT_PKT0_S8_ifPKiSA_SA_iPKfiiiPfSD_PS3_PT2_iSC_SC_,@function
_Z39paged_attention_ll4mi_QKV_mfma16_kernelIDF16_DF16_LN4vllm18Fp8KVCacheDataTypeE0EhLi32ELi128ELi256ELb1ELi14EL8MFMAType0EEvPKT_PKT0_S8_ifPKiSA_SA_iPKfiiiPfSD_PS3_PT2_iSC_SC_: ; @_Z39paged_attention_ll4mi_QKV_mfma16_kernelIDF16_DF16_LN4vllm18Fp8KVCacheDataTypeE0EhLi32ELi128ELi256ELb1ELi14EL8MFMAType0EEvPKT_PKT0_S8_ifPKiSA_SA_iPKfiiiPfSD_PS3_PT2_iSC_SC_
; %bb.0:
	s_load_b64 s[2:3], s[0:1], 0x30
	s_mov_b32 s30, s13
	s_waitcnt lgkmcnt(0)
	s_cmp_lg_u64 s[2:3], 0
	s_cselect_b32 s6, -1, 0
	s_ashr_i32 s31, s13, 31
	s_cmp_eq_u64 s[2:3], 0
	s_cbranch_scc1 .LBB319_3
; %bb.1:
	s_lshl_b64 s[4:5], s[30:31], 2
	s_delay_alu instid0(SALU_CYCLE_1) | instskip(SKIP_4) | instid1(SALU_CYCLE_1)
	s_add_u32 s4, s2, s4
	s_addc_u32 s5, s3, s5
	s_load_b64 s[4:5], s[4:5], 0x0
	s_waitcnt lgkmcnt(0)
	s_sub_i32 s4, s5, s4
	s_cmp_eq_u32 s4, 1
	s_cselect_b32 s4, -1, 0
	s_delay_alu instid0(SALU_CYCLE_1)
	s_and_not1_b32 vcc_lo, exec_lo, s4
	s_cbranch_vccz .LBB319_4
.LBB319_2:
	s_endpgm
.LBB319_3:
.LBB319_4:
	s_load_b64 s[8:9], s[0:1], 0x28
	s_lshl_b64 s[4:5], s[30:31], 2
	s_waitcnt lgkmcnt(0)
	s_add_u32 s8, s8, s4
	s_addc_u32 s9, s9, s5
	s_lshl_b32 s12, s14, 8
	s_load_b32 s17, s[8:9], 0x0
	s_waitcnt lgkmcnt(0)
	s_cmp_ge_i32 s12, s17
	s_cbranch_scc1 .LBB319_2
; %bb.5:
	s_and_not1_b32 vcc_lo, exec_lo, s6
	s_cbranch_vccnz .LBB319_7
; %bb.6:
	s_add_u32 s2, s2, s4
	s_addc_u32 s3, s3, s5
	s_load_b32 s13, s[2:3], 0x0
	s_branch .LBB319_8
.LBB319_7:
	s_mov_b32 s13, s30
.LBB319_8:
	s_clause 0x2
	s_load_b128 s[8:11], s[0:1], 0x8
	s_load_b64 s[2:3], s[0:1], 0x20
	s_load_b128 s[4:7], s[0:1], 0x48
	v_and_b32_e32 v77, 15, v0
	s_waitcnt lgkmcnt(0)
	s_mov_b32 s7, exec_lo
	s_delay_alu instid0(VALU_DEP_1)
	v_lshlrev_b32_e32 v1, 3, v77
	v_cmpx_lt_u32_e32 0xdf, v0
	s_xor_b32 s7, exec_lo, s7
; %bb.9:
	v_mov_b32_e32 v2, 0
; %bb.10:
	s_or_saveexec_b32 s7, s7
	v_lshrrev_b32_e32 v78, 5, v0
	v_and_b32_e32 v80, 31, v0
	v_and_b32_e32 v76, 1, v0
	v_bfe_u32 v75, v0, 4, 1
	s_mul_i32 s31, s15, 14
	s_xor_b32 exec_lo, exec_lo, s7
	s_cbranch_execz .LBB319_12
; %bb.11:
	s_load_b64 s[18:19], s[0:1], 0x0
	v_lshl_or_b32 v7, v78, 1, v75
	s_mul_hi_i32 s21, s13, s4
	s_mul_i32 s20, s13, s4
	v_lshlrev_b32_e32 v4, 1, v1
	s_lshl_b64 s[20:21], s[20:21], 1
	v_add_lshl_u32 v2, v7, s31, 7
	v_lshlrev_b32_e32 v7, 6, v7
	v_lshlrev_b32_e32 v8, 10, v76
	s_delay_alu instid0(VALU_DEP_3) | instskip(NEXT) | instid1(VALU_DEP_1)
	v_ashrrev_i32_e32 v3, 31, v2
	v_lshlrev_b64 v[2:3], 1, v[2:3]
	s_waitcnt lgkmcnt(0)
	s_add_u32 s4, s18, s20
	s_addc_u32 s13, s19, s21
	s_delay_alu instid0(VALU_DEP_1) | instskip(NEXT) | instid1(VALU_DEP_2)
	v_add_co_u32 v2, vcc_lo, s4, v2
	v_add_co_ci_u32_e32 v3, vcc_lo, s13, v3, vcc_lo
	s_delay_alu instid0(VALU_DEP_2) | instskip(NEXT) | instid1(VALU_DEP_2)
	v_add_co_u32 v2, vcc_lo, v2, v4
	v_add_co_ci_u32_e32 v3, vcc_lo, 0, v3, vcc_lo
	global_load_b128 v[3:6], v[2:3], off
	v_lshlrev_b32_e32 v2, 10, v77
	s_delay_alu instid0(VALU_DEP_1) | instskip(NEXT) | instid1(VALU_DEP_1)
	v_and_b32_e32 v2, 0x3800, v2
	v_or3_b32 v7, v2, v8, v7
	v_mov_b32_e32 v2, 0
	s_waitcnt vmcnt(0)
	ds_store_b128 v7, v[3:6]
.LBB319_12:
	s_or_b32 exec_lo, exec_lo, s7
	v_and_b32_e32 v3, 0xef, v0
	s_add_i32 s4, s17, 31
	s_clause 0x1
	s_load_b32 s7, s[0:1], 0x38
	s_load_b32 s33, s[0:1], 0x98
	s_ashr_i32 s13, s4, 31
	v_add_nc_u32_e32 v3, s12, v3
	s_lshr_b32 s13, s13, 27
	s_load_b32 s18, s[0:1], 0x1c
	s_add_i32 s4, s4, s13
	s_waitcnt lgkmcnt(0)
	v_ashrrev_i32_e32 v4, 31, v3
	v_cmp_gt_i32_e32 vcc_lo, s17, v3
	s_ashr_i32 s4, s4, 5
	s_barrier
	s_add_i32 s4, s4, -1
	v_lshrrev_b32_e32 v5, 27, v4
	v_or_b32_e32 v4, 16, v3
	buffer_gl0_inv
	v_lshlrev_b64 v[73:74], 1, v[1:2]
	v_lshlrev_b32_e32 v79, 6, v77
	v_add_nc_u32_e32 v6, v3, v5
	v_add_nc_u32_e32 v5, v4, v5
	s_mul_i32 s20, s30, s7
	s_delay_alu instid0(SALU_CYCLE_1) | instskip(NEXT) | instid1(VALU_DEP_2)
	s_ashr_i32 s21, s20, 31
	v_ashrrev_i32_e32 v6, 5, v6
	s_delay_alu instid0(VALU_DEP_2) | instskip(SKIP_1) | instid1(SALU_CYCLE_1)
	v_ashrrev_i32_e32 v5, 5, v5
	s_lshl_b64 s[20:21], s[20:21], 2
	s_add_u32 s13, s2, s20
	s_delay_alu instid0(VALU_DEP_2) | instskip(SKIP_3) | instid1(SALU_CYCLE_1)
	v_cndmask_b32_e32 v3, s4, v6, vcc_lo
	v_cmp_gt_i32_e32 vcc_lo, s17, v4
	s_addc_u32 s16, s3, s21
	s_mul_i32 s2, s15, s6
	s_ashr_i32 s3, s2, 31
	v_cndmask_b32_e32 v5, s4, v5, vcc_lo
	v_ashrrev_i32_e32 v4, 31, v3
	s_lshl_b64 s[2:3], s[2:3], 1
	s_delay_alu instid0(SALU_CYCLE_1) | instskip(NEXT) | instid1(VALU_DEP_2)
	s_add_u32 s15, s8, s2
	v_ashrrev_i32_e32 v6, 31, v5
	s_delay_alu instid0(VALU_DEP_2) | instskip(SKIP_2) | instid1(VALU_DEP_2)
	v_lshlrev_b64 v[3:4], 2, v[3:4]
	s_addc_u32 s19, s9, s3
	s_lshl_b32 s6, s14, 3
	v_lshlrev_b64 v[5:6], 2, v[5:6]
	s_ashr_i32 s7, s6, 31
	s_delay_alu instid0(VALU_DEP_2) | instskip(SKIP_1) | instid1(VALU_DEP_3)
	v_add_co_u32 v3, vcc_lo, s13, v3
	v_add_co_ci_u32_e32 v4, vcc_lo, s16, v4, vcc_lo
	v_add_co_u32 v5, vcc_lo, s13, v5
	s_delay_alu instid0(VALU_DEP_4)
	v_add_co_ci_u32_e32 v6, vcc_lo, s16, v6, vcc_lo
	s_lshl_b64 s[6:7], s[6:7], 2
	s_clause 0x1
	global_load_b32 v7, v[3:4], off
	global_load_b32 v8, v[5:6], off
	s_add_u32 s6, s13, s6
	s_addc_u32 s7, s16, s7
	s_or_b32 s8, s12, 32
	s_delay_alu instid0(SALU_CYCLE_1) | instskip(SKIP_2) | instid1(SALU_CYCLE_1)
	s_ashr_i32 s9, s8, 5
	s_cmp_lt_i32 s8, s17
	s_cselect_b32 s8, s9, s4
	s_ashr_i32 s9, s8, 31
	s_delay_alu instid0(SALU_CYCLE_1) | instskip(NEXT) | instid1(SALU_CYCLE_1)
	s_lshl_b64 s[8:9], s[8:9], 2
	s_add_u32 s8, s13, s8
	s_addc_u32 s9, s16, s9
	s_or_b32 s20, s12, 64
	s_delay_alu instid0(SALU_CYCLE_1) | instskip(SKIP_2) | instid1(SALU_CYCLE_1)
	s_ashr_i32 s21, s20, 5
	s_cmp_lt_i32 s20, s17
	s_cselect_b32 s20, s21, s4
	s_ashr_i32 s21, s20, 31
	s_delay_alu instid0(SALU_CYCLE_1) | instskip(NEXT) | instid1(SALU_CYCLE_1)
	s_lshl_b64 s[20:21], s[20:21], 2
	;; [unrolled: 10-line block ×5, first 2 shown]
	s_add_u32 s26, s13, s26
	s_addc_u32 s27, s16, s27
	s_clause 0x5
	s_load_b32 s28, s[6:7], 0x0
	s_load_b32 s29, s[8:9], 0x0
	;; [unrolled: 1-line block ×6, first 2 shown]
	s_mov_b32 s20, 0
	s_or_b32 s6, s12, 0xc0
	s_mov_b32 s21, s20
	s_mov_b32 s22, s20
	;; [unrolled: 1-line block ×7, first 2 shown]
	s_ashr_i32 s7, s6, 5
	v_mov_b32_e32 v128, s27
	s_cmp_lt_i32 s6, s17
	v_mov_b32_e32 v127, s26
	s_cselect_b32 s6, s7, s4
	v_mov_b32_e32 v126, s25
	s_ashr_i32 s7, s6, 31
	v_mov_b32_e32 v125, s24
	s_lshl_b64 s[6:7], s[6:7], 2
	v_mov_b32_e32 v124, s23
	s_add_u32 s6, s13, s6
	s_addc_u32 s7, s16, s7
	v_mov_b32_e32 v123, s22
	v_mov_b32_e32 v121, s20
	s_waitcnt lgkmcnt(0)
	s_mul_hi_i32 s9, s28, s5
	s_mul_i32 s8, s28, s5
	v_mov_b32_e32 v122, s21
	s_mul_hi_i32 s21, s29, s5
	s_mul_i32 s20, s29, s5
	s_mul_hi_i32 s25, s34, s5
	s_mul_i32 s24, s34, s5
	;; [unrolled: 2-line block ×4, first 2 shown]
	s_waitcnt vmcnt(1)
	v_mad_i64_i32 v[3:4], null, v7, s5, 0
	s_waitcnt vmcnt(0)
	v_mad_i64_i32 v[5:6], null, v8, s5, 0
	s_delay_alu instid0(VALU_DEP_2) | instskip(NEXT) | instid1(VALU_DEP_2)
	v_lshlrev_b64 v[3:4], 1, v[3:4]
	v_lshlrev_b64 v[1:2], 1, v[5:6]
	s_delay_alu instid0(VALU_DEP_2) | instskip(NEXT) | instid1(VALU_DEP_3)
	v_add_co_u32 v3, vcc_lo, s15, v3
	v_add_co_ci_u32_e32 v4, vcc_lo, s19, v4, vcc_lo
	s_delay_alu instid0(VALU_DEP_3) | instskip(NEXT) | instid1(VALU_DEP_4)
	v_add_co_u32 v1, vcc_lo, s15, v1
	v_add_co_ci_u32_e32 v2, vcc_lo, s19, v2, vcc_lo
	s_delay_alu instid0(VALU_DEP_4) | instskip(NEXT) | instid1(VALU_DEP_4)
	v_add_co_u32 v65, vcc_lo, v3, v73
	v_add_co_ci_u32_e32 v66, vcc_lo, v4, v74, vcc_lo
	s_delay_alu instid0(VALU_DEP_4) | instskip(NEXT) | instid1(VALU_DEP_4)
	v_add_co_u32 v67, vcc_lo, v1, v73
	v_add_co_ci_u32_e32 v68, vcc_lo, v2, v74, vcc_lo
	s_clause 0xf
	global_load_b128 v[1:4], v[65:66], off
	global_load_b128 v[5:8], v[65:66], off offset:512
	global_load_b128 v[9:12], v[67:68], off offset:256
	;; [unrolled: 1-line block ×15, first 2 shown]
	v_add_co_u32 v157, vcc_lo, 0x1000, v65
	v_add_co_ci_u32_e32 v158, vcc_lo, 0, v66, vcc_lo
	v_add_co_u32 v165, vcc_lo, 0x1000, v67
	v_add_co_ci_u32_e32 v166, vcc_lo, 0, v68, vcc_lo
	s_clause 0x7
	global_load_b128 v[81:84], v[157:158], off
	global_load_b128 v[85:88], v[157:158], off offset:512
	global_load_b128 v[89:92], v[165:166], off offset:256
	;; [unrolled: 1-line block ×7, first 2 shown]
	v_add_nc_u32_e32 v65, -14, v77
	v_cmp_gt_u32_e32 vcc_lo, 14, v77
	s_or_b32 s15, s12, 0xe0
	s_delay_alu instid0(SALU_CYCLE_1) | instskip(SKIP_3) | instid1(SALU_CYCLE_1)
	s_ashr_i32 s19, s15, 5
	s_cmp_lt_i32 s15, s17
	v_cndmask_b32_e32 v65, v65, v77, vcc_lo
	s_cselect_b32 s22, s19, s4
	s_ashr_i32 s23, s22, 31
	s_delay_alu instid0(VALU_DEP_1)
	v_lshlrev_b32_e32 v169, 6, v65
	ds_load_b128 v[65:68], v169
	ds_load_b128 v[69:72], v169 offset:1024
	s_clause 0x1
	global_load_b128 v[113:116], v[157:158], off offset:2048
	global_load_b128 v[117:120], v[157:158], off offset:2560
	ds_load_b128 v[129:132], v169 offset:2048
	ds_load_b128 v[133:136], v169 offset:3072
	s_clause 0x5
	global_load_b128 v[145:148], v[165:166], off offset:2304
	global_load_b128 v[149:152], v[165:166], off offset:2816
	;; [unrolled: 1-line block ×6, first 2 shown]
	s_lshl_b64 s[22:23], s[22:23], 2
	s_delay_alu instid0(SALU_CYCLE_1) | instskip(SKIP_2) | instid1(SALU_CYCLE_1)
	s_add_u32 s22, s13, s22
	s_addc_u32 s23, s16, s23
	s_add_i32 s15, s12, 0x100
	s_ashr_i32 s19, s15, 5
	s_cmp_lt_i32 s15, s17
	s_cselect_b32 s28, s19, s4
	s_delay_alu instid0(SALU_CYCLE_1) | instskip(NEXT) | instid1(SALU_CYCLE_1)
	s_ashr_i32 s29, s28, 31
	s_lshl_b64 s[28:29], s[28:29], 2
	s_delay_alu instid0(SALU_CYCLE_1)
	s_add_u32 s28, s13, s28
	s_addc_u32 s29, s16, s29
	s_add_u32 s4, s10, s2
	s_addc_u32 s19, s11, s3
	s_lshl_b64 s[2:3], s[8:9], 1
	s_lshl_b64 s[8:9], s[20:21], 1
	;; [unrolled: 1-line block ×4, first 2 shown]
	s_waitcnt vmcnt(30) lgkmcnt(2)
	v_wmma_f32_16x16x16_f16 v[137:144], v[1:8], v[65:72], v[121:128]
	ds_load_b128 v[1:4], v169 offset:4096
	ds_load_b128 v[5:8], v169 offset:5120
	s_waitcnt vmcnt(28)
	v_wmma_f32_16x16x16_f16 v[121:128], v[9:16], v[65:72], v[121:128]
	ds_load_b128 v[9:12], v169 offset:6144
	ds_load_b128 v[13:16], v169 offset:7168
	s_waitcnt vmcnt(26) lgkmcnt(4)
	v_wmma_f32_16x16x16_f16 v[137:144], v[17:24], v[129:136], v[137:144]
	ds_load_b128 v[17:20], v169 offset:8192
	ds_load_b128 v[21:24], v169 offset:9216
	s_waitcnt vmcnt(24)
	v_wmma_f32_16x16x16_f16 v[121:128], v[25:32], v[129:136], v[121:128]
	v_lshl_or_b32 v25, v78, 10, v79
	ds_load_b128 v[129:132], v169 offset:10240
	ds_load_b128 v[133:136], v169 offset:11264
	s_clause 0x2
	s_load_b32 s15, s[6:7], 0x0
	s_load_b32 s13, s[22:23], 0x0
	;; [unrolled: 1-line block ×3, first 2 shown]
	s_mul_hi_i32 s7, s36, s5
	v_add_co_u32 v170, s4, s4, v25
	s_delay_alu instid0(VALU_DEP_1)
	v_add_co_ci_u32_e64 v171, null, s19, 0, s4
	s_mul_i32 s6, s36, s5
	s_lshl_b64 s[22:23], s[34:35], 1
	s_lshl_b64 s[6:7], s[6:7], 1
	s_waitcnt vmcnt(22) lgkmcnt(0)
	v_wmma_f32_16x16x16_f16 v[137:144], v[33:40], v[1:8], v[137:144]
	s_waitcnt vmcnt(20)
	v_wmma_f32_16x16x16_f16 v[121:128], v[41:48], v[1:8], v[121:128]
	v_add_co_u32 v1, vcc_lo, v170, s2
	v_add_co_ci_u32_e32 v2, vcc_lo, s3, v171, vcc_lo
	v_add_co_u32 v3, vcc_lo, v170, s8
	v_add_co_ci_u32_e32 v4, vcc_lo, s9, v171, vcc_lo
	v_add_co_u32 v5, vcc_lo, v170, s10
	v_add_co_ci_u32_e32 v6, vcc_lo, s11, v171, vcc_lo
	v_add_co_u32 v7, vcc_lo, v170, s20
	v_add_co_ci_u32_e32 v8, vcc_lo, s21, v171, vcc_lo
	v_add_co_u32 v25, vcc_lo, v170, s6
	s_mul_hi_i32 s25, s15, s5
	s_mul_i32 s24, s15, s5
	v_add_co_ci_u32_e32 v26, vcc_lo, s7, v171, vcc_lo
	v_add_co_u32 v27, vcc_lo, v170, s22
	s_lshl_b64 s[24:25], s[24:25], 1
	s_waitcnt vmcnt(18)
	v_wmma_f32_16x16x16_f16 v[137:144], v[49:56], v[9:16], v[137:144]
	s_waitcnt vmcnt(16)
	v_wmma_f32_16x16x16_f16 v[121:128], v[57:64], v[9:16], v[121:128]
	v_add_co_ci_u32_e32 v28, vcc_lo, s23, v171, vcc_lo
	s_mul_hi_i32 s3, s13, s5
	s_mul_i32 s2, s13, s5
	v_add_co_u32 v29, vcc_lo, v170, s24
	s_lshl_b64 s[2:3], s[2:3], 1
	v_add_co_ci_u32_e32 v30, vcc_lo, s25, v171, vcc_lo
	s_waitcnt vmcnt(14)
	v_wmma_f32_16x16x16_f16 v[137:144], v[81:88], v[17:24], v[137:144]
	s_waitcnt vmcnt(12)
	v_wmma_f32_16x16x16_f16 v[121:128], v[89:96], v[17:24], v[121:128]
	v_add_co_u32 v17, vcc_lo, v170, s2
	v_add_co_ci_u32_e32 v18, vcc_lo, s3, v171, vcc_lo
	s_mul_hi_i32 s3, s16, s5
	s_mul_i32 s2, s16, s5
	s_clause 0x5
	global_load_b128 v[65:68], v[1:2], off
	global_load_b128 v[69:72], v[1:2], off offset:16
	global_load_b128 v[57:60], v[3:4], off
	global_load_b128 v[61:64], v[3:4], off offset:16
	;; [unrolled: 2-line block ×3, first 2 shown]
	s_lshl_b64 s[2:3], s[2:3], 1
	s_clause 0x1
	global_load_b128 v[41:44], v[7:8], off
	global_load_b128 v[45:48], v[7:8], off offset:16
	v_add_co_u32 v21, vcc_lo, v170, s2
	v_add_co_ci_u32_e32 v22, vcc_lo, s3, v171, vcc_lo
	s_clause 0x9
	global_load_b128 v[9:12], v[25:26], off
	global_load_b128 v[13:16], v[25:26], off offset:16
	global_load_b128 v[1:4], v[27:28], off
	global_load_b128 v[5:8], v[27:28], off offset:16
	;; [unrolled: 2-line block ×5, first 2 shown]
	ds_load_b128 v[81:84], v169 offset:12288
	ds_load_b128 v[85:88], v169 offset:13312
	v_and_b32_e32 v89, 0xe0, v0
	s_waitcnt vmcnt(28)
	v_wmma_f32_16x16x16_f16 v[137:144], v[97:104], v[129:136], v[137:144]
	v_mbcnt_lo_u32_b32 v97, -1, 0
	s_waitcnt vmcnt(26)
	v_wmma_f32_16x16x16_f16 v[121:128], v[105:112], v[129:136], v[121:128]
	v_add_nc_u32_e32 v98, s12, v89
	ds_load_b128 v[89:92], v169 offset:14336
	ds_load_b128 v[93:96], v169 offset:15360
	v_xor_b32_e32 v99, 16, v97
	s_waitcnt vmcnt(0) lgkmcnt(0)
	s_barrier
	v_or_b32_e32 v98, v98, v75
	buffer_gl0_inv
	v_cmp_gt_i32_e32 vcc_lo, 32, v99
	v_or_b32_e32 v100, 4, v98
	v_or_b32_e32 v101, 22, v98
	;; [unrolled: 1-line block ×4, first 2 shown]
	v_wmma_f32_16x16x16_f16 v[137:144], v[113:120], v[81:88], v[137:144]
	v_wmma_f32_16x16x16_f16 v[121:128], v[145:152], v[81:88], v[121:128]
	v_or_b32_e32 v81, 6, v98
	v_or_b32_e32 v82, 8, v98
	;; [unrolled: 1-line block ×3, first 2 shown]
	v_cmp_gt_i32_e64 s3, s17, v100
	v_or_b32_e32 v84, 12, v98
	v_wmma_f32_16x16x16_f16 v[137:144], v[153:160], v[89:96], v[137:144]
	v_wmma_f32_16x16x16_f16 v[121:128], v[161:168], v[89:96], v[121:128]
	v_cndmask_b32_e32 v97, v97, v99, vcc_lo
	v_or_b32_e32 v99, 2, v98
	v_cmp_gt_i32_e32 vcc_lo, s17, v98
	v_dual_mul_f32 v95, s18, v138 :: v_dual_mul_f32 v96, s18, v137
	v_mul_f32_e32 v93, s18, v140
	s_delay_alu instid0(VALU_DEP_4)
	v_cmp_gt_i32_e64 s2, s17, v99
	v_mul_f32_e32 v94, s18, v139
	v_mul_f32_e32 v110, s18, v124
	v_cndmask_b32_e32 v96, 0xff7fffff, v96, vcc_lo
	v_cmp_gt_i32_e64 s4, s17, v81
	v_cndmask_b32_e64 v95, 0xff7fffff, v95, s2
	v_or_b32_e32 v85, 14, v98
	v_dual_mul_f32 v91, s18, v142 :: v_dual_mul_f32 v92, s18, v141
	v_cndmask_b32_e64 v94, 0xff7fffff, v94, s3
	v_cndmask_b32_e64 v81, 0xff7fffff, v93, s4
	v_max3_f32 v93, v96, 0xff7fffff, v95
	v_cmp_gt_i32_e64 s5, s17, v82
	v_cmp_gt_i32_e64 s6, s17, v83
	v_or_b32_e32 v86, 16, v98
	v_or_b32_e32 v87, 18, v98
	v_dual_mul_f32 v89, s18, v144 :: v_dual_mul_f32 v112, s18, v122
	v_mul_f32_e32 v90, s18, v143
	v_cndmask_b32_e64 v82, 0xff7fffff, v92, s5
	v_cndmask_b32_e64 v83, 0xff7fffff, v91, s6
	v_max3_f32 v81, v93, v94, v81
	v_cmp_gt_i32_e64 s7, s17, v84
	v_cmp_gt_i32_e64 s8, s17, v85
	v_or_b32_e32 v88, 20, v98
	v_mul_f32_e32 v113, s18, v121
	v_max3_f32 v81, v81, v82, v83
	v_cndmask_b32_e64 v84, 0xff7fffff, v90, s7
	v_cndmask_b32_e64 v85, 0xff7fffff, v89, s8
	v_cmp_gt_i32_e64 s9, s17, v86
	v_cmp_gt_i32_e64 s10, s17, v87
	v_mul_f32_e32 v111, s18, v123
	v_cmp_gt_i32_e64 s11, s17, v88
	v_max3_f32 v81, v81, v84, v85
	v_cndmask_b32_e64 v82, 0xff7fffff, v113, s9
	v_cndmask_b32_e64 v83, 0xff7fffff, v112, s10
	v_cmp_gt_i32_e64 s12, s17, v101
	v_or_b32_e32 v104, 28, v98
	v_or_b32_e32 v105, 30, v98
	v_dual_mul_f32 v108, s18, v126 :: v_dual_mul_f32 v109, s18, v125
	v_cndmask_b32_e64 v84, 0xff7fffff, v111, s11
	v_cndmask_b32_e64 v85, 0xff7fffff, v110, s12
	v_max3_f32 v81, v81, v82, v83
	v_cmp_gt_i32_e64 s13, s17, v102
	v_cmp_gt_i32_e64 s15, s17, v103
	v_dual_mul_f32 v106, s18, v128 :: v_dual_mul_f32 v107, s18, v127
	s_delay_alu instid0(VALU_DEP_4) | instskip(NEXT) | instid1(VALU_DEP_4)
	v_max3_f32 v81, v81, v84, v85
	v_cndmask_b32_e64 v82, 0xff7fffff, v109, s13
	s_delay_alu instid0(VALU_DEP_4) | instskip(SKIP_2) | instid1(VALU_DEP_3)
	v_cndmask_b32_e64 v83, 0xff7fffff, v108, s15
	v_cmp_gt_i32_e64 s16, s17, v104
	v_cmp_gt_i32_e64 s17, s17, v105
	v_max3_f32 v81, v81, v82, v83
	s_delay_alu instid0(VALU_DEP_3) | instskip(NEXT) | instid1(VALU_DEP_3)
	v_cndmask_b32_e64 v84, 0xff7fffff, v107, s16
	v_cndmask_b32_e64 v85, 0xff7fffff, v106, s17
	v_lshlrev_b32_e32 v83, 2, v97
	s_delay_alu instid0(VALU_DEP_2) | instskip(SKIP_3) | instid1(VALU_DEP_1)
	v_max3_f32 v81, v81, v84, v85
	ds_bpermute_b32 v82, v83, v81
	s_waitcnt lgkmcnt(0)
	v_max_f32_e32 v82, v82, v82
	v_max_f32_e32 v81, v81, v82
	s_delay_alu instid0(VALU_DEP_1)
	v_fma_f32 v82, s18, v137, -v81
	v_fma_f32 v84, s18, v138, -v81
	;; [unrolled: 1-line block ×5, first 2 shown]
	v_mul_f32_e32 v82, 0x3fb8aa3b, v82
	s_delay_alu instid0(VALU_DEP_4) | instskip(NEXT) | instid1(VALU_DEP_3)
	v_dual_mul_f32 v84, 0x3fb8aa3b, v84 :: v_dual_mul_f32 v85, 0x3fb8aa3b, v85
	v_dual_mul_f32 v86, 0x3fb8aa3b, v86 :: v_dual_mul_f32 v89, 0x3fb8aa3b, v87
	s_delay_alu instid0(VALU_DEP_3) | instskip(NEXT) | instid1(VALU_DEP_2)
	v_exp_f32_e32 v82, v82
	v_exp_f32_e32 v84, v84
	s_delay_alu instid0(VALU_DEP_2) | instskip(NEXT) | instid1(VALU_DEP_1)
	v_exp_f32_e32 v85, v85
	v_exp_f32_e32 v86, v86
	;; [unrolled: 1-line block ×3, first 2 shown]
	v_cndmask_b32_e32 v88, 0, v82, vcc_lo
	v_cndmask_b32_e64 v87, 0, v84, s2
	s_delay_alu instid0(TRANS32_DEP_3)
	v_cndmask_b32_e64 v90, 0, v85, s3
	s_waitcnt_depctr 0xfff
	v_cndmask_b32_e64 v89, 0, v86, s4
	v_cndmask_b32_e64 v92, 0, v92, s5
	v_add_f32_e32 v84, 0, v88
	s_mov_b32 s2, exec_lo
	s_delay_alu instid0(VALU_DEP_1) | instskip(NEXT) | instid1(VALU_DEP_1)
	v_add_f32_e32 v84, v84, v87
	v_add_f32_e32 v84, v84, v90
	s_delay_alu instid0(VALU_DEP_1)
	v_add_f32_e32 v84, v84, v89
	v_fma_f32 v82, s18, v142, -v81
	v_fma_f32 v91, s18, v143, -v81
	;; [unrolled: 1-line block ×5, first 2 shown]
	s_delay_alu instid0(VALU_DEP_4) | instskip(SKIP_1) | instid1(VALU_DEP_4)
	v_dual_mul_f32 v82, 0x3fb8aa3b, v82 :: v_dual_mul_f32 v91, 0x3fb8aa3b, v91
	v_fma_f32 v96, s18, v124, -v81
	v_mul_f32_e32 v86, 0x3fb8aa3b, v86
	s_delay_alu instid0(VALU_DEP_4) | instskip(NEXT) | instid1(VALU_DEP_4)
	v_mul_f32_e32 v95, 0x3fb8aa3b, v94
	v_exp_f32_e32 v82, v82
	v_exp_f32_e32 v93, v91
	v_mul_f32_e32 v97, 0x3fb8aa3b, v96
	v_exp_f32_e32 v86, v86
	v_fma_f32 v99, s18, v127, -v81
	s_delay_alu instid0(VALU_DEP_2) | instskip(SKIP_2) | instid1(TRANS32_DEP_3)
	v_exp_f32_e32 v97, v97
	v_cndmask_b32_e64 v91, 0, v82, s6
	v_dual_add_f32 v82, v84, v92 :: v_dual_mul_f32 v85, 0x3fb8aa3b, v85
	v_cndmask_b32_e64 v94, 0, v93, s7
	v_fma_f32 v84, s18, v123, -v81
	s_delay_alu instid0(TRANS32_DEP_2) | instskip(NEXT) | instid1(VALU_DEP_4)
	v_cndmask_b32_e64 v96, 0, v86, s9
	v_add_f32_e32 v82, v82, v91
	v_exp_f32_e32 v85, v85
	v_fma_f32 v86, s18, v126, -v81
	v_mul_f32_e32 v84, 0x3fb8aa3b, v84
	v_cndmask_b32_e64 v97, 0, v97, s12
	v_add_f32_e32 v82, v82, v94
	s_delay_alu instid0(VALU_DEP_3) | instskip(SKIP_3) | instid1(VALU_DEP_2)
	v_exp_f32_e32 v84, v84
	s_waitcnt_depctr 0xfff
	v_cndmask_b32_e64 v93, 0, v85, s8
	v_fma_f32 v85, s18, v125, -v81
	v_add_f32_e32 v82, v82, v93
	v_exp_f32_e32 v95, v95
	s_delay_alu instid0(VALU_DEP_2)
	v_mul_f32_e32 v85, 0x3fb8aa3b, v85
	v_cndmask_b32_e64 v98, 0, v84, s11
	v_mul_f32_e32 v84, 0x3fb8aa3b, v99
	v_add_f32_e32 v82, v82, v96
	v_fma_f32 v99, s18, v128, -v81
	v_exp_f32_e32 v85, v85
	v_mul_f32_e32 v86, 0x3fb8aa3b, v86
	v_exp_f32_e32 v84, v84
	s_delay_alu instid0(TRANS32_DEP_3) | instskip(NEXT) | instid1(VALU_DEP_1)
	v_cndmask_b32_e64 v95, 0, v95, s10
	v_add_f32_e32 v82, v82, v95
	s_waitcnt_depctr 0xfff
	v_cndmask_b32_e64 v100, 0, v85, s13
	v_mul_f32_e32 v85, 0x3fb8aa3b, v99
	v_exp_f32_e32 v86, v86
	v_cndmask_b32_e64 v102, 0, v84, s16
	v_add_f32_e32 v82, v82, v98
	s_delay_alu instid0(VALU_DEP_3) | instskip(NEXT) | instid1(VALU_DEP_1)
	v_exp_f32_e32 v85, v85
	v_add_f32_e32 v82, v82, v97
	s_waitcnt_depctr 0xfff
	v_cndmask_b32_e64 v99, 0, v86, s15
	v_add_f32_e32 v82, v82, v100
	v_cndmask_b32_e64 v101, 0, v85, s17
	s_delay_alu instid0(VALU_DEP_2) | instskip(NEXT) | instid1(VALU_DEP_1)
	v_add_f32_e32 v82, v82, v99
	v_add_f32_e32 v82, v82, v102
	s_delay_alu instid0(VALU_DEP_1)
	v_add_f32_e32 v82, v82, v101
	ds_bpermute_b32 v83, v83, v82
	v_cmpx_gt_u32_e32 16, v80
	s_cbranch_execz .LBB319_14
; %bb.13:
	v_mul_u32_u24_e32 v80, 0x44, v78
	s_waitcnt lgkmcnt(0)
	v_add_f32_e32 v82, v82, v83
	s_delay_alu instid0(VALU_DEP_2) | instskip(NEXT) | instid1(VALU_DEP_1)
	v_lshl_add_u32 v80, v77, 2, v80
	v_add_nc_u32_e32 v80, 0x4000, v80
	ds_store_2addr_b32 v80, v81, v82 offset1:136
.LBB319_14:
	s_or_b32 exec_lo, exec_lo, s2
	v_lshlrev_b32_e32 v80, 2, v77
	s_load_b32 s34, s[0:1], 0x94
	s_waitcnt lgkmcnt(0)
	s_barrier
	buffer_gl0_inv
	v_add_nc_u32_e32 v84, 0x4000, v80
	v_cmp_eq_u32_e32 vcc_lo, 1, v78
	v_cmp_eq_u32_e64 s2, 2, v78
	v_cmp_eq_u32_e64 s3, 3, v78
	v_cmp_eq_u32_e64 s4, 5, v78
	ds_load_2addr_b32 v[80:81], v84 offset1:17
	ds_load_2addr_b32 v[82:83], v84 offset0:34 offset1:51
	ds_load_2addr_b32 v[103:104], v84 offset0:68 offset1:85
	;; [unrolled: 1-line block ×3, first 2 shown]
	v_cmp_eq_u32_e64 s5, 7, v78
	s_waitcnt lgkmcnt(3)
	v_max3_f32 v85, v80, 0xff7fffff, v81
	s_waitcnt lgkmcnt(2)
	s_delay_alu instid0(VALU_DEP_1) | instskip(SKIP_1) | instid1(VALU_DEP_1)
	v_max3_f32 v85, v85, v82, v83
	s_waitcnt lgkmcnt(1)
	v_max3_f32 v85, v85, v103, v104
	s_waitcnt lgkmcnt(0)
	s_delay_alu instid0(VALU_DEP_1) | instskip(NEXT) | instid1(VALU_DEP_1)
	v_max3_f32 v85, v85, v105, v106
	v_sub_f32_e32 v103, v103, v85
	ds_load_2addr_b32 v[107:108], v84 offset0:136 offset1:153
	v_sub_f32_e32 v80, v80, v85
	v_dual_sub_f32 v110, v83, v85 :: v_dual_mul_f32 v113, 0x3fb8aa3b, v103
	s_delay_alu instid0(VALU_DEP_2) | instskip(SKIP_3) | instid1(VALU_DEP_1)
	v_dual_sub_f32 v86, v81, v85 :: v_dual_mul_f32 v109, 0x3fb8aa3b, v80
	ds_load_2addr_b32 v[80:81], v84 offset0:170 offset1:187
	v_mul_f32_e32 v86, 0x3fb8aa3b, v86
	v_exp_f32_e32 v109, v109
	v_exp_f32_e32 v112, v86
	v_mul_f32_e32 v110, 0x3fb8aa3b, v110
	s_waitcnt lgkmcnt(1)
	s_waitcnt_depctr 0xfff
	v_fma_f32 v86, v109, v107, 0
	v_sub_f32_e32 v107, v104, v85
	v_sub_f32_e32 v82, v82, v85
	v_exp_f32_e32 v110, v110
	ds_load_2addr_b32 v[103:104], v84 offset0:238 offset1:255
	v_dual_fmac_f32 v86, v112, v108 :: v_dual_mul_f32 v111, 0x3fb8aa3b, v82
	ds_load_2addr_b32 v[82:83], v84 offset0:204 offset1:221
	v_dual_sub_f32 v84, v105, v85 :: v_dual_mul_f32 v105, 0x3fb8aa3b, v107
	v_exp_f32_e32 v107, v113
	v_exp_f32_e32 v111, v111
	s_waitcnt lgkmcnt(0)
	s_delay_alu instid0(VALU_DEP_1)
	v_mul_f32_e32 v84, 0x3fb8aa3b, v84
	v_exp_f32_e32 v105, v105
	s_barrier
	buffer_gl0_inv
	v_fmac_f32_e32 v86, v111, v80
	v_sub_f32_e32 v80, v106, v85
	v_exp_f32_e32 v106, v84
	s_delay_alu instid0(VALU_DEP_2) | instskip(NEXT) | instid1(VALU_DEP_2)
	v_fmac_f32_e32 v86, v110, v81
	v_mul_f32_e32 v80, 0x3fb8aa3b, v80
	s_delay_alu instid0(VALU_DEP_2) | instskip(NEXT) | instid1(VALU_DEP_2)
	v_dual_cndmask_b32 v81, v109, v112 :: v_dual_fmac_f32 v86, v107, v82
	v_exp_f32_e32 v108, v80
	s_delay_alu instid0(VALU_DEP_1) | instskip(SKIP_2) | instid1(VALU_DEP_1)
	v_fmac_f32_e32 v86, v105, v83
	s_waitcnt_depctr 0xfff
	v_fmac_f32_e32 v86, v106, v103
	v_fmac_f32_e32 v86, v108, v104
	s_delay_alu instid0(VALU_DEP_1) | instskip(NEXT) | instid1(VALU_DEP_1)
	v_add_f32_e32 v103, 0x358637bd, v86
	v_div_scale_f32 v104, null, v103, v103, 1.0
	v_div_scale_f32 v109, vcc_lo, 1.0, v103, 1.0
	s_delay_alu instid0(VALU_DEP_2) | instskip(SKIP_2) | instid1(VALU_DEP_1)
	v_rcp_f32_e32 v113, v104
	s_waitcnt_depctr 0xfff
	v_fma_f32 v80, -v104, v113, 1.0
	v_fmac_f32_e32 v113, v80, v113
	v_cndmask_b32_e64 v80, v81, v111, s2
	v_cmp_eq_u32_e64 s2, 4, v78
	v_lshl_or_b32 v81, v78, 11, v79
	s_delay_alu instid0(VALU_DEP_4) | instskip(NEXT) | instid1(VALU_DEP_4)
	v_mul_f32_e32 v111, v109, v113
	v_cndmask_b32_e64 v82, v80, v110, s3
	v_cmp_eq_u32_e64 s3, 6, v78
	s_delay_alu instid0(VALU_DEP_4) | instskip(SKIP_3) | instid1(VALU_DEP_3)
	v_lshl_or_b32 v78, v75, 4, v81
	v_lshlrev_b32_e32 v80, 2, v75
	v_fma_f32 v83, -v104, v111, v109
	v_cndmask_b32_e64 v84, v82, v107, s2
	v_or_b32_e32 v82, 1, v80
	s_delay_alu instid0(VALU_DEP_3) | instskip(NEXT) | instid1(VALU_DEP_3)
	v_fmac_f32_e32 v111, v83, v113
	v_cndmask_b32_e64 v105, v84, v105, s4
	v_or_b32_e32 v84, 2, v80
	v_or_b32_e32 v83, 3, v80
	v_cmp_eq_u32_e64 s2, 1, v80
	v_fma_f32 v104, -v104, v111, v109
	v_cndmask_b32_e64 v105, v105, v106, s3
	v_cmp_eq_u32_e64 s8, 1, v82
	v_cmp_eq_u32_e64 s9, 1, v84
	;; [unrolled: 1-line block ×3, first 2 shown]
	v_div_fmas_f32 v104, v104, v113, v111
	v_cndmask_b32_e64 v105, v105, v108, s5
	v_cmp_eq_u32_e32 vcc_lo, 2, v80
	v_cmp_eq_u32_e64 s11, 2, v82
	v_cmp_eq_u32_e64 s13, 2, v84
	v_div_fixup_f32 v103, v104, v103, 1.0
	v_cmp_eq_u32_e64 s15, 2, v83
	v_cmp_eq_u32_e64 s17, 3, v83
	v_cmp_eq_u32_e64 s3, 3, v80
	v_cmp_eq_u32_e64 s12, 3, v82
	v_mul_f32_e32 v111, v105, v103
	v_cmp_eq_u32_e64 s16, 3, v84
	v_cmp_eq_u32_e64 s21, 4, v83
	;; [unrolled: 1-line block ×4, first 2 shown]
	v_fma_mixlo_f16 v103, v111, v88, 0
	v_fma_mixlo_f16 v104, v111, v90, 0
	;; [unrolled: 1-line block ×8, first 2 shown]
	v_fma_mixhi_f16 v103, v111, v87, 0
	v_fma_mixhi_f16 v104, v111, v89, 0
	;; [unrolled: 1-line block ×8, first 2 shown]
	ds_store_b128 v78, v[103:106]
	ds_store_b128 v78, v[107:110] offset:1024
	s_waitcnt lgkmcnt(0)
	s_barrier
	buffer_gl0_inv
	ds_load_b128 v[87:90], v81
	ds_load_b128 v[91:94], v81 offset:16
	ds_load_b128 v[95:98], v81 offset:1024
	ds_load_b128 v[99:102], v81 offset:1040
	v_cmp_eq_u32_e64 s20, 4, v84
	v_cmp_eq_u32_e64 s23, 5, v83
	;; [unrolled: 1-line block ×13, first 2 shown]
	s_waitcnt lgkmcnt(3)
	v_lshrrev_b32_e32 v103, 16, v87
	s_waitcnt lgkmcnt(2)
	v_lshrrev_b32_e32 v107, 16, v91
	;; [unrolled: 2-line block ×4, first 2 shown]
	v_lshrrev_b32_e32 v104, 16, v88
	v_cndmask_b32_e64 v119, v87, v103, s2
	v_cndmask_b32_e64 v120, v91, v107, s2
	;; [unrolled: 1-line block ×8, first 2 shown]
	v_lshrrev_b32_e32 v108, 16, v92
	v_cndmask_b32_e64 v103, v95, v111, s2
	v_cndmask_b32_e64 v107, v99, v115, s2
	;; [unrolled: 1-line block ×5, first 2 shown]
	v_cndmask_b32_e32 v111, v119, v88, vcc_lo
	v_cndmask_b32_e64 v119, v121, v88, s11
	v_cndmask_b32_e64 v121, v123, v88, s13
	;; [unrolled: 1-line block ×4, first 2 shown]
	v_lshrrev_b32_e32 v112, 16, v96
	v_lshrrev_b32_e32 v116, 16, v100
	v_cndmask_b32_e64 v126, v99, v115, s8
	v_cndmask_b32_e64 v128, v99, v115, s9
	;; [unrolled: 1-line block ×3, first 2 shown]
	v_cndmask_b32_e32 v115, v120, v92, vcc_lo
	v_cndmask_b32_e64 v120, v122, v92, s11
	v_cndmask_b32_e64 v122, v124, v92, s13
	v_cndmask_b32_e32 v91, v103, v96, vcc_lo
	v_cndmask_b32_e32 v92, v107, v100, vcc_lo
	v_cndmask_b32_e64 v103, v125, v96, s11
	v_cndmask_b32_e64 v87, v87, v104, s17
	;; [unrolled: 1-line block ×3, first 2 shown]
	v_lshrrev_b32_e32 v105, 16, v89
	v_lshrrev_b32_e32 v109, 16, v93
	v_cndmask_b32_e64 v107, v127, v96, s13
	v_cndmask_b32_e64 v95, v95, v96, s15
	;; [unrolled: 1-line block ×14, first 2 shown]
	v_lshrrev_b32_e32 v113, 16, v97
	v_cndmask_b32_e64 v99, v99, v89, s4
	v_cndmask_b32_e64 v104, v111, v93, s4
	;; [unrolled: 1-line block ×11, first 2 shown]
	v_lshrrev_b32_e32 v106, 16, v90
	v_lshrrev_b32_e32 v110, 16, v94
	v_cndmask_b32_e64 v93, v99, v105, s5
	v_cndmask_b32_e64 v99, v104, v109, s5
	;; [unrolled: 1-line block ×9, first 2 shown]
	v_lshrrev_b32_e32 v114, 16, v98
	v_cndmask_b32_e64 v89, v89, v113, s5
	v_cndmask_b32_e64 v93, v93, v90, s6
	;; [unrolled: 1-line block ×19, first 2 shown]
	v_perm_b32 v90, v88, v87, 0x5040100
	v_cndmask_b32_e64 v87, v126, v100, s11
	v_cndmask_b32_e64 v105, v89, v114, s7
	v_perm_b32 v89, v103, v99, 0x5040100
	v_perm_b32 v88, v104, v94, 0x5040100
	v_cndmask_b32_e64 v94, v107, v112, s16
	v_cndmask_b32_e64 v95, v95, v112, s17
	;; [unrolled: 1-line block ×5, first 2 shown]
	v_lshrrev_b32_e32 v117, 16, v101
	v_cndmask_b32_e64 v94, v94, v97, s20
	v_cndmask_b32_e64 v95, v95, v97, s21
	v_cndmask_b32_e64 v96, v96, v101, s21
	v_cndmask_b32_e64 v97, v99, v101, s20
	v_cndmask_b32_e64 v87, v87, v101, s18
	v_cndmask_b32_e64 v91, v91, v117, s5
	v_cndmask_b32_e64 v94, v94, v113, s22
	v_cndmask_b32_e64 v95, v95, v113, s23
	v_cndmask_b32_e64 v96, v96, v117, s23
	v_cndmask_b32_e64 v97, v97, v117, s22
	v_cndmask_b32_e64 v87, v87, v117, s19
	v_lshrrev_b32_e32 v118, 16, v102
	v_cndmask_b32_e64 v91, v91, v102, s6
	v_cndmask_b32_e64 v94, v94, v98, s25
	v_cndmask_b32_e64 v95, v95, v98, s26
	v_cndmask_b32_e64 v96, v96, v102, s26
	v_cndmask_b32_e64 v97, v97, v102, s25
	v_cndmask_b32_e64 v87, v87, v102, s24
	v_cndmask_b32_e64 v98, v94, v114, s27
	v_cndmask_b32_e64 v94, v95, v114, s28
	v_cndmask_b32_e64 v95, v96, v118, s28
	v_cndmask_b32_e64 v96, v97, v118, s27
	v_cndmask_b32_e64 v97, v87, v118, s29
	v_cndmask_b32_e64 v91, v91, v118, s7
	v_perm_b32 v87, v93, v92, 0x5040100
	v_perm_b32 v94, v95, v94, 0x5040100
	;; [unrolled: 1-line block ×5, first 2 shown]
	s_mul_i32 s6, s33, 14
	s_mov_b32 s2, exec_lo
	ds_store_b128 v78, v[87:90]
	ds_store_b128 v78, v[91:94] offset:1024
	v_cmpx_gt_u32_e32 14, v0
	s_cbranch_execz .LBB319_16
; %bb.15:
	s_mul_i32 s3, s6, s30
	s_load_b128 s[8:11], s[0:1], 0x58
	v_add3_u32 v77, s3, s31, v77
	s_delay_alu instid0(VALU_DEP_1) | instskip(NEXT) | instid1(VALU_DEP_1)
	v_mad_u64_u32 v[87:88], null, v77, s34, s[14:15]
	v_ashrrev_i32_e32 v88, 31, v87
	s_delay_alu instid0(VALU_DEP_1) | instskip(SKIP_1) | instid1(VALU_DEP_1)
	v_lshlrev_b64 v[87:88], 2, v[87:88]
	s_waitcnt lgkmcnt(0)
	v_add_co_u32 v89, vcc_lo, s10, v87
	s_delay_alu instid0(VALU_DEP_2)
	v_add_co_ci_u32_e32 v90, vcc_lo, s11, v88, vcc_lo
	v_add_co_u32 v87, vcc_lo, s8, v87
	v_add_co_ci_u32_e32 v88, vcc_lo, s9, v88, vcc_lo
	global_store_b32 v[89:90], v85, off
	global_store_b32 v[87:88], v86, off
.LBB319_16:
	s_or_b32 exec_lo, exec_lo, s2
	s_waitcnt lgkmcnt(0)
	s_waitcnt_vscnt null, 0x0
	s_barrier
	buffer_gl0_inv
	ds_load_b128 v[93:96], v79
	ds_load_b128 v[97:100], v79 offset:16
	ds_load_b128 v[105:108], v79 offset:1040
	;; [unrolled: 1-line block ×5, first 2 shown]
	v_cmp_eq_u32_e32 vcc_lo, 1, v84
	v_mov_b32_e32 v85, 0
	ds_load_b128 v[121:124], v79 offset:3088
	ds_load_b128 v[117:120], v79 offset:3072
	;; [unrolled: 1-line block ×4, first 2 shown]
	v_cmp_eq_u32_e64 s2, 1, v80
	v_cmp_eq_u32_e64 s3, 1, v83
	;; [unrolled: 1-line block ×3, first 2 shown]
	v_mov_b32_e32 v86, v85
	v_mov_b32_e32 v87, v85
	;; [unrolled: 1-line block ×7, first 2 shown]
	v_cmp_eq_u32_e64 s5, 2, v80
	s_waitcnt lgkmcnt(8)
	s_delay_alu instid0(VALU_DEP_2)
	v_wmma_f32_16x16x16_f16 v[85:92], v[65:72], v[93:100], v[85:92]
	ds_load_b128 v[69:72], v79 offset:5136
	ds_load_b128 v[65:68], v79 offset:5120
	;; [unrolled: 1-line block ×4, first 2 shown]
	s_waitcnt lgkmcnt(10)
	v_wmma_f32_16x16x16_f16 v[85:92], v[57:64], v[101:108], v[85:92]
	s_waitcnt lgkmcnt(8)
	s_delay_alu instid0(VALU_DEP_1)
	v_wmma_f32_16x16x16_f16 v[85:92], v[57:64], v[109:116], v[85:92]
	ds_load_b128 v[61:64], v79 offset:7184
	ds_load_b128 v[57:60], v79 offset:7168
	ds_load_b128 v[105:108], v79 offset:8208
	ds_load_b128 v[101:104], v79 offset:8192
	s_waitcnt lgkmcnt(10)
	v_wmma_f32_16x16x16_f16 v[85:92], v[49:56], v[117:124], v[85:92]
	s_waitcnt lgkmcnt(8)
	s_delay_alu instid0(VALU_DEP_1)
	v_wmma_f32_16x16x16_f16 v[85:92], v[49:56], v[125:132], v[85:92]
	ds_load_b128 v[53:56], v79 offset:9232
	ds_load_b128 v[49:52], v79 offset:9216
	s_waitcnt lgkmcnt(8)
	v_wmma_f32_16x16x16_f16 v[85:92], v[41:48], v[65:72], v[85:92]
	ds_load_b128 v[69:72], v79 offset:10256
	ds_load_b128 v[65:68], v79 offset:10240
	s_waitcnt lgkmcnt(8)
	;; [unrolled: 4-line block ×7, first 2 shown]
	s_barrier
	buffer_gl0_inv
	v_wmma_f32_16x16x16_f16 v[85:92], v[33:40], v[41:48], v[85:92]
	s_delay_alu instid0(VALU_DEP_1) | instskip(NEXT) | instid1(VALU_DEP_1)
	v_wmma_f32_16x16x16_f16 v[85:92], v[33:40], v[57:64], v[85:92]
	v_wmma_f32_16x16x16_f16 v[85:92], v[25:32], v[9:16], v[85:92]
	s_delay_alu instid0(VALU_DEP_1) | instskip(NEXT) | instid1(VALU_DEP_1)
	v_wmma_f32_16x16x16_f16 v[85:92], v[25:32], v[49:56], v[85:92]
	v_wmma_f32_16x16x16_f16 v[85:92], v[17:24], v[1:8], v[85:92]
	s_delay_alu instid0(VALU_DEP_1) | instskip(NEXT) | instid1(VALU_DEP_2)
	v_cvt_f16_f32_e32 v1, v85
	v_cvt_f16_f32_e32 v2, v86
	s_delay_alu instid0(VALU_DEP_3) | instskip(NEXT) | instid1(VALU_DEP_4)
	v_cvt_f16_f32_e32 v3, v87
	v_cvt_f16_f32_e32 v4, v88
	;; [unrolled: 1-line block ×6, first 2 shown]
	v_pack_b32_f16 v1, v1, v2
	v_pack_b32_f16 v2, v3, v4
	;; [unrolled: 1-line block ×3, first 2 shown]
	s_delay_alu instid0(VALU_DEP_4)
	v_pack_b32_f16 v4, v7, v8
	ds_store_b128 v78, v[1:4]
	s_waitcnt lgkmcnt(0)
	s_barrier
	buffer_gl0_inv
	ds_load_b128 v[1:4], v81
	ds_load_b128 v[5:8], v81 offset:16
	s_waitcnt lgkmcnt(1)
	v_lshrrev_b32_e32 v9, 16, v1
	s_waitcnt lgkmcnt(0)
	v_lshrrev_b32_e32 v13, 16, v5
	v_lshrrev_b32_e32 v15, 16, v7
	;; [unrolled: 1-line block ×4, first 2 shown]
	v_cndmask_b32_e64 v17, v1, v9, s2
	v_cndmask_b32_e64 v18, v5, v13, s2
	;; [unrolled: 1-line block ×3, first 2 shown]
	v_cmp_eq_u32_e64 s2, 2, v82
	v_cndmask_b32_e64 v20, v5, v13, s4
	v_cndmask_b32_e32 v21, v1, v9, vcc_lo
	v_cndmask_b32_e32 v22, v5, v13, vcc_lo
	v_cndmask_b32_e64 v1, v1, v9, s3
	v_cndmask_b32_e64 v5, v5, v13, s3
	v_cmp_eq_u32_e32 vcc_lo, 2, v84
	v_cmp_eq_u32_e64 s3, 2, v83
	v_cndmask_b32_e64 v9, v17, v2, s5
	v_cndmask_b32_e64 v13, v18, v6, s5
	;; [unrolled: 1-line block ×4, first 2 shown]
	v_cndmask_b32_e32 v19, v21, v2, vcc_lo
	v_cmp_eq_u32_e64 s2, 3, v84
	v_cndmask_b32_e32 v20, v22, v6, vcc_lo
	v_cndmask_b32_e64 v1, v1, v2, s3
	v_cmp_eq_u32_e32 vcc_lo, 3, v83
	v_cmp_eq_u32_e64 s4, 3, v80
	v_cndmask_b32_e64 v2, v5, v6, s3
	v_cmp_eq_u32_e64 s3, 3, v82
	v_lshrrev_b32_e32 v16, 16, v8
	v_cmp_eq_u32_e64 s5, 4, v80
	v_cndmask_b32_e64 v5, v9, v10, s4
	v_cndmask_b32_e64 v6, v13, v14, s4
	;; [unrolled: 1-line block ×3, first 2 shown]
	v_cmp_eq_u32_e64 s4, 4, v82
	v_cndmask_b32_e64 v13, v18, v14, s3
	v_cndmask_b32_e64 v17, v19, v10, s2
	;; [unrolled: 1-line block ×3, first 2 shown]
	v_cndmask_b32_e32 v1, v1, v10, vcc_lo
	v_cndmask_b32_e32 v2, v2, v14, vcc_lo
	v_cmp_eq_u32_e32 vcc_lo, 4, v84
	v_cmp_eq_u32_e64 s3, 4, v83
	v_lshrrev_b32_e32 v11, 16, v3
	v_cndmask_b32_e64 v5, v5, v3, s5
	v_cndmask_b32_e64 v6, v6, v7, s5
	;; [unrolled: 1-line block ×4, first 2 shown]
	v_cndmask_b32_e32 v13, v17, v3, vcc_lo
	v_cmp_eq_u32_e64 s2, 5, v84
	v_cndmask_b32_e32 v14, v18, v7, vcc_lo
	v_cndmask_b32_e64 v1, v1, v3, s3
	v_cmp_eq_u32_e32 vcc_lo, 5, v83
	v_cmp_eq_u32_e64 s4, 5, v80
	v_cndmask_b32_e64 v2, v2, v7, s3
	v_cmp_eq_u32_e64 s3, 5, v82
	v_cmp_eq_u32_e64 s5, 6, v80
	v_cndmask_b32_e32 v1, v1, v11, vcc_lo
	v_cndmask_b32_e64 v3, v5, v11, s4
	v_cndmask_b32_e64 v5, v6, v15, s4
	;; [unrolled: 1-line block ×3, first 2 shown]
	v_cmp_eq_u32_e64 s4, 6, v82
	v_cndmask_b32_e64 v7, v10, v15, s3
	v_cndmask_b32_e64 v9, v13, v11, s2
	;; [unrolled: 1-line block ×3, first 2 shown]
	v_cndmask_b32_e32 v2, v2, v15, vcc_lo
	v_cmp_eq_u32_e32 vcc_lo, 6, v84
	v_cmp_eq_u32_e64 s2, 6, v83
	v_lshrrev_b32_e32 v12, 16, v4
	v_cndmask_b32_e64 v3, v3, v4, s5
	v_cndmask_b32_e64 v5, v5, v8, s5
	;; [unrolled: 1-line block ×4, first 2 shown]
	v_cndmask_b32_e32 v9, v9, v4, vcc_lo
	v_cmp_eq_u32_e64 s3, 7, v84
	v_cndmask_b32_e32 v10, v10, v8, vcc_lo
	v_cndmask_b32_e64 v1, v1, v4, s2
	v_cmp_eq_u32_e32 vcc_lo, 7, v83
	v_cndmask_b32_e64 v2, v2, v8, s2
	v_cmp_eq_u32_e64 s2, 7, v80
	v_cmp_eq_u32_e64 s4, 7, v82
	v_cndmask_b32_e32 v1, v1, v12, vcc_lo
	s_delay_alu instid0(VALU_DEP_4) | instskip(NEXT) | instid1(VALU_DEP_4)
	v_cndmask_b32_e32 v2, v2, v16, vcc_lo
	v_cndmask_b32_e64 v8, v3, v12, s2
	s_delay_alu instid0(VALU_DEP_4)
	v_cndmask_b32_e64 v6, v6, v12, s4
	v_cndmask_b32_e64 v3, v9, v12, s3
	;; [unrolled: 1-line block ×5, first 2 shown]
	v_perm_b32 v4, v2, v1, 0x5040100
	s_mov_b32 s2, exec_lo
	v_perm_b32 v3, v9, v3, 0x5040100
	v_perm_b32 v2, v7, v6, 0x5040100
	;; [unrolled: 1-line block ×3, first 2 shown]
	ds_store_b128 v78, v[1:4]
	s_waitcnt lgkmcnt(0)
	s_barrier
	buffer_gl0_inv
	v_cmpx_gt_u32_e32 32, v0
	s_cbranch_execz .LBB319_2
; %bb.17:
	s_load_b64 s[0:1], s[0:1], 0x68
	v_lshlrev_b32_e32 v0, 10, v0
	s_lshl_b32 s4, s34, 7
	v_or_b32_e32 v3, s31, v75
	s_mul_i32 s2, s4, s30
	v_lshlrev_b32_e32 v1, 4, v76
	v_lshlrev_b32_e32 v2, 6, v75
	v_and_b32_e32 v0, 0x3800, v0
	s_mul_i32 s2, s2, s6
	v_mul_lo_u32 v8, v3, s4
	s_ashr_i32 s3, s2, 31
	s_delay_alu instid0(SALU_CYCLE_1)
	s_lshl_b64 s[2:3], s[2:3], 1
	v_or3_b32 v16, v0, v1, v2
	ds_load_b128 v[0:3], v16
	ds_load_b128 v[4:7], v16 offset:128
	v_ashrrev_i32_e32 v9, 31, v8
	s_waitcnt lgkmcnt(0)
	s_add_u32 s2, s0, s2
	s_addc_u32 s3, s1, s3
	s_lshl_b32 s0, s14, 7
	s_delay_alu instid0(SALU_CYCLE_1) | instskip(SKIP_2) | instid1(SALU_CYCLE_1)
	s_ashr_i32 s1, s0, 31
	v_lshlrev_b64 v[9:10], 1, v[8:9]
	s_lshl_b64 s[0:1], s[0:1], 1
	s_add_u32 s0, s2, s0
	s_addc_u32 s1, s3, s1
	s_lshl_b32 s2, s34, 8
	v_add_co_u32 v30, vcc_lo, s0, v73
	v_add_nc_u32_e32 v11, s2, v8
	v_add_co_ci_u32_e32 v31, vcc_lo, s1, v74, vcc_lo
	s_delay_alu instid0(VALU_DEP_3) | instskip(NEXT) | instid1(VALU_DEP_3)
	v_add_co_u32 v9, vcc_lo, v30, v9
	v_add_nc_u32_e32 v8, s2, v11
	s_delay_alu instid0(VALU_DEP_3) | instskip(SKIP_1) | instid1(VALU_DEP_3)
	v_add_co_ci_u32_e32 v10, vcc_lo, v31, v10, vcc_lo
	v_ashrrev_i32_e32 v12, 31, v11
	v_add_nc_u32_e32 v13, s2, v8
	global_store_b128 v[9:10], v[0:3], off
	v_ashrrev_i32_e32 v9, 31, v8
	v_lshlrev_b64 v[11:12], 1, v[11:12]
	v_ashrrev_i32_e32 v14, 31, v13
	v_add_nc_u32_e32 v10, s2, v13
	s_delay_alu instid0(VALU_DEP_4) | instskip(NEXT) | instid1(VALU_DEP_4)
	v_lshlrev_b64 v[2:3], 1, v[8:9]
	v_add_co_u32 v0, vcc_lo, v30, v11
	s_delay_alu instid0(VALU_DEP_4)
	v_lshlrev_b64 v[8:9], 1, v[13:14]
	v_add_co_ci_u32_e32 v1, vcc_lo, v31, v12, vcc_lo
	v_ashrrev_i32_e32 v11, 31, v10
	v_add_co_u32 v22, vcc_lo, v30, v2
	v_add_nc_u32_e32 v20, s2, v10
	v_add_co_ci_u32_e32 v23, vcc_lo, v31, v3, vcc_lo
	v_add_co_u32 v24, vcc_lo, v30, v8
	global_store_b128 v[0:1], v[4:7], off
	v_add_co_ci_u32_e32 v25, vcc_lo, v31, v9, vcc_lo
	ds_load_b128 v[0:3], v16 offset:256
	ds_load_b128 v[4:7], v16 offset:384
	v_lshlrev_b64 v[26:27], 1, v[10:11]
	ds_load_b128 v[8:11], v16 offset:512
	ds_load_b128 v[12:15], v16 offset:640
	;; [unrolled: 1-line block ×3, first 2 shown]
	v_add_nc_u32_e32 v28, s2, v20
	v_ashrrev_i32_e32 v21, 31, v20
	v_add_co_u32 v26, vcc_lo, v30, v26
	s_delay_alu instid0(VALU_DEP_3) | instskip(NEXT) | instid1(VALU_DEP_3)
	v_ashrrev_i32_e32 v29, 31, v28
	v_lshlrev_b64 v[20:21], 1, v[20:21]
	v_add_co_ci_u32_e32 v27, vcc_lo, v31, v27, vcc_lo
	s_delay_alu instid0(VALU_DEP_3) | instskip(NEXT) | instid1(VALU_DEP_3)
	v_lshlrev_b64 v[28:29], 1, v[28:29]
	v_add_co_u32 v20, vcc_lo, v30, v20
	s_delay_alu instid0(VALU_DEP_4) | instskip(NEXT) | instid1(VALU_DEP_3)
	v_add_co_ci_u32_e32 v21, vcc_lo, v31, v21, vcc_lo
	v_add_co_u32 v28, vcc_lo, v30, v28
	s_delay_alu instid0(VALU_DEP_4)
	v_add_co_ci_u32_e32 v29, vcc_lo, v31, v29, vcc_lo
	s_waitcnt lgkmcnt(4)
	global_store_b128 v[22:23], v[0:3], off
	s_waitcnt lgkmcnt(3)
	global_store_b128 v[24:25], v[4:7], off
	;; [unrolled: 2-line block ×5, first 2 shown]
	s_nop 0
	s_sendmsg sendmsg(MSG_DEALLOC_VGPRS)
	s_endpgm
	.section	.rodata,"a",@progbits
	.p2align	6, 0x0
	.amdhsa_kernel _Z39paged_attention_ll4mi_QKV_mfma16_kernelIDF16_DF16_LN4vllm18Fp8KVCacheDataTypeE0EhLi32ELi128ELi256ELb1ELi14EL8MFMAType0EEvPKT_PKT0_S8_ifPKiSA_SA_iPKfiiiPfSD_PS3_PT2_iSC_SC_
		.amdhsa_group_segment_fixed_size 17472
		.amdhsa_private_segment_fixed_size 0
		.amdhsa_kernarg_size 400
		.amdhsa_user_sgpr_count 13
		.amdhsa_user_sgpr_dispatch_ptr 0
		.amdhsa_user_sgpr_queue_ptr 0
		.amdhsa_user_sgpr_kernarg_segment_ptr 1
		.amdhsa_user_sgpr_dispatch_id 0
		.amdhsa_user_sgpr_private_segment_size 0
		.amdhsa_wavefront_size32 1
		.amdhsa_uses_dynamic_stack 0
		.amdhsa_enable_private_segment 0
		.amdhsa_system_sgpr_workgroup_id_x 1
		.amdhsa_system_sgpr_workgroup_id_y 1
		.amdhsa_system_sgpr_workgroup_id_z 1
		.amdhsa_system_sgpr_workgroup_info 0
		.amdhsa_system_vgpr_workitem_id 0
		.amdhsa_next_free_vgpr 172
		.amdhsa_next_free_sgpr 38
		.amdhsa_reserve_vcc 1
		.amdhsa_float_round_mode_32 0
		.amdhsa_float_round_mode_16_64 0
		.amdhsa_float_denorm_mode_32 3
		.amdhsa_float_denorm_mode_16_64 3
		.amdhsa_dx10_clamp 1
		.amdhsa_ieee_mode 1
		.amdhsa_fp16_overflow 0
		.amdhsa_workgroup_processor_mode 1
		.amdhsa_memory_ordered 1
		.amdhsa_forward_progress 0
		.amdhsa_shared_vgpr_count 0
		.amdhsa_exception_fp_ieee_invalid_op 0
		.amdhsa_exception_fp_denorm_src 0
		.amdhsa_exception_fp_ieee_div_zero 0
		.amdhsa_exception_fp_ieee_overflow 0
		.amdhsa_exception_fp_ieee_underflow 0
		.amdhsa_exception_fp_ieee_inexact 0
		.amdhsa_exception_int_div_zero 0
	.end_amdhsa_kernel
	.section	.text._Z39paged_attention_ll4mi_QKV_mfma16_kernelIDF16_DF16_LN4vllm18Fp8KVCacheDataTypeE0EhLi32ELi128ELi256ELb1ELi14EL8MFMAType0EEvPKT_PKT0_S8_ifPKiSA_SA_iPKfiiiPfSD_PS3_PT2_iSC_SC_,"axG",@progbits,_Z39paged_attention_ll4mi_QKV_mfma16_kernelIDF16_DF16_LN4vllm18Fp8KVCacheDataTypeE0EhLi32ELi128ELi256ELb1ELi14EL8MFMAType0EEvPKT_PKT0_S8_ifPKiSA_SA_iPKfiiiPfSD_PS3_PT2_iSC_SC_,comdat
.Lfunc_end319:
	.size	_Z39paged_attention_ll4mi_QKV_mfma16_kernelIDF16_DF16_LN4vllm18Fp8KVCacheDataTypeE0EhLi32ELi128ELi256ELb1ELi14EL8MFMAType0EEvPKT_PKT0_S8_ifPKiSA_SA_iPKfiiiPfSD_PS3_PT2_iSC_SC_, .Lfunc_end319-_Z39paged_attention_ll4mi_QKV_mfma16_kernelIDF16_DF16_LN4vllm18Fp8KVCacheDataTypeE0EhLi32ELi128ELi256ELb1ELi14EL8MFMAType0EEvPKT_PKT0_S8_ifPKiSA_SA_iPKfiiiPfSD_PS3_PT2_iSC_SC_
                                        ; -- End function
	.section	.AMDGPU.csdata,"",@progbits
; Kernel info:
; codeLenInByte = 7660
; NumSgprs: 40
; NumVgprs: 172
; ScratchSize: 0
; MemoryBound: 0
; FloatMode: 240
; IeeeMode: 1
; LDSByteSize: 17472 bytes/workgroup (compile time only)
; SGPRBlocks: 4
; VGPRBlocks: 21
; NumSGPRsForWavesPerEU: 40
; NumVGPRsForWavesPerEU: 172
; Occupancy: 8
; WaveLimiterHint : 1
; COMPUTE_PGM_RSRC2:SCRATCH_EN: 0
; COMPUTE_PGM_RSRC2:USER_SGPR: 13
; COMPUTE_PGM_RSRC2:TRAP_HANDLER: 0
; COMPUTE_PGM_RSRC2:TGID_X_EN: 1
; COMPUTE_PGM_RSRC2:TGID_Y_EN: 1
; COMPUTE_PGM_RSRC2:TGID_Z_EN: 1
; COMPUTE_PGM_RSRC2:TIDIG_COMP_CNT: 0
	.section	.text._Z39paged_attention_ll4mi_QKV_mfma16_kernelIDF16_DF16_LN4vllm18Fp8KVCacheDataTypeE0EhLi32ELi128ELi256ELb1ELi15EL8MFMAType0EEvPKT_PKT0_S8_ifPKiSA_SA_iPKfiiiPfSD_PS3_PT2_iSC_SC_,"axG",@progbits,_Z39paged_attention_ll4mi_QKV_mfma16_kernelIDF16_DF16_LN4vllm18Fp8KVCacheDataTypeE0EhLi32ELi128ELi256ELb1ELi15EL8MFMAType0EEvPKT_PKT0_S8_ifPKiSA_SA_iPKfiiiPfSD_PS3_PT2_iSC_SC_,comdat
	.protected	_Z39paged_attention_ll4mi_QKV_mfma16_kernelIDF16_DF16_LN4vllm18Fp8KVCacheDataTypeE0EhLi32ELi128ELi256ELb1ELi15EL8MFMAType0EEvPKT_PKT0_S8_ifPKiSA_SA_iPKfiiiPfSD_PS3_PT2_iSC_SC_ ; -- Begin function _Z39paged_attention_ll4mi_QKV_mfma16_kernelIDF16_DF16_LN4vllm18Fp8KVCacheDataTypeE0EhLi32ELi128ELi256ELb1ELi15EL8MFMAType0EEvPKT_PKT0_S8_ifPKiSA_SA_iPKfiiiPfSD_PS3_PT2_iSC_SC_
	.globl	_Z39paged_attention_ll4mi_QKV_mfma16_kernelIDF16_DF16_LN4vllm18Fp8KVCacheDataTypeE0EhLi32ELi128ELi256ELb1ELi15EL8MFMAType0EEvPKT_PKT0_S8_ifPKiSA_SA_iPKfiiiPfSD_PS3_PT2_iSC_SC_
	.p2align	8
	.type	_Z39paged_attention_ll4mi_QKV_mfma16_kernelIDF16_DF16_LN4vllm18Fp8KVCacheDataTypeE0EhLi32ELi128ELi256ELb1ELi15EL8MFMAType0EEvPKT_PKT0_S8_ifPKiSA_SA_iPKfiiiPfSD_PS3_PT2_iSC_SC_,@function
_Z39paged_attention_ll4mi_QKV_mfma16_kernelIDF16_DF16_LN4vllm18Fp8KVCacheDataTypeE0EhLi32ELi128ELi256ELb1ELi15EL8MFMAType0EEvPKT_PKT0_S8_ifPKiSA_SA_iPKfiiiPfSD_PS3_PT2_iSC_SC_: ; @_Z39paged_attention_ll4mi_QKV_mfma16_kernelIDF16_DF16_LN4vllm18Fp8KVCacheDataTypeE0EhLi32ELi128ELi256ELb1ELi15EL8MFMAType0EEvPKT_PKT0_S8_ifPKiSA_SA_iPKfiiiPfSD_PS3_PT2_iSC_SC_
; %bb.0:
	s_load_b64 s[2:3], s[0:1], 0x30
	s_mov_b32 s34, s13
	s_waitcnt lgkmcnt(0)
	s_cmp_lg_u64 s[2:3], 0
	s_cselect_b32 s6, -1, 0
	s_ashr_i32 s35, s13, 31
	s_cmp_eq_u64 s[2:3], 0
	s_cbranch_scc1 .LBB320_3
; %bb.1:
	s_lshl_b64 s[4:5], s[34:35], 2
	s_delay_alu instid0(SALU_CYCLE_1) | instskip(SKIP_4) | instid1(SALU_CYCLE_1)
	s_add_u32 s4, s2, s4
	s_addc_u32 s5, s3, s5
	s_load_b64 s[4:5], s[4:5], 0x0
	s_waitcnt lgkmcnt(0)
	s_sub_i32 s4, s5, s4
	s_cmp_eq_u32 s4, 1
	s_cselect_b32 s4, -1, 0
	s_delay_alu instid0(SALU_CYCLE_1)
	s_and_not1_b32 vcc_lo, exec_lo, s4
	s_cbranch_vccz .LBB320_4
.LBB320_2:
	s_nop 0
	s_sendmsg sendmsg(MSG_DEALLOC_VGPRS)
	s_endpgm
.LBB320_3:
.LBB320_4:
	s_load_b64 s[8:9], s[0:1], 0x28
	s_lshl_b64 s[4:5], s[34:35], 2
	s_waitcnt lgkmcnt(0)
	s_add_u32 s8, s8, s4
	s_addc_u32 s9, s9, s5
	s_lshl_b32 s12, s14, 8
	s_load_b32 s17, s[8:9], 0x0
	s_waitcnt lgkmcnt(0)
	s_cmp_ge_i32 s12, s17
	s_cbranch_scc1 .LBB320_2
; %bb.5:
	s_and_not1_b32 vcc_lo, exec_lo, s6
	s_cbranch_vccnz .LBB320_7
; %bb.6:
	s_add_u32 s2, s2, s4
	s_addc_u32 s3, s3, s5
	s_load_b32 s13, s[2:3], 0x0
	s_branch .LBB320_8
.LBB320_7:
	s_mov_b32 s13, s34
.LBB320_8:
	s_clause 0x2
	s_load_b128 s[8:11], s[0:1], 0x8
	s_load_b64 s[2:3], s[0:1], 0x20
	s_load_b128 s[4:7], s[0:1], 0x48
	v_lshrrev_b32_e32 v78, 5, v0
	v_bfe_u32 v75, v0, 4, 1
	v_and_b32_e32 v77, 15, v0
	s_waitcnt lgkmcnt(0)
	s_mov_b32 s7, exec_lo
	s_delay_alu instid0(VALU_DEP_2) | instskip(NEXT) | instid1(VALU_DEP_2)
	v_lshl_or_b32 v3, v78, 1, v75
	v_lshlrev_b32_e32 v1, 3, v77
	s_delay_alu instid0(VALU_DEP_2)
	v_cmpx_lt_u32_e32 14, v3
	s_xor_b32 s7, exec_lo, s7
; %bb.9:
	v_mov_b32_e32 v2, 0
                                        ; implicit-def: $vgpr3
; %bb.10:
	s_or_saveexec_b32 s7, s7
	v_and_b32_e32 v80, 31, v0
	v_and_b32_e32 v76, 1, v0
	s_mul_i32 s31, s15, 15
	s_xor_b32 exec_lo, exec_lo, s7
	s_cbranch_execz .LBB320_12
; %bb.11:
	s_load_b64 s[18:19], s[0:1], 0x0
	v_add_lshl_u32 v4, v3, s31, 7
	s_mul_hi_i32 s21, s13, s4
	s_mul_i32 s20, s13, s4
	v_lshlrev_b32_e32 v2, 1, v1
	s_lshl_b64 s[20:21], s[20:21], 1
	v_ashrrev_i32_e32 v5, 31, v4
	v_lshlrev_b32_e32 v3, 6, v3
	v_lshlrev_b32_e32 v8, 10, v76
	s_delay_alu instid0(VALU_DEP_3) | instskip(SKIP_3) | instid1(VALU_DEP_1)
	v_lshlrev_b64 v[4:5], 1, v[4:5]
	s_waitcnt lgkmcnt(0)
	s_add_u32 s4, s18, s20
	s_addc_u32 s13, s19, s21
	v_add_co_u32 v4, vcc_lo, s4, v4
	s_delay_alu instid0(VALU_DEP_2) | instskip(NEXT) | instid1(VALU_DEP_2)
	v_add_co_ci_u32_e32 v5, vcc_lo, s13, v5, vcc_lo
	v_add_co_u32 v4, vcc_lo, v4, v2
	s_delay_alu instid0(VALU_DEP_2) | instskip(SKIP_3) | instid1(VALU_DEP_1)
	v_add_co_ci_u32_e32 v5, vcc_lo, 0, v5, vcc_lo
	v_lshlrev_b32_e32 v2, 10, v77
	global_load_b128 v[4:7], v[4:5], off
	v_and_b32_e32 v2, 0x3800, v2
	v_or3_b32 v3, v2, v8, v3
	v_mov_b32_e32 v2, 0
	s_waitcnt vmcnt(0)
	ds_store_b128 v3, v[4:7]
.LBB320_12:
	s_or_b32 exec_lo, exec_lo, s7
	v_and_b32_e32 v3, 0xef, v0
	s_add_i32 s4, s17, 31
	s_clause 0x1
	s_load_b32 s7, s[0:1], 0x38
	s_load_b32 s33, s[0:1], 0x98
	s_ashr_i32 s13, s4, 31
	v_add_nc_u32_e32 v3, s12, v3
	s_lshr_b32 s13, s13, 27
	s_load_b32 s18, s[0:1], 0x1c
	s_add_i32 s4, s4, s13
	s_waitcnt lgkmcnt(0)
	v_ashrrev_i32_e32 v4, 31, v3
	v_cmp_gt_i32_e32 vcc_lo, s17, v3
	s_ashr_i32 s4, s4, 5
	s_barrier
	s_add_i32 s4, s4, -1
	v_lshrrev_b32_e32 v5, 27, v4
	v_or_b32_e32 v4, 16, v3
	buffer_gl0_inv
	v_lshlrev_b64 v[73:74], 1, v[1:2]
	v_lshlrev_b32_e32 v79, 6, v77
	v_add_nc_u32_e32 v6, v3, v5
	v_add_nc_u32_e32 v5, v4, v5
	s_mul_i32 s20, s34, s7
	s_delay_alu instid0(SALU_CYCLE_1) | instskip(NEXT) | instid1(VALU_DEP_2)
	s_ashr_i32 s21, s20, 31
	v_ashrrev_i32_e32 v6, 5, v6
	s_delay_alu instid0(VALU_DEP_2) | instskip(SKIP_1) | instid1(SALU_CYCLE_1)
	v_ashrrev_i32_e32 v5, 5, v5
	s_lshl_b64 s[20:21], s[20:21], 2
	s_add_u32 s13, s2, s20
	s_delay_alu instid0(VALU_DEP_2) | instskip(SKIP_3) | instid1(SALU_CYCLE_1)
	v_cndmask_b32_e32 v3, s4, v6, vcc_lo
	v_cmp_gt_i32_e32 vcc_lo, s17, v4
	s_addc_u32 s16, s3, s21
	s_mul_i32 s2, s15, s6
	s_ashr_i32 s3, s2, 31
	v_cndmask_b32_e32 v5, s4, v5, vcc_lo
	v_ashrrev_i32_e32 v4, 31, v3
	s_lshl_b64 s[2:3], s[2:3], 1
	s_delay_alu instid0(SALU_CYCLE_1) | instskip(NEXT) | instid1(VALU_DEP_2)
	s_add_u32 s15, s8, s2
	v_ashrrev_i32_e32 v6, 31, v5
	s_delay_alu instid0(VALU_DEP_2) | instskip(SKIP_2) | instid1(VALU_DEP_2)
	v_lshlrev_b64 v[3:4], 2, v[3:4]
	s_addc_u32 s19, s9, s3
	s_lshl_b32 s6, s14, 3
	v_lshlrev_b64 v[5:6], 2, v[5:6]
	s_ashr_i32 s7, s6, 31
	s_delay_alu instid0(VALU_DEP_2) | instskip(SKIP_1) | instid1(VALU_DEP_3)
	v_add_co_u32 v3, vcc_lo, s13, v3
	v_add_co_ci_u32_e32 v4, vcc_lo, s16, v4, vcc_lo
	v_add_co_u32 v5, vcc_lo, s13, v5
	s_delay_alu instid0(VALU_DEP_4)
	v_add_co_ci_u32_e32 v6, vcc_lo, s16, v6, vcc_lo
	s_lshl_b64 s[6:7], s[6:7], 2
	s_clause 0x1
	global_load_b32 v7, v[3:4], off
	global_load_b32 v8, v[5:6], off
	s_add_u32 s6, s13, s6
	s_addc_u32 s7, s16, s7
	s_or_b32 s8, s12, 32
	s_delay_alu instid0(SALU_CYCLE_1) | instskip(SKIP_2) | instid1(SALU_CYCLE_1)
	s_ashr_i32 s9, s8, 5
	s_cmp_lt_i32 s8, s17
	s_cselect_b32 s8, s9, s4
	s_ashr_i32 s9, s8, 31
	s_delay_alu instid0(SALU_CYCLE_1) | instskip(NEXT) | instid1(SALU_CYCLE_1)
	s_lshl_b64 s[8:9], s[8:9], 2
	s_add_u32 s8, s13, s8
	s_addc_u32 s9, s16, s9
	s_or_b32 s20, s12, 64
	s_delay_alu instid0(SALU_CYCLE_1) | instskip(SKIP_2) | instid1(SALU_CYCLE_1)
	s_ashr_i32 s21, s20, 5
	s_cmp_lt_i32 s20, s17
	s_cselect_b32 s20, s21, s4
	s_ashr_i32 s21, s20, 31
	s_delay_alu instid0(SALU_CYCLE_1) | instskip(NEXT) | instid1(SALU_CYCLE_1)
	s_lshl_b64 s[20:21], s[20:21], 2
	;; [unrolled: 10-line block ×5, first 2 shown]
	s_add_u32 s26, s13, s26
	s_addc_u32 s27, s16, s27
	s_clause 0x5
	s_load_b32 s28, s[6:7], 0x0
	s_load_b32 s29, s[8:9], 0x0
	;; [unrolled: 1-line block ×6, first 2 shown]
	s_mov_b32 s20, 0
	s_or_b32 s6, s12, 0xc0
	s_mov_b32 s21, s20
	s_mov_b32 s22, s20
	s_mov_b32 s23, s20
	s_mov_b32 s24, s20
	s_mov_b32 s25, s20
	s_mov_b32 s26, s20
	s_mov_b32 s27, s20
	s_ashr_i32 s7, s6, 5
	v_mov_b32_e32 v128, s27
	s_cmp_lt_i32 s6, s17
	v_mov_b32_e32 v127, s26
	s_cselect_b32 s6, s7, s4
	v_mov_b32_e32 v126, s25
	s_ashr_i32 s7, s6, 31
	v_mov_b32_e32 v125, s24
	s_lshl_b64 s[6:7], s[6:7], 2
	v_mov_b32_e32 v124, s23
	s_add_u32 s6, s13, s6
	s_addc_u32 s7, s16, s7
	v_mov_b32_e32 v123, s22
	v_mov_b32_e32 v121, s20
	s_waitcnt lgkmcnt(0)
	s_mul_hi_i32 s9, s28, s5
	s_mul_i32 s8, s28, s5
	s_mul_hi_i32 s37, s38, s5
	v_mov_b32_e32 v122, s21
	s_mul_hi_i32 s21, s29, s5
	s_mul_i32 s20, s29, s5
	s_mul_hi_i32 s25, s30, s5
	s_mul_i32 s24, s30, s5
	;; [unrolled: 2-line block ×3, first 2 shown]
	s_waitcnt vmcnt(1)
	v_mad_i64_i32 v[3:4], null, v7, s5, 0
	s_waitcnt vmcnt(0)
	v_mad_i64_i32 v[5:6], null, v8, s5, 0
	s_delay_alu instid0(VALU_DEP_2) | instskip(NEXT) | instid1(VALU_DEP_2)
	v_lshlrev_b64 v[3:4], 1, v[3:4]
	v_lshlrev_b64 v[1:2], 1, v[5:6]
	s_delay_alu instid0(VALU_DEP_2) | instskip(NEXT) | instid1(VALU_DEP_3)
	v_add_co_u32 v3, vcc_lo, s15, v3
	v_add_co_ci_u32_e32 v4, vcc_lo, s19, v4, vcc_lo
	s_delay_alu instid0(VALU_DEP_3) | instskip(NEXT) | instid1(VALU_DEP_4)
	v_add_co_u32 v1, vcc_lo, s15, v1
	v_add_co_ci_u32_e32 v2, vcc_lo, s19, v2, vcc_lo
	s_delay_alu instid0(VALU_DEP_4) | instskip(NEXT) | instid1(VALU_DEP_4)
	v_add_co_u32 v65, vcc_lo, v3, v73
	v_add_co_ci_u32_e32 v66, vcc_lo, v4, v74, vcc_lo
	s_delay_alu instid0(VALU_DEP_4) | instskip(NEXT) | instid1(VALU_DEP_4)
	v_add_co_u32 v67, vcc_lo, v1, v73
	v_add_co_ci_u32_e32 v68, vcc_lo, v2, v74, vcc_lo
	s_clause 0xf
	global_load_b128 v[1:4], v[65:66], off
	global_load_b128 v[5:8], v[65:66], off offset:512
	global_load_b128 v[9:12], v[67:68], off offset:256
	;; [unrolled: 1-line block ×15, first 2 shown]
	v_add_co_u32 v157, vcc_lo, 0x1000, v65
	v_add_co_ci_u32_e32 v158, vcc_lo, 0, v66, vcc_lo
	v_add_co_u32 v165, vcc_lo, 0x1000, v67
	v_add_co_ci_u32_e32 v166, vcc_lo, 0, v68, vcc_lo
	s_clause 0x7
	global_load_b128 v[81:84], v[157:158], off
	global_load_b128 v[85:88], v[157:158], off offset:512
	global_load_b128 v[89:92], v[165:166], off offset:256
	;; [unrolled: 1-line block ×7, first 2 shown]
	v_cmp_ne_u32_e32 vcc_lo, 15, v77
	s_or_b32 s15, s12, 0xe0
	s_delay_alu instid0(SALU_CYCLE_1) | instskip(SKIP_3) | instid1(SALU_CYCLE_1)
	s_ashr_i32 s19, s15, 5
	s_cmp_lt_i32 s15, s17
	v_cndmask_b32_e32 v65, 0, v77, vcc_lo
	s_cselect_b32 s22, s19, s4
	s_ashr_i32 s23, s22, 31
	s_delay_alu instid0(VALU_DEP_1)
	v_lshlrev_b32_e32 v169, 6, v65
	ds_load_b128 v[65:68], v169
	ds_load_b128 v[69:72], v169 offset:1024
	s_clause 0x1
	global_load_b128 v[113:116], v[157:158], off offset:2048
	global_load_b128 v[117:120], v[157:158], off offset:2560
	ds_load_b128 v[129:132], v169 offset:2048
	ds_load_b128 v[133:136], v169 offset:3072
	s_clause 0x5
	global_load_b128 v[145:148], v[165:166], off offset:2304
	global_load_b128 v[149:152], v[165:166], off offset:2816
	;; [unrolled: 1-line block ×6, first 2 shown]
	s_lshl_b64 s[22:23], s[22:23], 2
	s_delay_alu instid0(SALU_CYCLE_1) | instskip(SKIP_2) | instid1(SALU_CYCLE_1)
	s_add_u32 s22, s13, s22
	s_addc_u32 s23, s16, s23
	s_add_i32 s15, s12, 0x100
	s_ashr_i32 s19, s15, 5
	s_cmp_lt_i32 s15, s17
	s_cselect_b32 s28, s19, s4
	s_delay_alu instid0(SALU_CYCLE_1) | instskip(NEXT) | instid1(SALU_CYCLE_1)
	s_ashr_i32 s29, s28, 31
	s_lshl_b64 s[28:29], s[28:29], 2
	s_delay_alu instid0(SALU_CYCLE_1)
	s_add_u32 s28, s13, s28
	s_addc_u32 s29, s16, s29
	s_add_u32 s4, s10, s2
	s_addc_u32 s19, s11, s3
	s_lshl_b64 s[2:3], s[8:9], 1
	s_lshl_b64 s[8:9], s[20:21], 1
	;; [unrolled: 1-line block ×4, first 2 shown]
	s_waitcnt vmcnt(30) lgkmcnt(2)
	v_wmma_f32_16x16x16_f16 v[137:144], v[1:8], v[65:72], v[121:128]
	ds_load_b128 v[1:4], v169 offset:4096
	ds_load_b128 v[5:8], v169 offset:5120
	s_waitcnt vmcnt(28)
	v_wmma_f32_16x16x16_f16 v[121:128], v[9:16], v[65:72], v[121:128]
	ds_load_b128 v[9:12], v169 offset:6144
	ds_load_b128 v[13:16], v169 offset:7168
	s_waitcnt vmcnt(26) lgkmcnt(4)
	v_wmma_f32_16x16x16_f16 v[137:144], v[17:24], v[129:136], v[137:144]
	ds_load_b128 v[17:20], v169 offset:8192
	ds_load_b128 v[21:24], v169 offset:9216
	s_waitcnt vmcnt(24)
	v_wmma_f32_16x16x16_f16 v[121:128], v[25:32], v[129:136], v[121:128]
	v_lshl_or_b32 v25, v78, 10, v79
	ds_load_b128 v[129:132], v169 offset:10240
	ds_load_b128 v[133:136], v169 offset:11264
	s_clause 0x2
	s_load_b32 s15, s[6:7], 0x0
	s_load_b32 s13, s[22:23], 0x0
	;; [unrolled: 1-line block ×3, first 2 shown]
	s_mul_hi_i32 s7, s36, s5
	v_add_co_u32 v170, s4, s4, v25
	s_delay_alu instid0(VALU_DEP_1)
	v_add_co_ci_u32_e64 v171, null, s19, 0, s4
	s_mul_i32 s6, s36, s5
	s_mul_i32 s36, s38, s5
	s_lshl_b64 s[6:7], s[6:7], 1
	s_lshl_b64 s[22:23], s[36:37], 1
	s_waitcnt vmcnt(22) lgkmcnt(0)
	v_wmma_f32_16x16x16_f16 v[137:144], v[33:40], v[1:8], v[137:144]
	s_waitcnt vmcnt(20)
	v_wmma_f32_16x16x16_f16 v[121:128], v[41:48], v[1:8], v[121:128]
	v_add_co_u32 v1, vcc_lo, v170, s2
	v_add_co_ci_u32_e32 v2, vcc_lo, s3, v171, vcc_lo
	v_add_co_u32 v3, vcc_lo, v170, s8
	v_add_co_ci_u32_e32 v4, vcc_lo, s9, v171, vcc_lo
	;; [unrolled: 2-line block ×4, first 2 shown]
	v_add_co_u32 v25, vcc_lo, v170, s6
	s_mul_hi_i32 s25, s15, s5
	s_mul_i32 s24, s15, s5
	v_add_co_ci_u32_e32 v26, vcc_lo, s7, v171, vcc_lo
	v_add_co_u32 v27, vcc_lo, v170, s22
	s_lshl_b64 s[24:25], s[24:25], 1
	s_waitcnt vmcnt(18)
	v_wmma_f32_16x16x16_f16 v[137:144], v[49:56], v[9:16], v[137:144]
	s_waitcnt vmcnt(16)
	v_wmma_f32_16x16x16_f16 v[121:128], v[57:64], v[9:16], v[121:128]
	v_add_co_ci_u32_e32 v28, vcc_lo, s23, v171, vcc_lo
	s_mul_hi_i32 s3, s13, s5
	s_mul_i32 s2, s13, s5
	v_add_co_u32 v29, vcc_lo, v170, s24
	s_lshl_b64 s[2:3], s[2:3], 1
	v_add_co_ci_u32_e32 v30, vcc_lo, s25, v171, vcc_lo
	s_waitcnt vmcnt(14)
	v_wmma_f32_16x16x16_f16 v[137:144], v[81:88], v[17:24], v[137:144]
	s_waitcnt vmcnt(12)
	v_wmma_f32_16x16x16_f16 v[121:128], v[89:96], v[17:24], v[121:128]
	v_add_co_u32 v17, vcc_lo, v170, s2
	v_add_co_ci_u32_e32 v18, vcc_lo, s3, v171, vcc_lo
	s_mul_hi_i32 s3, s16, s5
	s_mul_i32 s2, s16, s5
	s_clause 0x5
	global_load_b128 v[65:68], v[1:2], off
	global_load_b128 v[69:72], v[1:2], off offset:16
	global_load_b128 v[57:60], v[3:4], off
	global_load_b128 v[61:64], v[3:4], off offset:16
	;; [unrolled: 2-line block ×3, first 2 shown]
	s_lshl_b64 s[2:3], s[2:3], 1
	s_clause 0x1
	global_load_b128 v[41:44], v[7:8], off
	global_load_b128 v[45:48], v[7:8], off offset:16
	v_add_co_u32 v21, vcc_lo, v170, s2
	v_add_co_ci_u32_e32 v22, vcc_lo, s3, v171, vcc_lo
	s_clause 0x9
	global_load_b128 v[9:12], v[25:26], off
	global_load_b128 v[13:16], v[25:26], off offset:16
	global_load_b128 v[1:4], v[27:28], off
	global_load_b128 v[5:8], v[27:28], off offset:16
	;; [unrolled: 2-line block ×5, first 2 shown]
	ds_load_b128 v[81:84], v169 offset:12288
	ds_load_b128 v[85:88], v169 offset:13312
	v_and_b32_e32 v89, 0xe0, v0
	s_waitcnt vmcnt(28)
	v_wmma_f32_16x16x16_f16 v[137:144], v[97:104], v[129:136], v[137:144]
	v_mbcnt_lo_u32_b32 v97, -1, 0
	s_waitcnt vmcnt(26)
	v_wmma_f32_16x16x16_f16 v[121:128], v[105:112], v[129:136], v[121:128]
	v_add_nc_u32_e32 v98, s12, v89
	ds_load_b128 v[89:92], v169 offset:14336
	ds_load_b128 v[93:96], v169 offset:15360
	v_xor_b32_e32 v99, 16, v97
	s_waitcnt vmcnt(0) lgkmcnt(0)
	s_barrier
	v_or_b32_e32 v98, v98, v75
	buffer_gl0_inv
	v_cmp_gt_i32_e32 vcc_lo, 32, v99
	v_or_b32_e32 v100, 4, v98
	v_or_b32_e32 v101, 22, v98
	;; [unrolled: 1-line block ×4, first 2 shown]
	v_wmma_f32_16x16x16_f16 v[137:144], v[113:120], v[81:88], v[137:144]
	v_wmma_f32_16x16x16_f16 v[121:128], v[145:152], v[81:88], v[121:128]
	v_or_b32_e32 v81, 6, v98
	v_or_b32_e32 v82, 8, v98
	;; [unrolled: 1-line block ×3, first 2 shown]
	v_cmp_gt_i32_e64 s3, s17, v100
	v_or_b32_e32 v84, 12, v98
	v_wmma_f32_16x16x16_f16 v[137:144], v[153:160], v[89:96], v[137:144]
	v_wmma_f32_16x16x16_f16 v[121:128], v[161:168], v[89:96], v[121:128]
	v_cndmask_b32_e32 v97, v97, v99, vcc_lo
	v_or_b32_e32 v99, 2, v98
	v_cmp_gt_i32_e32 vcc_lo, s17, v98
	v_dual_mul_f32 v95, s18, v138 :: v_dual_mul_f32 v96, s18, v137
	v_mul_f32_e32 v93, s18, v140
	s_delay_alu instid0(VALU_DEP_4)
	v_cmp_gt_i32_e64 s2, s17, v99
	v_mul_f32_e32 v94, s18, v139
	v_mul_f32_e32 v108, s18, v126
	v_cndmask_b32_e32 v96, 0xff7fffff, v96, vcc_lo
	v_cmp_gt_i32_e64 s4, s17, v81
	v_cndmask_b32_e64 v95, 0xff7fffff, v95, s2
	v_or_b32_e32 v85, 14, v98
	v_dual_mul_f32 v91, s18, v142 :: v_dual_mul_f32 v110, s18, v124
	v_mul_f32_e32 v92, s18, v141
	v_cndmask_b32_e64 v94, 0xff7fffff, v94, s3
	v_cndmask_b32_e64 v81, 0xff7fffff, v93, s4
	v_max3_f32 v93, v96, 0xff7fffff, v95
	v_cmp_gt_i32_e64 s5, s17, v82
	v_cmp_gt_i32_e64 s6, s17, v83
	v_or_b32_e32 v86, 16, v98
	v_or_b32_e32 v87, 18, v98
	v_dual_mul_f32 v89, s18, v144 :: v_dual_mul_f32 v112, s18, v122
	v_mul_f32_e32 v90, s18, v143
	v_cndmask_b32_e64 v82, 0xff7fffff, v92, s5
	v_cndmask_b32_e64 v83, 0xff7fffff, v91, s6
	v_max3_f32 v81, v93, v94, v81
	v_cmp_gt_i32_e64 s7, s17, v84
	v_cmp_gt_i32_e64 s8, s17, v85
	v_or_b32_e32 v88, 20, v98
	v_mul_f32_e32 v113, s18, v121
	v_max3_f32 v81, v81, v82, v83
	v_cndmask_b32_e64 v84, 0xff7fffff, v90, s7
	v_cndmask_b32_e64 v85, 0xff7fffff, v89, s8
	v_cmp_gt_i32_e64 s9, s17, v86
	v_cmp_gt_i32_e64 s10, s17, v87
	v_mul_f32_e32 v111, s18, v123
	v_cmp_gt_i32_e64 s11, s17, v88
	v_max3_f32 v81, v81, v84, v85
	v_cndmask_b32_e64 v82, 0xff7fffff, v113, s9
	v_cndmask_b32_e64 v83, 0xff7fffff, v112, s10
	v_cmp_gt_i32_e64 s12, s17, v101
	v_or_b32_e32 v104, 28, v98
	v_or_b32_e32 v105, 30, v98
	v_mul_f32_e32 v109, s18, v125
	v_cndmask_b32_e64 v84, 0xff7fffff, v111, s11
	v_cndmask_b32_e64 v85, 0xff7fffff, v110, s12
	v_max3_f32 v81, v81, v82, v83
	v_cmp_gt_i32_e64 s13, s17, v102
	v_cmp_gt_i32_e64 s15, s17, v103
	v_dual_mul_f32 v106, s18, v128 :: v_dual_mul_f32 v107, s18, v127
	s_delay_alu instid0(VALU_DEP_4) | instskip(NEXT) | instid1(VALU_DEP_4)
	v_max3_f32 v81, v81, v84, v85
	v_cndmask_b32_e64 v82, 0xff7fffff, v109, s13
	s_delay_alu instid0(VALU_DEP_4) | instskip(SKIP_2) | instid1(VALU_DEP_3)
	v_cndmask_b32_e64 v83, 0xff7fffff, v108, s15
	v_cmp_gt_i32_e64 s16, s17, v104
	v_cmp_gt_i32_e64 s17, s17, v105
	v_max3_f32 v81, v81, v82, v83
	s_delay_alu instid0(VALU_DEP_3) | instskip(NEXT) | instid1(VALU_DEP_3)
	v_cndmask_b32_e64 v84, 0xff7fffff, v107, s16
	v_cndmask_b32_e64 v85, 0xff7fffff, v106, s17
	v_lshlrev_b32_e32 v83, 2, v97
	s_delay_alu instid0(VALU_DEP_2) | instskip(SKIP_3) | instid1(VALU_DEP_1)
	v_max3_f32 v81, v81, v84, v85
	ds_bpermute_b32 v82, v83, v81
	s_waitcnt lgkmcnt(0)
	v_max_f32_e32 v82, v82, v82
	v_max_f32_e32 v81, v81, v82
	s_delay_alu instid0(VALU_DEP_1)
	v_fma_f32 v82, s18, v137, -v81
	v_fma_f32 v84, s18, v138, -v81
	;; [unrolled: 1-line block ×5, first 2 shown]
	v_mul_f32_e32 v82, 0x3fb8aa3b, v82
	s_delay_alu instid0(VALU_DEP_4) | instskip(NEXT) | instid1(VALU_DEP_3)
	v_dual_mul_f32 v84, 0x3fb8aa3b, v84 :: v_dual_mul_f32 v89, 0x3fb8aa3b, v87
	v_mul_f32_e32 v86, 0x3fb8aa3b, v86
	s_delay_alu instid0(VALU_DEP_3) | instskip(NEXT) | instid1(VALU_DEP_2)
	v_exp_f32_e32 v82, v82
	v_exp_f32_e32 v84, v84
	s_delay_alu instid0(VALU_DEP_2) | instskip(NEXT) | instid1(VALU_DEP_1)
	v_exp_f32_e32 v92, v89
	v_exp_f32_e32 v86, v86
	v_cndmask_b32_e32 v88, 0, v82, vcc_lo
	s_delay_alu instid0(TRANS32_DEP_3)
	v_cndmask_b32_e64 v87, 0, v84, s2
	s_waitcnt_depctr 0xfff
	v_cndmask_b32_e64 v92, 0, v92, s5
	v_cmp_gt_u32_e64 s2, 16, v80
	v_cndmask_b32_e64 v89, 0, v86, s4
	v_add_f32_e32 v84, 0, v88
	s_delay_alu instid0(VALU_DEP_1) | instskip(NEXT) | instid1(VALU_DEP_1)
	v_dual_add_f32 v84, v84, v87 :: v_dual_mul_f32 v85, 0x3fb8aa3b, v85
	v_exp_f32_e32 v85, v85
	s_waitcnt_depctr 0xfff
	v_cndmask_b32_e64 v90, 0, v85, s3
	s_delay_alu instid0(VALU_DEP_1) | instskip(NEXT) | instid1(VALU_DEP_1)
	v_add_f32_e32 v84, v84, v90
	v_add_f32_e32 v84, v84, v89
	v_fma_f32 v82, s18, v142, -v81
	v_fma_f32 v91, s18, v143, -v81
	;; [unrolled: 1-line block ×5, first 2 shown]
	s_delay_alu instid0(VALU_DEP_4) | instskip(SKIP_1) | instid1(VALU_DEP_4)
	v_dual_mul_f32 v82, 0x3fb8aa3b, v82 :: v_dual_mul_f32 v91, 0x3fb8aa3b, v91
	v_fma_f32 v96, s18, v124, -v81
	v_mul_f32_e32 v86, 0x3fb8aa3b, v86
	v_fma_f32 v99, s18, v127, -v81
	s_delay_alu instid0(VALU_DEP_4) | instskip(SKIP_3) | instid1(VALU_DEP_1)
	v_exp_f32_e32 v82, v82
	v_exp_f32_e32 v93, v91
	v_mul_f32_e32 v97, 0x3fb8aa3b, v96
	v_exp_f32_e32 v86, v86
	v_exp_f32_e32 v97, v97
	v_cndmask_b32_e64 v91, 0, v82, s6
	v_dual_add_f32 v82, v84, v92 :: v_dual_mul_f32 v85, 0x3fb8aa3b, v85
	v_fma_f32 v84, s18, v123, -v81
	v_mul_f32_e32 v95, 0x3fb8aa3b, v94
	s_delay_alu instid0(TRANS32_DEP_3) | instskip(NEXT) | instid1(VALU_DEP_4)
	v_cndmask_b32_e64 v94, 0, v93, s7
	v_add_f32_e32 v82, v82, v91
	v_exp_f32_e32 v85, v85
	v_mul_f32_e32 v84, 0x3fb8aa3b, v84
	v_cndmask_b32_e64 v96, 0, v86, s9
	v_exp_f32_e32 v95, v95
	v_add_f32_e32 v82, v82, v94
	v_fma_f32 v86, s18, v126, -v81
	v_exp_f32_e32 v84, v84
	v_cndmask_b32_e64 v97, 0, v97, s12
	s_delay_alu instid0(TRANS32_DEP_3) | instskip(SKIP_2) | instid1(TRANS32_DEP_2)
	v_cndmask_b32_e64 v93, 0, v85, s8
	v_fma_f32 v85, s18, v125, -v81
	v_mul_f32_e32 v86, 0x3fb8aa3b, v86
	v_cndmask_b32_e64 v95, 0, v95, s10
	s_waitcnt_depctr 0xfff
	v_cndmask_b32_e64 v98, 0, v84, s11
	v_mul_f32_e32 v84, 0x3fb8aa3b, v99
	v_fma_f32 v99, s18, v128, -v81
	v_add_f32_e32 v82, v82, v93
	v_mul_f32_e32 v85, 0x3fb8aa3b, v85
	v_exp_f32_e32 v86, v86
	v_exp_f32_e32 v84, v84
	s_delay_alu instid0(VALU_DEP_1)
	v_exp_f32_e32 v85, v85
	s_waitcnt_depctr 0xfff
	v_cndmask_b32_e64 v102, 0, v84, s16
	v_cndmask_b32_e64 v100, 0, v85, s13
	v_dual_mul_f32 v85, 0x3fb8aa3b, v99 :: v_dual_add_f32 v82, v82, v96
	v_cndmask_b32_e64 v99, 0, v86, s15
	s_delay_alu instid0(VALU_DEP_2) | instskip(NEXT) | instid1(VALU_DEP_2)
	v_exp_f32_e32 v85, v85
	v_add_f32_e32 v82, v82, v95
	s_delay_alu instid0(VALU_DEP_1) | instskip(SKIP_3) | instid1(VALU_DEP_1)
	v_add_f32_e32 v82, v82, v98
	s_waitcnt_depctr 0xfff
	v_cndmask_b32_e64 v101, 0, v85, s17
	v_add_f32_e32 v82, v82, v97
	v_add_f32_e32 v82, v82, v100
	s_delay_alu instid0(VALU_DEP_1) | instskip(NEXT) | instid1(VALU_DEP_1)
	v_add_f32_e32 v82, v82, v99
	v_add_f32_e32 v82, v82, v102
	s_delay_alu instid0(VALU_DEP_1)
	v_add_f32_e32 v82, v82, v101
	ds_bpermute_b32 v83, v83, v82
	s_and_saveexec_b32 s3, s2
	s_cbranch_execz .LBB320_14
; %bb.13:
	v_mul_u32_u24_e32 v80, 0x44, v78
	s_waitcnt lgkmcnt(0)
	v_add_f32_e32 v82, v82, v83
	s_delay_alu instid0(VALU_DEP_2) | instskip(NEXT) | instid1(VALU_DEP_1)
	v_lshl_add_u32 v80, v77, 2, v80
	v_add_nc_u32_e32 v80, 0x4000, v80
	ds_store_2addr_b32 v80, v81, v82 offset1:136
.LBB320_14:
	s_or_b32 exec_lo, exec_lo, s3
	v_lshlrev_b32_e32 v80, 2, v77
	s_load_b32 s35, s[0:1], 0x94
	s_waitcnt lgkmcnt(0)
	s_barrier
	buffer_gl0_inv
	v_add_nc_u32_e32 v84, 0x4000, v80
	v_cmp_eq_u32_e32 vcc_lo, 1, v78
	v_cmp_eq_u32_e64 s3, 2, v78
	v_cmp_eq_u32_e64 s4, 3, v78
	v_cmp_eq_u32_e64 s5, 5, v78
	ds_load_2addr_b32 v[80:81], v84 offset1:17
	ds_load_2addr_b32 v[82:83], v84 offset0:34 offset1:51
	ds_load_2addr_b32 v[103:104], v84 offset0:68 offset1:85
	ds_load_2addr_b32 v[105:106], v84 offset0:102 offset1:119
	v_cmp_eq_u32_e64 s6, 7, v78
	s_waitcnt lgkmcnt(3)
	v_max3_f32 v85, v80, 0xff7fffff, v81
	s_waitcnt lgkmcnt(2)
	s_delay_alu instid0(VALU_DEP_1) | instskip(SKIP_1) | instid1(VALU_DEP_1)
	v_max3_f32 v85, v85, v82, v83
	s_waitcnt lgkmcnt(1)
	v_max3_f32 v85, v85, v103, v104
	s_waitcnt lgkmcnt(0)
	s_delay_alu instid0(VALU_DEP_1) | instskip(NEXT) | instid1(VALU_DEP_1)
	v_max3_f32 v85, v85, v105, v106
	v_sub_f32_e32 v103, v103, v85
	ds_load_2addr_b32 v[107:108], v84 offset0:136 offset1:153
	v_sub_f32_e32 v80, v80, v85
	v_dual_sub_f32 v110, v83, v85 :: v_dual_mul_f32 v113, 0x3fb8aa3b, v103
	s_delay_alu instid0(VALU_DEP_2) | instskip(SKIP_3) | instid1(VALU_DEP_1)
	v_dual_sub_f32 v86, v81, v85 :: v_dual_mul_f32 v109, 0x3fb8aa3b, v80
	ds_load_2addr_b32 v[80:81], v84 offset0:170 offset1:187
	v_mul_f32_e32 v86, 0x3fb8aa3b, v86
	v_exp_f32_e32 v109, v109
	v_exp_f32_e32 v112, v86
	v_mul_f32_e32 v110, 0x3fb8aa3b, v110
	s_waitcnt lgkmcnt(1)
	s_waitcnt_depctr 0xfff
	v_fma_f32 v86, v109, v107, 0
	v_sub_f32_e32 v107, v104, v85
	v_sub_f32_e32 v82, v82, v85
	v_exp_f32_e32 v110, v110
	ds_load_2addr_b32 v[103:104], v84 offset0:238 offset1:255
	v_dual_fmac_f32 v86, v112, v108 :: v_dual_mul_f32 v111, 0x3fb8aa3b, v82
	ds_load_2addr_b32 v[82:83], v84 offset0:204 offset1:221
	v_dual_sub_f32 v84, v105, v85 :: v_dual_mul_f32 v105, 0x3fb8aa3b, v107
	v_exp_f32_e32 v107, v113
	v_exp_f32_e32 v111, v111
	s_waitcnt lgkmcnt(0)
	s_delay_alu instid0(VALU_DEP_1)
	v_mul_f32_e32 v84, 0x3fb8aa3b, v84
	v_exp_f32_e32 v105, v105
	s_barrier
	buffer_gl0_inv
	v_fmac_f32_e32 v86, v111, v80
	v_sub_f32_e32 v80, v106, v85
	v_exp_f32_e32 v106, v84
	s_delay_alu instid0(VALU_DEP_2) | instskip(NEXT) | instid1(VALU_DEP_2)
	v_fmac_f32_e32 v86, v110, v81
	v_mul_f32_e32 v80, 0x3fb8aa3b, v80
	s_delay_alu instid0(VALU_DEP_2) | instskip(NEXT) | instid1(VALU_DEP_2)
	v_dual_cndmask_b32 v81, v109, v112 :: v_dual_fmac_f32 v86, v107, v82
	v_exp_f32_e32 v108, v80
	s_delay_alu instid0(VALU_DEP_1) | instskip(SKIP_2) | instid1(VALU_DEP_1)
	v_fmac_f32_e32 v86, v105, v83
	s_waitcnt_depctr 0xfff
	v_fmac_f32_e32 v86, v106, v103
	v_fmac_f32_e32 v86, v108, v104
	s_delay_alu instid0(VALU_DEP_1) | instskip(NEXT) | instid1(VALU_DEP_1)
	v_add_f32_e32 v103, 0x358637bd, v86
	v_div_scale_f32 v104, null, v103, v103, 1.0
	v_div_scale_f32 v109, vcc_lo, 1.0, v103, 1.0
	s_delay_alu instid0(VALU_DEP_2) | instskip(SKIP_2) | instid1(VALU_DEP_1)
	v_rcp_f32_e32 v113, v104
	s_waitcnt_depctr 0xfff
	v_fma_f32 v80, -v104, v113, 1.0
	v_fmac_f32_e32 v113, v80, v113
	v_cndmask_b32_e64 v80, v81, v111, s3
	v_cmp_eq_u32_e64 s3, 4, v78
	v_lshl_or_b32 v81, v78, 11, v79
	s_delay_alu instid0(VALU_DEP_4) | instskip(NEXT) | instid1(VALU_DEP_4)
	v_mul_f32_e32 v111, v109, v113
	v_cndmask_b32_e64 v82, v80, v110, s4
	v_cmp_eq_u32_e64 s4, 6, v78
	s_delay_alu instid0(VALU_DEP_4) | instskip(SKIP_3) | instid1(VALU_DEP_3)
	v_lshl_or_b32 v78, v75, 4, v81
	v_lshlrev_b32_e32 v80, 2, v75
	v_fma_f32 v83, -v104, v111, v109
	v_cndmask_b32_e64 v84, v82, v107, s3
	v_or_b32_e32 v82, 1, v80
	s_delay_alu instid0(VALU_DEP_3) | instskip(NEXT) | instid1(VALU_DEP_3)
	v_fmac_f32_e32 v111, v83, v113
	v_cndmask_b32_e64 v105, v84, v105, s5
	v_or_b32_e32 v84, 2, v80
	v_or_b32_e32 v83, 3, v80
	v_cmp_eq_u32_e64 s3, 1, v80
	v_fma_f32 v104, -v104, v111, v109
	v_cndmask_b32_e64 v105, v105, v106, s4
	v_cmp_eq_u32_e64 s9, 1, v82
	v_cmp_eq_u32_e64 s10, 1, v84
	;; [unrolled: 1-line block ×3, first 2 shown]
	v_div_fmas_f32 v104, v104, v113, v111
	v_cndmask_b32_e64 v105, v105, v108, s6
	v_cmp_eq_u32_e32 vcc_lo, 2, v80
	v_cmp_eq_u32_e64 s12, 2, v82
	v_cmp_eq_u32_e64 s15, 2, v84
	v_div_fixup_f32 v103, v104, v103, 1.0
	v_cmp_eq_u32_e64 s16, 2, v83
	v_cmp_eq_u32_e64 s18, 3, v83
	v_cmp_eq_u32_e64 s4, 3, v80
	v_cmp_eq_u32_e64 s13, 3, v82
	v_mul_f32_e32 v111, v105, v103
	v_cmp_eq_u32_e64 s17, 3, v84
	v_cmp_eq_u32_e64 s22, 4, v83
	;; [unrolled: 1-line block ×4, first 2 shown]
	v_fma_mixlo_f16 v103, v111, v88, 0
	v_fma_mixlo_f16 v104, v111, v90, 0
	;; [unrolled: 1-line block ×8, first 2 shown]
	v_fma_mixhi_f16 v103, v111, v87, 0
	v_fma_mixhi_f16 v104, v111, v89, 0
	;; [unrolled: 1-line block ×8, first 2 shown]
	ds_store_b128 v78, v[103:106]
	ds_store_b128 v78, v[107:110] offset:1024
	s_waitcnt lgkmcnt(0)
	s_barrier
	buffer_gl0_inv
	ds_load_b128 v[87:90], v81
	ds_load_b128 v[91:94], v81 offset:16
	ds_load_b128 v[95:98], v81 offset:1024
	;; [unrolled: 1-line block ×3, first 2 shown]
	v_cmp_eq_u32_e64 s21, 4, v84
	v_cmp_eq_u32_e64 s24, 5, v83
	;; [unrolled: 1-line block ×13, first 2 shown]
	s_waitcnt lgkmcnt(3)
	v_lshrrev_b32_e32 v103, 16, v87
	s_waitcnt lgkmcnt(2)
	v_lshrrev_b32_e32 v107, 16, v91
	s_waitcnt lgkmcnt(1)
	v_lshrrev_b32_e32 v111, 16, v95
	s_waitcnt lgkmcnt(0)
	v_lshrrev_b32_e32 v115, 16, v99
	v_lshrrev_b32_e32 v104, 16, v88
	v_cndmask_b32_e64 v119, v87, v103, s3
	v_cndmask_b32_e64 v120, v91, v107, s3
	;; [unrolled: 1-line block ×8, first 2 shown]
	v_lshrrev_b32_e32 v108, 16, v92
	v_cndmask_b32_e64 v103, v95, v111, s3
	v_cndmask_b32_e64 v107, v99, v115, s3
	;; [unrolled: 1-line block ×5, first 2 shown]
	v_cndmask_b32_e32 v111, v119, v88, vcc_lo
	v_cndmask_b32_e64 v119, v121, v88, s12
	v_cndmask_b32_e64 v121, v123, v88, s15
	;; [unrolled: 1-line block ×4, first 2 shown]
	v_lshrrev_b32_e32 v112, 16, v96
	v_lshrrev_b32_e32 v116, 16, v100
	v_cndmask_b32_e64 v126, v99, v115, s9
	v_cndmask_b32_e64 v128, v99, v115, s10
	;; [unrolled: 1-line block ×3, first 2 shown]
	v_cndmask_b32_e32 v115, v120, v92, vcc_lo
	v_cndmask_b32_e64 v120, v122, v92, s12
	v_cndmask_b32_e64 v122, v124, v92, s15
	v_cndmask_b32_e32 v91, v103, v96, vcc_lo
	v_cndmask_b32_e32 v92, v107, v100, vcc_lo
	v_cndmask_b32_e64 v103, v125, v96, s12
	v_cndmask_b32_e64 v87, v87, v104, s18
	;; [unrolled: 1-line block ×3, first 2 shown]
	v_lshrrev_b32_e32 v105, 16, v89
	v_lshrrev_b32_e32 v109, 16, v93
	v_cndmask_b32_e64 v107, v127, v96, s15
	v_cndmask_b32_e64 v95, v95, v96, s16
	;; [unrolled: 1-line block ×14, first 2 shown]
	v_lshrrev_b32_e32 v113, 16, v97
	v_cndmask_b32_e64 v99, v99, v89, s5
	v_cndmask_b32_e64 v104, v111, v93, s5
	;; [unrolled: 1-line block ×11, first 2 shown]
	v_lshrrev_b32_e32 v106, 16, v90
	v_lshrrev_b32_e32 v110, 16, v94
	v_cndmask_b32_e64 v93, v99, v105, s6
	v_cndmask_b32_e64 v99, v104, v109, s6
	;; [unrolled: 1-line block ×9, first 2 shown]
	v_lshrrev_b32_e32 v114, 16, v98
	v_cndmask_b32_e64 v89, v89, v113, s6
	v_cndmask_b32_e64 v93, v93, v90, s7
	;; [unrolled: 1-line block ×19, first 2 shown]
	v_perm_b32 v90, v88, v87, 0x5040100
	v_cndmask_b32_e64 v87, v126, v100, s12
	v_cndmask_b32_e64 v105, v89, v114, s8
	v_perm_b32 v89, v103, v99, 0x5040100
	v_perm_b32 v88, v104, v94, 0x5040100
	v_cndmask_b32_e64 v94, v107, v112, s17
	v_cndmask_b32_e64 v95, v95, v112, s18
	;; [unrolled: 1-line block ×5, first 2 shown]
	v_lshrrev_b32_e32 v117, 16, v101
	v_cndmask_b32_e64 v94, v94, v97, s21
	v_cndmask_b32_e64 v95, v95, v97, s22
	;; [unrolled: 1-line block ×11, first 2 shown]
	v_lshrrev_b32_e32 v118, 16, v102
	v_cndmask_b32_e64 v91, v91, v102, s7
	v_cndmask_b32_e64 v94, v94, v98, s26
	;; [unrolled: 1-line block ×12, first 2 shown]
	v_perm_b32 v87, v93, v92, 0x5040100
	v_perm_b32 v94, v95, v94, 0x5040100
	;; [unrolled: 1-line block ×5, first 2 shown]
	s_mul_i32 s7, s33, 15
	s_mov_b32 s3, exec_lo
	ds_store_b128 v78, v[87:90]
	ds_store_b128 v78, v[91:94] offset:1024
	v_cmpx_gt_u32_e32 15, v0
	s_cbranch_execz .LBB320_16
; %bb.15:
	s_mul_i32 s4, s7, s34
	s_load_b128 s[8:11], s[0:1], 0x58
	v_add3_u32 v77, s4, s31, v77
	s_delay_alu instid0(VALU_DEP_1) | instskip(NEXT) | instid1(VALU_DEP_1)
	v_mad_u64_u32 v[87:88], null, v77, s35, s[14:15]
	v_ashrrev_i32_e32 v88, 31, v87
	s_delay_alu instid0(VALU_DEP_1) | instskip(SKIP_1) | instid1(VALU_DEP_1)
	v_lshlrev_b64 v[87:88], 2, v[87:88]
	s_waitcnt lgkmcnt(0)
	v_add_co_u32 v89, vcc_lo, s10, v87
	s_delay_alu instid0(VALU_DEP_2)
	v_add_co_ci_u32_e32 v90, vcc_lo, s11, v88, vcc_lo
	v_add_co_u32 v87, vcc_lo, s8, v87
	v_add_co_ci_u32_e32 v88, vcc_lo, s9, v88, vcc_lo
	global_store_b32 v[89:90], v85, off
	global_store_b32 v[87:88], v86, off
.LBB320_16:
	s_or_b32 exec_lo, exec_lo, s3
	s_waitcnt lgkmcnt(0)
	s_waitcnt_vscnt null, 0x0
	s_barrier
	buffer_gl0_inv
	ds_load_b128 v[93:96], v79
	ds_load_b128 v[97:100], v79 offset:16
	ds_load_b128 v[105:108], v79 offset:1040
	;; [unrolled: 1-line block ×5, first 2 shown]
	v_cmp_eq_u32_e32 vcc_lo, 1, v84
	v_mov_b32_e32 v85, 0
	ds_load_b128 v[121:124], v79 offset:3088
	ds_load_b128 v[117:120], v79 offset:3072
	;; [unrolled: 1-line block ×4, first 2 shown]
	v_cmp_eq_u32_e64 s3, 1, v80
	v_cmp_eq_u32_e64 s4, 1, v83
	;; [unrolled: 1-line block ×3, first 2 shown]
	v_mov_b32_e32 v86, v85
	v_mov_b32_e32 v87, v85
	;; [unrolled: 1-line block ×7, first 2 shown]
	v_cmp_eq_u32_e64 s6, 2, v80
	s_waitcnt lgkmcnt(8)
	s_delay_alu instid0(VALU_DEP_2)
	v_wmma_f32_16x16x16_f16 v[85:92], v[65:72], v[93:100], v[85:92]
	ds_load_b128 v[69:72], v79 offset:5136
	ds_load_b128 v[65:68], v79 offset:5120
	;; [unrolled: 1-line block ×4, first 2 shown]
	s_waitcnt lgkmcnt(10)
	v_wmma_f32_16x16x16_f16 v[85:92], v[57:64], v[101:108], v[85:92]
	s_waitcnt lgkmcnt(8)
	s_delay_alu instid0(VALU_DEP_1)
	v_wmma_f32_16x16x16_f16 v[85:92], v[57:64], v[109:116], v[85:92]
	ds_load_b128 v[61:64], v79 offset:7184
	ds_load_b128 v[57:60], v79 offset:7168
	;; [unrolled: 1-line block ×4, first 2 shown]
	s_waitcnt lgkmcnt(10)
	v_wmma_f32_16x16x16_f16 v[85:92], v[49:56], v[117:124], v[85:92]
	s_waitcnt lgkmcnt(8)
	s_delay_alu instid0(VALU_DEP_1)
	v_wmma_f32_16x16x16_f16 v[85:92], v[49:56], v[125:132], v[85:92]
	ds_load_b128 v[53:56], v79 offset:9232
	ds_load_b128 v[49:52], v79 offset:9216
	s_waitcnt lgkmcnt(8)
	v_wmma_f32_16x16x16_f16 v[85:92], v[41:48], v[65:72], v[85:92]
	ds_load_b128 v[69:72], v79 offset:10256
	ds_load_b128 v[65:68], v79 offset:10240
	s_waitcnt lgkmcnt(8)
	;; [unrolled: 4-line block ×7, first 2 shown]
	s_barrier
	buffer_gl0_inv
	v_wmma_f32_16x16x16_f16 v[85:92], v[33:40], v[41:48], v[85:92]
	s_delay_alu instid0(VALU_DEP_1) | instskip(NEXT) | instid1(VALU_DEP_1)
	v_wmma_f32_16x16x16_f16 v[85:92], v[33:40], v[57:64], v[85:92]
	v_wmma_f32_16x16x16_f16 v[85:92], v[25:32], v[9:16], v[85:92]
	s_delay_alu instid0(VALU_DEP_1) | instskip(NEXT) | instid1(VALU_DEP_1)
	v_wmma_f32_16x16x16_f16 v[85:92], v[25:32], v[49:56], v[85:92]
	v_wmma_f32_16x16x16_f16 v[85:92], v[17:24], v[1:8], v[85:92]
	s_delay_alu instid0(VALU_DEP_1) | instskip(NEXT) | instid1(VALU_DEP_2)
	v_cvt_f16_f32_e32 v1, v85
	v_cvt_f16_f32_e32 v2, v86
	s_delay_alu instid0(VALU_DEP_3) | instskip(NEXT) | instid1(VALU_DEP_4)
	v_cvt_f16_f32_e32 v3, v87
	v_cvt_f16_f32_e32 v4, v88
	;; [unrolled: 1-line block ×6, first 2 shown]
	v_pack_b32_f16 v1, v1, v2
	v_pack_b32_f16 v2, v3, v4
	;; [unrolled: 1-line block ×3, first 2 shown]
	s_delay_alu instid0(VALU_DEP_4)
	v_pack_b32_f16 v4, v7, v8
	ds_store_b128 v78, v[1:4]
	s_waitcnt lgkmcnt(0)
	s_barrier
	buffer_gl0_inv
	ds_load_b128 v[1:4], v81
	ds_load_b128 v[5:8], v81 offset:16
	s_waitcnt lgkmcnt(1)
	v_lshrrev_b32_e32 v9, 16, v1
	s_waitcnt lgkmcnt(0)
	v_lshrrev_b32_e32 v13, 16, v5
	v_lshrrev_b32_e32 v15, 16, v7
	;; [unrolled: 1-line block ×4, first 2 shown]
	v_cndmask_b32_e64 v17, v1, v9, s3
	v_cndmask_b32_e64 v18, v5, v13, s3
	;; [unrolled: 1-line block ×3, first 2 shown]
	v_cmp_eq_u32_e64 s3, 2, v82
	v_cndmask_b32_e64 v20, v5, v13, s5
	v_cndmask_b32_e32 v21, v1, v9, vcc_lo
	v_cndmask_b32_e32 v22, v5, v13, vcc_lo
	v_cndmask_b32_e64 v1, v1, v9, s4
	v_cndmask_b32_e64 v5, v5, v13, s4
	v_cmp_eq_u32_e32 vcc_lo, 2, v84
	v_cmp_eq_u32_e64 s4, 2, v83
	v_cndmask_b32_e64 v9, v17, v2, s6
	v_cndmask_b32_e64 v13, v18, v6, s6
	;; [unrolled: 1-line block ×4, first 2 shown]
	v_cndmask_b32_e32 v19, v21, v2, vcc_lo
	v_cmp_eq_u32_e64 s3, 3, v84
	v_cndmask_b32_e32 v20, v22, v6, vcc_lo
	v_cndmask_b32_e64 v1, v1, v2, s4
	v_cmp_eq_u32_e32 vcc_lo, 3, v83
	v_cmp_eq_u32_e64 s5, 3, v80
	v_cndmask_b32_e64 v2, v5, v6, s4
	v_cmp_eq_u32_e64 s4, 3, v82
	v_lshrrev_b32_e32 v16, 16, v8
	v_cmp_eq_u32_e64 s6, 4, v80
	v_cndmask_b32_e64 v5, v9, v10, s5
	v_cndmask_b32_e64 v6, v13, v14, s5
	;; [unrolled: 1-line block ×3, first 2 shown]
	v_cmp_eq_u32_e64 s5, 4, v82
	v_cndmask_b32_e64 v13, v18, v14, s4
	v_cndmask_b32_e64 v17, v19, v10, s3
	;; [unrolled: 1-line block ×3, first 2 shown]
	v_cndmask_b32_e32 v1, v1, v10, vcc_lo
	v_cndmask_b32_e32 v2, v2, v14, vcc_lo
	v_cmp_eq_u32_e32 vcc_lo, 4, v84
	v_cmp_eq_u32_e64 s4, 4, v83
	v_lshrrev_b32_e32 v11, 16, v3
	v_cndmask_b32_e64 v5, v5, v3, s6
	v_cndmask_b32_e64 v6, v6, v7, s6
	;; [unrolled: 1-line block ×4, first 2 shown]
	v_cndmask_b32_e32 v13, v17, v3, vcc_lo
	v_cmp_eq_u32_e64 s3, 5, v84
	v_cndmask_b32_e32 v14, v18, v7, vcc_lo
	v_cndmask_b32_e64 v1, v1, v3, s4
	v_cmp_eq_u32_e32 vcc_lo, 5, v83
	v_cmp_eq_u32_e64 s5, 5, v80
	v_cndmask_b32_e64 v2, v2, v7, s4
	v_cmp_eq_u32_e64 s4, 5, v82
	v_cmp_eq_u32_e64 s6, 6, v80
	v_cndmask_b32_e32 v1, v1, v11, vcc_lo
	v_cndmask_b32_e64 v3, v5, v11, s5
	v_cndmask_b32_e64 v5, v6, v15, s5
	;; [unrolled: 1-line block ×3, first 2 shown]
	v_cmp_eq_u32_e64 s5, 6, v82
	v_cndmask_b32_e64 v7, v10, v15, s4
	v_cndmask_b32_e64 v9, v13, v11, s3
	;; [unrolled: 1-line block ×3, first 2 shown]
	v_cndmask_b32_e32 v2, v2, v15, vcc_lo
	v_cmp_eq_u32_e32 vcc_lo, 6, v84
	v_cmp_eq_u32_e64 s3, 6, v83
	v_lshrrev_b32_e32 v12, 16, v4
	v_cndmask_b32_e64 v3, v3, v4, s6
	v_cndmask_b32_e64 v5, v5, v8, s6
	;; [unrolled: 1-line block ×4, first 2 shown]
	v_cndmask_b32_e32 v9, v9, v4, vcc_lo
	v_cmp_eq_u32_e64 s4, 7, v84
	v_cndmask_b32_e32 v10, v10, v8, vcc_lo
	v_cndmask_b32_e64 v1, v1, v4, s3
	v_cmp_eq_u32_e32 vcc_lo, 7, v83
	v_cndmask_b32_e64 v2, v2, v8, s3
	v_cmp_eq_u32_e64 s3, 7, v80
	v_cmp_eq_u32_e64 s5, 7, v82
	v_cndmask_b32_e32 v1, v1, v12, vcc_lo
	s_delay_alu instid0(VALU_DEP_4) | instskip(NEXT) | instid1(VALU_DEP_4)
	v_cndmask_b32_e32 v2, v2, v16, vcc_lo
	v_cndmask_b32_e64 v8, v3, v12, s3
	s_delay_alu instid0(VALU_DEP_4)
	v_cndmask_b32_e64 v6, v6, v12, s5
	v_cndmask_b32_e64 v3, v9, v12, s4
	;; [unrolled: 1-line block ×5, first 2 shown]
	v_perm_b32 v4, v2, v1, 0x5040100
	s_mov_b32 s3, exec_lo
	v_perm_b32 v3, v9, v3, 0x5040100
	v_perm_b32 v2, v7, v6, 0x5040100
	;; [unrolled: 1-line block ×3, first 2 shown]
	ds_store_b128 v78, v[1:4]
	s_waitcnt lgkmcnt(0)
	s_barrier
	buffer_gl0_inv
	v_cmpx_gt_u32_e32 32, v0
	s_cbranch_execz .LBB320_2
; %bb.17:
	s_load_b64 s[4:5], s[0:1], 0x68
	v_add_nc_u32_e32 v20, s31, v75
	v_lshlrev_b32_e32 v0, 10, v0
	v_lshlrev_b32_e32 v1, 4, v76
	s_lshl_b32 s0, s35, 7
	s_delay_alu instid0(SALU_CYCLE_1)
	s_mul_i32 s1, s0, s34
	v_add_nc_u32_e32 v2, 2, v20
	s_mul_i32 s6, s1, s7
	v_and_or_b32 v0, 0x3800, v0, v1
	v_mul_lo_u32 v1, v20, s0
	s_ashr_i32 s7, s6, 31
	v_mul_lo_u32 v11, v2, s0
	s_lshl_b64 s[6:7], s[6:7], 1
	v_add_nc_u32_e32 v3, 4, v20
	v_lshl_or_b32 v21, v75, 6, v0
	v_add_nc_u32_e32 v16, 6, v20
	v_ashrrev_i32_e32 v2, 31, v1
	s_delay_alu instid0(VALU_DEP_4)
	v_mul_lo_u32 v13, v3, s0
	s_waitcnt lgkmcnt(0)
	s_add_u32 s1, s4, s6
	s_addc_u32 s3, s5, s7
	s_lshl_b32 s4, s14, 7
	ds_load_b128 v[3:6], v21
	ds_load_b128 v[7:10], v21 offset:128
	s_ashr_i32 s5, s4, 31
	v_ashrrev_i32_e32 v12, 31, v11
	s_lshl_b64 s[4:5], s[4:5], 1
	v_lshlrev_b64 v[14:15], 1, v[1:2]
	s_add_u32 s1, s1, s4
	s_addc_u32 s3, s3, s5
	v_add_co_u32 v1, vcc_lo, s1, v73
	v_add_co_ci_u32_e32 v2, vcc_lo, s3, v74, vcc_lo
	v_lshlrev_b64 v[11:12], 1, v[11:12]
	s_delay_alu instid0(VALU_DEP_3) | instskip(SKIP_1) | instid1(VALU_DEP_4)
	v_add_co_u32 v18, vcc_lo, v1, v14
	v_mul_lo_u32 v16, v16, s0
	v_add_co_ci_u32_e32 v19, vcc_lo, v2, v15, vcc_lo
	s_delay_alu instid0(VALU_DEP_4)
	v_add_co_u32 v11, vcc_lo, v1, v11
	v_ashrrev_i32_e32 v14, 31, v13
	v_add_co_ci_u32_e32 v12, vcc_lo, v2, v12, vcc_lo
	v_add_nc_u32_e32 v15, 8, v20
	v_ashrrev_i32_e32 v17, 31, v16
	s_waitcnt lgkmcnt(1)
	global_store_b128 v[18:19], v[3:6], off
	v_lshlrev_b64 v[3:4], 1, v[13:14]
	s_waitcnt lgkmcnt(0)
	global_store_b128 v[11:12], v[7:10], off
	v_mul_lo_u32 v11, v15, s0
	v_add_nc_u32_e32 v7, 10, v20
	v_lshlrev_b64 v[5:6], 1, v[16:17]
	v_add_co_u32 v23, vcc_lo, v1, v3
	v_add_nc_u32_e32 v3, 12, v20
	s_delay_alu instid0(VALU_DEP_4)
	v_mul_lo_u32 v25, v7, s0
	v_ashrrev_i32_e32 v12, 31, v11
	v_add_co_ci_u32_e32 v24, vcc_lo, v2, v4, vcc_lo
	v_add_co_u32 v27, vcc_lo, v1, v5
	v_mul_lo_u32 v29, v3, s0
	v_add_co_ci_u32_e32 v28, vcc_lo, v2, v6, vcc_lo
	ds_load_b128 v[3:6], v21 offset:256
	ds_load_b128 v[7:10], v21 offset:384
	v_lshlrev_b64 v[31:32], 1, v[11:12]
	ds_load_b128 v[11:14], v21 offset:512
	ds_load_b128 v[15:18], v21 offset:640
	ds_load_b128 v[19:22], v21 offset:768
	v_ashrrev_i32_e32 v26, 31, v25
	v_ashrrev_i32_e32 v30, 31, v29
	v_add_co_u32 v31, vcc_lo, v1, v31
	s_delay_alu instid0(VALU_DEP_3) | instskip(NEXT) | instid1(VALU_DEP_3)
	v_lshlrev_b64 v[25:26], 1, v[25:26]
	v_lshlrev_b64 v[29:30], 1, v[29:30]
	v_add_co_ci_u32_e32 v32, vcc_lo, v2, v32, vcc_lo
	s_delay_alu instid0(VALU_DEP_3) | instskip(NEXT) | instid1(VALU_DEP_4)
	v_add_co_u32 v25, vcc_lo, v1, v25
	v_add_co_ci_u32_e32 v26, vcc_lo, v2, v26, vcc_lo
	s_delay_alu instid0(VALU_DEP_4)
	v_add_co_u32 v29, vcc_lo, v1, v29
	v_add_co_ci_u32_e32 v30, vcc_lo, v2, v30, vcc_lo
	s_waitcnt lgkmcnt(4)
	global_store_b128 v[23:24], v[3:6], off
	s_waitcnt lgkmcnt(3)
	global_store_b128 v[27:28], v[7:10], off
	;; [unrolled: 2-line block ×5, first 2 shown]
	s_and_b32 exec_lo, exec_lo, s2
	s_cbranch_execz .LBB320_2
; %bb.18:
	ds_load_b128 v[3:6], v0 offset:896
	s_add_i32 s1, s31, 14
	s_delay_alu instid0(SALU_CYCLE_1) | instskip(NEXT) | instid1(SALU_CYCLE_1)
	s_mul_i32 s0, s1, s0
	s_ashr_i32 s1, s0, 31
	s_delay_alu instid0(SALU_CYCLE_1) | instskip(NEXT) | instid1(SALU_CYCLE_1)
	s_lshl_b64 s[0:1], s[0:1], 1
	v_add_co_u32 v0, vcc_lo, v1, s0
	v_add_co_ci_u32_e32 v1, vcc_lo, s1, v2, vcc_lo
	s_waitcnt lgkmcnt(0)
	global_store_b128 v[0:1], v[3:6], off
	s_nop 0
	s_sendmsg sendmsg(MSG_DEALLOC_VGPRS)
	s_endpgm
	.section	.rodata,"a",@progbits
	.p2align	6, 0x0
	.amdhsa_kernel _Z39paged_attention_ll4mi_QKV_mfma16_kernelIDF16_DF16_LN4vllm18Fp8KVCacheDataTypeE0EhLi32ELi128ELi256ELb1ELi15EL8MFMAType0EEvPKT_PKT0_S8_ifPKiSA_SA_iPKfiiiPfSD_PS3_PT2_iSC_SC_
		.amdhsa_group_segment_fixed_size 17472
		.amdhsa_private_segment_fixed_size 0
		.amdhsa_kernarg_size 400
		.amdhsa_user_sgpr_count 13
		.amdhsa_user_sgpr_dispatch_ptr 0
		.amdhsa_user_sgpr_queue_ptr 0
		.amdhsa_user_sgpr_kernarg_segment_ptr 1
		.amdhsa_user_sgpr_dispatch_id 0
		.amdhsa_user_sgpr_private_segment_size 0
		.amdhsa_wavefront_size32 1
		.amdhsa_uses_dynamic_stack 0
		.amdhsa_enable_private_segment 0
		.amdhsa_system_sgpr_workgroup_id_x 1
		.amdhsa_system_sgpr_workgroup_id_y 1
		.amdhsa_system_sgpr_workgroup_id_z 1
		.amdhsa_system_sgpr_workgroup_info 0
		.amdhsa_system_vgpr_workitem_id 0
		.amdhsa_next_free_vgpr 172
		.amdhsa_next_free_sgpr 39
		.amdhsa_reserve_vcc 1
		.amdhsa_float_round_mode_32 0
		.amdhsa_float_round_mode_16_64 0
		.amdhsa_float_denorm_mode_32 3
		.amdhsa_float_denorm_mode_16_64 3
		.amdhsa_dx10_clamp 1
		.amdhsa_ieee_mode 1
		.amdhsa_fp16_overflow 0
		.amdhsa_workgroup_processor_mode 1
		.amdhsa_memory_ordered 1
		.amdhsa_forward_progress 0
		.amdhsa_shared_vgpr_count 0
		.amdhsa_exception_fp_ieee_invalid_op 0
		.amdhsa_exception_fp_denorm_src 0
		.amdhsa_exception_fp_ieee_div_zero 0
		.amdhsa_exception_fp_ieee_overflow 0
		.amdhsa_exception_fp_ieee_underflow 0
		.amdhsa_exception_fp_ieee_inexact 0
		.amdhsa_exception_int_div_zero 0
	.end_amdhsa_kernel
	.section	.text._Z39paged_attention_ll4mi_QKV_mfma16_kernelIDF16_DF16_LN4vllm18Fp8KVCacheDataTypeE0EhLi32ELi128ELi256ELb1ELi15EL8MFMAType0EEvPKT_PKT0_S8_ifPKiSA_SA_iPKfiiiPfSD_PS3_PT2_iSC_SC_,"axG",@progbits,_Z39paged_attention_ll4mi_QKV_mfma16_kernelIDF16_DF16_LN4vllm18Fp8KVCacheDataTypeE0EhLi32ELi128ELi256ELb1ELi15EL8MFMAType0EEvPKT_PKT0_S8_ifPKiSA_SA_iPKfiiiPfSD_PS3_PT2_iSC_SC_,comdat
.Lfunc_end320:
	.size	_Z39paged_attention_ll4mi_QKV_mfma16_kernelIDF16_DF16_LN4vllm18Fp8KVCacheDataTypeE0EhLi32ELi128ELi256ELb1ELi15EL8MFMAType0EEvPKT_PKT0_S8_ifPKiSA_SA_iPKfiiiPfSD_PS3_PT2_iSC_SC_, .Lfunc_end320-_Z39paged_attention_ll4mi_QKV_mfma16_kernelIDF16_DF16_LN4vllm18Fp8KVCacheDataTypeE0EhLi32ELi128ELi256ELb1ELi15EL8MFMAType0EEvPKT_PKT0_S8_ifPKiSA_SA_iPKfiiiPfSD_PS3_PT2_iSC_SC_
                                        ; -- End function
	.section	.AMDGPU.csdata,"",@progbits
; Kernel info:
; codeLenInByte = 7776
; NumSgprs: 41
; NumVgprs: 172
; ScratchSize: 0
; MemoryBound: 0
; FloatMode: 240
; IeeeMode: 1
; LDSByteSize: 17472 bytes/workgroup (compile time only)
; SGPRBlocks: 5
; VGPRBlocks: 21
; NumSGPRsForWavesPerEU: 41
; NumVGPRsForWavesPerEU: 172
; Occupancy: 8
; WaveLimiterHint : 1
; COMPUTE_PGM_RSRC2:SCRATCH_EN: 0
; COMPUTE_PGM_RSRC2:USER_SGPR: 13
; COMPUTE_PGM_RSRC2:TRAP_HANDLER: 0
; COMPUTE_PGM_RSRC2:TGID_X_EN: 1
; COMPUTE_PGM_RSRC2:TGID_Y_EN: 1
; COMPUTE_PGM_RSRC2:TGID_Z_EN: 1
; COMPUTE_PGM_RSRC2:TIDIG_COMP_CNT: 0
	.section	.text._Z39paged_attention_ll4mi_QKV_mfma16_kernelIDF16_DF16_LN4vllm18Fp8KVCacheDataTypeE0EhLi32ELi128ELi256ELb1ELi16EL8MFMAType0EEvPKT_PKT0_S8_ifPKiSA_SA_iPKfiiiPfSD_PS3_PT2_iSC_SC_,"axG",@progbits,_Z39paged_attention_ll4mi_QKV_mfma16_kernelIDF16_DF16_LN4vllm18Fp8KVCacheDataTypeE0EhLi32ELi128ELi256ELb1ELi16EL8MFMAType0EEvPKT_PKT0_S8_ifPKiSA_SA_iPKfiiiPfSD_PS3_PT2_iSC_SC_,comdat
	.protected	_Z39paged_attention_ll4mi_QKV_mfma16_kernelIDF16_DF16_LN4vllm18Fp8KVCacheDataTypeE0EhLi32ELi128ELi256ELb1ELi16EL8MFMAType0EEvPKT_PKT0_S8_ifPKiSA_SA_iPKfiiiPfSD_PS3_PT2_iSC_SC_ ; -- Begin function _Z39paged_attention_ll4mi_QKV_mfma16_kernelIDF16_DF16_LN4vllm18Fp8KVCacheDataTypeE0EhLi32ELi128ELi256ELb1ELi16EL8MFMAType0EEvPKT_PKT0_S8_ifPKiSA_SA_iPKfiiiPfSD_PS3_PT2_iSC_SC_
	.globl	_Z39paged_attention_ll4mi_QKV_mfma16_kernelIDF16_DF16_LN4vllm18Fp8KVCacheDataTypeE0EhLi32ELi128ELi256ELb1ELi16EL8MFMAType0EEvPKT_PKT0_S8_ifPKiSA_SA_iPKfiiiPfSD_PS3_PT2_iSC_SC_
	.p2align	8
	.type	_Z39paged_attention_ll4mi_QKV_mfma16_kernelIDF16_DF16_LN4vllm18Fp8KVCacheDataTypeE0EhLi32ELi128ELi256ELb1ELi16EL8MFMAType0EEvPKT_PKT0_S8_ifPKiSA_SA_iPKfiiiPfSD_PS3_PT2_iSC_SC_,@function
_Z39paged_attention_ll4mi_QKV_mfma16_kernelIDF16_DF16_LN4vllm18Fp8KVCacheDataTypeE0EhLi32ELi128ELi256ELb1ELi16EL8MFMAType0EEvPKT_PKT0_S8_ifPKiSA_SA_iPKfiiiPfSD_PS3_PT2_iSC_SC_: ; @_Z39paged_attention_ll4mi_QKV_mfma16_kernelIDF16_DF16_LN4vllm18Fp8KVCacheDataTypeE0EhLi32ELi128ELi256ELb1ELi16EL8MFMAType0EEvPKT_PKT0_S8_ifPKiSA_SA_iPKfiiiPfSD_PS3_PT2_iSC_SC_
; %bb.0:
	s_load_b64 s[2:3], s[0:1], 0x30
	s_mov_b32 s30, s13
	s_waitcnt lgkmcnt(0)
	s_cmp_lg_u64 s[2:3], 0
	s_cselect_b32 s6, -1, 0
	s_ashr_i32 s31, s13, 31
	s_cmp_eq_u64 s[2:3], 0
	s_cbranch_scc1 .LBB321_3
; %bb.1:
	s_lshl_b64 s[4:5], s[30:31], 2
	s_delay_alu instid0(SALU_CYCLE_1) | instskip(SKIP_4) | instid1(SALU_CYCLE_1)
	s_add_u32 s4, s2, s4
	s_addc_u32 s5, s3, s5
	s_load_b64 s[4:5], s[4:5], 0x0
	s_waitcnt lgkmcnt(0)
	s_sub_i32 s4, s5, s4
	s_cmp_eq_u32 s4, 1
	s_cselect_b32 s4, -1, 0
	s_delay_alu instid0(SALU_CYCLE_1)
	s_and_not1_b32 vcc_lo, exec_lo, s4
	s_cbranch_vccz .LBB321_4
.LBB321_2:
	s_endpgm
.LBB321_3:
.LBB321_4:
	s_load_b64 s[8:9], s[0:1], 0x28
	s_lshl_b64 s[4:5], s[30:31], 2
	s_waitcnt lgkmcnt(0)
	s_add_u32 s8, s8, s4
	s_addc_u32 s9, s9, s5
	s_lshl_b32 s12, s14, 8
	s_load_b32 s17, s[8:9], 0x0
	s_waitcnt lgkmcnt(0)
	s_cmp_ge_i32 s12, s17
	s_cbranch_scc1 .LBB321_2
; %bb.5:
	s_and_not1_b32 vcc_lo, exec_lo, s6
	s_cbranch_vccnz .LBB321_7
; %bb.6:
	s_add_u32 s2, s2, s4
	s_addc_u32 s3, s3, s5
	s_load_b32 s13, s[2:3], 0x0
	s_branch .LBB321_8
.LBB321_7:
	s_mov_b32 s13, s30
.LBB321_8:
	s_clause 0x2
	s_load_b128 s[8:11], s[0:1], 0x8
	s_load_b64 s[2:3], s[0:1], 0x20
	s_load_b128 s[4:7], s[0:1], 0x48
	v_and_b32_e32 v79, 15, v0
	s_waitcnt lgkmcnt(0)
	s_mov_b32 s7, exec_lo
	s_delay_alu instid0(VALU_DEP_1)
	v_lshlrev_b32_e32 v1, 3, v79
	v_cmpx_lt_u32_e32 0xff, v0
	s_xor_b32 s7, exec_lo, s7
; %bb.9:
	v_mov_b32_e32 v2, 0
; %bb.10:
	s_or_saveexec_b32 s7, s7
	v_lshrrev_b32_e32 v77, 5, v0
	v_and_b32_e32 v80, 31, v0
	v_and_b32_e32 v76, 1, v0
	v_bfe_u32 v75, v0, 4, 1
	s_lshl_b32 s31, s15, 4
	s_xor_b32 exec_lo, exec_lo, s7
	s_cbranch_execz .LBB321_12
; %bb.11:
	s_delay_alu instid0(VALU_DEP_1)
	v_lshl_or_b32 v7, v77, 1, v75
	s_load_b64 s[18:19], s[0:1], 0x0
	s_mul_hi_i32 s21, s13, s4
	s_mul_i32 s20, s13, s4
	v_lshlrev_b32_e32 v4, 1, v1
	v_or_b32_e32 v2, s31, v7
	s_lshl_b64 s[20:21], s[20:21], 1
	v_lshlrev_b32_e32 v7, 6, v7
	v_lshlrev_b32_e32 v8, 10, v76
	s_delay_alu instid0(VALU_DEP_3) | instskip(NEXT) | instid1(VALU_DEP_1)
	v_lshlrev_b32_e32 v2, 7, v2
	v_ashrrev_i32_e32 v3, 31, v2
	s_delay_alu instid0(VALU_DEP_1) | instskip(SKIP_3) | instid1(VALU_DEP_1)
	v_lshlrev_b64 v[2:3], 1, v[2:3]
	s_waitcnt lgkmcnt(0)
	s_add_u32 s4, s18, s20
	s_addc_u32 s13, s19, s21
	v_add_co_u32 v2, vcc_lo, s4, v2
	s_delay_alu instid0(VALU_DEP_2) | instskip(NEXT) | instid1(VALU_DEP_2)
	v_add_co_ci_u32_e32 v3, vcc_lo, s13, v3, vcc_lo
	v_add_co_u32 v2, vcc_lo, v2, v4
	s_delay_alu instid0(VALU_DEP_2) | instskip(SKIP_2) | instid1(VALU_DEP_1)
	v_add_co_ci_u32_e32 v3, vcc_lo, 0, v3, vcc_lo
	global_load_b128 v[3:6], v[2:3], off
	v_lshlrev_b32_e32 v2, 10, v79
	v_and_b32_e32 v2, 0x3800, v2
	s_delay_alu instid0(VALU_DEP_1)
	v_or3_b32 v7, v2, v8, v7
	v_mov_b32_e32 v2, 0
	s_waitcnt vmcnt(0)
	ds_store_b128 v7, v[3:6]
.LBB321_12:
	s_or_b32 exec_lo, exec_lo, s7
	v_and_b32_e32 v3, 0xef, v0
	s_add_i32 s4, s17, 31
	s_clause 0x1
	s_load_b32 s7, s[0:1], 0x38
	s_load_b32 s33, s[0:1], 0x98
	s_ashr_i32 s13, s4, 31
	v_add_nc_u32_e32 v3, s12, v3
	s_lshr_b32 s13, s13, 27
	s_load_b32 s18, s[0:1], 0x1c
	s_add_i32 s4, s4, s13
	s_waitcnt lgkmcnt(0)
	v_ashrrev_i32_e32 v4, 31, v3
	v_cmp_gt_i32_e32 vcc_lo, s17, v3
	s_ashr_i32 s4, s4, 5
	s_barrier
	s_add_i32 s4, s4, -1
	v_lshrrev_b32_e32 v5, 27, v4
	v_or_b32_e32 v4, 16, v3
	buffer_gl0_inv
	v_lshlrev_b64 v[73:74], 1, v[1:2]
	v_lshlrev_b32_e32 v78, 6, v79
	v_add_nc_u32_e32 v6, v3, v5
	v_add_nc_u32_e32 v5, v4, v5
	s_mul_i32 s20, s30, s7
	s_delay_alu instid0(SALU_CYCLE_1) | instskip(NEXT) | instid1(VALU_DEP_2)
	s_ashr_i32 s21, s20, 31
	v_ashrrev_i32_e32 v6, 5, v6
	s_delay_alu instid0(VALU_DEP_2) | instskip(SKIP_1) | instid1(SALU_CYCLE_1)
	v_ashrrev_i32_e32 v5, 5, v5
	s_lshl_b64 s[20:21], s[20:21], 2
	s_add_u32 s13, s2, s20
	s_delay_alu instid0(VALU_DEP_2) | instskip(SKIP_3) | instid1(SALU_CYCLE_1)
	v_cndmask_b32_e32 v3, s4, v6, vcc_lo
	v_cmp_gt_i32_e32 vcc_lo, s17, v4
	s_addc_u32 s16, s3, s21
	s_mul_i32 s2, s15, s6
	s_ashr_i32 s3, s2, 31
	v_cndmask_b32_e32 v5, s4, v5, vcc_lo
	v_ashrrev_i32_e32 v4, 31, v3
	s_lshl_b64 s[2:3], s[2:3], 1
	s_delay_alu instid0(SALU_CYCLE_1) | instskip(NEXT) | instid1(VALU_DEP_2)
	s_add_u32 s15, s8, s2
	v_ashrrev_i32_e32 v6, 31, v5
	s_delay_alu instid0(VALU_DEP_2) | instskip(SKIP_2) | instid1(VALU_DEP_2)
	v_lshlrev_b64 v[3:4], 2, v[3:4]
	s_addc_u32 s19, s9, s3
	s_lshl_b32 s6, s14, 3
	v_lshlrev_b64 v[5:6], 2, v[5:6]
	s_ashr_i32 s7, s6, 31
	s_delay_alu instid0(VALU_DEP_2) | instskip(SKIP_1) | instid1(VALU_DEP_3)
	v_add_co_u32 v3, vcc_lo, s13, v3
	v_add_co_ci_u32_e32 v4, vcc_lo, s16, v4, vcc_lo
	v_add_co_u32 v5, vcc_lo, s13, v5
	s_delay_alu instid0(VALU_DEP_4)
	v_add_co_ci_u32_e32 v6, vcc_lo, s16, v6, vcc_lo
	s_lshl_b64 s[6:7], s[6:7], 2
	s_clause 0x1
	global_load_b32 v7, v[3:4], off
	global_load_b32 v8, v[5:6], off
	s_add_u32 s6, s13, s6
	s_addc_u32 s7, s16, s7
	s_or_b32 s8, s12, 32
	s_delay_alu instid0(SALU_CYCLE_1) | instskip(SKIP_2) | instid1(SALU_CYCLE_1)
	s_ashr_i32 s9, s8, 5
	s_cmp_lt_i32 s8, s17
	s_cselect_b32 s8, s9, s4
	s_ashr_i32 s9, s8, 31
	s_delay_alu instid0(SALU_CYCLE_1) | instskip(NEXT) | instid1(SALU_CYCLE_1)
	s_lshl_b64 s[8:9], s[8:9], 2
	s_add_u32 s8, s13, s8
	s_addc_u32 s9, s16, s9
	s_or_b32 s20, s12, 64
	s_delay_alu instid0(SALU_CYCLE_1) | instskip(SKIP_2) | instid1(SALU_CYCLE_1)
	s_ashr_i32 s21, s20, 5
	s_cmp_lt_i32 s20, s17
	s_cselect_b32 s20, s21, s4
	s_ashr_i32 s21, s20, 31
	s_delay_alu instid0(SALU_CYCLE_1) | instskip(NEXT) | instid1(SALU_CYCLE_1)
	s_lshl_b64 s[20:21], s[20:21], 2
	;; [unrolled: 10-line block ×5, first 2 shown]
	s_add_u32 s26, s13, s26
	s_addc_u32 s27, s16, s27
	s_clause 0x5
	s_load_b32 s28, s[6:7], 0x0
	s_load_b32 s29, s[8:9], 0x0
	;; [unrolled: 1-line block ×6, first 2 shown]
	s_or_b32 s6, s12, 0xc0
	s_mov_b32 s20, 0
	s_ashr_i32 s7, s6, 5
	s_cmp_lt_i32 s6, s17
	s_mov_b32 s27, s20
	s_cselect_b32 s6, s7, s4
	s_mov_b32 s21, s20
	s_ashr_i32 s7, s6, 31
	s_mov_b32 s22, s20
	s_lshl_b64 s[6:7], s[6:7], 2
	s_mov_b32 s23, s20
	s_add_u32 s6, s13, s6
	s_addc_u32 s7, s16, s7
	s_mov_b32 s24, s20
	s_mov_b32 s25, s20
	;; [unrolled: 1-line block ×3, first 2 shown]
	s_delay_alu instid0(SALU_CYCLE_1)
	v_dual_mov_b32 v136, s27 :: v_dual_mov_b32 v135, s26
	v_dual_mov_b32 v134, s25 :: v_dual_mov_b32 v133, s24
	v_mov_b32_e32 v130, s21
	v_dual_mov_b32 v132, s23 :: v_dual_mov_b32 v131, s22
	v_mov_b32_e32 v129, s20
	s_waitcnt lgkmcnt(0)
	s_mul_hi_i32 s9, s28, s5
	s_mul_i32 s8, s28, s5
	s_mul_hi_i32 s21, s29, s5
	s_mul_i32 s20, s29, s5
	s_mul_hi_i32 s25, s34, s5
	s_mul_i32 s24, s34, s5
	s_mul_hi_i32 s27, s35, s5
	s_mul_i32 s26, s35, s5
	s_mul_hi_i32 s35, s37, s5
	s_mul_i32 s34, s37, s5
	s_waitcnt vmcnt(1)
	v_mad_i64_i32 v[3:4], null, v7, s5, 0
	s_waitcnt vmcnt(0)
	v_mad_i64_i32 v[5:6], null, v8, s5, 0
	s_delay_alu instid0(VALU_DEP_2) | instskip(NEXT) | instid1(VALU_DEP_2)
	v_lshlrev_b64 v[3:4], 1, v[3:4]
	v_lshlrev_b64 v[1:2], 1, v[5:6]
	s_delay_alu instid0(VALU_DEP_2) | instskip(NEXT) | instid1(VALU_DEP_3)
	v_add_co_u32 v3, vcc_lo, s15, v3
	v_add_co_ci_u32_e32 v4, vcc_lo, s19, v4, vcc_lo
	s_delay_alu instid0(VALU_DEP_3) | instskip(NEXT) | instid1(VALU_DEP_4)
	v_add_co_u32 v1, vcc_lo, s15, v1
	v_add_co_ci_u32_e32 v2, vcc_lo, s19, v2, vcc_lo
	s_delay_alu instid0(VALU_DEP_4) | instskip(NEXT) | instid1(VALU_DEP_4)
	v_add_co_u32 v57, vcc_lo, v3, v73
	v_add_co_ci_u32_e32 v58, vcc_lo, v4, v74, vcc_lo
	s_delay_alu instid0(VALU_DEP_4) | instskip(NEXT) | instid1(VALU_DEP_4)
	v_add_co_u32 v59, vcc_lo, v1, v73
	v_add_co_ci_u32_e32 v60, vcc_lo, v2, v74, vcc_lo
	s_clause 0xf
	global_load_b128 v[1:4], v[57:58], off
	global_load_b128 v[5:8], v[57:58], off offset:512
	global_load_b128 v[9:12], v[59:60], off offset:256
	;; [unrolled: 1-line block ×15, first 2 shown]
	v_add_co_u32 v157, vcc_lo, 0x1000, v57
	v_add_co_ci_u32_e32 v158, vcc_lo, 0, v58, vcc_lo
	v_add_co_u32 v165, vcc_lo, 0x1000, v59
	v_add_co_ci_u32_e32 v166, vcc_lo, 0, v60, vcc_lo
	s_clause 0x7
	global_load_b128 v[89:92], v[157:158], off
	global_load_b128 v[93:96], v[157:158], off offset:512
	global_load_b128 v[97:100], v[165:166], off offset:256
	;; [unrolled: 1-line block ×7, first 2 shown]
	ds_load_b128 v[57:60], v78
	ds_load_b128 v[61:64], v78 offset:1024
	s_clause 0x1
	global_load_b128 v[121:124], v[157:158], off offset:2048
	global_load_b128 v[125:128], v[157:158], off offset:2560
	ds_load_b128 v[65:68], v78 offset:2048
	ds_load_b128 v[69:72], v78 offset:3072
	s_clause 0x5
	global_load_b128 v[145:148], v[165:166], off offset:2304
	global_load_b128 v[149:152], v[165:166], off offset:2816
	global_load_b128 v[153:156], v[157:158], off offset:3072
	global_load_b128 v[157:160], v[157:158], off offset:3584
	global_load_b128 v[161:164], v[165:166], off offset:3328
	global_load_b128 v[165:168], v[165:166], off offset:3840
	s_or_b32 s15, s12, 0xe0
	s_delay_alu instid0(SALU_CYCLE_1) | instskip(SKIP_2) | instid1(SALU_CYCLE_1)
	s_ashr_i32 s19, s15, 5
	s_cmp_lt_i32 s15, s17
	s_cselect_b32 s22, s19, s4
	s_ashr_i32 s23, s22, 31
	s_delay_alu instid0(SALU_CYCLE_1) | instskip(NEXT) | instid1(SALU_CYCLE_1)
	s_lshl_b64 s[22:23], s[22:23], 2
	s_add_u32 s22, s13, s22
	s_addc_u32 s23, s16, s23
	s_add_i32 s15, s12, 0x100
	s_delay_alu instid0(SALU_CYCLE_1) | instskip(SKIP_2) | instid1(SALU_CYCLE_1)
	s_ashr_i32 s19, s15, 5
	s_cmp_lt_i32 s15, s17
	s_cselect_b32 s28, s19, s4
	s_ashr_i32 s29, s28, 31
	s_delay_alu instid0(SALU_CYCLE_1) | instskip(NEXT) | instid1(SALU_CYCLE_1)
	s_lshl_b64 s[28:29], s[28:29], 2
	s_add_u32 s28, s13, s28
	s_addc_u32 s29, s16, s29
	s_add_u32 s4, s10, s2
	s_addc_u32 s19, s11, s3
	s_lshl_b64 s[2:3], s[8:9], 1
	s_lshl_b64 s[8:9], s[20:21], 1
	;; [unrolled: 1-line block ×4, first 2 shown]
	s_waitcnt vmcnt(30) lgkmcnt(2)
	v_wmma_f32_16x16x16_f16 v[137:144], v[1:8], v[57:64], v[129:136]
	ds_load_b128 v[1:4], v78 offset:4096
	ds_load_b128 v[5:8], v78 offset:5120
	s_waitcnt vmcnt(28)
	v_wmma_f32_16x16x16_f16 v[129:136], v[9:16], v[57:64], v[129:136]
	ds_load_b128 v[9:12], v78 offset:6144
	ds_load_b128 v[13:16], v78 offset:7168
	s_waitcnt vmcnt(26) lgkmcnt(4)
	v_wmma_f32_16x16x16_f16 v[137:144], v[17:24], v[65:72], v[137:144]
	ds_load_b128 v[17:20], v78 offset:8192
	ds_load_b128 v[21:24], v78 offset:9216
	s_load_b32 s15, s[6:7], 0x0
	s_waitcnt vmcnt(24)
	v_wmma_f32_16x16x16_f16 v[129:136], v[25:32], v[65:72], v[129:136]
	v_lshl_or_b32 v25, v77, 10, v78
	s_mul_hi_i32 s7, s36, s5
	s_mul_i32 s6, s36, s5
	s_clause 0x1
	s_load_b32 s13, s[22:23], 0x0
	s_load_b32 s16, s[28:29], 0x0
	s_lshl_b64 s[6:7], s[6:7], 1
	v_add_co_u32 v169, s4, s4, v25
	s_delay_alu instid0(VALU_DEP_1) | instskip(SKIP_1) | instid1(VALU_DEP_2)
	v_add_co_ci_u32_e64 v170, null, s19, 0, s4
	s_lshl_b64 s[22:23], s[34:35], 1
	v_add_co_u32 v25, vcc_lo, v169, s2
	s_delay_alu instid0(VALU_DEP_2)
	v_add_co_ci_u32_e32 v26, vcc_lo, s3, v170, vcc_lo
	s_waitcnt vmcnt(22) lgkmcnt(0)
	v_wmma_f32_16x16x16_f16 v[137:144], v[33:40], v[1:8], v[137:144]
	s_waitcnt vmcnt(20)
	v_wmma_f32_16x16x16_f16 v[129:136], v[41:48], v[1:8], v[129:136]
	v_add_co_u32 v1, vcc_lo, v169, s8
	v_add_co_ci_u32_e32 v2, vcc_lo, s9, v170, vcc_lo
	v_add_co_u32 v3, vcc_lo, v169, s10
	v_add_co_ci_u32_e32 v4, vcc_lo, s11, v170, vcc_lo
	;; [unrolled: 2-line block ×3, first 2 shown]
	v_add_co_u32 v7, vcc_lo, v169, s6
	s_mul_hi_i32 s25, s15, s5
	s_mul_i32 s24, s15, s5
	v_add_co_ci_u32_e32 v8, vcc_lo, s7, v170, vcc_lo
	s_clause 0x1
	global_load_b128 v[65:68], v[25:26], off
	global_load_b128 v[69:72], v[25:26], off offset:16
	s_waitcnt vmcnt(20)
	v_wmma_f32_16x16x16_f16 v[137:144], v[49:56], v[9:16], v[137:144]
	s_clause 0x1
	global_load_b128 v[57:60], v[1:2], off
	global_load_b128 v[61:64], v[1:2], off offset:16
	s_waitcnt vmcnt(20)
	v_wmma_f32_16x16x16_f16 v[129:136], v[81:88], v[9:16], v[129:136]
	s_clause 0x5
	global_load_b128 v[49:52], v[3:4], off
	global_load_b128 v[53:56], v[3:4], off offset:16
	global_load_b128 v[33:36], v[5:6], off
	global_load_b128 v[37:40], v[5:6], off offset:16
	;; [unrolled: 2-line block ×3, first 2 shown]
	v_add_co_u32 v5, vcc_lo, v169, s22
	s_lshl_b64 s[2:3], s[24:25], 1
	v_add_co_ci_u32_e32 v6, vcc_lo, s23, v170, vcc_lo
	v_add_co_u32 v29, vcc_lo, v169, s2
	v_add_co_ci_u32_e32 v30, vcc_lo, s3, v170, vcc_lo
	s_waitcnt vmcnt(24)
	v_wmma_f32_16x16x16_f16 v[137:144], v[89:96], v[17:24], v[137:144]
	s_clause 0x1
	global_load_b128 v[1:4], v[5:6], off
	global_load_b128 v[5:8], v[5:6], off offset:16
	s_waitcnt vmcnt(24)
	v_wmma_f32_16x16x16_f16 v[129:136], v[97:104], v[17:24], v[129:136]
	s_clause 0x1
	global_load_b128 v[25:28], v[29:30], off
	global_load_b128 v[29:32], v[29:30], off offset:16
	ds_load_b128 v[17:20], v78 offset:10240
	ds_load_b128 v[21:24], v78 offset:11264
	s_mul_hi_i32 s7, s13, s5
	s_mul_i32 s6, s13, s5
	v_and_b32_e32 v89, 0xe0, v0
	s_lshl_b64 s[2:3], s[6:7], 1
	v_mbcnt_lo_u32_b32 v97, -1, 0
	v_add_co_u32 v45, vcc_lo, v169, s2
	v_add_co_ci_u32_e32 v46, vcc_lo, s3, v170, vcc_lo
	s_mul_hi_i32 s3, s16, s5
	s_mul_i32 s2, s16, s5
	s_clause 0x1
	global_load_b128 v[41:44], v[45:46], off
	global_load_b128 v[45:48], v[45:46], off offset:16
	s_lshl_b64 s[2:3], s[2:3], 1
	v_add_nc_u32_e32 v98, s12, v89
	v_add_co_u32 v81, vcc_lo, v169, s2
	v_add_co_ci_u32_e32 v82, vcc_lo, s3, v170, vcc_lo
	s_waitcnt vmcnt(26) lgkmcnt(0)
	v_wmma_f32_16x16x16_f16 v[137:144], v[105:112], v[17:24], v[137:144]
	s_waitcnt vmcnt(24)
	v_wmma_f32_16x16x16_f16 v[129:136], v[113:120], v[17:24], v[129:136]
	s_clause 0x1
	global_load_b128 v[17:20], v[81:82], off
	global_load_b128 v[21:24], v[81:82], off offset:16
	ds_load_b128 v[81:84], v78 offset:12288
	ds_load_b128 v[85:88], v78 offset:13312
	;; [unrolled: 1-line block ×4, first 2 shown]
	v_xor_b32_e32 v99, 16, v97
	v_or_b32_e32 v98, v98, v75
	s_waitcnt vmcnt(0) lgkmcnt(0)
	s_barrier
	buffer_gl0_inv
	v_cmp_gt_i32_e32 vcc_lo, 32, v99
	v_or_b32_e32 v100, 4, v98
	v_or_b32_e32 v101, 22, v98
	;; [unrolled: 1-line block ×5, first 2 shown]
	v_cmp_gt_i32_e64 s3, s17, v100
	v_cmp_gt_i32_e64 s12, s17, v101
	v_or_b32_e32 v105, 30, v98
	v_cmp_gt_i32_e64 s13, s17, v102
	v_cmp_gt_i32_e64 s15, s17, v103
	;; [unrolled: 1-line block ×3, first 2 shown]
	v_wmma_f32_16x16x16_f16 v[137:144], v[121:128], v[81:88], v[137:144]
	v_wmma_f32_16x16x16_f16 v[129:136], v[145:152], v[81:88], v[129:136]
	v_or_b32_e32 v81, 6, v98
	v_or_b32_e32 v82, 8, v98
	;; [unrolled: 1-line block ×3, first 2 shown]
	v_wmma_f32_16x16x16_f16 v[137:144], v[153:160], v[89:96], v[137:144]
	v_cndmask_b32_e32 v97, v97, v99, vcc_lo
	v_or_b32_e32 v99, 2, v98
	v_wmma_f32_16x16x16_f16 v[129:136], v[161:168], v[89:96], v[129:136]
	v_cmp_gt_i32_e32 vcc_lo, s17, v98
	v_dual_mul_f32 v96, s18, v137 :: v_dual_mul_f32 v95, s18, v138
	s_delay_alu instid0(VALU_DEP_4) | instskip(NEXT) | instid1(VALU_DEP_4)
	v_cmp_gt_i32_e64 s2, s17, v99
	v_mul_f32_e32 v110, s18, v132
	v_dual_mul_f32 v89, s18, v144 :: v_dual_mul_f32 v94, s18, v139
	v_dual_mul_f32 v93, s18, v140 :: v_dual_mul_f32 v108, s18, v134
	v_cndmask_b32_e32 v96, 0xff7fffff, v96, vcc_lo
	v_cndmask_b32_e64 v95, 0xff7fffff, v95, s2
	v_cmp_gt_i32_e64 s4, s17, v81
	v_or_b32_e32 v84, 12, v98
	v_or_b32_e32 v85, 14, v98
	v_dual_mul_f32 v91, s18, v142 :: v_dual_mul_f32 v106, s18, v136
	v_mul_f32_e32 v92, s18, v141
	v_cndmask_b32_e64 v94, 0xff7fffff, v94, s3
	v_cndmask_b32_e64 v81, 0xff7fffff, v93, s4
	v_max3_f32 v93, v96, 0xff7fffff, v95
	v_cmp_gt_i32_e64 s5, s17, v82
	v_cmp_gt_i32_e64 s6, s17, v83
	v_or_b32_e32 v86, 16, v98
	v_or_b32_e32 v87, 18, v98
	v_mul_f32_e32 v90, s18, v143
	v_cndmask_b32_e64 v82, 0xff7fffff, v92, s5
	v_cndmask_b32_e64 v83, 0xff7fffff, v91, s6
	v_max3_f32 v81, v93, v94, v81
	v_cmp_gt_i32_e64 s7, s17, v84
	v_cmp_gt_i32_e64 s8, s17, v85
	v_or_b32_e32 v88, 20, v98
	v_dual_mul_f32 v107, s18, v135 :: v_dual_mul_f32 v112, s18, v130
	v_mul_f32_e32 v113, s18, v129
	v_cndmask_b32_e64 v84, 0xff7fffff, v90, s7
	v_cndmask_b32_e64 v85, 0xff7fffff, v89, s8
	v_max3_f32 v81, v81, v82, v83
	v_cmp_gt_i32_e64 s9, s17, v86
	v_cmp_gt_i32_e64 s10, s17, v87
	v_mul_f32_e32 v111, s18, v131
	v_cmp_gt_i32_e64 s11, s17, v88
	v_max3_f32 v81, v81, v84, v85
	v_cndmask_b32_e64 v82, 0xff7fffff, v113, s9
	v_cndmask_b32_e64 v83, 0xff7fffff, v112, s10
	v_mul_f32_e32 v109, s18, v133
	v_cndmask_b32_e64 v84, 0xff7fffff, v111, s11
	v_cndmask_b32_e64 v85, 0xff7fffff, v110, s12
	v_cmp_gt_i32_e64 s17, s17, v105
	v_max3_f32 v81, v81, v82, v83
	v_cndmask_b32_e64 v82, 0xff7fffff, v109, s13
	v_cndmask_b32_e64 v83, 0xff7fffff, v108, s15
	s_delay_alu instid0(VALU_DEP_3) | instskip(SKIP_2) | instid1(VALU_DEP_3)
	v_max3_f32 v81, v81, v84, v85
	v_cndmask_b32_e64 v84, 0xff7fffff, v107, s16
	v_cndmask_b32_e64 v85, 0xff7fffff, v106, s17
	v_max3_f32 v81, v81, v82, v83
	v_lshlrev_b32_e32 v83, 2, v97
	s_delay_alu instid0(VALU_DEP_2) | instskip(SKIP_3) | instid1(VALU_DEP_1)
	v_max3_f32 v81, v81, v84, v85
	ds_bpermute_b32 v82, v83, v81
	s_waitcnt lgkmcnt(0)
	v_max_f32_e32 v82, v82, v82
	v_max_f32_e32 v81, v81, v82
	s_delay_alu instid0(VALU_DEP_1) | instskip(NEXT) | instid1(VALU_DEP_1)
	v_fma_f32 v88, s18, v141, -v81
	v_mul_f32_e32 v88, 0x3fb8aa3b, v88
	v_fma_f32 v82, s18, v137, -v81
	v_fma_f32 v84, s18, v138, -v81
	;; [unrolled: 1-line block ×5, first 2 shown]
	v_mul_f32_e32 v82, 0x3fb8aa3b, v82
	v_mul_f32_e32 v84, 0x3fb8aa3b, v84
	v_exp_f32_e32 v92, v88
	s_delay_alu instid0(VALU_DEP_3) | instskip(NEXT) | instid1(VALU_DEP_3)
	v_dual_mul_f32 v86, 0x3fb8aa3b, v86 :: v_dual_mul_f32 v91, 0x3fb8aa3b, v91
	v_exp_f32_e32 v82, v82
	s_delay_alu instid0(VALU_DEP_2) | instskip(SKIP_1) | instid1(VALU_DEP_2)
	v_exp_f32_e32 v84, v84
	v_fma_f32 v95, s18, v132, -v81
	v_exp_f32_e32 v90, v86
	v_exp_f32_e32 v93, v91
	v_fma_f32 v100, s18, v136, -v81
	v_fma_f32 v98, s18, v134, -v81
	v_cndmask_b32_e64 v91, 0, v92, s5
	v_fma_f32 v92, s18, v130, -v81
	v_mul_f32_e32 v97, 0x3fb8aa3b, v95
	v_cndmask_b32_e32 v87, 0, v82, vcc_lo
	v_mul_f32_e32 v85, 0x3fb8aa3b, v85
	v_cndmask_b32_e64 v86, 0, v84, s2
	v_fma_f32 v82, s18, v142, -v81
	v_cndmask_b32_e64 v88, 0, v90, s4
	v_add_f32_e32 v84, 0, v87
	v_exp_f32_e32 v85, v85
	v_fma_f32 v90, s18, v129, -v81
	v_mul_f32_e32 v82, 0x3fb8aa3b, v82
	v_mul_f32_e32 v92, 0x3fb8aa3b, v92
	v_exp_f32_e32 v99, v97
	v_cndmask_b32_e64 v93, 0, v93, s7
	v_mul_f32_e32 v98, 0x3fb8aa3b, v98
	v_exp_f32_e32 v82, v82
	v_exp_f32_e32 v96, v92
	s_mov_b32 s2, exec_lo
	v_cndmask_b32_e64 v89, 0, v85, s3
	v_fma_f32 v85, s18, v144, -v81
	v_add_f32_e32 v84, v84, v86
	v_exp_f32_e32 v98, v98
	s_delay_alu instid0(VALU_DEP_2) | instskip(NEXT) | instid1(VALU_DEP_2)
	v_mul_f32_e32 v85, 0x3fb8aa3b, v85
	v_add_f32_e32 v84, v84, v89
	s_delay_alu instid0(VALU_DEP_2) | instskip(NEXT) | instid1(VALU_DEP_1)
	v_exp_f32_e32 v85, v85
	v_add_f32_e32 v84, v84, v88
	s_waitcnt_depctr 0xfff
	v_cndmask_b32_e64 v98, 0, v98, s15
	v_cndmask_b32_e64 v92, 0, v85, s8
	v_fma_f32 v85, s18, v133, -v81
	v_mul_f32_e32 v94, 0x3fb8aa3b, v90
	v_cndmask_b32_e64 v90, 0, v82, s6
	v_add_f32_e32 v82, v84, v91
	v_fma_f32 v84, s18, v131, -v81
	v_mul_f32_e32 v85, 0x3fb8aa3b, v85
	v_exp_f32_e32 v94, v94
	s_delay_alu instid0(VALU_DEP_2) | instskip(NEXT) | instid1(VALU_DEP_2)
	v_mul_f32_e32 v84, 0x3fb8aa3b, v84
	v_exp_f32_e32 v85, v85
	s_delay_alu instid0(VALU_DEP_1) | instskip(NEXT) | instid1(TRANS32_DEP_3)
	v_exp_f32_e32 v84, v84
	v_cndmask_b32_e64 v95, 0, v94, s9
	v_cndmask_b32_e64 v94, 0, v96, s10
	v_fma_f32 v96, s18, v135, -v81
	s_waitcnt_depctr 0xfff
	v_cndmask_b32_e64 v97, 0, v84, s11
	v_mul_f32_e32 v84, 0x3fb8aa3b, v96
	v_cndmask_b32_e64 v96, 0, v99, s12
	v_cndmask_b32_e64 v99, 0, v85, s13
	v_dual_mul_f32 v85, 0x3fb8aa3b, v100 :: v_dual_add_f32 v82, v82, v90
	s_delay_alu instid0(VALU_DEP_4) | instskip(NEXT) | instid1(VALU_DEP_1)
	v_exp_f32_e32 v84, v84
	v_exp_f32_e32 v85, v85
	s_delay_alu instid0(VALU_DEP_1) | instskip(NEXT) | instid1(VALU_DEP_1)
	v_add_f32_e32 v82, v82, v93
	v_add_f32_e32 v82, v82, v92
	s_waitcnt_depctr 0xfff
	v_cndmask_b32_e64 v101, 0, v84, s16
	v_cndmask_b32_e64 v100, 0, v85, s17
	v_add_f32_e32 v82, v82, v95
	s_delay_alu instid0(VALU_DEP_1) | instskip(NEXT) | instid1(VALU_DEP_1)
	v_add_f32_e32 v82, v82, v94
	v_add_f32_e32 v82, v82, v97
	s_delay_alu instid0(VALU_DEP_1) | instskip(NEXT) | instid1(VALU_DEP_1)
	v_add_f32_e32 v82, v82, v96
	;; [unrolled: 3-line block ×3, first 2 shown]
	v_add_f32_e32 v82, v82, v101
	s_delay_alu instid0(VALU_DEP_1)
	v_add_f32_e32 v82, v82, v100
	ds_bpermute_b32 v83, v83, v82
	v_cmpx_gt_u32_e32 16, v80
	s_cbranch_execz .LBB321_14
; %bb.13:
	v_mul_u32_u24_e32 v80, 0x44, v77
	s_waitcnt lgkmcnt(0)
	v_add_f32_e32 v82, v82, v83
	s_delay_alu instid0(VALU_DEP_2) | instskip(NEXT) | instid1(VALU_DEP_1)
	v_lshl_add_u32 v80, v79, 2, v80
	v_add_nc_u32_e32 v80, 0x4000, v80
	ds_store_2addr_b32 v80, v81, v82 offset1:136
.LBB321_14:
	s_or_b32 exec_lo, exec_lo, s2
	v_lshlrev_b32_e32 v79, 2, v79
	s_load_b32 s34, s[0:1], 0x94
	s_waitcnt lgkmcnt(0)
	s_barrier
	buffer_gl0_inv
	v_add_nc_u32_e32 v83, 0x4000, v79
	v_cmp_eq_u32_e32 vcc_lo, 1, v77
	v_cmp_eq_u32_e64 s2, 2, v77
	v_cmp_eq_u32_e64 s3, 3, v77
	;; [unrolled: 1-line block ×3, first 2 shown]
	ds_load_2addr_b32 v[79:80], v83 offset1:17
	ds_load_2addr_b32 v[81:82], v83 offset0:34 offset1:51
	ds_load_2addr_b32 v[102:103], v83 offset0:68 offset1:85
	;; [unrolled: 1-line block ×3, first 2 shown]
	v_cmp_eq_u32_e64 s5, 7, v77
	s_waitcnt lgkmcnt(3)
	v_max3_f32 v84, v79, 0xff7fffff, v80
	s_waitcnt lgkmcnt(2)
	s_delay_alu instid0(VALU_DEP_1) | instskip(SKIP_1) | instid1(VALU_DEP_1)
	v_max3_f32 v84, v84, v81, v82
	s_waitcnt lgkmcnt(1)
	v_max3_f32 v84, v84, v102, v103
	s_waitcnt lgkmcnt(0)
	s_delay_alu instid0(VALU_DEP_1) | instskip(NEXT) | instid1(VALU_DEP_1)
	v_max3_f32 v84, v84, v104, v105
	v_sub_f32_e32 v102, v102, v84
	ds_load_2addr_b32 v[106:107], v83 offset0:136 offset1:153
	v_sub_f32_e32 v79, v79, v84
	v_dual_sub_f32 v109, v82, v84 :: v_dual_mul_f32 v112, 0x3fb8aa3b, v102
	s_delay_alu instid0(VALU_DEP_2) | instskip(SKIP_3) | instid1(VALU_DEP_1)
	v_dual_sub_f32 v85, v80, v84 :: v_dual_mul_f32 v108, 0x3fb8aa3b, v79
	ds_load_2addr_b32 v[79:80], v83 offset0:170 offset1:187
	v_mul_f32_e32 v85, 0x3fb8aa3b, v85
	v_exp_f32_e32 v108, v108
	v_exp_f32_e32 v111, v85
	v_mul_f32_e32 v109, 0x3fb8aa3b, v109
	s_waitcnt lgkmcnt(1)
	s_waitcnt_depctr 0xfff
	v_fma_f32 v85, v108, v106, 0
	v_sub_f32_e32 v106, v103, v84
	v_sub_f32_e32 v81, v81, v84
	v_exp_f32_e32 v109, v109
	ds_load_2addr_b32 v[102:103], v83 offset0:238 offset1:255
	v_dual_fmac_f32 v85, v111, v107 :: v_dual_mul_f32 v110, 0x3fb8aa3b, v81
	ds_load_2addr_b32 v[81:82], v83 offset0:204 offset1:221
	v_dual_sub_f32 v83, v104, v84 :: v_dual_mul_f32 v104, 0x3fb8aa3b, v106
	v_exp_f32_e32 v106, v112
	v_exp_f32_e32 v110, v110
	s_waitcnt lgkmcnt(0)
	s_delay_alu instid0(VALU_DEP_1)
	v_mul_f32_e32 v83, 0x3fb8aa3b, v83
	v_exp_f32_e32 v104, v104
	s_barrier
	buffer_gl0_inv
	v_fmac_f32_e32 v85, v110, v79
	v_sub_f32_e32 v79, v105, v84
	v_exp_f32_e32 v105, v83
	s_delay_alu instid0(VALU_DEP_2) | instskip(NEXT) | instid1(VALU_DEP_2)
	v_fmac_f32_e32 v85, v109, v80
	v_mul_f32_e32 v79, 0x3fb8aa3b, v79
	s_delay_alu instid0(VALU_DEP_2) | instskip(NEXT) | instid1(VALU_DEP_2)
	v_dual_cndmask_b32 v80, v108, v111 :: v_dual_fmac_f32 v85, v106, v81
	v_exp_f32_e32 v107, v79
	s_delay_alu instid0(VALU_DEP_1) | instskip(SKIP_2) | instid1(VALU_DEP_1)
	v_fmac_f32_e32 v85, v104, v82
	s_waitcnt_depctr 0xfff
	v_fmac_f32_e32 v85, v105, v102
	v_fmac_f32_e32 v85, v107, v103
	s_delay_alu instid0(VALU_DEP_1) | instskip(NEXT) | instid1(VALU_DEP_1)
	v_add_f32_e32 v102, 0x358637bd, v85
	v_div_scale_f32 v103, null, v102, v102, 1.0
	v_div_scale_f32 v108, vcc_lo, 1.0, v102, 1.0
	s_delay_alu instid0(VALU_DEP_2) | instskip(SKIP_2) | instid1(VALU_DEP_1)
	v_rcp_f32_e32 v112, v103
	s_waitcnt_depctr 0xfff
	v_fma_f32 v79, -v103, v112, 1.0
	v_fmac_f32_e32 v112, v79, v112
	v_cndmask_b32_e64 v79, v80, v110, s2
	v_cmp_eq_u32_e64 s2, 4, v77
	v_lshl_or_b32 v80, v77, 11, v78
	s_delay_alu instid0(VALU_DEP_4) | instskip(NEXT) | instid1(VALU_DEP_4)
	v_mul_f32_e32 v110, v108, v112
	v_cndmask_b32_e64 v81, v79, v109, s3
	v_cmp_eq_u32_e64 s3, 6, v77
	s_delay_alu instid0(VALU_DEP_4) | instskip(SKIP_3) | instid1(VALU_DEP_3)
	v_lshl_or_b32 v77, v75, 4, v80
	v_lshlrev_b32_e32 v79, 2, v75
	v_fma_f32 v82, -v103, v110, v108
	v_cndmask_b32_e64 v83, v81, v106, s2
	v_or_b32_e32 v81, 1, v79
	s_delay_alu instid0(VALU_DEP_3) | instskip(NEXT) | instid1(VALU_DEP_3)
	v_fmac_f32_e32 v110, v82, v112
	v_cndmask_b32_e64 v104, v83, v104, s4
	v_or_b32_e32 v83, 2, v79
	v_or_b32_e32 v82, 3, v79
	v_cmp_eq_u32_e64 s2, 1, v79
	v_fma_f32 v103, -v103, v110, v108
	v_cndmask_b32_e64 v104, v104, v105, s3
	v_cmp_eq_u32_e64 s8, 1, v81
	v_cmp_eq_u32_e64 s9, 1, v83
	;; [unrolled: 1-line block ×3, first 2 shown]
	v_div_fmas_f32 v103, v103, v112, v110
	v_cndmask_b32_e64 v104, v104, v107, s5
	v_cmp_eq_u32_e32 vcc_lo, 2, v79
	v_cmp_eq_u32_e64 s11, 2, v81
	v_cmp_eq_u32_e64 s13, 2, v83
	v_div_fixup_f32 v102, v103, v102, 1.0
	v_cmp_eq_u32_e64 s15, 2, v82
	v_cmp_eq_u32_e64 s17, 3, v82
	;; [unrolled: 1-line block ×4, first 2 shown]
	v_mul_f32_e32 v110, v104, v102
	v_cmp_eq_u32_e64 s16, 3, v83
	v_cmp_eq_u32_e64 s21, 4, v82
	;; [unrolled: 1-line block ×4, first 2 shown]
	v_fma_mixlo_f16 v102, v110, v87, 0
	v_fma_mixlo_f16 v103, v110, v89, 0
	;; [unrolled: 1-line block ×8, first 2 shown]
	v_fma_mixhi_f16 v102, v110, v86, 0
	v_fma_mixhi_f16 v103, v110, v88, 0
	;; [unrolled: 1-line block ×8, first 2 shown]
	ds_store_b128 v77, v[102:105]
	ds_store_b128 v77, v[106:109] offset:1024
	s_waitcnt lgkmcnt(0)
	s_barrier
	buffer_gl0_inv
	ds_load_b128 v[86:89], v80
	ds_load_b128 v[90:93], v80 offset:16
	ds_load_b128 v[94:97], v80 offset:1024
	;; [unrolled: 1-line block ×3, first 2 shown]
	v_cmp_eq_u32_e64 s20, 4, v83
	v_cmp_eq_u32_e64 s23, 5, v82
	;; [unrolled: 1-line block ×13, first 2 shown]
	s_waitcnt lgkmcnt(3)
	v_lshrrev_b32_e32 v102, 16, v86
	s_waitcnt lgkmcnt(2)
	v_lshrrev_b32_e32 v106, 16, v90
	;; [unrolled: 2-line block ×4, first 2 shown]
	v_lshrrev_b32_e32 v103, 16, v87
	v_cndmask_b32_e64 v118, v86, v102, s2
	v_cndmask_b32_e64 v119, v90, v106, s2
	v_cndmask_b32_e64 v120, v86, v102, s8
	v_cndmask_b32_e64 v121, v90, v106, s8
	v_cndmask_b32_e64 v122, v86, v102, s9
	v_cndmask_b32_e64 v123, v90, v106, s9
	v_cndmask_b32_e64 v86, v86, v102, s10
	v_cndmask_b32_e64 v90, v90, v106, s10
	v_lshrrev_b32_e32 v107, 16, v91
	v_cndmask_b32_e64 v102, v94, v110, s2
	v_cndmask_b32_e64 v106, v98, v114, s2
	v_cndmask_b32_e64 v124, v94, v110, s8
	v_cndmask_b32_e64 v126, v94, v110, s9
	v_cndmask_b32_e64 v94, v94, v110, s10
	v_cndmask_b32_e32 v110, v118, v87, vcc_lo
	v_cndmask_b32_e64 v118, v120, v87, s11
	v_cndmask_b32_e64 v120, v122, v87, s13
	;; [unrolled: 1-line block ×4, first 2 shown]
	v_lshrrev_b32_e32 v111, 16, v95
	v_lshrrev_b32_e32 v115, 16, v99
	v_cndmask_b32_e64 v125, v98, v114, s8
	v_cndmask_b32_e64 v127, v98, v114, s9
	;; [unrolled: 1-line block ×3, first 2 shown]
	v_cndmask_b32_e32 v114, v119, v91, vcc_lo
	v_cndmask_b32_e64 v119, v121, v91, s11
	v_cndmask_b32_e64 v121, v123, v91, s13
	v_cndmask_b32_e32 v90, v102, v95, vcc_lo
	v_cndmask_b32_e32 v91, v106, v99, vcc_lo
	v_cndmask_b32_e64 v102, v124, v95, s11
	v_cndmask_b32_e64 v86, v86, v103, s17
	;; [unrolled: 1-line block ×3, first 2 shown]
	v_lshrrev_b32_e32 v104, 16, v88
	v_lshrrev_b32_e32 v108, 16, v92
	v_cndmask_b32_e64 v106, v126, v95, s13
	v_cndmask_b32_e64 v94, v94, v95, s15
	;; [unrolled: 1-line block ×14, first 2 shown]
	v_lshrrev_b32_e32 v112, 16, v96
	v_cndmask_b32_e64 v98, v98, v88, s4
	v_cndmask_b32_e64 v103, v110, v92, s4
	;; [unrolled: 1-line block ×11, first 2 shown]
	v_lshrrev_b32_e32 v105, 16, v89
	v_lshrrev_b32_e32 v109, 16, v93
	v_cndmask_b32_e64 v92, v98, v104, s5
	v_cndmask_b32_e64 v98, v103, v108, s5
	;; [unrolled: 1-line block ×9, first 2 shown]
	v_lshrrev_b32_e32 v113, 16, v97
	v_cndmask_b32_e64 v88, v88, v112, s5
	v_cndmask_b32_e64 v92, v92, v89, s6
	;; [unrolled: 1-line block ×19, first 2 shown]
	v_perm_b32 v89, v87, v86, 0x5040100
	v_cndmask_b32_e64 v86, v125, v99, s11
	v_cndmask_b32_e64 v104, v88, v113, s7
	v_perm_b32 v88, v102, v98, 0x5040100
	v_perm_b32 v87, v103, v93, 0x5040100
	v_cndmask_b32_e64 v93, v106, v111, s16
	v_cndmask_b32_e64 v94, v94, v111, s17
	;; [unrolled: 1-line block ×5, first 2 shown]
	v_lshrrev_b32_e32 v116, 16, v100
	v_cndmask_b32_e64 v93, v93, v96, s20
	v_cndmask_b32_e64 v94, v94, v96, s21
	;; [unrolled: 1-line block ×11, first 2 shown]
	v_lshrrev_b32_e32 v117, 16, v101
	v_cndmask_b32_e64 v90, v90, v101, s6
	v_cndmask_b32_e64 v93, v93, v97, s25
	;; [unrolled: 1-line block ×12, first 2 shown]
	v_perm_b32 v86, v92, v91, 0x5040100
	v_perm_b32 v93, v94, v93, 0x5040100
	;; [unrolled: 1-line block ×5, first 2 shown]
	s_lshl_b32 s6, s33, 4
	s_mov_b32 s2, exec_lo
	ds_store_b128 v77, v[86:89]
	ds_store_b128 v77, v[90:93] offset:1024
	v_cmpx_gt_u32_e32 16, v0
	s_cbranch_execz .LBB321_16
; %bb.15:
	v_or_b32_e32 v86, s31, v0
	s_load_b128 s[8:11], s[0:1], 0x58
	s_delay_alu instid0(VALU_DEP_1) | instskip(NEXT) | instid1(VALU_DEP_1)
	v_mad_u64_u32 v[87:88], null, s6, s30, v[86:87]
	v_mad_u64_u32 v[88:89], null, v87, s34, s[14:15]
	s_delay_alu instid0(VALU_DEP_1) | instskip(NEXT) | instid1(VALU_DEP_1)
	v_ashrrev_i32_e32 v89, 31, v88
	v_lshlrev_b64 v[86:87], 2, v[88:89]
	s_waitcnt lgkmcnt(0)
	s_delay_alu instid0(VALU_DEP_1) | instskip(NEXT) | instid1(VALU_DEP_2)
	v_add_co_u32 v88, vcc_lo, s10, v86
	v_add_co_ci_u32_e32 v89, vcc_lo, s11, v87, vcc_lo
	v_add_co_u32 v86, vcc_lo, s8, v86
	v_add_co_ci_u32_e32 v87, vcc_lo, s9, v87, vcc_lo
	global_store_b32 v[88:89], v84, off
	global_store_b32 v[86:87], v85, off
.LBB321_16:
	s_or_b32 exec_lo, exec_lo, s2
	s_waitcnt lgkmcnt(0)
	s_waitcnt_vscnt null, 0x0
	s_barrier
	buffer_gl0_inv
	ds_load_b128 v[92:95], v78
	ds_load_b128 v[96:99], v78 offset:16
	ds_load_b128 v[104:107], v78 offset:1040
	ds_load_b128 v[100:103], v78 offset:1024
	ds_load_b128 v[112:115], v78 offset:2064
	ds_load_b128 v[108:111], v78 offset:2048
	v_cmp_eq_u32_e32 vcc_lo, 1, v83
	v_mov_b32_e32 v84, 0
	ds_load_b128 v[120:123], v78 offset:3088
	ds_load_b128 v[116:119], v78 offset:3072
	;; [unrolled: 1-line block ×4, first 2 shown]
	v_cmp_eq_u32_e64 s2, 1, v79
	v_cmp_eq_u32_e64 s3, 1, v82
	v_cmp_eq_u32_e64 s4, 1, v81
	v_mov_b32_e32 v85, v84
	v_mov_b32_e32 v86, v84
	;; [unrolled: 1-line block ×7, first 2 shown]
	v_cmp_eq_u32_e64 s5, 2, v79
	s_waitcnt lgkmcnt(8)
	s_delay_alu instid0(VALU_DEP_2)
	v_wmma_f32_16x16x16_f16 v[84:91], v[65:72], v[92:99], v[84:91]
	ds_load_b128 v[69:72], v78 offset:5136
	ds_load_b128 v[65:68], v78 offset:5120
	;; [unrolled: 1-line block ×4, first 2 shown]
	s_waitcnt lgkmcnt(10)
	v_wmma_f32_16x16x16_f16 v[84:91], v[57:64], v[100:107], v[84:91]
	s_waitcnt lgkmcnt(8)
	s_delay_alu instid0(VALU_DEP_1)
	v_wmma_f32_16x16x16_f16 v[84:91], v[57:64], v[108:115], v[84:91]
	ds_load_b128 v[61:64], v78 offset:7184
	ds_load_b128 v[57:60], v78 offset:7168
	;; [unrolled: 1-line block ×4, first 2 shown]
	s_waitcnt lgkmcnt(10)
	v_wmma_f32_16x16x16_f16 v[84:91], v[49:56], v[116:123], v[84:91]
	s_waitcnt lgkmcnt(8)
	s_delay_alu instid0(VALU_DEP_1)
	v_wmma_f32_16x16x16_f16 v[84:91], v[49:56], v[124:131], v[84:91]
	ds_load_b128 v[53:56], v78 offset:9232
	ds_load_b128 v[49:52], v78 offset:9216
	s_waitcnt lgkmcnt(8)
	v_wmma_f32_16x16x16_f16 v[84:91], v[33:40], v[65:72], v[84:91]
	ds_load_b128 v[69:72], v78 offset:10256
	ds_load_b128 v[65:68], v78 offset:10240
	s_waitcnt lgkmcnt(8)
	;; [unrolled: 4-line block ×7, first 2 shown]
	s_barrier
	buffer_gl0_inv
	v_wmma_f32_16x16x16_f16 v[84:91], v[25:32], v[33:40], v[84:91]
	s_delay_alu instid0(VALU_DEP_1) | instskip(NEXT) | instid1(VALU_DEP_1)
	v_wmma_f32_16x16x16_f16 v[84:91], v[25:32], v[57:64], v[84:91]
	v_wmma_f32_16x16x16_f16 v[84:91], v[41:48], v[9:16], v[84:91]
	s_delay_alu instid0(VALU_DEP_1) | instskip(NEXT) | instid1(VALU_DEP_1)
	v_wmma_f32_16x16x16_f16 v[84:91], v[41:48], v[49:56], v[84:91]
	v_wmma_f32_16x16x16_f16 v[84:91], v[17:24], v[1:8], v[84:91]
	s_delay_alu instid0(VALU_DEP_1) | instskip(NEXT) | instid1(VALU_DEP_2)
	v_cvt_f16_f32_e32 v1, v84
	v_cvt_f16_f32_e32 v2, v85
	s_delay_alu instid0(VALU_DEP_3) | instskip(NEXT) | instid1(VALU_DEP_4)
	v_cvt_f16_f32_e32 v3, v86
	v_cvt_f16_f32_e32 v4, v87
	;; [unrolled: 1-line block ×6, first 2 shown]
	v_pack_b32_f16 v1, v1, v2
	v_pack_b32_f16 v2, v3, v4
	;; [unrolled: 1-line block ×3, first 2 shown]
	s_delay_alu instid0(VALU_DEP_4)
	v_pack_b32_f16 v4, v7, v8
	ds_store_b128 v77, v[1:4]
	s_waitcnt lgkmcnt(0)
	s_barrier
	buffer_gl0_inv
	ds_load_b128 v[1:4], v80
	ds_load_b128 v[5:8], v80 offset:16
	s_waitcnt lgkmcnt(1)
	v_lshrrev_b32_e32 v9, 16, v1
	s_waitcnt lgkmcnt(0)
	v_lshrrev_b32_e32 v13, 16, v5
	v_lshrrev_b32_e32 v10, 16, v2
	;; [unrolled: 1-line block ×4, first 2 shown]
	v_cndmask_b32_e64 v17, v1, v9, s2
	v_cndmask_b32_e64 v18, v5, v13, s2
	;; [unrolled: 1-line block ×3, first 2 shown]
	v_cmp_eq_u32_e64 s2, 2, v81
	v_cndmask_b32_e64 v20, v5, v13, s4
	v_cndmask_b32_e32 v21, v1, v9, vcc_lo
	v_cndmask_b32_e32 v22, v5, v13, vcc_lo
	v_cndmask_b32_e64 v1, v1, v9, s3
	v_cndmask_b32_e64 v5, v5, v13, s3
	v_cmp_eq_u32_e32 vcc_lo, 2, v83
	v_cmp_eq_u32_e64 s3, 2, v82
	v_cndmask_b32_e64 v9, v17, v2, s5
	v_cndmask_b32_e64 v13, v18, v6, s5
	;; [unrolled: 1-line block ×4, first 2 shown]
	v_cndmask_b32_e32 v19, v21, v2, vcc_lo
	v_cmp_eq_u32_e64 s2, 3, v83
	v_cndmask_b32_e32 v20, v22, v6, vcc_lo
	v_cndmask_b32_e64 v1, v1, v2, s3
	v_cmp_eq_u32_e32 vcc_lo, 3, v82
	v_cmp_eq_u32_e64 s4, 3, v79
	v_cndmask_b32_e64 v2, v5, v6, s3
	v_cmp_eq_u32_e64 s3, 3, v81
	v_cmp_eq_u32_e64 s5, 4, v79
	v_cndmask_b32_e32 v1, v1, v10, vcc_lo
	v_cndmask_b32_e64 v5, v9, v10, s4
	v_cndmask_b32_e64 v6, v13, v14, s4
	;; [unrolled: 1-line block ×3, first 2 shown]
	v_cmp_eq_u32_e64 s4, 4, v81
	v_cndmask_b32_e64 v13, v18, v14, s3
	v_cndmask_b32_e64 v17, v19, v10, s2
	v_cndmask_b32_e64 v18, v20, v14, s2
	v_cndmask_b32_e32 v2, v2, v14, vcc_lo
	v_cmp_eq_u32_e32 vcc_lo, 4, v83
	v_cmp_eq_u32_e64 s3, 4, v82
	v_lshrrev_b32_e32 v15, 16, v7
	v_cndmask_b32_e64 v5, v5, v3, s5
	v_cndmask_b32_e64 v6, v6, v7, s5
	v_cndmask_b32_e32 v14, v18, v7, vcc_lo
	v_cndmask_b32_e64 v9, v9, v3, s4
	v_cndmask_b32_e64 v10, v13, v7, s4
	v_cndmask_b32_e32 v13, v17, v3, vcc_lo
	v_cmp_eq_u32_e64 s2, 5, v83
	v_cndmask_b32_e64 v1, v1, v3, s3
	v_cmp_eq_u32_e32 vcc_lo, 5, v82
	v_cmp_eq_u32_e64 s4, 5, v79
	v_cndmask_b32_e64 v2, v2, v7, s3
	v_cmp_eq_u32_e64 s3, 5, v81
	v_cmp_eq_u32_e64 s5, 6, v79
	v_lshrrev_b32_e32 v12, 16, v4
	v_cndmask_b32_e64 v3, v5, v11, s4
	v_cndmask_b32_e64 v5, v6, v15, s4
	;; [unrolled: 1-line block ×3, first 2 shown]
	v_cmp_eq_u32_e64 s4, 6, v81
	v_cndmask_b32_e64 v7, v10, v15, s3
	v_cndmask_b32_e64 v9, v13, v11, s2
	;; [unrolled: 1-line block ×3, first 2 shown]
	v_cndmask_b32_e32 v1, v1, v11, vcc_lo
	v_cndmask_b32_e32 v2, v2, v15, vcc_lo
	v_cmp_eq_u32_e32 vcc_lo, 6, v83
	v_cmp_eq_u32_e64 s2, 6, v82
	v_lshrrev_b32_e32 v16, 16, v8
	v_cndmask_b32_e64 v3, v3, v4, s5
	v_cndmask_b32_e64 v5, v5, v8, s5
	v_cndmask_b32_e32 v9, v9, v4, vcc_lo
	v_cndmask_b32_e64 v6, v6, v4, s4
	v_cndmask_b32_e64 v7, v7, v8, s4
	v_cmp_eq_u32_e64 s3, 7, v83
	v_cndmask_b32_e32 v10, v10, v8, vcc_lo
	v_cndmask_b32_e64 v1, v1, v4, s2
	v_cmp_eq_u32_e32 vcc_lo, 7, v82
	v_cndmask_b32_e64 v2, v2, v8, s2
	v_cmp_eq_u32_e64 s2, 7, v79
	v_cmp_eq_u32_e64 s4, 7, v81
	v_cndmask_b32_e32 v1, v1, v12, vcc_lo
	s_delay_alu instid0(VALU_DEP_4) | instskip(NEXT) | instid1(VALU_DEP_4)
	v_cndmask_b32_e32 v2, v2, v16, vcc_lo
	v_cndmask_b32_e64 v8, v3, v12, s2
	s_delay_alu instid0(VALU_DEP_4)
	v_cndmask_b32_e64 v6, v6, v12, s4
	v_cndmask_b32_e64 v3, v9, v12, s3
	;; [unrolled: 1-line block ×5, first 2 shown]
	v_perm_b32 v4, v2, v1, 0x5040100
	s_mov_b32 s2, exec_lo
	v_perm_b32 v3, v9, v3, 0x5040100
	v_perm_b32 v2, v7, v6, 0x5040100
	v_perm_b32 v1, v5, v8, 0x5040100
	ds_store_b128 v77, v[1:4]
	s_waitcnt lgkmcnt(0)
	s_barrier
	buffer_gl0_inv
	v_cmpx_gt_u32_e32 32, v0
	s_cbranch_execz .LBB321_2
; %bb.17:
	s_load_b64 s[0:1], s[0:1], 0x68
	v_lshlrev_b32_e32 v0, 10, v0
	s_lshl_b32 s4, s34, 7
	v_or_b32_e32 v23, s31, v75
	s_mul_i32 s2, s4, s30
	v_lshlrev_b32_e32 v1, 4, v76
	v_lshlrev_b32_e32 v2, 6, v75
	s_mul_i32 s2, s2, s6
	v_and_b32_e32 v0, 0x3800, v0
	v_mul_lo_u32 v8, v23, s4
	s_ashr_i32 s3, s2, 31
	v_or_b32_e32 v3, 2, v23
	s_lshl_b64 s[2:3], s[2:3], 1
	v_or3_b32 v27, v0, v1, v2
	v_or_b32_e32 v11, 4, v23
	v_or_b32_e32 v18, 6, v23
	v_mul_lo_u32 v10, v3, s4
	v_ashrrev_i32_e32 v9, 31, v8
	ds_load_b128 v[0:3], v27
	ds_load_b128 v[4:7], v27 offset:128
	v_mul_lo_u32 v12, v11, s4
	s_waitcnt lgkmcnt(0)
	s_add_u32 s2, s0, s2
	s_addc_u32 s3, s1, s3
	s_lshl_b32 s0, s14, 7
	v_lshlrev_b64 v[8:9], 1, v[8:9]
	s_ashr_i32 s1, s0, 31
	v_ashrrev_i32_e32 v11, 31, v10
	s_lshl_b64 s[0:1], s[0:1], 1
	v_ashrrev_i32_e32 v13, 31, v12
	s_add_u32 s0, s2, s0
	s_addc_u32 s1, s3, s1
	v_add_co_u32 v30, vcc_lo, s0, v73
	v_add_co_ci_u32_e32 v31, vcc_lo, s1, v74, vcc_lo
	v_lshlrev_b64 v[16:17], 1, v[10:11]
	s_delay_alu instid0(VALU_DEP_3) | instskip(NEXT) | instid1(VALU_DEP_3)
	v_add_co_u32 v14, vcc_lo, v30, v8
	v_add_co_ci_u32_e32 v15, vcc_lo, v31, v9, vcc_lo
	ds_load_b128 v[8:11], v27 offset:256
	v_mul_lo_u32 v18, v18, s4
	v_or_b32_e32 v19, 8, v23
	v_add_co_u32 v16, vcc_lo, v30, v16
	global_store_b128 v[14:15], v[0:3], off
	v_lshlrev_b64 v[0:1], 1, v[12:13]
	v_add_co_ci_u32_e32 v17, vcc_lo, v31, v17, vcc_lo
	v_mul_lo_u32 v12, v19, s4
	v_ashrrev_i32_e32 v19, 31, v18
	v_or_b32_e32 v14, 10, v23
	global_store_b128 v[16:17], v[4:7], off
	v_add_co_u32 v4, vcc_lo, v30, v0
	v_add_co_ci_u32_e32 v5, vcc_lo, v31, v1, vcc_lo
	ds_load_b128 v[0:3], v27 offset:384
	v_ashrrev_i32_e32 v13, 31, v12
	v_lshlrev_b64 v[6:7], 1, v[18:19]
	v_mul_lo_u32 v14, v14, s4
	s_waitcnt lgkmcnt(1)
	global_store_b128 v[4:5], v[8:11], off
	v_or_b32_e32 v8, 12, v23
	v_lshlrev_b64 v[4:5], 1, v[12:13]
	v_add_co_u32 v20, vcc_lo, v30, v6
	v_or_b32_e32 v6, 14, v23
	v_ashrrev_i32_e32 v15, 31, v14
	v_mul_lo_u32 v22, v8, s4
	v_add_co_ci_u32_e32 v21, vcc_lo, v31, v7, vcc_lo
	v_add_co_u32 v24, vcc_lo, v30, v4
	v_mul_lo_u32 v26, v6, s4
	v_add_co_ci_u32_e32 v25, vcc_lo, v31, v5, vcc_lo
	v_lshlrev_b64 v[28:29], 1, v[14:15]
	ds_load_b128 v[4:7], v27 offset:512
	ds_load_b128 v[8:11], v27 offset:640
	;; [unrolled: 1-line block ×4, first 2 shown]
	v_ashrrev_i32_e32 v23, 31, v22
	v_ashrrev_i32_e32 v27, 31, v26
	v_add_co_u32 v28, vcc_lo, v30, v28
	s_delay_alu instid0(VALU_DEP_3) | instskip(SKIP_1) | instid1(VALU_DEP_4)
	v_lshlrev_b64 v[22:23], 1, v[22:23]
	v_add_co_ci_u32_e32 v29, vcc_lo, v31, v29, vcc_lo
	v_lshlrev_b64 v[26:27], 1, v[26:27]
	s_delay_alu instid0(VALU_DEP_3) | instskip(NEXT) | instid1(VALU_DEP_4)
	v_add_co_u32 v22, vcc_lo, v30, v22
	v_add_co_ci_u32_e32 v23, vcc_lo, v31, v23, vcc_lo
	s_delay_alu instid0(VALU_DEP_3) | instskip(NEXT) | instid1(VALU_DEP_4)
	v_add_co_u32 v26, vcc_lo, v30, v26
	v_add_co_ci_u32_e32 v27, vcc_lo, v31, v27, vcc_lo
	s_waitcnt lgkmcnt(4)
	global_store_b128 v[20:21], v[0:3], off
	s_waitcnt lgkmcnt(3)
	global_store_b128 v[24:25], v[4:7], off
	s_waitcnt lgkmcnt(2)
	global_store_b128 v[28:29], v[8:11], off
	s_waitcnt lgkmcnt(1)
	global_store_b128 v[22:23], v[12:15], off
	s_waitcnt lgkmcnt(0)
	global_store_b128 v[26:27], v[16:19], off
	s_nop 0
	s_sendmsg sendmsg(MSG_DEALLOC_VGPRS)
	s_endpgm
	.section	.rodata,"a",@progbits
	.p2align	6, 0x0
	.amdhsa_kernel _Z39paged_attention_ll4mi_QKV_mfma16_kernelIDF16_DF16_LN4vllm18Fp8KVCacheDataTypeE0EhLi32ELi128ELi256ELb1ELi16EL8MFMAType0EEvPKT_PKT0_S8_ifPKiSA_SA_iPKfiiiPfSD_PS3_PT2_iSC_SC_
		.amdhsa_group_segment_fixed_size 17472
		.amdhsa_private_segment_fixed_size 0
		.amdhsa_kernarg_size 400
		.amdhsa_user_sgpr_count 13
		.amdhsa_user_sgpr_dispatch_ptr 0
		.amdhsa_user_sgpr_queue_ptr 0
		.amdhsa_user_sgpr_kernarg_segment_ptr 1
		.amdhsa_user_sgpr_dispatch_id 0
		.amdhsa_user_sgpr_private_segment_size 0
		.amdhsa_wavefront_size32 1
		.amdhsa_uses_dynamic_stack 0
		.amdhsa_enable_private_segment 0
		.amdhsa_system_sgpr_workgroup_id_x 1
		.amdhsa_system_sgpr_workgroup_id_y 1
		.amdhsa_system_sgpr_workgroup_id_z 1
		.amdhsa_system_sgpr_workgroup_info 0
		.amdhsa_system_vgpr_workitem_id 0
		.amdhsa_next_free_vgpr 171
		.amdhsa_next_free_sgpr 38
		.amdhsa_reserve_vcc 1
		.amdhsa_float_round_mode_32 0
		.amdhsa_float_round_mode_16_64 0
		.amdhsa_float_denorm_mode_32 3
		.amdhsa_float_denorm_mode_16_64 3
		.amdhsa_dx10_clamp 1
		.amdhsa_ieee_mode 1
		.amdhsa_fp16_overflow 0
		.amdhsa_workgroup_processor_mode 1
		.amdhsa_memory_ordered 1
		.amdhsa_forward_progress 0
		.amdhsa_shared_vgpr_count 0
		.amdhsa_exception_fp_ieee_invalid_op 0
		.amdhsa_exception_fp_denorm_src 0
		.amdhsa_exception_fp_ieee_div_zero 0
		.amdhsa_exception_fp_ieee_overflow 0
		.amdhsa_exception_fp_ieee_underflow 0
		.amdhsa_exception_fp_ieee_inexact 0
		.amdhsa_exception_int_div_zero 0
	.end_amdhsa_kernel
	.section	.text._Z39paged_attention_ll4mi_QKV_mfma16_kernelIDF16_DF16_LN4vllm18Fp8KVCacheDataTypeE0EhLi32ELi128ELi256ELb1ELi16EL8MFMAType0EEvPKT_PKT0_S8_ifPKiSA_SA_iPKfiiiPfSD_PS3_PT2_iSC_SC_,"axG",@progbits,_Z39paged_attention_ll4mi_QKV_mfma16_kernelIDF16_DF16_LN4vllm18Fp8KVCacheDataTypeE0EhLi32ELi128ELi256ELb1ELi16EL8MFMAType0EEvPKT_PKT0_S8_ifPKiSA_SA_iPKfiiiPfSD_PS3_PT2_iSC_SC_,comdat
.Lfunc_end321:
	.size	_Z39paged_attention_ll4mi_QKV_mfma16_kernelIDF16_DF16_LN4vllm18Fp8KVCacheDataTypeE0EhLi32ELi128ELi256ELb1ELi16EL8MFMAType0EEvPKT_PKT0_S8_ifPKiSA_SA_iPKfiiiPfSD_PS3_PT2_iSC_SC_, .Lfunc_end321-_Z39paged_attention_ll4mi_QKV_mfma16_kernelIDF16_DF16_LN4vllm18Fp8KVCacheDataTypeE0EhLi32ELi128ELi256ELb1ELi16EL8MFMAType0EEvPKT_PKT0_S8_ifPKiSA_SA_iPKfiiiPfSD_PS3_PT2_iSC_SC_
                                        ; -- End function
	.section	.AMDGPU.csdata,"",@progbits
; Kernel info:
; codeLenInByte = 7728
; NumSgprs: 40
; NumVgprs: 171
; ScratchSize: 0
; MemoryBound: 0
; FloatMode: 240
; IeeeMode: 1
; LDSByteSize: 17472 bytes/workgroup (compile time only)
; SGPRBlocks: 4
; VGPRBlocks: 21
; NumSGPRsForWavesPerEU: 40
; NumVGPRsForWavesPerEU: 171
; Occupancy: 8
; WaveLimiterHint : 1
; COMPUTE_PGM_RSRC2:SCRATCH_EN: 0
; COMPUTE_PGM_RSRC2:USER_SGPR: 13
; COMPUTE_PGM_RSRC2:TRAP_HANDLER: 0
; COMPUTE_PGM_RSRC2:TGID_X_EN: 1
; COMPUTE_PGM_RSRC2:TGID_Y_EN: 1
; COMPUTE_PGM_RSRC2:TGID_Z_EN: 1
; COMPUTE_PGM_RSRC2:TIDIG_COMP_CNT: 0
	.section	.text._Z39paged_attention_ll4mi_QKV_mfma16_kernelIDF16_DF16_LN4vllm18Fp8KVCacheDataTypeE0EhLi32ELi128ELi256ELb1ELi1EL8MFMAType0EEvPKT_PKT0_S8_ifPKiSA_SA_iPKfiiiPfSD_PS3_PT2_iSC_SC_,"axG",@progbits,_Z39paged_attention_ll4mi_QKV_mfma16_kernelIDF16_DF16_LN4vllm18Fp8KVCacheDataTypeE0EhLi32ELi128ELi256ELb1ELi1EL8MFMAType0EEvPKT_PKT0_S8_ifPKiSA_SA_iPKfiiiPfSD_PS3_PT2_iSC_SC_,comdat
	.protected	_Z39paged_attention_ll4mi_QKV_mfma16_kernelIDF16_DF16_LN4vllm18Fp8KVCacheDataTypeE0EhLi32ELi128ELi256ELb1ELi1EL8MFMAType0EEvPKT_PKT0_S8_ifPKiSA_SA_iPKfiiiPfSD_PS3_PT2_iSC_SC_ ; -- Begin function _Z39paged_attention_ll4mi_QKV_mfma16_kernelIDF16_DF16_LN4vllm18Fp8KVCacheDataTypeE0EhLi32ELi128ELi256ELb1ELi1EL8MFMAType0EEvPKT_PKT0_S8_ifPKiSA_SA_iPKfiiiPfSD_PS3_PT2_iSC_SC_
	.globl	_Z39paged_attention_ll4mi_QKV_mfma16_kernelIDF16_DF16_LN4vllm18Fp8KVCacheDataTypeE0EhLi32ELi128ELi256ELb1ELi1EL8MFMAType0EEvPKT_PKT0_S8_ifPKiSA_SA_iPKfiiiPfSD_PS3_PT2_iSC_SC_
	.p2align	8
	.type	_Z39paged_attention_ll4mi_QKV_mfma16_kernelIDF16_DF16_LN4vllm18Fp8KVCacheDataTypeE0EhLi32ELi128ELi256ELb1ELi1EL8MFMAType0EEvPKT_PKT0_S8_ifPKiSA_SA_iPKfiiiPfSD_PS3_PT2_iSC_SC_,@function
_Z39paged_attention_ll4mi_QKV_mfma16_kernelIDF16_DF16_LN4vllm18Fp8KVCacheDataTypeE0EhLi32ELi128ELi256ELb1ELi1EL8MFMAType0EEvPKT_PKT0_S8_ifPKiSA_SA_iPKfiiiPfSD_PS3_PT2_iSC_SC_: ; @_Z39paged_attention_ll4mi_QKV_mfma16_kernelIDF16_DF16_LN4vllm18Fp8KVCacheDataTypeE0EhLi32ELi128ELi256ELb1ELi1EL8MFMAType0EEvPKT_PKT0_S8_ifPKiSA_SA_iPKfiiiPfSD_PS3_PT2_iSC_SC_
; %bb.0:
	s_load_b64 s[4:5], s[0:1], 0x30
	s_mov_b32 s34, s13
	s_waitcnt lgkmcnt(0)
	s_cmp_lg_u64 s[4:5], 0
	s_cselect_b32 s6, -1, 0
	s_ashr_i32 s35, s13, 31
	s_cmp_eq_u64 s[4:5], 0
	s_cbranch_scc1 .LBB322_3
; %bb.1:
	s_lshl_b64 s[2:3], s[34:35], 2
	s_delay_alu instid0(SALU_CYCLE_1) | instskip(SKIP_4) | instid1(SALU_CYCLE_1)
	s_add_u32 s2, s4, s2
	s_addc_u32 s3, s5, s3
	s_load_b64 s[2:3], s[2:3], 0x0
	s_waitcnt lgkmcnt(0)
	s_sub_i32 s2, s3, s2
	s_cmp_eq_u32 s2, 1
	s_cselect_b32 s2, -1, 0
	s_delay_alu instid0(SALU_CYCLE_1)
	s_and_not1_b32 vcc_lo, exec_lo, s2
	s_cbranch_vccz .LBB322_4
.LBB322_2:
	s_endpgm
.LBB322_3:
.LBB322_4:
	s_load_b64 s[2:3], s[0:1], 0x28
	s_lshl_b64 s[8:9], s[34:35], 2
	s_waitcnt lgkmcnt(0)
	s_add_u32 s2, s2, s8
	s_addc_u32 s3, s3, s9
	s_lshl_b32 s84, s14, 8
	s_load_b32 s33, s[2:3], 0x0
	s_waitcnt lgkmcnt(0)
	s_cmp_ge_i32 s84, s33
	s_cbranch_scc1 .LBB322_2
; %bb.5:
	s_clause 0x1
	s_load_b128 s[80:83], s[0:1], 0x8
	s_load_b64 s[2:3], s[0:1], 0x20
	s_and_not1_b32 vcc_lo, exec_lo, s6
	s_mov_b64 s[6:7], s[34:35]
	s_cbranch_vccnz .LBB322_7
; %bb.6:
	s_add_u32 s4, s4, s8
	s_addc_u32 s5, s5, s9
	s_load_b32 s6, s[4:5], 0x0
.LBB322_7:
	s_load_b128 s[76:79], s[0:1], 0x48
	v_and_b32_e32 v81, 15, v0
	s_mov_b32 s12, exec_lo
                                        ; implicit-def: $sgpr52
                                        ; implicit-def: $sgpr36
                                        ; implicit-def: $sgpr44
                                        ; implicit-def: $sgpr60
                                        ; implicit-def: $sgpr68
                                        ; implicit-def: $sgpr24
                                        ; implicit-def: $sgpr4
                                        ; implicit-def: $sgpr16
	s_delay_alu instid0(VALU_DEP_1)
	v_cmpx_eq_u32_e32 0, v81
	s_cbranch_execz .LBB322_9
; %bb.8:
	s_load_b64 s[4:5], s[0:1], 0x0
	s_waitcnt lgkmcnt(0)
	s_mul_hi_i32 s7, s6, s76
	s_mul_i32 s6, s6, s76
	s_delay_alu instid0(SALU_CYCLE_1) | instskip(NEXT) | instid1(SALU_CYCLE_1)
	s_lshl_b64 s[6:7], s[6:7], 1
	s_add_u32 s6, s4, s6
	s_addc_u32 s7, s5, s7
	s_lshl_b32 s4, s15, 7
	s_delay_alu instid0(SALU_CYCLE_1) | instskip(NEXT) | instid1(SALU_CYCLE_1)
	s_ashr_i32 s5, s4, 31
	s_lshl_b64 s[4:5], s[4:5], 1
	s_delay_alu instid0(SALU_CYCLE_1)
	s_add_u32 s16, s6, s4
	s_addc_u32 s17, s7, s5
	s_clause 0x7
	s_load_b256 s[52:59], s[16:17], 0x0
	s_load_b256 s[36:43], s[16:17], 0x20
	;; [unrolled: 1-line block ×8, first 2 shown]
.LBB322_9:
	s_or_b32 exec_lo, exec_lo, s12
	v_and_b32_e32 v1, 0xef, v0
	s_add_i32 s35, s33, 31
	s_load_b32 s13, s[0:1], 0x38
	s_waitcnt lgkmcnt(0)
	s_ashr_i32 s76, s35, 31
	s_mul_i32 s12, s15, s78
	s_load_b32 s78, s[0:1], 0x1c
	v_add_nc_u32_e32 v2, s84, v1
	s_lshr_b32 s76, s76, 27
	v_lshrrev_b32_e32 v84, 5, v0
	s_add_i32 s35, s35, s76
	v_mov_b32_e32 v164, s31
	v_ashrrev_i32_e32 v1, 31, v2
	v_cmp_gt_i32_e32 vcc_lo, s33, v2
	s_ashr_i32 s79, s35, 5
	v_mov_b32_e32 v163, s30
	s_add_i32 s79, s79, -1
	v_lshrrev_b32_e32 v3, 27, v1
	v_dual_mov_b32 v162, s29 :: v_dual_mov_b32 v161, s28
	v_dual_mov_b32 v160, s27 :: v_dual_mov_b32 v159, s26
	s_delay_alu instid0(VALU_DEP_3)
	v_add_nc_u32_e32 v1, v2, v3
	v_or_b32_e32 v2, 16, v2
	s_mul_i32 s86, s34, s13
	v_mov_b32_e32 v158, s25
	s_ashr_i32 s87, s86, 31
	v_ashrrev_i32_e32 v1, 5, v1
	v_add_nc_u32_e32 v3, v2, v3
	s_lshl_b64 s[86:87], s[86:87], 2
	v_mov_b32_e32 v157, s24
	s_add_u32 s35, s2, s86
	v_cndmask_b32_e32 v1, s79, v1, vcc_lo
	v_ashrrev_i32_e32 v3, 5, v3
	v_cmp_gt_i32_e32 vcc_lo, s33, v2
	s_addc_u32 s76, s3, s87
	s_ashr_i32 s13, s12, 31
	v_ashrrev_i32_e32 v2, 31, v1
	s_lshl_b64 s[2:3], s[12:13], 1
	v_cndmask_b32_e32 v3, s79, v3, vcc_lo
	s_add_u32 s85, s80, s2
	s_addc_u32 s94, s81, s3
	v_lshlrev_b64 v[1:2], 2, v[1:2]
	s_lshl_b32 s12, s14, 3
	v_ashrrev_i32_e32 v4, 31, v3
	s_ashr_i32 s13, s12, 31
	s_delay_alu instid0(SALU_CYCLE_1) | instskip(NEXT) | instid1(VALU_DEP_2)
	s_lshl_b64 s[12:13], s[12:13], 2
	v_add_co_u32 v1, vcc_lo, s35, v1
	s_delay_alu instid0(VALU_DEP_2) | instskip(SKIP_4) | instid1(VALU_DEP_2)
	v_lshlrev_b64 v[3:4], 2, v[3:4]
	v_add_co_ci_u32_e32 v2, vcc_lo, s76, v2, vcc_lo
	s_add_u32 s12, s35, s12
	s_addc_u32 s13, s76, s13
	s_or_b32 s80, s84, 32
	v_add_co_u32 v3, vcc_lo, s35, v3
	v_add_co_ci_u32_e32 v4, vcc_lo, s76, v4, vcc_lo
	s_clause 0x1
	global_load_b32 v5, v[1:2], off
	global_load_b32 v6, v[3:4], off
	s_ashr_i32 s81, s80, 5
	s_cmp_lt_i32 s80, s33
	s_cselect_b32 s80, s81, s79
	s_delay_alu instid0(SALU_CYCLE_1) | instskip(NEXT) | instid1(SALU_CYCLE_1)
	s_ashr_i32 s81, s80, 31
	s_lshl_b64 s[80:81], s[80:81], 2
	s_delay_alu instid0(SALU_CYCLE_1) | instskip(SKIP_2) | instid1(SALU_CYCLE_1)
	s_add_u32 s80, s35, s80
	s_addc_u32 s81, s76, s81
	s_or_b32 s86, s84, 64
	s_ashr_i32 s87, s86, 5
	s_cmp_lt_i32 s86, s33
	s_cselect_b32 s86, s87, s79
	s_delay_alu instid0(SALU_CYCLE_1) | instskip(NEXT) | instid1(SALU_CYCLE_1)
	s_ashr_i32 s87, s86, 31
	s_lshl_b64 s[86:87], s[86:87], 2
	s_delay_alu instid0(SALU_CYCLE_1) | instskip(SKIP_2) | instid1(SALU_CYCLE_1)
	s_add_u32 s86, s35, s86
	s_addc_u32 s87, s76, s87
	s_or_b32 s88, s84, 0x60
	;; [unrolled: 10-line block ×4, first 2 shown]
	s_ashr_i32 s93, s92, 5
	s_cmp_lt_i32 s92, s33
	s_cselect_b32 s92, s93, s79
	s_delay_alu instid0(SALU_CYCLE_1) | instskip(NEXT) | instid1(SALU_CYCLE_1)
	s_ashr_i32 s93, s92, 31
	s_lshl_b64 s[92:93], s[92:93], 2
	s_delay_alu instid0(SALU_CYCLE_1)
	s_add_u32 s92, s35, s92
	s_addc_u32 s93, s76, s93
	s_clause 0x5
	s_load_b32 s13, s[12:13], 0x0
	s_load_b32 s80, s[80:81], 0x0
	;; [unrolled: 1-line block ×6, first 2 shown]
	s_mov_b32 s88, 0
	s_delay_alu instid0(SALU_CYCLE_1)
	s_mov_b32 s89, s88
	s_mov_b32 s90, s88
	s_mov_b32 s91, s88
	s_mov_b32 s92, s88
	s_mov_b32 s93, s88
	s_mov_b32 s95, s88
	s_waitcnt lgkmcnt(0)
	s_mul_hi_i32 s27, s13, s77
	s_mul_i32 s26, s13, s77
	s_mul_hi_i32 s29, s80, s77
	s_mul_i32 s28, s80, s77
	s_waitcnt vmcnt(1)
	v_mad_i64_i32 v[1:2], null, v5, s77, 0
	s_waitcnt vmcnt(0)
	v_mad_i64_i32 v[3:4], null, v6, s77, 0
	v_lshlrev_b32_e32 v5, 4, v81
	s_delay_alu instid0(VALU_DEP_3) | instskip(NEXT) | instid1(VALU_DEP_3)
	v_lshlrev_b64 v[1:2], 1, v[1:2]
	v_lshlrev_b64 v[3:4], 1, v[3:4]
	s_delay_alu instid0(VALU_DEP_2) | instskip(NEXT) | instid1(VALU_DEP_3)
	v_add_co_u32 v1, vcc_lo, s85, v1
	v_add_co_ci_u32_e32 v2, vcc_lo, s94, v2, vcc_lo
	s_delay_alu instid0(VALU_DEP_3) | instskip(NEXT) | instid1(VALU_DEP_4)
	v_add_co_u32 v3, vcc_lo, s85, v3
	v_add_co_ci_u32_e32 v4, vcc_lo, s94, v4, vcc_lo
	s_delay_alu instid0(VALU_DEP_4) | instskip(NEXT) | instid1(VALU_DEP_4)
	v_add_co_u32 v65, vcc_lo, v1, v5
	v_add_co_ci_u32_e32 v66, vcc_lo, 0, v2, vcc_lo
	s_delay_alu instid0(VALU_DEP_4) | instskip(NEXT) | instid1(VALU_DEP_4)
	v_add_co_u32 v67, vcc_lo, v3, v5
	v_add_co_ci_u32_e32 v68, vcc_lo, 0, v4, vcc_lo
	s_clause 0xf
	global_load_b128 v[1:4], v[65:66], off
	global_load_b128 v[5:8], v[65:66], off offset:512
	global_load_b128 v[9:12], v[67:68], off offset:256
	;; [unrolled: 1-line block ×15, first 2 shown]
	v_add_co_u32 v73, vcc_lo, 0x1000, v65
	v_add_co_ci_u32_e32 v74, vcc_lo, 0, v66, vcc_lo
	v_add_co_u32 v82, vcc_lo, 0x1000, v67
	v_add_co_ci_u32_e32 v83, vcc_lo, 0, v68, vcc_lo
	s_clause 0xf
	global_load_b128 v[85:88], v[73:74], off
	global_load_b128 v[89:92], v[73:74], off offset:512
	global_load_b128 v[93:96], v[82:83], off offset:256
	;; [unrolled: 1-line block ×15, first 2 shown]
	s_mov_b32 s94, s88
	v_mov_b32_e32 v72, s59
	v_dual_mov_b32 v66, s53 :: v_dual_mov_b32 v73, s88
	v_dual_mov_b32 v80, s95 :: v_dual_mov_b32 v71, s58
	;; [unrolled: 1-line block ×3, first 2 shown]
	v_mov_b32_e32 v74, s89
	v_dual_mov_b32 v68, s55 :: v_dual_mov_b32 v67, s54
	v_dual_mov_b32 v76, s91 :: v_dual_mov_b32 v65, s52
	;; [unrolled: 1-line block ×3, first 2 shown]
	v_mov_b32_e32 v77, s92
	v_mov_b32_e32 v79, s94
	v_lshlrev_b32_e32 v83, 6, v81
	v_bfe_u32 v82, v0, 4, 1
	s_waitcnt vmcnt(30)
	s_delay_alu instid0(VALU_DEP_3)
	v_wmma_f32_16x16x16_f16 v[141:148], v[1:8], v[65:72], v[73:80]
	v_dual_mov_b32 v1, s36 :: v_dual_mov_b32 v8, s43
	v_dual_mov_b32 v2, s37 :: v_dual_mov_b32 v3, s38
	;; [unrolled: 1-line block ×3, first 2 shown]
	v_mov_b32_e32 v6, s41
	s_waitcnt vmcnt(28)
	v_wmma_f32_16x16x16_f16 v[73:80], v[9:16], v[65:72], v[73:80]
	v_mov_b32_e32 v7, s42
	s_or_b32 s36, s84, 0xc0
	v_dual_mov_b32 v9, s44 :: v_dual_mov_b32 v16, s51
	s_ashr_i32 s37, s36, 5
	v_mov_b32_e32 v10, s45
	v_mov_b32_e32 v12, s47
	;; [unrolled: 1-line block ×3, first 2 shown]
	s_waitcnt vmcnt(24)
	v_wmma_f32_16x16x16_f16 v[73:80], v[25:32], v[1:8], v[73:80]
	v_dual_mov_b32 v25, s68 :: v_dual_mov_b32 v32, s75
	s_cmp_lt_i32 s36, s33
	v_mov_b32_e32 v27, s70
	v_mov_b32_e32 v29, s72
	;; [unrolled: 1-line block ×3, first 2 shown]
	s_cselect_b32 s24, s37, s79
	v_wmma_f32_16x16x16_f16 v[141:148], v[17:24], v[1:8], v[141:148]
	s_ashr_i32 s25, s24, 31
	v_mov_b32_e32 v11, s46
	s_lshl_b64 s[24:25], s[24:25], 2
	v_mov_b32_e32 v13, s48
	s_add_u32 s24, s35, s24
	s_addc_u32 s25, s76, s25
	s_or_b32 s13, s84, 0xe0
	v_mov_b32_e32 v15, s50
	s_ashr_i32 s30, s13, 5
	s_cmp_lt_i32 s13, s33
	v_dual_mov_b32 v1, s60 :: v_dual_mov_b32 v8, s67
	s_cselect_b32 s30, s30, s79
	v_mov_b32_e32 v2, s61
	s_ashr_i32 s31, s30, 31
	v_mov_b32_e32 v4, s63
	s_lshl_b64 s[30:31], s[30:31], 2
	v_mov_b32_e32 v6, s65
	s_add_u32 s30, s35, s30
	s_addc_u32 s31, s76, s31
	s_add_i32 s13, s84, 0x100
	s_waitcnt vmcnt(22)
	v_wmma_f32_16x16x16_f16 v[141:148], v[33:40], v[9:16], v[141:148]
	s_ashr_i32 s40, s13, 5
	s_cmp_lt_i32 s13, s33
	s_waitcnt vmcnt(20)
	v_wmma_f32_16x16x16_f16 v[73:80], v[41:48], v[9:16], v[73:80]
	s_cselect_b32 s40, s40, s79
	v_lshl_or_b32 v9, v84, 10, v83
	s_ashr_i32 s41, s40, 31
	s_load_b32 s42, s[24:25], 0x0
	s_lshl_b64 s[40:41], s[40:41], 2
	s_mul_hi_i32 s37, s81, s77
	s_add_u32 s40, s35, s40
	s_addc_u32 s41, s76, s41
	s_add_u32 s35, s82, s2
	s_clause 0x1
	s_load_b32 s43, s[30:31], 0x0
	s_load_b32 s40, s[40:41], 0x0
	s_addc_u32 s41, s83, s3
	v_add_co_u32 v35, s35, s35, v9
	s_delay_alu instid0(VALU_DEP_1) | instskip(SKIP_2) | instid1(VALU_DEP_2)
	v_add_co_ci_u32_e64 v36, null, s41, 0, s35
	s_lshl_b64 s[2:3], s[26:27], 1
	s_lshl_b64 s[26:27], s[28:29], 1
	v_add_co_u32 v9, vcc_lo, v35, s2
	s_mul_i32 s36, s81, s77
	v_add_co_ci_u32_e32 v10, vcc_lo, s3, v36, vcc_lo
	v_add_co_u32 v11, vcc_lo, v35, s26
	s_lshl_b64 s[28:29], s[36:37], 1
	s_mul_hi_i32 s39, s86, s77
	s_mul_i32 s38, s86, s77
	v_add_co_ci_u32_e32 v12, vcc_lo, s27, v36, vcc_lo
	v_add_co_u32 v13, vcc_lo, v35, s28
	s_lshl_b64 s[30:31], s[38:39], 1
	s_mul_hi_i32 s25, s87, s77
	s_mul_i32 s24, s87, s77
	v_add_co_ci_u32_e32 v14, vcc_lo, s29, v36, vcc_lo
	v_add_co_u32 v15, vcc_lo, v35, s30
	s_lshl_b64 s[24:25], s[24:25], 1
	v_dual_mov_b32 v3, s62 :: v_dual_mov_b32 v26, s69
	v_dual_mov_b32 v5, s64 :: v_dual_mov_b32 v28, s71
	v_dual_mov_b32 v7, s66 :: v_dual_mov_b32 v30, s73
	s_mul_hi_i32 s13, s12, s77
	s_mul_i32 s12, s12, s77
	v_add_co_ci_u32_e32 v16, vcc_lo, s31, v36, vcc_lo
	v_add_co_u32 v21, vcc_lo, v35, s24
	s_lshl_b64 s[12:13], s[12:13], 1
	s_waitcnt lgkmcnt(0)
	s_mul_hi_i32 s37, s42, s77
	s_mul_i32 s36, s42, s77
	v_add_co_ci_u32_e32 v22, vcc_lo, s25, v36, vcc_lo
	v_add_co_u32 v33, vcc_lo, v35, s12
	s_lshl_b64 s[36:37], s[36:37], 1
	s_waitcnt vmcnt(18)
	v_wmma_f32_16x16x16_f16 v[141:148], v[49:56], v[1:8], v[141:148]
	s_waitcnt vmcnt(16)
	v_wmma_f32_16x16x16_f16 v[73:80], v[57:64], v[1:8], v[73:80]
	v_add_co_ci_u32_e32 v34, vcc_lo, s13, v36, vcc_lo
	s_mul_hi_i32 s3, s43, s77
	s_mul_i32 s2, s43, s77
	v_add_co_u32 v5, vcc_lo, v35, s36
	s_lshl_b64 s[2:3], s[2:3], 1
	v_add_co_ci_u32_e32 v6, vcc_lo, s37, v36, vcc_lo
	s_waitcnt vmcnt(14)
	v_wmma_f32_16x16x16_f16 v[141:148], v[85:92], v[25:32], v[141:148]
	s_waitcnt vmcnt(12)
	v_wmma_f32_16x16x16_f16 v[73:80], v[93:100], v[25:32], v[73:80]
	s_mul_hi_i32 s13, s40, s77
	s_mul_i32 s12, s40, s77
	v_add_co_u32 v25, vcc_lo, v35, s2
	v_add_co_ci_u32_e32 v26, vcc_lo, s3, v36, vcc_lo
	s_lshl_b64 s[2:3], s[12:13], 1
	s_clause 0x1
	global_load_b128 v[65:68], v[9:10], off
	global_load_b128 v[69:72], v[9:10], off offset:16
	v_add_co_u32 v29, vcc_lo, v35, s2
	v_add_co_ci_u32_e32 v30, vcc_lo, s3, v36, vcc_lo
	s_clause 0xf
	global_load_b128 v[57:60], v[11:12], off
	global_load_b128 v[61:64], v[11:12], off offset:16
	global_load_b128 v[49:52], v[13:14], off
	global_load_b128 v[53:56], v[13:14], off offset:16
	;; [unrolled: 2-line block ×8, first 2 shown]
	v_and_b32_e32 v85, 0xe0, v0
	s_waitcnt vmcnt(0)
	s_barrier
	buffer_gl0_inv
	v_dual_mov_b32 v92, s11 :: v_dual_add_nc_u32 v93, s84, v85
	v_dual_mov_b32 v91, s10 :: v_dual_mov_b32 v90, s9
	v_dual_mov_b32 v89, s8 :: v_dual_mov_b32 v88, s7
	;; [unrolled: 1-line block ×3, first 2 shown]
	v_wmma_f32_16x16x16_f16 v[141:148], v[101:108], v[157:164], v[141:148]
	v_wmma_f32_16x16x16_f16 v[73:80], v[109:116], v[157:164], v[73:80]
	v_mbcnt_lo_u32_b32 v101, -1, 0
	v_mov_b32_e32 v85, s4
	v_or_b32_e32 v103, v93, v82
	v_dual_mov_b32 v100, s23 :: v_dual_mov_b32 v99, s22
	s_delay_alu instid0(VALU_DEP_4)
	v_xor_b32_e32 v102, 16, v101
	v_dual_mov_b32 v98, s21 :: v_dual_mov_b32 v97, s20
	v_dual_mov_b32 v96, s19 :: v_dual_mov_b32 v95, s18
	;; [unrolled: 1-line block ×3, first 2 shown]
	v_wmma_f32_16x16x16_f16 v[73:80], v[125:132], v[85:92], v[73:80]
	v_wmma_f32_16x16x16_f16 v[141:148], v[117:124], v[85:92], v[141:148]
	v_cmp_gt_i32_e32 vcc_lo, 32, v102
	v_or_b32_e32 v104, 4, v103
	v_or_b32_e32 v105, 6, v103
	v_wmma_f32_16x16x16_f16 v[73:80], v[149:156], v[93:100], v[73:80]
	v_or_b32_e32 v106, 8, v103
	v_cndmask_b32_e32 v101, v101, v102, vcc_lo
	v_or_b32_e32 v102, 2, v103
	v_cmp_gt_i32_e32 vcc_lo, s33, v103
	v_mul_f32_e32 v114, s78, v76
	v_mul_f32_e32 v110, s78, v80
	;; [unrolled: 1-line block ×3, first 2 shown]
	v_wmma_f32_16x16x16_f16 v[141:148], v[133:140], v[93:100], v[141:148]
	v_cmp_gt_i32_e64 s2, s33, v102
	v_or_b32_e32 v107, 10, v103
	v_cmp_gt_i32_e64 s3, s33, v104
	v_cmp_gt_i32_e64 s4, s33, v105
	v_dual_mul_f32 v99, s78, v142 :: v_dual_mul_f32 v100, s78, v141
	v_dual_mul_f32 v97, s78, v144 :: v_dual_mul_f32 v98, s78, v143
	v_or_b32_e32 v85, 12, v103
	s_delay_alu instid0(VALU_DEP_3) | instskip(NEXT) | instid1(VALU_DEP_4)
	v_cndmask_b32_e64 v99, 0xff7fffff, v99, s2
	v_cndmask_b32_e32 v100, 0xff7fffff, v100, vcc_lo
	v_or_b32_e32 v86, 14, v103
	v_dual_mul_f32 v95, s78, v146 :: v_dual_mul_f32 v96, s78, v145
	v_cndmask_b32_e64 v98, 0xff7fffff, v98, s3
	v_cndmask_b32_e64 v97, 0xff7fffff, v97, s4
	v_max3_f32 v99, v100, 0xff7fffff, v99
	v_cmp_gt_i32_e64 s5, s33, v106
	v_cmp_gt_i32_e64 s6, s33, v107
	v_or_b32_e32 v87, 16, v103
	v_or_b32_e32 v88, 18, v103
	v_dual_mul_f32 v93, s78, v148 :: v_dual_mul_f32 v116, s78, v74
	v_mul_f32_e32 v94, s78, v147
	v_cndmask_b32_e64 v96, 0xff7fffff, v96, s5
	v_cndmask_b32_e64 v95, 0xff7fffff, v95, s6
	v_max3_f32 v97, v99, v98, v97
	v_cmp_gt_i32_e64 s7, s33, v85
	v_cmp_gt_i32_e64 s8, s33, v86
	v_or_b32_e32 v89, 20, v103
	v_or_b32_e32 v90, 22, v103
	v_mul_f32_e32 v117, s78, v73
	v_cndmask_b32_e64 v85, 0xff7fffff, v94, s7
	v_cndmask_b32_e64 v86, 0xff7fffff, v93, s8
	v_max3_f32 v93, v97, v96, v95
	v_cmp_gt_i32_e64 s9, s33, v87
	v_cmp_gt_i32_e64 s10, s33, v88
	v_or_b32_e32 v91, 24, v103
	v_or_b32_e32 v92, 26, v103
	v_mul_f32_e32 v115, s78, v75
	v_cndmask_b32_e64 v87, 0xff7fffff, v117, s9
	v_cndmask_b32_e64 v88, 0xff7fffff, v116, s10
	v_max3_f32 v85, v93, v85, v86
	v_cmp_gt_i32_e64 s11, s33, v89
	v_cmp_gt_i32_e64 s12, s33, v90
	v_or_b32_e32 v108, 28, v103
	v_or_b32_e32 v109, 30, v103
	v_mul_f32_e32 v113, s78, v77
	v_cndmask_b32_e64 v86, 0xff7fffff, v115, s11
	v_cndmask_b32_e64 v89, 0xff7fffff, v114, s12
	v_max3_f32 v85, v85, v87, v88
	v_cmp_gt_i32_e64 s13, s33, v91
	v_cmp_gt_i32_e64 s16, s33, v92
	v_mul_f32_e32 v111, s78, v79
	v_cmp_gt_i32_e64 s17, s33, v108
	v_max3_f32 v85, v85, v86, v89
	v_cndmask_b32_e64 v87, 0xff7fffff, v113, s13
	v_cndmask_b32_e64 v88, 0xff7fffff, v112, s16
	v_cmp_gt_i32_e64 s18, s33, v109
	v_cndmask_b32_e64 v86, 0xff7fffff, v111, s17
	s_delay_alu instid0(VALU_DEP_3) | instskip(NEXT) | instid1(VALU_DEP_3)
	v_max3_f32 v85, v85, v87, v88
	v_cndmask_b32_e64 v89, 0xff7fffff, v110, s18
	v_lshlrev_b32_e32 v87, 2, v101
	s_delay_alu instid0(VALU_DEP_2) | instskip(SKIP_3) | instid1(VALU_DEP_1)
	v_max3_f32 v85, v85, v86, v89
	ds_bpermute_b32 v86, v87, v85
	s_waitcnt lgkmcnt(0)
	v_max_f32_e32 v86, v86, v86
	v_max_f32_e32 v85, v85, v86
	s_delay_alu instid0(VALU_DEP_1) | instskip(SKIP_3) | instid1(VALU_DEP_4)
	v_fma_f32 v86, s78, v141, -v85
	v_fma_f32 v88, s78, v142, -v85
	;; [unrolled: 1-line block ×4, first 2 shown]
	v_mul_f32_e32 v86, 0x3fb8aa3b, v86
	s_delay_alu instid0(VALU_DEP_3) | instskip(NEXT) | instid1(VALU_DEP_3)
	v_dual_mul_f32 v88, 0x3fb8aa3b, v88 :: v_dual_mul_f32 v89, 0x3fb8aa3b, v89
	v_mul_f32_e32 v90, 0x3fb8aa3b, v90
	s_delay_alu instid0(VALU_DEP_3) | instskip(NEXT) | instid1(VALU_DEP_2)
	v_exp_f32_e32 v86, v86
	v_exp_f32_e32 v88, v88
	s_delay_alu instid0(VALU_DEP_2) | instskip(NEXT) | instid1(VALU_DEP_1)
	v_exp_f32_e32 v89, v89
	v_exp_f32_e32 v94, v90
	v_cndmask_b32_e32 v91, 0, v86, vcc_lo
	s_delay_alu instid0(TRANS32_DEP_3) | instskip(SKIP_4) | instid1(VALU_DEP_1)
	v_cndmask_b32_e64 v90, 0, v88, s2
	s_waitcnt_depctr 0xfff
	v_cndmask_b32_e64 v93, 0, v89, s3
	s_mov_b32 s3, exec_lo
	v_add_f32_e32 v88, 0, v91
	v_add_f32_e32 v88, v88, v90
	s_delay_alu instid0(VALU_DEP_1)
	v_add_f32_e32 v88, v88, v93
	v_fma_f32 v92, s78, v145, -v85
	v_fma_f32 v86, s78, v146, -v85
	;; [unrolled: 1-line block ×5, first 2 shown]
	v_mul_f32_e32 v92, 0x3fb8aa3b, v92
	s_delay_alu instid0(VALU_DEP_4) | instskip(NEXT) | instid1(VALU_DEP_4)
	v_dual_mul_f32 v86, 0x3fb8aa3b, v86 :: v_dual_mul_f32 v95, 0x3fb8aa3b, v95
	v_mul_f32_e32 v74, 0x3fb8aa3b, v74
	v_fma_f32 v73, s78, v73, -v85
	s_delay_alu instid0(VALU_DEP_4) | instskip(NEXT) | instid1(VALU_DEP_3)
	v_exp_f32_e32 v96, v92
	v_exp_f32_e32 v86, v86
	v_cndmask_b32_e64 v92, 0, v94, s4
	v_exp_f32_e32 v97, v95
	v_fma_f32 v75, s78, v75, -v85
	v_exp_f32_e32 v74, v74
	v_fma_f32 v77, s78, v77, -v85
	v_add_f32_e32 v88, v88, v92
	v_fma_f32 v78, s78, v78, -v85
	v_mul_f32_e32 v75, 0x3fb8aa3b, v75
	v_cndmask_b32_e64 v95, 0, v96, s5
	v_cndmask_b32_e64 v94, 0, v86, s6
	v_fma_f32 v80, s78, v80, -v85
	v_cndmask_b32_e64 v96, 0, v97, s7
	v_mul_f32_e32 v78, 0x3fb8aa3b, v78
	v_dual_add_f32 v86, v88, v95 :: v_dual_mul_f32 v89, 0x3fb8aa3b, v89
	v_fma_f32 v88, s78, v76, -v85
	s_delay_alu instid0(VALU_DEP_2) | instskip(NEXT) | instid1(VALU_DEP_3)
	v_dual_mul_f32 v73, 0x3fb8aa3b, v73 :: v_dual_add_f32 v86, v86, v94
	v_exp_f32_e32 v89, v89
	s_delay_alu instid0(VALU_DEP_2) | instskip(NEXT) | instid1(VALU_DEP_2)
	v_mul_f32_e32 v88, 0x3fb8aa3b, v88
	v_exp_f32_e32 v73, v73
	s_delay_alu instid0(VALU_DEP_2) | instskip(NEXT) | instid1(VALU_DEP_2)
	v_add_f32_e32 v86, v86, v96
	v_exp_f32_e32 v88, v88
	s_delay_alu instid0(TRANS32_DEP_3)
	v_cndmask_b32_e64 v76, 0, v89, s8
	s_waitcnt_depctr 0xfff
	v_cndmask_b32_e64 v97, 0, v73, s9
	v_dual_add_f32 v73, v86, v76 :: v_dual_mul_f32 v86, 0x3fb8aa3b, v77
	v_exp_f32_e32 v75, v75
	v_cndmask_b32_e64 v77, 0, v74, s10
	v_fma_f32 v74, s78, v79, -v85
	s_delay_alu instid0(VALU_DEP_3) | instskip(SKIP_1) | instid1(VALU_DEP_1)
	v_add_f32_e32 v73, v73, v97
	v_exp_f32_e32 v86, v86
	v_dual_mul_f32 v74, 0x3fb8aa3b, v74 :: v_dual_add_f32 v73, v73, v77
	s_waitcnt_depctr 0xfff
	v_cndmask_b32_e64 v79, 0, v75, s11
	v_exp_f32_e32 v75, v78
	v_cndmask_b32_e64 v78, 0, v88, s12
	v_exp_f32_e32 v74, v74
	v_cndmask_b32_e64 v98, 0, v86, s13
	v_dual_mul_f32 v86, 0x3fb8aa3b, v80 :: v_dual_add_f32 v73, v73, v79
	s_delay_alu instid0(VALU_DEP_1)
	v_add_f32_e32 v73, v73, v78
	s_waitcnt_depctr 0xfff
	v_cndmask_b32_e64 v80, 0, v75, s16
	v_exp_f32_e32 v75, v86
	v_cndmask_b32_e64 v100, 0, v74, s17
	v_add_f32_e32 v73, v73, v98
	s_delay_alu instid0(VALU_DEP_1) | instskip(SKIP_4) | instid1(VALU_DEP_2)
	v_add_f32_e32 v73, v73, v80
	s_waitcnt_depctr 0xfff
	v_cndmask_b32_e64 v99, 0, v75, s18
	v_and_b32_e32 v75, 31, v0
	v_add_f32_e32 v73, v73, v100
	v_cmp_lt_u32_e64 s2, 15, v75
	s_delay_alu instid0(VALU_DEP_2)
	v_add_f32_e32 v73, v73, v99
	ds_bpermute_b32 v74, v87, v73
	v_cmpx_gt_u32_e32 16, v75
	s_cbranch_execz .LBB322_11
; %bb.10:
	v_mul_u32_u24_e32 v75, 0x44, v84
	s_delay_alu instid0(VALU_DEP_1) | instskip(SKIP_1) | instid1(VALU_DEP_1)
	v_lshl_add_u32 v75, v81, 2, v75
	s_waitcnt lgkmcnt(0)
	v_dual_add_f32 v73, v73, v74 :: v_dual_add_nc_u32 v74, 0x4000, v75
	ds_store_2addr_b32 v74, v85, v73 offset1:136
.LBB322_11:
	s_or_b32 exec_lo, exec_lo, s3
	v_lshlrev_b32_e32 v73, 2, v81
	s_load_b64 s[36:37], s[0:1], 0x94
	s_waitcnt lgkmcnt(0)
	s_barrier
	buffer_gl0_inv
	v_add_nc_u32_e32 v73, 0x4000, v73
	v_cmp_eq_u32_e32 vcc_lo, 1, v84
	v_cmp_eq_u32_e64 s3, 2, v84
	v_cmp_eq_u32_e64 s4, 3, v84
	;; [unrolled: 1-line block ×3, first 2 shown]
	ds_load_2addr_b32 v[85:86], v73 offset1:17
	ds_load_2addr_b32 v[87:88], v73 offset0:34 offset1:51
	ds_load_2addr_b32 v[101:102], v73 offset0:68 offset1:85
	;; [unrolled: 1-line block ×4, first 2 shown]
	v_cmp_eq_u32_e64 s7, 5, v84
	v_cmp_eq_u32_e64 s5, 6, v84
	s_waitcnt lgkmcnt(4)
	v_max3_f32 v74, v85, 0xff7fffff, v86
	s_waitcnt lgkmcnt(3)
	s_delay_alu instid0(VALU_DEP_1) | instskip(SKIP_1) | instid1(VALU_DEP_1)
	v_max3_f32 v74, v74, v87, v88
	s_waitcnt lgkmcnt(2)
	v_max3_f32 v74, v74, v101, v102
	s_waitcnt lgkmcnt(1)
	s_delay_alu instid0(VALU_DEP_1) | instskip(NEXT) | instid1(VALU_DEP_1)
	v_max3_f32 v74, v74, v103, v104
	v_sub_f32_e32 v101, v101, v74
	v_sub_f32_e32 v75, v85, v74
	;; [unrolled: 1-line block ×3, first 2 shown]
	ds_load_2addr_b32 v[85:86], v73 offset0:170 offset1:187
	v_dual_sub_f32 v87, v87, v74 :: v_dual_mul_f32 v110, 0x3fb8aa3b, v101
	v_mul_f32_e32 v75, 0x3fb8aa3b, v75
	s_delay_alu instid0(VALU_DEP_2) | instskip(NEXT) | instid1(VALU_DEP_2)
	v_dual_mul_f32 v89, 0x3fb8aa3b, v89 :: v_dual_mul_f32 v108, 0x3fb8aa3b, v87
	v_exp_f32_e32 v107, v75
	v_sub_f32_e32 v75, v88, v74
	s_delay_alu instid0(VALU_DEP_2)
	v_exp_f32_e32 v89, v89
	ds_load_2addr_b32 v[87:88], v73 offset0:204 offset1:221
	v_exp_f32_e32 v108, v108
	v_mul_f32_e32 v109, 0x3fb8aa3b, v75
	s_waitcnt lgkmcnt(2)
	v_fma_f32 v75, v107, v105, 0
	v_sub_f32_e32 v105, v102, v74
	s_delay_alu instid0(VALU_DEP_3)
	v_exp_f32_e32 v109, v109
	ds_load_2addr_b32 v[101:102], v73 offset0:238 offset1:255
	v_sub_f32_e32 v73, v103, v74
	v_fmac_f32_e32 v75, v89, v106
	v_mul_f32_e32 v103, 0x3fb8aa3b, v105
	v_exp_f32_e32 v105, v110
	s_waitcnt lgkmcnt(0)
	v_mul_f32_e32 v73, 0x3fb8aa3b, v73
	v_fmac_f32_e32 v75, v108, v85
	v_sub_f32_e32 v85, v104, v74
	v_exp_f32_e32 v103, v103
	s_barrier
	v_exp_f32_e32 v104, v73
	v_fmac_f32_e32 v75, v109, v86
	v_mul_f32_e32 v85, 0x3fb8aa3b, v85
	v_lshl_or_b32 v86, v84, 11, v83
	buffer_gl0_inv
	v_fmac_f32_e32 v75, v105, v87
	v_exp_f32_e32 v106, v85
	v_cndmask_b32_e32 v85, v107, v89, vcc_lo
	s_delay_alu instid0(VALU_DEP_2) | instskip(NEXT) | instid1(VALU_DEP_1)
	v_fmac_f32_e32 v75, v103, v88
	v_fmac_f32_e32 v75, v104, v101
	s_waitcnt_depctr 0xfff
	v_fmac_f32_e32 v75, v106, v102
	s_delay_alu instid0(VALU_DEP_1) | instskip(NEXT) | instid1(VALU_DEP_1)
	v_add_f32_e32 v101, 0x358637bd, v75
	v_div_scale_f32 v102, null, v101, v101, 1.0
	v_div_scale_f32 v107, vcc_lo, 1.0, v101, 1.0
	s_delay_alu instid0(VALU_DEP_2) | instskip(SKIP_2) | instid1(VALU_DEP_1)
	v_rcp_f32_e32 v110, v102
	s_waitcnt_depctr 0xfff
	v_fma_f32 v73, -v102, v110, 1.0
	v_fmac_f32_e32 v110, v73, v110
	v_cndmask_b32_e64 v73, v85, v108, s3
	v_cmp_eq_u32_e64 s3, 7, v84
	v_lshl_or_b32 v84, v82, 4, v86
	v_lshlrev_b32_e32 v85, 2, v82
	v_mul_f32_e32 v108, v107, v110
	v_cndmask_b32_e64 v73, v73, v109, s4
	s_delay_alu instid0(VALU_DEP_3) | instskip(NEXT) | instid1(VALU_DEP_3)
	v_or_b32_e32 v89, 2, v85
	v_fma_f32 v87, -v102, v108, v107
	s_delay_alu instid0(VALU_DEP_3)
	v_cndmask_b32_e64 v88, v73, v105, s6
	v_cmp_eq_u32_e64 s4, 1, v85
	v_cmp_eq_u32_e64 s6, 4, v85
	;; [unrolled: 1-line block ×3, first 2 shown]
	v_fmac_f32_e32 v108, v87, v110
	v_cndmask_b32_e64 v103, v88, v103, s7
	v_or_b32_e32 v87, 1, v85
	v_or_b32_e32 v88, 3, v85
	v_cmp_eq_u32_e64 s16, 2, v89
	v_fma_f32 v102, -v102, v108, v107
	v_cndmask_b32_e64 v103, v103, v104, s5
	v_cmp_eq_u32_e64 s9, 1, v87
	v_cmp_eq_u32_e64 s11, 1, v88
	;; [unrolled: 1-line block ×3, first 2 shown]
	v_div_fmas_f32 v102, v102, v110, v108
	v_cndmask_b32_e64 v103, v103, v106, s3
	v_cmp_eq_u32_e32 vcc_lo, 2, v85
	v_cmp_eq_u32_e64 s17, 2, v88
	v_cmp_eq_u32_e64 s5, 3, v85
	v_div_fixup_f32 v101, v102, v101, 1.0
	v_cmp_eq_u32_e64 s13, 3, v87
	v_cmp_eq_u32_e64 s19, 3, v88
	;; [unrolled: 1-line block ×4, first 2 shown]
	v_mul_f32_e32 v105, v103, v101
	v_cmp_eq_u32_e64 s23, 4, v88
	v_cmp_eq_u32_e64 s3, 5, v85
	;; [unrolled: 1-line block ×4, first 2 shown]
	v_fma_mixlo_f16 v101, v105, v91, 0
	v_fma_mixlo_f16 v102, v105, v93, 0
	;; [unrolled: 1-line block ×8, first 2 shown]
	v_fma_mixhi_f16 v101, v105, v90, 0
	v_fma_mixhi_f16 v102, v105, v92, 0
	;; [unrolled: 1-line block ×8, first 2 shown]
	ds_store_b128 v84, v[101:104]
	ds_store_b128 v84, v[95:98] offset:1024
	s_waitcnt lgkmcnt(0)
	s_barrier
	buffer_gl0_inv
	ds_load_b128 v[76:79], v86
	ds_load_b128 v[90:93], v86 offset:16
	ds_load_b128 v[94:97], v86 offset:1024
	;; [unrolled: 1-line block ×3, first 2 shown]
	v_cmp_eq_u32_e64 s25, 5, v88
	v_cmp_eq_u32_e64 s7, 6, v85
	;; [unrolled: 1-line block ×10, first 2 shown]
	v_mov_b32_e32 v73, 0
	s_waitcnt lgkmcnt(3)
	v_lshrrev_b32_e32 v80, 16, v76
	s_waitcnt lgkmcnt(2)
	v_lshrrev_b32_e32 v105, 16, v90
	;; [unrolled: 2-line block ×4, first 2 shown]
	v_lshrrev_b32_e32 v102, 16, v77
	v_cndmask_b32_e64 v117, v76, v80, s4
	v_cndmask_b32_e64 v118, v90, v105, s4
	;; [unrolled: 1-line block ×7, first 2 shown]
	v_lshrrev_b32_e32 v106, 16, v91
	v_cndmask_b32_e64 v122, v90, v105, s10
	v_cndmask_b32_e64 v90, v94, v109, s4
	;; [unrolled: 1-line block ×9, first 2 shown]
	v_cndmask_b32_e32 v109, v117, v77, vcc_lo
	v_cndmask_b32_e32 v113, v118, v91, vcc_lo
	v_cndmask_b32_e64 v117, v119, v77, s12
	v_cndmask_b32_e64 v118, v120, v91, s12
	;; [unrolled: 1-line block ×5, first 2 shown]
	v_lshrrev_b32_e32 v110, 16, v95
	v_lshrrev_b32_e32 v114, 16, v99
	v_cndmask_b32_e64 v120, v122, v91, s16
	v_cndmask_b32_e32 v80, v90, v95, vcc_lo
	v_cndmask_b32_e32 v90, v105, v99, vcc_lo
	v_cndmask_b32_e64 v91, v123, v95, s12
	v_cndmask_b32_e64 v105, v125, v95, s16
	;; [unrolled: 1-line block ×10, first 2 shown]
	v_lshrrev_b32_e32 v103, 16, v78
	v_lshrrev_b32_e32 v107, 16, v92
	v_cndmask_b32_e64 v118, v119, v102, s18
	v_cndmask_b32_e64 v119, v120, v106, s18
	;; [unrolled: 1-line block ×11, first 2 shown]
	v_lshrrev_b32_e32 v111, 16, v96
	v_cndmask_b32_e64 v113, v118, v78, s22
	v_cndmask_b32_e64 v117, v119, v92, s22
	;; [unrolled: 1-line block ×11, first 2 shown]
	v_lshrrev_b32_e32 v104, 16, v79
	v_lshrrev_b32_e32 v108, 16, v93
	v_cndmask_b32_e64 v106, v113, v103, s24
	v_cndmask_b32_e64 v109, v117, v107, s24
	;; [unrolled: 1-line block ×9, first 2 shown]
	v_lshrrev_b32_e32 v112, 16, v97
	v_cndmask_b32_e64 v78, v78, v111, s3
	v_cndmask_b32_e64 v103, v106, v79, s27
	;; [unrolled: 1-line block ×14, first 2 shown]
	v_perm_b32 v79, v77, v76, 0x5040100
	v_perm_b32 v77, v102, v92, 0x5040100
	v_cndmask_b32_e64 v76, v126, v99, s16
	v_cndmask_b32_e64 v92, v124, v99, s12
	;; [unrolled: 1-line block ×3, first 2 shown]
	v_perm_b32 v78, v98, v93, 0x5040100
	v_cndmask_b32_e64 v93, v105, v110, s18
	v_cndmask_b32_e64 v94, v94, v110, s19
	;; [unrolled: 1-line block ×5, first 2 shown]
	v_lshrrev_b32_e32 v115, 16, v100
	v_cndmask_b32_e64 v93, v93, v96, s22
	v_cndmask_b32_e64 v94, v94, v96, s23
	;; [unrolled: 1-line block ×11, first 2 shown]
	v_lshrrev_b32_e32 v116, 16, v101
	v_cndmask_b32_e64 v80, v80, v101, s7
	v_cndmask_b32_e64 v93, v93, v97, s27
	;; [unrolled: 1-line block ×12, first 2 shown]
	v_perm_b32 v76, v91, v90, 0x5040100
	v_perm_b32 v93, v94, v93, 0x5040100
	v_perm_b32 v92, v95, v96, 0x5040100
	v_perm_b32 v91, v97, v104, 0x5040100
	v_perm_b32 v90, v80, v103, 0x5040100
	s_mov_b32 s3, exec_lo
	ds_store_b128 v84, v[76:79]
	ds_store_b128 v84, v[90:93] offset:1024
	v_cmpx_eq_u32_e32 0, v0
	s_cbranch_execz .LBB322_13
; %bb.12:
	s_load_b128 s[4:7], s[0:1], 0x58
	s_mul_i32 s8, s37, s34
	s_delay_alu instid0(SALU_CYCLE_1) | instskip(NEXT) | instid1(SALU_CYCLE_1)
	s_add_i32 s8, s8, s15
	s_mul_i32 s8, s8, s36
	s_delay_alu instid0(SALU_CYCLE_1) | instskip(NEXT) | instid1(SALU_CYCLE_1)
	s_add_i32 s8, s8, s14
	s_ashr_i32 s9, s8, 31
	s_delay_alu instid0(SALU_CYCLE_1)
	s_lshl_b64 s[8:9], s[8:9], 2
	s_waitcnt lgkmcnt(0)
	s_add_u32 s6, s6, s8
	s_addc_u32 s7, s7, s9
	s_add_u32 s4, s4, s8
	s_addc_u32 s5, s5, s9
	s_clause 0x1
	global_store_b32 v73, v74, s[6:7]
	global_store_b32 v73, v75, s[4:5]
.LBB322_13:
	s_or_b32 exec_lo, exec_lo, s3
	s_waitcnt lgkmcnt(0)
	s_waitcnt_vscnt null, 0x0
	s_barrier
	buffer_gl0_inv
	ds_load_b128 v[90:93], v83
	ds_load_b128 v[94:97], v83 offset:16
	ds_load_b128 v[102:105], v83 offset:1040
	;; [unrolled: 1-line block ×5, first 2 shown]
	v_mov_b32_e32 v74, v73
	v_mov_b32_e32 v75, v73
	;; [unrolled: 1-line block ×7, first 2 shown]
	ds_load_b128 v[118:121], v83 offset:3088
	ds_load_b128 v[114:117], v83 offset:3072
	ds_load_b128 v[126:129], v83 offset:4112
	ds_load_b128 v[122:125], v83 offset:4096
	v_cmp_eq_u32_e32 vcc_lo, 1, v89
	v_cmp_eq_u32_e64 s3, 1, v85
	v_cmp_eq_u32_e64 s4, 1, v88
	;; [unrolled: 1-line block ×4, first 2 shown]
	s_xor_b32 s2, s2, -1
	s_waitcnt lgkmcnt(8)
	v_wmma_f32_16x16x16_f16 v[73:80], v[65:72], v[90:97], v[73:80]
	ds_load_b128 v[69:72], v83 offset:5136
	ds_load_b128 v[65:68], v83 offset:5120
	;; [unrolled: 1-line block ×4, first 2 shown]
	s_waitcnt lgkmcnt(10)
	v_wmma_f32_16x16x16_f16 v[73:80], v[57:64], v[98:105], v[73:80]
	s_waitcnt lgkmcnt(8)
	s_delay_alu instid0(VALU_DEP_1)
	v_wmma_f32_16x16x16_f16 v[73:80], v[57:64], v[106:113], v[73:80]
	ds_load_b128 v[61:64], v83 offset:7184
	ds_load_b128 v[57:60], v83 offset:7168
	;; [unrolled: 1-line block ×4, first 2 shown]
	s_waitcnt lgkmcnt(10)
	v_wmma_f32_16x16x16_f16 v[73:80], v[49:56], v[114:121], v[73:80]
	s_waitcnt lgkmcnt(8)
	s_delay_alu instid0(VALU_DEP_1)
	v_wmma_f32_16x16x16_f16 v[73:80], v[49:56], v[122:129], v[73:80]
	ds_load_b128 v[53:56], v83 offset:9232
	ds_load_b128 v[49:52], v83 offset:9216
	s_waitcnt lgkmcnt(8)
	v_wmma_f32_16x16x16_f16 v[73:80], v[41:48], v[65:72], v[73:80]
	ds_load_b128 v[69:72], v83 offset:10256
	ds_load_b128 v[65:68], v83 offset:10240
	s_waitcnt lgkmcnt(8)
	;; [unrolled: 4-line block ×7, first 2 shown]
	s_barrier
	buffer_gl0_inv
	v_wmma_f32_16x16x16_f16 v[73:80], v[1:8], v[41:48], v[73:80]
	s_delay_alu instid0(VALU_DEP_1) | instskip(NEXT) | instid1(VALU_DEP_1)
	v_wmma_f32_16x16x16_f16 v[73:80], v[1:8], v[57:64], v[73:80]
	v_wmma_f32_16x16x16_f16 v[73:80], v[33:40], v[17:24], v[73:80]
	s_delay_alu instid0(VALU_DEP_1) | instskip(NEXT) | instid1(VALU_DEP_1)
	v_wmma_f32_16x16x16_f16 v[73:80], v[33:40], v[49:56], v[73:80]
	v_wmma_f32_16x16x16_f16 v[73:80], v[25:32], v[9:16], v[73:80]
	s_delay_alu instid0(VALU_DEP_1) | instskip(NEXT) | instid1(VALU_DEP_2)
	v_cvt_f16_f32_e32 v1, v73
	v_cvt_f16_f32_e32 v2, v74
	s_delay_alu instid0(VALU_DEP_3) | instskip(NEXT) | instid1(VALU_DEP_4)
	v_cvt_f16_f32_e32 v3, v75
	v_cvt_f16_f32_e32 v4, v76
	;; [unrolled: 1-line block ×6, first 2 shown]
	v_pack_b32_f16 v1, v1, v2
	v_pack_b32_f16 v2, v3, v4
	v_pack_b32_f16 v3, v5, v6
	s_delay_alu instid0(VALU_DEP_4)
	v_pack_b32_f16 v4, v7, v8
	ds_store_b128 v84, v[1:4]
	s_waitcnt lgkmcnt(0)
	s_barrier
	buffer_gl0_inv
	ds_load_b128 v[1:4], v86
	ds_load_b128 v[5:8], v86 offset:16
	s_waitcnt lgkmcnt(1)
	v_lshrrev_b32_e32 v9, 16, v1
	s_waitcnt lgkmcnt(0)
	v_lshrrev_b32_e32 v13, 16, v5
	v_lshrrev_b32_e32 v15, 16, v7
	;; [unrolled: 1-line block ×4, first 2 shown]
	v_cndmask_b32_e64 v17, v1, v9, s3
	v_cndmask_b32_e64 v18, v5, v13, s3
	;; [unrolled: 1-line block ×3, first 2 shown]
	v_cmp_eq_u32_e64 s3, 2, v87
	v_cndmask_b32_e64 v20, v5, v13, s5
	v_cndmask_b32_e32 v21, v1, v9, vcc_lo
	v_cndmask_b32_e32 v22, v5, v13, vcc_lo
	v_cndmask_b32_e64 v1, v1, v9, s4
	v_cndmask_b32_e64 v5, v5, v13, s4
	v_cmp_eq_u32_e32 vcc_lo, 2, v89
	v_cmp_eq_u32_e64 s4, 2, v88
	v_cndmask_b32_e64 v9, v17, v2, s6
	v_cndmask_b32_e64 v13, v18, v6, s6
	;; [unrolled: 1-line block ×4, first 2 shown]
	v_cndmask_b32_e32 v19, v21, v2, vcc_lo
	v_cmp_eq_u32_e64 s3, 3, v89
	v_cndmask_b32_e32 v20, v22, v6, vcc_lo
	v_cndmask_b32_e64 v1, v1, v2, s4
	v_cmp_eq_u32_e32 vcc_lo, 3, v88
	v_cmp_eq_u32_e64 s5, 3, v85
	v_cndmask_b32_e64 v2, v5, v6, s4
	v_cmp_eq_u32_e64 s4, 3, v87
	v_lshrrev_b32_e32 v16, 16, v8
	v_cmp_eq_u32_e64 s6, 4, v85
	v_cndmask_b32_e64 v5, v9, v10, s5
	v_cndmask_b32_e64 v6, v13, v14, s5
	v_cndmask_b32_e64 v9, v17, v10, s4
	v_cmp_eq_u32_e64 s5, 4, v87
	v_cndmask_b32_e64 v13, v18, v14, s4
	v_cndmask_b32_e64 v17, v19, v10, s3
	;; [unrolled: 1-line block ×3, first 2 shown]
	v_cndmask_b32_e32 v1, v1, v10, vcc_lo
	v_cndmask_b32_e32 v2, v2, v14, vcc_lo
	v_cmp_eq_u32_e32 vcc_lo, 4, v89
	v_cmp_eq_u32_e64 s4, 4, v88
	v_lshrrev_b32_e32 v11, 16, v3
	v_cndmask_b32_e64 v5, v5, v3, s6
	v_cndmask_b32_e64 v6, v6, v7, s6
	;; [unrolled: 1-line block ×4, first 2 shown]
	v_cndmask_b32_e32 v13, v17, v3, vcc_lo
	v_cmp_eq_u32_e64 s3, 5, v89
	v_cndmask_b32_e32 v14, v18, v7, vcc_lo
	v_cndmask_b32_e64 v1, v1, v3, s4
	v_cmp_eq_u32_e32 vcc_lo, 5, v88
	v_cmp_eq_u32_e64 s5, 5, v85
	v_cndmask_b32_e64 v2, v2, v7, s4
	v_cmp_eq_u32_e64 s4, 5, v87
	v_cmp_eq_u32_e64 s6, 6, v85
	v_cndmask_b32_e32 v1, v1, v11, vcc_lo
	v_cndmask_b32_e64 v3, v5, v11, s5
	v_cndmask_b32_e64 v5, v6, v15, s5
	;; [unrolled: 1-line block ×3, first 2 shown]
	v_cmp_eq_u32_e64 s5, 6, v87
	v_cndmask_b32_e64 v7, v10, v15, s4
	v_cndmask_b32_e64 v9, v13, v11, s3
	;; [unrolled: 1-line block ×3, first 2 shown]
	v_cndmask_b32_e32 v2, v2, v15, vcc_lo
	v_cmp_eq_u32_e32 vcc_lo, 6, v89
	v_cmp_eq_u32_e64 s3, 6, v88
	v_lshrrev_b32_e32 v12, 16, v4
	v_cndmask_b32_e64 v3, v3, v4, s6
	v_cndmask_b32_e64 v5, v5, v8, s6
	;; [unrolled: 1-line block ×4, first 2 shown]
	v_cndmask_b32_e32 v9, v9, v4, vcc_lo
	v_cmp_eq_u32_e64 s4, 7, v89
	v_cndmask_b32_e32 v10, v10, v8, vcc_lo
	v_cndmask_b32_e64 v1, v1, v4, s3
	v_cmp_eq_u32_e32 vcc_lo, 7, v88
	v_cndmask_b32_e64 v2, v2, v8, s3
	v_cmp_eq_u32_e64 s3, 7, v85
	v_cmp_eq_u32_e64 s5, 7, v87
	v_cndmask_b32_e32 v1, v1, v12, vcc_lo
	s_delay_alu instid0(VALU_DEP_4) | instskip(NEXT) | instid1(VALU_DEP_4)
	v_cndmask_b32_e32 v2, v2, v16, vcc_lo
	v_cndmask_b32_e64 v8, v3, v12, s3
	s_delay_alu instid0(VALU_DEP_4)
	v_cndmask_b32_e64 v6, v6, v12, s5
	v_cndmask_b32_e64 v3, v9, v12, s4
	v_cndmask_b32_e64 v9, v10, v16, s4
	v_cndmask_b32_e64 v7, v7, v16, s5
	v_cndmask_b32_e64 v5, v5, v16, s3
	v_cmp_gt_u32_e32 vcc_lo, 32, v0
	v_perm_b32 v4, v2, v1, 0x5040100
	v_perm_b32 v3, v9, v3, 0x5040100
	v_perm_b32 v2, v7, v6, 0x5040100
	v_perm_b32 v1, v5, v8, 0x5040100
	s_and_b32 s2, vcc_lo, s2
	ds_store_b128 v84, v[1:4]
	s_waitcnt lgkmcnt(0)
	s_barrier
	buffer_gl0_inv
	s_and_saveexec_b32 s3, s2
	s_cbranch_execz .LBB322_2
; %bb.14:
	s_load_b64 s[0:1], s[0:1], 0x68
	v_lshlrev_b32_e32 v1, 10, v0
	v_and_b32_e32 v0, 1, v0
	v_lshlrev_b32_e32 v2, 6, v82
	s_lshl_b32 s4, s36, 7
	v_lshlrev_b32_e32 v4, 3, v81
	v_and_b32_e32 v1, 0x3800, v1
	v_lshlrev_b32_e32 v0, 4, v0
	s_mul_i32 s2, s4, s34
	s_delay_alu instid0(SALU_CYCLE_1) | instskip(SKIP_1) | instid1(VALU_DEP_2)
	s_mul_i32 s2, s2, s37
	v_lshlrev_b32_e32 v4, 1, v4
	v_or3_b32 v0, v1, v2, v0
	s_ashr_i32 s3, s2, 31
	s_delay_alu instid0(SALU_CYCLE_1)
	s_lshl_b64 s[2:3], s[2:3], 1
	ds_load_b128 v[0:3], v0
	s_waitcnt lgkmcnt(0)
	s_add_u32 s5, s0, s2
	s_addc_u32 s3, s1, s3
	s_lshl_b32 s0, s14, 7
	s_mul_i32 s2, s4, s15
	s_ashr_i32 s1, s0, 31
	s_delay_alu instid0(SALU_CYCLE_1) | instskip(NEXT) | instid1(SALU_CYCLE_1)
	s_lshl_b64 s[0:1], s[0:1], 1
	s_add_u32 s4, s5, s0
	s_addc_u32 s5, s3, s1
	s_ashr_i32 s3, s2, 31
	s_delay_alu instid0(SALU_CYCLE_1) | instskip(NEXT) | instid1(SALU_CYCLE_1)
	s_lshl_b64 s[0:1], s[2:3], 1
	s_add_u32 s0, s4, s0
	s_addc_u32 s1, s5, s1
	global_store_b128 v4, v[0:3], s[0:1]
	s_nop 0
	s_sendmsg sendmsg(MSG_DEALLOC_VGPRS)
	s_endpgm
	.section	.rodata,"a",@progbits
	.p2align	6, 0x0
	.amdhsa_kernel _Z39paged_attention_ll4mi_QKV_mfma16_kernelIDF16_DF16_LN4vllm18Fp8KVCacheDataTypeE0EhLi32ELi128ELi256ELb1ELi1EL8MFMAType0EEvPKT_PKT0_S8_ifPKiSA_SA_iPKfiiiPfSD_PS3_PT2_iSC_SC_
		.amdhsa_group_segment_fixed_size 17472
		.amdhsa_private_segment_fixed_size 0
		.amdhsa_kernarg_size 400
		.amdhsa_user_sgpr_count 13
		.amdhsa_user_sgpr_dispatch_ptr 0
		.amdhsa_user_sgpr_queue_ptr 0
		.amdhsa_user_sgpr_kernarg_segment_ptr 1
		.amdhsa_user_sgpr_dispatch_id 0
		.amdhsa_user_sgpr_private_segment_size 0
		.amdhsa_wavefront_size32 1
		.amdhsa_uses_dynamic_stack 0
		.amdhsa_enable_private_segment 0
		.amdhsa_system_sgpr_workgroup_id_x 1
		.amdhsa_system_sgpr_workgroup_id_y 1
		.amdhsa_system_sgpr_workgroup_id_z 1
		.amdhsa_system_sgpr_workgroup_info 0
		.amdhsa_system_vgpr_workitem_id 0
		.amdhsa_next_free_vgpr 165
		.amdhsa_next_free_sgpr 96
		.amdhsa_reserve_vcc 1
		.amdhsa_float_round_mode_32 0
		.amdhsa_float_round_mode_16_64 0
		.amdhsa_float_denorm_mode_32 3
		.amdhsa_float_denorm_mode_16_64 3
		.amdhsa_dx10_clamp 1
		.amdhsa_ieee_mode 1
		.amdhsa_fp16_overflow 0
		.amdhsa_workgroup_processor_mode 1
		.amdhsa_memory_ordered 1
		.amdhsa_forward_progress 0
		.amdhsa_shared_vgpr_count 0
		.amdhsa_exception_fp_ieee_invalid_op 0
		.amdhsa_exception_fp_denorm_src 0
		.amdhsa_exception_fp_ieee_div_zero 0
		.amdhsa_exception_fp_ieee_overflow 0
		.amdhsa_exception_fp_ieee_underflow 0
		.amdhsa_exception_fp_ieee_inexact 0
		.amdhsa_exception_int_div_zero 0
	.end_amdhsa_kernel
	.section	.text._Z39paged_attention_ll4mi_QKV_mfma16_kernelIDF16_DF16_LN4vllm18Fp8KVCacheDataTypeE0EhLi32ELi128ELi256ELb1ELi1EL8MFMAType0EEvPKT_PKT0_S8_ifPKiSA_SA_iPKfiiiPfSD_PS3_PT2_iSC_SC_,"axG",@progbits,_Z39paged_attention_ll4mi_QKV_mfma16_kernelIDF16_DF16_LN4vllm18Fp8KVCacheDataTypeE0EhLi32ELi128ELi256ELb1ELi1EL8MFMAType0EEvPKT_PKT0_S8_ifPKiSA_SA_iPKfiiiPfSD_PS3_PT2_iSC_SC_,comdat
.Lfunc_end322:
	.size	_Z39paged_attention_ll4mi_QKV_mfma16_kernelIDF16_DF16_LN4vllm18Fp8KVCacheDataTypeE0EhLi32ELi128ELi256ELb1ELi1EL8MFMAType0EEvPKT_PKT0_S8_ifPKiSA_SA_iPKfiiiPfSD_PS3_PT2_iSC_SC_, .Lfunc_end322-_Z39paged_attention_ll4mi_QKV_mfma16_kernelIDF16_DF16_LN4vllm18Fp8KVCacheDataTypeE0EhLi32ELi128ELi256ELb1ELi1EL8MFMAType0EEvPKT_PKT0_S8_ifPKiSA_SA_iPKfiiiPfSD_PS3_PT2_iSC_SC_
                                        ; -- End function
	.section	.AMDGPU.csdata,"",@progbits
; Kernel info:
; codeLenInByte = 7284
; NumSgprs: 98
; NumVgprs: 165
; ScratchSize: 0
; MemoryBound: 1
; FloatMode: 240
; IeeeMode: 1
; LDSByteSize: 17472 bytes/workgroup (compile time only)
; SGPRBlocks: 12
; VGPRBlocks: 20
; NumSGPRsForWavesPerEU: 98
; NumVGPRsForWavesPerEU: 165
; Occupancy: 9
; WaveLimiterHint : 1
; COMPUTE_PGM_RSRC2:SCRATCH_EN: 0
; COMPUTE_PGM_RSRC2:USER_SGPR: 13
; COMPUTE_PGM_RSRC2:TRAP_HANDLER: 0
; COMPUTE_PGM_RSRC2:TGID_X_EN: 1
; COMPUTE_PGM_RSRC2:TGID_Y_EN: 1
; COMPUTE_PGM_RSRC2:TGID_Z_EN: 1
; COMPUTE_PGM_RSRC2:TIDIG_COMP_CNT: 0
	.section	.text._Z39paged_attention_ll4mi_QKV_mfma16_kernelIDF16_DF16_LN4vllm18Fp8KVCacheDataTypeE0EhLi32ELi128ELi256ELb1ELi2EL8MFMAType0EEvPKT_PKT0_S8_ifPKiSA_SA_iPKfiiiPfSD_PS3_PT2_iSC_SC_,"axG",@progbits,_Z39paged_attention_ll4mi_QKV_mfma16_kernelIDF16_DF16_LN4vllm18Fp8KVCacheDataTypeE0EhLi32ELi128ELi256ELb1ELi2EL8MFMAType0EEvPKT_PKT0_S8_ifPKiSA_SA_iPKfiiiPfSD_PS3_PT2_iSC_SC_,comdat
	.protected	_Z39paged_attention_ll4mi_QKV_mfma16_kernelIDF16_DF16_LN4vllm18Fp8KVCacheDataTypeE0EhLi32ELi128ELi256ELb1ELi2EL8MFMAType0EEvPKT_PKT0_S8_ifPKiSA_SA_iPKfiiiPfSD_PS3_PT2_iSC_SC_ ; -- Begin function _Z39paged_attention_ll4mi_QKV_mfma16_kernelIDF16_DF16_LN4vllm18Fp8KVCacheDataTypeE0EhLi32ELi128ELi256ELb1ELi2EL8MFMAType0EEvPKT_PKT0_S8_ifPKiSA_SA_iPKfiiiPfSD_PS3_PT2_iSC_SC_
	.globl	_Z39paged_attention_ll4mi_QKV_mfma16_kernelIDF16_DF16_LN4vllm18Fp8KVCacheDataTypeE0EhLi32ELi128ELi256ELb1ELi2EL8MFMAType0EEvPKT_PKT0_S8_ifPKiSA_SA_iPKfiiiPfSD_PS3_PT2_iSC_SC_
	.p2align	8
	.type	_Z39paged_attention_ll4mi_QKV_mfma16_kernelIDF16_DF16_LN4vllm18Fp8KVCacheDataTypeE0EhLi32ELi128ELi256ELb1ELi2EL8MFMAType0EEvPKT_PKT0_S8_ifPKiSA_SA_iPKfiiiPfSD_PS3_PT2_iSC_SC_,@function
_Z39paged_attention_ll4mi_QKV_mfma16_kernelIDF16_DF16_LN4vllm18Fp8KVCacheDataTypeE0EhLi32ELi128ELi256ELb1ELi2EL8MFMAType0EEvPKT_PKT0_S8_ifPKiSA_SA_iPKfiiiPfSD_PS3_PT2_iSC_SC_: ; @_Z39paged_attention_ll4mi_QKV_mfma16_kernelIDF16_DF16_LN4vllm18Fp8KVCacheDataTypeE0EhLi32ELi128ELi256ELb1ELi2EL8MFMAType0EEvPKT_PKT0_S8_ifPKiSA_SA_iPKfiiiPfSD_PS3_PT2_iSC_SC_
; %bb.0:
	s_load_b64 s[2:3], s[0:1], 0x30
	s_mov_b32 s34, s13
	s_waitcnt lgkmcnt(0)
	s_cmp_lg_u64 s[2:3], 0
	s_cselect_b32 s6, -1, 0
	s_ashr_i32 s35, s13, 31
	s_cmp_eq_u64 s[2:3], 0
	s_cbranch_scc1 .LBB323_3
; %bb.1:
	s_lshl_b64 s[4:5], s[34:35], 2
	s_delay_alu instid0(SALU_CYCLE_1) | instskip(SKIP_4) | instid1(SALU_CYCLE_1)
	s_add_u32 s4, s2, s4
	s_addc_u32 s5, s3, s5
	s_load_b64 s[4:5], s[4:5], 0x0
	s_waitcnt lgkmcnt(0)
	s_sub_i32 s4, s5, s4
	s_cmp_eq_u32 s4, 1
	s_cselect_b32 s4, -1, 0
	s_delay_alu instid0(SALU_CYCLE_1)
	s_and_not1_b32 vcc_lo, exec_lo, s4
	s_cbranch_vccz .LBB323_4
.LBB323_2:
	s_endpgm
.LBB323_3:
.LBB323_4:
	s_load_b64 s[8:9], s[0:1], 0x28
	s_lshl_b64 s[4:5], s[34:35], 2
	s_waitcnt lgkmcnt(0)
	s_add_u32 s8, s8, s4
	s_addc_u32 s9, s9, s5
	s_lshl_b32 s16, s14, 8
	s_load_b32 s18, s[8:9], 0x0
	s_waitcnt lgkmcnt(0)
	s_cmp_ge_i32 s16, s18
	s_cbranch_scc1 .LBB323_2
; %bb.5:
	s_and_not1_b32 vcc_lo, exec_lo, s6
	s_cbranch_vccnz .LBB323_7
; %bb.6:
	s_add_u32 s2, s2, s4
	s_addc_u32 s3, s3, s5
	s_load_b32 s3, s[2:3], 0x0
	s_branch .LBB323_8
.LBB323_7:
	s_mov_b32 s3, s34
.LBB323_8:
	s_clause 0x2
	s_load_b128 s[8:11], s[0:1], 0x8
	s_load_b64 s[12:13], s[0:1], 0x20
	s_load_b128 s[4:7], s[0:1], 0x48
	v_and_b32_e32 v79, 15, v0
	v_bfe_u32 v78, v0, 4, 1
	v_cmp_gt_u32_e64 s2, 32, v0
	s_lshl_b32 s31, s15, 1
	s_waitcnt lgkmcnt(0)
	s_mov_b32 s7, exec_lo
	v_lshlrev_b32_e32 v1, 3, v79
	v_cmpx_lt_u32_e32 31, v0
	s_xor_b32 s7, exec_lo, s7
; %bb.9:
	v_mov_b32_e32 v2, 0
; %bb.10:
	s_or_saveexec_b32 s7, s7
	v_and_b32_e32 v81, 31, v0
	v_and_b32_e32 v77, 1, v0
	v_or_b32_e32 v76, s31, v78
	v_lshlrev_b32_e32 v75, 6, v78
	s_xor_b32 exec_lo, exec_lo, s7
	s_cbranch_execz .LBB323_12
; %bb.11:
	s_load_b64 s[20:21], s[0:1], 0x0
	v_lshlrev_b32_e32 v2, 7, v76
	s_mul_hi_i32 s23, s3, s4
	s_mul_i32 s22, s3, s4
	v_lshlrev_b32_e32 v4, 1, v1
	s_lshl_b64 s[22:23], s[22:23], 1
	v_ashrrev_i32_e32 v3, 31, v2
	v_lshlrev_b32_e32 v7, 10, v77
	s_delay_alu instid0(VALU_DEP_2) | instskip(SKIP_3) | instid1(VALU_DEP_1)
	v_lshlrev_b64 v[2:3], 1, v[2:3]
	s_waitcnt lgkmcnt(0)
	s_add_u32 s3, s20, s22
	s_addc_u32 s4, s21, s23
	v_add_co_u32 v2, vcc_lo, s3, v2
	s_delay_alu instid0(VALU_DEP_2) | instskip(NEXT) | instid1(VALU_DEP_2)
	v_add_co_ci_u32_e32 v3, vcc_lo, s4, v3, vcc_lo
	v_add_co_u32 v2, vcc_lo, v2, v4
	s_delay_alu instid0(VALU_DEP_2) | instskip(SKIP_2) | instid1(VALU_DEP_1)
	v_add_co_ci_u32_e32 v3, vcc_lo, 0, v3, vcc_lo
	global_load_b128 v[3:6], v[2:3], off
	v_lshlrev_b32_e32 v2, 10, v79
	v_and_b32_e32 v2, 0x3800, v2
	s_delay_alu instid0(VALU_DEP_1)
	v_or3_b32 v7, v2, v7, v75
	v_mov_b32_e32 v2, 0
	s_waitcnt vmcnt(0)
	ds_store_b128 v7, v[3:6]
.LBB323_12:
	s_or_b32 exec_lo, exec_lo, s7
	v_and_b32_e32 v3, 0xef, v0
	s_add_i32 s3, s18, 31
	s_clause 0x1
	s_load_b32 s4, s[0:1], 0x38
	s_load_b32 s33, s[0:1], 0x98
	s_ashr_i32 s7, s3, 31
	v_add_nc_u32_e32 v3, s16, v3
	s_lshr_b32 s7, s7, 27
	s_load_b32 s19, s[0:1], 0x1c
	s_add_i32 s3, s3, s7
	s_waitcnt lgkmcnt(0)
	v_ashrrev_i32_e32 v4, 31, v3
	v_cmp_gt_i32_e32 vcc_lo, s18, v3
	s_ashr_i32 s3, s3, 5
	s_barrier
	s_add_i32 s3, s3, -1
	v_lshrrev_b32_e32 v5, 27, v4
	v_or_b32_e32 v4, 16, v3
	buffer_gl0_inv
	s_mul_i32 s6, s15, s6
	v_lshlrev_b64 v[73:74], 1, v[1:2]
	v_add_nc_u32_e32 v6, v3, v5
	v_add_nc_u32_e32 v5, v4, v5
	s_mul_i32 s20, s34, s4
	v_lshrrev_b32_e32 v82, 5, v0
	s_ashr_i32 s21, s20, 31
	v_ashrrev_i32_e32 v6, 5, v6
	v_ashrrev_i32_e32 v5, 5, v5
	s_lshl_b64 s[20:21], s[20:21], 2
	v_lshlrev_b32_e32 v80, 6, v79
	s_add_u32 s4, s12, s20
	v_cndmask_b32_e32 v3, s3, v6, vcc_lo
	v_cmp_gt_i32_e32 vcc_lo, s18, v4
	s_addc_u32 s17, s13, s21
	s_ashr_i32 s7, s6, 31
	s_delay_alu instid0(SALU_CYCLE_1)
	s_lshl_b64 s[6:7], s[6:7], 1
	v_cndmask_b32_e32 v5, s3, v5, vcc_lo
	v_ashrrev_i32_e32 v4, 31, v3
	s_add_u32 s15, s8, s6
	s_addc_u32 s28, s9, s7
	s_lshl_b32 s8, s14, 3
	v_ashrrev_i32_e32 v6, 31, v5
	v_lshlrev_b64 v[3:4], 2, v[3:4]
	s_ashr_i32 s9, s8, 31
	s_delay_alu instid0(SALU_CYCLE_1) | instskip(NEXT) | instid1(VALU_DEP_2)
	s_lshl_b64 s[8:9], s[8:9], 2
	v_lshlrev_b64 v[5:6], 2, v[5:6]
	s_add_u32 s8, s4, s8
	s_delay_alu instid0(VALU_DEP_2) | instskip(SKIP_1) | instid1(VALU_DEP_3)
	v_add_co_u32 v3, vcc_lo, s4, v3
	v_add_co_ci_u32_e32 v4, vcc_lo, s17, v4, vcc_lo
	v_add_co_u32 v5, vcc_lo, s4, v5
	s_delay_alu instid0(VALU_DEP_4)
	v_add_co_ci_u32_e32 v6, vcc_lo, s17, v6, vcc_lo
	s_addc_u32 s9, s17, s9
	s_clause 0x1
	global_load_b32 v7, v[3:4], off
	global_load_b32 v8, v[5:6], off
	s_or_b32 s12, s16, 32
	s_delay_alu instid0(SALU_CYCLE_1) | instskip(SKIP_2) | instid1(SALU_CYCLE_1)
	s_ashr_i32 s13, s12, 5
	s_cmp_lt_i32 s12, s18
	s_cselect_b32 s12, s13, s3
	s_ashr_i32 s13, s12, 31
	s_delay_alu instid0(SALU_CYCLE_1) | instskip(NEXT) | instid1(SALU_CYCLE_1)
	s_lshl_b64 s[12:13], s[12:13], 2
	s_add_u32 s12, s4, s12
	s_addc_u32 s13, s17, s13
	s_or_b32 s20, s16, 64
	s_delay_alu instid0(SALU_CYCLE_1) | instskip(SKIP_2) | instid1(SALU_CYCLE_1)
	s_ashr_i32 s21, s20, 5
	s_cmp_lt_i32 s20, s18
	s_cselect_b32 s20, s21, s3
	s_ashr_i32 s21, s20, 31
	s_delay_alu instid0(SALU_CYCLE_1) | instskip(NEXT) | instid1(SALU_CYCLE_1)
	s_lshl_b64 s[20:21], s[20:21], 2
	s_add_u32 s20, s4, s20
	s_addc_u32 s21, s17, s21
	;; [unrolled: 10-line block ×5, first 2 shown]
	s_clause 0x5
	s_load_b32 s29, s[8:9], 0x0
	s_load_b32 s30, s[12:13], 0x0
	;; [unrolled: 1-line block ×6, first 2 shown]
	s_mov_b32 s20, 0
	s_or_b32 s8, s16, 0xc0
	s_mov_b32 s21, s20
	s_mov_b32 s22, s20
	;; [unrolled: 1-line block ×7, first 2 shown]
	s_delay_alu instid0(SALU_CYCLE_1)
	v_dual_mov_b32 v130, s27 :: v_dual_lshlrev_b32 v171, 6, v77
	v_mov_b32_e32 v124, s21
	s_ashr_i32 s9, s8, 5
	s_cmp_lt_i32 s8, s18
	v_mov_b32_e32 v129, s26
	s_cselect_b32 s8, s9, s3
	v_mov_b32_e32 v128, s25
	s_ashr_i32 s9, s8, 31
	v_dual_mov_b32 v127, s24 :: v_dual_mov_b32 v126, s23
	v_mov_b32_e32 v125, s22
	v_mov_b32_e32 v123, s20
	s_lshl_b64 s[8:9], s[8:9], 2
	s_waitcnt lgkmcnt(0)
	s_mul_hi_i32 s13, s29, s5
	s_add_u32 s8, s4, s8
	s_addc_u32 s9, s17, s9
	s_mul_i32 s12, s29, s5
	s_mul_hi_i32 s21, s30, s5
	s_mul_i32 s20, s30, s5
	s_mul_hi_i32 s25, s35, s5
	;; [unrolled: 2-line block ×3, first 2 shown]
	s_mul_i32 s26, s36, s5
	s_mul_i32 s36, s38, s5
	s_waitcnt vmcnt(1)
	v_mad_i64_i32 v[3:4], null, v7, s5, 0
	s_waitcnt vmcnt(0)
	v_mad_i64_i32 v[5:6], null, v8, s5, 0
	s_delay_alu instid0(VALU_DEP_2) | instskip(NEXT) | instid1(VALU_DEP_2)
	v_lshlrev_b64 v[3:4], 1, v[3:4]
	v_lshlrev_b64 v[1:2], 1, v[5:6]
	s_delay_alu instid0(VALU_DEP_2) | instskip(NEXT) | instid1(VALU_DEP_3)
	v_add_co_u32 v3, vcc_lo, s15, v3
	v_add_co_ci_u32_e32 v4, vcc_lo, s28, v4, vcc_lo
	s_delay_alu instid0(VALU_DEP_3) | instskip(NEXT) | instid1(VALU_DEP_4)
	v_add_co_u32 v1, vcc_lo, s15, v1
	v_add_co_ci_u32_e32 v2, vcc_lo, s28, v2, vcc_lo
	s_delay_alu instid0(VALU_DEP_4) | instskip(NEXT) | instid1(VALU_DEP_4)
	v_add_co_u32 v65, vcc_lo, v3, v73
	v_add_co_ci_u32_e32 v66, vcc_lo, v4, v74, vcc_lo
	s_delay_alu instid0(VALU_DEP_4) | instskip(NEXT) | instid1(VALU_DEP_4)
	v_add_co_u32 v67, vcc_lo, v1, v73
	v_add_co_ci_u32_e32 v68, vcc_lo, v2, v74, vcc_lo
	s_clause 0xf
	global_load_b128 v[1:4], v[65:66], off
	global_load_b128 v[5:8], v[65:66], off offset:512
	global_load_b128 v[9:12], v[67:68], off offset:256
	;; [unrolled: 1-line block ×15, first 2 shown]
	v_add_co_u32 v159, vcc_lo, 0x1000, v65
	v_add_co_ci_u32_e32 v160, vcc_lo, 0, v66, vcc_lo
	v_add_co_u32 v167, vcc_lo, 0x1000, v67
	v_add_co_ci_u32_e32 v168, vcc_lo, 0, v68, vcc_lo
	s_clause 0x7
	global_load_b128 v[83:86], v[159:160], off
	global_load_b128 v[87:90], v[159:160], off offset:512
	global_load_b128 v[91:94], v[167:168], off offset:256
	;; [unrolled: 1-line block ×7, first 2 shown]
	ds_load_b128 v[65:68], v171
	ds_load_b128 v[69:72], v171 offset:1024
	s_clause 0x1
	global_load_b128 v[115:118], v[159:160], off offset:2048
	global_load_b128 v[119:122], v[159:160], off offset:2560
	ds_load_b128 v[131:134], v171 offset:2048
	ds_load_b128 v[135:138], v171 offset:3072
	s_clause 0x5
	global_load_b128 v[147:150], v[167:168], off offset:2304
	global_load_b128 v[151:154], v[167:168], off offset:2816
	;; [unrolled: 1-line block ×6, first 2 shown]
	s_or_b32 s15, s16, 0xe0
	s_delay_alu instid0(SALU_CYCLE_1) | instskip(SKIP_2) | instid1(SALU_CYCLE_1)
	s_ashr_i32 s22, s15, 5
	s_cmp_lt_i32 s15, s18
	s_cselect_b32 s22, s22, s3
	s_ashr_i32 s23, s22, 31
	s_delay_alu instid0(SALU_CYCLE_1) | instskip(NEXT) | instid1(SALU_CYCLE_1)
	s_lshl_b64 s[22:23], s[22:23], 2
	s_add_u32 s22, s4, s22
	s_addc_u32 s23, s17, s23
	s_add_i32 s15, s16, 0x100
	s_delay_alu instid0(SALU_CYCLE_1) | instskip(SKIP_2) | instid1(SALU_CYCLE_1)
	s_ashr_i32 s28, s15, 5
	s_cmp_lt_i32 s15, s18
	s_cselect_b32 s28, s28, s3
	s_ashr_i32 s29, s28, 31
	s_delay_alu instid0(SALU_CYCLE_1) | instskip(NEXT) | instid1(SALU_CYCLE_1)
	s_lshl_b64 s[28:29], s[28:29], 2
	s_add_u32 s28, s4, s28
	s_addc_u32 s29, s17, s29
	s_add_u32 s3, s10, s6
	s_waitcnt vmcnt(30) lgkmcnt(2)
	v_wmma_f32_16x16x16_f16 v[139:146], v[1:8], v[65:72], v[123:130]
	ds_load_b128 v[1:4], v171 offset:4096
	ds_load_b128 v[5:8], v171 offset:5120
	s_waitcnt vmcnt(28)
	v_wmma_f32_16x16x16_f16 v[123:130], v[9:16], v[65:72], v[123:130]
	ds_load_b128 v[9:12], v171 offset:6144
	ds_load_b128 v[13:16], v171 offset:7168
	s_waitcnt vmcnt(26) lgkmcnt(4)
	v_wmma_f32_16x16x16_f16 v[139:146], v[17:24], v[131:138], v[139:146]
	ds_load_b128 v[17:20], v171 offset:8192
	ds_load_b128 v[21:24], v171 offset:9216
	s_waitcnt vmcnt(24)
	v_wmma_f32_16x16x16_f16 v[123:130], v[25:32], v[131:138], v[123:130]
	ds_load_b128 v[131:134], v171 offset:10240
	ds_load_b128 v[135:138], v171 offset:11264
	s_clause 0x2
	s_load_b32 s15, s[8:9], 0x0
	s_load_b32 s4, s[22:23], 0x0
	;; [unrolled: 1-line block ×3, first 2 shown]
	s_addc_u32 s28, s11, s7
	s_lshl_b64 s[6:7], s[12:13], 1
	s_lshl_b64 s[10:11], s[20:21], 1
	;; [unrolled: 1-line block ×4, first 2 shown]
	s_mul_hi_i32 s9, s37, s5
	s_mul_i32 s8, s37, s5
	s_mul_hi_i32 s37, s38, s5
	s_lshl_b64 s[8:9], s[8:9], 1
	s_lshl_b64 s[22:23], s[36:37], 1
	s_waitcnt vmcnt(22) lgkmcnt(0)
	v_wmma_f32_16x16x16_f16 v[139:146], v[33:40], v[1:8], v[139:146]
	s_waitcnt vmcnt(20)
	v_wmma_f32_16x16x16_f16 v[123:130], v[41:48], v[1:8], v[123:130]
	v_lshl_or_b32 v1, v82, 10, v80
	s_waitcnt vmcnt(18)
	v_wmma_f32_16x16x16_f16 v[139:146], v[49:56], v[9:16], v[139:146]
	s_waitcnt vmcnt(16)
	v_wmma_f32_16x16x16_f16 v[123:130], v[57:64], v[9:16], v[123:130]
	v_add_co_u32 v172, s3, s3, v1
	s_delay_alu instid0(VALU_DEP_1) | instskip(SKIP_1) | instid1(VALU_DEP_2)
	v_add_co_ci_u32_e64 v173, null, s28, 0, s3
	s_mul_hi_i32 s25, s15, s5
	v_add_co_u32 v1, vcc_lo, v172, s6
	s_delay_alu instid0(VALU_DEP_2)
	v_add_co_ci_u32_e32 v2, vcc_lo, s7, v173, vcc_lo
	v_add_co_u32 v3, vcc_lo, v172, s10
	v_add_co_ci_u32_e32 v4, vcc_lo, s11, v173, vcc_lo
	v_add_co_u32 v5, vcc_lo, v172, s12
	;; [unrolled: 2-line block ×4, first 2 shown]
	s_mul_i32 s24, s15, s5
	v_add_co_ci_u32_e32 v26, vcc_lo, s9, v173, vcc_lo
	v_add_co_u32 v27, vcc_lo, v172, s22
	s_lshl_b64 s[24:25], s[24:25], 1
	v_add_co_ci_u32_e32 v28, vcc_lo, s23, v173, vcc_lo
	s_mul_hi_i32 s7, s4, s5
	s_mul_i32 s6, s4, s5
	v_add_co_u32 v29, vcc_lo, v172, s24
	s_lshl_b64 s[6:7], s[6:7], 1
	v_add_co_ci_u32_e32 v30, vcc_lo, s25, v173, vcc_lo
	s_waitcnt vmcnt(14)
	v_wmma_f32_16x16x16_f16 v[139:146], v[83:90], v[17:24], v[139:146]
	s_waitcnt vmcnt(12)
	v_wmma_f32_16x16x16_f16 v[123:130], v[91:98], v[17:24], v[123:130]
	v_add_co_u32 v17, vcc_lo, v172, s6
	v_add_co_ci_u32_e32 v18, vcc_lo, s7, v173, vcc_lo
	s_mul_hi_i32 s7, s17, s5
	s_mul_i32 s6, s17, s5
	s_clause 0x5
	global_load_b128 v[65:68], v[1:2], off
	global_load_b128 v[69:72], v[1:2], off offset:16
	global_load_b128 v[57:60], v[3:4], off
	global_load_b128 v[61:64], v[3:4], off offset:16
	;; [unrolled: 2-line block ×3, first 2 shown]
	s_lshl_b64 s[4:5], s[6:7], 1
	s_clause 0x1
	global_load_b128 v[41:44], v[7:8], off
	global_load_b128 v[45:48], v[7:8], off offset:16
	v_add_co_u32 v21, vcc_lo, v172, s4
	v_add_co_ci_u32_e32 v22, vcc_lo, s5, v173, vcc_lo
	s_clause 0x9
	global_load_b128 v[9:12], v[25:26], off
	global_load_b128 v[13:16], v[25:26], off offset:16
	global_load_b128 v[1:4], v[27:28], off
	global_load_b128 v[5:8], v[27:28], off offset:16
	global_load_b128 v[33:36], v[29:30], off
	global_load_b128 v[37:40], v[29:30], off offset:16
	global_load_b128 v[25:28], v[17:18], off
	global_load_b128 v[29:32], v[17:18], off offset:16
	global_load_b128 v[17:20], v[21:22], off
	global_load_b128 v[21:24], v[21:22], off offset:16
	ds_load_b128 v[83:86], v171 offset:12288
	ds_load_b128 v[87:90], v171 offset:13312
	v_and_b32_e32 v91, 0xe0, v0
	s_waitcnt vmcnt(28)
	v_wmma_f32_16x16x16_f16 v[139:146], v[99:106], v[131:138], v[139:146]
	v_mbcnt_lo_u32_b32 v99, -1, 0
	s_waitcnt vmcnt(26)
	v_wmma_f32_16x16x16_f16 v[123:130], v[107:114], v[131:138], v[123:130]
	v_add_nc_u32_e32 v100, s16, v91
	ds_load_b128 v[91:94], v171 offset:14336
	ds_load_b128 v[95:98], v171 offset:15360
	v_xor_b32_e32 v101, 16, v99
	s_waitcnt vmcnt(0) lgkmcnt(0)
	s_barrier
	v_or_b32_e32 v100, v100, v78
	buffer_gl0_inv
	v_cmp_gt_i32_e32 vcc_lo, 32, v101
	v_or_b32_e32 v102, 20, v100
	v_or_b32_e32 v103, 22, v100
	;; [unrolled: 1-line block ×4, first 2 shown]
	v_wmma_f32_16x16x16_f16 v[139:146], v[115:122], v[83:90], v[139:146]
	v_wmma_f32_16x16x16_f16 v[123:130], v[147:154], v[83:90], v[123:130]
	v_or_b32_e32 v83, 4, v100
	v_or_b32_e32 v84, 6, v100
	;; [unrolled: 1-line block ×5, first 2 shown]
	v_wmma_f32_16x16x16_f16 v[139:146], v[155:162], v[91:98], v[139:146]
	v_cndmask_b32_e32 v99, v99, v101, vcc_lo
	v_or_b32_e32 v101, 2, v100
	v_wmma_f32_16x16x16_f16 v[123:130], v[163:170], v[91:98], v[123:130]
	v_cmp_gt_i32_e32 vcc_lo, s18, v100
	v_dual_mul_f32 v98, s19, v139 :: v_dual_mul_f32 v97, s19, v140
	s_delay_alu instid0(VALU_DEP_4) | instskip(NEXT) | instid1(VALU_DEP_4)
	v_cmp_gt_i32_e64 s3, s18, v101
	v_mul_f32_e32 v112, s19, v126
	v_dual_mul_f32 v95, s19, v142 :: v_dual_mul_f32 v114, s19, v124
	v_mul_f32_e32 v96, s19, v141
	v_cndmask_b32_e32 v98, 0xff7fffff, v98, vcc_lo
	v_cndmask_b32_e64 v97, 0xff7fffff, v97, s3
	v_cmp_gt_i32_e64 s4, s18, v83
	v_cmp_gt_i32_e64 s5, s18, v84
	v_or_b32_e32 v88, 14, v100
	v_dual_mul_f32 v93, s19, v144 :: v_dual_mul_f32 v108, s19, v130
	v_mul_f32_e32 v94, s19, v143
	v_cndmask_b32_e64 v83, 0xff7fffff, v96, s4
	v_cndmask_b32_e64 v84, 0xff7fffff, v95, s5
	v_max3_f32 v95, v98, 0xff7fffff, v97
	v_cmp_gt_i32_e64 s6, s18, v85
	v_cmp_gt_i32_e64 s7, s18, v86
	v_or_b32_e32 v89, 16, v100
	v_or_b32_e32 v90, 18, v100
	v_dual_mul_f32 v91, s19, v146 :: v_dual_mul_f32 v110, s19, v128
	v_mul_f32_e32 v92, s19, v145
	v_cndmask_b32_e64 v85, 0xff7fffff, v94, s6
	v_cndmask_b32_e64 v86, 0xff7fffff, v93, s7
	v_max3_f32 v83, v95, v83, v84
	v_cmp_gt_i32_e64 s8, s18, v87
	v_cmp_gt_i32_e64 s9, s18, v88
	v_mul_f32_e32 v115, s19, v123
	v_cmp_gt_i32_e64 s10, s18, v89
	v_max3_f32 v83, v83, v85, v86
	v_cndmask_b32_e64 v84, 0xff7fffff, v92, s8
	v_cndmask_b32_e64 v87, 0xff7fffff, v91, s9
	v_cmp_gt_i32_e64 s11, s18, v90
	v_mul_f32_e32 v113, s19, v125
	v_cndmask_b32_e64 v85, 0xff7fffff, v115, s10
	v_cmp_gt_i32_e64 s12, s18, v102
	v_max3_f32 v83, v83, v84, v87
	v_cndmask_b32_e64 v86, 0xff7fffff, v114, s11
	v_cmp_gt_i32_e64 s13, s18, v103
	v_or_b32_e32 v106, 28, v100
	v_or_b32_e32 v107, 30, v100
	v_mul_f32_e32 v111, s19, v127
	v_cndmask_b32_e64 v84, 0xff7fffff, v113, s12
	v_cndmask_b32_e64 v87, 0xff7fffff, v112, s13
	v_max3_f32 v83, v83, v85, v86
	v_cmp_gt_i32_e64 s15, s18, v104
	v_cmp_gt_i32_e64 s16, s18, v105
	v_mul_f32_e32 v109, s19, v129
	v_cmp_gt_i32_e64 s17, s18, v106
	v_max3_f32 v83, v83, v84, v87
	v_cndmask_b32_e64 v85, 0xff7fffff, v111, s15
	v_cndmask_b32_e64 v86, 0xff7fffff, v110, s16
	v_cmp_gt_i32_e64 s18, s18, v107
	v_cndmask_b32_e64 v84, 0xff7fffff, v109, s17
	s_delay_alu instid0(VALU_DEP_3) | instskip(NEXT) | instid1(VALU_DEP_3)
	v_max3_f32 v83, v83, v85, v86
	v_cndmask_b32_e64 v87, 0xff7fffff, v108, s18
	v_lshlrev_b32_e32 v85, 2, v99
	s_delay_alu instid0(VALU_DEP_2) | instskip(SKIP_3) | instid1(VALU_DEP_1)
	v_max3_f32 v83, v83, v84, v87
	ds_bpermute_b32 v84, v85, v83
	s_waitcnt lgkmcnt(0)
	v_max_f32_e32 v84, v84, v84
	v_max_f32_e32 v83, v83, v84
	s_delay_alu instid0(VALU_DEP_1) | instskip(SKIP_3) | instid1(VALU_DEP_4)
	v_fma_f32 v84, s19, v139, -v83
	v_fma_f32 v86, s19, v140, -v83
	;; [unrolled: 1-line block ×4, first 2 shown]
	v_mul_f32_e32 v84, 0x3fb8aa3b, v84
	s_delay_alu instid0(VALU_DEP_4) | instskip(NEXT) | instid1(VALU_DEP_3)
	v_mul_f32_e32 v86, 0x3fb8aa3b, v86
	v_mul_f32_e32 v90, 0x3fb8aa3b, v88
	s_delay_alu instid0(VALU_DEP_3) | instskip(NEXT) | instid1(VALU_DEP_2)
	v_exp_f32_e32 v84, v84
	v_exp_f32_e32 v86, v86
	s_delay_alu instid0(VALU_DEP_1) | instskip(NEXT) | instid1(TRANS32_DEP_3)
	v_exp_f32_e32 v92, v90
	v_dual_cndmask_b32 v88, 0, v84 :: v_dual_mul_f32 v87, 0x3fb8aa3b, v87
	s_delay_alu instid0(VALU_DEP_1) | instskip(NEXT) | instid1(TRANS32_DEP_3)
	v_exp_f32_e32 v91, v87
	v_cndmask_b32_e64 v87, 0, v86, s3
	s_delay_alu instid0(VALU_DEP_2) | instskip(SKIP_1) | instid1(VALU_DEP_1)
	v_add_f32_e32 v86, 0, v88
	s_mov_b32 s3, exec_lo
	v_add_f32_e32 v86, v86, v87
	v_fma_f32 v89, s19, v143, -v83
	v_fma_f32 v84, s19, v144, -v83
	v_fma_f32 v93, s19, v145, -v83
	s_delay_alu instid0(TRANS32_DEP_1) | instskip(SKIP_1) | instid1(VALU_DEP_4)
	v_cndmask_b32_e64 v90, 0, v91, s4
	v_fma_f32 v91, s19, v146, -v83
	v_dual_mul_f32 v89, 0x3fb8aa3b, v89 :: v_dual_mul_f32 v84, 0x3fb8aa3b, v84
	s_delay_alu instid0(VALU_DEP_3) | instskip(SKIP_1) | instid1(VALU_DEP_3)
	v_dual_mul_f32 v93, 0x3fb8aa3b, v93 :: v_dual_add_f32 v86, v86, v90
	v_fma_f32 v95, s19, v123, -v83
	v_exp_f32_e32 v94, v89
	s_delay_alu instid0(VALU_DEP_3)
	v_exp_f32_e32 v84, v84
	v_cndmask_b32_e64 v89, 0, v92, s5
	v_mul_f32_e32 v91, 0x3fb8aa3b, v91
	v_fma_f32 v98, s19, v126, -v83
	v_exp_f32_e32 v93, v93
	v_fma_f32 v99, s19, v127, -v83
	v_add_f32_e32 v86, v86, v89
	v_exp_f32_e32 v96, v91
	v_mul_f32_e32 v98, 0x3fb8aa3b, v98
	v_cndmask_b32_e64 v92, 0, v94, s6
	v_fma_f32 v94, s19, v124, -v83
	v_mul_f32_e32 v95, 0x3fb8aa3b, v95
	v_cndmask_b32_e64 v91, 0, v84, s7
	s_delay_alu instid0(VALU_DEP_4)
	v_dual_mul_f32 v99, 0x3fb8aa3b, v99 :: v_dual_add_f32 v84, v86, v92
	v_fma_f32 v86, s19, v125, -v83
	v_mul_f32_e32 v97, 0x3fb8aa3b, v94
	v_exp_f32_e32 v95, v95
	v_exp_f32_e32 v101, v98
	v_add_f32_e32 v84, v84, v91
	v_mul_f32_e32 v86, 0x3fb8aa3b, v86
	v_exp_f32_e32 v97, v97
	v_cndmask_b32_e64 v94, 0, v93, s8
	v_cndmask_b32_e64 v93, 0, v96, s9
	v_fma_f32 v100, s19, v128, -v83
	v_exp_f32_e32 v86, v86
	v_exp_f32_e32 v99, v99
	v_cndmask_b32_e64 v96, 0, v95, s10
	s_delay_alu instid0(VALU_DEP_2) | instskip(NEXT) | instid1(TRANS32_DEP_3)
	v_mul_f32_e32 v100, 0x3fb8aa3b, v100
	v_cndmask_b32_e64 v95, 0, v97, s11
	v_fma_f32 v97, s19, v129, -v83
	s_delay_alu instid0(VALU_DEP_3) | instskip(NEXT) | instid1(TRANS32_DEP_3)
	v_exp_f32_e32 v102, v100
	v_cndmask_b32_e64 v98, 0, v86, s12
	s_delay_alu instid0(TRANS32_DEP_2) | instskip(NEXT) | instid1(VALU_DEP_3)
	v_cndmask_b32_e64 v100, 0, v99, s15
	v_mul_f32_e32 v86, 0x3fb8aa3b, v97
	v_cndmask_b32_e64 v97, 0, v101, s13
	v_fma_f32 v101, s19, v130, -v83
	v_add_f32_e32 v84, v84, v94
	s_delay_alu instid0(VALU_DEP_4) | instskip(NEXT) | instid1(VALU_DEP_2)
	v_exp_f32_e32 v86, v86
	v_mul_f32_e32 v101, 0x3fb8aa3b, v101
	s_delay_alu instid0(VALU_DEP_2) | instskip(SKIP_1) | instid1(VALU_DEP_3)
	v_add_f32_e32 v84, v84, v93
	v_cndmask_b32_e64 v99, 0, v102, s16
	v_exp_f32_e32 v101, v101
	s_delay_alu instid0(VALU_DEP_2) | instskip(SKIP_4) | instid1(VALU_DEP_2)
	v_add_f32_e32 v84, v84, v96
	s_waitcnt_depctr 0xfff
	v_cndmask_b32_e64 v102, 0, v86, s17
	v_add_f32_e32 v84, v84, v95
	v_cndmask_b32_e64 v101, 0, v101, s18
	v_add_f32_e32 v84, v84, v98
	s_delay_alu instid0(VALU_DEP_1) | instskip(NEXT) | instid1(VALU_DEP_1)
	v_add_f32_e32 v84, v84, v97
	v_add_f32_e32 v84, v84, v100
	s_delay_alu instid0(VALU_DEP_1) | instskip(NEXT) | instid1(VALU_DEP_1)
	v_add_f32_e32 v84, v84, v99
	v_add_f32_e32 v84, v84, v102
	s_delay_alu instid0(VALU_DEP_1)
	v_add_f32_e32 v84, v84, v101
	ds_bpermute_b32 v85, v85, v84
	v_cmpx_gt_u32_e32 16, v81
	s_cbranch_execz .LBB323_14
; %bb.13:
	v_mul_u32_u24_e32 v81, 0x44, v82
	s_waitcnt lgkmcnt(0)
	v_add_f32_e32 v84, v84, v85
	s_delay_alu instid0(VALU_DEP_2) | instskip(NEXT) | instid1(VALU_DEP_1)
	v_lshl_add_u32 v81, v79, 2, v81
	v_add_nc_u32_e32 v81, 0x4000, v81
	ds_store_2addr_b32 v81, v83, v84 offset1:136
.LBB323_14:
	s_or_b32 exec_lo, exec_lo, s3
	v_lshlrev_b32_e32 v79, 2, v79
	s_load_b32 s35, s[0:1], 0x94
	s_waitcnt lgkmcnt(0)
	s_barrier
	buffer_gl0_inv
	v_add_nc_u32_e32 v79, 0x4000, v79
	v_cmp_eq_u32_e32 vcc_lo, 1, v82
	v_cmp_eq_u32_e64 s3, 2, v82
	v_cmp_eq_u32_e64 s4, 3, v82
	;; [unrolled: 1-line block ×3, first 2 shown]
	ds_load_2addr_b32 v[83:84], v79 offset1:17
	ds_load_2addr_b32 v[103:104], v79 offset0:34 offset1:51
	ds_load_2addr_b32 v[105:106], v79 offset0:68 offset1:85
	;; [unrolled: 1-line block ×4, first 2 shown]
	v_cmp_eq_u32_e64 s6, 7, v82
	s_waitcnt lgkmcnt(4)
	v_max3_f32 v81, v83, 0xff7fffff, v84
	s_waitcnt lgkmcnt(3)
	s_delay_alu instid0(VALU_DEP_1) | instskip(SKIP_1) | instid1(VALU_DEP_1)
	v_max3_f32 v81, v81, v103, v104
	s_waitcnt lgkmcnt(2)
	v_max3_f32 v81, v81, v105, v106
	s_waitcnt lgkmcnt(1)
	s_delay_alu instid0(VALU_DEP_1) | instskip(NEXT) | instid1(VALU_DEP_1)
	v_max3_f32 v85, v81, v107, v108
	v_sub_f32_e32 v86, v84, v85
	v_sub_f32_e32 v81, v83, v85
	;; [unrolled: 1-line block ×3, first 2 shown]
	s_delay_alu instid0(VALU_DEP_3) | instskip(NEXT) | instid1(VALU_DEP_2)
	v_dual_sub_f32 v111, v104, v85 :: v_dual_mul_f32 v86, 0x3fb8aa3b, v86
	v_dual_mul_f32 v81, 0x3fb8aa3b, v81 :: v_dual_mul_f32 v112, 0x3fb8aa3b, v103
	s_delay_alu instid0(VALU_DEP_2) | instskip(NEXT) | instid1(VALU_DEP_3)
	v_mul_f32_e32 v111, 0x3fb8aa3b, v111
	v_exp_f32_e32 v113, v86
	s_delay_alu instid0(VALU_DEP_2) | instskip(NEXT) | instid1(VALU_DEP_2)
	v_exp_f32_e32 v81, v81
	v_exp_f32_e32 v112, v112
	s_delay_alu instid0(VALU_DEP_1) | instskip(SKIP_1) | instid1(TRANS32_DEP_3)
	v_exp_f32_e32 v111, v111
	s_waitcnt lgkmcnt(0)
	v_fma_f32 v86, v81, v109, 0
	s_delay_alu instid0(VALU_DEP_1)
	v_fmac_f32_e32 v86, v113, v110
	ds_load_2addr_b32 v[83:84], v79 offset0:170 offset1:187
	ds_load_2addr_b32 v[103:104], v79 offset0:204 offset1:221
	s_waitcnt lgkmcnt(1)
	v_dual_sub_f32 v109, v106, v85 :: v_dual_fmac_f32 v86, v112, v83
	v_sub_f32_e32 v105, v105, v85
	s_delay_alu instid0(VALU_DEP_2) | instskip(NEXT) | instid1(VALU_DEP_2)
	v_dual_sub_f32 v83, v108, v85 :: v_dual_fmac_f32 v86, v111, v84
	v_mul_f32_e32 v114, 0x3fb8aa3b, v105
	ds_load_2addr_b32 v[105:106], v79 offset0:238 offset1:255
	v_sub_f32_e32 v79, v107, v85
	v_mul_f32_e32 v107, 0x3fb8aa3b, v109
	v_mul_f32_e32 v83, 0x3fb8aa3b, v83
	v_exp_f32_e32 v109, v114
	s_waitcnt lgkmcnt(0)
	s_barrier
	v_exp_f32_e32 v107, v107
	buffer_gl0_inv
	v_fmac_f32_e32 v86, v109, v103
	v_exp_f32_e32 v103, v83
	s_delay_alu instid0(VALU_DEP_1) | instskip(NEXT) | instid1(VALU_DEP_1)
	v_dual_fmac_f32 v86, v107, v104 :: v_dual_mul_f32 v79, 0x3fb8aa3b, v79
	v_exp_f32_e32 v108, v79
	s_waitcnt_depctr 0xfff
	v_fmac_f32_e32 v86, v108, v105
	s_delay_alu instid0(VALU_DEP_1) | instskip(NEXT) | instid1(VALU_DEP_1)
	v_fmac_f32_e32 v86, v103, v106
	v_add_f32_e32 v104, 0x358637bd, v86
	s_delay_alu instid0(VALU_DEP_1) | instskip(NEXT) | instid1(VALU_DEP_1)
	v_div_scale_f32 v105, null, v104, v104, 1.0
	v_rcp_f32_e32 v106, v105
	s_waitcnt_depctr 0xfff
	v_fma_f32 v79, -v105, v106, 1.0
	s_delay_alu instid0(VALU_DEP_1) | instskip(SKIP_1) | instid1(VALU_DEP_2)
	v_dual_fmac_f32 v106, v79, v106 :: v_dual_cndmask_b32 v81, v81, v113
	v_div_scale_f32 v110, vcc_lo, 1.0, v104, 1.0
	v_cndmask_b32_e64 v79, v81, v112, s3
	s_delay_alu instid0(VALU_DEP_2) | instskip(SKIP_2) | instid1(VALU_DEP_4)
	v_mul_f32_e32 v112, v110, v106
	v_cmp_eq_u32_e64 s3, 4, v82
	v_lshl_or_b32 v81, v82, 11, v80
	v_cndmask_b32_e64 v83, v79, v111, s4
	s_delay_alu instid0(VALU_DEP_4)
	v_fma_f32 v84, -v105, v112, v110
	v_cmp_eq_u32_e64 s4, 6, v82
	v_lshlrev_b32_e32 v79, 2, v78
	v_lshl_or_b32 v78, v78, 4, v81
	v_cndmask_b32_e64 v83, v83, v109, s3
	v_fmac_f32_e32 v112, v84, v106
	s_delay_alu instid0(VALU_DEP_4) | instskip(SKIP_1) | instid1(VALU_DEP_4)
	v_or_b32_e32 v82, 1, v79
	v_or_b32_e32 v84, 2, v79
	v_cndmask_b32_e64 v107, v83, v107, s5
	s_delay_alu instid0(VALU_DEP_4)
	v_fma_f32 v105, -v105, v112, v110
	v_or_b32_e32 v83, 3, v79
	v_cmp_eq_u32_e64 s3, 1, v79
	v_cmp_eq_u32_e64 s9, 1, v82
	v_cndmask_b32_e64 v107, v107, v108, s4
	v_div_fmas_f32 v105, v105, v106, v112
	v_cmp_eq_u32_e64 s10, 1, v84
	v_cmp_eq_u32_e64 s11, 1, v83
	v_cmp_eq_u32_e32 vcc_lo, 2, v79
	v_cndmask_b32_e64 v103, v107, v103, s6
	v_div_fixup_f32 v104, v105, v104, 1.0
	v_cmp_eq_u32_e64 s12, 2, v82
	v_cmp_eq_u32_e64 s15, 2, v84
	;; [unrolled: 1-line block ×4, first 2 shown]
	v_mul_f32_e32 v111, v103, v104
	v_cmp_eq_u32_e64 s13, 3, v82
	v_cmp_eq_u32_e64 s17, 3, v84
	;; [unrolled: 1-line block ×4, first 2 shown]
	v_fma_mixlo_f16 v103, v111, v88, 0
	v_fma_mixlo_f16 v104, v111, v90, 0
	;; [unrolled: 1-line block ×8, first 2 shown]
	v_fma_mixhi_f16 v103, v111, v87, 0
	v_fma_mixhi_f16 v104, v111, v89, 0
	;; [unrolled: 1-line block ×8, first 2 shown]
	ds_store_b128 v78, v[103:106]
	ds_store_b128 v78, v[107:110] offset:1024
	s_waitcnt lgkmcnt(0)
	s_barrier
	buffer_gl0_inv
	ds_load_b128 v[87:90], v81
	ds_load_b128 v[91:94], v81 offset:16
	ds_load_b128 v[95:98], v81 offset:1024
	;; [unrolled: 1-line block ×3, first 2 shown]
	v_cmp_eq_u32_e64 s21, 4, v84
	v_cmp_eq_u32_e64 s24, 5, v83
	;; [unrolled: 1-line block ×10, first 2 shown]
	s_waitcnt lgkmcnt(3)
	v_lshrrev_b32_e32 v103, 16, v87
	s_waitcnt lgkmcnt(2)
	v_lshrrev_b32_e32 v107, 16, v91
	;; [unrolled: 2-line block ×4, first 2 shown]
	v_lshrrev_b32_e32 v104, 16, v88
	v_cndmask_b32_e64 v119, v87, v103, s3
	v_cndmask_b32_e64 v120, v91, v107, s3
	;; [unrolled: 1-line block ×8, first 2 shown]
	v_lshrrev_b32_e32 v108, 16, v92
	v_cndmask_b32_e64 v103, v95, v111, s3
	v_cndmask_b32_e64 v107, v99, v115, s3
	;; [unrolled: 1-line block ×5, first 2 shown]
	v_cndmask_b32_e32 v111, v119, v88, vcc_lo
	v_cndmask_b32_e64 v119, v121, v88, s12
	v_cndmask_b32_e64 v121, v123, v88, s15
	;; [unrolled: 1-line block ×4, first 2 shown]
	v_lshrrev_b32_e32 v112, 16, v96
	v_lshrrev_b32_e32 v116, 16, v100
	v_cndmask_b32_e64 v126, v99, v115, s9
	v_cndmask_b32_e64 v128, v99, v115, s10
	;; [unrolled: 1-line block ×3, first 2 shown]
	v_cndmask_b32_e32 v115, v120, v92, vcc_lo
	v_cndmask_b32_e64 v120, v122, v92, s12
	v_cndmask_b32_e64 v122, v124, v92, s15
	v_cndmask_b32_e32 v91, v103, v96, vcc_lo
	v_cndmask_b32_e32 v92, v107, v100, vcc_lo
	v_cmp_eq_u32_e64 s4, 3, v79
	v_cndmask_b32_e64 v103, v125, v96, s12
	v_cndmask_b32_e64 v87, v87, v104, s18
	;; [unrolled: 1-line block ×3, first 2 shown]
	v_cmp_eq_u32_e64 s5, 4, v79
	v_lshrrev_b32_e32 v105, 16, v89
	v_lshrrev_b32_e32 v109, 16, v93
	v_cndmask_b32_e64 v107, v127, v96, s15
	v_cndmask_b32_e64 v95, v95, v96, s16
	;; [unrolled: 1-line block ×14, first 2 shown]
	v_cmp_eq_u32_e64 s6, 5, v79
	v_lshrrev_b32_e32 v113, 16, v97
	v_cndmask_b32_e64 v99, v99, v89, s5
	v_cndmask_b32_e64 v104, v111, v93, s5
	;; [unrolled: 1-line block ×11, first 2 shown]
	v_cmp_eq_u32_e64 s7, 6, v79
	v_lshrrev_b32_e32 v106, 16, v90
	v_lshrrev_b32_e32 v110, 16, v94
	v_cndmask_b32_e64 v93, v99, v105, s6
	v_cndmask_b32_e64 v99, v104, v109, s6
	;; [unrolled: 1-line block ×9, first 2 shown]
	v_cmp_eq_u32_e64 s8, 7, v79
	v_lshrrev_b32_e32 v114, 16, v98
	v_cndmask_b32_e64 v89, v89, v113, s6
	v_cndmask_b32_e64 v93, v93, v90, s7
	;; [unrolled: 1-line block ×19, first 2 shown]
	v_perm_b32 v90, v88, v87, 0x5040100
	v_cndmask_b32_e64 v87, v126, v100, s12
	v_cndmask_b32_e64 v105, v89, v114, s8
	v_perm_b32 v89, v103, v99, 0x5040100
	v_perm_b32 v88, v104, v94, 0x5040100
	v_cndmask_b32_e64 v94, v107, v112, s17
	v_cndmask_b32_e64 v95, v95, v112, s18
	;; [unrolled: 1-line block ×5, first 2 shown]
	v_lshrrev_b32_e32 v117, 16, v101
	v_cndmask_b32_e64 v94, v94, v97, s21
	v_cndmask_b32_e64 v95, v95, v97, s22
	v_cndmask_b32_e64 v96, v96, v101, s22
	v_cndmask_b32_e64 v97, v99, v101, s21
	v_cndmask_b32_e64 v87, v87, v101, s19
	v_cndmask_b32_e64 v91, v91, v117, s6
	v_cndmask_b32_e64 v94, v94, v113, s23
	v_cndmask_b32_e64 v95, v95, v113, s24
	v_cndmask_b32_e64 v96, v96, v117, s24
	v_cndmask_b32_e64 v97, v97, v117, s23
	v_cndmask_b32_e64 v87, v87, v117, s20
	v_lshrrev_b32_e32 v118, 16, v102
	v_cndmask_b32_e64 v91, v91, v102, s7
	v_cndmask_b32_e64 v94, v94, v98, s26
	;; [unrolled: 1-line block ×12, first 2 shown]
	v_perm_b32 v87, v93, v92, 0x5040100
	v_perm_b32 v94, v95, v94, 0x5040100
	;; [unrolled: 1-line block ×5, first 2 shown]
	s_lshl_b32 s7, s33, 1
	s_mov_b32 s3, exec_lo
	ds_store_b128 v78, v[87:90]
	ds_store_b128 v78, v[91:94] offset:1024
	v_cmpx_gt_u32_e32 2, v0
	s_cbranch_execz .LBB323_16
; %bb.15:
	v_or_b32_e32 v87, s31, v0
	s_load_b128 s[8:11], s[0:1], 0x58
	s_delay_alu instid0(VALU_DEP_1) | instskip(NEXT) | instid1(VALU_DEP_1)
	v_mad_u64_u32 v[88:89], null, s7, s34, v[87:88]
	v_mad_u64_u32 v[89:90], null, v88, s35, s[14:15]
	s_delay_alu instid0(VALU_DEP_1) | instskip(NEXT) | instid1(VALU_DEP_1)
	v_ashrrev_i32_e32 v90, 31, v89
	v_lshlrev_b64 v[87:88], 2, v[89:90]
	s_waitcnt lgkmcnt(0)
	s_delay_alu instid0(VALU_DEP_1) | instskip(NEXT) | instid1(VALU_DEP_2)
	v_add_co_u32 v89, vcc_lo, s10, v87
	v_add_co_ci_u32_e32 v90, vcc_lo, s11, v88, vcc_lo
	v_add_co_u32 v87, vcc_lo, s8, v87
	v_add_co_ci_u32_e32 v88, vcc_lo, s9, v88, vcc_lo
	global_store_b32 v[89:90], v85, off
	global_store_b32 v[87:88], v86, off
.LBB323_16:
	s_or_b32 exec_lo, exec_lo, s3
	s_waitcnt lgkmcnt(0)
	s_waitcnt_vscnt null, 0x0
	s_barrier
	buffer_gl0_inv
	ds_load_b128 v[93:96], v80
	ds_load_b128 v[97:100], v80 offset:16
	ds_load_b128 v[105:108], v80 offset:1040
	;; [unrolled: 1-line block ×5, first 2 shown]
	v_cmp_eq_u32_e32 vcc_lo, 1, v84
	v_mov_b32_e32 v85, 0
	ds_load_b128 v[121:124], v80 offset:3088
	ds_load_b128 v[117:120], v80 offset:3072
	;; [unrolled: 1-line block ×4, first 2 shown]
	v_cmp_eq_u32_e64 s3, 1, v79
	v_cmp_eq_u32_e64 s4, 1, v83
	;; [unrolled: 1-line block ×3, first 2 shown]
	v_mov_b32_e32 v86, v85
	v_mov_b32_e32 v87, v85
	;; [unrolled: 1-line block ×7, first 2 shown]
	v_cmp_eq_u32_e64 s6, 2, v79
	s_waitcnt lgkmcnt(8)
	s_delay_alu instid0(VALU_DEP_2)
	v_wmma_f32_16x16x16_f16 v[85:92], v[65:72], v[93:100], v[85:92]
	ds_load_b128 v[69:72], v80 offset:5136
	ds_load_b128 v[65:68], v80 offset:5120
	ds_load_b128 v[97:100], v80 offset:6160
	ds_load_b128 v[93:96], v80 offset:6144
	s_waitcnt lgkmcnt(10)
	v_wmma_f32_16x16x16_f16 v[85:92], v[57:64], v[101:108], v[85:92]
	s_waitcnt lgkmcnt(8)
	s_delay_alu instid0(VALU_DEP_1)
	v_wmma_f32_16x16x16_f16 v[85:92], v[57:64], v[109:116], v[85:92]
	ds_load_b128 v[61:64], v80 offset:7184
	ds_load_b128 v[57:60], v80 offset:7168
	;; [unrolled: 1-line block ×4, first 2 shown]
	s_waitcnt lgkmcnt(10)
	v_wmma_f32_16x16x16_f16 v[85:92], v[49:56], v[117:124], v[85:92]
	s_waitcnt lgkmcnt(8)
	s_delay_alu instid0(VALU_DEP_1)
	v_wmma_f32_16x16x16_f16 v[85:92], v[49:56], v[125:132], v[85:92]
	ds_load_b128 v[53:56], v80 offset:9232
	ds_load_b128 v[49:52], v80 offset:9216
	s_waitcnt lgkmcnt(8)
	v_wmma_f32_16x16x16_f16 v[85:92], v[41:48], v[65:72], v[85:92]
	ds_load_b128 v[69:72], v80 offset:10256
	ds_load_b128 v[65:68], v80 offset:10240
	s_waitcnt lgkmcnt(8)
	;; [unrolled: 4-line block ×7, first 2 shown]
	s_barrier
	buffer_gl0_inv
	v_wmma_f32_16x16x16_f16 v[85:92], v[33:40], v[41:48], v[85:92]
	s_delay_alu instid0(VALU_DEP_1) | instskip(NEXT) | instid1(VALU_DEP_1)
	v_wmma_f32_16x16x16_f16 v[85:92], v[33:40], v[57:64], v[85:92]
	v_wmma_f32_16x16x16_f16 v[85:92], v[25:32], v[9:16], v[85:92]
	s_delay_alu instid0(VALU_DEP_1) | instskip(NEXT) | instid1(VALU_DEP_1)
	v_wmma_f32_16x16x16_f16 v[85:92], v[25:32], v[49:56], v[85:92]
	v_wmma_f32_16x16x16_f16 v[85:92], v[17:24], v[1:8], v[85:92]
	s_delay_alu instid0(VALU_DEP_1) | instskip(NEXT) | instid1(VALU_DEP_2)
	v_cvt_f16_f32_e32 v1, v85
	v_cvt_f16_f32_e32 v2, v86
	s_delay_alu instid0(VALU_DEP_3) | instskip(NEXT) | instid1(VALU_DEP_4)
	v_cvt_f16_f32_e32 v3, v87
	v_cvt_f16_f32_e32 v4, v88
	;; [unrolled: 1-line block ×6, first 2 shown]
	v_pack_b32_f16 v1, v1, v2
	v_pack_b32_f16 v2, v3, v4
	;; [unrolled: 1-line block ×3, first 2 shown]
	s_delay_alu instid0(VALU_DEP_4)
	v_pack_b32_f16 v4, v7, v8
	ds_store_b128 v78, v[1:4]
	s_waitcnt lgkmcnt(0)
	s_barrier
	buffer_gl0_inv
	ds_load_b128 v[1:4], v81
	ds_load_b128 v[5:8], v81 offset:16
	s_waitcnt lgkmcnt(1)
	v_lshrrev_b32_e32 v9, 16, v1
	s_waitcnt lgkmcnt(0)
	v_lshrrev_b32_e32 v13, 16, v5
	v_lshrrev_b32_e32 v15, 16, v7
	;; [unrolled: 1-line block ×4, first 2 shown]
	v_cndmask_b32_e64 v17, v1, v9, s3
	v_cndmask_b32_e64 v18, v5, v13, s3
	;; [unrolled: 1-line block ×3, first 2 shown]
	v_cmp_eq_u32_e64 s3, 2, v82
	v_cndmask_b32_e64 v20, v5, v13, s5
	v_cndmask_b32_e32 v21, v1, v9, vcc_lo
	v_cndmask_b32_e32 v22, v5, v13, vcc_lo
	v_cndmask_b32_e64 v1, v1, v9, s4
	v_cndmask_b32_e64 v5, v5, v13, s4
	v_cmp_eq_u32_e32 vcc_lo, 2, v84
	v_cmp_eq_u32_e64 s4, 2, v83
	v_cndmask_b32_e64 v9, v17, v2, s6
	v_cndmask_b32_e64 v13, v18, v6, s6
	;; [unrolled: 1-line block ×4, first 2 shown]
	v_cndmask_b32_e32 v19, v21, v2, vcc_lo
	v_cmp_eq_u32_e64 s3, 3, v84
	v_cndmask_b32_e32 v20, v22, v6, vcc_lo
	v_cndmask_b32_e64 v1, v1, v2, s4
	v_cmp_eq_u32_e32 vcc_lo, 3, v83
	v_cmp_eq_u32_e64 s5, 3, v79
	v_cndmask_b32_e64 v2, v5, v6, s4
	v_cmp_eq_u32_e64 s4, 3, v82
	v_lshrrev_b32_e32 v16, 16, v8
	v_cmp_eq_u32_e64 s6, 4, v79
	v_cndmask_b32_e64 v5, v9, v10, s5
	v_cndmask_b32_e64 v6, v13, v14, s5
	;; [unrolled: 1-line block ×3, first 2 shown]
	v_cmp_eq_u32_e64 s5, 4, v82
	v_cndmask_b32_e64 v13, v18, v14, s4
	v_cndmask_b32_e64 v17, v19, v10, s3
	;; [unrolled: 1-line block ×3, first 2 shown]
	v_cndmask_b32_e32 v1, v1, v10, vcc_lo
	v_cndmask_b32_e32 v2, v2, v14, vcc_lo
	v_cmp_eq_u32_e32 vcc_lo, 4, v84
	v_cmp_eq_u32_e64 s4, 4, v83
	v_lshrrev_b32_e32 v11, 16, v3
	v_cndmask_b32_e64 v5, v5, v3, s6
	v_cndmask_b32_e64 v6, v6, v7, s6
	;; [unrolled: 1-line block ×4, first 2 shown]
	v_cndmask_b32_e32 v13, v17, v3, vcc_lo
	v_cmp_eq_u32_e64 s3, 5, v84
	v_cndmask_b32_e32 v14, v18, v7, vcc_lo
	v_cndmask_b32_e64 v1, v1, v3, s4
	v_cmp_eq_u32_e32 vcc_lo, 5, v83
	v_cmp_eq_u32_e64 s5, 5, v79
	v_cndmask_b32_e64 v2, v2, v7, s4
	v_cmp_eq_u32_e64 s4, 5, v82
	v_cmp_eq_u32_e64 s6, 6, v79
	v_cndmask_b32_e32 v1, v1, v11, vcc_lo
	v_cndmask_b32_e64 v3, v5, v11, s5
	v_cndmask_b32_e64 v5, v6, v15, s5
	;; [unrolled: 1-line block ×3, first 2 shown]
	v_cmp_eq_u32_e64 s5, 6, v82
	v_cndmask_b32_e64 v7, v10, v15, s4
	v_cndmask_b32_e64 v9, v13, v11, s3
	;; [unrolled: 1-line block ×3, first 2 shown]
	v_cndmask_b32_e32 v2, v2, v15, vcc_lo
	v_cmp_eq_u32_e32 vcc_lo, 6, v84
	v_cmp_eq_u32_e64 s3, 6, v83
	v_lshrrev_b32_e32 v12, 16, v4
	v_cndmask_b32_e64 v3, v3, v4, s6
	v_cndmask_b32_e64 v5, v5, v8, s6
	;; [unrolled: 1-line block ×4, first 2 shown]
	v_cndmask_b32_e32 v9, v9, v4, vcc_lo
	v_cmp_eq_u32_e64 s4, 7, v84
	v_cndmask_b32_e32 v10, v10, v8, vcc_lo
	v_cndmask_b32_e64 v1, v1, v4, s3
	v_cmp_eq_u32_e32 vcc_lo, 7, v83
	v_cndmask_b32_e64 v2, v2, v8, s3
	v_cmp_eq_u32_e64 s3, 7, v79
	v_cmp_eq_u32_e64 s5, 7, v82
	v_cndmask_b32_e32 v1, v1, v12, vcc_lo
	s_delay_alu instid0(VALU_DEP_4) | instskip(NEXT) | instid1(VALU_DEP_4)
	v_cndmask_b32_e32 v2, v2, v16, vcc_lo
	v_cndmask_b32_e64 v8, v3, v12, s3
	s_delay_alu instid0(VALU_DEP_4)
	v_cndmask_b32_e64 v6, v6, v12, s5
	v_cndmask_b32_e64 v3, v9, v12, s4
	;; [unrolled: 1-line block ×5, first 2 shown]
	v_perm_b32 v4, v2, v1, 0x5040100
	s_delay_alu instid0(VALU_DEP_4) | instskip(NEXT) | instid1(VALU_DEP_4)
	v_perm_b32 v3, v9, v3, 0x5040100
	v_perm_b32 v2, v7, v6, 0x5040100
	s_delay_alu instid0(VALU_DEP_4)
	v_perm_b32 v1, v5, v8, 0x5040100
	ds_store_b128 v78, v[1:4]
	s_waitcnt lgkmcnt(0)
	s_barrier
	buffer_gl0_inv
	s_and_saveexec_b32 s3, s2
	s_cbranch_execz .LBB323_2
; %bb.17:
	s_load_b64 s[0:1], s[0:1], 0x68
	v_lshlrev_b32_e32 v0, 10, v0
	s_lshl_b32 s2, s35, 7
	v_lshlrev_b32_e32 v1, 4, v77
	v_mul_lo_u32 v4, s2, v76
	s_mul_i32 s3, s2, s34
	v_and_b32_e32 v0, 0x3800, v0
	s_mul_i32 s2, s3, s7
	s_delay_alu instid0(SALU_CYCLE_1) | instskip(NEXT) | instid1(VALU_DEP_1)
	s_ashr_i32 s3, s2, 31
	v_or3_b32 v0, v0, v75, v1
	s_lshl_b64 s[2:3], s[2:3], 1
	s_delay_alu instid0(VALU_DEP_3)
	v_ashrrev_i32_e32 v5, 31, v4
	ds_load_b128 v[0:3], v0
	v_lshlrev_b64 v[4:5], 1, v[4:5]
	s_waitcnt lgkmcnt(0)
	s_add_u32 s2, s0, s2
	s_addc_u32 s3, s1, s3
	s_lshl_b32 s0, s14, 7
	s_delay_alu instid0(SALU_CYCLE_1) | instskip(NEXT) | instid1(SALU_CYCLE_1)
	s_ashr_i32 s1, s0, 31
	s_lshl_b64 s[0:1], s[0:1], 1
	s_delay_alu instid0(SALU_CYCLE_1) | instskip(SKIP_3) | instid1(VALU_DEP_2)
	s_add_u32 s0, s2, s0
	s_addc_u32 s1, s3, s1
	v_add_co_u32 v4, vcc_lo, s0, v4
	v_add_co_ci_u32_e32 v5, vcc_lo, s1, v5, vcc_lo
	v_add_co_u32 v4, vcc_lo, v4, v73
	s_delay_alu instid0(VALU_DEP_2)
	v_add_co_ci_u32_e32 v5, vcc_lo, v5, v74, vcc_lo
	global_store_b128 v[4:5], v[0:3], off
	s_nop 0
	s_sendmsg sendmsg(MSG_DEALLOC_VGPRS)
	s_endpgm
	.section	.rodata,"a",@progbits
	.p2align	6, 0x0
	.amdhsa_kernel _Z39paged_attention_ll4mi_QKV_mfma16_kernelIDF16_DF16_LN4vllm18Fp8KVCacheDataTypeE0EhLi32ELi128ELi256ELb1ELi2EL8MFMAType0EEvPKT_PKT0_S8_ifPKiSA_SA_iPKfiiiPfSD_PS3_PT2_iSC_SC_
		.amdhsa_group_segment_fixed_size 17472
		.amdhsa_private_segment_fixed_size 0
		.amdhsa_kernarg_size 400
		.amdhsa_user_sgpr_count 13
		.amdhsa_user_sgpr_dispatch_ptr 0
		.amdhsa_user_sgpr_queue_ptr 0
		.amdhsa_user_sgpr_kernarg_segment_ptr 1
		.amdhsa_user_sgpr_dispatch_id 0
		.amdhsa_user_sgpr_private_segment_size 0
		.amdhsa_wavefront_size32 1
		.amdhsa_uses_dynamic_stack 0
		.amdhsa_enable_private_segment 0
		.amdhsa_system_sgpr_workgroup_id_x 1
		.amdhsa_system_sgpr_workgroup_id_y 1
		.amdhsa_system_sgpr_workgroup_id_z 1
		.amdhsa_system_sgpr_workgroup_info 0
		.amdhsa_system_vgpr_workitem_id 0
		.amdhsa_next_free_vgpr 174
		.amdhsa_next_free_sgpr 39
		.amdhsa_reserve_vcc 1
		.amdhsa_float_round_mode_32 0
		.amdhsa_float_round_mode_16_64 0
		.amdhsa_float_denorm_mode_32 3
		.amdhsa_float_denorm_mode_16_64 3
		.amdhsa_dx10_clamp 1
		.amdhsa_ieee_mode 1
		.amdhsa_fp16_overflow 0
		.amdhsa_workgroup_processor_mode 1
		.amdhsa_memory_ordered 1
		.amdhsa_forward_progress 0
		.amdhsa_shared_vgpr_count 0
		.amdhsa_exception_fp_ieee_invalid_op 0
		.amdhsa_exception_fp_denorm_src 0
		.amdhsa_exception_fp_ieee_div_zero 0
		.amdhsa_exception_fp_ieee_overflow 0
		.amdhsa_exception_fp_ieee_underflow 0
		.amdhsa_exception_fp_ieee_inexact 0
		.amdhsa_exception_int_div_zero 0
	.end_amdhsa_kernel
	.section	.text._Z39paged_attention_ll4mi_QKV_mfma16_kernelIDF16_DF16_LN4vllm18Fp8KVCacheDataTypeE0EhLi32ELi128ELi256ELb1ELi2EL8MFMAType0EEvPKT_PKT0_S8_ifPKiSA_SA_iPKfiiiPfSD_PS3_PT2_iSC_SC_,"axG",@progbits,_Z39paged_attention_ll4mi_QKV_mfma16_kernelIDF16_DF16_LN4vllm18Fp8KVCacheDataTypeE0EhLi32ELi128ELi256ELb1ELi2EL8MFMAType0EEvPKT_PKT0_S8_ifPKiSA_SA_iPKfiiiPfSD_PS3_PT2_iSC_SC_,comdat
.Lfunc_end323:
	.size	_Z39paged_attention_ll4mi_QKV_mfma16_kernelIDF16_DF16_LN4vllm18Fp8KVCacheDataTypeE0EhLi32ELi128ELi256ELb1ELi2EL8MFMAType0EEvPKT_PKT0_S8_ifPKiSA_SA_iPKfiiiPfSD_PS3_PT2_iSC_SC_, .Lfunc_end323-_Z39paged_attention_ll4mi_QKV_mfma16_kernelIDF16_DF16_LN4vllm18Fp8KVCacheDataTypeE0EhLi32ELi128ELi256ELb1ELi2EL8MFMAType0EEvPKT_PKT0_S8_ifPKiSA_SA_iPKfiiiPfSD_PS3_PT2_iSC_SC_
                                        ; -- End function
	.section	.AMDGPU.csdata,"",@progbits
; Kernel info:
; codeLenInByte = 7328
; NumSgprs: 41
; NumVgprs: 174
; ScratchSize: 0
; MemoryBound: 0
; FloatMode: 240
; IeeeMode: 1
; LDSByteSize: 17472 bytes/workgroup (compile time only)
; SGPRBlocks: 5
; VGPRBlocks: 21
; NumSGPRsForWavesPerEU: 41
; NumVGPRsForWavesPerEU: 174
; Occupancy: 8
; WaveLimiterHint : 1
; COMPUTE_PGM_RSRC2:SCRATCH_EN: 0
; COMPUTE_PGM_RSRC2:USER_SGPR: 13
; COMPUTE_PGM_RSRC2:TRAP_HANDLER: 0
; COMPUTE_PGM_RSRC2:TGID_X_EN: 1
; COMPUTE_PGM_RSRC2:TGID_Y_EN: 1
; COMPUTE_PGM_RSRC2:TGID_Z_EN: 1
; COMPUTE_PGM_RSRC2:TIDIG_COMP_CNT: 0
	.section	.text._Z39paged_attention_ll4mi_QKV_mfma16_kernelIDF16_DF16_LN4vllm18Fp8KVCacheDataTypeE0EhLi32ELi128ELi256ELb1ELi3EL8MFMAType0EEvPKT_PKT0_S8_ifPKiSA_SA_iPKfiiiPfSD_PS3_PT2_iSC_SC_,"axG",@progbits,_Z39paged_attention_ll4mi_QKV_mfma16_kernelIDF16_DF16_LN4vllm18Fp8KVCacheDataTypeE0EhLi32ELi128ELi256ELb1ELi3EL8MFMAType0EEvPKT_PKT0_S8_ifPKiSA_SA_iPKfiiiPfSD_PS3_PT2_iSC_SC_,comdat
	.protected	_Z39paged_attention_ll4mi_QKV_mfma16_kernelIDF16_DF16_LN4vllm18Fp8KVCacheDataTypeE0EhLi32ELi128ELi256ELb1ELi3EL8MFMAType0EEvPKT_PKT0_S8_ifPKiSA_SA_iPKfiiiPfSD_PS3_PT2_iSC_SC_ ; -- Begin function _Z39paged_attention_ll4mi_QKV_mfma16_kernelIDF16_DF16_LN4vllm18Fp8KVCacheDataTypeE0EhLi32ELi128ELi256ELb1ELi3EL8MFMAType0EEvPKT_PKT0_S8_ifPKiSA_SA_iPKfiiiPfSD_PS3_PT2_iSC_SC_
	.globl	_Z39paged_attention_ll4mi_QKV_mfma16_kernelIDF16_DF16_LN4vllm18Fp8KVCacheDataTypeE0EhLi32ELi128ELi256ELb1ELi3EL8MFMAType0EEvPKT_PKT0_S8_ifPKiSA_SA_iPKfiiiPfSD_PS3_PT2_iSC_SC_
	.p2align	8
	.type	_Z39paged_attention_ll4mi_QKV_mfma16_kernelIDF16_DF16_LN4vllm18Fp8KVCacheDataTypeE0EhLi32ELi128ELi256ELb1ELi3EL8MFMAType0EEvPKT_PKT0_S8_ifPKiSA_SA_iPKfiiiPfSD_PS3_PT2_iSC_SC_,@function
_Z39paged_attention_ll4mi_QKV_mfma16_kernelIDF16_DF16_LN4vllm18Fp8KVCacheDataTypeE0EhLi32ELi128ELi256ELb1ELi3EL8MFMAType0EEvPKT_PKT0_S8_ifPKiSA_SA_iPKfiiiPfSD_PS3_PT2_iSC_SC_: ; @_Z39paged_attention_ll4mi_QKV_mfma16_kernelIDF16_DF16_LN4vllm18Fp8KVCacheDataTypeE0EhLi32ELi128ELi256ELb1ELi3EL8MFMAType0EEvPKT_PKT0_S8_ifPKiSA_SA_iPKfiiiPfSD_PS3_PT2_iSC_SC_
; %bb.0:
	s_load_b64 s[2:3], s[0:1], 0x30
	s_mov_b32 s34, s13
	s_waitcnt lgkmcnt(0)
	s_cmp_lg_u64 s[2:3], 0
	s_cselect_b32 s6, -1, 0
	s_ashr_i32 s35, s13, 31
	s_cmp_eq_u64 s[2:3], 0
	s_cbranch_scc1 .LBB324_3
; %bb.1:
	s_lshl_b64 s[4:5], s[34:35], 2
	s_delay_alu instid0(SALU_CYCLE_1) | instskip(SKIP_4) | instid1(SALU_CYCLE_1)
	s_add_u32 s4, s2, s4
	s_addc_u32 s5, s3, s5
	s_load_b64 s[4:5], s[4:5], 0x0
	s_waitcnt lgkmcnt(0)
	s_sub_i32 s4, s5, s4
	s_cmp_eq_u32 s4, 1
	s_cselect_b32 s4, -1, 0
	s_delay_alu instid0(SALU_CYCLE_1)
	s_and_not1_b32 vcc_lo, exec_lo, s4
	s_cbranch_vccz .LBB324_4
.LBB324_2:
	s_nop 0
	s_sendmsg sendmsg(MSG_DEALLOC_VGPRS)
	s_endpgm
.LBB324_3:
.LBB324_4:
	s_load_b64 s[8:9], s[0:1], 0x28
	s_lshl_b64 s[4:5], s[34:35], 2
	s_waitcnt lgkmcnt(0)
	s_add_u32 s8, s8, s4
	s_addc_u32 s9, s9, s5
	s_lshl_b32 s12, s14, 8
	s_load_b32 s17, s[8:9], 0x0
	s_waitcnt lgkmcnt(0)
	s_cmp_ge_i32 s12, s17
	s_cbranch_scc1 .LBB324_2
; %bb.5:
	s_and_not1_b32 vcc_lo, exec_lo, s6
	s_cbranch_vccnz .LBB324_7
; %bb.6:
	s_add_u32 s2, s2, s4
	s_addc_u32 s3, s3, s5
	s_load_b32 s13, s[2:3], 0x0
	s_branch .LBB324_8
.LBB324_7:
	s_mov_b32 s13, s34
.LBB324_8:
	s_clause 0x2
	s_load_b128 s[8:11], s[0:1], 0x8
	s_load_b64 s[2:3], s[0:1], 0x20
	s_load_b128 s[4:7], s[0:1], 0x48
	v_lshrrev_b32_e32 v78, 5, v0
	v_bfe_u32 v75, v0, 4, 1
	v_and_b32_e32 v77, 15, v0
	s_waitcnt lgkmcnt(0)
	s_mov_b32 s7, exec_lo
	s_delay_alu instid0(VALU_DEP_2) | instskip(NEXT) | instid1(VALU_DEP_2)
	v_lshl_or_b32 v3, v78, 1, v75
	v_lshlrev_b32_e32 v1, 3, v77
	s_delay_alu instid0(VALU_DEP_2)
	v_cmpx_lt_u32_e32 2, v3
	s_xor_b32 s7, exec_lo, s7
; %bb.9:
	v_mov_b32_e32 v2, 0
                                        ; implicit-def: $vgpr3
; %bb.10:
	s_or_saveexec_b32 s7, s7
	v_and_b32_e32 v80, 31, v0
	v_and_b32_e32 v76, 1, v0
	s_mul_i32 s31, s15, 3
	s_xor_b32 exec_lo, exec_lo, s7
	s_cbranch_execz .LBB324_12
; %bb.11:
	s_load_b64 s[18:19], s[0:1], 0x0
	v_add_lshl_u32 v4, v3, s31, 7
	s_mul_hi_i32 s21, s13, s4
	s_mul_i32 s20, s13, s4
	v_lshlrev_b32_e32 v2, 1, v1
	s_lshl_b64 s[20:21], s[20:21], 1
	v_ashrrev_i32_e32 v5, 31, v4
	v_lshlrev_b32_e32 v3, 6, v3
	v_lshlrev_b32_e32 v8, 10, v76
	s_delay_alu instid0(VALU_DEP_3) | instskip(SKIP_3) | instid1(VALU_DEP_1)
	v_lshlrev_b64 v[4:5], 1, v[4:5]
	s_waitcnt lgkmcnt(0)
	s_add_u32 s4, s18, s20
	s_addc_u32 s13, s19, s21
	v_add_co_u32 v4, vcc_lo, s4, v4
	s_delay_alu instid0(VALU_DEP_2) | instskip(NEXT) | instid1(VALU_DEP_2)
	v_add_co_ci_u32_e32 v5, vcc_lo, s13, v5, vcc_lo
	v_add_co_u32 v4, vcc_lo, v4, v2
	s_delay_alu instid0(VALU_DEP_2) | instskip(SKIP_3) | instid1(VALU_DEP_1)
	v_add_co_ci_u32_e32 v5, vcc_lo, 0, v5, vcc_lo
	v_lshlrev_b32_e32 v2, 10, v77
	global_load_b128 v[4:7], v[4:5], off
	v_and_b32_e32 v2, 0x3800, v2
	v_or3_b32 v3, v2, v8, v3
	v_mov_b32_e32 v2, 0
	s_waitcnt vmcnt(0)
	ds_store_b128 v3, v[4:7]
.LBB324_12:
	s_or_b32 exec_lo, exec_lo, s7
	v_and_b32_e32 v3, 0xef, v0
	s_add_i32 s4, s17, 31
	s_clause 0x1
	s_load_b32 s7, s[0:1], 0x38
	s_load_b32 s33, s[0:1], 0x98
	s_ashr_i32 s13, s4, 31
	v_add_nc_u32_e32 v3, s12, v3
	s_lshr_b32 s13, s13, 27
	s_load_b32 s18, s[0:1], 0x1c
	s_add_i32 s4, s4, s13
	s_waitcnt lgkmcnt(0)
	v_ashrrev_i32_e32 v4, 31, v3
	v_cmp_gt_i32_e32 vcc_lo, s17, v3
	s_ashr_i32 s4, s4, 5
	s_barrier
	s_add_i32 s4, s4, -1
	v_lshrrev_b32_e32 v5, 27, v4
	v_or_b32_e32 v4, 16, v3
	buffer_gl0_inv
	v_lshlrev_b64 v[73:74], 1, v[1:2]
	v_lshlrev_b32_e32 v79, 6, v77
	v_add_nc_u32_e32 v6, v3, v5
	v_add_nc_u32_e32 v5, v4, v5
	s_mul_i32 s20, s34, s7
	s_delay_alu instid0(SALU_CYCLE_1) | instskip(NEXT) | instid1(VALU_DEP_2)
	s_ashr_i32 s21, s20, 31
	v_ashrrev_i32_e32 v6, 5, v6
	s_delay_alu instid0(VALU_DEP_2) | instskip(SKIP_1) | instid1(SALU_CYCLE_1)
	v_ashrrev_i32_e32 v5, 5, v5
	s_lshl_b64 s[20:21], s[20:21], 2
	s_add_u32 s13, s2, s20
	s_delay_alu instid0(VALU_DEP_2) | instskip(SKIP_3) | instid1(SALU_CYCLE_1)
	v_cndmask_b32_e32 v3, s4, v6, vcc_lo
	v_cmp_gt_i32_e32 vcc_lo, s17, v4
	s_addc_u32 s16, s3, s21
	s_mul_i32 s2, s15, s6
	s_ashr_i32 s3, s2, 31
	v_cndmask_b32_e32 v5, s4, v5, vcc_lo
	v_ashrrev_i32_e32 v4, 31, v3
	s_lshl_b64 s[2:3], s[2:3], 1
	s_delay_alu instid0(SALU_CYCLE_1) | instskip(NEXT) | instid1(VALU_DEP_2)
	s_add_u32 s15, s8, s2
	v_ashrrev_i32_e32 v6, 31, v5
	s_delay_alu instid0(VALU_DEP_2) | instskip(SKIP_2) | instid1(VALU_DEP_2)
	v_lshlrev_b64 v[3:4], 2, v[3:4]
	s_addc_u32 s19, s9, s3
	s_lshl_b32 s6, s14, 3
	v_lshlrev_b64 v[5:6], 2, v[5:6]
	s_ashr_i32 s7, s6, 31
	s_delay_alu instid0(VALU_DEP_2) | instskip(SKIP_1) | instid1(VALU_DEP_3)
	v_add_co_u32 v3, vcc_lo, s13, v3
	v_add_co_ci_u32_e32 v4, vcc_lo, s16, v4, vcc_lo
	v_add_co_u32 v5, vcc_lo, s13, v5
	s_delay_alu instid0(VALU_DEP_4)
	v_add_co_ci_u32_e32 v6, vcc_lo, s16, v6, vcc_lo
	s_lshl_b64 s[6:7], s[6:7], 2
	s_clause 0x1
	global_load_b32 v7, v[3:4], off
	global_load_b32 v8, v[5:6], off
	s_add_u32 s6, s13, s6
	s_addc_u32 s7, s16, s7
	s_or_b32 s8, s12, 32
	s_delay_alu instid0(SALU_CYCLE_1) | instskip(SKIP_2) | instid1(SALU_CYCLE_1)
	s_ashr_i32 s9, s8, 5
	s_cmp_lt_i32 s8, s17
	s_cselect_b32 s8, s9, s4
	s_ashr_i32 s9, s8, 31
	s_delay_alu instid0(SALU_CYCLE_1) | instskip(NEXT) | instid1(SALU_CYCLE_1)
	s_lshl_b64 s[8:9], s[8:9], 2
	s_add_u32 s8, s13, s8
	s_addc_u32 s9, s16, s9
	s_or_b32 s20, s12, 64
	s_delay_alu instid0(SALU_CYCLE_1) | instskip(SKIP_2) | instid1(SALU_CYCLE_1)
	s_ashr_i32 s21, s20, 5
	s_cmp_lt_i32 s20, s17
	s_cselect_b32 s20, s21, s4
	s_ashr_i32 s21, s20, 31
	s_delay_alu instid0(SALU_CYCLE_1) | instskip(NEXT) | instid1(SALU_CYCLE_1)
	s_lshl_b64 s[20:21], s[20:21], 2
	;; [unrolled: 10-line block ×5, first 2 shown]
	s_add_u32 s26, s13, s26
	s_addc_u32 s27, s16, s27
	s_clause 0x5
	s_load_b32 s28, s[6:7], 0x0
	s_load_b32 s29, s[8:9], 0x0
	s_load_b32 s30, s[20:21], 0x0
	s_load_b32 s35, s[22:23], 0x0
	s_load_b32 s36, s[24:25], 0x0
	s_load_b32 s38, s[26:27], 0x0
	s_mov_b32 s20, 0
	s_or_b32 s6, s12, 0xc0
	s_mov_b32 s21, s20
	s_mov_b32 s22, s20
	;; [unrolled: 1-line block ×7, first 2 shown]
	s_ashr_i32 s7, s6, 5
	v_mov_b32_e32 v128, s27
	s_cmp_lt_i32 s6, s17
	v_mov_b32_e32 v127, s26
	s_cselect_b32 s6, s7, s4
	v_mov_b32_e32 v126, s25
	s_ashr_i32 s7, s6, 31
	v_mov_b32_e32 v125, s24
	s_lshl_b64 s[6:7], s[6:7], 2
	v_mov_b32_e32 v124, s23
	s_add_u32 s6, s13, s6
	s_addc_u32 s7, s16, s7
	v_mov_b32_e32 v123, s22
	v_mov_b32_e32 v121, s20
	s_waitcnt lgkmcnt(0)
	s_mul_hi_i32 s9, s28, s5
	s_mul_i32 s8, s28, s5
	s_mul_hi_i32 s37, s38, s5
	v_mov_b32_e32 v122, s21
	s_mul_hi_i32 s21, s29, s5
	s_mul_i32 s20, s29, s5
	s_mul_hi_i32 s25, s30, s5
	s_mul_i32 s24, s30, s5
	;; [unrolled: 2-line block ×3, first 2 shown]
	s_waitcnt vmcnt(1)
	v_mad_i64_i32 v[3:4], null, v7, s5, 0
	s_waitcnt vmcnt(0)
	v_mad_i64_i32 v[5:6], null, v8, s5, 0
	s_delay_alu instid0(VALU_DEP_2) | instskip(NEXT) | instid1(VALU_DEP_2)
	v_lshlrev_b64 v[3:4], 1, v[3:4]
	v_lshlrev_b64 v[1:2], 1, v[5:6]
	s_delay_alu instid0(VALU_DEP_2) | instskip(NEXT) | instid1(VALU_DEP_3)
	v_add_co_u32 v3, vcc_lo, s15, v3
	v_add_co_ci_u32_e32 v4, vcc_lo, s19, v4, vcc_lo
	s_delay_alu instid0(VALU_DEP_3) | instskip(NEXT) | instid1(VALU_DEP_4)
	v_add_co_u32 v1, vcc_lo, s15, v1
	v_add_co_ci_u32_e32 v2, vcc_lo, s19, v2, vcc_lo
	s_delay_alu instid0(VALU_DEP_4) | instskip(NEXT) | instid1(VALU_DEP_4)
	v_add_co_u32 v65, vcc_lo, v3, v73
	v_add_co_ci_u32_e32 v66, vcc_lo, v4, v74, vcc_lo
	s_delay_alu instid0(VALU_DEP_4) | instskip(NEXT) | instid1(VALU_DEP_4)
	v_add_co_u32 v67, vcc_lo, v1, v73
	v_add_co_ci_u32_e32 v68, vcc_lo, v2, v74, vcc_lo
	s_clause 0xf
	global_load_b128 v[1:4], v[65:66], off
	global_load_b128 v[5:8], v[65:66], off offset:512
	global_load_b128 v[9:12], v[67:68], off offset:256
	;; [unrolled: 1-line block ×15, first 2 shown]
	v_add_co_u32 v157, vcc_lo, 0x1000, v65
	v_add_co_ci_u32_e32 v158, vcc_lo, 0, v66, vcc_lo
	v_add_co_u32 v165, vcc_lo, 0x1000, v67
	v_add_co_ci_u32_e32 v166, vcc_lo, 0, v68, vcc_lo
	s_clause 0x7
	global_load_b128 v[81:84], v[157:158], off
	global_load_b128 v[85:88], v[157:158], off offset:512
	global_load_b128 v[89:92], v[165:166], off offset:256
	;; [unrolled: 1-line block ×7, first 2 shown]
	v_mul_lo_u16 v65, 0x56, v77
	s_or_b32 s15, s12, 0xe0
	s_delay_alu instid0(SALU_CYCLE_1) | instskip(SKIP_1) | instid1(VALU_DEP_1)
	s_ashr_i32 s19, s15, 5
	s_cmp_lt_i32 s15, s17
	v_lshrrev_b16 v65, 8, v65
	s_cselect_b32 s22, s19, s4
	s_delay_alu instid0(SALU_CYCLE_1) | instskip(NEXT) | instid1(VALU_DEP_1)
	s_ashr_i32 s23, s22, 31
	v_mul_lo_u16 v65, v65, 3
	s_lshl_b64 s[22:23], s[22:23], 2
	s_delay_alu instid0(SALU_CYCLE_1) | instskip(SKIP_1) | instid1(VALU_DEP_1)
	s_add_u32 s22, s13, s22
	s_addc_u32 s23, s16, s23
	v_sub_nc_u16 v65, v77, v65
	s_add_i32 s15, s12, 0x100
	s_delay_alu instid0(SALU_CYCLE_1) | instskip(SKIP_1) | instid1(VALU_DEP_1)
	s_ashr_i32 s19, s15, 5
	s_cmp_lt_i32 s15, s17
	v_and_b32_e32 v65, 0xff, v65
	s_cselect_b32 s28, s19, s4
	s_delay_alu instid0(SALU_CYCLE_1) | instskip(NEXT) | instid1(VALU_DEP_1)
	s_ashr_i32 s29, s28, 31
	v_lshlrev_b32_e32 v169, 6, v65
	ds_load_b128 v[65:68], v169
	ds_load_b128 v[69:72], v169 offset:1024
	s_clause 0x1
	global_load_b128 v[113:116], v[157:158], off offset:2048
	global_load_b128 v[117:120], v[157:158], off offset:2560
	ds_load_b128 v[129:132], v169 offset:2048
	ds_load_b128 v[133:136], v169 offset:3072
	s_clause 0x5
	global_load_b128 v[145:148], v[165:166], off offset:2304
	global_load_b128 v[149:152], v[165:166], off offset:2816
	;; [unrolled: 1-line block ×6, first 2 shown]
	s_lshl_b64 s[28:29], s[28:29], 2
	s_delay_alu instid0(SALU_CYCLE_1)
	s_add_u32 s28, s13, s28
	s_addc_u32 s29, s16, s29
	s_add_u32 s4, s10, s2
	s_addc_u32 s19, s11, s3
	s_lshl_b64 s[2:3], s[8:9], 1
	s_lshl_b64 s[8:9], s[20:21], 1
	s_lshl_b64 s[10:11], s[24:25], 1
	s_lshl_b64 s[20:21], s[26:27], 1
	s_waitcnt vmcnt(30) lgkmcnt(2)
	v_wmma_f32_16x16x16_f16 v[137:144], v[1:8], v[65:72], v[121:128]
	ds_load_b128 v[1:4], v169 offset:4096
	ds_load_b128 v[5:8], v169 offset:5120
	s_waitcnt vmcnt(28)
	v_wmma_f32_16x16x16_f16 v[121:128], v[9:16], v[65:72], v[121:128]
	ds_load_b128 v[9:12], v169 offset:6144
	ds_load_b128 v[13:16], v169 offset:7168
	s_waitcnt vmcnt(26) lgkmcnt(4)
	v_wmma_f32_16x16x16_f16 v[137:144], v[17:24], v[129:136], v[137:144]
	ds_load_b128 v[17:20], v169 offset:8192
	ds_load_b128 v[21:24], v169 offset:9216
	s_waitcnt vmcnt(24)
	v_wmma_f32_16x16x16_f16 v[121:128], v[25:32], v[129:136], v[121:128]
	v_lshl_or_b32 v25, v78, 10, v79
	ds_load_b128 v[129:132], v169 offset:10240
	ds_load_b128 v[133:136], v169 offset:11264
	s_clause 0x2
	s_load_b32 s15, s[6:7], 0x0
	s_load_b32 s13, s[22:23], 0x0
	;; [unrolled: 1-line block ×3, first 2 shown]
	s_mul_hi_i32 s7, s36, s5
	v_add_co_u32 v170, s4, s4, v25
	s_delay_alu instid0(VALU_DEP_1)
	v_add_co_ci_u32_e64 v171, null, s19, 0, s4
	s_mul_i32 s6, s36, s5
	s_mul_i32 s36, s38, s5
	s_lshl_b64 s[6:7], s[6:7], 1
	s_lshl_b64 s[22:23], s[36:37], 1
	s_waitcnt vmcnt(22) lgkmcnt(0)
	v_wmma_f32_16x16x16_f16 v[137:144], v[33:40], v[1:8], v[137:144]
	s_waitcnt vmcnt(20)
	v_wmma_f32_16x16x16_f16 v[121:128], v[41:48], v[1:8], v[121:128]
	v_add_co_u32 v1, vcc_lo, v170, s2
	v_add_co_ci_u32_e32 v2, vcc_lo, s3, v171, vcc_lo
	v_add_co_u32 v3, vcc_lo, v170, s8
	v_add_co_ci_u32_e32 v4, vcc_lo, s9, v171, vcc_lo
	;; [unrolled: 2-line block ×4, first 2 shown]
	v_add_co_u32 v25, vcc_lo, v170, s6
	s_mul_hi_i32 s25, s15, s5
	s_mul_i32 s24, s15, s5
	v_add_co_ci_u32_e32 v26, vcc_lo, s7, v171, vcc_lo
	v_add_co_u32 v27, vcc_lo, v170, s22
	s_lshl_b64 s[24:25], s[24:25], 1
	s_waitcnt vmcnt(18)
	v_wmma_f32_16x16x16_f16 v[137:144], v[49:56], v[9:16], v[137:144]
	s_waitcnt vmcnt(16)
	v_wmma_f32_16x16x16_f16 v[121:128], v[57:64], v[9:16], v[121:128]
	v_add_co_ci_u32_e32 v28, vcc_lo, s23, v171, vcc_lo
	s_mul_hi_i32 s3, s13, s5
	s_mul_i32 s2, s13, s5
	v_add_co_u32 v29, vcc_lo, v170, s24
	s_lshl_b64 s[2:3], s[2:3], 1
	v_add_co_ci_u32_e32 v30, vcc_lo, s25, v171, vcc_lo
	s_waitcnt vmcnt(14)
	v_wmma_f32_16x16x16_f16 v[137:144], v[81:88], v[17:24], v[137:144]
	s_waitcnt vmcnt(12)
	v_wmma_f32_16x16x16_f16 v[121:128], v[89:96], v[17:24], v[121:128]
	v_add_co_u32 v17, vcc_lo, v170, s2
	v_add_co_ci_u32_e32 v18, vcc_lo, s3, v171, vcc_lo
	s_mul_hi_i32 s3, s16, s5
	s_mul_i32 s2, s16, s5
	s_clause 0x5
	global_load_b128 v[65:68], v[1:2], off
	global_load_b128 v[69:72], v[1:2], off offset:16
	global_load_b128 v[57:60], v[3:4], off
	global_load_b128 v[61:64], v[3:4], off offset:16
	;; [unrolled: 2-line block ×3, first 2 shown]
	s_lshl_b64 s[2:3], s[2:3], 1
	s_clause 0x1
	global_load_b128 v[41:44], v[7:8], off
	global_load_b128 v[45:48], v[7:8], off offset:16
	v_add_co_u32 v21, vcc_lo, v170, s2
	v_add_co_ci_u32_e32 v22, vcc_lo, s3, v171, vcc_lo
	s_clause 0x9
	global_load_b128 v[9:12], v[25:26], off
	global_load_b128 v[13:16], v[25:26], off offset:16
	global_load_b128 v[1:4], v[27:28], off
	global_load_b128 v[5:8], v[27:28], off offset:16
	;; [unrolled: 2-line block ×5, first 2 shown]
	ds_load_b128 v[81:84], v169 offset:12288
	ds_load_b128 v[85:88], v169 offset:13312
	v_and_b32_e32 v89, 0xe0, v0
	s_waitcnt vmcnt(28)
	v_wmma_f32_16x16x16_f16 v[137:144], v[97:104], v[129:136], v[137:144]
	v_mbcnt_lo_u32_b32 v97, -1, 0
	s_waitcnt vmcnt(26)
	v_wmma_f32_16x16x16_f16 v[121:128], v[105:112], v[129:136], v[121:128]
	v_add_nc_u32_e32 v98, s12, v89
	ds_load_b128 v[89:92], v169 offset:14336
	ds_load_b128 v[93:96], v169 offset:15360
	v_xor_b32_e32 v99, 16, v97
	s_waitcnt vmcnt(0) lgkmcnt(0)
	s_barrier
	v_or_b32_e32 v98, v98, v75
	buffer_gl0_inv
	v_cmp_gt_i32_e32 vcc_lo, 32, v99
	v_or_b32_e32 v100, 4, v98
	v_or_b32_e32 v101, 22, v98
	;; [unrolled: 1-line block ×4, first 2 shown]
	v_wmma_f32_16x16x16_f16 v[137:144], v[113:120], v[81:88], v[137:144]
	v_wmma_f32_16x16x16_f16 v[121:128], v[145:152], v[81:88], v[121:128]
	v_or_b32_e32 v81, 6, v98
	v_or_b32_e32 v82, 8, v98
	;; [unrolled: 1-line block ×3, first 2 shown]
	v_cmp_gt_i32_e64 s3, s17, v100
	v_or_b32_e32 v84, 12, v98
	v_wmma_f32_16x16x16_f16 v[137:144], v[153:160], v[89:96], v[137:144]
	v_wmma_f32_16x16x16_f16 v[121:128], v[161:168], v[89:96], v[121:128]
	v_cndmask_b32_e32 v97, v97, v99, vcc_lo
	v_or_b32_e32 v99, 2, v98
	v_cmp_gt_i32_e32 vcc_lo, s17, v98
	v_dual_mul_f32 v95, s18, v138 :: v_dual_mul_f32 v96, s18, v137
	v_mul_f32_e32 v93, s18, v140
	s_delay_alu instid0(VALU_DEP_4)
	v_cmp_gt_i32_e64 s2, s17, v99
	v_mul_f32_e32 v94, s18, v139
	v_mul_f32_e32 v108, s18, v126
	v_cndmask_b32_e32 v96, 0xff7fffff, v96, vcc_lo
	v_cmp_gt_i32_e64 s4, s17, v81
	v_cndmask_b32_e64 v95, 0xff7fffff, v95, s2
	v_or_b32_e32 v85, 14, v98
	v_dual_mul_f32 v91, s18, v142 :: v_dual_mul_f32 v110, s18, v124
	v_mul_f32_e32 v92, s18, v141
	v_cndmask_b32_e64 v94, 0xff7fffff, v94, s3
	v_cndmask_b32_e64 v81, 0xff7fffff, v93, s4
	v_max3_f32 v93, v96, 0xff7fffff, v95
	v_cmp_gt_i32_e64 s5, s17, v82
	v_cmp_gt_i32_e64 s6, s17, v83
	v_or_b32_e32 v86, 16, v98
	v_or_b32_e32 v87, 18, v98
	v_dual_mul_f32 v89, s18, v144 :: v_dual_mul_f32 v112, s18, v122
	v_mul_f32_e32 v90, s18, v143
	v_cndmask_b32_e64 v82, 0xff7fffff, v92, s5
	v_cndmask_b32_e64 v83, 0xff7fffff, v91, s6
	v_max3_f32 v81, v93, v94, v81
	v_cmp_gt_i32_e64 s7, s17, v84
	v_cmp_gt_i32_e64 s8, s17, v85
	v_or_b32_e32 v88, 20, v98
	v_mul_f32_e32 v113, s18, v121
	v_max3_f32 v81, v81, v82, v83
	v_cndmask_b32_e64 v84, 0xff7fffff, v90, s7
	v_cndmask_b32_e64 v85, 0xff7fffff, v89, s8
	v_cmp_gt_i32_e64 s9, s17, v86
	v_cmp_gt_i32_e64 s10, s17, v87
	v_mul_f32_e32 v111, s18, v123
	v_cmp_gt_i32_e64 s11, s17, v88
	v_max3_f32 v81, v81, v84, v85
	v_cndmask_b32_e64 v82, 0xff7fffff, v113, s9
	v_cndmask_b32_e64 v83, 0xff7fffff, v112, s10
	v_cmp_gt_i32_e64 s12, s17, v101
	v_or_b32_e32 v104, 28, v98
	v_or_b32_e32 v105, 30, v98
	v_mul_f32_e32 v109, s18, v125
	v_cndmask_b32_e64 v84, 0xff7fffff, v111, s11
	v_cndmask_b32_e64 v85, 0xff7fffff, v110, s12
	v_max3_f32 v81, v81, v82, v83
	v_cmp_gt_i32_e64 s13, s17, v102
	v_cmp_gt_i32_e64 s15, s17, v103
	v_dual_mul_f32 v106, s18, v128 :: v_dual_mul_f32 v107, s18, v127
	s_delay_alu instid0(VALU_DEP_4) | instskip(NEXT) | instid1(VALU_DEP_4)
	v_max3_f32 v81, v81, v84, v85
	v_cndmask_b32_e64 v82, 0xff7fffff, v109, s13
	s_delay_alu instid0(VALU_DEP_4) | instskip(SKIP_2) | instid1(VALU_DEP_3)
	v_cndmask_b32_e64 v83, 0xff7fffff, v108, s15
	v_cmp_gt_i32_e64 s16, s17, v104
	v_cmp_gt_i32_e64 s17, s17, v105
	v_max3_f32 v81, v81, v82, v83
	s_delay_alu instid0(VALU_DEP_3) | instskip(NEXT) | instid1(VALU_DEP_3)
	v_cndmask_b32_e64 v84, 0xff7fffff, v107, s16
	v_cndmask_b32_e64 v85, 0xff7fffff, v106, s17
	v_lshlrev_b32_e32 v83, 2, v97
	s_delay_alu instid0(VALU_DEP_2) | instskip(SKIP_3) | instid1(VALU_DEP_1)
	v_max3_f32 v81, v81, v84, v85
	ds_bpermute_b32 v82, v83, v81
	s_waitcnt lgkmcnt(0)
	v_max_f32_e32 v82, v82, v82
	v_max_f32_e32 v81, v81, v82
	s_delay_alu instid0(VALU_DEP_1)
	v_fma_f32 v82, s18, v137, -v81
	v_fma_f32 v84, s18, v138, -v81
	;; [unrolled: 1-line block ×5, first 2 shown]
	v_mul_f32_e32 v82, 0x3fb8aa3b, v82
	s_delay_alu instid0(VALU_DEP_4) | instskip(NEXT) | instid1(VALU_DEP_3)
	v_dual_mul_f32 v84, 0x3fb8aa3b, v84 :: v_dual_mul_f32 v89, 0x3fb8aa3b, v87
	v_mul_f32_e32 v86, 0x3fb8aa3b, v86
	s_delay_alu instid0(VALU_DEP_3) | instskip(NEXT) | instid1(VALU_DEP_2)
	v_exp_f32_e32 v82, v82
	v_exp_f32_e32 v84, v84
	s_delay_alu instid0(VALU_DEP_2) | instskip(NEXT) | instid1(VALU_DEP_1)
	v_exp_f32_e32 v92, v89
	v_exp_f32_e32 v86, v86
	v_cndmask_b32_e32 v88, 0, v82, vcc_lo
	s_delay_alu instid0(TRANS32_DEP_3)
	v_cndmask_b32_e64 v87, 0, v84, s2
	s_waitcnt_depctr 0xfff
	v_cndmask_b32_e64 v92, 0, v92, s5
	v_cmp_gt_u32_e64 s2, 16, v80
	v_cndmask_b32_e64 v89, 0, v86, s4
	v_add_f32_e32 v84, 0, v88
	s_delay_alu instid0(VALU_DEP_1) | instskip(NEXT) | instid1(VALU_DEP_1)
	v_dual_add_f32 v84, v84, v87 :: v_dual_mul_f32 v85, 0x3fb8aa3b, v85
	v_exp_f32_e32 v85, v85
	s_waitcnt_depctr 0xfff
	v_cndmask_b32_e64 v90, 0, v85, s3
	s_delay_alu instid0(VALU_DEP_1) | instskip(NEXT) | instid1(VALU_DEP_1)
	v_add_f32_e32 v84, v84, v90
	v_add_f32_e32 v84, v84, v89
	v_fma_f32 v82, s18, v142, -v81
	v_fma_f32 v91, s18, v143, -v81
	;; [unrolled: 1-line block ×5, first 2 shown]
	s_delay_alu instid0(VALU_DEP_4) | instskip(SKIP_1) | instid1(VALU_DEP_4)
	v_dual_mul_f32 v82, 0x3fb8aa3b, v82 :: v_dual_mul_f32 v91, 0x3fb8aa3b, v91
	v_fma_f32 v96, s18, v124, -v81
	v_mul_f32_e32 v86, 0x3fb8aa3b, v86
	v_fma_f32 v99, s18, v127, -v81
	s_delay_alu instid0(VALU_DEP_4) | instskip(SKIP_3) | instid1(VALU_DEP_1)
	v_exp_f32_e32 v82, v82
	v_exp_f32_e32 v93, v91
	v_mul_f32_e32 v97, 0x3fb8aa3b, v96
	v_exp_f32_e32 v86, v86
	v_exp_f32_e32 v97, v97
	v_cndmask_b32_e64 v91, 0, v82, s6
	v_dual_add_f32 v82, v84, v92 :: v_dual_mul_f32 v85, 0x3fb8aa3b, v85
	v_fma_f32 v84, s18, v123, -v81
	v_mul_f32_e32 v95, 0x3fb8aa3b, v94
	s_delay_alu instid0(TRANS32_DEP_3) | instskip(NEXT) | instid1(VALU_DEP_4)
	v_cndmask_b32_e64 v94, 0, v93, s7
	v_add_f32_e32 v82, v82, v91
	v_exp_f32_e32 v85, v85
	v_mul_f32_e32 v84, 0x3fb8aa3b, v84
	v_cndmask_b32_e64 v96, 0, v86, s9
	v_exp_f32_e32 v95, v95
	v_add_f32_e32 v82, v82, v94
	v_fma_f32 v86, s18, v126, -v81
	v_exp_f32_e32 v84, v84
	v_cndmask_b32_e64 v97, 0, v97, s12
	s_delay_alu instid0(TRANS32_DEP_3) | instskip(SKIP_2) | instid1(TRANS32_DEP_2)
	v_cndmask_b32_e64 v93, 0, v85, s8
	v_fma_f32 v85, s18, v125, -v81
	v_mul_f32_e32 v86, 0x3fb8aa3b, v86
	v_cndmask_b32_e64 v95, 0, v95, s10
	s_waitcnt_depctr 0xfff
	v_cndmask_b32_e64 v98, 0, v84, s11
	v_mul_f32_e32 v84, 0x3fb8aa3b, v99
	v_fma_f32 v99, s18, v128, -v81
	v_add_f32_e32 v82, v82, v93
	v_mul_f32_e32 v85, 0x3fb8aa3b, v85
	v_exp_f32_e32 v86, v86
	v_exp_f32_e32 v84, v84
	s_delay_alu instid0(VALU_DEP_1)
	v_exp_f32_e32 v85, v85
	s_waitcnt_depctr 0xfff
	v_cndmask_b32_e64 v102, 0, v84, s16
	v_cndmask_b32_e64 v100, 0, v85, s13
	v_dual_mul_f32 v85, 0x3fb8aa3b, v99 :: v_dual_add_f32 v82, v82, v96
	v_cndmask_b32_e64 v99, 0, v86, s15
	s_delay_alu instid0(VALU_DEP_2) | instskip(NEXT) | instid1(VALU_DEP_2)
	v_exp_f32_e32 v85, v85
	v_add_f32_e32 v82, v82, v95
	s_delay_alu instid0(VALU_DEP_1) | instskip(SKIP_3) | instid1(VALU_DEP_1)
	v_add_f32_e32 v82, v82, v98
	s_waitcnt_depctr 0xfff
	v_cndmask_b32_e64 v101, 0, v85, s17
	v_add_f32_e32 v82, v82, v97
	v_add_f32_e32 v82, v82, v100
	s_delay_alu instid0(VALU_DEP_1) | instskip(NEXT) | instid1(VALU_DEP_1)
	v_add_f32_e32 v82, v82, v99
	v_add_f32_e32 v82, v82, v102
	s_delay_alu instid0(VALU_DEP_1)
	v_add_f32_e32 v82, v82, v101
	ds_bpermute_b32 v83, v83, v82
	s_and_saveexec_b32 s3, s2
	s_cbranch_execz .LBB324_14
; %bb.13:
	v_mul_u32_u24_e32 v80, 0x44, v78
	s_waitcnt lgkmcnt(0)
	v_add_f32_e32 v82, v82, v83
	s_delay_alu instid0(VALU_DEP_2) | instskip(NEXT) | instid1(VALU_DEP_1)
	v_lshl_add_u32 v80, v77, 2, v80
	v_add_nc_u32_e32 v80, 0x4000, v80
	ds_store_2addr_b32 v80, v81, v82 offset1:136
.LBB324_14:
	s_or_b32 exec_lo, exec_lo, s3
	v_lshlrev_b32_e32 v80, 2, v77
	s_load_b32 s35, s[0:1], 0x94
	s_waitcnt lgkmcnt(0)
	s_barrier
	buffer_gl0_inv
	v_add_nc_u32_e32 v84, 0x4000, v80
	v_cmp_eq_u32_e32 vcc_lo, 1, v78
	v_cmp_eq_u32_e64 s3, 2, v78
	v_cmp_eq_u32_e64 s4, 3, v78
	;; [unrolled: 1-line block ×3, first 2 shown]
	ds_load_2addr_b32 v[80:81], v84 offset1:17
	ds_load_2addr_b32 v[82:83], v84 offset0:34 offset1:51
	ds_load_2addr_b32 v[103:104], v84 offset0:68 offset1:85
	;; [unrolled: 1-line block ×3, first 2 shown]
	v_cmp_eq_u32_e64 s6, 7, v78
	s_waitcnt lgkmcnt(3)
	v_max3_f32 v85, v80, 0xff7fffff, v81
	s_waitcnt lgkmcnt(2)
	s_delay_alu instid0(VALU_DEP_1) | instskip(SKIP_1) | instid1(VALU_DEP_1)
	v_max3_f32 v85, v85, v82, v83
	s_waitcnt lgkmcnt(1)
	v_max3_f32 v85, v85, v103, v104
	s_waitcnt lgkmcnt(0)
	s_delay_alu instid0(VALU_DEP_1) | instskip(NEXT) | instid1(VALU_DEP_1)
	v_max3_f32 v85, v85, v105, v106
	v_sub_f32_e32 v103, v103, v85
	ds_load_2addr_b32 v[107:108], v84 offset0:136 offset1:153
	v_sub_f32_e32 v80, v80, v85
	v_dual_sub_f32 v110, v83, v85 :: v_dual_mul_f32 v113, 0x3fb8aa3b, v103
	s_delay_alu instid0(VALU_DEP_2) | instskip(SKIP_3) | instid1(VALU_DEP_1)
	v_dual_sub_f32 v86, v81, v85 :: v_dual_mul_f32 v109, 0x3fb8aa3b, v80
	ds_load_2addr_b32 v[80:81], v84 offset0:170 offset1:187
	v_mul_f32_e32 v86, 0x3fb8aa3b, v86
	v_exp_f32_e32 v109, v109
	v_exp_f32_e32 v112, v86
	v_mul_f32_e32 v110, 0x3fb8aa3b, v110
	s_waitcnt lgkmcnt(1)
	s_waitcnt_depctr 0xfff
	v_fma_f32 v86, v109, v107, 0
	v_sub_f32_e32 v107, v104, v85
	v_sub_f32_e32 v82, v82, v85
	v_exp_f32_e32 v110, v110
	ds_load_2addr_b32 v[103:104], v84 offset0:238 offset1:255
	v_dual_fmac_f32 v86, v112, v108 :: v_dual_mul_f32 v111, 0x3fb8aa3b, v82
	ds_load_2addr_b32 v[82:83], v84 offset0:204 offset1:221
	v_dual_sub_f32 v84, v105, v85 :: v_dual_mul_f32 v105, 0x3fb8aa3b, v107
	v_exp_f32_e32 v107, v113
	v_exp_f32_e32 v111, v111
	s_waitcnt lgkmcnt(0)
	s_delay_alu instid0(VALU_DEP_1)
	v_mul_f32_e32 v84, 0x3fb8aa3b, v84
	v_exp_f32_e32 v105, v105
	s_barrier
	buffer_gl0_inv
	v_fmac_f32_e32 v86, v111, v80
	v_sub_f32_e32 v80, v106, v85
	v_exp_f32_e32 v106, v84
	s_delay_alu instid0(VALU_DEP_2) | instskip(NEXT) | instid1(VALU_DEP_2)
	v_fmac_f32_e32 v86, v110, v81
	v_mul_f32_e32 v80, 0x3fb8aa3b, v80
	s_delay_alu instid0(VALU_DEP_2) | instskip(NEXT) | instid1(VALU_DEP_2)
	v_dual_cndmask_b32 v81, v109, v112 :: v_dual_fmac_f32 v86, v107, v82
	v_exp_f32_e32 v108, v80
	s_delay_alu instid0(VALU_DEP_1) | instskip(SKIP_2) | instid1(VALU_DEP_1)
	v_fmac_f32_e32 v86, v105, v83
	s_waitcnt_depctr 0xfff
	v_fmac_f32_e32 v86, v106, v103
	v_fmac_f32_e32 v86, v108, v104
	s_delay_alu instid0(VALU_DEP_1) | instskip(NEXT) | instid1(VALU_DEP_1)
	v_add_f32_e32 v103, 0x358637bd, v86
	v_div_scale_f32 v104, null, v103, v103, 1.0
	v_div_scale_f32 v109, vcc_lo, 1.0, v103, 1.0
	s_delay_alu instid0(VALU_DEP_2) | instskip(SKIP_2) | instid1(VALU_DEP_1)
	v_rcp_f32_e32 v113, v104
	s_waitcnt_depctr 0xfff
	v_fma_f32 v80, -v104, v113, 1.0
	v_fmac_f32_e32 v113, v80, v113
	v_cndmask_b32_e64 v80, v81, v111, s3
	v_cmp_eq_u32_e64 s3, 4, v78
	v_lshl_or_b32 v81, v78, 11, v79
	s_delay_alu instid0(VALU_DEP_4) | instskip(NEXT) | instid1(VALU_DEP_4)
	v_mul_f32_e32 v111, v109, v113
	v_cndmask_b32_e64 v82, v80, v110, s4
	v_cmp_eq_u32_e64 s4, 6, v78
	s_delay_alu instid0(VALU_DEP_4) | instskip(SKIP_3) | instid1(VALU_DEP_3)
	v_lshl_or_b32 v78, v75, 4, v81
	v_lshlrev_b32_e32 v80, 2, v75
	v_fma_f32 v83, -v104, v111, v109
	v_cndmask_b32_e64 v84, v82, v107, s3
	v_or_b32_e32 v82, 1, v80
	s_delay_alu instid0(VALU_DEP_3) | instskip(NEXT) | instid1(VALU_DEP_3)
	v_fmac_f32_e32 v111, v83, v113
	v_cndmask_b32_e64 v105, v84, v105, s5
	v_or_b32_e32 v84, 2, v80
	v_or_b32_e32 v83, 3, v80
	v_cmp_eq_u32_e64 s3, 1, v80
	v_fma_f32 v104, -v104, v111, v109
	v_cndmask_b32_e64 v105, v105, v106, s4
	v_cmp_eq_u32_e64 s9, 1, v82
	v_cmp_eq_u32_e64 s10, 1, v84
	;; [unrolled: 1-line block ×3, first 2 shown]
	v_div_fmas_f32 v104, v104, v113, v111
	v_cndmask_b32_e64 v105, v105, v108, s6
	v_cmp_eq_u32_e32 vcc_lo, 2, v80
	v_cmp_eq_u32_e64 s12, 2, v82
	v_cmp_eq_u32_e64 s15, 2, v84
	v_div_fixup_f32 v103, v104, v103, 1.0
	v_cmp_eq_u32_e64 s16, 2, v83
	v_cmp_eq_u32_e64 s18, 3, v83
	;; [unrolled: 1-line block ×4, first 2 shown]
	v_mul_f32_e32 v111, v105, v103
	v_cmp_eq_u32_e64 s17, 3, v84
	v_cmp_eq_u32_e64 s22, 4, v83
	;; [unrolled: 1-line block ×4, first 2 shown]
	v_fma_mixlo_f16 v103, v111, v88, 0
	v_fma_mixlo_f16 v104, v111, v90, 0
	;; [unrolled: 1-line block ×8, first 2 shown]
	v_fma_mixhi_f16 v103, v111, v87, 0
	v_fma_mixhi_f16 v104, v111, v89, 0
	;; [unrolled: 1-line block ×8, first 2 shown]
	ds_store_b128 v78, v[103:106]
	ds_store_b128 v78, v[107:110] offset:1024
	s_waitcnt lgkmcnt(0)
	s_barrier
	buffer_gl0_inv
	ds_load_b128 v[87:90], v81
	ds_load_b128 v[91:94], v81 offset:16
	ds_load_b128 v[95:98], v81 offset:1024
	;; [unrolled: 1-line block ×3, first 2 shown]
	v_cmp_eq_u32_e64 s21, 4, v84
	v_cmp_eq_u32_e64 s24, 5, v83
	;; [unrolled: 1-line block ×13, first 2 shown]
	s_waitcnt lgkmcnt(3)
	v_lshrrev_b32_e32 v103, 16, v87
	s_waitcnt lgkmcnt(2)
	v_lshrrev_b32_e32 v107, 16, v91
	;; [unrolled: 2-line block ×4, first 2 shown]
	v_lshrrev_b32_e32 v104, 16, v88
	v_cndmask_b32_e64 v119, v87, v103, s3
	v_cndmask_b32_e64 v120, v91, v107, s3
	;; [unrolled: 1-line block ×8, first 2 shown]
	v_lshrrev_b32_e32 v108, 16, v92
	v_cndmask_b32_e64 v103, v95, v111, s3
	v_cndmask_b32_e64 v107, v99, v115, s3
	;; [unrolled: 1-line block ×5, first 2 shown]
	v_cndmask_b32_e32 v111, v119, v88, vcc_lo
	v_cndmask_b32_e64 v119, v121, v88, s12
	v_cndmask_b32_e64 v121, v123, v88, s15
	;; [unrolled: 1-line block ×4, first 2 shown]
	v_lshrrev_b32_e32 v112, 16, v96
	v_lshrrev_b32_e32 v116, 16, v100
	v_cndmask_b32_e64 v126, v99, v115, s9
	v_cndmask_b32_e64 v128, v99, v115, s10
	;; [unrolled: 1-line block ×3, first 2 shown]
	v_cndmask_b32_e32 v115, v120, v92, vcc_lo
	v_cndmask_b32_e64 v120, v122, v92, s12
	v_cndmask_b32_e64 v122, v124, v92, s15
	v_cndmask_b32_e32 v91, v103, v96, vcc_lo
	v_cndmask_b32_e32 v92, v107, v100, vcc_lo
	v_cndmask_b32_e64 v103, v125, v96, s12
	v_cndmask_b32_e64 v87, v87, v104, s18
	;; [unrolled: 1-line block ×3, first 2 shown]
	v_lshrrev_b32_e32 v105, 16, v89
	v_lshrrev_b32_e32 v109, 16, v93
	v_cndmask_b32_e64 v107, v127, v96, s15
	v_cndmask_b32_e64 v95, v95, v96, s16
	v_cndmask_b32_e64 v96, v99, v100, s16
	v_cndmask_b32_e64 v99, v111, v104, s4
	v_cndmask_b32_e64 v111, v115, v108, s4
	v_cndmask_b32_e64 v115, v119, v104, s13
	v_cndmask_b32_e64 v119, v120, v108, s13
	v_cndmask_b32_e64 v120, v121, v104, s17
	v_cndmask_b32_e64 v121, v122, v108, s17
	v_cndmask_b32_e64 v91, v91, v112, s4
	v_cndmask_b32_e64 v92, v92, v116, s4
	v_cndmask_b32_e64 v103, v103, v112, s13
	v_cndmask_b32_e64 v87, v87, v89, s22
	v_cndmask_b32_e64 v88, v88, v93, s22
	v_lshrrev_b32_e32 v113, 16, v97
	v_cndmask_b32_e64 v99, v99, v89, s5
	v_cndmask_b32_e64 v104, v111, v93, s5
	;; [unrolled: 1-line block ×11, first 2 shown]
	v_lshrrev_b32_e32 v106, 16, v90
	v_lshrrev_b32_e32 v110, 16, v94
	v_cndmask_b32_e64 v93, v99, v105, s6
	v_cndmask_b32_e64 v99, v104, v109, s6
	;; [unrolled: 1-line block ×9, first 2 shown]
	v_lshrrev_b32_e32 v114, 16, v98
	v_cndmask_b32_e64 v89, v89, v113, s6
	v_cndmask_b32_e64 v93, v93, v90, s7
	;; [unrolled: 1-line block ×19, first 2 shown]
	v_perm_b32 v90, v88, v87, 0x5040100
	v_cndmask_b32_e64 v87, v126, v100, s12
	v_cndmask_b32_e64 v105, v89, v114, s8
	v_perm_b32 v89, v103, v99, 0x5040100
	v_perm_b32 v88, v104, v94, 0x5040100
	v_cndmask_b32_e64 v94, v107, v112, s17
	v_cndmask_b32_e64 v95, v95, v112, s18
	;; [unrolled: 1-line block ×5, first 2 shown]
	v_lshrrev_b32_e32 v117, 16, v101
	v_cndmask_b32_e64 v94, v94, v97, s21
	v_cndmask_b32_e64 v95, v95, v97, s22
	;; [unrolled: 1-line block ×11, first 2 shown]
	v_lshrrev_b32_e32 v118, 16, v102
	v_cndmask_b32_e64 v91, v91, v102, s7
	v_cndmask_b32_e64 v94, v94, v98, s26
	;; [unrolled: 1-line block ×12, first 2 shown]
	v_perm_b32 v87, v93, v92, 0x5040100
	v_perm_b32 v94, v95, v94, 0x5040100
	;; [unrolled: 1-line block ×5, first 2 shown]
	s_mul_i32 s7, s33, 3
	s_mov_b32 s3, exec_lo
	ds_store_b128 v78, v[87:90]
	ds_store_b128 v78, v[91:94] offset:1024
	v_cmpx_gt_u32_e32 3, v0
	s_cbranch_execz .LBB324_16
; %bb.15:
	s_mul_i32 s4, s7, s34
	s_load_b128 s[8:11], s[0:1], 0x58
	v_add3_u32 v77, s4, s31, v77
	s_delay_alu instid0(VALU_DEP_1) | instskip(NEXT) | instid1(VALU_DEP_1)
	v_mad_u64_u32 v[87:88], null, v77, s35, s[14:15]
	v_ashrrev_i32_e32 v88, 31, v87
	s_delay_alu instid0(VALU_DEP_1) | instskip(SKIP_1) | instid1(VALU_DEP_1)
	v_lshlrev_b64 v[87:88], 2, v[87:88]
	s_waitcnt lgkmcnt(0)
	v_add_co_u32 v89, vcc_lo, s10, v87
	s_delay_alu instid0(VALU_DEP_2)
	v_add_co_ci_u32_e32 v90, vcc_lo, s11, v88, vcc_lo
	v_add_co_u32 v87, vcc_lo, s8, v87
	v_add_co_ci_u32_e32 v88, vcc_lo, s9, v88, vcc_lo
	global_store_b32 v[89:90], v85, off
	global_store_b32 v[87:88], v86, off
.LBB324_16:
	s_or_b32 exec_lo, exec_lo, s3
	s_waitcnt lgkmcnt(0)
	s_waitcnt_vscnt null, 0x0
	s_barrier
	buffer_gl0_inv
	ds_load_b128 v[93:96], v79
	ds_load_b128 v[97:100], v79 offset:16
	ds_load_b128 v[105:108], v79 offset:1040
	ds_load_b128 v[101:104], v79 offset:1024
	ds_load_b128 v[113:116], v79 offset:2064
	ds_load_b128 v[109:112], v79 offset:2048
	v_cmp_eq_u32_e32 vcc_lo, 1, v84
	v_mov_b32_e32 v85, 0
	ds_load_b128 v[121:124], v79 offset:3088
	ds_load_b128 v[117:120], v79 offset:3072
	ds_load_b128 v[129:132], v79 offset:4112
	ds_load_b128 v[125:128], v79 offset:4096
	v_cmp_eq_u32_e64 s3, 1, v80
	v_cmp_eq_u32_e64 s4, 1, v83
	;; [unrolled: 1-line block ×3, first 2 shown]
	v_mov_b32_e32 v86, v85
	v_mov_b32_e32 v87, v85
	;; [unrolled: 1-line block ×7, first 2 shown]
	v_cmp_eq_u32_e64 s6, 2, v80
	s_waitcnt lgkmcnt(8)
	s_delay_alu instid0(VALU_DEP_2)
	v_wmma_f32_16x16x16_f16 v[85:92], v[65:72], v[93:100], v[85:92]
	ds_load_b128 v[69:72], v79 offset:5136
	ds_load_b128 v[65:68], v79 offset:5120
	;; [unrolled: 1-line block ×4, first 2 shown]
	s_waitcnt lgkmcnt(10)
	v_wmma_f32_16x16x16_f16 v[85:92], v[57:64], v[101:108], v[85:92]
	s_waitcnt lgkmcnt(8)
	s_delay_alu instid0(VALU_DEP_1)
	v_wmma_f32_16x16x16_f16 v[85:92], v[57:64], v[109:116], v[85:92]
	ds_load_b128 v[61:64], v79 offset:7184
	ds_load_b128 v[57:60], v79 offset:7168
	;; [unrolled: 1-line block ×4, first 2 shown]
	s_waitcnt lgkmcnt(10)
	v_wmma_f32_16x16x16_f16 v[85:92], v[49:56], v[117:124], v[85:92]
	s_waitcnt lgkmcnt(8)
	s_delay_alu instid0(VALU_DEP_1)
	v_wmma_f32_16x16x16_f16 v[85:92], v[49:56], v[125:132], v[85:92]
	ds_load_b128 v[53:56], v79 offset:9232
	ds_load_b128 v[49:52], v79 offset:9216
	s_waitcnt lgkmcnt(8)
	v_wmma_f32_16x16x16_f16 v[85:92], v[41:48], v[65:72], v[85:92]
	ds_load_b128 v[69:72], v79 offset:10256
	ds_load_b128 v[65:68], v79 offset:10240
	s_waitcnt lgkmcnt(8)
	;; [unrolled: 4-line block ×7, first 2 shown]
	s_barrier
	buffer_gl0_inv
	v_wmma_f32_16x16x16_f16 v[85:92], v[33:40], v[41:48], v[85:92]
	s_delay_alu instid0(VALU_DEP_1) | instskip(NEXT) | instid1(VALU_DEP_1)
	v_wmma_f32_16x16x16_f16 v[85:92], v[33:40], v[57:64], v[85:92]
	v_wmma_f32_16x16x16_f16 v[85:92], v[25:32], v[9:16], v[85:92]
	s_delay_alu instid0(VALU_DEP_1) | instskip(NEXT) | instid1(VALU_DEP_1)
	v_wmma_f32_16x16x16_f16 v[85:92], v[25:32], v[49:56], v[85:92]
	v_wmma_f32_16x16x16_f16 v[85:92], v[17:24], v[1:8], v[85:92]
	s_delay_alu instid0(VALU_DEP_1) | instskip(NEXT) | instid1(VALU_DEP_2)
	v_cvt_f16_f32_e32 v1, v85
	v_cvt_f16_f32_e32 v2, v86
	s_delay_alu instid0(VALU_DEP_3) | instskip(NEXT) | instid1(VALU_DEP_4)
	v_cvt_f16_f32_e32 v3, v87
	v_cvt_f16_f32_e32 v4, v88
	;; [unrolled: 1-line block ×6, first 2 shown]
	v_pack_b32_f16 v1, v1, v2
	v_pack_b32_f16 v2, v3, v4
	;; [unrolled: 1-line block ×3, first 2 shown]
	s_delay_alu instid0(VALU_DEP_4)
	v_pack_b32_f16 v4, v7, v8
	ds_store_b128 v78, v[1:4]
	s_waitcnt lgkmcnt(0)
	s_barrier
	buffer_gl0_inv
	ds_load_b128 v[1:4], v81
	ds_load_b128 v[5:8], v81 offset:16
	s_waitcnt lgkmcnt(1)
	v_lshrrev_b32_e32 v9, 16, v1
	s_waitcnt lgkmcnt(0)
	v_lshrrev_b32_e32 v13, 16, v5
	v_lshrrev_b32_e32 v15, 16, v7
	;; [unrolled: 1-line block ×4, first 2 shown]
	v_cndmask_b32_e64 v17, v1, v9, s3
	v_cndmask_b32_e64 v18, v5, v13, s3
	;; [unrolled: 1-line block ×3, first 2 shown]
	v_cmp_eq_u32_e64 s3, 2, v82
	v_cndmask_b32_e64 v20, v5, v13, s5
	v_cndmask_b32_e32 v21, v1, v9, vcc_lo
	v_cndmask_b32_e32 v22, v5, v13, vcc_lo
	v_cndmask_b32_e64 v1, v1, v9, s4
	v_cndmask_b32_e64 v5, v5, v13, s4
	v_cmp_eq_u32_e32 vcc_lo, 2, v84
	v_cmp_eq_u32_e64 s4, 2, v83
	v_cndmask_b32_e64 v9, v17, v2, s6
	v_cndmask_b32_e64 v13, v18, v6, s6
	;; [unrolled: 1-line block ×4, first 2 shown]
	v_cndmask_b32_e32 v19, v21, v2, vcc_lo
	v_cmp_eq_u32_e64 s3, 3, v84
	v_cndmask_b32_e32 v20, v22, v6, vcc_lo
	v_cndmask_b32_e64 v1, v1, v2, s4
	v_cmp_eq_u32_e32 vcc_lo, 3, v83
	v_cmp_eq_u32_e64 s5, 3, v80
	v_cndmask_b32_e64 v2, v5, v6, s4
	v_cmp_eq_u32_e64 s4, 3, v82
	v_lshrrev_b32_e32 v16, 16, v8
	v_cmp_eq_u32_e64 s6, 4, v80
	v_cndmask_b32_e64 v5, v9, v10, s5
	v_cndmask_b32_e64 v6, v13, v14, s5
	;; [unrolled: 1-line block ×3, first 2 shown]
	v_cmp_eq_u32_e64 s5, 4, v82
	v_cndmask_b32_e64 v13, v18, v14, s4
	v_cndmask_b32_e64 v17, v19, v10, s3
	;; [unrolled: 1-line block ×3, first 2 shown]
	v_cndmask_b32_e32 v1, v1, v10, vcc_lo
	v_cndmask_b32_e32 v2, v2, v14, vcc_lo
	v_cmp_eq_u32_e32 vcc_lo, 4, v84
	v_cmp_eq_u32_e64 s4, 4, v83
	v_lshrrev_b32_e32 v11, 16, v3
	v_cndmask_b32_e64 v5, v5, v3, s6
	v_cndmask_b32_e64 v6, v6, v7, s6
	;; [unrolled: 1-line block ×4, first 2 shown]
	v_cndmask_b32_e32 v13, v17, v3, vcc_lo
	v_cmp_eq_u32_e64 s3, 5, v84
	v_cndmask_b32_e32 v14, v18, v7, vcc_lo
	v_cndmask_b32_e64 v1, v1, v3, s4
	v_cmp_eq_u32_e32 vcc_lo, 5, v83
	v_cmp_eq_u32_e64 s5, 5, v80
	v_cndmask_b32_e64 v2, v2, v7, s4
	v_cmp_eq_u32_e64 s4, 5, v82
	v_cmp_eq_u32_e64 s6, 6, v80
	v_cndmask_b32_e32 v1, v1, v11, vcc_lo
	v_cndmask_b32_e64 v3, v5, v11, s5
	v_cndmask_b32_e64 v5, v6, v15, s5
	;; [unrolled: 1-line block ×3, first 2 shown]
	v_cmp_eq_u32_e64 s5, 6, v82
	v_cndmask_b32_e64 v7, v10, v15, s4
	v_cndmask_b32_e64 v9, v13, v11, s3
	;; [unrolled: 1-line block ×3, first 2 shown]
	v_cndmask_b32_e32 v2, v2, v15, vcc_lo
	v_cmp_eq_u32_e32 vcc_lo, 6, v84
	v_cmp_eq_u32_e64 s3, 6, v83
	v_lshrrev_b32_e32 v12, 16, v4
	v_cndmask_b32_e64 v3, v3, v4, s6
	v_cndmask_b32_e64 v5, v5, v8, s6
	;; [unrolled: 1-line block ×4, first 2 shown]
	v_cndmask_b32_e32 v9, v9, v4, vcc_lo
	v_cmp_eq_u32_e64 s4, 7, v84
	v_cndmask_b32_e32 v10, v10, v8, vcc_lo
	v_cndmask_b32_e64 v1, v1, v4, s3
	v_cmp_eq_u32_e32 vcc_lo, 7, v83
	v_cndmask_b32_e64 v2, v2, v8, s3
	v_cmp_eq_u32_e64 s3, 7, v80
	v_cmp_eq_u32_e64 s5, 7, v82
	v_cndmask_b32_e32 v1, v1, v12, vcc_lo
	s_delay_alu instid0(VALU_DEP_4) | instskip(NEXT) | instid1(VALU_DEP_4)
	v_cndmask_b32_e32 v2, v2, v16, vcc_lo
	v_cndmask_b32_e64 v8, v3, v12, s3
	s_delay_alu instid0(VALU_DEP_4)
	v_cndmask_b32_e64 v6, v6, v12, s5
	v_cndmask_b32_e64 v3, v9, v12, s4
	;; [unrolled: 1-line block ×5, first 2 shown]
	v_perm_b32 v4, v2, v1, 0x5040100
	s_mov_b32 s3, exec_lo
	v_perm_b32 v3, v9, v3, 0x5040100
	v_perm_b32 v2, v7, v6, 0x5040100
	;; [unrolled: 1-line block ×3, first 2 shown]
	ds_store_b128 v78, v[1:4]
	s_waitcnt lgkmcnt(0)
	s_barrier
	buffer_gl0_inv
	v_cmpx_gt_u32_e32 32, v0
	s_cbranch_execz .LBB324_2
; %bb.17:
	s_load_b64 s[4:5], s[0:1], 0x68
	v_lshlrev_b32_e32 v0, 10, v0
	v_lshlrev_b32_e32 v2, 4, v76
	v_add_nc_u32_e32 v1, s31, v75
	s_lshl_b32 s0, s35, 7
	s_delay_alu instid0(SALU_CYCLE_1) | instskip(NEXT) | instid1(VALU_DEP_2)
	s_mul_i32 s1, s0, s34
	v_and_or_b32 v0, 0x3800, v0, v2
	s_mul_i32 s6, s1, s7
	v_mul_lo_u32 v1, v1, s0
	s_ashr_i32 s7, s6, 31
	s_delay_alu instid0(VALU_DEP_2) | instskip(SKIP_1) | instid1(VALU_DEP_2)
	v_lshl_or_b32 v3, v75, 6, v0
	s_lshl_b64 s[6:7], s[6:7], 1
	v_ashrrev_i32_e32 v2, 31, v1
	ds_load_b128 v[3:6], v3
	s_waitcnt lgkmcnt(0)
	s_add_u32 s1, s4, s6
	s_addc_u32 s3, s5, s7
	s_lshl_b32 s4, s14, 7
	v_lshlrev_b64 v[7:8], 1, v[1:2]
	s_ashr_i32 s5, s4, 31
	s_delay_alu instid0(SALU_CYCLE_1) | instskip(NEXT) | instid1(SALU_CYCLE_1)
	s_lshl_b64 s[4:5], s[4:5], 1
	s_add_u32 s1, s1, s4
	s_addc_u32 s3, s3, s5
	v_add_co_u32 v1, vcc_lo, s1, v73
	v_add_co_ci_u32_e32 v2, vcc_lo, s3, v74, vcc_lo
	s_delay_alu instid0(VALU_DEP_2) | instskip(NEXT) | instid1(VALU_DEP_2)
	v_add_co_u32 v7, vcc_lo, v1, v7
	v_add_co_ci_u32_e32 v8, vcc_lo, v2, v8, vcc_lo
	global_store_b128 v[7:8], v[3:6], off
	s_and_b32 exec_lo, exec_lo, s2
	s_cbranch_execz .LBB324_2
; %bb.18:
	ds_load_b128 v[3:6], v0 offset:128
	s_add_i32 s1, s31, 2
	s_delay_alu instid0(SALU_CYCLE_1) | instskip(NEXT) | instid1(SALU_CYCLE_1)
	s_mul_i32 s0, s1, s0
	s_ashr_i32 s1, s0, 31
	s_delay_alu instid0(SALU_CYCLE_1) | instskip(NEXT) | instid1(SALU_CYCLE_1)
	s_lshl_b64 s[0:1], s[0:1], 1
	v_add_co_u32 v0, vcc_lo, v1, s0
	v_add_co_ci_u32_e32 v1, vcc_lo, s1, v2, vcc_lo
	s_waitcnt lgkmcnt(0)
	global_store_b128 v[0:1], v[3:6], off
	s_nop 0
	s_sendmsg sendmsg(MSG_DEALLOC_VGPRS)
	s_endpgm
	.section	.rodata,"a",@progbits
	.p2align	6, 0x0
	.amdhsa_kernel _Z39paged_attention_ll4mi_QKV_mfma16_kernelIDF16_DF16_LN4vllm18Fp8KVCacheDataTypeE0EhLi32ELi128ELi256ELb1ELi3EL8MFMAType0EEvPKT_PKT0_S8_ifPKiSA_SA_iPKfiiiPfSD_PS3_PT2_iSC_SC_
		.amdhsa_group_segment_fixed_size 17472
		.amdhsa_private_segment_fixed_size 0
		.amdhsa_kernarg_size 400
		.amdhsa_user_sgpr_count 13
		.amdhsa_user_sgpr_dispatch_ptr 0
		.amdhsa_user_sgpr_queue_ptr 0
		.amdhsa_user_sgpr_kernarg_segment_ptr 1
		.amdhsa_user_sgpr_dispatch_id 0
		.amdhsa_user_sgpr_private_segment_size 0
		.amdhsa_wavefront_size32 1
		.amdhsa_uses_dynamic_stack 0
		.amdhsa_enable_private_segment 0
		.amdhsa_system_sgpr_workgroup_id_x 1
		.amdhsa_system_sgpr_workgroup_id_y 1
		.amdhsa_system_sgpr_workgroup_id_z 1
		.amdhsa_system_sgpr_workgroup_info 0
		.amdhsa_system_vgpr_workitem_id 0
		.amdhsa_next_free_vgpr 172
		.amdhsa_next_free_sgpr 39
		.amdhsa_reserve_vcc 1
		.amdhsa_float_round_mode_32 0
		.amdhsa_float_round_mode_16_64 0
		.amdhsa_float_denorm_mode_32 3
		.amdhsa_float_denorm_mode_16_64 3
		.amdhsa_dx10_clamp 1
		.amdhsa_ieee_mode 1
		.amdhsa_fp16_overflow 0
		.amdhsa_workgroup_processor_mode 1
		.amdhsa_memory_ordered 1
		.amdhsa_forward_progress 0
		.amdhsa_shared_vgpr_count 0
		.amdhsa_exception_fp_ieee_invalid_op 0
		.amdhsa_exception_fp_denorm_src 0
		.amdhsa_exception_fp_ieee_div_zero 0
		.amdhsa_exception_fp_ieee_overflow 0
		.amdhsa_exception_fp_ieee_underflow 0
		.amdhsa_exception_fp_ieee_inexact 0
		.amdhsa_exception_int_div_zero 0
	.end_amdhsa_kernel
	.section	.text._Z39paged_attention_ll4mi_QKV_mfma16_kernelIDF16_DF16_LN4vllm18Fp8KVCacheDataTypeE0EhLi32ELi128ELi256ELb1ELi3EL8MFMAType0EEvPKT_PKT0_S8_ifPKiSA_SA_iPKfiiiPfSD_PS3_PT2_iSC_SC_,"axG",@progbits,_Z39paged_attention_ll4mi_QKV_mfma16_kernelIDF16_DF16_LN4vllm18Fp8KVCacheDataTypeE0EhLi32ELi128ELi256ELb1ELi3EL8MFMAType0EEvPKT_PKT0_S8_ifPKiSA_SA_iPKfiiiPfSD_PS3_PT2_iSC_SC_,comdat
.Lfunc_end324:
	.size	_Z39paged_attention_ll4mi_QKV_mfma16_kernelIDF16_DF16_LN4vllm18Fp8KVCacheDataTypeE0EhLi32ELi128ELi256ELb1ELi3EL8MFMAType0EEvPKT_PKT0_S8_ifPKiSA_SA_iPKfiiiPfSD_PS3_PT2_iSC_SC_, .Lfunc_end324-_Z39paged_attention_ll4mi_QKV_mfma16_kernelIDF16_DF16_LN4vllm18Fp8KVCacheDataTypeE0EhLi32ELi128ELi256ELb1ELi3EL8MFMAType0EEvPKT_PKT0_S8_ifPKiSA_SA_iPKfiiiPfSD_PS3_PT2_iSC_SC_
                                        ; -- End function
	.section	.AMDGPU.csdata,"",@progbits
; Kernel info:
; codeLenInByte = 7460
; NumSgprs: 41
; NumVgprs: 172
; ScratchSize: 0
; MemoryBound: 0
; FloatMode: 240
; IeeeMode: 1
; LDSByteSize: 17472 bytes/workgroup (compile time only)
; SGPRBlocks: 5
; VGPRBlocks: 21
; NumSGPRsForWavesPerEU: 41
; NumVGPRsForWavesPerEU: 172
; Occupancy: 8
; WaveLimiterHint : 1
; COMPUTE_PGM_RSRC2:SCRATCH_EN: 0
; COMPUTE_PGM_RSRC2:USER_SGPR: 13
; COMPUTE_PGM_RSRC2:TRAP_HANDLER: 0
; COMPUTE_PGM_RSRC2:TGID_X_EN: 1
; COMPUTE_PGM_RSRC2:TGID_Y_EN: 1
; COMPUTE_PGM_RSRC2:TGID_Z_EN: 1
; COMPUTE_PGM_RSRC2:TIDIG_COMP_CNT: 0
	.section	.text._Z39paged_attention_ll4mi_QKV_mfma16_kernelIDF16_DF16_LN4vllm18Fp8KVCacheDataTypeE0EhLi32ELi128ELi256ELb1ELi4EL8MFMAType0EEvPKT_PKT0_S8_ifPKiSA_SA_iPKfiiiPfSD_PS3_PT2_iSC_SC_,"axG",@progbits,_Z39paged_attention_ll4mi_QKV_mfma16_kernelIDF16_DF16_LN4vllm18Fp8KVCacheDataTypeE0EhLi32ELi128ELi256ELb1ELi4EL8MFMAType0EEvPKT_PKT0_S8_ifPKiSA_SA_iPKfiiiPfSD_PS3_PT2_iSC_SC_,comdat
	.protected	_Z39paged_attention_ll4mi_QKV_mfma16_kernelIDF16_DF16_LN4vllm18Fp8KVCacheDataTypeE0EhLi32ELi128ELi256ELb1ELi4EL8MFMAType0EEvPKT_PKT0_S8_ifPKiSA_SA_iPKfiiiPfSD_PS3_PT2_iSC_SC_ ; -- Begin function _Z39paged_attention_ll4mi_QKV_mfma16_kernelIDF16_DF16_LN4vllm18Fp8KVCacheDataTypeE0EhLi32ELi128ELi256ELb1ELi4EL8MFMAType0EEvPKT_PKT0_S8_ifPKiSA_SA_iPKfiiiPfSD_PS3_PT2_iSC_SC_
	.globl	_Z39paged_attention_ll4mi_QKV_mfma16_kernelIDF16_DF16_LN4vllm18Fp8KVCacheDataTypeE0EhLi32ELi128ELi256ELb1ELi4EL8MFMAType0EEvPKT_PKT0_S8_ifPKiSA_SA_iPKfiiiPfSD_PS3_PT2_iSC_SC_
	.p2align	8
	.type	_Z39paged_attention_ll4mi_QKV_mfma16_kernelIDF16_DF16_LN4vllm18Fp8KVCacheDataTypeE0EhLi32ELi128ELi256ELb1ELi4EL8MFMAType0EEvPKT_PKT0_S8_ifPKiSA_SA_iPKfiiiPfSD_PS3_PT2_iSC_SC_,@function
_Z39paged_attention_ll4mi_QKV_mfma16_kernelIDF16_DF16_LN4vllm18Fp8KVCacheDataTypeE0EhLi32ELi128ELi256ELb1ELi4EL8MFMAType0EEvPKT_PKT0_S8_ifPKiSA_SA_iPKfiiiPfSD_PS3_PT2_iSC_SC_: ; @_Z39paged_attention_ll4mi_QKV_mfma16_kernelIDF16_DF16_LN4vllm18Fp8KVCacheDataTypeE0EhLi32ELi128ELi256ELb1ELi4EL8MFMAType0EEvPKT_PKT0_S8_ifPKiSA_SA_iPKfiiiPfSD_PS3_PT2_iSC_SC_
; %bb.0:
	s_load_b64 s[2:3], s[0:1], 0x30
	s_mov_b32 s30, s13
	s_waitcnt lgkmcnt(0)
	s_cmp_lg_u64 s[2:3], 0
	s_cselect_b32 s6, -1, 0
	s_ashr_i32 s31, s13, 31
	s_cmp_eq_u64 s[2:3], 0
	s_cbranch_scc1 .LBB325_3
; %bb.1:
	s_lshl_b64 s[4:5], s[30:31], 2
	s_delay_alu instid0(SALU_CYCLE_1) | instskip(SKIP_4) | instid1(SALU_CYCLE_1)
	s_add_u32 s4, s2, s4
	s_addc_u32 s5, s3, s5
	s_load_b64 s[4:5], s[4:5], 0x0
	s_waitcnt lgkmcnt(0)
	s_sub_i32 s4, s5, s4
	s_cmp_eq_u32 s4, 1
	s_cselect_b32 s4, -1, 0
	s_delay_alu instid0(SALU_CYCLE_1)
	s_and_not1_b32 vcc_lo, exec_lo, s4
	s_cbranch_vccz .LBB325_4
.LBB325_2:
	s_endpgm
.LBB325_3:
.LBB325_4:
	s_load_b64 s[8:9], s[0:1], 0x28
	s_lshl_b64 s[4:5], s[30:31], 2
	s_waitcnt lgkmcnt(0)
	s_add_u32 s8, s8, s4
	s_addc_u32 s9, s9, s5
	s_lshl_b32 s12, s14, 8
	s_load_b32 s17, s[8:9], 0x0
	s_waitcnt lgkmcnt(0)
	s_cmp_ge_i32 s12, s17
	s_cbranch_scc1 .LBB325_2
; %bb.5:
	s_and_not1_b32 vcc_lo, exec_lo, s6
	s_cbranch_vccnz .LBB325_7
; %bb.6:
	s_add_u32 s2, s2, s4
	s_addc_u32 s3, s3, s5
	s_load_b32 s13, s[2:3], 0x0
	s_branch .LBB325_8
.LBB325_7:
	s_mov_b32 s13, s30
.LBB325_8:
	s_clause 0x2
	s_load_b128 s[8:11], s[0:1], 0x8
	s_load_b64 s[2:3], s[0:1], 0x20
	s_load_b128 s[4:7], s[0:1], 0x48
	v_and_b32_e32 v78, 15, v0
	s_waitcnt lgkmcnt(0)
	s_mov_b32 s7, exec_lo
	s_delay_alu instid0(VALU_DEP_1)
	v_lshlrev_b32_e32 v1, 3, v78
	v_cmpx_lt_u32_e32 63, v0
	s_xor_b32 s7, exec_lo, s7
; %bb.9:
	v_mov_b32_e32 v2, 0
; %bb.10:
	s_or_saveexec_b32 s7, s7
	v_lshrrev_b32_e32 v77, 5, v0
	v_and_b32_e32 v80, 31, v0
	v_and_b32_e32 v76, 1, v0
	v_bfe_u32 v75, v0, 4, 1
	s_lshl_b32 s31, s15, 2
	s_xor_b32 exec_lo, exec_lo, s7
	s_cbranch_execz .LBB325_12
; %bb.11:
	s_delay_alu instid0(VALU_DEP_1)
	v_lshl_or_b32 v7, v77, 1, v75
	s_load_b64 s[18:19], s[0:1], 0x0
	s_mul_hi_i32 s21, s13, s4
	s_mul_i32 s20, s13, s4
	v_lshlrev_b32_e32 v4, 1, v1
	v_or_b32_e32 v2, s31, v7
	s_lshl_b64 s[20:21], s[20:21], 1
	v_lshlrev_b32_e32 v7, 6, v7
	v_lshlrev_b32_e32 v8, 10, v76
	s_delay_alu instid0(VALU_DEP_3) | instskip(NEXT) | instid1(VALU_DEP_1)
	v_lshlrev_b32_e32 v2, 7, v2
	v_ashrrev_i32_e32 v3, 31, v2
	s_delay_alu instid0(VALU_DEP_1) | instskip(SKIP_3) | instid1(VALU_DEP_1)
	v_lshlrev_b64 v[2:3], 1, v[2:3]
	s_waitcnt lgkmcnt(0)
	s_add_u32 s4, s18, s20
	s_addc_u32 s13, s19, s21
	v_add_co_u32 v2, vcc_lo, s4, v2
	s_delay_alu instid0(VALU_DEP_2) | instskip(NEXT) | instid1(VALU_DEP_2)
	v_add_co_ci_u32_e32 v3, vcc_lo, s13, v3, vcc_lo
	v_add_co_u32 v2, vcc_lo, v2, v4
	s_delay_alu instid0(VALU_DEP_2) | instskip(SKIP_2) | instid1(VALU_DEP_1)
	v_add_co_ci_u32_e32 v3, vcc_lo, 0, v3, vcc_lo
	global_load_b128 v[3:6], v[2:3], off
	v_lshlrev_b32_e32 v2, 10, v78
	v_and_b32_e32 v2, 0x3800, v2
	s_delay_alu instid0(VALU_DEP_1)
	v_or3_b32 v7, v2, v8, v7
	v_mov_b32_e32 v2, 0
	s_waitcnt vmcnt(0)
	ds_store_b128 v7, v[3:6]
.LBB325_12:
	s_or_b32 exec_lo, exec_lo, s7
	v_and_b32_e32 v3, 0xef, v0
	s_add_i32 s4, s17, 31
	s_clause 0x1
	s_load_b32 s7, s[0:1], 0x38
	s_load_b32 s33, s[0:1], 0x98
	s_ashr_i32 s13, s4, 31
	v_add_nc_u32_e32 v3, s12, v3
	s_lshr_b32 s13, s13, 27
	s_load_b32 s18, s[0:1], 0x1c
	s_add_i32 s4, s4, s13
	s_waitcnt lgkmcnt(0)
	v_ashrrev_i32_e32 v4, 31, v3
	v_cmp_gt_i32_e32 vcc_lo, s17, v3
	s_ashr_i32 s4, s4, 5
	s_barrier
	s_add_i32 s4, s4, -1
	v_lshrrev_b32_e32 v5, 27, v4
	v_or_b32_e32 v4, 16, v3
	buffer_gl0_inv
	v_lshlrev_b64 v[73:74], 1, v[1:2]
	v_lshlrev_b32_e32 v79, 6, v78
	v_add_nc_u32_e32 v6, v3, v5
	v_add_nc_u32_e32 v5, v4, v5
	s_mul_i32 s20, s30, s7
	s_delay_alu instid0(SALU_CYCLE_1) | instskip(NEXT) | instid1(VALU_DEP_2)
	s_ashr_i32 s21, s20, 31
	v_ashrrev_i32_e32 v6, 5, v6
	s_delay_alu instid0(VALU_DEP_2) | instskip(SKIP_1) | instid1(SALU_CYCLE_1)
	v_ashrrev_i32_e32 v5, 5, v5
	s_lshl_b64 s[20:21], s[20:21], 2
	s_add_u32 s13, s2, s20
	s_delay_alu instid0(VALU_DEP_2) | instskip(SKIP_3) | instid1(SALU_CYCLE_1)
	v_cndmask_b32_e32 v3, s4, v6, vcc_lo
	v_cmp_gt_i32_e32 vcc_lo, s17, v4
	s_addc_u32 s16, s3, s21
	s_mul_i32 s2, s15, s6
	s_ashr_i32 s3, s2, 31
	v_cndmask_b32_e32 v5, s4, v5, vcc_lo
	v_ashrrev_i32_e32 v4, 31, v3
	s_lshl_b64 s[2:3], s[2:3], 1
	s_delay_alu instid0(SALU_CYCLE_1) | instskip(NEXT) | instid1(VALU_DEP_2)
	s_add_u32 s15, s8, s2
	v_ashrrev_i32_e32 v6, 31, v5
	s_delay_alu instid0(VALU_DEP_2) | instskip(SKIP_2) | instid1(VALU_DEP_2)
	v_lshlrev_b64 v[3:4], 2, v[3:4]
	s_addc_u32 s19, s9, s3
	s_lshl_b32 s6, s14, 3
	v_lshlrev_b64 v[5:6], 2, v[5:6]
	s_ashr_i32 s7, s6, 31
	s_delay_alu instid0(VALU_DEP_2) | instskip(SKIP_1) | instid1(VALU_DEP_3)
	v_add_co_u32 v3, vcc_lo, s13, v3
	v_add_co_ci_u32_e32 v4, vcc_lo, s16, v4, vcc_lo
	v_add_co_u32 v5, vcc_lo, s13, v5
	s_delay_alu instid0(VALU_DEP_4)
	v_add_co_ci_u32_e32 v6, vcc_lo, s16, v6, vcc_lo
	s_lshl_b64 s[6:7], s[6:7], 2
	s_clause 0x1
	global_load_b32 v7, v[3:4], off
	global_load_b32 v8, v[5:6], off
	s_add_u32 s6, s13, s6
	s_addc_u32 s7, s16, s7
	s_or_b32 s8, s12, 32
	s_delay_alu instid0(SALU_CYCLE_1) | instskip(SKIP_2) | instid1(SALU_CYCLE_1)
	s_ashr_i32 s9, s8, 5
	s_cmp_lt_i32 s8, s17
	s_cselect_b32 s8, s9, s4
	s_ashr_i32 s9, s8, 31
	s_delay_alu instid0(SALU_CYCLE_1) | instskip(NEXT) | instid1(SALU_CYCLE_1)
	s_lshl_b64 s[8:9], s[8:9], 2
	s_add_u32 s8, s13, s8
	s_addc_u32 s9, s16, s9
	s_or_b32 s20, s12, 64
	s_delay_alu instid0(SALU_CYCLE_1) | instskip(SKIP_2) | instid1(SALU_CYCLE_1)
	s_ashr_i32 s21, s20, 5
	s_cmp_lt_i32 s20, s17
	s_cselect_b32 s20, s21, s4
	s_ashr_i32 s21, s20, 31
	s_delay_alu instid0(SALU_CYCLE_1) | instskip(NEXT) | instid1(SALU_CYCLE_1)
	s_lshl_b64 s[20:21], s[20:21], 2
	s_add_u32 s20, s13, s20
	s_addc_u32 s21, s16, s21
	s_or_b32 s22, s12, 0x60
	s_delay_alu instid0(SALU_CYCLE_1) | instskip(SKIP_2) | instid1(SALU_CYCLE_1)
	s_ashr_i32 s23, s22, 5
	s_cmp_lt_i32 s22, s17
	s_cselect_b32 s22, s23, s4
	s_ashr_i32 s23, s22, 31
	s_delay_alu instid0(SALU_CYCLE_1) | instskip(NEXT) | instid1(SALU_CYCLE_1)
	s_lshl_b64 s[22:23], s[22:23], 2
	s_add_u32 s22, s13, s22
	s_addc_u32 s23, s16, s23
	s_or_b32 s24, s12, 0x80
	s_delay_alu instid0(SALU_CYCLE_1) | instskip(SKIP_2) | instid1(SALU_CYCLE_1)
	s_ashr_i32 s25, s24, 5
	s_cmp_lt_i32 s24, s17
	s_cselect_b32 s24, s25, s4
	s_ashr_i32 s25, s24, 31
	s_delay_alu instid0(SALU_CYCLE_1) | instskip(NEXT) | instid1(SALU_CYCLE_1)
	s_lshl_b64 s[24:25], s[24:25], 2
	s_add_u32 s24, s13, s24
	s_addc_u32 s25, s16, s25
	s_or_b32 s26, s12, 0xa0
	s_delay_alu instid0(SALU_CYCLE_1) | instskip(SKIP_2) | instid1(SALU_CYCLE_1)
	s_ashr_i32 s27, s26, 5
	s_cmp_lt_i32 s26, s17
	s_cselect_b32 s26, s27, s4
	s_ashr_i32 s27, s26, 31
	s_delay_alu instid0(SALU_CYCLE_1) | instskip(NEXT) | instid1(SALU_CYCLE_1)
	s_lshl_b64 s[26:27], s[26:27], 2
	s_add_u32 s26, s13, s26
	s_addc_u32 s27, s16, s27
	s_clause 0x5
	s_load_b32 s28, s[6:7], 0x0
	s_load_b32 s29, s[8:9], 0x0
	;; [unrolled: 1-line block ×6, first 2 shown]
	s_mov_b32 s20, 0
	s_or_b32 s6, s12, 0xc0
	s_mov_b32 s21, s20
	s_mov_b32 s22, s20
	;; [unrolled: 1-line block ×7, first 2 shown]
	s_ashr_i32 s7, s6, 5
	v_mov_b32_e32 v128, s27
	s_cmp_lt_i32 s6, s17
	v_mov_b32_e32 v127, s26
	s_cselect_b32 s6, s7, s4
	v_mov_b32_e32 v126, s25
	s_ashr_i32 s7, s6, 31
	v_mov_b32_e32 v125, s24
	s_lshl_b64 s[6:7], s[6:7], 2
	v_mov_b32_e32 v124, s23
	s_add_u32 s6, s13, s6
	s_addc_u32 s7, s16, s7
	v_mov_b32_e32 v123, s22
	v_mov_b32_e32 v121, s20
	s_waitcnt lgkmcnt(0)
	s_mul_hi_i32 s9, s28, s5
	s_mul_i32 s8, s28, s5
	v_mov_b32_e32 v122, s21
	s_mul_hi_i32 s21, s29, s5
	s_mul_i32 s20, s29, s5
	s_mul_hi_i32 s25, s34, s5
	s_mul_i32 s24, s34, s5
	s_mul_hi_i32 s27, s35, s5
	s_mul_i32 s26, s35, s5
	s_mul_hi_i32 s35, s37, s5
	s_mul_i32 s34, s37, s5
	s_waitcnt vmcnt(1)
	v_mad_i64_i32 v[3:4], null, v7, s5, 0
	s_waitcnt vmcnt(0)
	v_mad_i64_i32 v[5:6], null, v8, s5, 0
	s_delay_alu instid0(VALU_DEP_2) | instskip(NEXT) | instid1(VALU_DEP_2)
	v_lshlrev_b64 v[3:4], 1, v[3:4]
	v_lshlrev_b64 v[1:2], 1, v[5:6]
	s_delay_alu instid0(VALU_DEP_2) | instskip(NEXT) | instid1(VALU_DEP_3)
	v_add_co_u32 v3, vcc_lo, s15, v3
	v_add_co_ci_u32_e32 v4, vcc_lo, s19, v4, vcc_lo
	s_delay_alu instid0(VALU_DEP_3) | instskip(NEXT) | instid1(VALU_DEP_4)
	v_add_co_u32 v1, vcc_lo, s15, v1
	v_add_co_ci_u32_e32 v2, vcc_lo, s19, v2, vcc_lo
	s_delay_alu instid0(VALU_DEP_4) | instskip(NEXT) | instid1(VALU_DEP_4)
	v_add_co_u32 v65, vcc_lo, v3, v73
	v_add_co_ci_u32_e32 v66, vcc_lo, v4, v74, vcc_lo
	s_delay_alu instid0(VALU_DEP_4) | instskip(NEXT) | instid1(VALU_DEP_4)
	v_add_co_u32 v67, vcc_lo, v1, v73
	v_add_co_ci_u32_e32 v68, vcc_lo, v2, v74, vcc_lo
	s_clause 0xf
	global_load_b128 v[1:4], v[65:66], off
	global_load_b128 v[5:8], v[65:66], off offset:512
	global_load_b128 v[9:12], v[67:68], off offset:256
	global_load_b128 v[13:16], v[67:68], off offset:768
	global_load_b128 v[17:20], v[65:66], off offset:1024
	global_load_b128 v[21:24], v[65:66], off offset:1536
	global_load_b128 v[25:28], v[67:68], off offset:1280
	global_load_b128 v[29:32], v[67:68], off offset:1792
	global_load_b128 v[33:36], v[65:66], off offset:2048
	global_load_b128 v[37:40], v[65:66], off offset:2560
	global_load_b128 v[41:44], v[67:68], off offset:2304
	global_load_b128 v[45:48], v[67:68], off offset:2816
	global_load_b128 v[49:52], v[65:66], off offset:3072
	global_load_b128 v[53:56], v[65:66], off offset:3584
	global_load_b128 v[57:60], v[67:68], off offset:3328
	global_load_b128 v[61:64], v[67:68], off offset:3840
	v_add_co_u32 v157, vcc_lo, 0x1000, v65
	v_add_co_ci_u32_e32 v158, vcc_lo, 0, v66, vcc_lo
	v_add_co_u32 v165, vcc_lo, 0x1000, v67
	v_add_co_ci_u32_e32 v166, vcc_lo, 0, v68, vcc_lo
	s_clause 0x7
	global_load_b128 v[81:84], v[157:158], off
	global_load_b128 v[85:88], v[157:158], off offset:512
	global_load_b128 v[89:92], v[165:166], off offset:256
	global_load_b128 v[93:96], v[165:166], off offset:768
	global_load_b128 v[97:100], v[157:158], off offset:1024
	global_load_b128 v[101:104], v[157:158], off offset:1536
	global_load_b128 v[105:108], v[165:166], off offset:1280
	global_load_b128 v[109:112], v[165:166], off offset:1792
	v_and_b32_e32 v65, 3, v0
	s_or_b32 s15, s12, 0xe0
	s_delay_alu instid0(SALU_CYCLE_1) | instskip(SKIP_1) | instid1(VALU_DEP_1)
	s_ashr_i32 s19, s15, 5
	s_cmp_lt_i32 s15, s17
	v_lshlrev_b32_e32 v169, 6, v65
	ds_load_b128 v[65:68], v169
	ds_load_b128 v[69:72], v169 offset:1024
	s_clause 0x1
	global_load_b128 v[113:116], v[157:158], off offset:2048
	global_load_b128 v[117:120], v[157:158], off offset:2560
	ds_load_b128 v[129:132], v169 offset:2048
	ds_load_b128 v[133:136], v169 offset:3072
	s_clause 0x5
	global_load_b128 v[145:148], v[165:166], off offset:2304
	global_load_b128 v[149:152], v[165:166], off offset:2816
	global_load_b128 v[153:156], v[157:158], off offset:3072
	global_load_b128 v[157:160], v[157:158], off offset:3584
	global_load_b128 v[161:164], v[165:166], off offset:3328
	global_load_b128 v[165:168], v[165:166], off offset:3840
	s_cselect_b32 s22, s19, s4
	s_delay_alu instid0(SALU_CYCLE_1) | instskip(NEXT) | instid1(SALU_CYCLE_1)
	s_ashr_i32 s23, s22, 31
	s_lshl_b64 s[22:23], s[22:23], 2
	s_delay_alu instid0(SALU_CYCLE_1) | instskip(SKIP_2) | instid1(SALU_CYCLE_1)
	s_add_u32 s22, s13, s22
	s_addc_u32 s23, s16, s23
	s_add_i32 s15, s12, 0x100
	s_ashr_i32 s19, s15, 5
	s_cmp_lt_i32 s15, s17
	s_cselect_b32 s28, s19, s4
	s_delay_alu instid0(SALU_CYCLE_1) | instskip(NEXT) | instid1(SALU_CYCLE_1)
	s_ashr_i32 s29, s28, 31
	s_lshl_b64 s[28:29], s[28:29], 2
	s_delay_alu instid0(SALU_CYCLE_1)
	s_add_u32 s28, s13, s28
	s_addc_u32 s29, s16, s29
	s_add_u32 s4, s10, s2
	s_addc_u32 s19, s11, s3
	s_lshl_b64 s[2:3], s[8:9], 1
	s_lshl_b64 s[8:9], s[20:21], 1
	;; [unrolled: 1-line block ×4, first 2 shown]
	s_waitcnt vmcnt(30) lgkmcnt(2)
	v_wmma_f32_16x16x16_f16 v[137:144], v[1:8], v[65:72], v[121:128]
	ds_load_b128 v[1:4], v169 offset:4096
	ds_load_b128 v[5:8], v169 offset:5120
	s_waitcnt vmcnt(28)
	v_wmma_f32_16x16x16_f16 v[121:128], v[9:16], v[65:72], v[121:128]
	ds_load_b128 v[9:12], v169 offset:6144
	ds_load_b128 v[13:16], v169 offset:7168
	s_waitcnt vmcnt(26) lgkmcnt(4)
	v_wmma_f32_16x16x16_f16 v[137:144], v[17:24], v[129:136], v[137:144]
	ds_load_b128 v[17:20], v169 offset:8192
	ds_load_b128 v[21:24], v169 offset:9216
	s_waitcnt vmcnt(24)
	v_wmma_f32_16x16x16_f16 v[121:128], v[25:32], v[129:136], v[121:128]
	v_lshl_or_b32 v25, v77, 10, v79
	ds_load_b128 v[129:132], v169 offset:10240
	ds_load_b128 v[133:136], v169 offset:11264
	s_clause 0x2
	s_load_b32 s15, s[6:7], 0x0
	s_load_b32 s13, s[22:23], 0x0
	;; [unrolled: 1-line block ×3, first 2 shown]
	s_mul_hi_i32 s7, s36, s5
	v_add_co_u32 v170, s4, s4, v25
	s_delay_alu instid0(VALU_DEP_1)
	v_add_co_ci_u32_e64 v171, null, s19, 0, s4
	s_mul_i32 s6, s36, s5
	s_lshl_b64 s[22:23], s[34:35], 1
	s_lshl_b64 s[6:7], s[6:7], 1
	s_waitcnt vmcnt(22) lgkmcnt(0)
	v_wmma_f32_16x16x16_f16 v[137:144], v[33:40], v[1:8], v[137:144]
	s_waitcnt vmcnt(20)
	v_wmma_f32_16x16x16_f16 v[121:128], v[41:48], v[1:8], v[121:128]
	v_add_co_u32 v1, vcc_lo, v170, s2
	v_add_co_ci_u32_e32 v2, vcc_lo, s3, v171, vcc_lo
	v_add_co_u32 v3, vcc_lo, v170, s8
	v_add_co_ci_u32_e32 v4, vcc_lo, s9, v171, vcc_lo
	;; [unrolled: 2-line block ×4, first 2 shown]
	v_add_co_u32 v25, vcc_lo, v170, s6
	s_mul_hi_i32 s25, s15, s5
	s_mul_i32 s24, s15, s5
	v_add_co_ci_u32_e32 v26, vcc_lo, s7, v171, vcc_lo
	v_add_co_u32 v27, vcc_lo, v170, s22
	s_lshl_b64 s[24:25], s[24:25], 1
	s_waitcnt vmcnt(18)
	v_wmma_f32_16x16x16_f16 v[137:144], v[49:56], v[9:16], v[137:144]
	s_waitcnt vmcnt(16)
	v_wmma_f32_16x16x16_f16 v[121:128], v[57:64], v[9:16], v[121:128]
	v_add_co_ci_u32_e32 v28, vcc_lo, s23, v171, vcc_lo
	s_mul_hi_i32 s3, s13, s5
	s_mul_i32 s2, s13, s5
	v_add_co_u32 v29, vcc_lo, v170, s24
	s_lshl_b64 s[2:3], s[2:3], 1
	v_add_co_ci_u32_e32 v30, vcc_lo, s25, v171, vcc_lo
	s_waitcnt vmcnt(14)
	v_wmma_f32_16x16x16_f16 v[137:144], v[81:88], v[17:24], v[137:144]
	s_waitcnt vmcnt(12)
	v_wmma_f32_16x16x16_f16 v[121:128], v[89:96], v[17:24], v[121:128]
	v_add_co_u32 v17, vcc_lo, v170, s2
	v_add_co_ci_u32_e32 v18, vcc_lo, s3, v171, vcc_lo
	s_mul_hi_i32 s3, s16, s5
	s_mul_i32 s2, s16, s5
	s_clause 0x5
	global_load_b128 v[65:68], v[1:2], off
	global_load_b128 v[69:72], v[1:2], off offset:16
	global_load_b128 v[57:60], v[3:4], off
	global_load_b128 v[61:64], v[3:4], off offset:16
	;; [unrolled: 2-line block ×3, first 2 shown]
	s_lshl_b64 s[2:3], s[2:3], 1
	s_clause 0x1
	global_load_b128 v[41:44], v[7:8], off
	global_load_b128 v[45:48], v[7:8], off offset:16
	v_add_co_u32 v21, vcc_lo, v170, s2
	v_add_co_ci_u32_e32 v22, vcc_lo, s3, v171, vcc_lo
	s_clause 0x9
	global_load_b128 v[9:12], v[25:26], off
	global_load_b128 v[13:16], v[25:26], off offset:16
	global_load_b128 v[1:4], v[27:28], off
	global_load_b128 v[5:8], v[27:28], off offset:16
	;; [unrolled: 2-line block ×5, first 2 shown]
	ds_load_b128 v[81:84], v169 offset:12288
	ds_load_b128 v[85:88], v169 offset:13312
	v_and_b32_e32 v89, 0xe0, v0
	s_waitcnt vmcnt(28)
	v_wmma_f32_16x16x16_f16 v[137:144], v[97:104], v[129:136], v[137:144]
	v_mbcnt_lo_u32_b32 v97, -1, 0
	s_waitcnt vmcnt(26)
	v_wmma_f32_16x16x16_f16 v[121:128], v[105:112], v[129:136], v[121:128]
	v_add_nc_u32_e32 v98, s12, v89
	ds_load_b128 v[89:92], v169 offset:14336
	ds_load_b128 v[93:96], v169 offset:15360
	v_xor_b32_e32 v99, 16, v97
	s_waitcnt vmcnt(0) lgkmcnt(0)
	s_barrier
	v_or_b32_e32 v98, v98, v75
	buffer_gl0_inv
	v_cmp_gt_i32_e32 vcc_lo, 32, v99
	v_or_b32_e32 v100, 4, v98
	v_or_b32_e32 v101, 22, v98
	;; [unrolled: 1-line block ×4, first 2 shown]
	v_wmma_f32_16x16x16_f16 v[137:144], v[113:120], v[81:88], v[137:144]
	v_wmma_f32_16x16x16_f16 v[121:128], v[145:152], v[81:88], v[121:128]
	v_or_b32_e32 v81, 6, v98
	v_or_b32_e32 v82, 8, v98
	;; [unrolled: 1-line block ×3, first 2 shown]
	v_cmp_gt_i32_e64 s3, s17, v100
	v_or_b32_e32 v84, 12, v98
	v_wmma_f32_16x16x16_f16 v[137:144], v[153:160], v[89:96], v[137:144]
	v_wmma_f32_16x16x16_f16 v[121:128], v[161:168], v[89:96], v[121:128]
	v_cndmask_b32_e32 v97, v97, v99, vcc_lo
	v_or_b32_e32 v99, 2, v98
	v_cmp_gt_i32_e32 vcc_lo, s17, v98
	v_dual_mul_f32 v95, s18, v138 :: v_dual_mul_f32 v96, s18, v137
	v_mul_f32_e32 v93, s18, v140
	s_delay_alu instid0(VALU_DEP_4)
	v_cmp_gt_i32_e64 s2, s17, v99
	v_mul_f32_e32 v94, s18, v139
	v_mul_f32_e32 v106, s18, v128
	v_cndmask_b32_e32 v96, 0xff7fffff, v96, vcc_lo
	v_cmp_gt_i32_e64 s4, s17, v81
	v_cndmask_b32_e64 v95, 0xff7fffff, v95, s2
	v_or_b32_e32 v85, 14, v98
	v_dual_mul_f32 v91, s18, v142 :: v_dual_mul_f32 v110, s18, v124
	v_mul_f32_e32 v92, s18, v141
	v_cndmask_b32_e64 v94, 0xff7fffff, v94, s3
	v_cndmask_b32_e64 v81, 0xff7fffff, v93, s4
	v_max3_f32 v93, v96, 0xff7fffff, v95
	v_cmp_gt_i32_e64 s5, s17, v82
	v_cmp_gt_i32_e64 s6, s17, v83
	v_or_b32_e32 v86, 16, v98
	v_or_b32_e32 v87, 18, v98
	v_dual_mul_f32 v89, s18, v144 :: v_dual_mul_f32 v112, s18, v122
	v_mul_f32_e32 v90, s18, v143
	v_cndmask_b32_e64 v82, 0xff7fffff, v92, s5
	v_cndmask_b32_e64 v83, 0xff7fffff, v91, s6
	v_max3_f32 v81, v93, v94, v81
	v_cmp_gt_i32_e64 s7, s17, v84
	v_cmp_gt_i32_e64 s8, s17, v85
	v_or_b32_e32 v88, 20, v98
	v_mul_f32_e32 v113, s18, v121
	v_max3_f32 v81, v81, v82, v83
	v_cndmask_b32_e64 v84, 0xff7fffff, v90, s7
	v_cndmask_b32_e64 v85, 0xff7fffff, v89, s8
	v_cmp_gt_i32_e64 s9, s17, v86
	v_cmp_gt_i32_e64 s10, s17, v87
	v_mul_f32_e32 v111, s18, v123
	v_cmp_gt_i32_e64 s11, s17, v88
	v_max3_f32 v81, v81, v84, v85
	v_cndmask_b32_e64 v82, 0xff7fffff, v113, s9
	v_cndmask_b32_e64 v83, 0xff7fffff, v112, s10
	v_cmp_gt_i32_e64 s12, s17, v101
	v_or_b32_e32 v104, 28, v98
	v_or_b32_e32 v105, 30, v98
	v_dual_mul_f32 v108, s18, v126 :: v_dual_mul_f32 v109, s18, v125
	v_cndmask_b32_e64 v84, 0xff7fffff, v111, s11
	v_cndmask_b32_e64 v85, 0xff7fffff, v110, s12
	v_max3_f32 v81, v81, v82, v83
	v_cmp_gt_i32_e64 s13, s17, v102
	v_cmp_gt_i32_e64 s15, s17, v103
	v_mul_f32_e32 v107, s18, v127
	v_cmp_gt_i32_e64 s16, s17, v104
	v_max3_f32 v81, v81, v84, v85
	v_cndmask_b32_e64 v82, 0xff7fffff, v109, s13
	v_cndmask_b32_e64 v83, 0xff7fffff, v108, s15
	v_cmp_gt_i32_e64 s17, s17, v105
	v_cndmask_b32_e64 v84, 0xff7fffff, v107, s16
	s_delay_alu instid0(VALU_DEP_3) | instskip(NEXT) | instid1(VALU_DEP_3)
	v_max3_f32 v81, v81, v82, v83
	v_cndmask_b32_e64 v85, 0xff7fffff, v106, s17
	v_lshlrev_b32_e32 v83, 2, v97
	s_delay_alu instid0(VALU_DEP_2) | instskip(SKIP_3) | instid1(VALU_DEP_1)
	v_max3_f32 v81, v81, v84, v85
	ds_bpermute_b32 v82, v83, v81
	s_waitcnt lgkmcnt(0)
	v_max_f32_e32 v82, v82, v82
	v_max_f32_e32 v81, v81, v82
	s_delay_alu instid0(VALU_DEP_1) | instskip(SKIP_3) | instid1(VALU_DEP_4)
	v_fma_f32 v82, s18, v137, -v81
	v_fma_f32 v84, s18, v138, -v81
	;; [unrolled: 1-line block ×4, first 2 shown]
	v_mul_f32_e32 v82, 0x3fb8aa3b, v82
	s_delay_alu instid0(VALU_DEP_3) | instskip(NEXT) | instid1(VALU_DEP_3)
	v_dual_mul_f32 v84, 0x3fb8aa3b, v84 :: v_dual_mul_f32 v85, 0x3fb8aa3b, v85
	v_mul_f32_e32 v86, 0x3fb8aa3b, v86
	s_delay_alu instid0(VALU_DEP_3) | instskip(NEXT) | instid1(VALU_DEP_2)
	v_exp_f32_e32 v82, v82
	v_exp_f32_e32 v84, v84
	s_delay_alu instid0(VALU_DEP_2) | instskip(NEXT) | instid1(VALU_DEP_1)
	v_exp_f32_e32 v85, v85
	v_exp_f32_e32 v90, v86
	v_cndmask_b32_e32 v87, 0, v82, vcc_lo
	s_delay_alu instid0(TRANS32_DEP_3) | instskip(SKIP_4) | instid1(VALU_DEP_1)
	v_cndmask_b32_e64 v86, 0, v84, s2
	s_waitcnt_depctr 0xfff
	v_cndmask_b32_e64 v89, 0, v85, s3
	s_mov_b32 s2, exec_lo
	v_add_f32_e32 v84, 0, v87
	v_add_f32_e32 v84, v84, v86
	s_delay_alu instid0(VALU_DEP_1)
	v_add_f32_e32 v84, v84, v89
	v_fma_f32 v88, s18, v141, -v81
	v_fma_f32 v91, s18, v143, -v81
	;; [unrolled: 1-line block ×5, first 2 shown]
	v_mul_f32_e32 v88, 0x3fb8aa3b, v88
	v_fma_f32 v100, s18, v128, -v81
	v_mul_f32_e32 v82, 0x3fb8aa3b, v82
	v_fma_f32 v98, s18, v126, -v81
	v_mul_f32_e32 v97, 0x3fb8aa3b, v95
	v_exp_f32_e32 v92, v88
	v_cndmask_b32_e64 v88, 0, v90, s4
	v_fma_f32 v90, s18, v121, -v81
	v_mul_f32_e32 v91, 0x3fb8aa3b, v91
	v_exp_f32_e32 v82, v82
	v_exp_f32_e32 v99, v97
	v_add_f32_e32 v84, v84, v88
	v_mul_f32_e32 v94, 0x3fb8aa3b, v90
	v_exp_f32_e32 v93, v91
	v_mul_f32_e32 v98, 0x3fb8aa3b, v98
	v_cndmask_b32_e64 v91, 0, v92, s5
	v_fma_f32 v92, s18, v122, -v81
	v_mul_f32_e32 v85, 0x3fb8aa3b, v85
	v_exp_f32_e32 v94, v94
	v_cndmask_b32_e64 v90, 0, v82, s6
	v_add_f32_e32 v82, v84, v91
	v_mul_f32_e32 v92, 0x3fb8aa3b, v92
	v_exp_f32_e32 v85, v85
	v_fma_f32 v84, s18, v123, -v81
	v_cndmask_b32_e64 v93, 0, v93, s7
	v_add_f32_e32 v82, v82, v90
	v_exp_f32_e32 v96, v92
	v_exp_f32_e32 v98, v98
	v_cndmask_b32_e64 v95, 0, v94, s9
	s_delay_alu instid0(VALU_DEP_2) | instskip(NEXT) | instid1(TRANS32_DEP_3)
	v_add_f32_e32 v82, v82, v93
	v_cndmask_b32_e64 v92, 0, v85, s8
	v_fma_f32 v85, s18, v125, -v81
	v_mul_f32_e32 v84, 0x3fb8aa3b, v84
	s_delay_alu instid0(TRANS32_DEP_2) | instskip(SKIP_1) | instid1(VALU_DEP_4)
	v_cndmask_b32_e64 v94, 0, v96, s10
	v_fma_f32 v96, s18, v127, -v81
	v_mul_f32_e32 v85, 0x3fb8aa3b, v85
	s_delay_alu instid0(VALU_DEP_4) | instskip(SKIP_1) | instid1(VALU_DEP_2)
	v_exp_f32_e32 v84, v84
	v_cndmask_b32_e64 v98, 0, v98, s15
	v_exp_f32_e32 v85, v85
	s_waitcnt_depctr 0xfff
	v_cndmask_b32_e64 v97, 0, v84, s11
	v_mul_f32_e32 v84, 0x3fb8aa3b, v96
	v_cndmask_b32_e64 v96, 0, v99, s12
	v_cndmask_b32_e64 v99, 0, v85, s13
	v_mul_f32_e32 v85, 0x3fb8aa3b, v100
	v_add_f32_e32 v82, v82, v92
	v_exp_f32_e32 v84, v84
	s_delay_alu instid0(VALU_DEP_2) | instskip(NEXT) | instid1(VALU_DEP_1)
	v_exp_f32_e32 v85, v85
	v_add_f32_e32 v82, v82, v95
	s_delay_alu instid0(VALU_DEP_1) | instskip(SKIP_4) | instid1(VALU_DEP_1)
	v_add_f32_e32 v82, v82, v94
	s_waitcnt_depctr 0xfff
	v_cndmask_b32_e64 v101, 0, v84, s16
	v_cndmask_b32_e64 v100, 0, v85, s17
	v_add_f32_e32 v82, v82, v97
	v_add_f32_e32 v82, v82, v96
	s_delay_alu instid0(VALU_DEP_1) | instskip(NEXT) | instid1(VALU_DEP_1)
	v_add_f32_e32 v82, v82, v99
	v_add_f32_e32 v82, v82, v98
	s_delay_alu instid0(VALU_DEP_1) | instskip(NEXT) | instid1(VALU_DEP_1)
	v_add_f32_e32 v82, v82, v101
	v_add_f32_e32 v82, v82, v100
	ds_bpermute_b32 v83, v83, v82
	v_cmpx_gt_u32_e32 16, v80
	s_cbranch_execz .LBB325_14
; %bb.13:
	v_mul_u32_u24_e32 v80, 0x44, v77
	s_waitcnt lgkmcnt(0)
	v_add_f32_e32 v82, v82, v83
	s_delay_alu instid0(VALU_DEP_2) | instskip(NEXT) | instid1(VALU_DEP_1)
	v_lshl_add_u32 v80, v78, 2, v80
	v_add_nc_u32_e32 v80, 0x4000, v80
	ds_store_2addr_b32 v80, v81, v82 offset1:136
.LBB325_14:
	s_or_b32 exec_lo, exec_lo, s2
	v_lshlrev_b32_e32 v78, 2, v78
	s_load_b32 s34, s[0:1], 0x94
	s_waitcnt lgkmcnt(0)
	s_barrier
	buffer_gl0_inv
	v_add_nc_u32_e32 v78, 0x4000, v78
	v_cmp_eq_u32_e32 vcc_lo, 1, v77
	v_cmp_eq_u32_e64 s2, 2, v77
	v_cmp_eq_u32_e64 s3, 3, v77
	;; [unrolled: 1-line block ×3, first 2 shown]
	ds_load_2addr_b32 v[80:81], v78 offset1:17
	ds_load_2addr_b32 v[82:83], v78 offset0:34 offset1:51
	ds_load_2addr_b32 v[102:103], v78 offset0:68 offset1:85
	;; [unrolled: 1-line block ×3, first 2 shown]
	v_cmp_eq_u32_e64 s5, 7, v77
	s_waitcnt lgkmcnt(3)
	v_max3_f32 v84, v80, 0xff7fffff, v81
	s_waitcnt lgkmcnt(2)
	s_delay_alu instid0(VALU_DEP_1) | instskip(SKIP_1) | instid1(VALU_DEP_1)
	v_max3_f32 v84, v84, v82, v83
	s_waitcnt lgkmcnt(1)
	v_max3_f32 v84, v84, v102, v103
	s_waitcnt lgkmcnt(0)
	s_delay_alu instid0(VALU_DEP_1) | instskip(NEXT) | instid1(VALU_DEP_1)
	v_max3_f32 v84, v84, v104, v105
	v_sub_f32_e32 v109, v83, v84
	ds_load_2addr_b32 v[106:107], v78 offset0:136 offset1:153
	v_sub_f32_e32 v85, v81, v84
	v_dual_sub_f32 v80, v80, v84 :: v_dual_mul_f32 v109, 0x3fb8aa3b, v109
	s_delay_alu instid0(VALU_DEP_1)
	v_dual_mul_f32 v85, 0x3fb8aa3b, v85 :: v_dual_mul_f32 v108, 0x3fb8aa3b, v80
	ds_load_2addr_b32 v[80:81], v78 offset0:170 offset1:187
	v_exp_f32_e32 v109, v109
	v_exp_f32_e32 v111, v85
	;; [unrolled: 1-line block ×3, first 2 shown]
	s_waitcnt lgkmcnt(1)
	s_waitcnt_depctr 0xfff
	v_fma_f32 v85, v108, v106, 0
	v_sub_f32_e32 v82, v82, v84
	v_sub_f32_e32 v106, v103, v84
	s_delay_alu instid0(VALU_DEP_2) | instskip(SKIP_3) | instid1(VALU_DEP_1)
	v_dual_fmac_f32 v85, v111, v107 :: v_dual_mul_f32 v110, 0x3fb8aa3b, v82
	ds_load_2addr_b32 v[82:83], v78 offset0:204 offset1:221
	v_sub_f32_e32 v102, v102, v84
	v_exp_f32_e32 v110, v110
	v_mul_f32_e32 v112, 0x3fb8aa3b, v102
	ds_load_2addr_b32 v[102:103], v78 offset0:238 offset1:255
	s_waitcnt lgkmcnt(0)
	s_barrier
	buffer_gl0_inv
	v_fmac_f32_e32 v85, v110, v80
	v_sub_f32_e32 v80, v105, v84
	s_delay_alu instid0(VALU_DEP_1) | instskip(SKIP_1) | instid1(VALU_DEP_2)
	v_dual_fmac_f32 v85, v109, v81 :: v_dual_mul_f32 v80, 0x3fb8aa3b, v80
	v_sub_f32_e32 v78, v104, v84
	v_exp_f32_e32 v107, v80
	v_mul_f32_e32 v104, 0x3fb8aa3b, v106
	v_exp_f32_e32 v106, v112
	v_cndmask_b32_e32 v80, v108, v111, vcc_lo
	s_delay_alu instid0(VALU_DEP_2) | instskip(SKIP_2) | instid1(VALU_DEP_1)
	v_exp_f32_e32 v104, v104
	s_waitcnt_depctr 0xfff
	v_fmac_f32_e32 v85, v106, v82
	v_dual_mul_f32 v78, 0x3fb8aa3b, v78 :: v_dual_fmac_f32 v85, v104, v83
	s_delay_alu instid0(VALU_DEP_1) | instskip(SKIP_2) | instid1(VALU_DEP_1)
	v_exp_f32_e32 v105, v78
	s_waitcnt_depctr 0xfff
	v_fmac_f32_e32 v85, v105, v102
	v_fmac_f32_e32 v85, v107, v103
	s_delay_alu instid0(VALU_DEP_1) | instskip(NEXT) | instid1(VALU_DEP_1)
	v_add_f32_e32 v102, 0x358637bd, v85
	v_div_scale_f32 v103, null, v102, v102, 1.0
	v_div_scale_f32 v108, vcc_lo, 1.0, v102, 1.0
	s_delay_alu instid0(VALU_DEP_2) | instskip(SKIP_2) | instid1(VALU_DEP_1)
	v_rcp_f32_e32 v112, v103
	s_waitcnt_depctr 0xfff
	v_fma_f32 v78, -v103, v112, 1.0
	v_fmac_f32_e32 v112, v78, v112
	v_cndmask_b32_e64 v78, v80, v110, s2
	v_cmp_eq_u32_e64 s2, 4, v77
	v_lshl_or_b32 v80, v77, 11, v79
	s_delay_alu instid0(VALU_DEP_4) | instskip(NEXT) | instid1(VALU_DEP_4)
	v_mul_f32_e32 v110, v108, v112
	v_cndmask_b32_e64 v81, v78, v109, s3
	v_cmp_eq_u32_e64 s3, 6, v77
	s_delay_alu instid0(VALU_DEP_4) | instskip(SKIP_3) | instid1(VALU_DEP_3)
	v_lshl_or_b32 v77, v75, 4, v80
	v_lshlrev_b32_e32 v78, 2, v75
	v_fma_f32 v82, -v103, v110, v108
	v_cndmask_b32_e64 v83, v81, v106, s2
	v_or_b32_e32 v81, 1, v78
	s_delay_alu instid0(VALU_DEP_3) | instskip(NEXT) | instid1(VALU_DEP_3)
	v_fmac_f32_e32 v110, v82, v112
	v_cndmask_b32_e64 v104, v83, v104, s4
	v_or_b32_e32 v83, 2, v78
	v_or_b32_e32 v82, 3, v78
	v_cmp_eq_u32_e64 s2, 1, v78
	v_fma_f32 v103, -v103, v110, v108
	v_cndmask_b32_e64 v104, v104, v105, s3
	v_cmp_eq_u32_e64 s8, 1, v81
	v_cmp_eq_u32_e64 s9, 1, v83
	v_cmp_eq_u32_e64 s10, 1, v82
	v_div_fmas_f32 v103, v103, v112, v110
	v_cndmask_b32_e64 v104, v104, v107, s5
	v_cmp_eq_u32_e32 vcc_lo, 2, v78
	v_cmp_eq_u32_e64 s11, 2, v81
	v_cmp_eq_u32_e64 s13, 2, v83
	v_div_fixup_f32 v102, v103, v102, 1.0
	v_cmp_eq_u32_e64 s15, 2, v82
	v_cmp_eq_u32_e64 s17, 3, v82
	;; [unrolled: 1-line block ×4, first 2 shown]
	v_mul_f32_e32 v110, v104, v102
	v_cmp_eq_u32_e64 s16, 3, v83
	v_cmp_eq_u32_e64 s21, 4, v82
	;; [unrolled: 1-line block ×4, first 2 shown]
	v_fma_mixlo_f16 v102, v110, v87, 0
	v_fma_mixlo_f16 v103, v110, v89, 0
	;; [unrolled: 1-line block ×8, first 2 shown]
	v_fma_mixhi_f16 v102, v110, v86, 0
	v_fma_mixhi_f16 v103, v110, v88, 0
	v_fma_mixhi_f16 v104, v110, v90, 0
	v_fma_mixhi_f16 v105, v110, v92, 0
	v_fma_mixhi_f16 v106, v110, v94, 0
	v_fma_mixhi_f16 v107, v110, v96, 0
	v_fma_mixhi_f16 v108, v110, v98, 0
	v_fma_mixhi_f16 v109, v110, v100, 0
	ds_store_b128 v77, v[102:105]
	ds_store_b128 v77, v[106:109] offset:1024
	s_waitcnt lgkmcnt(0)
	s_barrier
	buffer_gl0_inv
	ds_load_b128 v[86:89], v80
	ds_load_b128 v[90:93], v80 offset:16
	ds_load_b128 v[94:97], v80 offset:1024
	;; [unrolled: 1-line block ×3, first 2 shown]
	v_cmp_eq_u32_e64 s20, 4, v83
	v_cmp_eq_u32_e64 s23, 5, v82
	;; [unrolled: 1-line block ×13, first 2 shown]
	s_waitcnt lgkmcnt(3)
	v_lshrrev_b32_e32 v102, 16, v86
	s_waitcnt lgkmcnt(2)
	v_lshrrev_b32_e32 v106, 16, v90
	;; [unrolled: 2-line block ×4, first 2 shown]
	v_lshrrev_b32_e32 v103, 16, v87
	v_cndmask_b32_e64 v118, v86, v102, s2
	v_cndmask_b32_e64 v119, v90, v106, s2
	;; [unrolled: 1-line block ×8, first 2 shown]
	v_lshrrev_b32_e32 v107, 16, v91
	v_cndmask_b32_e64 v102, v94, v110, s2
	v_cndmask_b32_e64 v106, v98, v114, s2
	;; [unrolled: 1-line block ×5, first 2 shown]
	v_cndmask_b32_e32 v110, v118, v87, vcc_lo
	v_cndmask_b32_e64 v118, v120, v87, s11
	v_cndmask_b32_e64 v120, v122, v87, s13
	;; [unrolled: 1-line block ×4, first 2 shown]
	v_lshrrev_b32_e32 v111, 16, v95
	v_lshrrev_b32_e32 v115, 16, v99
	v_cndmask_b32_e64 v125, v98, v114, s8
	v_cndmask_b32_e64 v127, v98, v114, s9
	;; [unrolled: 1-line block ×3, first 2 shown]
	v_cndmask_b32_e32 v114, v119, v91, vcc_lo
	v_cndmask_b32_e64 v119, v121, v91, s11
	v_cndmask_b32_e64 v121, v123, v91, s13
	v_cndmask_b32_e32 v90, v102, v95, vcc_lo
	v_cndmask_b32_e32 v91, v106, v99, vcc_lo
	v_cndmask_b32_e64 v102, v124, v95, s11
	v_cndmask_b32_e64 v86, v86, v103, s17
	;; [unrolled: 1-line block ×3, first 2 shown]
	v_lshrrev_b32_e32 v104, 16, v88
	v_lshrrev_b32_e32 v108, 16, v92
	v_cndmask_b32_e64 v106, v126, v95, s13
	v_cndmask_b32_e64 v94, v94, v95, s15
	;; [unrolled: 1-line block ×14, first 2 shown]
	v_lshrrev_b32_e32 v112, 16, v96
	v_cndmask_b32_e64 v98, v98, v88, s4
	v_cndmask_b32_e64 v103, v110, v92, s4
	;; [unrolled: 1-line block ×11, first 2 shown]
	v_lshrrev_b32_e32 v105, 16, v89
	v_lshrrev_b32_e32 v109, 16, v93
	v_cndmask_b32_e64 v92, v98, v104, s5
	v_cndmask_b32_e64 v98, v103, v108, s5
	;; [unrolled: 1-line block ×9, first 2 shown]
	v_lshrrev_b32_e32 v113, 16, v97
	v_cndmask_b32_e64 v88, v88, v112, s5
	v_cndmask_b32_e64 v92, v92, v89, s6
	;; [unrolled: 1-line block ×19, first 2 shown]
	v_perm_b32 v89, v87, v86, 0x5040100
	v_cndmask_b32_e64 v86, v125, v99, s11
	v_cndmask_b32_e64 v104, v88, v113, s7
	v_perm_b32 v88, v102, v98, 0x5040100
	v_perm_b32 v87, v103, v93, 0x5040100
	v_cndmask_b32_e64 v93, v106, v111, s16
	v_cndmask_b32_e64 v94, v94, v111, s17
	;; [unrolled: 1-line block ×5, first 2 shown]
	v_lshrrev_b32_e32 v116, 16, v100
	v_cndmask_b32_e64 v93, v93, v96, s20
	v_cndmask_b32_e64 v94, v94, v96, s21
	;; [unrolled: 1-line block ×11, first 2 shown]
	v_lshrrev_b32_e32 v117, 16, v101
	v_cndmask_b32_e64 v90, v90, v101, s6
	v_cndmask_b32_e64 v93, v93, v97, s25
	;; [unrolled: 1-line block ×12, first 2 shown]
	v_perm_b32 v86, v92, v91, 0x5040100
	v_perm_b32 v93, v94, v93, 0x5040100
	;; [unrolled: 1-line block ×5, first 2 shown]
	s_lshl_b32 s6, s33, 2
	s_mov_b32 s2, exec_lo
	ds_store_b128 v77, v[86:89]
	ds_store_b128 v77, v[90:93] offset:1024
	v_cmpx_gt_u32_e32 4, v0
	s_cbranch_execz .LBB325_16
; %bb.15:
	v_or_b32_e32 v86, s31, v0
	s_load_b128 s[8:11], s[0:1], 0x58
	s_delay_alu instid0(VALU_DEP_1) | instskip(NEXT) | instid1(VALU_DEP_1)
	v_mad_u64_u32 v[87:88], null, s6, s30, v[86:87]
	v_mad_u64_u32 v[88:89], null, v87, s34, s[14:15]
	s_delay_alu instid0(VALU_DEP_1) | instskip(NEXT) | instid1(VALU_DEP_1)
	v_ashrrev_i32_e32 v89, 31, v88
	v_lshlrev_b64 v[86:87], 2, v[88:89]
	s_waitcnt lgkmcnt(0)
	s_delay_alu instid0(VALU_DEP_1) | instskip(NEXT) | instid1(VALU_DEP_2)
	v_add_co_u32 v88, vcc_lo, s10, v86
	v_add_co_ci_u32_e32 v89, vcc_lo, s11, v87, vcc_lo
	v_add_co_u32 v86, vcc_lo, s8, v86
	v_add_co_ci_u32_e32 v87, vcc_lo, s9, v87, vcc_lo
	global_store_b32 v[88:89], v84, off
	global_store_b32 v[86:87], v85, off
.LBB325_16:
	s_or_b32 exec_lo, exec_lo, s2
	s_waitcnt lgkmcnt(0)
	s_waitcnt_vscnt null, 0x0
	s_barrier
	buffer_gl0_inv
	ds_load_b128 v[92:95], v79
	ds_load_b128 v[96:99], v79 offset:16
	ds_load_b128 v[104:107], v79 offset:1040
	;; [unrolled: 1-line block ×5, first 2 shown]
	v_cmp_eq_u32_e32 vcc_lo, 1, v83
	v_mov_b32_e32 v84, 0
	ds_load_b128 v[120:123], v79 offset:3088
	ds_load_b128 v[116:119], v79 offset:3072
	;; [unrolled: 1-line block ×4, first 2 shown]
	v_cmp_eq_u32_e64 s2, 1, v78
	v_cmp_eq_u32_e64 s3, 1, v82
	v_cmp_eq_u32_e64 s4, 1, v81
	v_mov_b32_e32 v85, v84
	v_mov_b32_e32 v86, v84
	;; [unrolled: 1-line block ×7, first 2 shown]
	v_cmp_eq_u32_e64 s5, 2, v78
	s_waitcnt lgkmcnt(8)
	s_delay_alu instid0(VALU_DEP_2)
	v_wmma_f32_16x16x16_f16 v[84:91], v[65:72], v[92:99], v[84:91]
	ds_load_b128 v[69:72], v79 offset:5136
	ds_load_b128 v[65:68], v79 offset:5120
	;; [unrolled: 1-line block ×4, first 2 shown]
	s_waitcnt lgkmcnt(10)
	v_wmma_f32_16x16x16_f16 v[84:91], v[57:64], v[100:107], v[84:91]
	s_waitcnt lgkmcnt(8)
	s_delay_alu instid0(VALU_DEP_1)
	v_wmma_f32_16x16x16_f16 v[84:91], v[57:64], v[108:115], v[84:91]
	ds_load_b128 v[61:64], v79 offset:7184
	ds_load_b128 v[57:60], v79 offset:7168
	;; [unrolled: 1-line block ×4, first 2 shown]
	s_waitcnt lgkmcnt(10)
	v_wmma_f32_16x16x16_f16 v[84:91], v[49:56], v[116:123], v[84:91]
	s_waitcnt lgkmcnt(8)
	s_delay_alu instid0(VALU_DEP_1)
	v_wmma_f32_16x16x16_f16 v[84:91], v[49:56], v[124:131], v[84:91]
	ds_load_b128 v[53:56], v79 offset:9232
	ds_load_b128 v[49:52], v79 offset:9216
	s_waitcnt lgkmcnt(8)
	v_wmma_f32_16x16x16_f16 v[84:91], v[41:48], v[65:72], v[84:91]
	ds_load_b128 v[69:72], v79 offset:10256
	ds_load_b128 v[65:68], v79 offset:10240
	s_waitcnt lgkmcnt(8)
	;; [unrolled: 4-line block ×7, first 2 shown]
	s_barrier
	buffer_gl0_inv
	v_wmma_f32_16x16x16_f16 v[84:91], v[33:40], v[41:48], v[84:91]
	s_delay_alu instid0(VALU_DEP_1) | instskip(NEXT) | instid1(VALU_DEP_1)
	v_wmma_f32_16x16x16_f16 v[84:91], v[33:40], v[57:64], v[84:91]
	v_wmma_f32_16x16x16_f16 v[84:91], v[25:32], v[9:16], v[84:91]
	s_delay_alu instid0(VALU_DEP_1) | instskip(NEXT) | instid1(VALU_DEP_1)
	v_wmma_f32_16x16x16_f16 v[84:91], v[25:32], v[49:56], v[84:91]
	v_wmma_f32_16x16x16_f16 v[84:91], v[17:24], v[1:8], v[84:91]
	s_delay_alu instid0(VALU_DEP_1) | instskip(NEXT) | instid1(VALU_DEP_2)
	v_cvt_f16_f32_e32 v1, v84
	v_cvt_f16_f32_e32 v2, v85
	s_delay_alu instid0(VALU_DEP_3) | instskip(NEXT) | instid1(VALU_DEP_4)
	v_cvt_f16_f32_e32 v3, v86
	v_cvt_f16_f32_e32 v4, v87
	;; [unrolled: 1-line block ×6, first 2 shown]
	v_pack_b32_f16 v1, v1, v2
	v_pack_b32_f16 v2, v3, v4
	;; [unrolled: 1-line block ×3, first 2 shown]
	s_delay_alu instid0(VALU_DEP_4)
	v_pack_b32_f16 v4, v7, v8
	ds_store_b128 v77, v[1:4]
	s_waitcnt lgkmcnt(0)
	s_barrier
	buffer_gl0_inv
	ds_load_b128 v[1:4], v80
	ds_load_b128 v[5:8], v80 offset:16
	s_waitcnt lgkmcnt(1)
	v_lshrrev_b32_e32 v9, 16, v1
	s_waitcnt lgkmcnt(0)
	v_lshrrev_b32_e32 v13, 16, v5
	v_lshrrev_b32_e32 v10, 16, v2
	;; [unrolled: 1-line block ×4, first 2 shown]
	v_cndmask_b32_e64 v17, v1, v9, s2
	v_cndmask_b32_e64 v18, v5, v13, s2
	;; [unrolled: 1-line block ×3, first 2 shown]
	v_cmp_eq_u32_e64 s2, 2, v81
	v_cndmask_b32_e64 v20, v5, v13, s4
	v_cndmask_b32_e32 v21, v1, v9, vcc_lo
	v_cndmask_b32_e32 v22, v5, v13, vcc_lo
	v_cndmask_b32_e64 v1, v1, v9, s3
	v_cndmask_b32_e64 v5, v5, v13, s3
	v_cmp_eq_u32_e32 vcc_lo, 2, v83
	v_cmp_eq_u32_e64 s3, 2, v82
	v_cndmask_b32_e64 v9, v17, v2, s5
	v_cndmask_b32_e64 v13, v18, v6, s5
	;; [unrolled: 1-line block ×4, first 2 shown]
	v_cndmask_b32_e32 v19, v21, v2, vcc_lo
	v_cmp_eq_u32_e64 s2, 3, v83
	v_cndmask_b32_e32 v20, v22, v6, vcc_lo
	v_cndmask_b32_e64 v1, v1, v2, s3
	v_cmp_eq_u32_e32 vcc_lo, 3, v82
	v_cmp_eq_u32_e64 s4, 3, v78
	v_cndmask_b32_e64 v2, v5, v6, s3
	v_cmp_eq_u32_e64 s3, 3, v81
	v_cmp_eq_u32_e64 s5, 4, v78
	v_cndmask_b32_e32 v1, v1, v10, vcc_lo
	v_cndmask_b32_e64 v5, v9, v10, s4
	v_cndmask_b32_e64 v6, v13, v14, s4
	;; [unrolled: 1-line block ×3, first 2 shown]
	v_cmp_eq_u32_e64 s4, 4, v81
	v_cndmask_b32_e64 v13, v18, v14, s3
	v_cndmask_b32_e64 v17, v19, v10, s2
	;; [unrolled: 1-line block ×3, first 2 shown]
	v_cndmask_b32_e32 v2, v2, v14, vcc_lo
	v_cmp_eq_u32_e32 vcc_lo, 4, v83
	v_cmp_eq_u32_e64 s3, 4, v82
	v_lshrrev_b32_e32 v15, 16, v7
	v_cndmask_b32_e64 v5, v5, v3, s5
	v_cndmask_b32_e64 v6, v6, v7, s5
	v_cndmask_b32_e32 v14, v18, v7, vcc_lo
	v_cndmask_b32_e64 v9, v9, v3, s4
	v_cndmask_b32_e64 v10, v13, v7, s4
	v_cndmask_b32_e32 v13, v17, v3, vcc_lo
	v_cmp_eq_u32_e64 s2, 5, v83
	v_cndmask_b32_e64 v1, v1, v3, s3
	v_cmp_eq_u32_e32 vcc_lo, 5, v82
	v_cmp_eq_u32_e64 s4, 5, v78
	v_cndmask_b32_e64 v2, v2, v7, s3
	v_cmp_eq_u32_e64 s3, 5, v81
	v_cmp_eq_u32_e64 s5, 6, v78
	v_lshrrev_b32_e32 v12, 16, v4
	v_cndmask_b32_e64 v3, v5, v11, s4
	v_cndmask_b32_e64 v5, v6, v15, s4
	;; [unrolled: 1-line block ×3, first 2 shown]
	v_cmp_eq_u32_e64 s4, 6, v81
	v_cndmask_b32_e64 v7, v10, v15, s3
	v_cndmask_b32_e64 v9, v13, v11, s2
	;; [unrolled: 1-line block ×3, first 2 shown]
	v_cndmask_b32_e32 v1, v1, v11, vcc_lo
	v_cndmask_b32_e32 v2, v2, v15, vcc_lo
	v_cmp_eq_u32_e32 vcc_lo, 6, v83
	v_cmp_eq_u32_e64 s2, 6, v82
	v_lshrrev_b32_e32 v16, 16, v8
	v_cndmask_b32_e64 v3, v3, v4, s5
	v_cndmask_b32_e64 v5, v5, v8, s5
	v_cndmask_b32_e32 v9, v9, v4, vcc_lo
	v_cndmask_b32_e64 v6, v6, v4, s4
	v_cndmask_b32_e64 v7, v7, v8, s4
	v_cmp_eq_u32_e64 s3, 7, v83
	v_cndmask_b32_e32 v10, v10, v8, vcc_lo
	v_cndmask_b32_e64 v1, v1, v4, s2
	v_cmp_eq_u32_e32 vcc_lo, 7, v82
	v_cndmask_b32_e64 v2, v2, v8, s2
	v_cmp_eq_u32_e64 s2, 7, v78
	v_cmp_eq_u32_e64 s4, 7, v81
	v_cndmask_b32_e32 v1, v1, v12, vcc_lo
	s_delay_alu instid0(VALU_DEP_4) | instskip(NEXT) | instid1(VALU_DEP_4)
	v_cndmask_b32_e32 v2, v2, v16, vcc_lo
	v_cndmask_b32_e64 v8, v3, v12, s2
	s_delay_alu instid0(VALU_DEP_4)
	v_cndmask_b32_e64 v6, v6, v12, s4
	v_cndmask_b32_e64 v3, v9, v12, s3
	;; [unrolled: 1-line block ×5, first 2 shown]
	v_perm_b32 v4, v2, v1, 0x5040100
	s_mov_b32 s2, exec_lo
	v_perm_b32 v3, v9, v3, 0x5040100
	v_perm_b32 v2, v7, v6, 0x5040100
	;; [unrolled: 1-line block ×3, first 2 shown]
	ds_store_b128 v77, v[1:4]
	s_waitcnt lgkmcnt(0)
	s_barrier
	buffer_gl0_inv
	v_cmpx_gt_u32_e32 32, v0
	s_cbranch_execz .LBB325_2
; %bb.17:
	s_load_b64 s[0:1], s[0:1], 0x68
	v_lshlrev_b32_e32 v0, 10, v0
	v_or_b32_e32 v1, s31, v75
	s_lshl_b32 s4, s34, 7
	v_lshlrev_b32_e32 v2, 4, v76
	s_mul_i32 s2, s4, s30
	v_lshlrev_b32_e32 v3, 6, v75
	v_mul_lo_u32 v8, v1, s4
	v_and_b32_e32 v0, 0x3800, v0
	v_or_b32_e32 v1, 2, v1
	s_mul_i32 s2, s2, s6
	s_delay_alu instid0(SALU_CYCLE_1) | instskip(NEXT) | instid1(VALU_DEP_2)
	s_ashr_i32 s3, s2, 31
	v_or3_b32 v4, v0, v2, v3
	s_lshl_b64 s[2:3], s[2:3], 1
	v_mul_lo_u32 v10, v1, s4
	v_ashrrev_i32_e32 v9, 31, v8
	ds_load_b128 v[0:3], v4
	ds_load_b128 v[4:7], v4 offset:128
	s_waitcnt lgkmcnt(0)
	s_add_u32 s2, s0, s2
	s_addc_u32 s3, s1, s3
	s_lshl_b32 s0, s14, 7
	v_ashrrev_i32_e32 v11, 31, v10
	s_ashr_i32 s1, s0, 31
	v_lshlrev_b64 v[8:9], 1, v[8:9]
	s_lshl_b64 s[0:1], s[0:1], 1
	s_delay_alu instid0(SALU_CYCLE_1) | instskip(SKIP_4) | instid1(VALU_DEP_3)
	s_add_u32 s0, s2, s0
	s_addc_u32 s1, s3, s1
	v_add_co_u32 v12, vcc_lo, s0, v73
	v_add_co_ci_u32_e32 v13, vcc_lo, s1, v74, vcc_lo
	v_lshlrev_b64 v[10:11], 1, v[10:11]
	v_add_co_u32 v8, vcc_lo, v12, v8
	s_delay_alu instid0(VALU_DEP_3) | instskip(NEXT) | instid1(VALU_DEP_3)
	v_add_co_ci_u32_e32 v9, vcc_lo, v13, v9, vcc_lo
	v_add_co_u32 v10, vcc_lo, v12, v10
	s_delay_alu instid0(VALU_DEP_4)
	v_add_co_ci_u32_e32 v11, vcc_lo, v13, v11, vcc_lo
	s_clause 0x1
	global_store_b128 v[8:9], v[0:3], off
	global_store_b128 v[10:11], v[4:7], off
	s_nop 0
	s_sendmsg sendmsg(MSG_DEALLOC_VGPRS)
	s_endpgm
	.section	.rodata,"a",@progbits
	.p2align	6, 0x0
	.amdhsa_kernel _Z39paged_attention_ll4mi_QKV_mfma16_kernelIDF16_DF16_LN4vllm18Fp8KVCacheDataTypeE0EhLi32ELi128ELi256ELb1ELi4EL8MFMAType0EEvPKT_PKT0_S8_ifPKiSA_SA_iPKfiiiPfSD_PS3_PT2_iSC_SC_
		.amdhsa_group_segment_fixed_size 17472
		.amdhsa_private_segment_fixed_size 0
		.amdhsa_kernarg_size 400
		.amdhsa_user_sgpr_count 13
		.amdhsa_user_sgpr_dispatch_ptr 0
		.amdhsa_user_sgpr_queue_ptr 0
		.amdhsa_user_sgpr_kernarg_segment_ptr 1
		.amdhsa_user_sgpr_dispatch_id 0
		.amdhsa_user_sgpr_private_segment_size 0
		.amdhsa_wavefront_size32 1
		.amdhsa_uses_dynamic_stack 0
		.amdhsa_enable_private_segment 0
		.amdhsa_system_sgpr_workgroup_id_x 1
		.amdhsa_system_sgpr_workgroup_id_y 1
		.amdhsa_system_sgpr_workgroup_id_z 1
		.amdhsa_system_sgpr_workgroup_info 0
		.amdhsa_system_vgpr_workitem_id 0
		.amdhsa_next_free_vgpr 172
		.amdhsa_next_free_sgpr 38
		.amdhsa_reserve_vcc 1
		.amdhsa_float_round_mode_32 0
		.amdhsa_float_round_mode_16_64 0
		.amdhsa_float_denorm_mode_32 3
		.amdhsa_float_denorm_mode_16_64 3
		.amdhsa_dx10_clamp 1
		.amdhsa_ieee_mode 1
		.amdhsa_fp16_overflow 0
		.amdhsa_workgroup_processor_mode 1
		.amdhsa_memory_ordered 1
		.amdhsa_forward_progress 0
		.amdhsa_shared_vgpr_count 0
		.amdhsa_exception_fp_ieee_invalid_op 0
		.amdhsa_exception_fp_denorm_src 0
		.amdhsa_exception_fp_ieee_div_zero 0
		.amdhsa_exception_fp_ieee_overflow 0
		.amdhsa_exception_fp_ieee_underflow 0
		.amdhsa_exception_fp_ieee_inexact 0
		.amdhsa_exception_int_div_zero 0
	.end_amdhsa_kernel
	.section	.text._Z39paged_attention_ll4mi_QKV_mfma16_kernelIDF16_DF16_LN4vllm18Fp8KVCacheDataTypeE0EhLi32ELi128ELi256ELb1ELi4EL8MFMAType0EEvPKT_PKT0_S8_ifPKiSA_SA_iPKfiiiPfSD_PS3_PT2_iSC_SC_,"axG",@progbits,_Z39paged_attention_ll4mi_QKV_mfma16_kernelIDF16_DF16_LN4vllm18Fp8KVCacheDataTypeE0EhLi32ELi128ELi256ELb1ELi4EL8MFMAType0EEvPKT_PKT0_S8_ifPKiSA_SA_iPKfiiiPfSD_PS3_PT2_iSC_SC_,comdat
.Lfunc_end325:
	.size	_Z39paged_attention_ll4mi_QKV_mfma16_kernelIDF16_DF16_LN4vllm18Fp8KVCacheDataTypeE0EhLi32ELi128ELi256ELb1ELi4EL8MFMAType0EEvPKT_PKT0_S8_ifPKiSA_SA_iPKfiiiPfSD_PS3_PT2_iSC_SC_, .Lfunc_end325-_Z39paged_attention_ll4mi_QKV_mfma16_kernelIDF16_DF16_LN4vllm18Fp8KVCacheDataTypeE0EhLi32ELi128ELi256ELb1ELi4EL8MFMAType0EEvPKT_PKT0_S8_ifPKiSA_SA_iPKfiiiPfSD_PS3_PT2_iSC_SC_
                                        ; -- End function
	.section	.AMDGPU.csdata,"",@progbits
; Kernel info:
; codeLenInByte = 7380
; NumSgprs: 40
; NumVgprs: 172
; ScratchSize: 0
; MemoryBound: 0
; FloatMode: 240
; IeeeMode: 1
; LDSByteSize: 17472 bytes/workgroup (compile time only)
; SGPRBlocks: 4
; VGPRBlocks: 21
; NumSGPRsForWavesPerEU: 40
; NumVGPRsForWavesPerEU: 172
; Occupancy: 8
; WaveLimiterHint : 1
; COMPUTE_PGM_RSRC2:SCRATCH_EN: 0
; COMPUTE_PGM_RSRC2:USER_SGPR: 13
; COMPUTE_PGM_RSRC2:TRAP_HANDLER: 0
; COMPUTE_PGM_RSRC2:TGID_X_EN: 1
; COMPUTE_PGM_RSRC2:TGID_Y_EN: 1
; COMPUTE_PGM_RSRC2:TGID_Z_EN: 1
; COMPUTE_PGM_RSRC2:TIDIG_COMP_CNT: 0
	.section	.text._Z38paged_attention_ll4mi_QKV_mfma4_kernelIDF16_DF16_LN4vllm18Fp8KVCacheDataTypeE0EhLi32ELi128ELi256ELb0ELi1EEvPKT_PKT0_S7_ifPKiS9_S9_iPKfiiiPfSC_PS2_PT2_iSB_SB_,"axG",@progbits,_Z38paged_attention_ll4mi_QKV_mfma4_kernelIDF16_DF16_LN4vllm18Fp8KVCacheDataTypeE0EhLi32ELi128ELi256ELb0ELi1EEvPKT_PKT0_S7_ifPKiS9_S9_iPKfiiiPfSC_PS2_PT2_iSB_SB_,comdat
	.protected	_Z38paged_attention_ll4mi_QKV_mfma4_kernelIDF16_DF16_LN4vllm18Fp8KVCacheDataTypeE0EhLi32ELi128ELi256ELb0ELi1EEvPKT_PKT0_S7_ifPKiS9_S9_iPKfiiiPfSC_PS2_PT2_iSB_SB_ ; -- Begin function _Z38paged_attention_ll4mi_QKV_mfma4_kernelIDF16_DF16_LN4vllm18Fp8KVCacheDataTypeE0EhLi32ELi128ELi256ELb0ELi1EEvPKT_PKT0_S7_ifPKiS9_S9_iPKfiiiPfSC_PS2_PT2_iSB_SB_
	.globl	_Z38paged_attention_ll4mi_QKV_mfma4_kernelIDF16_DF16_LN4vllm18Fp8KVCacheDataTypeE0EhLi32ELi128ELi256ELb0ELi1EEvPKT_PKT0_S7_ifPKiS9_S9_iPKfiiiPfSC_PS2_PT2_iSB_SB_
	.p2align	8
	.type	_Z38paged_attention_ll4mi_QKV_mfma4_kernelIDF16_DF16_LN4vllm18Fp8KVCacheDataTypeE0EhLi32ELi128ELi256ELb0ELi1EEvPKT_PKT0_S7_ifPKiS9_S9_iPKfiiiPfSC_PS2_PT2_iSB_SB_,@function
_Z38paged_attention_ll4mi_QKV_mfma4_kernelIDF16_DF16_LN4vllm18Fp8KVCacheDataTypeE0EhLi32ELi128ELi256ELb0ELi1EEvPKT_PKT0_S7_ifPKiS9_S9_iPKfiiiPfSC_PS2_PT2_iSB_SB_: ; @_Z38paged_attention_ll4mi_QKV_mfma4_kernelIDF16_DF16_LN4vllm18Fp8KVCacheDataTypeE0EhLi32ELi128ELi256ELb0ELi1EEvPKT_PKT0_S7_ifPKiS9_S9_iPKfiiiPfSC_PS2_PT2_iSB_SB_
; %bb.0:
	s_add_u32 s8, s0, 0x90
	s_addc_u32 s9, s1, 0
	s_getpc_b64 s[0:1]
	s_add_u32 s0, s0, __PRETTY_FUNCTION__._Z38paged_attention_ll4mi_QKV_mfma4_kernelIDF16_DF16_LN4vllm18Fp8KVCacheDataTypeE0EhLi32ELi128ELi256ELb0ELi1EEvPKT_PKT0_S7_ifPKiS9_S9_iPKfiiiPfSC_PS2_PT2_iSB_SB_@rel32@lo+4
	s_addc_u32 s1, s1, __PRETTY_FUNCTION__._Z38paged_attention_ll4mi_QKV_mfma4_kernelIDF16_DF16_LN4vllm18Fp8KVCacheDataTypeE0EhLi32ELi128ELi256ELb0ELi1EEvPKT_PKT0_S7_ifPKiS9_S9_iPKfiiiPfSC_PS2_PT2_iSB_SB_@rel32@hi+12
	s_delay_alu instid0(SALU_CYCLE_1) | instskip(SKIP_4) | instid1(SALU_CYCLE_1)
	v_dual_mov_b32 v0, s0 :: v_dual_mov_b32 v1, s1
	s_mov_b32 s32, 0
	s_getpc_b64 s[2:3]
	s_add_u32 s2, s2, __assert_fail@rel32@lo+4
	s_addc_u32 s3, s3, __assert_fail@rel32@hi+12
	s_swappc_b64 s[30:31], s[2:3]
	.section	.rodata,"a",@progbits
	.p2align	6, 0x0
	.amdhsa_kernel _Z38paged_attention_ll4mi_QKV_mfma4_kernelIDF16_DF16_LN4vllm18Fp8KVCacheDataTypeE0EhLi32ELi128ELi256ELb0ELi1EEvPKT_PKT0_S7_ifPKiS9_S9_iPKfiiiPfSC_PS2_PT2_iSB_SB_
		.amdhsa_group_segment_fixed_size 0
		.amdhsa_private_segment_fixed_size 64
		.amdhsa_kernarg_size 400
		.amdhsa_user_sgpr_count 15
		.amdhsa_user_sgpr_dispatch_ptr 0
		.amdhsa_user_sgpr_queue_ptr 0
		.amdhsa_user_sgpr_kernarg_segment_ptr 1
		.amdhsa_user_sgpr_dispatch_id 0
		.amdhsa_user_sgpr_private_segment_size 0
		.amdhsa_wavefront_size32 1
		.amdhsa_uses_dynamic_stack 0
		.amdhsa_enable_private_segment 1
		.amdhsa_system_sgpr_workgroup_id_x 1
		.amdhsa_system_sgpr_workgroup_id_y 0
		.amdhsa_system_sgpr_workgroup_id_z 0
		.amdhsa_system_sgpr_workgroup_info 0
		.amdhsa_system_vgpr_workitem_id 0
		.amdhsa_next_free_vgpr 41
		.amdhsa_next_free_sgpr 34
		.amdhsa_reserve_vcc 1
		.amdhsa_float_round_mode_32 0
		.amdhsa_float_round_mode_16_64 0
		.amdhsa_float_denorm_mode_32 3
		.amdhsa_float_denorm_mode_16_64 3
		.amdhsa_dx10_clamp 1
		.amdhsa_ieee_mode 1
		.amdhsa_fp16_overflow 0
		.amdhsa_workgroup_processor_mode 1
		.amdhsa_memory_ordered 1
		.amdhsa_forward_progress 0
		.amdhsa_shared_vgpr_count 0
		.amdhsa_exception_fp_ieee_invalid_op 0
		.amdhsa_exception_fp_denorm_src 0
		.amdhsa_exception_fp_ieee_div_zero 0
		.amdhsa_exception_fp_ieee_overflow 0
		.amdhsa_exception_fp_ieee_underflow 0
		.amdhsa_exception_fp_ieee_inexact 0
		.amdhsa_exception_int_div_zero 0
	.end_amdhsa_kernel
	.section	.text._Z38paged_attention_ll4mi_QKV_mfma4_kernelIDF16_DF16_LN4vllm18Fp8KVCacheDataTypeE0EhLi32ELi128ELi256ELb0ELi1EEvPKT_PKT0_S7_ifPKiS9_S9_iPKfiiiPfSC_PS2_PT2_iSB_SB_,"axG",@progbits,_Z38paged_attention_ll4mi_QKV_mfma4_kernelIDF16_DF16_LN4vllm18Fp8KVCacheDataTypeE0EhLi32ELi128ELi256ELb0ELi1EEvPKT_PKT0_S7_ifPKiS9_S9_iPKfiiiPfSC_PS2_PT2_iSB_SB_,comdat
.Lfunc_end326:
	.size	_Z38paged_attention_ll4mi_QKV_mfma4_kernelIDF16_DF16_LN4vllm18Fp8KVCacheDataTypeE0EhLi32ELi128ELi256ELb0ELi1EEvPKT_PKT0_S7_ifPKiS9_S9_iPKfiiiPfSC_PS2_PT2_iSB_SB_, .Lfunc_end326-_Z38paged_attention_ll4mi_QKV_mfma4_kernelIDF16_DF16_LN4vllm18Fp8KVCacheDataTypeE0EhLi32ELi128ELi256ELb0ELi1EEvPKT_PKT0_S7_ifPKiS9_S9_iPKfiiiPfSC_PS2_PT2_iSB_SB_
                                        ; -- End function
	.section	.AMDGPU.csdata,"",@progbits
; Kernel info:
; codeLenInByte = 72
; NumSgprs: 36
; NumVgprs: 41
; ScratchSize: 64
; MemoryBound: 0
; FloatMode: 240
; IeeeMode: 1
; LDSByteSize: 0 bytes/workgroup (compile time only)
; SGPRBlocks: 4
; VGPRBlocks: 5
; NumSGPRsForWavesPerEU: 36
; NumVGPRsForWavesPerEU: 41
; Occupancy: 16
; WaveLimiterHint : 1
; COMPUTE_PGM_RSRC2:SCRATCH_EN: 1
; COMPUTE_PGM_RSRC2:USER_SGPR: 15
; COMPUTE_PGM_RSRC2:TRAP_HANDLER: 0
; COMPUTE_PGM_RSRC2:TGID_X_EN: 1
; COMPUTE_PGM_RSRC2:TGID_Y_EN: 0
; COMPUTE_PGM_RSRC2:TGID_Z_EN: 0
; COMPUTE_PGM_RSRC2:TIDIG_COMP_CNT: 0
	.section	.text._Z38paged_attention_ll4mi_QKV_mfma4_kernelIDF16_DF16_LN4vllm18Fp8KVCacheDataTypeE0EhLi32ELi128ELi256ELb0ELi2EEvPKT_PKT0_S7_ifPKiS9_S9_iPKfiiiPfSC_PS2_PT2_iSB_SB_,"axG",@progbits,_Z38paged_attention_ll4mi_QKV_mfma4_kernelIDF16_DF16_LN4vllm18Fp8KVCacheDataTypeE0EhLi32ELi128ELi256ELb0ELi2EEvPKT_PKT0_S7_ifPKiS9_S9_iPKfiiiPfSC_PS2_PT2_iSB_SB_,comdat
	.protected	_Z38paged_attention_ll4mi_QKV_mfma4_kernelIDF16_DF16_LN4vllm18Fp8KVCacheDataTypeE0EhLi32ELi128ELi256ELb0ELi2EEvPKT_PKT0_S7_ifPKiS9_S9_iPKfiiiPfSC_PS2_PT2_iSB_SB_ ; -- Begin function _Z38paged_attention_ll4mi_QKV_mfma4_kernelIDF16_DF16_LN4vllm18Fp8KVCacheDataTypeE0EhLi32ELi128ELi256ELb0ELi2EEvPKT_PKT0_S7_ifPKiS9_S9_iPKfiiiPfSC_PS2_PT2_iSB_SB_
	.globl	_Z38paged_attention_ll4mi_QKV_mfma4_kernelIDF16_DF16_LN4vllm18Fp8KVCacheDataTypeE0EhLi32ELi128ELi256ELb0ELi2EEvPKT_PKT0_S7_ifPKiS9_S9_iPKfiiiPfSC_PS2_PT2_iSB_SB_
	.p2align	8
	.type	_Z38paged_attention_ll4mi_QKV_mfma4_kernelIDF16_DF16_LN4vllm18Fp8KVCacheDataTypeE0EhLi32ELi128ELi256ELb0ELi2EEvPKT_PKT0_S7_ifPKiS9_S9_iPKfiiiPfSC_PS2_PT2_iSB_SB_,@function
_Z38paged_attention_ll4mi_QKV_mfma4_kernelIDF16_DF16_LN4vllm18Fp8KVCacheDataTypeE0EhLi32ELi128ELi256ELb0ELi2EEvPKT_PKT0_S7_ifPKiS9_S9_iPKfiiiPfSC_PS2_PT2_iSB_SB_: ; @_Z38paged_attention_ll4mi_QKV_mfma4_kernelIDF16_DF16_LN4vllm18Fp8KVCacheDataTypeE0EhLi32ELi128ELi256ELb0ELi2EEvPKT_PKT0_S7_ifPKiS9_S9_iPKfiiiPfSC_PS2_PT2_iSB_SB_
; %bb.0:
	s_add_u32 s8, s0, 0x90
	s_addc_u32 s9, s1, 0
	s_getpc_b64 s[0:1]
	s_add_u32 s0, s0, __PRETTY_FUNCTION__._Z38paged_attention_ll4mi_QKV_mfma4_kernelIDF16_DF16_LN4vllm18Fp8KVCacheDataTypeE0EhLi32ELi128ELi256ELb0ELi2EEvPKT_PKT0_S7_ifPKiS9_S9_iPKfiiiPfSC_PS2_PT2_iSB_SB_@rel32@lo+4
	s_addc_u32 s1, s1, __PRETTY_FUNCTION__._Z38paged_attention_ll4mi_QKV_mfma4_kernelIDF16_DF16_LN4vllm18Fp8KVCacheDataTypeE0EhLi32ELi128ELi256ELb0ELi2EEvPKT_PKT0_S7_ifPKiS9_S9_iPKfiiiPfSC_PS2_PT2_iSB_SB_@rel32@hi+12
	s_delay_alu instid0(SALU_CYCLE_1) | instskip(SKIP_4) | instid1(SALU_CYCLE_1)
	v_dual_mov_b32 v0, s0 :: v_dual_mov_b32 v1, s1
	s_mov_b32 s32, 0
	s_getpc_b64 s[2:3]
	s_add_u32 s2, s2, __assert_fail@rel32@lo+4
	s_addc_u32 s3, s3, __assert_fail@rel32@hi+12
	s_swappc_b64 s[30:31], s[2:3]
	.section	.rodata,"a",@progbits
	.p2align	6, 0x0
	.amdhsa_kernel _Z38paged_attention_ll4mi_QKV_mfma4_kernelIDF16_DF16_LN4vllm18Fp8KVCacheDataTypeE0EhLi32ELi128ELi256ELb0ELi2EEvPKT_PKT0_S7_ifPKiS9_S9_iPKfiiiPfSC_PS2_PT2_iSB_SB_
		.amdhsa_group_segment_fixed_size 0
		.amdhsa_private_segment_fixed_size 64
		.amdhsa_kernarg_size 400
		.amdhsa_user_sgpr_count 15
		.amdhsa_user_sgpr_dispatch_ptr 0
		.amdhsa_user_sgpr_queue_ptr 0
		.amdhsa_user_sgpr_kernarg_segment_ptr 1
		.amdhsa_user_sgpr_dispatch_id 0
		.amdhsa_user_sgpr_private_segment_size 0
		.amdhsa_wavefront_size32 1
		.amdhsa_uses_dynamic_stack 0
		.amdhsa_enable_private_segment 1
		.amdhsa_system_sgpr_workgroup_id_x 1
		.amdhsa_system_sgpr_workgroup_id_y 0
		.amdhsa_system_sgpr_workgroup_id_z 0
		.amdhsa_system_sgpr_workgroup_info 0
		.amdhsa_system_vgpr_workitem_id 0
		.amdhsa_next_free_vgpr 41
		.amdhsa_next_free_sgpr 34
		.amdhsa_reserve_vcc 1
		.amdhsa_float_round_mode_32 0
		.amdhsa_float_round_mode_16_64 0
		.amdhsa_float_denorm_mode_32 3
		.amdhsa_float_denorm_mode_16_64 3
		.amdhsa_dx10_clamp 1
		.amdhsa_ieee_mode 1
		.amdhsa_fp16_overflow 0
		.amdhsa_workgroup_processor_mode 1
		.amdhsa_memory_ordered 1
		.amdhsa_forward_progress 0
		.amdhsa_shared_vgpr_count 0
		.amdhsa_exception_fp_ieee_invalid_op 0
		.amdhsa_exception_fp_denorm_src 0
		.amdhsa_exception_fp_ieee_div_zero 0
		.amdhsa_exception_fp_ieee_overflow 0
		.amdhsa_exception_fp_ieee_underflow 0
		.amdhsa_exception_fp_ieee_inexact 0
		.amdhsa_exception_int_div_zero 0
	.end_amdhsa_kernel
	.section	.text._Z38paged_attention_ll4mi_QKV_mfma4_kernelIDF16_DF16_LN4vllm18Fp8KVCacheDataTypeE0EhLi32ELi128ELi256ELb0ELi2EEvPKT_PKT0_S7_ifPKiS9_S9_iPKfiiiPfSC_PS2_PT2_iSB_SB_,"axG",@progbits,_Z38paged_attention_ll4mi_QKV_mfma4_kernelIDF16_DF16_LN4vllm18Fp8KVCacheDataTypeE0EhLi32ELi128ELi256ELb0ELi2EEvPKT_PKT0_S7_ifPKiS9_S9_iPKfiiiPfSC_PS2_PT2_iSB_SB_,comdat
.Lfunc_end327:
	.size	_Z38paged_attention_ll4mi_QKV_mfma4_kernelIDF16_DF16_LN4vllm18Fp8KVCacheDataTypeE0EhLi32ELi128ELi256ELb0ELi2EEvPKT_PKT0_S7_ifPKiS9_S9_iPKfiiiPfSC_PS2_PT2_iSB_SB_, .Lfunc_end327-_Z38paged_attention_ll4mi_QKV_mfma4_kernelIDF16_DF16_LN4vllm18Fp8KVCacheDataTypeE0EhLi32ELi128ELi256ELb0ELi2EEvPKT_PKT0_S7_ifPKiS9_S9_iPKfiiiPfSC_PS2_PT2_iSB_SB_
                                        ; -- End function
	.section	.AMDGPU.csdata,"",@progbits
; Kernel info:
; codeLenInByte = 72
; NumSgprs: 36
; NumVgprs: 41
; ScratchSize: 64
; MemoryBound: 0
; FloatMode: 240
; IeeeMode: 1
; LDSByteSize: 0 bytes/workgroup (compile time only)
; SGPRBlocks: 4
; VGPRBlocks: 5
; NumSGPRsForWavesPerEU: 36
; NumVGPRsForWavesPerEU: 41
; Occupancy: 16
; WaveLimiterHint : 1
; COMPUTE_PGM_RSRC2:SCRATCH_EN: 1
; COMPUTE_PGM_RSRC2:USER_SGPR: 15
; COMPUTE_PGM_RSRC2:TRAP_HANDLER: 0
; COMPUTE_PGM_RSRC2:TGID_X_EN: 1
; COMPUTE_PGM_RSRC2:TGID_Y_EN: 0
; COMPUTE_PGM_RSRC2:TGID_Z_EN: 0
; COMPUTE_PGM_RSRC2:TIDIG_COMP_CNT: 0
	.section	.text._Z38paged_attention_ll4mi_QKV_mfma4_kernelIDF16_DF16_LN4vllm18Fp8KVCacheDataTypeE0EhLi32ELi128ELi256ELb0ELi3EEvPKT_PKT0_S7_ifPKiS9_S9_iPKfiiiPfSC_PS2_PT2_iSB_SB_,"axG",@progbits,_Z38paged_attention_ll4mi_QKV_mfma4_kernelIDF16_DF16_LN4vllm18Fp8KVCacheDataTypeE0EhLi32ELi128ELi256ELb0ELi3EEvPKT_PKT0_S7_ifPKiS9_S9_iPKfiiiPfSC_PS2_PT2_iSB_SB_,comdat
	.protected	_Z38paged_attention_ll4mi_QKV_mfma4_kernelIDF16_DF16_LN4vllm18Fp8KVCacheDataTypeE0EhLi32ELi128ELi256ELb0ELi3EEvPKT_PKT0_S7_ifPKiS9_S9_iPKfiiiPfSC_PS2_PT2_iSB_SB_ ; -- Begin function _Z38paged_attention_ll4mi_QKV_mfma4_kernelIDF16_DF16_LN4vllm18Fp8KVCacheDataTypeE0EhLi32ELi128ELi256ELb0ELi3EEvPKT_PKT0_S7_ifPKiS9_S9_iPKfiiiPfSC_PS2_PT2_iSB_SB_
	.globl	_Z38paged_attention_ll4mi_QKV_mfma4_kernelIDF16_DF16_LN4vllm18Fp8KVCacheDataTypeE0EhLi32ELi128ELi256ELb0ELi3EEvPKT_PKT0_S7_ifPKiS9_S9_iPKfiiiPfSC_PS2_PT2_iSB_SB_
	.p2align	8
	.type	_Z38paged_attention_ll4mi_QKV_mfma4_kernelIDF16_DF16_LN4vllm18Fp8KVCacheDataTypeE0EhLi32ELi128ELi256ELb0ELi3EEvPKT_PKT0_S7_ifPKiS9_S9_iPKfiiiPfSC_PS2_PT2_iSB_SB_,@function
_Z38paged_attention_ll4mi_QKV_mfma4_kernelIDF16_DF16_LN4vllm18Fp8KVCacheDataTypeE0EhLi32ELi128ELi256ELb0ELi3EEvPKT_PKT0_S7_ifPKiS9_S9_iPKfiiiPfSC_PS2_PT2_iSB_SB_: ; @_Z38paged_attention_ll4mi_QKV_mfma4_kernelIDF16_DF16_LN4vllm18Fp8KVCacheDataTypeE0EhLi32ELi128ELi256ELb0ELi3EEvPKT_PKT0_S7_ifPKiS9_S9_iPKfiiiPfSC_PS2_PT2_iSB_SB_
; %bb.0:
	s_add_u32 s8, s0, 0x90
	s_addc_u32 s9, s1, 0
	s_getpc_b64 s[0:1]
	s_add_u32 s0, s0, __PRETTY_FUNCTION__._Z38paged_attention_ll4mi_QKV_mfma4_kernelIDF16_DF16_LN4vllm18Fp8KVCacheDataTypeE0EhLi32ELi128ELi256ELb0ELi3EEvPKT_PKT0_S7_ifPKiS9_S9_iPKfiiiPfSC_PS2_PT2_iSB_SB_@rel32@lo+4
	s_addc_u32 s1, s1, __PRETTY_FUNCTION__._Z38paged_attention_ll4mi_QKV_mfma4_kernelIDF16_DF16_LN4vllm18Fp8KVCacheDataTypeE0EhLi32ELi128ELi256ELb0ELi3EEvPKT_PKT0_S7_ifPKiS9_S9_iPKfiiiPfSC_PS2_PT2_iSB_SB_@rel32@hi+12
	s_delay_alu instid0(SALU_CYCLE_1) | instskip(SKIP_4) | instid1(SALU_CYCLE_1)
	v_dual_mov_b32 v0, s0 :: v_dual_mov_b32 v1, s1
	s_mov_b32 s32, 0
	s_getpc_b64 s[2:3]
	s_add_u32 s2, s2, __assert_fail@rel32@lo+4
	s_addc_u32 s3, s3, __assert_fail@rel32@hi+12
	s_swappc_b64 s[30:31], s[2:3]
	.section	.rodata,"a",@progbits
	.p2align	6, 0x0
	.amdhsa_kernel _Z38paged_attention_ll4mi_QKV_mfma4_kernelIDF16_DF16_LN4vllm18Fp8KVCacheDataTypeE0EhLi32ELi128ELi256ELb0ELi3EEvPKT_PKT0_S7_ifPKiS9_S9_iPKfiiiPfSC_PS2_PT2_iSB_SB_
		.amdhsa_group_segment_fixed_size 0
		.amdhsa_private_segment_fixed_size 64
		.amdhsa_kernarg_size 400
		.amdhsa_user_sgpr_count 15
		.amdhsa_user_sgpr_dispatch_ptr 0
		.amdhsa_user_sgpr_queue_ptr 0
		.amdhsa_user_sgpr_kernarg_segment_ptr 1
		.amdhsa_user_sgpr_dispatch_id 0
		.amdhsa_user_sgpr_private_segment_size 0
		.amdhsa_wavefront_size32 1
		.amdhsa_uses_dynamic_stack 0
		.amdhsa_enable_private_segment 1
		.amdhsa_system_sgpr_workgroup_id_x 1
		.amdhsa_system_sgpr_workgroup_id_y 0
		.amdhsa_system_sgpr_workgroup_id_z 0
		.amdhsa_system_sgpr_workgroup_info 0
		.amdhsa_system_vgpr_workitem_id 0
		.amdhsa_next_free_vgpr 41
		.amdhsa_next_free_sgpr 34
		.amdhsa_reserve_vcc 1
		.amdhsa_float_round_mode_32 0
		.amdhsa_float_round_mode_16_64 0
		.amdhsa_float_denorm_mode_32 3
		.amdhsa_float_denorm_mode_16_64 3
		.amdhsa_dx10_clamp 1
		.amdhsa_ieee_mode 1
		.amdhsa_fp16_overflow 0
		.amdhsa_workgroup_processor_mode 1
		.amdhsa_memory_ordered 1
		.amdhsa_forward_progress 0
		.amdhsa_shared_vgpr_count 0
		.amdhsa_exception_fp_ieee_invalid_op 0
		.amdhsa_exception_fp_denorm_src 0
		.amdhsa_exception_fp_ieee_div_zero 0
		.amdhsa_exception_fp_ieee_overflow 0
		.amdhsa_exception_fp_ieee_underflow 0
		.amdhsa_exception_fp_ieee_inexact 0
		.amdhsa_exception_int_div_zero 0
	.end_amdhsa_kernel
	.section	.text._Z38paged_attention_ll4mi_QKV_mfma4_kernelIDF16_DF16_LN4vllm18Fp8KVCacheDataTypeE0EhLi32ELi128ELi256ELb0ELi3EEvPKT_PKT0_S7_ifPKiS9_S9_iPKfiiiPfSC_PS2_PT2_iSB_SB_,"axG",@progbits,_Z38paged_attention_ll4mi_QKV_mfma4_kernelIDF16_DF16_LN4vllm18Fp8KVCacheDataTypeE0EhLi32ELi128ELi256ELb0ELi3EEvPKT_PKT0_S7_ifPKiS9_S9_iPKfiiiPfSC_PS2_PT2_iSB_SB_,comdat
.Lfunc_end328:
	.size	_Z38paged_attention_ll4mi_QKV_mfma4_kernelIDF16_DF16_LN4vllm18Fp8KVCacheDataTypeE0EhLi32ELi128ELi256ELb0ELi3EEvPKT_PKT0_S7_ifPKiS9_S9_iPKfiiiPfSC_PS2_PT2_iSB_SB_, .Lfunc_end328-_Z38paged_attention_ll4mi_QKV_mfma4_kernelIDF16_DF16_LN4vllm18Fp8KVCacheDataTypeE0EhLi32ELi128ELi256ELb0ELi3EEvPKT_PKT0_S7_ifPKiS9_S9_iPKfiiiPfSC_PS2_PT2_iSB_SB_
                                        ; -- End function
	.section	.AMDGPU.csdata,"",@progbits
; Kernel info:
; codeLenInByte = 72
; NumSgprs: 36
; NumVgprs: 41
; ScratchSize: 64
; MemoryBound: 0
; FloatMode: 240
; IeeeMode: 1
; LDSByteSize: 0 bytes/workgroup (compile time only)
; SGPRBlocks: 4
; VGPRBlocks: 5
; NumSGPRsForWavesPerEU: 36
; NumVGPRsForWavesPerEU: 41
; Occupancy: 16
; WaveLimiterHint : 1
; COMPUTE_PGM_RSRC2:SCRATCH_EN: 1
; COMPUTE_PGM_RSRC2:USER_SGPR: 15
; COMPUTE_PGM_RSRC2:TRAP_HANDLER: 0
; COMPUTE_PGM_RSRC2:TGID_X_EN: 1
; COMPUTE_PGM_RSRC2:TGID_Y_EN: 0
; COMPUTE_PGM_RSRC2:TGID_Z_EN: 0
; COMPUTE_PGM_RSRC2:TIDIG_COMP_CNT: 0
	.section	.text._Z38paged_attention_ll4mi_QKV_mfma4_kernelIDF16_DF16_LN4vllm18Fp8KVCacheDataTypeE0EhLi32ELi128ELi256ELb0ELi4EEvPKT_PKT0_S7_ifPKiS9_S9_iPKfiiiPfSC_PS2_PT2_iSB_SB_,"axG",@progbits,_Z38paged_attention_ll4mi_QKV_mfma4_kernelIDF16_DF16_LN4vllm18Fp8KVCacheDataTypeE0EhLi32ELi128ELi256ELb0ELi4EEvPKT_PKT0_S7_ifPKiS9_S9_iPKfiiiPfSC_PS2_PT2_iSB_SB_,comdat
	.protected	_Z38paged_attention_ll4mi_QKV_mfma4_kernelIDF16_DF16_LN4vllm18Fp8KVCacheDataTypeE0EhLi32ELi128ELi256ELb0ELi4EEvPKT_PKT0_S7_ifPKiS9_S9_iPKfiiiPfSC_PS2_PT2_iSB_SB_ ; -- Begin function _Z38paged_attention_ll4mi_QKV_mfma4_kernelIDF16_DF16_LN4vllm18Fp8KVCacheDataTypeE0EhLi32ELi128ELi256ELb0ELi4EEvPKT_PKT0_S7_ifPKiS9_S9_iPKfiiiPfSC_PS2_PT2_iSB_SB_
	.globl	_Z38paged_attention_ll4mi_QKV_mfma4_kernelIDF16_DF16_LN4vllm18Fp8KVCacheDataTypeE0EhLi32ELi128ELi256ELb0ELi4EEvPKT_PKT0_S7_ifPKiS9_S9_iPKfiiiPfSC_PS2_PT2_iSB_SB_
	.p2align	8
	.type	_Z38paged_attention_ll4mi_QKV_mfma4_kernelIDF16_DF16_LN4vllm18Fp8KVCacheDataTypeE0EhLi32ELi128ELi256ELb0ELi4EEvPKT_PKT0_S7_ifPKiS9_S9_iPKfiiiPfSC_PS2_PT2_iSB_SB_,@function
_Z38paged_attention_ll4mi_QKV_mfma4_kernelIDF16_DF16_LN4vllm18Fp8KVCacheDataTypeE0EhLi32ELi128ELi256ELb0ELi4EEvPKT_PKT0_S7_ifPKiS9_S9_iPKfiiiPfSC_PS2_PT2_iSB_SB_: ; @_Z38paged_attention_ll4mi_QKV_mfma4_kernelIDF16_DF16_LN4vllm18Fp8KVCacheDataTypeE0EhLi32ELi128ELi256ELb0ELi4EEvPKT_PKT0_S7_ifPKiS9_S9_iPKfiiiPfSC_PS2_PT2_iSB_SB_
; %bb.0:
	s_add_u32 s8, s0, 0x90
	s_addc_u32 s9, s1, 0
	s_getpc_b64 s[0:1]
	s_add_u32 s0, s0, __PRETTY_FUNCTION__._Z38paged_attention_ll4mi_QKV_mfma4_kernelIDF16_DF16_LN4vllm18Fp8KVCacheDataTypeE0EhLi32ELi128ELi256ELb0ELi4EEvPKT_PKT0_S7_ifPKiS9_S9_iPKfiiiPfSC_PS2_PT2_iSB_SB_@rel32@lo+4
	s_addc_u32 s1, s1, __PRETTY_FUNCTION__._Z38paged_attention_ll4mi_QKV_mfma4_kernelIDF16_DF16_LN4vllm18Fp8KVCacheDataTypeE0EhLi32ELi128ELi256ELb0ELi4EEvPKT_PKT0_S7_ifPKiS9_S9_iPKfiiiPfSC_PS2_PT2_iSB_SB_@rel32@hi+12
	s_delay_alu instid0(SALU_CYCLE_1) | instskip(SKIP_4) | instid1(SALU_CYCLE_1)
	v_dual_mov_b32 v0, s0 :: v_dual_mov_b32 v1, s1
	s_mov_b32 s32, 0
	s_getpc_b64 s[2:3]
	s_add_u32 s2, s2, __assert_fail@rel32@lo+4
	s_addc_u32 s3, s3, __assert_fail@rel32@hi+12
	s_swappc_b64 s[30:31], s[2:3]
	.section	.rodata,"a",@progbits
	.p2align	6, 0x0
	.amdhsa_kernel _Z38paged_attention_ll4mi_QKV_mfma4_kernelIDF16_DF16_LN4vllm18Fp8KVCacheDataTypeE0EhLi32ELi128ELi256ELb0ELi4EEvPKT_PKT0_S7_ifPKiS9_S9_iPKfiiiPfSC_PS2_PT2_iSB_SB_
		.amdhsa_group_segment_fixed_size 0
		.amdhsa_private_segment_fixed_size 64
		.amdhsa_kernarg_size 400
		.amdhsa_user_sgpr_count 15
		.amdhsa_user_sgpr_dispatch_ptr 0
		.amdhsa_user_sgpr_queue_ptr 0
		.amdhsa_user_sgpr_kernarg_segment_ptr 1
		.amdhsa_user_sgpr_dispatch_id 0
		.amdhsa_user_sgpr_private_segment_size 0
		.amdhsa_wavefront_size32 1
		.amdhsa_uses_dynamic_stack 0
		.amdhsa_enable_private_segment 1
		.amdhsa_system_sgpr_workgroup_id_x 1
		.amdhsa_system_sgpr_workgroup_id_y 0
		.amdhsa_system_sgpr_workgroup_id_z 0
		.amdhsa_system_sgpr_workgroup_info 0
		.amdhsa_system_vgpr_workitem_id 0
		.amdhsa_next_free_vgpr 41
		.amdhsa_next_free_sgpr 34
		.amdhsa_reserve_vcc 1
		.amdhsa_float_round_mode_32 0
		.amdhsa_float_round_mode_16_64 0
		.amdhsa_float_denorm_mode_32 3
		.amdhsa_float_denorm_mode_16_64 3
		.amdhsa_dx10_clamp 1
		.amdhsa_ieee_mode 1
		.amdhsa_fp16_overflow 0
		.amdhsa_workgroup_processor_mode 1
		.amdhsa_memory_ordered 1
		.amdhsa_forward_progress 0
		.amdhsa_shared_vgpr_count 0
		.amdhsa_exception_fp_ieee_invalid_op 0
		.amdhsa_exception_fp_denorm_src 0
		.amdhsa_exception_fp_ieee_div_zero 0
		.amdhsa_exception_fp_ieee_overflow 0
		.amdhsa_exception_fp_ieee_underflow 0
		.amdhsa_exception_fp_ieee_inexact 0
		.amdhsa_exception_int_div_zero 0
	.end_amdhsa_kernel
	.section	.text._Z38paged_attention_ll4mi_QKV_mfma4_kernelIDF16_DF16_LN4vllm18Fp8KVCacheDataTypeE0EhLi32ELi128ELi256ELb0ELi4EEvPKT_PKT0_S7_ifPKiS9_S9_iPKfiiiPfSC_PS2_PT2_iSB_SB_,"axG",@progbits,_Z38paged_attention_ll4mi_QKV_mfma4_kernelIDF16_DF16_LN4vllm18Fp8KVCacheDataTypeE0EhLi32ELi128ELi256ELb0ELi4EEvPKT_PKT0_S7_ifPKiS9_S9_iPKfiiiPfSC_PS2_PT2_iSB_SB_,comdat
.Lfunc_end329:
	.size	_Z38paged_attention_ll4mi_QKV_mfma4_kernelIDF16_DF16_LN4vllm18Fp8KVCacheDataTypeE0EhLi32ELi128ELi256ELb0ELi4EEvPKT_PKT0_S7_ifPKiS9_S9_iPKfiiiPfSC_PS2_PT2_iSB_SB_, .Lfunc_end329-_Z38paged_attention_ll4mi_QKV_mfma4_kernelIDF16_DF16_LN4vllm18Fp8KVCacheDataTypeE0EhLi32ELi128ELi256ELb0ELi4EEvPKT_PKT0_S7_ifPKiS9_S9_iPKfiiiPfSC_PS2_PT2_iSB_SB_
                                        ; -- End function
	.section	.AMDGPU.csdata,"",@progbits
; Kernel info:
; codeLenInByte = 72
; NumSgprs: 36
; NumVgprs: 41
; ScratchSize: 64
; MemoryBound: 0
; FloatMode: 240
; IeeeMode: 1
; LDSByteSize: 0 bytes/workgroup (compile time only)
; SGPRBlocks: 4
; VGPRBlocks: 5
; NumSGPRsForWavesPerEU: 36
; NumVGPRsForWavesPerEU: 41
; Occupancy: 16
; WaveLimiterHint : 1
; COMPUTE_PGM_RSRC2:SCRATCH_EN: 1
; COMPUTE_PGM_RSRC2:USER_SGPR: 15
; COMPUTE_PGM_RSRC2:TRAP_HANDLER: 0
; COMPUTE_PGM_RSRC2:TGID_X_EN: 1
; COMPUTE_PGM_RSRC2:TGID_Y_EN: 0
; COMPUTE_PGM_RSRC2:TGID_Z_EN: 0
; COMPUTE_PGM_RSRC2:TIDIG_COMP_CNT: 0
	.section	.text._Z39paged_attention_ll4mi_QKV_mfma16_kernelIDF16_DF16_LN4vllm18Fp8KVCacheDataTypeE0EhLi32ELi128ELi256ELb0ELi5EL8MFMAType0EEvPKT_PKT0_S8_ifPKiSA_SA_iPKfiiiPfSD_PS3_PT2_iSC_SC_,"axG",@progbits,_Z39paged_attention_ll4mi_QKV_mfma16_kernelIDF16_DF16_LN4vllm18Fp8KVCacheDataTypeE0EhLi32ELi128ELi256ELb0ELi5EL8MFMAType0EEvPKT_PKT0_S8_ifPKiSA_SA_iPKfiiiPfSD_PS3_PT2_iSC_SC_,comdat
	.protected	_Z39paged_attention_ll4mi_QKV_mfma16_kernelIDF16_DF16_LN4vllm18Fp8KVCacheDataTypeE0EhLi32ELi128ELi256ELb0ELi5EL8MFMAType0EEvPKT_PKT0_S8_ifPKiSA_SA_iPKfiiiPfSD_PS3_PT2_iSC_SC_ ; -- Begin function _Z39paged_attention_ll4mi_QKV_mfma16_kernelIDF16_DF16_LN4vllm18Fp8KVCacheDataTypeE0EhLi32ELi128ELi256ELb0ELi5EL8MFMAType0EEvPKT_PKT0_S8_ifPKiSA_SA_iPKfiiiPfSD_PS3_PT2_iSC_SC_
	.globl	_Z39paged_attention_ll4mi_QKV_mfma16_kernelIDF16_DF16_LN4vllm18Fp8KVCacheDataTypeE0EhLi32ELi128ELi256ELb0ELi5EL8MFMAType0EEvPKT_PKT0_S8_ifPKiSA_SA_iPKfiiiPfSD_PS3_PT2_iSC_SC_
	.p2align	8
	.type	_Z39paged_attention_ll4mi_QKV_mfma16_kernelIDF16_DF16_LN4vllm18Fp8KVCacheDataTypeE0EhLi32ELi128ELi256ELb0ELi5EL8MFMAType0EEvPKT_PKT0_S8_ifPKiSA_SA_iPKfiiiPfSD_PS3_PT2_iSC_SC_,@function
_Z39paged_attention_ll4mi_QKV_mfma16_kernelIDF16_DF16_LN4vllm18Fp8KVCacheDataTypeE0EhLi32ELi128ELi256ELb0ELi5EL8MFMAType0EEvPKT_PKT0_S8_ifPKiSA_SA_iPKfiiiPfSD_PS3_PT2_iSC_SC_: ; @_Z39paged_attention_ll4mi_QKV_mfma16_kernelIDF16_DF16_LN4vllm18Fp8KVCacheDataTypeE0EhLi32ELi128ELi256ELb0ELi5EL8MFMAType0EEvPKT_PKT0_S8_ifPKiSA_SA_iPKfiiiPfSD_PS3_PT2_iSC_SC_
; %bb.0:
	s_load_b64 s[2:3], s[0:1], 0x30
	s_mov_b32 s34, s13
	s_waitcnt lgkmcnt(0)
	s_cmp_lg_u64 s[2:3], 0
	s_cselect_b32 s6, -1, 0
	s_ashr_i32 s35, s13, 31
	s_cmp_eq_u64 s[2:3], 0
	s_cbranch_scc1 .LBB330_3
; %bb.1:
	s_lshl_b64 s[4:5], s[34:35], 2
	s_delay_alu instid0(SALU_CYCLE_1) | instskip(SKIP_4) | instid1(SALU_CYCLE_1)
	s_add_u32 s4, s2, s4
	s_addc_u32 s5, s3, s5
	s_load_b64 s[4:5], s[4:5], 0x0
	s_waitcnt lgkmcnt(0)
	s_sub_i32 s4, s5, s4
	s_cmp_eq_u32 s4, 1
	s_cselect_b32 s4, -1, 0
	s_delay_alu instid0(SALU_CYCLE_1)
	s_and_not1_b32 vcc_lo, exec_lo, s4
	s_cbranch_vccz .LBB330_4
.LBB330_2:
	s_nop 0
	s_sendmsg sendmsg(MSG_DEALLOC_VGPRS)
	s_endpgm
.LBB330_3:
.LBB330_4:
	s_load_b64 s[8:9], s[0:1], 0x28
	s_lshl_b64 s[4:5], s[34:35], 2
	s_waitcnt lgkmcnt(0)
	s_add_u32 s8, s8, s4
	s_addc_u32 s9, s9, s5
	s_lshl_b32 s12, s14, 8
	s_load_b32 s17, s[8:9], 0x0
	s_waitcnt lgkmcnt(0)
	s_cmp_ge_i32 s12, s17
	s_cbranch_scc1 .LBB330_2
; %bb.5:
	s_and_not1_b32 vcc_lo, exec_lo, s6
	s_cbranch_vccnz .LBB330_7
; %bb.6:
	s_add_u32 s2, s2, s4
	s_addc_u32 s3, s3, s5
	s_load_b32 s13, s[2:3], 0x0
	s_branch .LBB330_8
.LBB330_7:
	s_mov_b32 s13, s34
.LBB330_8:
	s_clause 0x2
	s_load_b128 s[8:11], s[0:1], 0x8
	s_load_b64 s[2:3], s[0:1], 0x20
	s_load_b128 s[4:7], s[0:1], 0x48
	v_lshrrev_b32_e32 v78, 5, v0
	v_bfe_u32 v75, v0, 4, 1
	v_and_b32_e32 v77, 15, v0
	s_waitcnt lgkmcnt(0)
	s_mov_b32 s7, exec_lo
	s_delay_alu instid0(VALU_DEP_2) | instskip(NEXT) | instid1(VALU_DEP_2)
	v_lshl_or_b32 v3, v78, 1, v75
	v_lshlrev_b32_e32 v1, 3, v77
	s_delay_alu instid0(VALU_DEP_2)
	v_cmpx_lt_u32_e32 4, v3
	s_xor_b32 s7, exec_lo, s7
; %bb.9:
	v_mov_b32_e32 v2, 0
                                        ; implicit-def: $vgpr3
; %bb.10:
	s_or_saveexec_b32 s7, s7
	v_and_b32_e32 v80, 31, v0
	v_and_b32_e32 v76, 1, v0
	s_mul_i32 s31, s15, 5
	s_xor_b32 exec_lo, exec_lo, s7
	s_cbranch_execz .LBB330_12
; %bb.11:
	s_load_b64 s[18:19], s[0:1], 0x0
	v_add_lshl_u32 v4, v3, s31, 7
	s_mul_hi_i32 s21, s13, s4
	s_mul_i32 s20, s13, s4
	v_lshlrev_b32_e32 v2, 1, v1
	s_lshl_b64 s[20:21], s[20:21], 1
	v_ashrrev_i32_e32 v5, 31, v4
	v_lshlrev_b32_e32 v3, 6, v3
	v_lshlrev_b32_e32 v8, 10, v76
	s_delay_alu instid0(VALU_DEP_3) | instskip(SKIP_3) | instid1(VALU_DEP_1)
	v_lshlrev_b64 v[4:5], 1, v[4:5]
	s_waitcnt lgkmcnt(0)
	s_add_u32 s4, s18, s20
	s_addc_u32 s13, s19, s21
	v_add_co_u32 v4, vcc_lo, s4, v4
	s_delay_alu instid0(VALU_DEP_2) | instskip(NEXT) | instid1(VALU_DEP_2)
	v_add_co_ci_u32_e32 v5, vcc_lo, s13, v5, vcc_lo
	v_add_co_u32 v4, vcc_lo, v4, v2
	s_delay_alu instid0(VALU_DEP_2) | instskip(SKIP_3) | instid1(VALU_DEP_1)
	v_add_co_ci_u32_e32 v5, vcc_lo, 0, v5, vcc_lo
	v_lshlrev_b32_e32 v2, 10, v77
	global_load_b128 v[4:7], v[4:5], off
	v_and_b32_e32 v2, 0x3800, v2
	v_or3_b32 v3, v2, v8, v3
	v_mov_b32_e32 v2, 0
	s_waitcnt vmcnt(0)
	ds_store_b128 v3, v[4:7]
.LBB330_12:
	s_or_b32 exec_lo, exec_lo, s7
	v_and_b32_e32 v3, 0xef, v0
	s_add_i32 s4, s17, 31
	s_clause 0x1
	s_load_b32 s7, s[0:1], 0x38
	s_load_b32 s33, s[0:1], 0x98
	s_ashr_i32 s13, s4, 31
	v_add_nc_u32_e32 v3, s12, v3
	s_lshr_b32 s13, s13, 27
	s_load_b32 s18, s[0:1], 0x1c
	s_add_i32 s4, s4, s13
	s_waitcnt lgkmcnt(0)
	v_ashrrev_i32_e32 v4, 31, v3
	v_cmp_gt_i32_e32 vcc_lo, s17, v3
	s_ashr_i32 s4, s4, 5
	s_barrier
	s_add_i32 s4, s4, -1
	v_lshrrev_b32_e32 v5, 27, v4
	v_or_b32_e32 v4, 16, v3
	buffer_gl0_inv
	v_lshlrev_b64 v[73:74], 1, v[1:2]
	v_lshlrev_b32_e32 v79, 6, v77
	v_add_nc_u32_e32 v6, v3, v5
	v_add_nc_u32_e32 v5, v4, v5
	s_mul_i32 s20, s34, s7
	s_delay_alu instid0(SALU_CYCLE_1) | instskip(NEXT) | instid1(VALU_DEP_2)
	s_ashr_i32 s21, s20, 31
	v_ashrrev_i32_e32 v6, 5, v6
	s_delay_alu instid0(VALU_DEP_2) | instskip(SKIP_1) | instid1(SALU_CYCLE_1)
	v_ashrrev_i32_e32 v5, 5, v5
	s_lshl_b64 s[20:21], s[20:21], 2
	s_add_u32 s13, s2, s20
	s_delay_alu instid0(VALU_DEP_2) | instskip(SKIP_3) | instid1(SALU_CYCLE_1)
	v_cndmask_b32_e32 v3, s4, v6, vcc_lo
	v_cmp_gt_i32_e32 vcc_lo, s17, v4
	s_addc_u32 s16, s3, s21
	s_mul_i32 s2, s15, s6
	s_ashr_i32 s3, s2, 31
	v_cndmask_b32_e32 v5, s4, v5, vcc_lo
	v_ashrrev_i32_e32 v4, 31, v3
	s_lshl_b64 s[2:3], s[2:3], 1
	s_delay_alu instid0(SALU_CYCLE_1) | instskip(NEXT) | instid1(VALU_DEP_2)
	s_add_u32 s15, s8, s2
	v_ashrrev_i32_e32 v6, 31, v5
	s_delay_alu instid0(VALU_DEP_2) | instskip(SKIP_2) | instid1(VALU_DEP_2)
	v_lshlrev_b64 v[3:4], 2, v[3:4]
	s_addc_u32 s19, s9, s3
	s_lshl_b32 s6, s14, 3
	v_lshlrev_b64 v[5:6], 2, v[5:6]
	s_ashr_i32 s7, s6, 31
	s_delay_alu instid0(VALU_DEP_2) | instskip(SKIP_1) | instid1(VALU_DEP_3)
	v_add_co_u32 v3, vcc_lo, s13, v3
	v_add_co_ci_u32_e32 v4, vcc_lo, s16, v4, vcc_lo
	v_add_co_u32 v5, vcc_lo, s13, v5
	s_delay_alu instid0(VALU_DEP_4)
	v_add_co_ci_u32_e32 v6, vcc_lo, s16, v6, vcc_lo
	s_lshl_b64 s[6:7], s[6:7], 2
	s_clause 0x1
	global_load_b32 v7, v[3:4], off
	global_load_b32 v8, v[5:6], off
	s_add_u32 s6, s13, s6
	s_addc_u32 s7, s16, s7
	s_or_b32 s8, s12, 32
	s_delay_alu instid0(SALU_CYCLE_1) | instskip(SKIP_2) | instid1(SALU_CYCLE_1)
	s_ashr_i32 s9, s8, 5
	s_cmp_lt_i32 s8, s17
	s_cselect_b32 s8, s9, s4
	s_ashr_i32 s9, s8, 31
	s_delay_alu instid0(SALU_CYCLE_1) | instskip(NEXT) | instid1(SALU_CYCLE_1)
	s_lshl_b64 s[8:9], s[8:9], 2
	s_add_u32 s8, s13, s8
	s_addc_u32 s9, s16, s9
	s_or_b32 s20, s12, 64
	s_delay_alu instid0(SALU_CYCLE_1) | instskip(SKIP_2) | instid1(SALU_CYCLE_1)
	s_ashr_i32 s21, s20, 5
	s_cmp_lt_i32 s20, s17
	s_cselect_b32 s20, s21, s4
	s_ashr_i32 s21, s20, 31
	s_delay_alu instid0(SALU_CYCLE_1) | instskip(NEXT) | instid1(SALU_CYCLE_1)
	s_lshl_b64 s[20:21], s[20:21], 2
	;; [unrolled: 10-line block ×5, first 2 shown]
	s_add_u32 s26, s13, s26
	s_addc_u32 s27, s16, s27
	s_clause 0x5
	s_load_b32 s28, s[6:7], 0x0
	s_load_b32 s29, s[8:9], 0x0
	;; [unrolled: 1-line block ×6, first 2 shown]
	s_mov_b32 s20, 0
	s_or_b32 s6, s12, 0xc0
	s_mov_b32 s21, s20
	s_mov_b32 s22, s20
	;; [unrolled: 1-line block ×7, first 2 shown]
	s_ashr_i32 s7, s6, 5
	v_mov_b32_e32 v128, s27
	s_cmp_lt_i32 s6, s17
	v_mov_b32_e32 v127, s26
	s_cselect_b32 s6, s7, s4
	v_mov_b32_e32 v126, s25
	s_ashr_i32 s7, s6, 31
	v_mov_b32_e32 v125, s24
	s_lshl_b64 s[6:7], s[6:7], 2
	v_mov_b32_e32 v124, s23
	s_add_u32 s6, s13, s6
	s_addc_u32 s7, s16, s7
	v_mov_b32_e32 v123, s22
	v_mov_b32_e32 v121, s20
	s_waitcnt lgkmcnt(0)
	s_mul_hi_i32 s9, s28, s5
	s_mul_i32 s8, s28, s5
	s_mul_hi_i32 s37, s38, s5
	v_mov_b32_e32 v122, s21
	s_mul_hi_i32 s21, s29, s5
	s_mul_i32 s20, s29, s5
	s_mul_hi_i32 s25, s30, s5
	s_mul_i32 s24, s30, s5
	;; [unrolled: 2-line block ×3, first 2 shown]
	s_waitcnt vmcnt(1)
	v_mad_i64_i32 v[3:4], null, v7, s5, 0
	s_waitcnt vmcnt(0)
	v_mad_i64_i32 v[5:6], null, v8, s5, 0
	s_delay_alu instid0(VALU_DEP_2) | instskip(NEXT) | instid1(VALU_DEP_2)
	v_lshlrev_b64 v[3:4], 1, v[3:4]
	v_lshlrev_b64 v[1:2], 1, v[5:6]
	s_delay_alu instid0(VALU_DEP_2) | instskip(NEXT) | instid1(VALU_DEP_3)
	v_add_co_u32 v3, vcc_lo, s15, v3
	v_add_co_ci_u32_e32 v4, vcc_lo, s19, v4, vcc_lo
	s_delay_alu instid0(VALU_DEP_3) | instskip(NEXT) | instid1(VALU_DEP_4)
	v_add_co_u32 v1, vcc_lo, s15, v1
	v_add_co_ci_u32_e32 v2, vcc_lo, s19, v2, vcc_lo
	s_delay_alu instid0(VALU_DEP_4) | instskip(NEXT) | instid1(VALU_DEP_4)
	v_add_co_u32 v65, vcc_lo, v3, v73
	v_add_co_ci_u32_e32 v66, vcc_lo, v4, v74, vcc_lo
	s_delay_alu instid0(VALU_DEP_4) | instskip(NEXT) | instid1(VALU_DEP_4)
	v_add_co_u32 v67, vcc_lo, v1, v73
	v_add_co_ci_u32_e32 v68, vcc_lo, v2, v74, vcc_lo
	s_clause 0xf
	global_load_b128 v[1:4], v[65:66], off
	global_load_b128 v[5:8], v[65:66], off offset:512
	global_load_b128 v[9:12], v[67:68], off offset:256
	global_load_b128 v[13:16], v[67:68], off offset:768
	global_load_b128 v[17:20], v[65:66], off offset:1024
	global_load_b128 v[21:24], v[65:66], off offset:1536
	global_load_b128 v[25:28], v[67:68], off offset:1280
	global_load_b128 v[29:32], v[67:68], off offset:1792
	global_load_b128 v[33:36], v[65:66], off offset:2048
	global_load_b128 v[37:40], v[65:66], off offset:2560
	global_load_b128 v[41:44], v[67:68], off offset:2304
	global_load_b128 v[45:48], v[67:68], off offset:2816
	global_load_b128 v[49:52], v[65:66], off offset:3072
	global_load_b128 v[53:56], v[65:66], off offset:3584
	global_load_b128 v[57:60], v[67:68], off offset:3328
	global_load_b128 v[61:64], v[67:68], off offset:3840
	v_add_co_u32 v157, vcc_lo, 0x1000, v65
	v_add_co_ci_u32_e32 v158, vcc_lo, 0, v66, vcc_lo
	v_add_co_u32 v165, vcc_lo, 0x1000, v67
	v_add_co_ci_u32_e32 v166, vcc_lo, 0, v68, vcc_lo
	s_clause 0x7
	global_load_b128 v[81:84], v[157:158], off
	global_load_b128 v[85:88], v[157:158], off offset:512
	global_load_b128 v[89:92], v[165:166], off offset:256
	;; [unrolled: 1-line block ×7, first 2 shown]
	v_mul_lo_u16 v65, v77, 52
	s_or_b32 s15, s12, 0xe0
	s_delay_alu instid0(SALU_CYCLE_1) | instskip(SKIP_1) | instid1(VALU_DEP_1)
	s_ashr_i32 s19, s15, 5
	s_cmp_lt_i32 s15, s17
	v_lshrrev_b16 v65, 8, v65
	s_cselect_b32 s22, s19, s4
	s_delay_alu instid0(SALU_CYCLE_1) | instskip(NEXT) | instid1(VALU_DEP_1)
	s_ashr_i32 s23, s22, 31
	v_mul_lo_u16 v65, v65, 5
	s_lshl_b64 s[22:23], s[22:23], 2
	s_delay_alu instid0(SALU_CYCLE_1) | instskip(SKIP_1) | instid1(VALU_DEP_1)
	s_add_u32 s22, s13, s22
	s_addc_u32 s23, s16, s23
	v_sub_nc_u16 v65, v77, v65
	s_add_i32 s15, s12, 0x100
	s_delay_alu instid0(SALU_CYCLE_1) | instskip(SKIP_1) | instid1(VALU_DEP_1)
	s_ashr_i32 s19, s15, 5
	s_cmp_lt_i32 s15, s17
	v_and_b32_e32 v65, 0xff, v65
	s_cselect_b32 s28, s19, s4
	s_delay_alu instid0(SALU_CYCLE_1) | instskip(NEXT) | instid1(VALU_DEP_1)
	s_ashr_i32 s29, s28, 31
	v_lshlrev_b32_e32 v169, 6, v65
	ds_load_b128 v[65:68], v169
	ds_load_b128 v[69:72], v169 offset:1024
	s_clause 0x1
	global_load_b128 v[113:116], v[157:158], off offset:2048
	global_load_b128 v[117:120], v[157:158], off offset:2560
	ds_load_b128 v[129:132], v169 offset:2048
	ds_load_b128 v[133:136], v169 offset:3072
	s_clause 0x5
	global_load_b128 v[145:148], v[165:166], off offset:2304
	global_load_b128 v[149:152], v[165:166], off offset:2816
	;; [unrolled: 1-line block ×6, first 2 shown]
	s_lshl_b64 s[28:29], s[28:29], 2
	s_delay_alu instid0(SALU_CYCLE_1)
	s_add_u32 s28, s13, s28
	s_addc_u32 s29, s16, s29
	s_add_u32 s4, s10, s2
	s_addc_u32 s19, s11, s3
	s_lshl_b64 s[2:3], s[8:9], 1
	s_lshl_b64 s[8:9], s[20:21], 1
	;; [unrolled: 1-line block ×4, first 2 shown]
	s_waitcnt vmcnt(30) lgkmcnt(2)
	v_wmma_f32_16x16x16_f16 v[137:144], v[1:8], v[65:72], v[121:128]
	ds_load_b128 v[1:4], v169 offset:4096
	ds_load_b128 v[5:8], v169 offset:5120
	s_waitcnt vmcnt(28)
	v_wmma_f32_16x16x16_f16 v[121:128], v[9:16], v[65:72], v[121:128]
	ds_load_b128 v[9:12], v169 offset:6144
	ds_load_b128 v[13:16], v169 offset:7168
	s_waitcnt vmcnt(26) lgkmcnt(4)
	v_wmma_f32_16x16x16_f16 v[137:144], v[17:24], v[129:136], v[137:144]
	ds_load_b128 v[17:20], v169 offset:8192
	ds_load_b128 v[21:24], v169 offset:9216
	s_waitcnt vmcnt(24)
	v_wmma_f32_16x16x16_f16 v[121:128], v[25:32], v[129:136], v[121:128]
	v_lshl_or_b32 v25, v78, 10, v79
	ds_load_b128 v[129:132], v169 offset:10240
	ds_load_b128 v[133:136], v169 offset:11264
	s_clause 0x2
	s_load_b32 s15, s[6:7], 0x0
	s_load_b32 s13, s[22:23], 0x0
	;; [unrolled: 1-line block ×3, first 2 shown]
	s_mul_hi_i32 s7, s36, s5
	v_add_co_u32 v170, s4, s4, v25
	s_delay_alu instid0(VALU_DEP_1)
	v_add_co_ci_u32_e64 v171, null, s19, 0, s4
	s_mul_i32 s6, s36, s5
	s_mul_i32 s36, s38, s5
	s_lshl_b64 s[6:7], s[6:7], 1
	s_lshl_b64 s[22:23], s[36:37], 1
	s_waitcnt vmcnt(22) lgkmcnt(0)
	v_wmma_f32_16x16x16_f16 v[137:144], v[33:40], v[1:8], v[137:144]
	s_waitcnt vmcnt(20)
	v_wmma_f32_16x16x16_f16 v[121:128], v[41:48], v[1:8], v[121:128]
	v_add_co_u32 v1, vcc_lo, v170, s2
	v_add_co_ci_u32_e32 v2, vcc_lo, s3, v171, vcc_lo
	v_add_co_u32 v3, vcc_lo, v170, s8
	v_add_co_ci_u32_e32 v4, vcc_lo, s9, v171, vcc_lo
	v_add_co_u32 v5, vcc_lo, v170, s10
	v_add_co_ci_u32_e32 v6, vcc_lo, s11, v171, vcc_lo
	v_add_co_u32 v7, vcc_lo, v170, s20
	v_add_co_ci_u32_e32 v8, vcc_lo, s21, v171, vcc_lo
	v_add_co_u32 v25, vcc_lo, v170, s6
	s_mul_hi_i32 s25, s15, s5
	s_mul_i32 s24, s15, s5
	v_add_co_ci_u32_e32 v26, vcc_lo, s7, v171, vcc_lo
	v_add_co_u32 v27, vcc_lo, v170, s22
	s_lshl_b64 s[24:25], s[24:25], 1
	s_waitcnt vmcnt(18)
	v_wmma_f32_16x16x16_f16 v[137:144], v[49:56], v[9:16], v[137:144]
	s_waitcnt vmcnt(16)
	v_wmma_f32_16x16x16_f16 v[121:128], v[57:64], v[9:16], v[121:128]
	v_add_co_ci_u32_e32 v28, vcc_lo, s23, v171, vcc_lo
	s_mul_hi_i32 s3, s13, s5
	s_mul_i32 s2, s13, s5
	v_add_co_u32 v29, vcc_lo, v170, s24
	s_lshl_b64 s[2:3], s[2:3], 1
	v_add_co_ci_u32_e32 v30, vcc_lo, s25, v171, vcc_lo
	s_waitcnt vmcnt(14)
	v_wmma_f32_16x16x16_f16 v[137:144], v[81:88], v[17:24], v[137:144]
	s_waitcnt vmcnt(12)
	v_wmma_f32_16x16x16_f16 v[121:128], v[89:96], v[17:24], v[121:128]
	v_add_co_u32 v17, vcc_lo, v170, s2
	v_add_co_ci_u32_e32 v18, vcc_lo, s3, v171, vcc_lo
	s_mul_hi_i32 s3, s16, s5
	s_mul_i32 s2, s16, s5
	s_clause 0x5
	global_load_b128 v[65:68], v[1:2], off
	global_load_b128 v[69:72], v[1:2], off offset:16
	global_load_b128 v[57:60], v[3:4], off
	global_load_b128 v[61:64], v[3:4], off offset:16
	;; [unrolled: 2-line block ×3, first 2 shown]
	s_lshl_b64 s[2:3], s[2:3], 1
	s_clause 0x1
	global_load_b128 v[41:44], v[7:8], off
	global_load_b128 v[45:48], v[7:8], off offset:16
	v_add_co_u32 v21, vcc_lo, v170, s2
	v_add_co_ci_u32_e32 v22, vcc_lo, s3, v171, vcc_lo
	s_clause 0x9
	global_load_b128 v[9:12], v[25:26], off
	global_load_b128 v[13:16], v[25:26], off offset:16
	global_load_b128 v[1:4], v[27:28], off
	global_load_b128 v[5:8], v[27:28], off offset:16
	global_load_b128 v[33:36], v[29:30], off
	global_load_b128 v[37:40], v[29:30], off offset:16
	global_load_b128 v[25:28], v[17:18], off
	global_load_b128 v[29:32], v[17:18], off offset:16
	global_load_b128 v[17:20], v[21:22], off
	global_load_b128 v[21:24], v[21:22], off offset:16
	ds_load_b128 v[81:84], v169 offset:12288
	ds_load_b128 v[85:88], v169 offset:13312
	v_and_b32_e32 v89, 0xe0, v0
	s_waitcnt vmcnt(28)
	v_wmma_f32_16x16x16_f16 v[137:144], v[97:104], v[129:136], v[137:144]
	v_mbcnt_lo_u32_b32 v97, -1, 0
	s_waitcnt vmcnt(26)
	v_wmma_f32_16x16x16_f16 v[121:128], v[105:112], v[129:136], v[121:128]
	v_add_nc_u32_e32 v98, s12, v89
	ds_load_b128 v[89:92], v169 offset:14336
	ds_load_b128 v[93:96], v169 offset:15360
	v_xor_b32_e32 v99, 16, v97
	s_waitcnt vmcnt(0) lgkmcnt(0)
	s_barrier
	v_or_b32_e32 v98, v98, v75
	buffer_gl0_inv
	v_cmp_gt_i32_e32 vcc_lo, 32, v99
	v_or_b32_e32 v100, 4, v98
	v_or_b32_e32 v101, 22, v98
	;; [unrolled: 1-line block ×4, first 2 shown]
	v_wmma_f32_16x16x16_f16 v[137:144], v[113:120], v[81:88], v[137:144]
	v_wmma_f32_16x16x16_f16 v[121:128], v[145:152], v[81:88], v[121:128]
	v_or_b32_e32 v81, 6, v98
	v_or_b32_e32 v82, 8, v98
	;; [unrolled: 1-line block ×3, first 2 shown]
	v_cmp_gt_i32_e64 s3, s17, v100
	v_or_b32_e32 v84, 12, v98
	v_wmma_f32_16x16x16_f16 v[137:144], v[153:160], v[89:96], v[137:144]
	v_wmma_f32_16x16x16_f16 v[121:128], v[161:168], v[89:96], v[121:128]
	v_cndmask_b32_e32 v97, v97, v99, vcc_lo
	v_or_b32_e32 v99, 2, v98
	v_cmp_gt_i32_e32 vcc_lo, s17, v98
	v_dual_mul_f32 v95, s18, v138 :: v_dual_mul_f32 v96, s18, v137
	v_mul_f32_e32 v93, s18, v140
	s_delay_alu instid0(VALU_DEP_4)
	v_cmp_gt_i32_e64 s2, s17, v99
	v_mul_f32_e32 v94, s18, v139
	v_mul_f32_e32 v108, s18, v126
	v_cndmask_b32_e32 v96, 0xff7fffff, v96, vcc_lo
	v_cmp_gt_i32_e64 s4, s17, v81
	v_cndmask_b32_e64 v95, 0xff7fffff, v95, s2
	v_or_b32_e32 v85, 14, v98
	v_dual_mul_f32 v91, s18, v142 :: v_dual_mul_f32 v110, s18, v124
	v_mul_f32_e32 v92, s18, v141
	v_cndmask_b32_e64 v94, 0xff7fffff, v94, s3
	v_cndmask_b32_e64 v81, 0xff7fffff, v93, s4
	v_max3_f32 v93, v96, 0xff7fffff, v95
	v_cmp_gt_i32_e64 s5, s17, v82
	v_cmp_gt_i32_e64 s6, s17, v83
	v_or_b32_e32 v86, 16, v98
	v_or_b32_e32 v87, 18, v98
	v_dual_mul_f32 v89, s18, v144 :: v_dual_mul_f32 v112, s18, v122
	v_mul_f32_e32 v90, s18, v143
	v_cndmask_b32_e64 v82, 0xff7fffff, v92, s5
	v_cndmask_b32_e64 v83, 0xff7fffff, v91, s6
	v_max3_f32 v81, v93, v94, v81
	v_cmp_gt_i32_e64 s7, s17, v84
	v_cmp_gt_i32_e64 s8, s17, v85
	v_or_b32_e32 v88, 20, v98
	v_mul_f32_e32 v113, s18, v121
	v_max3_f32 v81, v81, v82, v83
	v_cndmask_b32_e64 v84, 0xff7fffff, v90, s7
	v_cndmask_b32_e64 v85, 0xff7fffff, v89, s8
	v_cmp_gt_i32_e64 s9, s17, v86
	v_cmp_gt_i32_e64 s10, s17, v87
	v_mul_f32_e32 v111, s18, v123
	v_cmp_gt_i32_e64 s11, s17, v88
	v_max3_f32 v81, v81, v84, v85
	v_cndmask_b32_e64 v82, 0xff7fffff, v113, s9
	v_cndmask_b32_e64 v83, 0xff7fffff, v112, s10
	v_cmp_gt_i32_e64 s12, s17, v101
	v_or_b32_e32 v104, 28, v98
	v_or_b32_e32 v105, 30, v98
	v_mul_f32_e32 v109, s18, v125
	v_cndmask_b32_e64 v84, 0xff7fffff, v111, s11
	v_cndmask_b32_e64 v85, 0xff7fffff, v110, s12
	v_max3_f32 v81, v81, v82, v83
	v_cmp_gt_i32_e64 s13, s17, v102
	v_cmp_gt_i32_e64 s15, s17, v103
	v_dual_mul_f32 v106, s18, v128 :: v_dual_mul_f32 v107, s18, v127
	s_delay_alu instid0(VALU_DEP_4) | instskip(NEXT) | instid1(VALU_DEP_4)
	v_max3_f32 v81, v81, v84, v85
	v_cndmask_b32_e64 v82, 0xff7fffff, v109, s13
	s_delay_alu instid0(VALU_DEP_4) | instskip(SKIP_2) | instid1(VALU_DEP_3)
	v_cndmask_b32_e64 v83, 0xff7fffff, v108, s15
	v_cmp_gt_i32_e64 s16, s17, v104
	v_cmp_gt_i32_e64 s17, s17, v105
	v_max3_f32 v81, v81, v82, v83
	s_delay_alu instid0(VALU_DEP_3) | instskip(NEXT) | instid1(VALU_DEP_3)
	v_cndmask_b32_e64 v84, 0xff7fffff, v107, s16
	v_cndmask_b32_e64 v85, 0xff7fffff, v106, s17
	v_lshlrev_b32_e32 v83, 2, v97
	s_delay_alu instid0(VALU_DEP_2) | instskip(SKIP_3) | instid1(VALU_DEP_1)
	v_max3_f32 v81, v81, v84, v85
	ds_bpermute_b32 v82, v83, v81
	s_waitcnt lgkmcnt(0)
	v_max_f32_e32 v82, v82, v82
	v_max_f32_e32 v81, v81, v82
	s_delay_alu instid0(VALU_DEP_1)
	v_fma_f32 v82, s18, v137, -v81
	v_fma_f32 v84, s18, v138, -v81
	;; [unrolled: 1-line block ×5, first 2 shown]
	v_mul_f32_e32 v82, 0x3fb8aa3b, v82
	s_delay_alu instid0(VALU_DEP_4) | instskip(NEXT) | instid1(VALU_DEP_3)
	v_dual_mul_f32 v84, 0x3fb8aa3b, v84 :: v_dual_mul_f32 v89, 0x3fb8aa3b, v87
	v_mul_f32_e32 v86, 0x3fb8aa3b, v86
	s_delay_alu instid0(VALU_DEP_3) | instskip(NEXT) | instid1(VALU_DEP_2)
	v_exp_f32_e32 v82, v82
	v_exp_f32_e32 v84, v84
	s_delay_alu instid0(VALU_DEP_2) | instskip(NEXT) | instid1(VALU_DEP_1)
	v_exp_f32_e32 v92, v89
	v_exp_f32_e32 v86, v86
	v_cndmask_b32_e32 v88, 0, v82, vcc_lo
	s_delay_alu instid0(TRANS32_DEP_3)
	v_cndmask_b32_e64 v87, 0, v84, s2
	s_waitcnt_depctr 0xfff
	v_cndmask_b32_e64 v92, 0, v92, s5
	v_cmp_gt_u32_e64 s2, 16, v80
	v_cndmask_b32_e64 v89, 0, v86, s4
	v_add_f32_e32 v84, 0, v88
	s_delay_alu instid0(VALU_DEP_1) | instskip(NEXT) | instid1(VALU_DEP_1)
	v_dual_add_f32 v84, v84, v87 :: v_dual_mul_f32 v85, 0x3fb8aa3b, v85
	v_exp_f32_e32 v85, v85
	s_waitcnt_depctr 0xfff
	v_cndmask_b32_e64 v90, 0, v85, s3
	s_delay_alu instid0(VALU_DEP_1) | instskip(NEXT) | instid1(VALU_DEP_1)
	v_add_f32_e32 v84, v84, v90
	v_add_f32_e32 v84, v84, v89
	v_fma_f32 v82, s18, v142, -v81
	v_fma_f32 v91, s18, v143, -v81
	;; [unrolled: 1-line block ×5, first 2 shown]
	s_delay_alu instid0(VALU_DEP_4) | instskip(SKIP_1) | instid1(VALU_DEP_4)
	v_dual_mul_f32 v82, 0x3fb8aa3b, v82 :: v_dual_mul_f32 v91, 0x3fb8aa3b, v91
	v_fma_f32 v96, s18, v124, -v81
	v_mul_f32_e32 v86, 0x3fb8aa3b, v86
	v_fma_f32 v99, s18, v127, -v81
	s_delay_alu instid0(VALU_DEP_4) | instskip(SKIP_3) | instid1(VALU_DEP_1)
	v_exp_f32_e32 v82, v82
	v_exp_f32_e32 v93, v91
	v_mul_f32_e32 v97, 0x3fb8aa3b, v96
	v_exp_f32_e32 v86, v86
	v_exp_f32_e32 v97, v97
	v_cndmask_b32_e64 v91, 0, v82, s6
	v_dual_add_f32 v82, v84, v92 :: v_dual_mul_f32 v85, 0x3fb8aa3b, v85
	v_fma_f32 v84, s18, v123, -v81
	v_mul_f32_e32 v95, 0x3fb8aa3b, v94
	s_delay_alu instid0(TRANS32_DEP_3) | instskip(NEXT) | instid1(VALU_DEP_4)
	v_cndmask_b32_e64 v94, 0, v93, s7
	v_add_f32_e32 v82, v82, v91
	v_exp_f32_e32 v85, v85
	v_mul_f32_e32 v84, 0x3fb8aa3b, v84
	v_cndmask_b32_e64 v96, 0, v86, s9
	v_exp_f32_e32 v95, v95
	v_add_f32_e32 v82, v82, v94
	v_fma_f32 v86, s18, v126, -v81
	v_exp_f32_e32 v84, v84
	v_cndmask_b32_e64 v97, 0, v97, s12
	s_delay_alu instid0(TRANS32_DEP_3) | instskip(SKIP_2) | instid1(TRANS32_DEP_2)
	v_cndmask_b32_e64 v93, 0, v85, s8
	v_fma_f32 v85, s18, v125, -v81
	v_mul_f32_e32 v86, 0x3fb8aa3b, v86
	v_cndmask_b32_e64 v95, 0, v95, s10
	s_waitcnt_depctr 0xfff
	v_cndmask_b32_e64 v98, 0, v84, s11
	v_mul_f32_e32 v84, 0x3fb8aa3b, v99
	v_fma_f32 v99, s18, v128, -v81
	v_add_f32_e32 v82, v82, v93
	v_mul_f32_e32 v85, 0x3fb8aa3b, v85
	v_exp_f32_e32 v86, v86
	v_exp_f32_e32 v84, v84
	s_delay_alu instid0(VALU_DEP_1)
	v_exp_f32_e32 v85, v85
	s_waitcnt_depctr 0xfff
	v_cndmask_b32_e64 v102, 0, v84, s16
	v_cndmask_b32_e64 v100, 0, v85, s13
	v_dual_mul_f32 v85, 0x3fb8aa3b, v99 :: v_dual_add_f32 v82, v82, v96
	v_cndmask_b32_e64 v99, 0, v86, s15
	s_delay_alu instid0(VALU_DEP_2) | instskip(NEXT) | instid1(VALU_DEP_2)
	v_exp_f32_e32 v85, v85
	v_add_f32_e32 v82, v82, v95
	s_delay_alu instid0(VALU_DEP_1) | instskip(SKIP_3) | instid1(VALU_DEP_1)
	v_add_f32_e32 v82, v82, v98
	s_waitcnt_depctr 0xfff
	v_cndmask_b32_e64 v101, 0, v85, s17
	v_add_f32_e32 v82, v82, v97
	v_add_f32_e32 v82, v82, v100
	s_delay_alu instid0(VALU_DEP_1) | instskip(NEXT) | instid1(VALU_DEP_1)
	v_add_f32_e32 v82, v82, v99
	v_add_f32_e32 v82, v82, v102
	s_delay_alu instid0(VALU_DEP_1)
	v_add_f32_e32 v82, v82, v101
	ds_bpermute_b32 v83, v83, v82
	s_and_saveexec_b32 s3, s2
	s_cbranch_execz .LBB330_14
; %bb.13:
	v_mul_u32_u24_e32 v80, 0x44, v78
	s_waitcnt lgkmcnt(0)
	v_add_f32_e32 v82, v82, v83
	s_delay_alu instid0(VALU_DEP_2) | instskip(NEXT) | instid1(VALU_DEP_1)
	v_lshl_add_u32 v80, v77, 2, v80
	v_add_nc_u32_e32 v80, 0x4000, v80
	ds_store_2addr_b32 v80, v81, v82 offset1:136
.LBB330_14:
	s_or_b32 exec_lo, exec_lo, s3
	v_lshlrev_b32_e32 v80, 2, v77
	s_load_b32 s35, s[0:1], 0x94
	s_waitcnt lgkmcnt(0)
	s_barrier
	buffer_gl0_inv
	v_add_nc_u32_e32 v84, 0x4000, v80
	v_cmp_eq_u32_e32 vcc_lo, 1, v78
	v_cmp_eq_u32_e64 s3, 2, v78
	v_cmp_eq_u32_e64 s4, 3, v78
	;; [unrolled: 1-line block ×3, first 2 shown]
	ds_load_2addr_b32 v[80:81], v84 offset1:17
	ds_load_2addr_b32 v[82:83], v84 offset0:34 offset1:51
	ds_load_2addr_b32 v[103:104], v84 offset0:68 offset1:85
	;; [unrolled: 1-line block ×3, first 2 shown]
	v_cmp_eq_u32_e64 s6, 7, v78
	s_waitcnt lgkmcnt(3)
	v_max3_f32 v85, v80, 0xff7fffff, v81
	s_waitcnt lgkmcnt(2)
	s_delay_alu instid0(VALU_DEP_1) | instskip(SKIP_1) | instid1(VALU_DEP_1)
	v_max3_f32 v85, v85, v82, v83
	s_waitcnt lgkmcnt(1)
	v_max3_f32 v85, v85, v103, v104
	s_waitcnt lgkmcnt(0)
	s_delay_alu instid0(VALU_DEP_1) | instskip(NEXT) | instid1(VALU_DEP_1)
	v_max3_f32 v85, v85, v105, v106
	v_sub_f32_e32 v103, v103, v85
	ds_load_2addr_b32 v[107:108], v84 offset0:136 offset1:153
	v_sub_f32_e32 v80, v80, v85
	v_dual_sub_f32 v110, v83, v85 :: v_dual_mul_f32 v113, 0x3fb8aa3b, v103
	s_delay_alu instid0(VALU_DEP_2) | instskip(SKIP_3) | instid1(VALU_DEP_1)
	v_dual_sub_f32 v86, v81, v85 :: v_dual_mul_f32 v109, 0x3fb8aa3b, v80
	ds_load_2addr_b32 v[80:81], v84 offset0:170 offset1:187
	v_mul_f32_e32 v86, 0x3fb8aa3b, v86
	v_exp_f32_e32 v109, v109
	v_exp_f32_e32 v112, v86
	v_mul_f32_e32 v110, 0x3fb8aa3b, v110
	s_waitcnt lgkmcnt(1)
	s_waitcnt_depctr 0xfff
	v_fma_f32 v86, v109, v107, 0
	v_sub_f32_e32 v107, v104, v85
	v_sub_f32_e32 v82, v82, v85
	v_exp_f32_e32 v110, v110
	ds_load_2addr_b32 v[103:104], v84 offset0:238 offset1:255
	v_dual_fmac_f32 v86, v112, v108 :: v_dual_mul_f32 v111, 0x3fb8aa3b, v82
	ds_load_2addr_b32 v[82:83], v84 offset0:204 offset1:221
	v_dual_sub_f32 v84, v105, v85 :: v_dual_mul_f32 v105, 0x3fb8aa3b, v107
	v_exp_f32_e32 v107, v113
	v_exp_f32_e32 v111, v111
	s_waitcnt lgkmcnt(0)
	s_delay_alu instid0(VALU_DEP_1)
	v_mul_f32_e32 v84, 0x3fb8aa3b, v84
	v_exp_f32_e32 v105, v105
	s_barrier
	buffer_gl0_inv
	v_fmac_f32_e32 v86, v111, v80
	v_sub_f32_e32 v80, v106, v85
	v_exp_f32_e32 v106, v84
	s_delay_alu instid0(VALU_DEP_2) | instskip(NEXT) | instid1(VALU_DEP_2)
	v_fmac_f32_e32 v86, v110, v81
	v_mul_f32_e32 v80, 0x3fb8aa3b, v80
	s_delay_alu instid0(VALU_DEP_2) | instskip(NEXT) | instid1(VALU_DEP_2)
	v_dual_cndmask_b32 v81, v109, v112 :: v_dual_fmac_f32 v86, v107, v82
	v_exp_f32_e32 v108, v80
	s_delay_alu instid0(VALU_DEP_1) | instskip(SKIP_2) | instid1(VALU_DEP_1)
	v_fmac_f32_e32 v86, v105, v83
	s_waitcnt_depctr 0xfff
	v_fmac_f32_e32 v86, v106, v103
	v_fmac_f32_e32 v86, v108, v104
	s_delay_alu instid0(VALU_DEP_1) | instskip(NEXT) | instid1(VALU_DEP_1)
	v_add_f32_e32 v103, 0x358637bd, v86
	v_div_scale_f32 v104, null, v103, v103, 1.0
	v_div_scale_f32 v109, vcc_lo, 1.0, v103, 1.0
	s_delay_alu instid0(VALU_DEP_2) | instskip(SKIP_2) | instid1(VALU_DEP_1)
	v_rcp_f32_e32 v113, v104
	s_waitcnt_depctr 0xfff
	v_fma_f32 v80, -v104, v113, 1.0
	v_fmac_f32_e32 v113, v80, v113
	v_cndmask_b32_e64 v80, v81, v111, s3
	v_cmp_eq_u32_e64 s3, 4, v78
	v_lshl_or_b32 v81, v78, 11, v79
	s_delay_alu instid0(VALU_DEP_4) | instskip(NEXT) | instid1(VALU_DEP_4)
	v_mul_f32_e32 v111, v109, v113
	v_cndmask_b32_e64 v82, v80, v110, s4
	v_cmp_eq_u32_e64 s4, 6, v78
	s_delay_alu instid0(VALU_DEP_4) | instskip(SKIP_3) | instid1(VALU_DEP_3)
	v_lshl_or_b32 v78, v75, 4, v81
	v_lshlrev_b32_e32 v80, 2, v75
	v_fma_f32 v83, -v104, v111, v109
	v_cndmask_b32_e64 v84, v82, v107, s3
	v_or_b32_e32 v82, 1, v80
	s_delay_alu instid0(VALU_DEP_3) | instskip(NEXT) | instid1(VALU_DEP_3)
	v_fmac_f32_e32 v111, v83, v113
	v_cndmask_b32_e64 v105, v84, v105, s5
	v_or_b32_e32 v84, 2, v80
	v_or_b32_e32 v83, 3, v80
	v_cmp_eq_u32_e64 s3, 1, v80
	v_fma_f32 v104, -v104, v111, v109
	v_cndmask_b32_e64 v105, v105, v106, s4
	v_cmp_eq_u32_e64 s9, 1, v82
	v_cmp_eq_u32_e64 s10, 1, v84
	;; [unrolled: 1-line block ×3, first 2 shown]
	v_div_fmas_f32 v104, v104, v113, v111
	v_cndmask_b32_e64 v105, v105, v108, s6
	v_cmp_eq_u32_e32 vcc_lo, 2, v80
	v_cmp_eq_u32_e64 s12, 2, v82
	v_cmp_eq_u32_e64 s15, 2, v84
	v_div_fixup_f32 v103, v104, v103, 1.0
	v_cmp_eq_u32_e64 s16, 2, v83
	v_cmp_eq_u32_e64 s18, 3, v83
	;; [unrolled: 1-line block ×4, first 2 shown]
	v_mul_f32_e32 v111, v105, v103
	v_cmp_eq_u32_e64 s17, 3, v84
	v_cmp_eq_u32_e64 s22, 4, v83
	;; [unrolled: 1-line block ×4, first 2 shown]
	v_fma_mixlo_f16 v103, v111, v88, 0
	v_fma_mixlo_f16 v104, v111, v90, 0
	;; [unrolled: 1-line block ×8, first 2 shown]
	v_fma_mixhi_f16 v103, v111, v87, 0
	v_fma_mixhi_f16 v104, v111, v89, 0
	;; [unrolled: 1-line block ×8, first 2 shown]
	ds_store_b128 v78, v[103:106]
	ds_store_b128 v78, v[107:110] offset:1024
	s_waitcnt lgkmcnt(0)
	s_barrier
	buffer_gl0_inv
	ds_load_b128 v[87:90], v81
	ds_load_b128 v[91:94], v81 offset:16
	ds_load_b128 v[95:98], v81 offset:1024
	;; [unrolled: 1-line block ×3, first 2 shown]
	v_cmp_eq_u32_e64 s21, 4, v84
	v_cmp_eq_u32_e64 s24, 5, v83
	v_cmp_eq_u32_e64 s6, 5, v80
	v_cmp_eq_u32_e64 s20, 5, v82
	v_cmp_eq_u32_e64 s23, 5, v84
	v_cmp_eq_u32_e64 s27, 6, v83
	v_cmp_eq_u32_e64 s7, 6, v80
	v_cmp_eq_u32_e64 s25, 6, v82
	v_cmp_eq_u32_e64 s26, 6, v84
	v_cmp_eq_u32_e64 s29, 7, v83
	v_cmp_eq_u32_e64 s8, 7, v80
	v_cmp_eq_u32_e64 s28, 7, v84
	v_cmp_eq_u32_e64 s30, 7, v82
	s_waitcnt lgkmcnt(3)
	v_lshrrev_b32_e32 v103, 16, v87
	s_waitcnt lgkmcnt(2)
	v_lshrrev_b32_e32 v107, 16, v91
	;; [unrolled: 2-line block ×4, first 2 shown]
	v_lshrrev_b32_e32 v104, 16, v88
	v_cndmask_b32_e64 v119, v87, v103, s3
	v_cndmask_b32_e64 v120, v91, v107, s3
	;; [unrolled: 1-line block ×8, first 2 shown]
	v_lshrrev_b32_e32 v108, 16, v92
	v_cndmask_b32_e64 v103, v95, v111, s3
	v_cndmask_b32_e64 v107, v99, v115, s3
	;; [unrolled: 1-line block ×5, first 2 shown]
	v_cndmask_b32_e32 v111, v119, v88, vcc_lo
	v_cndmask_b32_e64 v119, v121, v88, s12
	v_cndmask_b32_e64 v121, v123, v88, s15
	;; [unrolled: 1-line block ×4, first 2 shown]
	v_lshrrev_b32_e32 v112, 16, v96
	v_lshrrev_b32_e32 v116, 16, v100
	v_cndmask_b32_e64 v126, v99, v115, s9
	v_cndmask_b32_e64 v128, v99, v115, s10
	v_cndmask_b32_e64 v99, v99, v115, s11
	v_cndmask_b32_e32 v115, v120, v92, vcc_lo
	v_cndmask_b32_e64 v120, v122, v92, s12
	v_cndmask_b32_e64 v122, v124, v92, s15
	v_cndmask_b32_e32 v91, v103, v96, vcc_lo
	v_cndmask_b32_e32 v92, v107, v100, vcc_lo
	v_cndmask_b32_e64 v103, v125, v96, s12
	v_cndmask_b32_e64 v87, v87, v104, s18
	v_cndmask_b32_e64 v88, v88, v108, s18
	v_lshrrev_b32_e32 v105, 16, v89
	v_lshrrev_b32_e32 v109, 16, v93
	v_cndmask_b32_e64 v107, v127, v96, s15
	v_cndmask_b32_e64 v95, v95, v96, s16
	;; [unrolled: 1-line block ×14, first 2 shown]
	v_lshrrev_b32_e32 v113, 16, v97
	v_cndmask_b32_e64 v99, v99, v89, s5
	v_cndmask_b32_e64 v104, v111, v93, s5
	v_cndmask_b32_e64 v108, v115, v89, s19
	v_cndmask_b32_e64 v111, v119, v93, s19
	v_cndmask_b32_e64 v115, v120, v89, s21
	v_cndmask_b32_e64 v119, v121, v93, s21
	v_cndmask_b32_e64 v89, v91, v97, s5
	v_cndmask_b32_e64 v91, v92, v101, s5
	v_cndmask_b32_e64 v92, v103, v97, s19
	v_cndmask_b32_e64 v87, v87, v105, s24
	v_cndmask_b32_e64 v88, v88, v109, s24
	v_lshrrev_b32_e32 v106, 16, v90
	v_lshrrev_b32_e32 v110, 16, v94
	v_cndmask_b32_e64 v93, v99, v105, s6
	v_cndmask_b32_e64 v99, v104, v109, s6
	;; [unrolled: 1-line block ×9, first 2 shown]
	v_lshrrev_b32_e32 v114, 16, v98
	v_cndmask_b32_e64 v89, v89, v113, s6
	v_cndmask_b32_e64 v93, v93, v90, s7
	;; [unrolled: 1-line block ×19, first 2 shown]
	v_perm_b32 v90, v88, v87, 0x5040100
	v_cndmask_b32_e64 v87, v126, v100, s12
	v_cndmask_b32_e64 v105, v89, v114, s8
	v_perm_b32 v89, v103, v99, 0x5040100
	v_perm_b32 v88, v104, v94, 0x5040100
	v_cndmask_b32_e64 v94, v107, v112, s17
	v_cndmask_b32_e64 v95, v95, v112, s18
	v_cndmask_b32_e64 v96, v96, v116, s18
	v_cndmask_b32_e64 v99, v123, v116, s17
	v_cndmask_b32_e64 v87, v87, v116, s13
	v_lshrrev_b32_e32 v117, 16, v101
	v_cndmask_b32_e64 v94, v94, v97, s21
	v_cndmask_b32_e64 v95, v95, v97, s22
	;; [unrolled: 1-line block ×11, first 2 shown]
	v_lshrrev_b32_e32 v118, 16, v102
	v_cndmask_b32_e64 v91, v91, v102, s7
	v_cndmask_b32_e64 v94, v94, v98, s26
	;; [unrolled: 1-line block ×12, first 2 shown]
	v_perm_b32 v87, v93, v92, 0x5040100
	v_perm_b32 v94, v95, v94, 0x5040100
	;; [unrolled: 1-line block ×5, first 2 shown]
	s_mul_i32 s7, s33, 5
	s_mov_b32 s3, exec_lo
	ds_store_b128 v78, v[87:90]
	ds_store_b128 v78, v[91:94] offset:1024
	v_cmpx_gt_u32_e32 5, v0
	s_cbranch_execz .LBB330_16
; %bb.15:
	s_mul_i32 s4, s7, s34
	s_load_b128 s[8:11], s[0:1], 0x58
	v_add3_u32 v77, s4, s31, v77
	s_delay_alu instid0(VALU_DEP_1) | instskip(NEXT) | instid1(VALU_DEP_1)
	v_mad_u64_u32 v[87:88], null, v77, s35, s[14:15]
	v_ashrrev_i32_e32 v88, 31, v87
	s_delay_alu instid0(VALU_DEP_1) | instskip(SKIP_1) | instid1(VALU_DEP_1)
	v_lshlrev_b64 v[87:88], 2, v[87:88]
	s_waitcnt lgkmcnt(0)
	v_add_co_u32 v89, vcc_lo, s10, v87
	s_delay_alu instid0(VALU_DEP_2)
	v_add_co_ci_u32_e32 v90, vcc_lo, s11, v88, vcc_lo
	v_add_co_u32 v87, vcc_lo, s8, v87
	v_add_co_ci_u32_e32 v88, vcc_lo, s9, v88, vcc_lo
	global_store_b32 v[89:90], v85, off
	global_store_b32 v[87:88], v86, off
.LBB330_16:
	s_or_b32 exec_lo, exec_lo, s3
	s_waitcnt lgkmcnt(0)
	s_waitcnt_vscnt null, 0x0
	s_barrier
	buffer_gl0_inv
	ds_load_b128 v[93:96], v79
	ds_load_b128 v[97:100], v79 offset:16
	ds_load_b128 v[105:108], v79 offset:1040
	;; [unrolled: 1-line block ×5, first 2 shown]
	v_cmp_eq_u32_e32 vcc_lo, 1, v84
	v_mov_b32_e32 v85, 0
	ds_load_b128 v[121:124], v79 offset:3088
	ds_load_b128 v[117:120], v79 offset:3072
	;; [unrolled: 1-line block ×4, first 2 shown]
	v_cmp_eq_u32_e64 s3, 1, v80
	v_cmp_eq_u32_e64 s4, 1, v83
	;; [unrolled: 1-line block ×3, first 2 shown]
	v_mov_b32_e32 v86, v85
	v_mov_b32_e32 v87, v85
	;; [unrolled: 1-line block ×7, first 2 shown]
	v_cmp_eq_u32_e64 s6, 2, v80
	s_waitcnt lgkmcnt(8)
	s_delay_alu instid0(VALU_DEP_2)
	v_wmma_f32_16x16x16_f16 v[85:92], v[65:72], v[93:100], v[85:92]
	ds_load_b128 v[69:72], v79 offset:5136
	ds_load_b128 v[65:68], v79 offset:5120
	;; [unrolled: 1-line block ×4, first 2 shown]
	s_waitcnt lgkmcnt(10)
	v_wmma_f32_16x16x16_f16 v[85:92], v[57:64], v[101:108], v[85:92]
	s_waitcnt lgkmcnt(8)
	s_delay_alu instid0(VALU_DEP_1)
	v_wmma_f32_16x16x16_f16 v[85:92], v[57:64], v[109:116], v[85:92]
	ds_load_b128 v[61:64], v79 offset:7184
	ds_load_b128 v[57:60], v79 offset:7168
	;; [unrolled: 1-line block ×4, first 2 shown]
	s_waitcnt lgkmcnt(10)
	v_wmma_f32_16x16x16_f16 v[85:92], v[49:56], v[117:124], v[85:92]
	s_waitcnt lgkmcnt(8)
	s_delay_alu instid0(VALU_DEP_1)
	v_wmma_f32_16x16x16_f16 v[85:92], v[49:56], v[125:132], v[85:92]
	ds_load_b128 v[53:56], v79 offset:9232
	ds_load_b128 v[49:52], v79 offset:9216
	s_waitcnt lgkmcnt(8)
	v_wmma_f32_16x16x16_f16 v[85:92], v[41:48], v[65:72], v[85:92]
	ds_load_b128 v[69:72], v79 offset:10256
	ds_load_b128 v[65:68], v79 offset:10240
	s_waitcnt lgkmcnt(8)
	;; [unrolled: 4-line block ×7, first 2 shown]
	s_barrier
	buffer_gl0_inv
	v_wmma_f32_16x16x16_f16 v[85:92], v[33:40], v[41:48], v[85:92]
	s_delay_alu instid0(VALU_DEP_1) | instskip(NEXT) | instid1(VALU_DEP_1)
	v_wmma_f32_16x16x16_f16 v[85:92], v[33:40], v[57:64], v[85:92]
	v_wmma_f32_16x16x16_f16 v[85:92], v[25:32], v[9:16], v[85:92]
	s_delay_alu instid0(VALU_DEP_1) | instskip(NEXT) | instid1(VALU_DEP_1)
	v_wmma_f32_16x16x16_f16 v[85:92], v[25:32], v[49:56], v[85:92]
	v_wmma_f32_16x16x16_f16 v[85:92], v[17:24], v[1:8], v[85:92]
	s_delay_alu instid0(VALU_DEP_1) | instskip(NEXT) | instid1(VALU_DEP_2)
	v_cvt_f16_f32_e32 v1, v85
	v_cvt_f16_f32_e32 v2, v86
	s_delay_alu instid0(VALU_DEP_3) | instskip(NEXT) | instid1(VALU_DEP_4)
	v_cvt_f16_f32_e32 v3, v87
	v_cvt_f16_f32_e32 v4, v88
	;; [unrolled: 1-line block ×6, first 2 shown]
	v_pack_b32_f16 v1, v1, v2
	v_pack_b32_f16 v2, v3, v4
	;; [unrolled: 1-line block ×3, first 2 shown]
	s_delay_alu instid0(VALU_DEP_4)
	v_pack_b32_f16 v4, v7, v8
	ds_store_b128 v78, v[1:4]
	s_waitcnt lgkmcnt(0)
	s_barrier
	buffer_gl0_inv
	ds_load_b128 v[1:4], v81
	ds_load_b128 v[5:8], v81 offset:16
	s_waitcnt lgkmcnt(1)
	v_lshrrev_b32_e32 v9, 16, v1
	s_waitcnt lgkmcnt(0)
	v_lshrrev_b32_e32 v13, 16, v5
	v_lshrrev_b32_e32 v15, 16, v7
	;; [unrolled: 1-line block ×4, first 2 shown]
	v_cndmask_b32_e64 v17, v1, v9, s3
	v_cndmask_b32_e64 v18, v5, v13, s3
	v_cndmask_b32_e64 v19, v1, v9, s5
	v_cmp_eq_u32_e64 s3, 2, v82
	v_cndmask_b32_e64 v20, v5, v13, s5
	v_cndmask_b32_e32 v21, v1, v9, vcc_lo
	v_cndmask_b32_e32 v22, v5, v13, vcc_lo
	v_cndmask_b32_e64 v1, v1, v9, s4
	v_cndmask_b32_e64 v5, v5, v13, s4
	v_cmp_eq_u32_e32 vcc_lo, 2, v84
	v_cmp_eq_u32_e64 s4, 2, v83
	v_cndmask_b32_e64 v9, v17, v2, s6
	v_cndmask_b32_e64 v13, v18, v6, s6
	;; [unrolled: 1-line block ×4, first 2 shown]
	v_cndmask_b32_e32 v19, v21, v2, vcc_lo
	v_cmp_eq_u32_e64 s3, 3, v84
	v_cndmask_b32_e32 v20, v22, v6, vcc_lo
	v_cndmask_b32_e64 v1, v1, v2, s4
	v_cmp_eq_u32_e32 vcc_lo, 3, v83
	v_cmp_eq_u32_e64 s5, 3, v80
	v_cndmask_b32_e64 v2, v5, v6, s4
	v_cmp_eq_u32_e64 s4, 3, v82
	v_lshrrev_b32_e32 v16, 16, v8
	v_cmp_eq_u32_e64 s6, 4, v80
	v_cndmask_b32_e64 v5, v9, v10, s5
	v_cndmask_b32_e64 v6, v13, v14, s5
	;; [unrolled: 1-line block ×3, first 2 shown]
	v_cmp_eq_u32_e64 s5, 4, v82
	v_cndmask_b32_e64 v13, v18, v14, s4
	v_cndmask_b32_e64 v17, v19, v10, s3
	;; [unrolled: 1-line block ×3, first 2 shown]
	v_cndmask_b32_e32 v1, v1, v10, vcc_lo
	v_cndmask_b32_e32 v2, v2, v14, vcc_lo
	v_cmp_eq_u32_e32 vcc_lo, 4, v84
	v_cmp_eq_u32_e64 s4, 4, v83
	v_lshrrev_b32_e32 v11, 16, v3
	v_cndmask_b32_e64 v5, v5, v3, s6
	v_cndmask_b32_e64 v6, v6, v7, s6
	;; [unrolled: 1-line block ×4, first 2 shown]
	v_cndmask_b32_e32 v13, v17, v3, vcc_lo
	v_cmp_eq_u32_e64 s3, 5, v84
	v_cndmask_b32_e32 v14, v18, v7, vcc_lo
	v_cndmask_b32_e64 v1, v1, v3, s4
	v_cmp_eq_u32_e32 vcc_lo, 5, v83
	v_cmp_eq_u32_e64 s5, 5, v80
	v_cndmask_b32_e64 v2, v2, v7, s4
	v_cmp_eq_u32_e64 s4, 5, v82
	v_cmp_eq_u32_e64 s6, 6, v80
	v_cndmask_b32_e32 v1, v1, v11, vcc_lo
	v_cndmask_b32_e64 v3, v5, v11, s5
	v_cndmask_b32_e64 v5, v6, v15, s5
	;; [unrolled: 1-line block ×3, first 2 shown]
	v_cmp_eq_u32_e64 s5, 6, v82
	v_cndmask_b32_e64 v7, v10, v15, s4
	v_cndmask_b32_e64 v9, v13, v11, s3
	v_cndmask_b32_e64 v10, v14, v15, s3
	v_cndmask_b32_e32 v2, v2, v15, vcc_lo
	v_cmp_eq_u32_e32 vcc_lo, 6, v84
	v_cmp_eq_u32_e64 s3, 6, v83
	v_lshrrev_b32_e32 v12, 16, v4
	v_cndmask_b32_e64 v3, v3, v4, s6
	v_cndmask_b32_e64 v5, v5, v8, s6
	v_cndmask_b32_e64 v6, v6, v4, s5
	v_cndmask_b32_e64 v7, v7, v8, s5
	v_cndmask_b32_e32 v9, v9, v4, vcc_lo
	v_cmp_eq_u32_e64 s4, 7, v84
	v_cndmask_b32_e32 v10, v10, v8, vcc_lo
	v_cndmask_b32_e64 v1, v1, v4, s3
	v_cmp_eq_u32_e32 vcc_lo, 7, v83
	v_cndmask_b32_e64 v2, v2, v8, s3
	v_cmp_eq_u32_e64 s3, 7, v80
	v_cmp_eq_u32_e64 s5, 7, v82
	v_cndmask_b32_e32 v1, v1, v12, vcc_lo
	s_delay_alu instid0(VALU_DEP_4) | instskip(NEXT) | instid1(VALU_DEP_4)
	v_cndmask_b32_e32 v2, v2, v16, vcc_lo
	v_cndmask_b32_e64 v8, v3, v12, s3
	s_delay_alu instid0(VALU_DEP_4)
	v_cndmask_b32_e64 v6, v6, v12, s5
	v_cndmask_b32_e64 v3, v9, v12, s4
	;; [unrolled: 1-line block ×5, first 2 shown]
	v_perm_b32 v4, v2, v1, 0x5040100
	s_mov_b32 s3, exec_lo
	v_perm_b32 v3, v9, v3, 0x5040100
	v_perm_b32 v2, v7, v6, 0x5040100
	;; [unrolled: 1-line block ×3, first 2 shown]
	ds_store_b128 v78, v[1:4]
	s_waitcnt lgkmcnt(0)
	s_barrier
	buffer_gl0_inv
	v_cmpx_gt_u32_e32 32, v0
	s_cbranch_execz .LBB330_2
; %bb.17:
	s_load_b64 s[4:5], s[0:1], 0x68
	v_lshlrev_b32_e32 v0, 10, v0
	v_add_nc_u32_e32 v2, s31, v75
	v_lshlrev_b32_e32 v3, 4, v76
	s_lshl_b32 s0, s35, 7
	s_delay_alu instid0(SALU_CYCLE_1) | instskip(NEXT) | instid1(VALU_DEP_2)
	s_mul_i32 s1, s0, s34
	v_mul_lo_u32 v1, v2, s0
	s_delay_alu instid0(VALU_DEP_2) | instskip(SKIP_2) | instid1(SALU_CYCLE_1)
	v_and_or_b32 v0, 0x3800, v0, v3
	v_add_nc_u32_e32 v2, 2, v2
	s_mul_i32 s6, s1, s7
	s_ashr_i32 s7, s6, 31
	s_delay_alu instid0(VALU_DEP_2)
	v_lshl_or_b32 v7, v75, 6, v0
	s_lshl_b64 s[6:7], s[6:7], 1
	v_mul_lo_u32 v11, v2, s0
	v_ashrrev_i32_e32 v2, 31, v1
	ds_load_b128 v[3:6], v7
	ds_load_b128 v[7:10], v7 offset:128
	s_waitcnt lgkmcnt(0)
	s_add_u32 s1, s4, s6
	s_addc_u32 s3, s5, s7
	s_lshl_b32 s4, s14, 7
	v_ashrrev_i32_e32 v12, 31, v11
	s_ashr_i32 s5, s4, 31
	v_lshlrev_b64 v[13:14], 1, v[1:2]
	s_lshl_b64 s[4:5], s[4:5], 1
	s_delay_alu instid0(SALU_CYCLE_1) | instskip(SKIP_4) | instid1(VALU_DEP_3)
	s_add_u32 s1, s1, s4
	s_addc_u32 s3, s3, s5
	v_add_co_u32 v1, vcc_lo, s1, v73
	v_add_co_ci_u32_e32 v2, vcc_lo, s3, v74, vcc_lo
	v_lshlrev_b64 v[11:12], 1, v[11:12]
	v_add_co_u32 v13, vcc_lo, v1, v13
	s_delay_alu instid0(VALU_DEP_3) | instskip(NEXT) | instid1(VALU_DEP_3)
	v_add_co_ci_u32_e32 v14, vcc_lo, v2, v14, vcc_lo
	v_add_co_u32 v11, vcc_lo, v1, v11
	s_delay_alu instid0(VALU_DEP_4)
	v_add_co_ci_u32_e32 v12, vcc_lo, v2, v12, vcc_lo
	s_clause 0x1
	global_store_b128 v[13:14], v[3:6], off
	global_store_b128 v[11:12], v[7:10], off
	s_and_b32 exec_lo, exec_lo, s2
	s_cbranch_execz .LBB330_2
; %bb.18:
	ds_load_b128 v[3:6], v0 offset:256
	s_add_i32 s1, s31, 4
	s_delay_alu instid0(SALU_CYCLE_1) | instskip(NEXT) | instid1(SALU_CYCLE_1)
	s_mul_i32 s0, s1, s0
	s_ashr_i32 s1, s0, 31
	s_delay_alu instid0(SALU_CYCLE_1) | instskip(NEXT) | instid1(SALU_CYCLE_1)
	s_lshl_b64 s[0:1], s[0:1], 1
	v_add_co_u32 v0, vcc_lo, v1, s0
	v_add_co_ci_u32_e32 v1, vcc_lo, s1, v2, vcc_lo
	s_waitcnt lgkmcnt(0)
	global_store_b128 v[0:1], v[3:6], off
	s_nop 0
	s_sendmsg sendmsg(MSG_DEALLOC_VGPRS)
	s_endpgm
	.section	.rodata,"a",@progbits
	.p2align	6, 0x0
	.amdhsa_kernel _Z39paged_attention_ll4mi_QKV_mfma16_kernelIDF16_DF16_LN4vllm18Fp8KVCacheDataTypeE0EhLi32ELi128ELi256ELb0ELi5EL8MFMAType0EEvPKT_PKT0_S8_ifPKiSA_SA_iPKfiiiPfSD_PS3_PT2_iSC_SC_
		.amdhsa_group_segment_fixed_size 17472
		.amdhsa_private_segment_fixed_size 0
		.amdhsa_kernarg_size 400
		.amdhsa_user_sgpr_count 13
		.amdhsa_user_sgpr_dispatch_ptr 0
		.amdhsa_user_sgpr_queue_ptr 0
		.amdhsa_user_sgpr_kernarg_segment_ptr 1
		.amdhsa_user_sgpr_dispatch_id 0
		.amdhsa_user_sgpr_private_segment_size 0
		.amdhsa_wavefront_size32 1
		.amdhsa_uses_dynamic_stack 0
		.amdhsa_enable_private_segment 0
		.amdhsa_system_sgpr_workgroup_id_x 1
		.amdhsa_system_sgpr_workgroup_id_y 1
		.amdhsa_system_sgpr_workgroup_id_z 1
		.amdhsa_system_sgpr_workgroup_info 0
		.amdhsa_system_vgpr_workitem_id 0
		.amdhsa_next_free_vgpr 172
		.amdhsa_next_free_sgpr 39
		.amdhsa_reserve_vcc 1
		.amdhsa_float_round_mode_32 0
		.amdhsa_float_round_mode_16_64 0
		.amdhsa_float_denorm_mode_32 3
		.amdhsa_float_denorm_mode_16_64 3
		.amdhsa_dx10_clamp 1
		.amdhsa_ieee_mode 1
		.amdhsa_fp16_overflow 0
		.amdhsa_workgroup_processor_mode 1
		.amdhsa_memory_ordered 1
		.amdhsa_forward_progress 0
		.amdhsa_shared_vgpr_count 0
		.amdhsa_exception_fp_ieee_invalid_op 0
		.amdhsa_exception_fp_denorm_src 0
		.amdhsa_exception_fp_ieee_div_zero 0
		.amdhsa_exception_fp_ieee_overflow 0
		.amdhsa_exception_fp_ieee_underflow 0
		.amdhsa_exception_fp_ieee_inexact 0
		.amdhsa_exception_int_div_zero 0
	.end_amdhsa_kernel
	.section	.text._Z39paged_attention_ll4mi_QKV_mfma16_kernelIDF16_DF16_LN4vllm18Fp8KVCacheDataTypeE0EhLi32ELi128ELi256ELb0ELi5EL8MFMAType0EEvPKT_PKT0_S8_ifPKiSA_SA_iPKfiiiPfSD_PS3_PT2_iSC_SC_,"axG",@progbits,_Z39paged_attention_ll4mi_QKV_mfma16_kernelIDF16_DF16_LN4vllm18Fp8KVCacheDataTypeE0EhLi32ELi128ELi256ELb0ELi5EL8MFMAType0EEvPKT_PKT0_S8_ifPKiSA_SA_iPKfiiiPfSD_PS3_PT2_iSC_SC_,comdat
.Lfunc_end330:
	.size	_Z39paged_attention_ll4mi_QKV_mfma16_kernelIDF16_DF16_LN4vllm18Fp8KVCacheDataTypeE0EhLi32ELi128ELi256ELb0ELi5EL8MFMAType0EEvPKT_PKT0_S8_ifPKiSA_SA_iPKfiiiPfSD_PS3_PT2_iSC_SC_, .Lfunc_end330-_Z39paged_attention_ll4mi_QKV_mfma16_kernelIDF16_DF16_LN4vllm18Fp8KVCacheDataTypeE0EhLi32ELi128ELi256ELb0ELi5EL8MFMAType0EEvPKT_PKT0_S8_ifPKiSA_SA_iPKfiiiPfSD_PS3_PT2_iSC_SC_
                                        ; -- End function
	.section	.AMDGPU.csdata,"",@progbits
; Kernel info:
; codeLenInByte = 7520
; NumSgprs: 41
; NumVgprs: 172
; ScratchSize: 0
; MemoryBound: 0
; FloatMode: 240
; IeeeMode: 1
; LDSByteSize: 17472 bytes/workgroup (compile time only)
; SGPRBlocks: 5
; VGPRBlocks: 21
; NumSGPRsForWavesPerEU: 41
; NumVGPRsForWavesPerEU: 172
; Occupancy: 8
; WaveLimiterHint : 1
; COMPUTE_PGM_RSRC2:SCRATCH_EN: 0
; COMPUTE_PGM_RSRC2:USER_SGPR: 13
; COMPUTE_PGM_RSRC2:TRAP_HANDLER: 0
; COMPUTE_PGM_RSRC2:TGID_X_EN: 1
; COMPUTE_PGM_RSRC2:TGID_Y_EN: 1
; COMPUTE_PGM_RSRC2:TGID_Z_EN: 1
; COMPUTE_PGM_RSRC2:TIDIG_COMP_CNT: 0
	.section	.text._Z39paged_attention_ll4mi_QKV_mfma16_kernelIDF16_DF16_LN4vllm18Fp8KVCacheDataTypeE0EhLi32ELi128ELi256ELb0ELi6EL8MFMAType0EEvPKT_PKT0_S8_ifPKiSA_SA_iPKfiiiPfSD_PS3_PT2_iSC_SC_,"axG",@progbits,_Z39paged_attention_ll4mi_QKV_mfma16_kernelIDF16_DF16_LN4vllm18Fp8KVCacheDataTypeE0EhLi32ELi128ELi256ELb0ELi6EL8MFMAType0EEvPKT_PKT0_S8_ifPKiSA_SA_iPKfiiiPfSD_PS3_PT2_iSC_SC_,comdat
	.protected	_Z39paged_attention_ll4mi_QKV_mfma16_kernelIDF16_DF16_LN4vllm18Fp8KVCacheDataTypeE0EhLi32ELi128ELi256ELb0ELi6EL8MFMAType0EEvPKT_PKT0_S8_ifPKiSA_SA_iPKfiiiPfSD_PS3_PT2_iSC_SC_ ; -- Begin function _Z39paged_attention_ll4mi_QKV_mfma16_kernelIDF16_DF16_LN4vllm18Fp8KVCacheDataTypeE0EhLi32ELi128ELi256ELb0ELi6EL8MFMAType0EEvPKT_PKT0_S8_ifPKiSA_SA_iPKfiiiPfSD_PS3_PT2_iSC_SC_
	.globl	_Z39paged_attention_ll4mi_QKV_mfma16_kernelIDF16_DF16_LN4vllm18Fp8KVCacheDataTypeE0EhLi32ELi128ELi256ELb0ELi6EL8MFMAType0EEvPKT_PKT0_S8_ifPKiSA_SA_iPKfiiiPfSD_PS3_PT2_iSC_SC_
	.p2align	8
	.type	_Z39paged_attention_ll4mi_QKV_mfma16_kernelIDF16_DF16_LN4vllm18Fp8KVCacheDataTypeE0EhLi32ELi128ELi256ELb0ELi6EL8MFMAType0EEvPKT_PKT0_S8_ifPKiSA_SA_iPKfiiiPfSD_PS3_PT2_iSC_SC_,@function
_Z39paged_attention_ll4mi_QKV_mfma16_kernelIDF16_DF16_LN4vllm18Fp8KVCacheDataTypeE0EhLi32ELi128ELi256ELb0ELi6EL8MFMAType0EEvPKT_PKT0_S8_ifPKiSA_SA_iPKfiiiPfSD_PS3_PT2_iSC_SC_: ; @_Z39paged_attention_ll4mi_QKV_mfma16_kernelIDF16_DF16_LN4vllm18Fp8KVCacheDataTypeE0EhLi32ELi128ELi256ELb0ELi6EL8MFMAType0EEvPKT_PKT0_S8_ifPKiSA_SA_iPKfiiiPfSD_PS3_PT2_iSC_SC_
; %bb.0:
	s_load_b64 s[2:3], s[0:1], 0x30
	s_mov_b32 s30, s13
	s_waitcnt lgkmcnt(0)
	s_cmp_lg_u64 s[2:3], 0
	s_cselect_b32 s6, -1, 0
	s_ashr_i32 s31, s13, 31
	s_cmp_eq_u64 s[2:3], 0
	s_cbranch_scc1 .LBB331_3
; %bb.1:
	s_lshl_b64 s[4:5], s[30:31], 2
	s_delay_alu instid0(SALU_CYCLE_1) | instskip(SKIP_4) | instid1(SALU_CYCLE_1)
	s_add_u32 s4, s2, s4
	s_addc_u32 s5, s3, s5
	s_load_b64 s[4:5], s[4:5], 0x0
	s_waitcnt lgkmcnt(0)
	s_sub_i32 s4, s5, s4
	s_cmp_eq_u32 s4, 1
	s_cselect_b32 s4, -1, 0
	s_delay_alu instid0(SALU_CYCLE_1)
	s_and_not1_b32 vcc_lo, exec_lo, s4
	s_cbranch_vccz .LBB331_4
.LBB331_2:
	s_endpgm
.LBB331_3:
.LBB331_4:
	s_load_b64 s[8:9], s[0:1], 0x28
	s_lshl_b64 s[4:5], s[30:31], 2
	s_waitcnt lgkmcnt(0)
	s_add_u32 s8, s8, s4
	s_addc_u32 s9, s9, s5
	s_lshl_b32 s12, s14, 8
	s_load_b32 s17, s[8:9], 0x0
	s_waitcnt lgkmcnt(0)
	s_cmp_ge_i32 s12, s17
	s_cbranch_scc1 .LBB331_2
; %bb.5:
	s_and_not1_b32 vcc_lo, exec_lo, s6
	s_cbranch_vccnz .LBB331_7
; %bb.6:
	s_add_u32 s2, s2, s4
	s_addc_u32 s3, s3, s5
	s_load_b32 s13, s[2:3], 0x0
	s_branch .LBB331_8
.LBB331_7:
	s_mov_b32 s13, s30
.LBB331_8:
	s_clause 0x2
	s_load_b128 s[8:11], s[0:1], 0x8
	s_load_b64 s[2:3], s[0:1], 0x20
	s_load_b128 s[4:7], s[0:1], 0x48
	v_and_b32_e32 v77, 15, v0
	s_waitcnt lgkmcnt(0)
	s_mov_b32 s7, exec_lo
	s_delay_alu instid0(VALU_DEP_1)
	v_lshlrev_b32_e32 v1, 3, v77
	v_cmpx_lt_u32_e32 0x5f, v0
	s_xor_b32 s7, exec_lo, s7
; %bb.9:
	v_mov_b32_e32 v2, 0
; %bb.10:
	s_or_saveexec_b32 s7, s7
	v_lshrrev_b32_e32 v78, 5, v0
	v_and_b32_e32 v80, 31, v0
	v_and_b32_e32 v76, 1, v0
	v_bfe_u32 v75, v0, 4, 1
	s_mul_i32 s31, s15, 6
	s_xor_b32 exec_lo, exec_lo, s7
	s_cbranch_execz .LBB331_12
; %bb.11:
	s_load_b64 s[18:19], s[0:1], 0x0
	v_lshl_or_b32 v7, v78, 1, v75
	s_mul_hi_i32 s21, s13, s4
	s_mul_i32 s20, s13, s4
	v_lshlrev_b32_e32 v4, 1, v1
	s_lshl_b64 s[20:21], s[20:21], 1
	v_add_lshl_u32 v2, v7, s31, 7
	v_lshlrev_b32_e32 v7, 6, v7
	v_lshlrev_b32_e32 v8, 10, v76
	s_delay_alu instid0(VALU_DEP_3) | instskip(NEXT) | instid1(VALU_DEP_1)
	v_ashrrev_i32_e32 v3, 31, v2
	v_lshlrev_b64 v[2:3], 1, v[2:3]
	s_waitcnt lgkmcnt(0)
	s_add_u32 s4, s18, s20
	s_addc_u32 s13, s19, s21
	s_delay_alu instid0(VALU_DEP_1) | instskip(NEXT) | instid1(VALU_DEP_2)
	v_add_co_u32 v2, vcc_lo, s4, v2
	v_add_co_ci_u32_e32 v3, vcc_lo, s13, v3, vcc_lo
	s_delay_alu instid0(VALU_DEP_2) | instskip(NEXT) | instid1(VALU_DEP_2)
	v_add_co_u32 v2, vcc_lo, v2, v4
	v_add_co_ci_u32_e32 v3, vcc_lo, 0, v3, vcc_lo
	global_load_b128 v[3:6], v[2:3], off
	v_lshlrev_b32_e32 v2, 10, v77
	s_delay_alu instid0(VALU_DEP_1) | instskip(NEXT) | instid1(VALU_DEP_1)
	v_and_b32_e32 v2, 0x3800, v2
	v_or3_b32 v7, v2, v8, v7
	v_mov_b32_e32 v2, 0
	s_waitcnt vmcnt(0)
	ds_store_b128 v7, v[3:6]
.LBB331_12:
	s_or_b32 exec_lo, exec_lo, s7
	v_and_b32_e32 v3, 0xef, v0
	s_add_i32 s4, s17, 31
	s_clause 0x1
	s_load_b32 s7, s[0:1], 0x38
	s_load_b32 s33, s[0:1], 0x98
	s_ashr_i32 s13, s4, 31
	v_add_nc_u32_e32 v3, s12, v3
	s_lshr_b32 s13, s13, 27
	s_load_b32 s18, s[0:1], 0x1c
	s_add_i32 s4, s4, s13
	s_waitcnt lgkmcnt(0)
	v_ashrrev_i32_e32 v4, 31, v3
	v_cmp_gt_i32_e32 vcc_lo, s17, v3
	s_ashr_i32 s4, s4, 5
	s_barrier
	s_add_i32 s4, s4, -1
	v_lshrrev_b32_e32 v5, 27, v4
	v_or_b32_e32 v4, 16, v3
	buffer_gl0_inv
	v_lshlrev_b64 v[73:74], 1, v[1:2]
	v_lshlrev_b32_e32 v79, 6, v77
	v_add_nc_u32_e32 v6, v3, v5
	v_add_nc_u32_e32 v5, v4, v5
	s_mul_i32 s20, s30, s7
	s_delay_alu instid0(SALU_CYCLE_1) | instskip(NEXT) | instid1(VALU_DEP_2)
	s_ashr_i32 s21, s20, 31
	v_ashrrev_i32_e32 v6, 5, v6
	s_delay_alu instid0(VALU_DEP_2) | instskip(SKIP_1) | instid1(SALU_CYCLE_1)
	v_ashrrev_i32_e32 v5, 5, v5
	s_lshl_b64 s[20:21], s[20:21], 2
	s_add_u32 s13, s2, s20
	s_delay_alu instid0(VALU_DEP_2) | instskip(SKIP_3) | instid1(SALU_CYCLE_1)
	v_cndmask_b32_e32 v3, s4, v6, vcc_lo
	v_cmp_gt_i32_e32 vcc_lo, s17, v4
	s_addc_u32 s16, s3, s21
	s_mul_i32 s2, s15, s6
	s_ashr_i32 s3, s2, 31
	v_cndmask_b32_e32 v5, s4, v5, vcc_lo
	v_ashrrev_i32_e32 v4, 31, v3
	s_lshl_b64 s[2:3], s[2:3], 1
	s_delay_alu instid0(SALU_CYCLE_1) | instskip(NEXT) | instid1(VALU_DEP_2)
	s_add_u32 s15, s8, s2
	v_ashrrev_i32_e32 v6, 31, v5
	s_delay_alu instid0(VALU_DEP_2) | instskip(SKIP_2) | instid1(VALU_DEP_2)
	v_lshlrev_b64 v[3:4], 2, v[3:4]
	s_addc_u32 s19, s9, s3
	s_lshl_b32 s6, s14, 3
	v_lshlrev_b64 v[5:6], 2, v[5:6]
	s_ashr_i32 s7, s6, 31
	s_delay_alu instid0(VALU_DEP_2) | instskip(SKIP_1) | instid1(VALU_DEP_3)
	v_add_co_u32 v3, vcc_lo, s13, v3
	v_add_co_ci_u32_e32 v4, vcc_lo, s16, v4, vcc_lo
	v_add_co_u32 v5, vcc_lo, s13, v5
	s_delay_alu instid0(VALU_DEP_4)
	v_add_co_ci_u32_e32 v6, vcc_lo, s16, v6, vcc_lo
	s_lshl_b64 s[6:7], s[6:7], 2
	s_clause 0x1
	global_load_b32 v7, v[3:4], off
	global_load_b32 v8, v[5:6], off
	s_add_u32 s6, s13, s6
	s_addc_u32 s7, s16, s7
	s_or_b32 s8, s12, 32
	s_delay_alu instid0(SALU_CYCLE_1) | instskip(SKIP_2) | instid1(SALU_CYCLE_1)
	s_ashr_i32 s9, s8, 5
	s_cmp_lt_i32 s8, s17
	s_cselect_b32 s8, s9, s4
	s_ashr_i32 s9, s8, 31
	s_delay_alu instid0(SALU_CYCLE_1) | instskip(NEXT) | instid1(SALU_CYCLE_1)
	s_lshl_b64 s[8:9], s[8:9], 2
	s_add_u32 s8, s13, s8
	s_addc_u32 s9, s16, s9
	s_or_b32 s20, s12, 64
	s_delay_alu instid0(SALU_CYCLE_1) | instskip(SKIP_2) | instid1(SALU_CYCLE_1)
	s_ashr_i32 s21, s20, 5
	s_cmp_lt_i32 s20, s17
	s_cselect_b32 s20, s21, s4
	s_ashr_i32 s21, s20, 31
	s_delay_alu instid0(SALU_CYCLE_1) | instskip(NEXT) | instid1(SALU_CYCLE_1)
	s_lshl_b64 s[20:21], s[20:21], 2
	;; [unrolled: 10-line block ×5, first 2 shown]
	s_add_u32 s26, s13, s26
	s_addc_u32 s27, s16, s27
	s_clause 0x5
	s_load_b32 s28, s[6:7], 0x0
	s_load_b32 s29, s[8:9], 0x0
	;; [unrolled: 1-line block ×6, first 2 shown]
	s_mov_b32 s20, 0
	s_or_b32 s6, s12, 0xc0
	s_mov_b32 s21, s20
	s_mov_b32 s22, s20
	;; [unrolled: 1-line block ×7, first 2 shown]
	s_ashr_i32 s7, s6, 5
	v_mov_b32_e32 v128, s27
	s_cmp_lt_i32 s6, s17
	v_mov_b32_e32 v127, s26
	s_cselect_b32 s6, s7, s4
	v_mov_b32_e32 v126, s25
	s_ashr_i32 s7, s6, 31
	v_mov_b32_e32 v125, s24
	s_lshl_b64 s[6:7], s[6:7], 2
	v_mov_b32_e32 v124, s23
	s_add_u32 s6, s13, s6
	s_addc_u32 s7, s16, s7
	v_mov_b32_e32 v123, s22
	v_mov_b32_e32 v121, s20
	s_waitcnt lgkmcnt(0)
	s_mul_hi_i32 s9, s28, s5
	s_mul_i32 s8, s28, s5
	v_mov_b32_e32 v122, s21
	s_mul_hi_i32 s21, s29, s5
	s_mul_i32 s20, s29, s5
	s_mul_hi_i32 s25, s34, s5
	s_mul_i32 s24, s34, s5
	;; [unrolled: 2-line block ×4, first 2 shown]
	s_waitcnt vmcnt(1)
	v_mad_i64_i32 v[3:4], null, v7, s5, 0
	s_waitcnt vmcnt(0)
	v_mad_i64_i32 v[5:6], null, v8, s5, 0
	s_delay_alu instid0(VALU_DEP_2) | instskip(NEXT) | instid1(VALU_DEP_2)
	v_lshlrev_b64 v[3:4], 1, v[3:4]
	v_lshlrev_b64 v[1:2], 1, v[5:6]
	s_delay_alu instid0(VALU_DEP_2) | instskip(NEXT) | instid1(VALU_DEP_3)
	v_add_co_u32 v3, vcc_lo, s15, v3
	v_add_co_ci_u32_e32 v4, vcc_lo, s19, v4, vcc_lo
	s_delay_alu instid0(VALU_DEP_3) | instskip(NEXT) | instid1(VALU_DEP_4)
	v_add_co_u32 v1, vcc_lo, s15, v1
	v_add_co_ci_u32_e32 v2, vcc_lo, s19, v2, vcc_lo
	s_delay_alu instid0(VALU_DEP_4) | instskip(NEXT) | instid1(VALU_DEP_4)
	v_add_co_u32 v65, vcc_lo, v3, v73
	v_add_co_ci_u32_e32 v66, vcc_lo, v4, v74, vcc_lo
	s_delay_alu instid0(VALU_DEP_4) | instskip(NEXT) | instid1(VALU_DEP_4)
	v_add_co_u32 v67, vcc_lo, v1, v73
	v_add_co_ci_u32_e32 v68, vcc_lo, v2, v74, vcc_lo
	s_clause 0xf
	global_load_b128 v[1:4], v[65:66], off
	global_load_b128 v[5:8], v[65:66], off offset:512
	global_load_b128 v[9:12], v[67:68], off offset:256
	;; [unrolled: 1-line block ×15, first 2 shown]
	v_add_co_u32 v157, vcc_lo, 0x1000, v65
	v_add_co_ci_u32_e32 v158, vcc_lo, 0, v66, vcc_lo
	v_add_co_u32 v165, vcc_lo, 0x1000, v67
	v_add_co_ci_u32_e32 v166, vcc_lo, 0, v68, vcc_lo
	s_clause 0x7
	global_load_b128 v[81:84], v[157:158], off
	global_load_b128 v[85:88], v[157:158], off offset:512
	global_load_b128 v[89:92], v[165:166], off offset:256
	;; [unrolled: 1-line block ×7, first 2 shown]
	v_mul_lo_u16 v65, v77, 43
	s_or_b32 s15, s12, 0xe0
	s_delay_alu instid0(SALU_CYCLE_1) | instskip(SKIP_1) | instid1(VALU_DEP_1)
	s_ashr_i32 s19, s15, 5
	s_cmp_lt_i32 s15, s17
	v_lshrrev_b16 v65, 8, v65
	s_cselect_b32 s22, s19, s4
	s_delay_alu instid0(SALU_CYCLE_1) | instskip(NEXT) | instid1(VALU_DEP_1)
	s_ashr_i32 s23, s22, 31
	v_mul_lo_u16 v65, v65, 6
	s_lshl_b64 s[22:23], s[22:23], 2
	s_delay_alu instid0(SALU_CYCLE_1) | instskip(SKIP_1) | instid1(VALU_DEP_1)
	s_add_u32 s22, s13, s22
	s_addc_u32 s23, s16, s23
	v_sub_nc_u16 v65, v77, v65
	s_add_i32 s15, s12, 0x100
	s_delay_alu instid0(SALU_CYCLE_1) | instskip(SKIP_1) | instid1(VALU_DEP_1)
	s_ashr_i32 s19, s15, 5
	s_cmp_lt_i32 s15, s17
	v_and_b32_e32 v65, 0xff, v65
	s_cselect_b32 s28, s19, s4
	s_delay_alu instid0(SALU_CYCLE_1) | instskip(NEXT) | instid1(VALU_DEP_1)
	s_ashr_i32 s29, s28, 31
	v_lshlrev_b32_e32 v169, 6, v65
	ds_load_b128 v[65:68], v169
	ds_load_b128 v[69:72], v169 offset:1024
	s_clause 0x1
	global_load_b128 v[113:116], v[157:158], off offset:2048
	global_load_b128 v[117:120], v[157:158], off offset:2560
	ds_load_b128 v[129:132], v169 offset:2048
	ds_load_b128 v[133:136], v169 offset:3072
	s_clause 0x5
	global_load_b128 v[145:148], v[165:166], off offset:2304
	global_load_b128 v[149:152], v[165:166], off offset:2816
	;; [unrolled: 1-line block ×6, first 2 shown]
	s_lshl_b64 s[28:29], s[28:29], 2
	s_delay_alu instid0(SALU_CYCLE_1)
	s_add_u32 s28, s13, s28
	s_addc_u32 s29, s16, s29
	s_add_u32 s4, s10, s2
	s_addc_u32 s19, s11, s3
	s_lshl_b64 s[2:3], s[8:9], 1
	s_lshl_b64 s[8:9], s[20:21], 1
	;; [unrolled: 1-line block ×4, first 2 shown]
	s_waitcnt vmcnt(30) lgkmcnt(2)
	v_wmma_f32_16x16x16_f16 v[137:144], v[1:8], v[65:72], v[121:128]
	ds_load_b128 v[1:4], v169 offset:4096
	ds_load_b128 v[5:8], v169 offset:5120
	s_waitcnt vmcnt(28)
	v_wmma_f32_16x16x16_f16 v[121:128], v[9:16], v[65:72], v[121:128]
	ds_load_b128 v[9:12], v169 offset:6144
	ds_load_b128 v[13:16], v169 offset:7168
	s_waitcnt vmcnt(26) lgkmcnt(4)
	v_wmma_f32_16x16x16_f16 v[137:144], v[17:24], v[129:136], v[137:144]
	ds_load_b128 v[17:20], v169 offset:8192
	ds_load_b128 v[21:24], v169 offset:9216
	s_waitcnt vmcnt(24)
	v_wmma_f32_16x16x16_f16 v[121:128], v[25:32], v[129:136], v[121:128]
	v_lshl_or_b32 v25, v78, 10, v79
	ds_load_b128 v[129:132], v169 offset:10240
	ds_load_b128 v[133:136], v169 offset:11264
	s_clause 0x2
	s_load_b32 s15, s[6:7], 0x0
	s_load_b32 s13, s[22:23], 0x0
	;; [unrolled: 1-line block ×3, first 2 shown]
	s_mul_hi_i32 s7, s36, s5
	v_add_co_u32 v170, s4, s4, v25
	s_delay_alu instid0(VALU_DEP_1)
	v_add_co_ci_u32_e64 v171, null, s19, 0, s4
	s_mul_i32 s6, s36, s5
	s_lshl_b64 s[22:23], s[34:35], 1
	s_lshl_b64 s[6:7], s[6:7], 1
	s_waitcnt vmcnt(22) lgkmcnt(0)
	v_wmma_f32_16x16x16_f16 v[137:144], v[33:40], v[1:8], v[137:144]
	s_waitcnt vmcnt(20)
	v_wmma_f32_16x16x16_f16 v[121:128], v[41:48], v[1:8], v[121:128]
	v_add_co_u32 v1, vcc_lo, v170, s2
	v_add_co_ci_u32_e32 v2, vcc_lo, s3, v171, vcc_lo
	v_add_co_u32 v3, vcc_lo, v170, s8
	v_add_co_ci_u32_e32 v4, vcc_lo, s9, v171, vcc_lo
	;; [unrolled: 2-line block ×4, first 2 shown]
	v_add_co_u32 v25, vcc_lo, v170, s6
	s_mul_hi_i32 s25, s15, s5
	s_mul_i32 s24, s15, s5
	v_add_co_ci_u32_e32 v26, vcc_lo, s7, v171, vcc_lo
	v_add_co_u32 v27, vcc_lo, v170, s22
	s_lshl_b64 s[24:25], s[24:25], 1
	s_waitcnt vmcnt(18)
	v_wmma_f32_16x16x16_f16 v[137:144], v[49:56], v[9:16], v[137:144]
	s_waitcnt vmcnt(16)
	v_wmma_f32_16x16x16_f16 v[121:128], v[57:64], v[9:16], v[121:128]
	v_add_co_ci_u32_e32 v28, vcc_lo, s23, v171, vcc_lo
	s_mul_hi_i32 s3, s13, s5
	s_mul_i32 s2, s13, s5
	v_add_co_u32 v29, vcc_lo, v170, s24
	s_lshl_b64 s[2:3], s[2:3], 1
	v_add_co_ci_u32_e32 v30, vcc_lo, s25, v171, vcc_lo
	s_waitcnt vmcnt(14)
	v_wmma_f32_16x16x16_f16 v[137:144], v[81:88], v[17:24], v[137:144]
	s_waitcnt vmcnt(12)
	v_wmma_f32_16x16x16_f16 v[121:128], v[89:96], v[17:24], v[121:128]
	v_add_co_u32 v17, vcc_lo, v170, s2
	v_add_co_ci_u32_e32 v18, vcc_lo, s3, v171, vcc_lo
	s_mul_hi_i32 s3, s16, s5
	s_mul_i32 s2, s16, s5
	s_clause 0x5
	global_load_b128 v[65:68], v[1:2], off
	global_load_b128 v[69:72], v[1:2], off offset:16
	global_load_b128 v[57:60], v[3:4], off
	global_load_b128 v[61:64], v[3:4], off offset:16
	;; [unrolled: 2-line block ×3, first 2 shown]
	s_lshl_b64 s[2:3], s[2:3], 1
	s_clause 0x1
	global_load_b128 v[41:44], v[7:8], off
	global_load_b128 v[45:48], v[7:8], off offset:16
	v_add_co_u32 v21, vcc_lo, v170, s2
	v_add_co_ci_u32_e32 v22, vcc_lo, s3, v171, vcc_lo
	s_clause 0x9
	global_load_b128 v[9:12], v[25:26], off
	global_load_b128 v[13:16], v[25:26], off offset:16
	global_load_b128 v[1:4], v[27:28], off
	global_load_b128 v[5:8], v[27:28], off offset:16
	;; [unrolled: 2-line block ×5, first 2 shown]
	ds_load_b128 v[81:84], v169 offset:12288
	ds_load_b128 v[85:88], v169 offset:13312
	v_and_b32_e32 v89, 0xe0, v0
	s_waitcnt vmcnt(28)
	v_wmma_f32_16x16x16_f16 v[137:144], v[97:104], v[129:136], v[137:144]
	v_mbcnt_lo_u32_b32 v97, -1, 0
	s_waitcnt vmcnt(26)
	v_wmma_f32_16x16x16_f16 v[121:128], v[105:112], v[129:136], v[121:128]
	v_add_nc_u32_e32 v98, s12, v89
	ds_load_b128 v[89:92], v169 offset:14336
	ds_load_b128 v[93:96], v169 offset:15360
	v_xor_b32_e32 v99, 16, v97
	s_waitcnt vmcnt(0) lgkmcnt(0)
	s_barrier
	v_or_b32_e32 v98, v98, v75
	buffer_gl0_inv
	v_cmp_gt_i32_e32 vcc_lo, 32, v99
	v_or_b32_e32 v100, 4, v98
	v_or_b32_e32 v101, 22, v98
	v_or_b32_e32 v102, 24, v98
	v_or_b32_e32 v103, 26, v98
	v_wmma_f32_16x16x16_f16 v[137:144], v[113:120], v[81:88], v[137:144]
	v_wmma_f32_16x16x16_f16 v[121:128], v[145:152], v[81:88], v[121:128]
	v_or_b32_e32 v81, 6, v98
	v_or_b32_e32 v82, 8, v98
	;; [unrolled: 1-line block ×3, first 2 shown]
	v_cmp_gt_i32_e64 s3, s17, v100
	v_or_b32_e32 v84, 12, v98
	v_wmma_f32_16x16x16_f16 v[137:144], v[153:160], v[89:96], v[137:144]
	v_wmma_f32_16x16x16_f16 v[121:128], v[161:168], v[89:96], v[121:128]
	v_cndmask_b32_e32 v97, v97, v99, vcc_lo
	v_or_b32_e32 v99, 2, v98
	v_cmp_gt_i32_e32 vcc_lo, s17, v98
	v_dual_mul_f32 v95, s18, v138 :: v_dual_mul_f32 v96, s18, v137
	v_mul_f32_e32 v93, s18, v140
	s_delay_alu instid0(VALU_DEP_4)
	v_cmp_gt_i32_e64 s2, s17, v99
	v_mul_f32_e32 v94, s18, v139
	v_mul_f32_e32 v108, s18, v126
	v_cndmask_b32_e32 v96, 0xff7fffff, v96, vcc_lo
	v_cmp_gt_i32_e64 s4, s17, v81
	v_cndmask_b32_e64 v95, 0xff7fffff, v95, s2
	v_or_b32_e32 v85, 14, v98
	v_dual_mul_f32 v91, s18, v142 :: v_dual_mul_f32 v110, s18, v124
	v_mul_f32_e32 v92, s18, v141
	v_cndmask_b32_e64 v94, 0xff7fffff, v94, s3
	v_cndmask_b32_e64 v81, 0xff7fffff, v93, s4
	v_max3_f32 v93, v96, 0xff7fffff, v95
	v_cmp_gt_i32_e64 s5, s17, v82
	v_cmp_gt_i32_e64 s6, s17, v83
	v_or_b32_e32 v86, 16, v98
	v_or_b32_e32 v87, 18, v98
	v_dual_mul_f32 v89, s18, v144 :: v_dual_mul_f32 v112, s18, v122
	v_mul_f32_e32 v90, s18, v143
	v_cndmask_b32_e64 v82, 0xff7fffff, v92, s5
	v_cndmask_b32_e64 v83, 0xff7fffff, v91, s6
	v_max3_f32 v81, v93, v94, v81
	v_cmp_gt_i32_e64 s7, s17, v84
	v_cmp_gt_i32_e64 s8, s17, v85
	v_or_b32_e32 v88, 20, v98
	v_mul_f32_e32 v113, s18, v121
	v_max3_f32 v81, v81, v82, v83
	v_cndmask_b32_e64 v84, 0xff7fffff, v90, s7
	v_cndmask_b32_e64 v85, 0xff7fffff, v89, s8
	v_cmp_gt_i32_e64 s9, s17, v86
	v_cmp_gt_i32_e64 s10, s17, v87
	v_mul_f32_e32 v111, s18, v123
	v_cmp_gt_i32_e64 s11, s17, v88
	v_max3_f32 v81, v81, v84, v85
	v_cndmask_b32_e64 v82, 0xff7fffff, v113, s9
	v_cndmask_b32_e64 v83, 0xff7fffff, v112, s10
	v_cmp_gt_i32_e64 s12, s17, v101
	v_or_b32_e32 v104, 28, v98
	v_or_b32_e32 v105, 30, v98
	v_mul_f32_e32 v109, s18, v125
	v_cndmask_b32_e64 v84, 0xff7fffff, v111, s11
	v_cndmask_b32_e64 v85, 0xff7fffff, v110, s12
	v_max3_f32 v81, v81, v82, v83
	v_cmp_gt_i32_e64 s13, s17, v102
	v_cmp_gt_i32_e64 s15, s17, v103
	v_dual_mul_f32 v106, s18, v128 :: v_dual_mul_f32 v107, s18, v127
	s_delay_alu instid0(VALU_DEP_4) | instskip(NEXT) | instid1(VALU_DEP_4)
	v_max3_f32 v81, v81, v84, v85
	v_cndmask_b32_e64 v82, 0xff7fffff, v109, s13
	s_delay_alu instid0(VALU_DEP_4) | instskip(SKIP_2) | instid1(VALU_DEP_3)
	v_cndmask_b32_e64 v83, 0xff7fffff, v108, s15
	v_cmp_gt_i32_e64 s16, s17, v104
	v_cmp_gt_i32_e64 s17, s17, v105
	v_max3_f32 v81, v81, v82, v83
	s_delay_alu instid0(VALU_DEP_3) | instskip(NEXT) | instid1(VALU_DEP_3)
	v_cndmask_b32_e64 v84, 0xff7fffff, v107, s16
	v_cndmask_b32_e64 v85, 0xff7fffff, v106, s17
	v_lshlrev_b32_e32 v83, 2, v97
	s_delay_alu instid0(VALU_DEP_2) | instskip(SKIP_3) | instid1(VALU_DEP_1)
	v_max3_f32 v81, v81, v84, v85
	ds_bpermute_b32 v82, v83, v81
	s_waitcnt lgkmcnt(0)
	v_max_f32_e32 v82, v82, v82
	v_max_f32_e32 v81, v81, v82
	s_delay_alu instid0(VALU_DEP_1)
	v_fma_f32 v82, s18, v137, -v81
	v_fma_f32 v84, s18, v138, -v81
	;; [unrolled: 1-line block ×5, first 2 shown]
	v_mul_f32_e32 v82, 0x3fb8aa3b, v82
	s_delay_alu instid0(VALU_DEP_4) | instskip(NEXT) | instid1(VALU_DEP_3)
	v_dual_mul_f32 v84, 0x3fb8aa3b, v84 :: v_dual_mul_f32 v89, 0x3fb8aa3b, v87
	v_mul_f32_e32 v86, 0x3fb8aa3b, v86
	s_delay_alu instid0(VALU_DEP_3) | instskip(NEXT) | instid1(VALU_DEP_2)
	v_exp_f32_e32 v82, v82
	v_exp_f32_e32 v84, v84
	s_delay_alu instid0(VALU_DEP_2) | instskip(NEXT) | instid1(VALU_DEP_1)
	v_exp_f32_e32 v92, v89
	v_exp_f32_e32 v86, v86
	v_cndmask_b32_e32 v88, 0, v82, vcc_lo
	s_delay_alu instid0(TRANS32_DEP_3)
	v_cndmask_b32_e64 v87, 0, v84, s2
	s_waitcnt_depctr 0xfff
	v_cndmask_b32_e64 v92, 0, v92, s5
	s_mov_b32 s2, exec_lo
	v_cndmask_b32_e64 v89, 0, v86, s4
	v_add_f32_e32 v84, 0, v88
	s_delay_alu instid0(VALU_DEP_1) | instskip(NEXT) | instid1(VALU_DEP_1)
	v_dual_add_f32 v84, v84, v87 :: v_dual_mul_f32 v85, 0x3fb8aa3b, v85
	v_exp_f32_e32 v85, v85
	s_waitcnt_depctr 0xfff
	v_cndmask_b32_e64 v90, 0, v85, s3
	s_delay_alu instid0(VALU_DEP_1) | instskip(NEXT) | instid1(VALU_DEP_1)
	v_add_f32_e32 v84, v84, v90
	v_add_f32_e32 v84, v84, v89
	v_fma_f32 v82, s18, v142, -v81
	v_fma_f32 v91, s18, v143, -v81
	;; [unrolled: 1-line block ×5, first 2 shown]
	s_delay_alu instid0(VALU_DEP_4) | instskip(SKIP_1) | instid1(VALU_DEP_4)
	v_dual_mul_f32 v82, 0x3fb8aa3b, v82 :: v_dual_mul_f32 v91, 0x3fb8aa3b, v91
	v_fma_f32 v96, s18, v124, -v81
	v_mul_f32_e32 v86, 0x3fb8aa3b, v86
	v_fma_f32 v99, s18, v127, -v81
	s_delay_alu instid0(VALU_DEP_4) | instskip(SKIP_3) | instid1(VALU_DEP_1)
	v_exp_f32_e32 v82, v82
	v_exp_f32_e32 v93, v91
	v_mul_f32_e32 v97, 0x3fb8aa3b, v96
	v_exp_f32_e32 v86, v86
	v_exp_f32_e32 v97, v97
	v_cndmask_b32_e64 v91, 0, v82, s6
	v_dual_add_f32 v82, v84, v92 :: v_dual_mul_f32 v85, 0x3fb8aa3b, v85
	v_fma_f32 v84, s18, v123, -v81
	v_mul_f32_e32 v95, 0x3fb8aa3b, v94
	s_delay_alu instid0(TRANS32_DEP_3) | instskip(NEXT) | instid1(VALU_DEP_4)
	v_cndmask_b32_e64 v94, 0, v93, s7
	v_add_f32_e32 v82, v82, v91
	v_exp_f32_e32 v85, v85
	v_mul_f32_e32 v84, 0x3fb8aa3b, v84
	v_cndmask_b32_e64 v96, 0, v86, s9
	v_exp_f32_e32 v95, v95
	v_add_f32_e32 v82, v82, v94
	v_fma_f32 v86, s18, v126, -v81
	v_exp_f32_e32 v84, v84
	v_cndmask_b32_e64 v97, 0, v97, s12
	s_delay_alu instid0(TRANS32_DEP_3) | instskip(SKIP_2) | instid1(TRANS32_DEP_2)
	v_cndmask_b32_e64 v93, 0, v85, s8
	v_fma_f32 v85, s18, v125, -v81
	v_mul_f32_e32 v86, 0x3fb8aa3b, v86
	v_cndmask_b32_e64 v95, 0, v95, s10
	s_waitcnt_depctr 0xfff
	v_cndmask_b32_e64 v98, 0, v84, s11
	v_mul_f32_e32 v84, 0x3fb8aa3b, v99
	v_fma_f32 v99, s18, v128, -v81
	v_add_f32_e32 v82, v82, v93
	v_mul_f32_e32 v85, 0x3fb8aa3b, v85
	v_exp_f32_e32 v86, v86
	v_exp_f32_e32 v84, v84
	s_delay_alu instid0(VALU_DEP_1)
	v_exp_f32_e32 v85, v85
	s_waitcnt_depctr 0xfff
	v_cndmask_b32_e64 v102, 0, v84, s16
	v_cndmask_b32_e64 v100, 0, v85, s13
	v_dual_mul_f32 v85, 0x3fb8aa3b, v99 :: v_dual_add_f32 v82, v82, v96
	v_cndmask_b32_e64 v99, 0, v86, s15
	s_delay_alu instid0(VALU_DEP_2) | instskip(NEXT) | instid1(VALU_DEP_2)
	v_exp_f32_e32 v85, v85
	v_add_f32_e32 v82, v82, v95
	s_delay_alu instid0(VALU_DEP_1) | instskip(SKIP_3) | instid1(VALU_DEP_1)
	v_add_f32_e32 v82, v82, v98
	s_waitcnt_depctr 0xfff
	v_cndmask_b32_e64 v101, 0, v85, s17
	v_add_f32_e32 v82, v82, v97
	v_add_f32_e32 v82, v82, v100
	s_delay_alu instid0(VALU_DEP_1) | instskip(NEXT) | instid1(VALU_DEP_1)
	v_add_f32_e32 v82, v82, v99
	v_add_f32_e32 v82, v82, v102
	s_delay_alu instid0(VALU_DEP_1)
	v_add_f32_e32 v82, v82, v101
	ds_bpermute_b32 v83, v83, v82
	v_cmpx_gt_u32_e32 16, v80
	s_cbranch_execz .LBB331_14
; %bb.13:
	v_mul_u32_u24_e32 v80, 0x44, v78
	s_waitcnt lgkmcnt(0)
	v_add_f32_e32 v82, v82, v83
	s_delay_alu instid0(VALU_DEP_2) | instskip(NEXT) | instid1(VALU_DEP_1)
	v_lshl_add_u32 v80, v77, 2, v80
	v_add_nc_u32_e32 v80, 0x4000, v80
	ds_store_2addr_b32 v80, v81, v82 offset1:136
.LBB331_14:
	s_or_b32 exec_lo, exec_lo, s2
	v_lshlrev_b32_e32 v80, 2, v77
	s_load_b32 s34, s[0:1], 0x94
	s_waitcnt lgkmcnt(0)
	s_barrier
	buffer_gl0_inv
	v_add_nc_u32_e32 v84, 0x4000, v80
	v_cmp_eq_u32_e32 vcc_lo, 1, v78
	v_cmp_eq_u32_e64 s2, 2, v78
	v_cmp_eq_u32_e64 s3, 3, v78
	;; [unrolled: 1-line block ×3, first 2 shown]
	ds_load_2addr_b32 v[80:81], v84 offset1:17
	ds_load_2addr_b32 v[82:83], v84 offset0:34 offset1:51
	ds_load_2addr_b32 v[103:104], v84 offset0:68 offset1:85
	;; [unrolled: 1-line block ×3, first 2 shown]
	v_cmp_eq_u32_e64 s5, 7, v78
	s_waitcnt lgkmcnt(3)
	v_max3_f32 v85, v80, 0xff7fffff, v81
	s_waitcnt lgkmcnt(2)
	s_delay_alu instid0(VALU_DEP_1) | instskip(SKIP_1) | instid1(VALU_DEP_1)
	v_max3_f32 v85, v85, v82, v83
	s_waitcnt lgkmcnt(1)
	v_max3_f32 v85, v85, v103, v104
	s_waitcnt lgkmcnt(0)
	s_delay_alu instid0(VALU_DEP_1) | instskip(NEXT) | instid1(VALU_DEP_1)
	v_max3_f32 v85, v85, v105, v106
	v_sub_f32_e32 v103, v103, v85
	ds_load_2addr_b32 v[107:108], v84 offset0:136 offset1:153
	v_sub_f32_e32 v80, v80, v85
	v_dual_sub_f32 v110, v83, v85 :: v_dual_mul_f32 v113, 0x3fb8aa3b, v103
	s_delay_alu instid0(VALU_DEP_2) | instskip(SKIP_3) | instid1(VALU_DEP_1)
	v_dual_sub_f32 v86, v81, v85 :: v_dual_mul_f32 v109, 0x3fb8aa3b, v80
	ds_load_2addr_b32 v[80:81], v84 offset0:170 offset1:187
	v_mul_f32_e32 v86, 0x3fb8aa3b, v86
	v_exp_f32_e32 v109, v109
	v_exp_f32_e32 v112, v86
	v_mul_f32_e32 v110, 0x3fb8aa3b, v110
	s_waitcnt lgkmcnt(1)
	s_waitcnt_depctr 0xfff
	v_fma_f32 v86, v109, v107, 0
	v_sub_f32_e32 v107, v104, v85
	v_sub_f32_e32 v82, v82, v85
	v_exp_f32_e32 v110, v110
	ds_load_2addr_b32 v[103:104], v84 offset0:238 offset1:255
	v_dual_fmac_f32 v86, v112, v108 :: v_dual_mul_f32 v111, 0x3fb8aa3b, v82
	ds_load_2addr_b32 v[82:83], v84 offset0:204 offset1:221
	v_dual_sub_f32 v84, v105, v85 :: v_dual_mul_f32 v105, 0x3fb8aa3b, v107
	v_exp_f32_e32 v107, v113
	v_exp_f32_e32 v111, v111
	s_waitcnt lgkmcnt(0)
	s_delay_alu instid0(VALU_DEP_1)
	v_mul_f32_e32 v84, 0x3fb8aa3b, v84
	v_exp_f32_e32 v105, v105
	s_barrier
	buffer_gl0_inv
	v_fmac_f32_e32 v86, v111, v80
	v_sub_f32_e32 v80, v106, v85
	v_exp_f32_e32 v106, v84
	s_delay_alu instid0(VALU_DEP_2) | instskip(NEXT) | instid1(VALU_DEP_2)
	v_fmac_f32_e32 v86, v110, v81
	v_mul_f32_e32 v80, 0x3fb8aa3b, v80
	s_delay_alu instid0(VALU_DEP_2) | instskip(NEXT) | instid1(VALU_DEP_2)
	v_dual_cndmask_b32 v81, v109, v112 :: v_dual_fmac_f32 v86, v107, v82
	v_exp_f32_e32 v108, v80
	s_delay_alu instid0(VALU_DEP_1) | instskip(SKIP_2) | instid1(VALU_DEP_1)
	v_fmac_f32_e32 v86, v105, v83
	s_waitcnt_depctr 0xfff
	v_fmac_f32_e32 v86, v106, v103
	v_fmac_f32_e32 v86, v108, v104
	s_delay_alu instid0(VALU_DEP_1) | instskip(NEXT) | instid1(VALU_DEP_1)
	v_add_f32_e32 v103, 0x358637bd, v86
	v_div_scale_f32 v104, null, v103, v103, 1.0
	v_div_scale_f32 v109, vcc_lo, 1.0, v103, 1.0
	s_delay_alu instid0(VALU_DEP_2) | instskip(SKIP_2) | instid1(VALU_DEP_1)
	v_rcp_f32_e32 v113, v104
	s_waitcnt_depctr 0xfff
	v_fma_f32 v80, -v104, v113, 1.0
	v_fmac_f32_e32 v113, v80, v113
	v_cndmask_b32_e64 v80, v81, v111, s2
	v_cmp_eq_u32_e64 s2, 4, v78
	v_lshl_or_b32 v81, v78, 11, v79
	s_delay_alu instid0(VALU_DEP_4) | instskip(NEXT) | instid1(VALU_DEP_4)
	v_mul_f32_e32 v111, v109, v113
	v_cndmask_b32_e64 v82, v80, v110, s3
	v_cmp_eq_u32_e64 s3, 6, v78
	s_delay_alu instid0(VALU_DEP_4) | instskip(SKIP_3) | instid1(VALU_DEP_3)
	v_lshl_or_b32 v78, v75, 4, v81
	v_lshlrev_b32_e32 v80, 2, v75
	v_fma_f32 v83, -v104, v111, v109
	v_cndmask_b32_e64 v84, v82, v107, s2
	v_or_b32_e32 v82, 1, v80
	s_delay_alu instid0(VALU_DEP_3) | instskip(NEXT) | instid1(VALU_DEP_3)
	v_fmac_f32_e32 v111, v83, v113
	v_cndmask_b32_e64 v105, v84, v105, s4
	v_or_b32_e32 v84, 2, v80
	v_or_b32_e32 v83, 3, v80
	v_cmp_eq_u32_e64 s2, 1, v80
	v_fma_f32 v104, -v104, v111, v109
	v_cndmask_b32_e64 v105, v105, v106, s3
	v_cmp_eq_u32_e64 s8, 1, v82
	v_cmp_eq_u32_e64 s9, 1, v84
	;; [unrolled: 1-line block ×3, first 2 shown]
	v_div_fmas_f32 v104, v104, v113, v111
	v_cndmask_b32_e64 v105, v105, v108, s5
	v_cmp_eq_u32_e32 vcc_lo, 2, v80
	v_cmp_eq_u32_e64 s11, 2, v82
	v_cmp_eq_u32_e64 s13, 2, v84
	v_div_fixup_f32 v103, v104, v103, 1.0
	v_cmp_eq_u32_e64 s15, 2, v83
	v_cmp_eq_u32_e64 s17, 3, v83
	;; [unrolled: 1-line block ×4, first 2 shown]
	v_mul_f32_e32 v111, v105, v103
	v_cmp_eq_u32_e64 s16, 3, v84
	v_cmp_eq_u32_e64 s21, 4, v83
	;; [unrolled: 1-line block ×4, first 2 shown]
	v_fma_mixlo_f16 v103, v111, v88, 0
	v_fma_mixlo_f16 v104, v111, v90, 0
	;; [unrolled: 1-line block ×8, first 2 shown]
	v_fma_mixhi_f16 v103, v111, v87, 0
	v_fma_mixhi_f16 v104, v111, v89, 0
	;; [unrolled: 1-line block ×8, first 2 shown]
	ds_store_b128 v78, v[103:106]
	ds_store_b128 v78, v[107:110] offset:1024
	s_waitcnt lgkmcnt(0)
	s_barrier
	buffer_gl0_inv
	ds_load_b128 v[87:90], v81
	ds_load_b128 v[91:94], v81 offset:16
	ds_load_b128 v[95:98], v81 offset:1024
	;; [unrolled: 1-line block ×3, first 2 shown]
	v_cmp_eq_u32_e64 s20, 4, v84
	v_cmp_eq_u32_e64 s23, 5, v83
	;; [unrolled: 1-line block ×13, first 2 shown]
	s_waitcnt lgkmcnt(3)
	v_lshrrev_b32_e32 v103, 16, v87
	s_waitcnt lgkmcnt(2)
	v_lshrrev_b32_e32 v107, 16, v91
	;; [unrolled: 2-line block ×4, first 2 shown]
	v_lshrrev_b32_e32 v104, 16, v88
	v_cndmask_b32_e64 v119, v87, v103, s2
	v_cndmask_b32_e64 v120, v91, v107, s2
	;; [unrolled: 1-line block ×8, first 2 shown]
	v_lshrrev_b32_e32 v108, 16, v92
	v_cndmask_b32_e64 v103, v95, v111, s2
	v_cndmask_b32_e64 v107, v99, v115, s2
	;; [unrolled: 1-line block ×5, first 2 shown]
	v_cndmask_b32_e32 v111, v119, v88, vcc_lo
	v_cndmask_b32_e64 v119, v121, v88, s11
	v_cndmask_b32_e64 v121, v123, v88, s13
	;; [unrolled: 1-line block ×4, first 2 shown]
	v_lshrrev_b32_e32 v112, 16, v96
	v_lshrrev_b32_e32 v116, 16, v100
	v_cndmask_b32_e64 v126, v99, v115, s8
	v_cndmask_b32_e64 v128, v99, v115, s9
	v_cndmask_b32_e64 v99, v99, v115, s10
	v_cndmask_b32_e32 v115, v120, v92, vcc_lo
	v_cndmask_b32_e64 v120, v122, v92, s11
	v_cndmask_b32_e64 v122, v124, v92, s13
	v_cndmask_b32_e32 v91, v103, v96, vcc_lo
	v_cndmask_b32_e32 v92, v107, v100, vcc_lo
	v_cndmask_b32_e64 v103, v125, v96, s11
	v_cndmask_b32_e64 v87, v87, v104, s17
	;; [unrolled: 1-line block ×3, first 2 shown]
	v_lshrrev_b32_e32 v105, 16, v89
	v_lshrrev_b32_e32 v109, 16, v93
	v_cndmask_b32_e64 v107, v127, v96, s13
	v_cndmask_b32_e64 v95, v95, v96, s15
	;; [unrolled: 1-line block ×14, first 2 shown]
	v_lshrrev_b32_e32 v113, 16, v97
	v_cndmask_b32_e64 v99, v99, v89, s4
	v_cndmask_b32_e64 v104, v111, v93, s4
	;; [unrolled: 1-line block ×11, first 2 shown]
	v_lshrrev_b32_e32 v106, 16, v90
	v_lshrrev_b32_e32 v110, 16, v94
	v_cndmask_b32_e64 v93, v99, v105, s5
	v_cndmask_b32_e64 v99, v104, v109, s5
	;; [unrolled: 1-line block ×9, first 2 shown]
	v_lshrrev_b32_e32 v114, 16, v98
	v_cndmask_b32_e64 v89, v89, v113, s5
	v_cndmask_b32_e64 v93, v93, v90, s6
	v_cndmask_b32_e64 v99, v99, v94, s6
	v_cndmask_b32_e64 v103, v103, v90, s24
	v_cndmask_b32_e64 v104, v104, v94, s24
	v_cndmask_b32_e64 v105, v108, v90, s25
	v_cndmask_b32_e64 v108, v111, v94, s25
	v_cndmask_b32_e64 v90, v92, v98, s24
	v_cndmask_b32_e64 v87, v87, v106, s28
	v_cndmask_b32_e64 v88, v88, v110, s28
	v_cndmask_b32_e64 v123, v128, v100, s13
	v_cndmask_b32_e64 v89, v89, v98, s6
	v_cndmask_b32_e64 v92, v93, v106, s7
	v_cndmask_b32_e64 v93, v99, v110, s7
	v_cndmask_b32_e64 v94, v103, v106, s29
	v_cndmask_b32_e64 v99, v105, v106, s27
	v_cndmask_b32_e64 v103, v108, v110, s27
	v_cndmask_b32_e64 v104, v104, v110, s29
	v_cndmask_b32_e64 v106, v90, v114, s29
	v_perm_b32 v90, v88, v87, 0x5040100
	v_cndmask_b32_e64 v87, v126, v100, s11
	v_cndmask_b32_e64 v105, v89, v114, s7
	v_perm_b32 v89, v103, v99, 0x5040100
	v_perm_b32 v88, v104, v94, 0x5040100
	v_cndmask_b32_e64 v94, v107, v112, s16
	v_cndmask_b32_e64 v95, v95, v112, s17
	;; [unrolled: 1-line block ×5, first 2 shown]
	v_lshrrev_b32_e32 v117, 16, v101
	v_cndmask_b32_e64 v94, v94, v97, s20
	v_cndmask_b32_e64 v95, v95, v97, s21
	;; [unrolled: 1-line block ×11, first 2 shown]
	v_lshrrev_b32_e32 v118, 16, v102
	v_cndmask_b32_e64 v91, v91, v102, s6
	v_cndmask_b32_e64 v94, v94, v98, s25
	;; [unrolled: 1-line block ×12, first 2 shown]
	v_perm_b32 v87, v93, v92, 0x5040100
	v_perm_b32 v94, v95, v94, 0x5040100
	;; [unrolled: 1-line block ×5, first 2 shown]
	s_mul_i32 s6, s33, 6
	s_mov_b32 s2, exec_lo
	ds_store_b128 v78, v[87:90]
	ds_store_b128 v78, v[91:94] offset:1024
	v_cmpx_gt_u32_e32 6, v0
	s_cbranch_execz .LBB331_16
; %bb.15:
	s_mul_i32 s3, s6, s30
	s_load_b128 s[8:11], s[0:1], 0x58
	v_add3_u32 v77, s3, s31, v77
	s_delay_alu instid0(VALU_DEP_1) | instskip(NEXT) | instid1(VALU_DEP_1)
	v_mad_u64_u32 v[87:88], null, v77, s34, s[14:15]
	v_ashrrev_i32_e32 v88, 31, v87
	s_delay_alu instid0(VALU_DEP_1) | instskip(SKIP_1) | instid1(VALU_DEP_1)
	v_lshlrev_b64 v[87:88], 2, v[87:88]
	s_waitcnt lgkmcnt(0)
	v_add_co_u32 v89, vcc_lo, s10, v87
	s_delay_alu instid0(VALU_DEP_2)
	v_add_co_ci_u32_e32 v90, vcc_lo, s11, v88, vcc_lo
	v_add_co_u32 v87, vcc_lo, s8, v87
	v_add_co_ci_u32_e32 v88, vcc_lo, s9, v88, vcc_lo
	global_store_b32 v[89:90], v85, off
	global_store_b32 v[87:88], v86, off
.LBB331_16:
	s_or_b32 exec_lo, exec_lo, s2
	s_waitcnt lgkmcnt(0)
	s_waitcnt_vscnt null, 0x0
	s_barrier
	buffer_gl0_inv
	ds_load_b128 v[93:96], v79
	ds_load_b128 v[97:100], v79 offset:16
	ds_load_b128 v[105:108], v79 offset:1040
	ds_load_b128 v[101:104], v79 offset:1024
	ds_load_b128 v[113:116], v79 offset:2064
	ds_load_b128 v[109:112], v79 offset:2048
	v_cmp_eq_u32_e32 vcc_lo, 1, v84
	v_mov_b32_e32 v85, 0
	ds_load_b128 v[121:124], v79 offset:3088
	ds_load_b128 v[117:120], v79 offset:3072
	;; [unrolled: 1-line block ×4, first 2 shown]
	v_cmp_eq_u32_e64 s2, 1, v80
	v_cmp_eq_u32_e64 s3, 1, v83
	;; [unrolled: 1-line block ×3, first 2 shown]
	v_mov_b32_e32 v86, v85
	v_mov_b32_e32 v87, v85
	;; [unrolled: 1-line block ×7, first 2 shown]
	v_cmp_eq_u32_e64 s5, 2, v80
	s_waitcnt lgkmcnt(8)
	s_delay_alu instid0(VALU_DEP_2)
	v_wmma_f32_16x16x16_f16 v[85:92], v[65:72], v[93:100], v[85:92]
	ds_load_b128 v[69:72], v79 offset:5136
	ds_load_b128 v[65:68], v79 offset:5120
	;; [unrolled: 1-line block ×4, first 2 shown]
	s_waitcnt lgkmcnt(10)
	v_wmma_f32_16x16x16_f16 v[85:92], v[57:64], v[101:108], v[85:92]
	s_waitcnt lgkmcnt(8)
	s_delay_alu instid0(VALU_DEP_1)
	v_wmma_f32_16x16x16_f16 v[85:92], v[57:64], v[109:116], v[85:92]
	ds_load_b128 v[61:64], v79 offset:7184
	ds_load_b128 v[57:60], v79 offset:7168
	;; [unrolled: 1-line block ×4, first 2 shown]
	s_waitcnt lgkmcnt(10)
	v_wmma_f32_16x16x16_f16 v[85:92], v[49:56], v[117:124], v[85:92]
	s_waitcnt lgkmcnt(8)
	s_delay_alu instid0(VALU_DEP_1)
	v_wmma_f32_16x16x16_f16 v[85:92], v[49:56], v[125:132], v[85:92]
	ds_load_b128 v[53:56], v79 offset:9232
	ds_load_b128 v[49:52], v79 offset:9216
	s_waitcnt lgkmcnt(8)
	v_wmma_f32_16x16x16_f16 v[85:92], v[41:48], v[65:72], v[85:92]
	ds_load_b128 v[69:72], v79 offset:10256
	ds_load_b128 v[65:68], v79 offset:10240
	s_waitcnt lgkmcnt(8)
	;; [unrolled: 4-line block ×7, first 2 shown]
	s_barrier
	buffer_gl0_inv
	v_wmma_f32_16x16x16_f16 v[85:92], v[33:40], v[41:48], v[85:92]
	s_delay_alu instid0(VALU_DEP_1) | instskip(NEXT) | instid1(VALU_DEP_1)
	v_wmma_f32_16x16x16_f16 v[85:92], v[33:40], v[57:64], v[85:92]
	v_wmma_f32_16x16x16_f16 v[85:92], v[25:32], v[9:16], v[85:92]
	s_delay_alu instid0(VALU_DEP_1) | instskip(NEXT) | instid1(VALU_DEP_1)
	v_wmma_f32_16x16x16_f16 v[85:92], v[25:32], v[49:56], v[85:92]
	v_wmma_f32_16x16x16_f16 v[85:92], v[17:24], v[1:8], v[85:92]
	s_delay_alu instid0(VALU_DEP_1) | instskip(NEXT) | instid1(VALU_DEP_2)
	v_cvt_f16_f32_e32 v1, v85
	v_cvt_f16_f32_e32 v2, v86
	s_delay_alu instid0(VALU_DEP_3) | instskip(NEXT) | instid1(VALU_DEP_4)
	v_cvt_f16_f32_e32 v3, v87
	v_cvt_f16_f32_e32 v4, v88
	;; [unrolled: 1-line block ×6, first 2 shown]
	v_pack_b32_f16 v1, v1, v2
	v_pack_b32_f16 v2, v3, v4
	;; [unrolled: 1-line block ×3, first 2 shown]
	s_delay_alu instid0(VALU_DEP_4)
	v_pack_b32_f16 v4, v7, v8
	ds_store_b128 v78, v[1:4]
	s_waitcnt lgkmcnt(0)
	s_barrier
	buffer_gl0_inv
	ds_load_b128 v[1:4], v81
	ds_load_b128 v[5:8], v81 offset:16
	s_waitcnt lgkmcnt(1)
	v_lshrrev_b32_e32 v9, 16, v1
	s_waitcnt lgkmcnt(0)
	v_lshrrev_b32_e32 v13, 16, v5
	v_lshrrev_b32_e32 v15, 16, v7
	v_lshrrev_b32_e32 v10, 16, v2
	v_lshrrev_b32_e32 v14, 16, v6
	v_cndmask_b32_e64 v17, v1, v9, s2
	v_cndmask_b32_e64 v18, v5, v13, s2
	;; [unrolled: 1-line block ×3, first 2 shown]
	v_cmp_eq_u32_e64 s2, 2, v82
	v_cndmask_b32_e64 v20, v5, v13, s4
	v_cndmask_b32_e32 v21, v1, v9, vcc_lo
	v_cndmask_b32_e32 v22, v5, v13, vcc_lo
	v_cndmask_b32_e64 v1, v1, v9, s3
	v_cndmask_b32_e64 v5, v5, v13, s3
	v_cmp_eq_u32_e32 vcc_lo, 2, v84
	v_cmp_eq_u32_e64 s3, 2, v83
	v_cndmask_b32_e64 v9, v17, v2, s5
	v_cndmask_b32_e64 v13, v18, v6, s5
	;; [unrolled: 1-line block ×4, first 2 shown]
	v_cndmask_b32_e32 v19, v21, v2, vcc_lo
	v_cmp_eq_u32_e64 s2, 3, v84
	v_cndmask_b32_e32 v20, v22, v6, vcc_lo
	v_cndmask_b32_e64 v1, v1, v2, s3
	v_cmp_eq_u32_e32 vcc_lo, 3, v83
	v_cmp_eq_u32_e64 s4, 3, v80
	v_cndmask_b32_e64 v2, v5, v6, s3
	v_cmp_eq_u32_e64 s3, 3, v82
	v_lshrrev_b32_e32 v16, 16, v8
	v_cmp_eq_u32_e64 s5, 4, v80
	v_cndmask_b32_e64 v5, v9, v10, s4
	v_cndmask_b32_e64 v6, v13, v14, s4
	;; [unrolled: 1-line block ×3, first 2 shown]
	v_cmp_eq_u32_e64 s4, 4, v82
	v_cndmask_b32_e64 v13, v18, v14, s3
	v_cndmask_b32_e64 v17, v19, v10, s2
	;; [unrolled: 1-line block ×3, first 2 shown]
	v_cndmask_b32_e32 v1, v1, v10, vcc_lo
	v_cndmask_b32_e32 v2, v2, v14, vcc_lo
	v_cmp_eq_u32_e32 vcc_lo, 4, v84
	v_cmp_eq_u32_e64 s3, 4, v83
	v_lshrrev_b32_e32 v11, 16, v3
	v_cndmask_b32_e64 v5, v5, v3, s5
	v_cndmask_b32_e64 v6, v6, v7, s5
	;; [unrolled: 1-line block ×4, first 2 shown]
	v_cndmask_b32_e32 v13, v17, v3, vcc_lo
	v_cmp_eq_u32_e64 s2, 5, v84
	v_cndmask_b32_e32 v14, v18, v7, vcc_lo
	v_cndmask_b32_e64 v1, v1, v3, s3
	v_cmp_eq_u32_e32 vcc_lo, 5, v83
	v_cmp_eq_u32_e64 s4, 5, v80
	v_cndmask_b32_e64 v2, v2, v7, s3
	v_cmp_eq_u32_e64 s3, 5, v82
	v_cmp_eq_u32_e64 s5, 6, v80
	v_cndmask_b32_e32 v1, v1, v11, vcc_lo
	v_cndmask_b32_e64 v3, v5, v11, s4
	v_cndmask_b32_e64 v5, v6, v15, s4
	v_cndmask_b32_e64 v6, v9, v11, s3
	v_cmp_eq_u32_e64 s4, 6, v82
	v_cndmask_b32_e64 v7, v10, v15, s3
	v_cndmask_b32_e64 v9, v13, v11, s2
	;; [unrolled: 1-line block ×3, first 2 shown]
	v_cndmask_b32_e32 v2, v2, v15, vcc_lo
	v_cmp_eq_u32_e32 vcc_lo, 6, v84
	v_cmp_eq_u32_e64 s2, 6, v83
	v_lshrrev_b32_e32 v12, 16, v4
	v_cndmask_b32_e64 v3, v3, v4, s5
	v_cndmask_b32_e64 v5, v5, v8, s5
	;; [unrolled: 1-line block ×4, first 2 shown]
	v_cndmask_b32_e32 v9, v9, v4, vcc_lo
	v_cmp_eq_u32_e64 s3, 7, v84
	v_cndmask_b32_e32 v10, v10, v8, vcc_lo
	v_cndmask_b32_e64 v1, v1, v4, s2
	v_cmp_eq_u32_e32 vcc_lo, 7, v83
	v_cndmask_b32_e64 v2, v2, v8, s2
	v_cmp_eq_u32_e64 s2, 7, v80
	v_cmp_eq_u32_e64 s4, 7, v82
	v_cndmask_b32_e32 v1, v1, v12, vcc_lo
	s_delay_alu instid0(VALU_DEP_4) | instskip(NEXT) | instid1(VALU_DEP_4)
	v_cndmask_b32_e32 v2, v2, v16, vcc_lo
	v_cndmask_b32_e64 v8, v3, v12, s2
	s_delay_alu instid0(VALU_DEP_4)
	v_cndmask_b32_e64 v6, v6, v12, s4
	v_cndmask_b32_e64 v3, v9, v12, s3
	;; [unrolled: 1-line block ×5, first 2 shown]
	v_perm_b32 v4, v2, v1, 0x5040100
	s_mov_b32 s2, exec_lo
	v_perm_b32 v3, v9, v3, 0x5040100
	v_perm_b32 v2, v7, v6, 0x5040100
	;; [unrolled: 1-line block ×3, first 2 shown]
	ds_store_b128 v78, v[1:4]
	s_waitcnt lgkmcnt(0)
	s_barrier
	buffer_gl0_inv
	v_cmpx_gt_u32_e32 32, v0
	s_cbranch_execz .LBB331_2
; %bb.17:
	s_load_b64 s[0:1], s[0:1], 0x68
	s_lshl_b32 s4, s34, 7
	v_or_b32_e32 v3, s31, v75
	s_mul_i32 s2, s4, s30
	v_lshlrev_b32_e32 v0, 10, v0
	s_mul_i32 s2, s2, s6
	v_lshlrev_b32_e32 v1, 4, v76
	s_ashr_i32 s3, s2, 31
	v_mul_lo_u32 v12, v3, s4
	s_lshl_b64 s[2:3], s[2:3], 1
	v_lshlrev_b32_e32 v2, 6, v75
	v_and_b32_e32 v0, 0x3800, v0
	s_delay_alu instid0(VALU_DEP_1) | instskip(NEXT) | instid1(VALU_DEP_4)
	v_or3_b32 v8, v0, v1, v2
	v_ashrrev_i32_e32 v13, 31, v12
	ds_load_b128 v[0:3], v8
	ds_load_b128 v[4:7], v8 offset:128
	ds_load_b128 v[8:11], v8 offset:256
	s_waitcnt lgkmcnt(0)
	s_add_u32 s2, s0, s2
	s_addc_u32 s3, s1, s3
	s_lshl_b32 s0, s14, 7
	s_delay_alu instid0(SALU_CYCLE_1) | instskip(NEXT) | instid1(SALU_CYCLE_1)
	s_ashr_i32 s1, s0, 31
	s_lshl_b64 s[0:1], s[0:1], 1
	s_delay_alu instid0(SALU_CYCLE_1)
	s_add_u32 s0, s2, s0
	s_addc_u32 s1, s3, s1
	s_lshl_b32 s2, s34, 8
	v_add_co_u32 v18, vcc_lo, s0, v73
	v_add_nc_u32_e32 v14, s2, v12
	v_lshlrev_b64 v[12:13], 1, v[12:13]
	v_add_co_ci_u32_e32 v19, vcc_lo, s1, v74, vcc_lo
	s_delay_alu instid0(VALU_DEP_3) | instskip(SKIP_1) | instid1(VALU_DEP_4)
	v_add_nc_u32_e32 v16, s2, v14
	v_ashrrev_i32_e32 v15, 31, v14
	v_add_co_u32 v12, vcc_lo, v18, v12
	s_delay_alu instid0(VALU_DEP_4) | instskip(NEXT) | instid1(VALU_DEP_4)
	v_add_co_ci_u32_e32 v13, vcc_lo, v19, v13, vcc_lo
	v_ashrrev_i32_e32 v17, 31, v16
	s_delay_alu instid0(VALU_DEP_4) | instskip(NEXT) | instid1(VALU_DEP_2)
	v_lshlrev_b64 v[14:15], 1, v[14:15]
	v_lshlrev_b64 v[16:17], 1, v[16:17]
	s_delay_alu instid0(VALU_DEP_2) | instskip(NEXT) | instid1(VALU_DEP_3)
	v_add_co_u32 v14, vcc_lo, v18, v14
	v_add_co_ci_u32_e32 v15, vcc_lo, v19, v15, vcc_lo
	s_delay_alu instid0(VALU_DEP_3) | instskip(NEXT) | instid1(VALU_DEP_4)
	v_add_co_u32 v16, vcc_lo, v18, v16
	v_add_co_ci_u32_e32 v17, vcc_lo, v19, v17, vcc_lo
	s_clause 0x2
	global_store_b128 v[12:13], v[0:3], off
	global_store_b128 v[14:15], v[4:7], off
	;; [unrolled: 1-line block ×3, first 2 shown]
	s_nop 0
	s_sendmsg sendmsg(MSG_DEALLOC_VGPRS)
	s_endpgm
	.section	.rodata,"a",@progbits
	.p2align	6, 0x0
	.amdhsa_kernel _Z39paged_attention_ll4mi_QKV_mfma16_kernelIDF16_DF16_LN4vllm18Fp8KVCacheDataTypeE0EhLi32ELi128ELi256ELb0ELi6EL8MFMAType0EEvPKT_PKT0_S8_ifPKiSA_SA_iPKfiiiPfSD_PS3_PT2_iSC_SC_
		.amdhsa_group_segment_fixed_size 17472
		.amdhsa_private_segment_fixed_size 0
		.amdhsa_kernarg_size 400
		.amdhsa_user_sgpr_count 13
		.amdhsa_user_sgpr_dispatch_ptr 0
		.amdhsa_user_sgpr_queue_ptr 0
		.amdhsa_user_sgpr_kernarg_segment_ptr 1
		.amdhsa_user_sgpr_dispatch_id 0
		.amdhsa_user_sgpr_private_segment_size 0
		.amdhsa_wavefront_size32 1
		.amdhsa_uses_dynamic_stack 0
		.amdhsa_enable_private_segment 0
		.amdhsa_system_sgpr_workgroup_id_x 1
		.amdhsa_system_sgpr_workgroup_id_y 1
		.amdhsa_system_sgpr_workgroup_id_z 1
		.amdhsa_system_sgpr_workgroup_info 0
		.amdhsa_system_vgpr_workitem_id 0
		.amdhsa_next_free_vgpr 172
		.amdhsa_next_free_sgpr 38
		.amdhsa_reserve_vcc 1
		.amdhsa_float_round_mode_32 0
		.amdhsa_float_round_mode_16_64 0
		.amdhsa_float_denorm_mode_32 3
		.amdhsa_float_denorm_mode_16_64 3
		.amdhsa_dx10_clamp 1
		.amdhsa_ieee_mode 1
		.amdhsa_fp16_overflow 0
		.amdhsa_workgroup_processor_mode 1
		.amdhsa_memory_ordered 1
		.amdhsa_forward_progress 0
		.amdhsa_shared_vgpr_count 0
		.amdhsa_exception_fp_ieee_invalid_op 0
		.amdhsa_exception_fp_denorm_src 0
		.amdhsa_exception_fp_ieee_div_zero 0
		.amdhsa_exception_fp_ieee_overflow 0
		.amdhsa_exception_fp_ieee_underflow 0
		.amdhsa_exception_fp_ieee_inexact 0
		.amdhsa_exception_int_div_zero 0
	.end_amdhsa_kernel
	.section	.text._Z39paged_attention_ll4mi_QKV_mfma16_kernelIDF16_DF16_LN4vllm18Fp8KVCacheDataTypeE0EhLi32ELi128ELi256ELb0ELi6EL8MFMAType0EEvPKT_PKT0_S8_ifPKiSA_SA_iPKfiiiPfSD_PS3_PT2_iSC_SC_,"axG",@progbits,_Z39paged_attention_ll4mi_QKV_mfma16_kernelIDF16_DF16_LN4vllm18Fp8KVCacheDataTypeE0EhLi32ELi128ELi256ELb0ELi6EL8MFMAType0EEvPKT_PKT0_S8_ifPKiSA_SA_iPKfiiiPfSD_PS3_PT2_iSC_SC_,comdat
.Lfunc_end331:
	.size	_Z39paged_attention_ll4mi_QKV_mfma16_kernelIDF16_DF16_LN4vllm18Fp8KVCacheDataTypeE0EhLi32ELi128ELi256ELb0ELi6EL8MFMAType0EEvPKT_PKT0_S8_ifPKiSA_SA_iPKfiiiPfSD_PS3_PT2_iSC_SC_, .Lfunc_end331-_Z39paged_attention_ll4mi_QKV_mfma16_kernelIDF16_DF16_LN4vllm18Fp8KVCacheDataTypeE0EhLi32ELi128ELi256ELb0ELi6EL8MFMAType0EEvPKT_PKT0_S8_ifPKiSA_SA_iPKfiiiPfSD_PS3_PT2_iSC_SC_
                                        ; -- End function
	.section	.AMDGPU.csdata,"",@progbits
; Kernel info:
; codeLenInByte = 7496
; NumSgprs: 40
; NumVgprs: 172
; ScratchSize: 0
; MemoryBound: 0
; FloatMode: 240
; IeeeMode: 1
; LDSByteSize: 17472 bytes/workgroup (compile time only)
; SGPRBlocks: 4
; VGPRBlocks: 21
; NumSGPRsForWavesPerEU: 40
; NumVGPRsForWavesPerEU: 172
; Occupancy: 8
; WaveLimiterHint : 1
; COMPUTE_PGM_RSRC2:SCRATCH_EN: 0
; COMPUTE_PGM_RSRC2:USER_SGPR: 13
; COMPUTE_PGM_RSRC2:TRAP_HANDLER: 0
; COMPUTE_PGM_RSRC2:TGID_X_EN: 1
; COMPUTE_PGM_RSRC2:TGID_Y_EN: 1
; COMPUTE_PGM_RSRC2:TGID_Z_EN: 1
; COMPUTE_PGM_RSRC2:TIDIG_COMP_CNT: 0
	.section	.text._Z39paged_attention_ll4mi_QKV_mfma16_kernelIDF16_DF16_LN4vllm18Fp8KVCacheDataTypeE0EhLi32ELi128ELi256ELb0ELi7EL8MFMAType0EEvPKT_PKT0_S8_ifPKiSA_SA_iPKfiiiPfSD_PS3_PT2_iSC_SC_,"axG",@progbits,_Z39paged_attention_ll4mi_QKV_mfma16_kernelIDF16_DF16_LN4vllm18Fp8KVCacheDataTypeE0EhLi32ELi128ELi256ELb0ELi7EL8MFMAType0EEvPKT_PKT0_S8_ifPKiSA_SA_iPKfiiiPfSD_PS3_PT2_iSC_SC_,comdat
	.protected	_Z39paged_attention_ll4mi_QKV_mfma16_kernelIDF16_DF16_LN4vllm18Fp8KVCacheDataTypeE0EhLi32ELi128ELi256ELb0ELi7EL8MFMAType0EEvPKT_PKT0_S8_ifPKiSA_SA_iPKfiiiPfSD_PS3_PT2_iSC_SC_ ; -- Begin function _Z39paged_attention_ll4mi_QKV_mfma16_kernelIDF16_DF16_LN4vllm18Fp8KVCacheDataTypeE0EhLi32ELi128ELi256ELb0ELi7EL8MFMAType0EEvPKT_PKT0_S8_ifPKiSA_SA_iPKfiiiPfSD_PS3_PT2_iSC_SC_
	.globl	_Z39paged_attention_ll4mi_QKV_mfma16_kernelIDF16_DF16_LN4vllm18Fp8KVCacheDataTypeE0EhLi32ELi128ELi256ELb0ELi7EL8MFMAType0EEvPKT_PKT0_S8_ifPKiSA_SA_iPKfiiiPfSD_PS3_PT2_iSC_SC_
	.p2align	8
	.type	_Z39paged_attention_ll4mi_QKV_mfma16_kernelIDF16_DF16_LN4vllm18Fp8KVCacheDataTypeE0EhLi32ELi128ELi256ELb0ELi7EL8MFMAType0EEvPKT_PKT0_S8_ifPKiSA_SA_iPKfiiiPfSD_PS3_PT2_iSC_SC_,@function
_Z39paged_attention_ll4mi_QKV_mfma16_kernelIDF16_DF16_LN4vllm18Fp8KVCacheDataTypeE0EhLi32ELi128ELi256ELb0ELi7EL8MFMAType0EEvPKT_PKT0_S8_ifPKiSA_SA_iPKfiiiPfSD_PS3_PT2_iSC_SC_: ; @_Z39paged_attention_ll4mi_QKV_mfma16_kernelIDF16_DF16_LN4vllm18Fp8KVCacheDataTypeE0EhLi32ELi128ELi256ELb0ELi7EL8MFMAType0EEvPKT_PKT0_S8_ifPKiSA_SA_iPKfiiiPfSD_PS3_PT2_iSC_SC_
; %bb.0:
	s_load_b64 s[2:3], s[0:1], 0x30
	s_mov_b32 s34, s13
	s_waitcnt lgkmcnt(0)
	s_cmp_lg_u64 s[2:3], 0
	s_cselect_b32 s6, -1, 0
	s_ashr_i32 s35, s13, 31
	s_cmp_eq_u64 s[2:3], 0
	s_cbranch_scc1 .LBB332_3
; %bb.1:
	s_lshl_b64 s[4:5], s[34:35], 2
	s_delay_alu instid0(SALU_CYCLE_1) | instskip(SKIP_4) | instid1(SALU_CYCLE_1)
	s_add_u32 s4, s2, s4
	s_addc_u32 s5, s3, s5
	s_load_b64 s[4:5], s[4:5], 0x0
	s_waitcnt lgkmcnt(0)
	s_sub_i32 s4, s5, s4
	s_cmp_eq_u32 s4, 1
	s_cselect_b32 s4, -1, 0
	s_delay_alu instid0(SALU_CYCLE_1)
	s_and_not1_b32 vcc_lo, exec_lo, s4
	s_cbranch_vccz .LBB332_4
.LBB332_2:
	s_nop 0
	s_sendmsg sendmsg(MSG_DEALLOC_VGPRS)
	s_endpgm
.LBB332_3:
.LBB332_4:
	s_load_b64 s[8:9], s[0:1], 0x28
	s_lshl_b64 s[4:5], s[34:35], 2
	s_waitcnt lgkmcnt(0)
	s_add_u32 s8, s8, s4
	s_addc_u32 s9, s9, s5
	s_lshl_b32 s12, s14, 8
	s_load_b32 s17, s[8:9], 0x0
	s_waitcnt lgkmcnt(0)
	s_cmp_ge_i32 s12, s17
	s_cbranch_scc1 .LBB332_2
; %bb.5:
	s_and_not1_b32 vcc_lo, exec_lo, s6
	s_cbranch_vccnz .LBB332_7
; %bb.6:
	s_add_u32 s2, s2, s4
	s_addc_u32 s3, s3, s5
	s_load_b32 s13, s[2:3], 0x0
	s_branch .LBB332_8
.LBB332_7:
	s_mov_b32 s13, s34
.LBB332_8:
	s_clause 0x2
	s_load_b128 s[8:11], s[0:1], 0x8
	s_load_b64 s[2:3], s[0:1], 0x20
	s_load_b128 s[4:7], s[0:1], 0x48
	v_lshrrev_b32_e32 v78, 5, v0
	v_bfe_u32 v75, v0, 4, 1
	v_and_b32_e32 v77, 15, v0
	s_waitcnt lgkmcnt(0)
	s_mov_b32 s7, exec_lo
	s_delay_alu instid0(VALU_DEP_2) | instskip(NEXT) | instid1(VALU_DEP_2)
	v_lshl_or_b32 v3, v78, 1, v75
	v_lshlrev_b32_e32 v1, 3, v77
	s_delay_alu instid0(VALU_DEP_2)
	v_cmpx_lt_u32_e32 6, v3
	s_xor_b32 s7, exec_lo, s7
; %bb.9:
	v_mov_b32_e32 v2, 0
                                        ; implicit-def: $vgpr3
; %bb.10:
	s_or_saveexec_b32 s7, s7
	v_and_b32_e32 v80, 31, v0
	v_and_b32_e32 v76, 1, v0
	s_mul_i32 s31, s15, 7
	s_xor_b32 exec_lo, exec_lo, s7
	s_cbranch_execz .LBB332_12
; %bb.11:
	s_load_b64 s[18:19], s[0:1], 0x0
	v_add_lshl_u32 v4, v3, s31, 7
	s_mul_hi_i32 s21, s13, s4
	s_mul_i32 s20, s13, s4
	v_lshlrev_b32_e32 v2, 1, v1
	s_lshl_b64 s[20:21], s[20:21], 1
	v_ashrrev_i32_e32 v5, 31, v4
	v_lshlrev_b32_e32 v3, 6, v3
	v_lshlrev_b32_e32 v8, 10, v76
	s_delay_alu instid0(VALU_DEP_3) | instskip(SKIP_3) | instid1(VALU_DEP_1)
	v_lshlrev_b64 v[4:5], 1, v[4:5]
	s_waitcnt lgkmcnt(0)
	s_add_u32 s4, s18, s20
	s_addc_u32 s13, s19, s21
	v_add_co_u32 v4, vcc_lo, s4, v4
	s_delay_alu instid0(VALU_DEP_2) | instskip(NEXT) | instid1(VALU_DEP_2)
	v_add_co_ci_u32_e32 v5, vcc_lo, s13, v5, vcc_lo
	v_add_co_u32 v4, vcc_lo, v4, v2
	s_delay_alu instid0(VALU_DEP_2) | instskip(SKIP_3) | instid1(VALU_DEP_1)
	v_add_co_ci_u32_e32 v5, vcc_lo, 0, v5, vcc_lo
	v_lshlrev_b32_e32 v2, 10, v77
	global_load_b128 v[4:7], v[4:5], off
	v_and_b32_e32 v2, 0x3800, v2
	v_or3_b32 v3, v2, v8, v3
	v_mov_b32_e32 v2, 0
	s_waitcnt vmcnt(0)
	ds_store_b128 v3, v[4:7]
.LBB332_12:
	s_or_b32 exec_lo, exec_lo, s7
	v_and_b32_e32 v3, 0xef, v0
	s_add_i32 s4, s17, 31
	s_clause 0x1
	s_load_b32 s7, s[0:1], 0x38
	s_load_b32 s33, s[0:1], 0x98
	s_ashr_i32 s13, s4, 31
	v_add_nc_u32_e32 v3, s12, v3
	s_lshr_b32 s13, s13, 27
	s_load_b32 s18, s[0:1], 0x1c
	s_add_i32 s4, s4, s13
	s_waitcnt lgkmcnt(0)
	v_ashrrev_i32_e32 v4, 31, v3
	v_cmp_gt_i32_e32 vcc_lo, s17, v3
	s_ashr_i32 s4, s4, 5
	s_barrier
	s_add_i32 s4, s4, -1
	v_lshrrev_b32_e32 v5, 27, v4
	v_or_b32_e32 v4, 16, v3
	buffer_gl0_inv
	v_lshlrev_b64 v[73:74], 1, v[1:2]
	v_lshlrev_b32_e32 v79, 6, v77
	v_add_nc_u32_e32 v6, v3, v5
	v_add_nc_u32_e32 v5, v4, v5
	s_mul_i32 s20, s34, s7
	s_delay_alu instid0(SALU_CYCLE_1) | instskip(NEXT) | instid1(VALU_DEP_2)
	s_ashr_i32 s21, s20, 31
	v_ashrrev_i32_e32 v6, 5, v6
	s_delay_alu instid0(VALU_DEP_2) | instskip(SKIP_1) | instid1(SALU_CYCLE_1)
	v_ashrrev_i32_e32 v5, 5, v5
	s_lshl_b64 s[20:21], s[20:21], 2
	s_add_u32 s13, s2, s20
	s_delay_alu instid0(VALU_DEP_2) | instskip(SKIP_3) | instid1(SALU_CYCLE_1)
	v_cndmask_b32_e32 v3, s4, v6, vcc_lo
	v_cmp_gt_i32_e32 vcc_lo, s17, v4
	s_addc_u32 s16, s3, s21
	s_mul_i32 s2, s15, s6
	s_ashr_i32 s3, s2, 31
	v_cndmask_b32_e32 v5, s4, v5, vcc_lo
	v_ashrrev_i32_e32 v4, 31, v3
	s_lshl_b64 s[2:3], s[2:3], 1
	s_delay_alu instid0(SALU_CYCLE_1) | instskip(NEXT) | instid1(VALU_DEP_2)
	s_add_u32 s15, s8, s2
	v_ashrrev_i32_e32 v6, 31, v5
	s_delay_alu instid0(VALU_DEP_2) | instskip(SKIP_2) | instid1(VALU_DEP_2)
	v_lshlrev_b64 v[3:4], 2, v[3:4]
	s_addc_u32 s19, s9, s3
	s_lshl_b32 s6, s14, 3
	v_lshlrev_b64 v[5:6], 2, v[5:6]
	s_ashr_i32 s7, s6, 31
	s_delay_alu instid0(VALU_DEP_2) | instskip(SKIP_1) | instid1(VALU_DEP_3)
	v_add_co_u32 v3, vcc_lo, s13, v3
	v_add_co_ci_u32_e32 v4, vcc_lo, s16, v4, vcc_lo
	v_add_co_u32 v5, vcc_lo, s13, v5
	s_delay_alu instid0(VALU_DEP_4)
	v_add_co_ci_u32_e32 v6, vcc_lo, s16, v6, vcc_lo
	s_lshl_b64 s[6:7], s[6:7], 2
	s_clause 0x1
	global_load_b32 v7, v[3:4], off
	global_load_b32 v8, v[5:6], off
	s_add_u32 s6, s13, s6
	s_addc_u32 s7, s16, s7
	s_or_b32 s8, s12, 32
	s_delay_alu instid0(SALU_CYCLE_1) | instskip(SKIP_2) | instid1(SALU_CYCLE_1)
	s_ashr_i32 s9, s8, 5
	s_cmp_lt_i32 s8, s17
	s_cselect_b32 s8, s9, s4
	s_ashr_i32 s9, s8, 31
	s_delay_alu instid0(SALU_CYCLE_1) | instskip(NEXT) | instid1(SALU_CYCLE_1)
	s_lshl_b64 s[8:9], s[8:9], 2
	s_add_u32 s8, s13, s8
	s_addc_u32 s9, s16, s9
	s_or_b32 s20, s12, 64
	s_delay_alu instid0(SALU_CYCLE_1) | instskip(SKIP_2) | instid1(SALU_CYCLE_1)
	s_ashr_i32 s21, s20, 5
	s_cmp_lt_i32 s20, s17
	s_cselect_b32 s20, s21, s4
	s_ashr_i32 s21, s20, 31
	s_delay_alu instid0(SALU_CYCLE_1) | instskip(NEXT) | instid1(SALU_CYCLE_1)
	s_lshl_b64 s[20:21], s[20:21], 2
	;; [unrolled: 10-line block ×5, first 2 shown]
	s_add_u32 s26, s13, s26
	s_addc_u32 s27, s16, s27
	s_clause 0x5
	s_load_b32 s28, s[6:7], 0x0
	s_load_b32 s29, s[8:9], 0x0
	;; [unrolled: 1-line block ×6, first 2 shown]
	s_mov_b32 s20, 0
	s_or_b32 s6, s12, 0xc0
	s_mov_b32 s21, s20
	s_mov_b32 s22, s20
	;; [unrolled: 1-line block ×7, first 2 shown]
	s_ashr_i32 s7, s6, 5
	v_mov_b32_e32 v128, s27
	s_cmp_lt_i32 s6, s17
	v_mov_b32_e32 v127, s26
	s_cselect_b32 s6, s7, s4
	v_mov_b32_e32 v126, s25
	s_ashr_i32 s7, s6, 31
	v_mov_b32_e32 v125, s24
	s_lshl_b64 s[6:7], s[6:7], 2
	v_mov_b32_e32 v124, s23
	s_add_u32 s6, s13, s6
	s_addc_u32 s7, s16, s7
	v_mov_b32_e32 v123, s22
	v_mov_b32_e32 v121, s20
	s_waitcnt lgkmcnt(0)
	s_mul_hi_i32 s9, s28, s5
	s_mul_i32 s8, s28, s5
	s_mul_hi_i32 s37, s38, s5
	v_mov_b32_e32 v122, s21
	s_mul_hi_i32 s21, s29, s5
	s_mul_i32 s20, s29, s5
	s_mul_hi_i32 s25, s30, s5
	s_mul_i32 s24, s30, s5
	;; [unrolled: 2-line block ×3, first 2 shown]
	s_waitcnt vmcnt(1)
	v_mad_i64_i32 v[3:4], null, v7, s5, 0
	s_waitcnt vmcnt(0)
	v_mad_i64_i32 v[5:6], null, v8, s5, 0
	s_delay_alu instid0(VALU_DEP_2) | instskip(NEXT) | instid1(VALU_DEP_2)
	v_lshlrev_b64 v[3:4], 1, v[3:4]
	v_lshlrev_b64 v[1:2], 1, v[5:6]
	s_delay_alu instid0(VALU_DEP_2) | instskip(NEXT) | instid1(VALU_DEP_3)
	v_add_co_u32 v3, vcc_lo, s15, v3
	v_add_co_ci_u32_e32 v4, vcc_lo, s19, v4, vcc_lo
	s_delay_alu instid0(VALU_DEP_3) | instskip(NEXT) | instid1(VALU_DEP_4)
	v_add_co_u32 v1, vcc_lo, s15, v1
	v_add_co_ci_u32_e32 v2, vcc_lo, s19, v2, vcc_lo
	s_delay_alu instid0(VALU_DEP_4) | instskip(NEXT) | instid1(VALU_DEP_4)
	v_add_co_u32 v65, vcc_lo, v3, v73
	v_add_co_ci_u32_e32 v66, vcc_lo, v4, v74, vcc_lo
	s_delay_alu instid0(VALU_DEP_4) | instskip(NEXT) | instid1(VALU_DEP_4)
	v_add_co_u32 v67, vcc_lo, v1, v73
	v_add_co_ci_u32_e32 v68, vcc_lo, v2, v74, vcc_lo
	s_clause 0xf
	global_load_b128 v[1:4], v[65:66], off
	global_load_b128 v[5:8], v[65:66], off offset:512
	global_load_b128 v[9:12], v[67:68], off offset:256
	;; [unrolled: 1-line block ×15, first 2 shown]
	v_add_co_u32 v157, vcc_lo, 0x1000, v65
	v_add_co_ci_u32_e32 v158, vcc_lo, 0, v66, vcc_lo
	v_add_co_u32 v165, vcc_lo, 0x1000, v67
	v_add_co_ci_u32_e32 v166, vcc_lo, 0, v68, vcc_lo
	s_clause 0x7
	global_load_b128 v[81:84], v[157:158], off
	global_load_b128 v[85:88], v[157:158], off offset:512
	global_load_b128 v[89:92], v[165:166], off offset:256
	;; [unrolled: 1-line block ×7, first 2 shown]
	v_mul_lo_u16 v65, v77, 37
	s_or_b32 s15, s12, 0xe0
	s_delay_alu instid0(SALU_CYCLE_1) | instskip(SKIP_1) | instid1(VALU_DEP_1)
	s_ashr_i32 s19, s15, 5
	s_cmp_lt_i32 s15, s17
	v_lshrrev_b16 v65, 8, v65
	s_cselect_b32 s22, s19, s4
	s_delay_alu instid0(SALU_CYCLE_1) | instskip(NEXT) | instid1(VALU_DEP_1)
	s_ashr_i32 s23, s22, 31
	v_mul_lo_u16 v65, v65, 7
	s_lshl_b64 s[22:23], s[22:23], 2
	s_delay_alu instid0(SALU_CYCLE_1) | instskip(SKIP_1) | instid1(VALU_DEP_1)
	s_add_u32 s22, s13, s22
	s_addc_u32 s23, s16, s23
	v_sub_nc_u16 v65, v77, v65
	s_add_i32 s15, s12, 0x100
	s_delay_alu instid0(SALU_CYCLE_1) | instskip(SKIP_1) | instid1(VALU_DEP_1)
	s_ashr_i32 s19, s15, 5
	s_cmp_lt_i32 s15, s17
	v_and_b32_e32 v65, 0xff, v65
	s_cselect_b32 s28, s19, s4
	s_delay_alu instid0(SALU_CYCLE_1) | instskip(NEXT) | instid1(VALU_DEP_1)
	s_ashr_i32 s29, s28, 31
	v_lshlrev_b32_e32 v169, 6, v65
	ds_load_b128 v[65:68], v169
	ds_load_b128 v[69:72], v169 offset:1024
	s_clause 0x1
	global_load_b128 v[113:116], v[157:158], off offset:2048
	global_load_b128 v[117:120], v[157:158], off offset:2560
	ds_load_b128 v[129:132], v169 offset:2048
	ds_load_b128 v[133:136], v169 offset:3072
	s_clause 0x5
	global_load_b128 v[145:148], v[165:166], off offset:2304
	global_load_b128 v[149:152], v[165:166], off offset:2816
	;; [unrolled: 1-line block ×6, first 2 shown]
	s_lshl_b64 s[28:29], s[28:29], 2
	s_delay_alu instid0(SALU_CYCLE_1)
	s_add_u32 s28, s13, s28
	s_addc_u32 s29, s16, s29
	s_add_u32 s4, s10, s2
	s_addc_u32 s19, s11, s3
	s_lshl_b64 s[2:3], s[8:9], 1
	s_lshl_b64 s[8:9], s[20:21], 1
	;; [unrolled: 1-line block ×4, first 2 shown]
	s_waitcnt vmcnt(30) lgkmcnt(2)
	v_wmma_f32_16x16x16_f16 v[137:144], v[1:8], v[65:72], v[121:128]
	ds_load_b128 v[1:4], v169 offset:4096
	ds_load_b128 v[5:8], v169 offset:5120
	s_waitcnt vmcnt(28)
	v_wmma_f32_16x16x16_f16 v[121:128], v[9:16], v[65:72], v[121:128]
	ds_load_b128 v[9:12], v169 offset:6144
	ds_load_b128 v[13:16], v169 offset:7168
	s_waitcnt vmcnt(26) lgkmcnt(4)
	v_wmma_f32_16x16x16_f16 v[137:144], v[17:24], v[129:136], v[137:144]
	ds_load_b128 v[17:20], v169 offset:8192
	ds_load_b128 v[21:24], v169 offset:9216
	s_waitcnt vmcnt(24)
	v_wmma_f32_16x16x16_f16 v[121:128], v[25:32], v[129:136], v[121:128]
	v_lshl_or_b32 v25, v78, 10, v79
	ds_load_b128 v[129:132], v169 offset:10240
	ds_load_b128 v[133:136], v169 offset:11264
	s_clause 0x2
	s_load_b32 s15, s[6:7], 0x0
	s_load_b32 s13, s[22:23], 0x0
	;; [unrolled: 1-line block ×3, first 2 shown]
	s_mul_hi_i32 s7, s36, s5
	v_add_co_u32 v170, s4, s4, v25
	s_delay_alu instid0(VALU_DEP_1)
	v_add_co_ci_u32_e64 v171, null, s19, 0, s4
	s_mul_i32 s6, s36, s5
	s_mul_i32 s36, s38, s5
	s_lshl_b64 s[6:7], s[6:7], 1
	s_lshl_b64 s[22:23], s[36:37], 1
	s_waitcnt vmcnt(22) lgkmcnt(0)
	v_wmma_f32_16x16x16_f16 v[137:144], v[33:40], v[1:8], v[137:144]
	s_waitcnt vmcnt(20)
	v_wmma_f32_16x16x16_f16 v[121:128], v[41:48], v[1:8], v[121:128]
	v_add_co_u32 v1, vcc_lo, v170, s2
	v_add_co_ci_u32_e32 v2, vcc_lo, s3, v171, vcc_lo
	v_add_co_u32 v3, vcc_lo, v170, s8
	v_add_co_ci_u32_e32 v4, vcc_lo, s9, v171, vcc_lo
	;; [unrolled: 2-line block ×4, first 2 shown]
	v_add_co_u32 v25, vcc_lo, v170, s6
	s_mul_hi_i32 s25, s15, s5
	s_mul_i32 s24, s15, s5
	v_add_co_ci_u32_e32 v26, vcc_lo, s7, v171, vcc_lo
	v_add_co_u32 v27, vcc_lo, v170, s22
	s_lshl_b64 s[24:25], s[24:25], 1
	s_waitcnt vmcnt(18)
	v_wmma_f32_16x16x16_f16 v[137:144], v[49:56], v[9:16], v[137:144]
	s_waitcnt vmcnt(16)
	v_wmma_f32_16x16x16_f16 v[121:128], v[57:64], v[9:16], v[121:128]
	v_add_co_ci_u32_e32 v28, vcc_lo, s23, v171, vcc_lo
	s_mul_hi_i32 s3, s13, s5
	s_mul_i32 s2, s13, s5
	v_add_co_u32 v29, vcc_lo, v170, s24
	s_lshl_b64 s[2:3], s[2:3], 1
	v_add_co_ci_u32_e32 v30, vcc_lo, s25, v171, vcc_lo
	s_waitcnt vmcnt(14)
	v_wmma_f32_16x16x16_f16 v[137:144], v[81:88], v[17:24], v[137:144]
	s_waitcnt vmcnt(12)
	v_wmma_f32_16x16x16_f16 v[121:128], v[89:96], v[17:24], v[121:128]
	v_add_co_u32 v17, vcc_lo, v170, s2
	v_add_co_ci_u32_e32 v18, vcc_lo, s3, v171, vcc_lo
	s_mul_hi_i32 s3, s16, s5
	s_mul_i32 s2, s16, s5
	s_clause 0x5
	global_load_b128 v[65:68], v[1:2], off
	global_load_b128 v[69:72], v[1:2], off offset:16
	global_load_b128 v[57:60], v[3:4], off
	global_load_b128 v[61:64], v[3:4], off offset:16
	;; [unrolled: 2-line block ×3, first 2 shown]
	s_lshl_b64 s[2:3], s[2:3], 1
	s_clause 0x1
	global_load_b128 v[41:44], v[7:8], off
	global_load_b128 v[45:48], v[7:8], off offset:16
	v_add_co_u32 v21, vcc_lo, v170, s2
	v_add_co_ci_u32_e32 v22, vcc_lo, s3, v171, vcc_lo
	s_clause 0x9
	global_load_b128 v[9:12], v[25:26], off
	global_load_b128 v[13:16], v[25:26], off offset:16
	global_load_b128 v[1:4], v[27:28], off
	global_load_b128 v[5:8], v[27:28], off offset:16
	;; [unrolled: 2-line block ×5, first 2 shown]
	ds_load_b128 v[81:84], v169 offset:12288
	ds_load_b128 v[85:88], v169 offset:13312
	v_and_b32_e32 v89, 0xe0, v0
	s_waitcnt vmcnt(28)
	v_wmma_f32_16x16x16_f16 v[137:144], v[97:104], v[129:136], v[137:144]
	v_mbcnt_lo_u32_b32 v97, -1, 0
	s_waitcnt vmcnt(26)
	v_wmma_f32_16x16x16_f16 v[121:128], v[105:112], v[129:136], v[121:128]
	v_add_nc_u32_e32 v98, s12, v89
	ds_load_b128 v[89:92], v169 offset:14336
	ds_load_b128 v[93:96], v169 offset:15360
	v_xor_b32_e32 v99, 16, v97
	s_waitcnt vmcnt(0) lgkmcnt(0)
	s_barrier
	v_or_b32_e32 v98, v98, v75
	buffer_gl0_inv
	v_cmp_gt_i32_e32 vcc_lo, 32, v99
	v_or_b32_e32 v100, 4, v98
	v_or_b32_e32 v101, 22, v98
	;; [unrolled: 1-line block ×4, first 2 shown]
	v_wmma_f32_16x16x16_f16 v[137:144], v[113:120], v[81:88], v[137:144]
	v_wmma_f32_16x16x16_f16 v[121:128], v[145:152], v[81:88], v[121:128]
	v_or_b32_e32 v81, 6, v98
	v_or_b32_e32 v82, 8, v98
	;; [unrolled: 1-line block ×3, first 2 shown]
	v_cmp_gt_i32_e64 s3, s17, v100
	v_or_b32_e32 v84, 12, v98
	v_wmma_f32_16x16x16_f16 v[137:144], v[153:160], v[89:96], v[137:144]
	v_wmma_f32_16x16x16_f16 v[121:128], v[161:168], v[89:96], v[121:128]
	v_cndmask_b32_e32 v97, v97, v99, vcc_lo
	v_or_b32_e32 v99, 2, v98
	v_cmp_gt_i32_e32 vcc_lo, s17, v98
	v_dual_mul_f32 v95, s18, v138 :: v_dual_mul_f32 v96, s18, v137
	v_mul_f32_e32 v93, s18, v140
	s_delay_alu instid0(VALU_DEP_4)
	v_cmp_gt_i32_e64 s2, s17, v99
	v_mul_f32_e32 v94, s18, v139
	v_mul_f32_e32 v108, s18, v126
	v_cndmask_b32_e32 v96, 0xff7fffff, v96, vcc_lo
	v_cmp_gt_i32_e64 s4, s17, v81
	v_cndmask_b32_e64 v95, 0xff7fffff, v95, s2
	v_or_b32_e32 v85, 14, v98
	v_dual_mul_f32 v91, s18, v142 :: v_dual_mul_f32 v110, s18, v124
	v_mul_f32_e32 v92, s18, v141
	v_cndmask_b32_e64 v94, 0xff7fffff, v94, s3
	v_cndmask_b32_e64 v81, 0xff7fffff, v93, s4
	v_max3_f32 v93, v96, 0xff7fffff, v95
	v_cmp_gt_i32_e64 s5, s17, v82
	v_cmp_gt_i32_e64 s6, s17, v83
	v_or_b32_e32 v86, 16, v98
	v_or_b32_e32 v87, 18, v98
	v_dual_mul_f32 v89, s18, v144 :: v_dual_mul_f32 v112, s18, v122
	v_mul_f32_e32 v90, s18, v143
	v_cndmask_b32_e64 v82, 0xff7fffff, v92, s5
	v_cndmask_b32_e64 v83, 0xff7fffff, v91, s6
	v_max3_f32 v81, v93, v94, v81
	v_cmp_gt_i32_e64 s7, s17, v84
	v_cmp_gt_i32_e64 s8, s17, v85
	v_or_b32_e32 v88, 20, v98
	v_mul_f32_e32 v113, s18, v121
	v_max3_f32 v81, v81, v82, v83
	v_cndmask_b32_e64 v84, 0xff7fffff, v90, s7
	v_cndmask_b32_e64 v85, 0xff7fffff, v89, s8
	v_cmp_gt_i32_e64 s9, s17, v86
	v_cmp_gt_i32_e64 s10, s17, v87
	v_mul_f32_e32 v111, s18, v123
	v_cmp_gt_i32_e64 s11, s17, v88
	v_max3_f32 v81, v81, v84, v85
	v_cndmask_b32_e64 v82, 0xff7fffff, v113, s9
	v_cndmask_b32_e64 v83, 0xff7fffff, v112, s10
	v_cmp_gt_i32_e64 s12, s17, v101
	v_or_b32_e32 v104, 28, v98
	v_or_b32_e32 v105, 30, v98
	v_mul_f32_e32 v109, s18, v125
	v_cndmask_b32_e64 v84, 0xff7fffff, v111, s11
	v_cndmask_b32_e64 v85, 0xff7fffff, v110, s12
	v_max3_f32 v81, v81, v82, v83
	v_cmp_gt_i32_e64 s13, s17, v102
	v_cmp_gt_i32_e64 s15, s17, v103
	v_dual_mul_f32 v106, s18, v128 :: v_dual_mul_f32 v107, s18, v127
	s_delay_alu instid0(VALU_DEP_4) | instskip(NEXT) | instid1(VALU_DEP_4)
	v_max3_f32 v81, v81, v84, v85
	v_cndmask_b32_e64 v82, 0xff7fffff, v109, s13
	s_delay_alu instid0(VALU_DEP_4) | instskip(SKIP_2) | instid1(VALU_DEP_3)
	v_cndmask_b32_e64 v83, 0xff7fffff, v108, s15
	v_cmp_gt_i32_e64 s16, s17, v104
	v_cmp_gt_i32_e64 s17, s17, v105
	v_max3_f32 v81, v81, v82, v83
	s_delay_alu instid0(VALU_DEP_3) | instskip(NEXT) | instid1(VALU_DEP_3)
	v_cndmask_b32_e64 v84, 0xff7fffff, v107, s16
	v_cndmask_b32_e64 v85, 0xff7fffff, v106, s17
	v_lshlrev_b32_e32 v83, 2, v97
	s_delay_alu instid0(VALU_DEP_2) | instskip(SKIP_3) | instid1(VALU_DEP_1)
	v_max3_f32 v81, v81, v84, v85
	ds_bpermute_b32 v82, v83, v81
	s_waitcnt lgkmcnt(0)
	v_max_f32_e32 v82, v82, v82
	v_max_f32_e32 v81, v81, v82
	s_delay_alu instid0(VALU_DEP_1)
	v_fma_f32 v82, s18, v137, -v81
	v_fma_f32 v84, s18, v138, -v81
	;; [unrolled: 1-line block ×5, first 2 shown]
	v_mul_f32_e32 v82, 0x3fb8aa3b, v82
	s_delay_alu instid0(VALU_DEP_4) | instskip(NEXT) | instid1(VALU_DEP_3)
	v_dual_mul_f32 v84, 0x3fb8aa3b, v84 :: v_dual_mul_f32 v89, 0x3fb8aa3b, v87
	v_mul_f32_e32 v86, 0x3fb8aa3b, v86
	s_delay_alu instid0(VALU_DEP_3) | instskip(NEXT) | instid1(VALU_DEP_2)
	v_exp_f32_e32 v82, v82
	v_exp_f32_e32 v84, v84
	s_delay_alu instid0(VALU_DEP_2) | instskip(NEXT) | instid1(VALU_DEP_1)
	v_exp_f32_e32 v92, v89
	v_exp_f32_e32 v86, v86
	v_cndmask_b32_e32 v88, 0, v82, vcc_lo
	s_delay_alu instid0(TRANS32_DEP_3)
	v_cndmask_b32_e64 v87, 0, v84, s2
	s_waitcnt_depctr 0xfff
	v_cndmask_b32_e64 v92, 0, v92, s5
	v_cmp_gt_u32_e64 s2, 16, v80
	v_cndmask_b32_e64 v89, 0, v86, s4
	v_add_f32_e32 v84, 0, v88
	s_delay_alu instid0(VALU_DEP_1) | instskip(NEXT) | instid1(VALU_DEP_1)
	v_dual_add_f32 v84, v84, v87 :: v_dual_mul_f32 v85, 0x3fb8aa3b, v85
	v_exp_f32_e32 v85, v85
	s_waitcnt_depctr 0xfff
	v_cndmask_b32_e64 v90, 0, v85, s3
	s_delay_alu instid0(VALU_DEP_1) | instskip(NEXT) | instid1(VALU_DEP_1)
	v_add_f32_e32 v84, v84, v90
	v_add_f32_e32 v84, v84, v89
	v_fma_f32 v82, s18, v142, -v81
	v_fma_f32 v91, s18, v143, -v81
	;; [unrolled: 1-line block ×5, first 2 shown]
	s_delay_alu instid0(VALU_DEP_4) | instskip(SKIP_1) | instid1(VALU_DEP_4)
	v_dual_mul_f32 v82, 0x3fb8aa3b, v82 :: v_dual_mul_f32 v91, 0x3fb8aa3b, v91
	v_fma_f32 v96, s18, v124, -v81
	v_mul_f32_e32 v86, 0x3fb8aa3b, v86
	v_fma_f32 v99, s18, v127, -v81
	s_delay_alu instid0(VALU_DEP_4) | instskip(SKIP_3) | instid1(VALU_DEP_1)
	v_exp_f32_e32 v82, v82
	v_exp_f32_e32 v93, v91
	v_mul_f32_e32 v97, 0x3fb8aa3b, v96
	v_exp_f32_e32 v86, v86
	v_exp_f32_e32 v97, v97
	v_cndmask_b32_e64 v91, 0, v82, s6
	v_dual_add_f32 v82, v84, v92 :: v_dual_mul_f32 v85, 0x3fb8aa3b, v85
	v_fma_f32 v84, s18, v123, -v81
	v_mul_f32_e32 v95, 0x3fb8aa3b, v94
	s_delay_alu instid0(TRANS32_DEP_3) | instskip(NEXT) | instid1(VALU_DEP_4)
	v_cndmask_b32_e64 v94, 0, v93, s7
	v_add_f32_e32 v82, v82, v91
	v_exp_f32_e32 v85, v85
	v_mul_f32_e32 v84, 0x3fb8aa3b, v84
	v_cndmask_b32_e64 v96, 0, v86, s9
	v_exp_f32_e32 v95, v95
	v_add_f32_e32 v82, v82, v94
	v_fma_f32 v86, s18, v126, -v81
	v_exp_f32_e32 v84, v84
	v_cndmask_b32_e64 v97, 0, v97, s12
	s_delay_alu instid0(TRANS32_DEP_3) | instskip(SKIP_2) | instid1(TRANS32_DEP_2)
	v_cndmask_b32_e64 v93, 0, v85, s8
	v_fma_f32 v85, s18, v125, -v81
	v_mul_f32_e32 v86, 0x3fb8aa3b, v86
	v_cndmask_b32_e64 v95, 0, v95, s10
	s_waitcnt_depctr 0xfff
	v_cndmask_b32_e64 v98, 0, v84, s11
	v_mul_f32_e32 v84, 0x3fb8aa3b, v99
	v_fma_f32 v99, s18, v128, -v81
	v_add_f32_e32 v82, v82, v93
	v_mul_f32_e32 v85, 0x3fb8aa3b, v85
	v_exp_f32_e32 v86, v86
	v_exp_f32_e32 v84, v84
	s_delay_alu instid0(VALU_DEP_1)
	v_exp_f32_e32 v85, v85
	s_waitcnt_depctr 0xfff
	v_cndmask_b32_e64 v102, 0, v84, s16
	v_cndmask_b32_e64 v100, 0, v85, s13
	v_dual_mul_f32 v85, 0x3fb8aa3b, v99 :: v_dual_add_f32 v82, v82, v96
	v_cndmask_b32_e64 v99, 0, v86, s15
	s_delay_alu instid0(VALU_DEP_2) | instskip(NEXT) | instid1(VALU_DEP_2)
	v_exp_f32_e32 v85, v85
	v_add_f32_e32 v82, v82, v95
	s_delay_alu instid0(VALU_DEP_1) | instskip(SKIP_3) | instid1(VALU_DEP_1)
	v_add_f32_e32 v82, v82, v98
	s_waitcnt_depctr 0xfff
	v_cndmask_b32_e64 v101, 0, v85, s17
	v_add_f32_e32 v82, v82, v97
	v_add_f32_e32 v82, v82, v100
	s_delay_alu instid0(VALU_DEP_1) | instskip(NEXT) | instid1(VALU_DEP_1)
	v_add_f32_e32 v82, v82, v99
	v_add_f32_e32 v82, v82, v102
	s_delay_alu instid0(VALU_DEP_1)
	v_add_f32_e32 v82, v82, v101
	ds_bpermute_b32 v83, v83, v82
	s_and_saveexec_b32 s3, s2
	s_cbranch_execz .LBB332_14
; %bb.13:
	v_mul_u32_u24_e32 v80, 0x44, v78
	s_waitcnt lgkmcnt(0)
	v_add_f32_e32 v82, v82, v83
	s_delay_alu instid0(VALU_DEP_2) | instskip(NEXT) | instid1(VALU_DEP_1)
	v_lshl_add_u32 v80, v77, 2, v80
	v_add_nc_u32_e32 v80, 0x4000, v80
	ds_store_2addr_b32 v80, v81, v82 offset1:136
.LBB332_14:
	s_or_b32 exec_lo, exec_lo, s3
	v_lshlrev_b32_e32 v80, 2, v77
	s_load_b32 s35, s[0:1], 0x94
	s_waitcnt lgkmcnt(0)
	s_barrier
	buffer_gl0_inv
	v_add_nc_u32_e32 v84, 0x4000, v80
	v_cmp_eq_u32_e32 vcc_lo, 1, v78
	v_cmp_eq_u32_e64 s3, 2, v78
	v_cmp_eq_u32_e64 s4, 3, v78
	;; [unrolled: 1-line block ×3, first 2 shown]
	ds_load_2addr_b32 v[80:81], v84 offset1:17
	ds_load_2addr_b32 v[82:83], v84 offset0:34 offset1:51
	ds_load_2addr_b32 v[103:104], v84 offset0:68 offset1:85
	;; [unrolled: 1-line block ×3, first 2 shown]
	v_cmp_eq_u32_e64 s6, 7, v78
	s_waitcnt lgkmcnt(3)
	v_max3_f32 v85, v80, 0xff7fffff, v81
	s_waitcnt lgkmcnt(2)
	s_delay_alu instid0(VALU_DEP_1) | instskip(SKIP_1) | instid1(VALU_DEP_1)
	v_max3_f32 v85, v85, v82, v83
	s_waitcnt lgkmcnt(1)
	v_max3_f32 v85, v85, v103, v104
	s_waitcnt lgkmcnt(0)
	s_delay_alu instid0(VALU_DEP_1) | instskip(NEXT) | instid1(VALU_DEP_1)
	v_max3_f32 v85, v85, v105, v106
	v_sub_f32_e32 v103, v103, v85
	ds_load_2addr_b32 v[107:108], v84 offset0:136 offset1:153
	v_sub_f32_e32 v80, v80, v85
	v_dual_sub_f32 v110, v83, v85 :: v_dual_mul_f32 v113, 0x3fb8aa3b, v103
	s_delay_alu instid0(VALU_DEP_2) | instskip(SKIP_3) | instid1(VALU_DEP_1)
	v_dual_sub_f32 v86, v81, v85 :: v_dual_mul_f32 v109, 0x3fb8aa3b, v80
	ds_load_2addr_b32 v[80:81], v84 offset0:170 offset1:187
	v_mul_f32_e32 v86, 0x3fb8aa3b, v86
	v_exp_f32_e32 v109, v109
	v_exp_f32_e32 v112, v86
	v_mul_f32_e32 v110, 0x3fb8aa3b, v110
	s_waitcnt lgkmcnt(1)
	s_waitcnt_depctr 0xfff
	v_fma_f32 v86, v109, v107, 0
	v_sub_f32_e32 v107, v104, v85
	v_sub_f32_e32 v82, v82, v85
	v_exp_f32_e32 v110, v110
	ds_load_2addr_b32 v[103:104], v84 offset0:238 offset1:255
	v_dual_fmac_f32 v86, v112, v108 :: v_dual_mul_f32 v111, 0x3fb8aa3b, v82
	ds_load_2addr_b32 v[82:83], v84 offset0:204 offset1:221
	v_dual_sub_f32 v84, v105, v85 :: v_dual_mul_f32 v105, 0x3fb8aa3b, v107
	v_exp_f32_e32 v107, v113
	v_exp_f32_e32 v111, v111
	s_waitcnt lgkmcnt(0)
	s_delay_alu instid0(VALU_DEP_1)
	v_mul_f32_e32 v84, 0x3fb8aa3b, v84
	v_exp_f32_e32 v105, v105
	s_barrier
	buffer_gl0_inv
	v_fmac_f32_e32 v86, v111, v80
	v_sub_f32_e32 v80, v106, v85
	v_exp_f32_e32 v106, v84
	s_delay_alu instid0(VALU_DEP_2) | instskip(NEXT) | instid1(VALU_DEP_2)
	v_fmac_f32_e32 v86, v110, v81
	v_mul_f32_e32 v80, 0x3fb8aa3b, v80
	s_delay_alu instid0(VALU_DEP_2) | instskip(NEXT) | instid1(VALU_DEP_2)
	v_dual_cndmask_b32 v81, v109, v112 :: v_dual_fmac_f32 v86, v107, v82
	v_exp_f32_e32 v108, v80
	s_delay_alu instid0(VALU_DEP_1) | instskip(SKIP_2) | instid1(VALU_DEP_1)
	v_fmac_f32_e32 v86, v105, v83
	s_waitcnt_depctr 0xfff
	v_fmac_f32_e32 v86, v106, v103
	v_fmac_f32_e32 v86, v108, v104
	s_delay_alu instid0(VALU_DEP_1) | instskip(NEXT) | instid1(VALU_DEP_1)
	v_add_f32_e32 v103, 0x358637bd, v86
	v_div_scale_f32 v104, null, v103, v103, 1.0
	v_div_scale_f32 v109, vcc_lo, 1.0, v103, 1.0
	s_delay_alu instid0(VALU_DEP_2) | instskip(SKIP_2) | instid1(VALU_DEP_1)
	v_rcp_f32_e32 v113, v104
	s_waitcnt_depctr 0xfff
	v_fma_f32 v80, -v104, v113, 1.0
	v_fmac_f32_e32 v113, v80, v113
	v_cndmask_b32_e64 v80, v81, v111, s3
	v_cmp_eq_u32_e64 s3, 4, v78
	v_lshl_or_b32 v81, v78, 11, v79
	s_delay_alu instid0(VALU_DEP_4) | instskip(NEXT) | instid1(VALU_DEP_4)
	v_mul_f32_e32 v111, v109, v113
	v_cndmask_b32_e64 v82, v80, v110, s4
	v_cmp_eq_u32_e64 s4, 6, v78
	s_delay_alu instid0(VALU_DEP_4) | instskip(SKIP_3) | instid1(VALU_DEP_3)
	v_lshl_or_b32 v78, v75, 4, v81
	v_lshlrev_b32_e32 v80, 2, v75
	v_fma_f32 v83, -v104, v111, v109
	v_cndmask_b32_e64 v84, v82, v107, s3
	v_or_b32_e32 v82, 1, v80
	s_delay_alu instid0(VALU_DEP_3) | instskip(NEXT) | instid1(VALU_DEP_3)
	v_fmac_f32_e32 v111, v83, v113
	v_cndmask_b32_e64 v105, v84, v105, s5
	v_or_b32_e32 v84, 2, v80
	v_or_b32_e32 v83, 3, v80
	v_cmp_eq_u32_e64 s3, 1, v80
	v_fma_f32 v104, -v104, v111, v109
	v_cndmask_b32_e64 v105, v105, v106, s4
	v_cmp_eq_u32_e64 s9, 1, v82
	v_cmp_eq_u32_e64 s10, 1, v84
	;; [unrolled: 1-line block ×3, first 2 shown]
	v_div_fmas_f32 v104, v104, v113, v111
	v_cndmask_b32_e64 v105, v105, v108, s6
	v_cmp_eq_u32_e32 vcc_lo, 2, v80
	v_cmp_eq_u32_e64 s12, 2, v82
	v_cmp_eq_u32_e64 s15, 2, v84
	v_div_fixup_f32 v103, v104, v103, 1.0
	v_cmp_eq_u32_e64 s16, 2, v83
	v_cmp_eq_u32_e64 s18, 3, v83
	;; [unrolled: 1-line block ×4, first 2 shown]
	v_mul_f32_e32 v111, v105, v103
	v_cmp_eq_u32_e64 s17, 3, v84
	v_cmp_eq_u32_e64 s22, 4, v83
	;; [unrolled: 1-line block ×4, first 2 shown]
	v_fma_mixlo_f16 v103, v111, v88, 0
	v_fma_mixlo_f16 v104, v111, v90, 0
	v_fma_mixlo_f16 v105, v111, v92, 0
	v_fma_mixlo_f16 v106, v111, v94, 0
	v_fma_mixlo_f16 v107, v111, v96, 0
	v_fma_mixlo_f16 v108, v111, v98, 0
	v_fma_mixlo_f16 v109, v111, v100, 0
	v_fma_mixlo_f16 v110, v111, v102, 0
	v_fma_mixhi_f16 v103, v111, v87, 0
	v_fma_mixhi_f16 v104, v111, v89, 0
	;; [unrolled: 1-line block ×8, first 2 shown]
	ds_store_b128 v78, v[103:106]
	ds_store_b128 v78, v[107:110] offset:1024
	s_waitcnt lgkmcnt(0)
	s_barrier
	buffer_gl0_inv
	ds_load_b128 v[87:90], v81
	ds_load_b128 v[91:94], v81 offset:16
	ds_load_b128 v[95:98], v81 offset:1024
	;; [unrolled: 1-line block ×3, first 2 shown]
	v_cmp_eq_u32_e64 s21, 4, v84
	v_cmp_eq_u32_e64 s24, 5, v83
	;; [unrolled: 1-line block ×13, first 2 shown]
	s_waitcnt lgkmcnt(3)
	v_lshrrev_b32_e32 v103, 16, v87
	s_waitcnt lgkmcnt(2)
	v_lshrrev_b32_e32 v107, 16, v91
	;; [unrolled: 2-line block ×4, first 2 shown]
	v_lshrrev_b32_e32 v104, 16, v88
	v_cndmask_b32_e64 v119, v87, v103, s3
	v_cndmask_b32_e64 v120, v91, v107, s3
	;; [unrolled: 1-line block ×8, first 2 shown]
	v_lshrrev_b32_e32 v108, 16, v92
	v_cndmask_b32_e64 v103, v95, v111, s3
	v_cndmask_b32_e64 v107, v99, v115, s3
	;; [unrolled: 1-line block ×5, first 2 shown]
	v_cndmask_b32_e32 v111, v119, v88, vcc_lo
	v_cndmask_b32_e64 v119, v121, v88, s12
	v_cndmask_b32_e64 v121, v123, v88, s15
	;; [unrolled: 1-line block ×4, first 2 shown]
	v_lshrrev_b32_e32 v112, 16, v96
	v_lshrrev_b32_e32 v116, 16, v100
	v_cndmask_b32_e64 v126, v99, v115, s9
	v_cndmask_b32_e64 v128, v99, v115, s10
	;; [unrolled: 1-line block ×3, first 2 shown]
	v_cndmask_b32_e32 v115, v120, v92, vcc_lo
	v_cndmask_b32_e64 v120, v122, v92, s12
	v_cndmask_b32_e64 v122, v124, v92, s15
	v_cndmask_b32_e32 v91, v103, v96, vcc_lo
	v_cndmask_b32_e32 v92, v107, v100, vcc_lo
	v_cndmask_b32_e64 v103, v125, v96, s12
	v_cndmask_b32_e64 v87, v87, v104, s18
	;; [unrolled: 1-line block ×3, first 2 shown]
	v_lshrrev_b32_e32 v105, 16, v89
	v_lshrrev_b32_e32 v109, 16, v93
	v_cndmask_b32_e64 v107, v127, v96, s15
	v_cndmask_b32_e64 v95, v95, v96, s16
	v_cndmask_b32_e64 v96, v99, v100, s16
	v_cndmask_b32_e64 v99, v111, v104, s4
	v_cndmask_b32_e64 v111, v115, v108, s4
	v_cndmask_b32_e64 v115, v119, v104, s13
	v_cndmask_b32_e64 v119, v120, v108, s13
	v_cndmask_b32_e64 v120, v121, v104, s17
	v_cndmask_b32_e64 v121, v122, v108, s17
	v_cndmask_b32_e64 v91, v91, v112, s4
	v_cndmask_b32_e64 v92, v92, v116, s4
	v_cndmask_b32_e64 v103, v103, v112, s13
	v_cndmask_b32_e64 v87, v87, v89, s22
	v_cndmask_b32_e64 v88, v88, v93, s22
	v_lshrrev_b32_e32 v113, 16, v97
	v_cndmask_b32_e64 v99, v99, v89, s5
	v_cndmask_b32_e64 v104, v111, v93, s5
	v_cndmask_b32_e64 v108, v115, v89, s19
	v_cndmask_b32_e64 v111, v119, v93, s19
	v_cndmask_b32_e64 v115, v120, v89, s21
	v_cndmask_b32_e64 v119, v121, v93, s21
	v_cndmask_b32_e64 v89, v91, v97, s5
	v_cndmask_b32_e64 v91, v92, v101, s5
	v_cndmask_b32_e64 v92, v103, v97, s19
	v_cndmask_b32_e64 v87, v87, v105, s24
	v_cndmask_b32_e64 v88, v88, v109, s24
	v_lshrrev_b32_e32 v106, 16, v90
	v_lshrrev_b32_e32 v110, 16, v94
	v_cndmask_b32_e64 v93, v99, v105, s6
	v_cndmask_b32_e64 v99, v104, v109, s6
	;; [unrolled: 1-line block ×9, first 2 shown]
	v_lshrrev_b32_e32 v114, 16, v98
	v_cndmask_b32_e64 v89, v89, v113, s6
	v_cndmask_b32_e64 v93, v93, v90, s7
	;; [unrolled: 1-line block ×19, first 2 shown]
	v_perm_b32 v90, v88, v87, 0x5040100
	v_cndmask_b32_e64 v87, v126, v100, s12
	v_cndmask_b32_e64 v105, v89, v114, s8
	v_perm_b32 v89, v103, v99, 0x5040100
	v_perm_b32 v88, v104, v94, 0x5040100
	v_cndmask_b32_e64 v94, v107, v112, s17
	v_cndmask_b32_e64 v95, v95, v112, s18
	v_cndmask_b32_e64 v96, v96, v116, s18
	v_cndmask_b32_e64 v99, v123, v116, s17
	v_cndmask_b32_e64 v87, v87, v116, s13
	v_lshrrev_b32_e32 v117, 16, v101
	v_cndmask_b32_e64 v94, v94, v97, s21
	v_cndmask_b32_e64 v95, v95, v97, s22
	;; [unrolled: 1-line block ×11, first 2 shown]
	v_lshrrev_b32_e32 v118, 16, v102
	v_cndmask_b32_e64 v91, v91, v102, s7
	v_cndmask_b32_e64 v94, v94, v98, s26
	v_cndmask_b32_e64 v95, v95, v98, s27
	v_cndmask_b32_e64 v96, v96, v102, s27
	v_cndmask_b32_e64 v97, v97, v102, s26
	v_cndmask_b32_e64 v87, v87, v102, s25
	v_cndmask_b32_e64 v98, v94, v114, s28
	v_cndmask_b32_e64 v94, v95, v114, s29
	v_cndmask_b32_e64 v95, v96, v118, s29
	v_cndmask_b32_e64 v96, v97, v118, s28
	v_cndmask_b32_e64 v97, v87, v118, s30
	v_cndmask_b32_e64 v91, v91, v118, s8
	v_perm_b32 v87, v93, v92, 0x5040100
	v_perm_b32 v94, v95, v94, 0x5040100
	;; [unrolled: 1-line block ×5, first 2 shown]
	s_mul_i32 s7, s33, 7
	s_mov_b32 s3, exec_lo
	ds_store_b128 v78, v[87:90]
	ds_store_b128 v78, v[91:94] offset:1024
	v_cmpx_gt_u32_e32 7, v0
	s_cbranch_execz .LBB332_16
; %bb.15:
	s_mul_i32 s4, s7, s34
	s_load_b128 s[8:11], s[0:1], 0x58
	v_add3_u32 v77, s4, s31, v77
	s_delay_alu instid0(VALU_DEP_1) | instskip(NEXT) | instid1(VALU_DEP_1)
	v_mad_u64_u32 v[87:88], null, v77, s35, s[14:15]
	v_ashrrev_i32_e32 v88, 31, v87
	s_delay_alu instid0(VALU_DEP_1) | instskip(SKIP_1) | instid1(VALU_DEP_1)
	v_lshlrev_b64 v[87:88], 2, v[87:88]
	s_waitcnt lgkmcnt(0)
	v_add_co_u32 v89, vcc_lo, s10, v87
	s_delay_alu instid0(VALU_DEP_2)
	v_add_co_ci_u32_e32 v90, vcc_lo, s11, v88, vcc_lo
	v_add_co_u32 v87, vcc_lo, s8, v87
	v_add_co_ci_u32_e32 v88, vcc_lo, s9, v88, vcc_lo
	global_store_b32 v[89:90], v85, off
	global_store_b32 v[87:88], v86, off
.LBB332_16:
	s_or_b32 exec_lo, exec_lo, s3
	s_waitcnt lgkmcnt(0)
	s_waitcnt_vscnt null, 0x0
	s_barrier
	buffer_gl0_inv
	ds_load_b128 v[93:96], v79
	ds_load_b128 v[97:100], v79 offset:16
	ds_load_b128 v[105:108], v79 offset:1040
	;; [unrolled: 1-line block ×5, first 2 shown]
	v_cmp_eq_u32_e32 vcc_lo, 1, v84
	v_mov_b32_e32 v85, 0
	ds_load_b128 v[121:124], v79 offset:3088
	ds_load_b128 v[117:120], v79 offset:3072
	;; [unrolled: 1-line block ×4, first 2 shown]
	v_cmp_eq_u32_e64 s3, 1, v80
	v_cmp_eq_u32_e64 s4, 1, v83
	;; [unrolled: 1-line block ×3, first 2 shown]
	v_mov_b32_e32 v86, v85
	v_mov_b32_e32 v87, v85
	;; [unrolled: 1-line block ×7, first 2 shown]
	v_cmp_eq_u32_e64 s6, 2, v80
	s_waitcnt lgkmcnt(8)
	s_delay_alu instid0(VALU_DEP_2)
	v_wmma_f32_16x16x16_f16 v[85:92], v[65:72], v[93:100], v[85:92]
	ds_load_b128 v[69:72], v79 offset:5136
	ds_load_b128 v[65:68], v79 offset:5120
	;; [unrolled: 1-line block ×4, first 2 shown]
	s_waitcnt lgkmcnt(10)
	v_wmma_f32_16x16x16_f16 v[85:92], v[57:64], v[101:108], v[85:92]
	s_waitcnt lgkmcnt(8)
	s_delay_alu instid0(VALU_DEP_1)
	v_wmma_f32_16x16x16_f16 v[85:92], v[57:64], v[109:116], v[85:92]
	ds_load_b128 v[61:64], v79 offset:7184
	ds_load_b128 v[57:60], v79 offset:7168
	;; [unrolled: 1-line block ×4, first 2 shown]
	s_waitcnt lgkmcnt(10)
	v_wmma_f32_16x16x16_f16 v[85:92], v[49:56], v[117:124], v[85:92]
	s_waitcnt lgkmcnt(8)
	s_delay_alu instid0(VALU_DEP_1)
	v_wmma_f32_16x16x16_f16 v[85:92], v[49:56], v[125:132], v[85:92]
	ds_load_b128 v[53:56], v79 offset:9232
	ds_load_b128 v[49:52], v79 offset:9216
	s_waitcnt lgkmcnt(8)
	v_wmma_f32_16x16x16_f16 v[85:92], v[41:48], v[65:72], v[85:92]
	ds_load_b128 v[69:72], v79 offset:10256
	ds_load_b128 v[65:68], v79 offset:10240
	s_waitcnt lgkmcnt(8)
	;; [unrolled: 4-line block ×7, first 2 shown]
	s_barrier
	buffer_gl0_inv
	v_wmma_f32_16x16x16_f16 v[85:92], v[33:40], v[41:48], v[85:92]
	s_delay_alu instid0(VALU_DEP_1) | instskip(NEXT) | instid1(VALU_DEP_1)
	v_wmma_f32_16x16x16_f16 v[85:92], v[33:40], v[57:64], v[85:92]
	v_wmma_f32_16x16x16_f16 v[85:92], v[25:32], v[9:16], v[85:92]
	s_delay_alu instid0(VALU_DEP_1) | instskip(NEXT) | instid1(VALU_DEP_1)
	v_wmma_f32_16x16x16_f16 v[85:92], v[25:32], v[49:56], v[85:92]
	v_wmma_f32_16x16x16_f16 v[85:92], v[17:24], v[1:8], v[85:92]
	s_delay_alu instid0(VALU_DEP_1) | instskip(NEXT) | instid1(VALU_DEP_2)
	v_cvt_f16_f32_e32 v1, v85
	v_cvt_f16_f32_e32 v2, v86
	s_delay_alu instid0(VALU_DEP_3) | instskip(NEXT) | instid1(VALU_DEP_4)
	v_cvt_f16_f32_e32 v3, v87
	v_cvt_f16_f32_e32 v4, v88
	;; [unrolled: 1-line block ×6, first 2 shown]
	v_pack_b32_f16 v1, v1, v2
	v_pack_b32_f16 v2, v3, v4
	;; [unrolled: 1-line block ×3, first 2 shown]
	s_delay_alu instid0(VALU_DEP_4)
	v_pack_b32_f16 v4, v7, v8
	ds_store_b128 v78, v[1:4]
	s_waitcnt lgkmcnt(0)
	s_barrier
	buffer_gl0_inv
	ds_load_b128 v[1:4], v81
	ds_load_b128 v[5:8], v81 offset:16
	s_waitcnt lgkmcnt(1)
	v_lshrrev_b32_e32 v9, 16, v1
	s_waitcnt lgkmcnt(0)
	v_lshrrev_b32_e32 v13, 16, v5
	v_lshrrev_b32_e32 v15, 16, v7
	;; [unrolled: 1-line block ×4, first 2 shown]
	v_cndmask_b32_e64 v17, v1, v9, s3
	v_cndmask_b32_e64 v18, v5, v13, s3
	;; [unrolled: 1-line block ×3, first 2 shown]
	v_cmp_eq_u32_e64 s3, 2, v82
	v_cndmask_b32_e64 v20, v5, v13, s5
	v_cndmask_b32_e32 v21, v1, v9, vcc_lo
	v_cndmask_b32_e32 v22, v5, v13, vcc_lo
	v_cndmask_b32_e64 v1, v1, v9, s4
	v_cndmask_b32_e64 v5, v5, v13, s4
	v_cmp_eq_u32_e32 vcc_lo, 2, v84
	v_cmp_eq_u32_e64 s4, 2, v83
	v_cndmask_b32_e64 v9, v17, v2, s6
	v_cndmask_b32_e64 v13, v18, v6, s6
	;; [unrolled: 1-line block ×4, first 2 shown]
	v_cndmask_b32_e32 v19, v21, v2, vcc_lo
	v_cmp_eq_u32_e64 s3, 3, v84
	v_cndmask_b32_e32 v20, v22, v6, vcc_lo
	v_cndmask_b32_e64 v1, v1, v2, s4
	v_cmp_eq_u32_e32 vcc_lo, 3, v83
	v_cmp_eq_u32_e64 s5, 3, v80
	v_cndmask_b32_e64 v2, v5, v6, s4
	v_cmp_eq_u32_e64 s4, 3, v82
	v_lshrrev_b32_e32 v16, 16, v8
	v_cmp_eq_u32_e64 s6, 4, v80
	v_cndmask_b32_e64 v5, v9, v10, s5
	v_cndmask_b32_e64 v6, v13, v14, s5
	v_cndmask_b32_e64 v9, v17, v10, s4
	v_cmp_eq_u32_e64 s5, 4, v82
	v_cndmask_b32_e64 v13, v18, v14, s4
	v_cndmask_b32_e64 v17, v19, v10, s3
	;; [unrolled: 1-line block ×3, first 2 shown]
	v_cndmask_b32_e32 v1, v1, v10, vcc_lo
	v_cndmask_b32_e32 v2, v2, v14, vcc_lo
	v_cmp_eq_u32_e32 vcc_lo, 4, v84
	v_cmp_eq_u32_e64 s4, 4, v83
	v_lshrrev_b32_e32 v11, 16, v3
	v_cndmask_b32_e64 v5, v5, v3, s6
	v_cndmask_b32_e64 v6, v6, v7, s6
	v_cndmask_b32_e64 v9, v9, v3, s5
	v_cndmask_b32_e64 v10, v13, v7, s5
	v_cndmask_b32_e32 v13, v17, v3, vcc_lo
	v_cmp_eq_u32_e64 s3, 5, v84
	v_cndmask_b32_e32 v14, v18, v7, vcc_lo
	v_cndmask_b32_e64 v1, v1, v3, s4
	v_cmp_eq_u32_e32 vcc_lo, 5, v83
	v_cmp_eq_u32_e64 s5, 5, v80
	v_cndmask_b32_e64 v2, v2, v7, s4
	v_cmp_eq_u32_e64 s4, 5, v82
	v_cmp_eq_u32_e64 s6, 6, v80
	v_cndmask_b32_e32 v1, v1, v11, vcc_lo
	v_cndmask_b32_e64 v3, v5, v11, s5
	v_cndmask_b32_e64 v5, v6, v15, s5
	;; [unrolled: 1-line block ×3, first 2 shown]
	v_cmp_eq_u32_e64 s5, 6, v82
	v_cndmask_b32_e64 v7, v10, v15, s4
	v_cndmask_b32_e64 v9, v13, v11, s3
	;; [unrolled: 1-line block ×3, first 2 shown]
	v_cndmask_b32_e32 v2, v2, v15, vcc_lo
	v_cmp_eq_u32_e32 vcc_lo, 6, v84
	v_cmp_eq_u32_e64 s3, 6, v83
	v_lshrrev_b32_e32 v12, 16, v4
	v_cndmask_b32_e64 v3, v3, v4, s6
	v_cndmask_b32_e64 v5, v5, v8, s6
	;; [unrolled: 1-line block ×4, first 2 shown]
	v_cndmask_b32_e32 v9, v9, v4, vcc_lo
	v_cmp_eq_u32_e64 s4, 7, v84
	v_cndmask_b32_e32 v10, v10, v8, vcc_lo
	v_cndmask_b32_e64 v1, v1, v4, s3
	v_cmp_eq_u32_e32 vcc_lo, 7, v83
	v_cndmask_b32_e64 v2, v2, v8, s3
	v_cmp_eq_u32_e64 s3, 7, v80
	v_cmp_eq_u32_e64 s5, 7, v82
	v_cndmask_b32_e32 v1, v1, v12, vcc_lo
	s_delay_alu instid0(VALU_DEP_4) | instskip(NEXT) | instid1(VALU_DEP_4)
	v_cndmask_b32_e32 v2, v2, v16, vcc_lo
	v_cndmask_b32_e64 v8, v3, v12, s3
	s_delay_alu instid0(VALU_DEP_4)
	v_cndmask_b32_e64 v6, v6, v12, s5
	v_cndmask_b32_e64 v3, v9, v12, s4
	;; [unrolled: 1-line block ×5, first 2 shown]
	v_perm_b32 v4, v2, v1, 0x5040100
	s_mov_b32 s3, exec_lo
	v_perm_b32 v3, v9, v3, 0x5040100
	v_perm_b32 v2, v7, v6, 0x5040100
	;; [unrolled: 1-line block ×3, first 2 shown]
	ds_store_b128 v78, v[1:4]
	s_waitcnt lgkmcnt(0)
	s_barrier
	buffer_gl0_inv
	v_cmpx_gt_u32_e32 32, v0
	s_cbranch_execz .LBB332_2
; %bb.17:
	s_load_b64 s[4:5], s[0:1], 0x68
	v_lshlrev_b32_e32 v0, 10, v0
	v_add_nc_u32_e32 v2, s31, v75
	v_lshlrev_b32_e32 v3, 4, v76
	s_lshl_b32 s0, s35, 7
	s_delay_alu instid0(SALU_CYCLE_1) | instskip(NEXT) | instid1(VALU_DEP_2)
	s_mul_i32 s1, s0, s34
	v_mul_lo_u32 v1, v2, s0
	s_delay_alu instid0(VALU_DEP_2)
	v_and_or_b32 v0, 0x3800, v0, v3
	v_add_nc_u32_e32 v3, 2, v2
	s_mul_i32 s6, s1, s7
	v_add_nc_u32_e32 v4, 4, v2
	s_ashr_i32 s7, s6, 31
	v_lshl_or_b32 v11, v75, 6, v0
	s_lshl_b64 s[6:7], s[6:7], 1
	v_mul_lo_u32 v15, v3, s0
	v_mul_lo_u32 v17, v4, s0
	v_ashrrev_i32_e32 v2, 31, v1
	ds_load_b128 v[3:6], v11
	ds_load_b128 v[7:10], v11 offset:128
	ds_load_b128 v[11:14], v11 offset:256
	s_waitcnt lgkmcnt(0)
	s_add_u32 s1, s4, s6
	s_addc_u32 s3, s5, s7
	s_lshl_b32 s4, s14, 7
	v_ashrrev_i32_e32 v16, 31, v15
	s_ashr_i32 s5, s4, 31
	v_lshlrev_b64 v[19:20], 1, v[1:2]
	s_lshl_b64 s[4:5], s[4:5], 1
	v_ashrrev_i32_e32 v18, 31, v17
	s_add_u32 s1, s1, s4
	s_addc_u32 s3, s3, s5
	v_add_co_u32 v1, vcc_lo, s1, v73
	v_add_co_ci_u32_e32 v2, vcc_lo, s3, v74, vcc_lo
	v_lshlrev_b64 v[15:16], 1, v[15:16]
	s_delay_alu instid0(VALU_DEP_3) | instskip(SKIP_1) | instid1(VALU_DEP_4)
	v_add_co_u32 v19, vcc_lo, v1, v19
	v_lshlrev_b64 v[17:18], 1, v[17:18]
	v_add_co_ci_u32_e32 v20, vcc_lo, v2, v20, vcc_lo
	s_delay_alu instid0(VALU_DEP_4) | instskip(SKIP_1) | instid1(VALU_DEP_4)
	v_add_co_u32 v15, vcc_lo, v1, v15
	v_add_co_ci_u32_e32 v16, vcc_lo, v2, v16, vcc_lo
	v_add_co_u32 v17, vcc_lo, v1, v17
	v_add_co_ci_u32_e32 v18, vcc_lo, v2, v18, vcc_lo
	s_clause 0x2
	global_store_b128 v[19:20], v[3:6], off
	global_store_b128 v[15:16], v[7:10], off
	global_store_b128 v[17:18], v[11:14], off
	s_and_b32 exec_lo, exec_lo, s2
	s_cbranch_execz .LBB332_2
; %bb.18:
	ds_load_b128 v[3:6], v0 offset:384
	s_add_i32 s1, s31, 6
	s_delay_alu instid0(SALU_CYCLE_1) | instskip(NEXT) | instid1(SALU_CYCLE_1)
	s_mul_i32 s0, s1, s0
	s_ashr_i32 s1, s0, 31
	s_delay_alu instid0(SALU_CYCLE_1) | instskip(NEXT) | instid1(SALU_CYCLE_1)
	s_lshl_b64 s[0:1], s[0:1], 1
	v_add_co_u32 v0, vcc_lo, v1, s0
	v_add_co_ci_u32_e32 v1, vcc_lo, s1, v2, vcc_lo
	s_waitcnt lgkmcnt(0)
	global_store_b128 v[0:1], v[3:6], off
	s_nop 0
	s_sendmsg sendmsg(MSG_DEALLOC_VGPRS)
	s_endpgm
	.section	.rodata,"a",@progbits
	.p2align	6, 0x0
	.amdhsa_kernel _Z39paged_attention_ll4mi_QKV_mfma16_kernelIDF16_DF16_LN4vllm18Fp8KVCacheDataTypeE0EhLi32ELi128ELi256ELb0ELi7EL8MFMAType0EEvPKT_PKT0_S8_ifPKiSA_SA_iPKfiiiPfSD_PS3_PT2_iSC_SC_
		.amdhsa_group_segment_fixed_size 17472
		.amdhsa_private_segment_fixed_size 0
		.amdhsa_kernarg_size 400
		.amdhsa_user_sgpr_count 13
		.amdhsa_user_sgpr_dispatch_ptr 0
		.amdhsa_user_sgpr_queue_ptr 0
		.amdhsa_user_sgpr_kernarg_segment_ptr 1
		.amdhsa_user_sgpr_dispatch_id 0
		.amdhsa_user_sgpr_private_segment_size 0
		.amdhsa_wavefront_size32 1
		.amdhsa_uses_dynamic_stack 0
		.amdhsa_enable_private_segment 0
		.amdhsa_system_sgpr_workgroup_id_x 1
		.amdhsa_system_sgpr_workgroup_id_y 1
		.amdhsa_system_sgpr_workgroup_id_z 1
		.amdhsa_system_sgpr_workgroup_info 0
		.amdhsa_system_vgpr_workitem_id 0
		.amdhsa_next_free_vgpr 172
		.amdhsa_next_free_sgpr 39
		.amdhsa_reserve_vcc 1
		.amdhsa_float_round_mode_32 0
		.amdhsa_float_round_mode_16_64 0
		.amdhsa_float_denorm_mode_32 3
		.amdhsa_float_denorm_mode_16_64 3
		.amdhsa_dx10_clamp 1
		.amdhsa_ieee_mode 1
		.amdhsa_fp16_overflow 0
		.amdhsa_workgroup_processor_mode 1
		.amdhsa_memory_ordered 1
		.amdhsa_forward_progress 0
		.amdhsa_shared_vgpr_count 0
		.amdhsa_exception_fp_ieee_invalid_op 0
		.amdhsa_exception_fp_denorm_src 0
		.amdhsa_exception_fp_ieee_div_zero 0
		.amdhsa_exception_fp_ieee_overflow 0
		.amdhsa_exception_fp_ieee_underflow 0
		.amdhsa_exception_fp_ieee_inexact 0
		.amdhsa_exception_int_div_zero 0
	.end_amdhsa_kernel
	.section	.text._Z39paged_attention_ll4mi_QKV_mfma16_kernelIDF16_DF16_LN4vllm18Fp8KVCacheDataTypeE0EhLi32ELi128ELi256ELb0ELi7EL8MFMAType0EEvPKT_PKT0_S8_ifPKiSA_SA_iPKfiiiPfSD_PS3_PT2_iSC_SC_,"axG",@progbits,_Z39paged_attention_ll4mi_QKV_mfma16_kernelIDF16_DF16_LN4vllm18Fp8KVCacheDataTypeE0EhLi32ELi128ELi256ELb0ELi7EL8MFMAType0EEvPKT_PKT0_S8_ifPKiSA_SA_iPKfiiiPfSD_PS3_PT2_iSC_SC_,comdat
.Lfunc_end332:
	.size	_Z39paged_attention_ll4mi_QKV_mfma16_kernelIDF16_DF16_LN4vllm18Fp8KVCacheDataTypeE0EhLi32ELi128ELi256ELb0ELi7EL8MFMAType0EEvPKT_PKT0_S8_ifPKiSA_SA_iPKfiiiPfSD_PS3_PT2_iSC_SC_, .Lfunc_end332-_Z39paged_attention_ll4mi_QKV_mfma16_kernelIDF16_DF16_LN4vllm18Fp8KVCacheDataTypeE0EhLi32ELi128ELi256ELb0ELi7EL8MFMAType0EEvPKT_PKT0_S8_ifPKiSA_SA_iPKfiiiPfSD_PS3_PT2_iSC_SC_
                                        ; -- End function
	.section	.AMDGPU.csdata,"",@progbits
; Kernel info:
; codeLenInByte = 7564
; NumSgprs: 41
; NumVgprs: 172
; ScratchSize: 0
; MemoryBound: 0
; FloatMode: 240
; IeeeMode: 1
; LDSByteSize: 17472 bytes/workgroup (compile time only)
; SGPRBlocks: 5
; VGPRBlocks: 21
; NumSGPRsForWavesPerEU: 41
; NumVGPRsForWavesPerEU: 172
; Occupancy: 8
; WaveLimiterHint : 1
; COMPUTE_PGM_RSRC2:SCRATCH_EN: 0
; COMPUTE_PGM_RSRC2:USER_SGPR: 13
; COMPUTE_PGM_RSRC2:TRAP_HANDLER: 0
; COMPUTE_PGM_RSRC2:TGID_X_EN: 1
; COMPUTE_PGM_RSRC2:TGID_Y_EN: 1
; COMPUTE_PGM_RSRC2:TGID_Z_EN: 1
; COMPUTE_PGM_RSRC2:TIDIG_COMP_CNT: 0
	.section	.text._Z39paged_attention_ll4mi_QKV_mfma16_kernelIDF16_DF16_LN4vllm18Fp8KVCacheDataTypeE0EhLi32ELi128ELi256ELb0ELi8EL8MFMAType0EEvPKT_PKT0_S8_ifPKiSA_SA_iPKfiiiPfSD_PS3_PT2_iSC_SC_,"axG",@progbits,_Z39paged_attention_ll4mi_QKV_mfma16_kernelIDF16_DF16_LN4vllm18Fp8KVCacheDataTypeE0EhLi32ELi128ELi256ELb0ELi8EL8MFMAType0EEvPKT_PKT0_S8_ifPKiSA_SA_iPKfiiiPfSD_PS3_PT2_iSC_SC_,comdat
	.protected	_Z39paged_attention_ll4mi_QKV_mfma16_kernelIDF16_DF16_LN4vllm18Fp8KVCacheDataTypeE0EhLi32ELi128ELi256ELb0ELi8EL8MFMAType0EEvPKT_PKT0_S8_ifPKiSA_SA_iPKfiiiPfSD_PS3_PT2_iSC_SC_ ; -- Begin function _Z39paged_attention_ll4mi_QKV_mfma16_kernelIDF16_DF16_LN4vllm18Fp8KVCacheDataTypeE0EhLi32ELi128ELi256ELb0ELi8EL8MFMAType0EEvPKT_PKT0_S8_ifPKiSA_SA_iPKfiiiPfSD_PS3_PT2_iSC_SC_
	.globl	_Z39paged_attention_ll4mi_QKV_mfma16_kernelIDF16_DF16_LN4vllm18Fp8KVCacheDataTypeE0EhLi32ELi128ELi256ELb0ELi8EL8MFMAType0EEvPKT_PKT0_S8_ifPKiSA_SA_iPKfiiiPfSD_PS3_PT2_iSC_SC_
	.p2align	8
	.type	_Z39paged_attention_ll4mi_QKV_mfma16_kernelIDF16_DF16_LN4vllm18Fp8KVCacheDataTypeE0EhLi32ELi128ELi256ELb0ELi8EL8MFMAType0EEvPKT_PKT0_S8_ifPKiSA_SA_iPKfiiiPfSD_PS3_PT2_iSC_SC_,@function
_Z39paged_attention_ll4mi_QKV_mfma16_kernelIDF16_DF16_LN4vllm18Fp8KVCacheDataTypeE0EhLi32ELi128ELi256ELb0ELi8EL8MFMAType0EEvPKT_PKT0_S8_ifPKiSA_SA_iPKfiiiPfSD_PS3_PT2_iSC_SC_: ; @_Z39paged_attention_ll4mi_QKV_mfma16_kernelIDF16_DF16_LN4vllm18Fp8KVCacheDataTypeE0EhLi32ELi128ELi256ELb0ELi8EL8MFMAType0EEvPKT_PKT0_S8_ifPKiSA_SA_iPKfiiiPfSD_PS3_PT2_iSC_SC_
; %bb.0:
	s_load_b64 s[2:3], s[0:1], 0x30
	s_mov_b32 s30, s13
	s_waitcnt lgkmcnt(0)
	s_cmp_lg_u64 s[2:3], 0
	s_cselect_b32 s6, -1, 0
	s_ashr_i32 s31, s13, 31
	s_cmp_eq_u64 s[2:3], 0
	s_cbranch_scc1 .LBB333_3
; %bb.1:
	s_lshl_b64 s[4:5], s[30:31], 2
	s_delay_alu instid0(SALU_CYCLE_1) | instskip(SKIP_4) | instid1(SALU_CYCLE_1)
	s_add_u32 s4, s2, s4
	s_addc_u32 s5, s3, s5
	s_load_b64 s[4:5], s[4:5], 0x0
	s_waitcnt lgkmcnt(0)
	s_sub_i32 s4, s5, s4
	s_cmp_eq_u32 s4, 1
	s_cselect_b32 s4, -1, 0
	s_delay_alu instid0(SALU_CYCLE_1)
	s_and_not1_b32 vcc_lo, exec_lo, s4
	s_cbranch_vccz .LBB333_4
.LBB333_2:
	s_endpgm
.LBB333_3:
.LBB333_4:
	s_load_b64 s[8:9], s[0:1], 0x28
	s_lshl_b64 s[4:5], s[30:31], 2
	s_waitcnt lgkmcnt(0)
	s_add_u32 s8, s8, s4
	s_addc_u32 s9, s9, s5
	s_lshl_b32 s12, s14, 8
	s_load_b32 s17, s[8:9], 0x0
	s_waitcnt lgkmcnt(0)
	s_cmp_ge_i32 s12, s17
	s_cbranch_scc1 .LBB333_2
; %bb.5:
	s_and_not1_b32 vcc_lo, exec_lo, s6
	s_cbranch_vccnz .LBB333_7
; %bb.6:
	s_add_u32 s2, s2, s4
	s_addc_u32 s3, s3, s5
	s_load_b32 s13, s[2:3], 0x0
	s_branch .LBB333_8
.LBB333_7:
	s_mov_b32 s13, s30
.LBB333_8:
	s_clause 0x2
	s_load_b128 s[8:11], s[0:1], 0x8
	s_load_b64 s[2:3], s[0:1], 0x20
	s_load_b128 s[4:7], s[0:1], 0x48
	v_and_b32_e32 v78, 15, v0
	s_waitcnt lgkmcnt(0)
	s_mov_b32 s7, exec_lo
	s_delay_alu instid0(VALU_DEP_1)
	v_lshlrev_b32_e32 v1, 3, v78
	v_cmpx_lt_u32_e32 0x7f, v0
	s_xor_b32 s7, exec_lo, s7
; %bb.9:
	v_mov_b32_e32 v2, 0
; %bb.10:
	s_or_saveexec_b32 s7, s7
	v_lshrrev_b32_e32 v77, 5, v0
	v_and_b32_e32 v80, 31, v0
	v_and_b32_e32 v76, 1, v0
	v_bfe_u32 v75, v0, 4, 1
	s_lshl_b32 s31, s15, 3
	s_xor_b32 exec_lo, exec_lo, s7
	s_cbranch_execz .LBB333_12
; %bb.11:
	s_delay_alu instid0(VALU_DEP_1)
	v_lshl_or_b32 v7, v77, 1, v75
	s_load_b64 s[18:19], s[0:1], 0x0
	s_mul_hi_i32 s21, s13, s4
	s_mul_i32 s20, s13, s4
	v_lshlrev_b32_e32 v4, 1, v1
	v_or_b32_e32 v2, s31, v7
	s_lshl_b64 s[20:21], s[20:21], 1
	v_lshlrev_b32_e32 v7, 6, v7
	v_lshlrev_b32_e32 v8, 10, v76
	s_delay_alu instid0(VALU_DEP_3) | instskip(NEXT) | instid1(VALU_DEP_1)
	v_lshlrev_b32_e32 v2, 7, v2
	v_ashrrev_i32_e32 v3, 31, v2
	s_delay_alu instid0(VALU_DEP_1) | instskip(SKIP_3) | instid1(VALU_DEP_1)
	v_lshlrev_b64 v[2:3], 1, v[2:3]
	s_waitcnt lgkmcnt(0)
	s_add_u32 s4, s18, s20
	s_addc_u32 s13, s19, s21
	v_add_co_u32 v2, vcc_lo, s4, v2
	s_delay_alu instid0(VALU_DEP_2) | instskip(NEXT) | instid1(VALU_DEP_2)
	v_add_co_ci_u32_e32 v3, vcc_lo, s13, v3, vcc_lo
	v_add_co_u32 v2, vcc_lo, v2, v4
	s_delay_alu instid0(VALU_DEP_2) | instskip(SKIP_2) | instid1(VALU_DEP_1)
	v_add_co_ci_u32_e32 v3, vcc_lo, 0, v3, vcc_lo
	global_load_b128 v[3:6], v[2:3], off
	v_lshlrev_b32_e32 v2, 10, v78
	v_and_b32_e32 v2, 0x3800, v2
	s_delay_alu instid0(VALU_DEP_1)
	v_or3_b32 v7, v2, v8, v7
	v_mov_b32_e32 v2, 0
	s_waitcnt vmcnt(0)
	ds_store_b128 v7, v[3:6]
.LBB333_12:
	s_or_b32 exec_lo, exec_lo, s7
	v_and_b32_e32 v3, 0xef, v0
	s_add_i32 s4, s17, 31
	s_clause 0x1
	s_load_b32 s7, s[0:1], 0x38
	s_load_b32 s33, s[0:1], 0x98
	s_ashr_i32 s13, s4, 31
	v_add_nc_u32_e32 v3, s12, v3
	s_lshr_b32 s13, s13, 27
	s_load_b32 s18, s[0:1], 0x1c
	s_add_i32 s4, s4, s13
	s_waitcnt lgkmcnt(0)
	v_ashrrev_i32_e32 v4, 31, v3
	v_cmp_gt_i32_e32 vcc_lo, s17, v3
	s_ashr_i32 s4, s4, 5
	s_barrier
	s_add_i32 s4, s4, -1
	v_lshrrev_b32_e32 v5, 27, v4
	v_or_b32_e32 v4, 16, v3
	buffer_gl0_inv
	v_lshlrev_b64 v[73:74], 1, v[1:2]
	v_lshlrev_b32_e32 v79, 6, v78
	v_add_nc_u32_e32 v6, v3, v5
	v_add_nc_u32_e32 v5, v4, v5
	s_mul_i32 s20, s30, s7
	s_delay_alu instid0(SALU_CYCLE_1) | instskip(NEXT) | instid1(VALU_DEP_2)
	s_ashr_i32 s21, s20, 31
	v_ashrrev_i32_e32 v6, 5, v6
	s_delay_alu instid0(VALU_DEP_2) | instskip(SKIP_1) | instid1(SALU_CYCLE_1)
	v_ashrrev_i32_e32 v5, 5, v5
	s_lshl_b64 s[20:21], s[20:21], 2
	s_add_u32 s13, s2, s20
	s_delay_alu instid0(VALU_DEP_2) | instskip(SKIP_3) | instid1(SALU_CYCLE_1)
	v_cndmask_b32_e32 v3, s4, v6, vcc_lo
	v_cmp_gt_i32_e32 vcc_lo, s17, v4
	s_addc_u32 s16, s3, s21
	s_mul_i32 s2, s15, s6
	s_ashr_i32 s3, s2, 31
	v_cndmask_b32_e32 v5, s4, v5, vcc_lo
	v_ashrrev_i32_e32 v4, 31, v3
	s_lshl_b64 s[2:3], s[2:3], 1
	s_delay_alu instid0(SALU_CYCLE_1) | instskip(NEXT) | instid1(VALU_DEP_2)
	s_add_u32 s15, s8, s2
	v_ashrrev_i32_e32 v6, 31, v5
	s_delay_alu instid0(VALU_DEP_2) | instskip(SKIP_2) | instid1(VALU_DEP_2)
	v_lshlrev_b64 v[3:4], 2, v[3:4]
	s_addc_u32 s19, s9, s3
	s_lshl_b32 s6, s14, 3
	v_lshlrev_b64 v[5:6], 2, v[5:6]
	s_ashr_i32 s7, s6, 31
	s_delay_alu instid0(VALU_DEP_2) | instskip(SKIP_1) | instid1(VALU_DEP_3)
	v_add_co_u32 v3, vcc_lo, s13, v3
	v_add_co_ci_u32_e32 v4, vcc_lo, s16, v4, vcc_lo
	v_add_co_u32 v5, vcc_lo, s13, v5
	s_delay_alu instid0(VALU_DEP_4)
	v_add_co_ci_u32_e32 v6, vcc_lo, s16, v6, vcc_lo
	s_lshl_b64 s[6:7], s[6:7], 2
	s_clause 0x1
	global_load_b32 v7, v[3:4], off
	global_load_b32 v8, v[5:6], off
	s_add_u32 s6, s13, s6
	s_addc_u32 s7, s16, s7
	s_or_b32 s8, s12, 32
	s_delay_alu instid0(SALU_CYCLE_1) | instskip(SKIP_2) | instid1(SALU_CYCLE_1)
	s_ashr_i32 s9, s8, 5
	s_cmp_lt_i32 s8, s17
	s_cselect_b32 s8, s9, s4
	s_ashr_i32 s9, s8, 31
	s_delay_alu instid0(SALU_CYCLE_1) | instskip(NEXT) | instid1(SALU_CYCLE_1)
	s_lshl_b64 s[8:9], s[8:9], 2
	s_add_u32 s8, s13, s8
	s_addc_u32 s9, s16, s9
	s_or_b32 s20, s12, 64
	s_delay_alu instid0(SALU_CYCLE_1) | instskip(SKIP_2) | instid1(SALU_CYCLE_1)
	s_ashr_i32 s21, s20, 5
	s_cmp_lt_i32 s20, s17
	s_cselect_b32 s20, s21, s4
	s_ashr_i32 s21, s20, 31
	s_delay_alu instid0(SALU_CYCLE_1) | instskip(NEXT) | instid1(SALU_CYCLE_1)
	s_lshl_b64 s[20:21], s[20:21], 2
	;; [unrolled: 10-line block ×5, first 2 shown]
	s_add_u32 s26, s13, s26
	s_addc_u32 s27, s16, s27
	s_clause 0x5
	s_load_b32 s28, s[6:7], 0x0
	s_load_b32 s29, s[8:9], 0x0
	;; [unrolled: 1-line block ×6, first 2 shown]
	s_mov_b32 s20, 0
	s_or_b32 s6, s12, 0xc0
	s_mov_b32 s21, s20
	s_mov_b32 s22, s20
	;; [unrolled: 1-line block ×7, first 2 shown]
	s_ashr_i32 s7, s6, 5
	v_mov_b32_e32 v128, s27
	s_cmp_lt_i32 s6, s17
	v_mov_b32_e32 v127, s26
	s_cselect_b32 s6, s7, s4
	v_mov_b32_e32 v126, s25
	s_ashr_i32 s7, s6, 31
	v_mov_b32_e32 v125, s24
	s_lshl_b64 s[6:7], s[6:7], 2
	v_mov_b32_e32 v124, s23
	s_add_u32 s6, s13, s6
	s_addc_u32 s7, s16, s7
	v_mov_b32_e32 v123, s22
	v_mov_b32_e32 v121, s20
	s_waitcnt lgkmcnt(0)
	s_mul_hi_i32 s9, s28, s5
	s_mul_i32 s8, s28, s5
	v_mov_b32_e32 v122, s21
	s_mul_hi_i32 s21, s29, s5
	s_mul_i32 s20, s29, s5
	s_mul_hi_i32 s25, s34, s5
	s_mul_i32 s24, s34, s5
	;; [unrolled: 2-line block ×4, first 2 shown]
	s_waitcnt vmcnt(1)
	v_mad_i64_i32 v[3:4], null, v7, s5, 0
	s_waitcnt vmcnt(0)
	v_mad_i64_i32 v[5:6], null, v8, s5, 0
	s_delay_alu instid0(VALU_DEP_2) | instskip(NEXT) | instid1(VALU_DEP_2)
	v_lshlrev_b64 v[3:4], 1, v[3:4]
	v_lshlrev_b64 v[1:2], 1, v[5:6]
	s_delay_alu instid0(VALU_DEP_2) | instskip(NEXT) | instid1(VALU_DEP_3)
	v_add_co_u32 v3, vcc_lo, s15, v3
	v_add_co_ci_u32_e32 v4, vcc_lo, s19, v4, vcc_lo
	s_delay_alu instid0(VALU_DEP_3) | instskip(NEXT) | instid1(VALU_DEP_4)
	v_add_co_u32 v1, vcc_lo, s15, v1
	v_add_co_ci_u32_e32 v2, vcc_lo, s19, v2, vcc_lo
	s_delay_alu instid0(VALU_DEP_4) | instskip(NEXT) | instid1(VALU_DEP_4)
	v_add_co_u32 v65, vcc_lo, v3, v73
	v_add_co_ci_u32_e32 v66, vcc_lo, v4, v74, vcc_lo
	s_delay_alu instid0(VALU_DEP_4) | instskip(NEXT) | instid1(VALU_DEP_4)
	v_add_co_u32 v67, vcc_lo, v1, v73
	v_add_co_ci_u32_e32 v68, vcc_lo, v2, v74, vcc_lo
	s_clause 0xf
	global_load_b128 v[1:4], v[65:66], off
	global_load_b128 v[5:8], v[65:66], off offset:512
	global_load_b128 v[9:12], v[67:68], off offset:256
	;; [unrolled: 1-line block ×15, first 2 shown]
	v_add_co_u32 v157, vcc_lo, 0x1000, v65
	v_add_co_ci_u32_e32 v158, vcc_lo, 0, v66, vcc_lo
	v_add_co_u32 v165, vcc_lo, 0x1000, v67
	v_add_co_ci_u32_e32 v166, vcc_lo, 0, v68, vcc_lo
	s_clause 0x7
	global_load_b128 v[81:84], v[157:158], off
	global_load_b128 v[85:88], v[157:158], off offset:512
	global_load_b128 v[89:92], v[165:166], off offset:256
	;; [unrolled: 1-line block ×7, first 2 shown]
	v_and_b32_e32 v65, 7, v0
	s_or_b32 s15, s12, 0xe0
	s_delay_alu instid0(SALU_CYCLE_1) | instskip(SKIP_1) | instid1(VALU_DEP_1)
	s_ashr_i32 s19, s15, 5
	s_cmp_lt_i32 s15, s17
	v_lshlrev_b32_e32 v169, 6, v65
	ds_load_b128 v[65:68], v169
	ds_load_b128 v[69:72], v169 offset:1024
	s_clause 0x1
	global_load_b128 v[113:116], v[157:158], off offset:2048
	global_load_b128 v[117:120], v[157:158], off offset:2560
	ds_load_b128 v[129:132], v169 offset:2048
	ds_load_b128 v[133:136], v169 offset:3072
	s_clause 0x5
	global_load_b128 v[145:148], v[165:166], off offset:2304
	global_load_b128 v[149:152], v[165:166], off offset:2816
	;; [unrolled: 1-line block ×6, first 2 shown]
	s_cselect_b32 s22, s19, s4
	s_delay_alu instid0(SALU_CYCLE_1) | instskip(NEXT) | instid1(SALU_CYCLE_1)
	s_ashr_i32 s23, s22, 31
	s_lshl_b64 s[22:23], s[22:23], 2
	s_delay_alu instid0(SALU_CYCLE_1) | instskip(SKIP_2) | instid1(SALU_CYCLE_1)
	s_add_u32 s22, s13, s22
	s_addc_u32 s23, s16, s23
	s_add_i32 s15, s12, 0x100
	s_ashr_i32 s19, s15, 5
	s_cmp_lt_i32 s15, s17
	s_cselect_b32 s28, s19, s4
	s_delay_alu instid0(SALU_CYCLE_1) | instskip(NEXT) | instid1(SALU_CYCLE_1)
	s_ashr_i32 s29, s28, 31
	s_lshl_b64 s[28:29], s[28:29], 2
	s_delay_alu instid0(SALU_CYCLE_1)
	s_add_u32 s28, s13, s28
	s_addc_u32 s29, s16, s29
	s_add_u32 s4, s10, s2
	s_addc_u32 s19, s11, s3
	s_lshl_b64 s[2:3], s[8:9], 1
	s_lshl_b64 s[8:9], s[20:21], 1
	;; [unrolled: 1-line block ×4, first 2 shown]
	s_waitcnt vmcnt(30) lgkmcnt(2)
	v_wmma_f32_16x16x16_f16 v[137:144], v[1:8], v[65:72], v[121:128]
	ds_load_b128 v[1:4], v169 offset:4096
	ds_load_b128 v[5:8], v169 offset:5120
	s_waitcnt vmcnt(28)
	v_wmma_f32_16x16x16_f16 v[121:128], v[9:16], v[65:72], v[121:128]
	ds_load_b128 v[9:12], v169 offset:6144
	ds_load_b128 v[13:16], v169 offset:7168
	s_waitcnt vmcnt(26) lgkmcnt(4)
	v_wmma_f32_16x16x16_f16 v[137:144], v[17:24], v[129:136], v[137:144]
	ds_load_b128 v[17:20], v169 offset:8192
	ds_load_b128 v[21:24], v169 offset:9216
	s_waitcnt vmcnt(24)
	v_wmma_f32_16x16x16_f16 v[121:128], v[25:32], v[129:136], v[121:128]
	v_lshl_or_b32 v25, v77, 10, v79
	ds_load_b128 v[129:132], v169 offset:10240
	ds_load_b128 v[133:136], v169 offset:11264
	s_clause 0x2
	s_load_b32 s15, s[6:7], 0x0
	s_load_b32 s13, s[22:23], 0x0
	;; [unrolled: 1-line block ×3, first 2 shown]
	s_mul_hi_i32 s7, s36, s5
	v_add_co_u32 v170, s4, s4, v25
	s_delay_alu instid0(VALU_DEP_1)
	v_add_co_ci_u32_e64 v171, null, s19, 0, s4
	s_mul_i32 s6, s36, s5
	s_lshl_b64 s[22:23], s[34:35], 1
	s_lshl_b64 s[6:7], s[6:7], 1
	s_waitcnt vmcnt(22) lgkmcnt(0)
	v_wmma_f32_16x16x16_f16 v[137:144], v[33:40], v[1:8], v[137:144]
	s_waitcnt vmcnt(20)
	v_wmma_f32_16x16x16_f16 v[121:128], v[41:48], v[1:8], v[121:128]
	v_add_co_u32 v1, vcc_lo, v170, s2
	v_add_co_ci_u32_e32 v2, vcc_lo, s3, v171, vcc_lo
	v_add_co_u32 v3, vcc_lo, v170, s8
	v_add_co_ci_u32_e32 v4, vcc_lo, s9, v171, vcc_lo
	;; [unrolled: 2-line block ×4, first 2 shown]
	v_add_co_u32 v25, vcc_lo, v170, s6
	s_mul_hi_i32 s25, s15, s5
	s_mul_i32 s24, s15, s5
	v_add_co_ci_u32_e32 v26, vcc_lo, s7, v171, vcc_lo
	v_add_co_u32 v27, vcc_lo, v170, s22
	s_lshl_b64 s[24:25], s[24:25], 1
	s_waitcnt vmcnt(18)
	v_wmma_f32_16x16x16_f16 v[137:144], v[49:56], v[9:16], v[137:144]
	s_waitcnt vmcnt(16)
	v_wmma_f32_16x16x16_f16 v[121:128], v[57:64], v[9:16], v[121:128]
	v_add_co_ci_u32_e32 v28, vcc_lo, s23, v171, vcc_lo
	s_mul_hi_i32 s3, s13, s5
	s_mul_i32 s2, s13, s5
	v_add_co_u32 v29, vcc_lo, v170, s24
	s_lshl_b64 s[2:3], s[2:3], 1
	v_add_co_ci_u32_e32 v30, vcc_lo, s25, v171, vcc_lo
	s_waitcnt vmcnt(14)
	v_wmma_f32_16x16x16_f16 v[137:144], v[81:88], v[17:24], v[137:144]
	s_waitcnt vmcnt(12)
	v_wmma_f32_16x16x16_f16 v[121:128], v[89:96], v[17:24], v[121:128]
	v_add_co_u32 v17, vcc_lo, v170, s2
	v_add_co_ci_u32_e32 v18, vcc_lo, s3, v171, vcc_lo
	s_mul_hi_i32 s3, s16, s5
	s_mul_i32 s2, s16, s5
	s_clause 0x5
	global_load_b128 v[65:68], v[1:2], off
	global_load_b128 v[69:72], v[1:2], off offset:16
	global_load_b128 v[57:60], v[3:4], off
	global_load_b128 v[61:64], v[3:4], off offset:16
	;; [unrolled: 2-line block ×3, first 2 shown]
	s_lshl_b64 s[2:3], s[2:3], 1
	s_clause 0x1
	global_load_b128 v[41:44], v[7:8], off
	global_load_b128 v[45:48], v[7:8], off offset:16
	v_add_co_u32 v21, vcc_lo, v170, s2
	v_add_co_ci_u32_e32 v22, vcc_lo, s3, v171, vcc_lo
	s_clause 0x9
	global_load_b128 v[9:12], v[25:26], off
	global_load_b128 v[13:16], v[25:26], off offset:16
	global_load_b128 v[1:4], v[27:28], off
	global_load_b128 v[5:8], v[27:28], off offset:16
	;; [unrolled: 2-line block ×5, first 2 shown]
	ds_load_b128 v[81:84], v169 offset:12288
	ds_load_b128 v[85:88], v169 offset:13312
	v_and_b32_e32 v89, 0xe0, v0
	s_waitcnt vmcnt(28)
	v_wmma_f32_16x16x16_f16 v[137:144], v[97:104], v[129:136], v[137:144]
	v_mbcnt_lo_u32_b32 v97, -1, 0
	s_waitcnt vmcnt(26)
	v_wmma_f32_16x16x16_f16 v[121:128], v[105:112], v[129:136], v[121:128]
	v_add_nc_u32_e32 v98, s12, v89
	ds_load_b128 v[89:92], v169 offset:14336
	ds_load_b128 v[93:96], v169 offset:15360
	v_xor_b32_e32 v99, 16, v97
	s_waitcnt vmcnt(0) lgkmcnt(0)
	s_barrier
	v_or_b32_e32 v98, v98, v75
	buffer_gl0_inv
	v_cmp_gt_i32_e32 vcc_lo, 32, v99
	v_or_b32_e32 v100, 4, v98
	v_or_b32_e32 v101, 22, v98
	;; [unrolled: 1-line block ×4, first 2 shown]
	v_wmma_f32_16x16x16_f16 v[137:144], v[113:120], v[81:88], v[137:144]
	v_wmma_f32_16x16x16_f16 v[121:128], v[145:152], v[81:88], v[121:128]
	v_or_b32_e32 v81, 6, v98
	v_or_b32_e32 v82, 8, v98
	;; [unrolled: 1-line block ×3, first 2 shown]
	v_cmp_gt_i32_e64 s3, s17, v100
	v_or_b32_e32 v84, 12, v98
	v_wmma_f32_16x16x16_f16 v[137:144], v[153:160], v[89:96], v[137:144]
	v_wmma_f32_16x16x16_f16 v[121:128], v[161:168], v[89:96], v[121:128]
	v_cndmask_b32_e32 v97, v97, v99, vcc_lo
	v_or_b32_e32 v99, 2, v98
	v_cmp_gt_i32_e32 vcc_lo, s17, v98
	v_dual_mul_f32 v95, s18, v138 :: v_dual_mul_f32 v96, s18, v137
	v_mul_f32_e32 v93, s18, v140
	s_delay_alu instid0(VALU_DEP_4)
	v_cmp_gt_i32_e64 s2, s17, v99
	v_mul_f32_e32 v94, s18, v139
	v_mul_f32_e32 v106, s18, v128
	v_cndmask_b32_e32 v96, 0xff7fffff, v96, vcc_lo
	v_cmp_gt_i32_e64 s4, s17, v81
	v_cndmask_b32_e64 v95, 0xff7fffff, v95, s2
	v_or_b32_e32 v85, 14, v98
	v_dual_mul_f32 v91, s18, v142 :: v_dual_mul_f32 v110, s18, v124
	v_mul_f32_e32 v92, s18, v141
	v_cndmask_b32_e64 v94, 0xff7fffff, v94, s3
	v_cndmask_b32_e64 v81, 0xff7fffff, v93, s4
	v_max3_f32 v93, v96, 0xff7fffff, v95
	v_cmp_gt_i32_e64 s5, s17, v82
	v_cmp_gt_i32_e64 s6, s17, v83
	v_or_b32_e32 v86, 16, v98
	v_or_b32_e32 v87, 18, v98
	v_dual_mul_f32 v89, s18, v144 :: v_dual_mul_f32 v112, s18, v122
	v_mul_f32_e32 v90, s18, v143
	v_cndmask_b32_e64 v82, 0xff7fffff, v92, s5
	v_cndmask_b32_e64 v83, 0xff7fffff, v91, s6
	v_max3_f32 v81, v93, v94, v81
	v_cmp_gt_i32_e64 s7, s17, v84
	v_cmp_gt_i32_e64 s8, s17, v85
	v_or_b32_e32 v88, 20, v98
	v_mul_f32_e32 v113, s18, v121
	v_max3_f32 v81, v81, v82, v83
	v_cndmask_b32_e64 v84, 0xff7fffff, v90, s7
	v_cndmask_b32_e64 v85, 0xff7fffff, v89, s8
	v_cmp_gt_i32_e64 s9, s17, v86
	v_cmp_gt_i32_e64 s10, s17, v87
	v_mul_f32_e32 v111, s18, v123
	v_cmp_gt_i32_e64 s11, s17, v88
	v_max3_f32 v81, v81, v84, v85
	v_cndmask_b32_e64 v82, 0xff7fffff, v113, s9
	v_cndmask_b32_e64 v83, 0xff7fffff, v112, s10
	v_cmp_gt_i32_e64 s12, s17, v101
	v_or_b32_e32 v104, 28, v98
	v_or_b32_e32 v105, 30, v98
	v_dual_mul_f32 v108, s18, v126 :: v_dual_mul_f32 v109, s18, v125
	v_cndmask_b32_e64 v84, 0xff7fffff, v111, s11
	v_cndmask_b32_e64 v85, 0xff7fffff, v110, s12
	v_max3_f32 v81, v81, v82, v83
	v_cmp_gt_i32_e64 s13, s17, v102
	v_cmp_gt_i32_e64 s15, s17, v103
	v_mul_f32_e32 v107, s18, v127
	v_cmp_gt_i32_e64 s16, s17, v104
	v_max3_f32 v81, v81, v84, v85
	v_cndmask_b32_e64 v82, 0xff7fffff, v109, s13
	v_cndmask_b32_e64 v83, 0xff7fffff, v108, s15
	v_cmp_gt_i32_e64 s17, s17, v105
	v_cndmask_b32_e64 v84, 0xff7fffff, v107, s16
	s_delay_alu instid0(VALU_DEP_3) | instskip(NEXT) | instid1(VALU_DEP_3)
	v_max3_f32 v81, v81, v82, v83
	v_cndmask_b32_e64 v85, 0xff7fffff, v106, s17
	v_lshlrev_b32_e32 v83, 2, v97
	s_delay_alu instid0(VALU_DEP_2) | instskip(SKIP_3) | instid1(VALU_DEP_1)
	v_max3_f32 v81, v81, v84, v85
	ds_bpermute_b32 v82, v83, v81
	s_waitcnt lgkmcnt(0)
	v_max_f32_e32 v82, v82, v82
	v_max_f32_e32 v81, v81, v82
	s_delay_alu instid0(VALU_DEP_1) | instskip(SKIP_3) | instid1(VALU_DEP_4)
	v_fma_f32 v82, s18, v137, -v81
	v_fma_f32 v84, s18, v138, -v81
	;; [unrolled: 1-line block ×4, first 2 shown]
	v_mul_f32_e32 v82, 0x3fb8aa3b, v82
	s_delay_alu instid0(VALU_DEP_3) | instskip(NEXT) | instid1(VALU_DEP_3)
	v_dual_mul_f32 v84, 0x3fb8aa3b, v84 :: v_dual_mul_f32 v85, 0x3fb8aa3b, v85
	v_mul_f32_e32 v86, 0x3fb8aa3b, v86
	s_delay_alu instid0(VALU_DEP_3) | instskip(NEXT) | instid1(VALU_DEP_2)
	v_exp_f32_e32 v82, v82
	v_exp_f32_e32 v84, v84
	s_delay_alu instid0(VALU_DEP_2) | instskip(NEXT) | instid1(VALU_DEP_1)
	v_exp_f32_e32 v85, v85
	v_exp_f32_e32 v90, v86
	v_cndmask_b32_e32 v87, 0, v82, vcc_lo
	s_delay_alu instid0(TRANS32_DEP_3) | instskip(SKIP_4) | instid1(VALU_DEP_1)
	v_cndmask_b32_e64 v86, 0, v84, s2
	s_waitcnt_depctr 0xfff
	v_cndmask_b32_e64 v89, 0, v85, s3
	s_mov_b32 s2, exec_lo
	v_add_f32_e32 v84, 0, v87
	v_add_f32_e32 v84, v84, v86
	s_delay_alu instid0(VALU_DEP_1)
	v_add_f32_e32 v84, v84, v89
	v_fma_f32 v88, s18, v141, -v81
	v_fma_f32 v91, s18, v143, -v81
	;; [unrolled: 1-line block ×5, first 2 shown]
	v_mul_f32_e32 v88, 0x3fb8aa3b, v88
	v_fma_f32 v100, s18, v128, -v81
	v_mul_f32_e32 v82, 0x3fb8aa3b, v82
	v_fma_f32 v98, s18, v126, -v81
	v_mul_f32_e32 v97, 0x3fb8aa3b, v95
	v_exp_f32_e32 v92, v88
	v_cndmask_b32_e64 v88, 0, v90, s4
	v_fma_f32 v90, s18, v121, -v81
	v_mul_f32_e32 v91, 0x3fb8aa3b, v91
	v_exp_f32_e32 v82, v82
	v_exp_f32_e32 v99, v97
	v_add_f32_e32 v84, v84, v88
	v_mul_f32_e32 v94, 0x3fb8aa3b, v90
	v_exp_f32_e32 v93, v91
	v_mul_f32_e32 v98, 0x3fb8aa3b, v98
	v_cndmask_b32_e64 v91, 0, v92, s5
	v_fma_f32 v92, s18, v122, -v81
	v_mul_f32_e32 v85, 0x3fb8aa3b, v85
	v_exp_f32_e32 v94, v94
	v_cndmask_b32_e64 v90, 0, v82, s6
	v_add_f32_e32 v82, v84, v91
	v_mul_f32_e32 v92, 0x3fb8aa3b, v92
	v_exp_f32_e32 v85, v85
	v_fma_f32 v84, s18, v123, -v81
	v_cndmask_b32_e64 v93, 0, v93, s7
	v_add_f32_e32 v82, v82, v90
	v_exp_f32_e32 v96, v92
	v_exp_f32_e32 v98, v98
	v_cndmask_b32_e64 v95, 0, v94, s9
	s_delay_alu instid0(VALU_DEP_2) | instskip(NEXT) | instid1(TRANS32_DEP_3)
	v_add_f32_e32 v82, v82, v93
	v_cndmask_b32_e64 v92, 0, v85, s8
	v_fma_f32 v85, s18, v125, -v81
	v_mul_f32_e32 v84, 0x3fb8aa3b, v84
	s_delay_alu instid0(TRANS32_DEP_2) | instskip(SKIP_1) | instid1(VALU_DEP_4)
	v_cndmask_b32_e64 v94, 0, v96, s10
	v_fma_f32 v96, s18, v127, -v81
	v_mul_f32_e32 v85, 0x3fb8aa3b, v85
	s_delay_alu instid0(VALU_DEP_4) | instskip(SKIP_1) | instid1(VALU_DEP_2)
	v_exp_f32_e32 v84, v84
	v_cndmask_b32_e64 v98, 0, v98, s15
	v_exp_f32_e32 v85, v85
	s_waitcnt_depctr 0xfff
	v_cndmask_b32_e64 v97, 0, v84, s11
	v_mul_f32_e32 v84, 0x3fb8aa3b, v96
	v_cndmask_b32_e64 v96, 0, v99, s12
	v_cndmask_b32_e64 v99, 0, v85, s13
	v_mul_f32_e32 v85, 0x3fb8aa3b, v100
	v_add_f32_e32 v82, v82, v92
	v_exp_f32_e32 v84, v84
	s_delay_alu instid0(VALU_DEP_2) | instskip(NEXT) | instid1(VALU_DEP_1)
	v_exp_f32_e32 v85, v85
	v_add_f32_e32 v82, v82, v95
	s_delay_alu instid0(VALU_DEP_1) | instskip(SKIP_4) | instid1(VALU_DEP_1)
	v_add_f32_e32 v82, v82, v94
	s_waitcnt_depctr 0xfff
	v_cndmask_b32_e64 v101, 0, v84, s16
	v_cndmask_b32_e64 v100, 0, v85, s17
	v_add_f32_e32 v82, v82, v97
	v_add_f32_e32 v82, v82, v96
	s_delay_alu instid0(VALU_DEP_1) | instskip(NEXT) | instid1(VALU_DEP_1)
	v_add_f32_e32 v82, v82, v99
	v_add_f32_e32 v82, v82, v98
	s_delay_alu instid0(VALU_DEP_1) | instskip(NEXT) | instid1(VALU_DEP_1)
	v_add_f32_e32 v82, v82, v101
	v_add_f32_e32 v82, v82, v100
	ds_bpermute_b32 v83, v83, v82
	v_cmpx_gt_u32_e32 16, v80
	s_cbranch_execz .LBB333_14
; %bb.13:
	v_mul_u32_u24_e32 v80, 0x44, v77
	s_waitcnt lgkmcnt(0)
	v_add_f32_e32 v82, v82, v83
	s_delay_alu instid0(VALU_DEP_2) | instskip(NEXT) | instid1(VALU_DEP_1)
	v_lshl_add_u32 v80, v78, 2, v80
	v_add_nc_u32_e32 v80, 0x4000, v80
	ds_store_2addr_b32 v80, v81, v82 offset1:136
.LBB333_14:
	s_or_b32 exec_lo, exec_lo, s2
	v_lshlrev_b32_e32 v78, 2, v78
	s_load_b32 s34, s[0:1], 0x94
	s_waitcnt lgkmcnt(0)
	s_barrier
	buffer_gl0_inv
	v_add_nc_u32_e32 v78, 0x4000, v78
	v_cmp_eq_u32_e32 vcc_lo, 1, v77
	v_cmp_eq_u32_e64 s2, 2, v77
	v_cmp_eq_u32_e64 s3, 3, v77
	;; [unrolled: 1-line block ×3, first 2 shown]
	ds_load_2addr_b32 v[80:81], v78 offset1:17
	ds_load_2addr_b32 v[82:83], v78 offset0:34 offset1:51
	ds_load_2addr_b32 v[102:103], v78 offset0:68 offset1:85
	;; [unrolled: 1-line block ×3, first 2 shown]
	v_cmp_eq_u32_e64 s5, 7, v77
	s_waitcnt lgkmcnt(3)
	v_max3_f32 v84, v80, 0xff7fffff, v81
	s_waitcnt lgkmcnt(2)
	s_delay_alu instid0(VALU_DEP_1) | instskip(SKIP_1) | instid1(VALU_DEP_1)
	v_max3_f32 v84, v84, v82, v83
	s_waitcnt lgkmcnt(1)
	v_max3_f32 v84, v84, v102, v103
	s_waitcnt lgkmcnt(0)
	s_delay_alu instid0(VALU_DEP_1) | instskip(NEXT) | instid1(VALU_DEP_1)
	v_max3_f32 v84, v84, v104, v105
	v_sub_f32_e32 v109, v83, v84
	ds_load_2addr_b32 v[106:107], v78 offset0:136 offset1:153
	v_sub_f32_e32 v85, v81, v84
	v_dual_sub_f32 v80, v80, v84 :: v_dual_mul_f32 v109, 0x3fb8aa3b, v109
	s_delay_alu instid0(VALU_DEP_1)
	v_dual_mul_f32 v85, 0x3fb8aa3b, v85 :: v_dual_mul_f32 v108, 0x3fb8aa3b, v80
	ds_load_2addr_b32 v[80:81], v78 offset0:170 offset1:187
	v_exp_f32_e32 v109, v109
	v_exp_f32_e32 v111, v85
	;; [unrolled: 1-line block ×3, first 2 shown]
	s_waitcnt lgkmcnt(1)
	s_waitcnt_depctr 0xfff
	v_fma_f32 v85, v108, v106, 0
	v_sub_f32_e32 v82, v82, v84
	v_sub_f32_e32 v106, v103, v84
	s_delay_alu instid0(VALU_DEP_2) | instskip(SKIP_3) | instid1(VALU_DEP_1)
	v_dual_fmac_f32 v85, v111, v107 :: v_dual_mul_f32 v110, 0x3fb8aa3b, v82
	ds_load_2addr_b32 v[82:83], v78 offset0:204 offset1:221
	v_sub_f32_e32 v102, v102, v84
	v_exp_f32_e32 v110, v110
	v_mul_f32_e32 v112, 0x3fb8aa3b, v102
	ds_load_2addr_b32 v[102:103], v78 offset0:238 offset1:255
	s_waitcnt lgkmcnt(0)
	s_barrier
	buffer_gl0_inv
	v_fmac_f32_e32 v85, v110, v80
	v_sub_f32_e32 v80, v105, v84
	s_delay_alu instid0(VALU_DEP_1) | instskip(SKIP_1) | instid1(VALU_DEP_2)
	v_dual_fmac_f32 v85, v109, v81 :: v_dual_mul_f32 v80, 0x3fb8aa3b, v80
	v_sub_f32_e32 v78, v104, v84
	v_exp_f32_e32 v107, v80
	v_mul_f32_e32 v104, 0x3fb8aa3b, v106
	v_exp_f32_e32 v106, v112
	v_cndmask_b32_e32 v80, v108, v111, vcc_lo
	s_delay_alu instid0(VALU_DEP_2) | instskip(SKIP_2) | instid1(VALU_DEP_1)
	v_exp_f32_e32 v104, v104
	s_waitcnt_depctr 0xfff
	v_fmac_f32_e32 v85, v106, v82
	v_dual_mul_f32 v78, 0x3fb8aa3b, v78 :: v_dual_fmac_f32 v85, v104, v83
	s_delay_alu instid0(VALU_DEP_1) | instskip(SKIP_2) | instid1(VALU_DEP_1)
	v_exp_f32_e32 v105, v78
	s_waitcnt_depctr 0xfff
	v_fmac_f32_e32 v85, v105, v102
	v_fmac_f32_e32 v85, v107, v103
	s_delay_alu instid0(VALU_DEP_1) | instskip(NEXT) | instid1(VALU_DEP_1)
	v_add_f32_e32 v102, 0x358637bd, v85
	v_div_scale_f32 v103, null, v102, v102, 1.0
	v_div_scale_f32 v108, vcc_lo, 1.0, v102, 1.0
	s_delay_alu instid0(VALU_DEP_2) | instskip(SKIP_2) | instid1(VALU_DEP_1)
	v_rcp_f32_e32 v112, v103
	s_waitcnt_depctr 0xfff
	v_fma_f32 v78, -v103, v112, 1.0
	v_fmac_f32_e32 v112, v78, v112
	v_cndmask_b32_e64 v78, v80, v110, s2
	v_cmp_eq_u32_e64 s2, 4, v77
	v_lshl_or_b32 v80, v77, 11, v79
	s_delay_alu instid0(VALU_DEP_4) | instskip(NEXT) | instid1(VALU_DEP_4)
	v_mul_f32_e32 v110, v108, v112
	v_cndmask_b32_e64 v81, v78, v109, s3
	v_cmp_eq_u32_e64 s3, 6, v77
	s_delay_alu instid0(VALU_DEP_4) | instskip(SKIP_3) | instid1(VALU_DEP_3)
	v_lshl_or_b32 v77, v75, 4, v80
	v_lshlrev_b32_e32 v78, 2, v75
	v_fma_f32 v82, -v103, v110, v108
	v_cndmask_b32_e64 v83, v81, v106, s2
	v_or_b32_e32 v81, 1, v78
	s_delay_alu instid0(VALU_DEP_3) | instskip(NEXT) | instid1(VALU_DEP_3)
	v_fmac_f32_e32 v110, v82, v112
	v_cndmask_b32_e64 v104, v83, v104, s4
	v_or_b32_e32 v83, 2, v78
	v_or_b32_e32 v82, 3, v78
	v_cmp_eq_u32_e64 s2, 1, v78
	v_fma_f32 v103, -v103, v110, v108
	v_cndmask_b32_e64 v104, v104, v105, s3
	v_cmp_eq_u32_e64 s8, 1, v81
	v_cmp_eq_u32_e64 s9, 1, v83
	v_cmp_eq_u32_e64 s10, 1, v82
	v_div_fmas_f32 v103, v103, v112, v110
	v_cndmask_b32_e64 v104, v104, v107, s5
	v_cmp_eq_u32_e32 vcc_lo, 2, v78
	v_cmp_eq_u32_e64 s11, 2, v81
	v_cmp_eq_u32_e64 s13, 2, v83
	v_div_fixup_f32 v102, v103, v102, 1.0
	v_cmp_eq_u32_e64 s15, 2, v82
	v_cmp_eq_u32_e64 s17, 3, v82
	;; [unrolled: 1-line block ×4, first 2 shown]
	v_mul_f32_e32 v110, v104, v102
	v_cmp_eq_u32_e64 s16, 3, v83
	v_cmp_eq_u32_e64 s21, 4, v82
	;; [unrolled: 1-line block ×4, first 2 shown]
	v_fma_mixlo_f16 v102, v110, v87, 0
	v_fma_mixlo_f16 v103, v110, v89, 0
	;; [unrolled: 1-line block ×8, first 2 shown]
	v_fma_mixhi_f16 v102, v110, v86, 0
	v_fma_mixhi_f16 v103, v110, v88, 0
	;; [unrolled: 1-line block ×8, first 2 shown]
	ds_store_b128 v77, v[102:105]
	ds_store_b128 v77, v[106:109] offset:1024
	s_waitcnt lgkmcnt(0)
	s_barrier
	buffer_gl0_inv
	ds_load_b128 v[86:89], v80
	ds_load_b128 v[90:93], v80 offset:16
	ds_load_b128 v[94:97], v80 offset:1024
	;; [unrolled: 1-line block ×3, first 2 shown]
	v_cmp_eq_u32_e64 s20, 4, v83
	v_cmp_eq_u32_e64 s23, 5, v82
	v_cmp_eq_u32_e64 s5, 5, v78
	v_cmp_eq_u32_e64 s19, 5, v81
	v_cmp_eq_u32_e64 s22, 5, v83
	v_cmp_eq_u32_e64 s26, 6, v82
	v_cmp_eq_u32_e64 s6, 6, v78
	v_cmp_eq_u32_e64 s24, 6, v81
	v_cmp_eq_u32_e64 s25, 6, v83
	v_cmp_eq_u32_e64 s28, 7, v82
	v_cmp_eq_u32_e64 s7, 7, v78
	v_cmp_eq_u32_e64 s27, 7, v83
	v_cmp_eq_u32_e64 s29, 7, v81
	s_waitcnt lgkmcnt(3)
	v_lshrrev_b32_e32 v102, 16, v86
	s_waitcnt lgkmcnt(2)
	v_lshrrev_b32_e32 v106, 16, v90
	;; [unrolled: 2-line block ×4, first 2 shown]
	v_lshrrev_b32_e32 v103, 16, v87
	v_cndmask_b32_e64 v118, v86, v102, s2
	v_cndmask_b32_e64 v119, v90, v106, s2
	v_cndmask_b32_e64 v120, v86, v102, s8
	v_cndmask_b32_e64 v121, v90, v106, s8
	v_cndmask_b32_e64 v122, v86, v102, s9
	v_cndmask_b32_e64 v123, v90, v106, s9
	v_cndmask_b32_e64 v86, v86, v102, s10
	v_cndmask_b32_e64 v90, v90, v106, s10
	v_lshrrev_b32_e32 v107, 16, v91
	v_cndmask_b32_e64 v102, v94, v110, s2
	v_cndmask_b32_e64 v106, v98, v114, s2
	;; [unrolled: 1-line block ×5, first 2 shown]
	v_cndmask_b32_e32 v110, v118, v87, vcc_lo
	v_cndmask_b32_e64 v118, v120, v87, s11
	v_cndmask_b32_e64 v120, v122, v87, s13
	;; [unrolled: 1-line block ×4, first 2 shown]
	v_lshrrev_b32_e32 v111, 16, v95
	v_lshrrev_b32_e32 v115, 16, v99
	v_cndmask_b32_e64 v125, v98, v114, s8
	v_cndmask_b32_e64 v127, v98, v114, s9
	v_cndmask_b32_e64 v98, v98, v114, s10
	v_cndmask_b32_e32 v114, v119, v91, vcc_lo
	v_cndmask_b32_e64 v119, v121, v91, s11
	v_cndmask_b32_e64 v121, v123, v91, s13
	v_cndmask_b32_e32 v90, v102, v95, vcc_lo
	v_cndmask_b32_e32 v91, v106, v99, vcc_lo
	v_cndmask_b32_e64 v102, v124, v95, s11
	v_cndmask_b32_e64 v86, v86, v103, s17
	;; [unrolled: 1-line block ×3, first 2 shown]
	v_lshrrev_b32_e32 v104, 16, v88
	v_lshrrev_b32_e32 v108, 16, v92
	v_cndmask_b32_e64 v106, v126, v95, s13
	v_cndmask_b32_e64 v94, v94, v95, s15
	;; [unrolled: 1-line block ×14, first 2 shown]
	v_lshrrev_b32_e32 v112, 16, v96
	v_cndmask_b32_e64 v98, v98, v88, s4
	v_cndmask_b32_e64 v103, v110, v92, s4
	;; [unrolled: 1-line block ×11, first 2 shown]
	v_lshrrev_b32_e32 v105, 16, v89
	v_lshrrev_b32_e32 v109, 16, v93
	v_cndmask_b32_e64 v92, v98, v104, s5
	v_cndmask_b32_e64 v98, v103, v108, s5
	;; [unrolled: 1-line block ×9, first 2 shown]
	v_lshrrev_b32_e32 v113, 16, v97
	v_cndmask_b32_e64 v88, v88, v112, s5
	v_cndmask_b32_e64 v92, v92, v89, s6
	;; [unrolled: 1-line block ×19, first 2 shown]
	v_perm_b32 v89, v87, v86, 0x5040100
	v_cndmask_b32_e64 v86, v125, v99, s11
	v_cndmask_b32_e64 v104, v88, v113, s7
	v_perm_b32 v88, v102, v98, 0x5040100
	v_perm_b32 v87, v103, v93, 0x5040100
	v_cndmask_b32_e64 v93, v106, v111, s16
	v_cndmask_b32_e64 v94, v94, v111, s17
	;; [unrolled: 1-line block ×5, first 2 shown]
	v_lshrrev_b32_e32 v116, 16, v100
	v_cndmask_b32_e64 v93, v93, v96, s20
	v_cndmask_b32_e64 v94, v94, v96, s21
	;; [unrolled: 1-line block ×11, first 2 shown]
	v_lshrrev_b32_e32 v117, 16, v101
	v_cndmask_b32_e64 v90, v90, v101, s6
	v_cndmask_b32_e64 v93, v93, v97, s25
	;; [unrolled: 1-line block ×12, first 2 shown]
	v_perm_b32 v86, v92, v91, 0x5040100
	v_perm_b32 v93, v94, v93, 0x5040100
	;; [unrolled: 1-line block ×5, first 2 shown]
	s_lshl_b32 s6, s33, 3
	s_mov_b32 s2, exec_lo
	ds_store_b128 v77, v[86:89]
	ds_store_b128 v77, v[90:93] offset:1024
	v_cmpx_gt_u32_e32 8, v0
	s_cbranch_execz .LBB333_16
; %bb.15:
	v_or_b32_e32 v86, s31, v0
	s_load_b128 s[8:11], s[0:1], 0x58
	s_delay_alu instid0(VALU_DEP_1) | instskip(NEXT) | instid1(VALU_DEP_1)
	v_mad_u64_u32 v[87:88], null, s6, s30, v[86:87]
	v_mad_u64_u32 v[88:89], null, v87, s34, s[14:15]
	s_delay_alu instid0(VALU_DEP_1) | instskip(NEXT) | instid1(VALU_DEP_1)
	v_ashrrev_i32_e32 v89, 31, v88
	v_lshlrev_b64 v[86:87], 2, v[88:89]
	s_waitcnt lgkmcnt(0)
	s_delay_alu instid0(VALU_DEP_1) | instskip(NEXT) | instid1(VALU_DEP_2)
	v_add_co_u32 v88, vcc_lo, s10, v86
	v_add_co_ci_u32_e32 v89, vcc_lo, s11, v87, vcc_lo
	v_add_co_u32 v86, vcc_lo, s8, v86
	v_add_co_ci_u32_e32 v87, vcc_lo, s9, v87, vcc_lo
	global_store_b32 v[88:89], v84, off
	global_store_b32 v[86:87], v85, off
.LBB333_16:
	s_or_b32 exec_lo, exec_lo, s2
	s_waitcnt lgkmcnt(0)
	s_waitcnt_vscnt null, 0x0
	s_barrier
	buffer_gl0_inv
	ds_load_b128 v[92:95], v79
	ds_load_b128 v[96:99], v79 offset:16
	ds_load_b128 v[104:107], v79 offset:1040
	;; [unrolled: 1-line block ×5, first 2 shown]
	v_cmp_eq_u32_e32 vcc_lo, 1, v83
	v_mov_b32_e32 v84, 0
	ds_load_b128 v[120:123], v79 offset:3088
	ds_load_b128 v[116:119], v79 offset:3072
	;; [unrolled: 1-line block ×4, first 2 shown]
	v_cmp_eq_u32_e64 s2, 1, v78
	v_cmp_eq_u32_e64 s3, 1, v82
	;; [unrolled: 1-line block ×3, first 2 shown]
	v_mov_b32_e32 v85, v84
	v_mov_b32_e32 v86, v84
	;; [unrolled: 1-line block ×7, first 2 shown]
	v_cmp_eq_u32_e64 s5, 2, v78
	s_waitcnt lgkmcnt(8)
	s_delay_alu instid0(VALU_DEP_2)
	v_wmma_f32_16x16x16_f16 v[84:91], v[65:72], v[92:99], v[84:91]
	ds_load_b128 v[69:72], v79 offset:5136
	ds_load_b128 v[65:68], v79 offset:5120
	;; [unrolled: 1-line block ×4, first 2 shown]
	s_waitcnt lgkmcnt(10)
	v_wmma_f32_16x16x16_f16 v[84:91], v[57:64], v[100:107], v[84:91]
	s_waitcnt lgkmcnt(8)
	s_delay_alu instid0(VALU_DEP_1)
	v_wmma_f32_16x16x16_f16 v[84:91], v[57:64], v[108:115], v[84:91]
	ds_load_b128 v[61:64], v79 offset:7184
	ds_load_b128 v[57:60], v79 offset:7168
	;; [unrolled: 1-line block ×4, first 2 shown]
	s_waitcnt lgkmcnt(10)
	v_wmma_f32_16x16x16_f16 v[84:91], v[49:56], v[116:123], v[84:91]
	s_waitcnt lgkmcnt(8)
	s_delay_alu instid0(VALU_DEP_1)
	v_wmma_f32_16x16x16_f16 v[84:91], v[49:56], v[124:131], v[84:91]
	ds_load_b128 v[53:56], v79 offset:9232
	ds_load_b128 v[49:52], v79 offset:9216
	s_waitcnt lgkmcnt(8)
	v_wmma_f32_16x16x16_f16 v[84:91], v[41:48], v[65:72], v[84:91]
	ds_load_b128 v[69:72], v79 offset:10256
	ds_load_b128 v[65:68], v79 offset:10240
	s_waitcnt lgkmcnt(8)
	v_wmma_f32_16x16x16_f16 v[84:91], v[41:48], v[92:99], v[84:91]
	ds_load_b128 v[45:48], v79 offset:11280
	ds_load_b128 v[41:44], v79 offset:11264
	s_waitcnt lgkmcnt(8)
	v_wmma_f32_16x16x16_f16 v[84:91], v[9:16], v[57:64], v[84:91]
	ds_load_b128 v[61:64], v79 offset:12304
	ds_load_b128 v[57:60], v79 offset:12288
	s_waitcnt lgkmcnt(8)
	v_wmma_f32_16x16x16_f16 v[84:91], v[9:16], v[100:107], v[84:91]
	ds_load_b128 v[13:16], v79 offset:13328
	ds_load_b128 v[9:12], v79 offset:13312
	s_waitcnt lgkmcnt(8)
	v_wmma_f32_16x16x16_f16 v[84:91], v[1:8], v[49:56], v[84:91]
	ds_load_b128 v[53:56], v79 offset:14352
	ds_load_b128 v[49:52], v79 offset:14336
	s_waitcnt lgkmcnt(8)
	v_wmma_f32_16x16x16_f16 v[84:91], v[1:8], v[65:72], v[84:91]
	ds_load_b128 v[5:8], v79 offset:15376
	ds_load_b128 v[1:4], v79 offset:15360
	s_waitcnt lgkmcnt(0)
	s_barrier
	buffer_gl0_inv
	v_wmma_f32_16x16x16_f16 v[84:91], v[33:40], v[41:48], v[84:91]
	s_delay_alu instid0(VALU_DEP_1) | instskip(NEXT) | instid1(VALU_DEP_1)
	v_wmma_f32_16x16x16_f16 v[84:91], v[33:40], v[57:64], v[84:91]
	v_wmma_f32_16x16x16_f16 v[84:91], v[25:32], v[9:16], v[84:91]
	s_delay_alu instid0(VALU_DEP_1) | instskip(NEXT) | instid1(VALU_DEP_1)
	v_wmma_f32_16x16x16_f16 v[84:91], v[25:32], v[49:56], v[84:91]
	v_wmma_f32_16x16x16_f16 v[84:91], v[17:24], v[1:8], v[84:91]
	s_delay_alu instid0(VALU_DEP_1) | instskip(NEXT) | instid1(VALU_DEP_2)
	v_cvt_f16_f32_e32 v1, v84
	v_cvt_f16_f32_e32 v2, v85
	s_delay_alu instid0(VALU_DEP_3) | instskip(NEXT) | instid1(VALU_DEP_4)
	v_cvt_f16_f32_e32 v3, v86
	v_cvt_f16_f32_e32 v4, v87
	;; [unrolled: 1-line block ×6, first 2 shown]
	v_pack_b32_f16 v1, v1, v2
	v_pack_b32_f16 v2, v3, v4
	;; [unrolled: 1-line block ×3, first 2 shown]
	s_delay_alu instid0(VALU_DEP_4)
	v_pack_b32_f16 v4, v7, v8
	ds_store_b128 v77, v[1:4]
	s_waitcnt lgkmcnt(0)
	s_barrier
	buffer_gl0_inv
	ds_load_b128 v[1:4], v80
	ds_load_b128 v[5:8], v80 offset:16
	s_waitcnt lgkmcnt(1)
	v_lshrrev_b32_e32 v9, 16, v1
	s_waitcnt lgkmcnt(0)
	v_lshrrev_b32_e32 v13, 16, v5
	v_lshrrev_b32_e32 v10, 16, v2
	;; [unrolled: 1-line block ×4, first 2 shown]
	v_cndmask_b32_e64 v17, v1, v9, s2
	v_cndmask_b32_e64 v18, v5, v13, s2
	;; [unrolled: 1-line block ×3, first 2 shown]
	v_cmp_eq_u32_e64 s2, 2, v81
	v_cndmask_b32_e64 v20, v5, v13, s4
	v_cndmask_b32_e32 v21, v1, v9, vcc_lo
	v_cndmask_b32_e32 v22, v5, v13, vcc_lo
	v_cndmask_b32_e64 v1, v1, v9, s3
	v_cndmask_b32_e64 v5, v5, v13, s3
	v_cmp_eq_u32_e32 vcc_lo, 2, v83
	v_cmp_eq_u32_e64 s3, 2, v82
	v_cndmask_b32_e64 v9, v17, v2, s5
	v_cndmask_b32_e64 v13, v18, v6, s5
	;; [unrolled: 1-line block ×4, first 2 shown]
	v_cndmask_b32_e32 v19, v21, v2, vcc_lo
	v_cmp_eq_u32_e64 s2, 3, v83
	v_cndmask_b32_e32 v20, v22, v6, vcc_lo
	v_cndmask_b32_e64 v1, v1, v2, s3
	v_cmp_eq_u32_e32 vcc_lo, 3, v82
	v_cmp_eq_u32_e64 s4, 3, v78
	v_cndmask_b32_e64 v2, v5, v6, s3
	v_cmp_eq_u32_e64 s3, 3, v81
	v_cmp_eq_u32_e64 s5, 4, v78
	v_cndmask_b32_e32 v1, v1, v10, vcc_lo
	v_cndmask_b32_e64 v5, v9, v10, s4
	v_cndmask_b32_e64 v6, v13, v14, s4
	;; [unrolled: 1-line block ×3, first 2 shown]
	v_cmp_eq_u32_e64 s4, 4, v81
	v_cndmask_b32_e64 v13, v18, v14, s3
	v_cndmask_b32_e64 v17, v19, v10, s2
	;; [unrolled: 1-line block ×3, first 2 shown]
	v_cndmask_b32_e32 v2, v2, v14, vcc_lo
	v_cmp_eq_u32_e32 vcc_lo, 4, v83
	v_cmp_eq_u32_e64 s3, 4, v82
	v_lshrrev_b32_e32 v15, 16, v7
	v_cndmask_b32_e64 v5, v5, v3, s5
	v_cndmask_b32_e64 v6, v6, v7, s5
	v_cndmask_b32_e32 v14, v18, v7, vcc_lo
	v_cndmask_b32_e64 v9, v9, v3, s4
	v_cndmask_b32_e64 v10, v13, v7, s4
	v_cndmask_b32_e32 v13, v17, v3, vcc_lo
	v_cmp_eq_u32_e64 s2, 5, v83
	v_cndmask_b32_e64 v1, v1, v3, s3
	v_cmp_eq_u32_e32 vcc_lo, 5, v82
	v_cmp_eq_u32_e64 s4, 5, v78
	v_cndmask_b32_e64 v2, v2, v7, s3
	v_cmp_eq_u32_e64 s3, 5, v81
	v_cmp_eq_u32_e64 s5, 6, v78
	v_lshrrev_b32_e32 v12, 16, v4
	v_cndmask_b32_e64 v3, v5, v11, s4
	v_cndmask_b32_e64 v5, v6, v15, s4
	;; [unrolled: 1-line block ×3, first 2 shown]
	v_cmp_eq_u32_e64 s4, 6, v81
	v_cndmask_b32_e64 v7, v10, v15, s3
	v_cndmask_b32_e64 v9, v13, v11, s2
	;; [unrolled: 1-line block ×3, first 2 shown]
	v_cndmask_b32_e32 v1, v1, v11, vcc_lo
	v_cndmask_b32_e32 v2, v2, v15, vcc_lo
	v_cmp_eq_u32_e32 vcc_lo, 6, v83
	v_cmp_eq_u32_e64 s2, 6, v82
	v_lshrrev_b32_e32 v16, 16, v8
	v_cndmask_b32_e64 v3, v3, v4, s5
	v_cndmask_b32_e64 v5, v5, v8, s5
	v_cndmask_b32_e32 v9, v9, v4, vcc_lo
	v_cndmask_b32_e64 v6, v6, v4, s4
	v_cndmask_b32_e64 v7, v7, v8, s4
	v_cmp_eq_u32_e64 s3, 7, v83
	v_cndmask_b32_e32 v10, v10, v8, vcc_lo
	v_cndmask_b32_e64 v1, v1, v4, s2
	v_cmp_eq_u32_e32 vcc_lo, 7, v82
	v_cndmask_b32_e64 v2, v2, v8, s2
	v_cmp_eq_u32_e64 s2, 7, v78
	v_cmp_eq_u32_e64 s4, 7, v81
	v_cndmask_b32_e32 v1, v1, v12, vcc_lo
	s_delay_alu instid0(VALU_DEP_4) | instskip(NEXT) | instid1(VALU_DEP_4)
	v_cndmask_b32_e32 v2, v2, v16, vcc_lo
	v_cndmask_b32_e64 v8, v3, v12, s2
	s_delay_alu instid0(VALU_DEP_4)
	v_cndmask_b32_e64 v6, v6, v12, s4
	v_cndmask_b32_e64 v3, v9, v12, s3
	;; [unrolled: 1-line block ×5, first 2 shown]
	v_perm_b32 v4, v2, v1, 0x5040100
	s_mov_b32 s2, exec_lo
	v_perm_b32 v3, v9, v3, 0x5040100
	v_perm_b32 v2, v7, v6, 0x5040100
	;; [unrolled: 1-line block ×3, first 2 shown]
	ds_store_b128 v77, v[1:4]
	s_waitcnt lgkmcnt(0)
	s_barrier
	buffer_gl0_inv
	v_cmpx_gt_u32_e32 32, v0
	s_cbranch_execz .LBB333_2
; %bb.17:
	s_load_b64 s[0:1], s[0:1], 0x68
	s_lshl_b32 s4, s34, 7
	v_or_b32_e32 v2, s31, v75
	s_mul_i32 s2, s4, s30
	v_lshlrev_b32_e32 v1, 10, v0
	s_mul_i32 s2, s2, s6
	v_lshlrev_b32_e32 v3, 4, v76
	v_mul_lo_u32 v0, v2, s4
	s_ashr_i32 s3, s2, 31
	v_lshlrev_b32_e32 v4, 6, v75
	v_and_b32_e32 v1, 0x3800, v1
	v_or_b32_e32 v5, 2, v2
	s_lshl_b64 s[2:3], s[2:3], 1
	v_or_b32_e32 v6, 4, v2
	v_or_b32_e32 v7, 6, v2
	v_or3_b32 v12, v1, v3, v4
	v_ashrrev_i32_e32 v1, 31, v0
	v_mul_lo_u32 v2, v5, s4
	v_mul_lo_u32 v16, v6, s4
	;; [unrolled: 1-line block ×3, first 2 shown]
	s_waitcnt lgkmcnt(0)
	s_add_u32 s2, s0, s2
	s_addc_u32 s3, s1, s3
	s_lshl_b32 s0, s14, 7
	v_lshlrev_b64 v[0:1], 1, v[0:1]
	s_ashr_i32 s1, s0, 31
	v_ashrrev_i32_e32 v3, 31, v2
	s_lshl_b64 s[0:1], s[0:1], 1
	v_ashrrev_i32_e32 v17, 31, v16
	s_add_u32 s0, s2, s0
	s_addc_u32 s1, s3, s1
	v_add_co_u32 v24, vcc_lo, s0, v73
	v_add_co_ci_u32_e32 v25, vcc_lo, s1, v74, vcc_lo
	v_lshlrev_b64 v[22:23], 1, v[2:3]
	s_delay_alu instid0(VALU_DEP_3) | instskip(NEXT) | instid1(VALU_DEP_3)
	v_add_co_u32 v18, vcc_lo, v24, v0
	v_add_co_ci_u32_e32 v19, vcc_lo, v25, v1, vcc_lo
	ds_load_b128 v[0:3], v12
	ds_load_b128 v[4:7], v12 offset:128
	ds_load_b128 v[8:11], v12 offset:256
	;; [unrolled: 1-line block ×3, first 2 shown]
	v_ashrrev_i32_e32 v21, 31, v20
	v_lshlrev_b64 v[16:17], 1, v[16:17]
	v_add_co_u32 v22, vcc_lo, v24, v22
	v_add_co_ci_u32_e32 v23, vcc_lo, v25, v23, vcc_lo
	s_delay_alu instid0(VALU_DEP_4) | instskip(NEXT) | instid1(VALU_DEP_4)
	v_lshlrev_b64 v[20:21], 1, v[20:21]
	v_add_co_u32 v16, vcc_lo, v24, v16
	v_add_co_ci_u32_e32 v17, vcc_lo, v25, v17, vcc_lo
	s_delay_alu instid0(VALU_DEP_3) | instskip(NEXT) | instid1(VALU_DEP_4)
	v_add_co_u32 v20, vcc_lo, v24, v20
	v_add_co_ci_u32_e32 v21, vcc_lo, v25, v21, vcc_lo
	s_waitcnt lgkmcnt(3)
	global_store_b128 v[18:19], v[0:3], off
	s_waitcnt lgkmcnt(2)
	global_store_b128 v[22:23], v[4:7], off
	;; [unrolled: 2-line block ×4, first 2 shown]
	s_nop 0
	s_sendmsg sendmsg(MSG_DEALLOC_VGPRS)
	s_endpgm
	.section	.rodata,"a",@progbits
	.p2align	6, 0x0
	.amdhsa_kernel _Z39paged_attention_ll4mi_QKV_mfma16_kernelIDF16_DF16_LN4vllm18Fp8KVCacheDataTypeE0EhLi32ELi128ELi256ELb0ELi8EL8MFMAType0EEvPKT_PKT0_S8_ifPKiSA_SA_iPKfiiiPfSD_PS3_PT2_iSC_SC_
		.amdhsa_group_segment_fixed_size 17472
		.amdhsa_private_segment_fixed_size 0
		.amdhsa_kernarg_size 400
		.amdhsa_user_sgpr_count 13
		.amdhsa_user_sgpr_dispatch_ptr 0
		.amdhsa_user_sgpr_queue_ptr 0
		.amdhsa_user_sgpr_kernarg_segment_ptr 1
		.amdhsa_user_sgpr_dispatch_id 0
		.amdhsa_user_sgpr_private_segment_size 0
		.amdhsa_wavefront_size32 1
		.amdhsa_uses_dynamic_stack 0
		.amdhsa_enable_private_segment 0
		.amdhsa_system_sgpr_workgroup_id_x 1
		.amdhsa_system_sgpr_workgroup_id_y 1
		.amdhsa_system_sgpr_workgroup_id_z 1
		.amdhsa_system_sgpr_workgroup_info 0
		.amdhsa_system_vgpr_workitem_id 0
		.amdhsa_next_free_vgpr 172
		.amdhsa_next_free_sgpr 38
		.amdhsa_reserve_vcc 1
		.amdhsa_float_round_mode_32 0
		.amdhsa_float_round_mode_16_64 0
		.amdhsa_float_denorm_mode_32 3
		.amdhsa_float_denorm_mode_16_64 3
		.amdhsa_dx10_clamp 1
		.amdhsa_ieee_mode 1
		.amdhsa_fp16_overflow 0
		.amdhsa_workgroup_processor_mode 1
		.amdhsa_memory_ordered 1
		.amdhsa_forward_progress 0
		.amdhsa_shared_vgpr_count 0
		.amdhsa_exception_fp_ieee_invalid_op 0
		.amdhsa_exception_fp_denorm_src 0
		.amdhsa_exception_fp_ieee_div_zero 0
		.amdhsa_exception_fp_ieee_overflow 0
		.amdhsa_exception_fp_ieee_underflow 0
		.amdhsa_exception_fp_ieee_inexact 0
		.amdhsa_exception_int_div_zero 0
	.end_amdhsa_kernel
	.section	.text._Z39paged_attention_ll4mi_QKV_mfma16_kernelIDF16_DF16_LN4vllm18Fp8KVCacheDataTypeE0EhLi32ELi128ELi256ELb0ELi8EL8MFMAType0EEvPKT_PKT0_S8_ifPKiSA_SA_iPKfiiiPfSD_PS3_PT2_iSC_SC_,"axG",@progbits,_Z39paged_attention_ll4mi_QKV_mfma16_kernelIDF16_DF16_LN4vllm18Fp8KVCacheDataTypeE0EhLi32ELi128ELi256ELb0ELi8EL8MFMAType0EEvPKT_PKT0_S8_ifPKiSA_SA_iPKfiiiPfSD_PS3_PT2_iSC_SC_,comdat
.Lfunc_end333:
	.size	_Z39paged_attention_ll4mi_QKV_mfma16_kernelIDF16_DF16_LN4vllm18Fp8KVCacheDataTypeE0EhLi32ELi128ELi256ELb0ELi8EL8MFMAType0EEvPKT_PKT0_S8_ifPKiSA_SA_iPKfiiiPfSD_PS3_PT2_iSC_SC_, .Lfunc_end333-_Z39paged_attention_ll4mi_QKV_mfma16_kernelIDF16_DF16_LN4vllm18Fp8KVCacheDataTypeE0EhLi32ELi128ELi256ELb0ELi8EL8MFMAType0EEvPKT_PKT0_S8_ifPKiSA_SA_iPKfiiiPfSD_PS3_PT2_iSC_SC_
                                        ; -- End function
	.section	.AMDGPU.csdata,"",@progbits
; Kernel info:
; codeLenInByte = 7496
; NumSgprs: 40
; NumVgprs: 172
; ScratchSize: 0
; MemoryBound: 0
; FloatMode: 240
; IeeeMode: 1
; LDSByteSize: 17472 bytes/workgroup (compile time only)
; SGPRBlocks: 4
; VGPRBlocks: 21
; NumSGPRsForWavesPerEU: 40
; NumVGPRsForWavesPerEU: 172
; Occupancy: 8
; WaveLimiterHint : 1
; COMPUTE_PGM_RSRC2:SCRATCH_EN: 0
; COMPUTE_PGM_RSRC2:USER_SGPR: 13
; COMPUTE_PGM_RSRC2:TRAP_HANDLER: 0
; COMPUTE_PGM_RSRC2:TGID_X_EN: 1
; COMPUTE_PGM_RSRC2:TGID_Y_EN: 1
; COMPUTE_PGM_RSRC2:TGID_Z_EN: 1
; COMPUTE_PGM_RSRC2:TIDIG_COMP_CNT: 0
	.section	.text._Z39paged_attention_ll4mi_QKV_mfma16_kernelIDF16_DF16_LN4vllm18Fp8KVCacheDataTypeE0EhLi32ELi128ELi256ELb0ELi9EL8MFMAType0EEvPKT_PKT0_S8_ifPKiSA_SA_iPKfiiiPfSD_PS3_PT2_iSC_SC_,"axG",@progbits,_Z39paged_attention_ll4mi_QKV_mfma16_kernelIDF16_DF16_LN4vllm18Fp8KVCacheDataTypeE0EhLi32ELi128ELi256ELb0ELi9EL8MFMAType0EEvPKT_PKT0_S8_ifPKiSA_SA_iPKfiiiPfSD_PS3_PT2_iSC_SC_,comdat
	.protected	_Z39paged_attention_ll4mi_QKV_mfma16_kernelIDF16_DF16_LN4vllm18Fp8KVCacheDataTypeE0EhLi32ELi128ELi256ELb0ELi9EL8MFMAType0EEvPKT_PKT0_S8_ifPKiSA_SA_iPKfiiiPfSD_PS3_PT2_iSC_SC_ ; -- Begin function _Z39paged_attention_ll4mi_QKV_mfma16_kernelIDF16_DF16_LN4vllm18Fp8KVCacheDataTypeE0EhLi32ELi128ELi256ELb0ELi9EL8MFMAType0EEvPKT_PKT0_S8_ifPKiSA_SA_iPKfiiiPfSD_PS3_PT2_iSC_SC_
	.globl	_Z39paged_attention_ll4mi_QKV_mfma16_kernelIDF16_DF16_LN4vllm18Fp8KVCacheDataTypeE0EhLi32ELi128ELi256ELb0ELi9EL8MFMAType0EEvPKT_PKT0_S8_ifPKiSA_SA_iPKfiiiPfSD_PS3_PT2_iSC_SC_
	.p2align	8
	.type	_Z39paged_attention_ll4mi_QKV_mfma16_kernelIDF16_DF16_LN4vllm18Fp8KVCacheDataTypeE0EhLi32ELi128ELi256ELb0ELi9EL8MFMAType0EEvPKT_PKT0_S8_ifPKiSA_SA_iPKfiiiPfSD_PS3_PT2_iSC_SC_,@function
_Z39paged_attention_ll4mi_QKV_mfma16_kernelIDF16_DF16_LN4vllm18Fp8KVCacheDataTypeE0EhLi32ELi128ELi256ELb0ELi9EL8MFMAType0EEvPKT_PKT0_S8_ifPKiSA_SA_iPKfiiiPfSD_PS3_PT2_iSC_SC_: ; @_Z39paged_attention_ll4mi_QKV_mfma16_kernelIDF16_DF16_LN4vllm18Fp8KVCacheDataTypeE0EhLi32ELi128ELi256ELb0ELi9EL8MFMAType0EEvPKT_PKT0_S8_ifPKiSA_SA_iPKfiiiPfSD_PS3_PT2_iSC_SC_
; %bb.0:
	s_load_b64 s[2:3], s[0:1], 0x30
	s_mov_b32 s34, s13
	s_waitcnt lgkmcnt(0)
	s_cmp_lg_u64 s[2:3], 0
	s_cselect_b32 s6, -1, 0
	s_ashr_i32 s35, s13, 31
	s_cmp_eq_u64 s[2:3], 0
	s_cbranch_scc1 .LBB334_3
; %bb.1:
	s_lshl_b64 s[4:5], s[34:35], 2
	s_delay_alu instid0(SALU_CYCLE_1) | instskip(SKIP_4) | instid1(SALU_CYCLE_1)
	s_add_u32 s4, s2, s4
	s_addc_u32 s5, s3, s5
	s_load_b64 s[4:5], s[4:5], 0x0
	s_waitcnt lgkmcnt(0)
	s_sub_i32 s4, s5, s4
	s_cmp_eq_u32 s4, 1
	s_cselect_b32 s4, -1, 0
	s_delay_alu instid0(SALU_CYCLE_1)
	s_and_not1_b32 vcc_lo, exec_lo, s4
	s_cbranch_vccz .LBB334_4
.LBB334_2:
	s_nop 0
	s_sendmsg sendmsg(MSG_DEALLOC_VGPRS)
	s_endpgm
.LBB334_3:
.LBB334_4:
	s_load_b64 s[8:9], s[0:1], 0x28
	s_lshl_b64 s[4:5], s[34:35], 2
	s_waitcnt lgkmcnt(0)
	s_add_u32 s8, s8, s4
	s_addc_u32 s9, s9, s5
	s_lshl_b32 s12, s14, 8
	s_load_b32 s17, s[8:9], 0x0
	s_waitcnt lgkmcnt(0)
	s_cmp_ge_i32 s12, s17
	s_cbranch_scc1 .LBB334_2
; %bb.5:
	s_and_not1_b32 vcc_lo, exec_lo, s6
	s_cbranch_vccnz .LBB334_7
; %bb.6:
	s_add_u32 s2, s2, s4
	s_addc_u32 s3, s3, s5
	s_load_b32 s13, s[2:3], 0x0
	s_branch .LBB334_8
.LBB334_7:
	s_mov_b32 s13, s34
.LBB334_8:
	s_clause 0x2
	s_load_b128 s[8:11], s[0:1], 0x8
	s_load_b64 s[2:3], s[0:1], 0x20
	s_load_b128 s[4:7], s[0:1], 0x48
	v_lshrrev_b32_e32 v78, 5, v0
	v_bfe_u32 v75, v0, 4, 1
	v_and_b32_e32 v77, 15, v0
	s_waitcnt lgkmcnt(0)
	s_mov_b32 s7, exec_lo
	s_delay_alu instid0(VALU_DEP_2) | instskip(NEXT) | instid1(VALU_DEP_2)
	v_lshl_or_b32 v3, v78, 1, v75
	v_lshlrev_b32_e32 v1, 3, v77
	s_delay_alu instid0(VALU_DEP_2)
	v_cmpx_lt_u32_e32 8, v3
	s_xor_b32 s7, exec_lo, s7
; %bb.9:
	v_mov_b32_e32 v2, 0
                                        ; implicit-def: $vgpr3
; %bb.10:
	s_or_saveexec_b32 s7, s7
	v_and_b32_e32 v80, 31, v0
	v_and_b32_e32 v76, 1, v0
	s_mul_i32 s31, s15, 9
	s_xor_b32 exec_lo, exec_lo, s7
	s_cbranch_execz .LBB334_12
; %bb.11:
	s_load_b64 s[18:19], s[0:1], 0x0
	v_add_lshl_u32 v4, v3, s31, 7
	s_mul_hi_i32 s21, s13, s4
	s_mul_i32 s20, s13, s4
	v_lshlrev_b32_e32 v2, 1, v1
	s_lshl_b64 s[20:21], s[20:21], 1
	v_ashrrev_i32_e32 v5, 31, v4
	v_lshlrev_b32_e32 v3, 6, v3
	v_lshlrev_b32_e32 v8, 10, v76
	s_delay_alu instid0(VALU_DEP_3) | instskip(SKIP_3) | instid1(VALU_DEP_1)
	v_lshlrev_b64 v[4:5], 1, v[4:5]
	s_waitcnt lgkmcnt(0)
	s_add_u32 s4, s18, s20
	s_addc_u32 s13, s19, s21
	v_add_co_u32 v4, vcc_lo, s4, v4
	s_delay_alu instid0(VALU_DEP_2) | instskip(NEXT) | instid1(VALU_DEP_2)
	v_add_co_ci_u32_e32 v5, vcc_lo, s13, v5, vcc_lo
	v_add_co_u32 v4, vcc_lo, v4, v2
	s_delay_alu instid0(VALU_DEP_2) | instskip(SKIP_3) | instid1(VALU_DEP_1)
	v_add_co_ci_u32_e32 v5, vcc_lo, 0, v5, vcc_lo
	v_lshlrev_b32_e32 v2, 10, v77
	global_load_b128 v[4:7], v[4:5], off
	v_and_b32_e32 v2, 0x3800, v2
	v_or3_b32 v3, v2, v8, v3
	v_mov_b32_e32 v2, 0
	s_waitcnt vmcnt(0)
	ds_store_b128 v3, v[4:7]
.LBB334_12:
	s_or_b32 exec_lo, exec_lo, s7
	v_and_b32_e32 v3, 0xef, v0
	s_add_i32 s4, s17, 31
	s_clause 0x1
	s_load_b32 s7, s[0:1], 0x38
	s_load_b32 s33, s[0:1], 0x98
	s_ashr_i32 s13, s4, 31
	v_add_nc_u32_e32 v3, s12, v3
	s_lshr_b32 s13, s13, 27
	s_load_b32 s18, s[0:1], 0x1c
	s_add_i32 s4, s4, s13
	s_waitcnt lgkmcnt(0)
	v_ashrrev_i32_e32 v4, 31, v3
	v_cmp_gt_i32_e32 vcc_lo, s17, v3
	s_ashr_i32 s4, s4, 5
	s_barrier
	s_add_i32 s4, s4, -1
	v_lshrrev_b32_e32 v5, 27, v4
	v_or_b32_e32 v4, 16, v3
	buffer_gl0_inv
	v_lshlrev_b64 v[73:74], 1, v[1:2]
	v_lshlrev_b32_e32 v79, 6, v77
	v_add_nc_u32_e32 v6, v3, v5
	v_add_nc_u32_e32 v5, v4, v5
	s_mul_i32 s20, s34, s7
	s_delay_alu instid0(SALU_CYCLE_1) | instskip(NEXT) | instid1(VALU_DEP_2)
	s_ashr_i32 s21, s20, 31
	v_ashrrev_i32_e32 v6, 5, v6
	s_delay_alu instid0(VALU_DEP_2) | instskip(SKIP_1) | instid1(SALU_CYCLE_1)
	v_ashrrev_i32_e32 v5, 5, v5
	s_lshl_b64 s[20:21], s[20:21], 2
	s_add_u32 s13, s2, s20
	s_delay_alu instid0(VALU_DEP_2) | instskip(SKIP_3) | instid1(SALU_CYCLE_1)
	v_cndmask_b32_e32 v3, s4, v6, vcc_lo
	v_cmp_gt_i32_e32 vcc_lo, s17, v4
	s_addc_u32 s16, s3, s21
	s_mul_i32 s2, s15, s6
	s_ashr_i32 s3, s2, 31
	v_cndmask_b32_e32 v5, s4, v5, vcc_lo
	v_ashrrev_i32_e32 v4, 31, v3
	s_lshl_b64 s[2:3], s[2:3], 1
	s_delay_alu instid0(SALU_CYCLE_1) | instskip(NEXT) | instid1(VALU_DEP_2)
	s_add_u32 s15, s8, s2
	v_ashrrev_i32_e32 v6, 31, v5
	s_delay_alu instid0(VALU_DEP_2) | instskip(SKIP_2) | instid1(VALU_DEP_2)
	v_lshlrev_b64 v[3:4], 2, v[3:4]
	s_addc_u32 s19, s9, s3
	s_lshl_b32 s6, s14, 3
	v_lshlrev_b64 v[5:6], 2, v[5:6]
	s_ashr_i32 s7, s6, 31
	s_delay_alu instid0(VALU_DEP_2) | instskip(SKIP_1) | instid1(VALU_DEP_3)
	v_add_co_u32 v3, vcc_lo, s13, v3
	v_add_co_ci_u32_e32 v4, vcc_lo, s16, v4, vcc_lo
	v_add_co_u32 v5, vcc_lo, s13, v5
	s_delay_alu instid0(VALU_DEP_4)
	v_add_co_ci_u32_e32 v6, vcc_lo, s16, v6, vcc_lo
	s_lshl_b64 s[6:7], s[6:7], 2
	s_clause 0x1
	global_load_b32 v7, v[3:4], off
	global_load_b32 v8, v[5:6], off
	s_add_u32 s6, s13, s6
	s_addc_u32 s7, s16, s7
	s_or_b32 s8, s12, 32
	s_delay_alu instid0(SALU_CYCLE_1) | instskip(SKIP_2) | instid1(SALU_CYCLE_1)
	s_ashr_i32 s9, s8, 5
	s_cmp_lt_i32 s8, s17
	s_cselect_b32 s8, s9, s4
	s_ashr_i32 s9, s8, 31
	s_delay_alu instid0(SALU_CYCLE_1) | instskip(NEXT) | instid1(SALU_CYCLE_1)
	s_lshl_b64 s[8:9], s[8:9], 2
	s_add_u32 s8, s13, s8
	s_addc_u32 s9, s16, s9
	s_or_b32 s20, s12, 64
	s_delay_alu instid0(SALU_CYCLE_1) | instskip(SKIP_2) | instid1(SALU_CYCLE_1)
	s_ashr_i32 s21, s20, 5
	s_cmp_lt_i32 s20, s17
	s_cselect_b32 s20, s21, s4
	s_ashr_i32 s21, s20, 31
	s_delay_alu instid0(SALU_CYCLE_1) | instskip(NEXT) | instid1(SALU_CYCLE_1)
	s_lshl_b64 s[20:21], s[20:21], 2
	;; [unrolled: 10-line block ×5, first 2 shown]
	s_add_u32 s26, s13, s26
	s_addc_u32 s27, s16, s27
	s_clause 0x5
	s_load_b32 s28, s[6:7], 0x0
	s_load_b32 s29, s[8:9], 0x0
	;; [unrolled: 1-line block ×6, first 2 shown]
	s_mov_b32 s20, 0
	s_or_b32 s6, s12, 0xc0
	s_mov_b32 s21, s20
	s_mov_b32 s22, s20
	;; [unrolled: 1-line block ×7, first 2 shown]
	s_ashr_i32 s7, s6, 5
	v_mov_b32_e32 v128, s27
	s_cmp_lt_i32 s6, s17
	v_mov_b32_e32 v127, s26
	s_cselect_b32 s6, s7, s4
	v_mov_b32_e32 v126, s25
	s_ashr_i32 s7, s6, 31
	v_mov_b32_e32 v125, s24
	s_lshl_b64 s[6:7], s[6:7], 2
	v_mov_b32_e32 v124, s23
	s_add_u32 s6, s13, s6
	s_addc_u32 s7, s16, s7
	v_mov_b32_e32 v123, s22
	v_mov_b32_e32 v121, s20
	s_waitcnt lgkmcnt(0)
	s_mul_hi_i32 s9, s28, s5
	s_mul_i32 s8, s28, s5
	s_mul_hi_i32 s37, s38, s5
	v_mov_b32_e32 v122, s21
	s_mul_hi_i32 s21, s29, s5
	s_mul_i32 s20, s29, s5
	s_mul_hi_i32 s25, s30, s5
	s_mul_i32 s24, s30, s5
	;; [unrolled: 2-line block ×3, first 2 shown]
	s_waitcnt vmcnt(1)
	v_mad_i64_i32 v[3:4], null, v7, s5, 0
	s_waitcnt vmcnt(0)
	v_mad_i64_i32 v[5:6], null, v8, s5, 0
	s_delay_alu instid0(VALU_DEP_2) | instskip(NEXT) | instid1(VALU_DEP_2)
	v_lshlrev_b64 v[3:4], 1, v[3:4]
	v_lshlrev_b64 v[1:2], 1, v[5:6]
	s_delay_alu instid0(VALU_DEP_2) | instskip(NEXT) | instid1(VALU_DEP_3)
	v_add_co_u32 v3, vcc_lo, s15, v3
	v_add_co_ci_u32_e32 v4, vcc_lo, s19, v4, vcc_lo
	s_delay_alu instid0(VALU_DEP_3) | instskip(NEXT) | instid1(VALU_DEP_4)
	v_add_co_u32 v1, vcc_lo, s15, v1
	v_add_co_ci_u32_e32 v2, vcc_lo, s19, v2, vcc_lo
	s_delay_alu instid0(VALU_DEP_4) | instskip(NEXT) | instid1(VALU_DEP_4)
	v_add_co_u32 v65, vcc_lo, v3, v73
	v_add_co_ci_u32_e32 v66, vcc_lo, v4, v74, vcc_lo
	s_delay_alu instid0(VALU_DEP_4) | instskip(NEXT) | instid1(VALU_DEP_4)
	v_add_co_u32 v67, vcc_lo, v1, v73
	v_add_co_ci_u32_e32 v68, vcc_lo, v2, v74, vcc_lo
	s_clause 0xf
	global_load_b128 v[1:4], v[65:66], off
	global_load_b128 v[5:8], v[65:66], off offset:512
	global_load_b128 v[9:12], v[67:68], off offset:256
	;; [unrolled: 1-line block ×15, first 2 shown]
	v_add_co_u32 v157, vcc_lo, 0x1000, v65
	v_add_co_ci_u32_e32 v158, vcc_lo, 0, v66, vcc_lo
	v_add_co_u32 v165, vcc_lo, 0x1000, v67
	v_add_co_ci_u32_e32 v166, vcc_lo, 0, v68, vcc_lo
	s_clause 0x7
	global_load_b128 v[81:84], v[157:158], off
	global_load_b128 v[85:88], v[157:158], off offset:512
	global_load_b128 v[89:92], v[165:166], off offset:256
	;; [unrolled: 1-line block ×7, first 2 shown]
	v_add_nc_u32_e32 v65, -9, v77
	v_cmp_gt_u32_e32 vcc_lo, 9, v77
	s_or_b32 s15, s12, 0xe0
	s_delay_alu instid0(SALU_CYCLE_1) | instskip(SKIP_3) | instid1(SALU_CYCLE_1)
	s_ashr_i32 s19, s15, 5
	s_cmp_lt_i32 s15, s17
	v_cndmask_b32_e32 v65, v65, v77, vcc_lo
	s_cselect_b32 s22, s19, s4
	s_ashr_i32 s23, s22, 31
	s_delay_alu instid0(VALU_DEP_1)
	v_lshlrev_b32_e32 v169, 6, v65
	ds_load_b128 v[65:68], v169
	ds_load_b128 v[69:72], v169 offset:1024
	s_clause 0x1
	global_load_b128 v[113:116], v[157:158], off offset:2048
	global_load_b128 v[117:120], v[157:158], off offset:2560
	ds_load_b128 v[129:132], v169 offset:2048
	ds_load_b128 v[133:136], v169 offset:3072
	s_clause 0x5
	global_load_b128 v[145:148], v[165:166], off offset:2304
	global_load_b128 v[149:152], v[165:166], off offset:2816
	;; [unrolled: 1-line block ×6, first 2 shown]
	s_lshl_b64 s[22:23], s[22:23], 2
	s_delay_alu instid0(SALU_CYCLE_1) | instskip(SKIP_2) | instid1(SALU_CYCLE_1)
	s_add_u32 s22, s13, s22
	s_addc_u32 s23, s16, s23
	s_add_i32 s15, s12, 0x100
	s_ashr_i32 s19, s15, 5
	s_cmp_lt_i32 s15, s17
	s_cselect_b32 s28, s19, s4
	s_delay_alu instid0(SALU_CYCLE_1) | instskip(NEXT) | instid1(SALU_CYCLE_1)
	s_ashr_i32 s29, s28, 31
	s_lshl_b64 s[28:29], s[28:29], 2
	s_delay_alu instid0(SALU_CYCLE_1)
	s_add_u32 s28, s13, s28
	s_addc_u32 s29, s16, s29
	s_add_u32 s4, s10, s2
	s_addc_u32 s19, s11, s3
	s_lshl_b64 s[2:3], s[8:9], 1
	s_lshl_b64 s[8:9], s[20:21], 1
	;; [unrolled: 1-line block ×4, first 2 shown]
	s_waitcnt vmcnt(30) lgkmcnt(2)
	v_wmma_f32_16x16x16_f16 v[137:144], v[1:8], v[65:72], v[121:128]
	ds_load_b128 v[1:4], v169 offset:4096
	ds_load_b128 v[5:8], v169 offset:5120
	s_waitcnt vmcnt(28)
	v_wmma_f32_16x16x16_f16 v[121:128], v[9:16], v[65:72], v[121:128]
	ds_load_b128 v[9:12], v169 offset:6144
	ds_load_b128 v[13:16], v169 offset:7168
	s_waitcnt vmcnt(26) lgkmcnt(4)
	v_wmma_f32_16x16x16_f16 v[137:144], v[17:24], v[129:136], v[137:144]
	ds_load_b128 v[17:20], v169 offset:8192
	ds_load_b128 v[21:24], v169 offset:9216
	s_waitcnt vmcnt(24)
	v_wmma_f32_16x16x16_f16 v[121:128], v[25:32], v[129:136], v[121:128]
	v_lshl_or_b32 v25, v78, 10, v79
	ds_load_b128 v[129:132], v169 offset:10240
	ds_load_b128 v[133:136], v169 offset:11264
	s_clause 0x2
	s_load_b32 s15, s[6:7], 0x0
	s_load_b32 s13, s[22:23], 0x0
	;; [unrolled: 1-line block ×3, first 2 shown]
	s_mul_hi_i32 s7, s36, s5
	v_add_co_u32 v170, s4, s4, v25
	s_delay_alu instid0(VALU_DEP_1)
	v_add_co_ci_u32_e64 v171, null, s19, 0, s4
	s_mul_i32 s6, s36, s5
	s_mul_i32 s36, s38, s5
	s_lshl_b64 s[6:7], s[6:7], 1
	s_lshl_b64 s[22:23], s[36:37], 1
	s_waitcnt vmcnt(22) lgkmcnt(0)
	v_wmma_f32_16x16x16_f16 v[137:144], v[33:40], v[1:8], v[137:144]
	s_waitcnt vmcnt(20)
	v_wmma_f32_16x16x16_f16 v[121:128], v[41:48], v[1:8], v[121:128]
	v_add_co_u32 v1, vcc_lo, v170, s2
	v_add_co_ci_u32_e32 v2, vcc_lo, s3, v171, vcc_lo
	v_add_co_u32 v3, vcc_lo, v170, s8
	v_add_co_ci_u32_e32 v4, vcc_lo, s9, v171, vcc_lo
	;; [unrolled: 2-line block ×4, first 2 shown]
	v_add_co_u32 v25, vcc_lo, v170, s6
	s_mul_hi_i32 s25, s15, s5
	s_mul_i32 s24, s15, s5
	v_add_co_ci_u32_e32 v26, vcc_lo, s7, v171, vcc_lo
	v_add_co_u32 v27, vcc_lo, v170, s22
	s_lshl_b64 s[24:25], s[24:25], 1
	s_waitcnt vmcnt(18)
	v_wmma_f32_16x16x16_f16 v[137:144], v[49:56], v[9:16], v[137:144]
	s_waitcnt vmcnt(16)
	v_wmma_f32_16x16x16_f16 v[121:128], v[57:64], v[9:16], v[121:128]
	v_add_co_ci_u32_e32 v28, vcc_lo, s23, v171, vcc_lo
	s_mul_hi_i32 s3, s13, s5
	s_mul_i32 s2, s13, s5
	v_add_co_u32 v29, vcc_lo, v170, s24
	s_lshl_b64 s[2:3], s[2:3], 1
	v_add_co_ci_u32_e32 v30, vcc_lo, s25, v171, vcc_lo
	s_waitcnt vmcnt(14)
	v_wmma_f32_16x16x16_f16 v[137:144], v[81:88], v[17:24], v[137:144]
	s_waitcnt vmcnt(12)
	v_wmma_f32_16x16x16_f16 v[121:128], v[89:96], v[17:24], v[121:128]
	v_add_co_u32 v17, vcc_lo, v170, s2
	v_add_co_ci_u32_e32 v18, vcc_lo, s3, v171, vcc_lo
	s_mul_hi_i32 s3, s16, s5
	s_mul_i32 s2, s16, s5
	s_clause 0x5
	global_load_b128 v[65:68], v[1:2], off
	global_load_b128 v[69:72], v[1:2], off offset:16
	global_load_b128 v[57:60], v[3:4], off
	global_load_b128 v[61:64], v[3:4], off offset:16
	;; [unrolled: 2-line block ×3, first 2 shown]
	s_lshl_b64 s[2:3], s[2:3], 1
	s_clause 0x1
	global_load_b128 v[41:44], v[7:8], off
	global_load_b128 v[45:48], v[7:8], off offset:16
	v_add_co_u32 v21, vcc_lo, v170, s2
	v_add_co_ci_u32_e32 v22, vcc_lo, s3, v171, vcc_lo
	s_clause 0x9
	global_load_b128 v[9:12], v[25:26], off
	global_load_b128 v[13:16], v[25:26], off offset:16
	global_load_b128 v[1:4], v[27:28], off
	global_load_b128 v[5:8], v[27:28], off offset:16
	;; [unrolled: 2-line block ×5, first 2 shown]
	ds_load_b128 v[81:84], v169 offset:12288
	ds_load_b128 v[85:88], v169 offset:13312
	v_and_b32_e32 v89, 0xe0, v0
	s_waitcnt vmcnt(28)
	v_wmma_f32_16x16x16_f16 v[137:144], v[97:104], v[129:136], v[137:144]
	v_mbcnt_lo_u32_b32 v97, -1, 0
	s_waitcnt vmcnt(26)
	v_wmma_f32_16x16x16_f16 v[121:128], v[105:112], v[129:136], v[121:128]
	v_add_nc_u32_e32 v98, s12, v89
	ds_load_b128 v[89:92], v169 offset:14336
	ds_load_b128 v[93:96], v169 offset:15360
	v_xor_b32_e32 v99, 16, v97
	s_waitcnt vmcnt(0) lgkmcnt(0)
	s_barrier
	v_or_b32_e32 v98, v98, v75
	buffer_gl0_inv
	v_cmp_gt_i32_e32 vcc_lo, 32, v99
	v_or_b32_e32 v100, 4, v98
	v_or_b32_e32 v101, 22, v98
	;; [unrolled: 1-line block ×4, first 2 shown]
	v_wmma_f32_16x16x16_f16 v[137:144], v[113:120], v[81:88], v[137:144]
	v_wmma_f32_16x16x16_f16 v[121:128], v[145:152], v[81:88], v[121:128]
	v_or_b32_e32 v81, 6, v98
	v_or_b32_e32 v82, 8, v98
	;; [unrolled: 1-line block ×3, first 2 shown]
	v_cmp_gt_i32_e64 s3, s17, v100
	v_or_b32_e32 v84, 12, v98
	v_wmma_f32_16x16x16_f16 v[137:144], v[153:160], v[89:96], v[137:144]
	v_wmma_f32_16x16x16_f16 v[121:128], v[161:168], v[89:96], v[121:128]
	v_cndmask_b32_e32 v97, v97, v99, vcc_lo
	v_or_b32_e32 v99, 2, v98
	v_cmp_gt_i32_e32 vcc_lo, s17, v98
	v_dual_mul_f32 v95, s18, v138 :: v_dual_mul_f32 v96, s18, v137
	v_mul_f32_e32 v93, s18, v140
	s_delay_alu instid0(VALU_DEP_4)
	v_cmp_gt_i32_e64 s2, s17, v99
	v_mul_f32_e32 v94, s18, v139
	v_mul_f32_e32 v110, s18, v124
	v_cndmask_b32_e32 v96, 0xff7fffff, v96, vcc_lo
	v_cmp_gt_i32_e64 s4, s17, v81
	v_cndmask_b32_e64 v95, 0xff7fffff, v95, s2
	v_or_b32_e32 v85, 14, v98
	v_dual_mul_f32 v91, s18, v142 :: v_dual_mul_f32 v92, s18, v141
	v_cndmask_b32_e64 v94, 0xff7fffff, v94, s3
	v_cndmask_b32_e64 v81, 0xff7fffff, v93, s4
	v_max3_f32 v93, v96, 0xff7fffff, v95
	v_cmp_gt_i32_e64 s5, s17, v82
	v_cmp_gt_i32_e64 s6, s17, v83
	v_or_b32_e32 v86, 16, v98
	v_or_b32_e32 v87, 18, v98
	v_dual_mul_f32 v89, s18, v144 :: v_dual_mul_f32 v112, s18, v122
	v_mul_f32_e32 v90, s18, v143
	v_cndmask_b32_e64 v82, 0xff7fffff, v92, s5
	v_cndmask_b32_e64 v83, 0xff7fffff, v91, s6
	v_max3_f32 v81, v93, v94, v81
	v_cmp_gt_i32_e64 s7, s17, v84
	v_cmp_gt_i32_e64 s8, s17, v85
	v_or_b32_e32 v88, 20, v98
	v_mul_f32_e32 v113, s18, v121
	v_max3_f32 v81, v81, v82, v83
	v_cndmask_b32_e64 v84, 0xff7fffff, v90, s7
	v_cndmask_b32_e64 v85, 0xff7fffff, v89, s8
	v_cmp_gt_i32_e64 s9, s17, v86
	v_cmp_gt_i32_e64 s10, s17, v87
	v_mul_f32_e32 v111, s18, v123
	v_cmp_gt_i32_e64 s11, s17, v88
	v_max3_f32 v81, v81, v84, v85
	v_cndmask_b32_e64 v82, 0xff7fffff, v113, s9
	v_cndmask_b32_e64 v83, 0xff7fffff, v112, s10
	v_cmp_gt_i32_e64 s12, s17, v101
	v_or_b32_e32 v104, 28, v98
	v_or_b32_e32 v105, 30, v98
	v_dual_mul_f32 v108, s18, v126 :: v_dual_mul_f32 v109, s18, v125
	v_cndmask_b32_e64 v84, 0xff7fffff, v111, s11
	v_cndmask_b32_e64 v85, 0xff7fffff, v110, s12
	v_max3_f32 v81, v81, v82, v83
	v_cmp_gt_i32_e64 s13, s17, v102
	v_cmp_gt_i32_e64 s15, s17, v103
	v_dual_mul_f32 v106, s18, v128 :: v_dual_mul_f32 v107, s18, v127
	s_delay_alu instid0(VALU_DEP_4) | instskip(NEXT) | instid1(VALU_DEP_4)
	v_max3_f32 v81, v81, v84, v85
	v_cndmask_b32_e64 v82, 0xff7fffff, v109, s13
	s_delay_alu instid0(VALU_DEP_4) | instskip(SKIP_2) | instid1(VALU_DEP_3)
	v_cndmask_b32_e64 v83, 0xff7fffff, v108, s15
	v_cmp_gt_i32_e64 s16, s17, v104
	v_cmp_gt_i32_e64 s17, s17, v105
	v_max3_f32 v81, v81, v82, v83
	s_delay_alu instid0(VALU_DEP_3) | instskip(NEXT) | instid1(VALU_DEP_3)
	v_cndmask_b32_e64 v84, 0xff7fffff, v107, s16
	v_cndmask_b32_e64 v85, 0xff7fffff, v106, s17
	v_lshlrev_b32_e32 v83, 2, v97
	s_delay_alu instid0(VALU_DEP_2) | instskip(SKIP_3) | instid1(VALU_DEP_1)
	v_max3_f32 v81, v81, v84, v85
	ds_bpermute_b32 v82, v83, v81
	s_waitcnt lgkmcnt(0)
	v_max_f32_e32 v82, v82, v82
	v_max_f32_e32 v81, v81, v82
	s_delay_alu instid0(VALU_DEP_1)
	v_fma_f32 v82, s18, v137, -v81
	v_fma_f32 v84, s18, v138, -v81
	;; [unrolled: 1-line block ×5, first 2 shown]
	v_mul_f32_e32 v82, 0x3fb8aa3b, v82
	s_delay_alu instid0(VALU_DEP_4) | instskip(NEXT) | instid1(VALU_DEP_3)
	v_dual_mul_f32 v84, 0x3fb8aa3b, v84 :: v_dual_mul_f32 v85, 0x3fb8aa3b, v85
	v_dual_mul_f32 v86, 0x3fb8aa3b, v86 :: v_dual_mul_f32 v89, 0x3fb8aa3b, v87
	s_delay_alu instid0(VALU_DEP_3) | instskip(NEXT) | instid1(VALU_DEP_2)
	v_exp_f32_e32 v82, v82
	v_exp_f32_e32 v84, v84
	s_delay_alu instid0(VALU_DEP_2) | instskip(NEXT) | instid1(VALU_DEP_1)
	v_exp_f32_e32 v85, v85
	v_exp_f32_e32 v86, v86
	;; [unrolled: 1-line block ×3, first 2 shown]
	v_cndmask_b32_e32 v88, 0, v82, vcc_lo
	v_cndmask_b32_e64 v87, 0, v84, s2
	s_delay_alu instid0(TRANS32_DEP_3)
	v_cndmask_b32_e64 v90, 0, v85, s3
	s_waitcnt_depctr 0xfff
	v_cndmask_b32_e64 v89, 0, v86, s4
	v_cndmask_b32_e64 v92, 0, v92, s5
	v_add_f32_e32 v84, 0, v88
	v_cmp_gt_u32_e64 s2, 16, v80
	s_delay_alu instid0(VALU_DEP_2) | instskip(NEXT) | instid1(VALU_DEP_1)
	v_add_f32_e32 v84, v84, v87
	v_add_f32_e32 v84, v84, v90
	s_delay_alu instid0(VALU_DEP_1)
	v_add_f32_e32 v84, v84, v89
	v_fma_f32 v82, s18, v142, -v81
	v_fma_f32 v91, s18, v143, -v81
	;; [unrolled: 1-line block ×5, first 2 shown]
	s_delay_alu instid0(VALU_DEP_4) | instskip(SKIP_1) | instid1(VALU_DEP_4)
	v_dual_mul_f32 v82, 0x3fb8aa3b, v82 :: v_dual_mul_f32 v91, 0x3fb8aa3b, v91
	v_fma_f32 v96, s18, v124, -v81
	v_mul_f32_e32 v86, 0x3fb8aa3b, v86
	s_delay_alu instid0(VALU_DEP_4) | instskip(NEXT) | instid1(VALU_DEP_4)
	v_mul_f32_e32 v95, 0x3fb8aa3b, v94
	v_exp_f32_e32 v82, v82
	v_exp_f32_e32 v93, v91
	v_mul_f32_e32 v97, 0x3fb8aa3b, v96
	v_exp_f32_e32 v86, v86
	v_fma_f32 v99, s18, v127, -v81
	s_delay_alu instid0(VALU_DEP_2) | instskip(SKIP_2) | instid1(TRANS32_DEP_3)
	v_exp_f32_e32 v97, v97
	v_cndmask_b32_e64 v91, 0, v82, s6
	v_dual_add_f32 v82, v84, v92 :: v_dual_mul_f32 v85, 0x3fb8aa3b, v85
	v_cndmask_b32_e64 v94, 0, v93, s7
	v_fma_f32 v84, s18, v123, -v81
	s_delay_alu instid0(TRANS32_DEP_2) | instskip(NEXT) | instid1(VALU_DEP_4)
	v_cndmask_b32_e64 v96, 0, v86, s9
	v_add_f32_e32 v82, v82, v91
	v_exp_f32_e32 v85, v85
	v_fma_f32 v86, s18, v126, -v81
	v_mul_f32_e32 v84, 0x3fb8aa3b, v84
	v_cndmask_b32_e64 v97, 0, v97, s12
	v_add_f32_e32 v82, v82, v94
	s_delay_alu instid0(VALU_DEP_3) | instskip(SKIP_3) | instid1(VALU_DEP_2)
	v_exp_f32_e32 v84, v84
	s_waitcnt_depctr 0xfff
	v_cndmask_b32_e64 v93, 0, v85, s8
	v_fma_f32 v85, s18, v125, -v81
	v_add_f32_e32 v82, v82, v93
	v_exp_f32_e32 v95, v95
	s_delay_alu instid0(VALU_DEP_2)
	v_mul_f32_e32 v85, 0x3fb8aa3b, v85
	v_cndmask_b32_e64 v98, 0, v84, s11
	v_mul_f32_e32 v84, 0x3fb8aa3b, v99
	v_add_f32_e32 v82, v82, v96
	v_fma_f32 v99, s18, v128, -v81
	v_exp_f32_e32 v85, v85
	v_mul_f32_e32 v86, 0x3fb8aa3b, v86
	v_exp_f32_e32 v84, v84
	s_delay_alu instid0(TRANS32_DEP_3) | instskip(NEXT) | instid1(VALU_DEP_1)
	v_cndmask_b32_e64 v95, 0, v95, s10
	v_add_f32_e32 v82, v82, v95
	s_waitcnt_depctr 0xfff
	v_cndmask_b32_e64 v100, 0, v85, s13
	v_mul_f32_e32 v85, 0x3fb8aa3b, v99
	v_exp_f32_e32 v86, v86
	v_cndmask_b32_e64 v102, 0, v84, s16
	v_add_f32_e32 v82, v82, v98
	s_delay_alu instid0(VALU_DEP_3) | instskip(NEXT) | instid1(VALU_DEP_1)
	v_exp_f32_e32 v85, v85
	v_add_f32_e32 v82, v82, v97
	s_waitcnt_depctr 0xfff
	v_cndmask_b32_e64 v99, 0, v86, s15
	v_add_f32_e32 v82, v82, v100
	v_cndmask_b32_e64 v101, 0, v85, s17
	s_delay_alu instid0(VALU_DEP_2) | instskip(NEXT) | instid1(VALU_DEP_1)
	v_add_f32_e32 v82, v82, v99
	v_add_f32_e32 v82, v82, v102
	s_delay_alu instid0(VALU_DEP_1)
	v_add_f32_e32 v82, v82, v101
	ds_bpermute_b32 v83, v83, v82
	s_and_saveexec_b32 s3, s2
	s_cbranch_execz .LBB334_14
; %bb.13:
	v_mul_u32_u24_e32 v80, 0x44, v78
	s_waitcnt lgkmcnt(0)
	v_add_f32_e32 v82, v82, v83
	s_delay_alu instid0(VALU_DEP_2) | instskip(NEXT) | instid1(VALU_DEP_1)
	v_lshl_add_u32 v80, v77, 2, v80
	v_add_nc_u32_e32 v80, 0x4000, v80
	ds_store_2addr_b32 v80, v81, v82 offset1:136
.LBB334_14:
	s_or_b32 exec_lo, exec_lo, s3
	v_lshlrev_b32_e32 v80, 2, v77
	s_load_b32 s35, s[0:1], 0x94
	s_waitcnt lgkmcnt(0)
	s_barrier
	buffer_gl0_inv
	v_add_nc_u32_e32 v84, 0x4000, v80
	v_cmp_eq_u32_e32 vcc_lo, 1, v78
	v_cmp_eq_u32_e64 s3, 2, v78
	v_cmp_eq_u32_e64 s4, 3, v78
	;; [unrolled: 1-line block ×3, first 2 shown]
	ds_load_2addr_b32 v[80:81], v84 offset1:17
	ds_load_2addr_b32 v[82:83], v84 offset0:34 offset1:51
	ds_load_2addr_b32 v[103:104], v84 offset0:68 offset1:85
	ds_load_2addr_b32 v[105:106], v84 offset0:102 offset1:119
	v_cmp_eq_u32_e64 s6, 7, v78
	s_waitcnt lgkmcnt(3)
	v_max3_f32 v85, v80, 0xff7fffff, v81
	s_waitcnt lgkmcnt(2)
	s_delay_alu instid0(VALU_DEP_1) | instskip(SKIP_1) | instid1(VALU_DEP_1)
	v_max3_f32 v85, v85, v82, v83
	s_waitcnt lgkmcnt(1)
	v_max3_f32 v85, v85, v103, v104
	s_waitcnt lgkmcnt(0)
	s_delay_alu instid0(VALU_DEP_1) | instskip(NEXT) | instid1(VALU_DEP_1)
	v_max3_f32 v85, v85, v105, v106
	v_sub_f32_e32 v103, v103, v85
	ds_load_2addr_b32 v[107:108], v84 offset0:136 offset1:153
	v_sub_f32_e32 v80, v80, v85
	v_dual_sub_f32 v110, v83, v85 :: v_dual_mul_f32 v113, 0x3fb8aa3b, v103
	s_delay_alu instid0(VALU_DEP_2) | instskip(SKIP_3) | instid1(VALU_DEP_1)
	v_dual_sub_f32 v86, v81, v85 :: v_dual_mul_f32 v109, 0x3fb8aa3b, v80
	ds_load_2addr_b32 v[80:81], v84 offset0:170 offset1:187
	v_mul_f32_e32 v86, 0x3fb8aa3b, v86
	v_exp_f32_e32 v109, v109
	v_exp_f32_e32 v112, v86
	v_mul_f32_e32 v110, 0x3fb8aa3b, v110
	s_waitcnt lgkmcnt(1)
	s_waitcnt_depctr 0xfff
	v_fma_f32 v86, v109, v107, 0
	v_sub_f32_e32 v107, v104, v85
	v_sub_f32_e32 v82, v82, v85
	v_exp_f32_e32 v110, v110
	ds_load_2addr_b32 v[103:104], v84 offset0:238 offset1:255
	v_dual_fmac_f32 v86, v112, v108 :: v_dual_mul_f32 v111, 0x3fb8aa3b, v82
	ds_load_2addr_b32 v[82:83], v84 offset0:204 offset1:221
	v_dual_sub_f32 v84, v105, v85 :: v_dual_mul_f32 v105, 0x3fb8aa3b, v107
	v_exp_f32_e32 v107, v113
	v_exp_f32_e32 v111, v111
	s_waitcnt lgkmcnt(0)
	s_delay_alu instid0(VALU_DEP_1)
	v_mul_f32_e32 v84, 0x3fb8aa3b, v84
	v_exp_f32_e32 v105, v105
	s_barrier
	buffer_gl0_inv
	v_fmac_f32_e32 v86, v111, v80
	v_sub_f32_e32 v80, v106, v85
	v_exp_f32_e32 v106, v84
	s_delay_alu instid0(VALU_DEP_2) | instskip(NEXT) | instid1(VALU_DEP_2)
	v_fmac_f32_e32 v86, v110, v81
	v_mul_f32_e32 v80, 0x3fb8aa3b, v80
	s_delay_alu instid0(VALU_DEP_2) | instskip(NEXT) | instid1(VALU_DEP_2)
	v_dual_cndmask_b32 v81, v109, v112 :: v_dual_fmac_f32 v86, v107, v82
	v_exp_f32_e32 v108, v80
	s_delay_alu instid0(VALU_DEP_1) | instskip(SKIP_2) | instid1(VALU_DEP_1)
	v_fmac_f32_e32 v86, v105, v83
	s_waitcnt_depctr 0xfff
	v_fmac_f32_e32 v86, v106, v103
	v_fmac_f32_e32 v86, v108, v104
	s_delay_alu instid0(VALU_DEP_1) | instskip(NEXT) | instid1(VALU_DEP_1)
	v_add_f32_e32 v103, 0x358637bd, v86
	v_div_scale_f32 v104, null, v103, v103, 1.0
	v_div_scale_f32 v109, vcc_lo, 1.0, v103, 1.0
	s_delay_alu instid0(VALU_DEP_2) | instskip(SKIP_2) | instid1(VALU_DEP_1)
	v_rcp_f32_e32 v113, v104
	s_waitcnt_depctr 0xfff
	v_fma_f32 v80, -v104, v113, 1.0
	v_fmac_f32_e32 v113, v80, v113
	v_cndmask_b32_e64 v80, v81, v111, s3
	v_cmp_eq_u32_e64 s3, 4, v78
	v_lshl_or_b32 v81, v78, 11, v79
	s_delay_alu instid0(VALU_DEP_4) | instskip(NEXT) | instid1(VALU_DEP_4)
	v_mul_f32_e32 v111, v109, v113
	v_cndmask_b32_e64 v82, v80, v110, s4
	v_cmp_eq_u32_e64 s4, 6, v78
	s_delay_alu instid0(VALU_DEP_4) | instskip(SKIP_3) | instid1(VALU_DEP_3)
	v_lshl_or_b32 v78, v75, 4, v81
	v_lshlrev_b32_e32 v80, 2, v75
	v_fma_f32 v83, -v104, v111, v109
	v_cndmask_b32_e64 v84, v82, v107, s3
	v_or_b32_e32 v82, 1, v80
	s_delay_alu instid0(VALU_DEP_3) | instskip(NEXT) | instid1(VALU_DEP_3)
	v_fmac_f32_e32 v111, v83, v113
	v_cndmask_b32_e64 v105, v84, v105, s5
	v_or_b32_e32 v84, 2, v80
	v_or_b32_e32 v83, 3, v80
	v_cmp_eq_u32_e64 s3, 1, v80
	v_fma_f32 v104, -v104, v111, v109
	v_cndmask_b32_e64 v105, v105, v106, s4
	v_cmp_eq_u32_e64 s9, 1, v82
	v_cmp_eq_u32_e64 s10, 1, v84
	;; [unrolled: 1-line block ×3, first 2 shown]
	v_div_fmas_f32 v104, v104, v113, v111
	v_cndmask_b32_e64 v105, v105, v108, s6
	v_cmp_eq_u32_e32 vcc_lo, 2, v80
	v_cmp_eq_u32_e64 s12, 2, v82
	v_cmp_eq_u32_e64 s15, 2, v84
	v_div_fixup_f32 v103, v104, v103, 1.0
	v_cmp_eq_u32_e64 s16, 2, v83
	v_cmp_eq_u32_e64 s18, 3, v83
	;; [unrolled: 1-line block ×4, first 2 shown]
	v_mul_f32_e32 v111, v105, v103
	v_cmp_eq_u32_e64 s17, 3, v84
	v_cmp_eq_u32_e64 s22, 4, v83
	;; [unrolled: 1-line block ×4, first 2 shown]
	v_fma_mixlo_f16 v103, v111, v88, 0
	v_fma_mixlo_f16 v104, v111, v90, 0
	;; [unrolled: 1-line block ×8, first 2 shown]
	v_fma_mixhi_f16 v103, v111, v87, 0
	v_fma_mixhi_f16 v104, v111, v89, 0
	;; [unrolled: 1-line block ×8, first 2 shown]
	ds_store_b128 v78, v[103:106]
	ds_store_b128 v78, v[107:110] offset:1024
	s_waitcnt lgkmcnt(0)
	s_barrier
	buffer_gl0_inv
	ds_load_b128 v[87:90], v81
	ds_load_b128 v[91:94], v81 offset:16
	ds_load_b128 v[95:98], v81 offset:1024
	;; [unrolled: 1-line block ×3, first 2 shown]
	v_cmp_eq_u32_e64 s21, 4, v84
	v_cmp_eq_u32_e64 s24, 5, v83
	;; [unrolled: 1-line block ×13, first 2 shown]
	s_waitcnt lgkmcnt(3)
	v_lshrrev_b32_e32 v103, 16, v87
	s_waitcnt lgkmcnt(2)
	v_lshrrev_b32_e32 v107, 16, v91
	;; [unrolled: 2-line block ×4, first 2 shown]
	v_lshrrev_b32_e32 v104, 16, v88
	v_cndmask_b32_e64 v119, v87, v103, s3
	v_cndmask_b32_e64 v120, v91, v107, s3
	;; [unrolled: 1-line block ×8, first 2 shown]
	v_lshrrev_b32_e32 v108, 16, v92
	v_cndmask_b32_e64 v103, v95, v111, s3
	v_cndmask_b32_e64 v107, v99, v115, s3
	;; [unrolled: 1-line block ×5, first 2 shown]
	v_cndmask_b32_e32 v111, v119, v88, vcc_lo
	v_cndmask_b32_e64 v119, v121, v88, s12
	v_cndmask_b32_e64 v121, v123, v88, s15
	;; [unrolled: 1-line block ×4, first 2 shown]
	v_lshrrev_b32_e32 v112, 16, v96
	v_lshrrev_b32_e32 v116, 16, v100
	v_cndmask_b32_e64 v126, v99, v115, s9
	v_cndmask_b32_e64 v128, v99, v115, s10
	;; [unrolled: 1-line block ×3, first 2 shown]
	v_cndmask_b32_e32 v115, v120, v92, vcc_lo
	v_cndmask_b32_e64 v120, v122, v92, s12
	v_cndmask_b32_e64 v122, v124, v92, s15
	v_cndmask_b32_e32 v91, v103, v96, vcc_lo
	v_cndmask_b32_e32 v92, v107, v100, vcc_lo
	v_cndmask_b32_e64 v103, v125, v96, s12
	v_cndmask_b32_e64 v87, v87, v104, s18
	;; [unrolled: 1-line block ×3, first 2 shown]
	v_lshrrev_b32_e32 v105, 16, v89
	v_lshrrev_b32_e32 v109, 16, v93
	v_cndmask_b32_e64 v107, v127, v96, s15
	v_cndmask_b32_e64 v95, v95, v96, s16
	;; [unrolled: 1-line block ×14, first 2 shown]
	v_lshrrev_b32_e32 v113, 16, v97
	v_cndmask_b32_e64 v99, v99, v89, s5
	v_cndmask_b32_e64 v104, v111, v93, s5
	;; [unrolled: 1-line block ×11, first 2 shown]
	v_lshrrev_b32_e32 v106, 16, v90
	v_lshrrev_b32_e32 v110, 16, v94
	v_cndmask_b32_e64 v93, v99, v105, s6
	v_cndmask_b32_e64 v99, v104, v109, s6
	;; [unrolled: 1-line block ×9, first 2 shown]
	v_lshrrev_b32_e32 v114, 16, v98
	v_cndmask_b32_e64 v89, v89, v113, s6
	v_cndmask_b32_e64 v93, v93, v90, s7
	;; [unrolled: 1-line block ×19, first 2 shown]
	v_perm_b32 v90, v88, v87, 0x5040100
	v_cndmask_b32_e64 v87, v126, v100, s12
	v_cndmask_b32_e64 v105, v89, v114, s8
	v_perm_b32 v89, v103, v99, 0x5040100
	v_perm_b32 v88, v104, v94, 0x5040100
	v_cndmask_b32_e64 v94, v107, v112, s17
	v_cndmask_b32_e64 v95, v95, v112, s18
	;; [unrolled: 1-line block ×5, first 2 shown]
	v_lshrrev_b32_e32 v117, 16, v101
	v_cndmask_b32_e64 v94, v94, v97, s21
	v_cndmask_b32_e64 v95, v95, v97, s22
	;; [unrolled: 1-line block ×11, first 2 shown]
	v_lshrrev_b32_e32 v118, 16, v102
	v_cndmask_b32_e64 v91, v91, v102, s7
	v_cndmask_b32_e64 v94, v94, v98, s26
	;; [unrolled: 1-line block ×12, first 2 shown]
	v_perm_b32 v87, v93, v92, 0x5040100
	v_perm_b32 v94, v95, v94, 0x5040100
	;; [unrolled: 1-line block ×5, first 2 shown]
	s_mul_i32 s7, s33, 9
	s_mov_b32 s3, exec_lo
	ds_store_b128 v78, v[87:90]
	ds_store_b128 v78, v[91:94] offset:1024
	v_cmpx_gt_u32_e32 9, v0
	s_cbranch_execz .LBB334_16
; %bb.15:
	s_mul_i32 s4, s7, s34
	s_load_b128 s[8:11], s[0:1], 0x58
	v_add3_u32 v77, s4, s31, v77
	s_delay_alu instid0(VALU_DEP_1) | instskip(NEXT) | instid1(VALU_DEP_1)
	v_mad_u64_u32 v[87:88], null, v77, s35, s[14:15]
	v_ashrrev_i32_e32 v88, 31, v87
	s_delay_alu instid0(VALU_DEP_1) | instskip(SKIP_1) | instid1(VALU_DEP_1)
	v_lshlrev_b64 v[87:88], 2, v[87:88]
	s_waitcnt lgkmcnt(0)
	v_add_co_u32 v89, vcc_lo, s10, v87
	s_delay_alu instid0(VALU_DEP_2)
	v_add_co_ci_u32_e32 v90, vcc_lo, s11, v88, vcc_lo
	v_add_co_u32 v87, vcc_lo, s8, v87
	v_add_co_ci_u32_e32 v88, vcc_lo, s9, v88, vcc_lo
	global_store_b32 v[89:90], v85, off
	global_store_b32 v[87:88], v86, off
.LBB334_16:
	s_or_b32 exec_lo, exec_lo, s3
	s_waitcnt lgkmcnt(0)
	s_waitcnt_vscnt null, 0x0
	s_barrier
	buffer_gl0_inv
	ds_load_b128 v[93:96], v79
	ds_load_b128 v[97:100], v79 offset:16
	ds_load_b128 v[105:108], v79 offset:1040
	;; [unrolled: 1-line block ×5, first 2 shown]
	v_cmp_eq_u32_e32 vcc_lo, 1, v84
	v_mov_b32_e32 v85, 0
	ds_load_b128 v[121:124], v79 offset:3088
	ds_load_b128 v[117:120], v79 offset:3072
	;; [unrolled: 1-line block ×4, first 2 shown]
	v_cmp_eq_u32_e64 s3, 1, v80
	v_cmp_eq_u32_e64 s4, 1, v83
	;; [unrolled: 1-line block ×3, first 2 shown]
	v_mov_b32_e32 v86, v85
	v_mov_b32_e32 v87, v85
	;; [unrolled: 1-line block ×7, first 2 shown]
	v_cmp_eq_u32_e64 s6, 2, v80
	s_waitcnt lgkmcnt(8)
	s_delay_alu instid0(VALU_DEP_2)
	v_wmma_f32_16x16x16_f16 v[85:92], v[65:72], v[93:100], v[85:92]
	ds_load_b128 v[69:72], v79 offset:5136
	ds_load_b128 v[65:68], v79 offset:5120
	;; [unrolled: 1-line block ×4, first 2 shown]
	s_waitcnt lgkmcnt(10)
	v_wmma_f32_16x16x16_f16 v[85:92], v[57:64], v[101:108], v[85:92]
	s_waitcnt lgkmcnt(8)
	s_delay_alu instid0(VALU_DEP_1)
	v_wmma_f32_16x16x16_f16 v[85:92], v[57:64], v[109:116], v[85:92]
	ds_load_b128 v[61:64], v79 offset:7184
	ds_load_b128 v[57:60], v79 offset:7168
	;; [unrolled: 1-line block ×4, first 2 shown]
	s_waitcnt lgkmcnt(10)
	v_wmma_f32_16x16x16_f16 v[85:92], v[49:56], v[117:124], v[85:92]
	s_waitcnt lgkmcnt(8)
	s_delay_alu instid0(VALU_DEP_1)
	v_wmma_f32_16x16x16_f16 v[85:92], v[49:56], v[125:132], v[85:92]
	ds_load_b128 v[53:56], v79 offset:9232
	ds_load_b128 v[49:52], v79 offset:9216
	s_waitcnt lgkmcnt(8)
	v_wmma_f32_16x16x16_f16 v[85:92], v[41:48], v[65:72], v[85:92]
	ds_load_b128 v[69:72], v79 offset:10256
	ds_load_b128 v[65:68], v79 offset:10240
	s_waitcnt lgkmcnt(8)
	;; [unrolled: 4-line block ×7, first 2 shown]
	s_barrier
	buffer_gl0_inv
	v_wmma_f32_16x16x16_f16 v[85:92], v[33:40], v[41:48], v[85:92]
	s_delay_alu instid0(VALU_DEP_1) | instskip(NEXT) | instid1(VALU_DEP_1)
	v_wmma_f32_16x16x16_f16 v[85:92], v[33:40], v[57:64], v[85:92]
	v_wmma_f32_16x16x16_f16 v[85:92], v[25:32], v[9:16], v[85:92]
	s_delay_alu instid0(VALU_DEP_1) | instskip(NEXT) | instid1(VALU_DEP_1)
	v_wmma_f32_16x16x16_f16 v[85:92], v[25:32], v[49:56], v[85:92]
	v_wmma_f32_16x16x16_f16 v[85:92], v[17:24], v[1:8], v[85:92]
	s_delay_alu instid0(VALU_DEP_1) | instskip(NEXT) | instid1(VALU_DEP_2)
	v_cvt_f16_f32_e32 v1, v85
	v_cvt_f16_f32_e32 v2, v86
	s_delay_alu instid0(VALU_DEP_3) | instskip(NEXT) | instid1(VALU_DEP_4)
	v_cvt_f16_f32_e32 v3, v87
	v_cvt_f16_f32_e32 v4, v88
	;; [unrolled: 1-line block ×6, first 2 shown]
	v_pack_b32_f16 v1, v1, v2
	v_pack_b32_f16 v2, v3, v4
	;; [unrolled: 1-line block ×3, first 2 shown]
	s_delay_alu instid0(VALU_DEP_4)
	v_pack_b32_f16 v4, v7, v8
	ds_store_b128 v78, v[1:4]
	s_waitcnt lgkmcnt(0)
	s_barrier
	buffer_gl0_inv
	ds_load_b128 v[1:4], v81
	ds_load_b128 v[5:8], v81 offset:16
	s_waitcnt lgkmcnt(1)
	v_lshrrev_b32_e32 v9, 16, v1
	s_waitcnt lgkmcnt(0)
	v_lshrrev_b32_e32 v13, 16, v5
	v_lshrrev_b32_e32 v15, 16, v7
	;; [unrolled: 1-line block ×4, first 2 shown]
	v_cndmask_b32_e64 v17, v1, v9, s3
	v_cndmask_b32_e64 v18, v5, v13, s3
	;; [unrolled: 1-line block ×3, first 2 shown]
	v_cmp_eq_u32_e64 s3, 2, v82
	v_cndmask_b32_e64 v20, v5, v13, s5
	v_cndmask_b32_e32 v21, v1, v9, vcc_lo
	v_cndmask_b32_e32 v22, v5, v13, vcc_lo
	v_cndmask_b32_e64 v1, v1, v9, s4
	v_cndmask_b32_e64 v5, v5, v13, s4
	v_cmp_eq_u32_e32 vcc_lo, 2, v84
	v_cmp_eq_u32_e64 s4, 2, v83
	v_cndmask_b32_e64 v9, v17, v2, s6
	v_cndmask_b32_e64 v13, v18, v6, s6
	;; [unrolled: 1-line block ×4, first 2 shown]
	v_cndmask_b32_e32 v19, v21, v2, vcc_lo
	v_cmp_eq_u32_e64 s3, 3, v84
	v_cndmask_b32_e32 v20, v22, v6, vcc_lo
	v_cndmask_b32_e64 v1, v1, v2, s4
	v_cmp_eq_u32_e32 vcc_lo, 3, v83
	v_cmp_eq_u32_e64 s5, 3, v80
	v_cndmask_b32_e64 v2, v5, v6, s4
	v_cmp_eq_u32_e64 s4, 3, v82
	v_lshrrev_b32_e32 v16, 16, v8
	v_cmp_eq_u32_e64 s6, 4, v80
	v_cndmask_b32_e64 v5, v9, v10, s5
	v_cndmask_b32_e64 v6, v13, v14, s5
	;; [unrolled: 1-line block ×3, first 2 shown]
	v_cmp_eq_u32_e64 s5, 4, v82
	v_cndmask_b32_e64 v13, v18, v14, s4
	v_cndmask_b32_e64 v17, v19, v10, s3
	;; [unrolled: 1-line block ×3, first 2 shown]
	v_cndmask_b32_e32 v1, v1, v10, vcc_lo
	v_cndmask_b32_e32 v2, v2, v14, vcc_lo
	v_cmp_eq_u32_e32 vcc_lo, 4, v84
	v_cmp_eq_u32_e64 s4, 4, v83
	v_lshrrev_b32_e32 v11, 16, v3
	v_cndmask_b32_e64 v5, v5, v3, s6
	v_cndmask_b32_e64 v6, v6, v7, s6
	;; [unrolled: 1-line block ×4, first 2 shown]
	v_cndmask_b32_e32 v13, v17, v3, vcc_lo
	v_cmp_eq_u32_e64 s3, 5, v84
	v_cndmask_b32_e32 v14, v18, v7, vcc_lo
	v_cndmask_b32_e64 v1, v1, v3, s4
	v_cmp_eq_u32_e32 vcc_lo, 5, v83
	v_cmp_eq_u32_e64 s5, 5, v80
	v_cndmask_b32_e64 v2, v2, v7, s4
	v_cmp_eq_u32_e64 s4, 5, v82
	v_cmp_eq_u32_e64 s6, 6, v80
	v_cndmask_b32_e32 v1, v1, v11, vcc_lo
	v_cndmask_b32_e64 v3, v5, v11, s5
	v_cndmask_b32_e64 v5, v6, v15, s5
	;; [unrolled: 1-line block ×3, first 2 shown]
	v_cmp_eq_u32_e64 s5, 6, v82
	v_cndmask_b32_e64 v7, v10, v15, s4
	v_cndmask_b32_e64 v9, v13, v11, s3
	;; [unrolled: 1-line block ×3, first 2 shown]
	v_cndmask_b32_e32 v2, v2, v15, vcc_lo
	v_cmp_eq_u32_e32 vcc_lo, 6, v84
	v_cmp_eq_u32_e64 s3, 6, v83
	v_lshrrev_b32_e32 v12, 16, v4
	v_cndmask_b32_e64 v3, v3, v4, s6
	v_cndmask_b32_e64 v5, v5, v8, s6
	;; [unrolled: 1-line block ×4, first 2 shown]
	v_cndmask_b32_e32 v9, v9, v4, vcc_lo
	v_cmp_eq_u32_e64 s4, 7, v84
	v_cndmask_b32_e32 v10, v10, v8, vcc_lo
	v_cndmask_b32_e64 v1, v1, v4, s3
	v_cmp_eq_u32_e32 vcc_lo, 7, v83
	v_cndmask_b32_e64 v2, v2, v8, s3
	v_cmp_eq_u32_e64 s3, 7, v80
	v_cmp_eq_u32_e64 s5, 7, v82
	v_cndmask_b32_e32 v1, v1, v12, vcc_lo
	s_delay_alu instid0(VALU_DEP_4) | instskip(NEXT) | instid1(VALU_DEP_4)
	v_cndmask_b32_e32 v2, v2, v16, vcc_lo
	v_cndmask_b32_e64 v8, v3, v12, s3
	s_delay_alu instid0(VALU_DEP_4)
	v_cndmask_b32_e64 v6, v6, v12, s5
	v_cndmask_b32_e64 v3, v9, v12, s4
	;; [unrolled: 1-line block ×5, first 2 shown]
	v_perm_b32 v4, v2, v1, 0x5040100
	s_mov_b32 s3, exec_lo
	v_perm_b32 v3, v9, v3, 0x5040100
	v_perm_b32 v2, v7, v6, 0x5040100
	;; [unrolled: 1-line block ×3, first 2 shown]
	ds_store_b128 v78, v[1:4]
	s_waitcnt lgkmcnt(0)
	s_barrier
	buffer_gl0_inv
	v_cmpx_gt_u32_e32 32, v0
	s_cbranch_execz .LBB334_2
; %bb.17:
	s_load_b64 s[4:5], s[0:1], 0x68
	v_lshlrev_b32_e32 v0, 10, v0
	v_lshlrev_b32_e32 v1, 4, v76
	s_lshl_b32 s0, s35, 7
	v_add_nc_u32_e32 v2, s31, v75
	s_mul_i32 s1, s0, s34
	s_delay_alu instid0(SALU_CYCLE_1) | instskip(SKIP_1) | instid1(VALU_DEP_2)
	s_mul_i32 s6, s1, s7
	v_and_or_b32 v0, 0x3800, v0, v1
	v_mul_lo_u32 v1, v2, s0
	s_ashr_i32 s7, s6, 31
	v_add_nc_u32_e32 v3, 2, v2
	s_lshl_b64 s[6:7], s[6:7], 1
	v_add_nc_u32_e32 v4, 4, v2
	v_add_nc_u32_e32 v5, 6, v2
	v_lshl_or_b32 v15, v75, 6, v0
	v_mul_lo_u32 v3, v3, s0
	v_ashrrev_i32_e32 v2, 31, v1
	v_mul_lo_u32 v19, v4, s0
	v_mul_lo_u32 v21, v5, s0
	s_waitcnt lgkmcnt(0)
	s_add_u32 s1, s4, s6
	s_addc_u32 s3, s5, s7
	s_lshl_b32 s4, s14, 7
	v_lshlrev_b64 v[5:6], 1, v[1:2]
	s_ashr_i32 s5, s4, 31
	v_ashrrev_i32_e32 v4, 31, v3
	s_lshl_b64 s[4:5], s[4:5], 1
	v_ashrrev_i32_e32 v20, 31, v19
	s_add_u32 s1, s1, s4
	s_addc_u32 s3, s3, s5
	v_add_co_u32 v1, vcc_lo, s1, v73
	v_add_co_ci_u32_e32 v2, vcc_lo, s3, v74, vcc_lo
	v_lshlrev_b64 v[25:26], 1, v[3:4]
	s_delay_alu instid0(VALU_DEP_3) | instskip(NEXT) | instid1(VALU_DEP_3)
	v_add_co_u32 v23, vcc_lo, v1, v5
	v_add_co_ci_u32_e32 v24, vcc_lo, v2, v6, vcc_lo
	ds_load_b128 v[3:6], v15
	ds_load_b128 v[7:10], v15 offset:128
	ds_load_b128 v[11:14], v15 offset:256
	;; [unrolled: 1-line block ×3, first 2 shown]
	v_ashrrev_i32_e32 v22, 31, v21
	v_lshlrev_b64 v[19:20], 1, v[19:20]
	v_add_co_u32 v25, vcc_lo, v1, v25
	v_add_co_ci_u32_e32 v26, vcc_lo, v2, v26, vcc_lo
	s_delay_alu instid0(VALU_DEP_4) | instskip(NEXT) | instid1(VALU_DEP_4)
	v_lshlrev_b64 v[21:22], 1, v[21:22]
	v_add_co_u32 v19, vcc_lo, v1, v19
	v_add_co_ci_u32_e32 v20, vcc_lo, v2, v20, vcc_lo
	s_delay_alu instid0(VALU_DEP_3) | instskip(NEXT) | instid1(VALU_DEP_4)
	v_add_co_u32 v21, vcc_lo, v1, v21
	v_add_co_ci_u32_e32 v22, vcc_lo, v2, v22, vcc_lo
	s_waitcnt lgkmcnt(3)
	global_store_b128 v[23:24], v[3:6], off
	s_waitcnt lgkmcnt(2)
	global_store_b128 v[25:26], v[7:10], off
	;; [unrolled: 2-line block ×4, first 2 shown]
	s_and_b32 exec_lo, exec_lo, s2
	s_cbranch_execz .LBB334_2
; %bb.18:
	ds_load_b128 v[3:6], v0 offset:512
	s_add_i32 s1, s31, 8
	s_delay_alu instid0(SALU_CYCLE_1) | instskip(NEXT) | instid1(SALU_CYCLE_1)
	s_mul_i32 s0, s1, s0
	s_ashr_i32 s1, s0, 31
	s_delay_alu instid0(SALU_CYCLE_1) | instskip(NEXT) | instid1(SALU_CYCLE_1)
	s_lshl_b64 s[0:1], s[0:1], 1
	v_add_co_u32 v0, vcc_lo, v1, s0
	v_add_co_ci_u32_e32 v1, vcc_lo, s1, v2, vcc_lo
	s_waitcnt lgkmcnt(0)
	global_store_b128 v[0:1], v[3:6], off
	s_nop 0
	s_sendmsg sendmsg(MSG_DEALLOC_VGPRS)
	s_endpgm
	.section	.rodata,"a",@progbits
	.p2align	6, 0x0
	.amdhsa_kernel _Z39paged_attention_ll4mi_QKV_mfma16_kernelIDF16_DF16_LN4vllm18Fp8KVCacheDataTypeE0EhLi32ELi128ELi256ELb0ELi9EL8MFMAType0EEvPKT_PKT0_S8_ifPKiSA_SA_iPKfiiiPfSD_PS3_PT2_iSC_SC_
		.amdhsa_group_segment_fixed_size 17472
		.amdhsa_private_segment_fixed_size 0
		.amdhsa_kernarg_size 400
		.amdhsa_user_sgpr_count 13
		.amdhsa_user_sgpr_dispatch_ptr 0
		.amdhsa_user_sgpr_queue_ptr 0
		.amdhsa_user_sgpr_kernarg_segment_ptr 1
		.amdhsa_user_sgpr_dispatch_id 0
		.amdhsa_user_sgpr_private_segment_size 0
		.amdhsa_wavefront_size32 1
		.amdhsa_uses_dynamic_stack 0
		.amdhsa_enable_private_segment 0
		.amdhsa_system_sgpr_workgroup_id_x 1
		.amdhsa_system_sgpr_workgroup_id_y 1
		.amdhsa_system_sgpr_workgroup_id_z 1
		.amdhsa_system_sgpr_workgroup_info 0
		.amdhsa_system_vgpr_workitem_id 0
		.amdhsa_next_free_vgpr 172
		.amdhsa_next_free_sgpr 39
		.amdhsa_reserve_vcc 1
		.amdhsa_float_round_mode_32 0
		.amdhsa_float_round_mode_16_64 0
		.amdhsa_float_denorm_mode_32 3
		.amdhsa_float_denorm_mode_16_64 3
		.amdhsa_dx10_clamp 1
		.amdhsa_ieee_mode 1
		.amdhsa_fp16_overflow 0
		.amdhsa_workgroup_processor_mode 1
		.amdhsa_memory_ordered 1
		.amdhsa_forward_progress 0
		.amdhsa_shared_vgpr_count 0
		.amdhsa_exception_fp_ieee_invalid_op 0
		.amdhsa_exception_fp_denorm_src 0
		.amdhsa_exception_fp_ieee_div_zero 0
		.amdhsa_exception_fp_ieee_overflow 0
		.amdhsa_exception_fp_ieee_underflow 0
		.amdhsa_exception_fp_ieee_inexact 0
		.amdhsa_exception_int_div_zero 0
	.end_amdhsa_kernel
	.section	.text._Z39paged_attention_ll4mi_QKV_mfma16_kernelIDF16_DF16_LN4vllm18Fp8KVCacheDataTypeE0EhLi32ELi128ELi256ELb0ELi9EL8MFMAType0EEvPKT_PKT0_S8_ifPKiSA_SA_iPKfiiiPfSD_PS3_PT2_iSC_SC_,"axG",@progbits,_Z39paged_attention_ll4mi_QKV_mfma16_kernelIDF16_DF16_LN4vllm18Fp8KVCacheDataTypeE0EhLi32ELi128ELi256ELb0ELi9EL8MFMAType0EEvPKT_PKT0_S8_ifPKiSA_SA_iPKfiiiPfSD_PS3_PT2_iSC_SC_,comdat
.Lfunc_end334:
	.size	_Z39paged_attention_ll4mi_QKV_mfma16_kernelIDF16_DF16_LN4vllm18Fp8KVCacheDataTypeE0EhLi32ELi128ELi256ELb0ELi9EL8MFMAType0EEvPKT_PKT0_S8_ifPKiSA_SA_iPKfiiiPfSD_PS3_PT2_iSC_SC_, .Lfunc_end334-_Z39paged_attention_ll4mi_QKV_mfma16_kernelIDF16_DF16_LN4vllm18Fp8KVCacheDataTypeE0EhLi32ELi128ELi256ELb0ELi9EL8MFMAType0EEvPKT_PKT0_S8_ifPKiSA_SA_iPKfiiiPfSD_PS3_PT2_iSC_SC_
                                        ; -- End function
	.section	.AMDGPU.csdata,"",@progbits
; Kernel info:
; codeLenInByte = 7592
; NumSgprs: 41
; NumVgprs: 172
; ScratchSize: 0
; MemoryBound: 0
; FloatMode: 240
; IeeeMode: 1
; LDSByteSize: 17472 bytes/workgroup (compile time only)
; SGPRBlocks: 5
; VGPRBlocks: 21
; NumSGPRsForWavesPerEU: 41
; NumVGPRsForWavesPerEU: 172
; Occupancy: 8
; WaveLimiterHint : 1
; COMPUTE_PGM_RSRC2:SCRATCH_EN: 0
; COMPUTE_PGM_RSRC2:USER_SGPR: 13
; COMPUTE_PGM_RSRC2:TRAP_HANDLER: 0
; COMPUTE_PGM_RSRC2:TGID_X_EN: 1
; COMPUTE_PGM_RSRC2:TGID_Y_EN: 1
; COMPUTE_PGM_RSRC2:TGID_Z_EN: 1
; COMPUTE_PGM_RSRC2:TIDIG_COMP_CNT: 0
	.section	.text._Z39paged_attention_ll4mi_QKV_mfma16_kernelIDF16_DF16_LN4vllm18Fp8KVCacheDataTypeE0EhLi32ELi128ELi256ELb0ELi10EL8MFMAType0EEvPKT_PKT0_S8_ifPKiSA_SA_iPKfiiiPfSD_PS3_PT2_iSC_SC_,"axG",@progbits,_Z39paged_attention_ll4mi_QKV_mfma16_kernelIDF16_DF16_LN4vllm18Fp8KVCacheDataTypeE0EhLi32ELi128ELi256ELb0ELi10EL8MFMAType0EEvPKT_PKT0_S8_ifPKiSA_SA_iPKfiiiPfSD_PS3_PT2_iSC_SC_,comdat
	.protected	_Z39paged_attention_ll4mi_QKV_mfma16_kernelIDF16_DF16_LN4vllm18Fp8KVCacheDataTypeE0EhLi32ELi128ELi256ELb0ELi10EL8MFMAType0EEvPKT_PKT0_S8_ifPKiSA_SA_iPKfiiiPfSD_PS3_PT2_iSC_SC_ ; -- Begin function _Z39paged_attention_ll4mi_QKV_mfma16_kernelIDF16_DF16_LN4vllm18Fp8KVCacheDataTypeE0EhLi32ELi128ELi256ELb0ELi10EL8MFMAType0EEvPKT_PKT0_S8_ifPKiSA_SA_iPKfiiiPfSD_PS3_PT2_iSC_SC_
	.globl	_Z39paged_attention_ll4mi_QKV_mfma16_kernelIDF16_DF16_LN4vllm18Fp8KVCacheDataTypeE0EhLi32ELi128ELi256ELb0ELi10EL8MFMAType0EEvPKT_PKT0_S8_ifPKiSA_SA_iPKfiiiPfSD_PS3_PT2_iSC_SC_
	.p2align	8
	.type	_Z39paged_attention_ll4mi_QKV_mfma16_kernelIDF16_DF16_LN4vllm18Fp8KVCacheDataTypeE0EhLi32ELi128ELi256ELb0ELi10EL8MFMAType0EEvPKT_PKT0_S8_ifPKiSA_SA_iPKfiiiPfSD_PS3_PT2_iSC_SC_,@function
_Z39paged_attention_ll4mi_QKV_mfma16_kernelIDF16_DF16_LN4vllm18Fp8KVCacheDataTypeE0EhLi32ELi128ELi256ELb0ELi10EL8MFMAType0EEvPKT_PKT0_S8_ifPKiSA_SA_iPKfiiiPfSD_PS3_PT2_iSC_SC_: ; @_Z39paged_attention_ll4mi_QKV_mfma16_kernelIDF16_DF16_LN4vllm18Fp8KVCacheDataTypeE0EhLi32ELi128ELi256ELb0ELi10EL8MFMAType0EEvPKT_PKT0_S8_ifPKiSA_SA_iPKfiiiPfSD_PS3_PT2_iSC_SC_
; %bb.0:
	s_load_b64 s[2:3], s[0:1], 0x30
	s_mov_b32 s30, s13
	s_waitcnt lgkmcnt(0)
	s_cmp_lg_u64 s[2:3], 0
	s_cselect_b32 s6, -1, 0
	s_ashr_i32 s31, s13, 31
	s_cmp_eq_u64 s[2:3], 0
	s_cbranch_scc1 .LBB335_3
; %bb.1:
	s_lshl_b64 s[4:5], s[30:31], 2
	s_delay_alu instid0(SALU_CYCLE_1) | instskip(SKIP_4) | instid1(SALU_CYCLE_1)
	s_add_u32 s4, s2, s4
	s_addc_u32 s5, s3, s5
	s_load_b64 s[4:5], s[4:5], 0x0
	s_waitcnt lgkmcnt(0)
	s_sub_i32 s4, s5, s4
	s_cmp_eq_u32 s4, 1
	s_cselect_b32 s4, -1, 0
	s_delay_alu instid0(SALU_CYCLE_1)
	s_and_not1_b32 vcc_lo, exec_lo, s4
	s_cbranch_vccz .LBB335_4
.LBB335_2:
	s_endpgm
.LBB335_3:
.LBB335_4:
	s_load_b64 s[8:9], s[0:1], 0x28
	s_lshl_b64 s[4:5], s[30:31], 2
	s_waitcnt lgkmcnt(0)
	s_add_u32 s8, s8, s4
	s_addc_u32 s9, s9, s5
	s_lshl_b32 s12, s14, 8
	s_load_b32 s17, s[8:9], 0x0
	s_waitcnt lgkmcnt(0)
	s_cmp_ge_i32 s12, s17
	s_cbranch_scc1 .LBB335_2
; %bb.5:
	s_and_not1_b32 vcc_lo, exec_lo, s6
	s_cbranch_vccnz .LBB335_7
; %bb.6:
	s_add_u32 s2, s2, s4
	s_addc_u32 s3, s3, s5
	s_load_b32 s13, s[2:3], 0x0
	s_branch .LBB335_8
.LBB335_7:
	s_mov_b32 s13, s30
.LBB335_8:
	s_clause 0x2
	s_load_b128 s[8:11], s[0:1], 0x8
	s_load_b64 s[2:3], s[0:1], 0x20
	s_load_b128 s[4:7], s[0:1], 0x48
	v_and_b32_e32 v77, 15, v0
	s_waitcnt lgkmcnt(0)
	s_mov_b32 s7, exec_lo
	s_delay_alu instid0(VALU_DEP_1)
	v_lshlrev_b32_e32 v1, 3, v77
	v_cmpx_lt_u32_e32 0x9f, v0
	s_xor_b32 s7, exec_lo, s7
; %bb.9:
	v_mov_b32_e32 v2, 0
; %bb.10:
	s_or_saveexec_b32 s7, s7
	v_lshrrev_b32_e32 v78, 5, v0
	v_and_b32_e32 v80, 31, v0
	v_and_b32_e32 v76, 1, v0
	v_bfe_u32 v75, v0, 4, 1
	s_mul_i32 s31, s15, 10
	s_xor_b32 exec_lo, exec_lo, s7
	s_cbranch_execz .LBB335_12
; %bb.11:
	s_load_b64 s[18:19], s[0:1], 0x0
	v_lshl_or_b32 v7, v78, 1, v75
	s_mul_hi_i32 s21, s13, s4
	s_mul_i32 s20, s13, s4
	v_lshlrev_b32_e32 v4, 1, v1
	s_lshl_b64 s[20:21], s[20:21], 1
	v_add_lshl_u32 v2, v7, s31, 7
	v_lshlrev_b32_e32 v7, 6, v7
	v_lshlrev_b32_e32 v8, 10, v76
	s_delay_alu instid0(VALU_DEP_3) | instskip(NEXT) | instid1(VALU_DEP_1)
	v_ashrrev_i32_e32 v3, 31, v2
	v_lshlrev_b64 v[2:3], 1, v[2:3]
	s_waitcnt lgkmcnt(0)
	s_add_u32 s4, s18, s20
	s_addc_u32 s13, s19, s21
	s_delay_alu instid0(VALU_DEP_1) | instskip(NEXT) | instid1(VALU_DEP_2)
	v_add_co_u32 v2, vcc_lo, s4, v2
	v_add_co_ci_u32_e32 v3, vcc_lo, s13, v3, vcc_lo
	s_delay_alu instid0(VALU_DEP_2) | instskip(NEXT) | instid1(VALU_DEP_2)
	v_add_co_u32 v2, vcc_lo, v2, v4
	v_add_co_ci_u32_e32 v3, vcc_lo, 0, v3, vcc_lo
	global_load_b128 v[3:6], v[2:3], off
	v_lshlrev_b32_e32 v2, 10, v77
	s_delay_alu instid0(VALU_DEP_1) | instskip(NEXT) | instid1(VALU_DEP_1)
	v_and_b32_e32 v2, 0x3800, v2
	v_or3_b32 v7, v2, v8, v7
	v_mov_b32_e32 v2, 0
	s_waitcnt vmcnt(0)
	ds_store_b128 v7, v[3:6]
.LBB335_12:
	s_or_b32 exec_lo, exec_lo, s7
	v_and_b32_e32 v3, 0xef, v0
	s_add_i32 s4, s17, 31
	s_clause 0x1
	s_load_b32 s7, s[0:1], 0x38
	s_load_b32 s33, s[0:1], 0x98
	s_ashr_i32 s13, s4, 31
	v_add_nc_u32_e32 v3, s12, v3
	s_lshr_b32 s13, s13, 27
	s_load_b32 s18, s[0:1], 0x1c
	s_add_i32 s4, s4, s13
	s_waitcnt lgkmcnt(0)
	v_ashrrev_i32_e32 v4, 31, v3
	v_cmp_gt_i32_e32 vcc_lo, s17, v3
	s_ashr_i32 s4, s4, 5
	s_barrier
	s_add_i32 s4, s4, -1
	v_lshrrev_b32_e32 v5, 27, v4
	v_or_b32_e32 v4, 16, v3
	buffer_gl0_inv
	v_lshlrev_b64 v[73:74], 1, v[1:2]
	v_lshlrev_b32_e32 v79, 6, v77
	v_add_nc_u32_e32 v6, v3, v5
	v_add_nc_u32_e32 v5, v4, v5
	s_mul_i32 s20, s30, s7
	s_delay_alu instid0(SALU_CYCLE_1) | instskip(NEXT) | instid1(VALU_DEP_2)
	s_ashr_i32 s21, s20, 31
	v_ashrrev_i32_e32 v6, 5, v6
	s_delay_alu instid0(VALU_DEP_2) | instskip(SKIP_1) | instid1(SALU_CYCLE_1)
	v_ashrrev_i32_e32 v5, 5, v5
	s_lshl_b64 s[20:21], s[20:21], 2
	s_add_u32 s13, s2, s20
	s_delay_alu instid0(VALU_DEP_2) | instskip(SKIP_3) | instid1(SALU_CYCLE_1)
	v_cndmask_b32_e32 v3, s4, v6, vcc_lo
	v_cmp_gt_i32_e32 vcc_lo, s17, v4
	s_addc_u32 s16, s3, s21
	s_mul_i32 s2, s15, s6
	s_ashr_i32 s3, s2, 31
	v_cndmask_b32_e32 v5, s4, v5, vcc_lo
	v_ashrrev_i32_e32 v4, 31, v3
	s_lshl_b64 s[2:3], s[2:3], 1
	s_delay_alu instid0(SALU_CYCLE_1) | instskip(NEXT) | instid1(VALU_DEP_2)
	s_add_u32 s15, s8, s2
	v_ashrrev_i32_e32 v6, 31, v5
	s_delay_alu instid0(VALU_DEP_2) | instskip(SKIP_2) | instid1(VALU_DEP_2)
	v_lshlrev_b64 v[3:4], 2, v[3:4]
	s_addc_u32 s19, s9, s3
	s_lshl_b32 s6, s14, 3
	v_lshlrev_b64 v[5:6], 2, v[5:6]
	s_ashr_i32 s7, s6, 31
	s_delay_alu instid0(VALU_DEP_2) | instskip(SKIP_1) | instid1(VALU_DEP_3)
	v_add_co_u32 v3, vcc_lo, s13, v3
	v_add_co_ci_u32_e32 v4, vcc_lo, s16, v4, vcc_lo
	v_add_co_u32 v5, vcc_lo, s13, v5
	s_delay_alu instid0(VALU_DEP_4)
	v_add_co_ci_u32_e32 v6, vcc_lo, s16, v6, vcc_lo
	s_lshl_b64 s[6:7], s[6:7], 2
	s_clause 0x1
	global_load_b32 v7, v[3:4], off
	global_load_b32 v8, v[5:6], off
	s_add_u32 s6, s13, s6
	s_addc_u32 s7, s16, s7
	s_or_b32 s8, s12, 32
	s_delay_alu instid0(SALU_CYCLE_1) | instskip(SKIP_2) | instid1(SALU_CYCLE_1)
	s_ashr_i32 s9, s8, 5
	s_cmp_lt_i32 s8, s17
	s_cselect_b32 s8, s9, s4
	s_ashr_i32 s9, s8, 31
	s_delay_alu instid0(SALU_CYCLE_1) | instskip(NEXT) | instid1(SALU_CYCLE_1)
	s_lshl_b64 s[8:9], s[8:9], 2
	s_add_u32 s8, s13, s8
	s_addc_u32 s9, s16, s9
	s_or_b32 s20, s12, 64
	s_delay_alu instid0(SALU_CYCLE_1) | instskip(SKIP_2) | instid1(SALU_CYCLE_1)
	s_ashr_i32 s21, s20, 5
	s_cmp_lt_i32 s20, s17
	s_cselect_b32 s20, s21, s4
	s_ashr_i32 s21, s20, 31
	s_delay_alu instid0(SALU_CYCLE_1) | instskip(NEXT) | instid1(SALU_CYCLE_1)
	s_lshl_b64 s[20:21], s[20:21], 2
	;; [unrolled: 10-line block ×5, first 2 shown]
	s_add_u32 s26, s13, s26
	s_addc_u32 s27, s16, s27
	s_clause 0x5
	s_load_b32 s28, s[6:7], 0x0
	s_load_b32 s29, s[8:9], 0x0
	;; [unrolled: 1-line block ×6, first 2 shown]
	s_mov_b32 s20, 0
	s_or_b32 s6, s12, 0xc0
	s_mov_b32 s21, s20
	s_mov_b32 s22, s20
	;; [unrolled: 1-line block ×7, first 2 shown]
	s_ashr_i32 s7, s6, 5
	v_mov_b32_e32 v128, s27
	s_cmp_lt_i32 s6, s17
	v_mov_b32_e32 v127, s26
	s_cselect_b32 s6, s7, s4
	v_mov_b32_e32 v126, s25
	s_ashr_i32 s7, s6, 31
	v_mov_b32_e32 v125, s24
	s_lshl_b64 s[6:7], s[6:7], 2
	v_mov_b32_e32 v124, s23
	s_add_u32 s6, s13, s6
	s_addc_u32 s7, s16, s7
	v_mov_b32_e32 v123, s22
	v_mov_b32_e32 v121, s20
	s_waitcnt lgkmcnt(0)
	s_mul_hi_i32 s9, s28, s5
	s_mul_i32 s8, s28, s5
	v_mov_b32_e32 v122, s21
	s_mul_hi_i32 s21, s29, s5
	s_mul_i32 s20, s29, s5
	s_mul_hi_i32 s25, s34, s5
	s_mul_i32 s24, s34, s5
	;; [unrolled: 2-line block ×4, first 2 shown]
	s_waitcnt vmcnt(1)
	v_mad_i64_i32 v[3:4], null, v7, s5, 0
	s_waitcnt vmcnt(0)
	v_mad_i64_i32 v[5:6], null, v8, s5, 0
	s_delay_alu instid0(VALU_DEP_2) | instskip(NEXT) | instid1(VALU_DEP_2)
	v_lshlrev_b64 v[3:4], 1, v[3:4]
	v_lshlrev_b64 v[1:2], 1, v[5:6]
	s_delay_alu instid0(VALU_DEP_2) | instskip(NEXT) | instid1(VALU_DEP_3)
	v_add_co_u32 v3, vcc_lo, s15, v3
	v_add_co_ci_u32_e32 v4, vcc_lo, s19, v4, vcc_lo
	s_delay_alu instid0(VALU_DEP_3) | instskip(NEXT) | instid1(VALU_DEP_4)
	v_add_co_u32 v1, vcc_lo, s15, v1
	v_add_co_ci_u32_e32 v2, vcc_lo, s19, v2, vcc_lo
	s_delay_alu instid0(VALU_DEP_4) | instskip(NEXT) | instid1(VALU_DEP_4)
	v_add_co_u32 v65, vcc_lo, v3, v73
	v_add_co_ci_u32_e32 v66, vcc_lo, v4, v74, vcc_lo
	s_delay_alu instid0(VALU_DEP_4) | instskip(NEXT) | instid1(VALU_DEP_4)
	v_add_co_u32 v67, vcc_lo, v1, v73
	v_add_co_ci_u32_e32 v68, vcc_lo, v2, v74, vcc_lo
	s_clause 0xf
	global_load_b128 v[1:4], v[65:66], off
	global_load_b128 v[5:8], v[65:66], off offset:512
	global_load_b128 v[9:12], v[67:68], off offset:256
	global_load_b128 v[13:16], v[67:68], off offset:768
	global_load_b128 v[17:20], v[65:66], off offset:1024
	global_load_b128 v[21:24], v[65:66], off offset:1536
	global_load_b128 v[25:28], v[67:68], off offset:1280
	global_load_b128 v[29:32], v[67:68], off offset:1792
	global_load_b128 v[33:36], v[65:66], off offset:2048
	global_load_b128 v[37:40], v[65:66], off offset:2560
	global_load_b128 v[41:44], v[67:68], off offset:2304
	global_load_b128 v[45:48], v[67:68], off offset:2816
	global_load_b128 v[49:52], v[65:66], off offset:3072
	global_load_b128 v[53:56], v[65:66], off offset:3584
	global_load_b128 v[57:60], v[67:68], off offset:3328
	global_load_b128 v[61:64], v[67:68], off offset:3840
	v_add_co_u32 v157, vcc_lo, 0x1000, v65
	v_add_co_ci_u32_e32 v158, vcc_lo, 0, v66, vcc_lo
	v_add_co_u32 v165, vcc_lo, 0x1000, v67
	v_add_co_ci_u32_e32 v166, vcc_lo, 0, v68, vcc_lo
	s_clause 0x7
	global_load_b128 v[81:84], v[157:158], off
	global_load_b128 v[85:88], v[157:158], off offset:512
	global_load_b128 v[89:92], v[165:166], off offset:256
	;; [unrolled: 1-line block ×7, first 2 shown]
	v_add_nc_u32_e32 v65, -10, v77
	v_cmp_gt_u32_e32 vcc_lo, 10, v77
	s_or_b32 s15, s12, 0xe0
	s_delay_alu instid0(SALU_CYCLE_1) | instskip(SKIP_3) | instid1(SALU_CYCLE_1)
	s_ashr_i32 s19, s15, 5
	s_cmp_lt_i32 s15, s17
	v_cndmask_b32_e32 v65, v65, v77, vcc_lo
	s_cselect_b32 s22, s19, s4
	s_ashr_i32 s23, s22, 31
	s_delay_alu instid0(VALU_DEP_1)
	v_lshlrev_b32_e32 v169, 6, v65
	ds_load_b128 v[65:68], v169
	ds_load_b128 v[69:72], v169 offset:1024
	s_clause 0x1
	global_load_b128 v[113:116], v[157:158], off offset:2048
	global_load_b128 v[117:120], v[157:158], off offset:2560
	ds_load_b128 v[129:132], v169 offset:2048
	ds_load_b128 v[133:136], v169 offset:3072
	s_clause 0x5
	global_load_b128 v[145:148], v[165:166], off offset:2304
	global_load_b128 v[149:152], v[165:166], off offset:2816
	;; [unrolled: 1-line block ×6, first 2 shown]
	s_lshl_b64 s[22:23], s[22:23], 2
	s_delay_alu instid0(SALU_CYCLE_1) | instskip(SKIP_2) | instid1(SALU_CYCLE_1)
	s_add_u32 s22, s13, s22
	s_addc_u32 s23, s16, s23
	s_add_i32 s15, s12, 0x100
	s_ashr_i32 s19, s15, 5
	s_cmp_lt_i32 s15, s17
	s_cselect_b32 s28, s19, s4
	s_delay_alu instid0(SALU_CYCLE_1) | instskip(NEXT) | instid1(SALU_CYCLE_1)
	s_ashr_i32 s29, s28, 31
	s_lshl_b64 s[28:29], s[28:29], 2
	s_delay_alu instid0(SALU_CYCLE_1)
	s_add_u32 s28, s13, s28
	s_addc_u32 s29, s16, s29
	s_add_u32 s4, s10, s2
	s_addc_u32 s19, s11, s3
	s_lshl_b64 s[2:3], s[8:9], 1
	s_lshl_b64 s[8:9], s[20:21], 1
	;; [unrolled: 1-line block ×4, first 2 shown]
	s_waitcnt vmcnt(30) lgkmcnt(2)
	v_wmma_f32_16x16x16_f16 v[137:144], v[1:8], v[65:72], v[121:128]
	ds_load_b128 v[1:4], v169 offset:4096
	ds_load_b128 v[5:8], v169 offset:5120
	s_waitcnt vmcnt(28)
	v_wmma_f32_16x16x16_f16 v[121:128], v[9:16], v[65:72], v[121:128]
	ds_load_b128 v[9:12], v169 offset:6144
	ds_load_b128 v[13:16], v169 offset:7168
	s_waitcnt vmcnt(26) lgkmcnt(4)
	v_wmma_f32_16x16x16_f16 v[137:144], v[17:24], v[129:136], v[137:144]
	ds_load_b128 v[17:20], v169 offset:8192
	ds_load_b128 v[21:24], v169 offset:9216
	s_waitcnt vmcnt(24)
	v_wmma_f32_16x16x16_f16 v[121:128], v[25:32], v[129:136], v[121:128]
	v_lshl_or_b32 v25, v78, 10, v79
	ds_load_b128 v[129:132], v169 offset:10240
	ds_load_b128 v[133:136], v169 offset:11264
	s_clause 0x2
	s_load_b32 s15, s[6:7], 0x0
	s_load_b32 s13, s[22:23], 0x0
	;; [unrolled: 1-line block ×3, first 2 shown]
	s_mul_hi_i32 s7, s36, s5
	v_add_co_u32 v170, s4, s4, v25
	s_delay_alu instid0(VALU_DEP_1)
	v_add_co_ci_u32_e64 v171, null, s19, 0, s4
	s_mul_i32 s6, s36, s5
	s_lshl_b64 s[22:23], s[34:35], 1
	s_lshl_b64 s[6:7], s[6:7], 1
	s_waitcnt vmcnt(22) lgkmcnt(0)
	v_wmma_f32_16x16x16_f16 v[137:144], v[33:40], v[1:8], v[137:144]
	s_waitcnt vmcnt(20)
	v_wmma_f32_16x16x16_f16 v[121:128], v[41:48], v[1:8], v[121:128]
	v_add_co_u32 v1, vcc_lo, v170, s2
	v_add_co_ci_u32_e32 v2, vcc_lo, s3, v171, vcc_lo
	v_add_co_u32 v3, vcc_lo, v170, s8
	v_add_co_ci_u32_e32 v4, vcc_lo, s9, v171, vcc_lo
	;; [unrolled: 2-line block ×4, first 2 shown]
	v_add_co_u32 v25, vcc_lo, v170, s6
	s_mul_hi_i32 s25, s15, s5
	s_mul_i32 s24, s15, s5
	v_add_co_ci_u32_e32 v26, vcc_lo, s7, v171, vcc_lo
	v_add_co_u32 v27, vcc_lo, v170, s22
	s_lshl_b64 s[24:25], s[24:25], 1
	s_waitcnt vmcnt(18)
	v_wmma_f32_16x16x16_f16 v[137:144], v[49:56], v[9:16], v[137:144]
	s_waitcnt vmcnt(16)
	v_wmma_f32_16x16x16_f16 v[121:128], v[57:64], v[9:16], v[121:128]
	v_add_co_ci_u32_e32 v28, vcc_lo, s23, v171, vcc_lo
	s_mul_hi_i32 s3, s13, s5
	s_mul_i32 s2, s13, s5
	v_add_co_u32 v29, vcc_lo, v170, s24
	s_lshl_b64 s[2:3], s[2:3], 1
	v_add_co_ci_u32_e32 v30, vcc_lo, s25, v171, vcc_lo
	s_waitcnt vmcnt(14)
	v_wmma_f32_16x16x16_f16 v[137:144], v[81:88], v[17:24], v[137:144]
	s_waitcnt vmcnt(12)
	v_wmma_f32_16x16x16_f16 v[121:128], v[89:96], v[17:24], v[121:128]
	v_add_co_u32 v17, vcc_lo, v170, s2
	v_add_co_ci_u32_e32 v18, vcc_lo, s3, v171, vcc_lo
	s_mul_hi_i32 s3, s16, s5
	s_mul_i32 s2, s16, s5
	s_clause 0x5
	global_load_b128 v[65:68], v[1:2], off
	global_load_b128 v[69:72], v[1:2], off offset:16
	global_load_b128 v[57:60], v[3:4], off
	global_load_b128 v[61:64], v[3:4], off offset:16
	;; [unrolled: 2-line block ×3, first 2 shown]
	s_lshl_b64 s[2:3], s[2:3], 1
	s_clause 0x1
	global_load_b128 v[41:44], v[7:8], off
	global_load_b128 v[45:48], v[7:8], off offset:16
	v_add_co_u32 v21, vcc_lo, v170, s2
	v_add_co_ci_u32_e32 v22, vcc_lo, s3, v171, vcc_lo
	s_clause 0x9
	global_load_b128 v[9:12], v[25:26], off
	global_load_b128 v[13:16], v[25:26], off offset:16
	global_load_b128 v[1:4], v[27:28], off
	global_load_b128 v[5:8], v[27:28], off offset:16
	;; [unrolled: 2-line block ×5, first 2 shown]
	ds_load_b128 v[81:84], v169 offset:12288
	ds_load_b128 v[85:88], v169 offset:13312
	v_and_b32_e32 v89, 0xe0, v0
	s_waitcnt vmcnt(28)
	v_wmma_f32_16x16x16_f16 v[137:144], v[97:104], v[129:136], v[137:144]
	v_mbcnt_lo_u32_b32 v97, -1, 0
	s_waitcnt vmcnt(26)
	v_wmma_f32_16x16x16_f16 v[121:128], v[105:112], v[129:136], v[121:128]
	v_add_nc_u32_e32 v98, s12, v89
	ds_load_b128 v[89:92], v169 offset:14336
	ds_load_b128 v[93:96], v169 offset:15360
	v_xor_b32_e32 v99, 16, v97
	s_waitcnt vmcnt(0) lgkmcnt(0)
	s_barrier
	v_or_b32_e32 v98, v98, v75
	buffer_gl0_inv
	v_cmp_gt_i32_e32 vcc_lo, 32, v99
	v_or_b32_e32 v100, 4, v98
	v_or_b32_e32 v101, 22, v98
	;; [unrolled: 1-line block ×4, first 2 shown]
	v_wmma_f32_16x16x16_f16 v[137:144], v[113:120], v[81:88], v[137:144]
	v_wmma_f32_16x16x16_f16 v[121:128], v[145:152], v[81:88], v[121:128]
	v_or_b32_e32 v81, 6, v98
	v_or_b32_e32 v82, 8, v98
	v_or_b32_e32 v83, 10, v98
	v_cmp_gt_i32_e64 s3, s17, v100
	v_or_b32_e32 v84, 12, v98
	v_wmma_f32_16x16x16_f16 v[137:144], v[153:160], v[89:96], v[137:144]
	v_wmma_f32_16x16x16_f16 v[121:128], v[161:168], v[89:96], v[121:128]
	v_cndmask_b32_e32 v97, v97, v99, vcc_lo
	v_or_b32_e32 v99, 2, v98
	v_cmp_gt_i32_e32 vcc_lo, s17, v98
	v_dual_mul_f32 v95, s18, v138 :: v_dual_mul_f32 v96, s18, v137
	v_mul_f32_e32 v93, s18, v140
	s_delay_alu instid0(VALU_DEP_4)
	v_cmp_gt_i32_e64 s2, s17, v99
	v_mul_f32_e32 v94, s18, v139
	v_mul_f32_e32 v110, s18, v124
	v_cndmask_b32_e32 v96, 0xff7fffff, v96, vcc_lo
	v_cmp_gt_i32_e64 s4, s17, v81
	v_cndmask_b32_e64 v95, 0xff7fffff, v95, s2
	v_or_b32_e32 v85, 14, v98
	v_dual_mul_f32 v91, s18, v142 :: v_dual_mul_f32 v92, s18, v141
	v_cndmask_b32_e64 v94, 0xff7fffff, v94, s3
	v_cndmask_b32_e64 v81, 0xff7fffff, v93, s4
	v_max3_f32 v93, v96, 0xff7fffff, v95
	v_cmp_gt_i32_e64 s5, s17, v82
	v_cmp_gt_i32_e64 s6, s17, v83
	v_or_b32_e32 v86, 16, v98
	v_or_b32_e32 v87, 18, v98
	v_dual_mul_f32 v89, s18, v144 :: v_dual_mul_f32 v112, s18, v122
	v_mul_f32_e32 v90, s18, v143
	v_cndmask_b32_e64 v82, 0xff7fffff, v92, s5
	v_cndmask_b32_e64 v83, 0xff7fffff, v91, s6
	v_max3_f32 v81, v93, v94, v81
	v_cmp_gt_i32_e64 s7, s17, v84
	v_cmp_gt_i32_e64 s8, s17, v85
	v_or_b32_e32 v88, 20, v98
	v_mul_f32_e32 v113, s18, v121
	v_max3_f32 v81, v81, v82, v83
	v_cndmask_b32_e64 v84, 0xff7fffff, v90, s7
	v_cndmask_b32_e64 v85, 0xff7fffff, v89, s8
	v_cmp_gt_i32_e64 s9, s17, v86
	v_cmp_gt_i32_e64 s10, s17, v87
	v_mul_f32_e32 v111, s18, v123
	v_cmp_gt_i32_e64 s11, s17, v88
	v_max3_f32 v81, v81, v84, v85
	v_cndmask_b32_e64 v82, 0xff7fffff, v113, s9
	v_cndmask_b32_e64 v83, 0xff7fffff, v112, s10
	v_cmp_gt_i32_e64 s12, s17, v101
	v_or_b32_e32 v104, 28, v98
	v_or_b32_e32 v105, 30, v98
	v_dual_mul_f32 v108, s18, v126 :: v_dual_mul_f32 v109, s18, v125
	v_cndmask_b32_e64 v84, 0xff7fffff, v111, s11
	v_cndmask_b32_e64 v85, 0xff7fffff, v110, s12
	v_max3_f32 v81, v81, v82, v83
	v_cmp_gt_i32_e64 s13, s17, v102
	v_cmp_gt_i32_e64 s15, s17, v103
	v_dual_mul_f32 v106, s18, v128 :: v_dual_mul_f32 v107, s18, v127
	s_delay_alu instid0(VALU_DEP_4) | instskip(NEXT) | instid1(VALU_DEP_4)
	v_max3_f32 v81, v81, v84, v85
	v_cndmask_b32_e64 v82, 0xff7fffff, v109, s13
	s_delay_alu instid0(VALU_DEP_4) | instskip(SKIP_2) | instid1(VALU_DEP_3)
	v_cndmask_b32_e64 v83, 0xff7fffff, v108, s15
	v_cmp_gt_i32_e64 s16, s17, v104
	v_cmp_gt_i32_e64 s17, s17, v105
	v_max3_f32 v81, v81, v82, v83
	s_delay_alu instid0(VALU_DEP_3) | instskip(NEXT) | instid1(VALU_DEP_3)
	v_cndmask_b32_e64 v84, 0xff7fffff, v107, s16
	v_cndmask_b32_e64 v85, 0xff7fffff, v106, s17
	v_lshlrev_b32_e32 v83, 2, v97
	s_delay_alu instid0(VALU_DEP_2) | instskip(SKIP_3) | instid1(VALU_DEP_1)
	v_max3_f32 v81, v81, v84, v85
	ds_bpermute_b32 v82, v83, v81
	s_waitcnt lgkmcnt(0)
	v_max_f32_e32 v82, v82, v82
	v_max_f32_e32 v81, v81, v82
	s_delay_alu instid0(VALU_DEP_1)
	v_fma_f32 v82, s18, v137, -v81
	v_fma_f32 v84, s18, v138, -v81
	;; [unrolled: 1-line block ×5, first 2 shown]
	v_mul_f32_e32 v82, 0x3fb8aa3b, v82
	s_delay_alu instid0(VALU_DEP_4) | instskip(NEXT) | instid1(VALU_DEP_3)
	v_dual_mul_f32 v84, 0x3fb8aa3b, v84 :: v_dual_mul_f32 v85, 0x3fb8aa3b, v85
	v_dual_mul_f32 v86, 0x3fb8aa3b, v86 :: v_dual_mul_f32 v89, 0x3fb8aa3b, v87
	s_delay_alu instid0(VALU_DEP_3) | instskip(NEXT) | instid1(VALU_DEP_2)
	v_exp_f32_e32 v82, v82
	v_exp_f32_e32 v84, v84
	s_delay_alu instid0(VALU_DEP_2) | instskip(NEXT) | instid1(VALU_DEP_1)
	v_exp_f32_e32 v85, v85
	v_exp_f32_e32 v86, v86
	;; [unrolled: 1-line block ×3, first 2 shown]
	v_cndmask_b32_e32 v88, 0, v82, vcc_lo
	v_cndmask_b32_e64 v87, 0, v84, s2
	s_delay_alu instid0(TRANS32_DEP_3)
	v_cndmask_b32_e64 v90, 0, v85, s3
	s_waitcnt_depctr 0xfff
	v_cndmask_b32_e64 v89, 0, v86, s4
	v_cndmask_b32_e64 v92, 0, v92, s5
	v_add_f32_e32 v84, 0, v88
	s_mov_b32 s2, exec_lo
	s_delay_alu instid0(VALU_DEP_1) | instskip(NEXT) | instid1(VALU_DEP_1)
	v_add_f32_e32 v84, v84, v87
	v_add_f32_e32 v84, v84, v90
	s_delay_alu instid0(VALU_DEP_1)
	v_add_f32_e32 v84, v84, v89
	v_fma_f32 v82, s18, v142, -v81
	v_fma_f32 v91, s18, v143, -v81
	;; [unrolled: 1-line block ×5, first 2 shown]
	s_delay_alu instid0(VALU_DEP_4) | instskip(SKIP_1) | instid1(VALU_DEP_4)
	v_dual_mul_f32 v82, 0x3fb8aa3b, v82 :: v_dual_mul_f32 v91, 0x3fb8aa3b, v91
	v_fma_f32 v96, s18, v124, -v81
	v_mul_f32_e32 v86, 0x3fb8aa3b, v86
	s_delay_alu instid0(VALU_DEP_4) | instskip(NEXT) | instid1(VALU_DEP_4)
	v_mul_f32_e32 v95, 0x3fb8aa3b, v94
	v_exp_f32_e32 v82, v82
	v_exp_f32_e32 v93, v91
	v_mul_f32_e32 v97, 0x3fb8aa3b, v96
	v_exp_f32_e32 v86, v86
	v_fma_f32 v99, s18, v127, -v81
	s_delay_alu instid0(VALU_DEP_2) | instskip(SKIP_2) | instid1(TRANS32_DEP_3)
	v_exp_f32_e32 v97, v97
	v_cndmask_b32_e64 v91, 0, v82, s6
	v_dual_add_f32 v82, v84, v92 :: v_dual_mul_f32 v85, 0x3fb8aa3b, v85
	v_cndmask_b32_e64 v94, 0, v93, s7
	v_fma_f32 v84, s18, v123, -v81
	s_delay_alu instid0(TRANS32_DEP_2) | instskip(NEXT) | instid1(VALU_DEP_4)
	v_cndmask_b32_e64 v96, 0, v86, s9
	v_add_f32_e32 v82, v82, v91
	v_exp_f32_e32 v85, v85
	v_fma_f32 v86, s18, v126, -v81
	v_mul_f32_e32 v84, 0x3fb8aa3b, v84
	v_cndmask_b32_e64 v97, 0, v97, s12
	v_add_f32_e32 v82, v82, v94
	s_delay_alu instid0(VALU_DEP_3) | instskip(SKIP_3) | instid1(VALU_DEP_2)
	v_exp_f32_e32 v84, v84
	s_waitcnt_depctr 0xfff
	v_cndmask_b32_e64 v93, 0, v85, s8
	v_fma_f32 v85, s18, v125, -v81
	v_add_f32_e32 v82, v82, v93
	v_exp_f32_e32 v95, v95
	s_delay_alu instid0(VALU_DEP_2)
	v_mul_f32_e32 v85, 0x3fb8aa3b, v85
	v_cndmask_b32_e64 v98, 0, v84, s11
	v_mul_f32_e32 v84, 0x3fb8aa3b, v99
	v_add_f32_e32 v82, v82, v96
	v_fma_f32 v99, s18, v128, -v81
	v_exp_f32_e32 v85, v85
	v_mul_f32_e32 v86, 0x3fb8aa3b, v86
	v_exp_f32_e32 v84, v84
	s_delay_alu instid0(TRANS32_DEP_3) | instskip(NEXT) | instid1(VALU_DEP_1)
	v_cndmask_b32_e64 v95, 0, v95, s10
	v_add_f32_e32 v82, v82, v95
	s_waitcnt_depctr 0xfff
	v_cndmask_b32_e64 v100, 0, v85, s13
	v_mul_f32_e32 v85, 0x3fb8aa3b, v99
	v_exp_f32_e32 v86, v86
	v_cndmask_b32_e64 v102, 0, v84, s16
	v_add_f32_e32 v82, v82, v98
	s_delay_alu instid0(VALU_DEP_3) | instskip(NEXT) | instid1(VALU_DEP_1)
	v_exp_f32_e32 v85, v85
	v_add_f32_e32 v82, v82, v97
	s_waitcnt_depctr 0xfff
	v_cndmask_b32_e64 v99, 0, v86, s15
	v_add_f32_e32 v82, v82, v100
	v_cndmask_b32_e64 v101, 0, v85, s17
	s_delay_alu instid0(VALU_DEP_2) | instskip(NEXT) | instid1(VALU_DEP_1)
	v_add_f32_e32 v82, v82, v99
	v_add_f32_e32 v82, v82, v102
	s_delay_alu instid0(VALU_DEP_1)
	v_add_f32_e32 v82, v82, v101
	ds_bpermute_b32 v83, v83, v82
	v_cmpx_gt_u32_e32 16, v80
	s_cbranch_execz .LBB335_14
; %bb.13:
	v_mul_u32_u24_e32 v80, 0x44, v78
	s_waitcnt lgkmcnt(0)
	v_add_f32_e32 v82, v82, v83
	s_delay_alu instid0(VALU_DEP_2) | instskip(NEXT) | instid1(VALU_DEP_1)
	v_lshl_add_u32 v80, v77, 2, v80
	v_add_nc_u32_e32 v80, 0x4000, v80
	ds_store_2addr_b32 v80, v81, v82 offset1:136
.LBB335_14:
	s_or_b32 exec_lo, exec_lo, s2
	v_lshlrev_b32_e32 v80, 2, v77
	s_load_b32 s34, s[0:1], 0x94
	s_waitcnt lgkmcnt(0)
	s_barrier
	buffer_gl0_inv
	v_add_nc_u32_e32 v84, 0x4000, v80
	v_cmp_eq_u32_e32 vcc_lo, 1, v78
	v_cmp_eq_u32_e64 s2, 2, v78
	v_cmp_eq_u32_e64 s3, 3, v78
	;; [unrolled: 1-line block ×3, first 2 shown]
	ds_load_2addr_b32 v[80:81], v84 offset1:17
	ds_load_2addr_b32 v[82:83], v84 offset0:34 offset1:51
	ds_load_2addr_b32 v[103:104], v84 offset0:68 offset1:85
	;; [unrolled: 1-line block ×3, first 2 shown]
	v_cmp_eq_u32_e64 s5, 7, v78
	s_waitcnt lgkmcnt(3)
	v_max3_f32 v85, v80, 0xff7fffff, v81
	s_waitcnt lgkmcnt(2)
	s_delay_alu instid0(VALU_DEP_1) | instskip(SKIP_1) | instid1(VALU_DEP_1)
	v_max3_f32 v85, v85, v82, v83
	s_waitcnt lgkmcnt(1)
	v_max3_f32 v85, v85, v103, v104
	s_waitcnt lgkmcnt(0)
	s_delay_alu instid0(VALU_DEP_1) | instskip(NEXT) | instid1(VALU_DEP_1)
	v_max3_f32 v85, v85, v105, v106
	v_sub_f32_e32 v103, v103, v85
	ds_load_2addr_b32 v[107:108], v84 offset0:136 offset1:153
	v_sub_f32_e32 v80, v80, v85
	v_dual_sub_f32 v110, v83, v85 :: v_dual_mul_f32 v113, 0x3fb8aa3b, v103
	s_delay_alu instid0(VALU_DEP_2) | instskip(SKIP_3) | instid1(VALU_DEP_1)
	v_dual_sub_f32 v86, v81, v85 :: v_dual_mul_f32 v109, 0x3fb8aa3b, v80
	ds_load_2addr_b32 v[80:81], v84 offset0:170 offset1:187
	v_mul_f32_e32 v86, 0x3fb8aa3b, v86
	v_exp_f32_e32 v109, v109
	v_exp_f32_e32 v112, v86
	v_mul_f32_e32 v110, 0x3fb8aa3b, v110
	s_waitcnt lgkmcnt(1)
	s_waitcnt_depctr 0xfff
	v_fma_f32 v86, v109, v107, 0
	v_sub_f32_e32 v107, v104, v85
	v_sub_f32_e32 v82, v82, v85
	v_exp_f32_e32 v110, v110
	ds_load_2addr_b32 v[103:104], v84 offset0:238 offset1:255
	v_dual_fmac_f32 v86, v112, v108 :: v_dual_mul_f32 v111, 0x3fb8aa3b, v82
	ds_load_2addr_b32 v[82:83], v84 offset0:204 offset1:221
	v_dual_sub_f32 v84, v105, v85 :: v_dual_mul_f32 v105, 0x3fb8aa3b, v107
	v_exp_f32_e32 v107, v113
	v_exp_f32_e32 v111, v111
	s_waitcnt lgkmcnt(0)
	s_delay_alu instid0(VALU_DEP_1)
	v_mul_f32_e32 v84, 0x3fb8aa3b, v84
	v_exp_f32_e32 v105, v105
	s_barrier
	buffer_gl0_inv
	v_fmac_f32_e32 v86, v111, v80
	v_sub_f32_e32 v80, v106, v85
	v_exp_f32_e32 v106, v84
	s_delay_alu instid0(VALU_DEP_2) | instskip(NEXT) | instid1(VALU_DEP_2)
	v_fmac_f32_e32 v86, v110, v81
	v_mul_f32_e32 v80, 0x3fb8aa3b, v80
	s_delay_alu instid0(VALU_DEP_2) | instskip(NEXT) | instid1(VALU_DEP_2)
	v_dual_cndmask_b32 v81, v109, v112 :: v_dual_fmac_f32 v86, v107, v82
	v_exp_f32_e32 v108, v80
	s_delay_alu instid0(VALU_DEP_1) | instskip(SKIP_2) | instid1(VALU_DEP_1)
	v_fmac_f32_e32 v86, v105, v83
	s_waitcnt_depctr 0xfff
	v_fmac_f32_e32 v86, v106, v103
	v_fmac_f32_e32 v86, v108, v104
	s_delay_alu instid0(VALU_DEP_1) | instskip(NEXT) | instid1(VALU_DEP_1)
	v_add_f32_e32 v103, 0x358637bd, v86
	v_div_scale_f32 v104, null, v103, v103, 1.0
	v_div_scale_f32 v109, vcc_lo, 1.0, v103, 1.0
	s_delay_alu instid0(VALU_DEP_2) | instskip(SKIP_2) | instid1(VALU_DEP_1)
	v_rcp_f32_e32 v113, v104
	s_waitcnt_depctr 0xfff
	v_fma_f32 v80, -v104, v113, 1.0
	v_fmac_f32_e32 v113, v80, v113
	v_cndmask_b32_e64 v80, v81, v111, s2
	v_cmp_eq_u32_e64 s2, 4, v78
	v_lshl_or_b32 v81, v78, 11, v79
	s_delay_alu instid0(VALU_DEP_4) | instskip(NEXT) | instid1(VALU_DEP_4)
	v_mul_f32_e32 v111, v109, v113
	v_cndmask_b32_e64 v82, v80, v110, s3
	v_cmp_eq_u32_e64 s3, 6, v78
	s_delay_alu instid0(VALU_DEP_4) | instskip(SKIP_3) | instid1(VALU_DEP_3)
	v_lshl_or_b32 v78, v75, 4, v81
	v_lshlrev_b32_e32 v80, 2, v75
	v_fma_f32 v83, -v104, v111, v109
	v_cndmask_b32_e64 v84, v82, v107, s2
	v_or_b32_e32 v82, 1, v80
	s_delay_alu instid0(VALU_DEP_3) | instskip(NEXT) | instid1(VALU_DEP_3)
	v_fmac_f32_e32 v111, v83, v113
	v_cndmask_b32_e64 v105, v84, v105, s4
	v_or_b32_e32 v84, 2, v80
	v_or_b32_e32 v83, 3, v80
	v_cmp_eq_u32_e64 s2, 1, v80
	v_fma_f32 v104, -v104, v111, v109
	v_cndmask_b32_e64 v105, v105, v106, s3
	v_cmp_eq_u32_e64 s8, 1, v82
	v_cmp_eq_u32_e64 s9, 1, v84
	;; [unrolled: 1-line block ×3, first 2 shown]
	v_div_fmas_f32 v104, v104, v113, v111
	v_cndmask_b32_e64 v105, v105, v108, s5
	v_cmp_eq_u32_e32 vcc_lo, 2, v80
	v_cmp_eq_u32_e64 s11, 2, v82
	v_cmp_eq_u32_e64 s13, 2, v84
	v_div_fixup_f32 v103, v104, v103, 1.0
	v_cmp_eq_u32_e64 s15, 2, v83
	v_cmp_eq_u32_e64 s17, 3, v83
	;; [unrolled: 1-line block ×4, first 2 shown]
	v_mul_f32_e32 v111, v105, v103
	v_cmp_eq_u32_e64 s16, 3, v84
	v_cmp_eq_u32_e64 s21, 4, v83
	v_cmp_eq_u32_e64 s4, 4, v80
	v_cmp_eq_u32_e64 s18, 4, v82
	v_fma_mixlo_f16 v103, v111, v88, 0
	v_fma_mixlo_f16 v104, v111, v90, 0
	;; [unrolled: 1-line block ×8, first 2 shown]
	v_fma_mixhi_f16 v103, v111, v87, 0
	v_fma_mixhi_f16 v104, v111, v89, 0
	;; [unrolled: 1-line block ×8, first 2 shown]
	ds_store_b128 v78, v[103:106]
	ds_store_b128 v78, v[107:110] offset:1024
	s_waitcnt lgkmcnt(0)
	s_barrier
	buffer_gl0_inv
	ds_load_b128 v[87:90], v81
	ds_load_b128 v[91:94], v81 offset:16
	ds_load_b128 v[95:98], v81 offset:1024
	;; [unrolled: 1-line block ×3, first 2 shown]
	v_cmp_eq_u32_e64 s20, 4, v84
	v_cmp_eq_u32_e64 s23, 5, v83
	;; [unrolled: 1-line block ×13, first 2 shown]
	s_waitcnt lgkmcnt(3)
	v_lshrrev_b32_e32 v103, 16, v87
	s_waitcnt lgkmcnt(2)
	v_lshrrev_b32_e32 v107, 16, v91
	;; [unrolled: 2-line block ×4, first 2 shown]
	v_lshrrev_b32_e32 v104, 16, v88
	v_cndmask_b32_e64 v119, v87, v103, s2
	v_cndmask_b32_e64 v120, v91, v107, s2
	;; [unrolled: 1-line block ×8, first 2 shown]
	v_lshrrev_b32_e32 v108, 16, v92
	v_cndmask_b32_e64 v103, v95, v111, s2
	v_cndmask_b32_e64 v107, v99, v115, s2
	;; [unrolled: 1-line block ×5, first 2 shown]
	v_cndmask_b32_e32 v111, v119, v88, vcc_lo
	v_cndmask_b32_e64 v119, v121, v88, s11
	v_cndmask_b32_e64 v121, v123, v88, s13
	;; [unrolled: 1-line block ×4, first 2 shown]
	v_lshrrev_b32_e32 v112, 16, v96
	v_lshrrev_b32_e32 v116, 16, v100
	v_cndmask_b32_e64 v126, v99, v115, s8
	v_cndmask_b32_e64 v128, v99, v115, s9
	;; [unrolled: 1-line block ×3, first 2 shown]
	v_cndmask_b32_e32 v115, v120, v92, vcc_lo
	v_cndmask_b32_e64 v120, v122, v92, s11
	v_cndmask_b32_e64 v122, v124, v92, s13
	v_cndmask_b32_e32 v91, v103, v96, vcc_lo
	v_cndmask_b32_e32 v92, v107, v100, vcc_lo
	v_cndmask_b32_e64 v103, v125, v96, s11
	v_cndmask_b32_e64 v87, v87, v104, s17
	;; [unrolled: 1-line block ×3, first 2 shown]
	v_lshrrev_b32_e32 v105, 16, v89
	v_lshrrev_b32_e32 v109, 16, v93
	v_cndmask_b32_e64 v107, v127, v96, s13
	v_cndmask_b32_e64 v95, v95, v96, s15
	;; [unrolled: 1-line block ×14, first 2 shown]
	v_lshrrev_b32_e32 v113, 16, v97
	v_cndmask_b32_e64 v99, v99, v89, s4
	v_cndmask_b32_e64 v104, v111, v93, s4
	v_cndmask_b32_e64 v108, v115, v89, s18
	v_cndmask_b32_e64 v111, v119, v93, s18
	v_cndmask_b32_e64 v115, v120, v89, s20
	v_cndmask_b32_e64 v119, v121, v93, s20
	v_cndmask_b32_e64 v89, v91, v97, s4
	v_cndmask_b32_e64 v91, v92, v101, s4
	v_cndmask_b32_e64 v92, v103, v97, s18
	v_cndmask_b32_e64 v87, v87, v105, s23
	v_cndmask_b32_e64 v88, v88, v109, s23
	v_lshrrev_b32_e32 v106, 16, v90
	v_lshrrev_b32_e32 v110, 16, v94
	v_cndmask_b32_e64 v93, v99, v105, s5
	v_cndmask_b32_e64 v99, v104, v109, s5
	;; [unrolled: 1-line block ×9, first 2 shown]
	v_lshrrev_b32_e32 v114, 16, v98
	v_cndmask_b32_e64 v89, v89, v113, s5
	v_cndmask_b32_e64 v93, v93, v90, s6
	;; [unrolled: 1-line block ×19, first 2 shown]
	v_perm_b32 v90, v88, v87, 0x5040100
	v_cndmask_b32_e64 v87, v126, v100, s11
	v_cndmask_b32_e64 v105, v89, v114, s7
	v_perm_b32 v89, v103, v99, 0x5040100
	v_perm_b32 v88, v104, v94, 0x5040100
	v_cndmask_b32_e64 v94, v107, v112, s16
	v_cndmask_b32_e64 v95, v95, v112, s17
	;; [unrolled: 1-line block ×5, first 2 shown]
	v_lshrrev_b32_e32 v117, 16, v101
	v_cndmask_b32_e64 v94, v94, v97, s20
	v_cndmask_b32_e64 v95, v95, v97, s21
	;; [unrolled: 1-line block ×11, first 2 shown]
	v_lshrrev_b32_e32 v118, 16, v102
	v_cndmask_b32_e64 v91, v91, v102, s6
	v_cndmask_b32_e64 v94, v94, v98, s25
	;; [unrolled: 1-line block ×12, first 2 shown]
	v_perm_b32 v87, v93, v92, 0x5040100
	v_perm_b32 v94, v95, v94, 0x5040100
	v_perm_b32 v93, v96, v98, 0x5040100
	v_perm_b32 v92, v97, v106, 0x5040100
	v_perm_b32 v91, v91, v105, 0x5040100
	s_mul_i32 s6, s33, 10
	s_mov_b32 s2, exec_lo
	ds_store_b128 v78, v[87:90]
	ds_store_b128 v78, v[91:94] offset:1024
	v_cmpx_gt_u32_e32 10, v0
	s_cbranch_execz .LBB335_16
; %bb.15:
	s_mul_i32 s3, s6, s30
	s_load_b128 s[8:11], s[0:1], 0x58
	v_add3_u32 v77, s3, s31, v77
	s_delay_alu instid0(VALU_DEP_1) | instskip(NEXT) | instid1(VALU_DEP_1)
	v_mad_u64_u32 v[87:88], null, v77, s34, s[14:15]
	v_ashrrev_i32_e32 v88, 31, v87
	s_delay_alu instid0(VALU_DEP_1) | instskip(SKIP_1) | instid1(VALU_DEP_1)
	v_lshlrev_b64 v[87:88], 2, v[87:88]
	s_waitcnt lgkmcnt(0)
	v_add_co_u32 v89, vcc_lo, s10, v87
	s_delay_alu instid0(VALU_DEP_2)
	v_add_co_ci_u32_e32 v90, vcc_lo, s11, v88, vcc_lo
	v_add_co_u32 v87, vcc_lo, s8, v87
	v_add_co_ci_u32_e32 v88, vcc_lo, s9, v88, vcc_lo
	global_store_b32 v[89:90], v85, off
	global_store_b32 v[87:88], v86, off
.LBB335_16:
	s_or_b32 exec_lo, exec_lo, s2
	s_waitcnt lgkmcnt(0)
	s_waitcnt_vscnt null, 0x0
	s_barrier
	buffer_gl0_inv
	ds_load_b128 v[93:96], v79
	ds_load_b128 v[97:100], v79 offset:16
	ds_load_b128 v[105:108], v79 offset:1040
	;; [unrolled: 1-line block ×5, first 2 shown]
	v_cmp_eq_u32_e32 vcc_lo, 1, v84
	v_mov_b32_e32 v85, 0
	ds_load_b128 v[121:124], v79 offset:3088
	ds_load_b128 v[117:120], v79 offset:3072
	;; [unrolled: 1-line block ×4, first 2 shown]
	v_cmp_eq_u32_e64 s2, 1, v80
	v_cmp_eq_u32_e64 s3, 1, v83
	;; [unrolled: 1-line block ×3, first 2 shown]
	v_mov_b32_e32 v86, v85
	v_mov_b32_e32 v87, v85
	;; [unrolled: 1-line block ×7, first 2 shown]
	v_cmp_eq_u32_e64 s5, 2, v80
	s_waitcnt lgkmcnt(8)
	s_delay_alu instid0(VALU_DEP_2)
	v_wmma_f32_16x16x16_f16 v[85:92], v[65:72], v[93:100], v[85:92]
	ds_load_b128 v[69:72], v79 offset:5136
	ds_load_b128 v[65:68], v79 offset:5120
	ds_load_b128 v[97:100], v79 offset:6160
	ds_load_b128 v[93:96], v79 offset:6144
	s_waitcnt lgkmcnt(10)
	v_wmma_f32_16x16x16_f16 v[85:92], v[57:64], v[101:108], v[85:92]
	s_waitcnt lgkmcnt(8)
	s_delay_alu instid0(VALU_DEP_1)
	v_wmma_f32_16x16x16_f16 v[85:92], v[57:64], v[109:116], v[85:92]
	ds_load_b128 v[61:64], v79 offset:7184
	ds_load_b128 v[57:60], v79 offset:7168
	;; [unrolled: 1-line block ×4, first 2 shown]
	s_waitcnt lgkmcnt(10)
	v_wmma_f32_16x16x16_f16 v[85:92], v[49:56], v[117:124], v[85:92]
	s_waitcnt lgkmcnt(8)
	s_delay_alu instid0(VALU_DEP_1)
	v_wmma_f32_16x16x16_f16 v[85:92], v[49:56], v[125:132], v[85:92]
	ds_load_b128 v[53:56], v79 offset:9232
	ds_load_b128 v[49:52], v79 offset:9216
	s_waitcnt lgkmcnt(8)
	v_wmma_f32_16x16x16_f16 v[85:92], v[41:48], v[65:72], v[85:92]
	ds_load_b128 v[69:72], v79 offset:10256
	ds_load_b128 v[65:68], v79 offset:10240
	s_waitcnt lgkmcnt(8)
	;; [unrolled: 4-line block ×7, first 2 shown]
	s_barrier
	buffer_gl0_inv
	v_wmma_f32_16x16x16_f16 v[85:92], v[33:40], v[41:48], v[85:92]
	s_delay_alu instid0(VALU_DEP_1) | instskip(NEXT) | instid1(VALU_DEP_1)
	v_wmma_f32_16x16x16_f16 v[85:92], v[33:40], v[57:64], v[85:92]
	v_wmma_f32_16x16x16_f16 v[85:92], v[25:32], v[9:16], v[85:92]
	s_delay_alu instid0(VALU_DEP_1) | instskip(NEXT) | instid1(VALU_DEP_1)
	v_wmma_f32_16x16x16_f16 v[85:92], v[25:32], v[49:56], v[85:92]
	v_wmma_f32_16x16x16_f16 v[85:92], v[17:24], v[1:8], v[85:92]
	s_delay_alu instid0(VALU_DEP_1) | instskip(NEXT) | instid1(VALU_DEP_2)
	v_cvt_f16_f32_e32 v1, v85
	v_cvt_f16_f32_e32 v2, v86
	s_delay_alu instid0(VALU_DEP_3) | instskip(NEXT) | instid1(VALU_DEP_4)
	v_cvt_f16_f32_e32 v3, v87
	v_cvt_f16_f32_e32 v4, v88
	;; [unrolled: 1-line block ×6, first 2 shown]
	v_pack_b32_f16 v1, v1, v2
	v_pack_b32_f16 v2, v3, v4
	v_pack_b32_f16 v3, v5, v6
	s_delay_alu instid0(VALU_DEP_4)
	v_pack_b32_f16 v4, v7, v8
	ds_store_b128 v78, v[1:4]
	s_waitcnt lgkmcnt(0)
	s_barrier
	buffer_gl0_inv
	ds_load_b128 v[1:4], v81
	ds_load_b128 v[5:8], v81 offset:16
	s_waitcnt lgkmcnt(1)
	v_lshrrev_b32_e32 v9, 16, v1
	s_waitcnt lgkmcnt(0)
	v_lshrrev_b32_e32 v13, 16, v5
	v_lshrrev_b32_e32 v15, 16, v7
	;; [unrolled: 1-line block ×4, first 2 shown]
	v_cndmask_b32_e64 v17, v1, v9, s2
	v_cndmask_b32_e64 v18, v5, v13, s2
	;; [unrolled: 1-line block ×3, first 2 shown]
	v_cmp_eq_u32_e64 s2, 2, v82
	v_cndmask_b32_e64 v20, v5, v13, s4
	v_cndmask_b32_e32 v21, v1, v9, vcc_lo
	v_cndmask_b32_e32 v22, v5, v13, vcc_lo
	v_cndmask_b32_e64 v1, v1, v9, s3
	v_cndmask_b32_e64 v5, v5, v13, s3
	v_cmp_eq_u32_e32 vcc_lo, 2, v84
	v_cmp_eq_u32_e64 s3, 2, v83
	v_cndmask_b32_e64 v9, v17, v2, s5
	v_cndmask_b32_e64 v13, v18, v6, s5
	;; [unrolled: 1-line block ×4, first 2 shown]
	v_cndmask_b32_e32 v19, v21, v2, vcc_lo
	v_cmp_eq_u32_e64 s2, 3, v84
	v_cndmask_b32_e32 v20, v22, v6, vcc_lo
	v_cndmask_b32_e64 v1, v1, v2, s3
	v_cmp_eq_u32_e32 vcc_lo, 3, v83
	v_cmp_eq_u32_e64 s4, 3, v80
	v_cndmask_b32_e64 v2, v5, v6, s3
	v_cmp_eq_u32_e64 s3, 3, v82
	v_lshrrev_b32_e32 v16, 16, v8
	v_cmp_eq_u32_e64 s5, 4, v80
	v_cndmask_b32_e64 v5, v9, v10, s4
	v_cndmask_b32_e64 v6, v13, v14, s4
	;; [unrolled: 1-line block ×3, first 2 shown]
	v_cmp_eq_u32_e64 s4, 4, v82
	v_cndmask_b32_e64 v13, v18, v14, s3
	v_cndmask_b32_e64 v17, v19, v10, s2
	;; [unrolled: 1-line block ×3, first 2 shown]
	v_cndmask_b32_e32 v1, v1, v10, vcc_lo
	v_cndmask_b32_e32 v2, v2, v14, vcc_lo
	v_cmp_eq_u32_e32 vcc_lo, 4, v84
	v_cmp_eq_u32_e64 s3, 4, v83
	v_lshrrev_b32_e32 v11, 16, v3
	v_cndmask_b32_e64 v5, v5, v3, s5
	v_cndmask_b32_e64 v6, v6, v7, s5
	;; [unrolled: 1-line block ×4, first 2 shown]
	v_cndmask_b32_e32 v13, v17, v3, vcc_lo
	v_cmp_eq_u32_e64 s2, 5, v84
	v_cndmask_b32_e32 v14, v18, v7, vcc_lo
	v_cndmask_b32_e64 v1, v1, v3, s3
	v_cmp_eq_u32_e32 vcc_lo, 5, v83
	v_cmp_eq_u32_e64 s4, 5, v80
	v_cndmask_b32_e64 v2, v2, v7, s3
	v_cmp_eq_u32_e64 s3, 5, v82
	v_cmp_eq_u32_e64 s5, 6, v80
	v_cndmask_b32_e32 v1, v1, v11, vcc_lo
	v_cndmask_b32_e64 v3, v5, v11, s4
	v_cndmask_b32_e64 v5, v6, v15, s4
	;; [unrolled: 1-line block ×3, first 2 shown]
	v_cmp_eq_u32_e64 s4, 6, v82
	v_cndmask_b32_e64 v7, v10, v15, s3
	v_cndmask_b32_e64 v9, v13, v11, s2
	;; [unrolled: 1-line block ×3, first 2 shown]
	v_cndmask_b32_e32 v2, v2, v15, vcc_lo
	v_cmp_eq_u32_e32 vcc_lo, 6, v84
	v_cmp_eq_u32_e64 s2, 6, v83
	v_lshrrev_b32_e32 v12, 16, v4
	v_cndmask_b32_e64 v3, v3, v4, s5
	v_cndmask_b32_e64 v5, v5, v8, s5
	;; [unrolled: 1-line block ×4, first 2 shown]
	v_cndmask_b32_e32 v9, v9, v4, vcc_lo
	v_cmp_eq_u32_e64 s3, 7, v84
	v_cndmask_b32_e32 v10, v10, v8, vcc_lo
	v_cndmask_b32_e64 v1, v1, v4, s2
	v_cmp_eq_u32_e32 vcc_lo, 7, v83
	v_cndmask_b32_e64 v2, v2, v8, s2
	v_cmp_eq_u32_e64 s2, 7, v80
	v_cmp_eq_u32_e64 s4, 7, v82
	v_cndmask_b32_e32 v1, v1, v12, vcc_lo
	s_delay_alu instid0(VALU_DEP_4) | instskip(NEXT) | instid1(VALU_DEP_4)
	v_cndmask_b32_e32 v2, v2, v16, vcc_lo
	v_cndmask_b32_e64 v8, v3, v12, s2
	s_delay_alu instid0(VALU_DEP_4)
	v_cndmask_b32_e64 v6, v6, v12, s4
	v_cndmask_b32_e64 v3, v9, v12, s3
	;; [unrolled: 1-line block ×5, first 2 shown]
	v_perm_b32 v4, v2, v1, 0x5040100
	s_mov_b32 s2, exec_lo
	v_perm_b32 v3, v9, v3, 0x5040100
	v_perm_b32 v2, v7, v6, 0x5040100
	;; [unrolled: 1-line block ×3, first 2 shown]
	ds_store_b128 v78, v[1:4]
	s_waitcnt lgkmcnt(0)
	s_barrier
	buffer_gl0_inv
	v_cmpx_gt_u32_e32 32, v0
	s_cbranch_execz .LBB335_2
; %bb.17:
	s_load_b64 s[0:1], s[0:1], 0x68
	s_lshl_b32 s4, s34, 7
	v_or_b32_e32 v2, s31, v75
	s_mul_i32 s2, s4, s30
	v_lshlrev_b32_e32 v0, 10, v0
	s_mul_i32 s2, s2, s6
	v_lshlrev_b32_e32 v1, 4, v76
	s_ashr_i32 s3, s2, 31
	v_mul_lo_u32 v20, v2, s4
	s_lshl_b64 s[2:3], s[2:3], 1
	v_lshlrev_b32_e32 v3, 6, v75
	v_and_b32_e32 v0, 0x3800, v0
	s_delay_alu instid0(VALU_DEP_1) | instskip(NEXT) | instid1(VALU_DEP_4)
	v_or3_b32 v16, v0, v1, v3
	v_ashrrev_i32_e32 v21, 31, v20
	ds_load_b128 v[0:3], v16
	ds_load_b128 v[4:7], v16 offset:128
	s_waitcnt lgkmcnt(0)
	s_add_u32 s2, s0, s2
	s_addc_u32 s3, s1, s3
	s_lshl_b32 s0, s14, 7
	ds_load_b128 v[8:11], v16 offset:256
	ds_load_b128 v[12:15], v16 offset:384
	;; [unrolled: 1-line block ×3, first 2 shown]
	s_ashr_i32 s1, s0, 31
	s_delay_alu instid0(SALU_CYCLE_1) | instskip(NEXT) | instid1(SALU_CYCLE_1)
	s_lshl_b64 s[0:1], s[0:1], 1
	s_add_u32 s0, s2, s0
	s_addc_u32 s1, s3, s1
	s_lshl_b32 s2, s34, 8
	v_add_co_u32 v30, vcc_lo, s0, v73
	v_add_nc_u32_e32 v22, s2, v20
	v_lshlrev_b64 v[20:21], 1, v[20:21]
	v_add_co_ci_u32_e32 v31, vcc_lo, s1, v74, vcc_lo
	s_delay_alu instid0(VALU_DEP_3) | instskip(SKIP_1) | instid1(VALU_DEP_4)
	v_add_nc_u32_e32 v24, s2, v22
	v_ashrrev_i32_e32 v23, 31, v22
	v_add_co_u32 v20, vcc_lo, v30, v20
	s_delay_alu instid0(VALU_DEP_4) | instskip(NEXT) | instid1(VALU_DEP_4)
	v_add_co_ci_u32_e32 v21, vcc_lo, v31, v21, vcc_lo
	v_add_nc_u32_e32 v26, s2, v24
	v_ashrrev_i32_e32 v25, 31, v24
	v_lshlrev_b64 v[22:23], 1, v[22:23]
	s_delay_alu instid0(VALU_DEP_3) | instskip(SKIP_1) | instid1(VALU_DEP_4)
	v_add_nc_u32_e32 v28, s2, v26
	v_ashrrev_i32_e32 v27, 31, v26
	v_lshlrev_b64 v[24:25], 1, v[24:25]
	s_delay_alu instid0(VALU_DEP_4) | instskip(NEXT) | instid1(VALU_DEP_4)
	v_add_co_u32 v22, vcc_lo, v30, v22
	v_ashrrev_i32_e32 v29, 31, v28
	s_delay_alu instid0(VALU_DEP_4) | instskip(SKIP_2) | instid1(VALU_DEP_4)
	v_lshlrev_b64 v[26:27], 1, v[26:27]
	v_add_co_ci_u32_e32 v23, vcc_lo, v31, v23, vcc_lo
	v_add_co_u32 v24, vcc_lo, v30, v24
	v_lshlrev_b64 v[28:29], 1, v[28:29]
	v_add_co_ci_u32_e32 v25, vcc_lo, v31, v25, vcc_lo
	v_add_co_u32 v26, vcc_lo, v30, v26
	v_add_co_ci_u32_e32 v27, vcc_lo, v31, v27, vcc_lo
	s_delay_alu instid0(VALU_DEP_4)
	v_add_co_u32 v28, vcc_lo, v30, v28
	v_add_co_ci_u32_e32 v29, vcc_lo, v31, v29, vcc_lo
	s_clause 0x1
	global_store_b128 v[20:21], v[0:3], off
	global_store_b128 v[22:23], v[4:7], off
	s_waitcnt lgkmcnt(2)
	global_store_b128 v[24:25], v[8:11], off
	s_waitcnt lgkmcnt(1)
	;; [unrolled: 2-line block ×3, first 2 shown]
	global_store_b128 v[28:29], v[16:19], off
	s_nop 0
	s_sendmsg sendmsg(MSG_DEALLOC_VGPRS)
	s_endpgm
	.section	.rodata,"a",@progbits
	.p2align	6, 0x0
	.amdhsa_kernel _Z39paged_attention_ll4mi_QKV_mfma16_kernelIDF16_DF16_LN4vllm18Fp8KVCacheDataTypeE0EhLi32ELi128ELi256ELb0ELi10EL8MFMAType0EEvPKT_PKT0_S8_ifPKiSA_SA_iPKfiiiPfSD_PS3_PT2_iSC_SC_
		.amdhsa_group_segment_fixed_size 17472
		.amdhsa_private_segment_fixed_size 0
		.amdhsa_kernarg_size 400
		.amdhsa_user_sgpr_count 13
		.amdhsa_user_sgpr_dispatch_ptr 0
		.amdhsa_user_sgpr_queue_ptr 0
		.amdhsa_user_sgpr_kernarg_segment_ptr 1
		.amdhsa_user_sgpr_dispatch_id 0
		.amdhsa_user_sgpr_private_segment_size 0
		.amdhsa_wavefront_size32 1
		.amdhsa_uses_dynamic_stack 0
		.amdhsa_enable_private_segment 0
		.amdhsa_system_sgpr_workgroup_id_x 1
		.amdhsa_system_sgpr_workgroup_id_y 1
		.amdhsa_system_sgpr_workgroup_id_z 1
		.amdhsa_system_sgpr_workgroup_info 0
		.amdhsa_system_vgpr_workitem_id 0
		.amdhsa_next_free_vgpr 172
		.amdhsa_next_free_sgpr 38
		.amdhsa_reserve_vcc 1
		.amdhsa_float_round_mode_32 0
		.amdhsa_float_round_mode_16_64 0
		.amdhsa_float_denorm_mode_32 3
		.amdhsa_float_denorm_mode_16_64 3
		.amdhsa_dx10_clamp 1
		.amdhsa_ieee_mode 1
		.amdhsa_fp16_overflow 0
		.amdhsa_workgroup_processor_mode 1
		.amdhsa_memory_ordered 1
		.amdhsa_forward_progress 0
		.amdhsa_shared_vgpr_count 0
		.amdhsa_exception_fp_ieee_invalid_op 0
		.amdhsa_exception_fp_denorm_src 0
		.amdhsa_exception_fp_ieee_div_zero 0
		.amdhsa_exception_fp_ieee_overflow 0
		.amdhsa_exception_fp_ieee_underflow 0
		.amdhsa_exception_fp_ieee_inexact 0
		.amdhsa_exception_int_div_zero 0
	.end_amdhsa_kernel
	.section	.text._Z39paged_attention_ll4mi_QKV_mfma16_kernelIDF16_DF16_LN4vllm18Fp8KVCacheDataTypeE0EhLi32ELi128ELi256ELb0ELi10EL8MFMAType0EEvPKT_PKT0_S8_ifPKiSA_SA_iPKfiiiPfSD_PS3_PT2_iSC_SC_,"axG",@progbits,_Z39paged_attention_ll4mi_QKV_mfma16_kernelIDF16_DF16_LN4vllm18Fp8KVCacheDataTypeE0EhLi32ELi128ELi256ELb0ELi10EL8MFMAType0EEvPKT_PKT0_S8_ifPKiSA_SA_iPKfiiiPfSD_PS3_PT2_iSC_SC_,comdat
.Lfunc_end335:
	.size	_Z39paged_attention_ll4mi_QKV_mfma16_kernelIDF16_DF16_LN4vllm18Fp8KVCacheDataTypeE0EhLi32ELi128ELi256ELb0ELi10EL8MFMAType0EEvPKT_PKT0_S8_ifPKiSA_SA_iPKfiiiPfSD_PS3_PT2_iSC_SC_, .Lfunc_end335-_Z39paged_attention_ll4mi_QKV_mfma16_kernelIDF16_DF16_LN4vllm18Fp8KVCacheDataTypeE0EhLi32ELi128ELi256ELb0ELi10EL8MFMAType0EEvPKT_PKT0_S8_ifPKiSA_SA_iPKfiiiPfSD_PS3_PT2_iSC_SC_
                                        ; -- End function
	.section	.AMDGPU.csdata,"",@progbits
; Kernel info:
; codeLenInByte = 7560
; NumSgprs: 40
; NumVgprs: 172
; ScratchSize: 0
; MemoryBound: 0
; FloatMode: 240
; IeeeMode: 1
; LDSByteSize: 17472 bytes/workgroup (compile time only)
; SGPRBlocks: 4
; VGPRBlocks: 21
; NumSGPRsForWavesPerEU: 40
; NumVGPRsForWavesPerEU: 172
; Occupancy: 8
; WaveLimiterHint : 1
; COMPUTE_PGM_RSRC2:SCRATCH_EN: 0
; COMPUTE_PGM_RSRC2:USER_SGPR: 13
; COMPUTE_PGM_RSRC2:TRAP_HANDLER: 0
; COMPUTE_PGM_RSRC2:TGID_X_EN: 1
; COMPUTE_PGM_RSRC2:TGID_Y_EN: 1
; COMPUTE_PGM_RSRC2:TGID_Z_EN: 1
; COMPUTE_PGM_RSRC2:TIDIG_COMP_CNT: 0
	.section	.text._Z39paged_attention_ll4mi_QKV_mfma16_kernelIDF16_DF16_LN4vllm18Fp8KVCacheDataTypeE0EhLi32ELi128ELi256ELb0ELi11EL8MFMAType0EEvPKT_PKT0_S8_ifPKiSA_SA_iPKfiiiPfSD_PS3_PT2_iSC_SC_,"axG",@progbits,_Z39paged_attention_ll4mi_QKV_mfma16_kernelIDF16_DF16_LN4vllm18Fp8KVCacheDataTypeE0EhLi32ELi128ELi256ELb0ELi11EL8MFMAType0EEvPKT_PKT0_S8_ifPKiSA_SA_iPKfiiiPfSD_PS3_PT2_iSC_SC_,comdat
	.protected	_Z39paged_attention_ll4mi_QKV_mfma16_kernelIDF16_DF16_LN4vllm18Fp8KVCacheDataTypeE0EhLi32ELi128ELi256ELb0ELi11EL8MFMAType0EEvPKT_PKT0_S8_ifPKiSA_SA_iPKfiiiPfSD_PS3_PT2_iSC_SC_ ; -- Begin function _Z39paged_attention_ll4mi_QKV_mfma16_kernelIDF16_DF16_LN4vllm18Fp8KVCacheDataTypeE0EhLi32ELi128ELi256ELb0ELi11EL8MFMAType0EEvPKT_PKT0_S8_ifPKiSA_SA_iPKfiiiPfSD_PS3_PT2_iSC_SC_
	.globl	_Z39paged_attention_ll4mi_QKV_mfma16_kernelIDF16_DF16_LN4vllm18Fp8KVCacheDataTypeE0EhLi32ELi128ELi256ELb0ELi11EL8MFMAType0EEvPKT_PKT0_S8_ifPKiSA_SA_iPKfiiiPfSD_PS3_PT2_iSC_SC_
	.p2align	8
	.type	_Z39paged_attention_ll4mi_QKV_mfma16_kernelIDF16_DF16_LN4vllm18Fp8KVCacheDataTypeE0EhLi32ELi128ELi256ELb0ELi11EL8MFMAType0EEvPKT_PKT0_S8_ifPKiSA_SA_iPKfiiiPfSD_PS3_PT2_iSC_SC_,@function
_Z39paged_attention_ll4mi_QKV_mfma16_kernelIDF16_DF16_LN4vllm18Fp8KVCacheDataTypeE0EhLi32ELi128ELi256ELb0ELi11EL8MFMAType0EEvPKT_PKT0_S8_ifPKiSA_SA_iPKfiiiPfSD_PS3_PT2_iSC_SC_: ; @_Z39paged_attention_ll4mi_QKV_mfma16_kernelIDF16_DF16_LN4vllm18Fp8KVCacheDataTypeE0EhLi32ELi128ELi256ELb0ELi11EL8MFMAType0EEvPKT_PKT0_S8_ifPKiSA_SA_iPKfiiiPfSD_PS3_PT2_iSC_SC_
; %bb.0:
	s_load_b64 s[2:3], s[0:1], 0x30
	s_mov_b32 s34, s13
	s_waitcnt lgkmcnt(0)
	s_cmp_lg_u64 s[2:3], 0
	s_cselect_b32 s6, -1, 0
	s_ashr_i32 s35, s13, 31
	s_cmp_eq_u64 s[2:3], 0
	s_cbranch_scc1 .LBB336_3
; %bb.1:
	s_lshl_b64 s[4:5], s[34:35], 2
	s_delay_alu instid0(SALU_CYCLE_1) | instskip(SKIP_4) | instid1(SALU_CYCLE_1)
	s_add_u32 s4, s2, s4
	s_addc_u32 s5, s3, s5
	s_load_b64 s[4:5], s[4:5], 0x0
	s_waitcnt lgkmcnt(0)
	s_sub_i32 s4, s5, s4
	s_cmp_eq_u32 s4, 1
	s_cselect_b32 s4, -1, 0
	s_delay_alu instid0(SALU_CYCLE_1)
	s_and_not1_b32 vcc_lo, exec_lo, s4
	s_cbranch_vccz .LBB336_4
.LBB336_2:
	s_nop 0
	s_sendmsg sendmsg(MSG_DEALLOC_VGPRS)
	s_endpgm
.LBB336_3:
.LBB336_4:
	s_load_b64 s[8:9], s[0:1], 0x28
	s_lshl_b64 s[4:5], s[34:35], 2
	s_waitcnt lgkmcnt(0)
	s_add_u32 s8, s8, s4
	s_addc_u32 s9, s9, s5
	s_lshl_b32 s12, s14, 8
	s_load_b32 s17, s[8:9], 0x0
	s_waitcnt lgkmcnt(0)
	s_cmp_ge_i32 s12, s17
	s_cbranch_scc1 .LBB336_2
; %bb.5:
	s_and_not1_b32 vcc_lo, exec_lo, s6
	s_cbranch_vccnz .LBB336_7
; %bb.6:
	s_add_u32 s2, s2, s4
	s_addc_u32 s3, s3, s5
	s_load_b32 s13, s[2:3], 0x0
	s_branch .LBB336_8
.LBB336_7:
	s_mov_b32 s13, s34
.LBB336_8:
	s_clause 0x2
	s_load_b128 s[8:11], s[0:1], 0x8
	s_load_b64 s[2:3], s[0:1], 0x20
	s_load_b128 s[4:7], s[0:1], 0x48
	v_lshrrev_b32_e32 v78, 5, v0
	v_bfe_u32 v75, v0, 4, 1
	v_and_b32_e32 v77, 15, v0
	s_waitcnt lgkmcnt(0)
	s_mov_b32 s7, exec_lo
	s_delay_alu instid0(VALU_DEP_2) | instskip(NEXT) | instid1(VALU_DEP_2)
	v_lshl_or_b32 v3, v78, 1, v75
	v_lshlrev_b32_e32 v1, 3, v77
	s_delay_alu instid0(VALU_DEP_2)
	v_cmpx_lt_u32_e32 10, v3
	s_xor_b32 s7, exec_lo, s7
; %bb.9:
	v_mov_b32_e32 v2, 0
                                        ; implicit-def: $vgpr3
; %bb.10:
	s_or_saveexec_b32 s7, s7
	v_and_b32_e32 v80, 31, v0
	v_and_b32_e32 v76, 1, v0
	s_mul_i32 s31, s15, 11
	s_xor_b32 exec_lo, exec_lo, s7
	s_cbranch_execz .LBB336_12
; %bb.11:
	s_load_b64 s[18:19], s[0:1], 0x0
	v_add_lshl_u32 v4, v3, s31, 7
	s_mul_hi_i32 s21, s13, s4
	s_mul_i32 s20, s13, s4
	v_lshlrev_b32_e32 v2, 1, v1
	s_lshl_b64 s[20:21], s[20:21], 1
	v_ashrrev_i32_e32 v5, 31, v4
	v_lshlrev_b32_e32 v3, 6, v3
	v_lshlrev_b32_e32 v8, 10, v76
	s_delay_alu instid0(VALU_DEP_3) | instskip(SKIP_3) | instid1(VALU_DEP_1)
	v_lshlrev_b64 v[4:5], 1, v[4:5]
	s_waitcnt lgkmcnt(0)
	s_add_u32 s4, s18, s20
	s_addc_u32 s13, s19, s21
	v_add_co_u32 v4, vcc_lo, s4, v4
	s_delay_alu instid0(VALU_DEP_2) | instskip(NEXT) | instid1(VALU_DEP_2)
	v_add_co_ci_u32_e32 v5, vcc_lo, s13, v5, vcc_lo
	v_add_co_u32 v4, vcc_lo, v4, v2
	s_delay_alu instid0(VALU_DEP_2) | instskip(SKIP_3) | instid1(VALU_DEP_1)
	v_add_co_ci_u32_e32 v5, vcc_lo, 0, v5, vcc_lo
	v_lshlrev_b32_e32 v2, 10, v77
	global_load_b128 v[4:7], v[4:5], off
	v_and_b32_e32 v2, 0x3800, v2
	v_or3_b32 v3, v2, v8, v3
	v_mov_b32_e32 v2, 0
	s_waitcnt vmcnt(0)
	ds_store_b128 v3, v[4:7]
.LBB336_12:
	s_or_b32 exec_lo, exec_lo, s7
	v_and_b32_e32 v3, 0xef, v0
	s_add_i32 s4, s17, 31
	s_clause 0x1
	s_load_b32 s7, s[0:1], 0x38
	s_load_b32 s33, s[0:1], 0x98
	s_ashr_i32 s13, s4, 31
	v_add_nc_u32_e32 v3, s12, v3
	s_lshr_b32 s13, s13, 27
	s_load_b32 s18, s[0:1], 0x1c
	s_add_i32 s4, s4, s13
	s_waitcnt lgkmcnt(0)
	v_ashrrev_i32_e32 v4, 31, v3
	v_cmp_gt_i32_e32 vcc_lo, s17, v3
	s_ashr_i32 s4, s4, 5
	s_barrier
	s_add_i32 s4, s4, -1
	v_lshrrev_b32_e32 v5, 27, v4
	v_or_b32_e32 v4, 16, v3
	buffer_gl0_inv
	v_lshlrev_b64 v[73:74], 1, v[1:2]
	v_lshlrev_b32_e32 v79, 6, v77
	v_add_nc_u32_e32 v6, v3, v5
	v_add_nc_u32_e32 v5, v4, v5
	s_mul_i32 s20, s34, s7
	s_delay_alu instid0(SALU_CYCLE_1) | instskip(NEXT) | instid1(VALU_DEP_2)
	s_ashr_i32 s21, s20, 31
	v_ashrrev_i32_e32 v6, 5, v6
	s_delay_alu instid0(VALU_DEP_2) | instskip(SKIP_1) | instid1(SALU_CYCLE_1)
	v_ashrrev_i32_e32 v5, 5, v5
	s_lshl_b64 s[20:21], s[20:21], 2
	s_add_u32 s13, s2, s20
	s_delay_alu instid0(VALU_DEP_2) | instskip(SKIP_3) | instid1(SALU_CYCLE_1)
	v_cndmask_b32_e32 v3, s4, v6, vcc_lo
	v_cmp_gt_i32_e32 vcc_lo, s17, v4
	s_addc_u32 s16, s3, s21
	s_mul_i32 s2, s15, s6
	s_ashr_i32 s3, s2, 31
	v_cndmask_b32_e32 v5, s4, v5, vcc_lo
	v_ashrrev_i32_e32 v4, 31, v3
	s_lshl_b64 s[2:3], s[2:3], 1
	s_delay_alu instid0(SALU_CYCLE_1) | instskip(NEXT) | instid1(VALU_DEP_2)
	s_add_u32 s15, s8, s2
	v_ashrrev_i32_e32 v6, 31, v5
	s_delay_alu instid0(VALU_DEP_2) | instskip(SKIP_2) | instid1(VALU_DEP_2)
	v_lshlrev_b64 v[3:4], 2, v[3:4]
	s_addc_u32 s19, s9, s3
	s_lshl_b32 s6, s14, 3
	v_lshlrev_b64 v[5:6], 2, v[5:6]
	s_ashr_i32 s7, s6, 31
	s_delay_alu instid0(VALU_DEP_2) | instskip(SKIP_1) | instid1(VALU_DEP_3)
	v_add_co_u32 v3, vcc_lo, s13, v3
	v_add_co_ci_u32_e32 v4, vcc_lo, s16, v4, vcc_lo
	v_add_co_u32 v5, vcc_lo, s13, v5
	s_delay_alu instid0(VALU_DEP_4)
	v_add_co_ci_u32_e32 v6, vcc_lo, s16, v6, vcc_lo
	s_lshl_b64 s[6:7], s[6:7], 2
	s_clause 0x1
	global_load_b32 v7, v[3:4], off
	global_load_b32 v8, v[5:6], off
	s_add_u32 s6, s13, s6
	s_addc_u32 s7, s16, s7
	s_or_b32 s8, s12, 32
	s_delay_alu instid0(SALU_CYCLE_1) | instskip(SKIP_2) | instid1(SALU_CYCLE_1)
	s_ashr_i32 s9, s8, 5
	s_cmp_lt_i32 s8, s17
	s_cselect_b32 s8, s9, s4
	s_ashr_i32 s9, s8, 31
	s_delay_alu instid0(SALU_CYCLE_1) | instskip(NEXT) | instid1(SALU_CYCLE_1)
	s_lshl_b64 s[8:9], s[8:9], 2
	s_add_u32 s8, s13, s8
	s_addc_u32 s9, s16, s9
	s_or_b32 s20, s12, 64
	s_delay_alu instid0(SALU_CYCLE_1) | instskip(SKIP_2) | instid1(SALU_CYCLE_1)
	s_ashr_i32 s21, s20, 5
	s_cmp_lt_i32 s20, s17
	s_cselect_b32 s20, s21, s4
	s_ashr_i32 s21, s20, 31
	s_delay_alu instid0(SALU_CYCLE_1) | instskip(NEXT) | instid1(SALU_CYCLE_1)
	s_lshl_b64 s[20:21], s[20:21], 2
	;; [unrolled: 10-line block ×5, first 2 shown]
	s_add_u32 s26, s13, s26
	s_addc_u32 s27, s16, s27
	s_clause 0x5
	s_load_b32 s28, s[6:7], 0x0
	s_load_b32 s29, s[8:9], 0x0
	;; [unrolled: 1-line block ×6, first 2 shown]
	s_mov_b32 s20, 0
	s_or_b32 s6, s12, 0xc0
	s_mov_b32 s21, s20
	s_mov_b32 s22, s20
	;; [unrolled: 1-line block ×7, first 2 shown]
	s_ashr_i32 s7, s6, 5
	v_mov_b32_e32 v128, s27
	s_cmp_lt_i32 s6, s17
	v_mov_b32_e32 v127, s26
	s_cselect_b32 s6, s7, s4
	v_mov_b32_e32 v126, s25
	s_ashr_i32 s7, s6, 31
	v_mov_b32_e32 v125, s24
	s_lshl_b64 s[6:7], s[6:7], 2
	v_mov_b32_e32 v124, s23
	s_add_u32 s6, s13, s6
	s_addc_u32 s7, s16, s7
	v_mov_b32_e32 v123, s22
	v_mov_b32_e32 v121, s20
	s_waitcnt lgkmcnt(0)
	s_mul_hi_i32 s9, s28, s5
	s_mul_i32 s8, s28, s5
	s_mul_hi_i32 s37, s38, s5
	v_mov_b32_e32 v122, s21
	s_mul_hi_i32 s21, s29, s5
	s_mul_i32 s20, s29, s5
	s_mul_hi_i32 s25, s30, s5
	s_mul_i32 s24, s30, s5
	;; [unrolled: 2-line block ×3, first 2 shown]
	s_waitcnt vmcnt(1)
	v_mad_i64_i32 v[3:4], null, v7, s5, 0
	s_waitcnt vmcnt(0)
	v_mad_i64_i32 v[5:6], null, v8, s5, 0
	s_delay_alu instid0(VALU_DEP_2) | instskip(NEXT) | instid1(VALU_DEP_2)
	v_lshlrev_b64 v[3:4], 1, v[3:4]
	v_lshlrev_b64 v[1:2], 1, v[5:6]
	s_delay_alu instid0(VALU_DEP_2) | instskip(NEXT) | instid1(VALU_DEP_3)
	v_add_co_u32 v3, vcc_lo, s15, v3
	v_add_co_ci_u32_e32 v4, vcc_lo, s19, v4, vcc_lo
	s_delay_alu instid0(VALU_DEP_3) | instskip(NEXT) | instid1(VALU_DEP_4)
	v_add_co_u32 v1, vcc_lo, s15, v1
	v_add_co_ci_u32_e32 v2, vcc_lo, s19, v2, vcc_lo
	s_delay_alu instid0(VALU_DEP_4) | instskip(NEXT) | instid1(VALU_DEP_4)
	v_add_co_u32 v65, vcc_lo, v3, v73
	v_add_co_ci_u32_e32 v66, vcc_lo, v4, v74, vcc_lo
	s_delay_alu instid0(VALU_DEP_4) | instskip(NEXT) | instid1(VALU_DEP_4)
	v_add_co_u32 v67, vcc_lo, v1, v73
	v_add_co_ci_u32_e32 v68, vcc_lo, v2, v74, vcc_lo
	s_clause 0xf
	global_load_b128 v[1:4], v[65:66], off
	global_load_b128 v[5:8], v[65:66], off offset:512
	global_load_b128 v[9:12], v[67:68], off offset:256
	;; [unrolled: 1-line block ×15, first 2 shown]
	v_add_co_u32 v157, vcc_lo, 0x1000, v65
	v_add_co_ci_u32_e32 v158, vcc_lo, 0, v66, vcc_lo
	v_add_co_u32 v165, vcc_lo, 0x1000, v67
	v_add_co_ci_u32_e32 v166, vcc_lo, 0, v68, vcc_lo
	s_clause 0x7
	global_load_b128 v[81:84], v[157:158], off
	global_load_b128 v[85:88], v[157:158], off offset:512
	global_load_b128 v[89:92], v[165:166], off offset:256
	;; [unrolled: 1-line block ×7, first 2 shown]
	v_add_nc_u32_e32 v65, -11, v77
	v_cmp_gt_u32_e32 vcc_lo, 11, v77
	s_or_b32 s15, s12, 0xe0
	s_delay_alu instid0(SALU_CYCLE_1) | instskip(SKIP_3) | instid1(SALU_CYCLE_1)
	s_ashr_i32 s19, s15, 5
	s_cmp_lt_i32 s15, s17
	v_cndmask_b32_e32 v65, v65, v77, vcc_lo
	s_cselect_b32 s22, s19, s4
	s_ashr_i32 s23, s22, 31
	s_delay_alu instid0(VALU_DEP_1)
	v_lshlrev_b32_e32 v169, 6, v65
	ds_load_b128 v[65:68], v169
	ds_load_b128 v[69:72], v169 offset:1024
	s_clause 0x1
	global_load_b128 v[113:116], v[157:158], off offset:2048
	global_load_b128 v[117:120], v[157:158], off offset:2560
	ds_load_b128 v[129:132], v169 offset:2048
	ds_load_b128 v[133:136], v169 offset:3072
	s_clause 0x5
	global_load_b128 v[145:148], v[165:166], off offset:2304
	global_load_b128 v[149:152], v[165:166], off offset:2816
	;; [unrolled: 1-line block ×6, first 2 shown]
	s_lshl_b64 s[22:23], s[22:23], 2
	s_delay_alu instid0(SALU_CYCLE_1) | instskip(SKIP_2) | instid1(SALU_CYCLE_1)
	s_add_u32 s22, s13, s22
	s_addc_u32 s23, s16, s23
	s_add_i32 s15, s12, 0x100
	s_ashr_i32 s19, s15, 5
	s_cmp_lt_i32 s15, s17
	s_cselect_b32 s28, s19, s4
	s_delay_alu instid0(SALU_CYCLE_1) | instskip(NEXT) | instid1(SALU_CYCLE_1)
	s_ashr_i32 s29, s28, 31
	s_lshl_b64 s[28:29], s[28:29], 2
	s_delay_alu instid0(SALU_CYCLE_1)
	s_add_u32 s28, s13, s28
	s_addc_u32 s29, s16, s29
	s_add_u32 s4, s10, s2
	s_addc_u32 s19, s11, s3
	s_lshl_b64 s[2:3], s[8:9], 1
	s_lshl_b64 s[8:9], s[20:21], 1
	;; [unrolled: 1-line block ×4, first 2 shown]
	s_waitcnt vmcnt(30) lgkmcnt(2)
	v_wmma_f32_16x16x16_f16 v[137:144], v[1:8], v[65:72], v[121:128]
	ds_load_b128 v[1:4], v169 offset:4096
	ds_load_b128 v[5:8], v169 offset:5120
	s_waitcnt vmcnt(28)
	v_wmma_f32_16x16x16_f16 v[121:128], v[9:16], v[65:72], v[121:128]
	ds_load_b128 v[9:12], v169 offset:6144
	ds_load_b128 v[13:16], v169 offset:7168
	s_waitcnt vmcnt(26) lgkmcnt(4)
	v_wmma_f32_16x16x16_f16 v[137:144], v[17:24], v[129:136], v[137:144]
	ds_load_b128 v[17:20], v169 offset:8192
	ds_load_b128 v[21:24], v169 offset:9216
	s_waitcnt vmcnt(24)
	v_wmma_f32_16x16x16_f16 v[121:128], v[25:32], v[129:136], v[121:128]
	v_lshl_or_b32 v25, v78, 10, v79
	ds_load_b128 v[129:132], v169 offset:10240
	ds_load_b128 v[133:136], v169 offset:11264
	s_clause 0x2
	s_load_b32 s15, s[6:7], 0x0
	s_load_b32 s13, s[22:23], 0x0
	;; [unrolled: 1-line block ×3, first 2 shown]
	s_mul_hi_i32 s7, s36, s5
	v_add_co_u32 v170, s4, s4, v25
	s_delay_alu instid0(VALU_DEP_1)
	v_add_co_ci_u32_e64 v171, null, s19, 0, s4
	s_mul_i32 s6, s36, s5
	s_mul_i32 s36, s38, s5
	s_lshl_b64 s[6:7], s[6:7], 1
	s_lshl_b64 s[22:23], s[36:37], 1
	s_waitcnt vmcnt(22) lgkmcnt(0)
	v_wmma_f32_16x16x16_f16 v[137:144], v[33:40], v[1:8], v[137:144]
	s_waitcnt vmcnt(20)
	v_wmma_f32_16x16x16_f16 v[121:128], v[41:48], v[1:8], v[121:128]
	v_add_co_u32 v1, vcc_lo, v170, s2
	v_add_co_ci_u32_e32 v2, vcc_lo, s3, v171, vcc_lo
	v_add_co_u32 v3, vcc_lo, v170, s8
	v_add_co_ci_u32_e32 v4, vcc_lo, s9, v171, vcc_lo
	;; [unrolled: 2-line block ×4, first 2 shown]
	v_add_co_u32 v25, vcc_lo, v170, s6
	s_mul_hi_i32 s25, s15, s5
	s_mul_i32 s24, s15, s5
	v_add_co_ci_u32_e32 v26, vcc_lo, s7, v171, vcc_lo
	v_add_co_u32 v27, vcc_lo, v170, s22
	s_lshl_b64 s[24:25], s[24:25], 1
	s_waitcnt vmcnt(18)
	v_wmma_f32_16x16x16_f16 v[137:144], v[49:56], v[9:16], v[137:144]
	s_waitcnt vmcnt(16)
	v_wmma_f32_16x16x16_f16 v[121:128], v[57:64], v[9:16], v[121:128]
	v_add_co_ci_u32_e32 v28, vcc_lo, s23, v171, vcc_lo
	s_mul_hi_i32 s3, s13, s5
	s_mul_i32 s2, s13, s5
	v_add_co_u32 v29, vcc_lo, v170, s24
	s_lshl_b64 s[2:3], s[2:3], 1
	v_add_co_ci_u32_e32 v30, vcc_lo, s25, v171, vcc_lo
	s_waitcnt vmcnt(14)
	v_wmma_f32_16x16x16_f16 v[137:144], v[81:88], v[17:24], v[137:144]
	s_waitcnt vmcnt(12)
	v_wmma_f32_16x16x16_f16 v[121:128], v[89:96], v[17:24], v[121:128]
	v_add_co_u32 v17, vcc_lo, v170, s2
	v_add_co_ci_u32_e32 v18, vcc_lo, s3, v171, vcc_lo
	s_mul_hi_i32 s3, s16, s5
	s_mul_i32 s2, s16, s5
	s_clause 0x5
	global_load_b128 v[65:68], v[1:2], off
	global_load_b128 v[69:72], v[1:2], off offset:16
	global_load_b128 v[57:60], v[3:4], off
	global_load_b128 v[61:64], v[3:4], off offset:16
	;; [unrolled: 2-line block ×3, first 2 shown]
	s_lshl_b64 s[2:3], s[2:3], 1
	s_clause 0x1
	global_load_b128 v[41:44], v[7:8], off
	global_load_b128 v[45:48], v[7:8], off offset:16
	v_add_co_u32 v21, vcc_lo, v170, s2
	v_add_co_ci_u32_e32 v22, vcc_lo, s3, v171, vcc_lo
	s_clause 0x9
	global_load_b128 v[9:12], v[25:26], off
	global_load_b128 v[13:16], v[25:26], off offset:16
	global_load_b128 v[1:4], v[27:28], off
	global_load_b128 v[5:8], v[27:28], off offset:16
	;; [unrolled: 2-line block ×5, first 2 shown]
	ds_load_b128 v[81:84], v169 offset:12288
	ds_load_b128 v[85:88], v169 offset:13312
	v_and_b32_e32 v89, 0xe0, v0
	s_waitcnt vmcnt(28)
	v_wmma_f32_16x16x16_f16 v[137:144], v[97:104], v[129:136], v[137:144]
	v_mbcnt_lo_u32_b32 v97, -1, 0
	s_waitcnt vmcnt(26)
	v_wmma_f32_16x16x16_f16 v[121:128], v[105:112], v[129:136], v[121:128]
	v_add_nc_u32_e32 v98, s12, v89
	ds_load_b128 v[89:92], v169 offset:14336
	ds_load_b128 v[93:96], v169 offset:15360
	v_xor_b32_e32 v99, 16, v97
	s_waitcnt vmcnt(0) lgkmcnt(0)
	s_barrier
	v_or_b32_e32 v98, v98, v75
	buffer_gl0_inv
	v_cmp_gt_i32_e32 vcc_lo, 32, v99
	v_or_b32_e32 v100, 4, v98
	v_or_b32_e32 v101, 22, v98
	;; [unrolled: 1-line block ×4, first 2 shown]
	v_wmma_f32_16x16x16_f16 v[137:144], v[113:120], v[81:88], v[137:144]
	v_wmma_f32_16x16x16_f16 v[121:128], v[145:152], v[81:88], v[121:128]
	v_or_b32_e32 v81, 6, v98
	v_or_b32_e32 v82, 8, v98
	;; [unrolled: 1-line block ×3, first 2 shown]
	v_cmp_gt_i32_e64 s3, s17, v100
	v_or_b32_e32 v84, 12, v98
	v_wmma_f32_16x16x16_f16 v[137:144], v[153:160], v[89:96], v[137:144]
	v_wmma_f32_16x16x16_f16 v[121:128], v[161:168], v[89:96], v[121:128]
	v_cndmask_b32_e32 v97, v97, v99, vcc_lo
	v_or_b32_e32 v99, 2, v98
	v_cmp_gt_i32_e32 vcc_lo, s17, v98
	v_dual_mul_f32 v95, s18, v138 :: v_dual_mul_f32 v96, s18, v137
	v_mul_f32_e32 v93, s18, v140
	s_delay_alu instid0(VALU_DEP_4)
	v_cmp_gt_i32_e64 s2, s17, v99
	v_mul_f32_e32 v94, s18, v139
	v_mul_f32_e32 v110, s18, v124
	v_cndmask_b32_e32 v96, 0xff7fffff, v96, vcc_lo
	v_cmp_gt_i32_e64 s4, s17, v81
	v_cndmask_b32_e64 v95, 0xff7fffff, v95, s2
	v_or_b32_e32 v85, 14, v98
	v_dual_mul_f32 v91, s18, v142 :: v_dual_mul_f32 v92, s18, v141
	v_cndmask_b32_e64 v94, 0xff7fffff, v94, s3
	v_cndmask_b32_e64 v81, 0xff7fffff, v93, s4
	v_max3_f32 v93, v96, 0xff7fffff, v95
	v_cmp_gt_i32_e64 s5, s17, v82
	v_cmp_gt_i32_e64 s6, s17, v83
	v_or_b32_e32 v86, 16, v98
	v_or_b32_e32 v87, 18, v98
	v_dual_mul_f32 v89, s18, v144 :: v_dual_mul_f32 v112, s18, v122
	v_mul_f32_e32 v90, s18, v143
	v_cndmask_b32_e64 v82, 0xff7fffff, v92, s5
	v_cndmask_b32_e64 v83, 0xff7fffff, v91, s6
	v_max3_f32 v81, v93, v94, v81
	v_cmp_gt_i32_e64 s7, s17, v84
	v_cmp_gt_i32_e64 s8, s17, v85
	v_or_b32_e32 v88, 20, v98
	v_mul_f32_e32 v113, s18, v121
	v_max3_f32 v81, v81, v82, v83
	v_cndmask_b32_e64 v84, 0xff7fffff, v90, s7
	v_cndmask_b32_e64 v85, 0xff7fffff, v89, s8
	v_cmp_gt_i32_e64 s9, s17, v86
	v_cmp_gt_i32_e64 s10, s17, v87
	v_mul_f32_e32 v111, s18, v123
	v_cmp_gt_i32_e64 s11, s17, v88
	v_max3_f32 v81, v81, v84, v85
	v_cndmask_b32_e64 v82, 0xff7fffff, v113, s9
	v_cndmask_b32_e64 v83, 0xff7fffff, v112, s10
	v_cmp_gt_i32_e64 s12, s17, v101
	v_or_b32_e32 v104, 28, v98
	v_or_b32_e32 v105, 30, v98
	v_dual_mul_f32 v108, s18, v126 :: v_dual_mul_f32 v109, s18, v125
	v_cndmask_b32_e64 v84, 0xff7fffff, v111, s11
	v_cndmask_b32_e64 v85, 0xff7fffff, v110, s12
	v_max3_f32 v81, v81, v82, v83
	v_cmp_gt_i32_e64 s13, s17, v102
	v_cmp_gt_i32_e64 s15, s17, v103
	v_dual_mul_f32 v106, s18, v128 :: v_dual_mul_f32 v107, s18, v127
	s_delay_alu instid0(VALU_DEP_4) | instskip(NEXT) | instid1(VALU_DEP_4)
	v_max3_f32 v81, v81, v84, v85
	v_cndmask_b32_e64 v82, 0xff7fffff, v109, s13
	s_delay_alu instid0(VALU_DEP_4) | instskip(SKIP_2) | instid1(VALU_DEP_3)
	v_cndmask_b32_e64 v83, 0xff7fffff, v108, s15
	v_cmp_gt_i32_e64 s16, s17, v104
	v_cmp_gt_i32_e64 s17, s17, v105
	v_max3_f32 v81, v81, v82, v83
	s_delay_alu instid0(VALU_DEP_3) | instskip(NEXT) | instid1(VALU_DEP_3)
	v_cndmask_b32_e64 v84, 0xff7fffff, v107, s16
	v_cndmask_b32_e64 v85, 0xff7fffff, v106, s17
	v_lshlrev_b32_e32 v83, 2, v97
	s_delay_alu instid0(VALU_DEP_2) | instskip(SKIP_3) | instid1(VALU_DEP_1)
	v_max3_f32 v81, v81, v84, v85
	ds_bpermute_b32 v82, v83, v81
	s_waitcnt lgkmcnt(0)
	v_max_f32_e32 v82, v82, v82
	v_max_f32_e32 v81, v81, v82
	s_delay_alu instid0(VALU_DEP_1)
	v_fma_f32 v82, s18, v137, -v81
	v_fma_f32 v84, s18, v138, -v81
	v_fma_f32 v85, s18, v139, -v81
	v_fma_f32 v86, s18, v140, -v81
	v_fma_f32 v87, s18, v141, -v81
	v_mul_f32_e32 v82, 0x3fb8aa3b, v82
	s_delay_alu instid0(VALU_DEP_4) | instskip(NEXT) | instid1(VALU_DEP_3)
	v_dual_mul_f32 v84, 0x3fb8aa3b, v84 :: v_dual_mul_f32 v85, 0x3fb8aa3b, v85
	v_dual_mul_f32 v86, 0x3fb8aa3b, v86 :: v_dual_mul_f32 v89, 0x3fb8aa3b, v87
	s_delay_alu instid0(VALU_DEP_3) | instskip(NEXT) | instid1(VALU_DEP_2)
	v_exp_f32_e32 v82, v82
	v_exp_f32_e32 v84, v84
	s_delay_alu instid0(VALU_DEP_2) | instskip(NEXT) | instid1(VALU_DEP_1)
	v_exp_f32_e32 v85, v85
	v_exp_f32_e32 v86, v86
	v_exp_f32_e32 v92, v89
	v_cndmask_b32_e32 v88, 0, v82, vcc_lo
	v_cndmask_b32_e64 v87, 0, v84, s2
	s_delay_alu instid0(TRANS32_DEP_3)
	v_cndmask_b32_e64 v90, 0, v85, s3
	s_waitcnt_depctr 0xfff
	v_cndmask_b32_e64 v89, 0, v86, s4
	v_cndmask_b32_e64 v92, 0, v92, s5
	v_add_f32_e32 v84, 0, v88
	v_cmp_gt_u32_e64 s2, 16, v80
	s_delay_alu instid0(VALU_DEP_2) | instskip(NEXT) | instid1(VALU_DEP_1)
	v_add_f32_e32 v84, v84, v87
	v_add_f32_e32 v84, v84, v90
	s_delay_alu instid0(VALU_DEP_1)
	v_add_f32_e32 v84, v84, v89
	v_fma_f32 v82, s18, v142, -v81
	v_fma_f32 v91, s18, v143, -v81
	v_fma_f32 v85, s18, v144, -v81
	v_fma_f32 v86, s18, v121, -v81
	v_fma_f32 v94, s18, v122, -v81
	s_delay_alu instid0(VALU_DEP_4) | instskip(SKIP_1) | instid1(VALU_DEP_4)
	v_dual_mul_f32 v82, 0x3fb8aa3b, v82 :: v_dual_mul_f32 v91, 0x3fb8aa3b, v91
	v_fma_f32 v96, s18, v124, -v81
	v_mul_f32_e32 v86, 0x3fb8aa3b, v86
	s_delay_alu instid0(VALU_DEP_4) | instskip(NEXT) | instid1(VALU_DEP_4)
	v_mul_f32_e32 v95, 0x3fb8aa3b, v94
	v_exp_f32_e32 v82, v82
	v_exp_f32_e32 v93, v91
	v_mul_f32_e32 v97, 0x3fb8aa3b, v96
	v_exp_f32_e32 v86, v86
	v_fma_f32 v99, s18, v127, -v81
	s_delay_alu instid0(VALU_DEP_2) | instskip(SKIP_2) | instid1(TRANS32_DEP_3)
	v_exp_f32_e32 v97, v97
	v_cndmask_b32_e64 v91, 0, v82, s6
	v_dual_add_f32 v82, v84, v92 :: v_dual_mul_f32 v85, 0x3fb8aa3b, v85
	v_cndmask_b32_e64 v94, 0, v93, s7
	v_fma_f32 v84, s18, v123, -v81
	s_delay_alu instid0(TRANS32_DEP_2) | instskip(NEXT) | instid1(VALU_DEP_4)
	v_cndmask_b32_e64 v96, 0, v86, s9
	v_add_f32_e32 v82, v82, v91
	v_exp_f32_e32 v85, v85
	v_fma_f32 v86, s18, v126, -v81
	v_mul_f32_e32 v84, 0x3fb8aa3b, v84
	v_cndmask_b32_e64 v97, 0, v97, s12
	v_add_f32_e32 v82, v82, v94
	s_delay_alu instid0(VALU_DEP_3) | instskip(SKIP_3) | instid1(VALU_DEP_2)
	v_exp_f32_e32 v84, v84
	s_waitcnt_depctr 0xfff
	v_cndmask_b32_e64 v93, 0, v85, s8
	v_fma_f32 v85, s18, v125, -v81
	v_add_f32_e32 v82, v82, v93
	v_exp_f32_e32 v95, v95
	s_delay_alu instid0(VALU_DEP_2)
	v_mul_f32_e32 v85, 0x3fb8aa3b, v85
	v_cndmask_b32_e64 v98, 0, v84, s11
	v_mul_f32_e32 v84, 0x3fb8aa3b, v99
	v_add_f32_e32 v82, v82, v96
	v_fma_f32 v99, s18, v128, -v81
	v_exp_f32_e32 v85, v85
	v_mul_f32_e32 v86, 0x3fb8aa3b, v86
	v_exp_f32_e32 v84, v84
	s_delay_alu instid0(TRANS32_DEP_3) | instskip(NEXT) | instid1(VALU_DEP_1)
	v_cndmask_b32_e64 v95, 0, v95, s10
	v_add_f32_e32 v82, v82, v95
	s_waitcnt_depctr 0xfff
	v_cndmask_b32_e64 v100, 0, v85, s13
	v_mul_f32_e32 v85, 0x3fb8aa3b, v99
	v_exp_f32_e32 v86, v86
	v_cndmask_b32_e64 v102, 0, v84, s16
	v_add_f32_e32 v82, v82, v98
	s_delay_alu instid0(VALU_DEP_3) | instskip(NEXT) | instid1(VALU_DEP_1)
	v_exp_f32_e32 v85, v85
	v_add_f32_e32 v82, v82, v97
	s_waitcnt_depctr 0xfff
	v_cndmask_b32_e64 v99, 0, v86, s15
	v_add_f32_e32 v82, v82, v100
	v_cndmask_b32_e64 v101, 0, v85, s17
	s_delay_alu instid0(VALU_DEP_2) | instskip(NEXT) | instid1(VALU_DEP_1)
	v_add_f32_e32 v82, v82, v99
	v_add_f32_e32 v82, v82, v102
	s_delay_alu instid0(VALU_DEP_1)
	v_add_f32_e32 v82, v82, v101
	ds_bpermute_b32 v83, v83, v82
	s_and_saveexec_b32 s3, s2
	s_cbranch_execz .LBB336_14
; %bb.13:
	v_mul_u32_u24_e32 v80, 0x44, v78
	s_waitcnt lgkmcnt(0)
	v_add_f32_e32 v82, v82, v83
	s_delay_alu instid0(VALU_DEP_2) | instskip(NEXT) | instid1(VALU_DEP_1)
	v_lshl_add_u32 v80, v77, 2, v80
	v_add_nc_u32_e32 v80, 0x4000, v80
	ds_store_2addr_b32 v80, v81, v82 offset1:136
.LBB336_14:
	s_or_b32 exec_lo, exec_lo, s3
	v_lshlrev_b32_e32 v80, 2, v77
	s_load_b32 s35, s[0:1], 0x94
	s_waitcnt lgkmcnt(0)
	s_barrier
	buffer_gl0_inv
	v_add_nc_u32_e32 v84, 0x4000, v80
	v_cmp_eq_u32_e32 vcc_lo, 1, v78
	v_cmp_eq_u32_e64 s3, 2, v78
	v_cmp_eq_u32_e64 s4, 3, v78
	;; [unrolled: 1-line block ×3, first 2 shown]
	ds_load_2addr_b32 v[80:81], v84 offset1:17
	ds_load_2addr_b32 v[82:83], v84 offset0:34 offset1:51
	ds_load_2addr_b32 v[103:104], v84 offset0:68 offset1:85
	;; [unrolled: 1-line block ×3, first 2 shown]
	v_cmp_eq_u32_e64 s6, 7, v78
	s_waitcnt lgkmcnt(3)
	v_max3_f32 v85, v80, 0xff7fffff, v81
	s_waitcnt lgkmcnt(2)
	s_delay_alu instid0(VALU_DEP_1) | instskip(SKIP_1) | instid1(VALU_DEP_1)
	v_max3_f32 v85, v85, v82, v83
	s_waitcnt lgkmcnt(1)
	v_max3_f32 v85, v85, v103, v104
	s_waitcnt lgkmcnt(0)
	s_delay_alu instid0(VALU_DEP_1) | instskip(NEXT) | instid1(VALU_DEP_1)
	v_max3_f32 v85, v85, v105, v106
	v_sub_f32_e32 v103, v103, v85
	ds_load_2addr_b32 v[107:108], v84 offset0:136 offset1:153
	v_sub_f32_e32 v80, v80, v85
	v_dual_sub_f32 v110, v83, v85 :: v_dual_mul_f32 v113, 0x3fb8aa3b, v103
	s_delay_alu instid0(VALU_DEP_2) | instskip(SKIP_3) | instid1(VALU_DEP_1)
	v_dual_sub_f32 v86, v81, v85 :: v_dual_mul_f32 v109, 0x3fb8aa3b, v80
	ds_load_2addr_b32 v[80:81], v84 offset0:170 offset1:187
	v_mul_f32_e32 v86, 0x3fb8aa3b, v86
	v_exp_f32_e32 v109, v109
	v_exp_f32_e32 v112, v86
	v_mul_f32_e32 v110, 0x3fb8aa3b, v110
	s_waitcnt lgkmcnt(1)
	s_waitcnt_depctr 0xfff
	v_fma_f32 v86, v109, v107, 0
	v_sub_f32_e32 v107, v104, v85
	v_sub_f32_e32 v82, v82, v85
	v_exp_f32_e32 v110, v110
	ds_load_2addr_b32 v[103:104], v84 offset0:238 offset1:255
	v_dual_fmac_f32 v86, v112, v108 :: v_dual_mul_f32 v111, 0x3fb8aa3b, v82
	ds_load_2addr_b32 v[82:83], v84 offset0:204 offset1:221
	v_dual_sub_f32 v84, v105, v85 :: v_dual_mul_f32 v105, 0x3fb8aa3b, v107
	v_exp_f32_e32 v107, v113
	v_exp_f32_e32 v111, v111
	s_waitcnt lgkmcnt(0)
	s_delay_alu instid0(VALU_DEP_1)
	v_mul_f32_e32 v84, 0x3fb8aa3b, v84
	v_exp_f32_e32 v105, v105
	s_barrier
	buffer_gl0_inv
	v_fmac_f32_e32 v86, v111, v80
	v_sub_f32_e32 v80, v106, v85
	v_exp_f32_e32 v106, v84
	s_delay_alu instid0(VALU_DEP_2) | instskip(NEXT) | instid1(VALU_DEP_2)
	v_fmac_f32_e32 v86, v110, v81
	v_mul_f32_e32 v80, 0x3fb8aa3b, v80
	s_delay_alu instid0(VALU_DEP_2) | instskip(NEXT) | instid1(VALU_DEP_2)
	v_dual_cndmask_b32 v81, v109, v112 :: v_dual_fmac_f32 v86, v107, v82
	v_exp_f32_e32 v108, v80
	s_delay_alu instid0(VALU_DEP_1) | instskip(SKIP_2) | instid1(VALU_DEP_1)
	v_fmac_f32_e32 v86, v105, v83
	s_waitcnt_depctr 0xfff
	v_fmac_f32_e32 v86, v106, v103
	v_fmac_f32_e32 v86, v108, v104
	s_delay_alu instid0(VALU_DEP_1) | instskip(NEXT) | instid1(VALU_DEP_1)
	v_add_f32_e32 v103, 0x358637bd, v86
	v_div_scale_f32 v104, null, v103, v103, 1.0
	v_div_scale_f32 v109, vcc_lo, 1.0, v103, 1.0
	s_delay_alu instid0(VALU_DEP_2) | instskip(SKIP_2) | instid1(VALU_DEP_1)
	v_rcp_f32_e32 v113, v104
	s_waitcnt_depctr 0xfff
	v_fma_f32 v80, -v104, v113, 1.0
	v_fmac_f32_e32 v113, v80, v113
	v_cndmask_b32_e64 v80, v81, v111, s3
	v_cmp_eq_u32_e64 s3, 4, v78
	v_lshl_or_b32 v81, v78, 11, v79
	s_delay_alu instid0(VALU_DEP_4) | instskip(NEXT) | instid1(VALU_DEP_4)
	v_mul_f32_e32 v111, v109, v113
	v_cndmask_b32_e64 v82, v80, v110, s4
	v_cmp_eq_u32_e64 s4, 6, v78
	s_delay_alu instid0(VALU_DEP_4) | instskip(SKIP_3) | instid1(VALU_DEP_3)
	v_lshl_or_b32 v78, v75, 4, v81
	v_lshlrev_b32_e32 v80, 2, v75
	v_fma_f32 v83, -v104, v111, v109
	v_cndmask_b32_e64 v84, v82, v107, s3
	v_or_b32_e32 v82, 1, v80
	s_delay_alu instid0(VALU_DEP_3) | instskip(NEXT) | instid1(VALU_DEP_3)
	v_fmac_f32_e32 v111, v83, v113
	v_cndmask_b32_e64 v105, v84, v105, s5
	v_or_b32_e32 v84, 2, v80
	v_or_b32_e32 v83, 3, v80
	v_cmp_eq_u32_e64 s3, 1, v80
	v_fma_f32 v104, -v104, v111, v109
	v_cndmask_b32_e64 v105, v105, v106, s4
	v_cmp_eq_u32_e64 s9, 1, v82
	v_cmp_eq_u32_e64 s10, 1, v84
	;; [unrolled: 1-line block ×3, first 2 shown]
	v_div_fmas_f32 v104, v104, v113, v111
	v_cndmask_b32_e64 v105, v105, v108, s6
	v_cmp_eq_u32_e32 vcc_lo, 2, v80
	v_cmp_eq_u32_e64 s12, 2, v82
	v_cmp_eq_u32_e64 s15, 2, v84
	v_div_fixup_f32 v103, v104, v103, 1.0
	v_cmp_eq_u32_e64 s16, 2, v83
	v_cmp_eq_u32_e64 s18, 3, v83
	;; [unrolled: 1-line block ×4, first 2 shown]
	v_mul_f32_e32 v111, v105, v103
	v_cmp_eq_u32_e64 s17, 3, v84
	v_cmp_eq_u32_e64 s22, 4, v83
	;; [unrolled: 1-line block ×4, first 2 shown]
	v_fma_mixlo_f16 v103, v111, v88, 0
	v_fma_mixlo_f16 v104, v111, v90, 0
	;; [unrolled: 1-line block ×8, first 2 shown]
	v_fma_mixhi_f16 v103, v111, v87, 0
	v_fma_mixhi_f16 v104, v111, v89, 0
	;; [unrolled: 1-line block ×8, first 2 shown]
	ds_store_b128 v78, v[103:106]
	ds_store_b128 v78, v[107:110] offset:1024
	s_waitcnt lgkmcnt(0)
	s_barrier
	buffer_gl0_inv
	ds_load_b128 v[87:90], v81
	ds_load_b128 v[91:94], v81 offset:16
	ds_load_b128 v[95:98], v81 offset:1024
	;; [unrolled: 1-line block ×3, first 2 shown]
	v_cmp_eq_u32_e64 s21, 4, v84
	v_cmp_eq_u32_e64 s24, 5, v83
	;; [unrolled: 1-line block ×13, first 2 shown]
	s_waitcnt lgkmcnt(3)
	v_lshrrev_b32_e32 v103, 16, v87
	s_waitcnt lgkmcnt(2)
	v_lshrrev_b32_e32 v107, 16, v91
	;; [unrolled: 2-line block ×4, first 2 shown]
	v_lshrrev_b32_e32 v104, 16, v88
	v_cndmask_b32_e64 v119, v87, v103, s3
	v_cndmask_b32_e64 v120, v91, v107, s3
	;; [unrolled: 1-line block ×8, first 2 shown]
	v_lshrrev_b32_e32 v108, 16, v92
	v_cndmask_b32_e64 v103, v95, v111, s3
	v_cndmask_b32_e64 v107, v99, v115, s3
	v_cndmask_b32_e64 v125, v95, v111, s9
	v_cndmask_b32_e64 v127, v95, v111, s10
	v_cndmask_b32_e64 v95, v95, v111, s11
	v_cndmask_b32_e32 v111, v119, v88, vcc_lo
	v_cndmask_b32_e64 v119, v121, v88, s12
	v_cndmask_b32_e64 v121, v123, v88, s15
	;; [unrolled: 1-line block ×4, first 2 shown]
	v_lshrrev_b32_e32 v112, 16, v96
	v_lshrrev_b32_e32 v116, 16, v100
	v_cndmask_b32_e64 v126, v99, v115, s9
	v_cndmask_b32_e64 v128, v99, v115, s10
	;; [unrolled: 1-line block ×3, first 2 shown]
	v_cndmask_b32_e32 v115, v120, v92, vcc_lo
	v_cndmask_b32_e64 v120, v122, v92, s12
	v_cndmask_b32_e64 v122, v124, v92, s15
	v_cndmask_b32_e32 v91, v103, v96, vcc_lo
	v_cndmask_b32_e32 v92, v107, v100, vcc_lo
	v_cndmask_b32_e64 v103, v125, v96, s12
	v_cndmask_b32_e64 v87, v87, v104, s18
	;; [unrolled: 1-line block ×3, first 2 shown]
	v_lshrrev_b32_e32 v105, 16, v89
	v_lshrrev_b32_e32 v109, 16, v93
	v_cndmask_b32_e64 v107, v127, v96, s15
	v_cndmask_b32_e64 v95, v95, v96, s16
	;; [unrolled: 1-line block ×14, first 2 shown]
	v_lshrrev_b32_e32 v113, 16, v97
	v_cndmask_b32_e64 v99, v99, v89, s5
	v_cndmask_b32_e64 v104, v111, v93, s5
	;; [unrolled: 1-line block ×11, first 2 shown]
	v_lshrrev_b32_e32 v106, 16, v90
	v_lshrrev_b32_e32 v110, 16, v94
	v_cndmask_b32_e64 v93, v99, v105, s6
	v_cndmask_b32_e64 v99, v104, v109, s6
	v_cndmask_b32_e64 v103, v108, v105, s20
	v_cndmask_b32_e64 v104, v111, v109, s20
	v_cndmask_b32_e64 v108, v115, v105, s23
	v_cndmask_b32_e64 v111, v119, v109, s23
	v_cndmask_b32_e64 v92, v92, v113, s20
	v_cndmask_b32_e64 v87, v87, v90, s27
	v_cndmask_b32_e64 v88, v88, v94, s27
	v_lshrrev_b32_e32 v114, 16, v98
	v_cndmask_b32_e64 v89, v89, v113, s6
	v_cndmask_b32_e64 v93, v93, v90, s7
	;; [unrolled: 1-line block ×19, first 2 shown]
	v_perm_b32 v90, v88, v87, 0x5040100
	v_cndmask_b32_e64 v87, v126, v100, s12
	v_cndmask_b32_e64 v105, v89, v114, s8
	v_perm_b32 v89, v103, v99, 0x5040100
	v_perm_b32 v88, v104, v94, 0x5040100
	v_cndmask_b32_e64 v94, v107, v112, s17
	v_cndmask_b32_e64 v95, v95, v112, s18
	;; [unrolled: 1-line block ×5, first 2 shown]
	v_lshrrev_b32_e32 v117, 16, v101
	v_cndmask_b32_e64 v94, v94, v97, s21
	v_cndmask_b32_e64 v95, v95, v97, s22
	;; [unrolled: 1-line block ×11, first 2 shown]
	v_lshrrev_b32_e32 v118, 16, v102
	v_cndmask_b32_e64 v91, v91, v102, s7
	v_cndmask_b32_e64 v94, v94, v98, s26
	;; [unrolled: 1-line block ×12, first 2 shown]
	v_perm_b32 v87, v93, v92, 0x5040100
	v_perm_b32 v94, v95, v94, 0x5040100
	;; [unrolled: 1-line block ×5, first 2 shown]
	s_mul_i32 s7, s33, 11
	s_mov_b32 s3, exec_lo
	ds_store_b128 v78, v[87:90]
	ds_store_b128 v78, v[91:94] offset:1024
	v_cmpx_gt_u32_e32 11, v0
	s_cbranch_execz .LBB336_16
; %bb.15:
	s_mul_i32 s4, s7, s34
	s_load_b128 s[8:11], s[0:1], 0x58
	v_add3_u32 v77, s4, s31, v77
	s_delay_alu instid0(VALU_DEP_1) | instskip(NEXT) | instid1(VALU_DEP_1)
	v_mad_u64_u32 v[87:88], null, v77, s35, s[14:15]
	v_ashrrev_i32_e32 v88, 31, v87
	s_delay_alu instid0(VALU_DEP_1) | instskip(SKIP_1) | instid1(VALU_DEP_1)
	v_lshlrev_b64 v[87:88], 2, v[87:88]
	s_waitcnt lgkmcnt(0)
	v_add_co_u32 v89, vcc_lo, s10, v87
	s_delay_alu instid0(VALU_DEP_2)
	v_add_co_ci_u32_e32 v90, vcc_lo, s11, v88, vcc_lo
	v_add_co_u32 v87, vcc_lo, s8, v87
	v_add_co_ci_u32_e32 v88, vcc_lo, s9, v88, vcc_lo
	global_store_b32 v[89:90], v85, off
	global_store_b32 v[87:88], v86, off
.LBB336_16:
	s_or_b32 exec_lo, exec_lo, s3
	s_waitcnt lgkmcnt(0)
	s_waitcnt_vscnt null, 0x0
	s_barrier
	buffer_gl0_inv
	ds_load_b128 v[93:96], v79
	ds_load_b128 v[97:100], v79 offset:16
	ds_load_b128 v[105:108], v79 offset:1040
	;; [unrolled: 1-line block ×5, first 2 shown]
	v_cmp_eq_u32_e32 vcc_lo, 1, v84
	v_mov_b32_e32 v85, 0
	ds_load_b128 v[121:124], v79 offset:3088
	ds_load_b128 v[117:120], v79 offset:3072
	;; [unrolled: 1-line block ×4, first 2 shown]
	v_cmp_eq_u32_e64 s3, 1, v80
	v_cmp_eq_u32_e64 s4, 1, v83
	v_cmp_eq_u32_e64 s5, 1, v82
	v_mov_b32_e32 v86, v85
	v_mov_b32_e32 v87, v85
	;; [unrolled: 1-line block ×7, first 2 shown]
	v_cmp_eq_u32_e64 s6, 2, v80
	s_waitcnt lgkmcnt(8)
	s_delay_alu instid0(VALU_DEP_2)
	v_wmma_f32_16x16x16_f16 v[85:92], v[65:72], v[93:100], v[85:92]
	ds_load_b128 v[69:72], v79 offset:5136
	ds_load_b128 v[65:68], v79 offset:5120
	;; [unrolled: 1-line block ×4, first 2 shown]
	s_waitcnt lgkmcnt(10)
	v_wmma_f32_16x16x16_f16 v[85:92], v[57:64], v[101:108], v[85:92]
	s_waitcnt lgkmcnt(8)
	s_delay_alu instid0(VALU_DEP_1)
	v_wmma_f32_16x16x16_f16 v[85:92], v[57:64], v[109:116], v[85:92]
	ds_load_b128 v[61:64], v79 offset:7184
	ds_load_b128 v[57:60], v79 offset:7168
	;; [unrolled: 1-line block ×4, first 2 shown]
	s_waitcnt lgkmcnt(10)
	v_wmma_f32_16x16x16_f16 v[85:92], v[49:56], v[117:124], v[85:92]
	s_waitcnt lgkmcnt(8)
	s_delay_alu instid0(VALU_DEP_1)
	v_wmma_f32_16x16x16_f16 v[85:92], v[49:56], v[125:132], v[85:92]
	ds_load_b128 v[53:56], v79 offset:9232
	ds_load_b128 v[49:52], v79 offset:9216
	s_waitcnt lgkmcnt(8)
	v_wmma_f32_16x16x16_f16 v[85:92], v[41:48], v[65:72], v[85:92]
	ds_load_b128 v[69:72], v79 offset:10256
	ds_load_b128 v[65:68], v79 offset:10240
	s_waitcnt lgkmcnt(8)
	;; [unrolled: 4-line block ×7, first 2 shown]
	s_barrier
	buffer_gl0_inv
	v_wmma_f32_16x16x16_f16 v[85:92], v[33:40], v[41:48], v[85:92]
	s_delay_alu instid0(VALU_DEP_1) | instskip(NEXT) | instid1(VALU_DEP_1)
	v_wmma_f32_16x16x16_f16 v[85:92], v[33:40], v[57:64], v[85:92]
	v_wmma_f32_16x16x16_f16 v[85:92], v[25:32], v[9:16], v[85:92]
	s_delay_alu instid0(VALU_DEP_1) | instskip(NEXT) | instid1(VALU_DEP_1)
	v_wmma_f32_16x16x16_f16 v[85:92], v[25:32], v[49:56], v[85:92]
	v_wmma_f32_16x16x16_f16 v[85:92], v[17:24], v[1:8], v[85:92]
	s_delay_alu instid0(VALU_DEP_1) | instskip(NEXT) | instid1(VALU_DEP_2)
	v_cvt_f16_f32_e32 v1, v85
	v_cvt_f16_f32_e32 v2, v86
	s_delay_alu instid0(VALU_DEP_3) | instskip(NEXT) | instid1(VALU_DEP_4)
	v_cvt_f16_f32_e32 v3, v87
	v_cvt_f16_f32_e32 v4, v88
	;; [unrolled: 1-line block ×6, first 2 shown]
	v_pack_b32_f16 v1, v1, v2
	v_pack_b32_f16 v2, v3, v4
	;; [unrolled: 1-line block ×3, first 2 shown]
	s_delay_alu instid0(VALU_DEP_4)
	v_pack_b32_f16 v4, v7, v8
	ds_store_b128 v78, v[1:4]
	s_waitcnt lgkmcnt(0)
	s_barrier
	buffer_gl0_inv
	ds_load_b128 v[1:4], v81
	ds_load_b128 v[5:8], v81 offset:16
	s_waitcnt lgkmcnt(1)
	v_lshrrev_b32_e32 v9, 16, v1
	s_waitcnt lgkmcnt(0)
	v_lshrrev_b32_e32 v13, 16, v5
	v_lshrrev_b32_e32 v15, 16, v7
	;; [unrolled: 1-line block ×4, first 2 shown]
	v_cndmask_b32_e64 v17, v1, v9, s3
	v_cndmask_b32_e64 v18, v5, v13, s3
	;; [unrolled: 1-line block ×3, first 2 shown]
	v_cmp_eq_u32_e64 s3, 2, v82
	v_cndmask_b32_e64 v20, v5, v13, s5
	v_cndmask_b32_e32 v21, v1, v9, vcc_lo
	v_cndmask_b32_e32 v22, v5, v13, vcc_lo
	v_cndmask_b32_e64 v1, v1, v9, s4
	v_cndmask_b32_e64 v5, v5, v13, s4
	v_cmp_eq_u32_e32 vcc_lo, 2, v84
	v_cmp_eq_u32_e64 s4, 2, v83
	v_cndmask_b32_e64 v9, v17, v2, s6
	v_cndmask_b32_e64 v13, v18, v6, s6
	;; [unrolled: 1-line block ×4, first 2 shown]
	v_cndmask_b32_e32 v19, v21, v2, vcc_lo
	v_cmp_eq_u32_e64 s3, 3, v84
	v_cndmask_b32_e32 v20, v22, v6, vcc_lo
	v_cndmask_b32_e64 v1, v1, v2, s4
	v_cmp_eq_u32_e32 vcc_lo, 3, v83
	v_cmp_eq_u32_e64 s5, 3, v80
	v_cndmask_b32_e64 v2, v5, v6, s4
	v_cmp_eq_u32_e64 s4, 3, v82
	v_lshrrev_b32_e32 v16, 16, v8
	v_cmp_eq_u32_e64 s6, 4, v80
	v_cndmask_b32_e64 v5, v9, v10, s5
	v_cndmask_b32_e64 v6, v13, v14, s5
	;; [unrolled: 1-line block ×3, first 2 shown]
	v_cmp_eq_u32_e64 s5, 4, v82
	v_cndmask_b32_e64 v13, v18, v14, s4
	v_cndmask_b32_e64 v17, v19, v10, s3
	;; [unrolled: 1-line block ×3, first 2 shown]
	v_cndmask_b32_e32 v1, v1, v10, vcc_lo
	v_cndmask_b32_e32 v2, v2, v14, vcc_lo
	v_cmp_eq_u32_e32 vcc_lo, 4, v84
	v_cmp_eq_u32_e64 s4, 4, v83
	v_lshrrev_b32_e32 v11, 16, v3
	v_cndmask_b32_e64 v5, v5, v3, s6
	v_cndmask_b32_e64 v6, v6, v7, s6
	;; [unrolled: 1-line block ×4, first 2 shown]
	v_cndmask_b32_e32 v13, v17, v3, vcc_lo
	v_cmp_eq_u32_e64 s3, 5, v84
	v_cndmask_b32_e32 v14, v18, v7, vcc_lo
	v_cndmask_b32_e64 v1, v1, v3, s4
	v_cmp_eq_u32_e32 vcc_lo, 5, v83
	v_cmp_eq_u32_e64 s5, 5, v80
	v_cndmask_b32_e64 v2, v2, v7, s4
	v_cmp_eq_u32_e64 s4, 5, v82
	v_cmp_eq_u32_e64 s6, 6, v80
	v_cndmask_b32_e32 v1, v1, v11, vcc_lo
	v_cndmask_b32_e64 v3, v5, v11, s5
	v_cndmask_b32_e64 v5, v6, v15, s5
	v_cndmask_b32_e64 v6, v9, v11, s4
	v_cmp_eq_u32_e64 s5, 6, v82
	v_cndmask_b32_e64 v7, v10, v15, s4
	v_cndmask_b32_e64 v9, v13, v11, s3
	;; [unrolled: 1-line block ×3, first 2 shown]
	v_cndmask_b32_e32 v2, v2, v15, vcc_lo
	v_cmp_eq_u32_e32 vcc_lo, 6, v84
	v_cmp_eq_u32_e64 s3, 6, v83
	v_lshrrev_b32_e32 v12, 16, v4
	v_cndmask_b32_e64 v3, v3, v4, s6
	v_cndmask_b32_e64 v5, v5, v8, s6
	;; [unrolled: 1-line block ×4, first 2 shown]
	v_cndmask_b32_e32 v9, v9, v4, vcc_lo
	v_cmp_eq_u32_e64 s4, 7, v84
	v_cndmask_b32_e32 v10, v10, v8, vcc_lo
	v_cndmask_b32_e64 v1, v1, v4, s3
	v_cmp_eq_u32_e32 vcc_lo, 7, v83
	v_cndmask_b32_e64 v2, v2, v8, s3
	v_cmp_eq_u32_e64 s3, 7, v80
	v_cmp_eq_u32_e64 s5, 7, v82
	v_cndmask_b32_e32 v1, v1, v12, vcc_lo
	s_delay_alu instid0(VALU_DEP_4) | instskip(NEXT) | instid1(VALU_DEP_4)
	v_cndmask_b32_e32 v2, v2, v16, vcc_lo
	v_cndmask_b32_e64 v8, v3, v12, s3
	s_delay_alu instid0(VALU_DEP_4)
	v_cndmask_b32_e64 v6, v6, v12, s5
	v_cndmask_b32_e64 v3, v9, v12, s4
	v_cndmask_b32_e64 v9, v10, v16, s4
	v_cndmask_b32_e64 v7, v7, v16, s5
	v_cndmask_b32_e64 v5, v5, v16, s3
	v_perm_b32 v4, v2, v1, 0x5040100
	s_mov_b32 s3, exec_lo
	v_perm_b32 v3, v9, v3, 0x5040100
	v_perm_b32 v2, v7, v6, 0x5040100
	;; [unrolled: 1-line block ×3, first 2 shown]
	ds_store_b128 v78, v[1:4]
	s_waitcnt lgkmcnt(0)
	s_barrier
	buffer_gl0_inv
	v_cmpx_gt_u32_e32 32, v0
	s_cbranch_execz .LBB336_2
; %bb.17:
	s_load_b64 s[4:5], s[0:1], 0x68
	v_lshlrev_b32_e32 v0, 10, v0
	v_lshlrev_b32_e32 v1, 4, v76
	s_lshl_b32 s0, s35, 7
	v_add_nc_u32_e32 v7, s31, v75
	s_mul_i32 s1, s0, s34
	s_delay_alu instid0(SALU_CYCLE_1) | instskip(SKIP_1) | instid1(VALU_DEP_2)
	s_mul_i32 s6, s1, s7
	v_and_or_b32 v0, 0x3800, v0, v1
	v_mul_lo_u32 v1, v7, s0
	v_add_nc_u32_e32 v2, 2, v7
	s_ashr_i32 s7, s6, 31
	v_add_nc_u32_e32 v4, 4, v7
	s_lshl_b64 s[6:7], s[6:7], 1
	v_add_nc_u32_e32 v8, 6, v7
	v_mul_lo_u32 v3, v2, s0
	v_lshl_or_b32 v19, v75, 6, v0
	v_ashrrev_i32_e32 v2, 31, v1
	v_mul_lo_u32 v11, v4, s0
	v_mul_lo_u32 v25, v8, s0
	s_waitcnt lgkmcnt(0)
	s_add_u32 s1, s4, s6
	s_addc_u32 s3, s5, s7
	s_lshl_b32 s4, s14, 7
	v_lshlrev_b64 v[5:6], 1, v[1:2]
	s_ashr_i32 s5, s4, 31
	v_ashrrev_i32_e32 v4, 31, v3
	s_lshl_b64 s[4:5], s[4:5], 1
	v_ashrrev_i32_e32 v12, 31, v11
	s_add_u32 s1, s1, s4
	s_addc_u32 s3, s3, s5
	v_add_co_u32 v1, vcc_lo, s1, v73
	v_add_co_ci_u32_e32 v2, vcc_lo, s3, v74, vcc_lo
	v_lshlrev_b64 v[3:4], 1, v[3:4]
	s_delay_alu instid0(VALU_DEP_3) | instskip(SKIP_1) | instid1(VALU_DEP_4)
	v_add_co_u32 v23, vcc_lo, v1, v5
	v_add_nc_u32_e32 v5, 8, v7
	v_add_co_ci_u32_e32 v24, vcc_lo, v2, v6, vcc_lo
	s_delay_alu instid0(VALU_DEP_4) | instskip(NEXT) | instid1(VALU_DEP_3)
	v_add_co_u32 v27, vcc_lo, v1, v3
	v_mul_lo_u32 v29, v5, s0
	v_add_co_ci_u32_e32 v28, vcc_lo, v2, v4, vcc_lo
	ds_load_b128 v[3:6], v19
	ds_load_b128 v[7:10], v19 offset:128
	v_lshlrev_b64 v[31:32], 1, v[11:12]
	ds_load_b128 v[11:14], v19 offset:256
	ds_load_b128 v[15:18], v19 offset:384
	;; [unrolled: 1-line block ×3, first 2 shown]
	v_ashrrev_i32_e32 v26, 31, v25
	v_ashrrev_i32_e32 v30, 31, v29
	v_add_co_u32 v31, vcc_lo, v1, v31
	s_delay_alu instid0(VALU_DEP_3) | instskip(NEXT) | instid1(VALU_DEP_3)
	v_lshlrev_b64 v[25:26], 1, v[25:26]
	v_lshlrev_b64 v[29:30], 1, v[29:30]
	v_add_co_ci_u32_e32 v32, vcc_lo, v2, v32, vcc_lo
	s_delay_alu instid0(VALU_DEP_3) | instskip(NEXT) | instid1(VALU_DEP_4)
	v_add_co_u32 v25, vcc_lo, v1, v25
	v_add_co_ci_u32_e32 v26, vcc_lo, v2, v26, vcc_lo
	s_delay_alu instid0(VALU_DEP_4)
	v_add_co_u32 v29, vcc_lo, v1, v29
	v_add_co_ci_u32_e32 v30, vcc_lo, v2, v30, vcc_lo
	s_waitcnt lgkmcnt(4)
	global_store_b128 v[23:24], v[3:6], off
	s_waitcnt lgkmcnt(3)
	global_store_b128 v[27:28], v[7:10], off
	;; [unrolled: 2-line block ×5, first 2 shown]
	s_and_b32 exec_lo, exec_lo, s2
	s_cbranch_execz .LBB336_2
; %bb.18:
	ds_load_b128 v[3:6], v0 offset:640
	s_add_i32 s1, s31, 10
	s_delay_alu instid0(SALU_CYCLE_1) | instskip(NEXT) | instid1(SALU_CYCLE_1)
	s_mul_i32 s0, s1, s0
	s_ashr_i32 s1, s0, 31
	s_delay_alu instid0(SALU_CYCLE_1) | instskip(NEXT) | instid1(SALU_CYCLE_1)
	s_lshl_b64 s[0:1], s[0:1], 1
	v_add_co_u32 v0, vcc_lo, v1, s0
	v_add_co_ci_u32_e32 v1, vcc_lo, s1, v2, vcc_lo
	s_waitcnt lgkmcnt(0)
	global_store_b128 v[0:1], v[3:6], off
	s_nop 0
	s_sendmsg sendmsg(MSG_DEALLOC_VGPRS)
	s_endpgm
	.section	.rodata,"a",@progbits
	.p2align	6, 0x0
	.amdhsa_kernel _Z39paged_attention_ll4mi_QKV_mfma16_kernelIDF16_DF16_LN4vllm18Fp8KVCacheDataTypeE0EhLi32ELi128ELi256ELb0ELi11EL8MFMAType0EEvPKT_PKT0_S8_ifPKiSA_SA_iPKfiiiPfSD_PS3_PT2_iSC_SC_
		.amdhsa_group_segment_fixed_size 17472
		.amdhsa_private_segment_fixed_size 0
		.amdhsa_kernarg_size 400
		.amdhsa_user_sgpr_count 13
		.amdhsa_user_sgpr_dispatch_ptr 0
		.amdhsa_user_sgpr_queue_ptr 0
		.amdhsa_user_sgpr_kernarg_segment_ptr 1
		.amdhsa_user_sgpr_dispatch_id 0
		.amdhsa_user_sgpr_private_segment_size 0
		.amdhsa_wavefront_size32 1
		.amdhsa_uses_dynamic_stack 0
		.amdhsa_enable_private_segment 0
		.amdhsa_system_sgpr_workgroup_id_x 1
		.amdhsa_system_sgpr_workgroup_id_y 1
		.amdhsa_system_sgpr_workgroup_id_z 1
		.amdhsa_system_sgpr_workgroup_info 0
		.amdhsa_system_vgpr_workitem_id 0
		.amdhsa_next_free_vgpr 172
		.amdhsa_next_free_sgpr 39
		.amdhsa_reserve_vcc 1
		.amdhsa_float_round_mode_32 0
		.amdhsa_float_round_mode_16_64 0
		.amdhsa_float_denorm_mode_32 3
		.amdhsa_float_denorm_mode_16_64 3
		.amdhsa_dx10_clamp 1
		.amdhsa_ieee_mode 1
		.amdhsa_fp16_overflow 0
		.amdhsa_workgroup_processor_mode 1
		.amdhsa_memory_ordered 1
		.amdhsa_forward_progress 0
		.amdhsa_shared_vgpr_count 0
		.amdhsa_exception_fp_ieee_invalid_op 0
		.amdhsa_exception_fp_denorm_src 0
		.amdhsa_exception_fp_ieee_div_zero 0
		.amdhsa_exception_fp_ieee_overflow 0
		.amdhsa_exception_fp_ieee_underflow 0
		.amdhsa_exception_fp_ieee_inexact 0
		.amdhsa_exception_int_div_zero 0
	.end_amdhsa_kernel
	.section	.text._Z39paged_attention_ll4mi_QKV_mfma16_kernelIDF16_DF16_LN4vllm18Fp8KVCacheDataTypeE0EhLi32ELi128ELi256ELb0ELi11EL8MFMAType0EEvPKT_PKT0_S8_ifPKiSA_SA_iPKfiiiPfSD_PS3_PT2_iSC_SC_,"axG",@progbits,_Z39paged_attention_ll4mi_QKV_mfma16_kernelIDF16_DF16_LN4vllm18Fp8KVCacheDataTypeE0EhLi32ELi128ELi256ELb0ELi11EL8MFMAType0EEvPKT_PKT0_S8_ifPKiSA_SA_iPKfiiiPfSD_PS3_PT2_iSC_SC_,comdat
.Lfunc_end336:
	.size	_Z39paged_attention_ll4mi_QKV_mfma16_kernelIDF16_DF16_LN4vllm18Fp8KVCacheDataTypeE0EhLi32ELi128ELi256ELb0ELi11EL8MFMAType0EEvPKT_PKT0_S8_ifPKiSA_SA_iPKfiiiPfSD_PS3_PT2_iSC_SC_, .Lfunc_end336-_Z39paged_attention_ll4mi_QKV_mfma16_kernelIDF16_DF16_LN4vllm18Fp8KVCacheDataTypeE0EhLi32ELi128ELi256ELb0ELi11EL8MFMAType0EEvPKT_PKT0_S8_ifPKiSA_SA_iPKfiiiPfSD_PS3_PT2_iSC_SC_
                                        ; -- End function
	.section	.AMDGPU.csdata,"",@progbits
; Kernel info:
; codeLenInByte = 7656
; NumSgprs: 41
; NumVgprs: 172
; ScratchSize: 0
; MemoryBound: 0
; FloatMode: 240
; IeeeMode: 1
; LDSByteSize: 17472 bytes/workgroup (compile time only)
; SGPRBlocks: 5
; VGPRBlocks: 21
; NumSGPRsForWavesPerEU: 41
; NumVGPRsForWavesPerEU: 172
; Occupancy: 8
; WaveLimiterHint : 1
; COMPUTE_PGM_RSRC2:SCRATCH_EN: 0
; COMPUTE_PGM_RSRC2:USER_SGPR: 13
; COMPUTE_PGM_RSRC2:TRAP_HANDLER: 0
; COMPUTE_PGM_RSRC2:TGID_X_EN: 1
; COMPUTE_PGM_RSRC2:TGID_Y_EN: 1
; COMPUTE_PGM_RSRC2:TGID_Z_EN: 1
; COMPUTE_PGM_RSRC2:TIDIG_COMP_CNT: 0
	.section	.text._Z39paged_attention_ll4mi_QKV_mfma16_kernelIDF16_DF16_LN4vllm18Fp8KVCacheDataTypeE0EhLi32ELi128ELi256ELb0ELi12EL8MFMAType0EEvPKT_PKT0_S8_ifPKiSA_SA_iPKfiiiPfSD_PS3_PT2_iSC_SC_,"axG",@progbits,_Z39paged_attention_ll4mi_QKV_mfma16_kernelIDF16_DF16_LN4vllm18Fp8KVCacheDataTypeE0EhLi32ELi128ELi256ELb0ELi12EL8MFMAType0EEvPKT_PKT0_S8_ifPKiSA_SA_iPKfiiiPfSD_PS3_PT2_iSC_SC_,comdat
	.protected	_Z39paged_attention_ll4mi_QKV_mfma16_kernelIDF16_DF16_LN4vllm18Fp8KVCacheDataTypeE0EhLi32ELi128ELi256ELb0ELi12EL8MFMAType0EEvPKT_PKT0_S8_ifPKiSA_SA_iPKfiiiPfSD_PS3_PT2_iSC_SC_ ; -- Begin function _Z39paged_attention_ll4mi_QKV_mfma16_kernelIDF16_DF16_LN4vllm18Fp8KVCacheDataTypeE0EhLi32ELi128ELi256ELb0ELi12EL8MFMAType0EEvPKT_PKT0_S8_ifPKiSA_SA_iPKfiiiPfSD_PS3_PT2_iSC_SC_
	.globl	_Z39paged_attention_ll4mi_QKV_mfma16_kernelIDF16_DF16_LN4vllm18Fp8KVCacheDataTypeE0EhLi32ELi128ELi256ELb0ELi12EL8MFMAType0EEvPKT_PKT0_S8_ifPKiSA_SA_iPKfiiiPfSD_PS3_PT2_iSC_SC_
	.p2align	8
	.type	_Z39paged_attention_ll4mi_QKV_mfma16_kernelIDF16_DF16_LN4vllm18Fp8KVCacheDataTypeE0EhLi32ELi128ELi256ELb0ELi12EL8MFMAType0EEvPKT_PKT0_S8_ifPKiSA_SA_iPKfiiiPfSD_PS3_PT2_iSC_SC_,@function
_Z39paged_attention_ll4mi_QKV_mfma16_kernelIDF16_DF16_LN4vllm18Fp8KVCacheDataTypeE0EhLi32ELi128ELi256ELb0ELi12EL8MFMAType0EEvPKT_PKT0_S8_ifPKiSA_SA_iPKfiiiPfSD_PS3_PT2_iSC_SC_: ; @_Z39paged_attention_ll4mi_QKV_mfma16_kernelIDF16_DF16_LN4vllm18Fp8KVCacheDataTypeE0EhLi32ELi128ELi256ELb0ELi12EL8MFMAType0EEvPKT_PKT0_S8_ifPKiSA_SA_iPKfiiiPfSD_PS3_PT2_iSC_SC_
; %bb.0:
	s_load_b64 s[2:3], s[0:1], 0x30
	s_mov_b32 s30, s13
	s_waitcnt lgkmcnt(0)
	s_cmp_lg_u64 s[2:3], 0
	s_cselect_b32 s6, -1, 0
	s_ashr_i32 s31, s13, 31
	s_cmp_eq_u64 s[2:3], 0
	s_cbranch_scc1 .LBB337_3
; %bb.1:
	s_lshl_b64 s[4:5], s[30:31], 2
	s_delay_alu instid0(SALU_CYCLE_1) | instskip(SKIP_4) | instid1(SALU_CYCLE_1)
	s_add_u32 s4, s2, s4
	s_addc_u32 s5, s3, s5
	s_load_b64 s[4:5], s[4:5], 0x0
	s_waitcnt lgkmcnt(0)
	s_sub_i32 s4, s5, s4
	s_cmp_eq_u32 s4, 1
	s_cselect_b32 s4, -1, 0
	s_delay_alu instid0(SALU_CYCLE_1)
	s_and_not1_b32 vcc_lo, exec_lo, s4
	s_cbranch_vccz .LBB337_4
.LBB337_2:
	s_endpgm
.LBB337_3:
.LBB337_4:
	s_load_b64 s[8:9], s[0:1], 0x28
	s_lshl_b64 s[4:5], s[30:31], 2
	s_waitcnt lgkmcnt(0)
	s_add_u32 s8, s8, s4
	s_addc_u32 s9, s9, s5
	s_lshl_b32 s12, s14, 8
	s_load_b32 s17, s[8:9], 0x0
	s_waitcnt lgkmcnt(0)
	s_cmp_ge_i32 s12, s17
	s_cbranch_scc1 .LBB337_2
; %bb.5:
	s_and_not1_b32 vcc_lo, exec_lo, s6
	s_cbranch_vccnz .LBB337_7
; %bb.6:
	s_add_u32 s2, s2, s4
	s_addc_u32 s3, s3, s5
	s_load_b32 s13, s[2:3], 0x0
	s_branch .LBB337_8
.LBB337_7:
	s_mov_b32 s13, s30
.LBB337_8:
	s_clause 0x2
	s_load_b128 s[8:11], s[0:1], 0x8
	s_load_b64 s[2:3], s[0:1], 0x20
	s_load_b128 s[4:7], s[0:1], 0x48
	v_and_b32_e32 v77, 15, v0
	s_waitcnt lgkmcnt(0)
	s_mov_b32 s7, exec_lo
	s_delay_alu instid0(VALU_DEP_1)
	v_lshlrev_b32_e32 v1, 3, v77
	v_cmpx_lt_u32_e32 0xbf, v0
	s_xor_b32 s7, exec_lo, s7
; %bb.9:
	v_mov_b32_e32 v2, 0
; %bb.10:
	s_or_saveexec_b32 s7, s7
	v_lshrrev_b32_e32 v78, 5, v0
	v_and_b32_e32 v80, 31, v0
	v_and_b32_e32 v76, 1, v0
	v_bfe_u32 v75, v0, 4, 1
	s_mul_i32 s31, s15, 12
	s_xor_b32 exec_lo, exec_lo, s7
	s_cbranch_execz .LBB337_12
; %bb.11:
	s_load_b64 s[18:19], s[0:1], 0x0
	v_lshl_or_b32 v7, v78, 1, v75
	s_mul_hi_i32 s21, s13, s4
	s_mul_i32 s20, s13, s4
	v_lshlrev_b32_e32 v4, 1, v1
	s_lshl_b64 s[20:21], s[20:21], 1
	v_add_lshl_u32 v2, v7, s31, 7
	v_lshlrev_b32_e32 v7, 6, v7
	v_lshlrev_b32_e32 v8, 10, v76
	s_delay_alu instid0(VALU_DEP_3) | instskip(NEXT) | instid1(VALU_DEP_1)
	v_ashrrev_i32_e32 v3, 31, v2
	v_lshlrev_b64 v[2:3], 1, v[2:3]
	s_waitcnt lgkmcnt(0)
	s_add_u32 s4, s18, s20
	s_addc_u32 s13, s19, s21
	s_delay_alu instid0(VALU_DEP_1) | instskip(NEXT) | instid1(VALU_DEP_2)
	v_add_co_u32 v2, vcc_lo, s4, v2
	v_add_co_ci_u32_e32 v3, vcc_lo, s13, v3, vcc_lo
	s_delay_alu instid0(VALU_DEP_2) | instskip(NEXT) | instid1(VALU_DEP_2)
	v_add_co_u32 v2, vcc_lo, v2, v4
	v_add_co_ci_u32_e32 v3, vcc_lo, 0, v3, vcc_lo
	global_load_b128 v[3:6], v[2:3], off
	v_lshlrev_b32_e32 v2, 10, v77
	s_delay_alu instid0(VALU_DEP_1) | instskip(NEXT) | instid1(VALU_DEP_1)
	v_and_b32_e32 v2, 0x3800, v2
	v_or3_b32 v7, v2, v8, v7
	v_mov_b32_e32 v2, 0
	s_waitcnt vmcnt(0)
	ds_store_b128 v7, v[3:6]
.LBB337_12:
	s_or_b32 exec_lo, exec_lo, s7
	v_and_b32_e32 v3, 0xef, v0
	s_add_i32 s4, s17, 31
	s_clause 0x1
	s_load_b32 s7, s[0:1], 0x38
	s_load_b32 s33, s[0:1], 0x98
	s_ashr_i32 s13, s4, 31
	v_add_nc_u32_e32 v3, s12, v3
	s_lshr_b32 s13, s13, 27
	s_load_b32 s18, s[0:1], 0x1c
	s_add_i32 s4, s4, s13
	s_waitcnt lgkmcnt(0)
	v_ashrrev_i32_e32 v4, 31, v3
	v_cmp_gt_i32_e32 vcc_lo, s17, v3
	s_ashr_i32 s4, s4, 5
	s_barrier
	s_add_i32 s4, s4, -1
	v_lshrrev_b32_e32 v5, 27, v4
	v_or_b32_e32 v4, 16, v3
	buffer_gl0_inv
	v_lshlrev_b64 v[73:74], 1, v[1:2]
	v_lshlrev_b32_e32 v79, 6, v77
	v_add_nc_u32_e32 v6, v3, v5
	v_add_nc_u32_e32 v5, v4, v5
	s_mul_i32 s20, s30, s7
	s_delay_alu instid0(SALU_CYCLE_1) | instskip(NEXT) | instid1(VALU_DEP_2)
	s_ashr_i32 s21, s20, 31
	v_ashrrev_i32_e32 v6, 5, v6
	s_delay_alu instid0(VALU_DEP_2) | instskip(SKIP_1) | instid1(SALU_CYCLE_1)
	v_ashrrev_i32_e32 v5, 5, v5
	s_lshl_b64 s[20:21], s[20:21], 2
	s_add_u32 s13, s2, s20
	s_delay_alu instid0(VALU_DEP_2) | instskip(SKIP_3) | instid1(SALU_CYCLE_1)
	v_cndmask_b32_e32 v3, s4, v6, vcc_lo
	v_cmp_gt_i32_e32 vcc_lo, s17, v4
	s_addc_u32 s16, s3, s21
	s_mul_i32 s2, s15, s6
	s_ashr_i32 s3, s2, 31
	v_cndmask_b32_e32 v5, s4, v5, vcc_lo
	v_ashrrev_i32_e32 v4, 31, v3
	s_lshl_b64 s[2:3], s[2:3], 1
	s_delay_alu instid0(SALU_CYCLE_1) | instskip(NEXT) | instid1(VALU_DEP_2)
	s_add_u32 s15, s8, s2
	v_ashrrev_i32_e32 v6, 31, v5
	s_delay_alu instid0(VALU_DEP_2) | instskip(SKIP_2) | instid1(VALU_DEP_2)
	v_lshlrev_b64 v[3:4], 2, v[3:4]
	s_addc_u32 s19, s9, s3
	s_lshl_b32 s6, s14, 3
	v_lshlrev_b64 v[5:6], 2, v[5:6]
	s_ashr_i32 s7, s6, 31
	s_delay_alu instid0(VALU_DEP_2) | instskip(SKIP_1) | instid1(VALU_DEP_3)
	v_add_co_u32 v3, vcc_lo, s13, v3
	v_add_co_ci_u32_e32 v4, vcc_lo, s16, v4, vcc_lo
	v_add_co_u32 v5, vcc_lo, s13, v5
	s_delay_alu instid0(VALU_DEP_4)
	v_add_co_ci_u32_e32 v6, vcc_lo, s16, v6, vcc_lo
	s_lshl_b64 s[6:7], s[6:7], 2
	s_clause 0x1
	global_load_b32 v7, v[3:4], off
	global_load_b32 v8, v[5:6], off
	s_add_u32 s6, s13, s6
	s_addc_u32 s7, s16, s7
	s_or_b32 s8, s12, 32
	s_delay_alu instid0(SALU_CYCLE_1) | instskip(SKIP_2) | instid1(SALU_CYCLE_1)
	s_ashr_i32 s9, s8, 5
	s_cmp_lt_i32 s8, s17
	s_cselect_b32 s8, s9, s4
	s_ashr_i32 s9, s8, 31
	s_delay_alu instid0(SALU_CYCLE_1) | instskip(NEXT) | instid1(SALU_CYCLE_1)
	s_lshl_b64 s[8:9], s[8:9], 2
	s_add_u32 s8, s13, s8
	s_addc_u32 s9, s16, s9
	s_or_b32 s20, s12, 64
	s_delay_alu instid0(SALU_CYCLE_1) | instskip(SKIP_2) | instid1(SALU_CYCLE_1)
	s_ashr_i32 s21, s20, 5
	s_cmp_lt_i32 s20, s17
	s_cselect_b32 s20, s21, s4
	s_ashr_i32 s21, s20, 31
	s_delay_alu instid0(SALU_CYCLE_1) | instskip(NEXT) | instid1(SALU_CYCLE_1)
	s_lshl_b64 s[20:21], s[20:21], 2
	;; [unrolled: 10-line block ×5, first 2 shown]
	s_add_u32 s26, s13, s26
	s_addc_u32 s27, s16, s27
	s_clause 0x5
	s_load_b32 s28, s[6:7], 0x0
	s_load_b32 s29, s[8:9], 0x0
	;; [unrolled: 1-line block ×6, first 2 shown]
	s_mov_b32 s20, 0
	s_or_b32 s6, s12, 0xc0
	s_mov_b32 s21, s20
	s_mov_b32 s22, s20
	;; [unrolled: 1-line block ×7, first 2 shown]
	s_ashr_i32 s7, s6, 5
	v_mov_b32_e32 v128, s27
	s_cmp_lt_i32 s6, s17
	v_mov_b32_e32 v127, s26
	s_cselect_b32 s6, s7, s4
	v_mov_b32_e32 v126, s25
	s_ashr_i32 s7, s6, 31
	v_mov_b32_e32 v125, s24
	s_lshl_b64 s[6:7], s[6:7], 2
	v_mov_b32_e32 v124, s23
	s_add_u32 s6, s13, s6
	s_addc_u32 s7, s16, s7
	v_mov_b32_e32 v123, s22
	v_mov_b32_e32 v121, s20
	s_waitcnt lgkmcnt(0)
	s_mul_hi_i32 s9, s28, s5
	s_mul_i32 s8, s28, s5
	v_mov_b32_e32 v122, s21
	s_mul_hi_i32 s21, s29, s5
	s_mul_i32 s20, s29, s5
	s_mul_hi_i32 s25, s34, s5
	s_mul_i32 s24, s34, s5
	;; [unrolled: 2-line block ×4, first 2 shown]
	s_waitcnt vmcnt(1)
	v_mad_i64_i32 v[3:4], null, v7, s5, 0
	s_waitcnt vmcnt(0)
	v_mad_i64_i32 v[5:6], null, v8, s5, 0
	s_delay_alu instid0(VALU_DEP_2) | instskip(NEXT) | instid1(VALU_DEP_2)
	v_lshlrev_b64 v[3:4], 1, v[3:4]
	v_lshlrev_b64 v[1:2], 1, v[5:6]
	s_delay_alu instid0(VALU_DEP_2) | instskip(NEXT) | instid1(VALU_DEP_3)
	v_add_co_u32 v3, vcc_lo, s15, v3
	v_add_co_ci_u32_e32 v4, vcc_lo, s19, v4, vcc_lo
	s_delay_alu instid0(VALU_DEP_3) | instskip(NEXT) | instid1(VALU_DEP_4)
	v_add_co_u32 v1, vcc_lo, s15, v1
	v_add_co_ci_u32_e32 v2, vcc_lo, s19, v2, vcc_lo
	s_delay_alu instid0(VALU_DEP_4) | instskip(NEXT) | instid1(VALU_DEP_4)
	v_add_co_u32 v65, vcc_lo, v3, v73
	v_add_co_ci_u32_e32 v66, vcc_lo, v4, v74, vcc_lo
	s_delay_alu instid0(VALU_DEP_4) | instskip(NEXT) | instid1(VALU_DEP_4)
	v_add_co_u32 v67, vcc_lo, v1, v73
	v_add_co_ci_u32_e32 v68, vcc_lo, v2, v74, vcc_lo
	s_clause 0xf
	global_load_b128 v[1:4], v[65:66], off
	global_load_b128 v[5:8], v[65:66], off offset:512
	global_load_b128 v[9:12], v[67:68], off offset:256
	;; [unrolled: 1-line block ×15, first 2 shown]
	v_add_co_u32 v157, vcc_lo, 0x1000, v65
	v_add_co_ci_u32_e32 v158, vcc_lo, 0, v66, vcc_lo
	v_add_co_u32 v165, vcc_lo, 0x1000, v67
	v_add_co_ci_u32_e32 v166, vcc_lo, 0, v68, vcc_lo
	s_clause 0x7
	global_load_b128 v[81:84], v[157:158], off
	global_load_b128 v[85:88], v[157:158], off offset:512
	global_load_b128 v[89:92], v[165:166], off offset:256
	;; [unrolled: 1-line block ×7, first 2 shown]
	v_add_nc_u32_e32 v65, -12, v77
	v_cmp_gt_u32_e32 vcc_lo, 12, v77
	s_or_b32 s15, s12, 0xe0
	s_delay_alu instid0(SALU_CYCLE_1) | instskip(SKIP_3) | instid1(SALU_CYCLE_1)
	s_ashr_i32 s19, s15, 5
	s_cmp_lt_i32 s15, s17
	v_cndmask_b32_e32 v65, v65, v77, vcc_lo
	s_cselect_b32 s22, s19, s4
	s_ashr_i32 s23, s22, 31
	s_delay_alu instid0(VALU_DEP_1)
	v_lshlrev_b32_e32 v169, 6, v65
	ds_load_b128 v[65:68], v169
	ds_load_b128 v[69:72], v169 offset:1024
	s_clause 0x1
	global_load_b128 v[113:116], v[157:158], off offset:2048
	global_load_b128 v[117:120], v[157:158], off offset:2560
	ds_load_b128 v[129:132], v169 offset:2048
	ds_load_b128 v[133:136], v169 offset:3072
	s_clause 0x5
	global_load_b128 v[145:148], v[165:166], off offset:2304
	global_load_b128 v[149:152], v[165:166], off offset:2816
	;; [unrolled: 1-line block ×6, first 2 shown]
	s_lshl_b64 s[22:23], s[22:23], 2
	s_delay_alu instid0(SALU_CYCLE_1) | instskip(SKIP_2) | instid1(SALU_CYCLE_1)
	s_add_u32 s22, s13, s22
	s_addc_u32 s23, s16, s23
	s_add_i32 s15, s12, 0x100
	s_ashr_i32 s19, s15, 5
	s_cmp_lt_i32 s15, s17
	s_cselect_b32 s28, s19, s4
	s_delay_alu instid0(SALU_CYCLE_1) | instskip(NEXT) | instid1(SALU_CYCLE_1)
	s_ashr_i32 s29, s28, 31
	s_lshl_b64 s[28:29], s[28:29], 2
	s_delay_alu instid0(SALU_CYCLE_1)
	s_add_u32 s28, s13, s28
	s_addc_u32 s29, s16, s29
	s_add_u32 s4, s10, s2
	s_addc_u32 s19, s11, s3
	s_lshl_b64 s[2:3], s[8:9], 1
	s_lshl_b64 s[8:9], s[20:21], 1
	s_lshl_b64 s[10:11], s[24:25], 1
	s_lshl_b64 s[20:21], s[26:27], 1
	s_waitcnt vmcnt(30) lgkmcnt(2)
	v_wmma_f32_16x16x16_f16 v[137:144], v[1:8], v[65:72], v[121:128]
	ds_load_b128 v[1:4], v169 offset:4096
	ds_load_b128 v[5:8], v169 offset:5120
	s_waitcnt vmcnt(28)
	v_wmma_f32_16x16x16_f16 v[121:128], v[9:16], v[65:72], v[121:128]
	ds_load_b128 v[9:12], v169 offset:6144
	ds_load_b128 v[13:16], v169 offset:7168
	s_waitcnt vmcnt(26) lgkmcnt(4)
	v_wmma_f32_16x16x16_f16 v[137:144], v[17:24], v[129:136], v[137:144]
	ds_load_b128 v[17:20], v169 offset:8192
	ds_load_b128 v[21:24], v169 offset:9216
	s_waitcnt vmcnt(24)
	v_wmma_f32_16x16x16_f16 v[121:128], v[25:32], v[129:136], v[121:128]
	v_lshl_or_b32 v25, v78, 10, v79
	ds_load_b128 v[129:132], v169 offset:10240
	ds_load_b128 v[133:136], v169 offset:11264
	s_clause 0x2
	s_load_b32 s15, s[6:7], 0x0
	s_load_b32 s13, s[22:23], 0x0
	s_load_b32 s16, s[28:29], 0x0
	s_mul_hi_i32 s7, s36, s5
	v_add_co_u32 v170, s4, s4, v25
	s_delay_alu instid0(VALU_DEP_1)
	v_add_co_ci_u32_e64 v171, null, s19, 0, s4
	s_mul_i32 s6, s36, s5
	s_lshl_b64 s[22:23], s[34:35], 1
	s_lshl_b64 s[6:7], s[6:7], 1
	s_waitcnt vmcnt(22) lgkmcnt(0)
	v_wmma_f32_16x16x16_f16 v[137:144], v[33:40], v[1:8], v[137:144]
	s_waitcnt vmcnt(20)
	v_wmma_f32_16x16x16_f16 v[121:128], v[41:48], v[1:8], v[121:128]
	v_add_co_u32 v1, vcc_lo, v170, s2
	v_add_co_ci_u32_e32 v2, vcc_lo, s3, v171, vcc_lo
	v_add_co_u32 v3, vcc_lo, v170, s8
	v_add_co_ci_u32_e32 v4, vcc_lo, s9, v171, vcc_lo
	;; [unrolled: 2-line block ×4, first 2 shown]
	v_add_co_u32 v25, vcc_lo, v170, s6
	s_mul_hi_i32 s25, s15, s5
	s_mul_i32 s24, s15, s5
	v_add_co_ci_u32_e32 v26, vcc_lo, s7, v171, vcc_lo
	v_add_co_u32 v27, vcc_lo, v170, s22
	s_lshl_b64 s[24:25], s[24:25], 1
	s_waitcnt vmcnt(18)
	v_wmma_f32_16x16x16_f16 v[137:144], v[49:56], v[9:16], v[137:144]
	s_waitcnt vmcnt(16)
	v_wmma_f32_16x16x16_f16 v[121:128], v[57:64], v[9:16], v[121:128]
	v_add_co_ci_u32_e32 v28, vcc_lo, s23, v171, vcc_lo
	s_mul_hi_i32 s3, s13, s5
	s_mul_i32 s2, s13, s5
	v_add_co_u32 v29, vcc_lo, v170, s24
	s_lshl_b64 s[2:3], s[2:3], 1
	v_add_co_ci_u32_e32 v30, vcc_lo, s25, v171, vcc_lo
	s_waitcnt vmcnt(14)
	v_wmma_f32_16x16x16_f16 v[137:144], v[81:88], v[17:24], v[137:144]
	s_waitcnt vmcnt(12)
	v_wmma_f32_16x16x16_f16 v[121:128], v[89:96], v[17:24], v[121:128]
	v_add_co_u32 v17, vcc_lo, v170, s2
	v_add_co_ci_u32_e32 v18, vcc_lo, s3, v171, vcc_lo
	s_mul_hi_i32 s3, s16, s5
	s_mul_i32 s2, s16, s5
	s_clause 0x5
	global_load_b128 v[65:68], v[1:2], off
	global_load_b128 v[69:72], v[1:2], off offset:16
	global_load_b128 v[57:60], v[3:4], off
	global_load_b128 v[61:64], v[3:4], off offset:16
	;; [unrolled: 2-line block ×3, first 2 shown]
	s_lshl_b64 s[2:3], s[2:3], 1
	s_clause 0x1
	global_load_b128 v[41:44], v[7:8], off
	global_load_b128 v[45:48], v[7:8], off offset:16
	v_add_co_u32 v21, vcc_lo, v170, s2
	v_add_co_ci_u32_e32 v22, vcc_lo, s3, v171, vcc_lo
	s_clause 0x9
	global_load_b128 v[9:12], v[25:26], off
	global_load_b128 v[13:16], v[25:26], off offset:16
	global_load_b128 v[1:4], v[27:28], off
	global_load_b128 v[5:8], v[27:28], off offset:16
	;; [unrolled: 2-line block ×5, first 2 shown]
	ds_load_b128 v[81:84], v169 offset:12288
	ds_load_b128 v[85:88], v169 offset:13312
	v_and_b32_e32 v89, 0xe0, v0
	s_waitcnt vmcnt(28)
	v_wmma_f32_16x16x16_f16 v[137:144], v[97:104], v[129:136], v[137:144]
	v_mbcnt_lo_u32_b32 v97, -1, 0
	s_waitcnt vmcnt(26)
	v_wmma_f32_16x16x16_f16 v[121:128], v[105:112], v[129:136], v[121:128]
	v_add_nc_u32_e32 v98, s12, v89
	ds_load_b128 v[89:92], v169 offset:14336
	ds_load_b128 v[93:96], v169 offset:15360
	v_xor_b32_e32 v99, 16, v97
	s_waitcnt vmcnt(0) lgkmcnt(0)
	s_barrier
	v_or_b32_e32 v98, v98, v75
	buffer_gl0_inv
	v_cmp_gt_i32_e32 vcc_lo, 32, v99
	v_or_b32_e32 v100, 4, v98
	v_or_b32_e32 v101, 22, v98
	;; [unrolled: 1-line block ×4, first 2 shown]
	v_wmma_f32_16x16x16_f16 v[137:144], v[113:120], v[81:88], v[137:144]
	v_wmma_f32_16x16x16_f16 v[121:128], v[145:152], v[81:88], v[121:128]
	v_or_b32_e32 v81, 6, v98
	v_or_b32_e32 v82, 8, v98
	;; [unrolled: 1-line block ×3, first 2 shown]
	v_cmp_gt_i32_e64 s3, s17, v100
	v_or_b32_e32 v84, 12, v98
	v_wmma_f32_16x16x16_f16 v[137:144], v[153:160], v[89:96], v[137:144]
	v_wmma_f32_16x16x16_f16 v[121:128], v[161:168], v[89:96], v[121:128]
	v_cndmask_b32_e32 v97, v97, v99, vcc_lo
	v_or_b32_e32 v99, 2, v98
	v_cmp_gt_i32_e32 vcc_lo, s17, v98
	v_dual_mul_f32 v95, s18, v138 :: v_dual_mul_f32 v96, s18, v137
	v_mul_f32_e32 v93, s18, v140
	s_delay_alu instid0(VALU_DEP_4)
	v_cmp_gt_i32_e64 s2, s17, v99
	v_mul_f32_e32 v94, s18, v139
	v_mul_f32_e32 v110, s18, v124
	v_cndmask_b32_e32 v96, 0xff7fffff, v96, vcc_lo
	v_cmp_gt_i32_e64 s4, s17, v81
	v_cndmask_b32_e64 v95, 0xff7fffff, v95, s2
	v_or_b32_e32 v85, 14, v98
	v_dual_mul_f32 v91, s18, v142 :: v_dual_mul_f32 v92, s18, v141
	v_cndmask_b32_e64 v94, 0xff7fffff, v94, s3
	v_cndmask_b32_e64 v81, 0xff7fffff, v93, s4
	v_max3_f32 v93, v96, 0xff7fffff, v95
	v_cmp_gt_i32_e64 s5, s17, v82
	v_cmp_gt_i32_e64 s6, s17, v83
	v_or_b32_e32 v86, 16, v98
	v_or_b32_e32 v87, 18, v98
	v_dual_mul_f32 v89, s18, v144 :: v_dual_mul_f32 v112, s18, v122
	v_mul_f32_e32 v90, s18, v143
	v_cndmask_b32_e64 v82, 0xff7fffff, v92, s5
	v_cndmask_b32_e64 v83, 0xff7fffff, v91, s6
	v_max3_f32 v81, v93, v94, v81
	v_cmp_gt_i32_e64 s7, s17, v84
	v_cmp_gt_i32_e64 s8, s17, v85
	v_or_b32_e32 v88, 20, v98
	v_mul_f32_e32 v113, s18, v121
	v_max3_f32 v81, v81, v82, v83
	v_cndmask_b32_e64 v84, 0xff7fffff, v90, s7
	v_cndmask_b32_e64 v85, 0xff7fffff, v89, s8
	v_cmp_gt_i32_e64 s9, s17, v86
	v_cmp_gt_i32_e64 s10, s17, v87
	v_mul_f32_e32 v111, s18, v123
	v_cmp_gt_i32_e64 s11, s17, v88
	v_max3_f32 v81, v81, v84, v85
	v_cndmask_b32_e64 v82, 0xff7fffff, v113, s9
	v_cndmask_b32_e64 v83, 0xff7fffff, v112, s10
	v_cmp_gt_i32_e64 s12, s17, v101
	v_or_b32_e32 v104, 28, v98
	v_or_b32_e32 v105, 30, v98
	v_dual_mul_f32 v108, s18, v126 :: v_dual_mul_f32 v109, s18, v125
	v_cndmask_b32_e64 v84, 0xff7fffff, v111, s11
	v_cndmask_b32_e64 v85, 0xff7fffff, v110, s12
	v_max3_f32 v81, v81, v82, v83
	v_cmp_gt_i32_e64 s13, s17, v102
	v_cmp_gt_i32_e64 s15, s17, v103
	v_dual_mul_f32 v106, s18, v128 :: v_dual_mul_f32 v107, s18, v127
	s_delay_alu instid0(VALU_DEP_4) | instskip(NEXT) | instid1(VALU_DEP_4)
	v_max3_f32 v81, v81, v84, v85
	v_cndmask_b32_e64 v82, 0xff7fffff, v109, s13
	s_delay_alu instid0(VALU_DEP_4) | instskip(SKIP_2) | instid1(VALU_DEP_3)
	v_cndmask_b32_e64 v83, 0xff7fffff, v108, s15
	v_cmp_gt_i32_e64 s16, s17, v104
	v_cmp_gt_i32_e64 s17, s17, v105
	v_max3_f32 v81, v81, v82, v83
	s_delay_alu instid0(VALU_DEP_3) | instskip(NEXT) | instid1(VALU_DEP_3)
	v_cndmask_b32_e64 v84, 0xff7fffff, v107, s16
	v_cndmask_b32_e64 v85, 0xff7fffff, v106, s17
	v_lshlrev_b32_e32 v83, 2, v97
	s_delay_alu instid0(VALU_DEP_2) | instskip(SKIP_3) | instid1(VALU_DEP_1)
	v_max3_f32 v81, v81, v84, v85
	ds_bpermute_b32 v82, v83, v81
	s_waitcnt lgkmcnt(0)
	v_max_f32_e32 v82, v82, v82
	v_max_f32_e32 v81, v81, v82
	s_delay_alu instid0(VALU_DEP_1)
	v_fma_f32 v82, s18, v137, -v81
	v_fma_f32 v84, s18, v138, -v81
	;; [unrolled: 1-line block ×5, first 2 shown]
	v_mul_f32_e32 v82, 0x3fb8aa3b, v82
	s_delay_alu instid0(VALU_DEP_4) | instskip(NEXT) | instid1(VALU_DEP_3)
	v_dual_mul_f32 v84, 0x3fb8aa3b, v84 :: v_dual_mul_f32 v85, 0x3fb8aa3b, v85
	v_dual_mul_f32 v86, 0x3fb8aa3b, v86 :: v_dual_mul_f32 v89, 0x3fb8aa3b, v87
	s_delay_alu instid0(VALU_DEP_3) | instskip(NEXT) | instid1(VALU_DEP_2)
	v_exp_f32_e32 v82, v82
	v_exp_f32_e32 v84, v84
	s_delay_alu instid0(VALU_DEP_2) | instskip(NEXT) | instid1(VALU_DEP_1)
	v_exp_f32_e32 v85, v85
	v_exp_f32_e32 v86, v86
	;; [unrolled: 1-line block ×3, first 2 shown]
	v_cndmask_b32_e32 v88, 0, v82, vcc_lo
	v_cndmask_b32_e64 v87, 0, v84, s2
	s_delay_alu instid0(TRANS32_DEP_3)
	v_cndmask_b32_e64 v90, 0, v85, s3
	s_waitcnt_depctr 0xfff
	v_cndmask_b32_e64 v89, 0, v86, s4
	v_cndmask_b32_e64 v92, 0, v92, s5
	v_add_f32_e32 v84, 0, v88
	s_mov_b32 s2, exec_lo
	s_delay_alu instid0(VALU_DEP_1) | instskip(NEXT) | instid1(VALU_DEP_1)
	v_add_f32_e32 v84, v84, v87
	v_add_f32_e32 v84, v84, v90
	s_delay_alu instid0(VALU_DEP_1)
	v_add_f32_e32 v84, v84, v89
	v_fma_f32 v82, s18, v142, -v81
	v_fma_f32 v91, s18, v143, -v81
	;; [unrolled: 1-line block ×5, first 2 shown]
	s_delay_alu instid0(VALU_DEP_4) | instskip(SKIP_1) | instid1(VALU_DEP_4)
	v_dual_mul_f32 v82, 0x3fb8aa3b, v82 :: v_dual_mul_f32 v91, 0x3fb8aa3b, v91
	v_fma_f32 v96, s18, v124, -v81
	v_mul_f32_e32 v86, 0x3fb8aa3b, v86
	s_delay_alu instid0(VALU_DEP_4) | instskip(NEXT) | instid1(VALU_DEP_4)
	v_mul_f32_e32 v95, 0x3fb8aa3b, v94
	v_exp_f32_e32 v82, v82
	v_exp_f32_e32 v93, v91
	v_mul_f32_e32 v97, 0x3fb8aa3b, v96
	v_exp_f32_e32 v86, v86
	v_fma_f32 v99, s18, v127, -v81
	s_delay_alu instid0(VALU_DEP_2) | instskip(SKIP_2) | instid1(TRANS32_DEP_3)
	v_exp_f32_e32 v97, v97
	v_cndmask_b32_e64 v91, 0, v82, s6
	v_dual_add_f32 v82, v84, v92 :: v_dual_mul_f32 v85, 0x3fb8aa3b, v85
	v_cndmask_b32_e64 v94, 0, v93, s7
	v_fma_f32 v84, s18, v123, -v81
	s_delay_alu instid0(TRANS32_DEP_2) | instskip(NEXT) | instid1(VALU_DEP_4)
	v_cndmask_b32_e64 v96, 0, v86, s9
	v_add_f32_e32 v82, v82, v91
	v_exp_f32_e32 v85, v85
	v_fma_f32 v86, s18, v126, -v81
	v_mul_f32_e32 v84, 0x3fb8aa3b, v84
	v_cndmask_b32_e64 v97, 0, v97, s12
	v_add_f32_e32 v82, v82, v94
	s_delay_alu instid0(VALU_DEP_3) | instskip(SKIP_3) | instid1(VALU_DEP_2)
	v_exp_f32_e32 v84, v84
	s_waitcnt_depctr 0xfff
	v_cndmask_b32_e64 v93, 0, v85, s8
	v_fma_f32 v85, s18, v125, -v81
	v_add_f32_e32 v82, v82, v93
	v_exp_f32_e32 v95, v95
	s_delay_alu instid0(VALU_DEP_2)
	v_mul_f32_e32 v85, 0x3fb8aa3b, v85
	v_cndmask_b32_e64 v98, 0, v84, s11
	v_mul_f32_e32 v84, 0x3fb8aa3b, v99
	v_add_f32_e32 v82, v82, v96
	v_fma_f32 v99, s18, v128, -v81
	v_exp_f32_e32 v85, v85
	v_mul_f32_e32 v86, 0x3fb8aa3b, v86
	v_exp_f32_e32 v84, v84
	s_delay_alu instid0(TRANS32_DEP_3) | instskip(NEXT) | instid1(VALU_DEP_1)
	v_cndmask_b32_e64 v95, 0, v95, s10
	v_add_f32_e32 v82, v82, v95
	s_waitcnt_depctr 0xfff
	v_cndmask_b32_e64 v100, 0, v85, s13
	v_mul_f32_e32 v85, 0x3fb8aa3b, v99
	v_exp_f32_e32 v86, v86
	v_cndmask_b32_e64 v102, 0, v84, s16
	v_add_f32_e32 v82, v82, v98
	s_delay_alu instid0(VALU_DEP_3) | instskip(NEXT) | instid1(VALU_DEP_1)
	v_exp_f32_e32 v85, v85
	v_add_f32_e32 v82, v82, v97
	s_waitcnt_depctr 0xfff
	v_cndmask_b32_e64 v99, 0, v86, s15
	v_add_f32_e32 v82, v82, v100
	v_cndmask_b32_e64 v101, 0, v85, s17
	s_delay_alu instid0(VALU_DEP_2) | instskip(NEXT) | instid1(VALU_DEP_1)
	v_add_f32_e32 v82, v82, v99
	v_add_f32_e32 v82, v82, v102
	s_delay_alu instid0(VALU_DEP_1)
	v_add_f32_e32 v82, v82, v101
	ds_bpermute_b32 v83, v83, v82
	v_cmpx_gt_u32_e32 16, v80
	s_cbranch_execz .LBB337_14
; %bb.13:
	v_mul_u32_u24_e32 v80, 0x44, v78
	s_waitcnt lgkmcnt(0)
	v_add_f32_e32 v82, v82, v83
	s_delay_alu instid0(VALU_DEP_2) | instskip(NEXT) | instid1(VALU_DEP_1)
	v_lshl_add_u32 v80, v77, 2, v80
	v_add_nc_u32_e32 v80, 0x4000, v80
	ds_store_2addr_b32 v80, v81, v82 offset1:136
.LBB337_14:
	s_or_b32 exec_lo, exec_lo, s2
	v_lshlrev_b32_e32 v80, 2, v77
	s_load_b32 s34, s[0:1], 0x94
	s_waitcnt lgkmcnt(0)
	s_barrier
	buffer_gl0_inv
	v_add_nc_u32_e32 v84, 0x4000, v80
	v_cmp_eq_u32_e32 vcc_lo, 1, v78
	v_cmp_eq_u32_e64 s2, 2, v78
	v_cmp_eq_u32_e64 s3, 3, v78
	;; [unrolled: 1-line block ×3, first 2 shown]
	ds_load_2addr_b32 v[80:81], v84 offset1:17
	ds_load_2addr_b32 v[82:83], v84 offset0:34 offset1:51
	ds_load_2addr_b32 v[103:104], v84 offset0:68 offset1:85
	;; [unrolled: 1-line block ×3, first 2 shown]
	v_cmp_eq_u32_e64 s5, 7, v78
	s_waitcnt lgkmcnt(3)
	v_max3_f32 v85, v80, 0xff7fffff, v81
	s_waitcnt lgkmcnt(2)
	s_delay_alu instid0(VALU_DEP_1) | instskip(SKIP_1) | instid1(VALU_DEP_1)
	v_max3_f32 v85, v85, v82, v83
	s_waitcnt lgkmcnt(1)
	v_max3_f32 v85, v85, v103, v104
	s_waitcnt lgkmcnt(0)
	s_delay_alu instid0(VALU_DEP_1) | instskip(NEXT) | instid1(VALU_DEP_1)
	v_max3_f32 v85, v85, v105, v106
	v_sub_f32_e32 v103, v103, v85
	ds_load_2addr_b32 v[107:108], v84 offset0:136 offset1:153
	v_sub_f32_e32 v80, v80, v85
	v_dual_sub_f32 v110, v83, v85 :: v_dual_mul_f32 v113, 0x3fb8aa3b, v103
	s_delay_alu instid0(VALU_DEP_2) | instskip(SKIP_3) | instid1(VALU_DEP_1)
	v_dual_sub_f32 v86, v81, v85 :: v_dual_mul_f32 v109, 0x3fb8aa3b, v80
	ds_load_2addr_b32 v[80:81], v84 offset0:170 offset1:187
	v_mul_f32_e32 v86, 0x3fb8aa3b, v86
	v_exp_f32_e32 v109, v109
	v_exp_f32_e32 v112, v86
	v_mul_f32_e32 v110, 0x3fb8aa3b, v110
	s_waitcnt lgkmcnt(1)
	s_waitcnt_depctr 0xfff
	v_fma_f32 v86, v109, v107, 0
	v_sub_f32_e32 v107, v104, v85
	v_sub_f32_e32 v82, v82, v85
	v_exp_f32_e32 v110, v110
	ds_load_2addr_b32 v[103:104], v84 offset0:238 offset1:255
	v_dual_fmac_f32 v86, v112, v108 :: v_dual_mul_f32 v111, 0x3fb8aa3b, v82
	ds_load_2addr_b32 v[82:83], v84 offset0:204 offset1:221
	v_dual_sub_f32 v84, v105, v85 :: v_dual_mul_f32 v105, 0x3fb8aa3b, v107
	v_exp_f32_e32 v107, v113
	v_exp_f32_e32 v111, v111
	s_waitcnt lgkmcnt(0)
	s_delay_alu instid0(VALU_DEP_1)
	v_mul_f32_e32 v84, 0x3fb8aa3b, v84
	v_exp_f32_e32 v105, v105
	s_barrier
	buffer_gl0_inv
	v_fmac_f32_e32 v86, v111, v80
	v_sub_f32_e32 v80, v106, v85
	v_exp_f32_e32 v106, v84
	s_delay_alu instid0(VALU_DEP_2) | instskip(NEXT) | instid1(VALU_DEP_2)
	v_fmac_f32_e32 v86, v110, v81
	v_mul_f32_e32 v80, 0x3fb8aa3b, v80
	s_delay_alu instid0(VALU_DEP_2) | instskip(NEXT) | instid1(VALU_DEP_2)
	v_dual_cndmask_b32 v81, v109, v112 :: v_dual_fmac_f32 v86, v107, v82
	v_exp_f32_e32 v108, v80
	s_delay_alu instid0(VALU_DEP_1) | instskip(SKIP_2) | instid1(VALU_DEP_1)
	v_fmac_f32_e32 v86, v105, v83
	s_waitcnt_depctr 0xfff
	v_fmac_f32_e32 v86, v106, v103
	v_fmac_f32_e32 v86, v108, v104
	s_delay_alu instid0(VALU_DEP_1) | instskip(NEXT) | instid1(VALU_DEP_1)
	v_add_f32_e32 v103, 0x358637bd, v86
	v_div_scale_f32 v104, null, v103, v103, 1.0
	v_div_scale_f32 v109, vcc_lo, 1.0, v103, 1.0
	s_delay_alu instid0(VALU_DEP_2) | instskip(SKIP_2) | instid1(VALU_DEP_1)
	v_rcp_f32_e32 v113, v104
	s_waitcnt_depctr 0xfff
	v_fma_f32 v80, -v104, v113, 1.0
	v_fmac_f32_e32 v113, v80, v113
	v_cndmask_b32_e64 v80, v81, v111, s2
	v_cmp_eq_u32_e64 s2, 4, v78
	v_lshl_or_b32 v81, v78, 11, v79
	s_delay_alu instid0(VALU_DEP_4) | instskip(NEXT) | instid1(VALU_DEP_4)
	v_mul_f32_e32 v111, v109, v113
	v_cndmask_b32_e64 v82, v80, v110, s3
	v_cmp_eq_u32_e64 s3, 6, v78
	s_delay_alu instid0(VALU_DEP_4) | instskip(SKIP_3) | instid1(VALU_DEP_3)
	v_lshl_or_b32 v78, v75, 4, v81
	v_lshlrev_b32_e32 v80, 2, v75
	v_fma_f32 v83, -v104, v111, v109
	v_cndmask_b32_e64 v84, v82, v107, s2
	v_or_b32_e32 v82, 1, v80
	s_delay_alu instid0(VALU_DEP_3) | instskip(NEXT) | instid1(VALU_DEP_3)
	v_fmac_f32_e32 v111, v83, v113
	v_cndmask_b32_e64 v105, v84, v105, s4
	v_or_b32_e32 v84, 2, v80
	v_or_b32_e32 v83, 3, v80
	v_cmp_eq_u32_e64 s2, 1, v80
	v_fma_f32 v104, -v104, v111, v109
	v_cndmask_b32_e64 v105, v105, v106, s3
	v_cmp_eq_u32_e64 s8, 1, v82
	v_cmp_eq_u32_e64 s9, 1, v84
	;; [unrolled: 1-line block ×3, first 2 shown]
	v_div_fmas_f32 v104, v104, v113, v111
	v_cndmask_b32_e64 v105, v105, v108, s5
	v_cmp_eq_u32_e32 vcc_lo, 2, v80
	v_cmp_eq_u32_e64 s11, 2, v82
	v_cmp_eq_u32_e64 s13, 2, v84
	v_div_fixup_f32 v103, v104, v103, 1.0
	v_cmp_eq_u32_e64 s15, 2, v83
	v_cmp_eq_u32_e64 s17, 3, v83
	v_cmp_eq_u32_e64 s3, 3, v80
	v_cmp_eq_u32_e64 s12, 3, v82
	v_mul_f32_e32 v111, v105, v103
	v_cmp_eq_u32_e64 s16, 3, v84
	v_cmp_eq_u32_e64 s21, 4, v83
	;; [unrolled: 1-line block ×4, first 2 shown]
	v_fma_mixlo_f16 v103, v111, v88, 0
	v_fma_mixlo_f16 v104, v111, v90, 0
	;; [unrolled: 1-line block ×8, first 2 shown]
	v_fma_mixhi_f16 v103, v111, v87, 0
	v_fma_mixhi_f16 v104, v111, v89, 0
	;; [unrolled: 1-line block ×8, first 2 shown]
	ds_store_b128 v78, v[103:106]
	ds_store_b128 v78, v[107:110] offset:1024
	s_waitcnt lgkmcnt(0)
	s_barrier
	buffer_gl0_inv
	ds_load_b128 v[87:90], v81
	ds_load_b128 v[91:94], v81 offset:16
	ds_load_b128 v[95:98], v81 offset:1024
	;; [unrolled: 1-line block ×3, first 2 shown]
	v_cmp_eq_u32_e64 s20, 4, v84
	v_cmp_eq_u32_e64 s23, 5, v83
	;; [unrolled: 1-line block ×13, first 2 shown]
	s_waitcnt lgkmcnt(3)
	v_lshrrev_b32_e32 v103, 16, v87
	s_waitcnt lgkmcnt(2)
	v_lshrrev_b32_e32 v107, 16, v91
	;; [unrolled: 2-line block ×4, first 2 shown]
	v_lshrrev_b32_e32 v104, 16, v88
	v_cndmask_b32_e64 v119, v87, v103, s2
	v_cndmask_b32_e64 v120, v91, v107, s2
	v_cndmask_b32_e64 v121, v87, v103, s8
	v_cndmask_b32_e64 v122, v91, v107, s8
	v_cndmask_b32_e64 v123, v87, v103, s9
	v_cndmask_b32_e64 v124, v91, v107, s9
	v_cndmask_b32_e64 v87, v87, v103, s10
	v_cndmask_b32_e64 v91, v91, v107, s10
	v_lshrrev_b32_e32 v108, 16, v92
	v_cndmask_b32_e64 v103, v95, v111, s2
	v_cndmask_b32_e64 v107, v99, v115, s2
	;; [unrolled: 1-line block ×5, first 2 shown]
	v_cndmask_b32_e32 v111, v119, v88, vcc_lo
	v_cndmask_b32_e64 v119, v121, v88, s11
	v_cndmask_b32_e64 v121, v123, v88, s13
	;; [unrolled: 1-line block ×4, first 2 shown]
	v_lshrrev_b32_e32 v112, 16, v96
	v_lshrrev_b32_e32 v116, 16, v100
	v_cndmask_b32_e64 v126, v99, v115, s8
	v_cndmask_b32_e64 v128, v99, v115, s9
	;; [unrolled: 1-line block ×3, first 2 shown]
	v_cndmask_b32_e32 v115, v120, v92, vcc_lo
	v_cndmask_b32_e64 v120, v122, v92, s11
	v_cndmask_b32_e64 v122, v124, v92, s13
	v_cndmask_b32_e32 v91, v103, v96, vcc_lo
	v_cndmask_b32_e32 v92, v107, v100, vcc_lo
	v_cndmask_b32_e64 v103, v125, v96, s11
	v_cndmask_b32_e64 v87, v87, v104, s17
	;; [unrolled: 1-line block ×3, first 2 shown]
	v_lshrrev_b32_e32 v105, 16, v89
	v_lshrrev_b32_e32 v109, 16, v93
	v_cndmask_b32_e64 v107, v127, v96, s13
	v_cndmask_b32_e64 v95, v95, v96, s15
	;; [unrolled: 1-line block ×14, first 2 shown]
	v_lshrrev_b32_e32 v113, 16, v97
	v_cndmask_b32_e64 v99, v99, v89, s4
	v_cndmask_b32_e64 v104, v111, v93, s4
	;; [unrolled: 1-line block ×11, first 2 shown]
	v_lshrrev_b32_e32 v106, 16, v90
	v_lshrrev_b32_e32 v110, 16, v94
	v_cndmask_b32_e64 v93, v99, v105, s5
	v_cndmask_b32_e64 v99, v104, v109, s5
	;; [unrolled: 1-line block ×9, first 2 shown]
	v_lshrrev_b32_e32 v114, 16, v98
	v_cndmask_b32_e64 v89, v89, v113, s5
	v_cndmask_b32_e64 v93, v93, v90, s6
	;; [unrolled: 1-line block ×19, first 2 shown]
	v_perm_b32 v90, v88, v87, 0x5040100
	v_cndmask_b32_e64 v87, v126, v100, s11
	v_cndmask_b32_e64 v105, v89, v114, s7
	v_perm_b32 v89, v103, v99, 0x5040100
	v_perm_b32 v88, v104, v94, 0x5040100
	v_cndmask_b32_e64 v94, v107, v112, s16
	v_cndmask_b32_e64 v95, v95, v112, s17
	;; [unrolled: 1-line block ×5, first 2 shown]
	v_lshrrev_b32_e32 v117, 16, v101
	v_cndmask_b32_e64 v94, v94, v97, s20
	v_cndmask_b32_e64 v95, v95, v97, s21
	;; [unrolled: 1-line block ×11, first 2 shown]
	v_lshrrev_b32_e32 v118, 16, v102
	v_cndmask_b32_e64 v91, v91, v102, s6
	v_cndmask_b32_e64 v94, v94, v98, s25
	;; [unrolled: 1-line block ×12, first 2 shown]
	v_perm_b32 v87, v93, v92, 0x5040100
	v_perm_b32 v94, v95, v94, 0x5040100
	;; [unrolled: 1-line block ×5, first 2 shown]
	s_mul_i32 s6, s33, 12
	s_mov_b32 s2, exec_lo
	ds_store_b128 v78, v[87:90]
	ds_store_b128 v78, v[91:94] offset:1024
	v_cmpx_gt_u32_e32 12, v0
	s_cbranch_execz .LBB337_16
; %bb.15:
	s_mul_i32 s3, s6, s30
	s_load_b128 s[8:11], s[0:1], 0x58
	v_add3_u32 v77, s3, s31, v77
	s_delay_alu instid0(VALU_DEP_1) | instskip(NEXT) | instid1(VALU_DEP_1)
	v_mad_u64_u32 v[87:88], null, v77, s34, s[14:15]
	v_ashrrev_i32_e32 v88, 31, v87
	s_delay_alu instid0(VALU_DEP_1) | instskip(SKIP_1) | instid1(VALU_DEP_1)
	v_lshlrev_b64 v[87:88], 2, v[87:88]
	s_waitcnt lgkmcnt(0)
	v_add_co_u32 v89, vcc_lo, s10, v87
	s_delay_alu instid0(VALU_DEP_2)
	v_add_co_ci_u32_e32 v90, vcc_lo, s11, v88, vcc_lo
	v_add_co_u32 v87, vcc_lo, s8, v87
	v_add_co_ci_u32_e32 v88, vcc_lo, s9, v88, vcc_lo
	global_store_b32 v[89:90], v85, off
	global_store_b32 v[87:88], v86, off
.LBB337_16:
	s_or_b32 exec_lo, exec_lo, s2
	s_waitcnt lgkmcnt(0)
	s_waitcnt_vscnt null, 0x0
	s_barrier
	buffer_gl0_inv
	ds_load_b128 v[93:96], v79
	ds_load_b128 v[97:100], v79 offset:16
	ds_load_b128 v[105:108], v79 offset:1040
	;; [unrolled: 1-line block ×5, first 2 shown]
	v_cmp_eq_u32_e32 vcc_lo, 1, v84
	v_mov_b32_e32 v85, 0
	ds_load_b128 v[121:124], v79 offset:3088
	ds_load_b128 v[117:120], v79 offset:3072
	ds_load_b128 v[129:132], v79 offset:4112
	ds_load_b128 v[125:128], v79 offset:4096
	v_cmp_eq_u32_e64 s2, 1, v80
	v_cmp_eq_u32_e64 s3, 1, v83
	;; [unrolled: 1-line block ×3, first 2 shown]
	v_mov_b32_e32 v86, v85
	v_mov_b32_e32 v87, v85
	;; [unrolled: 1-line block ×7, first 2 shown]
	v_cmp_eq_u32_e64 s5, 2, v80
	s_waitcnt lgkmcnt(8)
	s_delay_alu instid0(VALU_DEP_2)
	v_wmma_f32_16x16x16_f16 v[85:92], v[65:72], v[93:100], v[85:92]
	ds_load_b128 v[69:72], v79 offset:5136
	ds_load_b128 v[65:68], v79 offset:5120
	;; [unrolled: 1-line block ×4, first 2 shown]
	s_waitcnt lgkmcnt(10)
	v_wmma_f32_16x16x16_f16 v[85:92], v[57:64], v[101:108], v[85:92]
	s_waitcnt lgkmcnt(8)
	s_delay_alu instid0(VALU_DEP_1)
	v_wmma_f32_16x16x16_f16 v[85:92], v[57:64], v[109:116], v[85:92]
	ds_load_b128 v[61:64], v79 offset:7184
	ds_load_b128 v[57:60], v79 offset:7168
	;; [unrolled: 1-line block ×4, first 2 shown]
	s_waitcnt lgkmcnt(10)
	v_wmma_f32_16x16x16_f16 v[85:92], v[49:56], v[117:124], v[85:92]
	s_waitcnt lgkmcnt(8)
	s_delay_alu instid0(VALU_DEP_1)
	v_wmma_f32_16x16x16_f16 v[85:92], v[49:56], v[125:132], v[85:92]
	ds_load_b128 v[53:56], v79 offset:9232
	ds_load_b128 v[49:52], v79 offset:9216
	s_waitcnt lgkmcnt(8)
	v_wmma_f32_16x16x16_f16 v[85:92], v[41:48], v[65:72], v[85:92]
	ds_load_b128 v[69:72], v79 offset:10256
	ds_load_b128 v[65:68], v79 offset:10240
	s_waitcnt lgkmcnt(8)
	;; [unrolled: 4-line block ×7, first 2 shown]
	s_barrier
	buffer_gl0_inv
	v_wmma_f32_16x16x16_f16 v[85:92], v[33:40], v[41:48], v[85:92]
	s_delay_alu instid0(VALU_DEP_1) | instskip(NEXT) | instid1(VALU_DEP_1)
	v_wmma_f32_16x16x16_f16 v[85:92], v[33:40], v[57:64], v[85:92]
	v_wmma_f32_16x16x16_f16 v[85:92], v[25:32], v[9:16], v[85:92]
	s_delay_alu instid0(VALU_DEP_1) | instskip(NEXT) | instid1(VALU_DEP_1)
	v_wmma_f32_16x16x16_f16 v[85:92], v[25:32], v[49:56], v[85:92]
	v_wmma_f32_16x16x16_f16 v[85:92], v[17:24], v[1:8], v[85:92]
	s_delay_alu instid0(VALU_DEP_1) | instskip(NEXT) | instid1(VALU_DEP_2)
	v_cvt_f16_f32_e32 v1, v85
	v_cvt_f16_f32_e32 v2, v86
	s_delay_alu instid0(VALU_DEP_3) | instskip(NEXT) | instid1(VALU_DEP_4)
	v_cvt_f16_f32_e32 v3, v87
	v_cvt_f16_f32_e32 v4, v88
	;; [unrolled: 1-line block ×6, first 2 shown]
	v_pack_b32_f16 v1, v1, v2
	v_pack_b32_f16 v2, v3, v4
	;; [unrolled: 1-line block ×3, first 2 shown]
	s_delay_alu instid0(VALU_DEP_4)
	v_pack_b32_f16 v4, v7, v8
	ds_store_b128 v78, v[1:4]
	s_waitcnt lgkmcnt(0)
	s_barrier
	buffer_gl0_inv
	ds_load_b128 v[1:4], v81
	ds_load_b128 v[5:8], v81 offset:16
	s_waitcnt lgkmcnt(1)
	v_lshrrev_b32_e32 v9, 16, v1
	s_waitcnt lgkmcnt(0)
	v_lshrrev_b32_e32 v13, 16, v5
	v_lshrrev_b32_e32 v15, 16, v7
	;; [unrolled: 1-line block ×4, first 2 shown]
	v_cndmask_b32_e64 v17, v1, v9, s2
	v_cndmask_b32_e64 v18, v5, v13, s2
	;; [unrolled: 1-line block ×3, first 2 shown]
	v_cmp_eq_u32_e64 s2, 2, v82
	v_cndmask_b32_e64 v20, v5, v13, s4
	v_cndmask_b32_e32 v21, v1, v9, vcc_lo
	v_cndmask_b32_e32 v22, v5, v13, vcc_lo
	v_cndmask_b32_e64 v1, v1, v9, s3
	v_cndmask_b32_e64 v5, v5, v13, s3
	v_cmp_eq_u32_e32 vcc_lo, 2, v84
	v_cmp_eq_u32_e64 s3, 2, v83
	v_cndmask_b32_e64 v9, v17, v2, s5
	v_cndmask_b32_e64 v13, v18, v6, s5
	v_cndmask_b32_e64 v17, v19, v2, s2
	v_cndmask_b32_e64 v18, v20, v6, s2
	v_cndmask_b32_e32 v19, v21, v2, vcc_lo
	v_cmp_eq_u32_e64 s2, 3, v84
	v_cndmask_b32_e32 v20, v22, v6, vcc_lo
	v_cndmask_b32_e64 v1, v1, v2, s3
	v_cmp_eq_u32_e32 vcc_lo, 3, v83
	v_cmp_eq_u32_e64 s4, 3, v80
	v_cndmask_b32_e64 v2, v5, v6, s3
	v_cmp_eq_u32_e64 s3, 3, v82
	v_lshrrev_b32_e32 v16, 16, v8
	v_cmp_eq_u32_e64 s5, 4, v80
	v_cndmask_b32_e64 v5, v9, v10, s4
	v_cndmask_b32_e64 v6, v13, v14, s4
	;; [unrolled: 1-line block ×3, first 2 shown]
	v_cmp_eq_u32_e64 s4, 4, v82
	v_cndmask_b32_e64 v13, v18, v14, s3
	v_cndmask_b32_e64 v17, v19, v10, s2
	;; [unrolled: 1-line block ×3, first 2 shown]
	v_cndmask_b32_e32 v1, v1, v10, vcc_lo
	v_cndmask_b32_e32 v2, v2, v14, vcc_lo
	v_cmp_eq_u32_e32 vcc_lo, 4, v84
	v_cmp_eq_u32_e64 s3, 4, v83
	v_lshrrev_b32_e32 v11, 16, v3
	v_cndmask_b32_e64 v5, v5, v3, s5
	v_cndmask_b32_e64 v6, v6, v7, s5
	;; [unrolled: 1-line block ×4, first 2 shown]
	v_cndmask_b32_e32 v13, v17, v3, vcc_lo
	v_cmp_eq_u32_e64 s2, 5, v84
	v_cndmask_b32_e32 v14, v18, v7, vcc_lo
	v_cndmask_b32_e64 v1, v1, v3, s3
	v_cmp_eq_u32_e32 vcc_lo, 5, v83
	v_cmp_eq_u32_e64 s4, 5, v80
	v_cndmask_b32_e64 v2, v2, v7, s3
	v_cmp_eq_u32_e64 s3, 5, v82
	v_cmp_eq_u32_e64 s5, 6, v80
	v_cndmask_b32_e32 v1, v1, v11, vcc_lo
	v_cndmask_b32_e64 v3, v5, v11, s4
	v_cndmask_b32_e64 v5, v6, v15, s4
	;; [unrolled: 1-line block ×3, first 2 shown]
	v_cmp_eq_u32_e64 s4, 6, v82
	v_cndmask_b32_e64 v7, v10, v15, s3
	v_cndmask_b32_e64 v9, v13, v11, s2
	;; [unrolled: 1-line block ×3, first 2 shown]
	v_cndmask_b32_e32 v2, v2, v15, vcc_lo
	v_cmp_eq_u32_e32 vcc_lo, 6, v84
	v_cmp_eq_u32_e64 s2, 6, v83
	v_lshrrev_b32_e32 v12, 16, v4
	v_cndmask_b32_e64 v3, v3, v4, s5
	v_cndmask_b32_e64 v5, v5, v8, s5
	;; [unrolled: 1-line block ×4, first 2 shown]
	v_cndmask_b32_e32 v9, v9, v4, vcc_lo
	v_cmp_eq_u32_e64 s3, 7, v84
	v_cndmask_b32_e32 v10, v10, v8, vcc_lo
	v_cndmask_b32_e64 v1, v1, v4, s2
	v_cmp_eq_u32_e32 vcc_lo, 7, v83
	v_cndmask_b32_e64 v2, v2, v8, s2
	v_cmp_eq_u32_e64 s2, 7, v80
	v_cmp_eq_u32_e64 s4, 7, v82
	v_cndmask_b32_e32 v1, v1, v12, vcc_lo
	s_delay_alu instid0(VALU_DEP_4) | instskip(NEXT) | instid1(VALU_DEP_4)
	v_cndmask_b32_e32 v2, v2, v16, vcc_lo
	v_cndmask_b32_e64 v8, v3, v12, s2
	s_delay_alu instid0(VALU_DEP_4)
	v_cndmask_b32_e64 v6, v6, v12, s4
	v_cndmask_b32_e64 v3, v9, v12, s3
	;; [unrolled: 1-line block ×5, first 2 shown]
	v_perm_b32 v4, v2, v1, 0x5040100
	s_mov_b32 s2, exec_lo
	v_perm_b32 v3, v9, v3, 0x5040100
	v_perm_b32 v2, v7, v6, 0x5040100
	;; [unrolled: 1-line block ×3, first 2 shown]
	ds_store_b128 v78, v[1:4]
	s_waitcnt lgkmcnt(0)
	s_barrier
	buffer_gl0_inv
	v_cmpx_gt_u32_e32 32, v0
	s_cbranch_execz .LBB337_2
; %bb.17:
	s_load_b64 s[0:1], s[0:1], 0x68
	v_lshlrev_b32_e32 v0, 10, v0
	s_lshl_b32 s4, s34, 7
	v_or_b32_e32 v3, s31, v75
	s_mul_i32 s2, s4, s30
	v_lshlrev_b32_e32 v1, 4, v76
	s_mul_i32 s2, s2, s6
	v_lshlrev_b32_e32 v2, 6, v75
	v_and_b32_e32 v0, 0x3800, v0
	s_ashr_i32 s3, s2, 31
	v_mul_lo_u32 v4, v3, s4
	s_lshl_b64 s[2:3], s[2:3], 1
	s_delay_alu instid0(VALU_DEP_2) | instskip(NEXT) | instid1(VALU_DEP_2)
	v_or3_b32 v16, v0, v1, v2
	v_ashrrev_i32_e32 v5, 31, v4
	ds_load_b128 v[0:3], v16
	s_waitcnt lgkmcnt(0)
	s_add_u32 s2, s0, s2
	s_addc_u32 s3, s1, s3
	s_lshl_b32 s0, s14, 7
	v_lshlrev_b64 v[5:6], 1, v[4:5]
	s_ashr_i32 s1, s0, 31
	s_delay_alu instid0(SALU_CYCLE_1) | instskip(NEXT) | instid1(SALU_CYCLE_1)
	s_lshl_b64 s[0:1], s[0:1], 1
	s_add_u32 s0, s2, s0
	s_addc_u32 s1, s3, s1
	s_lshl_b32 s2, s34, 8
	v_add_co_u32 v30, vcc_lo, s0, v73
	v_add_nc_u32_e32 v8, s2, v4
	v_add_co_ci_u32_e32 v31, vcc_lo, s1, v74, vcc_lo
	s_delay_alu instid0(VALU_DEP_3) | instskip(NEXT) | instid1(VALU_DEP_3)
	v_add_co_u32 v12, vcc_lo, v30, v5
	v_add_nc_u32_e32 v10, s2, v8
	v_ashrrev_i32_e32 v9, 31, v8
	s_delay_alu instid0(VALU_DEP_4)
	v_add_co_ci_u32_e32 v13, vcc_lo, v31, v6, vcc_lo
	ds_load_b128 v[4:7], v16 offset:128
	v_ashrrev_i32_e32 v11, 31, v10
	v_lshlrev_b64 v[8:9], 1, v[8:9]
	v_add_nc_u32_e32 v14, s2, v10
	global_store_b128 v[12:13], v[0:3], off
	v_lshlrev_b64 v[0:1], 1, v[10:11]
	v_ashrrev_i32_e32 v15, 31, v14
	v_add_co_u32 v22, vcc_lo, v30, v8
	v_add_nc_u32_e32 v20, s2, v14
	v_add_co_ci_u32_e32 v23, vcc_lo, v31, v9, vcc_lo
	v_add_co_u32 v26, vcc_lo, v30, v0
	v_lshlrev_b64 v[24:25], 1, v[14:15]
	v_add_co_ci_u32_e32 v27, vcc_lo, v31, v1, vcc_lo
	ds_load_b128 v[0:3], v16 offset:256
	ds_load_b128 v[8:11], v16 offset:384
	;; [unrolled: 1-line block ×4, first 2 shown]
	v_add_nc_u32_e32 v28, s2, v20
	v_ashrrev_i32_e32 v21, 31, v20
	v_add_co_u32 v24, vcc_lo, v30, v24
	v_add_co_ci_u32_e32 v25, vcc_lo, v31, v25, vcc_lo
	s_delay_alu instid0(VALU_DEP_4) | instskip(NEXT) | instid1(VALU_DEP_4)
	v_ashrrev_i32_e32 v29, 31, v28
	v_lshlrev_b64 v[20:21], 1, v[20:21]
	s_delay_alu instid0(VALU_DEP_2) | instskip(NEXT) | instid1(VALU_DEP_2)
	v_lshlrev_b64 v[28:29], 1, v[28:29]
	v_add_co_u32 v20, vcc_lo, v30, v20
	s_delay_alu instid0(VALU_DEP_3) | instskip(NEXT) | instid1(VALU_DEP_3)
	v_add_co_ci_u32_e32 v21, vcc_lo, v31, v21, vcc_lo
	v_add_co_u32 v28, vcc_lo, v30, v28
	s_delay_alu instid0(VALU_DEP_4)
	v_add_co_ci_u32_e32 v29, vcc_lo, v31, v29, vcc_lo
	s_waitcnt lgkmcnt(4)
	global_store_b128 v[22:23], v[4:7], off
	s_waitcnt lgkmcnt(3)
	global_store_b128 v[26:27], v[0:3], off
	;; [unrolled: 2-line block ×5, first 2 shown]
	s_nop 0
	s_sendmsg sendmsg(MSG_DEALLOC_VGPRS)
	s_endpgm
	.section	.rodata,"a",@progbits
	.p2align	6, 0x0
	.amdhsa_kernel _Z39paged_attention_ll4mi_QKV_mfma16_kernelIDF16_DF16_LN4vllm18Fp8KVCacheDataTypeE0EhLi32ELi128ELi256ELb0ELi12EL8MFMAType0EEvPKT_PKT0_S8_ifPKiSA_SA_iPKfiiiPfSD_PS3_PT2_iSC_SC_
		.amdhsa_group_segment_fixed_size 17472
		.amdhsa_private_segment_fixed_size 0
		.amdhsa_kernarg_size 400
		.amdhsa_user_sgpr_count 13
		.amdhsa_user_sgpr_dispatch_ptr 0
		.amdhsa_user_sgpr_queue_ptr 0
		.amdhsa_user_sgpr_kernarg_segment_ptr 1
		.amdhsa_user_sgpr_dispatch_id 0
		.amdhsa_user_sgpr_private_segment_size 0
		.amdhsa_wavefront_size32 1
		.amdhsa_uses_dynamic_stack 0
		.amdhsa_enable_private_segment 0
		.amdhsa_system_sgpr_workgroup_id_x 1
		.amdhsa_system_sgpr_workgroup_id_y 1
		.amdhsa_system_sgpr_workgroup_id_z 1
		.amdhsa_system_sgpr_workgroup_info 0
		.amdhsa_system_vgpr_workitem_id 0
		.amdhsa_next_free_vgpr 172
		.amdhsa_next_free_sgpr 38
		.amdhsa_reserve_vcc 1
		.amdhsa_float_round_mode_32 0
		.amdhsa_float_round_mode_16_64 0
		.amdhsa_float_denorm_mode_32 3
		.amdhsa_float_denorm_mode_16_64 3
		.amdhsa_dx10_clamp 1
		.amdhsa_ieee_mode 1
		.amdhsa_fp16_overflow 0
		.amdhsa_workgroup_processor_mode 1
		.amdhsa_memory_ordered 1
		.amdhsa_forward_progress 0
		.amdhsa_shared_vgpr_count 0
		.amdhsa_exception_fp_ieee_invalid_op 0
		.amdhsa_exception_fp_denorm_src 0
		.amdhsa_exception_fp_ieee_div_zero 0
		.amdhsa_exception_fp_ieee_overflow 0
		.amdhsa_exception_fp_ieee_underflow 0
		.amdhsa_exception_fp_ieee_inexact 0
		.amdhsa_exception_int_div_zero 0
	.end_amdhsa_kernel
	.section	.text._Z39paged_attention_ll4mi_QKV_mfma16_kernelIDF16_DF16_LN4vllm18Fp8KVCacheDataTypeE0EhLi32ELi128ELi256ELb0ELi12EL8MFMAType0EEvPKT_PKT0_S8_ifPKiSA_SA_iPKfiiiPfSD_PS3_PT2_iSC_SC_,"axG",@progbits,_Z39paged_attention_ll4mi_QKV_mfma16_kernelIDF16_DF16_LN4vllm18Fp8KVCacheDataTypeE0EhLi32ELi128ELi256ELb0ELi12EL8MFMAType0EEvPKT_PKT0_S8_ifPKiSA_SA_iPKfiiiPfSD_PS3_PT2_iSC_SC_,comdat
.Lfunc_end337:
	.size	_Z39paged_attention_ll4mi_QKV_mfma16_kernelIDF16_DF16_LN4vllm18Fp8KVCacheDataTypeE0EhLi32ELi128ELi256ELb0ELi12EL8MFMAType0EEvPKT_PKT0_S8_ifPKiSA_SA_iPKfiiiPfSD_PS3_PT2_iSC_SC_, .Lfunc_end337-_Z39paged_attention_ll4mi_QKV_mfma16_kernelIDF16_DF16_LN4vllm18Fp8KVCacheDataTypeE0EhLi32ELi128ELi256ELb0ELi12EL8MFMAType0EEvPKT_PKT0_S8_ifPKiSA_SA_iPKfiiiPfSD_PS3_PT2_iSC_SC_
                                        ; -- End function
	.section	.AMDGPU.csdata,"",@progbits
; Kernel info:
; codeLenInByte = 7608
; NumSgprs: 40
; NumVgprs: 172
; ScratchSize: 0
; MemoryBound: 0
; FloatMode: 240
; IeeeMode: 1
; LDSByteSize: 17472 bytes/workgroup (compile time only)
; SGPRBlocks: 4
; VGPRBlocks: 21
; NumSGPRsForWavesPerEU: 40
; NumVGPRsForWavesPerEU: 172
; Occupancy: 8
; WaveLimiterHint : 1
; COMPUTE_PGM_RSRC2:SCRATCH_EN: 0
; COMPUTE_PGM_RSRC2:USER_SGPR: 13
; COMPUTE_PGM_RSRC2:TRAP_HANDLER: 0
; COMPUTE_PGM_RSRC2:TGID_X_EN: 1
; COMPUTE_PGM_RSRC2:TGID_Y_EN: 1
; COMPUTE_PGM_RSRC2:TGID_Z_EN: 1
; COMPUTE_PGM_RSRC2:TIDIG_COMP_CNT: 0
	.section	.text._Z39paged_attention_ll4mi_QKV_mfma16_kernelIDF16_DF16_LN4vllm18Fp8KVCacheDataTypeE0EhLi32ELi128ELi256ELb0ELi13EL8MFMAType0EEvPKT_PKT0_S8_ifPKiSA_SA_iPKfiiiPfSD_PS3_PT2_iSC_SC_,"axG",@progbits,_Z39paged_attention_ll4mi_QKV_mfma16_kernelIDF16_DF16_LN4vllm18Fp8KVCacheDataTypeE0EhLi32ELi128ELi256ELb0ELi13EL8MFMAType0EEvPKT_PKT0_S8_ifPKiSA_SA_iPKfiiiPfSD_PS3_PT2_iSC_SC_,comdat
	.protected	_Z39paged_attention_ll4mi_QKV_mfma16_kernelIDF16_DF16_LN4vllm18Fp8KVCacheDataTypeE0EhLi32ELi128ELi256ELb0ELi13EL8MFMAType0EEvPKT_PKT0_S8_ifPKiSA_SA_iPKfiiiPfSD_PS3_PT2_iSC_SC_ ; -- Begin function _Z39paged_attention_ll4mi_QKV_mfma16_kernelIDF16_DF16_LN4vllm18Fp8KVCacheDataTypeE0EhLi32ELi128ELi256ELb0ELi13EL8MFMAType0EEvPKT_PKT0_S8_ifPKiSA_SA_iPKfiiiPfSD_PS3_PT2_iSC_SC_
	.globl	_Z39paged_attention_ll4mi_QKV_mfma16_kernelIDF16_DF16_LN4vllm18Fp8KVCacheDataTypeE0EhLi32ELi128ELi256ELb0ELi13EL8MFMAType0EEvPKT_PKT0_S8_ifPKiSA_SA_iPKfiiiPfSD_PS3_PT2_iSC_SC_
	.p2align	8
	.type	_Z39paged_attention_ll4mi_QKV_mfma16_kernelIDF16_DF16_LN4vllm18Fp8KVCacheDataTypeE0EhLi32ELi128ELi256ELb0ELi13EL8MFMAType0EEvPKT_PKT0_S8_ifPKiSA_SA_iPKfiiiPfSD_PS3_PT2_iSC_SC_,@function
_Z39paged_attention_ll4mi_QKV_mfma16_kernelIDF16_DF16_LN4vllm18Fp8KVCacheDataTypeE0EhLi32ELi128ELi256ELb0ELi13EL8MFMAType0EEvPKT_PKT0_S8_ifPKiSA_SA_iPKfiiiPfSD_PS3_PT2_iSC_SC_: ; @_Z39paged_attention_ll4mi_QKV_mfma16_kernelIDF16_DF16_LN4vllm18Fp8KVCacheDataTypeE0EhLi32ELi128ELi256ELb0ELi13EL8MFMAType0EEvPKT_PKT0_S8_ifPKiSA_SA_iPKfiiiPfSD_PS3_PT2_iSC_SC_
; %bb.0:
	s_load_b64 s[2:3], s[0:1], 0x30
	s_mov_b32 s34, s13
	s_waitcnt lgkmcnt(0)
	s_cmp_lg_u64 s[2:3], 0
	s_cselect_b32 s6, -1, 0
	s_ashr_i32 s35, s13, 31
	s_cmp_eq_u64 s[2:3], 0
	s_cbranch_scc1 .LBB338_3
; %bb.1:
	s_lshl_b64 s[4:5], s[34:35], 2
	s_delay_alu instid0(SALU_CYCLE_1) | instskip(SKIP_4) | instid1(SALU_CYCLE_1)
	s_add_u32 s4, s2, s4
	s_addc_u32 s5, s3, s5
	s_load_b64 s[4:5], s[4:5], 0x0
	s_waitcnt lgkmcnt(0)
	s_sub_i32 s4, s5, s4
	s_cmp_eq_u32 s4, 1
	s_cselect_b32 s4, -1, 0
	s_delay_alu instid0(SALU_CYCLE_1)
	s_and_not1_b32 vcc_lo, exec_lo, s4
	s_cbranch_vccz .LBB338_4
.LBB338_2:
	s_nop 0
	s_sendmsg sendmsg(MSG_DEALLOC_VGPRS)
	s_endpgm
.LBB338_3:
.LBB338_4:
	s_load_b64 s[8:9], s[0:1], 0x28
	s_lshl_b64 s[4:5], s[34:35], 2
	s_waitcnt lgkmcnt(0)
	s_add_u32 s8, s8, s4
	s_addc_u32 s9, s9, s5
	s_lshl_b32 s12, s14, 8
	s_load_b32 s17, s[8:9], 0x0
	s_waitcnt lgkmcnt(0)
	s_cmp_ge_i32 s12, s17
	s_cbranch_scc1 .LBB338_2
; %bb.5:
	s_and_not1_b32 vcc_lo, exec_lo, s6
	s_cbranch_vccnz .LBB338_7
; %bb.6:
	s_add_u32 s2, s2, s4
	s_addc_u32 s3, s3, s5
	s_load_b32 s13, s[2:3], 0x0
	s_branch .LBB338_8
.LBB338_7:
	s_mov_b32 s13, s34
.LBB338_8:
	s_clause 0x2
	s_load_b128 s[8:11], s[0:1], 0x8
	s_load_b64 s[2:3], s[0:1], 0x20
	s_load_b128 s[4:7], s[0:1], 0x48
	v_lshrrev_b32_e32 v78, 5, v0
	v_bfe_u32 v75, v0, 4, 1
	v_and_b32_e32 v77, 15, v0
	s_waitcnt lgkmcnt(0)
	s_mov_b32 s7, exec_lo
	s_delay_alu instid0(VALU_DEP_2) | instskip(NEXT) | instid1(VALU_DEP_2)
	v_lshl_or_b32 v3, v78, 1, v75
	v_lshlrev_b32_e32 v1, 3, v77
	s_delay_alu instid0(VALU_DEP_2)
	v_cmpx_lt_u32_e32 12, v3
	s_xor_b32 s7, exec_lo, s7
; %bb.9:
	v_mov_b32_e32 v2, 0
                                        ; implicit-def: $vgpr3
; %bb.10:
	s_or_saveexec_b32 s7, s7
	v_and_b32_e32 v80, 31, v0
	v_and_b32_e32 v76, 1, v0
	s_mul_i32 s31, s15, 13
	s_xor_b32 exec_lo, exec_lo, s7
	s_cbranch_execz .LBB338_12
; %bb.11:
	s_load_b64 s[18:19], s[0:1], 0x0
	v_add_lshl_u32 v4, v3, s31, 7
	s_mul_hi_i32 s21, s13, s4
	s_mul_i32 s20, s13, s4
	v_lshlrev_b32_e32 v2, 1, v1
	s_lshl_b64 s[20:21], s[20:21], 1
	v_ashrrev_i32_e32 v5, 31, v4
	v_lshlrev_b32_e32 v3, 6, v3
	v_lshlrev_b32_e32 v8, 10, v76
	s_delay_alu instid0(VALU_DEP_3) | instskip(SKIP_3) | instid1(VALU_DEP_1)
	v_lshlrev_b64 v[4:5], 1, v[4:5]
	s_waitcnt lgkmcnt(0)
	s_add_u32 s4, s18, s20
	s_addc_u32 s13, s19, s21
	v_add_co_u32 v4, vcc_lo, s4, v4
	s_delay_alu instid0(VALU_DEP_2) | instskip(NEXT) | instid1(VALU_DEP_2)
	v_add_co_ci_u32_e32 v5, vcc_lo, s13, v5, vcc_lo
	v_add_co_u32 v4, vcc_lo, v4, v2
	s_delay_alu instid0(VALU_DEP_2) | instskip(SKIP_3) | instid1(VALU_DEP_1)
	v_add_co_ci_u32_e32 v5, vcc_lo, 0, v5, vcc_lo
	v_lshlrev_b32_e32 v2, 10, v77
	global_load_b128 v[4:7], v[4:5], off
	v_and_b32_e32 v2, 0x3800, v2
	v_or3_b32 v3, v2, v8, v3
	v_mov_b32_e32 v2, 0
	s_waitcnt vmcnt(0)
	ds_store_b128 v3, v[4:7]
.LBB338_12:
	s_or_b32 exec_lo, exec_lo, s7
	v_and_b32_e32 v3, 0xef, v0
	s_add_i32 s4, s17, 31
	s_clause 0x1
	s_load_b32 s7, s[0:1], 0x38
	s_load_b32 s33, s[0:1], 0x98
	s_ashr_i32 s13, s4, 31
	v_add_nc_u32_e32 v3, s12, v3
	s_lshr_b32 s13, s13, 27
	s_load_b32 s18, s[0:1], 0x1c
	s_add_i32 s4, s4, s13
	s_waitcnt lgkmcnt(0)
	v_ashrrev_i32_e32 v4, 31, v3
	v_cmp_gt_i32_e32 vcc_lo, s17, v3
	s_ashr_i32 s4, s4, 5
	s_barrier
	s_add_i32 s4, s4, -1
	v_lshrrev_b32_e32 v5, 27, v4
	v_or_b32_e32 v4, 16, v3
	buffer_gl0_inv
	v_lshlrev_b64 v[73:74], 1, v[1:2]
	v_lshlrev_b32_e32 v79, 6, v77
	v_add_nc_u32_e32 v6, v3, v5
	v_add_nc_u32_e32 v5, v4, v5
	s_mul_i32 s20, s34, s7
	s_delay_alu instid0(SALU_CYCLE_1) | instskip(NEXT) | instid1(VALU_DEP_2)
	s_ashr_i32 s21, s20, 31
	v_ashrrev_i32_e32 v6, 5, v6
	s_delay_alu instid0(VALU_DEP_2) | instskip(SKIP_1) | instid1(SALU_CYCLE_1)
	v_ashrrev_i32_e32 v5, 5, v5
	s_lshl_b64 s[20:21], s[20:21], 2
	s_add_u32 s13, s2, s20
	s_delay_alu instid0(VALU_DEP_2) | instskip(SKIP_3) | instid1(SALU_CYCLE_1)
	v_cndmask_b32_e32 v3, s4, v6, vcc_lo
	v_cmp_gt_i32_e32 vcc_lo, s17, v4
	s_addc_u32 s16, s3, s21
	s_mul_i32 s2, s15, s6
	s_ashr_i32 s3, s2, 31
	v_cndmask_b32_e32 v5, s4, v5, vcc_lo
	v_ashrrev_i32_e32 v4, 31, v3
	s_lshl_b64 s[2:3], s[2:3], 1
	s_delay_alu instid0(SALU_CYCLE_1) | instskip(NEXT) | instid1(VALU_DEP_2)
	s_add_u32 s15, s8, s2
	v_ashrrev_i32_e32 v6, 31, v5
	s_delay_alu instid0(VALU_DEP_2) | instskip(SKIP_2) | instid1(VALU_DEP_2)
	v_lshlrev_b64 v[3:4], 2, v[3:4]
	s_addc_u32 s19, s9, s3
	s_lshl_b32 s6, s14, 3
	v_lshlrev_b64 v[5:6], 2, v[5:6]
	s_ashr_i32 s7, s6, 31
	s_delay_alu instid0(VALU_DEP_2) | instskip(SKIP_1) | instid1(VALU_DEP_3)
	v_add_co_u32 v3, vcc_lo, s13, v3
	v_add_co_ci_u32_e32 v4, vcc_lo, s16, v4, vcc_lo
	v_add_co_u32 v5, vcc_lo, s13, v5
	s_delay_alu instid0(VALU_DEP_4)
	v_add_co_ci_u32_e32 v6, vcc_lo, s16, v6, vcc_lo
	s_lshl_b64 s[6:7], s[6:7], 2
	s_clause 0x1
	global_load_b32 v7, v[3:4], off
	global_load_b32 v8, v[5:6], off
	s_add_u32 s6, s13, s6
	s_addc_u32 s7, s16, s7
	s_or_b32 s8, s12, 32
	s_delay_alu instid0(SALU_CYCLE_1) | instskip(SKIP_2) | instid1(SALU_CYCLE_1)
	s_ashr_i32 s9, s8, 5
	s_cmp_lt_i32 s8, s17
	s_cselect_b32 s8, s9, s4
	s_ashr_i32 s9, s8, 31
	s_delay_alu instid0(SALU_CYCLE_1) | instskip(NEXT) | instid1(SALU_CYCLE_1)
	s_lshl_b64 s[8:9], s[8:9], 2
	s_add_u32 s8, s13, s8
	s_addc_u32 s9, s16, s9
	s_or_b32 s20, s12, 64
	s_delay_alu instid0(SALU_CYCLE_1) | instskip(SKIP_2) | instid1(SALU_CYCLE_1)
	s_ashr_i32 s21, s20, 5
	s_cmp_lt_i32 s20, s17
	s_cselect_b32 s20, s21, s4
	s_ashr_i32 s21, s20, 31
	s_delay_alu instid0(SALU_CYCLE_1) | instskip(NEXT) | instid1(SALU_CYCLE_1)
	s_lshl_b64 s[20:21], s[20:21], 2
	;; [unrolled: 10-line block ×5, first 2 shown]
	s_add_u32 s26, s13, s26
	s_addc_u32 s27, s16, s27
	s_clause 0x5
	s_load_b32 s28, s[6:7], 0x0
	s_load_b32 s29, s[8:9], 0x0
	;; [unrolled: 1-line block ×6, first 2 shown]
	s_mov_b32 s20, 0
	s_or_b32 s6, s12, 0xc0
	s_mov_b32 s21, s20
	s_mov_b32 s22, s20
	;; [unrolled: 1-line block ×7, first 2 shown]
	s_ashr_i32 s7, s6, 5
	v_mov_b32_e32 v128, s27
	s_cmp_lt_i32 s6, s17
	v_mov_b32_e32 v127, s26
	s_cselect_b32 s6, s7, s4
	v_mov_b32_e32 v126, s25
	s_ashr_i32 s7, s6, 31
	v_mov_b32_e32 v125, s24
	s_lshl_b64 s[6:7], s[6:7], 2
	v_mov_b32_e32 v124, s23
	s_add_u32 s6, s13, s6
	s_addc_u32 s7, s16, s7
	v_mov_b32_e32 v123, s22
	v_mov_b32_e32 v121, s20
	s_waitcnt lgkmcnt(0)
	s_mul_hi_i32 s9, s28, s5
	s_mul_i32 s8, s28, s5
	s_mul_hi_i32 s37, s38, s5
	v_mov_b32_e32 v122, s21
	s_mul_hi_i32 s21, s29, s5
	s_mul_i32 s20, s29, s5
	s_mul_hi_i32 s25, s30, s5
	s_mul_i32 s24, s30, s5
	;; [unrolled: 2-line block ×3, first 2 shown]
	s_waitcnt vmcnt(1)
	v_mad_i64_i32 v[3:4], null, v7, s5, 0
	s_waitcnt vmcnt(0)
	v_mad_i64_i32 v[5:6], null, v8, s5, 0
	s_delay_alu instid0(VALU_DEP_2) | instskip(NEXT) | instid1(VALU_DEP_2)
	v_lshlrev_b64 v[3:4], 1, v[3:4]
	v_lshlrev_b64 v[1:2], 1, v[5:6]
	s_delay_alu instid0(VALU_DEP_2) | instskip(NEXT) | instid1(VALU_DEP_3)
	v_add_co_u32 v3, vcc_lo, s15, v3
	v_add_co_ci_u32_e32 v4, vcc_lo, s19, v4, vcc_lo
	s_delay_alu instid0(VALU_DEP_3) | instskip(NEXT) | instid1(VALU_DEP_4)
	v_add_co_u32 v1, vcc_lo, s15, v1
	v_add_co_ci_u32_e32 v2, vcc_lo, s19, v2, vcc_lo
	s_delay_alu instid0(VALU_DEP_4) | instskip(NEXT) | instid1(VALU_DEP_4)
	v_add_co_u32 v65, vcc_lo, v3, v73
	v_add_co_ci_u32_e32 v66, vcc_lo, v4, v74, vcc_lo
	s_delay_alu instid0(VALU_DEP_4) | instskip(NEXT) | instid1(VALU_DEP_4)
	v_add_co_u32 v67, vcc_lo, v1, v73
	v_add_co_ci_u32_e32 v68, vcc_lo, v2, v74, vcc_lo
	s_clause 0xf
	global_load_b128 v[1:4], v[65:66], off
	global_load_b128 v[5:8], v[65:66], off offset:512
	global_load_b128 v[9:12], v[67:68], off offset:256
	;; [unrolled: 1-line block ×15, first 2 shown]
	v_add_co_u32 v157, vcc_lo, 0x1000, v65
	v_add_co_ci_u32_e32 v158, vcc_lo, 0, v66, vcc_lo
	v_add_co_u32 v165, vcc_lo, 0x1000, v67
	v_add_co_ci_u32_e32 v166, vcc_lo, 0, v68, vcc_lo
	s_clause 0x7
	global_load_b128 v[81:84], v[157:158], off
	global_load_b128 v[85:88], v[157:158], off offset:512
	global_load_b128 v[89:92], v[165:166], off offset:256
	;; [unrolled: 1-line block ×7, first 2 shown]
	v_add_nc_u32_e32 v65, -13, v77
	v_cmp_gt_u32_e32 vcc_lo, 13, v77
	s_or_b32 s15, s12, 0xe0
	s_delay_alu instid0(SALU_CYCLE_1) | instskip(SKIP_3) | instid1(SALU_CYCLE_1)
	s_ashr_i32 s19, s15, 5
	s_cmp_lt_i32 s15, s17
	v_cndmask_b32_e32 v65, v65, v77, vcc_lo
	s_cselect_b32 s22, s19, s4
	s_ashr_i32 s23, s22, 31
	s_delay_alu instid0(VALU_DEP_1)
	v_lshlrev_b32_e32 v169, 6, v65
	ds_load_b128 v[65:68], v169
	ds_load_b128 v[69:72], v169 offset:1024
	s_clause 0x1
	global_load_b128 v[113:116], v[157:158], off offset:2048
	global_load_b128 v[117:120], v[157:158], off offset:2560
	ds_load_b128 v[129:132], v169 offset:2048
	ds_load_b128 v[133:136], v169 offset:3072
	s_clause 0x5
	global_load_b128 v[145:148], v[165:166], off offset:2304
	global_load_b128 v[149:152], v[165:166], off offset:2816
	;; [unrolled: 1-line block ×6, first 2 shown]
	s_lshl_b64 s[22:23], s[22:23], 2
	s_delay_alu instid0(SALU_CYCLE_1) | instskip(SKIP_2) | instid1(SALU_CYCLE_1)
	s_add_u32 s22, s13, s22
	s_addc_u32 s23, s16, s23
	s_add_i32 s15, s12, 0x100
	s_ashr_i32 s19, s15, 5
	s_cmp_lt_i32 s15, s17
	s_cselect_b32 s28, s19, s4
	s_delay_alu instid0(SALU_CYCLE_1) | instskip(NEXT) | instid1(SALU_CYCLE_1)
	s_ashr_i32 s29, s28, 31
	s_lshl_b64 s[28:29], s[28:29], 2
	s_delay_alu instid0(SALU_CYCLE_1)
	s_add_u32 s28, s13, s28
	s_addc_u32 s29, s16, s29
	s_add_u32 s4, s10, s2
	s_addc_u32 s19, s11, s3
	s_lshl_b64 s[2:3], s[8:9], 1
	s_lshl_b64 s[8:9], s[20:21], 1
	;; [unrolled: 1-line block ×4, first 2 shown]
	s_waitcnt vmcnt(30) lgkmcnt(2)
	v_wmma_f32_16x16x16_f16 v[137:144], v[1:8], v[65:72], v[121:128]
	ds_load_b128 v[1:4], v169 offset:4096
	ds_load_b128 v[5:8], v169 offset:5120
	s_waitcnt vmcnt(28)
	v_wmma_f32_16x16x16_f16 v[121:128], v[9:16], v[65:72], v[121:128]
	ds_load_b128 v[9:12], v169 offset:6144
	ds_load_b128 v[13:16], v169 offset:7168
	s_waitcnt vmcnt(26) lgkmcnt(4)
	v_wmma_f32_16x16x16_f16 v[137:144], v[17:24], v[129:136], v[137:144]
	ds_load_b128 v[17:20], v169 offset:8192
	ds_load_b128 v[21:24], v169 offset:9216
	s_waitcnt vmcnt(24)
	v_wmma_f32_16x16x16_f16 v[121:128], v[25:32], v[129:136], v[121:128]
	v_lshl_or_b32 v25, v78, 10, v79
	ds_load_b128 v[129:132], v169 offset:10240
	ds_load_b128 v[133:136], v169 offset:11264
	s_clause 0x2
	s_load_b32 s15, s[6:7], 0x0
	s_load_b32 s13, s[22:23], 0x0
	;; [unrolled: 1-line block ×3, first 2 shown]
	s_mul_hi_i32 s7, s36, s5
	v_add_co_u32 v170, s4, s4, v25
	s_delay_alu instid0(VALU_DEP_1)
	v_add_co_ci_u32_e64 v171, null, s19, 0, s4
	s_mul_i32 s6, s36, s5
	s_mul_i32 s36, s38, s5
	s_lshl_b64 s[6:7], s[6:7], 1
	s_lshl_b64 s[22:23], s[36:37], 1
	s_waitcnt vmcnt(22) lgkmcnt(0)
	v_wmma_f32_16x16x16_f16 v[137:144], v[33:40], v[1:8], v[137:144]
	s_waitcnt vmcnt(20)
	v_wmma_f32_16x16x16_f16 v[121:128], v[41:48], v[1:8], v[121:128]
	v_add_co_u32 v1, vcc_lo, v170, s2
	v_add_co_ci_u32_e32 v2, vcc_lo, s3, v171, vcc_lo
	v_add_co_u32 v3, vcc_lo, v170, s8
	v_add_co_ci_u32_e32 v4, vcc_lo, s9, v171, vcc_lo
	;; [unrolled: 2-line block ×4, first 2 shown]
	v_add_co_u32 v25, vcc_lo, v170, s6
	s_mul_hi_i32 s25, s15, s5
	s_mul_i32 s24, s15, s5
	v_add_co_ci_u32_e32 v26, vcc_lo, s7, v171, vcc_lo
	v_add_co_u32 v27, vcc_lo, v170, s22
	s_lshl_b64 s[24:25], s[24:25], 1
	s_waitcnt vmcnt(18)
	v_wmma_f32_16x16x16_f16 v[137:144], v[49:56], v[9:16], v[137:144]
	s_waitcnt vmcnt(16)
	v_wmma_f32_16x16x16_f16 v[121:128], v[57:64], v[9:16], v[121:128]
	v_add_co_ci_u32_e32 v28, vcc_lo, s23, v171, vcc_lo
	s_mul_hi_i32 s3, s13, s5
	s_mul_i32 s2, s13, s5
	v_add_co_u32 v29, vcc_lo, v170, s24
	s_lshl_b64 s[2:3], s[2:3], 1
	v_add_co_ci_u32_e32 v30, vcc_lo, s25, v171, vcc_lo
	s_waitcnt vmcnt(14)
	v_wmma_f32_16x16x16_f16 v[137:144], v[81:88], v[17:24], v[137:144]
	s_waitcnt vmcnt(12)
	v_wmma_f32_16x16x16_f16 v[121:128], v[89:96], v[17:24], v[121:128]
	v_add_co_u32 v17, vcc_lo, v170, s2
	v_add_co_ci_u32_e32 v18, vcc_lo, s3, v171, vcc_lo
	s_mul_hi_i32 s3, s16, s5
	s_mul_i32 s2, s16, s5
	s_clause 0x5
	global_load_b128 v[65:68], v[1:2], off
	global_load_b128 v[69:72], v[1:2], off offset:16
	global_load_b128 v[57:60], v[3:4], off
	global_load_b128 v[61:64], v[3:4], off offset:16
	global_load_b128 v[49:52], v[5:6], off
	global_load_b128 v[53:56], v[5:6], off offset:16
	s_lshl_b64 s[2:3], s[2:3], 1
	s_clause 0x1
	global_load_b128 v[41:44], v[7:8], off
	global_load_b128 v[45:48], v[7:8], off offset:16
	v_add_co_u32 v21, vcc_lo, v170, s2
	v_add_co_ci_u32_e32 v22, vcc_lo, s3, v171, vcc_lo
	s_clause 0x9
	global_load_b128 v[9:12], v[25:26], off
	global_load_b128 v[13:16], v[25:26], off offset:16
	global_load_b128 v[1:4], v[27:28], off
	global_load_b128 v[5:8], v[27:28], off offset:16
	;; [unrolled: 2-line block ×5, first 2 shown]
	ds_load_b128 v[81:84], v169 offset:12288
	ds_load_b128 v[85:88], v169 offset:13312
	v_and_b32_e32 v89, 0xe0, v0
	s_waitcnt vmcnt(28)
	v_wmma_f32_16x16x16_f16 v[137:144], v[97:104], v[129:136], v[137:144]
	v_mbcnt_lo_u32_b32 v97, -1, 0
	s_waitcnt vmcnt(26)
	v_wmma_f32_16x16x16_f16 v[121:128], v[105:112], v[129:136], v[121:128]
	v_add_nc_u32_e32 v98, s12, v89
	ds_load_b128 v[89:92], v169 offset:14336
	ds_load_b128 v[93:96], v169 offset:15360
	v_xor_b32_e32 v99, 16, v97
	s_waitcnt vmcnt(0) lgkmcnt(0)
	s_barrier
	v_or_b32_e32 v98, v98, v75
	buffer_gl0_inv
	v_cmp_gt_i32_e32 vcc_lo, 32, v99
	v_or_b32_e32 v100, 4, v98
	v_or_b32_e32 v101, 22, v98
	;; [unrolled: 1-line block ×4, first 2 shown]
	v_wmma_f32_16x16x16_f16 v[137:144], v[113:120], v[81:88], v[137:144]
	v_wmma_f32_16x16x16_f16 v[121:128], v[145:152], v[81:88], v[121:128]
	v_or_b32_e32 v81, 6, v98
	v_or_b32_e32 v82, 8, v98
	;; [unrolled: 1-line block ×3, first 2 shown]
	v_cmp_gt_i32_e64 s3, s17, v100
	v_or_b32_e32 v84, 12, v98
	v_wmma_f32_16x16x16_f16 v[137:144], v[153:160], v[89:96], v[137:144]
	v_wmma_f32_16x16x16_f16 v[121:128], v[161:168], v[89:96], v[121:128]
	v_cndmask_b32_e32 v97, v97, v99, vcc_lo
	v_or_b32_e32 v99, 2, v98
	v_cmp_gt_i32_e32 vcc_lo, s17, v98
	v_dual_mul_f32 v95, s18, v138 :: v_dual_mul_f32 v96, s18, v137
	v_mul_f32_e32 v93, s18, v140
	s_delay_alu instid0(VALU_DEP_4)
	v_cmp_gt_i32_e64 s2, s17, v99
	v_mul_f32_e32 v94, s18, v139
	v_mul_f32_e32 v110, s18, v124
	v_cndmask_b32_e32 v96, 0xff7fffff, v96, vcc_lo
	v_cmp_gt_i32_e64 s4, s17, v81
	v_cndmask_b32_e64 v95, 0xff7fffff, v95, s2
	v_or_b32_e32 v85, 14, v98
	v_dual_mul_f32 v91, s18, v142 :: v_dual_mul_f32 v92, s18, v141
	v_cndmask_b32_e64 v94, 0xff7fffff, v94, s3
	v_cndmask_b32_e64 v81, 0xff7fffff, v93, s4
	v_max3_f32 v93, v96, 0xff7fffff, v95
	v_cmp_gt_i32_e64 s5, s17, v82
	v_cmp_gt_i32_e64 s6, s17, v83
	v_or_b32_e32 v86, 16, v98
	v_or_b32_e32 v87, 18, v98
	v_dual_mul_f32 v89, s18, v144 :: v_dual_mul_f32 v112, s18, v122
	v_mul_f32_e32 v90, s18, v143
	v_cndmask_b32_e64 v82, 0xff7fffff, v92, s5
	v_cndmask_b32_e64 v83, 0xff7fffff, v91, s6
	v_max3_f32 v81, v93, v94, v81
	v_cmp_gt_i32_e64 s7, s17, v84
	v_cmp_gt_i32_e64 s8, s17, v85
	v_or_b32_e32 v88, 20, v98
	v_mul_f32_e32 v113, s18, v121
	v_max3_f32 v81, v81, v82, v83
	v_cndmask_b32_e64 v84, 0xff7fffff, v90, s7
	v_cndmask_b32_e64 v85, 0xff7fffff, v89, s8
	v_cmp_gt_i32_e64 s9, s17, v86
	v_cmp_gt_i32_e64 s10, s17, v87
	v_mul_f32_e32 v111, s18, v123
	v_cmp_gt_i32_e64 s11, s17, v88
	v_max3_f32 v81, v81, v84, v85
	v_cndmask_b32_e64 v82, 0xff7fffff, v113, s9
	v_cndmask_b32_e64 v83, 0xff7fffff, v112, s10
	v_cmp_gt_i32_e64 s12, s17, v101
	v_or_b32_e32 v104, 28, v98
	v_or_b32_e32 v105, 30, v98
	v_dual_mul_f32 v108, s18, v126 :: v_dual_mul_f32 v109, s18, v125
	v_cndmask_b32_e64 v84, 0xff7fffff, v111, s11
	v_cndmask_b32_e64 v85, 0xff7fffff, v110, s12
	v_max3_f32 v81, v81, v82, v83
	v_cmp_gt_i32_e64 s13, s17, v102
	v_cmp_gt_i32_e64 s15, s17, v103
	v_dual_mul_f32 v106, s18, v128 :: v_dual_mul_f32 v107, s18, v127
	s_delay_alu instid0(VALU_DEP_4) | instskip(NEXT) | instid1(VALU_DEP_4)
	v_max3_f32 v81, v81, v84, v85
	v_cndmask_b32_e64 v82, 0xff7fffff, v109, s13
	s_delay_alu instid0(VALU_DEP_4) | instskip(SKIP_2) | instid1(VALU_DEP_3)
	v_cndmask_b32_e64 v83, 0xff7fffff, v108, s15
	v_cmp_gt_i32_e64 s16, s17, v104
	v_cmp_gt_i32_e64 s17, s17, v105
	v_max3_f32 v81, v81, v82, v83
	s_delay_alu instid0(VALU_DEP_3) | instskip(NEXT) | instid1(VALU_DEP_3)
	v_cndmask_b32_e64 v84, 0xff7fffff, v107, s16
	v_cndmask_b32_e64 v85, 0xff7fffff, v106, s17
	v_lshlrev_b32_e32 v83, 2, v97
	s_delay_alu instid0(VALU_DEP_2) | instskip(SKIP_3) | instid1(VALU_DEP_1)
	v_max3_f32 v81, v81, v84, v85
	ds_bpermute_b32 v82, v83, v81
	s_waitcnt lgkmcnt(0)
	v_max_f32_e32 v82, v82, v82
	v_max_f32_e32 v81, v81, v82
	s_delay_alu instid0(VALU_DEP_1)
	v_fma_f32 v82, s18, v137, -v81
	v_fma_f32 v84, s18, v138, -v81
	;; [unrolled: 1-line block ×5, first 2 shown]
	v_mul_f32_e32 v82, 0x3fb8aa3b, v82
	s_delay_alu instid0(VALU_DEP_4) | instskip(NEXT) | instid1(VALU_DEP_3)
	v_dual_mul_f32 v84, 0x3fb8aa3b, v84 :: v_dual_mul_f32 v85, 0x3fb8aa3b, v85
	v_dual_mul_f32 v86, 0x3fb8aa3b, v86 :: v_dual_mul_f32 v89, 0x3fb8aa3b, v87
	s_delay_alu instid0(VALU_DEP_3) | instskip(NEXT) | instid1(VALU_DEP_2)
	v_exp_f32_e32 v82, v82
	v_exp_f32_e32 v84, v84
	s_delay_alu instid0(VALU_DEP_2) | instskip(NEXT) | instid1(VALU_DEP_1)
	v_exp_f32_e32 v85, v85
	v_exp_f32_e32 v86, v86
	;; [unrolled: 1-line block ×3, first 2 shown]
	v_cndmask_b32_e32 v88, 0, v82, vcc_lo
	v_cndmask_b32_e64 v87, 0, v84, s2
	s_delay_alu instid0(TRANS32_DEP_3)
	v_cndmask_b32_e64 v90, 0, v85, s3
	s_waitcnt_depctr 0xfff
	v_cndmask_b32_e64 v89, 0, v86, s4
	v_cndmask_b32_e64 v92, 0, v92, s5
	v_add_f32_e32 v84, 0, v88
	v_cmp_gt_u32_e64 s2, 16, v80
	s_delay_alu instid0(VALU_DEP_2) | instskip(NEXT) | instid1(VALU_DEP_1)
	v_add_f32_e32 v84, v84, v87
	v_add_f32_e32 v84, v84, v90
	s_delay_alu instid0(VALU_DEP_1)
	v_add_f32_e32 v84, v84, v89
	v_fma_f32 v82, s18, v142, -v81
	v_fma_f32 v91, s18, v143, -v81
	;; [unrolled: 1-line block ×5, first 2 shown]
	s_delay_alu instid0(VALU_DEP_4) | instskip(SKIP_1) | instid1(VALU_DEP_4)
	v_dual_mul_f32 v82, 0x3fb8aa3b, v82 :: v_dual_mul_f32 v91, 0x3fb8aa3b, v91
	v_fma_f32 v96, s18, v124, -v81
	v_mul_f32_e32 v86, 0x3fb8aa3b, v86
	s_delay_alu instid0(VALU_DEP_4) | instskip(NEXT) | instid1(VALU_DEP_4)
	v_mul_f32_e32 v95, 0x3fb8aa3b, v94
	v_exp_f32_e32 v82, v82
	v_exp_f32_e32 v93, v91
	v_mul_f32_e32 v97, 0x3fb8aa3b, v96
	v_exp_f32_e32 v86, v86
	v_fma_f32 v99, s18, v127, -v81
	s_delay_alu instid0(VALU_DEP_2) | instskip(SKIP_2) | instid1(TRANS32_DEP_3)
	v_exp_f32_e32 v97, v97
	v_cndmask_b32_e64 v91, 0, v82, s6
	v_dual_add_f32 v82, v84, v92 :: v_dual_mul_f32 v85, 0x3fb8aa3b, v85
	v_cndmask_b32_e64 v94, 0, v93, s7
	v_fma_f32 v84, s18, v123, -v81
	s_delay_alu instid0(TRANS32_DEP_2) | instskip(NEXT) | instid1(VALU_DEP_4)
	v_cndmask_b32_e64 v96, 0, v86, s9
	v_add_f32_e32 v82, v82, v91
	v_exp_f32_e32 v85, v85
	v_fma_f32 v86, s18, v126, -v81
	v_mul_f32_e32 v84, 0x3fb8aa3b, v84
	v_cndmask_b32_e64 v97, 0, v97, s12
	v_add_f32_e32 v82, v82, v94
	s_delay_alu instid0(VALU_DEP_3) | instskip(SKIP_3) | instid1(VALU_DEP_2)
	v_exp_f32_e32 v84, v84
	s_waitcnt_depctr 0xfff
	v_cndmask_b32_e64 v93, 0, v85, s8
	v_fma_f32 v85, s18, v125, -v81
	v_add_f32_e32 v82, v82, v93
	v_exp_f32_e32 v95, v95
	s_delay_alu instid0(VALU_DEP_2)
	v_mul_f32_e32 v85, 0x3fb8aa3b, v85
	v_cndmask_b32_e64 v98, 0, v84, s11
	v_mul_f32_e32 v84, 0x3fb8aa3b, v99
	v_add_f32_e32 v82, v82, v96
	v_fma_f32 v99, s18, v128, -v81
	v_exp_f32_e32 v85, v85
	v_mul_f32_e32 v86, 0x3fb8aa3b, v86
	v_exp_f32_e32 v84, v84
	s_delay_alu instid0(TRANS32_DEP_3) | instskip(NEXT) | instid1(VALU_DEP_1)
	v_cndmask_b32_e64 v95, 0, v95, s10
	v_add_f32_e32 v82, v82, v95
	s_waitcnt_depctr 0xfff
	v_cndmask_b32_e64 v100, 0, v85, s13
	v_mul_f32_e32 v85, 0x3fb8aa3b, v99
	v_exp_f32_e32 v86, v86
	v_cndmask_b32_e64 v102, 0, v84, s16
	v_add_f32_e32 v82, v82, v98
	s_delay_alu instid0(VALU_DEP_3) | instskip(NEXT) | instid1(VALU_DEP_1)
	v_exp_f32_e32 v85, v85
	v_add_f32_e32 v82, v82, v97
	s_waitcnt_depctr 0xfff
	v_cndmask_b32_e64 v99, 0, v86, s15
	v_add_f32_e32 v82, v82, v100
	v_cndmask_b32_e64 v101, 0, v85, s17
	s_delay_alu instid0(VALU_DEP_2) | instskip(NEXT) | instid1(VALU_DEP_1)
	v_add_f32_e32 v82, v82, v99
	v_add_f32_e32 v82, v82, v102
	s_delay_alu instid0(VALU_DEP_1)
	v_add_f32_e32 v82, v82, v101
	ds_bpermute_b32 v83, v83, v82
	s_and_saveexec_b32 s3, s2
	s_cbranch_execz .LBB338_14
; %bb.13:
	v_mul_u32_u24_e32 v80, 0x44, v78
	s_waitcnt lgkmcnt(0)
	v_add_f32_e32 v82, v82, v83
	s_delay_alu instid0(VALU_DEP_2) | instskip(NEXT) | instid1(VALU_DEP_1)
	v_lshl_add_u32 v80, v77, 2, v80
	v_add_nc_u32_e32 v80, 0x4000, v80
	ds_store_2addr_b32 v80, v81, v82 offset1:136
.LBB338_14:
	s_or_b32 exec_lo, exec_lo, s3
	v_lshlrev_b32_e32 v80, 2, v77
	s_load_b32 s35, s[0:1], 0x94
	s_waitcnt lgkmcnt(0)
	s_barrier
	buffer_gl0_inv
	v_add_nc_u32_e32 v84, 0x4000, v80
	v_cmp_eq_u32_e32 vcc_lo, 1, v78
	v_cmp_eq_u32_e64 s3, 2, v78
	v_cmp_eq_u32_e64 s4, 3, v78
	;; [unrolled: 1-line block ×3, first 2 shown]
	ds_load_2addr_b32 v[80:81], v84 offset1:17
	ds_load_2addr_b32 v[82:83], v84 offset0:34 offset1:51
	ds_load_2addr_b32 v[103:104], v84 offset0:68 offset1:85
	;; [unrolled: 1-line block ×3, first 2 shown]
	v_cmp_eq_u32_e64 s6, 7, v78
	s_waitcnt lgkmcnt(3)
	v_max3_f32 v85, v80, 0xff7fffff, v81
	s_waitcnt lgkmcnt(2)
	s_delay_alu instid0(VALU_DEP_1) | instskip(SKIP_1) | instid1(VALU_DEP_1)
	v_max3_f32 v85, v85, v82, v83
	s_waitcnt lgkmcnt(1)
	v_max3_f32 v85, v85, v103, v104
	s_waitcnt lgkmcnt(0)
	s_delay_alu instid0(VALU_DEP_1) | instskip(NEXT) | instid1(VALU_DEP_1)
	v_max3_f32 v85, v85, v105, v106
	v_sub_f32_e32 v103, v103, v85
	ds_load_2addr_b32 v[107:108], v84 offset0:136 offset1:153
	v_sub_f32_e32 v80, v80, v85
	v_dual_sub_f32 v110, v83, v85 :: v_dual_mul_f32 v113, 0x3fb8aa3b, v103
	s_delay_alu instid0(VALU_DEP_2) | instskip(SKIP_3) | instid1(VALU_DEP_1)
	v_dual_sub_f32 v86, v81, v85 :: v_dual_mul_f32 v109, 0x3fb8aa3b, v80
	ds_load_2addr_b32 v[80:81], v84 offset0:170 offset1:187
	v_mul_f32_e32 v86, 0x3fb8aa3b, v86
	v_exp_f32_e32 v109, v109
	v_exp_f32_e32 v112, v86
	v_mul_f32_e32 v110, 0x3fb8aa3b, v110
	s_waitcnt lgkmcnt(1)
	s_waitcnt_depctr 0xfff
	v_fma_f32 v86, v109, v107, 0
	v_sub_f32_e32 v107, v104, v85
	v_sub_f32_e32 v82, v82, v85
	v_exp_f32_e32 v110, v110
	ds_load_2addr_b32 v[103:104], v84 offset0:238 offset1:255
	v_dual_fmac_f32 v86, v112, v108 :: v_dual_mul_f32 v111, 0x3fb8aa3b, v82
	ds_load_2addr_b32 v[82:83], v84 offset0:204 offset1:221
	v_dual_sub_f32 v84, v105, v85 :: v_dual_mul_f32 v105, 0x3fb8aa3b, v107
	v_exp_f32_e32 v107, v113
	v_exp_f32_e32 v111, v111
	s_waitcnt lgkmcnt(0)
	s_delay_alu instid0(VALU_DEP_1)
	v_mul_f32_e32 v84, 0x3fb8aa3b, v84
	v_exp_f32_e32 v105, v105
	s_barrier
	buffer_gl0_inv
	v_fmac_f32_e32 v86, v111, v80
	v_sub_f32_e32 v80, v106, v85
	v_exp_f32_e32 v106, v84
	s_delay_alu instid0(VALU_DEP_2) | instskip(NEXT) | instid1(VALU_DEP_2)
	v_fmac_f32_e32 v86, v110, v81
	v_mul_f32_e32 v80, 0x3fb8aa3b, v80
	s_delay_alu instid0(VALU_DEP_2) | instskip(NEXT) | instid1(VALU_DEP_2)
	v_dual_cndmask_b32 v81, v109, v112 :: v_dual_fmac_f32 v86, v107, v82
	v_exp_f32_e32 v108, v80
	s_delay_alu instid0(VALU_DEP_1) | instskip(SKIP_2) | instid1(VALU_DEP_1)
	v_fmac_f32_e32 v86, v105, v83
	s_waitcnt_depctr 0xfff
	v_fmac_f32_e32 v86, v106, v103
	v_fmac_f32_e32 v86, v108, v104
	s_delay_alu instid0(VALU_DEP_1) | instskip(NEXT) | instid1(VALU_DEP_1)
	v_add_f32_e32 v103, 0x358637bd, v86
	v_div_scale_f32 v104, null, v103, v103, 1.0
	v_div_scale_f32 v109, vcc_lo, 1.0, v103, 1.0
	s_delay_alu instid0(VALU_DEP_2) | instskip(SKIP_2) | instid1(VALU_DEP_1)
	v_rcp_f32_e32 v113, v104
	s_waitcnt_depctr 0xfff
	v_fma_f32 v80, -v104, v113, 1.0
	v_fmac_f32_e32 v113, v80, v113
	v_cndmask_b32_e64 v80, v81, v111, s3
	v_cmp_eq_u32_e64 s3, 4, v78
	v_lshl_or_b32 v81, v78, 11, v79
	s_delay_alu instid0(VALU_DEP_4) | instskip(NEXT) | instid1(VALU_DEP_4)
	v_mul_f32_e32 v111, v109, v113
	v_cndmask_b32_e64 v82, v80, v110, s4
	v_cmp_eq_u32_e64 s4, 6, v78
	s_delay_alu instid0(VALU_DEP_4) | instskip(SKIP_3) | instid1(VALU_DEP_3)
	v_lshl_or_b32 v78, v75, 4, v81
	v_lshlrev_b32_e32 v80, 2, v75
	v_fma_f32 v83, -v104, v111, v109
	v_cndmask_b32_e64 v84, v82, v107, s3
	v_or_b32_e32 v82, 1, v80
	s_delay_alu instid0(VALU_DEP_3) | instskip(NEXT) | instid1(VALU_DEP_3)
	v_fmac_f32_e32 v111, v83, v113
	v_cndmask_b32_e64 v105, v84, v105, s5
	v_or_b32_e32 v84, 2, v80
	v_or_b32_e32 v83, 3, v80
	v_cmp_eq_u32_e64 s3, 1, v80
	v_fma_f32 v104, -v104, v111, v109
	v_cndmask_b32_e64 v105, v105, v106, s4
	v_cmp_eq_u32_e64 s9, 1, v82
	v_cmp_eq_u32_e64 s10, 1, v84
	v_cmp_eq_u32_e64 s11, 1, v83
	v_div_fmas_f32 v104, v104, v113, v111
	v_cndmask_b32_e64 v105, v105, v108, s6
	v_cmp_eq_u32_e32 vcc_lo, 2, v80
	v_cmp_eq_u32_e64 s12, 2, v82
	v_cmp_eq_u32_e64 s15, 2, v84
	v_div_fixup_f32 v103, v104, v103, 1.0
	v_cmp_eq_u32_e64 s16, 2, v83
	v_cmp_eq_u32_e64 s18, 3, v83
	;; [unrolled: 1-line block ×4, first 2 shown]
	v_mul_f32_e32 v111, v105, v103
	v_cmp_eq_u32_e64 s17, 3, v84
	v_cmp_eq_u32_e64 s22, 4, v83
	;; [unrolled: 1-line block ×4, first 2 shown]
	v_fma_mixlo_f16 v103, v111, v88, 0
	v_fma_mixlo_f16 v104, v111, v90, 0
	;; [unrolled: 1-line block ×8, first 2 shown]
	v_fma_mixhi_f16 v103, v111, v87, 0
	v_fma_mixhi_f16 v104, v111, v89, 0
	;; [unrolled: 1-line block ×8, first 2 shown]
	ds_store_b128 v78, v[103:106]
	ds_store_b128 v78, v[107:110] offset:1024
	s_waitcnt lgkmcnt(0)
	s_barrier
	buffer_gl0_inv
	ds_load_b128 v[87:90], v81
	ds_load_b128 v[91:94], v81 offset:16
	ds_load_b128 v[95:98], v81 offset:1024
	;; [unrolled: 1-line block ×3, first 2 shown]
	v_cmp_eq_u32_e64 s21, 4, v84
	v_cmp_eq_u32_e64 s24, 5, v83
	;; [unrolled: 1-line block ×13, first 2 shown]
	s_waitcnt lgkmcnt(3)
	v_lshrrev_b32_e32 v103, 16, v87
	s_waitcnt lgkmcnt(2)
	v_lshrrev_b32_e32 v107, 16, v91
	;; [unrolled: 2-line block ×4, first 2 shown]
	v_lshrrev_b32_e32 v104, 16, v88
	v_cndmask_b32_e64 v119, v87, v103, s3
	v_cndmask_b32_e64 v120, v91, v107, s3
	;; [unrolled: 1-line block ×8, first 2 shown]
	v_lshrrev_b32_e32 v108, 16, v92
	v_cndmask_b32_e64 v103, v95, v111, s3
	v_cndmask_b32_e64 v107, v99, v115, s3
	;; [unrolled: 1-line block ×5, first 2 shown]
	v_cndmask_b32_e32 v111, v119, v88, vcc_lo
	v_cndmask_b32_e64 v119, v121, v88, s12
	v_cndmask_b32_e64 v121, v123, v88, s15
	;; [unrolled: 1-line block ×4, first 2 shown]
	v_lshrrev_b32_e32 v112, 16, v96
	v_lshrrev_b32_e32 v116, 16, v100
	v_cndmask_b32_e64 v126, v99, v115, s9
	v_cndmask_b32_e64 v128, v99, v115, s10
	;; [unrolled: 1-line block ×3, first 2 shown]
	v_cndmask_b32_e32 v115, v120, v92, vcc_lo
	v_cndmask_b32_e64 v120, v122, v92, s12
	v_cndmask_b32_e64 v122, v124, v92, s15
	v_cndmask_b32_e32 v91, v103, v96, vcc_lo
	v_cndmask_b32_e32 v92, v107, v100, vcc_lo
	v_cndmask_b32_e64 v103, v125, v96, s12
	v_cndmask_b32_e64 v87, v87, v104, s18
	;; [unrolled: 1-line block ×3, first 2 shown]
	v_lshrrev_b32_e32 v105, 16, v89
	v_lshrrev_b32_e32 v109, 16, v93
	v_cndmask_b32_e64 v107, v127, v96, s15
	v_cndmask_b32_e64 v95, v95, v96, s16
	;; [unrolled: 1-line block ×14, first 2 shown]
	v_lshrrev_b32_e32 v113, 16, v97
	v_cndmask_b32_e64 v99, v99, v89, s5
	v_cndmask_b32_e64 v104, v111, v93, s5
	;; [unrolled: 1-line block ×11, first 2 shown]
	v_lshrrev_b32_e32 v106, 16, v90
	v_lshrrev_b32_e32 v110, 16, v94
	v_cndmask_b32_e64 v93, v99, v105, s6
	v_cndmask_b32_e64 v99, v104, v109, s6
	;; [unrolled: 1-line block ×9, first 2 shown]
	v_lshrrev_b32_e32 v114, 16, v98
	v_cndmask_b32_e64 v89, v89, v113, s6
	v_cndmask_b32_e64 v93, v93, v90, s7
	;; [unrolled: 1-line block ×19, first 2 shown]
	v_perm_b32 v90, v88, v87, 0x5040100
	v_cndmask_b32_e64 v87, v126, v100, s12
	v_cndmask_b32_e64 v105, v89, v114, s8
	v_perm_b32 v89, v103, v99, 0x5040100
	v_perm_b32 v88, v104, v94, 0x5040100
	v_cndmask_b32_e64 v94, v107, v112, s17
	v_cndmask_b32_e64 v95, v95, v112, s18
	;; [unrolled: 1-line block ×5, first 2 shown]
	v_lshrrev_b32_e32 v117, 16, v101
	v_cndmask_b32_e64 v94, v94, v97, s21
	v_cndmask_b32_e64 v95, v95, v97, s22
	;; [unrolled: 1-line block ×11, first 2 shown]
	v_lshrrev_b32_e32 v118, 16, v102
	v_cndmask_b32_e64 v91, v91, v102, s7
	v_cndmask_b32_e64 v94, v94, v98, s26
	;; [unrolled: 1-line block ×12, first 2 shown]
	v_perm_b32 v87, v93, v92, 0x5040100
	v_perm_b32 v94, v95, v94, 0x5040100
	;; [unrolled: 1-line block ×5, first 2 shown]
	s_mul_i32 s7, s33, 13
	s_mov_b32 s3, exec_lo
	ds_store_b128 v78, v[87:90]
	ds_store_b128 v78, v[91:94] offset:1024
	v_cmpx_gt_u32_e32 13, v0
	s_cbranch_execz .LBB338_16
; %bb.15:
	s_mul_i32 s4, s7, s34
	s_load_b128 s[8:11], s[0:1], 0x58
	v_add3_u32 v77, s4, s31, v77
	s_delay_alu instid0(VALU_DEP_1) | instskip(NEXT) | instid1(VALU_DEP_1)
	v_mad_u64_u32 v[87:88], null, v77, s35, s[14:15]
	v_ashrrev_i32_e32 v88, 31, v87
	s_delay_alu instid0(VALU_DEP_1) | instskip(SKIP_1) | instid1(VALU_DEP_1)
	v_lshlrev_b64 v[87:88], 2, v[87:88]
	s_waitcnt lgkmcnt(0)
	v_add_co_u32 v89, vcc_lo, s10, v87
	s_delay_alu instid0(VALU_DEP_2)
	v_add_co_ci_u32_e32 v90, vcc_lo, s11, v88, vcc_lo
	v_add_co_u32 v87, vcc_lo, s8, v87
	v_add_co_ci_u32_e32 v88, vcc_lo, s9, v88, vcc_lo
	global_store_b32 v[89:90], v85, off
	global_store_b32 v[87:88], v86, off
.LBB338_16:
	s_or_b32 exec_lo, exec_lo, s3
	s_waitcnt lgkmcnt(0)
	s_waitcnt_vscnt null, 0x0
	s_barrier
	buffer_gl0_inv
	ds_load_b128 v[93:96], v79
	ds_load_b128 v[97:100], v79 offset:16
	ds_load_b128 v[105:108], v79 offset:1040
	;; [unrolled: 1-line block ×5, first 2 shown]
	v_cmp_eq_u32_e32 vcc_lo, 1, v84
	v_mov_b32_e32 v85, 0
	ds_load_b128 v[121:124], v79 offset:3088
	ds_load_b128 v[117:120], v79 offset:3072
	;; [unrolled: 1-line block ×4, first 2 shown]
	v_cmp_eq_u32_e64 s3, 1, v80
	v_cmp_eq_u32_e64 s4, 1, v83
	;; [unrolled: 1-line block ×3, first 2 shown]
	v_mov_b32_e32 v86, v85
	v_mov_b32_e32 v87, v85
	v_mov_b32_e32 v88, v85
	v_mov_b32_e32 v89, v85
	v_mov_b32_e32 v90, v85
	v_mov_b32_e32 v91, v85
	v_mov_b32_e32 v92, v85
	v_cmp_eq_u32_e64 s6, 2, v80
	s_waitcnt lgkmcnt(8)
	s_delay_alu instid0(VALU_DEP_2)
	v_wmma_f32_16x16x16_f16 v[85:92], v[65:72], v[93:100], v[85:92]
	ds_load_b128 v[69:72], v79 offset:5136
	ds_load_b128 v[65:68], v79 offset:5120
	;; [unrolled: 1-line block ×4, first 2 shown]
	s_waitcnt lgkmcnt(10)
	v_wmma_f32_16x16x16_f16 v[85:92], v[57:64], v[101:108], v[85:92]
	s_waitcnt lgkmcnt(8)
	s_delay_alu instid0(VALU_DEP_1)
	v_wmma_f32_16x16x16_f16 v[85:92], v[57:64], v[109:116], v[85:92]
	ds_load_b128 v[61:64], v79 offset:7184
	ds_load_b128 v[57:60], v79 offset:7168
	;; [unrolled: 1-line block ×4, first 2 shown]
	s_waitcnt lgkmcnt(10)
	v_wmma_f32_16x16x16_f16 v[85:92], v[49:56], v[117:124], v[85:92]
	s_waitcnt lgkmcnt(8)
	s_delay_alu instid0(VALU_DEP_1)
	v_wmma_f32_16x16x16_f16 v[85:92], v[49:56], v[125:132], v[85:92]
	ds_load_b128 v[53:56], v79 offset:9232
	ds_load_b128 v[49:52], v79 offset:9216
	s_waitcnt lgkmcnt(8)
	v_wmma_f32_16x16x16_f16 v[85:92], v[41:48], v[65:72], v[85:92]
	ds_load_b128 v[69:72], v79 offset:10256
	ds_load_b128 v[65:68], v79 offset:10240
	s_waitcnt lgkmcnt(8)
	v_wmma_f32_16x16x16_f16 v[85:92], v[41:48], v[93:100], v[85:92]
	ds_load_b128 v[45:48], v79 offset:11280
	ds_load_b128 v[41:44], v79 offset:11264
	s_waitcnt lgkmcnt(8)
	v_wmma_f32_16x16x16_f16 v[85:92], v[9:16], v[57:64], v[85:92]
	ds_load_b128 v[61:64], v79 offset:12304
	ds_load_b128 v[57:60], v79 offset:12288
	s_waitcnt lgkmcnt(8)
	v_wmma_f32_16x16x16_f16 v[85:92], v[9:16], v[101:108], v[85:92]
	ds_load_b128 v[13:16], v79 offset:13328
	ds_load_b128 v[9:12], v79 offset:13312
	s_waitcnt lgkmcnt(8)
	v_wmma_f32_16x16x16_f16 v[85:92], v[1:8], v[49:56], v[85:92]
	ds_load_b128 v[53:56], v79 offset:14352
	ds_load_b128 v[49:52], v79 offset:14336
	s_waitcnt lgkmcnt(8)
	v_wmma_f32_16x16x16_f16 v[85:92], v[1:8], v[65:72], v[85:92]
	ds_load_b128 v[5:8], v79 offset:15376
	ds_load_b128 v[1:4], v79 offset:15360
	s_waitcnt lgkmcnt(0)
	s_barrier
	buffer_gl0_inv
	v_wmma_f32_16x16x16_f16 v[85:92], v[33:40], v[41:48], v[85:92]
	s_delay_alu instid0(VALU_DEP_1) | instskip(NEXT) | instid1(VALU_DEP_1)
	v_wmma_f32_16x16x16_f16 v[85:92], v[33:40], v[57:64], v[85:92]
	v_wmma_f32_16x16x16_f16 v[85:92], v[25:32], v[9:16], v[85:92]
	s_delay_alu instid0(VALU_DEP_1) | instskip(NEXT) | instid1(VALU_DEP_1)
	v_wmma_f32_16x16x16_f16 v[85:92], v[25:32], v[49:56], v[85:92]
	v_wmma_f32_16x16x16_f16 v[85:92], v[17:24], v[1:8], v[85:92]
	s_delay_alu instid0(VALU_DEP_1) | instskip(NEXT) | instid1(VALU_DEP_2)
	v_cvt_f16_f32_e32 v1, v85
	v_cvt_f16_f32_e32 v2, v86
	s_delay_alu instid0(VALU_DEP_3) | instskip(NEXT) | instid1(VALU_DEP_4)
	v_cvt_f16_f32_e32 v3, v87
	v_cvt_f16_f32_e32 v4, v88
	v_cvt_f16_f32_e32 v5, v89
	v_cvt_f16_f32_e32 v6, v90
	v_cvt_f16_f32_e32 v7, v91
	v_cvt_f16_f32_e32 v8, v92
	v_pack_b32_f16 v1, v1, v2
	v_pack_b32_f16 v2, v3, v4
	;; [unrolled: 1-line block ×3, first 2 shown]
	s_delay_alu instid0(VALU_DEP_4)
	v_pack_b32_f16 v4, v7, v8
	ds_store_b128 v78, v[1:4]
	s_waitcnt lgkmcnt(0)
	s_barrier
	buffer_gl0_inv
	ds_load_b128 v[1:4], v81
	ds_load_b128 v[5:8], v81 offset:16
	s_waitcnt lgkmcnt(1)
	v_lshrrev_b32_e32 v9, 16, v1
	s_waitcnt lgkmcnt(0)
	v_lshrrev_b32_e32 v13, 16, v5
	v_lshrrev_b32_e32 v15, 16, v7
	;; [unrolled: 1-line block ×4, first 2 shown]
	v_cndmask_b32_e64 v17, v1, v9, s3
	v_cndmask_b32_e64 v18, v5, v13, s3
	;; [unrolled: 1-line block ×3, first 2 shown]
	v_cmp_eq_u32_e64 s3, 2, v82
	v_cndmask_b32_e64 v20, v5, v13, s5
	v_cndmask_b32_e32 v21, v1, v9, vcc_lo
	v_cndmask_b32_e32 v22, v5, v13, vcc_lo
	v_cndmask_b32_e64 v1, v1, v9, s4
	v_cndmask_b32_e64 v5, v5, v13, s4
	v_cmp_eq_u32_e32 vcc_lo, 2, v84
	v_cmp_eq_u32_e64 s4, 2, v83
	v_cndmask_b32_e64 v9, v17, v2, s6
	v_cndmask_b32_e64 v13, v18, v6, s6
	v_cndmask_b32_e64 v17, v19, v2, s3
	v_cndmask_b32_e64 v18, v20, v6, s3
	v_cndmask_b32_e32 v19, v21, v2, vcc_lo
	v_cmp_eq_u32_e64 s3, 3, v84
	v_cndmask_b32_e32 v20, v22, v6, vcc_lo
	v_cndmask_b32_e64 v1, v1, v2, s4
	v_cmp_eq_u32_e32 vcc_lo, 3, v83
	v_cmp_eq_u32_e64 s5, 3, v80
	v_cndmask_b32_e64 v2, v5, v6, s4
	v_cmp_eq_u32_e64 s4, 3, v82
	v_lshrrev_b32_e32 v16, 16, v8
	v_cmp_eq_u32_e64 s6, 4, v80
	v_cndmask_b32_e64 v5, v9, v10, s5
	v_cndmask_b32_e64 v6, v13, v14, s5
	;; [unrolled: 1-line block ×3, first 2 shown]
	v_cmp_eq_u32_e64 s5, 4, v82
	v_cndmask_b32_e64 v13, v18, v14, s4
	v_cndmask_b32_e64 v17, v19, v10, s3
	;; [unrolled: 1-line block ×3, first 2 shown]
	v_cndmask_b32_e32 v1, v1, v10, vcc_lo
	v_cndmask_b32_e32 v2, v2, v14, vcc_lo
	v_cmp_eq_u32_e32 vcc_lo, 4, v84
	v_cmp_eq_u32_e64 s4, 4, v83
	v_lshrrev_b32_e32 v11, 16, v3
	v_cndmask_b32_e64 v5, v5, v3, s6
	v_cndmask_b32_e64 v6, v6, v7, s6
	;; [unrolled: 1-line block ×4, first 2 shown]
	v_cndmask_b32_e32 v13, v17, v3, vcc_lo
	v_cmp_eq_u32_e64 s3, 5, v84
	v_cndmask_b32_e32 v14, v18, v7, vcc_lo
	v_cndmask_b32_e64 v1, v1, v3, s4
	v_cmp_eq_u32_e32 vcc_lo, 5, v83
	v_cmp_eq_u32_e64 s5, 5, v80
	v_cndmask_b32_e64 v2, v2, v7, s4
	v_cmp_eq_u32_e64 s4, 5, v82
	v_cmp_eq_u32_e64 s6, 6, v80
	v_cndmask_b32_e32 v1, v1, v11, vcc_lo
	v_cndmask_b32_e64 v3, v5, v11, s5
	v_cndmask_b32_e64 v5, v6, v15, s5
	;; [unrolled: 1-line block ×3, first 2 shown]
	v_cmp_eq_u32_e64 s5, 6, v82
	v_cndmask_b32_e64 v7, v10, v15, s4
	v_cndmask_b32_e64 v9, v13, v11, s3
	;; [unrolled: 1-line block ×3, first 2 shown]
	v_cndmask_b32_e32 v2, v2, v15, vcc_lo
	v_cmp_eq_u32_e32 vcc_lo, 6, v84
	v_cmp_eq_u32_e64 s3, 6, v83
	v_lshrrev_b32_e32 v12, 16, v4
	v_cndmask_b32_e64 v3, v3, v4, s6
	v_cndmask_b32_e64 v5, v5, v8, s6
	;; [unrolled: 1-line block ×4, first 2 shown]
	v_cndmask_b32_e32 v9, v9, v4, vcc_lo
	v_cmp_eq_u32_e64 s4, 7, v84
	v_cndmask_b32_e32 v10, v10, v8, vcc_lo
	v_cndmask_b32_e64 v1, v1, v4, s3
	v_cmp_eq_u32_e32 vcc_lo, 7, v83
	v_cndmask_b32_e64 v2, v2, v8, s3
	v_cmp_eq_u32_e64 s3, 7, v80
	v_cmp_eq_u32_e64 s5, 7, v82
	v_cndmask_b32_e32 v1, v1, v12, vcc_lo
	s_delay_alu instid0(VALU_DEP_4) | instskip(NEXT) | instid1(VALU_DEP_4)
	v_cndmask_b32_e32 v2, v2, v16, vcc_lo
	v_cndmask_b32_e64 v8, v3, v12, s3
	s_delay_alu instid0(VALU_DEP_4)
	v_cndmask_b32_e64 v6, v6, v12, s5
	v_cndmask_b32_e64 v3, v9, v12, s4
	;; [unrolled: 1-line block ×5, first 2 shown]
	v_perm_b32 v4, v2, v1, 0x5040100
	s_mov_b32 s3, exec_lo
	v_perm_b32 v3, v9, v3, 0x5040100
	v_perm_b32 v2, v7, v6, 0x5040100
	;; [unrolled: 1-line block ×3, first 2 shown]
	ds_store_b128 v78, v[1:4]
	s_waitcnt lgkmcnt(0)
	s_barrier
	buffer_gl0_inv
	v_cmpx_gt_u32_e32 32, v0
	s_cbranch_execz .LBB338_2
; %bb.17:
	s_load_b64 s[4:5], s[0:1], 0x68
	v_lshlrev_b32_e32 v0, 10, v0
	v_lshlrev_b32_e32 v1, 4, v76
	s_lshl_b32 s0, s35, 7
	v_add_nc_u32_e32 v18, s31, v75
	s_mul_i32 s1, s0, s34
	s_delay_alu instid0(VALU_DEP_2) | instskip(SKIP_1) | instid1(VALU_DEP_2)
	v_and_or_b32 v0, 0x3800, v0, v1
	s_mul_i32 s6, s1, s7
	v_mul_lo_u32 v1, v18, s0
	s_ashr_i32 s7, s6, 31
	v_add_nc_u32_e32 v2, 2, v18
	v_lshl_or_b32 v19, v75, 6, v0
	s_lshl_b64 s[6:7], s[6:7], 1
	v_add_nc_u32_e32 v8, 4, v18
	v_add_nc_u32_e32 v15, 6, v18
	v_mul_lo_u32 v7, v2, s0
	ds_load_b128 v[3:6], v19
	v_ashrrev_i32_e32 v2, 31, v1
	v_mul_lo_u32 v11, v8, s0
	s_waitcnt lgkmcnt(0)
	s_add_u32 s1, s4, s6
	s_addc_u32 s3, s5, s7
	s_lshl_b32 s4, s14, 7
	v_lshlrev_b64 v[9:10], 1, v[1:2]
	s_ashr_i32 s5, s4, 31
	v_ashrrev_i32_e32 v8, 31, v7
	s_lshl_b64 s[4:5], s[4:5], 1
	v_ashrrev_i32_e32 v12, 31, v11
	s_add_u32 s1, s1, s4
	s_addc_u32 s3, s3, s5
	v_add_co_u32 v1, vcc_lo, s1, v73
	v_add_co_ci_u32_e32 v2, vcc_lo, s3, v74, vcc_lo
	v_mul_lo_u32 v15, v15, s0
	s_delay_alu instid0(VALU_DEP_3) | instskip(NEXT) | instid1(VALU_DEP_3)
	v_add_co_u32 v13, vcc_lo, v1, v9
	v_add_co_ci_u32_e32 v14, vcc_lo, v2, v10, vcc_lo
	v_lshlrev_b64 v[16:17], 1, v[7:8]
	ds_load_b128 v[7:10], v19 offset:128
	global_store_b128 v[13:14], v[3:6], off
	v_add_nc_u32_e32 v5, 8, v18
	v_lshlrev_b64 v[3:4], 1, v[11:12]
	v_add_co_u32 v23, vcc_lo, v1, v16
	v_ashrrev_i32_e32 v16, 31, v15
	s_delay_alu instid0(VALU_DEP_4) | instskip(SKIP_3) | instid1(VALU_DEP_3)
	v_mul_lo_u32 v25, v5, s0
	v_add_nc_u32_e32 v5, 10, v18
	v_add_co_ci_u32_e32 v24, vcc_lo, v2, v17, vcc_lo
	v_add_co_u32 v27, vcc_lo, v1, v3
	v_mul_lo_u32 v29, v5, s0
	v_add_co_ci_u32_e32 v28, vcc_lo, v2, v4, vcc_lo
	v_lshlrev_b64 v[31:32], 1, v[15:16]
	ds_load_b128 v[3:6], v19 offset:256
	ds_load_b128 v[11:14], v19 offset:384
	;; [unrolled: 1-line block ×4, first 2 shown]
	v_ashrrev_i32_e32 v26, 31, v25
	v_ashrrev_i32_e32 v30, 31, v29
	v_add_co_u32 v31, vcc_lo, v1, v31
	s_delay_alu instid0(VALU_DEP_3) | instskip(SKIP_1) | instid1(VALU_DEP_4)
	v_lshlrev_b64 v[25:26], 1, v[25:26]
	v_add_co_ci_u32_e32 v32, vcc_lo, v2, v32, vcc_lo
	v_lshlrev_b64 v[29:30], 1, v[29:30]
	s_delay_alu instid0(VALU_DEP_3) | instskip(NEXT) | instid1(VALU_DEP_4)
	v_add_co_u32 v25, vcc_lo, v1, v25
	v_add_co_ci_u32_e32 v26, vcc_lo, v2, v26, vcc_lo
	s_delay_alu instid0(VALU_DEP_3) | instskip(NEXT) | instid1(VALU_DEP_4)
	v_add_co_u32 v29, vcc_lo, v1, v29
	v_add_co_ci_u32_e32 v30, vcc_lo, v2, v30, vcc_lo
	s_waitcnt lgkmcnt(4)
	global_store_b128 v[23:24], v[7:10], off
	s_waitcnt lgkmcnt(3)
	global_store_b128 v[27:28], v[3:6], off
	;; [unrolled: 2-line block ×5, first 2 shown]
	s_and_b32 exec_lo, exec_lo, s2
	s_cbranch_execz .LBB338_2
; %bb.18:
	ds_load_b128 v[3:6], v0 offset:768
	s_add_i32 s1, s31, 12
	s_delay_alu instid0(SALU_CYCLE_1) | instskip(NEXT) | instid1(SALU_CYCLE_1)
	s_mul_i32 s0, s1, s0
	s_ashr_i32 s1, s0, 31
	s_delay_alu instid0(SALU_CYCLE_1) | instskip(NEXT) | instid1(SALU_CYCLE_1)
	s_lshl_b64 s[0:1], s[0:1], 1
	v_add_co_u32 v0, vcc_lo, v1, s0
	v_add_co_ci_u32_e32 v1, vcc_lo, s1, v2, vcc_lo
	s_waitcnt lgkmcnt(0)
	global_store_b128 v[0:1], v[3:6], off
	s_nop 0
	s_sendmsg sendmsg(MSG_DEALLOC_VGPRS)
	s_endpgm
	.section	.rodata,"a",@progbits
	.p2align	6, 0x0
	.amdhsa_kernel _Z39paged_attention_ll4mi_QKV_mfma16_kernelIDF16_DF16_LN4vllm18Fp8KVCacheDataTypeE0EhLi32ELi128ELi256ELb0ELi13EL8MFMAType0EEvPKT_PKT0_S8_ifPKiSA_SA_iPKfiiiPfSD_PS3_PT2_iSC_SC_
		.amdhsa_group_segment_fixed_size 17472
		.amdhsa_private_segment_fixed_size 0
		.amdhsa_kernarg_size 400
		.amdhsa_user_sgpr_count 13
		.amdhsa_user_sgpr_dispatch_ptr 0
		.amdhsa_user_sgpr_queue_ptr 0
		.amdhsa_user_sgpr_kernarg_segment_ptr 1
		.amdhsa_user_sgpr_dispatch_id 0
		.amdhsa_user_sgpr_private_segment_size 0
		.amdhsa_wavefront_size32 1
		.amdhsa_uses_dynamic_stack 0
		.amdhsa_enable_private_segment 0
		.amdhsa_system_sgpr_workgroup_id_x 1
		.amdhsa_system_sgpr_workgroup_id_y 1
		.amdhsa_system_sgpr_workgroup_id_z 1
		.amdhsa_system_sgpr_workgroup_info 0
		.amdhsa_system_vgpr_workitem_id 0
		.amdhsa_next_free_vgpr 172
		.amdhsa_next_free_sgpr 39
		.amdhsa_reserve_vcc 1
		.amdhsa_float_round_mode_32 0
		.amdhsa_float_round_mode_16_64 0
		.amdhsa_float_denorm_mode_32 3
		.amdhsa_float_denorm_mode_16_64 3
		.amdhsa_dx10_clamp 1
		.amdhsa_ieee_mode 1
		.amdhsa_fp16_overflow 0
		.amdhsa_workgroup_processor_mode 1
		.amdhsa_memory_ordered 1
		.amdhsa_forward_progress 0
		.amdhsa_shared_vgpr_count 0
		.amdhsa_exception_fp_ieee_invalid_op 0
		.amdhsa_exception_fp_denorm_src 0
		.amdhsa_exception_fp_ieee_div_zero 0
		.amdhsa_exception_fp_ieee_overflow 0
		.amdhsa_exception_fp_ieee_underflow 0
		.amdhsa_exception_fp_ieee_inexact 0
		.amdhsa_exception_int_div_zero 0
	.end_amdhsa_kernel
	.section	.text._Z39paged_attention_ll4mi_QKV_mfma16_kernelIDF16_DF16_LN4vllm18Fp8KVCacheDataTypeE0EhLi32ELi128ELi256ELb0ELi13EL8MFMAType0EEvPKT_PKT0_S8_ifPKiSA_SA_iPKfiiiPfSD_PS3_PT2_iSC_SC_,"axG",@progbits,_Z39paged_attention_ll4mi_QKV_mfma16_kernelIDF16_DF16_LN4vllm18Fp8KVCacheDataTypeE0EhLi32ELi128ELi256ELb0ELi13EL8MFMAType0EEvPKT_PKT0_S8_ifPKiSA_SA_iPKfiiiPfSD_PS3_PT2_iSC_SC_,comdat
.Lfunc_end338:
	.size	_Z39paged_attention_ll4mi_QKV_mfma16_kernelIDF16_DF16_LN4vllm18Fp8KVCacheDataTypeE0EhLi32ELi128ELi256ELb0ELi13EL8MFMAType0EEvPKT_PKT0_S8_ifPKiSA_SA_iPKfiiiPfSD_PS3_PT2_iSC_SC_, .Lfunc_end338-_Z39paged_attention_ll4mi_QKV_mfma16_kernelIDF16_DF16_LN4vllm18Fp8KVCacheDataTypeE0EhLi32ELi128ELi256ELb0ELi13EL8MFMAType0EEvPKT_PKT0_S8_ifPKiSA_SA_iPKfiiiPfSD_PS3_PT2_iSC_SC_
                                        ; -- End function
	.section	.AMDGPU.csdata,"",@progbits
; Kernel info:
; codeLenInByte = 7708
; NumSgprs: 41
; NumVgprs: 172
; ScratchSize: 0
; MemoryBound: 0
; FloatMode: 240
; IeeeMode: 1
; LDSByteSize: 17472 bytes/workgroup (compile time only)
; SGPRBlocks: 5
; VGPRBlocks: 21
; NumSGPRsForWavesPerEU: 41
; NumVGPRsForWavesPerEU: 172
; Occupancy: 8
; WaveLimiterHint : 1
; COMPUTE_PGM_RSRC2:SCRATCH_EN: 0
; COMPUTE_PGM_RSRC2:USER_SGPR: 13
; COMPUTE_PGM_RSRC2:TRAP_HANDLER: 0
; COMPUTE_PGM_RSRC2:TGID_X_EN: 1
; COMPUTE_PGM_RSRC2:TGID_Y_EN: 1
; COMPUTE_PGM_RSRC2:TGID_Z_EN: 1
; COMPUTE_PGM_RSRC2:TIDIG_COMP_CNT: 0
	.section	.text._Z39paged_attention_ll4mi_QKV_mfma16_kernelIDF16_DF16_LN4vllm18Fp8KVCacheDataTypeE0EhLi32ELi128ELi256ELb0ELi14EL8MFMAType0EEvPKT_PKT0_S8_ifPKiSA_SA_iPKfiiiPfSD_PS3_PT2_iSC_SC_,"axG",@progbits,_Z39paged_attention_ll4mi_QKV_mfma16_kernelIDF16_DF16_LN4vllm18Fp8KVCacheDataTypeE0EhLi32ELi128ELi256ELb0ELi14EL8MFMAType0EEvPKT_PKT0_S8_ifPKiSA_SA_iPKfiiiPfSD_PS3_PT2_iSC_SC_,comdat
	.protected	_Z39paged_attention_ll4mi_QKV_mfma16_kernelIDF16_DF16_LN4vllm18Fp8KVCacheDataTypeE0EhLi32ELi128ELi256ELb0ELi14EL8MFMAType0EEvPKT_PKT0_S8_ifPKiSA_SA_iPKfiiiPfSD_PS3_PT2_iSC_SC_ ; -- Begin function _Z39paged_attention_ll4mi_QKV_mfma16_kernelIDF16_DF16_LN4vllm18Fp8KVCacheDataTypeE0EhLi32ELi128ELi256ELb0ELi14EL8MFMAType0EEvPKT_PKT0_S8_ifPKiSA_SA_iPKfiiiPfSD_PS3_PT2_iSC_SC_
	.globl	_Z39paged_attention_ll4mi_QKV_mfma16_kernelIDF16_DF16_LN4vllm18Fp8KVCacheDataTypeE0EhLi32ELi128ELi256ELb0ELi14EL8MFMAType0EEvPKT_PKT0_S8_ifPKiSA_SA_iPKfiiiPfSD_PS3_PT2_iSC_SC_
	.p2align	8
	.type	_Z39paged_attention_ll4mi_QKV_mfma16_kernelIDF16_DF16_LN4vllm18Fp8KVCacheDataTypeE0EhLi32ELi128ELi256ELb0ELi14EL8MFMAType0EEvPKT_PKT0_S8_ifPKiSA_SA_iPKfiiiPfSD_PS3_PT2_iSC_SC_,@function
_Z39paged_attention_ll4mi_QKV_mfma16_kernelIDF16_DF16_LN4vllm18Fp8KVCacheDataTypeE0EhLi32ELi128ELi256ELb0ELi14EL8MFMAType0EEvPKT_PKT0_S8_ifPKiSA_SA_iPKfiiiPfSD_PS3_PT2_iSC_SC_: ; @_Z39paged_attention_ll4mi_QKV_mfma16_kernelIDF16_DF16_LN4vllm18Fp8KVCacheDataTypeE0EhLi32ELi128ELi256ELb0ELi14EL8MFMAType0EEvPKT_PKT0_S8_ifPKiSA_SA_iPKfiiiPfSD_PS3_PT2_iSC_SC_
; %bb.0:
	s_load_b64 s[2:3], s[0:1], 0x30
	s_mov_b32 s30, s13
	s_waitcnt lgkmcnt(0)
	s_cmp_lg_u64 s[2:3], 0
	s_cselect_b32 s6, -1, 0
	s_ashr_i32 s31, s13, 31
	s_cmp_eq_u64 s[2:3], 0
	s_cbranch_scc1 .LBB339_3
; %bb.1:
	s_lshl_b64 s[4:5], s[30:31], 2
	s_delay_alu instid0(SALU_CYCLE_1) | instskip(SKIP_4) | instid1(SALU_CYCLE_1)
	s_add_u32 s4, s2, s4
	s_addc_u32 s5, s3, s5
	s_load_b64 s[4:5], s[4:5], 0x0
	s_waitcnt lgkmcnt(0)
	s_sub_i32 s4, s5, s4
	s_cmp_eq_u32 s4, 1
	s_cselect_b32 s4, -1, 0
	s_delay_alu instid0(SALU_CYCLE_1)
	s_and_not1_b32 vcc_lo, exec_lo, s4
	s_cbranch_vccz .LBB339_4
.LBB339_2:
	s_endpgm
.LBB339_3:
.LBB339_4:
	s_load_b64 s[8:9], s[0:1], 0x28
	s_lshl_b64 s[4:5], s[30:31], 2
	s_waitcnt lgkmcnt(0)
	s_add_u32 s8, s8, s4
	s_addc_u32 s9, s9, s5
	s_lshl_b32 s12, s14, 8
	s_load_b32 s17, s[8:9], 0x0
	s_waitcnt lgkmcnt(0)
	s_cmp_ge_i32 s12, s17
	s_cbranch_scc1 .LBB339_2
; %bb.5:
	s_and_not1_b32 vcc_lo, exec_lo, s6
	s_cbranch_vccnz .LBB339_7
; %bb.6:
	s_add_u32 s2, s2, s4
	s_addc_u32 s3, s3, s5
	s_load_b32 s13, s[2:3], 0x0
	s_branch .LBB339_8
.LBB339_7:
	s_mov_b32 s13, s30
.LBB339_8:
	s_clause 0x2
	s_load_b128 s[8:11], s[0:1], 0x8
	s_load_b64 s[2:3], s[0:1], 0x20
	s_load_b128 s[4:7], s[0:1], 0x48
	v_and_b32_e32 v77, 15, v0
	s_waitcnt lgkmcnt(0)
	s_mov_b32 s7, exec_lo
	s_delay_alu instid0(VALU_DEP_1)
	v_lshlrev_b32_e32 v1, 3, v77
	v_cmpx_lt_u32_e32 0xdf, v0
	s_xor_b32 s7, exec_lo, s7
; %bb.9:
	v_mov_b32_e32 v2, 0
; %bb.10:
	s_or_saveexec_b32 s7, s7
	v_lshrrev_b32_e32 v78, 5, v0
	v_and_b32_e32 v80, 31, v0
	v_and_b32_e32 v76, 1, v0
	v_bfe_u32 v75, v0, 4, 1
	s_mul_i32 s31, s15, 14
	s_xor_b32 exec_lo, exec_lo, s7
	s_cbranch_execz .LBB339_12
; %bb.11:
	s_load_b64 s[18:19], s[0:1], 0x0
	v_lshl_or_b32 v7, v78, 1, v75
	s_mul_hi_i32 s21, s13, s4
	s_mul_i32 s20, s13, s4
	v_lshlrev_b32_e32 v4, 1, v1
	s_lshl_b64 s[20:21], s[20:21], 1
	v_add_lshl_u32 v2, v7, s31, 7
	v_lshlrev_b32_e32 v7, 6, v7
	v_lshlrev_b32_e32 v8, 10, v76
	s_delay_alu instid0(VALU_DEP_3) | instskip(NEXT) | instid1(VALU_DEP_1)
	v_ashrrev_i32_e32 v3, 31, v2
	v_lshlrev_b64 v[2:3], 1, v[2:3]
	s_waitcnt lgkmcnt(0)
	s_add_u32 s4, s18, s20
	s_addc_u32 s13, s19, s21
	s_delay_alu instid0(VALU_DEP_1) | instskip(NEXT) | instid1(VALU_DEP_2)
	v_add_co_u32 v2, vcc_lo, s4, v2
	v_add_co_ci_u32_e32 v3, vcc_lo, s13, v3, vcc_lo
	s_delay_alu instid0(VALU_DEP_2) | instskip(NEXT) | instid1(VALU_DEP_2)
	v_add_co_u32 v2, vcc_lo, v2, v4
	v_add_co_ci_u32_e32 v3, vcc_lo, 0, v3, vcc_lo
	global_load_b128 v[3:6], v[2:3], off
	v_lshlrev_b32_e32 v2, 10, v77
	s_delay_alu instid0(VALU_DEP_1) | instskip(NEXT) | instid1(VALU_DEP_1)
	v_and_b32_e32 v2, 0x3800, v2
	v_or3_b32 v7, v2, v8, v7
	v_mov_b32_e32 v2, 0
	s_waitcnt vmcnt(0)
	ds_store_b128 v7, v[3:6]
.LBB339_12:
	s_or_b32 exec_lo, exec_lo, s7
	v_and_b32_e32 v3, 0xef, v0
	s_add_i32 s4, s17, 31
	s_clause 0x1
	s_load_b32 s7, s[0:1], 0x38
	s_load_b32 s33, s[0:1], 0x98
	s_ashr_i32 s13, s4, 31
	v_add_nc_u32_e32 v3, s12, v3
	s_lshr_b32 s13, s13, 27
	s_load_b32 s18, s[0:1], 0x1c
	s_add_i32 s4, s4, s13
	s_waitcnt lgkmcnt(0)
	v_ashrrev_i32_e32 v4, 31, v3
	v_cmp_gt_i32_e32 vcc_lo, s17, v3
	s_ashr_i32 s4, s4, 5
	s_barrier
	s_add_i32 s4, s4, -1
	v_lshrrev_b32_e32 v5, 27, v4
	v_or_b32_e32 v4, 16, v3
	buffer_gl0_inv
	v_lshlrev_b64 v[73:74], 1, v[1:2]
	v_lshlrev_b32_e32 v79, 6, v77
	v_add_nc_u32_e32 v6, v3, v5
	v_add_nc_u32_e32 v5, v4, v5
	s_mul_i32 s20, s30, s7
	s_delay_alu instid0(SALU_CYCLE_1) | instskip(NEXT) | instid1(VALU_DEP_2)
	s_ashr_i32 s21, s20, 31
	v_ashrrev_i32_e32 v6, 5, v6
	s_delay_alu instid0(VALU_DEP_2) | instskip(SKIP_1) | instid1(SALU_CYCLE_1)
	v_ashrrev_i32_e32 v5, 5, v5
	s_lshl_b64 s[20:21], s[20:21], 2
	s_add_u32 s13, s2, s20
	s_delay_alu instid0(VALU_DEP_2) | instskip(SKIP_3) | instid1(SALU_CYCLE_1)
	v_cndmask_b32_e32 v3, s4, v6, vcc_lo
	v_cmp_gt_i32_e32 vcc_lo, s17, v4
	s_addc_u32 s16, s3, s21
	s_mul_i32 s2, s15, s6
	s_ashr_i32 s3, s2, 31
	v_cndmask_b32_e32 v5, s4, v5, vcc_lo
	v_ashrrev_i32_e32 v4, 31, v3
	s_lshl_b64 s[2:3], s[2:3], 1
	s_delay_alu instid0(SALU_CYCLE_1) | instskip(NEXT) | instid1(VALU_DEP_2)
	s_add_u32 s15, s8, s2
	v_ashrrev_i32_e32 v6, 31, v5
	s_delay_alu instid0(VALU_DEP_2) | instskip(SKIP_2) | instid1(VALU_DEP_2)
	v_lshlrev_b64 v[3:4], 2, v[3:4]
	s_addc_u32 s19, s9, s3
	s_lshl_b32 s6, s14, 3
	v_lshlrev_b64 v[5:6], 2, v[5:6]
	s_ashr_i32 s7, s6, 31
	s_delay_alu instid0(VALU_DEP_2) | instskip(SKIP_1) | instid1(VALU_DEP_3)
	v_add_co_u32 v3, vcc_lo, s13, v3
	v_add_co_ci_u32_e32 v4, vcc_lo, s16, v4, vcc_lo
	v_add_co_u32 v5, vcc_lo, s13, v5
	s_delay_alu instid0(VALU_DEP_4)
	v_add_co_ci_u32_e32 v6, vcc_lo, s16, v6, vcc_lo
	s_lshl_b64 s[6:7], s[6:7], 2
	s_clause 0x1
	global_load_b32 v7, v[3:4], off
	global_load_b32 v8, v[5:6], off
	s_add_u32 s6, s13, s6
	s_addc_u32 s7, s16, s7
	s_or_b32 s8, s12, 32
	s_delay_alu instid0(SALU_CYCLE_1) | instskip(SKIP_2) | instid1(SALU_CYCLE_1)
	s_ashr_i32 s9, s8, 5
	s_cmp_lt_i32 s8, s17
	s_cselect_b32 s8, s9, s4
	s_ashr_i32 s9, s8, 31
	s_delay_alu instid0(SALU_CYCLE_1) | instskip(NEXT) | instid1(SALU_CYCLE_1)
	s_lshl_b64 s[8:9], s[8:9], 2
	s_add_u32 s8, s13, s8
	s_addc_u32 s9, s16, s9
	s_or_b32 s20, s12, 64
	s_delay_alu instid0(SALU_CYCLE_1) | instskip(SKIP_2) | instid1(SALU_CYCLE_1)
	s_ashr_i32 s21, s20, 5
	s_cmp_lt_i32 s20, s17
	s_cselect_b32 s20, s21, s4
	s_ashr_i32 s21, s20, 31
	s_delay_alu instid0(SALU_CYCLE_1) | instskip(NEXT) | instid1(SALU_CYCLE_1)
	s_lshl_b64 s[20:21], s[20:21], 2
	;; [unrolled: 10-line block ×5, first 2 shown]
	s_add_u32 s26, s13, s26
	s_addc_u32 s27, s16, s27
	s_clause 0x5
	s_load_b32 s28, s[6:7], 0x0
	s_load_b32 s29, s[8:9], 0x0
	;; [unrolled: 1-line block ×6, first 2 shown]
	s_mov_b32 s20, 0
	s_or_b32 s6, s12, 0xc0
	s_mov_b32 s21, s20
	s_mov_b32 s22, s20
	;; [unrolled: 1-line block ×7, first 2 shown]
	s_ashr_i32 s7, s6, 5
	v_mov_b32_e32 v128, s27
	s_cmp_lt_i32 s6, s17
	v_mov_b32_e32 v127, s26
	s_cselect_b32 s6, s7, s4
	v_mov_b32_e32 v126, s25
	s_ashr_i32 s7, s6, 31
	v_mov_b32_e32 v125, s24
	s_lshl_b64 s[6:7], s[6:7], 2
	v_mov_b32_e32 v124, s23
	s_add_u32 s6, s13, s6
	s_addc_u32 s7, s16, s7
	v_mov_b32_e32 v123, s22
	v_mov_b32_e32 v121, s20
	s_waitcnt lgkmcnt(0)
	s_mul_hi_i32 s9, s28, s5
	s_mul_i32 s8, s28, s5
	v_mov_b32_e32 v122, s21
	s_mul_hi_i32 s21, s29, s5
	s_mul_i32 s20, s29, s5
	s_mul_hi_i32 s25, s34, s5
	s_mul_i32 s24, s34, s5
	;; [unrolled: 2-line block ×4, first 2 shown]
	s_waitcnt vmcnt(1)
	v_mad_i64_i32 v[3:4], null, v7, s5, 0
	s_waitcnt vmcnt(0)
	v_mad_i64_i32 v[5:6], null, v8, s5, 0
	s_delay_alu instid0(VALU_DEP_2) | instskip(NEXT) | instid1(VALU_DEP_2)
	v_lshlrev_b64 v[3:4], 1, v[3:4]
	v_lshlrev_b64 v[1:2], 1, v[5:6]
	s_delay_alu instid0(VALU_DEP_2) | instskip(NEXT) | instid1(VALU_DEP_3)
	v_add_co_u32 v3, vcc_lo, s15, v3
	v_add_co_ci_u32_e32 v4, vcc_lo, s19, v4, vcc_lo
	s_delay_alu instid0(VALU_DEP_3) | instskip(NEXT) | instid1(VALU_DEP_4)
	v_add_co_u32 v1, vcc_lo, s15, v1
	v_add_co_ci_u32_e32 v2, vcc_lo, s19, v2, vcc_lo
	s_delay_alu instid0(VALU_DEP_4) | instskip(NEXT) | instid1(VALU_DEP_4)
	v_add_co_u32 v65, vcc_lo, v3, v73
	v_add_co_ci_u32_e32 v66, vcc_lo, v4, v74, vcc_lo
	s_delay_alu instid0(VALU_DEP_4) | instskip(NEXT) | instid1(VALU_DEP_4)
	v_add_co_u32 v67, vcc_lo, v1, v73
	v_add_co_ci_u32_e32 v68, vcc_lo, v2, v74, vcc_lo
	s_clause 0xf
	global_load_b128 v[1:4], v[65:66], off
	global_load_b128 v[5:8], v[65:66], off offset:512
	global_load_b128 v[9:12], v[67:68], off offset:256
	;; [unrolled: 1-line block ×15, first 2 shown]
	v_add_co_u32 v157, vcc_lo, 0x1000, v65
	v_add_co_ci_u32_e32 v158, vcc_lo, 0, v66, vcc_lo
	v_add_co_u32 v165, vcc_lo, 0x1000, v67
	v_add_co_ci_u32_e32 v166, vcc_lo, 0, v68, vcc_lo
	s_clause 0x7
	global_load_b128 v[81:84], v[157:158], off
	global_load_b128 v[85:88], v[157:158], off offset:512
	global_load_b128 v[89:92], v[165:166], off offset:256
	global_load_b128 v[93:96], v[165:166], off offset:768
	global_load_b128 v[97:100], v[157:158], off offset:1024
	global_load_b128 v[101:104], v[157:158], off offset:1536
	global_load_b128 v[105:108], v[165:166], off offset:1280
	global_load_b128 v[109:112], v[165:166], off offset:1792
	v_add_nc_u32_e32 v65, -14, v77
	v_cmp_gt_u32_e32 vcc_lo, 14, v77
	s_or_b32 s15, s12, 0xe0
	s_delay_alu instid0(SALU_CYCLE_1) | instskip(SKIP_3) | instid1(SALU_CYCLE_1)
	s_ashr_i32 s19, s15, 5
	s_cmp_lt_i32 s15, s17
	v_cndmask_b32_e32 v65, v65, v77, vcc_lo
	s_cselect_b32 s22, s19, s4
	s_ashr_i32 s23, s22, 31
	s_delay_alu instid0(VALU_DEP_1)
	v_lshlrev_b32_e32 v169, 6, v65
	ds_load_b128 v[65:68], v169
	ds_load_b128 v[69:72], v169 offset:1024
	s_clause 0x1
	global_load_b128 v[113:116], v[157:158], off offset:2048
	global_load_b128 v[117:120], v[157:158], off offset:2560
	ds_load_b128 v[129:132], v169 offset:2048
	ds_load_b128 v[133:136], v169 offset:3072
	s_clause 0x5
	global_load_b128 v[145:148], v[165:166], off offset:2304
	global_load_b128 v[149:152], v[165:166], off offset:2816
	;; [unrolled: 1-line block ×6, first 2 shown]
	s_lshl_b64 s[22:23], s[22:23], 2
	s_delay_alu instid0(SALU_CYCLE_1) | instskip(SKIP_2) | instid1(SALU_CYCLE_1)
	s_add_u32 s22, s13, s22
	s_addc_u32 s23, s16, s23
	s_add_i32 s15, s12, 0x100
	s_ashr_i32 s19, s15, 5
	s_cmp_lt_i32 s15, s17
	s_cselect_b32 s28, s19, s4
	s_delay_alu instid0(SALU_CYCLE_1) | instskip(NEXT) | instid1(SALU_CYCLE_1)
	s_ashr_i32 s29, s28, 31
	s_lshl_b64 s[28:29], s[28:29], 2
	s_delay_alu instid0(SALU_CYCLE_1)
	s_add_u32 s28, s13, s28
	s_addc_u32 s29, s16, s29
	s_add_u32 s4, s10, s2
	s_addc_u32 s19, s11, s3
	s_lshl_b64 s[2:3], s[8:9], 1
	s_lshl_b64 s[8:9], s[20:21], 1
	;; [unrolled: 1-line block ×4, first 2 shown]
	s_waitcnt vmcnt(30) lgkmcnt(2)
	v_wmma_f32_16x16x16_f16 v[137:144], v[1:8], v[65:72], v[121:128]
	ds_load_b128 v[1:4], v169 offset:4096
	ds_load_b128 v[5:8], v169 offset:5120
	s_waitcnt vmcnt(28)
	v_wmma_f32_16x16x16_f16 v[121:128], v[9:16], v[65:72], v[121:128]
	ds_load_b128 v[9:12], v169 offset:6144
	ds_load_b128 v[13:16], v169 offset:7168
	s_waitcnt vmcnt(26) lgkmcnt(4)
	v_wmma_f32_16x16x16_f16 v[137:144], v[17:24], v[129:136], v[137:144]
	ds_load_b128 v[17:20], v169 offset:8192
	ds_load_b128 v[21:24], v169 offset:9216
	s_waitcnt vmcnt(24)
	v_wmma_f32_16x16x16_f16 v[121:128], v[25:32], v[129:136], v[121:128]
	v_lshl_or_b32 v25, v78, 10, v79
	ds_load_b128 v[129:132], v169 offset:10240
	ds_load_b128 v[133:136], v169 offset:11264
	s_clause 0x2
	s_load_b32 s15, s[6:7], 0x0
	s_load_b32 s13, s[22:23], 0x0
	;; [unrolled: 1-line block ×3, first 2 shown]
	s_mul_hi_i32 s7, s36, s5
	v_add_co_u32 v170, s4, s4, v25
	s_delay_alu instid0(VALU_DEP_1)
	v_add_co_ci_u32_e64 v171, null, s19, 0, s4
	s_mul_i32 s6, s36, s5
	s_lshl_b64 s[22:23], s[34:35], 1
	s_lshl_b64 s[6:7], s[6:7], 1
	s_waitcnt vmcnt(22) lgkmcnt(0)
	v_wmma_f32_16x16x16_f16 v[137:144], v[33:40], v[1:8], v[137:144]
	s_waitcnt vmcnt(20)
	v_wmma_f32_16x16x16_f16 v[121:128], v[41:48], v[1:8], v[121:128]
	v_add_co_u32 v1, vcc_lo, v170, s2
	v_add_co_ci_u32_e32 v2, vcc_lo, s3, v171, vcc_lo
	v_add_co_u32 v3, vcc_lo, v170, s8
	v_add_co_ci_u32_e32 v4, vcc_lo, s9, v171, vcc_lo
	;; [unrolled: 2-line block ×4, first 2 shown]
	v_add_co_u32 v25, vcc_lo, v170, s6
	s_mul_hi_i32 s25, s15, s5
	s_mul_i32 s24, s15, s5
	v_add_co_ci_u32_e32 v26, vcc_lo, s7, v171, vcc_lo
	v_add_co_u32 v27, vcc_lo, v170, s22
	s_lshl_b64 s[24:25], s[24:25], 1
	s_waitcnt vmcnt(18)
	v_wmma_f32_16x16x16_f16 v[137:144], v[49:56], v[9:16], v[137:144]
	s_waitcnt vmcnt(16)
	v_wmma_f32_16x16x16_f16 v[121:128], v[57:64], v[9:16], v[121:128]
	v_add_co_ci_u32_e32 v28, vcc_lo, s23, v171, vcc_lo
	s_mul_hi_i32 s3, s13, s5
	s_mul_i32 s2, s13, s5
	v_add_co_u32 v29, vcc_lo, v170, s24
	s_lshl_b64 s[2:3], s[2:3], 1
	v_add_co_ci_u32_e32 v30, vcc_lo, s25, v171, vcc_lo
	s_waitcnt vmcnt(14)
	v_wmma_f32_16x16x16_f16 v[137:144], v[81:88], v[17:24], v[137:144]
	s_waitcnt vmcnt(12)
	v_wmma_f32_16x16x16_f16 v[121:128], v[89:96], v[17:24], v[121:128]
	v_add_co_u32 v17, vcc_lo, v170, s2
	v_add_co_ci_u32_e32 v18, vcc_lo, s3, v171, vcc_lo
	s_mul_hi_i32 s3, s16, s5
	s_mul_i32 s2, s16, s5
	s_clause 0x5
	global_load_b128 v[65:68], v[1:2], off
	global_load_b128 v[69:72], v[1:2], off offset:16
	global_load_b128 v[57:60], v[3:4], off
	global_load_b128 v[61:64], v[3:4], off offset:16
	;; [unrolled: 2-line block ×3, first 2 shown]
	s_lshl_b64 s[2:3], s[2:3], 1
	s_clause 0x1
	global_load_b128 v[41:44], v[7:8], off
	global_load_b128 v[45:48], v[7:8], off offset:16
	v_add_co_u32 v21, vcc_lo, v170, s2
	v_add_co_ci_u32_e32 v22, vcc_lo, s3, v171, vcc_lo
	s_clause 0x9
	global_load_b128 v[9:12], v[25:26], off
	global_load_b128 v[13:16], v[25:26], off offset:16
	global_load_b128 v[1:4], v[27:28], off
	global_load_b128 v[5:8], v[27:28], off offset:16
	;; [unrolled: 2-line block ×5, first 2 shown]
	ds_load_b128 v[81:84], v169 offset:12288
	ds_load_b128 v[85:88], v169 offset:13312
	v_and_b32_e32 v89, 0xe0, v0
	s_waitcnt vmcnt(28)
	v_wmma_f32_16x16x16_f16 v[137:144], v[97:104], v[129:136], v[137:144]
	v_mbcnt_lo_u32_b32 v97, -1, 0
	s_waitcnt vmcnt(26)
	v_wmma_f32_16x16x16_f16 v[121:128], v[105:112], v[129:136], v[121:128]
	v_add_nc_u32_e32 v98, s12, v89
	ds_load_b128 v[89:92], v169 offset:14336
	ds_load_b128 v[93:96], v169 offset:15360
	v_xor_b32_e32 v99, 16, v97
	s_waitcnt vmcnt(0) lgkmcnt(0)
	s_barrier
	v_or_b32_e32 v98, v98, v75
	buffer_gl0_inv
	v_cmp_gt_i32_e32 vcc_lo, 32, v99
	v_or_b32_e32 v100, 4, v98
	v_or_b32_e32 v101, 22, v98
	;; [unrolled: 1-line block ×4, first 2 shown]
	v_wmma_f32_16x16x16_f16 v[137:144], v[113:120], v[81:88], v[137:144]
	v_wmma_f32_16x16x16_f16 v[121:128], v[145:152], v[81:88], v[121:128]
	v_or_b32_e32 v81, 6, v98
	v_or_b32_e32 v82, 8, v98
	;; [unrolled: 1-line block ×3, first 2 shown]
	v_cmp_gt_i32_e64 s3, s17, v100
	v_or_b32_e32 v84, 12, v98
	v_wmma_f32_16x16x16_f16 v[137:144], v[153:160], v[89:96], v[137:144]
	v_wmma_f32_16x16x16_f16 v[121:128], v[161:168], v[89:96], v[121:128]
	v_cndmask_b32_e32 v97, v97, v99, vcc_lo
	v_or_b32_e32 v99, 2, v98
	v_cmp_gt_i32_e32 vcc_lo, s17, v98
	v_dual_mul_f32 v95, s18, v138 :: v_dual_mul_f32 v96, s18, v137
	v_mul_f32_e32 v93, s18, v140
	s_delay_alu instid0(VALU_DEP_4)
	v_cmp_gt_i32_e64 s2, s17, v99
	v_mul_f32_e32 v94, s18, v139
	v_mul_f32_e32 v110, s18, v124
	v_cndmask_b32_e32 v96, 0xff7fffff, v96, vcc_lo
	v_cmp_gt_i32_e64 s4, s17, v81
	v_cndmask_b32_e64 v95, 0xff7fffff, v95, s2
	v_or_b32_e32 v85, 14, v98
	v_dual_mul_f32 v91, s18, v142 :: v_dual_mul_f32 v92, s18, v141
	v_cndmask_b32_e64 v94, 0xff7fffff, v94, s3
	v_cndmask_b32_e64 v81, 0xff7fffff, v93, s4
	v_max3_f32 v93, v96, 0xff7fffff, v95
	v_cmp_gt_i32_e64 s5, s17, v82
	v_cmp_gt_i32_e64 s6, s17, v83
	v_or_b32_e32 v86, 16, v98
	v_or_b32_e32 v87, 18, v98
	v_dual_mul_f32 v89, s18, v144 :: v_dual_mul_f32 v112, s18, v122
	v_mul_f32_e32 v90, s18, v143
	v_cndmask_b32_e64 v82, 0xff7fffff, v92, s5
	v_cndmask_b32_e64 v83, 0xff7fffff, v91, s6
	v_max3_f32 v81, v93, v94, v81
	v_cmp_gt_i32_e64 s7, s17, v84
	v_cmp_gt_i32_e64 s8, s17, v85
	v_or_b32_e32 v88, 20, v98
	v_mul_f32_e32 v113, s18, v121
	v_max3_f32 v81, v81, v82, v83
	v_cndmask_b32_e64 v84, 0xff7fffff, v90, s7
	v_cndmask_b32_e64 v85, 0xff7fffff, v89, s8
	v_cmp_gt_i32_e64 s9, s17, v86
	v_cmp_gt_i32_e64 s10, s17, v87
	v_mul_f32_e32 v111, s18, v123
	v_cmp_gt_i32_e64 s11, s17, v88
	v_max3_f32 v81, v81, v84, v85
	v_cndmask_b32_e64 v82, 0xff7fffff, v113, s9
	v_cndmask_b32_e64 v83, 0xff7fffff, v112, s10
	v_cmp_gt_i32_e64 s12, s17, v101
	v_or_b32_e32 v104, 28, v98
	v_or_b32_e32 v105, 30, v98
	v_dual_mul_f32 v108, s18, v126 :: v_dual_mul_f32 v109, s18, v125
	v_cndmask_b32_e64 v84, 0xff7fffff, v111, s11
	v_cndmask_b32_e64 v85, 0xff7fffff, v110, s12
	v_max3_f32 v81, v81, v82, v83
	v_cmp_gt_i32_e64 s13, s17, v102
	v_cmp_gt_i32_e64 s15, s17, v103
	v_dual_mul_f32 v106, s18, v128 :: v_dual_mul_f32 v107, s18, v127
	s_delay_alu instid0(VALU_DEP_4) | instskip(NEXT) | instid1(VALU_DEP_4)
	v_max3_f32 v81, v81, v84, v85
	v_cndmask_b32_e64 v82, 0xff7fffff, v109, s13
	s_delay_alu instid0(VALU_DEP_4) | instskip(SKIP_2) | instid1(VALU_DEP_3)
	v_cndmask_b32_e64 v83, 0xff7fffff, v108, s15
	v_cmp_gt_i32_e64 s16, s17, v104
	v_cmp_gt_i32_e64 s17, s17, v105
	v_max3_f32 v81, v81, v82, v83
	s_delay_alu instid0(VALU_DEP_3) | instskip(NEXT) | instid1(VALU_DEP_3)
	v_cndmask_b32_e64 v84, 0xff7fffff, v107, s16
	v_cndmask_b32_e64 v85, 0xff7fffff, v106, s17
	v_lshlrev_b32_e32 v83, 2, v97
	s_delay_alu instid0(VALU_DEP_2) | instskip(SKIP_3) | instid1(VALU_DEP_1)
	v_max3_f32 v81, v81, v84, v85
	ds_bpermute_b32 v82, v83, v81
	s_waitcnt lgkmcnt(0)
	v_max_f32_e32 v82, v82, v82
	v_max_f32_e32 v81, v81, v82
	s_delay_alu instid0(VALU_DEP_1)
	v_fma_f32 v82, s18, v137, -v81
	v_fma_f32 v84, s18, v138, -v81
	;; [unrolled: 1-line block ×5, first 2 shown]
	v_mul_f32_e32 v82, 0x3fb8aa3b, v82
	s_delay_alu instid0(VALU_DEP_4) | instskip(NEXT) | instid1(VALU_DEP_3)
	v_dual_mul_f32 v84, 0x3fb8aa3b, v84 :: v_dual_mul_f32 v85, 0x3fb8aa3b, v85
	v_dual_mul_f32 v86, 0x3fb8aa3b, v86 :: v_dual_mul_f32 v89, 0x3fb8aa3b, v87
	s_delay_alu instid0(VALU_DEP_3) | instskip(NEXT) | instid1(VALU_DEP_2)
	v_exp_f32_e32 v82, v82
	v_exp_f32_e32 v84, v84
	s_delay_alu instid0(VALU_DEP_2) | instskip(NEXT) | instid1(VALU_DEP_1)
	v_exp_f32_e32 v85, v85
	v_exp_f32_e32 v86, v86
	;; [unrolled: 1-line block ×3, first 2 shown]
	v_cndmask_b32_e32 v88, 0, v82, vcc_lo
	v_cndmask_b32_e64 v87, 0, v84, s2
	s_delay_alu instid0(TRANS32_DEP_3)
	v_cndmask_b32_e64 v90, 0, v85, s3
	s_waitcnt_depctr 0xfff
	v_cndmask_b32_e64 v89, 0, v86, s4
	v_cndmask_b32_e64 v92, 0, v92, s5
	v_add_f32_e32 v84, 0, v88
	s_mov_b32 s2, exec_lo
	s_delay_alu instid0(VALU_DEP_1) | instskip(NEXT) | instid1(VALU_DEP_1)
	v_add_f32_e32 v84, v84, v87
	v_add_f32_e32 v84, v84, v90
	s_delay_alu instid0(VALU_DEP_1)
	v_add_f32_e32 v84, v84, v89
	v_fma_f32 v82, s18, v142, -v81
	v_fma_f32 v91, s18, v143, -v81
	;; [unrolled: 1-line block ×5, first 2 shown]
	s_delay_alu instid0(VALU_DEP_4) | instskip(SKIP_1) | instid1(VALU_DEP_4)
	v_dual_mul_f32 v82, 0x3fb8aa3b, v82 :: v_dual_mul_f32 v91, 0x3fb8aa3b, v91
	v_fma_f32 v96, s18, v124, -v81
	v_mul_f32_e32 v86, 0x3fb8aa3b, v86
	s_delay_alu instid0(VALU_DEP_4) | instskip(NEXT) | instid1(VALU_DEP_4)
	v_mul_f32_e32 v95, 0x3fb8aa3b, v94
	v_exp_f32_e32 v82, v82
	v_exp_f32_e32 v93, v91
	v_mul_f32_e32 v97, 0x3fb8aa3b, v96
	v_exp_f32_e32 v86, v86
	v_fma_f32 v99, s18, v127, -v81
	s_delay_alu instid0(VALU_DEP_2) | instskip(SKIP_2) | instid1(TRANS32_DEP_3)
	v_exp_f32_e32 v97, v97
	v_cndmask_b32_e64 v91, 0, v82, s6
	v_dual_add_f32 v82, v84, v92 :: v_dual_mul_f32 v85, 0x3fb8aa3b, v85
	v_cndmask_b32_e64 v94, 0, v93, s7
	v_fma_f32 v84, s18, v123, -v81
	s_delay_alu instid0(TRANS32_DEP_2) | instskip(NEXT) | instid1(VALU_DEP_4)
	v_cndmask_b32_e64 v96, 0, v86, s9
	v_add_f32_e32 v82, v82, v91
	v_exp_f32_e32 v85, v85
	v_fma_f32 v86, s18, v126, -v81
	v_mul_f32_e32 v84, 0x3fb8aa3b, v84
	v_cndmask_b32_e64 v97, 0, v97, s12
	v_add_f32_e32 v82, v82, v94
	s_delay_alu instid0(VALU_DEP_3) | instskip(SKIP_3) | instid1(VALU_DEP_2)
	v_exp_f32_e32 v84, v84
	s_waitcnt_depctr 0xfff
	v_cndmask_b32_e64 v93, 0, v85, s8
	v_fma_f32 v85, s18, v125, -v81
	v_add_f32_e32 v82, v82, v93
	v_exp_f32_e32 v95, v95
	s_delay_alu instid0(VALU_DEP_2)
	v_mul_f32_e32 v85, 0x3fb8aa3b, v85
	v_cndmask_b32_e64 v98, 0, v84, s11
	v_mul_f32_e32 v84, 0x3fb8aa3b, v99
	v_add_f32_e32 v82, v82, v96
	v_fma_f32 v99, s18, v128, -v81
	v_exp_f32_e32 v85, v85
	v_mul_f32_e32 v86, 0x3fb8aa3b, v86
	v_exp_f32_e32 v84, v84
	s_delay_alu instid0(TRANS32_DEP_3) | instskip(NEXT) | instid1(VALU_DEP_1)
	v_cndmask_b32_e64 v95, 0, v95, s10
	v_add_f32_e32 v82, v82, v95
	s_waitcnt_depctr 0xfff
	v_cndmask_b32_e64 v100, 0, v85, s13
	v_mul_f32_e32 v85, 0x3fb8aa3b, v99
	v_exp_f32_e32 v86, v86
	v_cndmask_b32_e64 v102, 0, v84, s16
	v_add_f32_e32 v82, v82, v98
	s_delay_alu instid0(VALU_DEP_3) | instskip(NEXT) | instid1(VALU_DEP_1)
	v_exp_f32_e32 v85, v85
	v_add_f32_e32 v82, v82, v97
	s_waitcnt_depctr 0xfff
	v_cndmask_b32_e64 v99, 0, v86, s15
	v_add_f32_e32 v82, v82, v100
	v_cndmask_b32_e64 v101, 0, v85, s17
	s_delay_alu instid0(VALU_DEP_2) | instskip(NEXT) | instid1(VALU_DEP_1)
	v_add_f32_e32 v82, v82, v99
	v_add_f32_e32 v82, v82, v102
	s_delay_alu instid0(VALU_DEP_1)
	v_add_f32_e32 v82, v82, v101
	ds_bpermute_b32 v83, v83, v82
	v_cmpx_gt_u32_e32 16, v80
	s_cbranch_execz .LBB339_14
; %bb.13:
	v_mul_u32_u24_e32 v80, 0x44, v78
	s_waitcnt lgkmcnt(0)
	v_add_f32_e32 v82, v82, v83
	s_delay_alu instid0(VALU_DEP_2) | instskip(NEXT) | instid1(VALU_DEP_1)
	v_lshl_add_u32 v80, v77, 2, v80
	v_add_nc_u32_e32 v80, 0x4000, v80
	ds_store_2addr_b32 v80, v81, v82 offset1:136
.LBB339_14:
	s_or_b32 exec_lo, exec_lo, s2
	v_lshlrev_b32_e32 v80, 2, v77
	s_load_b32 s34, s[0:1], 0x94
	s_waitcnt lgkmcnt(0)
	s_barrier
	buffer_gl0_inv
	v_add_nc_u32_e32 v84, 0x4000, v80
	v_cmp_eq_u32_e32 vcc_lo, 1, v78
	v_cmp_eq_u32_e64 s2, 2, v78
	v_cmp_eq_u32_e64 s3, 3, v78
	;; [unrolled: 1-line block ×3, first 2 shown]
	ds_load_2addr_b32 v[80:81], v84 offset1:17
	ds_load_2addr_b32 v[82:83], v84 offset0:34 offset1:51
	ds_load_2addr_b32 v[103:104], v84 offset0:68 offset1:85
	;; [unrolled: 1-line block ×3, first 2 shown]
	v_cmp_eq_u32_e64 s5, 7, v78
	s_waitcnt lgkmcnt(3)
	v_max3_f32 v85, v80, 0xff7fffff, v81
	s_waitcnt lgkmcnt(2)
	s_delay_alu instid0(VALU_DEP_1) | instskip(SKIP_1) | instid1(VALU_DEP_1)
	v_max3_f32 v85, v85, v82, v83
	s_waitcnt lgkmcnt(1)
	v_max3_f32 v85, v85, v103, v104
	s_waitcnt lgkmcnt(0)
	s_delay_alu instid0(VALU_DEP_1) | instskip(NEXT) | instid1(VALU_DEP_1)
	v_max3_f32 v85, v85, v105, v106
	v_sub_f32_e32 v103, v103, v85
	ds_load_2addr_b32 v[107:108], v84 offset0:136 offset1:153
	v_sub_f32_e32 v80, v80, v85
	v_dual_sub_f32 v110, v83, v85 :: v_dual_mul_f32 v113, 0x3fb8aa3b, v103
	s_delay_alu instid0(VALU_DEP_2) | instskip(SKIP_3) | instid1(VALU_DEP_1)
	v_dual_sub_f32 v86, v81, v85 :: v_dual_mul_f32 v109, 0x3fb8aa3b, v80
	ds_load_2addr_b32 v[80:81], v84 offset0:170 offset1:187
	v_mul_f32_e32 v86, 0x3fb8aa3b, v86
	v_exp_f32_e32 v109, v109
	v_exp_f32_e32 v112, v86
	v_mul_f32_e32 v110, 0x3fb8aa3b, v110
	s_waitcnt lgkmcnt(1)
	s_waitcnt_depctr 0xfff
	v_fma_f32 v86, v109, v107, 0
	v_sub_f32_e32 v107, v104, v85
	v_sub_f32_e32 v82, v82, v85
	v_exp_f32_e32 v110, v110
	ds_load_2addr_b32 v[103:104], v84 offset0:238 offset1:255
	v_dual_fmac_f32 v86, v112, v108 :: v_dual_mul_f32 v111, 0x3fb8aa3b, v82
	ds_load_2addr_b32 v[82:83], v84 offset0:204 offset1:221
	v_dual_sub_f32 v84, v105, v85 :: v_dual_mul_f32 v105, 0x3fb8aa3b, v107
	v_exp_f32_e32 v107, v113
	v_exp_f32_e32 v111, v111
	s_waitcnt lgkmcnt(0)
	s_delay_alu instid0(VALU_DEP_1)
	v_mul_f32_e32 v84, 0x3fb8aa3b, v84
	v_exp_f32_e32 v105, v105
	s_barrier
	buffer_gl0_inv
	v_fmac_f32_e32 v86, v111, v80
	v_sub_f32_e32 v80, v106, v85
	v_exp_f32_e32 v106, v84
	s_delay_alu instid0(VALU_DEP_2) | instskip(NEXT) | instid1(VALU_DEP_2)
	v_fmac_f32_e32 v86, v110, v81
	v_mul_f32_e32 v80, 0x3fb8aa3b, v80
	s_delay_alu instid0(VALU_DEP_2) | instskip(NEXT) | instid1(VALU_DEP_2)
	v_dual_cndmask_b32 v81, v109, v112 :: v_dual_fmac_f32 v86, v107, v82
	v_exp_f32_e32 v108, v80
	s_delay_alu instid0(VALU_DEP_1) | instskip(SKIP_2) | instid1(VALU_DEP_1)
	v_fmac_f32_e32 v86, v105, v83
	s_waitcnt_depctr 0xfff
	v_fmac_f32_e32 v86, v106, v103
	v_fmac_f32_e32 v86, v108, v104
	s_delay_alu instid0(VALU_DEP_1) | instskip(NEXT) | instid1(VALU_DEP_1)
	v_add_f32_e32 v103, 0x358637bd, v86
	v_div_scale_f32 v104, null, v103, v103, 1.0
	v_div_scale_f32 v109, vcc_lo, 1.0, v103, 1.0
	s_delay_alu instid0(VALU_DEP_2) | instskip(SKIP_2) | instid1(VALU_DEP_1)
	v_rcp_f32_e32 v113, v104
	s_waitcnt_depctr 0xfff
	v_fma_f32 v80, -v104, v113, 1.0
	v_fmac_f32_e32 v113, v80, v113
	v_cndmask_b32_e64 v80, v81, v111, s2
	v_cmp_eq_u32_e64 s2, 4, v78
	v_lshl_or_b32 v81, v78, 11, v79
	s_delay_alu instid0(VALU_DEP_4) | instskip(NEXT) | instid1(VALU_DEP_4)
	v_mul_f32_e32 v111, v109, v113
	v_cndmask_b32_e64 v82, v80, v110, s3
	v_cmp_eq_u32_e64 s3, 6, v78
	s_delay_alu instid0(VALU_DEP_4) | instskip(SKIP_3) | instid1(VALU_DEP_3)
	v_lshl_or_b32 v78, v75, 4, v81
	v_lshlrev_b32_e32 v80, 2, v75
	v_fma_f32 v83, -v104, v111, v109
	v_cndmask_b32_e64 v84, v82, v107, s2
	v_or_b32_e32 v82, 1, v80
	s_delay_alu instid0(VALU_DEP_3) | instskip(NEXT) | instid1(VALU_DEP_3)
	v_fmac_f32_e32 v111, v83, v113
	v_cndmask_b32_e64 v105, v84, v105, s4
	v_or_b32_e32 v84, 2, v80
	v_or_b32_e32 v83, 3, v80
	v_cmp_eq_u32_e64 s2, 1, v80
	v_fma_f32 v104, -v104, v111, v109
	v_cndmask_b32_e64 v105, v105, v106, s3
	v_cmp_eq_u32_e64 s8, 1, v82
	v_cmp_eq_u32_e64 s9, 1, v84
	;; [unrolled: 1-line block ×3, first 2 shown]
	v_div_fmas_f32 v104, v104, v113, v111
	v_cndmask_b32_e64 v105, v105, v108, s5
	v_cmp_eq_u32_e32 vcc_lo, 2, v80
	v_cmp_eq_u32_e64 s11, 2, v82
	v_cmp_eq_u32_e64 s13, 2, v84
	v_div_fixup_f32 v103, v104, v103, 1.0
	v_cmp_eq_u32_e64 s15, 2, v83
	v_cmp_eq_u32_e64 s17, 3, v83
	;; [unrolled: 1-line block ×4, first 2 shown]
	v_mul_f32_e32 v111, v105, v103
	v_cmp_eq_u32_e64 s16, 3, v84
	v_cmp_eq_u32_e64 s21, 4, v83
	;; [unrolled: 1-line block ×4, first 2 shown]
	v_fma_mixlo_f16 v103, v111, v88, 0
	v_fma_mixlo_f16 v104, v111, v90, 0
	;; [unrolled: 1-line block ×8, first 2 shown]
	v_fma_mixhi_f16 v103, v111, v87, 0
	v_fma_mixhi_f16 v104, v111, v89, 0
	;; [unrolled: 1-line block ×8, first 2 shown]
	ds_store_b128 v78, v[103:106]
	ds_store_b128 v78, v[107:110] offset:1024
	s_waitcnt lgkmcnt(0)
	s_barrier
	buffer_gl0_inv
	ds_load_b128 v[87:90], v81
	ds_load_b128 v[91:94], v81 offset:16
	ds_load_b128 v[95:98], v81 offset:1024
	;; [unrolled: 1-line block ×3, first 2 shown]
	v_cmp_eq_u32_e64 s20, 4, v84
	v_cmp_eq_u32_e64 s23, 5, v83
	;; [unrolled: 1-line block ×13, first 2 shown]
	s_waitcnt lgkmcnt(3)
	v_lshrrev_b32_e32 v103, 16, v87
	s_waitcnt lgkmcnt(2)
	v_lshrrev_b32_e32 v107, 16, v91
	;; [unrolled: 2-line block ×4, first 2 shown]
	v_lshrrev_b32_e32 v104, 16, v88
	v_cndmask_b32_e64 v119, v87, v103, s2
	v_cndmask_b32_e64 v120, v91, v107, s2
	;; [unrolled: 1-line block ×8, first 2 shown]
	v_lshrrev_b32_e32 v108, 16, v92
	v_cndmask_b32_e64 v103, v95, v111, s2
	v_cndmask_b32_e64 v107, v99, v115, s2
	;; [unrolled: 1-line block ×5, first 2 shown]
	v_cndmask_b32_e32 v111, v119, v88, vcc_lo
	v_cndmask_b32_e64 v119, v121, v88, s11
	v_cndmask_b32_e64 v121, v123, v88, s13
	;; [unrolled: 1-line block ×4, first 2 shown]
	v_lshrrev_b32_e32 v112, 16, v96
	v_lshrrev_b32_e32 v116, 16, v100
	v_cndmask_b32_e64 v126, v99, v115, s8
	v_cndmask_b32_e64 v128, v99, v115, s9
	;; [unrolled: 1-line block ×3, first 2 shown]
	v_cndmask_b32_e32 v115, v120, v92, vcc_lo
	v_cndmask_b32_e64 v120, v122, v92, s11
	v_cndmask_b32_e64 v122, v124, v92, s13
	v_cndmask_b32_e32 v91, v103, v96, vcc_lo
	v_cndmask_b32_e32 v92, v107, v100, vcc_lo
	v_cndmask_b32_e64 v103, v125, v96, s11
	v_cndmask_b32_e64 v87, v87, v104, s17
	;; [unrolled: 1-line block ×3, first 2 shown]
	v_lshrrev_b32_e32 v105, 16, v89
	v_lshrrev_b32_e32 v109, 16, v93
	v_cndmask_b32_e64 v107, v127, v96, s13
	v_cndmask_b32_e64 v95, v95, v96, s15
	;; [unrolled: 1-line block ×14, first 2 shown]
	v_lshrrev_b32_e32 v113, 16, v97
	v_cndmask_b32_e64 v99, v99, v89, s4
	v_cndmask_b32_e64 v104, v111, v93, s4
	v_cndmask_b32_e64 v108, v115, v89, s18
	v_cndmask_b32_e64 v111, v119, v93, s18
	v_cndmask_b32_e64 v115, v120, v89, s20
	v_cndmask_b32_e64 v119, v121, v93, s20
	v_cndmask_b32_e64 v89, v91, v97, s4
	v_cndmask_b32_e64 v91, v92, v101, s4
	v_cndmask_b32_e64 v92, v103, v97, s18
	v_cndmask_b32_e64 v87, v87, v105, s23
	v_cndmask_b32_e64 v88, v88, v109, s23
	v_lshrrev_b32_e32 v106, 16, v90
	v_lshrrev_b32_e32 v110, 16, v94
	v_cndmask_b32_e64 v93, v99, v105, s5
	v_cndmask_b32_e64 v99, v104, v109, s5
	;; [unrolled: 1-line block ×9, first 2 shown]
	v_lshrrev_b32_e32 v114, 16, v98
	v_cndmask_b32_e64 v89, v89, v113, s5
	v_cndmask_b32_e64 v93, v93, v90, s6
	;; [unrolled: 1-line block ×19, first 2 shown]
	v_perm_b32 v90, v88, v87, 0x5040100
	v_cndmask_b32_e64 v87, v126, v100, s11
	v_cndmask_b32_e64 v105, v89, v114, s7
	v_perm_b32 v89, v103, v99, 0x5040100
	v_perm_b32 v88, v104, v94, 0x5040100
	v_cndmask_b32_e64 v94, v107, v112, s16
	v_cndmask_b32_e64 v95, v95, v112, s17
	;; [unrolled: 1-line block ×5, first 2 shown]
	v_lshrrev_b32_e32 v117, 16, v101
	v_cndmask_b32_e64 v94, v94, v97, s20
	v_cndmask_b32_e64 v95, v95, v97, s21
	;; [unrolled: 1-line block ×11, first 2 shown]
	v_lshrrev_b32_e32 v118, 16, v102
	v_cndmask_b32_e64 v91, v91, v102, s6
	v_cndmask_b32_e64 v94, v94, v98, s25
	;; [unrolled: 1-line block ×12, first 2 shown]
	v_perm_b32 v87, v93, v92, 0x5040100
	v_perm_b32 v94, v95, v94, 0x5040100
	;; [unrolled: 1-line block ×5, first 2 shown]
	s_mul_i32 s6, s33, 14
	s_mov_b32 s2, exec_lo
	ds_store_b128 v78, v[87:90]
	ds_store_b128 v78, v[91:94] offset:1024
	v_cmpx_gt_u32_e32 14, v0
	s_cbranch_execz .LBB339_16
; %bb.15:
	s_mul_i32 s3, s6, s30
	s_load_b128 s[8:11], s[0:1], 0x58
	v_add3_u32 v77, s3, s31, v77
	s_delay_alu instid0(VALU_DEP_1) | instskip(NEXT) | instid1(VALU_DEP_1)
	v_mad_u64_u32 v[87:88], null, v77, s34, s[14:15]
	v_ashrrev_i32_e32 v88, 31, v87
	s_delay_alu instid0(VALU_DEP_1) | instskip(SKIP_1) | instid1(VALU_DEP_1)
	v_lshlrev_b64 v[87:88], 2, v[87:88]
	s_waitcnt lgkmcnt(0)
	v_add_co_u32 v89, vcc_lo, s10, v87
	s_delay_alu instid0(VALU_DEP_2)
	v_add_co_ci_u32_e32 v90, vcc_lo, s11, v88, vcc_lo
	v_add_co_u32 v87, vcc_lo, s8, v87
	v_add_co_ci_u32_e32 v88, vcc_lo, s9, v88, vcc_lo
	global_store_b32 v[89:90], v85, off
	global_store_b32 v[87:88], v86, off
.LBB339_16:
	s_or_b32 exec_lo, exec_lo, s2
	s_waitcnt lgkmcnt(0)
	s_waitcnt_vscnt null, 0x0
	s_barrier
	buffer_gl0_inv
	ds_load_b128 v[93:96], v79
	ds_load_b128 v[97:100], v79 offset:16
	ds_load_b128 v[105:108], v79 offset:1040
	;; [unrolled: 1-line block ×5, first 2 shown]
	v_cmp_eq_u32_e32 vcc_lo, 1, v84
	v_mov_b32_e32 v85, 0
	ds_load_b128 v[121:124], v79 offset:3088
	ds_load_b128 v[117:120], v79 offset:3072
	;; [unrolled: 1-line block ×4, first 2 shown]
	v_cmp_eq_u32_e64 s2, 1, v80
	v_cmp_eq_u32_e64 s3, 1, v83
	;; [unrolled: 1-line block ×3, first 2 shown]
	v_mov_b32_e32 v86, v85
	v_mov_b32_e32 v87, v85
	;; [unrolled: 1-line block ×7, first 2 shown]
	v_cmp_eq_u32_e64 s5, 2, v80
	s_waitcnt lgkmcnt(8)
	s_delay_alu instid0(VALU_DEP_2)
	v_wmma_f32_16x16x16_f16 v[85:92], v[65:72], v[93:100], v[85:92]
	ds_load_b128 v[69:72], v79 offset:5136
	ds_load_b128 v[65:68], v79 offset:5120
	;; [unrolled: 1-line block ×4, first 2 shown]
	s_waitcnt lgkmcnt(10)
	v_wmma_f32_16x16x16_f16 v[85:92], v[57:64], v[101:108], v[85:92]
	s_waitcnt lgkmcnt(8)
	s_delay_alu instid0(VALU_DEP_1)
	v_wmma_f32_16x16x16_f16 v[85:92], v[57:64], v[109:116], v[85:92]
	ds_load_b128 v[61:64], v79 offset:7184
	ds_load_b128 v[57:60], v79 offset:7168
	;; [unrolled: 1-line block ×4, first 2 shown]
	s_waitcnt lgkmcnt(10)
	v_wmma_f32_16x16x16_f16 v[85:92], v[49:56], v[117:124], v[85:92]
	s_waitcnt lgkmcnt(8)
	s_delay_alu instid0(VALU_DEP_1)
	v_wmma_f32_16x16x16_f16 v[85:92], v[49:56], v[125:132], v[85:92]
	ds_load_b128 v[53:56], v79 offset:9232
	ds_load_b128 v[49:52], v79 offset:9216
	s_waitcnt lgkmcnt(8)
	v_wmma_f32_16x16x16_f16 v[85:92], v[41:48], v[65:72], v[85:92]
	ds_load_b128 v[69:72], v79 offset:10256
	ds_load_b128 v[65:68], v79 offset:10240
	s_waitcnt lgkmcnt(8)
	v_wmma_f32_16x16x16_f16 v[85:92], v[41:48], v[93:100], v[85:92]
	ds_load_b128 v[45:48], v79 offset:11280
	ds_load_b128 v[41:44], v79 offset:11264
	s_waitcnt lgkmcnt(8)
	v_wmma_f32_16x16x16_f16 v[85:92], v[9:16], v[57:64], v[85:92]
	ds_load_b128 v[61:64], v79 offset:12304
	ds_load_b128 v[57:60], v79 offset:12288
	s_waitcnt lgkmcnt(8)
	v_wmma_f32_16x16x16_f16 v[85:92], v[9:16], v[101:108], v[85:92]
	ds_load_b128 v[13:16], v79 offset:13328
	ds_load_b128 v[9:12], v79 offset:13312
	s_waitcnt lgkmcnt(8)
	v_wmma_f32_16x16x16_f16 v[85:92], v[1:8], v[49:56], v[85:92]
	ds_load_b128 v[53:56], v79 offset:14352
	ds_load_b128 v[49:52], v79 offset:14336
	s_waitcnt lgkmcnt(8)
	v_wmma_f32_16x16x16_f16 v[85:92], v[1:8], v[65:72], v[85:92]
	ds_load_b128 v[5:8], v79 offset:15376
	ds_load_b128 v[1:4], v79 offset:15360
	s_waitcnt lgkmcnt(0)
	s_barrier
	buffer_gl0_inv
	v_wmma_f32_16x16x16_f16 v[85:92], v[33:40], v[41:48], v[85:92]
	s_delay_alu instid0(VALU_DEP_1) | instskip(NEXT) | instid1(VALU_DEP_1)
	v_wmma_f32_16x16x16_f16 v[85:92], v[33:40], v[57:64], v[85:92]
	v_wmma_f32_16x16x16_f16 v[85:92], v[25:32], v[9:16], v[85:92]
	s_delay_alu instid0(VALU_DEP_1) | instskip(NEXT) | instid1(VALU_DEP_1)
	v_wmma_f32_16x16x16_f16 v[85:92], v[25:32], v[49:56], v[85:92]
	v_wmma_f32_16x16x16_f16 v[85:92], v[17:24], v[1:8], v[85:92]
	s_delay_alu instid0(VALU_DEP_1) | instskip(NEXT) | instid1(VALU_DEP_2)
	v_cvt_f16_f32_e32 v1, v85
	v_cvt_f16_f32_e32 v2, v86
	s_delay_alu instid0(VALU_DEP_3) | instskip(NEXT) | instid1(VALU_DEP_4)
	v_cvt_f16_f32_e32 v3, v87
	v_cvt_f16_f32_e32 v4, v88
	;; [unrolled: 1-line block ×6, first 2 shown]
	v_pack_b32_f16 v1, v1, v2
	v_pack_b32_f16 v2, v3, v4
	;; [unrolled: 1-line block ×3, first 2 shown]
	s_delay_alu instid0(VALU_DEP_4)
	v_pack_b32_f16 v4, v7, v8
	ds_store_b128 v78, v[1:4]
	s_waitcnt lgkmcnt(0)
	s_barrier
	buffer_gl0_inv
	ds_load_b128 v[1:4], v81
	ds_load_b128 v[5:8], v81 offset:16
	s_waitcnt lgkmcnt(1)
	v_lshrrev_b32_e32 v9, 16, v1
	s_waitcnt lgkmcnt(0)
	v_lshrrev_b32_e32 v13, 16, v5
	v_lshrrev_b32_e32 v15, 16, v7
	v_lshrrev_b32_e32 v10, 16, v2
	v_lshrrev_b32_e32 v14, 16, v6
	v_cndmask_b32_e64 v17, v1, v9, s2
	v_cndmask_b32_e64 v18, v5, v13, s2
	;; [unrolled: 1-line block ×3, first 2 shown]
	v_cmp_eq_u32_e64 s2, 2, v82
	v_cndmask_b32_e64 v20, v5, v13, s4
	v_cndmask_b32_e32 v21, v1, v9, vcc_lo
	v_cndmask_b32_e32 v22, v5, v13, vcc_lo
	v_cndmask_b32_e64 v1, v1, v9, s3
	v_cndmask_b32_e64 v5, v5, v13, s3
	v_cmp_eq_u32_e32 vcc_lo, 2, v84
	v_cmp_eq_u32_e64 s3, 2, v83
	v_cndmask_b32_e64 v9, v17, v2, s5
	v_cndmask_b32_e64 v13, v18, v6, s5
	;; [unrolled: 1-line block ×4, first 2 shown]
	v_cndmask_b32_e32 v19, v21, v2, vcc_lo
	v_cmp_eq_u32_e64 s2, 3, v84
	v_cndmask_b32_e32 v20, v22, v6, vcc_lo
	v_cndmask_b32_e64 v1, v1, v2, s3
	v_cmp_eq_u32_e32 vcc_lo, 3, v83
	v_cmp_eq_u32_e64 s4, 3, v80
	v_cndmask_b32_e64 v2, v5, v6, s3
	v_cmp_eq_u32_e64 s3, 3, v82
	v_lshrrev_b32_e32 v16, 16, v8
	v_cmp_eq_u32_e64 s5, 4, v80
	v_cndmask_b32_e64 v5, v9, v10, s4
	v_cndmask_b32_e64 v6, v13, v14, s4
	;; [unrolled: 1-line block ×3, first 2 shown]
	v_cmp_eq_u32_e64 s4, 4, v82
	v_cndmask_b32_e64 v13, v18, v14, s3
	v_cndmask_b32_e64 v17, v19, v10, s2
	;; [unrolled: 1-line block ×3, first 2 shown]
	v_cndmask_b32_e32 v1, v1, v10, vcc_lo
	v_cndmask_b32_e32 v2, v2, v14, vcc_lo
	v_cmp_eq_u32_e32 vcc_lo, 4, v84
	v_cmp_eq_u32_e64 s3, 4, v83
	v_lshrrev_b32_e32 v11, 16, v3
	v_cndmask_b32_e64 v5, v5, v3, s5
	v_cndmask_b32_e64 v6, v6, v7, s5
	;; [unrolled: 1-line block ×4, first 2 shown]
	v_cndmask_b32_e32 v13, v17, v3, vcc_lo
	v_cmp_eq_u32_e64 s2, 5, v84
	v_cndmask_b32_e32 v14, v18, v7, vcc_lo
	v_cndmask_b32_e64 v1, v1, v3, s3
	v_cmp_eq_u32_e32 vcc_lo, 5, v83
	v_cmp_eq_u32_e64 s4, 5, v80
	v_cndmask_b32_e64 v2, v2, v7, s3
	v_cmp_eq_u32_e64 s3, 5, v82
	v_cmp_eq_u32_e64 s5, 6, v80
	v_cndmask_b32_e32 v1, v1, v11, vcc_lo
	v_cndmask_b32_e64 v3, v5, v11, s4
	v_cndmask_b32_e64 v5, v6, v15, s4
	v_cndmask_b32_e64 v6, v9, v11, s3
	v_cmp_eq_u32_e64 s4, 6, v82
	v_cndmask_b32_e64 v7, v10, v15, s3
	v_cndmask_b32_e64 v9, v13, v11, s2
	;; [unrolled: 1-line block ×3, first 2 shown]
	v_cndmask_b32_e32 v2, v2, v15, vcc_lo
	v_cmp_eq_u32_e32 vcc_lo, 6, v84
	v_cmp_eq_u32_e64 s2, 6, v83
	v_lshrrev_b32_e32 v12, 16, v4
	v_cndmask_b32_e64 v3, v3, v4, s5
	v_cndmask_b32_e64 v5, v5, v8, s5
	v_cndmask_b32_e64 v6, v6, v4, s4
	v_cndmask_b32_e64 v7, v7, v8, s4
	v_cndmask_b32_e32 v9, v9, v4, vcc_lo
	v_cmp_eq_u32_e64 s3, 7, v84
	v_cndmask_b32_e32 v10, v10, v8, vcc_lo
	v_cndmask_b32_e64 v1, v1, v4, s2
	v_cmp_eq_u32_e32 vcc_lo, 7, v83
	v_cndmask_b32_e64 v2, v2, v8, s2
	v_cmp_eq_u32_e64 s2, 7, v80
	v_cmp_eq_u32_e64 s4, 7, v82
	v_cndmask_b32_e32 v1, v1, v12, vcc_lo
	s_delay_alu instid0(VALU_DEP_4) | instskip(NEXT) | instid1(VALU_DEP_4)
	v_cndmask_b32_e32 v2, v2, v16, vcc_lo
	v_cndmask_b32_e64 v8, v3, v12, s2
	s_delay_alu instid0(VALU_DEP_4)
	v_cndmask_b32_e64 v6, v6, v12, s4
	v_cndmask_b32_e64 v3, v9, v12, s3
	;; [unrolled: 1-line block ×5, first 2 shown]
	v_perm_b32 v4, v2, v1, 0x5040100
	s_mov_b32 s2, exec_lo
	v_perm_b32 v3, v9, v3, 0x5040100
	v_perm_b32 v2, v7, v6, 0x5040100
	;; [unrolled: 1-line block ×3, first 2 shown]
	ds_store_b128 v78, v[1:4]
	s_waitcnt lgkmcnt(0)
	s_barrier
	buffer_gl0_inv
	v_cmpx_gt_u32_e32 32, v0
	s_cbranch_execz .LBB339_2
; %bb.17:
	s_load_b64 s[0:1], s[0:1], 0x68
	v_lshlrev_b32_e32 v0, 10, v0
	s_lshl_b32 s4, s34, 7
	v_or_b32_e32 v3, s31, v75
	s_mul_i32 s2, s4, s30
	v_lshlrev_b32_e32 v1, 4, v76
	v_lshlrev_b32_e32 v2, 6, v75
	v_and_b32_e32 v0, 0x3800, v0
	s_mul_i32 s2, s2, s6
	v_mul_lo_u32 v8, v3, s4
	s_ashr_i32 s3, s2, 31
	s_delay_alu instid0(SALU_CYCLE_1)
	s_lshl_b64 s[2:3], s[2:3], 1
	v_or3_b32 v16, v0, v1, v2
	ds_load_b128 v[0:3], v16
	ds_load_b128 v[4:7], v16 offset:128
	v_ashrrev_i32_e32 v9, 31, v8
	s_waitcnt lgkmcnt(0)
	s_add_u32 s2, s0, s2
	s_addc_u32 s3, s1, s3
	s_lshl_b32 s0, s14, 7
	s_delay_alu instid0(SALU_CYCLE_1) | instskip(SKIP_2) | instid1(SALU_CYCLE_1)
	s_ashr_i32 s1, s0, 31
	v_lshlrev_b64 v[9:10], 1, v[8:9]
	s_lshl_b64 s[0:1], s[0:1], 1
	s_add_u32 s0, s2, s0
	s_addc_u32 s1, s3, s1
	s_lshl_b32 s2, s34, 8
	v_add_co_u32 v30, vcc_lo, s0, v73
	v_add_nc_u32_e32 v11, s2, v8
	v_add_co_ci_u32_e32 v31, vcc_lo, s1, v74, vcc_lo
	s_delay_alu instid0(VALU_DEP_3) | instskip(NEXT) | instid1(VALU_DEP_3)
	v_add_co_u32 v9, vcc_lo, v30, v9
	v_add_nc_u32_e32 v8, s2, v11
	s_delay_alu instid0(VALU_DEP_3) | instskip(SKIP_1) | instid1(VALU_DEP_3)
	v_add_co_ci_u32_e32 v10, vcc_lo, v31, v10, vcc_lo
	v_ashrrev_i32_e32 v12, 31, v11
	v_add_nc_u32_e32 v13, s2, v8
	global_store_b128 v[9:10], v[0:3], off
	v_ashrrev_i32_e32 v9, 31, v8
	v_lshlrev_b64 v[11:12], 1, v[11:12]
	v_ashrrev_i32_e32 v14, 31, v13
	v_add_nc_u32_e32 v10, s2, v13
	s_delay_alu instid0(VALU_DEP_4) | instskip(NEXT) | instid1(VALU_DEP_4)
	v_lshlrev_b64 v[2:3], 1, v[8:9]
	v_add_co_u32 v0, vcc_lo, v30, v11
	s_delay_alu instid0(VALU_DEP_4)
	v_lshlrev_b64 v[8:9], 1, v[13:14]
	v_add_co_ci_u32_e32 v1, vcc_lo, v31, v12, vcc_lo
	v_ashrrev_i32_e32 v11, 31, v10
	v_add_co_u32 v22, vcc_lo, v30, v2
	v_add_nc_u32_e32 v20, s2, v10
	v_add_co_ci_u32_e32 v23, vcc_lo, v31, v3, vcc_lo
	v_add_co_u32 v24, vcc_lo, v30, v8
	global_store_b128 v[0:1], v[4:7], off
	v_add_co_ci_u32_e32 v25, vcc_lo, v31, v9, vcc_lo
	ds_load_b128 v[0:3], v16 offset:256
	ds_load_b128 v[4:7], v16 offset:384
	v_lshlrev_b64 v[26:27], 1, v[10:11]
	ds_load_b128 v[8:11], v16 offset:512
	ds_load_b128 v[12:15], v16 offset:640
	;; [unrolled: 1-line block ×3, first 2 shown]
	v_add_nc_u32_e32 v28, s2, v20
	v_ashrrev_i32_e32 v21, 31, v20
	v_add_co_u32 v26, vcc_lo, v30, v26
	s_delay_alu instid0(VALU_DEP_3) | instskip(NEXT) | instid1(VALU_DEP_3)
	v_ashrrev_i32_e32 v29, 31, v28
	v_lshlrev_b64 v[20:21], 1, v[20:21]
	v_add_co_ci_u32_e32 v27, vcc_lo, v31, v27, vcc_lo
	s_delay_alu instid0(VALU_DEP_3) | instskip(NEXT) | instid1(VALU_DEP_3)
	v_lshlrev_b64 v[28:29], 1, v[28:29]
	v_add_co_u32 v20, vcc_lo, v30, v20
	s_delay_alu instid0(VALU_DEP_4) | instskip(NEXT) | instid1(VALU_DEP_3)
	v_add_co_ci_u32_e32 v21, vcc_lo, v31, v21, vcc_lo
	v_add_co_u32 v28, vcc_lo, v30, v28
	s_delay_alu instid0(VALU_DEP_4)
	v_add_co_ci_u32_e32 v29, vcc_lo, v31, v29, vcc_lo
	s_waitcnt lgkmcnt(4)
	global_store_b128 v[22:23], v[0:3], off
	s_waitcnt lgkmcnt(3)
	global_store_b128 v[24:25], v[4:7], off
	;; [unrolled: 2-line block ×5, first 2 shown]
	s_nop 0
	s_sendmsg sendmsg(MSG_DEALLOC_VGPRS)
	s_endpgm
	.section	.rodata,"a",@progbits
	.p2align	6, 0x0
	.amdhsa_kernel _Z39paged_attention_ll4mi_QKV_mfma16_kernelIDF16_DF16_LN4vllm18Fp8KVCacheDataTypeE0EhLi32ELi128ELi256ELb0ELi14EL8MFMAType0EEvPKT_PKT0_S8_ifPKiSA_SA_iPKfiiiPfSD_PS3_PT2_iSC_SC_
		.amdhsa_group_segment_fixed_size 17472
		.amdhsa_private_segment_fixed_size 0
		.amdhsa_kernarg_size 400
		.amdhsa_user_sgpr_count 13
		.amdhsa_user_sgpr_dispatch_ptr 0
		.amdhsa_user_sgpr_queue_ptr 0
		.amdhsa_user_sgpr_kernarg_segment_ptr 1
		.amdhsa_user_sgpr_dispatch_id 0
		.amdhsa_user_sgpr_private_segment_size 0
		.amdhsa_wavefront_size32 1
		.amdhsa_uses_dynamic_stack 0
		.amdhsa_enable_private_segment 0
		.amdhsa_system_sgpr_workgroup_id_x 1
		.amdhsa_system_sgpr_workgroup_id_y 1
		.amdhsa_system_sgpr_workgroup_id_z 1
		.amdhsa_system_sgpr_workgroup_info 0
		.amdhsa_system_vgpr_workitem_id 0
		.amdhsa_next_free_vgpr 172
		.amdhsa_next_free_sgpr 38
		.amdhsa_reserve_vcc 1
		.amdhsa_float_round_mode_32 0
		.amdhsa_float_round_mode_16_64 0
		.amdhsa_float_denorm_mode_32 3
		.amdhsa_float_denorm_mode_16_64 3
		.amdhsa_dx10_clamp 1
		.amdhsa_ieee_mode 1
		.amdhsa_fp16_overflow 0
		.amdhsa_workgroup_processor_mode 1
		.amdhsa_memory_ordered 1
		.amdhsa_forward_progress 0
		.amdhsa_shared_vgpr_count 0
		.amdhsa_exception_fp_ieee_invalid_op 0
		.amdhsa_exception_fp_denorm_src 0
		.amdhsa_exception_fp_ieee_div_zero 0
		.amdhsa_exception_fp_ieee_overflow 0
		.amdhsa_exception_fp_ieee_underflow 0
		.amdhsa_exception_fp_ieee_inexact 0
		.amdhsa_exception_int_div_zero 0
	.end_amdhsa_kernel
	.section	.text._Z39paged_attention_ll4mi_QKV_mfma16_kernelIDF16_DF16_LN4vllm18Fp8KVCacheDataTypeE0EhLi32ELi128ELi256ELb0ELi14EL8MFMAType0EEvPKT_PKT0_S8_ifPKiSA_SA_iPKfiiiPfSD_PS3_PT2_iSC_SC_,"axG",@progbits,_Z39paged_attention_ll4mi_QKV_mfma16_kernelIDF16_DF16_LN4vllm18Fp8KVCacheDataTypeE0EhLi32ELi128ELi256ELb0ELi14EL8MFMAType0EEvPKT_PKT0_S8_ifPKiSA_SA_iPKfiiiPfSD_PS3_PT2_iSC_SC_,comdat
.Lfunc_end339:
	.size	_Z39paged_attention_ll4mi_QKV_mfma16_kernelIDF16_DF16_LN4vllm18Fp8KVCacheDataTypeE0EhLi32ELi128ELi256ELb0ELi14EL8MFMAType0EEvPKT_PKT0_S8_ifPKiSA_SA_iPKfiiiPfSD_PS3_PT2_iSC_SC_, .Lfunc_end339-_Z39paged_attention_ll4mi_QKV_mfma16_kernelIDF16_DF16_LN4vllm18Fp8KVCacheDataTypeE0EhLi32ELi128ELi256ELb0ELi14EL8MFMAType0EEvPKT_PKT0_S8_ifPKiSA_SA_iPKfiiiPfSD_PS3_PT2_iSC_SC_
                                        ; -- End function
	.section	.AMDGPU.csdata,"",@progbits
; Kernel info:
; codeLenInByte = 7660
; NumSgprs: 40
; NumVgprs: 172
; ScratchSize: 0
; MemoryBound: 0
; FloatMode: 240
; IeeeMode: 1
; LDSByteSize: 17472 bytes/workgroup (compile time only)
; SGPRBlocks: 4
; VGPRBlocks: 21
; NumSGPRsForWavesPerEU: 40
; NumVGPRsForWavesPerEU: 172
; Occupancy: 8
; WaveLimiterHint : 1
; COMPUTE_PGM_RSRC2:SCRATCH_EN: 0
; COMPUTE_PGM_RSRC2:USER_SGPR: 13
; COMPUTE_PGM_RSRC2:TRAP_HANDLER: 0
; COMPUTE_PGM_RSRC2:TGID_X_EN: 1
; COMPUTE_PGM_RSRC2:TGID_Y_EN: 1
; COMPUTE_PGM_RSRC2:TGID_Z_EN: 1
; COMPUTE_PGM_RSRC2:TIDIG_COMP_CNT: 0
	.section	.text._Z39paged_attention_ll4mi_QKV_mfma16_kernelIDF16_DF16_LN4vllm18Fp8KVCacheDataTypeE0EhLi32ELi128ELi256ELb0ELi15EL8MFMAType0EEvPKT_PKT0_S8_ifPKiSA_SA_iPKfiiiPfSD_PS3_PT2_iSC_SC_,"axG",@progbits,_Z39paged_attention_ll4mi_QKV_mfma16_kernelIDF16_DF16_LN4vllm18Fp8KVCacheDataTypeE0EhLi32ELi128ELi256ELb0ELi15EL8MFMAType0EEvPKT_PKT0_S8_ifPKiSA_SA_iPKfiiiPfSD_PS3_PT2_iSC_SC_,comdat
	.protected	_Z39paged_attention_ll4mi_QKV_mfma16_kernelIDF16_DF16_LN4vllm18Fp8KVCacheDataTypeE0EhLi32ELi128ELi256ELb0ELi15EL8MFMAType0EEvPKT_PKT0_S8_ifPKiSA_SA_iPKfiiiPfSD_PS3_PT2_iSC_SC_ ; -- Begin function _Z39paged_attention_ll4mi_QKV_mfma16_kernelIDF16_DF16_LN4vllm18Fp8KVCacheDataTypeE0EhLi32ELi128ELi256ELb0ELi15EL8MFMAType0EEvPKT_PKT0_S8_ifPKiSA_SA_iPKfiiiPfSD_PS3_PT2_iSC_SC_
	.globl	_Z39paged_attention_ll4mi_QKV_mfma16_kernelIDF16_DF16_LN4vllm18Fp8KVCacheDataTypeE0EhLi32ELi128ELi256ELb0ELi15EL8MFMAType0EEvPKT_PKT0_S8_ifPKiSA_SA_iPKfiiiPfSD_PS3_PT2_iSC_SC_
	.p2align	8
	.type	_Z39paged_attention_ll4mi_QKV_mfma16_kernelIDF16_DF16_LN4vllm18Fp8KVCacheDataTypeE0EhLi32ELi128ELi256ELb0ELi15EL8MFMAType0EEvPKT_PKT0_S8_ifPKiSA_SA_iPKfiiiPfSD_PS3_PT2_iSC_SC_,@function
_Z39paged_attention_ll4mi_QKV_mfma16_kernelIDF16_DF16_LN4vllm18Fp8KVCacheDataTypeE0EhLi32ELi128ELi256ELb0ELi15EL8MFMAType0EEvPKT_PKT0_S8_ifPKiSA_SA_iPKfiiiPfSD_PS3_PT2_iSC_SC_: ; @_Z39paged_attention_ll4mi_QKV_mfma16_kernelIDF16_DF16_LN4vllm18Fp8KVCacheDataTypeE0EhLi32ELi128ELi256ELb0ELi15EL8MFMAType0EEvPKT_PKT0_S8_ifPKiSA_SA_iPKfiiiPfSD_PS3_PT2_iSC_SC_
; %bb.0:
	s_load_b64 s[2:3], s[0:1], 0x30
	s_mov_b32 s34, s13
	s_waitcnt lgkmcnt(0)
	s_cmp_lg_u64 s[2:3], 0
	s_cselect_b32 s6, -1, 0
	s_ashr_i32 s35, s13, 31
	s_cmp_eq_u64 s[2:3], 0
	s_cbranch_scc1 .LBB340_3
; %bb.1:
	s_lshl_b64 s[4:5], s[34:35], 2
	s_delay_alu instid0(SALU_CYCLE_1) | instskip(SKIP_4) | instid1(SALU_CYCLE_1)
	s_add_u32 s4, s2, s4
	s_addc_u32 s5, s3, s5
	s_load_b64 s[4:5], s[4:5], 0x0
	s_waitcnt lgkmcnt(0)
	s_sub_i32 s4, s5, s4
	s_cmp_eq_u32 s4, 1
	s_cselect_b32 s4, -1, 0
	s_delay_alu instid0(SALU_CYCLE_1)
	s_and_not1_b32 vcc_lo, exec_lo, s4
	s_cbranch_vccz .LBB340_4
.LBB340_2:
	s_nop 0
	s_sendmsg sendmsg(MSG_DEALLOC_VGPRS)
	s_endpgm
.LBB340_3:
.LBB340_4:
	s_load_b64 s[8:9], s[0:1], 0x28
	s_lshl_b64 s[4:5], s[34:35], 2
	s_waitcnt lgkmcnt(0)
	s_add_u32 s8, s8, s4
	s_addc_u32 s9, s9, s5
	s_lshl_b32 s12, s14, 8
	s_load_b32 s17, s[8:9], 0x0
	s_waitcnt lgkmcnt(0)
	s_cmp_ge_i32 s12, s17
	s_cbranch_scc1 .LBB340_2
; %bb.5:
	s_and_not1_b32 vcc_lo, exec_lo, s6
	s_cbranch_vccnz .LBB340_7
; %bb.6:
	s_add_u32 s2, s2, s4
	s_addc_u32 s3, s3, s5
	s_load_b32 s13, s[2:3], 0x0
	s_branch .LBB340_8
.LBB340_7:
	s_mov_b32 s13, s34
.LBB340_8:
	s_clause 0x2
	s_load_b128 s[8:11], s[0:1], 0x8
	s_load_b64 s[2:3], s[0:1], 0x20
	s_load_b128 s[4:7], s[0:1], 0x48
	v_lshrrev_b32_e32 v78, 5, v0
	v_bfe_u32 v75, v0, 4, 1
	v_and_b32_e32 v77, 15, v0
	s_waitcnt lgkmcnt(0)
	s_mov_b32 s7, exec_lo
	s_delay_alu instid0(VALU_DEP_2) | instskip(NEXT) | instid1(VALU_DEP_2)
	v_lshl_or_b32 v3, v78, 1, v75
	v_lshlrev_b32_e32 v1, 3, v77
	s_delay_alu instid0(VALU_DEP_2)
	v_cmpx_lt_u32_e32 14, v3
	s_xor_b32 s7, exec_lo, s7
; %bb.9:
	v_mov_b32_e32 v2, 0
                                        ; implicit-def: $vgpr3
; %bb.10:
	s_or_saveexec_b32 s7, s7
	v_and_b32_e32 v80, 31, v0
	v_and_b32_e32 v76, 1, v0
	s_mul_i32 s31, s15, 15
	s_xor_b32 exec_lo, exec_lo, s7
	s_cbranch_execz .LBB340_12
; %bb.11:
	s_load_b64 s[18:19], s[0:1], 0x0
	v_add_lshl_u32 v4, v3, s31, 7
	s_mul_hi_i32 s21, s13, s4
	s_mul_i32 s20, s13, s4
	v_lshlrev_b32_e32 v2, 1, v1
	s_lshl_b64 s[20:21], s[20:21], 1
	v_ashrrev_i32_e32 v5, 31, v4
	v_lshlrev_b32_e32 v3, 6, v3
	v_lshlrev_b32_e32 v8, 10, v76
	s_delay_alu instid0(VALU_DEP_3) | instskip(SKIP_3) | instid1(VALU_DEP_1)
	v_lshlrev_b64 v[4:5], 1, v[4:5]
	s_waitcnt lgkmcnt(0)
	s_add_u32 s4, s18, s20
	s_addc_u32 s13, s19, s21
	v_add_co_u32 v4, vcc_lo, s4, v4
	s_delay_alu instid0(VALU_DEP_2) | instskip(NEXT) | instid1(VALU_DEP_2)
	v_add_co_ci_u32_e32 v5, vcc_lo, s13, v5, vcc_lo
	v_add_co_u32 v4, vcc_lo, v4, v2
	s_delay_alu instid0(VALU_DEP_2) | instskip(SKIP_3) | instid1(VALU_DEP_1)
	v_add_co_ci_u32_e32 v5, vcc_lo, 0, v5, vcc_lo
	v_lshlrev_b32_e32 v2, 10, v77
	global_load_b128 v[4:7], v[4:5], off
	v_and_b32_e32 v2, 0x3800, v2
	v_or3_b32 v3, v2, v8, v3
	v_mov_b32_e32 v2, 0
	s_waitcnt vmcnt(0)
	ds_store_b128 v3, v[4:7]
.LBB340_12:
	s_or_b32 exec_lo, exec_lo, s7
	v_and_b32_e32 v3, 0xef, v0
	s_add_i32 s4, s17, 31
	s_clause 0x1
	s_load_b32 s7, s[0:1], 0x38
	s_load_b32 s33, s[0:1], 0x98
	s_ashr_i32 s13, s4, 31
	v_add_nc_u32_e32 v3, s12, v3
	s_lshr_b32 s13, s13, 27
	s_load_b32 s18, s[0:1], 0x1c
	s_add_i32 s4, s4, s13
	s_waitcnt lgkmcnt(0)
	v_ashrrev_i32_e32 v4, 31, v3
	v_cmp_gt_i32_e32 vcc_lo, s17, v3
	s_ashr_i32 s4, s4, 5
	s_barrier
	s_add_i32 s4, s4, -1
	v_lshrrev_b32_e32 v5, 27, v4
	v_or_b32_e32 v4, 16, v3
	buffer_gl0_inv
	v_lshlrev_b64 v[73:74], 1, v[1:2]
	v_lshlrev_b32_e32 v79, 6, v77
	v_add_nc_u32_e32 v6, v3, v5
	v_add_nc_u32_e32 v5, v4, v5
	s_mul_i32 s20, s34, s7
	s_delay_alu instid0(SALU_CYCLE_1) | instskip(NEXT) | instid1(VALU_DEP_2)
	s_ashr_i32 s21, s20, 31
	v_ashrrev_i32_e32 v6, 5, v6
	s_delay_alu instid0(VALU_DEP_2) | instskip(SKIP_1) | instid1(SALU_CYCLE_1)
	v_ashrrev_i32_e32 v5, 5, v5
	s_lshl_b64 s[20:21], s[20:21], 2
	s_add_u32 s13, s2, s20
	s_delay_alu instid0(VALU_DEP_2) | instskip(SKIP_3) | instid1(SALU_CYCLE_1)
	v_cndmask_b32_e32 v3, s4, v6, vcc_lo
	v_cmp_gt_i32_e32 vcc_lo, s17, v4
	s_addc_u32 s16, s3, s21
	s_mul_i32 s2, s15, s6
	s_ashr_i32 s3, s2, 31
	v_cndmask_b32_e32 v5, s4, v5, vcc_lo
	v_ashrrev_i32_e32 v4, 31, v3
	s_lshl_b64 s[2:3], s[2:3], 1
	s_delay_alu instid0(SALU_CYCLE_1) | instskip(NEXT) | instid1(VALU_DEP_2)
	s_add_u32 s15, s8, s2
	v_ashrrev_i32_e32 v6, 31, v5
	s_delay_alu instid0(VALU_DEP_2) | instskip(SKIP_2) | instid1(VALU_DEP_2)
	v_lshlrev_b64 v[3:4], 2, v[3:4]
	s_addc_u32 s19, s9, s3
	s_lshl_b32 s6, s14, 3
	v_lshlrev_b64 v[5:6], 2, v[5:6]
	s_ashr_i32 s7, s6, 31
	s_delay_alu instid0(VALU_DEP_2) | instskip(SKIP_1) | instid1(VALU_DEP_3)
	v_add_co_u32 v3, vcc_lo, s13, v3
	v_add_co_ci_u32_e32 v4, vcc_lo, s16, v4, vcc_lo
	v_add_co_u32 v5, vcc_lo, s13, v5
	s_delay_alu instid0(VALU_DEP_4)
	v_add_co_ci_u32_e32 v6, vcc_lo, s16, v6, vcc_lo
	s_lshl_b64 s[6:7], s[6:7], 2
	s_clause 0x1
	global_load_b32 v7, v[3:4], off
	global_load_b32 v8, v[5:6], off
	s_add_u32 s6, s13, s6
	s_addc_u32 s7, s16, s7
	s_or_b32 s8, s12, 32
	s_delay_alu instid0(SALU_CYCLE_1) | instskip(SKIP_2) | instid1(SALU_CYCLE_1)
	s_ashr_i32 s9, s8, 5
	s_cmp_lt_i32 s8, s17
	s_cselect_b32 s8, s9, s4
	s_ashr_i32 s9, s8, 31
	s_delay_alu instid0(SALU_CYCLE_1) | instskip(NEXT) | instid1(SALU_CYCLE_1)
	s_lshl_b64 s[8:9], s[8:9], 2
	s_add_u32 s8, s13, s8
	s_addc_u32 s9, s16, s9
	s_or_b32 s20, s12, 64
	s_delay_alu instid0(SALU_CYCLE_1) | instskip(SKIP_2) | instid1(SALU_CYCLE_1)
	s_ashr_i32 s21, s20, 5
	s_cmp_lt_i32 s20, s17
	s_cselect_b32 s20, s21, s4
	s_ashr_i32 s21, s20, 31
	s_delay_alu instid0(SALU_CYCLE_1) | instskip(NEXT) | instid1(SALU_CYCLE_1)
	s_lshl_b64 s[20:21], s[20:21], 2
	;; [unrolled: 10-line block ×5, first 2 shown]
	s_add_u32 s26, s13, s26
	s_addc_u32 s27, s16, s27
	s_clause 0x5
	s_load_b32 s28, s[6:7], 0x0
	s_load_b32 s29, s[8:9], 0x0
	;; [unrolled: 1-line block ×6, first 2 shown]
	s_mov_b32 s20, 0
	s_or_b32 s6, s12, 0xc0
	s_mov_b32 s21, s20
	s_mov_b32 s22, s20
	;; [unrolled: 1-line block ×7, first 2 shown]
	s_ashr_i32 s7, s6, 5
	v_mov_b32_e32 v128, s27
	s_cmp_lt_i32 s6, s17
	v_mov_b32_e32 v127, s26
	s_cselect_b32 s6, s7, s4
	v_mov_b32_e32 v126, s25
	s_ashr_i32 s7, s6, 31
	v_mov_b32_e32 v125, s24
	s_lshl_b64 s[6:7], s[6:7], 2
	v_mov_b32_e32 v124, s23
	s_add_u32 s6, s13, s6
	s_addc_u32 s7, s16, s7
	v_mov_b32_e32 v123, s22
	v_mov_b32_e32 v121, s20
	s_waitcnt lgkmcnt(0)
	s_mul_hi_i32 s9, s28, s5
	s_mul_i32 s8, s28, s5
	s_mul_hi_i32 s37, s38, s5
	v_mov_b32_e32 v122, s21
	s_mul_hi_i32 s21, s29, s5
	s_mul_i32 s20, s29, s5
	s_mul_hi_i32 s25, s30, s5
	s_mul_i32 s24, s30, s5
	;; [unrolled: 2-line block ×3, first 2 shown]
	s_waitcnt vmcnt(1)
	v_mad_i64_i32 v[3:4], null, v7, s5, 0
	s_waitcnt vmcnt(0)
	v_mad_i64_i32 v[5:6], null, v8, s5, 0
	s_delay_alu instid0(VALU_DEP_2) | instskip(NEXT) | instid1(VALU_DEP_2)
	v_lshlrev_b64 v[3:4], 1, v[3:4]
	v_lshlrev_b64 v[1:2], 1, v[5:6]
	s_delay_alu instid0(VALU_DEP_2) | instskip(NEXT) | instid1(VALU_DEP_3)
	v_add_co_u32 v3, vcc_lo, s15, v3
	v_add_co_ci_u32_e32 v4, vcc_lo, s19, v4, vcc_lo
	s_delay_alu instid0(VALU_DEP_3) | instskip(NEXT) | instid1(VALU_DEP_4)
	v_add_co_u32 v1, vcc_lo, s15, v1
	v_add_co_ci_u32_e32 v2, vcc_lo, s19, v2, vcc_lo
	s_delay_alu instid0(VALU_DEP_4) | instskip(NEXT) | instid1(VALU_DEP_4)
	v_add_co_u32 v65, vcc_lo, v3, v73
	v_add_co_ci_u32_e32 v66, vcc_lo, v4, v74, vcc_lo
	s_delay_alu instid0(VALU_DEP_4) | instskip(NEXT) | instid1(VALU_DEP_4)
	v_add_co_u32 v67, vcc_lo, v1, v73
	v_add_co_ci_u32_e32 v68, vcc_lo, v2, v74, vcc_lo
	s_clause 0xf
	global_load_b128 v[1:4], v[65:66], off
	global_load_b128 v[5:8], v[65:66], off offset:512
	global_load_b128 v[9:12], v[67:68], off offset:256
	;; [unrolled: 1-line block ×15, first 2 shown]
	v_add_co_u32 v157, vcc_lo, 0x1000, v65
	v_add_co_ci_u32_e32 v158, vcc_lo, 0, v66, vcc_lo
	v_add_co_u32 v165, vcc_lo, 0x1000, v67
	v_add_co_ci_u32_e32 v166, vcc_lo, 0, v68, vcc_lo
	s_clause 0x7
	global_load_b128 v[81:84], v[157:158], off
	global_load_b128 v[85:88], v[157:158], off offset:512
	global_load_b128 v[89:92], v[165:166], off offset:256
	;; [unrolled: 1-line block ×7, first 2 shown]
	v_cmp_ne_u32_e32 vcc_lo, 15, v77
	s_or_b32 s15, s12, 0xe0
	s_delay_alu instid0(SALU_CYCLE_1) | instskip(SKIP_3) | instid1(SALU_CYCLE_1)
	s_ashr_i32 s19, s15, 5
	s_cmp_lt_i32 s15, s17
	v_cndmask_b32_e32 v65, 0, v77, vcc_lo
	s_cselect_b32 s22, s19, s4
	s_ashr_i32 s23, s22, 31
	s_delay_alu instid0(VALU_DEP_1)
	v_lshlrev_b32_e32 v169, 6, v65
	ds_load_b128 v[65:68], v169
	ds_load_b128 v[69:72], v169 offset:1024
	s_clause 0x1
	global_load_b128 v[113:116], v[157:158], off offset:2048
	global_load_b128 v[117:120], v[157:158], off offset:2560
	ds_load_b128 v[129:132], v169 offset:2048
	ds_load_b128 v[133:136], v169 offset:3072
	s_clause 0x5
	global_load_b128 v[145:148], v[165:166], off offset:2304
	global_load_b128 v[149:152], v[165:166], off offset:2816
	global_load_b128 v[153:156], v[157:158], off offset:3072
	global_load_b128 v[157:160], v[157:158], off offset:3584
	global_load_b128 v[161:164], v[165:166], off offset:3328
	global_load_b128 v[165:168], v[165:166], off offset:3840
	s_lshl_b64 s[22:23], s[22:23], 2
	s_delay_alu instid0(SALU_CYCLE_1) | instskip(SKIP_2) | instid1(SALU_CYCLE_1)
	s_add_u32 s22, s13, s22
	s_addc_u32 s23, s16, s23
	s_add_i32 s15, s12, 0x100
	s_ashr_i32 s19, s15, 5
	s_cmp_lt_i32 s15, s17
	s_cselect_b32 s28, s19, s4
	s_delay_alu instid0(SALU_CYCLE_1) | instskip(NEXT) | instid1(SALU_CYCLE_1)
	s_ashr_i32 s29, s28, 31
	s_lshl_b64 s[28:29], s[28:29], 2
	s_delay_alu instid0(SALU_CYCLE_1)
	s_add_u32 s28, s13, s28
	s_addc_u32 s29, s16, s29
	s_add_u32 s4, s10, s2
	s_addc_u32 s19, s11, s3
	s_lshl_b64 s[2:3], s[8:9], 1
	s_lshl_b64 s[8:9], s[20:21], 1
	;; [unrolled: 1-line block ×4, first 2 shown]
	s_waitcnt vmcnt(30) lgkmcnt(2)
	v_wmma_f32_16x16x16_f16 v[137:144], v[1:8], v[65:72], v[121:128]
	ds_load_b128 v[1:4], v169 offset:4096
	ds_load_b128 v[5:8], v169 offset:5120
	s_waitcnt vmcnt(28)
	v_wmma_f32_16x16x16_f16 v[121:128], v[9:16], v[65:72], v[121:128]
	ds_load_b128 v[9:12], v169 offset:6144
	ds_load_b128 v[13:16], v169 offset:7168
	s_waitcnt vmcnt(26) lgkmcnt(4)
	v_wmma_f32_16x16x16_f16 v[137:144], v[17:24], v[129:136], v[137:144]
	ds_load_b128 v[17:20], v169 offset:8192
	ds_load_b128 v[21:24], v169 offset:9216
	s_waitcnt vmcnt(24)
	v_wmma_f32_16x16x16_f16 v[121:128], v[25:32], v[129:136], v[121:128]
	v_lshl_or_b32 v25, v78, 10, v79
	ds_load_b128 v[129:132], v169 offset:10240
	ds_load_b128 v[133:136], v169 offset:11264
	s_clause 0x2
	s_load_b32 s15, s[6:7], 0x0
	s_load_b32 s13, s[22:23], 0x0
	;; [unrolled: 1-line block ×3, first 2 shown]
	s_mul_hi_i32 s7, s36, s5
	v_add_co_u32 v170, s4, s4, v25
	s_delay_alu instid0(VALU_DEP_1)
	v_add_co_ci_u32_e64 v171, null, s19, 0, s4
	s_mul_i32 s6, s36, s5
	s_mul_i32 s36, s38, s5
	s_lshl_b64 s[6:7], s[6:7], 1
	s_lshl_b64 s[22:23], s[36:37], 1
	s_waitcnt vmcnt(22) lgkmcnt(0)
	v_wmma_f32_16x16x16_f16 v[137:144], v[33:40], v[1:8], v[137:144]
	s_waitcnt vmcnt(20)
	v_wmma_f32_16x16x16_f16 v[121:128], v[41:48], v[1:8], v[121:128]
	v_add_co_u32 v1, vcc_lo, v170, s2
	v_add_co_ci_u32_e32 v2, vcc_lo, s3, v171, vcc_lo
	v_add_co_u32 v3, vcc_lo, v170, s8
	v_add_co_ci_u32_e32 v4, vcc_lo, s9, v171, vcc_lo
	;; [unrolled: 2-line block ×4, first 2 shown]
	v_add_co_u32 v25, vcc_lo, v170, s6
	s_mul_hi_i32 s25, s15, s5
	s_mul_i32 s24, s15, s5
	v_add_co_ci_u32_e32 v26, vcc_lo, s7, v171, vcc_lo
	v_add_co_u32 v27, vcc_lo, v170, s22
	s_lshl_b64 s[24:25], s[24:25], 1
	s_waitcnt vmcnt(18)
	v_wmma_f32_16x16x16_f16 v[137:144], v[49:56], v[9:16], v[137:144]
	s_waitcnt vmcnt(16)
	v_wmma_f32_16x16x16_f16 v[121:128], v[57:64], v[9:16], v[121:128]
	v_add_co_ci_u32_e32 v28, vcc_lo, s23, v171, vcc_lo
	s_mul_hi_i32 s3, s13, s5
	s_mul_i32 s2, s13, s5
	v_add_co_u32 v29, vcc_lo, v170, s24
	s_lshl_b64 s[2:3], s[2:3], 1
	v_add_co_ci_u32_e32 v30, vcc_lo, s25, v171, vcc_lo
	s_waitcnt vmcnt(14)
	v_wmma_f32_16x16x16_f16 v[137:144], v[81:88], v[17:24], v[137:144]
	s_waitcnt vmcnt(12)
	v_wmma_f32_16x16x16_f16 v[121:128], v[89:96], v[17:24], v[121:128]
	v_add_co_u32 v17, vcc_lo, v170, s2
	v_add_co_ci_u32_e32 v18, vcc_lo, s3, v171, vcc_lo
	s_mul_hi_i32 s3, s16, s5
	s_mul_i32 s2, s16, s5
	s_clause 0x5
	global_load_b128 v[65:68], v[1:2], off
	global_load_b128 v[69:72], v[1:2], off offset:16
	global_load_b128 v[57:60], v[3:4], off
	global_load_b128 v[61:64], v[3:4], off offset:16
	;; [unrolled: 2-line block ×3, first 2 shown]
	s_lshl_b64 s[2:3], s[2:3], 1
	s_clause 0x1
	global_load_b128 v[41:44], v[7:8], off
	global_load_b128 v[45:48], v[7:8], off offset:16
	v_add_co_u32 v21, vcc_lo, v170, s2
	v_add_co_ci_u32_e32 v22, vcc_lo, s3, v171, vcc_lo
	s_clause 0x9
	global_load_b128 v[9:12], v[25:26], off
	global_load_b128 v[13:16], v[25:26], off offset:16
	global_load_b128 v[1:4], v[27:28], off
	global_load_b128 v[5:8], v[27:28], off offset:16
	;; [unrolled: 2-line block ×5, first 2 shown]
	ds_load_b128 v[81:84], v169 offset:12288
	ds_load_b128 v[85:88], v169 offset:13312
	v_and_b32_e32 v89, 0xe0, v0
	s_waitcnt vmcnt(28)
	v_wmma_f32_16x16x16_f16 v[137:144], v[97:104], v[129:136], v[137:144]
	v_mbcnt_lo_u32_b32 v97, -1, 0
	s_waitcnt vmcnt(26)
	v_wmma_f32_16x16x16_f16 v[121:128], v[105:112], v[129:136], v[121:128]
	v_add_nc_u32_e32 v98, s12, v89
	ds_load_b128 v[89:92], v169 offset:14336
	ds_load_b128 v[93:96], v169 offset:15360
	v_xor_b32_e32 v99, 16, v97
	s_waitcnt vmcnt(0) lgkmcnt(0)
	s_barrier
	v_or_b32_e32 v98, v98, v75
	buffer_gl0_inv
	v_cmp_gt_i32_e32 vcc_lo, 32, v99
	v_or_b32_e32 v100, 4, v98
	v_or_b32_e32 v101, 22, v98
	;; [unrolled: 1-line block ×4, first 2 shown]
	v_wmma_f32_16x16x16_f16 v[137:144], v[113:120], v[81:88], v[137:144]
	v_wmma_f32_16x16x16_f16 v[121:128], v[145:152], v[81:88], v[121:128]
	v_or_b32_e32 v81, 6, v98
	v_or_b32_e32 v82, 8, v98
	;; [unrolled: 1-line block ×3, first 2 shown]
	v_cmp_gt_i32_e64 s3, s17, v100
	v_or_b32_e32 v84, 12, v98
	v_wmma_f32_16x16x16_f16 v[137:144], v[153:160], v[89:96], v[137:144]
	v_wmma_f32_16x16x16_f16 v[121:128], v[161:168], v[89:96], v[121:128]
	v_cndmask_b32_e32 v97, v97, v99, vcc_lo
	v_or_b32_e32 v99, 2, v98
	v_cmp_gt_i32_e32 vcc_lo, s17, v98
	v_dual_mul_f32 v95, s18, v138 :: v_dual_mul_f32 v96, s18, v137
	v_mul_f32_e32 v93, s18, v140
	s_delay_alu instid0(VALU_DEP_4)
	v_cmp_gt_i32_e64 s2, s17, v99
	v_mul_f32_e32 v94, s18, v139
	v_mul_f32_e32 v108, s18, v126
	v_cndmask_b32_e32 v96, 0xff7fffff, v96, vcc_lo
	v_cmp_gt_i32_e64 s4, s17, v81
	v_cndmask_b32_e64 v95, 0xff7fffff, v95, s2
	v_or_b32_e32 v85, 14, v98
	v_dual_mul_f32 v91, s18, v142 :: v_dual_mul_f32 v110, s18, v124
	v_mul_f32_e32 v92, s18, v141
	v_cndmask_b32_e64 v94, 0xff7fffff, v94, s3
	v_cndmask_b32_e64 v81, 0xff7fffff, v93, s4
	v_max3_f32 v93, v96, 0xff7fffff, v95
	v_cmp_gt_i32_e64 s5, s17, v82
	v_cmp_gt_i32_e64 s6, s17, v83
	v_or_b32_e32 v86, 16, v98
	v_or_b32_e32 v87, 18, v98
	v_dual_mul_f32 v89, s18, v144 :: v_dual_mul_f32 v112, s18, v122
	v_mul_f32_e32 v90, s18, v143
	v_cndmask_b32_e64 v82, 0xff7fffff, v92, s5
	v_cndmask_b32_e64 v83, 0xff7fffff, v91, s6
	v_max3_f32 v81, v93, v94, v81
	v_cmp_gt_i32_e64 s7, s17, v84
	v_cmp_gt_i32_e64 s8, s17, v85
	v_or_b32_e32 v88, 20, v98
	v_mul_f32_e32 v113, s18, v121
	v_max3_f32 v81, v81, v82, v83
	v_cndmask_b32_e64 v84, 0xff7fffff, v90, s7
	v_cndmask_b32_e64 v85, 0xff7fffff, v89, s8
	v_cmp_gt_i32_e64 s9, s17, v86
	v_cmp_gt_i32_e64 s10, s17, v87
	v_mul_f32_e32 v111, s18, v123
	v_cmp_gt_i32_e64 s11, s17, v88
	v_max3_f32 v81, v81, v84, v85
	v_cndmask_b32_e64 v82, 0xff7fffff, v113, s9
	v_cndmask_b32_e64 v83, 0xff7fffff, v112, s10
	v_cmp_gt_i32_e64 s12, s17, v101
	v_or_b32_e32 v104, 28, v98
	v_or_b32_e32 v105, 30, v98
	v_mul_f32_e32 v109, s18, v125
	v_cndmask_b32_e64 v84, 0xff7fffff, v111, s11
	v_cndmask_b32_e64 v85, 0xff7fffff, v110, s12
	v_max3_f32 v81, v81, v82, v83
	v_cmp_gt_i32_e64 s13, s17, v102
	v_cmp_gt_i32_e64 s15, s17, v103
	v_dual_mul_f32 v106, s18, v128 :: v_dual_mul_f32 v107, s18, v127
	s_delay_alu instid0(VALU_DEP_4) | instskip(NEXT) | instid1(VALU_DEP_4)
	v_max3_f32 v81, v81, v84, v85
	v_cndmask_b32_e64 v82, 0xff7fffff, v109, s13
	s_delay_alu instid0(VALU_DEP_4) | instskip(SKIP_2) | instid1(VALU_DEP_3)
	v_cndmask_b32_e64 v83, 0xff7fffff, v108, s15
	v_cmp_gt_i32_e64 s16, s17, v104
	v_cmp_gt_i32_e64 s17, s17, v105
	v_max3_f32 v81, v81, v82, v83
	s_delay_alu instid0(VALU_DEP_3) | instskip(NEXT) | instid1(VALU_DEP_3)
	v_cndmask_b32_e64 v84, 0xff7fffff, v107, s16
	v_cndmask_b32_e64 v85, 0xff7fffff, v106, s17
	v_lshlrev_b32_e32 v83, 2, v97
	s_delay_alu instid0(VALU_DEP_2) | instskip(SKIP_3) | instid1(VALU_DEP_1)
	v_max3_f32 v81, v81, v84, v85
	ds_bpermute_b32 v82, v83, v81
	s_waitcnt lgkmcnt(0)
	v_max_f32_e32 v82, v82, v82
	v_max_f32_e32 v81, v81, v82
	s_delay_alu instid0(VALU_DEP_1)
	v_fma_f32 v82, s18, v137, -v81
	v_fma_f32 v84, s18, v138, -v81
	;; [unrolled: 1-line block ×5, first 2 shown]
	v_mul_f32_e32 v82, 0x3fb8aa3b, v82
	s_delay_alu instid0(VALU_DEP_4) | instskip(NEXT) | instid1(VALU_DEP_3)
	v_dual_mul_f32 v84, 0x3fb8aa3b, v84 :: v_dual_mul_f32 v89, 0x3fb8aa3b, v87
	v_mul_f32_e32 v86, 0x3fb8aa3b, v86
	s_delay_alu instid0(VALU_DEP_3) | instskip(NEXT) | instid1(VALU_DEP_2)
	v_exp_f32_e32 v82, v82
	v_exp_f32_e32 v84, v84
	s_delay_alu instid0(VALU_DEP_2) | instskip(NEXT) | instid1(VALU_DEP_1)
	v_exp_f32_e32 v92, v89
	v_exp_f32_e32 v86, v86
	v_cndmask_b32_e32 v88, 0, v82, vcc_lo
	s_delay_alu instid0(TRANS32_DEP_3)
	v_cndmask_b32_e64 v87, 0, v84, s2
	s_waitcnt_depctr 0xfff
	v_cndmask_b32_e64 v92, 0, v92, s5
	v_cmp_gt_u32_e64 s2, 16, v80
	v_cndmask_b32_e64 v89, 0, v86, s4
	v_add_f32_e32 v84, 0, v88
	s_delay_alu instid0(VALU_DEP_1) | instskip(NEXT) | instid1(VALU_DEP_1)
	v_dual_add_f32 v84, v84, v87 :: v_dual_mul_f32 v85, 0x3fb8aa3b, v85
	v_exp_f32_e32 v85, v85
	s_waitcnt_depctr 0xfff
	v_cndmask_b32_e64 v90, 0, v85, s3
	s_delay_alu instid0(VALU_DEP_1) | instskip(NEXT) | instid1(VALU_DEP_1)
	v_add_f32_e32 v84, v84, v90
	v_add_f32_e32 v84, v84, v89
	v_fma_f32 v82, s18, v142, -v81
	v_fma_f32 v91, s18, v143, -v81
	;; [unrolled: 1-line block ×5, first 2 shown]
	s_delay_alu instid0(VALU_DEP_4) | instskip(SKIP_1) | instid1(VALU_DEP_4)
	v_dual_mul_f32 v82, 0x3fb8aa3b, v82 :: v_dual_mul_f32 v91, 0x3fb8aa3b, v91
	v_fma_f32 v96, s18, v124, -v81
	v_mul_f32_e32 v86, 0x3fb8aa3b, v86
	v_fma_f32 v99, s18, v127, -v81
	s_delay_alu instid0(VALU_DEP_4) | instskip(SKIP_3) | instid1(VALU_DEP_1)
	v_exp_f32_e32 v82, v82
	v_exp_f32_e32 v93, v91
	v_mul_f32_e32 v97, 0x3fb8aa3b, v96
	v_exp_f32_e32 v86, v86
	v_exp_f32_e32 v97, v97
	v_cndmask_b32_e64 v91, 0, v82, s6
	v_dual_add_f32 v82, v84, v92 :: v_dual_mul_f32 v85, 0x3fb8aa3b, v85
	v_fma_f32 v84, s18, v123, -v81
	v_mul_f32_e32 v95, 0x3fb8aa3b, v94
	s_delay_alu instid0(TRANS32_DEP_3) | instskip(NEXT) | instid1(VALU_DEP_4)
	v_cndmask_b32_e64 v94, 0, v93, s7
	v_add_f32_e32 v82, v82, v91
	v_exp_f32_e32 v85, v85
	v_mul_f32_e32 v84, 0x3fb8aa3b, v84
	v_cndmask_b32_e64 v96, 0, v86, s9
	v_exp_f32_e32 v95, v95
	v_add_f32_e32 v82, v82, v94
	v_fma_f32 v86, s18, v126, -v81
	v_exp_f32_e32 v84, v84
	v_cndmask_b32_e64 v97, 0, v97, s12
	s_delay_alu instid0(TRANS32_DEP_3) | instskip(SKIP_2) | instid1(TRANS32_DEP_2)
	v_cndmask_b32_e64 v93, 0, v85, s8
	v_fma_f32 v85, s18, v125, -v81
	v_mul_f32_e32 v86, 0x3fb8aa3b, v86
	v_cndmask_b32_e64 v95, 0, v95, s10
	s_waitcnt_depctr 0xfff
	v_cndmask_b32_e64 v98, 0, v84, s11
	v_mul_f32_e32 v84, 0x3fb8aa3b, v99
	v_fma_f32 v99, s18, v128, -v81
	v_add_f32_e32 v82, v82, v93
	v_mul_f32_e32 v85, 0x3fb8aa3b, v85
	v_exp_f32_e32 v86, v86
	v_exp_f32_e32 v84, v84
	s_delay_alu instid0(VALU_DEP_1)
	v_exp_f32_e32 v85, v85
	s_waitcnt_depctr 0xfff
	v_cndmask_b32_e64 v102, 0, v84, s16
	v_cndmask_b32_e64 v100, 0, v85, s13
	v_dual_mul_f32 v85, 0x3fb8aa3b, v99 :: v_dual_add_f32 v82, v82, v96
	v_cndmask_b32_e64 v99, 0, v86, s15
	s_delay_alu instid0(VALU_DEP_2) | instskip(NEXT) | instid1(VALU_DEP_2)
	v_exp_f32_e32 v85, v85
	v_add_f32_e32 v82, v82, v95
	s_delay_alu instid0(VALU_DEP_1) | instskip(SKIP_3) | instid1(VALU_DEP_1)
	v_add_f32_e32 v82, v82, v98
	s_waitcnt_depctr 0xfff
	v_cndmask_b32_e64 v101, 0, v85, s17
	v_add_f32_e32 v82, v82, v97
	v_add_f32_e32 v82, v82, v100
	s_delay_alu instid0(VALU_DEP_1) | instskip(NEXT) | instid1(VALU_DEP_1)
	v_add_f32_e32 v82, v82, v99
	v_add_f32_e32 v82, v82, v102
	s_delay_alu instid0(VALU_DEP_1)
	v_add_f32_e32 v82, v82, v101
	ds_bpermute_b32 v83, v83, v82
	s_and_saveexec_b32 s3, s2
	s_cbranch_execz .LBB340_14
; %bb.13:
	v_mul_u32_u24_e32 v80, 0x44, v78
	s_waitcnt lgkmcnt(0)
	v_add_f32_e32 v82, v82, v83
	s_delay_alu instid0(VALU_DEP_2) | instskip(NEXT) | instid1(VALU_DEP_1)
	v_lshl_add_u32 v80, v77, 2, v80
	v_add_nc_u32_e32 v80, 0x4000, v80
	ds_store_2addr_b32 v80, v81, v82 offset1:136
.LBB340_14:
	s_or_b32 exec_lo, exec_lo, s3
	v_lshlrev_b32_e32 v80, 2, v77
	s_load_b32 s35, s[0:1], 0x94
	s_waitcnt lgkmcnt(0)
	s_barrier
	buffer_gl0_inv
	v_add_nc_u32_e32 v84, 0x4000, v80
	v_cmp_eq_u32_e32 vcc_lo, 1, v78
	v_cmp_eq_u32_e64 s3, 2, v78
	v_cmp_eq_u32_e64 s4, 3, v78
	;; [unrolled: 1-line block ×3, first 2 shown]
	ds_load_2addr_b32 v[80:81], v84 offset1:17
	ds_load_2addr_b32 v[82:83], v84 offset0:34 offset1:51
	ds_load_2addr_b32 v[103:104], v84 offset0:68 offset1:85
	;; [unrolled: 1-line block ×3, first 2 shown]
	v_cmp_eq_u32_e64 s6, 7, v78
	s_waitcnt lgkmcnt(3)
	v_max3_f32 v85, v80, 0xff7fffff, v81
	s_waitcnt lgkmcnt(2)
	s_delay_alu instid0(VALU_DEP_1) | instskip(SKIP_1) | instid1(VALU_DEP_1)
	v_max3_f32 v85, v85, v82, v83
	s_waitcnt lgkmcnt(1)
	v_max3_f32 v85, v85, v103, v104
	s_waitcnt lgkmcnt(0)
	s_delay_alu instid0(VALU_DEP_1) | instskip(NEXT) | instid1(VALU_DEP_1)
	v_max3_f32 v85, v85, v105, v106
	v_sub_f32_e32 v103, v103, v85
	ds_load_2addr_b32 v[107:108], v84 offset0:136 offset1:153
	v_sub_f32_e32 v80, v80, v85
	v_dual_sub_f32 v110, v83, v85 :: v_dual_mul_f32 v113, 0x3fb8aa3b, v103
	s_delay_alu instid0(VALU_DEP_2) | instskip(SKIP_3) | instid1(VALU_DEP_1)
	v_dual_sub_f32 v86, v81, v85 :: v_dual_mul_f32 v109, 0x3fb8aa3b, v80
	ds_load_2addr_b32 v[80:81], v84 offset0:170 offset1:187
	v_mul_f32_e32 v86, 0x3fb8aa3b, v86
	v_exp_f32_e32 v109, v109
	v_exp_f32_e32 v112, v86
	v_mul_f32_e32 v110, 0x3fb8aa3b, v110
	s_waitcnt lgkmcnt(1)
	s_waitcnt_depctr 0xfff
	v_fma_f32 v86, v109, v107, 0
	v_sub_f32_e32 v107, v104, v85
	v_sub_f32_e32 v82, v82, v85
	v_exp_f32_e32 v110, v110
	ds_load_2addr_b32 v[103:104], v84 offset0:238 offset1:255
	v_dual_fmac_f32 v86, v112, v108 :: v_dual_mul_f32 v111, 0x3fb8aa3b, v82
	ds_load_2addr_b32 v[82:83], v84 offset0:204 offset1:221
	v_dual_sub_f32 v84, v105, v85 :: v_dual_mul_f32 v105, 0x3fb8aa3b, v107
	v_exp_f32_e32 v107, v113
	v_exp_f32_e32 v111, v111
	s_waitcnt lgkmcnt(0)
	s_delay_alu instid0(VALU_DEP_1)
	v_mul_f32_e32 v84, 0x3fb8aa3b, v84
	v_exp_f32_e32 v105, v105
	s_barrier
	buffer_gl0_inv
	v_fmac_f32_e32 v86, v111, v80
	v_sub_f32_e32 v80, v106, v85
	v_exp_f32_e32 v106, v84
	s_delay_alu instid0(VALU_DEP_2) | instskip(NEXT) | instid1(VALU_DEP_2)
	v_fmac_f32_e32 v86, v110, v81
	v_mul_f32_e32 v80, 0x3fb8aa3b, v80
	s_delay_alu instid0(VALU_DEP_2) | instskip(NEXT) | instid1(VALU_DEP_2)
	v_dual_cndmask_b32 v81, v109, v112 :: v_dual_fmac_f32 v86, v107, v82
	v_exp_f32_e32 v108, v80
	s_delay_alu instid0(VALU_DEP_1) | instskip(SKIP_2) | instid1(VALU_DEP_1)
	v_fmac_f32_e32 v86, v105, v83
	s_waitcnt_depctr 0xfff
	v_fmac_f32_e32 v86, v106, v103
	v_fmac_f32_e32 v86, v108, v104
	s_delay_alu instid0(VALU_DEP_1) | instskip(NEXT) | instid1(VALU_DEP_1)
	v_add_f32_e32 v103, 0x358637bd, v86
	v_div_scale_f32 v104, null, v103, v103, 1.0
	v_div_scale_f32 v109, vcc_lo, 1.0, v103, 1.0
	s_delay_alu instid0(VALU_DEP_2) | instskip(SKIP_2) | instid1(VALU_DEP_1)
	v_rcp_f32_e32 v113, v104
	s_waitcnt_depctr 0xfff
	v_fma_f32 v80, -v104, v113, 1.0
	v_fmac_f32_e32 v113, v80, v113
	v_cndmask_b32_e64 v80, v81, v111, s3
	v_cmp_eq_u32_e64 s3, 4, v78
	v_lshl_or_b32 v81, v78, 11, v79
	s_delay_alu instid0(VALU_DEP_4) | instskip(NEXT) | instid1(VALU_DEP_4)
	v_mul_f32_e32 v111, v109, v113
	v_cndmask_b32_e64 v82, v80, v110, s4
	v_cmp_eq_u32_e64 s4, 6, v78
	s_delay_alu instid0(VALU_DEP_4) | instskip(SKIP_3) | instid1(VALU_DEP_3)
	v_lshl_or_b32 v78, v75, 4, v81
	v_lshlrev_b32_e32 v80, 2, v75
	v_fma_f32 v83, -v104, v111, v109
	v_cndmask_b32_e64 v84, v82, v107, s3
	v_or_b32_e32 v82, 1, v80
	s_delay_alu instid0(VALU_DEP_3) | instskip(NEXT) | instid1(VALU_DEP_3)
	v_fmac_f32_e32 v111, v83, v113
	v_cndmask_b32_e64 v105, v84, v105, s5
	v_or_b32_e32 v84, 2, v80
	v_or_b32_e32 v83, 3, v80
	v_cmp_eq_u32_e64 s3, 1, v80
	v_fma_f32 v104, -v104, v111, v109
	v_cndmask_b32_e64 v105, v105, v106, s4
	v_cmp_eq_u32_e64 s9, 1, v82
	v_cmp_eq_u32_e64 s10, 1, v84
	;; [unrolled: 1-line block ×3, first 2 shown]
	v_div_fmas_f32 v104, v104, v113, v111
	v_cndmask_b32_e64 v105, v105, v108, s6
	v_cmp_eq_u32_e32 vcc_lo, 2, v80
	v_cmp_eq_u32_e64 s12, 2, v82
	v_cmp_eq_u32_e64 s15, 2, v84
	v_div_fixup_f32 v103, v104, v103, 1.0
	v_cmp_eq_u32_e64 s16, 2, v83
	v_cmp_eq_u32_e64 s18, 3, v83
	;; [unrolled: 1-line block ×4, first 2 shown]
	v_mul_f32_e32 v111, v105, v103
	v_cmp_eq_u32_e64 s17, 3, v84
	v_cmp_eq_u32_e64 s22, 4, v83
	;; [unrolled: 1-line block ×4, first 2 shown]
	v_fma_mixlo_f16 v103, v111, v88, 0
	v_fma_mixlo_f16 v104, v111, v90, 0
	;; [unrolled: 1-line block ×8, first 2 shown]
	v_fma_mixhi_f16 v103, v111, v87, 0
	v_fma_mixhi_f16 v104, v111, v89, 0
	;; [unrolled: 1-line block ×8, first 2 shown]
	ds_store_b128 v78, v[103:106]
	ds_store_b128 v78, v[107:110] offset:1024
	s_waitcnt lgkmcnt(0)
	s_barrier
	buffer_gl0_inv
	ds_load_b128 v[87:90], v81
	ds_load_b128 v[91:94], v81 offset:16
	ds_load_b128 v[95:98], v81 offset:1024
	;; [unrolled: 1-line block ×3, first 2 shown]
	v_cmp_eq_u32_e64 s21, 4, v84
	v_cmp_eq_u32_e64 s24, 5, v83
	;; [unrolled: 1-line block ×13, first 2 shown]
	s_waitcnt lgkmcnt(3)
	v_lshrrev_b32_e32 v103, 16, v87
	s_waitcnt lgkmcnt(2)
	v_lshrrev_b32_e32 v107, 16, v91
	;; [unrolled: 2-line block ×4, first 2 shown]
	v_lshrrev_b32_e32 v104, 16, v88
	v_cndmask_b32_e64 v119, v87, v103, s3
	v_cndmask_b32_e64 v120, v91, v107, s3
	v_cndmask_b32_e64 v121, v87, v103, s9
	v_cndmask_b32_e64 v122, v91, v107, s9
	v_cndmask_b32_e64 v123, v87, v103, s10
	v_cndmask_b32_e64 v124, v91, v107, s10
	v_cndmask_b32_e64 v87, v87, v103, s11
	v_cndmask_b32_e64 v91, v91, v107, s11
	v_lshrrev_b32_e32 v108, 16, v92
	v_cndmask_b32_e64 v103, v95, v111, s3
	v_cndmask_b32_e64 v107, v99, v115, s3
	;; [unrolled: 1-line block ×5, first 2 shown]
	v_cndmask_b32_e32 v111, v119, v88, vcc_lo
	v_cndmask_b32_e64 v119, v121, v88, s12
	v_cndmask_b32_e64 v121, v123, v88, s15
	;; [unrolled: 1-line block ×4, first 2 shown]
	v_lshrrev_b32_e32 v112, 16, v96
	v_lshrrev_b32_e32 v116, 16, v100
	v_cndmask_b32_e64 v126, v99, v115, s9
	v_cndmask_b32_e64 v128, v99, v115, s10
	;; [unrolled: 1-line block ×3, first 2 shown]
	v_cndmask_b32_e32 v115, v120, v92, vcc_lo
	v_cndmask_b32_e64 v120, v122, v92, s12
	v_cndmask_b32_e64 v122, v124, v92, s15
	v_cndmask_b32_e32 v91, v103, v96, vcc_lo
	v_cndmask_b32_e32 v92, v107, v100, vcc_lo
	v_cndmask_b32_e64 v103, v125, v96, s12
	v_cndmask_b32_e64 v87, v87, v104, s18
	v_cndmask_b32_e64 v88, v88, v108, s18
	v_lshrrev_b32_e32 v105, 16, v89
	v_lshrrev_b32_e32 v109, 16, v93
	v_cndmask_b32_e64 v107, v127, v96, s15
	v_cndmask_b32_e64 v95, v95, v96, s16
	v_cndmask_b32_e64 v96, v99, v100, s16
	v_cndmask_b32_e64 v99, v111, v104, s4
	v_cndmask_b32_e64 v111, v115, v108, s4
	v_cndmask_b32_e64 v115, v119, v104, s13
	v_cndmask_b32_e64 v119, v120, v108, s13
	v_cndmask_b32_e64 v120, v121, v104, s17
	v_cndmask_b32_e64 v121, v122, v108, s17
	v_cndmask_b32_e64 v91, v91, v112, s4
	v_cndmask_b32_e64 v92, v92, v116, s4
	v_cndmask_b32_e64 v103, v103, v112, s13
	v_cndmask_b32_e64 v87, v87, v89, s22
	v_cndmask_b32_e64 v88, v88, v93, s22
	v_lshrrev_b32_e32 v113, 16, v97
	v_cndmask_b32_e64 v99, v99, v89, s5
	v_cndmask_b32_e64 v104, v111, v93, s5
	;; [unrolled: 1-line block ×11, first 2 shown]
	v_lshrrev_b32_e32 v106, 16, v90
	v_lshrrev_b32_e32 v110, 16, v94
	v_cndmask_b32_e64 v93, v99, v105, s6
	v_cndmask_b32_e64 v99, v104, v109, s6
	v_cndmask_b32_e64 v103, v108, v105, s20
	v_cndmask_b32_e64 v104, v111, v109, s20
	v_cndmask_b32_e64 v108, v115, v105, s23
	v_cndmask_b32_e64 v111, v119, v109, s23
	v_cndmask_b32_e64 v92, v92, v113, s20
	v_cndmask_b32_e64 v87, v87, v90, s27
	v_cndmask_b32_e64 v88, v88, v94, s27
	v_lshrrev_b32_e32 v114, 16, v98
	v_cndmask_b32_e64 v89, v89, v113, s6
	v_cndmask_b32_e64 v93, v93, v90, s7
	;; [unrolled: 1-line block ×19, first 2 shown]
	v_perm_b32 v90, v88, v87, 0x5040100
	v_cndmask_b32_e64 v87, v126, v100, s12
	v_cndmask_b32_e64 v105, v89, v114, s8
	v_perm_b32 v89, v103, v99, 0x5040100
	v_perm_b32 v88, v104, v94, 0x5040100
	v_cndmask_b32_e64 v94, v107, v112, s17
	v_cndmask_b32_e64 v95, v95, v112, s18
	;; [unrolled: 1-line block ×5, first 2 shown]
	v_lshrrev_b32_e32 v117, 16, v101
	v_cndmask_b32_e64 v94, v94, v97, s21
	v_cndmask_b32_e64 v95, v95, v97, s22
	;; [unrolled: 1-line block ×11, first 2 shown]
	v_lshrrev_b32_e32 v118, 16, v102
	v_cndmask_b32_e64 v91, v91, v102, s7
	v_cndmask_b32_e64 v94, v94, v98, s26
	;; [unrolled: 1-line block ×12, first 2 shown]
	v_perm_b32 v87, v93, v92, 0x5040100
	v_perm_b32 v94, v95, v94, 0x5040100
	;; [unrolled: 1-line block ×5, first 2 shown]
	s_mul_i32 s7, s33, 15
	s_mov_b32 s3, exec_lo
	ds_store_b128 v78, v[87:90]
	ds_store_b128 v78, v[91:94] offset:1024
	v_cmpx_gt_u32_e32 15, v0
	s_cbranch_execz .LBB340_16
; %bb.15:
	s_mul_i32 s4, s7, s34
	s_load_b128 s[8:11], s[0:1], 0x58
	v_add3_u32 v77, s4, s31, v77
	s_delay_alu instid0(VALU_DEP_1) | instskip(NEXT) | instid1(VALU_DEP_1)
	v_mad_u64_u32 v[87:88], null, v77, s35, s[14:15]
	v_ashrrev_i32_e32 v88, 31, v87
	s_delay_alu instid0(VALU_DEP_1) | instskip(SKIP_1) | instid1(VALU_DEP_1)
	v_lshlrev_b64 v[87:88], 2, v[87:88]
	s_waitcnt lgkmcnt(0)
	v_add_co_u32 v89, vcc_lo, s10, v87
	s_delay_alu instid0(VALU_DEP_2)
	v_add_co_ci_u32_e32 v90, vcc_lo, s11, v88, vcc_lo
	v_add_co_u32 v87, vcc_lo, s8, v87
	v_add_co_ci_u32_e32 v88, vcc_lo, s9, v88, vcc_lo
	global_store_b32 v[89:90], v85, off
	global_store_b32 v[87:88], v86, off
.LBB340_16:
	s_or_b32 exec_lo, exec_lo, s3
	s_waitcnt lgkmcnt(0)
	s_waitcnt_vscnt null, 0x0
	s_barrier
	buffer_gl0_inv
	ds_load_b128 v[93:96], v79
	ds_load_b128 v[97:100], v79 offset:16
	ds_load_b128 v[105:108], v79 offset:1040
	ds_load_b128 v[101:104], v79 offset:1024
	ds_load_b128 v[113:116], v79 offset:2064
	ds_load_b128 v[109:112], v79 offset:2048
	v_cmp_eq_u32_e32 vcc_lo, 1, v84
	v_mov_b32_e32 v85, 0
	ds_load_b128 v[121:124], v79 offset:3088
	ds_load_b128 v[117:120], v79 offset:3072
	;; [unrolled: 1-line block ×4, first 2 shown]
	v_cmp_eq_u32_e64 s3, 1, v80
	v_cmp_eq_u32_e64 s4, 1, v83
	;; [unrolled: 1-line block ×3, first 2 shown]
	v_mov_b32_e32 v86, v85
	v_mov_b32_e32 v87, v85
	;; [unrolled: 1-line block ×7, first 2 shown]
	v_cmp_eq_u32_e64 s6, 2, v80
	s_waitcnt lgkmcnt(8)
	s_delay_alu instid0(VALU_DEP_2)
	v_wmma_f32_16x16x16_f16 v[85:92], v[65:72], v[93:100], v[85:92]
	ds_load_b128 v[69:72], v79 offset:5136
	ds_load_b128 v[65:68], v79 offset:5120
	;; [unrolled: 1-line block ×4, first 2 shown]
	s_waitcnt lgkmcnt(10)
	v_wmma_f32_16x16x16_f16 v[85:92], v[57:64], v[101:108], v[85:92]
	s_waitcnt lgkmcnt(8)
	s_delay_alu instid0(VALU_DEP_1)
	v_wmma_f32_16x16x16_f16 v[85:92], v[57:64], v[109:116], v[85:92]
	ds_load_b128 v[61:64], v79 offset:7184
	ds_load_b128 v[57:60], v79 offset:7168
	;; [unrolled: 1-line block ×4, first 2 shown]
	s_waitcnt lgkmcnt(10)
	v_wmma_f32_16x16x16_f16 v[85:92], v[49:56], v[117:124], v[85:92]
	s_waitcnt lgkmcnt(8)
	s_delay_alu instid0(VALU_DEP_1)
	v_wmma_f32_16x16x16_f16 v[85:92], v[49:56], v[125:132], v[85:92]
	ds_load_b128 v[53:56], v79 offset:9232
	ds_load_b128 v[49:52], v79 offset:9216
	s_waitcnt lgkmcnt(8)
	v_wmma_f32_16x16x16_f16 v[85:92], v[41:48], v[65:72], v[85:92]
	ds_load_b128 v[69:72], v79 offset:10256
	ds_load_b128 v[65:68], v79 offset:10240
	s_waitcnt lgkmcnt(8)
	;; [unrolled: 4-line block ×7, first 2 shown]
	s_barrier
	buffer_gl0_inv
	v_wmma_f32_16x16x16_f16 v[85:92], v[33:40], v[41:48], v[85:92]
	s_delay_alu instid0(VALU_DEP_1) | instskip(NEXT) | instid1(VALU_DEP_1)
	v_wmma_f32_16x16x16_f16 v[85:92], v[33:40], v[57:64], v[85:92]
	v_wmma_f32_16x16x16_f16 v[85:92], v[25:32], v[9:16], v[85:92]
	s_delay_alu instid0(VALU_DEP_1) | instskip(NEXT) | instid1(VALU_DEP_1)
	v_wmma_f32_16x16x16_f16 v[85:92], v[25:32], v[49:56], v[85:92]
	v_wmma_f32_16x16x16_f16 v[85:92], v[17:24], v[1:8], v[85:92]
	s_delay_alu instid0(VALU_DEP_1) | instskip(NEXT) | instid1(VALU_DEP_2)
	v_cvt_f16_f32_e32 v1, v85
	v_cvt_f16_f32_e32 v2, v86
	s_delay_alu instid0(VALU_DEP_3) | instskip(NEXT) | instid1(VALU_DEP_4)
	v_cvt_f16_f32_e32 v3, v87
	v_cvt_f16_f32_e32 v4, v88
	;; [unrolled: 1-line block ×6, first 2 shown]
	v_pack_b32_f16 v1, v1, v2
	v_pack_b32_f16 v2, v3, v4
	;; [unrolled: 1-line block ×3, first 2 shown]
	s_delay_alu instid0(VALU_DEP_4)
	v_pack_b32_f16 v4, v7, v8
	ds_store_b128 v78, v[1:4]
	s_waitcnt lgkmcnt(0)
	s_barrier
	buffer_gl0_inv
	ds_load_b128 v[1:4], v81
	ds_load_b128 v[5:8], v81 offset:16
	s_waitcnt lgkmcnt(1)
	v_lshrrev_b32_e32 v9, 16, v1
	s_waitcnt lgkmcnt(0)
	v_lshrrev_b32_e32 v13, 16, v5
	v_lshrrev_b32_e32 v15, 16, v7
	;; [unrolled: 1-line block ×4, first 2 shown]
	v_cndmask_b32_e64 v17, v1, v9, s3
	v_cndmask_b32_e64 v18, v5, v13, s3
	;; [unrolled: 1-line block ×3, first 2 shown]
	v_cmp_eq_u32_e64 s3, 2, v82
	v_cndmask_b32_e64 v20, v5, v13, s5
	v_cndmask_b32_e32 v21, v1, v9, vcc_lo
	v_cndmask_b32_e32 v22, v5, v13, vcc_lo
	v_cndmask_b32_e64 v1, v1, v9, s4
	v_cndmask_b32_e64 v5, v5, v13, s4
	v_cmp_eq_u32_e32 vcc_lo, 2, v84
	v_cmp_eq_u32_e64 s4, 2, v83
	v_cndmask_b32_e64 v9, v17, v2, s6
	v_cndmask_b32_e64 v13, v18, v6, s6
	;; [unrolled: 1-line block ×4, first 2 shown]
	v_cndmask_b32_e32 v19, v21, v2, vcc_lo
	v_cmp_eq_u32_e64 s3, 3, v84
	v_cndmask_b32_e32 v20, v22, v6, vcc_lo
	v_cndmask_b32_e64 v1, v1, v2, s4
	v_cmp_eq_u32_e32 vcc_lo, 3, v83
	v_cmp_eq_u32_e64 s5, 3, v80
	v_cndmask_b32_e64 v2, v5, v6, s4
	v_cmp_eq_u32_e64 s4, 3, v82
	v_lshrrev_b32_e32 v16, 16, v8
	v_cmp_eq_u32_e64 s6, 4, v80
	v_cndmask_b32_e64 v5, v9, v10, s5
	v_cndmask_b32_e64 v6, v13, v14, s5
	;; [unrolled: 1-line block ×3, first 2 shown]
	v_cmp_eq_u32_e64 s5, 4, v82
	v_cndmask_b32_e64 v13, v18, v14, s4
	v_cndmask_b32_e64 v17, v19, v10, s3
	;; [unrolled: 1-line block ×3, first 2 shown]
	v_cndmask_b32_e32 v1, v1, v10, vcc_lo
	v_cndmask_b32_e32 v2, v2, v14, vcc_lo
	v_cmp_eq_u32_e32 vcc_lo, 4, v84
	v_cmp_eq_u32_e64 s4, 4, v83
	v_lshrrev_b32_e32 v11, 16, v3
	v_cndmask_b32_e64 v5, v5, v3, s6
	v_cndmask_b32_e64 v6, v6, v7, s6
	;; [unrolled: 1-line block ×4, first 2 shown]
	v_cndmask_b32_e32 v13, v17, v3, vcc_lo
	v_cmp_eq_u32_e64 s3, 5, v84
	v_cndmask_b32_e32 v14, v18, v7, vcc_lo
	v_cndmask_b32_e64 v1, v1, v3, s4
	v_cmp_eq_u32_e32 vcc_lo, 5, v83
	v_cmp_eq_u32_e64 s5, 5, v80
	v_cndmask_b32_e64 v2, v2, v7, s4
	v_cmp_eq_u32_e64 s4, 5, v82
	v_cmp_eq_u32_e64 s6, 6, v80
	v_cndmask_b32_e32 v1, v1, v11, vcc_lo
	v_cndmask_b32_e64 v3, v5, v11, s5
	v_cndmask_b32_e64 v5, v6, v15, s5
	;; [unrolled: 1-line block ×3, first 2 shown]
	v_cmp_eq_u32_e64 s5, 6, v82
	v_cndmask_b32_e64 v7, v10, v15, s4
	v_cndmask_b32_e64 v9, v13, v11, s3
	;; [unrolled: 1-line block ×3, first 2 shown]
	v_cndmask_b32_e32 v2, v2, v15, vcc_lo
	v_cmp_eq_u32_e32 vcc_lo, 6, v84
	v_cmp_eq_u32_e64 s3, 6, v83
	v_lshrrev_b32_e32 v12, 16, v4
	v_cndmask_b32_e64 v3, v3, v4, s6
	v_cndmask_b32_e64 v5, v5, v8, s6
	;; [unrolled: 1-line block ×4, first 2 shown]
	v_cndmask_b32_e32 v9, v9, v4, vcc_lo
	v_cmp_eq_u32_e64 s4, 7, v84
	v_cndmask_b32_e32 v10, v10, v8, vcc_lo
	v_cndmask_b32_e64 v1, v1, v4, s3
	v_cmp_eq_u32_e32 vcc_lo, 7, v83
	v_cndmask_b32_e64 v2, v2, v8, s3
	v_cmp_eq_u32_e64 s3, 7, v80
	v_cmp_eq_u32_e64 s5, 7, v82
	v_cndmask_b32_e32 v1, v1, v12, vcc_lo
	s_delay_alu instid0(VALU_DEP_4) | instskip(NEXT) | instid1(VALU_DEP_4)
	v_cndmask_b32_e32 v2, v2, v16, vcc_lo
	v_cndmask_b32_e64 v8, v3, v12, s3
	s_delay_alu instid0(VALU_DEP_4)
	v_cndmask_b32_e64 v6, v6, v12, s5
	v_cndmask_b32_e64 v3, v9, v12, s4
	;; [unrolled: 1-line block ×5, first 2 shown]
	v_perm_b32 v4, v2, v1, 0x5040100
	s_mov_b32 s3, exec_lo
	v_perm_b32 v3, v9, v3, 0x5040100
	v_perm_b32 v2, v7, v6, 0x5040100
	v_perm_b32 v1, v5, v8, 0x5040100
	ds_store_b128 v78, v[1:4]
	s_waitcnt lgkmcnt(0)
	s_barrier
	buffer_gl0_inv
	v_cmpx_gt_u32_e32 32, v0
	s_cbranch_execz .LBB340_2
; %bb.17:
	s_load_b64 s[4:5], s[0:1], 0x68
	v_add_nc_u32_e32 v20, s31, v75
	v_lshlrev_b32_e32 v0, 10, v0
	v_lshlrev_b32_e32 v1, 4, v76
	s_lshl_b32 s0, s35, 7
	s_delay_alu instid0(SALU_CYCLE_1)
	s_mul_i32 s1, s0, s34
	v_add_nc_u32_e32 v2, 2, v20
	s_mul_i32 s6, s1, s7
	v_and_or_b32 v0, 0x3800, v0, v1
	v_mul_lo_u32 v1, v20, s0
	s_ashr_i32 s7, s6, 31
	v_mul_lo_u32 v11, v2, s0
	s_lshl_b64 s[6:7], s[6:7], 1
	v_add_nc_u32_e32 v3, 4, v20
	v_lshl_or_b32 v21, v75, 6, v0
	v_add_nc_u32_e32 v16, 6, v20
	v_ashrrev_i32_e32 v2, 31, v1
	s_delay_alu instid0(VALU_DEP_4)
	v_mul_lo_u32 v13, v3, s0
	s_waitcnt lgkmcnt(0)
	s_add_u32 s1, s4, s6
	s_addc_u32 s3, s5, s7
	s_lshl_b32 s4, s14, 7
	ds_load_b128 v[3:6], v21
	ds_load_b128 v[7:10], v21 offset:128
	s_ashr_i32 s5, s4, 31
	v_ashrrev_i32_e32 v12, 31, v11
	s_lshl_b64 s[4:5], s[4:5], 1
	v_lshlrev_b64 v[14:15], 1, v[1:2]
	s_add_u32 s1, s1, s4
	s_addc_u32 s3, s3, s5
	v_add_co_u32 v1, vcc_lo, s1, v73
	v_add_co_ci_u32_e32 v2, vcc_lo, s3, v74, vcc_lo
	v_lshlrev_b64 v[11:12], 1, v[11:12]
	s_delay_alu instid0(VALU_DEP_3) | instskip(SKIP_1) | instid1(VALU_DEP_4)
	v_add_co_u32 v18, vcc_lo, v1, v14
	v_mul_lo_u32 v16, v16, s0
	v_add_co_ci_u32_e32 v19, vcc_lo, v2, v15, vcc_lo
	s_delay_alu instid0(VALU_DEP_4)
	v_add_co_u32 v11, vcc_lo, v1, v11
	v_ashrrev_i32_e32 v14, 31, v13
	v_add_co_ci_u32_e32 v12, vcc_lo, v2, v12, vcc_lo
	v_add_nc_u32_e32 v15, 8, v20
	v_ashrrev_i32_e32 v17, 31, v16
	s_waitcnt lgkmcnt(1)
	global_store_b128 v[18:19], v[3:6], off
	v_lshlrev_b64 v[3:4], 1, v[13:14]
	s_waitcnt lgkmcnt(0)
	global_store_b128 v[11:12], v[7:10], off
	v_mul_lo_u32 v11, v15, s0
	v_add_nc_u32_e32 v7, 10, v20
	v_lshlrev_b64 v[5:6], 1, v[16:17]
	v_add_co_u32 v23, vcc_lo, v1, v3
	v_add_nc_u32_e32 v3, 12, v20
	s_delay_alu instid0(VALU_DEP_4)
	v_mul_lo_u32 v25, v7, s0
	v_ashrrev_i32_e32 v12, 31, v11
	v_add_co_ci_u32_e32 v24, vcc_lo, v2, v4, vcc_lo
	v_add_co_u32 v27, vcc_lo, v1, v5
	v_mul_lo_u32 v29, v3, s0
	v_add_co_ci_u32_e32 v28, vcc_lo, v2, v6, vcc_lo
	ds_load_b128 v[3:6], v21 offset:256
	ds_load_b128 v[7:10], v21 offset:384
	v_lshlrev_b64 v[31:32], 1, v[11:12]
	ds_load_b128 v[11:14], v21 offset:512
	ds_load_b128 v[15:18], v21 offset:640
	;; [unrolled: 1-line block ×3, first 2 shown]
	v_ashrrev_i32_e32 v26, 31, v25
	v_ashrrev_i32_e32 v30, 31, v29
	v_add_co_u32 v31, vcc_lo, v1, v31
	s_delay_alu instid0(VALU_DEP_3) | instskip(NEXT) | instid1(VALU_DEP_3)
	v_lshlrev_b64 v[25:26], 1, v[25:26]
	v_lshlrev_b64 v[29:30], 1, v[29:30]
	v_add_co_ci_u32_e32 v32, vcc_lo, v2, v32, vcc_lo
	s_delay_alu instid0(VALU_DEP_3) | instskip(NEXT) | instid1(VALU_DEP_4)
	v_add_co_u32 v25, vcc_lo, v1, v25
	v_add_co_ci_u32_e32 v26, vcc_lo, v2, v26, vcc_lo
	s_delay_alu instid0(VALU_DEP_4)
	v_add_co_u32 v29, vcc_lo, v1, v29
	v_add_co_ci_u32_e32 v30, vcc_lo, v2, v30, vcc_lo
	s_waitcnt lgkmcnt(4)
	global_store_b128 v[23:24], v[3:6], off
	s_waitcnt lgkmcnt(3)
	global_store_b128 v[27:28], v[7:10], off
	;; [unrolled: 2-line block ×5, first 2 shown]
	s_and_b32 exec_lo, exec_lo, s2
	s_cbranch_execz .LBB340_2
; %bb.18:
	ds_load_b128 v[3:6], v0 offset:896
	s_add_i32 s1, s31, 14
	s_delay_alu instid0(SALU_CYCLE_1) | instskip(NEXT) | instid1(SALU_CYCLE_1)
	s_mul_i32 s0, s1, s0
	s_ashr_i32 s1, s0, 31
	s_delay_alu instid0(SALU_CYCLE_1) | instskip(NEXT) | instid1(SALU_CYCLE_1)
	s_lshl_b64 s[0:1], s[0:1], 1
	v_add_co_u32 v0, vcc_lo, v1, s0
	v_add_co_ci_u32_e32 v1, vcc_lo, s1, v2, vcc_lo
	s_waitcnt lgkmcnt(0)
	global_store_b128 v[0:1], v[3:6], off
	s_nop 0
	s_sendmsg sendmsg(MSG_DEALLOC_VGPRS)
	s_endpgm
	.section	.rodata,"a",@progbits
	.p2align	6, 0x0
	.amdhsa_kernel _Z39paged_attention_ll4mi_QKV_mfma16_kernelIDF16_DF16_LN4vllm18Fp8KVCacheDataTypeE0EhLi32ELi128ELi256ELb0ELi15EL8MFMAType0EEvPKT_PKT0_S8_ifPKiSA_SA_iPKfiiiPfSD_PS3_PT2_iSC_SC_
		.amdhsa_group_segment_fixed_size 17472
		.amdhsa_private_segment_fixed_size 0
		.amdhsa_kernarg_size 400
		.amdhsa_user_sgpr_count 13
		.amdhsa_user_sgpr_dispatch_ptr 0
		.amdhsa_user_sgpr_queue_ptr 0
		.amdhsa_user_sgpr_kernarg_segment_ptr 1
		.amdhsa_user_sgpr_dispatch_id 0
		.amdhsa_user_sgpr_private_segment_size 0
		.amdhsa_wavefront_size32 1
		.amdhsa_uses_dynamic_stack 0
		.amdhsa_enable_private_segment 0
		.amdhsa_system_sgpr_workgroup_id_x 1
		.amdhsa_system_sgpr_workgroup_id_y 1
		.amdhsa_system_sgpr_workgroup_id_z 1
		.amdhsa_system_sgpr_workgroup_info 0
		.amdhsa_system_vgpr_workitem_id 0
		.amdhsa_next_free_vgpr 172
		.amdhsa_next_free_sgpr 39
		.amdhsa_reserve_vcc 1
		.amdhsa_float_round_mode_32 0
		.amdhsa_float_round_mode_16_64 0
		.amdhsa_float_denorm_mode_32 3
		.amdhsa_float_denorm_mode_16_64 3
		.amdhsa_dx10_clamp 1
		.amdhsa_ieee_mode 1
		.amdhsa_fp16_overflow 0
		.amdhsa_workgroup_processor_mode 1
		.amdhsa_memory_ordered 1
		.amdhsa_forward_progress 0
		.amdhsa_shared_vgpr_count 0
		.amdhsa_exception_fp_ieee_invalid_op 0
		.amdhsa_exception_fp_denorm_src 0
		.amdhsa_exception_fp_ieee_div_zero 0
		.amdhsa_exception_fp_ieee_overflow 0
		.amdhsa_exception_fp_ieee_underflow 0
		.amdhsa_exception_fp_ieee_inexact 0
		.amdhsa_exception_int_div_zero 0
	.end_amdhsa_kernel
	.section	.text._Z39paged_attention_ll4mi_QKV_mfma16_kernelIDF16_DF16_LN4vllm18Fp8KVCacheDataTypeE0EhLi32ELi128ELi256ELb0ELi15EL8MFMAType0EEvPKT_PKT0_S8_ifPKiSA_SA_iPKfiiiPfSD_PS3_PT2_iSC_SC_,"axG",@progbits,_Z39paged_attention_ll4mi_QKV_mfma16_kernelIDF16_DF16_LN4vllm18Fp8KVCacheDataTypeE0EhLi32ELi128ELi256ELb0ELi15EL8MFMAType0EEvPKT_PKT0_S8_ifPKiSA_SA_iPKfiiiPfSD_PS3_PT2_iSC_SC_,comdat
.Lfunc_end340:
	.size	_Z39paged_attention_ll4mi_QKV_mfma16_kernelIDF16_DF16_LN4vllm18Fp8KVCacheDataTypeE0EhLi32ELi128ELi256ELb0ELi15EL8MFMAType0EEvPKT_PKT0_S8_ifPKiSA_SA_iPKfiiiPfSD_PS3_PT2_iSC_SC_, .Lfunc_end340-_Z39paged_attention_ll4mi_QKV_mfma16_kernelIDF16_DF16_LN4vllm18Fp8KVCacheDataTypeE0EhLi32ELi128ELi256ELb0ELi15EL8MFMAType0EEvPKT_PKT0_S8_ifPKiSA_SA_iPKfiiiPfSD_PS3_PT2_iSC_SC_
                                        ; -- End function
	.section	.AMDGPU.csdata,"",@progbits
; Kernel info:
; codeLenInByte = 7776
; NumSgprs: 41
; NumVgprs: 172
; ScratchSize: 0
; MemoryBound: 0
; FloatMode: 240
; IeeeMode: 1
; LDSByteSize: 17472 bytes/workgroup (compile time only)
; SGPRBlocks: 5
; VGPRBlocks: 21
; NumSGPRsForWavesPerEU: 41
; NumVGPRsForWavesPerEU: 172
; Occupancy: 8
; WaveLimiterHint : 1
; COMPUTE_PGM_RSRC2:SCRATCH_EN: 0
; COMPUTE_PGM_RSRC2:USER_SGPR: 13
; COMPUTE_PGM_RSRC2:TRAP_HANDLER: 0
; COMPUTE_PGM_RSRC2:TGID_X_EN: 1
; COMPUTE_PGM_RSRC2:TGID_Y_EN: 1
; COMPUTE_PGM_RSRC2:TGID_Z_EN: 1
; COMPUTE_PGM_RSRC2:TIDIG_COMP_CNT: 0
	.section	.text._Z39paged_attention_ll4mi_QKV_mfma16_kernelIDF16_DF16_LN4vllm18Fp8KVCacheDataTypeE0EhLi32ELi128ELi256ELb0ELi16EL8MFMAType0EEvPKT_PKT0_S8_ifPKiSA_SA_iPKfiiiPfSD_PS3_PT2_iSC_SC_,"axG",@progbits,_Z39paged_attention_ll4mi_QKV_mfma16_kernelIDF16_DF16_LN4vllm18Fp8KVCacheDataTypeE0EhLi32ELi128ELi256ELb0ELi16EL8MFMAType0EEvPKT_PKT0_S8_ifPKiSA_SA_iPKfiiiPfSD_PS3_PT2_iSC_SC_,comdat
	.protected	_Z39paged_attention_ll4mi_QKV_mfma16_kernelIDF16_DF16_LN4vllm18Fp8KVCacheDataTypeE0EhLi32ELi128ELi256ELb0ELi16EL8MFMAType0EEvPKT_PKT0_S8_ifPKiSA_SA_iPKfiiiPfSD_PS3_PT2_iSC_SC_ ; -- Begin function _Z39paged_attention_ll4mi_QKV_mfma16_kernelIDF16_DF16_LN4vllm18Fp8KVCacheDataTypeE0EhLi32ELi128ELi256ELb0ELi16EL8MFMAType0EEvPKT_PKT0_S8_ifPKiSA_SA_iPKfiiiPfSD_PS3_PT2_iSC_SC_
	.globl	_Z39paged_attention_ll4mi_QKV_mfma16_kernelIDF16_DF16_LN4vllm18Fp8KVCacheDataTypeE0EhLi32ELi128ELi256ELb0ELi16EL8MFMAType0EEvPKT_PKT0_S8_ifPKiSA_SA_iPKfiiiPfSD_PS3_PT2_iSC_SC_
	.p2align	8
	.type	_Z39paged_attention_ll4mi_QKV_mfma16_kernelIDF16_DF16_LN4vllm18Fp8KVCacheDataTypeE0EhLi32ELi128ELi256ELb0ELi16EL8MFMAType0EEvPKT_PKT0_S8_ifPKiSA_SA_iPKfiiiPfSD_PS3_PT2_iSC_SC_,@function
_Z39paged_attention_ll4mi_QKV_mfma16_kernelIDF16_DF16_LN4vllm18Fp8KVCacheDataTypeE0EhLi32ELi128ELi256ELb0ELi16EL8MFMAType0EEvPKT_PKT0_S8_ifPKiSA_SA_iPKfiiiPfSD_PS3_PT2_iSC_SC_: ; @_Z39paged_attention_ll4mi_QKV_mfma16_kernelIDF16_DF16_LN4vllm18Fp8KVCacheDataTypeE0EhLi32ELi128ELi256ELb0ELi16EL8MFMAType0EEvPKT_PKT0_S8_ifPKiSA_SA_iPKfiiiPfSD_PS3_PT2_iSC_SC_
; %bb.0:
	s_load_b64 s[2:3], s[0:1], 0x30
	s_mov_b32 s30, s13
	s_waitcnt lgkmcnt(0)
	s_cmp_lg_u64 s[2:3], 0
	s_cselect_b32 s6, -1, 0
	s_ashr_i32 s31, s13, 31
	s_cmp_eq_u64 s[2:3], 0
	s_cbranch_scc1 .LBB341_3
; %bb.1:
	s_lshl_b64 s[4:5], s[30:31], 2
	s_delay_alu instid0(SALU_CYCLE_1) | instskip(SKIP_4) | instid1(SALU_CYCLE_1)
	s_add_u32 s4, s2, s4
	s_addc_u32 s5, s3, s5
	s_load_b64 s[4:5], s[4:5], 0x0
	s_waitcnt lgkmcnt(0)
	s_sub_i32 s4, s5, s4
	s_cmp_eq_u32 s4, 1
	s_cselect_b32 s4, -1, 0
	s_delay_alu instid0(SALU_CYCLE_1)
	s_and_not1_b32 vcc_lo, exec_lo, s4
	s_cbranch_vccz .LBB341_4
.LBB341_2:
	s_endpgm
.LBB341_3:
.LBB341_4:
	s_load_b64 s[8:9], s[0:1], 0x28
	s_lshl_b64 s[4:5], s[30:31], 2
	s_waitcnt lgkmcnt(0)
	s_add_u32 s8, s8, s4
	s_addc_u32 s9, s9, s5
	s_lshl_b32 s12, s14, 8
	s_load_b32 s17, s[8:9], 0x0
	s_waitcnt lgkmcnt(0)
	s_cmp_ge_i32 s12, s17
	s_cbranch_scc1 .LBB341_2
; %bb.5:
	s_and_not1_b32 vcc_lo, exec_lo, s6
	s_cbranch_vccnz .LBB341_7
; %bb.6:
	s_add_u32 s2, s2, s4
	s_addc_u32 s3, s3, s5
	s_load_b32 s13, s[2:3], 0x0
	s_branch .LBB341_8
.LBB341_7:
	s_mov_b32 s13, s30
.LBB341_8:
	s_clause 0x2
	s_load_b128 s[8:11], s[0:1], 0x8
	s_load_b64 s[2:3], s[0:1], 0x20
	s_load_b128 s[4:7], s[0:1], 0x48
	v_and_b32_e32 v79, 15, v0
	s_waitcnt lgkmcnt(0)
	s_mov_b32 s7, exec_lo
	s_delay_alu instid0(VALU_DEP_1)
	v_lshlrev_b32_e32 v1, 3, v79
	v_cmpx_lt_u32_e32 0xff, v0
	s_xor_b32 s7, exec_lo, s7
; %bb.9:
	v_mov_b32_e32 v2, 0
; %bb.10:
	s_or_saveexec_b32 s7, s7
	v_lshrrev_b32_e32 v77, 5, v0
	v_and_b32_e32 v80, 31, v0
	v_and_b32_e32 v76, 1, v0
	v_bfe_u32 v75, v0, 4, 1
	s_lshl_b32 s31, s15, 4
	s_xor_b32 exec_lo, exec_lo, s7
	s_cbranch_execz .LBB341_12
; %bb.11:
	s_delay_alu instid0(VALU_DEP_1)
	v_lshl_or_b32 v7, v77, 1, v75
	s_load_b64 s[18:19], s[0:1], 0x0
	s_mul_hi_i32 s21, s13, s4
	s_mul_i32 s20, s13, s4
	v_lshlrev_b32_e32 v4, 1, v1
	v_or_b32_e32 v2, s31, v7
	s_lshl_b64 s[20:21], s[20:21], 1
	v_lshlrev_b32_e32 v7, 6, v7
	v_lshlrev_b32_e32 v8, 10, v76
	s_delay_alu instid0(VALU_DEP_3) | instskip(NEXT) | instid1(VALU_DEP_1)
	v_lshlrev_b32_e32 v2, 7, v2
	v_ashrrev_i32_e32 v3, 31, v2
	s_delay_alu instid0(VALU_DEP_1) | instskip(SKIP_3) | instid1(VALU_DEP_1)
	v_lshlrev_b64 v[2:3], 1, v[2:3]
	s_waitcnt lgkmcnt(0)
	s_add_u32 s4, s18, s20
	s_addc_u32 s13, s19, s21
	v_add_co_u32 v2, vcc_lo, s4, v2
	s_delay_alu instid0(VALU_DEP_2) | instskip(NEXT) | instid1(VALU_DEP_2)
	v_add_co_ci_u32_e32 v3, vcc_lo, s13, v3, vcc_lo
	v_add_co_u32 v2, vcc_lo, v2, v4
	s_delay_alu instid0(VALU_DEP_2) | instskip(SKIP_2) | instid1(VALU_DEP_1)
	v_add_co_ci_u32_e32 v3, vcc_lo, 0, v3, vcc_lo
	global_load_b128 v[3:6], v[2:3], off
	v_lshlrev_b32_e32 v2, 10, v79
	v_and_b32_e32 v2, 0x3800, v2
	s_delay_alu instid0(VALU_DEP_1)
	v_or3_b32 v7, v2, v8, v7
	v_mov_b32_e32 v2, 0
	s_waitcnt vmcnt(0)
	ds_store_b128 v7, v[3:6]
.LBB341_12:
	s_or_b32 exec_lo, exec_lo, s7
	v_and_b32_e32 v3, 0xef, v0
	s_add_i32 s4, s17, 31
	s_clause 0x1
	s_load_b32 s7, s[0:1], 0x38
	s_load_b32 s33, s[0:1], 0x98
	s_ashr_i32 s13, s4, 31
	v_add_nc_u32_e32 v3, s12, v3
	s_lshr_b32 s13, s13, 27
	s_load_b32 s18, s[0:1], 0x1c
	s_add_i32 s4, s4, s13
	s_waitcnt lgkmcnt(0)
	v_ashrrev_i32_e32 v4, 31, v3
	v_cmp_gt_i32_e32 vcc_lo, s17, v3
	s_ashr_i32 s4, s4, 5
	s_barrier
	s_add_i32 s4, s4, -1
	v_lshrrev_b32_e32 v5, 27, v4
	v_or_b32_e32 v4, 16, v3
	buffer_gl0_inv
	v_lshlrev_b64 v[73:74], 1, v[1:2]
	v_lshlrev_b32_e32 v78, 6, v79
	v_add_nc_u32_e32 v6, v3, v5
	v_add_nc_u32_e32 v5, v4, v5
	s_mul_i32 s20, s30, s7
	s_delay_alu instid0(SALU_CYCLE_1) | instskip(NEXT) | instid1(VALU_DEP_2)
	s_ashr_i32 s21, s20, 31
	v_ashrrev_i32_e32 v6, 5, v6
	s_delay_alu instid0(VALU_DEP_2) | instskip(SKIP_1) | instid1(SALU_CYCLE_1)
	v_ashrrev_i32_e32 v5, 5, v5
	s_lshl_b64 s[20:21], s[20:21], 2
	s_add_u32 s13, s2, s20
	s_delay_alu instid0(VALU_DEP_2) | instskip(SKIP_3) | instid1(SALU_CYCLE_1)
	v_cndmask_b32_e32 v3, s4, v6, vcc_lo
	v_cmp_gt_i32_e32 vcc_lo, s17, v4
	s_addc_u32 s16, s3, s21
	s_mul_i32 s2, s15, s6
	s_ashr_i32 s3, s2, 31
	v_cndmask_b32_e32 v5, s4, v5, vcc_lo
	v_ashrrev_i32_e32 v4, 31, v3
	s_lshl_b64 s[2:3], s[2:3], 1
	s_delay_alu instid0(SALU_CYCLE_1) | instskip(NEXT) | instid1(VALU_DEP_2)
	s_add_u32 s15, s8, s2
	v_ashrrev_i32_e32 v6, 31, v5
	s_delay_alu instid0(VALU_DEP_2) | instskip(SKIP_2) | instid1(VALU_DEP_2)
	v_lshlrev_b64 v[3:4], 2, v[3:4]
	s_addc_u32 s19, s9, s3
	s_lshl_b32 s6, s14, 3
	v_lshlrev_b64 v[5:6], 2, v[5:6]
	s_ashr_i32 s7, s6, 31
	s_delay_alu instid0(VALU_DEP_2) | instskip(SKIP_1) | instid1(VALU_DEP_3)
	v_add_co_u32 v3, vcc_lo, s13, v3
	v_add_co_ci_u32_e32 v4, vcc_lo, s16, v4, vcc_lo
	v_add_co_u32 v5, vcc_lo, s13, v5
	s_delay_alu instid0(VALU_DEP_4)
	v_add_co_ci_u32_e32 v6, vcc_lo, s16, v6, vcc_lo
	s_lshl_b64 s[6:7], s[6:7], 2
	s_clause 0x1
	global_load_b32 v7, v[3:4], off
	global_load_b32 v8, v[5:6], off
	s_add_u32 s6, s13, s6
	s_addc_u32 s7, s16, s7
	s_or_b32 s8, s12, 32
	s_delay_alu instid0(SALU_CYCLE_1) | instskip(SKIP_2) | instid1(SALU_CYCLE_1)
	s_ashr_i32 s9, s8, 5
	s_cmp_lt_i32 s8, s17
	s_cselect_b32 s8, s9, s4
	s_ashr_i32 s9, s8, 31
	s_delay_alu instid0(SALU_CYCLE_1) | instskip(NEXT) | instid1(SALU_CYCLE_1)
	s_lshl_b64 s[8:9], s[8:9], 2
	s_add_u32 s8, s13, s8
	s_addc_u32 s9, s16, s9
	s_or_b32 s20, s12, 64
	s_delay_alu instid0(SALU_CYCLE_1) | instskip(SKIP_2) | instid1(SALU_CYCLE_1)
	s_ashr_i32 s21, s20, 5
	s_cmp_lt_i32 s20, s17
	s_cselect_b32 s20, s21, s4
	s_ashr_i32 s21, s20, 31
	s_delay_alu instid0(SALU_CYCLE_1) | instskip(NEXT) | instid1(SALU_CYCLE_1)
	s_lshl_b64 s[20:21], s[20:21], 2
	;; [unrolled: 10-line block ×5, first 2 shown]
	s_add_u32 s26, s13, s26
	s_addc_u32 s27, s16, s27
	s_clause 0x5
	s_load_b32 s28, s[6:7], 0x0
	s_load_b32 s29, s[8:9], 0x0
	;; [unrolled: 1-line block ×6, first 2 shown]
	s_or_b32 s6, s12, 0xc0
	s_mov_b32 s20, 0
	s_ashr_i32 s7, s6, 5
	s_cmp_lt_i32 s6, s17
	s_mov_b32 s27, s20
	s_cselect_b32 s6, s7, s4
	s_mov_b32 s21, s20
	s_ashr_i32 s7, s6, 31
	s_mov_b32 s22, s20
	s_lshl_b64 s[6:7], s[6:7], 2
	s_mov_b32 s23, s20
	s_add_u32 s6, s13, s6
	s_addc_u32 s7, s16, s7
	s_mov_b32 s24, s20
	s_mov_b32 s25, s20
	;; [unrolled: 1-line block ×3, first 2 shown]
	s_delay_alu instid0(SALU_CYCLE_1)
	v_dual_mov_b32 v136, s27 :: v_dual_mov_b32 v135, s26
	v_dual_mov_b32 v134, s25 :: v_dual_mov_b32 v133, s24
	v_mov_b32_e32 v130, s21
	v_dual_mov_b32 v132, s23 :: v_dual_mov_b32 v131, s22
	v_mov_b32_e32 v129, s20
	s_waitcnt lgkmcnt(0)
	s_mul_hi_i32 s9, s28, s5
	s_mul_i32 s8, s28, s5
	s_mul_hi_i32 s21, s29, s5
	s_mul_i32 s20, s29, s5
	;; [unrolled: 2-line block ×5, first 2 shown]
	s_waitcnt vmcnt(1)
	v_mad_i64_i32 v[3:4], null, v7, s5, 0
	s_waitcnt vmcnt(0)
	v_mad_i64_i32 v[5:6], null, v8, s5, 0
	s_delay_alu instid0(VALU_DEP_2) | instskip(NEXT) | instid1(VALU_DEP_2)
	v_lshlrev_b64 v[3:4], 1, v[3:4]
	v_lshlrev_b64 v[1:2], 1, v[5:6]
	s_delay_alu instid0(VALU_DEP_2) | instskip(NEXT) | instid1(VALU_DEP_3)
	v_add_co_u32 v3, vcc_lo, s15, v3
	v_add_co_ci_u32_e32 v4, vcc_lo, s19, v4, vcc_lo
	s_delay_alu instid0(VALU_DEP_3) | instskip(NEXT) | instid1(VALU_DEP_4)
	v_add_co_u32 v1, vcc_lo, s15, v1
	v_add_co_ci_u32_e32 v2, vcc_lo, s19, v2, vcc_lo
	s_delay_alu instid0(VALU_DEP_4) | instskip(NEXT) | instid1(VALU_DEP_4)
	v_add_co_u32 v57, vcc_lo, v3, v73
	v_add_co_ci_u32_e32 v58, vcc_lo, v4, v74, vcc_lo
	s_delay_alu instid0(VALU_DEP_4) | instskip(NEXT) | instid1(VALU_DEP_4)
	v_add_co_u32 v59, vcc_lo, v1, v73
	v_add_co_ci_u32_e32 v60, vcc_lo, v2, v74, vcc_lo
	s_clause 0xf
	global_load_b128 v[1:4], v[57:58], off
	global_load_b128 v[5:8], v[57:58], off offset:512
	global_load_b128 v[9:12], v[59:60], off offset:256
	;; [unrolled: 1-line block ×15, first 2 shown]
	v_add_co_u32 v157, vcc_lo, 0x1000, v57
	v_add_co_ci_u32_e32 v158, vcc_lo, 0, v58, vcc_lo
	v_add_co_u32 v165, vcc_lo, 0x1000, v59
	v_add_co_ci_u32_e32 v166, vcc_lo, 0, v60, vcc_lo
	s_clause 0x7
	global_load_b128 v[89:92], v[157:158], off
	global_load_b128 v[93:96], v[157:158], off offset:512
	global_load_b128 v[97:100], v[165:166], off offset:256
	;; [unrolled: 1-line block ×7, first 2 shown]
	ds_load_b128 v[57:60], v78
	ds_load_b128 v[61:64], v78 offset:1024
	s_clause 0x1
	global_load_b128 v[121:124], v[157:158], off offset:2048
	global_load_b128 v[125:128], v[157:158], off offset:2560
	ds_load_b128 v[65:68], v78 offset:2048
	ds_load_b128 v[69:72], v78 offset:3072
	s_clause 0x5
	global_load_b128 v[145:148], v[165:166], off offset:2304
	global_load_b128 v[149:152], v[165:166], off offset:2816
	;; [unrolled: 1-line block ×6, first 2 shown]
	s_or_b32 s15, s12, 0xe0
	s_delay_alu instid0(SALU_CYCLE_1) | instskip(SKIP_2) | instid1(SALU_CYCLE_1)
	s_ashr_i32 s19, s15, 5
	s_cmp_lt_i32 s15, s17
	s_cselect_b32 s22, s19, s4
	s_ashr_i32 s23, s22, 31
	s_delay_alu instid0(SALU_CYCLE_1) | instskip(NEXT) | instid1(SALU_CYCLE_1)
	s_lshl_b64 s[22:23], s[22:23], 2
	s_add_u32 s22, s13, s22
	s_addc_u32 s23, s16, s23
	s_add_i32 s15, s12, 0x100
	s_delay_alu instid0(SALU_CYCLE_1) | instskip(SKIP_2) | instid1(SALU_CYCLE_1)
	s_ashr_i32 s19, s15, 5
	s_cmp_lt_i32 s15, s17
	s_cselect_b32 s28, s19, s4
	s_ashr_i32 s29, s28, 31
	s_delay_alu instid0(SALU_CYCLE_1) | instskip(NEXT) | instid1(SALU_CYCLE_1)
	s_lshl_b64 s[28:29], s[28:29], 2
	s_add_u32 s28, s13, s28
	s_addc_u32 s29, s16, s29
	s_add_u32 s4, s10, s2
	s_addc_u32 s19, s11, s3
	s_lshl_b64 s[2:3], s[8:9], 1
	s_lshl_b64 s[8:9], s[20:21], 1
	;; [unrolled: 1-line block ×4, first 2 shown]
	s_waitcnt vmcnt(30) lgkmcnt(2)
	v_wmma_f32_16x16x16_f16 v[137:144], v[1:8], v[57:64], v[129:136]
	ds_load_b128 v[1:4], v78 offset:4096
	ds_load_b128 v[5:8], v78 offset:5120
	s_waitcnt vmcnt(28)
	v_wmma_f32_16x16x16_f16 v[129:136], v[9:16], v[57:64], v[129:136]
	ds_load_b128 v[9:12], v78 offset:6144
	ds_load_b128 v[13:16], v78 offset:7168
	s_waitcnt vmcnt(26) lgkmcnt(4)
	v_wmma_f32_16x16x16_f16 v[137:144], v[17:24], v[65:72], v[137:144]
	ds_load_b128 v[17:20], v78 offset:8192
	ds_load_b128 v[21:24], v78 offset:9216
	s_load_b32 s15, s[6:7], 0x0
	s_waitcnt vmcnt(24)
	v_wmma_f32_16x16x16_f16 v[129:136], v[25:32], v[65:72], v[129:136]
	v_lshl_or_b32 v25, v77, 10, v78
	s_mul_hi_i32 s7, s36, s5
	s_mul_i32 s6, s36, s5
	s_clause 0x1
	s_load_b32 s13, s[22:23], 0x0
	s_load_b32 s16, s[28:29], 0x0
	s_lshl_b64 s[6:7], s[6:7], 1
	v_add_co_u32 v169, s4, s4, v25
	s_delay_alu instid0(VALU_DEP_1) | instskip(SKIP_1) | instid1(VALU_DEP_2)
	v_add_co_ci_u32_e64 v170, null, s19, 0, s4
	s_lshl_b64 s[22:23], s[34:35], 1
	v_add_co_u32 v25, vcc_lo, v169, s2
	s_delay_alu instid0(VALU_DEP_2)
	v_add_co_ci_u32_e32 v26, vcc_lo, s3, v170, vcc_lo
	s_waitcnt vmcnt(22) lgkmcnt(0)
	v_wmma_f32_16x16x16_f16 v[137:144], v[33:40], v[1:8], v[137:144]
	s_waitcnt vmcnt(20)
	v_wmma_f32_16x16x16_f16 v[129:136], v[41:48], v[1:8], v[129:136]
	v_add_co_u32 v1, vcc_lo, v169, s8
	v_add_co_ci_u32_e32 v2, vcc_lo, s9, v170, vcc_lo
	v_add_co_u32 v3, vcc_lo, v169, s10
	v_add_co_ci_u32_e32 v4, vcc_lo, s11, v170, vcc_lo
	;; [unrolled: 2-line block ×3, first 2 shown]
	v_add_co_u32 v7, vcc_lo, v169, s6
	s_mul_hi_i32 s25, s15, s5
	s_mul_i32 s24, s15, s5
	v_add_co_ci_u32_e32 v8, vcc_lo, s7, v170, vcc_lo
	s_clause 0x1
	global_load_b128 v[65:68], v[25:26], off
	global_load_b128 v[69:72], v[25:26], off offset:16
	s_waitcnt vmcnt(20)
	v_wmma_f32_16x16x16_f16 v[137:144], v[49:56], v[9:16], v[137:144]
	s_clause 0x1
	global_load_b128 v[57:60], v[1:2], off
	global_load_b128 v[61:64], v[1:2], off offset:16
	s_waitcnt vmcnt(20)
	v_wmma_f32_16x16x16_f16 v[129:136], v[81:88], v[9:16], v[129:136]
	s_clause 0x5
	global_load_b128 v[49:52], v[3:4], off
	global_load_b128 v[53:56], v[3:4], off offset:16
	global_load_b128 v[33:36], v[5:6], off
	global_load_b128 v[37:40], v[5:6], off offset:16
	;; [unrolled: 2-line block ×3, first 2 shown]
	v_add_co_u32 v5, vcc_lo, v169, s22
	s_lshl_b64 s[2:3], s[24:25], 1
	v_add_co_ci_u32_e32 v6, vcc_lo, s23, v170, vcc_lo
	v_add_co_u32 v29, vcc_lo, v169, s2
	v_add_co_ci_u32_e32 v30, vcc_lo, s3, v170, vcc_lo
	s_waitcnt vmcnt(24)
	v_wmma_f32_16x16x16_f16 v[137:144], v[89:96], v[17:24], v[137:144]
	s_clause 0x1
	global_load_b128 v[1:4], v[5:6], off
	global_load_b128 v[5:8], v[5:6], off offset:16
	s_waitcnt vmcnt(24)
	v_wmma_f32_16x16x16_f16 v[129:136], v[97:104], v[17:24], v[129:136]
	s_clause 0x1
	global_load_b128 v[25:28], v[29:30], off
	global_load_b128 v[29:32], v[29:30], off offset:16
	ds_load_b128 v[17:20], v78 offset:10240
	ds_load_b128 v[21:24], v78 offset:11264
	s_mul_hi_i32 s7, s13, s5
	s_mul_i32 s6, s13, s5
	v_and_b32_e32 v89, 0xe0, v0
	s_lshl_b64 s[2:3], s[6:7], 1
	v_mbcnt_lo_u32_b32 v97, -1, 0
	v_add_co_u32 v45, vcc_lo, v169, s2
	v_add_co_ci_u32_e32 v46, vcc_lo, s3, v170, vcc_lo
	s_mul_hi_i32 s3, s16, s5
	s_mul_i32 s2, s16, s5
	s_clause 0x1
	global_load_b128 v[41:44], v[45:46], off
	global_load_b128 v[45:48], v[45:46], off offset:16
	s_lshl_b64 s[2:3], s[2:3], 1
	v_add_nc_u32_e32 v98, s12, v89
	v_add_co_u32 v81, vcc_lo, v169, s2
	v_add_co_ci_u32_e32 v82, vcc_lo, s3, v170, vcc_lo
	s_waitcnt vmcnt(26) lgkmcnt(0)
	v_wmma_f32_16x16x16_f16 v[137:144], v[105:112], v[17:24], v[137:144]
	s_waitcnt vmcnt(24)
	v_wmma_f32_16x16x16_f16 v[129:136], v[113:120], v[17:24], v[129:136]
	s_clause 0x1
	global_load_b128 v[17:20], v[81:82], off
	global_load_b128 v[21:24], v[81:82], off offset:16
	ds_load_b128 v[81:84], v78 offset:12288
	ds_load_b128 v[85:88], v78 offset:13312
	;; [unrolled: 1-line block ×4, first 2 shown]
	v_xor_b32_e32 v99, 16, v97
	v_or_b32_e32 v98, v98, v75
	s_waitcnt vmcnt(0) lgkmcnt(0)
	s_barrier
	buffer_gl0_inv
	v_cmp_gt_i32_e32 vcc_lo, 32, v99
	v_or_b32_e32 v100, 4, v98
	v_or_b32_e32 v101, 22, v98
	;; [unrolled: 1-line block ×5, first 2 shown]
	v_cmp_gt_i32_e64 s3, s17, v100
	v_cmp_gt_i32_e64 s12, s17, v101
	v_or_b32_e32 v105, 30, v98
	v_cmp_gt_i32_e64 s13, s17, v102
	v_cmp_gt_i32_e64 s15, s17, v103
	;; [unrolled: 1-line block ×3, first 2 shown]
	v_wmma_f32_16x16x16_f16 v[137:144], v[121:128], v[81:88], v[137:144]
	v_wmma_f32_16x16x16_f16 v[129:136], v[145:152], v[81:88], v[129:136]
	v_or_b32_e32 v81, 6, v98
	v_or_b32_e32 v82, 8, v98
	;; [unrolled: 1-line block ×3, first 2 shown]
	v_wmma_f32_16x16x16_f16 v[137:144], v[153:160], v[89:96], v[137:144]
	v_cndmask_b32_e32 v97, v97, v99, vcc_lo
	v_or_b32_e32 v99, 2, v98
	v_wmma_f32_16x16x16_f16 v[129:136], v[161:168], v[89:96], v[129:136]
	v_cmp_gt_i32_e32 vcc_lo, s17, v98
	v_dual_mul_f32 v96, s18, v137 :: v_dual_mul_f32 v95, s18, v138
	s_delay_alu instid0(VALU_DEP_4) | instskip(NEXT) | instid1(VALU_DEP_4)
	v_cmp_gt_i32_e64 s2, s17, v99
	v_mul_f32_e32 v110, s18, v132
	v_dual_mul_f32 v89, s18, v144 :: v_dual_mul_f32 v94, s18, v139
	v_dual_mul_f32 v93, s18, v140 :: v_dual_mul_f32 v108, s18, v134
	v_cndmask_b32_e32 v96, 0xff7fffff, v96, vcc_lo
	v_cndmask_b32_e64 v95, 0xff7fffff, v95, s2
	v_cmp_gt_i32_e64 s4, s17, v81
	v_or_b32_e32 v84, 12, v98
	v_or_b32_e32 v85, 14, v98
	v_dual_mul_f32 v91, s18, v142 :: v_dual_mul_f32 v106, s18, v136
	v_mul_f32_e32 v92, s18, v141
	v_cndmask_b32_e64 v94, 0xff7fffff, v94, s3
	v_cndmask_b32_e64 v81, 0xff7fffff, v93, s4
	v_max3_f32 v93, v96, 0xff7fffff, v95
	v_cmp_gt_i32_e64 s5, s17, v82
	v_cmp_gt_i32_e64 s6, s17, v83
	v_or_b32_e32 v86, 16, v98
	v_or_b32_e32 v87, 18, v98
	v_mul_f32_e32 v90, s18, v143
	v_cndmask_b32_e64 v82, 0xff7fffff, v92, s5
	v_cndmask_b32_e64 v83, 0xff7fffff, v91, s6
	v_max3_f32 v81, v93, v94, v81
	v_cmp_gt_i32_e64 s7, s17, v84
	v_cmp_gt_i32_e64 s8, s17, v85
	v_or_b32_e32 v88, 20, v98
	v_dual_mul_f32 v107, s18, v135 :: v_dual_mul_f32 v112, s18, v130
	v_mul_f32_e32 v113, s18, v129
	v_cndmask_b32_e64 v84, 0xff7fffff, v90, s7
	v_cndmask_b32_e64 v85, 0xff7fffff, v89, s8
	v_max3_f32 v81, v81, v82, v83
	v_cmp_gt_i32_e64 s9, s17, v86
	v_cmp_gt_i32_e64 s10, s17, v87
	v_mul_f32_e32 v111, s18, v131
	v_cmp_gt_i32_e64 s11, s17, v88
	v_max3_f32 v81, v81, v84, v85
	v_cndmask_b32_e64 v82, 0xff7fffff, v113, s9
	v_cndmask_b32_e64 v83, 0xff7fffff, v112, s10
	v_mul_f32_e32 v109, s18, v133
	v_cndmask_b32_e64 v84, 0xff7fffff, v111, s11
	v_cndmask_b32_e64 v85, 0xff7fffff, v110, s12
	v_cmp_gt_i32_e64 s17, s17, v105
	v_max3_f32 v81, v81, v82, v83
	v_cndmask_b32_e64 v82, 0xff7fffff, v109, s13
	v_cndmask_b32_e64 v83, 0xff7fffff, v108, s15
	s_delay_alu instid0(VALU_DEP_3) | instskip(SKIP_2) | instid1(VALU_DEP_3)
	v_max3_f32 v81, v81, v84, v85
	v_cndmask_b32_e64 v84, 0xff7fffff, v107, s16
	v_cndmask_b32_e64 v85, 0xff7fffff, v106, s17
	v_max3_f32 v81, v81, v82, v83
	v_lshlrev_b32_e32 v83, 2, v97
	s_delay_alu instid0(VALU_DEP_2) | instskip(SKIP_3) | instid1(VALU_DEP_1)
	v_max3_f32 v81, v81, v84, v85
	ds_bpermute_b32 v82, v83, v81
	s_waitcnt lgkmcnt(0)
	v_max_f32_e32 v82, v82, v82
	v_max_f32_e32 v81, v81, v82
	s_delay_alu instid0(VALU_DEP_1) | instskip(NEXT) | instid1(VALU_DEP_1)
	v_fma_f32 v88, s18, v141, -v81
	v_mul_f32_e32 v88, 0x3fb8aa3b, v88
	v_fma_f32 v82, s18, v137, -v81
	v_fma_f32 v84, s18, v138, -v81
	;; [unrolled: 1-line block ×5, first 2 shown]
	v_mul_f32_e32 v82, 0x3fb8aa3b, v82
	v_mul_f32_e32 v84, 0x3fb8aa3b, v84
	v_exp_f32_e32 v92, v88
	s_delay_alu instid0(VALU_DEP_3) | instskip(NEXT) | instid1(VALU_DEP_3)
	v_dual_mul_f32 v86, 0x3fb8aa3b, v86 :: v_dual_mul_f32 v91, 0x3fb8aa3b, v91
	v_exp_f32_e32 v82, v82
	s_delay_alu instid0(VALU_DEP_2) | instskip(SKIP_1) | instid1(VALU_DEP_2)
	v_exp_f32_e32 v84, v84
	v_fma_f32 v95, s18, v132, -v81
	v_exp_f32_e32 v90, v86
	v_exp_f32_e32 v93, v91
	v_fma_f32 v100, s18, v136, -v81
	v_fma_f32 v98, s18, v134, -v81
	v_cndmask_b32_e64 v91, 0, v92, s5
	v_fma_f32 v92, s18, v130, -v81
	v_mul_f32_e32 v97, 0x3fb8aa3b, v95
	v_cndmask_b32_e32 v87, 0, v82, vcc_lo
	v_mul_f32_e32 v85, 0x3fb8aa3b, v85
	v_cndmask_b32_e64 v86, 0, v84, s2
	v_fma_f32 v82, s18, v142, -v81
	v_cndmask_b32_e64 v88, 0, v90, s4
	v_add_f32_e32 v84, 0, v87
	v_exp_f32_e32 v85, v85
	v_fma_f32 v90, s18, v129, -v81
	v_mul_f32_e32 v82, 0x3fb8aa3b, v82
	v_mul_f32_e32 v92, 0x3fb8aa3b, v92
	v_exp_f32_e32 v99, v97
	v_cndmask_b32_e64 v93, 0, v93, s7
	v_mul_f32_e32 v98, 0x3fb8aa3b, v98
	v_exp_f32_e32 v82, v82
	v_exp_f32_e32 v96, v92
	s_mov_b32 s2, exec_lo
	v_cndmask_b32_e64 v89, 0, v85, s3
	v_fma_f32 v85, s18, v144, -v81
	v_add_f32_e32 v84, v84, v86
	v_exp_f32_e32 v98, v98
	s_delay_alu instid0(VALU_DEP_2) | instskip(NEXT) | instid1(VALU_DEP_2)
	v_mul_f32_e32 v85, 0x3fb8aa3b, v85
	v_add_f32_e32 v84, v84, v89
	s_delay_alu instid0(VALU_DEP_2) | instskip(NEXT) | instid1(VALU_DEP_1)
	v_exp_f32_e32 v85, v85
	v_add_f32_e32 v84, v84, v88
	s_waitcnt_depctr 0xfff
	v_cndmask_b32_e64 v98, 0, v98, s15
	v_cndmask_b32_e64 v92, 0, v85, s8
	v_fma_f32 v85, s18, v133, -v81
	v_mul_f32_e32 v94, 0x3fb8aa3b, v90
	v_cndmask_b32_e64 v90, 0, v82, s6
	v_add_f32_e32 v82, v84, v91
	v_fma_f32 v84, s18, v131, -v81
	v_mul_f32_e32 v85, 0x3fb8aa3b, v85
	v_exp_f32_e32 v94, v94
	s_delay_alu instid0(VALU_DEP_2) | instskip(NEXT) | instid1(VALU_DEP_2)
	v_mul_f32_e32 v84, 0x3fb8aa3b, v84
	v_exp_f32_e32 v85, v85
	s_delay_alu instid0(VALU_DEP_1) | instskip(NEXT) | instid1(TRANS32_DEP_3)
	v_exp_f32_e32 v84, v84
	v_cndmask_b32_e64 v95, 0, v94, s9
	v_cndmask_b32_e64 v94, 0, v96, s10
	v_fma_f32 v96, s18, v135, -v81
	s_waitcnt_depctr 0xfff
	v_cndmask_b32_e64 v97, 0, v84, s11
	v_mul_f32_e32 v84, 0x3fb8aa3b, v96
	v_cndmask_b32_e64 v96, 0, v99, s12
	v_cndmask_b32_e64 v99, 0, v85, s13
	v_dual_mul_f32 v85, 0x3fb8aa3b, v100 :: v_dual_add_f32 v82, v82, v90
	s_delay_alu instid0(VALU_DEP_4) | instskip(NEXT) | instid1(VALU_DEP_1)
	v_exp_f32_e32 v84, v84
	v_exp_f32_e32 v85, v85
	s_delay_alu instid0(VALU_DEP_1) | instskip(NEXT) | instid1(VALU_DEP_1)
	v_add_f32_e32 v82, v82, v93
	v_add_f32_e32 v82, v82, v92
	s_waitcnt_depctr 0xfff
	v_cndmask_b32_e64 v101, 0, v84, s16
	v_cndmask_b32_e64 v100, 0, v85, s17
	v_add_f32_e32 v82, v82, v95
	s_delay_alu instid0(VALU_DEP_1) | instskip(NEXT) | instid1(VALU_DEP_1)
	v_add_f32_e32 v82, v82, v94
	v_add_f32_e32 v82, v82, v97
	s_delay_alu instid0(VALU_DEP_1) | instskip(NEXT) | instid1(VALU_DEP_1)
	v_add_f32_e32 v82, v82, v96
	;; [unrolled: 3-line block ×3, first 2 shown]
	v_add_f32_e32 v82, v82, v101
	s_delay_alu instid0(VALU_DEP_1)
	v_add_f32_e32 v82, v82, v100
	ds_bpermute_b32 v83, v83, v82
	v_cmpx_gt_u32_e32 16, v80
	s_cbranch_execz .LBB341_14
; %bb.13:
	v_mul_u32_u24_e32 v80, 0x44, v77
	s_waitcnt lgkmcnt(0)
	v_add_f32_e32 v82, v82, v83
	s_delay_alu instid0(VALU_DEP_2) | instskip(NEXT) | instid1(VALU_DEP_1)
	v_lshl_add_u32 v80, v79, 2, v80
	v_add_nc_u32_e32 v80, 0x4000, v80
	ds_store_2addr_b32 v80, v81, v82 offset1:136
.LBB341_14:
	s_or_b32 exec_lo, exec_lo, s2
	v_lshlrev_b32_e32 v79, 2, v79
	s_load_b32 s34, s[0:1], 0x94
	s_waitcnt lgkmcnt(0)
	s_barrier
	buffer_gl0_inv
	v_add_nc_u32_e32 v83, 0x4000, v79
	v_cmp_eq_u32_e32 vcc_lo, 1, v77
	v_cmp_eq_u32_e64 s2, 2, v77
	v_cmp_eq_u32_e64 s3, 3, v77
	;; [unrolled: 1-line block ×3, first 2 shown]
	ds_load_2addr_b32 v[79:80], v83 offset1:17
	ds_load_2addr_b32 v[81:82], v83 offset0:34 offset1:51
	ds_load_2addr_b32 v[102:103], v83 offset0:68 offset1:85
	;; [unrolled: 1-line block ×3, first 2 shown]
	v_cmp_eq_u32_e64 s5, 7, v77
	s_waitcnt lgkmcnt(3)
	v_max3_f32 v84, v79, 0xff7fffff, v80
	s_waitcnt lgkmcnt(2)
	s_delay_alu instid0(VALU_DEP_1) | instskip(SKIP_1) | instid1(VALU_DEP_1)
	v_max3_f32 v84, v84, v81, v82
	s_waitcnt lgkmcnt(1)
	v_max3_f32 v84, v84, v102, v103
	s_waitcnt lgkmcnt(0)
	s_delay_alu instid0(VALU_DEP_1) | instskip(NEXT) | instid1(VALU_DEP_1)
	v_max3_f32 v84, v84, v104, v105
	v_sub_f32_e32 v102, v102, v84
	ds_load_2addr_b32 v[106:107], v83 offset0:136 offset1:153
	v_sub_f32_e32 v79, v79, v84
	v_dual_sub_f32 v109, v82, v84 :: v_dual_mul_f32 v112, 0x3fb8aa3b, v102
	s_delay_alu instid0(VALU_DEP_2) | instskip(SKIP_3) | instid1(VALU_DEP_1)
	v_dual_sub_f32 v85, v80, v84 :: v_dual_mul_f32 v108, 0x3fb8aa3b, v79
	ds_load_2addr_b32 v[79:80], v83 offset0:170 offset1:187
	v_mul_f32_e32 v85, 0x3fb8aa3b, v85
	v_exp_f32_e32 v108, v108
	v_exp_f32_e32 v111, v85
	v_mul_f32_e32 v109, 0x3fb8aa3b, v109
	s_waitcnt lgkmcnt(1)
	s_waitcnt_depctr 0xfff
	v_fma_f32 v85, v108, v106, 0
	v_sub_f32_e32 v106, v103, v84
	v_sub_f32_e32 v81, v81, v84
	v_exp_f32_e32 v109, v109
	ds_load_2addr_b32 v[102:103], v83 offset0:238 offset1:255
	v_dual_fmac_f32 v85, v111, v107 :: v_dual_mul_f32 v110, 0x3fb8aa3b, v81
	ds_load_2addr_b32 v[81:82], v83 offset0:204 offset1:221
	v_dual_sub_f32 v83, v104, v84 :: v_dual_mul_f32 v104, 0x3fb8aa3b, v106
	v_exp_f32_e32 v106, v112
	v_exp_f32_e32 v110, v110
	s_waitcnt lgkmcnt(0)
	s_delay_alu instid0(VALU_DEP_1)
	v_mul_f32_e32 v83, 0x3fb8aa3b, v83
	v_exp_f32_e32 v104, v104
	s_barrier
	buffer_gl0_inv
	v_fmac_f32_e32 v85, v110, v79
	v_sub_f32_e32 v79, v105, v84
	v_exp_f32_e32 v105, v83
	s_delay_alu instid0(VALU_DEP_2) | instskip(NEXT) | instid1(VALU_DEP_2)
	v_fmac_f32_e32 v85, v109, v80
	v_mul_f32_e32 v79, 0x3fb8aa3b, v79
	s_delay_alu instid0(VALU_DEP_2) | instskip(NEXT) | instid1(VALU_DEP_2)
	v_dual_cndmask_b32 v80, v108, v111 :: v_dual_fmac_f32 v85, v106, v81
	v_exp_f32_e32 v107, v79
	s_delay_alu instid0(VALU_DEP_1) | instskip(SKIP_2) | instid1(VALU_DEP_1)
	v_fmac_f32_e32 v85, v104, v82
	s_waitcnt_depctr 0xfff
	v_fmac_f32_e32 v85, v105, v102
	v_fmac_f32_e32 v85, v107, v103
	s_delay_alu instid0(VALU_DEP_1) | instskip(NEXT) | instid1(VALU_DEP_1)
	v_add_f32_e32 v102, 0x358637bd, v85
	v_div_scale_f32 v103, null, v102, v102, 1.0
	v_div_scale_f32 v108, vcc_lo, 1.0, v102, 1.0
	s_delay_alu instid0(VALU_DEP_2) | instskip(SKIP_2) | instid1(VALU_DEP_1)
	v_rcp_f32_e32 v112, v103
	s_waitcnt_depctr 0xfff
	v_fma_f32 v79, -v103, v112, 1.0
	v_fmac_f32_e32 v112, v79, v112
	v_cndmask_b32_e64 v79, v80, v110, s2
	v_cmp_eq_u32_e64 s2, 4, v77
	v_lshl_or_b32 v80, v77, 11, v78
	s_delay_alu instid0(VALU_DEP_4) | instskip(NEXT) | instid1(VALU_DEP_4)
	v_mul_f32_e32 v110, v108, v112
	v_cndmask_b32_e64 v81, v79, v109, s3
	v_cmp_eq_u32_e64 s3, 6, v77
	s_delay_alu instid0(VALU_DEP_4) | instskip(SKIP_3) | instid1(VALU_DEP_3)
	v_lshl_or_b32 v77, v75, 4, v80
	v_lshlrev_b32_e32 v79, 2, v75
	v_fma_f32 v82, -v103, v110, v108
	v_cndmask_b32_e64 v83, v81, v106, s2
	v_or_b32_e32 v81, 1, v79
	s_delay_alu instid0(VALU_DEP_3) | instskip(NEXT) | instid1(VALU_DEP_3)
	v_fmac_f32_e32 v110, v82, v112
	v_cndmask_b32_e64 v104, v83, v104, s4
	v_or_b32_e32 v83, 2, v79
	v_or_b32_e32 v82, 3, v79
	v_cmp_eq_u32_e64 s2, 1, v79
	v_fma_f32 v103, -v103, v110, v108
	v_cndmask_b32_e64 v104, v104, v105, s3
	v_cmp_eq_u32_e64 s8, 1, v81
	v_cmp_eq_u32_e64 s9, 1, v83
	;; [unrolled: 1-line block ×3, first 2 shown]
	v_div_fmas_f32 v103, v103, v112, v110
	v_cndmask_b32_e64 v104, v104, v107, s5
	v_cmp_eq_u32_e32 vcc_lo, 2, v79
	v_cmp_eq_u32_e64 s11, 2, v81
	v_cmp_eq_u32_e64 s13, 2, v83
	v_div_fixup_f32 v102, v103, v102, 1.0
	v_cmp_eq_u32_e64 s15, 2, v82
	v_cmp_eq_u32_e64 s17, 3, v82
	;; [unrolled: 1-line block ×4, first 2 shown]
	v_mul_f32_e32 v110, v104, v102
	v_cmp_eq_u32_e64 s16, 3, v83
	v_cmp_eq_u32_e64 s21, 4, v82
	;; [unrolled: 1-line block ×4, first 2 shown]
	v_fma_mixlo_f16 v102, v110, v87, 0
	v_fma_mixlo_f16 v103, v110, v89, 0
	v_fma_mixlo_f16 v104, v110, v91, 0
	v_fma_mixlo_f16 v105, v110, v93, 0
	v_fma_mixlo_f16 v106, v110, v95, 0
	v_fma_mixlo_f16 v107, v110, v97, 0
	v_fma_mixlo_f16 v108, v110, v99, 0
	v_fma_mixlo_f16 v109, v110, v101, 0
	v_fma_mixhi_f16 v102, v110, v86, 0
	v_fma_mixhi_f16 v103, v110, v88, 0
	;; [unrolled: 1-line block ×8, first 2 shown]
	ds_store_b128 v77, v[102:105]
	ds_store_b128 v77, v[106:109] offset:1024
	s_waitcnt lgkmcnt(0)
	s_barrier
	buffer_gl0_inv
	ds_load_b128 v[86:89], v80
	ds_load_b128 v[90:93], v80 offset:16
	ds_load_b128 v[94:97], v80 offset:1024
	;; [unrolled: 1-line block ×3, first 2 shown]
	v_cmp_eq_u32_e64 s20, 4, v83
	v_cmp_eq_u32_e64 s23, 5, v82
	;; [unrolled: 1-line block ×13, first 2 shown]
	s_waitcnt lgkmcnt(3)
	v_lshrrev_b32_e32 v102, 16, v86
	s_waitcnt lgkmcnt(2)
	v_lshrrev_b32_e32 v106, 16, v90
	;; [unrolled: 2-line block ×4, first 2 shown]
	v_lshrrev_b32_e32 v103, 16, v87
	v_cndmask_b32_e64 v118, v86, v102, s2
	v_cndmask_b32_e64 v119, v90, v106, s2
	;; [unrolled: 1-line block ×8, first 2 shown]
	v_lshrrev_b32_e32 v107, 16, v91
	v_cndmask_b32_e64 v102, v94, v110, s2
	v_cndmask_b32_e64 v106, v98, v114, s2
	v_cndmask_b32_e64 v124, v94, v110, s8
	v_cndmask_b32_e64 v126, v94, v110, s9
	v_cndmask_b32_e64 v94, v94, v110, s10
	v_cndmask_b32_e32 v110, v118, v87, vcc_lo
	v_cndmask_b32_e64 v118, v120, v87, s11
	v_cndmask_b32_e64 v120, v122, v87, s13
	;; [unrolled: 1-line block ×4, first 2 shown]
	v_lshrrev_b32_e32 v111, 16, v95
	v_lshrrev_b32_e32 v115, 16, v99
	v_cndmask_b32_e64 v125, v98, v114, s8
	v_cndmask_b32_e64 v127, v98, v114, s9
	v_cndmask_b32_e64 v98, v98, v114, s10
	v_cndmask_b32_e32 v114, v119, v91, vcc_lo
	v_cndmask_b32_e64 v119, v121, v91, s11
	v_cndmask_b32_e64 v121, v123, v91, s13
	v_cndmask_b32_e32 v90, v102, v95, vcc_lo
	v_cndmask_b32_e32 v91, v106, v99, vcc_lo
	v_cndmask_b32_e64 v102, v124, v95, s11
	v_cndmask_b32_e64 v86, v86, v103, s17
	v_cndmask_b32_e64 v87, v87, v107, s17
	v_lshrrev_b32_e32 v104, 16, v88
	v_lshrrev_b32_e32 v108, 16, v92
	v_cndmask_b32_e64 v106, v126, v95, s13
	v_cndmask_b32_e64 v94, v94, v95, s15
	;; [unrolled: 1-line block ×14, first 2 shown]
	v_lshrrev_b32_e32 v112, 16, v96
	v_cndmask_b32_e64 v98, v98, v88, s4
	v_cndmask_b32_e64 v103, v110, v92, s4
	;; [unrolled: 1-line block ×11, first 2 shown]
	v_lshrrev_b32_e32 v105, 16, v89
	v_lshrrev_b32_e32 v109, 16, v93
	v_cndmask_b32_e64 v92, v98, v104, s5
	v_cndmask_b32_e64 v98, v103, v108, s5
	;; [unrolled: 1-line block ×9, first 2 shown]
	v_lshrrev_b32_e32 v113, 16, v97
	v_cndmask_b32_e64 v88, v88, v112, s5
	v_cndmask_b32_e64 v92, v92, v89, s6
	;; [unrolled: 1-line block ×19, first 2 shown]
	v_perm_b32 v89, v87, v86, 0x5040100
	v_cndmask_b32_e64 v86, v125, v99, s11
	v_cndmask_b32_e64 v104, v88, v113, s7
	v_perm_b32 v88, v102, v98, 0x5040100
	v_perm_b32 v87, v103, v93, 0x5040100
	v_cndmask_b32_e64 v93, v106, v111, s16
	v_cndmask_b32_e64 v94, v94, v111, s17
	;; [unrolled: 1-line block ×5, first 2 shown]
	v_lshrrev_b32_e32 v116, 16, v100
	v_cndmask_b32_e64 v93, v93, v96, s20
	v_cndmask_b32_e64 v94, v94, v96, s21
	;; [unrolled: 1-line block ×11, first 2 shown]
	v_lshrrev_b32_e32 v117, 16, v101
	v_cndmask_b32_e64 v90, v90, v101, s6
	v_cndmask_b32_e64 v93, v93, v97, s25
	;; [unrolled: 1-line block ×12, first 2 shown]
	v_perm_b32 v86, v92, v91, 0x5040100
	v_perm_b32 v93, v94, v93, 0x5040100
	;; [unrolled: 1-line block ×5, first 2 shown]
	s_lshl_b32 s6, s33, 4
	s_mov_b32 s2, exec_lo
	ds_store_b128 v77, v[86:89]
	ds_store_b128 v77, v[90:93] offset:1024
	v_cmpx_gt_u32_e32 16, v0
	s_cbranch_execz .LBB341_16
; %bb.15:
	v_or_b32_e32 v86, s31, v0
	s_load_b128 s[8:11], s[0:1], 0x58
	s_delay_alu instid0(VALU_DEP_1) | instskip(NEXT) | instid1(VALU_DEP_1)
	v_mad_u64_u32 v[87:88], null, s6, s30, v[86:87]
	v_mad_u64_u32 v[88:89], null, v87, s34, s[14:15]
	s_delay_alu instid0(VALU_DEP_1) | instskip(NEXT) | instid1(VALU_DEP_1)
	v_ashrrev_i32_e32 v89, 31, v88
	v_lshlrev_b64 v[86:87], 2, v[88:89]
	s_waitcnt lgkmcnt(0)
	s_delay_alu instid0(VALU_DEP_1) | instskip(NEXT) | instid1(VALU_DEP_2)
	v_add_co_u32 v88, vcc_lo, s10, v86
	v_add_co_ci_u32_e32 v89, vcc_lo, s11, v87, vcc_lo
	v_add_co_u32 v86, vcc_lo, s8, v86
	v_add_co_ci_u32_e32 v87, vcc_lo, s9, v87, vcc_lo
	global_store_b32 v[88:89], v84, off
	global_store_b32 v[86:87], v85, off
.LBB341_16:
	s_or_b32 exec_lo, exec_lo, s2
	s_waitcnt lgkmcnt(0)
	s_waitcnt_vscnt null, 0x0
	s_barrier
	buffer_gl0_inv
	ds_load_b128 v[92:95], v78
	ds_load_b128 v[96:99], v78 offset:16
	ds_load_b128 v[104:107], v78 offset:1040
	;; [unrolled: 1-line block ×5, first 2 shown]
	v_cmp_eq_u32_e32 vcc_lo, 1, v83
	v_mov_b32_e32 v84, 0
	ds_load_b128 v[120:123], v78 offset:3088
	ds_load_b128 v[116:119], v78 offset:3072
	;; [unrolled: 1-line block ×4, first 2 shown]
	v_cmp_eq_u32_e64 s2, 1, v79
	v_cmp_eq_u32_e64 s3, 1, v82
	;; [unrolled: 1-line block ×3, first 2 shown]
	v_mov_b32_e32 v85, v84
	v_mov_b32_e32 v86, v84
	;; [unrolled: 1-line block ×7, first 2 shown]
	v_cmp_eq_u32_e64 s5, 2, v79
	s_waitcnt lgkmcnt(8)
	s_delay_alu instid0(VALU_DEP_2)
	v_wmma_f32_16x16x16_f16 v[84:91], v[65:72], v[92:99], v[84:91]
	ds_load_b128 v[69:72], v78 offset:5136
	ds_load_b128 v[65:68], v78 offset:5120
	;; [unrolled: 1-line block ×4, first 2 shown]
	s_waitcnt lgkmcnt(10)
	v_wmma_f32_16x16x16_f16 v[84:91], v[57:64], v[100:107], v[84:91]
	s_waitcnt lgkmcnt(8)
	s_delay_alu instid0(VALU_DEP_1)
	v_wmma_f32_16x16x16_f16 v[84:91], v[57:64], v[108:115], v[84:91]
	ds_load_b128 v[61:64], v78 offset:7184
	ds_load_b128 v[57:60], v78 offset:7168
	;; [unrolled: 1-line block ×4, first 2 shown]
	s_waitcnt lgkmcnt(10)
	v_wmma_f32_16x16x16_f16 v[84:91], v[49:56], v[116:123], v[84:91]
	s_waitcnt lgkmcnt(8)
	s_delay_alu instid0(VALU_DEP_1)
	v_wmma_f32_16x16x16_f16 v[84:91], v[49:56], v[124:131], v[84:91]
	ds_load_b128 v[53:56], v78 offset:9232
	ds_load_b128 v[49:52], v78 offset:9216
	s_waitcnt lgkmcnt(8)
	v_wmma_f32_16x16x16_f16 v[84:91], v[33:40], v[65:72], v[84:91]
	ds_load_b128 v[69:72], v78 offset:10256
	ds_load_b128 v[65:68], v78 offset:10240
	s_waitcnt lgkmcnt(8)
	;; [unrolled: 4-line block ×7, first 2 shown]
	s_barrier
	buffer_gl0_inv
	v_wmma_f32_16x16x16_f16 v[84:91], v[25:32], v[33:40], v[84:91]
	s_delay_alu instid0(VALU_DEP_1) | instskip(NEXT) | instid1(VALU_DEP_1)
	v_wmma_f32_16x16x16_f16 v[84:91], v[25:32], v[57:64], v[84:91]
	v_wmma_f32_16x16x16_f16 v[84:91], v[41:48], v[9:16], v[84:91]
	s_delay_alu instid0(VALU_DEP_1) | instskip(NEXT) | instid1(VALU_DEP_1)
	v_wmma_f32_16x16x16_f16 v[84:91], v[41:48], v[49:56], v[84:91]
	v_wmma_f32_16x16x16_f16 v[84:91], v[17:24], v[1:8], v[84:91]
	s_delay_alu instid0(VALU_DEP_1) | instskip(NEXT) | instid1(VALU_DEP_2)
	v_cvt_f16_f32_e32 v1, v84
	v_cvt_f16_f32_e32 v2, v85
	s_delay_alu instid0(VALU_DEP_3) | instskip(NEXT) | instid1(VALU_DEP_4)
	v_cvt_f16_f32_e32 v3, v86
	v_cvt_f16_f32_e32 v4, v87
	;; [unrolled: 1-line block ×6, first 2 shown]
	v_pack_b32_f16 v1, v1, v2
	v_pack_b32_f16 v2, v3, v4
	;; [unrolled: 1-line block ×3, first 2 shown]
	s_delay_alu instid0(VALU_DEP_4)
	v_pack_b32_f16 v4, v7, v8
	ds_store_b128 v77, v[1:4]
	s_waitcnt lgkmcnt(0)
	s_barrier
	buffer_gl0_inv
	ds_load_b128 v[1:4], v80
	ds_load_b128 v[5:8], v80 offset:16
	s_waitcnt lgkmcnt(1)
	v_lshrrev_b32_e32 v9, 16, v1
	s_waitcnt lgkmcnt(0)
	v_lshrrev_b32_e32 v13, 16, v5
	v_lshrrev_b32_e32 v10, 16, v2
	;; [unrolled: 1-line block ×4, first 2 shown]
	v_cndmask_b32_e64 v17, v1, v9, s2
	v_cndmask_b32_e64 v18, v5, v13, s2
	;; [unrolled: 1-line block ×3, first 2 shown]
	v_cmp_eq_u32_e64 s2, 2, v81
	v_cndmask_b32_e64 v20, v5, v13, s4
	v_cndmask_b32_e32 v21, v1, v9, vcc_lo
	v_cndmask_b32_e32 v22, v5, v13, vcc_lo
	v_cndmask_b32_e64 v1, v1, v9, s3
	v_cndmask_b32_e64 v5, v5, v13, s3
	v_cmp_eq_u32_e32 vcc_lo, 2, v83
	v_cmp_eq_u32_e64 s3, 2, v82
	v_cndmask_b32_e64 v9, v17, v2, s5
	v_cndmask_b32_e64 v13, v18, v6, s5
	;; [unrolled: 1-line block ×4, first 2 shown]
	v_cndmask_b32_e32 v19, v21, v2, vcc_lo
	v_cmp_eq_u32_e64 s2, 3, v83
	v_cndmask_b32_e32 v20, v22, v6, vcc_lo
	v_cndmask_b32_e64 v1, v1, v2, s3
	v_cmp_eq_u32_e32 vcc_lo, 3, v82
	v_cmp_eq_u32_e64 s4, 3, v79
	v_cndmask_b32_e64 v2, v5, v6, s3
	v_cmp_eq_u32_e64 s3, 3, v81
	v_cmp_eq_u32_e64 s5, 4, v79
	v_cndmask_b32_e32 v1, v1, v10, vcc_lo
	v_cndmask_b32_e64 v5, v9, v10, s4
	v_cndmask_b32_e64 v6, v13, v14, s4
	;; [unrolled: 1-line block ×3, first 2 shown]
	v_cmp_eq_u32_e64 s4, 4, v81
	v_cndmask_b32_e64 v13, v18, v14, s3
	v_cndmask_b32_e64 v17, v19, v10, s2
	;; [unrolled: 1-line block ×3, first 2 shown]
	v_cndmask_b32_e32 v2, v2, v14, vcc_lo
	v_cmp_eq_u32_e32 vcc_lo, 4, v83
	v_cmp_eq_u32_e64 s3, 4, v82
	v_lshrrev_b32_e32 v15, 16, v7
	v_cndmask_b32_e64 v5, v5, v3, s5
	v_cndmask_b32_e64 v6, v6, v7, s5
	v_cndmask_b32_e32 v14, v18, v7, vcc_lo
	v_cndmask_b32_e64 v9, v9, v3, s4
	v_cndmask_b32_e64 v10, v13, v7, s4
	v_cndmask_b32_e32 v13, v17, v3, vcc_lo
	v_cmp_eq_u32_e64 s2, 5, v83
	v_cndmask_b32_e64 v1, v1, v3, s3
	v_cmp_eq_u32_e32 vcc_lo, 5, v82
	v_cmp_eq_u32_e64 s4, 5, v79
	v_cndmask_b32_e64 v2, v2, v7, s3
	v_cmp_eq_u32_e64 s3, 5, v81
	v_cmp_eq_u32_e64 s5, 6, v79
	v_lshrrev_b32_e32 v12, 16, v4
	v_cndmask_b32_e64 v3, v5, v11, s4
	v_cndmask_b32_e64 v5, v6, v15, s4
	;; [unrolled: 1-line block ×3, first 2 shown]
	v_cmp_eq_u32_e64 s4, 6, v81
	v_cndmask_b32_e64 v7, v10, v15, s3
	v_cndmask_b32_e64 v9, v13, v11, s2
	;; [unrolled: 1-line block ×3, first 2 shown]
	v_cndmask_b32_e32 v1, v1, v11, vcc_lo
	v_cndmask_b32_e32 v2, v2, v15, vcc_lo
	v_cmp_eq_u32_e32 vcc_lo, 6, v83
	v_cmp_eq_u32_e64 s2, 6, v82
	v_lshrrev_b32_e32 v16, 16, v8
	v_cndmask_b32_e64 v3, v3, v4, s5
	v_cndmask_b32_e64 v5, v5, v8, s5
	v_cndmask_b32_e32 v9, v9, v4, vcc_lo
	v_cndmask_b32_e64 v6, v6, v4, s4
	v_cndmask_b32_e64 v7, v7, v8, s4
	v_cmp_eq_u32_e64 s3, 7, v83
	v_cndmask_b32_e32 v10, v10, v8, vcc_lo
	v_cndmask_b32_e64 v1, v1, v4, s2
	v_cmp_eq_u32_e32 vcc_lo, 7, v82
	v_cndmask_b32_e64 v2, v2, v8, s2
	v_cmp_eq_u32_e64 s2, 7, v79
	v_cmp_eq_u32_e64 s4, 7, v81
	v_cndmask_b32_e32 v1, v1, v12, vcc_lo
	s_delay_alu instid0(VALU_DEP_4) | instskip(NEXT) | instid1(VALU_DEP_4)
	v_cndmask_b32_e32 v2, v2, v16, vcc_lo
	v_cndmask_b32_e64 v8, v3, v12, s2
	s_delay_alu instid0(VALU_DEP_4)
	v_cndmask_b32_e64 v6, v6, v12, s4
	v_cndmask_b32_e64 v3, v9, v12, s3
	;; [unrolled: 1-line block ×5, first 2 shown]
	v_perm_b32 v4, v2, v1, 0x5040100
	s_mov_b32 s2, exec_lo
	v_perm_b32 v3, v9, v3, 0x5040100
	v_perm_b32 v2, v7, v6, 0x5040100
	v_perm_b32 v1, v5, v8, 0x5040100
	ds_store_b128 v77, v[1:4]
	s_waitcnt lgkmcnt(0)
	s_barrier
	buffer_gl0_inv
	v_cmpx_gt_u32_e32 32, v0
	s_cbranch_execz .LBB341_2
; %bb.17:
	s_load_b64 s[0:1], s[0:1], 0x68
	v_lshlrev_b32_e32 v0, 10, v0
	s_lshl_b32 s4, s34, 7
	v_or_b32_e32 v23, s31, v75
	s_mul_i32 s2, s4, s30
	v_lshlrev_b32_e32 v1, 4, v76
	v_lshlrev_b32_e32 v2, 6, v75
	s_mul_i32 s2, s2, s6
	v_and_b32_e32 v0, 0x3800, v0
	v_mul_lo_u32 v8, v23, s4
	s_ashr_i32 s3, s2, 31
	v_or_b32_e32 v3, 2, v23
	s_lshl_b64 s[2:3], s[2:3], 1
	v_or3_b32 v27, v0, v1, v2
	v_or_b32_e32 v11, 4, v23
	v_or_b32_e32 v18, 6, v23
	v_mul_lo_u32 v10, v3, s4
	v_ashrrev_i32_e32 v9, 31, v8
	ds_load_b128 v[0:3], v27
	ds_load_b128 v[4:7], v27 offset:128
	v_mul_lo_u32 v12, v11, s4
	s_waitcnt lgkmcnt(0)
	s_add_u32 s2, s0, s2
	s_addc_u32 s3, s1, s3
	s_lshl_b32 s0, s14, 7
	v_lshlrev_b64 v[8:9], 1, v[8:9]
	s_ashr_i32 s1, s0, 31
	v_ashrrev_i32_e32 v11, 31, v10
	s_lshl_b64 s[0:1], s[0:1], 1
	v_ashrrev_i32_e32 v13, 31, v12
	s_add_u32 s0, s2, s0
	s_addc_u32 s1, s3, s1
	v_add_co_u32 v30, vcc_lo, s0, v73
	v_add_co_ci_u32_e32 v31, vcc_lo, s1, v74, vcc_lo
	v_lshlrev_b64 v[16:17], 1, v[10:11]
	s_delay_alu instid0(VALU_DEP_3) | instskip(NEXT) | instid1(VALU_DEP_3)
	v_add_co_u32 v14, vcc_lo, v30, v8
	v_add_co_ci_u32_e32 v15, vcc_lo, v31, v9, vcc_lo
	ds_load_b128 v[8:11], v27 offset:256
	v_mul_lo_u32 v18, v18, s4
	v_or_b32_e32 v19, 8, v23
	v_add_co_u32 v16, vcc_lo, v30, v16
	global_store_b128 v[14:15], v[0:3], off
	v_lshlrev_b64 v[0:1], 1, v[12:13]
	v_add_co_ci_u32_e32 v17, vcc_lo, v31, v17, vcc_lo
	v_mul_lo_u32 v12, v19, s4
	v_ashrrev_i32_e32 v19, 31, v18
	v_or_b32_e32 v14, 10, v23
	global_store_b128 v[16:17], v[4:7], off
	v_add_co_u32 v4, vcc_lo, v30, v0
	v_add_co_ci_u32_e32 v5, vcc_lo, v31, v1, vcc_lo
	ds_load_b128 v[0:3], v27 offset:384
	v_ashrrev_i32_e32 v13, 31, v12
	v_lshlrev_b64 v[6:7], 1, v[18:19]
	v_mul_lo_u32 v14, v14, s4
	s_waitcnt lgkmcnt(1)
	global_store_b128 v[4:5], v[8:11], off
	v_or_b32_e32 v8, 12, v23
	v_lshlrev_b64 v[4:5], 1, v[12:13]
	v_add_co_u32 v20, vcc_lo, v30, v6
	v_or_b32_e32 v6, 14, v23
	v_ashrrev_i32_e32 v15, 31, v14
	v_mul_lo_u32 v22, v8, s4
	v_add_co_ci_u32_e32 v21, vcc_lo, v31, v7, vcc_lo
	v_add_co_u32 v24, vcc_lo, v30, v4
	v_mul_lo_u32 v26, v6, s4
	v_add_co_ci_u32_e32 v25, vcc_lo, v31, v5, vcc_lo
	v_lshlrev_b64 v[28:29], 1, v[14:15]
	ds_load_b128 v[4:7], v27 offset:512
	ds_load_b128 v[8:11], v27 offset:640
	;; [unrolled: 1-line block ×4, first 2 shown]
	v_ashrrev_i32_e32 v23, 31, v22
	v_ashrrev_i32_e32 v27, 31, v26
	v_add_co_u32 v28, vcc_lo, v30, v28
	s_delay_alu instid0(VALU_DEP_3) | instskip(SKIP_1) | instid1(VALU_DEP_4)
	v_lshlrev_b64 v[22:23], 1, v[22:23]
	v_add_co_ci_u32_e32 v29, vcc_lo, v31, v29, vcc_lo
	v_lshlrev_b64 v[26:27], 1, v[26:27]
	s_delay_alu instid0(VALU_DEP_3) | instskip(NEXT) | instid1(VALU_DEP_4)
	v_add_co_u32 v22, vcc_lo, v30, v22
	v_add_co_ci_u32_e32 v23, vcc_lo, v31, v23, vcc_lo
	s_delay_alu instid0(VALU_DEP_3) | instskip(NEXT) | instid1(VALU_DEP_4)
	v_add_co_u32 v26, vcc_lo, v30, v26
	v_add_co_ci_u32_e32 v27, vcc_lo, v31, v27, vcc_lo
	s_waitcnt lgkmcnt(4)
	global_store_b128 v[20:21], v[0:3], off
	s_waitcnt lgkmcnt(3)
	global_store_b128 v[24:25], v[4:7], off
	;; [unrolled: 2-line block ×5, first 2 shown]
	s_nop 0
	s_sendmsg sendmsg(MSG_DEALLOC_VGPRS)
	s_endpgm
	.section	.rodata,"a",@progbits
	.p2align	6, 0x0
	.amdhsa_kernel _Z39paged_attention_ll4mi_QKV_mfma16_kernelIDF16_DF16_LN4vllm18Fp8KVCacheDataTypeE0EhLi32ELi128ELi256ELb0ELi16EL8MFMAType0EEvPKT_PKT0_S8_ifPKiSA_SA_iPKfiiiPfSD_PS3_PT2_iSC_SC_
		.amdhsa_group_segment_fixed_size 17472
		.amdhsa_private_segment_fixed_size 0
		.amdhsa_kernarg_size 400
		.amdhsa_user_sgpr_count 13
		.amdhsa_user_sgpr_dispatch_ptr 0
		.amdhsa_user_sgpr_queue_ptr 0
		.amdhsa_user_sgpr_kernarg_segment_ptr 1
		.amdhsa_user_sgpr_dispatch_id 0
		.amdhsa_user_sgpr_private_segment_size 0
		.amdhsa_wavefront_size32 1
		.amdhsa_uses_dynamic_stack 0
		.amdhsa_enable_private_segment 0
		.amdhsa_system_sgpr_workgroup_id_x 1
		.amdhsa_system_sgpr_workgroup_id_y 1
		.amdhsa_system_sgpr_workgroup_id_z 1
		.amdhsa_system_sgpr_workgroup_info 0
		.amdhsa_system_vgpr_workitem_id 0
		.amdhsa_next_free_vgpr 171
		.amdhsa_next_free_sgpr 38
		.amdhsa_reserve_vcc 1
		.amdhsa_float_round_mode_32 0
		.amdhsa_float_round_mode_16_64 0
		.amdhsa_float_denorm_mode_32 3
		.amdhsa_float_denorm_mode_16_64 3
		.amdhsa_dx10_clamp 1
		.amdhsa_ieee_mode 1
		.amdhsa_fp16_overflow 0
		.amdhsa_workgroup_processor_mode 1
		.amdhsa_memory_ordered 1
		.amdhsa_forward_progress 0
		.amdhsa_shared_vgpr_count 0
		.amdhsa_exception_fp_ieee_invalid_op 0
		.amdhsa_exception_fp_denorm_src 0
		.amdhsa_exception_fp_ieee_div_zero 0
		.amdhsa_exception_fp_ieee_overflow 0
		.amdhsa_exception_fp_ieee_underflow 0
		.amdhsa_exception_fp_ieee_inexact 0
		.amdhsa_exception_int_div_zero 0
	.end_amdhsa_kernel
	.section	.text._Z39paged_attention_ll4mi_QKV_mfma16_kernelIDF16_DF16_LN4vllm18Fp8KVCacheDataTypeE0EhLi32ELi128ELi256ELb0ELi16EL8MFMAType0EEvPKT_PKT0_S8_ifPKiSA_SA_iPKfiiiPfSD_PS3_PT2_iSC_SC_,"axG",@progbits,_Z39paged_attention_ll4mi_QKV_mfma16_kernelIDF16_DF16_LN4vllm18Fp8KVCacheDataTypeE0EhLi32ELi128ELi256ELb0ELi16EL8MFMAType0EEvPKT_PKT0_S8_ifPKiSA_SA_iPKfiiiPfSD_PS3_PT2_iSC_SC_,comdat
.Lfunc_end341:
	.size	_Z39paged_attention_ll4mi_QKV_mfma16_kernelIDF16_DF16_LN4vllm18Fp8KVCacheDataTypeE0EhLi32ELi128ELi256ELb0ELi16EL8MFMAType0EEvPKT_PKT0_S8_ifPKiSA_SA_iPKfiiiPfSD_PS3_PT2_iSC_SC_, .Lfunc_end341-_Z39paged_attention_ll4mi_QKV_mfma16_kernelIDF16_DF16_LN4vllm18Fp8KVCacheDataTypeE0EhLi32ELi128ELi256ELb0ELi16EL8MFMAType0EEvPKT_PKT0_S8_ifPKiSA_SA_iPKfiiiPfSD_PS3_PT2_iSC_SC_
                                        ; -- End function
	.section	.AMDGPU.csdata,"",@progbits
; Kernel info:
; codeLenInByte = 7728
; NumSgprs: 40
; NumVgprs: 171
; ScratchSize: 0
; MemoryBound: 0
; FloatMode: 240
; IeeeMode: 1
; LDSByteSize: 17472 bytes/workgroup (compile time only)
; SGPRBlocks: 4
; VGPRBlocks: 21
; NumSGPRsForWavesPerEU: 40
; NumVGPRsForWavesPerEU: 171
; Occupancy: 8
; WaveLimiterHint : 1
; COMPUTE_PGM_RSRC2:SCRATCH_EN: 0
; COMPUTE_PGM_RSRC2:USER_SGPR: 13
; COMPUTE_PGM_RSRC2:TRAP_HANDLER: 0
; COMPUTE_PGM_RSRC2:TGID_X_EN: 1
; COMPUTE_PGM_RSRC2:TGID_Y_EN: 1
; COMPUTE_PGM_RSRC2:TGID_Z_EN: 1
; COMPUTE_PGM_RSRC2:TIDIG_COMP_CNT: 0
	.section	.text._Z39paged_attention_ll4mi_QKV_mfma16_kernelIDF16_DF16_LN4vllm18Fp8KVCacheDataTypeE0EhLi32ELi128ELi256ELb0ELi1EL8MFMAType0EEvPKT_PKT0_S8_ifPKiSA_SA_iPKfiiiPfSD_PS3_PT2_iSC_SC_,"axG",@progbits,_Z39paged_attention_ll4mi_QKV_mfma16_kernelIDF16_DF16_LN4vllm18Fp8KVCacheDataTypeE0EhLi32ELi128ELi256ELb0ELi1EL8MFMAType0EEvPKT_PKT0_S8_ifPKiSA_SA_iPKfiiiPfSD_PS3_PT2_iSC_SC_,comdat
	.protected	_Z39paged_attention_ll4mi_QKV_mfma16_kernelIDF16_DF16_LN4vllm18Fp8KVCacheDataTypeE0EhLi32ELi128ELi256ELb0ELi1EL8MFMAType0EEvPKT_PKT0_S8_ifPKiSA_SA_iPKfiiiPfSD_PS3_PT2_iSC_SC_ ; -- Begin function _Z39paged_attention_ll4mi_QKV_mfma16_kernelIDF16_DF16_LN4vllm18Fp8KVCacheDataTypeE0EhLi32ELi128ELi256ELb0ELi1EL8MFMAType0EEvPKT_PKT0_S8_ifPKiSA_SA_iPKfiiiPfSD_PS3_PT2_iSC_SC_
	.globl	_Z39paged_attention_ll4mi_QKV_mfma16_kernelIDF16_DF16_LN4vllm18Fp8KVCacheDataTypeE0EhLi32ELi128ELi256ELb0ELi1EL8MFMAType0EEvPKT_PKT0_S8_ifPKiSA_SA_iPKfiiiPfSD_PS3_PT2_iSC_SC_
	.p2align	8
	.type	_Z39paged_attention_ll4mi_QKV_mfma16_kernelIDF16_DF16_LN4vllm18Fp8KVCacheDataTypeE0EhLi32ELi128ELi256ELb0ELi1EL8MFMAType0EEvPKT_PKT0_S8_ifPKiSA_SA_iPKfiiiPfSD_PS3_PT2_iSC_SC_,@function
_Z39paged_attention_ll4mi_QKV_mfma16_kernelIDF16_DF16_LN4vllm18Fp8KVCacheDataTypeE0EhLi32ELi128ELi256ELb0ELi1EL8MFMAType0EEvPKT_PKT0_S8_ifPKiSA_SA_iPKfiiiPfSD_PS3_PT2_iSC_SC_: ; @_Z39paged_attention_ll4mi_QKV_mfma16_kernelIDF16_DF16_LN4vllm18Fp8KVCacheDataTypeE0EhLi32ELi128ELi256ELb0ELi1EL8MFMAType0EEvPKT_PKT0_S8_ifPKiSA_SA_iPKfiiiPfSD_PS3_PT2_iSC_SC_
; %bb.0:
	s_load_b64 s[4:5], s[0:1], 0x30
	s_mov_b32 s34, s13
	s_waitcnt lgkmcnt(0)
	s_cmp_lg_u64 s[4:5], 0
	s_cselect_b32 s6, -1, 0
	s_ashr_i32 s35, s13, 31
	s_cmp_eq_u64 s[4:5], 0
	s_cbranch_scc1 .LBB342_3
; %bb.1:
	s_lshl_b64 s[2:3], s[34:35], 2
	s_delay_alu instid0(SALU_CYCLE_1) | instskip(SKIP_4) | instid1(SALU_CYCLE_1)
	s_add_u32 s2, s4, s2
	s_addc_u32 s3, s5, s3
	s_load_b64 s[2:3], s[2:3], 0x0
	s_waitcnt lgkmcnt(0)
	s_sub_i32 s2, s3, s2
	s_cmp_eq_u32 s2, 1
	s_cselect_b32 s2, -1, 0
	s_delay_alu instid0(SALU_CYCLE_1)
	s_and_not1_b32 vcc_lo, exec_lo, s2
	s_cbranch_vccz .LBB342_4
.LBB342_2:
	s_endpgm
.LBB342_3:
.LBB342_4:
	s_load_b64 s[2:3], s[0:1], 0x28
	s_lshl_b64 s[8:9], s[34:35], 2
	s_waitcnt lgkmcnt(0)
	s_add_u32 s2, s2, s8
	s_addc_u32 s3, s3, s9
	s_lshl_b32 s84, s14, 8
	s_load_b32 s33, s[2:3], 0x0
	s_waitcnt lgkmcnt(0)
	s_cmp_ge_i32 s84, s33
	s_cbranch_scc1 .LBB342_2
; %bb.5:
	s_clause 0x1
	s_load_b128 s[80:83], s[0:1], 0x8
	s_load_b64 s[2:3], s[0:1], 0x20
	s_and_not1_b32 vcc_lo, exec_lo, s6
	s_mov_b64 s[6:7], s[34:35]
	s_cbranch_vccnz .LBB342_7
; %bb.6:
	s_add_u32 s4, s4, s8
	s_addc_u32 s5, s5, s9
	s_load_b32 s6, s[4:5], 0x0
.LBB342_7:
	s_load_b128 s[76:79], s[0:1], 0x48
	v_and_b32_e32 v81, 15, v0
	s_mov_b32 s12, exec_lo
                                        ; implicit-def: $sgpr52
                                        ; implicit-def: $sgpr36
                                        ; implicit-def: $sgpr44
                                        ; implicit-def: $sgpr60
                                        ; implicit-def: $sgpr68
                                        ; implicit-def: $sgpr24
                                        ; implicit-def: $sgpr4
                                        ; implicit-def: $sgpr16
	s_delay_alu instid0(VALU_DEP_1)
	v_cmpx_eq_u32_e32 0, v81
	s_cbranch_execz .LBB342_9
; %bb.8:
	s_load_b64 s[4:5], s[0:1], 0x0
	s_waitcnt lgkmcnt(0)
	s_mul_hi_i32 s7, s6, s76
	s_mul_i32 s6, s6, s76
	s_delay_alu instid0(SALU_CYCLE_1) | instskip(NEXT) | instid1(SALU_CYCLE_1)
	s_lshl_b64 s[6:7], s[6:7], 1
	s_add_u32 s6, s4, s6
	s_addc_u32 s7, s5, s7
	s_lshl_b32 s4, s15, 7
	s_delay_alu instid0(SALU_CYCLE_1) | instskip(NEXT) | instid1(SALU_CYCLE_1)
	s_ashr_i32 s5, s4, 31
	s_lshl_b64 s[4:5], s[4:5], 1
	s_delay_alu instid0(SALU_CYCLE_1)
	s_add_u32 s16, s6, s4
	s_addc_u32 s17, s7, s5
	s_clause 0x7
	s_load_b256 s[52:59], s[16:17], 0x0
	s_load_b256 s[36:43], s[16:17], 0x20
	;; [unrolled: 1-line block ×8, first 2 shown]
.LBB342_9:
	s_or_b32 exec_lo, exec_lo, s12
	v_and_b32_e32 v1, 0xef, v0
	s_add_i32 s35, s33, 31
	s_load_b32 s13, s[0:1], 0x38
	s_waitcnt lgkmcnt(0)
	s_ashr_i32 s76, s35, 31
	s_mul_i32 s12, s15, s78
	s_load_b32 s78, s[0:1], 0x1c
	v_add_nc_u32_e32 v2, s84, v1
	s_lshr_b32 s76, s76, 27
	v_lshrrev_b32_e32 v84, 5, v0
	s_add_i32 s35, s35, s76
	v_mov_b32_e32 v164, s31
	v_ashrrev_i32_e32 v1, 31, v2
	v_cmp_gt_i32_e32 vcc_lo, s33, v2
	s_ashr_i32 s79, s35, 5
	v_mov_b32_e32 v163, s30
	s_add_i32 s79, s79, -1
	v_lshrrev_b32_e32 v3, 27, v1
	v_dual_mov_b32 v162, s29 :: v_dual_mov_b32 v161, s28
	v_dual_mov_b32 v160, s27 :: v_dual_mov_b32 v159, s26
	s_delay_alu instid0(VALU_DEP_3)
	v_add_nc_u32_e32 v1, v2, v3
	v_or_b32_e32 v2, 16, v2
	s_mul_i32 s86, s34, s13
	v_mov_b32_e32 v158, s25
	s_ashr_i32 s87, s86, 31
	v_ashrrev_i32_e32 v1, 5, v1
	v_add_nc_u32_e32 v3, v2, v3
	s_lshl_b64 s[86:87], s[86:87], 2
	v_mov_b32_e32 v157, s24
	s_add_u32 s35, s2, s86
	v_cndmask_b32_e32 v1, s79, v1, vcc_lo
	v_ashrrev_i32_e32 v3, 5, v3
	v_cmp_gt_i32_e32 vcc_lo, s33, v2
	s_addc_u32 s76, s3, s87
	s_ashr_i32 s13, s12, 31
	v_ashrrev_i32_e32 v2, 31, v1
	s_lshl_b64 s[2:3], s[12:13], 1
	v_cndmask_b32_e32 v3, s79, v3, vcc_lo
	s_add_u32 s85, s80, s2
	s_addc_u32 s94, s81, s3
	v_lshlrev_b64 v[1:2], 2, v[1:2]
	s_lshl_b32 s12, s14, 3
	v_ashrrev_i32_e32 v4, 31, v3
	s_ashr_i32 s13, s12, 31
	s_delay_alu instid0(SALU_CYCLE_1) | instskip(NEXT) | instid1(VALU_DEP_2)
	s_lshl_b64 s[12:13], s[12:13], 2
	v_add_co_u32 v1, vcc_lo, s35, v1
	s_delay_alu instid0(VALU_DEP_2) | instskip(SKIP_4) | instid1(VALU_DEP_2)
	v_lshlrev_b64 v[3:4], 2, v[3:4]
	v_add_co_ci_u32_e32 v2, vcc_lo, s76, v2, vcc_lo
	s_add_u32 s12, s35, s12
	s_addc_u32 s13, s76, s13
	s_or_b32 s80, s84, 32
	v_add_co_u32 v3, vcc_lo, s35, v3
	v_add_co_ci_u32_e32 v4, vcc_lo, s76, v4, vcc_lo
	s_clause 0x1
	global_load_b32 v5, v[1:2], off
	global_load_b32 v6, v[3:4], off
	s_ashr_i32 s81, s80, 5
	s_cmp_lt_i32 s80, s33
	s_cselect_b32 s80, s81, s79
	s_delay_alu instid0(SALU_CYCLE_1) | instskip(NEXT) | instid1(SALU_CYCLE_1)
	s_ashr_i32 s81, s80, 31
	s_lshl_b64 s[80:81], s[80:81], 2
	s_delay_alu instid0(SALU_CYCLE_1) | instskip(SKIP_2) | instid1(SALU_CYCLE_1)
	s_add_u32 s80, s35, s80
	s_addc_u32 s81, s76, s81
	s_or_b32 s86, s84, 64
	s_ashr_i32 s87, s86, 5
	s_cmp_lt_i32 s86, s33
	s_cselect_b32 s86, s87, s79
	s_delay_alu instid0(SALU_CYCLE_1) | instskip(NEXT) | instid1(SALU_CYCLE_1)
	s_ashr_i32 s87, s86, 31
	s_lshl_b64 s[86:87], s[86:87], 2
	s_delay_alu instid0(SALU_CYCLE_1) | instskip(SKIP_2) | instid1(SALU_CYCLE_1)
	s_add_u32 s86, s35, s86
	s_addc_u32 s87, s76, s87
	s_or_b32 s88, s84, 0x60
	;; [unrolled: 10-line block ×4, first 2 shown]
	s_ashr_i32 s93, s92, 5
	s_cmp_lt_i32 s92, s33
	s_cselect_b32 s92, s93, s79
	s_delay_alu instid0(SALU_CYCLE_1) | instskip(NEXT) | instid1(SALU_CYCLE_1)
	s_ashr_i32 s93, s92, 31
	s_lshl_b64 s[92:93], s[92:93], 2
	s_delay_alu instid0(SALU_CYCLE_1)
	s_add_u32 s92, s35, s92
	s_addc_u32 s93, s76, s93
	s_clause 0x5
	s_load_b32 s13, s[12:13], 0x0
	s_load_b32 s80, s[80:81], 0x0
	;; [unrolled: 1-line block ×6, first 2 shown]
	s_mov_b32 s88, 0
	s_delay_alu instid0(SALU_CYCLE_1)
	s_mov_b32 s89, s88
	s_mov_b32 s90, s88
	;; [unrolled: 1-line block ×6, first 2 shown]
	s_waitcnt lgkmcnt(0)
	s_mul_hi_i32 s27, s13, s77
	s_mul_i32 s26, s13, s77
	s_mul_hi_i32 s29, s80, s77
	s_mul_i32 s28, s80, s77
	s_waitcnt vmcnt(1)
	v_mad_i64_i32 v[1:2], null, v5, s77, 0
	s_waitcnt vmcnt(0)
	v_mad_i64_i32 v[3:4], null, v6, s77, 0
	v_lshlrev_b32_e32 v5, 4, v81
	s_delay_alu instid0(VALU_DEP_3) | instskip(NEXT) | instid1(VALU_DEP_3)
	v_lshlrev_b64 v[1:2], 1, v[1:2]
	v_lshlrev_b64 v[3:4], 1, v[3:4]
	s_delay_alu instid0(VALU_DEP_2) | instskip(NEXT) | instid1(VALU_DEP_3)
	v_add_co_u32 v1, vcc_lo, s85, v1
	v_add_co_ci_u32_e32 v2, vcc_lo, s94, v2, vcc_lo
	s_delay_alu instid0(VALU_DEP_3) | instskip(NEXT) | instid1(VALU_DEP_4)
	v_add_co_u32 v3, vcc_lo, s85, v3
	v_add_co_ci_u32_e32 v4, vcc_lo, s94, v4, vcc_lo
	s_delay_alu instid0(VALU_DEP_4) | instskip(NEXT) | instid1(VALU_DEP_4)
	v_add_co_u32 v65, vcc_lo, v1, v5
	v_add_co_ci_u32_e32 v66, vcc_lo, 0, v2, vcc_lo
	s_delay_alu instid0(VALU_DEP_4) | instskip(NEXT) | instid1(VALU_DEP_4)
	v_add_co_u32 v67, vcc_lo, v3, v5
	v_add_co_ci_u32_e32 v68, vcc_lo, 0, v4, vcc_lo
	s_clause 0xf
	global_load_b128 v[1:4], v[65:66], off
	global_load_b128 v[5:8], v[65:66], off offset:512
	global_load_b128 v[9:12], v[67:68], off offset:256
	;; [unrolled: 1-line block ×15, first 2 shown]
	v_add_co_u32 v73, vcc_lo, 0x1000, v65
	v_add_co_ci_u32_e32 v74, vcc_lo, 0, v66, vcc_lo
	v_add_co_u32 v82, vcc_lo, 0x1000, v67
	v_add_co_ci_u32_e32 v83, vcc_lo, 0, v68, vcc_lo
	s_clause 0xf
	global_load_b128 v[85:88], v[73:74], off
	global_load_b128 v[89:92], v[73:74], off offset:512
	global_load_b128 v[93:96], v[82:83], off offset:256
	global_load_b128 v[97:100], v[82:83], off offset:768
	global_load_b128 v[101:104], v[73:74], off offset:1024
	global_load_b128 v[105:108], v[73:74], off offset:1536
	global_load_b128 v[109:112], v[82:83], off offset:1280
	global_load_b128 v[113:116], v[82:83], off offset:1792
	global_load_b128 v[117:120], v[73:74], off offset:2048
	global_load_b128 v[121:124], v[73:74], off offset:2560
	global_load_b128 v[125:128], v[82:83], off offset:2304
	global_load_b128 v[129:132], v[82:83], off offset:2816
	global_load_b128 v[133:136], v[73:74], off offset:3072
	global_load_b128 v[137:140], v[73:74], off offset:3584
	global_load_b128 v[149:152], v[82:83], off offset:3328
	global_load_b128 v[153:156], v[82:83], off offset:3840
	s_mov_b32 s94, s88
	v_mov_b32_e32 v72, s59
	v_dual_mov_b32 v66, s53 :: v_dual_mov_b32 v73, s88
	v_dual_mov_b32 v80, s95 :: v_dual_mov_b32 v71, s58
	;; [unrolled: 1-line block ×3, first 2 shown]
	v_mov_b32_e32 v74, s89
	v_dual_mov_b32 v68, s55 :: v_dual_mov_b32 v67, s54
	v_dual_mov_b32 v76, s91 :: v_dual_mov_b32 v65, s52
	;; [unrolled: 1-line block ×3, first 2 shown]
	v_mov_b32_e32 v77, s92
	v_mov_b32_e32 v79, s94
	v_lshlrev_b32_e32 v83, 6, v81
	v_bfe_u32 v82, v0, 4, 1
	s_waitcnt vmcnt(30)
	s_delay_alu instid0(VALU_DEP_3)
	v_wmma_f32_16x16x16_f16 v[141:148], v[1:8], v[65:72], v[73:80]
	v_dual_mov_b32 v1, s36 :: v_dual_mov_b32 v8, s43
	v_dual_mov_b32 v2, s37 :: v_dual_mov_b32 v3, s38
	;; [unrolled: 1-line block ×3, first 2 shown]
	v_mov_b32_e32 v6, s41
	s_waitcnt vmcnt(28)
	v_wmma_f32_16x16x16_f16 v[73:80], v[9:16], v[65:72], v[73:80]
	v_mov_b32_e32 v7, s42
	s_or_b32 s36, s84, 0xc0
	v_dual_mov_b32 v9, s44 :: v_dual_mov_b32 v16, s51
	s_ashr_i32 s37, s36, 5
	v_mov_b32_e32 v10, s45
	v_mov_b32_e32 v12, s47
	;; [unrolled: 1-line block ×3, first 2 shown]
	s_waitcnt vmcnt(24)
	v_wmma_f32_16x16x16_f16 v[73:80], v[25:32], v[1:8], v[73:80]
	v_dual_mov_b32 v25, s68 :: v_dual_mov_b32 v32, s75
	s_cmp_lt_i32 s36, s33
	v_mov_b32_e32 v27, s70
	v_mov_b32_e32 v29, s72
	;; [unrolled: 1-line block ×3, first 2 shown]
	s_cselect_b32 s24, s37, s79
	v_wmma_f32_16x16x16_f16 v[141:148], v[17:24], v[1:8], v[141:148]
	s_ashr_i32 s25, s24, 31
	v_mov_b32_e32 v11, s46
	s_lshl_b64 s[24:25], s[24:25], 2
	v_mov_b32_e32 v13, s48
	s_add_u32 s24, s35, s24
	s_addc_u32 s25, s76, s25
	s_or_b32 s13, s84, 0xe0
	v_mov_b32_e32 v15, s50
	s_ashr_i32 s30, s13, 5
	s_cmp_lt_i32 s13, s33
	v_dual_mov_b32 v1, s60 :: v_dual_mov_b32 v8, s67
	s_cselect_b32 s30, s30, s79
	v_mov_b32_e32 v2, s61
	s_ashr_i32 s31, s30, 31
	v_mov_b32_e32 v4, s63
	s_lshl_b64 s[30:31], s[30:31], 2
	v_mov_b32_e32 v6, s65
	s_add_u32 s30, s35, s30
	s_addc_u32 s31, s76, s31
	s_add_i32 s13, s84, 0x100
	s_waitcnt vmcnt(22)
	v_wmma_f32_16x16x16_f16 v[141:148], v[33:40], v[9:16], v[141:148]
	s_ashr_i32 s40, s13, 5
	s_cmp_lt_i32 s13, s33
	s_waitcnt vmcnt(20)
	v_wmma_f32_16x16x16_f16 v[73:80], v[41:48], v[9:16], v[73:80]
	s_cselect_b32 s40, s40, s79
	v_lshl_or_b32 v9, v84, 10, v83
	s_ashr_i32 s41, s40, 31
	s_load_b32 s42, s[24:25], 0x0
	s_lshl_b64 s[40:41], s[40:41], 2
	s_mul_hi_i32 s37, s81, s77
	s_add_u32 s40, s35, s40
	s_addc_u32 s41, s76, s41
	s_add_u32 s35, s82, s2
	s_clause 0x1
	s_load_b32 s43, s[30:31], 0x0
	s_load_b32 s40, s[40:41], 0x0
	s_addc_u32 s41, s83, s3
	v_add_co_u32 v35, s35, s35, v9
	s_delay_alu instid0(VALU_DEP_1) | instskip(SKIP_2) | instid1(VALU_DEP_2)
	v_add_co_ci_u32_e64 v36, null, s41, 0, s35
	s_lshl_b64 s[2:3], s[26:27], 1
	s_lshl_b64 s[26:27], s[28:29], 1
	v_add_co_u32 v9, vcc_lo, v35, s2
	s_mul_i32 s36, s81, s77
	v_add_co_ci_u32_e32 v10, vcc_lo, s3, v36, vcc_lo
	v_add_co_u32 v11, vcc_lo, v35, s26
	s_lshl_b64 s[28:29], s[36:37], 1
	s_mul_hi_i32 s39, s86, s77
	s_mul_i32 s38, s86, s77
	v_add_co_ci_u32_e32 v12, vcc_lo, s27, v36, vcc_lo
	v_add_co_u32 v13, vcc_lo, v35, s28
	s_lshl_b64 s[30:31], s[38:39], 1
	s_mul_hi_i32 s25, s87, s77
	s_mul_i32 s24, s87, s77
	v_add_co_ci_u32_e32 v14, vcc_lo, s29, v36, vcc_lo
	v_add_co_u32 v15, vcc_lo, v35, s30
	s_lshl_b64 s[24:25], s[24:25], 1
	v_dual_mov_b32 v3, s62 :: v_dual_mov_b32 v26, s69
	v_dual_mov_b32 v5, s64 :: v_dual_mov_b32 v28, s71
	;; [unrolled: 1-line block ×3, first 2 shown]
	s_mul_hi_i32 s13, s12, s77
	s_mul_i32 s12, s12, s77
	v_add_co_ci_u32_e32 v16, vcc_lo, s31, v36, vcc_lo
	v_add_co_u32 v21, vcc_lo, v35, s24
	s_lshl_b64 s[12:13], s[12:13], 1
	s_waitcnt lgkmcnt(0)
	s_mul_hi_i32 s37, s42, s77
	s_mul_i32 s36, s42, s77
	v_add_co_ci_u32_e32 v22, vcc_lo, s25, v36, vcc_lo
	v_add_co_u32 v33, vcc_lo, v35, s12
	s_lshl_b64 s[36:37], s[36:37], 1
	s_waitcnt vmcnt(18)
	v_wmma_f32_16x16x16_f16 v[141:148], v[49:56], v[1:8], v[141:148]
	s_waitcnt vmcnt(16)
	v_wmma_f32_16x16x16_f16 v[73:80], v[57:64], v[1:8], v[73:80]
	v_add_co_ci_u32_e32 v34, vcc_lo, s13, v36, vcc_lo
	s_mul_hi_i32 s3, s43, s77
	s_mul_i32 s2, s43, s77
	v_add_co_u32 v5, vcc_lo, v35, s36
	s_lshl_b64 s[2:3], s[2:3], 1
	v_add_co_ci_u32_e32 v6, vcc_lo, s37, v36, vcc_lo
	s_waitcnt vmcnt(14)
	v_wmma_f32_16x16x16_f16 v[141:148], v[85:92], v[25:32], v[141:148]
	s_waitcnt vmcnt(12)
	v_wmma_f32_16x16x16_f16 v[73:80], v[93:100], v[25:32], v[73:80]
	s_mul_hi_i32 s13, s40, s77
	s_mul_i32 s12, s40, s77
	v_add_co_u32 v25, vcc_lo, v35, s2
	v_add_co_ci_u32_e32 v26, vcc_lo, s3, v36, vcc_lo
	s_lshl_b64 s[2:3], s[12:13], 1
	s_clause 0x1
	global_load_b128 v[65:68], v[9:10], off
	global_load_b128 v[69:72], v[9:10], off offset:16
	v_add_co_u32 v29, vcc_lo, v35, s2
	v_add_co_ci_u32_e32 v30, vcc_lo, s3, v36, vcc_lo
	s_clause 0xf
	global_load_b128 v[57:60], v[11:12], off
	global_load_b128 v[61:64], v[11:12], off offset:16
	global_load_b128 v[49:52], v[13:14], off
	global_load_b128 v[53:56], v[13:14], off offset:16
	;; [unrolled: 2-line block ×8, first 2 shown]
	v_and_b32_e32 v85, 0xe0, v0
	s_waitcnt vmcnt(0)
	s_barrier
	buffer_gl0_inv
	v_dual_mov_b32 v92, s11 :: v_dual_add_nc_u32 v93, s84, v85
	v_dual_mov_b32 v91, s10 :: v_dual_mov_b32 v90, s9
	v_dual_mov_b32 v89, s8 :: v_dual_mov_b32 v88, s7
	;; [unrolled: 1-line block ×3, first 2 shown]
	v_wmma_f32_16x16x16_f16 v[141:148], v[101:108], v[157:164], v[141:148]
	v_wmma_f32_16x16x16_f16 v[73:80], v[109:116], v[157:164], v[73:80]
	v_mbcnt_lo_u32_b32 v101, -1, 0
	v_mov_b32_e32 v85, s4
	v_or_b32_e32 v103, v93, v82
	v_dual_mov_b32 v100, s23 :: v_dual_mov_b32 v99, s22
	s_delay_alu instid0(VALU_DEP_4)
	v_xor_b32_e32 v102, 16, v101
	v_dual_mov_b32 v98, s21 :: v_dual_mov_b32 v97, s20
	v_dual_mov_b32 v96, s19 :: v_dual_mov_b32 v95, s18
	v_dual_mov_b32 v94, s17 :: v_dual_mov_b32 v93, s16
	v_wmma_f32_16x16x16_f16 v[73:80], v[125:132], v[85:92], v[73:80]
	v_wmma_f32_16x16x16_f16 v[141:148], v[117:124], v[85:92], v[141:148]
	v_cmp_gt_i32_e32 vcc_lo, 32, v102
	v_or_b32_e32 v104, 4, v103
	v_or_b32_e32 v105, 6, v103
	v_wmma_f32_16x16x16_f16 v[73:80], v[149:156], v[93:100], v[73:80]
	v_or_b32_e32 v106, 8, v103
	v_cndmask_b32_e32 v101, v101, v102, vcc_lo
	v_or_b32_e32 v102, 2, v103
	v_cmp_gt_i32_e32 vcc_lo, s33, v103
	v_mul_f32_e32 v114, s78, v76
	v_mul_f32_e32 v110, s78, v80
	;; [unrolled: 1-line block ×3, first 2 shown]
	v_wmma_f32_16x16x16_f16 v[141:148], v[133:140], v[93:100], v[141:148]
	v_cmp_gt_i32_e64 s2, s33, v102
	v_or_b32_e32 v107, 10, v103
	v_cmp_gt_i32_e64 s3, s33, v104
	v_cmp_gt_i32_e64 s4, s33, v105
	v_dual_mul_f32 v99, s78, v142 :: v_dual_mul_f32 v100, s78, v141
	v_dual_mul_f32 v97, s78, v144 :: v_dual_mul_f32 v98, s78, v143
	v_or_b32_e32 v85, 12, v103
	s_delay_alu instid0(VALU_DEP_3) | instskip(NEXT) | instid1(VALU_DEP_4)
	v_cndmask_b32_e64 v99, 0xff7fffff, v99, s2
	v_cndmask_b32_e32 v100, 0xff7fffff, v100, vcc_lo
	v_or_b32_e32 v86, 14, v103
	v_dual_mul_f32 v95, s78, v146 :: v_dual_mul_f32 v96, s78, v145
	v_cndmask_b32_e64 v98, 0xff7fffff, v98, s3
	v_cndmask_b32_e64 v97, 0xff7fffff, v97, s4
	v_max3_f32 v99, v100, 0xff7fffff, v99
	v_cmp_gt_i32_e64 s5, s33, v106
	v_cmp_gt_i32_e64 s6, s33, v107
	v_or_b32_e32 v87, 16, v103
	v_or_b32_e32 v88, 18, v103
	v_dual_mul_f32 v93, s78, v148 :: v_dual_mul_f32 v116, s78, v74
	v_mul_f32_e32 v94, s78, v147
	v_cndmask_b32_e64 v96, 0xff7fffff, v96, s5
	v_cndmask_b32_e64 v95, 0xff7fffff, v95, s6
	v_max3_f32 v97, v99, v98, v97
	v_cmp_gt_i32_e64 s7, s33, v85
	v_cmp_gt_i32_e64 s8, s33, v86
	v_or_b32_e32 v89, 20, v103
	v_or_b32_e32 v90, 22, v103
	v_mul_f32_e32 v117, s78, v73
	v_cndmask_b32_e64 v85, 0xff7fffff, v94, s7
	v_cndmask_b32_e64 v86, 0xff7fffff, v93, s8
	v_max3_f32 v93, v97, v96, v95
	v_cmp_gt_i32_e64 s9, s33, v87
	v_cmp_gt_i32_e64 s10, s33, v88
	v_or_b32_e32 v91, 24, v103
	v_or_b32_e32 v92, 26, v103
	;; [unrolled: 8-line block ×3, first 2 shown]
	v_mul_f32_e32 v113, s78, v77
	v_cndmask_b32_e64 v86, 0xff7fffff, v115, s11
	v_cndmask_b32_e64 v89, 0xff7fffff, v114, s12
	v_max3_f32 v85, v85, v87, v88
	v_cmp_gt_i32_e64 s13, s33, v91
	v_cmp_gt_i32_e64 s16, s33, v92
	v_mul_f32_e32 v111, s78, v79
	v_cmp_gt_i32_e64 s17, s33, v108
	v_max3_f32 v85, v85, v86, v89
	v_cndmask_b32_e64 v87, 0xff7fffff, v113, s13
	v_cndmask_b32_e64 v88, 0xff7fffff, v112, s16
	v_cmp_gt_i32_e64 s18, s33, v109
	v_cndmask_b32_e64 v86, 0xff7fffff, v111, s17
	s_delay_alu instid0(VALU_DEP_3) | instskip(NEXT) | instid1(VALU_DEP_3)
	v_max3_f32 v85, v85, v87, v88
	v_cndmask_b32_e64 v89, 0xff7fffff, v110, s18
	v_lshlrev_b32_e32 v87, 2, v101
	s_delay_alu instid0(VALU_DEP_2) | instskip(SKIP_3) | instid1(VALU_DEP_1)
	v_max3_f32 v85, v85, v86, v89
	ds_bpermute_b32 v86, v87, v85
	s_waitcnt lgkmcnt(0)
	v_max_f32_e32 v86, v86, v86
	v_max_f32_e32 v85, v85, v86
	s_delay_alu instid0(VALU_DEP_1) | instskip(SKIP_3) | instid1(VALU_DEP_4)
	v_fma_f32 v86, s78, v141, -v85
	v_fma_f32 v88, s78, v142, -v85
	;; [unrolled: 1-line block ×4, first 2 shown]
	v_mul_f32_e32 v86, 0x3fb8aa3b, v86
	s_delay_alu instid0(VALU_DEP_3) | instskip(NEXT) | instid1(VALU_DEP_3)
	v_dual_mul_f32 v88, 0x3fb8aa3b, v88 :: v_dual_mul_f32 v89, 0x3fb8aa3b, v89
	v_mul_f32_e32 v90, 0x3fb8aa3b, v90
	s_delay_alu instid0(VALU_DEP_3) | instskip(NEXT) | instid1(VALU_DEP_2)
	v_exp_f32_e32 v86, v86
	v_exp_f32_e32 v88, v88
	s_delay_alu instid0(VALU_DEP_2) | instskip(NEXT) | instid1(VALU_DEP_1)
	v_exp_f32_e32 v89, v89
	v_exp_f32_e32 v94, v90
	v_cndmask_b32_e32 v91, 0, v86, vcc_lo
	s_delay_alu instid0(TRANS32_DEP_3) | instskip(SKIP_4) | instid1(VALU_DEP_1)
	v_cndmask_b32_e64 v90, 0, v88, s2
	s_waitcnt_depctr 0xfff
	v_cndmask_b32_e64 v93, 0, v89, s3
	s_mov_b32 s3, exec_lo
	v_add_f32_e32 v88, 0, v91
	v_add_f32_e32 v88, v88, v90
	s_delay_alu instid0(VALU_DEP_1)
	v_add_f32_e32 v88, v88, v93
	v_fma_f32 v92, s78, v145, -v85
	v_fma_f32 v86, s78, v146, -v85
	;; [unrolled: 1-line block ×5, first 2 shown]
	v_mul_f32_e32 v92, 0x3fb8aa3b, v92
	s_delay_alu instid0(VALU_DEP_4) | instskip(NEXT) | instid1(VALU_DEP_4)
	v_dual_mul_f32 v86, 0x3fb8aa3b, v86 :: v_dual_mul_f32 v95, 0x3fb8aa3b, v95
	v_mul_f32_e32 v74, 0x3fb8aa3b, v74
	v_fma_f32 v73, s78, v73, -v85
	s_delay_alu instid0(VALU_DEP_4) | instskip(NEXT) | instid1(VALU_DEP_3)
	v_exp_f32_e32 v96, v92
	v_exp_f32_e32 v86, v86
	v_cndmask_b32_e64 v92, 0, v94, s4
	v_exp_f32_e32 v97, v95
	v_fma_f32 v75, s78, v75, -v85
	v_exp_f32_e32 v74, v74
	v_fma_f32 v77, s78, v77, -v85
	v_add_f32_e32 v88, v88, v92
	v_fma_f32 v78, s78, v78, -v85
	v_mul_f32_e32 v75, 0x3fb8aa3b, v75
	v_cndmask_b32_e64 v95, 0, v96, s5
	v_cndmask_b32_e64 v94, 0, v86, s6
	v_fma_f32 v80, s78, v80, -v85
	v_cndmask_b32_e64 v96, 0, v97, s7
	v_mul_f32_e32 v78, 0x3fb8aa3b, v78
	v_dual_add_f32 v86, v88, v95 :: v_dual_mul_f32 v89, 0x3fb8aa3b, v89
	v_fma_f32 v88, s78, v76, -v85
	s_delay_alu instid0(VALU_DEP_2) | instskip(NEXT) | instid1(VALU_DEP_3)
	v_dual_mul_f32 v73, 0x3fb8aa3b, v73 :: v_dual_add_f32 v86, v86, v94
	v_exp_f32_e32 v89, v89
	s_delay_alu instid0(VALU_DEP_2) | instskip(NEXT) | instid1(VALU_DEP_2)
	v_mul_f32_e32 v88, 0x3fb8aa3b, v88
	v_exp_f32_e32 v73, v73
	s_delay_alu instid0(VALU_DEP_2) | instskip(NEXT) | instid1(VALU_DEP_2)
	v_add_f32_e32 v86, v86, v96
	v_exp_f32_e32 v88, v88
	s_delay_alu instid0(TRANS32_DEP_3)
	v_cndmask_b32_e64 v76, 0, v89, s8
	s_waitcnt_depctr 0xfff
	v_cndmask_b32_e64 v97, 0, v73, s9
	v_dual_add_f32 v73, v86, v76 :: v_dual_mul_f32 v86, 0x3fb8aa3b, v77
	v_exp_f32_e32 v75, v75
	v_cndmask_b32_e64 v77, 0, v74, s10
	v_fma_f32 v74, s78, v79, -v85
	s_delay_alu instid0(VALU_DEP_3) | instskip(SKIP_1) | instid1(VALU_DEP_1)
	v_add_f32_e32 v73, v73, v97
	v_exp_f32_e32 v86, v86
	v_dual_mul_f32 v74, 0x3fb8aa3b, v74 :: v_dual_add_f32 v73, v73, v77
	s_waitcnt_depctr 0xfff
	v_cndmask_b32_e64 v79, 0, v75, s11
	v_exp_f32_e32 v75, v78
	v_cndmask_b32_e64 v78, 0, v88, s12
	v_exp_f32_e32 v74, v74
	v_cndmask_b32_e64 v98, 0, v86, s13
	v_dual_mul_f32 v86, 0x3fb8aa3b, v80 :: v_dual_add_f32 v73, v73, v79
	s_delay_alu instid0(VALU_DEP_1)
	v_add_f32_e32 v73, v73, v78
	s_waitcnt_depctr 0xfff
	v_cndmask_b32_e64 v80, 0, v75, s16
	v_exp_f32_e32 v75, v86
	v_cndmask_b32_e64 v100, 0, v74, s17
	v_add_f32_e32 v73, v73, v98
	s_delay_alu instid0(VALU_DEP_1) | instskip(SKIP_4) | instid1(VALU_DEP_2)
	v_add_f32_e32 v73, v73, v80
	s_waitcnt_depctr 0xfff
	v_cndmask_b32_e64 v99, 0, v75, s18
	v_and_b32_e32 v75, 31, v0
	v_add_f32_e32 v73, v73, v100
	v_cmp_lt_u32_e64 s2, 15, v75
	s_delay_alu instid0(VALU_DEP_2)
	v_add_f32_e32 v73, v73, v99
	ds_bpermute_b32 v74, v87, v73
	v_cmpx_gt_u32_e32 16, v75
	s_cbranch_execz .LBB342_11
; %bb.10:
	v_mul_u32_u24_e32 v75, 0x44, v84
	s_delay_alu instid0(VALU_DEP_1) | instskip(SKIP_1) | instid1(VALU_DEP_1)
	v_lshl_add_u32 v75, v81, 2, v75
	s_waitcnt lgkmcnt(0)
	v_dual_add_f32 v73, v73, v74 :: v_dual_add_nc_u32 v74, 0x4000, v75
	ds_store_2addr_b32 v74, v85, v73 offset1:136
.LBB342_11:
	s_or_b32 exec_lo, exec_lo, s3
	v_lshlrev_b32_e32 v73, 2, v81
	s_load_b64 s[36:37], s[0:1], 0x94
	s_waitcnt lgkmcnt(0)
	s_barrier
	buffer_gl0_inv
	v_add_nc_u32_e32 v73, 0x4000, v73
	v_cmp_eq_u32_e32 vcc_lo, 1, v84
	v_cmp_eq_u32_e64 s3, 2, v84
	v_cmp_eq_u32_e64 s4, 3, v84
	;; [unrolled: 1-line block ×3, first 2 shown]
	ds_load_2addr_b32 v[85:86], v73 offset1:17
	ds_load_2addr_b32 v[87:88], v73 offset0:34 offset1:51
	ds_load_2addr_b32 v[101:102], v73 offset0:68 offset1:85
	;; [unrolled: 1-line block ×4, first 2 shown]
	v_cmp_eq_u32_e64 s7, 5, v84
	v_cmp_eq_u32_e64 s5, 6, v84
	s_waitcnt lgkmcnt(4)
	v_max3_f32 v74, v85, 0xff7fffff, v86
	s_waitcnt lgkmcnt(3)
	s_delay_alu instid0(VALU_DEP_1) | instskip(SKIP_1) | instid1(VALU_DEP_1)
	v_max3_f32 v74, v74, v87, v88
	s_waitcnt lgkmcnt(2)
	v_max3_f32 v74, v74, v101, v102
	s_waitcnt lgkmcnt(1)
	s_delay_alu instid0(VALU_DEP_1) | instskip(NEXT) | instid1(VALU_DEP_1)
	v_max3_f32 v74, v74, v103, v104
	v_sub_f32_e32 v101, v101, v74
	v_sub_f32_e32 v75, v85, v74
	;; [unrolled: 1-line block ×3, first 2 shown]
	ds_load_2addr_b32 v[85:86], v73 offset0:170 offset1:187
	v_dual_sub_f32 v87, v87, v74 :: v_dual_mul_f32 v110, 0x3fb8aa3b, v101
	v_mul_f32_e32 v75, 0x3fb8aa3b, v75
	s_delay_alu instid0(VALU_DEP_2) | instskip(NEXT) | instid1(VALU_DEP_2)
	v_dual_mul_f32 v89, 0x3fb8aa3b, v89 :: v_dual_mul_f32 v108, 0x3fb8aa3b, v87
	v_exp_f32_e32 v107, v75
	v_sub_f32_e32 v75, v88, v74
	s_delay_alu instid0(VALU_DEP_2)
	v_exp_f32_e32 v89, v89
	ds_load_2addr_b32 v[87:88], v73 offset0:204 offset1:221
	v_exp_f32_e32 v108, v108
	v_mul_f32_e32 v109, 0x3fb8aa3b, v75
	s_waitcnt lgkmcnt(2)
	v_fma_f32 v75, v107, v105, 0
	v_sub_f32_e32 v105, v102, v74
	s_delay_alu instid0(VALU_DEP_3)
	v_exp_f32_e32 v109, v109
	ds_load_2addr_b32 v[101:102], v73 offset0:238 offset1:255
	v_sub_f32_e32 v73, v103, v74
	v_fmac_f32_e32 v75, v89, v106
	v_mul_f32_e32 v103, 0x3fb8aa3b, v105
	v_exp_f32_e32 v105, v110
	s_waitcnt lgkmcnt(0)
	v_mul_f32_e32 v73, 0x3fb8aa3b, v73
	v_fmac_f32_e32 v75, v108, v85
	v_sub_f32_e32 v85, v104, v74
	v_exp_f32_e32 v103, v103
	s_barrier
	v_exp_f32_e32 v104, v73
	v_fmac_f32_e32 v75, v109, v86
	v_mul_f32_e32 v85, 0x3fb8aa3b, v85
	v_lshl_or_b32 v86, v84, 11, v83
	buffer_gl0_inv
	v_fmac_f32_e32 v75, v105, v87
	v_exp_f32_e32 v106, v85
	v_cndmask_b32_e32 v85, v107, v89, vcc_lo
	s_delay_alu instid0(VALU_DEP_2) | instskip(NEXT) | instid1(VALU_DEP_1)
	v_fmac_f32_e32 v75, v103, v88
	v_fmac_f32_e32 v75, v104, v101
	s_waitcnt_depctr 0xfff
	v_fmac_f32_e32 v75, v106, v102
	s_delay_alu instid0(VALU_DEP_1) | instskip(NEXT) | instid1(VALU_DEP_1)
	v_add_f32_e32 v101, 0x358637bd, v75
	v_div_scale_f32 v102, null, v101, v101, 1.0
	v_div_scale_f32 v107, vcc_lo, 1.0, v101, 1.0
	s_delay_alu instid0(VALU_DEP_2) | instskip(SKIP_2) | instid1(VALU_DEP_1)
	v_rcp_f32_e32 v110, v102
	s_waitcnt_depctr 0xfff
	v_fma_f32 v73, -v102, v110, 1.0
	v_fmac_f32_e32 v110, v73, v110
	v_cndmask_b32_e64 v73, v85, v108, s3
	v_cmp_eq_u32_e64 s3, 7, v84
	v_lshl_or_b32 v84, v82, 4, v86
	v_lshlrev_b32_e32 v85, 2, v82
	v_mul_f32_e32 v108, v107, v110
	v_cndmask_b32_e64 v73, v73, v109, s4
	s_delay_alu instid0(VALU_DEP_3) | instskip(NEXT) | instid1(VALU_DEP_3)
	v_or_b32_e32 v89, 2, v85
	v_fma_f32 v87, -v102, v108, v107
	s_delay_alu instid0(VALU_DEP_3)
	v_cndmask_b32_e64 v88, v73, v105, s6
	v_cmp_eq_u32_e64 s4, 1, v85
	v_cmp_eq_u32_e64 s6, 4, v85
	;; [unrolled: 1-line block ×3, first 2 shown]
	v_fmac_f32_e32 v108, v87, v110
	v_cndmask_b32_e64 v103, v88, v103, s7
	v_or_b32_e32 v87, 1, v85
	v_or_b32_e32 v88, 3, v85
	v_cmp_eq_u32_e64 s16, 2, v89
	v_fma_f32 v102, -v102, v108, v107
	v_cndmask_b32_e64 v103, v103, v104, s5
	v_cmp_eq_u32_e64 s9, 1, v87
	v_cmp_eq_u32_e64 s11, 1, v88
	v_cmp_eq_u32_e64 s12, 2, v87
	v_div_fmas_f32 v102, v102, v110, v108
	v_cndmask_b32_e64 v103, v103, v106, s3
	v_cmp_eq_u32_e32 vcc_lo, 2, v85
	v_cmp_eq_u32_e64 s17, 2, v88
	v_cmp_eq_u32_e64 s5, 3, v85
	v_div_fixup_f32 v101, v102, v101, 1.0
	v_cmp_eq_u32_e64 s13, 3, v87
	v_cmp_eq_u32_e64 s19, 3, v88
	;; [unrolled: 1-line block ×4, first 2 shown]
	v_mul_f32_e32 v105, v103, v101
	v_cmp_eq_u32_e64 s23, 4, v88
	v_cmp_eq_u32_e64 s3, 5, v85
	;; [unrolled: 1-line block ×4, first 2 shown]
	v_fma_mixlo_f16 v101, v105, v91, 0
	v_fma_mixlo_f16 v102, v105, v93, 0
	;; [unrolled: 1-line block ×8, first 2 shown]
	v_fma_mixhi_f16 v101, v105, v90, 0
	v_fma_mixhi_f16 v102, v105, v92, 0
	;; [unrolled: 1-line block ×8, first 2 shown]
	ds_store_b128 v84, v[101:104]
	ds_store_b128 v84, v[95:98] offset:1024
	s_waitcnt lgkmcnt(0)
	s_barrier
	buffer_gl0_inv
	ds_load_b128 v[76:79], v86
	ds_load_b128 v[90:93], v86 offset:16
	ds_load_b128 v[94:97], v86 offset:1024
	;; [unrolled: 1-line block ×3, first 2 shown]
	v_cmp_eq_u32_e64 s25, 5, v88
	v_cmp_eq_u32_e64 s7, 6, v85
	;; [unrolled: 1-line block ×10, first 2 shown]
	v_mov_b32_e32 v73, 0
	s_waitcnt lgkmcnt(3)
	v_lshrrev_b32_e32 v80, 16, v76
	s_waitcnt lgkmcnt(2)
	v_lshrrev_b32_e32 v105, 16, v90
	s_waitcnt lgkmcnt(1)
	v_lshrrev_b32_e32 v109, 16, v94
	s_waitcnt lgkmcnt(0)
	v_lshrrev_b32_e32 v113, 16, v98
	v_lshrrev_b32_e32 v102, 16, v77
	v_cndmask_b32_e64 v117, v76, v80, s4
	v_cndmask_b32_e64 v118, v90, v105, s4
	;; [unrolled: 1-line block ×7, first 2 shown]
	v_lshrrev_b32_e32 v106, 16, v91
	v_cndmask_b32_e64 v122, v90, v105, s10
	v_cndmask_b32_e64 v90, v94, v109, s4
	;; [unrolled: 1-line block ×9, first 2 shown]
	v_cndmask_b32_e32 v109, v117, v77, vcc_lo
	v_cndmask_b32_e32 v113, v118, v91, vcc_lo
	v_cndmask_b32_e64 v117, v119, v77, s12
	v_cndmask_b32_e64 v118, v120, v91, s12
	;; [unrolled: 1-line block ×5, first 2 shown]
	v_lshrrev_b32_e32 v110, 16, v95
	v_lshrrev_b32_e32 v114, 16, v99
	v_cndmask_b32_e64 v120, v122, v91, s16
	v_cndmask_b32_e32 v80, v90, v95, vcc_lo
	v_cndmask_b32_e32 v90, v105, v99, vcc_lo
	v_cndmask_b32_e64 v91, v123, v95, s12
	v_cndmask_b32_e64 v105, v125, v95, s16
	v_cndmask_b32_e64 v94, v94, v95, s17
	v_cndmask_b32_e64 v95, v98, v99, s17
	v_cndmask_b32_e64 v98, v109, v102, s5
	v_cndmask_b32_e64 v109, v113, v106, s5
	v_cndmask_b32_e64 v113, v117, v102, s13
	v_cndmask_b32_e64 v117, v118, v106, s13
	v_cndmask_b32_e64 v76, v76, v102, s19
	v_cndmask_b32_e64 v77, v77, v106, s19
	v_lshrrev_b32_e32 v103, 16, v78
	v_lshrrev_b32_e32 v107, 16, v92
	v_cndmask_b32_e64 v118, v119, v102, s18
	v_cndmask_b32_e64 v119, v120, v106, s18
	;; [unrolled: 1-line block ×11, first 2 shown]
	v_lshrrev_b32_e32 v111, 16, v96
	v_cndmask_b32_e64 v113, v118, v78, s22
	v_cndmask_b32_e64 v117, v119, v92, s22
	;; [unrolled: 1-line block ×11, first 2 shown]
	v_lshrrev_b32_e32 v104, 16, v79
	v_lshrrev_b32_e32 v108, 16, v93
	v_cndmask_b32_e64 v106, v113, v103, s24
	v_cndmask_b32_e64 v109, v117, v107, s24
	;; [unrolled: 1-line block ×9, first 2 shown]
	v_lshrrev_b32_e32 v112, 16, v97
	v_cndmask_b32_e64 v78, v78, v111, s3
	v_cndmask_b32_e64 v103, v106, v79, s27
	;; [unrolled: 1-line block ×14, first 2 shown]
	v_perm_b32 v79, v77, v76, 0x5040100
	v_perm_b32 v77, v102, v92, 0x5040100
	v_cndmask_b32_e64 v76, v126, v99, s16
	v_cndmask_b32_e64 v92, v124, v99, s12
	;; [unrolled: 1-line block ×3, first 2 shown]
	v_perm_b32 v78, v98, v93, 0x5040100
	v_cndmask_b32_e64 v93, v105, v110, s18
	v_cndmask_b32_e64 v94, v94, v110, s19
	;; [unrolled: 1-line block ×5, first 2 shown]
	v_lshrrev_b32_e32 v115, 16, v100
	v_cndmask_b32_e64 v93, v93, v96, s22
	v_cndmask_b32_e64 v94, v94, v96, s23
	;; [unrolled: 1-line block ×11, first 2 shown]
	v_lshrrev_b32_e32 v116, 16, v101
	v_cndmask_b32_e64 v80, v80, v101, s7
	v_cndmask_b32_e64 v93, v93, v97, s27
	;; [unrolled: 1-line block ×12, first 2 shown]
	v_perm_b32 v76, v91, v90, 0x5040100
	v_perm_b32 v93, v94, v93, 0x5040100
	;; [unrolled: 1-line block ×5, first 2 shown]
	s_mov_b32 s3, exec_lo
	ds_store_b128 v84, v[76:79]
	ds_store_b128 v84, v[90:93] offset:1024
	v_cmpx_eq_u32_e32 0, v0
	s_cbranch_execz .LBB342_13
; %bb.12:
	s_load_b128 s[4:7], s[0:1], 0x58
	s_mul_i32 s8, s37, s34
	s_delay_alu instid0(SALU_CYCLE_1) | instskip(NEXT) | instid1(SALU_CYCLE_1)
	s_add_i32 s8, s8, s15
	s_mul_i32 s8, s8, s36
	s_delay_alu instid0(SALU_CYCLE_1) | instskip(NEXT) | instid1(SALU_CYCLE_1)
	s_add_i32 s8, s8, s14
	s_ashr_i32 s9, s8, 31
	s_delay_alu instid0(SALU_CYCLE_1)
	s_lshl_b64 s[8:9], s[8:9], 2
	s_waitcnt lgkmcnt(0)
	s_add_u32 s6, s6, s8
	s_addc_u32 s7, s7, s9
	s_add_u32 s4, s4, s8
	s_addc_u32 s5, s5, s9
	s_clause 0x1
	global_store_b32 v73, v74, s[6:7]
	global_store_b32 v73, v75, s[4:5]
.LBB342_13:
	s_or_b32 exec_lo, exec_lo, s3
	s_waitcnt lgkmcnt(0)
	s_waitcnt_vscnt null, 0x0
	s_barrier
	buffer_gl0_inv
	ds_load_b128 v[90:93], v83
	ds_load_b128 v[94:97], v83 offset:16
	ds_load_b128 v[102:105], v83 offset:1040
	;; [unrolled: 1-line block ×5, first 2 shown]
	v_mov_b32_e32 v74, v73
	v_mov_b32_e32 v75, v73
	;; [unrolled: 1-line block ×7, first 2 shown]
	ds_load_b128 v[118:121], v83 offset:3088
	ds_load_b128 v[114:117], v83 offset:3072
	;; [unrolled: 1-line block ×4, first 2 shown]
	v_cmp_eq_u32_e32 vcc_lo, 1, v89
	v_cmp_eq_u32_e64 s3, 1, v85
	v_cmp_eq_u32_e64 s4, 1, v88
	;; [unrolled: 1-line block ×4, first 2 shown]
	s_xor_b32 s2, s2, -1
	s_waitcnt lgkmcnt(8)
	v_wmma_f32_16x16x16_f16 v[73:80], v[65:72], v[90:97], v[73:80]
	ds_load_b128 v[69:72], v83 offset:5136
	ds_load_b128 v[65:68], v83 offset:5120
	;; [unrolled: 1-line block ×4, first 2 shown]
	s_waitcnt lgkmcnt(10)
	v_wmma_f32_16x16x16_f16 v[73:80], v[57:64], v[98:105], v[73:80]
	s_waitcnt lgkmcnt(8)
	s_delay_alu instid0(VALU_DEP_1)
	v_wmma_f32_16x16x16_f16 v[73:80], v[57:64], v[106:113], v[73:80]
	ds_load_b128 v[61:64], v83 offset:7184
	ds_load_b128 v[57:60], v83 offset:7168
	;; [unrolled: 1-line block ×4, first 2 shown]
	s_waitcnt lgkmcnt(10)
	v_wmma_f32_16x16x16_f16 v[73:80], v[49:56], v[114:121], v[73:80]
	s_waitcnt lgkmcnt(8)
	s_delay_alu instid0(VALU_DEP_1)
	v_wmma_f32_16x16x16_f16 v[73:80], v[49:56], v[122:129], v[73:80]
	ds_load_b128 v[53:56], v83 offset:9232
	ds_load_b128 v[49:52], v83 offset:9216
	s_waitcnt lgkmcnt(8)
	v_wmma_f32_16x16x16_f16 v[73:80], v[41:48], v[65:72], v[73:80]
	ds_load_b128 v[69:72], v83 offset:10256
	ds_load_b128 v[65:68], v83 offset:10240
	s_waitcnt lgkmcnt(8)
	;; [unrolled: 4-line block ×7, first 2 shown]
	s_barrier
	buffer_gl0_inv
	v_wmma_f32_16x16x16_f16 v[73:80], v[1:8], v[41:48], v[73:80]
	s_delay_alu instid0(VALU_DEP_1) | instskip(NEXT) | instid1(VALU_DEP_1)
	v_wmma_f32_16x16x16_f16 v[73:80], v[1:8], v[57:64], v[73:80]
	v_wmma_f32_16x16x16_f16 v[73:80], v[33:40], v[17:24], v[73:80]
	s_delay_alu instid0(VALU_DEP_1) | instskip(NEXT) | instid1(VALU_DEP_1)
	v_wmma_f32_16x16x16_f16 v[73:80], v[33:40], v[49:56], v[73:80]
	v_wmma_f32_16x16x16_f16 v[73:80], v[25:32], v[9:16], v[73:80]
	s_delay_alu instid0(VALU_DEP_1) | instskip(NEXT) | instid1(VALU_DEP_2)
	v_cvt_f16_f32_e32 v1, v73
	v_cvt_f16_f32_e32 v2, v74
	s_delay_alu instid0(VALU_DEP_3) | instskip(NEXT) | instid1(VALU_DEP_4)
	v_cvt_f16_f32_e32 v3, v75
	v_cvt_f16_f32_e32 v4, v76
	;; [unrolled: 1-line block ×6, first 2 shown]
	v_pack_b32_f16 v1, v1, v2
	v_pack_b32_f16 v2, v3, v4
	;; [unrolled: 1-line block ×3, first 2 shown]
	s_delay_alu instid0(VALU_DEP_4)
	v_pack_b32_f16 v4, v7, v8
	ds_store_b128 v84, v[1:4]
	s_waitcnt lgkmcnt(0)
	s_barrier
	buffer_gl0_inv
	ds_load_b128 v[1:4], v86
	ds_load_b128 v[5:8], v86 offset:16
	s_waitcnt lgkmcnt(1)
	v_lshrrev_b32_e32 v9, 16, v1
	s_waitcnt lgkmcnt(0)
	v_lshrrev_b32_e32 v13, 16, v5
	v_lshrrev_b32_e32 v15, 16, v7
	;; [unrolled: 1-line block ×4, first 2 shown]
	v_cndmask_b32_e64 v17, v1, v9, s3
	v_cndmask_b32_e64 v18, v5, v13, s3
	;; [unrolled: 1-line block ×3, first 2 shown]
	v_cmp_eq_u32_e64 s3, 2, v87
	v_cndmask_b32_e64 v20, v5, v13, s5
	v_cndmask_b32_e32 v21, v1, v9, vcc_lo
	v_cndmask_b32_e32 v22, v5, v13, vcc_lo
	v_cndmask_b32_e64 v1, v1, v9, s4
	v_cndmask_b32_e64 v5, v5, v13, s4
	v_cmp_eq_u32_e32 vcc_lo, 2, v89
	v_cmp_eq_u32_e64 s4, 2, v88
	v_cndmask_b32_e64 v9, v17, v2, s6
	v_cndmask_b32_e64 v13, v18, v6, s6
	;; [unrolled: 1-line block ×4, first 2 shown]
	v_cndmask_b32_e32 v19, v21, v2, vcc_lo
	v_cmp_eq_u32_e64 s3, 3, v89
	v_cndmask_b32_e32 v20, v22, v6, vcc_lo
	v_cndmask_b32_e64 v1, v1, v2, s4
	v_cmp_eq_u32_e32 vcc_lo, 3, v88
	v_cmp_eq_u32_e64 s5, 3, v85
	v_cndmask_b32_e64 v2, v5, v6, s4
	v_cmp_eq_u32_e64 s4, 3, v87
	v_lshrrev_b32_e32 v16, 16, v8
	v_cmp_eq_u32_e64 s6, 4, v85
	v_cndmask_b32_e64 v5, v9, v10, s5
	v_cndmask_b32_e64 v6, v13, v14, s5
	;; [unrolled: 1-line block ×3, first 2 shown]
	v_cmp_eq_u32_e64 s5, 4, v87
	v_cndmask_b32_e64 v13, v18, v14, s4
	v_cndmask_b32_e64 v17, v19, v10, s3
	;; [unrolled: 1-line block ×3, first 2 shown]
	v_cndmask_b32_e32 v1, v1, v10, vcc_lo
	v_cndmask_b32_e32 v2, v2, v14, vcc_lo
	v_cmp_eq_u32_e32 vcc_lo, 4, v89
	v_cmp_eq_u32_e64 s4, 4, v88
	v_lshrrev_b32_e32 v11, 16, v3
	v_cndmask_b32_e64 v5, v5, v3, s6
	v_cndmask_b32_e64 v6, v6, v7, s6
	;; [unrolled: 1-line block ×4, first 2 shown]
	v_cndmask_b32_e32 v13, v17, v3, vcc_lo
	v_cmp_eq_u32_e64 s3, 5, v89
	v_cndmask_b32_e32 v14, v18, v7, vcc_lo
	v_cndmask_b32_e64 v1, v1, v3, s4
	v_cmp_eq_u32_e32 vcc_lo, 5, v88
	v_cmp_eq_u32_e64 s5, 5, v85
	v_cndmask_b32_e64 v2, v2, v7, s4
	v_cmp_eq_u32_e64 s4, 5, v87
	v_cmp_eq_u32_e64 s6, 6, v85
	v_cndmask_b32_e32 v1, v1, v11, vcc_lo
	v_cndmask_b32_e64 v3, v5, v11, s5
	v_cndmask_b32_e64 v5, v6, v15, s5
	;; [unrolled: 1-line block ×3, first 2 shown]
	v_cmp_eq_u32_e64 s5, 6, v87
	v_cndmask_b32_e64 v7, v10, v15, s4
	v_cndmask_b32_e64 v9, v13, v11, s3
	;; [unrolled: 1-line block ×3, first 2 shown]
	v_cndmask_b32_e32 v2, v2, v15, vcc_lo
	v_cmp_eq_u32_e32 vcc_lo, 6, v89
	v_cmp_eq_u32_e64 s3, 6, v88
	v_lshrrev_b32_e32 v12, 16, v4
	v_cndmask_b32_e64 v3, v3, v4, s6
	v_cndmask_b32_e64 v5, v5, v8, s6
	;; [unrolled: 1-line block ×4, first 2 shown]
	v_cndmask_b32_e32 v9, v9, v4, vcc_lo
	v_cmp_eq_u32_e64 s4, 7, v89
	v_cndmask_b32_e32 v10, v10, v8, vcc_lo
	v_cndmask_b32_e64 v1, v1, v4, s3
	v_cmp_eq_u32_e32 vcc_lo, 7, v88
	v_cndmask_b32_e64 v2, v2, v8, s3
	v_cmp_eq_u32_e64 s3, 7, v85
	v_cmp_eq_u32_e64 s5, 7, v87
	v_cndmask_b32_e32 v1, v1, v12, vcc_lo
	s_delay_alu instid0(VALU_DEP_4) | instskip(NEXT) | instid1(VALU_DEP_4)
	v_cndmask_b32_e32 v2, v2, v16, vcc_lo
	v_cndmask_b32_e64 v8, v3, v12, s3
	s_delay_alu instid0(VALU_DEP_4)
	v_cndmask_b32_e64 v6, v6, v12, s5
	v_cndmask_b32_e64 v3, v9, v12, s4
	;; [unrolled: 1-line block ×5, first 2 shown]
	v_cmp_gt_u32_e32 vcc_lo, 32, v0
	v_perm_b32 v4, v2, v1, 0x5040100
	v_perm_b32 v3, v9, v3, 0x5040100
	;; [unrolled: 1-line block ×4, first 2 shown]
	s_and_b32 s2, vcc_lo, s2
	ds_store_b128 v84, v[1:4]
	s_waitcnt lgkmcnt(0)
	s_barrier
	buffer_gl0_inv
	s_and_saveexec_b32 s3, s2
	s_cbranch_execz .LBB342_2
; %bb.14:
	s_load_b64 s[0:1], s[0:1], 0x68
	v_lshlrev_b32_e32 v1, 10, v0
	v_and_b32_e32 v0, 1, v0
	v_lshlrev_b32_e32 v2, 6, v82
	s_lshl_b32 s4, s36, 7
	v_lshlrev_b32_e32 v4, 3, v81
	v_and_b32_e32 v1, 0x3800, v1
	v_lshlrev_b32_e32 v0, 4, v0
	s_mul_i32 s2, s4, s34
	s_delay_alu instid0(SALU_CYCLE_1) | instskip(SKIP_1) | instid1(VALU_DEP_2)
	s_mul_i32 s2, s2, s37
	v_lshlrev_b32_e32 v4, 1, v4
	v_or3_b32 v0, v1, v2, v0
	s_ashr_i32 s3, s2, 31
	s_delay_alu instid0(SALU_CYCLE_1)
	s_lshl_b64 s[2:3], s[2:3], 1
	ds_load_b128 v[0:3], v0
	s_waitcnt lgkmcnt(0)
	s_add_u32 s5, s0, s2
	s_addc_u32 s3, s1, s3
	s_lshl_b32 s0, s14, 7
	s_mul_i32 s2, s4, s15
	s_ashr_i32 s1, s0, 31
	s_delay_alu instid0(SALU_CYCLE_1) | instskip(NEXT) | instid1(SALU_CYCLE_1)
	s_lshl_b64 s[0:1], s[0:1], 1
	s_add_u32 s4, s5, s0
	s_addc_u32 s5, s3, s1
	s_ashr_i32 s3, s2, 31
	s_delay_alu instid0(SALU_CYCLE_1) | instskip(NEXT) | instid1(SALU_CYCLE_1)
	s_lshl_b64 s[0:1], s[2:3], 1
	s_add_u32 s0, s4, s0
	s_addc_u32 s1, s5, s1
	global_store_b128 v4, v[0:3], s[0:1]
	s_nop 0
	s_sendmsg sendmsg(MSG_DEALLOC_VGPRS)
	s_endpgm
	.section	.rodata,"a",@progbits
	.p2align	6, 0x0
	.amdhsa_kernel _Z39paged_attention_ll4mi_QKV_mfma16_kernelIDF16_DF16_LN4vllm18Fp8KVCacheDataTypeE0EhLi32ELi128ELi256ELb0ELi1EL8MFMAType0EEvPKT_PKT0_S8_ifPKiSA_SA_iPKfiiiPfSD_PS3_PT2_iSC_SC_
		.amdhsa_group_segment_fixed_size 17472
		.amdhsa_private_segment_fixed_size 0
		.amdhsa_kernarg_size 400
		.amdhsa_user_sgpr_count 13
		.amdhsa_user_sgpr_dispatch_ptr 0
		.amdhsa_user_sgpr_queue_ptr 0
		.amdhsa_user_sgpr_kernarg_segment_ptr 1
		.amdhsa_user_sgpr_dispatch_id 0
		.amdhsa_user_sgpr_private_segment_size 0
		.amdhsa_wavefront_size32 1
		.amdhsa_uses_dynamic_stack 0
		.amdhsa_enable_private_segment 0
		.amdhsa_system_sgpr_workgroup_id_x 1
		.amdhsa_system_sgpr_workgroup_id_y 1
		.amdhsa_system_sgpr_workgroup_id_z 1
		.amdhsa_system_sgpr_workgroup_info 0
		.amdhsa_system_vgpr_workitem_id 0
		.amdhsa_next_free_vgpr 165
		.amdhsa_next_free_sgpr 96
		.amdhsa_reserve_vcc 1
		.amdhsa_float_round_mode_32 0
		.amdhsa_float_round_mode_16_64 0
		.amdhsa_float_denorm_mode_32 3
		.amdhsa_float_denorm_mode_16_64 3
		.amdhsa_dx10_clamp 1
		.amdhsa_ieee_mode 1
		.amdhsa_fp16_overflow 0
		.amdhsa_workgroup_processor_mode 1
		.amdhsa_memory_ordered 1
		.amdhsa_forward_progress 0
		.amdhsa_shared_vgpr_count 0
		.amdhsa_exception_fp_ieee_invalid_op 0
		.amdhsa_exception_fp_denorm_src 0
		.amdhsa_exception_fp_ieee_div_zero 0
		.amdhsa_exception_fp_ieee_overflow 0
		.amdhsa_exception_fp_ieee_underflow 0
		.amdhsa_exception_fp_ieee_inexact 0
		.amdhsa_exception_int_div_zero 0
	.end_amdhsa_kernel
	.section	.text._Z39paged_attention_ll4mi_QKV_mfma16_kernelIDF16_DF16_LN4vllm18Fp8KVCacheDataTypeE0EhLi32ELi128ELi256ELb0ELi1EL8MFMAType0EEvPKT_PKT0_S8_ifPKiSA_SA_iPKfiiiPfSD_PS3_PT2_iSC_SC_,"axG",@progbits,_Z39paged_attention_ll4mi_QKV_mfma16_kernelIDF16_DF16_LN4vllm18Fp8KVCacheDataTypeE0EhLi32ELi128ELi256ELb0ELi1EL8MFMAType0EEvPKT_PKT0_S8_ifPKiSA_SA_iPKfiiiPfSD_PS3_PT2_iSC_SC_,comdat
.Lfunc_end342:
	.size	_Z39paged_attention_ll4mi_QKV_mfma16_kernelIDF16_DF16_LN4vllm18Fp8KVCacheDataTypeE0EhLi32ELi128ELi256ELb0ELi1EL8MFMAType0EEvPKT_PKT0_S8_ifPKiSA_SA_iPKfiiiPfSD_PS3_PT2_iSC_SC_, .Lfunc_end342-_Z39paged_attention_ll4mi_QKV_mfma16_kernelIDF16_DF16_LN4vllm18Fp8KVCacheDataTypeE0EhLi32ELi128ELi256ELb0ELi1EL8MFMAType0EEvPKT_PKT0_S8_ifPKiSA_SA_iPKfiiiPfSD_PS3_PT2_iSC_SC_
                                        ; -- End function
	.section	.AMDGPU.csdata,"",@progbits
; Kernel info:
; codeLenInByte = 7284
; NumSgprs: 98
; NumVgprs: 165
; ScratchSize: 0
; MemoryBound: 1
; FloatMode: 240
; IeeeMode: 1
; LDSByteSize: 17472 bytes/workgroup (compile time only)
; SGPRBlocks: 12
; VGPRBlocks: 20
; NumSGPRsForWavesPerEU: 98
; NumVGPRsForWavesPerEU: 165
; Occupancy: 9
; WaveLimiterHint : 1
; COMPUTE_PGM_RSRC2:SCRATCH_EN: 0
; COMPUTE_PGM_RSRC2:USER_SGPR: 13
; COMPUTE_PGM_RSRC2:TRAP_HANDLER: 0
; COMPUTE_PGM_RSRC2:TGID_X_EN: 1
; COMPUTE_PGM_RSRC2:TGID_Y_EN: 1
; COMPUTE_PGM_RSRC2:TGID_Z_EN: 1
; COMPUTE_PGM_RSRC2:TIDIG_COMP_CNT: 0
	.section	.text._Z39paged_attention_ll4mi_QKV_mfma16_kernelIDF16_DF16_LN4vllm18Fp8KVCacheDataTypeE0EhLi32ELi128ELi256ELb0ELi2EL8MFMAType0EEvPKT_PKT0_S8_ifPKiSA_SA_iPKfiiiPfSD_PS3_PT2_iSC_SC_,"axG",@progbits,_Z39paged_attention_ll4mi_QKV_mfma16_kernelIDF16_DF16_LN4vllm18Fp8KVCacheDataTypeE0EhLi32ELi128ELi256ELb0ELi2EL8MFMAType0EEvPKT_PKT0_S8_ifPKiSA_SA_iPKfiiiPfSD_PS3_PT2_iSC_SC_,comdat
	.protected	_Z39paged_attention_ll4mi_QKV_mfma16_kernelIDF16_DF16_LN4vllm18Fp8KVCacheDataTypeE0EhLi32ELi128ELi256ELb0ELi2EL8MFMAType0EEvPKT_PKT0_S8_ifPKiSA_SA_iPKfiiiPfSD_PS3_PT2_iSC_SC_ ; -- Begin function _Z39paged_attention_ll4mi_QKV_mfma16_kernelIDF16_DF16_LN4vllm18Fp8KVCacheDataTypeE0EhLi32ELi128ELi256ELb0ELi2EL8MFMAType0EEvPKT_PKT0_S8_ifPKiSA_SA_iPKfiiiPfSD_PS3_PT2_iSC_SC_
	.globl	_Z39paged_attention_ll4mi_QKV_mfma16_kernelIDF16_DF16_LN4vllm18Fp8KVCacheDataTypeE0EhLi32ELi128ELi256ELb0ELi2EL8MFMAType0EEvPKT_PKT0_S8_ifPKiSA_SA_iPKfiiiPfSD_PS3_PT2_iSC_SC_
	.p2align	8
	.type	_Z39paged_attention_ll4mi_QKV_mfma16_kernelIDF16_DF16_LN4vllm18Fp8KVCacheDataTypeE0EhLi32ELi128ELi256ELb0ELi2EL8MFMAType0EEvPKT_PKT0_S8_ifPKiSA_SA_iPKfiiiPfSD_PS3_PT2_iSC_SC_,@function
_Z39paged_attention_ll4mi_QKV_mfma16_kernelIDF16_DF16_LN4vllm18Fp8KVCacheDataTypeE0EhLi32ELi128ELi256ELb0ELi2EL8MFMAType0EEvPKT_PKT0_S8_ifPKiSA_SA_iPKfiiiPfSD_PS3_PT2_iSC_SC_: ; @_Z39paged_attention_ll4mi_QKV_mfma16_kernelIDF16_DF16_LN4vllm18Fp8KVCacheDataTypeE0EhLi32ELi128ELi256ELb0ELi2EL8MFMAType0EEvPKT_PKT0_S8_ifPKiSA_SA_iPKfiiiPfSD_PS3_PT2_iSC_SC_
; %bb.0:
	s_load_b64 s[2:3], s[0:1], 0x30
	s_mov_b32 s34, s13
	s_waitcnt lgkmcnt(0)
	s_cmp_lg_u64 s[2:3], 0
	s_cselect_b32 s6, -1, 0
	s_ashr_i32 s35, s13, 31
	s_cmp_eq_u64 s[2:3], 0
	s_cbranch_scc1 .LBB343_3
; %bb.1:
	s_lshl_b64 s[4:5], s[34:35], 2
	s_delay_alu instid0(SALU_CYCLE_1) | instskip(SKIP_4) | instid1(SALU_CYCLE_1)
	s_add_u32 s4, s2, s4
	s_addc_u32 s5, s3, s5
	s_load_b64 s[4:5], s[4:5], 0x0
	s_waitcnt lgkmcnt(0)
	s_sub_i32 s4, s5, s4
	s_cmp_eq_u32 s4, 1
	s_cselect_b32 s4, -1, 0
	s_delay_alu instid0(SALU_CYCLE_1)
	s_and_not1_b32 vcc_lo, exec_lo, s4
	s_cbranch_vccz .LBB343_4
.LBB343_2:
	s_endpgm
.LBB343_3:
.LBB343_4:
	s_load_b64 s[8:9], s[0:1], 0x28
	s_lshl_b64 s[4:5], s[34:35], 2
	s_waitcnt lgkmcnt(0)
	s_add_u32 s8, s8, s4
	s_addc_u32 s9, s9, s5
	s_lshl_b32 s16, s14, 8
	s_load_b32 s18, s[8:9], 0x0
	s_waitcnt lgkmcnt(0)
	s_cmp_ge_i32 s16, s18
	s_cbranch_scc1 .LBB343_2
; %bb.5:
	s_and_not1_b32 vcc_lo, exec_lo, s6
	s_cbranch_vccnz .LBB343_7
; %bb.6:
	s_add_u32 s2, s2, s4
	s_addc_u32 s3, s3, s5
	s_load_b32 s3, s[2:3], 0x0
	s_branch .LBB343_8
.LBB343_7:
	s_mov_b32 s3, s34
.LBB343_8:
	s_clause 0x2
	s_load_b128 s[8:11], s[0:1], 0x8
	s_load_b64 s[12:13], s[0:1], 0x20
	s_load_b128 s[4:7], s[0:1], 0x48
	v_and_b32_e32 v79, 15, v0
	v_bfe_u32 v78, v0, 4, 1
	v_cmp_gt_u32_e64 s2, 32, v0
	s_lshl_b32 s31, s15, 1
	s_waitcnt lgkmcnt(0)
	s_mov_b32 s7, exec_lo
	v_lshlrev_b32_e32 v1, 3, v79
	v_cmpx_lt_u32_e32 31, v0
	s_xor_b32 s7, exec_lo, s7
; %bb.9:
	v_mov_b32_e32 v2, 0
; %bb.10:
	s_or_saveexec_b32 s7, s7
	v_and_b32_e32 v81, 31, v0
	v_and_b32_e32 v77, 1, v0
	v_or_b32_e32 v76, s31, v78
	v_lshlrev_b32_e32 v75, 6, v78
	s_xor_b32 exec_lo, exec_lo, s7
	s_cbranch_execz .LBB343_12
; %bb.11:
	s_load_b64 s[20:21], s[0:1], 0x0
	v_lshlrev_b32_e32 v2, 7, v76
	s_mul_hi_i32 s23, s3, s4
	s_mul_i32 s22, s3, s4
	v_lshlrev_b32_e32 v4, 1, v1
	s_lshl_b64 s[22:23], s[22:23], 1
	v_ashrrev_i32_e32 v3, 31, v2
	v_lshlrev_b32_e32 v7, 10, v77
	s_delay_alu instid0(VALU_DEP_2) | instskip(SKIP_3) | instid1(VALU_DEP_1)
	v_lshlrev_b64 v[2:3], 1, v[2:3]
	s_waitcnt lgkmcnt(0)
	s_add_u32 s3, s20, s22
	s_addc_u32 s4, s21, s23
	v_add_co_u32 v2, vcc_lo, s3, v2
	s_delay_alu instid0(VALU_DEP_2) | instskip(NEXT) | instid1(VALU_DEP_2)
	v_add_co_ci_u32_e32 v3, vcc_lo, s4, v3, vcc_lo
	v_add_co_u32 v2, vcc_lo, v2, v4
	s_delay_alu instid0(VALU_DEP_2) | instskip(SKIP_2) | instid1(VALU_DEP_1)
	v_add_co_ci_u32_e32 v3, vcc_lo, 0, v3, vcc_lo
	global_load_b128 v[3:6], v[2:3], off
	v_lshlrev_b32_e32 v2, 10, v79
	v_and_b32_e32 v2, 0x3800, v2
	s_delay_alu instid0(VALU_DEP_1)
	v_or3_b32 v7, v2, v7, v75
	v_mov_b32_e32 v2, 0
	s_waitcnt vmcnt(0)
	ds_store_b128 v7, v[3:6]
.LBB343_12:
	s_or_b32 exec_lo, exec_lo, s7
	v_and_b32_e32 v3, 0xef, v0
	s_add_i32 s3, s18, 31
	s_clause 0x1
	s_load_b32 s4, s[0:1], 0x38
	s_load_b32 s33, s[0:1], 0x98
	s_ashr_i32 s7, s3, 31
	v_add_nc_u32_e32 v3, s16, v3
	s_lshr_b32 s7, s7, 27
	s_load_b32 s19, s[0:1], 0x1c
	s_add_i32 s3, s3, s7
	s_waitcnt lgkmcnt(0)
	v_ashrrev_i32_e32 v4, 31, v3
	v_cmp_gt_i32_e32 vcc_lo, s18, v3
	s_ashr_i32 s3, s3, 5
	s_barrier
	s_add_i32 s3, s3, -1
	v_lshrrev_b32_e32 v5, 27, v4
	v_or_b32_e32 v4, 16, v3
	buffer_gl0_inv
	s_mul_i32 s6, s15, s6
	v_lshlrev_b64 v[73:74], 1, v[1:2]
	v_add_nc_u32_e32 v6, v3, v5
	v_add_nc_u32_e32 v5, v4, v5
	s_mul_i32 s20, s34, s4
	v_lshrrev_b32_e32 v82, 5, v0
	s_ashr_i32 s21, s20, 31
	v_ashrrev_i32_e32 v6, 5, v6
	v_ashrrev_i32_e32 v5, 5, v5
	s_lshl_b64 s[20:21], s[20:21], 2
	v_lshlrev_b32_e32 v80, 6, v79
	s_add_u32 s4, s12, s20
	v_cndmask_b32_e32 v3, s3, v6, vcc_lo
	v_cmp_gt_i32_e32 vcc_lo, s18, v4
	s_addc_u32 s17, s13, s21
	s_ashr_i32 s7, s6, 31
	s_delay_alu instid0(SALU_CYCLE_1)
	s_lshl_b64 s[6:7], s[6:7], 1
	v_cndmask_b32_e32 v5, s3, v5, vcc_lo
	v_ashrrev_i32_e32 v4, 31, v3
	s_add_u32 s15, s8, s6
	s_addc_u32 s28, s9, s7
	s_lshl_b32 s8, s14, 3
	v_ashrrev_i32_e32 v6, 31, v5
	v_lshlrev_b64 v[3:4], 2, v[3:4]
	s_ashr_i32 s9, s8, 31
	s_delay_alu instid0(SALU_CYCLE_1) | instskip(NEXT) | instid1(VALU_DEP_2)
	s_lshl_b64 s[8:9], s[8:9], 2
	v_lshlrev_b64 v[5:6], 2, v[5:6]
	s_add_u32 s8, s4, s8
	s_delay_alu instid0(VALU_DEP_2) | instskip(SKIP_1) | instid1(VALU_DEP_3)
	v_add_co_u32 v3, vcc_lo, s4, v3
	v_add_co_ci_u32_e32 v4, vcc_lo, s17, v4, vcc_lo
	v_add_co_u32 v5, vcc_lo, s4, v5
	s_delay_alu instid0(VALU_DEP_4)
	v_add_co_ci_u32_e32 v6, vcc_lo, s17, v6, vcc_lo
	s_addc_u32 s9, s17, s9
	s_clause 0x1
	global_load_b32 v7, v[3:4], off
	global_load_b32 v8, v[5:6], off
	s_or_b32 s12, s16, 32
	s_delay_alu instid0(SALU_CYCLE_1) | instskip(SKIP_2) | instid1(SALU_CYCLE_1)
	s_ashr_i32 s13, s12, 5
	s_cmp_lt_i32 s12, s18
	s_cselect_b32 s12, s13, s3
	s_ashr_i32 s13, s12, 31
	s_delay_alu instid0(SALU_CYCLE_1) | instskip(NEXT) | instid1(SALU_CYCLE_1)
	s_lshl_b64 s[12:13], s[12:13], 2
	s_add_u32 s12, s4, s12
	s_addc_u32 s13, s17, s13
	s_or_b32 s20, s16, 64
	s_delay_alu instid0(SALU_CYCLE_1) | instskip(SKIP_2) | instid1(SALU_CYCLE_1)
	s_ashr_i32 s21, s20, 5
	s_cmp_lt_i32 s20, s18
	s_cselect_b32 s20, s21, s3
	s_ashr_i32 s21, s20, 31
	s_delay_alu instid0(SALU_CYCLE_1) | instskip(NEXT) | instid1(SALU_CYCLE_1)
	s_lshl_b64 s[20:21], s[20:21], 2
	s_add_u32 s20, s4, s20
	s_addc_u32 s21, s17, s21
	;; [unrolled: 10-line block ×5, first 2 shown]
	s_clause 0x5
	s_load_b32 s29, s[8:9], 0x0
	s_load_b32 s30, s[12:13], 0x0
	;; [unrolled: 1-line block ×6, first 2 shown]
	s_mov_b32 s20, 0
	s_or_b32 s8, s16, 0xc0
	s_mov_b32 s21, s20
	s_mov_b32 s22, s20
	;; [unrolled: 1-line block ×7, first 2 shown]
	s_delay_alu instid0(SALU_CYCLE_1)
	v_dual_mov_b32 v130, s27 :: v_dual_lshlrev_b32 v171, 6, v77
	v_mov_b32_e32 v124, s21
	s_ashr_i32 s9, s8, 5
	s_cmp_lt_i32 s8, s18
	v_mov_b32_e32 v129, s26
	s_cselect_b32 s8, s9, s3
	v_mov_b32_e32 v128, s25
	s_ashr_i32 s9, s8, 31
	v_dual_mov_b32 v127, s24 :: v_dual_mov_b32 v126, s23
	v_mov_b32_e32 v125, s22
	v_mov_b32_e32 v123, s20
	s_lshl_b64 s[8:9], s[8:9], 2
	s_waitcnt lgkmcnt(0)
	s_mul_hi_i32 s13, s29, s5
	s_add_u32 s8, s4, s8
	s_addc_u32 s9, s17, s9
	s_mul_i32 s12, s29, s5
	s_mul_hi_i32 s21, s30, s5
	s_mul_i32 s20, s30, s5
	s_mul_hi_i32 s25, s35, s5
	;; [unrolled: 2-line block ×3, first 2 shown]
	s_mul_i32 s26, s36, s5
	s_mul_i32 s36, s38, s5
	s_waitcnt vmcnt(1)
	v_mad_i64_i32 v[3:4], null, v7, s5, 0
	s_waitcnt vmcnt(0)
	v_mad_i64_i32 v[5:6], null, v8, s5, 0
	s_delay_alu instid0(VALU_DEP_2) | instskip(NEXT) | instid1(VALU_DEP_2)
	v_lshlrev_b64 v[3:4], 1, v[3:4]
	v_lshlrev_b64 v[1:2], 1, v[5:6]
	s_delay_alu instid0(VALU_DEP_2) | instskip(NEXT) | instid1(VALU_DEP_3)
	v_add_co_u32 v3, vcc_lo, s15, v3
	v_add_co_ci_u32_e32 v4, vcc_lo, s28, v4, vcc_lo
	s_delay_alu instid0(VALU_DEP_3) | instskip(NEXT) | instid1(VALU_DEP_4)
	v_add_co_u32 v1, vcc_lo, s15, v1
	v_add_co_ci_u32_e32 v2, vcc_lo, s28, v2, vcc_lo
	s_delay_alu instid0(VALU_DEP_4) | instskip(NEXT) | instid1(VALU_DEP_4)
	v_add_co_u32 v65, vcc_lo, v3, v73
	v_add_co_ci_u32_e32 v66, vcc_lo, v4, v74, vcc_lo
	s_delay_alu instid0(VALU_DEP_4) | instskip(NEXT) | instid1(VALU_DEP_4)
	v_add_co_u32 v67, vcc_lo, v1, v73
	v_add_co_ci_u32_e32 v68, vcc_lo, v2, v74, vcc_lo
	s_clause 0xf
	global_load_b128 v[1:4], v[65:66], off
	global_load_b128 v[5:8], v[65:66], off offset:512
	global_load_b128 v[9:12], v[67:68], off offset:256
	;; [unrolled: 1-line block ×15, first 2 shown]
	v_add_co_u32 v159, vcc_lo, 0x1000, v65
	v_add_co_ci_u32_e32 v160, vcc_lo, 0, v66, vcc_lo
	v_add_co_u32 v167, vcc_lo, 0x1000, v67
	v_add_co_ci_u32_e32 v168, vcc_lo, 0, v68, vcc_lo
	s_clause 0x7
	global_load_b128 v[83:86], v[159:160], off
	global_load_b128 v[87:90], v[159:160], off offset:512
	global_load_b128 v[91:94], v[167:168], off offset:256
	;; [unrolled: 1-line block ×7, first 2 shown]
	ds_load_b128 v[65:68], v171
	ds_load_b128 v[69:72], v171 offset:1024
	s_clause 0x1
	global_load_b128 v[115:118], v[159:160], off offset:2048
	global_load_b128 v[119:122], v[159:160], off offset:2560
	ds_load_b128 v[131:134], v171 offset:2048
	ds_load_b128 v[135:138], v171 offset:3072
	s_clause 0x5
	global_load_b128 v[147:150], v[167:168], off offset:2304
	global_load_b128 v[151:154], v[167:168], off offset:2816
	;; [unrolled: 1-line block ×6, first 2 shown]
	s_or_b32 s15, s16, 0xe0
	s_delay_alu instid0(SALU_CYCLE_1) | instskip(SKIP_2) | instid1(SALU_CYCLE_1)
	s_ashr_i32 s22, s15, 5
	s_cmp_lt_i32 s15, s18
	s_cselect_b32 s22, s22, s3
	s_ashr_i32 s23, s22, 31
	s_delay_alu instid0(SALU_CYCLE_1) | instskip(NEXT) | instid1(SALU_CYCLE_1)
	s_lshl_b64 s[22:23], s[22:23], 2
	s_add_u32 s22, s4, s22
	s_addc_u32 s23, s17, s23
	s_add_i32 s15, s16, 0x100
	s_delay_alu instid0(SALU_CYCLE_1) | instskip(SKIP_2) | instid1(SALU_CYCLE_1)
	s_ashr_i32 s28, s15, 5
	s_cmp_lt_i32 s15, s18
	s_cselect_b32 s28, s28, s3
	s_ashr_i32 s29, s28, 31
	s_delay_alu instid0(SALU_CYCLE_1) | instskip(NEXT) | instid1(SALU_CYCLE_1)
	s_lshl_b64 s[28:29], s[28:29], 2
	s_add_u32 s28, s4, s28
	s_addc_u32 s29, s17, s29
	s_add_u32 s3, s10, s6
	s_waitcnt vmcnt(30) lgkmcnt(2)
	v_wmma_f32_16x16x16_f16 v[139:146], v[1:8], v[65:72], v[123:130]
	ds_load_b128 v[1:4], v171 offset:4096
	ds_load_b128 v[5:8], v171 offset:5120
	s_waitcnt vmcnt(28)
	v_wmma_f32_16x16x16_f16 v[123:130], v[9:16], v[65:72], v[123:130]
	ds_load_b128 v[9:12], v171 offset:6144
	ds_load_b128 v[13:16], v171 offset:7168
	s_waitcnt vmcnt(26) lgkmcnt(4)
	v_wmma_f32_16x16x16_f16 v[139:146], v[17:24], v[131:138], v[139:146]
	ds_load_b128 v[17:20], v171 offset:8192
	ds_load_b128 v[21:24], v171 offset:9216
	s_waitcnt vmcnt(24)
	v_wmma_f32_16x16x16_f16 v[123:130], v[25:32], v[131:138], v[123:130]
	ds_load_b128 v[131:134], v171 offset:10240
	ds_load_b128 v[135:138], v171 offset:11264
	s_clause 0x2
	s_load_b32 s15, s[8:9], 0x0
	s_load_b32 s4, s[22:23], 0x0
	;; [unrolled: 1-line block ×3, first 2 shown]
	s_addc_u32 s28, s11, s7
	s_lshl_b64 s[6:7], s[12:13], 1
	s_lshl_b64 s[10:11], s[20:21], 1
	;; [unrolled: 1-line block ×4, first 2 shown]
	s_mul_hi_i32 s9, s37, s5
	s_mul_i32 s8, s37, s5
	s_mul_hi_i32 s37, s38, s5
	s_lshl_b64 s[8:9], s[8:9], 1
	s_lshl_b64 s[22:23], s[36:37], 1
	s_waitcnt vmcnt(22) lgkmcnt(0)
	v_wmma_f32_16x16x16_f16 v[139:146], v[33:40], v[1:8], v[139:146]
	s_waitcnt vmcnt(20)
	v_wmma_f32_16x16x16_f16 v[123:130], v[41:48], v[1:8], v[123:130]
	v_lshl_or_b32 v1, v82, 10, v80
	s_waitcnt vmcnt(18)
	v_wmma_f32_16x16x16_f16 v[139:146], v[49:56], v[9:16], v[139:146]
	s_waitcnt vmcnt(16)
	v_wmma_f32_16x16x16_f16 v[123:130], v[57:64], v[9:16], v[123:130]
	v_add_co_u32 v172, s3, s3, v1
	s_delay_alu instid0(VALU_DEP_1) | instskip(SKIP_1) | instid1(VALU_DEP_2)
	v_add_co_ci_u32_e64 v173, null, s28, 0, s3
	s_mul_hi_i32 s25, s15, s5
	v_add_co_u32 v1, vcc_lo, v172, s6
	s_delay_alu instid0(VALU_DEP_2)
	v_add_co_ci_u32_e32 v2, vcc_lo, s7, v173, vcc_lo
	v_add_co_u32 v3, vcc_lo, v172, s10
	v_add_co_ci_u32_e32 v4, vcc_lo, s11, v173, vcc_lo
	v_add_co_u32 v5, vcc_lo, v172, s12
	;; [unrolled: 2-line block ×4, first 2 shown]
	s_mul_i32 s24, s15, s5
	v_add_co_ci_u32_e32 v26, vcc_lo, s9, v173, vcc_lo
	v_add_co_u32 v27, vcc_lo, v172, s22
	s_lshl_b64 s[24:25], s[24:25], 1
	v_add_co_ci_u32_e32 v28, vcc_lo, s23, v173, vcc_lo
	s_mul_hi_i32 s7, s4, s5
	s_mul_i32 s6, s4, s5
	v_add_co_u32 v29, vcc_lo, v172, s24
	s_lshl_b64 s[6:7], s[6:7], 1
	v_add_co_ci_u32_e32 v30, vcc_lo, s25, v173, vcc_lo
	s_waitcnt vmcnt(14)
	v_wmma_f32_16x16x16_f16 v[139:146], v[83:90], v[17:24], v[139:146]
	s_waitcnt vmcnt(12)
	v_wmma_f32_16x16x16_f16 v[123:130], v[91:98], v[17:24], v[123:130]
	v_add_co_u32 v17, vcc_lo, v172, s6
	v_add_co_ci_u32_e32 v18, vcc_lo, s7, v173, vcc_lo
	s_mul_hi_i32 s7, s17, s5
	s_mul_i32 s6, s17, s5
	s_clause 0x5
	global_load_b128 v[65:68], v[1:2], off
	global_load_b128 v[69:72], v[1:2], off offset:16
	global_load_b128 v[57:60], v[3:4], off
	global_load_b128 v[61:64], v[3:4], off offset:16
	;; [unrolled: 2-line block ×3, first 2 shown]
	s_lshl_b64 s[4:5], s[6:7], 1
	s_clause 0x1
	global_load_b128 v[41:44], v[7:8], off
	global_load_b128 v[45:48], v[7:8], off offset:16
	v_add_co_u32 v21, vcc_lo, v172, s4
	v_add_co_ci_u32_e32 v22, vcc_lo, s5, v173, vcc_lo
	s_clause 0x9
	global_load_b128 v[9:12], v[25:26], off
	global_load_b128 v[13:16], v[25:26], off offset:16
	global_load_b128 v[1:4], v[27:28], off
	global_load_b128 v[5:8], v[27:28], off offset:16
	;; [unrolled: 2-line block ×5, first 2 shown]
	ds_load_b128 v[83:86], v171 offset:12288
	ds_load_b128 v[87:90], v171 offset:13312
	v_and_b32_e32 v91, 0xe0, v0
	s_waitcnt vmcnt(28)
	v_wmma_f32_16x16x16_f16 v[139:146], v[99:106], v[131:138], v[139:146]
	v_mbcnt_lo_u32_b32 v99, -1, 0
	s_waitcnt vmcnt(26)
	v_wmma_f32_16x16x16_f16 v[123:130], v[107:114], v[131:138], v[123:130]
	v_add_nc_u32_e32 v100, s16, v91
	ds_load_b128 v[91:94], v171 offset:14336
	ds_load_b128 v[95:98], v171 offset:15360
	v_xor_b32_e32 v101, 16, v99
	s_waitcnt vmcnt(0) lgkmcnt(0)
	s_barrier
	v_or_b32_e32 v100, v100, v78
	buffer_gl0_inv
	v_cmp_gt_i32_e32 vcc_lo, 32, v101
	v_or_b32_e32 v102, 20, v100
	v_or_b32_e32 v103, 22, v100
	;; [unrolled: 1-line block ×4, first 2 shown]
	v_wmma_f32_16x16x16_f16 v[139:146], v[115:122], v[83:90], v[139:146]
	v_wmma_f32_16x16x16_f16 v[123:130], v[147:154], v[83:90], v[123:130]
	v_or_b32_e32 v83, 4, v100
	v_or_b32_e32 v84, 6, v100
	;; [unrolled: 1-line block ×5, first 2 shown]
	v_wmma_f32_16x16x16_f16 v[139:146], v[155:162], v[91:98], v[139:146]
	v_cndmask_b32_e32 v99, v99, v101, vcc_lo
	v_or_b32_e32 v101, 2, v100
	v_wmma_f32_16x16x16_f16 v[123:130], v[163:170], v[91:98], v[123:130]
	v_cmp_gt_i32_e32 vcc_lo, s18, v100
	v_dual_mul_f32 v98, s19, v139 :: v_dual_mul_f32 v97, s19, v140
	s_delay_alu instid0(VALU_DEP_4) | instskip(NEXT) | instid1(VALU_DEP_4)
	v_cmp_gt_i32_e64 s3, s18, v101
	v_mul_f32_e32 v112, s19, v126
	v_dual_mul_f32 v95, s19, v142 :: v_dual_mul_f32 v114, s19, v124
	v_mul_f32_e32 v96, s19, v141
	v_cndmask_b32_e32 v98, 0xff7fffff, v98, vcc_lo
	v_cndmask_b32_e64 v97, 0xff7fffff, v97, s3
	v_cmp_gt_i32_e64 s4, s18, v83
	v_cmp_gt_i32_e64 s5, s18, v84
	v_or_b32_e32 v88, 14, v100
	v_dual_mul_f32 v93, s19, v144 :: v_dual_mul_f32 v108, s19, v130
	v_mul_f32_e32 v94, s19, v143
	v_cndmask_b32_e64 v83, 0xff7fffff, v96, s4
	v_cndmask_b32_e64 v84, 0xff7fffff, v95, s5
	v_max3_f32 v95, v98, 0xff7fffff, v97
	v_cmp_gt_i32_e64 s6, s18, v85
	v_cmp_gt_i32_e64 s7, s18, v86
	v_or_b32_e32 v89, 16, v100
	v_or_b32_e32 v90, 18, v100
	v_dual_mul_f32 v91, s19, v146 :: v_dual_mul_f32 v110, s19, v128
	v_mul_f32_e32 v92, s19, v145
	v_cndmask_b32_e64 v85, 0xff7fffff, v94, s6
	v_cndmask_b32_e64 v86, 0xff7fffff, v93, s7
	v_max3_f32 v83, v95, v83, v84
	v_cmp_gt_i32_e64 s8, s18, v87
	v_cmp_gt_i32_e64 s9, s18, v88
	v_mul_f32_e32 v115, s19, v123
	v_cmp_gt_i32_e64 s10, s18, v89
	v_max3_f32 v83, v83, v85, v86
	v_cndmask_b32_e64 v84, 0xff7fffff, v92, s8
	v_cndmask_b32_e64 v87, 0xff7fffff, v91, s9
	v_cmp_gt_i32_e64 s11, s18, v90
	v_mul_f32_e32 v113, s19, v125
	v_cndmask_b32_e64 v85, 0xff7fffff, v115, s10
	v_cmp_gt_i32_e64 s12, s18, v102
	v_max3_f32 v83, v83, v84, v87
	v_cndmask_b32_e64 v86, 0xff7fffff, v114, s11
	v_cmp_gt_i32_e64 s13, s18, v103
	v_or_b32_e32 v106, 28, v100
	v_or_b32_e32 v107, 30, v100
	v_mul_f32_e32 v111, s19, v127
	v_cndmask_b32_e64 v84, 0xff7fffff, v113, s12
	v_cndmask_b32_e64 v87, 0xff7fffff, v112, s13
	v_max3_f32 v83, v83, v85, v86
	v_cmp_gt_i32_e64 s15, s18, v104
	v_cmp_gt_i32_e64 s16, s18, v105
	v_mul_f32_e32 v109, s19, v129
	v_cmp_gt_i32_e64 s17, s18, v106
	v_max3_f32 v83, v83, v84, v87
	v_cndmask_b32_e64 v85, 0xff7fffff, v111, s15
	v_cndmask_b32_e64 v86, 0xff7fffff, v110, s16
	v_cmp_gt_i32_e64 s18, s18, v107
	v_cndmask_b32_e64 v84, 0xff7fffff, v109, s17
	s_delay_alu instid0(VALU_DEP_3) | instskip(NEXT) | instid1(VALU_DEP_3)
	v_max3_f32 v83, v83, v85, v86
	v_cndmask_b32_e64 v87, 0xff7fffff, v108, s18
	v_lshlrev_b32_e32 v85, 2, v99
	s_delay_alu instid0(VALU_DEP_2) | instskip(SKIP_3) | instid1(VALU_DEP_1)
	v_max3_f32 v83, v83, v84, v87
	ds_bpermute_b32 v84, v85, v83
	s_waitcnt lgkmcnt(0)
	v_max_f32_e32 v84, v84, v84
	v_max_f32_e32 v83, v83, v84
	s_delay_alu instid0(VALU_DEP_1) | instskip(SKIP_3) | instid1(VALU_DEP_4)
	v_fma_f32 v84, s19, v139, -v83
	v_fma_f32 v86, s19, v140, -v83
	;; [unrolled: 1-line block ×4, first 2 shown]
	v_mul_f32_e32 v84, 0x3fb8aa3b, v84
	s_delay_alu instid0(VALU_DEP_4) | instskip(NEXT) | instid1(VALU_DEP_3)
	v_mul_f32_e32 v86, 0x3fb8aa3b, v86
	v_mul_f32_e32 v90, 0x3fb8aa3b, v88
	s_delay_alu instid0(VALU_DEP_3) | instskip(NEXT) | instid1(VALU_DEP_2)
	v_exp_f32_e32 v84, v84
	v_exp_f32_e32 v86, v86
	s_delay_alu instid0(VALU_DEP_1) | instskip(NEXT) | instid1(TRANS32_DEP_3)
	v_exp_f32_e32 v92, v90
	v_dual_cndmask_b32 v88, 0, v84 :: v_dual_mul_f32 v87, 0x3fb8aa3b, v87
	s_delay_alu instid0(VALU_DEP_1) | instskip(NEXT) | instid1(TRANS32_DEP_3)
	v_exp_f32_e32 v91, v87
	v_cndmask_b32_e64 v87, 0, v86, s3
	s_delay_alu instid0(VALU_DEP_2) | instskip(SKIP_1) | instid1(VALU_DEP_1)
	v_add_f32_e32 v86, 0, v88
	s_mov_b32 s3, exec_lo
	v_add_f32_e32 v86, v86, v87
	v_fma_f32 v89, s19, v143, -v83
	v_fma_f32 v84, s19, v144, -v83
	;; [unrolled: 1-line block ×3, first 2 shown]
	s_delay_alu instid0(TRANS32_DEP_1) | instskip(SKIP_1) | instid1(VALU_DEP_4)
	v_cndmask_b32_e64 v90, 0, v91, s4
	v_fma_f32 v91, s19, v146, -v83
	v_dual_mul_f32 v89, 0x3fb8aa3b, v89 :: v_dual_mul_f32 v84, 0x3fb8aa3b, v84
	s_delay_alu instid0(VALU_DEP_3) | instskip(SKIP_1) | instid1(VALU_DEP_3)
	v_dual_mul_f32 v93, 0x3fb8aa3b, v93 :: v_dual_add_f32 v86, v86, v90
	v_fma_f32 v95, s19, v123, -v83
	v_exp_f32_e32 v94, v89
	s_delay_alu instid0(VALU_DEP_3)
	v_exp_f32_e32 v84, v84
	v_cndmask_b32_e64 v89, 0, v92, s5
	v_mul_f32_e32 v91, 0x3fb8aa3b, v91
	v_fma_f32 v98, s19, v126, -v83
	v_exp_f32_e32 v93, v93
	v_fma_f32 v99, s19, v127, -v83
	v_add_f32_e32 v86, v86, v89
	v_exp_f32_e32 v96, v91
	v_mul_f32_e32 v98, 0x3fb8aa3b, v98
	v_cndmask_b32_e64 v92, 0, v94, s6
	v_fma_f32 v94, s19, v124, -v83
	v_mul_f32_e32 v95, 0x3fb8aa3b, v95
	v_cndmask_b32_e64 v91, 0, v84, s7
	s_delay_alu instid0(VALU_DEP_4)
	v_dual_mul_f32 v99, 0x3fb8aa3b, v99 :: v_dual_add_f32 v84, v86, v92
	v_fma_f32 v86, s19, v125, -v83
	v_mul_f32_e32 v97, 0x3fb8aa3b, v94
	v_exp_f32_e32 v95, v95
	v_exp_f32_e32 v101, v98
	v_add_f32_e32 v84, v84, v91
	v_mul_f32_e32 v86, 0x3fb8aa3b, v86
	v_exp_f32_e32 v97, v97
	v_cndmask_b32_e64 v94, 0, v93, s8
	v_cndmask_b32_e64 v93, 0, v96, s9
	v_fma_f32 v100, s19, v128, -v83
	v_exp_f32_e32 v86, v86
	v_exp_f32_e32 v99, v99
	v_cndmask_b32_e64 v96, 0, v95, s10
	s_delay_alu instid0(VALU_DEP_2) | instskip(NEXT) | instid1(TRANS32_DEP_3)
	v_mul_f32_e32 v100, 0x3fb8aa3b, v100
	v_cndmask_b32_e64 v95, 0, v97, s11
	v_fma_f32 v97, s19, v129, -v83
	s_delay_alu instid0(VALU_DEP_3) | instskip(NEXT) | instid1(TRANS32_DEP_3)
	v_exp_f32_e32 v102, v100
	v_cndmask_b32_e64 v98, 0, v86, s12
	s_delay_alu instid0(TRANS32_DEP_2) | instskip(NEXT) | instid1(VALU_DEP_3)
	v_cndmask_b32_e64 v100, 0, v99, s15
	v_mul_f32_e32 v86, 0x3fb8aa3b, v97
	v_cndmask_b32_e64 v97, 0, v101, s13
	v_fma_f32 v101, s19, v130, -v83
	v_add_f32_e32 v84, v84, v94
	s_delay_alu instid0(VALU_DEP_4) | instskip(NEXT) | instid1(VALU_DEP_2)
	v_exp_f32_e32 v86, v86
	v_mul_f32_e32 v101, 0x3fb8aa3b, v101
	s_delay_alu instid0(VALU_DEP_2) | instskip(SKIP_1) | instid1(VALU_DEP_3)
	v_add_f32_e32 v84, v84, v93
	v_cndmask_b32_e64 v99, 0, v102, s16
	v_exp_f32_e32 v101, v101
	s_delay_alu instid0(VALU_DEP_2) | instskip(SKIP_4) | instid1(VALU_DEP_2)
	v_add_f32_e32 v84, v84, v96
	s_waitcnt_depctr 0xfff
	v_cndmask_b32_e64 v102, 0, v86, s17
	v_add_f32_e32 v84, v84, v95
	v_cndmask_b32_e64 v101, 0, v101, s18
	v_add_f32_e32 v84, v84, v98
	s_delay_alu instid0(VALU_DEP_1) | instskip(NEXT) | instid1(VALU_DEP_1)
	v_add_f32_e32 v84, v84, v97
	v_add_f32_e32 v84, v84, v100
	s_delay_alu instid0(VALU_DEP_1) | instskip(NEXT) | instid1(VALU_DEP_1)
	v_add_f32_e32 v84, v84, v99
	v_add_f32_e32 v84, v84, v102
	s_delay_alu instid0(VALU_DEP_1)
	v_add_f32_e32 v84, v84, v101
	ds_bpermute_b32 v85, v85, v84
	v_cmpx_gt_u32_e32 16, v81
	s_cbranch_execz .LBB343_14
; %bb.13:
	v_mul_u32_u24_e32 v81, 0x44, v82
	s_waitcnt lgkmcnt(0)
	v_add_f32_e32 v84, v84, v85
	s_delay_alu instid0(VALU_DEP_2) | instskip(NEXT) | instid1(VALU_DEP_1)
	v_lshl_add_u32 v81, v79, 2, v81
	v_add_nc_u32_e32 v81, 0x4000, v81
	ds_store_2addr_b32 v81, v83, v84 offset1:136
.LBB343_14:
	s_or_b32 exec_lo, exec_lo, s3
	v_lshlrev_b32_e32 v79, 2, v79
	s_load_b32 s35, s[0:1], 0x94
	s_waitcnt lgkmcnt(0)
	s_barrier
	buffer_gl0_inv
	v_add_nc_u32_e32 v79, 0x4000, v79
	v_cmp_eq_u32_e32 vcc_lo, 1, v82
	v_cmp_eq_u32_e64 s3, 2, v82
	v_cmp_eq_u32_e64 s4, 3, v82
	;; [unrolled: 1-line block ×3, first 2 shown]
	ds_load_2addr_b32 v[83:84], v79 offset1:17
	ds_load_2addr_b32 v[103:104], v79 offset0:34 offset1:51
	ds_load_2addr_b32 v[105:106], v79 offset0:68 offset1:85
	;; [unrolled: 1-line block ×4, first 2 shown]
	v_cmp_eq_u32_e64 s6, 7, v82
	s_waitcnt lgkmcnt(4)
	v_max3_f32 v81, v83, 0xff7fffff, v84
	s_waitcnt lgkmcnt(3)
	s_delay_alu instid0(VALU_DEP_1) | instskip(SKIP_1) | instid1(VALU_DEP_1)
	v_max3_f32 v81, v81, v103, v104
	s_waitcnt lgkmcnt(2)
	v_max3_f32 v81, v81, v105, v106
	s_waitcnt lgkmcnt(1)
	s_delay_alu instid0(VALU_DEP_1) | instskip(NEXT) | instid1(VALU_DEP_1)
	v_max3_f32 v85, v81, v107, v108
	v_sub_f32_e32 v86, v84, v85
	v_sub_f32_e32 v81, v83, v85
	;; [unrolled: 1-line block ×3, first 2 shown]
	s_delay_alu instid0(VALU_DEP_3) | instskip(NEXT) | instid1(VALU_DEP_2)
	v_dual_sub_f32 v111, v104, v85 :: v_dual_mul_f32 v86, 0x3fb8aa3b, v86
	v_dual_mul_f32 v81, 0x3fb8aa3b, v81 :: v_dual_mul_f32 v112, 0x3fb8aa3b, v103
	s_delay_alu instid0(VALU_DEP_2) | instskip(NEXT) | instid1(VALU_DEP_3)
	v_mul_f32_e32 v111, 0x3fb8aa3b, v111
	v_exp_f32_e32 v113, v86
	s_delay_alu instid0(VALU_DEP_2) | instskip(NEXT) | instid1(VALU_DEP_2)
	v_exp_f32_e32 v81, v81
	v_exp_f32_e32 v112, v112
	s_delay_alu instid0(VALU_DEP_1) | instskip(SKIP_1) | instid1(TRANS32_DEP_3)
	v_exp_f32_e32 v111, v111
	s_waitcnt lgkmcnt(0)
	v_fma_f32 v86, v81, v109, 0
	s_delay_alu instid0(VALU_DEP_1)
	v_fmac_f32_e32 v86, v113, v110
	ds_load_2addr_b32 v[83:84], v79 offset0:170 offset1:187
	ds_load_2addr_b32 v[103:104], v79 offset0:204 offset1:221
	s_waitcnt lgkmcnt(1)
	v_dual_sub_f32 v109, v106, v85 :: v_dual_fmac_f32 v86, v112, v83
	v_sub_f32_e32 v105, v105, v85
	s_delay_alu instid0(VALU_DEP_2) | instskip(NEXT) | instid1(VALU_DEP_2)
	v_dual_sub_f32 v83, v108, v85 :: v_dual_fmac_f32 v86, v111, v84
	v_mul_f32_e32 v114, 0x3fb8aa3b, v105
	ds_load_2addr_b32 v[105:106], v79 offset0:238 offset1:255
	v_sub_f32_e32 v79, v107, v85
	v_mul_f32_e32 v107, 0x3fb8aa3b, v109
	v_mul_f32_e32 v83, 0x3fb8aa3b, v83
	v_exp_f32_e32 v109, v114
	s_waitcnt lgkmcnt(0)
	s_barrier
	v_exp_f32_e32 v107, v107
	buffer_gl0_inv
	v_fmac_f32_e32 v86, v109, v103
	v_exp_f32_e32 v103, v83
	s_delay_alu instid0(VALU_DEP_1) | instskip(NEXT) | instid1(VALU_DEP_1)
	v_dual_fmac_f32 v86, v107, v104 :: v_dual_mul_f32 v79, 0x3fb8aa3b, v79
	v_exp_f32_e32 v108, v79
	s_waitcnt_depctr 0xfff
	v_fmac_f32_e32 v86, v108, v105
	s_delay_alu instid0(VALU_DEP_1) | instskip(NEXT) | instid1(VALU_DEP_1)
	v_fmac_f32_e32 v86, v103, v106
	v_add_f32_e32 v104, 0x358637bd, v86
	s_delay_alu instid0(VALU_DEP_1) | instskip(NEXT) | instid1(VALU_DEP_1)
	v_div_scale_f32 v105, null, v104, v104, 1.0
	v_rcp_f32_e32 v106, v105
	s_waitcnt_depctr 0xfff
	v_fma_f32 v79, -v105, v106, 1.0
	s_delay_alu instid0(VALU_DEP_1) | instskip(SKIP_1) | instid1(VALU_DEP_2)
	v_dual_fmac_f32 v106, v79, v106 :: v_dual_cndmask_b32 v81, v81, v113
	v_div_scale_f32 v110, vcc_lo, 1.0, v104, 1.0
	v_cndmask_b32_e64 v79, v81, v112, s3
	s_delay_alu instid0(VALU_DEP_2) | instskip(SKIP_2) | instid1(VALU_DEP_4)
	v_mul_f32_e32 v112, v110, v106
	v_cmp_eq_u32_e64 s3, 4, v82
	v_lshl_or_b32 v81, v82, 11, v80
	v_cndmask_b32_e64 v83, v79, v111, s4
	s_delay_alu instid0(VALU_DEP_4)
	v_fma_f32 v84, -v105, v112, v110
	v_cmp_eq_u32_e64 s4, 6, v82
	v_lshlrev_b32_e32 v79, 2, v78
	v_lshl_or_b32 v78, v78, 4, v81
	v_cndmask_b32_e64 v83, v83, v109, s3
	v_fmac_f32_e32 v112, v84, v106
	s_delay_alu instid0(VALU_DEP_4) | instskip(SKIP_1) | instid1(VALU_DEP_4)
	v_or_b32_e32 v82, 1, v79
	v_or_b32_e32 v84, 2, v79
	v_cndmask_b32_e64 v107, v83, v107, s5
	s_delay_alu instid0(VALU_DEP_4)
	v_fma_f32 v105, -v105, v112, v110
	v_or_b32_e32 v83, 3, v79
	v_cmp_eq_u32_e64 s3, 1, v79
	v_cmp_eq_u32_e64 s9, 1, v82
	v_cndmask_b32_e64 v107, v107, v108, s4
	v_div_fmas_f32 v105, v105, v106, v112
	v_cmp_eq_u32_e64 s10, 1, v84
	v_cmp_eq_u32_e64 s11, 1, v83
	v_cmp_eq_u32_e32 vcc_lo, 2, v79
	v_cndmask_b32_e64 v103, v107, v103, s6
	v_div_fixup_f32 v104, v105, v104, 1.0
	v_cmp_eq_u32_e64 s12, 2, v82
	v_cmp_eq_u32_e64 s15, 2, v84
	;; [unrolled: 1-line block ×4, first 2 shown]
	v_mul_f32_e32 v111, v103, v104
	v_cmp_eq_u32_e64 s13, 3, v82
	v_cmp_eq_u32_e64 s17, 3, v84
	;; [unrolled: 1-line block ×4, first 2 shown]
	v_fma_mixlo_f16 v103, v111, v88, 0
	v_fma_mixlo_f16 v104, v111, v90, 0
	;; [unrolled: 1-line block ×8, first 2 shown]
	v_fma_mixhi_f16 v103, v111, v87, 0
	v_fma_mixhi_f16 v104, v111, v89, 0
	;; [unrolled: 1-line block ×8, first 2 shown]
	ds_store_b128 v78, v[103:106]
	ds_store_b128 v78, v[107:110] offset:1024
	s_waitcnt lgkmcnt(0)
	s_barrier
	buffer_gl0_inv
	ds_load_b128 v[87:90], v81
	ds_load_b128 v[91:94], v81 offset:16
	ds_load_b128 v[95:98], v81 offset:1024
	;; [unrolled: 1-line block ×3, first 2 shown]
	v_cmp_eq_u32_e64 s21, 4, v84
	v_cmp_eq_u32_e64 s24, 5, v83
	;; [unrolled: 1-line block ×10, first 2 shown]
	s_waitcnt lgkmcnt(3)
	v_lshrrev_b32_e32 v103, 16, v87
	s_waitcnt lgkmcnt(2)
	v_lshrrev_b32_e32 v107, 16, v91
	;; [unrolled: 2-line block ×4, first 2 shown]
	v_lshrrev_b32_e32 v104, 16, v88
	v_cndmask_b32_e64 v119, v87, v103, s3
	v_cndmask_b32_e64 v120, v91, v107, s3
	;; [unrolled: 1-line block ×8, first 2 shown]
	v_lshrrev_b32_e32 v108, 16, v92
	v_cndmask_b32_e64 v103, v95, v111, s3
	v_cndmask_b32_e64 v107, v99, v115, s3
	;; [unrolled: 1-line block ×5, first 2 shown]
	v_cndmask_b32_e32 v111, v119, v88, vcc_lo
	v_cndmask_b32_e64 v119, v121, v88, s12
	v_cndmask_b32_e64 v121, v123, v88, s15
	;; [unrolled: 1-line block ×4, first 2 shown]
	v_lshrrev_b32_e32 v112, 16, v96
	v_lshrrev_b32_e32 v116, 16, v100
	v_cndmask_b32_e64 v126, v99, v115, s9
	v_cndmask_b32_e64 v128, v99, v115, s10
	;; [unrolled: 1-line block ×3, first 2 shown]
	v_cndmask_b32_e32 v115, v120, v92, vcc_lo
	v_cndmask_b32_e64 v120, v122, v92, s12
	v_cndmask_b32_e64 v122, v124, v92, s15
	v_cndmask_b32_e32 v91, v103, v96, vcc_lo
	v_cndmask_b32_e32 v92, v107, v100, vcc_lo
	v_cmp_eq_u32_e64 s4, 3, v79
	v_cndmask_b32_e64 v103, v125, v96, s12
	v_cndmask_b32_e64 v87, v87, v104, s18
	;; [unrolled: 1-line block ×3, first 2 shown]
	v_cmp_eq_u32_e64 s5, 4, v79
	v_lshrrev_b32_e32 v105, 16, v89
	v_lshrrev_b32_e32 v109, 16, v93
	v_cndmask_b32_e64 v107, v127, v96, s15
	v_cndmask_b32_e64 v95, v95, v96, s16
	;; [unrolled: 1-line block ×14, first 2 shown]
	v_cmp_eq_u32_e64 s6, 5, v79
	v_lshrrev_b32_e32 v113, 16, v97
	v_cndmask_b32_e64 v99, v99, v89, s5
	v_cndmask_b32_e64 v104, v111, v93, s5
	;; [unrolled: 1-line block ×11, first 2 shown]
	v_cmp_eq_u32_e64 s7, 6, v79
	v_lshrrev_b32_e32 v106, 16, v90
	v_lshrrev_b32_e32 v110, 16, v94
	v_cndmask_b32_e64 v93, v99, v105, s6
	v_cndmask_b32_e64 v99, v104, v109, s6
	;; [unrolled: 1-line block ×9, first 2 shown]
	v_cmp_eq_u32_e64 s8, 7, v79
	v_lshrrev_b32_e32 v114, 16, v98
	v_cndmask_b32_e64 v89, v89, v113, s6
	v_cndmask_b32_e64 v93, v93, v90, s7
	;; [unrolled: 1-line block ×19, first 2 shown]
	v_perm_b32 v90, v88, v87, 0x5040100
	v_cndmask_b32_e64 v87, v126, v100, s12
	v_cndmask_b32_e64 v105, v89, v114, s8
	v_perm_b32 v89, v103, v99, 0x5040100
	v_perm_b32 v88, v104, v94, 0x5040100
	v_cndmask_b32_e64 v94, v107, v112, s17
	v_cndmask_b32_e64 v95, v95, v112, s18
	;; [unrolled: 1-line block ×5, first 2 shown]
	v_lshrrev_b32_e32 v117, 16, v101
	v_cndmask_b32_e64 v94, v94, v97, s21
	v_cndmask_b32_e64 v95, v95, v97, s22
	v_cndmask_b32_e64 v96, v96, v101, s22
	v_cndmask_b32_e64 v97, v99, v101, s21
	v_cndmask_b32_e64 v87, v87, v101, s19
	v_cndmask_b32_e64 v91, v91, v117, s6
	v_cndmask_b32_e64 v94, v94, v113, s23
	v_cndmask_b32_e64 v95, v95, v113, s24
	v_cndmask_b32_e64 v96, v96, v117, s24
	v_cndmask_b32_e64 v97, v97, v117, s23
	v_cndmask_b32_e64 v87, v87, v117, s20
	v_lshrrev_b32_e32 v118, 16, v102
	v_cndmask_b32_e64 v91, v91, v102, s7
	v_cndmask_b32_e64 v94, v94, v98, s26
	;; [unrolled: 1-line block ×12, first 2 shown]
	v_perm_b32 v87, v93, v92, 0x5040100
	v_perm_b32 v94, v95, v94, 0x5040100
	;; [unrolled: 1-line block ×5, first 2 shown]
	s_lshl_b32 s7, s33, 1
	s_mov_b32 s3, exec_lo
	ds_store_b128 v78, v[87:90]
	ds_store_b128 v78, v[91:94] offset:1024
	v_cmpx_gt_u32_e32 2, v0
	s_cbranch_execz .LBB343_16
; %bb.15:
	v_or_b32_e32 v87, s31, v0
	s_load_b128 s[8:11], s[0:1], 0x58
	s_delay_alu instid0(VALU_DEP_1) | instskip(NEXT) | instid1(VALU_DEP_1)
	v_mad_u64_u32 v[88:89], null, s7, s34, v[87:88]
	v_mad_u64_u32 v[89:90], null, v88, s35, s[14:15]
	s_delay_alu instid0(VALU_DEP_1) | instskip(NEXT) | instid1(VALU_DEP_1)
	v_ashrrev_i32_e32 v90, 31, v89
	v_lshlrev_b64 v[87:88], 2, v[89:90]
	s_waitcnt lgkmcnt(0)
	s_delay_alu instid0(VALU_DEP_1) | instskip(NEXT) | instid1(VALU_DEP_2)
	v_add_co_u32 v89, vcc_lo, s10, v87
	v_add_co_ci_u32_e32 v90, vcc_lo, s11, v88, vcc_lo
	v_add_co_u32 v87, vcc_lo, s8, v87
	v_add_co_ci_u32_e32 v88, vcc_lo, s9, v88, vcc_lo
	global_store_b32 v[89:90], v85, off
	global_store_b32 v[87:88], v86, off
.LBB343_16:
	s_or_b32 exec_lo, exec_lo, s3
	s_waitcnt lgkmcnt(0)
	s_waitcnt_vscnt null, 0x0
	s_barrier
	buffer_gl0_inv
	ds_load_b128 v[93:96], v80
	ds_load_b128 v[97:100], v80 offset:16
	ds_load_b128 v[105:108], v80 offset:1040
	;; [unrolled: 1-line block ×5, first 2 shown]
	v_cmp_eq_u32_e32 vcc_lo, 1, v84
	v_mov_b32_e32 v85, 0
	ds_load_b128 v[121:124], v80 offset:3088
	ds_load_b128 v[117:120], v80 offset:3072
	;; [unrolled: 1-line block ×4, first 2 shown]
	v_cmp_eq_u32_e64 s3, 1, v79
	v_cmp_eq_u32_e64 s4, 1, v83
	;; [unrolled: 1-line block ×3, first 2 shown]
	v_mov_b32_e32 v86, v85
	v_mov_b32_e32 v87, v85
	;; [unrolled: 1-line block ×7, first 2 shown]
	v_cmp_eq_u32_e64 s6, 2, v79
	s_waitcnt lgkmcnt(8)
	s_delay_alu instid0(VALU_DEP_2)
	v_wmma_f32_16x16x16_f16 v[85:92], v[65:72], v[93:100], v[85:92]
	ds_load_b128 v[69:72], v80 offset:5136
	ds_load_b128 v[65:68], v80 offset:5120
	;; [unrolled: 1-line block ×4, first 2 shown]
	s_waitcnt lgkmcnt(10)
	v_wmma_f32_16x16x16_f16 v[85:92], v[57:64], v[101:108], v[85:92]
	s_waitcnt lgkmcnt(8)
	s_delay_alu instid0(VALU_DEP_1)
	v_wmma_f32_16x16x16_f16 v[85:92], v[57:64], v[109:116], v[85:92]
	ds_load_b128 v[61:64], v80 offset:7184
	ds_load_b128 v[57:60], v80 offset:7168
	;; [unrolled: 1-line block ×4, first 2 shown]
	s_waitcnt lgkmcnt(10)
	v_wmma_f32_16x16x16_f16 v[85:92], v[49:56], v[117:124], v[85:92]
	s_waitcnt lgkmcnt(8)
	s_delay_alu instid0(VALU_DEP_1)
	v_wmma_f32_16x16x16_f16 v[85:92], v[49:56], v[125:132], v[85:92]
	ds_load_b128 v[53:56], v80 offset:9232
	ds_load_b128 v[49:52], v80 offset:9216
	s_waitcnt lgkmcnt(8)
	v_wmma_f32_16x16x16_f16 v[85:92], v[41:48], v[65:72], v[85:92]
	ds_load_b128 v[69:72], v80 offset:10256
	ds_load_b128 v[65:68], v80 offset:10240
	s_waitcnt lgkmcnt(8)
	v_wmma_f32_16x16x16_f16 v[85:92], v[41:48], v[93:100], v[85:92]
	ds_load_b128 v[45:48], v80 offset:11280
	ds_load_b128 v[41:44], v80 offset:11264
	s_waitcnt lgkmcnt(8)
	v_wmma_f32_16x16x16_f16 v[85:92], v[9:16], v[57:64], v[85:92]
	ds_load_b128 v[61:64], v80 offset:12304
	ds_load_b128 v[57:60], v80 offset:12288
	s_waitcnt lgkmcnt(8)
	v_wmma_f32_16x16x16_f16 v[85:92], v[9:16], v[101:108], v[85:92]
	ds_load_b128 v[13:16], v80 offset:13328
	ds_load_b128 v[9:12], v80 offset:13312
	s_waitcnt lgkmcnt(8)
	v_wmma_f32_16x16x16_f16 v[85:92], v[1:8], v[49:56], v[85:92]
	ds_load_b128 v[53:56], v80 offset:14352
	ds_load_b128 v[49:52], v80 offset:14336
	s_waitcnt lgkmcnt(8)
	v_wmma_f32_16x16x16_f16 v[85:92], v[1:8], v[65:72], v[85:92]
	ds_load_b128 v[5:8], v80 offset:15376
	ds_load_b128 v[1:4], v80 offset:15360
	s_waitcnt lgkmcnt(0)
	s_barrier
	buffer_gl0_inv
	v_wmma_f32_16x16x16_f16 v[85:92], v[33:40], v[41:48], v[85:92]
	s_delay_alu instid0(VALU_DEP_1) | instskip(NEXT) | instid1(VALU_DEP_1)
	v_wmma_f32_16x16x16_f16 v[85:92], v[33:40], v[57:64], v[85:92]
	v_wmma_f32_16x16x16_f16 v[85:92], v[25:32], v[9:16], v[85:92]
	s_delay_alu instid0(VALU_DEP_1) | instskip(NEXT) | instid1(VALU_DEP_1)
	v_wmma_f32_16x16x16_f16 v[85:92], v[25:32], v[49:56], v[85:92]
	v_wmma_f32_16x16x16_f16 v[85:92], v[17:24], v[1:8], v[85:92]
	s_delay_alu instid0(VALU_DEP_1) | instskip(NEXT) | instid1(VALU_DEP_2)
	v_cvt_f16_f32_e32 v1, v85
	v_cvt_f16_f32_e32 v2, v86
	s_delay_alu instid0(VALU_DEP_3) | instskip(NEXT) | instid1(VALU_DEP_4)
	v_cvt_f16_f32_e32 v3, v87
	v_cvt_f16_f32_e32 v4, v88
	;; [unrolled: 1-line block ×6, first 2 shown]
	v_pack_b32_f16 v1, v1, v2
	v_pack_b32_f16 v2, v3, v4
	;; [unrolled: 1-line block ×3, first 2 shown]
	s_delay_alu instid0(VALU_DEP_4)
	v_pack_b32_f16 v4, v7, v8
	ds_store_b128 v78, v[1:4]
	s_waitcnt lgkmcnt(0)
	s_barrier
	buffer_gl0_inv
	ds_load_b128 v[1:4], v81
	ds_load_b128 v[5:8], v81 offset:16
	s_waitcnt lgkmcnt(1)
	v_lshrrev_b32_e32 v9, 16, v1
	s_waitcnt lgkmcnt(0)
	v_lshrrev_b32_e32 v13, 16, v5
	v_lshrrev_b32_e32 v15, 16, v7
	;; [unrolled: 1-line block ×4, first 2 shown]
	v_cndmask_b32_e64 v17, v1, v9, s3
	v_cndmask_b32_e64 v18, v5, v13, s3
	;; [unrolled: 1-line block ×3, first 2 shown]
	v_cmp_eq_u32_e64 s3, 2, v82
	v_cndmask_b32_e64 v20, v5, v13, s5
	v_cndmask_b32_e32 v21, v1, v9, vcc_lo
	v_cndmask_b32_e32 v22, v5, v13, vcc_lo
	v_cndmask_b32_e64 v1, v1, v9, s4
	v_cndmask_b32_e64 v5, v5, v13, s4
	v_cmp_eq_u32_e32 vcc_lo, 2, v84
	v_cmp_eq_u32_e64 s4, 2, v83
	v_cndmask_b32_e64 v9, v17, v2, s6
	v_cndmask_b32_e64 v13, v18, v6, s6
	;; [unrolled: 1-line block ×4, first 2 shown]
	v_cndmask_b32_e32 v19, v21, v2, vcc_lo
	v_cmp_eq_u32_e64 s3, 3, v84
	v_cndmask_b32_e32 v20, v22, v6, vcc_lo
	v_cndmask_b32_e64 v1, v1, v2, s4
	v_cmp_eq_u32_e32 vcc_lo, 3, v83
	v_cmp_eq_u32_e64 s5, 3, v79
	v_cndmask_b32_e64 v2, v5, v6, s4
	v_cmp_eq_u32_e64 s4, 3, v82
	v_lshrrev_b32_e32 v16, 16, v8
	v_cmp_eq_u32_e64 s6, 4, v79
	v_cndmask_b32_e64 v5, v9, v10, s5
	v_cndmask_b32_e64 v6, v13, v14, s5
	v_cndmask_b32_e64 v9, v17, v10, s4
	v_cmp_eq_u32_e64 s5, 4, v82
	v_cndmask_b32_e64 v13, v18, v14, s4
	v_cndmask_b32_e64 v17, v19, v10, s3
	;; [unrolled: 1-line block ×3, first 2 shown]
	v_cndmask_b32_e32 v1, v1, v10, vcc_lo
	v_cndmask_b32_e32 v2, v2, v14, vcc_lo
	v_cmp_eq_u32_e32 vcc_lo, 4, v84
	v_cmp_eq_u32_e64 s4, 4, v83
	v_lshrrev_b32_e32 v11, 16, v3
	v_cndmask_b32_e64 v5, v5, v3, s6
	v_cndmask_b32_e64 v6, v6, v7, s6
	;; [unrolled: 1-line block ×4, first 2 shown]
	v_cndmask_b32_e32 v13, v17, v3, vcc_lo
	v_cmp_eq_u32_e64 s3, 5, v84
	v_cndmask_b32_e32 v14, v18, v7, vcc_lo
	v_cndmask_b32_e64 v1, v1, v3, s4
	v_cmp_eq_u32_e32 vcc_lo, 5, v83
	v_cmp_eq_u32_e64 s5, 5, v79
	v_cndmask_b32_e64 v2, v2, v7, s4
	v_cmp_eq_u32_e64 s4, 5, v82
	v_cmp_eq_u32_e64 s6, 6, v79
	v_cndmask_b32_e32 v1, v1, v11, vcc_lo
	v_cndmask_b32_e64 v3, v5, v11, s5
	v_cndmask_b32_e64 v5, v6, v15, s5
	;; [unrolled: 1-line block ×3, first 2 shown]
	v_cmp_eq_u32_e64 s5, 6, v82
	v_cndmask_b32_e64 v7, v10, v15, s4
	v_cndmask_b32_e64 v9, v13, v11, s3
	;; [unrolled: 1-line block ×3, first 2 shown]
	v_cndmask_b32_e32 v2, v2, v15, vcc_lo
	v_cmp_eq_u32_e32 vcc_lo, 6, v84
	v_cmp_eq_u32_e64 s3, 6, v83
	v_lshrrev_b32_e32 v12, 16, v4
	v_cndmask_b32_e64 v3, v3, v4, s6
	v_cndmask_b32_e64 v5, v5, v8, s6
	;; [unrolled: 1-line block ×4, first 2 shown]
	v_cndmask_b32_e32 v9, v9, v4, vcc_lo
	v_cmp_eq_u32_e64 s4, 7, v84
	v_cndmask_b32_e32 v10, v10, v8, vcc_lo
	v_cndmask_b32_e64 v1, v1, v4, s3
	v_cmp_eq_u32_e32 vcc_lo, 7, v83
	v_cndmask_b32_e64 v2, v2, v8, s3
	v_cmp_eq_u32_e64 s3, 7, v79
	v_cmp_eq_u32_e64 s5, 7, v82
	v_cndmask_b32_e32 v1, v1, v12, vcc_lo
	s_delay_alu instid0(VALU_DEP_4) | instskip(NEXT) | instid1(VALU_DEP_4)
	v_cndmask_b32_e32 v2, v2, v16, vcc_lo
	v_cndmask_b32_e64 v8, v3, v12, s3
	s_delay_alu instid0(VALU_DEP_4)
	v_cndmask_b32_e64 v6, v6, v12, s5
	v_cndmask_b32_e64 v3, v9, v12, s4
	;; [unrolled: 1-line block ×5, first 2 shown]
	v_perm_b32 v4, v2, v1, 0x5040100
	s_delay_alu instid0(VALU_DEP_4) | instskip(NEXT) | instid1(VALU_DEP_4)
	v_perm_b32 v3, v9, v3, 0x5040100
	v_perm_b32 v2, v7, v6, 0x5040100
	s_delay_alu instid0(VALU_DEP_4)
	v_perm_b32 v1, v5, v8, 0x5040100
	ds_store_b128 v78, v[1:4]
	s_waitcnt lgkmcnt(0)
	s_barrier
	buffer_gl0_inv
	s_and_saveexec_b32 s3, s2
	s_cbranch_execz .LBB343_2
; %bb.17:
	s_load_b64 s[0:1], s[0:1], 0x68
	v_lshlrev_b32_e32 v0, 10, v0
	s_lshl_b32 s2, s35, 7
	v_lshlrev_b32_e32 v1, 4, v77
	v_mul_lo_u32 v4, s2, v76
	s_mul_i32 s3, s2, s34
	v_and_b32_e32 v0, 0x3800, v0
	s_mul_i32 s2, s3, s7
	s_delay_alu instid0(SALU_CYCLE_1) | instskip(NEXT) | instid1(VALU_DEP_1)
	s_ashr_i32 s3, s2, 31
	v_or3_b32 v0, v0, v75, v1
	s_lshl_b64 s[2:3], s[2:3], 1
	s_delay_alu instid0(VALU_DEP_3)
	v_ashrrev_i32_e32 v5, 31, v4
	ds_load_b128 v[0:3], v0
	v_lshlrev_b64 v[4:5], 1, v[4:5]
	s_waitcnt lgkmcnt(0)
	s_add_u32 s2, s0, s2
	s_addc_u32 s3, s1, s3
	s_lshl_b32 s0, s14, 7
	s_delay_alu instid0(SALU_CYCLE_1) | instskip(NEXT) | instid1(SALU_CYCLE_1)
	s_ashr_i32 s1, s0, 31
	s_lshl_b64 s[0:1], s[0:1], 1
	s_delay_alu instid0(SALU_CYCLE_1) | instskip(SKIP_3) | instid1(VALU_DEP_2)
	s_add_u32 s0, s2, s0
	s_addc_u32 s1, s3, s1
	v_add_co_u32 v4, vcc_lo, s0, v4
	v_add_co_ci_u32_e32 v5, vcc_lo, s1, v5, vcc_lo
	v_add_co_u32 v4, vcc_lo, v4, v73
	s_delay_alu instid0(VALU_DEP_2)
	v_add_co_ci_u32_e32 v5, vcc_lo, v5, v74, vcc_lo
	global_store_b128 v[4:5], v[0:3], off
	s_nop 0
	s_sendmsg sendmsg(MSG_DEALLOC_VGPRS)
	s_endpgm
	.section	.rodata,"a",@progbits
	.p2align	6, 0x0
	.amdhsa_kernel _Z39paged_attention_ll4mi_QKV_mfma16_kernelIDF16_DF16_LN4vllm18Fp8KVCacheDataTypeE0EhLi32ELi128ELi256ELb0ELi2EL8MFMAType0EEvPKT_PKT0_S8_ifPKiSA_SA_iPKfiiiPfSD_PS3_PT2_iSC_SC_
		.amdhsa_group_segment_fixed_size 17472
		.amdhsa_private_segment_fixed_size 0
		.amdhsa_kernarg_size 400
		.amdhsa_user_sgpr_count 13
		.amdhsa_user_sgpr_dispatch_ptr 0
		.amdhsa_user_sgpr_queue_ptr 0
		.amdhsa_user_sgpr_kernarg_segment_ptr 1
		.amdhsa_user_sgpr_dispatch_id 0
		.amdhsa_user_sgpr_private_segment_size 0
		.amdhsa_wavefront_size32 1
		.amdhsa_uses_dynamic_stack 0
		.amdhsa_enable_private_segment 0
		.amdhsa_system_sgpr_workgroup_id_x 1
		.amdhsa_system_sgpr_workgroup_id_y 1
		.amdhsa_system_sgpr_workgroup_id_z 1
		.amdhsa_system_sgpr_workgroup_info 0
		.amdhsa_system_vgpr_workitem_id 0
		.amdhsa_next_free_vgpr 174
		.amdhsa_next_free_sgpr 39
		.amdhsa_reserve_vcc 1
		.amdhsa_float_round_mode_32 0
		.amdhsa_float_round_mode_16_64 0
		.amdhsa_float_denorm_mode_32 3
		.amdhsa_float_denorm_mode_16_64 3
		.amdhsa_dx10_clamp 1
		.amdhsa_ieee_mode 1
		.amdhsa_fp16_overflow 0
		.amdhsa_workgroup_processor_mode 1
		.amdhsa_memory_ordered 1
		.amdhsa_forward_progress 0
		.amdhsa_shared_vgpr_count 0
		.amdhsa_exception_fp_ieee_invalid_op 0
		.amdhsa_exception_fp_denorm_src 0
		.amdhsa_exception_fp_ieee_div_zero 0
		.amdhsa_exception_fp_ieee_overflow 0
		.amdhsa_exception_fp_ieee_underflow 0
		.amdhsa_exception_fp_ieee_inexact 0
		.amdhsa_exception_int_div_zero 0
	.end_amdhsa_kernel
	.section	.text._Z39paged_attention_ll4mi_QKV_mfma16_kernelIDF16_DF16_LN4vllm18Fp8KVCacheDataTypeE0EhLi32ELi128ELi256ELb0ELi2EL8MFMAType0EEvPKT_PKT0_S8_ifPKiSA_SA_iPKfiiiPfSD_PS3_PT2_iSC_SC_,"axG",@progbits,_Z39paged_attention_ll4mi_QKV_mfma16_kernelIDF16_DF16_LN4vllm18Fp8KVCacheDataTypeE0EhLi32ELi128ELi256ELb0ELi2EL8MFMAType0EEvPKT_PKT0_S8_ifPKiSA_SA_iPKfiiiPfSD_PS3_PT2_iSC_SC_,comdat
.Lfunc_end343:
	.size	_Z39paged_attention_ll4mi_QKV_mfma16_kernelIDF16_DF16_LN4vllm18Fp8KVCacheDataTypeE0EhLi32ELi128ELi256ELb0ELi2EL8MFMAType0EEvPKT_PKT0_S8_ifPKiSA_SA_iPKfiiiPfSD_PS3_PT2_iSC_SC_, .Lfunc_end343-_Z39paged_attention_ll4mi_QKV_mfma16_kernelIDF16_DF16_LN4vllm18Fp8KVCacheDataTypeE0EhLi32ELi128ELi256ELb0ELi2EL8MFMAType0EEvPKT_PKT0_S8_ifPKiSA_SA_iPKfiiiPfSD_PS3_PT2_iSC_SC_
                                        ; -- End function
	.section	.AMDGPU.csdata,"",@progbits
; Kernel info:
; codeLenInByte = 7328
; NumSgprs: 41
; NumVgprs: 174
; ScratchSize: 0
; MemoryBound: 0
; FloatMode: 240
; IeeeMode: 1
; LDSByteSize: 17472 bytes/workgroup (compile time only)
; SGPRBlocks: 5
; VGPRBlocks: 21
; NumSGPRsForWavesPerEU: 41
; NumVGPRsForWavesPerEU: 174
; Occupancy: 8
; WaveLimiterHint : 1
; COMPUTE_PGM_RSRC2:SCRATCH_EN: 0
; COMPUTE_PGM_RSRC2:USER_SGPR: 13
; COMPUTE_PGM_RSRC2:TRAP_HANDLER: 0
; COMPUTE_PGM_RSRC2:TGID_X_EN: 1
; COMPUTE_PGM_RSRC2:TGID_Y_EN: 1
; COMPUTE_PGM_RSRC2:TGID_Z_EN: 1
; COMPUTE_PGM_RSRC2:TIDIG_COMP_CNT: 0
	.section	.text._Z39paged_attention_ll4mi_QKV_mfma16_kernelIDF16_DF16_LN4vllm18Fp8KVCacheDataTypeE0EhLi32ELi128ELi256ELb0ELi3EL8MFMAType0EEvPKT_PKT0_S8_ifPKiSA_SA_iPKfiiiPfSD_PS3_PT2_iSC_SC_,"axG",@progbits,_Z39paged_attention_ll4mi_QKV_mfma16_kernelIDF16_DF16_LN4vllm18Fp8KVCacheDataTypeE0EhLi32ELi128ELi256ELb0ELi3EL8MFMAType0EEvPKT_PKT0_S8_ifPKiSA_SA_iPKfiiiPfSD_PS3_PT2_iSC_SC_,comdat
	.protected	_Z39paged_attention_ll4mi_QKV_mfma16_kernelIDF16_DF16_LN4vllm18Fp8KVCacheDataTypeE0EhLi32ELi128ELi256ELb0ELi3EL8MFMAType0EEvPKT_PKT0_S8_ifPKiSA_SA_iPKfiiiPfSD_PS3_PT2_iSC_SC_ ; -- Begin function _Z39paged_attention_ll4mi_QKV_mfma16_kernelIDF16_DF16_LN4vllm18Fp8KVCacheDataTypeE0EhLi32ELi128ELi256ELb0ELi3EL8MFMAType0EEvPKT_PKT0_S8_ifPKiSA_SA_iPKfiiiPfSD_PS3_PT2_iSC_SC_
	.globl	_Z39paged_attention_ll4mi_QKV_mfma16_kernelIDF16_DF16_LN4vllm18Fp8KVCacheDataTypeE0EhLi32ELi128ELi256ELb0ELi3EL8MFMAType0EEvPKT_PKT0_S8_ifPKiSA_SA_iPKfiiiPfSD_PS3_PT2_iSC_SC_
	.p2align	8
	.type	_Z39paged_attention_ll4mi_QKV_mfma16_kernelIDF16_DF16_LN4vllm18Fp8KVCacheDataTypeE0EhLi32ELi128ELi256ELb0ELi3EL8MFMAType0EEvPKT_PKT0_S8_ifPKiSA_SA_iPKfiiiPfSD_PS3_PT2_iSC_SC_,@function
_Z39paged_attention_ll4mi_QKV_mfma16_kernelIDF16_DF16_LN4vllm18Fp8KVCacheDataTypeE0EhLi32ELi128ELi256ELb0ELi3EL8MFMAType0EEvPKT_PKT0_S8_ifPKiSA_SA_iPKfiiiPfSD_PS3_PT2_iSC_SC_: ; @_Z39paged_attention_ll4mi_QKV_mfma16_kernelIDF16_DF16_LN4vllm18Fp8KVCacheDataTypeE0EhLi32ELi128ELi256ELb0ELi3EL8MFMAType0EEvPKT_PKT0_S8_ifPKiSA_SA_iPKfiiiPfSD_PS3_PT2_iSC_SC_
; %bb.0:
	s_load_b64 s[2:3], s[0:1], 0x30
	s_mov_b32 s34, s13
	s_waitcnt lgkmcnt(0)
	s_cmp_lg_u64 s[2:3], 0
	s_cselect_b32 s6, -1, 0
	s_ashr_i32 s35, s13, 31
	s_cmp_eq_u64 s[2:3], 0
	s_cbranch_scc1 .LBB344_3
; %bb.1:
	s_lshl_b64 s[4:5], s[34:35], 2
	s_delay_alu instid0(SALU_CYCLE_1) | instskip(SKIP_4) | instid1(SALU_CYCLE_1)
	s_add_u32 s4, s2, s4
	s_addc_u32 s5, s3, s5
	s_load_b64 s[4:5], s[4:5], 0x0
	s_waitcnt lgkmcnt(0)
	s_sub_i32 s4, s5, s4
	s_cmp_eq_u32 s4, 1
	s_cselect_b32 s4, -1, 0
	s_delay_alu instid0(SALU_CYCLE_1)
	s_and_not1_b32 vcc_lo, exec_lo, s4
	s_cbranch_vccz .LBB344_4
.LBB344_2:
	s_nop 0
	s_sendmsg sendmsg(MSG_DEALLOC_VGPRS)
	s_endpgm
.LBB344_3:
.LBB344_4:
	s_load_b64 s[8:9], s[0:1], 0x28
	s_lshl_b64 s[4:5], s[34:35], 2
	s_waitcnt lgkmcnt(0)
	s_add_u32 s8, s8, s4
	s_addc_u32 s9, s9, s5
	s_lshl_b32 s12, s14, 8
	s_load_b32 s17, s[8:9], 0x0
	s_waitcnt lgkmcnt(0)
	s_cmp_ge_i32 s12, s17
	s_cbranch_scc1 .LBB344_2
; %bb.5:
	s_and_not1_b32 vcc_lo, exec_lo, s6
	s_cbranch_vccnz .LBB344_7
; %bb.6:
	s_add_u32 s2, s2, s4
	s_addc_u32 s3, s3, s5
	s_load_b32 s13, s[2:3], 0x0
	s_branch .LBB344_8
.LBB344_7:
	s_mov_b32 s13, s34
.LBB344_8:
	s_clause 0x2
	s_load_b128 s[8:11], s[0:1], 0x8
	s_load_b64 s[2:3], s[0:1], 0x20
	s_load_b128 s[4:7], s[0:1], 0x48
	v_lshrrev_b32_e32 v78, 5, v0
	v_bfe_u32 v75, v0, 4, 1
	v_and_b32_e32 v77, 15, v0
	s_waitcnt lgkmcnt(0)
	s_mov_b32 s7, exec_lo
	s_delay_alu instid0(VALU_DEP_2) | instskip(NEXT) | instid1(VALU_DEP_2)
	v_lshl_or_b32 v3, v78, 1, v75
	v_lshlrev_b32_e32 v1, 3, v77
	s_delay_alu instid0(VALU_DEP_2)
	v_cmpx_lt_u32_e32 2, v3
	s_xor_b32 s7, exec_lo, s7
; %bb.9:
	v_mov_b32_e32 v2, 0
                                        ; implicit-def: $vgpr3
; %bb.10:
	s_or_saveexec_b32 s7, s7
	v_and_b32_e32 v80, 31, v0
	v_and_b32_e32 v76, 1, v0
	s_mul_i32 s31, s15, 3
	s_xor_b32 exec_lo, exec_lo, s7
	s_cbranch_execz .LBB344_12
; %bb.11:
	s_load_b64 s[18:19], s[0:1], 0x0
	v_add_lshl_u32 v4, v3, s31, 7
	s_mul_hi_i32 s21, s13, s4
	s_mul_i32 s20, s13, s4
	v_lshlrev_b32_e32 v2, 1, v1
	s_lshl_b64 s[20:21], s[20:21], 1
	v_ashrrev_i32_e32 v5, 31, v4
	v_lshlrev_b32_e32 v3, 6, v3
	v_lshlrev_b32_e32 v8, 10, v76
	s_delay_alu instid0(VALU_DEP_3) | instskip(SKIP_3) | instid1(VALU_DEP_1)
	v_lshlrev_b64 v[4:5], 1, v[4:5]
	s_waitcnt lgkmcnt(0)
	s_add_u32 s4, s18, s20
	s_addc_u32 s13, s19, s21
	v_add_co_u32 v4, vcc_lo, s4, v4
	s_delay_alu instid0(VALU_DEP_2) | instskip(NEXT) | instid1(VALU_DEP_2)
	v_add_co_ci_u32_e32 v5, vcc_lo, s13, v5, vcc_lo
	v_add_co_u32 v4, vcc_lo, v4, v2
	s_delay_alu instid0(VALU_DEP_2) | instskip(SKIP_3) | instid1(VALU_DEP_1)
	v_add_co_ci_u32_e32 v5, vcc_lo, 0, v5, vcc_lo
	v_lshlrev_b32_e32 v2, 10, v77
	global_load_b128 v[4:7], v[4:5], off
	v_and_b32_e32 v2, 0x3800, v2
	v_or3_b32 v3, v2, v8, v3
	v_mov_b32_e32 v2, 0
	s_waitcnt vmcnt(0)
	ds_store_b128 v3, v[4:7]
.LBB344_12:
	s_or_b32 exec_lo, exec_lo, s7
	v_and_b32_e32 v3, 0xef, v0
	s_add_i32 s4, s17, 31
	s_clause 0x1
	s_load_b32 s7, s[0:1], 0x38
	s_load_b32 s33, s[0:1], 0x98
	s_ashr_i32 s13, s4, 31
	v_add_nc_u32_e32 v3, s12, v3
	s_lshr_b32 s13, s13, 27
	s_load_b32 s18, s[0:1], 0x1c
	s_add_i32 s4, s4, s13
	s_waitcnt lgkmcnt(0)
	v_ashrrev_i32_e32 v4, 31, v3
	v_cmp_gt_i32_e32 vcc_lo, s17, v3
	s_ashr_i32 s4, s4, 5
	s_barrier
	s_add_i32 s4, s4, -1
	v_lshrrev_b32_e32 v5, 27, v4
	v_or_b32_e32 v4, 16, v3
	buffer_gl0_inv
	v_lshlrev_b64 v[73:74], 1, v[1:2]
	v_lshlrev_b32_e32 v79, 6, v77
	v_add_nc_u32_e32 v6, v3, v5
	v_add_nc_u32_e32 v5, v4, v5
	s_mul_i32 s20, s34, s7
	s_delay_alu instid0(SALU_CYCLE_1) | instskip(NEXT) | instid1(VALU_DEP_2)
	s_ashr_i32 s21, s20, 31
	v_ashrrev_i32_e32 v6, 5, v6
	s_delay_alu instid0(VALU_DEP_2) | instskip(SKIP_1) | instid1(SALU_CYCLE_1)
	v_ashrrev_i32_e32 v5, 5, v5
	s_lshl_b64 s[20:21], s[20:21], 2
	s_add_u32 s13, s2, s20
	s_delay_alu instid0(VALU_DEP_2) | instskip(SKIP_3) | instid1(SALU_CYCLE_1)
	v_cndmask_b32_e32 v3, s4, v6, vcc_lo
	v_cmp_gt_i32_e32 vcc_lo, s17, v4
	s_addc_u32 s16, s3, s21
	s_mul_i32 s2, s15, s6
	s_ashr_i32 s3, s2, 31
	v_cndmask_b32_e32 v5, s4, v5, vcc_lo
	v_ashrrev_i32_e32 v4, 31, v3
	s_lshl_b64 s[2:3], s[2:3], 1
	s_delay_alu instid0(SALU_CYCLE_1) | instskip(NEXT) | instid1(VALU_DEP_2)
	s_add_u32 s15, s8, s2
	v_ashrrev_i32_e32 v6, 31, v5
	s_delay_alu instid0(VALU_DEP_2) | instskip(SKIP_2) | instid1(VALU_DEP_2)
	v_lshlrev_b64 v[3:4], 2, v[3:4]
	s_addc_u32 s19, s9, s3
	s_lshl_b32 s6, s14, 3
	v_lshlrev_b64 v[5:6], 2, v[5:6]
	s_ashr_i32 s7, s6, 31
	s_delay_alu instid0(VALU_DEP_2) | instskip(SKIP_1) | instid1(VALU_DEP_3)
	v_add_co_u32 v3, vcc_lo, s13, v3
	v_add_co_ci_u32_e32 v4, vcc_lo, s16, v4, vcc_lo
	v_add_co_u32 v5, vcc_lo, s13, v5
	s_delay_alu instid0(VALU_DEP_4)
	v_add_co_ci_u32_e32 v6, vcc_lo, s16, v6, vcc_lo
	s_lshl_b64 s[6:7], s[6:7], 2
	s_clause 0x1
	global_load_b32 v7, v[3:4], off
	global_load_b32 v8, v[5:6], off
	s_add_u32 s6, s13, s6
	s_addc_u32 s7, s16, s7
	s_or_b32 s8, s12, 32
	s_delay_alu instid0(SALU_CYCLE_1) | instskip(SKIP_2) | instid1(SALU_CYCLE_1)
	s_ashr_i32 s9, s8, 5
	s_cmp_lt_i32 s8, s17
	s_cselect_b32 s8, s9, s4
	s_ashr_i32 s9, s8, 31
	s_delay_alu instid0(SALU_CYCLE_1) | instskip(NEXT) | instid1(SALU_CYCLE_1)
	s_lshl_b64 s[8:9], s[8:9], 2
	s_add_u32 s8, s13, s8
	s_addc_u32 s9, s16, s9
	s_or_b32 s20, s12, 64
	s_delay_alu instid0(SALU_CYCLE_1) | instskip(SKIP_2) | instid1(SALU_CYCLE_1)
	s_ashr_i32 s21, s20, 5
	s_cmp_lt_i32 s20, s17
	s_cselect_b32 s20, s21, s4
	s_ashr_i32 s21, s20, 31
	s_delay_alu instid0(SALU_CYCLE_1) | instskip(NEXT) | instid1(SALU_CYCLE_1)
	s_lshl_b64 s[20:21], s[20:21], 2
	;; [unrolled: 10-line block ×5, first 2 shown]
	s_add_u32 s26, s13, s26
	s_addc_u32 s27, s16, s27
	s_clause 0x5
	s_load_b32 s28, s[6:7], 0x0
	s_load_b32 s29, s[8:9], 0x0
	;; [unrolled: 1-line block ×6, first 2 shown]
	s_mov_b32 s20, 0
	s_or_b32 s6, s12, 0xc0
	s_mov_b32 s21, s20
	s_mov_b32 s22, s20
	;; [unrolled: 1-line block ×7, first 2 shown]
	s_ashr_i32 s7, s6, 5
	v_mov_b32_e32 v128, s27
	s_cmp_lt_i32 s6, s17
	v_mov_b32_e32 v127, s26
	s_cselect_b32 s6, s7, s4
	v_mov_b32_e32 v126, s25
	s_ashr_i32 s7, s6, 31
	v_mov_b32_e32 v125, s24
	s_lshl_b64 s[6:7], s[6:7], 2
	v_mov_b32_e32 v124, s23
	s_add_u32 s6, s13, s6
	s_addc_u32 s7, s16, s7
	v_mov_b32_e32 v123, s22
	v_mov_b32_e32 v121, s20
	s_waitcnt lgkmcnt(0)
	s_mul_hi_i32 s9, s28, s5
	s_mul_i32 s8, s28, s5
	s_mul_hi_i32 s37, s38, s5
	v_mov_b32_e32 v122, s21
	s_mul_hi_i32 s21, s29, s5
	s_mul_i32 s20, s29, s5
	s_mul_hi_i32 s25, s30, s5
	s_mul_i32 s24, s30, s5
	;; [unrolled: 2-line block ×3, first 2 shown]
	s_waitcnt vmcnt(1)
	v_mad_i64_i32 v[3:4], null, v7, s5, 0
	s_waitcnt vmcnt(0)
	v_mad_i64_i32 v[5:6], null, v8, s5, 0
	s_delay_alu instid0(VALU_DEP_2) | instskip(NEXT) | instid1(VALU_DEP_2)
	v_lshlrev_b64 v[3:4], 1, v[3:4]
	v_lshlrev_b64 v[1:2], 1, v[5:6]
	s_delay_alu instid0(VALU_DEP_2) | instskip(NEXT) | instid1(VALU_DEP_3)
	v_add_co_u32 v3, vcc_lo, s15, v3
	v_add_co_ci_u32_e32 v4, vcc_lo, s19, v4, vcc_lo
	s_delay_alu instid0(VALU_DEP_3) | instskip(NEXT) | instid1(VALU_DEP_4)
	v_add_co_u32 v1, vcc_lo, s15, v1
	v_add_co_ci_u32_e32 v2, vcc_lo, s19, v2, vcc_lo
	s_delay_alu instid0(VALU_DEP_4) | instskip(NEXT) | instid1(VALU_DEP_4)
	v_add_co_u32 v65, vcc_lo, v3, v73
	v_add_co_ci_u32_e32 v66, vcc_lo, v4, v74, vcc_lo
	s_delay_alu instid0(VALU_DEP_4) | instskip(NEXT) | instid1(VALU_DEP_4)
	v_add_co_u32 v67, vcc_lo, v1, v73
	v_add_co_ci_u32_e32 v68, vcc_lo, v2, v74, vcc_lo
	s_clause 0xf
	global_load_b128 v[1:4], v[65:66], off
	global_load_b128 v[5:8], v[65:66], off offset:512
	global_load_b128 v[9:12], v[67:68], off offset:256
	;; [unrolled: 1-line block ×15, first 2 shown]
	v_add_co_u32 v157, vcc_lo, 0x1000, v65
	v_add_co_ci_u32_e32 v158, vcc_lo, 0, v66, vcc_lo
	v_add_co_u32 v165, vcc_lo, 0x1000, v67
	v_add_co_ci_u32_e32 v166, vcc_lo, 0, v68, vcc_lo
	s_clause 0x7
	global_load_b128 v[81:84], v[157:158], off
	global_load_b128 v[85:88], v[157:158], off offset:512
	global_load_b128 v[89:92], v[165:166], off offset:256
	;; [unrolled: 1-line block ×7, first 2 shown]
	v_mul_lo_u16 v65, 0x56, v77
	s_or_b32 s15, s12, 0xe0
	s_delay_alu instid0(SALU_CYCLE_1) | instskip(SKIP_1) | instid1(VALU_DEP_1)
	s_ashr_i32 s19, s15, 5
	s_cmp_lt_i32 s15, s17
	v_lshrrev_b16 v65, 8, v65
	s_cselect_b32 s22, s19, s4
	s_delay_alu instid0(SALU_CYCLE_1) | instskip(NEXT) | instid1(VALU_DEP_1)
	s_ashr_i32 s23, s22, 31
	v_mul_lo_u16 v65, v65, 3
	s_lshl_b64 s[22:23], s[22:23], 2
	s_delay_alu instid0(SALU_CYCLE_1) | instskip(SKIP_1) | instid1(VALU_DEP_1)
	s_add_u32 s22, s13, s22
	s_addc_u32 s23, s16, s23
	v_sub_nc_u16 v65, v77, v65
	s_add_i32 s15, s12, 0x100
	s_delay_alu instid0(SALU_CYCLE_1) | instskip(SKIP_1) | instid1(VALU_DEP_1)
	s_ashr_i32 s19, s15, 5
	s_cmp_lt_i32 s15, s17
	v_and_b32_e32 v65, 0xff, v65
	s_cselect_b32 s28, s19, s4
	s_delay_alu instid0(SALU_CYCLE_1) | instskip(NEXT) | instid1(VALU_DEP_1)
	s_ashr_i32 s29, s28, 31
	v_lshlrev_b32_e32 v169, 6, v65
	ds_load_b128 v[65:68], v169
	ds_load_b128 v[69:72], v169 offset:1024
	s_clause 0x1
	global_load_b128 v[113:116], v[157:158], off offset:2048
	global_load_b128 v[117:120], v[157:158], off offset:2560
	ds_load_b128 v[129:132], v169 offset:2048
	ds_load_b128 v[133:136], v169 offset:3072
	s_clause 0x5
	global_load_b128 v[145:148], v[165:166], off offset:2304
	global_load_b128 v[149:152], v[165:166], off offset:2816
	;; [unrolled: 1-line block ×6, first 2 shown]
	s_lshl_b64 s[28:29], s[28:29], 2
	s_delay_alu instid0(SALU_CYCLE_1)
	s_add_u32 s28, s13, s28
	s_addc_u32 s29, s16, s29
	s_add_u32 s4, s10, s2
	s_addc_u32 s19, s11, s3
	s_lshl_b64 s[2:3], s[8:9], 1
	s_lshl_b64 s[8:9], s[20:21], 1
	;; [unrolled: 1-line block ×4, first 2 shown]
	s_waitcnt vmcnt(30) lgkmcnt(2)
	v_wmma_f32_16x16x16_f16 v[137:144], v[1:8], v[65:72], v[121:128]
	ds_load_b128 v[1:4], v169 offset:4096
	ds_load_b128 v[5:8], v169 offset:5120
	s_waitcnt vmcnt(28)
	v_wmma_f32_16x16x16_f16 v[121:128], v[9:16], v[65:72], v[121:128]
	ds_load_b128 v[9:12], v169 offset:6144
	ds_load_b128 v[13:16], v169 offset:7168
	s_waitcnt vmcnt(26) lgkmcnt(4)
	v_wmma_f32_16x16x16_f16 v[137:144], v[17:24], v[129:136], v[137:144]
	ds_load_b128 v[17:20], v169 offset:8192
	ds_load_b128 v[21:24], v169 offset:9216
	s_waitcnt vmcnt(24)
	v_wmma_f32_16x16x16_f16 v[121:128], v[25:32], v[129:136], v[121:128]
	v_lshl_or_b32 v25, v78, 10, v79
	ds_load_b128 v[129:132], v169 offset:10240
	ds_load_b128 v[133:136], v169 offset:11264
	s_clause 0x2
	s_load_b32 s15, s[6:7], 0x0
	s_load_b32 s13, s[22:23], 0x0
	s_load_b32 s16, s[28:29], 0x0
	s_mul_hi_i32 s7, s36, s5
	v_add_co_u32 v170, s4, s4, v25
	s_delay_alu instid0(VALU_DEP_1)
	v_add_co_ci_u32_e64 v171, null, s19, 0, s4
	s_mul_i32 s6, s36, s5
	s_mul_i32 s36, s38, s5
	s_lshl_b64 s[6:7], s[6:7], 1
	s_lshl_b64 s[22:23], s[36:37], 1
	s_waitcnt vmcnt(22) lgkmcnt(0)
	v_wmma_f32_16x16x16_f16 v[137:144], v[33:40], v[1:8], v[137:144]
	s_waitcnt vmcnt(20)
	v_wmma_f32_16x16x16_f16 v[121:128], v[41:48], v[1:8], v[121:128]
	v_add_co_u32 v1, vcc_lo, v170, s2
	v_add_co_ci_u32_e32 v2, vcc_lo, s3, v171, vcc_lo
	v_add_co_u32 v3, vcc_lo, v170, s8
	v_add_co_ci_u32_e32 v4, vcc_lo, s9, v171, vcc_lo
	;; [unrolled: 2-line block ×4, first 2 shown]
	v_add_co_u32 v25, vcc_lo, v170, s6
	s_mul_hi_i32 s25, s15, s5
	s_mul_i32 s24, s15, s5
	v_add_co_ci_u32_e32 v26, vcc_lo, s7, v171, vcc_lo
	v_add_co_u32 v27, vcc_lo, v170, s22
	s_lshl_b64 s[24:25], s[24:25], 1
	s_waitcnt vmcnt(18)
	v_wmma_f32_16x16x16_f16 v[137:144], v[49:56], v[9:16], v[137:144]
	s_waitcnt vmcnt(16)
	v_wmma_f32_16x16x16_f16 v[121:128], v[57:64], v[9:16], v[121:128]
	v_add_co_ci_u32_e32 v28, vcc_lo, s23, v171, vcc_lo
	s_mul_hi_i32 s3, s13, s5
	s_mul_i32 s2, s13, s5
	v_add_co_u32 v29, vcc_lo, v170, s24
	s_lshl_b64 s[2:3], s[2:3], 1
	v_add_co_ci_u32_e32 v30, vcc_lo, s25, v171, vcc_lo
	s_waitcnt vmcnt(14)
	v_wmma_f32_16x16x16_f16 v[137:144], v[81:88], v[17:24], v[137:144]
	s_waitcnt vmcnt(12)
	v_wmma_f32_16x16x16_f16 v[121:128], v[89:96], v[17:24], v[121:128]
	v_add_co_u32 v17, vcc_lo, v170, s2
	v_add_co_ci_u32_e32 v18, vcc_lo, s3, v171, vcc_lo
	s_mul_hi_i32 s3, s16, s5
	s_mul_i32 s2, s16, s5
	s_clause 0x5
	global_load_b128 v[65:68], v[1:2], off
	global_load_b128 v[69:72], v[1:2], off offset:16
	global_load_b128 v[57:60], v[3:4], off
	global_load_b128 v[61:64], v[3:4], off offset:16
	global_load_b128 v[49:52], v[5:6], off
	global_load_b128 v[53:56], v[5:6], off offset:16
	s_lshl_b64 s[2:3], s[2:3], 1
	s_clause 0x1
	global_load_b128 v[41:44], v[7:8], off
	global_load_b128 v[45:48], v[7:8], off offset:16
	v_add_co_u32 v21, vcc_lo, v170, s2
	v_add_co_ci_u32_e32 v22, vcc_lo, s3, v171, vcc_lo
	s_clause 0x9
	global_load_b128 v[9:12], v[25:26], off
	global_load_b128 v[13:16], v[25:26], off offset:16
	global_load_b128 v[1:4], v[27:28], off
	global_load_b128 v[5:8], v[27:28], off offset:16
	;; [unrolled: 2-line block ×5, first 2 shown]
	ds_load_b128 v[81:84], v169 offset:12288
	ds_load_b128 v[85:88], v169 offset:13312
	v_and_b32_e32 v89, 0xe0, v0
	s_waitcnt vmcnt(28)
	v_wmma_f32_16x16x16_f16 v[137:144], v[97:104], v[129:136], v[137:144]
	v_mbcnt_lo_u32_b32 v97, -1, 0
	s_waitcnt vmcnt(26)
	v_wmma_f32_16x16x16_f16 v[121:128], v[105:112], v[129:136], v[121:128]
	v_add_nc_u32_e32 v98, s12, v89
	ds_load_b128 v[89:92], v169 offset:14336
	ds_load_b128 v[93:96], v169 offset:15360
	v_xor_b32_e32 v99, 16, v97
	s_waitcnt vmcnt(0) lgkmcnt(0)
	s_barrier
	v_or_b32_e32 v98, v98, v75
	buffer_gl0_inv
	v_cmp_gt_i32_e32 vcc_lo, 32, v99
	v_or_b32_e32 v100, 4, v98
	v_or_b32_e32 v101, 22, v98
	;; [unrolled: 1-line block ×4, first 2 shown]
	v_wmma_f32_16x16x16_f16 v[137:144], v[113:120], v[81:88], v[137:144]
	v_wmma_f32_16x16x16_f16 v[121:128], v[145:152], v[81:88], v[121:128]
	v_or_b32_e32 v81, 6, v98
	v_or_b32_e32 v82, 8, v98
	;; [unrolled: 1-line block ×3, first 2 shown]
	v_cmp_gt_i32_e64 s3, s17, v100
	v_or_b32_e32 v84, 12, v98
	v_wmma_f32_16x16x16_f16 v[137:144], v[153:160], v[89:96], v[137:144]
	v_wmma_f32_16x16x16_f16 v[121:128], v[161:168], v[89:96], v[121:128]
	v_cndmask_b32_e32 v97, v97, v99, vcc_lo
	v_or_b32_e32 v99, 2, v98
	v_cmp_gt_i32_e32 vcc_lo, s17, v98
	v_dual_mul_f32 v95, s18, v138 :: v_dual_mul_f32 v96, s18, v137
	v_mul_f32_e32 v93, s18, v140
	s_delay_alu instid0(VALU_DEP_4)
	v_cmp_gt_i32_e64 s2, s17, v99
	v_mul_f32_e32 v94, s18, v139
	v_mul_f32_e32 v108, s18, v126
	v_cndmask_b32_e32 v96, 0xff7fffff, v96, vcc_lo
	v_cmp_gt_i32_e64 s4, s17, v81
	v_cndmask_b32_e64 v95, 0xff7fffff, v95, s2
	v_or_b32_e32 v85, 14, v98
	v_dual_mul_f32 v91, s18, v142 :: v_dual_mul_f32 v110, s18, v124
	v_mul_f32_e32 v92, s18, v141
	v_cndmask_b32_e64 v94, 0xff7fffff, v94, s3
	v_cndmask_b32_e64 v81, 0xff7fffff, v93, s4
	v_max3_f32 v93, v96, 0xff7fffff, v95
	v_cmp_gt_i32_e64 s5, s17, v82
	v_cmp_gt_i32_e64 s6, s17, v83
	v_or_b32_e32 v86, 16, v98
	v_or_b32_e32 v87, 18, v98
	v_dual_mul_f32 v89, s18, v144 :: v_dual_mul_f32 v112, s18, v122
	v_mul_f32_e32 v90, s18, v143
	v_cndmask_b32_e64 v82, 0xff7fffff, v92, s5
	v_cndmask_b32_e64 v83, 0xff7fffff, v91, s6
	v_max3_f32 v81, v93, v94, v81
	v_cmp_gt_i32_e64 s7, s17, v84
	v_cmp_gt_i32_e64 s8, s17, v85
	v_or_b32_e32 v88, 20, v98
	v_mul_f32_e32 v113, s18, v121
	v_max3_f32 v81, v81, v82, v83
	v_cndmask_b32_e64 v84, 0xff7fffff, v90, s7
	v_cndmask_b32_e64 v85, 0xff7fffff, v89, s8
	v_cmp_gt_i32_e64 s9, s17, v86
	v_cmp_gt_i32_e64 s10, s17, v87
	v_mul_f32_e32 v111, s18, v123
	v_cmp_gt_i32_e64 s11, s17, v88
	v_max3_f32 v81, v81, v84, v85
	v_cndmask_b32_e64 v82, 0xff7fffff, v113, s9
	v_cndmask_b32_e64 v83, 0xff7fffff, v112, s10
	v_cmp_gt_i32_e64 s12, s17, v101
	v_or_b32_e32 v104, 28, v98
	v_or_b32_e32 v105, 30, v98
	v_mul_f32_e32 v109, s18, v125
	v_cndmask_b32_e64 v84, 0xff7fffff, v111, s11
	v_cndmask_b32_e64 v85, 0xff7fffff, v110, s12
	v_max3_f32 v81, v81, v82, v83
	v_cmp_gt_i32_e64 s13, s17, v102
	v_cmp_gt_i32_e64 s15, s17, v103
	v_dual_mul_f32 v106, s18, v128 :: v_dual_mul_f32 v107, s18, v127
	s_delay_alu instid0(VALU_DEP_4) | instskip(NEXT) | instid1(VALU_DEP_4)
	v_max3_f32 v81, v81, v84, v85
	v_cndmask_b32_e64 v82, 0xff7fffff, v109, s13
	s_delay_alu instid0(VALU_DEP_4) | instskip(SKIP_2) | instid1(VALU_DEP_3)
	v_cndmask_b32_e64 v83, 0xff7fffff, v108, s15
	v_cmp_gt_i32_e64 s16, s17, v104
	v_cmp_gt_i32_e64 s17, s17, v105
	v_max3_f32 v81, v81, v82, v83
	s_delay_alu instid0(VALU_DEP_3) | instskip(NEXT) | instid1(VALU_DEP_3)
	v_cndmask_b32_e64 v84, 0xff7fffff, v107, s16
	v_cndmask_b32_e64 v85, 0xff7fffff, v106, s17
	v_lshlrev_b32_e32 v83, 2, v97
	s_delay_alu instid0(VALU_DEP_2) | instskip(SKIP_3) | instid1(VALU_DEP_1)
	v_max3_f32 v81, v81, v84, v85
	ds_bpermute_b32 v82, v83, v81
	s_waitcnt lgkmcnt(0)
	v_max_f32_e32 v82, v82, v82
	v_max_f32_e32 v81, v81, v82
	s_delay_alu instid0(VALU_DEP_1)
	v_fma_f32 v82, s18, v137, -v81
	v_fma_f32 v84, s18, v138, -v81
	;; [unrolled: 1-line block ×5, first 2 shown]
	v_mul_f32_e32 v82, 0x3fb8aa3b, v82
	s_delay_alu instid0(VALU_DEP_4) | instskip(NEXT) | instid1(VALU_DEP_3)
	v_dual_mul_f32 v84, 0x3fb8aa3b, v84 :: v_dual_mul_f32 v89, 0x3fb8aa3b, v87
	v_mul_f32_e32 v86, 0x3fb8aa3b, v86
	s_delay_alu instid0(VALU_DEP_3) | instskip(NEXT) | instid1(VALU_DEP_2)
	v_exp_f32_e32 v82, v82
	v_exp_f32_e32 v84, v84
	s_delay_alu instid0(VALU_DEP_2) | instskip(NEXT) | instid1(VALU_DEP_1)
	v_exp_f32_e32 v92, v89
	v_exp_f32_e32 v86, v86
	v_cndmask_b32_e32 v88, 0, v82, vcc_lo
	s_delay_alu instid0(TRANS32_DEP_3)
	v_cndmask_b32_e64 v87, 0, v84, s2
	s_waitcnt_depctr 0xfff
	v_cndmask_b32_e64 v92, 0, v92, s5
	v_cmp_gt_u32_e64 s2, 16, v80
	v_cndmask_b32_e64 v89, 0, v86, s4
	v_add_f32_e32 v84, 0, v88
	s_delay_alu instid0(VALU_DEP_1) | instskip(NEXT) | instid1(VALU_DEP_1)
	v_dual_add_f32 v84, v84, v87 :: v_dual_mul_f32 v85, 0x3fb8aa3b, v85
	v_exp_f32_e32 v85, v85
	s_waitcnt_depctr 0xfff
	v_cndmask_b32_e64 v90, 0, v85, s3
	s_delay_alu instid0(VALU_DEP_1) | instskip(NEXT) | instid1(VALU_DEP_1)
	v_add_f32_e32 v84, v84, v90
	v_add_f32_e32 v84, v84, v89
	v_fma_f32 v82, s18, v142, -v81
	v_fma_f32 v91, s18, v143, -v81
	;; [unrolled: 1-line block ×5, first 2 shown]
	s_delay_alu instid0(VALU_DEP_4) | instskip(SKIP_1) | instid1(VALU_DEP_4)
	v_dual_mul_f32 v82, 0x3fb8aa3b, v82 :: v_dual_mul_f32 v91, 0x3fb8aa3b, v91
	v_fma_f32 v96, s18, v124, -v81
	v_mul_f32_e32 v86, 0x3fb8aa3b, v86
	v_fma_f32 v99, s18, v127, -v81
	s_delay_alu instid0(VALU_DEP_4) | instskip(SKIP_3) | instid1(VALU_DEP_1)
	v_exp_f32_e32 v82, v82
	v_exp_f32_e32 v93, v91
	v_mul_f32_e32 v97, 0x3fb8aa3b, v96
	v_exp_f32_e32 v86, v86
	v_exp_f32_e32 v97, v97
	v_cndmask_b32_e64 v91, 0, v82, s6
	v_dual_add_f32 v82, v84, v92 :: v_dual_mul_f32 v85, 0x3fb8aa3b, v85
	v_fma_f32 v84, s18, v123, -v81
	v_mul_f32_e32 v95, 0x3fb8aa3b, v94
	s_delay_alu instid0(TRANS32_DEP_3) | instskip(NEXT) | instid1(VALU_DEP_4)
	v_cndmask_b32_e64 v94, 0, v93, s7
	v_add_f32_e32 v82, v82, v91
	v_exp_f32_e32 v85, v85
	v_mul_f32_e32 v84, 0x3fb8aa3b, v84
	v_cndmask_b32_e64 v96, 0, v86, s9
	v_exp_f32_e32 v95, v95
	v_add_f32_e32 v82, v82, v94
	v_fma_f32 v86, s18, v126, -v81
	v_exp_f32_e32 v84, v84
	v_cndmask_b32_e64 v97, 0, v97, s12
	s_delay_alu instid0(TRANS32_DEP_3) | instskip(SKIP_2) | instid1(TRANS32_DEP_2)
	v_cndmask_b32_e64 v93, 0, v85, s8
	v_fma_f32 v85, s18, v125, -v81
	v_mul_f32_e32 v86, 0x3fb8aa3b, v86
	v_cndmask_b32_e64 v95, 0, v95, s10
	s_waitcnt_depctr 0xfff
	v_cndmask_b32_e64 v98, 0, v84, s11
	v_mul_f32_e32 v84, 0x3fb8aa3b, v99
	v_fma_f32 v99, s18, v128, -v81
	v_add_f32_e32 v82, v82, v93
	v_mul_f32_e32 v85, 0x3fb8aa3b, v85
	v_exp_f32_e32 v86, v86
	v_exp_f32_e32 v84, v84
	s_delay_alu instid0(VALU_DEP_1)
	v_exp_f32_e32 v85, v85
	s_waitcnt_depctr 0xfff
	v_cndmask_b32_e64 v102, 0, v84, s16
	v_cndmask_b32_e64 v100, 0, v85, s13
	v_dual_mul_f32 v85, 0x3fb8aa3b, v99 :: v_dual_add_f32 v82, v82, v96
	v_cndmask_b32_e64 v99, 0, v86, s15
	s_delay_alu instid0(VALU_DEP_2) | instskip(NEXT) | instid1(VALU_DEP_2)
	v_exp_f32_e32 v85, v85
	v_add_f32_e32 v82, v82, v95
	s_delay_alu instid0(VALU_DEP_1) | instskip(SKIP_3) | instid1(VALU_DEP_1)
	v_add_f32_e32 v82, v82, v98
	s_waitcnt_depctr 0xfff
	v_cndmask_b32_e64 v101, 0, v85, s17
	v_add_f32_e32 v82, v82, v97
	v_add_f32_e32 v82, v82, v100
	s_delay_alu instid0(VALU_DEP_1) | instskip(NEXT) | instid1(VALU_DEP_1)
	v_add_f32_e32 v82, v82, v99
	v_add_f32_e32 v82, v82, v102
	s_delay_alu instid0(VALU_DEP_1)
	v_add_f32_e32 v82, v82, v101
	ds_bpermute_b32 v83, v83, v82
	s_and_saveexec_b32 s3, s2
	s_cbranch_execz .LBB344_14
; %bb.13:
	v_mul_u32_u24_e32 v80, 0x44, v78
	s_waitcnt lgkmcnt(0)
	v_add_f32_e32 v82, v82, v83
	s_delay_alu instid0(VALU_DEP_2) | instskip(NEXT) | instid1(VALU_DEP_1)
	v_lshl_add_u32 v80, v77, 2, v80
	v_add_nc_u32_e32 v80, 0x4000, v80
	ds_store_2addr_b32 v80, v81, v82 offset1:136
.LBB344_14:
	s_or_b32 exec_lo, exec_lo, s3
	v_lshlrev_b32_e32 v80, 2, v77
	s_load_b32 s35, s[0:1], 0x94
	s_waitcnt lgkmcnt(0)
	s_barrier
	buffer_gl0_inv
	v_add_nc_u32_e32 v84, 0x4000, v80
	v_cmp_eq_u32_e32 vcc_lo, 1, v78
	v_cmp_eq_u32_e64 s3, 2, v78
	v_cmp_eq_u32_e64 s4, 3, v78
	;; [unrolled: 1-line block ×3, first 2 shown]
	ds_load_2addr_b32 v[80:81], v84 offset1:17
	ds_load_2addr_b32 v[82:83], v84 offset0:34 offset1:51
	ds_load_2addr_b32 v[103:104], v84 offset0:68 offset1:85
	;; [unrolled: 1-line block ×3, first 2 shown]
	v_cmp_eq_u32_e64 s6, 7, v78
	s_waitcnt lgkmcnt(3)
	v_max3_f32 v85, v80, 0xff7fffff, v81
	s_waitcnt lgkmcnt(2)
	s_delay_alu instid0(VALU_DEP_1) | instskip(SKIP_1) | instid1(VALU_DEP_1)
	v_max3_f32 v85, v85, v82, v83
	s_waitcnt lgkmcnt(1)
	v_max3_f32 v85, v85, v103, v104
	s_waitcnt lgkmcnt(0)
	s_delay_alu instid0(VALU_DEP_1) | instskip(NEXT) | instid1(VALU_DEP_1)
	v_max3_f32 v85, v85, v105, v106
	v_sub_f32_e32 v103, v103, v85
	ds_load_2addr_b32 v[107:108], v84 offset0:136 offset1:153
	v_sub_f32_e32 v80, v80, v85
	v_dual_sub_f32 v110, v83, v85 :: v_dual_mul_f32 v113, 0x3fb8aa3b, v103
	s_delay_alu instid0(VALU_DEP_2) | instskip(SKIP_3) | instid1(VALU_DEP_1)
	v_dual_sub_f32 v86, v81, v85 :: v_dual_mul_f32 v109, 0x3fb8aa3b, v80
	ds_load_2addr_b32 v[80:81], v84 offset0:170 offset1:187
	v_mul_f32_e32 v86, 0x3fb8aa3b, v86
	v_exp_f32_e32 v109, v109
	v_exp_f32_e32 v112, v86
	v_mul_f32_e32 v110, 0x3fb8aa3b, v110
	s_waitcnt lgkmcnt(1)
	s_waitcnt_depctr 0xfff
	v_fma_f32 v86, v109, v107, 0
	v_sub_f32_e32 v107, v104, v85
	v_sub_f32_e32 v82, v82, v85
	v_exp_f32_e32 v110, v110
	ds_load_2addr_b32 v[103:104], v84 offset0:238 offset1:255
	v_dual_fmac_f32 v86, v112, v108 :: v_dual_mul_f32 v111, 0x3fb8aa3b, v82
	ds_load_2addr_b32 v[82:83], v84 offset0:204 offset1:221
	v_dual_sub_f32 v84, v105, v85 :: v_dual_mul_f32 v105, 0x3fb8aa3b, v107
	v_exp_f32_e32 v107, v113
	v_exp_f32_e32 v111, v111
	s_waitcnt lgkmcnt(0)
	s_delay_alu instid0(VALU_DEP_1)
	v_mul_f32_e32 v84, 0x3fb8aa3b, v84
	v_exp_f32_e32 v105, v105
	s_barrier
	buffer_gl0_inv
	v_fmac_f32_e32 v86, v111, v80
	v_sub_f32_e32 v80, v106, v85
	v_exp_f32_e32 v106, v84
	s_delay_alu instid0(VALU_DEP_2) | instskip(NEXT) | instid1(VALU_DEP_2)
	v_fmac_f32_e32 v86, v110, v81
	v_mul_f32_e32 v80, 0x3fb8aa3b, v80
	s_delay_alu instid0(VALU_DEP_2) | instskip(NEXT) | instid1(VALU_DEP_2)
	v_dual_cndmask_b32 v81, v109, v112 :: v_dual_fmac_f32 v86, v107, v82
	v_exp_f32_e32 v108, v80
	s_delay_alu instid0(VALU_DEP_1) | instskip(SKIP_2) | instid1(VALU_DEP_1)
	v_fmac_f32_e32 v86, v105, v83
	s_waitcnt_depctr 0xfff
	v_fmac_f32_e32 v86, v106, v103
	v_fmac_f32_e32 v86, v108, v104
	s_delay_alu instid0(VALU_DEP_1) | instskip(NEXT) | instid1(VALU_DEP_1)
	v_add_f32_e32 v103, 0x358637bd, v86
	v_div_scale_f32 v104, null, v103, v103, 1.0
	v_div_scale_f32 v109, vcc_lo, 1.0, v103, 1.0
	s_delay_alu instid0(VALU_DEP_2) | instskip(SKIP_2) | instid1(VALU_DEP_1)
	v_rcp_f32_e32 v113, v104
	s_waitcnt_depctr 0xfff
	v_fma_f32 v80, -v104, v113, 1.0
	v_fmac_f32_e32 v113, v80, v113
	v_cndmask_b32_e64 v80, v81, v111, s3
	v_cmp_eq_u32_e64 s3, 4, v78
	v_lshl_or_b32 v81, v78, 11, v79
	s_delay_alu instid0(VALU_DEP_4) | instskip(NEXT) | instid1(VALU_DEP_4)
	v_mul_f32_e32 v111, v109, v113
	v_cndmask_b32_e64 v82, v80, v110, s4
	v_cmp_eq_u32_e64 s4, 6, v78
	s_delay_alu instid0(VALU_DEP_4) | instskip(SKIP_3) | instid1(VALU_DEP_3)
	v_lshl_or_b32 v78, v75, 4, v81
	v_lshlrev_b32_e32 v80, 2, v75
	v_fma_f32 v83, -v104, v111, v109
	v_cndmask_b32_e64 v84, v82, v107, s3
	v_or_b32_e32 v82, 1, v80
	s_delay_alu instid0(VALU_DEP_3) | instskip(NEXT) | instid1(VALU_DEP_3)
	v_fmac_f32_e32 v111, v83, v113
	v_cndmask_b32_e64 v105, v84, v105, s5
	v_or_b32_e32 v84, 2, v80
	v_or_b32_e32 v83, 3, v80
	v_cmp_eq_u32_e64 s3, 1, v80
	v_fma_f32 v104, -v104, v111, v109
	v_cndmask_b32_e64 v105, v105, v106, s4
	v_cmp_eq_u32_e64 s9, 1, v82
	v_cmp_eq_u32_e64 s10, 1, v84
	;; [unrolled: 1-line block ×3, first 2 shown]
	v_div_fmas_f32 v104, v104, v113, v111
	v_cndmask_b32_e64 v105, v105, v108, s6
	v_cmp_eq_u32_e32 vcc_lo, 2, v80
	v_cmp_eq_u32_e64 s12, 2, v82
	v_cmp_eq_u32_e64 s15, 2, v84
	v_div_fixup_f32 v103, v104, v103, 1.0
	v_cmp_eq_u32_e64 s16, 2, v83
	v_cmp_eq_u32_e64 s18, 3, v83
	;; [unrolled: 1-line block ×4, first 2 shown]
	v_mul_f32_e32 v111, v105, v103
	v_cmp_eq_u32_e64 s17, 3, v84
	v_cmp_eq_u32_e64 s22, 4, v83
	;; [unrolled: 1-line block ×4, first 2 shown]
	v_fma_mixlo_f16 v103, v111, v88, 0
	v_fma_mixlo_f16 v104, v111, v90, 0
	v_fma_mixlo_f16 v105, v111, v92, 0
	v_fma_mixlo_f16 v106, v111, v94, 0
	v_fma_mixlo_f16 v107, v111, v96, 0
	v_fma_mixlo_f16 v108, v111, v98, 0
	v_fma_mixlo_f16 v109, v111, v100, 0
	v_fma_mixlo_f16 v110, v111, v102, 0
	v_fma_mixhi_f16 v103, v111, v87, 0
	v_fma_mixhi_f16 v104, v111, v89, 0
	;; [unrolled: 1-line block ×8, first 2 shown]
	ds_store_b128 v78, v[103:106]
	ds_store_b128 v78, v[107:110] offset:1024
	s_waitcnt lgkmcnt(0)
	s_barrier
	buffer_gl0_inv
	ds_load_b128 v[87:90], v81
	ds_load_b128 v[91:94], v81 offset:16
	ds_load_b128 v[95:98], v81 offset:1024
	;; [unrolled: 1-line block ×3, first 2 shown]
	v_cmp_eq_u32_e64 s21, 4, v84
	v_cmp_eq_u32_e64 s24, 5, v83
	;; [unrolled: 1-line block ×13, first 2 shown]
	s_waitcnt lgkmcnt(3)
	v_lshrrev_b32_e32 v103, 16, v87
	s_waitcnt lgkmcnt(2)
	v_lshrrev_b32_e32 v107, 16, v91
	;; [unrolled: 2-line block ×4, first 2 shown]
	v_lshrrev_b32_e32 v104, 16, v88
	v_cndmask_b32_e64 v119, v87, v103, s3
	v_cndmask_b32_e64 v120, v91, v107, s3
	;; [unrolled: 1-line block ×8, first 2 shown]
	v_lshrrev_b32_e32 v108, 16, v92
	v_cndmask_b32_e64 v103, v95, v111, s3
	v_cndmask_b32_e64 v107, v99, v115, s3
	;; [unrolled: 1-line block ×5, first 2 shown]
	v_cndmask_b32_e32 v111, v119, v88, vcc_lo
	v_cndmask_b32_e64 v119, v121, v88, s12
	v_cndmask_b32_e64 v121, v123, v88, s15
	;; [unrolled: 1-line block ×4, first 2 shown]
	v_lshrrev_b32_e32 v112, 16, v96
	v_lshrrev_b32_e32 v116, 16, v100
	v_cndmask_b32_e64 v126, v99, v115, s9
	v_cndmask_b32_e64 v128, v99, v115, s10
	;; [unrolled: 1-line block ×3, first 2 shown]
	v_cndmask_b32_e32 v115, v120, v92, vcc_lo
	v_cndmask_b32_e64 v120, v122, v92, s12
	v_cndmask_b32_e64 v122, v124, v92, s15
	v_cndmask_b32_e32 v91, v103, v96, vcc_lo
	v_cndmask_b32_e32 v92, v107, v100, vcc_lo
	v_cndmask_b32_e64 v103, v125, v96, s12
	v_cndmask_b32_e64 v87, v87, v104, s18
	;; [unrolled: 1-line block ×3, first 2 shown]
	v_lshrrev_b32_e32 v105, 16, v89
	v_lshrrev_b32_e32 v109, 16, v93
	v_cndmask_b32_e64 v107, v127, v96, s15
	v_cndmask_b32_e64 v95, v95, v96, s16
	;; [unrolled: 1-line block ×14, first 2 shown]
	v_lshrrev_b32_e32 v113, 16, v97
	v_cndmask_b32_e64 v99, v99, v89, s5
	v_cndmask_b32_e64 v104, v111, v93, s5
	;; [unrolled: 1-line block ×11, first 2 shown]
	v_lshrrev_b32_e32 v106, 16, v90
	v_lshrrev_b32_e32 v110, 16, v94
	v_cndmask_b32_e64 v93, v99, v105, s6
	v_cndmask_b32_e64 v99, v104, v109, s6
	;; [unrolled: 1-line block ×9, first 2 shown]
	v_lshrrev_b32_e32 v114, 16, v98
	v_cndmask_b32_e64 v89, v89, v113, s6
	v_cndmask_b32_e64 v93, v93, v90, s7
	;; [unrolled: 1-line block ×19, first 2 shown]
	v_perm_b32 v90, v88, v87, 0x5040100
	v_cndmask_b32_e64 v87, v126, v100, s12
	v_cndmask_b32_e64 v105, v89, v114, s8
	v_perm_b32 v89, v103, v99, 0x5040100
	v_perm_b32 v88, v104, v94, 0x5040100
	v_cndmask_b32_e64 v94, v107, v112, s17
	v_cndmask_b32_e64 v95, v95, v112, s18
	;; [unrolled: 1-line block ×5, first 2 shown]
	v_lshrrev_b32_e32 v117, 16, v101
	v_cndmask_b32_e64 v94, v94, v97, s21
	v_cndmask_b32_e64 v95, v95, v97, s22
	;; [unrolled: 1-line block ×11, first 2 shown]
	v_lshrrev_b32_e32 v118, 16, v102
	v_cndmask_b32_e64 v91, v91, v102, s7
	v_cndmask_b32_e64 v94, v94, v98, s26
	;; [unrolled: 1-line block ×12, first 2 shown]
	v_perm_b32 v87, v93, v92, 0x5040100
	v_perm_b32 v94, v95, v94, 0x5040100
	;; [unrolled: 1-line block ×5, first 2 shown]
	s_mul_i32 s7, s33, 3
	s_mov_b32 s3, exec_lo
	ds_store_b128 v78, v[87:90]
	ds_store_b128 v78, v[91:94] offset:1024
	v_cmpx_gt_u32_e32 3, v0
	s_cbranch_execz .LBB344_16
; %bb.15:
	s_mul_i32 s4, s7, s34
	s_load_b128 s[8:11], s[0:1], 0x58
	v_add3_u32 v77, s4, s31, v77
	s_delay_alu instid0(VALU_DEP_1) | instskip(NEXT) | instid1(VALU_DEP_1)
	v_mad_u64_u32 v[87:88], null, v77, s35, s[14:15]
	v_ashrrev_i32_e32 v88, 31, v87
	s_delay_alu instid0(VALU_DEP_1) | instskip(SKIP_1) | instid1(VALU_DEP_1)
	v_lshlrev_b64 v[87:88], 2, v[87:88]
	s_waitcnt lgkmcnt(0)
	v_add_co_u32 v89, vcc_lo, s10, v87
	s_delay_alu instid0(VALU_DEP_2)
	v_add_co_ci_u32_e32 v90, vcc_lo, s11, v88, vcc_lo
	v_add_co_u32 v87, vcc_lo, s8, v87
	v_add_co_ci_u32_e32 v88, vcc_lo, s9, v88, vcc_lo
	global_store_b32 v[89:90], v85, off
	global_store_b32 v[87:88], v86, off
.LBB344_16:
	s_or_b32 exec_lo, exec_lo, s3
	s_waitcnt lgkmcnt(0)
	s_waitcnt_vscnt null, 0x0
	s_barrier
	buffer_gl0_inv
	ds_load_b128 v[93:96], v79
	ds_load_b128 v[97:100], v79 offset:16
	ds_load_b128 v[105:108], v79 offset:1040
	;; [unrolled: 1-line block ×5, first 2 shown]
	v_cmp_eq_u32_e32 vcc_lo, 1, v84
	v_mov_b32_e32 v85, 0
	ds_load_b128 v[121:124], v79 offset:3088
	ds_load_b128 v[117:120], v79 offset:3072
	;; [unrolled: 1-line block ×4, first 2 shown]
	v_cmp_eq_u32_e64 s3, 1, v80
	v_cmp_eq_u32_e64 s4, 1, v83
	;; [unrolled: 1-line block ×3, first 2 shown]
	v_mov_b32_e32 v86, v85
	v_mov_b32_e32 v87, v85
	;; [unrolled: 1-line block ×7, first 2 shown]
	v_cmp_eq_u32_e64 s6, 2, v80
	s_waitcnt lgkmcnt(8)
	s_delay_alu instid0(VALU_DEP_2)
	v_wmma_f32_16x16x16_f16 v[85:92], v[65:72], v[93:100], v[85:92]
	ds_load_b128 v[69:72], v79 offset:5136
	ds_load_b128 v[65:68], v79 offset:5120
	;; [unrolled: 1-line block ×4, first 2 shown]
	s_waitcnt lgkmcnt(10)
	v_wmma_f32_16x16x16_f16 v[85:92], v[57:64], v[101:108], v[85:92]
	s_waitcnt lgkmcnt(8)
	s_delay_alu instid0(VALU_DEP_1)
	v_wmma_f32_16x16x16_f16 v[85:92], v[57:64], v[109:116], v[85:92]
	ds_load_b128 v[61:64], v79 offset:7184
	ds_load_b128 v[57:60], v79 offset:7168
	;; [unrolled: 1-line block ×4, first 2 shown]
	s_waitcnt lgkmcnt(10)
	v_wmma_f32_16x16x16_f16 v[85:92], v[49:56], v[117:124], v[85:92]
	s_waitcnt lgkmcnt(8)
	s_delay_alu instid0(VALU_DEP_1)
	v_wmma_f32_16x16x16_f16 v[85:92], v[49:56], v[125:132], v[85:92]
	ds_load_b128 v[53:56], v79 offset:9232
	ds_load_b128 v[49:52], v79 offset:9216
	s_waitcnt lgkmcnt(8)
	v_wmma_f32_16x16x16_f16 v[85:92], v[41:48], v[65:72], v[85:92]
	ds_load_b128 v[69:72], v79 offset:10256
	ds_load_b128 v[65:68], v79 offset:10240
	s_waitcnt lgkmcnt(8)
	;; [unrolled: 4-line block ×7, first 2 shown]
	s_barrier
	buffer_gl0_inv
	v_wmma_f32_16x16x16_f16 v[85:92], v[33:40], v[41:48], v[85:92]
	s_delay_alu instid0(VALU_DEP_1) | instskip(NEXT) | instid1(VALU_DEP_1)
	v_wmma_f32_16x16x16_f16 v[85:92], v[33:40], v[57:64], v[85:92]
	v_wmma_f32_16x16x16_f16 v[85:92], v[25:32], v[9:16], v[85:92]
	s_delay_alu instid0(VALU_DEP_1) | instskip(NEXT) | instid1(VALU_DEP_1)
	v_wmma_f32_16x16x16_f16 v[85:92], v[25:32], v[49:56], v[85:92]
	v_wmma_f32_16x16x16_f16 v[85:92], v[17:24], v[1:8], v[85:92]
	s_delay_alu instid0(VALU_DEP_1) | instskip(NEXT) | instid1(VALU_DEP_2)
	v_cvt_f16_f32_e32 v1, v85
	v_cvt_f16_f32_e32 v2, v86
	s_delay_alu instid0(VALU_DEP_3) | instskip(NEXT) | instid1(VALU_DEP_4)
	v_cvt_f16_f32_e32 v3, v87
	v_cvt_f16_f32_e32 v4, v88
	;; [unrolled: 1-line block ×6, first 2 shown]
	v_pack_b32_f16 v1, v1, v2
	v_pack_b32_f16 v2, v3, v4
	;; [unrolled: 1-line block ×3, first 2 shown]
	s_delay_alu instid0(VALU_DEP_4)
	v_pack_b32_f16 v4, v7, v8
	ds_store_b128 v78, v[1:4]
	s_waitcnt lgkmcnt(0)
	s_barrier
	buffer_gl0_inv
	ds_load_b128 v[1:4], v81
	ds_load_b128 v[5:8], v81 offset:16
	s_waitcnt lgkmcnt(1)
	v_lshrrev_b32_e32 v9, 16, v1
	s_waitcnt lgkmcnt(0)
	v_lshrrev_b32_e32 v13, 16, v5
	v_lshrrev_b32_e32 v15, 16, v7
	;; [unrolled: 1-line block ×4, first 2 shown]
	v_cndmask_b32_e64 v17, v1, v9, s3
	v_cndmask_b32_e64 v18, v5, v13, s3
	v_cndmask_b32_e64 v19, v1, v9, s5
	v_cmp_eq_u32_e64 s3, 2, v82
	v_cndmask_b32_e64 v20, v5, v13, s5
	v_cndmask_b32_e32 v21, v1, v9, vcc_lo
	v_cndmask_b32_e32 v22, v5, v13, vcc_lo
	v_cndmask_b32_e64 v1, v1, v9, s4
	v_cndmask_b32_e64 v5, v5, v13, s4
	v_cmp_eq_u32_e32 vcc_lo, 2, v84
	v_cmp_eq_u32_e64 s4, 2, v83
	v_cndmask_b32_e64 v9, v17, v2, s6
	v_cndmask_b32_e64 v13, v18, v6, s6
	;; [unrolled: 1-line block ×4, first 2 shown]
	v_cndmask_b32_e32 v19, v21, v2, vcc_lo
	v_cmp_eq_u32_e64 s3, 3, v84
	v_cndmask_b32_e32 v20, v22, v6, vcc_lo
	v_cndmask_b32_e64 v1, v1, v2, s4
	v_cmp_eq_u32_e32 vcc_lo, 3, v83
	v_cmp_eq_u32_e64 s5, 3, v80
	v_cndmask_b32_e64 v2, v5, v6, s4
	v_cmp_eq_u32_e64 s4, 3, v82
	v_lshrrev_b32_e32 v16, 16, v8
	v_cmp_eq_u32_e64 s6, 4, v80
	v_cndmask_b32_e64 v5, v9, v10, s5
	v_cndmask_b32_e64 v6, v13, v14, s5
	;; [unrolled: 1-line block ×3, first 2 shown]
	v_cmp_eq_u32_e64 s5, 4, v82
	v_cndmask_b32_e64 v13, v18, v14, s4
	v_cndmask_b32_e64 v17, v19, v10, s3
	;; [unrolled: 1-line block ×3, first 2 shown]
	v_cndmask_b32_e32 v1, v1, v10, vcc_lo
	v_cndmask_b32_e32 v2, v2, v14, vcc_lo
	v_cmp_eq_u32_e32 vcc_lo, 4, v84
	v_cmp_eq_u32_e64 s4, 4, v83
	v_lshrrev_b32_e32 v11, 16, v3
	v_cndmask_b32_e64 v5, v5, v3, s6
	v_cndmask_b32_e64 v6, v6, v7, s6
	;; [unrolled: 1-line block ×4, first 2 shown]
	v_cndmask_b32_e32 v13, v17, v3, vcc_lo
	v_cmp_eq_u32_e64 s3, 5, v84
	v_cndmask_b32_e32 v14, v18, v7, vcc_lo
	v_cndmask_b32_e64 v1, v1, v3, s4
	v_cmp_eq_u32_e32 vcc_lo, 5, v83
	v_cmp_eq_u32_e64 s5, 5, v80
	v_cndmask_b32_e64 v2, v2, v7, s4
	v_cmp_eq_u32_e64 s4, 5, v82
	v_cmp_eq_u32_e64 s6, 6, v80
	v_cndmask_b32_e32 v1, v1, v11, vcc_lo
	v_cndmask_b32_e64 v3, v5, v11, s5
	v_cndmask_b32_e64 v5, v6, v15, s5
	;; [unrolled: 1-line block ×3, first 2 shown]
	v_cmp_eq_u32_e64 s5, 6, v82
	v_cndmask_b32_e64 v7, v10, v15, s4
	v_cndmask_b32_e64 v9, v13, v11, s3
	;; [unrolled: 1-line block ×3, first 2 shown]
	v_cndmask_b32_e32 v2, v2, v15, vcc_lo
	v_cmp_eq_u32_e32 vcc_lo, 6, v84
	v_cmp_eq_u32_e64 s3, 6, v83
	v_lshrrev_b32_e32 v12, 16, v4
	v_cndmask_b32_e64 v3, v3, v4, s6
	v_cndmask_b32_e64 v5, v5, v8, s6
	;; [unrolled: 1-line block ×4, first 2 shown]
	v_cndmask_b32_e32 v9, v9, v4, vcc_lo
	v_cmp_eq_u32_e64 s4, 7, v84
	v_cndmask_b32_e32 v10, v10, v8, vcc_lo
	v_cndmask_b32_e64 v1, v1, v4, s3
	v_cmp_eq_u32_e32 vcc_lo, 7, v83
	v_cndmask_b32_e64 v2, v2, v8, s3
	v_cmp_eq_u32_e64 s3, 7, v80
	v_cmp_eq_u32_e64 s5, 7, v82
	v_cndmask_b32_e32 v1, v1, v12, vcc_lo
	s_delay_alu instid0(VALU_DEP_4) | instskip(NEXT) | instid1(VALU_DEP_4)
	v_cndmask_b32_e32 v2, v2, v16, vcc_lo
	v_cndmask_b32_e64 v8, v3, v12, s3
	s_delay_alu instid0(VALU_DEP_4)
	v_cndmask_b32_e64 v6, v6, v12, s5
	v_cndmask_b32_e64 v3, v9, v12, s4
	;; [unrolled: 1-line block ×5, first 2 shown]
	v_perm_b32 v4, v2, v1, 0x5040100
	s_mov_b32 s3, exec_lo
	v_perm_b32 v3, v9, v3, 0x5040100
	v_perm_b32 v2, v7, v6, 0x5040100
	;; [unrolled: 1-line block ×3, first 2 shown]
	ds_store_b128 v78, v[1:4]
	s_waitcnt lgkmcnt(0)
	s_barrier
	buffer_gl0_inv
	v_cmpx_gt_u32_e32 32, v0
	s_cbranch_execz .LBB344_2
; %bb.17:
	s_load_b64 s[4:5], s[0:1], 0x68
	v_lshlrev_b32_e32 v0, 10, v0
	v_lshlrev_b32_e32 v2, 4, v76
	v_add_nc_u32_e32 v1, s31, v75
	s_lshl_b32 s0, s35, 7
	s_delay_alu instid0(SALU_CYCLE_1) | instskip(NEXT) | instid1(VALU_DEP_2)
	s_mul_i32 s1, s0, s34
	v_and_or_b32 v0, 0x3800, v0, v2
	s_mul_i32 s6, s1, s7
	v_mul_lo_u32 v1, v1, s0
	s_ashr_i32 s7, s6, 31
	s_delay_alu instid0(VALU_DEP_2) | instskip(SKIP_1) | instid1(VALU_DEP_2)
	v_lshl_or_b32 v3, v75, 6, v0
	s_lshl_b64 s[6:7], s[6:7], 1
	v_ashrrev_i32_e32 v2, 31, v1
	ds_load_b128 v[3:6], v3
	s_waitcnt lgkmcnt(0)
	s_add_u32 s1, s4, s6
	s_addc_u32 s3, s5, s7
	s_lshl_b32 s4, s14, 7
	v_lshlrev_b64 v[7:8], 1, v[1:2]
	s_ashr_i32 s5, s4, 31
	s_delay_alu instid0(SALU_CYCLE_1) | instskip(NEXT) | instid1(SALU_CYCLE_1)
	s_lshl_b64 s[4:5], s[4:5], 1
	s_add_u32 s1, s1, s4
	s_addc_u32 s3, s3, s5
	v_add_co_u32 v1, vcc_lo, s1, v73
	v_add_co_ci_u32_e32 v2, vcc_lo, s3, v74, vcc_lo
	s_delay_alu instid0(VALU_DEP_2) | instskip(NEXT) | instid1(VALU_DEP_2)
	v_add_co_u32 v7, vcc_lo, v1, v7
	v_add_co_ci_u32_e32 v8, vcc_lo, v2, v8, vcc_lo
	global_store_b128 v[7:8], v[3:6], off
	s_and_b32 exec_lo, exec_lo, s2
	s_cbranch_execz .LBB344_2
; %bb.18:
	ds_load_b128 v[3:6], v0 offset:128
	s_add_i32 s1, s31, 2
	s_delay_alu instid0(SALU_CYCLE_1) | instskip(NEXT) | instid1(SALU_CYCLE_1)
	s_mul_i32 s0, s1, s0
	s_ashr_i32 s1, s0, 31
	s_delay_alu instid0(SALU_CYCLE_1) | instskip(NEXT) | instid1(SALU_CYCLE_1)
	s_lshl_b64 s[0:1], s[0:1], 1
	v_add_co_u32 v0, vcc_lo, v1, s0
	v_add_co_ci_u32_e32 v1, vcc_lo, s1, v2, vcc_lo
	s_waitcnt lgkmcnt(0)
	global_store_b128 v[0:1], v[3:6], off
	s_nop 0
	s_sendmsg sendmsg(MSG_DEALLOC_VGPRS)
	s_endpgm
	.section	.rodata,"a",@progbits
	.p2align	6, 0x0
	.amdhsa_kernel _Z39paged_attention_ll4mi_QKV_mfma16_kernelIDF16_DF16_LN4vllm18Fp8KVCacheDataTypeE0EhLi32ELi128ELi256ELb0ELi3EL8MFMAType0EEvPKT_PKT0_S8_ifPKiSA_SA_iPKfiiiPfSD_PS3_PT2_iSC_SC_
		.amdhsa_group_segment_fixed_size 17472
		.amdhsa_private_segment_fixed_size 0
		.amdhsa_kernarg_size 400
		.amdhsa_user_sgpr_count 13
		.amdhsa_user_sgpr_dispatch_ptr 0
		.amdhsa_user_sgpr_queue_ptr 0
		.amdhsa_user_sgpr_kernarg_segment_ptr 1
		.amdhsa_user_sgpr_dispatch_id 0
		.amdhsa_user_sgpr_private_segment_size 0
		.amdhsa_wavefront_size32 1
		.amdhsa_uses_dynamic_stack 0
		.amdhsa_enable_private_segment 0
		.amdhsa_system_sgpr_workgroup_id_x 1
		.amdhsa_system_sgpr_workgroup_id_y 1
		.amdhsa_system_sgpr_workgroup_id_z 1
		.amdhsa_system_sgpr_workgroup_info 0
		.amdhsa_system_vgpr_workitem_id 0
		.amdhsa_next_free_vgpr 172
		.amdhsa_next_free_sgpr 39
		.amdhsa_reserve_vcc 1
		.amdhsa_float_round_mode_32 0
		.amdhsa_float_round_mode_16_64 0
		.amdhsa_float_denorm_mode_32 3
		.amdhsa_float_denorm_mode_16_64 3
		.amdhsa_dx10_clamp 1
		.amdhsa_ieee_mode 1
		.amdhsa_fp16_overflow 0
		.amdhsa_workgroup_processor_mode 1
		.amdhsa_memory_ordered 1
		.amdhsa_forward_progress 0
		.amdhsa_shared_vgpr_count 0
		.amdhsa_exception_fp_ieee_invalid_op 0
		.amdhsa_exception_fp_denorm_src 0
		.amdhsa_exception_fp_ieee_div_zero 0
		.amdhsa_exception_fp_ieee_overflow 0
		.amdhsa_exception_fp_ieee_underflow 0
		.amdhsa_exception_fp_ieee_inexact 0
		.amdhsa_exception_int_div_zero 0
	.end_amdhsa_kernel
	.section	.text._Z39paged_attention_ll4mi_QKV_mfma16_kernelIDF16_DF16_LN4vllm18Fp8KVCacheDataTypeE0EhLi32ELi128ELi256ELb0ELi3EL8MFMAType0EEvPKT_PKT0_S8_ifPKiSA_SA_iPKfiiiPfSD_PS3_PT2_iSC_SC_,"axG",@progbits,_Z39paged_attention_ll4mi_QKV_mfma16_kernelIDF16_DF16_LN4vllm18Fp8KVCacheDataTypeE0EhLi32ELi128ELi256ELb0ELi3EL8MFMAType0EEvPKT_PKT0_S8_ifPKiSA_SA_iPKfiiiPfSD_PS3_PT2_iSC_SC_,comdat
.Lfunc_end344:
	.size	_Z39paged_attention_ll4mi_QKV_mfma16_kernelIDF16_DF16_LN4vllm18Fp8KVCacheDataTypeE0EhLi32ELi128ELi256ELb0ELi3EL8MFMAType0EEvPKT_PKT0_S8_ifPKiSA_SA_iPKfiiiPfSD_PS3_PT2_iSC_SC_, .Lfunc_end344-_Z39paged_attention_ll4mi_QKV_mfma16_kernelIDF16_DF16_LN4vllm18Fp8KVCacheDataTypeE0EhLi32ELi128ELi256ELb0ELi3EL8MFMAType0EEvPKT_PKT0_S8_ifPKiSA_SA_iPKfiiiPfSD_PS3_PT2_iSC_SC_
                                        ; -- End function
	.section	.AMDGPU.csdata,"",@progbits
; Kernel info:
; codeLenInByte = 7460
; NumSgprs: 41
; NumVgprs: 172
; ScratchSize: 0
; MemoryBound: 0
; FloatMode: 240
; IeeeMode: 1
; LDSByteSize: 17472 bytes/workgroup (compile time only)
; SGPRBlocks: 5
; VGPRBlocks: 21
; NumSGPRsForWavesPerEU: 41
; NumVGPRsForWavesPerEU: 172
; Occupancy: 8
; WaveLimiterHint : 1
; COMPUTE_PGM_RSRC2:SCRATCH_EN: 0
; COMPUTE_PGM_RSRC2:USER_SGPR: 13
; COMPUTE_PGM_RSRC2:TRAP_HANDLER: 0
; COMPUTE_PGM_RSRC2:TGID_X_EN: 1
; COMPUTE_PGM_RSRC2:TGID_Y_EN: 1
; COMPUTE_PGM_RSRC2:TGID_Z_EN: 1
; COMPUTE_PGM_RSRC2:TIDIG_COMP_CNT: 0
	.section	.text._Z39paged_attention_ll4mi_QKV_mfma16_kernelIDF16_DF16_LN4vllm18Fp8KVCacheDataTypeE0EhLi32ELi128ELi256ELb0ELi4EL8MFMAType0EEvPKT_PKT0_S8_ifPKiSA_SA_iPKfiiiPfSD_PS3_PT2_iSC_SC_,"axG",@progbits,_Z39paged_attention_ll4mi_QKV_mfma16_kernelIDF16_DF16_LN4vllm18Fp8KVCacheDataTypeE0EhLi32ELi128ELi256ELb0ELi4EL8MFMAType0EEvPKT_PKT0_S8_ifPKiSA_SA_iPKfiiiPfSD_PS3_PT2_iSC_SC_,comdat
	.protected	_Z39paged_attention_ll4mi_QKV_mfma16_kernelIDF16_DF16_LN4vllm18Fp8KVCacheDataTypeE0EhLi32ELi128ELi256ELb0ELi4EL8MFMAType0EEvPKT_PKT0_S8_ifPKiSA_SA_iPKfiiiPfSD_PS3_PT2_iSC_SC_ ; -- Begin function _Z39paged_attention_ll4mi_QKV_mfma16_kernelIDF16_DF16_LN4vllm18Fp8KVCacheDataTypeE0EhLi32ELi128ELi256ELb0ELi4EL8MFMAType0EEvPKT_PKT0_S8_ifPKiSA_SA_iPKfiiiPfSD_PS3_PT2_iSC_SC_
	.globl	_Z39paged_attention_ll4mi_QKV_mfma16_kernelIDF16_DF16_LN4vllm18Fp8KVCacheDataTypeE0EhLi32ELi128ELi256ELb0ELi4EL8MFMAType0EEvPKT_PKT0_S8_ifPKiSA_SA_iPKfiiiPfSD_PS3_PT2_iSC_SC_
	.p2align	8
	.type	_Z39paged_attention_ll4mi_QKV_mfma16_kernelIDF16_DF16_LN4vllm18Fp8KVCacheDataTypeE0EhLi32ELi128ELi256ELb0ELi4EL8MFMAType0EEvPKT_PKT0_S8_ifPKiSA_SA_iPKfiiiPfSD_PS3_PT2_iSC_SC_,@function
_Z39paged_attention_ll4mi_QKV_mfma16_kernelIDF16_DF16_LN4vllm18Fp8KVCacheDataTypeE0EhLi32ELi128ELi256ELb0ELi4EL8MFMAType0EEvPKT_PKT0_S8_ifPKiSA_SA_iPKfiiiPfSD_PS3_PT2_iSC_SC_: ; @_Z39paged_attention_ll4mi_QKV_mfma16_kernelIDF16_DF16_LN4vllm18Fp8KVCacheDataTypeE0EhLi32ELi128ELi256ELb0ELi4EL8MFMAType0EEvPKT_PKT0_S8_ifPKiSA_SA_iPKfiiiPfSD_PS3_PT2_iSC_SC_
; %bb.0:
	s_load_b64 s[2:3], s[0:1], 0x30
	s_mov_b32 s30, s13
	s_waitcnt lgkmcnt(0)
	s_cmp_lg_u64 s[2:3], 0
	s_cselect_b32 s6, -1, 0
	s_ashr_i32 s31, s13, 31
	s_cmp_eq_u64 s[2:3], 0
	s_cbranch_scc1 .LBB345_3
; %bb.1:
	s_lshl_b64 s[4:5], s[30:31], 2
	s_delay_alu instid0(SALU_CYCLE_1) | instskip(SKIP_4) | instid1(SALU_CYCLE_1)
	s_add_u32 s4, s2, s4
	s_addc_u32 s5, s3, s5
	s_load_b64 s[4:5], s[4:5], 0x0
	s_waitcnt lgkmcnt(0)
	s_sub_i32 s4, s5, s4
	s_cmp_eq_u32 s4, 1
	s_cselect_b32 s4, -1, 0
	s_delay_alu instid0(SALU_CYCLE_1)
	s_and_not1_b32 vcc_lo, exec_lo, s4
	s_cbranch_vccz .LBB345_4
.LBB345_2:
	s_endpgm
.LBB345_3:
.LBB345_4:
	s_load_b64 s[8:9], s[0:1], 0x28
	s_lshl_b64 s[4:5], s[30:31], 2
	s_waitcnt lgkmcnt(0)
	s_add_u32 s8, s8, s4
	s_addc_u32 s9, s9, s5
	s_lshl_b32 s12, s14, 8
	s_load_b32 s17, s[8:9], 0x0
	s_waitcnt lgkmcnt(0)
	s_cmp_ge_i32 s12, s17
	s_cbranch_scc1 .LBB345_2
; %bb.5:
	s_and_not1_b32 vcc_lo, exec_lo, s6
	s_cbranch_vccnz .LBB345_7
; %bb.6:
	s_add_u32 s2, s2, s4
	s_addc_u32 s3, s3, s5
	s_load_b32 s13, s[2:3], 0x0
	s_branch .LBB345_8
.LBB345_7:
	s_mov_b32 s13, s30
.LBB345_8:
	s_clause 0x2
	s_load_b128 s[8:11], s[0:1], 0x8
	s_load_b64 s[2:3], s[0:1], 0x20
	s_load_b128 s[4:7], s[0:1], 0x48
	v_and_b32_e32 v78, 15, v0
	s_waitcnt lgkmcnt(0)
	s_mov_b32 s7, exec_lo
	s_delay_alu instid0(VALU_DEP_1)
	v_lshlrev_b32_e32 v1, 3, v78
	v_cmpx_lt_u32_e32 63, v0
	s_xor_b32 s7, exec_lo, s7
; %bb.9:
	v_mov_b32_e32 v2, 0
; %bb.10:
	s_or_saveexec_b32 s7, s7
	v_lshrrev_b32_e32 v77, 5, v0
	v_and_b32_e32 v80, 31, v0
	v_and_b32_e32 v76, 1, v0
	v_bfe_u32 v75, v0, 4, 1
	s_lshl_b32 s31, s15, 2
	s_xor_b32 exec_lo, exec_lo, s7
	s_cbranch_execz .LBB345_12
; %bb.11:
	s_delay_alu instid0(VALU_DEP_1)
	v_lshl_or_b32 v7, v77, 1, v75
	s_load_b64 s[18:19], s[0:1], 0x0
	s_mul_hi_i32 s21, s13, s4
	s_mul_i32 s20, s13, s4
	v_lshlrev_b32_e32 v4, 1, v1
	v_or_b32_e32 v2, s31, v7
	s_lshl_b64 s[20:21], s[20:21], 1
	v_lshlrev_b32_e32 v7, 6, v7
	v_lshlrev_b32_e32 v8, 10, v76
	s_delay_alu instid0(VALU_DEP_3) | instskip(NEXT) | instid1(VALU_DEP_1)
	v_lshlrev_b32_e32 v2, 7, v2
	v_ashrrev_i32_e32 v3, 31, v2
	s_delay_alu instid0(VALU_DEP_1) | instskip(SKIP_3) | instid1(VALU_DEP_1)
	v_lshlrev_b64 v[2:3], 1, v[2:3]
	s_waitcnt lgkmcnt(0)
	s_add_u32 s4, s18, s20
	s_addc_u32 s13, s19, s21
	v_add_co_u32 v2, vcc_lo, s4, v2
	s_delay_alu instid0(VALU_DEP_2) | instskip(NEXT) | instid1(VALU_DEP_2)
	v_add_co_ci_u32_e32 v3, vcc_lo, s13, v3, vcc_lo
	v_add_co_u32 v2, vcc_lo, v2, v4
	s_delay_alu instid0(VALU_DEP_2) | instskip(SKIP_2) | instid1(VALU_DEP_1)
	v_add_co_ci_u32_e32 v3, vcc_lo, 0, v3, vcc_lo
	global_load_b128 v[3:6], v[2:3], off
	v_lshlrev_b32_e32 v2, 10, v78
	v_and_b32_e32 v2, 0x3800, v2
	s_delay_alu instid0(VALU_DEP_1)
	v_or3_b32 v7, v2, v8, v7
	v_mov_b32_e32 v2, 0
	s_waitcnt vmcnt(0)
	ds_store_b128 v7, v[3:6]
.LBB345_12:
	s_or_b32 exec_lo, exec_lo, s7
	v_and_b32_e32 v3, 0xef, v0
	s_add_i32 s4, s17, 31
	s_clause 0x1
	s_load_b32 s7, s[0:1], 0x38
	s_load_b32 s33, s[0:1], 0x98
	s_ashr_i32 s13, s4, 31
	v_add_nc_u32_e32 v3, s12, v3
	s_lshr_b32 s13, s13, 27
	s_load_b32 s18, s[0:1], 0x1c
	s_add_i32 s4, s4, s13
	s_waitcnt lgkmcnt(0)
	v_ashrrev_i32_e32 v4, 31, v3
	v_cmp_gt_i32_e32 vcc_lo, s17, v3
	s_ashr_i32 s4, s4, 5
	s_barrier
	s_add_i32 s4, s4, -1
	v_lshrrev_b32_e32 v5, 27, v4
	v_or_b32_e32 v4, 16, v3
	buffer_gl0_inv
	v_lshlrev_b64 v[73:74], 1, v[1:2]
	v_lshlrev_b32_e32 v79, 6, v78
	v_add_nc_u32_e32 v6, v3, v5
	v_add_nc_u32_e32 v5, v4, v5
	s_mul_i32 s20, s30, s7
	s_delay_alu instid0(SALU_CYCLE_1) | instskip(NEXT) | instid1(VALU_DEP_2)
	s_ashr_i32 s21, s20, 31
	v_ashrrev_i32_e32 v6, 5, v6
	s_delay_alu instid0(VALU_DEP_2) | instskip(SKIP_1) | instid1(SALU_CYCLE_1)
	v_ashrrev_i32_e32 v5, 5, v5
	s_lshl_b64 s[20:21], s[20:21], 2
	s_add_u32 s13, s2, s20
	s_delay_alu instid0(VALU_DEP_2) | instskip(SKIP_3) | instid1(SALU_CYCLE_1)
	v_cndmask_b32_e32 v3, s4, v6, vcc_lo
	v_cmp_gt_i32_e32 vcc_lo, s17, v4
	s_addc_u32 s16, s3, s21
	s_mul_i32 s2, s15, s6
	s_ashr_i32 s3, s2, 31
	v_cndmask_b32_e32 v5, s4, v5, vcc_lo
	v_ashrrev_i32_e32 v4, 31, v3
	s_lshl_b64 s[2:3], s[2:3], 1
	s_delay_alu instid0(SALU_CYCLE_1) | instskip(NEXT) | instid1(VALU_DEP_2)
	s_add_u32 s15, s8, s2
	v_ashrrev_i32_e32 v6, 31, v5
	s_delay_alu instid0(VALU_DEP_2) | instskip(SKIP_2) | instid1(VALU_DEP_2)
	v_lshlrev_b64 v[3:4], 2, v[3:4]
	s_addc_u32 s19, s9, s3
	s_lshl_b32 s6, s14, 3
	v_lshlrev_b64 v[5:6], 2, v[5:6]
	s_ashr_i32 s7, s6, 31
	s_delay_alu instid0(VALU_DEP_2) | instskip(SKIP_1) | instid1(VALU_DEP_3)
	v_add_co_u32 v3, vcc_lo, s13, v3
	v_add_co_ci_u32_e32 v4, vcc_lo, s16, v4, vcc_lo
	v_add_co_u32 v5, vcc_lo, s13, v5
	s_delay_alu instid0(VALU_DEP_4)
	v_add_co_ci_u32_e32 v6, vcc_lo, s16, v6, vcc_lo
	s_lshl_b64 s[6:7], s[6:7], 2
	s_clause 0x1
	global_load_b32 v7, v[3:4], off
	global_load_b32 v8, v[5:6], off
	s_add_u32 s6, s13, s6
	s_addc_u32 s7, s16, s7
	s_or_b32 s8, s12, 32
	s_delay_alu instid0(SALU_CYCLE_1) | instskip(SKIP_2) | instid1(SALU_CYCLE_1)
	s_ashr_i32 s9, s8, 5
	s_cmp_lt_i32 s8, s17
	s_cselect_b32 s8, s9, s4
	s_ashr_i32 s9, s8, 31
	s_delay_alu instid0(SALU_CYCLE_1) | instskip(NEXT) | instid1(SALU_CYCLE_1)
	s_lshl_b64 s[8:9], s[8:9], 2
	s_add_u32 s8, s13, s8
	s_addc_u32 s9, s16, s9
	s_or_b32 s20, s12, 64
	s_delay_alu instid0(SALU_CYCLE_1) | instskip(SKIP_2) | instid1(SALU_CYCLE_1)
	s_ashr_i32 s21, s20, 5
	s_cmp_lt_i32 s20, s17
	s_cselect_b32 s20, s21, s4
	s_ashr_i32 s21, s20, 31
	s_delay_alu instid0(SALU_CYCLE_1) | instskip(NEXT) | instid1(SALU_CYCLE_1)
	s_lshl_b64 s[20:21], s[20:21], 2
	;; [unrolled: 10-line block ×5, first 2 shown]
	s_add_u32 s26, s13, s26
	s_addc_u32 s27, s16, s27
	s_clause 0x5
	s_load_b32 s28, s[6:7], 0x0
	s_load_b32 s29, s[8:9], 0x0
	;; [unrolled: 1-line block ×6, first 2 shown]
	s_mov_b32 s20, 0
	s_or_b32 s6, s12, 0xc0
	s_mov_b32 s21, s20
	s_mov_b32 s22, s20
	s_mov_b32 s23, s20
	s_mov_b32 s24, s20
	s_mov_b32 s25, s20
	s_mov_b32 s26, s20
	s_mov_b32 s27, s20
	s_ashr_i32 s7, s6, 5
	v_mov_b32_e32 v128, s27
	s_cmp_lt_i32 s6, s17
	v_mov_b32_e32 v127, s26
	s_cselect_b32 s6, s7, s4
	v_mov_b32_e32 v126, s25
	s_ashr_i32 s7, s6, 31
	v_mov_b32_e32 v125, s24
	s_lshl_b64 s[6:7], s[6:7], 2
	v_mov_b32_e32 v124, s23
	s_add_u32 s6, s13, s6
	s_addc_u32 s7, s16, s7
	v_mov_b32_e32 v123, s22
	v_mov_b32_e32 v121, s20
	s_waitcnt lgkmcnt(0)
	s_mul_hi_i32 s9, s28, s5
	s_mul_i32 s8, s28, s5
	v_mov_b32_e32 v122, s21
	s_mul_hi_i32 s21, s29, s5
	s_mul_i32 s20, s29, s5
	s_mul_hi_i32 s25, s34, s5
	s_mul_i32 s24, s34, s5
	;; [unrolled: 2-line block ×4, first 2 shown]
	s_waitcnt vmcnt(1)
	v_mad_i64_i32 v[3:4], null, v7, s5, 0
	s_waitcnt vmcnt(0)
	v_mad_i64_i32 v[5:6], null, v8, s5, 0
	s_delay_alu instid0(VALU_DEP_2) | instskip(NEXT) | instid1(VALU_DEP_2)
	v_lshlrev_b64 v[3:4], 1, v[3:4]
	v_lshlrev_b64 v[1:2], 1, v[5:6]
	s_delay_alu instid0(VALU_DEP_2) | instskip(NEXT) | instid1(VALU_DEP_3)
	v_add_co_u32 v3, vcc_lo, s15, v3
	v_add_co_ci_u32_e32 v4, vcc_lo, s19, v4, vcc_lo
	s_delay_alu instid0(VALU_DEP_3) | instskip(NEXT) | instid1(VALU_DEP_4)
	v_add_co_u32 v1, vcc_lo, s15, v1
	v_add_co_ci_u32_e32 v2, vcc_lo, s19, v2, vcc_lo
	s_delay_alu instid0(VALU_DEP_4) | instskip(NEXT) | instid1(VALU_DEP_4)
	v_add_co_u32 v65, vcc_lo, v3, v73
	v_add_co_ci_u32_e32 v66, vcc_lo, v4, v74, vcc_lo
	s_delay_alu instid0(VALU_DEP_4) | instskip(NEXT) | instid1(VALU_DEP_4)
	v_add_co_u32 v67, vcc_lo, v1, v73
	v_add_co_ci_u32_e32 v68, vcc_lo, v2, v74, vcc_lo
	s_clause 0xf
	global_load_b128 v[1:4], v[65:66], off
	global_load_b128 v[5:8], v[65:66], off offset:512
	global_load_b128 v[9:12], v[67:68], off offset:256
	;; [unrolled: 1-line block ×15, first 2 shown]
	v_add_co_u32 v157, vcc_lo, 0x1000, v65
	v_add_co_ci_u32_e32 v158, vcc_lo, 0, v66, vcc_lo
	v_add_co_u32 v165, vcc_lo, 0x1000, v67
	v_add_co_ci_u32_e32 v166, vcc_lo, 0, v68, vcc_lo
	s_clause 0x7
	global_load_b128 v[81:84], v[157:158], off
	global_load_b128 v[85:88], v[157:158], off offset:512
	global_load_b128 v[89:92], v[165:166], off offset:256
	;; [unrolled: 1-line block ×7, first 2 shown]
	v_and_b32_e32 v65, 3, v0
	s_or_b32 s15, s12, 0xe0
	s_delay_alu instid0(SALU_CYCLE_1) | instskip(SKIP_1) | instid1(VALU_DEP_1)
	s_ashr_i32 s19, s15, 5
	s_cmp_lt_i32 s15, s17
	v_lshlrev_b32_e32 v169, 6, v65
	ds_load_b128 v[65:68], v169
	ds_load_b128 v[69:72], v169 offset:1024
	s_clause 0x1
	global_load_b128 v[113:116], v[157:158], off offset:2048
	global_load_b128 v[117:120], v[157:158], off offset:2560
	ds_load_b128 v[129:132], v169 offset:2048
	ds_load_b128 v[133:136], v169 offset:3072
	s_clause 0x5
	global_load_b128 v[145:148], v[165:166], off offset:2304
	global_load_b128 v[149:152], v[165:166], off offset:2816
	;; [unrolled: 1-line block ×6, first 2 shown]
	s_cselect_b32 s22, s19, s4
	s_delay_alu instid0(SALU_CYCLE_1) | instskip(NEXT) | instid1(SALU_CYCLE_1)
	s_ashr_i32 s23, s22, 31
	s_lshl_b64 s[22:23], s[22:23], 2
	s_delay_alu instid0(SALU_CYCLE_1) | instskip(SKIP_2) | instid1(SALU_CYCLE_1)
	s_add_u32 s22, s13, s22
	s_addc_u32 s23, s16, s23
	s_add_i32 s15, s12, 0x100
	s_ashr_i32 s19, s15, 5
	s_cmp_lt_i32 s15, s17
	s_cselect_b32 s28, s19, s4
	s_delay_alu instid0(SALU_CYCLE_1) | instskip(NEXT) | instid1(SALU_CYCLE_1)
	s_ashr_i32 s29, s28, 31
	s_lshl_b64 s[28:29], s[28:29], 2
	s_delay_alu instid0(SALU_CYCLE_1)
	s_add_u32 s28, s13, s28
	s_addc_u32 s29, s16, s29
	s_add_u32 s4, s10, s2
	s_addc_u32 s19, s11, s3
	s_lshl_b64 s[2:3], s[8:9], 1
	s_lshl_b64 s[8:9], s[20:21], 1
	;; [unrolled: 1-line block ×4, first 2 shown]
	s_waitcnt vmcnt(30) lgkmcnt(2)
	v_wmma_f32_16x16x16_f16 v[137:144], v[1:8], v[65:72], v[121:128]
	ds_load_b128 v[1:4], v169 offset:4096
	ds_load_b128 v[5:8], v169 offset:5120
	s_waitcnt vmcnt(28)
	v_wmma_f32_16x16x16_f16 v[121:128], v[9:16], v[65:72], v[121:128]
	ds_load_b128 v[9:12], v169 offset:6144
	ds_load_b128 v[13:16], v169 offset:7168
	s_waitcnt vmcnt(26) lgkmcnt(4)
	v_wmma_f32_16x16x16_f16 v[137:144], v[17:24], v[129:136], v[137:144]
	ds_load_b128 v[17:20], v169 offset:8192
	ds_load_b128 v[21:24], v169 offset:9216
	s_waitcnt vmcnt(24)
	v_wmma_f32_16x16x16_f16 v[121:128], v[25:32], v[129:136], v[121:128]
	v_lshl_or_b32 v25, v77, 10, v79
	ds_load_b128 v[129:132], v169 offset:10240
	ds_load_b128 v[133:136], v169 offset:11264
	s_clause 0x2
	s_load_b32 s15, s[6:7], 0x0
	s_load_b32 s13, s[22:23], 0x0
	;; [unrolled: 1-line block ×3, first 2 shown]
	s_mul_hi_i32 s7, s36, s5
	v_add_co_u32 v170, s4, s4, v25
	s_delay_alu instid0(VALU_DEP_1)
	v_add_co_ci_u32_e64 v171, null, s19, 0, s4
	s_mul_i32 s6, s36, s5
	s_lshl_b64 s[22:23], s[34:35], 1
	s_lshl_b64 s[6:7], s[6:7], 1
	s_waitcnt vmcnt(22) lgkmcnt(0)
	v_wmma_f32_16x16x16_f16 v[137:144], v[33:40], v[1:8], v[137:144]
	s_waitcnt vmcnt(20)
	v_wmma_f32_16x16x16_f16 v[121:128], v[41:48], v[1:8], v[121:128]
	v_add_co_u32 v1, vcc_lo, v170, s2
	v_add_co_ci_u32_e32 v2, vcc_lo, s3, v171, vcc_lo
	v_add_co_u32 v3, vcc_lo, v170, s8
	v_add_co_ci_u32_e32 v4, vcc_lo, s9, v171, vcc_lo
	;; [unrolled: 2-line block ×4, first 2 shown]
	v_add_co_u32 v25, vcc_lo, v170, s6
	s_mul_hi_i32 s25, s15, s5
	s_mul_i32 s24, s15, s5
	v_add_co_ci_u32_e32 v26, vcc_lo, s7, v171, vcc_lo
	v_add_co_u32 v27, vcc_lo, v170, s22
	s_lshl_b64 s[24:25], s[24:25], 1
	s_waitcnt vmcnt(18)
	v_wmma_f32_16x16x16_f16 v[137:144], v[49:56], v[9:16], v[137:144]
	s_waitcnt vmcnt(16)
	v_wmma_f32_16x16x16_f16 v[121:128], v[57:64], v[9:16], v[121:128]
	v_add_co_ci_u32_e32 v28, vcc_lo, s23, v171, vcc_lo
	s_mul_hi_i32 s3, s13, s5
	s_mul_i32 s2, s13, s5
	v_add_co_u32 v29, vcc_lo, v170, s24
	s_lshl_b64 s[2:3], s[2:3], 1
	v_add_co_ci_u32_e32 v30, vcc_lo, s25, v171, vcc_lo
	s_waitcnt vmcnt(14)
	v_wmma_f32_16x16x16_f16 v[137:144], v[81:88], v[17:24], v[137:144]
	s_waitcnt vmcnt(12)
	v_wmma_f32_16x16x16_f16 v[121:128], v[89:96], v[17:24], v[121:128]
	v_add_co_u32 v17, vcc_lo, v170, s2
	v_add_co_ci_u32_e32 v18, vcc_lo, s3, v171, vcc_lo
	s_mul_hi_i32 s3, s16, s5
	s_mul_i32 s2, s16, s5
	s_clause 0x5
	global_load_b128 v[65:68], v[1:2], off
	global_load_b128 v[69:72], v[1:2], off offset:16
	global_load_b128 v[57:60], v[3:4], off
	global_load_b128 v[61:64], v[3:4], off offset:16
	;; [unrolled: 2-line block ×3, first 2 shown]
	s_lshl_b64 s[2:3], s[2:3], 1
	s_clause 0x1
	global_load_b128 v[41:44], v[7:8], off
	global_load_b128 v[45:48], v[7:8], off offset:16
	v_add_co_u32 v21, vcc_lo, v170, s2
	v_add_co_ci_u32_e32 v22, vcc_lo, s3, v171, vcc_lo
	s_clause 0x9
	global_load_b128 v[9:12], v[25:26], off
	global_load_b128 v[13:16], v[25:26], off offset:16
	global_load_b128 v[1:4], v[27:28], off
	global_load_b128 v[5:8], v[27:28], off offset:16
	;; [unrolled: 2-line block ×5, first 2 shown]
	ds_load_b128 v[81:84], v169 offset:12288
	ds_load_b128 v[85:88], v169 offset:13312
	v_and_b32_e32 v89, 0xe0, v0
	s_waitcnt vmcnt(28)
	v_wmma_f32_16x16x16_f16 v[137:144], v[97:104], v[129:136], v[137:144]
	v_mbcnt_lo_u32_b32 v97, -1, 0
	s_waitcnt vmcnt(26)
	v_wmma_f32_16x16x16_f16 v[121:128], v[105:112], v[129:136], v[121:128]
	v_add_nc_u32_e32 v98, s12, v89
	ds_load_b128 v[89:92], v169 offset:14336
	ds_load_b128 v[93:96], v169 offset:15360
	v_xor_b32_e32 v99, 16, v97
	s_waitcnt vmcnt(0) lgkmcnt(0)
	s_barrier
	v_or_b32_e32 v98, v98, v75
	buffer_gl0_inv
	v_cmp_gt_i32_e32 vcc_lo, 32, v99
	v_or_b32_e32 v100, 4, v98
	v_or_b32_e32 v101, 22, v98
	;; [unrolled: 1-line block ×4, first 2 shown]
	v_wmma_f32_16x16x16_f16 v[137:144], v[113:120], v[81:88], v[137:144]
	v_wmma_f32_16x16x16_f16 v[121:128], v[145:152], v[81:88], v[121:128]
	v_or_b32_e32 v81, 6, v98
	v_or_b32_e32 v82, 8, v98
	v_or_b32_e32 v83, 10, v98
	v_cmp_gt_i32_e64 s3, s17, v100
	v_or_b32_e32 v84, 12, v98
	v_wmma_f32_16x16x16_f16 v[137:144], v[153:160], v[89:96], v[137:144]
	v_wmma_f32_16x16x16_f16 v[121:128], v[161:168], v[89:96], v[121:128]
	v_cndmask_b32_e32 v97, v97, v99, vcc_lo
	v_or_b32_e32 v99, 2, v98
	v_cmp_gt_i32_e32 vcc_lo, s17, v98
	v_dual_mul_f32 v95, s18, v138 :: v_dual_mul_f32 v96, s18, v137
	v_mul_f32_e32 v93, s18, v140
	s_delay_alu instid0(VALU_DEP_4)
	v_cmp_gt_i32_e64 s2, s17, v99
	v_mul_f32_e32 v94, s18, v139
	v_mul_f32_e32 v106, s18, v128
	v_cndmask_b32_e32 v96, 0xff7fffff, v96, vcc_lo
	v_cmp_gt_i32_e64 s4, s17, v81
	v_cndmask_b32_e64 v95, 0xff7fffff, v95, s2
	v_or_b32_e32 v85, 14, v98
	v_dual_mul_f32 v91, s18, v142 :: v_dual_mul_f32 v110, s18, v124
	v_mul_f32_e32 v92, s18, v141
	v_cndmask_b32_e64 v94, 0xff7fffff, v94, s3
	v_cndmask_b32_e64 v81, 0xff7fffff, v93, s4
	v_max3_f32 v93, v96, 0xff7fffff, v95
	v_cmp_gt_i32_e64 s5, s17, v82
	v_cmp_gt_i32_e64 s6, s17, v83
	v_or_b32_e32 v86, 16, v98
	v_or_b32_e32 v87, 18, v98
	v_dual_mul_f32 v89, s18, v144 :: v_dual_mul_f32 v112, s18, v122
	v_mul_f32_e32 v90, s18, v143
	v_cndmask_b32_e64 v82, 0xff7fffff, v92, s5
	v_cndmask_b32_e64 v83, 0xff7fffff, v91, s6
	v_max3_f32 v81, v93, v94, v81
	v_cmp_gt_i32_e64 s7, s17, v84
	v_cmp_gt_i32_e64 s8, s17, v85
	v_or_b32_e32 v88, 20, v98
	v_mul_f32_e32 v113, s18, v121
	v_max3_f32 v81, v81, v82, v83
	v_cndmask_b32_e64 v84, 0xff7fffff, v90, s7
	v_cndmask_b32_e64 v85, 0xff7fffff, v89, s8
	v_cmp_gt_i32_e64 s9, s17, v86
	v_cmp_gt_i32_e64 s10, s17, v87
	v_mul_f32_e32 v111, s18, v123
	v_cmp_gt_i32_e64 s11, s17, v88
	v_max3_f32 v81, v81, v84, v85
	v_cndmask_b32_e64 v82, 0xff7fffff, v113, s9
	v_cndmask_b32_e64 v83, 0xff7fffff, v112, s10
	v_cmp_gt_i32_e64 s12, s17, v101
	v_or_b32_e32 v104, 28, v98
	v_or_b32_e32 v105, 30, v98
	v_dual_mul_f32 v108, s18, v126 :: v_dual_mul_f32 v109, s18, v125
	v_cndmask_b32_e64 v84, 0xff7fffff, v111, s11
	v_cndmask_b32_e64 v85, 0xff7fffff, v110, s12
	v_max3_f32 v81, v81, v82, v83
	v_cmp_gt_i32_e64 s13, s17, v102
	v_cmp_gt_i32_e64 s15, s17, v103
	v_mul_f32_e32 v107, s18, v127
	v_cmp_gt_i32_e64 s16, s17, v104
	v_max3_f32 v81, v81, v84, v85
	v_cndmask_b32_e64 v82, 0xff7fffff, v109, s13
	v_cndmask_b32_e64 v83, 0xff7fffff, v108, s15
	v_cmp_gt_i32_e64 s17, s17, v105
	v_cndmask_b32_e64 v84, 0xff7fffff, v107, s16
	s_delay_alu instid0(VALU_DEP_3) | instskip(NEXT) | instid1(VALU_DEP_3)
	v_max3_f32 v81, v81, v82, v83
	v_cndmask_b32_e64 v85, 0xff7fffff, v106, s17
	v_lshlrev_b32_e32 v83, 2, v97
	s_delay_alu instid0(VALU_DEP_2) | instskip(SKIP_3) | instid1(VALU_DEP_1)
	v_max3_f32 v81, v81, v84, v85
	ds_bpermute_b32 v82, v83, v81
	s_waitcnt lgkmcnt(0)
	v_max_f32_e32 v82, v82, v82
	v_max_f32_e32 v81, v81, v82
	s_delay_alu instid0(VALU_DEP_1) | instskip(SKIP_3) | instid1(VALU_DEP_4)
	v_fma_f32 v82, s18, v137, -v81
	v_fma_f32 v84, s18, v138, -v81
	;; [unrolled: 1-line block ×4, first 2 shown]
	v_mul_f32_e32 v82, 0x3fb8aa3b, v82
	s_delay_alu instid0(VALU_DEP_3) | instskip(NEXT) | instid1(VALU_DEP_3)
	v_dual_mul_f32 v84, 0x3fb8aa3b, v84 :: v_dual_mul_f32 v85, 0x3fb8aa3b, v85
	v_mul_f32_e32 v86, 0x3fb8aa3b, v86
	s_delay_alu instid0(VALU_DEP_3) | instskip(NEXT) | instid1(VALU_DEP_2)
	v_exp_f32_e32 v82, v82
	v_exp_f32_e32 v84, v84
	s_delay_alu instid0(VALU_DEP_2) | instskip(NEXT) | instid1(VALU_DEP_1)
	v_exp_f32_e32 v85, v85
	v_exp_f32_e32 v90, v86
	v_cndmask_b32_e32 v87, 0, v82, vcc_lo
	s_delay_alu instid0(TRANS32_DEP_3) | instskip(SKIP_4) | instid1(VALU_DEP_1)
	v_cndmask_b32_e64 v86, 0, v84, s2
	s_waitcnt_depctr 0xfff
	v_cndmask_b32_e64 v89, 0, v85, s3
	s_mov_b32 s2, exec_lo
	v_add_f32_e32 v84, 0, v87
	v_add_f32_e32 v84, v84, v86
	s_delay_alu instid0(VALU_DEP_1)
	v_add_f32_e32 v84, v84, v89
	v_fma_f32 v88, s18, v141, -v81
	v_fma_f32 v91, s18, v143, -v81
	;; [unrolled: 1-line block ×5, first 2 shown]
	v_mul_f32_e32 v88, 0x3fb8aa3b, v88
	v_fma_f32 v100, s18, v128, -v81
	v_mul_f32_e32 v82, 0x3fb8aa3b, v82
	v_fma_f32 v98, s18, v126, -v81
	v_mul_f32_e32 v97, 0x3fb8aa3b, v95
	v_exp_f32_e32 v92, v88
	v_cndmask_b32_e64 v88, 0, v90, s4
	v_fma_f32 v90, s18, v121, -v81
	v_mul_f32_e32 v91, 0x3fb8aa3b, v91
	v_exp_f32_e32 v82, v82
	v_exp_f32_e32 v99, v97
	v_add_f32_e32 v84, v84, v88
	v_mul_f32_e32 v94, 0x3fb8aa3b, v90
	v_exp_f32_e32 v93, v91
	v_mul_f32_e32 v98, 0x3fb8aa3b, v98
	v_cndmask_b32_e64 v91, 0, v92, s5
	v_fma_f32 v92, s18, v122, -v81
	v_mul_f32_e32 v85, 0x3fb8aa3b, v85
	v_exp_f32_e32 v94, v94
	v_cndmask_b32_e64 v90, 0, v82, s6
	v_add_f32_e32 v82, v84, v91
	v_mul_f32_e32 v92, 0x3fb8aa3b, v92
	v_exp_f32_e32 v85, v85
	v_fma_f32 v84, s18, v123, -v81
	v_cndmask_b32_e64 v93, 0, v93, s7
	v_add_f32_e32 v82, v82, v90
	v_exp_f32_e32 v96, v92
	v_exp_f32_e32 v98, v98
	v_cndmask_b32_e64 v95, 0, v94, s9
	s_delay_alu instid0(VALU_DEP_2) | instskip(NEXT) | instid1(TRANS32_DEP_3)
	v_add_f32_e32 v82, v82, v93
	v_cndmask_b32_e64 v92, 0, v85, s8
	v_fma_f32 v85, s18, v125, -v81
	v_mul_f32_e32 v84, 0x3fb8aa3b, v84
	s_delay_alu instid0(TRANS32_DEP_2) | instskip(SKIP_1) | instid1(VALU_DEP_4)
	v_cndmask_b32_e64 v94, 0, v96, s10
	v_fma_f32 v96, s18, v127, -v81
	v_mul_f32_e32 v85, 0x3fb8aa3b, v85
	s_delay_alu instid0(VALU_DEP_4) | instskip(SKIP_1) | instid1(VALU_DEP_2)
	v_exp_f32_e32 v84, v84
	v_cndmask_b32_e64 v98, 0, v98, s15
	v_exp_f32_e32 v85, v85
	s_waitcnt_depctr 0xfff
	v_cndmask_b32_e64 v97, 0, v84, s11
	v_mul_f32_e32 v84, 0x3fb8aa3b, v96
	v_cndmask_b32_e64 v96, 0, v99, s12
	v_cndmask_b32_e64 v99, 0, v85, s13
	v_mul_f32_e32 v85, 0x3fb8aa3b, v100
	v_add_f32_e32 v82, v82, v92
	v_exp_f32_e32 v84, v84
	s_delay_alu instid0(VALU_DEP_2) | instskip(NEXT) | instid1(VALU_DEP_1)
	v_exp_f32_e32 v85, v85
	v_add_f32_e32 v82, v82, v95
	s_delay_alu instid0(VALU_DEP_1) | instskip(SKIP_4) | instid1(VALU_DEP_1)
	v_add_f32_e32 v82, v82, v94
	s_waitcnt_depctr 0xfff
	v_cndmask_b32_e64 v101, 0, v84, s16
	v_cndmask_b32_e64 v100, 0, v85, s17
	v_add_f32_e32 v82, v82, v97
	v_add_f32_e32 v82, v82, v96
	s_delay_alu instid0(VALU_DEP_1) | instskip(NEXT) | instid1(VALU_DEP_1)
	v_add_f32_e32 v82, v82, v99
	v_add_f32_e32 v82, v82, v98
	s_delay_alu instid0(VALU_DEP_1) | instskip(NEXT) | instid1(VALU_DEP_1)
	v_add_f32_e32 v82, v82, v101
	v_add_f32_e32 v82, v82, v100
	ds_bpermute_b32 v83, v83, v82
	v_cmpx_gt_u32_e32 16, v80
	s_cbranch_execz .LBB345_14
; %bb.13:
	v_mul_u32_u24_e32 v80, 0x44, v77
	s_waitcnt lgkmcnt(0)
	v_add_f32_e32 v82, v82, v83
	s_delay_alu instid0(VALU_DEP_2) | instskip(NEXT) | instid1(VALU_DEP_1)
	v_lshl_add_u32 v80, v78, 2, v80
	v_add_nc_u32_e32 v80, 0x4000, v80
	ds_store_2addr_b32 v80, v81, v82 offset1:136
.LBB345_14:
	s_or_b32 exec_lo, exec_lo, s2
	v_lshlrev_b32_e32 v78, 2, v78
	s_load_b32 s34, s[0:1], 0x94
	s_waitcnt lgkmcnt(0)
	s_barrier
	buffer_gl0_inv
	v_add_nc_u32_e32 v78, 0x4000, v78
	v_cmp_eq_u32_e32 vcc_lo, 1, v77
	v_cmp_eq_u32_e64 s2, 2, v77
	v_cmp_eq_u32_e64 s3, 3, v77
	;; [unrolled: 1-line block ×3, first 2 shown]
	ds_load_2addr_b32 v[80:81], v78 offset1:17
	ds_load_2addr_b32 v[82:83], v78 offset0:34 offset1:51
	ds_load_2addr_b32 v[102:103], v78 offset0:68 offset1:85
	;; [unrolled: 1-line block ×3, first 2 shown]
	v_cmp_eq_u32_e64 s5, 7, v77
	s_waitcnt lgkmcnt(3)
	v_max3_f32 v84, v80, 0xff7fffff, v81
	s_waitcnt lgkmcnt(2)
	s_delay_alu instid0(VALU_DEP_1) | instskip(SKIP_1) | instid1(VALU_DEP_1)
	v_max3_f32 v84, v84, v82, v83
	s_waitcnt lgkmcnt(1)
	v_max3_f32 v84, v84, v102, v103
	s_waitcnt lgkmcnt(0)
	s_delay_alu instid0(VALU_DEP_1) | instskip(NEXT) | instid1(VALU_DEP_1)
	v_max3_f32 v84, v84, v104, v105
	v_sub_f32_e32 v109, v83, v84
	ds_load_2addr_b32 v[106:107], v78 offset0:136 offset1:153
	v_sub_f32_e32 v85, v81, v84
	v_dual_sub_f32 v80, v80, v84 :: v_dual_mul_f32 v109, 0x3fb8aa3b, v109
	s_delay_alu instid0(VALU_DEP_1)
	v_dual_mul_f32 v85, 0x3fb8aa3b, v85 :: v_dual_mul_f32 v108, 0x3fb8aa3b, v80
	ds_load_2addr_b32 v[80:81], v78 offset0:170 offset1:187
	v_exp_f32_e32 v109, v109
	v_exp_f32_e32 v111, v85
	;; [unrolled: 1-line block ×3, first 2 shown]
	s_waitcnt lgkmcnt(1)
	s_waitcnt_depctr 0xfff
	v_fma_f32 v85, v108, v106, 0
	v_sub_f32_e32 v82, v82, v84
	v_sub_f32_e32 v106, v103, v84
	s_delay_alu instid0(VALU_DEP_2) | instskip(SKIP_3) | instid1(VALU_DEP_1)
	v_dual_fmac_f32 v85, v111, v107 :: v_dual_mul_f32 v110, 0x3fb8aa3b, v82
	ds_load_2addr_b32 v[82:83], v78 offset0:204 offset1:221
	v_sub_f32_e32 v102, v102, v84
	v_exp_f32_e32 v110, v110
	v_mul_f32_e32 v112, 0x3fb8aa3b, v102
	ds_load_2addr_b32 v[102:103], v78 offset0:238 offset1:255
	s_waitcnt lgkmcnt(0)
	s_barrier
	buffer_gl0_inv
	v_fmac_f32_e32 v85, v110, v80
	v_sub_f32_e32 v80, v105, v84
	s_delay_alu instid0(VALU_DEP_1) | instskip(SKIP_1) | instid1(VALU_DEP_2)
	v_dual_fmac_f32 v85, v109, v81 :: v_dual_mul_f32 v80, 0x3fb8aa3b, v80
	v_sub_f32_e32 v78, v104, v84
	v_exp_f32_e32 v107, v80
	v_mul_f32_e32 v104, 0x3fb8aa3b, v106
	v_exp_f32_e32 v106, v112
	v_cndmask_b32_e32 v80, v108, v111, vcc_lo
	s_delay_alu instid0(VALU_DEP_2) | instskip(SKIP_2) | instid1(VALU_DEP_1)
	v_exp_f32_e32 v104, v104
	s_waitcnt_depctr 0xfff
	v_fmac_f32_e32 v85, v106, v82
	v_dual_mul_f32 v78, 0x3fb8aa3b, v78 :: v_dual_fmac_f32 v85, v104, v83
	s_delay_alu instid0(VALU_DEP_1) | instskip(SKIP_2) | instid1(VALU_DEP_1)
	v_exp_f32_e32 v105, v78
	s_waitcnt_depctr 0xfff
	v_fmac_f32_e32 v85, v105, v102
	v_fmac_f32_e32 v85, v107, v103
	s_delay_alu instid0(VALU_DEP_1) | instskip(NEXT) | instid1(VALU_DEP_1)
	v_add_f32_e32 v102, 0x358637bd, v85
	v_div_scale_f32 v103, null, v102, v102, 1.0
	v_div_scale_f32 v108, vcc_lo, 1.0, v102, 1.0
	s_delay_alu instid0(VALU_DEP_2) | instskip(SKIP_2) | instid1(VALU_DEP_1)
	v_rcp_f32_e32 v112, v103
	s_waitcnt_depctr 0xfff
	v_fma_f32 v78, -v103, v112, 1.0
	v_fmac_f32_e32 v112, v78, v112
	v_cndmask_b32_e64 v78, v80, v110, s2
	v_cmp_eq_u32_e64 s2, 4, v77
	v_lshl_or_b32 v80, v77, 11, v79
	s_delay_alu instid0(VALU_DEP_4) | instskip(NEXT) | instid1(VALU_DEP_4)
	v_mul_f32_e32 v110, v108, v112
	v_cndmask_b32_e64 v81, v78, v109, s3
	v_cmp_eq_u32_e64 s3, 6, v77
	s_delay_alu instid0(VALU_DEP_4) | instskip(SKIP_3) | instid1(VALU_DEP_3)
	v_lshl_or_b32 v77, v75, 4, v80
	v_lshlrev_b32_e32 v78, 2, v75
	v_fma_f32 v82, -v103, v110, v108
	v_cndmask_b32_e64 v83, v81, v106, s2
	v_or_b32_e32 v81, 1, v78
	s_delay_alu instid0(VALU_DEP_3) | instskip(NEXT) | instid1(VALU_DEP_3)
	v_fmac_f32_e32 v110, v82, v112
	v_cndmask_b32_e64 v104, v83, v104, s4
	v_or_b32_e32 v83, 2, v78
	v_or_b32_e32 v82, 3, v78
	v_cmp_eq_u32_e64 s2, 1, v78
	v_fma_f32 v103, -v103, v110, v108
	v_cndmask_b32_e64 v104, v104, v105, s3
	v_cmp_eq_u32_e64 s8, 1, v81
	v_cmp_eq_u32_e64 s9, 1, v83
	;; [unrolled: 1-line block ×3, first 2 shown]
	v_div_fmas_f32 v103, v103, v112, v110
	v_cndmask_b32_e64 v104, v104, v107, s5
	v_cmp_eq_u32_e32 vcc_lo, 2, v78
	v_cmp_eq_u32_e64 s11, 2, v81
	v_cmp_eq_u32_e64 s13, 2, v83
	v_div_fixup_f32 v102, v103, v102, 1.0
	v_cmp_eq_u32_e64 s15, 2, v82
	v_cmp_eq_u32_e64 s17, 3, v82
	;; [unrolled: 1-line block ×4, first 2 shown]
	v_mul_f32_e32 v110, v104, v102
	v_cmp_eq_u32_e64 s16, 3, v83
	v_cmp_eq_u32_e64 s21, 4, v82
	;; [unrolled: 1-line block ×4, first 2 shown]
	v_fma_mixlo_f16 v102, v110, v87, 0
	v_fma_mixlo_f16 v103, v110, v89, 0
	;; [unrolled: 1-line block ×8, first 2 shown]
	v_fma_mixhi_f16 v102, v110, v86, 0
	v_fma_mixhi_f16 v103, v110, v88, 0
	;; [unrolled: 1-line block ×8, first 2 shown]
	ds_store_b128 v77, v[102:105]
	ds_store_b128 v77, v[106:109] offset:1024
	s_waitcnt lgkmcnt(0)
	s_barrier
	buffer_gl0_inv
	ds_load_b128 v[86:89], v80
	ds_load_b128 v[90:93], v80 offset:16
	ds_load_b128 v[94:97], v80 offset:1024
	;; [unrolled: 1-line block ×3, first 2 shown]
	v_cmp_eq_u32_e64 s20, 4, v83
	v_cmp_eq_u32_e64 s23, 5, v82
	;; [unrolled: 1-line block ×13, first 2 shown]
	s_waitcnt lgkmcnt(3)
	v_lshrrev_b32_e32 v102, 16, v86
	s_waitcnt lgkmcnt(2)
	v_lshrrev_b32_e32 v106, 16, v90
	;; [unrolled: 2-line block ×4, first 2 shown]
	v_lshrrev_b32_e32 v103, 16, v87
	v_cndmask_b32_e64 v118, v86, v102, s2
	v_cndmask_b32_e64 v119, v90, v106, s2
	;; [unrolled: 1-line block ×8, first 2 shown]
	v_lshrrev_b32_e32 v107, 16, v91
	v_cndmask_b32_e64 v102, v94, v110, s2
	v_cndmask_b32_e64 v106, v98, v114, s2
	;; [unrolled: 1-line block ×5, first 2 shown]
	v_cndmask_b32_e32 v110, v118, v87, vcc_lo
	v_cndmask_b32_e64 v118, v120, v87, s11
	v_cndmask_b32_e64 v120, v122, v87, s13
	;; [unrolled: 1-line block ×4, first 2 shown]
	v_lshrrev_b32_e32 v111, 16, v95
	v_lshrrev_b32_e32 v115, 16, v99
	v_cndmask_b32_e64 v125, v98, v114, s8
	v_cndmask_b32_e64 v127, v98, v114, s9
	;; [unrolled: 1-line block ×3, first 2 shown]
	v_cndmask_b32_e32 v114, v119, v91, vcc_lo
	v_cndmask_b32_e64 v119, v121, v91, s11
	v_cndmask_b32_e64 v121, v123, v91, s13
	v_cndmask_b32_e32 v90, v102, v95, vcc_lo
	v_cndmask_b32_e32 v91, v106, v99, vcc_lo
	v_cndmask_b32_e64 v102, v124, v95, s11
	v_cndmask_b32_e64 v86, v86, v103, s17
	;; [unrolled: 1-line block ×3, first 2 shown]
	v_lshrrev_b32_e32 v104, 16, v88
	v_lshrrev_b32_e32 v108, 16, v92
	v_cndmask_b32_e64 v106, v126, v95, s13
	v_cndmask_b32_e64 v94, v94, v95, s15
	;; [unrolled: 1-line block ×14, first 2 shown]
	v_lshrrev_b32_e32 v112, 16, v96
	v_cndmask_b32_e64 v98, v98, v88, s4
	v_cndmask_b32_e64 v103, v110, v92, s4
	;; [unrolled: 1-line block ×11, first 2 shown]
	v_lshrrev_b32_e32 v105, 16, v89
	v_lshrrev_b32_e32 v109, 16, v93
	v_cndmask_b32_e64 v92, v98, v104, s5
	v_cndmask_b32_e64 v98, v103, v108, s5
	;; [unrolled: 1-line block ×9, first 2 shown]
	v_lshrrev_b32_e32 v113, 16, v97
	v_cndmask_b32_e64 v88, v88, v112, s5
	v_cndmask_b32_e64 v92, v92, v89, s6
	;; [unrolled: 1-line block ×19, first 2 shown]
	v_perm_b32 v89, v87, v86, 0x5040100
	v_cndmask_b32_e64 v86, v125, v99, s11
	v_cndmask_b32_e64 v104, v88, v113, s7
	v_perm_b32 v88, v102, v98, 0x5040100
	v_perm_b32 v87, v103, v93, 0x5040100
	v_cndmask_b32_e64 v93, v106, v111, s16
	v_cndmask_b32_e64 v94, v94, v111, s17
	v_cndmask_b32_e64 v95, v95, v115, s17
	v_cndmask_b32_e64 v98, v122, v115, s16
	v_cndmask_b32_e64 v86, v86, v115, s12
	v_lshrrev_b32_e32 v116, 16, v100
	v_cndmask_b32_e64 v93, v93, v96, s20
	v_cndmask_b32_e64 v94, v94, v96, s21
	;; [unrolled: 1-line block ×11, first 2 shown]
	v_lshrrev_b32_e32 v117, 16, v101
	v_cndmask_b32_e64 v90, v90, v101, s6
	v_cndmask_b32_e64 v93, v93, v97, s25
	;; [unrolled: 1-line block ×12, first 2 shown]
	v_perm_b32 v86, v92, v91, 0x5040100
	v_perm_b32 v93, v94, v93, 0x5040100
	;; [unrolled: 1-line block ×5, first 2 shown]
	s_lshl_b32 s6, s33, 2
	s_mov_b32 s2, exec_lo
	ds_store_b128 v77, v[86:89]
	ds_store_b128 v77, v[90:93] offset:1024
	v_cmpx_gt_u32_e32 4, v0
	s_cbranch_execz .LBB345_16
; %bb.15:
	v_or_b32_e32 v86, s31, v0
	s_load_b128 s[8:11], s[0:1], 0x58
	s_delay_alu instid0(VALU_DEP_1) | instskip(NEXT) | instid1(VALU_DEP_1)
	v_mad_u64_u32 v[87:88], null, s6, s30, v[86:87]
	v_mad_u64_u32 v[88:89], null, v87, s34, s[14:15]
	s_delay_alu instid0(VALU_DEP_1) | instskip(NEXT) | instid1(VALU_DEP_1)
	v_ashrrev_i32_e32 v89, 31, v88
	v_lshlrev_b64 v[86:87], 2, v[88:89]
	s_waitcnt lgkmcnt(0)
	s_delay_alu instid0(VALU_DEP_1) | instskip(NEXT) | instid1(VALU_DEP_2)
	v_add_co_u32 v88, vcc_lo, s10, v86
	v_add_co_ci_u32_e32 v89, vcc_lo, s11, v87, vcc_lo
	v_add_co_u32 v86, vcc_lo, s8, v86
	v_add_co_ci_u32_e32 v87, vcc_lo, s9, v87, vcc_lo
	global_store_b32 v[88:89], v84, off
	global_store_b32 v[86:87], v85, off
.LBB345_16:
	s_or_b32 exec_lo, exec_lo, s2
	s_waitcnt lgkmcnt(0)
	s_waitcnt_vscnt null, 0x0
	s_barrier
	buffer_gl0_inv
	ds_load_b128 v[92:95], v79
	ds_load_b128 v[96:99], v79 offset:16
	ds_load_b128 v[104:107], v79 offset:1040
	;; [unrolled: 1-line block ×5, first 2 shown]
	v_cmp_eq_u32_e32 vcc_lo, 1, v83
	v_mov_b32_e32 v84, 0
	ds_load_b128 v[120:123], v79 offset:3088
	ds_load_b128 v[116:119], v79 offset:3072
	;; [unrolled: 1-line block ×4, first 2 shown]
	v_cmp_eq_u32_e64 s2, 1, v78
	v_cmp_eq_u32_e64 s3, 1, v82
	;; [unrolled: 1-line block ×3, first 2 shown]
	v_mov_b32_e32 v85, v84
	v_mov_b32_e32 v86, v84
	v_mov_b32_e32 v87, v84
	v_mov_b32_e32 v88, v84
	v_mov_b32_e32 v89, v84
	v_mov_b32_e32 v90, v84
	v_mov_b32_e32 v91, v84
	v_cmp_eq_u32_e64 s5, 2, v78
	s_waitcnt lgkmcnt(8)
	s_delay_alu instid0(VALU_DEP_2)
	v_wmma_f32_16x16x16_f16 v[84:91], v[65:72], v[92:99], v[84:91]
	ds_load_b128 v[69:72], v79 offset:5136
	ds_load_b128 v[65:68], v79 offset:5120
	;; [unrolled: 1-line block ×4, first 2 shown]
	s_waitcnt lgkmcnt(10)
	v_wmma_f32_16x16x16_f16 v[84:91], v[57:64], v[100:107], v[84:91]
	s_waitcnt lgkmcnt(8)
	s_delay_alu instid0(VALU_DEP_1)
	v_wmma_f32_16x16x16_f16 v[84:91], v[57:64], v[108:115], v[84:91]
	ds_load_b128 v[61:64], v79 offset:7184
	ds_load_b128 v[57:60], v79 offset:7168
	;; [unrolled: 1-line block ×4, first 2 shown]
	s_waitcnt lgkmcnt(10)
	v_wmma_f32_16x16x16_f16 v[84:91], v[49:56], v[116:123], v[84:91]
	s_waitcnt lgkmcnt(8)
	s_delay_alu instid0(VALU_DEP_1)
	v_wmma_f32_16x16x16_f16 v[84:91], v[49:56], v[124:131], v[84:91]
	ds_load_b128 v[53:56], v79 offset:9232
	ds_load_b128 v[49:52], v79 offset:9216
	s_waitcnt lgkmcnt(8)
	v_wmma_f32_16x16x16_f16 v[84:91], v[41:48], v[65:72], v[84:91]
	ds_load_b128 v[69:72], v79 offset:10256
	ds_load_b128 v[65:68], v79 offset:10240
	s_waitcnt lgkmcnt(8)
	;; [unrolled: 4-line block ×7, first 2 shown]
	s_barrier
	buffer_gl0_inv
	v_wmma_f32_16x16x16_f16 v[84:91], v[33:40], v[41:48], v[84:91]
	s_delay_alu instid0(VALU_DEP_1) | instskip(NEXT) | instid1(VALU_DEP_1)
	v_wmma_f32_16x16x16_f16 v[84:91], v[33:40], v[57:64], v[84:91]
	v_wmma_f32_16x16x16_f16 v[84:91], v[25:32], v[9:16], v[84:91]
	s_delay_alu instid0(VALU_DEP_1) | instskip(NEXT) | instid1(VALU_DEP_1)
	v_wmma_f32_16x16x16_f16 v[84:91], v[25:32], v[49:56], v[84:91]
	v_wmma_f32_16x16x16_f16 v[84:91], v[17:24], v[1:8], v[84:91]
	s_delay_alu instid0(VALU_DEP_1) | instskip(NEXT) | instid1(VALU_DEP_2)
	v_cvt_f16_f32_e32 v1, v84
	v_cvt_f16_f32_e32 v2, v85
	s_delay_alu instid0(VALU_DEP_3) | instskip(NEXT) | instid1(VALU_DEP_4)
	v_cvt_f16_f32_e32 v3, v86
	v_cvt_f16_f32_e32 v4, v87
	;; [unrolled: 1-line block ×6, first 2 shown]
	v_pack_b32_f16 v1, v1, v2
	v_pack_b32_f16 v2, v3, v4
	;; [unrolled: 1-line block ×3, first 2 shown]
	s_delay_alu instid0(VALU_DEP_4)
	v_pack_b32_f16 v4, v7, v8
	ds_store_b128 v77, v[1:4]
	s_waitcnt lgkmcnt(0)
	s_barrier
	buffer_gl0_inv
	ds_load_b128 v[1:4], v80
	ds_load_b128 v[5:8], v80 offset:16
	s_waitcnt lgkmcnt(1)
	v_lshrrev_b32_e32 v9, 16, v1
	s_waitcnt lgkmcnt(0)
	v_lshrrev_b32_e32 v13, 16, v5
	v_lshrrev_b32_e32 v10, 16, v2
	;; [unrolled: 1-line block ×4, first 2 shown]
	v_cndmask_b32_e64 v17, v1, v9, s2
	v_cndmask_b32_e64 v18, v5, v13, s2
	;; [unrolled: 1-line block ×3, first 2 shown]
	v_cmp_eq_u32_e64 s2, 2, v81
	v_cndmask_b32_e64 v20, v5, v13, s4
	v_cndmask_b32_e32 v21, v1, v9, vcc_lo
	v_cndmask_b32_e32 v22, v5, v13, vcc_lo
	v_cndmask_b32_e64 v1, v1, v9, s3
	v_cndmask_b32_e64 v5, v5, v13, s3
	v_cmp_eq_u32_e32 vcc_lo, 2, v83
	v_cmp_eq_u32_e64 s3, 2, v82
	v_cndmask_b32_e64 v9, v17, v2, s5
	v_cndmask_b32_e64 v13, v18, v6, s5
	;; [unrolled: 1-line block ×4, first 2 shown]
	v_cndmask_b32_e32 v19, v21, v2, vcc_lo
	v_cmp_eq_u32_e64 s2, 3, v83
	v_cndmask_b32_e32 v20, v22, v6, vcc_lo
	v_cndmask_b32_e64 v1, v1, v2, s3
	v_cmp_eq_u32_e32 vcc_lo, 3, v82
	v_cmp_eq_u32_e64 s4, 3, v78
	v_cndmask_b32_e64 v2, v5, v6, s3
	v_cmp_eq_u32_e64 s3, 3, v81
	v_cmp_eq_u32_e64 s5, 4, v78
	v_cndmask_b32_e32 v1, v1, v10, vcc_lo
	v_cndmask_b32_e64 v5, v9, v10, s4
	v_cndmask_b32_e64 v6, v13, v14, s4
	;; [unrolled: 1-line block ×3, first 2 shown]
	v_cmp_eq_u32_e64 s4, 4, v81
	v_cndmask_b32_e64 v13, v18, v14, s3
	v_cndmask_b32_e64 v17, v19, v10, s2
	;; [unrolled: 1-line block ×3, first 2 shown]
	v_cndmask_b32_e32 v2, v2, v14, vcc_lo
	v_cmp_eq_u32_e32 vcc_lo, 4, v83
	v_cmp_eq_u32_e64 s3, 4, v82
	v_lshrrev_b32_e32 v15, 16, v7
	v_cndmask_b32_e64 v5, v5, v3, s5
	v_cndmask_b32_e64 v6, v6, v7, s5
	v_cndmask_b32_e32 v14, v18, v7, vcc_lo
	v_cndmask_b32_e64 v9, v9, v3, s4
	v_cndmask_b32_e64 v10, v13, v7, s4
	v_cndmask_b32_e32 v13, v17, v3, vcc_lo
	v_cmp_eq_u32_e64 s2, 5, v83
	v_cndmask_b32_e64 v1, v1, v3, s3
	v_cmp_eq_u32_e32 vcc_lo, 5, v82
	v_cmp_eq_u32_e64 s4, 5, v78
	v_cndmask_b32_e64 v2, v2, v7, s3
	v_cmp_eq_u32_e64 s3, 5, v81
	v_cmp_eq_u32_e64 s5, 6, v78
	v_lshrrev_b32_e32 v12, 16, v4
	v_cndmask_b32_e64 v3, v5, v11, s4
	v_cndmask_b32_e64 v5, v6, v15, s4
	;; [unrolled: 1-line block ×3, first 2 shown]
	v_cmp_eq_u32_e64 s4, 6, v81
	v_cndmask_b32_e64 v7, v10, v15, s3
	v_cndmask_b32_e64 v9, v13, v11, s2
	;; [unrolled: 1-line block ×3, first 2 shown]
	v_cndmask_b32_e32 v1, v1, v11, vcc_lo
	v_cndmask_b32_e32 v2, v2, v15, vcc_lo
	v_cmp_eq_u32_e32 vcc_lo, 6, v83
	v_cmp_eq_u32_e64 s2, 6, v82
	v_lshrrev_b32_e32 v16, 16, v8
	v_cndmask_b32_e64 v3, v3, v4, s5
	v_cndmask_b32_e64 v5, v5, v8, s5
	v_cndmask_b32_e32 v9, v9, v4, vcc_lo
	v_cndmask_b32_e64 v6, v6, v4, s4
	v_cndmask_b32_e64 v7, v7, v8, s4
	v_cmp_eq_u32_e64 s3, 7, v83
	v_cndmask_b32_e32 v10, v10, v8, vcc_lo
	v_cndmask_b32_e64 v1, v1, v4, s2
	v_cmp_eq_u32_e32 vcc_lo, 7, v82
	v_cndmask_b32_e64 v2, v2, v8, s2
	v_cmp_eq_u32_e64 s2, 7, v78
	v_cmp_eq_u32_e64 s4, 7, v81
	v_cndmask_b32_e32 v1, v1, v12, vcc_lo
	s_delay_alu instid0(VALU_DEP_4) | instskip(NEXT) | instid1(VALU_DEP_4)
	v_cndmask_b32_e32 v2, v2, v16, vcc_lo
	v_cndmask_b32_e64 v8, v3, v12, s2
	s_delay_alu instid0(VALU_DEP_4)
	v_cndmask_b32_e64 v6, v6, v12, s4
	v_cndmask_b32_e64 v3, v9, v12, s3
	;; [unrolled: 1-line block ×5, first 2 shown]
	v_perm_b32 v4, v2, v1, 0x5040100
	s_mov_b32 s2, exec_lo
	v_perm_b32 v3, v9, v3, 0x5040100
	v_perm_b32 v2, v7, v6, 0x5040100
	;; [unrolled: 1-line block ×3, first 2 shown]
	ds_store_b128 v77, v[1:4]
	s_waitcnt lgkmcnt(0)
	s_barrier
	buffer_gl0_inv
	v_cmpx_gt_u32_e32 32, v0
	s_cbranch_execz .LBB345_2
; %bb.17:
	s_load_b64 s[0:1], s[0:1], 0x68
	v_lshlrev_b32_e32 v0, 10, v0
	v_or_b32_e32 v1, s31, v75
	s_lshl_b32 s4, s34, 7
	v_lshlrev_b32_e32 v2, 4, v76
	s_mul_i32 s2, s4, s30
	v_lshlrev_b32_e32 v3, 6, v75
	v_mul_lo_u32 v8, v1, s4
	v_and_b32_e32 v0, 0x3800, v0
	v_or_b32_e32 v1, 2, v1
	s_mul_i32 s2, s2, s6
	s_delay_alu instid0(SALU_CYCLE_1) | instskip(NEXT) | instid1(VALU_DEP_2)
	s_ashr_i32 s3, s2, 31
	v_or3_b32 v4, v0, v2, v3
	s_lshl_b64 s[2:3], s[2:3], 1
	v_mul_lo_u32 v10, v1, s4
	v_ashrrev_i32_e32 v9, 31, v8
	ds_load_b128 v[0:3], v4
	ds_load_b128 v[4:7], v4 offset:128
	s_waitcnt lgkmcnt(0)
	s_add_u32 s2, s0, s2
	s_addc_u32 s3, s1, s3
	s_lshl_b32 s0, s14, 7
	v_ashrrev_i32_e32 v11, 31, v10
	s_ashr_i32 s1, s0, 31
	v_lshlrev_b64 v[8:9], 1, v[8:9]
	s_lshl_b64 s[0:1], s[0:1], 1
	s_delay_alu instid0(SALU_CYCLE_1) | instskip(SKIP_4) | instid1(VALU_DEP_3)
	s_add_u32 s0, s2, s0
	s_addc_u32 s1, s3, s1
	v_add_co_u32 v12, vcc_lo, s0, v73
	v_add_co_ci_u32_e32 v13, vcc_lo, s1, v74, vcc_lo
	v_lshlrev_b64 v[10:11], 1, v[10:11]
	v_add_co_u32 v8, vcc_lo, v12, v8
	s_delay_alu instid0(VALU_DEP_3) | instskip(NEXT) | instid1(VALU_DEP_3)
	v_add_co_ci_u32_e32 v9, vcc_lo, v13, v9, vcc_lo
	v_add_co_u32 v10, vcc_lo, v12, v10
	s_delay_alu instid0(VALU_DEP_4)
	v_add_co_ci_u32_e32 v11, vcc_lo, v13, v11, vcc_lo
	s_clause 0x1
	global_store_b128 v[8:9], v[0:3], off
	global_store_b128 v[10:11], v[4:7], off
	s_nop 0
	s_sendmsg sendmsg(MSG_DEALLOC_VGPRS)
	s_endpgm
	.section	.rodata,"a",@progbits
	.p2align	6, 0x0
	.amdhsa_kernel _Z39paged_attention_ll4mi_QKV_mfma16_kernelIDF16_DF16_LN4vllm18Fp8KVCacheDataTypeE0EhLi32ELi128ELi256ELb0ELi4EL8MFMAType0EEvPKT_PKT0_S8_ifPKiSA_SA_iPKfiiiPfSD_PS3_PT2_iSC_SC_
		.amdhsa_group_segment_fixed_size 17472
		.amdhsa_private_segment_fixed_size 0
		.amdhsa_kernarg_size 400
		.amdhsa_user_sgpr_count 13
		.amdhsa_user_sgpr_dispatch_ptr 0
		.amdhsa_user_sgpr_queue_ptr 0
		.amdhsa_user_sgpr_kernarg_segment_ptr 1
		.amdhsa_user_sgpr_dispatch_id 0
		.amdhsa_user_sgpr_private_segment_size 0
		.amdhsa_wavefront_size32 1
		.amdhsa_uses_dynamic_stack 0
		.amdhsa_enable_private_segment 0
		.amdhsa_system_sgpr_workgroup_id_x 1
		.amdhsa_system_sgpr_workgroup_id_y 1
		.amdhsa_system_sgpr_workgroup_id_z 1
		.amdhsa_system_sgpr_workgroup_info 0
		.amdhsa_system_vgpr_workitem_id 0
		.amdhsa_next_free_vgpr 172
		.amdhsa_next_free_sgpr 38
		.amdhsa_reserve_vcc 1
		.amdhsa_float_round_mode_32 0
		.amdhsa_float_round_mode_16_64 0
		.amdhsa_float_denorm_mode_32 3
		.amdhsa_float_denorm_mode_16_64 3
		.amdhsa_dx10_clamp 1
		.amdhsa_ieee_mode 1
		.amdhsa_fp16_overflow 0
		.amdhsa_workgroup_processor_mode 1
		.amdhsa_memory_ordered 1
		.amdhsa_forward_progress 0
		.amdhsa_shared_vgpr_count 0
		.amdhsa_exception_fp_ieee_invalid_op 0
		.amdhsa_exception_fp_denorm_src 0
		.amdhsa_exception_fp_ieee_div_zero 0
		.amdhsa_exception_fp_ieee_overflow 0
		.amdhsa_exception_fp_ieee_underflow 0
		.amdhsa_exception_fp_ieee_inexact 0
		.amdhsa_exception_int_div_zero 0
	.end_amdhsa_kernel
	.section	.text._Z39paged_attention_ll4mi_QKV_mfma16_kernelIDF16_DF16_LN4vllm18Fp8KVCacheDataTypeE0EhLi32ELi128ELi256ELb0ELi4EL8MFMAType0EEvPKT_PKT0_S8_ifPKiSA_SA_iPKfiiiPfSD_PS3_PT2_iSC_SC_,"axG",@progbits,_Z39paged_attention_ll4mi_QKV_mfma16_kernelIDF16_DF16_LN4vllm18Fp8KVCacheDataTypeE0EhLi32ELi128ELi256ELb0ELi4EL8MFMAType0EEvPKT_PKT0_S8_ifPKiSA_SA_iPKfiiiPfSD_PS3_PT2_iSC_SC_,comdat
.Lfunc_end345:
	.size	_Z39paged_attention_ll4mi_QKV_mfma16_kernelIDF16_DF16_LN4vllm18Fp8KVCacheDataTypeE0EhLi32ELi128ELi256ELb0ELi4EL8MFMAType0EEvPKT_PKT0_S8_ifPKiSA_SA_iPKfiiiPfSD_PS3_PT2_iSC_SC_, .Lfunc_end345-_Z39paged_attention_ll4mi_QKV_mfma16_kernelIDF16_DF16_LN4vllm18Fp8KVCacheDataTypeE0EhLi32ELi128ELi256ELb0ELi4EL8MFMAType0EEvPKT_PKT0_S8_ifPKiSA_SA_iPKfiiiPfSD_PS3_PT2_iSC_SC_
                                        ; -- End function
	.section	.AMDGPU.csdata,"",@progbits
; Kernel info:
; codeLenInByte = 7380
; NumSgprs: 40
; NumVgprs: 172
; ScratchSize: 0
; MemoryBound: 0
; FloatMode: 240
; IeeeMode: 1
; LDSByteSize: 17472 bytes/workgroup (compile time only)
; SGPRBlocks: 4
; VGPRBlocks: 21
; NumSGPRsForWavesPerEU: 40
; NumVGPRsForWavesPerEU: 172
; Occupancy: 8
; WaveLimiterHint : 1
; COMPUTE_PGM_RSRC2:SCRATCH_EN: 0
; COMPUTE_PGM_RSRC2:USER_SGPR: 13
; COMPUTE_PGM_RSRC2:TRAP_HANDLER: 0
; COMPUTE_PGM_RSRC2:TGID_X_EN: 1
; COMPUTE_PGM_RSRC2:TGID_Y_EN: 1
; COMPUTE_PGM_RSRC2:TGID_Z_EN: 1
; COMPUTE_PGM_RSRC2:TIDIG_COMP_CNT: 0
	.section	.text._Z38paged_attention_ll4mi_QKV_mfma4_kernelIDF16_DF16_LN4vllm18Fp8KVCacheDataTypeE0EDF16_Li32ELi128ELi256ELb1ELi1EEvPKT_PKT0_S7_ifPKiS9_S9_iPKfiiiPfSC_PS2_PT2_iSB_SB_,"axG",@progbits,_Z38paged_attention_ll4mi_QKV_mfma4_kernelIDF16_DF16_LN4vllm18Fp8KVCacheDataTypeE0EDF16_Li32ELi128ELi256ELb1ELi1EEvPKT_PKT0_S7_ifPKiS9_S9_iPKfiiiPfSC_PS2_PT2_iSB_SB_,comdat
	.protected	_Z38paged_attention_ll4mi_QKV_mfma4_kernelIDF16_DF16_LN4vllm18Fp8KVCacheDataTypeE0EDF16_Li32ELi128ELi256ELb1ELi1EEvPKT_PKT0_S7_ifPKiS9_S9_iPKfiiiPfSC_PS2_PT2_iSB_SB_ ; -- Begin function _Z38paged_attention_ll4mi_QKV_mfma4_kernelIDF16_DF16_LN4vllm18Fp8KVCacheDataTypeE0EDF16_Li32ELi128ELi256ELb1ELi1EEvPKT_PKT0_S7_ifPKiS9_S9_iPKfiiiPfSC_PS2_PT2_iSB_SB_
	.globl	_Z38paged_attention_ll4mi_QKV_mfma4_kernelIDF16_DF16_LN4vllm18Fp8KVCacheDataTypeE0EDF16_Li32ELi128ELi256ELb1ELi1EEvPKT_PKT0_S7_ifPKiS9_S9_iPKfiiiPfSC_PS2_PT2_iSB_SB_
	.p2align	8
	.type	_Z38paged_attention_ll4mi_QKV_mfma4_kernelIDF16_DF16_LN4vllm18Fp8KVCacheDataTypeE0EDF16_Li32ELi128ELi256ELb1ELi1EEvPKT_PKT0_S7_ifPKiS9_S9_iPKfiiiPfSC_PS2_PT2_iSB_SB_,@function
_Z38paged_attention_ll4mi_QKV_mfma4_kernelIDF16_DF16_LN4vllm18Fp8KVCacheDataTypeE0EDF16_Li32ELi128ELi256ELb1ELi1EEvPKT_PKT0_S7_ifPKiS9_S9_iPKfiiiPfSC_PS2_PT2_iSB_SB_: ; @_Z38paged_attention_ll4mi_QKV_mfma4_kernelIDF16_DF16_LN4vllm18Fp8KVCacheDataTypeE0EDF16_Li32ELi128ELi256ELb1ELi1EEvPKT_PKT0_S7_ifPKiS9_S9_iPKfiiiPfSC_PS2_PT2_iSB_SB_
; %bb.0:
	s_add_u32 s8, s0, 0x90
	s_addc_u32 s9, s1, 0
	s_getpc_b64 s[0:1]
	s_add_u32 s0, s0, __PRETTY_FUNCTION__._Z38paged_attention_ll4mi_QKV_mfma4_kernelIDF16_DF16_LN4vllm18Fp8KVCacheDataTypeE0EDF16_Li32ELi128ELi256ELb1ELi1EEvPKT_PKT0_S7_ifPKiS9_S9_iPKfiiiPfSC_PS2_PT2_iSB_SB_@rel32@lo+4
	s_addc_u32 s1, s1, __PRETTY_FUNCTION__._Z38paged_attention_ll4mi_QKV_mfma4_kernelIDF16_DF16_LN4vllm18Fp8KVCacheDataTypeE0EDF16_Li32ELi128ELi256ELb1ELi1EEvPKT_PKT0_S7_ifPKiS9_S9_iPKfiiiPfSC_PS2_PT2_iSB_SB_@rel32@hi+12
	s_delay_alu instid0(SALU_CYCLE_1) | instskip(SKIP_4) | instid1(SALU_CYCLE_1)
	v_dual_mov_b32 v0, s0 :: v_dual_mov_b32 v1, s1
	s_mov_b32 s32, 0
	s_getpc_b64 s[2:3]
	s_add_u32 s2, s2, __assert_fail@rel32@lo+4
	s_addc_u32 s3, s3, __assert_fail@rel32@hi+12
	s_swappc_b64 s[30:31], s[2:3]
	.section	.rodata,"a",@progbits
	.p2align	6, 0x0
	.amdhsa_kernel _Z38paged_attention_ll4mi_QKV_mfma4_kernelIDF16_DF16_LN4vllm18Fp8KVCacheDataTypeE0EDF16_Li32ELi128ELi256ELb1ELi1EEvPKT_PKT0_S7_ifPKiS9_S9_iPKfiiiPfSC_PS2_PT2_iSB_SB_
		.amdhsa_group_segment_fixed_size 0
		.amdhsa_private_segment_fixed_size 64
		.amdhsa_kernarg_size 400
		.amdhsa_user_sgpr_count 15
		.amdhsa_user_sgpr_dispatch_ptr 0
		.amdhsa_user_sgpr_queue_ptr 0
		.amdhsa_user_sgpr_kernarg_segment_ptr 1
		.amdhsa_user_sgpr_dispatch_id 0
		.amdhsa_user_sgpr_private_segment_size 0
		.amdhsa_wavefront_size32 1
		.amdhsa_uses_dynamic_stack 0
		.amdhsa_enable_private_segment 1
		.amdhsa_system_sgpr_workgroup_id_x 1
		.amdhsa_system_sgpr_workgroup_id_y 0
		.amdhsa_system_sgpr_workgroup_id_z 0
		.amdhsa_system_sgpr_workgroup_info 0
		.amdhsa_system_vgpr_workitem_id 0
		.amdhsa_next_free_vgpr 41
		.amdhsa_next_free_sgpr 34
		.amdhsa_reserve_vcc 1
		.amdhsa_float_round_mode_32 0
		.amdhsa_float_round_mode_16_64 0
		.amdhsa_float_denorm_mode_32 3
		.amdhsa_float_denorm_mode_16_64 3
		.amdhsa_dx10_clamp 1
		.amdhsa_ieee_mode 1
		.amdhsa_fp16_overflow 0
		.amdhsa_workgroup_processor_mode 1
		.amdhsa_memory_ordered 1
		.amdhsa_forward_progress 0
		.amdhsa_shared_vgpr_count 0
		.amdhsa_exception_fp_ieee_invalid_op 0
		.amdhsa_exception_fp_denorm_src 0
		.amdhsa_exception_fp_ieee_div_zero 0
		.amdhsa_exception_fp_ieee_overflow 0
		.amdhsa_exception_fp_ieee_underflow 0
		.amdhsa_exception_fp_ieee_inexact 0
		.amdhsa_exception_int_div_zero 0
	.end_amdhsa_kernel
	.section	.text._Z38paged_attention_ll4mi_QKV_mfma4_kernelIDF16_DF16_LN4vllm18Fp8KVCacheDataTypeE0EDF16_Li32ELi128ELi256ELb1ELi1EEvPKT_PKT0_S7_ifPKiS9_S9_iPKfiiiPfSC_PS2_PT2_iSB_SB_,"axG",@progbits,_Z38paged_attention_ll4mi_QKV_mfma4_kernelIDF16_DF16_LN4vllm18Fp8KVCacheDataTypeE0EDF16_Li32ELi128ELi256ELb1ELi1EEvPKT_PKT0_S7_ifPKiS9_S9_iPKfiiiPfSC_PS2_PT2_iSB_SB_,comdat
.Lfunc_end346:
	.size	_Z38paged_attention_ll4mi_QKV_mfma4_kernelIDF16_DF16_LN4vllm18Fp8KVCacheDataTypeE0EDF16_Li32ELi128ELi256ELb1ELi1EEvPKT_PKT0_S7_ifPKiS9_S9_iPKfiiiPfSC_PS2_PT2_iSB_SB_, .Lfunc_end346-_Z38paged_attention_ll4mi_QKV_mfma4_kernelIDF16_DF16_LN4vllm18Fp8KVCacheDataTypeE0EDF16_Li32ELi128ELi256ELb1ELi1EEvPKT_PKT0_S7_ifPKiS9_S9_iPKfiiiPfSC_PS2_PT2_iSB_SB_
                                        ; -- End function
	.section	.AMDGPU.csdata,"",@progbits
; Kernel info:
; codeLenInByte = 72
; NumSgprs: 36
; NumVgprs: 41
; ScratchSize: 64
; MemoryBound: 0
; FloatMode: 240
; IeeeMode: 1
; LDSByteSize: 0 bytes/workgroup (compile time only)
; SGPRBlocks: 4
; VGPRBlocks: 5
; NumSGPRsForWavesPerEU: 36
; NumVGPRsForWavesPerEU: 41
; Occupancy: 16
; WaveLimiterHint : 1
; COMPUTE_PGM_RSRC2:SCRATCH_EN: 1
; COMPUTE_PGM_RSRC2:USER_SGPR: 15
; COMPUTE_PGM_RSRC2:TRAP_HANDLER: 0
; COMPUTE_PGM_RSRC2:TGID_X_EN: 1
; COMPUTE_PGM_RSRC2:TGID_Y_EN: 0
; COMPUTE_PGM_RSRC2:TGID_Z_EN: 0
; COMPUTE_PGM_RSRC2:TIDIG_COMP_CNT: 0
	.section	.text._Z38paged_attention_ll4mi_QKV_mfma4_kernelIDF16_DF16_LN4vllm18Fp8KVCacheDataTypeE0EDF16_Li32ELi128ELi256ELb1ELi2EEvPKT_PKT0_S7_ifPKiS9_S9_iPKfiiiPfSC_PS2_PT2_iSB_SB_,"axG",@progbits,_Z38paged_attention_ll4mi_QKV_mfma4_kernelIDF16_DF16_LN4vllm18Fp8KVCacheDataTypeE0EDF16_Li32ELi128ELi256ELb1ELi2EEvPKT_PKT0_S7_ifPKiS9_S9_iPKfiiiPfSC_PS2_PT2_iSB_SB_,comdat
	.protected	_Z38paged_attention_ll4mi_QKV_mfma4_kernelIDF16_DF16_LN4vllm18Fp8KVCacheDataTypeE0EDF16_Li32ELi128ELi256ELb1ELi2EEvPKT_PKT0_S7_ifPKiS9_S9_iPKfiiiPfSC_PS2_PT2_iSB_SB_ ; -- Begin function _Z38paged_attention_ll4mi_QKV_mfma4_kernelIDF16_DF16_LN4vllm18Fp8KVCacheDataTypeE0EDF16_Li32ELi128ELi256ELb1ELi2EEvPKT_PKT0_S7_ifPKiS9_S9_iPKfiiiPfSC_PS2_PT2_iSB_SB_
	.globl	_Z38paged_attention_ll4mi_QKV_mfma4_kernelIDF16_DF16_LN4vllm18Fp8KVCacheDataTypeE0EDF16_Li32ELi128ELi256ELb1ELi2EEvPKT_PKT0_S7_ifPKiS9_S9_iPKfiiiPfSC_PS2_PT2_iSB_SB_
	.p2align	8
	.type	_Z38paged_attention_ll4mi_QKV_mfma4_kernelIDF16_DF16_LN4vllm18Fp8KVCacheDataTypeE0EDF16_Li32ELi128ELi256ELb1ELi2EEvPKT_PKT0_S7_ifPKiS9_S9_iPKfiiiPfSC_PS2_PT2_iSB_SB_,@function
_Z38paged_attention_ll4mi_QKV_mfma4_kernelIDF16_DF16_LN4vllm18Fp8KVCacheDataTypeE0EDF16_Li32ELi128ELi256ELb1ELi2EEvPKT_PKT0_S7_ifPKiS9_S9_iPKfiiiPfSC_PS2_PT2_iSB_SB_: ; @_Z38paged_attention_ll4mi_QKV_mfma4_kernelIDF16_DF16_LN4vllm18Fp8KVCacheDataTypeE0EDF16_Li32ELi128ELi256ELb1ELi2EEvPKT_PKT0_S7_ifPKiS9_S9_iPKfiiiPfSC_PS2_PT2_iSB_SB_
; %bb.0:
	s_add_u32 s8, s0, 0x90
	s_addc_u32 s9, s1, 0
	s_getpc_b64 s[0:1]
	s_add_u32 s0, s0, __PRETTY_FUNCTION__._Z38paged_attention_ll4mi_QKV_mfma4_kernelIDF16_DF16_LN4vllm18Fp8KVCacheDataTypeE0EDF16_Li32ELi128ELi256ELb1ELi2EEvPKT_PKT0_S7_ifPKiS9_S9_iPKfiiiPfSC_PS2_PT2_iSB_SB_@rel32@lo+4
	s_addc_u32 s1, s1, __PRETTY_FUNCTION__._Z38paged_attention_ll4mi_QKV_mfma4_kernelIDF16_DF16_LN4vllm18Fp8KVCacheDataTypeE0EDF16_Li32ELi128ELi256ELb1ELi2EEvPKT_PKT0_S7_ifPKiS9_S9_iPKfiiiPfSC_PS2_PT2_iSB_SB_@rel32@hi+12
	s_delay_alu instid0(SALU_CYCLE_1) | instskip(SKIP_4) | instid1(SALU_CYCLE_1)
	v_dual_mov_b32 v0, s0 :: v_dual_mov_b32 v1, s1
	s_mov_b32 s32, 0
	s_getpc_b64 s[2:3]
	s_add_u32 s2, s2, __assert_fail@rel32@lo+4
	s_addc_u32 s3, s3, __assert_fail@rel32@hi+12
	s_swappc_b64 s[30:31], s[2:3]
	.section	.rodata,"a",@progbits
	.p2align	6, 0x0
	.amdhsa_kernel _Z38paged_attention_ll4mi_QKV_mfma4_kernelIDF16_DF16_LN4vllm18Fp8KVCacheDataTypeE0EDF16_Li32ELi128ELi256ELb1ELi2EEvPKT_PKT0_S7_ifPKiS9_S9_iPKfiiiPfSC_PS2_PT2_iSB_SB_
		.amdhsa_group_segment_fixed_size 0
		.amdhsa_private_segment_fixed_size 64
		.amdhsa_kernarg_size 400
		.amdhsa_user_sgpr_count 15
		.amdhsa_user_sgpr_dispatch_ptr 0
		.amdhsa_user_sgpr_queue_ptr 0
		.amdhsa_user_sgpr_kernarg_segment_ptr 1
		.amdhsa_user_sgpr_dispatch_id 0
		.amdhsa_user_sgpr_private_segment_size 0
		.amdhsa_wavefront_size32 1
		.amdhsa_uses_dynamic_stack 0
		.amdhsa_enable_private_segment 1
		.amdhsa_system_sgpr_workgroup_id_x 1
		.amdhsa_system_sgpr_workgroup_id_y 0
		.amdhsa_system_sgpr_workgroup_id_z 0
		.amdhsa_system_sgpr_workgroup_info 0
		.amdhsa_system_vgpr_workitem_id 0
		.amdhsa_next_free_vgpr 41
		.amdhsa_next_free_sgpr 34
		.amdhsa_reserve_vcc 1
		.amdhsa_float_round_mode_32 0
		.amdhsa_float_round_mode_16_64 0
		.amdhsa_float_denorm_mode_32 3
		.amdhsa_float_denorm_mode_16_64 3
		.amdhsa_dx10_clamp 1
		.amdhsa_ieee_mode 1
		.amdhsa_fp16_overflow 0
		.amdhsa_workgroup_processor_mode 1
		.amdhsa_memory_ordered 1
		.amdhsa_forward_progress 0
		.amdhsa_shared_vgpr_count 0
		.amdhsa_exception_fp_ieee_invalid_op 0
		.amdhsa_exception_fp_denorm_src 0
		.amdhsa_exception_fp_ieee_div_zero 0
		.amdhsa_exception_fp_ieee_overflow 0
		.amdhsa_exception_fp_ieee_underflow 0
		.amdhsa_exception_fp_ieee_inexact 0
		.amdhsa_exception_int_div_zero 0
	.end_amdhsa_kernel
	.section	.text._Z38paged_attention_ll4mi_QKV_mfma4_kernelIDF16_DF16_LN4vllm18Fp8KVCacheDataTypeE0EDF16_Li32ELi128ELi256ELb1ELi2EEvPKT_PKT0_S7_ifPKiS9_S9_iPKfiiiPfSC_PS2_PT2_iSB_SB_,"axG",@progbits,_Z38paged_attention_ll4mi_QKV_mfma4_kernelIDF16_DF16_LN4vllm18Fp8KVCacheDataTypeE0EDF16_Li32ELi128ELi256ELb1ELi2EEvPKT_PKT0_S7_ifPKiS9_S9_iPKfiiiPfSC_PS2_PT2_iSB_SB_,comdat
.Lfunc_end347:
	.size	_Z38paged_attention_ll4mi_QKV_mfma4_kernelIDF16_DF16_LN4vllm18Fp8KVCacheDataTypeE0EDF16_Li32ELi128ELi256ELb1ELi2EEvPKT_PKT0_S7_ifPKiS9_S9_iPKfiiiPfSC_PS2_PT2_iSB_SB_, .Lfunc_end347-_Z38paged_attention_ll4mi_QKV_mfma4_kernelIDF16_DF16_LN4vllm18Fp8KVCacheDataTypeE0EDF16_Li32ELi128ELi256ELb1ELi2EEvPKT_PKT0_S7_ifPKiS9_S9_iPKfiiiPfSC_PS2_PT2_iSB_SB_
                                        ; -- End function
	.section	.AMDGPU.csdata,"",@progbits
; Kernel info:
; codeLenInByte = 72
; NumSgprs: 36
; NumVgprs: 41
; ScratchSize: 64
; MemoryBound: 0
; FloatMode: 240
; IeeeMode: 1
; LDSByteSize: 0 bytes/workgroup (compile time only)
; SGPRBlocks: 4
; VGPRBlocks: 5
; NumSGPRsForWavesPerEU: 36
; NumVGPRsForWavesPerEU: 41
; Occupancy: 16
; WaveLimiterHint : 1
; COMPUTE_PGM_RSRC2:SCRATCH_EN: 1
; COMPUTE_PGM_RSRC2:USER_SGPR: 15
; COMPUTE_PGM_RSRC2:TRAP_HANDLER: 0
; COMPUTE_PGM_RSRC2:TGID_X_EN: 1
; COMPUTE_PGM_RSRC2:TGID_Y_EN: 0
; COMPUTE_PGM_RSRC2:TGID_Z_EN: 0
; COMPUTE_PGM_RSRC2:TIDIG_COMP_CNT: 0
	.section	.text._Z38paged_attention_ll4mi_QKV_mfma4_kernelIDF16_DF16_LN4vllm18Fp8KVCacheDataTypeE0EDF16_Li32ELi128ELi256ELb1ELi3EEvPKT_PKT0_S7_ifPKiS9_S9_iPKfiiiPfSC_PS2_PT2_iSB_SB_,"axG",@progbits,_Z38paged_attention_ll4mi_QKV_mfma4_kernelIDF16_DF16_LN4vllm18Fp8KVCacheDataTypeE0EDF16_Li32ELi128ELi256ELb1ELi3EEvPKT_PKT0_S7_ifPKiS9_S9_iPKfiiiPfSC_PS2_PT2_iSB_SB_,comdat
	.protected	_Z38paged_attention_ll4mi_QKV_mfma4_kernelIDF16_DF16_LN4vllm18Fp8KVCacheDataTypeE0EDF16_Li32ELi128ELi256ELb1ELi3EEvPKT_PKT0_S7_ifPKiS9_S9_iPKfiiiPfSC_PS2_PT2_iSB_SB_ ; -- Begin function _Z38paged_attention_ll4mi_QKV_mfma4_kernelIDF16_DF16_LN4vllm18Fp8KVCacheDataTypeE0EDF16_Li32ELi128ELi256ELb1ELi3EEvPKT_PKT0_S7_ifPKiS9_S9_iPKfiiiPfSC_PS2_PT2_iSB_SB_
	.globl	_Z38paged_attention_ll4mi_QKV_mfma4_kernelIDF16_DF16_LN4vllm18Fp8KVCacheDataTypeE0EDF16_Li32ELi128ELi256ELb1ELi3EEvPKT_PKT0_S7_ifPKiS9_S9_iPKfiiiPfSC_PS2_PT2_iSB_SB_
	.p2align	8
	.type	_Z38paged_attention_ll4mi_QKV_mfma4_kernelIDF16_DF16_LN4vllm18Fp8KVCacheDataTypeE0EDF16_Li32ELi128ELi256ELb1ELi3EEvPKT_PKT0_S7_ifPKiS9_S9_iPKfiiiPfSC_PS2_PT2_iSB_SB_,@function
_Z38paged_attention_ll4mi_QKV_mfma4_kernelIDF16_DF16_LN4vllm18Fp8KVCacheDataTypeE0EDF16_Li32ELi128ELi256ELb1ELi3EEvPKT_PKT0_S7_ifPKiS9_S9_iPKfiiiPfSC_PS2_PT2_iSB_SB_: ; @_Z38paged_attention_ll4mi_QKV_mfma4_kernelIDF16_DF16_LN4vllm18Fp8KVCacheDataTypeE0EDF16_Li32ELi128ELi256ELb1ELi3EEvPKT_PKT0_S7_ifPKiS9_S9_iPKfiiiPfSC_PS2_PT2_iSB_SB_
; %bb.0:
	s_add_u32 s8, s0, 0x90
	s_addc_u32 s9, s1, 0
	s_getpc_b64 s[0:1]
	s_add_u32 s0, s0, __PRETTY_FUNCTION__._Z38paged_attention_ll4mi_QKV_mfma4_kernelIDF16_DF16_LN4vllm18Fp8KVCacheDataTypeE0EDF16_Li32ELi128ELi256ELb1ELi3EEvPKT_PKT0_S7_ifPKiS9_S9_iPKfiiiPfSC_PS2_PT2_iSB_SB_@rel32@lo+4
	s_addc_u32 s1, s1, __PRETTY_FUNCTION__._Z38paged_attention_ll4mi_QKV_mfma4_kernelIDF16_DF16_LN4vllm18Fp8KVCacheDataTypeE0EDF16_Li32ELi128ELi256ELb1ELi3EEvPKT_PKT0_S7_ifPKiS9_S9_iPKfiiiPfSC_PS2_PT2_iSB_SB_@rel32@hi+12
	s_delay_alu instid0(SALU_CYCLE_1) | instskip(SKIP_4) | instid1(SALU_CYCLE_1)
	v_dual_mov_b32 v0, s0 :: v_dual_mov_b32 v1, s1
	s_mov_b32 s32, 0
	s_getpc_b64 s[2:3]
	s_add_u32 s2, s2, __assert_fail@rel32@lo+4
	s_addc_u32 s3, s3, __assert_fail@rel32@hi+12
	s_swappc_b64 s[30:31], s[2:3]
	.section	.rodata,"a",@progbits
	.p2align	6, 0x0
	.amdhsa_kernel _Z38paged_attention_ll4mi_QKV_mfma4_kernelIDF16_DF16_LN4vllm18Fp8KVCacheDataTypeE0EDF16_Li32ELi128ELi256ELb1ELi3EEvPKT_PKT0_S7_ifPKiS9_S9_iPKfiiiPfSC_PS2_PT2_iSB_SB_
		.amdhsa_group_segment_fixed_size 0
		.amdhsa_private_segment_fixed_size 64
		.amdhsa_kernarg_size 400
		.amdhsa_user_sgpr_count 15
		.amdhsa_user_sgpr_dispatch_ptr 0
		.amdhsa_user_sgpr_queue_ptr 0
		.amdhsa_user_sgpr_kernarg_segment_ptr 1
		.amdhsa_user_sgpr_dispatch_id 0
		.amdhsa_user_sgpr_private_segment_size 0
		.amdhsa_wavefront_size32 1
		.amdhsa_uses_dynamic_stack 0
		.amdhsa_enable_private_segment 1
		.amdhsa_system_sgpr_workgroup_id_x 1
		.amdhsa_system_sgpr_workgroup_id_y 0
		.amdhsa_system_sgpr_workgroup_id_z 0
		.amdhsa_system_sgpr_workgroup_info 0
		.amdhsa_system_vgpr_workitem_id 0
		.amdhsa_next_free_vgpr 41
		.amdhsa_next_free_sgpr 34
		.amdhsa_reserve_vcc 1
		.amdhsa_float_round_mode_32 0
		.amdhsa_float_round_mode_16_64 0
		.amdhsa_float_denorm_mode_32 3
		.amdhsa_float_denorm_mode_16_64 3
		.amdhsa_dx10_clamp 1
		.amdhsa_ieee_mode 1
		.amdhsa_fp16_overflow 0
		.amdhsa_workgroup_processor_mode 1
		.amdhsa_memory_ordered 1
		.amdhsa_forward_progress 0
		.amdhsa_shared_vgpr_count 0
		.amdhsa_exception_fp_ieee_invalid_op 0
		.amdhsa_exception_fp_denorm_src 0
		.amdhsa_exception_fp_ieee_div_zero 0
		.amdhsa_exception_fp_ieee_overflow 0
		.amdhsa_exception_fp_ieee_underflow 0
		.amdhsa_exception_fp_ieee_inexact 0
		.amdhsa_exception_int_div_zero 0
	.end_amdhsa_kernel
	.section	.text._Z38paged_attention_ll4mi_QKV_mfma4_kernelIDF16_DF16_LN4vllm18Fp8KVCacheDataTypeE0EDF16_Li32ELi128ELi256ELb1ELi3EEvPKT_PKT0_S7_ifPKiS9_S9_iPKfiiiPfSC_PS2_PT2_iSB_SB_,"axG",@progbits,_Z38paged_attention_ll4mi_QKV_mfma4_kernelIDF16_DF16_LN4vllm18Fp8KVCacheDataTypeE0EDF16_Li32ELi128ELi256ELb1ELi3EEvPKT_PKT0_S7_ifPKiS9_S9_iPKfiiiPfSC_PS2_PT2_iSB_SB_,comdat
.Lfunc_end348:
	.size	_Z38paged_attention_ll4mi_QKV_mfma4_kernelIDF16_DF16_LN4vllm18Fp8KVCacheDataTypeE0EDF16_Li32ELi128ELi256ELb1ELi3EEvPKT_PKT0_S7_ifPKiS9_S9_iPKfiiiPfSC_PS2_PT2_iSB_SB_, .Lfunc_end348-_Z38paged_attention_ll4mi_QKV_mfma4_kernelIDF16_DF16_LN4vllm18Fp8KVCacheDataTypeE0EDF16_Li32ELi128ELi256ELb1ELi3EEvPKT_PKT0_S7_ifPKiS9_S9_iPKfiiiPfSC_PS2_PT2_iSB_SB_
                                        ; -- End function
	.section	.AMDGPU.csdata,"",@progbits
; Kernel info:
; codeLenInByte = 72
; NumSgprs: 36
; NumVgprs: 41
; ScratchSize: 64
; MemoryBound: 0
; FloatMode: 240
; IeeeMode: 1
; LDSByteSize: 0 bytes/workgroup (compile time only)
; SGPRBlocks: 4
; VGPRBlocks: 5
; NumSGPRsForWavesPerEU: 36
; NumVGPRsForWavesPerEU: 41
; Occupancy: 16
; WaveLimiterHint : 1
; COMPUTE_PGM_RSRC2:SCRATCH_EN: 1
; COMPUTE_PGM_RSRC2:USER_SGPR: 15
; COMPUTE_PGM_RSRC2:TRAP_HANDLER: 0
; COMPUTE_PGM_RSRC2:TGID_X_EN: 1
; COMPUTE_PGM_RSRC2:TGID_Y_EN: 0
; COMPUTE_PGM_RSRC2:TGID_Z_EN: 0
; COMPUTE_PGM_RSRC2:TIDIG_COMP_CNT: 0
	.section	.text._Z38paged_attention_ll4mi_QKV_mfma4_kernelIDF16_DF16_LN4vllm18Fp8KVCacheDataTypeE0EDF16_Li32ELi128ELi256ELb1ELi4EEvPKT_PKT0_S7_ifPKiS9_S9_iPKfiiiPfSC_PS2_PT2_iSB_SB_,"axG",@progbits,_Z38paged_attention_ll4mi_QKV_mfma4_kernelIDF16_DF16_LN4vllm18Fp8KVCacheDataTypeE0EDF16_Li32ELi128ELi256ELb1ELi4EEvPKT_PKT0_S7_ifPKiS9_S9_iPKfiiiPfSC_PS2_PT2_iSB_SB_,comdat
	.protected	_Z38paged_attention_ll4mi_QKV_mfma4_kernelIDF16_DF16_LN4vllm18Fp8KVCacheDataTypeE0EDF16_Li32ELi128ELi256ELb1ELi4EEvPKT_PKT0_S7_ifPKiS9_S9_iPKfiiiPfSC_PS2_PT2_iSB_SB_ ; -- Begin function _Z38paged_attention_ll4mi_QKV_mfma4_kernelIDF16_DF16_LN4vllm18Fp8KVCacheDataTypeE0EDF16_Li32ELi128ELi256ELb1ELi4EEvPKT_PKT0_S7_ifPKiS9_S9_iPKfiiiPfSC_PS2_PT2_iSB_SB_
	.globl	_Z38paged_attention_ll4mi_QKV_mfma4_kernelIDF16_DF16_LN4vllm18Fp8KVCacheDataTypeE0EDF16_Li32ELi128ELi256ELb1ELi4EEvPKT_PKT0_S7_ifPKiS9_S9_iPKfiiiPfSC_PS2_PT2_iSB_SB_
	.p2align	8
	.type	_Z38paged_attention_ll4mi_QKV_mfma4_kernelIDF16_DF16_LN4vllm18Fp8KVCacheDataTypeE0EDF16_Li32ELi128ELi256ELb1ELi4EEvPKT_PKT0_S7_ifPKiS9_S9_iPKfiiiPfSC_PS2_PT2_iSB_SB_,@function
_Z38paged_attention_ll4mi_QKV_mfma4_kernelIDF16_DF16_LN4vllm18Fp8KVCacheDataTypeE0EDF16_Li32ELi128ELi256ELb1ELi4EEvPKT_PKT0_S7_ifPKiS9_S9_iPKfiiiPfSC_PS2_PT2_iSB_SB_: ; @_Z38paged_attention_ll4mi_QKV_mfma4_kernelIDF16_DF16_LN4vllm18Fp8KVCacheDataTypeE0EDF16_Li32ELi128ELi256ELb1ELi4EEvPKT_PKT0_S7_ifPKiS9_S9_iPKfiiiPfSC_PS2_PT2_iSB_SB_
; %bb.0:
	s_add_u32 s8, s0, 0x90
	s_addc_u32 s9, s1, 0
	s_getpc_b64 s[0:1]
	s_add_u32 s0, s0, __PRETTY_FUNCTION__._Z38paged_attention_ll4mi_QKV_mfma4_kernelIDF16_DF16_LN4vllm18Fp8KVCacheDataTypeE0EDF16_Li32ELi128ELi256ELb1ELi4EEvPKT_PKT0_S7_ifPKiS9_S9_iPKfiiiPfSC_PS2_PT2_iSB_SB_@rel32@lo+4
	s_addc_u32 s1, s1, __PRETTY_FUNCTION__._Z38paged_attention_ll4mi_QKV_mfma4_kernelIDF16_DF16_LN4vllm18Fp8KVCacheDataTypeE0EDF16_Li32ELi128ELi256ELb1ELi4EEvPKT_PKT0_S7_ifPKiS9_S9_iPKfiiiPfSC_PS2_PT2_iSB_SB_@rel32@hi+12
	s_delay_alu instid0(SALU_CYCLE_1) | instskip(SKIP_4) | instid1(SALU_CYCLE_1)
	v_dual_mov_b32 v0, s0 :: v_dual_mov_b32 v1, s1
	s_mov_b32 s32, 0
	s_getpc_b64 s[2:3]
	s_add_u32 s2, s2, __assert_fail@rel32@lo+4
	s_addc_u32 s3, s3, __assert_fail@rel32@hi+12
	s_swappc_b64 s[30:31], s[2:3]
	.section	.rodata,"a",@progbits
	.p2align	6, 0x0
	.amdhsa_kernel _Z38paged_attention_ll4mi_QKV_mfma4_kernelIDF16_DF16_LN4vllm18Fp8KVCacheDataTypeE0EDF16_Li32ELi128ELi256ELb1ELi4EEvPKT_PKT0_S7_ifPKiS9_S9_iPKfiiiPfSC_PS2_PT2_iSB_SB_
		.amdhsa_group_segment_fixed_size 0
		.amdhsa_private_segment_fixed_size 64
		.amdhsa_kernarg_size 400
		.amdhsa_user_sgpr_count 15
		.amdhsa_user_sgpr_dispatch_ptr 0
		.amdhsa_user_sgpr_queue_ptr 0
		.amdhsa_user_sgpr_kernarg_segment_ptr 1
		.amdhsa_user_sgpr_dispatch_id 0
		.amdhsa_user_sgpr_private_segment_size 0
		.amdhsa_wavefront_size32 1
		.amdhsa_uses_dynamic_stack 0
		.amdhsa_enable_private_segment 1
		.amdhsa_system_sgpr_workgroup_id_x 1
		.amdhsa_system_sgpr_workgroup_id_y 0
		.amdhsa_system_sgpr_workgroup_id_z 0
		.amdhsa_system_sgpr_workgroup_info 0
		.amdhsa_system_vgpr_workitem_id 0
		.amdhsa_next_free_vgpr 41
		.amdhsa_next_free_sgpr 34
		.amdhsa_reserve_vcc 1
		.amdhsa_float_round_mode_32 0
		.amdhsa_float_round_mode_16_64 0
		.amdhsa_float_denorm_mode_32 3
		.amdhsa_float_denorm_mode_16_64 3
		.amdhsa_dx10_clamp 1
		.amdhsa_ieee_mode 1
		.amdhsa_fp16_overflow 0
		.amdhsa_workgroup_processor_mode 1
		.amdhsa_memory_ordered 1
		.amdhsa_forward_progress 0
		.amdhsa_shared_vgpr_count 0
		.amdhsa_exception_fp_ieee_invalid_op 0
		.amdhsa_exception_fp_denorm_src 0
		.amdhsa_exception_fp_ieee_div_zero 0
		.amdhsa_exception_fp_ieee_overflow 0
		.amdhsa_exception_fp_ieee_underflow 0
		.amdhsa_exception_fp_ieee_inexact 0
		.amdhsa_exception_int_div_zero 0
	.end_amdhsa_kernel
	.section	.text._Z38paged_attention_ll4mi_QKV_mfma4_kernelIDF16_DF16_LN4vllm18Fp8KVCacheDataTypeE0EDF16_Li32ELi128ELi256ELb1ELi4EEvPKT_PKT0_S7_ifPKiS9_S9_iPKfiiiPfSC_PS2_PT2_iSB_SB_,"axG",@progbits,_Z38paged_attention_ll4mi_QKV_mfma4_kernelIDF16_DF16_LN4vllm18Fp8KVCacheDataTypeE0EDF16_Li32ELi128ELi256ELb1ELi4EEvPKT_PKT0_S7_ifPKiS9_S9_iPKfiiiPfSC_PS2_PT2_iSB_SB_,comdat
.Lfunc_end349:
	.size	_Z38paged_attention_ll4mi_QKV_mfma4_kernelIDF16_DF16_LN4vllm18Fp8KVCacheDataTypeE0EDF16_Li32ELi128ELi256ELb1ELi4EEvPKT_PKT0_S7_ifPKiS9_S9_iPKfiiiPfSC_PS2_PT2_iSB_SB_, .Lfunc_end349-_Z38paged_attention_ll4mi_QKV_mfma4_kernelIDF16_DF16_LN4vllm18Fp8KVCacheDataTypeE0EDF16_Li32ELi128ELi256ELb1ELi4EEvPKT_PKT0_S7_ifPKiS9_S9_iPKfiiiPfSC_PS2_PT2_iSB_SB_
                                        ; -- End function
	.section	.AMDGPU.csdata,"",@progbits
; Kernel info:
; codeLenInByte = 72
; NumSgprs: 36
; NumVgprs: 41
; ScratchSize: 64
; MemoryBound: 0
; FloatMode: 240
; IeeeMode: 1
; LDSByteSize: 0 bytes/workgroup (compile time only)
; SGPRBlocks: 4
; VGPRBlocks: 5
; NumSGPRsForWavesPerEU: 36
; NumVGPRsForWavesPerEU: 41
; Occupancy: 16
; WaveLimiterHint : 1
; COMPUTE_PGM_RSRC2:SCRATCH_EN: 1
; COMPUTE_PGM_RSRC2:USER_SGPR: 15
; COMPUTE_PGM_RSRC2:TRAP_HANDLER: 0
; COMPUTE_PGM_RSRC2:TGID_X_EN: 1
; COMPUTE_PGM_RSRC2:TGID_Y_EN: 0
; COMPUTE_PGM_RSRC2:TGID_Z_EN: 0
; COMPUTE_PGM_RSRC2:TIDIG_COMP_CNT: 0
	.section	.text._Z39paged_attention_ll4mi_QKV_mfma16_kernelIDF16_DF16_LN4vllm18Fp8KVCacheDataTypeE0EDF16_Li32ELi128ELi256ELb1ELi5EL8MFMAType0EEvPKT_PKT0_S8_ifPKiSA_SA_iPKfiiiPfSD_PS3_PT2_iSC_SC_,"axG",@progbits,_Z39paged_attention_ll4mi_QKV_mfma16_kernelIDF16_DF16_LN4vllm18Fp8KVCacheDataTypeE0EDF16_Li32ELi128ELi256ELb1ELi5EL8MFMAType0EEvPKT_PKT0_S8_ifPKiSA_SA_iPKfiiiPfSD_PS3_PT2_iSC_SC_,comdat
	.protected	_Z39paged_attention_ll4mi_QKV_mfma16_kernelIDF16_DF16_LN4vllm18Fp8KVCacheDataTypeE0EDF16_Li32ELi128ELi256ELb1ELi5EL8MFMAType0EEvPKT_PKT0_S8_ifPKiSA_SA_iPKfiiiPfSD_PS3_PT2_iSC_SC_ ; -- Begin function _Z39paged_attention_ll4mi_QKV_mfma16_kernelIDF16_DF16_LN4vllm18Fp8KVCacheDataTypeE0EDF16_Li32ELi128ELi256ELb1ELi5EL8MFMAType0EEvPKT_PKT0_S8_ifPKiSA_SA_iPKfiiiPfSD_PS3_PT2_iSC_SC_
	.globl	_Z39paged_attention_ll4mi_QKV_mfma16_kernelIDF16_DF16_LN4vllm18Fp8KVCacheDataTypeE0EDF16_Li32ELi128ELi256ELb1ELi5EL8MFMAType0EEvPKT_PKT0_S8_ifPKiSA_SA_iPKfiiiPfSD_PS3_PT2_iSC_SC_
	.p2align	8
	.type	_Z39paged_attention_ll4mi_QKV_mfma16_kernelIDF16_DF16_LN4vllm18Fp8KVCacheDataTypeE0EDF16_Li32ELi128ELi256ELb1ELi5EL8MFMAType0EEvPKT_PKT0_S8_ifPKiSA_SA_iPKfiiiPfSD_PS3_PT2_iSC_SC_,@function
_Z39paged_attention_ll4mi_QKV_mfma16_kernelIDF16_DF16_LN4vllm18Fp8KVCacheDataTypeE0EDF16_Li32ELi128ELi256ELb1ELi5EL8MFMAType0EEvPKT_PKT0_S8_ifPKiSA_SA_iPKfiiiPfSD_PS3_PT2_iSC_SC_: ; @_Z39paged_attention_ll4mi_QKV_mfma16_kernelIDF16_DF16_LN4vllm18Fp8KVCacheDataTypeE0EDF16_Li32ELi128ELi256ELb1ELi5EL8MFMAType0EEvPKT_PKT0_S8_ifPKiSA_SA_iPKfiiiPfSD_PS3_PT2_iSC_SC_
; %bb.0:
	s_load_b64 s[2:3], s[0:1], 0x30
	s_mov_b32 s34, s13
	s_waitcnt lgkmcnt(0)
	s_cmp_lg_u64 s[2:3], 0
	s_cselect_b32 s6, -1, 0
	s_ashr_i32 s35, s13, 31
	s_cmp_eq_u64 s[2:3], 0
	s_cbranch_scc1 .LBB350_3
; %bb.1:
	s_lshl_b64 s[4:5], s[34:35], 2
	s_delay_alu instid0(SALU_CYCLE_1) | instskip(SKIP_4) | instid1(SALU_CYCLE_1)
	s_add_u32 s4, s2, s4
	s_addc_u32 s5, s3, s5
	s_load_b64 s[4:5], s[4:5], 0x0
	s_waitcnt lgkmcnt(0)
	s_sub_i32 s4, s5, s4
	s_cmp_eq_u32 s4, 1
	s_cselect_b32 s4, -1, 0
	s_delay_alu instid0(SALU_CYCLE_1)
	s_and_not1_b32 vcc_lo, exec_lo, s4
	s_cbranch_vccz .LBB350_4
.LBB350_2:
	s_nop 0
	s_sendmsg sendmsg(MSG_DEALLOC_VGPRS)
	s_endpgm
.LBB350_3:
.LBB350_4:
	s_load_b64 s[8:9], s[0:1], 0x28
	s_lshl_b64 s[4:5], s[34:35], 2
	s_waitcnt lgkmcnt(0)
	s_add_u32 s8, s8, s4
	s_addc_u32 s9, s9, s5
	s_lshl_b32 s12, s14, 8
	s_load_b32 s17, s[8:9], 0x0
	s_waitcnt lgkmcnt(0)
	s_cmp_ge_i32 s12, s17
	s_cbranch_scc1 .LBB350_2
; %bb.5:
	s_and_not1_b32 vcc_lo, exec_lo, s6
	s_cbranch_vccnz .LBB350_7
; %bb.6:
	s_add_u32 s2, s2, s4
	s_addc_u32 s3, s3, s5
	s_load_b32 s13, s[2:3], 0x0
	s_branch .LBB350_8
.LBB350_7:
	s_mov_b32 s13, s34
.LBB350_8:
	s_clause 0x2
	s_load_b128 s[8:11], s[0:1], 0x8
	s_load_b64 s[2:3], s[0:1], 0x20
	s_load_b128 s[4:7], s[0:1], 0x48
	v_lshrrev_b32_e32 v78, 5, v0
	v_bfe_u32 v75, v0, 4, 1
	v_and_b32_e32 v77, 15, v0
	s_waitcnt lgkmcnt(0)
	s_mov_b32 s7, exec_lo
	s_delay_alu instid0(VALU_DEP_2) | instskip(NEXT) | instid1(VALU_DEP_2)
	v_lshl_or_b32 v3, v78, 1, v75
	v_lshlrev_b32_e32 v1, 3, v77
	s_delay_alu instid0(VALU_DEP_2)
	v_cmpx_lt_u32_e32 4, v3
	s_xor_b32 s7, exec_lo, s7
; %bb.9:
	v_mov_b32_e32 v2, 0
                                        ; implicit-def: $vgpr3
; %bb.10:
	s_or_saveexec_b32 s7, s7
	v_and_b32_e32 v80, 31, v0
	v_and_b32_e32 v76, 1, v0
	s_mul_i32 s31, s15, 5
	s_xor_b32 exec_lo, exec_lo, s7
	s_cbranch_execz .LBB350_12
; %bb.11:
	s_load_b64 s[18:19], s[0:1], 0x0
	v_add_lshl_u32 v4, v3, s31, 7
	s_mul_hi_i32 s21, s13, s4
	s_mul_i32 s20, s13, s4
	v_lshlrev_b32_e32 v2, 1, v1
	s_lshl_b64 s[20:21], s[20:21], 1
	v_ashrrev_i32_e32 v5, 31, v4
	v_lshlrev_b32_e32 v3, 6, v3
	v_lshlrev_b32_e32 v8, 10, v76
	s_delay_alu instid0(VALU_DEP_3) | instskip(SKIP_3) | instid1(VALU_DEP_1)
	v_lshlrev_b64 v[4:5], 1, v[4:5]
	s_waitcnt lgkmcnt(0)
	s_add_u32 s4, s18, s20
	s_addc_u32 s13, s19, s21
	v_add_co_u32 v4, vcc_lo, s4, v4
	s_delay_alu instid0(VALU_DEP_2) | instskip(NEXT) | instid1(VALU_DEP_2)
	v_add_co_ci_u32_e32 v5, vcc_lo, s13, v5, vcc_lo
	v_add_co_u32 v4, vcc_lo, v4, v2
	s_delay_alu instid0(VALU_DEP_2) | instskip(SKIP_3) | instid1(VALU_DEP_1)
	v_add_co_ci_u32_e32 v5, vcc_lo, 0, v5, vcc_lo
	v_lshlrev_b32_e32 v2, 10, v77
	global_load_b128 v[4:7], v[4:5], off
	v_and_b32_e32 v2, 0x3800, v2
	v_or3_b32 v3, v2, v8, v3
	v_mov_b32_e32 v2, 0
	s_waitcnt vmcnt(0)
	ds_store_b128 v3, v[4:7]
.LBB350_12:
	s_or_b32 exec_lo, exec_lo, s7
	v_and_b32_e32 v3, 0xef, v0
	s_add_i32 s4, s17, 31
	s_clause 0x1
	s_load_b32 s7, s[0:1], 0x38
	s_load_b32 s33, s[0:1], 0x98
	s_ashr_i32 s13, s4, 31
	v_add_nc_u32_e32 v3, s12, v3
	s_lshr_b32 s13, s13, 27
	s_load_b32 s18, s[0:1], 0x1c
	s_add_i32 s4, s4, s13
	s_waitcnt lgkmcnt(0)
	v_ashrrev_i32_e32 v4, 31, v3
	v_cmp_gt_i32_e32 vcc_lo, s17, v3
	s_ashr_i32 s4, s4, 5
	s_barrier
	s_add_i32 s4, s4, -1
	v_lshrrev_b32_e32 v5, 27, v4
	v_or_b32_e32 v4, 16, v3
	buffer_gl0_inv
	v_lshlrev_b64 v[73:74], 1, v[1:2]
	v_lshlrev_b32_e32 v79, 6, v77
	v_add_nc_u32_e32 v6, v3, v5
	v_add_nc_u32_e32 v5, v4, v5
	s_mul_i32 s20, s34, s7
	s_delay_alu instid0(SALU_CYCLE_1) | instskip(NEXT) | instid1(VALU_DEP_2)
	s_ashr_i32 s21, s20, 31
	v_ashrrev_i32_e32 v6, 5, v6
	s_delay_alu instid0(VALU_DEP_2) | instskip(SKIP_1) | instid1(SALU_CYCLE_1)
	v_ashrrev_i32_e32 v5, 5, v5
	s_lshl_b64 s[20:21], s[20:21], 2
	s_add_u32 s13, s2, s20
	s_delay_alu instid0(VALU_DEP_2) | instskip(SKIP_3) | instid1(SALU_CYCLE_1)
	v_cndmask_b32_e32 v3, s4, v6, vcc_lo
	v_cmp_gt_i32_e32 vcc_lo, s17, v4
	s_addc_u32 s16, s3, s21
	s_mul_i32 s2, s15, s6
	s_ashr_i32 s3, s2, 31
	v_cndmask_b32_e32 v5, s4, v5, vcc_lo
	v_ashrrev_i32_e32 v4, 31, v3
	s_lshl_b64 s[2:3], s[2:3], 1
	s_delay_alu instid0(SALU_CYCLE_1) | instskip(NEXT) | instid1(VALU_DEP_2)
	s_add_u32 s15, s8, s2
	v_ashrrev_i32_e32 v6, 31, v5
	s_delay_alu instid0(VALU_DEP_2) | instskip(SKIP_2) | instid1(VALU_DEP_2)
	v_lshlrev_b64 v[3:4], 2, v[3:4]
	s_addc_u32 s19, s9, s3
	s_lshl_b32 s6, s14, 3
	v_lshlrev_b64 v[5:6], 2, v[5:6]
	s_ashr_i32 s7, s6, 31
	s_delay_alu instid0(VALU_DEP_2) | instskip(SKIP_1) | instid1(VALU_DEP_3)
	v_add_co_u32 v3, vcc_lo, s13, v3
	v_add_co_ci_u32_e32 v4, vcc_lo, s16, v4, vcc_lo
	v_add_co_u32 v5, vcc_lo, s13, v5
	s_delay_alu instid0(VALU_DEP_4)
	v_add_co_ci_u32_e32 v6, vcc_lo, s16, v6, vcc_lo
	s_lshl_b64 s[6:7], s[6:7], 2
	s_clause 0x1
	global_load_b32 v7, v[3:4], off
	global_load_b32 v8, v[5:6], off
	s_add_u32 s6, s13, s6
	s_addc_u32 s7, s16, s7
	s_or_b32 s8, s12, 32
	s_delay_alu instid0(SALU_CYCLE_1) | instskip(SKIP_2) | instid1(SALU_CYCLE_1)
	s_ashr_i32 s9, s8, 5
	s_cmp_lt_i32 s8, s17
	s_cselect_b32 s8, s9, s4
	s_ashr_i32 s9, s8, 31
	s_delay_alu instid0(SALU_CYCLE_1) | instskip(NEXT) | instid1(SALU_CYCLE_1)
	s_lshl_b64 s[8:9], s[8:9], 2
	s_add_u32 s8, s13, s8
	s_addc_u32 s9, s16, s9
	s_or_b32 s20, s12, 64
	s_delay_alu instid0(SALU_CYCLE_1) | instskip(SKIP_2) | instid1(SALU_CYCLE_1)
	s_ashr_i32 s21, s20, 5
	s_cmp_lt_i32 s20, s17
	s_cselect_b32 s20, s21, s4
	s_ashr_i32 s21, s20, 31
	s_delay_alu instid0(SALU_CYCLE_1) | instskip(NEXT) | instid1(SALU_CYCLE_1)
	s_lshl_b64 s[20:21], s[20:21], 2
	;; [unrolled: 10-line block ×5, first 2 shown]
	s_add_u32 s26, s13, s26
	s_addc_u32 s27, s16, s27
	s_clause 0x5
	s_load_b32 s28, s[6:7], 0x0
	s_load_b32 s29, s[8:9], 0x0
	;; [unrolled: 1-line block ×6, first 2 shown]
	s_mov_b32 s20, 0
	s_or_b32 s6, s12, 0xc0
	s_mov_b32 s21, s20
	s_mov_b32 s22, s20
	s_mov_b32 s23, s20
	s_mov_b32 s24, s20
	s_mov_b32 s25, s20
	s_mov_b32 s26, s20
	s_mov_b32 s27, s20
	s_ashr_i32 s7, s6, 5
	v_mov_b32_e32 v128, s27
	s_cmp_lt_i32 s6, s17
	v_mov_b32_e32 v127, s26
	s_cselect_b32 s6, s7, s4
	v_mov_b32_e32 v126, s25
	s_ashr_i32 s7, s6, 31
	v_mov_b32_e32 v125, s24
	s_lshl_b64 s[6:7], s[6:7], 2
	v_mov_b32_e32 v124, s23
	s_add_u32 s6, s13, s6
	s_addc_u32 s7, s16, s7
	v_mov_b32_e32 v123, s22
	v_mov_b32_e32 v121, s20
	s_waitcnt lgkmcnt(0)
	s_mul_hi_i32 s9, s28, s5
	s_mul_i32 s8, s28, s5
	s_mul_hi_i32 s37, s38, s5
	v_mov_b32_e32 v122, s21
	s_mul_hi_i32 s21, s29, s5
	s_mul_i32 s20, s29, s5
	s_mul_hi_i32 s25, s30, s5
	s_mul_i32 s24, s30, s5
	;; [unrolled: 2-line block ×3, first 2 shown]
	s_waitcnt vmcnt(1)
	v_mad_i64_i32 v[3:4], null, v7, s5, 0
	s_waitcnt vmcnt(0)
	v_mad_i64_i32 v[5:6], null, v8, s5, 0
	s_delay_alu instid0(VALU_DEP_2) | instskip(NEXT) | instid1(VALU_DEP_2)
	v_lshlrev_b64 v[3:4], 1, v[3:4]
	v_lshlrev_b64 v[1:2], 1, v[5:6]
	s_delay_alu instid0(VALU_DEP_2) | instskip(NEXT) | instid1(VALU_DEP_3)
	v_add_co_u32 v3, vcc_lo, s15, v3
	v_add_co_ci_u32_e32 v4, vcc_lo, s19, v4, vcc_lo
	s_delay_alu instid0(VALU_DEP_3) | instskip(NEXT) | instid1(VALU_DEP_4)
	v_add_co_u32 v1, vcc_lo, s15, v1
	v_add_co_ci_u32_e32 v2, vcc_lo, s19, v2, vcc_lo
	s_delay_alu instid0(VALU_DEP_4) | instskip(NEXT) | instid1(VALU_DEP_4)
	v_add_co_u32 v65, vcc_lo, v3, v73
	v_add_co_ci_u32_e32 v66, vcc_lo, v4, v74, vcc_lo
	s_delay_alu instid0(VALU_DEP_4) | instskip(NEXT) | instid1(VALU_DEP_4)
	v_add_co_u32 v67, vcc_lo, v1, v73
	v_add_co_ci_u32_e32 v68, vcc_lo, v2, v74, vcc_lo
	s_clause 0xf
	global_load_b128 v[1:4], v[65:66], off
	global_load_b128 v[5:8], v[65:66], off offset:512
	global_load_b128 v[9:12], v[67:68], off offset:256
	;; [unrolled: 1-line block ×15, first 2 shown]
	v_add_co_u32 v157, vcc_lo, 0x1000, v65
	v_add_co_ci_u32_e32 v158, vcc_lo, 0, v66, vcc_lo
	v_add_co_u32 v165, vcc_lo, 0x1000, v67
	v_add_co_ci_u32_e32 v166, vcc_lo, 0, v68, vcc_lo
	s_clause 0x7
	global_load_b128 v[81:84], v[157:158], off
	global_load_b128 v[85:88], v[157:158], off offset:512
	global_load_b128 v[89:92], v[165:166], off offset:256
	;; [unrolled: 1-line block ×7, first 2 shown]
	v_mul_lo_u16 v65, v77, 52
	s_or_b32 s15, s12, 0xe0
	s_delay_alu instid0(SALU_CYCLE_1) | instskip(SKIP_1) | instid1(VALU_DEP_1)
	s_ashr_i32 s19, s15, 5
	s_cmp_lt_i32 s15, s17
	v_lshrrev_b16 v65, 8, v65
	s_cselect_b32 s22, s19, s4
	s_delay_alu instid0(SALU_CYCLE_1) | instskip(NEXT) | instid1(VALU_DEP_1)
	s_ashr_i32 s23, s22, 31
	v_mul_lo_u16 v65, v65, 5
	s_lshl_b64 s[22:23], s[22:23], 2
	s_delay_alu instid0(SALU_CYCLE_1) | instskip(SKIP_1) | instid1(VALU_DEP_1)
	s_add_u32 s22, s13, s22
	s_addc_u32 s23, s16, s23
	v_sub_nc_u16 v65, v77, v65
	s_add_i32 s15, s12, 0x100
	s_delay_alu instid0(SALU_CYCLE_1) | instskip(SKIP_1) | instid1(VALU_DEP_1)
	s_ashr_i32 s19, s15, 5
	s_cmp_lt_i32 s15, s17
	v_and_b32_e32 v65, 0xff, v65
	s_cselect_b32 s28, s19, s4
	s_delay_alu instid0(SALU_CYCLE_1) | instskip(NEXT) | instid1(VALU_DEP_1)
	s_ashr_i32 s29, s28, 31
	v_lshlrev_b32_e32 v169, 6, v65
	ds_load_b128 v[65:68], v169
	ds_load_b128 v[69:72], v169 offset:1024
	s_clause 0x1
	global_load_b128 v[113:116], v[157:158], off offset:2048
	global_load_b128 v[117:120], v[157:158], off offset:2560
	ds_load_b128 v[129:132], v169 offset:2048
	ds_load_b128 v[133:136], v169 offset:3072
	s_clause 0x5
	global_load_b128 v[145:148], v[165:166], off offset:2304
	global_load_b128 v[149:152], v[165:166], off offset:2816
	global_load_b128 v[153:156], v[157:158], off offset:3072
	global_load_b128 v[157:160], v[157:158], off offset:3584
	global_load_b128 v[161:164], v[165:166], off offset:3328
	global_load_b128 v[165:168], v[165:166], off offset:3840
	s_lshl_b64 s[28:29], s[28:29], 2
	s_delay_alu instid0(SALU_CYCLE_1)
	s_add_u32 s28, s13, s28
	s_addc_u32 s29, s16, s29
	s_add_u32 s4, s10, s2
	s_addc_u32 s19, s11, s3
	s_lshl_b64 s[2:3], s[8:9], 1
	s_lshl_b64 s[8:9], s[20:21], 1
	;; [unrolled: 1-line block ×4, first 2 shown]
	s_waitcnt vmcnt(30) lgkmcnt(2)
	v_wmma_f32_16x16x16_f16 v[137:144], v[1:8], v[65:72], v[121:128]
	ds_load_b128 v[1:4], v169 offset:4096
	ds_load_b128 v[5:8], v169 offset:5120
	s_waitcnt vmcnt(28)
	v_wmma_f32_16x16x16_f16 v[121:128], v[9:16], v[65:72], v[121:128]
	ds_load_b128 v[9:12], v169 offset:6144
	ds_load_b128 v[13:16], v169 offset:7168
	s_waitcnt vmcnt(26) lgkmcnt(4)
	v_wmma_f32_16x16x16_f16 v[137:144], v[17:24], v[129:136], v[137:144]
	ds_load_b128 v[17:20], v169 offset:8192
	ds_load_b128 v[21:24], v169 offset:9216
	s_waitcnt vmcnt(24)
	v_wmma_f32_16x16x16_f16 v[121:128], v[25:32], v[129:136], v[121:128]
	v_lshl_or_b32 v25, v78, 10, v79
	ds_load_b128 v[129:132], v169 offset:10240
	ds_load_b128 v[133:136], v169 offset:11264
	s_clause 0x2
	s_load_b32 s15, s[6:7], 0x0
	s_load_b32 s13, s[22:23], 0x0
	;; [unrolled: 1-line block ×3, first 2 shown]
	s_mul_hi_i32 s7, s36, s5
	v_add_co_u32 v170, s4, s4, v25
	s_delay_alu instid0(VALU_DEP_1)
	v_add_co_ci_u32_e64 v171, null, s19, 0, s4
	s_mul_i32 s6, s36, s5
	s_mul_i32 s36, s38, s5
	s_lshl_b64 s[6:7], s[6:7], 1
	s_lshl_b64 s[22:23], s[36:37], 1
	s_waitcnt vmcnt(22) lgkmcnt(0)
	v_wmma_f32_16x16x16_f16 v[137:144], v[33:40], v[1:8], v[137:144]
	s_waitcnt vmcnt(20)
	v_wmma_f32_16x16x16_f16 v[121:128], v[41:48], v[1:8], v[121:128]
	v_add_co_u32 v1, vcc_lo, v170, s2
	v_add_co_ci_u32_e32 v2, vcc_lo, s3, v171, vcc_lo
	v_add_co_u32 v3, vcc_lo, v170, s8
	v_add_co_ci_u32_e32 v4, vcc_lo, s9, v171, vcc_lo
	;; [unrolled: 2-line block ×4, first 2 shown]
	v_add_co_u32 v25, vcc_lo, v170, s6
	s_mul_hi_i32 s25, s15, s5
	s_mul_i32 s24, s15, s5
	v_add_co_ci_u32_e32 v26, vcc_lo, s7, v171, vcc_lo
	v_add_co_u32 v27, vcc_lo, v170, s22
	s_lshl_b64 s[24:25], s[24:25], 1
	s_waitcnt vmcnt(18)
	v_wmma_f32_16x16x16_f16 v[137:144], v[49:56], v[9:16], v[137:144]
	s_waitcnt vmcnt(16)
	v_wmma_f32_16x16x16_f16 v[121:128], v[57:64], v[9:16], v[121:128]
	v_add_co_ci_u32_e32 v28, vcc_lo, s23, v171, vcc_lo
	s_mul_hi_i32 s3, s13, s5
	s_mul_i32 s2, s13, s5
	v_add_co_u32 v29, vcc_lo, v170, s24
	s_lshl_b64 s[2:3], s[2:3], 1
	v_add_co_ci_u32_e32 v30, vcc_lo, s25, v171, vcc_lo
	s_waitcnt vmcnt(14)
	v_wmma_f32_16x16x16_f16 v[137:144], v[81:88], v[17:24], v[137:144]
	s_waitcnt vmcnt(12)
	v_wmma_f32_16x16x16_f16 v[121:128], v[89:96], v[17:24], v[121:128]
	v_add_co_u32 v17, vcc_lo, v170, s2
	v_add_co_ci_u32_e32 v18, vcc_lo, s3, v171, vcc_lo
	s_mul_hi_i32 s3, s16, s5
	s_mul_i32 s2, s16, s5
	s_clause 0x5
	global_load_b128 v[65:68], v[1:2], off
	global_load_b128 v[69:72], v[1:2], off offset:16
	global_load_b128 v[57:60], v[3:4], off
	global_load_b128 v[61:64], v[3:4], off offset:16
	;; [unrolled: 2-line block ×3, first 2 shown]
	s_lshl_b64 s[2:3], s[2:3], 1
	s_clause 0x1
	global_load_b128 v[41:44], v[7:8], off
	global_load_b128 v[45:48], v[7:8], off offset:16
	v_add_co_u32 v21, vcc_lo, v170, s2
	v_add_co_ci_u32_e32 v22, vcc_lo, s3, v171, vcc_lo
	s_clause 0x9
	global_load_b128 v[9:12], v[25:26], off
	global_load_b128 v[13:16], v[25:26], off offset:16
	global_load_b128 v[1:4], v[27:28], off
	global_load_b128 v[5:8], v[27:28], off offset:16
	;; [unrolled: 2-line block ×5, first 2 shown]
	ds_load_b128 v[81:84], v169 offset:12288
	ds_load_b128 v[85:88], v169 offset:13312
	v_and_b32_e32 v89, 0xe0, v0
	s_waitcnt vmcnt(28)
	v_wmma_f32_16x16x16_f16 v[137:144], v[97:104], v[129:136], v[137:144]
	v_mbcnt_lo_u32_b32 v97, -1, 0
	s_waitcnt vmcnt(26)
	v_wmma_f32_16x16x16_f16 v[121:128], v[105:112], v[129:136], v[121:128]
	v_add_nc_u32_e32 v98, s12, v89
	ds_load_b128 v[89:92], v169 offset:14336
	ds_load_b128 v[93:96], v169 offset:15360
	v_xor_b32_e32 v99, 16, v97
	s_waitcnt vmcnt(0) lgkmcnt(0)
	s_barrier
	v_or_b32_e32 v98, v98, v75
	buffer_gl0_inv
	v_cmp_gt_i32_e32 vcc_lo, 32, v99
	v_or_b32_e32 v100, 4, v98
	v_or_b32_e32 v101, 22, v98
	;; [unrolled: 1-line block ×4, first 2 shown]
	v_wmma_f32_16x16x16_f16 v[137:144], v[113:120], v[81:88], v[137:144]
	v_wmma_f32_16x16x16_f16 v[121:128], v[145:152], v[81:88], v[121:128]
	v_or_b32_e32 v81, 6, v98
	v_or_b32_e32 v82, 8, v98
	;; [unrolled: 1-line block ×3, first 2 shown]
	v_cmp_gt_i32_e64 s3, s17, v100
	v_or_b32_e32 v84, 12, v98
	v_wmma_f32_16x16x16_f16 v[137:144], v[153:160], v[89:96], v[137:144]
	v_wmma_f32_16x16x16_f16 v[121:128], v[161:168], v[89:96], v[121:128]
	v_cndmask_b32_e32 v97, v97, v99, vcc_lo
	v_or_b32_e32 v99, 2, v98
	v_cmp_gt_i32_e32 vcc_lo, s17, v98
	v_dual_mul_f32 v95, s18, v138 :: v_dual_mul_f32 v96, s18, v137
	v_mul_f32_e32 v93, s18, v140
	s_delay_alu instid0(VALU_DEP_4)
	v_cmp_gt_i32_e64 s2, s17, v99
	v_mul_f32_e32 v94, s18, v139
	v_mul_f32_e32 v108, s18, v126
	v_cndmask_b32_e32 v96, 0xff7fffff, v96, vcc_lo
	v_cmp_gt_i32_e64 s4, s17, v81
	v_cndmask_b32_e64 v95, 0xff7fffff, v95, s2
	v_or_b32_e32 v85, 14, v98
	v_dual_mul_f32 v91, s18, v142 :: v_dual_mul_f32 v110, s18, v124
	v_mul_f32_e32 v92, s18, v141
	v_cndmask_b32_e64 v94, 0xff7fffff, v94, s3
	v_cndmask_b32_e64 v81, 0xff7fffff, v93, s4
	v_max3_f32 v93, v96, 0xff7fffff, v95
	v_cmp_gt_i32_e64 s5, s17, v82
	v_cmp_gt_i32_e64 s6, s17, v83
	v_or_b32_e32 v86, 16, v98
	v_or_b32_e32 v87, 18, v98
	v_dual_mul_f32 v89, s18, v144 :: v_dual_mul_f32 v112, s18, v122
	v_mul_f32_e32 v90, s18, v143
	v_cndmask_b32_e64 v82, 0xff7fffff, v92, s5
	v_cndmask_b32_e64 v83, 0xff7fffff, v91, s6
	v_max3_f32 v81, v93, v94, v81
	v_cmp_gt_i32_e64 s7, s17, v84
	v_cmp_gt_i32_e64 s8, s17, v85
	v_or_b32_e32 v88, 20, v98
	v_mul_f32_e32 v113, s18, v121
	v_max3_f32 v81, v81, v82, v83
	v_cndmask_b32_e64 v84, 0xff7fffff, v90, s7
	v_cndmask_b32_e64 v85, 0xff7fffff, v89, s8
	v_cmp_gt_i32_e64 s9, s17, v86
	v_cmp_gt_i32_e64 s10, s17, v87
	v_mul_f32_e32 v111, s18, v123
	v_cmp_gt_i32_e64 s11, s17, v88
	v_max3_f32 v81, v81, v84, v85
	v_cndmask_b32_e64 v82, 0xff7fffff, v113, s9
	v_cndmask_b32_e64 v83, 0xff7fffff, v112, s10
	v_cmp_gt_i32_e64 s12, s17, v101
	v_or_b32_e32 v104, 28, v98
	v_or_b32_e32 v105, 30, v98
	v_mul_f32_e32 v109, s18, v125
	v_cndmask_b32_e64 v84, 0xff7fffff, v111, s11
	v_cndmask_b32_e64 v85, 0xff7fffff, v110, s12
	v_max3_f32 v81, v81, v82, v83
	v_cmp_gt_i32_e64 s13, s17, v102
	v_cmp_gt_i32_e64 s15, s17, v103
	v_dual_mul_f32 v106, s18, v128 :: v_dual_mul_f32 v107, s18, v127
	s_delay_alu instid0(VALU_DEP_4) | instskip(NEXT) | instid1(VALU_DEP_4)
	v_max3_f32 v81, v81, v84, v85
	v_cndmask_b32_e64 v82, 0xff7fffff, v109, s13
	s_delay_alu instid0(VALU_DEP_4) | instskip(SKIP_2) | instid1(VALU_DEP_3)
	v_cndmask_b32_e64 v83, 0xff7fffff, v108, s15
	v_cmp_gt_i32_e64 s16, s17, v104
	v_cmp_gt_i32_e64 s17, s17, v105
	v_max3_f32 v81, v81, v82, v83
	s_delay_alu instid0(VALU_DEP_3) | instskip(NEXT) | instid1(VALU_DEP_3)
	v_cndmask_b32_e64 v84, 0xff7fffff, v107, s16
	v_cndmask_b32_e64 v85, 0xff7fffff, v106, s17
	v_lshlrev_b32_e32 v83, 2, v97
	s_delay_alu instid0(VALU_DEP_2) | instskip(SKIP_3) | instid1(VALU_DEP_1)
	v_max3_f32 v81, v81, v84, v85
	ds_bpermute_b32 v82, v83, v81
	s_waitcnt lgkmcnt(0)
	v_max_f32_e32 v82, v82, v82
	v_max_f32_e32 v81, v81, v82
	s_delay_alu instid0(VALU_DEP_1)
	v_fma_f32 v82, s18, v137, -v81
	v_fma_f32 v84, s18, v138, -v81
	;; [unrolled: 1-line block ×5, first 2 shown]
	v_mul_f32_e32 v82, 0x3fb8aa3b, v82
	s_delay_alu instid0(VALU_DEP_4) | instskip(NEXT) | instid1(VALU_DEP_3)
	v_dual_mul_f32 v84, 0x3fb8aa3b, v84 :: v_dual_mul_f32 v89, 0x3fb8aa3b, v87
	v_mul_f32_e32 v86, 0x3fb8aa3b, v86
	s_delay_alu instid0(VALU_DEP_3) | instskip(NEXT) | instid1(VALU_DEP_2)
	v_exp_f32_e32 v82, v82
	v_exp_f32_e32 v84, v84
	s_delay_alu instid0(VALU_DEP_2) | instskip(NEXT) | instid1(VALU_DEP_1)
	v_exp_f32_e32 v92, v89
	v_exp_f32_e32 v86, v86
	v_cndmask_b32_e32 v88, 0, v82, vcc_lo
	s_delay_alu instid0(TRANS32_DEP_3)
	v_cndmask_b32_e64 v87, 0, v84, s2
	s_waitcnt_depctr 0xfff
	v_cndmask_b32_e64 v92, 0, v92, s5
	v_cmp_gt_u32_e64 s2, 16, v80
	v_cndmask_b32_e64 v89, 0, v86, s4
	v_add_f32_e32 v84, 0, v88
	s_delay_alu instid0(VALU_DEP_1) | instskip(NEXT) | instid1(VALU_DEP_1)
	v_dual_add_f32 v84, v84, v87 :: v_dual_mul_f32 v85, 0x3fb8aa3b, v85
	v_exp_f32_e32 v85, v85
	s_waitcnt_depctr 0xfff
	v_cndmask_b32_e64 v90, 0, v85, s3
	s_delay_alu instid0(VALU_DEP_1) | instskip(NEXT) | instid1(VALU_DEP_1)
	v_add_f32_e32 v84, v84, v90
	v_add_f32_e32 v84, v84, v89
	v_fma_f32 v82, s18, v142, -v81
	v_fma_f32 v91, s18, v143, -v81
	;; [unrolled: 1-line block ×5, first 2 shown]
	s_delay_alu instid0(VALU_DEP_4) | instskip(SKIP_1) | instid1(VALU_DEP_4)
	v_dual_mul_f32 v82, 0x3fb8aa3b, v82 :: v_dual_mul_f32 v91, 0x3fb8aa3b, v91
	v_fma_f32 v96, s18, v124, -v81
	v_mul_f32_e32 v86, 0x3fb8aa3b, v86
	v_fma_f32 v99, s18, v127, -v81
	s_delay_alu instid0(VALU_DEP_4) | instskip(SKIP_3) | instid1(VALU_DEP_1)
	v_exp_f32_e32 v82, v82
	v_exp_f32_e32 v93, v91
	v_mul_f32_e32 v97, 0x3fb8aa3b, v96
	v_exp_f32_e32 v86, v86
	v_exp_f32_e32 v97, v97
	v_cndmask_b32_e64 v91, 0, v82, s6
	v_dual_add_f32 v82, v84, v92 :: v_dual_mul_f32 v85, 0x3fb8aa3b, v85
	v_fma_f32 v84, s18, v123, -v81
	v_mul_f32_e32 v95, 0x3fb8aa3b, v94
	s_delay_alu instid0(TRANS32_DEP_3) | instskip(NEXT) | instid1(VALU_DEP_4)
	v_cndmask_b32_e64 v94, 0, v93, s7
	v_add_f32_e32 v82, v82, v91
	v_exp_f32_e32 v85, v85
	v_mul_f32_e32 v84, 0x3fb8aa3b, v84
	v_cndmask_b32_e64 v96, 0, v86, s9
	v_exp_f32_e32 v95, v95
	v_add_f32_e32 v82, v82, v94
	v_fma_f32 v86, s18, v126, -v81
	v_exp_f32_e32 v84, v84
	v_cndmask_b32_e64 v97, 0, v97, s12
	s_delay_alu instid0(TRANS32_DEP_3) | instskip(SKIP_2) | instid1(TRANS32_DEP_2)
	v_cndmask_b32_e64 v93, 0, v85, s8
	v_fma_f32 v85, s18, v125, -v81
	v_mul_f32_e32 v86, 0x3fb8aa3b, v86
	v_cndmask_b32_e64 v95, 0, v95, s10
	s_waitcnt_depctr 0xfff
	v_cndmask_b32_e64 v98, 0, v84, s11
	v_mul_f32_e32 v84, 0x3fb8aa3b, v99
	v_fma_f32 v99, s18, v128, -v81
	v_add_f32_e32 v82, v82, v93
	v_mul_f32_e32 v85, 0x3fb8aa3b, v85
	v_exp_f32_e32 v86, v86
	v_exp_f32_e32 v84, v84
	s_delay_alu instid0(VALU_DEP_1)
	v_exp_f32_e32 v85, v85
	s_waitcnt_depctr 0xfff
	v_cndmask_b32_e64 v102, 0, v84, s16
	v_cndmask_b32_e64 v100, 0, v85, s13
	v_dual_mul_f32 v85, 0x3fb8aa3b, v99 :: v_dual_add_f32 v82, v82, v96
	v_cndmask_b32_e64 v99, 0, v86, s15
	s_delay_alu instid0(VALU_DEP_2) | instskip(NEXT) | instid1(VALU_DEP_2)
	v_exp_f32_e32 v85, v85
	v_add_f32_e32 v82, v82, v95
	s_delay_alu instid0(VALU_DEP_1) | instskip(SKIP_3) | instid1(VALU_DEP_1)
	v_add_f32_e32 v82, v82, v98
	s_waitcnt_depctr 0xfff
	v_cndmask_b32_e64 v101, 0, v85, s17
	v_add_f32_e32 v82, v82, v97
	v_add_f32_e32 v82, v82, v100
	s_delay_alu instid0(VALU_DEP_1) | instskip(NEXT) | instid1(VALU_DEP_1)
	v_add_f32_e32 v82, v82, v99
	v_add_f32_e32 v82, v82, v102
	s_delay_alu instid0(VALU_DEP_1)
	v_add_f32_e32 v82, v82, v101
	ds_bpermute_b32 v83, v83, v82
	s_and_saveexec_b32 s3, s2
	s_cbranch_execz .LBB350_14
; %bb.13:
	v_mul_u32_u24_e32 v80, 0x44, v78
	s_waitcnt lgkmcnt(0)
	v_add_f32_e32 v82, v82, v83
	s_delay_alu instid0(VALU_DEP_2) | instskip(NEXT) | instid1(VALU_DEP_1)
	v_lshl_add_u32 v80, v77, 2, v80
	v_add_nc_u32_e32 v80, 0x4000, v80
	ds_store_2addr_b32 v80, v81, v82 offset1:136
.LBB350_14:
	s_or_b32 exec_lo, exec_lo, s3
	v_lshlrev_b32_e32 v80, 2, v77
	s_load_b32 s35, s[0:1], 0x94
	s_waitcnt lgkmcnt(0)
	s_barrier
	buffer_gl0_inv
	v_add_nc_u32_e32 v84, 0x4000, v80
	v_cmp_eq_u32_e32 vcc_lo, 1, v78
	v_cmp_eq_u32_e64 s3, 2, v78
	v_cmp_eq_u32_e64 s4, 3, v78
	;; [unrolled: 1-line block ×3, first 2 shown]
	ds_load_2addr_b32 v[80:81], v84 offset1:17
	ds_load_2addr_b32 v[82:83], v84 offset0:34 offset1:51
	ds_load_2addr_b32 v[103:104], v84 offset0:68 offset1:85
	;; [unrolled: 1-line block ×3, first 2 shown]
	v_cmp_eq_u32_e64 s6, 7, v78
	s_waitcnt lgkmcnt(3)
	v_max3_f32 v85, v80, 0xff7fffff, v81
	s_waitcnt lgkmcnt(2)
	s_delay_alu instid0(VALU_DEP_1) | instskip(SKIP_1) | instid1(VALU_DEP_1)
	v_max3_f32 v85, v85, v82, v83
	s_waitcnt lgkmcnt(1)
	v_max3_f32 v85, v85, v103, v104
	s_waitcnt lgkmcnt(0)
	s_delay_alu instid0(VALU_DEP_1) | instskip(NEXT) | instid1(VALU_DEP_1)
	v_max3_f32 v85, v85, v105, v106
	v_sub_f32_e32 v103, v103, v85
	ds_load_2addr_b32 v[107:108], v84 offset0:136 offset1:153
	v_sub_f32_e32 v80, v80, v85
	v_dual_sub_f32 v110, v83, v85 :: v_dual_mul_f32 v113, 0x3fb8aa3b, v103
	s_delay_alu instid0(VALU_DEP_2) | instskip(SKIP_3) | instid1(VALU_DEP_1)
	v_dual_sub_f32 v86, v81, v85 :: v_dual_mul_f32 v109, 0x3fb8aa3b, v80
	ds_load_2addr_b32 v[80:81], v84 offset0:170 offset1:187
	v_mul_f32_e32 v86, 0x3fb8aa3b, v86
	v_exp_f32_e32 v109, v109
	v_exp_f32_e32 v112, v86
	v_mul_f32_e32 v110, 0x3fb8aa3b, v110
	s_waitcnt lgkmcnt(1)
	s_waitcnt_depctr 0xfff
	v_fma_f32 v86, v109, v107, 0
	v_sub_f32_e32 v107, v104, v85
	v_sub_f32_e32 v82, v82, v85
	v_exp_f32_e32 v110, v110
	ds_load_2addr_b32 v[103:104], v84 offset0:238 offset1:255
	v_dual_fmac_f32 v86, v112, v108 :: v_dual_mul_f32 v111, 0x3fb8aa3b, v82
	ds_load_2addr_b32 v[82:83], v84 offset0:204 offset1:221
	v_dual_sub_f32 v84, v105, v85 :: v_dual_mul_f32 v105, 0x3fb8aa3b, v107
	v_exp_f32_e32 v107, v113
	v_exp_f32_e32 v111, v111
	s_waitcnt lgkmcnt(0)
	s_delay_alu instid0(VALU_DEP_1)
	v_mul_f32_e32 v84, 0x3fb8aa3b, v84
	v_exp_f32_e32 v105, v105
	s_barrier
	buffer_gl0_inv
	v_fmac_f32_e32 v86, v111, v80
	v_sub_f32_e32 v80, v106, v85
	v_exp_f32_e32 v106, v84
	s_delay_alu instid0(VALU_DEP_2) | instskip(NEXT) | instid1(VALU_DEP_2)
	v_fmac_f32_e32 v86, v110, v81
	v_mul_f32_e32 v80, 0x3fb8aa3b, v80
	s_delay_alu instid0(VALU_DEP_2) | instskip(NEXT) | instid1(VALU_DEP_2)
	v_dual_cndmask_b32 v81, v109, v112 :: v_dual_fmac_f32 v86, v107, v82
	v_exp_f32_e32 v108, v80
	s_delay_alu instid0(VALU_DEP_1) | instskip(SKIP_2) | instid1(VALU_DEP_1)
	v_fmac_f32_e32 v86, v105, v83
	s_waitcnt_depctr 0xfff
	v_fmac_f32_e32 v86, v106, v103
	v_fmac_f32_e32 v86, v108, v104
	s_delay_alu instid0(VALU_DEP_1) | instskip(NEXT) | instid1(VALU_DEP_1)
	v_add_f32_e32 v103, 0x358637bd, v86
	v_div_scale_f32 v104, null, v103, v103, 1.0
	v_div_scale_f32 v109, vcc_lo, 1.0, v103, 1.0
	s_delay_alu instid0(VALU_DEP_2) | instskip(SKIP_2) | instid1(VALU_DEP_1)
	v_rcp_f32_e32 v113, v104
	s_waitcnt_depctr 0xfff
	v_fma_f32 v80, -v104, v113, 1.0
	v_fmac_f32_e32 v113, v80, v113
	v_cndmask_b32_e64 v80, v81, v111, s3
	v_cmp_eq_u32_e64 s3, 4, v78
	v_lshl_or_b32 v81, v78, 11, v79
	s_delay_alu instid0(VALU_DEP_4) | instskip(NEXT) | instid1(VALU_DEP_4)
	v_mul_f32_e32 v111, v109, v113
	v_cndmask_b32_e64 v82, v80, v110, s4
	v_cmp_eq_u32_e64 s4, 6, v78
	s_delay_alu instid0(VALU_DEP_4) | instskip(SKIP_3) | instid1(VALU_DEP_3)
	v_lshl_or_b32 v78, v75, 4, v81
	v_lshlrev_b32_e32 v80, 2, v75
	v_fma_f32 v83, -v104, v111, v109
	v_cndmask_b32_e64 v84, v82, v107, s3
	v_or_b32_e32 v82, 1, v80
	s_delay_alu instid0(VALU_DEP_3) | instskip(NEXT) | instid1(VALU_DEP_3)
	v_fmac_f32_e32 v111, v83, v113
	v_cndmask_b32_e64 v105, v84, v105, s5
	v_or_b32_e32 v84, 2, v80
	v_or_b32_e32 v83, 3, v80
	v_cmp_eq_u32_e64 s3, 1, v80
	v_fma_f32 v104, -v104, v111, v109
	v_cndmask_b32_e64 v105, v105, v106, s4
	v_cmp_eq_u32_e64 s9, 1, v82
	v_cmp_eq_u32_e64 s10, 1, v84
	;; [unrolled: 1-line block ×3, first 2 shown]
	v_div_fmas_f32 v104, v104, v113, v111
	v_cndmask_b32_e64 v105, v105, v108, s6
	v_cmp_eq_u32_e32 vcc_lo, 2, v80
	v_cmp_eq_u32_e64 s12, 2, v82
	v_cmp_eq_u32_e64 s15, 2, v84
	v_div_fixup_f32 v103, v104, v103, 1.0
	v_cmp_eq_u32_e64 s16, 2, v83
	v_cmp_eq_u32_e64 s18, 3, v83
	;; [unrolled: 1-line block ×4, first 2 shown]
	v_mul_f32_e32 v111, v105, v103
	v_cmp_eq_u32_e64 s17, 3, v84
	v_cmp_eq_u32_e64 s22, 4, v83
	;; [unrolled: 1-line block ×4, first 2 shown]
	v_fma_mixlo_f16 v103, v111, v88, 0
	v_fma_mixlo_f16 v104, v111, v90, 0
	;; [unrolled: 1-line block ×8, first 2 shown]
	v_fma_mixhi_f16 v103, v111, v87, 0
	v_fma_mixhi_f16 v104, v111, v89, 0
	;; [unrolled: 1-line block ×8, first 2 shown]
	ds_store_b128 v78, v[103:106]
	ds_store_b128 v78, v[107:110] offset:1024
	s_waitcnt lgkmcnt(0)
	s_barrier
	buffer_gl0_inv
	ds_load_b128 v[87:90], v81
	ds_load_b128 v[91:94], v81 offset:16
	ds_load_b128 v[95:98], v81 offset:1024
	;; [unrolled: 1-line block ×3, first 2 shown]
	v_cmp_eq_u32_e64 s21, 4, v84
	v_cmp_eq_u32_e64 s24, 5, v83
	;; [unrolled: 1-line block ×13, first 2 shown]
	s_waitcnt lgkmcnt(3)
	v_lshrrev_b32_e32 v103, 16, v87
	s_waitcnt lgkmcnt(2)
	v_lshrrev_b32_e32 v107, 16, v91
	;; [unrolled: 2-line block ×4, first 2 shown]
	v_lshrrev_b32_e32 v104, 16, v88
	v_cndmask_b32_e64 v119, v87, v103, s3
	v_cndmask_b32_e64 v120, v91, v107, s3
	;; [unrolled: 1-line block ×8, first 2 shown]
	v_lshrrev_b32_e32 v108, 16, v92
	v_cndmask_b32_e64 v103, v95, v111, s3
	v_cndmask_b32_e64 v107, v99, v115, s3
	;; [unrolled: 1-line block ×5, first 2 shown]
	v_cndmask_b32_e32 v111, v119, v88, vcc_lo
	v_cndmask_b32_e64 v119, v121, v88, s12
	v_cndmask_b32_e64 v121, v123, v88, s15
	;; [unrolled: 1-line block ×4, first 2 shown]
	v_lshrrev_b32_e32 v112, 16, v96
	v_lshrrev_b32_e32 v116, 16, v100
	v_cndmask_b32_e64 v126, v99, v115, s9
	v_cndmask_b32_e64 v128, v99, v115, s10
	;; [unrolled: 1-line block ×3, first 2 shown]
	v_cndmask_b32_e32 v115, v120, v92, vcc_lo
	v_cndmask_b32_e64 v120, v122, v92, s12
	v_cndmask_b32_e64 v122, v124, v92, s15
	v_cndmask_b32_e32 v91, v103, v96, vcc_lo
	v_cndmask_b32_e32 v92, v107, v100, vcc_lo
	v_cndmask_b32_e64 v103, v125, v96, s12
	v_cndmask_b32_e64 v87, v87, v104, s18
	;; [unrolled: 1-line block ×3, first 2 shown]
	v_lshrrev_b32_e32 v105, 16, v89
	v_lshrrev_b32_e32 v109, 16, v93
	v_cndmask_b32_e64 v107, v127, v96, s15
	v_cndmask_b32_e64 v95, v95, v96, s16
	;; [unrolled: 1-line block ×14, first 2 shown]
	v_lshrrev_b32_e32 v113, 16, v97
	v_cndmask_b32_e64 v99, v99, v89, s5
	v_cndmask_b32_e64 v104, v111, v93, s5
	;; [unrolled: 1-line block ×11, first 2 shown]
	v_lshrrev_b32_e32 v106, 16, v90
	v_lshrrev_b32_e32 v110, 16, v94
	v_cndmask_b32_e64 v93, v99, v105, s6
	v_cndmask_b32_e64 v99, v104, v109, s6
	;; [unrolled: 1-line block ×9, first 2 shown]
	v_lshrrev_b32_e32 v114, 16, v98
	v_cndmask_b32_e64 v89, v89, v113, s6
	v_cndmask_b32_e64 v93, v93, v90, s7
	;; [unrolled: 1-line block ×19, first 2 shown]
	v_perm_b32 v90, v88, v87, 0x5040100
	v_cndmask_b32_e64 v87, v126, v100, s12
	v_cndmask_b32_e64 v105, v89, v114, s8
	v_perm_b32 v89, v103, v99, 0x5040100
	v_perm_b32 v88, v104, v94, 0x5040100
	v_cndmask_b32_e64 v94, v107, v112, s17
	v_cndmask_b32_e64 v95, v95, v112, s18
	;; [unrolled: 1-line block ×5, first 2 shown]
	v_lshrrev_b32_e32 v117, 16, v101
	v_cndmask_b32_e64 v94, v94, v97, s21
	v_cndmask_b32_e64 v95, v95, v97, s22
	;; [unrolled: 1-line block ×11, first 2 shown]
	v_lshrrev_b32_e32 v118, 16, v102
	v_cndmask_b32_e64 v91, v91, v102, s7
	v_cndmask_b32_e64 v94, v94, v98, s26
	;; [unrolled: 1-line block ×12, first 2 shown]
	v_perm_b32 v87, v93, v92, 0x5040100
	v_perm_b32 v94, v95, v94, 0x5040100
	v_perm_b32 v93, v96, v98, 0x5040100
	v_perm_b32 v92, v97, v106, 0x5040100
	v_perm_b32 v91, v91, v105, 0x5040100
	s_mul_i32 s7, s33, 5
	s_mov_b32 s3, exec_lo
	ds_store_b128 v78, v[87:90]
	ds_store_b128 v78, v[91:94] offset:1024
	v_cmpx_gt_u32_e32 5, v0
	s_cbranch_execz .LBB350_16
; %bb.15:
	s_mul_i32 s4, s7, s34
	s_load_b128 s[8:11], s[0:1], 0x58
	v_add3_u32 v77, s4, s31, v77
	s_delay_alu instid0(VALU_DEP_1) | instskip(NEXT) | instid1(VALU_DEP_1)
	v_mad_u64_u32 v[87:88], null, v77, s35, s[14:15]
	v_ashrrev_i32_e32 v88, 31, v87
	s_delay_alu instid0(VALU_DEP_1) | instskip(SKIP_1) | instid1(VALU_DEP_1)
	v_lshlrev_b64 v[87:88], 2, v[87:88]
	s_waitcnt lgkmcnt(0)
	v_add_co_u32 v89, vcc_lo, s10, v87
	s_delay_alu instid0(VALU_DEP_2)
	v_add_co_ci_u32_e32 v90, vcc_lo, s11, v88, vcc_lo
	v_add_co_u32 v87, vcc_lo, s8, v87
	v_add_co_ci_u32_e32 v88, vcc_lo, s9, v88, vcc_lo
	global_store_b32 v[89:90], v85, off
	global_store_b32 v[87:88], v86, off
.LBB350_16:
	s_or_b32 exec_lo, exec_lo, s3
	s_waitcnt lgkmcnt(0)
	s_waitcnt_vscnt null, 0x0
	s_barrier
	buffer_gl0_inv
	ds_load_b128 v[93:96], v79
	ds_load_b128 v[97:100], v79 offset:16
	ds_load_b128 v[105:108], v79 offset:1040
	;; [unrolled: 1-line block ×5, first 2 shown]
	v_cmp_eq_u32_e32 vcc_lo, 1, v84
	v_mov_b32_e32 v85, 0
	ds_load_b128 v[121:124], v79 offset:3088
	ds_load_b128 v[117:120], v79 offset:3072
	;; [unrolled: 1-line block ×4, first 2 shown]
	v_cmp_eq_u32_e64 s3, 1, v80
	v_cmp_eq_u32_e64 s4, 1, v83
	;; [unrolled: 1-line block ×3, first 2 shown]
	v_mov_b32_e32 v86, v85
	v_mov_b32_e32 v87, v85
	;; [unrolled: 1-line block ×7, first 2 shown]
	v_cmp_eq_u32_e64 s6, 2, v80
	s_waitcnt lgkmcnt(8)
	s_delay_alu instid0(VALU_DEP_2)
	v_wmma_f32_16x16x16_f16 v[85:92], v[65:72], v[93:100], v[85:92]
	ds_load_b128 v[69:72], v79 offset:5136
	ds_load_b128 v[65:68], v79 offset:5120
	;; [unrolled: 1-line block ×4, first 2 shown]
	s_waitcnt lgkmcnt(10)
	v_wmma_f32_16x16x16_f16 v[85:92], v[57:64], v[101:108], v[85:92]
	s_waitcnt lgkmcnt(8)
	s_delay_alu instid0(VALU_DEP_1)
	v_wmma_f32_16x16x16_f16 v[85:92], v[57:64], v[109:116], v[85:92]
	ds_load_b128 v[61:64], v79 offset:7184
	ds_load_b128 v[57:60], v79 offset:7168
	;; [unrolled: 1-line block ×4, first 2 shown]
	s_waitcnt lgkmcnt(10)
	v_wmma_f32_16x16x16_f16 v[85:92], v[49:56], v[117:124], v[85:92]
	s_waitcnt lgkmcnt(8)
	s_delay_alu instid0(VALU_DEP_1)
	v_wmma_f32_16x16x16_f16 v[85:92], v[49:56], v[125:132], v[85:92]
	ds_load_b128 v[53:56], v79 offset:9232
	ds_load_b128 v[49:52], v79 offset:9216
	s_waitcnt lgkmcnt(8)
	v_wmma_f32_16x16x16_f16 v[85:92], v[41:48], v[65:72], v[85:92]
	ds_load_b128 v[69:72], v79 offset:10256
	ds_load_b128 v[65:68], v79 offset:10240
	s_waitcnt lgkmcnt(8)
	;; [unrolled: 4-line block ×7, first 2 shown]
	s_barrier
	buffer_gl0_inv
	v_wmma_f32_16x16x16_f16 v[85:92], v[33:40], v[41:48], v[85:92]
	s_delay_alu instid0(VALU_DEP_1) | instskip(NEXT) | instid1(VALU_DEP_1)
	v_wmma_f32_16x16x16_f16 v[85:92], v[33:40], v[57:64], v[85:92]
	v_wmma_f32_16x16x16_f16 v[85:92], v[25:32], v[9:16], v[85:92]
	s_delay_alu instid0(VALU_DEP_1) | instskip(NEXT) | instid1(VALU_DEP_1)
	v_wmma_f32_16x16x16_f16 v[85:92], v[25:32], v[49:56], v[85:92]
	v_wmma_f32_16x16x16_f16 v[85:92], v[17:24], v[1:8], v[85:92]
	s_delay_alu instid0(VALU_DEP_1) | instskip(NEXT) | instid1(VALU_DEP_2)
	v_cvt_f16_f32_e32 v1, v85
	v_cvt_f16_f32_e32 v2, v86
	s_delay_alu instid0(VALU_DEP_3) | instskip(NEXT) | instid1(VALU_DEP_4)
	v_cvt_f16_f32_e32 v3, v87
	v_cvt_f16_f32_e32 v4, v88
	;; [unrolled: 1-line block ×6, first 2 shown]
	v_pack_b32_f16 v1, v1, v2
	v_pack_b32_f16 v2, v3, v4
	;; [unrolled: 1-line block ×3, first 2 shown]
	s_delay_alu instid0(VALU_DEP_4)
	v_pack_b32_f16 v4, v7, v8
	ds_store_b128 v78, v[1:4]
	s_waitcnt lgkmcnt(0)
	s_barrier
	buffer_gl0_inv
	ds_load_b128 v[1:4], v81
	ds_load_b128 v[5:8], v81 offset:16
	s_waitcnt lgkmcnt(1)
	v_lshrrev_b32_e32 v9, 16, v1
	s_waitcnt lgkmcnt(0)
	v_lshrrev_b32_e32 v13, 16, v5
	v_lshrrev_b32_e32 v15, 16, v7
	;; [unrolled: 1-line block ×4, first 2 shown]
	v_cndmask_b32_e64 v17, v1, v9, s3
	v_cndmask_b32_e64 v18, v5, v13, s3
	;; [unrolled: 1-line block ×3, first 2 shown]
	v_cmp_eq_u32_e64 s3, 2, v82
	v_cndmask_b32_e64 v20, v5, v13, s5
	v_cndmask_b32_e32 v21, v1, v9, vcc_lo
	v_cndmask_b32_e32 v22, v5, v13, vcc_lo
	v_cndmask_b32_e64 v1, v1, v9, s4
	v_cndmask_b32_e64 v5, v5, v13, s4
	v_cmp_eq_u32_e32 vcc_lo, 2, v84
	v_cmp_eq_u32_e64 s4, 2, v83
	v_cndmask_b32_e64 v9, v17, v2, s6
	v_cndmask_b32_e64 v13, v18, v6, s6
	;; [unrolled: 1-line block ×4, first 2 shown]
	v_cndmask_b32_e32 v19, v21, v2, vcc_lo
	v_cmp_eq_u32_e64 s3, 3, v84
	v_cndmask_b32_e32 v20, v22, v6, vcc_lo
	v_cndmask_b32_e64 v1, v1, v2, s4
	v_cmp_eq_u32_e32 vcc_lo, 3, v83
	v_cmp_eq_u32_e64 s5, 3, v80
	v_cndmask_b32_e64 v2, v5, v6, s4
	v_cmp_eq_u32_e64 s4, 3, v82
	v_lshrrev_b32_e32 v16, 16, v8
	v_cmp_eq_u32_e64 s6, 4, v80
	v_cndmask_b32_e64 v5, v9, v10, s5
	v_cndmask_b32_e64 v6, v13, v14, s5
	;; [unrolled: 1-line block ×3, first 2 shown]
	v_cmp_eq_u32_e64 s5, 4, v82
	v_cndmask_b32_e64 v13, v18, v14, s4
	v_cndmask_b32_e64 v17, v19, v10, s3
	;; [unrolled: 1-line block ×3, first 2 shown]
	v_cndmask_b32_e32 v1, v1, v10, vcc_lo
	v_cndmask_b32_e32 v2, v2, v14, vcc_lo
	v_cmp_eq_u32_e32 vcc_lo, 4, v84
	v_cmp_eq_u32_e64 s4, 4, v83
	v_lshrrev_b32_e32 v11, 16, v3
	v_cndmask_b32_e64 v5, v5, v3, s6
	v_cndmask_b32_e64 v6, v6, v7, s6
	;; [unrolled: 1-line block ×4, first 2 shown]
	v_cndmask_b32_e32 v13, v17, v3, vcc_lo
	v_cmp_eq_u32_e64 s3, 5, v84
	v_cndmask_b32_e32 v14, v18, v7, vcc_lo
	v_cndmask_b32_e64 v1, v1, v3, s4
	v_cmp_eq_u32_e32 vcc_lo, 5, v83
	v_cmp_eq_u32_e64 s5, 5, v80
	v_cndmask_b32_e64 v2, v2, v7, s4
	v_cmp_eq_u32_e64 s4, 5, v82
	v_cmp_eq_u32_e64 s6, 6, v80
	v_cndmask_b32_e32 v1, v1, v11, vcc_lo
	v_cndmask_b32_e64 v3, v5, v11, s5
	v_cndmask_b32_e64 v5, v6, v15, s5
	;; [unrolled: 1-line block ×3, first 2 shown]
	v_cmp_eq_u32_e64 s5, 6, v82
	v_cndmask_b32_e64 v7, v10, v15, s4
	v_cndmask_b32_e64 v9, v13, v11, s3
	;; [unrolled: 1-line block ×3, first 2 shown]
	v_cndmask_b32_e32 v2, v2, v15, vcc_lo
	v_cmp_eq_u32_e32 vcc_lo, 6, v84
	v_cmp_eq_u32_e64 s3, 6, v83
	v_lshrrev_b32_e32 v12, 16, v4
	v_cndmask_b32_e64 v3, v3, v4, s6
	v_cndmask_b32_e64 v5, v5, v8, s6
	;; [unrolled: 1-line block ×4, first 2 shown]
	v_cndmask_b32_e32 v9, v9, v4, vcc_lo
	v_cmp_eq_u32_e64 s4, 7, v84
	v_cndmask_b32_e32 v10, v10, v8, vcc_lo
	v_cndmask_b32_e64 v1, v1, v4, s3
	v_cmp_eq_u32_e32 vcc_lo, 7, v83
	v_cndmask_b32_e64 v2, v2, v8, s3
	v_cmp_eq_u32_e64 s3, 7, v80
	v_cmp_eq_u32_e64 s5, 7, v82
	v_cndmask_b32_e32 v1, v1, v12, vcc_lo
	s_delay_alu instid0(VALU_DEP_4) | instskip(NEXT) | instid1(VALU_DEP_4)
	v_cndmask_b32_e32 v2, v2, v16, vcc_lo
	v_cndmask_b32_e64 v8, v3, v12, s3
	s_delay_alu instid0(VALU_DEP_4)
	v_cndmask_b32_e64 v6, v6, v12, s5
	v_cndmask_b32_e64 v3, v9, v12, s4
	;; [unrolled: 1-line block ×5, first 2 shown]
	v_perm_b32 v4, v2, v1, 0x5040100
	s_mov_b32 s3, exec_lo
	v_perm_b32 v3, v9, v3, 0x5040100
	v_perm_b32 v2, v7, v6, 0x5040100
	;; [unrolled: 1-line block ×3, first 2 shown]
	ds_store_b128 v78, v[1:4]
	s_waitcnt lgkmcnt(0)
	s_barrier
	buffer_gl0_inv
	v_cmpx_gt_u32_e32 32, v0
	s_cbranch_execz .LBB350_2
; %bb.17:
	s_load_b64 s[4:5], s[0:1], 0x68
	v_lshlrev_b32_e32 v0, 10, v0
	v_add_nc_u32_e32 v2, s31, v75
	v_lshlrev_b32_e32 v3, 4, v76
	s_lshl_b32 s0, s35, 7
	s_delay_alu instid0(SALU_CYCLE_1) | instskip(NEXT) | instid1(VALU_DEP_2)
	s_mul_i32 s1, s0, s34
	v_mul_lo_u32 v1, v2, s0
	s_delay_alu instid0(VALU_DEP_2) | instskip(SKIP_2) | instid1(SALU_CYCLE_1)
	v_and_or_b32 v0, 0x3800, v0, v3
	v_add_nc_u32_e32 v2, 2, v2
	s_mul_i32 s6, s1, s7
	s_ashr_i32 s7, s6, 31
	s_delay_alu instid0(VALU_DEP_2)
	v_lshl_or_b32 v7, v75, 6, v0
	s_lshl_b64 s[6:7], s[6:7], 1
	v_mul_lo_u32 v11, v2, s0
	v_ashrrev_i32_e32 v2, 31, v1
	ds_load_b128 v[3:6], v7
	ds_load_b128 v[7:10], v7 offset:128
	s_waitcnt lgkmcnt(0)
	s_add_u32 s1, s4, s6
	s_addc_u32 s3, s5, s7
	s_lshl_b32 s4, s14, 7
	v_ashrrev_i32_e32 v12, 31, v11
	s_ashr_i32 s5, s4, 31
	v_lshlrev_b64 v[13:14], 1, v[1:2]
	s_lshl_b64 s[4:5], s[4:5], 1
	s_delay_alu instid0(SALU_CYCLE_1) | instskip(SKIP_4) | instid1(VALU_DEP_3)
	s_add_u32 s1, s1, s4
	s_addc_u32 s3, s3, s5
	v_add_co_u32 v1, vcc_lo, s1, v73
	v_add_co_ci_u32_e32 v2, vcc_lo, s3, v74, vcc_lo
	v_lshlrev_b64 v[11:12], 1, v[11:12]
	v_add_co_u32 v13, vcc_lo, v1, v13
	s_delay_alu instid0(VALU_DEP_3) | instskip(NEXT) | instid1(VALU_DEP_3)
	v_add_co_ci_u32_e32 v14, vcc_lo, v2, v14, vcc_lo
	v_add_co_u32 v11, vcc_lo, v1, v11
	s_delay_alu instid0(VALU_DEP_4)
	v_add_co_ci_u32_e32 v12, vcc_lo, v2, v12, vcc_lo
	s_clause 0x1
	global_store_b128 v[13:14], v[3:6], off
	global_store_b128 v[11:12], v[7:10], off
	s_and_b32 exec_lo, exec_lo, s2
	s_cbranch_execz .LBB350_2
; %bb.18:
	ds_load_b128 v[3:6], v0 offset:256
	s_add_i32 s1, s31, 4
	s_delay_alu instid0(SALU_CYCLE_1) | instskip(NEXT) | instid1(SALU_CYCLE_1)
	s_mul_i32 s0, s1, s0
	s_ashr_i32 s1, s0, 31
	s_delay_alu instid0(SALU_CYCLE_1) | instskip(NEXT) | instid1(SALU_CYCLE_1)
	s_lshl_b64 s[0:1], s[0:1], 1
	v_add_co_u32 v0, vcc_lo, v1, s0
	v_add_co_ci_u32_e32 v1, vcc_lo, s1, v2, vcc_lo
	s_waitcnt lgkmcnt(0)
	global_store_b128 v[0:1], v[3:6], off
	s_nop 0
	s_sendmsg sendmsg(MSG_DEALLOC_VGPRS)
	s_endpgm
	.section	.rodata,"a",@progbits
	.p2align	6, 0x0
	.amdhsa_kernel _Z39paged_attention_ll4mi_QKV_mfma16_kernelIDF16_DF16_LN4vllm18Fp8KVCacheDataTypeE0EDF16_Li32ELi128ELi256ELb1ELi5EL8MFMAType0EEvPKT_PKT0_S8_ifPKiSA_SA_iPKfiiiPfSD_PS3_PT2_iSC_SC_
		.amdhsa_group_segment_fixed_size 17472
		.amdhsa_private_segment_fixed_size 0
		.amdhsa_kernarg_size 400
		.amdhsa_user_sgpr_count 13
		.amdhsa_user_sgpr_dispatch_ptr 0
		.amdhsa_user_sgpr_queue_ptr 0
		.amdhsa_user_sgpr_kernarg_segment_ptr 1
		.amdhsa_user_sgpr_dispatch_id 0
		.amdhsa_user_sgpr_private_segment_size 0
		.amdhsa_wavefront_size32 1
		.amdhsa_uses_dynamic_stack 0
		.amdhsa_enable_private_segment 0
		.amdhsa_system_sgpr_workgroup_id_x 1
		.amdhsa_system_sgpr_workgroup_id_y 1
		.amdhsa_system_sgpr_workgroup_id_z 1
		.amdhsa_system_sgpr_workgroup_info 0
		.amdhsa_system_vgpr_workitem_id 0
		.amdhsa_next_free_vgpr 172
		.amdhsa_next_free_sgpr 39
		.amdhsa_reserve_vcc 1
		.amdhsa_float_round_mode_32 0
		.amdhsa_float_round_mode_16_64 0
		.amdhsa_float_denorm_mode_32 3
		.amdhsa_float_denorm_mode_16_64 3
		.amdhsa_dx10_clamp 1
		.amdhsa_ieee_mode 1
		.amdhsa_fp16_overflow 0
		.amdhsa_workgroup_processor_mode 1
		.amdhsa_memory_ordered 1
		.amdhsa_forward_progress 0
		.amdhsa_shared_vgpr_count 0
		.amdhsa_exception_fp_ieee_invalid_op 0
		.amdhsa_exception_fp_denorm_src 0
		.amdhsa_exception_fp_ieee_div_zero 0
		.amdhsa_exception_fp_ieee_overflow 0
		.amdhsa_exception_fp_ieee_underflow 0
		.amdhsa_exception_fp_ieee_inexact 0
		.amdhsa_exception_int_div_zero 0
	.end_amdhsa_kernel
	.section	.text._Z39paged_attention_ll4mi_QKV_mfma16_kernelIDF16_DF16_LN4vllm18Fp8KVCacheDataTypeE0EDF16_Li32ELi128ELi256ELb1ELi5EL8MFMAType0EEvPKT_PKT0_S8_ifPKiSA_SA_iPKfiiiPfSD_PS3_PT2_iSC_SC_,"axG",@progbits,_Z39paged_attention_ll4mi_QKV_mfma16_kernelIDF16_DF16_LN4vllm18Fp8KVCacheDataTypeE0EDF16_Li32ELi128ELi256ELb1ELi5EL8MFMAType0EEvPKT_PKT0_S8_ifPKiSA_SA_iPKfiiiPfSD_PS3_PT2_iSC_SC_,comdat
.Lfunc_end350:
	.size	_Z39paged_attention_ll4mi_QKV_mfma16_kernelIDF16_DF16_LN4vllm18Fp8KVCacheDataTypeE0EDF16_Li32ELi128ELi256ELb1ELi5EL8MFMAType0EEvPKT_PKT0_S8_ifPKiSA_SA_iPKfiiiPfSD_PS3_PT2_iSC_SC_, .Lfunc_end350-_Z39paged_attention_ll4mi_QKV_mfma16_kernelIDF16_DF16_LN4vllm18Fp8KVCacheDataTypeE0EDF16_Li32ELi128ELi256ELb1ELi5EL8MFMAType0EEvPKT_PKT0_S8_ifPKiSA_SA_iPKfiiiPfSD_PS3_PT2_iSC_SC_
                                        ; -- End function
	.section	.AMDGPU.csdata,"",@progbits
; Kernel info:
; codeLenInByte = 7520
; NumSgprs: 41
; NumVgprs: 172
; ScratchSize: 0
; MemoryBound: 0
; FloatMode: 240
; IeeeMode: 1
; LDSByteSize: 17472 bytes/workgroup (compile time only)
; SGPRBlocks: 5
; VGPRBlocks: 21
; NumSGPRsForWavesPerEU: 41
; NumVGPRsForWavesPerEU: 172
; Occupancy: 8
; WaveLimiterHint : 1
; COMPUTE_PGM_RSRC2:SCRATCH_EN: 0
; COMPUTE_PGM_RSRC2:USER_SGPR: 13
; COMPUTE_PGM_RSRC2:TRAP_HANDLER: 0
; COMPUTE_PGM_RSRC2:TGID_X_EN: 1
; COMPUTE_PGM_RSRC2:TGID_Y_EN: 1
; COMPUTE_PGM_RSRC2:TGID_Z_EN: 1
; COMPUTE_PGM_RSRC2:TIDIG_COMP_CNT: 0
	.section	.text._Z39paged_attention_ll4mi_QKV_mfma16_kernelIDF16_DF16_LN4vllm18Fp8KVCacheDataTypeE0EDF16_Li32ELi128ELi256ELb1ELi6EL8MFMAType0EEvPKT_PKT0_S8_ifPKiSA_SA_iPKfiiiPfSD_PS3_PT2_iSC_SC_,"axG",@progbits,_Z39paged_attention_ll4mi_QKV_mfma16_kernelIDF16_DF16_LN4vllm18Fp8KVCacheDataTypeE0EDF16_Li32ELi128ELi256ELb1ELi6EL8MFMAType0EEvPKT_PKT0_S8_ifPKiSA_SA_iPKfiiiPfSD_PS3_PT2_iSC_SC_,comdat
	.protected	_Z39paged_attention_ll4mi_QKV_mfma16_kernelIDF16_DF16_LN4vllm18Fp8KVCacheDataTypeE0EDF16_Li32ELi128ELi256ELb1ELi6EL8MFMAType0EEvPKT_PKT0_S8_ifPKiSA_SA_iPKfiiiPfSD_PS3_PT2_iSC_SC_ ; -- Begin function _Z39paged_attention_ll4mi_QKV_mfma16_kernelIDF16_DF16_LN4vllm18Fp8KVCacheDataTypeE0EDF16_Li32ELi128ELi256ELb1ELi6EL8MFMAType0EEvPKT_PKT0_S8_ifPKiSA_SA_iPKfiiiPfSD_PS3_PT2_iSC_SC_
	.globl	_Z39paged_attention_ll4mi_QKV_mfma16_kernelIDF16_DF16_LN4vllm18Fp8KVCacheDataTypeE0EDF16_Li32ELi128ELi256ELb1ELi6EL8MFMAType0EEvPKT_PKT0_S8_ifPKiSA_SA_iPKfiiiPfSD_PS3_PT2_iSC_SC_
	.p2align	8
	.type	_Z39paged_attention_ll4mi_QKV_mfma16_kernelIDF16_DF16_LN4vllm18Fp8KVCacheDataTypeE0EDF16_Li32ELi128ELi256ELb1ELi6EL8MFMAType0EEvPKT_PKT0_S8_ifPKiSA_SA_iPKfiiiPfSD_PS3_PT2_iSC_SC_,@function
_Z39paged_attention_ll4mi_QKV_mfma16_kernelIDF16_DF16_LN4vllm18Fp8KVCacheDataTypeE0EDF16_Li32ELi128ELi256ELb1ELi6EL8MFMAType0EEvPKT_PKT0_S8_ifPKiSA_SA_iPKfiiiPfSD_PS3_PT2_iSC_SC_: ; @_Z39paged_attention_ll4mi_QKV_mfma16_kernelIDF16_DF16_LN4vllm18Fp8KVCacheDataTypeE0EDF16_Li32ELi128ELi256ELb1ELi6EL8MFMAType0EEvPKT_PKT0_S8_ifPKiSA_SA_iPKfiiiPfSD_PS3_PT2_iSC_SC_
; %bb.0:
	s_load_b64 s[2:3], s[0:1], 0x30
	s_mov_b32 s30, s13
	s_waitcnt lgkmcnt(0)
	s_cmp_lg_u64 s[2:3], 0
	s_cselect_b32 s6, -1, 0
	s_ashr_i32 s31, s13, 31
	s_cmp_eq_u64 s[2:3], 0
	s_cbranch_scc1 .LBB351_3
; %bb.1:
	s_lshl_b64 s[4:5], s[30:31], 2
	s_delay_alu instid0(SALU_CYCLE_1) | instskip(SKIP_4) | instid1(SALU_CYCLE_1)
	s_add_u32 s4, s2, s4
	s_addc_u32 s5, s3, s5
	s_load_b64 s[4:5], s[4:5], 0x0
	s_waitcnt lgkmcnt(0)
	s_sub_i32 s4, s5, s4
	s_cmp_eq_u32 s4, 1
	s_cselect_b32 s4, -1, 0
	s_delay_alu instid0(SALU_CYCLE_1)
	s_and_not1_b32 vcc_lo, exec_lo, s4
	s_cbranch_vccz .LBB351_4
.LBB351_2:
	s_endpgm
.LBB351_3:
.LBB351_4:
	s_load_b64 s[8:9], s[0:1], 0x28
	s_lshl_b64 s[4:5], s[30:31], 2
	s_waitcnt lgkmcnt(0)
	s_add_u32 s8, s8, s4
	s_addc_u32 s9, s9, s5
	s_lshl_b32 s12, s14, 8
	s_load_b32 s17, s[8:9], 0x0
	s_waitcnt lgkmcnt(0)
	s_cmp_ge_i32 s12, s17
	s_cbranch_scc1 .LBB351_2
; %bb.5:
	s_and_not1_b32 vcc_lo, exec_lo, s6
	s_cbranch_vccnz .LBB351_7
; %bb.6:
	s_add_u32 s2, s2, s4
	s_addc_u32 s3, s3, s5
	s_load_b32 s13, s[2:3], 0x0
	s_branch .LBB351_8
.LBB351_7:
	s_mov_b32 s13, s30
.LBB351_8:
	s_clause 0x2
	s_load_b128 s[8:11], s[0:1], 0x8
	s_load_b64 s[2:3], s[0:1], 0x20
	s_load_b128 s[4:7], s[0:1], 0x48
	v_and_b32_e32 v77, 15, v0
	s_waitcnt lgkmcnt(0)
	s_mov_b32 s7, exec_lo
	s_delay_alu instid0(VALU_DEP_1)
	v_lshlrev_b32_e32 v1, 3, v77
	v_cmpx_lt_u32_e32 0x5f, v0
	s_xor_b32 s7, exec_lo, s7
; %bb.9:
	v_mov_b32_e32 v2, 0
; %bb.10:
	s_or_saveexec_b32 s7, s7
	v_lshrrev_b32_e32 v78, 5, v0
	v_and_b32_e32 v80, 31, v0
	v_and_b32_e32 v76, 1, v0
	v_bfe_u32 v75, v0, 4, 1
	s_mul_i32 s31, s15, 6
	s_xor_b32 exec_lo, exec_lo, s7
	s_cbranch_execz .LBB351_12
; %bb.11:
	s_load_b64 s[18:19], s[0:1], 0x0
	v_lshl_or_b32 v7, v78, 1, v75
	s_mul_hi_i32 s21, s13, s4
	s_mul_i32 s20, s13, s4
	v_lshlrev_b32_e32 v4, 1, v1
	s_lshl_b64 s[20:21], s[20:21], 1
	v_add_lshl_u32 v2, v7, s31, 7
	v_lshlrev_b32_e32 v7, 6, v7
	v_lshlrev_b32_e32 v8, 10, v76
	s_delay_alu instid0(VALU_DEP_3) | instskip(NEXT) | instid1(VALU_DEP_1)
	v_ashrrev_i32_e32 v3, 31, v2
	v_lshlrev_b64 v[2:3], 1, v[2:3]
	s_waitcnt lgkmcnt(0)
	s_add_u32 s4, s18, s20
	s_addc_u32 s13, s19, s21
	s_delay_alu instid0(VALU_DEP_1) | instskip(NEXT) | instid1(VALU_DEP_2)
	v_add_co_u32 v2, vcc_lo, s4, v2
	v_add_co_ci_u32_e32 v3, vcc_lo, s13, v3, vcc_lo
	s_delay_alu instid0(VALU_DEP_2) | instskip(NEXT) | instid1(VALU_DEP_2)
	v_add_co_u32 v2, vcc_lo, v2, v4
	v_add_co_ci_u32_e32 v3, vcc_lo, 0, v3, vcc_lo
	global_load_b128 v[3:6], v[2:3], off
	v_lshlrev_b32_e32 v2, 10, v77
	s_delay_alu instid0(VALU_DEP_1) | instskip(NEXT) | instid1(VALU_DEP_1)
	v_and_b32_e32 v2, 0x3800, v2
	v_or3_b32 v7, v2, v8, v7
	v_mov_b32_e32 v2, 0
	s_waitcnt vmcnt(0)
	ds_store_b128 v7, v[3:6]
.LBB351_12:
	s_or_b32 exec_lo, exec_lo, s7
	v_and_b32_e32 v3, 0xef, v0
	s_add_i32 s4, s17, 31
	s_clause 0x1
	s_load_b32 s7, s[0:1], 0x38
	s_load_b32 s33, s[0:1], 0x98
	s_ashr_i32 s13, s4, 31
	v_add_nc_u32_e32 v3, s12, v3
	s_lshr_b32 s13, s13, 27
	s_load_b32 s18, s[0:1], 0x1c
	s_add_i32 s4, s4, s13
	s_waitcnt lgkmcnt(0)
	v_ashrrev_i32_e32 v4, 31, v3
	v_cmp_gt_i32_e32 vcc_lo, s17, v3
	s_ashr_i32 s4, s4, 5
	s_barrier
	s_add_i32 s4, s4, -1
	v_lshrrev_b32_e32 v5, 27, v4
	v_or_b32_e32 v4, 16, v3
	buffer_gl0_inv
	v_lshlrev_b64 v[73:74], 1, v[1:2]
	v_lshlrev_b32_e32 v79, 6, v77
	v_add_nc_u32_e32 v6, v3, v5
	v_add_nc_u32_e32 v5, v4, v5
	s_mul_i32 s20, s30, s7
	s_delay_alu instid0(SALU_CYCLE_1) | instskip(NEXT) | instid1(VALU_DEP_2)
	s_ashr_i32 s21, s20, 31
	v_ashrrev_i32_e32 v6, 5, v6
	s_delay_alu instid0(VALU_DEP_2) | instskip(SKIP_1) | instid1(SALU_CYCLE_1)
	v_ashrrev_i32_e32 v5, 5, v5
	s_lshl_b64 s[20:21], s[20:21], 2
	s_add_u32 s13, s2, s20
	s_delay_alu instid0(VALU_DEP_2) | instskip(SKIP_3) | instid1(SALU_CYCLE_1)
	v_cndmask_b32_e32 v3, s4, v6, vcc_lo
	v_cmp_gt_i32_e32 vcc_lo, s17, v4
	s_addc_u32 s16, s3, s21
	s_mul_i32 s2, s15, s6
	s_ashr_i32 s3, s2, 31
	v_cndmask_b32_e32 v5, s4, v5, vcc_lo
	v_ashrrev_i32_e32 v4, 31, v3
	s_lshl_b64 s[2:3], s[2:3], 1
	s_delay_alu instid0(SALU_CYCLE_1) | instskip(NEXT) | instid1(VALU_DEP_2)
	s_add_u32 s15, s8, s2
	v_ashrrev_i32_e32 v6, 31, v5
	s_delay_alu instid0(VALU_DEP_2) | instskip(SKIP_2) | instid1(VALU_DEP_2)
	v_lshlrev_b64 v[3:4], 2, v[3:4]
	s_addc_u32 s19, s9, s3
	s_lshl_b32 s6, s14, 3
	v_lshlrev_b64 v[5:6], 2, v[5:6]
	s_ashr_i32 s7, s6, 31
	s_delay_alu instid0(VALU_DEP_2) | instskip(SKIP_1) | instid1(VALU_DEP_3)
	v_add_co_u32 v3, vcc_lo, s13, v3
	v_add_co_ci_u32_e32 v4, vcc_lo, s16, v4, vcc_lo
	v_add_co_u32 v5, vcc_lo, s13, v5
	s_delay_alu instid0(VALU_DEP_4)
	v_add_co_ci_u32_e32 v6, vcc_lo, s16, v6, vcc_lo
	s_lshl_b64 s[6:7], s[6:7], 2
	s_clause 0x1
	global_load_b32 v7, v[3:4], off
	global_load_b32 v8, v[5:6], off
	s_add_u32 s6, s13, s6
	s_addc_u32 s7, s16, s7
	s_or_b32 s8, s12, 32
	s_delay_alu instid0(SALU_CYCLE_1) | instskip(SKIP_2) | instid1(SALU_CYCLE_1)
	s_ashr_i32 s9, s8, 5
	s_cmp_lt_i32 s8, s17
	s_cselect_b32 s8, s9, s4
	s_ashr_i32 s9, s8, 31
	s_delay_alu instid0(SALU_CYCLE_1) | instskip(NEXT) | instid1(SALU_CYCLE_1)
	s_lshl_b64 s[8:9], s[8:9], 2
	s_add_u32 s8, s13, s8
	s_addc_u32 s9, s16, s9
	s_or_b32 s20, s12, 64
	s_delay_alu instid0(SALU_CYCLE_1) | instskip(SKIP_2) | instid1(SALU_CYCLE_1)
	s_ashr_i32 s21, s20, 5
	s_cmp_lt_i32 s20, s17
	s_cselect_b32 s20, s21, s4
	s_ashr_i32 s21, s20, 31
	s_delay_alu instid0(SALU_CYCLE_1) | instskip(NEXT) | instid1(SALU_CYCLE_1)
	s_lshl_b64 s[20:21], s[20:21], 2
	s_add_u32 s20, s13, s20
	s_addc_u32 s21, s16, s21
	s_or_b32 s22, s12, 0x60
	s_delay_alu instid0(SALU_CYCLE_1) | instskip(SKIP_2) | instid1(SALU_CYCLE_1)
	s_ashr_i32 s23, s22, 5
	s_cmp_lt_i32 s22, s17
	s_cselect_b32 s22, s23, s4
	s_ashr_i32 s23, s22, 31
	s_delay_alu instid0(SALU_CYCLE_1) | instskip(NEXT) | instid1(SALU_CYCLE_1)
	s_lshl_b64 s[22:23], s[22:23], 2
	s_add_u32 s22, s13, s22
	s_addc_u32 s23, s16, s23
	s_or_b32 s24, s12, 0x80
	s_delay_alu instid0(SALU_CYCLE_1) | instskip(SKIP_2) | instid1(SALU_CYCLE_1)
	s_ashr_i32 s25, s24, 5
	s_cmp_lt_i32 s24, s17
	s_cselect_b32 s24, s25, s4
	s_ashr_i32 s25, s24, 31
	s_delay_alu instid0(SALU_CYCLE_1) | instskip(NEXT) | instid1(SALU_CYCLE_1)
	s_lshl_b64 s[24:25], s[24:25], 2
	s_add_u32 s24, s13, s24
	s_addc_u32 s25, s16, s25
	s_or_b32 s26, s12, 0xa0
	s_delay_alu instid0(SALU_CYCLE_1) | instskip(SKIP_2) | instid1(SALU_CYCLE_1)
	s_ashr_i32 s27, s26, 5
	s_cmp_lt_i32 s26, s17
	s_cselect_b32 s26, s27, s4
	s_ashr_i32 s27, s26, 31
	s_delay_alu instid0(SALU_CYCLE_1) | instskip(NEXT) | instid1(SALU_CYCLE_1)
	s_lshl_b64 s[26:27], s[26:27], 2
	s_add_u32 s26, s13, s26
	s_addc_u32 s27, s16, s27
	s_clause 0x5
	s_load_b32 s28, s[6:7], 0x0
	s_load_b32 s29, s[8:9], 0x0
	;; [unrolled: 1-line block ×6, first 2 shown]
	s_mov_b32 s20, 0
	s_or_b32 s6, s12, 0xc0
	s_mov_b32 s21, s20
	s_mov_b32 s22, s20
	s_mov_b32 s23, s20
	s_mov_b32 s24, s20
	s_mov_b32 s25, s20
	s_mov_b32 s26, s20
	s_mov_b32 s27, s20
	s_ashr_i32 s7, s6, 5
	v_mov_b32_e32 v128, s27
	s_cmp_lt_i32 s6, s17
	v_mov_b32_e32 v127, s26
	s_cselect_b32 s6, s7, s4
	v_mov_b32_e32 v126, s25
	s_ashr_i32 s7, s6, 31
	v_mov_b32_e32 v125, s24
	s_lshl_b64 s[6:7], s[6:7], 2
	v_mov_b32_e32 v124, s23
	s_add_u32 s6, s13, s6
	s_addc_u32 s7, s16, s7
	v_mov_b32_e32 v123, s22
	v_mov_b32_e32 v121, s20
	s_waitcnt lgkmcnt(0)
	s_mul_hi_i32 s9, s28, s5
	s_mul_i32 s8, s28, s5
	v_mov_b32_e32 v122, s21
	s_mul_hi_i32 s21, s29, s5
	s_mul_i32 s20, s29, s5
	s_mul_hi_i32 s25, s34, s5
	s_mul_i32 s24, s34, s5
	;; [unrolled: 2-line block ×4, first 2 shown]
	s_waitcnt vmcnt(1)
	v_mad_i64_i32 v[3:4], null, v7, s5, 0
	s_waitcnt vmcnt(0)
	v_mad_i64_i32 v[5:6], null, v8, s5, 0
	s_delay_alu instid0(VALU_DEP_2) | instskip(NEXT) | instid1(VALU_DEP_2)
	v_lshlrev_b64 v[3:4], 1, v[3:4]
	v_lshlrev_b64 v[1:2], 1, v[5:6]
	s_delay_alu instid0(VALU_DEP_2) | instskip(NEXT) | instid1(VALU_DEP_3)
	v_add_co_u32 v3, vcc_lo, s15, v3
	v_add_co_ci_u32_e32 v4, vcc_lo, s19, v4, vcc_lo
	s_delay_alu instid0(VALU_DEP_3) | instskip(NEXT) | instid1(VALU_DEP_4)
	v_add_co_u32 v1, vcc_lo, s15, v1
	v_add_co_ci_u32_e32 v2, vcc_lo, s19, v2, vcc_lo
	s_delay_alu instid0(VALU_DEP_4) | instskip(NEXT) | instid1(VALU_DEP_4)
	v_add_co_u32 v65, vcc_lo, v3, v73
	v_add_co_ci_u32_e32 v66, vcc_lo, v4, v74, vcc_lo
	s_delay_alu instid0(VALU_DEP_4) | instskip(NEXT) | instid1(VALU_DEP_4)
	v_add_co_u32 v67, vcc_lo, v1, v73
	v_add_co_ci_u32_e32 v68, vcc_lo, v2, v74, vcc_lo
	s_clause 0xf
	global_load_b128 v[1:4], v[65:66], off
	global_load_b128 v[5:8], v[65:66], off offset:512
	global_load_b128 v[9:12], v[67:68], off offset:256
	global_load_b128 v[13:16], v[67:68], off offset:768
	global_load_b128 v[17:20], v[65:66], off offset:1024
	global_load_b128 v[21:24], v[65:66], off offset:1536
	global_load_b128 v[25:28], v[67:68], off offset:1280
	global_load_b128 v[29:32], v[67:68], off offset:1792
	global_load_b128 v[33:36], v[65:66], off offset:2048
	global_load_b128 v[37:40], v[65:66], off offset:2560
	global_load_b128 v[41:44], v[67:68], off offset:2304
	global_load_b128 v[45:48], v[67:68], off offset:2816
	global_load_b128 v[49:52], v[65:66], off offset:3072
	global_load_b128 v[53:56], v[65:66], off offset:3584
	global_load_b128 v[57:60], v[67:68], off offset:3328
	global_load_b128 v[61:64], v[67:68], off offset:3840
	v_add_co_u32 v157, vcc_lo, 0x1000, v65
	v_add_co_ci_u32_e32 v158, vcc_lo, 0, v66, vcc_lo
	v_add_co_u32 v165, vcc_lo, 0x1000, v67
	v_add_co_ci_u32_e32 v166, vcc_lo, 0, v68, vcc_lo
	s_clause 0x7
	global_load_b128 v[81:84], v[157:158], off
	global_load_b128 v[85:88], v[157:158], off offset:512
	global_load_b128 v[89:92], v[165:166], off offset:256
	;; [unrolled: 1-line block ×7, first 2 shown]
	v_mul_lo_u16 v65, v77, 43
	s_or_b32 s15, s12, 0xe0
	s_delay_alu instid0(SALU_CYCLE_1) | instskip(SKIP_1) | instid1(VALU_DEP_1)
	s_ashr_i32 s19, s15, 5
	s_cmp_lt_i32 s15, s17
	v_lshrrev_b16 v65, 8, v65
	s_cselect_b32 s22, s19, s4
	s_delay_alu instid0(SALU_CYCLE_1) | instskip(NEXT) | instid1(VALU_DEP_1)
	s_ashr_i32 s23, s22, 31
	v_mul_lo_u16 v65, v65, 6
	s_lshl_b64 s[22:23], s[22:23], 2
	s_delay_alu instid0(SALU_CYCLE_1) | instskip(SKIP_1) | instid1(VALU_DEP_1)
	s_add_u32 s22, s13, s22
	s_addc_u32 s23, s16, s23
	v_sub_nc_u16 v65, v77, v65
	s_add_i32 s15, s12, 0x100
	s_delay_alu instid0(SALU_CYCLE_1) | instskip(SKIP_1) | instid1(VALU_DEP_1)
	s_ashr_i32 s19, s15, 5
	s_cmp_lt_i32 s15, s17
	v_and_b32_e32 v65, 0xff, v65
	s_cselect_b32 s28, s19, s4
	s_delay_alu instid0(SALU_CYCLE_1) | instskip(NEXT) | instid1(VALU_DEP_1)
	s_ashr_i32 s29, s28, 31
	v_lshlrev_b32_e32 v169, 6, v65
	ds_load_b128 v[65:68], v169
	ds_load_b128 v[69:72], v169 offset:1024
	s_clause 0x1
	global_load_b128 v[113:116], v[157:158], off offset:2048
	global_load_b128 v[117:120], v[157:158], off offset:2560
	ds_load_b128 v[129:132], v169 offset:2048
	ds_load_b128 v[133:136], v169 offset:3072
	s_clause 0x5
	global_load_b128 v[145:148], v[165:166], off offset:2304
	global_load_b128 v[149:152], v[165:166], off offset:2816
	;; [unrolled: 1-line block ×6, first 2 shown]
	s_lshl_b64 s[28:29], s[28:29], 2
	s_delay_alu instid0(SALU_CYCLE_1)
	s_add_u32 s28, s13, s28
	s_addc_u32 s29, s16, s29
	s_add_u32 s4, s10, s2
	s_addc_u32 s19, s11, s3
	s_lshl_b64 s[2:3], s[8:9], 1
	s_lshl_b64 s[8:9], s[20:21], 1
	;; [unrolled: 1-line block ×4, first 2 shown]
	s_waitcnt vmcnt(30) lgkmcnt(2)
	v_wmma_f32_16x16x16_f16 v[137:144], v[1:8], v[65:72], v[121:128]
	ds_load_b128 v[1:4], v169 offset:4096
	ds_load_b128 v[5:8], v169 offset:5120
	s_waitcnt vmcnt(28)
	v_wmma_f32_16x16x16_f16 v[121:128], v[9:16], v[65:72], v[121:128]
	ds_load_b128 v[9:12], v169 offset:6144
	ds_load_b128 v[13:16], v169 offset:7168
	s_waitcnt vmcnt(26) lgkmcnt(4)
	v_wmma_f32_16x16x16_f16 v[137:144], v[17:24], v[129:136], v[137:144]
	ds_load_b128 v[17:20], v169 offset:8192
	ds_load_b128 v[21:24], v169 offset:9216
	s_waitcnt vmcnt(24)
	v_wmma_f32_16x16x16_f16 v[121:128], v[25:32], v[129:136], v[121:128]
	v_lshl_or_b32 v25, v78, 10, v79
	ds_load_b128 v[129:132], v169 offset:10240
	ds_load_b128 v[133:136], v169 offset:11264
	s_clause 0x2
	s_load_b32 s15, s[6:7], 0x0
	s_load_b32 s13, s[22:23], 0x0
	;; [unrolled: 1-line block ×3, first 2 shown]
	s_mul_hi_i32 s7, s36, s5
	v_add_co_u32 v170, s4, s4, v25
	s_delay_alu instid0(VALU_DEP_1)
	v_add_co_ci_u32_e64 v171, null, s19, 0, s4
	s_mul_i32 s6, s36, s5
	s_lshl_b64 s[22:23], s[34:35], 1
	s_lshl_b64 s[6:7], s[6:7], 1
	s_waitcnt vmcnt(22) lgkmcnt(0)
	v_wmma_f32_16x16x16_f16 v[137:144], v[33:40], v[1:8], v[137:144]
	s_waitcnt vmcnt(20)
	v_wmma_f32_16x16x16_f16 v[121:128], v[41:48], v[1:8], v[121:128]
	v_add_co_u32 v1, vcc_lo, v170, s2
	v_add_co_ci_u32_e32 v2, vcc_lo, s3, v171, vcc_lo
	v_add_co_u32 v3, vcc_lo, v170, s8
	v_add_co_ci_u32_e32 v4, vcc_lo, s9, v171, vcc_lo
	;; [unrolled: 2-line block ×4, first 2 shown]
	v_add_co_u32 v25, vcc_lo, v170, s6
	s_mul_hi_i32 s25, s15, s5
	s_mul_i32 s24, s15, s5
	v_add_co_ci_u32_e32 v26, vcc_lo, s7, v171, vcc_lo
	v_add_co_u32 v27, vcc_lo, v170, s22
	s_lshl_b64 s[24:25], s[24:25], 1
	s_waitcnt vmcnt(18)
	v_wmma_f32_16x16x16_f16 v[137:144], v[49:56], v[9:16], v[137:144]
	s_waitcnt vmcnt(16)
	v_wmma_f32_16x16x16_f16 v[121:128], v[57:64], v[9:16], v[121:128]
	v_add_co_ci_u32_e32 v28, vcc_lo, s23, v171, vcc_lo
	s_mul_hi_i32 s3, s13, s5
	s_mul_i32 s2, s13, s5
	v_add_co_u32 v29, vcc_lo, v170, s24
	s_lshl_b64 s[2:3], s[2:3], 1
	v_add_co_ci_u32_e32 v30, vcc_lo, s25, v171, vcc_lo
	s_waitcnt vmcnt(14)
	v_wmma_f32_16x16x16_f16 v[137:144], v[81:88], v[17:24], v[137:144]
	s_waitcnt vmcnt(12)
	v_wmma_f32_16x16x16_f16 v[121:128], v[89:96], v[17:24], v[121:128]
	v_add_co_u32 v17, vcc_lo, v170, s2
	v_add_co_ci_u32_e32 v18, vcc_lo, s3, v171, vcc_lo
	s_mul_hi_i32 s3, s16, s5
	s_mul_i32 s2, s16, s5
	s_clause 0x5
	global_load_b128 v[65:68], v[1:2], off
	global_load_b128 v[69:72], v[1:2], off offset:16
	global_load_b128 v[57:60], v[3:4], off
	global_load_b128 v[61:64], v[3:4], off offset:16
	;; [unrolled: 2-line block ×3, first 2 shown]
	s_lshl_b64 s[2:3], s[2:3], 1
	s_clause 0x1
	global_load_b128 v[41:44], v[7:8], off
	global_load_b128 v[45:48], v[7:8], off offset:16
	v_add_co_u32 v21, vcc_lo, v170, s2
	v_add_co_ci_u32_e32 v22, vcc_lo, s3, v171, vcc_lo
	s_clause 0x9
	global_load_b128 v[9:12], v[25:26], off
	global_load_b128 v[13:16], v[25:26], off offset:16
	global_load_b128 v[1:4], v[27:28], off
	global_load_b128 v[5:8], v[27:28], off offset:16
	;; [unrolled: 2-line block ×5, first 2 shown]
	ds_load_b128 v[81:84], v169 offset:12288
	ds_load_b128 v[85:88], v169 offset:13312
	v_and_b32_e32 v89, 0xe0, v0
	s_waitcnt vmcnt(28)
	v_wmma_f32_16x16x16_f16 v[137:144], v[97:104], v[129:136], v[137:144]
	v_mbcnt_lo_u32_b32 v97, -1, 0
	s_waitcnt vmcnt(26)
	v_wmma_f32_16x16x16_f16 v[121:128], v[105:112], v[129:136], v[121:128]
	v_add_nc_u32_e32 v98, s12, v89
	ds_load_b128 v[89:92], v169 offset:14336
	ds_load_b128 v[93:96], v169 offset:15360
	v_xor_b32_e32 v99, 16, v97
	s_waitcnt vmcnt(0) lgkmcnt(0)
	s_barrier
	v_or_b32_e32 v98, v98, v75
	buffer_gl0_inv
	v_cmp_gt_i32_e32 vcc_lo, 32, v99
	v_or_b32_e32 v100, 4, v98
	v_or_b32_e32 v101, 22, v98
	;; [unrolled: 1-line block ×4, first 2 shown]
	v_wmma_f32_16x16x16_f16 v[137:144], v[113:120], v[81:88], v[137:144]
	v_wmma_f32_16x16x16_f16 v[121:128], v[145:152], v[81:88], v[121:128]
	v_or_b32_e32 v81, 6, v98
	v_or_b32_e32 v82, 8, v98
	;; [unrolled: 1-line block ×3, first 2 shown]
	v_cmp_gt_i32_e64 s3, s17, v100
	v_or_b32_e32 v84, 12, v98
	v_wmma_f32_16x16x16_f16 v[137:144], v[153:160], v[89:96], v[137:144]
	v_wmma_f32_16x16x16_f16 v[121:128], v[161:168], v[89:96], v[121:128]
	v_cndmask_b32_e32 v97, v97, v99, vcc_lo
	v_or_b32_e32 v99, 2, v98
	v_cmp_gt_i32_e32 vcc_lo, s17, v98
	v_dual_mul_f32 v95, s18, v138 :: v_dual_mul_f32 v96, s18, v137
	v_mul_f32_e32 v93, s18, v140
	s_delay_alu instid0(VALU_DEP_4)
	v_cmp_gt_i32_e64 s2, s17, v99
	v_mul_f32_e32 v94, s18, v139
	v_mul_f32_e32 v108, s18, v126
	v_cndmask_b32_e32 v96, 0xff7fffff, v96, vcc_lo
	v_cmp_gt_i32_e64 s4, s17, v81
	v_cndmask_b32_e64 v95, 0xff7fffff, v95, s2
	v_or_b32_e32 v85, 14, v98
	v_dual_mul_f32 v91, s18, v142 :: v_dual_mul_f32 v110, s18, v124
	v_mul_f32_e32 v92, s18, v141
	v_cndmask_b32_e64 v94, 0xff7fffff, v94, s3
	v_cndmask_b32_e64 v81, 0xff7fffff, v93, s4
	v_max3_f32 v93, v96, 0xff7fffff, v95
	v_cmp_gt_i32_e64 s5, s17, v82
	v_cmp_gt_i32_e64 s6, s17, v83
	v_or_b32_e32 v86, 16, v98
	v_or_b32_e32 v87, 18, v98
	v_dual_mul_f32 v89, s18, v144 :: v_dual_mul_f32 v112, s18, v122
	v_mul_f32_e32 v90, s18, v143
	v_cndmask_b32_e64 v82, 0xff7fffff, v92, s5
	v_cndmask_b32_e64 v83, 0xff7fffff, v91, s6
	v_max3_f32 v81, v93, v94, v81
	v_cmp_gt_i32_e64 s7, s17, v84
	v_cmp_gt_i32_e64 s8, s17, v85
	v_or_b32_e32 v88, 20, v98
	v_mul_f32_e32 v113, s18, v121
	v_max3_f32 v81, v81, v82, v83
	v_cndmask_b32_e64 v84, 0xff7fffff, v90, s7
	v_cndmask_b32_e64 v85, 0xff7fffff, v89, s8
	v_cmp_gt_i32_e64 s9, s17, v86
	v_cmp_gt_i32_e64 s10, s17, v87
	v_mul_f32_e32 v111, s18, v123
	v_cmp_gt_i32_e64 s11, s17, v88
	v_max3_f32 v81, v81, v84, v85
	v_cndmask_b32_e64 v82, 0xff7fffff, v113, s9
	v_cndmask_b32_e64 v83, 0xff7fffff, v112, s10
	v_cmp_gt_i32_e64 s12, s17, v101
	v_or_b32_e32 v104, 28, v98
	v_or_b32_e32 v105, 30, v98
	v_mul_f32_e32 v109, s18, v125
	v_cndmask_b32_e64 v84, 0xff7fffff, v111, s11
	v_cndmask_b32_e64 v85, 0xff7fffff, v110, s12
	v_max3_f32 v81, v81, v82, v83
	v_cmp_gt_i32_e64 s13, s17, v102
	v_cmp_gt_i32_e64 s15, s17, v103
	v_dual_mul_f32 v106, s18, v128 :: v_dual_mul_f32 v107, s18, v127
	s_delay_alu instid0(VALU_DEP_4) | instskip(NEXT) | instid1(VALU_DEP_4)
	v_max3_f32 v81, v81, v84, v85
	v_cndmask_b32_e64 v82, 0xff7fffff, v109, s13
	s_delay_alu instid0(VALU_DEP_4) | instskip(SKIP_2) | instid1(VALU_DEP_3)
	v_cndmask_b32_e64 v83, 0xff7fffff, v108, s15
	v_cmp_gt_i32_e64 s16, s17, v104
	v_cmp_gt_i32_e64 s17, s17, v105
	v_max3_f32 v81, v81, v82, v83
	s_delay_alu instid0(VALU_DEP_3) | instskip(NEXT) | instid1(VALU_DEP_3)
	v_cndmask_b32_e64 v84, 0xff7fffff, v107, s16
	v_cndmask_b32_e64 v85, 0xff7fffff, v106, s17
	v_lshlrev_b32_e32 v83, 2, v97
	s_delay_alu instid0(VALU_DEP_2) | instskip(SKIP_3) | instid1(VALU_DEP_1)
	v_max3_f32 v81, v81, v84, v85
	ds_bpermute_b32 v82, v83, v81
	s_waitcnt lgkmcnt(0)
	v_max_f32_e32 v82, v82, v82
	v_max_f32_e32 v81, v81, v82
	s_delay_alu instid0(VALU_DEP_1)
	v_fma_f32 v82, s18, v137, -v81
	v_fma_f32 v84, s18, v138, -v81
	;; [unrolled: 1-line block ×5, first 2 shown]
	v_mul_f32_e32 v82, 0x3fb8aa3b, v82
	s_delay_alu instid0(VALU_DEP_4) | instskip(NEXT) | instid1(VALU_DEP_3)
	v_dual_mul_f32 v84, 0x3fb8aa3b, v84 :: v_dual_mul_f32 v89, 0x3fb8aa3b, v87
	v_mul_f32_e32 v86, 0x3fb8aa3b, v86
	s_delay_alu instid0(VALU_DEP_3) | instskip(NEXT) | instid1(VALU_DEP_2)
	v_exp_f32_e32 v82, v82
	v_exp_f32_e32 v84, v84
	s_delay_alu instid0(VALU_DEP_2) | instskip(NEXT) | instid1(VALU_DEP_1)
	v_exp_f32_e32 v92, v89
	v_exp_f32_e32 v86, v86
	v_cndmask_b32_e32 v88, 0, v82, vcc_lo
	s_delay_alu instid0(TRANS32_DEP_3)
	v_cndmask_b32_e64 v87, 0, v84, s2
	s_waitcnt_depctr 0xfff
	v_cndmask_b32_e64 v92, 0, v92, s5
	s_mov_b32 s2, exec_lo
	v_cndmask_b32_e64 v89, 0, v86, s4
	v_add_f32_e32 v84, 0, v88
	s_delay_alu instid0(VALU_DEP_1) | instskip(NEXT) | instid1(VALU_DEP_1)
	v_dual_add_f32 v84, v84, v87 :: v_dual_mul_f32 v85, 0x3fb8aa3b, v85
	v_exp_f32_e32 v85, v85
	s_waitcnt_depctr 0xfff
	v_cndmask_b32_e64 v90, 0, v85, s3
	s_delay_alu instid0(VALU_DEP_1) | instskip(NEXT) | instid1(VALU_DEP_1)
	v_add_f32_e32 v84, v84, v90
	v_add_f32_e32 v84, v84, v89
	v_fma_f32 v82, s18, v142, -v81
	v_fma_f32 v91, s18, v143, -v81
	;; [unrolled: 1-line block ×5, first 2 shown]
	s_delay_alu instid0(VALU_DEP_4) | instskip(SKIP_1) | instid1(VALU_DEP_4)
	v_dual_mul_f32 v82, 0x3fb8aa3b, v82 :: v_dual_mul_f32 v91, 0x3fb8aa3b, v91
	v_fma_f32 v96, s18, v124, -v81
	v_mul_f32_e32 v86, 0x3fb8aa3b, v86
	v_fma_f32 v99, s18, v127, -v81
	s_delay_alu instid0(VALU_DEP_4) | instskip(SKIP_3) | instid1(VALU_DEP_1)
	v_exp_f32_e32 v82, v82
	v_exp_f32_e32 v93, v91
	v_mul_f32_e32 v97, 0x3fb8aa3b, v96
	v_exp_f32_e32 v86, v86
	v_exp_f32_e32 v97, v97
	v_cndmask_b32_e64 v91, 0, v82, s6
	v_dual_add_f32 v82, v84, v92 :: v_dual_mul_f32 v85, 0x3fb8aa3b, v85
	v_fma_f32 v84, s18, v123, -v81
	v_mul_f32_e32 v95, 0x3fb8aa3b, v94
	s_delay_alu instid0(TRANS32_DEP_3) | instskip(NEXT) | instid1(VALU_DEP_4)
	v_cndmask_b32_e64 v94, 0, v93, s7
	v_add_f32_e32 v82, v82, v91
	v_exp_f32_e32 v85, v85
	v_mul_f32_e32 v84, 0x3fb8aa3b, v84
	v_cndmask_b32_e64 v96, 0, v86, s9
	v_exp_f32_e32 v95, v95
	v_add_f32_e32 v82, v82, v94
	v_fma_f32 v86, s18, v126, -v81
	v_exp_f32_e32 v84, v84
	v_cndmask_b32_e64 v97, 0, v97, s12
	s_delay_alu instid0(TRANS32_DEP_3) | instskip(SKIP_2) | instid1(TRANS32_DEP_2)
	v_cndmask_b32_e64 v93, 0, v85, s8
	v_fma_f32 v85, s18, v125, -v81
	v_mul_f32_e32 v86, 0x3fb8aa3b, v86
	v_cndmask_b32_e64 v95, 0, v95, s10
	s_waitcnt_depctr 0xfff
	v_cndmask_b32_e64 v98, 0, v84, s11
	v_mul_f32_e32 v84, 0x3fb8aa3b, v99
	v_fma_f32 v99, s18, v128, -v81
	v_add_f32_e32 v82, v82, v93
	v_mul_f32_e32 v85, 0x3fb8aa3b, v85
	v_exp_f32_e32 v86, v86
	v_exp_f32_e32 v84, v84
	s_delay_alu instid0(VALU_DEP_1)
	v_exp_f32_e32 v85, v85
	s_waitcnt_depctr 0xfff
	v_cndmask_b32_e64 v102, 0, v84, s16
	v_cndmask_b32_e64 v100, 0, v85, s13
	v_dual_mul_f32 v85, 0x3fb8aa3b, v99 :: v_dual_add_f32 v82, v82, v96
	v_cndmask_b32_e64 v99, 0, v86, s15
	s_delay_alu instid0(VALU_DEP_2) | instskip(NEXT) | instid1(VALU_DEP_2)
	v_exp_f32_e32 v85, v85
	v_add_f32_e32 v82, v82, v95
	s_delay_alu instid0(VALU_DEP_1) | instskip(SKIP_3) | instid1(VALU_DEP_1)
	v_add_f32_e32 v82, v82, v98
	s_waitcnt_depctr 0xfff
	v_cndmask_b32_e64 v101, 0, v85, s17
	v_add_f32_e32 v82, v82, v97
	v_add_f32_e32 v82, v82, v100
	s_delay_alu instid0(VALU_DEP_1) | instskip(NEXT) | instid1(VALU_DEP_1)
	v_add_f32_e32 v82, v82, v99
	v_add_f32_e32 v82, v82, v102
	s_delay_alu instid0(VALU_DEP_1)
	v_add_f32_e32 v82, v82, v101
	ds_bpermute_b32 v83, v83, v82
	v_cmpx_gt_u32_e32 16, v80
	s_cbranch_execz .LBB351_14
; %bb.13:
	v_mul_u32_u24_e32 v80, 0x44, v78
	s_waitcnt lgkmcnt(0)
	v_add_f32_e32 v82, v82, v83
	s_delay_alu instid0(VALU_DEP_2) | instskip(NEXT) | instid1(VALU_DEP_1)
	v_lshl_add_u32 v80, v77, 2, v80
	v_add_nc_u32_e32 v80, 0x4000, v80
	ds_store_2addr_b32 v80, v81, v82 offset1:136
.LBB351_14:
	s_or_b32 exec_lo, exec_lo, s2
	v_lshlrev_b32_e32 v80, 2, v77
	s_load_b32 s34, s[0:1], 0x94
	s_waitcnt lgkmcnt(0)
	s_barrier
	buffer_gl0_inv
	v_add_nc_u32_e32 v84, 0x4000, v80
	v_cmp_eq_u32_e32 vcc_lo, 1, v78
	v_cmp_eq_u32_e64 s2, 2, v78
	v_cmp_eq_u32_e64 s3, 3, v78
	;; [unrolled: 1-line block ×3, first 2 shown]
	ds_load_2addr_b32 v[80:81], v84 offset1:17
	ds_load_2addr_b32 v[82:83], v84 offset0:34 offset1:51
	ds_load_2addr_b32 v[103:104], v84 offset0:68 offset1:85
	;; [unrolled: 1-line block ×3, first 2 shown]
	v_cmp_eq_u32_e64 s5, 7, v78
	s_waitcnt lgkmcnt(3)
	v_max3_f32 v85, v80, 0xff7fffff, v81
	s_waitcnt lgkmcnt(2)
	s_delay_alu instid0(VALU_DEP_1) | instskip(SKIP_1) | instid1(VALU_DEP_1)
	v_max3_f32 v85, v85, v82, v83
	s_waitcnt lgkmcnt(1)
	v_max3_f32 v85, v85, v103, v104
	s_waitcnt lgkmcnt(0)
	s_delay_alu instid0(VALU_DEP_1) | instskip(NEXT) | instid1(VALU_DEP_1)
	v_max3_f32 v85, v85, v105, v106
	v_sub_f32_e32 v103, v103, v85
	ds_load_2addr_b32 v[107:108], v84 offset0:136 offset1:153
	v_sub_f32_e32 v80, v80, v85
	v_dual_sub_f32 v110, v83, v85 :: v_dual_mul_f32 v113, 0x3fb8aa3b, v103
	s_delay_alu instid0(VALU_DEP_2) | instskip(SKIP_3) | instid1(VALU_DEP_1)
	v_dual_sub_f32 v86, v81, v85 :: v_dual_mul_f32 v109, 0x3fb8aa3b, v80
	ds_load_2addr_b32 v[80:81], v84 offset0:170 offset1:187
	v_mul_f32_e32 v86, 0x3fb8aa3b, v86
	v_exp_f32_e32 v109, v109
	v_exp_f32_e32 v112, v86
	v_mul_f32_e32 v110, 0x3fb8aa3b, v110
	s_waitcnt lgkmcnt(1)
	s_waitcnt_depctr 0xfff
	v_fma_f32 v86, v109, v107, 0
	v_sub_f32_e32 v107, v104, v85
	v_sub_f32_e32 v82, v82, v85
	v_exp_f32_e32 v110, v110
	ds_load_2addr_b32 v[103:104], v84 offset0:238 offset1:255
	v_dual_fmac_f32 v86, v112, v108 :: v_dual_mul_f32 v111, 0x3fb8aa3b, v82
	ds_load_2addr_b32 v[82:83], v84 offset0:204 offset1:221
	v_dual_sub_f32 v84, v105, v85 :: v_dual_mul_f32 v105, 0x3fb8aa3b, v107
	v_exp_f32_e32 v107, v113
	v_exp_f32_e32 v111, v111
	s_waitcnt lgkmcnt(0)
	s_delay_alu instid0(VALU_DEP_1)
	v_mul_f32_e32 v84, 0x3fb8aa3b, v84
	v_exp_f32_e32 v105, v105
	s_barrier
	buffer_gl0_inv
	v_fmac_f32_e32 v86, v111, v80
	v_sub_f32_e32 v80, v106, v85
	v_exp_f32_e32 v106, v84
	s_delay_alu instid0(VALU_DEP_2) | instskip(NEXT) | instid1(VALU_DEP_2)
	v_fmac_f32_e32 v86, v110, v81
	v_mul_f32_e32 v80, 0x3fb8aa3b, v80
	s_delay_alu instid0(VALU_DEP_2) | instskip(NEXT) | instid1(VALU_DEP_2)
	v_dual_cndmask_b32 v81, v109, v112 :: v_dual_fmac_f32 v86, v107, v82
	v_exp_f32_e32 v108, v80
	s_delay_alu instid0(VALU_DEP_1) | instskip(SKIP_2) | instid1(VALU_DEP_1)
	v_fmac_f32_e32 v86, v105, v83
	s_waitcnt_depctr 0xfff
	v_fmac_f32_e32 v86, v106, v103
	v_fmac_f32_e32 v86, v108, v104
	s_delay_alu instid0(VALU_DEP_1) | instskip(NEXT) | instid1(VALU_DEP_1)
	v_add_f32_e32 v103, 0x358637bd, v86
	v_div_scale_f32 v104, null, v103, v103, 1.0
	v_div_scale_f32 v109, vcc_lo, 1.0, v103, 1.0
	s_delay_alu instid0(VALU_DEP_2) | instskip(SKIP_2) | instid1(VALU_DEP_1)
	v_rcp_f32_e32 v113, v104
	s_waitcnt_depctr 0xfff
	v_fma_f32 v80, -v104, v113, 1.0
	v_fmac_f32_e32 v113, v80, v113
	v_cndmask_b32_e64 v80, v81, v111, s2
	v_cmp_eq_u32_e64 s2, 4, v78
	v_lshl_or_b32 v81, v78, 11, v79
	s_delay_alu instid0(VALU_DEP_4) | instskip(NEXT) | instid1(VALU_DEP_4)
	v_mul_f32_e32 v111, v109, v113
	v_cndmask_b32_e64 v82, v80, v110, s3
	v_cmp_eq_u32_e64 s3, 6, v78
	s_delay_alu instid0(VALU_DEP_4) | instskip(SKIP_3) | instid1(VALU_DEP_3)
	v_lshl_or_b32 v78, v75, 4, v81
	v_lshlrev_b32_e32 v80, 2, v75
	v_fma_f32 v83, -v104, v111, v109
	v_cndmask_b32_e64 v84, v82, v107, s2
	v_or_b32_e32 v82, 1, v80
	s_delay_alu instid0(VALU_DEP_3) | instskip(NEXT) | instid1(VALU_DEP_3)
	v_fmac_f32_e32 v111, v83, v113
	v_cndmask_b32_e64 v105, v84, v105, s4
	v_or_b32_e32 v84, 2, v80
	v_or_b32_e32 v83, 3, v80
	v_cmp_eq_u32_e64 s2, 1, v80
	v_fma_f32 v104, -v104, v111, v109
	v_cndmask_b32_e64 v105, v105, v106, s3
	v_cmp_eq_u32_e64 s8, 1, v82
	v_cmp_eq_u32_e64 s9, 1, v84
	;; [unrolled: 1-line block ×3, first 2 shown]
	v_div_fmas_f32 v104, v104, v113, v111
	v_cndmask_b32_e64 v105, v105, v108, s5
	v_cmp_eq_u32_e32 vcc_lo, 2, v80
	v_cmp_eq_u32_e64 s11, 2, v82
	v_cmp_eq_u32_e64 s13, 2, v84
	v_div_fixup_f32 v103, v104, v103, 1.0
	v_cmp_eq_u32_e64 s15, 2, v83
	v_cmp_eq_u32_e64 s17, 3, v83
	;; [unrolled: 1-line block ×4, first 2 shown]
	v_mul_f32_e32 v111, v105, v103
	v_cmp_eq_u32_e64 s16, 3, v84
	v_cmp_eq_u32_e64 s21, 4, v83
	;; [unrolled: 1-line block ×4, first 2 shown]
	v_fma_mixlo_f16 v103, v111, v88, 0
	v_fma_mixlo_f16 v104, v111, v90, 0
	;; [unrolled: 1-line block ×8, first 2 shown]
	v_fma_mixhi_f16 v103, v111, v87, 0
	v_fma_mixhi_f16 v104, v111, v89, 0
	;; [unrolled: 1-line block ×8, first 2 shown]
	ds_store_b128 v78, v[103:106]
	ds_store_b128 v78, v[107:110] offset:1024
	s_waitcnt lgkmcnt(0)
	s_barrier
	buffer_gl0_inv
	ds_load_b128 v[87:90], v81
	ds_load_b128 v[91:94], v81 offset:16
	ds_load_b128 v[95:98], v81 offset:1024
	;; [unrolled: 1-line block ×3, first 2 shown]
	v_cmp_eq_u32_e64 s20, 4, v84
	v_cmp_eq_u32_e64 s23, 5, v83
	;; [unrolled: 1-line block ×13, first 2 shown]
	s_waitcnt lgkmcnt(3)
	v_lshrrev_b32_e32 v103, 16, v87
	s_waitcnt lgkmcnt(2)
	v_lshrrev_b32_e32 v107, 16, v91
	;; [unrolled: 2-line block ×4, first 2 shown]
	v_lshrrev_b32_e32 v104, 16, v88
	v_cndmask_b32_e64 v119, v87, v103, s2
	v_cndmask_b32_e64 v120, v91, v107, s2
	;; [unrolled: 1-line block ×8, first 2 shown]
	v_lshrrev_b32_e32 v108, 16, v92
	v_cndmask_b32_e64 v103, v95, v111, s2
	v_cndmask_b32_e64 v107, v99, v115, s2
	;; [unrolled: 1-line block ×5, first 2 shown]
	v_cndmask_b32_e32 v111, v119, v88, vcc_lo
	v_cndmask_b32_e64 v119, v121, v88, s11
	v_cndmask_b32_e64 v121, v123, v88, s13
	v_cndmask_b32_e64 v87, v87, v88, s15
	v_cndmask_b32_e64 v88, v91, v92, s15
	v_lshrrev_b32_e32 v112, 16, v96
	v_lshrrev_b32_e32 v116, 16, v100
	v_cndmask_b32_e64 v126, v99, v115, s8
	v_cndmask_b32_e64 v128, v99, v115, s9
	;; [unrolled: 1-line block ×3, first 2 shown]
	v_cndmask_b32_e32 v115, v120, v92, vcc_lo
	v_cndmask_b32_e64 v120, v122, v92, s11
	v_cndmask_b32_e64 v122, v124, v92, s13
	v_cndmask_b32_e32 v91, v103, v96, vcc_lo
	v_cndmask_b32_e32 v92, v107, v100, vcc_lo
	v_cndmask_b32_e64 v103, v125, v96, s11
	v_cndmask_b32_e64 v87, v87, v104, s17
	;; [unrolled: 1-line block ×3, first 2 shown]
	v_lshrrev_b32_e32 v105, 16, v89
	v_lshrrev_b32_e32 v109, 16, v93
	v_cndmask_b32_e64 v107, v127, v96, s13
	v_cndmask_b32_e64 v95, v95, v96, s15
	;; [unrolled: 1-line block ×14, first 2 shown]
	v_lshrrev_b32_e32 v113, 16, v97
	v_cndmask_b32_e64 v99, v99, v89, s4
	v_cndmask_b32_e64 v104, v111, v93, s4
	;; [unrolled: 1-line block ×11, first 2 shown]
	v_lshrrev_b32_e32 v106, 16, v90
	v_lshrrev_b32_e32 v110, 16, v94
	v_cndmask_b32_e64 v93, v99, v105, s5
	v_cndmask_b32_e64 v99, v104, v109, s5
	;; [unrolled: 1-line block ×9, first 2 shown]
	v_lshrrev_b32_e32 v114, 16, v98
	v_cndmask_b32_e64 v89, v89, v113, s5
	v_cndmask_b32_e64 v93, v93, v90, s6
	;; [unrolled: 1-line block ×19, first 2 shown]
	v_perm_b32 v90, v88, v87, 0x5040100
	v_cndmask_b32_e64 v87, v126, v100, s11
	v_cndmask_b32_e64 v105, v89, v114, s7
	v_perm_b32 v89, v103, v99, 0x5040100
	v_perm_b32 v88, v104, v94, 0x5040100
	v_cndmask_b32_e64 v94, v107, v112, s16
	v_cndmask_b32_e64 v95, v95, v112, s17
	v_cndmask_b32_e64 v96, v96, v116, s17
	v_cndmask_b32_e64 v99, v123, v116, s16
	v_cndmask_b32_e64 v87, v87, v116, s12
	v_lshrrev_b32_e32 v117, 16, v101
	v_cndmask_b32_e64 v94, v94, v97, s20
	v_cndmask_b32_e64 v95, v95, v97, s21
	;; [unrolled: 1-line block ×11, first 2 shown]
	v_lshrrev_b32_e32 v118, 16, v102
	v_cndmask_b32_e64 v91, v91, v102, s6
	v_cndmask_b32_e64 v94, v94, v98, s25
	;; [unrolled: 1-line block ×12, first 2 shown]
	v_perm_b32 v87, v93, v92, 0x5040100
	v_perm_b32 v94, v95, v94, 0x5040100
	;; [unrolled: 1-line block ×5, first 2 shown]
	s_mul_i32 s6, s33, 6
	s_mov_b32 s2, exec_lo
	ds_store_b128 v78, v[87:90]
	ds_store_b128 v78, v[91:94] offset:1024
	v_cmpx_gt_u32_e32 6, v0
	s_cbranch_execz .LBB351_16
; %bb.15:
	s_mul_i32 s3, s6, s30
	s_load_b128 s[8:11], s[0:1], 0x58
	v_add3_u32 v77, s3, s31, v77
	s_delay_alu instid0(VALU_DEP_1) | instskip(NEXT) | instid1(VALU_DEP_1)
	v_mad_u64_u32 v[87:88], null, v77, s34, s[14:15]
	v_ashrrev_i32_e32 v88, 31, v87
	s_delay_alu instid0(VALU_DEP_1) | instskip(SKIP_1) | instid1(VALU_DEP_1)
	v_lshlrev_b64 v[87:88], 2, v[87:88]
	s_waitcnt lgkmcnt(0)
	v_add_co_u32 v89, vcc_lo, s10, v87
	s_delay_alu instid0(VALU_DEP_2)
	v_add_co_ci_u32_e32 v90, vcc_lo, s11, v88, vcc_lo
	v_add_co_u32 v87, vcc_lo, s8, v87
	v_add_co_ci_u32_e32 v88, vcc_lo, s9, v88, vcc_lo
	global_store_b32 v[89:90], v85, off
	global_store_b32 v[87:88], v86, off
.LBB351_16:
	s_or_b32 exec_lo, exec_lo, s2
	s_waitcnt lgkmcnt(0)
	s_waitcnt_vscnt null, 0x0
	s_barrier
	buffer_gl0_inv
	ds_load_b128 v[93:96], v79
	ds_load_b128 v[97:100], v79 offset:16
	ds_load_b128 v[105:108], v79 offset:1040
	;; [unrolled: 1-line block ×5, first 2 shown]
	v_cmp_eq_u32_e32 vcc_lo, 1, v84
	v_mov_b32_e32 v85, 0
	ds_load_b128 v[121:124], v79 offset:3088
	ds_load_b128 v[117:120], v79 offset:3072
	;; [unrolled: 1-line block ×4, first 2 shown]
	v_cmp_eq_u32_e64 s2, 1, v80
	v_cmp_eq_u32_e64 s3, 1, v83
	;; [unrolled: 1-line block ×3, first 2 shown]
	v_mov_b32_e32 v86, v85
	v_mov_b32_e32 v87, v85
	v_mov_b32_e32 v88, v85
	v_mov_b32_e32 v89, v85
	v_mov_b32_e32 v90, v85
	v_mov_b32_e32 v91, v85
	v_mov_b32_e32 v92, v85
	v_cmp_eq_u32_e64 s5, 2, v80
	s_waitcnt lgkmcnt(8)
	s_delay_alu instid0(VALU_DEP_2)
	v_wmma_f32_16x16x16_f16 v[85:92], v[65:72], v[93:100], v[85:92]
	ds_load_b128 v[69:72], v79 offset:5136
	ds_load_b128 v[65:68], v79 offset:5120
	;; [unrolled: 1-line block ×4, first 2 shown]
	s_waitcnt lgkmcnt(10)
	v_wmma_f32_16x16x16_f16 v[85:92], v[57:64], v[101:108], v[85:92]
	s_waitcnt lgkmcnt(8)
	s_delay_alu instid0(VALU_DEP_1)
	v_wmma_f32_16x16x16_f16 v[85:92], v[57:64], v[109:116], v[85:92]
	ds_load_b128 v[61:64], v79 offset:7184
	ds_load_b128 v[57:60], v79 offset:7168
	ds_load_b128 v[105:108], v79 offset:8208
	ds_load_b128 v[101:104], v79 offset:8192
	s_waitcnt lgkmcnt(10)
	v_wmma_f32_16x16x16_f16 v[85:92], v[49:56], v[117:124], v[85:92]
	s_waitcnt lgkmcnt(8)
	s_delay_alu instid0(VALU_DEP_1)
	v_wmma_f32_16x16x16_f16 v[85:92], v[49:56], v[125:132], v[85:92]
	ds_load_b128 v[53:56], v79 offset:9232
	ds_load_b128 v[49:52], v79 offset:9216
	s_waitcnt lgkmcnt(8)
	v_wmma_f32_16x16x16_f16 v[85:92], v[41:48], v[65:72], v[85:92]
	ds_load_b128 v[69:72], v79 offset:10256
	ds_load_b128 v[65:68], v79 offset:10240
	s_waitcnt lgkmcnt(8)
	;; [unrolled: 4-line block ×7, first 2 shown]
	s_barrier
	buffer_gl0_inv
	v_wmma_f32_16x16x16_f16 v[85:92], v[33:40], v[41:48], v[85:92]
	s_delay_alu instid0(VALU_DEP_1) | instskip(NEXT) | instid1(VALU_DEP_1)
	v_wmma_f32_16x16x16_f16 v[85:92], v[33:40], v[57:64], v[85:92]
	v_wmma_f32_16x16x16_f16 v[85:92], v[25:32], v[9:16], v[85:92]
	s_delay_alu instid0(VALU_DEP_1) | instskip(NEXT) | instid1(VALU_DEP_1)
	v_wmma_f32_16x16x16_f16 v[85:92], v[25:32], v[49:56], v[85:92]
	v_wmma_f32_16x16x16_f16 v[85:92], v[17:24], v[1:8], v[85:92]
	s_delay_alu instid0(VALU_DEP_1) | instskip(NEXT) | instid1(VALU_DEP_2)
	v_cvt_f16_f32_e32 v1, v85
	v_cvt_f16_f32_e32 v2, v86
	s_delay_alu instid0(VALU_DEP_3) | instskip(NEXT) | instid1(VALU_DEP_4)
	v_cvt_f16_f32_e32 v3, v87
	v_cvt_f16_f32_e32 v4, v88
	;; [unrolled: 1-line block ×6, first 2 shown]
	v_pack_b32_f16 v1, v1, v2
	v_pack_b32_f16 v2, v3, v4
	;; [unrolled: 1-line block ×3, first 2 shown]
	s_delay_alu instid0(VALU_DEP_4)
	v_pack_b32_f16 v4, v7, v8
	ds_store_b128 v78, v[1:4]
	s_waitcnt lgkmcnt(0)
	s_barrier
	buffer_gl0_inv
	ds_load_b128 v[1:4], v81
	ds_load_b128 v[5:8], v81 offset:16
	s_waitcnt lgkmcnt(1)
	v_lshrrev_b32_e32 v9, 16, v1
	s_waitcnt lgkmcnt(0)
	v_lshrrev_b32_e32 v13, 16, v5
	v_lshrrev_b32_e32 v15, 16, v7
	;; [unrolled: 1-line block ×4, first 2 shown]
	v_cndmask_b32_e64 v17, v1, v9, s2
	v_cndmask_b32_e64 v18, v5, v13, s2
	;; [unrolled: 1-line block ×3, first 2 shown]
	v_cmp_eq_u32_e64 s2, 2, v82
	v_cndmask_b32_e64 v20, v5, v13, s4
	v_cndmask_b32_e32 v21, v1, v9, vcc_lo
	v_cndmask_b32_e32 v22, v5, v13, vcc_lo
	v_cndmask_b32_e64 v1, v1, v9, s3
	v_cndmask_b32_e64 v5, v5, v13, s3
	v_cmp_eq_u32_e32 vcc_lo, 2, v84
	v_cmp_eq_u32_e64 s3, 2, v83
	v_cndmask_b32_e64 v9, v17, v2, s5
	v_cndmask_b32_e64 v13, v18, v6, s5
	;; [unrolled: 1-line block ×4, first 2 shown]
	v_cndmask_b32_e32 v19, v21, v2, vcc_lo
	v_cmp_eq_u32_e64 s2, 3, v84
	v_cndmask_b32_e32 v20, v22, v6, vcc_lo
	v_cndmask_b32_e64 v1, v1, v2, s3
	v_cmp_eq_u32_e32 vcc_lo, 3, v83
	v_cmp_eq_u32_e64 s4, 3, v80
	v_cndmask_b32_e64 v2, v5, v6, s3
	v_cmp_eq_u32_e64 s3, 3, v82
	v_lshrrev_b32_e32 v16, 16, v8
	v_cmp_eq_u32_e64 s5, 4, v80
	v_cndmask_b32_e64 v5, v9, v10, s4
	v_cndmask_b32_e64 v6, v13, v14, s4
	;; [unrolled: 1-line block ×3, first 2 shown]
	v_cmp_eq_u32_e64 s4, 4, v82
	v_cndmask_b32_e64 v13, v18, v14, s3
	v_cndmask_b32_e64 v17, v19, v10, s2
	v_cndmask_b32_e64 v18, v20, v14, s2
	v_cndmask_b32_e32 v1, v1, v10, vcc_lo
	v_cndmask_b32_e32 v2, v2, v14, vcc_lo
	v_cmp_eq_u32_e32 vcc_lo, 4, v84
	v_cmp_eq_u32_e64 s3, 4, v83
	v_lshrrev_b32_e32 v11, 16, v3
	v_cndmask_b32_e64 v5, v5, v3, s5
	v_cndmask_b32_e64 v6, v6, v7, s5
	;; [unrolled: 1-line block ×4, first 2 shown]
	v_cndmask_b32_e32 v13, v17, v3, vcc_lo
	v_cmp_eq_u32_e64 s2, 5, v84
	v_cndmask_b32_e32 v14, v18, v7, vcc_lo
	v_cndmask_b32_e64 v1, v1, v3, s3
	v_cmp_eq_u32_e32 vcc_lo, 5, v83
	v_cmp_eq_u32_e64 s4, 5, v80
	v_cndmask_b32_e64 v2, v2, v7, s3
	v_cmp_eq_u32_e64 s3, 5, v82
	v_cmp_eq_u32_e64 s5, 6, v80
	v_cndmask_b32_e32 v1, v1, v11, vcc_lo
	v_cndmask_b32_e64 v3, v5, v11, s4
	v_cndmask_b32_e64 v5, v6, v15, s4
	;; [unrolled: 1-line block ×3, first 2 shown]
	v_cmp_eq_u32_e64 s4, 6, v82
	v_cndmask_b32_e64 v7, v10, v15, s3
	v_cndmask_b32_e64 v9, v13, v11, s2
	;; [unrolled: 1-line block ×3, first 2 shown]
	v_cndmask_b32_e32 v2, v2, v15, vcc_lo
	v_cmp_eq_u32_e32 vcc_lo, 6, v84
	v_cmp_eq_u32_e64 s2, 6, v83
	v_lshrrev_b32_e32 v12, 16, v4
	v_cndmask_b32_e64 v3, v3, v4, s5
	v_cndmask_b32_e64 v5, v5, v8, s5
	;; [unrolled: 1-line block ×4, first 2 shown]
	v_cndmask_b32_e32 v9, v9, v4, vcc_lo
	v_cmp_eq_u32_e64 s3, 7, v84
	v_cndmask_b32_e32 v10, v10, v8, vcc_lo
	v_cndmask_b32_e64 v1, v1, v4, s2
	v_cmp_eq_u32_e32 vcc_lo, 7, v83
	v_cndmask_b32_e64 v2, v2, v8, s2
	v_cmp_eq_u32_e64 s2, 7, v80
	v_cmp_eq_u32_e64 s4, 7, v82
	v_cndmask_b32_e32 v1, v1, v12, vcc_lo
	s_delay_alu instid0(VALU_DEP_4) | instskip(NEXT) | instid1(VALU_DEP_4)
	v_cndmask_b32_e32 v2, v2, v16, vcc_lo
	v_cndmask_b32_e64 v8, v3, v12, s2
	s_delay_alu instid0(VALU_DEP_4)
	v_cndmask_b32_e64 v6, v6, v12, s4
	v_cndmask_b32_e64 v3, v9, v12, s3
	;; [unrolled: 1-line block ×5, first 2 shown]
	v_perm_b32 v4, v2, v1, 0x5040100
	s_mov_b32 s2, exec_lo
	v_perm_b32 v3, v9, v3, 0x5040100
	v_perm_b32 v2, v7, v6, 0x5040100
	;; [unrolled: 1-line block ×3, first 2 shown]
	ds_store_b128 v78, v[1:4]
	s_waitcnt lgkmcnt(0)
	s_barrier
	buffer_gl0_inv
	v_cmpx_gt_u32_e32 32, v0
	s_cbranch_execz .LBB351_2
; %bb.17:
	s_load_b64 s[0:1], s[0:1], 0x68
	s_lshl_b32 s4, s34, 7
	v_or_b32_e32 v3, s31, v75
	s_mul_i32 s2, s4, s30
	v_lshlrev_b32_e32 v0, 10, v0
	s_mul_i32 s2, s2, s6
	v_lshlrev_b32_e32 v1, 4, v76
	s_ashr_i32 s3, s2, 31
	v_mul_lo_u32 v12, v3, s4
	s_lshl_b64 s[2:3], s[2:3], 1
	v_lshlrev_b32_e32 v2, 6, v75
	v_and_b32_e32 v0, 0x3800, v0
	s_delay_alu instid0(VALU_DEP_1) | instskip(NEXT) | instid1(VALU_DEP_4)
	v_or3_b32 v8, v0, v1, v2
	v_ashrrev_i32_e32 v13, 31, v12
	ds_load_b128 v[0:3], v8
	ds_load_b128 v[4:7], v8 offset:128
	ds_load_b128 v[8:11], v8 offset:256
	s_waitcnt lgkmcnt(0)
	s_add_u32 s2, s0, s2
	s_addc_u32 s3, s1, s3
	s_lshl_b32 s0, s14, 7
	s_delay_alu instid0(SALU_CYCLE_1) | instskip(NEXT) | instid1(SALU_CYCLE_1)
	s_ashr_i32 s1, s0, 31
	s_lshl_b64 s[0:1], s[0:1], 1
	s_delay_alu instid0(SALU_CYCLE_1)
	s_add_u32 s0, s2, s0
	s_addc_u32 s1, s3, s1
	s_lshl_b32 s2, s34, 8
	v_add_co_u32 v18, vcc_lo, s0, v73
	v_add_nc_u32_e32 v14, s2, v12
	v_lshlrev_b64 v[12:13], 1, v[12:13]
	v_add_co_ci_u32_e32 v19, vcc_lo, s1, v74, vcc_lo
	s_delay_alu instid0(VALU_DEP_3) | instskip(SKIP_1) | instid1(VALU_DEP_4)
	v_add_nc_u32_e32 v16, s2, v14
	v_ashrrev_i32_e32 v15, 31, v14
	v_add_co_u32 v12, vcc_lo, v18, v12
	s_delay_alu instid0(VALU_DEP_4) | instskip(NEXT) | instid1(VALU_DEP_4)
	v_add_co_ci_u32_e32 v13, vcc_lo, v19, v13, vcc_lo
	v_ashrrev_i32_e32 v17, 31, v16
	s_delay_alu instid0(VALU_DEP_4) | instskip(NEXT) | instid1(VALU_DEP_2)
	v_lshlrev_b64 v[14:15], 1, v[14:15]
	v_lshlrev_b64 v[16:17], 1, v[16:17]
	s_delay_alu instid0(VALU_DEP_2) | instskip(NEXT) | instid1(VALU_DEP_3)
	v_add_co_u32 v14, vcc_lo, v18, v14
	v_add_co_ci_u32_e32 v15, vcc_lo, v19, v15, vcc_lo
	s_delay_alu instid0(VALU_DEP_3) | instskip(NEXT) | instid1(VALU_DEP_4)
	v_add_co_u32 v16, vcc_lo, v18, v16
	v_add_co_ci_u32_e32 v17, vcc_lo, v19, v17, vcc_lo
	s_clause 0x2
	global_store_b128 v[12:13], v[0:3], off
	global_store_b128 v[14:15], v[4:7], off
	;; [unrolled: 1-line block ×3, first 2 shown]
	s_nop 0
	s_sendmsg sendmsg(MSG_DEALLOC_VGPRS)
	s_endpgm
	.section	.rodata,"a",@progbits
	.p2align	6, 0x0
	.amdhsa_kernel _Z39paged_attention_ll4mi_QKV_mfma16_kernelIDF16_DF16_LN4vllm18Fp8KVCacheDataTypeE0EDF16_Li32ELi128ELi256ELb1ELi6EL8MFMAType0EEvPKT_PKT0_S8_ifPKiSA_SA_iPKfiiiPfSD_PS3_PT2_iSC_SC_
		.amdhsa_group_segment_fixed_size 17472
		.amdhsa_private_segment_fixed_size 0
		.amdhsa_kernarg_size 400
		.amdhsa_user_sgpr_count 13
		.amdhsa_user_sgpr_dispatch_ptr 0
		.amdhsa_user_sgpr_queue_ptr 0
		.amdhsa_user_sgpr_kernarg_segment_ptr 1
		.amdhsa_user_sgpr_dispatch_id 0
		.amdhsa_user_sgpr_private_segment_size 0
		.amdhsa_wavefront_size32 1
		.amdhsa_uses_dynamic_stack 0
		.amdhsa_enable_private_segment 0
		.amdhsa_system_sgpr_workgroup_id_x 1
		.amdhsa_system_sgpr_workgroup_id_y 1
		.amdhsa_system_sgpr_workgroup_id_z 1
		.amdhsa_system_sgpr_workgroup_info 0
		.amdhsa_system_vgpr_workitem_id 0
		.amdhsa_next_free_vgpr 172
		.amdhsa_next_free_sgpr 38
		.amdhsa_reserve_vcc 1
		.amdhsa_float_round_mode_32 0
		.amdhsa_float_round_mode_16_64 0
		.amdhsa_float_denorm_mode_32 3
		.amdhsa_float_denorm_mode_16_64 3
		.amdhsa_dx10_clamp 1
		.amdhsa_ieee_mode 1
		.amdhsa_fp16_overflow 0
		.amdhsa_workgroup_processor_mode 1
		.amdhsa_memory_ordered 1
		.amdhsa_forward_progress 0
		.amdhsa_shared_vgpr_count 0
		.amdhsa_exception_fp_ieee_invalid_op 0
		.amdhsa_exception_fp_denorm_src 0
		.amdhsa_exception_fp_ieee_div_zero 0
		.amdhsa_exception_fp_ieee_overflow 0
		.amdhsa_exception_fp_ieee_underflow 0
		.amdhsa_exception_fp_ieee_inexact 0
		.amdhsa_exception_int_div_zero 0
	.end_amdhsa_kernel
	.section	.text._Z39paged_attention_ll4mi_QKV_mfma16_kernelIDF16_DF16_LN4vllm18Fp8KVCacheDataTypeE0EDF16_Li32ELi128ELi256ELb1ELi6EL8MFMAType0EEvPKT_PKT0_S8_ifPKiSA_SA_iPKfiiiPfSD_PS3_PT2_iSC_SC_,"axG",@progbits,_Z39paged_attention_ll4mi_QKV_mfma16_kernelIDF16_DF16_LN4vllm18Fp8KVCacheDataTypeE0EDF16_Li32ELi128ELi256ELb1ELi6EL8MFMAType0EEvPKT_PKT0_S8_ifPKiSA_SA_iPKfiiiPfSD_PS3_PT2_iSC_SC_,comdat
.Lfunc_end351:
	.size	_Z39paged_attention_ll4mi_QKV_mfma16_kernelIDF16_DF16_LN4vllm18Fp8KVCacheDataTypeE0EDF16_Li32ELi128ELi256ELb1ELi6EL8MFMAType0EEvPKT_PKT0_S8_ifPKiSA_SA_iPKfiiiPfSD_PS3_PT2_iSC_SC_, .Lfunc_end351-_Z39paged_attention_ll4mi_QKV_mfma16_kernelIDF16_DF16_LN4vllm18Fp8KVCacheDataTypeE0EDF16_Li32ELi128ELi256ELb1ELi6EL8MFMAType0EEvPKT_PKT0_S8_ifPKiSA_SA_iPKfiiiPfSD_PS3_PT2_iSC_SC_
                                        ; -- End function
	.section	.AMDGPU.csdata,"",@progbits
; Kernel info:
; codeLenInByte = 7496
; NumSgprs: 40
; NumVgprs: 172
; ScratchSize: 0
; MemoryBound: 0
; FloatMode: 240
; IeeeMode: 1
; LDSByteSize: 17472 bytes/workgroup (compile time only)
; SGPRBlocks: 4
; VGPRBlocks: 21
; NumSGPRsForWavesPerEU: 40
; NumVGPRsForWavesPerEU: 172
; Occupancy: 8
; WaveLimiterHint : 1
; COMPUTE_PGM_RSRC2:SCRATCH_EN: 0
; COMPUTE_PGM_RSRC2:USER_SGPR: 13
; COMPUTE_PGM_RSRC2:TRAP_HANDLER: 0
; COMPUTE_PGM_RSRC2:TGID_X_EN: 1
; COMPUTE_PGM_RSRC2:TGID_Y_EN: 1
; COMPUTE_PGM_RSRC2:TGID_Z_EN: 1
; COMPUTE_PGM_RSRC2:TIDIG_COMP_CNT: 0
	.section	.text._Z39paged_attention_ll4mi_QKV_mfma16_kernelIDF16_DF16_LN4vllm18Fp8KVCacheDataTypeE0EDF16_Li32ELi128ELi256ELb1ELi7EL8MFMAType0EEvPKT_PKT0_S8_ifPKiSA_SA_iPKfiiiPfSD_PS3_PT2_iSC_SC_,"axG",@progbits,_Z39paged_attention_ll4mi_QKV_mfma16_kernelIDF16_DF16_LN4vllm18Fp8KVCacheDataTypeE0EDF16_Li32ELi128ELi256ELb1ELi7EL8MFMAType0EEvPKT_PKT0_S8_ifPKiSA_SA_iPKfiiiPfSD_PS3_PT2_iSC_SC_,comdat
	.protected	_Z39paged_attention_ll4mi_QKV_mfma16_kernelIDF16_DF16_LN4vllm18Fp8KVCacheDataTypeE0EDF16_Li32ELi128ELi256ELb1ELi7EL8MFMAType0EEvPKT_PKT0_S8_ifPKiSA_SA_iPKfiiiPfSD_PS3_PT2_iSC_SC_ ; -- Begin function _Z39paged_attention_ll4mi_QKV_mfma16_kernelIDF16_DF16_LN4vllm18Fp8KVCacheDataTypeE0EDF16_Li32ELi128ELi256ELb1ELi7EL8MFMAType0EEvPKT_PKT0_S8_ifPKiSA_SA_iPKfiiiPfSD_PS3_PT2_iSC_SC_
	.globl	_Z39paged_attention_ll4mi_QKV_mfma16_kernelIDF16_DF16_LN4vllm18Fp8KVCacheDataTypeE0EDF16_Li32ELi128ELi256ELb1ELi7EL8MFMAType0EEvPKT_PKT0_S8_ifPKiSA_SA_iPKfiiiPfSD_PS3_PT2_iSC_SC_
	.p2align	8
	.type	_Z39paged_attention_ll4mi_QKV_mfma16_kernelIDF16_DF16_LN4vllm18Fp8KVCacheDataTypeE0EDF16_Li32ELi128ELi256ELb1ELi7EL8MFMAType0EEvPKT_PKT0_S8_ifPKiSA_SA_iPKfiiiPfSD_PS3_PT2_iSC_SC_,@function
_Z39paged_attention_ll4mi_QKV_mfma16_kernelIDF16_DF16_LN4vllm18Fp8KVCacheDataTypeE0EDF16_Li32ELi128ELi256ELb1ELi7EL8MFMAType0EEvPKT_PKT0_S8_ifPKiSA_SA_iPKfiiiPfSD_PS3_PT2_iSC_SC_: ; @_Z39paged_attention_ll4mi_QKV_mfma16_kernelIDF16_DF16_LN4vllm18Fp8KVCacheDataTypeE0EDF16_Li32ELi128ELi256ELb1ELi7EL8MFMAType0EEvPKT_PKT0_S8_ifPKiSA_SA_iPKfiiiPfSD_PS3_PT2_iSC_SC_
; %bb.0:
	s_load_b64 s[2:3], s[0:1], 0x30
	s_mov_b32 s34, s13
	s_waitcnt lgkmcnt(0)
	s_cmp_lg_u64 s[2:3], 0
	s_cselect_b32 s6, -1, 0
	s_ashr_i32 s35, s13, 31
	s_cmp_eq_u64 s[2:3], 0
	s_cbranch_scc1 .LBB352_3
; %bb.1:
	s_lshl_b64 s[4:5], s[34:35], 2
	s_delay_alu instid0(SALU_CYCLE_1) | instskip(SKIP_4) | instid1(SALU_CYCLE_1)
	s_add_u32 s4, s2, s4
	s_addc_u32 s5, s3, s5
	s_load_b64 s[4:5], s[4:5], 0x0
	s_waitcnt lgkmcnt(0)
	s_sub_i32 s4, s5, s4
	s_cmp_eq_u32 s4, 1
	s_cselect_b32 s4, -1, 0
	s_delay_alu instid0(SALU_CYCLE_1)
	s_and_not1_b32 vcc_lo, exec_lo, s4
	s_cbranch_vccz .LBB352_4
.LBB352_2:
	s_nop 0
	s_sendmsg sendmsg(MSG_DEALLOC_VGPRS)
	s_endpgm
.LBB352_3:
.LBB352_4:
	s_load_b64 s[8:9], s[0:1], 0x28
	s_lshl_b64 s[4:5], s[34:35], 2
	s_waitcnt lgkmcnt(0)
	s_add_u32 s8, s8, s4
	s_addc_u32 s9, s9, s5
	s_lshl_b32 s12, s14, 8
	s_load_b32 s17, s[8:9], 0x0
	s_waitcnt lgkmcnt(0)
	s_cmp_ge_i32 s12, s17
	s_cbranch_scc1 .LBB352_2
; %bb.5:
	s_and_not1_b32 vcc_lo, exec_lo, s6
	s_cbranch_vccnz .LBB352_7
; %bb.6:
	s_add_u32 s2, s2, s4
	s_addc_u32 s3, s3, s5
	s_load_b32 s13, s[2:3], 0x0
	s_branch .LBB352_8
.LBB352_7:
	s_mov_b32 s13, s34
.LBB352_8:
	s_clause 0x2
	s_load_b128 s[8:11], s[0:1], 0x8
	s_load_b64 s[2:3], s[0:1], 0x20
	s_load_b128 s[4:7], s[0:1], 0x48
	v_lshrrev_b32_e32 v78, 5, v0
	v_bfe_u32 v75, v0, 4, 1
	v_and_b32_e32 v77, 15, v0
	s_waitcnt lgkmcnt(0)
	s_mov_b32 s7, exec_lo
	s_delay_alu instid0(VALU_DEP_2) | instskip(NEXT) | instid1(VALU_DEP_2)
	v_lshl_or_b32 v3, v78, 1, v75
	v_lshlrev_b32_e32 v1, 3, v77
	s_delay_alu instid0(VALU_DEP_2)
	v_cmpx_lt_u32_e32 6, v3
	s_xor_b32 s7, exec_lo, s7
; %bb.9:
	v_mov_b32_e32 v2, 0
                                        ; implicit-def: $vgpr3
; %bb.10:
	s_or_saveexec_b32 s7, s7
	v_and_b32_e32 v80, 31, v0
	v_and_b32_e32 v76, 1, v0
	s_mul_i32 s31, s15, 7
	s_xor_b32 exec_lo, exec_lo, s7
	s_cbranch_execz .LBB352_12
; %bb.11:
	s_load_b64 s[18:19], s[0:1], 0x0
	v_add_lshl_u32 v4, v3, s31, 7
	s_mul_hi_i32 s21, s13, s4
	s_mul_i32 s20, s13, s4
	v_lshlrev_b32_e32 v2, 1, v1
	s_lshl_b64 s[20:21], s[20:21], 1
	v_ashrrev_i32_e32 v5, 31, v4
	v_lshlrev_b32_e32 v3, 6, v3
	v_lshlrev_b32_e32 v8, 10, v76
	s_delay_alu instid0(VALU_DEP_3) | instskip(SKIP_3) | instid1(VALU_DEP_1)
	v_lshlrev_b64 v[4:5], 1, v[4:5]
	s_waitcnt lgkmcnt(0)
	s_add_u32 s4, s18, s20
	s_addc_u32 s13, s19, s21
	v_add_co_u32 v4, vcc_lo, s4, v4
	s_delay_alu instid0(VALU_DEP_2) | instskip(NEXT) | instid1(VALU_DEP_2)
	v_add_co_ci_u32_e32 v5, vcc_lo, s13, v5, vcc_lo
	v_add_co_u32 v4, vcc_lo, v4, v2
	s_delay_alu instid0(VALU_DEP_2) | instskip(SKIP_3) | instid1(VALU_DEP_1)
	v_add_co_ci_u32_e32 v5, vcc_lo, 0, v5, vcc_lo
	v_lshlrev_b32_e32 v2, 10, v77
	global_load_b128 v[4:7], v[4:5], off
	v_and_b32_e32 v2, 0x3800, v2
	v_or3_b32 v3, v2, v8, v3
	v_mov_b32_e32 v2, 0
	s_waitcnt vmcnt(0)
	ds_store_b128 v3, v[4:7]
.LBB352_12:
	s_or_b32 exec_lo, exec_lo, s7
	v_and_b32_e32 v3, 0xef, v0
	s_add_i32 s4, s17, 31
	s_clause 0x1
	s_load_b32 s7, s[0:1], 0x38
	s_load_b32 s33, s[0:1], 0x98
	s_ashr_i32 s13, s4, 31
	v_add_nc_u32_e32 v3, s12, v3
	s_lshr_b32 s13, s13, 27
	s_load_b32 s18, s[0:1], 0x1c
	s_add_i32 s4, s4, s13
	s_waitcnt lgkmcnt(0)
	v_ashrrev_i32_e32 v4, 31, v3
	v_cmp_gt_i32_e32 vcc_lo, s17, v3
	s_ashr_i32 s4, s4, 5
	s_barrier
	s_add_i32 s4, s4, -1
	v_lshrrev_b32_e32 v5, 27, v4
	v_or_b32_e32 v4, 16, v3
	buffer_gl0_inv
	v_lshlrev_b64 v[73:74], 1, v[1:2]
	v_lshlrev_b32_e32 v79, 6, v77
	v_add_nc_u32_e32 v6, v3, v5
	v_add_nc_u32_e32 v5, v4, v5
	s_mul_i32 s20, s34, s7
	s_delay_alu instid0(SALU_CYCLE_1) | instskip(NEXT) | instid1(VALU_DEP_2)
	s_ashr_i32 s21, s20, 31
	v_ashrrev_i32_e32 v6, 5, v6
	s_delay_alu instid0(VALU_DEP_2) | instskip(SKIP_1) | instid1(SALU_CYCLE_1)
	v_ashrrev_i32_e32 v5, 5, v5
	s_lshl_b64 s[20:21], s[20:21], 2
	s_add_u32 s13, s2, s20
	s_delay_alu instid0(VALU_DEP_2) | instskip(SKIP_3) | instid1(SALU_CYCLE_1)
	v_cndmask_b32_e32 v3, s4, v6, vcc_lo
	v_cmp_gt_i32_e32 vcc_lo, s17, v4
	s_addc_u32 s16, s3, s21
	s_mul_i32 s2, s15, s6
	s_ashr_i32 s3, s2, 31
	v_cndmask_b32_e32 v5, s4, v5, vcc_lo
	v_ashrrev_i32_e32 v4, 31, v3
	s_lshl_b64 s[2:3], s[2:3], 1
	s_delay_alu instid0(SALU_CYCLE_1) | instskip(NEXT) | instid1(VALU_DEP_2)
	s_add_u32 s15, s8, s2
	v_ashrrev_i32_e32 v6, 31, v5
	s_delay_alu instid0(VALU_DEP_2) | instskip(SKIP_2) | instid1(VALU_DEP_2)
	v_lshlrev_b64 v[3:4], 2, v[3:4]
	s_addc_u32 s19, s9, s3
	s_lshl_b32 s6, s14, 3
	v_lshlrev_b64 v[5:6], 2, v[5:6]
	s_ashr_i32 s7, s6, 31
	s_delay_alu instid0(VALU_DEP_2) | instskip(SKIP_1) | instid1(VALU_DEP_3)
	v_add_co_u32 v3, vcc_lo, s13, v3
	v_add_co_ci_u32_e32 v4, vcc_lo, s16, v4, vcc_lo
	v_add_co_u32 v5, vcc_lo, s13, v5
	s_delay_alu instid0(VALU_DEP_4)
	v_add_co_ci_u32_e32 v6, vcc_lo, s16, v6, vcc_lo
	s_lshl_b64 s[6:7], s[6:7], 2
	s_clause 0x1
	global_load_b32 v7, v[3:4], off
	global_load_b32 v8, v[5:6], off
	s_add_u32 s6, s13, s6
	s_addc_u32 s7, s16, s7
	s_or_b32 s8, s12, 32
	s_delay_alu instid0(SALU_CYCLE_1) | instskip(SKIP_2) | instid1(SALU_CYCLE_1)
	s_ashr_i32 s9, s8, 5
	s_cmp_lt_i32 s8, s17
	s_cselect_b32 s8, s9, s4
	s_ashr_i32 s9, s8, 31
	s_delay_alu instid0(SALU_CYCLE_1) | instskip(NEXT) | instid1(SALU_CYCLE_1)
	s_lshl_b64 s[8:9], s[8:9], 2
	s_add_u32 s8, s13, s8
	s_addc_u32 s9, s16, s9
	s_or_b32 s20, s12, 64
	s_delay_alu instid0(SALU_CYCLE_1) | instskip(SKIP_2) | instid1(SALU_CYCLE_1)
	s_ashr_i32 s21, s20, 5
	s_cmp_lt_i32 s20, s17
	s_cselect_b32 s20, s21, s4
	s_ashr_i32 s21, s20, 31
	s_delay_alu instid0(SALU_CYCLE_1) | instskip(NEXT) | instid1(SALU_CYCLE_1)
	s_lshl_b64 s[20:21], s[20:21], 2
	;; [unrolled: 10-line block ×5, first 2 shown]
	s_add_u32 s26, s13, s26
	s_addc_u32 s27, s16, s27
	s_clause 0x5
	s_load_b32 s28, s[6:7], 0x0
	s_load_b32 s29, s[8:9], 0x0
	;; [unrolled: 1-line block ×6, first 2 shown]
	s_mov_b32 s20, 0
	s_or_b32 s6, s12, 0xc0
	s_mov_b32 s21, s20
	s_mov_b32 s22, s20
	;; [unrolled: 1-line block ×7, first 2 shown]
	s_ashr_i32 s7, s6, 5
	v_mov_b32_e32 v128, s27
	s_cmp_lt_i32 s6, s17
	v_mov_b32_e32 v127, s26
	s_cselect_b32 s6, s7, s4
	v_mov_b32_e32 v126, s25
	s_ashr_i32 s7, s6, 31
	v_mov_b32_e32 v125, s24
	s_lshl_b64 s[6:7], s[6:7], 2
	v_mov_b32_e32 v124, s23
	s_add_u32 s6, s13, s6
	s_addc_u32 s7, s16, s7
	v_mov_b32_e32 v123, s22
	v_mov_b32_e32 v121, s20
	s_waitcnt lgkmcnt(0)
	s_mul_hi_i32 s9, s28, s5
	s_mul_i32 s8, s28, s5
	s_mul_hi_i32 s37, s38, s5
	v_mov_b32_e32 v122, s21
	s_mul_hi_i32 s21, s29, s5
	s_mul_i32 s20, s29, s5
	s_mul_hi_i32 s25, s30, s5
	s_mul_i32 s24, s30, s5
	;; [unrolled: 2-line block ×3, first 2 shown]
	s_waitcnt vmcnt(1)
	v_mad_i64_i32 v[3:4], null, v7, s5, 0
	s_waitcnt vmcnt(0)
	v_mad_i64_i32 v[5:6], null, v8, s5, 0
	s_delay_alu instid0(VALU_DEP_2) | instskip(NEXT) | instid1(VALU_DEP_2)
	v_lshlrev_b64 v[3:4], 1, v[3:4]
	v_lshlrev_b64 v[1:2], 1, v[5:6]
	s_delay_alu instid0(VALU_DEP_2) | instskip(NEXT) | instid1(VALU_DEP_3)
	v_add_co_u32 v3, vcc_lo, s15, v3
	v_add_co_ci_u32_e32 v4, vcc_lo, s19, v4, vcc_lo
	s_delay_alu instid0(VALU_DEP_3) | instskip(NEXT) | instid1(VALU_DEP_4)
	v_add_co_u32 v1, vcc_lo, s15, v1
	v_add_co_ci_u32_e32 v2, vcc_lo, s19, v2, vcc_lo
	s_delay_alu instid0(VALU_DEP_4) | instskip(NEXT) | instid1(VALU_DEP_4)
	v_add_co_u32 v65, vcc_lo, v3, v73
	v_add_co_ci_u32_e32 v66, vcc_lo, v4, v74, vcc_lo
	s_delay_alu instid0(VALU_DEP_4) | instskip(NEXT) | instid1(VALU_DEP_4)
	v_add_co_u32 v67, vcc_lo, v1, v73
	v_add_co_ci_u32_e32 v68, vcc_lo, v2, v74, vcc_lo
	s_clause 0xf
	global_load_b128 v[1:4], v[65:66], off
	global_load_b128 v[5:8], v[65:66], off offset:512
	global_load_b128 v[9:12], v[67:68], off offset:256
	;; [unrolled: 1-line block ×15, first 2 shown]
	v_add_co_u32 v157, vcc_lo, 0x1000, v65
	v_add_co_ci_u32_e32 v158, vcc_lo, 0, v66, vcc_lo
	v_add_co_u32 v165, vcc_lo, 0x1000, v67
	v_add_co_ci_u32_e32 v166, vcc_lo, 0, v68, vcc_lo
	s_clause 0x7
	global_load_b128 v[81:84], v[157:158], off
	global_load_b128 v[85:88], v[157:158], off offset:512
	global_load_b128 v[89:92], v[165:166], off offset:256
	;; [unrolled: 1-line block ×7, first 2 shown]
	v_mul_lo_u16 v65, v77, 37
	s_or_b32 s15, s12, 0xe0
	s_delay_alu instid0(SALU_CYCLE_1) | instskip(SKIP_1) | instid1(VALU_DEP_1)
	s_ashr_i32 s19, s15, 5
	s_cmp_lt_i32 s15, s17
	v_lshrrev_b16 v65, 8, v65
	s_cselect_b32 s22, s19, s4
	s_delay_alu instid0(SALU_CYCLE_1) | instskip(NEXT) | instid1(VALU_DEP_1)
	s_ashr_i32 s23, s22, 31
	v_mul_lo_u16 v65, v65, 7
	s_lshl_b64 s[22:23], s[22:23], 2
	s_delay_alu instid0(SALU_CYCLE_1) | instskip(SKIP_1) | instid1(VALU_DEP_1)
	s_add_u32 s22, s13, s22
	s_addc_u32 s23, s16, s23
	v_sub_nc_u16 v65, v77, v65
	s_add_i32 s15, s12, 0x100
	s_delay_alu instid0(SALU_CYCLE_1) | instskip(SKIP_1) | instid1(VALU_DEP_1)
	s_ashr_i32 s19, s15, 5
	s_cmp_lt_i32 s15, s17
	v_and_b32_e32 v65, 0xff, v65
	s_cselect_b32 s28, s19, s4
	s_delay_alu instid0(SALU_CYCLE_1) | instskip(NEXT) | instid1(VALU_DEP_1)
	s_ashr_i32 s29, s28, 31
	v_lshlrev_b32_e32 v169, 6, v65
	ds_load_b128 v[65:68], v169
	ds_load_b128 v[69:72], v169 offset:1024
	s_clause 0x1
	global_load_b128 v[113:116], v[157:158], off offset:2048
	global_load_b128 v[117:120], v[157:158], off offset:2560
	ds_load_b128 v[129:132], v169 offset:2048
	ds_load_b128 v[133:136], v169 offset:3072
	s_clause 0x5
	global_load_b128 v[145:148], v[165:166], off offset:2304
	global_load_b128 v[149:152], v[165:166], off offset:2816
	;; [unrolled: 1-line block ×6, first 2 shown]
	s_lshl_b64 s[28:29], s[28:29], 2
	s_delay_alu instid0(SALU_CYCLE_1)
	s_add_u32 s28, s13, s28
	s_addc_u32 s29, s16, s29
	s_add_u32 s4, s10, s2
	s_addc_u32 s19, s11, s3
	s_lshl_b64 s[2:3], s[8:9], 1
	s_lshl_b64 s[8:9], s[20:21], 1
	;; [unrolled: 1-line block ×4, first 2 shown]
	s_waitcnt vmcnt(30) lgkmcnt(2)
	v_wmma_f32_16x16x16_f16 v[137:144], v[1:8], v[65:72], v[121:128]
	ds_load_b128 v[1:4], v169 offset:4096
	ds_load_b128 v[5:8], v169 offset:5120
	s_waitcnt vmcnt(28)
	v_wmma_f32_16x16x16_f16 v[121:128], v[9:16], v[65:72], v[121:128]
	ds_load_b128 v[9:12], v169 offset:6144
	ds_load_b128 v[13:16], v169 offset:7168
	s_waitcnt vmcnt(26) lgkmcnt(4)
	v_wmma_f32_16x16x16_f16 v[137:144], v[17:24], v[129:136], v[137:144]
	ds_load_b128 v[17:20], v169 offset:8192
	ds_load_b128 v[21:24], v169 offset:9216
	s_waitcnt vmcnt(24)
	v_wmma_f32_16x16x16_f16 v[121:128], v[25:32], v[129:136], v[121:128]
	v_lshl_or_b32 v25, v78, 10, v79
	ds_load_b128 v[129:132], v169 offset:10240
	ds_load_b128 v[133:136], v169 offset:11264
	s_clause 0x2
	s_load_b32 s15, s[6:7], 0x0
	s_load_b32 s13, s[22:23], 0x0
	;; [unrolled: 1-line block ×3, first 2 shown]
	s_mul_hi_i32 s7, s36, s5
	v_add_co_u32 v170, s4, s4, v25
	s_delay_alu instid0(VALU_DEP_1)
	v_add_co_ci_u32_e64 v171, null, s19, 0, s4
	s_mul_i32 s6, s36, s5
	s_mul_i32 s36, s38, s5
	s_lshl_b64 s[6:7], s[6:7], 1
	s_lshl_b64 s[22:23], s[36:37], 1
	s_waitcnt vmcnt(22) lgkmcnt(0)
	v_wmma_f32_16x16x16_f16 v[137:144], v[33:40], v[1:8], v[137:144]
	s_waitcnt vmcnt(20)
	v_wmma_f32_16x16x16_f16 v[121:128], v[41:48], v[1:8], v[121:128]
	v_add_co_u32 v1, vcc_lo, v170, s2
	v_add_co_ci_u32_e32 v2, vcc_lo, s3, v171, vcc_lo
	v_add_co_u32 v3, vcc_lo, v170, s8
	v_add_co_ci_u32_e32 v4, vcc_lo, s9, v171, vcc_lo
	;; [unrolled: 2-line block ×4, first 2 shown]
	v_add_co_u32 v25, vcc_lo, v170, s6
	s_mul_hi_i32 s25, s15, s5
	s_mul_i32 s24, s15, s5
	v_add_co_ci_u32_e32 v26, vcc_lo, s7, v171, vcc_lo
	v_add_co_u32 v27, vcc_lo, v170, s22
	s_lshl_b64 s[24:25], s[24:25], 1
	s_waitcnt vmcnt(18)
	v_wmma_f32_16x16x16_f16 v[137:144], v[49:56], v[9:16], v[137:144]
	s_waitcnt vmcnt(16)
	v_wmma_f32_16x16x16_f16 v[121:128], v[57:64], v[9:16], v[121:128]
	v_add_co_ci_u32_e32 v28, vcc_lo, s23, v171, vcc_lo
	s_mul_hi_i32 s3, s13, s5
	s_mul_i32 s2, s13, s5
	v_add_co_u32 v29, vcc_lo, v170, s24
	s_lshl_b64 s[2:3], s[2:3], 1
	v_add_co_ci_u32_e32 v30, vcc_lo, s25, v171, vcc_lo
	s_waitcnt vmcnt(14)
	v_wmma_f32_16x16x16_f16 v[137:144], v[81:88], v[17:24], v[137:144]
	s_waitcnt vmcnt(12)
	v_wmma_f32_16x16x16_f16 v[121:128], v[89:96], v[17:24], v[121:128]
	v_add_co_u32 v17, vcc_lo, v170, s2
	v_add_co_ci_u32_e32 v18, vcc_lo, s3, v171, vcc_lo
	s_mul_hi_i32 s3, s16, s5
	s_mul_i32 s2, s16, s5
	s_clause 0x5
	global_load_b128 v[65:68], v[1:2], off
	global_load_b128 v[69:72], v[1:2], off offset:16
	global_load_b128 v[57:60], v[3:4], off
	global_load_b128 v[61:64], v[3:4], off offset:16
	;; [unrolled: 2-line block ×3, first 2 shown]
	s_lshl_b64 s[2:3], s[2:3], 1
	s_clause 0x1
	global_load_b128 v[41:44], v[7:8], off
	global_load_b128 v[45:48], v[7:8], off offset:16
	v_add_co_u32 v21, vcc_lo, v170, s2
	v_add_co_ci_u32_e32 v22, vcc_lo, s3, v171, vcc_lo
	s_clause 0x9
	global_load_b128 v[9:12], v[25:26], off
	global_load_b128 v[13:16], v[25:26], off offset:16
	global_load_b128 v[1:4], v[27:28], off
	global_load_b128 v[5:8], v[27:28], off offset:16
	;; [unrolled: 2-line block ×5, first 2 shown]
	ds_load_b128 v[81:84], v169 offset:12288
	ds_load_b128 v[85:88], v169 offset:13312
	v_and_b32_e32 v89, 0xe0, v0
	s_waitcnt vmcnt(28)
	v_wmma_f32_16x16x16_f16 v[137:144], v[97:104], v[129:136], v[137:144]
	v_mbcnt_lo_u32_b32 v97, -1, 0
	s_waitcnt vmcnt(26)
	v_wmma_f32_16x16x16_f16 v[121:128], v[105:112], v[129:136], v[121:128]
	v_add_nc_u32_e32 v98, s12, v89
	ds_load_b128 v[89:92], v169 offset:14336
	ds_load_b128 v[93:96], v169 offset:15360
	v_xor_b32_e32 v99, 16, v97
	s_waitcnt vmcnt(0) lgkmcnt(0)
	s_barrier
	v_or_b32_e32 v98, v98, v75
	buffer_gl0_inv
	v_cmp_gt_i32_e32 vcc_lo, 32, v99
	v_or_b32_e32 v100, 4, v98
	v_or_b32_e32 v101, 22, v98
	;; [unrolled: 1-line block ×4, first 2 shown]
	v_wmma_f32_16x16x16_f16 v[137:144], v[113:120], v[81:88], v[137:144]
	v_wmma_f32_16x16x16_f16 v[121:128], v[145:152], v[81:88], v[121:128]
	v_or_b32_e32 v81, 6, v98
	v_or_b32_e32 v82, 8, v98
	;; [unrolled: 1-line block ×3, first 2 shown]
	v_cmp_gt_i32_e64 s3, s17, v100
	v_or_b32_e32 v84, 12, v98
	v_wmma_f32_16x16x16_f16 v[137:144], v[153:160], v[89:96], v[137:144]
	v_wmma_f32_16x16x16_f16 v[121:128], v[161:168], v[89:96], v[121:128]
	v_cndmask_b32_e32 v97, v97, v99, vcc_lo
	v_or_b32_e32 v99, 2, v98
	v_cmp_gt_i32_e32 vcc_lo, s17, v98
	v_dual_mul_f32 v95, s18, v138 :: v_dual_mul_f32 v96, s18, v137
	v_mul_f32_e32 v93, s18, v140
	s_delay_alu instid0(VALU_DEP_4)
	v_cmp_gt_i32_e64 s2, s17, v99
	v_mul_f32_e32 v94, s18, v139
	v_mul_f32_e32 v108, s18, v126
	v_cndmask_b32_e32 v96, 0xff7fffff, v96, vcc_lo
	v_cmp_gt_i32_e64 s4, s17, v81
	v_cndmask_b32_e64 v95, 0xff7fffff, v95, s2
	v_or_b32_e32 v85, 14, v98
	v_dual_mul_f32 v91, s18, v142 :: v_dual_mul_f32 v110, s18, v124
	v_mul_f32_e32 v92, s18, v141
	v_cndmask_b32_e64 v94, 0xff7fffff, v94, s3
	v_cndmask_b32_e64 v81, 0xff7fffff, v93, s4
	v_max3_f32 v93, v96, 0xff7fffff, v95
	v_cmp_gt_i32_e64 s5, s17, v82
	v_cmp_gt_i32_e64 s6, s17, v83
	v_or_b32_e32 v86, 16, v98
	v_or_b32_e32 v87, 18, v98
	v_dual_mul_f32 v89, s18, v144 :: v_dual_mul_f32 v112, s18, v122
	v_mul_f32_e32 v90, s18, v143
	v_cndmask_b32_e64 v82, 0xff7fffff, v92, s5
	v_cndmask_b32_e64 v83, 0xff7fffff, v91, s6
	v_max3_f32 v81, v93, v94, v81
	v_cmp_gt_i32_e64 s7, s17, v84
	v_cmp_gt_i32_e64 s8, s17, v85
	v_or_b32_e32 v88, 20, v98
	v_mul_f32_e32 v113, s18, v121
	v_max3_f32 v81, v81, v82, v83
	v_cndmask_b32_e64 v84, 0xff7fffff, v90, s7
	v_cndmask_b32_e64 v85, 0xff7fffff, v89, s8
	v_cmp_gt_i32_e64 s9, s17, v86
	v_cmp_gt_i32_e64 s10, s17, v87
	v_mul_f32_e32 v111, s18, v123
	v_cmp_gt_i32_e64 s11, s17, v88
	v_max3_f32 v81, v81, v84, v85
	v_cndmask_b32_e64 v82, 0xff7fffff, v113, s9
	v_cndmask_b32_e64 v83, 0xff7fffff, v112, s10
	v_cmp_gt_i32_e64 s12, s17, v101
	v_or_b32_e32 v104, 28, v98
	v_or_b32_e32 v105, 30, v98
	v_mul_f32_e32 v109, s18, v125
	v_cndmask_b32_e64 v84, 0xff7fffff, v111, s11
	v_cndmask_b32_e64 v85, 0xff7fffff, v110, s12
	v_max3_f32 v81, v81, v82, v83
	v_cmp_gt_i32_e64 s13, s17, v102
	v_cmp_gt_i32_e64 s15, s17, v103
	v_dual_mul_f32 v106, s18, v128 :: v_dual_mul_f32 v107, s18, v127
	s_delay_alu instid0(VALU_DEP_4) | instskip(NEXT) | instid1(VALU_DEP_4)
	v_max3_f32 v81, v81, v84, v85
	v_cndmask_b32_e64 v82, 0xff7fffff, v109, s13
	s_delay_alu instid0(VALU_DEP_4) | instskip(SKIP_2) | instid1(VALU_DEP_3)
	v_cndmask_b32_e64 v83, 0xff7fffff, v108, s15
	v_cmp_gt_i32_e64 s16, s17, v104
	v_cmp_gt_i32_e64 s17, s17, v105
	v_max3_f32 v81, v81, v82, v83
	s_delay_alu instid0(VALU_DEP_3) | instskip(NEXT) | instid1(VALU_DEP_3)
	v_cndmask_b32_e64 v84, 0xff7fffff, v107, s16
	v_cndmask_b32_e64 v85, 0xff7fffff, v106, s17
	v_lshlrev_b32_e32 v83, 2, v97
	s_delay_alu instid0(VALU_DEP_2) | instskip(SKIP_3) | instid1(VALU_DEP_1)
	v_max3_f32 v81, v81, v84, v85
	ds_bpermute_b32 v82, v83, v81
	s_waitcnt lgkmcnt(0)
	v_max_f32_e32 v82, v82, v82
	v_max_f32_e32 v81, v81, v82
	s_delay_alu instid0(VALU_DEP_1)
	v_fma_f32 v82, s18, v137, -v81
	v_fma_f32 v84, s18, v138, -v81
	;; [unrolled: 1-line block ×5, first 2 shown]
	v_mul_f32_e32 v82, 0x3fb8aa3b, v82
	s_delay_alu instid0(VALU_DEP_4) | instskip(NEXT) | instid1(VALU_DEP_3)
	v_dual_mul_f32 v84, 0x3fb8aa3b, v84 :: v_dual_mul_f32 v89, 0x3fb8aa3b, v87
	v_mul_f32_e32 v86, 0x3fb8aa3b, v86
	s_delay_alu instid0(VALU_DEP_3) | instskip(NEXT) | instid1(VALU_DEP_2)
	v_exp_f32_e32 v82, v82
	v_exp_f32_e32 v84, v84
	s_delay_alu instid0(VALU_DEP_2) | instskip(NEXT) | instid1(VALU_DEP_1)
	v_exp_f32_e32 v92, v89
	v_exp_f32_e32 v86, v86
	v_cndmask_b32_e32 v88, 0, v82, vcc_lo
	s_delay_alu instid0(TRANS32_DEP_3)
	v_cndmask_b32_e64 v87, 0, v84, s2
	s_waitcnt_depctr 0xfff
	v_cndmask_b32_e64 v92, 0, v92, s5
	v_cmp_gt_u32_e64 s2, 16, v80
	v_cndmask_b32_e64 v89, 0, v86, s4
	v_add_f32_e32 v84, 0, v88
	s_delay_alu instid0(VALU_DEP_1) | instskip(NEXT) | instid1(VALU_DEP_1)
	v_dual_add_f32 v84, v84, v87 :: v_dual_mul_f32 v85, 0x3fb8aa3b, v85
	v_exp_f32_e32 v85, v85
	s_waitcnt_depctr 0xfff
	v_cndmask_b32_e64 v90, 0, v85, s3
	s_delay_alu instid0(VALU_DEP_1) | instskip(NEXT) | instid1(VALU_DEP_1)
	v_add_f32_e32 v84, v84, v90
	v_add_f32_e32 v84, v84, v89
	v_fma_f32 v82, s18, v142, -v81
	v_fma_f32 v91, s18, v143, -v81
	;; [unrolled: 1-line block ×5, first 2 shown]
	s_delay_alu instid0(VALU_DEP_4) | instskip(SKIP_1) | instid1(VALU_DEP_4)
	v_dual_mul_f32 v82, 0x3fb8aa3b, v82 :: v_dual_mul_f32 v91, 0x3fb8aa3b, v91
	v_fma_f32 v96, s18, v124, -v81
	v_mul_f32_e32 v86, 0x3fb8aa3b, v86
	v_fma_f32 v99, s18, v127, -v81
	s_delay_alu instid0(VALU_DEP_4) | instskip(SKIP_3) | instid1(VALU_DEP_1)
	v_exp_f32_e32 v82, v82
	v_exp_f32_e32 v93, v91
	v_mul_f32_e32 v97, 0x3fb8aa3b, v96
	v_exp_f32_e32 v86, v86
	v_exp_f32_e32 v97, v97
	v_cndmask_b32_e64 v91, 0, v82, s6
	v_dual_add_f32 v82, v84, v92 :: v_dual_mul_f32 v85, 0x3fb8aa3b, v85
	v_fma_f32 v84, s18, v123, -v81
	v_mul_f32_e32 v95, 0x3fb8aa3b, v94
	s_delay_alu instid0(TRANS32_DEP_3) | instskip(NEXT) | instid1(VALU_DEP_4)
	v_cndmask_b32_e64 v94, 0, v93, s7
	v_add_f32_e32 v82, v82, v91
	v_exp_f32_e32 v85, v85
	v_mul_f32_e32 v84, 0x3fb8aa3b, v84
	v_cndmask_b32_e64 v96, 0, v86, s9
	v_exp_f32_e32 v95, v95
	v_add_f32_e32 v82, v82, v94
	v_fma_f32 v86, s18, v126, -v81
	v_exp_f32_e32 v84, v84
	v_cndmask_b32_e64 v97, 0, v97, s12
	s_delay_alu instid0(TRANS32_DEP_3) | instskip(SKIP_2) | instid1(TRANS32_DEP_2)
	v_cndmask_b32_e64 v93, 0, v85, s8
	v_fma_f32 v85, s18, v125, -v81
	v_mul_f32_e32 v86, 0x3fb8aa3b, v86
	v_cndmask_b32_e64 v95, 0, v95, s10
	s_waitcnt_depctr 0xfff
	v_cndmask_b32_e64 v98, 0, v84, s11
	v_mul_f32_e32 v84, 0x3fb8aa3b, v99
	v_fma_f32 v99, s18, v128, -v81
	v_add_f32_e32 v82, v82, v93
	v_mul_f32_e32 v85, 0x3fb8aa3b, v85
	v_exp_f32_e32 v86, v86
	v_exp_f32_e32 v84, v84
	s_delay_alu instid0(VALU_DEP_1)
	v_exp_f32_e32 v85, v85
	s_waitcnt_depctr 0xfff
	v_cndmask_b32_e64 v102, 0, v84, s16
	v_cndmask_b32_e64 v100, 0, v85, s13
	v_dual_mul_f32 v85, 0x3fb8aa3b, v99 :: v_dual_add_f32 v82, v82, v96
	v_cndmask_b32_e64 v99, 0, v86, s15
	s_delay_alu instid0(VALU_DEP_2) | instskip(NEXT) | instid1(VALU_DEP_2)
	v_exp_f32_e32 v85, v85
	v_add_f32_e32 v82, v82, v95
	s_delay_alu instid0(VALU_DEP_1) | instskip(SKIP_3) | instid1(VALU_DEP_1)
	v_add_f32_e32 v82, v82, v98
	s_waitcnt_depctr 0xfff
	v_cndmask_b32_e64 v101, 0, v85, s17
	v_add_f32_e32 v82, v82, v97
	v_add_f32_e32 v82, v82, v100
	s_delay_alu instid0(VALU_DEP_1) | instskip(NEXT) | instid1(VALU_DEP_1)
	v_add_f32_e32 v82, v82, v99
	v_add_f32_e32 v82, v82, v102
	s_delay_alu instid0(VALU_DEP_1)
	v_add_f32_e32 v82, v82, v101
	ds_bpermute_b32 v83, v83, v82
	s_and_saveexec_b32 s3, s2
	s_cbranch_execz .LBB352_14
; %bb.13:
	v_mul_u32_u24_e32 v80, 0x44, v78
	s_waitcnt lgkmcnt(0)
	v_add_f32_e32 v82, v82, v83
	s_delay_alu instid0(VALU_DEP_2) | instskip(NEXT) | instid1(VALU_DEP_1)
	v_lshl_add_u32 v80, v77, 2, v80
	v_add_nc_u32_e32 v80, 0x4000, v80
	ds_store_2addr_b32 v80, v81, v82 offset1:136
.LBB352_14:
	s_or_b32 exec_lo, exec_lo, s3
	v_lshlrev_b32_e32 v80, 2, v77
	s_load_b32 s35, s[0:1], 0x94
	s_waitcnt lgkmcnt(0)
	s_barrier
	buffer_gl0_inv
	v_add_nc_u32_e32 v84, 0x4000, v80
	v_cmp_eq_u32_e32 vcc_lo, 1, v78
	v_cmp_eq_u32_e64 s3, 2, v78
	v_cmp_eq_u32_e64 s4, 3, v78
	;; [unrolled: 1-line block ×3, first 2 shown]
	ds_load_2addr_b32 v[80:81], v84 offset1:17
	ds_load_2addr_b32 v[82:83], v84 offset0:34 offset1:51
	ds_load_2addr_b32 v[103:104], v84 offset0:68 offset1:85
	;; [unrolled: 1-line block ×3, first 2 shown]
	v_cmp_eq_u32_e64 s6, 7, v78
	s_waitcnt lgkmcnt(3)
	v_max3_f32 v85, v80, 0xff7fffff, v81
	s_waitcnt lgkmcnt(2)
	s_delay_alu instid0(VALU_DEP_1) | instskip(SKIP_1) | instid1(VALU_DEP_1)
	v_max3_f32 v85, v85, v82, v83
	s_waitcnt lgkmcnt(1)
	v_max3_f32 v85, v85, v103, v104
	s_waitcnt lgkmcnt(0)
	s_delay_alu instid0(VALU_DEP_1) | instskip(NEXT) | instid1(VALU_DEP_1)
	v_max3_f32 v85, v85, v105, v106
	v_sub_f32_e32 v103, v103, v85
	ds_load_2addr_b32 v[107:108], v84 offset0:136 offset1:153
	v_sub_f32_e32 v80, v80, v85
	v_dual_sub_f32 v110, v83, v85 :: v_dual_mul_f32 v113, 0x3fb8aa3b, v103
	s_delay_alu instid0(VALU_DEP_2) | instskip(SKIP_3) | instid1(VALU_DEP_1)
	v_dual_sub_f32 v86, v81, v85 :: v_dual_mul_f32 v109, 0x3fb8aa3b, v80
	ds_load_2addr_b32 v[80:81], v84 offset0:170 offset1:187
	v_mul_f32_e32 v86, 0x3fb8aa3b, v86
	v_exp_f32_e32 v109, v109
	v_exp_f32_e32 v112, v86
	v_mul_f32_e32 v110, 0x3fb8aa3b, v110
	s_waitcnt lgkmcnt(1)
	s_waitcnt_depctr 0xfff
	v_fma_f32 v86, v109, v107, 0
	v_sub_f32_e32 v107, v104, v85
	v_sub_f32_e32 v82, v82, v85
	v_exp_f32_e32 v110, v110
	ds_load_2addr_b32 v[103:104], v84 offset0:238 offset1:255
	v_dual_fmac_f32 v86, v112, v108 :: v_dual_mul_f32 v111, 0x3fb8aa3b, v82
	ds_load_2addr_b32 v[82:83], v84 offset0:204 offset1:221
	v_dual_sub_f32 v84, v105, v85 :: v_dual_mul_f32 v105, 0x3fb8aa3b, v107
	v_exp_f32_e32 v107, v113
	v_exp_f32_e32 v111, v111
	s_waitcnt lgkmcnt(0)
	s_delay_alu instid0(VALU_DEP_1)
	v_mul_f32_e32 v84, 0x3fb8aa3b, v84
	v_exp_f32_e32 v105, v105
	s_barrier
	buffer_gl0_inv
	v_fmac_f32_e32 v86, v111, v80
	v_sub_f32_e32 v80, v106, v85
	v_exp_f32_e32 v106, v84
	s_delay_alu instid0(VALU_DEP_2) | instskip(NEXT) | instid1(VALU_DEP_2)
	v_fmac_f32_e32 v86, v110, v81
	v_mul_f32_e32 v80, 0x3fb8aa3b, v80
	s_delay_alu instid0(VALU_DEP_2) | instskip(NEXT) | instid1(VALU_DEP_2)
	v_dual_cndmask_b32 v81, v109, v112 :: v_dual_fmac_f32 v86, v107, v82
	v_exp_f32_e32 v108, v80
	s_delay_alu instid0(VALU_DEP_1) | instskip(SKIP_2) | instid1(VALU_DEP_1)
	v_fmac_f32_e32 v86, v105, v83
	s_waitcnt_depctr 0xfff
	v_fmac_f32_e32 v86, v106, v103
	v_fmac_f32_e32 v86, v108, v104
	s_delay_alu instid0(VALU_DEP_1) | instskip(NEXT) | instid1(VALU_DEP_1)
	v_add_f32_e32 v103, 0x358637bd, v86
	v_div_scale_f32 v104, null, v103, v103, 1.0
	v_div_scale_f32 v109, vcc_lo, 1.0, v103, 1.0
	s_delay_alu instid0(VALU_DEP_2) | instskip(SKIP_2) | instid1(VALU_DEP_1)
	v_rcp_f32_e32 v113, v104
	s_waitcnt_depctr 0xfff
	v_fma_f32 v80, -v104, v113, 1.0
	v_fmac_f32_e32 v113, v80, v113
	v_cndmask_b32_e64 v80, v81, v111, s3
	v_cmp_eq_u32_e64 s3, 4, v78
	v_lshl_or_b32 v81, v78, 11, v79
	s_delay_alu instid0(VALU_DEP_4) | instskip(NEXT) | instid1(VALU_DEP_4)
	v_mul_f32_e32 v111, v109, v113
	v_cndmask_b32_e64 v82, v80, v110, s4
	v_cmp_eq_u32_e64 s4, 6, v78
	s_delay_alu instid0(VALU_DEP_4) | instskip(SKIP_3) | instid1(VALU_DEP_3)
	v_lshl_or_b32 v78, v75, 4, v81
	v_lshlrev_b32_e32 v80, 2, v75
	v_fma_f32 v83, -v104, v111, v109
	v_cndmask_b32_e64 v84, v82, v107, s3
	v_or_b32_e32 v82, 1, v80
	s_delay_alu instid0(VALU_DEP_3) | instskip(NEXT) | instid1(VALU_DEP_3)
	v_fmac_f32_e32 v111, v83, v113
	v_cndmask_b32_e64 v105, v84, v105, s5
	v_or_b32_e32 v84, 2, v80
	v_or_b32_e32 v83, 3, v80
	v_cmp_eq_u32_e64 s3, 1, v80
	v_fma_f32 v104, -v104, v111, v109
	v_cndmask_b32_e64 v105, v105, v106, s4
	v_cmp_eq_u32_e64 s9, 1, v82
	v_cmp_eq_u32_e64 s10, 1, v84
	;; [unrolled: 1-line block ×3, first 2 shown]
	v_div_fmas_f32 v104, v104, v113, v111
	v_cndmask_b32_e64 v105, v105, v108, s6
	v_cmp_eq_u32_e32 vcc_lo, 2, v80
	v_cmp_eq_u32_e64 s12, 2, v82
	v_cmp_eq_u32_e64 s15, 2, v84
	v_div_fixup_f32 v103, v104, v103, 1.0
	v_cmp_eq_u32_e64 s16, 2, v83
	v_cmp_eq_u32_e64 s18, 3, v83
	;; [unrolled: 1-line block ×4, first 2 shown]
	v_mul_f32_e32 v111, v105, v103
	v_cmp_eq_u32_e64 s17, 3, v84
	v_cmp_eq_u32_e64 s22, 4, v83
	;; [unrolled: 1-line block ×4, first 2 shown]
	v_fma_mixlo_f16 v103, v111, v88, 0
	v_fma_mixlo_f16 v104, v111, v90, 0
	v_fma_mixlo_f16 v105, v111, v92, 0
	v_fma_mixlo_f16 v106, v111, v94, 0
	v_fma_mixlo_f16 v107, v111, v96, 0
	v_fma_mixlo_f16 v108, v111, v98, 0
	v_fma_mixlo_f16 v109, v111, v100, 0
	v_fma_mixlo_f16 v110, v111, v102, 0
	v_fma_mixhi_f16 v103, v111, v87, 0
	v_fma_mixhi_f16 v104, v111, v89, 0
	;; [unrolled: 1-line block ×8, first 2 shown]
	ds_store_b128 v78, v[103:106]
	ds_store_b128 v78, v[107:110] offset:1024
	s_waitcnt lgkmcnt(0)
	s_barrier
	buffer_gl0_inv
	ds_load_b128 v[87:90], v81
	ds_load_b128 v[91:94], v81 offset:16
	ds_load_b128 v[95:98], v81 offset:1024
	ds_load_b128 v[99:102], v81 offset:1040
	v_cmp_eq_u32_e64 s21, 4, v84
	v_cmp_eq_u32_e64 s24, 5, v83
	;; [unrolled: 1-line block ×13, first 2 shown]
	s_waitcnt lgkmcnt(3)
	v_lshrrev_b32_e32 v103, 16, v87
	s_waitcnt lgkmcnt(2)
	v_lshrrev_b32_e32 v107, 16, v91
	;; [unrolled: 2-line block ×4, first 2 shown]
	v_lshrrev_b32_e32 v104, 16, v88
	v_cndmask_b32_e64 v119, v87, v103, s3
	v_cndmask_b32_e64 v120, v91, v107, s3
	;; [unrolled: 1-line block ×8, first 2 shown]
	v_lshrrev_b32_e32 v108, 16, v92
	v_cndmask_b32_e64 v103, v95, v111, s3
	v_cndmask_b32_e64 v107, v99, v115, s3
	;; [unrolled: 1-line block ×5, first 2 shown]
	v_cndmask_b32_e32 v111, v119, v88, vcc_lo
	v_cndmask_b32_e64 v119, v121, v88, s12
	v_cndmask_b32_e64 v121, v123, v88, s15
	;; [unrolled: 1-line block ×4, first 2 shown]
	v_lshrrev_b32_e32 v112, 16, v96
	v_lshrrev_b32_e32 v116, 16, v100
	v_cndmask_b32_e64 v126, v99, v115, s9
	v_cndmask_b32_e64 v128, v99, v115, s10
	;; [unrolled: 1-line block ×3, first 2 shown]
	v_cndmask_b32_e32 v115, v120, v92, vcc_lo
	v_cndmask_b32_e64 v120, v122, v92, s12
	v_cndmask_b32_e64 v122, v124, v92, s15
	v_cndmask_b32_e32 v91, v103, v96, vcc_lo
	v_cndmask_b32_e32 v92, v107, v100, vcc_lo
	v_cndmask_b32_e64 v103, v125, v96, s12
	v_cndmask_b32_e64 v87, v87, v104, s18
	;; [unrolled: 1-line block ×3, first 2 shown]
	v_lshrrev_b32_e32 v105, 16, v89
	v_lshrrev_b32_e32 v109, 16, v93
	v_cndmask_b32_e64 v107, v127, v96, s15
	v_cndmask_b32_e64 v95, v95, v96, s16
	;; [unrolled: 1-line block ×14, first 2 shown]
	v_lshrrev_b32_e32 v113, 16, v97
	v_cndmask_b32_e64 v99, v99, v89, s5
	v_cndmask_b32_e64 v104, v111, v93, s5
	;; [unrolled: 1-line block ×11, first 2 shown]
	v_lshrrev_b32_e32 v106, 16, v90
	v_lshrrev_b32_e32 v110, 16, v94
	v_cndmask_b32_e64 v93, v99, v105, s6
	v_cndmask_b32_e64 v99, v104, v109, s6
	;; [unrolled: 1-line block ×9, first 2 shown]
	v_lshrrev_b32_e32 v114, 16, v98
	v_cndmask_b32_e64 v89, v89, v113, s6
	v_cndmask_b32_e64 v93, v93, v90, s7
	;; [unrolled: 1-line block ×19, first 2 shown]
	v_perm_b32 v90, v88, v87, 0x5040100
	v_cndmask_b32_e64 v87, v126, v100, s12
	v_cndmask_b32_e64 v105, v89, v114, s8
	v_perm_b32 v89, v103, v99, 0x5040100
	v_perm_b32 v88, v104, v94, 0x5040100
	v_cndmask_b32_e64 v94, v107, v112, s17
	v_cndmask_b32_e64 v95, v95, v112, s18
	;; [unrolled: 1-line block ×5, first 2 shown]
	v_lshrrev_b32_e32 v117, 16, v101
	v_cndmask_b32_e64 v94, v94, v97, s21
	v_cndmask_b32_e64 v95, v95, v97, s22
	;; [unrolled: 1-line block ×11, first 2 shown]
	v_lshrrev_b32_e32 v118, 16, v102
	v_cndmask_b32_e64 v91, v91, v102, s7
	v_cndmask_b32_e64 v94, v94, v98, s26
	;; [unrolled: 1-line block ×12, first 2 shown]
	v_perm_b32 v87, v93, v92, 0x5040100
	v_perm_b32 v94, v95, v94, 0x5040100
	;; [unrolled: 1-line block ×5, first 2 shown]
	s_mul_i32 s7, s33, 7
	s_mov_b32 s3, exec_lo
	ds_store_b128 v78, v[87:90]
	ds_store_b128 v78, v[91:94] offset:1024
	v_cmpx_gt_u32_e32 7, v0
	s_cbranch_execz .LBB352_16
; %bb.15:
	s_mul_i32 s4, s7, s34
	s_load_b128 s[8:11], s[0:1], 0x58
	v_add3_u32 v77, s4, s31, v77
	s_delay_alu instid0(VALU_DEP_1) | instskip(NEXT) | instid1(VALU_DEP_1)
	v_mad_u64_u32 v[87:88], null, v77, s35, s[14:15]
	v_ashrrev_i32_e32 v88, 31, v87
	s_delay_alu instid0(VALU_DEP_1) | instskip(SKIP_1) | instid1(VALU_DEP_1)
	v_lshlrev_b64 v[87:88], 2, v[87:88]
	s_waitcnt lgkmcnt(0)
	v_add_co_u32 v89, vcc_lo, s10, v87
	s_delay_alu instid0(VALU_DEP_2)
	v_add_co_ci_u32_e32 v90, vcc_lo, s11, v88, vcc_lo
	v_add_co_u32 v87, vcc_lo, s8, v87
	v_add_co_ci_u32_e32 v88, vcc_lo, s9, v88, vcc_lo
	global_store_b32 v[89:90], v85, off
	global_store_b32 v[87:88], v86, off
.LBB352_16:
	s_or_b32 exec_lo, exec_lo, s3
	s_waitcnt lgkmcnt(0)
	s_waitcnt_vscnt null, 0x0
	s_barrier
	buffer_gl0_inv
	ds_load_b128 v[93:96], v79
	ds_load_b128 v[97:100], v79 offset:16
	ds_load_b128 v[105:108], v79 offset:1040
	;; [unrolled: 1-line block ×5, first 2 shown]
	v_cmp_eq_u32_e32 vcc_lo, 1, v84
	v_mov_b32_e32 v85, 0
	ds_load_b128 v[121:124], v79 offset:3088
	ds_load_b128 v[117:120], v79 offset:3072
	;; [unrolled: 1-line block ×4, first 2 shown]
	v_cmp_eq_u32_e64 s3, 1, v80
	v_cmp_eq_u32_e64 s4, 1, v83
	;; [unrolled: 1-line block ×3, first 2 shown]
	v_mov_b32_e32 v86, v85
	v_mov_b32_e32 v87, v85
	v_mov_b32_e32 v88, v85
	v_mov_b32_e32 v89, v85
	v_mov_b32_e32 v90, v85
	v_mov_b32_e32 v91, v85
	v_mov_b32_e32 v92, v85
	v_cmp_eq_u32_e64 s6, 2, v80
	s_waitcnt lgkmcnt(8)
	s_delay_alu instid0(VALU_DEP_2)
	v_wmma_f32_16x16x16_f16 v[85:92], v[65:72], v[93:100], v[85:92]
	ds_load_b128 v[69:72], v79 offset:5136
	ds_load_b128 v[65:68], v79 offset:5120
	;; [unrolled: 1-line block ×4, first 2 shown]
	s_waitcnt lgkmcnt(10)
	v_wmma_f32_16x16x16_f16 v[85:92], v[57:64], v[101:108], v[85:92]
	s_waitcnt lgkmcnt(8)
	s_delay_alu instid0(VALU_DEP_1)
	v_wmma_f32_16x16x16_f16 v[85:92], v[57:64], v[109:116], v[85:92]
	ds_load_b128 v[61:64], v79 offset:7184
	ds_load_b128 v[57:60], v79 offset:7168
	;; [unrolled: 1-line block ×4, first 2 shown]
	s_waitcnt lgkmcnt(10)
	v_wmma_f32_16x16x16_f16 v[85:92], v[49:56], v[117:124], v[85:92]
	s_waitcnt lgkmcnt(8)
	s_delay_alu instid0(VALU_DEP_1)
	v_wmma_f32_16x16x16_f16 v[85:92], v[49:56], v[125:132], v[85:92]
	ds_load_b128 v[53:56], v79 offset:9232
	ds_load_b128 v[49:52], v79 offset:9216
	s_waitcnt lgkmcnt(8)
	v_wmma_f32_16x16x16_f16 v[85:92], v[41:48], v[65:72], v[85:92]
	ds_load_b128 v[69:72], v79 offset:10256
	ds_load_b128 v[65:68], v79 offset:10240
	s_waitcnt lgkmcnt(8)
	;; [unrolled: 4-line block ×7, first 2 shown]
	s_barrier
	buffer_gl0_inv
	v_wmma_f32_16x16x16_f16 v[85:92], v[33:40], v[41:48], v[85:92]
	s_delay_alu instid0(VALU_DEP_1) | instskip(NEXT) | instid1(VALU_DEP_1)
	v_wmma_f32_16x16x16_f16 v[85:92], v[33:40], v[57:64], v[85:92]
	v_wmma_f32_16x16x16_f16 v[85:92], v[25:32], v[9:16], v[85:92]
	s_delay_alu instid0(VALU_DEP_1) | instskip(NEXT) | instid1(VALU_DEP_1)
	v_wmma_f32_16x16x16_f16 v[85:92], v[25:32], v[49:56], v[85:92]
	v_wmma_f32_16x16x16_f16 v[85:92], v[17:24], v[1:8], v[85:92]
	s_delay_alu instid0(VALU_DEP_1) | instskip(NEXT) | instid1(VALU_DEP_2)
	v_cvt_f16_f32_e32 v1, v85
	v_cvt_f16_f32_e32 v2, v86
	s_delay_alu instid0(VALU_DEP_3) | instskip(NEXT) | instid1(VALU_DEP_4)
	v_cvt_f16_f32_e32 v3, v87
	v_cvt_f16_f32_e32 v4, v88
	;; [unrolled: 1-line block ×6, first 2 shown]
	v_pack_b32_f16 v1, v1, v2
	v_pack_b32_f16 v2, v3, v4
	;; [unrolled: 1-line block ×3, first 2 shown]
	s_delay_alu instid0(VALU_DEP_4)
	v_pack_b32_f16 v4, v7, v8
	ds_store_b128 v78, v[1:4]
	s_waitcnt lgkmcnt(0)
	s_barrier
	buffer_gl0_inv
	ds_load_b128 v[1:4], v81
	ds_load_b128 v[5:8], v81 offset:16
	s_waitcnt lgkmcnt(1)
	v_lshrrev_b32_e32 v9, 16, v1
	s_waitcnt lgkmcnt(0)
	v_lshrrev_b32_e32 v13, 16, v5
	v_lshrrev_b32_e32 v15, 16, v7
	;; [unrolled: 1-line block ×4, first 2 shown]
	v_cndmask_b32_e64 v17, v1, v9, s3
	v_cndmask_b32_e64 v18, v5, v13, s3
	;; [unrolled: 1-line block ×3, first 2 shown]
	v_cmp_eq_u32_e64 s3, 2, v82
	v_cndmask_b32_e64 v20, v5, v13, s5
	v_cndmask_b32_e32 v21, v1, v9, vcc_lo
	v_cndmask_b32_e32 v22, v5, v13, vcc_lo
	v_cndmask_b32_e64 v1, v1, v9, s4
	v_cndmask_b32_e64 v5, v5, v13, s4
	v_cmp_eq_u32_e32 vcc_lo, 2, v84
	v_cmp_eq_u32_e64 s4, 2, v83
	v_cndmask_b32_e64 v9, v17, v2, s6
	v_cndmask_b32_e64 v13, v18, v6, s6
	;; [unrolled: 1-line block ×4, first 2 shown]
	v_cndmask_b32_e32 v19, v21, v2, vcc_lo
	v_cmp_eq_u32_e64 s3, 3, v84
	v_cndmask_b32_e32 v20, v22, v6, vcc_lo
	v_cndmask_b32_e64 v1, v1, v2, s4
	v_cmp_eq_u32_e32 vcc_lo, 3, v83
	v_cmp_eq_u32_e64 s5, 3, v80
	v_cndmask_b32_e64 v2, v5, v6, s4
	v_cmp_eq_u32_e64 s4, 3, v82
	v_lshrrev_b32_e32 v16, 16, v8
	v_cmp_eq_u32_e64 s6, 4, v80
	v_cndmask_b32_e64 v5, v9, v10, s5
	v_cndmask_b32_e64 v6, v13, v14, s5
	;; [unrolled: 1-line block ×3, first 2 shown]
	v_cmp_eq_u32_e64 s5, 4, v82
	v_cndmask_b32_e64 v13, v18, v14, s4
	v_cndmask_b32_e64 v17, v19, v10, s3
	;; [unrolled: 1-line block ×3, first 2 shown]
	v_cndmask_b32_e32 v1, v1, v10, vcc_lo
	v_cndmask_b32_e32 v2, v2, v14, vcc_lo
	v_cmp_eq_u32_e32 vcc_lo, 4, v84
	v_cmp_eq_u32_e64 s4, 4, v83
	v_lshrrev_b32_e32 v11, 16, v3
	v_cndmask_b32_e64 v5, v5, v3, s6
	v_cndmask_b32_e64 v6, v6, v7, s6
	;; [unrolled: 1-line block ×4, first 2 shown]
	v_cndmask_b32_e32 v13, v17, v3, vcc_lo
	v_cmp_eq_u32_e64 s3, 5, v84
	v_cndmask_b32_e32 v14, v18, v7, vcc_lo
	v_cndmask_b32_e64 v1, v1, v3, s4
	v_cmp_eq_u32_e32 vcc_lo, 5, v83
	v_cmp_eq_u32_e64 s5, 5, v80
	v_cndmask_b32_e64 v2, v2, v7, s4
	v_cmp_eq_u32_e64 s4, 5, v82
	v_cmp_eq_u32_e64 s6, 6, v80
	v_cndmask_b32_e32 v1, v1, v11, vcc_lo
	v_cndmask_b32_e64 v3, v5, v11, s5
	v_cndmask_b32_e64 v5, v6, v15, s5
	;; [unrolled: 1-line block ×3, first 2 shown]
	v_cmp_eq_u32_e64 s5, 6, v82
	v_cndmask_b32_e64 v7, v10, v15, s4
	v_cndmask_b32_e64 v9, v13, v11, s3
	;; [unrolled: 1-line block ×3, first 2 shown]
	v_cndmask_b32_e32 v2, v2, v15, vcc_lo
	v_cmp_eq_u32_e32 vcc_lo, 6, v84
	v_cmp_eq_u32_e64 s3, 6, v83
	v_lshrrev_b32_e32 v12, 16, v4
	v_cndmask_b32_e64 v3, v3, v4, s6
	v_cndmask_b32_e64 v5, v5, v8, s6
	;; [unrolled: 1-line block ×4, first 2 shown]
	v_cndmask_b32_e32 v9, v9, v4, vcc_lo
	v_cmp_eq_u32_e64 s4, 7, v84
	v_cndmask_b32_e32 v10, v10, v8, vcc_lo
	v_cndmask_b32_e64 v1, v1, v4, s3
	v_cmp_eq_u32_e32 vcc_lo, 7, v83
	v_cndmask_b32_e64 v2, v2, v8, s3
	v_cmp_eq_u32_e64 s3, 7, v80
	v_cmp_eq_u32_e64 s5, 7, v82
	v_cndmask_b32_e32 v1, v1, v12, vcc_lo
	s_delay_alu instid0(VALU_DEP_4) | instskip(NEXT) | instid1(VALU_DEP_4)
	v_cndmask_b32_e32 v2, v2, v16, vcc_lo
	v_cndmask_b32_e64 v8, v3, v12, s3
	s_delay_alu instid0(VALU_DEP_4)
	v_cndmask_b32_e64 v6, v6, v12, s5
	v_cndmask_b32_e64 v3, v9, v12, s4
	;; [unrolled: 1-line block ×5, first 2 shown]
	v_perm_b32 v4, v2, v1, 0x5040100
	s_mov_b32 s3, exec_lo
	v_perm_b32 v3, v9, v3, 0x5040100
	v_perm_b32 v2, v7, v6, 0x5040100
	;; [unrolled: 1-line block ×3, first 2 shown]
	ds_store_b128 v78, v[1:4]
	s_waitcnt lgkmcnt(0)
	s_barrier
	buffer_gl0_inv
	v_cmpx_gt_u32_e32 32, v0
	s_cbranch_execz .LBB352_2
; %bb.17:
	s_load_b64 s[4:5], s[0:1], 0x68
	v_lshlrev_b32_e32 v0, 10, v0
	v_add_nc_u32_e32 v2, s31, v75
	v_lshlrev_b32_e32 v3, 4, v76
	s_lshl_b32 s0, s35, 7
	s_delay_alu instid0(SALU_CYCLE_1) | instskip(NEXT) | instid1(VALU_DEP_2)
	s_mul_i32 s1, s0, s34
	v_mul_lo_u32 v1, v2, s0
	s_delay_alu instid0(VALU_DEP_2)
	v_and_or_b32 v0, 0x3800, v0, v3
	v_add_nc_u32_e32 v3, 2, v2
	s_mul_i32 s6, s1, s7
	v_add_nc_u32_e32 v4, 4, v2
	s_ashr_i32 s7, s6, 31
	v_lshl_or_b32 v11, v75, 6, v0
	s_lshl_b64 s[6:7], s[6:7], 1
	v_mul_lo_u32 v15, v3, s0
	v_mul_lo_u32 v17, v4, s0
	v_ashrrev_i32_e32 v2, 31, v1
	ds_load_b128 v[3:6], v11
	ds_load_b128 v[7:10], v11 offset:128
	ds_load_b128 v[11:14], v11 offset:256
	s_waitcnt lgkmcnt(0)
	s_add_u32 s1, s4, s6
	s_addc_u32 s3, s5, s7
	s_lshl_b32 s4, s14, 7
	v_ashrrev_i32_e32 v16, 31, v15
	s_ashr_i32 s5, s4, 31
	v_lshlrev_b64 v[19:20], 1, v[1:2]
	s_lshl_b64 s[4:5], s[4:5], 1
	v_ashrrev_i32_e32 v18, 31, v17
	s_add_u32 s1, s1, s4
	s_addc_u32 s3, s3, s5
	v_add_co_u32 v1, vcc_lo, s1, v73
	v_add_co_ci_u32_e32 v2, vcc_lo, s3, v74, vcc_lo
	v_lshlrev_b64 v[15:16], 1, v[15:16]
	s_delay_alu instid0(VALU_DEP_3) | instskip(SKIP_1) | instid1(VALU_DEP_4)
	v_add_co_u32 v19, vcc_lo, v1, v19
	v_lshlrev_b64 v[17:18], 1, v[17:18]
	v_add_co_ci_u32_e32 v20, vcc_lo, v2, v20, vcc_lo
	s_delay_alu instid0(VALU_DEP_4) | instskip(SKIP_1) | instid1(VALU_DEP_4)
	v_add_co_u32 v15, vcc_lo, v1, v15
	v_add_co_ci_u32_e32 v16, vcc_lo, v2, v16, vcc_lo
	v_add_co_u32 v17, vcc_lo, v1, v17
	v_add_co_ci_u32_e32 v18, vcc_lo, v2, v18, vcc_lo
	s_clause 0x2
	global_store_b128 v[19:20], v[3:6], off
	global_store_b128 v[15:16], v[7:10], off
	;; [unrolled: 1-line block ×3, first 2 shown]
	s_and_b32 exec_lo, exec_lo, s2
	s_cbranch_execz .LBB352_2
; %bb.18:
	ds_load_b128 v[3:6], v0 offset:384
	s_add_i32 s1, s31, 6
	s_delay_alu instid0(SALU_CYCLE_1) | instskip(NEXT) | instid1(SALU_CYCLE_1)
	s_mul_i32 s0, s1, s0
	s_ashr_i32 s1, s0, 31
	s_delay_alu instid0(SALU_CYCLE_1) | instskip(NEXT) | instid1(SALU_CYCLE_1)
	s_lshl_b64 s[0:1], s[0:1], 1
	v_add_co_u32 v0, vcc_lo, v1, s0
	v_add_co_ci_u32_e32 v1, vcc_lo, s1, v2, vcc_lo
	s_waitcnt lgkmcnt(0)
	global_store_b128 v[0:1], v[3:6], off
	s_nop 0
	s_sendmsg sendmsg(MSG_DEALLOC_VGPRS)
	s_endpgm
	.section	.rodata,"a",@progbits
	.p2align	6, 0x0
	.amdhsa_kernel _Z39paged_attention_ll4mi_QKV_mfma16_kernelIDF16_DF16_LN4vllm18Fp8KVCacheDataTypeE0EDF16_Li32ELi128ELi256ELb1ELi7EL8MFMAType0EEvPKT_PKT0_S8_ifPKiSA_SA_iPKfiiiPfSD_PS3_PT2_iSC_SC_
		.amdhsa_group_segment_fixed_size 17472
		.amdhsa_private_segment_fixed_size 0
		.amdhsa_kernarg_size 400
		.amdhsa_user_sgpr_count 13
		.amdhsa_user_sgpr_dispatch_ptr 0
		.amdhsa_user_sgpr_queue_ptr 0
		.amdhsa_user_sgpr_kernarg_segment_ptr 1
		.amdhsa_user_sgpr_dispatch_id 0
		.amdhsa_user_sgpr_private_segment_size 0
		.amdhsa_wavefront_size32 1
		.amdhsa_uses_dynamic_stack 0
		.amdhsa_enable_private_segment 0
		.amdhsa_system_sgpr_workgroup_id_x 1
		.amdhsa_system_sgpr_workgroup_id_y 1
		.amdhsa_system_sgpr_workgroup_id_z 1
		.amdhsa_system_sgpr_workgroup_info 0
		.amdhsa_system_vgpr_workitem_id 0
		.amdhsa_next_free_vgpr 172
		.amdhsa_next_free_sgpr 39
		.amdhsa_reserve_vcc 1
		.amdhsa_float_round_mode_32 0
		.amdhsa_float_round_mode_16_64 0
		.amdhsa_float_denorm_mode_32 3
		.amdhsa_float_denorm_mode_16_64 3
		.amdhsa_dx10_clamp 1
		.amdhsa_ieee_mode 1
		.amdhsa_fp16_overflow 0
		.amdhsa_workgroup_processor_mode 1
		.amdhsa_memory_ordered 1
		.amdhsa_forward_progress 0
		.amdhsa_shared_vgpr_count 0
		.amdhsa_exception_fp_ieee_invalid_op 0
		.amdhsa_exception_fp_denorm_src 0
		.amdhsa_exception_fp_ieee_div_zero 0
		.amdhsa_exception_fp_ieee_overflow 0
		.amdhsa_exception_fp_ieee_underflow 0
		.amdhsa_exception_fp_ieee_inexact 0
		.amdhsa_exception_int_div_zero 0
	.end_amdhsa_kernel
	.section	.text._Z39paged_attention_ll4mi_QKV_mfma16_kernelIDF16_DF16_LN4vllm18Fp8KVCacheDataTypeE0EDF16_Li32ELi128ELi256ELb1ELi7EL8MFMAType0EEvPKT_PKT0_S8_ifPKiSA_SA_iPKfiiiPfSD_PS3_PT2_iSC_SC_,"axG",@progbits,_Z39paged_attention_ll4mi_QKV_mfma16_kernelIDF16_DF16_LN4vllm18Fp8KVCacheDataTypeE0EDF16_Li32ELi128ELi256ELb1ELi7EL8MFMAType0EEvPKT_PKT0_S8_ifPKiSA_SA_iPKfiiiPfSD_PS3_PT2_iSC_SC_,comdat
.Lfunc_end352:
	.size	_Z39paged_attention_ll4mi_QKV_mfma16_kernelIDF16_DF16_LN4vllm18Fp8KVCacheDataTypeE0EDF16_Li32ELi128ELi256ELb1ELi7EL8MFMAType0EEvPKT_PKT0_S8_ifPKiSA_SA_iPKfiiiPfSD_PS3_PT2_iSC_SC_, .Lfunc_end352-_Z39paged_attention_ll4mi_QKV_mfma16_kernelIDF16_DF16_LN4vllm18Fp8KVCacheDataTypeE0EDF16_Li32ELi128ELi256ELb1ELi7EL8MFMAType0EEvPKT_PKT0_S8_ifPKiSA_SA_iPKfiiiPfSD_PS3_PT2_iSC_SC_
                                        ; -- End function
	.section	.AMDGPU.csdata,"",@progbits
; Kernel info:
; codeLenInByte = 7564
; NumSgprs: 41
; NumVgprs: 172
; ScratchSize: 0
; MemoryBound: 0
; FloatMode: 240
; IeeeMode: 1
; LDSByteSize: 17472 bytes/workgroup (compile time only)
; SGPRBlocks: 5
; VGPRBlocks: 21
; NumSGPRsForWavesPerEU: 41
; NumVGPRsForWavesPerEU: 172
; Occupancy: 8
; WaveLimiterHint : 1
; COMPUTE_PGM_RSRC2:SCRATCH_EN: 0
; COMPUTE_PGM_RSRC2:USER_SGPR: 13
; COMPUTE_PGM_RSRC2:TRAP_HANDLER: 0
; COMPUTE_PGM_RSRC2:TGID_X_EN: 1
; COMPUTE_PGM_RSRC2:TGID_Y_EN: 1
; COMPUTE_PGM_RSRC2:TGID_Z_EN: 1
; COMPUTE_PGM_RSRC2:TIDIG_COMP_CNT: 0
	.section	.text._Z39paged_attention_ll4mi_QKV_mfma16_kernelIDF16_DF16_LN4vllm18Fp8KVCacheDataTypeE0EDF16_Li32ELi128ELi256ELb1ELi8EL8MFMAType0EEvPKT_PKT0_S8_ifPKiSA_SA_iPKfiiiPfSD_PS3_PT2_iSC_SC_,"axG",@progbits,_Z39paged_attention_ll4mi_QKV_mfma16_kernelIDF16_DF16_LN4vllm18Fp8KVCacheDataTypeE0EDF16_Li32ELi128ELi256ELb1ELi8EL8MFMAType0EEvPKT_PKT0_S8_ifPKiSA_SA_iPKfiiiPfSD_PS3_PT2_iSC_SC_,comdat
	.protected	_Z39paged_attention_ll4mi_QKV_mfma16_kernelIDF16_DF16_LN4vllm18Fp8KVCacheDataTypeE0EDF16_Li32ELi128ELi256ELb1ELi8EL8MFMAType0EEvPKT_PKT0_S8_ifPKiSA_SA_iPKfiiiPfSD_PS3_PT2_iSC_SC_ ; -- Begin function _Z39paged_attention_ll4mi_QKV_mfma16_kernelIDF16_DF16_LN4vllm18Fp8KVCacheDataTypeE0EDF16_Li32ELi128ELi256ELb1ELi8EL8MFMAType0EEvPKT_PKT0_S8_ifPKiSA_SA_iPKfiiiPfSD_PS3_PT2_iSC_SC_
	.globl	_Z39paged_attention_ll4mi_QKV_mfma16_kernelIDF16_DF16_LN4vllm18Fp8KVCacheDataTypeE0EDF16_Li32ELi128ELi256ELb1ELi8EL8MFMAType0EEvPKT_PKT0_S8_ifPKiSA_SA_iPKfiiiPfSD_PS3_PT2_iSC_SC_
	.p2align	8
	.type	_Z39paged_attention_ll4mi_QKV_mfma16_kernelIDF16_DF16_LN4vllm18Fp8KVCacheDataTypeE0EDF16_Li32ELi128ELi256ELb1ELi8EL8MFMAType0EEvPKT_PKT0_S8_ifPKiSA_SA_iPKfiiiPfSD_PS3_PT2_iSC_SC_,@function
_Z39paged_attention_ll4mi_QKV_mfma16_kernelIDF16_DF16_LN4vllm18Fp8KVCacheDataTypeE0EDF16_Li32ELi128ELi256ELb1ELi8EL8MFMAType0EEvPKT_PKT0_S8_ifPKiSA_SA_iPKfiiiPfSD_PS3_PT2_iSC_SC_: ; @_Z39paged_attention_ll4mi_QKV_mfma16_kernelIDF16_DF16_LN4vllm18Fp8KVCacheDataTypeE0EDF16_Li32ELi128ELi256ELb1ELi8EL8MFMAType0EEvPKT_PKT0_S8_ifPKiSA_SA_iPKfiiiPfSD_PS3_PT2_iSC_SC_
; %bb.0:
	s_load_b64 s[2:3], s[0:1], 0x30
	s_mov_b32 s30, s13
	s_waitcnt lgkmcnt(0)
	s_cmp_lg_u64 s[2:3], 0
	s_cselect_b32 s6, -1, 0
	s_ashr_i32 s31, s13, 31
	s_cmp_eq_u64 s[2:3], 0
	s_cbranch_scc1 .LBB353_3
; %bb.1:
	s_lshl_b64 s[4:5], s[30:31], 2
	s_delay_alu instid0(SALU_CYCLE_1) | instskip(SKIP_4) | instid1(SALU_CYCLE_1)
	s_add_u32 s4, s2, s4
	s_addc_u32 s5, s3, s5
	s_load_b64 s[4:5], s[4:5], 0x0
	s_waitcnt lgkmcnt(0)
	s_sub_i32 s4, s5, s4
	s_cmp_eq_u32 s4, 1
	s_cselect_b32 s4, -1, 0
	s_delay_alu instid0(SALU_CYCLE_1)
	s_and_not1_b32 vcc_lo, exec_lo, s4
	s_cbranch_vccz .LBB353_4
.LBB353_2:
	s_endpgm
.LBB353_3:
.LBB353_4:
	s_load_b64 s[8:9], s[0:1], 0x28
	s_lshl_b64 s[4:5], s[30:31], 2
	s_waitcnt lgkmcnt(0)
	s_add_u32 s8, s8, s4
	s_addc_u32 s9, s9, s5
	s_lshl_b32 s12, s14, 8
	s_load_b32 s17, s[8:9], 0x0
	s_waitcnt lgkmcnt(0)
	s_cmp_ge_i32 s12, s17
	s_cbranch_scc1 .LBB353_2
; %bb.5:
	s_and_not1_b32 vcc_lo, exec_lo, s6
	s_cbranch_vccnz .LBB353_7
; %bb.6:
	s_add_u32 s2, s2, s4
	s_addc_u32 s3, s3, s5
	s_load_b32 s13, s[2:3], 0x0
	s_branch .LBB353_8
.LBB353_7:
	s_mov_b32 s13, s30
.LBB353_8:
	s_clause 0x2
	s_load_b128 s[8:11], s[0:1], 0x8
	s_load_b64 s[2:3], s[0:1], 0x20
	s_load_b128 s[4:7], s[0:1], 0x48
	v_and_b32_e32 v78, 15, v0
	s_waitcnt lgkmcnt(0)
	s_mov_b32 s7, exec_lo
	s_delay_alu instid0(VALU_DEP_1)
	v_lshlrev_b32_e32 v1, 3, v78
	v_cmpx_lt_u32_e32 0x7f, v0
	s_xor_b32 s7, exec_lo, s7
; %bb.9:
	v_mov_b32_e32 v2, 0
; %bb.10:
	s_or_saveexec_b32 s7, s7
	v_lshrrev_b32_e32 v77, 5, v0
	v_and_b32_e32 v80, 31, v0
	v_and_b32_e32 v76, 1, v0
	v_bfe_u32 v75, v0, 4, 1
	s_lshl_b32 s31, s15, 3
	s_xor_b32 exec_lo, exec_lo, s7
	s_cbranch_execz .LBB353_12
; %bb.11:
	s_delay_alu instid0(VALU_DEP_1)
	v_lshl_or_b32 v7, v77, 1, v75
	s_load_b64 s[18:19], s[0:1], 0x0
	s_mul_hi_i32 s21, s13, s4
	s_mul_i32 s20, s13, s4
	v_lshlrev_b32_e32 v4, 1, v1
	v_or_b32_e32 v2, s31, v7
	s_lshl_b64 s[20:21], s[20:21], 1
	v_lshlrev_b32_e32 v7, 6, v7
	v_lshlrev_b32_e32 v8, 10, v76
	s_delay_alu instid0(VALU_DEP_3) | instskip(NEXT) | instid1(VALU_DEP_1)
	v_lshlrev_b32_e32 v2, 7, v2
	v_ashrrev_i32_e32 v3, 31, v2
	s_delay_alu instid0(VALU_DEP_1) | instskip(SKIP_3) | instid1(VALU_DEP_1)
	v_lshlrev_b64 v[2:3], 1, v[2:3]
	s_waitcnt lgkmcnt(0)
	s_add_u32 s4, s18, s20
	s_addc_u32 s13, s19, s21
	v_add_co_u32 v2, vcc_lo, s4, v2
	s_delay_alu instid0(VALU_DEP_2) | instskip(NEXT) | instid1(VALU_DEP_2)
	v_add_co_ci_u32_e32 v3, vcc_lo, s13, v3, vcc_lo
	v_add_co_u32 v2, vcc_lo, v2, v4
	s_delay_alu instid0(VALU_DEP_2) | instskip(SKIP_2) | instid1(VALU_DEP_1)
	v_add_co_ci_u32_e32 v3, vcc_lo, 0, v3, vcc_lo
	global_load_b128 v[3:6], v[2:3], off
	v_lshlrev_b32_e32 v2, 10, v78
	v_and_b32_e32 v2, 0x3800, v2
	s_delay_alu instid0(VALU_DEP_1)
	v_or3_b32 v7, v2, v8, v7
	v_mov_b32_e32 v2, 0
	s_waitcnt vmcnt(0)
	ds_store_b128 v7, v[3:6]
.LBB353_12:
	s_or_b32 exec_lo, exec_lo, s7
	v_and_b32_e32 v3, 0xef, v0
	s_add_i32 s4, s17, 31
	s_clause 0x1
	s_load_b32 s7, s[0:1], 0x38
	s_load_b32 s33, s[0:1], 0x98
	s_ashr_i32 s13, s4, 31
	v_add_nc_u32_e32 v3, s12, v3
	s_lshr_b32 s13, s13, 27
	s_load_b32 s18, s[0:1], 0x1c
	s_add_i32 s4, s4, s13
	s_waitcnt lgkmcnt(0)
	v_ashrrev_i32_e32 v4, 31, v3
	v_cmp_gt_i32_e32 vcc_lo, s17, v3
	s_ashr_i32 s4, s4, 5
	s_barrier
	s_add_i32 s4, s4, -1
	v_lshrrev_b32_e32 v5, 27, v4
	v_or_b32_e32 v4, 16, v3
	buffer_gl0_inv
	v_lshlrev_b64 v[73:74], 1, v[1:2]
	v_lshlrev_b32_e32 v79, 6, v78
	v_add_nc_u32_e32 v6, v3, v5
	v_add_nc_u32_e32 v5, v4, v5
	s_mul_i32 s20, s30, s7
	s_delay_alu instid0(SALU_CYCLE_1) | instskip(NEXT) | instid1(VALU_DEP_2)
	s_ashr_i32 s21, s20, 31
	v_ashrrev_i32_e32 v6, 5, v6
	s_delay_alu instid0(VALU_DEP_2) | instskip(SKIP_1) | instid1(SALU_CYCLE_1)
	v_ashrrev_i32_e32 v5, 5, v5
	s_lshl_b64 s[20:21], s[20:21], 2
	s_add_u32 s13, s2, s20
	s_delay_alu instid0(VALU_DEP_2) | instskip(SKIP_3) | instid1(SALU_CYCLE_1)
	v_cndmask_b32_e32 v3, s4, v6, vcc_lo
	v_cmp_gt_i32_e32 vcc_lo, s17, v4
	s_addc_u32 s16, s3, s21
	s_mul_i32 s2, s15, s6
	s_ashr_i32 s3, s2, 31
	v_cndmask_b32_e32 v5, s4, v5, vcc_lo
	v_ashrrev_i32_e32 v4, 31, v3
	s_lshl_b64 s[2:3], s[2:3], 1
	s_delay_alu instid0(SALU_CYCLE_1) | instskip(NEXT) | instid1(VALU_DEP_2)
	s_add_u32 s15, s8, s2
	v_ashrrev_i32_e32 v6, 31, v5
	s_delay_alu instid0(VALU_DEP_2) | instskip(SKIP_2) | instid1(VALU_DEP_2)
	v_lshlrev_b64 v[3:4], 2, v[3:4]
	s_addc_u32 s19, s9, s3
	s_lshl_b32 s6, s14, 3
	v_lshlrev_b64 v[5:6], 2, v[5:6]
	s_ashr_i32 s7, s6, 31
	s_delay_alu instid0(VALU_DEP_2) | instskip(SKIP_1) | instid1(VALU_DEP_3)
	v_add_co_u32 v3, vcc_lo, s13, v3
	v_add_co_ci_u32_e32 v4, vcc_lo, s16, v4, vcc_lo
	v_add_co_u32 v5, vcc_lo, s13, v5
	s_delay_alu instid0(VALU_DEP_4)
	v_add_co_ci_u32_e32 v6, vcc_lo, s16, v6, vcc_lo
	s_lshl_b64 s[6:7], s[6:7], 2
	s_clause 0x1
	global_load_b32 v7, v[3:4], off
	global_load_b32 v8, v[5:6], off
	s_add_u32 s6, s13, s6
	s_addc_u32 s7, s16, s7
	s_or_b32 s8, s12, 32
	s_delay_alu instid0(SALU_CYCLE_1) | instskip(SKIP_2) | instid1(SALU_CYCLE_1)
	s_ashr_i32 s9, s8, 5
	s_cmp_lt_i32 s8, s17
	s_cselect_b32 s8, s9, s4
	s_ashr_i32 s9, s8, 31
	s_delay_alu instid0(SALU_CYCLE_1) | instskip(NEXT) | instid1(SALU_CYCLE_1)
	s_lshl_b64 s[8:9], s[8:9], 2
	s_add_u32 s8, s13, s8
	s_addc_u32 s9, s16, s9
	s_or_b32 s20, s12, 64
	s_delay_alu instid0(SALU_CYCLE_1) | instskip(SKIP_2) | instid1(SALU_CYCLE_1)
	s_ashr_i32 s21, s20, 5
	s_cmp_lt_i32 s20, s17
	s_cselect_b32 s20, s21, s4
	s_ashr_i32 s21, s20, 31
	s_delay_alu instid0(SALU_CYCLE_1) | instskip(NEXT) | instid1(SALU_CYCLE_1)
	s_lshl_b64 s[20:21], s[20:21], 2
	;; [unrolled: 10-line block ×5, first 2 shown]
	s_add_u32 s26, s13, s26
	s_addc_u32 s27, s16, s27
	s_clause 0x5
	s_load_b32 s28, s[6:7], 0x0
	s_load_b32 s29, s[8:9], 0x0
	;; [unrolled: 1-line block ×6, first 2 shown]
	s_mov_b32 s20, 0
	s_or_b32 s6, s12, 0xc0
	s_mov_b32 s21, s20
	s_mov_b32 s22, s20
	;; [unrolled: 1-line block ×7, first 2 shown]
	s_ashr_i32 s7, s6, 5
	v_mov_b32_e32 v128, s27
	s_cmp_lt_i32 s6, s17
	v_mov_b32_e32 v127, s26
	s_cselect_b32 s6, s7, s4
	v_mov_b32_e32 v126, s25
	s_ashr_i32 s7, s6, 31
	v_mov_b32_e32 v125, s24
	s_lshl_b64 s[6:7], s[6:7], 2
	v_mov_b32_e32 v124, s23
	s_add_u32 s6, s13, s6
	s_addc_u32 s7, s16, s7
	v_mov_b32_e32 v123, s22
	v_mov_b32_e32 v121, s20
	s_waitcnt lgkmcnt(0)
	s_mul_hi_i32 s9, s28, s5
	s_mul_i32 s8, s28, s5
	v_mov_b32_e32 v122, s21
	s_mul_hi_i32 s21, s29, s5
	s_mul_i32 s20, s29, s5
	s_mul_hi_i32 s25, s34, s5
	s_mul_i32 s24, s34, s5
	;; [unrolled: 2-line block ×4, first 2 shown]
	s_waitcnt vmcnt(1)
	v_mad_i64_i32 v[3:4], null, v7, s5, 0
	s_waitcnt vmcnt(0)
	v_mad_i64_i32 v[5:6], null, v8, s5, 0
	s_delay_alu instid0(VALU_DEP_2) | instskip(NEXT) | instid1(VALU_DEP_2)
	v_lshlrev_b64 v[3:4], 1, v[3:4]
	v_lshlrev_b64 v[1:2], 1, v[5:6]
	s_delay_alu instid0(VALU_DEP_2) | instskip(NEXT) | instid1(VALU_DEP_3)
	v_add_co_u32 v3, vcc_lo, s15, v3
	v_add_co_ci_u32_e32 v4, vcc_lo, s19, v4, vcc_lo
	s_delay_alu instid0(VALU_DEP_3) | instskip(NEXT) | instid1(VALU_DEP_4)
	v_add_co_u32 v1, vcc_lo, s15, v1
	v_add_co_ci_u32_e32 v2, vcc_lo, s19, v2, vcc_lo
	s_delay_alu instid0(VALU_DEP_4) | instskip(NEXT) | instid1(VALU_DEP_4)
	v_add_co_u32 v65, vcc_lo, v3, v73
	v_add_co_ci_u32_e32 v66, vcc_lo, v4, v74, vcc_lo
	s_delay_alu instid0(VALU_DEP_4) | instskip(NEXT) | instid1(VALU_DEP_4)
	v_add_co_u32 v67, vcc_lo, v1, v73
	v_add_co_ci_u32_e32 v68, vcc_lo, v2, v74, vcc_lo
	s_clause 0xf
	global_load_b128 v[1:4], v[65:66], off
	global_load_b128 v[5:8], v[65:66], off offset:512
	global_load_b128 v[9:12], v[67:68], off offset:256
	;; [unrolled: 1-line block ×15, first 2 shown]
	v_add_co_u32 v157, vcc_lo, 0x1000, v65
	v_add_co_ci_u32_e32 v158, vcc_lo, 0, v66, vcc_lo
	v_add_co_u32 v165, vcc_lo, 0x1000, v67
	v_add_co_ci_u32_e32 v166, vcc_lo, 0, v68, vcc_lo
	s_clause 0x7
	global_load_b128 v[81:84], v[157:158], off
	global_load_b128 v[85:88], v[157:158], off offset:512
	global_load_b128 v[89:92], v[165:166], off offset:256
	;; [unrolled: 1-line block ×7, first 2 shown]
	v_and_b32_e32 v65, 7, v0
	s_or_b32 s15, s12, 0xe0
	s_delay_alu instid0(SALU_CYCLE_1) | instskip(SKIP_1) | instid1(VALU_DEP_1)
	s_ashr_i32 s19, s15, 5
	s_cmp_lt_i32 s15, s17
	v_lshlrev_b32_e32 v169, 6, v65
	ds_load_b128 v[65:68], v169
	ds_load_b128 v[69:72], v169 offset:1024
	s_clause 0x1
	global_load_b128 v[113:116], v[157:158], off offset:2048
	global_load_b128 v[117:120], v[157:158], off offset:2560
	ds_load_b128 v[129:132], v169 offset:2048
	ds_load_b128 v[133:136], v169 offset:3072
	s_clause 0x5
	global_load_b128 v[145:148], v[165:166], off offset:2304
	global_load_b128 v[149:152], v[165:166], off offset:2816
	;; [unrolled: 1-line block ×6, first 2 shown]
	s_cselect_b32 s22, s19, s4
	s_delay_alu instid0(SALU_CYCLE_1) | instskip(NEXT) | instid1(SALU_CYCLE_1)
	s_ashr_i32 s23, s22, 31
	s_lshl_b64 s[22:23], s[22:23], 2
	s_delay_alu instid0(SALU_CYCLE_1) | instskip(SKIP_2) | instid1(SALU_CYCLE_1)
	s_add_u32 s22, s13, s22
	s_addc_u32 s23, s16, s23
	s_add_i32 s15, s12, 0x100
	s_ashr_i32 s19, s15, 5
	s_cmp_lt_i32 s15, s17
	s_cselect_b32 s28, s19, s4
	s_delay_alu instid0(SALU_CYCLE_1) | instskip(NEXT) | instid1(SALU_CYCLE_1)
	s_ashr_i32 s29, s28, 31
	s_lshl_b64 s[28:29], s[28:29], 2
	s_delay_alu instid0(SALU_CYCLE_1)
	s_add_u32 s28, s13, s28
	s_addc_u32 s29, s16, s29
	s_add_u32 s4, s10, s2
	s_addc_u32 s19, s11, s3
	s_lshl_b64 s[2:3], s[8:9], 1
	s_lshl_b64 s[8:9], s[20:21], 1
	;; [unrolled: 1-line block ×4, first 2 shown]
	s_waitcnt vmcnt(30) lgkmcnt(2)
	v_wmma_f32_16x16x16_f16 v[137:144], v[1:8], v[65:72], v[121:128]
	ds_load_b128 v[1:4], v169 offset:4096
	ds_load_b128 v[5:8], v169 offset:5120
	s_waitcnt vmcnt(28)
	v_wmma_f32_16x16x16_f16 v[121:128], v[9:16], v[65:72], v[121:128]
	ds_load_b128 v[9:12], v169 offset:6144
	ds_load_b128 v[13:16], v169 offset:7168
	s_waitcnt vmcnt(26) lgkmcnt(4)
	v_wmma_f32_16x16x16_f16 v[137:144], v[17:24], v[129:136], v[137:144]
	ds_load_b128 v[17:20], v169 offset:8192
	ds_load_b128 v[21:24], v169 offset:9216
	s_waitcnt vmcnt(24)
	v_wmma_f32_16x16x16_f16 v[121:128], v[25:32], v[129:136], v[121:128]
	v_lshl_or_b32 v25, v77, 10, v79
	ds_load_b128 v[129:132], v169 offset:10240
	ds_load_b128 v[133:136], v169 offset:11264
	s_clause 0x2
	s_load_b32 s15, s[6:7], 0x0
	s_load_b32 s13, s[22:23], 0x0
	s_load_b32 s16, s[28:29], 0x0
	s_mul_hi_i32 s7, s36, s5
	v_add_co_u32 v170, s4, s4, v25
	s_delay_alu instid0(VALU_DEP_1)
	v_add_co_ci_u32_e64 v171, null, s19, 0, s4
	s_mul_i32 s6, s36, s5
	s_lshl_b64 s[22:23], s[34:35], 1
	s_lshl_b64 s[6:7], s[6:7], 1
	s_waitcnt vmcnt(22) lgkmcnt(0)
	v_wmma_f32_16x16x16_f16 v[137:144], v[33:40], v[1:8], v[137:144]
	s_waitcnt vmcnt(20)
	v_wmma_f32_16x16x16_f16 v[121:128], v[41:48], v[1:8], v[121:128]
	v_add_co_u32 v1, vcc_lo, v170, s2
	v_add_co_ci_u32_e32 v2, vcc_lo, s3, v171, vcc_lo
	v_add_co_u32 v3, vcc_lo, v170, s8
	v_add_co_ci_u32_e32 v4, vcc_lo, s9, v171, vcc_lo
	v_add_co_u32 v5, vcc_lo, v170, s10
	v_add_co_ci_u32_e32 v6, vcc_lo, s11, v171, vcc_lo
	v_add_co_u32 v7, vcc_lo, v170, s20
	v_add_co_ci_u32_e32 v8, vcc_lo, s21, v171, vcc_lo
	v_add_co_u32 v25, vcc_lo, v170, s6
	s_mul_hi_i32 s25, s15, s5
	s_mul_i32 s24, s15, s5
	v_add_co_ci_u32_e32 v26, vcc_lo, s7, v171, vcc_lo
	v_add_co_u32 v27, vcc_lo, v170, s22
	s_lshl_b64 s[24:25], s[24:25], 1
	s_waitcnt vmcnt(18)
	v_wmma_f32_16x16x16_f16 v[137:144], v[49:56], v[9:16], v[137:144]
	s_waitcnt vmcnt(16)
	v_wmma_f32_16x16x16_f16 v[121:128], v[57:64], v[9:16], v[121:128]
	v_add_co_ci_u32_e32 v28, vcc_lo, s23, v171, vcc_lo
	s_mul_hi_i32 s3, s13, s5
	s_mul_i32 s2, s13, s5
	v_add_co_u32 v29, vcc_lo, v170, s24
	s_lshl_b64 s[2:3], s[2:3], 1
	v_add_co_ci_u32_e32 v30, vcc_lo, s25, v171, vcc_lo
	s_waitcnt vmcnt(14)
	v_wmma_f32_16x16x16_f16 v[137:144], v[81:88], v[17:24], v[137:144]
	s_waitcnt vmcnt(12)
	v_wmma_f32_16x16x16_f16 v[121:128], v[89:96], v[17:24], v[121:128]
	v_add_co_u32 v17, vcc_lo, v170, s2
	v_add_co_ci_u32_e32 v18, vcc_lo, s3, v171, vcc_lo
	s_mul_hi_i32 s3, s16, s5
	s_mul_i32 s2, s16, s5
	s_clause 0x5
	global_load_b128 v[65:68], v[1:2], off
	global_load_b128 v[69:72], v[1:2], off offset:16
	global_load_b128 v[57:60], v[3:4], off
	global_load_b128 v[61:64], v[3:4], off offset:16
	;; [unrolled: 2-line block ×3, first 2 shown]
	s_lshl_b64 s[2:3], s[2:3], 1
	s_clause 0x1
	global_load_b128 v[41:44], v[7:8], off
	global_load_b128 v[45:48], v[7:8], off offset:16
	v_add_co_u32 v21, vcc_lo, v170, s2
	v_add_co_ci_u32_e32 v22, vcc_lo, s3, v171, vcc_lo
	s_clause 0x9
	global_load_b128 v[9:12], v[25:26], off
	global_load_b128 v[13:16], v[25:26], off offset:16
	global_load_b128 v[1:4], v[27:28], off
	global_load_b128 v[5:8], v[27:28], off offset:16
	;; [unrolled: 2-line block ×5, first 2 shown]
	ds_load_b128 v[81:84], v169 offset:12288
	ds_load_b128 v[85:88], v169 offset:13312
	v_and_b32_e32 v89, 0xe0, v0
	s_waitcnt vmcnt(28)
	v_wmma_f32_16x16x16_f16 v[137:144], v[97:104], v[129:136], v[137:144]
	v_mbcnt_lo_u32_b32 v97, -1, 0
	s_waitcnt vmcnt(26)
	v_wmma_f32_16x16x16_f16 v[121:128], v[105:112], v[129:136], v[121:128]
	v_add_nc_u32_e32 v98, s12, v89
	ds_load_b128 v[89:92], v169 offset:14336
	ds_load_b128 v[93:96], v169 offset:15360
	v_xor_b32_e32 v99, 16, v97
	s_waitcnt vmcnt(0) lgkmcnt(0)
	s_barrier
	v_or_b32_e32 v98, v98, v75
	buffer_gl0_inv
	v_cmp_gt_i32_e32 vcc_lo, 32, v99
	v_or_b32_e32 v100, 4, v98
	v_or_b32_e32 v101, 22, v98
	;; [unrolled: 1-line block ×4, first 2 shown]
	v_wmma_f32_16x16x16_f16 v[137:144], v[113:120], v[81:88], v[137:144]
	v_wmma_f32_16x16x16_f16 v[121:128], v[145:152], v[81:88], v[121:128]
	v_or_b32_e32 v81, 6, v98
	v_or_b32_e32 v82, 8, v98
	;; [unrolled: 1-line block ×3, first 2 shown]
	v_cmp_gt_i32_e64 s3, s17, v100
	v_or_b32_e32 v84, 12, v98
	v_wmma_f32_16x16x16_f16 v[137:144], v[153:160], v[89:96], v[137:144]
	v_wmma_f32_16x16x16_f16 v[121:128], v[161:168], v[89:96], v[121:128]
	v_cndmask_b32_e32 v97, v97, v99, vcc_lo
	v_or_b32_e32 v99, 2, v98
	v_cmp_gt_i32_e32 vcc_lo, s17, v98
	v_dual_mul_f32 v95, s18, v138 :: v_dual_mul_f32 v96, s18, v137
	v_mul_f32_e32 v93, s18, v140
	s_delay_alu instid0(VALU_DEP_4)
	v_cmp_gt_i32_e64 s2, s17, v99
	v_mul_f32_e32 v94, s18, v139
	v_mul_f32_e32 v106, s18, v128
	v_cndmask_b32_e32 v96, 0xff7fffff, v96, vcc_lo
	v_cmp_gt_i32_e64 s4, s17, v81
	v_cndmask_b32_e64 v95, 0xff7fffff, v95, s2
	v_or_b32_e32 v85, 14, v98
	v_dual_mul_f32 v91, s18, v142 :: v_dual_mul_f32 v110, s18, v124
	v_mul_f32_e32 v92, s18, v141
	v_cndmask_b32_e64 v94, 0xff7fffff, v94, s3
	v_cndmask_b32_e64 v81, 0xff7fffff, v93, s4
	v_max3_f32 v93, v96, 0xff7fffff, v95
	v_cmp_gt_i32_e64 s5, s17, v82
	v_cmp_gt_i32_e64 s6, s17, v83
	v_or_b32_e32 v86, 16, v98
	v_or_b32_e32 v87, 18, v98
	v_dual_mul_f32 v89, s18, v144 :: v_dual_mul_f32 v112, s18, v122
	v_mul_f32_e32 v90, s18, v143
	v_cndmask_b32_e64 v82, 0xff7fffff, v92, s5
	v_cndmask_b32_e64 v83, 0xff7fffff, v91, s6
	v_max3_f32 v81, v93, v94, v81
	v_cmp_gt_i32_e64 s7, s17, v84
	v_cmp_gt_i32_e64 s8, s17, v85
	v_or_b32_e32 v88, 20, v98
	v_mul_f32_e32 v113, s18, v121
	v_max3_f32 v81, v81, v82, v83
	v_cndmask_b32_e64 v84, 0xff7fffff, v90, s7
	v_cndmask_b32_e64 v85, 0xff7fffff, v89, s8
	v_cmp_gt_i32_e64 s9, s17, v86
	v_cmp_gt_i32_e64 s10, s17, v87
	v_mul_f32_e32 v111, s18, v123
	v_cmp_gt_i32_e64 s11, s17, v88
	v_max3_f32 v81, v81, v84, v85
	v_cndmask_b32_e64 v82, 0xff7fffff, v113, s9
	v_cndmask_b32_e64 v83, 0xff7fffff, v112, s10
	v_cmp_gt_i32_e64 s12, s17, v101
	v_or_b32_e32 v104, 28, v98
	v_or_b32_e32 v105, 30, v98
	v_dual_mul_f32 v108, s18, v126 :: v_dual_mul_f32 v109, s18, v125
	v_cndmask_b32_e64 v84, 0xff7fffff, v111, s11
	v_cndmask_b32_e64 v85, 0xff7fffff, v110, s12
	v_max3_f32 v81, v81, v82, v83
	v_cmp_gt_i32_e64 s13, s17, v102
	v_cmp_gt_i32_e64 s15, s17, v103
	v_mul_f32_e32 v107, s18, v127
	v_cmp_gt_i32_e64 s16, s17, v104
	v_max3_f32 v81, v81, v84, v85
	v_cndmask_b32_e64 v82, 0xff7fffff, v109, s13
	v_cndmask_b32_e64 v83, 0xff7fffff, v108, s15
	v_cmp_gt_i32_e64 s17, s17, v105
	v_cndmask_b32_e64 v84, 0xff7fffff, v107, s16
	s_delay_alu instid0(VALU_DEP_3) | instskip(NEXT) | instid1(VALU_DEP_3)
	v_max3_f32 v81, v81, v82, v83
	v_cndmask_b32_e64 v85, 0xff7fffff, v106, s17
	v_lshlrev_b32_e32 v83, 2, v97
	s_delay_alu instid0(VALU_DEP_2) | instskip(SKIP_3) | instid1(VALU_DEP_1)
	v_max3_f32 v81, v81, v84, v85
	ds_bpermute_b32 v82, v83, v81
	s_waitcnt lgkmcnt(0)
	v_max_f32_e32 v82, v82, v82
	v_max_f32_e32 v81, v81, v82
	s_delay_alu instid0(VALU_DEP_1) | instskip(SKIP_3) | instid1(VALU_DEP_4)
	v_fma_f32 v82, s18, v137, -v81
	v_fma_f32 v84, s18, v138, -v81
	v_fma_f32 v85, s18, v139, -v81
	v_fma_f32 v86, s18, v140, -v81
	v_mul_f32_e32 v82, 0x3fb8aa3b, v82
	s_delay_alu instid0(VALU_DEP_3) | instskip(NEXT) | instid1(VALU_DEP_3)
	v_dual_mul_f32 v84, 0x3fb8aa3b, v84 :: v_dual_mul_f32 v85, 0x3fb8aa3b, v85
	v_mul_f32_e32 v86, 0x3fb8aa3b, v86
	s_delay_alu instid0(VALU_DEP_3) | instskip(NEXT) | instid1(VALU_DEP_2)
	v_exp_f32_e32 v82, v82
	v_exp_f32_e32 v84, v84
	s_delay_alu instid0(VALU_DEP_2) | instskip(NEXT) | instid1(VALU_DEP_1)
	v_exp_f32_e32 v85, v85
	v_exp_f32_e32 v90, v86
	v_cndmask_b32_e32 v87, 0, v82, vcc_lo
	s_delay_alu instid0(TRANS32_DEP_3) | instskip(SKIP_4) | instid1(VALU_DEP_1)
	v_cndmask_b32_e64 v86, 0, v84, s2
	s_waitcnt_depctr 0xfff
	v_cndmask_b32_e64 v89, 0, v85, s3
	s_mov_b32 s2, exec_lo
	v_add_f32_e32 v84, 0, v87
	v_add_f32_e32 v84, v84, v86
	s_delay_alu instid0(VALU_DEP_1)
	v_add_f32_e32 v84, v84, v89
	v_fma_f32 v88, s18, v141, -v81
	v_fma_f32 v91, s18, v143, -v81
	;; [unrolled: 1-line block ×5, first 2 shown]
	v_mul_f32_e32 v88, 0x3fb8aa3b, v88
	v_fma_f32 v100, s18, v128, -v81
	v_mul_f32_e32 v82, 0x3fb8aa3b, v82
	v_fma_f32 v98, s18, v126, -v81
	v_mul_f32_e32 v97, 0x3fb8aa3b, v95
	v_exp_f32_e32 v92, v88
	v_cndmask_b32_e64 v88, 0, v90, s4
	v_fma_f32 v90, s18, v121, -v81
	v_mul_f32_e32 v91, 0x3fb8aa3b, v91
	v_exp_f32_e32 v82, v82
	v_exp_f32_e32 v99, v97
	v_add_f32_e32 v84, v84, v88
	v_mul_f32_e32 v94, 0x3fb8aa3b, v90
	v_exp_f32_e32 v93, v91
	v_mul_f32_e32 v98, 0x3fb8aa3b, v98
	v_cndmask_b32_e64 v91, 0, v92, s5
	v_fma_f32 v92, s18, v122, -v81
	v_mul_f32_e32 v85, 0x3fb8aa3b, v85
	v_exp_f32_e32 v94, v94
	v_cndmask_b32_e64 v90, 0, v82, s6
	v_add_f32_e32 v82, v84, v91
	v_mul_f32_e32 v92, 0x3fb8aa3b, v92
	v_exp_f32_e32 v85, v85
	v_fma_f32 v84, s18, v123, -v81
	v_cndmask_b32_e64 v93, 0, v93, s7
	v_add_f32_e32 v82, v82, v90
	v_exp_f32_e32 v96, v92
	v_exp_f32_e32 v98, v98
	v_cndmask_b32_e64 v95, 0, v94, s9
	s_delay_alu instid0(VALU_DEP_2) | instskip(NEXT) | instid1(TRANS32_DEP_3)
	v_add_f32_e32 v82, v82, v93
	v_cndmask_b32_e64 v92, 0, v85, s8
	v_fma_f32 v85, s18, v125, -v81
	v_mul_f32_e32 v84, 0x3fb8aa3b, v84
	s_delay_alu instid0(TRANS32_DEP_2) | instskip(SKIP_1) | instid1(VALU_DEP_4)
	v_cndmask_b32_e64 v94, 0, v96, s10
	v_fma_f32 v96, s18, v127, -v81
	v_mul_f32_e32 v85, 0x3fb8aa3b, v85
	s_delay_alu instid0(VALU_DEP_4) | instskip(SKIP_1) | instid1(VALU_DEP_2)
	v_exp_f32_e32 v84, v84
	v_cndmask_b32_e64 v98, 0, v98, s15
	v_exp_f32_e32 v85, v85
	s_waitcnt_depctr 0xfff
	v_cndmask_b32_e64 v97, 0, v84, s11
	v_mul_f32_e32 v84, 0x3fb8aa3b, v96
	v_cndmask_b32_e64 v96, 0, v99, s12
	v_cndmask_b32_e64 v99, 0, v85, s13
	v_mul_f32_e32 v85, 0x3fb8aa3b, v100
	v_add_f32_e32 v82, v82, v92
	v_exp_f32_e32 v84, v84
	s_delay_alu instid0(VALU_DEP_2) | instskip(NEXT) | instid1(VALU_DEP_1)
	v_exp_f32_e32 v85, v85
	v_add_f32_e32 v82, v82, v95
	s_delay_alu instid0(VALU_DEP_1) | instskip(SKIP_4) | instid1(VALU_DEP_1)
	v_add_f32_e32 v82, v82, v94
	s_waitcnt_depctr 0xfff
	v_cndmask_b32_e64 v101, 0, v84, s16
	v_cndmask_b32_e64 v100, 0, v85, s17
	v_add_f32_e32 v82, v82, v97
	v_add_f32_e32 v82, v82, v96
	s_delay_alu instid0(VALU_DEP_1) | instskip(NEXT) | instid1(VALU_DEP_1)
	v_add_f32_e32 v82, v82, v99
	v_add_f32_e32 v82, v82, v98
	s_delay_alu instid0(VALU_DEP_1) | instskip(NEXT) | instid1(VALU_DEP_1)
	v_add_f32_e32 v82, v82, v101
	v_add_f32_e32 v82, v82, v100
	ds_bpermute_b32 v83, v83, v82
	v_cmpx_gt_u32_e32 16, v80
	s_cbranch_execz .LBB353_14
; %bb.13:
	v_mul_u32_u24_e32 v80, 0x44, v77
	s_waitcnt lgkmcnt(0)
	v_add_f32_e32 v82, v82, v83
	s_delay_alu instid0(VALU_DEP_2) | instskip(NEXT) | instid1(VALU_DEP_1)
	v_lshl_add_u32 v80, v78, 2, v80
	v_add_nc_u32_e32 v80, 0x4000, v80
	ds_store_2addr_b32 v80, v81, v82 offset1:136
.LBB353_14:
	s_or_b32 exec_lo, exec_lo, s2
	v_lshlrev_b32_e32 v78, 2, v78
	s_load_b32 s34, s[0:1], 0x94
	s_waitcnt lgkmcnt(0)
	s_barrier
	buffer_gl0_inv
	v_add_nc_u32_e32 v78, 0x4000, v78
	v_cmp_eq_u32_e32 vcc_lo, 1, v77
	v_cmp_eq_u32_e64 s2, 2, v77
	v_cmp_eq_u32_e64 s3, 3, v77
	;; [unrolled: 1-line block ×3, first 2 shown]
	ds_load_2addr_b32 v[80:81], v78 offset1:17
	ds_load_2addr_b32 v[82:83], v78 offset0:34 offset1:51
	ds_load_2addr_b32 v[102:103], v78 offset0:68 offset1:85
	ds_load_2addr_b32 v[104:105], v78 offset0:102 offset1:119
	v_cmp_eq_u32_e64 s5, 7, v77
	s_waitcnt lgkmcnt(3)
	v_max3_f32 v84, v80, 0xff7fffff, v81
	s_waitcnt lgkmcnt(2)
	s_delay_alu instid0(VALU_DEP_1) | instskip(SKIP_1) | instid1(VALU_DEP_1)
	v_max3_f32 v84, v84, v82, v83
	s_waitcnt lgkmcnt(1)
	v_max3_f32 v84, v84, v102, v103
	s_waitcnt lgkmcnt(0)
	s_delay_alu instid0(VALU_DEP_1) | instskip(NEXT) | instid1(VALU_DEP_1)
	v_max3_f32 v84, v84, v104, v105
	v_sub_f32_e32 v109, v83, v84
	ds_load_2addr_b32 v[106:107], v78 offset0:136 offset1:153
	v_sub_f32_e32 v85, v81, v84
	v_dual_sub_f32 v80, v80, v84 :: v_dual_mul_f32 v109, 0x3fb8aa3b, v109
	s_delay_alu instid0(VALU_DEP_1)
	v_dual_mul_f32 v85, 0x3fb8aa3b, v85 :: v_dual_mul_f32 v108, 0x3fb8aa3b, v80
	ds_load_2addr_b32 v[80:81], v78 offset0:170 offset1:187
	v_exp_f32_e32 v109, v109
	v_exp_f32_e32 v111, v85
	;; [unrolled: 1-line block ×3, first 2 shown]
	s_waitcnt lgkmcnt(1)
	s_waitcnt_depctr 0xfff
	v_fma_f32 v85, v108, v106, 0
	v_sub_f32_e32 v82, v82, v84
	v_sub_f32_e32 v106, v103, v84
	s_delay_alu instid0(VALU_DEP_2) | instskip(SKIP_3) | instid1(VALU_DEP_1)
	v_dual_fmac_f32 v85, v111, v107 :: v_dual_mul_f32 v110, 0x3fb8aa3b, v82
	ds_load_2addr_b32 v[82:83], v78 offset0:204 offset1:221
	v_sub_f32_e32 v102, v102, v84
	v_exp_f32_e32 v110, v110
	v_mul_f32_e32 v112, 0x3fb8aa3b, v102
	ds_load_2addr_b32 v[102:103], v78 offset0:238 offset1:255
	s_waitcnt lgkmcnt(0)
	s_barrier
	buffer_gl0_inv
	v_fmac_f32_e32 v85, v110, v80
	v_sub_f32_e32 v80, v105, v84
	s_delay_alu instid0(VALU_DEP_1) | instskip(SKIP_1) | instid1(VALU_DEP_2)
	v_dual_fmac_f32 v85, v109, v81 :: v_dual_mul_f32 v80, 0x3fb8aa3b, v80
	v_sub_f32_e32 v78, v104, v84
	v_exp_f32_e32 v107, v80
	v_mul_f32_e32 v104, 0x3fb8aa3b, v106
	v_exp_f32_e32 v106, v112
	v_cndmask_b32_e32 v80, v108, v111, vcc_lo
	s_delay_alu instid0(VALU_DEP_2) | instskip(SKIP_2) | instid1(VALU_DEP_1)
	v_exp_f32_e32 v104, v104
	s_waitcnt_depctr 0xfff
	v_fmac_f32_e32 v85, v106, v82
	v_dual_mul_f32 v78, 0x3fb8aa3b, v78 :: v_dual_fmac_f32 v85, v104, v83
	s_delay_alu instid0(VALU_DEP_1) | instskip(SKIP_2) | instid1(VALU_DEP_1)
	v_exp_f32_e32 v105, v78
	s_waitcnt_depctr 0xfff
	v_fmac_f32_e32 v85, v105, v102
	v_fmac_f32_e32 v85, v107, v103
	s_delay_alu instid0(VALU_DEP_1) | instskip(NEXT) | instid1(VALU_DEP_1)
	v_add_f32_e32 v102, 0x358637bd, v85
	v_div_scale_f32 v103, null, v102, v102, 1.0
	v_div_scale_f32 v108, vcc_lo, 1.0, v102, 1.0
	s_delay_alu instid0(VALU_DEP_2) | instskip(SKIP_2) | instid1(VALU_DEP_1)
	v_rcp_f32_e32 v112, v103
	s_waitcnt_depctr 0xfff
	v_fma_f32 v78, -v103, v112, 1.0
	v_fmac_f32_e32 v112, v78, v112
	v_cndmask_b32_e64 v78, v80, v110, s2
	v_cmp_eq_u32_e64 s2, 4, v77
	v_lshl_or_b32 v80, v77, 11, v79
	s_delay_alu instid0(VALU_DEP_4) | instskip(NEXT) | instid1(VALU_DEP_4)
	v_mul_f32_e32 v110, v108, v112
	v_cndmask_b32_e64 v81, v78, v109, s3
	v_cmp_eq_u32_e64 s3, 6, v77
	s_delay_alu instid0(VALU_DEP_4) | instskip(SKIP_3) | instid1(VALU_DEP_3)
	v_lshl_or_b32 v77, v75, 4, v80
	v_lshlrev_b32_e32 v78, 2, v75
	v_fma_f32 v82, -v103, v110, v108
	v_cndmask_b32_e64 v83, v81, v106, s2
	v_or_b32_e32 v81, 1, v78
	s_delay_alu instid0(VALU_DEP_3) | instskip(NEXT) | instid1(VALU_DEP_3)
	v_fmac_f32_e32 v110, v82, v112
	v_cndmask_b32_e64 v104, v83, v104, s4
	v_or_b32_e32 v83, 2, v78
	v_or_b32_e32 v82, 3, v78
	v_cmp_eq_u32_e64 s2, 1, v78
	v_fma_f32 v103, -v103, v110, v108
	v_cndmask_b32_e64 v104, v104, v105, s3
	v_cmp_eq_u32_e64 s8, 1, v81
	v_cmp_eq_u32_e64 s9, 1, v83
	;; [unrolled: 1-line block ×3, first 2 shown]
	v_div_fmas_f32 v103, v103, v112, v110
	v_cndmask_b32_e64 v104, v104, v107, s5
	v_cmp_eq_u32_e32 vcc_lo, 2, v78
	v_cmp_eq_u32_e64 s11, 2, v81
	v_cmp_eq_u32_e64 s13, 2, v83
	v_div_fixup_f32 v102, v103, v102, 1.0
	v_cmp_eq_u32_e64 s15, 2, v82
	v_cmp_eq_u32_e64 s17, 3, v82
	;; [unrolled: 1-line block ×4, first 2 shown]
	v_mul_f32_e32 v110, v104, v102
	v_cmp_eq_u32_e64 s16, 3, v83
	v_cmp_eq_u32_e64 s21, 4, v82
	;; [unrolled: 1-line block ×4, first 2 shown]
	v_fma_mixlo_f16 v102, v110, v87, 0
	v_fma_mixlo_f16 v103, v110, v89, 0
	;; [unrolled: 1-line block ×8, first 2 shown]
	v_fma_mixhi_f16 v102, v110, v86, 0
	v_fma_mixhi_f16 v103, v110, v88, 0
	;; [unrolled: 1-line block ×8, first 2 shown]
	ds_store_b128 v77, v[102:105]
	ds_store_b128 v77, v[106:109] offset:1024
	s_waitcnt lgkmcnt(0)
	s_barrier
	buffer_gl0_inv
	ds_load_b128 v[86:89], v80
	ds_load_b128 v[90:93], v80 offset:16
	ds_load_b128 v[94:97], v80 offset:1024
	;; [unrolled: 1-line block ×3, first 2 shown]
	v_cmp_eq_u32_e64 s20, 4, v83
	v_cmp_eq_u32_e64 s23, 5, v82
	;; [unrolled: 1-line block ×13, first 2 shown]
	s_waitcnt lgkmcnt(3)
	v_lshrrev_b32_e32 v102, 16, v86
	s_waitcnt lgkmcnt(2)
	v_lshrrev_b32_e32 v106, 16, v90
	;; [unrolled: 2-line block ×4, first 2 shown]
	v_lshrrev_b32_e32 v103, 16, v87
	v_cndmask_b32_e64 v118, v86, v102, s2
	v_cndmask_b32_e64 v119, v90, v106, s2
	;; [unrolled: 1-line block ×8, first 2 shown]
	v_lshrrev_b32_e32 v107, 16, v91
	v_cndmask_b32_e64 v102, v94, v110, s2
	v_cndmask_b32_e64 v106, v98, v114, s2
	;; [unrolled: 1-line block ×5, first 2 shown]
	v_cndmask_b32_e32 v110, v118, v87, vcc_lo
	v_cndmask_b32_e64 v118, v120, v87, s11
	v_cndmask_b32_e64 v120, v122, v87, s13
	;; [unrolled: 1-line block ×4, first 2 shown]
	v_lshrrev_b32_e32 v111, 16, v95
	v_lshrrev_b32_e32 v115, 16, v99
	v_cndmask_b32_e64 v125, v98, v114, s8
	v_cndmask_b32_e64 v127, v98, v114, s9
	;; [unrolled: 1-line block ×3, first 2 shown]
	v_cndmask_b32_e32 v114, v119, v91, vcc_lo
	v_cndmask_b32_e64 v119, v121, v91, s11
	v_cndmask_b32_e64 v121, v123, v91, s13
	v_cndmask_b32_e32 v90, v102, v95, vcc_lo
	v_cndmask_b32_e32 v91, v106, v99, vcc_lo
	v_cndmask_b32_e64 v102, v124, v95, s11
	v_cndmask_b32_e64 v86, v86, v103, s17
	;; [unrolled: 1-line block ×3, first 2 shown]
	v_lshrrev_b32_e32 v104, 16, v88
	v_lshrrev_b32_e32 v108, 16, v92
	v_cndmask_b32_e64 v106, v126, v95, s13
	v_cndmask_b32_e64 v94, v94, v95, s15
	;; [unrolled: 1-line block ×14, first 2 shown]
	v_lshrrev_b32_e32 v112, 16, v96
	v_cndmask_b32_e64 v98, v98, v88, s4
	v_cndmask_b32_e64 v103, v110, v92, s4
	;; [unrolled: 1-line block ×11, first 2 shown]
	v_lshrrev_b32_e32 v105, 16, v89
	v_lshrrev_b32_e32 v109, 16, v93
	v_cndmask_b32_e64 v92, v98, v104, s5
	v_cndmask_b32_e64 v98, v103, v108, s5
	;; [unrolled: 1-line block ×9, first 2 shown]
	v_lshrrev_b32_e32 v113, 16, v97
	v_cndmask_b32_e64 v88, v88, v112, s5
	v_cndmask_b32_e64 v92, v92, v89, s6
	;; [unrolled: 1-line block ×19, first 2 shown]
	v_perm_b32 v89, v87, v86, 0x5040100
	v_cndmask_b32_e64 v86, v125, v99, s11
	v_cndmask_b32_e64 v104, v88, v113, s7
	v_perm_b32 v88, v102, v98, 0x5040100
	v_perm_b32 v87, v103, v93, 0x5040100
	v_cndmask_b32_e64 v93, v106, v111, s16
	v_cndmask_b32_e64 v94, v94, v111, s17
	;; [unrolled: 1-line block ×5, first 2 shown]
	v_lshrrev_b32_e32 v116, 16, v100
	v_cndmask_b32_e64 v93, v93, v96, s20
	v_cndmask_b32_e64 v94, v94, v96, s21
	;; [unrolled: 1-line block ×11, first 2 shown]
	v_lshrrev_b32_e32 v117, 16, v101
	v_cndmask_b32_e64 v90, v90, v101, s6
	v_cndmask_b32_e64 v93, v93, v97, s25
	;; [unrolled: 1-line block ×12, first 2 shown]
	v_perm_b32 v86, v92, v91, 0x5040100
	v_perm_b32 v93, v94, v93, 0x5040100
	;; [unrolled: 1-line block ×5, first 2 shown]
	s_lshl_b32 s6, s33, 3
	s_mov_b32 s2, exec_lo
	ds_store_b128 v77, v[86:89]
	ds_store_b128 v77, v[90:93] offset:1024
	v_cmpx_gt_u32_e32 8, v0
	s_cbranch_execz .LBB353_16
; %bb.15:
	v_or_b32_e32 v86, s31, v0
	s_load_b128 s[8:11], s[0:1], 0x58
	s_delay_alu instid0(VALU_DEP_1) | instskip(NEXT) | instid1(VALU_DEP_1)
	v_mad_u64_u32 v[87:88], null, s6, s30, v[86:87]
	v_mad_u64_u32 v[88:89], null, v87, s34, s[14:15]
	s_delay_alu instid0(VALU_DEP_1) | instskip(NEXT) | instid1(VALU_DEP_1)
	v_ashrrev_i32_e32 v89, 31, v88
	v_lshlrev_b64 v[86:87], 2, v[88:89]
	s_waitcnt lgkmcnt(0)
	s_delay_alu instid0(VALU_DEP_1) | instskip(NEXT) | instid1(VALU_DEP_2)
	v_add_co_u32 v88, vcc_lo, s10, v86
	v_add_co_ci_u32_e32 v89, vcc_lo, s11, v87, vcc_lo
	v_add_co_u32 v86, vcc_lo, s8, v86
	v_add_co_ci_u32_e32 v87, vcc_lo, s9, v87, vcc_lo
	global_store_b32 v[88:89], v84, off
	global_store_b32 v[86:87], v85, off
.LBB353_16:
	s_or_b32 exec_lo, exec_lo, s2
	s_waitcnt lgkmcnt(0)
	s_waitcnt_vscnt null, 0x0
	s_barrier
	buffer_gl0_inv
	ds_load_b128 v[92:95], v79
	ds_load_b128 v[96:99], v79 offset:16
	ds_load_b128 v[104:107], v79 offset:1040
	;; [unrolled: 1-line block ×5, first 2 shown]
	v_cmp_eq_u32_e32 vcc_lo, 1, v83
	v_mov_b32_e32 v84, 0
	ds_load_b128 v[120:123], v79 offset:3088
	ds_load_b128 v[116:119], v79 offset:3072
	;; [unrolled: 1-line block ×4, first 2 shown]
	v_cmp_eq_u32_e64 s2, 1, v78
	v_cmp_eq_u32_e64 s3, 1, v82
	v_cmp_eq_u32_e64 s4, 1, v81
	v_mov_b32_e32 v85, v84
	v_mov_b32_e32 v86, v84
	;; [unrolled: 1-line block ×7, first 2 shown]
	v_cmp_eq_u32_e64 s5, 2, v78
	s_waitcnt lgkmcnt(8)
	s_delay_alu instid0(VALU_DEP_2)
	v_wmma_f32_16x16x16_f16 v[84:91], v[65:72], v[92:99], v[84:91]
	ds_load_b128 v[69:72], v79 offset:5136
	ds_load_b128 v[65:68], v79 offset:5120
	;; [unrolled: 1-line block ×4, first 2 shown]
	s_waitcnt lgkmcnt(10)
	v_wmma_f32_16x16x16_f16 v[84:91], v[57:64], v[100:107], v[84:91]
	s_waitcnt lgkmcnt(8)
	s_delay_alu instid0(VALU_DEP_1)
	v_wmma_f32_16x16x16_f16 v[84:91], v[57:64], v[108:115], v[84:91]
	ds_load_b128 v[61:64], v79 offset:7184
	ds_load_b128 v[57:60], v79 offset:7168
	;; [unrolled: 1-line block ×4, first 2 shown]
	s_waitcnt lgkmcnt(10)
	v_wmma_f32_16x16x16_f16 v[84:91], v[49:56], v[116:123], v[84:91]
	s_waitcnt lgkmcnt(8)
	s_delay_alu instid0(VALU_DEP_1)
	v_wmma_f32_16x16x16_f16 v[84:91], v[49:56], v[124:131], v[84:91]
	ds_load_b128 v[53:56], v79 offset:9232
	ds_load_b128 v[49:52], v79 offset:9216
	s_waitcnt lgkmcnt(8)
	v_wmma_f32_16x16x16_f16 v[84:91], v[41:48], v[65:72], v[84:91]
	ds_load_b128 v[69:72], v79 offset:10256
	ds_load_b128 v[65:68], v79 offset:10240
	s_waitcnt lgkmcnt(8)
	;; [unrolled: 4-line block ×7, first 2 shown]
	s_barrier
	buffer_gl0_inv
	v_wmma_f32_16x16x16_f16 v[84:91], v[33:40], v[41:48], v[84:91]
	s_delay_alu instid0(VALU_DEP_1) | instskip(NEXT) | instid1(VALU_DEP_1)
	v_wmma_f32_16x16x16_f16 v[84:91], v[33:40], v[57:64], v[84:91]
	v_wmma_f32_16x16x16_f16 v[84:91], v[25:32], v[9:16], v[84:91]
	s_delay_alu instid0(VALU_DEP_1) | instskip(NEXT) | instid1(VALU_DEP_1)
	v_wmma_f32_16x16x16_f16 v[84:91], v[25:32], v[49:56], v[84:91]
	v_wmma_f32_16x16x16_f16 v[84:91], v[17:24], v[1:8], v[84:91]
	s_delay_alu instid0(VALU_DEP_1) | instskip(NEXT) | instid1(VALU_DEP_2)
	v_cvt_f16_f32_e32 v1, v84
	v_cvt_f16_f32_e32 v2, v85
	s_delay_alu instid0(VALU_DEP_3) | instskip(NEXT) | instid1(VALU_DEP_4)
	v_cvt_f16_f32_e32 v3, v86
	v_cvt_f16_f32_e32 v4, v87
	;; [unrolled: 1-line block ×6, first 2 shown]
	v_pack_b32_f16 v1, v1, v2
	v_pack_b32_f16 v2, v3, v4
	;; [unrolled: 1-line block ×3, first 2 shown]
	s_delay_alu instid0(VALU_DEP_4)
	v_pack_b32_f16 v4, v7, v8
	ds_store_b128 v77, v[1:4]
	s_waitcnt lgkmcnt(0)
	s_barrier
	buffer_gl0_inv
	ds_load_b128 v[1:4], v80
	ds_load_b128 v[5:8], v80 offset:16
	s_waitcnt lgkmcnt(1)
	v_lshrrev_b32_e32 v9, 16, v1
	s_waitcnt lgkmcnt(0)
	v_lshrrev_b32_e32 v13, 16, v5
	v_lshrrev_b32_e32 v10, 16, v2
	;; [unrolled: 1-line block ×4, first 2 shown]
	v_cndmask_b32_e64 v17, v1, v9, s2
	v_cndmask_b32_e64 v18, v5, v13, s2
	;; [unrolled: 1-line block ×3, first 2 shown]
	v_cmp_eq_u32_e64 s2, 2, v81
	v_cndmask_b32_e64 v20, v5, v13, s4
	v_cndmask_b32_e32 v21, v1, v9, vcc_lo
	v_cndmask_b32_e32 v22, v5, v13, vcc_lo
	v_cndmask_b32_e64 v1, v1, v9, s3
	v_cndmask_b32_e64 v5, v5, v13, s3
	v_cmp_eq_u32_e32 vcc_lo, 2, v83
	v_cmp_eq_u32_e64 s3, 2, v82
	v_cndmask_b32_e64 v9, v17, v2, s5
	v_cndmask_b32_e64 v13, v18, v6, s5
	;; [unrolled: 1-line block ×4, first 2 shown]
	v_cndmask_b32_e32 v19, v21, v2, vcc_lo
	v_cmp_eq_u32_e64 s2, 3, v83
	v_cndmask_b32_e32 v20, v22, v6, vcc_lo
	v_cndmask_b32_e64 v1, v1, v2, s3
	v_cmp_eq_u32_e32 vcc_lo, 3, v82
	v_cmp_eq_u32_e64 s4, 3, v78
	v_cndmask_b32_e64 v2, v5, v6, s3
	v_cmp_eq_u32_e64 s3, 3, v81
	v_cmp_eq_u32_e64 s5, 4, v78
	v_cndmask_b32_e32 v1, v1, v10, vcc_lo
	v_cndmask_b32_e64 v5, v9, v10, s4
	v_cndmask_b32_e64 v6, v13, v14, s4
	;; [unrolled: 1-line block ×3, first 2 shown]
	v_cmp_eq_u32_e64 s4, 4, v81
	v_cndmask_b32_e64 v13, v18, v14, s3
	v_cndmask_b32_e64 v17, v19, v10, s2
	;; [unrolled: 1-line block ×3, first 2 shown]
	v_cndmask_b32_e32 v2, v2, v14, vcc_lo
	v_cmp_eq_u32_e32 vcc_lo, 4, v83
	v_cmp_eq_u32_e64 s3, 4, v82
	v_lshrrev_b32_e32 v15, 16, v7
	v_cndmask_b32_e64 v5, v5, v3, s5
	v_cndmask_b32_e64 v6, v6, v7, s5
	v_cndmask_b32_e32 v14, v18, v7, vcc_lo
	v_cndmask_b32_e64 v9, v9, v3, s4
	v_cndmask_b32_e64 v10, v13, v7, s4
	v_cndmask_b32_e32 v13, v17, v3, vcc_lo
	v_cmp_eq_u32_e64 s2, 5, v83
	v_cndmask_b32_e64 v1, v1, v3, s3
	v_cmp_eq_u32_e32 vcc_lo, 5, v82
	v_cmp_eq_u32_e64 s4, 5, v78
	v_cndmask_b32_e64 v2, v2, v7, s3
	v_cmp_eq_u32_e64 s3, 5, v81
	v_cmp_eq_u32_e64 s5, 6, v78
	v_lshrrev_b32_e32 v12, 16, v4
	v_cndmask_b32_e64 v3, v5, v11, s4
	v_cndmask_b32_e64 v5, v6, v15, s4
	;; [unrolled: 1-line block ×3, first 2 shown]
	v_cmp_eq_u32_e64 s4, 6, v81
	v_cndmask_b32_e64 v7, v10, v15, s3
	v_cndmask_b32_e64 v9, v13, v11, s2
	;; [unrolled: 1-line block ×3, first 2 shown]
	v_cndmask_b32_e32 v1, v1, v11, vcc_lo
	v_cndmask_b32_e32 v2, v2, v15, vcc_lo
	v_cmp_eq_u32_e32 vcc_lo, 6, v83
	v_cmp_eq_u32_e64 s2, 6, v82
	v_lshrrev_b32_e32 v16, 16, v8
	v_cndmask_b32_e64 v3, v3, v4, s5
	v_cndmask_b32_e64 v5, v5, v8, s5
	v_cndmask_b32_e32 v9, v9, v4, vcc_lo
	v_cndmask_b32_e64 v6, v6, v4, s4
	v_cndmask_b32_e64 v7, v7, v8, s4
	v_cmp_eq_u32_e64 s3, 7, v83
	v_cndmask_b32_e32 v10, v10, v8, vcc_lo
	v_cndmask_b32_e64 v1, v1, v4, s2
	v_cmp_eq_u32_e32 vcc_lo, 7, v82
	v_cndmask_b32_e64 v2, v2, v8, s2
	v_cmp_eq_u32_e64 s2, 7, v78
	v_cmp_eq_u32_e64 s4, 7, v81
	v_cndmask_b32_e32 v1, v1, v12, vcc_lo
	s_delay_alu instid0(VALU_DEP_4) | instskip(NEXT) | instid1(VALU_DEP_4)
	v_cndmask_b32_e32 v2, v2, v16, vcc_lo
	v_cndmask_b32_e64 v8, v3, v12, s2
	s_delay_alu instid0(VALU_DEP_4)
	v_cndmask_b32_e64 v6, v6, v12, s4
	v_cndmask_b32_e64 v3, v9, v12, s3
	;; [unrolled: 1-line block ×5, first 2 shown]
	v_perm_b32 v4, v2, v1, 0x5040100
	s_mov_b32 s2, exec_lo
	v_perm_b32 v3, v9, v3, 0x5040100
	v_perm_b32 v2, v7, v6, 0x5040100
	;; [unrolled: 1-line block ×3, first 2 shown]
	ds_store_b128 v77, v[1:4]
	s_waitcnt lgkmcnt(0)
	s_barrier
	buffer_gl0_inv
	v_cmpx_gt_u32_e32 32, v0
	s_cbranch_execz .LBB353_2
; %bb.17:
	s_load_b64 s[0:1], s[0:1], 0x68
	s_lshl_b32 s4, s34, 7
	v_or_b32_e32 v2, s31, v75
	s_mul_i32 s2, s4, s30
	v_lshlrev_b32_e32 v1, 10, v0
	s_mul_i32 s2, s2, s6
	v_lshlrev_b32_e32 v3, 4, v76
	v_mul_lo_u32 v0, v2, s4
	s_ashr_i32 s3, s2, 31
	v_lshlrev_b32_e32 v4, 6, v75
	v_and_b32_e32 v1, 0x3800, v1
	v_or_b32_e32 v5, 2, v2
	s_lshl_b64 s[2:3], s[2:3], 1
	v_or_b32_e32 v6, 4, v2
	v_or_b32_e32 v7, 6, v2
	v_or3_b32 v12, v1, v3, v4
	v_ashrrev_i32_e32 v1, 31, v0
	v_mul_lo_u32 v2, v5, s4
	v_mul_lo_u32 v16, v6, s4
	;; [unrolled: 1-line block ×3, first 2 shown]
	s_waitcnt lgkmcnt(0)
	s_add_u32 s2, s0, s2
	s_addc_u32 s3, s1, s3
	s_lshl_b32 s0, s14, 7
	v_lshlrev_b64 v[0:1], 1, v[0:1]
	s_ashr_i32 s1, s0, 31
	v_ashrrev_i32_e32 v3, 31, v2
	s_lshl_b64 s[0:1], s[0:1], 1
	v_ashrrev_i32_e32 v17, 31, v16
	s_add_u32 s0, s2, s0
	s_addc_u32 s1, s3, s1
	v_add_co_u32 v24, vcc_lo, s0, v73
	v_add_co_ci_u32_e32 v25, vcc_lo, s1, v74, vcc_lo
	v_lshlrev_b64 v[22:23], 1, v[2:3]
	s_delay_alu instid0(VALU_DEP_3) | instskip(NEXT) | instid1(VALU_DEP_3)
	v_add_co_u32 v18, vcc_lo, v24, v0
	v_add_co_ci_u32_e32 v19, vcc_lo, v25, v1, vcc_lo
	ds_load_b128 v[0:3], v12
	ds_load_b128 v[4:7], v12 offset:128
	ds_load_b128 v[8:11], v12 offset:256
	;; [unrolled: 1-line block ×3, first 2 shown]
	v_ashrrev_i32_e32 v21, 31, v20
	v_lshlrev_b64 v[16:17], 1, v[16:17]
	v_add_co_u32 v22, vcc_lo, v24, v22
	v_add_co_ci_u32_e32 v23, vcc_lo, v25, v23, vcc_lo
	s_delay_alu instid0(VALU_DEP_4) | instskip(NEXT) | instid1(VALU_DEP_4)
	v_lshlrev_b64 v[20:21], 1, v[20:21]
	v_add_co_u32 v16, vcc_lo, v24, v16
	v_add_co_ci_u32_e32 v17, vcc_lo, v25, v17, vcc_lo
	s_delay_alu instid0(VALU_DEP_3) | instskip(NEXT) | instid1(VALU_DEP_4)
	v_add_co_u32 v20, vcc_lo, v24, v20
	v_add_co_ci_u32_e32 v21, vcc_lo, v25, v21, vcc_lo
	s_waitcnt lgkmcnt(3)
	global_store_b128 v[18:19], v[0:3], off
	s_waitcnt lgkmcnt(2)
	global_store_b128 v[22:23], v[4:7], off
	;; [unrolled: 2-line block ×4, first 2 shown]
	s_nop 0
	s_sendmsg sendmsg(MSG_DEALLOC_VGPRS)
	s_endpgm
	.section	.rodata,"a",@progbits
	.p2align	6, 0x0
	.amdhsa_kernel _Z39paged_attention_ll4mi_QKV_mfma16_kernelIDF16_DF16_LN4vllm18Fp8KVCacheDataTypeE0EDF16_Li32ELi128ELi256ELb1ELi8EL8MFMAType0EEvPKT_PKT0_S8_ifPKiSA_SA_iPKfiiiPfSD_PS3_PT2_iSC_SC_
		.amdhsa_group_segment_fixed_size 17472
		.amdhsa_private_segment_fixed_size 0
		.amdhsa_kernarg_size 400
		.amdhsa_user_sgpr_count 13
		.amdhsa_user_sgpr_dispatch_ptr 0
		.amdhsa_user_sgpr_queue_ptr 0
		.amdhsa_user_sgpr_kernarg_segment_ptr 1
		.amdhsa_user_sgpr_dispatch_id 0
		.amdhsa_user_sgpr_private_segment_size 0
		.amdhsa_wavefront_size32 1
		.amdhsa_uses_dynamic_stack 0
		.amdhsa_enable_private_segment 0
		.amdhsa_system_sgpr_workgroup_id_x 1
		.amdhsa_system_sgpr_workgroup_id_y 1
		.amdhsa_system_sgpr_workgroup_id_z 1
		.amdhsa_system_sgpr_workgroup_info 0
		.amdhsa_system_vgpr_workitem_id 0
		.amdhsa_next_free_vgpr 172
		.amdhsa_next_free_sgpr 38
		.amdhsa_reserve_vcc 1
		.amdhsa_float_round_mode_32 0
		.amdhsa_float_round_mode_16_64 0
		.amdhsa_float_denorm_mode_32 3
		.amdhsa_float_denorm_mode_16_64 3
		.amdhsa_dx10_clamp 1
		.amdhsa_ieee_mode 1
		.amdhsa_fp16_overflow 0
		.amdhsa_workgroup_processor_mode 1
		.amdhsa_memory_ordered 1
		.amdhsa_forward_progress 0
		.amdhsa_shared_vgpr_count 0
		.amdhsa_exception_fp_ieee_invalid_op 0
		.amdhsa_exception_fp_denorm_src 0
		.amdhsa_exception_fp_ieee_div_zero 0
		.amdhsa_exception_fp_ieee_overflow 0
		.amdhsa_exception_fp_ieee_underflow 0
		.amdhsa_exception_fp_ieee_inexact 0
		.amdhsa_exception_int_div_zero 0
	.end_amdhsa_kernel
	.section	.text._Z39paged_attention_ll4mi_QKV_mfma16_kernelIDF16_DF16_LN4vllm18Fp8KVCacheDataTypeE0EDF16_Li32ELi128ELi256ELb1ELi8EL8MFMAType0EEvPKT_PKT0_S8_ifPKiSA_SA_iPKfiiiPfSD_PS3_PT2_iSC_SC_,"axG",@progbits,_Z39paged_attention_ll4mi_QKV_mfma16_kernelIDF16_DF16_LN4vllm18Fp8KVCacheDataTypeE0EDF16_Li32ELi128ELi256ELb1ELi8EL8MFMAType0EEvPKT_PKT0_S8_ifPKiSA_SA_iPKfiiiPfSD_PS3_PT2_iSC_SC_,comdat
.Lfunc_end353:
	.size	_Z39paged_attention_ll4mi_QKV_mfma16_kernelIDF16_DF16_LN4vllm18Fp8KVCacheDataTypeE0EDF16_Li32ELi128ELi256ELb1ELi8EL8MFMAType0EEvPKT_PKT0_S8_ifPKiSA_SA_iPKfiiiPfSD_PS3_PT2_iSC_SC_, .Lfunc_end353-_Z39paged_attention_ll4mi_QKV_mfma16_kernelIDF16_DF16_LN4vllm18Fp8KVCacheDataTypeE0EDF16_Li32ELi128ELi256ELb1ELi8EL8MFMAType0EEvPKT_PKT0_S8_ifPKiSA_SA_iPKfiiiPfSD_PS3_PT2_iSC_SC_
                                        ; -- End function
	.section	.AMDGPU.csdata,"",@progbits
; Kernel info:
; codeLenInByte = 7496
; NumSgprs: 40
; NumVgprs: 172
; ScratchSize: 0
; MemoryBound: 0
; FloatMode: 240
; IeeeMode: 1
; LDSByteSize: 17472 bytes/workgroup (compile time only)
; SGPRBlocks: 4
; VGPRBlocks: 21
; NumSGPRsForWavesPerEU: 40
; NumVGPRsForWavesPerEU: 172
; Occupancy: 8
; WaveLimiterHint : 1
; COMPUTE_PGM_RSRC2:SCRATCH_EN: 0
; COMPUTE_PGM_RSRC2:USER_SGPR: 13
; COMPUTE_PGM_RSRC2:TRAP_HANDLER: 0
; COMPUTE_PGM_RSRC2:TGID_X_EN: 1
; COMPUTE_PGM_RSRC2:TGID_Y_EN: 1
; COMPUTE_PGM_RSRC2:TGID_Z_EN: 1
; COMPUTE_PGM_RSRC2:TIDIG_COMP_CNT: 0
	.section	.text._Z39paged_attention_ll4mi_QKV_mfma16_kernelIDF16_DF16_LN4vllm18Fp8KVCacheDataTypeE0EDF16_Li32ELi128ELi256ELb1ELi9EL8MFMAType0EEvPKT_PKT0_S8_ifPKiSA_SA_iPKfiiiPfSD_PS3_PT2_iSC_SC_,"axG",@progbits,_Z39paged_attention_ll4mi_QKV_mfma16_kernelIDF16_DF16_LN4vllm18Fp8KVCacheDataTypeE0EDF16_Li32ELi128ELi256ELb1ELi9EL8MFMAType0EEvPKT_PKT0_S8_ifPKiSA_SA_iPKfiiiPfSD_PS3_PT2_iSC_SC_,comdat
	.protected	_Z39paged_attention_ll4mi_QKV_mfma16_kernelIDF16_DF16_LN4vllm18Fp8KVCacheDataTypeE0EDF16_Li32ELi128ELi256ELb1ELi9EL8MFMAType0EEvPKT_PKT0_S8_ifPKiSA_SA_iPKfiiiPfSD_PS3_PT2_iSC_SC_ ; -- Begin function _Z39paged_attention_ll4mi_QKV_mfma16_kernelIDF16_DF16_LN4vllm18Fp8KVCacheDataTypeE0EDF16_Li32ELi128ELi256ELb1ELi9EL8MFMAType0EEvPKT_PKT0_S8_ifPKiSA_SA_iPKfiiiPfSD_PS3_PT2_iSC_SC_
	.globl	_Z39paged_attention_ll4mi_QKV_mfma16_kernelIDF16_DF16_LN4vllm18Fp8KVCacheDataTypeE0EDF16_Li32ELi128ELi256ELb1ELi9EL8MFMAType0EEvPKT_PKT0_S8_ifPKiSA_SA_iPKfiiiPfSD_PS3_PT2_iSC_SC_
	.p2align	8
	.type	_Z39paged_attention_ll4mi_QKV_mfma16_kernelIDF16_DF16_LN4vllm18Fp8KVCacheDataTypeE0EDF16_Li32ELi128ELi256ELb1ELi9EL8MFMAType0EEvPKT_PKT0_S8_ifPKiSA_SA_iPKfiiiPfSD_PS3_PT2_iSC_SC_,@function
_Z39paged_attention_ll4mi_QKV_mfma16_kernelIDF16_DF16_LN4vllm18Fp8KVCacheDataTypeE0EDF16_Li32ELi128ELi256ELb1ELi9EL8MFMAType0EEvPKT_PKT0_S8_ifPKiSA_SA_iPKfiiiPfSD_PS3_PT2_iSC_SC_: ; @_Z39paged_attention_ll4mi_QKV_mfma16_kernelIDF16_DF16_LN4vllm18Fp8KVCacheDataTypeE0EDF16_Li32ELi128ELi256ELb1ELi9EL8MFMAType0EEvPKT_PKT0_S8_ifPKiSA_SA_iPKfiiiPfSD_PS3_PT2_iSC_SC_
; %bb.0:
	s_load_b64 s[2:3], s[0:1], 0x30
	s_mov_b32 s34, s13
	s_waitcnt lgkmcnt(0)
	s_cmp_lg_u64 s[2:3], 0
	s_cselect_b32 s6, -1, 0
	s_ashr_i32 s35, s13, 31
	s_cmp_eq_u64 s[2:3], 0
	s_cbranch_scc1 .LBB354_3
; %bb.1:
	s_lshl_b64 s[4:5], s[34:35], 2
	s_delay_alu instid0(SALU_CYCLE_1) | instskip(SKIP_4) | instid1(SALU_CYCLE_1)
	s_add_u32 s4, s2, s4
	s_addc_u32 s5, s3, s5
	s_load_b64 s[4:5], s[4:5], 0x0
	s_waitcnt lgkmcnt(0)
	s_sub_i32 s4, s5, s4
	s_cmp_eq_u32 s4, 1
	s_cselect_b32 s4, -1, 0
	s_delay_alu instid0(SALU_CYCLE_1)
	s_and_not1_b32 vcc_lo, exec_lo, s4
	s_cbranch_vccz .LBB354_4
.LBB354_2:
	s_nop 0
	s_sendmsg sendmsg(MSG_DEALLOC_VGPRS)
	s_endpgm
.LBB354_3:
.LBB354_4:
	s_load_b64 s[8:9], s[0:1], 0x28
	s_lshl_b64 s[4:5], s[34:35], 2
	s_waitcnt lgkmcnt(0)
	s_add_u32 s8, s8, s4
	s_addc_u32 s9, s9, s5
	s_lshl_b32 s12, s14, 8
	s_load_b32 s17, s[8:9], 0x0
	s_waitcnt lgkmcnt(0)
	s_cmp_ge_i32 s12, s17
	s_cbranch_scc1 .LBB354_2
; %bb.5:
	s_and_not1_b32 vcc_lo, exec_lo, s6
	s_cbranch_vccnz .LBB354_7
; %bb.6:
	s_add_u32 s2, s2, s4
	s_addc_u32 s3, s3, s5
	s_load_b32 s13, s[2:3], 0x0
	s_branch .LBB354_8
.LBB354_7:
	s_mov_b32 s13, s34
.LBB354_8:
	s_clause 0x2
	s_load_b128 s[8:11], s[0:1], 0x8
	s_load_b64 s[2:3], s[0:1], 0x20
	s_load_b128 s[4:7], s[0:1], 0x48
	v_lshrrev_b32_e32 v78, 5, v0
	v_bfe_u32 v75, v0, 4, 1
	v_and_b32_e32 v77, 15, v0
	s_waitcnt lgkmcnt(0)
	s_mov_b32 s7, exec_lo
	s_delay_alu instid0(VALU_DEP_2) | instskip(NEXT) | instid1(VALU_DEP_2)
	v_lshl_or_b32 v3, v78, 1, v75
	v_lshlrev_b32_e32 v1, 3, v77
	s_delay_alu instid0(VALU_DEP_2)
	v_cmpx_lt_u32_e32 8, v3
	s_xor_b32 s7, exec_lo, s7
; %bb.9:
	v_mov_b32_e32 v2, 0
                                        ; implicit-def: $vgpr3
; %bb.10:
	s_or_saveexec_b32 s7, s7
	v_and_b32_e32 v80, 31, v0
	v_and_b32_e32 v76, 1, v0
	s_mul_i32 s31, s15, 9
	s_xor_b32 exec_lo, exec_lo, s7
	s_cbranch_execz .LBB354_12
; %bb.11:
	s_load_b64 s[18:19], s[0:1], 0x0
	v_add_lshl_u32 v4, v3, s31, 7
	s_mul_hi_i32 s21, s13, s4
	s_mul_i32 s20, s13, s4
	v_lshlrev_b32_e32 v2, 1, v1
	s_lshl_b64 s[20:21], s[20:21], 1
	v_ashrrev_i32_e32 v5, 31, v4
	v_lshlrev_b32_e32 v3, 6, v3
	v_lshlrev_b32_e32 v8, 10, v76
	s_delay_alu instid0(VALU_DEP_3) | instskip(SKIP_3) | instid1(VALU_DEP_1)
	v_lshlrev_b64 v[4:5], 1, v[4:5]
	s_waitcnt lgkmcnt(0)
	s_add_u32 s4, s18, s20
	s_addc_u32 s13, s19, s21
	v_add_co_u32 v4, vcc_lo, s4, v4
	s_delay_alu instid0(VALU_DEP_2) | instskip(NEXT) | instid1(VALU_DEP_2)
	v_add_co_ci_u32_e32 v5, vcc_lo, s13, v5, vcc_lo
	v_add_co_u32 v4, vcc_lo, v4, v2
	s_delay_alu instid0(VALU_DEP_2) | instskip(SKIP_3) | instid1(VALU_DEP_1)
	v_add_co_ci_u32_e32 v5, vcc_lo, 0, v5, vcc_lo
	v_lshlrev_b32_e32 v2, 10, v77
	global_load_b128 v[4:7], v[4:5], off
	v_and_b32_e32 v2, 0x3800, v2
	v_or3_b32 v3, v2, v8, v3
	v_mov_b32_e32 v2, 0
	s_waitcnt vmcnt(0)
	ds_store_b128 v3, v[4:7]
.LBB354_12:
	s_or_b32 exec_lo, exec_lo, s7
	v_and_b32_e32 v3, 0xef, v0
	s_add_i32 s4, s17, 31
	s_clause 0x1
	s_load_b32 s7, s[0:1], 0x38
	s_load_b32 s33, s[0:1], 0x98
	s_ashr_i32 s13, s4, 31
	v_add_nc_u32_e32 v3, s12, v3
	s_lshr_b32 s13, s13, 27
	s_load_b32 s18, s[0:1], 0x1c
	s_add_i32 s4, s4, s13
	s_waitcnt lgkmcnt(0)
	v_ashrrev_i32_e32 v4, 31, v3
	v_cmp_gt_i32_e32 vcc_lo, s17, v3
	s_ashr_i32 s4, s4, 5
	s_barrier
	s_add_i32 s4, s4, -1
	v_lshrrev_b32_e32 v5, 27, v4
	v_or_b32_e32 v4, 16, v3
	buffer_gl0_inv
	v_lshlrev_b64 v[73:74], 1, v[1:2]
	v_lshlrev_b32_e32 v79, 6, v77
	v_add_nc_u32_e32 v6, v3, v5
	v_add_nc_u32_e32 v5, v4, v5
	s_mul_i32 s20, s34, s7
	s_delay_alu instid0(SALU_CYCLE_1) | instskip(NEXT) | instid1(VALU_DEP_2)
	s_ashr_i32 s21, s20, 31
	v_ashrrev_i32_e32 v6, 5, v6
	s_delay_alu instid0(VALU_DEP_2) | instskip(SKIP_1) | instid1(SALU_CYCLE_1)
	v_ashrrev_i32_e32 v5, 5, v5
	s_lshl_b64 s[20:21], s[20:21], 2
	s_add_u32 s13, s2, s20
	s_delay_alu instid0(VALU_DEP_2) | instskip(SKIP_3) | instid1(SALU_CYCLE_1)
	v_cndmask_b32_e32 v3, s4, v6, vcc_lo
	v_cmp_gt_i32_e32 vcc_lo, s17, v4
	s_addc_u32 s16, s3, s21
	s_mul_i32 s2, s15, s6
	s_ashr_i32 s3, s2, 31
	v_cndmask_b32_e32 v5, s4, v5, vcc_lo
	v_ashrrev_i32_e32 v4, 31, v3
	s_lshl_b64 s[2:3], s[2:3], 1
	s_delay_alu instid0(SALU_CYCLE_1) | instskip(NEXT) | instid1(VALU_DEP_2)
	s_add_u32 s15, s8, s2
	v_ashrrev_i32_e32 v6, 31, v5
	s_delay_alu instid0(VALU_DEP_2) | instskip(SKIP_2) | instid1(VALU_DEP_2)
	v_lshlrev_b64 v[3:4], 2, v[3:4]
	s_addc_u32 s19, s9, s3
	s_lshl_b32 s6, s14, 3
	v_lshlrev_b64 v[5:6], 2, v[5:6]
	s_ashr_i32 s7, s6, 31
	s_delay_alu instid0(VALU_DEP_2) | instskip(SKIP_1) | instid1(VALU_DEP_3)
	v_add_co_u32 v3, vcc_lo, s13, v3
	v_add_co_ci_u32_e32 v4, vcc_lo, s16, v4, vcc_lo
	v_add_co_u32 v5, vcc_lo, s13, v5
	s_delay_alu instid0(VALU_DEP_4)
	v_add_co_ci_u32_e32 v6, vcc_lo, s16, v6, vcc_lo
	s_lshl_b64 s[6:7], s[6:7], 2
	s_clause 0x1
	global_load_b32 v7, v[3:4], off
	global_load_b32 v8, v[5:6], off
	s_add_u32 s6, s13, s6
	s_addc_u32 s7, s16, s7
	s_or_b32 s8, s12, 32
	s_delay_alu instid0(SALU_CYCLE_1) | instskip(SKIP_2) | instid1(SALU_CYCLE_1)
	s_ashr_i32 s9, s8, 5
	s_cmp_lt_i32 s8, s17
	s_cselect_b32 s8, s9, s4
	s_ashr_i32 s9, s8, 31
	s_delay_alu instid0(SALU_CYCLE_1) | instskip(NEXT) | instid1(SALU_CYCLE_1)
	s_lshl_b64 s[8:9], s[8:9], 2
	s_add_u32 s8, s13, s8
	s_addc_u32 s9, s16, s9
	s_or_b32 s20, s12, 64
	s_delay_alu instid0(SALU_CYCLE_1) | instskip(SKIP_2) | instid1(SALU_CYCLE_1)
	s_ashr_i32 s21, s20, 5
	s_cmp_lt_i32 s20, s17
	s_cselect_b32 s20, s21, s4
	s_ashr_i32 s21, s20, 31
	s_delay_alu instid0(SALU_CYCLE_1) | instskip(NEXT) | instid1(SALU_CYCLE_1)
	s_lshl_b64 s[20:21], s[20:21], 2
	s_add_u32 s20, s13, s20
	s_addc_u32 s21, s16, s21
	s_or_b32 s22, s12, 0x60
	s_delay_alu instid0(SALU_CYCLE_1) | instskip(SKIP_2) | instid1(SALU_CYCLE_1)
	s_ashr_i32 s23, s22, 5
	s_cmp_lt_i32 s22, s17
	s_cselect_b32 s22, s23, s4
	s_ashr_i32 s23, s22, 31
	s_delay_alu instid0(SALU_CYCLE_1) | instskip(NEXT) | instid1(SALU_CYCLE_1)
	s_lshl_b64 s[22:23], s[22:23], 2
	s_add_u32 s22, s13, s22
	s_addc_u32 s23, s16, s23
	s_or_b32 s24, s12, 0x80
	s_delay_alu instid0(SALU_CYCLE_1) | instskip(SKIP_2) | instid1(SALU_CYCLE_1)
	s_ashr_i32 s25, s24, 5
	s_cmp_lt_i32 s24, s17
	s_cselect_b32 s24, s25, s4
	s_ashr_i32 s25, s24, 31
	s_delay_alu instid0(SALU_CYCLE_1) | instskip(NEXT) | instid1(SALU_CYCLE_1)
	s_lshl_b64 s[24:25], s[24:25], 2
	s_add_u32 s24, s13, s24
	s_addc_u32 s25, s16, s25
	s_or_b32 s26, s12, 0xa0
	s_delay_alu instid0(SALU_CYCLE_1) | instskip(SKIP_2) | instid1(SALU_CYCLE_1)
	s_ashr_i32 s27, s26, 5
	s_cmp_lt_i32 s26, s17
	s_cselect_b32 s26, s27, s4
	s_ashr_i32 s27, s26, 31
	s_delay_alu instid0(SALU_CYCLE_1) | instskip(NEXT) | instid1(SALU_CYCLE_1)
	s_lshl_b64 s[26:27], s[26:27], 2
	s_add_u32 s26, s13, s26
	s_addc_u32 s27, s16, s27
	s_clause 0x5
	s_load_b32 s28, s[6:7], 0x0
	s_load_b32 s29, s[8:9], 0x0
	;; [unrolled: 1-line block ×6, first 2 shown]
	s_mov_b32 s20, 0
	s_or_b32 s6, s12, 0xc0
	s_mov_b32 s21, s20
	s_mov_b32 s22, s20
	;; [unrolled: 1-line block ×7, first 2 shown]
	s_ashr_i32 s7, s6, 5
	v_mov_b32_e32 v128, s27
	s_cmp_lt_i32 s6, s17
	v_mov_b32_e32 v127, s26
	s_cselect_b32 s6, s7, s4
	v_mov_b32_e32 v126, s25
	s_ashr_i32 s7, s6, 31
	v_mov_b32_e32 v125, s24
	s_lshl_b64 s[6:7], s[6:7], 2
	v_mov_b32_e32 v124, s23
	s_add_u32 s6, s13, s6
	s_addc_u32 s7, s16, s7
	v_mov_b32_e32 v123, s22
	v_mov_b32_e32 v121, s20
	s_waitcnt lgkmcnt(0)
	s_mul_hi_i32 s9, s28, s5
	s_mul_i32 s8, s28, s5
	s_mul_hi_i32 s37, s38, s5
	v_mov_b32_e32 v122, s21
	s_mul_hi_i32 s21, s29, s5
	s_mul_i32 s20, s29, s5
	s_mul_hi_i32 s25, s30, s5
	s_mul_i32 s24, s30, s5
	;; [unrolled: 2-line block ×3, first 2 shown]
	s_waitcnt vmcnt(1)
	v_mad_i64_i32 v[3:4], null, v7, s5, 0
	s_waitcnt vmcnt(0)
	v_mad_i64_i32 v[5:6], null, v8, s5, 0
	s_delay_alu instid0(VALU_DEP_2) | instskip(NEXT) | instid1(VALU_DEP_2)
	v_lshlrev_b64 v[3:4], 1, v[3:4]
	v_lshlrev_b64 v[1:2], 1, v[5:6]
	s_delay_alu instid0(VALU_DEP_2) | instskip(NEXT) | instid1(VALU_DEP_3)
	v_add_co_u32 v3, vcc_lo, s15, v3
	v_add_co_ci_u32_e32 v4, vcc_lo, s19, v4, vcc_lo
	s_delay_alu instid0(VALU_DEP_3) | instskip(NEXT) | instid1(VALU_DEP_4)
	v_add_co_u32 v1, vcc_lo, s15, v1
	v_add_co_ci_u32_e32 v2, vcc_lo, s19, v2, vcc_lo
	s_delay_alu instid0(VALU_DEP_4) | instskip(NEXT) | instid1(VALU_DEP_4)
	v_add_co_u32 v65, vcc_lo, v3, v73
	v_add_co_ci_u32_e32 v66, vcc_lo, v4, v74, vcc_lo
	s_delay_alu instid0(VALU_DEP_4) | instskip(NEXT) | instid1(VALU_DEP_4)
	v_add_co_u32 v67, vcc_lo, v1, v73
	v_add_co_ci_u32_e32 v68, vcc_lo, v2, v74, vcc_lo
	s_clause 0xf
	global_load_b128 v[1:4], v[65:66], off
	global_load_b128 v[5:8], v[65:66], off offset:512
	global_load_b128 v[9:12], v[67:68], off offset:256
	;; [unrolled: 1-line block ×15, first 2 shown]
	v_add_co_u32 v157, vcc_lo, 0x1000, v65
	v_add_co_ci_u32_e32 v158, vcc_lo, 0, v66, vcc_lo
	v_add_co_u32 v165, vcc_lo, 0x1000, v67
	v_add_co_ci_u32_e32 v166, vcc_lo, 0, v68, vcc_lo
	s_clause 0x7
	global_load_b128 v[81:84], v[157:158], off
	global_load_b128 v[85:88], v[157:158], off offset:512
	global_load_b128 v[89:92], v[165:166], off offset:256
	;; [unrolled: 1-line block ×7, first 2 shown]
	v_add_nc_u32_e32 v65, -9, v77
	v_cmp_gt_u32_e32 vcc_lo, 9, v77
	s_or_b32 s15, s12, 0xe0
	s_delay_alu instid0(SALU_CYCLE_1) | instskip(SKIP_3) | instid1(SALU_CYCLE_1)
	s_ashr_i32 s19, s15, 5
	s_cmp_lt_i32 s15, s17
	v_cndmask_b32_e32 v65, v65, v77, vcc_lo
	s_cselect_b32 s22, s19, s4
	s_ashr_i32 s23, s22, 31
	s_delay_alu instid0(VALU_DEP_1)
	v_lshlrev_b32_e32 v169, 6, v65
	ds_load_b128 v[65:68], v169
	ds_load_b128 v[69:72], v169 offset:1024
	s_clause 0x1
	global_load_b128 v[113:116], v[157:158], off offset:2048
	global_load_b128 v[117:120], v[157:158], off offset:2560
	ds_load_b128 v[129:132], v169 offset:2048
	ds_load_b128 v[133:136], v169 offset:3072
	s_clause 0x5
	global_load_b128 v[145:148], v[165:166], off offset:2304
	global_load_b128 v[149:152], v[165:166], off offset:2816
	;; [unrolled: 1-line block ×6, first 2 shown]
	s_lshl_b64 s[22:23], s[22:23], 2
	s_delay_alu instid0(SALU_CYCLE_1) | instskip(SKIP_2) | instid1(SALU_CYCLE_1)
	s_add_u32 s22, s13, s22
	s_addc_u32 s23, s16, s23
	s_add_i32 s15, s12, 0x100
	s_ashr_i32 s19, s15, 5
	s_cmp_lt_i32 s15, s17
	s_cselect_b32 s28, s19, s4
	s_delay_alu instid0(SALU_CYCLE_1) | instskip(NEXT) | instid1(SALU_CYCLE_1)
	s_ashr_i32 s29, s28, 31
	s_lshl_b64 s[28:29], s[28:29], 2
	s_delay_alu instid0(SALU_CYCLE_1)
	s_add_u32 s28, s13, s28
	s_addc_u32 s29, s16, s29
	s_add_u32 s4, s10, s2
	s_addc_u32 s19, s11, s3
	s_lshl_b64 s[2:3], s[8:9], 1
	s_lshl_b64 s[8:9], s[20:21], 1
	;; [unrolled: 1-line block ×4, first 2 shown]
	s_waitcnt vmcnt(30) lgkmcnt(2)
	v_wmma_f32_16x16x16_f16 v[137:144], v[1:8], v[65:72], v[121:128]
	ds_load_b128 v[1:4], v169 offset:4096
	ds_load_b128 v[5:8], v169 offset:5120
	s_waitcnt vmcnt(28)
	v_wmma_f32_16x16x16_f16 v[121:128], v[9:16], v[65:72], v[121:128]
	ds_load_b128 v[9:12], v169 offset:6144
	ds_load_b128 v[13:16], v169 offset:7168
	s_waitcnt vmcnt(26) lgkmcnt(4)
	v_wmma_f32_16x16x16_f16 v[137:144], v[17:24], v[129:136], v[137:144]
	ds_load_b128 v[17:20], v169 offset:8192
	ds_load_b128 v[21:24], v169 offset:9216
	s_waitcnt vmcnt(24)
	v_wmma_f32_16x16x16_f16 v[121:128], v[25:32], v[129:136], v[121:128]
	v_lshl_or_b32 v25, v78, 10, v79
	ds_load_b128 v[129:132], v169 offset:10240
	ds_load_b128 v[133:136], v169 offset:11264
	s_clause 0x2
	s_load_b32 s15, s[6:7], 0x0
	s_load_b32 s13, s[22:23], 0x0
	;; [unrolled: 1-line block ×3, first 2 shown]
	s_mul_hi_i32 s7, s36, s5
	v_add_co_u32 v170, s4, s4, v25
	s_delay_alu instid0(VALU_DEP_1)
	v_add_co_ci_u32_e64 v171, null, s19, 0, s4
	s_mul_i32 s6, s36, s5
	s_mul_i32 s36, s38, s5
	s_lshl_b64 s[6:7], s[6:7], 1
	s_lshl_b64 s[22:23], s[36:37], 1
	s_waitcnt vmcnt(22) lgkmcnt(0)
	v_wmma_f32_16x16x16_f16 v[137:144], v[33:40], v[1:8], v[137:144]
	s_waitcnt vmcnt(20)
	v_wmma_f32_16x16x16_f16 v[121:128], v[41:48], v[1:8], v[121:128]
	v_add_co_u32 v1, vcc_lo, v170, s2
	v_add_co_ci_u32_e32 v2, vcc_lo, s3, v171, vcc_lo
	v_add_co_u32 v3, vcc_lo, v170, s8
	v_add_co_ci_u32_e32 v4, vcc_lo, s9, v171, vcc_lo
	v_add_co_u32 v5, vcc_lo, v170, s10
	v_add_co_ci_u32_e32 v6, vcc_lo, s11, v171, vcc_lo
	v_add_co_u32 v7, vcc_lo, v170, s20
	v_add_co_ci_u32_e32 v8, vcc_lo, s21, v171, vcc_lo
	v_add_co_u32 v25, vcc_lo, v170, s6
	s_mul_hi_i32 s25, s15, s5
	s_mul_i32 s24, s15, s5
	v_add_co_ci_u32_e32 v26, vcc_lo, s7, v171, vcc_lo
	v_add_co_u32 v27, vcc_lo, v170, s22
	s_lshl_b64 s[24:25], s[24:25], 1
	s_waitcnt vmcnt(18)
	v_wmma_f32_16x16x16_f16 v[137:144], v[49:56], v[9:16], v[137:144]
	s_waitcnt vmcnt(16)
	v_wmma_f32_16x16x16_f16 v[121:128], v[57:64], v[9:16], v[121:128]
	v_add_co_ci_u32_e32 v28, vcc_lo, s23, v171, vcc_lo
	s_mul_hi_i32 s3, s13, s5
	s_mul_i32 s2, s13, s5
	v_add_co_u32 v29, vcc_lo, v170, s24
	s_lshl_b64 s[2:3], s[2:3], 1
	v_add_co_ci_u32_e32 v30, vcc_lo, s25, v171, vcc_lo
	s_waitcnt vmcnt(14)
	v_wmma_f32_16x16x16_f16 v[137:144], v[81:88], v[17:24], v[137:144]
	s_waitcnt vmcnt(12)
	v_wmma_f32_16x16x16_f16 v[121:128], v[89:96], v[17:24], v[121:128]
	v_add_co_u32 v17, vcc_lo, v170, s2
	v_add_co_ci_u32_e32 v18, vcc_lo, s3, v171, vcc_lo
	s_mul_hi_i32 s3, s16, s5
	s_mul_i32 s2, s16, s5
	s_clause 0x5
	global_load_b128 v[65:68], v[1:2], off
	global_load_b128 v[69:72], v[1:2], off offset:16
	global_load_b128 v[57:60], v[3:4], off
	global_load_b128 v[61:64], v[3:4], off offset:16
	;; [unrolled: 2-line block ×3, first 2 shown]
	s_lshl_b64 s[2:3], s[2:3], 1
	s_clause 0x1
	global_load_b128 v[41:44], v[7:8], off
	global_load_b128 v[45:48], v[7:8], off offset:16
	v_add_co_u32 v21, vcc_lo, v170, s2
	v_add_co_ci_u32_e32 v22, vcc_lo, s3, v171, vcc_lo
	s_clause 0x9
	global_load_b128 v[9:12], v[25:26], off
	global_load_b128 v[13:16], v[25:26], off offset:16
	global_load_b128 v[1:4], v[27:28], off
	global_load_b128 v[5:8], v[27:28], off offset:16
	global_load_b128 v[33:36], v[29:30], off
	global_load_b128 v[37:40], v[29:30], off offset:16
	global_load_b128 v[25:28], v[17:18], off
	global_load_b128 v[29:32], v[17:18], off offset:16
	global_load_b128 v[17:20], v[21:22], off
	global_load_b128 v[21:24], v[21:22], off offset:16
	ds_load_b128 v[81:84], v169 offset:12288
	ds_load_b128 v[85:88], v169 offset:13312
	v_and_b32_e32 v89, 0xe0, v0
	s_waitcnt vmcnt(28)
	v_wmma_f32_16x16x16_f16 v[137:144], v[97:104], v[129:136], v[137:144]
	v_mbcnt_lo_u32_b32 v97, -1, 0
	s_waitcnt vmcnt(26)
	v_wmma_f32_16x16x16_f16 v[121:128], v[105:112], v[129:136], v[121:128]
	v_add_nc_u32_e32 v98, s12, v89
	ds_load_b128 v[89:92], v169 offset:14336
	ds_load_b128 v[93:96], v169 offset:15360
	v_xor_b32_e32 v99, 16, v97
	s_waitcnt vmcnt(0) lgkmcnt(0)
	s_barrier
	v_or_b32_e32 v98, v98, v75
	buffer_gl0_inv
	v_cmp_gt_i32_e32 vcc_lo, 32, v99
	v_or_b32_e32 v100, 4, v98
	v_or_b32_e32 v101, 22, v98
	;; [unrolled: 1-line block ×4, first 2 shown]
	v_wmma_f32_16x16x16_f16 v[137:144], v[113:120], v[81:88], v[137:144]
	v_wmma_f32_16x16x16_f16 v[121:128], v[145:152], v[81:88], v[121:128]
	v_or_b32_e32 v81, 6, v98
	v_or_b32_e32 v82, 8, v98
	;; [unrolled: 1-line block ×3, first 2 shown]
	v_cmp_gt_i32_e64 s3, s17, v100
	v_or_b32_e32 v84, 12, v98
	v_wmma_f32_16x16x16_f16 v[137:144], v[153:160], v[89:96], v[137:144]
	v_wmma_f32_16x16x16_f16 v[121:128], v[161:168], v[89:96], v[121:128]
	v_cndmask_b32_e32 v97, v97, v99, vcc_lo
	v_or_b32_e32 v99, 2, v98
	v_cmp_gt_i32_e32 vcc_lo, s17, v98
	v_dual_mul_f32 v95, s18, v138 :: v_dual_mul_f32 v96, s18, v137
	v_mul_f32_e32 v93, s18, v140
	s_delay_alu instid0(VALU_DEP_4)
	v_cmp_gt_i32_e64 s2, s17, v99
	v_mul_f32_e32 v94, s18, v139
	v_mul_f32_e32 v110, s18, v124
	v_cndmask_b32_e32 v96, 0xff7fffff, v96, vcc_lo
	v_cmp_gt_i32_e64 s4, s17, v81
	v_cndmask_b32_e64 v95, 0xff7fffff, v95, s2
	v_or_b32_e32 v85, 14, v98
	v_dual_mul_f32 v91, s18, v142 :: v_dual_mul_f32 v92, s18, v141
	v_cndmask_b32_e64 v94, 0xff7fffff, v94, s3
	v_cndmask_b32_e64 v81, 0xff7fffff, v93, s4
	v_max3_f32 v93, v96, 0xff7fffff, v95
	v_cmp_gt_i32_e64 s5, s17, v82
	v_cmp_gt_i32_e64 s6, s17, v83
	v_or_b32_e32 v86, 16, v98
	v_or_b32_e32 v87, 18, v98
	v_dual_mul_f32 v89, s18, v144 :: v_dual_mul_f32 v112, s18, v122
	v_mul_f32_e32 v90, s18, v143
	v_cndmask_b32_e64 v82, 0xff7fffff, v92, s5
	v_cndmask_b32_e64 v83, 0xff7fffff, v91, s6
	v_max3_f32 v81, v93, v94, v81
	v_cmp_gt_i32_e64 s7, s17, v84
	v_cmp_gt_i32_e64 s8, s17, v85
	v_or_b32_e32 v88, 20, v98
	v_mul_f32_e32 v113, s18, v121
	v_max3_f32 v81, v81, v82, v83
	v_cndmask_b32_e64 v84, 0xff7fffff, v90, s7
	v_cndmask_b32_e64 v85, 0xff7fffff, v89, s8
	v_cmp_gt_i32_e64 s9, s17, v86
	v_cmp_gt_i32_e64 s10, s17, v87
	v_mul_f32_e32 v111, s18, v123
	v_cmp_gt_i32_e64 s11, s17, v88
	v_max3_f32 v81, v81, v84, v85
	v_cndmask_b32_e64 v82, 0xff7fffff, v113, s9
	v_cndmask_b32_e64 v83, 0xff7fffff, v112, s10
	v_cmp_gt_i32_e64 s12, s17, v101
	v_or_b32_e32 v104, 28, v98
	v_or_b32_e32 v105, 30, v98
	v_dual_mul_f32 v108, s18, v126 :: v_dual_mul_f32 v109, s18, v125
	v_cndmask_b32_e64 v84, 0xff7fffff, v111, s11
	v_cndmask_b32_e64 v85, 0xff7fffff, v110, s12
	v_max3_f32 v81, v81, v82, v83
	v_cmp_gt_i32_e64 s13, s17, v102
	v_cmp_gt_i32_e64 s15, s17, v103
	v_dual_mul_f32 v106, s18, v128 :: v_dual_mul_f32 v107, s18, v127
	s_delay_alu instid0(VALU_DEP_4) | instskip(NEXT) | instid1(VALU_DEP_4)
	v_max3_f32 v81, v81, v84, v85
	v_cndmask_b32_e64 v82, 0xff7fffff, v109, s13
	s_delay_alu instid0(VALU_DEP_4) | instskip(SKIP_2) | instid1(VALU_DEP_3)
	v_cndmask_b32_e64 v83, 0xff7fffff, v108, s15
	v_cmp_gt_i32_e64 s16, s17, v104
	v_cmp_gt_i32_e64 s17, s17, v105
	v_max3_f32 v81, v81, v82, v83
	s_delay_alu instid0(VALU_DEP_3) | instskip(NEXT) | instid1(VALU_DEP_3)
	v_cndmask_b32_e64 v84, 0xff7fffff, v107, s16
	v_cndmask_b32_e64 v85, 0xff7fffff, v106, s17
	v_lshlrev_b32_e32 v83, 2, v97
	s_delay_alu instid0(VALU_DEP_2) | instskip(SKIP_3) | instid1(VALU_DEP_1)
	v_max3_f32 v81, v81, v84, v85
	ds_bpermute_b32 v82, v83, v81
	s_waitcnt lgkmcnt(0)
	v_max_f32_e32 v82, v82, v82
	v_max_f32_e32 v81, v81, v82
	s_delay_alu instid0(VALU_DEP_1)
	v_fma_f32 v82, s18, v137, -v81
	v_fma_f32 v84, s18, v138, -v81
	;; [unrolled: 1-line block ×5, first 2 shown]
	v_mul_f32_e32 v82, 0x3fb8aa3b, v82
	s_delay_alu instid0(VALU_DEP_4) | instskip(NEXT) | instid1(VALU_DEP_3)
	v_dual_mul_f32 v84, 0x3fb8aa3b, v84 :: v_dual_mul_f32 v85, 0x3fb8aa3b, v85
	v_dual_mul_f32 v86, 0x3fb8aa3b, v86 :: v_dual_mul_f32 v89, 0x3fb8aa3b, v87
	s_delay_alu instid0(VALU_DEP_3) | instskip(NEXT) | instid1(VALU_DEP_2)
	v_exp_f32_e32 v82, v82
	v_exp_f32_e32 v84, v84
	s_delay_alu instid0(VALU_DEP_2) | instskip(NEXT) | instid1(VALU_DEP_1)
	v_exp_f32_e32 v85, v85
	v_exp_f32_e32 v86, v86
	;; [unrolled: 1-line block ×3, first 2 shown]
	v_cndmask_b32_e32 v88, 0, v82, vcc_lo
	v_cndmask_b32_e64 v87, 0, v84, s2
	s_delay_alu instid0(TRANS32_DEP_3)
	v_cndmask_b32_e64 v90, 0, v85, s3
	s_waitcnt_depctr 0xfff
	v_cndmask_b32_e64 v89, 0, v86, s4
	v_cndmask_b32_e64 v92, 0, v92, s5
	v_add_f32_e32 v84, 0, v88
	v_cmp_gt_u32_e64 s2, 16, v80
	s_delay_alu instid0(VALU_DEP_2) | instskip(NEXT) | instid1(VALU_DEP_1)
	v_add_f32_e32 v84, v84, v87
	v_add_f32_e32 v84, v84, v90
	s_delay_alu instid0(VALU_DEP_1)
	v_add_f32_e32 v84, v84, v89
	v_fma_f32 v82, s18, v142, -v81
	v_fma_f32 v91, s18, v143, -v81
	;; [unrolled: 1-line block ×5, first 2 shown]
	s_delay_alu instid0(VALU_DEP_4) | instskip(SKIP_1) | instid1(VALU_DEP_4)
	v_dual_mul_f32 v82, 0x3fb8aa3b, v82 :: v_dual_mul_f32 v91, 0x3fb8aa3b, v91
	v_fma_f32 v96, s18, v124, -v81
	v_mul_f32_e32 v86, 0x3fb8aa3b, v86
	s_delay_alu instid0(VALU_DEP_4) | instskip(NEXT) | instid1(VALU_DEP_4)
	v_mul_f32_e32 v95, 0x3fb8aa3b, v94
	v_exp_f32_e32 v82, v82
	v_exp_f32_e32 v93, v91
	v_mul_f32_e32 v97, 0x3fb8aa3b, v96
	v_exp_f32_e32 v86, v86
	v_fma_f32 v99, s18, v127, -v81
	s_delay_alu instid0(VALU_DEP_2) | instskip(SKIP_2) | instid1(TRANS32_DEP_3)
	v_exp_f32_e32 v97, v97
	v_cndmask_b32_e64 v91, 0, v82, s6
	v_dual_add_f32 v82, v84, v92 :: v_dual_mul_f32 v85, 0x3fb8aa3b, v85
	v_cndmask_b32_e64 v94, 0, v93, s7
	v_fma_f32 v84, s18, v123, -v81
	s_delay_alu instid0(TRANS32_DEP_2) | instskip(NEXT) | instid1(VALU_DEP_4)
	v_cndmask_b32_e64 v96, 0, v86, s9
	v_add_f32_e32 v82, v82, v91
	v_exp_f32_e32 v85, v85
	v_fma_f32 v86, s18, v126, -v81
	v_mul_f32_e32 v84, 0x3fb8aa3b, v84
	v_cndmask_b32_e64 v97, 0, v97, s12
	v_add_f32_e32 v82, v82, v94
	s_delay_alu instid0(VALU_DEP_3) | instskip(SKIP_3) | instid1(VALU_DEP_2)
	v_exp_f32_e32 v84, v84
	s_waitcnt_depctr 0xfff
	v_cndmask_b32_e64 v93, 0, v85, s8
	v_fma_f32 v85, s18, v125, -v81
	v_add_f32_e32 v82, v82, v93
	v_exp_f32_e32 v95, v95
	s_delay_alu instid0(VALU_DEP_2)
	v_mul_f32_e32 v85, 0x3fb8aa3b, v85
	v_cndmask_b32_e64 v98, 0, v84, s11
	v_mul_f32_e32 v84, 0x3fb8aa3b, v99
	v_add_f32_e32 v82, v82, v96
	v_fma_f32 v99, s18, v128, -v81
	v_exp_f32_e32 v85, v85
	v_mul_f32_e32 v86, 0x3fb8aa3b, v86
	v_exp_f32_e32 v84, v84
	s_delay_alu instid0(TRANS32_DEP_3) | instskip(NEXT) | instid1(VALU_DEP_1)
	v_cndmask_b32_e64 v95, 0, v95, s10
	v_add_f32_e32 v82, v82, v95
	s_waitcnt_depctr 0xfff
	v_cndmask_b32_e64 v100, 0, v85, s13
	v_mul_f32_e32 v85, 0x3fb8aa3b, v99
	v_exp_f32_e32 v86, v86
	v_cndmask_b32_e64 v102, 0, v84, s16
	v_add_f32_e32 v82, v82, v98
	s_delay_alu instid0(VALU_DEP_3) | instskip(NEXT) | instid1(VALU_DEP_1)
	v_exp_f32_e32 v85, v85
	v_add_f32_e32 v82, v82, v97
	s_waitcnt_depctr 0xfff
	v_cndmask_b32_e64 v99, 0, v86, s15
	v_add_f32_e32 v82, v82, v100
	v_cndmask_b32_e64 v101, 0, v85, s17
	s_delay_alu instid0(VALU_DEP_2) | instskip(NEXT) | instid1(VALU_DEP_1)
	v_add_f32_e32 v82, v82, v99
	v_add_f32_e32 v82, v82, v102
	s_delay_alu instid0(VALU_DEP_1)
	v_add_f32_e32 v82, v82, v101
	ds_bpermute_b32 v83, v83, v82
	s_and_saveexec_b32 s3, s2
	s_cbranch_execz .LBB354_14
; %bb.13:
	v_mul_u32_u24_e32 v80, 0x44, v78
	s_waitcnt lgkmcnt(0)
	v_add_f32_e32 v82, v82, v83
	s_delay_alu instid0(VALU_DEP_2) | instskip(NEXT) | instid1(VALU_DEP_1)
	v_lshl_add_u32 v80, v77, 2, v80
	v_add_nc_u32_e32 v80, 0x4000, v80
	ds_store_2addr_b32 v80, v81, v82 offset1:136
.LBB354_14:
	s_or_b32 exec_lo, exec_lo, s3
	v_lshlrev_b32_e32 v80, 2, v77
	s_load_b32 s35, s[0:1], 0x94
	s_waitcnt lgkmcnt(0)
	s_barrier
	buffer_gl0_inv
	v_add_nc_u32_e32 v84, 0x4000, v80
	v_cmp_eq_u32_e32 vcc_lo, 1, v78
	v_cmp_eq_u32_e64 s3, 2, v78
	v_cmp_eq_u32_e64 s4, 3, v78
	;; [unrolled: 1-line block ×3, first 2 shown]
	ds_load_2addr_b32 v[80:81], v84 offset1:17
	ds_load_2addr_b32 v[82:83], v84 offset0:34 offset1:51
	ds_load_2addr_b32 v[103:104], v84 offset0:68 offset1:85
	;; [unrolled: 1-line block ×3, first 2 shown]
	v_cmp_eq_u32_e64 s6, 7, v78
	s_waitcnt lgkmcnt(3)
	v_max3_f32 v85, v80, 0xff7fffff, v81
	s_waitcnt lgkmcnt(2)
	s_delay_alu instid0(VALU_DEP_1) | instskip(SKIP_1) | instid1(VALU_DEP_1)
	v_max3_f32 v85, v85, v82, v83
	s_waitcnt lgkmcnt(1)
	v_max3_f32 v85, v85, v103, v104
	s_waitcnt lgkmcnt(0)
	s_delay_alu instid0(VALU_DEP_1) | instskip(NEXT) | instid1(VALU_DEP_1)
	v_max3_f32 v85, v85, v105, v106
	v_sub_f32_e32 v103, v103, v85
	ds_load_2addr_b32 v[107:108], v84 offset0:136 offset1:153
	v_sub_f32_e32 v80, v80, v85
	v_dual_sub_f32 v110, v83, v85 :: v_dual_mul_f32 v113, 0x3fb8aa3b, v103
	s_delay_alu instid0(VALU_DEP_2) | instskip(SKIP_3) | instid1(VALU_DEP_1)
	v_dual_sub_f32 v86, v81, v85 :: v_dual_mul_f32 v109, 0x3fb8aa3b, v80
	ds_load_2addr_b32 v[80:81], v84 offset0:170 offset1:187
	v_mul_f32_e32 v86, 0x3fb8aa3b, v86
	v_exp_f32_e32 v109, v109
	v_exp_f32_e32 v112, v86
	v_mul_f32_e32 v110, 0x3fb8aa3b, v110
	s_waitcnt lgkmcnt(1)
	s_waitcnt_depctr 0xfff
	v_fma_f32 v86, v109, v107, 0
	v_sub_f32_e32 v107, v104, v85
	v_sub_f32_e32 v82, v82, v85
	v_exp_f32_e32 v110, v110
	ds_load_2addr_b32 v[103:104], v84 offset0:238 offset1:255
	v_dual_fmac_f32 v86, v112, v108 :: v_dual_mul_f32 v111, 0x3fb8aa3b, v82
	ds_load_2addr_b32 v[82:83], v84 offset0:204 offset1:221
	v_dual_sub_f32 v84, v105, v85 :: v_dual_mul_f32 v105, 0x3fb8aa3b, v107
	v_exp_f32_e32 v107, v113
	v_exp_f32_e32 v111, v111
	s_waitcnt lgkmcnt(0)
	s_delay_alu instid0(VALU_DEP_1)
	v_mul_f32_e32 v84, 0x3fb8aa3b, v84
	v_exp_f32_e32 v105, v105
	s_barrier
	buffer_gl0_inv
	v_fmac_f32_e32 v86, v111, v80
	v_sub_f32_e32 v80, v106, v85
	v_exp_f32_e32 v106, v84
	s_delay_alu instid0(VALU_DEP_2) | instskip(NEXT) | instid1(VALU_DEP_2)
	v_fmac_f32_e32 v86, v110, v81
	v_mul_f32_e32 v80, 0x3fb8aa3b, v80
	s_delay_alu instid0(VALU_DEP_2) | instskip(NEXT) | instid1(VALU_DEP_2)
	v_dual_cndmask_b32 v81, v109, v112 :: v_dual_fmac_f32 v86, v107, v82
	v_exp_f32_e32 v108, v80
	s_delay_alu instid0(VALU_DEP_1) | instskip(SKIP_2) | instid1(VALU_DEP_1)
	v_fmac_f32_e32 v86, v105, v83
	s_waitcnt_depctr 0xfff
	v_fmac_f32_e32 v86, v106, v103
	v_fmac_f32_e32 v86, v108, v104
	s_delay_alu instid0(VALU_DEP_1) | instskip(NEXT) | instid1(VALU_DEP_1)
	v_add_f32_e32 v103, 0x358637bd, v86
	v_div_scale_f32 v104, null, v103, v103, 1.0
	v_div_scale_f32 v109, vcc_lo, 1.0, v103, 1.0
	s_delay_alu instid0(VALU_DEP_2) | instskip(SKIP_2) | instid1(VALU_DEP_1)
	v_rcp_f32_e32 v113, v104
	s_waitcnt_depctr 0xfff
	v_fma_f32 v80, -v104, v113, 1.0
	v_fmac_f32_e32 v113, v80, v113
	v_cndmask_b32_e64 v80, v81, v111, s3
	v_cmp_eq_u32_e64 s3, 4, v78
	v_lshl_or_b32 v81, v78, 11, v79
	s_delay_alu instid0(VALU_DEP_4) | instskip(NEXT) | instid1(VALU_DEP_4)
	v_mul_f32_e32 v111, v109, v113
	v_cndmask_b32_e64 v82, v80, v110, s4
	v_cmp_eq_u32_e64 s4, 6, v78
	s_delay_alu instid0(VALU_DEP_4) | instskip(SKIP_3) | instid1(VALU_DEP_3)
	v_lshl_or_b32 v78, v75, 4, v81
	v_lshlrev_b32_e32 v80, 2, v75
	v_fma_f32 v83, -v104, v111, v109
	v_cndmask_b32_e64 v84, v82, v107, s3
	v_or_b32_e32 v82, 1, v80
	s_delay_alu instid0(VALU_DEP_3) | instskip(NEXT) | instid1(VALU_DEP_3)
	v_fmac_f32_e32 v111, v83, v113
	v_cndmask_b32_e64 v105, v84, v105, s5
	v_or_b32_e32 v84, 2, v80
	v_or_b32_e32 v83, 3, v80
	v_cmp_eq_u32_e64 s3, 1, v80
	v_fma_f32 v104, -v104, v111, v109
	v_cndmask_b32_e64 v105, v105, v106, s4
	v_cmp_eq_u32_e64 s9, 1, v82
	v_cmp_eq_u32_e64 s10, 1, v84
	;; [unrolled: 1-line block ×3, first 2 shown]
	v_div_fmas_f32 v104, v104, v113, v111
	v_cndmask_b32_e64 v105, v105, v108, s6
	v_cmp_eq_u32_e32 vcc_lo, 2, v80
	v_cmp_eq_u32_e64 s12, 2, v82
	v_cmp_eq_u32_e64 s15, 2, v84
	v_div_fixup_f32 v103, v104, v103, 1.0
	v_cmp_eq_u32_e64 s16, 2, v83
	v_cmp_eq_u32_e64 s18, 3, v83
	;; [unrolled: 1-line block ×4, first 2 shown]
	v_mul_f32_e32 v111, v105, v103
	v_cmp_eq_u32_e64 s17, 3, v84
	v_cmp_eq_u32_e64 s22, 4, v83
	;; [unrolled: 1-line block ×4, first 2 shown]
	v_fma_mixlo_f16 v103, v111, v88, 0
	v_fma_mixlo_f16 v104, v111, v90, 0
	;; [unrolled: 1-line block ×8, first 2 shown]
	v_fma_mixhi_f16 v103, v111, v87, 0
	v_fma_mixhi_f16 v104, v111, v89, 0
	;; [unrolled: 1-line block ×8, first 2 shown]
	ds_store_b128 v78, v[103:106]
	ds_store_b128 v78, v[107:110] offset:1024
	s_waitcnt lgkmcnt(0)
	s_barrier
	buffer_gl0_inv
	ds_load_b128 v[87:90], v81
	ds_load_b128 v[91:94], v81 offset:16
	ds_load_b128 v[95:98], v81 offset:1024
	;; [unrolled: 1-line block ×3, first 2 shown]
	v_cmp_eq_u32_e64 s21, 4, v84
	v_cmp_eq_u32_e64 s24, 5, v83
	;; [unrolled: 1-line block ×13, first 2 shown]
	s_waitcnt lgkmcnt(3)
	v_lshrrev_b32_e32 v103, 16, v87
	s_waitcnt lgkmcnt(2)
	v_lshrrev_b32_e32 v107, 16, v91
	;; [unrolled: 2-line block ×4, first 2 shown]
	v_lshrrev_b32_e32 v104, 16, v88
	v_cndmask_b32_e64 v119, v87, v103, s3
	v_cndmask_b32_e64 v120, v91, v107, s3
	;; [unrolled: 1-line block ×8, first 2 shown]
	v_lshrrev_b32_e32 v108, 16, v92
	v_cndmask_b32_e64 v103, v95, v111, s3
	v_cndmask_b32_e64 v107, v99, v115, s3
	;; [unrolled: 1-line block ×5, first 2 shown]
	v_cndmask_b32_e32 v111, v119, v88, vcc_lo
	v_cndmask_b32_e64 v119, v121, v88, s12
	v_cndmask_b32_e64 v121, v123, v88, s15
	;; [unrolled: 1-line block ×4, first 2 shown]
	v_lshrrev_b32_e32 v112, 16, v96
	v_lshrrev_b32_e32 v116, 16, v100
	v_cndmask_b32_e64 v126, v99, v115, s9
	v_cndmask_b32_e64 v128, v99, v115, s10
	;; [unrolled: 1-line block ×3, first 2 shown]
	v_cndmask_b32_e32 v115, v120, v92, vcc_lo
	v_cndmask_b32_e64 v120, v122, v92, s12
	v_cndmask_b32_e64 v122, v124, v92, s15
	v_cndmask_b32_e32 v91, v103, v96, vcc_lo
	v_cndmask_b32_e32 v92, v107, v100, vcc_lo
	v_cndmask_b32_e64 v103, v125, v96, s12
	v_cndmask_b32_e64 v87, v87, v104, s18
	v_cndmask_b32_e64 v88, v88, v108, s18
	v_lshrrev_b32_e32 v105, 16, v89
	v_lshrrev_b32_e32 v109, 16, v93
	v_cndmask_b32_e64 v107, v127, v96, s15
	v_cndmask_b32_e64 v95, v95, v96, s16
	;; [unrolled: 1-line block ×14, first 2 shown]
	v_lshrrev_b32_e32 v113, 16, v97
	v_cndmask_b32_e64 v99, v99, v89, s5
	v_cndmask_b32_e64 v104, v111, v93, s5
	;; [unrolled: 1-line block ×11, first 2 shown]
	v_lshrrev_b32_e32 v106, 16, v90
	v_lshrrev_b32_e32 v110, 16, v94
	v_cndmask_b32_e64 v93, v99, v105, s6
	v_cndmask_b32_e64 v99, v104, v109, s6
	;; [unrolled: 1-line block ×9, first 2 shown]
	v_lshrrev_b32_e32 v114, 16, v98
	v_cndmask_b32_e64 v89, v89, v113, s6
	v_cndmask_b32_e64 v93, v93, v90, s7
	;; [unrolled: 1-line block ×19, first 2 shown]
	v_perm_b32 v90, v88, v87, 0x5040100
	v_cndmask_b32_e64 v87, v126, v100, s12
	v_cndmask_b32_e64 v105, v89, v114, s8
	v_perm_b32 v89, v103, v99, 0x5040100
	v_perm_b32 v88, v104, v94, 0x5040100
	v_cndmask_b32_e64 v94, v107, v112, s17
	v_cndmask_b32_e64 v95, v95, v112, s18
	;; [unrolled: 1-line block ×5, first 2 shown]
	v_lshrrev_b32_e32 v117, 16, v101
	v_cndmask_b32_e64 v94, v94, v97, s21
	v_cndmask_b32_e64 v95, v95, v97, s22
	;; [unrolled: 1-line block ×11, first 2 shown]
	v_lshrrev_b32_e32 v118, 16, v102
	v_cndmask_b32_e64 v91, v91, v102, s7
	v_cndmask_b32_e64 v94, v94, v98, s26
	;; [unrolled: 1-line block ×12, first 2 shown]
	v_perm_b32 v87, v93, v92, 0x5040100
	v_perm_b32 v94, v95, v94, 0x5040100
	;; [unrolled: 1-line block ×5, first 2 shown]
	s_mul_i32 s7, s33, 9
	s_mov_b32 s3, exec_lo
	ds_store_b128 v78, v[87:90]
	ds_store_b128 v78, v[91:94] offset:1024
	v_cmpx_gt_u32_e32 9, v0
	s_cbranch_execz .LBB354_16
; %bb.15:
	s_mul_i32 s4, s7, s34
	s_load_b128 s[8:11], s[0:1], 0x58
	v_add3_u32 v77, s4, s31, v77
	s_delay_alu instid0(VALU_DEP_1) | instskip(NEXT) | instid1(VALU_DEP_1)
	v_mad_u64_u32 v[87:88], null, v77, s35, s[14:15]
	v_ashrrev_i32_e32 v88, 31, v87
	s_delay_alu instid0(VALU_DEP_1) | instskip(SKIP_1) | instid1(VALU_DEP_1)
	v_lshlrev_b64 v[87:88], 2, v[87:88]
	s_waitcnt lgkmcnt(0)
	v_add_co_u32 v89, vcc_lo, s10, v87
	s_delay_alu instid0(VALU_DEP_2)
	v_add_co_ci_u32_e32 v90, vcc_lo, s11, v88, vcc_lo
	v_add_co_u32 v87, vcc_lo, s8, v87
	v_add_co_ci_u32_e32 v88, vcc_lo, s9, v88, vcc_lo
	global_store_b32 v[89:90], v85, off
	global_store_b32 v[87:88], v86, off
.LBB354_16:
	s_or_b32 exec_lo, exec_lo, s3
	s_waitcnt lgkmcnt(0)
	s_waitcnt_vscnt null, 0x0
	s_barrier
	buffer_gl0_inv
	ds_load_b128 v[93:96], v79
	ds_load_b128 v[97:100], v79 offset:16
	ds_load_b128 v[105:108], v79 offset:1040
	;; [unrolled: 1-line block ×5, first 2 shown]
	v_cmp_eq_u32_e32 vcc_lo, 1, v84
	v_mov_b32_e32 v85, 0
	ds_load_b128 v[121:124], v79 offset:3088
	ds_load_b128 v[117:120], v79 offset:3072
	;; [unrolled: 1-line block ×4, first 2 shown]
	v_cmp_eq_u32_e64 s3, 1, v80
	v_cmp_eq_u32_e64 s4, 1, v83
	;; [unrolled: 1-line block ×3, first 2 shown]
	v_mov_b32_e32 v86, v85
	v_mov_b32_e32 v87, v85
	;; [unrolled: 1-line block ×7, first 2 shown]
	v_cmp_eq_u32_e64 s6, 2, v80
	s_waitcnt lgkmcnt(8)
	s_delay_alu instid0(VALU_DEP_2)
	v_wmma_f32_16x16x16_f16 v[85:92], v[65:72], v[93:100], v[85:92]
	ds_load_b128 v[69:72], v79 offset:5136
	ds_load_b128 v[65:68], v79 offset:5120
	;; [unrolled: 1-line block ×4, first 2 shown]
	s_waitcnt lgkmcnt(10)
	v_wmma_f32_16x16x16_f16 v[85:92], v[57:64], v[101:108], v[85:92]
	s_waitcnt lgkmcnt(8)
	s_delay_alu instid0(VALU_DEP_1)
	v_wmma_f32_16x16x16_f16 v[85:92], v[57:64], v[109:116], v[85:92]
	ds_load_b128 v[61:64], v79 offset:7184
	ds_load_b128 v[57:60], v79 offset:7168
	ds_load_b128 v[105:108], v79 offset:8208
	ds_load_b128 v[101:104], v79 offset:8192
	s_waitcnt lgkmcnt(10)
	v_wmma_f32_16x16x16_f16 v[85:92], v[49:56], v[117:124], v[85:92]
	s_waitcnt lgkmcnt(8)
	s_delay_alu instid0(VALU_DEP_1)
	v_wmma_f32_16x16x16_f16 v[85:92], v[49:56], v[125:132], v[85:92]
	ds_load_b128 v[53:56], v79 offset:9232
	ds_load_b128 v[49:52], v79 offset:9216
	s_waitcnt lgkmcnt(8)
	v_wmma_f32_16x16x16_f16 v[85:92], v[41:48], v[65:72], v[85:92]
	ds_load_b128 v[69:72], v79 offset:10256
	ds_load_b128 v[65:68], v79 offset:10240
	s_waitcnt lgkmcnt(8)
	;; [unrolled: 4-line block ×7, first 2 shown]
	s_barrier
	buffer_gl0_inv
	v_wmma_f32_16x16x16_f16 v[85:92], v[33:40], v[41:48], v[85:92]
	s_delay_alu instid0(VALU_DEP_1) | instskip(NEXT) | instid1(VALU_DEP_1)
	v_wmma_f32_16x16x16_f16 v[85:92], v[33:40], v[57:64], v[85:92]
	v_wmma_f32_16x16x16_f16 v[85:92], v[25:32], v[9:16], v[85:92]
	s_delay_alu instid0(VALU_DEP_1) | instskip(NEXT) | instid1(VALU_DEP_1)
	v_wmma_f32_16x16x16_f16 v[85:92], v[25:32], v[49:56], v[85:92]
	v_wmma_f32_16x16x16_f16 v[85:92], v[17:24], v[1:8], v[85:92]
	s_delay_alu instid0(VALU_DEP_1) | instskip(NEXT) | instid1(VALU_DEP_2)
	v_cvt_f16_f32_e32 v1, v85
	v_cvt_f16_f32_e32 v2, v86
	s_delay_alu instid0(VALU_DEP_3) | instskip(NEXT) | instid1(VALU_DEP_4)
	v_cvt_f16_f32_e32 v3, v87
	v_cvt_f16_f32_e32 v4, v88
	;; [unrolled: 1-line block ×6, first 2 shown]
	v_pack_b32_f16 v1, v1, v2
	v_pack_b32_f16 v2, v3, v4
	;; [unrolled: 1-line block ×3, first 2 shown]
	s_delay_alu instid0(VALU_DEP_4)
	v_pack_b32_f16 v4, v7, v8
	ds_store_b128 v78, v[1:4]
	s_waitcnt lgkmcnt(0)
	s_barrier
	buffer_gl0_inv
	ds_load_b128 v[1:4], v81
	ds_load_b128 v[5:8], v81 offset:16
	s_waitcnt lgkmcnt(1)
	v_lshrrev_b32_e32 v9, 16, v1
	s_waitcnt lgkmcnt(0)
	v_lshrrev_b32_e32 v13, 16, v5
	v_lshrrev_b32_e32 v15, 16, v7
	;; [unrolled: 1-line block ×4, first 2 shown]
	v_cndmask_b32_e64 v17, v1, v9, s3
	v_cndmask_b32_e64 v18, v5, v13, s3
	;; [unrolled: 1-line block ×3, first 2 shown]
	v_cmp_eq_u32_e64 s3, 2, v82
	v_cndmask_b32_e64 v20, v5, v13, s5
	v_cndmask_b32_e32 v21, v1, v9, vcc_lo
	v_cndmask_b32_e32 v22, v5, v13, vcc_lo
	v_cndmask_b32_e64 v1, v1, v9, s4
	v_cndmask_b32_e64 v5, v5, v13, s4
	v_cmp_eq_u32_e32 vcc_lo, 2, v84
	v_cmp_eq_u32_e64 s4, 2, v83
	v_cndmask_b32_e64 v9, v17, v2, s6
	v_cndmask_b32_e64 v13, v18, v6, s6
	v_cndmask_b32_e64 v17, v19, v2, s3
	v_cndmask_b32_e64 v18, v20, v6, s3
	v_cndmask_b32_e32 v19, v21, v2, vcc_lo
	v_cmp_eq_u32_e64 s3, 3, v84
	v_cndmask_b32_e32 v20, v22, v6, vcc_lo
	v_cndmask_b32_e64 v1, v1, v2, s4
	v_cmp_eq_u32_e32 vcc_lo, 3, v83
	v_cmp_eq_u32_e64 s5, 3, v80
	v_cndmask_b32_e64 v2, v5, v6, s4
	v_cmp_eq_u32_e64 s4, 3, v82
	v_lshrrev_b32_e32 v16, 16, v8
	v_cmp_eq_u32_e64 s6, 4, v80
	v_cndmask_b32_e64 v5, v9, v10, s5
	v_cndmask_b32_e64 v6, v13, v14, s5
	;; [unrolled: 1-line block ×3, first 2 shown]
	v_cmp_eq_u32_e64 s5, 4, v82
	v_cndmask_b32_e64 v13, v18, v14, s4
	v_cndmask_b32_e64 v17, v19, v10, s3
	v_cndmask_b32_e64 v18, v20, v14, s3
	v_cndmask_b32_e32 v1, v1, v10, vcc_lo
	v_cndmask_b32_e32 v2, v2, v14, vcc_lo
	v_cmp_eq_u32_e32 vcc_lo, 4, v84
	v_cmp_eq_u32_e64 s4, 4, v83
	v_lshrrev_b32_e32 v11, 16, v3
	v_cndmask_b32_e64 v5, v5, v3, s6
	v_cndmask_b32_e64 v6, v6, v7, s6
	;; [unrolled: 1-line block ×4, first 2 shown]
	v_cndmask_b32_e32 v13, v17, v3, vcc_lo
	v_cmp_eq_u32_e64 s3, 5, v84
	v_cndmask_b32_e32 v14, v18, v7, vcc_lo
	v_cndmask_b32_e64 v1, v1, v3, s4
	v_cmp_eq_u32_e32 vcc_lo, 5, v83
	v_cmp_eq_u32_e64 s5, 5, v80
	v_cndmask_b32_e64 v2, v2, v7, s4
	v_cmp_eq_u32_e64 s4, 5, v82
	v_cmp_eq_u32_e64 s6, 6, v80
	v_cndmask_b32_e32 v1, v1, v11, vcc_lo
	v_cndmask_b32_e64 v3, v5, v11, s5
	v_cndmask_b32_e64 v5, v6, v15, s5
	;; [unrolled: 1-line block ×3, first 2 shown]
	v_cmp_eq_u32_e64 s5, 6, v82
	v_cndmask_b32_e64 v7, v10, v15, s4
	v_cndmask_b32_e64 v9, v13, v11, s3
	;; [unrolled: 1-line block ×3, first 2 shown]
	v_cndmask_b32_e32 v2, v2, v15, vcc_lo
	v_cmp_eq_u32_e32 vcc_lo, 6, v84
	v_cmp_eq_u32_e64 s3, 6, v83
	v_lshrrev_b32_e32 v12, 16, v4
	v_cndmask_b32_e64 v3, v3, v4, s6
	v_cndmask_b32_e64 v5, v5, v8, s6
	;; [unrolled: 1-line block ×4, first 2 shown]
	v_cndmask_b32_e32 v9, v9, v4, vcc_lo
	v_cmp_eq_u32_e64 s4, 7, v84
	v_cndmask_b32_e32 v10, v10, v8, vcc_lo
	v_cndmask_b32_e64 v1, v1, v4, s3
	v_cmp_eq_u32_e32 vcc_lo, 7, v83
	v_cndmask_b32_e64 v2, v2, v8, s3
	v_cmp_eq_u32_e64 s3, 7, v80
	v_cmp_eq_u32_e64 s5, 7, v82
	v_cndmask_b32_e32 v1, v1, v12, vcc_lo
	s_delay_alu instid0(VALU_DEP_4) | instskip(NEXT) | instid1(VALU_DEP_4)
	v_cndmask_b32_e32 v2, v2, v16, vcc_lo
	v_cndmask_b32_e64 v8, v3, v12, s3
	s_delay_alu instid0(VALU_DEP_4)
	v_cndmask_b32_e64 v6, v6, v12, s5
	v_cndmask_b32_e64 v3, v9, v12, s4
	;; [unrolled: 1-line block ×5, first 2 shown]
	v_perm_b32 v4, v2, v1, 0x5040100
	s_mov_b32 s3, exec_lo
	v_perm_b32 v3, v9, v3, 0x5040100
	v_perm_b32 v2, v7, v6, 0x5040100
	;; [unrolled: 1-line block ×3, first 2 shown]
	ds_store_b128 v78, v[1:4]
	s_waitcnt lgkmcnt(0)
	s_barrier
	buffer_gl0_inv
	v_cmpx_gt_u32_e32 32, v0
	s_cbranch_execz .LBB354_2
; %bb.17:
	s_load_b64 s[4:5], s[0:1], 0x68
	v_lshlrev_b32_e32 v0, 10, v0
	v_lshlrev_b32_e32 v1, 4, v76
	s_lshl_b32 s0, s35, 7
	v_add_nc_u32_e32 v2, s31, v75
	s_mul_i32 s1, s0, s34
	s_delay_alu instid0(SALU_CYCLE_1) | instskip(SKIP_1) | instid1(VALU_DEP_2)
	s_mul_i32 s6, s1, s7
	v_and_or_b32 v0, 0x3800, v0, v1
	v_mul_lo_u32 v1, v2, s0
	s_ashr_i32 s7, s6, 31
	v_add_nc_u32_e32 v3, 2, v2
	s_lshl_b64 s[6:7], s[6:7], 1
	v_add_nc_u32_e32 v4, 4, v2
	v_add_nc_u32_e32 v5, 6, v2
	v_lshl_or_b32 v15, v75, 6, v0
	v_mul_lo_u32 v3, v3, s0
	v_ashrrev_i32_e32 v2, 31, v1
	v_mul_lo_u32 v19, v4, s0
	v_mul_lo_u32 v21, v5, s0
	s_waitcnt lgkmcnt(0)
	s_add_u32 s1, s4, s6
	s_addc_u32 s3, s5, s7
	s_lshl_b32 s4, s14, 7
	v_lshlrev_b64 v[5:6], 1, v[1:2]
	s_ashr_i32 s5, s4, 31
	v_ashrrev_i32_e32 v4, 31, v3
	s_lshl_b64 s[4:5], s[4:5], 1
	v_ashrrev_i32_e32 v20, 31, v19
	s_add_u32 s1, s1, s4
	s_addc_u32 s3, s3, s5
	v_add_co_u32 v1, vcc_lo, s1, v73
	v_add_co_ci_u32_e32 v2, vcc_lo, s3, v74, vcc_lo
	v_lshlrev_b64 v[25:26], 1, v[3:4]
	s_delay_alu instid0(VALU_DEP_3) | instskip(NEXT) | instid1(VALU_DEP_3)
	v_add_co_u32 v23, vcc_lo, v1, v5
	v_add_co_ci_u32_e32 v24, vcc_lo, v2, v6, vcc_lo
	ds_load_b128 v[3:6], v15
	ds_load_b128 v[7:10], v15 offset:128
	ds_load_b128 v[11:14], v15 offset:256
	;; [unrolled: 1-line block ×3, first 2 shown]
	v_ashrrev_i32_e32 v22, 31, v21
	v_lshlrev_b64 v[19:20], 1, v[19:20]
	v_add_co_u32 v25, vcc_lo, v1, v25
	v_add_co_ci_u32_e32 v26, vcc_lo, v2, v26, vcc_lo
	s_delay_alu instid0(VALU_DEP_4) | instskip(NEXT) | instid1(VALU_DEP_4)
	v_lshlrev_b64 v[21:22], 1, v[21:22]
	v_add_co_u32 v19, vcc_lo, v1, v19
	v_add_co_ci_u32_e32 v20, vcc_lo, v2, v20, vcc_lo
	s_delay_alu instid0(VALU_DEP_3) | instskip(NEXT) | instid1(VALU_DEP_4)
	v_add_co_u32 v21, vcc_lo, v1, v21
	v_add_co_ci_u32_e32 v22, vcc_lo, v2, v22, vcc_lo
	s_waitcnt lgkmcnt(3)
	global_store_b128 v[23:24], v[3:6], off
	s_waitcnt lgkmcnt(2)
	global_store_b128 v[25:26], v[7:10], off
	s_waitcnt lgkmcnt(1)
	global_store_b128 v[19:20], v[11:14], off
	s_waitcnt lgkmcnt(0)
	global_store_b128 v[21:22], v[15:18], off
	s_and_b32 exec_lo, exec_lo, s2
	s_cbranch_execz .LBB354_2
; %bb.18:
	ds_load_b128 v[3:6], v0 offset:512
	s_add_i32 s1, s31, 8
	s_delay_alu instid0(SALU_CYCLE_1) | instskip(NEXT) | instid1(SALU_CYCLE_1)
	s_mul_i32 s0, s1, s0
	s_ashr_i32 s1, s0, 31
	s_delay_alu instid0(SALU_CYCLE_1) | instskip(NEXT) | instid1(SALU_CYCLE_1)
	s_lshl_b64 s[0:1], s[0:1], 1
	v_add_co_u32 v0, vcc_lo, v1, s0
	v_add_co_ci_u32_e32 v1, vcc_lo, s1, v2, vcc_lo
	s_waitcnt lgkmcnt(0)
	global_store_b128 v[0:1], v[3:6], off
	s_nop 0
	s_sendmsg sendmsg(MSG_DEALLOC_VGPRS)
	s_endpgm
	.section	.rodata,"a",@progbits
	.p2align	6, 0x0
	.amdhsa_kernel _Z39paged_attention_ll4mi_QKV_mfma16_kernelIDF16_DF16_LN4vllm18Fp8KVCacheDataTypeE0EDF16_Li32ELi128ELi256ELb1ELi9EL8MFMAType0EEvPKT_PKT0_S8_ifPKiSA_SA_iPKfiiiPfSD_PS3_PT2_iSC_SC_
		.amdhsa_group_segment_fixed_size 17472
		.amdhsa_private_segment_fixed_size 0
		.amdhsa_kernarg_size 400
		.amdhsa_user_sgpr_count 13
		.amdhsa_user_sgpr_dispatch_ptr 0
		.amdhsa_user_sgpr_queue_ptr 0
		.amdhsa_user_sgpr_kernarg_segment_ptr 1
		.amdhsa_user_sgpr_dispatch_id 0
		.amdhsa_user_sgpr_private_segment_size 0
		.amdhsa_wavefront_size32 1
		.amdhsa_uses_dynamic_stack 0
		.amdhsa_enable_private_segment 0
		.amdhsa_system_sgpr_workgroup_id_x 1
		.amdhsa_system_sgpr_workgroup_id_y 1
		.amdhsa_system_sgpr_workgroup_id_z 1
		.amdhsa_system_sgpr_workgroup_info 0
		.amdhsa_system_vgpr_workitem_id 0
		.amdhsa_next_free_vgpr 172
		.amdhsa_next_free_sgpr 39
		.amdhsa_reserve_vcc 1
		.amdhsa_float_round_mode_32 0
		.amdhsa_float_round_mode_16_64 0
		.amdhsa_float_denorm_mode_32 3
		.amdhsa_float_denorm_mode_16_64 3
		.amdhsa_dx10_clamp 1
		.amdhsa_ieee_mode 1
		.amdhsa_fp16_overflow 0
		.amdhsa_workgroup_processor_mode 1
		.amdhsa_memory_ordered 1
		.amdhsa_forward_progress 0
		.amdhsa_shared_vgpr_count 0
		.amdhsa_exception_fp_ieee_invalid_op 0
		.amdhsa_exception_fp_denorm_src 0
		.amdhsa_exception_fp_ieee_div_zero 0
		.amdhsa_exception_fp_ieee_overflow 0
		.amdhsa_exception_fp_ieee_underflow 0
		.amdhsa_exception_fp_ieee_inexact 0
		.amdhsa_exception_int_div_zero 0
	.end_amdhsa_kernel
	.section	.text._Z39paged_attention_ll4mi_QKV_mfma16_kernelIDF16_DF16_LN4vllm18Fp8KVCacheDataTypeE0EDF16_Li32ELi128ELi256ELb1ELi9EL8MFMAType0EEvPKT_PKT0_S8_ifPKiSA_SA_iPKfiiiPfSD_PS3_PT2_iSC_SC_,"axG",@progbits,_Z39paged_attention_ll4mi_QKV_mfma16_kernelIDF16_DF16_LN4vllm18Fp8KVCacheDataTypeE0EDF16_Li32ELi128ELi256ELb1ELi9EL8MFMAType0EEvPKT_PKT0_S8_ifPKiSA_SA_iPKfiiiPfSD_PS3_PT2_iSC_SC_,comdat
.Lfunc_end354:
	.size	_Z39paged_attention_ll4mi_QKV_mfma16_kernelIDF16_DF16_LN4vllm18Fp8KVCacheDataTypeE0EDF16_Li32ELi128ELi256ELb1ELi9EL8MFMAType0EEvPKT_PKT0_S8_ifPKiSA_SA_iPKfiiiPfSD_PS3_PT2_iSC_SC_, .Lfunc_end354-_Z39paged_attention_ll4mi_QKV_mfma16_kernelIDF16_DF16_LN4vllm18Fp8KVCacheDataTypeE0EDF16_Li32ELi128ELi256ELb1ELi9EL8MFMAType0EEvPKT_PKT0_S8_ifPKiSA_SA_iPKfiiiPfSD_PS3_PT2_iSC_SC_
                                        ; -- End function
	.section	.AMDGPU.csdata,"",@progbits
; Kernel info:
; codeLenInByte = 7592
; NumSgprs: 41
; NumVgprs: 172
; ScratchSize: 0
; MemoryBound: 0
; FloatMode: 240
; IeeeMode: 1
; LDSByteSize: 17472 bytes/workgroup (compile time only)
; SGPRBlocks: 5
; VGPRBlocks: 21
; NumSGPRsForWavesPerEU: 41
; NumVGPRsForWavesPerEU: 172
; Occupancy: 8
; WaveLimiterHint : 1
; COMPUTE_PGM_RSRC2:SCRATCH_EN: 0
; COMPUTE_PGM_RSRC2:USER_SGPR: 13
; COMPUTE_PGM_RSRC2:TRAP_HANDLER: 0
; COMPUTE_PGM_RSRC2:TGID_X_EN: 1
; COMPUTE_PGM_RSRC2:TGID_Y_EN: 1
; COMPUTE_PGM_RSRC2:TGID_Z_EN: 1
; COMPUTE_PGM_RSRC2:TIDIG_COMP_CNT: 0
	.section	.text._Z39paged_attention_ll4mi_QKV_mfma16_kernelIDF16_DF16_LN4vllm18Fp8KVCacheDataTypeE0EDF16_Li32ELi128ELi256ELb1ELi10EL8MFMAType0EEvPKT_PKT0_S8_ifPKiSA_SA_iPKfiiiPfSD_PS3_PT2_iSC_SC_,"axG",@progbits,_Z39paged_attention_ll4mi_QKV_mfma16_kernelIDF16_DF16_LN4vllm18Fp8KVCacheDataTypeE0EDF16_Li32ELi128ELi256ELb1ELi10EL8MFMAType0EEvPKT_PKT0_S8_ifPKiSA_SA_iPKfiiiPfSD_PS3_PT2_iSC_SC_,comdat
	.protected	_Z39paged_attention_ll4mi_QKV_mfma16_kernelIDF16_DF16_LN4vllm18Fp8KVCacheDataTypeE0EDF16_Li32ELi128ELi256ELb1ELi10EL8MFMAType0EEvPKT_PKT0_S8_ifPKiSA_SA_iPKfiiiPfSD_PS3_PT2_iSC_SC_ ; -- Begin function _Z39paged_attention_ll4mi_QKV_mfma16_kernelIDF16_DF16_LN4vllm18Fp8KVCacheDataTypeE0EDF16_Li32ELi128ELi256ELb1ELi10EL8MFMAType0EEvPKT_PKT0_S8_ifPKiSA_SA_iPKfiiiPfSD_PS3_PT2_iSC_SC_
	.globl	_Z39paged_attention_ll4mi_QKV_mfma16_kernelIDF16_DF16_LN4vllm18Fp8KVCacheDataTypeE0EDF16_Li32ELi128ELi256ELb1ELi10EL8MFMAType0EEvPKT_PKT0_S8_ifPKiSA_SA_iPKfiiiPfSD_PS3_PT2_iSC_SC_
	.p2align	8
	.type	_Z39paged_attention_ll4mi_QKV_mfma16_kernelIDF16_DF16_LN4vllm18Fp8KVCacheDataTypeE0EDF16_Li32ELi128ELi256ELb1ELi10EL8MFMAType0EEvPKT_PKT0_S8_ifPKiSA_SA_iPKfiiiPfSD_PS3_PT2_iSC_SC_,@function
_Z39paged_attention_ll4mi_QKV_mfma16_kernelIDF16_DF16_LN4vllm18Fp8KVCacheDataTypeE0EDF16_Li32ELi128ELi256ELb1ELi10EL8MFMAType0EEvPKT_PKT0_S8_ifPKiSA_SA_iPKfiiiPfSD_PS3_PT2_iSC_SC_: ; @_Z39paged_attention_ll4mi_QKV_mfma16_kernelIDF16_DF16_LN4vllm18Fp8KVCacheDataTypeE0EDF16_Li32ELi128ELi256ELb1ELi10EL8MFMAType0EEvPKT_PKT0_S8_ifPKiSA_SA_iPKfiiiPfSD_PS3_PT2_iSC_SC_
; %bb.0:
	s_load_b64 s[2:3], s[0:1], 0x30
	s_mov_b32 s30, s13
	s_waitcnt lgkmcnt(0)
	s_cmp_lg_u64 s[2:3], 0
	s_cselect_b32 s6, -1, 0
	s_ashr_i32 s31, s13, 31
	s_cmp_eq_u64 s[2:3], 0
	s_cbranch_scc1 .LBB355_3
; %bb.1:
	s_lshl_b64 s[4:5], s[30:31], 2
	s_delay_alu instid0(SALU_CYCLE_1) | instskip(SKIP_4) | instid1(SALU_CYCLE_1)
	s_add_u32 s4, s2, s4
	s_addc_u32 s5, s3, s5
	s_load_b64 s[4:5], s[4:5], 0x0
	s_waitcnt lgkmcnt(0)
	s_sub_i32 s4, s5, s4
	s_cmp_eq_u32 s4, 1
	s_cselect_b32 s4, -1, 0
	s_delay_alu instid0(SALU_CYCLE_1)
	s_and_not1_b32 vcc_lo, exec_lo, s4
	s_cbranch_vccz .LBB355_4
.LBB355_2:
	s_endpgm
.LBB355_3:
.LBB355_4:
	s_load_b64 s[8:9], s[0:1], 0x28
	s_lshl_b64 s[4:5], s[30:31], 2
	s_waitcnt lgkmcnt(0)
	s_add_u32 s8, s8, s4
	s_addc_u32 s9, s9, s5
	s_lshl_b32 s12, s14, 8
	s_load_b32 s17, s[8:9], 0x0
	s_waitcnt lgkmcnt(0)
	s_cmp_ge_i32 s12, s17
	s_cbranch_scc1 .LBB355_2
; %bb.5:
	s_and_not1_b32 vcc_lo, exec_lo, s6
	s_cbranch_vccnz .LBB355_7
; %bb.6:
	s_add_u32 s2, s2, s4
	s_addc_u32 s3, s3, s5
	s_load_b32 s13, s[2:3], 0x0
	s_branch .LBB355_8
.LBB355_7:
	s_mov_b32 s13, s30
.LBB355_8:
	s_clause 0x2
	s_load_b128 s[8:11], s[0:1], 0x8
	s_load_b64 s[2:3], s[0:1], 0x20
	s_load_b128 s[4:7], s[0:1], 0x48
	v_and_b32_e32 v77, 15, v0
	s_waitcnt lgkmcnt(0)
	s_mov_b32 s7, exec_lo
	s_delay_alu instid0(VALU_DEP_1)
	v_lshlrev_b32_e32 v1, 3, v77
	v_cmpx_lt_u32_e32 0x9f, v0
	s_xor_b32 s7, exec_lo, s7
; %bb.9:
	v_mov_b32_e32 v2, 0
; %bb.10:
	s_or_saveexec_b32 s7, s7
	v_lshrrev_b32_e32 v78, 5, v0
	v_and_b32_e32 v80, 31, v0
	v_and_b32_e32 v76, 1, v0
	v_bfe_u32 v75, v0, 4, 1
	s_mul_i32 s31, s15, 10
	s_xor_b32 exec_lo, exec_lo, s7
	s_cbranch_execz .LBB355_12
; %bb.11:
	s_load_b64 s[18:19], s[0:1], 0x0
	v_lshl_or_b32 v7, v78, 1, v75
	s_mul_hi_i32 s21, s13, s4
	s_mul_i32 s20, s13, s4
	v_lshlrev_b32_e32 v4, 1, v1
	s_lshl_b64 s[20:21], s[20:21], 1
	v_add_lshl_u32 v2, v7, s31, 7
	v_lshlrev_b32_e32 v7, 6, v7
	v_lshlrev_b32_e32 v8, 10, v76
	s_delay_alu instid0(VALU_DEP_3) | instskip(NEXT) | instid1(VALU_DEP_1)
	v_ashrrev_i32_e32 v3, 31, v2
	v_lshlrev_b64 v[2:3], 1, v[2:3]
	s_waitcnt lgkmcnt(0)
	s_add_u32 s4, s18, s20
	s_addc_u32 s13, s19, s21
	s_delay_alu instid0(VALU_DEP_1) | instskip(NEXT) | instid1(VALU_DEP_2)
	v_add_co_u32 v2, vcc_lo, s4, v2
	v_add_co_ci_u32_e32 v3, vcc_lo, s13, v3, vcc_lo
	s_delay_alu instid0(VALU_DEP_2) | instskip(NEXT) | instid1(VALU_DEP_2)
	v_add_co_u32 v2, vcc_lo, v2, v4
	v_add_co_ci_u32_e32 v3, vcc_lo, 0, v3, vcc_lo
	global_load_b128 v[3:6], v[2:3], off
	v_lshlrev_b32_e32 v2, 10, v77
	s_delay_alu instid0(VALU_DEP_1) | instskip(NEXT) | instid1(VALU_DEP_1)
	v_and_b32_e32 v2, 0x3800, v2
	v_or3_b32 v7, v2, v8, v7
	v_mov_b32_e32 v2, 0
	s_waitcnt vmcnt(0)
	ds_store_b128 v7, v[3:6]
.LBB355_12:
	s_or_b32 exec_lo, exec_lo, s7
	v_and_b32_e32 v3, 0xef, v0
	s_add_i32 s4, s17, 31
	s_clause 0x1
	s_load_b32 s7, s[0:1], 0x38
	s_load_b32 s33, s[0:1], 0x98
	s_ashr_i32 s13, s4, 31
	v_add_nc_u32_e32 v3, s12, v3
	s_lshr_b32 s13, s13, 27
	s_load_b32 s18, s[0:1], 0x1c
	s_add_i32 s4, s4, s13
	s_waitcnt lgkmcnt(0)
	v_ashrrev_i32_e32 v4, 31, v3
	v_cmp_gt_i32_e32 vcc_lo, s17, v3
	s_ashr_i32 s4, s4, 5
	s_barrier
	s_add_i32 s4, s4, -1
	v_lshrrev_b32_e32 v5, 27, v4
	v_or_b32_e32 v4, 16, v3
	buffer_gl0_inv
	v_lshlrev_b64 v[73:74], 1, v[1:2]
	v_lshlrev_b32_e32 v79, 6, v77
	v_add_nc_u32_e32 v6, v3, v5
	v_add_nc_u32_e32 v5, v4, v5
	s_mul_i32 s20, s30, s7
	s_delay_alu instid0(SALU_CYCLE_1) | instskip(NEXT) | instid1(VALU_DEP_2)
	s_ashr_i32 s21, s20, 31
	v_ashrrev_i32_e32 v6, 5, v6
	s_delay_alu instid0(VALU_DEP_2) | instskip(SKIP_1) | instid1(SALU_CYCLE_1)
	v_ashrrev_i32_e32 v5, 5, v5
	s_lshl_b64 s[20:21], s[20:21], 2
	s_add_u32 s13, s2, s20
	s_delay_alu instid0(VALU_DEP_2) | instskip(SKIP_3) | instid1(SALU_CYCLE_1)
	v_cndmask_b32_e32 v3, s4, v6, vcc_lo
	v_cmp_gt_i32_e32 vcc_lo, s17, v4
	s_addc_u32 s16, s3, s21
	s_mul_i32 s2, s15, s6
	s_ashr_i32 s3, s2, 31
	v_cndmask_b32_e32 v5, s4, v5, vcc_lo
	v_ashrrev_i32_e32 v4, 31, v3
	s_lshl_b64 s[2:3], s[2:3], 1
	s_delay_alu instid0(SALU_CYCLE_1) | instskip(NEXT) | instid1(VALU_DEP_2)
	s_add_u32 s15, s8, s2
	v_ashrrev_i32_e32 v6, 31, v5
	s_delay_alu instid0(VALU_DEP_2) | instskip(SKIP_2) | instid1(VALU_DEP_2)
	v_lshlrev_b64 v[3:4], 2, v[3:4]
	s_addc_u32 s19, s9, s3
	s_lshl_b32 s6, s14, 3
	v_lshlrev_b64 v[5:6], 2, v[5:6]
	s_ashr_i32 s7, s6, 31
	s_delay_alu instid0(VALU_DEP_2) | instskip(SKIP_1) | instid1(VALU_DEP_3)
	v_add_co_u32 v3, vcc_lo, s13, v3
	v_add_co_ci_u32_e32 v4, vcc_lo, s16, v4, vcc_lo
	v_add_co_u32 v5, vcc_lo, s13, v5
	s_delay_alu instid0(VALU_DEP_4)
	v_add_co_ci_u32_e32 v6, vcc_lo, s16, v6, vcc_lo
	s_lshl_b64 s[6:7], s[6:7], 2
	s_clause 0x1
	global_load_b32 v7, v[3:4], off
	global_load_b32 v8, v[5:6], off
	s_add_u32 s6, s13, s6
	s_addc_u32 s7, s16, s7
	s_or_b32 s8, s12, 32
	s_delay_alu instid0(SALU_CYCLE_1) | instskip(SKIP_2) | instid1(SALU_CYCLE_1)
	s_ashr_i32 s9, s8, 5
	s_cmp_lt_i32 s8, s17
	s_cselect_b32 s8, s9, s4
	s_ashr_i32 s9, s8, 31
	s_delay_alu instid0(SALU_CYCLE_1) | instskip(NEXT) | instid1(SALU_CYCLE_1)
	s_lshl_b64 s[8:9], s[8:9], 2
	s_add_u32 s8, s13, s8
	s_addc_u32 s9, s16, s9
	s_or_b32 s20, s12, 64
	s_delay_alu instid0(SALU_CYCLE_1) | instskip(SKIP_2) | instid1(SALU_CYCLE_1)
	s_ashr_i32 s21, s20, 5
	s_cmp_lt_i32 s20, s17
	s_cselect_b32 s20, s21, s4
	s_ashr_i32 s21, s20, 31
	s_delay_alu instid0(SALU_CYCLE_1) | instskip(NEXT) | instid1(SALU_CYCLE_1)
	s_lshl_b64 s[20:21], s[20:21], 2
	;; [unrolled: 10-line block ×5, first 2 shown]
	s_add_u32 s26, s13, s26
	s_addc_u32 s27, s16, s27
	s_clause 0x5
	s_load_b32 s28, s[6:7], 0x0
	s_load_b32 s29, s[8:9], 0x0
	;; [unrolled: 1-line block ×6, first 2 shown]
	s_mov_b32 s20, 0
	s_or_b32 s6, s12, 0xc0
	s_mov_b32 s21, s20
	s_mov_b32 s22, s20
	;; [unrolled: 1-line block ×7, first 2 shown]
	s_ashr_i32 s7, s6, 5
	v_mov_b32_e32 v128, s27
	s_cmp_lt_i32 s6, s17
	v_mov_b32_e32 v127, s26
	s_cselect_b32 s6, s7, s4
	v_mov_b32_e32 v126, s25
	s_ashr_i32 s7, s6, 31
	v_mov_b32_e32 v125, s24
	s_lshl_b64 s[6:7], s[6:7], 2
	v_mov_b32_e32 v124, s23
	s_add_u32 s6, s13, s6
	s_addc_u32 s7, s16, s7
	v_mov_b32_e32 v123, s22
	v_mov_b32_e32 v121, s20
	s_waitcnt lgkmcnt(0)
	s_mul_hi_i32 s9, s28, s5
	s_mul_i32 s8, s28, s5
	v_mov_b32_e32 v122, s21
	s_mul_hi_i32 s21, s29, s5
	s_mul_i32 s20, s29, s5
	s_mul_hi_i32 s25, s34, s5
	s_mul_i32 s24, s34, s5
	;; [unrolled: 2-line block ×4, first 2 shown]
	s_waitcnt vmcnt(1)
	v_mad_i64_i32 v[3:4], null, v7, s5, 0
	s_waitcnt vmcnt(0)
	v_mad_i64_i32 v[5:6], null, v8, s5, 0
	s_delay_alu instid0(VALU_DEP_2) | instskip(NEXT) | instid1(VALU_DEP_2)
	v_lshlrev_b64 v[3:4], 1, v[3:4]
	v_lshlrev_b64 v[1:2], 1, v[5:6]
	s_delay_alu instid0(VALU_DEP_2) | instskip(NEXT) | instid1(VALU_DEP_3)
	v_add_co_u32 v3, vcc_lo, s15, v3
	v_add_co_ci_u32_e32 v4, vcc_lo, s19, v4, vcc_lo
	s_delay_alu instid0(VALU_DEP_3) | instskip(NEXT) | instid1(VALU_DEP_4)
	v_add_co_u32 v1, vcc_lo, s15, v1
	v_add_co_ci_u32_e32 v2, vcc_lo, s19, v2, vcc_lo
	s_delay_alu instid0(VALU_DEP_4) | instskip(NEXT) | instid1(VALU_DEP_4)
	v_add_co_u32 v65, vcc_lo, v3, v73
	v_add_co_ci_u32_e32 v66, vcc_lo, v4, v74, vcc_lo
	s_delay_alu instid0(VALU_DEP_4) | instskip(NEXT) | instid1(VALU_DEP_4)
	v_add_co_u32 v67, vcc_lo, v1, v73
	v_add_co_ci_u32_e32 v68, vcc_lo, v2, v74, vcc_lo
	s_clause 0xf
	global_load_b128 v[1:4], v[65:66], off
	global_load_b128 v[5:8], v[65:66], off offset:512
	global_load_b128 v[9:12], v[67:68], off offset:256
	;; [unrolled: 1-line block ×15, first 2 shown]
	v_add_co_u32 v157, vcc_lo, 0x1000, v65
	v_add_co_ci_u32_e32 v158, vcc_lo, 0, v66, vcc_lo
	v_add_co_u32 v165, vcc_lo, 0x1000, v67
	v_add_co_ci_u32_e32 v166, vcc_lo, 0, v68, vcc_lo
	s_clause 0x7
	global_load_b128 v[81:84], v[157:158], off
	global_load_b128 v[85:88], v[157:158], off offset:512
	global_load_b128 v[89:92], v[165:166], off offset:256
	;; [unrolled: 1-line block ×7, first 2 shown]
	v_add_nc_u32_e32 v65, -10, v77
	v_cmp_gt_u32_e32 vcc_lo, 10, v77
	s_or_b32 s15, s12, 0xe0
	s_delay_alu instid0(SALU_CYCLE_1) | instskip(SKIP_3) | instid1(SALU_CYCLE_1)
	s_ashr_i32 s19, s15, 5
	s_cmp_lt_i32 s15, s17
	v_cndmask_b32_e32 v65, v65, v77, vcc_lo
	s_cselect_b32 s22, s19, s4
	s_ashr_i32 s23, s22, 31
	s_delay_alu instid0(VALU_DEP_1)
	v_lshlrev_b32_e32 v169, 6, v65
	ds_load_b128 v[65:68], v169
	ds_load_b128 v[69:72], v169 offset:1024
	s_clause 0x1
	global_load_b128 v[113:116], v[157:158], off offset:2048
	global_load_b128 v[117:120], v[157:158], off offset:2560
	ds_load_b128 v[129:132], v169 offset:2048
	ds_load_b128 v[133:136], v169 offset:3072
	s_clause 0x5
	global_load_b128 v[145:148], v[165:166], off offset:2304
	global_load_b128 v[149:152], v[165:166], off offset:2816
	;; [unrolled: 1-line block ×6, first 2 shown]
	s_lshl_b64 s[22:23], s[22:23], 2
	s_delay_alu instid0(SALU_CYCLE_1) | instskip(SKIP_2) | instid1(SALU_CYCLE_1)
	s_add_u32 s22, s13, s22
	s_addc_u32 s23, s16, s23
	s_add_i32 s15, s12, 0x100
	s_ashr_i32 s19, s15, 5
	s_cmp_lt_i32 s15, s17
	s_cselect_b32 s28, s19, s4
	s_delay_alu instid0(SALU_CYCLE_1) | instskip(NEXT) | instid1(SALU_CYCLE_1)
	s_ashr_i32 s29, s28, 31
	s_lshl_b64 s[28:29], s[28:29], 2
	s_delay_alu instid0(SALU_CYCLE_1)
	s_add_u32 s28, s13, s28
	s_addc_u32 s29, s16, s29
	s_add_u32 s4, s10, s2
	s_addc_u32 s19, s11, s3
	s_lshl_b64 s[2:3], s[8:9], 1
	s_lshl_b64 s[8:9], s[20:21], 1
	;; [unrolled: 1-line block ×4, first 2 shown]
	s_waitcnt vmcnt(30) lgkmcnt(2)
	v_wmma_f32_16x16x16_f16 v[137:144], v[1:8], v[65:72], v[121:128]
	ds_load_b128 v[1:4], v169 offset:4096
	ds_load_b128 v[5:8], v169 offset:5120
	s_waitcnt vmcnt(28)
	v_wmma_f32_16x16x16_f16 v[121:128], v[9:16], v[65:72], v[121:128]
	ds_load_b128 v[9:12], v169 offset:6144
	ds_load_b128 v[13:16], v169 offset:7168
	s_waitcnt vmcnt(26) lgkmcnt(4)
	v_wmma_f32_16x16x16_f16 v[137:144], v[17:24], v[129:136], v[137:144]
	ds_load_b128 v[17:20], v169 offset:8192
	ds_load_b128 v[21:24], v169 offset:9216
	s_waitcnt vmcnt(24)
	v_wmma_f32_16x16x16_f16 v[121:128], v[25:32], v[129:136], v[121:128]
	v_lshl_or_b32 v25, v78, 10, v79
	ds_load_b128 v[129:132], v169 offset:10240
	ds_load_b128 v[133:136], v169 offset:11264
	s_clause 0x2
	s_load_b32 s15, s[6:7], 0x0
	s_load_b32 s13, s[22:23], 0x0
	;; [unrolled: 1-line block ×3, first 2 shown]
	s_mul_hi_i32 s7, s36, s5
	v_add_co_u32 v170, s4, s4, v25
	s_delay_alu instid0(VALU_DEP_1)
	v_add_co_ci_u32_e64 v171, null, s19, 0, s4
	s_mul_i32 s6, s36, s5
	s_lshl_b64 s[22:23], s[34:35], 1
	s_lshl_b64 s[6:7], s[6:7], 1
	s_waitcnt vmcnt(22) lgkmcnt(0)
	v_wmma_f32_16x16x16_f16 v[137:144], v[33:40], v[1:8], v[137:144]
	s_waitcnt vmcnt(20)
	v_wmma_f32_16x16x16_f16 v[121:128], v[41:48], v[1:8], v[121:128]
	v_add_co_u32 v1, vcc_lo, v170, s2
	v_add_co_ci_u32_e32 v2, vcc_lo, s3, v171, vcc_lo
	v_add_co_u32 v3, vcc_lo, v170, s8
	v_add_co_ci_u32_e32 v4, vcc_lo, s9, v171, vcc_lo
	;; [unrolled: 2-line block ×4, first 2 shown]
	v_add_co_u32 v25, vcc_lo, v170, s6
	s_mul_hi_i32 s25, s15, s5
	s_mul_i32 s24, s15, s5
	v_add_co_ci_u32_e32 v26, vcc_lo, s7, v171, vcc_lo
	v_add_co_u32 v27, vcc_lo, v170, s22
	s_lshl_b64 s[24:25], s[24:25], 1
	s_waitcnt vmcnt(18)
	v_wmma_f32_16x16x16_f16 v[137:144], v[49:56], v[9:16], v[137:144]
	s_waitcnt vmcnt(16)
	v_wmma_f32_16x16x16_f16 v[121:128], v[57:64], v[9:16], v[121:128]
	v_add_co_ci_u32_e32 v28, vcc_lo, s23, v171, vcc_lo
	s_mul_hi_i32 s3, s13, s5
	s_mul_i32 s2, s13, s5
	v_add_co_u32 v29, vcc_lo, v170, s24
	s_lshl_b64 s[2:3], s[2:3], 1
	v_add_co_ci_u32_e32 v30, vcc_lo, s25, v171, vcc_lo
	s_waitcnt vmcnt(14)
	v_wmma_f32_16x16x16_f16 v[137:144], v[81:88], v[17:24], v[137:144]
	s_waitcnt vmcnt(12)
	v_wmma_f32_16x16x16_f16 v[121:128], v[89:96], v[17:24], v[121:128]
	v_add_co_u32 v17, vcc_lo, v170, s2
	v_add_co_ci_u32_e32 v18, vcc_lo, s3, v171, vcc_lo
	s_mul_hi_i32 s3, s16, s5
	s_mul_i32 s2, s16, s5
	s_clause 0x5
	global_load_b128 v[65:68], v[1:2], off
	global_load_b128 v[69:72], v[1:2], off offset:16
	global_load_b128 v[57:60], v[3:4], off
	global_load_b128 v[61:64], v[3:4], off offset:16
	;; [unrolled: 2-line block ×3, first 2 shown]
	s_lshl_b64 s[2:3], s[2:3], 1
	s_clause 0x1
	global_load_b128 v[41:44], v[7:8], off
	global_load_b128 v[45:48], v[7:8], off offset:16
	v_add_co_u32 v21, vcc_lo, v170, s2
	v_add_co_ci_u32_e32 v22, vcc_lo, s3, v171, vcc_lo
	s_clause 0x9
	global_load_b128 v[9:12], v[25:26], off
	global_load_b128 v[13:16], v[25:26], off offset:16
	global_load_b128 v[1:4], v[27:28], off
	global_load_b128 v[5:8], v[27:28], off offset:16
	;; [unrolled: 2-line block ×5, first 2 shown]
	ds_load_b128 v[81:84], v169 offset:12288
	ds_load_b128 v[85:88], v169 offset:13312
	v_and_b32_e32 v89, 0xe0, v0
	s_waitcnt vmcnt(28)
	v_wmma_f32_16x16x16_f16 v[137:144], v[97:104], v[129:136], v[137:144]
	v_mbcnt_lo_u32_b32 v97, -1, 0
	s_waitcnt vmcnt(26)
	v_wmma_f32_16x16x16_f16 v[121:128], v[105:112], v[129:136], v[121:128]
	v_add_nc_u32_e32 v98, s12, v89
	ds_load_b128 v[89:92], v169 offset:14336
	ds_load_b128 v[93:96], v169 offset:15360
	v_xor_b32_e32 v99, 16, v97
	s_waitcnt vmcnt(0) lgkmcnt(0)
	s_barrier
	v_or_b32_e32 v98, v98, v75
	buffer_gl0_inv
	v_cmp_gt_i32_e32 vcc_lo, 32, v99
	v_or_b32_e32 v100, 4, v98
	v_or_b32_e32 v101, 22, v98
	;; [unrolled: 1-line block ×4, first 2 shown]
	v_wmma_f32_16x16x16_f16 v[137:144], v[113:120], v[81:88], v[137:144]
	v_wmma_f32_16x16x16_f16 v[121:128], v[145:152], v[81:88], v[121:128]
	v_or_b32_e32 v81, 6, v98
	v_or_b32_e32 v82, 8, v98
	;; [unrolled: 1-line block ×3, first 2 shown]
	v_cmp_gt_i32_e64 s3, s17, v100
	v_or_b32_e32 v84, 12, v98
	v_wmma_f32_16x16x16_f16 v[137:144], v[153:160], v[89:96], v[137:144]
	v_wmma_f32_16x16x16_f16 v[121:128], v[161:168], v[89:96], v[121:128]
	v_cndmask_b32_e32 v97, v97, v99, vcc_lo
	v_or_b32_e32 v99, 2, v98
	v_cmp_gt_i32_e32 vcc_lo, s17, v98
	v_dual_mul_f32 v95, s18, v138 :: v_dual_mul_f32 v96, s18, v137
	v_mul_f32_e32 v93, s18, v140
	s_delay_alu instid0(VALU_DEP_4)
	v_cmp_gt_i32_e64 s2, s17, v99
	v_mul_f32_e32 v94, s18, v139
	v_mul_f32_e32 v110, s18, v124
	v_cndmask_b32_e32 v96, 0xff7fffff, v96, vcc_lo
	v_cmp_gt_i32_e64 s4, s17, v81
	v_cndmask_b32_e64 v95, 0xff7fffff, v95, s2
	v_or_b32_e32 v85, 14, v98
	v_dual_mul_f32 v91, s18, v142 :: v_dual_mul_f32 v92, s18, v141
	v_cndmask_b32_e64 v94, 0xff7fffff, v94, s3
	v_cndmask_b32_e64 v81, 0xff7fffff, v93, s4
	v_max3_f32 v93, v96, 0xff7fffff, v95
	v_cmp_gt_i32_e64 s5, s17, v82
	v_cmp_gt_i32_e64 s6, s17, v83
	v_or_b32_e32 v86, 16, v98
	v_or_b32_e32 v87, 18, v98
	v_dual_mul_f32 v89, s18, v144 :: v_dual_mul_f32 v112, s18, v122
	v_mul_f32_e32 v90, s18, v143
	v_cndmask_b32_e64 v82, 0xff7fffff, v92, s5
	v_cndmask_b32_e64 v83, 0xff7fffff, v91, s6
	v_max3_f32 v81, v93, v94, v81
	v_cmp_gt_i32_e64 s7, s17, v84
	v_cmp_gt_i32_e64 s8, s17, v85
	v_or_b32_e32 v88, 20, v98
	v_mul_f32_e32 v113, s18, v121
	v_max3_f32 v81, v81, v82, v83
	v_cndmask_b32_e64 v84, 0xff7fffff, v90, s7
	v_cndmask_b32_e64 v85, 0xff7fffff, v89, s8
	v_cmp_gt_i32_e64 s9, s17, v86
	v_cmp_gt_i32_e64 s10, s17, v87
	v_mul_f32_e32 v111, s18, v123
	v_cmp_gt_i32_e64 s11, s17, v88
	v_max3_f32 v81, v81, v84, v85
	v_cndmask_b32_e64 v82, 0xff7fffff, v113, s9
	v_cndmask_b32_e64 v83, 0xff7fffff, v112, s10
	v_cmp_gt_i32_e64 s12, s17, v101
	v_or_b32_e32 v104, 28, v98
	v_or_b32_e32 v105, 30, v98
	v_dual_mul_f32 v108, s18, v126 :: v_dual_mul_f32 v109, s18, v125
	v_cndmask_b32_e64 v84, 0xff7fffff, v111, s11
	v_cndmask_b32_e64 v85, 0xff7fffff, v110, s12
	v_max3_f32 v81, v81, v82, v83
	v_cmp_gt_i32_e64 s13, s17, v102
	v_cmp_gt_i32_e64 s15, s17, v103
	v_dual_mul_f32 v106, s18, v128 :: v_dual_mul_f32 v107, s18, v127
	s_delay_alu instid0(VALU_DEP_4) | instskip(NEXT) | instid1(VALU_DEP_4)
	v_max3_f32 v81, v81, v84, v85
	v_cndmask_b32_e64 v82, 0xff7fffff, v109, s13
	s_delay_alu instid0(VALU_DEP_4) | instskip(SKIP_2) | instid1(VALU_DEP_3)
	v_cndmask_b32_e64 v83, 0xff7fffff, v108, s15
	v_cmp_gt_i32_e64 s16, s17, v104
	v_cmp_gt_i32_e64 s17, s17, v105
	v_max3_f32 v81, v81, v82, v83
	s_delay_alu instid0(VALU_DEP_3) | instskip(NEXT) | instid1(VALU_DEP_3)
	v_cndmask_b32_e64 v84, 0xff7fffff, v107, s16
	v_cndmask_b32_e64 v85, 0xff7fffff, v106, s17
	v_lshlrev_b32_e32 v83, 2, v97
	s_delay_alu instid0(VALU_DEP_2) | instskip(SKIP_3) | instid1(VALU_DEP_1)
	v_max3_f32 v81, v81, v84, v85
	ds_bpermute_b32 v82, v83, v81
	s_waitcnt lgkmcnt(0)
	v_max_f32_e32 v82, v82, v82
	v_max_f32_e32 v81, v81, v82
	s_delay_alu instid0(VALU_DEP_1)
	v_fma_f32 v82, s18, v137, -v81
	v_fma_f32 v84, s18, v138, -v81
	v_fma_f32 v85, s18, v139, -v81
	v_fma_f32 v86, s18, v140, -v81
	v_fma_f32 v87, s18, v141, -v81
	v_mul_f32_e32 v82, 0x3fb8aa3b, v82
	s_delay_alu instid0(VALU_DEP_4) | instskip(NEXT) | instid1(VALU_DEP_3)
	v_dual_mul_f32 v84, 0x3fb8aa3b, v84 :: v_dual_mul_f32 v85, 0x3fb8aa3b, v85
	v_dual_mul_f32 v86, 0x3fb8aa3b, v86 :: v_dual_mul_f32 v89, 0x3fb8aa3b, v87
	s_delay_alu instid0(VALU_DEP_3) | instskip(NEXT) | instid1(VALU_DEP_2)
	v_exp_f32_e32 v82, v82
	v_exp_f32_e32 v84, v84
	s_delay_alu instid0(VALU_DEP_2) | instskip(NEXT) | instid1(VALU_DEP_1)
	v_exp_f32_e32 v85, v85
	v_exp_f32_e32 v86, v86
	;; [unrolled: 1-line block ×3, first 2 shown]
	v_cndmask_b32_e32 v88, 0, v82, vcc_lo
	v_cndmask_b32_e64 v87, 0, v84, s2
	s_delay_alu instid0(TRANS32_DEP_3)
	v_cndmask_b32_e64 v90, 0, v85, s3
	s_waitcnt_depctr 0xfff
	v_cndmask_b32_e64 v89, 0, v86, s4
	v_cndmask_b32_e64 v92, 0, v92, s5
	v_add_f32_e32 v84, 0, v88
	s_mov_b32 s2, exec_lo
	s_delay_alu instid0(VALU_DEP_1) | instskip(NEXT) | instid1(VALU_DEP_1)
	v_add_f32_e32 v84, v84, v87
	v_add_f32_e32 v84, v84, v90
	s_delay_alu instid0(VALU_DEP_1)
	v_add_f32_e32 v84, v84, v89
	v_fma_f32 v82, s18, v142, -v81
	v_fma_f32 v91, s18, v143, -v81
	;; [unrolled: 1-line block ×5, first 2 shown]
	s_delay_alu instid0(VALU_DEP_4) | instskip(SKIP_1) | instid1(VALU_DEP_4)
	v_dual_mul_f32 v82, 0x3fb8aa3b, v82 :: v_dual_mul_f32 v91, 0x3fb8aa3b, v91
	v_fma_f32 v96, s18, v124, -v81
	v_mul_f32_e32 v86, 0x3fb8aa3b, v86
	s_delay_alu instid0(VALU_DEP_4) | instskip(NEXT) | instid1(VALU_DEP_4)
	v_mul_f32_e32 v95, 0x3fb8aa3b, v94
	v_exp_f32_e32 v82, v82
	v_exp_f32_e32 v93, v91
	v_mul_f32_e32 v97, 0x3fb8aa3b, v96
	v_exp_f32_e32 v86, v86
	v_fma_f32 v99, s18, v127, -v81
	s_delay_alu instid0(VALU_DEP_2) | instskip(SKIP_2) | instid1(TRANS32_DEP_3)
	v_exp_f32_e32 v97, v97
	v_cndmask_b32_e64 v91, 0, v82, s6
	v_dual_add_f32 v82, v84, v92 :: v_dual_mul_f32 v85, 0x3fb8aa3b, v85
	v_cndmask_b32_e64 v94, 0, v93, s7
	v_fma_f32 v84, s18, v123, -v81
	s_delay_alu instid0(TRANS32_DEP_2) | instskip(NEXT) | instid1(VALU_DEP_4)
	v_cndmask_b32_e64 v96, 0, v86, s9
	v_add_f32_e32 v82, v82, v91
	v_exp_f32_e32 v85, v85
	v_fma_f32 v86, s18, v126, -v81
	v_mul_f32_e32 v84, 0x3fb8aa3b, v84
	v_cndmask_b32_e64 v97, 0, v97, s12
	v_add_f32_e32 v82, v82, v94
	s_delay_alu instid0(VALU_DEP_3) | instskip(SKIP_3) | instid1(VALU_DEP_2)
	v_exp_f32_e32 v84, v84
	s_waitcnt_depctr 0xfff
	v_cndmask_b32_e64 v93, 0, v85, s8
	v_fma_f32 v85, s18, v125, -v81
	v_add_f32_e32 v82, v82, v93
	v_exp_f32_e32 v95, v95
	s_delay_alu instid0(VALU_DEP_2)
	v_mul_f32_e32 v85, 0x3fb8aa3b, v85
	v_cndmask_b32_e64 v98, 0, v84, s11
	v_mul_f32_e32 v84, 0x3fb8aa3b, v99
	v_add_f32_e32 v82, v82, v96
	v_fma_f32 v99, s18, v128, -v81
	v_exp_f32_e32 v85, v85
	v_mul_f32_e32 v86, 0x3fb8aa3b, v86
	v_exp_f32_e32 v84, v84
	s_delay_alu instid0(TRANS32_DEP_3) | instskip(NEXT) | instid1(VALU_DEP_1)
	v_cndmask_b32_e64 v95, 0, v95, s10
	v_add_f32_e32 v82, v82, v95
	s_waitcnt_depctr 0xfff
	v_cndmask_b32_e64 v100, 0, v85, s13
	v_mul_f32_e32 v85, 0x3fb8aa3b, v99
	v_exp_f32_e32 v86, v86
	v_cndmask_b32_e64 v102, 0, v84, s16
	v_add_f32_e32 v82, v82, v98
	s_delay_alu instid0(VALU_DEP_3) | instskip(NEXT) | instid1(VALU_DEP_1)
	v_exp_f32_e32 v85, v85
	v_add_f32_e32 v82, v82, v97
	s_waitcnt_depctr 0xfff
	v_cndmask_b32_e64 v99, 0, v86, s15
	v_add_f32_e32 v82, v82, v100
	v_cndmask_b32_e64 v101, 0, v85, s17
	s_delay_alu instid0(VALU_DEP_2) | instskip(NEXT) | instid1(VALU_DEP_1)
	v_add_f32_e32 v82, v82, v99
	v_add_f32_e32 v82, v82, v102
	s_delay_alu instid0(VALU_DEP_1)
	v_add_f32_e32 v82, v82, v101
	ds_bpermute_b32 v83, v83, v82
	v_cmpx_gt_u32_e32 16, v80
	s_cbranch_execz .LBB355_14
; %bb.13:
	v_mul_u32_u24_e32 v80, 0x44, v78
	s_waitcnt lgkmcnt(0)
	v_add_f32_e32 v82, v82, v83
	s_delay_alu instid0(VALU_DEP_2) | instskip(NEXT) | instid1(VALU_DEP_1)
	v_lshl_add_u32 v80, v77, 2, v80
	v_add_nc_u32_e32 v80, 0x4000, v80
	ds_store_2addr_b32 v80, v81, v82 offset1:136
.LBB355_14:
	s_or_b32 exec_lo, exec_lo, s2
	v_lshlrev_b32_e32 v80, 2, v77
	s_load_b32 s34, s[0:1], 0x94
	s_waitcnt lgkmcnt(0)
	s_barrier
	buffer_gl0_inv
	v_add_nc_u32_e32 v84, 0x4000, v80
	v_cmp_eq_u32_e32 vcc_lo, 1, v78
	v_cmp_eq_u32_e64 s2, 2, v78
	v_cmp_eq_u32_e64 s3, 3, v78
	;; [unrolled: 1-line block ×3, first 2 shown]
	ds_load_2addr_b32 v[80:81], v84 offset1:17
	ds_load_2addr_b32 v[82:83], v84 offset0:34 offset1:51
	ds_load_2addr_b32 v[103:104], v84 offset0:68 offset1:85
	;; [unrolled: 1-line block ×3, first 2 shown]
	v_cmp_eq_u32_e64 s5, 7, v78
	s_waitcnt lgkmcnt(3)
	v_max3_f32 v85, v80, 0xff7fffff, v81
	s_waitcnt lgkmcnt(2)
	s_delay_alu instid0(VALU_DEP_1) | instskip(SKIP_1) | instid1(VALU_DEP_1)
	v_max3_f32 v85, v85, v82, v83
	s_waitcnt lgkmcnt(1)
	v_max3_f32 v85, v85, v103, v104
	s_waitcnt lgkmcnt(0)
	s_delay_alu instid0(VALU_DEP_1) | instskip(NEXT) | instid1(VALU_DEP_1)
	v_max3_f32 v85, v85, v105, v106
	v_sub_f32_e32 v103, v103, v85
	ds_load_2addr_b32 v[107:108], v84 offset0:136 offset1:153
	v_sub_f32_e32 v80, v80, v85
	v_dual_sub_f32 v110, v83, v85 :: v_dual_mul_f32 v113, 0x3fb8aa3b, v103
	s_delay_alu instid0(VALU_DEP_2) | instskip(SKIP_3) | instid1(VALU_DEP_1)
	v_dual_sub_f32 v86, v81, v85 :: v_dual_mul_f32 v109, 0x3fb8aa3b, v80
	ds_load_2addr_b32 v[80:81], v84 offset0:170 offset1:187
	v_mul_f32_e32 v86, 0x3fb8aa3b, v86
	v_exp_f32_e32 v109, v109
	v_exp_f32_e32 v112, v86
	v_mul_f32_e32 v110, 0x3fb8aa3b, v110
	s_waitcnt lgkmcnt(1)
	s_waitcnt_depctr 0xfff
	v_fma_f32 v86, v109, v107, 0
	v_sub_f32_e32 v107, v104, v85
	v_sub_f32_e32 v82, v82, v85
	v_exp_f32_e32 v110, v110
	ds_load_2addr_b32 v[103:104], v84 offset0:238 offset1:255
	v_dual_fmac_f32 v86, v112, v108 :: v_dual_mul_f32 v111, 0x3fb8aa3b, v82
	ds_load_2addr_b32 v[82:83], v84 offset0:204 offset1:221
	v_dual_sub_f32 v84, v105, v85 :: v_dual_mul_f32 v105, 0x3fb8aa3b, v107
	v_exp_f32_e32 v107, v113
	v_exp_f32_e32 v111, v111
	s_waitcnt lgkmcnt(0)
	s_delay_alu instid0(VALU_DEP_1)
	v_mul_f32_e32 v84, 0x3fb8aa3b, v84
	v_exp_f32_e32 v105, v105
	s_barrier
	buffer_gl0_inv
	v_fmac_f32_e32 v86, v111, v80
	v_sub_f32_e32 v80, v106, v85
	v_exp_f32_e32 v106, v84
	s_delay_alu instid0(VALU_DEP_2) | instskip(NEXT) | instid1(VALU_DEP_2)
	v_fmac_f32_e32 v86, v110, v81
	v_mul_f32_e32 v80, 0x3fb8aa3b, v80
	s_delay_alu instid0(VALU_DEP_2) | instskip(NEXT) | instid1(VALU_DEP_2)
	v_dual_cndmask_b32 v81, v109, v112 :: v_dual_fmac_f32 v86, v107, v82
	v_exp_f32_e32 v108, v80
	s_delay_alu instid0(VALU_DEP_1) | instskip(SKIP_2) | instid1(VALU_DEP_1)
	v_fmac_f32_e32 v86, v105, v83
	s_waitcnt_depctr 0xfff
	v_fmac_f32_e32 v86, v106, v103
	v_fmac_f32_e32 v86, v108, v104
	s_delay_alu instid0(VALU_DEP_1) | instskip(NEXT) | instid1(VALU_DEP_1)
	v_add_f32_e32 v103, 0x358637bd, v86
	v_div_scale_f32 v104, null, v103, v103, 1.0
	v_div_scale_f32 v109, vcc_lo, 1.0, v103, 1.0
	s_delay_alu instid0(VALU_DEP_2) | instskip(SKIP_2) | instid1(VALU_DEP_1)
	v_rcp_f32_e32 v113, v104
	s_waitcnt_depctr 0xfff
	v_fma_f32 v80, -v104, v113, 1.0
	v_fmac_f32_e32 v113, v80, v113
	v_cndmask_b32_e64 v80, v81, v111, s2
	v_cmp_eq_u32_e64 s2, 4, v78
	v_lshl_or_b32 v81, v78, 11, v79
	s_delay_alu instid0(VALU_DEP_4) | instskip(NEXT) | instid1(VALU_DEP_4)
	v_mul_f32_e32 v111, v109, v113
	v_cndmask_b32_e64 v82, v80, v110, s3
	v_cmp_eq_u32_e64 s3, 6, v78
	s_delay_alu instid0(VALU_DEP_4) | instskip(SKIP_3) | instid1(VALU_DEP_3)
	v_lshl_or_b32 v78, v75, 4, v81
	v_lshlrev_b32_e32 v80, 2, v75
	v_fma_f32 v83, -v104, v111, v109
	v_cndmask_b32_e64 v84, v82, v107, s2
	v_or_b32_e32 v82, 1, v80
	s_delay_alu instid0(VALU_DEP_3) | instskip(NEXT) | instid1(VALU_DEP_3)
	v_fmac_f32_e32 v111, v83, v113
	v_cndmask_b32_e64 v105, v84, v105, s4
	v_or_b32_e32 v84, 2, v80
	v_or_b32_e32 v83, 3, v80
	v_cmp_eq_u32_e64 s2, 1, v80
	v_fma_f32 v104, -v104, v111, v109
	v_cndmask_b32_e64 v105, v105, v106, s3
	v_cmp_eq_u32_e64 s8, 1, v82
	v_cmp_eq_u32_e64 s9, 1, v84
	;; [unrolled: 1-line block ×3, first 2 shown]
	v_div_fmas_f32 v104, v104, v113, v111
	v_cndmask_b32_e64 v105, v105, v108, s5
	v_cmp_eq_u32_e32 vcc_lo, 2, v80
	v_cmp_eq_u32_e64 s11, 2, v82
	v_cmp_eq_u32_e64 s13, 2, v84
	v_div_fixup_f32 v103, v104, v103, 1.0
	v_cmp_eq_u32_e64 s15, 2, v83
	v_cmp_eq_u32_e64 s17, 3, v83
	;; [unrolled: 1-line block ×4, first 2 shown]
	v_mul_f32_e32 v111, v105, v103
	v_cmp_eq_u32_e64 s16, 3, v84
	v_cmp_eq_u32_e64 s21, 4, v83
	;; [unrolled: 1-line block ×4, first 2 shown]
	v_fma_mixlo_f16 v103, v111, v88, 0
	v_fma_mixlo_f16 v104, v111, v90, 0
	;; [unrolled: 1-line block ×8, first 2 shown]
	v_fma_mixhi_f16 v103, v111, v87, 0
	v_fma_mixhi_f16 v104, v111, v89, 0
	;; [unrolled: 1-line block ×8, first 2 shown]
	ds_store_b128 v78, v[103:106]
	ds_store_b128 v78, v[107:110] offset:1024
	s_waitcnt lgkmcnt(0)
	s_barrier
	buffer_gl0_inv
	ds_load_b128 v[87:90], v81
	ds_load_b128 v[91:94], v81 offset:16
	ds_load_b128 v[95:98], v81 offset:1024
	;; [unrolled: 1-line block ×3, first 2 shown]
	v_cmp_eq_u32_e64 s20, 4, v84
	v_cmp_eq_u32_e64 s23, 5, v83
	v_cmp_eq_u32_e64 s5, 5, v80
	v_cmp_eq_u32_e64 s19, 5, v82
	v_cmp_eq_u32_e64 s22, 5, v84
	v_cmp_eq_u32_e64 s26, 6, v83
	v_cmp_eq_u32_e64 s6, 6, v80
	v_cmp_eq_u32_e64 s24, 6, v82
	v_cmp_eq_u32_e64 s25, 6, v84
	v_cmp_eq_u32_e64 s28, 7, v83
	v_cmp_eq_u32_e64 s7, 7, v80
	v_cmp_eq_u32_e64 s27, 7, v84
	v_cmp_eq_u32_e64 s29, 7, v82
	s_waitcnt lgkmcnt(3)
	v_lshrrev_b32_e32 v103, 16, v87
	s_waitcnt lgkmcnt(2)
	v_lshrrev_b32_e32 v107, 16, v91
	;; [unrolled: 2-line block ×4, first 2 shown]
	v_lshrrev_b32_e32 v104, 16, v88
	v_cndmask_b32_e64 v119, v87, v103, s2
	v_cndmask_b32_e64 v120, v91, v107, s2
	;; [unrolled: 1-line block ×8, first 2 shown]
	v_lshrrev_b32_e32 v108, 16, v92
	v_cndmask_b32_e64 v103, v95, v111, s2
	v_cndmask_b32_e64 v107, v99, v115, s2
	;; [unrolled: 1-line block ×5, first 2 shown]
	v_cndmask_b32_e32 v111, v119, v88, vcc_lo
	v_cndmask_b32_e64 v119, v121, v88, s11
	v_cndmask_b32_e64 v121, v123, v88, s13
	;; [unrolled: 1-line block ×4, first 2 shown]
	v_lshrrev_b32_e32 v112, 16, v96
	v_lshrrev_b32_e32 v116, 16, v100
	v_cndmask_b32_e64 v126, v99, v115, s8
	v_cndmask_b32_e64 v128, v99, v115, s9
	;; [unrolled: 1-line block ×3, first 2 shown]
	v_cndmask_b32_e32 v115, v120, v92, vcc_lo
	v_cndmask_b32_e64 v120, v122, v92, s11
	v_cndmask_b32_e64 v122, v124, v92, s13
	v_cndmask_b32_e32 v91, v103, v96, vcc_lo
	v_cndmask_b32_e32 v92, v107, v100, vcc_lo
	v_cndmask_b32_e64 v103, v125, v96, s11
	v_cndmask_b32_e64 v87, v87, v104, s17
	;; [unrolled: 1-line block ×3, first 2 shown]
	v_lshrrev_b32_e32 v105, 16, v89
	v_lshrrev_b32_e32 v109, 16, v93
	v_cndmask_b32_e64 v107, v127, v96, s13
	v_cndmask_b32_e64 v95, v95, v96, s15
	v_cndmask_b32_e64 v96, v99, v100, s15
	v_cndmask_b32_e64 v99, v111, v104, s3
	v_cndmask_b32_e64 v111, v115, v108, s3
	v_cndmask_b32_e64 v115, v119, v104, s12
	v_cndmask_b32_e64 v119, v120, v108, s12
	v_cndmask_b32_e64 v120, v121, v104, s16
	v_cndmask_b32_e64 v121, v122, v108, s16
	v_cndmask_b32_e64 v91, v91, v112, s3
	v_cndmask_b32_e64 v92, v92, v116, s3
	v_cndmask_b32_e64 v103, v103, v112, s12
	v_cndmask_b32_e64 v87, v87, v89, s21
	v_cndmask_b32_e64 v88, v88, v93, s21
	v_lshrrev_b32_e32 v113, 16, v97
	v_cndmask_b32_e64 v99, v99, v89, s4
	v_cndmask_b32_e64 v104, v111, v93, s4
	;; [unrolled: 1-line block ×11, first 2 shown]
	v_lshrrev_b32_e32 v106, 16, v90
	v_lshrrev_b32_e32 v110, 16, v94
	v_cndmask_b32_e64 v93, v99, v105, s5
	v_cndmask_b32_e64 v99, v104, v109, s5
	;; [unrolled: 1-line block ×9, first 2 shown]
	v_lshrrev_b32_e32 v114, 16, v98
	v_cndmask_b32_e64 v89, v89, v113, s5
	v_cndmask_b32_e64 v93, v93, v90, s6
	;; [unrolled: 1-line block ×19, first 2 shown]
	v_perm_b32 v90, v88, v87, 0x5040100
	v_cndmask_b32_e64 v87, v126, v100, s11
	v_cndmask_b32_e64 v105, v89, v114, s7
	v_perm_b32 v89, v103, v99, 0x5040100
	v_perm_b32 v88, v104, v94, 0x5040100
	v_cndmask_b32_e64 v94, v107, v112, s16
	v_cndmask_b32_e64 v95, v95, v112, s17
	;; [unrolled: 1-line block ×5, first 2 shown]
	v_lshrrev_b32_e32 v117, 16, v101
	v_cndmask_b32_e64 v94, v94, v97, s20
	v_cndmask_b32_e64 v95, v95, v97, s21
	;; [unrolled: 1-line block ×11, first 2 shown]
	v_lshrrev_b32_e32 v118, 16, v102
	v_cndmask_b32_e64 v91, v91, v102, s6
	v_cndmask_b32_e64 v94, v94, v98, s25
	;; [unrolled: 1-line block ×12, first 2 shown]
	v_perm_b32 v87, v93, v92, 0x5040100
	v_perm_b32 v94, v95, v94, 0x5040100
	;; [unrolled: 1-line block ×5, first 2 shown]
	s_mul_i32 s6, s33, 10
	s_mov_b32 s2, exec_lo
	ds_store_b128 v78, v[87:90]
	ds_store_b128 v78, v[91:94] offset:1024
	v_cmpx_gt_u32_e32 10, v0
	s_cbranch_execz .LBB355_16
; %bb.15:
	s_mul_i32 s3, s6, s30
	s_load_b128 s[8:11], s[0:1], 0x58
	v_add3_u32 v77, s3, s31, v77
	s_delay_alu instid0(VALU_DEP_1) | instskip(NEXT) | instid1(VALU_DEP_1)
	v_mad_u64_u32 v[87:88], null, v77, s34, s[14:15]
	v_ashrrev_i32_e32 v88, 31, v87
	s_delay_alu instid0(VALU_DEP_1) | instskip(SKIP_1) | instid1(VALU_DEP_1)
	v_lshlrev_b64 v[87:88], 2, v[87:88]
	s_waitcnt lgkmcnt(0)
	v_add_co_u32 v89, vcc_lo, s10, v87
	s_delay_alu instid0(VALU_DEP_2)
	v_add_co_ci_u32_e32 v90, vcc_lo, s11, v88, vcc_lo
	v_add_co_u32 v87, vcc_lo, s8, v87
	v_add_co_ci_u32_e32 v88, vcc_lo, s9, v88, vcc_lo
	global_store_b32 v[89:90], v85, off
	global_store_b32 v[87:88], v86, off
.LBB355_16:
	s_or_b32 exec_lo, exec_lo, s2
	s_waitcnt lgkmcnt(0)
	s_waitcnt_vscnt null, 0x0
	s_barrier
	buffer_gl0_inv
	ds_load_b128 v[93:96], v79
	ds_load_b128 v[97:100], v79 offset:16
	ds_load_b128 v[105:108], v79 offset:1040
	;; [unrolled: 1-line block ×5, first 2 shown]
	v_cmp_eq_u32_e32 vcc_lo, 1, v84
	v_mov_b32_e32 v85, 0
	ds_load_b128 v[121:124], v79 offset:3088
	ds_load_b128 v[117:120], v79 offset:3072
	;; [unrolled: 1-line block ×4, first 2 shown]
	v_cmp_eq_u32_e64 s2, 1, v80
	v_cmp_eq_u32_e64 s3, 1, v83
	;; [unrolled: 1-line block ×3, first 2 shown]
	v_mov_b32_e32 v86, v85
	v_mov_b32_e32 v87, v85
	;; [unrolled: 1-line block ×7, first 2 shown]
	v_cmp_eq_u32_e64 s5, 2, v80
	s_waitcnt lgkmcnt(8)
	s_delay_alu instid0(VALU_DEP_2)
	v_wmma_f32_16x16x16_f16 v[85:92], v[65:72], v[93:100], v[85:92]
	ds_load_b128 v[69:72], v79 offset:5136
	ds_load_b128 v[65:68], v79 offset:5120
	;; [unrolled: 1-line block ×4, first 2 shown]
	s_waitcnt lgkmcnt(10)
	v_wmma_f32_16x16x16_f16 v[85:92], v[57:64], v[101:108], v[85:92]
	s_waitcnt lgkmcnt(8)
	s_delay_alu instid0(VALU_DEP_1)
	v_wmma_f32_16x16x16_f16 v[85:92], v[57:64], v[109:116], v[85:92]
	ds_load_b128 v[61:64], v79 offset:7184
	ds_load_b128 v[57:60], v79 offset:7168
	;; [unrolled: 1-line block ×4, first 2 shown]
	s_waitcnt lgkmcnt(10)
	v_wmma_f32_16x16x16_f16 v[85:92], v[49:56], v[117:124], v[85:92]
	s_waitcnt lgkmcnt(8)
	s_delay_alu instid0(VALU_DEP_1)
	v_wmma_f32_16x16x16_f16 v[85:92], v[49:56], v[125:132], v[85:92]
	ds_load_b128 v[53:56], v79 offset:9232
	ds_load_b128 v[49:52], v79 offset:9216
	s_waitcnt lgkmcnt(8)
	v_wmma_f32_16x16x16_f16 v[85:92], v[41:48], v[65:72], v[85:92]
	ds_load_b128 v[69:72], v79 offset:10256
	ds_load_b128 v[65:68], v79 offset:10240
	s_waitcnt lgkmcnt(8)
	v_wmma_f32_16x16x16_f16 v[85:92], v[41:48], v[93:100], v[85:92]
	ds_load_b128 v[45:48], v79 offset:11280
	ds_load_b128 v[41:44], v79 offset:11264
	s_waitcnt lgkmcnt(8)
	v_wmma_f32_16x16x16_f16 v[85:92], v[9:16], v[57:64], v[85:92]
	ds_load_b128 v[61:64], v79 offset:12304
	ds_load_b128 v[57:60], v79 offset:12288
	s_waitcnt lgkmcnt(8)
	v_wmma_f32_16x16x16_f16 v[85:92], v[9:16], v[101:108], v[85:92]
	ds_load_b128 v[13:16], v79 offset:13328
	ds_load_b128 v[9:12], v79 offset:13312
	s_waitcnt lgkmcnt(8)
	v_wmma_f32_16x16x16_f16 v[85:92], v[1:8], v[49:56], v[85:92]
	ds_load_b128 v[53:56], v79 offset:14352
	ds_load_b128 v[49:52], v79 offset:14336
	s_waitcnt lgkmcnt(8)
	v_wmma_f32_16x16x16_f16 v[85:92], v[1:8], v[65:72], v[85:92]
	ds_load_b128 v[5:8], v79 offset:15376
	ds_load_b128 v[1:4], v79 offset:15360
	s_waitcnt lgkmcnt(0)
	s_barrier
	buffer_gl0_inv
	v_wmma_f32_16x16x16_f16 v[85:92], v[33:40], v[41:48], v[85:92]
	s_delay_alu instid0(VALU_DEP_1) | instskip(NEXT) | instid1(VALU_DEP_1)
	v_wmma_f32_16x16x16_f16 v[85:92], v[33:40], v[57:64], v[85:92]
	v_wmma_f32_16x16x16_f16 v[85:92], v[25:32], v[9:16], v[85:92]
	s_delay_alu instid0(VALU_DEP_1) | instskip(NEXT) | instid1(VALU_DEP_1)
	v_wmma_f32_16x16x16_f16 v[85:92], v[25:32], v[49:56], v[85:92]
	v_wmma_f32_16x16x16_f16 v[85:92], v[17:24], v[1:8], v[85:92]
	s_delay_alu instid0(VALU_DEP_1) | instskip(NEXT) | instid1(VALU_DEP_2)
	v_cvt_f16_f32_e32 v1, v85
	v_cvt_f16_f32_e32 v2, v86
	s_delay_alu instid0(VALU_DEP_3) | instskip(NEXT) | instid1(VALU_DEP_4)
	v_cvt_f16_f32_e32 v3, v87
	v_cvt_f16_f32_e32 v4, v88
	;; [unrolled: 1-line block ×6, first 2 shown]
	v_pack_b32_f16 v1, v1, v2
	v_pack_b32_f16 v2, v3, v4
	;; [unrolled: 1-line block ×3, first 2 shown]
	s_delay_alu instid0(VALU_DEP_4)
	v_pack_b32_f16 v4, v7, v8
	ds_store_b128 v78, v[1:4]
	s_waitcnt lgkmcnt(0)
	s_barrier
	buffer_gl0_inv
	ds_load_b128 v[1:4], v81
	ds_load_b128 v[5:8], v81 offset:16
	s_waitcnt lgkmcnt(1)
	v_lshrrev_b32_e32 v9, 16, v1
	s_waitcnt lgkmcnt(0)
	v_lshrrev_b32_e32 v13, 16, v5
	v_lshrrev_b32_e32 v15, 16, v7
	;; [unrolled: 1-line block ×4, first 2 shown]
	v_cndmask_b32_e64 v17, v1, v9, s2
	v_cndmask_b32_e64 v18, v5, v13, s2
	;; [unrolled: 1-line block ×3, first 2 shown]
	v_cmp_eq_u32_e64 s2, 2, v82
	v_cndmask_b32_e64 v20, v5, v13, s4
	v_cndmask_b32_e32 v21, v1, v9, vcc_lo
	v_cndmask_b32_e32 v22, v5, v13, vcc_lo
	v_cndmask_b32_e64 v1, v1, v9, s3
	v_cndmask_b32_e64 v5, v5, v13, s3
	v_cmp_eq_u32_e32 vcc_lo, 2, v84
	v_cmp_eq_u32_e64 s3, 2, v83
	v_cndmask_b32_e64 v9, v17, v2, s5
	v_cndmask_b32_e64 v13, v18, v6, s5
	;; [unrolled: 1-line block ×4, first 2 shown]
	v_cndmask_b32_e32 v19, v21, v2, vcc_lo
	v_cmp_eq_u32_e64 s2, 3, v84
	v_cndmask_b32_e32 v20, v22, v6, vcc_lo
	v_cndmask_b32_e64 v1, v1, v2, s3
	v_cmp_eq_u32_e32 vcc_lo, 3, v83
	v_cmp_eq_u32_e64 s4, 3, v80
	v_cndmask_b32_e64 v2, v5, v6, s3
	v_cmp_eq_u32_e64 s3, 3, v82
	v_lshrrev_b32_e32 v16, 16, v8
	v_cmp_eq_u32_e64 s5, 4, v80
	v_cndmask_b32_e64 v5, v9, v10, s4
	v_cndmask_b32_e64 v6, v13, v14, s4
	;; [unrolled: 1-line block ×3, first 2 shown]
	v_cmp_eq_u32_e64 s4, 4, v82
	v_cndmask_b32_e64 v13, v18, v14, s3
	v_cndmask_b32_e64 v17, v19, v10, s2
	;; [unrolled: 1-line block ×3, first 2 shown]
	v_cndmask_b32_e32 v1, v1, v10, vcc_lo
	v_cndmask_b32_e32 v2, v2, v14, vcc_lo
	v_cmp_eq_u32_e32 vcc_lo, 4, v84
	v_cmp_eq_u32_e64 s3, 4, v83
	v_lshrrev_b32_e32 v11, 16, v3
	v_cndmask_b32_e64 v5, v5, v3, s5
	v_cndmask_b32_e64 v6, v6, v7, s5
	;; [unrolled: 1-line block ×4, first 2 shown]
	v_cndmask_b32_e32 v13, v17, v3, vcc_lo
	v_cmp_eq_u32_e64 s2, 5, v84
	v_cndmask_b32_e32 v14, v18, v7, vcc_lo
	v_cndmask_b32_e64 v1, v1, v3, s3
	v_cmp_eq_u32_e32 vcc_lo, 5, v83
	v_cmp_eq_u32_e64 s4, 5, v80
	v_cndmask_b32_e64 v2, v2, v7, s3
	v_cmp_eq_u32_e64 s3, 5, v82
	v_cmp_eq_u32_e64 s5, 6, v80
	v_cndmask_b32_e32 v1, v1, v11, vcc_lo
	v_cndmask_b32_e64 v3, v5, v11, s4
	v_cndmask_b32_e64 v5, v6, v15, s4
	;; [unrolled: 1-line block ×3, first 2 shown]
	v_cmp_eq_u32_e64 s4, 6, v82
	v_cndmask_b32_e64 v7, v10, v15, s3
	v_cndmask_b32_e64 v9, v13, v11, s2
	;; [unrolled: 1-line block ×3, first 2 shown]
	v_cndmask_b32_e32 v2, v2, v15, vcc_lo
	v_cmp_eq_u32_e32 vcc_lo, 6, v84
	v_cmp_eq_u32_e64 s2, 6, v83
	v_lshrrev_b32_e32 v12, 16, v4
	v_cndmask_b32_e64 v3, v3, v4, s5
	v_cndmask_b32_e64 v5, v5, v8, s5
	;; [unrolled: 1-line block ×4, first 2 shown]
	v_cndmask_b32_e32 v9, v9, v4, vcc_lo
	v_cmp_eq_u32_e64 s3, 7, v84
	v_cndmask_b32_e32 v10, v10, v8, vcc_lo
	v_cndmask_b32_e64 v1, v1, v4, s2
	v_cmp_eq_u32_e32 vcc_lo, 7, v83
	v_cndmask_b32_e64 v2, v2, v8, s2
	v_cmp_eq_u32_e64 s2, 7, v80
	v_cmp_eq_u32_e64 s4, 7, v82
	v_cndmask_b32_e32 v1, v1, v12, vcc_lo
	s_delay_alu instid0(VALU_DEP_4) | instskip(NEXT) | instid1(VALU_DEP_4)
	v_cndmask_b32_e32 v2, v2, v16, vcc_lo
	v_cndmask_b32_e64 v8, v3, v12, s2
	s_delay_alu instid0(VALU_DEP_4)
	v_cndmask_b32_e64 v6, v6, v12, s4
	v_cndmask_b32_e64 v3, v9, v12, s3
	;; [unrolled: 1-line block ×5, first 2 shown]
	v_perm_b32 v4, v2, v1, 0x5040100
	s_mov_b32 s2, exec_lo
	v_perm_b32 v3, v9, v3, 0x5040100
	v_perm_b32 v2, v7, v6, 0x5040100
	;; [unrolled: 1-line block ×3, first 2 shown]
	ds_store_b128 v78, v[1:4]
	s_waitcnt lgkmcnt(0)
	s_barrier
	buffer_gl0_inv
	v_cmpx_gt_u32_e32 32, v0
	s_cbranch_execz .LBB355_2
; %bb.17:
	s_load_b64 s[0:1], s[0:1], 0x68
	s_lshl_b32 s4, s34, 7
	v_or_b32_e32 v2, s31, v75
	s_mul_i32 s2, s4, s30
	v_lshlrev_b32_e32 v0, 10, v0
	s_mul_i32 s2, s2, s6
	v_lshlrev_b32_e32 v1, 4, v76
	s_ashr_i32 s3, s2, 31
	v_mul_lo_u32 v20, v2, s4
	s_lshl_b64 s[2:3], s[2:3], 1
	v_lshlrev_b32_e32 v3, 6, v75
	v_and_b32_e32 v0, 0x3800, v0
	s_delay_alu instid0(VALU_DEP_1) | instskip(NEXT) | instid1(VALU_DEP_4)
	v_or3_b32 v16, v0, v1, v3
	v_ashrrev_i32_e32 v21, 31, v20
	ds_load_b128 v[0:3], v16
	ds_load_b128 v[4:7], v16 offset:128
	s_waitcnt lgkmcnt(0)
	s_add_u32 s2, s0, s2
	s_addc_u32 s3, s1, s3
	s_lshl_b32 s0, s14, 7
	ds_load_b128 v[8:11], v16 offset:256
	ds_load_b128 v[12:15], v16 offset:384
	;; [unrolled: 1-line block ×3, first 2 shown]
	s_ashr_i32 s1, s0, 31
	s_delay_alu instid0(SALU_CYCLE_1) | instskip(NEXT) | instid1(SALU_CYCLE_1)
	s_lshl_b64 s[0:1], s[0:1], 1
	s_add_u32 s0, s2, s0
	s_addc_u32 s1, s3, s1
	s_lshl_b32 s2, s34, 8
	v_add_co_u32 v30, vcc_lo, s0, v73
	v_add_nc_u32_e32 v22, s2, v20
	v_lshlrev_b64 v[20:21], 1, v[20:21]
	v_add_co_ci_u32_e32 v31, vcc_lo, s1, v74, vcc_lo
	s_delay_alu instid0(VALU_DEP_3) | instskip(SKIP_1) | instid1(VALU_DEP_4)
	v_add_nc_u32_e32 v24, s2, v22
	v_ashrrev_i32_e32 v23, 31, v22
	v_add_co_u32 v20, vcc_lo, v30, v20
	s_delay_alu instid0(VALU_DEP_4) | instskip(NEXT) | instid1(VALU_DEP_4)
	v_add_co_ci_u32_e32 v21, vcc_lo, v31, v21, vcc_lo
	v_add_nc_u32_e32 v26, s2, v24
	v_ashrrev_i32_e32 v25, 31, v24
	v_lshlrev_b64 v[22:23], 1, v[22:23]
	s_delay_alu instid0(VALU_DEP_3) | instskip(SKIP_1) | instid1(VALU_DEP_4)
	v_add_nc_u32_e32 v28, s2, v26
	v_ashrrev_i32_e32 v27, 31, v26
	v_lshlrev_b64 v[24:25], 1, v[24:25]
	s_delay_alu instid0(VALU_DEP_4) | instskip(NEXT) | instid1(VALU_DEP_4)
	v_add_co_u32 v22, vcc_lo, v30, v22
	v_ashrrev_i32_e32 v29, 31, v28
	s_delay_alu instid0(VALU_DEP_4) | instskip(SKIP_2) | instid1(VALU_DEP_4)
	v_lshlrev_b64 v[26:27], 1, v[26:27]
	v_add_co_ci_u32_e32 v23, vcc_lo, v31, v23, vcc_lo
	v_add_co_u32 v24, vcc_lo, v30, v24
	v_lshlrev_b64 v[28:29], 1, v[28:29]
	v_add_co_ci_u32_e32 v25, vcc_lo, v31, v25, vcc_lo
	v_add_co_u32 v26, vcc_lo, v30, v26
	v_add_co_ci_u32_e32 v27, vcc_lo, v31, v27, vcc_lo
	s_delay_alu instid0(VALU_DEP_4)
	v_add_co_u32 v28, vcc_lo, v30, v28
	v_add_co_ci_u32_e32 v29, vcc_lo, v31, v29, vcc_lo
	s_clause 0x1
	global_store_b128 v[20:21], v[0:3], off
	global_store_b128 v[22:23], v[4:7], off
	s_waitcnt lgkmcnt(2)
	global_store_b128 v[24:25], v[8:11], off
	s_waitcnt lgkmcnt(1)
	;; [unrolled: 2-line block ×3, first 2 shown]
	global_store_b128 v[28:29], v[16:19], off
	s_nop 0
	s_sendmsg sendmsg(MSG_DEALLOC_VGPRS)
	s_endpgm
	.section	.rodata,"a",@progbits
	.p2align	6, 0x0
	.amdhsa_kernel _Z39paged_attention_ll4mi_QKV_mfma16_kernelIDF16_DF16_LN4vllm18Fp8KVCacheDataTypeE0EDF16_Li32ELi128ELi256ELb1ELi10EL8MFMAType0EEvPKT_PKT0_S8_ifPKiSA_SA_iPKfiiiPfSD_PS3_PT2_iSC_SC_
		.amdhsa_group_segment_fixed_size 17472
		.amdhsa_private_segment_fixed_size 0
		.amdhsa_kernarg_size 400
		.amdhsa_user_sgpr_count 13
		.amdhsa_user_sgpr_dispatch_ptr 0
		.amdhsa_user_sgpr_queue_ptr 0
		.amdhsa_user_sgpr_kernarg_segment_ptr 1
		.amdhsa_user_sgpr_dispatch_id 0
		.amdhsa_user_sgpr_private_segment_size 0
		.amdhsa_wavefront_size32 1
		.amdhsa_uses_dynamic_stack 0
		.amdhsa_enable_private_segment 0
		.amdhsa_system_sgpr_workgroup_id_x 1
		.amdhsa_system_sgpr_workgroup_id_y 1
		.amdhsa_system_sgpr_workgroup_id_z 1
		.amdhsa_system_sgpr_workgroup_info 0
		.amdhsa_system_vgpr_workitem_id 0
		.amdhsa_next_free_vgpr 172
		.amdhsa_next_free_sgpr 38
		.amdhsa_reserve_vcc 1
		.amdhsa_float_round_mode_32 0
		.amdhsa_float_round_mode_16_64 0
		.amdhsa_float_denorm_mode_32 3
		.amdhsa_float_denorm_mode_16_64 3
		.amdhsa_dx10_clamp 1
		.amdhsa_ieee_mode 1
		.amdhsa_fp16_overflow 0
		.amdhsa_workgroup_processor_mode 1
		.amdhsa_memory_ordered 1
		.amdhsa_forward_progress 0
		.amdhsa_shared_vgpr_count 0
		.amdhsa_exception_fp_ieee_invalid_op 0
		.amdhsa_exception_fp_denorm_src 0
		.amdhsa_exception_fp_ieee_div_zero 0
		.amdhsa_exception_fp_ieee_overflow 0
		.amdhsa_exception_fp_ieee_underflow 0
		.amdhsa_exception_fp_ieee_inexact 0
		.amdhsa_exception_int_div_zero 0
	.end_amdhsa_kernel
	.section	.text._Z39paged_attention_ll4mi_QKV_mfma16_kernelIDF16_DF16_LN4vllm18Fp8KVCacheDataTypeE0EDF16_Li32ELi128ELi256ELb1ELi10EL8MFMAType0EEvPKT_PKT0_S8_ifPKiSA_SA_iPKfiiiPfSD_PS3_PT2_iSC_SC_,"axG",@progbits,_Z39paged_attention_ll4mi_QKV_mfma16_kernelIDF16_DF16_LN4vllm18Fp8KVCacheDataTypeE0EDF16_Li32ELi128ELi256ELb1ELi10EL8MFMAType0EEvPKT_PKT0_S8_ifPKiSA_SA_iPKfiiiPfSD_PS3_PT2_iSC_SC_,comdat
.Lfunc_end355:
	.size	_Z39paged_attention_ll4mi_QKV_mfma16_kernelIDF16_DF16_LN4vllm18Fp8KVCacheDataTypeE0EDF16_Li32ELi128ELi256ELb1ELi10EL8MFMAType0EEvPKT_PKT0_S8_ifPKiSA_SA_iPKfiiiPfSD_PS3_PT2_iSC_SC_, .Lfunc_end355-_Z39paged_attention_ll4mi_QKV_mfma16_kernelIDF16_DF16_LN4vllm18Fp8KVCacheDataTypeE0EDF16_Li32ELi128ELi256ELb1ELi10EL8MFMAType0EEvPKT_PKT0_S8_ifPKiSA_SA_iPKfiiiPfSD_PS3_PT2_iSC_SC_
                                        ; -- End function
	.section	.AMDGPU.csdata,"",@progbits
; Kernel info:
; codeLenInByte = 7560
; NumSgprs: 40
; NumVgprs: 172
; ScratchSize: 0
; MemoryBound: 0
; FloatMode: 240
; IeeeMode: 1
; LDSByteSize: 17472 bytes/workgroup (compile time only)
; SGPRBlocks: 4
; VGPRBlocks: 21
; NumSGPRsForWavesPerEU: 40
; NumVGPRsForWavesPerEU: 172
; Occupancy: 8
; WaveLimiterHint : 1
; COMPUTE_PGM_RSRC2:SCRATCH_EN: 0
; COMPUTE_PGM_RSRC2:USER_SGPR: 13
; COMPUTE_PGM_RSRC2:TRAP_HANDLER: 0
; COMPUTE_PGM_RSRC2:TGID_X_EN: 1
; COMPUTE_PGM_RSRC2:TGID_Y_EN: 1
; COMPUTE_PGM_RSRC2:TGID_Z_EN: 1
; COMPUTE_PGM_RSRC2:TIDIG_COMP_CNT: 0
	.section	.text._Z39paged_attention_ll4mi_QKV_mfma16_kernelIDF16_DF16_LN4vllm18Fp8KVCacheDataTypeE0EDF16_Li32ELi128ELi256ELb1ELi11EL8MFMAType0EEvPKT_PKT0_S8_ifPKiSA_SA_iPKfiiiPfSD_PS3_PT2_iSC_SC_,"axG",@progbits,_Z39paged_attention_ll4mi_QKV_mfma16_kernelIDF16_DF16_LN4vllm18Fp8KVCacheDataTypeE0EDF16_Li32ELi128ELi256ELb1ELi11EL8MFMAType0EEvPKT_PKT0_S8_ifPKiSA_SA_iPKfiiiPfSD_PS3_PT2_iSC_SC_,comdat
	.protected	_Z39paged_attention_ll4mi_QKV_mfma16_kernelIDF16_DF16_LN4vllm18Fp8KVCacheDataTypeE0EDF16_Li32ELi128ELi256ELb1ELi11EL8MFMAType0EEvPKT_PKT0_S8_ifPKiSA_SA_iPKfiiiPfSD_PS3_PT2_iSC_SC_ ; -- Begin function _Z39paged_attention_ll4mi_QKV_mfma16_kernelIDF16_DF16_LN4vllm18Fp8KVCacheDataTypeE0EDF16_Li32ELi128ELi256ELb1ELi11EL8MFMAType0EEvPKT_PKT0_S8_ifPKiSA_SA_iPKfiiiPfSD_PS3_PT2_iSC_SC_
	.globl	_Z39paged_attention_ll4mi_QKV_mfma16_kernelIDF16_DF16_LN4vllm18Fp8KVCacheDataTypeE0EDF16_Li32ELi128ELi256ELb1ELi11EL8MFMAType0EEvPKT_PKT0_S8_ifPKiSA_SA_iPKfiiiPfSD_PS3_PT2_iSC_SC_
	.p2align	8
	.type	_Z39paged_attention_ll4mi_QKV_mfma16_kernelIDF16_DF16_LN4vllm18Fp8KVCacheDataTypeE0EDF16_Li32ELi128ELi256ELb1ELi11EL8MFMAType0EEvPKT_PKT0_S8_ifPKiSA_SA_iPKfiiiPfSD_PS3_PT2_iSC_SC_,@function
_Z39paged_attention_ll4mi_QKV_mfma16_kernelIDF16_DF16_LN4vllm18Fp8KVCacheDataTypeE0EDF16_Li32ELi128ELi256ELb1ELi11EL8MFMAType0EEvPKT_PKT0_S8_ifPKiSA_SA_iPKfiiiPfSD_PS3_PT2_iSC_SC_: ; @_Z39paged_attention_ll4mi_QKV_mfma16_kernelIDF16_DF16_LN4vllm18Fp8KVCacheDataTypeE0EDF16_Li32ELi128ELi256ELb1ELi11EL8MFMAType0EEvPKT_PKT0_S8_ifPKiSA_SA_iPKfiiiPfSD_PS3_PT2_iSC_SC_
; %bb.0:
	s_load_b64 s[2:3], s[0:1], 0x30
	s_mov_b32 s34, s13
	s_waitcnt lgkmcnt(0)
	s_cmp_lg_u64 s[2:3], 0
	s_cselect_b32 s6, -1, 0
	s_ashr_i32 s35, s13, 31
	s_cmp_eq_u64 s[2:3], 0
	s_cbranch_scc1 .LBB356_3
; %bb.1:
	s_lshl_b64 s[4:5], s[34:35], 2
	s_delay_alu instid0(SALU_CYCLE_1) | instskip(SKIP_4) | instid1(SALU_CYCLE_1)
	s_add_u32 s4, s2, s4
	s_addc_u32 s5, s3, s5
	s_load_b64 s[4:5], s[4:5], 0x0
	s_waitcnt lgkmcnt(0)
	s_sub_i32 s4, s5, s4
	s_cmp_eq_u32 s4, 1
	s_cselect_b32 s4, -1, 0
	s_delay_alu instid0(SALU_CYCLE_1)
	s_and_not1_b32 vcc_lo, exec_lo, s4
	s_cbranch_vccz .LBB356_4
.LBB356_2:
	s_nop 0
	s_sendmsg sendmsg(MSG_DEALLOC_VGPRS)
	s_endpgm
.LBB356_3:
.LBB356_4:
	s_load_b64 s[8:9], s[0:1], 0x28
	s_lshl_b64 s[4:5], s[34:35], 2
	s_waitcnt lgkmcnt(0)
	s_add_u32 s8, s8, s4
	s_addc_u32 s9, s9, s5
	s_lshl_b32 s12, s14, 8
	s_load_b32 s17, s[8:9], 0x0
	s_waitcnt lgkmcnt(0)
	s_cmp_ge_i32 s12, s17
	s_cbranch_scc1 .LBB356_2
; %bb.5:
	s_and_not1_b32 vcc_lo, exec_lo, s6
	s_cbranch_vccnz .LBB356_7
; %bb.6:
	s_add_u32 s2, s2, s4
	s_addc_u32 s3, s3, s5
	s_load_b32 s13, s[2:3], 0x0
	s_branch .LBB356_8
.LBB356_7:
	s_mov_b32 s13, s34
.LBB356_8:
	s_clause 0x2
	s_load_b128 s[8:11], s[0:1], 0x8
	s_load_b64 s[2:3], s[0:1], 0x20
	s_load_b128 s[4:7], s[0:1], 0x48
	v_lshrrev_b32_e32 v78, 5, v0
	v_bfe_u32 v75, v0, 4, 1
	v_and_b32_e32 v77, 15, v0
	s_waitcnt lgkmcnt(0)
	s_mov_b32 s7, exec_lo
	s_delay_alu instid0(VALU_DEP_2) | instskip(NEXT) | instid1(VALU_DEP_2)
	v_lshl_or_b32 v3, v78, 1, v75
	v_lshlrev_b32_e32 v1, 3, v77
	s_delay_alu instid0(VALU_DEP_2)
	v_cmpx_lt_u32_e32 10, v3
	s_xor_b32 s7, exec_lo, s7
; %bb.9:
	v_mov_b32_e32 v2, 0
                                        ; implicit-def: $vgpr3
; %bb.10:
	s_or_saveexec_b32 s7, s7
	v_and_b32_e32 v80, 31, v0
	v_and_b32_e32 v76, 1, v0
	s_mul_i32 s31, s15, 11
	s_xor_b32 exec_lo, exec_lo, s7
	s_cbranch_execz .LBB356_12
; %bb.11:
	s_load_b64 s[18:19], s[0:1], 0x0
	v_add_lshl_u32 v4, v3, s31, 7
	s_mul_hi_i32 s21, s13, s4
	s_mul_i32 s20, s13, s4
	v_lshlrev_b32_e32 v2, 1, v1
	s_lshl_b64 s[20:21], s[20:21], 1
	v_ashrrev_i32_e32 v5, 31, v4
	v_lshlrev_b32_e32 v3, 6, v3
	v_lshlrev_b32_e32 v8, 10, v76
	s_delay_alu instid0(VALU_DEP_3) | instskip(SKIP_3) | instid1(VALU_DEP_1)
	v_lshlrev_b64 v[4:5], 1, v[4:5]
	s_waitcnt lgkmcnt(0)
	s_add_u32 s4, s18, s20
	s_addc_u32 s13, s19, s21
	v_add_co_u32 v4, vcc_lo, s4, v4
	s_delay_alu instid0(VALU_DEP_2) | instskip(NEXT) | instid1(VALU_DEP_2)
	v_add_co_ci_u32_e32 v5, vcc_lo, s13, v5, vcc_lo
	v_add_co_u32 v4, vcc_lo, v4, v2
	s_delay_alu instid0(VALU_DEP_2) | instskip(SKIP_3) | instid1(VALU_DEP_1)
	v_add_co_ci_u32_e32 v5, vcc_lo, 0, v5, vcc_lo
	v_lshlrev_b32_e32 v2, 10, v77
	global_load_b128 v[4:7], v[4:5], off
	v_and_b32_e32 v2, 0x3800, v2
	v_or3_b32 v3, v2, v8, v3
	v_mov_b32_e32 v2, 0
	s_waitcnt vmcnt(0)
	ds_store_b128 v3, v[4:7]
.LBB356_12:
	s_or_b32 exec_lo, exec_lo, s7
	v_and_b32_e32 v3, 0xef, v0
	s_add_i32 s4, s17, 31
	s_clause 0x1
	s_load_b32 s7, s[0:1], 0x38
	s_load_b32 s33, s[0:1], 0x98
	s_ashr_i32 s13, s4, 31
	v_add_nc_u32_e32 v3, s12, v3
	s_lshr_b32 s13, s13, 27
	s_load_b32 s18, s[0:1], 0x1c
	s_add_i32 s4, s4, s13
	s_waitcnt lgkmcnt(0)
	v_ashrrev_i32_e32 v4, 31, v3
	v_cmp_gt_i32_e32 vcc_lo, s17, v3
	s_ashr_i32 s4, s4, 5
	s_barrier
	s_add_i32 s4, s4, -1
	v_lshrrev_b32_e32 v5, 27, v4
	v_or_b32_e32 v4, 16, v3
	buffer_gl0_inv
	v_lshlrev_b64 v[73:74], 1, v[1:2]
	v_lshlrev_b32_e32 v79, 6, v77
	v_add_nc_u32_e32 v6, v3, v5
	v_add_nc_u32_e32 v5, v4, v5
	s_mul_i32 s20, s34, s7
	s_delay_alu instid0(SALU_CYCLE_1) | instskip(NEXT) | instid1(VALU_DEP_2)
	s_ashr_i32 s21, s20, 31
	v_ashrrev_i32_e32 v6, 5, v6
	s_delay_alu instid0(VALU_DEP_2) | instskip(SKIP_1) | instid1(SALU_CYCLE_1)
	v_ashrrev_i32_e32 v5, 5, v5
	s_lshl_b64 s[20:21], s[20:21], 2
	s_add_u32 s13, s2, s20
	s_delay_alu instid0(VALU_DEP_2) | instskip(SKIP_3) | instid1(SALU_CYCLE_1)
	v_cndmask_b32_e32 v3, s4, v6, vcc_lo
	v_cmp_gt_i32_e32 vcc_lo, s17, v4
	s_addc_u32 s16, s3, s21
	s_mul_i32 s2, s15, s6
	s_ashr_i32 s3, s2, 31
	v_cndmask_b32_e32 v5, s4, v5, vcc_lo
	v_ashrrev_i32_e32 v4, 31, v3
	s_lshl_b64 s[2:3], s[2:3], 1
	s_delay_alu instid0(SALU_CYCLE_1) | instskip(NEXT) | instid1(VALU_DEP_2)
	s_add_u32 s15, s8, s2
	v_ashrrev_i32_e32 v6, 31, v5
	s_delay_alu instid0(VALU_DEP_2) | instskip(SKIP_2) | instid1(VALU_DEP_2)
	v_lshlrev_b64 v[3:4], 2, v[3:4]
	s_addc_u32 s19, s9, s3
	s_lshl_b32 s6, s14, 3
	v_lshlrev_b64 v[5:6], 2, v[5:6]
	s_ashr_i32 s7, s6, 31
	s_delay_alu instid0(VALU_DEP_2) | instskip(SKIP_1) | instid1(VALU_DEP_3)
	v_add_co_u32 v3, vcc_lo, s13, v3
	v_add_co_ci_u32_e32 v4, vcc_lo, s16, v4, vcc_lo
	v_add_co_u32 v5, vcc_lo, s13, v5
	s_delay_alu instid0(VALU_DEP_4)
	v_add_co_ci_u32_e32 v6, vcc_lo, s16, v6, vcc_lo
	s_lshl_b64 s[6:7], s[6:7], 2
	s_clause 0x1
	global_load_b32 v7, v[3:4], off
	global_load_b32 v8, v[5:6], off
	s_add_u32 s6, s13, s6
	s_addc_u32 s7, s16, s7
	s_or_b32 s8, s12, 32
	s_delay_alu instid0(SALU_CYCLE_1) | instskip(SKIP_2) | instid1(SALU_CYCLE_1)
	s_ashr_i32 s9, s8, 5
	s_cmp_lt_i32 s8, s17
	s_cselect_b32 s8, s9, s4
	s_ashr_i32 s9, s8, 31
	s_delay_alu instid0(SALU_CYCLE_1) | instskip(NEXT) | instid1(SALU_CYCLE_1)
	s_lshl_b64 s[8:9], s[8:9], 2
	s_add_u32 s8, s13, s8
	s_addc_u32 s9, s16, s9
	s_or_b32 s20, s12, 64
	s_delay_alu instid0(SALU_CYCLE_1) | instskip(SKIP_2) | instid1(SALU_CYCLE_1)
	s_ashr_i32 s21, s20, 5
	s_cmp_lt_i32 s20, s17
	s_cselect_b32 s20, s21, s4
	s_ashr_i32 s21, s20, 31
	s_delay_alu instid0(SALU_CYCLE_1) | instskip(NEXT) | instid1(SALU_CYCLE_1)
	s_lshl_b64 s[20:21], s[20:21], 2
	;; [unrolled: 10-line block ×5, first 2 shown]
	s_add_u32 s26, s13, s26
	s_addc_u32 s27, s16, s27
	s_clause 0x5
	s_load_b32 s28, s[6:7], 0x0
	s_load_b32 s29, s[8:9], 0x0
	;; [unrolled: 1-line block ×6, first 2 shown]
	s_mov_b32 s20, 0
	s_or_b32 s6, s12, 0xc0
	s_mov_b32 s21, s20
	s_mov_b32 s22, s20
	;; [unrolled: 1-line block ×7, first 2 shown]
	s_ashr_i32 s7, s6, 5
	v_mov_b32_e32 v128, s27
	s_cmp_lt_i32 s6, s17
	v_mov_b32_e32 v127, s26
	s_cselect_b32 s6, s7, s4
	v_mov_b32_e32 v126, s25
	s_ashr_i32 s7, s6, 31
	v_mov_b32_e32 v125, s24
	s_lshl_b64 s[6:7], s[6:7], 2
	v_mov_b32_e32 v124, s23
	s_add_u32 s6, s13, s6
	s_addc_u32 s7, s16, s7
	v_mov_b32_e32 v123, s22
	v_mov_b32_e32 v121, s20
	s_waitcnt lgkmcnt(0)
	s_mul_hi_i32 s9, s28, s5
	s_mul_i32 s8, s28, s5
	s_mul_hi_i32 s37, s38, s5
	v_mov_b32_e32 v122, s21
	s_mul_hi_i32 s21, s29, s5
	s_mul_i32 s20, s29, s5
	s_mul_hi_i32 s25, s30, s5
	s_mul_i32 s24, s30, s5
	;; [unrolled: 2-line block ×3, first 2 shown]
	s_waitcnt vmcnt(1)
	v_mad_i64_i32 v[3:4], null, v7, s5, 0
	s_waitcnt vmcnt(0)
	v_mad_i64_i32 v[5:6], null, v8, s5, 0
	s_delay_alu instid0(VALU_DEP_2) | instskip(NEXT) | instid1(VALU_DEP_2)
	v_lshlrev_b64 v[3:4], 1, v[3:4]
	v_lshlrev_b64 v[1:2], 1, v[5:6]
	s_delay_alu instid0(VALU_DEP_2) | instskip(NEXT) | instid1(VALU_DEP_3)
	v_add_co_u32 v3, vcc_lo, s15, v3
	v_add_co_ci_u32_e32 v4, vcc_lo, s19, v4, vcc_lo
	s_delay_alu instid0(VALU_DEP_3) | instskip(NEXT) | instid1(VALU_DEP_4)
	v_add_co_u32 v1, vcc_lo, s15, v1
	v_add_co_ci_u32_e32 v2, vcc_lo, s19, v2, vcc_lo
	s_delay_alu instid0(VALU_DEP_4) | instskip(NEXT) | instid1(VALU_DEP_4)
	v_add_co_u32 v65, vcc_lo, v3, v73
	v_add_co_ci_u32_e32 v66, vcc_lo, v4, v74, vcc_lo
	s_delay_alu instid0(VALU_DEP_4) | instskip(NEXT) | instid1(VALU_DEP_4)
	v_add_co_u32 v67, vcc_lo, v1, v73
	v_add_co_ci_u32_e32 v68, vcc_lo, v2, v74, vcc_lo
	s_clause 0xf
	global_load_b128 v[1:4], v[65:66], off
	global_load_b128 v[5:8], v[65:66], off offset:512
	global_load_b128 v[9:12], v[67:68], off offset:256
	;; [unrolled: 1-line block ×15, first 2 shown]
	v_add_co_u32 v157, vcc_lo, 0x1000, v65
	v_add_co_ci_u32_e32 v158, vcc_lo, 0, v66, vcc_lo
	v_add_co_u32 v165, vcc_lo, 0x1000, v67
	v_add_co_ci_u32_e32 v166, vcc_lo, 0, v68, vcc_lo
	s_clause 0x7
	global_load_b128 v[81:84], v[157:158], off
	global_load_b128 v[85:88], v[157:158], off offset:512
	global_load_b128 v[89:92], v[165:166], off offset:256
	global_load_b128 v[93:96], v[165:166], off offset:768
	global_load_b128 v[97:100], v[157:158], off offset:1024
	global_load_b128 v[101:104], v[157:158], off offset:1536
	global_load_b128 v[105:108], v[165:166], off offset:1280
	global_load_b128 v[109:112], v[165:166], off offset:1792
	v_add_nc_u32_e32 v65, -11, v77
	v_cmp_gt_u32_e32 vcc_lo, 11, v77
	s_or_b32 s15, s12, 0xe0
	s_delay_alu instid0(SALU_CYCLE_1) | instskip(SKIP_3) | instid1(SALU_CYCLE_1)
	s_ashr_i32 s19, s15, 5
	s_cmp_lt_i32 s15, s17
	v_cndmask_b32_e32 v65, v65, v77, vcc_lo
	s_cselect_b32 s22, s19, s4
	s_ashr_i32 s23, s22, 31
	s_delay_alu instid0(VALU_DEP_1)
	v_lshlrev_b32_e32 v169, 6, v65
	ds_load_b128 v[65:68], v169
	ds_load_b128 v[69:72], v169 offset:1024
	s_clause 0x1
	global_load_b128 v[113:116], v[157:158], off offset:2048
	global_load_b128 v[117:120], v[157:158], off offset:2560
	ds_load_b128 v[129:132], v169 offset:2048
	ds_load_b128 v[133:136], v169 offset:3072
	s_clause 0x5
	global_load_b128 v[145:148], v[165:166], off offset:2304
	global_load_b128 v[149:152], v[165:166], off offset:2816
	;; [unrolled: 1-line block ×6, first 2 shown]
	s_lshl_b64 s[22:23], s[22:23], 2
	s_delay_alu instid0(SALU_CYCLE_1) | instskip(SKIP_2) | instid1(SALU_CYCLE_1)
	s_add_u32 s22, s13, s22
	s_addc_u32 s23, s16, s23
	s_add_i32 s15, s12, 0x100
	s_ashr_i32 s19, s15, 5
	s_cmp_lt_i32 s15, s17
	s_cselect_b32 s28, s19, s4
	s_delay_alu instid0(SALU_CYCLE_1) | instskip(NEXT) | instid1(SALU_CYCLE_1)
	s_ashr_i32 s29, s28, 31
	s_lshl_b64 s[28:29], s[28:29], 2
	s_delay_alu instid0(SALU_CYCLE_1)
	s_add_u32 s28, s13, s28
	s_addc_u32 s29, s16, s29
	s_add_u32 s4, s10, s2
	s_addc_u32 s19, s11, s3
	s_lshl_b64 s[2:3], s[8:9], 1
	s_lshl_b64 s[8:9], s[20:21], 1
	;; [unrolled: 1-line block ×4, first 2 shown]
	s_waitcnt vmcnt(30) lgkmcnt(2)
	v_wmma_f32_16x16x16_f16 v[137:144], v[1:8], v[65:72], v[121:128]
	ds_load_b128 v[1:4], v169 offset:4096
	ds_load_b128 v[5:8], v169 offset:5120
	s_waitcnt vmcnt(28)
	v_wmma_f32_16x16x16_f16 v[121:128], v[9:16], v[65:72], v[121:128]
	ds_load_b128 v[9:12], v169 offset:6144
	ds_load_b128 v[13:16], v169 offset:7168
	s_waitcnt vmcnt(26) lgkmcnt(4)
	v_wmma_f32_16x16x16_f16 v[137:144], v[17:24], v[129:136], v[137:144]
	ds_load_b128 v[17:20], v169 offset:8192
	ds_load_b128 v[21:24], v169 offset:9216
	s_waitcnt vmcnt(24)
	v_wmma_f32_16x16x16_f16 v[121:128], v[25:32], v[129:136], v[121:128]
	v_lshl_or_b32 v25, v78, 10, v79
	ds_load_b128 v[129:132], v169 offset:10240
	ds_load_b128 v[133:136], v169 offset:11264
	s_clause 0x2
	s_load_b32 s15, s[6:7], 0x0
	s_load_b32 s13, s[22:23], 0x0
	;; [unrolled: 1-line block ×3, first 2 shown]
	s_mul_hi_i32 s7, s36, s5
	v_add_co_u32 v170, s4, s4, v25
	s_delay_alu instid0(VALU_DEP_1)
	v_add_co_ci_u32_e64 v171, null, s19, 0, s4
	s_mul_i32 s6, s36, s5
	s_mul_i32 s36, s38, s5
	s_lshl_b64 s[6:7], s[6:7], 1
	s_lshl_b64 s[22:23], s[36:37], 1
	s_waitcnt vmcnt(22) lgkmcnt(0)
	v_wmma_f32_16x16x16_f16 v[137:144], v[33:40], v[1:8], v[137:144]
	s_waitcnt vmcnt(20)
	v_wmma_f32_16x16x16_f16 v[121:128], v[41:48], v[1:8], v[121:128]
	v_add_co_u32 v1, vcc_lo, v170, s2
	v_add_co_ci_u32_e32 v2, vcc_lo, s3, v171, vcc_lo
	v_add_co_u32 v3, vcc_lo, v170, s8
	v_add_co_ci_u32_e32 v4, vcc_lo, s9, v171, vcc_lo
	;; [unrolled: 2-line block ×4, first 2 shown]
	v_add_co_u32 v25, vcc_lo, v170, s6
	s_mul_hi_i32 s25, s15, s5
	s_mul_i32 s24, s15, s5
	v_add_co_ci_u32_e32 v26, vcc_lo, s7, v171, vcc_lo
	v_add_co_u32 v27, vcc_lo, v170, s22
	s_lshl_b64 s[24:25], s[24:25], 1
	s_waitcnt vmcnt(18)
	v_wmma_f32_16x16x16_f16 v[137:144], v[49:56], v[9:16], v[137:144]
	s_waitcnt vmcnt(16)
	v_wmma_f32_16x16x16_f16 v[121:128], v[57:64], v[9:16], v[121:128]
	v_add_co_ci_u32_e32 v28, vcc_lo, s23, v171, vcc_lo
	s_mul_hi_i32 s3, s13, s5
	s_mul_i32 s2, s13, s5
	v_add_co_u32 v29, vcc_lo, v170, s24
	s_lshl_b64 s[2:3], s[2:3], 1
	v_add_co_ci_u32_e32 v30, vcc_lo, s25, v171, vcc_lo
	s_waitcnt vmcnt(14)
	v_wmma_f32_16x16x16_f16 v[137:144], v[81:88], v[17:24], v[137:144]
	s_waitcnt vmcnt(12)
	v_wmma_f32_16x16x16_f16 v[121:128], v[89:96], v[17:24], v[121:128]
	v_add_co_u32 v17, vcc_lo, v170, s2
	v_add_co_ci_u32_e32 v18, vcc_lo, s3, v171, vcc_lo
	s_mul_hi_i32 s3, s16, s5
	s_mul_i32 s2, s16, s5
	s_clause 0x5
	global_load_b128 v[65:68], v[1:2], off
	global_load_b128 v[69:72], v[1:2], off offset:16
	global_load_b128 v[57:60], v[3:4], off
	global_load_b128 v[61:64], v[3:4], off offset:16
	;; [unrolled: 2-line block ×3, first 2 shown]
	s_lshl_b64 s[2:3], s[2:3], 1
	s_clause 0x1
	global_load_b128 v[41:44], v[7:8], off
	global_load_b128 v[45:48], v[7:8], off offset:16
	v_add_co_u32 v21, vcc_lo, v170, s2
	v_add_co_ci_u32_e32 v22, vcc_lo, s3, v171, vcc_lo
	s_clause 0x9
	global_load_b128 v[9:12], v[25:26], off
	global_load_b128 v[13:16], v[25:26], off offset:16
	global_load_b128 v[1:4], v[27:28], off
	global_load_b128 v[5:8], v[27:28], off offset:16
	;; [unrolled: 2-line block ×5, first 2 shown]
	ds_load_b128 v[81:84], v169 offset:12288
	ds_load_b128 v[85:88], v169 offset:13312
	v_and_b32_e32 v89, 0xe0, v0
	s_waitcnt vmcnt(28)
	v_wmma_f32_16x16x16_f16 v[137:144], v[97:104], v[129:136], v[137:144]
	v_mbcnt_lo_u32_b32 v97, -1, 0
	s_waitcnt vmcnt(26)
	v_wmma_f32_16x16x16_f16 v[121:128], v[105:112], v[129:136], v[121:128]
	v_add_nc_u32_e32 v98, s12, v89
	ds_load_b128 v[89:92], v169 offset:14336
	ds_load_b128 v[93:96], v169 offset:15360
	v_xor_b32_e32 v99, 16, v97
	s_waitcnt vmcnt(0) lgkmcnt(0)
	s_barrier
	v_or_b32_e32 v98, v98, v75
	buffer_gl0_inv
	v_cmp_gt_i32_e32 vcc_lo, 32, v99
	v_or_b32_e32 v100, 4, v98
	v_or_b32_e32 v101, 22, v98
	;; [unrolled: 1-line block ×4, first 2 shown]
	v_wmma_f32_16x16x16_f16 v[137:144], v[113:120], v[81:88], v[137:144]
	v_wmma_f32_16x16x16_f16 v[121:128], v[145:152], v[81:88], v[121:128]
	v_or_b32_e32 v81, 6, v98
	v_or_b32_e32 v82, 8, v98
	;; [unrolled: 1-line block ×3, first 2 shown]
	v_cmp_gt_i32_e64 s3, s17, v100
	v_or_b32_e32 v84, 12, v98
	v_wmma_f32_16x16x16_f16 v[137:144], v[153:160], v[89:96], v[137:144]
	v_wmma_f32_16x16x16_f16 v[121:128], v[161:168], v[89:96], v[121:128]
	v_cndmask_b32_e32 v97, v97, v99, vcc_lo
	v_or_b32_e32 v99, 2, v98
	v_cmp_gt_i32_e32 vcc_lo, s17, v98
	v_dual_mul_f32 v95, s18, v138 :: v_dual_mul_f32 v96, s18, v137
	v_mul_f32_e32 v93, s18, v140
	s_delay_alu instid0(VALU_DEP_4)
	v_cmp_gt_i32_e64 s2, s17, v99
	v_mul_f32_e32 v94, s18, v139
	v_mul_f32_e32 v110, s18, v124
	v_cndmask_b32_e32 v96, 0xff7fffff, v96, vcc_lo
	v_cmp_gt_i32_e64 s4, s17, v81
	v_cndmask_b32_e64 v95, 0xff7fffff, v95, s2
	v_or_b32_e32 v85, 14, v98
	v_dual_mul_f32 v91, s18, v142 :: v_dual_mul_f32 v92, s18, v141
	v_cndmask_b32_e64 v94, 0xff7fffff, v94, s3
	v_cndmask_b32_e64 v81, 0xff7fffff, v93, s4
	v_max3_f32 v93, v96, 0xff7fffff, v95
	v_cmp_gt_i32_e64 s5, s17, v82
	v_cmp_gt_i32_e64 s6, s17, v83
	v_or_b32_e32 v86, 16, v98
	v_or_b32_e32 v87, 18, v98
	v_dual_mul_f32 v89, s18, v144 :: v_dual_mul_f32 v112, s18, v122
	v_mul_f32_e32 v90, s18, v143
	v_cndmask_b32_e64 v82, 0xff7fffff, v92, s5
	v_cndmask_b32_e64 v83, 0xff7fffff, v91, s6
	v_max3_f32 v81, v93, v94, v81
	v_cmp_gt_i32_e64 s7, s17, v84
	v_cmp_gt_i32_e64 s8, s17, v85
	v_or_b32_e32 v88, 20, v98
	v_mul_f32_e32 v113, s18, v121
	v_max3_f32 v81, v81, v82, v83
	v_cndmask_b32_e64 v84, 0xff7fffff, v90, s7
	v_cndmask_b32_e64 v85, 0xff7fffff, v89, s8
	v_cmp_gt_i32_e64 s9, s17, v86
	v_cmp_gt_i32_e64 s10, s17, v87
	v_mul_f32_e32 v111, s18, v123
	v_cmp_gt_i32_e64 s11, s17, v88
	v_max3_f32 v81, v81, v84, v85
	v_cndmask_b32_e64 v82, 0xff7fffff, v113, s9
	v_cndmask_b32_e64 v83, 0xff7fffff, v112, s10
	v_cmp_gt_i32_e64 s12, s17, v101
	v_or_b32_e32 v104, 28, v98
	v_or_b32_e32 v105, 30, v98
	v_dual_mul_f32 v108, s18, v126 :: v_dual_mul_f32 v109, s18, v125
	v_cndmask_b32_e64 v84, 0xff7fffff, v111, s11
	v_cndmask_b32_e64 v85, 0xff7fffff, v110, s12
	v_max3_f32 v81, v81, v82, v83
	v_cmp_gt_i32_e64 s13, s17, v102
	v_cmp_gt_i32_e64 s15, s17, v103
	v_dual_mul_f32 v106, s18, v128 :: v_dual_mul_f32 v107, s18, v127
	s_delay_alu instid0(VALU_DEP_4) | instskip(NEXT) | instid1(VALU_DEP_4)
	v_max3_f32 v81, v81, v84, v85
	v_cndmask_b32_e64 v82, 0xff7fffff, v109, s13
	s_delay_alu instid0(VALU_DEP_4) | instskip(SKIP_2) | instid1(VALU_DEP_3)
	v_cndmask_b32_e64 v83, 0xff7fffff, v108, s15
	v_cmp_gt_i32_e64 s16, s17, v104
	v_cmp_gt_i32_e64 s17, s17, v105
	v_max3_f32 v81, v81, v82, v83
	s_delay_alu instid0(VALU_DEP_3) | instskip(NEXT) | instid1(VALU_DEP_3)
	v_cndmask_b32_e64 v84, 0xff7fffff, v107, s16
	v_cndmask_b32_e64 v85, 0xff7fffff, v106, s17
	v_lshlrev_b32_e32 v83, 2, v97
	s_delay_alu instid0(VALU_DEP_2) | instskip(SKIP_3) | instid1(VALU_DEP_1)
	v_max3_f32 v81, v81, v84, v85
	ds_bpermute_b32 v82, v83, v81
	s_waitcnt lgkmcnt(0)
	v_max_f32_e32 v82, v82, v82
	v_max_f32_e32 v81, v81, v82
	s_delay_alu instid0(VALU_DEP_1)
	v_fma_f32 v82, s18, v137, -v81
	v_fma_f32 v84, s18, v138, -v81
	;; [unrolled: 1-line block ×5, first 2 shown]
	v_mul_f32_e32 v82, 0x3fb8aa3b, v82
	s_delay_alu instid0(VALU_DEP_4) | instskip(NEXT) | instid1(VALU_DEP_3)
	v_dual_mul_f32 v84, 0x3fb8aa3b, v84 :: v_dual_mul_f32 v85, 0x3fb8aa3b, v85
	v_dual_mul_f32 v86, 0x3fb8aa3b, v86 :: v_dual_mul_f32 v89, 0x3fb8aa3b, v87
	s_delay_alu instid0(VALU_DEP_3) | instskip(NEXT) | instid1(VALU_DEP_2)
	v_exp_f32_e32 v82, v82
	v_exp_f32_e32 v84, v84
	s_delay_alu instid0(VALU_DEP_2) | instskip(NEXT) | instid1(VALU_DEP_1)
	v_exp_f32_e32 v85, v85
	v_exp_f32_e32 v86, v86
	;; [unrolled: 1-line block ×3, first 2 shown]
	v_cndmask_b32_e32 v88, 0, v82, vcc_lo
	v_cndmask_b32_e64 v87, 0, v84, s2
	s_delay_alu instid0(TRANS32_DEP_3)
	v_cndmask_b32_e64 v90, 0, v85, s3
	s_waitcnt_depctr 0xfff
	v_cndmask_b32_e64 v89, 0, v86, s4
	v_cndmask_b32_e64 v92, 0, v92, s5
	v_add_f32_e32 v84, 0, v88
	v_cmp_gt_u32_e64 s2, 16, v80
	s_delay_alu instid0(VALU_DEP_2) | instskip(NEXT) | instid1(VALU_DEP_1)
	v_add_f32_e32 v84, v84, v87
	v_add_f32_e32 v84, v84, v90
	s_delay_alu instid0(VALU_DEP_1)
	v_add_f32_e32 v84, v84, v89
	v_fma_f32 v82, s18, v142, -v81
	v_fma_f32 v91, s18, v143, -v81
	;; [unrolled: 1-line block ×5, first 2 shown]
	s_delay_alu instid0(VALU_DEP_4) | instskip(SKIP_1) | instid1(VALU_DEP_4)
	v_dual_mul_f32 v82, 0x3fb8aa3b, v82 :: v_dual_mul_f32 v91, 0x3fb8aa3b, v91
	v_fma_f32 v96, s18, v124, -v81
	v_mul_f32_e32 v86, 0x3fb8aa3b, v86
	s_delay_alu instid0(VALU_DEP_4) | instskip(NEXT) | instid1(VALU_DEP_4)
	v_mul_f32_e32 v95, 0x3fb8aa3b, v94
	v_exp_f32_e32 v82, v82
	v_exp_f32_e32 v93, v91
	v_mul_f32_e32 v97, 0x3fb8aa3b, v96
	v_exp_f32_e32 v86, v86
	v_fma_f32 v99, s18, v127, -v81
	s_delay_alu instid0(VALU_DEP_2) | instskip(SKIP_2) | instid1(TRANS32_DEP_3)
	v_exp_f32_e32 v97, v97
	v_cndmask_b32_e64 v91, 0, v82, s6
	v_dual_add_f32 v82, v84, v92 :: v_dual_mul_f32 v85, 0x3fb8aa3b, v85
	v_cndmask_b32_e64 v94, 0, v93, s7
	v_fma_f32 v84, s18, v123, -v81
	s_delay_alu instid0(TRANS32_DEP_2) | instskip(NEXT) | instid1(VALU_DEP_4)
	v_cndmask_b32_e64 v96, 0, v86, s9
	v_add_f32_e32 v82, v82, v91
	v_exp_f32_e32 v85, v85
	v_fma_f32 v86, s18, v126, -v81
	v_mul_f32_e32 v84, 0x3fb8aa3b, v84
	v_cndmask_b32_e64 v97, 0, v97, s12
	v_add_f32_e32 v82, v82, v94
	s_delay_alu instid0(VALU_DEP_3) | instskip(SKIP_3) | instid1(VALU_DEP_2)
	v_exp_f32_e32 v84, v84
	s_waitcnt_depctr 0xfff
	v_cndmask_b32_e64 v93, 0, v85, s8
	v_fma_f32 v85, s18, v125, -v81
	v_add_f32_e32 v82, v82, v93
	v_exp_f32_e32 v95, v95
	s_delay_alu instid0(VALU_DEP_2)
	v_mul_f32_e32 v85, 0x3fb8aa3b, v85
	v_cndmask_b32_e64 v98, 0, v84, s11
	v_mul_f32_e32 v84, 0x3fb8aa3b, v99
	v_add_f32_e32 v82, v82, v96
	v_fma_f32 v99, s18, v128, -v81
	v_exp_f32_e32 v85, v85
	v_mul_f32_e32 v86, 0x3fb8aa3b, v86
	v_exp_f32_e32 v84, v84
	s_delay_alu instid0(TRANS32_DEP_3) | instskip(NEXT) | instid1(VALU_DEP_1)
	v_cndmask_b32_e64 v95, 0, v95, s10
	v_add_f32_e32 v82, v82, v95
	s_waitcnt_depctr 0xfff
	v_cndmask_b32_e64 v100, 0, v85, s13
	v_mul_f32_e32 v85, 0x3fb8aa3b, v99
	v_exp_f32_e32 v86, v86
	v_cndmask_b32_e64 v102, 0, v84, s16
	v_add_f32_e32 v82, v82, v98
	s_delay_alu instid0(VALU_DEP_3) | instskip(NEXT) | instid1(VALU_DEP_1)
	v_exp_f32_e32 v85, v85
	v_add_f32_e32 v82, v82, v97
	s_waitcnt_depctr 0xfff
	v_cndmask_b32_e64 v99, 0, v86, s15
	v_add_f32_e32 v82, v82, v100
	v_cndmask_b32_e64 v101, 0, v85, s17
	s_delay_alu instid0(VALU_DEP_2) | instskip(NEXT) | instid1(VALU_DEP_1)
	v_add_f32_e32 v82, v82, v99
	v_add_f32_e32 v82, v82, v102
	s_delay_alu instid0(VALU_DEP_1)
	v_add_f32_e32 v82, v82, v101
	ds_bpermute_b32 v83, v83, v82
	s_and_saveexec_b32 s3, s2
	s_cbranch_execz .LBB356_14
; %bb.13:
	v_mul_u32_u24_e32 v80, 0x44, v78
	s_waitcnt lgkmcnt(0)
	v_add_f32_e32 v82, v82, v83
	s_delay_alu instid0(VALU_DEP_2) | instskip(NEXT) | instid1(VALU_DEP_1)
	v_lshl_add_u32 v80, v77, 2, v80
	v_add_nc_u32_e32 v80, 0x4000, v80
	ds_store_2addr_b32 v80, v81, v82 offset1:136
.LBB356_14:
	s_or_b32 exec_lo, exec_lo, s3
	v_lshlrev_b32_e32 v80, 2, v77
	s_load_b32 s35, s[0:1], 0x94
	s_waitcnt lgkmcnt(0)
	s_barrier
	buffer_gl0_inv
	v_add_nc_u32_e32 v84, 0x4000, v80
	v_cmp_eq_u32_e32 vcc_lo, 1, v78
	v_cmp_eq_u32_e64 s3, 2, v78
	v_cmp_eq_u32_e64 s4, 3, v78
	;; [unrolled: 1-line block ×3, first 2 shown]
	ds_load_2addr_b32 v[80:81], v84 offset1:17
	ds_load_2addr_b32 v[82:83], v84 offset0:34 offset1:51
	ds_load_2addr_b32 v[103:104], v84 offset0:68 offset1:85
	;; [unrolled: 1-line block ×3, first 2 shown]
	v_cmp_eq_u32_e64 s6, 7, v78
	s_waitcnt lgkmcnt(3)
	v_max3_f32 v85, v80, 0xff7fffff, v81
	s_waitcnt lgkmcnt(2)
	s_delay_alu instid0(VALU_DEP_1) | instskip(SKIP_1) | instid1(VALU_DEP_1)
	v_max3_f32 v85, v85, v82, v83
	s_waitcnt lgkmcnt(1)
	v_max3_f32 v85, v85, v103, v104
	s_waitcnt lgkmcnt(0)
	s_delay_alu instid0(VALU_DEP_1) | instskip(NEXT) | instid1(VALU_DEP_1)
	v_max3_f32 v85, v85, v105, v106
	v_sub_f32_e32 v103, v103, v85
	ds_load_2addr_b32 v[107:108], v84 offset0:136 offset1:153
	v_sub_f32_e32 v80, v80, v85
	v_dual_sub_f32 v110, v83, v85 :: v_dual_mul_f32 v113, 0x3fb8aa3b, v103
	s_delay_alu instid0(VALU_DEP_2) | instskip(SKIP_3) | instid1(VALU_DEP_1)
	v_dual_sub_f32 v86, v81, v85 :: v_dual_mul_f32 v109, 0x3fb8aa3b, v80
	ds_load_2addr_b32 v[80:81], v84 offset0:170 offset1:187
	v_mul_f32_e32 v86, 0x3fb8aa3b, v86
	v_exp_f32_e32 v109, v109
	v_exp_f32_e32 v112, v86
	v_mul_f32_e32 v110, 0x3fb8aa3b, v110
	s_waitcnt lgkmcnt(1)
	s_waitcnt_depctr 0xfff
	v_fma_f32 v86, v109, v107, 0
	v_sub_f32_e32 v107, v104, v85
	v_sub_f32_e32 v82, v82, v85
	v_exp_f32_e32 v110, v110
	ds_load_2addr_b32 v[103:104], v84 offset0:238 offset1:255
	v_dual_fmac_f32 v86, v112, v108 :: v_dual_mul_f32 v111, 0x3fb8aa3b, v82
	ds_load_2addr_b32 v[82:83], v84 offset0:204 offset1:221
	v_dual_sub_f32 v84, v105, v85 :: v_dual_mul_f32 v105, 0x3fb8aa3b, v107
	v_exp_f32_e32 v107, v113
	v_exp_f32_e32 v111, v111
	s_waitcnt lgkmcnt(0)
	s_delay_alu instid0(VALU_DEP_1)
	v_mul_f32_e32 v84, 0x3fb8aa3b, v84
	v_exp_f32_e32 v105, v105
	s_barrier
	buffer_gl0_inv
	v_fmac_f32_e32 v86, v111, v80
	v_sub_f32_e32 v80, v106, v85
	v_exp_f32_e32 v106, v84
	s_delay_alu instid0(VALU_DEP_2) | instskip(NEXT) | instid1(VALU_DEP_2)
	v_fmac_f32_e32 v86, v110, v81
	v_mul_f32_e32 v80, 0x3fb8aa3b, v80
	s_delay_alu instid0(VALU_DEP_2) | instskip(NEXT) | instid1(VALU_DEP_2)
	v_dual_cndmask_b32 v81, v109, v112 :: v_dual_fmac_f32 v86, v107, v82
	v_exp_f32_e32 v108, v80
	s_delay_alu instid0(VALU_DEP_1) | instskip(SKIP_2) | instid1(VALU_DEP_1)
	v_fmac_f32_e32 v86, v105, v83
	s_waitcnt_depctr 0xfff
	v_fmac_f32_e32 v86, v106, v103
	v_fmac_f32_e32 v86, v108, v104
	s_delay_alu instid0(VALU_DEP_1) | instskip(NEXT) | instid1(VALU_DEP_1)
	v_add_f32_e32 v103, 0x358637bd, v86
	v_div_scale_f32 v104, null, v103, v103, 1.0
	v_div_scale_f32 v109, vcc_lo, 1.0, v103, 1.0
	s_delay_alu instid0(VALU_DEP_2) | instskip(SKIP_2) | instid1(VALU_DEP_1)
	v_rcp_f32_e32 v113, v104
	s_waitcnt_depctr 0xfff
	v_fma_f32 v80, -v104, v113, 1.0
	v_fmac_f32_e32 v113, v80, v113
	v_cndmask_b32_e64 v80, v81, v111, s3
	v_cmp_eq_u32_e64 s3, 4, v78
	v_lshl_or_b32 v81, v78, 11, v79
	s_delay_alu instid0(VALU_DEP_4) | instskip(NEXT) | instid1(VALU_DEP_4)
	v_mul_f32_e32 v111, v109, v113
	v_cndmask_b32_e64 v82, v80, v110, s4
	v_cmp_eq_u32_e64 s4, 6, v78
	s_delay_alu instid0(VALU_DEP_4) | instskip(SKIP_3) | instid1(VALU_DEP_3)
	v_lshl_or_b32 v78, v75, 4, v81
	v_lshlrev_b32_e32 v80, 2, v75
	v_fma_f32 v83, -v104, v111, v109
	v_cndmask_b32_e64 v84, v82, v107, s3
	v_or_b32_e32 v82, 1, v80
	s_delay_alu instid0(VALU_DEP_3) | instskip(NEXT) | instid1(VALU_DEP_3)
	v_fmac_f32_e32 v111, v83, v113
	v_cndmask_b32_e64 v105, v84, v105, s5
	v_or_b32_e32 v84, 2, v80
	v_or_b32_e32 v83, 3, v80
	v_cmp_eq_u32_e64 s3, 1, v80
	v_fma_f32 v104, -v104, v111, v109
	v_cndmask_b32_e64 v105, v105, v106, s4
	v_cmp_eq_u32_e64 s9, 1, v82
	v_cmp_eq_u32_e64 s10, 1, v84
	;; [unrolled: 1-line block ×3, first 2 shown]
	v_div_fmas_f32 v104, v104, v113, v111
	v_cndmask_b32_e64 v105, v105, v108, s6
	v_cmp_eq_u32_e32 vcc_lo, 2, v80
	v_cmp_eq_u32_e64 s12, 2, v82
	v_cmp_eq_u32_e64 s15, 2, v84
	v_div_fixup_f32 v103, v104, v103, 1.0
	v_cmp_eq_u32_e64 s16, 2, v83
	v_cmp_eq_u32_e64 s18, 3, v83
	;; [unrolled: 1-line block ×4, first 2 shown]
	v_mul_f32_e32 v111, v105, v103
	v_cmp_eq_u32_e64 s17, 3, v84
	v_cmp_eq_u32_e64 s22, 4, v83
	;; [unrolled: 1-line block ×4, first 2 shown]
	v_fma_mixlo_f16 v103, v111, v88, 0
	v_fma_mixlo_f16 v104, v111, v90, 0
	;; [unrolled: 1-line block ×8, first 2 shown]
	v_fma_mixhi_f16 v103, v111, v87, 0
	v_fma_mixhi_f16 v104, v111, v89, 0
	;; [unrolled: 1-line block ×8, first 2 shown]
	ds_store_b128 v78, v[103:106]
	ds_store_b128 v78, v[107:110] offset:1024
	s_waitcnt lgkmcnt(0)
	s_barrier
	buffer_gl0_inv
	ds_load_b128 v[87:90], v81
	ds_load_b128 v[91:94], v81 offset:16
	ds_load_b128 v[95:98], v81 offset:1024
	ds_load_b128 v[99:102], v81 offset:1040
	v_cmp_eq_u32_e64 s21, 4, v84
	v_cmp_eq_u32_e64 s24, 5, v83
	;; [unrolled: 1-line block ×13, first 2 shown]
	s_waitcnt lgkmcnt(3)
	v_lshrrev_b32_e32 v103, 16, v87
	s_waitcnt lgkmcnt(2)
	v_lshrrev_b32_e32 v107, 16, v91
	;; [unrolled: 2-line block ×4, first 2 shown]
	v_lshrrev_b32_e32 v104, 16, v88
	v_cndmask_b32_e64 v119, v87, v103, s3
	v_cndmask_b32_e64 v120, v91, v107, s3
	;; [unrolled: 1-line block ×8, first 2 shown]
	v_lshrrev_b32_e32 v108, 16, v92
	v_cndmask_b32_e64 v103, v95, v111, s3
	v_cndmask_b32_e64 v107, v99, v115, s3
	;; [unrolled: 1-line block ×5, first 2 shown]
	v_cndmask_b32_e32 v111, v119, v88, vcc_lo
	v_cndmask_b32_e64 v119, v121, v88, s12
	v_cndmask_b32_e64 v121, v123, v88, s15
	;; [unrolled: 1-line block ×4, first 2 shown]
	v_lshrrev_b32_e32 v112, 16, v96
	v_lshrrev_b32_e32 v116, 16, v100
	v_cndmask_b32_e64 v126, v99, v115, s9
	v_cndmask_b32_e64 v128, v99, v115, s10
	;; [unrolled: 1-line block ×3, first 2 shown]
	v_cndmask_b32_e32 v115, v120, v92, vcc_lo
	v_cndmask_b32_e64 v120, v122, v92, s12
	v_cndmask_b32_e64 v122, v124, v92, s15
	v_cndmask_b32_e32 v91, v103, v96, vcc_lo
	v_cndmask_b32_e32 v92, v107, v100, vcc_lo
	v_cndmask_b32_e64 v103, v125, v96, s12
	v_cndmask_b32_e64 v87, v87, v104, s18
	;; [unrolled: 1-line block ×3, first 2 shown]
	v_lshrrev_b32_e32 v105, 16, v89
	v_lshrrev_b32_e32 v109, 16, v93
	v_cndmask_b32_e64 v107, v127, v96, s15
	v_cndmask_b32_e64 v95, v95, v96, s16
	;; [unrolled: 1-line block ×14, first 2 shown]
	v_lshrrev_b32_e32 v113, 16, v97
	v_cndmask_b32_e64 v99, v99, v89, s5
	v_cndmask_b32_e64 v104, v111, v93, s5
	;; [unrolled: 1-line block ×11, first 2 shown]
	v_lshrrev_b32_e32 v106, 16, v90
	v_lshrrev_b32_e32 v110, 16, v94
	v_cndmask_b32_e64 v93, v99, v105, s6
	v_cndmask_b32_e64 v99, v104, v109, s6
	;; [unrolled: 1-line block ×9, first 2 shown]
	v_lshrrev_b32_e32 v114, 16, v98
	v_cndmask_b32_e64 v89, v89, v113, s6
	v_cndmask_b32_e64 v93, v93, v90, s7
	;; [unrolled: 1-line block ×19, first 2 shown]
	v_perm_b32 v90, v88, v87, 0x5040100
	v_cndmask_b32_e64 v87, v126, v100, s12
	v_cndmask_b32_e64 v105, v89, v114, s8
	v_perm_b32 v89, v103, v99, 0x5040100
	v_perm_b32 v88, v104, v94, 0x5040100
	v_cndmask_b32_e64 v94, v107, v112, s17
	v_cndmask_b32_e64 v95, v95, v112, s18
	;; [unrolled: 1-line block ×5, first 2 shown]
	v_lshrrev_b32_e32 v117, 16, v101
	v_cndmask_b32_e64 v94, v94, v97, s21
	v_cndmask_b32_e64 v95, v95, v97, s22
	v_cndmask_b32_e64 v96, v96, v101, s22
	v_cndmask_b32_e64 v97, v99, v101, s21
	v_cndmask_b32_e64 v87, v87, v101, s19
	v_cndmask_b32_e64 v91, v91, v117, s6
	v_cndmask_b32_e64 v94, v94, v113, s23
	v_cndmask_b32_e64 v95, v95, v113, s24
	v_cndmask_b32_e64 v96, v96, v117, s24
	v_cndmask_b32_e64 v97, v97, v117, s23
	v_cndmask_b32_e64 v87, v87, v117, s20
	v_lshrrev_b32_e32 v118, 16, v102
	v_cndmask_b32_e64 v91, v91, v102, s7
	v_cndmask_b32_e64 v94, v94, v98, s26
	v_cndmask_b32_e64 v95, v95, v98, s27
	v_cndmask_b32_e64 v96, v96, v102, s27
	v_cndmask_b32_e64 v97, v97, v102, s26
	v_cndmask_b32_e64 v87, v87, v102, s25
	v_cndmask_b32_e64 v98, v94, v114, s28
	v_cndmask_b32_e64 v94, v95, v114, s29
	v_cndmask_b32_e64 v95, v96, v118, s29
	v_cndmask_b32_e64 v96, v97, v118, s28
	v_cndmask_b32_e64 v97, v87, v118, s30
	v_cndmask_b32_e64 v91, v91, v118, s8
	v_perm_b32 v87, v93, v92, 0x5040100
	v_perm_b32 v94, v95, v94, 0x5040100
	;; [unrolled: 1-line block ×5, first 2 shown]
	s_mul_i32 s7, s33, 11
	s_mov_b32 s3, exec_lo
	ds_store_b128 v78, v[87:90]
	ds_store_b128 v78, v[91:94] offset:1024
	v_cmpx_gt_u32_e32 11, v0
	s_cbranch_execz .LBB356_16
; %bb.15:
	s_mul_i32 s4, s7, s34
	s_load_b128 s[8:11], s[0:1], 0x58
	v_add3_u32 v77, s4, s31, v77
	s_delay_alu instid0(VALU_DEP_1) | instskip(NEXT) | instid1(VALU_DEP_1)
	v_mad_u64_u32 v[87:88], null, v77, s35, s[14:15]
	v_ashrrev_i32_e32 v88, 31, v87
	s_delay_alu instid0(VALU_DEP_1) | instskip(SKIP_1) | instid1(VALU_DEP_1)
	v_lshlrev_b64 v[87:88], 2, v[87:88]
	s_waitcnt lgkmcnt(0)
	v_add_co_u32 v89, vcc_lo, s10, v87
	s_delay_alu instid0(VALU_DEP_2)
	v_add_co_ci_u32_e32 v90, vcc_lo, s11, v88, vcc_lo
	v_add_co_u32 v87, vcc_lo, s8, v87
	v_add_co_ci_u32_e32 v88, vcc_lo, s9, v88, vcc_lo
	global_store_b32 v[89:90], v85, off
	global_store_b32 v[87:88], v86, off
.LBB356_16:
	s_or_b32 exec_lo, exec_lo, s3
	s_waitcnt lgkmcnt(0)
	s_waitcnt_vscnt null, 0x0
	s_barrier
	buffer_gl0_inv
	ds_load_b128 v[93:96], v79
	ds_load_b128 v[97:100], v79 offset:16
	ds_load_b128 v[105:108], v79 offset:1040
	ds_load_b128 v[101:104], v79 offset:1024
	ds_load_b128 v[113:116], v79 offset:2064
	ds_load_b128 v[109:112], v79 offset:2048
	v_cmp_eq_u32_e32 vcc_lo, 1, v84
	v_mov_b32_e32 v85, 0
	ds_load_b128 v[121:124], v79 offset:3088
	ds_load_b128 v[117:120], v79 offset:3072
	ds_load_b128 v[129:132], v79 offset:4112
	ds_load_b128 v[125:128], v79 offset:4096
	v_cmp_eq_u32_e64 s3, 1, v80
	v_cmp_eq_u32_e64 s4, 1, v83
	;; [unrolled: 1-line block ×3, first 2 shown]
	v_mov_b32_e32 v86, v85
	v_mov_b32_e32 v87, v85
	;; [unrolled: 1-line block ×7, first 2 shown]
	v_cmp_eq_u32_e64 s6, 2, v80
	s_waitcnt lgkmcnt(8)
	s_delay_alu instid0(VALU_DEP_2)
	v_wmma_f32_16x16x16_f16 v[85:92], v[65:72], v[93:100], v[85:92]
	ds_load_b128 v[69:72], v79 offset:5136
	ds_load_b128 v[65:68], v79 offset:5120
	;; [unrolled: 1-line block ×4, first 2 shown]
	s_waitcnt lgkmcnt(10)
	v_wmma_f32_16x16x16_f16 v[85:92], v[57:64], v[101:108], v[85:92]
	s_waitcnt lgkmcnt(8)
	s_delay_alu instid0(VALU_DEP_1)
	v_wmma_f32_16x16x16_f16 v[85:92], v[57:64], v[109:116], v[85:92]
	ds_load_b128 v[61:64], v79 offset:7184
	ds_load_b128 v[57:60], v79 offset:7168
	;; [unrolled: 1-line block ×4, first 2 shown]
	s_waitcnt lgkmcnt(10)
	v_wmma_f32_16x16x16_f16 v[85:92], v[49:56], v[117:124], v[85:92]
	s_waitcnt lgkmcnt(8)
	s_delay_alu instid0(VALU_DEP_1)
	v_wmma_f32_16x16x16_f16 v[85:92], v[49:56], v[125:132], v[85:92]
	ds_load_b128 v[53:56], v79 offset:9232
	ds_load_b128 v[49:52], v79 offset:9216
	s_waitcnt lgkmcnt(8)
	v_wmma_f32_16x16x16_f16 v[85:92], v[41:48], v[65:72], v[85:92]
	ds_load_b128 v[69:72], v79 offset:10256
	ds_load_b128 v[65:68], v79 offset:10240
	s_waitcnt lgkmcnt(8)
	;; [unrolled: 4-line block ×7, first 2 shown]
	s_barrier
	buffer_gl0_inv
	v_wmma_f32_16x16x16_f16 v[85:92], v[33:40], v[41:48], v[85:92]
	s_delay_alu instid0(VALU_DEP_1) | instskip(NEXT) | instid1(VALU_DEP_1)
	v_wmma_f32_16x16x16_f16 v[85:92], v[33:40], v[57:64], v[85:92]
	v_wmma_f32_16x16x16_f16 v[85:92], v[25:32], v[9:16], v[85:92]
	s_delay_alu instid0(VALU_DEP_1) | instskip(NEXT) | instid1(VALU_DEP_1)
	v_wmma_f32_16x16x16_f16 v[85:92], v[25:32], v[49:56], v[85:92]
	v_wmma_f32_16x16x16_f16 v[85:92], v[17:24], v[1:8], v[85:92]
	s_delay_alu instid0(VALU_DEP_1) | instskip(NEXT) | instid1(VALU_DEP_2)
	v_cvt_f16_f32_e32 v1, v85
	v_cvt_f16_f32_e32 v2, v86
	s_delay_alu instid0(VALU_DEP_3) | instskip(NEXT) | instid1(VALU_DEP_4)
	v_cvt_f16_f32_e32 v3, v87
	v_cvt_f16_f32_e32 v4, v88
	;; [unrolled: 1-line block ×6, first 2 shown]
	v_pack_b32_f16 v1, v1, v2
	v_pack_b32_f16 v2, v3, v4
	;; [unrolled: 1-line block ×3, first 2 shown]
	s_delay_alu instid0(VALU_DEP_4)
	v_pack_b32_f16 v4, v7, v8
	ds_store_b128 v78, v[1:4]
	s_waitcnt lgkmcnt(0)
	s_barrier
	buffer_gl0_inv
	ds_load_b128 v[1:4], v81
	ds_load_b128 v[5:8], v81 offset:16
	s_waitcnt lgkmcnt(1)
	v_lshrrev_b32_e32 v9, 16, v1
	s_waitcnt lgkmcnt(0)
	v_lshrrev_b32_e32 v13, 16, v5
	v_lshrrev_b32_e32 v15, 16, v7
	;; [unrolled: 1-line block ×4, first 2 shown]
	v_cndmask_b32_e64 v17, v1, v9, s3
	v_cndmask_b32_e64 v18, v5, v13, s3
	;; [unrolled: 1-line block ×3, first 2 shown]
	v_cmp_eq_u32_e64 s3, 2, v82
	v_cndmask_b32_e64 v20, v5, v13, s5
	v_cndmask_b32_e32 v21, v1, v9, vcc_lo
	v_cndmask_b32_e32 v22, v5, v13, vcc_lo
	v_cndmask_b32_e64 v1, v1, v9, s4
	v_cndmask_b32_e64 v5, v5, v13, s4
	v_cmp_eq_u32_e32 vcc_lo, 2, v84
	v_cmp_eq_u32_e64 s4, 2, v83
	v_cndmask_b32_e64 v9, v17, v2, s6
	v_cndmask_b32_e64 v13, v18, v6, s6
	;; [unrolled: 1-line block ×4, first 2 shown]
	v_cndmask_b32_e32 v19, v21, v2, vcc_lo
	v_cmp_eq_u32_e64 s3, 3, v84
	v_cndmask_b32_e32 v20, v22, v6, vcc_lo
	v_cndmask_b32_e64 v1, v1, v2, s4
	v_cmp_eq_u32_e32 vcc_lo, 3, v83
	v_cmp_eq_u32_e64 s5, 3, v80
	v_cndmask_b32_e64 v2, v5, v6, s4
	v_cmp_eq_u32_e64 s4, 3, v82
	v_lshrrev_b32_e32 v16, 16, v8
	v_cmp_eq_u32_e64 s6, 4, v80
	v_cndmask_b32_e64 v5, v9, v10, s5
	v_cndmask_b32_e64 v6, v13, v14, s5
	;; [unrolled: 1-line block ×3, first 2 shown]
	v_cmp_eq_u32_e64 s5, 4, v82
	v_cndmask_b32_e64 v13, v18, v14, s4
	v_cndmask_b32_e64 v17, v19, v10, s3
	;; [unrolled: 1-line block ×3, first 2 shown]
	v_cndmask_b32_e32 v1, v1, v10, vcc_lo
	v_cndmask_b32_e32 v2, v2, v14, vcc_lo
	v_cmp_eq_u32_e32 vcc_lo, 4, v84
	v_cmp_eq_u32_e64 s4, 4, v83
	v_lshrrev_b32_e32 v11, 16, v3
	v_cndmask_b32_e64 v5, v5, v3, s6
	v_cndmask_b32_e64 v6, v6, v7, s6
	;; [unrolled: 1-line block ×4, first 2 shown]
	v_cndmask_b32_e32 v13, v17, v3, vcc_lo
	v_cmp_eq_u32_e64 s3, 5, v84
	v_cndmask_b32_e32 v14, v18, v7, vcc_lo
	v_cndmask_b32_e64 v1, v1, v3, s4
	v_cmp_eq_u32_e32 vcc_lo, 5, v83
	v_cmp_eq_u32_e64 s5, 5, v80
	v_cndmask_b32_e64 v2, v2, v7, s4
	v_cmp_eq_u32_e64 s4, 5, v82
	v_cmp_eq_u32_e64 s6, 6, v80
	v_cndmask_b32_e32 v1, v1, v11, vcc_lo
	v_cndmask_b32_e64 v3, v5, v11, s5
	v_cndmask_b32_e64 v5, v6, v15, s5
	;; [unrolled: 1-line block ×3, first 2 shown]
	v_cmp_eq_u32_e64 s5, 6, v82
	v_cndmask_b32_e64 v7, v10, v15, s4
	v_cndmask_b32_e64 v9, v13, v11, s3
	;; [unrolled: 1-line block ×3, first 2 shown]
	v_cndmask_b32_e32 v2, v2, v15, vcc_lo
	v_cmp_eq_u32_e32 vcc_lo, 6, v84
	v_cmp_eq_u32_e64 s3, 6, v83
	v_lshrrev_b32_e32 v12, 16, v4
	v_cndmask_b32_e64 v3, v3, v4, s6
	v_cndmask_b32_e64 v5, v5, v8, s6
	;; [unrolled: 1-line block ×4, first 2 shown]
	v_cndmask_b32_e32 v9, v9, v4, vcc_lo
	v_cmp_eq_u32_e64 s4, 7, v84
	v_cndmask_b32_e32 v10, v10, v8, vcc_lo
	v_cndmask_b32_e64 v1, v1, v4, s3
	v_cmp_eq_u32_e32 vcc_lo, 7, v83
	v_cndmask_b32_e64 v2, v2, v8, s3
	v_cmp_eq_u32_e64 s3, 7, v80
	v_cmp_eq_u32_e64 s5, 7, v82
	v_cndmask_b32_e32 v1, v1, v12, vcc_lo
	s_delay_alu instid0(VALU_DEP_4) | instskip(NEXT) | instid1(VALU_DEP_4)
	v_cndmask_b32_e32 v2, v2, v16, vcc_lo
	v_cndmask_b32_e64 v8, v3, v12, s3
	s_delay_alu instid0(VALU_DEP_4)
	v_cndmask_b32_e64 v6, v6, v12, s5
	v_cndmask_b32_e64 v3, v9, v12, s4
	;; [unrolled: 1-line block ×5, first 2 shown]
	v_perm_b32 v4, v2, v1, 0x5040100
	s_mov_b32 s3, exec_lo
	v_perm_b32 v3, v9, v3, 0x5040100
	v_perm_b32 v2, v7, v6, 0x5040100
	;; [unrolled: 1-line block ×3, first 2 shown]
	ds_store_b128 v78, v[1:4]
	s_waitcnt lgkmcnt(0)
	s_barrier
	buffer_gl0_inv
	v_cmpx_gt_u32_e32 32, v0
	s_cbranch_execz .LBB356_2
; %bb.17:
	s_load_b64 s[4:5], s[0:1], 0x68
	v_lshlrev_b32_e32 v0, 10, v0
	v_lshlrev_b32_e32 v1, 4, v76
	s_lshl_b32 s0, s35, 7
	v_add_nc_u32_e32 v7, s31, v75
	s_mul_i32 s1, s0, s34
	s_delay_alu instid0(SALU_CYCLE_1) | instskip(SKIP_1) | instid1(VALU_DEP_2)
	s_mul_i32 s6, s1, s7
	v_and_or_b32 v0, 0x3800, v0, v1
	v_mul_lo_u32 v1, v7, s0
	v_add_nc_u32_e32 v2, 2, v7
	s_ashr_i32 s7, s6, 31
	v_add_nc_u32_e32 v4, 4, v7
	s_lshl_b64 s[6:7], s[6:7], 1
	v_add_nc_u32_e32 v8, 6, v7
	v_mul_lo_u32 v3, v2, s0
	v_lshl_or_b32 v19, v75, 6, v0
	v_ashrrev_i32_e32 v2, 31, v1
	v_mul_lo_u32 v11, v4, s0
	v_mul_lo_u32 v25, v8, s0
	s_waitcnt lgkmcnt(0)
	s_add_u32 s1, s4, s6
	s_addc_u32 s3, s5, s7
	s_lshl_b32 s4, s14, 7
	v_lshlrev_b64 v[5:6], 1, v[1:2]
	s_ashr_i32 s5, s4, 31
	v_ashrrev_i32_e32 v4, 31, v3
	s_lshl_b64 s[4:5], s[4:5], 1
	v_ashrrev_i32_e32 v12, 31, v11
	s_add_u32 s1, s1, s4
	s_addc_u32 s3, s3, s5
	v_add_co_u32 v1, vcc_lo, s1, v73
	v_add_co_ci_u32_e32 v2, vcc_lo, s3, v74, vcc_lo
	v_lshlrev_b64 v[3:4], 1, v[3:4]
	s_delay_alu instid0(VALU_DEP_3) | instskip(SKIP_1) | instid1(VALU_DEP_4)
	v_add_co_u32 v23, vcc_lo, v1, v5
	v_add_nc_u32_e32 v5, 8, v7
	v_add_co_ci_u32_e32 v24, vcc_lo, v2, v6, vcc_lo
	s_delay_alu instid0(VALU_DEP_4) | instskip(NEXT) | instid1(VALU_DEP_3)
	v_add_co_u32 v27, vcc_lo, v1, v3
	v_mul_lo_u32 v29, v5, s0
	v_add_co_ci_u32_e32 v28, vcc_lo, v2, v4, vcc_lo
	ds_load_b128 v[3:6], v19
	ds_load_b128 v[7:10], v19 offset:128
	v_lshlrev_b64 v[31:32], 1, v[11:12]
	ds_load_b128 v[11:14], v19 offset:256
	ds_load_b128 v[15:18], v19 offset:384
	ds_load_b128 v[19:22], v19 offset:512
	v_ashrrev_i32_e32 v26, 31, v25
	v_ashrrev_i32_e32 v30, 31, v29
	v_add_co_u32 v31, vcc_lo, v1, v31
	s_delay_alu instid0(VALU_DEP_3) | instskip(NEXT) | instid1(VALU_DEP_3)
	v_lshlrev_b64 v[25:26], 1, v[25:26]
	v_lshlrev_b64 v[29:30], 1, v[29:30]
	v_add_co_ci_u32_e32 v32, vcc_lo, v2, v32, vcc_lo
	s_delay_alu instid0(VALU_DEP_3) | instskip(NEXT) | instid1(VALU_DEP_4)
	v_add_co_u32 v25, vcc_lo, v1, v25
	v_add_co_ci_u32_e32 v26, vcc_lo, v2, v26, vcc_lo
	s_delay_alu instid0(VALU_DEP_4)
	v_add_co_u32 v29, vcc_lo, v1, v29
	v_add_co_ci_u32_e32 v30, vcc_lo, v2, v30, vcc_lo
	s_waitcnt lgkmcnt(4)
	global_store_b128 v[23:24], v[3:6], off
	s_waitcnt lgkmcnt(3)
	global_store_b128 v[27:28], v[7:10], off
	;; [unrolled: 2-line block ×5, first 2 shown]
	s_and_b32 exec_lo, exec_lo, s2
	s_cbranch_execz .LBB356_2
; %bb.18:
	ds_load_b128 v[3:6], v0 offset:640
	s_add_i32 s1, s31, 10
	s_delay_alu instid0(SALU_CYCLE_1) | instskip(NEXT) | instid1(SALU_CYCLE_1)
	s_mul_i32 s0, s1, s0
	s_ashr_i32 s1, s0, 31
	s_delay_alu instid0(SALU_CYCLE_1) | instskip(NEXT) | instid1(SALU_CYCLE_1)
	s_lshl_b64 s[0:1], s[0:1], 1
	v_add_co_u32 v0, vcc_lo, v1, s0
	v_add_co_ci_u32_e32 v1, vcc_lo, s1, v2, vcc_lo
	s_waitcnt lgkmcnt(0)
	global_store_b128 v[0:1], v[3:6], off
	s_nop 0
	s_sendmsg sendmsg(MSG_DEALLOC_VGPRS)
	s_endpgm
	.section	.rodata,"a",@progbits
	.p2align	6, 0x0
	.amdhsa_kernel _Z39paged_attention_ll4mi_QKV_mfma16_kernelIDF16_DF16_LN4vllm18Fp8KVCacheDataTypeE0EDF16_Li32ELi128ELi256ELb1ELi11EL8MFMAType0EEvPKT_PKT0_S8_ifPKiSA_SA_iPKfiiiPfSD_PS3_PT2_iSC_SC_
		.amdhsa_group_segment_fixed_size 17472
		.amdhsa_private_segment_fixed_size 0
		.amdhsa_kernarg_size 400
		.amdhsa_user_sgpr_count 13
		.amdhsa_user_sgpr_dispatch_ptr 0
		.amdhsa_user_sgpr_queue_ptr 0
		.amdhsa_user_sgpr_kernarg_segment_ptr 1
		.amdhsa_user_sgpr_dispatch_id 0
		.amdhsa_user_sgpr_private_segment_size 0
		.amdhsa_wavefront_size32 1
		.amdhsa_uses_dynamic_stack 0
		.amdhsa_enable_private_segment 0
		.amdhsa_system_sgpr_workgroup_id_x 1
		.amdhsa_system_sgpr_workgroup_id_y 1
		.amdhsa_system_sgpr_workgroup_id_z 1
		.amdhsa_system_sgpr_workgroup_info 0
		.amdhsa_system_vgpr_workitem_id 0
		.amdhsa_next_free_vgpr 172
		.amdhsa_next_free_sgpr 39
		.amdhsa_reserve_vcc 1
		.amdhsa_float_round_mode_32 0
		.amdhsa_float_round_mode_16_64 0
		.amdhsa_float_denorm_mode_32 3
		.amdhsa_float_denorm_mode_16_64 3
		.amdhsa_dx10_clamp 1
		.amdhsa_ieee_mode 1
		.amdhsa_fp16_overflow 0
		.amdhsa_workgroup_processor_mode 1
		.amdhsa_memory_ordered 1
		.amdhsa_forward_progress 0
		.amdhsa_shared_vgpr_count 0
		.amdhsa_exception_fp_ieee_invalid_op 0
		.amdhsa_exception_fp_denorm_src 0
		.amdhsa_exception_fp_ieee_div_zero 0
		.amdhsa_exception_fp_ieee_overflow 0
		.amdhsa_exception_fp_ieee_underflow 0
		.amdhsa_exception_fp_ieee_inexact 0
		.amdhsa_exception_int_div_zero 0
	.end_amdhsa_kernel
	.section	.text._Z39paged_attention_ll4mi_QKV_mfma16_kernelIDF16_DF16_LN4vllm18Fp8KVCacheDataTypeE0EDF16_Li32ELi128ELi256ELb1ELi11EL8MFMAType0EEvPKT_PKT0_S8_ifPKiSA_SA_iPKfiiiPfSD_PS3_PT2_iSC_SC_,"axG",@progbits,_Z39paged_attention_ll4mi_QKV_mfma16_kernelIDF16_DF16_LN4vllm18Fp8KVCacheDataTypeE0EDF16_Li32ELi128ELi256ELb1ELi11EL8MFMAType0EEvPKT_PKT0_S8_ifPKiSA_SA_iPKfiiiPfSD_PS3_PT2_iSC_SC_,comdat
.Lfunc_end356:
	.size	_Z39paged_attention_ll4mi_QKV_mfma16_kernelIDF16_DF16_LN4vllm18Fp8KVCacheDataTypeE0EDF16_Li32ELi128ELi256ELb1ELi11EL8MFMAType0EEvPKT_PKT0_S8_ifPKiSA_SA_iPKfiiiPfSD_PS3_PT2_iSC_SC_, .Lfunc_end356-_Z39paged_attention_ll4mi_QKV_mfma16_kernelIDF16_DF16_LN4vllm18Fp8KVCacheDataTypeE0EDF16_Li32ELi128ELi256ELb1ELi11EL8MFMAType0EEvPKT_PKT0_S8_ifPKiSA_SA_iPKfiiiPfSD_PS3_PT2_iSC_SC_
                                        ; -- End function
	.section	.AMDGPU.csdata,"",@progbits
; Kernel info:
; codeLenInByte = 7656
; NumSgprs: 41
; NumVgprs: 172
; ScratchSize: 0
; MemoryBound: 0
; FloatMode: 240
; IeeeMode: 1
; LDSByteSize: 17472 bytes/workgroup (compile time only)
; SGPRBlocks: 5
; VGPRBlocks: 21
; NumSGPRsForWavesPerEU: 41
; NumVGPRsForWavesPerEU: 172
; Occupancy: 8
; WaveLimiterHint : 1
; COMPUTE_PGM_RSRC2:SCRATCH_EN: 0
; COMPUTE_PGM_RSRC2:USER_SGPR: 13
; COMPUTE_PGM_RSRC2:TRAP_HANDLER: 0
; COMPUTE_PGM_RSRC2:TGID_X_EN: 1
; COMPUTE_PGM_RSRC2:TGID_Y_EN: 1
; COMPUTE_PGM_RSRC2:TGID_Z_EN: 1
; COMPUTE_PGM_RSRC2:TIDIG_COMP_CNT: 0
	.section	.text._Z39paged_attention_ll4mi_QKV_mfma16_kernelIDF16_DF16_LN4vllm18Fp8KVCacheDataTypeE0EDF16_Li32ELi128ELi256ELb1ELi12EL8MFMAType0EEvPKT_PKT0_S8_ifPKiSA_SA_iPKfiiiPfSD_PS3_PT2_iSC_SC_,"axG",@progbits,_Z39paged_attention_ll4mi_QKV_mfma16_kernelIDF16_DF16_LN4vllm18Fp8KVCacheDataTypeE0EDF16_Li32ELi128ELi256ELb1ELi12EL8MFMAType0EEvPKT_PKT0_S8_ifPKiSA_SA_iPKfiiiPfSD_PS3_PT2_iSC_SC_,comdat
	.protected	_Z39paged_attention_ll4mi_QKV_mfma16_kernelIDF16_DF16_LN4vllm18Fp8KVCacheDataTypeE0EDF16_Li32ELi128ELi256ELb1ELi12EL8MFMAType0EEvPKT_PKT0_S8_ifPKiSA_SA_iPKfiiiPfSD_PS3_PT2_iSC_SC_ ; -- Begin function _Z39paged_attention_ll4mi_QKV_mfma16_kernelIDF16_DF16_LN4vllm18Fp8KVCacheDataTypeE0EDF16_Li32ELi128ELi256ELb1ELi12EL8MFMAType0EEvPKT_PKT0_S8_ifPKiSA_SA_iPKfiiiPfSD_PS3_PT2_iSC_SC_
	.globl	_Z39paged_attention_ll4mi_QKV_mfma16_kernelIDF16_DF16_LN4vllm18Fp8KVCacheDataTypeE0EDF16_Li32ELi128ELi256ELb1ELi12EL8MFMAType0EEvPKT_PKT0_S8_ifPKiSA_SA_iPKfiiiPfSD_PS3_PT2_iSC_SC_
	.p2align	8
	.type	_Z39paged_attention_ll4mi_QKV_mfma16_kernelIDF16_DF16_LN4vllm18Fp8KVCacheDataTypeE0EDF16_Li32ELi128ELi256ELb1ELi12EL8MFMAType0EEvPKT_PKT0_S8_ifPKiSA_SA_iPKfiiiPfSD_PS3_PT2_iSC_SC_,@function
_Z39paged_attention_ll4mi_QKV_mfma16_kernelIDF16_DF16_LN4vllm18Fp8KVCacheDataTypeE0EDF16_Li32ELi128ELi256ELb1ELi12EL8MFMAType0EEvPKT_PKT0_S8_ifPKiSA_SA_iPKfiiiPfSD_PS3_PT2_iSC_SC_: ; @_Z39paged_attention_ll4mi_QKV_mfma16_kernelIDF16_DF16_LN4vllm18Fp8KVCacheDataTypeE0EDF16_Li32ELi128ELi256ELb1ELi12EL8MFMAType0EEvPKT_PKT0_S8_ifPKiSA_SA_iPKfiiiPfSD_PS3_PT2_iSC_SC_
; %bb.0:
	s_load_b64 s[2:3], s[0:1], 0x30
	s_mov_b32 s30, s13
	s_waitcnt lgkmcnt(0)
	s_cmp_lg_u64 s[2:3], 0
	s_cselect_b32 s6, -1, 0
	s_ashr_i32 s31, s13, 31
	s_cmp_eq_u64 s[2:3], 0
	s_cbranch_scc1 .LBB357_3
; %bb.1:
	s_lshl_b64 s[4:5], s[30:31], 2
	s_delay_alu instid0(SALU_CYCLE_1) | instskip(SKIP_4) | instid1(SALU_CYCLE_1)
	s_add_u32 s4, s2, s4
	s_addc_u32 s5, s3, s5
	s_load_b64 s[4:5], s[4:5], 0x0
	s_waitcnt lgkmcnt(0)
	s_sub_i32 s4, s5, s4
	s_cmp_eq_u32 s4, 1
	s_cselect_b32 s4, -1, 0
	s_delay_alu instid0(SALU_CYCLE_1)
	s_and_not1_b32 vcc_lo, exec_lo, s4
	s_cbranch_vccz .LBB357_4
.LBB357_2:
	s_endpgm
.LBB357_3:
.LBB357_4:
	s_load_b64 s[8:9], s[0:1], 0x28
	s_lshl_b64 s[4:5], s[30:31], 2
	s_waitcnt lgkmcnt(0)
	s_add_u32 s8, s8, s4
	s_addc_u32 s9, s9, s5
	s_lshl_b32 s12, s14, 8
	s_load_b32 s17, s[8:9], 0x0
	s_waitcnt lgkmcnt(0)
	s_cmp_ge_i32 s12, s17
	s_cbranch_scc1 .LBB357_2
; %bb.5:
	s_and_not1_b32 vcc_lo, exec_lo, s6
	s_cbranch_vccnz .LBB357_7
; %bb.6:
	s_add_u32 s2, s2, s4
	s_addc_u32 s3, s3, s5
	s_load_b32 s13, s[2:3], 0x0
	s_branch .LBB357_8
.LBB357_7:
	s_mov_b32 s13, s30
.LBB357_8:
	s_clause 0x2
	s_load_b128 s[8:11], s[0:1], 0x8
	s_load_b64 s[2:3], s[0:1], 0x20
	s_load_b128 s[4:7], s[0:1], 0x48
	v_and_b32_e32 v77, 15, v0
	s_waitcnt lgkmcnt(0)
	s_mov_b32 s7, exec_lo
	s_delay_alu instid0(VALU_DEP_1)
	v_lshlrev_b32_e32 v1, 3, v77
	v_cmpx_lt_u32_e32 0xbf, v0
	s_xor_b32 s7, exec_lo, s7
; %bb.9:
	v_mov_b32_e32 v2, 0
; %bb.10:
	s_or_saveexec_b32 s7, s7
	v_lshrrev_b32_e32 v78, 5, v0
	v_and_b32_e32 v80, 31, v0
	v_and_b32_e32 v76, 1, v0
	v_bfe_u32 v75, v0, 4, 1
	s_mul_i32 s31, s15, 12
	s_xor_b32 exec_lo, exec_lo, s7
	s_cbranch_execz .LBB357_12
; %bb.11:
	s_load_b64 s[18:19], s[0:1], 0x0
	v_lshl_or_b32 v7, v78, 1, v75
	s_mul_hi_i32 s21, s13, s4
	s_mul_i32 s20, s13, s4
	v_lshlrev_b32_e32 v4, 1, v1
	s_lshl_b64 s[20:21], s[20:21], 1
	v_add_lshl_u32 v2, v7, s31, 7
	v_lshlrev_b32_e32 v7, 6, v7
	v_lshlrev_b32_e32 v8, 10, v76
	s_delay_alu instid0(VALU_DEP_3) | instskip(NEXT) | instid1(VALU_DEP_1)
	v_ashrrev_i32_e32 v3, 31, v2
	v_lshlrev_b64 v[2:3], 1, v[2:3]
	s_waitcnt lgkmcnt(0)
	s_add_u32 s4, s18, s20
	s_addc_u32 s13, s19, s21
	s_delay_alu instid0(VALU_DEP_1) | instskip(NEXT) | instid1(VALU_DEP_2)
	v_add_co_u32 v2, vcc_lo, s4, v2
	v_add_co_ci_u32_e32 v3, vcc_lo, s13, v3, vcc_lo
	s_delay_alu instid0(VALU_DEP_2) | instskip(NEXT) | instid1(VALU_DEP_2)
	v_add_co_u32 v2, vcc_lo, v2, v4
	v_add_co_ci_u32_e32 v3, vcc_lo, 0, v3, vcc_lo
	global_load_b128 v[3:6], v[2:3], off
	v_lshlrev_b32_e32 v2, 10, v77
	s_delay_alu instid0(VALU_DEP_1) | instskip(NEXT) | instid1(VALU_DEP_1)
	v_and_b32_e32 v2, 0x3800, v2
	v_or3_b32 v7, v2, v8, v7
	v_mov_b32_e32 v2, 0
	s_waitcnt vmcnt(0)
	ds_store_b128 v7, v[3:6]
.LBB357_12:
	s_or_b32 exec_lo, exec_lo, s7
	v_and_b32_e32 v3, 0xef, v0
	s_add_i32 s4, s17, 31
	s_clause 0x1
	s_load_b32 s7, s[0:1], 0x38
	s_load_b32 s33, s[0:1], 0x98
	s_ashr_i32 s13, s4, 31
	v_add_nc_u32_e32 v3, s12, v3
	s_lshr_b32 s13, s13, 27
	s_load_b32 s18, s[0:1], 0x1c
	s_add_i32 s4, s4, s13
	s_waitcnt lgkmcnt(0)
	v_ashrrev_i32_e32 v4, 31, v3
	v_cmp_gt_i32_e32 vcc_lo, s17, v3
	s_ashr_i32 s4, s4, 5
	s_barrier
	s_add_i32 s4, s4, -1
	v_lshrrev_b32_e32 v5, 27, v4
	v_or_b32_e32 v4, 16, v3
	buffer_gl0_inv
	v_lshlrev_b64 v[73:74], 1, v[1:2]
	v_lshlrev_b32_e32 v79, 6, v77
	v_add_nc_u32_e32 v6, v3, v5
	v_add_nc_u32_e32 v5, v4, v5
	s_mul_i32 s20, s30, s7
	s_delay_alu instid0(SALU_CYCLE_1) | instskip(NEXT) | instid1(VALU_DEP_2)
	s_ashr_i32 s21, s20, 31
	v_ashrrev_i32_e32 v6, 5, v6
	s_delay_alu instid0(VALU_DEP_2) | instskip(SKIP_1) | instid1(SALU_CYCLE_1)
	v_ashrrev_i32_e32 v5, 5, v5
	s_lshl_b64 s[20:21], s[20:21], 2
	s_add_u32 s13, s2, s20
	s_delay_alu instid0(VALU_DEP_2) | instskip(SKIP_3) | instid1(SALU_CYCLE_1)
	v_cndmask_b32_e32 v3, s4, v6, vcc_lo
	v_cmp_gt_i32_e32 vcc_lo, s17, v4
	s_addc_u32 s16, s3, s21
	s_mul_i32 s2, s15, s6
	s_ashr_i32 s3, s2, 31
	v_cndmask_b32_e32 v5, s4, v5, vcc_lo
	v_ashrrev_i32_e32 v4, 31, v3
	s_lshl_b64 s[2:3], s[2:3], 1
	s_delay_alu instid0(SALU_CYCLE_1) | instskip(NEXT) | instid1(VALU_DEP_2)
	s_add_u32 s15, s8, s2
	v_ashrrev_i32_e32 v6, 31, v5
	s_delay_alu instid0(VALU_DEP_2) | instskip(SKIP_2) | instid1(VALU_DEP_2)
	v_lshlrev_b64 v[3:4], 2, v[3:4]
	s_addc_u32 s19, s9, s3
	s_lshl_b32 s6, s14, 3
	v_lshlrev_b64 v[5:6], 2, v[5:6]
	s_ashr_i32 s7, s6, 31
	s_delay_alu instid0(VALU_DEP_2) | instskip(SKIP_1) | instid1(VALU_DEP_3)
	v_add_co_u32 v3, vcc_lo, s13, v3
	v_add_co_ci_u32_e32 v4, vcc_lo, s16, v4, vcc_lo
	v_add_co_u32 v5, vcc_lo, s13, v5
	s_delay_alu instid0(VALU_DEP_4)
	v_add_co_ci_u32_e32 v6, vcc_lo, s16, v6, vcc_lo
	s_lshl_b64 s[6:7], s[6:7], 2
	s_clause 0x1
	global_load_b32 v7, v[3:4], off
	global_load_b32 v8, v[5:6], off
	s_add_u32 s6, s13, s6
	s_addc_u32 s7, s16, s7
	s_or_b32 s8, s12, 32
	s_delay_alu instid0(SALU_CYCLE_1) | instskip(SKIP_2) | instid1(SALU_CYCLE_1)
	s_ashr_i32 s9, s8, 5
	s_cmp_lt_i32 s8, s17
	s_cselect_b32 s8, s9, s4
	s_ashr_i32 s9, s8, 31
	s_delay_alu instid0(SALU_CYCLE_1) | instskip(NEXT) | instid1(SALU_CYCLE_1)
	s_lshl_b64 s[8:9], s[8:9], 2
	s_add_u32 s8, s13, s8
	s_addc_u32 s9, s16, s9
	s_or_b32 s20, s12, 64
	s_delay_alu instid0(SALU_CYCLE_1) | instskip(SKIP_2) | instid1(SALU_CYCLE_1)
	s_ashr_i32 s21, s20, 5
	s_cmp_lt_i32 s20, s17
	s_cselect_b32 s20, s21, s4
	s_ashr_i32 s21, s20, 31
	s_delay_alu instid0(SALU_CYCLE_1) | instskip(NEXT) | instid1(SALU_CYCLE_1)
	s_lshl_b64 s[20:21], s[20:21], 2
	;; [unrolled: 10-line block ×5, first 2 shown]
	s_add_u32 s26, s13, s26
	s_addc_u32 s27, s16, s27
	s_clause 0x5
	s_load_b32 s28, s[6:7], 0x0
	s_load_b32 s29, s[8:9], 0x0
	;; [unrolled: 1-line block ×6, first 2 shown]
	s_mov_b32 s20, 0
	s_or_b32 s6, s12, 0xc0
	s_mov_b32 s21, s20
	s_mov_b32 s22, s20
	;; [unrolled: 1-line block ×7, first 2 shown]
	s_ashr_i32 s7, s6, 5
	v_mov_b32_e32 v128, s27
	s_cmp_lt_i32 s6, s17
	v_mov_b32_e32 v127, s26
	s_cselect_b32 s6, s7, s4
	v_mov_b32_e32 v126, s25
	s_ashr_i32 s7, s6, 31
	v_mov_b32_e32 v125, s24
	s_lshl_b64 s[6:7], s[6:7], 2
	v_mov_b32_e32 v124, s23
	s_add_u32 s6, s13, s6
	s_addc_u32 s7, s16, s7
	v_mov_b32_e32 v123, s22
	v_mov_b32_e32 v121, s20
	s_waitcnt lgkmcnt(0)
	s_mul_hi_i32 s9, s28, s5
	s_mul_i32 s8, s28, s5
	v_mov_b32_e32 v122, s21
	s_mul_hi_i32 s21, s29, s5
	s_mul_i32 s20, s29, s5
	s_mul_hi_i32 s25, s34, s5
	s_mul_i32 s24, s34, s5
	;; [unrolled: 2-line block ×4, first 2 shown]
	s_waitcnt vmcnt(1)
	v_mad_i64_i32 v[3:4], null, v7, s5, 0
	s_waitcnt vmcnt(0)
	v_mad_i64_i32 v[5:6], null, v8, s5, 0
	s_delay_alu instid0(VALU_DEP_2) | instskip(NEXT) | instid1(VALU_DEP_2)
	v_lshlrev_b64 v[3:4], 1, v[3:4]
	v_lshlrev_b64 v[1:2], 1, v[5:6]
	s_delay_alu instid0(VALU_DEP_2) | instskip(NEXT) | instid1(VALU_DEP_3)
	v_add_co_u32 v3, vcc_lo, s15, v3
	v_add_co_ci_u32_e32 v4, vcc_lo, s19, v4, vcc_lo
	s_delay_alu instid0(VALU_DEP_3) | instskip(NEXT) | instid1(VALU_DEP_4)
	v_add_co_u32 v1, vcc_lo, s15, v1
	v_add_co_ci_u32_e32 v2, vcc_lo, s19, v2, vcc_lo
	s_delay_alu instid0(VALU_DEP_4) | instskip(NEXT) | instid1(VALU_DEP_4)
	v_add_co_u32 v65, vcc_lo, v3, v73
	v_add_co_ci_u32_e32 v66, vcc_lo, v4, v74, vcc_lo
	s_delay_alu instid0(VALU_DEP_4) | instskip(NEXT) | instid1(VALU_DEP_4)
	v_add_co_u32 v67, vcc_lo, v1, v73
	v_add_co_ci_u32_e32 v68, vcc_lo, v2, v74, vcc_lo
	s_clause 0xf
	global_load_b128 v[1:4], v[65:66], off
	global_load_b128 v[5:8], v[65:66], off offset:512
	global_load_b128 v[9:12], v[67:68], off offset:256
	;; [unrolled: 1-line block ×15, first 2 shown]
	v_add_co_u32 v157, vcc_lo, 0x1000, v65
	v_add_co_ci_u32_e32 v158, vcc_lo, 0, v66, vcc_lo
	v_add_co_u32 v165, vcc_lo, 0x1000, v67
	v_add_co_ci_u32_e32 v166, vcc_lo, 0, v68, vcc_lo
	s_clause 0x7
	global_load_b128 v[81:84], v[157:158], off
	global_load_b128 v[85:88], v[157:158], off offset:512
	global_load_b128 v[89:92], v[165:166], off offset:256
	;; [unrolled: 1-line block ×7, first 2 shown]
	v_add_nc_u32_e32 v65, -12, v77
	v_cmp_gt_u32_e32 vcc_lo, 12, v77
	s_or_b32 s15, s12, 0xe0
	s_delay_alu instid0(SALU_CYCLE_1) | instskip(SKIP_3) | instid1(SALU_CYCLE_1)
	s_ashr_i32 s19, s15, 5
	s_cmp_lt_i32 s15, s17
	v_cndmask_b32_e32 v65, v65, v77, vcc_lo
	s_cselect_b32 s22, s19, s4
	s_ashr_i32 s23, s22, 31
	s_delay_alu instid0(VALU_DEP_1)
	v_lshlrev_b32_e32 v169, 6, v65
	ds_load_b128 v[65:68], v169
	ds_load_b128 v[69:72], v169 offset:1024
	s_clause 0x1
	global_load_b128 v[113:116], v[157:158], off offset:2048
	global_load_b128 v[117:120], v[157:158], off offset:2560
	ds_load_b128 v[129:132], v169 offset:2048
	ds_load_b128 v[133:136], v169 offset:3072
	s_clause 0x5
	global_load_b128 v[145:148], v[165:166], off offset:2304
	global_load_b128 v[149:152], v[165:166], off offset:2816
	;; [unrolled: 1-line block ×6, first 2 shown]
	s_lshl_b64 s[22:23], s[22:23], 2
	s_delay_alu instid0(SALU_CYCLE_1) | instskip(SKIP_2) | instid1(SALU_CYCLE_1)
	s_add_u32 s22, s13, s22
	s_addc_u32 s23, s16, s23
	s_add_i32 s15, s12, 0x100
	s_ashr_i32 s19, s15, 5
	s_cmp_lt_i32 s15, s17
	s_cselect_b32 s28, s19, s4
	s_delay_alu instid0(SALU_CYCLE_1) | instskip(NEXT) | instid1(SALU_CYCLE_1)
	s_ashr_i32 s29, s28, 31
	s_lshl_b64 s[28:29], s[28:29], 2
	s_delay_alu instid0(SALU_CYCLE_1)
	s_add_u32 s28, s13, s28
	s_addc_u32 s29, s16, s29
	s_add_u32 s4, s10, s2
	s_addc_u32 s19, s11, s3
	s_lshl_b64 s[2:3], s[8:9], 1
	s_lshl_b64 s[8:9], s[20:21], 1
	;; [unrolled: 1-line block ×4, first 2 shown]
	s_waitcnt vmcnt(30) lgkmcnt(2)
	v_wmma_f32_16x16x16_f16 v[137:144], v[1:8], v[65:72], v[121:128]
	ds_load_b128 v[1:4], v169 offset:4096
	ds_load_b128 v[5:8], v169 offset:5120
	s_waitcnt vmcnt(28)
	v_wmma_f32_16x16x16_f16 v[121:128], v[9:16], v[65:72], v[121:128]
	ds_load_b128 v[9:12], v169 offset:6144
	ds_load_b128 v[13:16], v169 offset:7168
	s_waitcnt vmcnt(26) lgkmcnt(4)
	v_wmma_f32_16x16x16_f16 v[137:144], v[17:24], v[129:136], v[137:144]
	ds_load_b128 v[17:20], v169 offset:8192
	ds_load_b128 v[21:24], v169 offset:9216
	s_waitcnt vmcnt(24)
	v_wmma_f32_16x16x16_f16 v[121:128], v[25:32], v[129:136], v[121:128]
	v_lshl_or_b32 v25, v78, 10, v79
	ds_load_b128 v[129:132], v169 offset:10240
	ds_load_b128 v[133:136], v169 offset:11264
	s_clause 0x2
	s_load_b32 s15, s[6:7], 0x0
	s_load_b32 s13, s[22:23], 0x0
	;; [unrolled: 1-line block ×3, first 2 shown]
	s_mul_hi_i32 s7, s36, s5
	v_add_co_u32 v170, s4, s4, v25
	s_delay_alu instid0(VALU_DEP_1)
	v_add_co_ci_u32_e64 v171, null, s19, 0, s4
	s_mul_i32 s6, s36, s5
	s_lshl_b64 s[22:23], s[34:35], 1
	s_lshl_b64 s[6:7], s[6:7], 1
	s_waitcnt vmcnt(22) lgkmcnt(0)
	v_wmma_f32_16x16x16_f16 v[137:144], v[33:40], v[1:8], v[137:144]
	s_waitcnt vmcnt(20)
	v_wmma_f32_16x16x16_f16 v[121:128], v[41:48], v[1:8], v[121:128]
	v_add_co_u32 v1, vcc_lo, v170, s2
	v_add_co_ci_u32_e32 v2, vcc_lo, s3, v171, vcc_lo
	v_add_co_u32 v3, vcc_lo, v170, s8
	v_add_co_ci_u32_e32 v4, vcc_lo, s9, v171, vcc_lo
	;; [unrolled: 2-line block ×4, first 2 shown]
	v_add_co_u32 v25, vcc_lo, v170, s6
	s_mul_hi_i32 s25, s15, s5
	s_mul_i32 s24, s15, s5
	v_add_co_ci_u32_e32 v26, vcc_lo, s7, v171, vcc_lo
	v_add_co_u32 v27, vcc_lo, v170, s22
	s_lshl_b64 s[24:25], s[24:25], 1
	s_waitcnt vmcnt(18)
	v_wmma_f32_16x16x16_f16 v[137:144], v[49:56], v[9:16], v[137:144]
	s_waitcnt vmcnt(16)
	v_wmma_f32_16x16x16_f16 v[121:128], v[57:64], v[9:16], v[121:128]
	v_add_co_ci_u32_e32 v28, vcc_lo, s23, v171, vcc_lo
	s_mul_hi_i32 s3, s13, s5
	s_mul_i32 s2, s13, s5
	v_add_co_u32 v29, vcc_lo, v170, s24
	s_lshl_b64 s[2:3], s[2:3], 1
	v_add_co_ci_u32_e32 v30, vcc_lo, s25, v171, vcc_lo
	s_waitcnt vmcnt(14)
	v_wmma_f32_16x16x16_f16 v[137:144], v[81:88], v[17:24], v[137:144]
	s_waitcnt vmcnt(12)
	v_wmma_f32_16x16x16_f16 v[121:128], v[89:96], v[17:24], v[121:128]
	v_add_co_u32 v17, vcc_lo, v170, s2
	v_add_co_ci_u32_e32 v18, vcc_lo, s3, v171, vcc_lo
	s_mul_hi_i32 s3, s16, s5
	s_mul_i32 s2, s16, s5
	s_clause 0x5
	global_load_b128 v[65:68], v[1:2], off
	global_load_b128 v[69:72], v[1:2], off offset:16
	global_load_b128 v[57:60], v[3:4], off
	global_load_b128 v[61:64], v[3:4], off offset:16
	;; [unrolled: 2-line block ×3, first 2 shown]
	s_lshl_b64 s[2:3], s[2:3], 1
	s_clause 0x1
	global_load_b128 v[41:44], v[7:8], off
	global_load_b128 v[45:48], v[7:8], off offset:16
	v_add_co_u32 v21, vcc_lo, v170, s2
	v_add_co_ci_u32_e32 v22, vcc_lo, s3, v171, vcc_lo
	s_clause 0x9
	global_load_b128 v[9:12], v[25:26], off
	global_load_b128 v[13:16], v[25:26], off offset:16
	global_load_b128 v[1:4], v[27:28], off
	global_load_b128 v[5:8], v[27:28], off offset:16
	;; [unrolled: 2-line block ×5, first 2 shown]
	ds_load_b128 v[81:84], v169 offset:12288
	ds_load_b128 v[85:88], v169 offset:13312
	v_and_b32_e32 v89, 0xe0, v0
	s_waitcnt vmcnt(28)
	v_wmma_f32_16x16x16_f16 v[137:144], v[97:104], v[129:136], v[137:144]
	v_mbcnt_lo_u32_b32 v97, -1, 0
	s_waitcnt vmcnt(26)
	v_wmma_f32_16x16x16_f16 v[121:128], v[105:112], v[129:136], v[121:128]
	v_add_nc_u32_e32 v98, s12, v89
	ds_load_b128 v[89:92], v169 offset:14336
	ds_load_b128 v[93:96], v169 offset:15360
	v_xor_b32_e32 v99, 16, v97
	s_waitcnt vmcnt(0) lgkmcnt(0)
	s_barrier
	v_or_b32_e32 v98, v98, v75
	buffer_gl0_inv
	v_cmp_gt_i32_e32 vcc_lo, 32, v99
	v_or_b32_e32 v100, 4, v98
	v_or_b32_e32 v101, 22, v98
	;; [unrolled: 1-line block ×4, first 2 shown]
	v_wmma_f32_16x16x16_f16 v[137:144], v[113:120], v[81:88], v[137:144]
	v_wmma_f32_16x16x16_f16 v[121:128], v[145:152], v[81:88], v[121:128]
	v_or_b32_e32 v81, 6, v98
	v_or_b32_e32 v82, 8, v98
	;; [unrolled: 1-line block ×3, first 2 shown]
	v_cmp_gt_i32_e64 s3, s17, v100
	v_or_b32_e32 v84, 12, v98
	v_wmma_f32_16x16x16_f16 v[137:144], v[153:160], v[89:96], v[137:144]
	v_wmma_f32_16x16x16_f16 v[121:128], v[161:168], v[89:96], v[121:128]
	v_cndmask_b32_e32 v97, v97, v99, vcc_lo
	v_or_b32_e32 v99, 2, v98
	v_cmp_gt_i32_e32 vcc_lo, s17, v98
	v_dual_mul_f32 v95, s18, v138 :: v_dual_mul_f32 v96, s18, v137
	v_mul_f32_e32 v93, s18, v140
	s_delay_alu instid0(VALU_DEP_4)
	v_cmp_gt_i32_e64 s2, s17, v99
	v_mul_f32_e32 v94, s18, v139
	v_mul_f32_e32 v110, s18, v124
	v_cndmask_b32_e32 v96, 0xff7fffff, v96, vcc_lo
	v_cmp_gt_i32_e64 s4, s17, v81
	v_cndmask_b32_e64 v95, 0xff7fffff, v95, s2
	v_or_b32_e32 v85, 14, v98
	v_dual_mul_f32 v91, s18, v142 :: v_dual_mul_f32 v92, s18, v141
	v_cndmask_b32_e64 v94, 0xff7fffff, v94, s3
	v_cndmask_b32_e64 v81, 0xff7fffff, v93, s4
	v_max3_f32 v93, v96, 0xff7fffff, v95
	v_cmp_gt_i32_e64 s5, s17, v82
	v_cmp_gt_i32_e64 s6, s17, v83
	v_or_b32_e32 v86, 16, v98
	v_or_b32_e32 v87, 18, v98
	v_dual_mul_f32 v89, s18, v144 :: v_dual_mul_f32 v112, s18, v122
	v_mul_f32_e32 v90, s18, v143
	v_cndmask_b32_e64 v82, 0xff7fffff, v92, s5
	v_cndmask_b32_e64 v83, 0xff7fffff, v91, s6
	v_max3_f32 v81, v93, v94, v81
	v_cmp_gt_i32_e64 s7, s17, v84
	v_cmp_gt_i32_e64 s8, s17, v85
	v_or_b32_e32 v88, 20, v98
	v_mul_f32_e32 v113, s18, v121
	v_max3_f32 v81, v81, v82, v83
	v_cndmask_b32_e64 v84, 0xff7fffff, v90, s7
	v_cndmask_b32_e64 v85, 0xff7fffff, v89, s8
	v_cmp_gt_i32_e64 s9, s17, v86
	v_cmp_gt_i32_e64 s10, s17, v87
	v_mul_f32_e32 v111, s18, v123
	v_cmp_gt_i32_e64 s11, s17, v88
	v_max3_f32 v81, v81, v84, v85
	v_cndmask_b32_e64 v82, 0xff7fffff, v113, s9
	v_cndmask_b32_e64 v83, 0xff7fffff, v112, s10
	v_cmp_gt_i32_e64 s12, s17, v101
	v_or_b32_e32 v104, 28, v98
	v_or_b32_e32 v105, 30, v98
	v_dual_mul_f32 v108, s18, v126 :: v_dual_mul_f32 v109, s18, v125
	v_cndmask_b32_e64 v84, 0xff7fffff, v111, s11
	v_cndmask_b32_e64 v85, 0xff7fffff, v110, s12
	v_max3_f32 v81, v81, v82, v83
	v_cmp_gt_i32_e64 s13, s17, v102
	v_cmp_gt_i32_e64 s15, s17, v103
	v_dual_mul_f32 v106, s18, v128 :: v_dual_mul_f32 v107, s18, v127
	s_delay_alu instid0(VALU_DEP_4) | instskip(NEXT) | instid1(VALU_DEP_4)
	v_max3_f32 v81, v81, v84, v85
	v_cndmask_b32_e64 v82, 0xff7fffff, v109, s13
	s_delay_alu instid0(VALU_DEP_4) | instskip(SKIP_2) | instid1(VALU_DEP_3)
	v_cndmask_b32_e64 v83, 0xff7fffff, v108, s15
	v_cmp_gt_i32_e64 s16, s17, v104
	v_cmp_gt_i32_e64 s17, s17, v105
	v_max3_f32 v81, v81, v82, v83
	s_delay_alu instid0(VALU_DEP_3) | instskip(NEXT) | instid1(VALU_DEP_3)
	v_cndmask_b32_e64 v84, 0xff7fffff, v107, s16
	v_cndmask_b32_e64 v85, 0xff7fffff, v106, s17
	v_lshlrev_b32_e32 v83, 2, v97
	s_delay_alu instid0(VALU_DEP_2) | instskip(SKIP_3) | instid1(VALU_DEP_1)
	v_max3_f32 v81, v81, v84, v85
	ds_bpermute_b32 v82, v83, v81
	s_waitcnt lgkmcnt(0)
	v_max_f32_e32 v82, v82, v82
	v_max_f32_e32 v81, v81, v82
	s_delay_alu instid0(VALU_DEP_1)
	v_fma_f32 v82, s18, v137, -v81
	v_fma_f32 v84, s18, v138, -v81
	;; [unrolled: 1-line block ×5, first 2 shown]
	v_mul_f32_e32 v82, 0x3fb8aa3b, v82
	s_delay_alu instid0(VALU_DEP_4) | instskip(NEXT) | instid1(VALU_DEP_3)
	v_dual_mul_f32 v84, 0x3fb8aa3b, v84 :: v_dual_mul_f32 v85, 0x3fb8aa3b, v85
	v_dual_mul_f32 v86, 0x3fb8aa3b, v86 :: v_dual_mul_f32 v89, 0x3fb8aa3b, v87
	s_delay_alu instid0(VALU_DEP_3) | instskip(NEXT) | instid1(VALU_DEP_2)
	v_exp_f32_e32 v82, v82
	v_exp_f32_e32 v84, v84
	s_delay_alu instid0(VALU_DEP_2) | instskip(NEXT) | instid1(VALU_DEP_1)
	v_exp_f32_e32 v85, v85
	v_exp_f32_e32 v86, v86
	;; [unrolled: 1-line block ×3, first 2 shown]
	v_cndmask_b32_e32 v88, 0, v82, vcc_lo
	v_cndmask_b32_e64 v87, 0, v84, s2
	s_delay_alu instid0(TRANS32_DEP_3)
	v_cndmask_b32_e64 v90, 0, v85, s3
	s_waitcnt_depctr 0xfff
	v_cndmask_b32_e64 v89, 0, v86, s4
	v_cndmask_b32_e64 v92, 0, v92, s5
	v_add_f32_e32 v84, 0, v88
	s_mov_b32 s2, exec_lo
	s_delay_alu instid0(VALU_DEP_1) | instskip(NEXT) | instid1(VALU_DEP_1)
	v_add_f32_e32 v84, v84, v87
	v_add_f32_e32 v84, v84, v90
	s_delay_alu instid0(VALU_DEP_1)
	v_add_f32_e32 v84, v84, v89
	v_fma_f32 v82, s18, v142, -v81
	v_fma_f32 v91, s18, v143, -v81
	;; [unrolled: 1-line block ×5, first 2 shown]
	s_delay_alu instid0(VALU_DEP_4) | instskip(SKIP_1) | instid1(VALU_DEP_4)
	v_dual_mul_f32 v82, 0x3fb8aa3b, v82 :: v_dual_mul_f32 v91, 0x3fb8aa3b, v91
	v_fma_f32 v96, s18, v124, -v81
	v_mul_f32_e32 v86, 0x3fb8aa3b, v86
	s_delay_alu instid0(VALU_DEP_4) | instskip(NEXT) | instid1(VALU_DEP_4)
	v_mul_f32_e32 v95, 0x3fb8aa3b, v94
	v_exp_f32_e32 v82, v82
	v_exp_f32_e32 v93, v91
	v_mul_f32_e32 v97, 0x3fb8aa3b, v96
	v_exp_f32_e32 v86, v86
	v_fma_f32 v99, s18, v127, -v81
	s_delay_alu instid0(VALU_DEP_2) | instskip(SKIP_2) | instid1(TRANS32_DEP_3)
	v_exp_f32_e32 v97, v97
	v_cndmask_b32_e64 v91, 0, v82, s6
	v_dual_add_f32 v82, v84, v92 :: v_dual_mul_f32 v85, 0x3fb8aa3b, v85
	v_cndmask_b32_e64 v94, 0, v93, s7
	v_fma_f32 v84, s18, v123, -v81
	s_delay_alu instid0(TRANS32_DEP_2) | instskip(NEXT) | instid1(VALU_DEP_4)
	v_cndmask_b32_e64 v96, 0, v86, s9
	v_add_f32_e32 v82, v82, v91
	v_exp_f32_e32 v85, v85
	v_fma_f32 v86, s18, v126, -v81
	v_mul_f32_e32 v84, 0x3fb8aa3b, v84
	v_cndmask_b32_e64 v97, 0, v97, s12
	v_add_f32_e32 v82, v82, v94
	s_delay_alu instid0(VALU_DEP_3) | instskip(SKIP_3) | instid1(VALU_DEP_2)
	v_exp_f32_e32 v84, v84
	s_waitcnt_depctr 0xfff
	v_cndmask_b32_e64 v93, 0, v85, s8
	v_fma_f32 v85, s18, v125, -v81
	v_add_f32_e32 v82, v82, v93
	v_exp_f32_e32 v95, v95
	s_delay_alu instid0(VALU_DEP_2)
	v_mul_f32_e32 v85, 0x3fb8aa3b, v85
	v_cndmask_b32_e64 v98, 0, v84, s11
	v_mul_f32_e32 v84, 0x3fb8aa3b, v99
	v_add_f32_e32 v82, v82, v96
	v_fma_f32 v99, s18, v128, -v81
	v_exp_f32_e32 v85, v85
	v_mul_f32_e32 v86, 0x3fb8aa3b, v86
	v_exp_f32_e32 v84, v84
	s_delay_alu instid0(TRANS32_DEP_3) | instskip(NEXT) | instid1(VALU_DEP_1)
	v_cndmask_b32_e64 v95, 0, v95, s10
	v_add_f32_e32 v82, v82, v95
	s_waitcnt_depctr 0xfff
	v_cndmask_b32_e64 v100, 0, v85, s13
	v_mul_f32_e32 v85, 0x3fb8aa3b, v99
	v_exp_f32_e32 v86, v86
	v_cndmask_b32_e64 v102, 0, v84, s16
	v_add_f32_e32 v82, v82, v98
	s_delay_alu instid0(VALU_DEP_3) | instskip(NEXT) | instid1(VALU_DEP_1)
	v_exp_f32_e32 v85, v85
	v_add_f32_e32 v82, v82, v97
	s_waitcnt_depctr 0xfff
	v_cndmask_b32_e64 v99, 0, v86, s15
	v_add_f32_e32 v82, v82, v100
	v_cndmask_b32_e64 v101, 0, v85, s17
	s_delay_alu instid0(VALU_DEP_2) | instskip(NEXT) | instid1(VALU_DEP_1)
	v_add_f32_e32 v82, v82, v99
	v_add_f32_e32 v82, v82, v102
	s_delay_alu instid0(VALU_DEP_1)
	v_add_f32_e32 v82, v82, v101
	ds_bpermute_b32 v83, v83, v82
	v_cmpx_gt_u32_e32 16, v80
	s_cbranch_execz .LBB357_14
; %bb.13:
	v_mul_u32_u24_e32 v80, 0x44, v78
	s_waitcnt lgkmcnt(0)
	v_add_f32_e32 v82, v82, v83
	s_delay_alu instid0(VALU_DEP_2) | instskip(NEXT) | instid1(VALU_DEP_1)
	v_lshl_add_u32 v80, v77, 2, v80
	v_add_nc_u32_e32 v80, 0x4000, v80
	ds_store_2addr_b32 v80, v81, v82 offset1:136
.LBB357_14:
	s_or_b32 exec_lo, exec_lo, s2
	v_lshlrev_b32_e32 v80, 2, v77
	s_load_b32 s34, s[0:1], 0x94
	s_waitcnt lgkmcnt(0)
	s_barrier
	buffer_gl0_inv
	v_add_nc_u32_e32 v84, 0x4000, v80
	v_cmp_eq_u32_e32 vcc_lo, 1, v78
	v_cmp_eq_u32_e64 s2, 2, v78
	v_cmp_eq_u32_e64 s3, 3, v78
	v_cmp_eq_u32_e64 s4, 5, v78
	ds_load_2addr_b32 v[80:81], v84 offset1:17
	ds_load_2addr_b32 v[82:83], v84 offset0:34 offset1:51
	ds_load_2addr_b32 v[103:104], v84 offset0:68 offset1:85
	ds_load_2addr_b32 v[105:106], v84 offset0:102 offset1:119
	v_cmp_eq_u32_e64 s5, 7, v78
	s_waitcnt lgkmcnt(3)
	v_max3_f32 v85, v80, 0xff7fffff, v81
	s_waitcnt lgkmcnt(2)
	s_delay_alu instid0(VALU_DEP_1) | instskip(SKIP_1) | instid1(VALU_DEP_1)
	v_max3_f32 v85, v85, v82, v83
	s_waitcnt lgkmcnt(1)
	v_max3_f32 v85, v85, v103, v104
	s_waitcnt lgkmcnt(0)
	s_delay_alu instid0(VALU_DEP_1) | instskip(NEXT) | instid1(VALU_DEP_1)
	v_max3_f32 v85, v85, v105, v106
	v_sub_f32_e32 v103, v103, v85
	ds_load_2addr_b32 v[107:108], v84 offset0:136 offset1:153
	v_sub_f32_e32 v80, v80, v85
	v_dual_sub_f32 v110, v83, v85 :: v_dual_mul_f32 v113, 0x3fb8aa3b, v103
	s_delay_alu instid0(VALU_DEP_2) | instskip(SKIP_3) | instid1(VALU_DEP_1)
	v_dual_sub_f32 v86, v81, v85 :: v_dual_mul_f32 v109, 0x3fb8aa3b, v80
	ds_load_2addr_b32 v[80:81], v84 offset0:170 offset1:187
	v_mul_f32_e32 v86, 0x3fb8aa3b, v86
	v_exp_f32_e32 v109, v109
	v_exp_f32_e32 v112, v86
	v_mul_f32_e32 v110, 0x3fb8aa3b, v110
	s_waitcnt lgkmcnt(1)
	s_waitcnt_depctr 0xfff
	v_fma_f32 v86, v109, v107, 0
	v_sub_f32_e32 v107, v104, v85
	v_sub_f32_e32 v82, v82, v85
	v_exp_f32_e32 v110, v110
	ds_load_2addr_b32 v[103:104], v84 offset0:238 offset1:255
	v_dual_fmac_f32 v86, v112, v108 :: v_dual_mul_f32 v111, 0x3fb8aa3b, v82
	ds_load_2addr_b32 v[82:83], v84 offset0:204 offset1:221
	v_dual_sub_f32 v84, v105, v85 :: v_dual_mul_f32 v105, 0x3fb8aa3b, v107
	v_exp_f32_e32 v107, v113
	v_exp_f32_e32 v111, v111
	s_waitcnt lgkmcnt(0)
	s_delay_alu instid0(VALU_DEP_1)
	v_mul_f32_e32 v84, 0x3fb8aa3b, v84
	v_exp_f32_e32 v105, v105
	s_barrier
	buffer_gl0_inv
	v_fmac_f32_e32 v86, v111, v80
	v_sub_f32_e32 v80, v106, v85
	v_exp_f32_e32 v106, v84
	s_delay_alu instid0(VALU_DEP_2) | instskip(NEXT) | instid1(VALU_DEP_2)
	v_fmac_f32_e32 v86, v110, v81
	v_mul_f32_e32 v80, 0x3fb8aa3b, v80
	s_delay_alu instid0(VALU_DEP_2) | instskip(NEXT) | instid1(VALU_DEP_2)
	v_dual_cndmask_b32 v81, v109, v112 :: v_dual_fmac_f32 v86, v107, v82
	v_exp_f32_e32 v108, v80
	s_delay_alu instid0(VALU_DEP_1) | instskip(SKIP_2) | instid1(VALU_DEP_1)
	v_fmac_f32_e32 v86, v105, v83
	s_waitcnt_depctr 0xfff
	v_fmac_f32_e32 v86, v106, v103
	v_fmac_f32_e32 v86, v108, v104
	s_delay_alu instid0(VALU_DEP_1) | instskip(NEXT) | instid1(VALU_DEP_1)
	v_add_f32_e32 v103, 0x358637bd, v86
	v_div_scale_f32 v104, null, v103, v103, 1.0
	v_div_scale_f32 v109, vcc_lo, 1.0, v103, 1.0
	s_delay_alu instid0(VALU_DEP_2) | instskip(SKIP_2) | instid1(VALU_DEP_1)
	v_rcp_f32_e32 v113, v104
	s_waitcnt_depctr 0xfff
	v_fma_f32 v80, -v104, v113, 1.0
	v_fmac_f32_e32 v113, v80, v113
	v_cndmask_b32_e64 v80, v81, v111, s2
	v_cmp_eq_u32_e64 s2, 4, v78
	v_lshl_or_b32 v81, v78, 11, v79
	s_delay_alu instid0(VALU_DEP_4) | instskip(NEXT) | instid1(VALU_DEP_4)
	v_mul_f32_e32 v111, v109, v113
	v_cndmask_b32_e64 v82, v80, v110, s3
	v_cmp_eq_u32_e64 s3, 6, v78
	s_delay_alu instid0(VALU_DEP_4) | instskip(SKIP_3) | instid1(VALU_DEP_3)
	v_lshl_or_b32 v78, v75, 4, v81
	v_lshlrev_b32_e32 v80, 2, v75
	v_fma_f32 v83, -v104, v111, v109
	v_cndmask_b32_e64 v84, v82, v107, s2
	v_or_b32_e32 v82, 1, v80
	s_delay_alu instid0(VALU_DEP_3) | instskip(NEXT) | instid1(VALU_DEP_3)
	v_fmac_f32_e32 v111, v83, v113
	v_cndmask_b32_e64 v105, v84, v105, s4
	v_or_b32_e32 v84, 2, v80
	v_or_b32_e32 v83, 3, v80
	v_cmp_eq_u32_e64 s2, 1, v80
	v_fma_f32 v104, -v104, v111, v109
	v_cndmask_b32_e64 v105, v105, v106, s3
	v_cmp_eq_u32_e64 s8, 1, v82
	v_cmp_eq_u32_e64 s9, 1, v84
	;; [unrolled: 1-line block ×3, first 2 shown]
	v_div_fmas_f32 v104, v104, v113, v111
	v_cndmask_b32_e64 v105, v105, v108, s5
	v_cmp_eq_u32_e32 vcc_lo, 2, v80
	v_cmp_eq_u32_e64 s11, 2, v82
	v_cmp_eq_u32_e64 s13, 2, v84
	v_div_fixup_f32 v103, v104, v103, 1.0
	v_cmp_eq_u32_e64 s15, 2, v83
	v_cmp_eq_u32_e64 s17, 3, v83
	;; [unrolled: 1-line block ×4, first 2 shown]
	v_mul_f32_e32 v111, v105, v103
	v_cmp_eq_u32_e64 s16, 3, v84
	v_cmp_eq_u32_e64 s21, 4, v83
	;; [unrolled: 1-line block ×4, first 2 shown]
	v_fma_mixlo_f16 v103, v111, v88, 0
	v_fma_mixlo_f16 v104, v111, v90, 0
	;; [unrolled: 1-line block ×8, first 2 shown]
	v_fma_mixhi_f16 v103, v111, v87, 0
	v_fma_mixhi_f16 v104, v111, v89, 0
	;; [unrolled: 1-line block ×8, first 2 shown]
	ds_store_b128 v78, v[103:106]
	ds_store_b128 v78, v[107:110] offset:1024
	s_waitcnt lgkmcnt(0)
	s_barrier
	buffer_gl0_inv
	ds_load_b128 v[87:90], v81
	ds_load_b128 v[91:94], v81 offset:16
	ds_load_b128 v[95:98], v81 offset:1024
	;; [unrolled: 1-line block ×3, first 2 shown]
	v_cmp_eq_u32_e64 s20, 4, v84
	v_cmp_eq_u32_e64 s23, 5, v83
	;; [unrolled: 1-line block ×13, first 2 shown]
	s_waitcnt lgkmcnt(3)
	v_lshrrev_b32_e32 v103, 16, v87
	s_waitcnt lgkmcnt(2)
	v_lshrrev_b32_e32 v107, 16, v91
	;; [unrolled: 2-line block ×4, first 2 shown]
	v_lshrrev_b32_e32 v104, 16, v88
	v_cndmask_b32_e64 v119, v87, v103, s2
	v_cndmask_b32_e64 v120, v91, v107, s2
	v_cndmask_b32_e64 v121, v87, v103, s8
	v_cndmask_b32_e64 v122, v91, v107, s8
	v_cndmask_b32_e64 v123, v87, v103, s9
	v_cndmask_b32_e64 v124, v91, v107, s9
	v_cndmask_b32_e64 v87, v87, v103, s10
	v_cndmask_b32_e64 v91, v91, v107, s10
	v_lshrrev_b32_e32 v108, 16, v92
	v_cndmask_b32_e64 v103, v95, v111, s2
	v_cndmask_b32_e64 v107, v99, v115, s2
	;; [unrolled: 1-line block ×5, first 2 shown]
	v_cndmask_b32_e32 v111, v119, v88, vcc_lo
	v_cndmask_b32_e64 v119, v121, v88, s11
	v_cndmask_b32_e64 v121, v123, v88, s13
	;; [unrolled: 1-line block ×4, first 2 shown]
	v_lshrrev_b32_e32 v112, 16, v96
	v_lshrrev_b32_e32 v116, 16, v100
	v_cndmask_b32_e64 v126, v99, v115, s8
	v_cndmask_b32_e64 v128, v99, v115, s9
	;; [unrolled: 1-line block ×3, first 2 shown]
	v_cndmask_b32_e32 v115, v120, v92, vcc_lo
	v_cndmask_b32_e64 v120, v122, v92, s11
	v_cndmask_b32_e64 v122, v124, v92, s13
	v_cndmask_b32_e32 v91, v103, v96, vcc_lo
	v_cndmask_b32_e32 v92, v107, v100, vcc_lo
	v_cndmask_b32_e64 v103, v125, v96, s11
	v_cndmask_b32_e64 v87, v87, v104, s17
	;; [unrolled: 1-line block ×3, first 2 shown]
	v_lshrrev_b32_e32 v105, 16, v89
	v_lshrrev_b32_e32 v109, 16, v93
	v_cndmask_b32_e64 v107, v127, v96, s13
	v_cndmask_b32_e64 v95, v95, v96, s15
	;; [unrolled: 1-line block ×14, first 2 shown]
	v_lshrrev_b32_e32 v113, 16, v97
	v_cndmask_b32_e64 v99, v99, v89, s4
	v_cndmask_b32_e64 v104, v111, v93, s4
	;; [unrolled: 1-line block ×11, first 2 shown]
	v_lshrrev_b32_e32 v106, 16, v90
	v_lshrrev_b32_e32 v110, 16, v94
	v_cndmask_b32_e64 v93, v99, v105, s5
	v_cndmask_b32_e64 v99, v104, v109, s5
	;; [unrolled: 1-line block ×9, first 2 shown]
	v_lshrrev_b32_e32 v114, 16, v98
	v_cndmask_b32_e64 v89, v89, v113, s5
	v_cndmask_b32_e64 v93, v93, v90, s6
	;; [unrolled: 1-line block ×19, first 2 shown]
	v_perm_b32 v90, v88, v87, 0x5040100
	v_cndmask_b32_e64 v87, v126, v100, s11
	v_cndmask_b32_e64 v105, v89, v114, s7
	v_perm_b32 v89, v103, v99, 0x5040100
	v_perm_b32 v88, v104, v94, 0x5040100
	v_cndmask_b32_e64 v94, v107, v112, s16
	v_cndmask_b32_e64 v95, v95, v112, s17
	;; [unrolled: 1-line block ×5, first 2 shown]
	v_lshrrev_b32_e32 v117, 16, v101
	v_cndmask_b32_e64 v94, v94, v97, s20
	v_cndmask_b32_e64 v95, v95, v97, s21
	;; [unrolled: 1-line block ×11, first 2 shown]
	v_lshrrev_b32_e32 v118, 16, v102
	v_cndmask_b32_e64 v91, v91, v102, s6
	v_cndmask_b32_e64 v94, v94, v98, s25
	v_cndmask_b32_e64 v95, v95, v98, s26
	v_cndmask_b32_e64 v96, v96, v102, s26
	v_cndmask_b32_e64 v97, v97, v102, s25
	v_cndmask_b32_e64 v87, v87, v102, s24
	v_cndmask_b32_e64 v98, v94, v114, s27
	v_cndmask_b32_e64 v94, v95, v114, s28
	v_cndmask_b32_e64 v95, v96, v118, s28
	v_cndmask_b32_e64 v96, v97, v118, s27
	v_cndmask_b32_e64 v97, v87, v118, s29
	v_cndmask_b32_e64 v91, v91, v118, s7
	v_perm_b32 v87, v93, v92, 0x5040100
	v_perm_b32 v94, v95, v94, 0x5040100
	;; [unrolled: 1-line block ×5, first 2 shown]
	s_mul_i32 s6, s33, 12
	s_mov_b32 s2, exec_lo
	ds_store_b128 v78, v[87:90]
	ds_store_b128 v78, v[91:94] offset:1024
	v_cmpx_gt_u32_e32 12, v0
	s_cbranch_execz .LBB357_16
; %bb.15:
	s_mul_i32 s3, s6, s30
	s_load_b128 s[8:11], s[0:1], 0x58
	v_add3_u32 v77, s3, s31, v77
	s_delay_alu instid0(VALU_DEP_1) | instskip(NEXT) | instid1(VALU_DEP_1)
	v_mad_u64_u32 v[87:88], null, v77, s34, s[14:15]
	v_ashrrev_i32_e32 v88, 31, v87
	s_delay_alu instid0(VALU_DEP_1) | instskip(SKIP_1) | instid1(VALU_DEP_1)
	v_lshlrev_b64 v[87:88], 2, v[87:88]
	s_waitcnt lgkmcnt(0)
	v_add_co_u32 v89, vcc_lo, s10, v87
	s_delay_alu instid0(VALU_DEP_2)
	v_add_co_ci_u32_e32 v90, vcc_lo, s11, v88, vcc_lo
	v_add_co_u32 v87, vcc_lo, s8, v87
	v_add_co_ci_u32_e32 v88, vcc_lo, s9, v88, vcc_lo
	global_store_b32 v[89:90], v85, off
	global_store_b32 v[87:88], v86, off
.LBB357_16:
	s_or_b32 exec_lo, exec_lo, s2
	s_waitcnt lgkmcnt(0)
	s_waitcnt_vscnt null, 0x0
	s_barrier
	buffer_gl0_inv
	ds_load_b128 v[93:96], v79
	ds_load_b128 v[97:100], v79 offset:16
	ds_load_b128 v[105:108], v79 offset:1040
	;; [unrolled: 1-line block ×5, first 2 shown]
	v_cmp_eq_u32_e32 vcc_lo, 1, v84
	v_mov_b32_e32 v85, 0
	ds_load_b128 v[121:124], v79 offset:3088
	ds_load_b128 v[117:120], v79 offset:3072
	;; [unrolled: 1-line block ×4, first 2 shown]
	v_cmp_eq_u32_e64 s2, 1, v80
	v_cmp_eq_u32_e64 s3, 1, v83
	;; [unrolled: 1-line block ×3, first 2 shown]
	v_mov_b32_e32 v86, v85
	v_mov_b32_e32 v87, v85
	;; [unrolled: 1-line block ×7, first 2 shown]
	v_cmp_eq_u32_e64 s5, 2, v80
	s_waitcnt lgkmcnt(8)
	s_delay_alu instid0(VALU_DEP_2)
	v_wmma_f32_16x16x16_f16 v[85:92], v[65:72], v[93:100], v[85:92]
	ds_load_b128 v[69:72], v79 offset:5136
	ds_load_b128 v[65:68], v79 offset:5120
	;; [unrolled: 1-line block ×4, first 2 shown]
	s_waitcnt lgkmcnt(10)
	v_wmma_f32_16x16x16_f16 v[85:92], v[57:64], v[101:108], v[85:92]
	s_waitcnt lgkmcnt(8)
	s_delay_alu instid0(VALU_DEP_1)
	v_wmma_f32_16x16x16_f16 v[85:92], v[57:64], v[109:116], v[85:92]
	ds_load_b128 v[61:64], v79 offset:7184
	ds_load_b128 v[57:60], v79 offset:7168
	ds_load_b128 v[105:108], v79 offset:8208
	ds_load_b128 v[101:104], v79 offset:8192
	s_waitcnt lgkmcnt(10)
	v_wmma_f32_16x16x16_f16 v[85:92], v[49:56], v[117:124], v[85:92]
	s_waitcnt lgkmcnt(8)
	s_delay_alu instid0(VALU_DEP_1)
	v_wmma_f32_16x16x16_f16 v[85:92], v[49:56], v[125:132], v[85:92]
	ds_load_b128 v[53:56], v79 offset:9232
	ds_load_b128 v[49:52], v79 offset:9216
	s_waitcnt lgkmcnt(8)
	v_wmma_f32_16x16x16_f16 v[85:92], v[41:48], v[65:72], v[85:92]
	ds_load_b128 v[69:72], v79 offset:10256
	ds_load_b128 v[65:68], v79 offset:10240
	s_waitcnt lgkmcnt(8)
	;; [unrolled: 4-line block ×7, first 2 shown]
	s_barrier
	buffer_gl0_inv
	v_wmma_f32_16x16x16_f16 v[85:92], v[33:40], v[41:48], v[85:92]
	s_delay_alu instid0(VALU_DEP_1) | instskip(NEXT) | instid1(VALU_DEP_1)
	v_wmma_f32_16x16x16_f16 v[85:92], v[33:40], v[57:64], v[85:92]
	v_wmma_f32_16x16x16_f16 v[85:92], v[25:32], v[9:16], v[85:92]
	s_delay_alu instid0(VALU_DEP_1) | instskip(NEXT) | instid1(VALU_DEP_1)
	v_wmma_f32_16x16x16_f16 v[85:92], v[25:32], v[49:56], v[85:92]
	v_wmma_f32_16x16x16_f16 v[85:92], v[17:24], v[1:8], v[85:92]
	s_delay_alu instid0(VALU_DEP_1) | instskip(NEXT) | instid1(VALU_DEP_2)
	v_cvt_f16_f32_e32 v1, v85
	v_cvt_f16_f32_e32 v2, v86
	s_delay_alu instid0(VALU_DEP_3) | instskip(NEXT) | instid1(VALU_DEP_4)
	v_cvt_f16_f32_e32 v3, v87
	v_cvt_f16_f32_e32 v4, v88
	v_cvt_f16_f32_e32 v5, v89
	v_cvt_f16_f32_e32 v6, v90
	v_cvt_f16_f32_e32 v7, v91
	v_cvt_f16_f32_e32 v8, v92
	v_pack_b32_f16 v1, v1, v2
	v_pack_b32_f16 v2, v3, v4
	v_pack_b32_f16 v3, v5, v6
	s_delay_alu instid0(VALU_DEP_4)
	v_pack_b32_f16 v4, v7, v8
	ds_store_b128 v78, v[1:4]
	s_waitcnt lgkmcnt(0)
	s_barrier
	buffer_gl0_inv
	ds_load_b128 v[1:4], v81
	ds_load_b128 v[5:8], v81 offset:16
	s_waitcnt lgkmcnt(1)
	v_lshrrev_b32_e32 v9, 16, v1
	s_waitcnt lgkmcnt(0)
	v_lshrrev_b32_e32 v13, 16, v5
	v_lshrrev_b32_e32 v15, 16, v7
	;; [unrolled: 1-line block ×4, first 2 shown]
	v_cndmask_b32_e64 v17, v1, v9, s2
	v_cndmask_b32_e64 v18, v5, v13, s2
	;; [unrolled: 1-line block ×3, first 2 shown]
	v_cmp_eq_u32_e64 s2, 2, v82
	v_cndmask_b32_e64 v20, v5, v13, s4
	v_cndmask_b32_e32 v21, v1, v9, vcc_lo
	v_cndmask_b32_e32 v22, v5, v13, vcc_lo
	v_cndmask_b32_e64 v1, v1, v9, s3
	v_cndmask_b32_e64 v5, v5, v13, s3
	v_cmp_eq_u32_e32 vcc_lo, 2, v84
	v_cmp_eq_u32_e64 s3, 2, v83
	v_cndmask_b32_e64 v9, v17, v2, s5
	v_cndmask_b32_e64 v13, v18, v6, s5
	;; [unrolled: 1-line block ×4, first 2 shown]
	v_cndmask_b32_e32 v19, v21, v2, vcc_lo
	v_cmp_eq_u32_e64 s2, 3, v84
	v_cndmask_b32_e32 v20, v22, v6, vcc_lo
	v_cndmask_b32_e64 v1, v1, v2, s3
	v_cmp_eq_u32_e32 vcc_lo, 3, v83
	v_cmp_eq_u32_e64 s4, 3, v80
	v_cndmask_b32_e64 v2, v5, v6, s3
	v_cmp_eq_u32_e64 s3, 3, v82
	v_lshrrev_b32_e32 v16, 16, v8
	v_cmp_eq_u32_e64 s5, 4, v80
	v_cndmask_b32_e64 v5, v9, v10, s4
	v_cndmask_b32_e64 v6, v13, v14, s4
	;; [unrolled: 1-line block ×3, first 2 shown]
	v_cmp_eq_u32_e64 s4, 4, v82
	v_cndmask_b32_e64 v13, v18, v14, s3
	v_cndmask_b32_e64 v17, v19, v10, s2
	;; [unrolled: 1-line block ×3, first 2 shown]
	v_cndmask_b32_e32 v1, v1, v10, vcc_lo
	v_cndmask_b32_e32 v2, v2, v14, vcc_lo
	v_cmp_eq_u32_e32 vcc_lo, 4, v84
	v_cmp_eq_u32_e64 s3, 4, v83
	v_lshrrev_b32_e32 v11, 16, v3
	v_cndmask_b32_e64 v5, v5, v3, s5
	v_cndmask_b32_e64 v6, v6, v7, s5
	;; [unrolled: 1-line block ×4, first 2 shown]
	v_cndmask_b32_e32 v13, v17, v3, vcc_lo
	v_cmp_eq_u32_e64 s2, 5, v84
	v_cndmask_b32_e32 v14, v18, v7, vcc_lo
	v_cndmask_b32_e64 v1, v1, v3, s3
	v_cmp_eq_u32_e32 vcc_lo, 5, v83
	v_cmp_eq_u32_e64 s4, 5, v80
	v_cndmask_b32_e64 v2, v2, v7, s3
	v_cmp_eq_u32_e64 s3, 5, v82
	v_cmp_eq_u32_e64 s5, 6, v80
	v_cndmask_b32_e32 v1, v1, v11, vcc_lo
	v_cndmask_b32_e64 v3, v5, v11, s4
	v_cndmask_b32_e64 v5, v6, v15, s4
	;; [unrolled: 1-line block ×3, first 2 shown]
	v_cmp_eq_u32_e64 s4, 6, v82
	v_cndmask_b32_e64 v7, v10, v15, s3
	v_cndmask_b32_e64 v9, v13, v11, s2
	;; [unrolled: 1-line block ×3, first 2 shown]
	v_cndmask_b32_e32 v2, v2, v15, vcc_lo
	v_cmp_eq_u32_e32 vcc_lo, 6, v84
	v_cmp_eq_u32_e64 s2, 6, v83
	v_lshrrev_b32_e32 v12, 16, v4
	v_cndmask_b32_e64 v3, v3, v4, s5
	v_cndmask_b32_e64 v5, v5, v8, s5
	;; [unrolled: 1-line block ×4, first 2 shown]
	v_cndmask_b32_e32 v9, v9, v4, vcc_lo
	v_cmp_eq_u32_e64 s3, 7, v84
	v_cndmask_b32_e32 v10, v10, v8, vcc_lo
	v_cndmask_b32_e64 v1, v1, v4, s2
	v_cmp_eq_u32_e32 vcc_lo, 7, v83
	v_cndmask_b32_e64 v2, v2, v8, s2
	v_cmp_eq_u32_e64 s2, 7, v80
	v_cmp_eq_u32_e64 s4, 7, v82
	v_cndmask_b32_e32 v1, v1, v12, vcc_lo
	s_delay_alu instid0(VALU_DEP_4) | instskip(NEXT) | instid1(VALU_DEP_4)
	v_cndmask_b32_e32 v2, v2, v16, vcc_lo
	v_cndmask_b32_e64 v8, v3, v12, s2
	s_delay_alu instid0(VALU_DEP_4)
	v_cndmask_b32_e64 v6, v6, v12, s4
	v_cndmask_b32_e64 v3, v9, v12, s3
	;; [unrolled: 1-line block ×5, first 2 shown]
	v_perm_b32 v4, v2, v1, 0x5040100
	s_mov_b32 s2, exec_lo
	v_perm_b32 v3, v9, v3, 0x5040100
	v_perm_b32 v2, v7, v6, 0x5040100
	;; [unrolled: 1-line block ×3, first 2 shown]
	ds_store_b128 v78, v[1:4]
	s_waitcnt lgkmcnt(0)
	s_barrier
	buffer_gl0_inv
	v_cmpx_gt_u32_e32 32, v0
	s_cbranch_execz .LBB357_2
; %bb.17:
	s_load_b64 s[0:1], s[0:1], 0x68
	v_lshlrev_b32_e32 v0, 10, v0
	s_lshl_b32 s4, s34, 7
	v_or_b32_e32 v3, s31, v75
	s_mul_i32 s2, s4, s30
	v_lshlrev_b32_e32 v1, 4, v76
	s_mul_i32 s2, s2, s6
	v_lshlrev_b32_e32 v2, 6, v75
	v_and_b32_e32 v0, 0x3800, v0
	s_ashr_i32 s3, s2, 31
	v_mul_lo_u32 v4, v3, s4
	s_lshl_b64 s[2:3], s[2:3], 1
	s_delay_alu instid0(VALU_DEP_2) | instskip(NEXT) | instid1(VALU_DEP_2)
	v_or3_b32 v16, v0, v1, v2
	v_ashrrev_i32_e32 v5, 31, v4
	ds_load_b128 v[0:3], v16
	s_waitcnt lgkmcnt(0)
	s_add_u32 s2, s0, s2
	s_addc_u32 s3, s1, s3
	s_lshl_b32 s0, s14, 7
	v_lshlrev_b64 v[5:6], 1, v[4:5]
	s_ashr_i32 s1, s0, 31
	s_delay_alu instid0(SALU_CYCLE_1) | instskip(NEXT) | instid1(SALU_CYCLE_1)
	s_lshl_b64 s[0:1], s[0:1], 1
	s_add_u32 s0, s2, s0
	s_addc_u32 s1, s3, s1
	s_lshl_b32 s2, s34, 8
	v_add_co_u32 v30, vcc_lo, s0, v73
	v_add_nc_u32_e32 v8, s2, v4
	v_add_co_ci_u32_e32 v31, vcc_lo, s1, v74, vcc_lo
	s_delay_alu instid0(VALU_DEP_3) | instskip(NEXT) | instid1(VALU_DEP_3)
	v_add_co_u32 v12, vcc_lo, v30, v5
	v_add_nc_u32_e32 v10, s2, v8
	v_ashrrev_i32_e32 v9, 31, v8
	s_delay_alu instid0(VALU_DEP_4)
	v_add_co_ci_u32_e32 v13, vcc_lo, v31, v6, vcc_lo
	ds_load_b128 v[4:7], v16 offset:128
	v_ashrrev_i32_e32 v11, 31, v10
	v_lshlrev_b64 v[8:9], 1, v[8:9]
	v_add_nc_u32_e32 v14, s2, v10
	global_store_b128 v[12:13], v[0:3], off
	v_lshlrev_b64 v[0:1], 1, v[10:11]
	v_ashrrev_i32_e32 v15, 31, v14
	v_add_co_u32 v22, vcc_lo, v30, v8
	v_add_nc_u32_e32 v20, s2, v14
	v_add_co_ci_u32_e32 v23, vcc_lo, v31, v9, vcc_lo
	v_add_co_u32 v26, vcc_lo, v30, v0
	v_lshlrev_b64 v[24:25], 1, v[14:15]
	v_add_co_ci_u32_e32 v27, vcc_lo, v31, v1, vcc_lo
	ds_load_b128 v[0:3], v16 offset:256
	ds_load_b128 v[8:11], v16 offset:384
	;; [unrolled: 1-line block ×4, first 2 shown]
	v_add_nc_u32_e32 v28, s2, v20
	v_ashrrev_i32_e32 v21, 31, v20
	v_add_co_u32 v24, vcc_lo, v30, v24
	v_add_co_ci_u32_e32 v25, vcc_lo, v31, v25, vcc_lo
	s_delay_alu instid0(VALU_DEP_4) | instskip(NEXT) | instid1(VALU_DEP_4)
	v_ashrrev_i32_e32 v29, 31, v28
	v_lshlrev_b64 v[20:21], 1, v[20:21]
	s_delay_alu instid0(VALU_DEP_2) | instskip(NEXT) | instid1(VALU_DEP_2)
	v_lshlrev_b64 v[28:29], 1, v[28:29]
	v_add_co_u32 v20, vcc_lo, v30, v20
	s_delay_alu instid0(VALU_DEP_3) | instskip(NEXT) | instid1(VALU_DEP_3)
	v_add_co_ci_u32_e32 v21, vcc_lo, v31, v21, vcc_lo
	v_add_co_u32 v28, vcc_lo, v30, v28
	s_delay_alu instid0(VALU_DEP_4)
	v_add_co_ci_u32_e32 v29, vcc_lo, v31, v29, vcc_lo
	s_waitcnt lgkmcnt(4)
	global_store_b128 v[22:23], v[4:7], off
	s_waitcnt lgkmcnt(3)
	global_store_b128 v[26:27], v[0:3], off
	;; [unrolled: 2-line block ×5, first 2 shown]
	s_nop 0
	s_sendmsg sendmsg(MSG_DEALLOC_VGPRS)
	s_endpgm
	.section	.rodata,"a",@progbits
	.p2align	6, 0x0
	.amdhsa_kernel _Z39paged_attention_ll4mi_QKV_mfma16_kernelIDF16_DF16_LN4vllm18Fp8KVCacheDataTypeE0EDF16_Li32ELi128ELi256ELb1ELi12EL8MFMAType0EEvPKT_PKT0_S8_ifPKiSA_SA_iPKfiiiPfSD_PS3_PT2_iSC_SC_
		.amdhsa_group_segment_fixed_size 17472
		.amdhsa_private_segment_fixed_size 0
		.amdhsa_kernarg_size 400
		.amdhsa_user_sgpr_count 13
		.amdhsa_user_sgpr_dispatch_ptr 0
		.amdhsa_user_sgpr_queue_ptr 0
		.amdhsa_user_sgpr_kernarg_segment_ptr 1
		.amdhsa_user_sgpr_dispatch_id 0
		.amdhsa_user_sgpr_private_segment_size 0
		.amdhsa_wavefront_size32 1
		.amdhsa_uses_dynamic_stack 0
		.amdhsa_enable_private_segment 0
		.amdhsa_system_sgpr_workgroup_id_x 1
		.amdhsa_system_sgpr_workgroup_id_y 1
		.amdhsa_system_sgpr_workgroup_id_z 1
		.amdhsa_system_sgpr_workgroup_info 0
		.amdhsa_system_vgpr_workitem_id 0
		.amdhsa_next_free_vgpr 172
		.amdhsa_next_free_sgpr 38
		.amdhsa_reserve_vcc 1
		.amdhsa_float_round_mode_32 0
		.amdhsa_float_round_mode_16_64 0
		.amdhsa_float_denorm_mode_32 3
		.amdhsa_float_denorm_mode_16_64 3
		.amdhsa_dx10_clamp 1
		.amdhsa_ieee_mode 1
		.amdhsa_fp16_overflow 0
		.amdhsa_workgroup_processor_mode 1
		.amdhsa_memory_ordered 1
		.amdhsa_forward_progress 0
		.amdhsa_shared_vgpr_count 0
		.amdhsa_exception_fp_ieee_invalid_op 0
		.amdhsa_exception_fp_denorm_src 0
		.amdhsa_exception_fp_ieee_div_zero 0
		.amdhsa_exception_fp_ieee_overflow 0
		.amdhsa_exception_fp_ieee_underflow 0
		.amdhsa_exception_fp_ieee_inexact 0
		.amdhsa_exception_int_div_zero 0
	.end_amdhsa_kernel
	.section	.text._Z39paged_attention_ll4mi_QKV_mfma16_kernelIDF16_DF16_LN4vllm18Fp8KVCacheDataTypeE0EDF16_Li32ELi128ELi256ELb1ELi12EL8MFMAType0EEvPKT_PKT0_S8_ifPKiSA_SA_iPKfiiiPfSD_PS3_PT2_iSC_SC_,"axG",@progbits,_Z39paged_attention_ll4mi_QKV_mfma16_kernelIDF16_DF16_LN4vllm18Fp8KVCacheDataTypeE0EDF16_Li32ELi128ELi256ELb1ELi12EL8MFMAType0EEvPKT_PKT0_S8_ifPKiSA_SA_iPKfiiiPfSD_PS3_PT2_iSC_SC_,comdat
.Lfunc_end357:
	.size	_Z39paged_attention_ll4mi_QKV_mfma16_kernelIDF16_DF16_LN4vllm18Fp8KVCacheDataTypeE0EDF16_Li32ELi128ELi256ELb1ELi12EL8MFMAType0EEvPKT_PKT0_S8_ifPKiSA_SA_iPKfiiiPfSD_PS3_PT2_iSC_SC_, .Lfunc_end357-_Z39paged_attention_ll4mi_QKV_mfma16_kernelIDF16_DF16_LN4vllm18Fp8KVCacheDataTypeE0EDF16_Li32ELi128ELi256ELb1ELi12EL8MFMAType0EEvPKT_PKT0_S8_ifPKiSA_SA_iPKfiiiPfSD_PS3_PT2_iSC_SC_
                                        ; -- End function
	.section	.AMDGPU.csdata,"",@progbits
; Kernel info:
; codeLenInByte = 7608
; NumSgprs: 40
; NumVgprs: 172
; ScratchSize: 0
; MemoryBound: 0
; FloatMode: 240
; IeeeMode: 1
; LDSByteSize: 17472 bytes/workgroup (compile time only)
; SGPRBlocks: 4
; VGPRBlocks: 21
; NumSGPRsForWavesPerEU: 40
; NumVGPRsForWavesPerEU: 172
; Occupancy: 8
; WaveLimiterHint : 1
; COMPUTE_PGM_RSRC2:SCRATCH_EN: 0
; COMPUTE_PGM_RSRC2:USER_SGPR: 13
; COMPUTE_PGM_RSRC2:TRAP_HANDLER: 0
; COMPUTE_PGM_RSRC2:TGID_X_EN: 1
; COMPUTE_PGM_RSRC2:TGID_Y_EN: 1
; COMPUTE_PGM_RSRC2:TGID_Z_EN: 1
; COMPUTE_PGM_RSRC2:TIDIG_COMP_CNT: 0
	.section	.text._Z39paged_attention_ll4mi_QKV_mfma16_kernelIDF16_DF16_LN4vllm18Fp8KVCacheDataTypeE0EDF16_Li32ELi128ELi256ELb1ELi13EL8MFMAType0EEvPKT_PKT0_S8_ifPKiSA_SA_iPKfiiiPfSD_PS3_PT2_iSC_SC_,"axG",@progbits,_Z39paged_attention_ll4mi_QKV_mfma16_kernelIDF16_DF16_LN4vllm18Fp8KVCacheDataTypeE0EDF16_Li32ELi128ELi256ELb1ELi13EL8MFMAType0EEvPKT_PKT0_S8_ifPKiSA_SA_iPKfiiiPfSD_PS3_PT2_iSC_SC_,comdat
	.protected	_Z39paged_attention_ll4mi_QKV_mfma16_kernelIDF16_DF16_LN4vllm18Fp8KVCacheDataTypeE0EDF16_Li32ELi128ELi256ELb1ELi13EL8MFMAType0EEvPKT_PKT0_S8_ifPKiSA_SA_iPKfiiiPfSD_PS3_PT2_iSC_SC_ ; -- Begin function _Z39paged_attention_ll4mi_QKV_mfma16_kernelIDF16_DF16_LN4vllm18Fp8KVCacheDataTypeE0EDF16_Li32ELi128ELi256ELb1ELi13EL8MFMAType0EEvPKT_PKT0_S8_ifPKiSA_SA_iPKfiiiPfSD_PS3_PT2_iSC_SC_
	.globl	_Z39paged_attention_ll4mi_QKV_mfma16_kernelIDF16_DF16_LN4vllm18Fp8KVCacheDataTypeE0EDF16_Li32ELi128ELi256ELb1ELi13EL8MFMAType0EEvPKT_PKT0_S8_ifPKiSA_SA_iPKfiiiPfSD_PS3_PT2_iSC_SC_
	.p2align	8
	.type	_Z39paged_attention_ll4mi_QKV_mfma16_kernelIDF16_DF16_LN4vllm18Fp8KVCacheDataTypeE0EDF16_Li32ELi128ELi256ELb1ELi13EL8MFMAType0EEvPKT_PKT0_S8_ifPKiSA_SA_iPKfiiiPfSD_PS3_PT2_iSC_SC_,@function
_Z39paged_attention_ll4mi_QKV_mfma16_kernelIDF16_DF16_LN4vllm18Fp8KVCacheDataTypeE0EDF16_Li32ELi128ELi256ELb1ELi13EL8MFMAType0EEvPKT_PKT0_S8_ifPKiSA_SA_iPKfiiiPfSD_PS3_PT2_iSC_SC_: ; @_Z39paged_attention_ll4mi_QKV_mfma16_kernelIDF16_DF16_LN4vllm18Fp8KVCacheDataTypeE0EDF16_Li32ELi128ELi256ELb1ELi13EL8MFMAType0EEvPKT_PKT0_S8_ifPKiSA_SA_iPKfiiiPfSD_PS3_PT2_iSC_SC_
; %bb.0:
	s_load_b64 s[2:3], s[0:1], 0x30
	s_mov_b32 s34, s13
	s_waitcnt lgkmcnt(0)
	s_cmp_lg_u64 s[2:3], 0
	s_cselect_b32 s6, -1, 0
	s_ashr_i32 s35, s13, 31
	s_cmp_eq_u64 s[2:3], 0
	s_cbranch_scc1 .LBB358_3
; %bb.1:
	s_lshl_b64 s[4:5], s[34:35], 2
	s_delay_alu instid0(SALU_CYCLE_1) | instskip(SKIP_4) | instid1(SALU_CYCLE_1)
	s_add_u32 s4, s2, s4
	s_addc_u32 s5, s3, s5
	s_load_b64 s[4:5], s[4:5], 0x0
	s_waitcnt lgkmcnt(0)
	s_sub_i32 s4, s5, s4
	s_cmp_eq_u32 s4, 1
	s_cselect_b32 s4, -1, 0
	s_delay_alu instid0(SALU_CYCLE_1)
	s_and_not1_b32 vcc_lo, exec_lo, s4
	s_cbranch_vccz .LBB358_4
.LBB358_2:
	s_nop 0
	s_sendmsg sendmsg(MSG_DEALLOC_VGPRS)
	s_endpgm
.LBB358_3:
.LBB358_4:
	s_load_b64 s[8:9], s[0:1], 0x28
	s_lshl_b64 s[4:5], s[34:35], 2
	s_waitcnt lgkmcnt(0)
	s_add_u32 s8, s8, s4
	s_addc_u32 s9, s9, s5
	s_lshl_b32 s12, s14, 8
	s_load_b32 s17, s[8:9], 0x0
	s_waitcnt lgkmcnt(0)
	s_cmp_ge_i32 s12, s17
	s_cbranch_scc1 .LBB358_2
; %bb.5:
	s_and_not1_b32 vcc_lo, exec_lo, s6
	s_cbranch_vccnz .LBB358_7
; %bb.6:
	s_add_u32 s2, s2, s4
	s_addc_u32 s3, s3, s5
	s_load_b32 s13, s[2:3], 0x0
	s_branch .LBB358_8
.LBB358_7:
	s_mov_b32 s13, s34
.LBB358_8:
	s_clause 0x2
	s_load_b128 s[8:11], s[0:1], 0x8
	s_load_b64 s[2:3], s[0:1], 0x20
	s_load_b128 s[4:7], s[0:1], 0x48
	v_lshrrev_b32_e32 v78, 5, v0
	v_bfe_u32 v75, v0, 4, 1
	v_and_b32_e32 v77, 15, v0
	s_waitcnt lgkmcnt(0)
	s_mov_b32 s7, exec_lo
	s_delay_alu instid0(VALU_DEP_2) | instskip(NEXT) | instid1(VALU_DEP_2)
	v_lshl_or_b32 v3, v78, 1, v75
	v_lshlrev_b32_e32 v1, 3, v77
	s_delay_alu instid0(VALU_DEP_2)
	v_cmpx_lt_u32_e32 12, v3
	s_xor_b32 s7, exec_lo, s7
; %bb.9:
	v_mov_b32_e32 v2, 0
                                        ; implicit-def: $vgpr3
; %bb.10:
	s_or_saveexec_b32 s7, s7
	v_and_b32_e32 v80, 31, v0
	v_and_b32_e32 v76, 1, v0
	s_mul_i32 s31, s15, 13
	s_xor_b32 exec_lo, exec_lo, s7
	s_cbranch_execz .LBB358_12
; %bb.11:
	s_load_b64 s[18:19], s[0:1], 0x0
	v_add_lshl_u32 v4, v3, s31, 7
	s_mul_hi_i32 s21, s13, s4
	s_mul_i32 s20, s13, s4
	v_lshlrev_b32_e32 v2, 1, v1
	s_lshl_b64 s[20:21], s[20:21], 1
	v_ashrrev_i32_e32 v5, 31, v4
	v_lshlrev_b32_e32 v3, 6, v3
	v_lshlrev_b32_e32 v8, 10, v76
	s_delay_alu instid0(VALU_DEP_3) | instskip(SKIP_3) | instid1(VALU_DEP_1)
	v_lshlrev_b64 v[4:5], 1, v[4:5]
	s_waitcnt lgkmcnt(0)
	s_add_u32 s4, s18, s20
	s_addc_u32 s13, s19, s21
	v_add_co_u32 v4, vcc_lo, s4, v4
	s_delay_alu instid0(VALU_DEP_2) | instskip(NEXT) | instid1(VALU_DEP_2)
	v_add_co_ci_u32_e32 v5, vcc_lo, s13, v5, vcc_lo
	v_add_co_u32 v4, vcc_lo, v4, v2
	s_delay_alu instid0(VALU_DEP_2) | instskip(SKIP_3) | instid1(VALU_DEP_1)
	v_add_co_ci_u32_e32 v5, vcc_lo, 0, v5, vcc_lo
	v_lshlrev_b32_e32 v2, 10, v77
	global_load_b128 v[4:7], v[4:5], off
	v_and_b32_e32 v2, 0x3800, v2
	v_or3_b32 v3, v2, v8, v3
	v_mov_b32_e32 v2, 0
	s_waitcnt vmcnt(0)
	ds_store_b128 v3, v[4:7]
.LBB358_12:
	s_or_b32 exec_lo, exec_lo, s7
	v_and_b32_e32 v3, 0xef, v0
	s_add_i32 s4, s17, 31
	s_clause 0x1
	s_load_b32 s7, s[0:1], 0x38
	s_load_b32 s33, s[0:1], 0x98
	s_ashr_i32 s13, s4, 31
	v_add_nc_u32_e32 v3, s12, v3
	s_lshr_b32 s13, s13, 27
	s_load_b32 s18, s[0:1], 0x1c
	s_add_i32 s4, s4, s13
	s_waitcnt lgkmcnt(0)
	v_ashrrev_i32_e32 v4, 31, v3
	v_cmp_gt_i32_e32 vcc_lo, s17, v3
	s_ashr_i32 s4, s4, 5
	s_barrier
	s_add_i32 s4, s4, -1
	v_lshrrev_b32_e32 v5, 27, v4
	v_or_b32_e32 v4, 16, v3
	buffer_gl0_inv
	v_lshlrev_b64 v[73:74], 1, v[1:2]
	v_lshlrev_b32_e32 v79, 6, v77
	v_add_nc_u32_e32 v6, v3, v5
	v_add_nc_u32_e32 v5, v4, v5
	s_mul_i32 s20, s34, s7
	s_delay_alu instid0(SALU_CYCLE_1) | instskip(NEXT) | instid1(VALU_DEP_2)
	s_ashr_i32 s21, s20, 31
	v_ashrrev_i32_e32 v6, 5, v6
	s_delay_alu instid0(VALU_DEP_2) | instskip(SKIP_1) | instid1(SALU_CYCLE_1)
	v_ashrrev_i32_e32 v5, 5, v5
	s_lshl_b64 s[20:21], s[20:21], 2
	s_add_u32 s13, s2, s20
	s_delay_alu instid0(VALU_DEP_2) | instskip(SKIP_3) | instid1(SALU_CYCLE_1)
	v_cndmask_b32_e32 v3, s4, v6, vcc_lo
	v_cmp_gt_i32_e32 vcc_lo, s17, v4
	s_addc_u32 s16, s3, s21
	s_mul_i32 s2, s15, s6
	s_ashr_i32 s3, s2, 31
	v_cndmask_b32_e32 v5, s4, v5, vcc_lo
	v_ashrrev_i32_e32 v4, 31, v3
	s_lshl_b64 s[2:3], s[2:3], 1
	s_delay_alu instid0(SALU_CYCLE_1) | instskip(NEXT) | instid1(VALU_DEP_2)
	s_add_u32 s15, s8, s2
	v_ashrrev_i32_e32 v6, 31, v5
	s_delay_alu instid0(VALU_DEP_2) | instskip(SKIP_2) | instid1(VALU_DEP_2)
	v_lshlrev_b64 v[3:4], 2, v[3:4]
	s_addc_u32 s19, s9, s3
	s_lshl_b32 s6, s14, 3
	v_lshlrev_b64 v[5:6], 2, v[5:6]
	s_ashr_i32 s7, s6, 31
	s_delay_alu instid0(VALU_DEP_2) | instskip(SKIP_1) | instid1(VALU_DEP_3)
	v_add_co_u32 v3, vcc_lo, s13, v3
	v_add_co_ci_u32_e32 v4, vcc_lo, s16, v4, vcc_lo
	v_add_co_u32 v5, vcc_lo, s13, v5
	s_delay_alu instid0(VALU_DEP_4)
	v_add_co_ci_u32_e32 v6, vcc_lo, s16, v6, vcc_lo
	s_lshl_b64 s[6:7], s[6:7], 2
	s_clause 0x1
	global_load_b32 v7, v[3:4], off
	global_load_b32 v8, v[5:6], off
	s_add_u32 s6, s13, s6
	s_addc_u32 s7, s16, s7
	s_or_b32 s8, s12, 32
	s_delay_alu instid0(SALU_CYCLE_1) | instskip(SKIP_2) | instid1(SALU_CYCLE_1)
	s_ashr_i32 s9, s8, 5
	s_cmp_lt_i32 s8, s17
	s_cselect_b32 s8, s9, s4
	s_ashr_i32 s9, s8, 31
	s_delay_alu instid0(SALU_CYCLE_1) | instskip(NEXT) | instid1(SALU_CYCLE_1)
	s_lshl_b64 s[8:9], s[8:9], 2
	s_add_u32 s8, s13, s8
	s_addc_u32 s9, s16, s9
	s_or_b32 s20, s12, 64
	s_delay_alu instid0(SALU_CYCLE_1) | instskip(SKIP_2) | instid1(SALU_CYCLE_1)
	s_ashr_i32 s21, s20, 5
	s_cmp_lt_i32 s20, s17
	s_cselect_b32 s20, s21, s4
	s_ashr_i32 s21, s20, 31
	s_delay_alu instid0(SALU_CYCLE_1) | instskip(NEXT) | instid1(SALU_CYCLE_1)
	s_lshl_b64 s[20:21], s[20:21], 2
	;; [unrolled: 10-line block ×5, first 2 shown]
	s_add_u32 s26, s13, s26
	s_addc_u32 s27, s16, s27
	s_clause 0x5
	s_load_b32 s28, s[6:7], 0x0
	s_load_b32 s29, s[8:9], 0x0
	;; [unrolled: 1-line block ×6, first 2 shown]
	s_mov_b32 s20, 0
	s_or_b32 s6, s12, 0xc0
	s_mov_b32 s21, s20
	s_mov_b32 s22, s20
	s_mov_b32 s23, s20
	s_mov_b32 s24, s20
	s_mov_b32 s25, s20
	s_mov_b32 s26, s20
	s_mov_b32 s27, s20
	s_ashr_i32 s7, s6, 5
	v_mov_b32_e32 v128, s27
	s_cmp_lt_i32 s6, s17
	v_mov_b32_e32 v127, s26
	s_cselect_b32 s6, s7, s4
	v_mov_b32_e32 v126, s25
	s_ashr_i32 s7, s6, 31
	v_mov_b32_e32 v125, s24
	s_lshl_b64 s[6:7], s[6:7], 2
	v_mov_b32_e32 v124, s23
	s_add_u32 s6, s13, s6
	s_addc_u32 s7, s16, s7
	v_mov_b32_e32 v123, s22
	v_mov_b32_e32 v121, s20
	s_waitcnt lgkmcnt(0)
	s_mul_hi_i32 s9, s28, s5
	s_mul_i32 s8, s28, s5
	s_mul_hi_i32 s37, s38, s5
	v_mov_b32_e32 v122, s21
	s_mul_hi_i32 s21, s29, s5
	s_mul_i32 s20, s29, s5
	s_mul_hi_i32 s25, s30, s5
	s_mul_i32 s24, s30, s5
	;; [unrolled: 2-line block ×3, first 2 shown]
	s_waitcnt vmcnt(1)
	v_mad_i64_i32 v[3:4], null, v7, s5, 0
	s_waitcnt vmcnt(0)
	v_mad_i64_i32 v[5:6], null, v8, s5, 0
	s_delay_alu instid0(VALU_DEP_2) | instskip(NEXT) | instid1(VALU_DEP_2)
	v_lshlrev_b64 v[3:4], 1, v[3:4]
	v_lshlrev_b64 v[1:2], 1, v[5:6]
	s_delay_alu instid0(VALU_DEP_2) | instskip(NEXT) | instid1(VALU_DEP_3)
	v_add_co_u32 v3, vcc_lo, s15, v3
	v_add_co_ci_u32_e32 v4, vcc_lo, s19, v4, vcc_lo
	s_delay_alu instid0(VALU_DEP_3) | instskip(NEXT) | instid1(VALU_DEP_4)
	v_add_co_u32 v1, vcc_lo, s15, v1
	v_add_co_ci_u32_e32 v2, vcc_lo, s19, v2, vcc_lo
	s_delay_alu instid0(VALU_DEP_4) | instskip(NEXT) | instid1(VALU_DEP_4)
	v_add_co_u32 v65, vcc_lo, v3, v73
	v_add_co_ci_u32_e32 v66, vcc_lo, v4, v74, vcc_lo
	s_delay_alu instid0(VALU_DEP_4) | instskip(NEXT) | instid1(VALU_DEP_4)
	v_add_co_u32 v67, vcc_lo, v1, v73
	v_add_co_ci_u32_e32 v68, vcc_lo, v2, v74, vcc_lo
	s_clause 0xf
	global_load_b128 v[1:4], v[65:66], off
	global_load_b128 v[5:8], v[65:66], off offset:512
	global_load_b128 v[9:12], v[67:68], off offset:256
	;; [unrolled: 1-line block ×15, first 2 shown]
	v_add_co_u32 v157, vcc_lo, 0x1000, v65
	v_add_co_ci_u32_e32 v158, vcc_lo, 0, v66, vcc_lo
	v_add_co_u32 v165, vcc_lo, 0x1000, v67
	v_add_co_ci_u32_e32 v166, vcc_lo, 0, v68, vcc_lo
	s_clause 0x7
	global_load_b128 v[81:84], v[157:158], off
	global_load_b128 v[85:88], v[157:158], off offset:512
	global_load_b128 v[89:92], v[165:166], off offset:256
	;; [unrolled: 1-line block ×7, first 2 shown]
	v_add_nc_u32_e32 v65, -13, v77
	v_cmp_gt_u32_e32 vcc_lo, 13, v77
	s_or_b32 s15, s12, 0xe0
	s_delay_alu instid0(SALU_CYCLE_1) | instskip(SKIP_3) | instid1(SALU_CYCLE_1)
	s_ashr_i32 s19, s15, 5
	s_cmp_lt_i32 s15, s17
	v_cndmask_b32_e32 v65, v65, v77, vcc_lo
	s_cselect_b32 s22, s19, s4
	s_ashr_i32 s23, s22, 31
	s_delay_alu instid0(VALU_DEP_1)
	v_lshlrev_b32_e32 v169, 6, v65
	ds_load_b128 v[65:68], v169
	ds_load_b128 v[69:72], v169 offset:1024
	s_clause 0x1
	global_load_b128 v[113:116], v[157:158], off offset:2048
	global_load_b128 v[117:120], v[157:158], off offset:2560
	ds_load_b128 v[129:132], v169 offset:2048
	ds_load_b128 v[133:136], v169 offset:3072
	s_clause 0x5
	global_load_b128 v[145:148], v[165:166], off offset:2304
	global_load_b128 v[149:152], v[165:166], off offset:2816
	;; [unrolled: 1-line block ×6, first 2 shown]
	s_lshl_b64 s[22:23], s[22:23], 2
	s_delay_alu instid0(SALU_CYCLE_1) | instskip(SKIP_2) | instid1(SALU_CYCLE_1)
	s_add_u32 s22, s13, s22
	s_addc_u32 s23, s16, s23
	s_add_i32 s15, s12, 0x100
	s_ashr_i32 s19, s15, 5
	s_cmp_lt_i32 s15, s17
	s_cselect_b32 s28, s19, s4
	s_delay_alu instid0(SALU_CYCLE_1) | instskip(NEXT) | instid1(SALU_CYCLE_1)
	s_ashr_i32 s29, s28, 31
	s_lshl_b64 s[28:29], s[28:29], 2
	s_delay_alu instid0(SALU_CYCLE_1)
	s_add_u32 s28, s13, s28
	s_addc_u32 s29, s16, s29
	s_add_u32 s4, s10, s2
	s_addc_u32 s19, s11, s3
	s_lshl_b64 s[2:3], s[8:9], 1
	s_lshl_b64 s[8:9], s[20:21], 1
	;; [unrolled: 1-line block ×4, first 2 shown]
	s_waitcnt vmcnt(30) lgkmcnt(2)
	v_wmma_f32_16x16x16_f16 v[137:144], v[1:8], v[65:72], v[121:128]
	ds_load_b128 v[1:4], v169 offset:4096
	ds_load_b128 v[5:8], v169 offset:5120
	s_waitcnt vmcnt(28)
	v_wmma_f32_16x16x16_f16 v[121:128], v[9:16], v[65:72], v[121:128]
	ds_load_b128 v[9:12], v169 offset:6144
	ds_load_b128 v[13:16], v169 offset:7168
	s_waitcnt vmcnt(26) lgkmcnt(4)
	v_wmma_f32_16x16x16_f16 v[137:144], v[17:24], v[129:136], v[137:144]
	ds_load_b128 v[17:20], v169 offset:8192
	ds_load_b128 v[21:24], v169 offset:9216
	s_waitcnt vmcnt(24)
	v_wmma_f32_16x16x16_f16 v[121:128], v[25:32], v[129:136], v[121:128]
	v_lshl_or_b32 v25, v78, 10, v79
	ds_load_b128 v[129:132], v169 offset:10240
	ds_load_b128 v[133:136], v169 offset:11264
	s_clause 0x2
	s_load_b32 s15, s[6:7], 0x0
	s_load_b32 s13, s[22:23], 0x0
	;; [unrolled: 1-line block ×3, first 2 shown]
	s_mul_hi_i32 s7, s36, s5
	v_add_co_u32 v170, s4, s4, v25
	s_delay_alu instid0(VALU_DEP_1)
	v_add_co_ci_u32_e64 v171, null, s19, 0, s4
	s_mul_i32 s6, s36, s5
	s_mul_i32 s36, s38, s5
	s_lshl_b64 s[6:7], s[6:7], 1
	s_lshl_b64 s[22:23], s[36:37], 1
	s_waitcnt vmcnt(22) lgkmcnt(0)
	v_wmma_f32_16x16x16_f16 v[137:144], v[33:40], v[1:8], v[137:144]
	s_waitcnt vmcnt(20)
	v_wmma_f32_16x16x16_f16 v[121:128], v[41:48], v[1:8], v[121:128]
	v_add_co_u32 v1, vcc_lo, v170, s2
	v_add_co_ci_u32_e32 v2, vcc_lo, s3, v171, vcc_lo
	v_add_co_u32 v3, vcc_lo, v170, s8
	v_add_co_ci_u32_e32 v4, vcc_lo, s9, v171, vcc_lo
	;; [unrolled: 2-line block ×4, first 2 shown]
	v_add_co_u32 v25, vcc_lo, v170, s6
	s_mul_hi_i32 s25, s15, s5
	s_mul_i32 s24, s15, s5
	v_add_co_ci_u32_e32 v26, vcc_lo, s7, v171, vcc_lo
	v_add_co_u32 v27, vcc_lo, v170, s22
	s_lshl_b64 s[24:25], s[24:25], 1
	s_waitcnt vmcnt(18)
	v_wmma_f32_16x16x16_f16 v[137:144], v[49:56], v[9:16], v[137:144]
	s_waitcnt vmcnt(16)
	v_wmma_f32_16x16x16_f16 v[121:128], v[57:64], v[9:16], v[121:128]
	v_add_co_ci_u32_e32 v28, vcc_lo, s23, v171, vcc_lo
	s_mul_hi_i32 s3, s13, s5
	s_mul_i32 s2, s13, s5
	v_add_co_u32 v29, vcc_lo, v170, s24
	s_lshl_b64 s[2:3], s[2:3], 1
	v_add_co_ci_u32_e32 v30, vcc_lo, s25, v171, vcc_lo
	s_waitcnt vmcnt(14)
	v_wmma_f32_16x16x16_f16 v[137:144], v[81:88], v[17:24], v[137:144]
	s_waitcnt vmcnt(12)
	v_wmma_f32_16x16x16_f16 v[121:128], v[89:96], v[17:24], v[121:128]
	v_add_co_u32 v17, vcc_lo, v170, s2
	v_add_co_ci_u32_e32 v18, vcc_lo, s3, v171, vcc_lo
	s_mul_hi_i32 s3, s16, s5
	s_mul_i32 s2, s16, s5
	s_clause 0x5
	global_load_b128 v[65:68], v[1:2], off
	global_load_b128 v[69:72], v[1:2], off offset:16
	global_load_b128 v[57:60], v[3:4], off
	global_load_b128 v[61:64], v[3:4], off offset:16
	global_load_b128 v[49:52], v[5:6], off
	global_load_b128 v[53:56], v[5:6], off offset:16
	s_lshl_b64 s[2:3], s[2:3], 1
	s_clause 0x1
	global_load_b128 v[41:44], v[7:8], off
	global_load_b128 v[45:48], v[7:8], off offset:16
	v_add_co_u32 v21, vcc_lo, v170, s2
	v_add_co_ci_u32_e32 v22, vcc_lo, s3, v171, vcc_lo
	s_clause 0x9
	global_load_b128 v[9:12], v[25:26], off
	global_load_b128 v[13:16], v[25:26], off offset:16
	global_load_b128 v[1:4], v[27:28], off
	global_load_b128 v[5:8], v[27:28], off offset:16
	;; [unrolled: 2-line block ×5, first 2 shown]
	ds_load_b128 v[81:84], v169 offset:12288
	ds_load_b128 v[85:88], v169 offset:13312
	v_and_b32_e32 v89, 0xe0, v0
	s_waitcnt vmcnt(28)
	v_wmma_f32_16x16x16_f16 v[137:144], v[97:104], v[129:136], v[137:144]
	v_mbcnt_lo_u32_b32 v97, -1, 0
	s_waitcnt vmcnt(26)
	v_wmma_f32_16x16x16_f16 v[121:128], v[105:112], v[129:136], v[121:128]
	v_add_nc_u32_e32 v98, s12, v89
	ds_load_b128 v[89:92], v169 offset:14336
	ds_load_b128 v[93:96], v169 offset:15360
	v_xor_b32_e32 v99, 16, v97
	s_waitcnt vmcnt(0) lgkmcnt(0)
	s_barrier
	v_or_b32_e32 v98, v98, v75
	buffer_gl0_inv
	v_cmp_gt_i32_e32 vcc_lo, 32, v99
	v_or_b32_e32 v100, 4, v98
	v_or_b32_e32 v101, 22, v98
	;; [unrolled: 1-line block ×4, first 2 shown]
	v_wmma_f32_16x16x16_f16 v[137:144], v[113:120], v[81:88], v[137:144]
	v_wmma_f32_16x16x16_f16 v[121:128], v[145:152], v[81:88], v[121:128]
	v_or_b32_e32 v81, 6, v98
	v_or_b32_e32 v82, 8, v98
	;; [unrolled: 1-line block ×3, first 2 shown]
	v_cmp_gt_i32_e64 s3, s17, v100
	v_or_b32_e32 v84, 12, v98
	v_wmma_f32_16x16x16_f16 v[137:144], v[153:160], v[89:96], v[137:144]
	v_wmma_f32_16x16x16_f16 v[121:128], v[161:168], v[89:96], v[121:128]
	v_cndmask_b32_e32 v97, v97, v99, vcc_lo
	v_or_b32_e32 v99, 2, v98
	v_cmp_gt_i32_e32 vcc_lo, s17, v98
	v_dual_mul_f32 v95, s18, v138 :: v_dual_mul_f32 v96, s18, v137
	v_mul_f32_e32 v93, s18, v140
	s_delay_alu instid0(VALU_DEP_4)
	v_cmp_gt_i32_e64 s2, s17, v99
	v_mul_f32_e32 v94, s18, v139
	v_mul_f32_e32 v110, s18, v124
	v_cndmask_b32_e32 v96, 0xff7fffff, v96, vcc_lo
	v_cmp_gt_i32_e64 s4, s17, v81
	v_cndmask_b32_e64 v95, 0xff7fffff, v95, s2
	v_or_b32_e32 v85, 14, v98
	v_dual_mul_f32 v91, s18, v142 :: v_dual_mul_f32 v92, s18, v141
	v_cndmask_b32_e64 v94, 0xff7fffff, v94, s3
	v_cndmask_b32_e64 v81, 0xff7fffff, v93, s4
	v_max3_f32 v93, v96, 0xff7fffff, v95
	v_cmp_gt_i32_e64 s5, s17, v82
	v_cmp_gt_i32_e64 s6, s17, v83
	v_or_b32_e32 v86, 16, v98
	v_or_b32_e32 v87, 18, v98
	v_dual_mul_f32 v89, s18, v144 :: v_dual_mul_f32 v112, s18, v122
	v_mul_f32_e32 v90, s18, v143
	v_cndmask_b32_e64 v82, 0xff7fffff, v92, s5
	v_cndmask_b32_e64 v83, 0xff7fffff, v91, s6
	v_max3_f32 v81, v93, v94, v81
	v_cmp_gt_i32_e64 s7, s17, v84
	v_cmp_gt_i32_e64 s8, s17, v85
	v_or_b32_e32 v88, 20, v98
	v_mul_f32_e32 v113, s18, v121
	v_max3_f32 v81, v81, v82, v83
	v_cndmask_b32_e64 v84, 0xff7fffff, v90, s7
	v_cndmask_b32_e64 v85, 0xff7fffff, v89, s8
	v_cmp_gt_i32_e64 s9, s17, v86
	v_cmp_gt_i32_e64 s10, s17, v87
	v_mul_f32_e32 v111, s18, v123
	v_cmp_gt_i32_e64 s11, s17, v88
	v_max3_f32 v81, v81, v84, v85
	v_cndmask_b32_e64 v82, 0xff7fffff, v113, s9
	v_cndmask_b32_e64 v83, 0xff7fffff, v112, s10
	v_cmp_gt_i32_e64 s12, s17, v101
	v_or_b32_e32 v104, 28, v98
	v_or_b32_e32 v105, 30, v98
	v_dual_mul_f32 v108, s18, v126 :: v_dual_mul_f32 v109, s18, v125
	v_cndmask_b32_e64 v84, 0xff7fffff, v111, s11
	v_cndmask_b32_e64 v85, 0xff7fffff, v110, s12
	v_max3_f32 v81, v81, v82, v83
	v_cmp_gt_i32_e64 s13, s17, v102
	v_cmp_gt_i32_e64 s15, s17, v103
	v_dual_mul_f32 v106, s18, v128 :: v_dual_mul_f32 v107, s18, v127
	s_delay_alu instid0(VALU_DEP_4) | instskip(NEXT) | instid1(VALU_DEP_4)
	v_max3_f32 v81, v81, v84, v85
	v_cndmask_b32_e64 v82, 0xff7fffff, v109, s13
	s_delay_alu instid0(VALU_DEP_4) | instskip(SKIP_2) | instid1(VALU_DEP_3)
	v_cndmask_b32_e64 v83, 0xff7fffff, v108, s15
	v_cmp_gt_i32_e64 s16, s17, v104
	v_cmp_gt_i32_e64 s17, s17, v105
	v_max3_f32 v81, v81, v82, v83
	s_delay_alu instid0(VALU_DEP_3) | instskip(NEXT) | instid1(VALU_DEP_3)
	v_cndmask_b32_e64 v84, 0xff7fffff, v107, s16
	v_cndmask_b32_e64 v85, 0xff7fffff, v106, s17
	v_lshlrev_b32_e32 v83, 2, v97
	s_delay_alu instid0(VALU_DEP_2) | instskip(SKIP_3) | instid1(VALU_DEP_1)
	v_max3_f32 v81, v81, v84, v85
	ds_bpermute_b32 v82, v83, v81
	s_waitcnt lgkmcnt(0)
	v_max_f32_e32 v82, v82, v82
	v_max_f32_e32 v81, v81, v82
	s_delay_alu instid0(VALU_DEP_1)
	v_fma_f32 v82, s18, v137, -v81
	v_fma_f32 v84, s18, v138, -v81
	;; [unrolled: 1-line block ×5, first 2 shown]
	v_mul_f32_e32 v82, 0x3fb8aa3b, v82
	s_delay_alu instid0(VALU_DEP_4) | instskip(NEXT) | instid1(VALU_DEP_3)
	v_dual_mul_f32 v84, 0x3fb8aa3b, v84 :: v_dual_mul_f32 v85, 0x3fb8aa3b, v85
	v_dual_mul_f32 v86, 0x3fb8aa3b, v86 :: v_dual_mul_f32 v89, 0x3fb8aa3b, v87
	s_delay_alu instid0(VALU_DEP_3) | instskip(NEXT) | instid1(VALU_DEP_2)
	v_exp_f32_e32 v82, v82
	v_exp_f32_e32 v84, v84
	s_delay_alu instid0(VALU_DEP_2) | instskip(NEXT) | instid1(VALU_DEP_1)
	v_exp_f32_e32 v85, v85
	v_exp_f32_e32 v86, v86
	;; [unrolled: 1-line block ×3, first 2 shown]
	v_cndmask_b32_e32 v88, 0, v82, vcc_lo
	v_cndmask_b32_e64 v87, 0, v84, s2
	s_delay_alu instid0(TRANS32_DEP_3)
	v_cndmask_b32_e64 v90, 0, v85, s3
	s_waitcnt_depctr 0xfff
	v_cndmask_b32_e64 v89, 0, v86, s4
	v_cndmask_b32_e64 v92, 0, v92, s5
	v_add_f32_e32 v84, 0, v88
	v_cmp_gt_u32_e64 s2, 16, v80
	s_delay_alu instid0(VALU_DEP_2) | instskip(NEXT) | instid1(VALU_DEP_1)
	v_add_f32_e32 v84, v84, v87
	v_add_f32_e32 v84, v84, v90
	s_delay_alu instid0(VALU_DEP_1)
	v_add_f32_e32 v84, v84, v89
	v_fma_f32 v82, s18, v142, -v81
	v_fma_f32 v91, s18, v143, -v81
	;; [unrolled: 1-line block ×5, first 2 shown]
	s_delay_alu instid0(VALU_DEP_4) | instskip(SKIP_1) | instid1(VALU_DEP_4)
	v_dual_mul_f32 v82, 0x3fb8aa3b, v82 :: v_dual_mul_f32 v91, 0x3fb8aa3b, v91
	v_fma_f32 v96, s18, v124, -v81
	v_mul_f32_e32 v86, 0x3fb8aa3b, v86
	s_delay_alu instid0(VALU_DEP_4) | instskip(NEXT) | instid1(VALU_DEP_4)
	v_mul_f32_e32 v95, 0x3fb8aa3b, v94
	v_exp_f32_e32 v82, v82
	v_exp_f32_e32 v93, v91
	v_mul_f32_e32 v97, 0x3fb8aa3b, v96
	v_exp_f32_e32 v86, v86
	v_fma_f32 v99, s18, v127, -v81
	s_delay_alu instid0(VALU_DEP_2) | instskip(SKIP_2) | instid1(TRANS32_DEP_3)
	v_exp_f32_e32 v97, v97
	v_cndmask_b32_e64 v91, 0, v82, s6
	v_dual_add_f32 v82, v84, v92 :: v_dual_mul_f32 v85, 0x3fb8aa3b, v85
	v_cndmask_b32_e64 v94, 0, v93, s7
	v_fma_f32 v84, s18, v123, -v81
	s_delay_alu instid0(TRANS32_DEP_2) | instskip(NEXT) | instid1(VALU_DEP_4)
	v_cndmask_b32_e64 v96, 0, v86, s9
	v_add_f32_e32 v82, v82, v91
	v_exp_f32_e32 v85, v85
	v_fma_f32 v86, s18, v126, -v81
	v_mul_f32_e32 v84, 0x3fb8aa3b, v84
	v_cndmask_b32_e64 v97, 0, v97, s12
	v_add_f32_e32 v82, v82, v94
	s_delay_alu instid0(VALU_DEP_3) | instskip(SKIP_3) | instid1(VALU_DEP_2)
	v_exp_f32_e32 v84, v84
	s_waitcnt_depctr 0xfff
	v_cndmask_b32_e64 v93, 0, v85, s8
	v_fma_f32 v85, s18, v125, -v81
	v_add_f32_e32 v82, v82, v93
	v_exp_f32_e32 v95, v95
	s_delay_alu instid0(VALU_DEP_2)
	v_mul_f32_e32 v85, 0x3fb8aa3b, v85
	v_cndmask_b32_e64 v98, 0, v84, s11
	v_mul_f32_e32 v84, 0x3fb8aa3b, v99
	v_add_f32_e32 v82, v82, v96
	v_fma_f32 v99, s18, v128, -v81
	v_exp_f32_e32 v85, v85
	v_mul_f32_e32 v86, 0x3fb8aa3b, v86
	v_exp_f32_e32 v84, v84
	s_delay_alu instid0(TRANS32_DEP_3) | instskip(NEXT) | instid1(VALU_DEP_1)
	v_cndmask_b32_e64 v95, 0, v95, s10
	v_add_f32_e32 v82, v82, v95
	s_waitcnt_depctr 0xfff
	v_cndmask_b32_e64 v100, 0, v85, s13
	v_mul_f32_e32 v85, 0x3fb8aa3b, v99
	v_exp_f32_e32 v86, v86
	v_cndmask_b32_e64 v102, 0, v84, s16
	v_add_f32_e32 v82, v82, v98
	s_delay_alu instid0(VALU_DEP_3) | instskip(NEXT) | instid1(VALU_DEP_1)
	v_exp_f32_e32 v85, v85
	v_add_f32_e32 v82, v82, v97
	s_waitcnt_depctr 0xfff
	v_cndmask_b32_e64 v99, 0, v86, s15
	v_add_f32_e32 v82, v82, v100
	v_cndmask_b32_e64 v101, 0, v85, s17
	s_delay_alu instid0(VALU_DEP_2) | instskip(NEXT) | instid1(VALU_DEP_1)
	v_add_f32_e32 v82, v82, v99
	v_add_f32_e32 v82, v82, v102
	s_delay_alu instid0(VALU_DEP_1)
	v_add_f32_e32 v82, v82, v101
	ds_bpermute_b32 v83, v83, v82
	s_and_saveexec_b32 s3, s2
	s_cbranch_execz .LBB358_14
; %bb.13:
	v_mul_u32_u24_e32 v80, 0x44, v78
	s_waitcnt lgkmcnt(0)
	v_add_f32_e32 v82, v82, v83
	s_delay_alu instid0(VALU_DEP_2) | instskip(NEXT) | instid1(VALU_DEP_1)
	v_lshl_add_u32 v80, v77, 2, v80
	v_add_nc_u32_e32 v80, 0x4000, v80
	ds_store_2addr_b32 v80, v81, v82 offset1:136
.LBB358_14:
	s_or_b32 exec_lo, exec_lo, s3
	v_lshlrev_b32_e32 v80, 2, v77
	s_load_b32 s35, s[0:1], 0x94
	s_waitcnt lgkmcnt(0)
	s_barrier
	buffer_gl0_inv
	v_add_nc_u32_e32 v84, 0x4000, v80
	v_cmp_eq_u32_e32 vcc_lo, 1, v78
	v_cmp_eq_u32_e64 s3, 2, v78
	v_cmp_eq_u32_e64 s4, 3, v78
	;; [unrolled: 1-line block ×3, first 2 shown]
	ds_load_2addr_b32 v[80:81], v84 offset1:17
	ds_load_2addr_b32 v[82:83], v84 offset0:34 offset1:51
	ds_load_2addr_b32 v[103:104], v84 offset0:68 offset1:85
	;; [unrolled: 1-line block ×3, first 2 shown]
	v_cmp_eq_u32_e64 s6, 7, v78
	s_waitcnt lgkmcnt(3)
	v_max3_f32 v85, v80, 0xff7fffff, v81
	s_waitcnt lgkmcnt(2)
	s_delay_alu instid0(VALU_DEP_1) | instskip(SKIP_1) | instid1(VALU_DEP_1)
	v_max3_f32 v85, v85, v82, v83
	s_waitcnt lgkmcnt(1)
	v_max3_f32 v85, v85, v103, v104
	s_waitcnt lgkmcnt(0)
	s_delay_alu instid0(VALU_DEP_1) | instskip(NEXT) | instid1(VALU_DEP_1)
	v_max3_f32 v85, v85, v105, v106
	v_sub_f32_e32 v103, v103, v85
	ds_load_2addr_b32 v[107:108], v84 offset0:136 offset1:153
	v_sub_f32_e32 v80, v80, v85
	v_dual_sub_f32 v110, v83, v85 :: v_dual_mul_f32 v113, 0x3fb8aa3b, v103
	s_delay_alu instid0(VALU_DEP_2) | instskip(SKIP_3) | instid1(VALU_DEP_1)
	v_dual_sub_f32 v86, v81, v85 :: v_dual_mul_f32 v109, 0x3fb8aa3b, v80
	ds_load_2addr_b32 v[80:81], v84 offset0:170 offset1:187
	v_mul_f32_e32 v86, 0x3fb8aa3b, v86
	v_exp_f32_e32 v109, v109
	v_exp_f32_e32 v112, v86
	v_mul_f32_e32 v110, 0x3fb8aa3b, v110
	s_waitcnt lgkmcnt(1)
	s_waitcnt_depctr 0xfff
	v_fma_f32 v86, v109, v107, 0
	v_sub_f32_e32 v107, v104, v85
	v_sub_f32_e32 v82, v82, v85
	v_exp_f32_e32 v110, v110
	ds_load_2addr_b32 v[103:104], v84 offset0:238 offset1:255
	v_dual_fmac_f32 v86, v112, v108 :: v_dual_mul_f32 v111, 0x3fb8aa3b, v82
	ds_load_2addr_b32 v[82:83], v84 offset0:204 offset1:221
	v_dual_sub_f32 v84, v105, v85 :: v_dual_mul_f32 v105, 0x3fb8aa3b, v107
	v_exp_f32_e32 v107, v113
	v_exp_f32_e32 v111, v111
	s_waitcnt lgkmcnt(0)
	s_delay_alu instid0(VALU_DEP_1)
	v_mul_f32_e32 v84, 0x3fb8aa3b, v84
	v_exp_f32_e32 v105, v105
	s_barrier
	buffer_gl0_inv
	v_fmac_f32_e32 v86, v111, v80
	v_sub_f32_e32 v80, v106, v85
	v_exp_f32_e32 v106, v84
	s_delay_alu instid0(VALU_DEP_2) | instskip(NEXT) | instid1(VALU_DEP_2)
	v_fmac_f32_e32 v86, v110, v81
	v_mul_f32_e32 v80, 0x3fb8aa3b, v80
	s_delay_alu instid0(VALU_DEP_2) | instskip(NEXT) | instid1(VALU_DEP_2)
	v_dual_cndmask_b32 v81, v109, v112 :: v_dual_fmac_f32 v86, v107, v82
	v_exp_f32_e32 v108, v80
	s_delay_alu instid0(VALU_DEP_1) | instskip(SKIP_2) | instid1(VALU_DEP_1)
	v_fmac_f32_e32 v86, v105, v83
	s_waitcnt_depctr 0xfff
	v_fmac_f32_e32 v86, v106, v103
	v_fmac_f32_e32 v86, v108, v104
	s_delay_alu instid0(VALU_DEP_1) | instskip(NEXT) | instid1(VALU_DEP_1)
	v_add_f32_e32 v103, 0x358637bd, v86
	v_div_scale_f32 v104, null, v103, v103, 1.0
	v_div_scale_f32 v109, vcc_lo, 1.0, v103, 1.0
	s_delay_alu instid0(VALU_DEP_2) | instskip(SKIP_2) | instid1(VALU_DEP_1)
	v_rcp_f32_e32 v113, v104
	s_waitcnt_depctr 0xfff
	v_fma_f32 v80, -v104, v113, 1.0
	v_fmac_f32_e32 v113, v80, v113
	v_cndmask_b32_e64 v80, v81, v111, s3
	v_cmp_eq_u32_e64 s3, 4, v78
	v_lshl_or_b32 v81, v78, 11, v79
	s_delay_alu instid0(VALU_DEP_4) | instskip(NEXT) | instid1(VALU_DEP_4)
	v_mul_f32_e32 v111, v109, v113
	v_cndmask_b32_e64 v82, v80, v110, s4
	v_cmp_eq_u32_e64 s4, 6, v78
	s_delay_alu instid0(VALU_DEP_4) | instskip(SKIP_3) | instid1(VALU_DEP_3)
	v_lshl_or_b32 v78, v75, 4, v81
	v_lshlrev_b32_e32 v80, 2, v75
	v_fma_f32 v83, -v104, v111, v109
	v_cndmask_b32_e64 v84, v82, v107, s3
	v_or_b32_e32 v82, 1, v80
	s_delay_alu instid0(VALU_DEP_3) | instskip(NEXT) | instid1(VALU_DEP_3)
	v_fmac_f32_e32 v111, v83, v113
	v_cndmask_b32_e64 v105, v84, v105, s5
	v_or_b32_e32 v84, 2, v80
	v_or_b32_e32 v83, 3, v80
	v_cmp_eq_u32_e64 s3, 1, v80
	v_fma_f32 v104, -v104, v111, v109
	v_cndmask_b32_e64 v105, v105, v106, s4
	v_cmp_eq_u32_e64 s9, 1, v82
	v_cmp_eq_u32_e64 s10, 1, v84
	;; [unrolled: 1-line block ×3, first 2 shown]
	v_div_fmas_f32 v104, v104, v113, v111
	v_cndmask_b32_e64 v105, v105, v108, s6
	v_cmp_eq_u32_e32 vcc_lo, 2, v80
	v_cmp_eq_u32_e64 s12, 2, v82
	v_cmp_eq_u32_e64 s15, 2, v84
	v_div_fixup_f32 v103, v104, v103, 1.0
	v_cmp_eq_u32_e64 s16, 2, v83
	v_cmp_eq_u32_e64 s18, 3, v83
	v_cmp_eq_u32_e64 s4, 3, v80
	v_cmp_eq_u32_e64 s13, 3, v82
	v_mul_f32_e32 v111, v105, v103
	v_cmp_eq_u32_e64 s17, 3, v84
	v_cmp_eq_u32_e64 s22, 4, v83
	;; [unrolled: 1-line block ×4, first 2 shown]
	v_fma_mixlo_f16 v103, v111, v88, 0
	v_fma_mixlo_f16 v104, v111, v90, 0
	;; [unrolled: 1-line block ×8, first 2 shown]
	v_fma_mixhi_f16 v103, v111, v87, 0
	v_fma_mixhi_f16 v104, v111, v89, 0
	;; [unrolled: 1-line block ×8, first 2 shown]
	ds_store_b128 v78, v[103:106]
	ds_store_b128 v78, v[107:110] offset:1024
	s_waitcnt lgkmcnt(0)
	s_barrier
	buffer_gl0_inv
	ds_load_b128 v[87:90], v81
	ds_load_b128 v[91:94], v81 offset:16
	ds_load_b128 v[95:98], v81 offset:1024
	;; [unrolled: 1-line block ×3, first 2 shown]
	v_cmp_eq_u32_e64 s21, 4, v84
	v_cmp_eq_u32_e64 s24, 5, v83
	;; [unrolled: 1-line block ×13, first 2 shown]
	s_waitcnt lgkmcnt(3)
	v_lshrrev_b32_e32 v103, 16, v87
	s_waitcnt lgkmcnt(2)
	v_lshrrev_b32_e32 v107, 16, v91
	;; [unrolled: 2-line block ×4, first 2 shown]
	v_lshrrev_b32_e32 v104, 16, v88
	v_cndmask_b32_e64 v119, v87, v103, s3
	v_cndmask_b32_e64 v120, v91, v107, s3
	;; [unrolled: 1-line block ×8, first 2 shown]
	v_lshrrev_b32_e32 v108, 16, v92
	v_cndmask_b32_e64 v103, v95, v111, s3
	v_cndmask_b32_e64 v107, v99, v115, s3
	;; [unrolled: 1-line block ×5, first 2 shown]
	v_cndmask_b32_e32 v111, v119, v88, vcc_lo
	v_cndmask_b32_e64 v119, v121, v88, s12
	v_cndmask_b32_e64 v121, v123, v88, s15
	;; [unrolled: 1-line block ×4, first 2 shown]
	v_lshrrev_b32_e32 v112, 16, v96
	v_lshrrev_b32_e32 v116, 16, v100
	v_cndmask_b32_e64 v126, v99, v115, s9
	v_cndmask_b32_e64 v128, v99, v115, s10
	;; [unrolled: 1-line block ×3, first 2 shown]
	v_cndmask_b32_e32 v115, v120, v92, vcc_lo
	v_cndmask_b32_e64 v120, v122, v92, s12
	v_cndmask_b32_e64 v122, v124, v92, s15
	v_cndmask_b32_e32 v91, v103, v96, vcc_lo
	v_cndmask_b32_e32 v92, v107, v100, vcc_lo
	v_cndmask_b32_e64 v103, v125, v96, s12
	v_cndmask_b32_e64 v87, v87, v104, s18
	;; [unrolled: 1-line block ×3, first 2 shown]
	v_lshrrev_b32_e32 v105, 16, v89
	v_lshrrev_b32_e32 v109, 16, v93
	v_cndmask_b32_e64 v107, v127, v96, s15
	v_cndmask_b32_e64 v95, v95, v96, s16
	;; [unrolled: 1-line block ×14, first 2 shown]
	v_lshrrev_b32_e32 v113, 16, v97
	v_cndmask_b32_e64 v99, v99, v89, s5
	v_cndmask_b32_e64 v104, v111, v93, s5
	;; [unrolled: 1-line block ×11, first 2 shown]
	v_lshrrev_b32_e32 v106, 16, v90
	v_lshrrev_b32_e32 v110, 16, v94
	v_cndmask_b32_e64 v93, v99, v105, s6
	v_cndmask_b32_e64 v99, v104, v109, s6
	;; [unrolled: 1-line block ×9, first 2 shown]
	v_lshrrev_b32_e32 v114, 16, v98
	v_cndmask_b32_e64 v89, v89, v113, s6
	v_cndmask_b32_e64 v93, v93, v90, s7
	;; [unrolled: 1-line block ×19, first 2 shown]
	v_perm_b32 v90, v88, v87, 0x5040100
	v_cndmask_b32_e64 v87, v126, v100, s12
	v_cndmask_b32_e64 v105, v89, v114, s8
	v_perm_b32 v89, v103, v99, 0x5040100
	v_perm_b32 v88, v104, v94, 0x5040100
	v_cndmask_b32_e64 v94, v107, v112, s17
	v_cndmask_b32_e64 v95, v95, v112, s18
	;; [unrolled: 1-line block ×5, first 2 shown]
	v_lshrrev_b32_e32 v117, 16, v101
	v_cndmask_b32_e64 v94, v94, v97, s21
	v_cndmask_b32_e64 v95, v95, v97, s22
	;; [unrolled: 1-line block ×11, first 2 shown]
	v_lshrrev_b32_e32 v118, 16, v102
	v_cndmask_b32_e64 v91, v91, v102, s7
	v_cndmask_b32_e64 v94, v94, v98, s26
	v_cndmask_b32_e64 v95, v95, v98, s27
	v_cndmask_b32_e64 v96, v96, v102, s27
	v_cndmask_b32_e64 v97, v97, v102, s26
	v_cndmask_b32_e64 v87, v87, v102, s25
	v_cndmask_b32_e64 v98, v94, v114, s28
	v_cndmask_b32_e64 v94, v95, v114, s29
	v_cndmask_b32_e64 v95, v96, v118, s29
	v_cndmask_b32_e64 v96, v97, v118, s28
	v_cndmask_b32_e64 v97, v87, v118, s30
	v_cndmask_b32_e64 v91, v91, v118, s8
	v_perm_b32 v87, v93, v92, 0x5040100
	v_perm_b32 v94, v95, v94, 0x5040100
	;; [unrolled: 1-line block ×5, first 2 shown]
	s_mul_i32 s7, s33, 13
	s_mov_b32 s3, exec_lo
	ds_store_b128 v78, v[87:90]
	ds_store_b128 v78, v[91:94] offset:1024
	v_cmpx_gt_u32_e32 13, v0
	s_cbranch_execz .LBB358_16
; %bb.15:
	s_mul_i32 s4, s7, s34
	s_load_b128 s[8:11], s[0:1], 0x58
	v_add3_u32 v77, s4, s31, v77
	s_delay_alu instid0(VALU_DEP_1) | instskip(NEXT) | instid1(VALU_DEP_1)
	v_mad_u64_u32 v[87:88], null, v77, s35, s[14:15]
	v_ashrrev_i32_e32 v88, 31, v87
	s_delay_alu instid0(VALU_DEP_1) | instskip(SKIP_1) | instid1(VALU_DEP_1)
	v_lshlrev_b64 v[87:88], 2, v[87:88]
	s_waitcnt lgkmcnt(0)
	v_add_co_u32 v89, vcc_lo, s10, v87
	s_delay_alu instid0(VALU_DEP_2)
	v_add_co_ci_u32_e32 v90, vcc_lo, s11, v88, vcc_lo
	v_add_co_u32 v87, vcc_lo, s8, v87
	v_add_co_ci_u32_e32 v88, vcc_lo, s9, v88, vcc_lo
	global_store_b32 v[89:90], v85, off
	global_store_b32 v[87:88], v86, off
.LBB358_16:
	s_or_b32 exec_lo, exec_lo, s3
	s_waitcnt lgkmcnt(0)
	s_waitcnt_vscnt null, 0x0
	s_barrier
	buffer_gl0_inv
	ds_load_b128 v[93:96], v79
	ds_load_b128 v[97:100], v79 offset:16
	ds_load_b128 v[105:108], v79 offset:1040
	;; [unrolled: 1-line block ×5, first 2 shown]
	v_cmp_eq_u32_e32 vcc_lo, 1, v84
	v_mov_b32_e32 v85, 0
	ds_load_b128 v[121:124], v79 offset:3088
	ds_load_b128 v[117:120], v79 offset:3072
	;; [unrolled: 1-line block ×4, first 2 shown]
	v_cmp_eq_u32_e64 s3, 1, v80
	v_cmp_eq_u32_e64 s4, 1, v83
	;; [unrolled: 1-line block ×3, first 2 shown]
	v_mov_b32_e32 v86, v85
	v_mov_b32_e32 v87, v85
	;; [unrolled: 1-line block ×7, first 2 shown]
	v_cmp_eq_u32_e64 s6, 2, v80
	s_waitcnt lgkmcnt(8)
	s_delay_alu instid0(VALU_DEP_2)
	v_wmma_f32_16x16x16_f16 v[85:92], v[65:72], v[93:100], v[85:92]
	ds_load_b128 v[69:72], v79 offset:5136
	ds_load_b128 v[65:68], v79 offset:5120
	;; [unrolled: 1-line block ×4, first 2 shown]
	s_waitcnt lgkmcnt(10)
	v_wmma_f32_16x16x16_f16 v[85:92], v[57:64], v[101:108], v[85:92]
	s_waitcnt lgkmcnt(8)
	s_delay_alu instid0(VALU_DEP_1)
	v_wmma_f32_16x16x16_f16 v[85:92], v[57:64], v[109:116], v[85:92]
	ds_load_b128 v[61:64], v79 offset:7184
	ds_load_b128 v[57:60], v79 offset:7168
	;; [unrolled: 1-line block ×4, first 2 shown]
	s_waitcnt lgkmcnt(10)
	v_wmma_f32_16x16x16_f16 v[85:92], v[49:56], v[117:124], v[85:92]
	s_waitcnt lgkmcnt(8)
	s_delay_alu instid0(VALU_DEP_1)
	v_wmma_f32_16x16x16_f16 v[85:92], v[49:56], v[125:132], v[85:92]
	ds_load_b128 v[53:56], v79 offset:9232
	ds_load_b128 v[49:52], v79 offset:9216
	s_waitcnt lgkmcnt(8)
	v_wmma_f32_16x16x16_f16 v[85:92], v[41:48], v[65:72], v[85:92]
	ds_load_b128 v[69:72], v79 offset:10256
	ds_load_b128 v[65:68], v79 offset:10240
	s_waitcnt lgkmcnt(8)
	;; [unrolled: 4-line block ×7, first 2 shown]
	s_barrier
	buffer_gl0_inv
	v_wmma_f32_16x16x16_f16 v[85:92], v[33:40], v[41:48], v[85:92]
	s_delay_alu instid0(VALU_DEP_1) | instskip(NEXT) | instid1(VALU_DEP_1)
	v_wmma_f32_16x16x16_f16 v[85:92], v[33:40], v[57:64], v[85:92]
	v_wmma_f32_16x16x16_f16 v[85:92], v[25:32], v[9:16], v[85:92]
	s_delay_alu instid0(VALU_DEP_1) | instskip(NEXT) | instid1(VALU_DEP_1)
	v_wmma_f32_16x16x16_f16 v[85:92], v[25:32], v[49:56], v[85:92]
	v_wmma_f32_16x16x16_f16 v[85:92], v[17:24], v[1:8], v[85:92]
	s_delay_alu instid0(VALU_DEP_1) | instskip(NEXT) | instid1(VALU_DEP_2)
	v_cvt_f16_f32_e32 v1, v85
	v_cvt_f16_f32_e32 v2, v86
	s_delay_alu instid0(VALU_DEP_3) | instskip(NEXT) | instid1(VALU_DEP_4)
	v_cvt_f16_f32_e32 v3, v87
	v_cvt_f16_f32_e32 v4, v88
	;; [unrolled: 1-line block ×6, first 2 shown]
	v_pack_b32_f16 v1, v1, v2
	v_pack_b32_f16 v2, v3, v4
	;; [unrolled: 1-line block ×3, first 2 shown]
	s_delay_alu instid0(VALU_DEP_4)
	v_pack_b32_f16 v4, v7, v8
	ds_store_b128 v78, v[1:4]
	s_waitcnt lgkmcnt(0)
	s_barrier
	buffer_gl0_inv
	ds_load_b128 v[1:4], v81
	ds_load_b128 v[5:8], v81 offset:16
	s_waitcnt lgkmcnt(1)
	v_lshrrev_b32_e32 v9, 16, v1
	s_waitcnt lgkmcnt(0)
	v_lshrrev_b32_e32 v13, 16, v5
	v_lshrrev_b32_e32 v15, 16, v7
	;; [unrolled: 1-line block ×4, first 2 shown]
	v_cndmask_b32_e64 v17, v1, v9, s3
	v_cndmask_b32_e64 v18, v5, v13, s3
	;; [unrolled: 1-line block ×3, first 2 shown]
	v_cmp_eq_u32_e64 s3, 2, v82
	v_cndmask_b32_e64 v20, v5, v13, s5
	v_cndmask_b32_e32 v21, v1, v9, vcc_lo
	v_cndmask_b32_e32 v22, v5, v13, vcc_lo
	v_cndmask_b32_e64 v1, v1, v9, s4
	v_cndmask_b32_e64 v5, v5, v13, s4
	v_cmp_eq_u32_e32 vcc_lo, 2, v84
	v_cmp_eq_u32_e64 s4, 2, v83
	v_cndmask_b32_e64 v9, v17, v2, s6
	v_cndmask_b32_e64 v13, v18, v6, s6
	;; [unrolled: 1-line block ×4, first 2 shown]
	v_cndmask_b32_e32 v19, v21, v2, vcc_lo
	v_cmp_eq_u32_e64 s3, 3, v84
	v_cndmask_b32_e32 v20, v22, v6, vcc_lo
	v_cndmask_b32_e64 v1, v1, v2, s4
	v_cmp_eq_u32_e32 vcc_lo, 3, v83
	v_cmp_eq_u32_e64 s5, 3, v80
	v_cndmask_b32_e64 v2, v5, v6, s4
	v_cmp_eq_u32_e64 s4, 3, v82
	v_lshrrev_b32_e32 v16, 16, v8
	v_cmp_eq_u32_e64 s6, 4, v80
	v_cndmask_b32_e64 v5, v9, v10, s5
	v_cndmask_b32_e64 v6, v13, v14, s5
	;; [unrolled: 1-line block ×3, first 2 shown]
	v_cmp_eq_u32_e64 s5, 4, v82
	v_cndmask_b32_e64 v13, v18, v14, s4
	v_cndmask_b32_e64 v17, v19, v10, s3
	;; [unrolled: 1-line block ×3, first 2 shown]
	v_cndmask_b32_e32 v1, v1, v10, vcc_lo
	v_cndmask_b32_e32 v2, v2, v14, vcc_lo
	v_cmp_eq_u32_e32 vcc_lo, 4, v84
	v_cmp_eq_u32_e64 s4, 4, v83
	v_lshrrev_b32_e32 v11, 16, v3
	v_cndmask_b32_e64 v5, v5, v3, s6
	v_cndmask_b32_e64 v6, v6, v7, s6
	;; [unrolled: 1-line block ×4, first 2 shown]
	v_cndmask_b32_e32 v13, v17, v3, vcc_lo
	v_cmp_eq_u32_e64 s3, 5, v84
	v_cndmask_b32_e32 v14, v18, v7, vcc_lo
	v_cndmask_b32_e64 v1, v1, v3, s4
	v_cmp_eq_u32_e32 vcc_lo, 5, v83
	v_cmp_eq_u32_e64 s5, 5, v80
	v_cndmask_b32_e64 v2, v2, v7, s4
	v_cmp_eq_u32_e64 s4, 5, v82
	v_cmp_eq_u32_e64 s6, 6, v80
	v_cndmask_b32_e32 v1, v1, v11, vcc_lo
	v_cndmask_b32_e64 v3, v5, v11, s5
	v_cndmask_b32_e64 v5, v6, v15, s5
	;; [unrolled: 1-line block ×3, first 2 shown]
	v_cmp_eq_u32_e64 s5, 6, v82
	v_cndmask_b32_e64 v7, v10, v15, s4
	v_cndmask_b32_e64 v9, v13, v11, s3
	;; [unrolled: 1-line block ×3, first 2 shown]
	v_cndmask_b32_e32 v2, v2, v15, vcc_lo
	v_cmp_eq_u32_e32 vcc_lo, 6, v84
	v_cmp_eq_u32_e64 s3, 6, v83
	v_lshrrev_b32_e32 v12, 16, v4
	v_cndmask_b32_e64 v3, v3, v4, s6
	v_cndmask_b32_e64 v5, v5, v8, s6
	;; [unrolled: 1-line block ×4, first 2 shown]
	v_cndmask_b32_e32 v9, v9, v4, vcc_lo
	v_cmp_eq_u32_e64 s4, 7, v84
	v_cndmask_b32_e32 v10, v10, v8, vcc_lo
	v_cndmask_b32_e64 v1, v1, v4, s3
	v_cmp_eq_u32_e32 vcc_lo, 7, v83
	v_cndmask_b32_e64 v2, v2, v8, s3
	v_cmp_eq_u32_e64 s3, 7, v80
	v_cmp_eq_u32_e64 s5, 7, v82
	v_cndmask_b32_e32 v1, v1, v12, vcc_lo
	s_delay_alu instid0(VALU_DEP_4) | instskip(NEXT) | instid1(VALU_DEP_4)
	v_cndmask_b32_e32 v2, v2, v16, vcc_lo
	v_cndmask_b32_e64 v8, v3, v12, s3
	s_delay_alu instid0(VALU_DEP_4)
	v_cndmask_b32_e64 v6, v6, v12, s5
	v_cndmask_b32_e64 v3, v9, v12, s4
	v_cndmask_b32_e64 v9, v10, v16, s4
	v_cndmask_b32_e64 v7, v7, v16, s5
	v_cndmask_b32_e64 v5, v5, v16, s3
	v_perm_b32 v4, v2, v1, 0x5040100
	s_mov_b32 s3, exec_lo
	v_perm_b32 v3, v9, v3, 0x5040100
	v_perm_b32 v2, v7, v6, 0x5040100
	;; [unrolled: 1-line block ×3, first 2 shown]
	ds_store_b128 v78, v[1:4]
	s_waitcnt lgkmcnt(0)
	s_barrier
	buffer_gl0_inv
	v_cmpx_gt_u32_e32 32, v0
	s_cbranch_execz .LBB358_2
; %bb.17:
	s_load_b64 s[4:5], s[0:1], 0x68
	v_lshlrev_b32_e32 v0, 10, v0
	v_lshlrev_b32_e32 v1, 4, v76
	s_lshl_b32 s0, s35, 7
	v_add_nc_u32_e32 v18, s31, v75
	s_mul_i32 s1, s0, s34
	s_delay_alu instid0(VALU_DEP_2) | instskip(SKIP_1) | instid1(VALU_DEP_2)
	v_and_or_b32 v0, 0x3800, v0, v1
	s_mul_i32 s6, s1, s7
	v_mul_lo_u32 v1, v18, s0
	s_ashr_i32 s7, s6, 31
	v_add_nc_u32_e32 v2, 2, v18
	v_lshl_or_b32 v19, v75, 6, v0
	s_lshl_b64 s[6:7], s[6:7], 1
	v_add_nc_u32_e32 v8, 4, v18
	v_add_nc_u32_e32 v15, 6, v18
	v_mul_lo_u32 v7, v2, s0
	ds_load_b128 v[3:6], v19
	v_ashrrev_i32_e32 v2, 31, v1
	v_mul_lo_u32 v11, v8, s0
	s_waitcnt lgkmcnt(0)
	s_add_u32 s1, s4, s6
	s_addc_u32 s3, s5, s7
	s_lshl_b32 s4, s14, 7
	v_lshlrev_b64 v[9:10], 1, v[1:2]
	s_ashr_i32 s5, s4, 31
	v_ashrrev_i32_e32 v8, 31, v7
	s_lshl_b64 s[4:5], s[4:5], 1
	v_ashrrev_i32_e32 v12, 31, v11
	s_add_u32 s1, s1, s4
	s_addc_u32 s3, s3, s5
	v_add_co_u32 v1, vcc_lo, s1, v73
	v_add_co_ci_u32_e32 v2, vcc_lo, s3, v74, vcc_lo
	v_mul_lo_u32 v15, v15, s0
	s_delay_alu instid0(VALU_DEP_3) | instskip(NEXT) | instid1(VALU_DEP_3)
	v_add_co_u32 v13, vcc_lo, v1, v9
	v_add_co_ci_u32_e32 v14, vcc_lo, v2, v10, vcc_lo
	v_lshlrev_b64 v[16:17], 1, v[7:8]
	ds_load_b128 v[7:10], v19 offset:128
	global_store_b128 v[13:14], v[3:6], off
	v_add_nc_u32_e32 v5, 8, v18
	v_lshlrev_b64 v[3:4], 1, v[11:12]
	v_add_co_u32 v23, vcc_lo, v1, v16
	v_ashrrev_i32_e32 v16, 31, v15
	s_delay_alu instid0(VALU_DEP_4) | instskip(SKIP_3) | instid1(VALU_DEP_3)
	v_mul_lo_u32 v25, v5, s0
	v_add_nc_u32_e32 v5, 10, v18
	v_add_co_ci_u32_e32 v24, vcc_lo, v2, v17, vcc_lo
	v_add_co_u32 v27, vcc_lo, v1, v3
	v_mul_lo_u32 v29, v5, s0
	v_add_co_ci_u32_e32 v28, vcc_lo, v2, v4, vcc_lo
	v_lshlrev_b64 v[31:32], 1, v[15:16]
	ds_load_b128 v[3:6], v19 offset:256
	ds_load_b128 v[11:14], v19 offset:384
	;; [unrolled: 1-line block ×4, first 2 shown]
	v_ashrrev_i32_e32 v26, 31, v25
	v_ashrrev_i32_e32 v30, 31, v29
	v_add_co_u32 v31, vcc_lo, v1, v31
	s_delay_alu instid0(VALU_DEP_3) | instskip(SKIP_1) | instid1(VALU_DEP_4)
	v_lshlrev_b64 v[25:26], 1, v[25:26]
	v_add_co_ci_u32_e32 v32, vcc_lo, v2, v32, vcc_lo
	v_lshlrev_b64 v[29:30], 1, v[29:30]
	s_delay_alu instid0(VALU_DEP_3) | instskip(NEXT) | instid1(VALU_DEP_4)
	v_add_co_u32 v25, vcc_lo, v1, v25
	v_add_co_ci_u32_e32 v26, vcc_lo, v2, v26, vcc_lo
	s_delay_alu instid0(VALU_DEP_3) | instskip(NEXT) | instid1(VALU_DEP_4)
	v_add_co_u32 v29, vcc_lo, v1, v29
	v_add_co_ci_u32_e32 v30, vcc_lo, v2, v30, vcc_lo
	s_waitcnt lgkmcnt(4)
	global_store_b128 v[23:24], v[7:10], off
	s_waitcnt lgkmcnt(3)
	global_store_b128 v[27:28], v[3:6], off
	;; [unrolled: 2-line block ×5, first 2 shown]
	s_and_b32 exec_lo, exec_lo, s2
	s_cbranch_execz .LBB358_2
; %bb.18:
	ds_load_b128 v[3:6], v0 offset:768
	s_add_i32 s1, s31, 12
	s_delay_alu instid0(SALU_CYCLE_1) | instskip(NEXT) | instid1(SALU_CYCLE_1)
	s_mul_i32 s0, s1, s0
	s_ashr_i32 s1, s0, 31
	s_delay_alu instid0(SALU_CYCLE_1) | instskip(NEXT) | instid1(SALU_CYCLE_1)
	s_lshl_b64 s[0:1], s[0:1], 1
	v_add_co_u32 v0, vcc_lo, v1, s0
	v_add_co_ci_u32_e32 v1, vcc_lo, s1, v2, vcc_lo
	s_waitcnt lgkmcnt(0)
	global_store_b128 v[0:1], v[3:6], off
	s_nop 0
	s_sendmsg sendmsg(MSG_DEALLOC_VGPRS)
	s_endpgm
	.section	.rodata,"a",@progbits
	.p2align	6, 0x0
	.amdhsa_kernel _Z39paged_attention_ll4mi_QKV_mfma16_kernelIDF16_DF16_LN4vllm18Fp8KVCacheDataTypeE0EDF16_Li32ELi128ELi256ELb1ELi13EL8MFMAType0EEvPKT_PKT0_S8_ifPKiSA_SA_iPKfiiiPfSD_PS3_PT2_iSC_SC_
		.amdhsa_group_segment_fixed_size 17472
		.amdhsa_private_segment_fixed_size 0
		.amdhsa_kernarg_size 400
		.amdhsa_user_sgpr_count 13
		.amdhsa_user_sgpr_dispatch_ptr 0
		.amdhsa_user_sgpr_queue_ptr 0
		.amdhsa_user_sgpr_kernarg_segment_ptr 1
		.amdhsa_user_sgpr_dispatch_id 0
		.amdhsa_user_sgpr_private_segment_size 0
		.amdhsa_wavefront_size32 1
		.amdhsa_uses_dynamic_stack 0
		.amdhsa_enable_private_segment 0
		.amdhsa_system_sgpr_workgroup_id_x 1
		.amdhsa_system_sgpr_workgroup_id_y 1
		.amdhsa_system_sgpr_workgroup_id_z 1
		.amdhsa_system_sgpr_workgroup_info 0
		.amdhsa_system_vgpr_workitem_id 0
		.amdhsa_next_free_vgpr 172
		.amdhsa_next_free_sgpr 39
		.amdhsa_reserve_vcc 1
		.amdhsa_float_round_mode_32 0
		.amdhsa_float_round_mode_16_64 0
		.amdhsa_float_denorm_mode_32 3
		.amdhsa_float_denorm_mode_16_64 3
		.amdhsa_dx10_clamp 1
		.amdhsa_ieee_mode 1
		.amdhsa_fp16_overflow 0
		.amdhsa_workgroup_processor_mode 1
		.amdhsa_memory_ordered 1
		.amdhsa_forward_progress 0
		.amdhsa_shared_vgpr_count 0
		.amdhsa_exception_fp_ieee_invalid_op 0
		.amdhsa_exception_fp_denorm_src 0
		.amdhsa_exception_fp_ieee_div_zero 0
		.amdhsa_exception_fp_ieee_overflow 0
		.amdhsa_exception_fp_ieee_underflow 0
		.amdhsa_exception_fp_ieee_inexact 0
		.amdhsa_exception_int_div_zero 0
	.end_amdhsa_kernel
	.section	.text._Z39paged_attention_ll4mi_QKV_mfma16_kernelIDF16_DF16_LN4vllm18Fp8KVCacheDataTypeE0EDF16_Li32ELi128ELi256ELb1ELi13EL8MFMAType0EEvPKT_PKT0_S8_ifPKiSA_SA_iPKfiiiPfSD_PS3_PT2_iSC_SC_,"axG",@progbits,_Z39paged_attention_ll4mi_QKV_mfma16_kernelIDF16_DF16_LN4vllm18Fp8KVCacheDataTypeE0EDF16_Li32ELi128ELi256ELb1ELi13EL8MFMAType0EEvPKT_PKT0_S8_ifPKiSA_SA_iPKfiiiPfSD_PS3_PT2_iSC_SC_,comdat
.Lfunc_end358:
	.size	_Z39paged_attention_ll4mi_QKV_mfma16_kernelIDF16_DF16_LN4vllm18Fp8KVCacheDataTypeE0EDF16_Li32ELi128ELi256ELb1ELi13EL8MFMAType0EEvPKT_PKT0_S8_ifPKiSA_SA_iPKfiiiPfSD_PS3_PT2_iSC_SC_, .Lfunc_end358-_Z39paged_attention_ll4mi_QKV_mfma16_kernelIDF16_DF16_LN4vllm18Fp8KVCacheDataTypeE0EDF16_Li32ELi128ELi256ELb1ELi13EL8MFMAType0EEvPKT_PKT0_S8_ifPKiSA_SA_iPKfiiiPfSD_PS3_PT2_iSC_SC_
                                        ; -- End function
	.section	.AMDGPU.csdata,"",@progbits
; Kernel info:
; codeLenInByte = 7708
; NumSgprs: 41
; NumVgprs: 172
; ScratchSize: 0
; MemoryBound: 0
; FloatMode: 240
; IeeeMode: 1
; LDSByteSize: 17472 bytes/workgroup (compile time only)
; SGPRBlocks: 5
; VGPRBlocks: 21
; NumSGPRsForWavesPerEU: 41
; NumVGPRsForWavesPerEU: 172
; Occupancy: 8
; WaveLimiterHint : 1
; COMPUTE_PGM_RSRC2:SCRATCH_EN: 0
; COMPUTE_PGM_RSRC2:USER_SGPR: 13
; COMPUTE_PGM_RSRC2:TRAP_HANDLER: 0
; COMPUTE_PGM_RSRC2:TGID_X_EN: 1
; COMPUTE_PGM_RSRC2:TGID_Y_EN: 1
; COMPUTE_PGM_RSRC2:TGID_Z_EN: 1
; COMPUTE_PGM_RSRC2:TIDIG_COMP_CNT: 0
	.section	.text._Z39paged_attention_ll4mi_QKV_mfma16_kernelIDF16_DF16_LN4vllm18Fp8KVCacheDataTypeE0EDF16_Li32ELi128ELi256ELb1ELi14EL8MFMAType0EEvPKT_PKT0_S8_ifPKiSA_SA_iPKfiiiPfSD_PS3_PT2_iSC_SC_,"axG",@progbits,_Z39paged_attention_ll4mi_QKV_mfma16_kernelIDF16_DF16_LN4vllm18Fp8KVCacheDataTypeE0EDF16_Li32ELi128ELi256ELb1ELi14EL8MFMAType0EEvPKT_PKT0_S8_ifPKiSA_SA_iPKfiiiPfSD_PS3_PT2_iSC_SC_,comdat
	.protected	_Z39paged_attention_ll4mi_QKV_mfma16_kernelIDF16_DF16_LN4vllm18Fp8KVCacheDataTypeE0EDF16_Li32ELi128ELi256ELb1ELi14EL8MFMAType0EEvPKT_PKT0_S8_ifPKiSA_SA_iPKfiiiPfSD_PS3_PT2_iSC_SC_ ; -- Begin function _Z39paged_attention_ll4mi_QKV_mfma16_kernelIDF16_DF16_LN4vllm18Fp8KVCacheDataTypeE0EDF16_Li32ELi128ELi256ELb1ELi14EL8MFMAType0EEvPKT_PKT0_S8_ifPKiSA_SA_iPKfiiiPfSD_PS3_PT2_iSC_SC_
	.globl	_Z39paged_attention_ll4mi_QKV_mfma16_kernelIDF16_DF16_LN4vllm18Fp8KVCacheDataTypeE0EDF16_Li32ELi128ELi256ELb1ELi14EL8MFMAType0EEvPKT_PKT0_S8_ifPKiSA_SA_iPKfiiiPfSD_PS3_PT2_iSC_SC_
	.p2align	8
	.type	_Z39paged_attention_ll4mi_QKV_mfma16_kernelIDF16_DF16_LN4vllm18Fp8KVCacheDataTypeE0EDF16_Li32ELi128ELi256ELb1ELi14EL8MFMAType0EEvPKT_PKT0_S8_ifPKiSA_SA_iPKfiiiPfSD_PS3_PT2_iSC_SC_,@function
_Z39paged_attention_ll4mi_QKV_mfma16_kernelIDF16_DF16_LN4vllm18Fp8KVCacheDataTypeE0EDF16_Li32ELi128ELi256ELb1ELi14EL8MFMAType0EEvPKT_PKT0_S8_ifPKiSA_SA_iPKfiiiPfSD_PS3_PT2_iSC_SC_: ; @_Z39paged_attention_ll4mi_QKV_mfma16_kernelIDF16_DF16_LN4vllm18Fp8KVCacheDataTypeE0EDF16_Li32ELi128ELi256ELb1ELi14EL8MFMAType0EEvPKT_PKT0_S8_ifPKiSA_SA_iPKfiiiPfSD_PS3_PT2_iSC_SC_
; %bb.0:
	s_load_b64 s[2:3], s[0:1], 0x30
	s_mov_b32 s30, s13
	s_waitcnt lgkmcnt(0)
	s_cmp_lg_u64 s[2:3], 0
	s_cselect_b32 s6, -1, 0
	s_ashr_i32 s31, s13, 31
	s_cmp_eq_u64 s[2:3], 0
	s_cbranch_scc1 .LBB359_3
; %bb.1:
	s_lshl_b64 s[4:5], s[30:31], 2
	s_delay_alu instid0(SALU_CYCLE_1) | instskip(SKIP_4) | instid1(SALU_CYCLE_1)
	s_add_u32 s4, s2, s4
	s_addc_u32 s5, s3, s5
	s_load_b64 s[4:5], s[4:5], 0x0
	s_waitcnt lgkmcnt(0)
	s_sub_i32 s4, s5, s4
	s_cmp_eq_u32 s4, 1
	s_cselect_b32 s4, -1, 0
	s_delay_alu instid0(SALU_CYCLE_1)
	s_and_not1_b32 vcc_lo, exec_lo, s4
	s_cbranch_vccz .LBB359_4
.LBB359_2:
	s_endpgm
.LBB359_3:
.LBB359_4:
	s_load_b64 s[8:9], s[0:1], 0x28
	s_lshl_b64 s[4:5], s[30:31], 2
	s_waitcnt lgkmcnt(0)
	s_add_u32 s8, s8, s4
	s_addc_u32 s9, s9, s5
	s_lshl_b32 s12, s14, 8
	s_load_b32 s17, s[8:9], 0x0
	s_waitcnt lgkmcnt(0)
	s_cmp_ge_i32 s12, s17
	s_cbranch_scc1 .LBB359_2
; %bb.5:
	s_and_not1_b32 vcc_lo, exec_lo, s6
	s_cbranch_vccnz .LBB359_7
; %bb.6:
	s_add_u32 s2, s2, s4
	s_addc_u32 s3, s3, s5
	s_load_b32 s13, s[2:3], 0x0
	s_branch .LBB359_8
.LBB359_7:
	s_mov_b32 s13, s30
.LBB359_8:
	s_clause 0x2
	s_load_b128 s[8:11], s[0:1], 0x8
	s_load_b64 s[2:3], s[0:1], 0x20
	s_load_b128 s[4:7], s[0:1], 0x48
	v_and_b32_e32 v77, 15, v0
	s_waitcnt lgkmcnt(0)
	s_mov_b32 s7, exec_lo
	s_delay_alu instid0(VALU_DEP_1)
	v_lshlrev_b32_e32 v1, 3, v77
	v_cmpx_lt_u32_e32 0xdf, v0
	s_xor_b32 s7, exec_lo, s7
; %bb.9:
	v_mov_b32_e32 v2, 0
; %bb.10:
	s_or_saveexec_b32 s7, s7
	v_lshrrev_b32_e32 v78, 5, v0
	v_and_b32_e32 v80, 31, v0
	v_and_b32_e32 v76, 1, v0
	v_bfe_u32 v75, v0, 4, 1
	s_mul_i32 s31, s15, 14
	s_xor_b32 exec_lo, exec_lo, s7
	s_cbranch_execz .LBB359_12
; %bb.11:
	s_load_b64 s[18:19], s[0:1], 0x0
	v_lshl_or_b32 v7, v78, 1, v75
	s_mul_hi_i32 s21, s13, s4
	s_mul_i32 s20, s13, s4
	v_lshlrev_b32_e32 v4, 1, v1
	s_lshl_b64 s[20:21], s[20:21], 1
	v_add_lshl_u32 v2, v7, s31, 7
	v_lshlrev_b32_e32 v7, 6, v7
	v_lshlrev_b32_e32 v8, 10, v76
	s_delay_alu instid0(VALU_DEP_3) | instskip(NEXT) | instid1(VALU_DEP_1)
	v_ashrrev_i32_e32 v3, 31, v2
	v_lshlrev_b64 v[2:3], 1, v[2:3]
	s_waitcnt lgkmcnt(0)
	s_add_u32 s4, s18, s20
	s_addc_u32 s13, s19, s21
	s_delay_alu instid0(VALU_DEP_1) | instskip(NEXT) | instid1(VALU_DEP_2)
	v_add_co_u32 v2, vcc_lo, s4, v2
	v_add_co_ci_u32_e32 v3, vcc_lo, s13, v3, vcc_lo
	s_delay_alu instid0(VALU_DEP_2) | instskip(NEXT) | instid1(VALU_DEP_2)
	v_add_co_u32 v2, vcc_lo, v2, v4
	v_add_co_ci_u32_e32 v3, vcc_lo, 0, v3, vcc_lo
	global_load_b128 v[3:6], v[2:3], off
	v_lshlrev_b32_e32 v2, 10, v77
	s_delay_alu instid0(VALU_DEP_1) | instskip(NEXT) | instid1(VALU_DEP_1)
	v_and_b32_e32 v2, 0x3800, v2
	v_or3_b32 v7, v2, v8, v7
	v_mov_b32_e32 v2, 0
	s_waitcnt vmcnt(0)
	ds_store_b128 v7, v[3:6]
.LBB359_12:
	s_or_b32 exec_lo, exec_lo, s7
	v_and_b32_e32 v3, 0xef, v0
	s_add_i32 s4, s17, 31
	s_clause 0x1
	s_load_b32 s7, s[0:1], 0x38
	s_load_b32 s33, s[0:1], 0x98
	s_ashr_i32 s13, s4, 31
	v_add_nc_u32_e32 v3, s12, v3
	s_lshr_b32 s13, s13, 27
	s_load_b32 s18, s[0:1], 0x1c
	s_add_i32 s4, s4, s13
	s_waitcnt lgkmcnt(0)
	v_ashrrev_i32_e32 v4, 31, v3
	v_cmp_gt_i32_e32 vcc_lo, s17, v3
	s_ashr_i32 s4, s4, 5
	s_barrier
	s_add_i32 s4, s4, -1
	v_lshrrev_b32_e32 v5, 27, v4
	v_or_b32_e32 v4, 16, v3
	buffer_gl0_inv
	v_lshlrev_b64 v[73:74], 1, v[1:2]
	v_lshlrev_b32_e32 v79, 6, v77
	v_add_nc_u32_e32 v6, v3, v5
	v_add_nc_u32_e32 v5, v4, v5
	s_mul_i32 s20, s30, s7
	s_delay_alu instid0(SALU_CYCLE_1) | instskip(NEXT) | instid1(VALU_DEP_2)
	s_ashr_i32 s21, s20, 31
	v_ashrrev_i32_e32 v6, 5, v6
	s_delay_alu instid0(VALU_DEP_2) | instskip(SKIP_1) | instid1(SALU_CYCLE_1)
	v_ashrrev_i32_e32 v5, 5, v5
	s_lshl_b64 s[20:21], s[20:21], 2
	s_add_u32 s13, s2, s20
	s_delay_alu instid0(VALU_DEP_2) | instskip(SKIP_3) | instid1(SALU_CYCLE_1)
	v_cndmask_b32_e32 v3, s4, v6, vcc_lo
	v_cmp_gt_i32_e32 vcc_lo, s17, v4
	s_addc_u32 s16, s3, s21
	s_mul_i32 s2, s15, s6
	s_ashr_i32 s3, s2, 31
	v_cndmask_b32_e32 v5, s4, v5, vcc_lo
	v_ashrrev_i32_e32 v4, 31, v3
	s_lshl_b64 s[2:3], s[2:3], 1
	s_delay_alu instid0(SALU_CYCLE_1) | instskip(NEXT) | instid1(VALU_DEP_2)
	s_add_u32 s15, s8, s2
	v_ashrrev_i32_e32 v6, 31, v5
	s_delay_alu instid0(VALU_DEP_2) | instskip(SKIP_2) | instid1(VALU_DEP_2)
	v_lshlrev_b64 v[3:4], 2, v[3:4]
	s_addc_u32 s19, s9, s3
	s_lshl_b32 s6, s14, 3
	v_lshlrev_b64 v[5:6], 2, v[5:6]
	s_ashr_i32 s7, s6, 31
	s_delay_alu instid0(VALU_DEP_2) | instskip(SKIP_1) | instid1(VALU_DEP_3)
	v_add_co_u32 v3, vcc_lo, s13, v3
	v_add_co_ci_u32_e32 v4, vcc_lo, s16, v4, vcc_lo
	v_add_co_u32 v5, vcc_lo, s13, v5
	s_delay_alu instid0(VALU_DEP_4)
	v_add_co_ci_u32_e32 v6, vcc_lo, s16, v6, vcc_lo
	s_lshl_b64 s[6:7], s[6:7], 2
	s_clause 0x1
	global_load_b32 v7, v[3:4], off
	global_load_b32 v8, v[5:6], off
	s_add_u32 s6, s13, s6
	s_addc_u32 s7, s16, s7
	s_or_b32 s8, s12, 32
	s_delay_alu instid0(SALU_CYCLE_1) | instskip(SKIP_2) | instid1(SALU_CYCLE_1)
	s_ashr_i32 s9, s8, 5
	s_cmp_lt_i32 s8, s17
	s_cselect_b32 s8, s9, s4
	s_ashr_i32 s9, s8, 31
	s_delay_alu instid0(SALU_CYCLE_1) | instskip(NEXT) | instid1(SALU_CYCLE_1)
	s_lshl_b64 s[8:9], s[8:9], 2
	s_add_u32 s8, s13, s8
	s_addc_u32 s9, s16, s9
	s_or_b32 s20, s12, 64
	s_delay_alu instid0(SALU_CYCLE_1) | instskip(SKIP_2) | instid1(SALU_CYCLE_1)
	s_ashr_i32 s21, s20, 5
	s_cmp_lt_i32 s20, s17
	s_cselect_b32 s20, s21, s4
	s_ashr_i32 s21, s20, 31
	s_delay_alu instid0(SALU_CYCLE_1) | instskip(NEXT) | instid1(SALU_CYCLE_1)
	s_lshl_b64 s[20:21], s[20:21], 2
	;; [unrolled: 10-line block ×5, first 2 shown]
	s_add_u32 s26, s13, s26
	s_addc_u32 s27, s16, s27
	s_clause 0x5
	s_load_b32 s28, s[6:7], 0x0
	s_load_b32 s29, s[8:9], 0x0
	;; [unrolled: 1-line block ×6, first 2 shown]
	s_mov_b32 s20, 0
	s_or_b32 s6, s12, 0xc0
	s_mov_b32 s21, s20
	s_mov_b32 s22, s20
	;; [unrolled: 1-line block ×7, first 2 shown]
	s_ashr_i32 s7, s6, 5
	v_mov_b32_e32 v128, s27
	s_cmp_lt_i32 s6, s17
	v_mov_b32_e32 v127, s26
	s_cselect_b32 s6, s7, s4
	v_mov_b32_e32 v126, s25
	s_ashr_i32 s7, s6, 31
	v_mov_b32_e32 v125, s24
	s_lshl_b64 s[6:7], s[6:7], 2
	v_mov_b32_e32 v124, s23
	s_add_u32 s6, s13, s6
	s_addc_u32 s7, s16, s7
	v_mov_b32_e32 v123, s22
	v_mov_b32_e32 v121, s20
	s_waitcnt lgkmcnt(0)
	s_mul_hi_i32 s9, s28, s5
	s_mul_i32 s8, s28, s5
	v_mov_b32_e32 v122, s21
	s_mul_hi_i32 s21, s29, s5
	s_mul_i32 s20, s29, s5
	s_mul_hi_i32 s25, s34, s5
	s_mul_i32 s24, s34, s5
	;; [unrolled: 2-line block ×4, first 2 shown]
	s_waitcnt vmcnt(1)
	v_mad_i64_i32 v[3:4], null, v7, s5, 0
	s_waitcnt vmcnt(0)
	v_mad_i64_i32 v[5:6], null, v8, s5, 0
	s_delay_alu instid0(VALU_DEP_2) | instskip(NEXT) | instid1(VALU_DEP_2)
	v_lshlrev_b64 v[3:4], 1, v[3:4]
	v_lshlrev_b64 v[1:2], 1, v[5:6]
	s_delay_alu instid0(VALU_DEP_2) | instskip(NEXT) | instid1(VALU_DEP_3)
	v_add_co_u32 v3, vcc_lo, s15, v3
	v_add_co_ci_u32_e32 v4, vcc_lo, s19, v4, vcc_lo
	s_delay_alu instid0(VALU_DEP_3) | instskip(NEXT) | instid1(VALU_DEP_4)
	v_add_co_u32 v1, vcc_lo, s15, v1
	v_add_co_ci_u32_e32 v2, vcc_lo, s19, v2, vcc_lo
	s_delay_alu instid0(VALU_DEP_4) | instskip(NEXT) | instid1(VALU_DEP_4)
	v_add_co_u32 v65, vcc_lo, v3, v73
	v_add_co_ci_u32_e32 v66, vcc_lo, v4, v74, vcc_lo
	s_delay_alu instid0(VALU_DEP_4) | instskip(NEXT) | instid1(VALU_DEP_4)
	v_add_co_u32 v67, vcc_lo, v1, v73
	v_add_co_ci_u32_e32 v68, vcc_lo, v2, v74, vcc_lo
	s_clause 0xf
	global_load_b128 v[1:4], v[65:66], off
	global_load_b128 v[5:8], v[65:66], off offset:512
	global_load_b128 v[9:12], v[67:68], off offset:256
	;; [unrolled: 1-line block ×15, first 2 shown]
	v_add_co_u32 v157, vcc_lo, 0x1000, v65
	v_add_co_ci_u32_e32 v158, vcc_lo, 0, v66, vcc_lo
	v_add_co_u32 v165, vcc_lo, 0x1000, v67
	v_add_co_ci_u32_e32 v166, vcc_lo, 0, v68, vcc_lo
	s_clause 0x7
	global_load_b128 v[81:84], v[157:158], off
	global_load_b128 v[85:88], v[157:158], off offset:512
	global_load_b128 v[89:92], v[165:166], off offset:256
	;; [unrolled: 1-line block ×7, first 2 shown]
	v_add_nc_u32_e32 v65, -14, v77
	v_cmp_gt_u32_e32 vcc_lo, 14, v77
	s_or_b32 s15, s12, 0xe0
	s_delay_alu instid0(SALU_CYCLE_1) | instskip(SKIP_3) | instid1(SALU_CYCLE_1)
	s_ashr_i32 s19, s15, 5
	s_cmp_lt_i32 s15, s17
	v_cndmask_b32_e32 v65, v65, v77, vcc_lo
	s_cselect_b32 s22, s19, s4
	s_ashr_i32 s23, s22, 31
	s_delay_alu instid0(VALU_DEP_1)
	v_lshlrev_b32_e32 v169, 6, v65
	ds_load_b128 v[65:68], v169
	ds_load_b128 v[69:72], v169 offset:1024
	s_clause 0x1
	global_load_b128 v[113:116], v[157:158], off offset:2048
	global_load_b128 v[117:120], v[157:158], off offset:2560
	ds_load_b128 v[129:132], v169 offset:2048
	ds_load_b128 v[133:136], v169 offset:3072
	s_clause 0x5
	global_load_b128 v[145:148], v[165:166], off offset:2304
	global_load_b128 v[149:152], v[165:166], off offset:2816
	;; [unrolled: 1-line block ×6, first 2 shown]
	s_lshl_b64 s[22:23], s[22:23], 2
	s_delay_alu instid0(SALU_CYCLE_1) | instskip(SKIP_2) | instid1(SALU_CYCLE_1)
	s_add_u32 s22, s13, s22
	s_addc_u32 s23, s16, s23
	s_add_i32 s15, s12, 0x100
	s_ashr_i32 s19, s15, 5
	s_cmp_lt_i32 s15, s17
	s_cselect_b32 s28, s19, s4
	s_delay_alu instid0(SALU_CYCLE_1) | instskip(NEXT) | instid1(SALU_CYCLE_1)
	s_ashr_i32 s29, s28, 31
	s_lshl_b64 s[28:29], s[28:29], 2
	s_delay_alu instid0(SALU_CYCLE_1)
	s_add_u32 s28, s13, s28
	s_addc_u32 s29, s16, s29
	s_add_u32 s4, s10, s2
	s_addc_u32 s19, s11, s3
	s_lshl_b64 s[2:3], s[8:9], 1
	s_lshl_b64 s[8:9], s[20:21], 1
	s_lshl_b64 s[10:11], s[24:25], 1
	s_lshl_b64 s[20:21], s[26:27], 1
	s_waitcnt vmcnt(30) lgkmcnt(2)
	v_wmma_f32_16x16x16_f16 v[137:144], v[1:8], v[65:72], v[121:128]
	ds_load_b128 v[1:4], v169 offset:4096
	ds_load_b128 v[5:8], v169 offset:5120
	s_waitcnt vmcnt(28)
	v_wmma_f32_16x16x16_f16 v[121:128], v[9:16], v[65:72], v[121:128]
	ds_load_b128 v[9:12], v169 offset:6144
	ds_load_b128 v[13:16], v169 offset:7168
	s_waitcnt vmcnt(26) lgkmcnt(4)
	v_wmma_f32_16x16x16_f16 v[137:144], v[17:24], v[129:136], v[137:144]
	ds_load_b128 v[17:20], v169 offset:8192
	ds_load_b128 v[21:24], v169 offset:9216
	s_waitcnt vmcnt(24)
	v_wmma_f32_16x16x16_f16 v[121:128], v[25:32], v[129:136], v[121:128]
	v_lshl_or_b32 v25, v78, 10, v79
	ds_load_b128 v[129:132], v169 offset:10240
	ds_load_b128 v[133:136], v169 offset:11264
	s_clause 0x2
	s_load_b32 s15, s[6:7], 0x0
	s_load_b32 s13, s[22:23], 0x0
	;; [unrolled: 1-line block ×3, first 2 shown]
	s_mul_hi_i32 s7, s36, s5
	v_add_co_u32 v170, s4, s4, v25
	s_delay_alu instid0(VALU_DEP_1)
	v_add_co_ci_u32_e64 v171, null, s19, 0, s4
	s_mul_i32 s6, s36, s5
	s_lshl_b64 s[22:23], s[34:35], 1
	s_lshl_b64 s[6:7], s[6:7], 1
	s_waitcnt vmcnt(22) lgkmcnt(0)
	v_wmma_f32_16x16x16_f16 v[137:144], v[33:40], v[1:8], v[137:144]
	s_waitcnt vmcnt(20)
	v_wmma_f32_16x16x16_f16 v[121:128], v[41:48], v[1:8], v[121:128]
	v_add_co_u32 v1, vcc_lo, v170, s2
	v_add_co_ci_u32_e32 v2, vcc_lo, s3, v171, vcc_lo
	v_add_co_u32 v3, vcc_lo, v170, s8
	v_add_co_ci_u32_e32 v4, vcc_lo, s9, v171, vcc_lo
	;; [unrolled: 2-line block ×4, first 2 shown]
	v_add_co_u32 v25, vcc_lo, v170, s6
	s_mul_hi_i32 s25, s15, s5
	s_mul_i32 s24, s15, s5
	v_add_co_ci_u32_e32 v26, vcc_lo, s7, v171, vcc_lo
	v_add_co_u32 v27, vcc_lo, v170, s22
	s_lshl_b64 s[24:25], s[24:25], 1
	s_waitcnt vmcnt(18)
	v_wmma_f32_16x16x16_f16 v[137:144], v[49:56], v[9:16], v[137:144]
	s_waitcnt vmcnt(16)
	v_wmma_f32_16x16x16_f16 v[121:128], v[57:64], v[9:16], v[121:128]
	v_add_co_ci_u32_e32 v28, vcc_lo, s23, v171, vcc_lo
	s_mul_hi_i32 s3, s13, s5
	s_mul_i32 s2, s13, s5
	v_add_co_u32 v29, vcc_lo, v170, s24
	s_lshl_b64 s[2:3], s[2:3], 1
	v_add_co_ci_u32_e32 v30, vcc_lo, s25, v171, vcc_lo
	s_waitcnt vmcnt(14)
	v_wmma_f32_16x16x16_f16 v[137:144], v[81:88], v[17:24], v[137:144]
	s_waitcnt vmcnt(12)
	v_wmma_f32_16x16x16_f16 v[121:128], v[89:96], v[17:24], v[121:128]
	v_add_co_u32 v17, vcc_lo, v170, s2
	v_add_co_ci_u32_e32 v18, vcc_lo, s3, v171, vcc_lo
	s_mul_hi_i32 s3, s16, s5
	s_mul_i32 s2, s16, s5
	s_clause 0x5
	global_load_b128 v[65:68], v[1:2], off
	global_load_b128 v[69:72], v[1:2], off offset:16
	global_load_b128 v[57:60], v[3:4], off
	global_load_b128 v[61:64], v[3:4], off offset:16
	;; [unrolled: 2-line block ×3, first 2 shown]
	s_lshl_b64 s[2:3], s[2:3], 1
	s_clause 0x1
	global_load_b128 v[41:44], v[7:8], off
	global_load_b128 v[45:48], v[7:8], off offset:16
	v_add_co_u32 v21, vcc_lo, v170, s2
	v_add_co_ci_u32_e32 v22, vcc_lo, s3, v171, vcc_lo
	s_clause 0x9
	global_load_b128 v[9:12], v[25:26], off
	global_load_b128 v[13:16], v[25:26], off offset:16
	global_load_b128 v[1:4], v[27:28], off
	global_load_b128 v[5:8], v[27:28], off offset:16
	;; [unrolled: 2-line block ×5, first 2 shown]
	ds_load_b128 v[81:84], v169 offset:12288
	ds_load_b128 v[85:88], v169 offset:13312
	v_and_b32_e32 v89, 0xe0, v0
	s_waitcnt vmcnt(28)
	v_wmma_f32_16x16x16_f16 v[137:144], v[97:104], v[129:136], v[137:144]
	v_mbcnt_lo_u32_b32 v97, -1, 0
	s_waitcnt vmcnt(26)
	v_wmma_f32_16x16x16_f16 v[121:128], v[105:112], v[129:136], v[121:128]
	v_add_nc_u32_e32 v98, s12, v89
	ds_load_b128 v[89:92], v169 offset:14336
	ds_load_b128 v[93:96], v169 offset:15360
	v_xor_b32_e32 v99, 16, v97
	s_waitcnt vmcnt(0) lgkmcnt(0)
	s_barrier
	v_or_b32_e32 v98, v98, v75
	buffer_gl0_inv
	v_cmp_gt_i32_e32 vcc_lo, 32, v99
	v_or_b32_e32 v100, 4, v98
	v_or_b32_e32 v101, 22, v98
	;; [unrolled: 1-line block ×4, first 2 shown]
	v_wmma_f32_16x16x16_f16 v[137:144], v[113:120], v[81:88], v[137:144]
	v_wmma_f32_16x16x16_f16 v[121:128], v[145:152], v[81:88], v[121:128]
	v_or_b32_e32 v81, 6, v98
	v_or_b32_e32 v82, 8, v98
	;; [unrolled: 1-line block ×3, first 2 shown]
	v_cmp_gt_i32_e64 s3, s17, v100
	v_or_b32_e32 v84, 12, v98
	v_wmma_f32_16x16x16_f16 v[137:144], v[153:160], v[89:96], v[137:144]
	v_wmma_f32_16x16x16_f16 v[121:128], v[161:168], v[89:96], v[121:128]
	v_cndmask_b32_e32 v97, v97, v99, vcc_lo
	v_or_b32_e32 v99, 2, v98
	v_cmp_gt_i32_e32 vcc_lo, s17, v98
	v_dual_mul_f32 v95, s18, v138 :: v_dual_mul_f32 v96, s18, v137
	v_mul_f32_e32 v93, s18, v140
	s_delay_alu instid0(VALU_DEP_4)
	v_cmp_gt_i32_e64 s2, s17, v99
	v_mul_f32_e32 v94, s18, v139
	v_mul_f32_e32 v110, s18, v124
	v_cndmask_b32_e32 v96, 0xff7fffff, v96, vcc_lo
	v_cmp_gt_i32_e64 s4, s17, v81
	v_cndmask_b32_e64 v95, 0xff7fffff, v95, s2
	v_or_b32_e32 v85, 14, v98
	v_dual_mul_f32 v91, s18, v142 :: v_dual_mul_f32 v92, s18, v141
	v_cndmask_b32_e64 v94, 0xff7fffff, v94, s3
	v_cndmask_b32_e64 v81, 0xff7fffff, v93, s4
	v_max3_f32 v93, v96, 0xff7fffff, v95
	v_cmp_gt_i32_e64 s5, s17, v82
	v_cmp_gt_i32_e64 s6, s17, v83
	v_or_b32_e32 v86, 16, v98
	v_or_b32_e32 v87, 18, v98
	v_dual_mul_f32 v89, s18, v144 :: v_dual_mul_f32 v112, s18, v122
	v_mul_f32_e32 v90, s18, v143
	v_cndmask_b32_e64 v82, 0xff7fffff, v92, s5
	v_cndmask_b32_e64 v83, 0xff7fffff, v91, s6
	v_max3_f32 v81, v93, v94, v81
	v_cmp_gt_i32_e64 s7, s17, v84
	v_cmp_gt_i32_e64 s8, s17, v85
	v_or_b32_e32 v88, 20, v98
	v_mul_f32_e32 v113, s18, v121
	v_max3_f32 v81, v81, v82, v83
	v_cndmask_b32_e64 v84, 0xff7fffff, v90, s7
	v_cndmask_b32_e64 v85, 0xff7fffff, v89, s8
	v_cmp_gt_i32_e64 s9, s17, v86
	v_cmp_gt_i32_e64 s10, s17, v87
	v_mul_f32_e32 v111, s18, v123
	v_cmp_gt_i32_e64 s11, s17, v88
	v_max3_f32 v81, v81, v84, v85
	v_cndmask_b32_e64 v82, 0xff7fffff, v113, s9
	v_cndmask_b32_e64 v83, 0xff7fffff, v112, s10
	v_cmp_gt_i32_e64 s12, s17, v101
	v_or_b32_e32 v104, 28, v98
	v_or_b32_e32 v105, 30, v98
	v_dual_mul_f32 v108, s18, v126 :: v_dual_mul_f32 v109, s18, v125
	v_cndmask_b32_e64 v84, 0xff7fffff, v111, s11
	v_cndmask_b32_e64 v85, 0xff7fffff, v110, s12
	v_max3_f32 v81, v81, v82, v83
	v_cmp_gt_i32_e64 s13, s17, v102
	v_cmp_gt_i32_e64 s15, s17, v103
	v_dual_mul_f32 v106, s18, v128 :: v_dual_mul_f32 v107, s18, v127
	s_delay_alu instid0(VALU_DEP_4) | instskip(NEXT) | instid1(VALU_DEP_4)
	v_max3_f32 v81, v81, v84, v85
	v_cndmask_b32_e64 v82, 0xff7fffff, v109, s13
	s_delay_alu instid0(VALU_DEP_4) | instskip(SKIP_2) | instid1(VALU_DEP_3)
	v_cndmask_b32_e64 v83, 0xff7fffff, v108, s15
	v_cmp_gt_i32_e64 s16, s17, v104
	v_cmp_gt_i32_e64 s17, s17, v105
	v_max3_f32 v81, v81, v82, v83
	s_delay_alu instid0(VALU_DEP_3) | instskip(NEXT) | instid1(VALU_DEP_3)
	v_cndmask_b32_e64 v84, 0xff7fffff, v107, s16
	v_cndmask_b32_e64 v85, 0xff7fffff, v106, s17
	v_lshlrev_b32_e32 v83, 2, v97
	s_delay_alu instid0(VALU_DEP_2) | instskip(SKIP_3) | instid1(VALU_DEP_1)
	v_max3_f32 v81, v81, v84, v85
	ds_bpermute_b32 v82, v83, v81
	s_waitcnt lgkmcnt(0)
	v_max_f32_e32 v82, v82, v82
	v_max_f32_e32 v81, v81, v82
	s_delay_alu instid0(VALU_DEP_1)
	v_fma_f32 v82, s18, v137, -v81
	v_fma_f32 v84, s18, v138, -v81
	;; [unrolled: 1-line block ×5, first 2 shown]
	v_mul_f32_e32 v82, 0x3fb8aa3b, v82
	s_delay_alu instid0(VALU_DEP_4) | instskip(NEXT) | instid1(VALU_DEP_3)
	v_dual_mul_f32 v84, 0x3fb8aa3b, v84 :: v_dual_mul_f32 v85, 0x3fb8aa3b, v85
	v_dual_mul_f32 v86, 0x3fb8aa3b, v86 :: v_dual_mul_f32 v89, 0x3fb8aa3b, v87
	s_delay_alu instid0(VALU_DEP_3) | instskip(NEXT) | instid1(VALU_DEP_2)
	v_exp_f32_e32 v82, v82
	v_exp_f32_e32 v84, v84
	s_delay_alu instid0(VALU_DEP_2) | instskip(NEXT) | instid1(VALU_DEP_1)
	v_exp_f32_e32 v85, v85
	v_exp_f32_e32 v86, v86
	;; [unrolled: 1-line block ×3, first 2 shown]
	v_cndmask_b32_e32 v88, 0, v82, vcc_lo
	v_cndmask_b32_e64 v87, 0, v84, s2
	s_delay_alu instid0(TRANS32_DEP_3)
	v_cndmask_b32_e64 v90, 0, v85, s3
	s_waitcnt_depctr 0xfff
	v_cndmask_b32_e64 v89, 0, v86, s4
	v_cndmask_b32_e64 v92, 0, v92, s5
	v_add_f32_e32 v84, 0, v88
	s_mov_b32 s2, exec_lo
	s_delay_alu instid0(VALU_DEP_1) | instskip(NEXT) | instid1(VALU_DEP_1)
	v_add_f32_e32 v84, v84, v87
	v_add_f32_e32 v84, v84, v90
	s_delay_alu instid0(VALU_DEP_1)
	v_add_f32_e32 v84, v84, v89
	v_fma_f32 v82, s18, v142, -v81
	v_fma_f32 v91, s18, v143, -v81
	;; [unrolled: 1-line block ×5, first 2 shown]
	s_delay_alu instid0(VALU_DEP_4) | instskip(SKIP_1) | instid1(VALU_DEP_4)
	v_dual_mul_f32 v82, 0x3fb8aa3b, v82 :: v_dual_mul_f32 v91, 0x3fb8aa3b, v91
	v_fma_f32 v96, s18, v124, -v81
	v_mul_f32_e32 v86, 0x3fb8aa3b, v86
	s_delay_alu instid0(VALU_DEP_4) | instskip(NEXT) | instid1(VALU_DEP_4)
	v_mul_f32_e32 v95, 0x3fb8aa3b, v94
	v_exp_f32_e32 v82, v82
	v_exp_f32_e32 v93, v91
	v_mul_f32_e32 v97, 0x3fb8aa3b, v96
	v_exp_f32_e32 v86, v86
	v_fma_f32 v99, s18, v127, -v81
	s_delay_alu instid0(VALU_DEP_2) | instskip(SKIP_2) | instid1(TRANS32_DEP_3)
	v_exp_f32_e32 v97, v97
	v_cndmask_b32_e64 v91, 0, v82, s6
	v_dual_add_f32 v82, v84, v92 :: v_dual_mul_f32 v85, 0x3fb8aa3b, v85
	v_cndmask_b32_e64 v94, 0, v93, s7
	v_fma_f32 v84, s18, v123, -v81
	s_delay_alu instid0(TRANS32_DEP_2) | instskip(NEXT) | instid1(VALU_DEP_4)
	v_cndmask_b32_e64 v96, 0, v86, s9
	v_add_f32_e32 v82, v82, v91
	v_exp_f32_e32 v85, v85
	v_fma_f32 v86, s18, v126, -v81
	v_mul_f32_e32 v84, 0x3fb8aa3b, v84
	v_cndmask_b32_e64 v97, 0, v97, s12
	v_add_f32_e32 v82, v82, v94
	s_delay_alu instid0(VALU_DEP_3) | instskip(SKIP_3) | instid1(VALU_DEP_2)
	v_exp_f32_e32 v84, v84
	s_waitcnt_depctr 0xfff
	v_cndmask_b32_e64 v93, 0, v85, s8
	v_fma_f32 v85, s18, v125, -v81
	v_add_f32_e32 v82, v82, v93
	v_exp_f32_e32 v95, v95
	s_delay_alu instid0(VALU_DEP_2)
	v_mul_f32_e32 v85, 0x3fb8aa3b, v85
	v_cndmask_b32_e64 v98, 0, v84, s11
	v_mul_f32_e32 v84, 0x3fb8aa3b, v99
	v_add_f32_e32 v82, v82, v96
	v_fma_f32 v99, s18, v128, -v81
	v_exp_f32_e32 v85, v85
	v_mul_f32_e32 v86, 0x3fb8aa3b, v86
	v_exp_f32_e32 v84, v84
	s_delay_alu instid0(TRANS32_DEP_3) | instskip(NEXT) | instid1(VALU_DEP_1)
	v_cndmask_b32_e64 v95, 0, v95, s10
	v_add_f32_e32 v82, v82, v95
	s_waitcnt_depctr 0xfff
	v_cndmask_b32_e64 v100, 0, v85, s13
	v_mul_f32_e32 v85, 0x3fb8aa3b, v99
	v_exp_f32_e32 v86, v86
	v_cndmask_b32_e64 v102, 0, v84, s16
	v_add_f32_e32 v82, v82, v98
	s_delay_alu instid0(VALU_DEP_3) | instskip(NEXT) | instid1(VALU_DEP_1)
	v_exp_f32_e32 v85, v85
	v_add_f32_e32 v82, v82, v97
	s_waitcnt_depctr 0xfff
	v_cndmask_b32_e64 v99, 0, v86, s15
	v_add_f32_e32 v82, v82, v100
	v_cndmask_b32_e64 v101, 0, v85, s17
	s_delay_alu instid0(VALU_DEP_2) | instskip(NEXT) | instid1(VALU_DEP_1)
	v_add_f32_e32 v82, v82, v99
	v_add_f32_e32 v82, v82, v102
	s_delay_alu instid0(VALU_DEP_1)
	v_add_f32_e32 v82, v82, v101
	ds_bpermute_b32 v83, v83, v82
	v_cmpx_gt_u32_e32 16, v80
	s_cbranch_execz .LBB359_14
; %bb.13:
	v_mul_u32_u24_e32 v80, 0x44, v78
	s_waitcnt lgkmcnt(0)
	v_add_f32_e32 v82, v82, v83
	s_delay_alu instid0(VALU_DEP_2) | instskip(NEXT) | instid1(VALU_DEP_1)
	v_lshl_add_u32 v80, v77, 2, v80
	v_add_nc_u32_e32 v80, 0x4000, v80
	ds_store_2addr_b32 v80, v81, v82 offset1:136
.LBB359_14:
	s_or_b32 exec_lo, exec_lo, s2
	v_lshlrev_b32_e32 v80, 2, v77
	s_load_b32 s34, s[0:1], 0x94
	s_waitcnt lgkmcnt(0)
	s_barrier
	buffer_gl0_inv
	v_add_nc_u32_e32 v84, 0x4000, v80
	v_cmp_eq_u32_e32 vcc_lo, 1, v78
	v_cmp_eq_u32_e64 s2, 2, v78
	v_cmp_eq_u32_e64 s3, 3, v78
	;; [unrolled: 1-line block ×3, first 2 shown]
	ds_load_2addr_b32 v[80:81], v84 offset1:17
	ds_load_2addr_b32 v[82:83], v84 offset0:34 offset1:51
	ds_load_2addr_b32 v[103:104], v84 offset0:68 offset1:85
	ds_load_2addr_b32 v[105:106], v84 offset0:102 offset1:119
	v_cmp_eq_u32_e64 s5, 7, v78
	s_waitcnt lgkmcnt(3)
	v_max3_f32 v85, v80, 0xff7fffff, v81
	s_waitcnt lgkmcnt(2)
	s_delay_alu instid0(VALU_DEP_1) | instskip(SKIP_1) | instid1(VALU_DEP_1)
	v_max3_f32 v85, v85, v82, v83
	s_waitcnt lgkmcnt(1)
	v_max3_f32 v85, v85, v103, v104
	s_waitcnt lgkmcnt(0)
	s_delay_alu instid0(VALU_DEP_1) | instskip(NEXT) | instid1(VALU_DEP_1)
	v_max3_f32 v85, v85, v105, v106
	v_sub_f32_e32 v103, v103, v85
	ds_load_2addr_b32 v[107:108], v84 offset0:136 offset1:153
	v_sub_f32_e32 v80, v80, v85
	v_dual_sub_f32 v110, v83, v85 :: v_dual_mul_f32 v113, 0x3fb8aa3b, v103
	s_delay_alu instid0(VALU_DEP_2) | instskip(SKIP_3) | instid1(VALU_DEP_1)
	v_dual_sub_f32 v86, v81, v85 :: v_dual_mul_f32 v109, 0x3fb8aa3b, v80
	ds_load_2addr_b32 v[80:81], v84 offset0:170 offset1:187
	v_mul_f32_e32 v86, 0x3fb8aa3b, v86
	v_exp_f32_e32 v109, v109
	v_exp_f32_e32 v112, v86
	v_mul_f32_e32 v110, 0x3fb8aa3b, v110
	s_waitcnt lgkmcnt(1)
	s_waitcnt_depctr 0xfff
	v_fma_f32 v86, v109, v107, 0
	v_sub_f32_e32 v107, v104, v85
	v_sub_f32_e32 v82, v82, v85
	v_exp_f32_e32 v110, v110
	ds_load_2addr_b32 v[103:104], v84 offset0:238 offset1:255
	v_dual_fmac_f32 v86, v112, v108 :: v_dual_mul_f32 v111, 0x3fb8aa3b, v82
	ds_load_2addr_b32 v[82:83], v84 offset0:204 offset1:221
	v_dual_sub_f32 v84, v105, v85 :: v_dual_mul_f32 v105, 0x3fb8aa3b, v107
	v_exp_f32_e32 v107, v113
	v_exp_f32_e32 v111, v111
	s_waitcnt lgkmcnt(0)
	s_delay_alu instid0(VALU_DEP_1)
	v_mul_f32_e32 v84, 0x3fb8aa3b, v84
	v_exp_f32_e32 v105, v105
	s_barrier
	buffer_gl0_inv
	v_fmac_f32_e32 v86, v111, v80
	v_sub_f32_e32 v80, v106, v85
	v_exp_f32_e32 v106, v84
	s_delay_alu instid0(VALU_DEP_2) | instskip(NEXT) | instid1(VALU_DEP_2)
	v_fmac_f32_e32 v86, v110, v81
	v_mul_f32_e32 v80, 0x3fb8aa3b, v80
	s_delay_alu instid0(VALU_DEP_2) | instskip(NEXT) | instid1(VALU_DEP_2)
	v_dual_cndmask_b32 v81, v109, v112 :: v_dual_fmac_f32 v86, v107, v82
	v_exp_f32_e32 v108, v80
	s_delay_alu instid0(VALU_DEP_1) | instskip(SKIP_2) | instid1(VALU_DEP_1)
	v_fmac_f32_e32 v86, v105, v83
	s_waitcnt_depctr 0xfff
	v_fmac_f32_e32 v86, v106, v103
	v_fmac_f32_e32 v86, v108, v104
	s_delay_alu instid0(VALU_DEP_1) | instskip(NEXT) | instid1(VALU_DEP_1)
	v_add_f32_e32 v103, 0x358637bd, v86
	v_div_scale_f32 v104, null, v103, v103, 1.0
	v_div_scale_f32 v109, vcc_lo, 1.0, v103, 1.0
	s_delay_alu instid0(VALU_DEP_2) | instskip(SKIP_2) | instid1(VALU_DEP_1)
	v_rcp_f32_e32 v113, v104
	s_waitcnt_depctr 0xfff
	v_fma_f32 v80, -v104, v113, 1.0
	v_fmac_f32_e32 v113, v80, v113
	v_cndmask_b32_e64 v80, v81, v111, s2
	v_cmp_eq_u32_e64 s2, 4, v78
	v_lshl_or_b32 v81, v78, 11, v79
	s_delay_alu instid0(VALU_DEP_4) | instskip(NEXT) | instid1(VALU_DEP_4)
	v_mul_f32_e32 v111, v109, v113
	v_cndmask_b32_e64 v82, v80, v110, s3
	v_cmp_eq_u32_e64 s3, 6, v78
	s_delay_alu instid0(VALU_DEP_4) | instskip(SKIP_3) | instid1(VALU_DEP_3)
	v_lshl_or_b32 v78, v75, 4, v81
	v_lshlrev_b32_e32 v80, 2, v75
	v_fma_f32 v83, -v104, v111, v109
	v_cndmask_b32_e64 v84, v82, v107, s2
	v_or_b32_e32 v82, 1, v80
	s_delay_alu instid0(VALU_DEP_3) | instskip(NEXT) | instid1(VALU_DEP_3)
	v_fmac_f32_e32 v111, v83, v113
	v_cndmask_b32_e64 v105, v84, v105, s4
	v_or_b32_e32 v84, 2, v80
	v_or_b32_e32 v83, 3, v80
	v_cmp_eq_u32_e64 s2, 1, v80
	v_fma_f32 v104, -v104, v111, v109
	v_cndmask_b32_e64 v105, v105, v106, s3
	v_cmp_eq_u32_e64 s8, 1, v82
	v_cmp_eq_u32_e64 s9, 1, v84
	;; [unrolled: 1-line block ×3, first 2 shown]
	v_div_fmas_f32 v104, v104, v113, v111
	v_cndmask_b32_e64 v105, v105, v108, s5
	v_cmp_eq_u32_e32 vcc_lo, 2, v80
	v_cmp_eq_u32_e64 s11, 2, v82
	v_cmp_eq_u32_e64 s13, 2, v84
	v_div_fixup_f32 v103, v104, v103, 1.0
	v_cmp_eq_u32_e64 s15, 2, v83
	v_cmp_eq_u32_e64 s17, 3, v83
	;; [unrolled: 1-line block ×4, first 2 shown]
	v_mul_f32_e32 v111, v105, v103
	v_cmp_eq_u32_e64 s16, 3, v84
	v_cmp_eq_u32_e64 s21, 4, v83
	;; [unrolled: 1-line block ×4, first 2 shown]
	v_fma_mixlo_f16 v103, v111, v88, 0
	v_fma_mixlo_f16 v104, v111, v90, 0
	;; [unrolled: 1-line block ×8, first 2 shown]
	v_fma_mixhi_f16 v103, v111, v87, 0
	v_fma_mixhi_f16 v104, v111, v89, 0
	;; [unrolled: 1-line block ×8, first 2 shown]
	ds_store_b128 v78, v[103:106]
	ds_store_b128 v78, v[107:110] offset:1024
	s_waitcnt lgkmcnt(0)
	s_barrier
	buffer_gl0_inv
	ds_load_b128 v[87:90], v81
	ds_load_b128 v[91:94], v81 offset:16
	ds_load_b128 v[95:98], v81 offset:1024
	;; [unrolled: 1-line block ×3, first 2 shown]
	v_cmp_eq_u32_e64 s20, 4, v84
	v_cmp_eq_u32_e64 s23, 5, v83
	v_cmp_eq_u32_e64 s5, 5, v80
	v_cmp_eq_u32_e64 s19, 5, v82
	v_cmp_eq_u32_e64 s22, 5, v84
	v_cmp_eq_u32_e64 s26, 6, v83
	v_cmp_eq_u32_e64 s6, 6, v80
	v_cmp_eq_u32_e64 s24, 6, v82
	v_cmp_eq_u32_e64 s25, 6, v84
	v_cmp_eq_u32_e64 s28, 7, v83
	v_cmp_eq_u32_e64 s7, 7, v80
	v_cmp_eq_u32_e64 s27, 7, v84
	v_cmp_eq_u32_e64 s29, 7, v82
	s_waitcnt lgkmcnt(3)
	v_lshrrev_b32_e32 v103, 16, v87
	s_waitcnt lgkmcnt(2)
	v_lshrrev_b32_e32 v107, 16, v91
	;; [unrolled: 2-line block ×4, first 2 shown]
	v_lshrrev_b32_e32 v104, 16, v88
	v_cndmask_b32_e64 v119, v87, v103, s2
	v_cndmask_b32_e64 v120, v91, v107, s2
	;; [unrolled: 1-line block ×8, first 2 shown]
	v_lshrrev_b32_e32 v108, 16, v92
	v_cndmask_b32_e64 v103, v95, v111, s2
	v_cndmask_b32_e64 v107, v99, v115, s2
	;; [unrolled: 1-line block ×5, first 2 shown]
	v_cndmask_b32_e32 v111, v119, v88, vcc_lo
	v_cndmask_b32_e64 v119, v121, v88, s11
	v_cndmask_b32_e64 v121, v123, v88, s13
	;; [unrolled: 1-line block ×4, first 2 shown]
	v_lshrrev_b32_e32 v112, 16, v96
	v_lshrrev_b32_e32 v116, 16, v100
	v_cndmask_b32_e64 v126, v99, v115, s8
	v_cndmask_b32_e64 v128, v99, v115, s9
	;; [unrolled: 1-line block ×3, first 2 shown]
	v_cndmask_b32_e32 v115, v120, v92, vcc_lo
	v_cndmask_b32_e64 v120, v122, v92, s11
	v_cndmask_b32_e64 v122, v124, v92, s13
	v_cndmask_b32_e32 v91, v103, v96, vcc_lo
	v_cndmask_b32_e32 v92, v107, v100, vcc_lo
	v_cndmask_b32_e64 v103, v125, v96, s11
	v_cndmask_b32_e64 v87, v87, v104, s17
	;; [unrolled: 1-line block ×3, first 2 shown]
	v_lshrrev_b32_e32 v105, 16, v89
	v_lshrrev_b32_e32 v109, 16, v93
	v_cndmask_b32_e64 v107, v127, v96, s13
	v_cndmask_b32_e64 v95, v95, v96, s15
	;; [unrolled: 1-line block ×14, first 2 shown]
	v_lshrrev_b32_e32 v113, 16, v97
	v_cndmask_b32_e64 v99, v99, v89, s4
	v_cndmask_b32_e64 v104, v111, v93, s4
	;; [unrolled: 1-line block ×11, first 2 shown]
	v_lshrrev_b32_e32 v106, 16, v90
	v_lshrrev_b32_e32 v110, 16, v94
	v_cndmask_b32_e64 v93, v99, v105, s5
	v_cndmask_b32_e64 v99, v104, v109, s5
	;; [unrolled: 1-line block ×9, first 2 shown]
	v_lshrrev_b32_e32 v114, 16, v98
	v_cndmask_b32_e64 v89, v89, v113, s5
	v_cndmask_b32_e64 v93, v93, v90, s6
	;; [unrolled: 1-line block ×19, first 2 shown]
	v_perm_b32 v90, v88, v87, 0x5040100
	v_cndmask_b32_e64 v87, v126, v100, s11
	v_cndmask_b32_e64 v105, v89, v114, s7
	v_perm_b32 v89, v103, v99, 0x5040100
	v_perm_b32 v88, v104, v94, 0x5040100
	v_cndmask_b32_e64 v94, v107, v112, s16
	v_cndmask_b32_e64 v95, v95, v112, s17
	;; [unrolled: 1-line block ×5, first 2 shown]
	v_lshrrev_b32_e32 v117, 16, v101
	v_cndmask_b32_e64 v94, v94, v97, s20
	v_cndmask_b32_e64 v95, v95, v97, s21
	;; [unrolled: 1-line block ×11, first 2 shown]
	v_lshrrev_b32_e32 v118, 16, v102
	v_cndmask_b32_e64 v91, v91, v102, s6
	v_cndmask_b32_e64 v94, v94, v98, s25
	;; [unrolled: 1-line block ×12, first 2 shown]
	v_perm_b32 v87, v93, v92, 0x5040100
	v_perm_b32 v94, v95, v94, 0x5040100
	;; [unrolled: 1-line block ×5, first 2 shown]
	s_mul_i32 s6, s33, 14
	s_mov_b32 s2, exec_lo
	ds_store_b128 v78, v[87:90]
	ds_store_b128 v78, v[91:94] offset:1024
	v_cmpx_gt_u32_e32 14, v0
	s_cbranch_execz .LBB359_16
; %bb.15:
	s_mul_i32 s3, s6, s30
	s_load_b128 s[8:11], s[0:1], 0x58
	v_add3_u32 v77, s3, s31, v77
	s_delay_alu instid0(VALU_DEP_1) | instskip(NEXT) | instid1(VALU_DEP_1)
	v_mad_u64_u32 v[87:88], null, v77, s34, s[14:15]
	v_ashrrev_i32_e32 v88, 31, v87
	s_delay_alu instid0(VALU_DEP_1) | instskip(SKIP_1) | instid1(VALU_DEP_1)
	v_lshlrev_b64 v[87:88], 2, v[87:88]
	s_waitcnt lgkmcnt(0)
	v_add_co_u32 v89, vcc_lo, s10, v87
	s_delay_alu instid0(VALU_DEP_2)
	v_add_co_ci_u32_e32 v90, vcc_lo, s11, v88, vcc_lo
	v_add_co_u32 v87, vcc_lo, s8, v87
	v_add_co_ci_u32_e32 v88, vcc_lo, s9, v88, vcc_lo
	global_store_b32 v[89:90], v85, off
	global_store_b32 v[87:88], v86, off
.LBB359_16:
	s_or_b32 exec_lo, exec_lo, s2
	s_waitcnt lgkmcnt(0)
	s_waitcnt_vscnt null, 0x0
	s_barrier
	buffer_gl0_inv
	ds_load_b128 v[93:96], v79
	ds_load_b128 v[97:100], v79 offset:16
	ds_load_b128 v[105:108], v79 offset:1040
	;; [unrolled: 1-line block ×5, first 2 shown]
	v_cmp_eq_u32_e32 vcc_lo, 1, v84
	v_mov_b32_e32 v85, 0
	ds_load_b128 v[121:124], v79 offset:3088
	ds_load_b128 v[117:120], v79 offset:3072
	;; [unrolled: 1-line block ×4, first 2 shown]
	v_cmp_eq_u32_e64 s2, 1, v80
	v_cmp_eq_u32_e64 s3, 1, v83
	;; [unrolled: 1-line block ×3, first 2 shown]
	v_mov_b32_e32 v86, v85
	v_mov_b32_e32 v87, v85
	;; [unrolled: 1-line block ×7, first 2 shown]
	v_cmp_eq_u32_e64 s5, 2, v80
	s_waitcnt lgkmcnt(8)
	s_delay_alu instid0(VALU_DEP_2)
	v_wmma_f32_16x16x16_f16 v[85:92], v[65:72], v[93:100], v[85:92]
	ds_load_b128 v[69:72], v79 offset:5136
	ds_load_b128 v[65:68], v79 offset:5120
	ds_load_b128 v[97:100], v79 offset:6160
	ds_load_b128 v[93:96], v79 offset:6144
	s_waitcnt lgkmcnt(10)
	v_wmma_f32_16x16x16_f16 v[85:92], v[57:64], v[101:108], v[85:92]
	s_waitcnt lgkmcnt(8)
	s_delay_alu instid0(VALU_DEP_1)
	v_wmma_f32_16x16x16_f16 v[85:92], v[57:64], v[109:116], v[85:92]
	ds_load_b128 v[61:64], v79 offset:7184
	ds_load_b128 v[57:60], v79 offset:7168
	;; [unrolled: 1-line block ×4, first 2 shown]
	s_waitcnt lgkmcnt(10)
	v_wmma_f32_16x16x16_f16 v[85:92], v[49:56], v[117:124], v[85:92]
	s_waitcnt lgkmcnt(8)
	s_delay_alu instid0(VALU_DEP_1)
	v_wmma_f32_16x16x16_f16 v[85:92], v[49:56], v[125:132], v[85:92]
	ds_load_b128 v[53:56], v79 offset:9232
	ds_load_b128 v[49:52], v79 offset:9216
	s_waitcnt lgkmcnt(8)
	v_wmma_f32_16x16x16_f16 v[85:92], v[41:48], v[65:72], v[85:92]
	ds_load_b128 v[69:72], v79 offset:10256
	ds_load_b128 v[65:68], v79 offset:10240
	s_waitcnt lgkmcnt(8)
	;; [unrolled: 4-line block ×7, first 2 shown]
	s_barrier
	buffer_gl0_inv
	v_wmma_f32_16x16x16_f16 v[85:92], v[33:40], v[41:48], v[85:92]
	s_delay_alu instid0(VALU_DEP_1) | instskip(NEXT) | instid1(VALU_DEP_1)
	v_wmma_f32_16x16x16_f16 v[85:92], v[33:40], v[57:64], v[85:92]
	v_wmma_f32_16x16x16_f16 v[85:92], v[25:32], v[9:16], v[85:92]
	s_delay_alu instid0(VALU_DEP_1) | instskip(NEXT) | instid1(VALU_DEP_1)
	v_wmma_f32_16x16x16_f16 v[85:92], v[25:32], v[49:56], v[85:92]
	v_wmma_f32_16x16x16_f16 v[85:92], v[17:24], v[1:8], v[85:92]
	s_delay_alu instid0(VALU_DEP_1) | instskip(NEXT) | instid1(VALU_DEP_2)
	v_cvt_f16_f32_e32 v1, v85
	v_cvt_f16_f32_e32 v2, v86
	s_delay_alu instid0(VALU_DEP_3) | instskip(NEXT) | instid1(VALU_DEP_4)
	v_cvt_f16_f32_e32 v3, v87
	v_cvt_f16_f32_e32 v4, v88
	v_cvt_f16_f32_e32 v5, v89
	v_cvt_f16_f32_e32 v6, v90
	v_cvt_f16_f32_e32 v7, v91
	v_cvt_f16_f32_e32 v8, v92
	v_pack_b32_f16 v1, v1, v2
	v_pack_b32_f16 v2, v3, v4
	;; [unrolled: 1-line block ×3, first 2 shown]
	s_delay_alu instid0(VALU_DEP_4)
	v_pack_b32_f16 v4, v7, v8
	ds_store_b128 v78, v[1:4]
	s_waitcnt lgkmcnt(0)
	s_barrier
	buffer_gl0_inv
	ds_load_b128 v[1:4], v81
	ds_load_b128 v[5:8], v81 offset:16
	s_waitcnt lgkmcnt(1)
	v_lshrrev_b32_e32 v9, 16, v1
	s_waitcnt lgkmcnt(0)
	v_lshrrev_b32_e32 v13, 16, v5
	v_lshrrev_b32_e32 v15, 16, v7
	;; [unrolled: 1-line block ×4, first 2 shown]
	v_cndmask_b32_e64 v17, v1, v9, s2
	v_cndmask_b32_e64 v18, v5, v13, s2
	;; [unrolled: 1-line block ×3, first 2 shown]
	v_cmp_eq_u32_e64 s2, 2, v82
	v_cndmask_b32_e64 v20, v5, v13, s4
	v_cndmask_b32_e32 v21, v1, v9, vcc_lo
	v_cndmask_b32_e32 v22, v5, v13, vcc_lo
	v_cndmask_b32_e64 v1, v1, v9, s3
	v_cndmask_b32_e64 v5, v5, v13, s3
	v_cmp_eq_u32_e32 vcc_lo, 2, v84
	v_cmp_eq_u32_e64 s3, 2, v83
	v_cndmask_b32_e64 v9, v17, v2, s5
	v_cndmask_b32_e64 v13, v18, v6, s5
	;; [unrolled: 1-line block ×4, first 2 shown]
	v_cndmask_b32_e32 v19, v21, v2, vcc_lo
	v_cmp_eq_u32_e64 s2, 3, v84
	v_cndmask_b32_e32 v20, v22, v6, vcc_lo
	v_cndmask_b32_e64 v1, v1, v2, s3
	v_cmp_eq_u32_e32 vcc_lo, 3, v83
	v_cmp_eq_u32_e64 s4, 3, v80
	v_cndmask_b32_e64 v2, v5, v6, s3
	v_cmp_eq_u32_e64 s3, 3, v82
	v_lshrrev_b32_e32 v16, 16, v8
	v_cmp_eq_u32_e64 s5, 4, v80
	v_cndmask_b32_e64 v5, v9, v10, s4
	v_cndmask_b32_e64 v6, v13, v14, s4
	;; [unrolled: 1-line block ×3, first 2 shown]
	v_cmp_eq_u32_e64 s4, 4, v82
	v_cndmask_b32_e64 v13, v18, v14, s3
	v_cndmask_b32_e64 v17, v19, v10, s2
	v_cndmask_b32_e64 v18, v20, v14, s2
	v_cndmask_b32_e32 v1, v1, v10, vcc_lo
	v_cndmask_b32_e32 v2, v2, v14, vcc_lo
	v_cmp_eq_u32_e32 vcc_lo, 4, v84
	v_cmp_eq_u32_e64 s3, 4, v83
	v_lshrrev_b32_e32 v11, 16, v3
	v_cndmask_b32_e64 v5, v5, v3, s5
	v_cndmask_b32_e64 v6, v6, v7, s5
	;; [unrolled: 1-line block ×4, first 2 shown]
	v_cndmask_b32_e32 v13, v17, v3, vcc_lo
	v_cmp_eq_u32_e64 s2, 5, v84
	v_cndmask_b32_e32 v14, v18, v7, vcc_lo
	v_cndmask_b32_e64 v1, v1, v3, s3
	v_cmp_eq_u32_e32 vcc_lo, 5, v83
	v_cmp_eq_u32_e64 s4, 5, v80
	v_cndmask_b32_e64 v2, v2, v7, s3
	v_cmp_eq_u32_e64 s3, 5, v82
	v_cmp_eq_u32_e64 s5, 6, v80
	v_cndmask_b32_e32 v1, v1, v11, vcc_lo
	v_cndmask_b32_e64 v3, v5, v11, s4
	v_cndmask_b32_e64 v5, v6, v15, s4
	;; [unrolled: 1-line block ×3, first 2 shown]
	v_cmp_eq_u32_e64 s4, 6, v82
	v_cndmask_b32_e64 v7, v10, v15, s3
	v_cndmask_b32_e64 v9, v13, v11, s2
	;; [unrolled: 1-line block ×3, first 2 shown]
	v_cndmask_b32_e32 v2, v2, v15, vcc_lo
	v_cmp_eq_u32_e32 vcc_lo, 6, v84
	v_cmp_eq_u32_e64 s2, 6, v83
	v_lshrrev_b32_e32 v12, 16, v4
	v_cndmask_b32_e64 v3, v3, v4, s5
	v_cndmask_b32_e64 v5, v5, v8, s5
	;; [unrolled: 1-line block ×4, first 2 shown]
	v_cndmask_b32_e32 v9, v9, v4, vcc_lo
	v_cmp_eq_u32_e64 s3, 7, v84
	v_cndmask_b32_e32 v10, v10, v8, vcc_lo
	v_cndmask_b32_e64 v1, v1, v4, s2
	v_cmp_eq_u32_e32 vcc_lo, 7, v83
	v_cndmask_b32_e64 v2, v2, v8, s2
	v_cmp_eq_u32_e64 s2, 7, v80
	v_cmp_eq_u32_e64 s4, 7, v82
	v_cndmask_b32_e32 v1, v1, v12, vcc_lo
	s_delay_alu instid0(VALU_DEP_4) | instskip(NEXT) | instid1(VALU_DEP_4)
	v_cndmask_b32_e32 v2, v2, v16, vcc_lo
	v_cndmask_b32_e64 v8, v3, v12, s2
	s_delay_alu instid0(VALU_DEP_4)
	v_cndmask_b32_e64 v6, v6, v12, s4
	v_cndmask_b32_e64 v3, v9, v12, s3
	;; [unrolled: 1-line block ×5, first 2 shown]
	v_perm_b32 v4, v2, v1, 0x5040100
	s_mov_b32 s2, exec_lo
	v_perm_b32 v3, v9, v3, 0x5040100
	v_perm_b32 v2, v7, v6, 0x5040100
	v_perm_b32 v1, v5, v8, 0x5040100
	ds_store_b128 v78, v[1:4]
	s_waitcnt lgkmcnt(0)
	s_barrier
	buffer_gl0_inv
	v_cmpx_gt_u32_e32 32, v0
	s_cbranch_execz .LBB359_2
; %bb.17:
	s_load_b64 s[0:1], s[0:1], 0x68
	v_lshlrev_b32_e32 v0, 10, v0
	s_lshl_b32 s4, s34, 7
	v_or_b32_e32 v3, s31, v75
	s_mul_i32 s2, s4, s30
	v_lshlrev_b32_e32 v1, 4, v76
	v_lshlrev_b32_e32 v2, 6, v75
	v_and_b32_e32 v0, 0x3800, v0
	s_mul_i32 s2, s2, s6
	v_mul_lo_u32 v8, v3, s4
	s_ashr_i32 s3, s2, 31
	s_delay_alu instid0(SALU_CYCLE_1)
	s_lshl_b64 s[2:3], s[2:3], 1
	v_or3_b32 v16, v0, v1, v2
	ds_load_b128 v[0:3], v16
	ds_load_b128 v[4:7], v16 offset:128
	v_ashrrev_i32_e32 v9, 31, v8
	s_waitcnt lgkmcnt(0)
	s_add_u32 s2, s0, s2
	s_addc_u32 s3, s1, s3
	s_lshl_b32 s0, s14, 7
	s_delay_alu instid0(SALU_CYCLE_1) | instskip(SKIP_2) | instid1(SALU_CYCLE_1)
	s_ashr_i32 s1, s0, 31
	v_lshlrev_b64 v[9:10], 1, v[8:9]
	s_lshl_b64 s[0:1], s[0:1], 1
	s_add_u32 s0, s2, s0
	s_addc_u32 s1, s3, s1
	s_lshl_b32 s2, s34, 8
	v_add_co_u32 v30, vcc_lo, s0, v73
	v_add_nc_u32_e32 v11, s2, v8
	v_add_co_ci_u32_e32 v31, vcc_lo, s1, v74, vcc_lo
	s_delay_alu instid0(VALU_DEP_3) | instskip(NEXT) | instid1(VALU_DEP_3)
	v_add_co_u32 v9, vcc_lo, v30, v9
	v_add_nc_u32_e32 v8, s2, v11
	s_delay_alu instid0(VALU_DEP_3) | instskip(SKIP_1) | instid1(VALU_DEP_3)
	v_add_co_ci_u32_e32 v10, vcc_lo, v31, v10, vcc_lo
	v_ashrrev_i32_e32 v12, 31, v11
	v_add_nc_u32_e32 v13, s2, v8
	global_store_b128 v[9:10], v[0:3], off
	v_ashrrev_i32_e32 v9, 31, v8
	v_lshlrev_b64 v[11:12], 1, v[11:12]
	v_ashrrev_i32_e32 v14, 31, v13
	v_add_nc_u32_e32 v10, s2, v13
	s_delay_alu instid0(VALU_DEP_4) | instskip(NEXT) | instid1(VALU_DEP_4)
	v_lshlrev_b64 v[2:3], 1, v[8:9]
	v_add_co_u32 v0, vcc_lo, v30, v11
	s_delay_alu instid0(VALU_DEP_4)
	v_lshlrev_b64 v[8:9], 1, v[13:14]
	v_add_co_ci_u32_e32 v1, vcc_lo, v31, v12, vcc_lo
	v_ashrrev_i32_e32 v11, 31, v10
	v_add_co_u32 v22, vcc_lo, v30, v2
	v_add_nc_u32_e32 v20, s2, v10
	v_add_co_ci_u32_e32 v23, vcc_lo, v31, v3, vcc_lo
	v_add_co_u32 v24, vcc_lo, v30, v8
	global_store_b128 v[0:1], v[4:7], off
	v_add_co_ci_u32_e32 v25, vcc_lo, v31, v9, vcc_lo
	ds_load_b128 v[0:3], v16 offset:256
	ds_load_b128 v[4:7], v16 offset:384
	v_lshlrev_b64 v[26:27], 1, v[10:11]
	ds_load_b128 v[8:11], v16 offset:512
	ds_load_b128 v[12:15], v16 offset:640
	;; [unrolled: 1-line block ×3, first 2 shown]
	v_add_nc_u32_e32 v28, s2, v20
	v_ashrrev_i32_e32 v21, 31, v20
	v_add_co_u32 v26, vcc_lo, v30, v26
	s_delay_alu instid0(VALU_DEP_3) | instskip(NEXT) | instid1(VALU_DEP_3)
	v_ashrrev_i32_e32 v29, 31, v28
	v_lshlrev_b64 v[20:21], 1, v[20:21]
	v_add_co_ci_u32_e32 v27, vcc_lo, v31, v27, vcc_lo
	s_delay_alu instid0(VALU_DEP_3) | instskip(NEXT) | instid1(VALU_DEP_3)
	v_lshlrev_b64 v[28:29], 1, v[28:29]
	v_add_co_u32 v20, vcc_lo, v30, v20
	s_delay_alu instid0(VALU_DEP_4) | instskip(NEXT) | instid1(VALU_DEP_3)
	v_add_co_ci_u32_e32 v21, vcc_lo, v31, v21, vcc_lo
	v_add_co_u32 v28, vcc_lo, v30, v28
	s_delay_alu instid0(VALU_DEP_4)
	v_add_co_ci_u32_e32 v29, vcc_lo, v31, v29, vcc_lo
	s_waitcnt lgkmcnt(4)
	global_store_b128 v[22:23], v[0:3], off
	s_waitcnt lgkmcnt(3)
	global_store_b128 v[24:25], v[4:7], off
	;; [unrolled: 2-line block ×5, first 2 shown]
	s_nop 0
	s_sendmsg sendmsg(MSG_DEALLOC_VGPRS)
	s_endpgm
	.section	.rodata,"a",@progbits
	.p2align	6, 0x0
	.amdhsa_kernel _Z39paged_attention_ll4mi_QKV_mfma16_kernelIDF16_DF16_LN4vllm18Fp8KVCacheDataTypeE0EDF16_Li32ELi128ELi256ELb1ELi14EL8MFMAType0EEvPKT_PKT0_S8_ifPKiSA_SA_iPKfiiiPfSD_PS3_PT2_iSC_SC_
		.amdhsa_group_segment_fixed_size 17472
		.amdhsa_private_segment_fixed_size 0
		.amdhsa_kernarg_size 400
		.amdhsa_user_sgpr_count 13
		.amdhsa_user_sgpr_dispatch_ptr 0
		.amdhsa_user_sgpr_queue_ptr 0
		.amdhsa_user_sgpr_kernarg_segment_ptr 1
		.amdhsa_user_sgpr_dispatch_id 0
		.amdhsa_user_sgpr_private_segment_size 0
		.amdhsa_wavefront_size32 1
		.amdhsa_uses_dynamic_stack 0
		.amdhsa_enable_private_segment 0
		.amdhsa_system_sgpr_workgroup_id_x 1
		.amdhsa_system_sgpr_workgroup_id_y 1
		.amdhsa_system_sgpr_workgroup_id_z 1
		.amdhsa_system_sgpr_workgroup_info 0
		.amdhsa_system_vgpr_workitem_id 0
		.amdhsa_next_free_vgpr 172
		.amdhsa_next_free_sgpr 38
		.amdhsa_reserve_vcc 1
		.amdhsa_float_round_mode_32 0
		.amdhsa_float_round_mode_16_64 0
		.amdhsa_float_denorm_mode_32 3
		.amdhsa_float_denorm_mode_16_64 3
		.amdhsa_dx10_clamp 1
		.amdhsa_ieee_mode 1
		.amdhsa_fp16_overflow 0
		.amdhsa_workgroup_processor_mode 1
		.amdhsa_memory_ordered 1
		.amdhsa_forward_progress 0
		.amdhsa_shared_vgpr_count 0
		.amdhsa_exception_fp_ieee_invalid_op 0
		.amdhsa_exception_fp_denorm_src 0
		.amdhsa_exception_fp_ieee_div_zero 0
		.amdhsa_exception_fp_ieee_overflow 0
		.amdhsa_exception_fp_ieee_underflow 0
		.amdhsa_exception_fp_ieee_inexact 0
		.amdhsa_exception_int_div_zero 0
	.end_amdhsa_kernel
	.section	.text._Z39paged_attention_ll4mi_QKV_mfma16_kernelIDF16_DF16_LN4vllm18Fp8KVCacheDataTypeE0EDF16_Li32ELi128ELi256ELb1ELi14EL8MFMAType0EEvPKT_PKT0_S8_ifPKiSA_SA_iPKfiiiPfSD_PS3_PT2_iSC_SC_,"axG",@progbits,_Z39paged_attention_ll4mi_QKV_mfma16_kernelIDF16_DF16_LN4vllm18Fp8KVCacheDataTypeE0EDF16_Li32ELi128ELi256ELb1ELi14EL8MFMAType0EEvPKT_PKT0_S8_ifPKiSA_SA_iPKfiiiPfSD_PS3_PT2_iSC_SC_,comdat
.Lfunc_end359:
	.size	_Z39paged_attention_ll4mi_QKV_mfma16_kernelIDF16_DF16_LN4vllm18Fp8KVCacheDataTypeE0EDF16_Li32ELi128ELi256ELb1ELi14EL8MFMAType0EEvPKT_PKT0_S8_ifPKiSA_SA_iPKfiiiPfSD_PS3_PT2_iSC_SC_, .Lfunc_end359-_Z39paged_attention_ll4mi_QKV_mfma16_kernelIDF16_DF16_LN4vllm18Fp8KVCacheDataTypeE0EDF16_Li32ELi128ELi256ELb1ELi14EL8MFMAType0EEvPKT_PKT0_S8_ifPKiSA_SA_iPKfiiiPfSD_PS3_PT2_iSC_SC_
                                        ; -- End function
	.section	.AMDGPU.csdata,"",@progbits
; Kernel info:
; codeLenInByte = 7660
; NumSgprs: 40
; NumVgprs: 172
; ScratchSize: 0
; MemoryBound: 0
; FloatMode: 240
; IeeeMode: 1
; LDSByteSize: 17472 bytes/workgroup (compile time only)
; SGPRBlocks: 4
; VGPRBlocks: 21
; NumSGPRsForWavesPerEU: 40
; NumVGPRsForWavesPerEU: 172
; Occupancy: 8
; WaveLimiterHint : 1
; COMPUTE_PGM_RSRC2:SCRATCH_EN: 0
; COMPUTE_PGM_RSRC2:USER_SGPR: 13
; COMPUTE_PGM_RSRC2:TRAP_HANDLER: 0
; COMPUTE_PGM_RSRC2:TGID_X_EN: 1
; COMPUTE_PGM_RSRC2:TGID_Y_EN: 1
; COMPUTE_PGM_RSRC2:TGID_Z_EN: 1
; COMPUTE_PGM_RSRC2:TIDIG_COMP_CNT: 0
	.section	.text._Z39paged_attention_ll4mi_QKV_mfma16_kernelIDF16_DF16_LN4vllm18Fp8KVCacheDataTypeE0EDF16_Li32ELi128ELi256ELb1ELi15EL8MFMAType0EEvPKT_PKT0_S8_ifPKiSA_SA_iPKfiiiPfSD_PS3_PT2_iSC_SC_,"axG",@progbits,_Z39paged_attention_ll4mi_QKV_mfma16_kernelIDF16_DF16_LN4vllm18Fp8KVCacheDataTypeE0EDF16_Li32ELi128ELi256ELb1ELi15EL8MFMAType0EEvPKT_PKT0_S8_ifPKiSA_SA_iPKfiiiPfSD_PS3_PT2_iSC_SC_,comdat
	.protected	_Z39paged_attention_ll4mi_QKV_mfma16_kernelIDF16_DF16_LN4vllm18Fp8KVCacheDataTypeE0EDF16_Li32ELi128ELi256ELb1ELi15EL8MFMAType0EEvPKT_PKT0_S8_ifPKiSA_SA_iPKfiiiPfSD_PS3_PT2_iSC_SC_ ; -- Begin function _Z39paged_attention_ll4mi_QKV_mfma16_kernelIDF16_DF16_LN4vllm18Fp8KVCacheDataTypeE0EDF16_Li32ELi128ELi256ELb1ELi15EL8MFMAType0EEvPKT_PKT0_S8_ifPKiSA_SA_iPKfiiiPfSD_PS3_PT2_iSC_SC_
	.globl	_Z39paged_attention_ll4mi_QKV_mfma16_kernelIDF16_DF16_LN4vllm18Fp8KVCacheDataTypeE0EDF16_Li32ELi128ELi256ELb1ELi15EL8MFMAType0EEvPKT_PKT0_S8_ifPKiSA_SA_iPKfiiiPfSD_PS3_PT2_iSC_SC_
	.p2align	8
	.type	_Z39paged_attention_ll4mi_QKV_mfma16_kernelIDF16_DF16_LN4vllm18Fp8KVCacheDataTypeE0EDF16_Li32ELi128ELi256ELb1ELi15EL8MFMAType0EEvPKT_PKT0_S8_ifPKiSA_SA_iPKfiiiPfSD_PS3_PT2_iSC_SC_,@function
_Z39paged_attention_ll4mi_QKV_mfma16_kernelIDF16_DF16_LN4vllm18Fp8KVCacheDataTypeE0EDF16_Li32ELi128ELi256ELb1ELi15EL8MFMAType0EEvPKT_PKT0_S8_ifPKiSA_SA_iPKfiiiPfSD_PS3_PT2_iSC_SC_: ; @_Z39paged_attention_ll4mi_QKV_mfma16_kernelIDF16_DF16_LN4vllm18Fp8KVCacheDataTypeE0EDF16_Li32ELi128ELi256ELb1ELi15EL8MFMAType0EEvPKT_PKT0_S8_ifPKiSA_SA_iPKfiiiPfSD_PS3_PT2_iSC_SC_
; %bb.0:
	s_load_b64 s[2:3], s[0:1], 0x30
	s_mov_b32 s34, s13
	s_waitcnt lgkmcnt(0)
	s_cmp_lg_u64 s[2:3], 0
	s_cselect_b32 s6, -1, 0
	s_ashr_i32 s35, s13, 31
	s_cmp_eq_u64 s[2:3], 0
	s_cbranch_scc1 .LBB360_3
; %bb.1:
	s_lshl_b64 s[4:5], s[34:35], 2
	s_delay_alu instid0(SALU_CYCLE_1) | instskip(SKIP_4) | instid1(SALU_CYCLE_1)
	s_add_u32 s4, s2, s4
	s_addc_u32 s5, s3, s5
	s_load_b64 s[4:5], s[4:5], 0x0
	s_waitcnt lgkmcnt(0)
	s_sub_i32 s4, s5, s4
	s_cmp_eq_u32 s4, 1
	s_cselect_b32 s4, -1, 0
	s_delay_alu instid0(SALU_CYCLE_1)
	s_and_not1_b32 vcc_lo, exec_lo, s4
	s_cbranch_vccz .LBB360_4
.LBB360_2:
	s_nop 0
	s_sendmsg sendmsg(MSG_DEALLOC_VGPRS)
	s_endpgm
.LBB360_3:
.LBB360_4:
	s_load_b64 s[8:9], s[0:1], 0x28
	s_lshl_b64 s[4:5], s[34:35], 2
	s_waitcnt lgkmcnt(0)
	s_add_u32 s8, s8, s4
	s_addc_u32 s9, s9, s5
	s_lshl_b32 s12, s14, 8
	s_load_b32 s17, s[8:9], 0x0
	s_waitcnt lgkmcnt(0)
	s_cmp_ge_i32 s12, s17
	s_cbranch_scc1 .LBB360_2
; %bb.5:
	s_and_not1_b32 vcc_lo, exec_lo, s6
	s_cbranch_vccnz .LBB360_7
; %bb.6:
	s_add_u32 s2, s2, s4
	s_addc_u32 s3, s3, s5
	s_load_b32 s13, s[2:3], 0x0
	s_branch .LBB360_8
.LBB360_7:
	s_mov_b32 s13, s34
.LBB360_8:
	s_clause 0x2
	s_load_b128 s[8:11], s[0:1], 0x8
	s_load_b64 s[2:3], s[0:1], 0x20
	s_load_b128 s[4:7], s[0:1], 0x48
	v_lshrrev_b32_e32 v78, 5, v0
	v_bfe_u32 v75, v0, 4, 1
	v_and_b32_e32 v77, 15, v0
	s_waitcnt lgkmcnt(0)
	s_mov_b32 s7, exec_lo
	s_delay_alu instid0(VALU_DEP_2) | instskip(NEXT) | instid1(VALU_DEP_2)
	v_lshl_or_b32 v3, v78, 1, v75
	v_lshlrev_b32_e32 v1, 3, v77
	s_delay_alu instid0(VALU_DEP_2)
	v_cmpx_lt_u32_e32 14, v3
	s_xor_b32 s7, exec_lo, s7
; %bb.9:
	v_mov_b32_e32 v2, 0
                                        ; implicit-def: $vgpr3
; %bb.10:
	s_or_saveexec_b32 s7, s7
	v_and_b32_e32 v80, 31, v0
	v_and_b32_e32 v76, 1, v0
	s_mul_i32 s31, s15, 15
	s_xor_b32 exec_lo, exec_lo, s7
	s_cbranch_execz .LBB360_12
; %bb.11:
	s_load_b64 s[18:19], s[0:1], 0x0
	v_add_lshl_u32 v4, v3, s31, 7
	s_mul_hi_i32 s21, s13, s4
	s_mul_i32 s20, s13, s4
	v_lshlrev_b32_e32 v2, 1, v1
	s_lshl_b64 s[20:21], s[20:21], 1
	v_ashrrev_i32_e32 v5, 31, v4
	v_lshlrev_b32_e32 v3, 6, v3
	v_lshlrev_b32_e32 v8, 10, v76
	s_delay_alu instid0(VALU_DEP_3) | instskip(SKIP_3) | instid1(VALU_DEP_1)
	v_lshlrev_b64 v[4:5], 1, v[4:5]
	s_waitcnt lgkmcnt(0)
	s_add_u32 s4, s18, s20
	s_addc_u32 s13, s19, s21
	v_add_co_u32 v4, vcc_lo, s4, v4
	s_delay_alu instid0(VALU_DEP_2) | instskip(NEXT) | instid1(VALU_DEP_2)
	v_add_co_ci_u32_e32 v5, vcc_lo, s13, v5, vcc_lo
	v_add_co_u32 v4, vcc_lo, v4, v2
	s_delay_alu instid0(VALU_DEP_2) | instskip(SKIP_3) | instid1(VALU_DEP_1)
	v_add_co_ci_u32_e32 v5, vcc_lo, 0, v5, vcc_lo
	v_lshlrev_b32_e32 v2, 10, v77
	global_load_b128 v[4:7], v[4:5], off
	v_and_b32_e32 v2, 0x3800, v2
	v_or3_b32 v3, v2, v8, v3
	v_mov_b32_e32 v2, 0
	s_waitcnt vmcnt(0)
	ds_store_b128 v3, v[4:7]
.LBB360_12:
	s_or_b32 exec_lo, exec_lo, s7
	v_and_b32_e32 v3, 0xef, v0
	s_add_i32 s4, s17, 31
	s_clause 0x1
	s_load_b32 s7, s[0:1], 0x38
	s_load_b32 s33, s[0:1], 0x98
	s_ashr_i32 s13, s4, 31
	v_add_nc_u32_e32 v3, s12, v3
	s_lshr_b32 s13, s13, 27
	s_load_b32 s18, s[0:1], 0x1c
	s_add_i32 s4, s4, s13
	s_waitcnt lgkmcnt(0)
	v_ashrrev_i32_e32 v4, 31, v3
	v_cmp_gt_i32_e32 vcc_lo, s17, v3
	s_ashr_i32 s4, s4, 5
	s_barrier
	s_add_i32 s4, s4, -1
	v_lshrrev_b32_e32 v5, 27, v4
	v_or_b32_e32 v4, 16, v3
	buffer_gl0_inv
	v_lshlrev_b64 v[73:74], 1, v[1:2]
	v_lshlrev_b32_e32 v79, 6, v77
	v_add_nc_u32_e32 v6, v3, v5
	v_add_nc_u32_e32 v5, v4, v5
	s_mul_i32 s20, s34, s7
	s_delay_alu instid0(SALU_CYCLE_1) | instskip(NEXT) | instid1(VALU_DEP_2)
	s_ashr_i32 s21, s20, 31
	v_ashrrev_i32_e32 v6, 5, v6
	s_delay_alu instid0(VALU_DEP_2) | instskip(SKIP_1) | instid1(SALU_CYCLE_1)
	v_ashrrev_i32_e32 v5, 5, v5
	s_lshl_b64 s[20:21], s[20:21], 2
	s_add_u32 s13, s2, s20
	s_delay_alu instid0(VALU_DEP_2) | instskip(SKIP_3) | instid1(SALU_CYCLE_1)
	v_cndmask_b32_e32 v3, s4, v6, vcc_lo
	v_cmp_gt_i32_e32 vcc_lo, s17, v4
	s_addc_u32 s16, s3, s21
	s_mul_i32 s2, s15, s6
	s_ashr_i32 s3, s2, 31
	v_cndmask_b32_e32 v5, s4, v5, vcc_lo
	v_ashrrev_i32_e32 v4, 31, v3
	s_lshl_b64 s[2:3], s[2:3], 1
	s_delay_alu instid0(SALU_CYCLE_1) | instskip(NEXT) | instid1(VALU_DEP_2)
	s_add_u32 s15, s8, s2
	v_ashrrev_i32_e32 v6, 31, v5
	s_delay_alu instid0(VALU_DEP_2) | instskip(SKIP_2) | instid1(VALU_DEP_2)
	v_lshlrev_b64 v[3:4], 2, v[3:4]
	s_addc_u32 s19, s9, s3
	s_lshl_b32 s6, s14, 3
	v_lshlrev_b64 v[5:6], 2, v[5:6]
	s_ashr_i32 s7, s6, 31
	s_delay_alu instid0(VALU_DEP_2) | instskip(SKIP_1) | instid1(VALU_DEP_3)
	v_add_co_u32 v3, vcc_lo, s13, v3
	v_add_co_ci_u32_e32 v4, vcc_lo, s16, v4, vcc_lo
	v_add_co_u32 v5, vcc_lo, s13, v5
	s_delay_alu instid0(VALU_DEP_4)
	v_add_co_ci_u32_e32 v6, vcc_lo, s16, v6, vcc_lo
	s_lshl_b64 s[6:7], s[6:7], 2
	s_clause 0x1
	global_load_b32 v7, v[3:4], off
	global_load_b32 v8, v[5:6], off
	s_add_u32 s6, s13, s6
	s_addc_u32 s7, s16, s7
	s_or_b32 s8, s12, 32
	s_delay_alu instid0(SALU_CYCLE_1) | instskip(SKIP_2) | instid1(SALU_CYCLE_1)
	s_ashr_i32 s9, s8, 5
	s_cmp_lt_i32 s8, s17
	s_cselect_b32 s8, s9, s4
	s_ashr_i32 s9, s8, 31
	s_delay_alu instid0(SALU_CYCLE_1) | instskip(NEXT) | instid1(SALU_CYCLE_1)
	s_lshl_b64 s[8:9], s[8:9], 2
	s_add_u32 s8, s13, s8
	s_addc_u32 s9, s16, s9
	s_or_b32 s20, s12, 64
	s_delay_alu instid0(SALU_CYCLE_1) | instskip(SKIP_2) | instid1(SALU_CYCLE_1)
	s_ashr_i32 s21, s20, 5
	s_cmp_lt_i32 s20, s17
	s_cselect_b32 s20, s21, s4
	s_ashr_i32 s21, s20, 31
	s_delay_alu instid0(SALU_CYCLE_1) | instskip(NEXT) | instid1(SALU_CYCLE_1)
	s_lshl_b64 s[20:21], s[20:21], 2
	;; [unrolled: 10-line block ×5, first 2 shown]
	s_add_u32 s26, s13, s26
	s_addc_u32 s27, s16, s27
	s_clause 0x5
	s_load_b32 s28, s[6:7], 0x0
	s_load_b32 s29, s[8:9], 0x0
	;; [unrolled: 1-line block ×6, first 2 shown]
	s_mov_b32 s20, 0
	s_or_b32 s6, s12, 0xc0
	s_mov_b32 s21, s20
	s_mov_b32 s22, s20
	s_mov_b32 s23, s20
	s_mov_b32 s24, s20
	s_mov_b32 s25, s20
	s_mov_b32 s26, s20
	s_mov_b32 s27, s20
	s_ashr_i32 s7, s6, 5
	v_mov_b32_e32 v128, s27
	s_cmp_lt_i32 s6, s17
	v_mov_b32_e32 v127, s26
	s_cselect_b32 s6, s7, s4
	v_mov_b32_e32 v126, s25
	s_ashr_i32 s7, s6, 31
	v_mov_b32_e32 v125, s24
	s_lshl_b64 s[6:7], s[6:7], 2
	v_mov_b32_e32 v124, s23
	s_add_u32 s6, s13, s6
	s_addc_u32 s7, s16, s7
	v_mov_b32_e32 v123, s22
	v_mov_b32_e32 v121, s20
	s_waitcnt lgkmcnt(0)
	s_mul_hi_i32 s9, s28, s5
	s_mul_i32 s8, s28, s5
	s_mul_hi_i32 s37, s38, s5
	v_mov_b32_e32 v122, s21
	s_mul_hi_i32 s21, s29, s5
	s_mul_i32 s20, s29, s5
	s_mul_hi_i32 s25, s30, s5
	s_mul_i32 s24, s30, s5
	;; [unrolled: 2-line block ×3, first 2 shown]
	s_waitcnt vmcnt(1)
	v_mad_i64_i32 v[3:4], null, v7, s5, 0
	s_waitcnt vmcnt(0)
	v_mad_i64_i32 v[5:6], null, v8, s5, 0
	s_delay_alu instid0(VALU_DEP_2) | instskip(NEXT) | instid1(VALU_DEP_2)
	v_lshlrev_b64 v[3:4], 1, v[3:4]
	v_lshlrev_b64 v[1:2], 1, v[5:6]
	s_delay_alu instid0(VALU_DEP_2) | instskip(NEXT) | instid1(VALU_DEP_3)
	v_add_co_u32 v3, vcc_lo, s15, v3
	v_add_co_ci_u32_e32 v4, vcc_lo, s19, v4, vcc_lo
	s_delay_alu instid0(VALU_DEP_3) | instskip(NEXT) | instid1(VALU_DEP_4)
	v_add_co_u32 v1, vcc_lo, s15, v1
	v_add_co_ci_u32_e32 v2, vcc_lo, s19, v2, vcc_lo
	s_delay_alu instid0(VALU_DEP_4) | instskip(NEXT) | instid1(VALU_DEP_4)
	v_add_co_u32 v65, vcc_lo, v3, v73
	v_add_co_ci_u32_e32 v66, vcc_lo, v4, v74, vcc_lo
	s_delay_alu instid0(VALU_DEP_4) | instskip(NEXT) | instid1(VALU_DEP_4)
	v_add_co_u32 v67, vcc_lo, v1, v73
	v_add_co_ci_u32_e32 v68, vcc_lo, v2, v74, vcc_lo
	s_clause 0xf
	global_load_b128 v[1:4], v[65:66], off
	global_load_b128 v[5:8], v[65:66], off offset:512
	global_load_b128 v[9:12], v[67:68], off offset:256
	;; [unrolled: 1-line block ×15, first 2 shown]
	v_add_co_u32 v157, vcc_lo, 0x1000, v65
	v_add_co_ci_u32_e32 v158, vcc_lo, 0, v66, vcc_lo
	v_add_co_u32 v165, vcc_lo, 0x1000, v67
	v_add_co_ci_u32_e32 v166, vcc_lo, 0, v68, vcc_lo
	s_clause 0x7
	global_load_b128 v[81:84], v[157:158], off
	global_load_b128 v[85:88], v[157:158], off offset:512
	global_load_b128 v[89:92], v[165:166], off offset:256
	;; [unrolled: 1-line block ×7, first 2 shown]
	v_cmp_ne_u32_e32 vcc_lo, 15, v77
	s_or_b32 s15, s12, 0xe0
	s_delay_alu instid0(SALU_CYCLE_1) | instskip(SKIP_3) | instid1(SALU_CYCLE_1)
	s_ashr_i32 s19, s15, 5
	s_cmp_lt_i32 s15, s17
	v_cndmask_b32_e32 v65, 0, v77, vcc_lo
	s_cselect_b32 s22, s19, s4
	s_ashr_i32 s23, s22, 31
	s_delay_alu instid0(VALU_DEP_1)
	v_lshlrev_b32_e32 v169, 6, v65
	ds_load_b128 v[65:68], v169
	ds_load_b128 v[69:72], v169 offset:1024
	s_clause 0x1
	global_load_b128 v[113:116], v[157:158], off offset:2048
	global_load_b128 v[117:120], v[157:158], off offset:2560
	ds_load_b128 v[129:132], v169 offset:2048
	ds_load_b128 v[133:136], v169 offset:3072
	s_clause 0x5
	global_load_b128 v[145:148], v[165:166], off offset:2304
	global_load_b128 v[149:152], v[165:166], off offset:2816
	;; [unrolled: 1-line block ×6, first 2 shown]
	s_lshl_b64 s[22:23], s[22:23], 2
	s_delay_alu instid0(SALU_CYCLE_1) | instskip(SKIP_2) | instid1(SALU_CYCLE_1)
	s_add_u32 s22, s13, s22
	s_addc_u32 s23, s16, s23
	s_add_i32 s15, s12, 0x100
	s_ashr_i32 s19, s15, 5
	s_cmp_lt_i32 s15, s17
	s_cselect_b32 s28, s19, s4
	s_delay_alu instid0(SALU_CYCLE_1) | instskip(NEXT) | instid1(SALU_CYCLE_1)
	s_ashr_i32 s29, s28, 31
	s_lshl_b64 s[28:29], s[28:29], 2
	s_delay_alu instid0(SALU_CYCLE_1)
	s_add_u32 s28, s13, s28
	s_addc_u32 s29, s16, s29
	s_add_u32 s4, s10, s2
	s_addc_u32 s19, s11, s3
	s_lshl_b64 s[2:3], s[8:9], 1
	s_lshl_b64 s[8:9], s[20:21], 1
	;; [unrolled: 1-line block ×4, first 2 shown]
	s_waitcnt vmcnt(30) lgkmcnt(2)
	v_wmma_f32_16x16x16_f16 v[137:144], v[1:8], v[65:72], v[121:128]
	ds_load_b128 v[1:4], v169 offset:4096
	ds_load_b128 v[5:8], v169 offset:5120
	s_waitcnt vmcnt(28)
	v_wmma_f32_16x16x16_f16 v[121:128], v[9:16], v[65:72], v[121:128]
	ds_load_b128 v[9:12], v169 offset:6144
	ds_load_b128 v[13:16], v169 offset:7168
	s_waitcnt vmcnt(26) lgkmcnt(4)
	v_wmma_f32_16x16x16_f16 v[137:144], v[17:24], v[129:136], v[137:144]
	ds_load_b128 v[17:20], v169 offset:8192
	ds_load_b128 v[21:24], v169 offset:9216
	s_waitcnt vmcnt(24)
	v_wmma_f32_16x16x16_f16 v[121:128], v[25:32], v[129:136], v[121:128]
	v_lshl_or_b32 v25, v78, 10, v79
	ds_load_b128 v[129:132], v169 offset:10240
	ds_load_b128 v[133:136], v169 offset:11264
	s_clause 0x2
	s_load_b32 s15, s[6:7], 0x0
	s_load_b32 s13, s[22:23], 0x0
	;; [unrolled: 1-line block ×3, first 2 shown]
	s_mul_hi_i32 s7, s36, s5
	v_add_co_u32 v170, s4, s4, v25
	s_delay_alu instid0(VALU_DEP_1)
	v_add_co_ci_u32_e64 v171, null, s19, 0, s4
	s_mul_i32 s6, s36, s5
	s_mul_i32 s36, s38, s5
	s_lshl_b64 s[6:7], s[6:7], 1
	s_lshl_b64 s[22:23], s[36:37], 1
	s_waitcnt vmcnt(22) lgkmcnt(0)
	v_wmma_f32_16x16x16_f16 v[137:144], v[33:40], v[1:8], v[137:144]
	s_waitcnt vmcnt(20)
	v_wmma_f32_16x16x16_f16 v[121:128], v[41:48], v[1:8], v[121:128]
	v_add_co_u32 v1, vcc_lo, v170, s2
	v_add_co_ci_u32_e32 v2, vcc_lo, s3, v171, vcc_lo
	v_add_co_u32 v3, vcc_lo, v170, s8
	v_add_co_ci_u32_e32 v4, vcc_lo, s9, v171, vcc_lo
	v_add_co_u32 v5, vcc_lo, v170, s10
	v_add_co_ci_u32_e32 v6, vcc_lo, s11, v171, vcc_lo
	v_add_co_u32 v7, vcc_lo, v170, s20
	v_add_co_ci_u32_e32 v8, vcc_lo, s21, v171, vcc_lo
	v_add_co_u32 v25, vcc_lo, v170, s6
	s_mul_hi_i32 s25, s15, s5
	s_mul_i32 s24, s15, s5
	v_add_co_ci_u32_e32 v26, vcc_lo, s7, v171, vcc_lo
	v_add_co_u32 v27, vcc_lo, v170, s22
	s_lshl_b64 s[24:25], s[24:25], 1
	s_waitcnt vmcnt(18)
	v_wmma_f32_16x16x16_f16 v[137:144], v[49:56], v[9:16], v[137:144]
	s_waitcnt vmcnt(16)
	v_wmma_f32_16x16x16_f16 v[121:128], v[57:64], v[9:16], v[121:128]
	v_add_co_ci_u32_e32 v28, vcc_lo, s23, v171, vcc_lo
	s_mul_hi_i32 s3, s13, s5
	s_mul_i32 s2, s13, s5
	v_add_co_u32 v29, vcc_lo, v170, s24
	s_lshl_b64 s[2:3], s[2:3], 1
	v_add_co_ci_u32_e32 v30, vcc_lo, s25, v171, vcc_lo
	s_waitcnt vmcnt(14)
	v_wmma_f32_16x16x16_f16 v[137:144], v[81:88], v[17:24], v[137:144]
	s_waitcnt vmcnt(12)
	v_wmma_f32_16x16x16_f16 v[121:128], v[89:96], v[17:24], v[121:128]
	v_add_co_u32 v17, vcc_lo, v170, s2
	v_add_co_ci_u32_e32 v18, vcc_lo, s3, v171, vcc_lo
	s_mul_hi_i32 s3, s16, s5
	s_mul_i32 s2, s16, s5
	s_clause 0x5
	global_load_b128 v[65:68], v[1:2], off
	global_load_b128 v[69:72], v[1:2], off offset:16
	global_load_b128 v[57:60], v[3:4], off
	global_load_b128 v[61:64], v[3:4], off offset:16
	global_load_b128 v[49:52], v[5:6], off
	global_load_b128 v[53:56], v[5:6], off offset:16
	s_lshl_b64 s[2:3], s[2:3], 1
	s_clause 0x1
	global_load_b128 v[41:44], v[7:8], off
	global_load_b128 v[45:48], v[7:8], off offset:16
	v_add_co_u32 v21, vcc_lo, v170, s2
	v_add_co_ci_u32_e32 v22, vcc_lo, s3, v171, vcc_lo
	s_clause 0x9
	global_load_b128 v[9:12], v[25:26], off
	global_load_b128 v[13:16], v[25:26], off offset:16
	global_load_b128 v[1:4], v[27:28], off
	global_load_b128 v[5:8], v[27:28], off offset:16
	;; [unrolled: 2-line block ×5, first 2 shown]
	ds_load_b128 v[81:84], v169 offset:12288
	ds_load_b128 v[85:88], v169 offset:13312
	v_and_b32_e32 v89, 0xe0, v0
	s_waitcnt vmcnt(28)
	v_wmma_f32_16x16x16_f16 v[137:144], v[97:104], v[129:136], v[137:144]
	v_mbcnt_lo_u32_b32 v97, -1, 0
	s_waitcnt vmcnt(26)
	v_wmma_f32_16x16x16_f16 v[121:128], v[105:112], v[129:136], v[121:128]
	v_add_nc_u32_e32 v98, s12, v89
	ds_load_b128 v[89:92], v169 offset:14336
	ds_load_b128 v[93:96], v169 offset:15360
	v_xor_b32_e32 v99, 16, v97
	s_waitcnt vmcnt(0) lgkmcnt(0)
	s_barrier
	v_or_b32_e32 v98, v98, v75
	buffer_gl0_inv
	v_cmp_gt_i32_e32 vcc_lo, 32, v99
	v_or_b32_e32 v100, 4, v98
	v_or_b32_e32 v101, 22, v98
	v_or_b32_e32 v102, 24, v98
	v_or_b32_e32 v103, 26, v98
	v_wmma_f32_16x16x16_f16 v[137:144], v[113:120], v[81:88], v[137:144]
	v_wmma_f32_16x16x16_f16 v[121:128], v[145:152], v[81:88], v[121:128]
	v_or_b32_e32 v81, 6, v98
	v_or_b32_e32 v82, 8, v98
	;; [unrolled: 1-line block ×3, first 2 shown]
	v_cmp_gt_i32_e64 s3, s17, v100
	v_or_b32_e32 v84, 12, v98
	v_wmma_f32_16x16x16_f16 v[137:144], v[153:160], v[89:96], v[137:144]
	v_wmma_f32_16x16x16_f16 v[121:128], v[161:168], v[89:96], v[121:128]
	v_cndmask_b32_e32 v97, v97, v99, vcc_lo
	v_or_b32_e32 v99, 2, v98
	v_cmp_gt_i32_e32 vcc_lo, s17, v98
	v_dual_mul_f32 v95, s18, v138 :: v_dual_mul_f32 v96, s18, v137
	v_mul_f32_e32 v93, s18, v140
	s_delay_alu instid0(VALU_DEP_4)
	v_cmp_gt_i32_e64 s2, s17, v99
	v_mul_f32_e32 v94, s18, v139
	v_mul_f32_e32 v108, s18, v126
	v_cndmask_b32_e32 v96, 0xff7fffff, v96, vcc_lo
	v_cmp_gt_i32_e64 s4, s17, v81
	v_cndmask_b32_e64 v95, 0xff7fffff, v95, s2
	v_or_b32_e32 v85, 14, v98
	v_dual_mul_f32 v91, s18, v142 :: v_dual_mul_f32 v110, s18, v124
	v_mul_f32_e32 v92, s18, v141
	v_cndmask_b32_e64 v94, 0xff7fffff, v94, s3
	v_cndmask_b32_e64 v81, 0xff7fffff, v93, s4
	v_max3_f32 v93, v96, 0xff7fffff, v95
	v_cmp_gt_i32_e64 s5, s17, v82
	v_cmp_gt_i32_e64 s6, s17, v83
	v_or_b32_e32 v86, 16, v98
	v_or_b32_e32 v87, 18, v98
	v_dual_mul_f32 v89, s18, v144 :: v_dual_mul_f32 v112, s18, v122
	v_mul_f32_e32 v90, s18, v143
	v_cndmask_b32_e64 v82, 0xff7fffff, v92, s5
	v_cndmask_b32_e64 v83, 0xff7fffff, v91, s6
	v_max3_f32 v81, v93, v94, v81
	v_cmp_gt_i32_e64 s7, s17, v84
	v_cmp_gt_i32_e64 s8, s17, v85
	v_or_b32_e32 v88, 20, v98
	v_mul_f32_e32 v113, s18, v121
	v_max3_f32 v81, v81, v82, v83
	v_cndmask_b32_e64 v84, 0xff7fffff, v90, s7
	v_cndmask_b32_e64 v85, 0xff7fffff, v89, s8
	v_cmp_gt_i32_e64 s9, s17, v86
	v_cmp_gt_i32_e64 s10, s17, v87
	v_mul_f32_e32 v111, s18, v123
	v_cmp_gt_i32_e64 s11, s17, v88
	v_max3_f32 v81, v81, v84, v85
	v_cndmask_b32_e64 v82, 0xff7fffff, v113, s9
	v_cndmask_b32_e64 v83, 0xff7fffff, v112, s10
	v_cmp_gt_i32_e64 s12, s17, v101
	v_or_b32_e32 v104, 28, v98
	v_or_b32_e32 v105, 30, v98
	v_mul_f32_e32 v109, s18, v125
	v_cndmask_b32_e64 v84, 0xff7fffff, v111, s11
	v_cndmask_b32_e64 v85, 0xff7fffff, v110, s12
	v_max3_f32 v81, v81, v82, v83
	v_cmp_gt_i32_e64 s13, s17, v102
	v_cmp_gt_i32_e64 s15, s17, v103
	v_dual_mul_f32 v106, s18, v128 :: v_dual_mul_f32 v107, s18, v127
	s_delay_alu instid0(VALU_DEP_4) | instskip(NEXT) | instid1(VALU_DEP_4)
	v_max3_f32 v81, v81, v84, v85
	v_cndmask_b32_e64 v82, 0xff7fffff, v109, s13
	s_delay_alu instid0(VALU_DEP_4) | instskip(SKIP_2) | instid1(VALU_DEP_3)
	v_cndmask_b32_e64 v83, 0xff7fffff, v108, s15
	v_cmp_gt_i32_e64 s16, s17, v104
	v_cmp_gt_i32_e64 s17, s17, v105
	v_max3_f32 v81, v81, v82, v83
	s_delay_alu instid0(VALU_DEP_3) | instskip(NEXT) | instid1(VALU_DEP_3)
	v_cndmask_b32_e64 v84, 0xff7fffff, v107, s16
	v_cndmask_b32_e64 v85, 0xff7fffff, v106, s17
	v_lshlrev_b32_e32 v83, 2, v97
	s_delay_alu instid0(VALU_DEP_2) | instskip(SKIP_3) | instid1(VALU_DEP_1)
	v_max3_f32 v81, v81, v84, v85
	ds_bpermute_b32 v82, v83, v81
	s_waitcnt lgkmcnt(0)
	v_max_f32_e32 v82, v82, v82
	v_max_f32_e32 v81, v81, v82
	s_delay_alu instid0(VALU_DEP_1)
	v_fma_f32 v82, s18, v137, -v81
	v_fma_f32 v84, s18, v138, -v81
	;; [unrolled: 1-line block ×5, first 2 shown]
	v_mul_f32_e32 v82, 0x3fb8aa3b, v82
	s_delay_alu instid0(VALU_DEP_4) | instskip(NEXT) | instid1(VALU_DEP_3)
	v_dual_mul_f32 v84, 0x3fb8aa3b, v84 :: v_dual_mul_f32 v89, 0x3fb8aa3b, v87
	v_mul_f32_e32 v86, 0x3fb8aa3b, v86
	s_delay_alu instid0(VALU_DEP_3) | instskip(NEXT) | instid1(VALU_DEP_2)
	v_exp_f32_e32 v82, v82
	v_exp_f32_e32 v84, v84
	s_delay_alu instid0(VALU_DEP_2) | instskip(NEXT) | instid1(VALU_DEP_1)
	v_exp_f32_e32 v92, v89
	v_exp_f32_e32 v86, v86
	v_cndmask_b32_e32 v88, 0, v82, vcc_lo
	s_delay_alu instid0(TRANS32_DEP_3)
	v_cndmask_b32_e64 v87, 0, v84, s2
	s_waitcnt_depctr 0xfff
	v_cndmask_b32_e64 v92, 0, v92, s5
	v_cmp_gt_u32_e64 s2, 16, v80
	v_cndmask_b32_e64 v89, 0, v86, s4
	v_add_f32_e32 v84, 0, v88
	s_delay_alu instid0(VALU_DEP_1) | instskip(NEXT) | instid1(VALU_DEP_1)
	v_dual_add_f32 v84, v84, v87 :: v_dual_mul_f32 v85, 0x3fb8aa3b, v85
	v_exp_f32_e32 v85, v85
	s_waitcnt_depctr 0xfff
	v_cndmask_b32_e64 v90, 0, v85, s3
	s_delay_alu instid0(VALU_DEP_1) | instskip(NEXT) | instid1(VALU_DEP_1)
	v_add_f32_e32 v84, v84, v90
	v_add_f32_e32 v84, v84, v89
	v_fma_f32 v82, s18, v142, -v81
	v_fma_f32 v91, s18, v143, -v81
	;; [unrolled: 1-line block ×5, first 2 shown]
	s_delay_alu instid0(VALU_DEP_4) | instskip(SKIP_1) | instid1(VALU_DEP_4)
	v_dual_mul_f32 v82, 0x3fb8aa3b, v82 :: v_dual_mul_f32 v91, 0x3fb8aa3b, v91
	v_fma_f32 v96, s18, v124, -v81
	v_mul_f32_e32 v86, 0x3fb8aa3b, v86
	v_fma_f32 v99, s18, v127, -v81
	s_delay_alu instid0(VALU_DEP_4) | instskip(SKIP_3) | instid1(VALU_DEP_1)
	v_exp_f32_e32 v82, v82
	v_exp_f32_e32 v93, v91
	v_mul_f32_e32 v97, 0x3fb8aa3b, v96
	v_exp_f32_e32 v86, v86
	v_exp_f32_e32 v97, v97
	v_cndmask_b32_e64 v91, 0, v82, s6
	v_dual_add_f32 v82, v84, v92 :: v_dual_mul_f32 v85, 0x3fb8aa3b, v85
	v_fma_f32 v84, s18, v123, -v81
	v_mul_f32_e32 v95, 0x3fb8aa3b, v94
	s_delay_alu instid0(TRANS32_DEP_3) | instskip(NEXT) | instid1(VALU_DEP_4)
	v_cndmask_b32_e64 v94, 0, v93, s7
	v_add_f32_e32 v82, v82, v91
	v_exp_f32_e32 v85, v85
	v_mul_f32_e32 v84, 0x3fb8aa3b, v84
	v_cndmask_b32_e64 v96, 0, v86, s9
	v_exp_f32_e32 v95, v95
	v_add_f32_e32 v82, v82, v94
	v_fma_f32 v86, s18, v126, -v81
	v_exp_f32_e32 v84, v84
	v_cndmask_b32_e64 v97, 0, v97, s12
	s_delay_alu instid0(TRANS32_DEP_3) | instskip(SKIP_2) | instid1(TRANS32_DEP_2)
	v_cndmask_b32_e64 v93, 0, v85, s8
	v_fma_f32 v85, s18, v125, -v81
	v_mul_f32_e32 v86, 0x3fb8aa3b, v86
	v_cndmask_b32_e64 v95, 0, v95, s10
	s_waitcnt_depctr 0xfff
	v_cndmask_b32_e64 v98, 0, v84, s11
	v_mul_f32_e32 v84, 0x3fb8aa3b, v99
	v_fma_f32 v99, s18, v128, -v81
	v_add_f32_e32 v82, v82, v93
	v_mul_f32_e32 v85, 0x3fb8aa3b, v85
	v_exp_f32_e32 v86, v86
	v_exp_f32_e32 v84, v84
	s_delay_alu instid0(VALU_DEP_1)
	v_exp_f32_e32 v85, v85
	s_waitcnt_depctr 0xfff
	v_cndmask_b32_e64 v102, 0, v84, s16
	v_cndmask_b32_e64 v100, 0, v85, s13
	v_dual_mul_f32 v85, 0x3fb8aa3b, v99 :: v_dual_add_f32 v82, v82, v96
	v_cndmask_b32_e64 v99, 0, v86, s15
	s_delay_alu instid0(VALU_DEP_2) | instskip(NEXT) | instid1(VALU_DEP_2)
	v_exp_f32_e32 v85, v85
	v_add_f32_e32 v82, v82, v95
	s_delay_alu instid0(VALU_DEP_1) | instskip(SKIP_3) | instid1(VALU_DEP_1)
	v_add_f32_e32 v82, v82, v98
	s_waitcnt_depctr 0xfff
	v_cndmask_b32_e64 v101, 0, v85, s17
	v_add_f32_e32 v82, v82, v97
	v_add_f32_e32 v82, v82, v100
	s_delay_alu instid0(VALU_DEP_1) | instskip(NEXT) | instid1(VALU_DEP_1)
	v_add_f32_e32 v82, v82, v99
	v_add_f32_e32 v82, v82, v102
	s_delay_alu instid0(VALU_DEP_1)
	v_add_f32_e32 v82, v82, v101
	ds_bpermute_b32 v83, v83, v82
	s_and_saveexec_b32 s3, s2
	s_cbranch_execz .LBB360_14
; %bb.13:
	v_mul_u32_u24_e32 v80, 0x44, v78
	s_waitcnt lgkmcnt(0)
	v_add_f32_e32 v82, v82, v83
	s_delay_alu instid0(VALU_DEP_2) | instskip(NEXT) | instid1(VALU_DEP_1)
	v_lshl_add_u32 v80, v77, 2, v80
	v_add_nc_u32_e32 v80, 0x4000, v80
	ds_store_2addr_b32 v80, v81, v82 offset1:136
.LBB360_14:
	s_or_b32 exec_lo, exec_lo, s3
	v_lshlrev_b32_e32 v80, 2, v77
	s_load_b32 s35, s[0:1], 0x94
	s_waitcnt lgkmcnt(0)
	s_barrier
	buffer_gl0_inv
	v_add_nc_u32_e32 v84, 0x4000, v80
	v_cmp_eq_u32_e32 vcc_lo, 1, v78
	v_cmp_eq_u32_e64 s3, 2, v78
	v_cmp_eq_u32_e64 s4, 3, v78
	;; [unrolled: 1-line block ×3, first 2 shown]
	ds_load_2addr_b32 v[80:81], v84 offset1:17
	ds_load_2addr_b32 v[82:83], v84 offset0:34 offset1:51
	ds_load_2addr_b32 v[103:104], v84 offset0:68 offset1:85
	;; [unrolled: 1-line block ×3, first 2 shown]
	v_cmp_eq_u32_e64 s6, 7, v78
	s_waitcnt lgkmcnt(3)
	v_max3_f32 v85, v80, 0xff7fffff, v81
	s_waitcnt lgkmcnt(2)
	s_delay_alu instid0(VALU_DEP_1) | instskip(SKIP_1) | instid1(VALU_DEP_1)
	v_max3_f32 v85, v85, v82, v83
	s_waitcnt lgkmcnt(1)
	v_max3_f32 v85, v85, v103, v104
	s_waitcnt lgkmcnt(0)
	s_delay_alu instid0(VALU_DEP_1) | instskip(NEXT) | instid1(VALU_DEP_1)
	v_max3_f32 v85, v85, v105, v106
	v_sub_f32_e32 v103, v103, v85
	ds_load_2addr_b32 v[107:108], v84 offset0:136 offset1:153
	v_sub_f32_e32 v80, v80, v85
	v_dual_sub_f32 v110, v83, v85 :: v_dual_mul_f32 v113, 0x3fb8aa3b, v103
	s_delay_alu instid0(VALU_DEP_2) | instskip(SKIP_3) | instid1(VALU_DEP_1)
	v_dual_sub_f32 v86, v81, v85 :: v_dual_mul_f32 v109, 0x3fb8aa3b, v80
	ds_load_2addr_b32 v[80:81], v84 offset0:170 offset1:187
	v_mul_f32_e32 v86, 0x3fb8aa3b, v86
	v_exp_f32_e32 v109, v109
	v_exp_f32_e32 v112, v86
	v_mul_f32_e32 v110, 0x3fb8aa3b, v110
	s_waitcnt lgkmcnt(1)
	s_waitcnt_depctr 0xfff
	v_fma_f32 v86, v109, v107, 0
	v_sub_f32_e32 v107, v104, v85
	v_sub_f32_e32 v82, v82, v85
	v_exp_f32_e32 v110, v110
	ds_load_2addr_b32 v[103:104], v84 offset0:238 offset1:255
	v_dual_fmac_f32 v86, v112, v108 :: v_dual_mul_f32 v111, 0x3fb8aa3b, v82
	ds_load_2addr_b32 v[82:83], v84 offset0:204 offset1:221
	v_dual_sub_f32 v84, v105, v85 :: v_dual_mul_f32 v105, 0x3fb8aa3b, v107
	v_exp_f32_e32 v107, v113
	v_exp_f32_e32 v111, v111
	s_waitcnt lgkmcnt(0)
	s_delay_alu instid0(VALU_DEP_1)
	v_mul_f32_e32 v84, 0x3fb8aa3b, v84
	v_exp_f32_e32 v105, v105
	s_barrier
	buffer_gl0_inv
	v_fmac_f32_e32 v86, v111, v80
	v_sub_f32_e32 v80, v106, v85
	v_exp_f32_e32 v106, v84
	s_delay_alu instid0(VALU_DEP_2) | instskip(NEXT) | instid1(VALU_DEP_2)
	v_fmac_f32_e32 v86, v110, v81
	v_mul_f32_e32 v80, 0x3fb8aa3b, v80
	s_delay_alu instid0(VALU_DEP_2) | instskip(NEXT) | instid1(VALU_DEP_2)
	v_dual_cndmask_b32 v81, v109, v112 :: v_dual_fmac_f32 v86, v107, v82
	v_exp_f32_e32 v108, v80
	s_delay_alu instid0(VALU_DEP_1) | instskip(SKIP_2) | instid1(VALU_DEP_1)
	v_fmac_f32_e32 v86, v105, v83
	s_waitcnt_depctr 0xfff
	v_fmac_f32_e32 v86, v106, v103
	v_fmac_f32_e32 v86, v108, v104
	s_delay_alu instid0(VALU_DEP_1) | instskip(NEXT) | instid1(VALU_DEP_1)
	v_add_f32_e32 v103, 0x358637bd, v86
	v_div_scale_f32 v104, null, v103, v103, 1.0
	v_div_scale_f32 v109, vcc_lo, 1.0, v103, 1.0
	s_delay_alu instid0(VALU_DEP_2) | instskip(SKIP_2) | instid1(VALU_DEP_1)
	v_rcp_f32_e32 v113, v104
	s_waitcnt_depctr 0xfff
	v_fma_f32 v80, -v104, v113, 1.0
	v_fmac_f32_e32 v113, v80, v113
	v_cndmask_b32_e64 v80, v81, v111, s3
	v_cmp_eq_u32_e64 s3, 4, v78
	v_lshl_or_b32 v81, v78, 11, v79
	s_delay_alu instid0(VALU_DEP_4) | instskip(NEXT) | instid1(VALU_DEP_4)
	v_mul_f32_e32 v111, v109, v113
	v_cndmask_b32_e64 v82, v80, v110, s4
	v_cmp_eq_u32_e64 s4, 6, v78
	s_delay_alu instid0(VALU_DEP_4) | instskip(SKIP_3) | instid1(VALU_DEP_3)
	v_lshl_or_b32 v78, v75, 4, v81
	v_lshlrev_b32_e32 v80, 2, v75
	v_fma_f32 v83, -v104, v111, v109
	v_cndmask_b32_e64 v84, v82, v107, s3
	v_or_b32_e32 v82, 1, v80
	s_delay_alu instid0(VALU_DEP_3) | instskip(NEXT) | instid1(VALU_DEP_3)
	v_fmac_f32_e32 v111, v83, v113
	v_cndmask_b32_e64 v105, v84, v105, s5
	v_or_b32_e32 v84, 2, v80
	v_or_b32_e32 v83, 3, v80
	v_cmp_eq_u32_e64 s3, 1, v80
	v_fma_f32 v104, -v104, v111, v109
	v_cndmask_b32_e64 v105, v105, v106, s4
	v_cmp_eq_u32_e64 s9, 1, v82
	v_cmp_eq_u32_e64 s10, 1, v84
	;; [unrolled: 1-line block ×3, first 2 shown]
	v_div_fmas_f32 v104, v104, v113, v111
	v_cndmask_b32_e64 v105, v105, v108, s6
	v_cmp_eq_u32_e32 vcc_lo, 2, v80
	v_cmp_eq_u32_e64 s12, 2, v82
	v_cmp_eq_u32_e64 s15, 2, v84
	v_div_fixup_f32 v103, v104, v103, 1.0
	v_cmp_eq_u32_e64 s16, 2, v83
	v_cmp_eq_u32_e64 s18, 3, v83
	;; [unrolled: 1-line block ×4, first 2 shown]
	v_mul_f32_e32 v111, v105, v103
	v_cmp_eq_u32_e64 s17, 3, v84
	v_cmp_eq_u32_e64 s22, 4, v83
	;; [unrolled: 1-line block ×4, first 2 shown]
	v_fma_mixlo_f16 v103, v111, v88, 0
	v_fma_mixlo_f16 v104, v111, v90, 0
	;; [unrolled: 1-line block ×8, first 2 shown]
	v_fma_mixhi_f16 v103, v111, v87, 0
	v_fma_mixhi_f16 v104, v111, v89, 0
	;; [unrolled: 1-line block ×8, first 2 shown]
	ds_store_b128 v78, v[103:106]
	ds_store_b128 v78, v[107:110] offset:1024
	s_waitcnt lgkmcnt(0)
	s_barrier
	buffer_gl0_inv
	ds_load_b128 v[87:90], v81
	ds_load_b128 v[91:94], v81 offset:16
	ds_load_b128 v[95:98], v81 offset:1024
	;; [unrolled: 1-line block ×3, first 2 shown]
	v_cmp_eq_u32_e64 s21, 4, v84
	v_cmp_eq_u32_e64 s24, 5, v83
	;; [unrolled: 1-line block ×13, first 2 shown]
	s_waitcnt lgkmcnt(3)
	v_lshrrev_b32_e32 v103, 16, v87
	s_waitcnt lgkmcnt(2)
	v_lshrrev_b32_e32 v107, 16, v91
	s_waitcnt lgkmcnt(1)
	v_lshrrev_b32_e32 v111, 16, v95
	s_waitcnt lgkmcnt(0)
	v_lshrrev_b32_e32 v115, 16, v99
	v_lshrrev_b32_e32 v104, 16, v88
	v_cndmask_b32_e64 v119, v87, v103, s3
	v_cndmask_b32_e64 v120, v91, v107, s3
	;; [unrolled: 1-line block ×8, first 2 shown]
	v_lshrrev_b32_e32 v108, 16, v92
	v_cndmask_b32_e64 v103, v95, v111, s3
	v_cndmask_b32_e64 v107, v99, v115, s3
	;; [unrolled: 1-line block ×5, first 2 shown]
	v_cndmask_b32_e32 v111, v119, v88, vcc_lo
	v_cndmask_b32_e64 v119, v121, v88, s12
	v_cndmask_b32_e64 v121, v123, v88, s15
	;; [unrolled: 1-line block ×4, first 2 shown]
	v_lshrrev_b32_e32 v112, 16, v96
	v_lshrrev_b32_e32 v116, 16, v100
	v_cndmask_b32_e64 v126, v99, v115, s9
	v_cndmask_b32_e64 v128, v99, v115, s10
	;; [unrolled: 1-line block ×3, first 2 shown]
	v_cndmask_b32_e32 v115, v120, v92, vcc_lo
	v_cndmask_b32_e64 v120, v122, v92, s12
	v_cndmask_b32_e64 v122, v124, v92, s15
	v_cndmask_b32_e32 v91, v103, v96, vcc_lo
	v_cndmask_b32_e32 v92, v107, v100, vcc_lo
	v_cndmask_b32_e64 v103, v125, v96, s12
	v_cndmask_b32_e64 v87, v87, v104, s18
	;; [unrolled: 1-line block ×3, first 2 shown]
	v_lshrrev_b32_e32 v105, 16, v89
	v_lshrrev_b32_e32 v109, 16, v93
	v_cndmask_b32_e64 v107, v127, v96, s15
	v_cndmask_b32_e64 v95, v95, v96, s16
	;; [unrolled: 1-line block ×14, first 2 shown]
	v_lshrrev_b32_e32 v113, 16, v97
	v_cndmask_b32_e64 v99, v99, v89, s5
	v_cndmask_b32_e64 v104, v111, v93, s5
	v_cndmask_b32_e64 v108, v115, v89, s19
	v_cndmask_b32_e64 v111, v119, v93, s19
	v_cndmask_b32_e64 v115, v120, v89, s21
	v_cndmask_b32_e64 v119, v121, v93, s21
	v_cndmask_b32_e64 v89, v91, v97, s5
	v_cndmask_b32_e64 v91, v92, v101, s5
	v_cndmask_b32_e64 v92, v103, v97, s19
	v_cndmask_b32_e64 v87, v87, v105, s24
	v_cndmask_b32_e64 v88, v88, v109, s24
	v_lshrrev_b32_e32 v106, 16, v90
	v_lshrrev_b32_e32 v110, 16, v94
	v_cndmask_b32_e64 v93, v99, v105, s6
	v_cndmask_b32_e64 v99, v104, v109, s6
	;; [unrolled: 1-line block ×9, first 2 shown]
	v_lshrrev_b32_e32 v114, 16, v98
	v_cndmask_b32_e64 v89, v89, v113, s6
	v_cndmask_b32_e64 v93, v93, v90, s7
	;; [unrolled: 1-line block ×19, first 2 shown]
	v_perm_b32 v90, v88, v87, 0x5040100
	v_cndmask_b32_e64 v87, v126, v100, s12
	v_cndmask_b32_e64 v105, v89, v114, s8
	v_perm_b32 v89, v103, v99, 0x5040100
	v_perm_b32 v88, v104, v94, 0x5040100
	v_cndmask_b32_e64 v94, v107, v112, s17
	v_cndmask_b32_e64 v95, v95, v112, s18
	;; [unrolled: 1-line block ×5, first 2 shown]
	v_lshrrev_b32_e32 v117, 16, v101
	v_cndmask_b32_e64 v94, v94, v97, s21
	v_cndmask_b32_e64 v95, v95, v97, s22
	;; [unrolled: 1-line block ×11, first 2 shown]
	v_lshrrev_b32_e32 v118, 16, v102
	v_cndmask_b32_e64 v91, v91, v102, s7
	v_cndmask_b32_e64 v94, v94, v98, s26
	;; [unrolled: 1-line block ×12, first 2 shown]
	v_perm_b32 v87, v93, v92, 0x5040100
	v_perm_b32 v94, v95, v94, 0x5040100
	;; [unrolled: 1-line block ×5, first 2 shown]
	s_mul_i32 s7, s33, 15
	s_mov_b32 s3, exec_lo
	ds_store_b128 v78, v[87:90]
	ds_store_b128 v78, v[91:94] offset:1024
	v_cmpx_gt_u32_e32 15, v0
	s_cbranch_execz .LBB360_16
; %bb.15:
	s_mul_i32 s4, s7, s34
	s_load_b128 s[8:11], s[0:1], 0x58
	v_add3_u32 v77, s4, s31, v77
	s_delay_alu instid0(VALU_DEP_1) | instskip(NEXT) | instid1(VALU_DEP_1)
	v_mad_u64_u32 v[87:88], null, v77, s35, s[14:15]
	v_ashrrev_i32_e32 v88, 31, v87
	s_delay_alu instid0(VALU_DEP_1) | instskip(SKIP_1) | instid1(VALU_DEP_1)
	v_lshlrev_b64 v[87:88], 2, v[87:88]
	s_waitcnt lgkmcnt(0)
	v_add_co_u32 v89, vcc_lo, s10, v87
	s_delay_alu instid0(VALU_DEP_2)
	v_add_co_ci_u32_e32 v90, vcc_lo, s11, v88, vcc_lo
	v_add_co_u32 v87, vcc_lo, s8, v87
	v_add_co_ci_u32_e32 v88, vcc_lo, s9, v88, vcc_lo
	global_store_b32 v[89:90], v85, off
	global_store_b32 v[87:88], v86, off
.LBB360_16:
	s_or_b32 exec_lo, exec_lo, s3
	s_waitcnt lgkmcnt(0)
	s_waitcnt_vscnt null, 0x0
	s_barrier
	buffer_gl0_inv
	ds_load_b128 v[93:96], v79
	ds_load_b128 v[97:100], v79 offset:16
	ds_load_b128 v[105:108], v79 offset:1040
	;; [unrolled: 1-line block ×5, first 2 shown]
	v_cmp_eq_u32_e32 vcc_lo, 1, v84
	v_mov_b32_e32 v85, 0
	ds_load_b128 v[121:124], v79 offset:3088
	ds_load_b128 v[117:120], v79 offset:3072
	;; [unrolled: 1-line block ×4, first 2 shown]
	v_cmp_eq_u32_e64 s3, 1, v80
	v_cmp_eq_u32_e64 s4, 1, v83
	;; [unrolled: 1-line block ×3, first 2 shown]
	v_mov_b32_e32 v86, v85
	v_mov_b32_e32 v87, v85
	v_mov_b32_e32 v88, v85
	v_mov_b32_e32 v89, v85
	v_mov_b32_e32 v90, v85
	v_mov_b32_e32 v91, v85
	v_mov_b32_e32 v92, v85
	v_cmp_eq_u32_e64 s6, 2, v80
	s_waitcnt lgkmcnt(8)
	s_delay_alu instid0(VALU_DEP_2)
	v_wmma_f32_16x16x16_f16 v[85:92], v[65:72], v[93:100], v[85:92]
	ds_load_b128 v[69:72], v79 offset:5136
	ds_load_b128 v[65:68], v79 offset:5120
	;; [unrolled: 1-line block ×4, first 2 shown]
	s_waitcnt lgkmcnt(10)
	v_wmma_f32_16x16x16_f16 v[85:92], v[57:64], v[101:108], v[85:92]
	s_waitcnt lgkmcnt(8)
	s_delay_alu instid0(VALU_DEP_1)
	v_wmma_f32_16x16x16_f16 v[85:92], v[57:64], v[109:116], v[85:92]
	ds_load_b128 v[61:64], v79 offset:7184
	ds_load_b128 v[57:60], v79 offset:7168
	;; [unrolled: 1-line block ×4, first 2 shown]
	s_waitcnt lgkmcnt(10)
	v_wmma_f32_16x16x16_f16 v[85:92], v[49:56], v[117:124], v[85:92]
	s_waitcnt lgkmcnt(8)
	s_delay_alu instid0(VALU_DEP_1)
	v_wmma_f32_16x16x16_f16 v[85:92], v[49:56], v[125:132], v[85:92]
	ds_load_b128 v[53:56], v79 offset:9232
	ds_load_b128 v[49:52], v79 offset:9216
	s_waitcnt lgkmcnt(8)
	v_wmma_f32_16x16x16_f16 v[85:92], v[41:48], v[65:72], v[85:92]
	ds_load_b128 v[69:72], v79 offset:10256
	ds_load_b128 v[65:68], v79 offset:10240
	s_waitcnt lgkmcnt(8)
	v_wmma_f32_16x16x16_f16 v[85:92], v[41:48], v[93:100], v[85:92]
	ds_load_b128 v[45:48], v79 offset:11280
	ds_load_b128 v[41:44], v79 offset:11264
	s_waitcnt lgkmcnt(8)
	v_wmma_f32_16x16x16_f16 v[85:92], v[9:16], v[57:64], v[85:92]
	ds_load_b128 v[61:64], v79 offset:12304
	ds_load_b128 v[57:60], v79 offset:12288
	s_waitcnt lgkmcnt(8)
	v_wmma_f32_16x16x16_f16 v[85:92], v[9:16], v[101:108], v[85:92]
	ds_load_b128 v[13:16], v79 offset:13328
	ds_load_b128 v[9:12], v79 offset:13312
	s_waitcnt lgkmcnt(8)
	v_wmma_f32_16x16x16_f16 v[85:92], v[1:8], v[49:56], v[85:92]
	ds_load_b128 v[53:56], v79 offset:14352
	ds_load_b128 v[49:52], v79 offset:14336
	s_waitcnt lgkmcnt(8)
	v_wmma_f32_16x16x16_f16 v[85:92], v[1:8], v[65:72], v[85:92]
	ds_load_b128 v[5:8], v79 offset:15376
	ds_load_b128 v[1:4], v79 offset:15360
	s_waitcnt lgkmcnt(0)
	s_barrier
	buffer_gl0_inv
	v_wmma_f32_16x16x16_f16 v[85:92], v[33:40], v[41:48], v[85:92]
	s_delay_alu instid0(VALU_DEP_1) | instskip(NEXT) | instid1(VALU_DEP_1)
	v_wmma_f32_16x16x16_f16 v[85:92], v[33:40], v[57:64], v[85:92]
	v_wmma_f32_16x16x16_f16 v[85:92], v[25:32], v[9:16], v[85:92]
	s_delay_alu instid0(VALU_DEP_1) | instskip(NEXT) | instid1(VALU_DEP_1)
	v_wmma_f32_16x16x16_f16 v[85:92], v[25:32], v[49:56], v[85:92]
	v_wmma_f32_16x16x16_f16 v[85:92], v[17:24], v[1:8], v[85:92]
	s_delay_alu instid0(VALU_DEP_1) | instskip(NEXT) | instid1(VALU_DEP_2)
	v_cvt_f16_f32_e32 v1, v85
	v_cvt_f16_f32_e32 v2, v86
	s_delay_alu instid0(VALU_DEP_3) | instskip(NEXT) | instid1(VALU_DEP_4)
	v_cvt_f16_f32_e32 v3, v87
	v_cvt_f16_f32_e32 v4, v88
	v_cvt_f16_f32_e32 v5, v89
	v_cvt_f16_f32_e32 v6, v90
	v_cvt_f16_f32_e32 v7, v91
	v_cvt_f16_f32_e32 v8, v92
	v_pack_b32_f16 v1, v1, v2
	v_pack_b32_f16 v2, v3, v4
	;; [unrolled: 1-line block ×3, first 2 shown]
	s_delay_alu instid0(VALU_DEP_4)
	v_pack_b32_f16 v4, v7, v8
	ds_store_b128 v78, v[1:4]
	s_waitcnt lgkmcnt(0)
	s_barrier
	buffer_gl0_inv
	ds_load_b128 v[1:4], v81
	ds_load_b128 v[5:8], v81 offset:16
	s_waitcnt lgkmcnt(1)
	v_lshrrev_b32_e32 v9, 16, v1
	s_waitcnt lgkmcnt(0)
	v_lshrrev_b32_e32 v13, 16, v5
	v_lshrrev_b32_e32 v15, 16, v7
	;; [unrolled: 1-line block ×4, first 2 shown]
	v_cndmask_b32_e64 v17, v1, v9, s3
	v_cndmask_b32_e64 v18, v5, v13, s3
	;; [unrolled: 1-line block ×3, first 2 shown]
	v_cmp_eq_u32_e64 s3, 2, v82
	v_cndmask_b32_e64 v20, v5, v13, s5
	v_cndmask_b32_e32 v21, v1, v9, vcc_lo
	v_cndmask_b32_e32 v22, v5, v13, vcc_lo
	v_cndmask_b32_e64 v1, v1, v9, s4
	v_cndmask_b32_e64 v5, v5, v13, s4
	v_cmp_eq_u32_e32 vcc_lo, 2, v84
	v_cmp_eq_u32_e64 s4, 2, v83
	v_cndmask_b32_e64 v9, v17, v2, s6
	v_cndmask_b32_e64 v13, v18, v6, s6
	;; [unrolled: 1-line block ×4, first 2 shown]
	v_cndmask_b32_e32 v19, v21, v2, vcc_lo
	v_cmp_eq_u32_e64 s3, 3, v84
	v_cndmask_b32_e32 v20, v22, v6, vcc_lo
	v_cndmask_b32_e64 v1, v1, v2, s4
	v_cmp_eq_u32_e32 vcc_lo, 3, v83
	v_cmp_eq_u32_e64 s5, 3, v80
	v_cndmask_b32_e64 v2, v5, v6, s4
	v_cmp_eq_u32_e64 s4, 3, v82
	v_lshrrev_b32_e32 v16, 16, v8
	v_cmp_eq_u32_e64 s6, 4, v80
	v_cndmask_b32_e64 v5, v9, v10, s5
	v_cndmask_b32_e64 v6, v13, v14, s5
	;; [unrolled: 1-line block ×3, first 2 shown]
	v_cmp_eq_u32_e64 s5, 4, v82
	v_cndmask_b32_e64 v13, v18, v14, s4
	v_cndmask_b32_e64 v17, v19, v10, s3
	;; [unrolled: 1-line block ×3, first 2 shown]
	v_cndmask_b32_e32 v1, v1, v10, vcc_lo
	v_cndmask_b32_e32 v2, v2, v14, vcc_lo
	v_cmp_eq_u32_e32 vcc_lo, 4, v84
	v_cmp_eq_u32_e64 s4, 4, v83
	v_lshrrev_b32_e32 v11, 16, v3
	v_cndmask_b32_e64 v5, v5, v3, s6
	v_cndmask_b32_e64 v6, v6, v7, s6
	v_cndmask_b32_e64 v9, v9, v3, s5
	v_cndmask_b32_e64 v10, v13, v7, s5
	v_cndmask_b32_e32 v13, v17, v3, vcc_lo
	v_cmp_eq_u32_e64 s3, 5, v84
	v_cndmask_b32_e32 v14, v18, v7, vcc_lo
	v_cndmask_b32_e64 v1, v1, v3, s4
	v_cmp_eq_u32_e32 vcc_lo, 5, v83
	v_cmp_eq_u32_e64 s5, 5, v80
	v_cndmask_b32_e64 v2, v2, v7, s4
	v_cmp_eq_u32_e64 s4, 5, v82
	v_cmp_eq_u32_e64 s6, 6, v80
	v_cndmask_b32_e32 v1, v1, v11, vcc_lo
	v_cndmask_b32_e64 v3, v5, v11, s5
	v_cndmask_b32_e64 v5, v6, v15, s5
	;; [unrolled: 1-line block ×3, first 2 shown]
	v_cmp_eq_u32_e64 s5, 6, v82
	v_cndmask_b32_e64 v7, v10, v15, s4
	v_cndmask_b32_e64 v9, v13, v11, s3
	;; [unrolled: 1-line block ×3, first 2 shown]
	v_cndmask_b32_e32 v2, v2, v15, vcc_lo
	v_cmp_eq_u32_e32 vcc_lo, 6, v84
	v_cmp_eq_u32_e64 s3, 6, v83
	v_lshrrev_b32_e32 v12, 16, v4
	v_cndmask_b32_e64 v3, v3, v4, s6
	v_cndmask_b32_e64 v5, v5, v8, s6
	;; [unrolled: 1-line block ×4, first 2 shown]
	v_cndmask_b32_e32 v9, v9, v4, vcc_lo
	v_cmp_eq_u32_e64 s4, 7, v84
	v_cndmask_b32_e32 v10, v10, v8, vcc_lo
	v_cndmask_b32_e64 v1, v1, v4, s3
	v_cmp_eq_u32_e32 vcc_lo, 7, v83
	v_cndmask_b32_e64 v2, v2, v8, s3
	v_cmp_eq_u32_e64 s3, 7, v80
	v_cmp_eq_u32_e64 s5, 7, v82
	v_cndmask_b32_e32 v1, v1, v12, vcc_lo
	s_delay_alu instid0(VALU_DEP_4) | instskip(NEXT) | instid1(VALU_DEP_4)
	v_cndmask_b32_e32 v2, v2, v16, vcc_lo
	v_cndmask_b32_e64 v8, v3, v12, s3
	s_delay_alu instid0(VALU_DEP_4)
	v_cndmask_b32_e64 v6, v6, v12, s5
	v_cndmask_b32_e64 v3, v9, v12, s4
	;; [unrolled: 1-line block ×5, first 2 shown]
	v_perm_b32 v4, v2, v1, 0x5040100
	s_mov_b32 s3, exec_lo
	v_perm_b32 v3, v9, v3, 0x5040100
	v_perm_b32 v2, v7, v6, 0x5040100
	;; [unrolled: 1-line block ×3, first 2 shown]
	ds_store_b128 v78, v[1:4]
	s_waitcnt lgkmcnt(0)
	s_barrier
	buffer_gl0_inv
	v_cmpx_gt_u32_e32 32, v0
	s_cbranch_execz .LBB360_2
; %bb.17:
	s_load_b64 s[4:5], s[0:1], 0x68
	v_add_nc_u32_e32 v20, s31, v75
	v_lshlrev_b32_e32 v0, 10, v0
	v_lshlrev_b32_e32 v1, 4, v76
	s_lshl_b32 s0, s35, 7
	s_delay_alu instid0(SALU_CYCLE_1)
	s_mul_i32 s1, s0, s34
	v_add_nc_u32_e32 v2, 2, v20
	s_mul_i32 s6, s1, s7
	v_and_or_b32 v0, 0x3800, v0, v1
	v_mul_lo_u32 v1, v20, s0
	s_ashr_i32 s7, s6, 31
	v_mul_lo_u32 v11, v2, s0
	s_lshl_b64 s[6:7], s[6:7], 1
	v_add_nc_u32_e32 v3, 4, v20
	v_lshl_or_b32 v21, v75, 6, v0
	v_add_nc_u32_e32 v16, 6, v20
	v_ashrrev_i32_e32 v2, 31, v1
	s_delay_alu instid0(VALU_DEP_4)
	v_mul_lo_u32 v13, v3, s0
	s_waitcnt lgkmcnt(0)
	s_add_u32 s1, s4, s6
	s_addc_u32 s3, s5, s7
	s_lshl_b32 s4, s14, 7
	ds_load_b128 v[3:6], v21
	ds_load_b128 v[7:10], v21 offset:128
	s_ashr_i32 s5, s4, 31
	v_ashrrev_i32_e32 v12, 31, v11
	s_lshl_b64 s[4:5], s[4:5], 1
	v_lshlrev_b64 v[14:15], 1, v[1:2]
	s_add_u32 s1, s1, s4
	s_addc_u32 s3, s3, s5
	v_add_co_u32 v1, vcc_lo, s1, v73
	v_add_co_ci_u32_e32 v2, vcc_lo, s3, v74, vcc_lo
	v_lshlrev_b64 v[11:12], 1, v[11:12]
	s_delay_alu instid0(VALU_DEP_3) | instskip(SKIP_1) | instid1(VALU_DEP_4)
	v_add_co_u32 v18, vcc_lo, v1, v14
	v_mul_lo_u32 v16, v16, s0
	v_add_co_ci_u32_e32 v19, vcc_lo, v2, v15, vcc_lo
	s_delay_alu instid0(VALU_DEP_4)
	v_add_co_u32 v11, vcc_lo, v1, v11
	v_ashrrev_i32_e32 v14, 31, v13
	v_add_co_ci_u32_e32 v12, vcc_lo, v2, v12, vcc_lo
	v_add_nc_u32_e32 v15, 8, v20
	v_ashrrev_i32_e32 v17, 31, v16
	s_waitcnt lgkmcnt(1)
	global_store_b128 v[18:19], v[3:6], off
	v_lshlrev_b64 v[3:4], 1, v[13:14]
	s_waitcnt lgkmcnt(0)
	global_store_b128 v[11:12], v[7:10], off
	v_mul_lo_u32 v11, v15, s0
	v_add_nc_u32_e32 v7, 10, v20
	v_lshlrev_b64 v[5:6], 1, v[16:17]
	v_add_co_u32 v23, vcc_lo, v1, v3
	v_add_nc_u32_e32 v3, 12, v20
	s_delay_alu instid0(VALU_DEP_4)
	v_mul_lo_u32 v25, v7, s0
	v_ashrrev_i32_e32 v12, 31, v11
	v_add_co_ci_u32_e32 v24, vcc_lo, v2, v4, vcc_lo
	v_add_co_u32 v27, vcc_lo, v1, v5
	v_mul_lo_u32 v29, v3, s0
	v_add_co_ci_u32_e32 v28, vcc_lo, v2, v6, vcc_lo
	ds_load_b128 v[3:6], v21 offset:256
	ds_load_b128 v[7:10], v21 offset:384
	v_lshlrev_b64 v[31:32], 1, v[11:12]
	ds_load_b128 v[11:14], v21 offset:512
	ds_load_b128 v[15:18], v21 offset:640
	;; [unrolled: 1-line block ×3, first 2 shown]
	v_ashrrev_i32_e32 v26, 31, v25
	v_ashrrev_i32_e32 v30, 31, v29
	v_add_co_u32 v31, vcc_lo, v1, v31
	s_delay_alu instid0(VALU_DEP_3) | instskip(NEXT) | instid1(VALU_DEP_3)
	v_lshlrev_b64 v[25:26], 1, v[25:26]
	v_lshlrev_b64 v[29:30], 1, v[29:30]
	v_add_co_ci_u32_e32 v32, vcc_lo, v2, v32, vcc_lo
	s_delay_alu instid0(VALU_DEP_3) | instskip(NEXT) | instid1(VALU_DEP_4)
	v_add_co_u32 v25, vcc_lo, v1, v25
	v_add_co_ci_u32_e32 v26, vcc_lo, v2, v26, vcc_lo
	s_delay_alu instid0(VALU_DEP_4)
	v_add_co_u32 v29, vcc_lo, v1, v29
	v_add_co_ci_u32_e32 v30, vcc_lo, v2, v30, vcc_lo
	s_waitcnt lgkmcnt(4)
	global_store_b128 v[23:24], v[3:6], off
	s_waitcnt lgkmcnt(3)
	global_store_b128 v[27:28], v[7:10], off
	;; [unrolled: 2-line block ×5, first 2 shown]
	s_and_b32 exec_lo, exec_lo, s2
	s_cbranch_execz .LBB360_2
; %bb.18:
	ds_load_b128 v[3:6], v0 offset:896
	s_add_i32 s1, s31, 14
	s_delay_alu instid0(SALU_CYCLE_1) | instskip(NEXT) | instid1(SALU_CYCLE_1)
	s_mul_i32 s0, s1, s0
	s_ashr_i32 s1, s0, 31
	s_delay_alu instid0(SALU_CYCLE_1) | instskip(NEXT) | instid1(SALU_CYCLE_1)
	s_lshl_b64 s[0:1], s[0:1], 1
	v_add_co_u32 v0, vcc_lo, v1, s0
	v_add_co_ci_u32_e32 v1, vcc_lo, s1, v2, vcc_lo
	s_waitcnt lgkmcnt(0)
	global_store_b128 v[0:1], v[3:6], off
	s_nop 0
	s_sendmsg sendmsg(MSG_DEALLOC_VGPRS)
	s_endpgm
	.section	.rodata,"a",@progbits
	.p2align	6, 0x0
	.amdhsa_kernel _Z39paged_attention_ll4mi_QKV_mfma16_kernelIDF16_DF16_LN4vllm18Fp8KVCacheDataTypeE0EDF16_Li32ELi128ELi256ELb1ELi15EL8MFMAType0EEvPKT_PKT0_S8_ifPKiSA_SA_iPKfiiiPfSD_PS3_PT2_iSC_SC_
		.amdhsa_group_segment_fixed_size 17472
		.amdhsa_private_segment_fixed_size 0
		.amdhsa_kernarg_size 400
		.amdhsa_user_sgpr_count 13
		.amdhsa_user_sgpr_dispatch_ptr 0
		.amdhsa_user_sgpr_queue_ptr 0
		.amdhsa_user_sgpr_kernarg_segment_ptr 1
		.amdhsa_user_sgpr_dispatch_id 0
		.amdhsa_user_sgpr_private_segment_size 0
		.amdhsa_wavefront_size32 1
		.amdhsa_uses_dynamic_stack 0
		.amdhsa_enable_private_segment 0
		.amdhsa_system_sgpr_workgroup_id_x 1
		.amdhsa_system_sgpr_workgroup_id_y 1
		.amdhsa_system_sgpr_workgroup_id_z 1
		.amdhsa_system_sgpr_workgroup_info 0
		.amdhsa_system_vgpr_workitem_id 0
		.amdhsa_next_free_vgpr 172
		.amdhsa_next_free_sgpr 39
		.amdhsa_reserve_vcc 1
		.amdhsa_float_round_mode_32 0
		.amdhsa_float_round_mode_16_64 0
		.amdhsa_float_denorm_mode_32 3
		.amdhsa_float_denorm_mode_16_64 3
		.amdhsa_dx10_clamp 1
		.amdhsa_ieee_mode 1
		.amdhsa_fp16_overflow 0
		.amdhsa_workgroup_processor_mode 1
		.amdhsa_memory_ordered 1
		.amdhsa_forward_progress 0
		.amdhsa_shared_vgpr_count 0
		.amdhsa_exception_fp_ieee_invalid_op 0
		.amdhsa_exception_fp_denorm_src 0
		.amdhsa_exception_fp_ieee_div_zero 0
		.amdhsa_exception_fp_ieee_overflow 0
		.amdhsa_exception_fp_ieee_underflow 0
		.amdhsa_exception_fp_ieee_inexact 0
		.amdhsa_exception_int_div_zero 0
	.end_amdhsa_kernel
	.section	.text._Z39paged_attention_ll4mi_QKV_mfma16_kernelIDF16_DF16_LN4vllm18Fp8KVCacheDataTypeE0EDF16_Li32ELi128ELi256ELb1ELi15EL8MFMAType0EEvPKT_PKT0_S8_ifPKiSA_SA_iPKfiiiPfSD_PS3_PT2_iSC_SC_,"axG",@progbits,_Z39paged_attention_ll4mi_QKV_mfma16_kernelIDF16_DF16_LN4vllm18Fp8KVCacheDataTypeE0EDF16_Li32ELi128ELi256ELb1ELi15EL8MFMAType0EEvPKT_PKT0_S8_ifPKiSA_SA_iPKfiiiPfSD_PS3_PT2_iSC_SC_,comdat
.Lfunc_end360:
	.size	_Z39paged_attention_ll4mi_QKV_mfma16_kernelIDF16_DF16_LN4vllm18Fp8KVCacheDataTypeE0EDF16_Li32ELi128ELi256ELb1ELi15EL8MFMAType0EEvPKT_PKT0_S8_ifPKiSA_SA_iPKfiiiPfSD_PS3_PT2_iSC_SC_, .Lfunc_end360-_Z39paged_attention_ll4mi_QKV_mfma16_kernelIDF16_DF16_LN4vllm18Fp8KVCacheDataTypeE0EDF16_Li32ELi128ELi256ELb1ELi15EL8MFMAType0EEvPKT_PKT0_S8_ifPKiSA_SA_iPKfiiiPfSD_PS3_PT2_iSC_SC_
                                        ; -- End function
	.section	.AMDGPU.csdata,"",@progbits
; Kernel info:
; codeLenInByte = 7776
; NumSgprs: 41
; NumVgprs: 172
; ScratchSize: 0
; MemoryBound: 0
; FloatMode: 240
; IeeeMode: 1
; LDSByteSize: 17472 bytes/workgroup (compile time only)
; SGPRBlocks: 5
; VGPRBlocks: 21
; NumSGPRsForWavesPerEU: 41
; NumVGPRsForWavesPerEU: 172
; Occupancy: 8
; WaveLimiterHint : 1
; COMPUTE_PGM_RSRC2:SCRATCH_EN: 0
; COMPUTE_PGM_RSRC2:USER_SGPR: 13
; COMPUTE_PGM_RSRC2:TRAP_HANDLER: 0
; COMPUTE_PGM_RSRC2:TGID_X_EN: 1
; COMPUTE_PGM_RSRC2:TGID_Y_EN: 1
; COMPUTE_PGM_RSRC2:TGID_Z_EN: 1
; COMPUTE_PGM_RSRC2:TIDIG_COMP_CNT: 0
	.section	.text._Z39paged_attention_ll4mi_QKV_mfma16_kernelIDF16_DF16_LN4vllm18Fp8KVCacheDataTypeE0EDF16_Li32ELi128ELi256ELb1ELi16EL8MFMAType0EEvPKT_PKT0_S8_ifPKiSA_SA_iPKfiiiPfSD_PS3_PT2_iSC_SC_,"axG",@progbits,_Z39paged_attention_ll4mi_QKV_mfma16_kernelIDF16_DF16_LN4vllm18Fp8KVCacheDataTypeE0EDF16_Li32ELi128ELi256ELb1ELi16EL8MFMAType0EEvPKT_PKT0_S8_ifPKiSA_SA_iPKfiiiPfSD_PS3_PT2_iSC_SC_,comdat
	.protected	_Z39paged_attention_ll4mi_QKV_mfma16_kernelIDF16_DF16_LN4vllm18Fp8KVCacheDataTypeE0EDF16_Li32ELi128ELi256ELb1ELi16EL8MFMAType0EEvPKT_PKT0_S8_ifPKiSA_SA_iPKfiiiPfSD_PS3_PT2_iSC_SC_ ; -- Begin function _Z39paged_attention_ll4mi_QKV_mfma16_kernelIDF16_DF16_LN4vllm18Fp8KVCacheDataTypeE0EDF16_Li32ELi128ELi256ELb1ELi16EL8MFMAType0EEvPKT_PKT0_S8_ifPKiSA_SA_iPKfiiiPfSD_PS3_PT2_iSC_SC_
	.globl	_Z39paged_attention_ll4mi_QKV_mfma16_kernelIDF16_DF16_LN4vllm18Fp8KVCacheDataTypeE0EDF16_Li32ELi128ELi256ELb1ELi16EL8MFMAType0EEvPKT_PKT0_S8_ifPKiSA_SA_iPKfiiiPfSD_PS3_PT2_iSC_SC_
	.p2align	8
	.type	_Z39paged_attention_ll4mi_QKV_mfma16_kernelIDF16_DF16_LN4vllm18Fp8KVCacheDataTypeE0EDF16_Li32ELi128ELi256ELb1ELi16EL8MFMAType0EEvPKT_PKT0_S8_ifPKiSA_SA_iPKfiiiPfSD_PS3_PT2_iSC_SC_,@function
_Z39paged_attention_ll4mi_QKV_mfma16_kernelIDF16_DF16_LN4vllm18Fp8KVCacheDataTypeE0EDF16_Li32ELi128ELi256ELb1ELi16EL8MFMAType0EEvPKT_PKT0_S8_ifPKiSA_SA_iPKfiiiPfSD_PS3_PT2_iSC_SC_: ; @_Z39paged_attention_ll4mi_QKV_mfma16_kernelIDF16_DF16_LN4vllm18Fp8KVCacheDataTypeE0EDF16_Li32ELi128ELi256ELb1ELi16EL8MFMAType0EEvPKT_PKT0_S8_ifPKiSA_SA_iPKfiiiPfSD_PS3_PT2_iSC_SC_
; %bb.0:
	s_load_b64 s[2:3], s[0:1], 0x30
	s_mov_b32 s30, s13
	s_waitcnt lgkmcnt(0)
	s_cmp_lg_u64 s[2:3], 0
	s_cselect_b32 s6, -1, 0
	s_ashr_i32 s31, s13, 31
	s_cmp_eq_u64 s[2:3], 0
	s_cbranch_scc1 .LBB361_3
; %bb.1:
	s_lshl_b64 s[4:5], s[30:31], 2
	s_delay_alu instid0(SALU_CYCLE_1) | instskip(SKIP_4) | instid1(SALU_CYCLE_1)
	s_add_u32 s4, s2, s4
	s_addc_u32 s5, s3, s5
	s_load_b64 s[4:5], s[4:5], 0x0
	s_waitcnt lgkmcnt(0)
	s_sub_i32 s4, s5, s4
	s_cmp_eq_u32 s4, 1
	s_cselect_b32 s4, -1, 0
	s_delay_alu instid0(SALU_CYCLE_1)
	s_and_not1_b32 vcc_lo, exec_lo, s4
	s_cbranch_vccz .LBB361_4
.LBB361_2:
	s_endpgm
.LBB361_3:
.LBB361_4:
	s_load_b64 s[8:9], s[0:1], 0x28
	s_lshl_b64 s[4:5], s[30:31], 2
	s_waitcnt lgkmcnt(0)
	s_add_u32 s8, s8, s4
	s_addc_u32 s9, s9, s5
	s_lshl_b32 s12, s14, 8
	s_load_b32 s17, s[8:9], 0x0
	s_waitcnt lgkmcnt(0)
	s_cmp_ge_i32 s12, s17
	s_cbranch_scc1 .LBB361_2
; %bb.5:
	s_and_not1_b32 vcc_lo, exec_lo, s6
	s_cbranch_vccnz .LBB361_7
; %bb.6:
	s_add_u32 s2, s2, s4
	s_addc_u32 s3, s3, s5
	s_load_b32 s13, s[2:3], 0x0
	s_branch .LBB361_8
.LBB361_7:
	s_mov_b32 s13, s30
.LBB361_8:
	s_clause 0x2
	s_load_b128 s[8:11], s[0:1], 0x8
	s_load_b64 s[2:3], s[0:1], 0x20
	s_load_b128 s[4:7], s[0:1], 0x48
	v_and_b32_e32 v79, 15, v0
	s_waitcnt lgkmcnt(0)
	s_mov_b32 s7, exec_lo
	s_delay_alu instid0(VALU_DEP_1)
	v_lshlrev_b32_e32 v1, 3, v79
	v_cmpx_lt_u32_e32 0xff, v0
	s_xor_b32 s7, exec_lo, s7
; %bb.9:
	v_mov_b32_e32 v2, 0
; %bb.10:
	s_or_saveexec_b32 s7, s7
	v_lshrrev_b32_e32 v77, 5, v0
	v_and_b32_e32 v80, 31, v0
	v_and_b32_e32 v76, 1, v0
	v_bfe_u32 v75, v0, 4, 1
	s_lshl_b32 s31, s15, 4
	s_xor_b32 exec_lo, exec_lo, s7
	s_cbranch_execz .LBB361_12
; %bb.11:
	s_delay_alu instid0(VALU_DEP_1)
	v_lshl_or_b32 v7, v77, 1, v75
	s_load_b64 s[18:19], s[0:1], 0x0
	s_mul_hi_i32 s21, s13, s4
	s_mul_i32 s20, s13, s4
	v_lshlrev_b32_e32 v4, 1, v1
	v_or_b32_e32 v2, s31, v7
	s_lshl_b64 s[20:21], s[20:21], 1
	v_lshlrev_b32_e32 v7, 6, v7
	v_lshlrev_b32_e32 v8, 10, v76
	s_delay_alu instid0(VALU_DEP_3) | instskip(NEXT) | instid1(VALU_DEP_1)
	v_lshlrev_b32_e32 v2, 7, v2
	v_ashrrev_i32_e32 v3, 31, v2
	s_delay_alu instid0(VALU_DEP_1) | instskip(SKIP_3) | instid1(VALU_DEP_1)
	v_lshlrev_b64 v[2:3], 1, v[2:3]
	s_waitcnt lgkmcnt(0)
	s_add_u32 s4, s18, s20
	s_addc_u32 s13, s19, s21
	v_add_co_u32 v2, vcc_lo, s4, v2
	s_delay_alu instid0(VALU_DEP_2) | instskip(NEXT) | instid1(VALU_DEP_2)
	v_add_co_ci_u32_e32 v3, vcc_lo, s13, v3, vcc_lo
	v_add_co_u32 v2, vcc_lo, v2, v4
	s_delay_alu instid0(VALU_DEP_2) | instskip(SKIP_2) | instid1(VALU_DEP_1)
	v_add_co_ci_u32_e32 v3, vcc_lo, 0, v3, vcc_lo
	global_load_b128 v[3:6], v[2:3], off
	v_lshlrev_b32_e32 v2, 10, v79
	v_and_b32_e32 v2, 0x3800, v2
	s_delay_alu instid0(VALU_DEP_1)
	v_or3_b32 v7, v2, v8, v7
	v_mov_b32_e32 v2, 0
	s_waitcnt vmcnt(0)
	ds_store_b128 v7, v[3:6]
.LBB361_12:
	s_or_b32 exec_lo, exec_lo, s7
	v_and_b32_e32 v3, 0xef, v0
	s_add_i32 s4, s17, 31
	s_clause 0x1
	s_load_b32 s7, s[0:1], 0x38
	s_load_b32 s33, s[0:1], 0x98
	s_ashr_i32 s13, s4, 31
	v_add_nc_u32_e32 v3, s12, v3
	s_lshr_b32 s13, s13, 27
	s_load_b32 s18, s[0:1], 0x1c
	s_add_i32 s4, s4, s13
	s_waitcnt lgkmcnt(0)
	v_ashrrev_i32_e32 v4, 31, v3
	v_cmp_gt_i32_e32 vcc_lo, s17, v3
	s_ashr_i32 s4, s4, 5
	s_barrier
	s_add_i32 s4, s4, -1
	v_lshrrev_b32_e32 v5, 27, v4
	v_or_b32_e32 v4, 16, v3
	buffer_gl0_inv
	v_lshlrev_b64 v[73:74], 1, v[1:2]
	v_lshlrev_b32_e32 v78, 6, v79
	v_add_nc_u32_e32 v6, v3, v5
	v_add_nc_u32_e32 v5, v4, v5
	s_mul_i32 s20, s30, s7
	s_delay_alu instid0(SALU_CYCLE_1) | instskip(NEXT) | instid1(VALU_DEP_2)
	s_ashr_i32 s21, s20, 31
	v_ashrrev_i32_e32 v6, 5, v6
	s_delay_alu instid0(VALU_DEP_2) | instskip(SKIP_1) | instid1(SALU_CYCLE_1)
	v_ashrrev_i32_e32 v5, 5, v5
	s_lshl_b64 s[20:21], s[20:21], 2
	s_add_u32 s13, s2, s20
	s_delay_alu instid0(VALU_DEP_2) | instskip(SKIP_3) | instid1(SALU_CYCLE_1)
	v_cndmask_b32_e32 v3, s4, v6, vcc_lo
	v_cmp_gt_i32_e32 vcc_lo, s17, v4
	s_addc_u32 s16, s3, s21
	s_mul_i32 s2, s15, s6
	s_ashr_i32 s3, s2, 31
	v_cndmask_b32_e32 v5, s4, v5, vcc_lo
	v_ashrrev_i32_e32 v4, 31, v3
	s_lshl_b64 s[2:3], s[2:3], 1
	s_delay_alu instid0(SALU_CYCLE_1) | instskip(NEXT) | instid1(VALU_DEP_2)
	s_add_u32 s15, s8, s2
	v_ashrrev_i32_e32 v6, 31, v5
	s_delay_alu instid0(VALU_DEP_2) | instskip(SKIP_2) | instid1(VALU_DEP_2)
	v_lshlrev_b64 v[3:4], 2, v[3:4]
	s_addc_u32 s19, s9, s3
	s_lshl_b32 s6, s14, 3
	v_lshlrev_b64 v[5:6], 2, v[5:6]
	s_ashr_i32 s7, s6, 31
	s_delay_alu instid0(VALU_DEP_2) | instskip(SKIP_1) | instid1(VALU_DEP_3)
	v_add_co_u32 v3, vcc_lo, s13, v3
	v_add_co_ci_u32_e32 v4, vcc_lo, s16, v4, vcc_lo
	v_add_co_u32 v5, vcc_lo, s13, v5
	s_delay_alu instid0(VALU_DEP_4)
	v_add_co_ci_u32_e32 v6, vcc_lo, s16, v6, vcc_lo
	s_lshl_b64 s[6:7], s[6:7], 2
	s_clause 0x1
	global_load_b32 v7, v[3:4], off
	global_load_b32 v8, v[5:6], off
	s_add_u32 s6, s13, s6
	s_addc_u32 s7, s16, s7
	s_or_b32 s8, s12, 32
	s_delay_alu instid0(SALU_CYCLE_1) | instskip(SKIP_2) | instid1(SALU_CYCLE_1)
	s_ashr_i32 s9, s8, 5
	s_cmp_lt_i32 s8, s17
	s_cselect_b32 s8, s9, s4
	s_ashr_i32 s9, s8, 31
	s_delay_alu instid0(SALU_CYCLE_1) | instskip(NEXT) | instid1(SALU_CYCLE_1)
	s_lshl_b64 s[8:9], s[8:9], 2
	s_add_u32 s8, s13, s8
	s_addc_u32 s9, s16, s9
	s_or_b32 s20, s12, 64
	s_delay_alu instid0(SALU_CYCLE_1) | instskip(SKIP_2) | instid1(SALU_CYCLE_1)
	s_ashr_i32 s21, s20, 5
	s_cmp_lt_i32 s20, s17
	s_cselect_b32 s20, s21, s4
	s_ashr_i32 s21, s20, 31
	s_delay_alu instid0(SALU_CYCLE_1) | instskip(NEXT) | instid1(SALU_CYCLE_1)
	s_lshl_b64 s[20:21], s[20:21], 2
	;; [unrolled: 10-line block ×5, first 2 shown]
	s_add_u32 s26, s13, s26
	s_addc_u32 s27, s16, s27
	s_clause 0x5
	s_load_b32 s28, s[6:7], 0x0
	s_load_b32 s29, s[8:9], 0x0
	;; [unrolled: 1-line block ×6, first 2 shown]
	s_or_b32 s6, s12, 0xc0
	s_mov_b32 s20, 0
	s_ashr_i32 s7, s6, 5
	s_cmp_lt_i32 s6, s17
	s_mov_b32 s27, s20
	s_cselect_b32 s6, s7, s4
	s_mov_b32 s21, s20
	s_ashr_i32 s7, s6, 31
	s_mov_b32 s22, s20
	s_lshl_b64 s[6:7], s[6:7], 2
	s_mov_b32 s23, s20
	s_add_u32 s6, s13, s6
	s_addc_u32 s7, s16, s7
	s_mov_b32 s24, s20
	s_mov_b32 s25, s20
	;; [unrolled: 1-line block ×3, first 2 shown]
	s_delay_alu instid0(SALU_CYCLE_1)
	v_dual_mov_b32 v136, s27 :: v_dual_mov_b32 v135, s26
	v_dual_mov_b32 v134, s25 :: v_dual_mov_b32 v133, s24
	v_mov_b32_e32 v130, s21
	v_dual_mov_b32 v132, s23 :: v_dual_mov_b32 v131, s22
	v_mov_b32_e32 v129, s20
	s_waitcnt lgkmcnt(0)
	s_mul_hi_i32 s9, s28, s5
	s_mul_i32 s8, s28, s5
	s_mul_hi_i32 s21, s29, s5
	s_mul_i32 s20, s29, s5
	;; [unrolled: 2-line block ×5, first 2 shown]
	s_waitcnt vmcnt(1)
	v_mad_i64_i32 v[3:4], null, v7, s5, 0
	s_waitcnt vmcnt(0)
	v_mad_i64_i32 v[5:6], null, v8, s5, 0
	s_delay_alu instid0(VALU_DEP_2) | instskip(NEXT) | instid1(VALU_DEP_2)
	v_lshlrev_b64 v[3:4], 1, v[3:4]
	v_lshlrev_b64 v[1:2], 1, v[5:6]
	s_delay_alu instid0(VALU_DEP_2) | instskip(NEXT) | instid1(VALU_DEP_3)
	v_add_co_u32 v3, vcc_lo, s15, v3
	v_add_co_ci_u32_e32 v4, vcc_lo, s19, v4, vcc_lo
	s_delay_alu instid0(VALU_DEP_3) | instskip(NEXT) | instid1(VALU_DEP_4)
	v_add_co_u32 v1, vcc_lo, s15, v1
	v_add_co_ci_u32_e32 v2, vcc_lo, s19, v2, vcc_lo
	s_delay_alu instid0(VALU_DEP_4) | instskip(NEXT) | instid1(VALU_DEP_4)
	v_add_co_u32 v57, vcc_lo, v3, v73
	v_add_co_ci_u32_e32 v58, vcc_lo, v4, v74, vcc_lo
	s_delay_alu instid0(VALU_DEP_4) | instskip(NEXT) | instid1(VALU_DEP_4)
	v_add_co_u32 v59, vcc_lo, v1, v73
	v_add_co_ci_u32_e32 v60, vcc_lo, v2, v74, vcc_lo
	s_clause 0xf
	global_load_b128 v[1:4], v[57:58], off
	global_load_b128 v[5:8], v[57:58], off offset:512
	global_load_b128 v[9:12], v[59:60], off offset:256
	;; [unrolled: 1-line block ×15, first 2 shown]
	v_add_co_u32 v157, vcc_lo, 0x1000, v57
	v_add_co_ci_u32_e32 v158, vcc_lo, 0, v58, vcc_lo
	v_add_co_u32 v165, vcc_lo, 0x1000, v59
	v_add_co_ci_u32_e32 v166, vcc_lo, 0, v60, vcc_lo
	s_clause 0x7
	global_load_b128 v[89:92], v[157:158], off
	global_load_b128 v[93:96], v[157:158], off offset:512
	global_load_b128 v[97:100], v[165:166], off offset:256
	;; [unrolled: 1-line block ×7, first 2 shown]
	ds_load_b128 v[57:60], v78
	ds_load_b128 v[61:64], v78 offset:1024
	s_clause 0x1
	global_load_b128 v[121:124], v[157:158], off offset:2048
	global_load_b128 v[125:128], v[157:158], off offset:2560
	ds_load_b128 v[65:68], v78 offset:2048
	ds_load_b128 v[69:72], v78 offset:3072
	s_clause 0x5
	global_load_b128 v[145:148], v[165:166], off offset:2304
	global_load_b128 v[149:152], v[165:166], off offset:2816
	;; [unrolled: 1-line block ×6, first 2 shown]
	s_or_b32 s15, s12, 0xe0
	s_delay_alu instid0(SALU_CYCLE_1) | instskip(SKIP_2) | instid1(SALU_CYCLE_1)
	s_ashr_i32 s19, s15, 5
	s_cmp_lt_i32 s15, s17
	s_cselect_b32 s22, s19, s4
	s_ashr_i32 s23, s22, 31
	s_delay_alu instid0(SALU_CYCLE_1) | instskip(NEXT) | instid1(SALU_CYCLE_1)
	s_lshl_b64 s[22:23], s[22:23], 2
	s_add_u32 s22, s13, s22
	s_addc_u32 s23, s16, s23
	s_add_i32 s15, s12, 0x100
	s_delay_alu instid0(SALU_CYCLE_1) | instskip(SKIP_2) | instid1(SALU_CYCLE_1)
	s_ashr_i32 s19, s15, 5
	s_cmp_lt_i32 s15, s17
	s_cselect_b32 s28, s19, s4
	s_ashr_i32 s29, s28, 31
	s_delay_alu instid0(SALU_CYCLE_1) | instskip(NEXT) | instid1(SALU_CYCLE_1)
	s_lshl_b64 s[28:29], s[28:29], 2
	s_add_u32 s28, s13, s28
	s_addc_u32 s29, s16, s29
	s_add_u32 s4, s10, s2
	s_addc_u32 s19, s11, s3
	s_lshl_b64 s[2:3], s[8:9], 1
	s_lshl_b64 s[8:9], s[20:21], 1
	;; [unrolled: 1-line block ×4, first 2 shown]
	s_waitcnt vmcnt(30) lgkmcnt(2)
	v_wmma_f32_16x16x16_f16 v[137:144], v[1:8], v[57:64], v[129:136]
	ds_load_b128 v[1:4], v78 offset:4096
	ds_load_b128 v[5:8], v78 offset:5120
	s_waitcnt vmcnt(28)
	v_wmma_f32_16x16x16_f16 v[129:136], v[9:16], v[57:64], v[129:136]
	ds_load_b128 v[9:12], v78 offset:6144
	ds_load_b128 v[13:16], v78 offset:7168
	s_waitcnt vmcnt(26) lgkmcnt(4)
	v_wmma_f32_16x16x16_f16 v[137:144], v[17:24], v[65:72], v[137:144]
	ds_load_b128 v[17:20], v78 offset:8192
	ds_load_b128 v[21:24], v78 offset:9216
	s_load_b32 s15, s[6:7], 0x0
	s_waitcnt vmcnt(24)
	v_wmma_f32_16x16x16_f16 v[129:136], v[25:32], v[65:72], v[129:136]
	v_lshl_or_b32 v25, v77, 10, v78
	s_mul_hi_i32 s7, s36, s5
	s_mul_i32 s6, s36, s5
	s_clause 0x1
	s_load_b32 s13, s[22:23], 0x0
	s_load_b32 s16, s[28:29], 0x0
	s_lshl_b64 s[6:7], s[6:7], 1
	v_add_co_u32 v169, s4, s4, v25
	s_delay_alu instid0(VALU_DEP_1) | instskip(SKIP_1) | instid1(VALU_DEP_2)
	v_add_co_ci_u32_e64 v170, null, s19, 0, s4
	s_lshl_b64 s[22:23], s[34:35], 1
	v_add_co_u32 v25, vcc_lo, v169, s2
	s_delay_alu instid0(VALU_DEP_2)
	v_add_co_ci_u32_e32 v26, vcc_lo, s3, v170, vcc_lo
	s_waitcnt vmcnt(22) lgkmcnt(0)
	v_wmma_f32_16x16x16_f16 v[137:144], v[33:40], v[1:8], v[137:144]
	s_waitcnt vmcnt(20)
	v_wmma_f32_16x16x16_f16 v[129:136], v[41:48], v[1:8], v[129:136]
	v_add_co_u32 v1, vcc_lo, v169, s8
	v_add_co_ci_u32_e32 v2, vcc_lo, s9, v170, vcc_lo
	v_add_co_u32 v3, vcc_lo, v169, s10
	v_add_co_ci_u32_e32 v4, vcc_lo, s11, v170, vcc_lo
	;; [unrolled: 2-line block ×3, first 2 shown]
	v_add_co_u32 v7, vcc_lo, v169, s6
	s_mul_hi_i32 s25, s15, s5
	s_mul_i32 s24, s15, s5
	v_add_co_ci_u32_e32 v8, vcc_lo, s7, v170, vcc_lo
	s_clause 0x1
	global_load_b128 v[65:68], v[25:26], off
	global_load_b128 v[69:72], v[25:26], off offset:16
	s_waitcnt vmcnt(20)
	v_wmma_f32_16x16x16_f16 v[137:144], v[49:56], v[9:16], v[137:144]
	s_clause 0x1
	global_load_b128 v[57:60], v[1:2], off
	global_load_b128 v[61:64], v[1:2], off offset:16
	s_waitcnt vmcnt(20)
	v_wmma_f32_16x16x16_f16 v[129:136], v[81:88], v[9:16], v[129:136]
	s_clause 0x5
	global_load_b128 v[49:52], v[3:4], off
	global_load_b128 v[53:56], v[3:4], off offset:16
	global_load_b128 v[33:36], v[5:6], off
	global_load_b128 v[37:40], v[5:6], off offset:16
	;; [unrolled: 2-line block ×3, first 2 shown]
	v_add_co_u32 v5, vcc_lo, v169, s22
	s_lshl_b64 s[2:3], s[24:25], 1
	v_add_co_ci_u32_e32 v6, vcc_lo, s23, v170, vcc_lo
	v_add_co_u32 v29, vcc_lo, v169, s2
	v_add_co_ci_u32_e32 v30, vcc_lo, s3, v170, vcc_lo
	s_waitcnt vmcnt(24)
	v_wmma_f32_16x16x16_f16 v[137:144], v[89:96], v[17:24], v[137:144]
	s_clause 0x1
	global_load_b128 v[1:4], v[5:6], off
	global_load_b128 v[5:8], v[5:6], off offset:16
	s_waitcnt vmcnt(24)
	v_wmma_f32_16x16x16_f16 v[129:136], v[97:104], v[17:24], v[129:136]
	s_clause 0x1
	global_load_b128 v[25:28], v[29:30], off
	global_load_b128 v[29:32], v[29:30], off offset:16
	ds_load_b128 v[17:20], v78 offset:10240
	ds_load_b128 v[21:24], v78 offset:11264
	s_mul_hi_i32 s7, s13, s5
	s_mul_i32 s6, s13, s5
	v_and_b32_e32 v89, 0xe0, v0
	s_lshl_b64 s[2:3], s[6:7], 1
	v_mbcnt_lo_u32_b32 v97, -1, 0
	v_add_co_u32 v45, vcc_lo, v169, s2
	v_add_co_ci_u32_e32 v46, vcc_lo, s3, v170, vcc_lo
	s_mul_hi_i32 s3, s16, s5
	s_mul_i32 s2, s16, s5
	s_clause 0x1
	global_load_b128 v[41:44], v[45:46], off
	global_load_b128 v[45:48], v[45:46], off offset:16
	s_lshl_b64 s[2:3], s[2:3], 1
	v_add_nc_u32_e32 v98, s12, v89
	v_add_co_u32 v81, vcc_lo, v169, s2
	v_add_co_ci_u32_e32 v82, vcc_lo, s3, v170, vcc_lo
	s_waitcnt vmcnt(26) lgkmcnt(0)
	v_wmma_f32_16x16x16_f16 v[137:144], v[105:112], v[17:24], v[137:144]
	s_waitcnt vmcnt(24)
	v_wmma_f32_16x16x16_f16 v[129:136], v[113:120], v[17:24], v[129:136]
	s_clause 0x1
	global_load_b128 v[17:20], v[81:82], off
	global_load_b128 v[21:24], v[81:82], off offset:16
	ds_load_b128 v[81:84], v78 offset:12288
	ds_load_b128 v[85:88], v78 offset:13312
	;; [unrolled: 1-line block ×4, first 2 shown]
	v_xor_b32_e32 v99, 16, v97
	v_or_b32_e32 v98, v98, v75
	s_waitcnt vmcnt(0) lgkmcnt(0)
	s_barrier
	buffer_gl0_inv
	v_cmp_gt_i32_e32 vcc_lo, 32, v99
	v_or_b32_e32 v100, 4, v98
	v_or_b32_e32 v101, 22, v98
	;; [unrolled: 1-line block ×5, first 2 shown]
	v_cmp_gt_i32_e64 s3, s17, v100
	v_cmp_gt_i32_e64 s12, s17, v101
	v_or_b32_e32 v105, 30, v98
	v_cmp_gt_i32_e64 s13, s17, v102
	v_cmp_gt_i32_e64 s15, s17, v103
	;; [unrolled: 1-line block ×3, first 2 shown]
	v_wmma_f32_16x16x16_f16 v[137:144], v[121:128], v[81:88], v[137:144]
	v_wmma_f32_16x16x16_f16 v[129:136], v[145:152], v[81:88], v[129:136]
	v_or_b32_e32 v81, 6, v98
	v_or_b32_e32 v82, 8, v98
	v_or_b32_e32 v83, 10, v98
	v_wmma_f32_16x16x16_f16 v[137:144], v[153:160], v[89:96], v[137:144]
	v_cndmask_b32_e32 v97, v97, v99, vcc_lo
	v_or_b32_e32 v99, 2, v98
	v_wmma_f32_16x16x16_f16 v[129:136], v[161:168], v[89:96], v[129:136]
	v_cmp_gt_i32_e32 vcc_lo, s17, v98
	v_dual_mul_f32 v96, s18, v137 :: v_dual_mul_f32 v95, s18, v138
	s_delay_alu instid0(VALU_DEP_4) | instskip(NEXT) | instid1(VALU_DEP_4)
	v_cmp_gt_i32_e64 s2, s17, v99
	v_mul_f32_e32 v110, s18, v132
	v_dual_mul_f32 v89, s18, v144 :: v_dual_mul_f32 v94, s18, v139
	v_dual_mul_f32 v93, s18, v140 :: v_dual_mul_f32 v108, s18, v134
	v_cndmask_b32_e32 v96, 0xff7fffff, v96, vcc_lo
	v_cndmask_b32_e64 v95, 0xff7fffff, v95, s2
	v_cmp_gt_i32_e64 s4, s17, v81
	v_or_b32_e32 v84, 12, v98
	v_or_b32_e32 v85, 14, v98
	v_dual_mul_f32 v91, s18, v142 :: v_dual_mul_f32 v106, s18, v136
	v_mul_f32_e32 v92, s18, v141
	v_cndmask_b32_e64 v94, 0xff7fffff, v94, s3
	v_cndmask_b32_e64 v81, 0xff7fffff, v93, s4
	v_max3_f32 v93, v96, 0xff7fffff, v95
	v_cmp_gt_i32_e64 s5, s17, v82
	v_cmp_gt_i32_e64 s6, s17, v83
	v_or_b32_e32 v86, 16, v98
	v_or_b32_e32 v87, 18, v98
	v_mul_f32_e32 v90, s18, v143
	v_cndmask_b32_e64 v82, 0xff7fffff, v92, s5
	v_cndmask_b32_e64 v83, 0xff7fffff, v91, s6
	v_max3_f32 v81, v93, v94, v81
	v_cmp_gt_i32_e64 s7, s17, v84
	v_cmp_gt_i32_e64 s8, s17, v85
	v_or_b32_e32 v88, 20, v98
	v_dual_mul_f32 v107, s18, v135 :: v_dual_mul_f32 v112, s18, v130
	v_mul_f32_e32 v113, s18, v129
	v_cndmask_b32_e64 v84, 0xff7fffff, v90, s7
	v_cndmask_b32_e64 v85, 0xff7fffff, v89, s8
	v_max3_f32 v81, v81, v82, v83
	v_cmp_gt_i32_e64 s9, s17, v86
	v_cmp_gt_i32_e64 s10, s17, v87
	v_mul_f32_e32 v111, s18, v131
	v_cmp_gt_i32_e64 s11, s17, v88
	v_max3_f32 v81, v81, v84, v85
	v_cndmask_b32_e64 v82, 0xff7fffff, v113, s9
	v_cndmask_b32_e64 v83, 0xff7fffff, v112, s10
	v_mul_f32_e32 v109, s18, v133
	v_cndmask_b32_e64 v84, 0xff7fffff, v111, s11
	v_cndmask_b32_e64 v85, 0xff7fffff, v110, s12
	v_cmp_gt_i32_e64 s17, s17, v105
	v_max3_f32 v81, v81, v82, v83
	v_cndmask_b32_e64 v82, 0xff7fffff, v109, s13
	v_cndmask_b32_e64 v83, 0xff7fffff, v108, s15
	s_delay_alu instid0(VALU_DEP_3) | instskip(SKIP_2) | instid1(VALU_DEP_3)
	v_max3_f32 v81, v81, v84, v85
	v_cndmask_b32_e64 v84, 0xff7fffff, v107, s16
	v_cndmask_b32_e64 v85, 0xff7fffff, v106, s17
	v_max3_f32 v81, v81, v82, v83
	v_lshlrev_b32_e32 v83, 2, v97
	s_delay_alu instid0(VALU_DEP_2) | instskip(SKIP_3) | instid1(VALU_DEP_1)
	v_max3_f32 v81, v81, v84, v85
	ds_bpermute_b32 v82, v83, v81
	s_waitcnt lgkmcnt(0)
	v_max_f32_e32 v82, v82, v82
	v_max_f32_e32 v81, v81, v82
	s_delay_alu instid0(VALU_DEP_1) | instskip(NEXT) | instid1(VALU_DEP_1)
	v_fma_f32 v88, s18, v141, -v81
	v_mul_f32_e32 v88, 0x3fb8aa3b, v88
	v_fma_f32 v82, s18, v137, -v81
	v_fma_f32 v84, s18, v138, -v81
	;; [unrolled: 1-line block ×5, first 2 shown]
	v_mul_f32_e32 v82, 0x3fb8aa3b, v82
	v_mul_f32_e32 v84, 0x3fb8aa3b, v84
	v_exp_f32_e32 v92, v88
	s_delay_alu instid0(VALU_DEP_3) | instskip(NEXT) | instid1(VALU_DEP_3)
	v_dual_mul_f32 v86, 0x3fb8aa3b, v86 :: v_dual_mul_f32 v91, 0x3fb8aa3b, v91
	v_exp_f32_e32 v82, v82
	s_delay_alu instid0(VALU_DEP_2) | instskip(SKIP_1) | instid1(VALU_DEP_2)
	v_exp_f32_e32 v84, v84
	v_fma_f32 v95, s18, v132, -v81
	v_exp_f32_e32 v90, v86
	v_exp_f32_e32 v93, v91
	v_fma_f32 v100, s18, v136, -v81
	v_fma_f32 v98, s18, v134, -v81
	v_cndmask_b32_e64 v91, 0, v92, s5
	v_fma_f32 v92, s18, v130, -v81
	v_mul_f32_e32 v97, 0x3fb8aa3b, v95
	v_cndmask_b32_e32 v87, 0, v82, vcc_lo
	v_mul_f32_e32 v85, 0x3fb8aa3b, v85
	v_cndmask_b32_e64 v86, 0, v84, s2
	v_fma_f32 v82, s18, v142, -v81
	v_cndmask_b32_e64 v88, 0, v90, s4
	v_add_f32_e32 v84, 0, v87
	v_exp_f32_e32 v85, v85
	v_fma_f32 v90, s18, v129, -v81
	v_mul_f32_e32 v82, 0x3fb8aa3b, v82
	v_mul_f32_e32 v92, 0x3fb8aa3b, v92
	v_exp_f32_e32 v99, v97
	v_cndmask_b32_e64 v93, 0, v93, s7
	v_mul_f32_e32 v98, 0x3fb8aa3b, v98
	v_exp_f32_e32 v82, v82
	v_exp_f32_e32 v96, v92
	s_mov_b32 s2, exec_lo
	v_cndmask_b32_e64 v89, 0, v85, s3
	v_fma_f32 v85, s18, v144, -v81
	v_add_f32_e32 v84, v84, v86
	v_exp_f32_e32 v98, v98
	s_delay_alu instid0(VALU_DEP_2) | instskip(NEXT) | instid1(VALU_DEP_2)
	v_mul_f32_e32 v85, 0x3fb8aa3b, v85
	v_add_f32_e32 v84, v84, v89
	s_delay_alu instid0(VALU_DEP_2) | instskip(NEXT) | instid1(VALU_DEP_1)
	v_exp_f32_e32 v85, v85
	v_add_f32_e32 v84, v84, v88
	s_waitcnt_depctr 0xfff
	v_cndmask_b32_e64 v98, 0, v98, s15
	v_cndmask_b32_e64 v92, 0, v85, s8
	v_fma_f32 v85, s18, v133, -v81
	v_mul_f32_e32 v94, 0x3fb8aa3b, v90
	v_cndmask_b32_e64 v90, 0, v82, s6
	v_add_f32_e32 v82, v84, v91
	v_fma_f32 v84, s18, v131, -v81
	v_mul_f32_e32 v85, 0x3fb8aa3b, v85
	v_exp_f32_e32 v94, v94
	s_delay_alu instid0(VALU_DEP_2) | instskip(NEXT) | instid1(VALU_DEP_2)
	v_mul_f32_e32 v84, 0x3fb8aa3b, v84
	v_exp_f32_e32 v85, v85
	s_delay_alu instid0(VALU_DEP_1) | instskip(NEXT) | instid1(TRANS32_DEP_3)
	v_exp_f32_e32 v84, v84
	v_cndmask_b32_e64 v95, 0, v94, s9
	v_cndmask_b32_e64 v94, 0, v96, s10
	v_fma_f32 v96, s18, v135, -v81
	s_waitcnt_depctr 0xfff
	v_cndmask_b32_e64 v97, 0, v84, s11
	v_mul_f32_e32 v84, 0x3fb8aa3b, v96
	v_cndmask_b32_e64 v96, 0, v99, s12
	v_cndmask_b32_e64 v99, 0, v85, s13
	v_dual_mul_f32 v85, 0x3fb8aa3b, v100 :: v_dual_add_f32 v82, v82, v90
	s_delay_alu instid0(VALU_DEP_4) | instskip(NEXT) | instid1(VALU_DEP_1)
	v_exp_f32_e32 v84, v84
	v_exp_f32_e32 v85, v85
	s_delay_alu instid0(VALU_DEP_1) | instskip(NEXT) | instid1(VALU_DEP_1)
	v_add_f32_e32 v82, v82, v93
	v_add_f32_e32 v82, v82, v92
	s_waitcnt_depctr 0xfff
	v_cndmask_b32_e64 v101, 0, v84, s16
	v_cndmask_b32_e64 v100, 0, v85, s17
	v_add_f32_e32 v82, v82, v95
	s_delay_alu instid0(VALU_DEP_1) | instskip(NEXT) | instid1(VALU_DEP_1)
	v_add_f32_e32 v82, v82, v94
	v_add_f32_e32 v82, v82, v97
	s_delay_alu instid0(VALU_DEP_1) | instskip(NEXT) | instid1(VALU_DEP_1)
	v_add_f32_e32 v82, v82, v96
	;; [unrolled: 3-line block ×3, first 2 shown]
	v_add_f32_e32 v82, v82, v101
	s_delay_alu instid0(VALU_DEP_1)
	v_add_f32_e32 v82, v82, v100
	ds_bpermute_b32 v83, v83, v82
	v_cmpx_gt_u32_e32 16, v80
	s_cbranch_execz .LBB361_14
; %bb.13:
	v_mul_u32_u24_e32 v80, 0x44, v77
	s_waitcnt lgkmcnt(0)
	v_add_f32_e32 v82, v82, v83
	s_delay_alu instid0(VALU_DEP_2) | instskip(NEXT) | instid1(VALU_DEP_1)
	v_lshl_add_u32 v80, v79, 2, v80
	v_add_nc_u32_e32 v80, 0x4000, v80
	ds_store_2addr_b32 v80, v81, v82 offset1:136
.LBB361_14:
	s_or_b32 exec_lo, exec_lo, s2
	v_lshlrev_b32_e32 v79, 2, v79
	s_load_b32 s34, s[0:1], 0x94
	s_waitcnt lgkmcnt(0)
	s_barrier
	buffer_gl0_inv
	v_add_nc_u32_e32 v83, 0x4000, v79
	v_cmp_eq_u32_e32 vcc_lo, 1, v77
	v_cmp_eq_u32_e64 s2, 2, v77
	v_cmp_eq_u32_e64 s3, 3, v77
	;; [unrolled: 1-line block ×3, first 2 shown]
	ds_load_2addr_b32 v[79:80], v83 offset1:17
	ds_load_2addr_b32 v[81:82], v83 offset0:34 offset1:51
	ds_load_2addr_b32 v[102:103], v83 offset0:68 offset1:85
	;; [unrolled: 1-line block ×3, first 2 shown]
	v_cmp_eq_u32_e64 s5, 7, v77
	s_waitcnt lgkmcnt(3)
	v_max3_f32 v84, v79, 0xff7fffff, v80
	s_waitcnt lgkmcnt(2)
	s_delay_alu instid0(VALU_DEP_1) | instskip(SKIP_1) | instid1(VALU_DEP_1)
	v_max3_f32 v84, v84, v81, v82
	s_waitcnt lgkmcnt(1)
	v_max3_f32 v84, v84, v102, v103
	s_waitcnt lgkmcnt(0)
	s_delay_alu instid0(VALU_DEP_1) | instskip(NEXT) | instid1(VALU_DEP_1)
	v_max3_f32 v84, v84, v104, v105
	v_sub_f32_e32 v102, v102, v84
	ds_load_2addr_b32 v[106:107], v83 offset0:136 offset1:153
	v_sub_f32_e32 v79, v79, v84
	v_dual_sub_f32 v109, v82, v84 :: v_dual_mul_f32 v112, 0x3fb8aa3b, v102
	s_delay_alu instid0(VALU_DEP_2) | instskip(SKIP_3) | instid1(VALU_DEP_1)
	v_dual_sub_f32 v85, v80, v84 :: v_dual_mul_f32 v108, 0x3fb8aa3b, v79
	ds_load_2addr_b32 v[79:80], v83 offset0:170 offset1:187
	v_mul_f32_e32 v85, 0x3fb8aa3b, v85
	v_exp_f32_e32 v108, v108
	v_exp_f32_e32 v111, v85
	v_mul_f32_e32 v109, 0x3fb8aa3b, v109
	s_waitcnt lgkmcnt(1)
	s_waitcnt_depctr 0xfff
	v_fma_f32 v85, v108, v106, 0
	v_sub_f32_e32 v106, v103, v84
	v_sub_f32_e32 v81, v81, v84
	v_exp_f32_e32 v109, v109
	ds_load_2addr_b32 v[102:103], v83 offset0:238 offset1:255
	v_dual_fmac_f32 v85, v111, v107 :: v_dual_mul_f32 v110, 0x3fb8aa3b, v81
	ds_load_2addr_b32 v[81:82], v83 offset0:204 offset1:221
	v_dual_sub_f32 v83, v104, v84 :: v_dual_mul_f32 v104, 0x3fb8aa3b, v106
	v_exp_f32_e32 v106, v112
	v_exp_f32_e32 v110, v110
	s_waitcnt lgkmcnt(0)
	s_delay_alu instid0(VALU_DEP_1)
	v_mul_f32_e32 v83, 0x3fb8aa3b, v83
	v_exp_f32_e32 v104, v104
	s_barrier
	buffer_gl0_inv
	v_fmac_f32_e32 v85, v110, v79
	v_sub_f32_e32 v79, v105, v84
	v_exp_f32_e32 v105, v83
	s_delay_alu instid0(VALU_DEP_2) | instskip(NEXT) | instid1(VALU_DEP_2)
	v_fmac_f32_e32 v85, v109, v80
	v_mul_f32_e32 v79, 0x3fb8aa3b, v79
	s_delay_alu instid0(VALU_DEP_2) | instskip(NEXT) | instid1(VALU_DEP_2)
	v_dual_cndmask_b32 v80, v108, v111 :: v_dual_fmac_f32 v85, v106, v81
	v_exp_f32_e32 v107, v79
	s_delay_alu instid0(VALU_DEP_1) | instskip(SKIP_2) | instid1(VALU_DEP_1)
	v_fmac_f32_e32 v85, v104, v82
	s_waitcnt_depctr 0xfff
	v_fmac_f32_e32 v85, v105, v102
	v_fmac_f32_e32 v85, v107, v103
	s_delay_alu instid0(VALU_DEP_1) | instskip(NEXT) | instid1(VALU_DEP_1)
	v_add_f32_e32 v102, 0x358637bd, v85
	v_div_scale_f32 v103, null, v102, v102, 1.0
	v_div_scale_f32 v108, vcc_lo, 1.0, v102, 1.0
	s_delay_alu instid0(VALU_DEP_2) | instskip(SKIP_2) | instid1(VALU_DEP_1)
	v_rcp_f32_e32 v112, v103
	s_waitcnt_depctr 0xfff
	v_fma_f32 v79, -v103, v112, 1.0
	v_fmac_f32_e32 v112, v79, v112
	v_cndmask_b32_e64 v79, v80, v110, s2
	v_cmp_eq_u32_e64 s2, 4, v77
	v_lshl_or_b32 v80, v77, 11, v78
	s_delay_alu instid0(VALU_DEP_4) | instskip(NEXT) | instid1(VALU_DEP_4)
	v_mul_f32_e32 v110, v108, v112
	v_cndmask_b32_e64 v81, v79, v109, s3
	v_cmp_eq_u32_e64 s3, 6, v77
	s_delay_alu instid0(VALU_DEP_4) | instskip(SKIP_3) | instid1(VALU_DEP_3)
	v_lshl_or_b32 v77, v75, 4, v80
	v_lshlrev_b32_e32 v79, 2, v75
	v_fma_f32 v82, -v103, v110, v108
	v_cndmask_b32_e64 v83, v81, v106, s2
	v_or_b32_e32 v81, 1, v79
	s_delay_alu instid0(VALU_DEP_3) | instskip(NEXT) | instid1(VALU_DEP_3)
	v_fmac_f32_e32 v110, v82, v112
	v_cndmask_b32_e64 v104, v83, v104, s4
	v_or_b32_e32 v83, 2, v79
	v_or_b32_e32 v82, 3, v79
	v_cmp_eq_u32_e64 s2, 1, v79
	v_fma_f32 v103, -v103, v110, v108
	v_cndmask_b32_e64 v104, v104, v105, s3
	v_cmp_eq_u32_e64 s8, 1, v81
	v_cmp_eq_u32_e64 s9, 1, v83
	;; [unrolled: 1-line block ×3, first 2 shown]
	v_div_fmas_f32 v103, v103, v112, v110
	v_cndmask_b32_e64 v104, v104, v107, s5
	v_cmp_eq_u32_e32 vcc_lo, 2, v79
	v_cmp_eq_u32_e64 s11, 2, v81
	v_cmp_eq_u32_e64 s13, 2, v83
	v_div_fixup_f32 v102, v103, v102, 1.0
	v_cmp_eq_u32_e64 s15, 2, v82
	v_cmp_eq_u32_e64 s17, 3, v82
	;; [unrolled: 1-line block ×4, first 2 shown]
	v_mul_f32_e32 v110, v104, v102
	v_cmp_eq_u32_e64 s16, 3, v83
	v_cmp_eq_u32_e64 s21, 4, v82
	;; [unrolled: 1-line block ×4, first 2 shown]
	v_fma_mixlo_f16 v102, v110, v87, 0
	v_fma_mixlo_f16 v103, v110, v89, 0
	v_fma_mixlo_f16 v104, v110, v91, 0
	v_fma_mixlo_f16 v105, v110, v93, 0
	v_fma_mixlo_f16 v106, v110, v95, 0
	v_fma_mixlo_f16 v107, v110, v97, 0
	v_fma_mixlo_f16 v108, v110, v99, 0
	v_fma_mixlo_f16 v109, v110, v101, 0
	v_fma_mixhi_f16 v102, v110, v86, 0
	v_fma_mixhi_f16 v103, v110, v88, 0
	;; [unrolled: 1-line block ×8, first 2 shown]
	ds_store_b128 v77, v[102:105]
	ds_store_b128 v77, v[106:109] offset:1024
	s_waitcnt lgkmcnt(0)
	s_barrier
	buffer_gl0_inv
	ds_load_b128 v[86:89], v80
	ds_load_b128 v[90:93], v80 offset:16
	ds_load_b128 v[94:97], v80 offset:1024
	;; [unrolled: 1-line block ×3, first 2 shown]
	v_cmp_eq_u32_e64 s20, 4, v83
	v_cmp_eq_u32_e64 s23, 5, v82
	;; [unrolled: 1-line block ×13, first 2 shown]
	s_waitcnt lgkmcnt(3)
	v_lshrrev_b32_e32 v102, 16, v86
	s_waitcnt lgkmcnt(2)
	v_lshrrev_b32_e32 v106, 16, v90
	;; [unrolled: 2-line block ×4, first 2 shown]
	v_lshrrev_b32_e32 v103, 16, v87
	v_cndmask_b32_e64 v118, v86, v102, s2
	v_cndmask_b32_e64 v119, v90, v106, s2
	;; [unrolled: 1-line block ×8, first 2 shown]
	v_lshrrev_b32_e32 v107, 16, v91
	v_cndmask_b32_e64 v102, v94, v110, s2
	v_cndmask_b32_e64 v106, v98, v114, s2
	;; [unrolled: 1-line block ×5, first 2 shown]
	v_cndmask_b32_e32 v110, v118, v87, vcc_lo
	v_cndmask_b32_e64 v118, v120, v87, s11
	v_cndmask_b32_e64 v120, v122, v87, s13
	;; [unrolled: 1-line block ×4, first 2 shown]
	v_lshrrev_b32_e32 v111, 16, v95
	v_lshrrev_b32_e32 v115, 16, v99
	v_cndmask_b32_e64 v125, v98, v114, s8
	v_cndmask_b32_e64 v127, v98, v114, s9
	;; [unrolled: 1-line block ×3, first 2 shown]
	v_cndmask_b32_e32 v114, v119, v91, vcc_lo
	v_cndmask_b32_e64 v119, v121, v91, s11
	v_cndmask_b32_e64 v121, v123, v91, s13
	v_cndmask_b32_e32 v90, v102, v95, vcc_lo
	v_cndmask_b32_e32 v91, v106, v99, vcc_lo
	v_cndmask_b32_e64 v102, v124, v95, s11
	v_cndmask_b32_e64 v86, v86, v103, s17
	v_cndmask_b32_e64 v87, v87, v107, s17
	v_lshrrev_b32_e32 v104, 16, v88
	v_lshrrev_b32_e32 v108, 16, v92
	v_cndmask_b32_e64 v106, v126, v95, s13
	v_cndmask_b32_e64 v94, v94, v95, s15
	;; [unrolled: 1-line block ×14, first 2 shown]
	v_lshrrev_b32_e32 v112, 16, v96
	v_cndmask_b32_e64 v98, v98, v88, s4
	v_cndmask_b32_e64 v103, v110, v92, s4
	;; [unrolled: 1-line block ×11, first 2 shown]
	v_lshrrev_b32_e32 v105, 16, v89
	v_lshrrev_b32_e32 v109, 16, v93
	v_cndmask_b32_e64 v92, v98, v104, s5
	v_cndmask_b32_e64 v98, v103, v108, s5
	v_cndmask_b32_e64 v102, v107, v104, s19
	v_cndmask_b32_e64 v103, v110, v108, s19
	v_cndmask_b32_e64 v107, v114, v104, s22
	v_cndmask_b32_e64 v110, v118, v108, s22
	v_cndmask_b32_e64 v91, v91, v112, s19
	v_cndmask_b32_e64 v86, v86, v89, s26
	v_cndmask_b32_e64 v87, v87, v93, s26
	v_lshrrev_b32_e32 v113, 16, v97
	v_cndmask_b32_e64 v88, v88, v112, s5
	v_cndmask_b32_e64 v92, v92, v89, s6
	;; [unrolled: 1-line block ×19, first 2 shown]
	v_perm_b32 v89, v87, v86, 0x5040100
	v_cndmask_b32_e64 v86, v125, v99, s11
	v_cndmask_b32_e64 v104, v88, v113, s7
	v_perm_b32 v88, v102, v98, 0x5040100
	v_perm_b32 v87, v103, v93, 0x5040100
	v_cndmask_b32_e64 v93, v106, v111, s16
	v_cndmask_b32_e64 v94, v94, v111, s17
	;; [unrolled: 1-line block ×5, first 2 shown]
	v_lshrrev_b32_e32 v116, 16, v100
	v_cndmask_b32_e64 v93, v93, v96, s20
	v_cndmask_b32_e64 v94, v94, v96, s21
	;; [unrolled: 1-line block ×11, first 2 shown]
	v_lshrrev_b32_e32 v117, 16, v101
	v_cndmask_b32_e64 v90, v90, v101, s6
	v_cndmask_b32_e64 v93, v93, v97, s25
	;; [unrolled: 1-line block ×12, first 2 shown]
	v_perm_b32 v86, v92, v91, 0x5040100
	v_perm_b32 v93, v94, v93, 0x5040100
	;; [unrolled: 1-line block ×5, first 2 shown]
	s_lshl_b32 s6, s33, 4
	s_mov_b32 s2, exec_lo
	ds_store_b128 v77, v[86:89]
	ds_store_b128 v77, v[90:93] offset:1024
	v_cmpx_gt_u32_e32 16, v0
	s_cbranch_execz .LBB361_16
; %bb.15:
	v_or_b32_e32 v86, s31, v0
	s_load_b128 s[8:11], s[0:1], 0x58
	s_delay_alu instid0(VALU_DEP_1) | instskip(NEXT) | instid1(VALU_DEP_1)
	v_mad_u64_u32 v[87:88], null, s6, s30, v[86:87]
	v_mad_u64_u32 v[88:89], null, v87, s34, s[14:15]
	s_delay_alu instid0(VALU_DEP_1) | instskip(NEXT) | instid1(VALU_DEP_1)
	v_ashrrev_i32_e32 v89, 31, v88
	v_lshlrev_b64 v[86:87], 2, v[88:89]
	s_waitcnt lgkmcnt(0)
	s_delay_alu instid0(VALU_DEP_1) | instskip(NEXT) | instid1(VALU_DEP_2)
	v_add_co_u32 v88, vcc_lo, s10, v86
	v_add_co_ci_u32_e32 v89, vcc_lo, s11, v87, vcc_lo
	v_add_co_u32 v86, vcc_lo, s8, v86
	v_add_co_ci_u32_e32 v87, vcc_lo, s9, v87, vcc_lo
	global_store_b32 v[88:89], v84, off
	global_store_b32 v[86:87], v85, off
.LBB361_16:
	s_or_b32 exec_lo, exec_lo, s2
	s_waitcnt lgkmcnt(0)
	s_waitcnt_vscnt null, 0x0
	s_barrier
	buffer_gl0_inv
	ds_load_b128 v[92:95], v78
	ds_load_b128 v[96:99], v78 offset:16
	ds_load_b128 v[104:107], v78 offset:1040
	;; [unrolled: 1-line block ×5, first 2 shown]
	v_cmp_eq_u32_e32 vcc_lo, 1, v83
	v_mov_b32_e32 v84, 0
	ds_load_b128 v[120:123], v78 offset:3088
	ds_load_b128 v[116:119], v78 offset:3072
	ds_load_b128 v[128:131], v78 offset:4112
	ds_load_b128 v[124:127], v78 offset:4096
	v_cmp_eq_u32_e64 s2, 1, v79
	v_cmp_eq_u32_e64 s3, 1, v82
	;; [unrolled: 1-line block ×3, first 2 shown]
	v_mov_b32_e32 v85, v84
	v_mov_b32_e32 v86, v84
	;; [unrolled: 1-line block ×7, first 2 shown]
	v_cmp_eq_u32_e64 s5, 2, v79
	s_waitcnt lgkmcnt(8)
	s_delay_alu instid0(VALU_DEP_2)
	v_wmma_f32_16x16x16_f16 v[84:91], v[65:72], v[92:99], v[84:91]
	ds_load_b128 v[69:72], v78 offset:5136
	ds_load_b128 v[65:68], v78 offset:5120
	;; [unrolled: 1-line block ×4, first 2 shown]
	s_waitcnt lgkmcnt(10)
	v_wmma_f32_16x16x16_f16 v[84:91], v[57:64], v[100:107], v[84:91]
	s_waitcnt lgkmcnt(8)
	s_delay_alu instid0(VALU_DEP_1)
	v_wmma_f32_16x16x16_f16 v[84:91], v[57:64], v[108:115], v[84:91]
	ds_load_b128 v[61:64], v78 offset:7184
	ds_load_b128 v[57:60], v78 offset:7168
	ds_load_b128 v[104:107], v78 offset:8208
	ds_load_b128 v[100:103], v78 offset:8192
	s_waitcnt lgkmcnt(10)
	v_wmma_f32_16x16x16_f16 v[84:91], v[49:56], v[116:123], v[84:91]
	s_waitcnt lgkmcnt(8)
	s_delay_alu instid0(VALU_DEP_1)
	v_wmma_f32_16x16x16_f16 v[84:91], v[49:56], v[124:131], v[84:91]
	ds_load_b128 v[53:56], v78 offset:9232
	ds_load_b128 v[49:52], v78 offset:9216
	s_waitcnt lgkmcnt(8)
	v_wmma_f32_16x16x16_f16 v[84:91], v[33:40], v[65:72], v[84:91]
	ds_load_b128 v[69:72], v78 offset:10256
	ds_load_b128 v[65:68], v78 offset:10240
	s_waitcnt lgkmcnt(8)
	;; [unrolled: 4-line block ×7, first 2 shown]
	s_barrier
	buffer_gl0_inv
	v_wmma_f32_16x16x16_f16 v[84:91], v[25:32], v[33:40], v[84:91]
	s_delay_alu instid0(VALU_DEP_1) | instskip(NEXT) | instid1(VALU_DEP_1)
	v_wmma_f32_16x16x16_f16 v[84:91], v[25:32], v[57:64], v[84:91]
	v_wmma_f32_16x16x16_f16 v[84:91], v[41:48], v[9:16], v[84:91]
	s_delay_alu instid0(VALU_DEP_1) | instskip(NEXT) | instid1(VALU_DEP_1)
	v_wmma_f32_16x16x16_f16 v[84:91], v[41:48], v[49:56], v[84:91]
	v_wmma_f32_16x16x16_f16 v[84:91], v[17:24], v[1:8], v[84:91]
	s_delay_alu instid0(VALU_DEP_1) | instskip(NEXT) | instid1(VALU_DEP_2)
	v_cvt_f16_f32_e32 v1, v84
	v_cvt_f16_f32_e32 v2, v85
	s_delay_alu instid0(VALU_DEP_3) | instskip(NEXT) | instid1(VALU_DEP_4)
	v_cvt_f16_f32_e32 v3, v86
	v_cvt_f16_f32_e32 v4, v87
	;; [unrolled: 1-line block ×6, first 2 shown]
	v_pack_b32_f16 v1, v1, v2
	v_pack_b32_f16 v2, v3, v4
	;; [unrolled: 1-line block ×3, first 2 shown]
	s_delay_alu instid0(VALU_DEP_4)
	v_pack_b32_f16 v4, v7, v8
	ds_store_b128 v77, v[1:4]
	s_waitcnt lgkmcnt(0)
	s_barrier
	buffer_gl0_inv
	ds_load_b128 v[1:4], v80
	ds_load_b128 v[5:8], v80 offset:16
	s_waitcnt lgkmcnt(1)
	v_lshrrev_b32_e32 v9, 16, v1
	s_waitcnt lgkmcnt(0)
	v_lshrrev_b32_e32 v13, 16, v5
	v_lshrrev_b32_e32 v10, 16, v2
	;; [unrolled: 1-line block ×4, first 2 shown]
	v_cndmask_b32_e64 v17, v1, v9, s2
	v_cndmask_b32_e64 v18, v5, v13, s2
	;; [unrolled: 1-line block ×3, first 2 shown]
	v_cmp_eq_u32_e64 s2, 2, v81
	v_cndmask_b32_e64 v20, v5, v13, s4
	v_cndmask_b32_e32 v21, v1, v9, vcc_lo
	v_cndmask_b32_e32 v22, v5, v13, vcc_lo
	v_cndmask_b32_e64 v1, v1, v9, s3
	v_cndmask_b32_e64 v5, v5, v13, s3
	v_cmp_eq_u32_e32 vcc_lo, 2, v83
	v_cmp_eq_u32_e64 s3, 2, v82
	v_cndmask_b32_e64 v9, v17, v2, s5
	v_cndmask_b32_e64 v13, v18, v6, s5
	;; [unrolled: 1-line block ×4, first 2 shown]
	v_cndmask_b32_e32 v19, v21, v2, vcc_lo
	v_cmp_eq_u32_e64 s2, 3, v83
	v_cndmask_b32_e32 v20, v22, v6, vcc_lo
	v_cndmask_b32_e64 v1, v1, v2, s3
	v_cmp_eq_u32_e32 vcc_lo, 3, v82
	v_cmp_eq_u32_e64 s4, 3, v79
	v_cndmask_b32_e64 v2, v5, v6, s3
	v_cmp_eq_u32_e64 s3, 3, v81
	v_cmp_eq_u32_e64 s5, 4, v79
	v_cndmask_b32_e32 v1, v1, v10, vcc_lo
	v_cndmask_b32_e64 v5, v9, v10, s4
	v_cndmask_b32_e64 v6, v13, v14, s4
	;; [unrolled: 1-line block ×3, first 2 shown]
	v_cmp_eq_u32_e64 s4, 4, v81
	v_cndmask_b32_e64 v13, v18, v14, s3
	v_cndmask_b32_e64 v17, v19, v10, s2
	;; [unrolled: 1-line block ×3, first 2 shown]
	v_cndmask_b32_e32 v2, v2, v14, vcc_lo
	v_cmp_eq_u32_e32 vcc_lo, 4, v83
	v_cmp_eq_u32_e64 s3, 4, v82
	v_lshrrev_b32_e32 v15, 16, v7
	v_cndmask_b32_e64 v5, v5, v3, s5
	v_cndmask_b32_e64 v6, v6, v7, s5
	v_cndmask_b32_e32 v14, v18, v7, vcc_lo
	v_cndmask_b32_e64 v9, v9, v3, s4
	v_cndmask_b32_e64 v10, v13, v7, s4
	v_cndmask_b32_e32 v13, v17, v3, vcc_lo
	v_cmp_eq_u32_e64 s2, 5, v83
	v_cndmask_b32_e64 v1, v1, v3, s3
	v_cmp_eq_u32_e32 vcc_lo, 5, v82
	v_cmp_eq_u32_e64 s4, 5, v79
	v_cndmask_b32_e64 v2, v2, v7, s3
	v_cmp_eq_u32_e64 s3, 5, v81
	v_cmp_eq_u32_e64 s5, 6, v79
	v_lshrrev_b32_e32 v12, 16, v4
	v_cndmask_b32_e64 v3, v5, v11, s4
	v_cndmask_b32_e64 v5, v6, v15, s4
	;; [unrolled: 1-line block ×3, first 2 shown]
	v_cmp_eq_u32_e64 s4, 6, v81
	v_cndmask_b32_e64 v7, v10, v15, s3
	v_cndmask_b32_e64 v9, v13, v11, s2
	;; [unrolled: 1-line block ×3, first 2 shown]
	v_cndmask_b32_e32 v1, v1, v11, vcc_lo
	v_cndmask_b32_e32 v2, v2, v15, vcc_lo
	v_cmp_eq_u32_e32 vcc_lo, 6, v83
	v_cmp_eq_u32_e64 s2, 6, v82
	v_lshrrev_b32_e32 v16, 16, v8
	v_cndmask_b32_e64 v3, v3, v4, s5
	v_cndmask_b32_e64 v5, v5, v8, s5
	v_cndmask_b32_e32 v9, v9, v4, vcc_lo
	v_cndmask_b32_e64 v6, v6, v4, s4
	v_cndmask_b32_e64 v7, v7, v8, s4
	v_cmp_eq_u32_e64 s3, 7, v83
	v_cndmask_b32_e32 v10, v10, v8, vcc_lo
	v_cndmask_b32_e64 v1, v1, v4, s2
	v_cmp_eq_u32_e32 vcc_lo, 7, v82
	v_cndmask_b32_e64 v2, v2, v8, s2
	v_cmp_eq_u32_e64 s2, 7, v79
	v_cmp_eq_u32_e64 s4, 7, v81
	v_cndmask_b32_e32 v1, v1, v12, vcc_lo
	s_delay_alu instid0(VALU_DEP_4) | instskip(NEXT) | instid1(VALU_DEP_4)
	v_cndmask_b32_e32 v2, v2, v16, vcc_lo
	v_cndmask_b32_e64 v8, v3, v12, s2
	s_delay_alu instid0(VALU_DEP_4)
	v_cndmask_b32_e64 v6, v6, v12, s4
	v_cndmask_b32_e64 v3, v9, v12, s3
	;; [unrolled: 1-line block ×5, first 2 shown]
	v_perm_b32 v4, v2, v1, 0x5040100
	s_mov_b32 s2, exec_lo
	v_perm_b32 v3, v9, v3, 0x5040100
	v_perm_b32 v2, v7, v6, 0x5040100
	;; [unrolled: 1-line block ×3, first 2 shown]
	ds_store_b128 v77, v[1:4]
	s_waitcnt lgkmcnt(0)
	s_barrier
	buffer_gl0_inv
	v_cmpx_gt_u32_e32 32, v0
	s_cbranch_execz .LBB361_2
; %bb.17:
	s_load_b64 s[0:1], s[0:1], 0x68
	v_lshlrev_b32_e32 v0, 10, v0
	s_lshl_b32 s4, s34, 7
	v_or_b32_e32 v23, s31, v75
	s_mul_i32 s2, s4, s30
	v_lshlrev_b32_e32 v1, 4, v76
	v_lshlrev_b32_e32 v2, 6, v75
	s_mul_i32 s2, s2, s6
	v_and_b32_e32 v0, 0x3800, v0
	v_mul_lo_u32 v8, v23, s4
	s_ashr_i32 s3, s2, 31
	v_or_b32_e32 v3, 2, v23
	s_lshl_b64 s[2:3], s[2:3], 1
	v_or3_b32 v27, v0, v1, v2
	v_or_b32_e32 v11, 4, v23
	v_or_b32_e32 v18, 6, v23
	v_mul_lo_u32 v10, v3, s4
	v_ashrrev_i32_e32 v9, 31, v8
	ds_load_b128 v[0:3], v27
	ds_load_b128 v[4:7], v27 offset:128
	v_mul_lo_u32 v12, v11, s4
	s_waitcnt lgkmcnt(0)
	s_add_u32 s2, s0, s2
	s_addc_u32 s3, s1, s3
	s_lshl_b32 s0, s14, 7
	v_lshlrev_b64 v[8:9], 1, v[8:9]
	s_ashr_i32 s1, s0, 31
	v_ashrrev_i32_e32 v11, 31, v10
	s_lshl_b64 s[0:1], s[0:1], 1
	v_ashrrev_i32_e32 v13, 31, v12
	s_add_u32 s0, s2, s0
	s_addc_u32 s1, s3, s1
	v_add_co_u32 v30, vcc_lo, s0, v73
	v_add_co_ci_u32_e32 v31, vcc_lo, s1, v74, vcc_lo
	v_lshlrev_b64 v[16:17], 1, v[10:11]
	s_delay_alu instid0(VALU_DEP_3) | instskip(NEXT) | instid1(VALU_DEP_3)
	v_add_co_u32 v14, vcc_lo, v30, v8
	v_add_co_ci_u32_e32 v15, vcc_lo, v31, v9, vcc_lo
	ds_load_b128 v[8:11], v27 offset:256
	v_mul_lo_u32 v18, v18, s4
	v_or_b32_e32 v19, 8, v23
	v_add_co_u32 v16, vcc_lo, v30, v16
	global_store_b128 v[14:15], v[0:3], off
	v_lshlrev_b64 v[0:1], 1, v[12:13]
	v_add_co_ci_u32_e32 v17, vcc_lo, v31, v17, vcc_lo
	v_mul_lo_u32 v12, v19, s4
	v_ashrrev_i32_e32 v19, 31, v18
	v_or_b32_e32 v14, 10, v23
	global_store_b128 v[16:17], v[4:7], off
	v_add_co_u32 v4, vcc_lo, v30, v0
	v_add_co_ci_u32_e32 v5, vcc_lo, v31, v1, vcc_lo
	ds_load_b128 v[0:3], v27 offset:384
	v_ashrrev_i32_e32 v13, 31, v12
	v_lshlrev_b64 v[6:7], 1, v[18:19]
	v_mul_lo_u32 v14, v14, s4
	s_waitcnt lgkmcnt(1)
	global_store_b128 v[4:5], v[8:11], off
	v_or_b32_e32 v8, 12, v23
	v_lshlrev_b64 v[4:5], 1, v[12:13]
	v_add_co_u32 v20, vcc_lo, v30, v6
	v_or_b32_e32 v6, 14, v23
	v_ashrrev_i32_e32 v15, 31, v14
	v_mul_lo_u32 v22, v8, s4
	v_add_co_ci_u32_e32 v21, vcc_lo, v31, v7, vcc_lo
	v_add_co_u32 v24, vcc_lo, v30, v4
	v_mul_lo_u32 v26, v6, s4
	v_add_co_ci_u32_e32 v25, vcc_lo, v31, v5, vcc_lo
	v_lshlrev_b64 v[28:29], 1, v[14:15]
	ds_load_b128 v[4:7], v27 offset:512
	ds_load_b128 v[8:11], v27 offset:640
	;; [unrolled: 1-line block ×4, first 2 shown]
	v_ashrrev_i32_e32 v23, 31, v22
	v_ashrrev_i32_e32 v27, 31, v26
	v_add_co_u32 v28, vcc_lo, v30, v28
	s_delay_alu instid0(VALU_DEP_3) | instskip(SKIP_1) | instid1(VALU_DEP_4)
	v_lshlrev_b64 v[22:23], 1, v[22:23]
	v_add_co_ci_u32_e32 v29, vcc_lo, v31, v29, vcc_lo
	v_lshlrev_b64 v[26:27], 1, v[26:27]
	s_delay_alu instid0(VALU_DEP_3) | instskip(NEXT) | instid1(VALU_DEP_4)
	v_add_co_u32 v22, vcc_lo, v30, v22
	v_add_co_ci_u32_e32 v23, vcc_lo, v31, v23, vcc_lo
	s_delay_alu instid0(VALU_DEP_3) | instskip(NEXT) | instid1(VALU_DEP_4)
	v_add_co_u32 v26, vcc_lo, v30, v26
	v_add_co_ci_u32_e32 v27, vcc_lo, v31, v27, vcc_lo
	s_waitcnt lgkmcnt(4)
	global_store_b128 v[20:21], v[0:3], off
	s_waitcnt lgkmcnt(3)
	global_store_b128 v[24:25], v[4:7], off
	;; [unrolled: 2-line block ×5, first 2 shown]
	s_nop 0
	s_sendmsg sendmsg(MSG_DEALLOC_VGPRS)
	s_endpgm
	.section	.rodata,"a",@progbits
	.p2align	6, 0x0
	.amdhsa_kernel _Z39paged_attention_ll4mi_QKV_mfma16_kernelIDF16_DF16_LN4vllm18Fp8KVCacheDataTypeE0EDF16_Li32ELi128ELi256ELb1ELi16EL8MFMAType0EEvPKT_PKT0_S8_ifPKiSA_SA_iPKfiiiPfSD_PS3_PT2_iSC_SC_
		.amdhsa_group_segment_fixed_size 17472
		.amdhsa_private_segment_fixed_size 0
		.amdhsa_kernarg_size 400
		.amdhsa_user_sgpr_count 13
		.amdhsa_user_sgpr_dispatch_ptr 0
		.amdhsa_user_sgpr_queue_ptr 0
		.amdhsa_user_sgpr_kernarg_segment_ptr 1
		.amdhsa_user_sgpr_dispatch_id 0
		.amdhsa_user_sgpr_private_segment_size 0
		.amdhsa_wavefront_size32 1
		.amdhsa_uses_dynamic_stack 0
		.amdhsa_enable_private_segment 0
		.amdhsa_system_sgpr_workgroup_id_x 1
		.amdhsa_system_sgpr_workgroup_id_y 1
		.amdhsa_system_sgpr_workgroup_id_z 1
		.amdhsa_system_sgpr_workgroup_info 0
		.amdhsa_system_vgpr_workitem_id 0
		.amdhsa_next_free_vgpr 171
		.amdhsa_next_free_sgpr 38
		.amdhsa_reserve_vcc 1
		.amdhsa_float_round_mode_32 0
		.amdhsa_float_round_mode_16_64 0
		.amdhsa_float_denorm_mode_32 3
		.amdhsa_float_denorm_mode_16_64 3
		.amdhsa_dx10_clamp 1
		.amdhsa_ieee_mode 1
		.amdhsa_fp16_overflow 0
		.amdhsa_workgroup_processor_mode 1
		.amdhsa_memory_ordered 1
		.amdhsa_forward_progress 0
		.amdhsa_shared_vgpr_count 0
		.amdhsa_exception_fp_ieee_invalid_op 0
		.amdhsa_exception_fp_denorm_src 0
		.amdhsa_exception_fp_ieee_div_zero 0
		.amdhsa_exception_fp_ieee_overflow 0
		.amdhsa_exception_fp_ieee_underflow 0
		.amdhsa_exception_fp_ieee_inexact 0
		.amdhsa_exception_int_div_zero 0
	.end_amdhsa_kernel
	.section	.text._Z39paged_attention_ll4mi_QKV_mfma16_kernelIDF16_DF16_LN4vllm18Fp8KVCacheDataTypeE0EDF16_Li32ELi128ELi256ELb1ELi16EL8MFMAType0EEvPKT_PKT0_S8_ifPKiSA_SA_iPKfiiiPfSD_PS3_PT2_iSC_SC_,"axG",@progbits,_Z39paged_attention_ll4mi_QKV_mfma16_kernelIDF16_DF16_LN4vllm18Fp8KVCacheDataTypeE0EDF16_Li32ELi128ELi256ELb1ELi16EL8MFMAType0EEvPKT_PKT0_S8_ifPKiSA_SA_iPKfiiiPfSD_PS3_PT2_iSC_SC_,comdat
.Lfunc_end361:
	.size	_Z39paged_attention_ll4mi_QKV_mfma16_kernelIDF16_DF16_LN4vllm18Fp8KVCacheDataTypeE0EDF16_Li32ELi128ELi256ELb1ELi16EL8MFMAType0EEvPKT_PKT0_S8_ifPKiSA_SA_iPKfiiiPfSD_PS3_PT2_iSC_SC_, .Lfunc_end361-_Z39paged_attention_ll4mi_QKV_mfma16_kernelIDF16_DF16_LN4vllm18Fp8KVCacheDataTypeE0EDF16_Li32ELi128ELi256ELb1ELi16EL8MFMAType0EEvPKT_PKT0_S8_ifPKiSA_SA_iPKfiiiPfSD_PS3_PT2_iSC_SC_
                                        ; -- End function
	.section	.AMDGPU.csdata,"",@progbits
; Kernel info:
; codeLenInByte = 7728
; NumSgprs: 40
; NumVgprs: 171
; ScratchSize: 0
; MemoryBound: 0
; FloatMode: 240
; IeeeMode: 1
; LDSByteSize: 17472 bytes/workgroup (compile time only)
; SGPRBlocks: 4
; VGPRBlocks: 21
; NumSGPRsForWavesPerEU: 40
; NumVGPRsForWavesPerEU: 171
; Occupancy: 8
; WaveLimiterHint : 1
; COMPUTE_PGM_RSRC2:SCRATCH_EN: 0
; COMPUTE_PGM_RSRC2:USER_SGPR: 13
; COMPUTE_PGM_RSRC2:TRAP_HANDLER: 0
; COMPUTE_PGM_RSRC2:TGID_X_EN: 1
; COMPUTE_PGM_RSRC2:TGID_Y_EN: 1
; COMPUTE_PGM_RSRC2:TGID_Z_EN: 1
; COMPUTE_PGM_RSRC2:TIDIG_COMP_CNT: 0
	.section	.text._Z39paged_attention_ll4mi_QKV_mfma16_kernelIDF16_DF16_LN4vllm18Fp8KVCacheDataTypeE0EDF16_Li32ELi128ELi256ELb1ELi1EL8MFMAType0EEvPKT_PKT0_S8_ifPKiSA_SA_iPKfiiiPfSD_PS3_PT2_iSC_SC_,"axG",@progbits,_Z39paged_attention_ll4mi_QKV_mfma16_kernelIDF16_DF16_LN4vllm18Fp8KVCacheDataTypeE0EDF16_Li32ELi128ELi256ELb1ELi1EL8MFMAType0EEvPKT_PKT0_S8_ifPKiSA_SA_iPKfiiiPfSD_PS3_PT2_iSC_SC_,comdat
	.protected	_Z39paged_attention_ll4mi_QKV_mfma16_kernelIDF16_DF16_LN4vllm18Fp8KVCacheDataTypeE0EDF16_Li32ELi128ELi256ELb1ELi1EL8MFMAType0EEvPKT_PKT0_S8_ifPKiSA_SA_iPKfiiiPfSD_PS3_PT2_iSC_SC_ ; -- Begin function _Z39paged_attention_ll4mi_QKV_mfma16_kernelIDF16_DF16_LN4vllm18Fp8KVCacheDataTypeE0EDF16_Li32ELi128ELi256ELb1ELi1EL8MFMAType0EEvPKT_PKT0_S8_ifPKiSA_SA_iPKfiiiPfSD_PS3_PT2_iSC_SC_
	.globl	_Z39paged_attention_ll4mi_QKV_mfma16_kernelIDF16_DF16_LN4vllm18Fp8KVCacheDataTypeE0EDF16_Li32ELi128ELi256ELb1ELi1EL8MFMAType0EEvPKT_PKT0_S8_ifPKiSA_SA_iPKfiiiPfSD_PS3_PT2_iSC_SC_
	.p2align	8
	.type	_Z39paged_attention_ll4mi_QKV_mfma16_kernelIDF16_DF16_LN4vllm18Fp8KVCacheDataTypeE0EDF16_Li32ELi128ELi256ELb1ELi1EL8MFMAType0EEvPKT_PKT0_S8_ifPKiSA_SA_iPKfiiiPfSD_PS3_PT2_iSC_SC_,@function
_Z39paged_attention_ll4mi_QKV_mfma16_kernelIDF16_DF16_LN4vllm18Fp8KVCacheDataTypeE0EDF16_Li32ELi128ELi256ELb1ELi1EL8MFMAType0EEvPKT_PKT0_S8_ifPKiSA_SA_iPKfiiiPfSD_PS3_PT2_iSC_SC_: ; @_Z39paged_attention_ll4mi_QKV_mfma16_kernelIDF16_DF16_LN4vllm18Fp8KVCacheDataTypeE0EDF16_Li32ELi128ELi256ELb1ELi1EL8MFMAType0EEvPKT_PKT0_S8_ifPKiSA_SA_iPKfiiiPfSD_PS3_PT2_iSC_SC_
; %bb.0:
	s_load_b64 s[4:5], s[0:1], 0x30
	s_mov_b32 s34, s13
	s_waitcnt lgkmcnt(0)
	s_cmp_lg_u64 s[4:5], 0
	s_cselect_b32 s6, -1, 0
	s_ashr_i32 s35, s13, 31
	s_cmp_eq_u64 s[4:5], 0
	s_cbranch_scc1 .LBB362_3
; %bb.1:
	s_lshl_b64 s[2:3], s[34:35], 2
	s_delay_alu instid0(SALU_CYCLE_1) | instskip(SKIP_4) | instid1(SALU_CYCLE_1)
	s_add_u32 s2, s4, s2
	s_addc_u32 s3, s5, s3
	s_load_b64 s[2:3], s[2:3], 0x0
	s_waitcnt lgkmcnt(0)
	s_sub_i32 s2, s3, s2
	s_cmp_eq_u32 s2, 1
	s_cselect_b32 s2, -1, 0
	s_delay_alu instid0(SALU_CYCLE_1)
	s_and_not1_b32 vcc_lo, exec_lo, s2
	s_cbranch_vccz .LBB362_4
.LBB362_2:
	s_endpgm
.LBB362_3:
.LBB362_4:
	s_load_b64 s[2:3], s[0:1], 0x28
	s_lshl_b64 s[8:9], s[34:35], 2
	s_waitcnt lgkmcnt(0)
	s_add_u32 s2, s2, s8
	s_addc_u32 s3, s3, s9
	s_lshl_b32 s84, s14, 8
	s_load_b32 s33, s[2:3], 0x0
	s_waitcnt lgkmcnt(0)
	s_cmp_ge_i32 s84, s33
	s_cbranch_scc1 .LBB362_2
; %bb.5:
	s_clause 0x1
	s_load_b128 s[80:83], s[0:1], 0x8
	s_load_b64 s[2:3], s[0:1], 0x20
	s_and_not1_b32 vcc_lo, exec_lo, s6
	s_mov_b64 s[6:7], s[34:35]
	s_cbranch_vccnz .LBB362_7
; %bb.6:
	s_add_u32 s4, s4, s8
	s_addc_u32 s5, s5, s9
	s_load_b32 s6, s[4:5], 0x0
.LBB362_7:
	s_load_b128 s[76:79], s[0:1], 0x48
	v_and_b32_e32 v81, 15, v0
	s_mov_b32 s12, exec_lo
                                        ; implicit-def: $sgpr52
                                        ; implicit-def: $sgpr36
                                        ; implicit-def: $sgpr44
                                        ; implicit-def: $sgpr60
                                        ; implicit-def: $sgpr68
                                        ; implicit-def: $sgpr24
                                        ; implicit-def: $sgpr4
                                        ; implicit-def: $sgpr16
	s_delay_alu instid0(VALU_DEP_1)
	v_cmpx_eq_u32_e32 0, v81
	s_cbranch_execz .LBB362_9
; %bb.8:
	s_load_b64 s[4:5], s[0:1], 0x0
	s_waitcnt lgkmcnt(0)
	s_mul_hi_i32 s7, s6, s76
	s_mul_i32 s6, s6, s76
	s_delay_alu instid0(SALU_CYCLE_1) | instskip(NEXT) | instid1(SALU_CYCLE_1)
	s_lshl_b64 s[6:7], s[6:7], 1
	s_add_u32 s6, s4, s6
	s_addc_u32 s7, s5, s7
	s_lshl_b32 s4, s15, 7
	s_delay_alu instid0(SALU_CYCLE_1) | instskip(NEXT) | instid1(SALU_CYCLE_1)
	s_ashr_i32 s5, s4, 31
	s_lshl_b64 s[4:5], s[4:5], 1
	s_delay_alu instid0(SALU_CYCLE_1)
	s_add_u32 s16, s6, s4
	s_addc_u32 s17, s7, s5
	s_clause 0x7
	s_load_b256 s[52:59], s[16:17], 0x0
	s_load_b256 s[36:43], s[16:17], 0x20
	;; [unrolled: 1-line block ×8, first 2 shown]
.LBB362_9:
	s_or_b32 exec_lo, exec_lo, s12
	v_and_b32_e32 v1, 0xef, v0
	s_add_i32 s35, s33, 31
	s_load_b32 s13, s[0:1], 0x38
	s_waitcnt lgkmcnt(0)
	s_ashr_i32 s76, s35, 31
	s_mul_i32 s12, s15, s78
	s_load_b32 s78, s[0:1], 0x1c
	v_add_nc_u32_e32 v2, s84, v1
	s_lshr_b32 s76, s76, 27
	v_lshrrev_b32_e32 v84, 5, v0
	s_add_i32 s35, s35, s76
	v_mov_b32_e32 v164, s31
	v_ashrrev_i32_e32 v1, 31, v2
	v_cmp_gt_i32_e32 vcc_lo, s33, v2
	s_ashr_i32 s79, s35, 5
	v_mov_b32_e32 v163, s30
	s_add_i32 s79, s79, -1
	v_lshrrev_b32_e32 v3, 27, v1
	v_dual_mov_b32 v162, s29 :: v_dual_mov_b32 v161, s28
	v_dual_mov_b32 v160, s27 :: v_dual_mov_b32 v159, s26
	s_delay_alu instid0(VALU_DEP_3)
	v_add_nc_u32_e32 v1, v2, v3
	v_or_b32_e32 v2, 16, v2
	s_mul_i32 s86, s34, s13
	v_mov_b32_e32 v158, s25
	s_ashr_i32 s87, s86, 31
	v_ashrrev_i32_e32 v1, 5, v1
	v_add_nc_u32_e32 v3, v2, v3
	s_lshl_b64 s[86:87], s[86:87], 2
	v_mov_b32_e32 v157, s24
	s_add_u32 s35, s2, s86
	v_cndmask_b32_e32 v1, s79, v1, vcc_lo
	v_ashrrev_i32_e32 v3, 5, v3
	v_cmp_gt_i32_e32 vcc_lo, s33, v2
	s_addc_u32 s76, s3, s87
	s_ashr_i32 s13, s12, 31
	v_ashrrev_i32_e32 v2, 31, v1
	s_lshl_b64 s[2:3], s[12:13], 1
	v_cndmask_b32_e32 v3, s79, v3, vcc_lo
	s_add_u32 s85, s80, s2
	s_addc_u32 s94, s81, s3
	v_lshlrev_b64 v[1:2], 2, v[1:2]
	s_lshl_b32 s12, s14, 3
	v_ashrrev_i32_e32 v4, 31, v3
	s_ashr_i32 s13, s12, 31
	s_delay_alu instid0(SALU_CYCLE_1) | instskip(NEXT) | instid1(VALU_DEP_2)
	s_lshl_b64 s[12:13], s[12:13], 2
	v_add_co_u32 v1, vcc_lo, s35, v1
	s_delay_alu instid0(VALU_DEP_2) | instskip(SKIP_4) | instid1(VALU_DEP_2)
	v_lshlrev_b64 v[3:4], 2, v[3:4]
	v_add_co_ci_u32_e32 v2, vcc_lo, s76, v2, vcc_lo
	s_add_u32 s12, s35, s12
	s_addc_u32 s13, s76, s13
	s_or_b32 s80, s84, 32
	v_add_co_u32 v3, vcc_lo, s35, v3
	v_add_co_ci_u32_e32 v4, vcc_lo, s76, v4, vcc_lo
	s_clause 0x1
	global_load_b32 v5, v[1:2], off
	global_load_b32 v6, v[3:4], off
	s_ashr_i32 s81, s80, 5
	s_cmp_lt_i32 s80, s33
	s_cselect_b32 s80, s81, s79
	s_delay_alu instid0(SALU_CYCLE_1) | instskip(NEXT) | instid1(SALU_CYCLE_1)
	s_ashr_i32 s81, s80, 31
	s_lshl_b64 s[80:81], s[80:81], 2
	s_delay_alu instid0(SALU_CYCLE_1) | instskip(SKIP_2) | instid1(SALU_CYCLE_1)
	s_add_u32 s80, s35, s80
	s_addc_u32 s81, s76, s81
	s_or_b32 s86, s84, 64
	s_ashr_i32 s87, s86, 5
	s_cmp_lt_i32 s86, s33
	s_cselect_b32 s86, s87, s79
	s_delay_alu instid0(SALU_CYCLE_1) | instskip(NEXT) | instid1(SALU_CYCLE_1)
	s_ashr_i32 s87, s86, 31
	s_lshl_b64 s[86:87], s[86:87], 2
	s_delay_alu instid0(SALU_CYCLE_1) | instskip(SKIP_2) | instid1(SALU_CYCLE_1)
	s_add_u32 s86, s35, s86
	s_addc_u32 s87, s76, s87
	s_or_b32 s88, s84, 0x60
	;; [unrolled: 10-line block ×4, first 2 shown]
	s_ashr_i32 s93, s92, 5
	s_cmp_lt_i32 s92, s33
	s_cselect_b32 s92, s93, s79
	s_delay_alu instid0(SALU_CYCLE_1) | instskip(NEXT) | instid1(SALU_CYCLE_1)
	s_ashr_i32 s93, s92, 31
	s_lshl_b64 s[92:93], s[92:93], 2
	s_delay_alu instid0(SALU_CYCLE_1)
	s_add_u32 s92, s35, s92
	s_addc_u32 s93, s76, s93
	s_clause 0x5
	s_load_b32 s13, s[12:13], 0x0
	s_load_b32 s80, s[80:81], 0x0
	;; [unrolled: 1-line block ×6, first 2 shown]
	s_mov_b32 s88, 0
	s_delay_alu instid0(SALU_CYCLE_1)
	s_mov_b32 s89, s88
	s_mov_b32 s90, s88
	;; [unrolled: 1-line block ×6, first 2 shown]
	s_waitcnt lgkmcnt(0)
	s_mul_hi_i32 s27, s13, s77
	s_mul_i32 s26, s13, s77
	s_mul_hi_i32 s29, s80, s77
	s_mul_i32 s28, s80, s77
	s_waitcnt vmcnt(1)
	v_mad_i64_i32 v[1:2], null, v5, s77, 0
	s_waitcnt vmcnt(0)
	v_mad_i64_i32 v[3:4], null, v6, s77, 0
	v_lshlrev_b32_e32 v5, 4, v81
	s_delay_alu instid0(VALU_DEP_3) | instskip(NEXT) | instid1(VALU_DEP_3)
	v_lshlrev_b64 v[1:2], 1, v[1:2]
	v_lshlrev_b64 v[3:4], 1, v[3:4]
	s_delay_alu instid0(VALU_DEP_2) | instskip(NEXT) | instid1(VALU_DEP_3)
	v_add_co_u32 v1, vcc_lo, s85, v1
	v_add_co_ci_u32_e32 v2, vcc_lo, s94, v2, vcc_lo
	s_delay_alu instid0(VALU_DEP_3) | instskip(NEXT) | instid1(VALU_DEP_4)
	v_add_co_u32 v3, vcc_lo, s85, v3
	v_add_co_ci_u32_e32 v4, vcc_lo, s94, v4, vcc_lo
	s_delay_alu instid0(VALU_DEP_4) | instskip(NEXT) | instid1(VALU_DEP_4)
	v_add_co_u32 v65, vcc_lo, v1, v5
	v_add_co_ci_u32_e32 v66, vcc_lo, 0, v2, vcc_lo
	s_delay_alu instid0(VALU_DEP_4) | instskip(NEXT) | instid1(VALU_DEP_4)
	v_add_co_u32 v67, vcc_lo, v3, v5
	v_add_co_ci_u32_e32 v68, vcc_lo, 0, v4, vcc_lo
	s_clause 0xf
	global_load_b128 v[1:4], v[65:66], off
	global_load_b128 v[5:8], v[65:66], off offset:512
	global_load_b128 v[9:12], v[67:68], off offset:256
	;; [unrolled: 1-line block ×15, first 2 shown]
	v_add_co_u32 v73, vcc_lo, 0x1000, v65
	v_add_co_ci_u32_e32 v74, vcc_lo, 0, v66, vcc_lo
	v_add_co_u32 v82, vcc_lo, 0x1000, v67
	v_add_co_ci_u32_e32 v83, vcc_lo, 0, v68, vcc_lo
	s_clause 0xf
	global_load_b128 v[85:88], v[73:74], off
	global_load_b128 v[89:92], v[73:74], off offset:512
	global_load_b128 v[93:96], v[82:83], off offset:256
	;; [unrolled: 1-line block ×15, first 2 shown]
	s_mov_b32 s94, s88
	v_mov_b32_e32 v72, s59
	v_dual_mov_b32 v66, s53 :: v_dual_mov_b32 v73, s88
	v_dual_mov_b32 v80, s95 :: v_dual_mov_b32 v71, s58
	v_dual_mov_b32 v70, s57 :: v_dual_mov_b32 v69, s56
	v_mov_b32_e32 v74, s89
	v_dual_mov_b32 v68, s55 :: v_dual_mov_b32 v67, s54
	v_dual_mov_b32 v76, s91 :: v_dual_mov_b32 v65, s52
	;; [unrolled: 1-line block ×3, first 2 shown]
	v_mov_b32_e32 v77, s92
	v_mov_b32_e32 v79, s94
	v_lshlrev_b32_e32 v83, 6, v81
	v_bfe_u32 v82, v0, 4, 1
	s_waitcnt vmcnt(30)
	s_delay_alu instid0(VALU_DEP_3)
	v_wmma_f32_16x16x16_f16 v[141:148], v[1:8], v[65:72], v[73:80]
	v_dual_mov_b32 v1, s36 :: v_dual_mov_b32 v8, s43
	v_dual_mov_b32 v2, s37 :: v_dual_mov_b32 v3, s38
	;; [unrolled: 1-line block ×3, first 2 shown]
	v_mov_b32_e32 v6, s41
	s_waitcnt vmcnt(28)
	v_wmma_f32_16x16x16_f16 v[73:80], v[9:16], v[65:72], v[73:80]
	v_mov_b32_e32 v7, s42
	s_or_b32 s36, s84, 0xc0
	v_dual_mov_b32 v9, s44 :: v_dual_mov_b32 v16, s51
	s_ashr_i32 s37, s36, 5
	v_mov_b32_e32 v10, s45
	v_mov_b32_e32 v12, s47
	;; [unrolled: 1-line block ×3, first 2 shown]
	s_waitcnt vmcnt(24)
	v_wmma_f32_16x16x16_f16 v[73:80], v[25:32], v[1:8], v[73:80]
	v_dual_mov_b32 v25, s68 :: v_dual_mov_b32 v32, s75
	s_cmp_lt_i32 s36, s33
	v_mov_b32_e32 v27, s70
	v_mov_b32_e32 v29, s72
	;; [unrolled: 1-line block ×3, first 2 shown]
	s_cselect_b32 s24, s37, s79
	v_wmma_f32_16x16x16_f16 v[141:148], v[17:24], v[1:8], v[141:148]
	s_ashr_i32 s25, s24, 31
	v_mov_b32_e32 v11, s46
	s_lshl_b64 s[24:25], s[24:25], 2
	v_mov_b32_e32 v13, s48
	s_add_u32 s24, s35, s24
	s_addc_u32 s25, s76, s25
	s_or_b32 s13, s84, 0xe0
	v_mov_b32_e32 v15, s50
	s_ashr_i32 s30, s13, 5
	s_cmp_lt_i32 s13, s33
	v_dual_mov_b32 v1, s60 :: v_dual_mov_b32 v8, s67
	s_cselect_b32 s30, s30, s79
	v_mov_b32_e32 v2, s61
	s_ashr_i32 s31, s30, 31
	v_mov_b32_e32 v4, s63
	s_lshl_b64 s[30:31], s[30:31], 2
	v_mov_b32_e32 v6, s65
	s_add_u32 s30, s35, s30
	s_addc_u32 s31, s76, s31
	s_add_i32 s13, s84, 0x100
	s_waitcnt vmcnt(22)
	v_wmma_f32_16x16x16_f16 v[141:148], v[33:40], v[9:16], v[141:148]
	s_ashr_i32 s40, s13, 5
	s_cmp_lt_i32 s13, s33
	s_waitcnt vmcnt(20)
	v_wmma_f32_16x16x16_f16 v[73:80], v[41:48], v[9:16], v[73:80]
	s_cselect_b32 s40, s40, s79
	v_lshl_or_b32 v9, v84, 10, v83
	s_ashr_i32 s41, s40, 31
	s_load_b32 s42, s[24:25], 0x0
	s_lshl_b64 s[40:41], s[40:41], 2
	s_mul_hi_i32 s37, s81, s77
	s_add_u32 s40, s35, s40
	s_addc_u32 s41, s76, s41
	s_add_u32 s35, s82, s2
	s_clause 0x1
	s_load_b32 s43, s[30:31], 0x0
	s_load_b32 s40, s[40:41], 0x0
	s_addc_u32 s41, s83, s3
	v_add_co_u32 v35, s35, s35, v9
	s_delay_alu instid0(VALU_DEP_1) | instskip(SKIP_2) | instid1(VALU_DEP_2)
	v_add_co_ci_u32_e64 v36, null, s41, 0, s35
	s_lshl_b64 s[2:3], s[26:27], 1
	s_lshl_b64 s[26:27], s[28:29], 1
	v_add_co_u32 v9, vcc_lo, v35, s2
	s_mul_i32 s36, s81, s77
	v_add_co_ci_u32_e32 v10, vcc_lo, s3, v36, vcc_lo
	v_add_co_u32 v11, vcc_lo, v35, s26
	s_lshl_b64 s[28:29], s[36:37], 1
	s_mul_hi_i32 s39, s86, s77
	s_mul_i32 s38, s86, s77
	v_add_co_ci_u32_e32 v12, vcc_lo, s27, v36, vcc_lo
	v_add_co_u32 v13, vcc_lo, v35, s28
	s_lshl_b64 s[30:31], s[38:39], 1
	s_mul_hi_i32 s25, s87, s77
	s_mul_i32 s24, s87, s77
	v_add_co_ci_u32_e32 v14, vcc_lo, s29, v36, vcc_lo
	v_add_co_u32 v15, vcc_lo, v35, s30
	s_lshl_b64 s[24:25], s[24:25], 1
	v_dual_mov_b32 v3, s62 :: v_dual_mov_b32 v26, s69
	v_dual_mov_b32 v5, s64 :: v_dual_mov_b32 v28, s71
	v_dual_mov_b32 v7, s66 :: v_dual_mov_b32 v30, s73
	s_mul_hi_i32 s13, s12, s77
	s_mul_i32 s12, s12, s77
	v_add_co_ci_u32_e32 v16, vcc_lo, s31, v36, vcc_lo
	v_add_co_u32 v21, vcc_lo, v35, s24
	s_lshl_b64 s[12:13], s[12:13], 1
	s_waitcnt lgkmcnt(0)
	s_mul_hi_i32 s37, s42, s77
	s_mul_i32 s36, s42, s77
	v_add_co_ci_u32_e32 v22, vcc_lo, s25, v36, vcc_lo
	v_add_co_u32 v33, vcc_lo, v35, s12
	s_lshl_b64 s[36:37], s[36:37], 1
	s_waitcnt vmcnt(18)
	v_wmma_f32_16x16x16_f16 v[141:148], v[49:56], v[1:8], v[141:148]
	s_waitcnt vmcnt(16)
	v_wmma_f32_16x16x16_f16 v[73:80], v[57:64], v[1:8], v[73:80]
	v_add_co_ci_u32_e32 v34, vcc_lo, s13, v36, vcc_lo
	s_mul_hi_i32 s3, s43, s77
	s_mul_i32 s2, s43, s77
	v_add_co_u32 v5, vcc_lo, v35, s36
	s_lshl_b64 s[2:3], s[2:3], 1
	v_add_co_ci_u32_e32 v6, vcc_lo, s37, v36, vcc_lo
	s_waitcnt vmcnt(14)
	v_wmma_f32_16x16x16_f16 v[141:148], v[85:92], v[25:32], v[141:148]
	s_waitcnt vmcnt(12)
	v_wmma_f32_16x16x16_f16 v[73:80], v[93:100], v[25:32], v[73:80]
	s_mul_hi_i32 s13, s40, s77
	s_mul_i32 s12, s40, s77
	v_add_co_u32 v25, vcc_lo, v35, s2
	v_add_co_ci_u32_e32 v26, vcc_lo, s3, v36, vcc_lo
	s_lshl_b64 s[2:3], s[12:13], 1
	s_clause 0x1
	global_load_b128 v[65:68], v[9:10], off
	global_load_b128 v[69:72], v[9:10], off offset:16
	v_add_co_u32 v29, vcc_lo, v35, s2
	v_add_co_ci_u32_e32 v30, vcc_lo, s3, v36, vcc_lo
	s_clause 0xf
	global_load_b128 v[57:60], v[11:12], off
	global_load_b128 v[61:64], v[11:12], off offset:16
	global_load_b128 v[49:52], v[13:14], off
	global_load_b128 v[53:56], v[13:14], off offset:16
	;; [unrolled: 2-line block ×8, first 2 shown]
	v_and_b32_e32 v85, 0xe0, v0
	s_waitcnt vmcnt(0)
	s_barrier
	buffer_gl0_inv
	v_dual_mov_b32 v92, s11 :: v_dual_add_nc_u32 v93, s84, v85
	v_dual_mov_b32 v91, s10 :: v_dual_mov_b32 v90, s9
	v_dual_mov_b32 v89, s8 :: v_dual_mov_b32 v88, s7
	;; [unrolled: 1-line block ×3, first 2 shown]
	v_wmma_f32_16x16x16_f16 v[141:148], v[101:108], v[157:164], v[141:148]
	v_wmma_f32_16x16x16_f16 v[73:80], v[109:116], v[157:164], v[73:80]
	v_mbcnt_lo_u32_b32 v101, -1, 0
	v_mov_b32_e32 v85, s4
	v_or_b32_e32 v103, v93, v82
	v_dual_mov_b32 v100, s23 :: v_dual_mov_b32 v99, s22
	s_delay_alu instid0(VALU_DEP_4)
	v_xor_b32_e32 v102, 16, v101
	v_dual_mov_b32 v98, s21 :: v_dual_mov_b32 v97, s20
	v_dual_mov_b32 v96, s19 :: v_dual_mov_b32 v95, s18
	v_dual_mov_b32 v94, s17 :: v_dual_mov_b32 v93, s16
	v_wmma_f32_16x16x16_f16 v[73:80], v[125:132], v[85:92], v[73:80]
	v_wmma_f32_16x16x16_f16 v[141:148], v[117:124], v[85:92], v[141:148]
	v_cmp_gt_i32_e32 vcc_lo, 32, v102
	v_or_b32_e32 v104, 4, v103
	v_or_b32_e32 v105, 6, v103
	v_wmma_f32_16x16x16_f16 v[73:80], v[149:156], v[93:100], v[73:80]
	v_or_b32_e32 v106, 8, v103
	v_cndmask_b32_e32 v101, v101, v102, vcc_lo
	v_or_b32_e32 v102, 2, v103
	v_cmp_gt_i32_e32 vcc_lo, s33, v103
	v_mul_f32_e32 v114, s78, v76
	v_mul_f32_e32 v110, s78, v80
	;; [unrolled: 1-line block ×3, first 2 shown]
	v_wmma_f32_16x16x16_f16 v[141:148], v[133:140], v[93:100], v[141:148]
	v_cmp_gt_i32_e64 s2, s33, v102
	v_or_b32_e32 v107, 10, v103
	v_cmp_gt_i32_e64 s3, s33, v104
	v_cmp_gt_i32_e64 s4, s33, v105
	v_dual_mul_f32 v99, s78, v142 :: v_dual_mul_f32 v100, s78, v141
	v_dual_mul_f32 v97, s78, v144 :: v_dual_mul_f32 v98, s78, v143
	v_or_b32_e32 v85, 12, v103
	s_delay_alu instid0(VALU_DEP_3) | instskip(NEXT) | instid1(VALU_DEP_4)
	v_cndmask_b32_e64 v99, 0xff7fffff, v99, s2
	v_cndmask_b32_e32 v100, 0xff7fffff, v100, vcc_lo
	v_or_b32_e32 v86, 14, v103
	v_dual_mul_f32 v95, s78, v146 :: v_dual_mul_f32 v96, s78, v145
	v_cndmask_b32_e64 v98, 0xff7fffff, v98, s3
	v_cndmask_b32_e64 v97, 0xff7fffff, v97, s4
	v_max3_f32 v99, v100, 0xff7fffff, v99
	v_cmp_gt_i32_e64 s5, s33, v106
	v_cmp_gt_i32_e64 s6, s33, v107
	v_or_b32_e32 v87, 16, v103
	v_or_b32_e32 v88, 18, v103
	v_dual_mul_f32 v93, s78, v148 :: v_dual_mul_f32 v116, s78, v74
	v_mul_f32_e32 v94, s78, v147
	v_cndmask_b32_e64 v96, 0xff7fffff, v96, s5
	v_cndmask_b32_e64 v95, 0xff7fffff, v95, s6
	v_max3_f32 v97, v99, v98, v97
	v_cmp_gt_i32_e64 s7, s33, v85
	v_cmp_gt_i32_e64 s8, s33, v86
	v_or_b32_e32 v89, 20, v103
	v_or_b32_e32 v90, 22, v103
	v_mul_f32_e32 v117, s78, v73
	v_cndmask_b32_e64 v85, 0xff7fffff, v94, s7
	v_cndmask_b32_e64 v86, 0xff7fffff, v93, s8
	v_max3_f32 v93, v97, v96, v95
	v_cmp_gt_i32_e64 s9, s33, v87
	v_cmp_gt_i32_e64 s10, s33, v88
	v_or_b32_e32 v91, 24, v103
	v_or_b32_e32 v92, 26, v103
	;; [unrolled: 8-line block ×3, first 2 shown]
	v_mul_f32_e32 v113, s78, v77
	v_cndmask_b32_e64 v86, 0xff7fffff, v115, s11
	v_cndmask_b32_e64 v89, 0xff7fffff, v114, s12
	v_max3_f32 v85, v85, v87, v88
	v_cmp_gt_i32_e64 s13, s33, v91
	v_cmp_gt_i32_e64 s16, s33, v92
	v_mul_f32_e32 v111, s78, v79
	v_cmp_gt_i32_e64 s17, s33, v108
	v_max3_f32 v85, v85, v86, v89
	v_cndmask_b32_e64 v87, 0xff7fffff, v113, s13
	v_cndmask_b32_e64 v88, 0xff7fffff, v112, s16
	v_cmp_gt_i32_e64 s18, s33, v109
	v_cndmask_b32_e64 v86, 0xff7fffff, v111, s17
	s_delay_alu instid0(VALU_DEP_3) | instskip(NEXT) | instid1(VALU_DEP_3)
	v_max3_f32 v85, v85, v87, v88
	v_cndmask_b32_e64 v89, 0xff7fffff, v110, s18
	v_lshlrev_b32_e32 v87, 2, v101
	s_delay_alu instid0(VALU_DEP_2) | instskip(SKIP_3) | instid1(VALU_DEP_1)
	v_max3_f32 v85, v85, v86, v89
	ds_bpermute_b32 v86, v87, v85
	s_waitcnt lgkmcnt(0)
	v_max_f32_e32 v86, v86, v86
	v_max_f32_e32 v85, v85, v86
	s_delay_alu instid0(VALU_DEP_1) | instskip(SKIP_3) | instid1(VALU_DEP_4)
	v_fma_f32 v86, s78, v141, -v85
	v_fma_f32 v88, s78, v142, -v85
	v_fma_f32 v89, s78, v143, -v85
	v_fma_f32 v90, s78, v144, -v85
	v_mul_f32_e32 v86, 0x3fb8aa3b, v86
	s_delay_alu instid0(VALU_DEP_3) | instskip(NEXT) | instid1(VALU_DEP_3)
	v_dual_mul_f32 v88, 0x3fb8aa3b, v88 :: v_dual_mul_f32 v89, 0x3fb8aa3b, v89
	v_mul_f32_e32 v90, 0x3fb8aa3b, v90
	s_delay_alu instid0(VALU_DEP_3) | instskip(NEXT) | instid1(VALU_DEP_2)
	v_exp_f32_e32 v86, v86
	v_exp_f32_e32 v88, v88
	s_delay_alu instid0(VALU_DEP_2) | instskip(NEXT) | instid1(VALU_DEP_1)
	v_exp_f32_e32 v89, v89
	v_exp_f32_e32 v94, v90
	v_cndmask_b32_e32 v91, 0, v86, vcc_lo
	s_delay_alu instid0(TRANS32_DEP_3) | instskip(SKIP_4) | instid1(VALU_DEP_1)
	v_cndmask_b32_e64 v90, 0, v88, s2
	s_waitcnt_depctr 0xfff
	v_cndmask_b32_e64 v93, 0, v89, s3
	s_mov_b32 s3, exec_lo
	v_add_f32_e32 v88, 0, v91
	v_add_f32_e32 v88, v88, v90
	s_delay_alu instid0(VALU_DEP_1)
	v_add_f32_e32 v88, v88, v93
	v_fma_f32 v92, s78, v145, -v85
	v_fma_f32 v86, s78, v146, -v85
	;; [unrolled: 1-line block ×5, first 2 shown]
	v_mul_f32_e32 v92, 0x3fb8aa3b, v92
	s_delay_alu instid0(VALU_DEP_4) | instskip(NEXT) | instid1(VALU_DEP_4)
	v_dual_mul_f32 v86, 0x3fb8aa3b, v86 :: v_dual_mul_f32 v95, 0x3fb8aa3b, v95
	v_mul_f32_e32 v74, 0x3fb8aa3b, v74
	v_fma_f32 v73, s78, v73, -v85
	s_delay_alu instid0(VALU_DEP_4) | instskip(NEXT) | instid1(VALU_DEP_3)
	v_exp_f32_e32 v96, v92
	v_exp_f32_e32 v86, v86
	v_cndmask_b32_e64 v92, 0, v94, s4
	v_exp_f32_e32 v97, v95
	v_fma_f32 v75, s78, v75, -v85
	v_exp_f32_e32 v74, v74
	v_fma_f32 v77, s78, v77, -v85
	v_add_f32_e32 v88, v88, v92
	v_fma_f32 v78, s78, v78, -v85
	v_mul_f32_e32 v75, 0x3fb8aa3b, v75
	v_cndmask_b32_e64 v95, 0, v96, s5
	v_cndmask_b32_e64 v94, 0, v86, s6
	v_fma_f32 v80, s78, v80, -v85
	v_cndmask_b32_e64 v96, 0, v97, s7
	v_mul_f32_e32 v78, 0x3fb8aa3b, v78
	v_dual_add_f32 v86, v88, v95 :: v_dual_mul_f32 v89, 0x3fb8aa3b, v89
	v_fma_f32 v88, s78, v76, -v85
	s_delay_alu instid0(VALU_DEP_2) | instskip(NEXT) | instid1(VALU_DEP_3)
	v_dual_mul_f32 v73, 0x3fb8aa3b, v73 :: v_dual_add_f32 v86, v86, v94
	v_exp_f32_e32 v89, v89
	s_delay_alu instid0(VALU_DEP_2) | instskip(NEXT) | instid1(VALU_DEP_2)
	v_mul_f32_e32 v88, 0x3fb8aa3b, v88
	v_exp_f32_e32 v73, v73
	s_delay_alu instid0(VALU_DEP_2) | instskip(NEXT) | instid1(VALU_DEP_2)
	v_add_f32_e32 v86, v86, v96
	v_exp_f32_e32 v88, v88
	s_delay_alu instid0(TRANS32_DEP_3)
	v_cndmask_b32_e64 v76, 0, v89, s8
	s_waitcnt_depctr 0xfff
	v_cndmask_b32_e64 v97, 0, v73, s9
	v_dual_add_f32 v73, v86, v76 :: v_dual_mul_f32 v86, 0x3fb8aa3b, v77
	v_exp_f32_e32 v75, v75
	v_cndmask_b32_e64 v77, 0, v74, s10
	v_fma_f32 v74, s78, v79, -v85
	s_delay_alu instid0(VALU_DEP_3) | instskip(SKIP_1) | instid1(VALU_DEP_1)
	v_add_f32_e32 v73, v73, v97
	v_exp_f32_e32 v86, v86
	v_dual_mul_f32 v74, 0x3fb8aa3b, v74 :: v_dual_add_f32 v73, v73, v77
	s_waitcnt_depctr 0xfff
	v_cndmask_b32_e64 v79, 0, v75, s11
	v_exp_f32_e32 v75, v78
	v_cndmask_b32_e64 v78, 0, v88, s12
	v_exp_f32_e32 v74, v74
	v_cndmask_b32_e64 v98, 0, v86, s13
	v_dual_mul_f32 v86, 0x3fb8aa3b, v80 :: v_dual_add_f32 v73, v73, v79
	s_delay_alu instid0(VALU_DEP_1)
	v_add_f32_e32 v73, v73, v78
	s_waitcnt_depctr 0xfff
	v_cndmask_b32_e64 v80, 0, v75, s16
	v_exp_f32_e32 v75, v86
	v_cndmask_b32_e64 v100, 0, v74, s17
	v_add_f32_e32 v73, v73, v98
	s_delay_alu instid0(VALU_DEP_1) | instskip(SKIP_4) | instid1(VALU_DEP_2)
	v_add_f32_e32 v73, v73, v80
	s_waitcnt_depctr 0xfff
	v_cndmask_b32_e64 v99, 0, v75, s18
	v_and_b32_e32 v75, 31, v0
	v_add_f32_e32 v73, v73, v100
	v_cmp_lt_u32_e64 s2, 15, v75
	s_delay_alu instid0(VALU_DEP_2)
	v_add_f32_e32 v73, v73, v99
	ds_bpermute_b32 v74, v87, v73
	v_cmpx_gt_u32_e32 16, v75
	s_cbranch_execz .LBB362_11
; %bb.10:
	v_mul_u32_u24_e32 v75, 0x44, v84
	s_delay_alu instid0(VALU_DEP_1) | instskip(SKIP_1) | instid1(VALU_DEP_1)
	v_lshl_add_u32 v75, v81, 2, v75
	s_waitcnt lgkmcnt(0)
	v_dual_add_f32 v73, v73, v74 :: v_dual_add_nc_u32 v74, 0x4000, v75
	ds_store_2addr_b32 v74, v85, v73 offset1:136
.LBB362_11:
	s_or_b32 exec_lo, exec_lo, s3
	v_lshlrev_b32_e32 v73, 2, v81
	s_load_b64 s[36:37], s[0:1], 0x94
	s_waitcnt lgkmcnt(0)
	s_barrier
	buffer_gl0_inv
	v_add_nc_u32_e32 v73, 0x4000, v73
	v_cmp_eq_u32_e32 vcc_lo, 1, v84
	v_cmp_eq_u32_e64 s3, 2, v84
	v_cmp_eq_u32_e64 s4, 3, v84
	;; [unrolled: 1-line block ×3, first 2 shown]
	ds_load_2addr_b32 v[85:86], v73 offset1:17
	ds_load_2addr_b32 v[87:88], v73 offset0:34 offset1:51
	ds_load_2addr_b32 v[101:102], v73 offset0:68 offset1:85
	;; [unrolled: 1-line block ×4, first 2 shown]
	v_cmp_eq_u32_e64 s7, 5, v84
	v_cmp_eq_u32_e64 s5, 6, v84
	s_waitcnt lgkmcnt(4)
	v_max3_f32 v74, v85, 0xff7fffff, v86
	s_waitcnt lgkmcnt(3)
	s_delay_alu instid0(VALU_DEP_1) | instskip(SKIP_1) | instid1(VALU_DEP_1)
	v_max3_f32 v74, v74, v87, v88
	s_waitcnt lgkmcnt(2)
	v_max3_f32 v74, v74, v101, v102
	s_waitcnt lgkmcnt(1)
	s_delay_alu instid0(VALU_DEP_1) | instskip(NEXT) | instid1(VALU_DEP_1)
	v_max3_f32 v74, v74, v103, v104
	v_sub_f32_e32 v101, v101, v74
	v_sub_f32_e32 v75, v85, v74
	;; [unrolled: 1-line block ×3, first 2 shown]
	ds_load_2addr_b32 v[85:86], v73 offset0:170 offset1:187
	v_dual_sub_f32 v87, v87, v74 :: v_dual_mul_f32 v110, 0x3fb8aa3b, v101
	v_mul_f32_e32 v75, 0x3fb8aa3b, v75
	s_delay_alu instid0(VALU_DEP_2) | instskip(NEXT) | instid1(VALU_DEP_2)
	v_dual_mul_f32 v89, 0x3fb8aa3b, v89 :: v_dual_mul_f32 v108, 0x3fb8aa3b, v87
	v_exp_f32_e32 v107, v75
	v_sub_f32_e32 v75, v88, v74
	s_delay_alu instid0(VALU_DEP_2)
	v_exp_f32_e32 v89, v89
	ds_load_2addr_b32 v[87:88], v73 offset0:204 offset1:221
	v_exp_f32_e32 v108, v108
	v_mul_f32_e32 v109, 0x3fb8aa3b, v75
	s_waitcnt lgkmcnt(2)
	v_fma_f32 v75, v107, v105, 0
	v_sub_f32_e32 v105, v102, v74
	s_delay_alu instid0(VALU_DEP_3)
	v_exp_f32_e32 v109, v109
	ds_load_2addr_b32 v[101:102], v73 offset0:238 offset1:255
	v_sub_f32_e32 v73, v103, v74
	v_fmac_f32_e32 v75, v89, v106
	v_mul_f32_e32 v103, 0x3fb8aa3b, v105
	v_exp_f32_e32 v105, v110
	s_waitcnt lgkmcnt(0)
	v_mul_f32_e32 v73, 0x3fb8aa3b, v73
	v_fmac_f32_e32 v75, v108, v85
	v_sub_f32_e32 v85, v104, v74
	v_exp_f32_e32 v103, v103
	s_barrier
	v_exp_f32_e32 v104, v73
	v_fmac_f32_e32 v75, v109, v86
	v_mul_f32_e32 v85, 0x3fb8aa3b, v85
	v_lshl_or_b32 v86, v84, 11, v83
	buffer_gl0_inv
	v_fmac_f32_e32 v75, v105, v87
	v_exp_f32_e32 v106, v85
	v_cndmask_b32_e32 v85, v107, v89, vcc_lo
	s_delay_alu instid0(VALU_DEP_2) | instskip(NEXT) | instid1(VALU_DEP_1)
	v_fmac_f32_e32 v75, v103, v88
	v_fmac_f32_e32 v75, v104, v101
	s_waitcnt_depctr 0xfff
	v_fmac_f32_e32 v75, v106, v102
	s_delay_alu instid0(VALU_DEP_1) | instskip(NEXT) | instid1(VALU_DEP_1)
	v_add_f32_e32 v101, 0x358637bd, v75
	v_div_scale_f32 v102, null, v101, v101, 1.0
	v_div_scale_f32 v107, vcc_lo, 1.0, v101, 1.0
	s_delay_alu instid0(VALU_DEP_2) | instskip(SKIP_2) | instid1(VALU_DEP_1)
	v_rcp_f32_e32 v110, v102
	s_waitcnt_depctr 0xfff
	v_fma_f32 v73, -v102, v110, 1.0
	v_fmac_f32_e32 v110, v73, v110
	v_cndmask_b32_e64 v73, v85, v108, s3
	v_cmp_eq_u32_e64 s3, 7, v84
	v_lshl_or_b32 v84, v82, 4, v86
	v_lshlrev_b32_e32 v85, 2, v82
	v_mul_f32_e32 v108, v107, v110
	v_cndmask_b32_e64 v73, v73, v109, s4
	s_delay_alu instid0(VALU_DEP_3) | instskip(NEXT) | instid1(VALU_DEP_3)
	v_or_b32_e32 v89, 2, v85
	v_fma_f32 v87, -v102, v108, v107
	s_delay_alu instid0(VALU_DEP_3)
	v_cndmask_b32_e64 v88, v73, v105, s6
	v_cmp_eq_u32_e64 s4, 1, v85
	v_cmp_eq_u32_e64 s6, 4, v85
	;; [unrolled: 1-line block ×3, first 2 shown]
	v_fmac_f32_e32 v108, v87, v110
	v_cndmask_b32_e64 v103, v88, v103, s7
	v_or_b32_e32 v87, 1, v85
	v_or_b32_e32 v88, 3, v85
	v_cmp_eq_u32_e64 s16, 2, v89
	v_fma_f32 v102, -v102, v108, v107
	v_cndmask_b32_e64 v103, v103, v104, s5
	v_cmp_eq_u32_e64 s9, 1, v87
	v_cmp_eq_u32_e64 s11, 1, v88
	;; [unrolled: 1-line block ×3, first 2 shown]
	v_div_fmas_f32 v102, v102, v110, v108
	v_cndmask_b32_e64 v103, v103, v106, s3
	v_cmp_eq_u32_e32 vcc_lo, 2, v85
	v_cmp_eq_u32_e64 s17, 2, v88
	v_cmp_eq_u32_e64 s5, 3, v85
	v_div_fixup_f32 v101, v102, v101, 1.0
	v_cmp_eq_u32_e64 s13, 3, v87
	v_cmp_eq_u32_e64 s19, 3, v88
	;; [unrolled: 1-line block ×4, first 2 shown]
	v_mul_f32_e32 v105, v103, v101
	v_cmp_eq_u32_e64 s23, 4, v88
	v_cmp_eq_u32_e64 s3, 5, v85
	;; [unrolled: 1-line block ×4, first 2 shown]
	v_fma_mixlo_f16 v101, v105, v91, 0
	v_fma_mixlo_f16 v102, v105, v93, 0
	;; [unrolled: 1-line block ×8, first 2 shown]
	v_fma_mixhi_f16 v101, v105, v90, 0
	v_fma_mixhi_f16 v102, v105, v92, 0
	;; [unrolled: 1-line block ×8, first 2 shown]
	ds_store_b128 v84, v[101:104]
	ds_store_b128 v84, v[95:98] offset:1024
	s_waitcnt lgkmcnt(0)
	s_barrier
	buffer_gl0_inv
	ds_load_b128 v[76:79], v86
	ds_load_b128 v[90:93], v86 offset:16
	ds_load_b128 v[94:97], v86 offset:1024
	;; [unrolled: 1-line block ×3, first 2 shown]
	v_cmp_eq_u32_e64 s25, 5, v88
	v_cmp_eq_u32_e64 s7, 6, v85
	;; [unrolled: 1-line block ×10, first 2 shown]
	v_mov_b32_e32 v73, 0
	s_waitcnt lgkmcnt(3)
	v_lshrrev_b32_e32 v80, 16, v76
	s_waitcnt lgkmcnt(2)
	v_lshrrev_b32_e32 v105, 16, v90
	;; [unrolled: 2-line block ×4, first 2 shown]
	v_lshrrev_b32_e32 v102, 16, v77
	v_cndmask_b32_e64 v117, v76, v80, s4
	v_cndmask_b32_e64 v118, v90, v105, s4
	;; [unrolled: 1-line block ×7, first 2 shown]
	v_lshrrev_b32_e32 v106, 16, v91
	v_cndmask_b32_e64 v122, v90, v105, s10
	v_cndmask_b32_e64 v90, v94, v109, s4
	;; [unrolled: 1-line block ×9, first 2 shown]
	v_cndmask_b32_e32 v109, v117, v77, vcc_lo
	v_cndmask_b32_e32 v113, v118, v91, vcc_lo
	v_cndmask_b32_e64 v117, v119, v77, s12
	v_cndmask_b32_e64 v118, v120, v91, s12
	;; [unrolled: 1-line block ×5, first 2 shown]
	v_lshrrev_b32_e32 v110, 16, v95
	v_lshrrev_b32_e32 v114, 16, v99
	v_cndmask_b32_e64 v120, v122, v91, s16
	v_cndmask_b32_e32 v80, v90, v95, vcc_lo
	v_cndmask_b32_e32 v90, v105, v99, vcc_lo
	v_cndmask_b32_e64 v91, v123, v95, s12
	v_cndmask_b32_e64 v105, v125, v95, s16
	;; [unrolled: 1-line block ×10, first 2 shown]
	v_lshrrev_b32_e32 v103, 16, v78
	v_lshrrev_b32_e32 v107, 16, v92
	v_cndmask_b32_e64 v118, v119, v102, s18
	v_cndmask_b32_e64 v119, v120, v106, s18
	;; [unrolled: 1-line block ×11, first 2 shown]
	v_lshrrev_b32_e32 v111, 16, v96
	v_cndmask_b32_e64 v113, v118, v78, s22
	v_cndmask_b32_e64 v117, v119, v92, s22
	;; [unrolled: 1-line block ×11, first 2 shown]
	v_lshrrev_b32_e32 v104, 16, v79
	v_lshrrev_b32_e32 v108, 16, v93
	v_cndmask_b32_e64 v106, v113, v103, s24
	v_cndmask_b32_e64 v109, v117, v107, s24
	;; [unrolled: 1-line block ×9, first 2 shown]
	v_lshrrev_b32_e32 v112, 16, v97
	v_cndmask_b32_e64 v78, v78, v111, s3
	v_cndmask_b32_e64 v103, v106, v79, s27
	;; [unrolled: 1-line block ×14, first 2 shown]
	v_perm_b32 v79, v77, v76, 0x5040100
	v_perm_b32 v77, v102, v92, 0x5040100
	v_cndmask_b32_e64 v76, v126, v99, s16
	v_cndmask_b32_e64 v92, v124, v99, s12
	;; [unrolled: 1-line block ×3, first 2 shown]
	v_perm_b32 v78, v98, v93, 0x5040100
	v_cndmask_b32_e64 v93, v105, v110, s18
	v_cndmask_b32_e64 v94, v94, v110, s19
	;; [unrolled: 1-line block ×5, first 2 shown]
	v_lshrrev_b32_e32 v115, 16, v100
	v_cndmask_b32_e64 v93, v93, v96, s22
	v_cndmask_b32_e64 v94, v94, v96, s23
	;; [unrolled: 1-line block ×11, first 2 shown]
	v_lshrrev_b32_e32 v116, 16, v101
	v_cndmask_b32_e64 v80, v80, v101, s7
	v_cndmask_b32_e64 v93, v93, v97, s27
	;; [unrolled: 1-line block ×12, first 2 shown]
	v_perm_b32 v76, v91, v90, 0x5040100
	v_perm_b32 v93, v94, v93, 0x5040100
	;; [unrolled: 1-line block ×5, first 2 shown]
	s_mov_b32 s3, exec_lo
	ds_store_b128 v84, v[76:79]
	ds_store_b128 v84, v[90:93] offset:1024
	v_cmpx_eq_u32_e32 0, v0
	s_cbranch_execz .LBB362_13
; %bb.12:
	s_load_b128 s[4:7], s[0:1], 0x58
	s_mul_i32 s8, s37, s34
	s_delay_alu instid0(SALU_CYCLE_1) | instskip(NEXT) | instid1(SALU_CYCLE_1)
	s_add_i32 s8, s8, s15
	s_mul_i32 s8, s8, s36
	s_delay_alu instid0(SALU_CYCLE_1) | instskip(NEXT) | instid1(SALU_CYCLE_1)
	s_add_i32 s8, s8, s14
	s_ashr_i32 s9, s8, 31
	s_delay_alu instid0(SALU_CYCLE_1)
	s_lshl_b64 s[8:9], s[8:9], 2
	s_waitcnt lgkmcnt(0)
	s_add_u32 s6, s6, s8
	s_addc_u32 s7, s7, s9
	s_add_u32 s4, s4, s8
	s_addc_u32 s5, s5, s9
	s_clause 0x1
	global_store_b32 v73, v74, s[6:7]
	global_store_b32 v73, v75, s[4:5]
.LBB362_13:
	s_or_b32 exec_lo, exec_lo, s3
	s_waitcnt lgkmcnt(0)
	s_waitcnt_vscnt null, 0x0
	s_barrier
	buffer_gl0_inv
	ds_load_b128 v[90:93], v83
	ds_load_b128 v[94:97], v83 offset:16
	ds_load_b128 v[102:105], v83 offset:1040
	;; [unrolled: 1-line block ×5, first 2 shown]
	v_mov_b32_e32 v74, v73
	v_mov_b32_e32 v75, v73
	;; [unrolled: 1-line block ×7, first 2 shown]
	ds_load_b128 v[118:121], v83 offset:3088
	ds_load_b128 v[114:117], v83 offset:3072
	;; [unrolled: 1-line block ×4, first 2 shown]
	v_cmp_eq_u32_e32 vcc_lo, 1, v89
	v_cmp_eq_u32_e64 s3, 1, v85
	v_cmp_eq_u32_e64 s4, 1, v88
	;; [unrolled: 1-line block ×4, first 2 shown]
	s_xor_b32 s2, s2, -1
	s_waitcnt lgkmcnt(8)
	v_wmma_f32_16x16x16_f16 v[73:80], v[65:72], v[90:97], v[73:80]
	ds_load_b128 v[69:72], v83 offset:5136
	ds_load_b128 v[65:68], v83 offset:5120
	ds_load_b128 v[94:97], v83 offset:6160
	ds_load_b128 v[90:93], v83 offset:6144
	s_waitcnt lgkmcnt(10)
	v_wmma_f32_16x16x16_f16 v[73:80], v[57:64], v[98:105], v[73:80]
	s_waitcnt lgkmcnt(8)
	s_delay_alu instid0(VALU_DEP_1)
	v_wmma_f32_16x16x16_f16 v[73:80], v[57:64], v[106:113], v[73:80]
	ds_load_b128 v[61:64], v83 offset:7184
	ds_load_b128 v[57:60], v83 offset:7168
	;; [unrolled: 1-line block ×4, first 2 shown]
	s_waitcnt lgkmcnt(10)
	v_wmma_f32_16x16x16_f16 v[73:80], v[49:56], v[114:121], v[73:80]
	s_waitcnt lgkmcnt(8)
	s_delay_alu instid0(VALU_DEP_1)
	v_wmma_f32_16x16x16_f16 v[73:80], v[49:56], v[122:129], v[73:80]
	ds_load_b128 v[53:56], v83 offset:9232
	ds_load_b128 v[49:52], v83 offset:9216
	s_waitcnt lgkmcnt(8)
	v_wmma_f32_16x16x16_f16 v[73:80], v[41:48], v[65:72], v[73:80]
	ds_load_b128 v[69:72], v83 offset:10256
	ds_load_b128 v[65:68], v83 offset:10240
	s_waitcnt lgkmcnt(8)
	;; [unrolled: 4-line block ×7, first 2 shown]
	s_barrier
	buffer_gl0_inv
	v_wmma_f32_16x16x16_f16 v[73:80], v[1:8], v[41:48], v[73:80]
	s_delay_alu instid0(VALU_DEP_1) | instskip(NEXT) | instid1(VALU_DEP_1)
	v_wmma_f32_16x16x16_f16 v[73:80], v[1:8], v[57:64], v[73:80]
	v_wmma_f32_16x16x16_f16 v[73:80], v[33:40], v[17:24], v[73:80]
	s_delay_alu instid0(VALU_DEP_1) | instskip(NEXT) | instid1(VALU_DEP_1)
	v_wmma_f32_16x16x16_f16 v[73:80], v[33:40], v[49:56], v[73:80]
	v_wmma_f32_16x16x16_f16 v[73:80], v[25:32], v[9:16], v[73:80]
	s_delay_alu instid0(VALU_DEP_1) | instskip(NEXT) | instid1(VALU_DEP_2)
	v_cvt_f16_f32_e32 v1, v73
	v_cvt_f16_f32_e32 v2, v74
	s_delay_alu instid0(VALU_DEP_3) | instskip(NEXT) | instid1(VALU_DEP_4)
	v_cvt_f16_f32_e32 v3, v75
	v_cvt_f16_f32_e32 v4, v76
	;; [unrolled: 1-line block ×6, first 2 shown]
	v_pack_b32_f16 v1, v1, v2
	v_pack_b32_f16 v2, v3, v4
	;; [unrolled: 1-line block ×3, first 2 shown]
	s_delay_alu instid0(VALU_DEP_4)
	v_pack_b32_f16 v4, v7, v8
	ds_store_b128 v84, v[1:4]
	s_waitcnt lgkmcnt(0)
	s_barrier
	buffer_gl0_inv
	ds_load_b128 v[1:4], v86
	ds_load_b128 v[5:8], v86 offset:16
	s_waitcnt lgkmcnt(1)
	v_lshrrev_b32_e32 v9, 16, v1
	s_waitcnt lgkmcnt(0)
	v_lshrrev_b32_e32 v13, 16, v5
	v_lshrrev_b32_e32 v15, 16, v7
	;; [unrolled: 1-line block ×4, first 2 shown]
	v_cndmask_b32_e64 v17, v1, v9, s3
	v_cndmask_b32_e64 v18, v5, v13, s3
	;; [unrolled: 1-line block ×3, first 2 shown]
	v_cmp_eq_u32_e64 s3, 2, v87
	v_cndmask_b32_e64 v20, v5, v13, s5
	v_cndmask_b32_e32 v21, v1, v9, vcc_lo
	v_cndmask_b32_e32 v22, v5, v13, vcc_lo
	v_cndmask_b32_e64 v1, v1, v9, s4
	v_cndmask_b32_e64 v5, v5, v13, s4
	v_cmp_eq_u32_e32 vcc_lo, 2, v89
	v_cmp_eq_u32_e64 s4, 2, v88
	v_cndmask_b32_e64 v9, v17, v2, s6
	v_cndmask_b32_e64 v13, v18, v6, s6
	;; [unrolled: 1-line block ×4, first 2 shown]
	v_cndmask_b32_e32 v19, v21, v2, vcc_lo
	v_cmp_eq_u32_e64 s3, 3, v89
	v_cndmask_b32_e32 v20, v22, v6, vcc_lo
	v_cndmask_b32_e64 v1, v1, v2, s4
	v_cmp_eq_u32_e32 vcc_lo, 3, v88
	v_cmp_eq_u32_e64 s5, 3, v85
	v_cndmask_b32_e64 v2, v5, v6, s4
	v_cmp_eq_u32_e64 s4, 3, v87
	v_lshrrev_b32_e32 v16, 16, v8
	v_cmp_eq_u32_e64 s6, 4, v85
	v_cndmask_b32_e64 v5, v9, v10, s5
	v_cndmask_b32_e64 v6, v13, v14, s5
	;; [unrolled: 1-line block ×3, first 2 shown]
	v_cmp_eq_u32_e64 s5, 4, v87
	v_cndmask_b32_e64 v13, v18, v14, s4
	v_cndmask_b32_e64 v17, v19, v10, s3
	;; [unrolled: 1-line block ×3, first 2 shown]
	v_cndmask_b32_e32 v1, v1, v10, vcc_lo
	v_cndmask_b32_e32 v2, v2, v14, vcc_lo
	v_cmp_eq_u32_e32 vcc_lo, 4, v89
	v_cmp_eq_u32_e64 s4, 4, v88
	v_lshrrev_b32_e32 v11, 16, v3
	v_cndmask_b32_e64 v5, v5, v3, s6
	v_cndmask_b32_e64 v6, v6, v7, s6
	;; [unrolled: 1-line block ×4, first 2 shown]
	v_cndmask_b32_e32 v13, v17, v3, vcc_lo
	v_cmp_eq_u32_e64 s3, 5, v89
	v_cndmask_b32_e32 v14, v18, v7, vcc_lo
	v_cndmask_b32_e64 v1, v1, v3, s4
	v_cmp_eq_u32_e32 vcc_lo, 5, v88
	v_cmp_eq_u32_e64 s5, 5, v85
	v_cndmask_b32_e64 v2, v2, v7, s4
	v_cmp_eq_u32_e64 s4, 5, v87
	v_cmp_eq_u32_e64 s6, 6, v85
	v_cndmask_b32_e32 v1, v1, v11, vcc_lo
	v_cndmask_b32_e64 v3, v5, v11, s5
	v_cndmask_b32_e64 v5, v6, v15, s5
	;; [unrolled: 1-line block ×3, first 2 shown]
	v_cmp_eq_u32_e64 s5, 6, v87
	v_cndmask_b32_e64 v7, v10, v15, s4
	v_cndmask_b32_e64 v9, v13, v11, s3
	;; [unrolled: 1-line block ×3, first 2 shown]
	v_cndmask_b32_e32 v2, v2, v15, vcc_lo
	v_cmp_eq_u32_e32 vcc_lo, 6, v89
	v_cmp_eq_u32_e64 s3, 6, v88
	v_lshrrev_b32_e32 v12, 16, v4
	v_cndmask_b32_e64 v3, v3, v4, s6
	v_cndmask_b32_e64 v5, v5, v8, s6
	v_cndmask_b32_e64 v6, v6, v4, s5
	v_cndmask_b32_e64 v7, v7, v8, s5
	v_cndmask_b32_e32 v9, v9, v4, vcc_lo
	v_cmp_eq_u32_e64 s4, 7, v89
	v_cndmask_b32_e32 v10, v10, v8, vcc_lo
	v_cndmask_b32_e64 v1, v1, v4, s3
	v_cmp_eq_u32_e32 vcc_lo, 7, v88
	v_cndmask_b32_e64 v2, v2, v8, s3
	v_cmp_eq_u32_e64 s3, 7, v85
	v_cmp_eq_u32_e64 s5, 7, v87
	v_cndmask_b32_e32 v1, v1, v12, vcc_lo
	s_delay_alu instid0(VALU_DEP_4) | instskip(NEXT) | instid1(VALU_DEP_4)
	v_cndmask_b32_e32 v2, v2, v16, vcc_lo
	v_cndmask_b32_e64 v8, v3, v12, s3
	s_delay_alu instid0(VALU_DEP_4)
	v_cndmask_b32_e64 v6, v6, v12, s5
	v_cndmask_b32_e64 v3, v9, v12, s4
	;; [unrolled: 1-line block ×5, first 2 shown]
	v_cmp_gt_u32_e32 vcc_lo, 32, v0
	v_perm_b32 v4, v2, v1, 0x5040100
	v_perm_b32 v3, v9, v3, 0x5040100
	;; [unrolled: 1-line block ×4, first 2 shown]
	s_and_b32 s2, vcc_lo, s2
	ds_store_b128 v84, v[1:4]
	s_waitcnt lgkmcnt(0)
	s_barrier
	buffer_gl0_inv
	s_and_saveexec_b32 s3, s2
	s_cbranch_execz .LBB362_2
; %bb.14:
	s_load_b64 s[0:1], s[0:1], 0x68
	v_lshlrev_b32_e32 v1, 10, v0
	v_and_b32_e32 v0, 1, v0
	v_lshlrev_b32_e32 v2, 6, v82
	s_lshl_b32 s4, s36, 7
	v_lshlrev_b32_e32 v4, 3, v81
	v_and_b32_e32 v1, 0x3800, v1
	v_lshlrev_b32_e32 v0, 4, v0
	s_mul_i32 s2, s4, s34
	s_delay_alu instid0(SALU_CYCLE_1) | instskip(SKIP_1) | instid1(VALU_DEP_2)
	s_mul_i32 s2, s2, s37
	v_lshlrev_b32_e32 v4, 1, v4
	v_or3_b32 v0, v1, v2, v0
	s_ashr_i32 s3, s2, 31
	s_delay_alu instid0(SALU_CYCLE_1)
	s_lshl_b64 s[2:3], s[2:3], 1
	ds_load_b128 v[0:3], v0
	s_waitcnt lgkmcnt(0)
	s_add_u32 s5, s0, s2
	s_addc_u32 s3, s1, s3
	s_lshl_b32 s0, s14, 7
	s_mul_i32 s2, s4, s15
	s_ashr_i32 s1, s0, 31
	s_delay_alu instid0(SALU_CYCLE_1) | instskip(NEXT) | instid1(SALU_CYCLE_1)
	s_lshl_b64 s[0:1], s[0:1], 1
	s_add_u32 s4, s5, s0
	s_addc_u32 s5, s3, s1
	s_ashr_i32 s3, s2, 31
	s_delay_alu instid0(SALU_CYCLE_1) | instskip(NEXT) | instid1(SALU_CYCLE_1)
	s_lshl_b64 s[0:1], s[2:3], 1
	s_add_u32 s0, s4, s0
	s_addc_u32 s1, s5, s1
	global_store_b128 v4, v[0:3], s[0:1]
	s_nop 0
	s_sendmsg sendmsg(MSG_DEALLOC_VGPRS)
	s_endpgm
	.section	.rodata,"a",@progbits
	.p2align	6, 0x0
	.amdhsa_kernel _Z39paged_attention_ll4mi_QKV_mfma16_kernelIDF16_DF16_LN4vllm18Fp8KVCacheDataTypeE0EDF16_Li32ELi128ELi256ELb1ELi1EL8MFMAType0EEvPKT_PKT0_S8_ifPKiSA_SA_iPKfiiiPfSD_PS3_PT2_iSC_SC_
		.amdhsa_group_segment_fixed_size 17472
		.amdhsa_private_segment_fixed_size 0
		.amdhsa_kernarg_size 400
		.amdhsa_user_sgpr_count 13
		.amdhsa_user_sgpr_dispatch_ptr 0
		.amdhsa_user_sgpr_queue_ptr 0
		.amdhsa_user_sgpr_kernarg_segment_ptr 1
		.amdhsa_user_sgpr_dispatch_id 0
		.amdhsa_user_sgpr_private_segment_size 0
		.amdhsa_wavefront_size32 1
		.amdhsa_uses_dynamic_stack 0
		.amdhsa_enable_private_segment 0
		.amdhsa_system_sgpr_workgroup_id_x 1
		.amdhsa_system_sgpr_workgroup_id_y 1
		.amdhsa_system_sgpr_workgroup_id_z 1
		.amdhsa_system_sgpr_workgroup_info 0
		.amdhsa_system_vgpr_workitem_id 0
		.amdhsa_next_free_vgpr 165
		.amdhsa_next_free_sgpr 96
		.amdhsa_reserve_vcc 1
		.amdhsa_float_round_mode_32 0
		.amdhsa_float_round_mode_16_64 0
		.amdhsa_float_denorm_mode_32 3
		.amdhsa_float_denorm_mode_16_64 3
		.amdhsa_dx10_clamp 1
		.amdhsa_ieee_mode 1
		.amdhsa_fp16_overflow 0
		.amdhsa_workgroup_processor_mode 1
		.amdhsa_memory_ordered 1
		.amdhsa_forward_progress 0
		.amdhsa_shared_vgpr_count 0
		.amdhsa_exception_fp_ieee_invalid_op 0
		.amdhsa_exception_fp_denorm_src 0
		.amdhsa_exception_fp_ieee_div_zero 0
		.amdhsa_exception_fp_ieee_overflow 0
		.amdhsa_exception_fp_ieee_underflow 0
		.amdhsa_exception_fp_ieee_inexact 0
		.amdhsa_exception_int_div_zero 0
	.end_amdhsa_kernel
	.section	.text._Z39paged_attention_ll4mi_QKV_mfma16_kernelIDF16_DF16_LN4vllm18Fp8KVCacheDataTypeE0EDF16_Li32ELi128ELi256ELb1ELi1EL8MFMAType0EEvPKT_PKT0_S8_ifPKiSA_SA_iPKfiiiPfSD_PS3_PT2_iSC_SC_,"axG",@progbits,_Z39paged_attention_ll4mi_QKV_mfma16_kernelIDF16_DF16_LN4vllm18Fp8KVCacheDataTypeE0EDF16_Li32ELi128ELi256ELb1ELi1EL8MFMAType0EEvPKT_PKT0_S8_ifPKiSA_SA_iPKfiiiPfSD_PS3_PT2_iSC_SC_,comdat
.Lfunc_end362:
	.size	_Z39paged_attention_ll4mi_QKV_mfma16_kernelIDF16_DF16_LN4vllm18Fp8KVCacheDataTypeE0EDF16_Li32ELi128ELi256ELb1ELi1EL8MFMAType0EEvPKT_PKT0_S8_ifPKiSA_SA_iPKfiiiPfSD_PS3_PT2_iSC_SC_, .Lfunc_end362-_Z39paged_attention_ll4mi_QKV_mfma16_kernelIDF16_DF16_LN4vllm18Fp8KVCacheDataTypeE0EDF16_Li32ELi128ELi256ELb1ELi1EL8MFMAType0EEvPKT_PKT0_S8_ifPKiSA_SA_iPKfiiiPfSD_PS3_PT2_iSC_SC_
                                        ; -- End function
	.section	.AMDGPU.csdata,"",@progbits
; Kernel info:
; codeLenInByte = 7284
; NumSgprs: 98
; NumVgprs: 165
; ScratchSize: 0
; MemoryBound: 1
; FloatMode: 240
; IeeeMode: 1
; LDSByteSize: 17472 bytes/workgroup (compile time only)
; SGPRBlocks: 12
; VGPRBlocks: 20
; NumSGPRsForWavesPerEU: 98
; NumVGPRsForWavesPerEU: 165
; Occupancy: 9
; WaveLimiterHint : 1
; COMPUTE_PGM_RSRC2:SCRATCH_EN: 0
; COMPUTE_PGM_RSRC2:USER_SGPR: 13
; COMPUTE_PGM_RSRC2:TRAP_HANDLER: 0
; COMPUTE_PGM_RSRC2:TGID_X_EN: 1
; COMPUTE_PGM_RSRC2:TGID_Y_EN: 1
; COMPUTE_PGM_RSRC2:TGID_Z_EN: 1
; COMPUTE_PGM_RSRC2:TIDIG_COMP_CNT: 0
	.section	.text._Z39paged_attention_ll4mi_QKV_mfma16_kernelIDF16_DF16_LN4vllm18Fp8KVCacheDataTypeE0EDF16_Li32ELi128ELi256ELb1ELi2EL8MFMAType0EEvPKT_PKT0_S8_ifPKiSA_SA_iPKfiiiPfSD_PS3_PT2_iSC_SC_,"axG",@progbits,_Z39paged_attention_ll4mi_QKV_mfma16_kernelIDF16_DF16_LN4vllm18Fp8KVCacheDataTypeE0EDF16_Li32ELi128ELi256ELb1ELi2EL8MFMAType0EEvPKT_PKT0_S8_ifPKiSA_SA_iPKfiiiPfSD_PS3_PT2_iSC_SC_,comdat
	.protected	_Z39paged_attention_ll4mi_QKV_mfma16_kernelIDF16_DF16_LN4vllm18Fp8KVCacheDataTypeE0EDF16_Li32ELi128ELi256ELb1ELi2EL8MFMAType0EEvPKT_PKT0_S8_ifPKiSA_SA_iPKfiiiPfSD_PS3_PT2_iSC_SC_ ; -- Begin function _Z39paged_attention_ll4mi_QKV_mfma16_kernelIDF16_DF16_LN4vllm18Fp8KVCacheDataTypeE0EDF16_Li32ELi128ELi256ELb1ELi2EL8MFMAType0EEvPKT_PKT0_S8_ifPKiSA_SA_iPKfiiiPfSD_PS3_PT2_iSC_SC_
	.globl	_Z39paged_attention_ll4mi_QKV_mfma16_kernelIDF16_DF16_LN4vllm18Fp8KVCacheDataTypeE0EDF16_Li32ELi128ELi256ELb1ELi2EL8MFMAType0EEvPKT_PKT0_S8_ifPKiSA_SA_iPKfiiiPfSD_PS3_PT2_iSC_SC_
	.p2align	8
	.type	_Z39paged_attention_ll4mi_QKV_mfma16_kernelIDF16_DF16_LN4vllm18Fp8KVCacheDataTypeE0EDF16_Li32ELi128ELi256ELb1ELi2EL8MFMAType0EEvPKT_PKT0_S8_ifPKiSA_SA_iPKfiiiPfSD_PS3_PT2_iSC_SC_,@function
_Z39paged_attention_ll4mi_QKV_mfma16_kernelIDF16_DF16_LN4vllm18Fp8KVCacheDataTypeE0EDF16_Li32ELi128ELi256ELb1ELi2EL8MFMAType0EEvPKT_PKT0_S8_ifPKiSA_SA_iPKfiiiPfSD_PS3_PT2_iSC_SC_: ; @_Z39paged_attention_ll4mi_QKV_mfma16_kernelIDF16_DF16_LN4vllm18Fp8KVCacheDataTypeE0EDF16_Li32ELi128ELi256ELb1ELi2EL8MFMAType0EEvPKT_PKT0_S8_ifPKiSA_SA_iPKfiiiPfSD_PS3_PT2_iSC_SC_
; %bb.0:
	s_load_b64 s[2:3], s[0:1], 0x30
	s_mov_b32 s34, s13
	s_waitcnt lgkmcnt(0)
	s_cmp_lg_u64 s[2:3], 0
	s_cselect_b32 s6, -1, 0
	s_ashr_i32 s35, s13, 31
	s_cmp_eq_u64 s[2:3], 0
	s_cbranch_scc1 .LBB363_3
; %bb.1:
	s_lshl_b64 s[4:5], s[34:35], 2
	s_delay_alu instid0(SALU_CYCLE_1) | instskip(SKIP_4) | instid1(SALU_CYCLE_1)
	s_add_u32 s4, s2, s4
	s_addc_u32 s5, s3, s5
	s_load_b64 s[4:5], s[4:5], 0x0
	s_waitcnt lgkmcnt(0)
	s_sub_i32 s4, s5, s4
	s_cmp_eq_u32 s4, 1
	s_cselect_b32 s4, -1, 0
	s_delay_alu instid0(SALU_CYCLE_1)
	s_and_not1_b32 vcc_lo, exec_lo, s4
	s_cbranch_vccz .LBB363_4
.LBB363_2:
	s_endpgm
.LBB363_3:
.LBB363_4:
	s_load_b64 s[8:9], s[0:1], 0x28
	s_lshl_b64 s[4:5], s[34:35], 2
	s_waitcnt lgkmcnt(0)
	s_add_u32 s8, s8, s4
	s_addc_u32 s9, s9, s5
	s_lshl_b32 s16, s14, 8
	s_load_b32 s18, s[8:9], 0x0
	s_waitcnt lgkmcnt(0)
	s_cmp_ge_i32 s16, s18
	s_cbranch_scc1 .LBB363_2
; %bb.5:
	s_and_not1_b32 vcc_lo, exec_lo, s6
	s_cbranch_vccnz .LBB363_7
; %bb.6:
	s_add_u32 s2, s2, s4
	s_addc_u32 s3, s3, s5
	s_load_b32 s3, s[2:3], 0x0
	s_branch .LBB363_8
.LBB363_7:
	s_mov_b32 s3, s34
.LBB363_8:
	s_clause 0x2
	s_load_b128 s[8:11], s[0:1], 0x8
	s_load_b64 s[12:13], s[0:1], 0x20
	s_load_b128 s[4:7], s[0:1], 0x48
	v_and_b32_e32 v79, 15, v0
	v_bfe_u32 v78, v0, 4, 1
	v_cmp_gt_u32_e64 s2, 32, v0
	s_lshl_b32 s31, s15, 1
	s_waitcnt lgkmcnt(0)
	s_mov_b32 s7, exec_lo
	v_lshlrev_b32_e32 v1, 3, v79
	v_cmpx_lt_u32_e32 31, v0
	s_xor_b32 s7, exec_lo, s7
; %bb.9:
	v_mov_b32_e32 v2, 0
; %bb.10:
	s_or_saveexec_b32 s7, s7
	v_and_b32_e32 v81, 31, v0
	v_and_b32_e32 v77, 1, v0
	v_or_b32_e32 v76, s31, v78
	v_lshlrev_b32_e32 v75, 6, v78
	s_xor_b32 exec_lo, exec_lo, s7
	s_cbranch_execz .LBB363_12
; %bb.11:
	s_load_b64 s[20:21], s[0:1], 0x0
	v_lshlrev_b32_e32 v2, 7, v76
	s_mul_hi_i32 s23, s3, s4
	s_mul_i32 s22, s3, s4
	v_lshlrev_b32_e32 v4, 1, v1
	s_lshl_b64 s[22:23], s[22:23], 1
	v_ashrrev_i32_e32 v3, 31, v2
	v_lshlrev_b32_e32 v7, 10, v77
	s_delay_alu instid0(VALU_DEP_2) | instskip(SKIP_3) | instid1(VALU_DEP_1)
	v_lshlrev_b64 v[2:3], 1, v[2:3]
	s_waitcnt lgkmcnt(0)
	s_add_u32 s3, s20, s22
	s_addc_u32 s4, s21, s23
	v_add_co_u32 v2, vcc_lo, s3, v2
	s_delay_alu instid0(VALU_DEP_2) | instskip(NEXT) | instid1(VALU_DEP_2)
	v_add_co_ci_u32_e32 v3, vcc_lo, s4, v3, vcc_lo
	v_add_co_u32 v2, vcc_lo, v2, v4
	s_delay_alu instid0(VALU_DEP_2) | instskip(SKIP_2) | instid1(VALU_DEP_1)
	v_add_co_ci_u32_e32 v3, vcc_lo, 0, v3, vcc_lo
	global_load_b128 v[3:6], v[2:3], off
	v_lshlrev_b32_e32 v2, 10, v79
	v_and_b32_e32 v2, 0x3800, v2
	s_delay_alu instid0(VALU_DEP_1)
	v_or3_b32 v7, v2, v7, v75
	v_mov_b32_e32 v2, 0
	s_waitcnt vmcnt(0)
	ds_store_b128 v7, v[3:6]
.LBB363_12:
	s_or_b32 exec_lo, exec_lo, s7
	v_and_b32_e32 v3, 0xef, v0
	s_add_i32 s3, s18, 31
	s_clause 0x1
	s_load_b32 s4, s[0:1], 0x38
	s_load_b32 s33, s[0:1], 0x98
	s_ashr_i32 s7, s3, 31
	v_add_nc_u32_e32 v3, s16, v3
	s_lshr_b32 s7, s7, 27
	s_load_b32 s19, s[0:1], 0x1c
	s_add_i32 s3, s3, s7
	s_waitcnt lgkmcnt(0)
	v_ashrrev_i32_e32 v4, 31, v3
	v_cmp_gt_i32_e32 vcc_lo, s18, v3
	s_ashr_i32 s3, s3, 5
	s_barrier
	s_add_i32 s3, s3, -1
	v_lshrrev_b32_e32 v5, 27, v4
	v_or_b32_e32 v4, 16, v3
	buffer_gl0_inv
	s_mul_i32 s6, s15, s6
	v_lshlrev_b64 v[73:74], 1, v[1:2]
	v_add_nc_u32_e32 v6, v3, v5
	v_add_nc_u32_e32 v5, v4, v5
	s_mul_i32 s20, s34, s4
	v_lshrrev_b32_e32 v82, 5, v0
	s_ashr_i32 s21, s20, 31
	v_ashrrev_i32_e32 v6, 5, v6
	v_ashrrev_i32_e32 v5, 5, v5
	s_lshl_b64 s[20:21], s[20:21], 2
	v_lshlrev_b32_e32 v80, 6, v79
	s_add_u32 s4, s12, s20
	v_cndmask_b32_e32 v3, s3, v6, vcc_lo
	v_cmp_gt_i32_e32 vcc_lo, s18, v4
	s_addc_u32 s17, s13, s21
	s_ashr_i32 s7, s6, 31
	s_delay_alu instid0(SALU_CYCLE_1)
	s_lshl_b64 s[6:7], s[6:7], 1
	v_cndmask_b32_e32 v5, s3, v5, vcc_lo
	v_ashrrev_i32_e32 v4, 31, v3
	s_add_u32 s15, s8, s6
	s_addc_u32 s28, s9, s7
	s_lshl_b32 s8, s14, 3
	v_ashrrev_i32_e32 v6, 31, v5
	v_lshlrev_b64 v[3:4], 2, v[3:4]
	s_ashr_i32 s9, s8, 31
	s_delay_alu instid0(SALU_CYCLE_1) | instskip(NEXT) | instid1(VALU_DEP_2)
	s_lshl_b64 s[8:9], s[8:9], 2
	v_lshlrev_b64 v[5:6], 2, v[5:6]
	s_add_u32 s8, s4, s8
	s_delay_alu instid0(VALU_DEP_2) | instskip(SKIP_1) | instid1(VALU_DEP_3)
	v_add_co_u32 v3, vcc_lo, s4, v3
	v_add_co_ci_u32_e32 v4, vcc_lo, s17, v4, vcc_lo
	v_add_co_u32 v5, vcc_lo, s4, v5
	s_delay_alu instid0(VALU_DEP_4)
	v_add_co_ci_u32_e32 v6, vcc_lo, s17, v6, vcc_lo
	s_addc_u32 s9, s17, s9
	s_clause 0x1
	global_load_b32 v7, v[3:4], off
	global_load_b32 v8, v[5:6], off
	s_or_b32 s12, s16, 32
	s_delay_alu instid0(SALU_CYCLE_1) | instskip(SKIP_2) | instid1(SALU_CYCLE_1)
	s_ashr_i32 s13, s12, 5
	s_cmp_lt_i32 s12, s18
	s_cselect_b32 s12, s13, s3
	s_ashr_i32 s13, s12, 31
	s_delay_alu instid0(SALU_CYCLE_1) | instskip(NEXT) | instid1(SALU_CYCLE_1)
	s_lshl_b64 s[12:13], s[12:13], 2
	s_add_u32 s12, s4, s12
	s_addc_u32 s13, s17, s13
	s_or_b32 s20, s16, 64
	s_delay_alu instid0(SALU_CYCLE_1) | instskip(SKIP_2) | instid1(SALU_CYCLE_1)
	s_ashr_i32 s21, s20, 5
	s_cmp_lt_i32 s20, s18
	s_cselect_b32 s20, s21, s3
	s_ashr_i32 s21, s20, 31
	s_delay_alu instid0(SALU_CYCLE_1) | instskip(NEXT) | instid1(SALU_CYCLE_1)
	s_lshl_b64 s[20:21], s[20:21], 2
	s_add_u32 s20, s4, s20
	s_addc_u32 s21, s17, s21
	;; [unrolled: 10-line block ×5, first 2 shown]
	s_clause 0x5
	s_load_b32 s29, s[8:9], 0x0
	s_load_b32 s30, s[12:13], 0x0
	;; [unrolled: 1-line block ×6, first 2 shown]
	s_mov_b32 s20, 0
	s_or_b32 s8, s16, 0xc0
	s_mov_b32 s21, s20
	s_mov_b32 s22, s20
	s_mov_b32 s23, s20
	s_mov_b32 s24, s20
	s_mov_b32 s25, s20
	s_mov_b32 s26, s20
	s_mov_b32 s27, s20
	s_delay_alu instid0(SALU_CYCLE_1)
	v_dual_mov_b32 v130, s27 :: v_dual_lshlrev_b32 v171, 6, v77
	v_mov_b32_e32 v124, s21
	s_ashr_i32 s9, s8, 5
	s_cmp_lt_i32 s8, s18
	v_mov_b32_e32 v129, s26
	s_cselect_b32 s8, s9, s3
	v_mov_b32_e32 v128, s25
	s_ashr_i32 s9, s8, 31
	v_dual_mov_b32 v127, s24 :: v_dual_mov_b32 v126, s23
	v_mov_b32_e32 v125, s22
	v_mov_b32_e32 v123, s20
	s_lshl_b64 s[8:9], s[8:9], 2
	s_waitcnt lgkmcnt(0)
	s_mul_hi_i32 s13, s29, s5
	s_add_u32 s8, s4, s8
	s_addc_u32 s9, s17, s9
	s_mul_i32 s12, s29, s5
	s_mul_hi_i32 s21, s30, s5
	s_mul_i32 s20, s30, s5
	s_mul_hi_i32 s25, s35, s5
	s_mul_i32 s24, s35, s5
	s_mul_hi_i32 s27, s36, s5
	s_mul_i32 s26, s36, s5
	s_mul_i32 s36, s38, s5
	s_waitcnt vmcnt(1)
	v_mad_i64_i32 v[3:4], null, v7, s5, 0
	s_waitcnt vmcnt(0)
	v_mad_i64_i32 v[5:6], null, v8, s5, 0
	s_delay_alu instid0(VALU_DEP_2) | instskip(NEXT) | instid1(VALU_DEP_2)
	v_lshlrev_b64 v[3:4], 1, v[3:4]
	v_lshlrev_b64 v[1:2], 1, v[5:6]
	s_delay_alu instid0(VALU_DEP_2) | instskip(NEXT) | instid1(VALU_DEP_3)
	v_add_co_u32 v3, vcc_lo, s15, v3
	v_add_co_ci_u32_e32 v4, vcc_lo, s28, v4, vcc_lo
	s_delay_alu instid0(VALU_DEP_3) | instskip(NEXT) | instid1(VALU_DEP_4)
	v_add_co_u32 v1, vcc_lo, s15, v1
	v_add_co_ci_u32_e32 v2, vcc_lo, s28, v2, vcc_lo
	s_delay_alu instid0(VALU_DEP_4) | instskip(NEXT) | instid1(VALU_DEP_4)
	v_add_co_u32 v65, vcc_lo, v3, v73
	v_add_co_ci_u32_e32 v66, vcc_lo, v4, v74, vcc_lo
	s_delay_alu instid0(VALU_DEP_4) | instskip(NEXT) | instid1(VALU_DEP_4)
	v_add_co_u32 v67, vcc_lo, v1, v73
	v_add_co_ci_u32_e32 v68, vcc_lo, v2, v74, vcc_lo
	s_clause 0xf
	global_load_b128 v[1:4], v[65:66], off
	global_load_b128 v[5:8], v[65:66], off offset:512
	global_load_b128 v[9:12], v[67:68], off offset:256
	;; [unrolled: 1-line block ×15, first 2 shown]
	v_add_co_u32 v159, vcc_lo, 0x1000, v65
	v_add_co_ci_u32_e32 v160, vcc_lo, 0, v66, vcc_lo
	v_add_co_u32 v167, vcc_lo, 0x1000, v67
	v_add_co_ci_u32_e32 v168, vcc_lo, 0, v68, vcc_lo
	s_clause 0x7
	global_load_b128 v[83:86], v[159:160], off
	global_load_b128 v[87:90], v[159:160], off offset:512
	global_load_b128 v[91:94], v[167:168], off offset:256
	;; [unrolled: 1-line block ×7, first 2 shown]
	ds_load_b128 v[65:68], v171
	ds_load_b128 v[69:72], v171 offset:1024
	s_clause 0x1
	global_load_b128 v[115:118], v[159:160], off offset:2048
	global_load_b128 v[119:122], v[159:160], off offset:2560
	ds_load_b128 v[131:134], v171 offset:2048
	ds_load_b128 v[135:138], v171 offset:3072
	s_clause 0x5
	global_load_b128 v[147:150], v[167:168], off offset:2304
	global_load_b128 v[151:154], v[167:168], off offset:2816
	global_load_b128 v[155:158], v[159:160], off offset:3072
	global_load_b128 v[159:162], v[159:160], off offset:3584
	global_load_b128 v[163:166], v[167:168], off offset:3328
	global_load_b128 v[167:170], v[167:168], off offset:3840
	s_or_b32 s15, s16, 0xe0
	s_delay_alu instid0(SALU_CYCLE_1) | instskip(SKIP_2) | instid1(SALU_CYCLE_1)
	s_ashr_i32 s22, s15, 5
	s_cmp_lt_i32 s15, s18
	s_cselect_b32 s22, s22, s3
	s_ashr_i32 s23, s22, 31
	s_delay_alu instid0(SALU_CYCLE_1) | instskip(NEXT) | instid1(SALU_CYCLE_1)
	s_lshl_b64 s[22:23], s[22:23], 2
	s_add_u32 s22, s4, s22
	s_addc_u32 s23, s17, s23
	s_add_i32 s15, s16, 0x100
	s_delay_alu instid0(SALU_CYCLE_1) | instskip(SKIP_2) | instid1(SALU_CYCLE_1)
	s_ashr_i32 s28, s15, 5
	s_cmp_lt_i32 s15, s18
	s_cselect_b32 s28, s28, s3
	s_ashr_i32 s29, s28, 31
	s_delay_alu instid0(SALU_CYCLE_1) | instskip(NEXT) | instid1(SALU_CYCLE_1)
	s_lshl_b64 s[28:29], s[28:29], 2
	s_add_u32 s28, s4, s28
	s_addc_u32 s29, s17, s29
	s_add_u32 s3, s10, s6
	s_waitcnt vmcnt(30) lgkmcnt(2)
	v_wmma_f32_16x16x16_f16 v[139:146], v[1:8], v[65:72], v[123:130]
	ds_load_b128 v[1:4], v171 offset:4096
	ds_load_b128 v[5:8], v171 offset:5120
	s_waitcnt vmcnt(28)
	v_wmma_f32_16x16x16_f16 v[123:130], v[9:16], v[65:72], v[123:130]
	ds_load_b128 v[9:12], v171 offset:6144
	ds_load_b128 v[13:16], v171 offset:7168
	s_waitcnt vmcnt(26) lgkmcnt(4)
	v_wmma_f32_16x16x16_f16 v[139:146], v[17:24], v[131:138], v[139:146]
	ds_load_b128 v[17:20], v171 offset:8192
	ds_load_b128 v[21:24], v171 offset:9216
	s_waitcnt vmcnt(24)
	v_wmma_f32_16x16x16_f16 v[123:130], v[25:32], v[131:138], v[123:130]
	ds_load_b128 v[131:134], v171 offset:10240
	ds_load_b128 v[135:138], v171 offset:11264
	s_clause 0x2
	s_load_b32 s15, s[8:9], 0x0
	s_load_b32 s4, s[22:23], 0x0
	;; [unrolled: 1-line block ×3, first 2 shown]
	s_addc_u32 s28, s11, s7
	s_lshl_b64 s[6:7], s[12:13], 1
	s_lshl_b64 s[10:11], s[20:21], 1
	;; [unrolled: 1-line block ×4, first 2 shown]
	s_mul_hi_i32 s9, s37, s5
	s_mul_i32 s8, s37, s5
	s_mul_hi_i32 s37, s38, s5
	s_lshl_b64 s[8:9], s[8:9], 1
	s_lshl_b64 s[22:23], s[36:37], 1
	s_waitcnt vmcnt(22) lgkmcnt(0)
	v_wmma_f32_16x16x16_f16 v[139:146], v[33:40], v[1:8], v[139:146]
	s_waitcnt vmcnt(20)
	v_wmma_f32_16x16x16_f16 v[123:130], v[41:48], v[1:8], v[123:130]
	v_lshl_or_b32 v1, v82, 10, v80
	s_waitcnt vmcnt(18)
	v_wmma_f32_16x16x16_f16 v[139:146], v[49:56], v[9:16], v[139:146]
	s_waitcnt vmcnt(16)
	v_wmma_f32_16x16x16_f16 v[123:130], v[57:64], v[9:16], v[123:130]
	v_add_co_u32 v172, s3, s3, v1
	s_delay_alu instid0(VALU_DEP_1) | instskip(SKIP_1) | instid1(VALU_DEP_2)
	v_add_co_ci_u32_e64 v173, null, s28, 0, s3
	s_mul_hi_i32 s25, s15, s5
	v_add_co_u32 v1, vcc_lo, v172, s6
	s_delay_alu instid0(VALU_DEP_2)
	v_add_co_ci_u32_e32 v2, vcc_lo, s7, v173, vcc_lo
	v_add_co_u32 v3, vcc_lo, v172, s10
	v_add_co_ci_u32_e32 v4, vcc_lo, s11, v173, vcc_lo
	v_add_co_u32 v5, vcc_lo, v172, s12
	;; [unrolled: 2-line block ×4, first 2 shown]
	s_mul_i32 s24, s15, s5
	v_add_co_ci_u32_e32 v26, vcc_lo, s9, v173, vcc_lo
	v_add_co_u32 v27, vcc_lo, v172, s22
	s_lshl_b64 s[24:25], s[24:25], 1
	v_add_co_ci_u32_e32 v28, vcc_lo, s23, v173, vcc_lo
	s_mul_hi_i32 s7, s4, s5
	s_mul_i32 s6, s4, s5
	v_add_co_u32 v29, vcc_lo, v172, s24
	s_lshl_b64 s[6:7], s[6:7], 1
	v_add_co_ci_u32_e32 v30, vcc_lo, s25, v173, vcc_lo
	s_waitcnt vmcnt(14)
	v_wmma_f32_16x16x16_f16 v[139:146], v[83:90], v[17:24], v[139:146]
	s_waitcnt vmcnt(12)
	v_wmma_f32_16x16x16_f16 v[123:130], v[91:98], v[17:24], v[123:130]
	v_add_co_u32 v17, vcc_lo, v172, s6
	v_add_co_ci_u32_e32 v18, vcc_lo, s7, v173, vcc_lo
	s_mul_hi_i32 s7, s17, s5
	s_mul_i32 s6, s17, s5
	s_clause 0x5
	global_load_b128 v[65:68], v[1:2], off
	global_load_b128 v[69:72], v[1:2], off offset:16
	global_load_b128 v[57:60], v[3:4], off
	global_load_b128 v[61:64], v[3:4], off offset:16
	;; [unrolled: 2-line block ×3, first 2 shown]
	s_lshl_b64 s[4:5], s[6:7], 1
	s_clause 0x1
	global_load_b128 v[41:44], v[7:8], off
	global_load_b128 v[45:48], v[7:8], off offset:16
	v_add_co_u32 v21, vcc_lo, v172, s4
	v_add_co_ci_u32_e32 v22, vcc_lo, s5, v173, vcc_lo
	s_clause 0x9
	global_load_b128 v[9:12], v[25:26], off
	global_load_b128 v[13:16], v[25:26], off offset:16
	global_load_b128 v[1:4], v[27:28], off
	global_load_b128 v[5:8], v[27:28], off offset:16
	global_load_b128 v[33:36], v[29:30], off
	global_load_b128 v[37:40], v[29:30], off offset:16
	global_load_b128 v[25:28], v[17:18], off
	global_load_b128 v[29:32], v[17:18], off offset:16
	global_load_b128 v[17:20], v[21:22], off
	global_load_b128 v[21:24], v[21:22], off offset:16
	ds_load_b128 v[83:86], v171 offset:12288
	ds_load_b128 v[87:90], v171 offset:13312
	v_and_b32_e32 v91, 0xe0, v0
	s_waitcnt vmcnt(28)
	v_wmma_f32_16x16x16_f16 v[139:146], v[99:106], v[131:138], v[139:146]
	v_mbcnt_lo_u32_b32 v99, -1, 0
	s_waitcnt vmcnt(26)
	v_wmma_f32_16x16x16_f16 v[123:130], v[107:114], v[131:138], v[123:130]
	v_add_nc_u32_e32 v100, s16, v91
	ds_load_b128 v[91:94], v171 offset:14336
	ds_load_b128 v[95:98], v171 offset:15360
	v_xor_b32_e32 v101, 16, v99
	s_waitcnt vmcnt(0) lgkmcnt(0)
	s_barrier
	v_or_b32_e32 v100, v100, v78
	buffer_gl0_inv
	v_cmp_gt_i32_e32 vcc_lo, 32, v101
	v_or_b32_e32 v102, 20, v100
	v_or_b32_e32 v103, 22, v100
	;; [unrolled: 1-line block ×4, first 2 shown]
	v_wmma_f32_16x16x16_f16 v[139:146], v[115:122], v[83:90], v[139:146]
	v_wmma_f32_16x16x16_f16 v[123:130], v[147:154], v[83:90], v[123:130]
	v_or_b32_e32 v83, 4, v100
	v_or_b32_e32 v84, 6, v100
	;; [unrolled: 1-line block ×5, first 2 shown]
	v_wmma_f32_16x16x16_f16 v[139:146], v[155:162], v[91:98], v[139:146]
	v_cndmask_b32_e32 v99, v99, v101, vcc_lo
	v_or_b32_e32 v101, 2, v100
	v_wmma_f32_16x16x16_f16 v[123:130], v[163:170], v[91:98], v[123:130]
	v_cmp_gt_i32_e32 vcc_lo, s18, v100
	v_dual_mul_f32 v98, s19, v139 :: v_dual_mul_f32 v97, s19, v140
	s_delay_alu instid0(VALU_DEP_4) | instskip(NEXT) | instid1(VALU_DEP_4)
	v_cmp_gt_i32_e64 s3, s18, v101
	v_mul_f32_e32 v112, s19, v126
	v_dual_mul_f32 v95, s19, v142 :: v_dual_mul_f32 v114, s19, v124
	v_mul_f32_e32 v96, s19, v141
	v_cndmask_b32_e32 v98, 0xff7fffff, v98, vcc_lo
	v_cndmask_b32_e64 v97, 0xff7fffff, v97, s3
	v_cmp_gt_i32_e64 s4, s18, v83
	v_cmp_gt_i32_e64 s5, s18, v84
	v_or_b32_e32 v88, 14, v100
	v_dual_mul_f32 v93, s19, v144 :: v_dual_mul_f32 v108, s19, v130
	v_mul_f32_e32 v94, s19, v143
	v_cndmask_b32_e64 v83, 0xff7fffff, v96, s4
	v_cndmask_b32_e64 v84, 0xff7fffff, v95, s5
	v_max3_f32 v95, v98, 0xff7fffff, v97
	v_cmp_gt_i32_e64 s6, s18, v85
	v_cmp_gt_i32_e64 s7, s18, v86
	v_or_b32_e32 v89, 16, v100
	v_or_b32_e32 v90, 18, v100
	v_dual_mul_f32 v91, s19, v146 :: v_dual_mul_f32 v110, s19, v128
	v_mul_f32_e32 v92, s19, v145
	v_cndmask_b32_e64 v85, 0xff7fffff, v94, s6
	v_cndmask_b32_e64 v86, 0xff7fffff, v93, s7
	v_max3_f32 v83, v95, v83, v84
	v_cmp_gt_i32_e64 s8, s18, v87
	v_cmp_gt_i32_e64 s9, s18, v88
	v_mul_f32_e32 v115, s19, v123
	v_cmp_gt_i32_e64 s10, s18, v89
	v_max3_f32 v83, v83, v85, v86
	v_cndmask_b32_e64 v84, 0xff7fffff, v92, s8
	v_cndmask_b32_e64 v87, 0xff7fffff, v91, s9
	v_cmp_gt_i32_e64 s11, s18, v90
	v_mul_f32_e32 v113, s19, v125
	v_cndmask_b32_e64 v85, 0xff7fffff, v115, s10
	v_cmp_gt_i32_e64 s12, s18, v102
	v_max3_f32 v83, v83, v84, v87
	v_cndmask_b32_e64 v86, 0xff7fffff, v114, s11
	v_cmp_gt_i32_e64 s13, s18, v103
	v_or_b32_e32 v106, 28, v100
	v_or_b32_e32 v107, 30, v100
	v_mul_f32_e32 v111, s19, v127
	v_cndmask_b32_e64 v84, 0xff7fffff, v113, s12
	v_cndmask_b32_e64 v87, 0xff7fffff, v112, s13
	v_max3_f32 v83, v83, v85, v86
	v_cmp_gt_i32_e64 s15, s18, v104
	v_cmp_gt_i32_e64 s16, s18, v105
	v_mul_f32_e32 v109, s19, v129
	v_cmp_gt_i32_e64 s17, s18, v106
	v_max3_f32 v83, v83, v84, v87
	v_cndmask_b32_e64 v85, 0xff7fffff, v111, s15
	v_cndmask_b32_e64 v86, 0xff7fffff, v110, s16
	v_cmp_gt_i32_e64 s18, s18, v107
	v_cndmask_b32_e64 v84, 0xff7fffff, v109, s17
	s_delay_alu instid0(VALU_DEP_3) | instskip(NEXT) | instid1(VALU_DEP_3)
	v_max3_f32 v83, v83, v85, v86
	v_cndmask_b32_e64 v87, 0xff7fffff, v108, s18
	v_lshlrev_b32_e32 v85, 2, v99
	s_delay_alu instid0(VALU_DEP_2) | instskip(SKIP_3) | instid1(VALU_DEP_1)
	v_max3_f32 v83, v83, v84, v87
	ds_bpermute_b32 v84, v85, v83
	s_waitcnt lgkmcnt(0)
	v_max_f32_e32 v84, v84, v84
	v_max_f32_e32 v83, v83, v84
	s_delay_alu instid0(VALU_DEP_1) | instskip(SKIP_3) | instid1(VALU_DEP_4)
	v_fma_f32 v84, s19, v139, -v83
	v_fma_f32 v86, s19, v140, -v83
	;; [unrolled: 1-line block ×4, first 2 shown]
	v_mul_f32_e32 v84, 0x3fb8aa3b, v84
	s_delay_alu instid0(VALU_DEP_4) | instskip(NEXT) | instid1(VALU_DEP_3)
	v_mul_f32_e32 v86, 0x3fb8aa3b, v86
	v_mul_f32_e32 v90, 0x3fb8aa3b, v88
	s_delay_alu instid0(VALU_DEP_3) | instskip(NEXT) | instid1(VALU_DEP_2)
	v_exp_f32_e32 v84, v84
	v_exp_f32_e32 v86, v86
	s_delay_alu instid0(VALU_DEP_1) | instskip(NEXT) | instid1(TRANS32_DEP_3)
	v_exp_f32_e32 v92, v90
	v_dual_cndmask_b32 v88, 0, v84 :: v_dual_mul_f32 v87, 0x3fb8aa3b, v87
	s_delay_alu instid0(VALU_DEP_1) | instskip(NEXT) | instid1(TRANS32_DEP_3)
	v_exp_f32_e32 v91, v87
	v_cndmask_b32_e64 v87, 0, v86, s3
	s_delay_alu instid0(VALU_DEP_2) | instskip(SKIP_1) | instid1(VALU_DEP_1)
	v_add_f32_e32 v86, 0, v88
	s_mov_b32 s3, exec_lo
	v_add_f32_e32 v86, v86, v87
	v_fma_f32 v89, s19, v143, -v83
	v_fma_f32 v84, s19, v144, -v83
	;; [unrolled: 1-line block ×3, first 2 shown]
	s_delay_alu instid0(TRANS32_DEP_1) | instskip(SKIP_1) | instid1(VALU_DEP_4)
	v_cndmask_b32_e64 v90, 0, v91, s4
	v_fma_f32 v91, s19, v146, -v83
	v_dual_mul_f32 v89, 0x3fb8aa3b, v89 :: v_dual_mul_f32 v84, 0x3fb8aa3b, v84
	s_delay_alu instid0(VALU_DEP_3) | instskip(SKIP_1) | instid1(VALU_DEP_3)
	v_dual_mul_f32 v93, 0x3fb8aa3b, v93 :: v_dual_add_f32 v86, v86, v90
	v_fma_f32 v95, s19, v123, -v83
	v_exp_f32_e32 v94, v89
	s_delay_alu instid0(VALU_DEP_3)
	v_exp_f32_e32 v84, v84
	v_cndmask_b32_e64 v89, 0, v92, s5
	v_mul_f32_e32 v91, 0x3fb8aa3b, v91
	v_fma_f32 v98, s19, v126, -v83
	v_exp_f32_e32 v93, v93
	v_fma_f32 v99, s19, v127, -v83
	v_add_f32_e32 v86, v86, v89
	v_exp_f32_e32 v96, v91
	v_mul_f32_e32 v98, 0x3fb8aa3b, v98
	v_cndmask_b32_e64 v92, 0, v94, s6
	v_fma_f32 v94, s19, v124, -v83
	v_mul_f32_e32 v95, 0x3fb8aa3b, v95
	v_cndmask_b32_e64 v91, 0, v84, s7
	s_delay_alu instid0(VALU_DEP_4)
	v_dual_mul_f32 v99, 0x3fb8aa3b, v99 :: v_dual_add_f32 v84, v86, v92
	v_fma_f32 v86, s19, v125, -v83
	v_mul_f32_e32 v97, 0x3fb8aa3b, v94
	v_exp_f32_e32 v95, v95
	v_exp_f32_e32 v101, v98
	v_add_f32_e32 v84, v84, v91
	v_mul_f32_e32 v86, 0x3fb8aa3b, v86
	v_exp_f32_e32 v97, v97
	v_cndmask_b32_e64 v94, 0, v93, s8
	v_cndmask_b32_e64 v93, 0, v96, s9
	v_fma_f32 v100, s19, v128, -v83
	v_exp_f32_e32 v86, v86
	v_exp_f32_e32 v99, v99
	v_cndmask_b32_e64 v96, 0, v95, s10
	s_delay_alu instid0(VALU_DEP_2) | instskip(NEXT) | instid1(TRANS32_DEP_3)
	v_mul_f32_e32 v100, 0x3fb8aa3b, v100
	v_cndmask_b32_e64 v95, 0, v97, s11
	v_fma_f32 v97, s19, v129, -v83
	s_delay_alu instid0(VALU_DEP_3) | instskip(NEXT) | instid1(TRANS32_DEP_3)
	v_exp_f32_e32 v102, v100
	v_cndmask_b32_e64 v98, 0, v86, s12
	s_delay_alu instid0(TRANS32_DEP_2) | instskip(NEXT) | instid1(VALU_DEP_3)
	v_cndmask_b32_e64 v100, 0, v99, s15
	v_mul_f32_e32 v86, 0x3fb8aa3b, v97
	v_cndmask_b32_e64 v97, 0, v101, s13
	v_fma_f32 v101, s19, v130, -v83
	v_add_f32_e32 v84, v84, v94
	s_delay_alu instid0(VALU_DEP_4) | instskip(NEXT) | instid1(VALU_DEP_2)
	v_exp_f32_e32 v86, v86
	v_mul_f32_e32 v101, 0x3fb8aa3b, v101
	s_delay_alu instid0(VALU_DEP_2) | instskip(SKIP_1) | instid1(VALU_DEP_3)
	v_add_f32_e32 v84, v84, v93
	v_cndmask_b32_e64 v99, 0, v102, s16
	v_exp_f32_e32 v101, v101
	s_delay_alu instid0(VALU_DEP_2) | instskip(SKIP_4) | instid1(VALU_DEP_2)
	v_add_f32_e32 v84, v84, v96
	s_waitcnt_depctr 0xfff
	v_cndmask_b32_e64 v102, 0, v86, s17
	v_add_f32_e32 v84, v84, v95
	v_cndmask_b32_e64 v101, 0, v101, s18
	v_add_f32_e32 v84, v84, v98
	s_delay_alu instid0(VALU_DEP_1) | instskip(NEXT) | instid1(VALU_DEP_1)
	v_add_f32_e32 v84, v84, v97
	v_add_f32_e32 v84, v84, v100
	s_delay_alu instid0(VALU_DEP_1) | instskip(NEXT) | instid1(VALU_DEP_1)
	v_add_f32_e32 v84, v84, v99
	v_add_f32_e32 v84, v84, v102
	s_delay_alu instid0(VALU_DEP_1)
	v_add_f32_e32 v84, v84, v101
	ds_bpermute_b32 v85, v85, v84
	v_cmpx_gt_u32_e32 16, v81
	s_cbranch_execz .LBB363_14
; %bb.13:
	v_mul_u32_u24_e32 v81, 0x44, v82
	s_waitcnt lgkmcnt(0)
	v_add_f32_e32 v84, v84, v85
	s_delay_alu instid0(VALU_DEP_2) | instskip(NEXT) | instid1(VALU_DEP_1)
	v_lshl_add_u32 v81, v79, 2, v81
	v_add_nc_u32_e32 v81, 0x4000, v81
	ds_store_2addr_b32 v81, v83, v84 offset1:136
.LBB363_14:
	s_or_b32 exec_lo, exec_lo, s3
	v_lshlrev_b32_e32 v79, 2, v79
	s_load_b32 s35, s[0:1], 0x94
	s_waitcnt lgkmcnt(0)
	s_barrier
	buffer_gl0_inv
	v_add_nc_u32_e32 v79, 0x4000, v79
	v_cmp_eq_u32_e32 vcc_lo, 1, v82
	v_cmp_eq_u32_e64 s3, 2, v82
	v_cmp_eq_u32_e64 s4, 3, v82
	;; [unrolled: 1-line block ×3, first 2 shown]
	ds_load_2addr_b32 v[83:84], v79 offset1:17
	ds_load_2addr_b32 v[103:104], v79 offset0:34 offset1:51
	ds_load_2addr_b32 v[105:106], v79 offset0:68 offset1:85
	ds_load_2addr_b32 v[107:108], v79 offset0:102 offset1:119
	ds_load_2addr_b32 v[109:110], v79 offset0:136 offset1:153
	v_cmp_eq_u32_e64 s6, 7, v82
	s_waitcnt lgkmcnt(4)
	v_max3_f32 v81, v83, 0xff7fffff, v84
	s_waitcnt lgkmcnt(3)
	s_delay_alu instid0(VALU_DEP_1) | instskip(SKIP_1) | instid1(VALU_DEP_1)
	v_max3_f32 v81, v81, v103, v104
	s_waitcnt lgkmcnt(2)
	v_max3_f32 v81, v81, v105, v106
	s_waitcnt lgkmcnt(1)
	s_delay_alu instid0(VALU_DEP_1) | instskip(NEXT) | instid1(VALU_DEP_1)
	v_max3_f32 v85, v81, v107, v108
	v_sub_f32_e32 v86, v84, v85
	v_sub_f32_e32 v81, v83, v85
	;; [unrolled: 1-line block ×3, first 2 shown]
	s_delay_alu instid0(VALU_DEP_3) | instskip(NEXT) | instid1(VALU_DEP_2)
	v_dual_sub_f32 v111, v104, v85 :: v_dual_mul_f32 v86, 0x3fb8aa3b, v86
	v_dual_mul_f32 v81, 0x3fb8aa3b, v81 :: v_dual_mul_f32 v112, 0x3fb8aa3b, v103
	s_delay_alu instid0(VALU_DEP_2) | instskip(NEXT) | instid1(VALU_DEP_3)
	v_mul_f32_e32 v111, 0x3fb8aa3b, v111
	v_exp_f32_e32 v113, v86
	s_delay_alu instid0(VALU_DEP_2) | instskip(NEXT) | instid1(VALU_DEP_2)
	v_exp_f32_e32 v81, v81
	v_exp_f32_e32 v112, v112
	s_delay_alu instid0(VALU_DEP_1) | instskip(SKIP_1) | instid1(TRANS32_DEP_3)
	v_exp_f32_e32 v111, v111
	s_waitcnt lgkmcnt(0)
	v_fma_f32 v86, v81, v109, 0
	s_delay_alu instid0(VALU_DEP_1)
	v_fmac_f32_e32 v86, v113, v110
	ds_load_2addr_b32 v[83:84], v79 offset0:170 offset1:187
	ds_load_2addr_b32 v[103:104], v79 offset0:204 offset1:221
	s_waitcnt lgkmcnt(1)
	v_dual_sub_f32 v109, v106, v85 :: v_dual_fmac_f32 v86, v112, v83
	v_sub_f32_e32 v105, v105, v85
	s_delay_alu instid0(VALU_DEP_2) | instskip(NEXT) | instid1(VALU_DEP_2)
	v_dual_sub_f32 v83, v108, v85 :: v_dual_fmac_f32 v86, v111, v84
	v_mul_f32_e32 v114, 0x3fb8aa3b, v105
	ds_load_2addr_b32 v[105:106], v79 offset0:238 offset1:255
	v_sub_f32_e32 v79, v107, v85
	v_mul_f32_e32 v107, 0x3fb8aa3b, v109
	v_mul_f32_e32 v83, 0x3fb8aa3b, v83
	v_exp_f32_e32 v109, v114
	s_waitcnt lgkmcnt(0)
	s_barrier
	v_exp_f32_e32 v107, v107
	buffer_gl0_inv
	v_fmac_f32_e32 v86, v109, v103
	v_exp_f32_e32 v103, v83
	s_delay_alu instid0(VALU_DEP_1) | instskip(NEXT) | instid1(VALU_DEP_1)
	v_dual_fmac_f32 v86, v107, v104 :: v_dual_mul_f32 v79, 0x3fb8aa3b, v79
	v_exp_f32_e32 v108, v79
	s_waitcnt_depctr 0xfff
	v_fmac_f32_e32 v86, v108, v105
	s_delay_alu instid0(VALU_DEP_1) | instskip(NEXT) | instid1(VALU_DEP_1)
	v_fmac_f32_e32 v86, v103, v106
	v_add_f32_e32 v104, 0x358637bd, v86
	s_delay_alu instid0(VALU_DEP_1) | instskip(NEXT) | instid1(VALU_DEP_1)
	v_div_scale_f32 v105, null, v104, v104, 1.0
	v_rcp_f32_e32 v106, v105
	s_waitcnt_depctr 0xfff
	v_fma_f32 v79, -v105, v106, 1.0
	s_delay_alu instid0(VALU_DEP_1) | instskip(SKIP_1) | instid1(VALU_DEP_2)
	v_dual_fmac_f32 v106, v79, v106 :: v_dual_cndmask_b32 v81, v81, v113
	v_div_scale_f32 v110, vcc_lo, 1.0, v104, 1.0
	v_cndmask_b32_e64 v79, v81, v112, s3
	s_delay_alu instid0(VALU_DEP_2) | instskip(SKIP_2) | instid1(VALU_DEP_4)
	v_mul_f32_e32 v112, v110, v106
	v_cmp_eq_u32_e64 s3, 4, v82
	v_lshl_or_b32 v81, v82, 11, v80
	v_cndmask_b32_e64 v83, v79, v111, s4
	s_delay_alu instid0(VALU_DEP_4)
	v_fma_f32 v84, -v105, v112, v110
	v_cmp_eq_u32_e64 s4, 6, v82
	v_lshlrev_b32_e32 v79, 2, v78
	v_lshl_or_b32 v78, v78, 4, v81
	v_cndmask_b32_e64 v83, v83, v109, s3
	v_fmac_f32_e32 v112, v84, v106
	s_delay_alu instid0(VALU_DEP_4) | instskip(SKIP_1) | instid1(VALU_DEP_4)
	v_or_b32_e32 v82, 1, v79
	v_or_b32_e32 v84, 2, v79
	v_cndmask_b32_e64 v107, v83, v107, s5
	s_delay_alu instid0(VALU_DEP_4)
	v_fma_f32 v105, -v105, v112, v110
	v_or_b32_e32 v83, 3, v79
	v_cmp_eq_u32_e64 s3, 1, v79
	v_cmp_eq_u32_e64 s9, 1, v82
	v_cndmask_b32_e64 v107, v107, v108, s4
	v_div_fmas_f32 v105, v105, v106, v112
	v_cmp_eq_u32_e64 s10, 1, v84
	v_cmp_eq_u32_e64 s11, 1, v83
	v_cmp_eq_u32_e32 vcc_lo, 2, v79
	v_cndmask_b32_e64 v103, v107, v103, s6
	v_div_fixup_f32 v104, v105, v104, 1.0
	v_cmp_eq_u32_e64 s12, 2, v82
	v_cmp_eq_u32_e64 s15, 2, v84
	;; [unrolled: 1-line block ×4, first 2 shown]
	v_mul_f32_e32 v111, v103, v104
	v_cmp_eq_u32_e64 s13, 3, v82
	v_cmp_eq_u32_e64 s17, 3, v84
	;; [unrolled: 1-line block ×4, first 2 shown]
	v_fma_mixlo_f16 v103, v111, v88, 0
	v_fma_mixlo_f16 v104, v111, v90, 0
	;; [unrolled: 1-line block ×8, first 2 shown]
	v_fma_mixhi_f16 v103, v111, v87, 0
	v_fma_mixhi_f16 v104, v111, v89, 0
	;; [unrolled: 1-line block ×8, first 2 shown]
	ds_store_b128 v78, v[103:106]
	ds_store_b128 v78, v[107:110] offset:1024
	s_waitcnt lgkmcnt(0)
	s_barrier
	buffer_gl0_inv
	ds_load_b128 v[87:90], v81
	ds_load_b128 v[91:94], v81 offset:16
	ds_load_b128 v[95:98], v81 offset:1024
	;; [unrolled: 1-line block ×3, first 2 shown]
	v_cmp_eq_u32_e64 s21, 4, v84
	v_cmp_eq_u32_e64 s24, 5, v83
	;; [unrolled: 1-line block ×10, first 2 shown]
	s_waitcnt lgkmcnt(3)
	v_lshrrev_b32_e32 v103, 16, v87
	s_waitcnt lgkmcnt(2)
	v_lshrrev_b32_e32 v107, 16, v91
	;; [unrolled: 2-line block ×4, first 2 shown]
	v_lshrrev_b32_e32 v104, 16, v88
	v_cndmask_b32_e64 v119, v87, v103, s3
	v_cndmask_b32_e64 v120, v91, v107, s3
	;; [unrolled: 1-line block ×8, first 2 shown]
	v_lshrrev_b32_e32 v108, 16, v92
	v_cndmask_b32_e64 v103, v95, v111, s3
	v_cndmask_b32_e64 v107, v99, v115, s3
	;; [unrolled: 1-line block ×5, first 2 shown]
	v_cndmask_b32_e32 v111, v119, v88, vcc_lo
	v_cndmask_b32_e64 v119, v121, v88, s12
	v_cndmask_b32_e64 v121, v123, v88, s15
	;; [unrolled: 1-line block ×4, first 2 shown]
	v_lshrrev_b32_e32 v112, 16, v96
	v_lshrrev_b32_e32 v116, 16, v100
	v_cndmask_b32_e64 v126, v99, v115, s9
	v_cndmask_b32_e64 v128, v99, v115, s10
	v_cndmask_b32_e64 v99, v99, v115, s11
	v_cndmask_b32_e32 v115, v120, v92, vcc_lo
	v_cndmask_b32_e64 v120, v122, v92, s12
	v_cndmask_b32_e64 v122, v124, v92, s15
	v_cndmask_b32_e32 v91, v103, v96, vcc_lo
	v_cndmask_b32_e32 v92, v107, v100, vcc_lo
	v_cmp_eq_u32_e64 s4, 3, v79
	v_cndmask_b32_e64 v103, v125, v96, s12
	v_cndmask_b32_e64 v87, v87, v104, s18
	;; [unrolled: 1-line block ×3, first 2 shown]
	v_cmp_eq_u32_e64 s5, 4, v79
	v_lshrrev_b32_e32 v105, 16, v89
	v_lshrrev_b32_e32 v109, 16, v93
	v_cndmask_b32_e64 v107, v127, v96, s15
	v_cndmask_b32_e64 v95, v95, v96, s16
	;; [unrolled: 1-line block ×14, first 2 shown]
	v_cmp_eq_u32_e64 s6, 5, v79
	v_lshrrev_b32_e32 v113, 16, v97
	v_cndmask_b32_e64 v99, v99, v89, s5
	v_cndmask_b32_e64 v104, v111, v93, s5
	;; [unrolled: 1-line block ×11, first 2 shown]
	v_cmp_eq_u32_e64 s7, 6, v79
	v_lshrrev_b32_e32 v106, 16, v90
	v_lshrrev_b32_e32 v110, 16, v94
	v_cndmask_b32_e64 v93, v99, v105, s6
	v_cndmask_b32_e64 v99, v104, v109, s6
	;; [unrolled: 1-line block ×9, first 2 shown]
	v_cmp_eq_u32_e64 s8, 7, v79
	v_lshrrev_b32_e32 v114, 16, v98
	v_cndmask_b32_e64 v89, v89, v113, s6
	v_cndmask_b32_e64 v93, v93, v90, s7
	;; [unrolled: 1-line block ×19, first 2 shown]
	v_perm_b32 v90, v88, v87, 0x5040100
	v_cndmask_b32_e64 v87, v126, v100, s12
	v_cndmask_b32_e64 v105, v89, v114, s8
	v_perm_b32 v89, v103, v99, 0x5040100
	v_perm_b32 v88, v104, v94, 0x5040100
	v_cndmask_b32_e64 v94, v107, v112, s17
	v_cndmask_b32_e64 v95, v95, v112, s18
	;; [unrolled: 1-line block ×5, first 2 shown]
	v_lshrrev_b32_e32 v117, 16, v101
	v_cndmask_b32_e64 v94, v94, v97, s21
	v_cndmask_b32_e64 v95, v95, v97, s22
	;; [unrolled: 1-line block ×11, first 2 shown]
	v_lshrrev_b32_e32 v118, 16, v102
	v_cndmask_b32_e64 v91, v91, v102, s7
	v_cndmask_b32_e64 v94, v94, v98, s26
	;; [unrolled: 1-line block ×12, first 2 shown]
	v_perm_b32 v87, v93, v92, 0x5040100
	v_perm_b32 v94, v95, v94, 0x5040100
	v_perm_b32 v93, v96, v98, 0x5040100
	v_perm_b32 v92, v97, v106, 0x5040100
	v_perm_b32 v91, v91, v105, 0x5040100
	s_lshl_b32 s7, s33, 1
	s_mov_b32 s3, exec_lo
	ds_store_b128 v78, v[87:90]
	ds_store_b128 v78, v[91:94] offset:1024
	v_cmpx_gt_u32_e32 2, v0
	s_cbranch_execz .LBB363_16
; %bb.15:
	v_or_b32_e32 v87, s31, v0
	s_load_b128 s[8:11], s[0:1], 0x58
	s_delay_alu instid0(VALU_DEP_1) | instskip(NEXT) | instid1(VALU_DEP_1)
	v_mad_u64_u32 v[88:89], null, s7, s34, v[87:88]
	v_mad_u64_u32 v[89:90], null, v88, s35, s[14:15]
	s_delay_alu instid0(VALU_DEP_1) | instskip(NEXT) | instid1(VALU_DEP_1)
	v_ashrrev_i32_e32 v90, 31, v89
	v_lshlrev_b64 v[87:88], 2, v[89:90]
	s_waitcnt lgkmcnt(0)
	s_delay_alu instid0(VALU_DEP_1) | instskip(NEXT) | instid1(VALU_DEP_2)
	v_add_co_u32 v89, vcc_lo, s10, v87
	v_add_co_ci_u32_e32 v90, vcc_lo, s11, v88, vcc_lo
	v_add_co_u32 v87, vcc_lo, s8, v87
	v_add_co_ci_u32_e32 v88, vcc_lo, s9, v88, vcc_lo
	global_store_b32 v[89:90], v85, off
	global_store_b32 v[87:88], v86, off
.LBB363_16:
	s_or_b32 exec_lo, exec_lo, s3
	s_waitcnt lgkmcnt(0)
	s_waitcnt_vscnt null, 0x0
	s_barrier
	buffer_gl0_inv
	ds_load_b128 v[93:96], v80
	ds_load_b128 v[97:100], v80 offset:16
	ds_load_b128 v[105:108], v80 offset:1040
	;; [unrolled: 1-line block ×5, first 2 shown]
	v_cmp_eq_u32_e32 vcc_lo, 1, v84
	v_mov_b32_e32 v85, 0
	ds_load_b128 v[121:124], v80 offset:3088
	ds_load_b128 v[117:120], v80 offset:3072
	;; [unrolled: 1-line block ×4, first 2 shown]
	v_cmp_eq_u32_e64 s3, 1, v79
	v_cmp_eq_u32_e64 s4, 1, v83
	v_cmp_eq_u32_e64 s5, 1, v82
	v_mov_b32_e32 v86, v85
	v_mov_b32_e32 v87, v85
	;; [unrolled: 1-line block ×7, first 2 shown]
	v_cmp_eq_u32_e64 s6, 2, v79
	s_waitcnt lgkmcnt(8)
	s_delay_alu instid0(VALU_DEP_2)
	v_wmma_f32_16x16x16_f16 v[85:92], v[65:72], v[93:100], v[85:92]
	ds_load_b128 v[69:72], v80 offset:5136
	ds_load_b128 v[65:68], v80 offset:5120
	;; [unrolled: 1-line block ×4, first 2 shown]
	s_waitcnt lgkmcnt(10)
	v_wmma_f32_16x16x16_f16 v[85:92], v[57:64], v[101:108], v[85:92]
	s_waitcnt lgkmcnt(8)
	s_delay_alu instid0(VALU_DEP_1)
	v_wmma_f32_16x16x16_f16 v[85:92], v[57:64], v[109:116], v[85:92]
	ds_load_b128 v[61:64], v80 offset:7184
	ds_load_b128 v[57:60], v80 offset:7168
	;; [unrolled: 1-line block ×4, first 2 shown]
	s_waitcnt lgkmcnt(10)
	v_wmma_f32_16x16x16_f16 v[85:92], v[49:56], v[117:124], v[85:92]
	s_waitcnt lgkmcnt(8)
	s_delay_alu instid0(VALU_DEP_1)
	v_wmma_f32_16x16x16_f16 v[85:92], v[49:56], v[125:132], v[85:92]
	ds_load_b128 v[53:56], v80 offset:9232
	ds_load_b128 v[49:52], v80 offset:9216
	s_waitcnt lgkmcnt(8)
	v_wmma_f32_16x16x16_f16 v[85:92], v[41:48], v[65:72], v[85:92]
	ds_load_b128 v[69:72], v80 offset:10256
	ds_load_b128 v[65:68], v80 offset:10240
	s_waitcnt lgkmcnt(8)
	;; [unrolled: 4-line block ×7, first 2 shown]
	s_barrier
	buffer_gl0_inv
	v_wmma_f32_16x16x16_f16 v[85:92], v[33:40], v[41:48], v[85:92]
	s_delay_alu instid0(VALU_DEP_1) | instskip(NEXT) | instid1(VALU_DEP_1)
	v_wmma_f32_16x16x16_f16 v[85:92], v[33:40], v[57:64], v[85:92]
	v_wmma_f32_16x16x16_f16 v[85:92], v[25:32], v[9:16], v[85:92]
	s_delay_alu instid0(VALU_DEP_1) | instskip(NEXT) | instid1(VALU_DEP_1)
	v_wmma_f32_16x16x16_f16 v[85:92], v[25:32], v[49:56], v[85:92]
	v_wmma_f32_16x16x16_f16 v[85:92], v[17:24], v[1:8], v[85:92]
	s_delay_alu instid0(VALU_DEP_1) | instskip(NEXT) | instid1(VALU_DEP_2)
	v_cvt_f16_f32_e32 v1, v85
	v_cvt_f16_f32_e32 v2, v86
	s_delay_alu instid0(VALU_DEP_3) | instskip(NEXT) | instid1(VALU_DEP_4)
	v_cvt_f16_f32_e32 v3, v87
	v_cvt_f16_f32_e32 v4, v88
	;; [unrolled: 1-line block ×6, first 2 shown]
	v_pack_b32_f16 v1, v1, v2
	v_pack_b32_f16 v2, v3, v4
	;; [unrolled: 1-line block ×3, first 2 shown]
	s_delay_alu instid0(VALU_DEP_4)
	v_pack_b32_f16 v4, v7, v8
	ds_store_b128 v78, v[1:4]
	s_waitcnt lgkmcnt(0)
	s_barrier
	buffer_gl0_inv
	ds_load_b128 v[1:4], v81
	ds_load_b128 v[5:8], v81 offset:16
	s_waitcnt lgkmcnt(1)
	v_lshrrev_b32_e32 v9, 16, v1
	s_waitcnt lgkmcnt(0)
	v_lshrrev_b32_e32 v13, 16, v5
	v_lshrrev_b32_e32 v15, 16, v7
	;; [unrolled: 1-line block ×4, first 2 shown]
	v_cndmask_b32_e64 v17, v1, v9, s3
	v_cndmask_b32_e64 v18, v5, v13, s3
	;; [unrolled: 1-line block ×3, first 2 shown]
	v_cmp_eq_u32_e64 s3, 2, v82
	v_cndmask_b32_e64 v20, v5, v13, s5
	v_cndmask_b32_e32 v21, v1, v9, vcc_lo
	v_cndmask_b32_e32 v22, v5, v13, vcc_lo
	v_cndmask_b32_e64 v1, v1, v9, s4
	v_cndmask_b32_e64 v5, v5, v13, s4
	v_cmp_eq_u32_e32 vcc_lo, 2, v84
	v_cmp_eq_u32_e64 s4, 2, v83
	v_cndmask_b32_e64 v9, v17, v2, s6
	v_cndmask_b32_e64 v13, v18, v6, s6
	v_cndmask_b32_e64 v17, v19, v2, s3
	v_cndmask_b32_e64 v18, v20, v6, s3
	v_cndmask_b32_e32 v19, v21, v2, vcc_lo
	v_cmp_eq_u32_e64 s3, 3, v84
	v_cndmask_b32_e32 v20, v22, v6, vcc_lo
	v_cndmask_b32_e64 v1, v1, v2, s4
	v_cmp_eq_u32_e32 vcc_lo, 3, v83
	v_cmp_eq_u32_e64 s5, 3, v79
	v_cndmask_b32_e64 v2, v5, v6, s4
	v_cmp_eq_u32_e64 s4, 3, v82
	v_lshrrev_b32_e32 v16, 16, v8
	v_cmp_eq_u32_e64 s6, 4, v79
	v_cndmask_b32_e64 v5, v9, v10, s5
	v_cndmask_b32_e64 v6, v13, v14, s5
	;; [unrolled: 1-line block ×3, first 2 shown]
	v_cmp_eq_u32_e64 s5, 4, v82
	v_cndmask_b32_e64 v13, v18, v14, s4
	v_cndmask_b32_e64 v17, v19, v10, s3
	;; [unrolled: 1-line block ×3, first 2 shown]
	v_cndmask_b32_e32 v1, v1, v10, vcc_lo
	v_cndmask_b32_e32 v2, v2, v14, vcc_lo
	v_cmp_eq_u32_e32 vcc_lo, 4, v84
	v_cmp_eq_u32_e64 s4, 4, v83
	v_lshrrev_b32_e32 v11, 16, v3
	v_cndmask_b32_e64 v5, v5, v3, s6
	v_cndmask_b32_e64 v6, v6, v7, s6
	;; [unrolled: 1-line block ×4, first 2 shown]
	v_cndmask_b32_e32 v13, v17, v3, vcc_lo
	v_cmp_eq_u32_e64 s3, 5, v84
	v_cndmask_b32_e32 v14, v18, v7, vcc_lo
	v_cndmask_b32_e64 v1, v1, v3, s4
	v_cmp_eq_u32_e32 vcc_lo, 5, v83
	v_cmp_eq_u32_e64 s5, 5, v79
	v_cndmask_b32_e64 v2, v2, v7, s4
	v_cmp_eq_u32_e64 s4, 5, v82
	v_cmp_eq_u32_e64 s6, 6, v79
	v_cndmask_b32_e32 v1, v1, v11, vcc_lo
	v_cndmask_b32_e64 v3, v5, v11, s5
	v_cndmask_b32_e64 v5, v6, v15, s5
	;; [unrolled: 1-line block ×3, first 2 shown]
	v_cmp_eq_u32_e64 s5, 6, v82
	v_cndmask_b32_e64 v7, v10, v15, s4
	v_cndmask_b32_e64 v9, v13, v11, s3
	;; [unrolled: 1-line block ×3, first 2 shown]
	v_cndmask_b32_e32 v2, v2, v15, vcc_lo
	v_cmp_eq_u32_e32 vcc_lo, 6, v84
	v_cmp_eq_u32_e64 s3, 6, v83
	v_lshrrev_b32_e32 v12, 16, v4
	v_cndmask_b32_e64 v3, v3, v4, s6
	v_cndmask_b32_e64 v5, v5, v8, s6
	;; [unrolled: 1-line block ×4, first 2 shown]
	v_cndmask_b32_e32 v9, v9, v4, vcc_lo
	v_cmp_eq_u32_e64 s4, 7, v84
	v_cndmask_b32_e32 v10, v10, v8, vcc_lo
	v_cndmask_b32_e64 v1, v1, v4, s3
	v_cmp_eq_u32_e32 vcc_lo, 7, v83
	v_cndmask_b32_e64 v2, v2, v8, s3
	v_cmp_eq_u32_e64 s3, 7, v79
	v_cmp_eq_u32_e64 s5, 7, v82
	v_cndmask_b32_e32 v1, v1, v12, vcc_lo
	s_delay_alu instid0(VALU_DEP_4) | instskip(NEXT) | instid1(VALU_DEP_4)
	v_cndmask_b32_e32 v2, v2, v16, vcc_lo
	v_cndmask_b32_e64 v8, v3, v12, s3
	s_delay_alu instid0(VALU_DEP_4)
	v_cndmask_b32_e64 v6, v6, v12, s5
	v_cndmask_b32_e64 v3, v9, v12, s4
	;; [unrolled: 1-line block ×5, first 2 shown]
	v_perm_b32 v4, v2, v1, 0x5040100
	s_delay_alu instid0(VALU_DEP_4) | instskip(NEXT) | instid1(VALU_DEP_4)
	v_perm_b32 v3, v9, v3, 0x5040100
	v_perm_b32 v2, v7, v6, 0x5040100
	s_delay_alu instid0(VALU_DEP_4)
	v_perm_b32 v1, v5, v8, 0x5040100
	ds_store_b128 v78, v[1:4]
	s_waitcnt lgkmcnt(0)
	s_barrier
	buffer_gl0_inv
	s_and_saveexec_b32 s3, s2
	s_cbranch_execz .LBB363_2
; %bb.17:
	s_load_b64 s[0:1], s[0:1], 0x68
	v_lshlrev_b32_e32 v0, 10, v0
	s_lshl_b32 s2, s35, 7
	v_lshlrev_b32_e32 v1, 4, v77
	v_mul_lo_u32 v4, s2, v76
	s_mul_i32 s3, s2, s34
	v_and_b32_e32 v0, 0x3800, v0
	s_mul_i32 s2, s3, s7
	s_delay_alu instid0(SALU_CYCLE_1) | instskip(NEXT) | instid1(VALU_DEP_1)
	s_ashr_i32 s3, s2, 31
	v_or3_b32 v0, v0, v75, v1
	s_lshl_b64 s[2:3], s[2:3], 1
	s_delay_alu instid0(VALU_DEP_3)
	v_ashrrev_i32_e32 v5, 31, v4
	ds_load_b128 v[0:3], v0
	v_lshlrev_b64 v[4:5], 1, v[4:5]
	s_waitcnt lgkmcnt(0)
	s_add_u32 s2, s0, s2
	s_addc_u32 s3, s1, s3
	s_lshl_b32 s0, s14, 7
	s_delay_alu instid0(SALU_CYCLE_1) | instskip(NEXT) | instid1(SALU_CYCLE_1)
	s_ashr_i32 s1, s0, 31
	s_lshl_b64 s[0:1], s[0:1], 1
	s_delay_alu instid0(SALU_CYCLE_1) | instskip(SKIP_3) | instid1(VALU_DEP_2)
	s_add_u32 s0, s2, s0
	s_addc_u32 s1, s3, s1
	v_add_co_u32 v4, vcc_lo, s0, v4
	v_add_co_ci_u32_e32 v5, vcc_lo, s1, v5, vcc_lo
	v_add_co_u32 v4, vcc_lo, v4, v73
	s_delay_alu instid0(VALU_DEP_2)
	v_add_co_ci_u32_e32 v5, vcc_lo, v5, v74, vcc_lo
	global_store_b128 v[4:5], v[0:3], off
	s_nop 0
	s_sendmsg sendmsg(MSG_DEALLOC_VGPRS)
	s_endpgm
	.section	.rodata,"a",@progbits
	.p2align	6, 0x0
	.amdhsa_kernel _Z39paged_attention_ll4mi_QKV_mfma16_kernelIDF16_DF16_LN4vllm18Fp8KVCacheDataTypeE0EDF16_Li32ELi128ELi256ELb1ELi2EL8MFMAType0EEvPKT_PKT0_S8_ifPKiSA_SA_iPKfiiiPfSD_PS3_PT2_iSC_SC_
		.amdhsa_group_segment_fixed_size 17472
		.amdhsa_private_segment_fixed_size 0
		.amdhsa_kernarg_size 400
		.amdhsa_user_sgpr_count 13
		.amdhsa_user_sgpr_dispatch_ptr 0
		.amdhsa_user_sgpr_queue_ptr 0
		.amdhsa_user_sgpr_kernarg_segment_ptr 1
		.amdhsa_user_sgpr_dispatch_id 0
		.amdhsa_user_sgpr_private_segment_size 0
		.amdhsa_wavefront_size32 1
		.amdhsa_uses_dynamic_stack 0
		.amdhsa_enable_private_segment 0
		.amdhsa_system_sgpr_workgroup_id_x 1
		.amdhsa_system_sgpr_workgroup_id_y 1
		.amdhsa_system_sgpr_workgroup_id_z 1
		.amdhsa_system_sgpr_workgroup_info 0
		.amdhsa_system_vgpr_workitem_id 0
		.amdhsa_next_free_vgpr 174
		.amdhsa_next_free_sgpr 39
		.amdhsa_reserve_vcc 1
		.amdhsa_float_round_mode_32 0
		.amdhsa_float_round_mode_16_64 0
		.amdhsa_float_denorm_mode_32 3
		.amdhsa_float_denorm_mode_16_64 3
		.amdhsa_dx10_clamp 1
		.amdhsa_ieee_mode 1
		.amdhsa_fp16_overflow 0
		.amdhsa_workgroup_processor_mode 1
		.amdhsa_memory_ordered 1
		.amdhsa_forward_progress 0
		.amdhsa_shared_vgpr_count 0
		.amdhsa_exception_fp_ieee_invalid_op 0
		.amdhsa_exception_fp_denorm_src 0
		.amdhsa_exception_fp_ieee_div_zero 0
		.amdhsa_exception_fp_ieee_overflow 0
		.amdhsa_exception_fp_ieee_underflow 0
		.amdhsa_exception_fp_ieee_inexact 0
		.amdhsa_exception_int_div_zero 0
	.end_amdhsa_kernel
	.section	.text._Z39paged_attention_ll4mi_QKV_mfma16_kernelIDF16_DF16_LN4vllm18Fp8KVCacheDataTypeE0EDF16_Li32ELi128ELi256ELb1ELi2EL8MFMAType0EEvPKT_PKT0_S8_ifPKiSA_SA_iPKfiiiPfSD_PS3_PT2_iSC_SC_,"axG",@progbits,_Z39paged_attention_ll4mi_QKV_mfma16_kernelIDF16_DF16_LN4vllm18Fp8KVCacheDataTypeE0EDF16_Li32ELi128ELi256ELb1ELi2EL8MFMAType0EEvPKT_PKT0_S8_ifPKiSA_SA_iPKfiiiPfSD_PS3_PT2_iSC_SC_,comdat
.Lfunc_end363:
	.size	_Z39paged_attention_ll4mi_QKV_mfma16_kernelIDF16_DF16_LN4vllm18Fp8KVCacheDataTypeE0EDF16_Li32ELi128ELi256ELb1ELi2EL8MFMAType0EEvPKT_PKT0_S8_ifPKiSA_SA_iPKfiiiPfSD_PS3_PT2_iSC_SC_, .Lfunc_end363-_Z39paged_attention_ll4mi_QKV_mfma16_kernelIDF16_DF16_LN4vllm18Fp8KVCacheDataTypeE0EDF16_Li32ELi128ELi256ELb1ELi2EL8MFMAType0EEvPKT_PKT0_S8_ifPKiSA_SA_iPKfiiiPfSD_PS3_PT2_iSC_SC_
                                        ; -- End function
	.section	.AMDGPU.csdata,"",@progbits
; Kernel info:
; codeLenInByte = 7328
; NumSgprs: 41
; NumVgprs: 174
; ScratchSize: 0
; MemoryBound: 0
; FloatMode: 240
; IeeeMode: 1
; LDSByteSize: 17472 bytes/workgroup (compile time only)
; SGPRBlocks: 5
; VGPRBlocks: 21
; NumSGPRsForWavesPerEU: 41
; NumVGPRsForWavesPerEU: 174
; Occupancy: 8
; WaveLimiterHint : 1
; COMPUTE_PGM_RSRC2:SCRATCH_EN: 0
; COMPUTE_PGM_RSRC2:USER_SGPR: 13
; COMPUTE_PGM_RSRC2:TRAP_HANDLER: 0
; COMPUTE_PGM_RSRC2:TGID_X_EN: 1
; COMPUTE_PGM_RSRC2:TGID_Y_EN: 1
; COMPUTE_PGM_RSRC2:TGID_Z_EN: 1
; COMPUTE_PGM_RSRC2:TIDIG_COMP_CNT: 0
	.section	.text._Z39paged_attention_ll4mi_QKV_mfma16_kernelIDF16_DF16_LN4vllm18Fp8KVCacheDataTypeE0EDF16_Li32ELi128ELi256ELb1ELi3EL8MFMAType0EEvPKT_PKT0_S8_ifPKiSA_SA_iPKfiiiPfSD_PS3_PT2_iSC_SC_,"axG",@progbits,_Z39paged_attention_ll4mi_QKV_mfma16_kernelIDF16_DF16_LN4vllm18Fp8KVCacheDataTypeE0EDF16_Li32ELi128ELi256ELb1ELi3EL8MFMAType0EEvPKT_PKT0_S8_ifPKiSA_SA_iPKfiiiPfSD_PS3_PT2_iSC_SC_,comdat
	.protected	_Z39paged_attention_ll4mi_QKV_mfma16_kernelIDF16_DF16_LN4vllm18Fp8KVCacheDataTypeE0EDF16_Li32ELi128ELi256ELb1ELi3EL8MFMAType0EEvPKT_PKT0_S8_ifPKiSA_SA_iPKfiiiPfSD_PS3_PT2_iSC_SC_ ; -- Begin function _Z39paged_attention_ll4mi_QKV_mfma16_kernelIDF16_DF16_LN4vllm18Fp8KVCacheDataTypeE0EDF16_Li32ELi128ELi256ELb1ELi3EL8MFMAType0EEvPKT_PKT0_S8_ifPKiSA_SA_iPKfiiiPfSD_PS3_PT2_iSC_SC_
	.globl	_Z39paged_attention_ll4mi_QKV_mfma16_kernelIDF16_DF16_LN4vllm18Fp8KVCacheDataTypeE0EDF16_Li32ELi128ELi256ELb1ELi3EL8MFMAType0EEvPKT_PKT0_S8_ifPKiSA_SA_iPKfiiiPfSD_PS3_PT2_iSC_SC_
	.p2align	8
	.type	_Z39paged_attention_ll4mi_QKV_mfma16_kernelIDF16_DF16_LN4vllm18Fp8KVCacheDataTypeE0EDF16_Li32ELi128ELi256ELb1ELi3EL8MFMAType0EEvPKT_PKT0_S8_ifPKiSA_SA_iPKfiiiPfSD_PS3_PT2_iSC_SC_,@function
_Z39paged_attention_ll4mi_QKV_mfma16_kernelIDF16_DF16_LN4vllm18Fp8KVCacheDataTypeE0EDF16_Li32ELi128ELi256ELb1ELi3EL8MFMAType0EEvPKT_PKT0_S8_ifPKiSA_SA_iPKfiiiPfSD_PS3_PT2_iSC_SC_: ; @_Z39paged_attention_ll4mi_QKV_mfma16_kernelIDF16_DF16_LN4vllm18Fp8KVCacheDataTypeE0EDF16_Li32ELi128ELi256ELb1ELi3EL8MFMAType0EEvPKT_PKT0_S8_ifPKiSA_SA_iPKfiiiPfSD_PS3_PT2_iSC_SC_
; %bb.0:
	s_load_b64 s[2:3], s[0:1], 0x30
	s_mov_b32 s34, s13
	s_waitcnt lgkmcnt(0)
	s_cmp_lg_u64 s[2:3], 0
	s_cselect_b32 s6, -1, 0
	s_ashr_i32 s35, s13, 31
	s_cmp_eq_u64 s[2:3], 0
	s_cbranch_scc1 .LBB364_3
; %bb.1:
	s_lshl_b64 s[4:5], s[34:35], 2
	s_delay_alu instid0(SALU_CYCLE_1) | instskip(SKIP_4) | instid1(SALU_CYCLE_1)
	s_add_u32 s4, s2, s4
	s_addc_u32 s5, s3, s5
	s_load_b64 s[4:5], s[4:5], 0x0
	s_waitcnt lgkmcnt(0)
	s_sub_i32 s4, s5, s4
	s_cmp_eq_u32 s4, 1
	s_cselect_b32 s4, -1, 0
	s_delay_alu instid0(SALU_CYCLE_1)
	s_and_not1_b32 vcc_lo, exec_lo, s4
	s_cbranch_vccz .LBB364_4
.LBB364_2:
	s_nop 0
	s_sendmsg sendmsg(MSG_DEALLOC_VGPRS)
	s_endpgm
.LBB364_3:
.LBB364_4:
	s_load_b64 s[8:9], s[0:1], 0x28
	s_lshl_b64 s[4:5], s[34:35], 2
	s_waitcnt lgkmcnt(0)
	s_add_u32 s8, s8, s4
	s_addc_u32 s9, s9, s5
	s_lshl_b32 s12, s14, 8
	s_load_b32 s17, s[8:9], 0x0
	s_waitcnt lgkmcnt(0)
	s_cmp_ge_i32 s12, s17
	s_cbranch_scc1 .LBB364_2
; %bb.5:
	s_and_not1_b32 vcc_lo, exec_lo, s6
	s_cbranch_vccnz .LBB364_7
; %bb.6:
	s_add_u32 s2, s2, s4
	s_addc_u32 s3, s3, s5
	s_load_b32 s13, s[2:3], 0x0
	s_branch .LBB364_8
.LBB364_7:
	s_mov_b32 s13, s34
.LBB364_8:
	s_clause 0x2
	s_load_b128 s[8:11], s[0:1], 0x8
	s_load_b64 s[2:3], s[0:1], 0x20
	s_load_b128 s[4:7], s[0:1], 0x48
	v_lshrrev_b32_e32 v78, 5, v0
	v_bfe_u32 v75, v0, 4, 1
	v_and_b32_e32 v77, 15, v0
	s_waitcnt lgkmcnt(0)
	s_mov_b32 s7, exec_lo
	s_delay_alu instid0(VALU_DEP_2) | instskip(NEXT) | instid1(VALU_DEP_2)
	v_lshl_or_b32 v3, v78, 1, v75
	v_lshlrev_b32_e32 v1, 3, v77
	s_delay_alu instid0(VALU_DEP_2)
	v_cmpx_lt_u32_e32 2, v3
	s_xor_b32 s7, exec_lo, s7
; %bb.9:
	v_mov_b32_e32 v2, 0
                                        ; implicit-def: $vgpr3
; %bb.10:
	s_or_saveexec_b32 s7, s7
	v_and_b32_e32 v80, 31, v0
	v_and_b32_e32 v76, 1, v0
	s_mul_i32 s31, s15, 3
	s_xor_b32 exec_lo, exec_lo, s7
	s_cbranch_execz .LBB364_12
; %bb.11:
	s_load_b64 s[18:19], s[0:1], 0x0
	v_add_lshl_u32 v4, v3, s31, 7
	s_mul_hi_i32 s21, s13, s4
	s_mul_i32 s20, s13, s4
	v_lshlrev_b32_e32 v2, 1, v1
	s_lshl_b64 s[20:21], s[20:21], 1
	v_ashrrev_i32_e32 v5, 31, v4
	v_lshlrev_b32_e32 v3, 6, v3
	v_lshlrev_b32_e32 v8, 10, v76
	s_delay_alu instid0(VALU_DEP_3) | instskip(SKIP_3) | instid1(VALU_DEP_1)
	v_lshlrev_b64 v[4:5], 1, v[4:5]
	s_waitcnt lgkmcnt(0)
	s_add_u32 s4, s18, s20
	s_addc_u32 s13, s19, s21
	v_add_co_u32 v4, vcc_lo, s4, v4
	s_delay_alu instid0(VALU_DEP_2) | instskip(NEXT) | instid1(VALU_DEP_2)
	v_add_co_ci_u32_e32 v5, vcc_lo, s13, v5, vcc_lo
	v_add_co_u32 v4, vcc_lo, v4, v2
	s_delay_alu instid0(VALU_DEP_2) | instskip(SKIP_3) | instid1(VALU_DEP_1)
	v_add_co_ci_u32_e32 v5, vcc_lo, 0, v5, vcc_lo
	v_lshlrev_b32_e32 v2, 10, v77
	global_load_b128 v[4:7], v[4:5], off
	v_and_b32_e32 v2, 0x3800, v2
	v_or3_b32 v3, v2, v8, v3
	v_mov_b32_e32 v2, 0
	s_waitcnt vmcnt(0)
	ds_store_b128 v3, v[4:7]
.LBB364_12:
	s_or_b32 exec_lo, exec_lo, s7
	v_and_b32_e32 v3, 0xef, v0
	s_add_i32 s4, s17, 31
	s_clause 0x1
	s_load_b32 s7, s[0:1], 0x38
	s_load_b32 s33, s[0:1], 0x98
	s_ashr_i32 s13, s4, 31
	v_add_nc_u32_e32 v3, s12, v3
	s_lshr_b32 s13, s13, 27
	s_load_b32 s18, s[0:1], 0x1c
	s_add_i32 s4, s4, s13
	s_waitcnt lgkmcnt(0)
	v_ashrrev_i32_e32 v4, 31, v3
	v_cmp_gt_i32_e32 vcc_lo, s17, v3
	s_ashr_i32 s4, s4, 5
	s_barrier
	s_add_i32 s4, s4, -1
	v_lshrrev_b32_e32 v5, 27, v4
	v_or_b32_e32 v4, 16, v3
	buffer_gl0_inv
	v_lshlrev_b64 v[73:74], 1, v[1:2]
	v_lshlrev_b32_e32 v79, 6, v77
	v_add_nc_u32_e32 v6, v3, v5
	v_add_nc_u32_e32 v5, v4, v5
	s_mul_i32 s20, s34, s7
	s_delay_alu instid0(SALU_CYCLE_1) | instskip(NEXT) | instid1(VALU_DEP_2)
	s_ashr_i32 s21, s20, 31
	v_ashrrev_i32_e32 v6, 5, v6
	s_delay_alu instid0(VALU_DEP_2) | instskip(SKIP_1) | instid1(SALU_CYCLE_1)
	v_ashrrev_i32_e32 v5, 5, v5
	s_lshl_b64 s[20:21], s[20:21], 2
	s_add_u32 s13, s2, s20
	s_delay_alu instid0(VALU_DEP_2) | instskip(SKIP_3) | instid1(SALU_CYCLE_1)
	v_cndmask_b32_e32 v3, s4, v6, vcc_lo
	v_cmp_gt_i32_e32 vcc_lo, s17, v4
	s_addc_u32 s16, s3, s21
	s_mul_i32 s2, s15, s6
	s_ashr_i32 s3, s2, 31
	v_cndmask_b32_e32 v5, s4, v5, vcc_lo
	v_ashrrev_i32_e32 v4, 31, v3
	s_lshl_b64 s[2:3], s[2:3], 1
	s_delay_alu instid0(SALU_CYCLE_1) | instskip(NEXT) | instid1(VALU_DEP_2)
	s_add_u32 s15, s8, s2
	v_ashrrev_i32_e32 v6, 31, v5
	s_delay_alu instid0(VALU_DEP_2) | instskip(SKIP_2) | instid1(VALU_DEP_2)
	v_lshlrev_b64 v[3:4], 2, v[3:4]
	s_addc_u32 s19, s9, s3
	s_lshl_b32 s6, s14, 3
	v_lshlrev_b64 v[5:6], 2, v[5:6]
	s_ashr_i32 s7, s6, 31
	s_delay_alu instid0(VALU_DEP_2) | instskip(SKIP_1) | instid1(VALU_DEP_3)
	v_add_co_u32 v3, vcc_lo, s13, v3
	v_add_co_ci_u32_e32 v4, vcc_lo, s16, v4, vcc_lo
	v_add_co_u32 v5, vcc_lo, s13, v5
	s_delay_alu instid0(VALU_DEP_4)
	v_add_co_ci_u32_e32 v6, vcc_lo, s16, v6, vcc_lo
	s_lshl_b64 s[6:7], s[6:7], 2
	s_clause 0x1
	global_load_b32 v7, v[3:4], off
	global_load_b32 v8, v[5:6], off
	s_add_u32 s6, s13, s6
	s_addc_u32 s7, s16, s7
	s_or_b32 s8, s12, 32
	s_delay_alu instid0(SALU_CYCLE_1) | instskip(SKIP_2) | instid1(SALU_CYCLE_1)
	s_ashr_i32 s9, s8, 5
	s_cmp_lt_i32 s8, s17
	s_cselect_b32 s8, s9, s4
	s_ashr_i32 s9, s8, 31
	s_delay_alu instid0(SALU_CYCLE_1) | instskip(NEXT) | instid1(SALU_CYCLE_1)
	s_lshl_b64 s[8:9], s[8:9], 2
	s_add_u32 s8, s13, s8
	s_addc_u32 s9, s16, s9
	s_or_b32 s20, s12, 64
	s_delay_alu instid0(SALU_CYCLE_1) | instskip(SKIP_2) | instid1(SALU_CYCLE_1)
	s_ashr_i32 s21, s20, 5
	s_cmp_lt_i32 s20, s17
	s_cselect_b32 s20, s21, s4
	s_ashr_i32 s21, s20, 31
	s_delay_alu instid0(SALU_CYCLE_1) | instskip(NEXT) | instid1(SALU_CYCLE_1)
	s_lshl_b64 s[20:21], s[20:21], 2
	;; [unrolled: 10-line block ×5, first 2 shown]
	s_add_u32 s26, s13, s26
	s_addc_u32 s27, s16, s27
	s_clause 0x5
	s_load_b32 s28, s[6:7], 0x0
	s_load_b32 s29, s[8:9], 0x0
	;; [unrolled: 1-line block ×6, first 2 shown]
	s_mov_b32 s20, 0
	s_or_b32 s6, s12, 0xc0
	s_mov_b32 s21, s20
	s_mov_b32 s22, s20
	;; [unrolled: 1-line block ×7, first 2 shown]
	s_ashr_i32 s7, s6, 5
	v_mov_b32_e32 v128, s27
	s_cmp_lt_i32 s6, s17
	v_mov_b32_e32 v127, s26
	s_cselect_b32 s6, s7, s4
	v_mov_b32_e32 v126, s25
	s_ashr_i32 s7, s6, 31
	v_mov_b32_e32 v125, s24
	s_lshl_b64 s[6:7], s[6:7], 2
	v_mov_b32_e32 v124, s23
	s_add_u32 s6, s13, s6
	s_addc_u32 s7, s16, s7
	v_mov_b32_e32 v123, s22
	v_mov_b32_e32 v121, s20
	s_waitcnt lgkmcnt(0)
	s_mul_hi_i32 s9, s28, s5
	s_mul_i32 s8, s28, s5
	s_mul_hi_i32 s37, s38, s5
	v_mov_b32_e32 v122, s21
	s_mul_hi_i32 s21, s29, s5
	s_mul_i32 s20, s29, s5
	s_mul_hi_i32 s25, s30, s5
	s_mul_i32 s24, s30, s5
	;; [unrolled: 2-line block ×3, first 2 shown]
	s_waitcnt vmcnt(1)
	v_mad_i64_i32 v[3:4], null, v7, s5, 0
	s_waitcnt vmcnt(0)
	v_mad_i64_i32 v[5:6], null, v8, s5, 0
	s_delay_alu instid0(VALU_DEP_2) | instskip(NEXT) | instid1(VALU_DEP_2)
	v_lshlrev_b64 v[3:4], 1, v[3:4]
	v_lshlrev_b64 v[1:2], 1, v[5:6]
	s_delay_alu instid0(VALU_DEP_2) | instskip(NEXT) | instid1(VALU_DEP_3)
	v_add_co_u32 v3, vcc_lo, s15, v3
	v_add_co_ci_u32_e32 v4, vcc_lo, s19, v4, vcc_lo
	s_delay_alu instid0(VALU_DEP_3) | instskip(NEXT) | instid1(VALU_DEP_4)
	v_add_co_u32 v1, vcc_lo, s15, v1
	v_add_co_ci_u32_e32 v2, vcc_lo, s19, v2, vcc_lo
	s_delay_alu instid0(VALU_DEP_4) | instskip(NEXT) | instid1(VALU_DEP_4)
	v_add_co_u32 v65, vcc_lo, v3, v73
	v_add_co_ci_u32_e32 v66, vcc_lo, v4, v74, vcc_lo
	s_delay_alu instid0(VALU_DEP_4) | instskip(NEXT) | instid1(VALU_DEP_4)
	v_add_co_u32 v67, vcc_lo, v1, v73
	v_add_co_ci_u32_e32 v68, vcc_lo, v2, v74, vcc_lo
	s_clause 0xf
	global_load_b128 v[1:4], v[65:66], off
	global_load_b128 v[5:8], v[65:66], off offset:512
	global_load_b128 v[9:12], v[67:68], off offset:256
	;; [unrolled: 1-line block ×15, first 2 shown]
	v_add_co_u32 v157, vcc_lo, 0x1000, v65
	v_add_co_ci_u32_e32 v158, vcc_lo, 0, v66, vcc_lo
	v_add_co_u32 v165, vcc_lo, 0x1000, v67
	v_add_co_ci_u32_e32 v166, vcc_lo, 0, v68, vcc_lo
	s_clause 0x7
	global_load_b128 v[81:84], v[157:158], off
	global_load_b128 v[85:88], v[157:158], off offset:512
	global_load_b128 v[89:92], v[165:166], off offset:256
	global_load_b128 v[93:96], v[165:166], off offset:768
	global_load_b128 v[97:100], v[157:158], off offset:1024
	global_load_b128 v[101:104], v[157:158], off offset:1536
	global_load_b128 v[105:108], v[165:166], off offset:1280
	global_load_b128 v[109:112], v[165:166], off offset:1792
	v_mul_lo_u16 v65, 0x56, v77
	s_or_b32 s15, s12, 0xe0
	s_delay_alu instid0(SALU_CYCLE_1) | instskip(SKIP_1) | instid1(VALU_DEP_1)
	s_ashr_i32 s19, s15, 5
	s_cmp_lt_i32 s15, s17
	v_lshrrev_b16 v65, 8, v65
	s_cselect_b32 s22, s19, s4
	s_delay_alu instid0(SALU_CYCLE_1) | instskip(NEXT) | instid1(VALU_DEP_1)
	s_ashr_i32 s23, s22, 31
	v_mul_lo_u16 v65, v65, 3
	s_lshl_b64 s[22:23], s[22:23], 2
	s_delay_alu instid0(SALU_CYCLE_1) | instskip(SKIP_1) | instid1(VALU_DEP_1)
	s_add_u32 s22, s13, s22
	s_addc_u32 s23, s16, s23
	v_sub_nc_u16 v65, v77, v65
	s_add_i32 s15, s12, 0x100
	s_delay_alu instid0(SALU_CYCLE_1) | instskip(SKIP_1) | instid1(VALU_DEP_1)
	s_ashr_i32 s19, s15, 5
	s_cmp_lt_i32 s15, s17
	v_and_b32_e32 v65, 0xff, v65
	s_cselect_b32 s28, s19, s4
	s_delay_alu instid0(SALU_CYCLE_1) | instskip(NEXT) | instid1(VALU_DEP_1)
	s_ashr_i32 s29, s28, 31
	v_lshlrev_b32_e32 v169, 6, v65
	ds_load_b128 v[65:68], v169
	ds_load_b128 v[69:72], v169 offset:1024
	s_clause 0x1
	global_load_b128 v[113:116], v[157:158], off offset:2048
	global_load_b128 v[117:120], v[157:158], off offset:2560
	ds_load_b128 v[129:132], v169 offset:2048
	ds_load_b128 v[133:136], v169 offset:3072
	s_clause 0x5
	global_load_b128 v[145:148], v[165:166], off offset:2304
	global_load_b128 v[149:152], v[165:166], off offset:2816
	;; [unrolled: 1-line block ×6, first 2 shown]
	s_lshl_b64 s[28:29], s[28:29], 2
	s_delay_alu instid0(SALU_CYCLE_1)
	s_add_u32 s28, s13, s28
	s_addc_u32 s29, s16, s29
	s_add_u32 s4, s10, s2
	s_addc_u32 s19, s11, s3
	s_lshl_b64 s[2:3], s[8:9], 1
	s_lshl_b64 s[8:9], s[20:21], 1
	;; [unrolled: 1-line block ×4, first 2 shown]
	s_waitcnt vmcnt(30) lgkmcnt(2)
	v_wmma_f32_16x16x16_f16 v[137:144], v[1:8], v[65:72], v[121:128]
	ds_load_b128 v[1:4], v169 offset:4096
	ds_load_b128 v[5:8], v169 offset:5120
	s_waitcnt vmcnt(28)
	v_wmma_f32_16x16x16_f16 v[121:128], v[9:16], v[65:72], v[121:128]
	ds_load_b128 v[9:12], v169 offset:6144
	ds_load_b128 v[13:16], v169 offset:7168
	s_waitcnt vmcnt(26) lgkmcnt(4)
	v_wmma_f32_16x16x16_f16 v[137:144], v[17:24], v[129:136], v[137:144]
	ds_load_b128 v[17:20], v169 offset:8192
	ds_load_b128 v[21:24], v169 offset:9216
	s_waitcnt vmcnt(24)
	v_wmma_f32_16x16x16_f16 v[121:128], v[25:32], v[129:136], v[121:128]
	v_lshl_or_b32 v25, v78, 10, v79
	ds_load_b128 v[129:132], v169 offset:10240
	ds_load_b128 v[133:136], v169 offset:11264
	s_clause 0x2
	s_load_b32 s15, s[6:7], 0x0
	s_load_b32 s13, s[22:23], 0x0
	;; [unrolled: 1-line block ×3, first 2 shown]
	s_mul_hi_i32 s7, s36, s5
	v_add_co_u32 v170, s4, s4, v25
	s_delay_alu instid0(VALU_DEP_1)
	v_add_co_ci_u32_e64 v171, null, s19, 0, s4
	s_mul_i32 s6, s36, s5
	s_mul_i32 s36, s38, s5
	s_lshl_b64 s[6:7], s[6:7], 1
	s_lshl_b64 s[22:23], s[36:37], 1
	s_waitcnt vmcnt(22) lgkmcnt(0)
	v_wmma_f32_16x16x16_f16 v[137:144], v[33:40], v[1:8], v[137:144]
	s_waitcnt vmcnt(20)
	v_wmma_f32_16x16x16_f16 v[121:128], v[41:48], v[1:8], v[121:128]
	v_add_co_u32 v1, vcc_lo, v170, s2
	v_add_co_ci_u32_e32 v2, vcc_lo, s3, v171, vcc_lo
	v_add_co_u32 v3, vcc_lo, v170, s8
	v_add_co_ci_u32_e32 v4, vcc_lo, s9, v171, vcc_lo
	;; [unrolled: 2-line block ×4, first 2 shown]
	v_add_co_u32 v25, vcc_lo, v170, s6
	s_mul_hi_i32 s25, s15, s5
	s_mul_i32 s24, s15, s5
	v_add_co_ci_u32_e32 v26, vcc_lo, s7, v171, vcc_lo
	v_add_co_u32 v27, vcc_lo, v170, s22
	s_lshl_b64 s[24:25], s[24:25], 1
	s_waitcnt vmcnt(18)
	v_wmma_f32_16x16x16_f16 v[137:144], v[49:56], v[9:16], v[137:144]
	s_waitcnt vmcnt(16)
	v_wmma_f32_16x16x16_f16 v[121:128], v[57:64], v[9:16], v[121:128]
	v_add_co_ci_u32_e32 v28, vcc_lo, s23, v171, vcc_lo
	s_mul_hi_i32 s3, s13, s5
	s_mul_i32 s2, s13, s5
	v_add_co_u32 v29, vcc_lo, v170, s24
	s_lshl_b64 s[2:3], s[2:3], 1
	v_add_co_ci_u32_e32 v30, vcc_lo, s25, v171, vcc_lo
	s_waitcnt vmcnt(14)
	v_wmma_f32_16x16x16_f16 v[137:144], v[81:88], v[17:24], v[137:144]
	s_waitcnt vmcnt(12)
	v_wmma_f32_16x16x16_f16 v[121:128], v[89:96], v[17:24], v[121:128]
	v_add_co_u32 v17, vcc_lo, v170, s2
	v_add_co_ci_u32_e32 v18, vcc_lo, s3, v171, vcc_lo
	s_mul_hi_i32 s3, s16, s5
	s_mul_i32 s2, s16, s5
	s_clause 0x5
	global_load_b128 v[65:68], v[1:2], off
	global_load_b128 v[69:72], v[1:2], off offset:16
	global_load_b128 v[57:60], v[3:4], off
	global_load_b128 v[61:64], v[3:4], off offset:16
	global_load_b128 v[49:52], v[5:6], off
	global_load_b128 v[53:56], v[5:6], off offset:16
	s_lshl_b64 s[2:3], s[2:3], 1
	s_clause 0x1
	global_load_b128 v[41:44], v[7:8], off
	global_load_b128 v[45:48], v[7:8], off offset:16
	v_add_co_u32 v21, vcc_lo, v170, s2
	v_add_co_ci_u32_e32 v22, vcc_lo, s3, v171, vcc_lo
	s_clause 0x9
	global_load_b128 v[9:12], v[25:26], off
	global_load_b128 v[13:16], v[25:26], off offset:16
	global_load_b128 v[1:4], v[27:28], off
	global_load_b128 v[5:8], v[27:28], off offset:16
	;; [unrolled: 2-line block ×5, first 2 shown]
	ds_load_b128 v[81:84], v169 offset:12288
	ds_load_b128 v[85:88], v169 offset:13312
	v_and_b32_e32 v89, 0xe0, v0
	s_waitcnt vmcnt(28)
	v_wmma_f32_16x16x16_f16 v[137:144], v[97:104], v[129:136], v[137:144]
	v_mbcnt_lo_u32_b32 v97, -1, 0
	s_waitcnt vmcnt(26)
	v_wmma_f32_16x16x16_f16 v[121:128], v[105:112], v[129:136], v[121:128]
	v_add_nc_u32_e32 v98, s12, v89
	ds_load_b128 v[89:92], v169 offset:14336
	ds_load_b128 v[93:96], v169 offset:15360
	v_xor_b32_e32 v99, 16, v97
	s_waitcnt vmcnt(0) lgkmcnt(0)
	s_barrier
	v_or_b32_e32 v98, v98, v75
	buffer_gl0_inv
	v_cmp_gt_i32_e32 vcc_lo, 32, v99
	v_or_b32_e32 v100, 4, v98
	v_or_b32_e32 v101, 22, v98
	;; [unrolled: 1-line block ×4, first 2 shown]
	v_wmma_f32_16x16x16_f16 v[137:144], v[113:120], v[81:88], v[137:144]
	v_wmma_f32_16x16x16_f16 v[121:128], v[145:152], v[81:88], v[121:128]
	v_or_b32_e32 v81, 6, v98
	v_or_b32_e32 v82, 8, v98
	;; [unrolled: 1-line block ×3, first 2 shown]
	v_cmp_gt_i32_e64 s3, s17, v100
	v_or_b32_e32 v84, 12, v98
	v_wmma_f32_16x16x16_f16 v[137:144], v[153:160], v[89:96], v[137:144]
	v_wmma_f32_16x16x16_f16 v[121:128], v[161:168], v[89:96], v[121:128]
	v_cndmask_b32_e32 v97, v97, v99, vcc_lo
	v_or_b32_e32 v99, 2, v98
	v_cmp_gt_i32_e32 vcc_lo, s17, v98
	v_dual_mul_f32 v95, s18, v138 :: v_dual_mul_f32 v96, s18, v137
	v_mul_f32_e32 v93, s18, v140
	s_delay_alu instid0(VALU_DEP_4)
	v_cmp_gt_i32_e64 s2, s17, v99
	v_mul_f32_e32 v94, s18, v139
	v_mul_f32_e32 v108, s18, v126
	v_cndmask_b32_e32 v96, 0xff7fffff, v96, vcc_lo
	v_cmp_gt_i32_e64 s4, s17, v81
	v_cndmask_b32_e64 v95, 0xff7fffff, v95, s2
	v_or_b32_e32 v85, 14, v98
	v_dual_mul_f32 v91, s18, v142 :: v_dual_mul_f32 v110, s18, v124
	v_mul_f32_e32 v92, s18, v141
	v_cndmask_b32_e64 v94, 0xff7fffff, v94, s3
	v_cndmask_b32_e64 v81, 0xff7fffff, v93, s4
	v_max3_f32 v93, v96, 0xff7fffff, v95
	v_cmp_gt_i32_e64 s5, s17, v82
	v_cmp_gt_i32_e64 s6, s17, v83
	v_or_b32_e32 v86, 16, v98
	v_or_b32_e32 v87, 18, v98
	v_dual_mul_f32 v89, s18, v144 :: v_dual_mul_f32 v112, s18, v122
	v_mul_f32_e32 v90, s18, v143
	v_cndmask_b32_e64 v82, 0xff7fffff, v92, s5
	v_cndmask_b32_e64 v83, 0xff7fffff, v91, s6
	v_max3_f32 v81, v93, v94, v81
	v_cmp_gt_i32_e64 s7, s17, v84
	v_cmp_gt_i32_e64 s8, s17, v85
	v_or_b32_e32 v88, 20, v98
	v_mul_f32_e32 v113, s18, v121
	v_max3_f32 v81, v81, v82, v83
	v_cndmask_b32_e64 v84, 0xff7fffff, v90, s7
	v_cndmask_b32_e64 v85, 0xff7fffff, v89, s8
	v_cmp_gt_i32_e64 s9, s17, v86
	v_cmp_gt_i32_e64 s10, s17, v87
	v_mul_f32_e32 v111, s18, v123
	v_cmp_gt_i32_e64 s11, s17, v88
	v_max3_f32 v81, v81, v84, v85
	v_cndmask_b32_e64 v82, 0xff7fffff, v113, s9
	v_cndmask_b32_e64 v83, 0xff7fffff, v112, s10
	v_cmp_gt_i32_e64 s12, s17, v101
	v_or_b32_e32 v104, 28, v98
	v_or_b32_e32 v105, 30, v98
	v_mul_f32_e32 v109, s18, v125
	v_cndmask_b32_e64 v84, 0xff7fffff, v111, s11
	v_cndmask_b32_e64 v85, 0xff7fffff, v110, s12
	v_max3_f32 v81, v81, v82, v83
	v_cmp_gt_i32_e64 s13, s17, v102
	v_cmp_gt_i32_e64 s15, s17, v103
	v_dual_mul_f32 v106, s18, v128 :: v_dual_mul_f32 v107, s18, v127
	s_delay_alu instid0(VALU_DEP_4) | instskip(NEXT) | instid1(VALU_DEP_4)
	v_max3_f32 v81, v81, v84, v85
	v_cndmask_b32_e64 v82, 0xff7fffff, v109, s13
	s_delay_alu instid0(VALU_DEP_4) | instskip(SKIP_2) | instid1(VALU_DEP_3)
	v_cndmask_b32_e64 v83, 0xff7fffff, v108, s15
	v_cmp_gt_i32_e64 s16, s17, v104
	v_cmp_gt_i32_e64 s17, s17, v105
	v_max3_f32 v81, v81, v82, v83
	s_delay_alu instid0(VALU_DEP_3) | instskip(NEXT) | instid1(VALU_DEP_3)
	v_cndmask_b32_e64 v84, 0xff7fffff, v107, s16
	v_cndmask_b32_e64 v85, 0xff7fffff, v106, s17
	v_lshlrev_b32_e32 v83, 2, v97
	s_delay_alu instid0(VALU_DEP_2) | instskip(SKIP_3) | instid1(VALU_DEP_1)
	v_max3_f32 v81, v81, v84, v85
	ds_bpermute_b32 v82, v83, v81
	s_waitcnt lgkmcnt(0)
	v_max_f32_e32 v82, v82, v82
	v_max_f32_e32 v81, v81, v82
	s_delay_alu instid0(VALU_DEP_1)
	v_fma_f32 v82, s18, v137, -v81
	v_fma_f32 v84, s18, v138, -v81
	;; [unrolled: 1-line block ×5, first 2 shown]
	v_mul_f32_e32 v82, 0x3fb8aa3b, v82
	s_delay_alu instid0(VALU_DEP_4) | instskip(NEXT) | instid1(VALU_DEP_3)
	v_dual_mul_f32 v84, 0x3fb8aa3b, v84 :: v_dual_mul_f32 v89, 0x3fb8aa3b, v87
	v_mul_f32_e32 v86, 0x3fb8aa3b, v86
	s_delay_alu instid0(VALU_DEP_3) | instskip(NEXT) | instid1(VALU_DEP_2)
	v_exp_f32_e32 v82, v82
	v_exp_f32_e32 v84, v84
	s_delay_alu instid0(VALU_DEP_2) | instskip(NEXT) | instid1(VALU_DEP_1)
	v_exp_f32_e32 v92, v89
	v_exp_f32_e32 v86, v86
	v_cndmask_b32_e32 v88, 0, v82, vcc_lo
	s_delay_alu instid0(TRANS32_DEP_3)
	v_cndmask_b32_e64 v87, 0, v84, s2
	s_waitcnt_depctr 0xfff
	v_cndmask_b32_e64 v92, 0, v92, s5
	v_cmp_gt_u32_e64 s2, 16, v80
	v_cndmask_b32_e64 v89, 0, v86, s4
	v_add_f32_e32 v84, 0, v88
	s_delay_alu instid0(VALU_DEP_1) | instskip(NEXT) | instid1(VALU_DEP_1)
	v_dual_add_f32 v84, v84, v87 :: v_dual_mul_f32 v85, 0x3fb8aa3b, v85
	v_exp_f32_e32 v85, v85
	s_waitcnt_depctr 0xfff
	v_cndmask_b32_e64 v90, 0, v85, s3
	s_delay_alu instid0(VALU_DEP_1) | instskip(NEXT) | instid1(VALU_DEP_1)
	v_add_f32_e32 v84, v84, v90
	v_add_f32_e32 v84, v84, v89
	v_fma_f32 v82, s18, v142, -v81
	v_fma_f32 v91, s18, v143, -v81
	;; [unrolled: 1-line block ×5, first 2 shown]
	s_delay_alu instid0(VALU_DEP_4) | instskip(SKIP_1) | instid1(VALU_DEP_4)
	v_dual_mul_f32 v82, 0x3fb8aa3b, v82 :: v_dual_mul_f32 v91, 0x3fb8aa3b, v91
	v_fma_f32 v96, s18, v124, -v81
	v_mul_f32_e32 v86, 0x3fb8aa3b, v86
	v_fma_f32 v99, s18, v127, -v81
	s_delay_alu instid0(VALU_DEP_4) | instskip(SKIP_3) | instid1(VALU_DEP_1)
	v_exp_f32_e32 v82, v82
	v_exp_f32_e32 v93, v91
	v_mul_f32_e32 v97, 0x3fb8aa3b, v96
	v_exp_f32_e32 v86, v86
	v_exp_f32_e32 v97, v97
	v_cndmask_b32_e64 v91, 0, v82, s6
	v_dual_add_f32 v82, v84, v92 :: v_dual_mul_f32 v85, 0x3fb8aa3b, v85
	v_fma_f32 v84, s18, v123, -v81
	v_mul_f32_e32 v95, 0x3fb8aa3b, v94
	s_delay_alu instid0(TRANS32_DEP_3) | instskip(NEXT) | instid1(VALU_DEP_4)
	v_cndmask_b32_e64 v94, 0, v93, s7
	v_add_f32_e32 v82, v82, v91
	v_exp_f32_e32 v85, v85
	v_mul_f32_e32 v84, 0x3fb8aa3b, v84
	v_cndmask_b32_e64 v96, 0, v86, s9
	v_exp_f32_e32 v95, v95
	v_add_f32_e32 v82, v82, v94
	v_fma_f32 v86, s18, v126, -v81
	v_exp_f32_e32 v84, v84
	v_cndmask_b32_e64 v97, 0, v97, s12
	s_delay_alu instid0(TRANS32_DEP_3) | instskip(SKIP_2) | instid1(TRANS32_DEP_2)
	v_cndmask_b32_e64 v93, 0, v85, s8
	v_fma_f32 v85, s18, v125, -v81
	v_mul_f32_e32 v86, 0x3fb8aa3b, v86
	v_cndmask_b32_e64 v95, 0, v95, s10
	s_waitcnt_depctr 0xfff
	v_cndmask_b32_e64 v98, 0, v84, s11
	v_mul_f32_e32 v84, 0x3fb8aa3b, v99
	v_fma_f32 v99, s18, v128, -v81
	v_add_f32_e32 v82, v82, v93
	v_mul_f32_e32 v85, 0x3fb8aa3b, v85
	v_exp_f32_e32 v86, v86
	v_exp_f32_e32 v84, v84
	s_delay_alu instid0(VALU_DEP_1)
	v_exp_f32_e32 v85, v85
	s_waitcnt_depctr 0xfff
	v_cndmask_b32_e64 v102, 0, v84, s16
	v_cndmask_b32_e64 v100, 0, v85, s13
	v_dual_mul_f32 v85, 0x3fb8aa3b, v99 :: v_dual_add_f32 v82, v82, v96
	v_cndmask_b32_e64 v99, 0, v86, s15
	s_delay_alu instid0(VALU_DEP_2) | instskip(NEXT) | instid1(VALU_DEP_2)
	v_exp_f32_e32 v85, v85
	v_add_f32_e32 v82, v82, v95
	s_delay_alu instid0(VALU_DEP_1) | instskip(SKIP_3) | instid1(VALU_DEP_1)
	v_add_f32_e32 v82, v82, v98
	s_waitcnt_depctr 0xfff
	v_cndmask_b32_e64 v101, 0, v85, s17
	v_add_f32_e32 v82, v82, v97
	v_add_f32_e32 v82, v82, v100
	s_delay_alu instid0(VALU_DEP_1) | instskip(NEXT) | instid1(VALU_DEP_1)
	v_add_f32_e32 v82, v82, v99
	v_add_f32_e32 v82, v82, v102
	s_delay_alu instid0(VALU_DEP_1)
	v_add_f32_e32 v82, v82, v101
	ds_bpermute_b32 v83, v83, v82
	s_and_saveexec_b32 s3, s2
	s_cbranch_execz .LBB364_14
; %bb.13:
	v_mul_u32_u24_e32 v80, 0x44, v78
	s_waitcnt lgkmcnt(0)
	v_add_f32_e32 v82, v82, v83
	s_delay_alu instid0(VALU_DEP_2) | instskip(NEXT) | instid1(VALU_DEP_1)
	v_lshl_add_u32 v80, v77, 2, v80
	v_add_nc_u32_e32 v80, 0x4000, v80
	ds_store_2addr_b32 v80, v81, v82 offset1:136
.LBB364_14:
	s_or_b32 exec_lo, exec_lo, s3
	v_lshlrev_b32_e32 v80, 2, v77
	s_load_b32 s35, s[0:1], 0x94
	s_waitcnt lgkmcnt(0)
	s_barrier
	buffer_gl0_inv
	v_add_nc_u32_e32 v84, 0x4000, v80
	v_cmp_eq_u32_e32 vcc_lo, 1, v78
	v_cmp_eq_u32_e64 s3, 2, v78
	v_cmp_eq_u32_e64 s4, 3, v78
	;; [unrolled: 1-line block ×3, first 2 shown]
	ds_load_2addr_b32 v[80:81], v84 offset1:17
	ds_load_2addr_b32 v[82:83], v84 offset0:34 offset1:51
	ds_load_2addr_b32 v[103:104], v84 offset0:68 offset1:85
	;; [unrolled: 1-line block ×3, first 2 shown]
	v_cmp_eq_u32_e64 s6, 7, v78
	s_waitcnt lgkmcnt(3)
	v_max3_f32 v85, v80, 0xff7fffff, v81
	s_waitcnt lgkmcnt(2)
	s_delay_alu instid0(VALU_DEP_1) | instskip(SKIP_1) | instid1(VALU_DEP_1)
	v_max3_f32 v85, v85, v82, v83
	s_waitcnt lgkmcnt(1)
	v_max3_f32 v85, v85, v103, v104
	s_waitcnt lgkmcnt(0)
	s_delay_alu instid0(VALU_DEP_1) | instskip(NEXT) | instid1(VALU_DEP_1)
	v_max3_f32 v85, v85, v105, v106
	v_sub_f32_e32 v103, v103, v85
	ds_load_2addr_b32 v[107:108], v84 offset0:136 offset1:153
	v_sub_f32_e32 v80, v80, v85
	v_dual_sub_f32 v110, v83, v85 :: v_dual_mul_f32 v113, 0x3fb8aa3b, v103
	s_delay_alu instid0(VALU_DEP_2) | instskip(SKIP_3) | instid1(VALU_DEP_1)
	v_dual_sub_f32 v86, v81, v85 :: v_dual_mul_f32 v109, 0x3fb8aa3b, v80
	ds_load_2addr_b32 v[80:81], v84 offset0:170 offset1:187
	v_mul_f32_e32 v86, 0x3fb8aa3b, v86
	v_exp_f32_e32 v109, v109
	v_exp_f32_e32 v112, v86
	v_mul_f32_e32 v110, 0x3fb8aa3b, v110
	s_waitcnt lgkmcnt(1)
	s_waitcnt_depctr 0xfff
	v_fma_f32 v86, v109, v107, 0
	v_sub_f32_e32 v107, v104, v85
	v_sub_f32_e32 v82, v82, v85
	v_exp_f32_e32 v110, v110
	ds_load_2addr_b32 v[103:104], v84 offset0:238 offset1:255
	v_dual_fmac_f32 v86, v112, v108 :: v_dual_mul_f32 v111, 0x3fb8aa3b, v82
	ds_load_2addr_b32 v[82:83], v84 offset0:204 offset1:221
	v_dual_sub_f32 v84, v105, v85 :: v_dual_mul_f32 v105, 0x3fb8aa3b, v107
	v_exp_f32_e32 v107, v113
	v_exp_f32_e32 v111, v111
	s_waitcnt lgkmcnt(0)
	s_delay_alu instid0(VALU_DEP_1)
	v_mul_f32_e32 v84, 0x3fb8aa3b, v84
	v_exp_f32_e32 v105, v105
	s_barrier
	buffer_gl0_inv
	v_fmac_f32_e32 v86, v111, v80
	v_sub_f32_e32 v80, v106, v85
	v_exp_f32_e32 v106, v84
	s_delay_alu instid0(VALU_DEP_2) | instskip(NEXT) | instid1(VALU_DEP_2)
	v_fmac_f32_e32 v86, v110, v81
	v_mul_f32_e32 v80, 0x3fb8aa3b, v80
	s_delay_alu instid0(VALU_DEP_2) | instskip(NEXT) | instid1(VALU_DEP_2)
	v_dual_cndmask_b32 v81, v109, v112 :: v_dual_fmac_f32 v86, v107, v82
	v_exp_f32_e32 v108, v80
	s_delay_alu instid0(VALU_DEP_1) | instskip(SKIP_2) | instid1(VALU_DEP_1)
	v_fmac_f32_e32 v86, v105, v83
	s_waitcnt_depctr 0xfff
	v_fmac_f32_e32 v86, v106, v103
	v_fmac_f32_e32 v86, v108, v104
	s_delay_alu instid0(VALU_DEP_1) | instskip(NEXT) | instid1(VALU_DEP_1)
	v_add_f32_e32 v103, 0x358637bd, v86
	v_div_scale_f32 v104, null, v103, v103, 1.0
	v_div_scale_f32 v109, vcc_lo, 1.0, v103, 1.0
	s_delay_alu instid0(VALU_DEP_2) | instskip(SKIP_2) | instid1(VALU_DEP_1)
	v_rcp_f32_e32 v113, v104
	s_waitcnt_depctr 0xfff
	v_fma_f32 v80, -v104, v113, 1.0
	v_fmac_f32_e32 v113, v80, v113
	v_cndmask_b32_e64 v80, v81, v111, s3
	v_cmp_eq_u32_e64 s3, 4, v78
	v_lshl_or_b32 v81, v78, 11, v79
	s_delay_alu instid0(VALU_DEP_4) | instskip(NEXT) | instid1(VALU_DEP_4)
	v_mul_f32_e32 v111, v109, v113
	v_cndmask_b32_e64 v82, v80, v110, s4
	v_cmp_eq_u32_e64 s4, 6, v78
	s_delay_alu instid0(VALU_DEP_4) | instskip(SKIP_3) | instid1(VALU_DEP_3)
	v_lshl_or_b32 v78, v75, 4, v81
	v_lshlrev_b32_e32 v80, 2, v75
	v_fma_f32 v83, -v104, v111, v109
	v_cndmask_b32_e64 v84, v82, v107, s3
	v_or_b32_e32 v82, 1, v80
	s_delay_alu instid0(VALU_DEP_3) | instskip(NEXT) | instid1(VALU_DEP_3)
	v_fmac_f32_e32 v111, v83, v113
	v_cndmask_b32_e64 v105, v84, v105, s5
	v_or_b32_e32 v84, 2, v80
	v_or_b32_e32 v83, 3, v80
	v_cmp_eq_u32_e64 s3, 1, v80
	v_fma_f32 v104, -v104, v111, v109
	v_cndmask_b32_e64 v105, v105, v106, s4
	v_cmp_eq_u32_e64 s9, 1, v82
	v_cmp_eq_u32_e64 s10, 1, v84
	;; [unrolled: 1-line block ×3, first 2 shown]
	v_div_fmas_f32 v104, v104, v113, v111
	v_cndmask_b32_e64 v105, v105, v108, s6
	v_cmp_eq_u32_e32 vcc_lo, 2, v80
	v_cmp_eq_u32_e64 s12, 2, v82
	v_cmp_eq_u32_e64 s15, 2, v84
	v_div_fixup_f32 v103, v104, v103, 1.0
	v_cmp_eq_u32_e64 s16, 2, v83
	v_cmp_eq_u32_e64 s18, 3, v83
	v_cmp_eq_u32_e64 s4, 3, v80
	v_cmp_eq_u32_e64 s13, 3, v82
	v_mul_f32_e32 v111, v105, v103
	v_cmp_eq_u32_e64 s17, 3, v84
	v_cmp_eq_u32_e64 s22, 4, v83
	;; [unrolled: 1-line block ×4, first 2 shown]
	v_fma_mixlo_f16 v103, v111, v88, 0
	v_fma_mixlo_f16 v104, v111, v90, 0
	;; [unrolled: 1-line block ×8, first 2 shown]
	v_fma_mixhi_f16 v103, v111, v87, 0
	v_fma_mixhi_f16 v104, v111, v89, 0
	;; [unrolled: 1-line block ×8, first 2 shown]
	ds_store_b128 v78, v[103:106]
	ds_store_b128 v78, v[107:110] offset:1024
	s_waitcnt lgkmcnt(0)
	s_barrier
	buffer_gl0_inv
	ds_load_b128 v[87:90], v81
	ds_load_b128 v[91:94], v81 offset:16
	ds_load_b128 v[95:98], v81 offset:1024
	;; [unrolled: 1-line block ×3, first 2 shown]
	v_cmp_eq_u32_e64 s21, 4, v84
	v_cmp_eq_u32_e64 s24, 5, v83
	;; [unrolled: 1-line block ×13, first 2 shown]
	s_waitcnt lgkmcnt(3)
	v_lshrrev_b32_e32 v103, 16, v87
	s_waitcnt lgkmcnt(2)
	v_lshrrev_b32_e32 v107, 16, v91
	;; [unrolled: 2-line block ×4, first 2 shown]
	v_lshrrev_b32_e32 v104, 16, v88
	v_cndmask_b32_e64 v119, v87, v103, s3
	v_cndmask_b32_e64 v120, v91, v107, s3
	;; [unrolled: 1-line block ×8, first 2 shown]
	v_lshrrev_b32_e32 v108, 16, v92
	v_cndmask_b32_e64 v103, v95, v111, s3
	v_cndmask_b32_e64 v107, v99, v115, s3
	;; [unrolled: 1-line block ×5, first 2 shown]
	v_cndmask_b32_e32 v111, v119, v88, vcc_lo
	v_cndmask_b32_e64 v119, v121, v88, s12
	v_cndmask_b32_e64 v121, v123, v88, s15
	;; [unrolled: 1-line block ×4, first 2 shown]
	v_lshrrev_b32_e32 v112, 16, v96
	v_lshrrev_b32_e32 v116, 16, v100
	v_cndmask_b32_e64 v126, v99, v115, s9
	v_cndmask_b32_e64 v128, v99, v115, s10
	;; [unrolled: 1-line block ×3, first 2 shown]
	v_cndmask_b32_e32 v115, v120, v92, vcc_lo
	v_cndmask_b32_e64 v120, v122, v92, s12
	v_cndmask_b32_e64 v122, v124, v92, s15
	v_cndmask_b32_e32 v91, v103, v96, vcc_lo
	v_cndmask_b32_e32 v92, v107, v100, vcc_lo
	v_cndmask_b32_e64 v103, v125, v96, s12
	v_cndmask_b32_e64 v87, v87, v104, s18
	;; [unrolled: 1-line block ×3, first 2 shown]
	v_lshrrev_b32_e32 v105, 16, v89
	v_lshrrev_b32_e32 v109, 16, v93
	v_cndmask_b32_e64 v107, v127, v96, s15
	v_cndmask_b32_e64 v95, v95, v96, s16
	;; [unrolled: 1-line block ×14, first 2 shown]
	v_lshrrev_b32_e32 v113, 16, v97
	v_cndmask_b32_e64 v99, v99, v89, s5
	v_cndmask_b32_e64 v104, v111, v93, s5
	;; [unrolled: 1-line block ×11, first 2 shown]
	v_lshrrev_b32_e32 v106, 16, v90
	v_lshrrev_b32_e32 v110, 16, v94
	v_cndmask_b32_e64 v93, v99, v105, s6
	v_cndmask_b32_e64 v99, v104, v109, s6
	;; [unrolled: 1-line block ×9, first 2 shown]
	v_lshrrev_b32_e32 v114, 16, v98
	v_cndmask_b32_e64 v89, v89, v113, s6
	v_cndmask_b32_e64 v93, v93, v90, s7
	;; [unrolled: 1-line block ×19, first 2 shown]
	v_perm_b32 v90, v88, v87, 0x5040100
	v_cndmask_b32_e64 v87, v126, v100, s12
	v_cndmask_b32_e64 v105, v89, v114, s8
	v_perm_b32 v89, v103, v99, 0x5040100
	v_perm_b32 v88, v104, v94, 0x5040100
	v_cndmask_b32_e64 v94, v107, v112, s17
	v_cndmask_b32_e64 v95, v95, v112, s18
	;; [unrolled: 1-line block ×5, first 2 shown]
	v_lshrrev_b32_e32 v117, 16, v101
	v_cndmask_b32_e64 v94, v94, v97, s21
	v_cndmask_b32_e64 v95, v95, v97, s22
	;; [unrolled: 1-line block ×11, first 2 shown]
	v_lshrrev_b32_e32 v118, 16, v102
	v_cndmask_b32_e64 v91, v91, v102, s7
	v_cndmask_b32_e64 v94, v94, v98, s26
	;; [unrolled: 1-line block ×12, first 2 shown]
	v_perm_b32 v87, v93, v92, 0x5040100
	v_perm_b32 v94, v95, v94, 0x5040100
	;; [unrolled: 1-line block ×5, first 2 shown]
	s_mul_i32 s7, s33, 3
	s_mov_b32 s3, exec_lo
	ds_store_b128 v78, v[87:90]
	ds_store_b128 v78, v[91:94] offset:1024
	v_cmpx_gt_u32_e32 3, v0
	s_cbranch_execz .LBB364_16
; %bb.15:
	s_mul_i32 s4, s7, s34
	s_load_b128 s[8:11], s[0:1], 0x58
	v_add3_u32 v77, s4, s31, v77
	s_delay_alu instid0(VALU_DEP_1) | instskip(NEXT) | instid1(VALU_DEP_1)
	v_mad_u64_u32 v[87:88], null, v77, s35, s[14:15]
	v_ashrrev_i32_e32 v88, 31, v87
	s_delay_alu instid0(VALU_DEP_1) | instskip(SKIP_1) | instid1(VALU_DEP_1)
	v_lshlrev_b64 v[87:88], 2, v[87:88]
	s_waitcnt lgkmcnt(0)
	v_add_co_u32 v89, vcc_lo, s10, v87
	s_delay_alu instid0(VALU_DEP_2)
	v_add_co_ci_u32_e32 v90, vcc_lo, s11, v88, vcc_lo
	v_add_co_u32 v87, vcc_lo, s8, v87
	v_add_co_ci_u32_e32 v88, vcc_lo, s9, v88, vcc_lo
	global_store_b32 v[89:90], v85, off
	global_store_b32 v[87:88], v86, off
.LBB364_16:
	s_or_b32 exec_lo, exec_lo, s3
	s_waitcnt lgkmcnt(0)
	s_waitcnt_vscnt null, 0x0
	s_barrier
	buffer_gl0_inv
	ds_load_b128 v[93:96], v79
	ds_load_b128 v[97:100], v79 offset:16
	ds_load_b128 v[105:108], v79 offset:1040
	;; [unrolled: 1-line block ×5, first 2 shown]
	v_cmp_eq_u32_e32 vcc_lo, 1, v84
	v_mov_b32_e32 v85, 0
	ds_load_b128 v[121:124], v79 offset:3088
	ds_load_b128 v[117:120], v79 offset:3072
	;; [unrolled: 1-line block ×4, first 2 shown]
	v_cmp_eq_u32_e64 s3, 1, v80
	v_cmp_eq_u32_e64 s4, 1, v83
	v_cmp_eq_u32_e64 s5, 1, v82
	v_mov_b32_e32 v86, v85
	v_mov_b32_e32 v87, v85
	;; [unrolled: 1-line block ×7, first 2 shown]
	v_cmp_eq_u32_e64 s6, 2, v80
	s_waitcnt lgkmcnt(8)
	s_delay_alu instid0(VALU_DEP_2)
	v_wmma_f32_16x16x16_f16 v[85:92], v[65:72], v[93:100], v[85:92]
	ds_load_b128 v[69:72], v79 offset:5136
	ds_load_b128 v[65:68], v79 offset:5120
	;; [unrolled: 1-line block ×4, first 2 shown]
	s_waitcnt lgkmcnt(10)
	v_wmma_f32_16x16x16_f16 v[85:92], v[57:64], v[101:108], v[85:92]
	s_waitcnt lgkmcnt(8)
	s_delay_alu instid0(VALU_DEP_1)
	v_wmma_f32_16x16x16_f16 v[85:92], v[57:64], v[109:116], v[85:92]
	ds_load_b128 v[61:64], v79 offset:7184
	ds_load_b128 v[57:60], v79 offset:7168
	;; [unrolled: 1-line block ×4, first 2 shown]
	s_waitcnt lgkmcnt(10)
	v_wmma_f32_16x16x16_f16 v[85:92], v[49:56], v[117:124], v[85:92]
	s_waitcnt lgkmcnt(8)
	s_delay_alu instid0(VALU_DEP_1)
	v_wmma_f32_16x16x16_f16 v[85:92], v[49:56], v[125:132], v[85:92]
	ds_load_b128 v[53:56], v79 offset:9232
	ds_load_b128 v[49:52], v79 offset:9216
	s_waitcnt lgkmcnt(8)
	v_wmma_f32_16x16x16_f16 v[85:92], v[41:48], v[65:72], v[85:92]
	ds_load_b128 v[69:72], v79 offset:10256
	ds_load_b128 v[65:68], v79 offset:10240
	s_waitcnt lgkmcnt(8)
	;; [unrolled: 4-line block ×7, first 2 shown]
	s_barrier
	buffer_gl0_inv
	v_wmma_f32_16x16x16_f16 v[85:92], v[33:40], v[41:48], v[85:92]
	s_delay_alu instid0(VALU_DEP_1) | instskip(NEXT) | instid1(VALU_DEP_1)
	v_wmma_f32_16x16x16_f16 v[85:92], v[33:40], v[57:64], v[85:92]
	v_wmma_f32_16x16x16_f16 v[85:92], v[25:32], v[9:16], v[85:92]
	s_delay_alu instid0(VALU_DEP_1) | instskip(NEXT) | instid1(VALU_DEP_1)
	v_wmma_f32_16x16x16_f16 v[85:92], v[25:32], v[49:56], v[85:92]
	v_wmma_f32_16x16x16_f16 v[85:92], v[17:24], v[1:8], v[85:92]
	s_delay_alu instid0(VALU_DEP_1) | instskip(NEXT) | instid1(VALU_DEP_2)
	v_cvt_f16_f32_e32 v1, v85
	v_cvt_f16_f32_e32 v2, v86
	s_delay_alu instid0(VALU_DEP_3) | instskip(NEXT) | instid1(VALU_DEP_4)
	v_cvt_f16_f32_e32 v3, v87
	v_cvt_f16_f32_e32 v4, v88
	;; [unrolled: 1-line block ×6, first 2 shown]
	v_pack_b32_f16 v1, v1, v2
	v_pack_b32_f16 v2, v3, v4
	;; [unrolled: 1-line block ×3, first 2 shown]
	s_delay_alu instid0(VALU_DEP_4)
	v_pack_b32_f16 v4, v7, v8
	ds_store_b128 v78, v[1:4]
	s_waitcnt lgkmcnt(0)
	s_barrier
	buffer_gl0_inv
	ds_load_b128 v[1:4], v81
	ds_load_b128 v[5:8], v81 offset:16
	s_waitcnt lgkmcnt(1)
	v_lshrrev_b32_e32 v9, 16, v1
	s_waitcnt lgkmcnt(0)
	v_lshrrev_b32_e32 v13, 16, v5
	v_lshrrev_b32_e32 v15, 16, v7
	;; [unrolled: 1-line block ×4, first 2 shown]
	v_cndmask_b32_e64 v17, v1, v9, s3
	v_cndmask_b32_e64 v18, v5, v13, s3
	;; [unrolled: 1-line block ×3, first 2 shown]
	v_cmp_eq_u32_e64 s3, 2, v82
	v_cndmask_b32_e64 v20, v5, v13, s5
	v_cndmask_b32_e32 v21, v1, v9, vcc_lo
	v_cndmask_b32_e32 v22, v5, v13, vcc_lo
	v_cndmask_b32_e64 v1, v1, v9, s4
	v_cndmask_b32_e64 v5, v5, v13, s4
	v_cmp_eq_u32_e32 vcc_lo, 2, v84
	v_cmp_eq_u32_e64 s4, 2, v83
	v_cndmask_b32_e64 v9, v17, v2, s6
	v_cndmask_b32_e64 v13, v18, v6, s6
	;; [unrolled: 1-line block ×4, first 2 shown]
	v_cndmask_b32_e32 v19, v21, v2, vcc_lo
	v_cmp_eq_u32_e64 s3, 3, v84
	v_cndmask_b32_e32 v20, v22, v6, vcc_lo
	v_cndmask_b32_e64 v1, v1, v2, s4
	v_cmp_eq_u32_e32 vcc_lo, 3, v83
	v_cmp_eq_u32_e64 s5, 3, v80
	v_cndmask_b32_e64 v2, v5, v6, s4
	v_cmp_eq_u32_e64 s4, 3, v82
	v_lshrrev_b32_e32 v16, 16, v8
	v_cmp_eq_u32_e64 s6, 4, v80
	v_cndmask_b32_e64 v5, v9, v10, s5
	v_cndmask_b32_e64 v6, v13, v14, s5
	;; [unrolled: 1-line block ×3, first 2 shown]
	v_cmp_eq_u32_e64 s5, 4, v82
	v_cndmask_b32_e64 v13, v18, v14, s4
	v_cndmask_b32_e64 v17, v19, v10, s3
	;; [unrolled: 1-line block ×3, first 2 shown]
	v_cndmask_b32_e32 v1, v1, v10, vcc_lo
	v_cndmask_b32_e32 v2, v2, v14, vcc_lo
	v_cmp_eq_u32_e32 vcc_lo, 4, v84
	v_cmp_eq_u32_e64 s4, 4, v83
	v_lshrrev_b32_e32 v11, 16, v3
	v_cndmask_b32_e64 v5, v5, v3, s6
	v_cndmask_b32_e64 v6, v6, v7, s6
	;; [unrolled: 1-line block ×4, first 2 shown]
	v_cndmask_b32_e32 v13, v17, v3, vcc_lo
	v_cmp_eq_u32_e64 s3, 5, v84
	v_cndmask_b32_e32 v14, v18, v7, vcc_lo
	v_cndmask_b32_e64 v1, v1, v3, s4
	v_cmp_eq_u32_e32 vcc_lo, 5, v83
	v_cmp_eq_u32_e64 s5, 5, v80
	v_cndmask_b32_e64 v2, v2, v7, s4
	v_cmp_eq_u32_e64 s4, 5, v82
	v_cmp_eq_u32_e64 s6, 6, v80
	v_cndmask_b32_e32 v1, v1, v11, vcc_lo
	v_cndmask_b32_e64 v3, v5, v11, s5
	v_cndmask_b32_e64 v5, v6, v15, s5
	;; [unrolled: 1-line block ×3, first 2 shown]
	v_cmp_eq_u32_e64 s5, 6, v82
	v_cndmask_b32_e64 v7, v10, v15, s4
	v_cndmask_b32_e64 v9, v13, v11, s3
	;; [unrolled: 1-line block ×3, first 2 shown]
	v_cndmask_b32_e32 v2, v2, v15, vcc_lo
	v_cmp_eq_u32_e32 vcc_lo, 6, v84
	v_cmp_eq_u32_e64 s3, 6, v83
	v_lshrrev_b32_e32 v12, 16, v4
	v_cndmask_b32_e64 v3, v3, v4, s6
	v_cndmask_b32_e64 v5, v5, v8, s6
	;; [unrolled: 1-line block ×4, first 2 shown]
	v_cndmask_b32_e32 v9, v9, v4, vcc_lo
	v_cmp_eq_u32_e64 s4, 7, v84
	v_cndmask_b32_e32 v10, v10, v8, vcc_lo
	v_cndmask_b32_e64 v1, v1, v4, s3
	v_cmp_eq_u32_e32 vcc_lo, 7, v83
	v_cndmask_b32_e64 v2, v2, v8, s3
	v_cmp_eq_u32_e64 s3, 7, v80
	v_cmp_eq_u32_e64 s5, 7, v82
	v_cndmask_b32_e32 v1, v1, v12, vcc_lo
	s_delay_alu instid0(VALU_DEP_4) | instskip(NEXT) | instid1(VALU_DEP_4)
	v_cndmask_b32_e32 v2, v2, v16, vcc_lo
	v_cndmask_b32_e64 v8, v3, v12, s3
	s_delay_alu instid0(VALU_DEP_4)
	v_cndmask_b32_e64 v6, v6, v12, s5
	v_cndmask_b32_e64 v3, v9, v12, s4
	;; [unrolled: 1-line block ×5, first 2 shown]
	v_perm_b32 v4, v2, v1, 0x5040100
	s_mov_b32 s3, exec_lo
	v_perm_b32 v3, v9, v3, 0x5040100
	v_perm_b32 v2, v7, v6, 0x5040100
	;; [unrolled: 1-line block ×3, first 2 shown]
	ds_store_b128 v78, v[1:4]
	s_waitcnt lgkmcnt(0)
	s_barrier
	buffer_gl0_inv
	v_cmpx_gt_u32_e32 32, v0
	s_cbranch_execz .LBB364_2
; %bb.17:
	s_load_b64 s[4:5], s[0:1], 0x68
	v_lshlrev_b32_e32 v0, 10, v0
	v_lshlrev_b32_e32 v2, 4, v76
	v_add_nc_u32_e32 v1, s31, v75
	s_lshl_b32 s0, s35, 7
	s_delay_alu instid0(SALU_CYCLE_1) | instskip(NEXT) | instid1(VALU_DEP_2)
	s_mul_i32 s1, s0, s34
	v_and_or_b32 v0, 0x3800, v0, v2
	s_mul_i32 s6, s1, s7
	v_mul_lo_u32 v1, v1, s0
	s_ashr_i32 s7, s6, 31
	s_delay_alu instid0(VALU_DEP_2) | instskip(SKIP_1) | instid1(VALU_DEP_2)
	v_lshl_or_b32 v3, v75, 6, v0
	s_lshl_b64 s[6:7], s[6:7], 1
	v_ashrrev_i32_e32 v2, 31, v1
	ds_load_b128 v[3:6], v3
	s_waitcnt lgkmcnt(0)
	s_add_u32 s1, s4, s6
	s_addc_u32 s3, s5, s7
	s_lshl_b32 s4, s14, 7
	v_lshlrev_b64 v[7:8], 1, v[1:2]
	s_ashr_i32 s5, s4, 31
	s_delay_alu instid0(SALU_CYCLE_1) | instskip(NEXT) | instid1(SALU_CYCLE_1)
	s_lshl_b64 s[4:5], s[4:5], 1
	s_add_u32 s1, s1, s4
	s_addc_u32 s3, s3, s5
	v_add_co_u32 v1, vcc_lo, s1, v73
	v_add_co_ci_u32_e32 v2, vcc_lo, s3, v74, vcc_lo
	s_delay_alu instid0(VALU_DEP_2) | instskip(NEXT) | instid1(VALU_DEP_2)
	v_add_co_u32 v7, vcc_lo, v1, v7
	v_add_co_ci_u32_e32 v8, vcc_lo, v2, v8, vcc_lo
	global_store_b128 v[7:8], v[3:6], off
	s_and_b32 exec_lo, exec_lo, s2
	s_cbranch_execz .LBB364_2
; %bb.18:
	ds_load_b128 v[3:6], v0 offset:128
	s_add_i32 s1, s31, 2
	s_delay_alu instid0(SALU_CYCLE_1) | instskip(NEXT) | instid1(SALU_CYCLE_1)
	s_mul_i32 s0, s1, s0
	s_ashr_i32 s1, s0, 31
	s_delay_alu instid0(SALU_CYCLE_1) | instskip(NEXT) | instid1(SALU_CYCLE_1)
	s_lshl_b64 s[0:1], s[0:1], 1
	v_add_co_u32 v0, vcc_lo, v1, s0
	v_add_co_ci_u32_e32 v1, vcc_lo, s1, v2, vcc_lo
	s_waitcnt lgkmcnt(0)
	global_store_b128 v[0:1], v[3:6], off
	s_nop 0
	s_sendmsg sendmsg(MSG_DEALLOC_VGPRS)
	s_endpgm
	.section	.rodata,"a",@progbits
	.p2align	6, 0x0
	.amdhsa_kernel _Z39paged_attention_ll4mi_QKV_mfma16_kernelIDF16_DF16_LN4vllm18Fp8KVCacheDataTypeE0EDF16_Li32ELi128ELi256ELb1ELi3EL8MFMAType0EEvPKT_PKT0_S8_ifPKiSA_SA_iPKfiiiPfSD_PS3_PT2_iSC_SC_
		.amdhsa_group_segment_fixed_size 17472
		.amdhsa_private_segment_fixed_size 0
		.amdhsa_kernarg_size 400
		.amdhsa_user_sgpr_count 13
		.amdhsa_user_sgpr_dispatch_ptr 0
		.amdhsa_user_sgpr_queue_ptr 0
		.amdhsa_user_sgpr_kernarg_segment_ptr 1
		.amdhsa_user_sgpr_dispatch_id 0
		.amdhsa_user_sgpr_private_segment_size 0
		.amdhsa_wavefront_size32 1
		.amdhsa_uses_dynamic_stack 0
		.amdhsa_enable_private_segment 0
		.amdhsa_system_sgpr_workgroup_id_x 1
		.amdhsa_system_sgpr_workgroup_id_y 1
		.amdhsa_system_sgpr_workgroup_id_z 1
		.amdhsa_system_sgpr_workgroup_info 0
		.amdhsa_system_vgpr_workitem_id 0
		.amdhsa_next_free_vgpr 172
		.amdhsa_next_free_sgpr 39
		.amdhsa_reserve_vcc 1
		.amdhsa_float_round_mode_32 0
		.amdhsa_float_round_mode_16_64 0
		.amdhsa_float_denorm_mode_32 3
		.amdhsa_float_denorm_mode_16_64 3
		.amdhsa_dx10_clamp 1
		.amdhsa_ieee_mode 1
		.amdhsa_fp16_overflow 0
		.amdhsa_workgroup_processor_mode 1
		.amdhsa_memory_ordered 1
		.amdhsa_forward_progress 0
		.amdhsa_shared_vgpr_count 0
		.amdhsa_exception_fp_ieee_invalid_op 0
		.amdhsa_exception_fp_denorm_src 0
		.amdhsa_exception_fp_ieee_div_zero 0
		.amdhsa_exception_fp_ieee_overflow 0
		.amdhsa_exception_fp_ieee_underflow 0
		.amdhsa_exception_fp_ieee_inexact 0
		.amdhsa_exception_int_div_zero 0
	.end_amdhsa_kernel
	.section	.text._Z39paged_attention_ll4mi_QKV_mfma16_kernelIDF16_DF16_LN4vllm18Fp8KVCacheDataTypeE0EDF16_Li32ELi128ELi256ELb1ELi3EL8MFMAType0EEvPKT_PKT0_S8_ifPKiSA_SA_iPKfiiiPfSD_PS3_PT2_iSC_SC_,"axG",@progbits,_Z39paged_attention_ll4mi_QKV_mfma16_kernelIDF16_DF16_LN4vllm18Fp8KVCacheDataTypeE0EDF16_Li32ELi128ELi256ELb1ELi3EL8MFMAType0EEvPKT_PKT0_S8_ifPKiSA_SA_iPKfiiiPfSD_PS3_PT2_iSC_SC_,comdat
.Lfunc_end364:
	.size	_Z39paged_attention_ll4mi_QKV_mfma16_kernelIDF16_DF16_LN4vllm18Fp8KVCacheDataTypeE0EDF16_Li32ELi128ELi256ELb1ELi3EL8MFMAType0EEvPKT_PKT0_S8_ifPKiSA_SA_iPKfiiiPfSD_PS3_PT2_iSC_SC_, .Lfunc_end364-_Z39paged_attention_ll4mi_QKV_mfma16_kernelIDF16_DF16_LN4vllm18Fp8KVCacheDataTypeE0EDF16_Li32ELi128ELi256ELb1ELi3EL8MFMAType0EEvPKT_PKT0_S8_ifPKiSA_SA_iPKfiiiPfSD_PS3_PT2_iSC_SC_
                                        ; -- End function
	.section	.AMDGPU.csdata,"",@progbits
; Kernel info:
; codeLenInByte = 7460
; NumSgprs: 41
; NumVgprs: 172
; ScratchSize: 0
; MemoryBound: 0
; FloatMode: 240
; IeeeMode: 1
; LDSByteSize: 17472 bytes/workgroup (compile time only)
; SGPRBlocks: 5
; VGPRBlocks: 21
; NumSGPRsForWavesPerEU: 41
; NumVGPRsForWavesPerEU: 172
; Occupancy: 8
; WaveLimiterHint : 1
; COMPUTE_PGM_RSRC2:SCRATCH_EN: 0
; COMPUTE_PGM_RSRC2:USER_SGPR: 13
; COMPUTE_PGM_RSRC2:TRAP_HANDLER: 0
; COMPUTE_PGM_RSRC2:TGID_X_EN: 1
; COMPUTE_PGM_RSRC2:TGID_Y_EN: 1
; COMPUTE_PGM_RSRC2:TGID_Z_EN: 1
; COMPUTE_PGM_RSRC2:TIDIG_COMP_CNT: 0
	.section	.text._Z39paged_attention_ll4mi_QKV_mfma16_kernelIDF16_DF16_LN4vllm18Fp8KVCacheDataTypeE0EDF16_Li32ELi128ELi256ELb1ELi4EL8MFMAType0EEvPKT_PKT0_S8_ifPKiSA_SA_iPKfiiiPfSD_PS3_PT2_iSC_SC_,"axG",@progbits,_Z39paged_attention_ll4mi_QKV_mfma16_kernelIDF16_DF16_LN4vllm18Fp8KVCacheDataTypeE0EDF16_Li32ELi128ELi256ELb1ELi4EL8MFMAType0EEvPKT_PKT0_S8_ifPKiSA_SA_iPKfiiiPfSD_PS3_PT2_iSC_SC_,comdat
	.protected	_Z39paged_attention_ll4mi_QKV_mfma16_kernelIDF16_DF16_LN4vllm18Fp8KVCacheDataTypeE0EDF16_Li32ELi128ELi256ELb1ELi4EL8MFMAType0EEvPKT_PKT0_S8_ifPKiSA_SA_iPKfiiiPfSD_PS3_PT2_iSC_SC_ ; -- Begin function _Z39paged_attention_ll4mi_QKV_mfma16_kernelIDF16_DF16_LN4vllm18Fp8KVCacheDataTypeE0EDF16_Li32ELi128ELi256ELb1ELi4EL8MFMAType0EEvPKT_PKT0_S8_ifPKiSA_SA_iPKfiiiPfSD_PS3_PT2_iSC_SC_
	.globl	_Z39paged_attention_ll4mi_QKV_mfma16_kernelIDF16_DF16_LN4vllm18Fp8KVCacheDataTypeE0EDF16_Li32ELi128ELi256ELb1ELi4EL8MFMAType0EEvPKT_PKT0_S8_ifPKiSA_SA_iPKfiiiPfSD_PS3_PT2_iSC_SC_
	.p2align	8
	.type	_Z39paged_attention_ll4mi_QKV_mfma16_kernelIDF16_DF16_LN4vllm18Fp8KVCacheDataTypeE0EDF16_Li32ELi128ELi256ELb1ELi4EL8MFMAType0EEvPKT_PKT0_S8_ifPKiSA_SA_iPKfiiiPfSD_PS3_PT2_iSC_SC_,@function
_Z39paged_attention_ll4mi_QKV_mfma16_kernelIDF16_DF16_LN4vllm18Fp8KVCacheDataTypeE0EDF16_Li32ELi128ELi256ELb1ELi4EL8MFMAType0EEvPKT_PKT0_S8_ifPKiSA_SA_iPKfiiiPfSD_PS3_PT2_iSC_SC_: ; @_Z39paged_attention_ll4mi_QKV_mfma16_kernelIDF16_DF16_LN4vllm18Fp8KVCacheDataTypeE0EDF16_Li32ELi128ELi256ELb1ELi4EL8MFMAType0EEvPKT_PKT0_S8_ifPKiSA_SA_iPKfiiiPfSD_PS3_PT2_iSC_SC_
; %bb.0:
	s_load_b64 s[2:3], s[0:1], 0x30
	s_mov_b32 s30, s13
	s_waitcnt lgkmcnt(0)
	s_cmp_lg_u64 s[2:3], 0
	s_cselect_b32 s6, -1, 0
	s_ashr_i32 s31, s13, 31
	s_cmp_eq_u64 s[2:3], 0
	s_cbranch_scc1 .LBB365_3
; %bb.1:
	s_lshl_b64 s[4:5], s[30:31], 2
	s_delay_alu instid0(SALU_CYCLE_1) | instskip(SKIP_4) | instid1(SALU_CYCLE_1)
	s_add_u32 s4, s2, s4
	s_addc_u32 s5, s3, s5
	s_load_b64 s[4:5], s[4:5], 0x0
	s_waitcnt lgkmcnt(0)
	s_sub_i32 s4, s5, s4
	s_cmp_eq_u32 s4, 1
	s_cselect_b32 s4, -1, 0
	s_delay_alu instid0(SALU_CYCLE_1)
	s_and_not1_b32 vcc_lo, exec_lo, s4
	s_cbranch_vccz .LBB365_4
.LBB365_2:
	s_endpgm
.LBB365_3:
.LBB365_4:
	s_load_b64 s[8:9], s[0:1], 0x28
	s_lshl_b64 s[4:5], s[30:31], 2
	s_waitcnt lgkmcnt(0)
	s_add_u32 s8, s8, s4
	s_addc_u32 s9, s9, s5
	s_lshl_b32 s12, s14, 8
	s_load_b32 s17, s[8:9], 0x0
	s_waitcnt lgkmcnt(0)
	s_cmp_ge_i32 s12, s17
	s_cbranch_scc1 .LBB365_2
; %bb.5:
	s_and_not1_b32 vcc_lo, exec_lo, s6
	s_cbranch_vccnz .LBB365_7
; %bb.6:
	s_add_u32 s2, s2, s4
	s_addc_u32 s3, s3, s5
	s_load_b32 s13, s[2:3], 0x0
	s_branch .LBB365_8
.LBB365_7:
	s_mov_b32 s13, s30
.LBB365_8:
	s_clause 0x2
	s_load_b128 s[8:11], s[0:1], 0x8
	s_load_b64 s[2:3], s[0:1], 0x20
	s_load_b128 s[4:7], s[0:1], 0x48
	v_and_b32_e32 v78, 15, v0
	s_waitcnt lgkmcnt(0)
	s_mov_b32 s7, exec_lo
	s_delay_alu instid0(VALU_DEP_1)
	v_lshlrev_b32_e32 v1, 3, v78
	v_cmpx_lt_u32_e32 63, v0
	s_xor_b32 s7, exec_lo, s7
; %bb.9:
	v_mov_b32_e32 v2, 0
; %bb.10:
	s_or_saveexec_b32 s7, s7
	v_lshrrev_b32_e32 v77, 5, v0
	v_and_b32_e32 v80, 31, v0
	v_and_b32_e32 v76, 1, v0
	v_bfe_u32 v75, v0, 4, 1
	s_lshl_b32 s31, s15, 2
	s_xor_b32 exec_lo, exec_lo, s7
	s_cbranch_execz .LBB365_12
; %bb.11:
	s_delay_alu instid0(VALU_DEP_1)
	v_lshl_or_b32 v7, v77, 1, v75
	s_load_b64 s[18:19], s[0:1], 0x0
	s_mul_hi_i32 s21, s13, s4
	s_mul_i32 s20, s13, s4
	v_lshlrev_b32_e32 v4, 1, v1
	v_or_b32_e32 v2, s31, v7
	s_lshl_b64 s[20:21], s[20:21], 1
	v_lshlrev_b32_e32 v7, 6, v7
	v_lshlrev_b32_e32 v8, 10, v76
	s_delay_alu instid0(VALU_DEP_3) | instskip(NEXT) | instid1(VALU_DEP_1)
	v_lshlrev_b32_e32 v2, 7, v2
	v_ashrrev_i32_e32 v3, 31, v2
	s_delay_alu instid0(VALU_DEP_1) | instskip(SKIP_3) | instid1(VALU_DEP_1)
	v_lshlrev_b64 v[2:3], 1, v[2:3]
	s_waitcnt lgkmcnt(0)
	s_add_u32 s4, s18, s20
	s_addc_u32 s13, s19, s21
	v_add_co_u32 v2, vcc_lo, s4, v2
	s_delay_alu instid0(VALU_DEP_2) | instskip(NEXT) | instid1(VALU_DEP_2)
	v_add_co_ci_u32_e32 v3, vcc_lo, s13, v3, vcc_lo
	v_add_co_u32 v2, vcc_lo, v2, v4
	s_delay_alu instid0(VALU_DEP_2) | instskip(SKIP_2) | instid1(VALU_DEP_1)
	v_add_co_ci_u32_e32 v3, vcc_lo, 0, v3, vcc_lo
	global_load_b128 v[3:6], v[2:3], off
	v_lshlrev_b32_e32 v2, 10, v78
	v_and_b32_e32 v2, 0x3800, v2
	s_delay_alu instid0(VALU_DEP_1)
	v_or3_b32 v7, v2, v8, v7
	v_mov_b32_e32 v2, 0
	s_waitcnt vmcnt(0)
	ds_store_b128 v7, v[3:6]
.LBB365_12:
	s_or_b32 exec_lo, exec_lo, s7
	v_and_b32_e32 v3, 0xef, v0
	s_add_i32 s4, s17, 31
	s_clause 0x1
	s_load_b32 s7, s[0:1], 0x38
	s_load_b32 s33, s[0:1], 0x98
	s_ashr_i32 s13, s4, 31
	v_add_nc_u32_e32 v3, s12, v3
	s_lshr_b32 s13, s13, 27
	s_load_b32 s18, s[0:1], 0x1c
	s_add_i32 s4, s4, s13
	s_waitcnt lgkmcnt(0)
	v_ashrrev_i32_e32 v4, 31, v3
	v_cmp_gt_i32_e32 vcc_lo, s17, v3
	s_ashr_i32 s4, s4, 5
	s_barrier
	s_add_i32 s4, s4, -1
	v_lshrrev_b32_e32 v5, 27, v4
	v_or_b32_e32 v4, 16, v3
	buffer_gl0_inv
	v_lshlrev_b64 v[73:74], 1, v[1:2]
	v_lshlrev_b32_e32 v79, 6, v78
	v_add_nc_u32_e32 v6, v3, v5
	v_add_nc_u32_e32 v5, v4, v5
	s_mul_i32 s20, s30, s7
	s_delay_alu instid0(SALU_CYCLE_1) | instskip(NEXT) | instid1(VALU_DEP_2)
	s_ashr_i32 s21, s20, 31
	v_ashrrev_i32_e32 v6, 5, v6
	s_delay_alu instid0(VALU_DEP_2) | instskip(SKIP_1) | instid1(SALU_CYCLE_1)
	v_ashrrev_i32_e32 v5, 5, v5
	s_lshl_b64 s[20:21], s[20:21], 2
	s_add_u32 s13, s2, s20
	s_delay_alu instid0(VALU_DEP_2) | instskip(SKIP_3) | instid1(SALU_CYCLE_1)
	v_cndmask_b32_e32 v3, s4, v6, vcc_lo
	v_cmp_gt_i32_e32 vcc_lo, s17, v4
	s_addc_u32 s16, s3, s21
	s_mul_i32 s2, s15, s6
	s_ashr_i32 s3, s2, 31
	v_cndmask_b32_e32 v5, s4, v5, vcc_lo
	v_ashrrev_i32_e32 v4, 31, v3
	s_lshl_b64 s[2:3], s[2:3], 1
	s_delay_alu instid0(SALU_CYCLE_1) | instskip(NEXT) | instid1(VALU_DEP_2)
	s_add_u32 s15, s8, s2
	v_ashrrev_i32_e32 v6, 31, v5
	s_delay_alu instid0(VALU_DEP_2) | instskip(SKIP_2) | instid1(VALU_DEP_2)
	v_lshlrev_b64 v[3:4], 2, v[3:4]
	s_addc_u32 s19, s9, s3
	s_lshl_b32 s6, s14, 3
	v_lshlrev_b64 v[5:6], 2, v[5:6]
	s_ashr_i32 s7, s6, 31
	s_delay_alu instid0(VALU_DEP_2) | instskip(SKIP_1) | instid1(VALU_DEP_3)
	v_add_co_u32 v3, vcc_lo, s13, v3
	v_add_co_ci_u32_e32 v4, vcc_lo, s16, v4, vcc_lo
	v_add_co_u32 v5, vcc_lo, s13, v5
	s_delay_alu instid0(VALU_DEP_4)
	v_add_co_ci_u32_e32 v6, vcc_lo, s16, v6, vcc_lo
	s_lshl_b64 s[6:7], s[6:7], 2
	s_clause 0x1
	global_load_b32 v7, v[3:4], off
	global_load_b32 v8, v[5:6], off
	s_add_u32 s6, s13, s6
	s_addc_u32 s7, s16, s7
	s_or_b32 s8, s12, 32
	s_delay_alu instid0(SALU_CYCLE_1) | instskip(SKIP_2) | instid1(SALU_CYCLE_1)
	s_ashr_i32 s9, s8, 5
	s_cmp_lt_i32 s8, s17
	s_cselect_b32 s8, s9, s4
	s_ashr_i32 s9, s8, 31
	s_delay_alu instid0(SALU_CYCLE_1) | instskip(NEXT) | instid1(SALU_CYCLE_1)
	s_lshl_b64 s[8:9], s[8:9], 2
	s_add_u32 s8, s13, s8
	s_addc_u32 s9, s16, s9
	s_or_b32 s20, s12, 64
	s_delay_alu instid0(SALU_CYCLE_1) | instskip(SKIP_2) | instid1(SALU_CYCLE_1)
	s_ashr_i32 s21, s20, 5
	s_cmp_lt_i32 s20, s17
	s_cselect_b32 s20, s21, s4
	s_ashr_i32 s21, s20, 31
	s_delay_alu instid0(SALU_CYCLE_1) | instskip(NEXT) | instid1(SALU_CYCLE_1)
	s_lshl_b64 s[20:21], s[20:21], 2
	s_add_u32 s20, s13, s20
	s_addc_u32 s21, s16, s21
	s_or_b32 s22, s12, 0x60
	s_delay_alu instid0(SALU_CYCLE_1) | instskip(SKIP_2) | instid1(SALU_CYCLE_1)
	s_ashr_i32 s23, s22, 5
	s_cmp_lt_i32 s22, s17
	s_cselect_b32 s22, s23, s4
	s_ashr_i32 s23, s22, 31
	s_delay_alu instid0(SALU_CYCLE_1) | instskip(NEXT) | instid1(SALU_CYCLE_1)
	s_lshl_b64 s[22:23], s[22:23], 2
	s_add_u32 s22, s13, s22
	s_addc_u32 s23, s16, s23
	s_or_b32 s24, s12, 0x80
	s_delay_alu instid0(SALU_CYCLE_1) | instskip(SKIP_2) | instid1(SALU_CYCLE_1)
	s_ashr_i32 s25, s24, 5
	s_cmp_lt_i32 s24, s17
	s_cselect_b32 s24, s25, s4
	s_ashr_i32 s25, s24, 31
	s_delay_alu instid0(SALU_CYCLE_1) | instskip(NEXT) | instid1(SALU_CYCLE_1)
	s_lshl_b64 s[24:25], s[24:25], 2
	s_add_u32 s24, s13, s24
	s_addc_u32 s25, s16, s25
	s_or_b32 s26, s12, 0xa0
	s_delay_alu instid0(SALU_CYCLE_1) | instskip(SKIP_2) | instid1(SALU_CYCLE_1)
	s_ashr_i32 s27, s26, 5
	s_cmp_lt_i32 s26, s17
	s_cselect_b32 s26, s27, s4
	s_ashr_i32 s27, s26, 31
	s_delay_alu instid0(SALU_CYCLE_1) | instskip(NEXT) | instid1(SALU_CYCLE_1)
	s_lshl_b64 s[26:27], s[26:27], 2
	s_add_u32 s26, s13, s26
	s_addc_u32 s27, s16, s27
	s_clause 0x5
	s_load_b32 s28, s[6:7], 0x0
	s_load_b32 s29, s[8:9], 0x0
	;; [unrolled: 1-line block ×6, first 2 shown]
	s_mov_b32 s20, 0
	s_or_b32 s6, s12, 0xc0
	s_mov_b32 s21, s20
	s_mov_b32 s22, s20
	;; [unrolled: 1-line block ×7, first 2 shown]
	s_ashr_i32 s7, s6, 5
	v_mov_b32_e32 v128, s27
	s_cmp_lt_i32 s6, s17
	v_mov_b32_e32 v127, s26
	s_cselect_b32 s6, s7, s4
	v_mov_b32_e32 v126, s25
	s_ashr_i32 s7, s6, 31
	v_mov_b32_e32 v125, s24
	s_lshl_b64 s[6:7], s[6:7], 2
	v_mov_b32_e32 v124, s23
	s_add_u32 s6, s13, s6
	s_addc_u32 s7, s16, s7
	v_mov_b32_e32 v123, s22
	v_mov_b32_e32 v121, s20
	s_waitcnt lgkmcnt(0)
	s_mul_hi_i32 s9, s28, s5
	s_mul_i32 s8, s28, s5
	v_mov_b32_e32 v122, s21
	s_mul_hi_i32 s21, s29, s5
	s_mul_i32 s20, s29, s5
	s_mul_hi_i32 s25, s34, s5
	s_mul_i32 s24, s34, s5
	;; [unrolled: 2-line block ×4, first 2 shown]
	s_waitcnt vmcnt(1)
	v_mad_i64_i32 v[3:4], null, v7, s5, 0
	s_waitcnt vmcnt(0)
	v_mad_i64_i32 v[5:6], null, v8, s5, 0
	s_delay_alu instid0(VALU_DEP_2) | instskip(NEXT) | instid1(VALU_DEP_2)
	v_lshlrev_b64 v[3:4], 1, v[3:4]
	v_lshlrev_b64 v[1:2], 1, v[5:6]
	s_delay_alu instid0(VALU_DEP_2) | instskip(NEXT) | instid1(VALU_DEP_3)
	v_add_co_u32 v3, vcc_lo, s15, v3
	v_add_co_ci_u32_e32 v4, vcc_lo, s19, v4, vcc_lo
	s_delay_alu instid0(VALU_DEP_3) | instskip(NEXT) | instid1(VALU_DEP_4)
	v_add_co_u32 v1, vcc_lo, s15, v1
	v_add_co_ci_u32_e32 v2, vcc_lo, s19, v2, vcc_lo
	s_delay_alu instid0(VALU_DEP_4) | instskip(NEXT) | instid1(VALU_DEP_4)
	v_add_co_u32 v65, vcc_lo, v3, v73
	v_add_co_ci_u32_e32 v66, vcc_lo, v4, v74, vcc_lo
	s_delay_alu instid0(VALU_DEP_4) | instskip(NEXT) | instid1(VALU_DEP_4)
	v_add_co_u32 v67, vcc_lo, v1, v73
	v_add_co_ci_u32_e32 v68, vcc_lo, v2, v74, vcc_lo
	s_clause 0xf
	global_load_b128 v[1:4], v[65:66], off
	global_load_b128 v[5:8], v[65:66], off offset:512
	global_load_b128 v[9:12], v[67:68], off offset:256
	;; [unrolled: 1-line block ×15, first 2 shown]
	v_add_co_u32 v157, vcc_lo, 0x1000, v65
	v_add_co_ci_u32_e32 v158, vcc_lo, 0, v66, vcc_lo
	v_add_co_u32 v165, vcc_lo, 0x1000, v67
	v_add_co_ci_u32_e32 v166, vcc_lo, 0, v68, vcc_lo
	s_clause 0x7
	global_load_b128 v[81:84], v[157:158], off
	global_load_b128 v[85:88], v[157:158], off offset:512
	global_load_b128 v[89:92], v[165:166], off offset:256
	;; [unrolled: 1-line block ×7, first 2 shown]
	v_and_b32_e32 v65, 3, v0
	s_or_b32 s15, s12, 0xe0
	s_delay_alu instid0(SALU_CYCLE_1) | instskip(SKIP_1) | instid1(VALU_DEP_1)
	s_ashr_i32 s19, s15, 5
	s_cmp_lt_i32 s15, s17
	v_lshlrev_b32_e32 v169, 6, v65
	ds_load_b128 v[65:68], v169
	ds_load_b128 v[69:72], v169 offset:1024
	s_clause 0x1
	global_load_b128 v[113:116], v[157:158], off offset:2048
	global_load_b128 v[117:120], v[157:158], off offset:2560
	ds_load_b128 v[129:132], v169 offset:2048
	ds_load_b128 v[133:136], v169 offset:3072
	s_clause 0x5
	global_load_b128 v[145:148], v[165:166], off offset:2304
	global_load_b128 v[149:152], v[165:166], off offset:2816
	;; [unrolled: 1-line block ×6, first 2 shown]
	s_cselect_b32 s22, s19, s4
	s_delay_alu instid0(SALU_CYCLE_1) | instskip(NEXT) | instid1(SALU_CYCLE_1)
	s_ashr_i32 s23, s22, 31
	s_lshl_b64 s[22:23], s[22:23], 2
	s_delay_alu instid0(SALU_CYCLE_1) | instskip(SKIP_2) | instid1(SALU_CYCLE_1)
	s_add_u32 s22, s13, s22
	s_addc_u32 s23, s16, s23
	s_add_i32 s15, s12, 0x100
	s_ashr_i32 s19, s15, 5
	s_cmp_lt_i32 s15, s17
	s_cselect_b32 s28, s19, s4
	s_delay_alu instid0(SALU_CYCLE_1) | instskip(NEXT) | instid1(SALU_CYCLE_1)
	s_ashr_i32 s29, s28, 31
	s_lshl_b64 s[28:29], s[28:29], 2
	s_delay_alu instid0(SALU_CYCLE_1)
	s_add_u32 s28, s13, s28
	s_addc_u32 s29, s16, s29
	s_add_u32 s4, s10, s2
	s_addc_u32 s19, s11, s3
	s_lshl_b64 s[2:3], s[8:9], 1
	s_lshl_b64 s[8:9], s[20:21], 1
	;; [unrolled: 1-line block ×4, first 2 shown]
	s_waitcnt vmcnt(30) lgkmcnt(2)
	v_wmma_f32_16x16x16_f16 v[137:144], v[1:8], v[65:72], v[121:128]
	ds_load_b128 v[1:4], v169 offset:4096
	ds_load_b128 v[5:8], v169 offset:5120
	s_waitcnt vmcnt(28)
	v_wmma_f32_16x16x16_f16 v[121:128], v[9:16], v[65:72], v[121:128]
	ds_load_b128 v[9:12], v169 offset:6144
	ds_load_b128 v[13:16], v169 offset:7168
	s_waitcnt vmcnt(26) lgkmcnt(4)
	v_wmma_f32_16x16x16_f16 v[137:144], v[17:24], v[129:136], v[137:144]
	ds_load_b128 v[17:20], v169 offset:8192
	ds_load_b128 v[21:24], v169 offset:9216
	s_waitcnt vmcnt(24)
	v_wmma_f32_16x16x16_f16 v[121:128], v[25:32], v[129:136], v[121:128]
	v_lshl_or_b32 v25, v77, 10, v79
	ds_load_b128 v[129:132], v169 offset:10240
	ds_load_b128 v[133:136], v169 offset:11264
	s_clause 0x2
	s_load_b32 s15, s[6:7], 0x0
	s_load_b32 s13, s[22:23], 0x0
	;; [unrolled: 1-line block ×3, first 2 shown]
	s_mul_hi_i32 s7, s36, s5
	v_add_co_u32 v170, s4, s4, v25
	s_delay_alu instid0(VALU_DEP_1)
	v_add_co_ci_u32_e64 v171, null, s19, 0, s4
	s_mul_i32 s6, s36, s5
	s_lshl_b64 s[22:23], s[34:35], 1
	s_lshl_b64 s[6:7], s[6:7], 1
	s_waitcnt vmcnt(22) lgkmcnt(0)
	v_wmma_f32_16x16x16_f16 v[137:144], v[33:40], v[1:8], v[137:144]
	s_waitcnt vmcnt(20)
	v_wmma_f32_16x16x16_f16 v[121:128], v[41:48], v[1:8], v[121:128]
	v_add_co_u32 v1, vcc_lo, v170, s2
	v_add_co_ci_u32_e32 v2, vcc_lo, s3, v171, vcc_lo
	v_add_co_u32 v3, vcc_lo, v170, s8
	v_add_co_ci_u32_e32 v4, vcc_lo, s9, v171, vcc_lo
	v_add_co_u32 v5, vcc_lo, v170, s10
	v_add_co_ci_u32_e32 v6, vcc_lo, s11, v171, vcc_lo
	v_add_co_u32 v7, vcc_lo, v170, s20
	v_add_co_ci_u32_e32 v8, vcc_lo, s21, v171, vcc_lo
	v_add_co_u32 v25, vcc_lo, v170, s6
	s_mul_hi_i32 s25, s15, s5
	s_mul_i32 s24, s15, s5
	v_add_co_ci_u32_e32 v26, vcc_lo, s7, v171, vcc_lo
	v_add_co_u32 v27, vcc_lo, v170, s22
	s_lshl_b64 s[24:25], s[24:25], 1
	s_waitcnt vmcnt(18)
	v_wmma_f32_16x16x16_f16 v[137:144], v[49:56], v[9:16], v[137:144]
	s_waitcnt vmcnt(16)
	v_wmma_f32_16x16x16_f16 v[121:128], v[57:64], v[9:16], v[121:128]
	v_add_co_ci_u32_e32 v28, vcc_lo, s23, v171, vcc_lo
	s_mul_hi_i32 s3, s13, s5
	s_mul_i32 s2, s13, s5
	v_add_co_u32 v29, vcc_lo, v170, s24
	s_lshl_b64 s[2:3], s[2:3], 1
	v_add_co_ci_u32_e32 v30, vcc_lo, s25, v171, vcc_lo
	s_waitcnt vmcnt(14)
	v_wmma_f32_16x16x16_f16 v[137:144], v[81:88], v[17:24], v[137:144]
	s_waitcnt vmcnt(12)
	v_wmma_f32_16x16x16_f16 v[121:128], v[89:96], v[17:24], v[121:128]
	v_add_co_u32 v17, vcc_lo, v170, s2
	v_add_co_ci_u32_e32 v18, vcc_lo, s3, v171, vcc_lo
	s_mul_hi_i32 s3, s16, s5
	s_mul_i32 s2, s16, s5
	s_clause 0x5
	global_load_b128 v[65:68], v[1:2], off
	global_load_b128 v[69:72], v[1:2], off offset:16
	global_load_b128 v[57:60], v[3:4], off
	global_load_b128 v[61:64], v[3:4], off offset:16
	;; [unrolled: 2-line block ×3, first 2 shown]
	s_lshl_b64 s[2:3], s[2:3], 1
	s_clause 0x1
	global_load_b128 v[41:44], v[7:8], off
	global_load_b128 v[45:48], v[7:8], off offset:16
	v_add_co_u32 v21, vcc_lo, v170, s2
	v_add_co_ci_u32_e32 v22, vcc_lo, s3, v171, vcc_lo
	s_clause 0x9
	global_load_b128 v[9:12], v[25:26], off
	global_load_b128 v[13:16], v[25:26], off offset:16
	global_load_b128 v[1:4], v[27:28], off
	global_load_b128 v[5:8], v[27:28], off offset:16
	;; [unrolled: 2-line block ×5, first 2 shown]
	ds_load_b128 v[81:84], v169 offset:12288
	ds_load_b128 v[85:88], v169 offset:13312
	v_and_b32_e32 v89, 0xe0, v0
	s_waitcnt vmcnt(28)
	v_wmma_f32_16x16x16_f16 v[137:144], v[97:104], v[129:136], v[137:144]
	v_mbcnt_lo_u32_b32 v97, -1, 0
	s_waitcnt vmcnt(26)
	v_wmma_f32_16x16x16_f16 v[121:128], v[105:112], v[129:136], v[121:128]
	v_add_nc_u32_e32 v98, s12, v89
	ds_load_b128 v[89:92], v169 offset:14336
	ds_load_b128 v[93:96], v169 offset:15360
	v_xor_b32_e32 v99, 16, v97
	s_waitcnt vmcnt(0) lgkmcnt(0)
	s_barrier
	v_or_b32_e32 v98, v98, v75
	buffer_gl0_inv
	v_cmp_gt_i32_e32 vcc_lo, 32, v99
	v_or_b32_e32 v100, 4, v98
	v_or_b32_e32 v101, 22, v98
	v_or_b32_e32 v102, 24, v98
	v_or_b32_e32 v103, 26, v98
	v_wmma_f32_16x16x16_f16 v[137:144], v[113:120], v[81:88], v[137:144]
	v_wmma_f32_16x16x16_f16 v[121:128], v[145:152], v[81:88], v[121:128]
	v_or_b32_e32 v81, 6, v98
	v_or_b32_e32 v82, 8, v98
	;; [unrolled: 1-line block ×3, first 2 shown]
	v_cmp_gt_i32_e64 s3, s17, v100
	v_or_b32_e32 v84, 12, v98
	v_wmma_f32_16x16x16_f16 v[137:144], v[153:160], v[89:96], v[137:144]
	v_wmma_f32_16x16x16_f16 v[121:128], v[161:168], v[89:96], v[121:128]
	v_cndmask_b32_e32 v97, v97, v99, vcc_lo
	v_or_b32_e32 v99, 2, v98
	v_cmp_gt_i32_e32 vcc_lo, s17, v98
	v_dual_mul_f32 v95, s18, v138 :: v_dual_mul_f32 v96, s18, v137
	v_mul_f32_e32 v93, s18, v140
	s_delay_alu instid0(VALU_DEP_4)
	v_cmp_gt_i32_e64 s2, s17, v99
	v_mul_f32_e32 v94, s18, v139
	v_mul_f32_e32 v106, s18, v128
	v_cndmask_b32_e32 v96, 0xff7fffff, v96, vcc_lo
	v_cmp_gt_i32_e64 s4, s17, v81
	v_cndmask_b32_e64 v95, 0xff7fffff, v95, s2
	v_or_b32_e32 v85, 14, v98
	v_dual_mul_f32 v91, s18, v142 :: v_dual_mul_f32 v110, s18, v124
	v_mul_f32_e32 v92, s18, v141
	v_cndmask_b32_e64 v94, 0xff7fffff, v94, s3
	v_cndmask_b32_e64 v81, 0xff7fffff, v93, s4
	v_max3_f32 v93, v96, 0xff7fffff, v95
	v_cmp_gt_i32_e64 s5, s17, v82
	v_cmp_gt_i32_e64 s6, s17, v83
	v_or_b32_e32 v86, 16, v98
	v_or_b32_e32 v87, 18, v98
	v_dual_mul_f32 v89, s18, v144 :: v_dual_mul_f32 v112, s18, v122
	v_mul_f32_e32 v90, s18, v143
	v_cndmask_b32_e64 v82, 0xff7fffff, v92, s5
	v_cndmask_b32_e64 v83, 0xff7fffff, v91, s6
	v_max3_f32 v81, v93, v94, v81
	v_cmp_gt_i32_e64 s7, s17, v84
	v_cmp_gt_i32_e64 s8, s17, v85
	v_or_b32_e32 v88, 20, v98
	v_mul_f32_e32 v113, s18, v121
	v_max3_f32 v81, v81, v82, v83
	v_cndmask_b32_e64 v84, 0xff7fffff, v90, s7
	v_cndmask_b32_e64 v85, 0xff7fffff, v89, s8
	v_cmp_gt_i32_e64 s9, s17, v86
	v_cmp_gt_i32_e64 s10, s17, v87
	v_mul_f32_e32 v111, s18, v123
	v_cmp_gt_i32_e64 s11, s17, v88
	v_max3_f32 v81, v81, v84, v85
	v_cndmask_b32_e64 v82, 0xff7fffff, v113, s9
	v_cndmask_b32_e64 v83, 0xff7fffff, v112, s10
	v_cmp_gt_i32_e64 s12, s17, v101
	v_or_b32_e32 v104, 28, v98
	v_or_b32_e32 v105, 30, v98
	v_dual_mul_f32 v108, s18, v126 :: v_dual_mul_f32 v109, s18, v125
	v_cndmask_b32_e64 v84, 0xff7fffff, v111, s11
	v_cndmask_b32_e64 v85, 0xff7fffff, v110, s12
	v_max3_f32 v81, v81, v82, v83
	v_cmp_gt_i32_e64 s13, s17, v102
	v_cmp_gt_i32_e64 s15, s17, v103
	v_mul_f32_e32 v107, s18, v127
	v_cmp_gt_i32_e64 s16, s17, v104
	v_max3_f32 v81, v81, v84, v85
	v_cndmask_b32_e64 v82, 0xff7fffff, v109, s13
	v_cndmask_b32_e64 v83, 0xff7fffff, v108, s15
	v_cmp_gt_i32_e64 s17, s17, v105
	v_cndmask_b32_e64 v84, 0xff7fffff, v107, s16
	s_delay_alu instid0(VALU_DEP_3) | instskip(NEXT) | instid1(VALU_DEP_3)
	v_max3_f32 v81, v81, v82, v83
	v_cndmask_b32_e64 v85, 0xff7fffff, v106, s17
	v_lshlrev_b32_e32 v83, 2, v97
	s_delay_alu instid0(VALU_DEP_2) | instskip(SKIP_3) | instid1(VALU_DEP_1)
	v_max3_f32 v81, v81, v84, v85
	ds_bpermute_b32 v82, v83, v81
	s_waitcnt lgkmcnt(0)
	v_max_f32_e32 v82, v82, v82
	v_max_f32_e32 v81, v81, v82
	s_delay_alu instid0(VALU_DEP_1) | instskip(SKIP_3) | instid1(VALU_DEP_4)
	v_fma_f32 v82, s18, v137, -v81
	v_fma_f32 v84, s18, v138, -v81
	;; [unrolled: 1-line block ×4, first 2 shown]
	v_mul_f32_e32 v82, 0x3fb8aa3b, v82
	s_delay_alu instid0(VALU_DEP_3) | instskip(NEXT) | instid1(VALU_DEP_3)
	v_dual_mul_f32 v84, 0x3fb8aa3b, v84 :: v_dual_mul_f32 v85, 0x3fb8aa3b, v85
	v_mul_f32_e32 v86, 0x3fb8aa3b, v86
	s_delay_alu instid0(VALU_DEP_3) | instskip(NEXT) | instid1(VALU_DEP_2)
	v_exp_f32_e32 v82, v82
	v_exp_f32_e32 v84, v84
	s_delay_alu instid0(VALU_DEP_2) | instskip(NEXT) | instid1(VALU_DEP_1)
	v_exp_f32_e32 v85, v85
	v_exp_f32_e32 v90, v86
	v_cndmask_b32_e32 v87, 0, v82, vcc_lo
	s_delay_alu instid0(TRANS32_DEP_3) | instskip(SKIP_4) | instid1(VALU_DEP_1)
	v_cndmask_b32_e64 v86, 0, v84, s2
	s_waitcnt_depctr 0xfff
	v_cndmask_b32_e64 v89, 0, v85, s3
	s_mov_b32 s2, exec_lo
	v_add_f32_e32 v84, 0, v87
	v_add_f32_e32 v84, v84, v86
	s_delay_alu instid0(VALU_DEP_1)
	v_add_f32_e32 v84, v84, v89
	v_fma_f32 v88, s18, v141, -v81
	v_fma_f32 v91, s18, v143, -v81
	;; [unrolled: 1-line block ×5, first 2 shown]
	v_mul_f32_e32 v88, 0x3fb8aa3b, v88
	v_fma_f32 v100, s18, v128, -v81
	v_mul_f32_e32 v82, 0x3fb8aa3b, v82
	v_fma_f32 v98, s18, v126, -v81
	v_mul_f32_e32 v97, 0x3fb8aa3b, v95
	v_exp_f32_e32 v92, v88
	v_cndmask_b32_e64 v88, 0, v90, s4
	v_fma_f32 v90, s18, v121, -v81
	v_mul_f32_e32 v91, 0x3fb8aa3b, v91
	v_exp_f32_e32 v82, v82
	v_exp_f32_e32 v99, v97
	v_add_f32_e32 v84, v84, v88
	v_mul_f32_e32 v94, 0x3fb8aa3b, v90
	v_exp_f32_e32 v93, v91
	v_mul_f32_e32 v98, 0x3fb8aa3b, v98
	v_cndmask_b32_e64 v91, 0, v92, s5
	v_fma_f32 v92, s18, v122, -v81
	v_mul_f32_e32 v85, 0x3fb8aa3b, v85
	v_exp_f32_e32 v94, v94
	v_cndmask_b32_e64 v90, 0, v82, s6
	v_add_f32_e32 v82, v84, v91
	v_mul_f32_e32 v92, 0x3fb8aa3b, v92
	v_exp_f32_e32 v85, v85
	v_fma_f32 v84, s18, v123, -v81
	v_cndmask_b32_e64 v93, 0, v93, s7
	v_add_f32_e32 v82, v82, v90
	v_exp_f32_e32 v96, v92
	v_exp_f32_e32 v98, v98
	v_cndmask_b32_e64 v95, 0, v94, s9
	s_delay_alu instid0(VALU_DEP_2) | instskip(NEXT) | instid1(TRANS32_DEP_3)
	v_add_f32_e32 v82, v82, v93
	v_cndmask_b32_e64 v92, 0, v85, s8
	v_fma_f32 v85, s18, v125, -v81
	v_mul_f32_e32 v84, 0x3fb8aa3b, v84
	s_delay_alu instid0(TRANS32_DEP_2) | instskip(SKIP_1) | instid1(VALU_DEP_4)
	v_cndmask_b32_e64 v94, 0, v96, s10
	v_fma_f32 v96, s18, v127, -v81
	v_mul_f32_e32 v85, 0x3fb8aa3b, v85
	s_delay_alu instid0(VALU_DEP_4) | instskip(SKIP_1) | instid1(VALU_DEP_2)
	v_exp_f32_e32 v84, v84
	v_cndmask_b32_e64 v98, 0, v98, s15
	v_exp_f32_e32 v85, v85
	s_waitcnt_depctr 0xfff
	v_cndmask_b32_e64 v97, 0, v84, s11
	v_mul_f32_e32 v84, 0x3fb8aa3b, v96
	v_cndmask_b32_e64 v96, 0, v99, s12
	v_cndmask_b32_e64 v99, 0, v85, s13
	v_mul_f32_e32 v85, 0x3fb8aa3b, v100
	v_add_f32_e32 v82, v82, v92
	v_exp_f32_e32 v84, v84
	s_delay_alu instid0(VALU_DEP_2) | instskip(NEXT) | instid1(VALU_DEP_1)
	v_exp_f32_e32 v85, v85
	v_add_f32_e32 v82, v82, v95
	s_delay_alu instid0(VALU_DEP_1) | instskip(SKIP_4) | instid1(VALU_DEP_1)
	v_add_f32_e32 v82, v82, v94
	s_waitcnt_depctr 0xfff
	v_cndmask_b32_e64 v101, 0, v84, s16
	v_cndmask_b32_e64 v100, 0, v85, s17
	v_add_f32_e32 v82, v82, v97
	v_add_f32_e32 v82, v82, v96
	s_delay_alu instid0(VALU_DEP_1) | instskip(NEXT) | instid1(VALU_DEP_1)
	v_add_f32_e32 v82, v82, v99
	v_add_f32_e32 v82, v82, v98
	s_delay_alu instid0(VALU_DEP_1) | instskip(NEXT) | instid1(VALU_DEP_1)
	v_add_f32_e32 v82, v82, v101
	v_add_f32_e32 v82, v82, v100
	ds_bpermute_b32 v83, v83, v82
	v_cmpx_gt_u32_e32 16, v80
	s_cbranch_execz .LBB365_14
; %bb.13:
	v_mul_u32_u24_e32 v80, 0x44, v77
	s_waitcnt lgkmcnt(0)
	v_add_f32_e32 v82, v82, v83
	s_delay_alu instid0(VALU_DEP_2) | instskip(NEXT) | instid1(VALU_DEP_1)
	v_lshl_add_u32 v80, v78, 2, v80
	v_add_nc_u32_e32 v80, 0x4000, v80
	ds_store_2addr_b32 v80, v81, v82 offset1:136
.LBB365_14:
	s_or_b32 exec_lo, exec_lo, s2
	v_lshlrev_b32_e32 v78, 2, v78
	s_load_b32 s34, s[0:1], 0x94
	s_waitcnt lgkmcnt(0)
	s_barrier
	buffer_gl0_inv
	v_add_nc_u32_e32 v78, 0x4000, v78
	v_cmp_eq_u32_e32 vcc_lo, 1, v77
	v_cmp_eq_u32_e64 s2, 2, v77
	v_cmp_eq_u32_e64 s3, 3, v77
	;; [unrolled: 1-line block ×3, first 2 shown]
	ds_load_2addr_b32 v[80:81], v78 offset1:17
	ds_load_2addr_b32 v[82:83], v78 offset0:34 offset1:51
	ds_load_2addr_b32 v[102:103], v78 offset0:68 offset1:85
	ds_load_2addr_b32 v[104:105], v78 offset0:102 offset1:119
	v_cmp_eq_u32_e64 s5, 7, v77
	s_waitcnt lgkmcnt(3)
	v_max3_f32 v84, v80, 0xff7fffff, v81
	s_waitcnt lgkmcnt(2)
	s_delay_alu instid0(VALU_DEP_1) | instskip(SKIP_1) | instid1(VALU_DEP_1)
	v_max3_f32 v84, v84, v82, v83
	s_waitcnt lgkmcnt(1)
	v_max3_f32 v84, v84, v102, v103
	s_waitcnt lgkmcnt(0)
	s_delay_alu instid0(VALU_DEP_1) | instskip(NEXT) | instid1(VALU_DEP_1)
	v_max3_f32 v84, v84, v104, v105
	v_sub_f32_e32 v109, v83, v84
	ds_load_2addr_b32 v[106:107], v78 offset0:136 offset1:153
	v_sub_f32_e32 v85, v81, v84
	v_dual_sub_f32 v80, v80, v84 :: v_dual_mul_f32 v109, 0x3fb8aa3b, v109
	s_delay_alu instid0(VALU_DEP_1)
	v_dual_mul_f32 v85, 0x3fb8aa3b, v85 :: v_dual_mul_f32 v108, 0x3fb8aa3b, v80
	ds_load_2addr_b32 v[80:81], v78 offset0:170 offset1:187
	v_exp_f32_e32 v109, v109
	v_exp_f32_e32 v111, v85
	;; [unrolled: 1-line block ×3, first 2 shown]
	s_waitcnt lgkmcnt(1)
	s_waitcnt_depctr 0xfff
	v_fma_f32 v85, v108, v106, 0
	v_sub_f32_e32 v82, v82, v84
	v_sub_f32_e32 v106, v103, v84
	s_delay_alu instid0(VALU_DEP_2) | instskip(SKIP_3) | instid1(VALU_DEP_1)
	v_dual_fmac_f32 v85, v111, v107 :: v_dual_mul_f32 v110, 0x3fb8aa3b, v82
	ds_load_2addr_b32 v[82:83], v78 offset0:204 offset1:221
	v_sub_f32_e32 v102, v102, v84
	v_exp_f32_e32 v110, v110
	v_mul_f32_e32 v112, 0x3fb8aa3b, v102
	ds_load_2addr_b32 v[102:103], v78 offset0:238 offset1:255
	s_waitcnt lgkmcnt(0)
	s_barrier
	buffer_gl0_inv
	v_fmac_f32_e32 v85, v110, v80
	v_sub_f32_e32 v80, v105, v84
	s_delay_alu instid0(VALU_DEP_1) | instskip(SKIP_1) | instid1(VALU_DEP_2)
	v_dual_fmac_f32 v85, v109, v81 :: v_dual_mul_f32 v80, 0x3fb8aa3b, v80
	v_sub_f32_e32 v78, v104, v84
	v_exp_f32_e32 v107, v80
	v_mul_f32_e32 v104, 0x3fb8aa3b, v106
	v_exp_f32_e32 v106, v112
	v_cndmask_b32_e32 v80, v108, v111, vcc_lo
	s_delay_alu instid0(VALU_DEP_2) | instskip(SKIP_2) | instid1(VALU_DEP_1)
	v_exp_f32_e32 v104, v104
	s_waitcnt_depctr 0xfff
	v_fmac_f32_e32 v85, v106, v82
	v_dual_mul_f32 v78, 0x3fb8aa3b, v78 :: v_dual_fmac_f32 v85, v104, v83
	s_delay_alu instid0(VALU_DEP_1) | instskip(SKIP_2) | instid1(VALU_DEP_1)
	v_exp_f32_e32 v105, v78
	s_waitcnt_depctr 0xfff
	v_fmac_f32_e32 v85, v105, v102
	v_fmac_f32_e32 v85, v107, v103
	s_delay_alu instid0(VALU_DEP_1) | instskip(NEXT) | instid1(VALU_DEP_1)
	v_add_f32_e32 v102, 0x358637bd, v85
	v_div_scale_f32 v103, null, v102, v102, 1.0
	v_div_scale_f32 v108, vcc_lo, 1.0, v102, 1.0
	s_delay_alu instid0(VALU_DEP_2) | instskip(SKIP_2) | instid1(VALU_DEP_1)
	v_rcp_f32_e32 v112, v103
	s_waitcnt_depctr 0xfff
	v_fma_f32 v78, -v103, v112, 1.0
	v_fmac_f32_e32 v112, v78, v112
	v_cndmask_b32_e64 v78, v80, v110, s2
	v_cmp_eq_u32_e64 s2, 4, v77
	v_lshl_or_b32 v80, v77, 11, v79
	s_delay_alu instid0(VALU_DEP_4) | instskip(NEXT) | instid1(VALU_DEP_4)
	v_mul_f32_e32 v110, v108, v112
	v_cndmask_b32_e64 v81, v78, v109, s3
	v_cmp_eq_u32_e64 s3, 6, v77
	s_delay_alu instid0(VALU_DEP_4) | instskip(SKIP_3) | instid1(VALU_DEP_3)
	v_lshl_or_b32 v77, v75, 4, v80
	v_lshlrev_b32_e32 v78, 2, v75
	v_fma_f32 v82, -v103, v110, v108
	v_cndmask_b32_e64 v83, v81, v106, s2
	v_or_b32_e32 v81, 1, v78
	s_delay_alu instid0(VALU_DEP_3) | instskip(NEXT) | instid1(VALU_DEP_3)
	v_fmac_f32_e32 v110, v82, v112
	v_cndmask_b32_e64 v104, v83, v104, s4
	v_or_b32_e32 v83, 2, v78
	v_or_b32_e32 v82, 3, v78
	v_cmp_eq_u32_e64 s2, 1, v78
	v_fma_f32 v103, -v103, v110, v108
	v_cndmask_b32_e64 v104, v104, v105, s3
	v_cmp_eq_u32_e64 s8, 1, v81
	v_cmp_eq_u32_e64 s9, 1, v83
	;; [unrolled: 1-line block ×3, first 2 shown]
	v_div_fmas_f32 v103, v103, v112, v110
	v_cndmask_b32_e64 v104, v104, v107, s5
	v_cmp_eq_u32_e32 vcc_lo, 2, v78
	v_cmp_eq_u32_e64 s11, 2, v81
	v_cmp_eq_u32_e64 s13, 2, v83
	v_div_fixup_f32 v102, v103, v102, 1.0
	v_cmp_eq_u32_e64 s15, 2, v82
	v_cmp_eq_u32_e64 s17, 3, v82
	;; [unrolled: 1-line block ×4, first 2 shown]
	v_mul_f32_e32 v110, v104, v102
	v_cmp_eq_u32_e64 s16, 3, v83
	v_cmp_eq_u32_e64 s21, 4, v82
	v_cmp_eq_u32_e64 s4, 4, v78
	v_cmp_eq_u32_e64 s18, 4, v81
	v_fma_mixlo_f16 v102, v110, v87, 0
	v_fma_mixlo_f16 v103, v110, v89, 0
	;; [unrolled: 1-line block ×8, first 2 shown]
	v_fma_mixhi_f16 v102, v110, v86, 0
	v_fma_mixhi_f16 v103, v110, v88, 0
	v_fma_mixhi_f16 v104, v110, v90, 0
	v_fma_mixhi_f16 v105, v110, v92, 0
	v_fma_mixhi_f16 v106, v110, v94, 0
	v_fma_mixhi_f16 v107, v110, v96, 0
	v_fma_mixhi_f16 v108, v110, v98, 0
	v_fma_mixhi_f16 v109, v110, v100, 0
	ds_store_b128 v77, v[102:105]
	ds_store_b128 v77, v[106:109] offset:1024
	s_waitcnt lgkmcnt(0)
	s_barrier
	buffer_gl0_inv
	ds_load_b128 v[86:89], v80
	ds_load_b128 v[90:93], v80 offset:16
	ds_load_b128 v[94:97], v80 offset:1024
	;; [unrolled: 1-line block ×3, first 2 shown]
	v_cmp_eq_u32_e64 s20, 4, v83
	v_cmp_eq_u32_e64 s23, 5, v82
	;; [unrolled: 1-line block ×13, first 2 shown]
	s_waitcnt lgkmcnt(3)
	v_lshrrev_b32_e32 v102, 16, v86
	s_waitcnt lgkmcnt(2)
	v_lshrrev_b32_e32 v106, 16, v90
	;; [unrolled: 2-line block ×4, first 2 shown]
	v_lshrrev_b32_e32 v103, 16, v87
	v_cndmask_b32_e64 v118, v86, v102, s2
	v_cndmask_b32_e64 v119, v90, v106, s2
	;; [unrolled: 1-line block ×8, first 2 shown]
	v_lshrrev_b32_e32 v107, 16, v91
	v_cndmask_b32_e64 v102, v94, v110, s2
	v_cndmask_b32_e64 v106, v98, v114, s2
	;; [unrolled: 1-line block ×5, first 2 shown]
	v_cndmask_b32_e32 v110, v118, v87, vcc_lo
	v_cndmask_b32_e64 v118, v120, v87, s11
	v_cndmask_b32_e64 v120, v122, v87, s13
	;; [unrolled: 1-line block ×4, first 2 shown]
	v_lshrrev_b32_e32 v111, 16, v95
	v_lshrrev_b32_e32 v115, 16, v99
	v_cndmask_b32_e64 v125, v98, v114, s8
	v_cndmask_b32_e64 v127, v98, v114, s9
	;; [unrolled: 1-line block ×3, first 2 shown]
	v_cndmask_b32_e32 v114, v119, v91, vcc_lo
	v_cndmask_b32_e64 v119, v121, v91, s11
	v_cndmask_b32_e64 v121, v123, v91, s13
	v_cndmask_b32_e32 v90, v102, v95, vcc_lo
	v_cndmask_b32_e32 v91, v106, v99, vcc_lo
	v_cndmask_b32_e64 v102, v124, v95, s11
	v_cndmask_b32_e64 v86, v86, v103, s17
	;; [unrolled: 1-line block ×3, first 2 shown]
	v_lshrrev_b32_e32 v104, 16, v88
	v_lshrrev_b32_e32 v108, 16, v92
	v_cndmask_b32_e64 v106, v126, v95, s13
	v_cndmask_b32_e64 v94, v94, v95, s15
	;; [unrolled: 1-line block ×14, first 2 shown]
	v_lshrrev_b32_e32 v112, 16, v96
	v_cndmask_b32_e64 v98, v98, v88, s4
	v_cndmask_b32_e64 v103, v110, v92, s4
	;; [unrolled: 1-line block ×11, first 2 shown]
	v_lshrrev_b32_e32 v105, 16, v89
	v_lshrrev_b32_e32 v109, 16, v93
	v_cndmask_b32_e64 v92, v98, v104, s5
	v_cndmask_b32_e64 v98, v103, v108, s5
	;; [unrolled: 1-line block ×9, first 2 shown]
	v_lshrrev_b32_e32 v113, 16, v97
	v_cndmask_b32_e64 v88, v88, v112, s5
	v_cndmask_b32_e64 v92, v92, v89, s6
	;; [unrolled: 1-line block ×19, first 2 shown]
	v_perm_b32 v89, v87, v86, 0x5040100
	v_cndmask_b32_e64 v86, v125, v99, s11
	v_cndmask_b32_e64 v104, v88, v113, s7
	v_perm_b32 v88, v102, v98, 0x5040100
	v_perm_b32 v87, v103, v93, 0x5040100
	v_cndmask_b32_e64 v93, v106, v111, s16
	v_cndmask_b32_e64 v94, v94, v111, s17
	;; [unrolled: 1-line block ×5, first 2 shown]
	v_lshrrev_b32_e32 v116, 16, v100
	v_cndmask_b32_e64 v93, v93, v96, s20
	v_cndmask_b32_e64 v94, v94, v96, s21
	;; [unrolled: 1-line block ×11, first 2 shown]
	v_lshrrev_b32_e32 v117, 16, v101
	v_cndmask_b32_e64 v90, v90, v101, s6
	v_cndmask_b32_e64 v93, v93, v97, s25
	;; [unrolled: 1-line block ×12, first 2 shown]
	v_perm_b32 v86, v92, v91, 0x5040100
	v_perm_b32 v93, v94, v93, 0x5040100
	;; [unrolled: 1-line block ×5, first 2 shown]
	s_lshl_b32 s6, s33, 2
	s_mov_b32 s2, exec_lo
	ds_store_b128 v77, v[86:89]
	ds_store_b128 v77, v[90:93] offset:1024
	v_cmpx_gt_u32_e32 4, v0
	s_cbranch_execz .LBB365_16
; %bb.15:
	v_or_b32_e32 v86, s31, v0
	s_load_b128 s[8:11], s[0:1], 0x58
	s_delay_alu instid0(VALU_DEP_1) | instskip(NEXT) | instid1(VALU_DEP_1)
	v_mad_u64_u32 v[87:88], null, s6, s30, v[86:87]
	v_mad_u64_u32 v[88:89], null, v87, s34, s[14:15]
	s_delay_alu instid0(VALU_DEP_1) | instskip(NEXT) | instid1(VALU_DEP_1)
	v_ashrrev_i32_e32 v89, 31, v88
	v_lshlrev_b64 v[86:87], 2, v[88:89]
	s_waitcnt lgkmcnt(0)
	s_delay_alu instid0(VALU_DEP_1) | instskip(NEXT) | instid1(VALU_DEP_2)
	v_add_co_u32 v88, vcc_lo, s10, v86
	v_add_co_ci_u32_e32 v89, vcc_lo, s11, v87, vcc_lo
	v_add_co_u32 v86, vcc_lo, s8, v86
	v_add_co_ci_u32_e32 v87, vcc_lo, s9, v87, vcc_lo
	global_store_b32 v[88:89], v84, off
	global_store_b32 v[86:87], v85, off
.LBB365_16:
	s_or_b32 exec_lo, exec_lo, s2
	s_waitcnt lgkmcnt(0)
	s_waitcnt_vscnt null, 0x0
	s_barrier
	buffer_gl0_inv
	ds_load_b128 v[92:95], v79
	ds_load_b128 v[96:99], v79 offset:16
	ds_load_b128 v[104:107], v79 offset:1040
	;; [unrolled: 1-line block ×5, first 2 shown]
	v_cmp_eq_u32_e32 vcc_lo, 1, v83
	v_mov_b32_e32 v84, 0
	ds_load_b128 v[120:123], v79 offset:3088
	ds_load_b128 v[116:119], v79 offset:3072
	;; [unrolled: 1-line block ×4, first 2 shown]
	v_cmp_eq_u32_e64 s2, 1, v78
	v_cmp_eq_u32_e64 s3, 1, v82
	;; [unrolled: 1-line block ×3, first 2 shown]
	v_mov_b32_e32 v85, v84
	v_mov_b32_e32 v86, v84
	;; [unrolled: 1-line block ×7, first 2 shown]
	v_cmp_eq_u32_e64 s5, 2, v78
	s_waitcnt lgkmcnt(8)
	s_delay_alu instid0(VALU_DEP_2)
	v_wmma_f32_16x16x16_f16 v[84:91], v[65:72], v[92:99], v[84:91]
	ds_load_b128 v[69:72], v79 offset:5136
	ds_load_b128 v[65:68], v79 offset:5120
	;; [unrolled: 1-line block ×4, first 2 shown]
	s_waitcnt lgkmcnt(10)
	v_wmma_f32_16x16x16_f16 v[84:91], v[57:64], v[100:107], v[84:91]
	s_waitcnt lgkmcnt(8)
	s_delay_alu instid0(VALU_DEP_1)
	v_wmma_f32_16x16x16_f16 v[84:91], v[57:64], v[108:115], v[84:91]
	ds_load_b128 v[61:64], v79 offset:7184
	ds_load_b128 v[57:60], v79 offset:7168
	;; [unrolled: 1-line block ×4, first 2 shown]
	s_waitcnt lgkmcnt(10)
	v_wmma_f32_16x16x16_f16 v[84:91], v[49:56], v[116:123], v[84:91]
	s_waitcnt lgkmcnt(8)
	s_delay_alu instid0(VALU_DEP_1)
	v_wmma_f32_16x16x16_f16 v[84:91], v[49:56], v[124:131], v[84:91]
	ds_load_b128 v[53:56], v79 offset:9232
	ds_load_b128 v[49:52], v79 offset:9216
	s_waitcnt lgkmcnt(8)
	v_wmma_f32_16x16x16_f16 v[84:91], v[41:48], v[65:72], v[84:91]
	ds_load_b128 v[69:72], v79 offset:10256
	ds_load_b128 v[65:68], v79 offset:10240
	s_waitcnt lgkmcnt(8)
	;; [unrolled: 4-line block ×7, first 2 shown]
	s_barrier
	buffer_gl0_inv
	v_wmma_f32_16x16x16_f16 v[84:91], v[33:40], v[41:48], v[84:91]
	s_delay_alu instid0(VALU_DEP_1) | instskip(NEXT) | instid1(VALU_DEP_1)
	v_wmma_f32_16x16x16_f16 v[84:91], v[33:40], v[57:64], v[84:91]
	v_wmma_f32_16x16x16_f16 v[84:91], v[25:32], v[9:16], v[84:91]
	s_delay_alu instid0(VALU_DEP_1) | instskip(NEXT) | instid1(VALU_DEP_1)
	v_wmma_f32_16x16x16_f16 v[84:91], v[25:32], v[49:56], v[84:91]
	v_wmma_f32_16x16x16_f16 v[84:91], v[17:24], v[1:8], v[84:91]
	s_delay_alu instid0(VALU_DEP_1) | instskip(NEXT) | instid1(VALU_DEP_2)
	v_cvt_f16_f32_e32 v1, v84
	v_cvt_f16_f32_e32 v2, v85
	s_delay_alu instid0(VALU_DEP_3) | instskip(NEXT) | instid1(VALU_DEP_4)
	v_cvt_f16_f32_e32 v3, v86
	v_cvt_f16_f32_e32 v4, v87
	;; [unrolled: 1-line block ×6, first 2 shown]
	v_pack_b32_f16 v1, v1, v2
	v_pack_b32_f16 v2, v3, v4
	;; [unrolled: 1-line block ×3, first 2 shown]
	s_delay_alu instid0(VALU_DEP_4)
	v_pack_b32_f16 v4, v7, v8
	ds_store_b128 v77, v[1:4]
	s_waitcnt lgkmcnt(0)
	s_barrier
	buffer_gl0_inv
	ds_load_b128 v[1:4], v80
	ds_load_b128 v[5:8], v80 offset:16
	s_waitcnt lgkmcnt(1)
	v_lshrrev_b32_e32 v9, 16, v1
	s_waitcnt lgkmcnt(0)
	v_lshrrev_b32_e32 v13, 16, v5
	v_lshrrev_b32_e32 v10, 16, v2
	;; [unrolled: 1-line block ×4, first 2 shown]
	v_cndmask_b32_e64 v17, v1, v9, s2
	v_cndmask_b32_e64 v18, v5, v13, s2
	;; [unrolled: 1-line block ×3, first 2 shown]
	v_cmp_eq_u32_e64 s2, 2, v81
	v_cndmask_b32_e64 v20, v5, v13, s4
	v_cndmask_b32_e32 v21, v1, v9, vcc_lo
	v_cndmask_b32_e32 v22, v5, v13, vcc_lo
	v_cndmask_b32_e64 v1, v1, v9, s3
	v_cndmask_b32_e64 v5, v5, v13, s3
	v_cmp_eq_u32_e32 vcc_lo, 2, v83
	v_cmp_eq_u32_e64 s3, 2, v82
	v_cndmask_b32_e64 v9, v17, v2, s5
	v_cndmask_b32_e64 v13, v18, v6, s5
	;; [unrolled: 1-line block ×4, first 2 shown]
	v_cndmask_b32_e32 v19, v21, v2, vcc_lo
	v_cmp_eq_u32_e64 s2, 3, v83
	v_cndmask_b32_e32 v20, v22, v6, vcc_lo
	v_cndmask_b32_e64 v1, v1, v2, s3
	v_cmp_eq_u32_e32 vcc_lo, 3, v82
	v_cmp_eq_u32_e64 s4, 3, v78
	v_cndmask_b32_e64 v2, v5, v6, s3
	v_cmp_eq_u32_e64 s3, 3, v81
	v_cmp_eq_u32_e64 s5, 4, v78
	v_cndmask_b32_e32 v1, v1, v10, vcc_lo
	v_cndmask_b32_e64 v5, v9, v10, s4
	v_cndmask_b32_e64 v6, v13, v14, s4
	;; [unrolled: 1-line block ×3, first 2 shown]
	v_cmp_eq_u32_e64 s4, 4, v81
	v_cndmask_b32_e64 v13, v18, v14, s3
	v_cndmask_b32_e64 v17, v19, v10, s2
	;; [unrolled: 1-line block ×3, first 2 shown]
	v_cndmask_b32_e32 v2, v2, v14, vcc_lo
	v_cmp_eq_u32_e32 vcc_lo, 4, v83
	v_cmp_eq_u32_e64 s3, 4, v82
	v_lshrrev_b32_e32 v15, 16, v7
	v_cndmask_b32_e64 v5, v5, v3, s5
	v_cndmask_b32_e64 v6, v6, v7, s5
	v_cndmask_b32_e32 v14, v18, v7, vcc_lo
	v_cndmask_b32_e64 v9, v9, v3, s4
	v_cndmask_b32_e64 v10, v13, v7, s4
	v_cndmask_b32_e32 v13, v17, v3, vcc_lo
	v_cmp_eq_u32_e64 s2, 5, v83
	v_cndmask_b32_e64 v1, v1, v3, s3
	v_cmp_eq_u32_e32 vcc_lo, 5, v82
	v_cmp_eq_u32_e64 s4, 5, v78
	v_cndmask_b32_e64 v2, v2, v7, s3
	v_cmp_eq_u32_e64 s3, 5, v81
	v_cmp_eq_u32_e64 s5, 6, v78
	v_lshrrev_b32_e32 v12, 16, v4
	v_cndmask_b32_e64 v3, v5, v11, s4
	v_cndmask_b32_e64 v5, v6, v15, s4
	;; [unrolled: 1-line block ×3, first 2 shown]
	v_cmp_eq_u32_e64 s4, 6, v81
	v_cndmask_b32_e64 v7, v10, v15, s3
	v_cndmask_b32_e64 v9, v13, v11, s2
	;; [unrolled: 1-line block ×3, first 2 shown]
	v_cndmask_b32_e32 v1, v1, v11, vcc_lo
	v_cndmask_b32_e32 v2, v2, v15, vcc_lo
	v_cmp_eq_u32_e32 vcc_lo, 6, v83
	v_cmp_eq_u32_e64 s2, 6, v82
	v_lshrrev_b32_e32 v16, 16, v8
	v_cndmask_b32_e64 v3, v3, v4, s5
	v_cndmask_b32_e64 v5, v5, v8, s5
	v_cndmask_b32_e32 v9, v9, v4, vcc_lo
	v_cndmask_b32_e64 v6, v6, v4, s4
	v_cndmask_b32_e64 v7, v7, v8, s4
	v_cmp_eq_u32_e64 s3, 7, v83
	v_cndmask_b32_e32 v10, v10, v8, vcc_lo
	v_cndmask_b32_e64 v1, v1, v4, s2
	v_cmp_eq_u32_e32 vcc_lo, 7, v82
	v_cndmask_b32_e64 v2, v2, v8, s2
	v_cmp_eq_u32_e64 s2, 7, v78
	v_cmp_eq_u32_e64 s4, 7, v81
	v_cndmask_b32_e32 v1, v1, v12, vcc_lo
	s_delay_alu instid0(VALU_DEP_4) | instskip(NEXT) | instid1(VALU_DEP_4)
	v_cndmask_b32_e32 v2, v2, v16, vcc_lo
	v_cndmask_b32_e64 v8, v3, v12, s2
	s_delay_alu instid0(VALU_DEP_4)
	v_cndmask_b32_e64 v6, v6, v12, s4
	v_cndmask_b32_e64 v3, v9, v12, s3
	;; [unrolled: 1-line block ×5, first 2 shown]
	v_perm_b32 v4, v2, v1, 0x5040100
	s_mov_b32 s2, exec_lo
	v_perm_b32 v3, v9, v3, 0x5040100
	v_perm_b32 v2, v7, v6, 0x5040100
	;; [unrolled: 1-line block ×3, first 2 shown]
	ds_store_b128 v77, v[1:4]
	s_waitcnt lgkmcnt(0)
	s_barrier
	buffer_gl0_inv
	v_cmpx_gt_u32_e32 32, v0
	s_cbranch_execz .LBB365_2
; %bb.17:
	s_load_b64 s[0:1], s[0:1], 0x68
	v_lshlrev_b32_e32 v0, 10, v0
	v_or_b32_e32 v1, s31, v75
	s_lshl_b32 s4, s34, 7
	v_lshlrev_b32_e32 v2, 4, v76
	s_mul_i32 s2, s4, s30
	v_lshlrev_b32_e32 v3, 6, v75
	v_mul_lo_u32 v8, v1, s4
	v_and_b32_e32 v0, 0x3800, v0
	v_or_b32_e32 v1, 2, v1
	s_mul_i32 s2, s2, s6
	s_delay_alu instid0(SALU_CYCLE_1) | instskip(NEXT) | instid1(VALU_DEP_2)
	s_ashr_i32 s3, s2, 31
	v_or3_b32 v4, v0, v2, v3
	s_lshl_b64 s[2:3], s[2:3], 1
	v_mul_lo_u32 v10, v1, s4
	v_ashrrev_i32_e32 v9, 31, v8
	ds_load_b128 v[0:3], v4
	ds_load_b128 v[4:7], v4 offset:128
	s_waitcnt lgkmcnt(0)
	s_add_u32 s2, s0, s2
	s_addc_u32 s3, s1, s3
	s_lshl_b32 s0, s14, 7
	v_ashrrev_i32_e32 v11, 31, v10
	s_ashr_i32 s1, s0, 31
	v_lshlrev_b64 v[8:9], 1, v[8:9]
	s_lshl_b64 s[0:1], s[0:1], 1
	s_delay_alu instid0(SALU_CYCLE_1) | instskip(SKIP_4) | instid1(VALU_DEP_3)
	s_add_u32 s0, s2, s0
	s_addc_u32 s1, s3, s1
	v_add_co_u32 v12, vcc_lo, s0, v73
	v_add_co_ci_u32_e32 v13, vcc_lo, s1, v74, vcc_lo
	v_lshlrev_b64 v[10:11], 1, v[10:11]
	v_add_co_u32 v8, vcc_lo, v12, v8
	s_delay_alu instid0(VALU_DEP_3) | instskip(NEXT) | instid1(VALU_DEP_3)
	v_add_co_ci_u32_e32 v9, vcc_lo, v13, v9, vcc_lo
	v_add_co_u32 v10, vcc_lo, v12, v10
	s_delay_alu instid0(VALU_DEP_4)
	v_add_co_ci_u32_e32 v11, vcc_lo, v13, v11, vcc_lo
	s_clause 0x1
	global_store_b128 v[8:9], v[0:3], off
	global_store_b128 v[10:11], v[4:7], off
	s_nop 0
	s_sendmsg sendmsg(MSG_DEALLOC_VGPRS)
	s_endpgm
	.section	.rodata,"a",@progbits
	.p2align	6, 0x0
	.amdhsa_kernel _Z39paged_attention_ll4mi_QKV_mfma16_kernelIDF16_DF16_LN4vllm18Fp8KVCacheDataTypeE0EDF16_Li32ELi128ELi256ELb1ELi4EL8MFMAType0EEvPKT_PKT0_S8_ifPKiSA_SA_iPKfiiiPfSD_PS3_PT2_iSC_SC_
		.amdhsa_group_segment_fixed_size 17472
		.amdhsa_private_segment_fixed_size 0
		.amdhsa_kernarg_size 400
		.amdhsa_user_sgpr_count 13
		.amdhsa_user_sgpr_dispatch_ptr 0
		.amdhsa_user_sgpr_queue_ptr 0
		.amdhsa_user_sgpr_kernarg_segment_ptr 1
		.amdhsa_user_sgpr_dispatch_id 0
		.amdhsa_user_sgpr_private_segment_size 0
		.amdhsa_wavefront_size32 1
		.amdhsa_uses_dynamic_stack 0
		.amdhsa_enable_private_segment 0
		.amdhsa_system_sgpr_workgroup_id_x 1
		.amdhsa_system_sgpr_workgroup_id_y 1
		.amdhsa_system_sgpr_workgroup_id_z 1
		.amdhsa_system_sgpr_workgroup_info 0
		.amdhsa_system_vgpr_workitem_id 0
		.amdhsa_next_free_vgpr 172
		.amdhsa_next_free_sgpr 38
		.amdhsa_reserve_vcc 1
		.amdhsa_float_round_mode_32 0
		.amdhsa_float_round_mode_16_64 0
		.amdhsa_float_denorm_mode_32 3
		.amdhsa_float_denorm_mode_16_64 3
		.amdhsa_dx10_clamp 1
		.amdhsa_ieee_mode 1
		.amdhsa_fp16_overflow 0
		.amdhsa_workgroup_processor_mode 1
		.amdhsa_memory_ordered 1
		.amdhsa_forward_progress 0
		.amdhsa_shared_vgpr_count 0
		.amdhsa_exception_fp_ieee_invalid_op 0
		.amdhsa_exception_fp_denorm_src 0
		.amdhsa_exception_fp_ieee_div_zero 0
		.amdhsa_exception_fp_ieee_overflow 0
		.amdhsa_exception_fp_ieee_underflow 0
		.amdhsa_exception_fp_ieee_inexact 0
		.amdhsa_exception_int_div_zero 0
	.end_amdhsa_kernel
	.section	.text._Z39paged_attention_ll4mi_QKV_mfma16_kernelIDF16_DF16_LN4vllm18Fp8KVCacheDataTypeE0EDF16_Li32ELi128ELi256ELb1ELi4EL8MFMAType0EEvPKT_PKT0_S8_ifPKiSA_SA_iPKfiiiPfSD_PS3_PT2_iSC_SC_,"axG",@progbits,_Z39paged_attention_ll4mi_QKV_mfma16_kernelIDF16_DF16_LN4vllm18Fp8KVCacheDataTypeE0EDF16_Li32ELi128ELi256ELb1ELi4EL8MFMAType0EEvPKT_PKT0_S8_ifPKiSA_SA_iPKfiiiPfSD_PS3_PT2_iSC_SC_,comdat
.Lfunc_end365:
	.size	_Z39paged_attention_ll4mi_QKV_mfma16_kernelIDF16_DF16_LN4vllm18Fp8KVCacheDataTypeE0EDF16_Li32ELi128ELi256ELb1ELi4EL8MFMAType0EEvPKT_PKT0_S8_ifPKiSA_SA_iPKfiiiPfSD_PS3_PT2_iSC_SC_, .Lfunc_end365-_Z39paged_attention_ll4mi_QKV_mfma16_kernelIDF16_DF16_LN4vllm18Fp8KVCacheDataTypeE0EDF16_Li32ELi128ELi256ELb1ELi4EL8MFMAType0EEvPKT_PKT0_S8_ifPKiSA_SA_iPKfiiiPfSD_PS3_PT2_iSC_SC_
                                        ; -- End function
	.section	.AMDGPU.csdata,"",@progbits
; Kernel info:
; codeLenInByte = 7380
; NumSgprs: 40
; NumVgprs: 172
; ScratchSize: 0
; MemoryBound: 0
; FloatMode: 240
; IeeeMode: 1
; LDSByteSize: 17472 bytes/workgroup (compile time only)
; SGPRBlocks: 4
; VGPRBlocks: 21
; NumSGPRsForWavesPerEU: 40
; NumVGPRsForWavesPerEU: 172
; Occupancy: 8
; WaveLimiterHint : 1
; COMPUTE_PGM_RSRC2:SCRATCH_EN: 0
; COMPUTE_PGM_RSRC2:USER_SGPR: 13
; COMPUTE_PGM_RSRC2:TRAP_HANDLER: 0
; COMPUTE_PGM_RSRC2:TGID_X_EN: 1
; COMPUTE_PGM_RSRC2:TGID_Y_EN: 1
; COMPUTE_PGM_RSRC2:TGID_Z_EN: 1
; COMPUTE_PGM_RSRC2:TIDIG_COMP_CNT: 0
	.section	.text._Z38paged_attention_ll4mi_QKV_mfma4_kernelIDF16_DF16_LN4vllm18Fp8KVCacheDataTypeE0EDF16_Li32ELi128ELi256ELb0ELi1EEvPKT_PKT0_S7_ifPKiS9_S9_iPKfiiiPfSC_PS2_PT2_iSB_SB_,"axG",@progbits,_Z38paged_attention_ll4mi_QKV_mfma4_kernelIDF16_DF16_LN4vllm18Fp8KVCacheDataTypeE0EDF16_Li32ELi128ELi256ELb0ELi1EEvPKT_PKT0_S7_ifPKiS9_S9_iPKfiiiPfSC_PS2_PT2_iSB_SB_,comdat
	.protected	_Z38paged_attention_ll4mi_QKV_mfma4_kernelIDF16_DF16_LN4vllm18Fp8KVCacheDataTypeE0EDF16_Li32ELi128ELi256ELb0ELi1EEvPKT_PKT0_S7_ifPKiS9_S9_iPKfiiiPfSC_PS2_PT2_iSB_SB_ ; -- Begin function _Z38paged_attention_ll4mi_QKV_mfma4_kernelIDF16_DF16_LN4vllm18Fp8KVCacheDataTypeE0EDF16_Li32ELi128ELi256ELb0ELi1EEvPKT_PKT0_S7_ifPKiS9_S9_iPKfiiiPfSC_PS2_PT2_iSB_SB_
	.globl	_Z38paged_attention_ll4mi_QKV_mfma4_kernelIDF16_DF16_LN4vllm18Fp8KVCacheDataTypeE0EDF16_Li32ELi128ELi256ELb0ELi1EEvPKT_PKT0_S7_ifPKiS9_S9_iPKfiiiPfSC_PS2_PT2_iSB_SB_
	.p2align	8
	.type	_Z38paged_attention_ll4mi_QKV_mfma4_kernelIDF16_DF16_LN4vllm18Fp8KVCacheDataTypeE0EDF16_Li32ELi128ELi256ELb0ELi1EEvPKT_PKT0_S7_ifPKiS9_S9_iPKfiiiPfSC_PS2_PT2_iSB_SB_,@function
_Z38paged_attention_ll4mi_QKV_mfma4_kernelIDF16_DF16_LN4vllm18Fp8KVCacheDataTypeE0EDF16_Li32ELi128ELi256ELb0ELi1EEvPKT_PKT0_S7_ifPKiS9_S9_iPKfiiiPfSC_PS2_PT2_iSB_SB_: ; @_Z38paged_attention_ll4mi_QKV_mfma4_kernelIDF16_DF16_LN4vllm18Fp8KVCacheDataTypeE0EDF16_Li32ELi128ELi256ELb0ELi1EEvPKT_PKT0_S7_ifPKiS9_S9_iPKfiiiPfSC_PS2_PT2_iSB_SB_
; %bb.0:
	s_add_u32 s8, s0, 0x90
	s_addc_u32 s9, s1, 0
	s_getpc_b64 s[0:1]
	s_add_u32 s0, s0, __PRETTY_FUNCTION__._Z38paged_attention_ll4mi_QKV_mfma4_kernelIDF16_DF16_LN4vllm18Fp8KVCacheDataTypeE0EDF16_Li32ELi128ELi256ELb0ELi1EEvPKT_PKT0_S7_ifPKiS9_S9_iPKfiiiPfSC_PS2_PT2_iSB_SB_@rel32@lo+4
	s_addc_u32 s1, s1, __PRETTY_FUNCTION__._Z38paged_attention_ll4mi_QKV_mfma4_kernelIDF16_DF16_LN4vllm18Fp8KVCacheDataTypeE0EDF16_Li32ELi128ELi256ELb0ELi1EEvPKT_PKT0_S7_ifPKiS9_S9_iPKfiiiPfSC_PS2_PT2_iSB_SB_@rel32@hi+12
	s_delay_alu instid0(SALU_CYCLE_1) | instskip(SKIP_4) | instid1(SALU_CYCLE_1)
	v_dual_mov_b32 v0, s0 :: v_dual_mov_b32 v1, s1
	s_mov_b32 s32, 0
	s_getpc_b64 s[2:3]
	s_add_u32 s2, s2, __assert_fail@rel32@lo+4
	s_addc_u32 s3, s3, __assert_fail@rel32@hi+12
	s_swappc_b64 s[30:31], s[2:3]
	.section	.rodata,"a",@progbits
	.p2align	6, 0x0
	.amdhsa_kernel _Z38paged_attention_ll4mi_QKV_mfma4_kernelIDF16_DF16_LN4vllm18Fp8KVCacheDataTypeE0EDF16_Li32ELi128ELi256ELb0ELi1EEvPKT_PKT0_S7_ifPKiS9_S9_iPKfiiiPfSC_PS2_PT2_iSB_SB_
		.amdhsa_group_segment_fixed_size 0
		.amdhsa_private_segment_fixed_size 64
		.amdhsa_kernarg_size 400
		.amdhsa_user_sgpr_count 15
		.amdhsa_user_sgpr_dispatch_ptr 0
		.amdhsa_user_sgpr_queue_ptr 0
		.amdhsa_user_sgpr_kernarg_segment_ptr 1
		.amdhsa_user_sgpr_dispatch_id 0
		.amdhsa_user_sgpr_private_segment_size 0
		.amdhsa_wavefront_size32 1
		.amdhsa_uses_dynamic_stack 0
		.amdhsa_enable_private_segment 1
		.amdhsa_system_sgpr_workgroup_id_x 1
		.amdhsa_system_sgpr_workgroup_id_y 0
		.amdhsa_system_sgpr_workgroup_id_z 0
		.amdhsa_system_sgpr_workgroup_info 0
		.amdhsa_system_vgpr_workitem_id 0
		.amdhsa_next_free_vgpr 41
		.amdhsa_next_free_sgpr 34
		.amdhsa_reserve_vcc 1
		.amdhsa_float_round_mode_32 0
		.amdhsa_float_round_mode_16_64 0
		.amdhsa_float_denorm_mode_32 3
		.amdhsa_float_denorm_mode_16_64 3
		.amdhsa_dx10_clamp 1
		.amdhsa_ieee_mode 1
		.amdhsa_fp16_overflow 0
		.amdhsa_workgroup_processor_mode 1
		.amdhsa_memory_ordered 1
		.amdhsa_forward_progress 0
		.amdhsa_shared_vgpr_count 0
		.amdhsa_exception_fp_ieee_invalid_op 0
		.amdhsa_exception_fp_denorm_src 0
		.amdhsa_exception_fp_ieee_div_zero 0
		.amdhsa_exception_fp_ieee_overflow 0
		.amdhsa_exception_fp_ieee_underflow 0
		.amdhsa_exception_fp_ieee_inexact 0
		.amdhsa_exception_int_div_zero 0
	.end_amdhsa_kernel
	.section	.text._Z38paged_attention_ll4mi_QKV_mfma4_kernelIDF16_DF16_LN4vllm18Fp8KVCacheDataTypeE0EDF16_Li32ELi128ELi256ELb0ELi1EEvPKT_PKT0_S7_ifPKiS9_S9_iPKfiiiPfSC_PS2_PT2_iSB_SB_,"axG",@progbits,_Z38paged_attention_ll4mi_QKV_mfma4_kernelIDF16_DF16_LN4vllm18Fp8KVCacheDataTypeE0EDF16_Li32ELi128ELi256ELb0ELi1EEvPKT_PKT0_S7_ifPKiS9_S9_iPKfiiiPfSC_PS2_PT2_iSB_SB_,comdat
.Lfunc_end366:
	.size	_Z38paged_attention_ll4mi_QKV_mfma4_kernelIDF16_DF16_LN4vllm18Fp8KVCacheDataTypeE0EDF16_Li32ELi128ELi256ELb0ELi1EEvPKT_PKT0_S7_ifPKiS9_S9_iPKfiiiPfSC_PS2_PT2_iSB_SB_, .Lfunc_end366-_Z38paged_attention_ll4mi_QKV_mfma4_kernelIDF16_DF16_LN4vllm18Fp8KVCacheDataTypeE0EDF16_Li32ELi128ELi256ELb0ELi1EEvPKT_PKT0_S7_ifPKiS9_S9_iPKfiiiPfSC_PS2_PT2_iSB_SB_
                                        ; -- End function
	.section	.AMDGPU.csdata,"",@progbits
; Kernel info:
; codeLenInByte = 72
; NumSgprs: 36
; NumVgprs: 41
; ScratchSize: 64
; MemoryBound: 0
; FloatMode: 240
; IeeeMode: 1
; LDSByteSize: 0 bytes/workgroup (compile time only)
; SGPRBlocks: 4
; VGPRBlocks: 5
; NumSGPRsForWavesPerEU: 36
; NumVGPRsForWavesPerEU: 41
; Occupancy: 16
; WaveLimiterHint : 1
; COMPUTE_PGM_RSRC2:SCRATCH_EN: 1
; COMPUTE_PGM_RSRC2:USER_SGPR: 15
; COMPUTE_PGM_RSRC2:TRAP_HANDLER: 0
; COMPUTE_PGM_RSRC2:TGID_X_EN: 1
; COMPUTE_PGM_RSRC2:TGID_Y_EN: 0
; COMPUTE_PGM_RSRC2:TGID_Z_EN: 0
; COMPUTE_PGM_RSRC2:TIDIG_COMP_CNT: 0
	.section	.text._Z38paged_attention_ll4mi_QKV_mfma4_kernelIDF16_DF16_LN4vllm18Fp8KVCacheDataTypeE0EDF16_Li32ELi128ELi256ELb0ELi2EEvPKT_PKT0_S7_ifPKiS9_S9_iPKfiiiPfSC_PS2_PT2_iSB_SB_,"axG",@progbits,_Z38paged_attention_ll4mi_QKV_mfma4_kernelIDF16_DF16_LN4vllm18Fp8KVCacheDataTypeE0EDF16_Li32ELi128ELi256ELb0ELi2EEvPKT_PKT0_S7_ifPKiS9_S9_iPKfiiiPfSC_PS2_PT2_iSB_SB_,comdat
	.protected	_Z38paged_attention_ll4mi_QKV_mfma4_kernelIDF16_DF16_LN4vllm18Fp8KVCacheDataTypeE0EDF16_Li32ELi128ELi256ELb0ELi2EEvPKT_PKT0_S7_ifPKiS9_S9_iPKfiiiPfSC_PS2_PT2_iSB_SB_ ; -- Begin function _Z38paged_attention_ll4mi_QKV_mfma4_kernelIDF16_DF16_LN4vllm18Fp8KVCacheDataTypeE0EDF16_Li32ELi128ELi256ELb0ELi2EEvPKT_PKT0_S7_ifPKiS9_S9_iPKfiiiPfSC_PS2_PT2_iSB_SB_
	.globl	_Z38paged_attention_ll4mi_QKV_mfma4_kernelIDF16_DF16_LN4vllm18Fp8KVCacheDataTypeE0EDF16_Li32ELi128ELi256ELb0ELi2EEvPKT_PKT0_S7_ifPKiS9_S9_iPKfiiiPfSC_PS2_PT2_iSB_SB_
	.p2align	8
	.type	_Z38paged_attention_ll4mi_QKV_mfma4_kernelIDF16_DF16_LN4vllm18Fp8KVCacheDataTypeE0EDF16_Li32ELi128ELi256ELb0ELi2EEvPKT_PKT0_S7_ifPKiS9_S9_iPKfiiiPfSC_PS2_PT2_iSB_SB_,@function
_Z38paged_attention_ll4mi_QKV_mfma4_kernelIDF16_DF16_LN4vllm18Fp8KVCacheDataTypeE0EDF16_Li32ELi128ELi256ELb0ELi2EEvPKT_PKT0_S7_ifPKiS9_S9_iPKfiiiPfSC_PS2_PT2_iSB_SB_: ; @_Z38paged_attention_ll4mi_QKV_mfma4_kernelIDF16_DF16_LN4vllm18Fp8KVCacheDataTypeE0EDF16_Li32ELi128ELi256ELb0ELi2EEvPKT_PKT0_S7_ifPKiS9_S9_iPKfiiiPfSC_PS2_PT2_iSB_SB_
; %bb.0:
	s_add_u32 s8, s0, 0x90
	s_addc_u32 s9, s1, 0
	s_getpc_b64 s[0:1]
	s_add_u32 s0, s0, __PRETTY_FUNCTION__._Z38paged_attention_ll4mi_QKV_mfma4_kernelIDF16_DF16_LN4vllm18Fp8KVCacheDataTypeE0EDF16_Li32ELi128ELi256ELb0ELi2EEvPKT_PKT0_S7_ifPKiS9_S9_iPKfiiiPfSC_PS2_PT2_iSB_SB_@rel32@lo+4
	s_addc_u32 s1, s1, __PRETTY_FUNCTION__._Z38paged_attention_ll4mi_QKV_mfma4_kernelIDF16_DF16_LN4vllm18Fp8KVCacheDataTypeE0EDF16_Li32ELi128ELi256ELb0ELi2EEvPKT_PKT0_S7_ifPKiS9_S9_iPKfiiiPfSC_PS2_PT2_iSB_SB_@rel32@hi+12
	s_delay_alu instid0(SALU_CYCLE_1) | instskip(SKIP_4) | instid1(SALU_CYCLE_1)
	v_dual_mov_b32 v0, s0 :: v_dual_mov_b32 v1, s1
	s_mov_b32 s32, 0
	s_getpc_b64 s[2:3]
	s_add_u32 s2, s2, __assert_fail@rel32@lo+4
	s_addc_u32 s3, s3, __assert_fail@rel32@hi+12
	s_swappc_b64 s[30:31], s[2:3]
	.section	.rodata,"a",@progbits
	.p2align	6, 0x0
	.amdhsa_kernel _Z38paged_attention_ll4mi_QKV_mfma4_kernelIDF16_DF16_LN4vllm18Fp8KVCacheDataTypeE0EDF16_Li32ELi128ELi256ELb0ELi2EEvPKT_PKT0_S7_ifPKiS9_S9_iPKfiiiPfSC_PS2_PT2_iSB_SB_
		.amdhsa_group_segment_fixed_size 0
		.amdhsa_private_segment_fixed_size 64
		.amdhsa_kernarg_size 400
		.amdhsa_user_sgpr_count 15
		.amdhsa_user_sgpr_dispatch_ptr 0
		.amdhsa_user_sgpr_queue_ptr 0
		.amdhsa_user_sgpr_kernarg_segment_ptr 1
		.amdhsa_user_sgpr_dispatch_id 0
		.amdhsa_user_sgpr_private_segment_size 0
		.amdhsa_wavefront_size32 1
		.amdhsa_uses_dynamic_stack 0
		.amdhsa_enable_private_segment 1
		.amdhsa_system_sgpr_workgroup_id_x 1
		.amdhsa_system_sgpr_workgroup_id_y 0
		.amdhsa_system_sgpr_workgroup_id_z 0
		.amdhsa_system_sgpr_workgroup_info 0
		.amdhsa_system_vgpr_workitem_id 0
		.amdhsa_next_free_vgpr 41
		.amdhsa_next_free_sgpr 34
		.amdhsa_reserve_vcc 1
		.amdhsa_float_round_mode_32 0
		.amdhsa_float_round_mode_16_64 0
		.amdhsa_float_denorm_mode_32 3
		.amdhsa_float_denorm_mode_16_64 3
		.amdhsa_dx10_clamp 1
		.amdhsa_ieee_mode 1
		.amdhsa_fp16_overflow 0
		.amdhsa_workgroup_processor_mode 1
		.amdhsa_memory_ordered 1
		.amdhsa_forward_progress 0
		.amdhsa_shared_vgpr_count 0
		.amdhsa_exception_fp_ieee_invalid_op 0
		.amdhsa_exception_fp_denorm_src 0
		.amdhsa_exception_fp_ieee_div_zero 0
		.amdhsa_exception_fp_ieee_overflow 0
		.amdhsa_exception_fp_ieee_underflow 0
		.amdhsa_exception_fp_ieee_inexact 0
		.amdhsa_exception_int_div_zero 0
	.end_amdhsa_kernel
	.section	.text._Z38paged_attention_ll4mi_QKV_mfma4_kernelIDF16_DF16_LN4vllm18Fp8KVCacheDataTypeE0EDF16_Li32ELi128ELi256ELb0ELi2EEvPKT_PKT0_S7_ifPKiS9_S9_iPKfiiiPfSC_PS2_PT2_iSB_SB_,"axG",@progbits,_Z38paged_attention_ll4mi_QKV_mfma4_kernelIDF16_DF16_LN4vllm18Fp8KVCacheDataTypeE0EDF16_Li32ELi128ELi256ELb0ELi2EEvPKT_PKT0_S7_ifPKiS9_S9_iPKfiiiPfSC_PS2_PT2_iSB_SB_,comdat
.Lfunc_end367:
	.size	_Z38paged_attention_ll4mi_QKV_mfma4_kernelIDF16_DF16_LN4vllm18Fp8KVCacheDataTypeE0EDF16_Li32ELi128ELi256ELb0ELi2EEvPKT_PKT0_S7_ifPKiS9_S9_iPKfiiiPfSC_PS2_PT2_iSB_SB_, .Lfunc_end367-_Z38paged_attention_ll4mi_QKV_mfma4_kernelIDF16_DF16_LN4vllm18Fp8KVCacheDataTypeE0EDF16_Li32ELi128ELi256ELb0ELi2EEvPKT_PKT0_S7_ifPKiS9_S9_iPKfiiiPfSC_PS2_PT2_iSB_SB_
                                        ; -- End function
	.section	.AMDGPU.csdata,"",@progbits
; Kernel info:
; codeLenInByte = 72
; NumSgprs: 36
; NumVgprs: 41
; ScratchSize: 64
; MemoryBound: 0
; FloatMode: 240
; IeeeMode: 1
; LDSByteSize: 0 bytes/workgroup (compile time only)
; SGPRBlocks: 4
; VGPRBlocks: 5
; NumSGPRsForWavesPerEU: 36
; NumVGPRsForWavesPerEU: 41
; Occupancy: 16
; WaveLimiterHint : 1
; COMPUTE_PGM_RSRC2:SCRATCH_EN: 1
; COMPUTE_PGM_RSRC2:USER_SGPR: 15
; COMPUTE_PGM_RSRC2:TRAP_HANDLER: 0
; COMPUTE_PGM_RSRC2:TGID_X_EN: 1
; COMPUTE_PGM_RSRC2:TGID_Y_EN: 0
; COMPUTE_PGM_RSRC2:TGID_Z_EN: 0
; COMPUTE_PGM_RSRC2:TIDIG_COMP_CNT: 0
	.section	.text._Z38paged_attention_ll4mi_QKV_mfma4_kernelIDF16_DF16_LN4vllm18Fp8KVCacheDataTypeE0EDF16_Li32ELi128ELi256ELb0ELi3EEvPKT_PKT0_S7_ifPKiS9_S9_iPKfiiiPfSC_PS2_PT2_iSB_SB_,"axG",@progbits,_Z38paged_attention_ll4mi_QKV_mfma4_kernelIDF16_DF16_LN4vllm18Fp8KVCacheDataTypeE0EDF16_Li32ELi128ELi256ELb0ELi3EEvPKT_PKT0_S7_ifPKiS9_S9_iPKfiiiPfSC_PS2_PT2_iSB_SB_,comdat
	.protected	_Z38paged_attention_ll4mi_QKV_mfma4_kernelIDF16_DF16_LN4vllm18Fp8KVCacheDataTypeE0EDF16_Li32ELi128ELi256ELb0ELi3EEvPKT_PKT0_S7_ifPKiS9_S9_iPKfiiiPfSC_PS2_PT2_iSB_SB_ ; -- Begin function _Z38paged_attention_ll4mi_QKV_mfma4_kernelIDF16_DF16_LN4vllm18Fp8KVCacheDataTypeE0EDF16_Li32ELi128ELi256ELb0ELi3EEvPKT_PKT0_S7_ifPKiS9_S9_iPKfiiiPfSC_PS2_PT2_iSB_SB_
	.globl	_Z38paged_attention_ll4mi_QKV_mfma4_kernelIDF16_DF16_LN4vllm18Fp8KVCacheDataTypeE0EDF16_Li32ELi128ELi256ELb0ELi3EEvPKT_PKT0_S7_ifPKiS9_S9_iPKfiiiPfSC_PS2_PT2_iSB_SB_
	.p2align	8
	.type	_Z38paged_attention_ll4mi_QKV_mfma4_kernelIDF16_DF16_LN4vllm18Fp8KVCacheDataTypeE0EDF16_Li32ELi128ELi256ELb0ELi3EEvPKT_PKT0_S7_ifPKiS9_S9_iPKfiiiPfSC_PS2_PT2_iSB_SB_,@function
_Z38paged_attention_ll4mi_QKV_mfma4_kernelIDF16_DF16_LN4vllm18Fp8KVCacheDataTypeE0EDF16_Li32ELi128ELi256ELb0ELi3EEvPKT_PKT0_S7_ifPKiS9_S9_iPKfiiiPfSC_PS2_PT2_iSB_SB_: ; @_Z38paged_attention_ll4mi_QKV_mfma4_kernelIDF16_DF16_LN4vllm18Fp8KVCacheDataTypeE0EDF16_Li32ELi128ELi256ELb0ELi3EEvPKT_PKT0_S7_ifPKiS9_S9_iPKfiiiPfSC_PS2_PT2_iSB_SB_
; %bb.0:
	s_add_u32 s8, s0, 0x90
	s_addc_u32 s9, s1, 0
	s_getpc_b64 s[0:1]
	s_add_u32 s0, s0, __PRETTY_FUNCTION__._Z38paged_attention_ll4mi_QKV_mfma4_kernelIDF16_DF16_LN4vllm18Fp8KVCacheDataTypeE0EDF16_Li32ELi128ELi256ELb0ELi3EEvPKT_PKT0_S7_ifPKiS9_S9_iPKfiiiPfSC_PS2_PT2_iSB_SB_@rel32@lo+4
	s_addc_u32 s1, s1, __PRETTY_FUNCTION__._Z38paged_attention_ll4mi_QKV_mfma4_kernelIDF16_DF16_LN4vllm18Fp8KVCacheDataTypeE0EDF16_Li32ELi128ELi256ELb0ELi3EEvPKT_PKT0_S7_ifPKiS9_S9_iPKfiiiPfSC_PS2_PT2_iSB_SB_@rel32@hi+12
	s_delay_alu instid0(SALU_CYCLE_1) | instskip(SKIP_4) | instid1(SALU_CYCLE_1)
	v_dual_mov_b32 v0, s0 :: v_dual_mov_b32 v1, s1
	s_mov_b32 s32, 0
	s_getpc_b64 s[2:3]
	s_add_u32 s2, s2, __assert_fail@rel32@lo+4
	s_addc_u32 s3, s3, __assert_fail@rel32@hi+12
	s_swappc_b64 s[30:31], s[2:3]
	.section	.rodata,"a",@progbits
	.p2align	6, 0x0
	.amdhsa_kernel _Z38paged_attention_ll4mi_QKV_mfma4_kernelIDF16_DF16_LN4vllm18Fp8KVCacheDataTypeE0EDF16_Li32ELi128ELi256ELb0ELi3EEvPKT_PKT0_S7_ifPKiS9_S9_iPKfiiiPfSC_PS2_PT2_iSB_SB_
		.amdhsa_group_segment_fixed_size 0
		.amdhsa_private_segment_fixed_size 64
		.amdhsa_kernarg_size 400
		.amdhsa_user_sgpr_count 15
		.amdhsa_user_sgpr_dispatch_ptr 0
		.amdhsa_user_sgpr_queue_ptr 0
		.amdhsa_user_sgpr_kernarg_segment_ptr 1
		.amdhsa_user_sgpr_dispatch_id 0
		.amdhsa_user_sgpr_private_segment_size 0
		.amdhsa_wavefront_size32 1
		.amdhsa_uses_dynamic_stack 0
		.amdhsa_enable_private_segment 1
		.amdhsa_system_sgpr_workgroup_id_x 1
		.amdhsa_system_sgpr_workgroup_id_y 0
		.amdhsa_system_sgpr_workgroup_id_z 0
		.amdhsa_system_sgpr_workgroup_info 0
		.amdhsa_system_vgpr_workitem_id 0
		.amdhsa_next_free_vgpr 41
		.amdhsa_next_free_sgpr 34
		.amdhsa_reserve_vcc 1
		.amdhsa_float_round_mode_32 0
		.amdhsa_float_round_mode_16_64 0
		.amdhsa_float_denorm_mode_32 3
		.amdhsa_float_denorm_mode_16_64 3
		.amdhsa_dx10_clamp 1
		.amdhsa_ieee_mode 1
		.amdhsa_fp16_overflow 0
		.amdhsa_workgroup_processor_mode 1
		.amdhsa_memory_ordered 1
		.amdhsa_forward_progress 0
		.amdhsa_shared_vgpr_count 0
		.amdhsa_exception_fp_ieee_invalid_op 0
		.amdhsa_exception_fp_denorm_src 0
		.amdhsa_exception_fp_ieee_div_zero 0
		.amdhsa_exception_fp_ieee_overflow 0
		.amdhsa_exception_fp_ieee_underflow 0
		.amdhsa_exception_fp_ieee_inexact 0
		.amdhsa_exception_int_div_zero 0
	.end_amdhsa_kernel
	.section	.text._Z38paged_attention_ll4mi_QKV_mfma4_kernelIDF16_DF16_LN4vllm18Fp8KVCacheDataTypeE0EDF16_Li32ELi128ELi256ELb0ELi3EEvPKT_PKT0_S7_ifPKiS9_S9_iPKfiiiPfSC_PS2_PT2_iSB_SB_,"axG",@progbits,_Z38paged_attention_ll4mi_QKV_mfma4_kernelIDF16_DF16_LN4vllm18Fp8KVCacheDataTypeE0EDF16_Li32ELi128ELi256ELb0ELi3EEvPKT_PKT0_S7_ifPKiS9_S9_iPKfiiiPfSC_PS2_PT2_iSB_SB_,comdat
.Lfunc_end368:
	.size	_Z38paged_attention_ll4mi_QKV_mfma4_kernelIDF16_DF16_LN4vllm18Fp8KVCacheDataTypeE0EDF16_Li32ELi128ELi256ELb0ELi3EEvPKT_PKT0_S7_ifPKiS9_S9_iPKfiiiPfSC_PS2_PT2_iSB_SB_, .Lfunc_end368-_Z38paged_attention_ll4mi_QKV_mfma4_kernelIDF16_DF16_LN4vllm18Fp8KVCacheDataTypeE0EDF16_Li32ELi128ELi256ELb0ELi3EEvPKT_PKT0_S7_ifPKiS9_S9_iPKfiiiPfSC_PS2_PT2_iSB_SB_
                                        ; -- End function
	.section	.AMDGPU.csdata,"",@progbits
; Kernel info:
; codeLenInByte = 72
; NumSgprs: 36
; NumVgprs: 41
; ScratchSize: 64
; MemoryBound: 0
; FloatMode: 240
; IeeeMode: 1
; LDSByteSize: 0 bytes/workgroup (compile time only)
; SGPRBlocks: 4
; VGPRBlocks: 5
; NumSGPRsForWavesPerEU: 36
; NumVGPRsForWavesPerEU: 41
; Occupancy: 16
; WaveLimiterHint : 1
; COMPUTE_PGM_RSRC2:SCRATCH_EN: 1
; COMPUTE_PGM_RSRC2:USER_SGPR: 15
; COMPUTE_PGM_RSRC2:TRAP_HANDLER: 0
; COMPUTE_PGM_RSRC2:TGID_X_EN: 1
; COMPUTE_PGM_RSRC2:TGID_Y_EN: 0
; COMPUTE_PGM_RSRC2:TGID_Z_EN: 0
; COMPUTE_PGM_RSRC2:TIDIG_COMP_CNT: 0
	.section	.text._Z38paged_attention_ll4mi_QKV_mfma4_kernelIDF16_DF16_LN4vllm18Fp8KVCacheDataTypeE0EDF16_Li32ELi128ELi256ELb0ELi4EEvPKT_PKT0_S7_ifPKiS9_S9_iPKfiiiPfSC_PS2_PT2_iSB_SB_,"axG",@progbits,_Z38paged_attention_ll4mi_QKV_mfma4_kernelIDF16_DF16_LN4vllm18Fp8KVCacheDataTypeE0EDF16_Li32ELi128ELi256ELb0ELi4EEvPKT_PKT0_S7_ifPKiS9_S9_iPKfiiiPfSC_PS2_PT2_iSB_SB_,comdat
	.protected	_Z38paged_attention_ll4mi_QKV_mfma4_kernelIDF16_DF16_LN4vllm18Fp8KVCacheDataTypeE0EDF16_Li32ELi128ELi256ELb0ELi4EEvPKT_PKT0_S7_ifPKiS9_S9_iPKfiiiPfSC_PS2_PT2_iSB_SB_ ; -- Begin function _Z38paged_attention_ll4mi_QKV_mfma4_kernelIDF16_DF16_LN4vllm18Fp8KVCacheDataTypeE0EDF16_Li32ELi128ELi256ELb0ELi4EEvPKT_PKT0_S7_ifPKiS9_S9_iPKfiiiPfSC_PS2_PT2_iSB_SB_
	.globl	_Z38paged_attention_ll4mi_QKV_mfma4_kernelIDF16_DF16_LN4vllm18Fp8KVCacheDataTypeE0EDF16_Li32ELi128ELi256ELb0ELi4EEvPKT_PKT0_S7_ifPKiS9_S9_iPKfiiiPfSC_PS2_PT2_iSB_SB_
	.p2align	8
	.type	_Z38paged_attention_ll4mi_QKV_mfma4_kernelIDF16_DF16_LN4vllm18Fp8KVCacheDataTypeE0EDF16_Li32ELi128ELi256ELb0ELi4EEvPKT_PKT0_S7_ifPKiS9_S9_iPKfiiiPfSC_PS2_PT2_iSB_SB_,@function
_Z38paged_attention_ll4mi_QKV_mfma4_kernelIDF16_DF16_LN4vllm18Fp8KVCacheDataTypeE0EDF16_Li32ELi128ELi256ELb0ELi4EEvPKT_PKT0_S7_ifPKiS9_S9_iPKfiiiPfSC_PS2_PT2_iSB_SB_: ; @_Z38paged_attention_ll4mi_QKV_mfma4_kernelIDF16_DF16_LN4vllm18Fp8KVCacheDataTypeE0EDF16_Li32ELi128ELi256ELb0ELi4EEvPKT_PKT0_S7_ifPKiS9_S9_iPKfiiiPfSC_PS2_PT2_iSB_SB_
; %bb.0:
	s_add_u32 s8, s0, 0x90
	s_addc_u32 s9, s1, 0
	s_getpc_b64 s[0:1]
	s_add_u32 s0, s0, __PRETTY_FUNCTION__._Z38paged_attention_ll4mi_QKV_mfma4_kernelIDF16_DF16_LN4vllm18Fp8KVCacheDataTypeE0EDF16_Li32ELi128ELi256ELb0ELi4EEvPKT_PKT0_S7_ifPKiS9_S9_iPKfiiiPfSC_PS2_PT2_iSB_SB_@rel32@lo+4
	s_addc_u32 s1, s1, __PRETTY_FUNCTION__._Z38paged_attention_ll4mi_QKV_mfma4_kernelIDF16_DF16_LN4vllm18Fp8KVCacheDataTypeE0EDF16_Li32ELi128ELi256ELb0ELi4EEvPKT_PKT0_S7_ifPKiS9_S9_iPKfiiiPfSC_PS2_PT2_iSB_SB_@rel32@hi+12
	s_delay_alu instid0(SALU_CYCLE_1) | instskip(SKIP_4) | instid1(SALU_CYCLE_1)
	v_dual_mov_b32 v0, s0 :: v_dual_mov_b32 v1, s1
	s_mov_b32 s32, 0
	s_getpc_b64 s[2:3]
	s_add_u32 s2, s2, __assert_fail@rel32@lo+4
	s_addc_u32 s3, s3, __assert_fail@rel32@hi+12
	s_swappc_b64 s[30:31], s[2:3]
	.section	.rodata,"a",@progbits
	.p2align	6, 0x0
	.amdhsa_kernel _Z38paged_attention_ll4mi_QKV_mfma4_kernelIDF16_DF16_LN4vllm18Fp8KVCacheDataTypeE0EDF16_Li32ELi128ELi256ELb0ELi4EEvPKT_PKT0_S7_ifPKiS9_S9_iPKfiiiPfSC_PS2_PT2_iSB_SB_
		.amdhsa_group_segment_fixed_size 0
		.amdhsa_private_segment_fixed_size 64
		.amdhsa_kernarg_size 400
		.amdhsa_user_sgpr_count 15
		.amdhsa_user_sgpr_dispatch_ptr 0
		.amdhsa_user_sgpr_queue_ptr 0
		.amdhsa_user_sgpr_kernarg_segment_ptr 1
		.amdhsa_user_sgpr_dispatch_id 0
		.amdhsa_user_sgpr_private_segment_size 0
		.amdhsa_wavefront_size32 1
		.amdhsa_uses_dynamic_stack 0
		.amdhsa_enable_private_segment 1
		.amdhsa_system_sgpr_workgroup_id_x 1
		.amdhsa_system_sgpr_workgroup_id_y 0
		.amdhsa_system_sgpr_workgroup_id_z 0
		.amdhsa_system_sgpr_workgroup_info 0
		.amdhsa_system_vgpr_workitem_id 0
		.amdhsa_next_free_vgpr 41
		.amdhsa_next_free_sgpr 34
		.amdhsa_reserve_vcc 1
		.amdhsa_float_round_mode_32 0
		.amdhsa_float_round_mode_16_64 0
		.amdhsa_float_denorm_mode_32 3
		.amdhsa_float_denorm_mode_16_64 3
		.amdhsa_dx10_clamp 1
		.amdhsa_ieee_mode 1
		.amdhsa_fp16_overflow 0
		.amdhsa_workgroup_processor_mode 1
		.amdhsa_memory_ordered 1
		.amdhsa_forward_progress 0
		.amdhsa_shared_vgpr_count 0
		.amdhsa_exception_fp_ieee_invalid_op 0
		.amdhsa_exception_fp_denorm_src 0
		.amdhsa_exception_fp_ieee_div_zero 0
		.amdhsa_exception_fp_ieee_overflow 0
		.amdhsa_exception_fp_ieee_underflow 0
		.amdhsa_exception_fp_ieee_inexact 0
		.amdhsa_exception_int_div_zero 0
	.end_amdhsa_kernel
	.section	.text._Z38paged_attention_ll4mi_QKV_mfma4_kernelIDF16_DF16_LN4vllm18Fp8KVCacheDataTypeE0EDF16_Li32ELi128ELi256ELb0ELi4EEvPKT_PKT0_S7_ifPKiS9_S9_iPKfiiiPfSC_PS2_PT2_iSB_SB_,"axG",@progbits,_Z38paged_attention_ll4mi_QKV_mfma4_kernelIDF16_DF16_LN4vllm18Fp8KVCacheDataTypeE0EDF16_Li32ELi128ELi256ELb0ELi4EEvPKT_PKT0_S7_ifPKiS9_S9_iPKfiiiPfSC_PS2_PT2_iSB_SB_,comdat
.Lfunc_end369:
	.size	_Z38paged_attention_ll4mi_QKV_mfma4_kernelIDF16_DF16_LN4vllm18Fp8KVCacheDataTypeE0EDF16_Li32ELi128ELi256ELb0ELi4EEvPKT_PKT0_S7_ifPKiS9_S9_iPKfiiiPfSC_PS2_PT2_iSB_SB_, .Lfunc_end369-_Z38paged_attention_ll4mi_QKV_mfma4_kernelIDF16_DF16_LN4vllm18Fp8KVCacheDataTypeE0EDF16_Li32ELi128ELi256ELb0ELi4EEvPKT_PKT0_S7_ifPKiS9_S9_iPKfiiiPfSC_PS2_PT2_iSB_SB_
                                        ; -- End function
	.section	.AMDGPU.csdata,"",@progbits
; Kernel info:
; codeLenInByte = 72
; NumSgprs: 36
; NumVgprs: 41
; ScratchSize: 64
; MemoryBound: 0
; FloatMode: 240
; IeeeMode: 1
; LDSByteSize: 0 bytes/workgroup (compile time only)
; SGPRBlocks: 4
; VGPRBlocks: 5
; NumSGPRsForWavesPerEU: 36
; NumVGPRsForWavesPerEU: 41
; Occupancy: 16
; WaveLimiterHint : 1
; COMPUTE_PGM_RSRC2:SCRATCH_EN: 1
; COMPUTE_PGM_RSRC2:USER_SGPR: 15
; COMPUTE_PGM_RSRC2:TRAP_HANDLER: 0
; COMPUTE_PGM_RSRC2:TGID_X_EN: 1
; COMPUTE_PGM_RSRC2:TGID_Y_EN: 0
; COMPUTE_PGM_RSRC2:TGID_Z_EN: 0
; COMPUTE_PGM_RSRC2:TIDIG_COMP_CNT: 0
	.section	.text._Z39paged_attention_ll4mi_QKV_mfma16_kernelIDF16_DF16_LN4vllm18Fp8KVCacheDataTypeE0EDF16_Li32ELi128ELi256ELb0ELi5EL8MFMAType0EEvPKT_PKT0_S8_ifPKiSA_SA_iPKfiiiPfSD_PS3_PT2_iSC_SC_,"axG",@progbits,_Z39paged_attention_ll4mi_QKV_mfma16_kernelIDF16_DF16_LN4vllm18Fp8KVCacheDataTypeE0EDF16_Li32ELi128ELi256ELb0ELi5EL8MFMAType0EEvPKT_PKT0_S8_ifPKiSA_SA_iPKfiiiPfSD_PS3_PT2_iSC_SC_,comdat
	.protected	_Z39paged_attention_ll4mi_QKV_mfma16_kernelIDF16_DF16_LN4vllm18Fp8KVCacheDataTypeE0EDF16_Li32ELi128ELi256ELb0ELi5EL8MFMAType0EEvPKT_PKT0_S8_ifPKiSA_SA_iPKfiiiPfSD_PS3_PT2_iSC_SC_ ; -- Begin function _Z39paged_attention_ll4mi_QKV_mfma16_kernelIDF16_DF16_LN4vllm18Fp8KVCacheDataTypeE0EDF16_Li32ELi128ELi256ELb0ELi5EL8MFMAType0EEvPKT_PKT0_S8_ifPKiSA_SA_iPKfiiiPfSD_PS3_PT2_iSC_SC_
	.globl	_Z39paged_attention_ll4mi_QKV_mfma16_kernelIDF16_DF16_LN4vllm18Fp8KVCacheDataTypeE0EDF16_Li32ELi128ELi256ELb0ELi5EL8MFMAType0EEvPKT_PKT0_S8_ifPKiSA_SA_iPKfiiiPfSD_PS3_PT2_iSC_SC_
	.p2align	8
	.type	_Z39paged_attention_ll4mi_QKV_mfma16_kernelIDF16_DF16_LN4vllm18Fp8KVCacheDataTypeE0EDF16_Li32ELi128ELi256ELb0ELi5EL8MFMAType0EEvPKT_PKT0_S8_ifPKiSA_SA_iPKfiiiPfSD_PS3_PT2_iSC_SC_,@function
_Z39paged_attention_ll4mi_QKV_mfma16_kernelIDF16_DF16_LN4vllm18Fp8KVCacheDataTypeE0EDF16_Li32ELi128ELi256ELb0ELi5EL8MFMAType0EEvPKT_PKT0_S8_ifPKiSA_SA_iPKfiiiPfSD_PS3_PT2_iSC_SC_: ; @_Z39paged_attention_ll4mi_QKV_mfma16_kernelIDF16_DF16_LN4vllm18Fp8KVCacheDataTypeE0EDF16_Li32ELi128ELi256ELb0ELi5EL8MFMAType0EEvPKT_PKT0_S8_ifPKiSA_SA_iPKfiiiPfSD_PS3_PT2_iSC_SC_
; %bb.0:
	s_load_b64 s[2:3], s[0:1], 0x30
	s_mov_b32 s34, s13
	s_waitcnt lgkmcnt(0)
	s_cmp_lg_u64 s[2:3], 0
	s_cselect_b32 s6, -1, 0
	s_ashr_i32 s35, s13, 31
	s_cmp_eq_u64 s[2:3], 0
	s_cbranch_scc1 .LBB370_3
; %bb.1:
	s_lshl_b64 s[4:5], s[34:35], 2
	s_delay_alu instid0(SALU_CYCLE_1) | instskip(SKIP_4) | instid1(SALU_CYCLE_1)
	s_add_u32 s4, s2, s4
	s_addc_u32 s5, s3, s5
	s_load_b64 s[4:5], s[4:5], 0x0
	s_waitcnt lgkmcnt(0)
	s_sub_i32 s4, s5, s4
	s_cmp_eq_u32 s4, 1
	s_cselect_b32 s4, -1, 0
	s_delay_alu instid0(SALU_CYCLE_1)
	s_and_not1_b32 vcc_lo, exec_lo, s4
	s_cbranch_vccz .LBB370_4
.LBB370_2:
	s_nop 0
	s_sendmsg sendmsg(MSG_DEALLOC_VGPRS)
	s_endpgm
.LBB370_3:
.LBB370_4:
	s_load_b64 s[8:9], s[0:1], 0x28
	s_lshl_b64 s[4:5], s[34:35], 2
	s_waitcnt lgkmcnt(0)
	s_add_u32 s8, s8, s4
	s_addc_u32 s9, s9, s5
	s_lshl_b32 s12, s14, 8
	s_load_b32 s17, s[8:9], 0x0
	s_waitcnt lgkmcnt(0)
	s_cmp_ge_i32 s12, s17
	s_cbranch_scc1 .LBB370_2
; %bb.5:
	s_and_not1_b32 vcc_lo, exec_lo, s6
	s_cbranch_vccnz .LBB370_7
; %bb.6:
	s_add_u32 s2, s2, s4
	s_addc_u32 s3, s3, s5
	s_load_b32 s13, s[2:3], 0x0
	s_branch .LBB370_8
.LBB370_7:
	s_mov_b32 s13, s34
.LBB370_8:
	s_clause 0x2
	s_load_b128 s[8:11], s[0:1], 0x8
	s_load_b64 s[2:3], s[0:1], 0x20
	s_load_b128 s[4:7], s[0:1], 0x48
	v_lshrrev_b32_e32 v78, 5, v0
	v_bfe_u32 v75, v0, 4, 1
	v_and_b32_e32 v77, 15, v0
	s_waitcnt lgkmcnt(0)
	s_mov_b32 s7, exec_lo
	s_delay_alu instid0(VALU_DEP_2) | instskip(NEXT) | instid1(VALU_DEP_2)
	v_lshl_or_b32 v3, v78, 1, v75
	v_lshlrev_b32_e32 v1, 3, v77
	s_delay_alu instid0(VALU_DEP_2)
	v_cmpx_lt_u32_e32 4, v3
	s_xor_b32 s7, exec_lo, s7
; %bb.9:
	v_mov_b32_e32 v2, 0
                                        ; implicit-def: $vgpr3
; %bb.10:
	s_or_saveexec_b32 s7, s7
	v_and_b32_e32 v80, 31, v0
	v_and_b32_e32 v76, 1, v0
	s_mul_i32 s31, s15, 5
	s_xor_b32 exec_lo, exec_lo, s7
	s_cbranch_execz .LBB370_12
; %bb.11:
	s_load_b64 s[18:19], s[0:1], 0x0
	v_add_lshl_u32 v4, v3, s31, 7
	s_mul_hi_i32 s21, s13, s4
	s_mul_i32 s20, s13, s4
	v_lshlrev_b32_e32 v2, 1, v1
	s_lshl_b64 s[20:21], s[20:21], 1
	v_ashrrev_i32_e32 v5, 31, v4
	v_lshlrev_b32_e32 v3, 6, v3
	v_lshlrev_b32_e32 v8, 10, v76
	s_delay_alu instid0(VALU_DEP_3) | instskip(SKIP_3) | instid1(VALU_DEP_1)
	v_lshlrev_b64 v[4:5], 1, v[4:5]
	s_waitcnt lgkmcnt(0)
	s_add_u32 s4, s18, s20
	s_addc_u32 s13, s19, s21
	v_add_co_u32 v4, vcc_lo, s4, v4
	s_delay_alu instid0(VALU_DEP_2) | instskip(NEXT) | instid1(VALU_DEP_2)
	v_add_co_ci_u32_e32 v5, vcc_lo, s13, v5, vcc_lo
	v_add_co_u32 v4, vcc_lo, v4, v2
	s_delay_alu instid0(VALU_DEP_2) | instskip(SKIP_3) | instid1(VALU_DEP_1)
	v_add_co_ci_u32_e32 v5, vcc_lo, 0, v5, vcc_lo
	v_lshlrev_b32_e32 v2, 10, v77
	global_load_b128 v[4:7], v[4:5], off
	v_and_b32_e32 v2, 0x3800, v2
	v_or3_b32 v3, v2, v8, v3
	v_mov_b32_e32 v2, 0
	s_waitcnt vmcnt(0)
	ds_store_b128 v3, v[4:7]
.LBB370_12:
	s_or_b32 exec_lo, exec_lo, s7
	v_and_b32_e32 v3, 0xef, v0
	s_add_i32 s4, s17, 31
	s_clause 0x1
	s_load_b32 s7, s[0:1], 0x38
	s_load_b32 s33, s[0:1], 0x98
	s_ashr_i32 s13, s4, 31
	v_add_nc_u32_e32 v3, s12, v3
	s_lshr_b32 s13, s13, 27
	s_load_b32 s18, s[0:1], 0x1c
	s_add_i32 s4, s4, s13
	s_waitcnt lgkmcnt(0)
	v_ashrrev_i32_e32 v4, 31, v3
	v_cmp_gt_i32_e32 vcc_lo, s17, v3
	s_ashr_i32 s4, s4, 5
	s_barrier
	s_add_i32 s4, s4, -1
	v_lshrrev_b32_e32 v5, 27, v4
	v_or_b32_e32 v4, 16, v3
	buffer_gl0_inv
	v_lshlrev_b64 v[73:74], 1, v[1:2]
	v_lshlrev_b32_e32 v79, 6, v77
	v_add_nc_u32_e32 v6, v3, v5
	v_add_nc_u32_e32 v5, v4, v5
	s_mul_i32 s20, s34, s7
	s_delay_alu instid0(SALU_CYCLE_1) | instskip(NEXT) | instid1(VALU_DEP_2)
	s_ashr_i32 s21, s20, 31
	v_ashrrev_i32_e32 v6, 5, v6
	s_delay_alu instid0(VALU_DEP_2) | instskip(SKIP_1) | instid1(SALU_CYCLE_1)
	v_ashrrev_i32_e32 v5, 5, v5
	s_lshl_b64 s[20:21], s[20:21], 2
	s_add_u32 s13, s2, s20
	s_delay_alu instid0(VALU_DEP_2) | instskip(SKIP_3) | instid1(SALU_CYCLE_1)
	v_cndmask_b32_e32 v3, s4, v6, vcc_lo
	v_cmp_gt_i32_e32 vcc_lo, s17, v4
	s_addc_u32 s16, s3, s21
	s_mul_i32 s2, s15, s6
	s_ashr_i32 s3, s2, 31
	v_cndmask_b32_e32 v5, s4, v5, vcc_lo
	v_ashrrev_i32_e32 v4, 31, v3
	s_lshl_b64 s[2:3], s[2:3], 1
	s_delay_alu instid0(SALU_CYCLE_1) | instskip(NEXT) | instid1(VALU_DEP_2)
	s_add_u32 s15, s8, s2
	v_ashrrev_i32_e32 v6, 31, v5
	s_delay_alu instid0(VALU_DEP_2) | instskip(SKIP_2) | instid1(VALU_DEP_2)
	v_lshlrev_b64 v[3:4], 2, v[3:4]
	s_addc_u32 s19, s9, s3
	s_lshl_b32 s6, s14, 3
	v_lshlrev_b64 v[5:6], 2, v[5:6]
	s_ashr_i32 s7, s6, 31
	s_delay_alu instid0(VALU_DEP_2) | instskip(SKIP_1) | instid1(VALU_DEP_3)
	v_add_co_u32 v3, vcc_lo, s13, v3
	v_add_co_ci_u32_e32 v4, vcc_lo, s16, v4, vcc_lo
	v_add_co_u32 v5, vcc_lo, s13, v5
	s_delay_alu instid0(VALU_DEP_4)
	v_add_co_ci_u32_e32 v6, vcc_lo, s16, v6, vcc_lo
	s_lshl_b64 s[6:7], s[6:7], 2
	s_clause 0x1
	global_load_b32 v7, v[3:4], off
	global_load_b32 v8, v[5:6], off
	s_add_u32 s6, s13, s6
	s_addc_u32 s7, s16, s7
	s_or_b32 s8, s12, 32
	s_delay_alu instid0(SALU_CYCLE_1) | instskip(SKIP_2) | instid1(SALU_CYCLE_1)
	s_ashr_i32 s9, s8, 5
	s_cmp_lt_i32 s8, s17
	s_cselect_b32 s8, s9, s4
	s_ashr_i32 s9, s8, 31
	s_delay_alu instid0(SALU_CYCLE_1) | instskip(NEXT) | instid1(SALU_CYCLE_1)
	s_lshl_b64 s[8:9], s[8:9], 2
	s_add_u32 s8, s13, s8
	s_addc_u32 s9, s16, s9
	s_or_b32 s20, s12, 64
	s_delay_alu instid0(SALU_CYCLE_1) | instskip(SKIP_2) | instid1(SALU_CYCLE_1)
	s_ashr_i32 s21, s20, 5
	s_cmp_lt_i32 s20, s17
	s_cselect_b32 s20, s21, s4
	s_ashr_i32 s21, s20, 31
	s_delay_alu instid0(SALU_CYCLE_1) | instskip(NEXT) | instid1(SALU_CYCLE_1)
	s_lshl_b64 s[20:21], s[20:21], 2
	;; [unrolled: 10-line block ×5, first 2 shown]
	s_add_u32 s26, s13, s26
	s_addc_u32 s27, s16, s27
	s_clause 0x5
	s_load_b32 s28, s[6:7], 0x0
	s_load_b32 s29, s[8:9], 0x0
	;; [unrolled: 1-line block ×6, first 2 shown]
	s_mov_b32 s20, 0
	s_or_b32 s6, s12, 0xc0
	s_mov_b32 s21, s20
	s_mov_b32 s22, s20
	;; [unrolled: 1-line block ×7, first 2 shown]
	s_ashr_i32 s7, s6, 5
	v_mov_b32_e32 v128, s27
	s_cmp_lt_i32 s6, s17
	v_mov_b32_e32 v127, s26
	s_cselect_b32 s6, s7, s4
	v_mov_b32_e32 v126, s25
	s_ashr_i32 s7, s6, 31
	v_mov_b32_e32 v125, s24
	s_lshl_b64 s[6:7], s[6:7], 2
	v_mov_b32_e32 v124, s23
	s_add_u32 s6, s13, s6
	s_addc_u32 s7, s16, s7
	v_mov_b32_e32 v123, s22
	v_mov_b32_e32 v121, s20
	s_waitcnt lgkmcnt(0)
	s_mul_hi_i32 s9, s28, s5
	s_mul_i32 s8, s28, s5
	s_mul_hi_i32 s37, s38, s5
	v_mov_b32_e32 v122, s21
	s_mul_hi_i32 s21, s29, s5
	s_mul_i32 s20, s29, s5
	s_mul_hi_i32 s25, s30, s5
	s_mul_i32 s24, s30, s5
	;; [unrolled: 2-line block ×3, first 2 shown]
	s_waitcnt vmcnt(1)
	v_mad_i64_i32 v[3:4], null, v7, s5, 0
	s_waitcnt vmcnt(0)
	v_mad_i64_i32 v[5:6], null, v8, s5, 0
	s_delay_alu instid0(VALU_DEP_2) | instskip(NEXT) | instid1(VALU_DEP_2)
	v_lshlrev_b64 v[3:4], 1, v[3:4]
	v_lshlrev_b64 v[1:2], 1, v[5:6]
	s_delay_alu instid0(VALU_DEP_2) | instskip(NEXT) | instid1(VALU_DEP_3)
	v_add_co_u32 v3, vcc_lo, s15, v3
	v_add_co_ci_u32_e32 v4, vcc_lo, s19, v4, vcc_lo
	s_delay_alu instid0(VALU_DEP_3) | instskip(NEXT) | instid1(VALU_DEP_4)
	v_add_co_u32 v1, vcc_lo, s15, v1
	v_add_co_ci_u32_e32 v2, vcc_lo, s19, v2, vcc_lo
	s_delay_alu instid0(VALU_DEP_4) | instskip(NEXT) | instid1(VALU_DEP_4)
	v_add_co_u32 v65, vcc_lo, v3, v73
	v_add_co_ci_u32_e32 v66, vcc_lo, v4, v74, vcc_lo
	s_delay_alu instid0(VALU_DEP_4) | instskip(NEXT) | instid1(VALU_DEP_4)
	v_add_co_u32 v67, vcc_lo, v1, v73
	v_add_co_ci_u32_e32 v68, vcc_lo, v2, v74, vcc_lo
	s_clause 0xf
	global_load_b128 v[1:4], v[65:66], off
	global_load_b128 v[5:8], v[65:66], off offset:512
	global_load_b128 v[9:12], v[67:68], off offset:256
	;; [unrolled: 1-line block ×15, first 2 shown]
	v_add_co_u32 v157, vcc_lo, 0x1000, v65
	v_add_co_ci_u32_e32 v158, vcc_lo, 0, v66, vcc_lo
	v_add_co_u32 v165, vcc_lo, 0x1000, v67
	v_add_co_ci_u32_e32 v166, vcc_lo, 0, v68, vcc_lo
	s_clause 0x7
	global_load_b128 v[81:84], v[157:158], off
	global_load_b128 v[85:88], v[157:158], off offset:512
	global_load_b128 v[89:92], v[165:166], off offset:256
	;; [unrolled: 1-line block ×7, first 2 shown]
	v_mul_lo_u16 v65, v77, 52
	s_or_b32 s15, s12, 0xe0
	s_delay_alu instid0(SALU_CYCLE_1) | instskip(SKIP_1) | instid1(VALU_DEP_1)
	s_ashr_i32 s19, s15, 5
	s_cmp_lt_i32 s15, s17
	v_lshrrev_b16 v65, 8, v65
	s_cselect_b32 s22, s19, s4
	s_delay_alu instid0(SALU_CYCLE_1) | instskip(NEXT) | instid1(VALU_DEP_1)
	s_ashr_i32 s23, s22, 31
	v_mul_lo_u16 v65, v65, 5
	s_lshl_b64 s[22:23], s[22:23], 2
	s_delay_alu instid0(SALU_CYCLE_1) | instskip(SKIP_1) | instid1(VALU_DEP_1)
	s_add_u32 s22, s13, s22
	s_addc_u32 s23, s16, s23
	v_sub_nc_u16 v65, v77, v65
	s_add_i32 s15, s12, 0x100
	s_delay_alu instid0(SALU_CYCLE_1) | instskip(SKIP_1) | instid1(VALU_DEP_1)
	s_ashr_i32 s19, s15, 5
	s_cmp_lt_i32 s15, s17
	v_and_b32_e32 v65, 0xff, v65
	s_cselect_b32 s28, s19, s4
	s_delay_alu instid0(SALU_CYCLE_1) | instskip(NEXT) | instid1(VALU_DEP_1)
	s_ashr_i32 s29, s28, 31
	v_lshlrev_b32_e32 v169, 6, v65
	ds_load_b128 v[65:68], v169
	ds_load_b128 v[69:72], v169 offset:1024
	s_clause 0x1
	global_load_b128 v[113:116], v[157:158], off offset:2048
	global_load_b128 v[117:120], v[157:158], off offset:2560
	ds_load_b128 v[129:132], v169 offset:2048
	ds_load_b128 v[133:136], v169 offset:3072
	s_clause 0x5
	global_load_b128 v[145:148], v[165:166], off offset:2304
	global_load_b128 v[149:152], v[165:166], off offset:2816
	;; [unrolled: 1-line block ×6, first 2 shown]
	s_lshl_b64 s[28:29], s[28:29], 2
	s_delay_alu instid0(SALU_CYCLE_1)
	s_add_u32 s28, s13, s28
	s_addc_u32 s29, s16, s29
	s_add_u32 s4, s10, s2
	s_addc_u32 s19, s11, s3
	s_lshl_b64 s[2:3], s[8:9], 1
	s_lshl_b64 s[8:9], s[20:21], 1
	;; [unrolled: 1-line block ×4, first 2 shown]
	s_waitcnt vmcnt(30) lgkmcnt(2)
	v_wmma_f32_16x16x16_f16 v[137:144], v[1:8], v[65:72], v[121:128]
	ds_load_b128 v[1:4], v169 offset:4096
	ds_load_b128 v[5:8], v169 offset:5120
	s_waitcnt vmcnt(28)
	v_wmma_f32_16x16x16_f16 v[121:128], v[9:16], v[65:72], v[121:128]
	ds_load_b128 v[9:12], v169 offset:6144
	ds_load_b128 v[13:16], v169 offset:7168
	s_waitcnt vmcnt(26) lgkmcnt(4)
	v_wmma_f32_16x16x16_f16 v[137:144], v[17:24], v[129:136], v[137:144]
	ds_load_b128 v[17:20], v169 offset:8192
	ds_load_b128 v[21:24], v169 offset:9216
	s_waitcnt vmcnt(24)
	v_wmma_f32_16x16x16_f16 v[121:128], v[25:32], v[129:136], v[121:128]
	v_lshl_or_b32 v25, v78, 10, v79
	ds_load_b128 v[129:132], v169 offset:10240
	ds_load_b128 v[133:136], v169 offset:11264
	s_clause 0x2
	s_load_b32 s15, s[6:7], 0x0
	s_load_b32 s13, s[22:23], 0x0
	;; [unrolled: 1-line block ×3, first 2 shown]
	s_mul_hi_i32 s7, s36, s5
	v_add_co_u32 v170, s4, s4, v25
	s_delay_alu instid0(VALU_DEP_1)
	v_add_co_ci_u32_e64 v171, null, s19, 0, s4
	s_mul_i32 s6, s36, s5
	s_mul_i32 s36, s38, s5
	s_lshl_b64 s[6:7], s[6:7], 1
	s_lshl_b64 s[22:23], s[36:37], 1
	s_waitcnt vmcnt(22) lgkmcnt(0)
	v_wmma_f32_16x16x16_f16 v[137:144], v[33:40], v[1:8], v[137:144]
	s_waitcnt vmcnt(20)
	v_wmma_f32_16x16x16_f16 v[121:128], v[41:48], v[1:8], v[121:128]
	v_add_co_u32 v1, vcc_lo, v170, s2
	v_add_co_ci_u32_e32 v2, vcc_lo, s3, v171, vcc_lo
	v_add_co_u32 v3, vcc_lo, v170, s8
	v_add_co_ci_u32_e32 v4, vcc_lo, s9, v171, vcc_lo
	;; [unrolled: 2-line block ×4, first 2 shown]
	v_add_co_u32 v25, vcc_lo, v170, s6
	s_mul_hi_i32 s25, s15, s5
	s_mul_i32 s24, s15, s5
	v_add_co_ci_u32_e32 v26, vcc_lo, s7, v171, vcc_lo
	v_add_co_u32 v27, vcc_lo, v170, s22
	s_lshl_b64 s[24:25], s[24:25], 1
	s_waitcnt vmcnt(18)
	v_wmma_f32_16x16x16_f16 v[137:144], v[49:56], v[9:16], v[137:144]
	s_waitcnt vmcnt(16)
	v_wmma_f32_16x16x16_f16 v[121:128], v[57:64], v[9:16], v[121:128]
	v_add_co_ci_u32_e32 v28, vcc_lo, s23, v171, vcc_lo
	s_mul_hi_i32 s3, s13, s5
	s_mul_i32 s2, s13, s5
	v_add_co_u32 v29, vcc_lo, v170, s24
	s_lshl_b64 s[2:3], s[2:3], 1
	v_add_co_ci_u32_e32 v30, vcc_lo, s25, v171, vcc_lo
	s_waitcnt vmcnt(14)
	v_wmma_f32_16x16x16_f16 v[137:144], v[81:88], v[17:24], v[137:144]
	s_waitcnt vmcnt(12)
	v_wmma_f32_16x16x16_f16 v[121:128], v[89:96], v[17:24], v[121:128]
	v_add_co_u32 v17, vcc_lo, v170, s2
	v_add_co_ci_u32_e32 v18, vcc_lo, s3, v171, vcc_lo
	s_mul_hi_i32 s3, s16, s5
	s_mul_i32 s2, s16, s5
	s_clause 0x5
	global_load_b128 v[65:68], v[1:2], off
	global_load_b128 v[69:72], v[1:2], off offset:16
	global_load_b128 v[57:60], v[3:4], off
	global_load_b128 v[61:64], v[3:4], off offset:16
	;; [unrolled: 2-line block ×3, first 2 shown]
	s_lshl_b64 s[2:3], s[2:3], 1
	s_clause 0x1
	global_load_b128 v[41:44], v[7:8], off
	global_load_b128 v[45:48], v[7:8], off offset:16
	v_add_co_u32 v21, vcc_lo, v170, s2
	v_add_co_ci_u32_e32 v22, vcc_lo, s3, v171, vcc_lo
	s_clause 0x9
	global_load_b128 v[9:12], v[25:26], off
	global_load_b128 v[13:16], v[25:26], off offset:16
	global_load_b128 v[1:4], v[27:28], off
	global_load_b128 v[5:8], v[27:28], off offset:16
	;; [unrolled: 2-line block ×5, first 2 shown]
	ds_load_b128 v[81:84], v169 offset:12288
	ds_load_b128 v[85:88], v169 offset:13312
	v_and_b32_e32 v89, 0xe0, v0
	s_waitcnt vmcnt(28)
	v_wmma_f32_16x16x16_f16 v[137:144], v[97:104], v[129:136], v[137:144]
	v_mbcnt_lo_u32_b32 v97, -1, 0
	s_waitcnt vmcnt(26)
	v_wmma_f32_16x16x16_f16 v[121:128], v[105:112], v[129:136], v[121:128]
	v_add_nc_u32_e32 v98, s12, v89
	ds_load_b128 v[89:92], v169 offset:14336
	ds_load_b128 v[93:96], v169 offset:15360
	v_xor_b32_e32 v99, 16, v97
	s_waitcnt vmcnt(0) lgkmcnt(0)
	s_barrier
	v_or_b32_e32 v98, v98, v75
	buffer_gl0_inv
	v_cmp_gt_i32_e32 vcc_lo, 32, v99
	v_or_b32_e32 v100, 4, v98
	v_or_b32_e32 v101, 22, v98
	;; [unrolled: 1-line block ×4, first 2 shown]
	v_wmma_f32_16x16x16_f16 v[137:144], v[113:120], v[81:88], v[137:144]
	v_wmma_f32_16x16x16_f16 v[121:128], v[145:152], v[81:88], v[121:128]
	v_or_b32_e32 v81, 6, v98
	v_or_b32_e32 v82, 8, v98
	v_or_b32_e32 v83, 10, v98
	v_cmp_gt_i32_e64 s3, s17, v100
	v_or_b32_e32 v84, 12, v98
	v_wmma_f32_16x16x16_f16 v[137:144], v[153:160], v[89:96], v[137:144]
	v_wmma_f32_16x16x16_f16 v[121:128], v[161:168], v[89:96], v[121:128]
	v_cndmask_b32_e32 v97, v97, v99, vcc_lo
	v_or_b32_e32 v99, 2, v98
	v_cmp_gt_i32_e32 vcc_lo, s17, v98
	v_dual_mul_f32 v95, s18, v138 :: v_dual_mul_f32 v96, s18, v137
	v_mul_f32_e32 v93, s18, v140
	s_delay_alu instid0(VALU_DEP_4)
	v_cmp_gt_i32_e64 s2, s17, v99
	v_mul_f32_e32 v94, s18, v139
	v_mul_f32_e32 v108, s18, v126
	v_cndmask_b32_e32 v96, 0xff7fffff, v96, vcc_lo
	v_cmp_gt_i32_e64 s4, s17, v81
	v_cndmask_b32_e64 v95, 0xff7fffff, v95, s2
	v_or_b32_e32 v85, 14, v98
	v_dual_mul_f32 v91, s18, v142 :: v_dual_mul_f32 v110, s18, v124
	v_mul_f32_e32 v92, s18, v141
	v_cndmask_b32_e64 v94, 0xff7fffff, v94, s3
	v_cndmask_b32_e64 v81, 0xff7fffff, v93, s4
	v_max3_f32 v93, v96, 0xff7fffff, v95
	v_cmp_gt_i32_e64 s5, s17, v82
	v_cmp_gt_i32_e64 s6, s17, v83
	v_or_b32_e32 v86, 16, v98
	v_or_b32_e32 v87, 18, v98
	v_dual_mul_f32 v89, s18, v144 :: v_dual_mul_f32 v112, s18, v122
	v_mul_f32_e32 v90, s18, v143
	v_cndmask_b32_e64 v82, 0xff7fffff, v92, s5
	v_cndmask_b32_e64 v83, 0xff7fffff, v91, s6
	v_max3_f32 v81, v93, v94, v81
	v_cmp_gt_i32_e64 s7, s17, v84
	v_cmp_gt_i32_e64 s8, s17, v85
	v_or_b32_e32 v88, 20, v98
	v_mul_f32_e32 v113, s18, v121
	v_max3_f32 v81, v81, v82, v83
	v_cndmask_b32_e64 v84, 0xff7fffff, v90, s7
	v_cndmask_b32_e64 v85, 0xff7fffff, v89, s8
	v_cmp_gt_i32_e64 s9, s17, v86
	v_cmp_gt_i32_e64 s10, s17, v87
	v_mul_f32_e32 v111, s18, v123
	v_cmp_gt_i32_e64 s11, s17, v88
	v_max3_f32 v81, v81, v84, v85
	v_cndmask_b32_e64 v82, 0xff7fffff, v113, s9
	v_cndmask_b32_e64 v83, 0xff7fffff, v112, s10
	v_cmp_gt_i32_e64 s12, s17, v101
	v_or_b32_e32 v104, 28, v98
	v_or_b32_e32 v105, 30, v98
	v_mul_f32_e32 v109, s18, v125
	v_cndmask_b32_e64 v84, 0xff7fffff, v111, s11
	v_cndmask_b32_e64 v85, 0xff7fffff, v110, s12
	v_max3_f32 v81, v81, v82, v83
	v_cmp_gt_i32_e64 s13, s17, v102
	v_cmp_gt_i32_e64 s15, s17, v103
	v_dual_mul_f32 v106, s18, v128 :: v_dual_mul_f32 v107, s18, v127
	s_delay_alu instid0(VALU_DEP_4) | instskip(NEXT) | instid1(VALU_DEP_4)
	v_max3_f32 v81, v81, v84, v85
	v_cndmask_b32_e64 v82, 0xff7fffff, v109, s13
	s_delay_alu instid0(VALU_DEP_4) | instskip(SKIP_2) | instid1(VALU_DEP_3)
	v_cndmask_b32_e64 v83, 0xff7fffff, v108, s15
	v_cmp_gt_i32_e64 s16, s17, v104
	v_cmp_gt_i32_e64 s17, s17, v105
	v_max3_f32 v81, v81, v82, v83
	s_delay_alu instid0(VALU_DEP_3) | instskip(NEXT) | instid1(VALU_DEP_3)
	v_cndmask_b32_e64 v84, 0xff7fffff, v107, s16
	v_cndmask_b32_e64 v85, 0xff7fffff, v106, s17
	v_lshlrev_b32_e32 v83, 2, v97
	s_delay_alu instid0(VALU_DEP_2) | instskip(SKIP_3) | instid1(VALU_DEP_1)
	v_max3_f32 v81, v81, v84, v85
	ds_bpermute_b32 v82, v83, v81
	s_waitcnt lgkmcnt(0)
	v_max_f32_e32 v82, v82, v82
	v_max_f32_e32 v81, v81, v82
	s_delay_alu instid0(VALU_DEP_1)
	v_fma_f32 v82, s18, v137, -v81
	v_fma_f32 v84, s18, v138, -v81
	;; [unrolled: 1-line block ×5, first 2 shown]
	v_mul_f32_e32 v82, 0x3fb8aa3b, v82
	s_delay_alu instid0(VALU_DEP_4) | instskip(NEXT) | instid1(VALU_DEP_3)
	v_dual_mul_f32 v84, 0x3fb8aa3b, v84 :: v_dual_mul_f32 v89, 0x3fb8aa3b, v87
	v_mul_f32_e32 v86, 0x3fb8aa3b, v86
	s_delay_alu instid0(VALU_DEP_3) | instskip(NEXT) | instid1(VALU_DEP_2)
	v_exp_f32_e32 v82, v82
	v_exp_f32_e32 v84, v84
	s_delay_alu instid0(VALU_DEP_2) | instskip(NEXT) | instid1(VALU_DEP_1)
	v_exp_f32_e32 v92, v89
	v_exp_f32_e32 v86, v86
	v_cndmask_b32_e32 v88, 0, v82, vcc_lo
	s_delay_alu instid0(TRANS32_DEP_3)
	v_cndmask_b32_e64 v87, 0, v84, s2
	s_waitcnt_depctr 0xfff
	v_cndmask_b32_e64 v92, 0, v92, s5
	v_cmp_gt_u32_e64 s2, 16, v80
	v_cndmask_b32_e64 v89, 0, v86, s4
	v_add_f32_e32 v84, 0, v88
	s_delay_alu instid0(VALU_DEP_1) | instskip(NEXT) | instid1(VALU_DEP_1)
	v_dual_add_f32 v84, v84, v87 :: v_dual_mul_f32 v85, 0x3fb8aa3b, v85
	v_exp_f32_e32 v85, v85
	s_waitcnt_depctr 0xfff
	v_cndmask_b32_e64 v90, 0, v85, s3
	s_delay_alu instid0(VALU_DEP_1) | instskip(NEXT) | instid1(VALU_DEP_1)
	v_add_f32_e32 v84, v84, v90
	v_add_f32_e32 v84, v84, v89
	v_fma_f32 v82, s18, v142, -v81
	v_fma_f32 v91, s18, v143, -v81
	;; [unrolled: 1-line block ×5, first 2 shown]
	s_delay_alu instid0(VALU_DEP_4) | instskip(SKIP_1) | instid1(VALU_DEP_4)
	v_dual_mul_f32 v82, 0x3fb8aa3b, v82 :: v_dual_mul_f32 v91, 0x3fb8aa3b, v91
	v_fma_f32 v96, s18, v124, -v81
	v_mul_f32_e32 v86, 0x3fb8aa3b, v86
	v_fma_f32 v99, s18, v127, -v81
	s_delay_alu instid0(VALU_DEP_4) | instskip(SKIP_3) | instid1(VALU_DEP_1)
	v_exp_f32_e32 v82, v82
	v_exp_f32_e32 v93, v91
	v_mul_f32_e32 v97, 0x3fb8aa3b, v96
	v_exp_f32_e32 v86, v86
	v_exp_f32_e32 v97, v97
	v_cndmask_b32_e64 v91, 0, v82, s6
	v_dual_add_f32 v82, v84, v92 :: v_dual_mul_f32 v85, 0x3fb8aa3b, v85
	v_fma_f32 v84, s18, v123, -v81
	v_mul_f32_e32 v95, 0x3fb8aa3b, v94
	s_delay_alu instid0(TRANS32_DEP_3) | instskip(NEXT) | instid1(VALU_DEP_4)
	v_cndmask_b32_e64 v94, 0, v93, s7
	v_add_f32_e32 v82, v82, v91
	v_exp_f32_e32 v85, v85
	v_mul_f32_e32 v84, 0x3fb8aa3b, v84
	v_cndmask_b32_e64 v96, 0, v86, s9
	v_exp_f32_e32 v95, v95
	v_add_f32_e32 v82, v82, v94
	v_fma_f32 v86, s18, v126, -v81
	v_exp_f32_e32 v84, v84
	v_cndmask_b32_e64 v97, 0, v97, s12
	s_delay_alu instid0(TRANS32_DEP_3) | instskip(SKIP_2) | instid1(TRANS32_DEP_2)
	v_cndmask_b32_e64 v93, 0, v85, s8
	v_fma_f32 v85, s18, v125, -v81
	v_mul_f32_e32 v86, 0x3fb8aa3b, v86
	v_cndmask_b32_e64 v95, 0, v95, s10
	s_waitcnt_depctr 0xfff
	v_cndmask_b32_e64 v98, 0, v84, s11
	v_mul_f32_e32 v84, 0x3fb8aa3b, v99
	v_fma_f32 v99, s18, v128, -v81
	v_add_f32_e32 v82, v82, v93
	v_mul_f32_e32 v85, 0x3fb8aa3b, v85
	v_exp_f32_e32 v86, v86
	v_exp_f32_e32 v84, v84
	s_delay_alu instid0(VALU_DEP_1)
	v_exp_f32_e32 v85, v85
	s_waitcnt_depctr 0xfff
	v_cndmask_b32_e64 v102, 0, v84, s16
	v_cndmask_b32_e64 v100, 0, v85, s13
	v_dual_mul_f32 v85, 0x3fb8aa3b, v99 :: v_dual_add_f32 v82, v82, v96
	v_cndmask_b32_e64 v99, 0, v86, s15
	s_delay_alu instid0(VALU_DEP_2) | instskip(NEXT) | instid1(VALU_DEP_2)
	v_exp_f32_e32 v85, v85
	v_add_f32_e32 v82, v82, v95
	s_delay_alu instid0(VALU_DEP_1) | instskip(SKIP_3) | instid1(VALU_DEP_1)
	v_add_f32_e32 v82, v82, v98
	s_waitcnt_depctr 0xfff
	v_cndmask_b32_e64 v101, 0, v85, s17
	v_add_f32_e32 v82, v82, v97
	v_add_f32_e32 v82, v82, v100
	s_delay_alu instid0(VALU_DEP_1) | instskip(NEXT) | instid1(VALU_DEP_1)
	v_add_f32_e32 v82, v82, v99
	v_add_f32_e32 v82, v82, v102
	s_delay_alu instid0(VALU_DEP_1)
	v_add_f32_e32 v82, v82, v101
	ds_bpermute_b32 v83, v83, v82
	s_and_saveexec_b32 s3, s2
	s_cbranch_execz .LBB370_14
; %bb.13:
	v_mul_u32_u24_e32 v80, 0x44, v78
	s_waitcnt lgkmcnt(0)
	v_add_f32_e32 v82, v82, v83
	s_delay_alu instid0(VALU_DEP_2) | instskip(NEXT) | instid1(VALU_DEP_1)
	v_lshl_add_u32 v80, v77, 2, v80
	v_add_nc_u32_e32 v80, 0x4000, v80
	ds_store_2addr_b32 v80, v81, v82 offset1:136
.LBB370_14:
	s_or_b32 exec_lo, exec_lo, s3
	v_lshlrev_b32_e32 v80, 2, v77
	s_load_b32 s35, s[0:1], 0x94
	s_waitcnt lgkmcnt(0)
	s_barrier
	buffer_gl0_inv
	v_add_nc_u32_e32 v84, 0x4000, v80
	v_cmp_eq_u32_e32 vcc_lo, 1, v78
	v_cmp_eq_u32_e64 s3, 2, v78
	v_cmp_eq_u32_e64 s4, 3, v78
	v_cmp_eq_u32_e64 s5, 5, v78
	ds_load_2addr_b32 v[80:81], v84 offset1:17
	ds_load_2addr_b32 v[82:83], v84 offset0:34 offset1:51
	ds_load_2addr_b32 v[103:104], v84 offset0:68 offset1:85
	;; [unrolled: 1-line block ×3, first 2 shown]
	v_cmp_eq_u32_e64 s6, 7, v78
	s_waitcnt lgkmcnt(3)
	v_max3_f32 v85, v80, 0xff7fffff, v81
	s_waitcnt lgkmcnt(2)
	s_delay_alu instid0(VALU_DEP_1) | instskip(SKIP_1) | instid1(VALU_DEP_1)
	v_max3_f32 v85, v85, v82, v83
	s_waitcnt lgkmcnt(1)
	v_max3_f32 v85, v85, v103, v104
	s_waitcnt lgkmcnt(0)
	s_delay_alu instid0(VALU_DEP_1) | instskip(NEXT) | instid1(VALU_DEP_1)
	v_max3_f32 v85, v85, v105, v106
	v_sub_f32_e32 v103, v103, v85
	ds_load_2addr_b32 v[107:108], v84 offset0:136 offset1:153
	v_sub_f32_e32 v80, v80, v85
	v_dual_sub_f32 v110, v83, v85 :: v_dual_mul_f32 v113, 0x3fb8aa3b, v103
	s_delay_alu instid0(VALU_DEP_2) | instskip(SKIP_3) | instid1(VALU_DEP_1)
	v_dual_sub_f32 v86, v81, v85 :: v_dual_mul_f32 v109, 0x3fb8aa3b, v80
	ds_load_2addr_b32 v[80:81], v84 offset0:170 offset1:187
	v_mul_f32_e32 v86, 0x3fb8aa3b, v86
	v_exp_f32_e32 v109, v109
	v_exp_f32_e32 v112, v86
	v_mul_f32_e32 v110, 0x3fb8aa3b, v110
	s_waitcnt lgkmcnt(1)
	s_waitcnt_depctr 0xfff
	v_fma_f32 v86, v109, v107, 0
	v_sub_f32_e32 v107, v104, v85
	v_sub_f32_e32 v82, v82, v85
	v_exp_f32_e32 v110, v110
	ds_load_2addr_b32 v[103:104], v84 offset0:238 offset1:255
	v_dual_fmac_f32 v86, v112, v108 :: v_dual_mul_f32 v111, 0x3fb8aa3b, v82
	ds_load_2addr_b32 v[82:83], v84 offset0:204 offset1:221
	v_dual_sub_f32 v84, v105, v85 :: v_dual_mul_f32 v105, 0x3fb8aa3b, v107
	v_exp_f32_e32 v107, v113
	v_exp_f32_e32 v111, v111
	s_waitcnt lgkmcnt(0)
	s_delay_alu instid0(VALU_DEP_1)
	v_mul_f32_e32 v84, 0x3fb8aa3b, v84
	v_exp_f32_e32 v105, v105
	s_barrier
	buffer_gl0_inv
	v_fmac_f32_e32 v86, v111, v80
	v_sub_f32_e32 v80, v106, v85
	v_exp_f32_e32 v106, v84
	s_delay_alu instid0(VALU_DEP_2) | instskip(NEXT) | instid1(VALU_DEP_2)
	v_fmac_f32_e32 v86, v110, v81
	v_mul_f32_e32 v80, 0x3fb8aa3b, v80
	s_delay_alu instid0(VALU_DEP_2) | instskip(NEXT) | instid1(VALU_DEP_2)
	v_dual_cndmask_b32 v81, v109, v112 :: v_dual_fmac_f32 v86, v107, v82
	v_exp_f32_e32 v108, v80
	s_delay_alu instid0(VALU_DEP_1) | instskip(SKIP_2) | instid1(VALU_DEP_1)
	v_fmac_f32_e32 v86, v105, v83
	s_waitcnt_depctr 0xfff
	v_fmac_f32_e32 v86, v106, v103
	v_fmac_f32_e32 v86, v108, v104
	s_delay_alu instid0(VALU_DEP_1) | instskip(NEXT) | instid1(VALU_DEP_1)
	v_add_f32_e32 v103, 0x358637bd, v86
	v_div_scale_f32 v104, null, v103, v103, 1.0
	v_div_scale_f32 v109, vcc_lo, 1.0, v103, 1.0
	s_delay_alu instid0(VALU_DEP_2) | instskip(SKIP_2) | instid1(VALU_DEP_1)
	v_rcp_f32_e32 v113, v104
	s_waitcnt_depctr 0xfff
	v_fma_f32 v80, -v104, v113, 1.0
	v_fmac_f32_e32 v113, v80, v113
	v_cndmask_b32_e64 v80, v81, v111, s3
	v_cmp_eq_u32_e64 s3, 4, v78
	v_lshl_or_b32 v81, v78, 11, v79
	s_delay_alu instid0(VALU_DEP_4) | instskip(NEXT) | instid1(VALU_DEP_4)
	v_mul_f32_e32 v111, v109, v113
	v_cndmask_b32_e64 v82, v80, v110, s4
	v_cmp_eq_u32_e64 s4, 6, v78
	s_delay_alu instid0(VALU_DEP_4) | instskip(SKIP_3) | instid1(VALU_DEP_3)
	v_lshl_or_b32 v78, v75, 4, v81
	v_lshlrev_b32_e32 v80, 2, v75
	v_fma_f32 v83, -v104, v111, v109
	v_cndmask_b32_e64 v84, v82, v107, s3
	v_or_b32_e32 v82, 1, v80
	s_delay_alu instid0(VALU_DEP_3) | instskip(NEXT) | instid1(VALU_DEP_3)
	v_fmac_f32_e32 v111, v83, v113
	v_cndmask_b32_e64 v105, v84, v105, s5
	v_or_b32_e32 v84, 2, v80
	v_or_b32_e32 v83, 3, v80
	v_cmp_eq_u32_e64 s3, 1, v80
	v_fma_f32 v104, -v104, v111, v109
	v_cndmask_b32_e64 v105, v105, v106, s4
	v_cmp_eq_u32_e64 s9, 1, v82
	v_cmp_eq_u32_e64 s10, 1, v84
	v_cmp_eq_u32_e64 s11, 1, v83
	v_div_fmas_f32 v104, v104, v113, v111
	v_cndmask_b32_e64 v105, v105, v108, s6
	v_cmp_eq_u32_e32 vcc_lo, 2, v80
	v_cmp_eq_u32_e64 s12, 2, v82
	v_cmp_eq_u32_e64 s15, 2, v84
	v_div_fixup_f32 v103, v104, v103, 1.0
	v_cmp_eq_u32_e64 s16, 2, v83
	v_cmp_eq_u32_e64 s18, 3, v83
	v_cmp_eq_u32_e64 s4, 3, v80
	v_cmp_eq_u32_e64 s13, 3, v82
	v_mul_f32_e32 v111, v105, v103
	v_cmp_eq_u32_e64 s17, 3, v84
	v_cmp_eq_u32_e64 s22, 4, v83
	;; [unrolled: 1-line block ×4, first 2 shown]
	v_fma_mixlo_f16 v103, v111, v88, 0
	v_fma_mixlo_f16 v104, v111, v90, 0
	;; [unrolled: 1-line block ×8, first 2 shown]
	v_fma_mixhi_f16 v103, v111, v87, 0
	v_fma_mixhi_f16 v104, v111, v89, 0
	;; [unrolled: 1-line block ×8, first 2 shown]
	ds_store_b128 v78, v[103:106]
	ds_store_b128 v78, v[107:110] offset:1024
	s_waitcnt lgkmcnt(0)
	s_barrier
	buffer_gl0_inv
	ds_load_b128 v[87:90], v81
	ds_load_b128 v[91:94], v81 offset:16
	ds_load_b128 v[95:98], v81 offset:1024
	ds_load_b128 v[99:102], v81 offset:1040
	v_cmp_eq_u32_e64 s21, 4, v84
	v_cmp_eq_u32_e64 s24, 5, v83
	;; [unrolled: 1-line block ×13, first 2 shown]
	s_waitcnt lgkmcnt(3)
	v_lshrrev_b32_e32 v103, 16, v87
	s_waitcnt lgkmcnt(2)
	v_lshrrev_b32_e32 v107, 16, v91
	;; [unrolled: 2-line block ×4, first 2 shown]
	v_lshrrev_b32_e32 v104, 16, v88
	v_cndmask_b32_e64 v119, v87, v103, s3
	v_cndmask_b32_e64 v120, v91, v107, s3
	;; [unrolled: 1-line block ×8, first 2 shown]
	v_lshrrev_b32_e32 v108, 16, v92
	v_cndmask_b32_e64 v103, v95, v111, s3
	v_cndmask_b32_e64 v107, v99, v115, s3
	;; [unrolled: 1-line block ×5, first 2 shown]
	v_cndmask_b32_e32 v111, v119, v88, vcc_lo
	v_cndmask_b32_e64 v119, v121, v88, s12
	v_cndmask_b32_e64 v121, v123, v88, s15
	;; [unrolled: 1-line block ×4, first 2 shown]
	v_lshrrev_b32_e32 v112, 16, v96
	v_lshrrev_b32_e32 v116, 16, v100
	v_cndmask_b32_e64 v126, v99, v115, s9
	v_cndmask_b32_e64 v128, v99, v115, s10
	;; [unrolled: 1-line block ×3, first 2 shown]
	v_cndmask_b32_e32 v115, v120, v92, vcc_lo
	v_cndmask_b32_e64 v120, v122, v92, s12
	v_cndmask_b32_e64 v122, v124, v92, s15
	v_cndmask_b32_e32 v91, v103, v96, vcc_lo
	v_cndmask_b32_e32 v92, v107, v100, vcc_lo
	v_cndmask_b32_e64 v103, v125, v96, s12
	v_cndmask_b32_e64 v87, v87, v104, s18
	;; [unrolled: 1-line block ×3, first 2 shown]
	v_lshrrev_b32_e32 v105, 16, v89
	v_lshrrev_b32_e32 v109, 16, v93
	v_cndmask_b32_e64 v107, v127, v96, s15
	v_cndmask_b32_e64 v95, v95, v96, s16
	v_cndmask_b32_e64 v96, v99, v100, s16
	v_cndmask_b32_e64 v99, v111, v104, s4
	v_cndmask_b32_e64 v111, v115, v108, s4
	v_cndmask_b32_e64 v115, v119, v104, s13
	v_cndmask_b32_e64 v119, v120, v108, s13
	v_cndmask_b32_e64 v120, v121, v104, s17
	v_cndmask_b32_e64 v121, v122, v108, s17
	v_cndmask_b32_e64 v91, v91, v112, s4
	v_cndmask_b32_e64 v92, v92, v116, s4
	v_cndmask_b32_e64 v103, v103, v112, s13
	v_cndmask_b32_e64 v87, v87, v89, s22
	v_cndmask_b32_e64 v88, v88, v93, s22
	v_lshrrev_b32_e32 v113, 16, v97
	v_cndmask_b32_e64 v99, v99, v89, s5
	v_cndmask_b32_e64 v104, v111, v93, s5
	;; [unrolled: 1-line block ×11, first 2 shown]
	v_lshrrev_b32_e32 v106, 16, v90
	v_lshrrev_b32_e32 v110, 16, v94
	v_cndmask_b32_e64 v93, v99, v105, s6
	v_cndmask_b32_e64 v99, v104, v109, s6
	;; [unrolled: 1-line block ×9, first 2 shown]
	v_lshrrev_b32_e32 v114, 16, v98
	v_cndmask_b32_e64 v89, v89, v113, s6
	v_cndmask_b32_e64 v93, v93, v90, s7
	;; [unrolled: 1-line block ×19, first 2 shown]
	v_perm_b32 v90, v88, v87, 0x5040100
	v_cndmask_b32_e64 v87, v126, v100, s12
	v_cndmask_b32_e64 v105, v89, v114, s8
	v_perm_b32 v89, v103, v99, 0x5040100
	v_perm_b32 v88, v104, v94, 0x5040100
	v_cndmask_b32_e64 v94, v107, v112, s17
	v_cndmask_b32_e64 v95, v95, v112, s18
	;; [unrolled: 1-line block ×5, first 2 shown]
	v_lshrrev_b32_e32 v117, 16, v101
	v_cndmask_b32_e64 v94, v94, v97, s21
	v_cndmask_b32_e64 v95, v95, v97, s22
	;; [unrolled: 1-line block ×11, first 2 shown]
	v_lshrrev_b32_e32 v118, 16, v102
	v_cndmask_b32_e64 v91, v91, v102, s7
	v_cndmask_b32_e64 v94, v94, v98, s26
	;; [unrolled: 1-line block ×12, first 2 shown]
	v_perm_b32 v87, v93, v92, 0x5040100
	v_perm_b32 v94, v95, v94, 0x5040100
	;; [unrolled: 1-line block ×5, first 2 shown]
	s_mul_i32 s7, s33, 5
	s_mov_b32 s3, exec_lo
	ds_store_b128 v78, v[87:90]
	ds_store_b128 v78, v[91:94] offset:1024
	v_cmpx_gt_u32_e32 5, v0
	s_cbranch_execz .LBB370_16
; %bb.15:
	s_mul_i32 s4, s7, s34
	s_load_b128 s[8:11], s[0:1], 0x58
	v_add3_u32 v77, s4, s31, v77
	s_delay_alu instid0(VALU_DEP_1) | instskip(NEXT) | instid1(VALU_DEP_1)
	v_mad_u64_u32 v[87:88], null, v77, s35, s[14:15]
	v_ashrrev_i32_e32 v88, 31, v87
	s_delay_alu instid0(VALU_DEP_1) | instskip(SKIP_1) | instid1(VALU_DEP_1)
	v_lshlrev_b64 v[87:88], 2, v[87:88]
	s_waitcnt lgkmcnt(0)
	v_add_co_u32 v89, vcc_lo, s10, v87
	s_delay_alu instid0(VALU_DEP_2)
	v_add_co_ci_u32_e32 v90, vcc_lo, s11, v88, vcc_lo
	v_add_co_u32 v87, vcc_lo, s8, v87
	v_add_co_ci_u32_e32 v88, vcc_lo, s9, v88, vcc_lo
	global_store_b32 v[89:90], v85, off
	global_store_b32 v[87:88], v86, off
.LBB370_16:
	s_or_b32 exec_lo, exec_lo, s3
	s_waitcnt lgkmcnt(0)
	s_waitcnt_vscnt null, 0x0
	s_barrier
	buffer_gl0_inv
	ds_load_b128 v[93:96], v79
	ds_load_b128 v[97:100], v79 offset:16
	ds_load_b128 v[105:108], v79 offset:1040
	;; [unrolled: 1-line block ×5, first 2 shown]
	v_cmp_eq_u32_e32 vcc_lo, 1, v84
	v_mov_b32_e32 v85, 0
	ds_load_b128 v[121:124], v79 offset:3088
	ds_load_b128 v[117:120], v79 offset:3072
	;; [unrolled: 1-line block ×4, first 2 shown]
	v_cmp_eq_u32_e64 s3, 1, v80
	v_cmp_eq_u32_e64 s4, 1, v83
	;; [unrolled: 1-line block ×3, first 2 shown]
	v_mov_b32_e32 v86, v85
	v_mov_b32_e32 v87, v85
	;; [unrolled: 1-line block ×7, first 2 shown]
	v_cmp_eq_u32_e64 s6, 2, v80
	s_waitcnt lgkmcnt(8)
	s_delay_alu instid0(VALU_DEP_2)
	v_wmma_f32_16x16x16_f16 v[85:92], v[65:72], v[93:100], v[85:92]
	ds_load_b128 v[69:72], v79 offset:5136
	ds_load_b128 v[65:68], v79 offset:5120
	;; [unrolled: 1-line block ×4, first 2 shown]
	s_waitcnt lgkmcnt(10)
	v_wmma_f32_16x16x16_f16 v[85:92], v[57:64], v[101:108], v[85:92]
	s_waitcnt lgkmcnt(8)
	s_delay_alu instid0(VALU_DEP_1)
	v_wmma_f32_16x16x16_f16 v[85:92], v[57:64], v[109:116], v[85:92]
	ds_load_b128 v[61:64], v79 offset:7184
	ds_load_b128 v[57:60], v79 offset:7168
	;; [unrolled: 1-line block ×4, first 2 shown]
	s_waitcnt lgkmcnt(10)
	v_wmma_f32_16x16x16_f16 v[85:92], v[49:56], v[117:124], v[85:92]
	s_waitcnt lgkmcnt(8)
	s_delay_alu instid0(VALU_DEP_1)
	v_wmma_f32_16x16x16_f16 v[85:92], v[49:56], v[125:132], v[85:92]
	ds_load_b128 v[53:56], v79 offset:9232
	ds_load_b128 v[49:52], v79 offset:9216
	s_waitcnt lgkmcnt(8)
	v_wmma_f32_16x16x16_f16 v[85:92], v[41:48], v[65:72], v[85:92]
	ds_load_b128 v[69:72], v79 offset:10256
	ds_load_b128 v[65:68], v79 offset:10240
	s_waitcnt lgkmcnt(8)
	;; [unrolled: 4-line block ×7, first 2 shown]
	s_barrier
	buffer_gl0_inv
	v_wmma_f32_16x16x16_f16 v[85:92], v[33:40], v[41:48], v[85:92]
	s_delay_alu instid0(VALU_DEP_1) | instskip(NEXT) | instid1(VALU_DEP_1)
	v_wmma_f32_16x16x16_f16 v[85:92], v[33:40], v[57:64], v[85:92]
	v_wmma_f32_16x16x16_f16 v[85:92], v[25:32], v[9:16], v[85:92]
	s_delay_alu instid0(VALU_DEP_1) | instskip(NEXT) | instid1(VALU_DEP_1)
	v_wmma_f32_16x16x16_f16 v[85:92], v[25:32], v[49:56], v[85:92]
	v_wmma_f32_16x16x16_f16 v[85:92], v[17:24], v[1:8], v[85:92]
	s_delay_alu instid0(VALU_DEP_1) | instskip(NEXT) | instid1(VALU_DEP_2)
	v_cvt_f16_f32_e32 v1, v85
	v_cvt_f16_f32_e32 v2, v86
	s_delay_alu instid0(VALU_DEP_3) | instskip(NEXT) | instid1(VALU_DEP_4)
	v_cvt_f16_f32_e32 v3, v87
	v_cvt_f16_f32_e32 v4, v88
	v_cvt_f16_f32_e32 v5, v89
	v_cvt_f16_f32_e32 v6, v90
	v_cvt_f16_f32_e32 v7, v91
	v_cvt_f16_f32_e32 v8, v92
	v_pack_b32_f16 v1, v1, v2
	v_pack_b32_f16 v2, v3, v4
	;; [unrolled: 1-line block ×3, first 2 shown]
	s_delay_alu instid0(VALU_DEP_4)
	v_pack_b32_f16 v4, v7, v8
	ds_store_b128 v78, v[1:4]
	s_waitcnt lgkmcnt(0)
	s_barrier
	buffer_gl0_inv
	ds_load_b128 v[1:4], v81
	ds_load_b128 v[5:8], v81 offset:16
	s_waitcnt lgkmcnt(1)
	v_lshrrev_b32_e32 v9, 16, v1
	s_waitcnt lgkmcnt(0)
	v_lshrrev_b32_e32 v13, 16, v5
	v_lshrrev_b32_e32 v15, 16, v7
	;; [unrolled: 1-line block ×4, first 2 shown]
	v_cndmask_b32_e64 v17, v1, v9, s3
	v_cndmask_b32_e64 v18, v5, v13, s3
	;; [unrolled: 1-line block ×3, first 2 shown]
	v_cmp_eq_u32_e64 s3, 2, v82
	v_cndmask_b32_e64 v20, v5, v13, s5
	v_cndmask_b32_e32 v21, v1, v9, vcc_lo
	v_cndmask_b32_e32 v22, v5, v13, vcc_lo
	v_cndmask_b32_e64 v1, v1, v9, s4
	v_cndmask_b32_e64 v5, v5, v13, s4
	v_cmp_eq_u32_e32 vcc_lo, 2, v84
	v_cmp_eq_u32_e64 s4, 2, v83
	v_cndmask_b32_e64 v9, v17, v2, s6
	v_cndmask_b32_e64 v13, v18, v6, s6
	;; [unrolled: 1-line block ×4, first 2 shown]
	v_cndmask_b32_e32 v19, v21, v2, vcc_lo
	v_cmp_eq_u32_e64 s3, 3, v84
	v_cndmask_b32_e32 v20, v22, v6, vcc_lo
	v_cndmask_b32_e64 v1, v1, v2, s4
	v_cmp_eq_u32_e32 vcc_lo, 3, v83
	v_cmp_eq_u32_e64 s5, 3, v80
	v_cndmask_b32_e64 v2, v5, v6, s4
	v_cmp_eq_u32_e64 s4, 3, v82
	v_lshrrev_b32_e32 v16, 16, v8
	v_cmp_eq_u32_e64 s6, 4, v80
	v_cndmask_b32_e64 v5, v9, v10, s5
	v_cndmask_b32_e64 v6, v13, v14, s5
	;; [unrolled: 1-line block ×3, first 2 shown]
	v_cmp_eq_u32_e64 s5, 4, v82
	v_cndmask_b32_e64 v13, v18, v14, s4
	v_cndmask_b32_e64 v17, v19, v10, s3
	;; [unrolled: 1-line block ×3, first 2 shown]
	v_cndmask_b32_e32 v1, v1, v10, vcc_lo
	v_cndmask_b32_e32 v2, v2, v14, vcc_lo
	v_cmp_eq_u32_e32 vcc_lo, 4, v84
	v_cmp_eq_u32_e64 s4, 4, v83
	v_lshrrev_b32_e32 v11, 16, v3
	v_cndmask_b32_e64 v5, v5, v3, s6
	v_cndmask_b32_e64 v6, v6, v7, s6
	v_cndmask_b32_e64 v9, v9, v3, s5
	v_cndmask_b32_e64 v10, v13, v7, s5
	v_cndmask_b32_e32 v13, v17, v3, vcc_lo
	v_cmp_eq_u32_e64 s3, 5, v84
	v_cndmask_b32_e32 v14, v18, v7, vcc_lo
	v_cndmask_b32_e64 v1, v1, v3, s4
	v_cmp_eq_u32_e32 vcc_lo, 5, v83
	v_cmp_eq_u32_e64 s5, 5, v80
	v_cndmask_b32_e64 v2, v2, v7, s4
	v_cmp_eq_u32_e64 s4, 5, v82
	v_cmp_eq_u32_e64 s6, 6, v80
	v_cndmask_b32_e32 v1, v1, v11, vcc_lo
	v_cndmask_b32_e64 v3, v5, v11, s5
	v_cndmask_b32_e64 v5, v6, v15, s5
	;; [unrolled: 1-line block ×3, first 2 shown]
	v_cmp_eq_u32_e64 s5, 6, v82
	v_cndmask_b32_e64 v7, v10, v15, s4
	v_cndmask_b32_e64 v9, v13, v11, s3
	v_cndmask_b32_e64 v10, v14, v15, s3
	v_cndmask_b32_e32 v2, v2, v15, vcc_lo
	v_cmp_eq_u32_e32 vcc_lo, 6, v84
	v_cmp_eq_u32_e64 s3, 6, v83
	v_lshrrev_b32_e32 v12, 16, v4
	v_cndmask_b32_e64 v3, v3, v4, s6
	v_cndmask_b32_e64 v5, v5, v8, s6
	;; [unrolled: 1-line block ×4, first 2 shown]
	v_cndmask_b32_e32 v9, v9, v4, vcc_lo
	v_cmp_eq_u32_e64 s4, 7, v84
	v_cndmask_b32_e32 v10, v10, v8, vcc_lo
	v_cndmask_b32_e64 v1, v1, v4, s3
	v_cmp_eq_u32_e32 vcc_lo, 7, v83
	v_cndmask_b32_e64 v2, v2, v8, s3
	v_cmp_eq_u32_e64 s3, 7, v80
	v_cmp_eq_u32_e64 s5, 7, v82
	v_cndmask_b32_e32 v1, v1, v12, vcc_lo
	s_delay_alu instid0(VALU_DEP_4) | instskip(NEXT) | instid1(VALU_DEP_4)
	v_cndmask_b32_e32 v2, v2, v16, vcc_lo
	v_cndmask_b32_e64 v8, v3, v12, s3
	s_delay_alu instid0(VALU_DEP_4)
	v_cndmask_b32_e64 v6, v6, v12, s5
	v_cndmask_b32_e64 v3, v9, v12, s4
	;; [unrolled: 1-line block ×5, first 2 shown]
	v_perm_b32 v4, v2, v1, 0x5040100
	s_mov_b32 s3, exec_lo
	v_perm_b32 v3, v9, v3, 0x5040100
	v_perm_b32 v2, v7, v6, 0x5040100
	;; [unrolled: 1-line block ×3, first 2 shown]
	ds_store_b128 v78, v[1:4]
	s_waitcnt lgkmcnt(0)
	s_barrier
	buffer_gl0_inv
	v_cmpx_gt_u32_e32 32, v0
	s_cbranch_execz .LBB370_2
; %bb.17:
	s_load_b64 s[4:5], s[0:1], 0x68
	v_lshlrev_b32_e32 v0, 10, v0
	v_add_nc_u32_e32 v2, s31, v75
	v_lshlrev_b32_e32 v3, 4, v76
	s_lshl_b32 s0, s35, 7
	s_delay_alu instid0(SALU_CYCLE_1) | instskip(NEXT) | instid1(VALU_DEP_2)
	s_mul_i32 s1, s0, s34
	v_mul_lo_u32 v1, v2, s0
	s_delay_alu instid0(VALU_DEP_2) | instskip(SKIP_2) | instid1(SALU_CYCLE_1)
	v_and_or_b32 v0, 0x3800, v0, v3
	v_add_nc_u32_e32 v2, 2, v2
	s_mul_i32 s6, s1, s7
	s_ashr_i32 s7, s6, 31
	s_delay_alu instid0(VALU_DEP_2)
	v_lshl_or_b32 v7, v75, 6, v0
	s_lshl_b64 s[6:7], s[6:7], 1
	v_mul_lo_u32 v11, v2, s0
	v_ashrrev_i32_e32 v2, 31, v1
	ds_load_b128 v[3:6], v7
	ds_load_b128 v[7:10], v7 offset:128
	s_waitcnt lgkmcnt(0)
	s_add_u32 s1, s4, s6
	s_addc_u32 s3, s5, s7
	s_lshl_b32 s4, s14, 7
	v_ashrrev_i32_e32 v12, 31, v11
	s_ashr_i32 s5, s4, 31
	v_lshlrev_b64 v[13:14], 1, v[1:2]
	s_lshl_b64 s[4:5], s[4:5], 1
	s_delay_alu instid0(SALU_CYCLE_1) | instskip(SKIP_4) | instid1(VALU_DEP_3)
	s_add_u32 s1, s1, s4
	s_addc_u32 s3, s3, s5
	v_add_co_u32 v1, vcc_lo, s1, v73
	v_add_co_ci_u32_e32 v2, vcc_lo, s3, v74, vcc_lo
	v_lshlrev_b64 v[11:12], 1, v[11:12]
	v_add_co_u32 v13, vcc_lo, v1, v13
	s_delay_alu instid0(VALU_DEP_3) | instskip(NEXT) | instid1(VALU_DEP_3)
	v_add_co_ci_u32_e32 v14, vcc_lo, v2, v14, vcc_lo
	v_add_co_u32 v11, vcc_lo, v1, v11
	s_delay_alu instid0(VALU_DEP_4)
	v_add_co_ci_u32_e32 v12, vcc_lo, v2, v12, vcc_lo
	s_clause 0x1
	global_store_b128 v[13:14], v[3:6], off
	global_store_b128 v[11:12], v[7:10], off
	s_and_b32 exec_lo, exec_lo, s2
	s_cbranch_execz .LBB370_2
; %bb.18:
	ds_load_b128 v[3:6], v0 offset:256
	s_add_i32 s1, s31, 4
	s_delay_alu instid0(SALU_CYCLE_1) | instskip(NEXT) | instid1(SALU_CYCLE_1)
	s_mul_i32 s0, s1, s0
	s_ashr_i32 s1, s0, 31
	s_delay_alu instid0(SALU_CYCLE_1) | instskip(NEXT) | instid1(SALU_CYCLE_1)
	s_lshl_b64 s[0:1], s[0:1], 1
	v_add_co_u32 v0, vcc_lo, v1, s0
	v_add_co_ci_u32_e32 v1, vcc_lo, s1, v2, vcc_lo
	s_waitcnt lgkmcnt(0)
	global_store_b128 v[0:1], v[3:6], off
	s_nop 0
	s_sendmsg sendmsg(MSG_DEALLOC_VGPRS)
	s_endpgm
	.section	.rodata,"a",@progbits
	.p2align	6, 0x0
	.amdhsa_kernel _Z39paged_attention_ll4mi_QKV_mfma16_kernelIDF16_DF16_LN4vllm18Fp8KVCacheDataTypeE0EDF16_Li32ELi128ELi256ELb0ELi5EL8MFMAType0EEvPKT_PKT0_S8_ifPKiSA_SA_iPKfiiiPfSD_PS3_PT2_iSC_SC_
		.amdhsa_group_segment_fixed_size 17472
		.amdhsa_private_segment_fixed_size 0
		.amdhsa_kernarg_size 400
		.amdhsa_user_sgpr_count 13
		.amdhsa_user_sgpr_dispatch_ptr 0
		.amdhsa_user_sgpr_queue_ptr 0
		.amdhsa_user_sgpr_kernarg_segment_ptr 1
		.amdhsa_user_sgpr_dispatch_id 0
		.amdhsa_user_sgpr_private_segment_size 0
		.amdhsa_wavefront_size32 1
		.amdhsa_uses_dynamic_stack 0
		.amdhsa_enable_private_segment 0
		.amdhsa_system_sgpr_workgroup_id_x 1
		.amdhsa_system_sgpr_workgroup_id_y 1
		.amdhsa_system_sgpr_workgroup_id_z 1
		.amdhsa_system_sgpr_workgroup_info 0
		.amdhsa_system_vgpr_workitem_id 0
		.amdhsa_next_free_vgpr 172
		.amdhsa_next_free_sgpr 39
		.amdhsa_reserve_vcc 1
		.amdhsa_float_round_mode_32 0
		.amdhsa_float_round_mode_16_64 0
		.amdhsa_float_denorm_mode_32 3
		.amdhsa_float_denorm_mode_16_64 3
		.amdhsa_dx10_clamp 1
		.amdhsa_ieee_mode 1
		.amdhsa_fp16_overflow 0
		.amdhsa_workgroup_processor_mode 1
		.amdhsa_memory_ordered 1
		.amdhsa_forward_progress 0
		.amdhsa_shared_vgpr_count 0
		.amdhsa_exception_fp_ieee_invalid_op 0
		.amdhsa_exception_fp_denorm_src 0
		.amdhsa_exception_fp_ieee_div_zero 0
		.amdhsa_exception_fp_ieee_overflow 0
		.amdhsa_exception_fp_ieee_underflow 0
		.amdhsa_exception_fp_ieee_inexact 0
		.amdhsa_exception_int_div_zero 0
	.end_amdhsa_kernel
	.section	.text._Z39paged_attention_ll4mi_QKV_mfma16_kernelIDF16_DF16_LN4vllm18Fp8KVCacheDataTypeE0EDF16_Li32ELi128ELi256ELb0ELi5EL8MFMAType0EEvPKT_PKT0_S8_ifPKiSA_SA_iPKfiiiPfSD_PS3_PT2_iSC_SC_,"axG",@progbits,_Z39paged_attention_ll4mi_QKV_mfma16_kernelIDF16_DF16_LN4vllm18Fp8KVCacheDataTypeE0EDF16_Li32ELi128ELi256ELb0ELi5EL8MFMAType0EEvPKT_PKT0_S8_ifPKiSA_SA_iPKfiiiPfSD_PS3_PT2_iSC_SC_,comdat
.Lfunc_end370:
	.size	_Z39paged_attention_ll4mi_QKV_mfma16_kernelIDF16_DF16_LN4vllm18Fp8KVCacheDataTypeE0EDF16_Li32ELi128ELi256ELb0ELi5EL8MFMAType0EEvPKT_PKT0_S8_ifPKiSA_SA_iPKfiiiPfSD_PS3_PT2_iSC_SC_, .Lfunc_end370-_Z39paged_attention_ll4mi_QKV_mfma16_kernelIDF16_DF16_LN4vllm18Fp8KVCacheDataTypeE0EDF16_Li32ELi128ELi256ELb0ELi5EL8MFMAType0EEvPKT_PKT0_S8_ifPKiSA_SA_iPKfiiiPfSD_PS3_PT2_iSC_SC_
                                        ; -- End function
	.section	.AMDGPU.csdata,"",@progbits
; Kernel info:
; codeLenInByte = 7520
; NumSgprs: 41
; NumVgprs: 172
; ScratchSize: 0
; MemoryBound: 0
; FloatMode: 240
; IeeeMode: 1
; LDSByteSize: 17472 bytes/workgroup (compile time only)
; SGPRBlocks: 5
; VGPRBlocks: 21
; NumSGPRsForWavesPerEU: 41
; NumVGPRsForWavesPerEU: 172
; Occupancy: 8
; WaveLimiterHint : 1
; COMPUTE_PGM_RSRC2:SCRATCH_EN: 0
; COMPUTE_PGM_RSRC2:USER_SGPR: 13
; COMPUTE_PGM_RSRC2:TRAP_HANDLER: 0
; COMPUTE_PGM_RSRC2:TGID_X_EN: 1
; COMPUTE_PGM_RSRC2:TGID_Y_EN: 1
; COMPUTE_PGM_RSRC2:TGID_Z_EN: 1
; COMPUTE_PGM_RSRC2:TIDIG_COMP_CNT: 0
	.section	.text._Z39paged_attention_ll4mi_QKV_mfma16_kernelIDF16_DF16_LN4vllm18Fp8KVCacheDataTypeE0EDF16_Li32ELi128ELi256ELb0ELi6EL8MFMAType0EEvPKT_PKT0_S8_ifPKiSA_SA_iPKfiiiPfSD_PS3_PT2_iSC_SC_,"axG",@progbits,_Z39paged_attention_ll4mi_QKV_mfma16_kernelIDF16_DF16_LN4vllm18Fp8KVCacheDataTypeE0EDF16_Li32ELi128ELi256ELb0ELi6EL8MFMAType0EEvPKT_PKT0_S8_ifPKiSA_SA_iPKfiiiPfSD_PS3_PT2_iSC_SC_,comdat
	.protected	_Z39paged_attention_ll4mi_QKV_mfma16_kernelIDF16_DF16_LN4vllm18Fp8KVCacheDataTypeE0EDF16_Li32ELi128ELi256ELb0ELi6EL8MFMAType0EEvPKT_PKT0_S8_ifPKiSA_SA_iPKfiiiPfSD_PS3_PT2_iSC_SC_ ; -- Begin function _Z39paged_attention_ll4mi_QKV_mfma16_kernelIDF16_DF16_LN4vllm18Fp8KVCacheDataTypeE0EDF16_Li32ELi128ELi256ELb0ELi6EL8MFMAType0EEvPKT_PKT0_S8_ifPKiSA_SA_iPKfiiiPfSD_PS3_PT2_iSC_SC_
	.globl	_Z39paged_attention_ll4mi_QKV_mfma16_kernelIDF16_DF16_LN4vllm18Fp8KVCacheDataTypeE0EDF16_Li32ELi128ELi256ELb0ELi6EL8MFMAType0EEvPKT_PKT0_S8_ifPKiSA_SA_iPKfiiiPfSD_PS3_PT2_iSC_SC_
	.p2align	8
	.type	_Z39paged_attention_ll4mi_QKV_mfma16_kernelIDF16_DF16_LN4vllm18Fp8KVCacheDataTypeE0EDF16_Li32ELi128ELi256ELb0ELi6EL8MFMAType0EEvPKT_PKT0_S8_ifPKiSA_SA_iPKfiiiPfSD_PS3_PT2_iSC_SC_,@function
_Z39paged_attention_ll4mi_QKV_mfma16_kernelIDF16_DF16_LN4vllm18Fp8KVCacheDataTypeE0EDF16_Li32ELi128ELi256ELb0ELi6EL8MFMAType0EEvPKT_PKT0_S8_ifPKiSA_SA_iPKfiiiPfSD_PS3_PT2_iSC_SC_: ; @_Z39paged_attention_ll4mi_QKV_mfma16_kernelIDF16_DF16_LN4vllm18Fp8KVCacheDataTypeE0EDF16_Li32ELi128ELi256ELb0ELi6EL8MFMAType0EEvPKT_PKT0_S8_ifPKiSA_SA_iPKfiiiPfSD_PS3_PT2_iSC_SC_
; %bb.0:
	s_load_b64 s[2:3], s[0:1], 0x30
	s_mov_b32 s30, s13
	s_waitcnt lgkmcnt(0)
	s_cmp_lg_u64 s[2:3], 0
	s_cselect_b32 s6, -1, 0
	s_ashr_i32 s31, s13, 31
	s_cmp_eq_u64 s[2:3], 0
	s_cbranch_scc1 .LBB371_3
; %bb.1:
	s_lshl_b64 s[4:5], s[30:31], 2
	s_delay_alu instid0(SALU_CYCLE_1) | instskip(SKIP_4) | instid1(SALU_CYCLE_1)
	s_add_u32 s4, s2, s4
	s_addc_u32 s5, s3, s5
	s_load_b64 s[4:5], s[4:5], 0x0
	s_waitcnt lgkmcnt(0)
	s_sub_i32 s4, s5, s4
	s_cmp_eq_u32 s4, 1
	s_cselect_b32 s4, -1, 0
	s_delay_alu instid0(SALU_CYCLE_1)
	s_and_not1_b32 vcc_lo, exec_lo, s4
	s_cbranch_vccz .LBB371_4
.LBB371_2:
	s_endpgm
.LBB371_3:
.LBB371_4:
	s_load_b64 s[8:9], s[0:1], 0x28
	s_lshl_b64 s[4:5], s[30:31], 2
	s_waitcnt lgkmcnt(0)
	s_add_u32 s8, s8, s4
	s_addc_u32 s9, s9, s5
	s_lshl_b32 s12, s14, 8
	s_load_b32 s17, s[8:9], 0x0
	s_waitcnt lgkmcnt(0)
	s_cmp_ge_i32 s12, s17
	s_cbranch_scc1 .LBB371_2
; %bb.5:
	s_and_not1_b32 vcc_lo, exec_lo, s6
	s_cbranch_vccnz .LBB371_7
; %bb.6:
	s_add_u32 s2, s2, s4
	s_addc_u32 s3, s3, s5
	s_load_b32 s13, s[2:3], 0x0
	s_branch .LBB371_8
.LBB371_7:
	s_mov_b32 s13, s30
.LBB371_8:
	s_clause 0x2
	s_load_b128 s[8:11], s[0:1], 0x8
	s_load_b64 s[2:3], s[0:1], 0x20
	s_load_b128 s[4:7], s[0:1], 0x48
	v_and_b32_e32 v77, 15, v0
	s_waitcnt lgkmcnt(0)
	s_mov_b32 s7, exec_lo
	s_delay_alu instid0(VALU_DEP_1)
	v_lshlrev_b32_e32 v1, 3, v77
	v_cmpx_lt_u32_e32 0x5f, v0
	s_xor_b32 s7, exec_lo, s7
; %bb.9:
	v_mov_b32_e32 v2, 0
; %bb.10:
	s_or_saveexec_b32 s7, s7
	v_lshrrev_b32_e32 v78, 5, v0
	v_and_b32_e32 v80, 31, v0
	v_and_b32_e32 v76, 1, v0
	v_bfe_u32 v75, v0, 4, 1
	s_mul_i32 s31, s15, 6
	s_xor_b32 exec_lo, exec_lo, s7
	s_cbranch_execz .LBB371_12
; %bb.11:
	s_load_b64 s[18:19], s[0:1], 0x0
	v_lshl_or_b32 v7, v78, 1, v75
	s_mul_hi_i32 s21, s13, s4
	s_mul_i32 s20, s13, s4
	v_lshlrev_b32_e32 v4, 1, v1
	s_lshl_b64 s[20:21], s[20:21], 1
	v_add_lshl_u32 v2, v7, s31, 7
	v_lshlrev_b32_e32 v7, 6, v7
	v_lshlrev_b32_e32 v8, 10, v76
	s_delay_alu instid0(VALU_DEP_3) | instskip(NEXT) | instid1(VALU_DEP_1)
	v_ashrrev_i32_e32 v3, 31, v2
	v_lshlrev_b64 v[2:3], 1, v[2:3]
	s_waitcnt lgkmcnt(0)
	s_add_u32 s4, s18, s20
	s_addc_u32 s13, s19, s21
	s_delay_alu instid0(VALU_DEP_1) | instskip(NEXT) | instid1(VALU_DEP_2)
	v_add_co_u32 v2, vcc_lo, s4, v2
	v_add_co_ci_u32_e32 v3, vcc_lo, s13, v3, vcc_lo
	s_delay_alu instid0(VALU_DEP_2) | instskip(NEXT) | instid1(VALU_DEP_2)
	v_add_co_u32 v2, vcc_lo, v2, v4
	v_add_co_ci_u32_e32 v3, vcc_lo, 0, v3, vcc_lo
	global_load_b128 v[3:6], v[2:3], off
	v_lshlrev_b32_e32 v2, 10, v77
	s_delay_alu instid0(VALU_DEP_1) | instskip(NEXT) | instid1(VALU_DEP_1)
	v_and_b32_e32 v2, 0x3800, v2
	v_or3_b32 v7, v2, v8, v7
	v_mov_b32_e32 v2, 0
	s_waitcnt vmcnt(0)
	ds_store_b128 v7, v[3:6]
.LBB371_12:
	s_or_b32 exec_lo, exec_lo, s7
	v_and_b32_e32 v3, 0xef, v0
	s_add_i32 s4, s17, 31
	s_clause 0x1
	s_load_b32 s7, s[0:1], 0x38
	s_load_b32 s33, s[0:1], 0x98
	s_ashr_i32 s13, s4, 31
	v_add_nc_u32_e32 v3, s12, v3
	s_lshr_b32 s13, s13, 27
	s_load_b32 s18, s[0:1], 0x1c
	s_add_i32 s4, s4, s13
	s_waitcnt lgkmcnt(0)
	v_ashrrev_i32_e32 v4, 31, v3
	v_cmp_gt_i32_e32 vcc_lo, s17, v3
	s_ashr_i32 s4, s4, 5
	s_barrier
	s_add_i32 s4, s4, -1
	v_lshrrev_b32_e32 v5, 27, v4
	v_or_b32_e32 v4, 16, v3
	buffer_gl0_inv
	v_lshlrev_b64 v[73:74], 1, v[1:2]
	v_lshlrev_b32_e32 v79, 6, v77
	v_add_nc_u32_e32 v6, v3, v5
	v_add_nc_u32_e32 v5, v4, v5
	s_mul_i32 s20, s30, s7
	s_delay_alu instid0(SALU_CYCLE_1) | instskip(NEXT) | instid1(VALU_DEP_2)
	s_ashr_i32 s21, s20, 31
	v_ashrrev_i32_e32 v6, 5, v6
	s_delay_alu instid0(VALU_DEP_2) | instskip(SKIP_1) | instid1(SALU_CYCLE_1)
	v_ashrrev_i32_e32 v5, 5, v5
	s_lshl_b64 s[20:21], s[20:21], 2
	s_add_u32 s13, s2, s20
	s_delay_alu instid0(VALU_DEP_2) | instskip(SKIP_3) | instid1(SALU_CYCLE_1)
	v_cndmask_b32_e32 v3, s4, v6, vcc_lo
	v_cmp_gt_i32_e32 vcc_lo, s17, v4
	s_addc_u32 s16, s3, s21
	s_mul_i32 s2, s15, s6
	s_ashr_i32 s3, s2, 31
	v_cndmask_b32_e32 v5, s4, v5, vcc_lo
	v_ashrrev_i32_e32 v4, 31, v3
	s_lshl_b64 s[2:3], s[2:3], 1
	s_delay_alu instid0(SALU_CYCLE_1) | instskip(NEXT) | instid1(VALU_DEP_2)
	s_add_u32 s15, s8, s2
	v_ashrrev_i32_e32 v6, 31, v5
	s_delay_alu instid0(VALU_DEP_2) | instskip(SKIP_2) | instid1(VALU_DEP_2)
	v_lshlrev_b64 v[3:4], 2, v[3:4]
	s_addc_u32 s19, s9, s3
	s_lshl_b32 s6, s14, 3
	v_lshlrev_b64 v[5:6], 2, v[5:6]
	s_ashr_i32 s7, s6, 31
	s_delay_alu instid0(VALU_DEP_2) | instskip(SKIP_1) | instid1(VALU_DEP_3)
	v_add_co_u32 v3, vcc_lo, s13, v3
	v_add_co_ci_u32_e32 v4, vcc_lo, s16, v4, vcc_lo
	v_add_co_u32 v5, vcc_lo, s13, v5
	s_delay_alu instid0(VALU_DEP_4)
	v_add_co_ci_u32_e32 v6, vcc_lo, s16, v6, vcc_lo
	s_lshl_b64 s[6:7], s[6:7], 2
	s_clause 0x1
	global_load_b32 v7, v[3:4], off
	global_load_b32 v8, v[5:6], off
	s_add_u32 s6, s13, s6
	s_addc_u32 s7, s16, s7
	s_or_b32 s8, s12, 32
	s_delay_alu instid0(SALU_CYCLE_1) | instskip(SKIP_2) | instid1(SALU_CYCLE_1)
	s_ashr_i32 s9, s8, 5
	s_cmp_lt_i32 s8, s17
	s_cselect_b32 s8, s9, s4
	s_ashr_i32 s9, s8, 31
	s_delay_alu instid0(SALU_CYCLE_1) | instskip(NEXT) | instid1(SALU_CYCLE_1)
	s_lshl_b64 s[8:9], s[8:9], 2
	s_add_u32 s8, s13, s8
	s_addc_u32 s9, s16, s9
	s_or_b32 s20, s12, 64
	s_delay_alu instid0(SALU_CYCLE_1) | instskip(SKIP_2) | instid1(SALU_CYCLE_1)
	s_ashr_i32 s21, s20, 5
	s_cmp_lt_i32 s20, s17
	s_cselect_b32 s20, s21, s4
	s_ashr_i32 s21, s20, 31
	s_delay_alu instid0(SALU_CYCLE_1) | instskip(NEXT) | instid1(SALU_CYCLE_1)
	s_lshl_b64 s[20:21], s[20:21], 2
	;; [unrolled: 10-line block ×5, first 2 shown]
	s_add_u32 s26, s13, s26
	s_addc_u32 s27, s16, s27
	s_clause 0x5
	s_load_b32 s28, s[6:7], 0x0
	s_load_b32 s29, s[8:9], 0x0
	;; [unrolled: 1-line block ×6, first 2 shown]
	s_mov_b32 s20, 0
	s_or_b32 s6, s12, 0xc0
	s_mov_b32 s21, s20
	s_mov_b32 s22, s20
	;; [unrolled: 1-line block ×7, first 2 shown]
	s_ashr_i32 s7, s6, 5
	v_mov_b32_e32 v128, s27
	s_cmp_lt_i32 s6, s17
	v_mov_b32_e32 v127, s26
	s_cselect_b32 s6, s7, s4
	v_mov_b32_e32 v126, s25
	s_ashr_i32 s7, s6, 31
	v_mov_b32_e32 v125, s24
	s_lshl_b64 s[6:7], s[6:7], 2
	v_mov_b32_e32 v124, s23
	s_add_u32 s6, s13, s6
	s_addc_u32 s7, s16, s7
	v_mov_b32_e32 v123, s22
	v_mov_b32_e32 v121, s20
	s_waitcnt lgkmcnt(0)
	s_mul_hi_i32 s9, s28, s5
	s_mul_i32 s8, s28, s5
	v_mov_b32_e32 v122, s21
	s_mul_hi_i32 s21, s29, s5
	s_mul_i32 s20, s29, s5
	s_mul_hi_i32 s25, s34, s5
	s_mul_i32 s24, s34, s5
	;; [unrolled: 2-line block ×4, first 2 shown]
	s_waitcnt vmcnt(1)
	v_mad_i64_i32 v[3:4], null, v7, s5, 0
	s_waitcnt vmcnt(0)
	v_mad_i64_i32 v[5:6], null, v8, s5, 0
	s_delay_alu instid0(VALU_DEP_2) | instskip(NEXT) | instid1(VALU_DEP_2)
	v_lshlrev_b64 v[3:4], 1, v[3:4]
	v_lshlrev_b64 v[1:2], 1, v[5:6]
	s_delay_alu instid0(VALU_DEP_2) | instskip(NEXT) | instid1(VALU_DEP_3)
	v_add_co_u32 v3, vcc_lo, s15, v3
	v_add_co_ci_u32_e32 v4, vcc_lo, s19, v4, vcc_lo
	s_delay_alu instid0(VALU_DEP_3) | instskip(NEXT) | instid1(VALU_DEP_4)
	v_add_co_u32 v1, vcc_lo, s15, v1
	v_add_co_ci_u32_e32 v2, vcc_lo, s19, v2, vcc_lo
	s_delay_alu instid0(VALU_DEP_4) | instskip(NEXT) | instid1(VALU_DEP_4)
	v_add_co_u32 v65, vcc_lo, v3, v73
	v_add_co_ci_u32_e32 v66, vcc_lo, v4, v74, vcc_lo
	s_delay_alu instid0(VALU_DEP_4) | instskip(NEXT) | instid1(VALU_DEP_4)
	v_add_co_u32 v67, vcc_lo, v1, v73
	v_add_co_ci_u32_e32 v68, vcc_lo, v2, v74, vcc_lo
	s_clause 0xf
	global_load_b128 v[1:4], v[65:66], off
	global_load_b128 v[5:8], v[65:66], off offset:512
	global_load_b128 v[9:12], v[67:68], off offset:256
	;; [unrolled: 1-line block ×15, first 2 shown]
	v_add_co_u32 v157, vcc_lo, 0x1000, v65
	v_add_co_ci_u32_e32 v158, vcc_lo, 0, v66, vcc_lo
	v_add_co_u32 v165, vcc_lo, 0x1000, v67
	v_add_co_ci_u32_e32 v166, vcc_lo, 0, v68, vcc_lo
	s_clause 0x7
	global_load_b128 v[81:84], v[157:158], off
	global_load_b128 v[85:88], v[157:158], off offset:512
	global_load_b128 v[89:92], v[165:166], off offset:256
	;; [unrolled: 1-line block ×7, first 2 shown]
	v_mul_lo_u16 v65, v77, 43
	s_or_b32 s15, s12, 0xe0
	s_delay_alu instid0(SALU_CYCLE_1) | instskip(SKIP_1) | instid1(VALU_DEP_1)
	s_ashr_i32 s19, s15, 5
	s_cmp_lt_i32 s15, s17
	v_lshrrev_b16 v65, 8, v65
	s_cselect_b32 s22, s19, s4
	s_delay_alu instid0(SALU_CYCLE_1) | instskip(NEXT) | instid1(VALU_DEP_1)
	s_ashr_i32 s23, s22, 31
	v_mul_lo_u16 v65, v65, 6
	s_lshl_b64 s[22:23], s[22:23], 2
	s_delay_alu instid0(SALU_CYCLE_1) | instskip(SKIP_1) | instid1(VALU_DEP_1)
	s_add_u32 s22, s13, s22
	s_addc_u32 s23, s16, s23
	v_sub_nc_u16 v65, v77, v65
	s_add_i32 s15, s12, 0x100
	s_delay_alu instid0(SALU_CYCLE_1) | instskip(SKIP_1) | instid1(VALU_DEP_1)
	s_ashr_i32 s19, s15, 5
	s_cmp_lt_i32 s15, s17
	v_and_b32_e32 v65, 0xff, v65
	s_cselect_b32 s28, s19, s4
	s_delay_alu instid0(SALU_CYCLE_1) | instskip(NEXT) | instid1(VALU_DEP_1)
	s_ashr_i32 s29, s28, 31
	v_lshlrev_b32_e32 v169, 6, v65
	ds_load_b128 v[65:68], v169
	ds_load_b128 v[69:72], v169 offset:1024
	s_clause 0x1
	global_load_b128 v[113:116], v[157:158], off offset:2048
	global_load_b128 v[117:120], v[157:158], off offset:2560
	ds_load_b128 v[129:132], v169 offset:2048
	ds_load_b128 v[133:136], v169 offset:3072
	s_clause 0x5
	global_load_b128 v[145:148], v[165:166], off offset:2304
	global_load_b128 v[149:152], v[165:166], off offset:2816
	;; [unrolled: 1-line block ×6, first 2 shown]
	s_lshl_b64 s[28:29], s[28:29], 2
	s_delay_alu instid0(SALU_CYCLE_1)
	s_add_u32 s28, s13, s28
	s_addc_u32 s29, s16, s29
	s_add_u32 s4, s10, s2
	s_addc_u32 s19, s11, s3
	s_lshl_b64 s[2:3], s[8:9], 1
	s_lshl_b64 s[8:9], s[20:21], 1
	;; [unrolled: 1-line block ×4, first 2 shown]
	s_waitcnt vmcnt(30) lgkmcnt(2)
	v_wmma_f32_16x16x16_f16 v[137:144], v[1:8], v[65:72], v[121:128]
	ds_load_b128 v[1:4], v169 offset:4096
	ds_load_b128 v[5:8], v169 offset:5120
	s_waitcnt vmcnt(28)
	v_wmma_f32_16x16x16_f16 v[121:128], v[9:16], v[65:72], v[121:128]
	ds_load_b128 v[9:12], v169 offset:6144
	ds_load_b128 v[13:16], v169 offset:7168
	s_waitcnt vmcnt(26) lgkmcnt(4)
	v_wmma_f32_16x16x16_f16 v[137:144], v[17:24], v[129:136], v[137:144]
	ds_load_b128 v[17:20], v169 offset:8192
	ds_load_b128 v[21:24], v169 offset:9216
	s_waitcnt vmcnt(24)
	v_wmma_f32_16x16x16_f16 v[121:128], v[25:32], v[129:136], v[121:128]
	v_lshl_or_b32 v25, v78, 10, v79
	ds_load_b128 v[129:132], v169 offset:10240
	ds_load_b128 v[133:136], v169 offset:11264
	s_clause 0x2
	s_load_b32 s15, s[6:7], 0x0
	s_load_b32 s13, s[22:23], 0x0
	;; [unrolled: 1-line block ×3, first 2 shown]
	s_mul_hi_i32 s7, s36, s5
	v_add_co_u32 v170, s4, s4, v25
	s_delay_alu instid0(VALU_DEP_1)
	v_add_co_ci_u32_e64 v171, null, s19, 0, s4
	s_mul_i32 s6, s36, s5
	s_lshl_b64 s[22:23], s[34:35], 1
	s_lshl_b64 s[6:7], s[6:7], 1
	s_waitcnt vmcnt(22) lgkmcnt(0)
	v_wmma_f32_16x16x16_f16 v[137:144], v[33:40], v[1:8], v[137:144]
	s_waitcnt vmcnt(20)
	v_wmma_f32_16x16x16_f16 v[121:128], v[41:48], v[1:8], v[121:128]
	v_add_co_u32 v1, vcc_lo, v170, s2
	v_add_co_ci_u32_e32 v2, vcc_lo, s3, v171, vcc_lo
	v_add_co_u32 v3, vcc_lo, v170, s8
	v_add_co_ci_u32_e32 v4, vcc_lo, s9, v171, vcc_lo
	;; [unrolled: 2-line block ×4, first 2 shown]
	v_add_co_u32 v25, vcc_lo, v170, s6
	s_mul_hi_i32 s25, s15, s5
	s_mul_i32 s24, s15, s5
	v_add_co_ci_u32_e32 v26, vcc_lo, s7, v171, vcc_lo
	v_add_co_u32 v27, vcc_lo, v170, s22
	s_lshl_b64 s[24:25], s[24:25], 1
	s_waitcnt vmcnt(18)
	v_wmma_f32_16x16x16_f16 v[137:144], v[49:56], v[9:16], v[137:144]
	s_waitcnt vmcnt(16)
	v_wmma_f32_16x16x16_f16 v[121:128], v[57:64], v[9:16], v[121:128]
	v_add_co_ci_u32_e32 v28, vcc_lo, s23, v171, vcc_lo
	s_mul_hi_i32 s3, s13, s5
	s_mul_i32 s2, s13, s5
	v_add_co_u32 v29, vcc_lo, v170, s24
	s_lshl_b64 s[2:3], s[2:3], 1
	v_add_co_ci_u32_e32 v30, vcc_lo, s25, v171, vcc_lo
	s_waitcnt vmcnt(14)
	v_wmma_f32_16x16x16_f16 v[137:144], v[81:88], v[17:24], v[137:144]
	s_waitcnt vmcnt(12)
	v_wmma_f32_16x16x16_f16 v[121:128], v[89:96], v[17:24], v[121:128]
	v_add_co_u32 v17, vcc_lo, v170, s2
	v_add_co_ci_u32_e32 v18, vcc_lo, s3, v171, vcc_lo
	s_mul_hi_i32 s3, s16, s5
	s_mul_i32 s2, s16, s5
	s_clause 0x5
	global_load_b128 v[65:68], v[1:2], off
	global_load_b128 v[69:72], v[1:2], off offset:16
	global_load_b128 v[57:60], v[3:4], off
	global_load_b128 v[61:64], v[3:4], off offset:16
	;; [unrolled: 2-line block ×3, first 2 shown]
	s_lshl_b64 s[2:3], s[2:3], 1
	s_clause 0x1
	global_load_b128 v[41:44], v[7:8], off
	global_load_b128 v[45:48], v[7:8], off offset:16
	v_add_co_u32 v21, vcc_lo, v170, s2
	v_add_co_ci_u32_e32 v22, vcc_lo, s3, v171, vcc_lo
	s_clause 0x9
	global_load_b128 v[9:12], v[25:26], off
	global_load_b128 v[13:16], v[25:26], off offset:16
	global_load_b128 v[1:4], v[27:28], off
	global_load_b128 v[5:8], v[27:28], off offset:16
	global_load_b128 v[33:36], v[29:30], off
	global_load_b128 v[37:40], v[29:30], off offset:16
	global_load_b128 v[25:28], v[17:18], off
	global_load_b128 v[29:32], v[17:18], off offset:16
	global_load_b128 v[17:20], v[21:22], off
	global_load_b128 v[21:24], v[21:22], off offset:16
	ds_load_b128 v[81:84], v169 offset:12288
	ds_load_b128 v[85:88], v169 offset:13312
	v_and_b32_e32 v89, 0xe0, v0
	s_waitcnt vmcnt(28)
	v_wmma_f32_16x16x16_f16 v[137:144], v[97:104], v[129:136], v[137:144]
	v_mbcnt_lo_u32_b32 v97, -1, 0
	s_waitcnt vmcnt(26)
	v_wmma_f32_16x16x16_f16 v[121:128], v[105:112], v[129:136], v[121:128]
	v_add_nc_u32_e32 v98, s12, v89
	ds_load_b128 v[89:92], v169 offset:14336
	ds_load_b128 v[93:96], v169 offset:15360
	v_xor_b32_e32 v99, 16, v97
	s_waitcnt vmcnt(0) lgkmcnt(0)
	s_barrier
	v_or_b32_e32 v98, v98, v75
	buffer_gl0_inv
	v_cmp_gt_i32_e32 vcc_lo, 32, v99
	v_or_b32_e32 v100, 4, v98
	v_or_b32_e32 v101, 22, v98
	;; [unrolled: 1-line block ×4, first 2 shown]
	v_wmma_f32_16x16x16_f16 v[137:144], v[113:120], v[81:88], v[137:144]
	v_wmma_f32_16x16x16_f16 v[121:128], v[145:152], v[81:88], v[121:128]
	v_or_b32_e32 v81, 6, v98
	v_or_b32_e32 v82, 8, v98
	;; [unrolled: 1-line block ×3, first 2 shown]
	v_cmp_gt_i32_e64 s3, s17, v100
	v_or_b32_e32 v84, 12, v98
	v_wmma_f32_16x16x16_f16 v[137:144], v[153:160], v[89:96], v[137:144]
	v_wmma_f32_16x16x16_f16 v[121:128], v[161:168], v[89:96], v[121:128]
	v_cndmask_b32_e32 v97, v97, v99, vcc_lo
	v_or_b32_e32 v99, 2, v98
	v_cmp_gt_i32_e32 vcc_lo, s17, v98
	v_dual_mul_f32 v95, s18, v138 :: v_dual_mul_f32 v96, s18, v137
	v_mul_f32_e32 v93, s18, v140
	s_delay_alu instid0(VALU_DEP_4)
	v_cmp_gt_i32_e64 s2, s17, v99
	v_mul_f32_e32 v94, s18, v139
	v_mul_f32_e32 v108, s18, v126
	v_cndmask_b32_e32 v96, 0xff7fffff, v96, vcc_lo
	v_cmp_gt_i32_e64 s4, s17, v81
	v_cndmask_b32_e64 v95, 0xff7fffff, v95, s2
	v_or_b32_e32 v85, 14, v98
	v_dual_mul_f32 v91, s18, v142 :: v_dual_mul_f32 v110, s18, v124
	v_mul_f32_e32 v92, s18, v141
	v_cndmask_b32_e64 v94, 0xff7fffff, v94, s3
	v_cndmask_b32_e64 v81, 0xff7fffff, v93, s4
	v_max3_f32 v93, v96, 0xff7fffff, v95
	v_cmp_gt_i32_e64 s5, s17, v82
	v_cmp_gt_i32_e64 s6, s17, v83
	v_or_b32_e32 v86, 16, v98
	v_or_b32_e32 v87, 18, v98
	v_dual_mul_f32 v89, s18, v144 :: v_dual_mul_f32 v112, s18, v122
	v_mul_f32_e32 v90, s18, v143
	v_cndmask_b32_e64 v82, 0xff7fffff, v92, s5
	v_cndmask_b32_e64 v83, 0xff7fffff, v91, s6
	v_max3_f32 v81, v93, v94, v81
	v_cmp_gt_i32_e64 s7, s17, v84
	v_cmp_gt_i32_e64 s8, s17, v85
	v_or_b32_e32 v88, 20, v98
	v_mul_f32_e32 v113, s18, v121
	v_max3_f32 v81, v81, v82, v83
	v_cndmask_b32_e64 v84, 0xff7fffff, v90, s7
	v_cndmask_b32_e64 v85, 0xff7fffff, v89, s8
	v_cmp_gt_i32_e64 s9, s17, v86
	v_cmp_gt_i32_e64 s10, s17, v87
	v_mul_f32_e32 v111, s18, v123
	v_cmp_gt_i32_e64 s11, s17, v88
	v_max3_f32 v81, v81, v84, v85
	v_cndmask_b32_e64 v82, 0xff7fffff, v113, s9
	v_cndmask_b32_e64 v83, 0xff7fffff, v112, s10
	v_cmp_gt_i32_e64 s12, s17, v101
	v_or_b32_e32 v104, 28, v98
	v_or_b32_e32 v105, 30, v98
	v_mul_f32_e32 v109, s18, v125
	v_cndmask_b32_e64 v84, 0xff7fffff, v111, s11
	v_cndmask_b32_e64 v85, 0xff7fffff, v110, s12
	v_max3_f32 v81, v81, v82, v83
	v_cmp_gt_i32_e64 s13, s17, v102
	v_cmp_gt_i32_e64 s15, s17, v103
	v_dual_mul_f32 v106, s18, v128 :: v_dual_mul_f32 v107, s18, v127
	s_delay_alu instid0(VALU_DEP_4) | instskip(NEXT) | instid1(VALU_DEP_4)
	v_max3_f32 v81, v81, v84, v85
	v_cndmask_b32_e64 v82, 0xff7fffff, v109, s13
	s_delay_alu instid0(VALU_DEP_4) | instskip(SKIP_2) | instid1(VALU_DEP_3)
	v_cndmask_b32_e64 v83, 0xff7fffff, v108, s15
	v_cmp_gt_i32_e64 s16, s17, v104
	v_cmp_gt_i32_e64 s17, s17, v105
	v_max3_f32 v81, v81, v82, v83
	s_delay_alu instid0(VALU_DEP_3) | instskip(NEXT) | instid1(VALU_DEP_3)
	v_cndmask_b32_e64 v84, 0xff7fffff, v107, s16
	v_cndmask_b32_e64 v85, 0xff7fffff, v106, s17
	v_lshlrev_b32_e32 v83, 2, v97
	s_delay_alu instid0(VALU_DEP_2) | instskip(SKIP_3) | instid1(VALU_DEP_1)
	v_max3_f32 v81, v81, v84, v85
	ds_bpermute_b32 v82, v83, v81
	s_waitcnt lgkmcnt(0)
	v_max_f32_e32 v82, v82, v82
	v_max_f32_e32 v81, v81, v82
	s_delay_alu instid0(VALU_DEP_1)
	v_fma_f32 v82, s18, v137, -v81
	v_fma_f32 v84, s18, v138, -v81
	v_fma_f32 v87, s18, v141, -v81
	v_fma_f32 v85, s18, v139, -v81
	v_fma_f32 v86, s18, v140, -v81
	v_mul_f32_e32 v82, 0x3fb8aa3b, v82
	s_delay_alu instid0(VALU_DEP_4) | instskip(NEXT) | instid1(VALU_DEP_3)
	v_dual_mul_f32 v84, 0x3fb8aa3b, v84 :: v_dual_mul_f32 v89, 0x3fb8aa3b, v87
	v_mul_f32_e32 v86, 0x3fb8aa3b, v86
	s_delay_alu instid0(VALU_DEP_3) | instskip(NEXT) | instid1(VALU_DEP_2)
	v_exp_f32_e32 v82, v82
	v_exp_f32_e32 v84, v84
	s_delay_alu instid0(VALU_DEP_2) | instskip(NEXT) | instid1(VALU_DEP_1)
	v_exp_f32_e32 v92, v89
	v_exp_f32_e32 v86, v86
	v_cndmask_b32_e32 v88, 0, v82, vcc_lo
	s_delay_alu instid0(TRANS32_DEP_3)
	v_cndmask_b32_e64 v87, 0, v84, s2
	s_waitcnt_depctr 0xfff
	v_cndmask_b32_e64 v92, 0, v92, s5
	s_mov_b32 s2, exec_lo
	v_cndmask_b32_e64 v89, 0, v86, s4
	v_add_f32_e32 v84, 0, v88
	s_delay_alu instid0(VALU_DEP_1) | instskip(NEXT) | instid1(VALU_DEP_1)
	v_dual_add_f32 v84, v84, v87 :: v_dual_mul_f32 v85, 0x3fb8aa3b, v85
	v_exp_f32_e32 v85, v85
	s_waitcnt_depctr 0xfff
	v_cndmask_b32_e64 v90, 0, v85, s3
	s_delay_alu instid0(VALU_DEP_1) | instskip(NEXT) | instid1(VALU_DEP_1)
	v_add_f32_e32 v84, v84, v90
	v_add_f32_e32 v84, v84, v89
	v_fma_f32 v82, s18, v142, -v81
	v_fma_f32 v91, s18, v143, -v81
	;; [unrolled: 1-line block ×5, first 2 shown]
	s_delay_alu instid0(VALU_DEP_4) | instskip(SKIP_1) | instid1(VALU_DEP_4)
	v_dual_mul_f32 v82, 0x3fb8aa3b, v82 :: v_dual_mul_f32 v91, 0x3fb8aa3b, v91
	v_fma_f32 v96, s18, v124, -v81
	v_mul_f32_e32 v86, 0x3fb8aa3b, v86
	v_fma_f32 v99, s18, v127, -v81
	s_delay_alu instid0(VALU_DEP_4) | instskip(SKIP_3) | instid1(VALU_DEP_1)
	v_exp_f32_e32 v82, v82
	v_exp_f32_e32 v93, v91
	v_mul_f32_e32 v97, 0x3fb8aa3b, v96
	v_exp_f32_e32 v86, v86
	v_exp_f32_e32 v97, v97
	v_cndmask_b32_e64 v91, 0, v82, s6
	v_dual_add_f32 v82, v84, v92 :: v_dual_mul_f32 v85, 0x3fb8aa3b, v85
	v_fma_f32 v84, s18, v123, -v81
	v_mul_f32_e32 v95, 0x3fb8aa3b, v94
	s_delay_alu instid0(TRANS32_DEP_3) | instskip(NEXT) | instid1(VALU_DEP_4)
	v_cndmask_b32_e64 v94, 0, v93, s7
	v_add_f32_e32 v82, v82, v91
	v_exp_f32_e32 v85, v85
	v_mul_f32_e32 v84, 0x3fb8aa3b, v84
	v_cndmask_b32_e64 v96, 0, v86, s9
	v_exp_f32_e32 v95, v95
	v_add_f32_e32 v82, v82, v94
	v_fma_f32 v86, s18, v126, -v81
	v_exp_f32_e32 v84, v84
	v_cndmask_b32_e64 v97, 0, v97, s12
	s_delay_alu instid0(TRANS32_DEP_3) | instskip(SKIP_2) | instid1(TRANS32_DEP_2)
	v_cndmask_b32_e64 v93, 0, v85, s8
	v_fma_f32 v85, s18, v125, -v81
	v_mul_f32_e32 v86, 0x3fb8aa3b, v86
	v_cndmask_b32_e64 v95, 0, v95, s10
	s_waitcnt_depctr 0xfff
	v_cndmask_b32_e64 v98, 0, v84, s11
	v_mul_f32_e32 v84, 0x3fb8aa3b, v99
	v_fma_f32 v99, s18, v128, -v81
	v_add_f32_e32 v82, v82, v93
	v_mul_f32_e32 v85, 0x3fb8aa3b, v85
	v_exp_f32_e32 v86, v86
	v_exp_f32_e32 v84, v84
	s_delay_alu instid0(VALU_DEP_1)
	v_exp_f32_e32 v85, v85
	s_waitcnt_depctr 0xfff
	v_cndmask_b32_e64 v102, 0, v84, s16
	v_cndmask_b32_e64 v100, 0, v85, s13
	v_dual_mul_f32 v85, 0x3fb8aa3b, v99 :: v_dual_add_f32 v82, v82, v96
	v_cndmask_b32_e64 v99, 0, v86, s15
	s_delay_alu instid0(VALU_DEP_2) | instskip(NEXT) | instid1(VALU_DEP_2)
	v_exp_f32_e32 v85, v85
	v_add_f32_e32 v82, v82, v95
	s_delay_alu instid0(VALU_DEP_1) | instskip(SKIP_3) | instid1(VALU_DEP_1)
	v_add_f32_e32 v82, v82, v98
	s_waitcnt_depctr 0xfff
	v_cndmask_b32_e64 v101, 0, v85, s17
	v_add_f32_e32 v82, v82, v97
	v_add_f32_e32 v82, v82, v100
	s_delay_alu instid0(VALU_DEP_1) | instskip(NEXT) | instid1(VALU_DEP_1)
	v_add_f32_e32 v82, v82, v99
	v_add_f32_e32 v82, v82, v102
	s_delay_alu instid0(VALU_DEP_1)
	v_add_f32_e32 v82, v82, v101
	ds_bpermute_b32 v83, v83, v82
	v_cmpx_gt_u32_e32 16, v80
	s_cbranch_execz .LBB371_14
; %bb.13:
	v_mul_u32_u24_e32 v80, 0x44, v78
	s_waitcnt lgkmcnt(0)
	v_add_f32_e32 v82, v82, v83
	s_delay_alu instid0(VALU_DEP_2) | instskip(NEXT) | instid1(VALU_DEP_1)
	v_lshl_add_u32 v80, v77, 2, v80
	v_add_nc_u32_e32 v80, 0x4000, v80
	ds_store_2addr_b32 v80, v81, v82 offset1:136
.LBB371_14:
	s_or_b32 exec_lo, exec_lo, s2
	v_lshlrev_b32_e32 v80, 2, v77
	s_load_b32 s34, s[0:1], 0x94
	s_waitcnt lgkmcnt(0)
	s_barrier
	buffer_gl0_inv
	v_add_nc_u32_e32 v84, 0x4000, v80
	v_cmp_eq_u32_e32 vcc_lo, 1, v78
	v_cmp_eq_u32_e64 s2, 2, v78
	v_cmp_eq_u32_e64 s3, 3, v78
	;; [unrolled: 1-line block ×3, first 2 shown]
	ds_load_2addr_b32 v[80:81], v84 offset1:17
	ds_load_2addr_b32 v[82:83], v84 offset0:34 offset1:51
	ds_load_2addr_b32 v[103:104], v84 offset0:68 offset1:85
	;; [unrolled: 1-line block ×3, first 2 shown]
	v_cmp_eq_u32_e64 s5, 7, v78
	s_waitcnt lgkmcnt(3)
	v_max3_f32 v85, v80, 0xff7fffff, v81
	s_waitcnt lgkmcnt(2)
	s_delay_alu instid0(VALU_DEP_1) | instskip(SKIP_1) | instid1(VALU_DEP_1)
	v_max3_f32 v85, v85, v82, v83
	s_waitcnt lgkmcnt(1)
	v_max3_f32 v85, v85, v103, v104
	s_waitcnt lgkmcnt(0)
	s_delay_alu instid0(VALU_DEP_1) | instskip(NEXT) | instid1(VALU_DEP_1)
	v_max3_f32 v85, v85, v105, v106
	v_sub_f32_e32 v103, v103, v85
	ds_load_2addr_b32 v[107:108], v84 offset0:136 offset1:153
	v_sub_f32_e32 v80, v80, v85
	v_dual_sub_f32 v110, v83, v85 :: v_dual_mul_f32 v113, 0x3fb8aa3b, v103
	s_delay_alu instid0(VALU_DEP_2) | instskip(SKIP_3) | instid1(VALU_DEP_1)
	v_dual_sub_f32 v86, v81, v85 :: v_dual_mul_f32 v109, 0x3fb8aa3b, v80
	ds_load_2addr_b32 v[80:81], v84 offset0:170 offset1:187
	v_mul_f32_e32 v86, 0x3fb8aa3b, v86
	v_exp_f32_e32 v109, v109
	v_exp_f32_e32 v112, v86
	v_mul_f32_e32 v110, 0x3fb8aa3b, v110
	s_waitcnt lgkmcnt(1)
	s_waitcnt_depctr 0xfff
	v_fma_f32 v86, v109, v107, 0
	v_sub_f32_e32 v107, v104, v85
	v_sub_f32_e32 v82, v82, v85
	v_exp_f32_e32 v110, v110
	ds_load_2addr_b32 v[103:104], v84 offset0:238 offset1:255
	v_dual_fmac_f32 v86, v112, v108 :: v_dual_mul_f32 v111, 0x3fb8aa3b, v82
	ds_load_2addr_b32 v[82:83], v84 offset0:204 offset1:221
	v_dual_sub_f32 v84, v105, v85 :: v_dual_mul_f32 v105, 0x3fb8aa3b, v107
	v_exp_f32_e32 v107, v113
	v_exp_f32_e32 v111, v111
	s_waitcnt lgkmcnt(0)
	s_delay_alu instid0(VALU_DEP_1)
	v_mul_f32_e32 v84, 0x3fb8aa3b, v84
	v_exp_f32_e32 v105, v105
	s_barrier
	buffer_gl0_inv
	v_fmac_f32_e32 v86, v111, v80
	v_sub_f32_e32 v80, v106, v85
	v_exp_f32_e32 v106, v84
	s_delay_alu instid0(VALU_DEP_2) | instskip(NEXT) | instid1(VALU_DEP_2)
	v_fmac_f32_e32 v86, v110, v81
	v_mul_f32_e32 v80, 0x3fb8aa3b, v80
	s_delay_alu instid0(VALU_DEP_2) | instskip(NEXT) | instid1(VALU_DEP_2)
	v_dual_cndmask_b32 v81, v109, v112 :: v_dual_fmac_f32 v86, v107, v82
	v_exp_f32_e32 v108, v80
	s_delay_alu instid0(VALU_DEP_1) | instskip(SKIP_2) | instid1(VALU_DEP_1)
	v_fmac_f32_e32 v86, v105, v83
	s_waitcnt_depctr 0xfff
	v_fmac_f32_e32 v86, v106, v103
	v_fmac_f32_e32 v86, v108, v104
	s_delay_alu instid0(VALU_DEP_1) | instskip(NEXT) | instid1(VALU_DEP_1)
	v_add_f32_e32 v103, 0x358637bd, v86
	v_div_scale_f32 v104, null, v103, v103, 1.0
	v_div_scale_f32 v109, vcc_lo, 1.0, v103, 1.0
	s_delay_alu instid0(VALU_DEP_2) | instskip(SKIP_2) | instid1(VALU_DEP_1)
	v_rcp_f32_e32 v113, v104
	s_waitcnt_depctr 0xfff
	v_fma_f32 v80, -v104, v113, 1.0
	v_fmac_f32_e32 v113, v80, v113
	v_cndmask_b32_e64 v80, v81, v111, s2
	v_cmp_eq_u32_e64 s2, 4, v78
	v_lshl_or_b32 v81, v78, 11, v79
	s_delay_alu instid0(VALU_DEP_4) | instskip(NEXT) | instid1(VALU_DEP_4)
	v_mul_f32_e32 v111, v109, v113
	v_cndmask_b32_e64 v82, v80, v110, s3
	v_cmp_eq_u32_e64 s3, 6, v78
	s_delay_alu instid0(VALU_DEP_4) | instskip(SKIP_3) | instid1(VALU_DEP_3)
	v_lshl_or_b32 v78, v75, 4, v81
	v_lshlrev_b32_e32 v80, 2, v75
	v_fma_f32 v83, -v104, v111, v109
	v_cndmask_b32_e64 v84, v82, v107, s2
	v_or_b32_e32 v82, 1, v80
	s_delay_alu instid0(VALU_DEP_3) | instskip(NEXT) | instid1(VALU_DEP_3)
	v_fmac_f32_e32 v111, v83, v113
	v_cndmask_b32_e64 v105, v84, v105, s4
	v_or_b32_e32 v84, 2, v80
	v_or_b32_e32 v83, 3, v80
	v_cmp_eq_u32_e64 s2, 1, v80
	v_fma_f32 v104, -v104, v111, v109
	v_cndmask_b32_e64 v105, v105, v106, s3
	v_cmp_eq_u32_e64 s8, 1, v82
	v_cmp_eq_u32_e64 s9, 1, v84
	;; [unrolled: 1-line block ×3, first 2 shown]
	v_div_fmas_f32 v104, v104, v113, v111
	v_cndmask_b32_e64 v105, v105, v108, s5
	v_cmp_eq_u32_e32 vcc_lo, 2, v80
	v_cmp_eq_u32_e64 s11, 2, v82
	v_cmp_eq_u32_e64 s13, 2, v84
	v_div_fixup_f32 v103, v104, v103, 1.0
	v_cmp_eq_u32_e64 s15, 2, v83
	v_cmp_eq_u32_e64 s17, 3, v83
	;; [unrolled: 1-line block ×4, first 2 shown]
	v_mul_f32_e32 v111, v105, v103
	v_cmp_eq_u32_e64 s16, 3, v84
	v_cmp_eq_u32_e64 s21, 4, v83
	;; [unrolled: 1-line block ×4, first 2 shown]
	v_fma_mixlo_f16 v103, v111, v88, 0
	v_fma_mixlo_f16 v104, v111, v90, 0
	;; [unrolled: 1-line block ×8, first 2 shown]
	v_fma_mixhi_f16 v103, v111, v87, 0
	v_fma_mixhi_f16 v104, v111, v89, 0
	;; [unrolled: 1-line block ×8, first 2 shown]
	ds_store_b128 v78, v[103:106]
	ds_store_b128 v78, v[107:110] offset:1024
	s_waitcnt lgkmcnt(0)
	s_barrier
	buffer_gl0_inv
	ds_load_b128 v[87:90], v81
	ds_load_b128 v[91:94], v81 offset:16
	ds_load_b128 v[95:98], v81 offset:1024
	;; [unrolled: 1-line block ×3, first 2 shown]
	v_cmp_eq_u32_e64 s20, 4, v84
	v_cmp_eq_u32_e64 s23, 5, v83
	;; [unrolled: 1-line block ×13, first 2 shown]
	s_waitcnt lgkmcnt(3)
	v_lshrrev_b32_e32 v103, 16, v87
	s_waitcnt lgkmcnt(2)
	v_lshrrev_b32_e32 v107, 16, v91
	;; [unrolled: 2-line block ×4, first 2 shown]
	v_lshrrev_b32_e32 v104, 16, v88
	v_cndmask_b32_e64 v119, v87, v103, s2
	v_cndmask_b32_e64 v120, v91, v107, s2
	v_cndmask_b32_e64 v121, v87, v103, s8
	v_cndmask_b32_e64 v122, v91, v107, s8
	v_cndmask_b32_e64 v123, v87, v103, s9
	v_cndmask_b32_e64 v124, v91, v107, s9
	v_cndmask_b32_e64 v87, v87, v103, s10
	v_cndmask_b32_e64 v91, v91, v107, s10
	v_lshrrev_b32_e32 v108, 16, v92
	v_cndmask_b32_e64 v103, v95, v111, s2
	v_cndmask_b32_e64 v107, v99, v115, s2
	;; [unrolled: 1-line block ×5, first 2 shown]
	v_cndmask_b32_e32 v111, v119, v88, vcc_lo
	v_cndmask_b32_e64 v119, v121, v88, s11
	v_cndmask_b32_e64 v121, v123, v88, s13
	v_cndmask_b32_e64 v87, v87, v88, s15
	v_cndmask_b32_e64 v88, v91, v92, s15
	v_lshrrev_b32_e32 v112, 16, v96
	v_lshrrev_b32_e32 v116, 16, v100
	v_cndmask_b32_e64 v126, v99, v115, s8
	v_cndmask_b32_e64 v128, v99, v115, s9
	;; [unrolled: 1-line block ×3, first 2 shown]
	v_cndmask_b32_e32 v115, v120, v92, vcc_lo
	v_cndmask_b32_e64 v120, v122, v92, s11
	v_cndmask_b32_e64 v122, v124, v92, s13
	v_cndmask_b32_e32 v91, v103, v96, vcc_lo
	v_cndmask_b32_e32 v92, v107, v100, vcc_lo
	v_cndmask_b32_e64 v103, v125, v96, s11
	v_cndmask_b32_e64 v87, v87, v104, s17
	;; [unrolled: 1-line block ×3, first 2 shown]
	v_lshrrev_b32_e32 v105, 16, v89
	v_lshrrev_b32_e32 v109, 16, v93
	v_cndmask_b32_e64 v107, v127, v96, s13
	v_cndmask_b32_e64 v95, v95, v96, s15
	;; [unrolled: 1-line block ×14, first 2 shown]
	v_lshrrev_b32_e32 v113, 16, v97
	v_cndmask_b32_e64 v99, v99, v89, s4
	v_cndmask_b32_e64 v104, v111, v93, s4
	;; [unrolled: 1-line block ×11, first 2 shown]
	v_lshrrev_b32_e32 v106, 16, v90
	v_lshrrev_b32_e32 v110, 16, v94
	v_cndmask_b32_e64 v93, v99, v105, s5
	v_cndmask_b32_e64 v99, v104, v109, s5
	;; [unrolled: 1-line block ×9, first 2 shown]
	v_lshrrev_b32_e32 v114, 16, v98
	v_cndmask_b32_e64 v89, v89, v113, s5
	v_cndmask_b32_e64 v93, v93, v90, s6
	;; [unrolled: 1-line block ×19, first 2 shown]
	v_perm_b32 v90, v88, v87, 0x5040100
	v_cndmask_b32_e64 v87, v126, v100, s11
	v_cndmask_b32_e64 v105, v89, v114, s7
	v_perm_b32 v89, v103, v99, 0x5040100
	v_perm_b32 v88, v104, v94, 0x5040100
	v_cndmask_b32_e64 v94, v107, v112, s16
	v_cndmask_b32_e64 v95, v95, v112, s17
	;; [unrolled: 1-line block ×5, first 2 shown]
	v_lshrrev_b32_e32 v117, 16, v101
	v_cndmask_b32_e64 v94, v94, v97, s20
	v_cndmask_b32_e64 v95, v95, v97, s21
	;; [unrolled: 1-line block ×11, first 2 shown]
	v_lshrrev_b32_e32 v118, 16, v102
	v_cndmask_b32_e64 v91, v91, v102, s6
	v_cndmask_b32_e64 v94, v94, v98, s25
	;; [unrolled: 1-line block ×12, first 2 shown]
	v_perm_b32 v87, v93, v92, 0x5040100
	v_perm_b32 v94, v95, v94, 0x5040100
	;; [unrolled: 1-line block ×5, first 2 shown]
	s_mul_i32 s6, s33, 6
	s_mov_b32 s2, exec_lo
	ds_store_b128 v78, v[87:90]
	ds_store_b128 v78, v[91:94] offset:1024
	v_cmpx_gt_u32_e32 6, v0
	s_cbranch_execz .LBB371_16
; %bb.15:
	s_mul_i32 s3, s6, s30
	s_load_b128 s[8:11], s[0:1], 0x58
	v_add3_u32 v77, s3, s31, v77
	s_delay_alu instid0(VALU_DEP_1) | instskip(NEXT) | instid1(VALU_DEP_1)
	v_mad_u64_u32 v[87:88], null, v77, s34, s[14:15]
	v_ashrrev_i32_e32 v88, 31, v87
	s_delay_alu instid0(VALU_DEP_1) | instskip(SKIP_1) | instid1(VALU_DEP_1)
	v_lshlrev_b64 v[87:88], 2, v[87:88]
	s_waitcnt lgkmcnt(0)
	v_add_co_u32 v89, vcc_lo, s10, v87
	s_delay_alu instid0(VALU_DEP_2)
	v_add_co_ci_u32_e32 v90, vcc_lo, s11, v88, vcc_lo
	v_add_co_u32 v87, vcc_lo, s8, v87
	v_add_co_ci_u32_e32 v88, vcc_lo, s9, v88, vcc_lo
	global_store_b32 v[89:90], v85, off
	global_store_b32 v[87:88], v86, off
.LBB371_16:
	s_or_b32 exec_lo, exec_lo, s2
	s_waitcnt lgkmcnt(0)
	s_waitcnt_vscnt null, 0x0
	s_barrier
	buffer_gl0_inv
	ds_load_b128 v[93:96], v79
	ds_load_b128 v[97:100], v79 offset:16
	ds_load_b128 v[105:108], v79 offset:1040
	;; [unrolled: 1-line block ×5, first 2 shown]
	v_cmp_eq_u32_e32 vcc_lo, 1, v84
	v_mov_b32_e32 v85, 0
	ds_load_b128 v[121:124], v79 offset:3088
	ds_load_b128 v[117:120], v79 offset:3072
	;; [unrolled: 1-line block ×4, first 2 shown]
	v_cmp_eq_u32_e64 s2, 1, v80
	v_cmp_eq_u32_e64 s3, 1, v83
	;; [unrolled: 1-line block ×3, first 2 shown]
	v_mov_b32_e32 v86, v85
	v_mov_b32_e32 v87, v85
	v_mov_b32_e32 v88, v85
	v_mov_b32_e32 v89, v85
	v_mov_b32_e32 v90, v85
	v_mov_b32_e32 v91, v85
	v_mov_b32_e32 v92, v85
	v_cmp_eq_u32_e64 s5, 2, v80
	s_waitcnt lgkmcnt(8)
	s_delay_alu instid0(VALU_DEP_2)
	v_wmma_f32_16x16x16_f16 v[85:92], v[65:72], v[93:100], v[85:92]
	ds_load_b128 v[69:72], v79 offset:5136
	ds_load_b128 v[65:68], v79 offset:5120
	;; [unrolled: 1-line block ×4, first 2 shown]
	s_waitcnt lgkmcnt(10)
	v_wmma_f32_16x16x16_f16 v[85:92], v[57:64], v[101:108], v[85:92]
	s_waitcnt lgkmcnt(8)
	s_delay_alu instid0(VALU_DEP_1)
	v_wmma_f32_16x16x16_f16 v[85:92], v[57:64], v[109:116], v[85:92]
	ds_load_b128 v[61:64], v79 offset:7184
	ds_load_b128 v[57:60], v79 offset:7168
	ds_load_b128 v[105:108], v79 offset:8208
	ds_load_b128 v[101:104], v79 offset:8192
	s_waitcnt lgkmcnt(10)
	v_wmma_f32_16x16x16_f16 v[85:92], v[49:56], v[117:124], v[85:92]
	s_waitcnt lgkmcnt(8)
	s_delay_alu instid0(VALU_DEP_1)
	v_wmma_f32_16x16x16_f16 v[85:92], v[49:56], v[125:132], v[85:92]
	ds_load_b128 v[53:56], v79 offset:9232
	ds_load_b128 v[49:52], v79 offset:9216
	s_waitcnt lgkmcnt(8)
	v_wmma_f32_16x16x16_f16 v[85:92], v[41:48], v[65:72], v[85:92]
	ds_load_b128 v[69:72], v79 offset:10256
	ds_load_b128 v[65:68], v79 offset:10240
	s_waitcnt lgkmcnt(8)
	;; [unrolled: 4-line block ×7, first 2 shown]
	s_barrier
	buffer_gl0_inv
	v_wmma_f32_16x16x16_f16 v[85:92], v[33:40], v[41:48], v[85:92]
	s_delay_alu instid0(VALU_DEP_1) | instskip(NEXT) | instid1(VALU_DEP_1)
	v_wmma_f32_16x16x16_f16 v[85:92], v[33:40], v[57:64], v[85:92]
	v_wmma_f32_16x16x16_f16 v[85:92], v[25:32], v[9:16], v[85:92]
	s_delay_alu instid0(VALU_DEP_1) | instskip(NEXT) | instid1(VALU_DEP_1)
	v_wmma_f32_16x16x16_f16 v[85:92], v[25:32], v[49:56], v[85:92]
	v_wmma_f32_16x16x16_f16 v[85:92], v[17:24], v[1:8], v[85:92]
	s_delay_alu instid0(VALU_DEP_1) | instskip(NEXT) | instid1(VALU_DEP_2)
	v_cvt_f16_f32_e32 v1, v85
	v_cvt_f16_f32_e32 v2, v86
	s_delay_alu instid0(VALU_DEP_3) | instskip(NEXT) | instid1(VALU_DEP_4)
	v_cvt_f16_f32_e32 v3, v87
	v_cvt_f16_f32_e32 v4, v88
	;; [unrolled: 1-line block ×6, first 2 shown]
	v_pack_b32_f16 v1, v1, v2
	v_pack_b32_f16 v2, v3, v4
	;; [unrolled: 1-line block ×3, first 2 shown]
	s_delay_alu instid0(VALU_DEP_4)
	v_pack_b32_f16 v4, v7, v8
	ds_store_b128 v78, v[1:4]
	s_waitcnt lgkmcnt(0)
	s_barrier
	buffer_gl0_inv
	ds_load_b128 v[1:4], v81
	ds_load_b128 v[5:8], v81 offset:16
	s_waitcnt lgkmcnt(1)
	v_lshrrev_b32_e32 v9, 16, v1
	s_waitcnt lgkmcnt(0)
	v_lshrrev_b32_e32 v13, 16, v5
	v_lshrrev_b32_e32 v15, 16, v7
	;; [unrolled: 1-line block ×4, first 2 shown]
	v_cndmask_b32_e64 v17, v1, v9, s2
	v_cndmask_b32_e64 v18, v5, v13, s2
	;; [unrolled: 1-line block ×3, first 2 shown]
	v_cmp_eq_u32_e64 s2, 2, v82
	v_cndmask_b32_e64 v20, v5, v13, s4
	v_cndmask_b32_e32 v21, v1, v9, vcc_lo
	v_cndmask_b32_e32 v22, v5, v13, vcc_lo
	v_cndmask_b32_e64 v1, v1, v9, s3
	v_cndmask_b32_e64 v5, v5, v13, s3
	v_cmp_eq_u32_e32 vcc_lo, 2, v84
	v_cmp_eq_u32_e64 s3, 2, v83
	v_cndmask_b32_e64 v9, v17, v2, s5
	v_cndmask_b32_e64 v13, v18, v6, s5
	;; [unrolled: 1-line block ×4, first 2 shown]
	v_cndmask_b32_e32 v19, v21, v2, vcc_lo
	v_cmp_eq_u32_e64 s2, 3, v84
	v_cndmask_b32_e32 v20, v22, v6, vcc_lo
	v_cndmask_b32_e64 v1, v1, v2, s3
	v_cmp_eq_u32_e32 vcc_lo, 3, v83
	v_cmp_eq_u32_e64 s4, 3, v80
	v_cndmask_b32_e64 v2, v5, v6, s3
	v_cmp_eq_u32_e64 s3, 3, v82
	v_lshrrev_b32_e32 v16, 16, v8
	v_cmp_eq_u32_e64 s5, 4, v80
	v_cndmask_b32_e64 v5, v9, v10, s4
	v_cndmask_b32_e64 v6, v13, v14, s4
	;; [unrolled: 1-line block ×3, first 2 shown]
	v_cmp_eq_u32_e64 s4, 4, v82
	v_cndmask_b32_e64 v13, v18, v14, s3
	v_cndmask_b32_e64 v17, v19, v10, s2
	;; [unrolled: 1-line block ×3, first 2 shown]
	v_cndmask_b32_e32 v1, v1, v10, vcc_lo
	v_cndmask_b32_e32 v2, v2, v14, vcc_lo
	v_cmp_eq_u32_e32 vcc_lo, 4, v84
	v_cmp_eq_u32_e64 s3, 4, v83
	v_lshrrev_b32_e32 v11, 16, v3
	v_cndmask_b32_e64 v5, v5, v3, s5
	v_cndmask_b32_e64 v6, v6, v7, s5
	;; [unrolled: 1-line block ×4, first 2 shown]
	v_cndmask_b32_e32 v13, v17, v3, vcc_lo
	v_cmp_eq_u32_e64 s2, 5, v84
	v_cndmask_b32_e32 v14, v18, v7, vcc_lo
	v_cndmask_b32_e64 v1, v1, v3, s3
	v_cmp_eq_u32_e32 vcc_lo, 5, v83
	v_cmp_eq_u32_e64 s4, 5, v80
	v_cndmask_b32_e64 v2, v2, v7, s3
	v_cmp_eq_u32_e64 s3, 5, v82
	v_cmp_eq_u32_e64 s5, 6, v80
	v_cndmask_b32_e32 v1, v1, v11, vcc_lo
	v_cndmask_b32_e64 v3, v5, v11, s4
	v_cndmask_b32_e64 v5, v6, v15, s4
	;; [unrolled: 1-line block ×3, first 2 shown]
	v_cmp_eq_u32_e64 s4, 6, v82
	v_cndmask_b32_e64 v7, v10, v15, s3
	v_cndmask_b32_e64 v9, v13, v11, s2
	;; [unrolled: 1-line block ×3, first 2 shown]
	v_cndmask_b32_e32 v2, v2, v15, vcc_lo
	v_cmp_eq_u32_e32 vcc_lo, 6, v84
	v_cmp_eq_u32_e64 s2, 6, v83
	v_lshrrev_b32_e32 v12, 16, v4
	v_cndmask_b32_e64 v3, v3, v4, s5
	v_cndmask_b32_e64 v5, v5, v8, s5
	;; [unrolled: 1-line block ×4, first 2 shown]
	v_cndmask_b32_e32 v9, v9, v4, vcc_lo
	v_cmp_eq_u32_e64 s3, 7, v84
	v_cndmask_b32_e32 v10, v10, v8, vcc_lo
	v_cndmask_b32_e64 v1, v1, v4, s2
	v_cmp_eq_u32_e32 vcc_lo, 7, v83
	v_cndmask_b32_e64 v2, v2, v8, s2
	v_cmp_eq_u32_e64 s2, 7, v80
	v_cmp_eq_u32_e64 s4, 7, v82
	v_cndmask_b32_e32 v1, v1, v12, vcc_lo
	s_delay_alu instid0(VALU_DEP_4) | instskip(NEXT) | instid1(VALU_DEP_4)
	v_cndmask_b32_e32 v2, v2, v16, vcc_lo
	v_cndmask_b32_e64 v8, v3, v12, s2
	s_delay_alu instid0(VALU_DEP_4)
	v_cndmask_b32_e64 v6, v6, v12, s4
	v_cndmask_b32_e64 v3, v9, v12, s3
	v_cndmask_b32_e64 v9, v10, v16, s3
	v_cndmask_b32_e64 v7, v7, v16, s4
	v_cndmask_b32_e64 v5, v5, v16, s2
	v_perm_b32 v4, v2, v1, 0x5040100
	s_mov_b32 s2, exec_lo
	v_perm_b32 v3, v9, v3, 0x5040100
	v_perm_b32 v2, v7, v6, 0x5040100
	;; [unrolled: 1-line block ×3, first 2 shown]
	ds_store_b128 v78, v[1:4]
	s_waitcnt lgkmcnt(0)
	s_barrier
	buffer_gl0_inv
	v_cmpx_gt_u32_e32 32, v0
	s_cbranch_execz .LBB371_2
; %bb.17:
	s_load_b64 s[0:1], s[0:1], 0x68
	s_lshl_b32 s4, s34, 7
	v_or_b32_e32 v3, s31, v75
	s_mul_i32 s2, s4, s30
	v_lshlrev_b32_e32 v0, 10, v0
	s_mul_i32 s2, s2, s6
	v_lshlrev_b32_e32 v1, 4, v76
	s_ashr_i32 s3, s2, 31
	v_mul_lo_u32 v12, v3, s4
	s_lshl_b64 s[2:3], s[2:3], 1
	v_lshlrev_b32_e32 v2, 6, v75
	v_and_b32_e32 v0, 0x3800, v0
	s_delay_alu instid0(VALU_DEP_1) | instskip(NEXT) | instid1(VALU_DEP_4)
	v_or3_b32 v8, v0, v1, v2
	v_ashrrev_i32_e32 v13, 31, v12
	ds_load_b128 v[0:3], v8
	ds_load_b128 v[4:7], v8 offset:128
	ds_load_b128 v[8:11], v8 offset:256
	s_waitcnt lgkmcnt(0)
	s_add_u32 s2, s0, s2
	s_addc_u32 s3, s1, s3
	s_lshl_b32 s0, s14, 7
	s_delay_alu instid0(SALU_CYCLE_1) | instskip(NEXT) | instid1(SALU_CYCLE_1)
	s_ashr_i32 s1, s0, 31
	s_lshl_b64 s[0:1], s[0:1], 1
	s_delay_alu instid0(SALU_CYCLE_1)
	s_add_u32 s0, s2, s0
	s_addc_u32 s1, s3, s1
	s_lshl_b32 s2, s34, 8
	v_add_co_u32 v18, vcc_lo, s0, v73
	v_add_nc_u32_e32 v14, s2, v12
	v_lshlrev_b64 v[12:13], 1, v[12:13]
	v_add_co_ci_u32_e32 v19, vcc_lo, s1, v74, vcc_lo
	s_delay_alu instid0(VALU_DEP_3) | instskip(SKIP_1) | instid1(VALU_DEP_4)
	v_add_nc_u32_e32 v16, s2, v14
	v_ashrrev_i32_e32 v15, 31, v14
	v_add_co_u32 v12, vcc_lo, v18, v12
	s_delay_alu instid0(VALU_DEP_4) | instskip(NEXT) | instid1(VALU_DEP_4)
	v_add_co_ci_u32_e32 v13, vcc_lo, v19, v13, vcc_lo
	v_ashrrev_i32_e32 v17, 31, v16
	s_delay_alu instid0(VALU_DEP_4) | instskip(NEXT) | instid1(VALU_DEP_2)
	v_lshlrev_b64 v[14:15], 1, v[14:15]
	v_lshlrev_b64 v[16:17], 1, v[16:17]
	s_delay_alu instid0(VALU_DEP_2) | instskip(NEXT) | instid1(VALU_DEP_3)
	v_add_co_u32 v14, vcc_lo, v18, v14
	v_add_co_ci_u32_e32 v15, vcc_lo, v19, v15, vcc_lo
	s_delay_alu instid0(VALU_DEP_3) | instskip(NEXT) | instid1(VALU_DEP_4)
	v_add_co_u32 v16, vcc_lo, v18, v16
	v_add_co_ci_u32_e32 v17, vcc_lo, v19, v17, vcc_lo
	s_clause 0x2
	global_store_b128 v[12:13], v[0:3], off
	global_store_b128 v[14:15], v[4:7], off
	;; [unrolled: 1-line block ×3, first 2 shown]
	s_nop 0
	s_sendmsg sendmsg(MSG_DEALLOC_VGPRS)
	s_endpgm
	.section	.rodata,"a",@progbits
	.p2align	6, 0x0
	.amdhsa_kernel _Z39paged_attention_ll4mi_QKV_mfma16_kernelIDF16_DF16_LN4vllm18Fp8KVCacheDataTypeE0EDF16_Li32ELi128ELi256ELb0ELi6EL8MFMAType0EEvPKT_PKT0_S8_ifPKiSA_SA_iPKfiiiPfSD_PS3_PT2_iSC_SC_
		.amdhsa_group_segment_fixed_size 17472
		.amdhsa_private_segment_fixed_size 0
		.amdhsa_kernarg_size 400
		.amdhsa_user_sgpr_count 13
		.amdhsa_user_sgpr_dispatch_ptr 0
		.amdhsa_user_sgpr_queue_ptr 0
		.amdhsa_user_sgpr_kernarg_segment_ptr 1
		.amdhsa_user_sgpr_dispatch_id 0
		.amdhsa_user_sgpr_private_segment_size 0
		.amdhsa_wavefront_size32 1
		.amdhsa_uses_dynamic_stack 0
		.amdhsa_enable_private_segment 0
		.amdhsa_system_sgpr_workgroup_id_x 1
		.amdhsa_system_sgpr_workgroup_id_y 1
		.amdhsa_system_sgpr_workgroup_id_z 1
		.amdhsa_system_sgpr_workgroup_info 0
		.amdhsa_system_vgpr_workitem_id 0
		.amdhsa_next_free_vgpr 172
		.amdhsa_next_free_sgpr 38
		.amdhsa_reserve_vcc 1
		.amdhsa_float_round_mode_32 0
		.amdhsa_float_round_mode_16_64 0
		.amdhsa_float_denorm_mode_32 3
		.amdhsa_float_denorm_mode_16_64 3
		.amdhsa_dx10_clamp 1
		.amdhsa_ieee_mode 1
		.amdhsa_fp16_overflow 0
		.amdhsa_workgroup_processor_mode 1
		.amdhsa_memory_ordered 1
		.amdhsa_forward_progress 0
		.amdhsa_shared_vgpr_count 0
		.amdhsa_exception_fp_ieee_invalid_op 0
		.amdhsa_exception_fp_denorm_src 0
		.amdhsa_exception_fp_ieee_div_zero 0
		.amdhsa_exception_fp_ieee_overflow 0
		.amdhsa_exception_fp_ieee_underflow 0
		.amdhsa_exception_fp_ieee_inexact 0
		.amdhsa_exception_int_div_zero 0
	.end_amdhsa_kernel
	.section	.text._Z39paged_attention_ll4mi_QKV_mfma16_kernelIDF16_DF16_LN4vllm18Fp8KVCacheDataTypeE0EDF16_Li32ELi128ELi256ELb0ELi6EL8MFMAType0EEvPKT_PKT0_S8_ifPKiSA_SA_iPKfiiiPfSD_PS3_PT2_iSC_SC_,"axG",@progbits,_Z39paged_attention_ll4mi_QKV_mfma16_kernelIDF16_DF16_LN4vllm18Fp8KVCacheDataTypeE0EDF16_Li32ELi128ELi256ELb0ELi6EL8MFMAType0EEvPKT_PKT0_S8_ifPKiSA_SA_iPKfiiiPfSD_PS3_PT2_iSC_SC_,comdat
.Lfunc_end371:
	.size	_Z39paged_attention_ll4mi_QKV_mfma16_kernelIDF16_DF16_LN4vllm18Fp8KVCacheDataTypeE0EDF16_Li32ELi128ELi256ELb0ELi6EL8MFMAType0EEvPKT_PKT0_S8_ifPKiSA_SA_iPKfiiiPfSD_PS3_PT2_iSC_SC_, .Lfunc_end371-_Z39paged_attention_ll4mi_QKV_mfma16_kernelIDF16_DF16_LN4vllm18Fp8KVCacheDataTypeE0EDF16_Li32ELi128ELi256ELb0ELi6EL8MFMAType0EEvPKT_PKT0_S8_ifPKiSA_SA_iPKfiiiPfSD_PS3_PT2_iSC_SC_
                                        ; -- End function
	.section	.AMDGPU.csdata,"",@progbits
; Kernel info:
; codeLenInByte = 7496
; NumSgprs: 40
; NumVgprs: 172
; ScratchSize: 0
; MemoryBound: 0
; FloatMode: 240
; IeeeMode: 1
; LDSByteSize: 17472 bytes/workgroup (compile time only)
; SGPRBlocks: 4
; VGPRBlocks: 21
; NumSGPRsForWavesPerEU: 40
; NumVGPRsForWavesPerEU: 172
; Occupancy: 8
; WaveLimiterHint : 1
; COMPUTE_PGM_RSRC2:SCRATCH_EN: 0
; COMPUTE_PGM_RSRC2:USER_SGPR: 13
; COMPUTE_PGM_RSRC2:TRAP_HANDLER: 0
; COMPUTE_PGM_RSRC2:TGID_X_EN: 1
; COMPUTE_PGM_RSRC2:TGID_Y_EN: 1
; COMPUTE_PGM_RSRC2:TGID_Z_EN: 1
; COMPUTE_PGM_RSRC2:TIDIG_COMP_CNT: 0
	.section	.text._Z39paged_attention_ll4mi_QKV_mfma16_kernelIDF16_DF16_LN4vllm18Fp8KVCacheDataTypeE0EDF16_Li32ELi128ELi256ELb0ELi7EL8MFMAType0EEvPKT_PKT0_S8_ifPKiSA_SA_iPKfiiiPfSD_PS3_PT2_iSC_SC_,"axG",@progbits,_Z39paged_attention_ll4mi_QKV_mfma16_kernelIDF16_DF16_LN4vllm18Fp8KVCacheDataTypeE0EDF16_Li32ELi128ELi256ELb0ELi7EL8MFMAType0EEvPKT_PKT0_S8_ifPKiSA_SA_iPKfiiiPfSD_PS3_PT2_iSC_SC_,comdat
	.protected	_Z39paged_attention_ll4mi_QKV_mfma16_kernelIDF16_DF16_LN4vllm18Fp8KVCacheDataTypeE0EDF16_Li32ELi128ELi256ELb0ELi7EL8MFMAType0EEvPKT_PKT0_S8_ifPKiSA_SA_iPKfiiiPfSD_PS3_PT2_iSC_SC_ ; -- Begin function _Z39paged_attention_ll4mi_QKV_mfma16_kernelIDF16_DF16_LN4vllm18Fp8KVCacheDataTypeE0EDF16_Li32ELi128ELi256ELb0ELi7EL8MFMAType0EEvPKT_PKT0_S8_ifPKiSA_SA_iPKfiiiPfSD_PS3_PT2_iSC_SC_
	.globl	_Z39paged_attention_ll4mi_QKV_mfma16_kernelIDF16_DF16_LN4vllm18Fp8KVCacheDataTypeE0EDF16_Li32ELi128ELi256ELb0ELi7EL8MFMAType0EEvPKT_PKT0_S8_ifPKiSA_SA_iPKfiiiPfSD_PS3_PT2_iSC_SC_
	.p2align	8
	.type	_Z39paged_attention_ll4mi_QKV_mfma16_kernelIDF16_DF16_LN4vllm18Fp8KVCacheDataTypeE0EDF16_Li32ELi128ELi256ELb0ELi7EL8MFMAType0EEvPKT_PKT0_S8_ifPKiSA_SA_iPKfiiiPfSD_PS3_PT2_iSC_SC_,@function
_Z39paged_attention_ll4mi_QKV_mfma16_kernelIDF16_DF16_LN4vllm18Fp8KVCacheDataTypeE0EDF16_Li32ELi128ELi256ELb0ELi7EL8MFMAType0EEvPKT_PKT0_S8_ifPKiSA_SA_iPKfiiiPfSD_PS3_PT2_iSC_SC_: ; @_Z39paged_attention_ll4mi_QKV_mfma16_kernelIDF16_DF16_LN4vllm18Fp8KVCacheDataTypeE0EDF16_Li32ELi128ELi256ELb0ELi7EL8MFMAType0EEvPKT_PKT0_S8_ifPKiSA_SA_iPKfiiiPfSD_PS3_PT2_iSC_SC_
; %bb.0:
	s_load_b64 s[2:3], s[0:1], 0x30
	s_mov_b32 s34, s13
	s_waitcnt lgkmcnt(0)
	s_cmp_lg_u64 s[2:3], 0
	s_cselect_b32 s6, -1, 0
	s_ashr_i32 s35, s13, 31
	s_cmp_eq_u64 s[2:3], 0
	s_cbranch_scc1 .LBB372_3
; %bb.1:
	s_lshl_b64 s[4:5], s[34:35], 2
	s_delay_alu instid0(SALU_CYCLE_1) | instskip(SKIP_4) | instid1(SALU_CYCLE_1)
	s_add_u32 s4, s2, s4
	s_addc_u32 s5, s3, s5
	s_load_b64 s[4:5], s[4:5], 0x0
	s_waitcnt lgkmcnt(0)
	s_sub_i32 s4, s5, s4
	s_cmp_eq_u32 s4, 1
	s_cselect_b32 s4, -1, 0
	s_delay_alu instid0(SALU_CYCLE_1)
	s_and_not1_b32 vcc_lo, exec_lo, s4
	s_cbranch_vccz .LBB372_4
.LBB372_2:
	s_nop 0
	s_sendmsg sendmsg(MSG_DEALLOC_VGPRS)
	s_endpgm
.LBB372_3:
.LBB372_4:
	s_load_b64 s[8:9], s[0:1], 0x28
	s_lshl_b64 s[4:5], s[34:35], 2
	s_waitcnt lgkmcnt(0)
	s_add_u32 s8, s8, s4
	s_addc_u32 s9, s9, s5
	s_lshl_b32 s12, s14, 8
	s_load_b32 s17, s[8:9], 0x0
	s_waitcnt lgkmcnt(0)
	s_cmp_ge_i32 s12, s17
	s_cbranch_scc1 .LBB372_2
; %bb.5:
	s_and_not1_b32 vcc_lo, exec_lo, s6
	s_cbranch_vccnz .LBB372_7
; %bb.6:
	s_add_u32 s2, s2, s4
	s_addc_u32 s3, s3, s5
	s_load_b32 s13, s[2:3], 0x0
	s_branch .LBB372_8
.LBB372_7:
	s_mov_b32 s13, s34
.LBB372_8:
	s_clause 0x2
	s_load_b128 s[8:11], s[0:1], 0x8
	s_load_b64 s[2:3], s[0:1], 0x20
	s_load_b128 s[4:7], s[0:1], 0x48
	v_lshrrev_b32_e32 v78, 5, v0
	v_bfe_u32 v75, v0, 4, 1
	v_and_b32_e32 v77, 15, v0
	s_waitcnt lgkmcnt(0)
	s_mov_b32 s7, exec_lo
	s_delay_alu instid0(VALU_DEP_2) | instskip(NEXT) | instid1(VALU_DEP_2)
	v_lshl_or_b32 v3, v78, 1, v75
	v_lshlrev_b32_e32 v1, 3, v77
	s_delay_alu instid0(VALU_DEP_2)
	v_cmpx_lt_u32_e32 6, v3
	s_xor_b32 s7, exec_lo, s7
; %bb.9:
	v_mov_b32_e32 v2, 0
                                        ; implicit-def: $vgpr3
; %bb.10:
	s_or_saveexec_b32 s7, s7
	v_and_b32_e32 v80, 31, v0
	v_and_b32_e32 v76, 1, v0
	s_mul_i32 s31, s15, 7
	s_xor_b32 exec_lo, exec_lo, s7
	s_cbranch_execz .LBB372_12
; %bb.11:
	s_load_b64 s[18:19], s[0:1], 0x0
	v_add_lshl_u32 v4, v3, s31, 7
	s_mul_hi_i32 s21, s13, s4
	s_mul_i32 s20, s13, s4
	v_lshlrev_b32_e32 v2, 1, v1
	s_lshl_b64 s[20:21], s[20:21], 1
	v_ashrrev_i32_e32 v5, 31, v4
	v_lshlrev_b32_e32 v3, 6, v3
	v_lshlrev_b32_e32 v8, 10, v76
	s_delay_alu instid0(VALU_DEP_3) | instskip(SKIP_3) | instid1(VALU_DEP_1)
	v_lshlrev_b64 v[4:5], 1, v[4:5]
	s_waitcnt lgkmcnt(0)
	s_add_u32 s4, s18, s20
	s_addc_u32 s13, s19, s21
	v_add_co_u32 v4, vcc_lo, s4, v4
	s_delay_alu instid0(VALU_DEP_2) | instskip(NEXT) | instid1(VALU_DEP_2)
	v_add_co_ci_u32_e32 v5, vcc_lo, s13, v5, vcc_lo
	v_add_co_u32 v4, vcc_lo, v4, v2
	s_delay_alu instid0(VALU_DEP_2) | instskip(SKIP_3) | instid1(VALU_DEP_1)
	v_add_co_ci_u32_e32 v5, vcc_lo, 0, v5, vcc_lo
	v_lshlrev_b32_e32 v2, 10, v77
	global_load_b128 v[4:7], v[4:5], off
	v_and_b32_e32 v2, 0x3800, v2
	v_or3_b32 v3, v2, v8, v3
	v_mov_b32_e32 v2, 0
	s_waitcnt vmcnt(0)
	ds_store_b128 v3, v[4:7]
.LBB372_12:
	s_or_b32 exec_lo, exec_lo, s7
	v_and_b32_e32 v3, 0xef, v0
	s_add_i32 s4, s17, 31
	s_clause 0x1
	s_load_b32 s7, s[0:1], 0x38
	s_load_b32 s33, s[0:1], 0x98
	s_ashr_i32 s13, s4, 31
	v_add_nc_u32_e32 v3, s12, v3
	s_lshr_b32 s13, s13, 27
	s_load_b32 s18, s[0:1], 0x1c
	s_add_i32 s4, s4, s13
	s_waitcnt lgkmcnt(0)
	v_ashrrev_i32_e32 v4, 31, v3
	v_cmp_gt_i32_e32 vcc_lo, s17, v3
	s_ashr_i32 s4, s4, 5
	s_barrier
	s_add_i32 s4, s4, -1
	v_lshrrev_b32_e32 v5, 27, v4
	v_or_b32_e32 v4, 16, v3
	buffer_gl0_inv
	v_lshlrev_b64 v[73:74], 1, v[1:2]
	v_lshlrev_b32_e32 v79, 6, v77
	v_add_nc_u32_e32 v6, v3, v5
	v_add_nc_u32_e32 v5, v4, v5
	s_mul_i32 s20, s34, s7
	s_delay_alu instid0(SALU_CYCLE_1) | instskip(NEXT) | instid1(VALU_DEP_2)
	s_ashr_i32 s21, s20, 31
	v_ashrrev_i32_e32 v6, 5, v6
	s_delay_alu instid0(VALU_DEP_2) | instskip(SKIP_1) | instid1(SALU_CYCLE_1)
	v_ashrrev_i32_e32 v5, 5, v5
	s_lshl_b64 s[20:21], s[20:21], 2
	s_add_u32 s13, s2, s20
	s_delay_alu instid0(VALU_DEP_2) | instskip(SKIP_3) | instid1(SALU_CYCLE_1)
	v_cndmask_b32_e32 v3, s4, v6, vcc_lo
	v_cmp_gt_i32_e32 vcc_lo, s17, v4
	s_addc_u32 s16, s3, s21
	s_mul_i32 s2, s15, s6
	s_ashr_i32 s3, s2, 31
	v_cndmask_b32_e32 v5, s4, v5, vcc_lo
	v_ashrrev_i32_e32 v4, 31, v3
	s_lshl_b64 s[2:3], s[2:3], 1
	s_delay_alu instid0(SALU_CYCLE_1) | instskip(NEXT) | instid1(VALU_DEP_2)
	s_add_u32 s15, s8, s2
	v_ashrrev_i32_e32 v6, 31, v5
	s_delay_alu instid0(VALU_DEP_2) | instskip(SKIP_2) | instid1(VALU_DEP_2)
	v_lshlrev_b64 v[3:4], 2, v[3:4]
	s_addc_u32 s19, s9, s3
	s_lshl_b32 s6, s14, 3
	v_lshlrev_b64 v[5:6], 2, v[5:6]
	s_ashr_i32 s7, s6, 31
	s_delay_alu instid0(VALU_DEP_2) | instskip(SKIP_1) | instid1(VALU_DEP_3)
	v_add_co_u32 v3, vcc_lo, s13, v3
	v_add_co_ci_u32_e32 v4, vcc_lo, s16, v4, vcc_lo
	v_add_co_u32 v5, vcc_lo, s13, v5
	s_delay_alu instid0(VALU_DEP_4)
	v_add_co_ci_u32_e32 v6, vcc_lo, s16, v6, vcc_lo
	s_lshl_b64 s[6:7], s[6:7], 2
	s_clause 0x1
	global_load_b32 v7, v[3:4], off
	global_load_b32 v8, v[5:6], off
	s_add_u32 s6, s13, s6
	s_addc_u32 s7, s16, s7
	s_or_b32 s8, s12, 32
	s_delay_alu instid0(SALU_CYCLE_1) | instskip(SKIP_2) | instid1(SALU_CYCLE_1)
	s_ashr_i32 s9, s8, 5
	s_cmp_lt_i32 s8, s17
	s_cselect_b32 s8, s9, s4
	s_ashr_i32 s9, s8, 31
	s_delay_alu instid0(SALU_CYCLE_1) | instskip(NEXT) | instid1(SALU_CYCLE_1)
	s_lshl_b64 s[8:9], s[8:9], 2
	s_add_u32 s8, s13, s8
	s_addc_u32 s9, s16, s9
	s_or_b32 s20, s12, 64
	s_delay_alu instid0(SALU_CYCLE_1) | instskip(SKIP_2) | instid1(SALU_CYCLE_1)
	s_ashr_i32 s21, s20, 5
	s_cmp_lt_i32 s20, s17
	s_cselect_b32 s20, s21, s4
	s_ashr_i32 s21, s20, 31
	s_delay_alu instid0(SALU_CYCLE_1) | instskip(NEXT) | instid1(SALU_CYCLE_1)
	s_lshl_b64 s[20:21], s[20:21], 2
	;; [unrolled: 10-line block ×5, first 2 shown]
	s_add_u32 s26, s13, s26
	s_addc_u32 s27, s16, s27
	s_clause 0x5
	s_load_b32 s28, s[6:7], 0x0
	s_load_b32 s29, s[8:9], 0x0
	s_load_b32 s30, s[20:21], 0x0
	s_load_b32 s35, s[22:23], 0x0
	s_load_b32 s36, s[24:25], 0x0
	s_load_b32 s38, s[26:27], 0x0
	s_mov_b32 s20, 0
	s_or_b32 s6, s12, 0xc0
	s_mov_b32 s21, s20
	s_mov_b32 s22, s20
	s_mov_b32 s23, s20
	s_mov_b32 s24, s20
	s_mov_b32 s25, s20
	s_mov_b32 s26, s20
	s_mov_b32 s27, s20
	s_ashr_i32 s7, s6, 5
	v_mov_b32_e32 v128, s27
	s_cmp_lt_i32 s6, s17
	v_mov_b32_e32 v127, s26
	s_cselect_b32 s6, s7, s4
	v_mov_b32_e32 v126, s25
	s_ashr_i32 s7, s6, 31
	v_mov_b32_e32 v125, s24
	s_lshl_b64 s[6:7], s[6:7], 2
	v_mov_b32_e32 v124, s23
	s_add_u32 s6, s13, s6
	s_addc_u32 s7, s16, s7
	v_mov_b32_e32 v123, s22
	v_mov_b32_e32 v121, s20
	s_waitcnt lgkmcnt(0)
	s_mul_hi_i32 s9, s28, s5
	s_mul_i32 s8, s28, s5
	s_mul_hi_i32 s37, s38, s5
	v_mov_b32_e32 v122, s21
	s_mul_hi_i32 s21, s29, s5
	s_mul_i32 s20, s29, s5
	s_mul_hi_i32 s25, s30, s5
	s_mul_i32 s24, s30, s5
	;; [unrolled: 2-line block ×3, first 2 shown]
	s_waitcnt vmcnt(1)
	v_mad_i64_i32 v[3:4], null, v7, s5, 0
	s_waitcnt vmcnt(0)
	v_mad_i64_i32 v[5:6], null, v8, s5, 0
	s_delay_alu instid0(VALU_DEP_2) | instskip(NEXT) | instid1(VALU_DEP_2)
	v_lshlrev_b64 v[3:4], 1, v[3:4]
	v_lshlrev_b64 v[1:2], 1, v[5:6]
	s_delay_alu instid0(VALU_DEP_2) | instskip(NEXT) | instid1(VALU_DEP_3)
	v_add_co_u32 v3, vcc_lo, s15, v3
	v_add_co_ci_u32_e32 v4, vcc_lo, s19, v4, vcc_lo
	s_delay_alu instid0(VALU_DEP_3) | instskip(NEXT) | instid1(VALU_DEP_4)
	v_add_co_u32 v1, vcc_lo, s15, v1
	v_add_co_ci_u32_e32 v2, vcc_lo, s19, v2, vcc_lo
	s_delay_alu instid0(VALU_DEP_4) | instskip(NEXT) | instid1(VALU_DEP_4)
	v_add_co_u32 v65, vcc_lo, v3, v73
	v_add_co_ci_u32_e32 v66, vcc_lo, v4, v74, vcc_lo
	s_delay_alu instid0(VALU_DEP_4) | instskip(NEXT) | instid1(VALU_DEP_4)
	v_add_co_u32 v67, vcc_lo, v1, v73
	v_add_co_ci_u32_e32 v68, vcc_lo, v2, v74, vcc_lo
	s_clause 0xf
	global_load_b128 v[1:4], v[65:66], off
	global_load_b128 v[5:8], v[65:66], off offset:512
	global_load_b128 v[9:12], v[67:68], off offset:256
	;; [unrolled: 1-line block ×15, first 2 shown]
	v_add_co_u32 v157, vcc_lo, 0x1000, v65
	v_add_co_ci_u32_e32 v158, vcc_lo, 0, v66, vcc_lo
	v_add_co_u32 v165, vcc_lo, 0x1000, v67
	v_add_co_ci_u32_e32 v166, vcc_lo, 0, v68, vcc_lo
	s_clause 0x7
	global_load_b128 v[81:84], v[157:158], off
	global_load_b128 v[85:88], v[157:158], off offset:512
	global_load_b128 v[89:92], v[165:166], off offset:256
	;; [unrolled: 1-line block ×7, first 2 shown]
	v_mul_lo_u16 v65, v77, 37
	s_or_b32 s15, s12, 0xe0
	s_delay_alu instid0(SALU_CYCLE_1) | instskip(SKIP_1) | instid1(VALU_DEP_1)
	s_ashr_i32 s19, s15, 5
	s_cmp_lt_i32 s15, s17
	v_lshrrev_b16 v65, 8, v65
	s_cselect_b32 s22, s19, s4
	s_delay_alu instid0(SALU_CYCLE_1) | instskip(NEXT) | instid1(VALU_DEP_1)
	s_ashr_i32 s23, s22, 31
	v_mul_lo_u16 v65, v65, 7
	s_lshl_b64 s[22:23], s[22:23], 2
	s_delay_alu instid0(SALU_CYCLE_1) | instskip(SKIP_1) | instid1(VALU_DEP_1)
	s_add_u32 s22, s13, s22
	s_addc_u32 s23, s16, s23
	v_sub_nc_u16 v65, v77, v65
	s_add_i32 s15, s12, 0x100
	s_delay_alu instid0(SALU_CYCLE_1) | instskip(SKIP_1) | instid1(VALU_DEP_1)
	s_ashr_i32 s19, s15, 5
	s_cmp_lt_i32 s15, s17
	v_and_b32_e32 v65, 0xff, v65
	s_cselect_b32 s28, s19, s4
	s_delay_alu instid0(SALU_CYCLE_1) | instskip(NEXT) | instid1(VALU_DEP_1)
	s_ashr_i32 s29, s28, 31
	v_lshlrev_b32_e32 v169, 6, v65
	ds_load_b128 v[65:68], v169
	ds_load_b128 v[69:72], v169 offset:1024
	s_clause 0x1
	global_load_b128 v[113:116], v[157:158], off offset:2048
	global_load_b128 v[117:120], v[157:158], off offset:2560
	ds_load_b128 v[129:132], v169 offset:2048
	ds_load_b128 v[133:136], v169 offset:3072
	s_clause 0x5
	global_load_b128 v[145:148], v[165:166], off offset:2304
	global_load_b128 v[149:152], v[165:166], off offset:2816
	;; [unrolled: 1-line block ×6, first 2 shown]
	s_lshl_b64 s[28:29], s[28:29], 2
	s_delay_alu instid0(SALU_CYCLE_1)
	s_add_u32 s28, s13, s28
	s_addc_u32 s29, s16, s29
	s_add_u32 s4, s10, s2
	s_addc_u32 s19, s11, s3
	s_lshl_b64 s[2:3], s[8:9], 1
	s_lshl_b64 s[8:9], s[20:21], 1
	s_lshl_b64 s[10:11], s[24:25], 1
	s_lshl_b64 s[20:21], s[26:27], 1
	s_waitcnt vmcnt(30) lgkmcnt(2)
	v_wmma_f32_16x16x16_f16 v[137:144], v[1:8], v[65:72], v[121:128]
	ds_load_b128 v[1:4], v169 offset:4096
	ds_load_b128 v[5:8], v169 offset:5120
	s_waitcnt vmcnt(28)
	v_wmma_f32_16x16x16_f16 v[121:128], v[9:16], v[65:72], v[121:128]
	ds_load_b128 v[9:12], v169 offset:6144
	ds_load_b128 v[13:16], v169 offset:7168
	s_waitcnt vmcnt(26) lgkmcnt(4)
	v_wmma_f32_16x16x16_f16 v[137:144], v[17:24], v[129:136], v[137:144]
	ds_load_b128 v[17:20], v169 offset:8192
	ds_load_b128 v[21:24], v169 offset:9216
	s_waitcnt vmcnt(24)
	v_wmma_f32_16x16x16_f16 v[121:128], v[25:32], v[129:136], v[121:128]
	v_lshl_or_b32 v25, v78, 10, v79
	ds_load_b128 v[129:132], v169 offset:10240
	ds_load_b128 v[133:136], v169 offset:11264
	s_clause 0x2
	s_load_b32 s15, s[6:7], 0x0
	s_load_b32 s13, s[22:23], 0x0
	;; [unrolled: 1-line block ×3, first 2 shown]
	s_mul_hi_i32 s7, s36, s5
	v_add_co_u32 v170, s4, s4, v25
	s_delay_alu instid0(VALU_DEP_1)
	v_add_co_ci_u32_e64 v171, null, s19, 0, s4
	s_mul_i32 s6, s36, s5
	s_mul_i32 s36, s38, s5
	s_lshl_b64 s[6:7], s[6:7], 1
	s_lshl_b64 s[22:23], s[36:37], 1
	s_waitcnt vmcnt(22) lgkmcnt(0)
	v_wmma_f32_16x16x16_f16 v[137:144], v[33:40], v[1:8], v[137:144]
	s_waitcnt vmcnt(20)
	v_wmma_f32_16x16x16_f16 v[121:128], v[41:48], v[1:8], v[121:128]
	v_add_co_u32 v1, vcc_lo, v170, s2
	v_add_co_ci_u32_e32 v2, vcc_lo, s3, v171, vcc_lo
	v_add_co_u32 v3, vcc_lo, v170, s8
	v_add_co_ci_u32_e32 v4, vcc_lo, s9, v171, vcc_lo
	;; [unrolled: 2-line block ×4, first 2 shown]
	v_add_co_u32 v25, vcc_lo, v170, s6
	s_mul_hi_i32 s25, s15, s5
	s_mul_i32 s24, s15, s5
	v_add_co_ci_u32_e32 v26, vcc_lo, s7, v171, vcc_lo
	v_add_co_u32 v27, vcc_lo, v170, s22
	s_lshl_b64 s[24:25], s[24:25], 1
	s_waitcnt vmcnt(18)
	v_wmma_f32_16x16x16_f16 v[137:144], v[49:56], v[9:16], v[137:144]
	s_waitcnt vmcnt(16)
	v_wmma_f32_16x16x16_f16 v[121:128], v[57:64], v[9:16], v[121:128]
	v_add_co_ci_u32_e32 v28, vcc_lo, s23, v171, vcc_lo
	s_mul_hi_i32 s3, s13, s5
	s_mul_i32 s2, s13, s5
	v_add_co_u32 v29, vcc_lo, v170, s24
	s_lshl_b64 s[2:3], s[2:3], 1
	v_add_co_ci_u32_e32 v30, vcc_lo, s25, v171, vcc_lo
	s_waitcnt vmcnt(14)
	v_wmma_f32_16x16x16_f16 v[137:144], v[81:88], v[17:24], v[137:144]
	s_waitcnt vmcnt(12)
	v_wmma_f32_16x16x16_f16 v[121:128], v[89:96], v[17:24], v[121:128]
	v_add_co_u32 v17, vcc_lo, v170, s2
	v_add_co_ci_u32_e32 v18, vcc_lo, s3, v171, vcc_lo
	s_mul_hi_i32 s3, s16, s5
	s_mul_i32 s2, s16, s5
	s_clause 0x5
	global_load_b128 v[65:68], v[1:2], off
	global_load_b128 v[69:72], v[1:2], off offset:16
	global_load_b128 v[57:60], v[3:4], off
	global_load_b128 v[61:64], v[3:4], off offset:16
	;; [unrolled: 2-line block ×3, first 2 shown]
	s_lshl_b64 s[2:3], s[2:3], 1
	s_clause 0x1
	global_load_b128 v[41:44], v[7:8], off
	global_load_b128 v[45:48], v[7:8], off offset:16
	v_add_co_u32 v21, vcc_lo, v170, s2
	v_add_co_ci_u32_e32 v22, vcc_lo, s3, v171, vcc_lo
	s_clause 0x9
	global_load_b128 v[9:12], v[25:26], off
	global_load_b128 v[13:16], v[25:26], off offset:16
	global_load_b128 v[1:4], v[27:28], off
	global_load_b128 v[5:8], v[27:28], off offset:16
	global_load_b128 v[33:36], v[29:30], off
	global_load_b128 v[37:40], v[29:30], off offset:16
	global_load_b128 v[25:28], v[17:18], off
	global_load_b128 v[29:32], v[17:18], off offset:16
	global_load_b128 v[17:20], v[21:22], off
	global_load_b128 v[21:24], v[21:22], off offset:16
	ds_load_b128 v[81:84], v169 offset:12288
	ds_load_b128 v[85:88], v169 offset:13312
	v_and_b32_e32 v89, 0xe0, v0
	s_waitcnt vmcnt(28)
	v_wmma_f32_16x16x16_f16 v[137:144], v[97:104], v[129:136], v[137:144]
	v_mbcnt_lo_u32_b32 v97, -1, 0
	s_waitcnt vmcnt(26)
	v_wmma_f32_16x16x16_f16 v[121:128], v[105:112], v[129:136], v[121:128]
	v_add_nc_u32_e32 v98, s12, v89
	ds_load_b128 v[89:92], v169 offset:14336
	ds_load_b128 v[93:96], v169 offset:15360
	v_xor_b32_e32 v99, 16, v97
	s_waitcnt vmcnt(0) lgkmcnt(0)
	s_barrier
	v_or_b32_e32 v98, v98, v75
	buffer_gl0_inv
	v_cmp_gt_i32_e32 vcc_lo, 32, v99
	v_or_b32_e32 v100, 4, v98
	v_or_b32_e32 v101, 22, v98
	;; [unrolled: 1-line block ×4, first 2 shown]
	v_wmma_f32_16x16x16_f16 v[137:144], v[113:120], v[81:88], v[137:144]
	v_wmma_f32_16x16x16_f16 v[121:128], v[145:152], v[81:88], v[121:128]
	v_or_b32_e32 v81, 6, v98
	v_or_b32_e32 v82, 8, v98
	;; [unrolled: 1-line block ×3, first 2 shown]
	v_cmp_gt_i32_e64 s3, s17, v100
	v_or_b32_e32 v84, 12, v98
	v_wmma_f32_16x16x16_f16 v[137:144], v[153:160], v[89:96], v[137:144]
	v_wmma_f32_16x16x16_f16 v[121:128], v[161:168], v[89:96], v[121:128]
	v_cndmask_b32_e32 v97, v97, v99, vcc_lo
	v_or_b32_e32 v99, 2, v98
	v_cmp_gt_i32_e32 vcc_lo, s17, v98
	v_dual_mul_f32 v95, s18, v138 :: v_dual_mul_f32 v96, s18, v137
	v_mul_f32_e32 v93, s18, v140
	s_delay_alu instid0(VALU_DEP_4)
	v_cmp_gt_i32_e64 s2, s17, v99
	v_mul_f32_e32 v94, s18, v139
	v_mul_f32_e32 v108, s18, v126
	v_cndmask_b32_e32 v96, 0xff7fffff, v96, vcc_lo
	v_cmp_gt_i32_e64 s4, s17, v81
	v_cndmask_b32_e64 v95, 0xff7fffff, v95, s2
	v_or_b32_e32 v85, 14, v98
	v_dual_mul_f32 v91, s18, v142 :: v_dual_mul_f32 v110, s18, v124
	v_mul_f32_e32 v92, s18, v141
	v_cndmask_b32_e64 v94, 0xff7fffff, v94, s3
	v_cndmask_b32_e64 v81, 0xff7fffff, v93, s4
	v_max3_f32 v93, v96, 0xff7fffff, v95
	v_cmp_gt_i32_e64 s5, s17, v82
	v_cmp_gt_i32_e64 s6, s17, v83
	v_or_b32_e32 v86, 16, v98
	v_or_b32_e32 v87, 18, v98
	v_dual_mul_f32 v89, s18, v144 :: v_dual_mul_f32 v112, s18, v122
	v_mul_f32_e32 v90, s18, v143
	v_cndmask_b32_e64 v82, 0xff7fffff, v92, s5
	v_cndmask_b32_e64 v83, 0xff7fffff, v91, s6
	v_max3_f32 v81, v93, v94, v81
	v_cmp_gt_i32_e64 s7, s17, v84
	v_cmp_gt_i32_e64 s8, s17, v85
	v_or_b32_e32 v88, 20, v98
	v_mul_f32_e32 v113, s18, v121
	v_max3_f32 v81, v81, v82, v83
	v_cndmask_b32_e64 v84, 0xff7fffff, v90, s7
	v_cndmask_b32_e64 v85, 0xff7fffff, v89, s8
	v_cmp_gt_i32_e64 s9, s17, v86
	v_cmp_gt_i32_e64 s10, s17, v87
	v_mul_f32_e32 v111, s18, v123
	v_cmp_gt_i32_e64 s11, s17, v88
	v_max3_f32 v81, v81, v84, v85
	v_cndmask_b32_e64 v82, 0xff7fffff, v113, s9
	v_cndmask_b32_e64 v83, 0xff7fffff, v112, s10
	v_cmp_gt_i32_e64 s12, s17, v101
	v_or_b32_e32 v104, 28, v98
	v_or_b32_e32 v105, 30, v98
	v_mul_f32_e32 v109, s18, v125
	v_cndmask_b32_e64 v84, 0xff7fffff, v111, s11
	v_cndmask_b32_e64 v85, 0xff7fffff, v110, s12
	v_max3_f32 v81, v81, v82, v83
	v_cmp_gt_i32_e64 s13, s17, v102
	v_cmp_gt_i32_e64 s15, s17, v103
	v_dual_mul_f32 v106, s18, v128 :: v_dual_mul_f32 v107, s18, v127
	s_delay_alu instid0(VALU_DEP_4) | instskip(NEXT) | instid1(VALU_DEP_4)
	v_max3_f32 v81, v81, v84, v85
	v_cndmask_b32_e64 v82, 0xff7fffff, v109, s13
	s_delay_alu instid0(VALU_DEP_4) | instskip(SKIP_2) | instid1(VALU_DEP_3)
	v_cndmask_b32_e64 v83, 0xff7fffff, v108, s15
	v_cmp_gt_i32_e64 s16, s17, v104
	v_cmp_gt_i32_e64 s17, s17, v105
	v_max3_f32 v81, v81, v82, v83
	s_delay_alu instid0(VALU_DEP_3) | instskip(NEXT) | instid1(VALU_DEP_3)
	v_cndmask_b32_e64 v84, 0xff7fffff, v107, s16
	v_cndmask_b32_e64 v85, 0xff7fffff, v106, s17
	v_lshlrev_b32_e32 v83, 2, v97
	s_delay_alu instid0(VALU_DEP_2) | instskip(SKIP_3) | instid1(VALU_DEP_1)
	v_max3_f32 v81, v81, v84, v85
	ds_bpermute_b32 v82, v83, v81
	s_waitcnt lgkmcnt(0)
	v_max_f32_e32 v82, v82, v82
	v_max_f32_e32 v81, v81, v82
	s_delay_alu instid0(VALU_DEP_1)
	v_fma_f32 v82, s18, v137, -v81
	v_fma_f32 v84, s18, v138, -v81
	;; [unrolled: 1-line block ×5, first 2 shown]
	v_mul_f32_e32 v82, 0x3fb8aa3b, v82
	s_delay_alu instid0(VALU_DEP_4) | instskip(NEXT) | instid1(VALU_DEP_3)
	v_dual_mul_f32 v84, 0x3fb8aa3b, v84 :: v_dual_mul_f32 v89, 0x3fb8aa3b, v87
	v_mul_f32_e32 v86, 0x3fb8aa3b, v86
	s_delay_alu instid0(VALU_DEP_3) | instskip(NEXT) | instid1(VALU_DEP_2)
	v_exp_f32_e32 v82, v82
	v_exp_f32_e32 v84, v84
	s_delay_alu instid0(VALU_DEP_2) | instskip(NEXT) | instid1(VALU_DEP_1)
	v_exp_f32_e32 v92, v89
	v_exp_f32_e32 v86, v86
	v_cndmask_b32_e32 v88, 0, v82, vcc_lo
	s_delay_alu instid0(TRANS32_DEP_3)
	v_cndmask_b32_e64 v87, 0, v84, s2
	s_waitcnt_depctr 0xfff
	v_cndmask_b32_e64 v92, 0, v92, s5
	v_cmp_gt_u32_e64 s2, 16, v80
	v_cndmask_b32_e64 v89, 0, v86, s4
	v_add_f32_e32 v84, 0, v88
	s_delay_alu instid0(VALU_DEP_1) | instskip(NEXT) | instid1(VALU_DEP_1)
	v_dual_add_f32 v84, v84, v87 :: v_dual_mul_f32 v85, 0x3fb8aa3b, v85
	v_exp_f32_e32 v85, v85
	s_waitcnt_depctr 0xfff
	v_cndmask_b32_e64 v90, 0, v85, s3
	s_delay_alu instid0(VALU_DEP_1) | instskip(NEXT) | instid1(VALU_DEP_1)
	v_add_f32_e32 v84, v84, v90
	v_add_f32_e32 v84, v84, v89
	v_fma_f32 v82, s18, v142, -v81
	v_fma_f32 v91, s18, v143, -v81
	;; [unrolled: 1-line block ×5, first 2 shown]
	s_delay_alu instid0(VALU_DEP_4) | instskip(SKIP_1) | instid1(VALU_DEP_4)
	v_dual_mul_f32 v82, 0x3fb8aa3b, v82 :: v_dual_mul_f32 v91, 0x3fb8aa3b, v91
	v_fma_f32 v96, s18, v124, -v81
	v_mul_f32_e32 v86, 0x3fb8aa3b, v86
	v_fma_f32 v99, s18, v127, -v81
	s_delay_alu instid0(VALU_DEP_4) | instskip(SKIP_3) | instid1(VALU_DEP_1)
	v_exp_f32_e32 v82, v82
	v_exp_f32_e32 v93, v91
	v_mul_f32_e32 v97, 0x3fb8aa3b, v96
	v_exp_f32_e32 v86, v86
	v_exp_f32_e32 v97, v97
	v_cndmask_b32_e64 v91, 0, v82, s6
	v_dual_add_f32 v82, v84, v92 :: v_dual_mul_f32 v85, 0x3fb8aa3b, v85
	v_fma_f32 v84, s18, v123, -v81
	v_mul_f32_e32 v95, 0x3fb8aa3b, v94
	s_delay_alu instid0(TRANS32_DEP_3) | instskip(NEXT) | instid1(VALU_DEP_4)
	v_cndmask_b32_e64 v94, 0, v93, s7
	v_add_f32_e32 v82, v82, v91
	v_exp_f32_e32 v85, v85
	v_mul_f32_e32 v84, 0x3fb8aa3b, v84
	v_cndmask_b32_e64 v96, 0, v86, s9
	v_exp_f32_e32 v95, v95
	v_add_f32_e32 v82, v82, v94
	v_fma_f32 v86, s18, v126, -v81
	v_exp_f32_e32 v84, v84
	v_cndmask_b32_e64 v97, 0, v97, s12
	s_delay_alu instid0(TRANS32_DEP_3) | instskip(SKIP_2) | instid1(TRANS32_DEP_2)
	v_cndmask_b32_e64 v93, 0, v85, s8
	v_fma_f32 v85, s18, v125, -v81
	v_mul_f32_e32 v86, 0x3fb8aa3b, v86
	v_cndmask_b32_e64 v95, 0, v95, s10
	s_waitcnt_depctr 0xfff
	v_cndmask_b32_e64 v98, 0, v84, s11
	v_mul_f32_e32 v84, 0x3fb8aa3b, v99
	v_fma_f32 v99, s18, v128, -v81
	v_add_f32_e32 v82, v82, v93
	v_mul_f32_e32 v85, 0x3fb8aa3b, v85
	v_exp_f32_e32 v86, v86
	v_exp_f32_e32 v84, v84
	s_delay_alu instid0(VALU_DEP_1)
	v_exp_f32_e32 v85, v85
	s_waitcnt_depctr 0xfff
	v_cndmask_b32_e64 v102, 0, v84, s16
	v_cndmask_b32_e64 v100, 0, v85, s13
	v_dual_mul_f32 v85, 0x3fb8aa3b, v99 :: v_dual_add_f32 v82, v82, v96
	v_cndmask_b32_e64 v99, 0, v86, s15
	s_delay_alu instid0(VALU_DEP_2) | instskip(NEXT) | instid1(VALU_DEP_2)
	v_exp_f32_e32 v85, v85
	v_add_f32_e32 v82, v82, v95
	s_delay_alu instid0(VALU_DEP_1) | instskip(SKIP_3) | instid1(VALU_DEP_1)
	v_add_f32_e32 v82, v82, v98
	s_waitcnt_depctr 0xfff
	v_cndmask_b32_e64 v101, 0, v85, s17
	v_add_f32_e32 v82, v82, v97
	v_add_f32_e32 v82, v82, v100
	s_delay_alu instid0(VALU_DEP_1) | instskip(NEXT) | instid1(VALU_DEP_1)
	v_add_f32_e32 v82, v82, v99
	v_add_f32_e32 v82, v82, v102
	s_delay_alu instid0(VALU_DEP_1)
	v_add_f32_e32 v82, v82, v101
	ds_bpermute_b32 v83, v83, v82
	s_and_saveexec_b32 s3, s2
	s_cbranch_execz .LBB372_14
; %bb.13:
	v_mul_u32_u24_e32 v80, 0x44, v78
	s_waitcnt lgkmcnt(0)
	v_add_f32_e32 v82, v82, v83
	s_delay_alu instid0(VALU_DEP_2) | instskip(NEXT) | instid1(VALU_DEP_1)
	v_lshl_add_u32 v80, v77, 2, v80
	v_add_nc_u32_e32 v80, 0x4000, v80
	ds_store_2addr_b32 v80, v81, v82 offset1:136
.LBB372_14:
	s_or_b32 exec_lo, exec_lo, s3
	v_lshlrev_b32_e32 v80, 2, v77
	s_load_b32 s35, s[0:1], 0x94
	s_waitcnt lgkmcnt(0)
	s_barrier
	buffer_gl0_inv
	v_add_nc_u32_e32 v84, 0x4000, v80
	v_cmp_eq_u32_e32 vcc_lo, 1, v78
	v_cmp_eq_u32_e64 s3, 2, v78
	v_cmp_eq_u32_e64 s4, 3, v78
	;; [unrolled: 1-line block ×3, first 2 shown]
	ds_load_2addr_b32 v[80:81], v84 offset1:17
	ds_load_2addr_b32 v[82:83], v84 offset0:34 offset1:51
	ds_load_2addr_b32 v[103:104], v84 offset0:68 offset1:85
	ds_load_2addr_b32 v[105:106], v84 offset0:102 offset1:119
	v_cmp_eq_u32_e64 s6, 7, v78
	s_waitcnt lgkmcnt(3)
	v_max3_f32 v85, v80, 0xff7fffff, v81
	s_waitcnt lgkmcnt(2)
	s_delay_alu instid0(VALU_DEP_1) | instskip(SKIP_1) | instid1(VALU_DEP_1)
	v_max3_f32 v85, v85, v82, v83
	s_waitcnt lgkmcnt(1)
	v_max3_f32 v85, v85, v103, v104
	s_waitcnt lgkmcnt(0)
	s_delay_alu instid0(VALU_DEP_1) | instskip(NEXT) | instid1(VALU_DEP_1)
	v_max3_f32 v85, v85, v105, v106
	v_sub_f32_e32 v103, v103, v85
	ds_load_2addr_b32 v[107:108], v84 offset0:136 offset1:153
	v_sub_f32_e32 v80, v80, v85
	v_dual_sub_f32 v110, v83, v85 :: v_dual_mul_f32 v113, 0x3fb8aa3b, v103
	s_delay_alu instid0(VALU_DEP_2) | instskip(SKIP_3) | instid1(VALU_DEP_1)
	v_dual_sub_f32 v86, v81, v85 :: v_dual_mul_f32 v109, 0x3fb8aa3b, v80
	ds_load_2addr_b32 v[80:81], v84 offset0:170 offset1:187
	v_mul_f32_e32 v86, 0x3fb8aa3b, v86
	v_exp_f32_e32 v109, v109
	v_exp_f32_e32 v112, v86
	v_mul_f32_e32 v110, 0x3fb8aa3b, v110
	s_waitcnt lgkmcnt(1)
	s_waitcnt_depctr 0xfff
	v_fma_f32 v86, v109, v107, 0
	v_sub_f32_e32 v107, v104, v85
	v_sub_f32_e32 v82, v82, v85
	v_exp_f32_e32 v110, v110
	ds_load_2addr_b32 v[103:104], v84 offset0:238 offset1:255
	v_dual_fmac_f32 v86, v112, v108 :: v_dual_mul_f32 v111, 0x3fb8aa3b, v82
	ds_load_2addr_b32 v[82:83], v84 offset0:204 offset1:221
	v_dual_sub_f32 v84, v105, v85 :: v_dual_mul_f32 v105, 0x3fb8aa3b, v107
	v_exp_f32_e32 v107, v113
	v_exp_f32_e32 v111, v111
	s_waitcnt lgkmcnt(0)
	s_delay_alu instid0(VALU_DEP_1)
	v_mul_f32_e32 v84, 0x3fb8aa3b, v84
	v_exp_f32_e32 v105, v105
	s_barrier
	buffer_gl0_inv
	v_fmac_f32_e32 v86, v111, v80
	v_sub_f32_e32 v80, v106, v85
	v_exp_f32_e32 v106, v84
	s_delay_alu instid0(VALU_DEP_2) | instskip(NEXT) | instid1(VALU_DEP_2)
	v_fmac_f32_e32 v86, v110, v81
	v_mul_f32_e32 v80, 0x3fb8aa3b, v80
	s_delay_alu instid0(VALU_DEP_2) | instskip(NEXT) | instid1(VALU_DEP_2)
	v_dual_cndmask_b32 v81, v109, v112 :: v_dual_fmac_f32 v86, v107, v82
	v_exp_f32_e32 v108, v80
	s_delay_alu instid0(VALU_DEP_1) | instskip(SKIP_2) | instid1(VALU_DEP_1)
	v_fmac_f32_e32 v86, v105, v83
	s_waitcnt_depctr 0xfff
	v_fmac_f32_e32 v86, v106, v103
	v_fmac_f32_e32 v86, v108, v104
	s_delay_alu instid0(VALU_DEP_1) | instskip(NEXT) | instid1(VALU_DEP_1)
	v_add_f32_e32 v103, 0x358637bd, v86
	v_div_scale_f32 v104, null, v103, v103, 1.0
	v_div_scale_f32 v109, vcc_lo, 1.0, v103, 1.0
	s_delay_alu instid0(VALU_DEP_2) | instskip(SKIP_2) | instid1(VALU_DEP_1)
	v_rcp_f32_e32 v113, v104
	s_waitcnt_depctr 0xfff
	v_fma_f32 v80, -v104, v113, 1.0
	v_fmac_f32_e32 v113, v80, v113
	v_cndmask_b32_e64 v80, v81, v111, s3
	v_cmp_eq_u32_e64 s3, 4, v78
	v_lshl_or_b32 v81, v78, 11, v79
	s_delay_alu instid0(VALU_DEP_4) | instskip(NEXT) | instid1(VALU_DEP_4)
	v_mul_f32_e32 v111, v109, v113
	v_cndmask_b32_e64 v82, v80, v110, s4
	v_cmp_eq_u32_e64 s4, 6, v78
	s_delay_alu instid0(VALU_DEP_4) | instskip(SKIP_3) | instid1(VALU_DEP_3)
	v_lshl_or_b32 v78, v75, 4, v81
	v_lshlrev_b32_e32 v80, 2, v75
	v_fma_f32 v83, -v104, v111, v109
	v_cndmask_b32_e64 v84, v82, v107, s3
	v_or_b32_e32 v82, 1, v80
	s_delay_alu instid0(VALU_DEP_3) | instskip(NEXT) | instid1(VALU_DEP_3)
	v_fmac_f32_e32 v111, v83, v113
	v_cndmask_b32_e64 v105, v84, v105, s5
	v_or_b32_e32 v84, 2, v80
	v_or_b32_e32 v83, 3, v80
	v_cmp_eq_u32_e64 s3, 1, v80
	v_fma_f32 v104, -v104, v111, v109
	v_cndmask_b32_e64 v105, v105, v106, s4
	v_cmp_eq_u32_e64 s9, 1, v82
	v_cmp_eq_u32_e64 s10, 1, v84
	;; [unrolled: 1-line block ×3, first 2 shown]
	v_div_fmas_f32 v104, v104, v113, v111
	v_cndmask_b32_e64 v105, v105, v108, s6
	v_cmp_eq_u32_e32 vcc_lo, 2, v80
	v_cmp_eq_u32_e64 s12, 2, v82
	v_cmp_eq_u32_e64 s15, 2, v84
	v_div_fixup_f32 v103, v104, v103, 1.0
	v_cmp_eq_u32_e64 s16, 2, v83
	v_cmp_eq_u32_e64 s18, 3, v83
	v_cmp_eq_u32_e64 s4, 3, v80
	v_cmp_eq_u32_e64 s13, 3, v82
	v_mul_f32_e32 v111, v105, v103
	v_cmp_eq_u32_e64 s17, 3, v84
	v_cmp_eq_u32_e64 s22, 4, v83
	;; [unrolled: 1-line block ×4, first 2 shown]
	v_fma_mixlo_f16 v103, v111, v88, 0
	v_fma_mixlo_f16 v104, v111, v90, 0
	;; [unrolled: 1-line block ×8, first 2 shown]
	v_fma_mixhi_f16 v103, v111, v87, 0
	v_fma_mixhi_f16 v104, v111, v89, 0
	;; [unrolled: 1-line block ×8, first 2 shown]
	ds_store_b128 v78, v[103:106]
	ds_store_b128 v78, v[107:110] offset:1024
	s_waitcnt lgkmcnt(0)
	s_barrier
	buffer_gl0_inv
	ds_load_b128 v[87:90], v81
	ds_load_b128 v[91:94], v81 offset:16
	ds_load_b128 v[95:98], v81 offset:1024
	;; [unrolled: 1-line block ×3, first 2 shown]
	v_cmp_eq_u32_e64 s21, 4, v84
	v_cmp_eq_u32_e64 s24, 5, v83
	;; [unrolled: 1-line block ×13, first 2 shown]
	s_waitcnt lgkmcnt(3)
	v_lshrrev_b32_e32 v103, 16, v87
	s_waitcnt lgkmcnt(2)
	v_lshrrev_b32_e32 v107, 16, v91
	;; [unrolled: 2-line block ×4, first 2 shown]
	v_lshrrev_b32_e32 v104, 16, v88
	v_cndmask_b32_e64 v119, v87, v103, s3
	v_cndmask_b32_e64 v120, v91, v107, s3
	;; [unrolled: 1-line block ×8, first 2 shown]
	v_lshrrev_b32_e32 v108, 16, v92
	v_cndmask_b32_e64 v103, v95, v111, s3
	v_cndmask_b32_e64 v107, v99, v115, s3
	;; [unrolled: 1-line block ×5, first 2 shown]
	v_cndmask_b32_e32 v111, v119, v88, vcc_lo
	v_cndmask_b32_e64 v119, v121, v88, s12
	v_cndmask_b32_e64 v121, v123, v88, s15
	v_cndmask_b32_e64 v87, v87, v88, s16
	v_cndmask_b32_e64 v88, v91, v92, s16
	v_lshrrev_b32_e32 v112, 16, v96
	v_lshrrev_b32_e32 v116, 16, v100
	v_cndmask_b32_e64 v126, v99, v115, s9
	v_cndmask_b32_e64 v128, v99, v115, s10
	;; [unrolled: 1-line block ×3, first 2 shown]
	v_cndmask_b32_e32 v115, v120, v92, vcc_lo
	v_cndmask_b32_e64 v120, v122, v92, s12
	v_cndmask_b32_e64 v122, v124, v92, s15
	v_cndmask_b32_e32 v91, v103, v96, vcc_lo
	v_cndmask_b32_e32 v92, v107, v100, vcc_lo
	v_cndmask_b32_e64 v103, v125, v96, s12
	v_cndmask_b32_e64 v87, v87, v104, s18
	;; [unrolled: 1-line block ×3, first 2 shown]
	v_lshrrev_b32_e32 v105, 16, v89
	v_lshrrev_b32_e32 v109, 16, v93
	v_cndmask_b32_e64 v107, v127, v96, s15
	v_cndmask_b32_e64 v95, v95, v96, s16
	;; [unrolled: 1-line block ×14, first 2 shown]
	v_lshrrev_b32_e32 v113, 16, v97
	v_cndmask_b32_e64 v99, v99, v89, s5
	v_cndmask_b32_e64 v104, v111, v93, s5
	;; [unrolled: 1-line block ×11, first 2 shown]
	v_lshrrev_b32_e32 v106, 16, v90
	v_lshrrev_b32_e32 v110, 16, v94
	v_cndmask_b32_e64 v93, v99, v105, s6
	v_cndmask_b32_e64 v99, v104, v109, s6
	;; [unrolled: 1-line block ×9, first 2 shown]
	v_lshrrev_b32_e32 v114, 16, v98
	v_cndmask_b32_e64 v89, v89, v113, s6
	v_cndmask_b32_e64 v93, v93, v90, s7
	v_cndmask_b32_e64 v99, v99, v94, s7
	v_cndmask_b32_e64 v103, v103, v90, s25
	v_cndmask_b32_e64 v104, v104, v94, s25
	v_cndmask_b32_e64 v105, v108, v90, s26
	v_cndmask_b32_e64 v108, v111, v94, s26
	v_cndmask_b32_e64 v90, v92, v98, s25
	v_cndmask_b32_e64 v87, v87, v106, s29
	v_cndmask_b32_e64 v88, v88, v110, s29
	v_cndmask_b32_e64 v123, v128, v100, s15
	v_cndmask_b32_e64 v89, v89, v98, s7
	v_cndmask_b32_e64 v92, v93, v106, s8
	v_cndmask_b32_e64 v93, v99, v110, s8
	v_cndmask_b32_e64 v94, v103, v106, s30
	v_cndmask_b32_e64 v99, v105, v106, s28
	v_cndmask_b32_e64 v103, v108, v110, s28
	v_cndmask_b32_e64 v104, v104, v110, s30
	v_cndmask_b32_e64 v106, v90, v114, s30
	v_perm_b32 v90, v88, v87, 0x5040100
	v_cndmask_b32_e64 v87, v126, v100, s12
	v_cndmask_b32_e64 v105, v89, v114, s8
	v_perm_b32 v89, v103, v99, 0x5040100
	v_perm_b32 v88, v104, v94, 0x5040100
	v_cndmask_b32_e64 v94, v107, v112, s17
	v_cndmask_b32_e64 v95, v95, v112, s18
	;; [unrolled: 1-line block ×5, first 2 shown]
	v_lshrrev_b32_e32 v117, 16, v101
	v_cndmask_b32_e64 v94, v94, v97, s21
	v_cndmask_b32_e64 v95, v95, v97, s22
	;; [unrolled: 1-line block ×11, first 2 shown]
	v_lshrrev_b32_e32 v118, 16, v102
	v_cndmask_b32_e64 v91, v91, v102, s7
	v_cndmask_b32_e64 v94, v94, v98, s26
	;; [unrolled: 1-line block ×12, first 2 shown]
	v_perm_b32 v87, v93, v92, 0x5040100
	v_perm_b32 v94, v95, v94, 0x5040100
	v_perm_b32 v93, v96, v98, 0x5040100
	v_perm_b32 v92, v97, v106, 0x5040100
	v_perm_b32 v91, v91, v105, 0x5040100
	s_mul_i32 s7, s33, 7
	s_mov_b32 s3, exec_lo
	ds_store_b128 v78, v[87:90]
	ds_store_b128 v78, v[91:94] offset:1024
	v_cmpx_gt_u32_e32 7, v0
	s_cbranch_execz .LBB372_16
; %bb.15:
	s_mul_i32 s4, s7, s34
	s_load_b128 s[8:11], s[0:1], 0x58
	v_add3_u32 v77, s4, s31, v77
	s_delay_alu instid0(VALU_DEP_1) | instskip(NEXT) | instid1(VALU_DEP_1)
	v_mad_u64_u32 v[87:88], null, v77, s35, s[14:15]
	v_ashrrev_i32_e32 v88, 31, v87
	s_delay_alu instid0(VALU_DEP_1) | instskip(SKIP_1) | instid1(VALU_DEP_1)
	v_lshlrev_b64 v[87:88], 2, v[87:88]
	s_waitcnt lgkmcnt(0)
	v_add_co_u32 v89, vcc_lo, s10, v87
	s_delay_alu instid0(VALU_DEP_2)
	v_add_co_ci_u32_e32 v90, vcc_lo, s11, v88, vcc_lo
	v_add_co_u32 v87, vcc_lo, s8, v87
	v_add_co_ci_u32_e32 v88, vcc_lo, s9, v88, vcc_lo
	global_store_b32 v[89:90], v85, off
	global_store_b32 v[87:88], v86, off
.LBB372_16:
	s_or_b32 exec_lo, exec_lo, s3
	s_waitcnt lgkmcnt(0)
	s_waitcnt_vscnt null, 0x0
	s_barrier
	buffer_gl0_inv
	ds_load_b128 v[93:96], v79
	ds_load_b128 v[97:100], v79 offset:16
	ds_load_b128 v[105:108], v79 offset:1040
	;; [unrolled: 1-line block ×5, first 2 shown]
	v_cmp_eq_u32_e32 vcc_lo, 1, v84
	v_mov_b32_e32 v85, 0
	ds_load_b128 v[121:124], v79 offset:3088
	ds_load_b128 v[117:120], v79 offset:3072
	;; [unrolled: 1-line block ×4, first 2 shown]
	v_cmp_eq_u32_e64 s3, 1, v80
	v_cmp_eq_u32_e64 s4, 1, v83
	;; [unrolled: 1-line block ×3, first 2 shown]
	v_mov_b32_e32 v86, v85
	v_mov_b32_e32 v87, v85
	;; [unrolled: 1-line block ×7, first 2 shown]
	v_cmp_eq_u32_e64 s6, 2, v80
	s_waitcnt lgkmcnt(8)
	s_delay_alu instid0(VALU_DEP_2)
	v_wmma_f32_16x16x16_f16 v[85:92], v[65:72], v[93:100], v[85:92]
	ds_load_b128 v[69:72], v79 offset:5136
	ds_load_b128 v[65:68], v79 offset:5120
	;; [unrolled: 1-line block ×4, first 2 shown]
	s_waitcnt lgkmcnt(10)
	v_wmma_f32_16x16x16_f16 v[85:92], v[57:64], v[101:108], v[85:92]
	s_waitcnt lgkmcnt(8)
	s_delay_alu instid0(VALU_DEP_1)
	v_wmma_f32_16x16x16_f16 v[85:92], v[57:64], v[109:116], v[85:92]
	ds_load_b128 v[61:64], v79 offset:7184
	ds_load_b128 v[57:60], v79 offset:7168
	;; [unrolled: 1-line block ×4, first 2 shown]
	s_waitcnt lgkmcnt(10)
	v_wmma_f32_16x16x16_f16 v[85:92], v[49:56], v[117:124], v[85:92]
	s_waitcnt lgkmcnt(8)
	s_delay_alu instid0(VALU_DEP_1)
	v_wmma_f32_16x16x16_f16 v[85:92], v[49:56], v[125:132], v[85:92]
	ds_load_b128 v[53:56], v79 offset:9232
	ds_load_b128 v[49:52], v79 offset:9216
	s_waitcnt lgkmcnt(8)
	v_wmma_f32_16x16x16_f16 v[85:92], v[41:48], v[65:72], v[85:92]
	ds_load_b128 v[69:72], v79 offset:10256
	ds_load_b128 v[65:68], v79 offset:10240
	s_waitcnt lgkmcnt(8)
	v_wmma_f32_16x16x16_f16 v[85:92], v[41:48], v[93:100], v[85:92]
	ds_load_b128 v[45:48], v79 offset:11280
	ds_load_b128 v[41:44], v79 offset:11264
	s_waitcnt lgkmcnt(8)
	v_wmma_f32_16x16x16_f16 v[85:92], v[9:16], v[57:64], v[85:92]
	ds_load_b128 v[61:64], v79 offset:12304
	ds_load_b128 v[57:60], v79 offset:12288
	s_waitcnt lgkmcnt(8)
	v_wmma_f32_16x16x16_f16 v[85:92], v[9:16], v[101:108], v[85:92]
	ds_load_b128 v[13:16], v79 offset:13328
	ds_load_b128 v[9:12], v79 offset:13312
	s_waitcnt lgkmcnt(8)
	v_wmma_f32_16x16x16_f16 v[85:92], v[1:8], v[49:56], v[85:92]
	ds_load_b128 v[53:56], v79 offset:14352
	ds_load_b128 v[49:52], v79 offset:14336
	s_waitcnt lgkmcnt(8)
	v_wmma_f32_16x16x16_f16 v[85:92], v[1:8], v[65:72], v[85:92]
	ds_load_b128 v[5:8], v79 offset:15376
	ds_load_b128 v[1:4], v79 offset:15360
	s_waitcnt lgkmcnt(0)
	s_barrier
	buffer_gl0_inv
	v_wmma_f32_16x16x16_f16 v[85:92], v[33:40], v[41:48], v[85:92]
	s_delay_alu instid0(VALU_DEP_1) | instskip(NEXT) | instid1(VALU_DEP_1)
	v_wmma_f32_16x16x16_f16 v[85:92], v[33:40], v[57:64], v[85:92]
	v_wmma_f32_16x16x16_f16 v[85:92], v[25:32], v[9:16], v[85:92]
	s_delay_alu instid0(VALU_DEP_1) | instskip(NEXT) | instid1(VALU_DEP_1)
	v_wmma_f32_16x16x16_f16 v[85:92], v[25:32], v[49:56], v[85:92]
	v_wmma_f32_16x16x16_f16 v[85:92], v[17:24], v[1:8], v[85:92]
	s_delay_alu instid0(VALU_DEP_1) | instskip(NEXT) | instid1(VALU_DEP_2)
	v_cvt_f16_f32_e32 v1, v85
	v_cvt_f16_f32_e32 v2, v86
	s_delay_alu instid0(VALU_DEP_3) | instskip(NEXT) | instid1(VALU_DEP_4)
	v_cvt_f16_f32_e32 v3, v87
	v_cvt_f16_f32_e32 v4, v88
	;; [unrolled: 1-line block ×6, first 2 shown]
	v_pack_b32_f16 v1, v1, v2
	v_pack_b32_f16 v2, v3, v4
	;; [unrolled: 1-line block ×3, first 2 shown]
	s_delay_alu instid0(VALU_DEP_4)
	v_pack_b32_f16 v4, v7, v8
	ds_store_b128 v78, v[1:4]
	s_waitcnt lgkmcnt(0)
	s_barrier
	buffer_gl0_inv
	ds_load_b128 v[1:4], v81
	ds_load_b128 v[5:8], v81 offset:16
	s_waitcnt lgkmcnt(1)
	v_lshrrev_b32_e32 v9, 16, v1
	s_waitcnt lgkmcnt(0)
	v_lshrrev_b32_e32 v13, 16, v5
	v_lshrrev_b32_e32 v15, 16, v7
	;; [unrolled: 1-line block ×4, first 2 shown]
	v_cndmask_b32_e64 v17, v1, v9, s3
	v_cndmask_b32_e64 v18, v5, v13, s3
	;; [unrolled: 1-line block ×3, first 2 shown]
	v_cmp_eq_u32_e64 s3, 2, v82
	v_cndmask_b32_e64 v20, v5, v13, s5
	v_cndmask_b32_e32 v21, v1, v9, vcc_lo
	v_cndmask_b32_e32 v22, v5, v13, vcc_lo
	v_cndmask_b32_e64 v1, v1, v9, s4
	v_cndmask_b32_e64 v5, v5, v13, s4
	v_cmp_eq_u32_e32 vcc_lo, 2, v84
	v_cmp_eq_u32_e64 s4, 2, v83
	v_cndmask_b32_e64 v9, v17, v2, s6
	v_cndmask_b32_e64 v13, v18, v6, s6
	;; [unrolled: 1-line block ×4, first 2 shown]
	v_cndmask_b32_e32 v19, v21, v2, vcc_lo
	v_cmp_eq_u32_e64 s3, 3, v84
	v_cndmask_b32_e32 v20, v22, v6, vcc_lo
	v_cndmask_b32_e64 v1, v1, v2, s4
	v_cmp_eq_u32_e32 vcc_lo, 3, v83
	v_cmp_eq_u32_e64 s5, 3, v80
	v_cndmask_b32_e64 v2, v5, v6, s4
	v_cmp_eq_u32_e64 s4, 3, v82
	v_lshrrev_b32_e32 v16, 16, v8
	v_cmp_eq_u32_e64 s6, 4, v80
	v_cndmask_b32_e64 v5, v9, v10, s5
	v_cndmask_b32_e64 v6, v13, v14, s5
	;; [unrolled: 1-line block ×3, first 2 shown]
	v_cmp_eq_u32_e64 s5, 4, v82
	v_cndmask_b32_e64 v13, v18, v14, s4
	v_cndmask_b32_e64 v17, v19, v10, s3
	;; [unrolled: 1-line block ×3, first 2 shown]
	v_cndmask_b32_e32 v1, v1, v10, vcc_lo
	v_cndmask_b32_e32 v2, v2, v14, vcc_lo
	v_cmp_eq_u32_e32 vcc_lo, 4, v84
	v_cmp_eq_u32_e64 s4, 4, v83
	v_lshrrev_b32_e32 v11, 16, v3
	v_cndmask_b32_e64 v5, v5, v3, s6
	v_cndmask_b32_e64 v6, v6, v7, s6
	;; [unrolled: 1-line block ×4, first 2 shown]
	v_cndmask_b32_e32 v13, v17, v3, vcc_lo
	v_cmp_eq_u32_e64 s3, 5, v84
	v_cndmask_b32_e32 v14, v18, v7, vcc_lo
	v_cndmask_b32_e64 v1, v1, v3, s4
	v_cmp_eq_u32_e32 vcc_lo, 5, v83
	v_cmp_eq_u32_e64 s5, 5, v80
	v_cndmask_b32_e64 v2, v2, v7, s4
	v_cmp_eq_u32_e64 s4, 5, v82
	v_cmp_eq_u32_e64 s6, 6, v80
	v_cndmask_b32_e32 v1, v1, v11, vcc_lo
	v_cndmask_b32_e64 v3, v5, v11, s5
	v_cndmask_b32_e64 v5, v6, v15, s5
	;; [unrolled: 1-line block ×3, first 2 shown]
	v_cmp_eq_u32_e64 s5, 6, v82
	v_cndmask_b32_e64 v7, v10, v15, s4
	v_cndmask_b32_e64 v9, v13, v11, s3
	;; [unrolled: 1-line block ×3, first 2 shown]
	v_cndmask_b32_e32 v2, v2, v15, vcc_lo
	v_cmp_eq_u32_e32 vcc_lo, 6, v84
	v_cmp_eq_u32_e64 s3, 6, v83
	v_lshrrev_b32_e32 v12, 16, v4
	v_cndmask_b32_e64 v3, v3, v4, s6
	v_cndmask_b32_e64 v5, v5, v8, s6
	;; [unrolled: 1-line block ×4, first 2 shown]
	v_cndmask_b32_e32 v9, v9, v4, vcc_lo
	v_cmp_eq_u32_e64 s4, 7, v84
	v_cndmask_b32_e32 v10, v10, v8, vcc_lo
	v_cndmask_b32_e64 v1, v1, v4, s3
	v_cmp_eq_u32_e32 vcc_lo, 7, v83
	v_cndmask_b32_e64 v2, v2, v8, s3
	v_cmp_eq_u32_e64 s3, 7, v80
	v_cmp_eq_u32_e64 s5, 7, v82
	v_cndmask_b32_e32 v1, v1, v12, vcc_lo
	s_delay_alu instid0(VALU_DEP_4) | instskip(NEXT) | instid1(VALU_DEP_4)
	v_cndmask_b32_e32 v2, v2, v16, vcc_lo
	v_cndmask_b32_e64 v8, v3, v12, s3
	s_delay_alu instid0(VALU_DEP_4)
	v_cndmask_b32_e64 v6, v6, v12, s5
	v_cndmask_b32_e64 v3, v9, v12, s4
	;; [unrolled: 1-line block ×5, first 2 shown]
	v_perm_b32 v4, v2, v1, 0x5040100
	s_mov_b32 s3, exec_lo
	v_perm_b32 v3, v9, v3, 0x5040100
	v_perm_b32 v2, v7, v6, 0x5040100
	;; [unrolled: 1-line block ×3, first 2 shown]
	ds_store_b128 v78, v[1:4]
	s_waitcnt lgkmcnt(0)
	s_barrier
	buffer_gl0_inv
	v_cmpx_gt_u32_e32 32, v0
	s_cbranch_execz .LBB372_2
; %bb.17:
	s_load_b64 s[4:5], s[0:1], 0x68
	v_lshlrev_b32_e32 v0, 10, v0
	v_add_nc_u32_e32 v2, s31, v75
	v_lshlrev_b32_e32 v3, 4, v76
	s_lshl_b32 s0, s35, 7
	s_delay_alu instid0(SALU_CYCLE_1) | instskip(NEXT) | instid1(VALU_DEP_2)
	s_mul_i32 s1, s0, s34
	v_mul_lo_u32 v1, v2, s0
	s_delay_alu instid0(VALU_DEP_2)
	v_and_or_b32 v0, 0x3800, v0, v3
	v_add_nc_u32_e32 v3, 2, v2
	s_mul_i32 s6, s1, s7
	v_add_nc_u32_e32 v4, 4, v2
	s_ashr_i32 s7, s6, 31
	v_lshl_or_b32 v11, v75, 6, v0
	s_lshl_b64 s[6:7], s[6:7], 1
	v_mul_lo_u32 v15, v3, s0
	v_mul_lo_u32 v17, v4, s0
	v_ashrrev_i32_e32 v2, 31, v1
	ds_load_b128 v[3:6], v11
	ds_load_b128 v[7:10], v11 offset:128
	ds_load_b128 v[11:14], v11 offset:256
	s_waitcnt lgkmcnt(0)
	s_add_u32 s1, s4, s6
	s_addc_u32 s3, s5, s7
	s_lshl_b32 s4, s14, 7
	v_ashrrev_i32_e32 v16, 31, v15
	s_ashr_i32 s5, s4, 31
	v_lshlrev_b64 v[19:20], 1, v[1:2]
	s_lshl_b64 s[4:5], s[4:5], 1
	v_ashrrev_i32_e32 v18, 31, v17
	s_add_u32 s1, s1, s4
	s_addc_u32 s3, s3, s5
	v_add_co_u32 v1, vcc_lo, s1, v73
	v_add_co_ci_u32_e32 v2, vcc_lo, s3, v74, vcc_lo
	v_lshlrev_b64 v[15:16], 1, v[15:16]
	s_delay_alu instid0(VALU_DEP_3) | instskip(SKIP_1) | instid1(VALU_DEP_4)
	v_add_co_u32 v19, vcc_lo, v1, v19
	v_lshlrev_b64 v[17:18], 1, v[17:18]
	v_add_co_ci_u32_e32 v20, vcc_lo, v2, v20, vcc_lo
	s_delay_alu instid0(VALU_DEP_4) | instskip(SKIP_1) | instid1(VALU_DEP_4)
	v_add_co_u32 v15, vcc_lo, v1, v15
	v_add_co_ci_u32_e32 v16, vcc_lo, v2, v16, vcc_lo
	v_add_co_u32 v17, vcc_lo, v1, v17
	v_add_co_ci_u32_e32 v18, vcc_lo, v2, v18, vcc_lo
	s_clause 0x2
	global_store_b128 v[19:20], v[3:6], off
	global_store_b128 v[15:16], v[7:10], off
	;; [unrolled: 1-line block ×3, first 2 shown]
	s_and_b32 exec_lo, exec_lo, s2
	s_cbranch_execz .LBB372_2
; %bb.18:
	ds_load_b128 v[3:6], v0 offset:384
	s_add_i32 s1, s31, 6
	s_delay_alu instid0(SALU_CYCLE_1) | instskip(NEXT) | instid1(SALU_CYCLE_1)
	s_mul_i32 s0, s1, s0
	s_ashr_i32 s1, s0, 31
	s_delay_alu instid0(SALU_CYCLE_1) | instskip(NEXT) | instid1(SALU_CYCLE_1)
	s_lshl_b64 s[0:1], s[0:1], 1
	v_add_co_u32 v0, vcc_lo, v1, s0
	v_add_co_ci_u32_e32 v1, vcc_lo, s1, v2, vcc_lo
	s_waitcnt lgkmcnt(0)
	global_store_b128 v[0:1], v[3:6], off
	s_nop 0
	s_sendmsg sendmsg(MSG_DEALLOC_VGPRS)
	s_endpgm
	.section	.rodata,"a",@progbits
	.p2align	6, 0x0
	.amdhsa_kernel _Z39paged_attention_ll4mi_QKV_mfma16_kernelIDF16_DF16_LN4vllm18Fp8KVCacheDataTypeE0EDF16_Li32ELi128ELi256ELb0ELi7EL8MFMAType0EEvPKT_PKT0_S8_ifPKiSA_SA_iPKfiiiPfSD_PS3_PT2_iSC_SC_
		.amdhsa_group_segment_fixed_size 17472
		.amdhsa_private_segment_fixed_size 0
		.amdhsa_kernarg_size 400
		.amdhsa_user_sgpr_count 13
		.amdhsa_user_sgpr_dispatch_ptr 0
		.amdhsa_user_sgpr_queue_ptr 0
		.amdhsa_user_sgpr_kernarg_segment_ptr 1
		.amdhsa_user_sgpr_dispatch_id 0
		.amdhsa_user_sgpr_private_segment_size 0
		.amdhsa_wavefront_size32 1
		.amdhsa_uses_dynamic_stack 0
		.amdhsa_enable_private_segment 0
		.amdhsa_system_sgpr_workgroup_id_x 1
		.amdhsa_system_sgpr_workgroup_id_y 1
		.amdhsa_system_sgpr_workgroup_id_z 1
		.amdhsa_system_sgpr_workgroup_info 0
		.amdhsa_system_vgpr_workitem_id 0
		.amdhsa_next_free_vgpr 172
		.amdhsa_next_free_sgpr 39
		.amdhsa_reserve_vcc 1
		.amdhsa_float_round_mode_32 0
		.amdhsa_float_round_mode_16_64 0
		.amdhsa_float_denorm_mode_32 3
		.amdhsa_float_denorm_mode_16_64 3
		.amdhsa_dx10_clamp 1
		.amdhsa_ieee_mode 1
		.amdhsa_fp16_overflow 0
		.amdhsa_workgroup_processor_mode 1
		.amdhsa_memory_ordered 1
		.amdhsa_forward_progress 0
		.amdhsa_shared_vgpr_count 0
		.amdhsa_exception_fp_ieee_invalid_op 0
		.amdhsa_exception_fp_denorm_src 0
		.amdhsa_exception_fp_ieee_div_zero 0
		.amdhsa_exception_fp_ieee_overflow 0
		.amdhsa_exception_fp_ieee_underflow 0
		.amdhsa_exception_fp_ieee_inexact 0
		.amdhsa_exception_int_div_zero 0
	.end_amdhsa_kernel
	.section	.text._Z39paged_attention_ll4mi_QKV_mfma16_kernelIDF16_DF16_LN4vllm18Fp8KVCacheDataTypeE0EDF16_Li32ELi128ELi256ELb0ELi7EL8MFMAType0EEvPKT_PKT0_S8_ifPKiSA_SA_iPKfiiiPfSD_PS3_PT2_iSC_SC_,"axG",@progbits,_Z39paged_attention_ll4mi_QKV_mfma16_kernelIDF16_DF16_LN4vllm18Fp8KVCacheDataTypeE0EDF16_Li32ELi128ELi256ELb0ELi7EL8MFMAType0EEvPKT_PKT0_S8_ifPKiSA_SA_iPKfiiiPfSD_PS3_PT2_iSC_SC_,comdat
.Lfunc_end372:
	.size	_Z39paged_attention_ll4mi_QKV_mfma16_kernelIDF16_DF16_LN4vllm18Fp8KVCacheDataTypeE0EDF16_Li32ELi128ELi256ELb0ELi7EL8MFMAType0EEvPKT_PKT0_S8_ifPKiSA_SA_iPKfiiiPfSD_PS3_PT2_iSC_SC_, .Lfunc_end372-_Z39paged_attention_ll4mi_QKV_mfma16_kernelIDF16_DF16_LN4vllm18Fp8KVCacheDataTypeE0EDF16_Li32ELi128ELi256ELb0ELi7EL8MFMAType0EEvPKT_PKT0_S8_ifPKiSA_SA_iPKfiiiPfSD_PS3_PT2_iSC_SC_
                                        ; -- End function
	.section	.AMDGPU.csdata,"",@progbits
; Kernel info:
; codeLenInByte = 7564
; NumSgprs: 41
; NumVgprs: 172
; ScratchSize: 0
; MemoryBound: 0
; FloatMode: 240
; IeeeMode: 1
; LDSByteSize: 17472 bytes/workgroup (compile time only)
; SGPRBlocks: 5
; VGPRBlocks: 21
; NumSGPRsForWavesPerEU: 41
; NumVGPRsForWavesPerEU: 172
; Occupancy: 8
; WaveLimiterHint : 1
; COMPUTE_PGM_RSRC2:SCRATCH_EN: 0
; COMPUTE_PGM_RSRC2:USER_SGPR: 13
; COMPUTE_PGM_RSRC2:TRAP_HANDLER: 0
; COMPUTE_PGM_RSRC2:TGID_X_EN: 1
; COMPUTE_PGM_RSRC2:TGID_Y_EN: 1
; COMPUTE_PGM_RSRC2:TGID_Z_EN: 1
; COMPUTE_PGM_RSRC2:TIDIG_COMP_CNT: 0
	.section	.text._Z39paged_attention_ll4mi_QKV_mfma16_kernelIDF16_DF16_LN4vllm18Fp8KVCacheDataTypeE0EDF16_Li32ELi128ELi256ELb0ELi8EL8MFMAType0EEvPKT_PKT0_S8_ifPKiSA_SA_iPKfiiiPfSD_PS3_PT2_iSC_SC_,"axG",@progbits,_Z39paged_attention_ll4mi_QKV_mfma16_kernelIDF16_DF16_LN4vllm18Fp8KVCacheDataTypeE0EDF16_Li32ELi128ELi256ELb0ELi8EL8MFMAType0EEvPKT_PKT0_S8_ifPKiSA_SA_iPKfiiiPfSD_PS3_PT2_iSC_SC_,comdat
	.protected	_Z39paged_attention_ll4mi_QKV_mfma16_kernelIDF16_DF16_LN4vllm18Fp8KVCacheDataTypeE0EDF16_Li32ELi128ELi256ELb0ELi8EL8MFMAType0EEvPKT_PKT0_S8_ifPKiSA_SA_iPKfiiiPfSD_PS3_PT2_iSC_SC_ ; -- Begin function _Z39paged_attention_ll4mi_QKV_mfma16_kernelIDF16_DF16_LN4vllm18Fp8KVCacheDataTypeE0EDF16_Li32ELi128ELi256ELb0ELi8EL8MFMAType0EEvPKT_PKT0_S8_ifPKiSA_SA_iPKfiiiPfSD_PS3_PT2_iSC_SC_
	.globl	_Z39paged_attention_ll4mi_QKV_mfma16_kernelIDF16_DF16_LN4vllm18Fp8KVCacheDataTypeE0EDF16_Li32ELi128ELi256ELb0ELi8EL8MFMAType0EEvPKT_PKT0_S8_ifPKiSA_SA_iPKfiiiPfSD_PS3_PT2_iSC_SC_
	.p2align	8
	.type	_Z39paged_attention_ll4mi_QKV_mfma16_kernelIDF16_DF16_LN4vllm18Fp8KVCacheDataTypeE0EDF16_Li32ELi128ELi256ELb0ELi8EL8MFMAType0EEvPKT_PKT0_S8_ifPKiSA_SA_iPKfiiiPfSD_PS3_PT2_iSC_SC_,@function
_Z39paged_attention_ll4mi_QKV_mfma16_kernelIDF16_DF16_LN4vllm18Fp8KVCacheDataTypeE0EDF16_Li32ELi128ELi256ELb0ELi8EL8MFMAType0EEvPKT_PKT0_S8_ifPKiSA_SA_iPKfiiiPfSD_PS3_PT2_iSC_SC_: ; @_Z39paged_attention_ll4mi_QKV_mfma16_kernelIDF16_DF16_LN4vllm18Fp8KVCacheDataTypeE0EDF16_Li32ELi128ELi256ELb0ELi8EL8MFMAType0EEvPKT_PKT0_S8_ifPKiSA_SA_iPKfiiiPfSD_PS3_PT2_iSC_SC_
; %bb.0:
	s_load_b64 s[2:3], s[0:1], 0x30
	s_mov_b32 s30, s13
	s_waitcnt lgkmcnt(0)
	s_cmp_lg_u64 s[2:3], 0
	s_cselect_b32 s6, -1, 0
	s_ashr_i32 s31, s13, 31
	s_cmp_eq_u64 s[2:3], 0
	s_cbranch_scc1 .LBB373_3
; %bb.1:
	s_lshl_b64 s[4:5], s[30:31], 2
	s_delay_alu instid0(SALU_CYCLE_1) | instskip(SKIP_4) | instid1(SALU_CYCLE_1)
	s_add_u32 s4, s2, s4
	s_addc_u32 s5, s3, s5
	s_load_b64 s[4:5], s[4:5], 0x0
	s_waitcnt lgkmcnt(0)
	s_sub_i32 s4, s5, s4
	s_cmp_eq_u32 s4, 1
	s_cselect_b32 s4, -1, 0
	s_delay_alu instid0(SALU_CYCLE_1)
	s_and_not1_b32 vcc_lo, exec_lo, s4
	s_cbranch_vccz .LBB373_4
.LBB373_2:
	s_endpgm
.LBB373_3:
.LBB373_4:
	s_load_b64 s[8:9], s[0:1], 0x28
	s_lshl_b64 s[4:5], s[30:31], 2
	s_waitcnt lgkmcnt(0)
	s_add_u32 s8, s8, s4
	s_addc_u32 s9, s9, s5
	s_lshl_b32 s12, s14, 8
	s_load_b32 s17, s[8:9], 0x0
	s_waitcnt lgkmcnt(0)
	s_cmp_ge_i32 s12, s17
	s_cbranch_scc1 .LBB373_2
; %bb.5:
	s_and_not1_b32 vcc_lo, exec_lo, s6
	s_cbranch_vccnz .LBB373_7
; %bb.6:
	s_add_u32 s2, s2, s4
	s_addc_u32 s3, s3, s5
	s_load_b32 s13, s[2:3], 0x0
	s_branch .LBB373_8
.LBB373_7:
	s_mov_b32 s13, s30
.LBB373_8:
	s_clause 0x2
	s_load_b128 s[8:11], s[0:1], 0x8
	s_load_b64 s[2:3], s[0:1], 0x20
	s_load_b128 s[4:7], s[0:1], 0x48
	v_and_b32_e32 v78, 15, v0
	s_waitcnt lgkmcnt(0)
	s_mov_b32 s7, exec_lo
	s_delay_alu instid0(VALU_DEP_1)
	v_lshlrev_b32_e32 v1, 3, v78
	v_cmpx_lt_u32_e32 0x7f, v0
	s_xor_b32 s7, exec_lo, s7
; %bb.9:
	v_mov_b32_e32 v2, 0
; %bb.10:
	s_or_saveexec_b32 s7, s7
	v_lshrrev_b32_e32 v77, 5, v0
	v_and_b32_e32 v80, 31, v0
	v_and_b32_e32 v76, 1, v0
	v_bfe_u32 v75, v0, 4, 1
	s_lshl_b32 s31, s15, 3
	s_xor_b32 exec_lo, exec_lo, s7
	s_cbranch_execz .LBB373_12
; %bb.11:
	s_delay_alu instid0(VALU_DEP_1)
	v_lshl_or_b32 v7, v77, 1, v75
	s_load_b64 s[18:19], s[0:1], 0x0
	s_mul_hi_i32 s21, s13, s4
	s_mul_i32 s20, s13, s4
	v_lshlrev_b32_e32 v4, 1, v1
	v_or_b32_e32 v2, s31, v7
	s_lshl_b64 s[20:21], s[20:21], 1
	v_lshlrev_b32_e32 v7, 6, v7
	v_lshlrev_b32_e32 v8, 10, v76
	s_delay_alu instid0(VALU_DEP_3) | instskip(NEXT) | instid1(VALU_DEP_1)
	v_lshlrev_b32_e32 v2, 7, v2
	v_ashrrev_i32_e32 v3, 31, v2
	s_delay_alu instid0(VALU_DEP_1) | instskip(SKIP_3) | instid1(VALU_DEP_1)
	v_lshlrev_b64 v[2:3], 1, v[2:3]
	s_waitcnt lgkmcnt(0)
	s_add_u32 s4, s18, s20
	s_addc_u32 s13, s19, s21
	v_add_co_u32 v2, vcc_lo, s4, v2
	s_delay_alu instid0(VALU_DEP_2) | instskip(NEXT) | instid1(VALU_DEP_2)
	v_add_co_ci_u32_e32 v3, vcc_lo, s13, v3, vcc_lo
	v_add_co_u32 v2, vcc_lo, v2, v4
	s_delay_alu instid0(VALU_DEP_2) | instskip(SKIP_2) | instid1(VALU_DEP_1)
	v_add_co_ci_u32_e32 v3, vcc_lo, 0, v3, vcc_lo
	global_load_b128 v[3:6], v[2:3], off
	v_lshlrev_b32_e32 v2, 10, v78
	v_and_b32_e32 v2, 0x3800, v2
	s_delay_alu instid0(VALU_DEP_1)
	v_or3_b32 v7, v2, v8, v7
	v_mov_b32_e32 v2, 0
	s_waitcnt vmcnt(0)
	ds_store_b128 v7, v[3:6]
.LBB373_12:
	s_or_b32 exec_lo, exec_lo, s7
	v_and_b32_e32 v3, 0xef, v0
	s_add_i32 s4, s17, 31
	s_clause 0x1
	s_load_b32 s7, s[0:1], 0x38
	s_load_b32 s33, s[0:1], 0x98
	s_ashr_i32 s13, s4, 31
	v_add_nc_u32_e32 v3, s12, v3
	s_lshr_b32 s13, s13, 27
	s_load_b32 s18, s[0:1], 0x1c
	s_add_i32 s4, s4, s13
	s_waitcnt lgkmcnt(0)
	v_ashrrev_i32_e32 v4, 31, v3
	v_cmp_gt_i32_e32 vcc_lo, s17, v3
	s_ashr_i32 s4, s4, 5
	s_barrier
	s_add_i32 s4, s4, -1
	v_lshrrev_b32_e32 v5, 27, v4
	v_or_b32_e32 v4, 16, v3
	buffer_gl0_inv
	v_lshlrev_b64 v[73:74], 1, v[1:2]
	v_lshlrev_b32_e32 v79, 6, v78
	v_add_nc_u32_e32 v6, v3, v5
	v_add_nc_u32_e32 v5, v4, v5
	s_mul_i32 s20, s30, s7
	s_delay_alu instid0(SALU_CYCLE_1) | instskip(NEXT) | instid1(VALU_DEP_2)
	s_ashr_i32 s21, s20, 31
	v_ashrrev_i32_e32 v6, 5, v6
	s_delay_alu instid0(VALU_DEP_2) | instskip(SKIP_1) | instid1(SALU_CYCLE_1)
	v_ashrrev_i32_e32 v5, 5, v5
	s_lshl_b64 s[20:21], s[20:21], 2
	s_add_u32 s13, s2, s20
	s_delay_alu instid0(VALU_DEP_2) | instskip(SKIP_3) | instid1(SALU_CYCLE_1)
	v_cndmask_b32_e32 v3, s4, v6, vcc_lo
	v_cmp_gt_i32_e32 vcc_lo, s17, v4
	s_addc_u32 s16, s3, s21
	s_mul_i32 s2, s15, s6
	s_ashr_i32 s3, s2, 31
	v_cndmask_b32_e32 v5, s4, v5, vcc_lo
	v_ashrrev_i32_e32 v4, 31, v3
	s_lshl_b64 s[2:3], s[2:3], 1
	s_delay_alu instid0(SALU_CYCLE_1) | instskip(NEXT) | instid1(VALU_DEP_2)
	s_add_u32 s15, s8, s2
	v_ashrrev_i32_e32 v6, 31, v5
	s_delay_alu instid0(VALU_DEP_2) | instskip(SKIP_2) | instid1(VALU_DEP_2)
	v_lshlrev_b64 v[3:4], 2, v[3:4]
	s_addc_u32 s19, s9, s3
	s_lshl_b32 s6, s14, 3
	v_lshlrev_b64 v[5:6], 2, v[5:6]
	s_ashr_i32 s7, s6, 31
	s_delay_alu instid0(VALU_DEP_2) | instskip(SKIP_1) | instid1(VALU_DEP_3)
	v_add_co_u32 v3, vcc_lo, s13, v3
	v_add_co_ci_u32_e32 v4, vcc_lo, s16, v4, vcc_lo
	v_add_co_u32 v5, vcc_lo, s13, v5
	s_delay_alu instid0(VALU_DEP_4)
	v_add_co_ci_u32_e32 v6, vcc_lo, s16, v6, vcc_lo
	s_lshl_b64 s[6:7], s[6:7], 2
	s_clause 0x1
	global_load_b32 v7, v[3:4], off
	global_load_b32 v8, v[5:6], off
	s_add_u32 s6, s13, s6
	s_addc_u32 s7, s16, s7
	s_or_b32 s8, s12, 32
	s_delay_alu instid0(SALU_CYCLE_1) | instskip(SKIP_2) | instid1(SALU_CYCLE_1)
	s_ashr_i32 s9, s8, 5
	s_cmp_lt_i32 s8, s17
	s_cselect_b32 s8, s9, s4
	s_ashr_i32 s9, s8, 31
	s_delay_alu instid0(SALU_CYCLE_1) | instskip(NEXT) | instid1(SALU_CYCLE_1)
	s_lshl_b64 s[8:9], s[8:9], 2
	s_add_u32 s8, s13, s8
	s_addc_u32 s9, s16, s9
	s_or_b32 s20, s12, 64
	s_delay_alu instid0(SALU_CYCLE_1) | instskip(SKIP_2) | instid1(SALU_CYCLE_1)
	s_ashr_i32 s21, s20, 5
	s_cmp_lt_i32 s20, s17
	s_cselect_b32 s20, s21, s4
	s_ashr_i32 s21, s20, 31
	s_delay_alu instid0(SALU_CYCLE_1) | instskip(NEXT) | instid1(SALU_CYCLE_1)
	s_lshl_b64 s[20:21], s[20:21], 2
	;; [unrolled: 10-line block ×5, first 2 shown]
	s_add_u32 s26, s13, s26
	s_addc_u32 s27, s16, s27
	s_clause 0x5
	s_load_b32 s28, s[6:7], 0x0
	s_load_b32 s29, s[8:9], 0x0
	;; [unrolled: 1-line block ×6, first 2 shown]
	s_mov_b32 s20, 0
	s_or_b32 s6, s12, 0xc0
	s_mov_b32 s21, s20
	s_mov_b32 s22, s20
	;; [unrolled: 1-line block ×7, first 2 shown]
	s_ashr_i32 s7, s6, 5
	v_mov_b32_e32 v128, s27
	s_cmp_lt_i32 s6, s17
	v_mov_b32_e32 v127, s26
	s_cselect_b32 s6, s7, s4
	v_mov_b32_e32 v126, s25
	s_ashr_i32 s7, s6, 31
	v_mov_b32_e32 v125, s24
	s_lshl_b64 s[6:7], s[6:7], 2
	v_mov_b32_e32 v124, s23
	s_add_u32 s6, s13, s6
	s_addc_u32 s7, s16, s7
	v_mov_b32_e32 v123, s22
	v_mov_b32_e32 v121, s20
	s_waitcnt lgkmcnt(0)
	s_mul_hi_i32 s9, s28, s5
	s_mul_i32 s8, s28, s5
	v_mov_b32_e32 v122, s21
	s_mul_hi_i32 s21, s29, s5
	s_mul_i32 s20, s29, s5
	s_mul_hi_i32 s25, s34, s5
	s_mul_i32 s24, s34, s5
	;; [unrolled: 2-line block ×4, first 2 shown]
	s_waitcnt vmcnt(1)
	v_mad_i64_i32 v[3:4], null, v7, s5, 0
	s_waitcnt vmcnt(0)
	v_mad_i64_i32 v[5:6], null, v8, s5, 0
	s_delay_alu instid0(VALU_DEP_2) | instskip(NEXT) | instid1(VALU_DEP_2)
	v_lshlrev_b64 v[3:4], 1, v[3:4]
	v_lshlrev_b64 v[1:2], 1, v[5:6]
	s_delay_alu instid0(VALU_DEP_2) | instskip(NEXT) | instid1(VALU_DEP_3)
	v_add_co_u32 v3, vcc_lo, s15, v3
	v_add_co_ci_u32_e32 v4, vcc_lo, s19, v4, vcc_lo
	s_delay_alu instid0(VALU_DEP_3) | instskip(NEXT) | instid1(VALU_DEP_4)
	v_add_co_u32 v1, vcc_lo, s15, v1
	v_add_co_ci_u32_e32 v2, vcc_lo, s19, v2, vcc_lo
	s_delay_alu instid0(VALU_DEP_4) | instskip(NEXT) | instid1(VALU_DEP_4)
	v_add_co_u32 v65, vcc_lo, v3, v73
	v_add_co_ci_u32_e32 v66, vcc_lo, v4, v74, vcc_lo
	s_delay_alu instid0(VALU_DEP_4) | instskip(NEXT) | instid1(VALU_DEP_4)
	v_add_co_u32 v67, vcc_lo, v1, v73
	v_add_co_ci_u32_e32 v68, vcc_lo, v2, v74, vcc_lo
	s_clause 0xf
	global_load_b128 v[1:4], v[65:66], off
	global_load_b128 v[5:8], v[65:66], off offset:512
	global_load_b128 v[9:12], v[67:68], off offset:256
	;; [unrolled: 1-line block ×15, first 2 shown]
	v_add_co_u32 v157, vcc_lo, 0x1000, v65
	v_add_co_ci_u32_e32 v158, vcc_lo, 0, v66, vcc_lo
	v_add_co_u32 v165, vcc_lo, 0x1000, v67
	v_add_co_ci_u32_e32 v166, vcc_lo, 0, v68, vcc_lo
	s_clause 0x7
	global_load_b128 v[81:84], v[157:158], off
	global_load_b128 v[85:88], v[157:158], off offset:512
	global_load_b128 v[89:92], v[165:166], off offset:256
	;; [unrolled: 1-line block ×7, first 2 shown]
	v_and_b32_e32 v65, 7, v0
	s_or_b32 s15, s12, 0xe0
	s_delay_alu instid0(SALU_CYCLE_1) | instskip(SKIP_1) | instid1(VALU_DEP_1)
	s_ashr_i32 s19, s15, 5
	s_cmp_lt_i32 s15, s17
	v_lshlrev_b32_e32 v169, 6, v65
	ds_load_b128 v[65:68], v169
	ds_load_b128 v[69:72], v169 offset:1024
	s_clause 0x1
	global_load_b128 v[113:116], v[157:158], off offset:2048
	global_load_b128 v[117:120], v[157:158], off offset:2560
	ds_load_b128 v[129:132], v169 offset:2048
	ds_load_b128 v[133:136], v169 offset:3072
	s_clause 0x5
	global_load_b128 v[145:148], v[165:166], off offset:2304
	global_load_b128 v[149:152], v[165:166], off offset:2816
	global_load_b128 v[153:156], v[157:158], off offset:3072
	global_load_b128 v[157:160], v[157:158], off offset:3584
	global_load_b128 v[161:164], v[165:166], off offset:3328
	global_load_b128 v[165:168], v[165:166], off offset:3840
	s_cselect_b32 s22, s19, s4
	s_delay_alu instid0(SALU_CYCLE_1) | instskip(NEXT) | instid1(SALU_CYCLE_1)
	s_ashr_i32 s23, s22, 31
	s_lshl_b64 s[22:23], s[22:23], 2
	s_delay_alu instid0(SALU_CYCLE_1) | instskip(SKIP_2) | instid1(SALU_CYCLE_1)
	s_add_u32 s22, s13, s22
	s_addc_u32 s23, s16, s23
	s_add_i32 s15, s12, 0x100
	s_ashr_i32 s19, s15, 5
	s_cmp_lt_i32 s15, s17
	s_cselect_b32 s28, s19, s4
	s_delay_alu instid0(SALU_CYCLE_1) | instskip(NEXT) | instid1(SALU_CYCLE_1)
	s_ashr_i32 s29, s28, 31
	s_lshl_b64 s[28:29], s[28:29], 2
	s_delay_alu instid0(SALU_CYCLE_1)
	s_add_u32 s28, s13, s28
	s_addc_u32 s29, s16, s29
	s_add_u32 s4, s10, s2
	s_addc_u32 s19, s11, s3
	s_lshl_b64 s[2:3], s[8:9], 1
	s_lshl_b64 s[8:9], s[20:21], 1
	;; [unrolled: 1-line block ×4, first 2 shown]
	s_waitcnt vmcnt(30) lgkmcnt(2)
	v_wmma_f32_16x16x16_f16 v[137:144], v[1:8], v[65:72], v[121:128]
	ds_load_b128 v[1:4], v169 offset:4096
	ds_load_b128 v[5:8], v169 offset:5120
	s_waitcnt vmcnt(28)
	v_wmma_f32_16x16x16_f16 v[121:128], v[9:16], v[65:72], v[121:128]
	ds_load_b128 v[9:12], v169 offset:6144
	ds_load_b128 v[13:16], v169 offset:7168
	s_waitcnt vmcnt(26) lgkmcnt(4)
	v_wmma_f32_16x16x16_f16 v[137:144], v[17:24], v[129:136], v[137:144]
	ds_load_b128 v[17:20], v169 offset:8192
	ds_load_b128 v[21:24], v169 offset:9216
	s_waitcnt vmcnt(24)
	v_wmma_f32_16x16x16_f16 v[121:128], v[25:32], v[129:136], v[121:128]
	v_lshl_or_b32 v25, v77, 10, v79
	ds_load_b128 v[129:132], v169 offset:10240
	ds_load_b128 v[133:136], v169 offset:11264
	s_clause 0x2
	s_load_b32 s15, s[6:7], 0x0
	s_load_b32 s13, s[22:23], 0x0
	;; [unrolled: 1-line block ×3, first 2 shown]
	s_mul_hi_i32 s7, s36, s5
	v_add_co_u32 v170, s4, s4, v25
	s_delay_alu instid0(VALU_DEP_1)
	v_add_co_ci_u32_e64 v171, null, s19, 0, s4
	s_mul_i32 s6, s36, s5
	s_lshl_b64 s[22:23], s[34:35], 1
	s_lshl_b64 s[6:7], s[6:7], 1
	s_waitcnt vmcnt(22) lgkmcnt(0)
	v_wmma_f32_16x16x16_f16 v[137:144], v[33:40], v[1:8], v[137:144]
	s_waitcnt vmcnt(20)
	v_wmma_f32_16x16x16_f16 v[121:128], v[41:48], v[1:8], v[121:128]
	v_add_co_u32 v1, vcc_lo, v170, s2
	v_add_co_ci_u32_e32 v2, vcc_lo, s3, v171, vcc_lo
	v_add_co_u32 v3, vcc_lo, v170, s8
	v_add_co_ci_u32_e32 v4, vcc_lo, s9, v171, vcc_lo
	;; [unrolled: 2-line block ×4, first 2 shown]
	v_add_co_u32 v25, vcc_lo, v170, s6
	s_mul_hi_i32 s25, s15, s5
	s_mul_i32 s24, s15, s5
	v_add_co_ci_u32_e32 v26, vcc_lo, s7, v171, vcc_lo
	v_add_co_u32 v27, vcc_lo, v170, s22
	s_lshl_b64 s[24:25], s[24:25], 1
	s_waitcnt vmcnt(18)
	v_wmma_f32_16x16x16_f16 v[137:144], v[49:56], v[9:16], v[137:144]
	s_waitcnt vmcnt(16)
	v_wmma_f32_16x16x16_f16 v[121:128], v[57:64], v[9:16], v[121:128]
	v_add_co_ci_u32_e32 v28, vcc_lo, s23, v171, vcc_lo
	s_mul_hi_i32 s3, s13, s5
	s_mul_i32 s2, s13, s5
	v_add_co_u32 v29, vcc_lo, v170, s24
	s_lshl_b64 s[2:3], s[2:3], 1
	v_add_co_ci_u32_e32 v30, vcc_lo, s25, v171, vcc_lo
	s_waitcnt vmcnt(14)
	v_wmma_f32_16x16x16_f16 v[137:144], v[81:88], v[17:24], v[137:144]
	s_waitcnt vmcnt(12)
	v_wmma_f32_16x16x16_f16 v[121:128], v[89:96], v[17:24], v[121:128]
	v_add_co_u32 v17, vcc_lo, v170, s2
	v_add_co_ci_u32_e32 v18, vcc_lo, s3, v171, vcc_lo
	s_mul_hi_i32 s3, s16, s5
	s_mul_i32 s2, s16, s5
	s_clause 0x5
	global_load_b128 v[65:68], v[1:2], off
	global_load_b128 v[69:72], v[1:2], off offset:16
	global_load_b128 v[57:60], v[3:4], off
	global_load_b128 v[61:64], v[3:4], off offset:16
	;; [unrolled: 2-line block ×3, first 2 shown]
	s_lshl_b64 s[2:3], s[2:3], 1
	s_clause 0x1
	global_load_b128 v[41:44], v[7:8], off
	global_load_b128 v[45:48], v[7:8], off offset:16
	v_add_co_u32 v21, vcc_lo, v170, s2
	v_add_co_ci_u32_e32 v22, vcc_lo, s3, v171, vcc_lo
	s_clause 0x9
	global_load_b128 v[9:12], v[25:26], off
	global_load_b128 v[13:16], v[25:26], off offset:16
	global_load_b128 v[1:4], v[27:28], off
	global_load_b128 v[5:8], v[27:28], off offset:16
	;; [unrolled: 2-line block ×5, first 2 shown]
	ds_load_b128 v[81:84], v169 offset:12288
	ds_load_b128 v[85:88], v169 offset:13312
	v_and_b32_e32 v89, 0xe0, v0
	s_waitcnt vmcnt(28)
	v_wmma_f32_16x16x16_f16 v[137:144], v[97:104], v[129:136], v[137:144]
	v_mbcnt_lo_u32_b32 v97, -1, 0
	s_waitcnt vmcnt(26)
	v_wmma_f32_16x16x16_f16 v[121:128], v[105:112], v[129:136], v[121:128]
	v_add_nc_u32_e32 v98, s12, v89
	ds_load_b128 v[89:92], v169 offset:14336
	ds_load_b128 v[93:96], v169 offset:15360
	v_xor_b32_e32 v99, 16, v97
	s_waitcnt vmcnt(0) lgkmcnt(0)
	s_barrier
	v_or_b32_e32 v98, v98, v75
	buffer_gl0_inv
	v_cmp_gt_i32_e32 vcc_lo, 32, v99
	v_or_b32_e32 v100, 4, v98
	v_or_b32_e32 v101, 22, v98
	;; [unrolled: 1-line block ×4, first 2 shown]
	v_wmma_f32_16x16x16_f16 v[137:144], v[113:120], v[81:88], v[137:144]
	v_wmma_f32_16x16x16_f16 v[121:128], v[145:152], v[81:88], v[121:128]
	v_or_b32_e32 v81, 6, v98
	v_or_b32_e32 v82, 8, v98
	;; [unrolled: 1-line block ×3, first 2 shown]
	v_cmp_gt_i32_e64 s3, s17, v100
	v_or_b32_e32 v84, 12, v98
	v_wmma_f32_16x16x16_f16 v[137:144], v[153:160], v[89:96], v[137:144]
	v_wmma_f32_16x16x16_f16 v[121:128], v[161:168], v[89:96], v[121:128]
	v_cndmask_b32_e32 v97, v97, v99, vcc_lo
	v_or_b32_e32 v99, 2, v98
	v_cmp_gt_i32_e32 vcc_lo, s17, v98
	v_dual_mul_f32 v95, s18, v138 :: v_dual_mul_f32 v96, s18, v137
	v_mul_f32_e32 v93, s18, v140
	s_delay_alu instid0(VALU_DEP_4)
	v_cmp_gt_i32_e64 s2, s17, v99
	v_mul_f32_e32 v94, s18, v139
	v_mul_f32_e32 v106, s18, v128
	v_cndmask_b32_e32 v96, 0xff7fffff, v96, vcc_lo
	v_cmp_gt_i32_e64 s4, s17, v81
	v_cndmask_b32_e64 v95, 0xff7fffff, v95, s2
	v_or_b32_e32 v85, 14, v98
	v_dual_mul_f32 v91, s18, v142 :: v_dual_mul_f32 v110, s18, v124
	v_mul_f32_e32 v92, s18, v141
	v_cndmask_b32_e64 v94, 0xff7fffff, v94, s3
	v_cndmask_b32_e64 v81, 0xff7fffff, v93, s4
	v_max3_f32 v93, v96, 0xff7fffff, v95
	v_cmp_gt_i32_e64 s5, s17, v82
	v_cmp_gt_i32_e64 s6, s17, v83
	v_or_b32_e32 v86, 16, v98
	v_or_b32_e32 v87, 18, v98
	v_dual_mul_f32 v89, s18, v144 :: v_dual_mul_f32 v112, s18, v122
	v_mul_f32_e32 v90, s18, v143
	v_cndmask_b32_e64 v82, 0xff7fffff, v92, s5
	v_cndmask_b32_e64 v83, 0xff7fffff, v91, s6
	v_max3_f32 v81, v93, v94, v81
	v_cmp_gt_i32_e64 s7, s17, v84
	v_cmp_gt_i32_e64 s8, s17, v85
	v_or_b32_e32 v88, 20, v98
	v_mul_f32_e32 v113, s18, v121
	v_max3_f32 v81, v81, v82, v83
	v_cndmask_b32_e64 v84, 0xff7fffff, v90, s7
	v_cndmask_b32_e64 v85, 0xff7fffff, v89, s8
	v_cmp_gt_i32_e64 s9, s17, v86
	v_cmp_gt_i32_e64 s10, s17, v87
	v_mul_f32_e32 v111, s18, v123
	v_cmp_gt_i32_e64 s11, s17, v88
	v_max3_f32 v81, v81, v84, v85
	v_cndmask_b32_e64 v82, 0xff7fffff, v113, s9
	v_cndmask_b32_e64 v83, 0xff7fffff, v112, s10
	v_cmp_gt_i32_e64 s12, s17, v101
	v_or_b32_e32 v104, 28, v98
	v_or_b32_e32 v105, 30, v98
	v_dual_mul_f32 v108, s18, v126 :: v_dual_mul_f32 v109, s18, v125
	v_cndmask_b32_e64 v84, 0xff7fffff, v111, s11
	v_cndmask_b32_e64 v85, 0xff7fffff, v110, s12
	v_max3_f32 v81, v81, v82, v83
	v_cmp_gt_i32_e64 s13, s17, v102
	v_cmp_gt_i32_e64 s15, s17, v103
	v_mul_f32_e32 v107, s18, v127
	v_cmp_gt_i32_e64 s16, s17, v104
	v_max3_f32 v81, v81, v84, v85
	v_cndmask_b32_e64 v82, 0xff7fffff, v109, s13
	v_cndmask_b32_e64 v83, 0xff7fffff, v108, s15
	v_cmp_gt_i32_e64 s17, s17, v105
	v_cndmask_b32_e64 v84, 0xff7fffff, v107, s16
	s_delay_alu instid0(VALU_DEP_3) | instskip(NEXT) | instid1(VALU_DEP_3)
	v_max3_f32 v81, v81, v82, v83
	v_cndmask_b32_e64 v85, 0xff7fffff, v106, s17
	v_lshlrev_b32_e32 v83, 2, v97
	s_delay_alu instid0(VALU_DEP_2) | instskip(SKIP_3) | instid1(VALU_DEP_1)
	v_max3_f32 v81, v81, v84, v85
	ds_bpermute_b32 v82, v83, v81
	s_waitcnt lgkmcnt(0)
	v_max_f32_e32 v82, v82, v82
	v_max_f32_e32 v81, v81, v82
	s_delay_alu instid0(VALU_DEP_1) | instskip(SKIP_3) | instid1(VALU_DEP_4)
	v_fma_f32 v82, s18, v137, -v81
	v_fma_f32 v84, s18, v138, -v81
	;; [unrolled: 1-line block ×4, first 2 shown]
	v_mul_f32_e32 v82, 0x3fb8aa3b, v82
	s_delay_alu instid0(VALU_DEP_3) | instskip(NEXT) | instid1(VALU_DEP_3)
	v_dual_mul_f32 v84, 0x3fb8aa3b, v84 :: v_dual_mul_f32 v85, 0x3fb8aa3b, v85
	v_mul_f32_e32 v86, 0x3fb8aa3b, v86
	s_delay_alu instid0(VALU_DEP_3) | instskip(NEXT) | instid1(VALU_DEP_2)
	v_exp_f32_e32 v82, v82
	v_exp_f32_e32 v84, v84
	s_delay_alu instid0(VALU_DEP_2) | instskip(NEXT) | instid1(VALU_DEP_1)
	v_exp_f32_e32 v85, v85
	v_exp_f32_e32 v90, v86
	v_cndmask_b32_e32 v87, 0, v82, vcc_lo
	s_delay_alu instid0(TRANS32_DEP_3) | instskip(SKIP_4) | instid1(VALU_DEP_1)
	v_cndmask_b32_e64 v86, 0, v84, s2
	s_waitcnt_depctr 0xfff
	v_cndmask_b32_e64 v89, 0, v85, s3
	s_mov_b32 s2, exec_lo
	v_add_f32_e32 v84, 0, v87
	v_add_f32_e32 v84, v84, v86
	s_delay_alu instid0(VALU_DEP_1)
	v_add_f32_e32 v84, v84, v89
	v_fma_f32 v88, s18, v141, -v81
	v_fma_f32 v91, s18, v143, -v81
	;; [unrolled: 1-line block ×5, first 2 shown]
	v_mul_f32_e32 v88, 0x3fb8aa3b, v88
	v_fma_f32 v100, s18, v128, -v81
	v_mul_f32_e32 v82, 0x3fb8aa3b, v82
	v_fma_f32 v98, s18, v126, -v81
	v_mul_f32_e32 v97, 0x3fb8aa3b, v95
	v_exp_f32_e32 v92, v88
	v_cndmask_b32_e64 v88, 0, v90, s4
	v_fma_f32 v90, s18, v121, -v81
	v_mul_f32_e32 v91, 0x3fb8aa3b, v91
	v_exp_f32_e32 v82, v82
	v_exp_f32_e32 v99, v97
	v_add_f32_e32 v84, v84, v88
	v_mul_f32_e32 v94, 0x3fb8aa3b, v90
	v_exp_f32_e32 v93, v91
	v_mul_f32_e32 v98, 0x3fb8aa3b, v98
	v_cndmask_b32_e64 v91, 0, v92, s5
	v_fma_f32 v92, s18, v122, -v81
	v_mul_f32_e32 v85, 0x3fb8aa3b, v85
	v_exp_f32_e32 v94, v94
	v_cndmask_b32_e64 v90, 0, v82, s6
	v_add_f32_e32 v82, v84, v91
	v_mul_f32_e32 v92, 0x3fb8aa3b, v92
	v_exp_f32_e32 v85, v85
	v_fma_f32 v84, s18, v123, -v81
	v_cndmask_b32_e64 v93, 0, v93, s7
	v_add_f32_e32 v82, v82, v90
	v_exp_f32_e32 v96, v92
	v_exp_f32_e32 v98, v98
	v_cndmask_b32_e64 v95, 0, v94, s9
	s_delay_alu instid0(VALU_DEP_2) | instskip(NEXT) | instid1(TRANS32_DEP_3)
	v_add_f32_e32 v82, v82, v93
	v_cndmask_b32_e64 v92, 0, v85, s8
	v_fma_f32 v85, s18, v125, -v81
	v_mul_f32_e32 v84, 0x3fb8aa3b, v84
	s_delay_alu instid0(TRANS32_DEP_2) | instskip(SKIP_1) | instid1(VALU_DEP_4)
	v_cndmask_b32_e64 v94, 0, v96, s10
	v_fma_f32 v96, s18, v127, -v81
	v_mul_f32_e32 v85, 0x3fb8aa3b, v85
	s_delay_alu instid0(VALU_DEP_4) | instskip(SKIP_1) | instid1(VALU_DEP_2)
	v_exp_f32_e32 v84, v84
	v_cndmask_b32_e64 v98, 0, v98, s15
	v_exp_f32_e32 v85, v85
	s_waitcnt_depctr 0xfff
	v_cndmask_b32_e64 v97, 0, v84, s11
	v_mul_f32_e32 v84, 0x3fb8aa3b, v96
	v_cndmask_b32_e64 v96, 0, v99, s12
	v_cndmask_b32_e64 v99, 0, v85, s13
	v_mul_f32_e32 v85, 0x3fb8aa3b, v100
	v_add_f32_e32 v82, v82, v92
	v_exp_f32_e32 v84, v84
	s_delay_alu instid0(VALU_DEP_2) | instskip(NEXT) | instid1(VALU_DEP_1)
	v_exp_f32_e32 v85, v85
	v_add_f32_e32 v82, v82, v95
	s_delay_alu instid0(VALU_DEP_1) | instskip(SKIP_4) | instid1(VALU_DEP_1)
	v_add_f32_e32 v82, v82, v94
	s_waitcnt_depctr 0xfff
	v_cndmask_b32_e64 v101, 0, v84, s16
	v_cndmask_b32_e64 v100, 0, v85, s17
	v_add_f32_e32 v82, v82, v97
	v_add_f32_e32 v82, v82, v96
	s_delay_alu instid0(VALU_DEP_1) | instskip(NEXT) | instid1(VALU_DEP_1)
	v_add_f32_e32 v82, v82, v99
	v_add_f32_e32 v82, v82, v98
	s_delay_alu instid0(VALU_DEP_1) | instskip(NEXT) | instid1(VALU_DEP_1)
	v_add_f32_e32 v82, v82, v101
	v_add_f32_e32 v82, v82, v100
	ds_bpermute_b32 v83, v83, v82
	v_cmpx_gt_u32_e32 16, v80
	s_cbranch_execz .LBB373_14
; %bb.13:
	v_mul_u32_u24_e32 v80, 0x44, v77
	s_waitcnt lgkmcnt(0)
	v_add_f32_e32 v82, v82, v83
	s_delay_alu instid0(VALU_DEP_2) | instskip(NEXT) | instid1(VALU_DEP_1)
	v_lshl_add_u32 v80, v78, 2, v80
	v_add_nc_u32_e32 v80, 0x4000, v80
	ds_store_2addr_b32 v80, v81, v82 offset1:136
.LBB373_14:
	s_or_b32 exec_lo, exec_lo, s2
	v_lshlrev_b32_e32 v78, 2, v78
	s_load_b32 s34, s[0:1], 0x94
	s_waitcnt lgkmcnt(0)
	s_barrier
	buffer_gl0_inv
	v_add_nc_u32_e32 v78, 0x4000, v78
	v_cmp_eq_u32_e32 vcc_lo, 1, v77
	v_cmp_eq_u32_e64 s2, 2, v77
	v_cmp_eq_u32_e64 s3, 3, v77
	;; [unrolled: 1-line block ×3, first 2 shown]
	ds_load_2addr_b32 v[80:81], v78 offset1:17
	ds_load_2addr_b32 v[82:83], v78 offset0:34 offset1:51
	ds_load_2addr_b32 v[102:103], v78 offset0:68 offset1:85
	;; [unrolled: 1-line block ×3, first 2 shown]
	v_cmp_eq_u32_e64 s5, 7, v77
	s_waitcnt lgkmcnt(3)
	v_max3_f32 v84, v80, 0xff7fffff, v81
	s_waitcnt lgkmcnt(2)
	s_delay_alu instid0(VALU_DEP_1) | instskip(SKIP_1) | instid1(VALU_DEP_1)
	v_max3_f32 v84, v84, v82, v83
	s_waitcnt lgkmcnt(1)
	v_max3_f32 v84, v84, v102, v103
	s_waitcnt lgkmcnt(0)
	s_delay_alu instid0(VALU_DEP_1) | instskip(NEXT) | instid1(VALU_DEP_1)
	v_max3_f32 v84, v84, v104, v105
	v_sub_f32_e32 v109, v83, v84
	ds_load_2addr_b32 v[106:107], v78 offset0:136 offset1:153
	v_sub_f32_e32 v85, v81, v84
	v_dual_sub_f32 v80, v80, v84 :: v_dual_mul_f32 v109, 0x3fb8aa3b, v109
	s_delay_alu instid0(VALU_DEP_1)
	v_dual_mul_f32 v85, 0x3fb8aa3b, v85 :: v_dual_mul_f32 v108, 0x3fb8aa3b, v80
	ds_load_2addr_b32 v[80:81], v78 offset0:170 offset1:187
	v_exp_f32_e32 v109, v109
	v_exp_f32_e32 v111, v85
	;; [unrolled: 1-line block ×3, first 2 shown]
	s_waitcnt lgkmcnt(1)
	s_waitcnt_depctr 0xfff
	v_fma_f32 v85, v108, v106, 0
	v_sub_f32_e32 v82, v82, v84
	v_sub_f32_e32 v106, v103, v84
	s_delay_alu instid0(VALU_DEP_2) | instskip(SKIP_3) | instid1(VALU_DEP_1)
	v_dual_fmac_f32 v85, v111, v107 :: v_dual_mul_f32 v110, 0x3fb8aa3b, v82
	ds_load_2addr_b32 v[82:83], v78 offset0:204 offset1:221
	v_sub_f32_e32 v102, v102, v84
	v_exp_f32_e32 v110, v110
	v_mul_f32_e32 v112, 0x3fb8aa3b, v102
	ds_load_2addr_b32 v[102:103], v78 offset0:238 offset1:255
	s_waitcnt lgkmcnt(0)
	s_barrier
	buffer_gl0_inv
	v_fmac_f32_e32 v85, v110, v80
	v_sub_f32_e32 v80, v105, v84
	s_delay_alu instid0(VALU_DEP_1) | instskip(SKIP_1) | instid1(VALU_DEP_2)
	v_dual_fmac_f32 v85, v109, v81 :: v_dual_mul_f32 v80, 0x3fb8aa3b, v80
	v_sub_f32_e32 v78, v104, v84
	v_exp_f32_e32 v107, v80
	v_mul_f32_e32 v104, 0x3fb8aa3b, v106
	v_exp_f32_e32 v106, v112
	v_cndmask_b32_e32 v80, v108, v111, vcc_lo
	s_delay_alu instid0(VALU_DEP_2) | instskip(SKIP_2) | instid1(VALU_DEP_1)
	v_exp_f32_e32 v104, v104
	s_waitcnt_depctr 0xfff
	v_fmac_f32_e32 v85, v106, v82
	v_dual_mul_f32 v78, 0x3fb8aa3b, v78 :: v_dual_fmac_f32 v85, v104, v83
	s_delay_alu instid0(VALU_DEP_1) | instskip(SKIP_2) | instid1(VALU_DEP_1)
	v_exp_f32_e32 v105, v78
	s_waitcnt_depctr 0xfff
	v_fmac_f32_e32 v85, v105, v102
	v_fmac_f32_e32 v85, v107, v103
	s_delay_alu instid0(VALU_DEP_1) | instskip(NEXT) | instid1(VALU_DEP_1)
	v_add_f32_e32 v102, 0x358637bd, v85
	v_div_scale_f32 v103, null, v102, v102, 1.0
	v_div_scale_f32 v108, vcc_lo, 1.0, v102, 1.0
	s_delay_alu instid0(VALU_DEP_2) | instskip(SKIP_2) | instid1(VALU_DEP_1)
	v_rcp_f32_e32 v112, v103
	s_waitcnt_depctr 0xfff
	v_fma_f32 v78, -v103, v112, 1.0
	v_fmac_f32_e32 v112, v78, v112
	v_cndmask_b32_e64 v78, v80, v110, s2
	v_cmp_eq_u32_e64 s2, 4, v77
	v_lshl_or_b32 v80, v77, 11, v79
	s_delay_alu instid0(VALU_DEP_4) | instskip(NEXT) | instid1(VALU_DEP_4)
	v_mul_f32_e32 v110, v108, v112
	v_cndmask_b32_e64 v81, v78, v109, s3
	v_cmp_eq_u32_e64 s3, 6, v77
	s_delay_alu instid0(VALU_DEP_4) | instskip(SKIP_3) | instid1(VALU_DEP_3)
	v_lshl_or_b32 v77, v75, 4, v80
	v_lshlrev_b32_e32 v78, 2, v75
	v_fma_f32 v82, -v103, v110, v108
	v_cndmask_b32_e64 v83, v81, v106, s2
	v_or_b32_e32 v81, 1, v78
	s_delay_alu instid0(VALU_DEP_3) | instskip(NEXT) | instid1(VALU_DEP_3)
	v_fmac_f32_e32 v110, v82, v112
	v_cndmask_b32_e64 v104, v83, v104, s4
	v_or_b32_e32 v83, 2, v78
	v_or_b32_e32 v82, 3, v78
	v_cmp_eq_u32_e64 s2, 1, v78
	v_fma_f32 v103, -v103, v110, v108
	v_cndmask_b32_e64 v104, v104, v105, s3
	v_cmp_eq_u32_e64 s8, 1, v81
	v_cmp_eq_u32_e64 s9, 1, v83
	v_cmp_eq_u32_e64 s10, 1, v82
	v_div_fmas_f32 v103, v103, v112, v110
	v_cndmask_b32_e64 v104, v104, v107, s5
	v_cmp_eq_u32_e32 vcc_lo, 2, v78
	v_cmp_eq_u32_e64 s11, 2, v81
	v_cmp_eq_u32_e64 s13, 2, v83
	v_div_fixup_f32 v102, v103, v102, 1.0
	v_cmp_eq_u32_e64 s15, 2, v82
	v_cmp_eq_u32_e64 s17, 3, v82
	;; [unrolled: 1-line block ×4, first 2 shown]
	v_mul_f32_e32 v110, v104, v102
	v_cmp_eq_u32_e64 s16, 3, v83
	v_cmp_eq_u32_e64 s21, 4, v82
	;; [unrolled: 1-line block ×4, first 2 shown]
	v_fma_mixlo_f16 v102, v110, v87, 0
	v_fma_mixlo_f16 v103, v110, v89, 0
	;; [unrolled: 1-line block ×8, first 2 shown]
	v_fma_mixhi_f16 v102, v110, v86, 0
	v_fma_mixhi_f16 v103, v110, v88, 0
	;; [unrolled: 1-line block ×8, first 2 shown]
	ds_store_b128 v77, v[102:105]
	ds_store_b128 v77, v[106:109] offset:1024
	s_waitcnt lgkmcnt(0)
	s_barrier
	buffer_gl0_inv
	ds_load_b128 v[86:89], v80
	ds_load_b128 v[90:93], v80 offset:16
	ds_load_b128 v[94:97], v80 offset:1024
	;; [unrolled: 1-line block ×3, first 2 shown]
	v_cmp_eq_u32_e64 s20, 4, v83
	v_cmp_eq_u32_e64 s23, 5, v82
	;; [unrolled: 1-line block ×13, first 2 shown]
	s_waitcnt lgkmcnt(3)
	v_lshrrev_b32_e32 v102, 16, v86
	s_waitcnt lgkmcnt(2)
	v_lshrrev_b32_e32 v106, 16, v90
	;; [unrolled: 2-line block ×4, first 2 shown]
	v_lshrrev_b32_e32 v103, 16, v87
	v_cndmask_b32_e64 v118, v86, v102, s2
	v_cndmask_b32_e64 v119, v90, v106, s2
	v_cndmask_b32_e64 v120, v86, v102, s8
	v_cndmask_b32_e64 v121, v90, v106, s8
	v_cndmask_b32_e64 v122, v86, v102, s9
	v_cndmask_b32_e64 v123, v90, v106, s9
	v_cndmask_b32_e64 v86, v86, v102, s10
	v_cndmask_b32_e64 v90, v90, v106, s10
	v_lshrrev_b32_e32 v107, 16, v91
	v_cndmask_b32_e64 v102, v94, v110, s2
	v_cndmask_b32_e64 v106, v98, v114, s2
	;; [unrolled: 1-line block ×5, first 2 shown]
	v_cndmask_b32_e32 v110, v118, v87, vcc_lo
	v_cndmask_b32_e64 v118, v120, v87, s11
	v_cndmask_b32_e64 v120, v122, v87, s13
	;; [unrolled: 1-line block ×4, first 2 shown]
	v_lshrrev_b32_e32 v111, 16, v95
	v_lshrrev_b32_e32 v115, 16, v99
	v_cndmask_b32_e64 v125, v98, v114, s8
	v_cndmask_b32_e64 v127, v98, v114, s9
	;; [unrolled: 1-line block ×3, first 2 shown]
	v_cndmask_b32_e32 v114, v119, v91, vcc_lo
	v_cndmask_b32_e64 v119, v121, v91, s11
	v_cndmask_b32_e64 v121, v123, v91, s13
	v_cndmask_b32_e32 v90, v102, v95, vcc_lo
	v_cndmask_b32_e32 v91, v106, v99, vcc_lo
	v_cndmask_b32_e64 v102, v124, v95, s11
	v_cndmask_b32_e64 v86, v86, v103, s17
	;; [unrolled: 1-line block ×3, first 2 shown]
	v_lshrrev_b32_e32 v104, 16, v88
	v_lshrrev_b32_e32 v108, 16, v92
	v_cndmask_b32_e64 v106, v126, v95, s13
	v_cndmask_b32_e64 v94, v94, v95, s15
	;; [unrolled: 1-line block ×14, first 2 shown]
	v_lshrrev_b32_e32 v112, 16, v96
	v_cndmask_b32_e64 v98, v98, v88, s4
	v_cndmask_b32_e64 v103, v110, v92, s4
	;; [unrolled: 1-line block ×11, first 2 shown]
	v_lshrrev_b32_e32 v105, 16, v89
	v_lshrrev_b32_e32 v109, 16, v93
	v_cndmask_b32_e64 v92, v98, v104, s5
	v_cndmask_b32_e64 v98, v103, v108, s5
	v_cndmask_b32_e64 v102, v107, v104, s19
	v_cndmask_b32_e64 v103, v110, v108, s19
	v_cndmask_b32_e64 v107, v114, v104, s22
	v_cndmask_b32_e64 v110, v118, v108, s22
	v_cndmask_b32_e64 v91, v91, v112, s19
	v_cndmask_b32_e64 v86, v86, v89, s26
	v_cndmask_b32_e64 v87, v87, v93, s26
	v_lshrrev_b32_e32 v113, 16, v97
	v_cndmask_b32_e64 v88, v88, v112, s5
	v_cndmask_b32_e64 v92, v92, v89, s6
	;; [unrolled: 1-line block ×19, first 2 shown]
	v_perm_b32 v89, v87, v86, 0x5040100
	v_cndmask_b32_e64 v86, v125, v99, s11
	v_cndmask_b32_e64 v104, v88, v113, s7
	v_perm_b32 v88, v102, v98, 0x5040100
	v_perm_b32 v87, v103, v93, 0x5040100
	v_cndmask_b32_e64 v93, v106, v111, s16
	v_cndmask_b32_e64 v94, v94, v111, s17
	;; [unrolled: 1-line block ×5, first 2 shown]
	v_lshrrev_b32_e32 v116, 16, v100
	v_cndmask_b32_e64 v93, v93, v96, s20
	v_cndmask_b32_e64 v94, v94, v96, s21
	;; [unrolled: 1-line block ×11, first 2 shown]
	v_lshrrev_b32_e32 v117, 16, v101
	v_cndmask_b32_e64 v90, v90, v101, s6
	v_cndmask_b32_e64 v93, v93, v97, s25
	;; [unrolled: 1-line block ×12, first 2 shown]
	v_perm_b32 v86, v92, v91, 0x5040100
	v_perm_b32 v93, v94, v93, 0x5040100
	;; [unrolled: 1-line block ×5, first 2 shown]
	s_lshl_b32 s6, s33, 3
	s_mov_b32 s2, exec_lo
	ds_store_b128 v77, v[86:89]
	ds_store_b128 v77, v[90:93] offset:1024
	v_cmpx_gt_u32_e32 8, v0
	s_cbranch_execz .LBB373_16
; %bb.15:
	v_or_b32_e32 v86, s31, v0
	s_load_b128 s[8:11], s[0:1], 0x58
	s_delay_alu instid0(VALU_DEP_1) | instskip(NEXT) | instid1(VALU_DEP_1)
	v_mad_u64_u32 v[87:88], null, s6, s30, v[86:87]
	v_mad_u64_u32 v[88:89], null, v87, s34, s[14:15]
	s_delay_alu instid0(VALU_DEP_1) | instskip(NEXT) | instid1(VALU_DEP_1)
	v_ashrrev_i32_e32 v89, 31, v88
	v_lshlrev_b64 v[86:87], 2, v[88:89]
	s_waitcnt lgkmcnt(0)
	s_delay_alu instid0(VALU_DEP_1) | instskip(NEXT) | instid1(VALU_DEP_2)
	v_add_co_u32 v88, vcc_lo, s10, v86
	v_add_co_ci_u32_e32 v89, vcc_lo, s11, v87, vcc_lo
	v_add_co_u32 v86, vcc_lo, s8, v86
	v_add_co_ci_u32_e32 v87, vcc_lo, s9, v87, vcc_lo
	global_store_b32 v[88:89], v84, off
	global_store_b32 v[86:87], v85, off
.LBB373_16:
	s_or_b32 exec_lo, exec_lo, s2
	s_waitcnt lgkmcnt(0)
	s_waitcnt_vscnt null, 0x0
	s_barrier
	buffer_gl0_inv
	ds_load_b128 v[92:95], v79
	ds_load_b128 v[96:99], v79 offset:16
	ds_load_b128 v[104:107], v79 offset:1040
	;; [unrolled: 1-line block ×5, first 2 shown]
	v_cmp_eq_u32_e32 vcc_lo, 1, v83
	v_mov_b32_e32 v84, 0
	ds_load_b128 v[120:123], v79 offset:3088
	ds_load_b128 v[116:119], v79 offset:3072
	;; [unrolled: 1-line block ×4, first 2 shown]
	v_cmp_eq_u32_e64 s2, 1, v78
	v_cmp_eq_u32_e64 s3, 1, v82
	;; [unrolled: 1-line block ×3, first 2 shown]
	v_mov_b32_e32 v85, v84
	v_mov_b32_e32 v86, v84
	;; [unrolled: 1-line block ×7, first 2 shown]
	v_cmp_eq_u32_e64 s5, 2, v78
	s_waitcnt lgkmcnt(8)
	s_delay_alu instid0(VALU_DEP_2)
	v_wmma_f32_16x16x16_f16 v[84:91], v[65:72], v[92:99], v[84:91]
	ds_load_b128 v[69:72], v79 offset:5136
	ds_load_b128 v[65:68], v79 offset:5120
	;; [unrolled: 1-line block ×4, first 2 shown]
	s_waitcnt lgkmcnt(10)
	v_wmma_f32_16x16x16_f16 v[84:91], v[57:64], v[100:107], v[84:91]
	s_waitcnt lgkmcnt(8)
	s_delay_alu instid0(VALU_DEP_1)
	v_wmma_f32_16x16x16_f16 v[84:91], v[57:64], v[108:115], v[84:91]
	ds_load_b128 v[61:64], v79 offset:7184
	ds_load_b128 v[57:60], v79 offset:7168
	;; [unrolled: 1-line block ×4, first 2 shown]
	s_waitcnt lgkmcnt(10)
	v_wmma_f32_16x16x16_f16 v[84:91], v[49:56], v[116:123], v[84:91]
	s_waitcnt lgkmcnt(8)
	s_delay_alu instid0(VALU_DEP_1)
	v_wmma_f32_16x16x16_f16 v[84:91], v[49:56], v[124:131], v[84:91]
	ds_load_b128 v[53:56], v79 offset:9232
	ds_load_b128 v[49:52], v79 offset:9216
	s_waitcnt lgkmcnt(8)
	v_wmma_f32_16x16x16_f16 v[84:91], v[41:48], v[65:72], v[84:91]
	ds_load_b128 v[69:72], v79 offset:10256
	ds_load_b128 v[65:68], v79 offset:10240
	s_waitcnt lgkmcnt(8)
	;; [unrolled: 4-line block ×7, first 2 shown]
	s_barrier
	buffer_gl0_inv
	v_wmma_f32_16x16x16_f16 v[84:91], v[33:40], v[41:48], v[84:91]
	s_delay_alu instid0(VALU_DEP_1) | instskip(NEXT) | instid1(VALU_DEP_1)
	v_wmma_f32_16x16x16_f16 v[84:91], v[33:40], v[57:64], v[84:91]
	v_wmma_f32_16x16x16_f16 v[84:91], v[25:32], v[9:16], v[84:91]
	s_delay_alu instid0(VALU_DEP_1) | instskip(NEXT) | instid1(VALU_DEP_1)
	v_wmma_f32_16x16x16_f16 v[84:91], v[25:32], v[49:56], v[84:91]
	v_wmma_f32_16x16x16_f16 v[84:91], v[17:24], v[1:8], v[84:91]
	s_delay_alu instid0(VALU_DEP_1) | instskip(NEXT) | instid1(VALU_DEP_2)
	v_cvt_f16_f32_e32 v1, v84
	v_cvt_f16_f32_e32 v2, v85
	s_delay_alu instid0(VALU_DEP_3) | instskip(NEXT) | instid1(VALU_DEP_4)
	v_cvt_f16_f32_e32 v3, v86
	v_cvt_f16_f32_e32 v4, v87
	;; [unrolled: 1-line block ×6, first 2 shown]
	v_pack_b32_f16 v1, v1, v2
	v_pack_b32_f16 v2, v3, v4
	;; [unrolled: 1-line block ×3, first 2 shown]
	s_delay_alu instid0(VALU_DEP_4)
	v_pack_b32_f16 v4, v7, v8
	ds_store_b128 v77, v[1:4]
	s_waitcnt lgkmcnt(0)
	s_barrier
	buffer_gl0_inv
	ds_load_b128 v[1:4], v80
	ds_load_b128 v[5:8], v80 offset:16
	s_waitcnt lgkmcnt(1)
	v_lshrrev_b32_e32 v9, 16, v1
	s_waitcnt lgkmcnt(0)
	v_lshrrev_b32_e32 v13, 16, v5
	v_lshrrev_b32_e32 v10, 16, v2
	;; [unrolled: 1-line block ×4, first 2 shown]
	v_cndmask_b32_e64 v17, v1, v9, s2
	v_cndmask_b32_e64 v18, v5, v13, s2
	;; [unrolled: 1-line block ×3, first 2 shown]
	v_cmp_eq_u32_e64 s2, 2, v81
	v_cndmask_b32_e64 v20, v5, v13, s4
	v_cndmask_b32_e32 v21, v1, v9, vcc_lo
	v_cndmask_b32_e32 v22, v5, v13, vcc_lo
	v_cndmask_b32_e64 v1, v1, v9, s3
	v_cndmask_b32_e64 v5, v5, v13, s3
	v_cmp_eq_u32_e32 vcc_lo, 2, v83
	v_cmp_eq_u32_e64 s3, 2, v82
	v_cndmask_b32_e64 v9, v17, v2, s5
	v_cndmask_b32_e64 v13, v18, v6, s5
	;; [unrolled: 1-line block ×4, first 2 shown]
	v_cndmask_b32_e32 v19, v21, v2, vcc_lo
	v_cmp_eq_u32_e64 s2, 3, v83
	v_cndmask_b32_e32 v20, v22, v6, vcc_lo
	v_cndmask_b32_e64 v1, v1, v2, s3
	v_cmp_eq_u32_e32 vcc_lo, 3, v82
	v_cmp_eq_u32_e64 s4, 3, v78
	v_cndmask_b32_e64 v2, v5, v6, s3
	v_cmp_eq_u32_e64 s3, 3, v81
	v_cmp_eq_u32_e64 s5, 4, v78
	v_cndmask_b32_e32 v1, v1, v10, vcc_lo
	v_cndmask_b32_e64 v5, v9, v10, s4
	v_cndmask_b32_e64 v6, v13, v14, s4
	;; [unrolled: 1-line block ×3, first 2 shown]
	v_cmp_eq_u32_e64 s4, 4, v81
	v_cndmask_b32_e64 v13, v18, v14, s3
	v_cndmask_b32_e64 v17, v19, v10, s2
	;; [unrolled: 1-line block ×3, first 2 shown]
	v_cndmask_b32_e32 v2, v2, v14, vcc_lo
	v_cmp_eq_u32_e32 vcc_lo, 4, v83
	v_cmp_eq_u32_e64 s3, 4, v82
	v_lshrrev_b32_e32 v15, 16, v7
	v_cndmask_b32_e64 v5, v5, v3, s5
	v_cndmask_b32_e64 v6, v6, v7, s5
	v_cndmask_b32_e32 v14, v18, v7, vcc_lo
	v_cndmask_b32_e64 v9, v9, v3, s4
	v_cndmask_b32_e64 v10, v13, v7, s4
	v_cndmask_b32_e32 v13, v17, v3, vcc_lo
	v_cmp_eq_u32_e64 s2, 5, v83
	v_cndmask_b32_e64 v1, v1, v3, s3
	v_cmp_eq_u32_e32 vcc_lo, 5, v82
	v_cmp_eq_u32_e64 s4, 5, v78
	v_cndmask_b32_e64 v2, v2, v7, s3
	v_cmp_eq_u32_e64 s3, 5, v81
	v_cmp_eq_u32_e64 s5, 6, v78
	v_lshrrev_b32_e32 v12, 16, v4
	v_cndmask_b32_e64 v3, v5, v11, s4
	v_cndmask_b32_e64 v5, v6, v15, s4
	;; [unrolled: 1-line block ×3, first 2 shown]
	v_cmp_eq_u32_e64 s4, 6, v81
	v_cndmask_b32_e64 v7, v10, v15, s3
	v_cndmask_b32_e64 v9, v13, v11, s2
	;; [unrolled: 1-line block ×3, first 2 shown]
	v_cndmask_b32_e32 v1, v1, v11, vcc_lo
	v_cndmask_b32_e32 v2, v2, v15, vcc_lo
	v_cmp_eq_u32_e32 vcc_lo, 6, v83
	v_cmp_eq_u32_e64 s2, 6, v82
	v_lshrrev_b32_e32 v16, 16, v8
	v_cndmask_b32_e64 v3, v3, v4, s5
	v_cndmask_b32_e64 v5, v5, v8, s5
	v_cndmask_b32_e32 v9, v9, v4, vcc_lo
	v_cndmask_b32_e64 v6, v6, v4, s4
	v_cndmask_b32_e64 v7, v7, v8, s4
	v_cmp_eq_u32_e64 s3, 7, v83
	v_cndmask_b32_e32 v10, v10, v8, vcc_lo
	v_cndmask_b32_e64 v1, v1, v4, s2
	v_cmp_eq_u32_e32 vcc_lo, 7, v82
	v_cndmask_b32_e64 v2, v2, v8, s2
	v_cmp_eq_u32_e64 s2, 7, v78
	v_cmp_eq_u32_e64 s4, 7, v81
	v_cndmask_b32_e32 v1, v1, v12, vcc_lo
	s_delay_alu instid0(VALU_DEP_4) | instskip(NEXT) | instid1(VALU_DEP_4)
	v_cndmask_b32_e32 v2, v2, v16, vcc_lo
	v_cndmask_b32_e64 v8, v3, v12, s2
	s_delay_alu instid0(VALU_DEP_4)
	v_cndmask_b32_e64 v6, v6, v12, s4
	v_cndmask_b32_e64 v3, v9, v12, s3
	;; [unrolled: 1-line block ×5, first 2 shown]
	v_perm_b32 v4, v2, v1, 0x5040100
	s_mov_b32 s2, exec_lo
	v_perm_b32 v3, v9, v3, 0x5040100
	v_perm_b32 v2, v7, v6, 0x5040100
	;; [unrolled: 1-line block ×3, first 2 shown]
	ds_store_b128 v77, v[1:4]
	s_waitcnt lgkmcnt(0)
	s_barrier
	buffer_gl0_inv
	v_cmpx_gt_u32_e32 32, v0
	s_cbranch_execz .LBB373_2
; %bb.17:
	s_load_b64 s[0:1], s[0:1], 0x68
	s_lshl_b32 s4, s34, 7
	v_or_b32_e32 v2, s31, v75
	s_mul_i32 s2, s4, s30
	v_lshlrev_b32_e32 v1, 10, v0
	s_mul_i32 s2, s2, s6
	v_lshlrev_b32_e32 v3, 4, v76
	v_mul_lo_u32 v0, v2, s4
	s_ashr_i32 s3, s2, 31
	v_lshlrev_b32_e32 v4, 6, v75
	v_and_b32_e32 v1, 0x3800, v1
	v_or_b32_e32 v5, 2, v2
	s_lshl_b64 s[2:3], s[2:3], 1
	v_or_b32_e32 v6, 4, v2
	v_or_b32_e32 v7, 6, v2
	v_or3_b32 v12, v1, v3, v4
	v_ashrrev_i32_e32 v1, 31, v0
	v_mul_lo_u32 v2, v5, s4
	v_mul_lo_u32 v16, v6, s4
	;; [unrolled: 1-line block ×3, first 2 shown]
	s_waitcnt lgkmcnt(0)
	s_add_u32 s2, s0, s2
	s_addc_u32 s3, s1, s3
	s_lshl_b32 s0, s14, 7
	v_lshlrev_b64 v[0:1], 1, v[0:1]
	s_ashr_i32 s1, s0, 31
	v_ashrrev_i32_e32 v3, 31, v2
	s_lshl_b64 s[0:1], s[0:1], 1
	v_ashrrev_i32_e32 v17, 31, v16
	s_add_u32 s0, s2, s0
	s_addc_u32 s1, s3, s1
	v_add_co_u32 v24, vcc_lo, s0, v73
	v_add_co_ci_u32_e32 v25, vcc_lo, s1, v74, vcc_lo
	v_lshlrev_b64 v[22:23], 1, v[2:3]
	s_delay_alu instid0(VALU_DEP_3) | instskip(NEXT) | instid1(VALU_DEP_3)
	v_add_co_u32 v18, vcc_lo, v24, v0
	v_add_co_ci_u32_e32 v19, vcc_lo, v25, v1, vcc_lo
	ds_load_b128 v[0:3], v12
	ds_load_b128 v[4:7], v12 offset:128
	ds_load_b128 v[8:11], v12 offset:256
	;; [unrolled: 1-line block ×3, first 2 shown]
	v_ashrrev_i32_e32 v21, 31, v20
	v_lshlrev_b64 v[16:17], 1, v[16:17]
	v_add_co_u32 v22, vcc_lo, v24, v22
	v_add_co_ci_u32_e32 v23, vcc_lo, v25, v23, vcc_lo
	s_delay_alu instid0(VALU_DEP_4) | instskip(NEXT) | instid1(VALU_DEP_4)
	v_lshlrev_b64 v[20:21], 1, v[20:21]
	v_add_co_u32 v16, vcc_lo, v24, v16
	v_add_co_ci_u32_e32 v17, vcc_lo, v25, v17, vcc_lo
	s_delay_alu instid0(VALU_DEP_3) | instskip(NEXT) | instid1(VALU_DEP_4)
	v_add_co_u32 v20, vcc_lo, v24, v20
	v_add_co_ci_u32_e32 v21, vcc_lo, v25, v21, vcc_lo
	s_waitcnt lgkmcnt(3)
	global_store_b128 v[18:19], v[0:3], off
	s_waitcnt lgkmcnt(2)
	global_store_b128 v[22:23], v[4:7], off
	;; [unrolled: 2-line block ×4, first 2 shown]
	s_nop 0
	s_sendmsg sendmsg(MSG_DEALLOC_VGPRS)
	s_endpgm
	.section	.rodata,"a",@progbits
	.p2align	6, 0x0
	.amdhsa_kernel _Z39paged_attention_ll4mi_QKV_mfma16_kernelIDF16_DF16_LN4vllm18Fp8KVCacheDataTypeE0EDF16_Li32ELi128ELi256ELb0ELi8EL8MFMAType0EEvPKT_PKT0_S8_ifPKiSA_SA_iPKfiiiPfSD_PS3_PT2_iSC_SC_
		.amdhsa_group_segment_fixed_size 17472
		.amdhsa_private_segment_fixed_size 0
		.amdhsa_kernarg_size 400
		.amdhsa_user_sgpr_count 13
		.amdhsa_user_sgpr_dispatch_ptr 0
		.amdhsa_user_sgpr_queue_ptr 0
		.amdhsa_user_sgpr_kernarg_segment_ptr 1
		.amdhsa_user_sgpr_dispatch_id 0
		.amdhsa_user_sgpr_private_segment_size 0
		.amdhsa_wavefront_size32 1
		.amdhsa_uses_dynamic_stack 0
		.amdhsa_enable_private_segment 0
		.amdhsa_system_sgpr_workgroup_id_x 1
		.amdhsa_system_sgpr_workgroup_id_y 1
		.amdhsa_system_sgpr_workgroup_id_z 1
		.amdhsa_system_sgpr_workgroup_info 0
		.amdhsa_system_vgpr_workitem_id 0
		.amdhsa_next_free_vgpr 172
		.amdhsa_next_free_sgpr 38
		.amdhsa_reserve_vcc 1
		.amdhsa_float_round_mode_32 0
		.amdhsa_float_round_mode_16_64 0
		.amdhsa_float_denorm_mode_32 3
		.amdhsa_float_denorm_mode_16_64 3
		.amdhsa_dx10_clamp 1
		.amdhsa_ieee_mode 1
		.amdhsa_fp16_overflow 0
		.amdhsa_workgroup_processor_mode 1
		.amdhsa_memory_ordered 1
		.amdhsa_forward_progress 0
		.amdhsa_shared_vgpr_count 0
		.amdhsa_exception_fp_ieee_invalid_op 0
		.amdhsa_exception_fp_denorm_src 0
		.amdhsa_exception_fp_ieee_div_zero 0
		.amdhsa_exception_fp_ieee_overflow 0
		.amdhsa_exception_fp_ieee_underflow 0
		.amdhsa_exception_fp_ieee_inexact 0
		.amdhsa_exception_int_div_zero 0
	.end_amdhsa_kernel
	.section	.text._Z39paged_attention_ll4mi_QKV_mfma16_kernelIDF16_DF16_LN4vllm18Fp8KVCacheDataTypeE0EDF16_Li32ELi128ELi256ELb0ELi8EL8MFMAType0EEvPKT_PKT0_S8_ifPKiSA_SA_iPKfiiiPfSD_PS3_PT2_iSC_SC_,"axG",@progbits,_Z39paged_attention_ll4mi_QKV_mfma16_kernelIDF16_DF16_LN4vllm18Fp8KVCacheDataTypeE0EDF16_Li32ELi128ELi256ELb0ELi8EL8MFMAType0EEvPKT_PKT0_S8_ifPKiSA_SA_iPKfiiiPfSD_PS3_PT2_iSC_SC_,comdat
.Lfunc_end373:
	.size	_Z39paged_attention_ll4mi_QKV_mfma16_kernelIDF16_DF16_LN4vllm18Fp8KVCacheDataTypeE0EDF16_Li32ELi128ELi256ELb0ELi8EL8MFMAType0EEvPKT_PKT0_S8_ifPKiSA_SA_iPKfiiiPfSD_PS3_PT2_iSC_SC_, .Lfunc_end373-_Z39paged_attention_ll4mi_QKV_mfma16_kernelIDF16_DF16_LN4vllm18Fp8KVCacheDataTypeE0EDF16_Li32ELi128ELi256ELb0ELi8EL8MFMAType0EEvPKT_PKT0_S8_ifPKiSA_SA_iPKfiiiPfSD_PS3_PT2_iSC_SC_
                                        ; -- End function
	.section	.AMDGPU.csdata,"",@progbits
; Kernel info:
; codeLenInByte = 7496
; NumSgprs: 40
; NumVgprs: 172
; ScratchSize: 0
; MemoryBound: 0
; FloatMode: 240
; IeeeMode: 1
; LDSByteSize: 17472 bytes/workgroup (compile time only)
; SGPRBlocks: 4
; VGPRBlocks: 21
; NumSGPRsForWavesPerEU: 40
; NumVGPRsForWavesPerEU: 172
; Occupancy: 8
; WaveLimiterHint : 1
; COMPUTE_PGM_RSRC2:SCRATCH_EN: 0
; COMPUTE_PGM_RSRC2:USER_SGPR: 13
; COMPUTE_PGM_RSRC2:TRAP_HANDLER: 0
; COMPUTE_PGM_RSRC2:TGID_X_EN: 1
; COMPUTE_PGM_RSRC2:TGID_Y_EN: 1
; COMPUTE_PGM_RSRC2:TGID_Z_EN: 1
; COMPUTE_PGM_RSRC2:TIDIG_COMP_CNT: 0
	.section	.text._Z39paged_attention_ll4mi_QKV_mfma16_kernelIDF16_DF16_LN4vllm18Fp8KVCacheDataTypeE0EDF16_Li32ELi128ELi256ELb0ELi9EL8MFMAType0EEvPKT_PKT0_S8_ifPKiSA_SA_iPKfiiiPfSD_PS3_PT2_iSC_SC_,"axG",@progbits,_Z39paged_attention_ll4mi_QKV_mfma16_kernelIDF16_DF16_LN4vllm18Fp8KVCacheDataTypeE0EDF16_Li32ELi128ELi256ELb0ELi9EL8MFMAType0EEvPKT_PKT0_S8_ifPKiSA_SA_iPKfiiiPfSD_PS3_PT2_iSC_SC_,comdat
	.protected	_Z39paged_attention_ll4mi_QKV_mfma16_kernelIDF16_DF16_LN4vllm18Fp8KVCacheDataTypeE0EDF16_Li32ELi128ELi256ELb0ELi9EL8MFMAType0EEvPKT_PKT0_S8_ifPKiSA_SA_iPKfiiiPfSD_PS3_PT2_iSC_SC_ ; -- Begin function _Z39paged_attention_ll4mi_QKV_mfma16_kernelIDF16_DF16_LN4vllm18Fp8KVCacheDataTypeE0EDF16_Li32ELi128ELi256ELb0ELi9EL8MFMAType0EEvPKT_PKT0_S8_ifPKiSA_SA_iPKfiiiPfSD_PS3_PT2_iSC_SC_
	.globl	_Z39paged_attention_ll4mi_QKV_mfma16_kernelIDF16_DF16_LN4vllm18Fp8KVCacheDataTypeE0EDF16_Li32ELi128ELi256ELb0ELi9EL8MFMAType0EEvPKT_PKT0_S8_ifPKiSA_SA_iPKfiiiPfSD_PS3_PT2_iSC_SC_
	.p2align	8
	.type	_Z39paged_attention_ll4mi_QKV_mfma16_kernelIDF16_DF16_LN4vllm18Fp8KVCacheDataTypeE0EDF16_Li32ELi128ELi256ELb0ELi9EL8MFMAType0EEvPKT_PKT0_S8_ifPKiSA_SA_iPKfiiiPfSD_PS3_PT2_iSC_SC_,@function
_Z39paged_attention_ll4mi_QKV_mfma16_kernelIDF16_DF16_LN4vllm18Fp8KVCacheDataTypeE0EDF16_Li32ELi128ELi256ELb0ELi9EL8MFMAType0EEvPKT_PKT0_S8_ifPKiSA_SA_iPKfiiiPfSD_PS3_PT2_iSC_SC_: ; @_Z39paged_attention_ll4mi_QKV_mfma16_kernelIDF16_DF16_LN4vllm18Fp8KVCacheDataTypeE0EDF16_Li32ELi128ELi256ELb0ELi9EL8MFMAType0EEvPKT_PKT0_S8_ifPKiSA_SA_iPKfiiiPfSD_PS3_PT2_iSC_SC_
; %bb.0:
	s_load_b64 s[2:3], s[0:1], 0x30
	s_mov_b32 s34, s13
	s_waitcnt lgkmcnt(0)
	s_cmp_lg_u64 s[2:3], 0
	s_cselect_b32 s6, -1, 0
	s_ashr_i32 s35, s13, 31
	s_cmp_eq_u64 s[2:3], 0
	s_cbranch_scc1 .LBB374_3
; %bb.1:
	s_lshl_b64 s[4:5], s[34:35], 2
	s_delay_alu instid0(SALU_CYCLE_1) | instskip(SKIP_4) | instid1(SALU_CYCLE_1)
	s_add_u32 s4, s2, s4
	s_addc_u32 s5, s3, s5
	s_load_b64 s[4:5], s[4:5], 0x0
	s_waitcnt lgkmcnt(0)
	s_sub_i32 s4, s5, s4
	s_cmp_eq_u32 s4, 1
	s_cselect_b32 s4, -1, 0
	s_delay_alu instid0(SALU_CYCLE_1)
	s_and_not1_b32 vcc_lo, exec_lo, s4
	s_cbranch_vccz .LBB374_4
.LBB374_2:
	s_nop 0
	s_sendmsg sendmsg(MSG_DEALLOC_VGPRS)
	s_endpgm
.LBB374_3:
.LBB374_4:
	s_load_b64 s[8:9], s[0:1], 0x28
	s_lshl_b64 s[4:5], s[34:35], 2
	s_waitcnt lgkmcnt(0)
	s_add_u32 s8, s8, s4
	s_addc_u32 s9, s9, s5
	s_lshl_b32 s12, s14, 8
	s_load_b32 s17, s[8:9], 0x0
	s_waitcnt lgkmcnt(0)
	s_cmp_ge_i32 s12, s17
	s_cbranch_scc1 .LBB374_2
; %bb.5:
	s_and_not1_b32 vcc_lo, exec_lo, s6
	s_cbranch_vccnz .LBB374_7
; %bb.6:
	s_add_u32 s2, s2, s4
	s_addc_u32 s3, s3, s5
	s_load_b32 s13, s[2:3], 0x0
	s_branch .LBB374_8
.LBB374_7:
	s_mov_b32 s13, s34
.LBB374_8:
	s_clause 0x2
	s_load_b128 s[8:11], s[0:1], 0x8
	s_load_b64 s[2:3], s[0:1], 0x20
	s_load_b128 s[4:7], s[0:1], 0x48
	v_lshrrev_b32_e32 v78, 5, v0
	v_bfe_u32 v75, v0, 4, 1
	v_and_b32_e32 v77, 15, v0
	s_waitcnt lgkmcnt(0)
	s_mov_b32 s7, exec_lo
	s_delay_alu instid0(VALU_DEP_2) | instskip(NEXT) | instid1(VALU_DEP_2)
	v_lshl_or_b32 v3, v78, 1, v75
	v_lshlrev_b32_e32 v1, 3, v77
	s_delay_alu instid0(VALU_DEP_2)
	v_cmpx_lt_u32_e32 8, v3
	s_xor_b32 s7, exec_lo, s7
; %bb.9:
	v_mov_b32_e32 v2, 0
                                        ; implicit-def: $vgpr3
; %bb.10:
	s_or_saveexec_b32 s7, s7
	v_and_b32_e32 v80, 31, v0
	v_and_b32_e32 v76, 1, v0
	s_mul_i32 s31, s15, 9
	s_xor_b32 exec_lo, exec_lo, s7
	s_cbranch_execz .LBB374_12
; %bb.11:
	s_load_b64 s[18:19], s[0:1], 0x0
	v_add_lshl_u32 v4, v3, s31, 7
	s_mul_hi_i32 s21, s13, s4
	s_mul_i32 s20, s13, s4
	v_lshlrev_b32_e32 v2, 1, v1
	s_lshl_b64 s[20:21], s[20:21], 1
	v_ashrrev_i32_e32 v5, 31, v4
	v_lshlrev_b32_e32 v3, 6, v3
	v_lshlrev_b32_e32 v8, 10, v76
	s_delay_alu instid0(VALU_DEP_3) | instskip(SKIP_3) | instid1(VALU_DEP_1)
	v_lshlrev_b64 v[4:5], 1, v[4:5]
	s_waitcnt lgkmcnt(0)
	s_add_u32 s4, s18, s20
	s_addc_u32 s13, s19, s21
	v_add_co_u32 v4, vcc_lo, s4, v4
	s_delay_alu instid0(VALU_DEP_2) | instskip(NEXT) | instid1(VALU_DEP_2)
	v_add_co_ci_u32_e32 v5, vcc_lo, s13, v5, vcc_lo
	v_add_co_u32 v4, vcc_lo, v4, v2
	s_delay_alu instid0(VALU_DEP_2) | instskip(SKIP_3) | instid1(VALU_DEP_1)
	v_add_co_ci_u32_e32 v5, vcc_lo, 0, v5, vcc_lo
	v_lshlrev_b32_e32 v2, 10, v77
	global_load_b128 v[4:7], v[4:5], off
	v_and_b32_e32 v2, 0x3800, v2
	v_or3_b32 v3, v2, v8, v3
	v_mov_b32_e32 v2, 0
	s_waitcnt vmcnt(0)
	ds_store_b128 v3, v[4:7]
.LBB374_12:
	s_or_b32 exec_lo, exec_lo, s7
	v_and_b32_e32 v3, 0xef, v0
	s_add_i32 s4, s17, 31
	s_clause 0x1
	s_load_b32 s7, s[0:1], 0x38
	s_load_b32 s33, s[0:1], 0x98
	s_ashr_i32 s13, s4, 31
	v_add_nc_u32_e32 v3, s12, v3
	s_lshr_b32 s13, s13, 27
	s_load_b32 s18, s[0:1], 0x1c
	s_add_i32 s4, s4, s13
	s_waitcnt lgkmcnt(0)
	v_ashrrev_i32_e32 v4, 31, v3
	v_cmp_gt_i32_e32 vcc_lo, s17, v3
	s_ashr_i32 s4, s4, 5
	s_barrier
	s_add_i32 s4, s4, -1
	v_lshrrev_b32_e32 v5, 27, v4
	v_or_b32_e32 v4, 16, v3
	buffer_gl0_inv
	v_lshlrev_b64 v[73:74], 1, v[1:2]
	v_lshlrev_b32_e32 v79, 6, v77
	v_add_nc_u32_e32 v6, v3, v5
	v_add_nc_u32_e32 v5, v4, v5
	s_mul_i32 s20, s34, s7
	s_delay_alu instid0(SALU_CYCLE_1) | instskip(NEXT) | instid1(VALU_DEP_2)
	s_ashr_i32 s21, s20, 31
	v_ashrrev_i32_e32 v6, 5, v6
	s_delay_alu instid0(VALU_DEP_2) | instskip(SKIP_1) | instid1(SALU_CYCLE_1)
	v_ashrrev_i32_e32 v5, 5, v5
	s_lshl_b64 s[20:21], s[20:21], 2
	s_add_u32 s13, s2, s20
	s_delay_alu instid0(VALU_DEP_2) | instskip(SKIP_3) | instid1(SALU_CYCLE_1)
	v_cndmask_b32_e32 v3, s4, v6, vcc_lo
	v_cmp_gt_i32_e32 vcc_lo, s17, v4
	s_addc_u32 s16, s3, s21
	s_mul_i32 s2, s15, s6
	s_ashr_i32 s3, s2, 31
	v_cndmask_b32_e32 v5, s4, v5, vcc_lo
	v_ashrrev_i32_e32 v4, 31, v3
	s_lshl_b64 s[2:3], s[2:3], 1
	s_delay_alu instid0(SALU_CYCLE_1) | instskip(NEXT) | instid1(VALU_DEP_2)
	s_add_u32 s15, s8, s2
	v_ashrrev_i32_e32 v6, 31, v5
	s_delay_alu instid0(VALU_DEP_2) | instskip(SKIP_2) | instid1(VALU_DEP_2)
	v_lshlrev_b64 v[3:4], 2, v[3:4]
	s_addc_u32 s19, s9, s3
	s_lshl_b32 s6, s14, 3
	v_lshlrev_b64 v[5:6], 2, v[5:6]
	s_ashr_i32 s7, s6, 31
	s_delay_alu instid0(VALU_DEP_2) | instskip(SKIP_1) | instid1(VALU_DEP_3)
	v_add_co_u32 v3, vcc_lo, s13, v3
	v_add_co_ci_u32_e32 v4, vcc_lo, s16, v4, vcc_lo
	v_add_co_u32 v5, vcc_lo, s13, v5
	s_delay_alu instid0(VALU_DEP_4)
	v_add_co_ci_u32_e32 v6, vcc_lo, s16, v6, vcc_lo
	s_lshl_b64 s[6:7], s[6:7], 2
	s_clause 0x1
	global_load_b32 v7, v[3:4], off
	global_load_b32 v8, v[5:6], off
	s_add_u32 s6, s13, s6
	s_addc_u32 s7, s16, s7
	s_or_b32 s8, s12, 32
	s_delay_alu instid0(SALU_CYCLE_1) | instskip(SKIP_2) | instid1(SALU_CYCLE_1)
	s_ashr_i32 s9, s8, 5
	s_cmp_lt_i32 s8, s17
	s_cselect_b32 s8, s9, s4
	s_ashr_i32 s9, s8, 31
	s_delay_alu instid0(SALU_CYCLE_1) | instskip(NEXT) | instid1(SALU_CYCLE_1)
	s_lshl_b64 s[8:9], s[8:9], 2
	s_add_u32 s8, s13, s8
	s_addc_u32 s9, s16, s9
	s_or_b32 s20, s12, 64
	s_delay_alu instid0(SALU_CYCLE_1) | instskip(SKIP_2) | instid1(SALU_CYCLE_1)
	s_ashr_i32 s21, s20, 5
	s_cmp_lt_i32 s20, s17
	s_cselect_b32 s20, s21, s4
	s_ashr_i32 s21, s20, 31
	s_delay_alu instid0(SALU_CYCLE_1) | instskip(NEXT) | instid1(SALU_CYCLE_1)
	s_lshl_b64 s[20:21], s[20:21], 2
	;; [unrolled: 10-line block ×5, first 2 shown]
	s_add_u32 s26, s13, s26
	s_addc_u32 s27, s16, s27
	s_clause 0x5
	s_load_b32 s28, s[6:7], 0x0
	s_load_b32 s29, s[8:9], 0x0
	;; [unrolled: 1-line block ×6, first 2 shown]
	s_mov_b32 s20, 0
	s_or_b32 s6, s12, 0xc0
	s_mov_b32 s21, s20
	s_mov_b32 s22, s20
	;; [unrolled: 1-line block ×7, first 2 shown]
	s_ashr_i32 s7, s6, 5
	v_mov_b32_e32 v128, s27
	s_cmp_lt_i32 s6, s17
	v_mov_b32_e32 v127, s26
	s_cselect_b32 s6, s7, s4
	v_mov_b32_e32 v126, s25
	s_ashr_i32 s7, s6, 31
	v_mov_b32_e32 v125, s24
	s_lshl_b64 s[6:7], s[6:7], 2
	v_mov_b32_e32 v124, s23
	s_add_u32 s6, s13, s6
	s_addc_u32 s7, s16, s7
	v_mov_b32_e32 v123, s22
	v_mov_b32_e32 v121, s20
	s_waitcnt lgkmcnt(0)
	s_mul_hi_i32 s9, s28, s5
	s_mul_i32 s8, s28, s5
	s_mul_hi_i32 s37, s38, s5
	v_mov_b32_e32 v122, s21
	s_mul_hi_i32 s21, s29, s5
	s_mul_i32 s20, s29, s5
	s_mul_hi_i32 s25, s30, s5
	s_mul_i32 s24, s30, s5
	;; [unrolled: 2-line block ×3, first 2 shown]
	s_waitcnt vmcnt(1)
	v_mad_i64_i32 v[3:4], null, v7, s5, 0
	s_waitcnt vmcnt(0)
	v_mad_i64_i32 v[5:6], null, v8, s5, 0
	s_delay_alu instid0(VALU_DEP_2) | instskip(NEXT) | instid1(VALU_DEP_2)
	v_lshlrev_b64 v[3:4], 1, v[3:4]
	v_lshlrev_b64 v[1:2], 1, v[5:6]
	s_delay_alu instid0(VALU_DEP_2) | instskip(NEXT) | instid1(VALU_DEP_3)
	v_add_co_u32 v3, vcc_lo, s15, v3
	v_add_co_ci_u32_e32 v4, vcc_lo, s19, v4, vcc_lo
	s_delay_alu instid0(VALU_DEP_3) | instskip(NEXT) | instid1(VALU_DEP_4)
	v_add_co_u32 v1, vcc_lo, s15, v1
	v_add_co_ci_u32_e32 v2, vcc_lo, s19, v2, vcc_lo
	s_delay_alu instid0(VALU_DEP_4) | instskip(NEXT) | instid1(VALU_DEP_4)
	v_add_co_u32 v65, vcc_lo, v3, v73
	v_add_co_ci_u32_e32 v66, vcc_lo, v4, v74, vcc_lo
	s_delay_alu instid0(VALU_DEP_4) | instskip(NEXT) | instid1(VALU_DEP_4)
	v_add_co_u32 v67, vcc_lo, v1, v73
	v_add_co_ci_u32_e32 v68, vcc_lo, v2, v74, vcc_lo
	s_clause 0xf
	global_load_b128 v[1:4], v[65:66], off
	global_load_b128 v[5:8], v[65:66], off offset:512
	global_load_b128 v[9:12], v[67:68], off offset:256
	;; [unrolled: 1-line block ×15, first 2 shown]
	v_add_co_u32 v157, vcc_lo, 0x1000, v65
	v_add_co_ci_u32_e32 v158, vcc_lo, 0, v66, vcc_lo
	v_add_co_u32 v165, vcc_lo, 0x1000, v67
	v_add_co_ci_u32_e32 v166, vcc_lo, 0, v68, vcc_lo
	s_clause 0x7
	global_load_b128 v[81:84], v[157:158], off
	global_load_b128 v[85:88], v[157:158], off offset:512
	global_load_b128 v[89:92], v[165:166], off offset:256
	;; [unrolled: 1-line block ×7, first 2 shown]
	v_add_nc_u32_e32 v65, -9, v77
	v_cmp_gt_u32_e32 vcc_lo, 9, v77
	s_or_b32 s15, s12, 0xe0
	s_delay_alu instid0(SALU_CYCLE_1) | instskip(SKIP_3) | instid1(SALU_CYCLE_1)
	s_ashr_i32 s19, s15, 5
	s_cmp_lt_i32 s15, s17
	v_cndmask_b32_e32 v65, v65, v77, vcc_lo
	s_cselect_b32 s22, s19, s4
	s_ashr_i32 s23, s22, 31
	s_delay_alu instid0(VALU_DEP_1)
	v_lshlrev_b32_e32 v169, 6, v65
	ds_load_b128 v[65:68], v169
	ds_load_b128 v[69:72], v169 offset:1024
	s_clause 0x1
	global_load_b128 v[113:116], v[157:158], off offset:2048
	global_load_b128 v[117:120], v[157:158], off offset:2560
	ds_load_b128 v[129:132], v169 offset:2048
	ds_load_b128 v[133:136], v169 offset:3072
	s_clause 0x5
	global_load_b128 v[145:148], v[165:166], off offset:2304
	global_load_b128 v[149:152], v[165:166], off offset:2816
	;; [unrolled: 1-line block ×6, first 2 shown]
	s_lshl_b64 s[22:23], s[22:23], 2
	s_delay_alu instid0(SALU_CYCLE_1) | instskip(SKIP_2) | instid1(SALU_CYCLE_1)
	s_add_u32 s22, s13, s22
	s_addc_u32 s23, s16, s23
	s_add_i32 s15, s12, 0x100
	s_ashr_i32 s19, s15, 5
	s_cmp_lt_i32 s15, s17
	s_cselect_b32 s28, s19, s4
	s_delay_alu instid0(SALU_CYCLE_1) | instskip(NEXT) | instid1(SALU_CYCLE_1)
	s_ashr_i32 s29, s28, 31
	s_lshl_b64 s[28:29], s[28:29], 2
	s_delay_alu instid0(SALU_CYCLE_1)
	s_add_u32 s28, s13, s28
	s_addc_u32 s29, s16, s29
	s_add_u32 s4, s10, s2
	s_addc_u32 s19, s11, s3
	s_lshl_b64 s[2:3], s[8:9], 1
	s_lshl_b64 s[8:9], s[20:21], 1
	;; [unrolled: 1-line block ×4, first 2 shown]
	s_waitcnt vmcnt(30) lgkmcnt(2)
	v_wmma_f32_16x16x16_f16 v[137:144], v[1:8], v[65:72], v[121:128]
	ds_load_b128 v[1:4], v169 offset:4096
	ds_load_b128 v[5:8], v169 offset:5120
	s_waitcnt vmcnt(28)
	v_wmma_f32_16x16x16_f16 v[121:128], v[9:16], v[65:72], v[121:128]
	ds_load_b128 v[9:12], v169 offset:6144
	ds_load_b128 v[13:16], v169 offset:7168
	s_waitcnt vmcnt(26) lgkmcnt(4)
	v_wmma_f32_16x16x16_f16 v[137:144], v[17:24], v[129:136], v[137:144]
	ds_load_b128 v[17:20], v169 offset:8192
	ds_load_b128 v[21:24], v169 offset:9216
	s_waitcnt vmcnt(24)
	v_wmma_f32_16x16x16_f16 v[121:128], v[25:32], v[129:136], v[121:128]
	v_lshl_or_b32 v25, v78, 10, v79
	ds_load_b128 v[129:132], v169 offset:10240
	ds_load_b128 v[133:136], v169 offset:11264
	s_clause 0x2
	s_load_b32 s15, s[6:7], 0x0
	s_load_b32 s13, s[22:23], 0x0
	;; [unrolled: 1-line block ×3, first 2 shown]
	s_mul_hi_i32 s7, s36, s5
	v_add_co_u32 v170, s4, s4, v25
	s_delay_alu instid0(VALU_DEP_1)
	v_add_co_ci_u32_e64 v171, null, s19, 0, s4
	s_mul_i32 s6, s36, s5
	s_mul_i32 s36, s38, s5
	s_lshl_b64 s[6:7], s[6:7], 1
	s_lshl_b64 s[22:23], s[36:37], 1
	s_waitcnt vmcnt(22) lgkmcnt(0)
	v_wmma_f32_16x16x16_f16 v[137:144], v[33:40], v[1:8], v[137:144]
	s_waitcnt vmcnt(20)
	v_wmma_f32_16x16x16_f16 v[121:128], v[41:48], v[1:8], v[121:128]
	v_add_co_u32 v1, vcc_lo, v170, s2
	v_add_co_ci_u32_e32 v2, vcc_lo, s3, v171, vcc_lo
	v_add_co_u32 v3, vcc_lo, v170, s8
	v_add_co_ci_u32_e32 v4, vcc_lo, s9, v171, vcc_lo
	;; [unrolled: 2-line block ×4, first 2 shown]
	v_add_co_u32 v25, vcc_lo, v170, s6
	s_mul_hi_i32 s25, s15, s5
	s_mul_i32 s24, s15, s5
	v_add_co_ci_u32_e32 v26, vcc_lo, s7, v171, vcc_lo
	v_add_co_u32 v27, vcc_lo, v170, s22
	s_lshl_b64 s[24:25], s[24:25], 1
	s_waitcnt vmcnt(18)
	v_wmma_f32_16x16x16_f16 v[137:144], v[49:56], v[9:16], v[137:144]
	s_waitcnt vmcnt(16)
	v_wmma_f32_16x16x16_f16 v[121:128], v[57:64], v[9:16], v[121:128]
	v_add_co_ci_u32_e32 v28, vcc_lo, s23, v171, vcc_lo
	s_mul_hi_i32 s3, s13, s5
	s_mul_i32 s2, s13, s5
	v_add_co_u32 v29, vcc_lo, v170, s24
	s_lshl_b64 s[2:3], s[2:3], 1
	v_add_co_ci_u32_e32 v30, vcc_lo, s25, v171, vcc_lo
	s_waitcnt vmcnt(14)
	v_wmma_f32_16x16x16_f16 v[137:144], v[81:88], v[17:24], v[137:144]
	s_waitcnt vmcnt(12)
	v_wmma_f32_16x16x16_f16 v[121:128], v[89:96], v[17:24], v[121:128]
	v_add_co_u32 v17, vcc_lo, v170, s2
	v_add_co_ci_u32_e32 v18, vcc_lo, s3, v171, vcc_lo
	s_mul_hi_i32 s3, s16, s5
	s_mul_i32 s2, s16, s5
	s_clause 0x5
	global_load_b128 v[65:68], v[1:2], off
	global_load_b128 v[69:72], v[1:2], off offset:16
	global_load_b128 v[57:60], v[3:4], off
	global_load_b128 v[61:64], v[3:4], off offset:16
	;; [unrolled: 2-line block ×3, first 2 shown]
	s_lshl_b64 s[2:3], s[2:3], 1
	s_clause 0x1
	global_load_b128 v[41:44], v[7:8], off
	global_load_b128 v[45:48], v[7:8], off offset:16
	v_add_co_u32 v21, vcc_lo, v170, s2
	v_add_co_ci_u32_e32 v22, vcc_lo, s3, v171, vcc_lo
	s_clause 0x9
	global_load_b128 v[9:12], v[25:26], off
	global_load_b128 v[13:16], v[25:26], off offset:16
	global_load_b128 v[1:4], v[27:28], off
	global_load_b128 v[5:8], v[27:28], off offset:16
	;; [unrolled: 2-line block ×5, first 2 shown]
	ds_load_b128 v[81:84], v169 offset:12288
	ds_load_b128 v[85:88], v169 offset:13312
	v_and_b32_e32 v89, 0xe0, v0
	s_waitcnt vmcnt(28)
	v_wmma_f32_16x16x16_f16 v[137:144], v[97:104], v[129:136], v[137:144]
	v_mbcnt_lo_u32_b32 v97, -1, 0
	s_waitcnt vmcnt(26)
	v_wmma_f32_16x16x16_f16 v[121:128], v[105:112], v[129:136], v[121:128]
	v_add_nc_u32_e32 v98, s12, v89
	ds_load_b128 v[89:92], v169 offset:14336
	ds_load_b128 v[93:96], v169 offset:15360
	v_xor_b32_e32 v99, 16, v97
	s_waitcnt vmcnt(0) lgkmcnt(0)
	s_barrier
	v_or_b32_e32 v98, v98, v75
	buffer_gl0_inv
	v_cmp_gt_i32_e32 vcc_lo, 32, v99
	v_or_b32_e32 v100, 4, v98
	v_or_b32_e32 v101, 22, v98
	;; [unrolled: 1-line block ×4, first 2 shown]
	v_wmma_f32_16x16x16_f16 v[137:144], v[113:120], v[81:88], v[137:144]
	v_wmma_f32_16x16x16_f16 v[121:128], v[145:152], v[81:88], v[121:128]
	v_or_b32_e32 v81, 6, v98
	v_or_b32_e32 v82, 8, v98
	;; [unrolled: 1-line block ×3, first 2 shown]
	v_cmp_gt_i32_e64 s3, s17, v100
	v_or_b32_e32 v84, 12, v98
	v_wmma_f32_16x16x16_f16 v[137:144], v[153:160], v[89:96], v[137:144]
	v_wmma_f32_16x16x16_f16 v[121:128], v[161:168], v[89:96], v[121:128]
	v_cndmask_b32_e32 v97, v97, v99, vcc_lo
	v_or_b32_e32 v99, 2, v98
	v_cmp_gt_i32_e32 vcc_lo, s17, v98
	v_dual_mul_f32 v95, s18, v138 :: v_dual_mul_f32 v96, s18, v137
	v_mul_f32_e32 v93, s18, v140
	s_delay_alu instid0(VALU_DEP_4)
	v_cmp_gt_i32_e64 s2, s17, v99
	v_mul_f32_e32 v94, s18, v139
	v_mul_f32_e32 v110, s18, v124
	v_cndmask_b32_e32 v96, 0xff7fffff, v96, vcc_lo
	v_cmp_gt_i32_e64 s4, s17, v81
	v_cndmask_b32_e64 v95, 0xff7fffff, v95, s2
	v_or_b32_e32 v85, 14, v98
	v_dual_mul_f32 v91, s18, v142 :: v_dual_mul_f32 v92, s18, v141
	v_cndmask_b32_e64 v94, 0xff7fffff, v94, s3
	v_cndmask_b32_e64 v81, 0xff7fffff, v93, s4
	v_max3_f32 v93, v96, 0xff7fffff, v95
	v_cmp_gt_i32_e64 s5, s17, v82
	v_cmp_gt_i32_e64 s6, s17, v83
	v_or_b32_e32 v86, 16, v98
	v_or_b32_e32 v87, 18, v98
	v_dual_mul_f32 v89, s18, v144 :: v_dual_mul_f32 v112, s18, v122
	v_mul_f32_e32 v90, s18, v143
	v_cndmask_b32_e64 v82, 0xff7fffff, v92, s5
	v_cndmask_b32_e64 v83, 0xff7fffff, v91, s6
	v_max3_f32 v81, v93, v94, v81
	v_cmp_gt_i32_e64 s7, s17, v84
	v_cmp_gt_i32_e64 s8, s17, v85
	v_or_b32_e32 v88, 20, v98
	v_mul_f32_e32 v113, s18, v121
	v_max3_f32 v81, v81, v82, v83
	v_cndmask_b32_e64 v84, 0xff7fffff, v90, s7
	v_cndmask_b32_e64 v85, 0xff7fffff, v89, s8
	v_cmp_gt_i32_e64 s9, s17, v86
	v_cmp_gt_i32_e64 s10, s17, v87
	v_mul_f32_e32 v111, s18, v123
	v_cmp_gt_i32_e64 s11, s17, v88
	v_max3_f32 v81, v81, v84, v85
	v_cndmask_b32_e64 v82, 0xff7fffff, v113, s9
	v_cndmask_b32_e64 v83, 0xff7fffff, v112, s10
	v_cmp_gt_i32_e64 s12, s17, v101
	v_or_b32_e32 v104, 28, v98
	v_or_b32_e32 v105, 30, v98
	v_dual_mul_f32 v108, s18, v126 :: v_dual_mul_f32 v109, s18, v125
	v_cndmask_b32_e64 v84, 0xff7fffff, v111, s11
	v_cndmask_b32_e64 v85, 0xff7fffff, v110, s12
	v_max3_f32 v81, v81, v82, v83
	v_cmp_gt_i32_e64 s13, s17, v102
	v_cmp_gt_i32_e64 s15, s17, v103
	v_dual_mul_f32 v106, s18, v128 :: v_dual_mul_f32 v107, s18, v127
	s_delay_alu instid0(VALU_DEP_4) | instskip(NEXT) | instid1(VALU_DEP_4)
	v_max3_f32 v81, v81, v84, v85
	v_cndmask_b32_e64 v82, 0xff7fffff, v109, s13
	s_delay_alu instid0(VALU_DEP_4) | instskip(SKIP_2) | instid1(VALU_DEP_3)
	v_cndmask_b32_e64 v83, 0xff7fffff, v108, s15
	v_cmp_gt_i32_e64 s16, s17, v104
	v_cmp_gt_i32_e64 s17, s17, v105
	v_max3_f32 v81, v81, v82, v83
	s_delay_alu instid0(VALU_DEP_3) | instskip(NEXT) | instid1(VALU_DEP_3)
	v_cndmask_b32_e64 v84, 0xff7fffff, v107, s16
	v_cndmask_b32_e64 v85, 0xff7fffff, v106, s17
	v_lshlrev_b32_e32 v83, 2, v97
	s_delay_alu instid0(VALU_DEP_2) | instskip(SKIP_3) | instid1(VALU_DEP_1)
	v_max3_f32 v81, v81, v84, v85
	ds_bpermute_b32 v82, v83, v81
	s_waitcnt lgkmcnt(0)
	v_max_f32_e32 v82, v82, v82
	v_max_f32_e32 v81, v81, v82
	s_delay_alu instid0(VALU_DEP_1)
	v_fma_f32 v82, s18, v137, -v81
	v_fma_f32 v84, s18, v138, -v81
	;; [unrolled: 1-line block ×5, first 2 shown]
	v_mul_f32_e32 v82, 0x3fb8aa3b, v82
	s_delay_alu instid0(VALU_DEP_4) | instskip(NEXT) | instid1(VALU_DEP_3)
	v_dual_mul_f32 v84, 0x3fb8aa3b, v84 :: v_dual_mul_f32 v85, 0x3fb8aa3b, v85
	v_dual_mul_f32 v86, 0x3fb8aa3b, v86 :: v_dual_mul_f32 v89, 0x3fb8aa3b, v87
	s_delay_alu instid0(VALU_DEP_3) | instskip(NEXT) | instid1(VALU_DEP_2)
	v_exp_f32_e32 v82, v82
	v_exp_f32_e32 v84, v84
	s_delay_alu instid0(VALU_DEP_2) | instskip(NEXT) | instid1(VALU_DEP_1)
	v_exp_f32_e32 v85, v85
	v_exp_f32_e32 v86, v86
	;; [unrolled: 1-line block ×3, first 2 shown]
	v_cndmask_b32_e32 v88, 0, v82, vcc_lo
	v_cndmask_b32_e64 v87, 0, v84, s2
	s_delay_alu instid0(TRANS32_DEP_3)
	v_cndmask_b32_e64 v90, 0, v85, s3
	s_waitcnt_depctr 0xfff
	v_cndmask_b32_e64 v89, 0, v86, s4
	v_cndmask_b32_e64 v92, 0, v92, s5
	v_add_f32_e32 v84, 0, v88
	v_cmp_gt_u32_e64 s2, 16, v80
	s_delay_alu instid0(VALU_DEP_2) | instskip(NEXT) | instid1(VALU_DEP_1)
	v_add_f32_e32 v84, v84, v87
	v_add_f32_e32 v84, v84, v90
	s_delay_alu instid0(VALU_DEP_1)
	v_add_f32_e32 v84, v84, v89
	v_fma_f32 v82, s18, v142, -v81
	v_fma_f32 v91, s18, v143, -v81
	;; [unrolled: 1-line block ×5, first 2 shown]
	s_delay_alu instid0(VALU_DEP_4) | instskip(SKIP_1) | instid1(VALU_DEP_4)
	v_dual_mul_f32 v82, 0x3fb8aa3b, v82 :: v_dual_mul_f32 v91, 0x3fb8aa3b, v91
	v_fma_f32 v96, s18, v124, -v81
	v_mul_f32_e32 v86, 0x3fb8aa3b, v86
	s_delay_alu instid0(VALU_DEP_4) | instskip(NEXT) | instid1(VALU_DEP_4)
	v_mul_f32_e32 v95, 0x3fb8aa3b, v94
	v_exp_f32_e32 v82, v82
	v_exp_f32_e32 v93, v91
	v_mul_f32_e32 v97, 0x3fb8aa3b, v96
	v_exp_f32_e32 v86, v86
	v_fma_f32 v99, s18, v127, -v81
	s_delay_alu instid0(VALU_DEP_2) | instskip(SKIP_2) | instid1(TRANS32_DEP_3)
	v_exp_f32_e32 v97, v97
	v_cndmask_b32_e64 v91, 0, v82, s6
	v_dual_add_f32 v82, v84, v92 :: v_dual_mul_f32 v85, 0x3fb8aa3b, v85
	v_cndmask_b32_e64 v94, 0, v93, s7
	v_fma_f32 v84, s18, v123, -v81
	s_delay_alu instid0(TRANS32_DEP_2) | instskip(NEXT) | instid1(VALU_DEP_4)
	v_cndmask_b32_e64 v96, 0, v86, s9
	v_add_f32_e32 v82, v82, v91
	v_exp_f32_e32 v85, v85
	v_fma_f32 v86, s18, v126, -v81
	v_mul_f32_e32 v84, 0x3fb8aa3b, v84
	v_cndmask_b32_e64 v97, 0, v97, s12
	v_add_f32_e32 v82, v82, v94
	s_delay_alu instid0(VALU_DEP_3) | instskip(SKIP_3) | instid1(VALU_DEP_2)
	v_exp_f32_e32 v84, v84
	s_waitcnt_depctr 0xfff
	v_cndmask_b32_e64 v93, 0, v85, s8
	v_fma_f32 v85, s18, v125, -v81
	v_add_f32_e32 v82, v82, v93
	v_exp_f32_e32 v95, v95
	s_delay_alu instid0(VALU_DEP_2)
	v_mul_f32_e32 v85, 0x3fb8aa3b, v85
	v_cndmask_b32_e64 v98, 0, v84, s11
	v_mul_f32_e32 v84, 0x3fb8aa3b, v99
	v_add_f32_e32 v82, v82, v96
	v_fma_f32 v99, s18, v128, -v81
	v_exp_f32_e32 v85, v85
	v_mul_f32_e32 v86, 0x3fb8aa3b, v86
	v_exp_f32_e32 v84, v84
	s_delay_alu instid0(TRANS32_DEP_3) | instskip(NEXT) | instid1(VALU_DEP_1)
	v_cndmask_b32_e64 v95, 0, v95, s10
	v_add_f32_e32 v82, v82, v95
	s_waitcnt_depctr 0xfff
	v_cndmask_b32_e64 v100, 0, v85, s13
	v_mul_f32_e32 v85, 0x3fb8aa3b, v99
	v_exp_f32_e32 v86, v86
	v_cndmask_b32_e64 v102, 0, v84, s16
	v_add_f32_e32 v82, v82, v98
	s_delay_alu instid0(VALU_DEP_3) | instskip(NEXT) | instid1(VALU_DEP_1)
	v_exp_f32_e32 v85, v85
	v_add_f32_e32 v82, v82, v97
	s_waitcnt_depctr 0xfff
	v_cndmask_b32_e64 v99, 0, v86, s15
	v_add_f32_e32 v82, v82, v100
	v_cndmask_b32_e64 v101, 0, v85, s17
	s_delay_alu instid0(VALU_DEP_2) | instskip(NEXT) | instid1(VALU_DEP_1)
	v_add_f32_e32 v82, v82, v99
	v_add_f32_e32 v82, v82, v102
	s_delay_alu instid0(VALU_DEP_1)
	v_add_f32_e32 v82, v82, v101
	ds_bpermute_b32 v83, v83, v82
	s_and_saveexec_b32 s3, s2
	s_cbranch_execz .LBB374_14
; %bb.13:
	v_mul_u32_u24_e32 v80, 0x44, v78
	s_waitcnt lgkmcnt(0)
	v_add_f32_e32 v82, v82, v83
	s_delay_alu instid0(VALU_DEP_2) | instskip(NEXT) | instid1(VALU_DEP_1)
	v_lshl_add_u32 v80, v77, 2, v80
	v_add_nc_u32_e32 v80, 0x4000, v80
	ds_store_2addr_b32 v80, v81, v82 offset1:136
.LBB374_14:
	s_or_b32 exec_lo, exec_lo, s3
	v_lshlrev_b32_e32 v80, 2, v77
	s_load_b32 s35, s[0:1], 0x94
	s_waitcnt lgkmcnt(0)
	s_barrier
	buffer_gl0_inv
	v_add_nc_u32_e32 v84, 0x4000, v80
	v_cmp_eq_u32_e32 vcc_lo, 1, v78
	v_cmp_eq_u32_e64 s3, 2, v78
	v_cmp_eq_u32_e64 s4, 3, v78
	;; [unrolled: 1-line block ×3, first 2 shown]
	ds_load_2addr_b32 v[80:81], v84 offset1:17
	ds_load_2addr_b32 v[82:83], v84 offset0:34 offset1:51
	ds_load_2addr_b32 v[103:104], v84 offset0:68 offset1:85
	;; [unrolled: 1-line block ×3, first 2 shown]
	v_cmp_eq_u32_e64 s6, 7, v78
	s_waitcnt lgkmcnt(3)
	v_max3_f32 v85, v80, 0xff7fffff, v81
	s_waitcnt lgkmcnt(2)
	s_delay_alu instid0(VALU_DEP_1) | instskip(SKIP_1) | instid1(VALU_DEP_1)
	v_max3_f32 v85, v85, v82, v83
	s_waitcnt lgkmcnt(1)
	v_max3_f32 v85, v85, v103, v104
	s_waitcnt lgkmcnt(0)
	s_delay_alu instid0(VALU_DEP_1) | instskip(NEXT) | instid1(VALU_DEP_1)
	v_max3_f32 v85, v85, v105, v106
	v_sub_f32_e32 v103, v103, v85
	ds_load_2addr_b32 v[107:108], v84 offset0:136 offset1:153
	v_sub_f32_e32 v80, v80, v85
	v_dual_sub_f32 v110, v83, v85 :: v_dual_mul_f32 v113, 0x3fb8aa3b, v103
	s_delay_alu instid0(VALU_DEP_2) | instskip(SKIP_3) | instid1(VALU_DEP_1)
	v_dual_sub_f32 v86, v81, v85 :: v_dual_mul_f32 v109, 0x3fb8aa3b, v80
	ds_load_2addr_b32 v[80:81], v84 offset0:170 offset1:187
	v_mul_f32_e32 v86, 0x3fb8aa3b, v86
	v_exp_f32_e32 v109, v109
	v_exp_f32_e32 v112, v86
	v_mul_f32_e32 v110, 0x3fb8aa3b, v110
	s_waitcnt lgkmcnt(1)
	s_waitcnt_depctr 0xfff
	v_fma_f32 v86, v109, v107, 0
	v_sub_f32_e32 v107, v104, v85
	v_sub_f32_e32 v82, v82, v85
	v_exp_f32_e32 v110, v110
	ds_load_2addr_b32 v[103:104], v84 offset0:238 offset1:255
	v_dual_fmac_f32 v86, v112, v108 :: v_dual_mul_f32 v111, 0x3fb8aa3b, v82
	ds_load_2addr_b32 v[82:83], v84 offset0:204 offset1:221
	v_dual_sub_f32 v84, v105, v85 :: v_dual_mul_f32 v105, 0x3fb8aa3b, v107
	v_exp_f32_e32 v107, v113
	v_exp_f32_e32 v111, v111
	s_waitcnt lgkmcnt(0)
	s_delay_alu instid0(VALU_DEP_1)
	v_mul_f32_e32 v84, 0x3fb8aa3b, v84
	v_exp_f32_e32 v105, v105
	s_barrier
	buffer_gl0_inv
	v_fmac_f32_e32 v86, v111, v80
	v_sub_f32_e32 v80, v106, v85
	v_exp_f32_e32 v106, v84
	s_delay_alu instid0(VALU_DEP_2) | instskip(NEXT) | instid1(VALU_DEP_2)
	v_fmac_f32_e32 v86, v110, v81
	v_mul_f32_e32 v80, 0x3fb8aa3b, v80
	s_delay_alu instid0(VALU_DEP_2) | instskip(NEXT) | instid1(VALU_DEP_2)
	v_dual_cndmask_b32 v81, v109, v112 :: v_dual_fmac_f32 v86, v107, v82
	v_exp_f32_e32 v108, v80
	s_delay_alu instid0(VALU_DEP_1) | instskip(SKIP_2) | instid1(VALU_DEP_1)
	v_fmac_f32_e32 v86, v105, v83
	s_waitcnt_depctr 0xfff
	v_fmac_f32_e32 v86, v106, v103
	v_fmac_f32_e32 v86, v108, v104
	s_delay_alu instid0(VALU_DEP_1) | instskip(NEXT) | instid1(VALU_DEP_1)
	v_add_f32_e32 v103, 0x358637bd, v86
	v_div_scale_f32 v104, null, v103, v103, 1.0
	v_div_scale_f32 v109, vcc_lo, 1.0, v103, 1.0
	s_delay_alu instid0(VALU_DEP_2) | instskip(SKIP_2) | instid1(VALU_DEP_1)
	v_rcp_f32_e32 v113, v104
	s_waitcnt_depctr 0xfff
	v_fma_f32 v80, -v104, v113, 1.0
	v_fmac_f32_e32 v113, v80, v113
	v_cndmask_b32_e64 v80, v81, v111, s3
	v_cmp_eq_u32_e64 s3, 4, v78
	v_lshl_or_b32 v81, v78, 11, v79
	s_delay_alu instid0(VALU_DEP_4) | instskip(NEXT) | instid1(VALU_DEP_4)
	v_mul_f32_e32 v111, v109, v113
	v_cndmask_b32_e64 v82, v80, v110, s4
	v_cmp_eq_u32_e64 s4, 6, v78
	s_delay_alu instid0(VALU_DEP_4) | instskip(SKIP_3) | instid1(VALU_DEP_3)
	v_lshl_or_b32 v78, v75, 4, v81
	v_lshlrev_b32_e32 v80, 2, v75
	v_fma_f32 v83, -v104, v111, v109
	v_cndmask_b32_e64 v84, v82, v107, s3
	v_or_b32_e32 v82, 1, v80
	s_delay_alu instid0(VALU_DEP_3) | instskip(NEXT) | instid1(VALU_DEP_3)
	v_fmac_f32_e32 v111, v83, v113
	v_cndmask_b32_e64 v105, v84, v105, s5
	v_or_b32_e32 v84, 2, v80
	v_or_b32_e32 v83, 3, v80
	v_cmp_eq_u32_e64 s3, 1, v80
	v_fma_f32 v104, -v104, v111, v109
	v_cndmask_b32_e64 v105, v105, v106, s4
	v_cmp_eq_u32_e64 s9, 1, v82
	v_cmp_eq_u32_e64 s10, 1, v84
	v_cmp_eq_u32_e64 s11, 1, v83
	v_div_fmas_f32 v104, v104, v113, v111
	v_cndmask_b32_e64 v105, v105, v108, s6
	v_cmp_eq_u32_e32 vcc_lo, 2, v80
	v_cmp_eq_u32_e64 s12, 2, v82
	v_cmp_eq_u32_e64 s15, 2, v84
	v_div_fixup_f32 v103, v104, v103, 1.0
	v_cmp_eq_u32_e64 s16, 2, v83
	v_cmp_eq_u32_e64 s18, 3, v83
	;; [unrolled: 1-line block ×4, first 2 shown]
	v_mul_f32_e32 v111, v105, v103
	v_cmp_eq_u32_e64 s17, 3, v84
	v_cmp_eq_u32_e64 s22, 4, v83
	;; [unrolled: 1-line block ×4, first 2 shown]
	v_fma_mixlo_f16 v103, v111, v88, 0
	v_fma_mixlo_f16 v104, v111, v90, 0
	;; [unrolled: 1-line block ×8, first 2 shown]
	v_fma_mixhi_f16 v103, v111, v87, 0
	v_fma_mixhi_f16 v104, v111, v89, 0
	;; [unrolled: 1-line block ×8, first 2 shown]
	ds_store_b128 v78, v[103:106]
	ds_store_b128 v78, v[107:110] offset:1024
	s_waitcnt lgkmcnt(0)
	s_barrier
	buffer_gl0_inv
	ds_load_b128 v[87:90], v81
	ds_load_b128 v[91:94], v81 offset:16
	ds_load_b128 v[95:98], v81 offset:1024
	;; [unrolled: 1-line block ×3, first 2 shown]
	v_cmp_eq_u32_e64 s21, 4, v84
	v_cmp_eq_u32_e64 s24, 5, v83
	v_cmp_eq_u32_e64 s6, 5, v80
	v_cmp_eq_u32_e64 s20, 5, v82
	v_cmp_eq_u32_e64 s23, 5, v84
	v_cmp_eq_u32_e64 s27, 6, v83
	v_cmp_eq_u32_e64 s7, 6, v80
	v_cmp_eq_u32_e64 s25, 6, v82
	v_cmp_eq_u32_e64 s26, 6, v84
	v_cmp_eq_u32_e64 s29, 7, v83
	v_cmp_eq_u32_e64 s8, 7, v80
	v_cmp_eq_u32_e64 s28, 7, v84
	v_cmp_eq_u32_e64 s30, 7, v82
	s_waitcnt lgkmcnt(3)
	v_lshrrev_b32_e32 v103, 16, v87
	s_waitcnt lgkmcnt(2)
	v_lshrrev_b32_e32 v107, 16, v91
	;; [unrolled: 2-line block ×4, first 2 shown]
	v_lshrrev_b32_e32 v104, 16, v88
	v_cndmask_b32_e64 v119, v87, v103, s3
	v_cndmask_b32_e64 v120, v91, v107, s3
	;; [unrolled: 1-line block ×8, first 2 shown]
	v_lshrrev_b32_e32 v108, 16, v92
	v_cndmask_b32_e64 v103, v95, v111, s3
	v_cndmask_b32_e64 v107, v99, v115, s3
	;; [unrolled: 1-line block ×5, first 2 shown]
	v_cndmask_b32_e32 v111, v119, v88, vcc_lo
	v_cndmask_b32_e64 v119, v121, v88, s12
	v_cndmask_b32_e64 v121, v123, v88, s15
	v_cndmask_b32_e64 v87, v87, v88, s16
	v_cndmask_b32_e64 v88, v91, v92, s16
	v_lshrrev_b32_e32 v112, 16, v96
	v_lshrrev_b32_e32 v116, 16, v100
	v_cndmask_b32_e64 v126, v99, v115, s9
	v_cndmask_b32_e64 v128, v99, v115, s10
	;; [unrolled: 1-line block ×3, first 2 shown]
	v_cndmask_b32_e32 v115, v120, v92, vcc_lo
	v_cndmask_b32_e64 v120, v122, v92, s12
	v_cndmask_b32_e64 v122, v124, v92, s15
	v_cndmask_b32_e32 v91, v103, v96, vcc_lo
	v_cndmask_b32_e32 v92, v107, v100, vcc_lo
	v_cndmask_b32_e64 v103, v125, v96, s12
	v_cndmask_b32_e64 v87, v87, v104, s18
	;; [unrolled: 1-line block ×3, first 2 shown]
	v_lshrrev_b32_e32 v105, 16, v89
	v_lshrrev_b32_e32 v109, 16, v93
	v_cndmask_b32_e64 v107, v127, v96, s15
	v_cndmask_b32_e64 v95, v95, v96, s16
	;; [unrolled: 1-line block ×14, first 2 shown]
	v_lshrrev_b32_e32 v113, 16, v97
	v_cndmask_b32_e64 v99, v99, v89, s5
	v_cndmask_b32_e64 v104, v111, v93, s5
	;; [unrolled: 1-line block ×11, first 2 shown]
	v_lshrrev_b32_e32 v106, 16, v90
	v_lshrrev_b32_e32 v110, 16, v94
	v_cndmask_b32_e64 v93, v99, v105, s6
	v_cndmask_b32_e64 v99, v104, v109, s6
	;; [unrolled: 1-line block ×9, first 2 shown]
	v_lshrrev_b32_e32 v114, 16, v98
	v_cndmask_b32_e64 v89, v89, v113, s6
	v_cndmask_b32_e64 v93, v93, v90, s7
	;; [unrolled: 1-line block ×19, first 2 shown]
	v_perm_b32 v90, v88, v87, 0x5040100
	v_cndmask_b32_e64 v87, v126, v100, s12
	v_cndmask_b32_e64 v105, v89, v114, s8
	v_perm_b32 v89, v103, v99, 0x5040100
	v_perm_b32 v88, v104, v94, 0x5040100
	v_cndmask_b32_e64 v94, v107, v112, s17
	v_cndmask_b32_e64 v95, v95, v112, s18
	;; [unrolled: 1-line block ×5, first 2 shown]
	v_lshrrev_b32_e32 v117, 16, v101
	v_cndmask_b32_e64 v94, v94, v97, s21
	v_cndmask_b32_e64 v95, v95, v97, s22
	;; [unrolled: 1-line block ×11, first 2 shown]
	v_lshrrev_b32_e32 v118, 16, v102
	v_cndmask_b32_e64 v91, v91, v102, s7
	v_cndmask_b32_e64 v94, v94, v98, s26
	;; [unrolled: 1-line block ×12, first 2 shown]
	v_perm_b32 v87, v93, v92, 0x5040100
	v_perm_b32 v94, v95, v94, 0x5040100
	;; [unrolled: 1-line block ×5, first 2 shown]
	s_mul_i32 s7, s33, 9
	s_mov_b32 s3, exec_lo
	ds_store_b128 v78, v[87:90]
	ds_store_b128 v78, v[91:94] offset:1024
	v_cmpx_gt_u32_e32 9, v0
	s_cbranch_execz .LBB374_16
; %bb.15:
	s_mul_i32 s4, s7, s34
	s_load_b128 s[8:11], s[0:1], 0x58
	v_add3_u32 v77, s4, s31, v77
	s_delay_alu instid0(VALU_DEP_1) | instskip(NEXT) | instid1(VALU_DEP_1)
	v_mad_u64_u32 v[87:88], null, v77, s35, s[14:15]
	v_ashrrev_i32_e32 v88, 31, v87
	s_delay_alu instid0(VALU_DEP_1) | instskip(SKIP_1) | instid1(VALU_DEP_1)
	v_lshlrev_b64 v[87:88], 2, v[87:88]
	s_waitcnt lgkmcnt(0)
	v_add_co_u32 v89, vcc_lo, s10, v87
	s_delay_alu instid0(VALU_DEP_2)
	v_add_co_ci_u32_e32 v90, vcc_lo, s11, v88, vcc_lo
	v_add_co_u32 v87, vcc_lo, s8, v87
	v_add_co_ci_u32_e32 v88, vcc_lo, s9, v88, vcc_lo
	global_store_b32 v[89:90], v85, off
	global_store_b32 v[87:88], v86, off
.LBB374_16:
	s_or_b32 exec_lo, exec_lo, s3
	s_waitcnt lgkmcnt(0)
	s_waitcnt_vscnt null, 0x0
	s_barrier
	buffer_gl0_inv
	ds_load_b128 v[93:96], v79
	ds_load_b128 v[97:100], v79 offset:16
	ds_load_b128 v[105:108], v79 offset:1040
	;; [unrolled: 1-line block ×5, first 2 shown]
	v_cmp_eq_u32_e32 vcc_lo, 1, v84
	v_mov_b32_e32 v85, 0
	ds_load_b128 v[121:124], v79 offset:3088
	ds_load_b128 v[117:120], v79 offset:3072
	;; [unrolled: 1-line block ×4, first 2 shown]
	v_cmp_eq_u32_e64 s3, 1, v80
	v_cmp_eq_u32_e64 s4, 1, v83
	v_cmp_eq_u32_e64 s5, 1, v82
	v_mov_b32_e32 v86, v85
	v_mov_b32_e32 v87, v85
	;; [unrolled: 1-line block ×7, first 2 shown]
	v_cmp_eq_u32_e64 s6, 2, v80
	s_waitcnt lgkmcnt(8)
	s_delay_alu instid0(VALU_DEP_2)
	v_wmma_f32_16x16x16_f16 v[85:92], v[65:72], v[93:100], v[85:92]
	ds_load_b128 v[69:72], v79 offset:5136
	ds_load_b128 v[65:68], v79 offset:5120
	;; [unrolled: 1-line block ×4, first 2 shown]
	s_waitcnt lgkmcnt(10)
	v_wmma_f32_16x16x16_f16 v[85:92], v[57:64], v[101:108], v[85:92]
	s_waitcnt lgkmcnt(8)
	s_delay_alu instid0(VALU_DEP_1)
	v_wmma_f32_16x16x16_f16 v[85:92], v[57:64], v[109:116], v[85:92]
	ds_load_b128 v[61:64], v79 offset:7184
	ds_load_b128 v[57:60], v79 offset:7168
	;; [unrolled: 1-line block ×4, first 2 shown]
	s_waitcnt lgkmcnt(10)
	v_wmma_f32_16x16x16_f16 v[85:92], v[49:56], v[117:124], v[85:92]
	s_waitcnt lgkmcnt(8)
	s_delay_alu instid0(VALU_DEP_1)
	v_wmma_f32_16x16x16_f16 v[85:92], v[49:56], v[125:132], v[85:92]
	ds_load_b128 v[53:56], v79 offset:9232
	ds_load_b128 v[49:52], v79 offset:9216
	s_waitcnt lgkmcnt(8)
	v_wmma_f32_16x16x16_f16 v[85:92], v[41:48], v[65:72], v[85:92]
	ds_load_b128 v[69:72], v79 offset:10256
	ds_load_b128 v[65:68], v79 offset:10240
	s_waitcnt lgkmcnt(8)
	;; [unrolled: 4-line block ×7, first 2 shown]
	s_barrier
	buffer_gl0_inv
	v_wmma_f32_16x16x16_f16 v[85:92], v[33:40], v[41:48], v[85:92]
	s_delay_alu instid0(VALU_DEP_1) | instskip(NEXT) | instid1(VALU_DEP_1)
	v_wmma_f32_16x16x16_f16 v[85:92], v[33:40], v[57:64], v[85:92]
	v_wmma_f32_16x16x16_f16 v[85:92], v[25:32], v[9:16], v[85:92]
	s_delay_alu instid0(VALU_DEP_1) | instskip(NEXT) | instid1(VALU_DEP_1)
	v_wmma_f32_16x16x16_f16 v[85:92], v[25:32], v[49:56], v[85:92]
	v_wmma_f32_16x16x16_f16 v[85:92], v[17:24], v[1:8], v[85:92]
	s_delay_alu instid0(VALU_DEP_1) | instskip(NEXT) | instid1(VALU_DEP_2)
	v_cvt_f16_f32_e32 v1, v85
	v_cvt_f16_f32_e32 v2, v86
	s_delay_alu instid0(VALU_DEP_3) | instskip(NEXT) | instid1(VALU_DEP_4)
	v_cvt_f16_f32_e32 v3, v87
	v_cvt_f16_f32_e32 v4, v88
	;; [unrolled: 1-line block ×6, first 2 shown]
	v_pack_b32_f16 v1, v1, v2
	v_pack_b32_f16 v2, v3, v4
	;; [unrolled: 1-line block ×3, first 2 shown]
	s_delay_alu instid0(VALU_DEP_4)
	v_pack_b32_f16 v4, v7, v8
	ds_store_b128 v78, v[1:4]
	s_waitcnt lgkmcnt(0)
	s_barrier
	buffer_gl0_inv
	ds_load_b128 v[1:4], v81
	ds_load_b128 v[5:8], v81 offset:16
	s_waitcnt lgkmcnt(1)
	v_lshrrev_b32_e32 v9, 16, v1
	s_waitcnt lgkmcnt(0)
	v_lshrrev_b32_e32 v13, 16, v5
	v_lshrrev_b32_e32 v15, 16, v7
	v_lshrrev_b32_e32 v10, 16, v2
	v_lshrrev_b32_e32 v14, 16, v6
	v_cndmask_b32_e64 v17, v1, v9, s3
	v_cndmask_b32_e64 v18, v5, v13, s3
	v_cndmask_b32_e64 v19, v1, v9, s5
	v_cmp_eq_u32_e64 s3, 2, v82
	v_cndmask_b32_e64 v20, v5, v13, s5
	v_cndmask_b32_e32 v21, v1, v9, vcc_lo
	v_cndmask_b32_e32 v22, v5, v13, vcc_lo
	v_cndmask_b32_e64 v1, v1, v9, s4
	v_cndmask_b32_e64 v5, v5, v13, s4
	v_cmp_eq_u32_e32 vcc_lo, 2, v84
	v_cmp_eq_u32_e64 s4, 2, v83
	v_cndmask_b32_e64 v9, v17, v2, s6
	v_cndmask_b32_e64 v13, v18, v6, s6
	;; [unrolled: 1-line block ×4, first 2 shown]
	v_cndmask_b32_e32 v19, v21, v2, vcc_lo
	v_cmp_eq_u32_e64 s3, 3, v84
	v_cndmask_b32_e32 v20, v22, v6, vcc_lo
	v_cndmask_b32_e64 v1, v1, v2, s4
	v_cmp_eq_u32_e32 vcc_lo, 3, v83
	v_cmp_eq_u32_e64 s5, 3, v80
	v_cndmask_b32_e64 v2, v5, v6, s4
	v_cmp_eq_u32_e64 s4, 3, v82
	v_lshrrev_b32_e32 v16, 16, v8
	v_cmp_eq_u32_e64 s6, 4, v80
	v_cndmask_b32_e64 v5, v9, v10, s5
	v_cndmask_b32_e64 v6, v13, v14, s5
	;; [unrolled: 1-line block ×3, first 2 shown]
	v_cmp_eq_u32_e64 s5, 4, v82
	v_cndmask_b32_e64 v13, v18, v14, s4
	v_cndmask_b32_e64 v17, v19, v10, s3
	;; [unrolled: 1-line block ×3, first 2 shown]
	v_cndmask_b32_e32 v1, v1, v10, vcc_lo
	v_cndmask_b32_e32 v2, v2, v14, vcc_lo
	v_cmp_eq_u32_e32 vcc_lo, 4, v84
	v_cmp_eq_u32_e64 s4, 4, v83
	v_lshrrev_b32_e32 v11, 16, v3
	v_cndmask_b32_e64 v5, v5, v3, s6
	v_cndmask_b32_e64 v6, v6, v7, s6
	;; [unrolled: 1-line block ×4, first 2 shown]
	v_cndmask_b32_e32 v13, v17, v3, vcc_lo
	v_cmp_eq_u32_e64 s3, 5, v84
	v_cndmask_b32_e32 v14, v18, v7, vcc_lo
	v_cndmask_b32_e64 v1, v1, v3, s4
	v_cmp_eq_u32_e32 vcc_lo, 5, v83
	v_cmp_eq_u32_e64 s5, 5, v80
	v_cndmask_b32_e64 v2, v2, v7, s4
	v_cmp_eq_u32_e64 s4, 5, v82
	v_cmp_eq_u32_e64 s6, 6, v80
	v_cndmask_b32_e32 v1, v1, v11, vcc_lo
	v_cndmask_b32_e64 v3, v5, v11, s5
	v_cndmask_b32_e64 v5, v6, v15, s5
	v_cndmask_b32_e64 v6, v9, v11, s4
	v_cmp_eq_u32_e64 s5, 6, v82
	v_cndmask_b32_e64 v7, v10, v15, s4
	v_cndmask_b32_e64 v9, v13, v11, s3
	v_cndmask_b32_e64 v10, v14, v15, s3
	v_cndmask_b32_e32 v2, v2, v15, vcc_lo
	v_cmp_eq_u32_e32 vcc_lo, 6, v84
	v_cmp_eq_u32_e64 s3, 6, v83
	v_lshrrev_b32_e32 v12, 16, v4
	v_cndmask_b32_e64 v3, v3, v4, s6
	v_cndmask_b32_e64 v5, v5, v8, s6
	;; [unrolled: 1-line block ×4, first 2 shown]
	v_cndmask_b32_e32 v9, v9, v4, vcc_lo
	v_cmp_eq_u32_e64 s4, 7, v84
	v_cndmask_b32_e32 v10, v10, v8, vcc_lo
	v_cndmask_b32_e64 v1, v1, v4, s3
	v_cmp_eq_u32_e32 vcc_lo, 7, v83
	v_cndmask_b32_e64 v2, v2, v8, s3
	v_cmp_eq_u32_e64 s3, 7, v80
	v_cmp_eq_u32_e64 s5, 7, v82
	v_cndmask_b32_e32 v1, v1, v12, vcc_lo
	s_delay_alu instid0(VALU_DEP_4) | instskip(NEXT) | instid1(VALU_DEP_4)
	v_cndmask_b32_e32 v2, v2, v16, vcc_lo
	v_cndmask_b32_e64 v8, v3, v12, s3
	s_delay_alu instid0(VALU_DEP_4)
	v_cndmask_b32_e64 v6, v6, v12, s5
	v_cndmask_b32_e64 v3, v9, v12, s4
	;; [unrolled: 1-line block ×5, first 2 shown]
	v_perm_b32 v4, v2, v1, 0x5040100
	s_mov_b32 s3, exec_lo
	v_perm_b32 v3, v9, v3, 0x5040100
	v_perm_b32 v2, v7, v6, 0x5040100
	;; [unrolled: 1-line block ×3, first 2 shown]
	ds_store_b128 v78, v[1:4]
	s_waitcnt lgkmcnt(0)
	s_barrier
	buffer_gl0_inv
	v_cmpx_gt_u32_e32 32, v0
	s_cbranch_execz .LBB374_2
; %bb.17:
	s_load_b64 s[4:5], s[0:1], 0x68
	v_lshlrev_b32_e32 v0, 10, v0
	v_lshlrev_b32_e32 v1, 4, v76
	s_lshl_b32 s0, s35, 7
	v_add_nc_u32_e32 v2, s31, v75
	s_mul_i32 s1, s0, s34
	s_delay_alu instid0(SALU_CYCLE_1) | instskip(SKIP_1) | instid1(VALU_DEP_2)
	s_mul_i32 s6, s1, s7
	v_and_or_b32 v0, 0x3800, v0, v1
	v_mul_lo_u32 v1, v2, s0
	s_ashr_i32 s7, s6, 31
	v_add_nc_u32_e32 v3, 2, v2
	s_lshl_b64 s[6:7], s[6:7], 1
	v_add_nc_u32_e32 v4, 4, v2
	v_add_nc_u32_e32 v5, 6, v2
	v_lshl_or_b32 v15, v75, 6, v0
	v_mul_lo_u32 v3, v3, s0
	v_ashrrev_i32_e32 v2, 31, v1
	v_mul_lo_u32 v19, v4, s0
	v_mul_lo_u32 v21, v5, s0
	s_waitcnt lgkmcnt(0)
	s_add_u32 s1, s4, s6
	s_addc_u32 s3, s5, s7
	s_lshl_b32 s4, s14, 7
	v_lshlrev_b64 v[5:6], 1, v[1:2]
	s_ashr_i32 s5, s4, 31
	v_ashrrev_i32_e32 v4, 31, v3
	s_lshl_b64 s[4:5], s[4:5], 1
	v_ashrrev_i32_e32 v20, 31, v19
	s_add_u32 s1, s1, s4
	s_addc_u32 s3, s3, s5
	v_add_co_u32 v1, vcc_lo, s1, v73
	v_add_co_ci_u32_e32 v2, vcc_lo, s3, v74, vcc_lo
	v_lshlrev_b64 v[25:26], 1, v[3:4]
	s_delay_alu instid0(VALU_DEP_3) | instskip(NEXT) | instid1(VALU_DEP_3)
	v_add_co_u32 v23, vcc_lo, v1, v5
	v_add_co_ci_u32_e32 v24, vcc_lo, v2, v6, vcc_lo
	ds_load_b128 v[3:6], v15
	ds_load_b128 v[7:10], v15 offset:128
	ds_load_b128 v[11:14], v15 offset:256
	;; [unrolled: 1-line block ×3, first 2 shown]
	v_ashrrev_i32_e32 v22, 31, v21
	v_lshlrev_b64 v[19:20], 1, v[19:20]
	v_add_co_u32 v25, vcc_lo, v1, v25
	v_add_co_ci_u32_e32 v26, vcc_lo, v2, v26, vcc_lo
	s_delay_alu instid0(VALU_DEP_4) | instskip(NEXT) | instid1(VALU_DEP_4)
	v_lshlrev_b64 v[21:22], 1, v[21:22]
	v_add_co_u32 v19, vcc_lo, v1, v19
	v_add_co_ci_u32_e32 v20, vcc_lo, v2, v20, vcc_lo
	s_delay_alu instid0(VALU_DEP_3) | instskip(NEXT) | instid1(VALU_DEP_4)
	v_add_co_u32 v21, vcc_lo, v1, v21
	v_add_co_ci_u32_e32 v22, vcc_lo, v2, v22, vcc_lo
	s_waitcnt lgkmcnt(3)
	global_store_b128 v[23:24], v[3:6], off
	s_waitcnt lgkmcnt(2)
	global_store_b128 v[25:26], v[7:10], off
	;; [unrolled: 2-line block ×4, first 2 shown]
	s_and_b32 exec_lo, exec_lo, s2
	s_cbranch_execz .LBB374_2
; %bb.18:
	ds_load_b128 v[3:6], v0 offset:512
	s_add_i32 s1, s31, 8
	s_delay_alu instid0(SALU_CYCLE_1) | instskip(NEXT) | instid1(SALU_CYCLE_1)
	s_mul_i32 s0, s1, s0
	s_ashr_i32 s1, s0, 31
	s_delay_alu instid0(SALU_CYCLE_1) | instskip(NEXT) | instid1(SALU_CYCLE_1)
	s_lshl_b64 s[0:1], s[0:1], 1
	v_add_co_u32 v0, vcc_lo, v1, s0
	v_add_co_ci_u32_e32 v1, vcc_lo, s1, v2, vcc_lo
	s_waitcnt lgkmcnt(0)
	global_store_b128 v[0:1], v[3:6], off
	s_nop 0
	s_sendmsg sendmsg(MSG_DEALLOC_VGPRS)
	s_endpgm
	.section	.rodata,"a",@progbits
	.p2align	6, 0x0
	.amdhsa_kernel _Z39paged_attention_ll4mi_QKV_mfma16_kernelIDF16_DF16_LN4vllm18Fp8KVCacheDataTypeE0EDF16_Li32ELi128ELi256ELb0ELi9EL8MFMAType0EEvPKT_PKT0_S8_ifPKiSA_SA_iPKfiiiPfSD_PS3_PT2_iSC_SC_
		.amdhsa_group_segment_fixed_size 17472
		.amdhsa_private_segment_fixed_size 0
		.amdhsa_kernarg_size 400
		.amdhsa_user_sgpr_count 13
		.amdhsa_user_sgpr_dispatch_ptr 0
		.amdhsa_user_sgpr_queue_ptr 0
		.amdhsa_user_sgpr_kernarg_segment_ptr 1
		.amdhsa_user_sgpr_dispatch_id 0
		.amdhsa_user_sgpr_private_segment_size 0
		.amdhsa_wavefront_size32 1
		.amdhsa_uses_dynamic_stack 0
		.amdhsa_enable_private_segment 0
		.amdhsa_system_sgpr_workgroup_id_x 1
		.amdhsa_system_sgpr_workgroup_id_y 1
		.amdhsa_system_sgpr_workgroup_id_z 1
		.amdhsa_system_sgpr_workgroup_info 0
		.amdhsa_system_vgpr_workitem_id 0
		.amdhsa_next_free_vgpr 172
		.amdhsa_next_free_sgpr 39
		.amdhsa_reserve_vcc 1
		.amdhsa_float_round_mode_32 0
		.amdhsa_float_round_mode_16_64 0
		.amdhsa_float_denorm_mode_32 3
		.amdhsa_float_denorm_mode_16_64 3
		.amdhsa_dx10_clamp 1
		.amdhsa_ieee_mode 1
		.amdhsa_fp16_overflow 0
		.amdhsa_workgroup_processor_mode 1
		.amdhsa_memory_ordered 1
		.amdhsa_forward_progress 0
		.amdhsa_shared_vgpr_count 0
		.amdhsa_exception_fp_ieee_invalid_op 0
		.amdhsa_exception_fp_denorm_src 0
		.amdhsa_exception_fp_ieee_div_zero 0
		.amdhsa_exception_fp_ieee_overflow 0
		.amdhsa_exception_fp_ieee_underflow 0
		.amdhsa_exception_fp_ieee_inexact 0
		.amdhsa_exception_int_div_zero 0
	.end_amdhsa_kernel
	.section	.text._Z39paged_attention_ll4mi_QKV_mfma16_kernelIDF16_DF16_LN4vllm18Fp8KVCacheDataTypeE0EDF16_Li32ELi128ELi256ELb0ELi9EL8MFMAType0EEvPKT_PKT0_S8_ifPKiSA_SA_iPKfiiiPfSD_PS3_PT2_iSC_SC_,"axG",@progbits,_Z39paged_attention_ll4mi_QKV_mfma16_kernelIDF16_DF16_LN4vllm18Fp8KVCacheDataTypeE0EDF16_Li32ELi128ELi256ELb0ELi9EL8MFMAType0EEvPKT_PKT0_S8_ifPKiSA_SA_iPKfiiiPfSD_PS3_PT2_iSC_SC_,comdat
.Lfunc_end374:
	.size	_Z39paged_attention_ll4mi_QKV_mfma16_kernelIDF16_DF16_LN4vllm18Fp8KVCacheDataTypeE0EDF16_Li32ELi128ELi256ELb0ELi9EL8MFMAType0EEvPKT_PKT0_S8_ifPKiSA_SA_iPKfiiiPfSD_PS3_PT2_iSC_SC_, .Lfunc_end374-_Z39paged_attention_ll4mi_QKV_mfma16_kernelIDF16_DF16_LN4vllm18Fp8KVCacheDataTypeE0EDF16_Li32ELi128ELi256ELb0ELi9EL8MFMAType0EEvPKT_PKT0_S8_ifPKiSA_SA_iPKfiiiPfSD_PS3_PT2_iSC_SC_
                                        ; -- End function
	.section	.AMDGPU.csdata,"",@progbits
; Kernel info:
; codeLenInByte = 7592
; NumSgprs: 41
; NumVgprs: 172
; ScratchSize: 0
; MemoryBound: 0
; FloatMode: 240
; IeeeMode: 1
; LDSByteSize: 17472 bytes/workgroup (compile time only)
; SGPRBlocks: 5
; VGPRBlocks: 21
; NumSGPRsForWavesPerEU: 41
; NumVGPRsForWavesPerEU: 172
; Occupancy: 8
; WaveLimiterHint : 1
; COMPUTE_PGM_RSRC2:SCRATCH_EN: 0
; COMPUTE_PGM_RSRC2:USER_SGPR: 13
; COMPUTE_PGM_RSRC2:TRAP_HANDLER: 0
; COMPUTE_PGM_RSRC2:TGID_X_EN: 1
; COMPUTE_PGM_RSRC2:TGID_Y_EN: 1
; COMPUTE_PGM_RSRC2:TGID_Z_EN: 1
; COMPUTE_PGM_RSRC2:TIDIG_COMP_CNT: 0
	.section	.text._Z39paged_attention_ll4mi_QKV_mfma16_kernelIDF16_DF16_LN4vllm18Fp8KVCacheDataTypeE0EDF16_Li32ELi128ELi256ELb0ELi10EL8MFMAType0EEvPKT_PKT0_S8_ifPKiSA_SA_iPKfiiiPfSD_PS3_PT2_iSC_SC_,"axG",@progbits,_Z39paged_attention_ll4mi_QKV_mfma16_kernelIDF16_DF16_LN4vllm18Fp8KVCacheDataTypeE0EDF16_Li32ELi128ELi256ELb0ELi10EL8MFMAType0EEvPKT_PKT0_S8_ifPKiSA_SA_iPKfiiiPfSD_PS3_PT2_iSC_SC_,comdat
	.protected	_Z39paged_attention_ll4mi_QKV_mfma16_kernelIDF16_DF16_LN4vllm18Fp8KVCacheDataTypeE0EDF16_Li32ELi128ELi256ELb0ELi10EL8MFMAType0EEvPKT_PKT0_S8_ifPKiSA_SA_iPKfiiiPfSD_PS3_PT2_iSC_SC_ ; -- Begin function _Z39paged_attention_ll4mi_QKV_mfma16_kernelIDF16_DF16_LN4vllm18Fp8KVCacheDataTypeE0EDF16_Li32ELi128ELi256ELb0ELi10EL8MFMAType0EEvPKT_PKT0_S8_ifPKiSA_SA_iPKfiiiPfSD_PS3_PT2_iSC_SC_
	.globl	_Z39paged_attention_ll4mi_QKV_mfma16_kernelIDF16_DF16_LN4vllm18Fp8KVCacheDataTypeE0EDF16_Li32ELi128ELi256ELb0ELi10EL8MFMAType0EEvPKT_PKT0_S8_ifPKiSA_SA_iPKfiiiPfSD_PS3_PT2_iSC_SC_
	.p2align	8
	.type	_Z39paged_attention_ll4mi_QKV_mfma16_kernelIDF16_DF16_LN4vllm18Fp8KVCacheDataTypeE0EDF16_Li32ELi128ELi256ELb0ELi10EL8MFMAType0EEvPKT_PKT0_S8_ifPKiSA_SA_iPKfiiiPfSD_PS3_PT2_iSC_SC_,@function
_Z39paged_attention_ll4mi_QKV_mfma16_kernelIDF16_DF16_LN4vllm18Fp8KVCacheDataTypeE0EDF16_Li32ELi128ELi256ELb0ELi10EL8MFMAType0EEvPKT_PKT0_S8_ifPKiSA_SA_iPKfiiiPfSD_PS3_PT2_iSC_SC_: ; @_Z39paged_attention_ll4mi_QKV_mfma16_kernelIDF16_DF16_LN4vllm18Fp8KVCacheDataTypeE0EDF16_Li32ELi128ELi256ELb0ELi10EL8MFMAType0EEvPKT_PKT0_S8_ifPKiSA_SA_iPKfiiiPfSD_PS3_PT2_iSC_SC_
; %bb.0:
	s_load_b64 s[2:3], s[0:1], 0x30
	s_mov_b32 s30, s13
	s_waitcnt lgkmcnt(0)
	s_cmp_lg_u64 s[2:3], 0
	s_cselect_b32 s6, -1, 0
	s_ashr_i32 s31, s13, 31
	s_cmp_eq_u64 s[2:3], 0
	s_cbranch_scc1 .LBB375_3
; %bb.1:
	s_lshl_b64 s[4:5], s[30:31], 2
	s_delay_alu instid0(SALU_CYCLE_1) | instskip(SKIP_4) | instid1(SALU_CYCLE_1)
	s_add_u32 s4, s2, s4
	s_addc_u32 s5, s3, s5
	s_load_b64 s[4:5], s[4:5], 0x0
	s_waitcnt lgkmcnt(0)
	s_sub_i32 s4, s5, s4
	s_cmp_eq_u32 s4, 1
	s_cselect_b32 s4, -1, 0
	s_delay_alu instid0(SALU_CYCLE_1)
	s_and_not1_b32 vcc_lo, exec_lo, s4
	s_cbranch_vccz .LBB375_4
.LBB375_2:
	s_endpgm
.LBB375_3:
.LBB375_4:
	s_load_b64 s[8:9], s[0:1], 0x28
	s_lshl_b64 s[4:5], s[30:31], 2
	s_waitcnt lgkmcnt(0)
	s_add_u32 s8, s8, s4
	s_addc_u32 s9, s9, s5
	s_lshl_b32 s12, s14, 8
	s_load_b32 s17, s[8:9], 0x0
	s_waitcnt lgkmcnt(0)
	s_cmp_ge_i32 s12, s17
	s_cbranch_scc1 .LBB375_2
; %bb.5:
	s_and_not1_b32 vcc_lo, exec_lo, s6
	s_cbranch_vccnz .LBB375_7
; %bb.6:
	s_add_u32 s2, s2, s4
	s_addc_u32 s3, s3, s5
	s_load_b32 s13, s[2:3], 0x0
	s_branch .LBB375_8
.LBB375_7:
	s_mov_b32 s13, s30
.LBB375_8:
	s_clause 0x2
	s_load_b128 s[8:11], s[0:1], 0x8
	s_load_b64 s[2:3], s[0:1], 0x20
	s_load_b128 s[4:7], s[0:1], 0x48
	v_and_b32_e32 v77, 15, v0
	s_waitcnt lgkmcnt(0)
	s_mov_b32 s7, exec_lo
	s_delay_alu instid0(VALU_DEP_1)
	v_lshlrev_b32_e32 v1, 3, v77
	v_cmpx_lt_u32_e32 0x9f, v0
	s_xor_b32 s7, exec_lo, s7
; %bb.9:
	v_mov_b32_e32 v2, 0
; %bb.10:
	s_or_saveexec_b32 s7, s7
	v_lshrrev_b32_e32 v78, 5, v0
	v_and_b32_e32 v80, 31, v0
	v_and_b32_e32 v76, 1, v0
	v_bfe_u32 v75, v0, 4, 1
	s_mul_i32 s31, s15, 10
	s_xor_b32 exec_lo, exec_lo, s7
	s_cbranch_execz .LBB375_12
; %bb.11:
	s_load_b64 s[18:19], s[0:1], 0x0
	v_lshl_or_b32 v7, v78, 1, v75
	s_mul_hi_i32 s21, s13, s4
	s_mul_i32 s20, s13, s4
	v_lshlrev_b32_e32 v4, 1, v1
	s_lshl_b64 s[20:21], s[20:21], 1
	v_add_lshl_u32 v2, v7, s31, 7
	v_lshlrev_b32_e32 v7, 6, v7
	v_lshlrev_b32_e32 v8, 10, v76
	s_delay_alu instid0(VALU_DEP_3) | instskip(NEXT) | instid1(VALU_DEP_1)
	v_ashrrev_i32_e32 v3, 31, v2
	v_lshlrev_b64 v[2:3], 1, v[2:3]
	s_waitcnt lgkmcnt(0)
	s_add_u32 s4, s18, s20
	s_addc_u32 s13, s19, s21
	s_delay_alu instid0(VALU_DEP_1) | instskip(NEXT) | instid1(VALU_DEP_2)
	v_add_co_u32 v2, vcc_lo, s4, v2
	v_add_co_ci_u32_e32 v3, vcc_lo, s13, v3, vcc_lo
	s_delay_alu instid0(VALU_DEP_2) | instskip(NEXT) | instid1(VALU_DEP_2)
	v_add_co_u32 v2, vcc_lo, v2, v4
	v_add_co_ci_u32_e32 v3, vcc_lo, 0, v3, vcc_lo
	global_load_b128 v[3:6], v[2:3], off
	v_lshlrev_b32_e32 v2, 10, v77
	s_delay_alu instid0(VALU_DEP_1) | instskip(NEXT) | instid1(VALU_DEP_1)
	v_and_b32_e32 v2, 0x3800, v2
	v_or3_b32 v7, v2, v8, v7
	v_mov_b32_e32 v2, 0
	s_waitcnt vmcnt(0)
	ds_store_b128 v7, v[3:6]
.LBB375_12:
	s_or_b32 exec_lo, exec_lo, s7
	v_and_b32_e32 v3, 0xef, v0
	s_add_i32 s4, s17, 31
	s_clause 0x1
	s_load_b32 s7, s[0:1], 0x38
	s_load_b32 s33, s[0:1], 0x98
	s_ashr_i32 s13, s4, 31
	v_add_nc_u32_e32 v3, s12, v3
	s_lshr_b32 s13, s13, 27
	s_load_b32 s18, s[0:1], 0x1c
	s_add_i32 s4, s4, s13
	s_waitcnt lgkmcnt(0)
	v_ashrrev_i32_e32 v4, 31, v3
	v_cmp_gt_i32_e32 vcc_lo, s17, v3
	s_ashr_i32 s4, s4, 5
	s_barrier
	s_add_i32 s4, s4, -1
	v_lshrrev_b32_e32 v5, 27, v4
	v_or_b32_e32 v4, 16, v3
	buffer_gl0_inv
	v_lshlrev_b64 v[73:74], 1, v[1:2]
	v_lshlrev_b32_e32 v79, 6, v77
	v_add_nc_u32_e32 v6, v3, v5
	v_add_nc_u32_e32 v5, v4, v5
	s_mul_i32 s20, s30, s7
	s_delay_alu instid0(SALU_CYCLE_1) | instskip(NEXT) | instid1(VALU_DEP_2)
	s_ashr_i32 s21, s20, 31
	v_ashrrev_i32_e32 v6, 5, v6
	s_delay_alu instid0(VALU_DEP_2) | instskip(SKIP_1) | instid1(SALU_CYCLE_1)
	v_ashrrev_i32_e32 v5, 5, v5
	s_lshl_b64 s[20:21], s[20:21], 2
	s_add_u32 s13, s2, s20
	s_delay_alu instid0(VALU_DEP_2) | instskip(SKIP_3) | instid1(SALU_CYCLE_1)
	v_cndmask_b32_e32 v3, s4, v6, vcc_lo
	v_cmp_gt_i32_e32 vcc_lo, s17, v4
	s_addc_u32 s16, s3, s21
	s_mul_i32 s2, s15, s6
	s_ashr_i32 s3, s2, 31
	v_cndmask_b32_e32 v5, s4, v5, vcc_lo
	v_ashrrev_i32_e32 v4, 31, v3
	s_lshl_b64 s[2:3], s[2:3], 1
	s_delay_alu instid0(SALU_CYCLE_1) | instskip(NEXT) | instid1(VALU_DEP_2)
	s_add_u32 s15, s8, s2
	v_ashrrev_i32_e32 v6, 31, v5
	s_delay_alu instid0(VALU_DEP_2) | instskip(SKIP_2) | instid1(VALU_DEP_2)
	v_lshlrev_b64 v[3:4], 2, v[3:4]
	s_addc_u32 s19, s9, s3
	s_lshl_b32 s6, s14, 3
	v_lshlrev_b64 v[5:6], 2, v[5:6]
	s_ashr_i32 s7, s6, 31
	s_delay_alu instid0(VALU_DEP_2) | instskip(SKIP_1) | instid1(VALU_DEP_3)
	v_add_co_u32 v3, vcc_lo, s13, v3
	v_add_co_ci_u32_e32 v4, vcc_lo, s16, v4, vcc_lo
	v_add_co_u32 v5, vcc_lo, s13, v5
	s_delay_alu instid0(VALU_DEP_4)
	v_add_co_ci_u32_e32 v6, vcc_lo, s16, v6, vcc_lo
	s_lshl_b64 s[6:7], s[6:7], 2
	s_clause 0x1
	global_load_b32 v7, v[3:4], off
	global_load_b32 v8, v[5:6], off
	s_add_u32 s6, s13, s6
	s_addc_u32 s7, s16, s7
	s_or_b32 s8, s12, 32
	s_delay_alu instid0(SALU_CYCLE_1) | instskip(SKIP_2) | instid1(SALU_CYCLE_1)
	s_ashr_i32 s9, s8, 5
	s_cmp_lt_i32 s8, s17
	s_cselect_b32 s8, s9, s4
	s_ashr_i32 s9, s8, 31
	s_delay_alu instid0(SALU_CYCLE_1) | instskip(NEXT) | instid1(SALU_CYCLE_1)
	s_lshl_b64 s[8:9], s[8:9], 2
	s_add_u32 s8, s13, s8
	s_addc_u32 s9, s16, s9
	s_or_b32 s20, s12, 64
	s_delay_alu instid0(SALU_CYCLE_1) | instskip(SKIP_2) | instid1(SALU_CYCLE_1)
	s_ashr_i32 s21, s20, 5
	s_cmp_lt_i32 s20, s17
	s_cselect_b32 s20, s21, s4
	s_ashr_i32 s21, s20, 31
	s_delay_alu instid0(SALU_CYCLE_1) | instskip(NEXT) | instid1(SALU_CYCLE_1)
	s_lshl_b64 s[20:21], s[20:21], 2
	s_add_u32 s20, s13, s20
	s_addc_u32 s21, s16, s21
	s_or_b32 s22, s12, 0x60
	s_delay_alu instid0(SALU_CYCLE_1) | instskip(SKIP_2) | instid1(SALU_CYCLE_1)
	s_ashr_i32 s23, s22, 5
	s_cmp_lt_i32 s22, s17
	s_cselect_b32 s22, s23, s4
	s_ashr_i32 s23, s22, 31
	s_delay_alu instid0(SALU_CYCLE_1) | instskip(NEXT) | instid1(SALU_CYCLE_1)
	s_lshl_b64 s[22:23], s[22:23], 2
	s_add_u32 s22, s13, s22
	s_addc_u32 s23, s16, s23
	s_or_b32 s24, s12, 0x80
	s_delay_alu instid0(SALU_CYCLE_1) | instskip(SKIP_2) | instid1(SALU_CYCLE_1)
	s_ashr_i32 s25, s24, 5
	s_cmp_lt_i32 s24, s17
	s_cselect_b32 s24, s25, s4
	s_ashr_i32 s25, s24, 31
	s_delay_alu instid0(SALU_CYCLE_1) | instskip(NEXT) | instid1(SALU_CYCLE_1)
	s_lshl_b64 s[24:25], s[24:25], 2
	s_add_u32 s24, s13, s24
	s_addc_u32 s25, s16, s25
	s_or_b32 s26, s12, 0xa0
	s_delay_alu instid0(SALU_CYCLE_1) | instskip(SKIP_2) | instid1(SALU_CYCLE_1)
	s_ashr_i32 s27, s26, 5
	s_cmp_lt_i32 s26, s17
	s_cselect_b32 s26, s27, s4
	s_ashr_i32 s27, s26, 31
	s_delay_alu instid0(SALU_CYCLE_1) | instskip(NEXT) | instid1(SALU_CYCLE_1)
	s_lshl_b64 s[26:27], s[26:27], 2
	s_add_u32 s26, s13, s26
	s_addc_u32 s27, s16, s27
	s_clause 0x5
	s_load_b32 s28, s[6:7], 0x0
	s_load_b32 s29, s[8:9], 0x0
	;; [unrolled: 1-line block ×6, first 2 shown]
	s_mov_b32 s20, 0
	s_or_b32 s6, s12, 0xc0
	s_mov_b32 s21, s20
	s_mov_b32 s22, s20
	;; [unrolled: 1-line block ×7, first 2 shown]
	s_ashr_i32 s7, s6, 5
	v_mov_b32_e32 v128, s27
	s_cmp_lt_i32 s6, s17
	v_mov_b32_e32 v127, s26
	s_cselect_b32 s6, s7, s4
	v_mov_b32_e32 v126, s25
	s_ashr_i32 s7, s6, 31
	v_mov_b32_e32 v125, s24
	s_lshl_b64 s[6:7], s[6:7], 2
	v_mov_b32_e32 v124, s23
	s_add_u32 s6, s13, s6
	s_addc_u32 s7, s16, s7
	v_mov_b32_e32 v123, s22
	v_mov_b32_e32 v121, s20
	s_waitcnt lgkmcnt(0)
	s_mul_hi_i32 s9, s28, s5
	s_mul_i32 s8, s28, s5
	v_mov_b32_e32 v122, s21
	s_mul_hi_i32 s21, s29, s5
	s_mul_i32 s20, s29, s5
	s_mul_hi_i32 s25, s34, s5
	s_mul_i32 s24, s34, s5
	;; [unrolled: 2-line block ×4, first 2 shown]
	s_waitcnt vmcnt(1)
	v_mad_i64_i32 v[3:4], null, v7, s5, 0
	s_waitcnt vmcnt(0)
	v_mad_i64_i32 v[5:6], null, v8, s5, 0
	s_delay_alu instid0(VALU_DEP_2) | instskip(NEXT) | instid1(VALU_DEP_2)
	v_lshlrev_b64 v[3:4], 1, v[3:4]
	v_lshlrev_b64 v[1:2], 1, v[5:6]
	s_delay_alu instid0(VALU_DEP_2) | instskip(NEXT) | instid1(VALU_DEP_3)
	v_add_co_u32 v3, vcc_lo, s15, v3
	v_add_co_ci_u32_e32 v4, vcc_lo, s19, v4, vcc_lo
	s_delay_alu instid0(VALU_DEP_3) | instskip(NEXT) | instid1(VALU_DEP_4)
	v_add_co_u32 v1, vcc_lo, s15, v1
	v_add_co_ci_u32_e32 v2, vcc_lo, s19, v2, vcc_lo
	s_delay_alu instid0(VALU_DEP_4) | instskip(NEXT) | instid1(VALU_DEP_4)
	v_add_co_u32 v65, vcc_lo, v3, v73
	v_add_co_ci_u32_e32 v66, vcc_lo, v4, v74, vcc_lo
	s_delay_alu instid0(VALU_DEP_4) | instskip(NEXT) | instid1(VALU_DEP_4)
	v_add_co_u32 v67, vcc_lo, v1, v73
	v_add_co_ci_u32_e32 v68, vcc_lo, v2, v74, vcc_lo
	s_clause 0xf
	global_load_b128 v[1:4], v[65:66], off
	global_load_b128 v[5:8], v[65:66], off offset:512
	global_load_b128 v[9:12], v[67:68], off offset:256
	;; [unrolled: 1-line block ×15, first 2 shown]
	v_add_co_u32 v157, vcc_lo, 0x1000, v65
	v_add_co_ci_u32_e32 v158, vcc_lo, 0, v66, vcc_lo
	v_add_co_u32 v165, vcc_lo, 0x1000, v67
	v_add_co_ci_u32_e32 v166, vcc_lo, 0, v68, vcc_lo
	s_clause 0x7
	global_load_b128 v[81:84], v[157:158], off
	global_load_b128 v[85:88], v[157:158], off offset:512
	global_load_b128 v[89:92], v[165:166], off offset:256
	;; [unrolled: 1-line block ×7, first 2 shown]
	v_add_nc_u32_e32 v65, -10, v77
	v_cmp_gt_u32_e32 vcc_lo, 10, v77
	s_or_b32 s15, s12, 0xe0
	s_delay_alu instid0(SALU_CYCLE_1) | instskip(SKIP_3) | instid1(SALU_CYCLE_1)
	s_ashr_i32 s19, s15, 5
	s_cmp_lt_i32 s15, s17
	v_cndmask_b32_e32 v65, v65, v77, vcc_lo
	s_cselect_b32 s22, s19, s4
	s_ashr_i32 s23, s22, 31
	s_delay_alu instid0(VALU_DEP_1)
	v_lshlrev_b32_e32 v169, 6, v65
	ds_load_b128 v[65:68], v169
	ds_load_b128 v[69:72], v169 offset:1024
	s_clause 0x1
	global_load_b128 v[113:116], v[157:158], off offset:2048
	global_load_b128 v[117:120], v[157:158], off offset:2560
	ds_load_b128 v[129:132], v169 offset:2048
	ds_load_b128 v[133:136], v169 offset:3072
	s_clause 0x5
	global_load_b128 v[145:148], v[165:166], off offset:2304
	global_load_b128 v[149:152], v[165:166], off offset:2816
	;; [unrolled: 1-line block ×6, first 2 shown]
	s_lshl_b64 s[22:23], s[22:23], 2
	s_delay_alu instid0(SALU_CYCLE_1) | instskip(SKIP_2) | instid1(SALU_CYCLE_1)
	s_add_u32 s22, s13, s22
	s_addc_u32 s23, s16, s23
	s_add_i32 s15, s12, 0x100
	s_ashr_i32 s19, s15, 5
	s_cmp_lt_i32 s15, s17
	s_cselect_b32 s28, s19, s4
	s_delay_alu instid0(SALU_CYCLE_1) | instskip(NEXT) | instid1(SALU_CYCLE_1)
	s_ashr_i32 s29, s28, 31
	s_lshl_b64 s[28:29], s[28:29], 2
	s_delay_alu instid0(SALU_CYCLE_1)
	s_add_u32 s28, s13, s28
	s_addc_u32 s29, s16, s29
	s_add_u32 s4, s10, s2
	s_addc_u32 s19, s11, s3
	s_lshl_b64 s[2:3], s[8:9], 1
	s_lshl_b64 s[8:9], s[20:21], 1
	;; [unrolled: 1-line block ×4, first 2 shown]
	s_waitcnt vmcnt(30) lgkmcnt(2)
	v_wmma_f32_16x16x16_f16 v[137:144], v[1:8], v[65:72], v[121:128]
	ds_load_b128 v[1:4], v169 offset:4096
	ds_load_b128 v[5:8], v169 offset:5120
	s_waitcnt vmcnt(28)
	v_wmma_f32_16x16x16_f16 v[121:128], v[9:16], v[65:72], v[121:128]
	ds_load_b128 v[9:12], v169 offset:6144
	ds_load_b128 v[13:16], v169 offset:7168
	s_waitcnt vmcnt(26) lgkmcnt(4)
	v_wmma_f32_16x16x16_f16 v[137:144], v[17:24], v[129:136], v[137:144]
	ds_load_b128 v[17:20], v169 offset:8192
	ds_load_b128 v[21:24], v169 offset:9216
	s_waitcnt vmcnt(24)
	v_wmma_f32_16x16x16_f16 v[121:128], v[25:32], v[129:136], v[121:128]
	v_lshl_or_b32 v25, v78, 10, v79
	ds_load_b128 v[129:132], v169 offset:10240
	ds_load_b128 v[133:136], v169 offset:11264
	s_clause 0x2
	s_load_b32 s15, s[6:7], 0x0
	s_load_b32 s13, s[22:23], 0x0
	;; [unrolled: 1-line block ×3, first 2 shown]
	s_mul_hi_i32 s7, s36, s5
	v_add_co_u32 v170, s4, s4, v25
	s_delay_alu instid0(VALU_DEP_1)
	v_add_co_ci_u32_e64 v171, null, s19, 0, s4
	s_mul_i32 s6, s36, s5
	s_lshl_b64 s[22:23], s[34:35], 1
	s_lshl_b64 s[6:7], s[6:7], 1
	s_waitcnt vmcnt(22) lgkmcnt(0)
	v_wmma_f32_16x16x16_f16 v[137:144], v[33:40], v[1:8], v[137:144]
	s_waitcnt vmcnt(20)
	v_wmma_f32_16x16x16_f16 v[121:128], v[41:48], v[1:8], v[121:128]
	v_add_co_u32 v1, vcc_lo, v170, s2
	v_add_co_ci_u32_e32 v2, vcc_lo, s3, v171, vcc_lo
	v_add_co_u32 v3, vcc_lo, v170, s8
	v_add_co_ci_u32_e32 v4, vcc_lo, s9, v171, vcc_lo
	;; [unrolled: 2-line block ×4, first 2 shown]
	v_add_co_u32 v25, vcc_lo, v170, s6
	s_mul_hi_i32 s25, s15, s5
	s_mul_i32 s24, s15, s5
	v_add_co_ci_u32_e32 v26, vcc_lo, s7, v171, vcc_lo
	v_add_co_u32 v27, vcc_lo, v170, s22
	s_lshl_b64 s[24:25], s[24:25], 1
	s_waitcnt vmcnt(18)
	v_wmma_f32_16x16x16_f16 v[137:144], v[49:56], v[9:16], v[137:144]
	s_waitcnt vmcnt(16)
	v_wmma_f32_16x16x16_f16 v[121:128], v[57:64], v[9:16], v[121:128]
	v_add_co_ci_u32_e32 v28, vcc_lo, s23, v171, vcc_lo
	s_mul_hi_i32 s3, s13, s5
	s_mul_i32 s2, s13, s5
	v_add_co_u32 v29, vcc_lo, v170, s24
	s_lshl_b64 s[2:3], s[2:3], 1
	v_add_co_ci_u32_e32 v30, vcc_lo, s25, v171, vcc_lo
	s_waitcnt vmcnt(14)
	v_wmma_f32_16x16x16_f16 v[137:144], v[81:88], v[17:24], v[137:144]
	s_waitcnt vmcnt(12)
	v_wmma_f32_16x16x16_f16 v[121:128], v[89:96], v[17:24], v[121:128]
	v_add_co_u32 v17, vcc_lo, v170, s2
	v_add_co_ci_u32_e32 v18, vcc_lo, s3, v171, vcc_lo
	s_mul_hi_i32 s3, s16, s5
	s_mul_i32 s2, s16, s5
	s_clause 0x5
	global_load_b128 v[65:68], v[1:2], off
	global_load_b128 v[69:72], v[1:2], off offset:16
	global_load_b128 v[57:60], v[3:4], off
	global_load_b128 v[61:64], v[3:4], off offset:16
	;; [unrolled: 2-line block ×3, first 2 shown]
	s_lshl_b64 s[2:3], s[2:3], 1
	s_clause 0x1
	global_load_b128 v[41:44], v[7:8], off
	global_load_b128 v[45:48], v[7:8], off offset:16
	v_add_co_u32 v21, vcc_lo, v170, s2
	v_add_co_ci_u32_e32 v22, vcc_lo, s3, v171, vcc_lo
	s_clause 0x9
	global_load_b128 v[9:12], v[25:26], off
	global_load_b128 v[13:16], v[25:26], off offset:16
	global_load_b128 v[1:4], v[27:28], off
	global_load_b128 v[5:8], v[27:28], off offset:16
	;; [unrolled: 2-line block ×5, first 2 shown]
	ds_load_b128 v[81:84], v169 offset:12288
	ds_load_b128 v[85:88], v169 offset:13312
	v_and_b32_e32 v89, 0xe0, v0
	s_waitcnt vmcnt(28)
	v_wmma_f32_16x16x16_f16 v[137:144], v[97:104], v[129:136], v[137:144]
	v_mbcnt_lo_u32_b32 v97, -1, 0
	s_waitcnt vmcnt(26)
	v_wmma_f32_16x16x16_f16 v[121:128], v[105:112], v[129:136], v[121:128]
	v_add_nc_u32_e32 v98, s12, v89
	ds_load_b128 v[89:92], v169 offset:14336
	ds_load_b128 v[93:96], v169 offset:15360
	v_xor_b32_e32 v99, 16, v97
	s_waitcnt vmcnt(0) lgkmcnt(0)
	s_barrier
	v_or_b32_e32 v98, v98, v75
	buffer_gl0_inv
	v_cmp_gt_i32_e32 vcc_lo, 32, v99
	v_or_b32_e32 v100, 4, v98
	v_or_b32_e32 v101, 22, v98
	;; [unrolled: 1-line block ×4, first 2 shown]
	v_wmma_f32_16x16x16_f16 v[137:144], v[113:120], v[81:88], v[137:144]
	v_wmma_f32_16x16x16_f16 v[121:128], v[145:152], v[81:88], v[121:128]
	v_or_b32_e32 v81, 6, v98
	v_or_b32_e32 v82, 8, v98
	v_or_b32_e32 v83, 10, v98
	v_cmp_gt_i32_e64 s3, s17, v100
	v_or_b32_e32 v84, 12, v98
	v_wmma_f32_16x16x16_f16 v[137:144], v[153:160], v[89:96], v[137:144]
	v_wmma_f32_16x16x16_f16 v[121:128], v[161:168], v[89:96], v[121:128]
	v_cndmask_b32_e32 v97, v97, v99, vcc_lo
	v_or_b32_e32 v99, 2, v98
	v_cmp_gt_i32_e32 vcc_lo, s17, v98
	v_dual_mul_f32 v95, s18, v138 :: v_dual_mul_f32 v96, s18, v137
	v_mul_f32_e32 v93, s18, v140
	s_delay_alu instid0(VALU_DEP_4)
	v_cmp_gt_i32_e64 s2, s17, v99
	v_mul_f32_e32 v94, s18, v139
	v_mul_f32_e32 v110, s18, v124
	v_cndmask_b32_e32 v96, 0xff7fffff, v96, vcc_lo
	v_cmp_gt_i32_e64 s4, s17, v81
	v_cndmask_b32_e64 v95, 0xff7fffff, v95, s2
	v_or_b32_e32 v85, 14, v98
	v_dual_mul_f32 v91, s18, v142 :: v_dual_mul_f32 v92, s18, v141
	v_cndmask_b32_e64 v94, 0xff7fffff, v94, s3
	v_cndmask_b32_e64 v81, 0xff7fffff, v93, s4
	v_max3_f32 v93, v96, 0xff7fffff, v95
	v_cmp_gt_i32_e64 s5, s17, v82
	v_cmp_gt_i32_e64 s6, s17, v83
	v_or_b32_e32 v86, 16, v98
	v_or_b32_e32 v87, 18, v98
	v_dual_mul_f32 v89, s18, v144 :: v_dual_mul_f32 v112, s18, v122
	v_mul_f32_e32 v90, s18, v143
	v_cndmask_b32_e64 v82, 0xff7fffff, v92, s5
	v_cndmask_b32_e64 v83, 0xff7fffff, v91, s6
	v_max3_f32 v81, v93, v94, v81
	v_cmp_gt_i32_e64 s7, s17, v84
	v_cmp_gt_i32_e64 s8, s17, v85
	v_or_b32_e32 v88, 20, v98
	v_mul_f32_e32 v113, s18, v121
	v_max3_f32 v81, v81, v82, v83
	v_cndmask_b32_e64 v84, 0xff7fffff, v90, s7
	v_cndmask_b32_e64 v85, 0xff7fffff, v89, s8
	v_cmp_gt_i32_e64 s9, s17, v86
	v_cmp_gt_i32_e64 s10, s17, v87
	v_mul_f32_e32 v111, s18, v123
	v_cmp_gt_i32_e64 s11, s17, v88
	v_max3_f32 v81, v81, v84, v85
	v_cndmask_b32_e64 v82, 0xff7fffff, v113, s9
	v_cndmask_b32_e64 v83, 0xff7fffff, v112, s10
	v_cmp_gt_i32_e64 s12, s17, v101
	v_or_b32_e32 v104, 28, v98
	v_or_b32_e32 v105, 30, v98
	v_dual_mul_f32 v108, s18, v126 :: v_dual_mul_f32 v109, s18, v125
	v_cndmask_b32_e64 v84, 0xff7fffff, v111, s11
	v_cndmask_b32_e64 v85, 0xff7fffff, v110, s12
	v_max3_f32 v81, v81, v82, v83
	v_cmp_gt_i32_e64 s13, s17, v102
	v_cmp_gt_i32_e64 s15, s17, v103
	v_dual_mul_f32 v106, s18, v128 :: v_dual_mul_f32 v107, s18, v127
	s_delay_alu instid0(VALU_DEP_4) | instskip(NEXT) | instid1(VALU_DEP_4)
	v_max3_f32 v81, v81, v84, v85
	v_cndmask_b32_e64 v82, 0xff7fffff, v109, s13
	s_delay_alu instid0(VALU_DEP_4) | instskip(SKIP_2) | instid1(VALU_DEP_3)
	v_cndmask_b32_e64 v83, 0xff7fffff, v108, s15
	v_cmp_gt_i32_e64 s16, s17, v104
	v_cmp_gt_i32_e64 s17, s17, v105
	v_max3_f32 v81, v81, v82, v83
	s_delay_alu instid0(VALU_DEP_3) | instskip(NEXT) | instid1(VALU_DEP_3)
	v_cndmask_b32_e64 v84, 0xff7fffff, v107, s16
	v_cndmask_b32_e64 v85, 0xff7fffff, v106, s17
	v_lshlrev_b32_e32 v83, 2, v97
	s_delay_alu instid0(VALU_DEP_2) | instskip(SKIP_3) | instid1(VALU_DEP_1)
	v_max3_f32 v81, v81, v84, v85
	ds_bpermute_b32 v82, v83, v81
	s_waitcnt lgkmcnt(0)
	v_max_f32_e32 v82, v82, v82
	v_max_f32_e32 v81, v81, v82
	s_delay_alu instid0(VALU_DEP_1)
	v_fma_f32 v82, s18, v137, -v81
	v_fma_f32 v84, s18, v138, -v81
	;; [unrolled: 1-line block ×5, first 2 shown]
	v_mul_f32_e32 v82, 0x3fb8aa3b, v82
	s_delay_alu instid0(VALU_DEP_4) | instskip(NEXT) | instid1(VALU_DEP_3)
	v_dual_mul_f32 v84, 0x3fb8aa3b, v84 :: v_dual_mul_f32 v85, 0x3fb8aa3b, v85
	v_dual_mul_f32 v86, 0x3fb8aa3b, v86 :: v_dual_mul_f32 v89, 0x3fb8aa3b, v87
	s_delay_alu instid0(VALU_DEP_3) | instskip(NEXT) | instid1(VALU_DEP_2)
	v_exp_f32_e32 v82, v82
	v_exp_f32_e32 v84, v84
	s_delay_alu instid0(VALU_DEP_2) | instskip(NEXT) | instid1(VALU_DEP_1)
	v_exp_f32_e32 v85, v85
	v_exp_f32_e32 v86, v86
	;; [unrolled: 1-line block ×3, first 2 shown]
	v_cndmask_b32_e32 v88, 0, v82, vcc_lo
	v_cndmask_b32_e64 v87, 0, v84, s2
	s_delay_alu instid0(TRANS32_DEP_3)
	v_cndmask_b32_e64 v90, 0, v85, s3
	s_waitcnt_depctr 0xfff
	v_cndmask_b32_e64 v89, 0, v86, s4
	v_cndmask_b32_e64 v92, 0, v92, s5
	v_add_f32_e32 v84, 0, v88
	s_mov_b32 s2, exec_lo
	s_delay_alu instid0(VALU_DEP_1) | instskip(NEXT) | instid1(VALU_DEP_1)
	v_add_f32_e32 v84, v84, v87
	v_add_f32_e32 v84, v84, v90
	s_delay_alu instid0(VALU_DEP_1)
	v_add_f32_e32 v84, v84, v89
	v_fma_f32 v82, s18, v142, -v81
	v_fma_f32 v91, s18, v143, -v81
	;; [unrolled: 1-line block ×5, first 2 shown]
	s_delay_alu instid0(VALU_DEP_4) | instskip(SKIP_1) | instid1(VALU_DEP_4)
	v_dual_mul_f32 v82, 0x3fb8aa3b, v82 :: v_dual_mul_f32 v91, 0x3fb8aa3b, v91
	v_fma_f32 v96, s18, v124, -v81
	v_mul_f32_e32 v86, 0x3fb8aa3b, v86
	s_delay_alu instid0(VALU_DEP_4) | instskip(NEXT) | instid1(VALU_DEP_4)
	v_mul_f32_e32 v95, 0x3fb8aa3b, v94
	v_exp_f32_e32 v82, v82
	v_exp_f32_e32 v93, v91
	v_mul_f32_e32 v97, 0x3fb8aa3b, v96
	v_exp_f32_e32 v86, v86
	v_fma_f32 v99, s18, v127, -v81
	s_delay_alu instid0(VALU_DEP_2) | instskip(SKIP_2) | instid1(TRANS32_DEP_3)
	v_exp_f32_e32 v97, v97
	v_cndmask_b32_e64 v91, 0, v82, s6
	v_dual_add_f32 v82, v84, v92 :: v_dual_mul_f32 v85, 0x3fb8aa3b, v85
	v_cndmask_b32_e64 v94, 0, v93, s7
	v_fma_f32 v84, s18, v123, -v81
	s_delay_alu instid0(TRANS32_DEP_2) | instskip(NEXT) | instid1(VALU_DEP_4)
	v_cndmask_b32_e64 v96, 0, v86, s9
	v_add_f32_e32 v82, v82, v91
	v_exp_f32_e32 v85, v85
	v_fma_f32 v86, s18, v126, -v81
	v_mul_f32_e32 v84, 0x3fb8aa3b, v84
	v_cndmask_b32_e64 v97, 0, v97, s12
	v_add_f32_e32 v82, v82, v94
	s_delay_alu instid0(VALU_DEP_3) | instskip(SKIP_3) | instid1(VALU_DEP_2)
	v_exp_f32_e32 v84, v84
	s_waitcnt_depctr 0xfff
	v_cndmask_b32_e64 v93, 0, v85, s8
	v_fma_f32 v85, s18, v125, -v81
	v_add_f32_e32 v82, v82, v93
	v_exp_f32_e32 v95, v95
	s_delay_alu instid0(VALU_DEP_2)
	v_mul_f32_e32 v85, 0x3fb8aa3b, v85
	v_cndmask_b32_e64 v98, 0, v84, s11
	v_mul_f32_e32 v84, 0x3fb8aa3b, v99
	v_add_f32_e32 v82, v82, v96
	v_fma_f32 v99, s18, v128, -v81
	v_exp_f32_e32 v85, v85
	v_mul_f32_e32 v86, 0x3fb8aa3b, v86
	v_exp_f32_e32 v84, v84
	s_delay_alu instid0(TRANS32_DEP_3) | instskip(NEXT) | instid1(VALU_DEP_1)
	v_cndmask_b32_e64 v95, 0, v95, s10
	v_add_f32_e32 v82, v82, v95
	s_waitcnt_depctr 0xfff
	v_cndmask_b32_e64 v100, 0, v85, s13
	v_mul_f32_e32 v85, 0x3fb8aa3b, v99
	v_exp_f32_e32 v86, v86
	v_cndmask_b32_e64 v102, 0, v84, s16
	v_add_f32_e32 v82, v82, v98
	s_delay_alu instid0(VALU_DEP_3) | instskip(NEXT) | instid1(VALU_DEP_1)
	v_exp_f32_e32 v85, v85
	v_add_f32_e32 v82, v82, v97
	s_waitcnt_depctr 0xfff
	v_cndmask_b32_e64 v99, 0, v86, s15
	v_add_f32_e32 v82, v82, v100
	v_cndmask_b32_e64 v101, 0, v85, s17
	s_delay_alu instid0(VALU_DEP_2) | instskip(NEXT) | instid1(VALU_DEP_1)
	v_add_f32_e32 v82, v82, v99
	v_add_f32_e32 v82, v82, v102
	s_delay_alu instid0(VALU_DEP_1)
	v_add_f32_e32 v82, v82, v101
	ds_bpermute_b32 v83, v83, v82
	v_cmpx_gt_u32_e32 16, v80
	s_cbranch_execz .LBB375_14
; %bb.13:
	v_mul_u32_u24_e32 v80, 0x44, v78
	s_waitcnt lgkmcnt(0)
	v_add_f32_e32 v82, v82, v83
	s_delay_alu instid0(VALU_DEP_2) | instskip(NEXT) | instid1(VALU_DEP_1)
	v_lshl_add_u32 v80, v77, 2, v80
	v_add_nc_u32_e32 v80, 0x4000, v80
	ds_store_2addr_b32 v80, v81, v82 offset1:136
.LBB375_14:
	s_or_b32 exec_lo, exec_lo, s2
	v_lshlrev_b32_e32 v80, 2, v77
	s_load_b32 s34, s[0:1], 0x94
	s_waitcnt lgkmcnt(0)
	s_barrier
	buffer_gl0_inv
	v_add_nc_u32_e32 v84, 0x4000, v80
	v_cmp_eq_u32_e32 vcc_lo, 1, v78
	v_cmp_eq_u32_e64 s2, 2, v78
	v_cmp_eq_u32_e64 s3, 3, v78
	;; [unrolled: 1-line block ×3, first 2 shown]
	ds_load_2addr_b32 v[80:81], v84 offset1:17
	ds_load_2addr_b32 v[82:83], v84 offset0:34 offset1:51
	ds_load_2addr_b32 v[103:104], v84 offset0:68 offset1:85
	ds_load_2addr_b32 v[105:106], v84 offset0:102 offset1:119
	v_cmp_eq_u32_e64 s5, 7, v78
	s_waitcnt lgkmcnt(3)
	v_max3_f32 v85, v80, 0xff7fffff, v81
	s_waitcnt lgkmcnt(2)
	s_delay_alu instid0(VALU_DEP_1) | instskip(SKIP_1) | instid1(VALU_DEP_1)
	v_max3_f32 v85, v85, v82, v83
	s_waitcnt lgkmcnt(1)
	v_max3_f32 v85, v85, v103, v104
	s_waitcnt lgkmcnt(0)
	s_delay_alu instid0(VALU_DEP_1) | instskip(NEXT) | instid1(VALU_DEP_1)
	v_max3_f32 v85, v85, v105, v106
	v_sub_f32_e32 v103, v103, v85
	ds_load_2addr_b32 v[107:108], v84 offset0:136 offset1:153
	v_sub_f32_e32 v80, v80, v85
	v_dual_sub_f32 v110, v83, v85 :: v_dual_mul_f32 v113, 0x3fb8aa3b, v103
	s_delay_alu instid0(VALU_DEP_2) | instskip(SKIP_3) | instid1(VALU_DEP_1)
	v_dual_sub_f32 v86, v81, v85 :: v_dual_mul_f32 v109, 0x3fb8aa3b, v80
	ds_load_2addr_b32 v[80:81], v84 offset0:170 offset1:187
	v_mul_f32_e32 v86, 0x3fb8aa3b, v86
	v_exp_f32_e32 v109, v109
	v_exp_f32_e32 v112, v86
	v_mul_f32_e32 v110, 0x3fb8aa3b, v110
	s_waitcnt lgkmcnt(1)
	s_waitcnt_depctr 0xfff
	v_fma_f32 v86, v109, v107, 0
	v_sub_f32_e32 v107, v104, v85
	v_sub_f32_e32 v82, v82, v85
	v_exp_f32_e32 v110, v110
	ds_load_2addr_b32 v[103:104], v84 offset0:238 offset1:255
	v_dual_fmac_f32 v86, v112, v108 :: v_dual_mul_f32 v111, 0x3fb8aa3b, v82
	ds_load_2addr_b32 v[82:83], v84 offset0:204 offset1:221
	v_dual_sub_f32 v84, v105, v85 :: v_dual_mul_f32 v105, 0x3fb8aa3b, v107
	v_exp_f32_e32 v107, v113
	v_exp_f32_e32 v111, v111
	s_waitcnt lgkmcnt(0)
	s_delay_alu instid0(VALU_DEP_1)
	v_mul_f32_e32 v84, 0x3fb8aa3b, v84
	v_exp_f32_e32 v105, v105
	s_barrier
	buffer_gl0_inv
	v_fmac_f32_e32 v86, v111, v80
	v_sub_f32_e32 v80, v106, v85
	v_exp_f32_e32 v106, v84
	s_delay_alu instid0(VALU_DEP_2) | instskip(NEXT) | instid1(VALU_DEP_2)
	v_fmac_f32_e32 v86, v110, v81
	v_mul_f32_e32 v80, 0x3fb8aa3b, v80
	s_delay_alu instid0(VALU_DEP_2) | instskip(NEXT) | instid1(VALU_DEP_2)
	v_dual_cndmask_b32 v81, v109, v112 :: v_dual_fmac_f32 v86, v107, v82
	v_exp_f32_e32 v108, v80
	s_delay_alu instid0(VALU_DEP_1) | instskip(SKIP_2) | instid1(VALU_DEP_1)
	v_fmac_f32_e32 v86, v105, v83
	s_waitcnt_depctr 0xfff
	v_fmac_f32_e32 v86, v106, v103
	v_fmac_f32_e32 v86, v108, v104
	s_delay_alu instid0(VALU_DEP_1) | instskip(NEXT) | instid1(VALU_DEP_1)
	v_add_f32_e32 v103, 0x358637bd, v86
	v_div_scale_f32 v104, null, v103, v103, 1.0
	v_div_scale_f32 v109, vcc_lo, 1.0, v103, 1.0
	s_delay_alu instid0(VALU_DEP_2) | instskip(SKIP_2) | instid1(VALU_DEP_1)
	v_rcp_f32_e32 v113, v104
	s_waitcnt_depctr 0xfff
	v_fma_f32 v80, -v104, v113, 1.0
	v_fmac_f32_e32 v113, v80, v113
	v_cndmask_b32_e64 v80, v81, v111, s2
	v_cmp_eq_u32_e64 s2, 4, v78
	v_lshl_or_b32 v81, v78, 11, v79
	s_delay_alu instid0(VALU_DEP_4) | instskip(NEXT) | instid1(VALU_DEP_4)
	v_mul_f32_e32 v111, v109, v113
	v_cndmask_b32_e64 v82, v80, v110, s3
	v_cmp_eq_u32_e64 s3, 6, v78
	s_delay_alu instid0(VALU_DEP_4) | instskip(SKIP_3) | instid1(VALU_DEP_3)
	v_lshl_or_b32 v78, v75, 4, v81
	v_lshlrev_b32_e32 v80, 2, v75
	v_fma_f32 v83, -v104, v111, v109
	v_cndmask_b32_e64 v84, v82, v107, s2
	v_or_b32_e32 v82, 1, v80
	s_delay_alu instid0(VALU_DEP_3) | instskip(NEXT) | instid1(VALU_DEP_3)
	v_fmac_f32_e32 v111, v83, v113
	v_cndmask_b32_e64 v105, v84, v105, s4
	v_or_b32_e32 v84, 2, v80
	v_or_b32_e32 v83, 3, v80
	v_cmp_eq_u32_e64 s2, 1, v80
	v_fma_f32 v104, -v104, v111, v109
	v_cndmask_b32_e64 v105, v105, v106, s3
	v_cmp_eq_u32_e64 s8, 1, v82
	v_cmp_eq_u32_e64 s9, 1, v84
	;; [unrolled: 1-line block ×3, first 2 shown]
	v_div_fmas_f32 v104, v104, v113, v111
	v_cndmask_b32_e64 v105, v105, v108, s5
	v_cmp_eq_u32_e32 vcc_lo, 2, v80
	v_cmp_eq_u32_e64 s11, 2, v82
	v_cmp_eq_u32_e64 s13, 2, v84
	v_div_fixup_f32 v103, v104, v103, 1.0
	v_cmp_eq_u32_e64 s15, 2, v83
	v_cmp_eq_u32_e64 s17, 3, v83
	v_cmp_eq_u32_e64 s3, 3, v80
	v_cmp_eq_u32_e64 s12, 3, v82
	v_mul_f32_e32 v111, v105, v103
	v_cmp_eq_u32_e64 s16, 3, v84
	v_cmp_eq_u32_e64 s21, 4, v83
	;; [unrolled: 1-line block ×4, first 2 shown]
	v_fma_mixlo_f16 v103, v111, v88, 0
	v_fma_mixlo_f16 v104, v111, v90, 0
	;; [unrolled: 1-line block ×8, first 2 shown]
	v_fma_mixhi_f16 v103, v111, v87, 0
	v_fma_mixhi_f16 v104, v111, v89, 0
	;; [unrolled: 1-line block ×8, first 2 shown]
	ds_store_b128 v78, v[103:106]
	ds_store_b128 v78, v[107:110] offset:1024
	s_waitcnt lgkmcnt(0)
	s_barrier
	buffer_gl0_inv
	ds_load_b128 v[87:90], v81
	ds_load_b128 v[91:94], v81 offset:16
	ds_load_b128 v[95:98], v81 offset:1024
	;; [unrolled: 1-line block ×3, first 2 shown]
	v_cmp_eq_u32_e64 s20, 4, v84
	v_cmp_eq_u32_e64 s23, 5, v83
	;; [unrolled: 1-line block ×13, first 2 shown]
	s_waitcnt lgkmcnt(3)
	v_lshrrev_b32_e32 v103, 16, v87
	s_waitcnt lgkmcnt(2)
	v_lshrrev_b32_e32 v107, 16, v91
	;; [unrolled: 2-line block ×4, first 2 shown]
	v_lshrrev_b32_e32 v104, 16, v88
	v_cndmask_b32_e64 v119, v87, v103, s2
	v_cndmask_b32_e64 v120, v91, v107, s2
	;; [unrolled: 1-line block ×8, first 2 shown]
	v_lshrrev_b32_e32 v108, 16, v92
	v_cndmask_b32_e64 v103, v95, v111, s2
	v_cndmask_b32_e64 v107, v99, v115, s2
	;; [unrolled: 1-line block ×5, first 2 shown]
	v_cndmask_b32_e32 v111, v119, v88, vcc_lo
	v_cndmask_b32_e64 v119, v121, v88, s11
	v_cndmask_b32_e64 v121, v123, v88, s13
	;; [unrolled: 1-line block ×4, first 2 shown]
	v_lshrrev_b32_e32 v112, 16, v96
	v_lshrrev_b32_e32 v116, 16, v100
	v_cndmask_b32_e64 v126, v99, v115, s8
	v_cndmask_b32_e64 v128, v99, v115, s9
	;; [unrolled: 1-line block ×3, first 2 shown]
	v_cndmask_b32_e32 v115, v120, v92, vcc_lo
	v_cndmask_b32_e64 v120, v122, v92, s11
	v_cndmask_b32_e64 v122, v124, v92, s13
	v_cndmask_b32_e32 v91, v103, v96, vcc_lo
	v_cndmask_b32_e32 v92, v107, v100, vcc_lo
	v_cndmask_b32_e64 v103, v125, v96, s11
	v_cndmask_b32_e64 v87, v87, v104, s17
	;; [unrolled: 1-line block ×3, first 2 shown]
	v_lshrrev_b32_e32 v105, 16, v89
	v_lshrrev_b32_e32 v109, 16, v93
	v_cndmask_b32_e64 v107, v127, v96, s13
	v_cndmask_b32_e64 v95, v95, v96, s15
	;; [unrolled: 1-line block ×14, first 2 shown]
	v_lshrrev_b32_e32 v113, 16, v97
	v_cndmask_b32_e64 v99, v99, v89, s4
	v_cndmask_b32_e64 v104, v111, v93, s4
	;; [unrolled: 1-line block ×11, first 2 shown]
	v_lshrrev_b32_e32 v106, 16, v90
	v_lshrrev_b32_e32 v110, 16, v94
	v_cndmask_b32_e64 v93, v99, v105, s5
	v_cndmask_b32_e64 v99, v104, v109, s5
	;; [unrolled: 1-line block ×9, first 2 shown]
	v_lshrrev_b32_e32 v114, 16, v98
	v_cndmask_b32_e64 v89, v89, v113, s5
	v_cndmask_b32_e64 v93, v93, v90, s6
	;; [unrolled: 1-line block ×19, first 2 shown]
	v_perm_b32 v90, v88, v87, 0x5040100
	v_cndmask_b32_e64 v87, v126, v100, s11
	v_cndmask_b32_e64 v105, v89, v114, s7
	v_perm_b32 v89, v103, v99, 0x5040100
	v_perm_b32 v88, v104, v94, 0x5040100
	v_cndmask_b32_e64 v94, v107, v112, s16
	v_cndmask_b32_e64 v95, v95, v112, s17
	;; [unrolled: 1-line block ×5, first 2 shown]
	v_lshrrev_b32_e32 v117, 16, v101
	v_cndmask_b32_e64 v94, v94, v97, s20
	v_cndmask_b32_e64 v95, v95, v97, s21
	;; [unrolled: 1-line block ×11, first 2 shown]
	v_lshrrev_b32_e32 v118, 16, v102
	v_cndmask_b32_e64 v91, v91, v102, s6
	v_cndmask_b32_e64 v94, v94, v98, s25
	;; [unrolled: 1-line block ×12, first 2 shown]
	v_perm_b32 v87, v93, v92, 0x5040100
	v_perm_b32 v94, v95, v94, 0x5040100
	;; [unrolled: 1-line block ×5, first 2 shown]
	s_mul_i32 s6, s33, 10
	s_mov_b32 s2, exec_lo
	ds_store_b128 v78, v[87:90]
	ds_store_b128 v78, v[91:94] offset:1024
	v_cmpx_gt_u32_e32 10, v0
	s_cbranch_execz .LBB375_16
; %bb.15:
	s_mul_i32 s3, s6, s30
	s_load_b128 s[8:11], s[0:1], 0x58
	v_add3_u32 v77, s3, s31, v77
	s_delay_alu instid0(VALU_DEP_1) | instskip(NEXT) | instid1(VALU_DEP_1)
	v_mad_u64_u32 v[87:88], null, v77, s34, s[14:15]
	v_ashrrev_i32_e32 v88, 31, v87
	s_delay_alu instid0(VALU_DEP_1) | instskip(SKIP_1) | instid1(VALU_DEP_1)
	v_lshlrev_b64 v[87:88], 2, v[87:88]
	s_waitcnt lgkmcnt(0)
	v_add_co_u32 v89, vcc_lo, s10, v87
	s_delay_alu instid0(VALU_DEP_2)
	v_add_co_ci_u32_e32 v90, vcc_lo, s11, v88, vcc_lo
	v_add_co_u32 v87, vcc_lo, s8, v87
	v_add_co_ci_u32_e32 v88, vcc_lo, s9, v88, vcc_lo
	global_store_b32 v[89:90], v85, off
	global_store_b32 v[87:88], v86, off
.LBB375_16:
	s_or_b32 exec_lo, exec_lo, s2
	s_waitcnt lgkmcnt(0)
	s_waitcnt_vscnt null, 0x0
	s_barrier
	buffer_gl0_inv
	ds_load_b128 v[93:96], v79
	ds_load_b128 v[97:100], v79 offset:16
	ds_load_b128 v[105:108], v79 offset:1040
	ds_load_b128 v[101:104], v79 offset:1024
	ds_load_b128 v[113:116], v79 offset:2064
	ds_load_b128 v[109:112], v79 offset:2048
	v_cmp_eq_u32_e32 vcc_lo, 1, v84
	v_mov_b32_e32 v85, 0
	ds_load_b128 v[121:124], v79 offset:3088
	ds_load_b128 v[117:120], v79 offset:3072
	;; [unrolled: 1-line block ×4, first 2 shown]
	v_cmp_eq_u32_e64 s2, 1, v80
	v_cmp_eq_u32_e64 s3, 1, v83
	;; [unrolled: 1-line block ×3, first 2 shown]
	v_mov_b32_e32 v86, v85
	v_mov_b32_e32 v87, v85
	;; [unrolled: 1-line block ×7, first 2 shown]
	v_cmp_eq_u32_e64 s5, 2, v80
	s_waitcnt lgkmcnt(8)
	s_delay_alu instid0(VALU_DEP_2)
	v_wmma_f32_16x16x16_f16 v[85:92], v[65:72], v[93:100], v[85:92]
	ds_load_b128 v[69:72], v79 offset:5136
	ds_load_b128 v[65:68], v79 offset:5120
	;; [unrolled: 1-line block ×4, first 2 shown]
	s_waitcnt lgkmcnt(10)
	v_wmma_f32_16x16x16_f16 v[85:92], v[57:64], v[101:108], v[85:92]
	s_waitcnt lgkmcnt(8)
	s_delay_alu instid0(VALU_DEP_1)
	v_wmma_f32_16x16x16_f16 v[85:92], v[57:64], v[109:116], v[85:92]
	ds_load_b128 v[61:64], v79 offset:7184
	ds_load_b128 v[57:60], v79 offset:7168
	;; [unrolled: 1-line block ×4, first 2 shown]
	s_waitcnt lgkmcnt(10)
	v_wmma_f32_16x16x16_f16 v[85:92], v[49:56], v[117:124], v[85:92]
	s_waitcnt lgkmcnt(8)
	s_delay_alu instid0(VALU_DEP_1)
	v_wmma_f32_16x16x16_f16 v[85:92], v[49:56], v[125:132], v[85:92]
	ds_load_b128 v[53:56], v79 offset:9232
	ds_load_b128 v[49:52], v79 offset:9216
	s_waitcnt lgkmcnt(8)
	v_wmma_f32_16x16x16_f16 v[85:92], v[41:48], v[65:72], v[85:92]
	ds_load_b128 v[69:72], v79 offset:10256
	ds_load_b128 v[65:68], v79 offset:10240
	s_waitcnt lgkmcnt(8)
	;; [unrolled: 4-line block ×7, first 2 shown]
	s_barrier
	buffer_gl0_inv
	v_wmma_f32_16x16x16_f16 v[85:92], v[33:40], v[41:48], v[85:92]
	s_delay_alu instid0(VALU_DEP_1) | instskip(NEXT) | instid1(VALU_DEP_1)
	v_wmma_f32_16x16x16_f16 v[85:92], v[33:40], v[57:64], v[85:92]
	v_wmma_f32_16x16x16_f16 v[85:92], v[25:32], v[9:16], v[85:92]
	s_delay_alu instid0(VALU_DEP_1) | instskip(NEXT) | instid1(VALU_DEP_1)
	v_wmma_f32_16x16x16_f16 v[85:92], v[25:32], v[49:56], v[85:92]
	v_wmma_f32_16x16x16_f16 v[85:92], v[17:24], v[1:8], v[85:92]
	s_delay_alu instid0(VALU_DEP_1) | instskip(NEXT) | instid1(VALU_DEP_2)
	v_cvt_f16_f32_e32 v1, v85
	v_cvt_f16_f32_e32 v2, v86
	s_delay_alu instid0(VALU_DEP_3) | instskip(NEXT) | instid1(VALU_DEP_4)
	v_cvt_f16_f32_e32 v3, v87
	v_cvt_f16_f32_e32 v4, v88
	v_cvt_f16_f32_e32 v5, v89
	v_cvt_f16_f32_e32 v6, v90
	v_cvt_f16_f32_e32 v7, v91
	v_cvt_f16_f32_e32 v8, v92
	v_pack_b32_f16 v1, v1, v2
	v_pack_b32_f16 v2, v3, v4
	;; [unrolled: 1-line block ×3, first 2 shown]
	s_delay_alu instid0(VALU_DEP_4)
	v_pack_b32_f16 v4, v7, v8
	ds_store_b128 v78, v[1:4]
	s_waitcnt lgkmcnt(0)
	s_barrier
	buffer_gl0_inv
	ds_load_b128 v[1:4], v81
	ds_load_b128 v[5:8], v81 offset:16
	s_waitcnt lgkmcnt(1)
	v_lshrrev_b32_e32 v9, 16, v1
	s_waitcnt lgkmcnt(0)
	v_lshrrev_b32_e32 v13, 16, v5
	v_lshrrev_b32_e32 v15, 16, v7
	;; [unrolled: 1-line block ×4, first 2 shown]
	v_cndmask_b32_e64 v17, v1, v9, s2
	v_cndmask_b32_e64 v18, v5, v13, s2
	;; [unrolled: 1-line block ×3, first 2 shown]
	v_cmp_eq_u32_e64 s2, 2, v82
	v_cndmask_b32_e64 v20, v5, v13, s4
	v_cndmask_b32_e32 v21, v1, v9, vcc_lo
	v_cndmask_b32_e32 v22, v5, v13, vcc_lo
	v_cndmask_b32_e64 v1, v1, v9, s3
	v_cndmask_b32_e64 v5, v5, v13, s3
	v_cmp_eq_u32_e32 vcc_lo, 2, v84
	v_cmp_eq_u32_e64 s3, 2, v83
	v_cndmask_b32_e64 v9, v17, v2, s5
	v_cndmask_b32_e64 v13, v18, v6, s5
	;; [unrolled: 1-line block ×4, first 2 shown]
	v_cndmask_b32_e32 v19, v21, v2, vcc_lo
	v_cmp_eq_u32_e64 s2, 3, v84
	v_cndmask_b32_e32 v20, v22, v6, vcc_lo
	v_cndmask_b32_e64 v1, v1, v2, s3
	v_cmp_eq_u32_e32 vcc_lo, 3, v83
	v_cmp_eq_u32_e64 s4, 3, v80
	v_cndmask_b32_e64 v2, v5, v6, s3
	v_cmp_eq_u32_e64 s3, 3, v82
	v_lshrrev_b32_e32 v16, 16, v8
	v_cmp_eq_u32_e64 s5, 4, v80
	v_cndmask_b32_e64 v5, v9, v10, s4
	v_cndmask_b32_e64 v6, v13, v14, s4
	;; [unrolled: 1-line block ×3, first 2 shown]
	v_cmp_eq_u32_e64 s4, 4, v82
	v_cndmask_b32_e64 v13, v18, v14, s3
	v_cndmask_b32_e64 v17, v19, v10, s2
	;; [unrolled: 1-line block ×3, first 2 shown]
	v_cndmask_b32_e32 v1, v1, v10, vcc_lo
	v_cndmask_b32_e32 v2, v2, v14, vcc_lo
	v_cmp_eq_u32_e32 vcc_lo, 4, v84
	v_cmp_eq_u32_e64 s3, 4, v83
	v_lshrrev_b32_e32 v11, 16, v3
	v_cndmask_b32_e64 v5, v5, v3, s5
	v_cndmask_b32_e64 v6, v6, v7, s5
	;; [unrolled: 1-line block ×4, first 2 shown]
	v_cndmask_b32_e32 v13, v17, v3, vcc_lo
	v_cmp_eq_u32_e64 s2, 5, v84
	v_cndmask_b32_e32 v14, v18, v7, vcc_lo
	v_cndmask_b32_e64 v1, v1, v3, s3
	v_cmp_eq_u32_e32 vcc_lo, 5, v83
	v_cmp_eq_u32_e64 s4, 5, v80
	v_cndmask_b32_e64 v2, v2, v7, s3
	v_cmp_eq_u32_e64 s3, 5, v82
	v_cmp_eq_u32_e64 s5, 6, v80
	v_cndmask_b32_e32 v1, v1, v11, vcc_lo
	v_cndmask_b32_e64 v3, v5, v11, s4
	v_cndmask_b32_e64 v5, v6, v15, s4
	;; [unrolled: 1-line block ×3, first 2 shown]
	v_cmp_eq_u32_e64 s4, 6, v82
	v_cndmask_b32_e64 v7, v10, v15, s3
	v_cndmask_b32_e64 v9, v13, v11, s2
	;; [unrolled: 1-line block ×3, first 2 shown]
	v_cndmask_b32_e32 v2, v2, v15, vcc_lo
	v_cmp_eq_u32_e32 vcc_lo, 6, v84
	v_cmp_eq_u32_e64 s2, 6, v83
	v_lshrrev_b32_e32 v12, 16, v4
	v_cndmask_b32_e64 v3, v3, v4, s5
	v_cndmask_b32_e64 v5, v5, v8, s5
	;; [unrolled: 1-line block ×4, first 2 shown]
	v_cndmask_b32_e32 v9, v9, v4, vcc_lo
	v_cmp_eq_u32_e64 s3, 7, v84
	v_cndmask_b32_e32 v10, v10, v8, vcc_lo
	v_cndmask_b32_e64 v1, v1, v4, s2
	v_cmp_eq_u32_e32 vcc_lo, 7, v83
	v_cndmask_b32_e64 v2, v2, v8, s2
	v_cmp_eq_u32_e64 s2, 7, v80
	v_cmp_eq_u32_e64 s4, 7, v82
	v_cndmask_b32_e32 v1, v1, v12, vcc_lo
	s_delay_alu instid0(VALU_DEP_4) | instskip(NEXT) | instid1(VALU_DEP_4)
	v_cndmask_b32_e32 v2, v2, v16, vcc_lo
	v_cndmask_b32_e64 v8, v3, v12, s2
	s_delay_alu instid0(VALU_DEP_4)
	v_cndmask_b32_e64 v6, v6, v12, s4
	v_cndmask_b32_e64 v3, v9, v12, s3
	;; [unrolled: 1-line block ×5, first 2 shown]
	v_perm_b32 v4, v2, v1, 0x5040100
	s_mov_b32 s2, exec_lo
	v_perm_b32 v3, v9, v3, 0x5040100
	v_perm_b32 v2, v7, v6, 0x5040100
	;; [unrolled: 1-line block ×3, first 2 shown]
	ds_store_b128 v78, v[1:4]
	s_waitcnt lgkmcnt(0)
	s_barrier
	buffer_gl0_inv
	v_cmpx_gt_u32_e32 32, v0
	s_cbranch_execz .LBB375_2
; %bb.17:
	s_load_b64 s[0:1], s[0:1], 0x68
	s_lshl_b32 s4, s34, 7
	v_or_b32_e32 v2, s31, v75
	s_mul_i32 s2, s4, s30
	v_lshlrev_b32_e32 v0, 10, v0
	s_mul_i32 s2, s2, s6
	v_lshlrev_b32_e32 v1, 4, v76
	s_ashr_i32 s3, s2, 31
	v_mul_lo_u32 v20, v2, s4
	s_lshl_b64 s[2:3], s[2:3], 1
	v_lshlrev_b32_e32 v3, 6, v75
	v_and_b32_e32 v0, 0x3800, v0
	s_delay_alu instid0(VALU_DEP_1) | instskip(NEXT) | instid1(VALU_DEP_4)
	v_or3_b32 v16, v0, v1, v3
	v_ashrrev_i32_e32 v21, 31, v20
	ds_load_b128 v[0:3], v16
	ds_load_b128 v[4:7], v16 offset:128
	s_waitcnt lgkmcnt(0)
	s_add_u32 s2, s0, s2
	s_addc_u32 s3, s1, s3
	s_lshl_b32 s0, s14, 7
	ds_load_b128 v[8:11], v16 offset:256
	ds_load_b128 v[12:15], v16 offset:384
	;; [unrolled: 1-line block ×3, first 2 shown]
	s_ashr_i32 s1, s0, 31
	s_delay_alu instid0(SALU_CYCLE_1) | instskip(NEXT) | instid1(SALU_CYCLE_1)
	s_lshl_b64 s[0:1], s[0:1], 1
	s_add_u32 s0, s2, s0
	s_addc_u32 s1, s3, s1
	s_lshl_b32 s2, s34, 8
	v_add_co_u32 v30, vcc_lo, s0, v73
	v_add_nc_u32_e32 v22, s2, v20
	v_lshlrev_b64 v[20:21], 1, v[20:21]
	v_add_co_ci_u32_e32 v31, vcc_lo, s1, v74, vcc_lo
	s_delay_alu instid0(VALU_DEP_3) | instskip(SKIP_1) | instid1(VALU_DEP_4)
	v_add_nc_u32_e32 v24, s2, v22
	v_ashrrev_i32_e32 v23, 31, v22
	v_add_co_u32 v20, vcc_lo, v30, v20
	s_delay_alu instid0(VALU_DEP_4) | instskip(NEXT) | instid1(VALU_DEP_4)
	v_add_co_ci_u32_e32 v21, vcc_lo, v31, v21, vcc_lo
	v_add_nc_u32_e32 v26, s2, v24
	v_ashrrev_i32_e32 v25, 31, v24
	v_lshlrev_b64 v[22:23], 1, v[22:23]
	s_delay_alu instid0(VALU_DEP_3) | instskip(SKIP_1) | instid1(VALU_DEP_4)
	v_add_nc_u32_e32 v28, s2, v26
	v_ashrrev_i32_e32 v27, 31, v26
	v_lshlrev_b64 v[24:25], 1, v[24:25]
	s_delay_alu instid0(VALU_DEP_4) | instskip(NEXT) | instid1(VALU_DEP_4)
	v_add_co_u32 v22, vcc_lo, v30, v22
	v_ashrrev_i32_e32 v29, 31, v28
	s_delay_alu instid0(VALU_DEP_4) | instskip(SKIP_2) | instid1(VALU_DEP_4)
	v_lshlrev_b64 v[26:27], 1, v[26:27]
	v_add_co_ci_u32_e32 v23, vcc_lo, v31, v23, vcc_lo
	v_add_co_u32 v24, vcc_lo, v30, v24
	v_lshlrev_b64 v[28:29], 1, v[28:29]
	v_add_co_ci_u32_e32 v25, vcc_lo, v31, v25, vcc_lo
	v_add_co_u32 v26, vcc_lo, v30, v26
	v_add_co_ci_u32_e32 v27, vcc_lo, v31, v27, vcc_lo
	s_delay_alu instid0(VALU_DEP_4)
	v_add_co_u32 v28, vcc_lo, v30, v28
	v_add_co_ci_u32_e32 v29, vcc_lo, v31, v29, vcc_lo
	s_clause 0x1
	global_store_b128 v[20:21], v[0:3], off
	global_store_b128 v[22:23], v[4:7], off
	s_waitcnt lgkmcnt(2)
	global_store_b128 v[24:25], v[8:11], off
	s_waitcnt lgkmcnt(1)
	;; [unrolled: 2-line block ×3, first 2 shown]
	global_store_b128 v[28:29], v[16:19], off
	s_nop 0
	s_sendmsg sendmsg(MSG_DEALLOC_VGPRS)
	s_endpgm
	.section	.rodata,"a",@progbits
	.p2align	6, 0x0
	.amdhsa_kernel _Z39paged_attention_ll4mi_QKV_mfma16_kernelIDF16_DF16_LN4vllm18Fp8KVCacheDataTypeE0EDF16_Li32ELi128ELi256ELb0ELi10EL8MFMAType0EEvPKT_PKT0_S8_ifPKiSA_SA_iPKfiiiPfSD_PS3_PT2_iSC_SC_
		.amdhsa_group_segment_fixed_size 17472
		.amdhsa_private_segment_fixed_size 0
		.amdhsa_kernarg_size 400
		.amdhsa_user_sgpr_count 13
		.amdhsa_user_sgpr_dispatch_ptr 0
		.amdhsa_user_sgpr_queue_ptr 0
		.amdhsa_user_sgpr_kernarg_segment_ptr 1
		.amdhsa_user_sgpr_dispatch_id 0
		.amdhsa_user_sgpr_private_segment_size 0
		.amdhsa_wavefront_size32 1
		.amdhsa_uses_dynamic_stack 0
		.amdhsa_enable_private_segment 0
		.amdhsa_system_sgpr_workgroup_id_x 1
		.amdhsa_system_sgpr_workgroup_id_y 1
		.amdhsa_system_sgpr_workgroup_id_z 1
		.amdhsa_system_sgpr_workgroup_info 0
		.amdhsa_system_vgpr_workitem_id 0
		.amdhsa_next_free_vgpr 172
		.amdhsa_next_free_sgpr 38
		.amdhsa_reserve_vcc 1
		.amdhsa_float_round_mode_32 0
		.amdhsa_float_round_mode_16_64 0
		.amdhsa_float_denorm_mode_32 3
		.amdhsa_float_denorm_mode_16_64 3
		.amdhsa_dx10_clamp 1
		.amdhsa_ieee_mode 1
		.amdhsa_fp16_overflow 0
		.amdhsa_workgroup_processor_mode 1
		.amdhsa_memory_ordered 1
		.amdhsa_forward_progress 0
		.amdhsa_shared_vgpr_count 0
		.amdhsa_exception_fp_ieee_invalid_op 0
		.amdhsa_exception_fp_denorm_src 0
		.amdhsa_exception_fp_ieee_div_zero 0
		.amdhsa_exception_fp_ieee_overflow 0
		.amdhsa_exception_fp_ieee_underflow 0
		.amdhsa_exception_fp_ieee_inexact 0
		.amdhsa_exception_int_div_zero 0
	.end_amdhsa_kernel
	.section	.text._Z39paged_attention_ll4mi_QKV_mfma16_kernelIDF16_DF16_LN4vllm18Fp8KVCacheDataTypeE0EDF16_Li32ELi128ELi256ELb0ELi10EL8MFMAType0EEvPKT_PKT0_S8_ifPKiSA_SA_iPKfiiiPfSD_PS3_PT2_iSC_SC_,"axG",@progbits,_Z39paged_attention_ll4mi_QKV_mfma16_kernelIDF16_DF16_LN4vllm18Fp8KVCacheDataTypeE0EDF16_Li32ELi128ELi256ELb0ELi10EL8MFMAType0EEvPKT_PKT0_S8_ifPKiSA_SA_iPKfiiiPfSD_PS3_PT2_iSC_SC_,comdat
.Lfunc_end375:
	.size	_Z39paged_attention_ll4mi_QKV_mfma16_kernelIDF16_DF16_LN4vllm18Fp8KVCacheDataTypeE0EDF16_Li32ELi128ELi256ELb0ELi10EL8MFMAType0EEvPKT_PKT0_S8_ifPKiSA_SA_iPKfiiiPfSD_PS3_PT2_iSC_SC_, .Lfunc_end375-_Z39paged_attention_ll4mi_QKV_mfma16_kernelIDF16_DF16_LN4vllm18Fp8KVCacheDataTypeE0EDF16_Li32ELi128ELi256ELb0ELi10EL8MFMAType0EEvPKT_PKT0_S8_ifPKiSA_SA_iPKfiiiPfSD_PS3_PT2_iSC_SC_
                                        ; -- End function
	.section	.AMDGPU.csdata,"",@progbits
; Kernel info:
; codeLenInByte = 7560
; NumSgprs: 40
; NumVgprs: 172
; ScratchSize: 0
; MemoryBound: 0
; FloatMode: 240
; IeeeMode: 1
; LDSByteSize: 17472 bytes/workgroup (compile time only)
; SGPRBlocks: 4
; VGPRBlocks: 21
; NumSGPRsForWavesPerEU: 40
; NumVGPRsForWavesPerEU: 172
; Occupancy: 8
; WaveLimiterHint : 1
; COMPUTE_PGM_RSRC2:SCRATCH_EN: 0
; COMPUTE_PGM_RSRC2:USER_SGPR: 13
; COMPUTE_PGM_RSRC2:TRAP_HANDLER: 0
; COMPUTE_PGM_RSRC2:TGID_X_EN: 1
; COMPUTE_PGM_RSRC2:TGID_Y_EN: 1
; COMPUTE_PGM_RSRC2:TGID_Z_EN: 1
; COMPUTE_PGM_RSRC2:TIDIG_COMP_CNT: 0
	.section	.text._Z39paged_attention_ll4mi_QKV_mfma16_kernelIDF16_DF16_LN4vllm18Fp8KVCacheDataTypeE0EDF16_Li32ELi128ELi256ELb0ELi11EL8MFMAType0EEvPKT_PKT0_S8_ifPKiSA_SA_iPKfiiiPfSD_PS3_PT2_iSC_SC_,"axG",@progbits,_Z39paged_attention_ll4mi_QKV_mfma16_kernelIDF16_DF16_LN4vllm18Fp8KVCacheDataTypeE0EDF16_Li32ELi128ELi256ELb0ELi11EL8MFMAType0EEvPKT_PKT0_S8_ifPKiSA_SA_iPKfiiiPfSD_PS3_PT2_iSC_SC_,comdat
	.protected	_Z39paged_attention_ll4mi_QKV_mfma16_kernelIDF16_DF16_LN4vllm18Fp8KVCacheDataTypeE0EDF16_Li32ELi128ELi256ELb0ELi11EL8MFMAType0EEvPKT_PKT0_S8_ifPKiSA_SA_iPKfiiiPfSD_PS3_PT2_iSC_SC_ ; -- Begin function _Z39paged_attention_ll4mi_QKV_mfma16_kernelIDF16_DF16_LN4vllm18Fp8KVCacheDataTypeE0EDF16_Li32ELi128ELi256ELb0ELi11EL8MFMAType0EEvPKT_PKT0_S8_ifPKiSA_SA_iPKfiiiPfSD_PS3_PT2_iSC_SC_
	.globl	_Z39paged_attention_ll4mi_QKV_mfma16_kernelIDF16_DF16_LN4vllm18Fp8KVCacheDataTypeE0EDF16_Li32ELi128ELi256ELb0ELi11EL8MFMAType0EEvPKT_PKT0_S8_ifPKiSA_SA_iPKfiiiPfSD_PS3_PT2_iSC_SC_
	.p2align	8
	.type	_Z39paged_attention_ll4mi_QKV_mfma16_kernelIDF16_DF16_LN4vllm18Fp8KVCacheDataTypeE0EDF16_Li32ELi128ELi256ELb0ELi11EL8MFMAType0EEvPKT_PKT0_S8_ifPKiSA_SA_iPKfiiiPfSD_PS3_PT2_iSC_SC_,@function
_Z39paged_attention_ll4mi_QKV_mfma16_kernelIDF16_DF16_LN4vllm18Fp8KVCacheDataTypeE0EDF16_Li32ELi128ELi256ELb0ELi11EL8MFMAType0EEvPKT_PKT0_S8_ifPKiSA_SA_iPKfiiiPfSD_PS3_PT2_iSC_SC_: ; @_Z39paged_attention_ll4mi_QKV_mfma16_kernelIDF16_DF16_LN4vllm18Fp8KVCacheDataTypeE0EDF16_Li32ELi128ELi256ELb0ELi11EL8MFMAType0EEvPKT_PKT0_S8_ifPKiSA_SA_iPKfiiiPfSD_PS3_PT2_iSC_SC_
; %bb.0:
	s_load_b64 s[2:3], s[0:1], 0x30
	s_mov_b32 s34, s13
	s_waitcnt lgkmcnt(0)
	s_cmp_lg_u64 s[2:3], 0
	s_cselect_b32 s6, -1, 0
	s_ashr_i32 s35, s13, 31
	s_cmp_eq_u64 s[2:3], 0
	s_cbranch_scc1 .LBB376_3
; %bb.1:
	s_lshl_b64 s[4:5], s[34:35], 2
	s_delay_alu instid0(SALU_CYCLE_1) | instskip(SKIP_4) | instid1(SALU_CYCLE_1)
	s_add_u32 s4, s2, s4
	s_addc_u32 s5, s3, s5
	s_load_b64 s[4:5], s[4:5], 0x0
	s_waitcnt lgkmcnt(0)
	s_sub_i32 s4, s5, s4
	s_cmp_eq_u32 s4, 1
	s_cselect_b32 s4, -1, 0
	s_delay_alu instid0(SALU_CYCLE_1)
	s_and_not1_b32 vcc_lo, exec_lo, s4
	s_cbranch_vccz .LBB376_4
.LBB376_2:
	s_nop 0
	s_sendmsg sendmsg(MSG_DEALLOC_VGPRS)
	s_endpgm
.LBB376_3:
.LBB376_4:
	s_load_b64 s[8:9], s[0:1], 0x28
	s_lshl_b64 s[4:5], s[34:35], 2
	s_waitcnt lgkmcnt(0)
	s_add_u32 s8, s8, s4
	s_addc_u32 s9, s9, s5
	s_lshl_b32 s12, s14, 8
	s_load_b32 s17, s[8:9], 0x0
	s_waitcnt lgkmcnt(0)
	s_cmp_ge_i32 s12, s17
	s_cbranch_scc1 .LBB376_2
; %bb.5:
	s_and_not1_b32 vcc_lo, exec_lo, s6
	s_cbranch_vccnz .LBB376_7
; %bb.6:
	s_add_u32 s2, s2, s4
	s_addc_u32 s3, s3, s5
	s_load_b32 s13, s[2:3], 0x0
	s_branch .LBB376_8
.LBB376_7:
	s_mov_b32 s13, s34
.LBB376_8:
	s_clause 0x2
	s_load_b128 s[8:11], s[0:1], 0x8
	s_load_b64 s[2:3], s[0:1], 0x20
	s_load_b128 s[4:7], s[0:1], 0x48
	v_lshrrev_b32_e32 v78, 5, v0
	v_bfe_u32 v75, v0, 4, 1
	v_and_b32_e32 v77, 15, v0
	s_waitcnt lgkmcnt(0)
	s_mov_b32 s7, exec_lo
	s_delay_alu instid0(VALU_DEP_2) | instskip(NEXT) | instid1(VALU_DEP_2)
	v_lshl_or_b32 v3, v78, 1, v75
	v_lshlrev_b32_e32 v1, 3, v77
	s_delay_alu instid0(VALU_DEP_2)
	v_cmpx_lt_u32_e32 10, v3
	s_xor_b32 s7, exec_lo, s7
; %bb.9:
	v_mov_b32_e32 v2, 0
                                        ; implicit-def: $vgpr3
; %bb.10:
	s_or_saveexec_b32 s7, s7
	v_and_b32_e32 v80, 31, v0
	v_and_b32_e32 v76, 1, v0
	s_mul_i32 s31, s15, 11
	s_xor_b32 exec_lo, exec_lo, s7
	s_cbranch_execz .LBB376_12
; %bb.11:
	s_load_b64 s[18:19], s[0:1], 0x0
	v_add_lshl_u32 v4, v3, s31, 7
	s_mul_hi_i32 s21, s13, s4
	s_mul_i32 s20, s13, s4
	v_lshlrev_b32_e32 v2, 1, v1
	s_lshl_b64 s[20:21], s[20:21], 1
	v_ashrrev_i32_e32 v5, 31, v4
	v_lshlrev_b32_e32 v3, 6, v3
	v_lshlrev_b32_e32 v8, 10, v76
	s_delay_alu instid0(VALU_DEP_3) | instskip(SKIP_3) | instid1(VALU_DEP_1)
	v_lshlrev_b64 v[4:5], 1, v[4:5]
	s_waitcnt lgkmcnt(0)
	s_add_u32 s4, s18, s20
	s_addc_u32 s13, s19, s21
	v_add_co_u32 v4, vcc_lo, s4, v4
	s_delay_alu instid0(VALU_DEP_2) | instskip(NEXT) | instid1(VALU_DEP_2)
	v_add_co_ci_u32_e32 v5, vcc_lo, s13, v5, vcc_lo
	v_add_co_u32 v4, vcc_lo, v4, v2
	s_delay_alu instid0(VALU_DEP_2) | instskip(SKIP_3) | instid1(VALU_DEP_1)
	v_add_co_ci_u32_e32 v5, vcc_lo, 0, v5, vcc_lo
	v_lshlrev_b32_e32 v2, 10, v77
	global_load_b128 v[4:7], v[4:5], off
	v_and_b32_e32 v2, 0x3800, v2
	v_or3_b32 v3, v2, v8, v3
	v_mov_b32_e32 v2, 0
	s_waitcnt vmcnt(0)
	ds_store_b128 v3, v[4:7]
.LBB376_12:
	s_or_b32 exec_lo, exec_lo, s7
	v_and_b32_e32 v3, 0xef, v0
	s_add_i32 s4, s17, 31
	s_clause 0x1
	s_load_b32 s7, s[0:1], 0x38
	s_load_b32 s33, s[0:1], 0x98
	s_ashr_i32 s13, s4, 31
	v_add_nc_u32_e32 v3, s12, v3
	s_lshr_b32 s13, s13, 27
	s_load_b32 s18, s[0:1], 0x1c
	s_add_i32 s4, s4, s13
	s_waitcnt lgkmcnt(0)
	v_ashrrev_i32_e32 v4, 31, v3
	v_cmp_gt_i32_e32 vcc_lo, s17, v3
	s_ashr_i32 s4, s4, 5
	s_barrier
	s_add_i32 s4, s4, -1
	v_lshrrev_b32_e32 v5, 27, v4
	v_or_b32_e32 v4, 16, v3
	buffer_gl0_inv
	v_lshlrev_b64 v[73:74], 1, v[1:2]
	v_lshlrev_b32_e32 v79, 6, v77
	v_add_nc_u32_e32 v6, v3, v5
	v_add_nc_u32_e32 v5, v4, v5
	s_mul_i32 s20, s34, s7
	s_delay_alu instid0(SALU_CYCLE_1) | instskip(NEXT) | instid1(VALU_DEP_2)
	s_ashr_i32 s21, s20, 31
	v_ashrrev_i32_e32 v6, 5, v6
	s_delay_alu instid0(VALU_DEP_2) | instskip(SKIP_1) | instid1(SALU_CYCLE_1)
	v_ashrrev_i32_e32 v5, 5, v5
	s_lshl_b64 s[20:21], s[20:21], 2
	s_add_u32 s13, s2, s20
	s_delay_alu instid0(VALU_DEP_2) | instskip(SKIP_3) | instid1(SALU_CYCLE_1)
	v_cndmask_b32_e32 v3, s4, v6, vcc_lo
	v_cmp_gt_i32_e32 vcc_lo, s17, v4
	s_addc_u32 s16, s3, s21
	s_mul_i32 s2, s15, s6
	s_ashr_i32 s3, s2, 31
	v_cndmask_b32_e32 v5, s4, v5, vcc_lo
	v_ashrrev_i32_e32 v4, 31, v3
	s_lshl_b64 s[2:3], s[2:3], 1
	s_delay_alu instid0(SALU_CYCLE_1) | instskip(NEXT) | instid1(VALU_DEP_2)
	s_add_u32 s15, s8, s2
	v_ashrrev_i32_e32 v6, 31, v5
	s_delay_alu instid0(VALU_DEP_2) | instskip(SKIP_2) | instid1(VALU_DEP_2)
	v_lshlrev_b64 v[3:4], 2, v[3:4]
	s_addc_u32 s19, s9, s3
	s_lshl_b32 s6, s14, 3
	v_lshlrev_b64 v[5:6], 2, v[5:6]
	s_ashr_i32 s7, s6, 31
	s_delay_alu instid0(VALU_DEP_2) | instskip(SKIP_1) | instid1(VALU_DEP_3)
	v_add_co_u32 v3, vcc_lo, s13, v3
	v_add_co_ci_u32_e32 v4, vcc_lo, s16, v4, vcc_lo
	v_add_co_u32 v5, vcc_lo, s13, v5
	s_delay_alu instid0(VALU_DEP_4)
	v_add_co_ci_u32_e32 v6, vcc_lo, s16, v6, vcc_lo
	s_lshl_b64 s[6:7], s[6:7], 2
	s_clause 0x1
	global_load_b32 v7, v[3:4], off
	global_load_b32 v8, v[5:6], off
	s_add_u32 s6, s13, s6
	s_addc_u32 s7, s16, s7
	s_or_b32 s8, s12, 32
	s_delay_alu instid0(SALU_CYCLE_1) | instskip(SKIP_2) | instid1(SALU_CYCLE_1)
	s_ashr_i32 s9, s8, 5
	s_cmp_lt_i32 s8, s17
	s_cselect_b32 s8, s9, s4
	s_ashr_i32 s9, s8, 31
	s_delay_alu instid0(SALU_CYCLE_1) | instskip(NEXT) | instid1(SALU_CYCLE_1)
	s_lshl_b64 s[8:9], s[8:9], 2
	s_add_u32 s8, s13, s8
	s_addc_u32 s9, s16, s9
	s_or_b32 s20, s12, 64
	s_delay_alu instid0(SALU_CYCLE_1) | instskip(SKIP_2) | instid1(SALU_CYCLE_1)
	s_ashr_i32 s21, s20, 5
	s_cmp_lt_i32 s20, s17
	s_cselect_b32 s20, s21, s4
	s_ashr_i32 s21, s20, 31
	s_delay_alu instid0(SALU_CYCLE_1) | instskip(NEXT) | instid1(SALU_CYCLE_1)
	s_lshl_b64 s[20:21], s[20:21], 2
	;; [unrolled: 10-line block ×5, first 2 shown]
	s_add_u32 s26, s13, s26
	s_addc_u32 s27, s16, s27
	s_clause 0x5
	s_load_b32 s28, s[6:7], 0x0
	s_load_b32 s29, s[8:9], 0x0
	;; [unrolled: 1-line block ×6, first 2 shown]
	s_mov_b32 s20, 0
	s_or_b32 s6, s12, 0xc0
	s_mov_b32 s21, s20
	s_mov_b32 s22, s20
	;; [unrolled: 1-line block ×7, first 2 shown]
	s_ashr_i32 s7, s6, 5
	v_mov_b32_e32 v128, s27
	s_cmp_lt_i32 s6, s17
	v_mov_b32_e32 v127, s26
	s_cselect_b32 s6, s7, s4
	v_mov_b32_e32 v126, s25
	s_ashr_i32 s7, s6, 31
	v_mov_b32_e32 v125, s24
	s_lshl_b64 s[6:7], s[6:7], 2
	v_mov_b32_e32 v124, s23
	s_add_u32 s6, s13, s6
	s_addc_u32 s7, s16, s7
	v_mov_b32_e32 v123, s22
	v_mov_b32_e32 v121, s20
	s_waitcnt lgkmcnt(0)
	s_mul_hi_i32 s9, s28, s5
	s_mul_i32 s8, s28, s5
	s_mul_hi_i32 s37, s38, s5
	v_mov_b32_e32 v122, s21
	s_mul_hi_i32 s21, s29, s5
	s_mul_i32 s20, s29, s5
	s_mul_hi_i32 s25, s30, s5
	s_mul_i32 s24, s30, s5
	;; [unrolled: 2-line block ×3, first 2 shown]
	s_waitcnt vmcnt(1)
	v_mad_i64_i32 v[3:4], null, v7, s5, 0
	s_waitcnt vmcnt(0)
	v_mad_i64_i32 v[5:6], null, v8, s5, 0
	s_delay_alu instid0(VALU_DEP_2) | instskip(NEXT) | instid1(VALU_DEP_2)
	v_lshlrev_b64 v[3:4], 1, v[3:4]
	v_lshlrev_b64 v[1:2], 1, v[5:6]
	s_delay_alu instid0(VALU_DEP_2) | instskip(NEXT) | instid1(VALU_DEP_3)
	v_add_co_u32 v3, vcc_lo, s15, v3
	v_add_co_ci_u32_e32 v4, vcc_lo, s19, v4, vcc_lo
	s_delay_alu instid0(VALU_DEP_3) | instskip(NEXT) | instid1(VALU_DEP_4)
	v_add_co_u32 v1, vcc_lo, s15, v1
	v_add_co_ci_u32_e32 v2, vcc_lo, s19, v2, vcc_lo
	s_delay_alu instid0(VALU_DEP_4) | instskip(NEXT) | instid1(VALU_DEP_4)
	v_add_co_u32 v65, vcc_lo, v3, v73
	v_add_co_ci_u32_e32 v66, vcc_lo, v4, v74, vcc_lo
	s_delay_alu instid0(VALU_DEP_4) | instskip(NEXT) | instid1(VALU_DEP_4)
	v_add_co_u32 v67, vcc_lo, v1, v73
	v_add_co_ci_u32_e32 v68, vcc_lo, v2, v74, vcc_lo
	s_clause 0xf
	global_load_b128 v[1:4], v[65:66], off
	global_load_b128 v[5:8], v[65:66], off offset:512
	global_load_b128 v[9:12], v[67:68], off offset:256
	;; [unrolled: 1-line block ×15, first 2 shown]
	v_add_co_u32 v157, vcc_lo, 0x1000, v65
	v_add_co_ci_u32_e32 v158, vcc_lo, 0, v66, vcc_lo
	v_add_co_u32 v165, vcc_lo, 0x1000, v67
	v_add_co_ci_u32_e32 v166, vcc_lo, 0, v68, vcc_lo
	s_clause 0x7
	global_load_b128 v[81:84], v[157:158], off
	global_load_b128 v[85:88], v[157:158], off offset:512
	global_load_b128 v[89:92], v[165:166], off offset:256
	;; [unrolled: 1-line block ×7, first 2 shown]
	v_add_nc_u32_e32 v65, -11, v77
	v_cmp_gt_u32_e32 vcc_lo, 11, v77
	s_or_b32 s15, s12, 0xe0
	s_delay_alu instid0(SALU_CYCLE_1) | instskip(SKIP_3) | instid1(SALU_CYCLE_1)
	s_ashr_i32 s19, s15, 5
	s_cmp_lt_i32 s15, s17
	v_cndmask_b32_e32 v65, v65, v77, vcc_lo
	s_cselect_b32 s22, s19, s4
	s_ashr_i32 s23, s22, 31
	s_delay_alu instid0(VALU_DEP_1)
	v_lshlrev_b32_e32 v169, 6, v65
	ds_load_b128 v[65:68], v169
	ds_load_b128 v[69:72], v169 offset:1024
	s_clause 0x1
	global_load_b128 v[113:116], v[157:158], off offset:2048
	global_load_b128 v[117:120], v[157:158], off offset:2560
	ds_load_b128 v[129:132], v169 offset:2048
	ds_load_b128 v[133:136], v169 offset:3072
	s_clause 0x5
	global_load_b128 v[145:148], v[165:166], off offset:2304
	global_load_b128 v[149:152], v[165:166], off offset:2816
	;; [unrolled: 1-line block ×6, first 2 shown]
	s_lshl_b64 s[22:23], s[22:23], 2
	s_delay_alu instid0(SALU_CYCLE_1) | instskip(SKIP_2) | instid1(SALU_CYCLE_1)
	s_add_u32 s22, s13, s22
	s_addc_u32 s23, s16, s23
	s_add_i32 s15, s12, 0x100
	s_ashr_i32 s19, s15, 5
	s_cmp_lt_i32 s15, s17
	s_cselect_b32 s28, s19, s4
	s_delay_alu instid0(SALU_CYCLE_1) | instskip(NEXT) | instid1(SALU_CYCLE_1)
	s_ashr_i32 s29, s28, 31
	s_lshl_b64 s[28:29], s[28:29], 2
	s_delay_alu instid0(SALU_CYCLE_1)
	s_add_u32 s28, s13, s28
	s_addc_u32 s29, s16, s29
	s_add_u32 s4, s10, s2
	s_addc_u32 s19, s11, s3
	s_lshl_b64 s[2:3], s[8:9], 1
	s_lshl_b64 s[8:9], s[20:21], 1
	;; [unrolled: 1-line block ×4, first 2 shown]
	s_waitcnt vmcnt(30) lgkmcnt(2)
	v_wmma_f32_16x16x16_f16 v[137:144], v[1:8], v[65:72], v[121:128]
	ds_load_b128 v[1:4], v169 offset:4096
	ds_load_b128 v[5:8], v169 offset:5120
	s_waitcnt vmcnt(28)
	v_wmma_f32_16x16x16_f16 v[121:128], v[9:16], v[65:72], v[121:128]
	ds_load_b128 v[9:12], v169 offset:6144
	ds_load_b128 v[13:16], v169 offset:7168
	s_waitcnt vmcnt(26) lgkmcnt(4)
	v_wmma_f32_16x16x16_f16 v[137:144], v[17:24], v[129:136], v[137:144]
	ds_load_b128 v[17:20], v169 offset:8192
	ds_load_b128 v[21:24], v169 offset:9216
	s_waitcnt vmcnt(24)
	v_wmma_f32_16x16x16_f16 v[121:128], v[25:32], v[129:136], v[121:128]
	v_lshl_or_b32 v25, v78, 10, v79
	ds_load_b128 v[129:132], v169 offset:10240
	ds_load_b128 v[133:136], v169 offset:11264
	s_clause 0x2
	s_load_b32 s15, s[6:7], 0x0
	s_load_b32 s13, s[22:23], 0x0
	;; [unrolled: 1-line block ×3, first 2 shown]
	s_mul_hi_i32 s7, s36, s5
	v_add_co_u32 v170, s4, s4, v25
	s_delay_alu instid0(VALU_DEP_1)
	v_add_co_ci_u32_e64 v171, null, s19, 0, s4
	s_mul_i32 s6, s36, s5
	s_mul_i32 s36, s38, s5
	s_lshl_b64 s[6:7], s[6:7], 1
	s_lshl_b64 s[22:23], s[36:37], 1
	s_waitcnt vmcnt(22) lgkmcnt(0)
	v_wmma_f32_16x16x16_f16 v[137:144], v[33:40], v[1:8], v[137:144]
	s_waitcnt vmcnt(20)
	v_wmma_f32_16x16x16_f16 v[121:128], v[41:48], v[1:8], v[121:128]
	v_add_co_u32 v1, vcc_lo, v170, s2
	v_add_co_ci_u32_e32 v2, vcc_lo, s3, v171, vcc_lo
	v_add_co_u32 v3, vcc_lo, v170, s8
	v_add_co_ci_u32_e32 v4, vcc_lo, s9, v171, vcc_lo
	;; [unrolled: 2-line block ×4, first 2 shown]
	v_add_co_u32 v25, vcc_lo, v170, s6
	s_mul_hi_i32 s25, s15, s5
	s_mul_i32 s24, s15, s5
	v_add_co_ci_u32_e32 v26, vcc_lo, s7, v171, vcc_lo
	v_add_co_u32 v27, vcc_lo, v170, s22
	s_lshl_b64 s[24:25], s[24:25], 1
	s_waitcnt vmcnt(18)
	v_wmma_f32_16x16x16_f16 v[137:144], v[49:56], v[9:16], v[137:144]
	s_waitcnt vmcnt(16)
	v_wmma_f32_16x16x16_f16 v[121:128], v[57:64], v[9:16], v[121:128]
	v_add_co_ci_u32_e32 v28, vcc_lo, s23, v171, vcc_lo
	s_mul_hi_i32 s3, s13, s5
	s_mul_i32 s2, s13, s5
	v_add_co_u32 v29, vcc_lo, v170, s24
	s_lshl_b64 s[2:3], s[2:3], 1
	v_add_co_ci_u32_e32 v30, vcc_lo, s25, v171, vcc_lo
	s_waitcnt vmcnt(14)
	v_wmma_f32_16x16x16_f16 v[137:144], v[81:88], v[17:24], v[137:144]
	s_waitcnt vmcnt(12)
	v_wmma_f32_16x16x16_f16 v[121:128], v[89:96], v[17:24], v[121:128]
	v_add_co_u32 v17, vcc_lo, v170, s2
	v_add_co_ci_u32_e32 v18, vcc_lo, s3, v171, vcc_lo
	s_mul_hi_i32 s3, s16, s5
	s_mul_i32 s2, s16, s5
	s_clause 0x5
	global_load_b128 v[65:68], v[1:2], off
	global_load_b128 v[69:72], v[1:2], off offset:16
	global_load_b128 v[57:60], v[3:4], off
	global_load_b128 v[61:64], v[3:4], off offset:16
	;; [unrolled: 2-line block ×3, first 2 shown]
	s_lshl_b64 s[2:3], s[2:3], 1
	s_clause 0x1
	global_load_b128 v[41:44], v[7:8], off
	global_load_b128 v[45:48], v[7:8], off offset:16
	v_add_co_u32 v21, vcc_lo, v170, s2
	v_add_co_ci_u32_e32 v22, vcc_lo, s3, v171, vcc_lo
	s_clause 0x9
	global_load_b128 v[9:12], v[25:26], off
	global_load_b128 v[13:16], v[25:26], off offset:16
	global_load_b128 v[1:4], v[27:28], off
	global_load_b128 v[5:8], v[27:28], off offset:16
	;; [unrolled: 2-line block ×5, first 2 shown]
	ds_load_b128 v[81:84], v169 offset:12288
	ds_load_b128 v[85:88], v169 offset:13312
	v_and_b32_e32 v89, 0xe0, v0
	s_waitcnt vmcnt(28)
	v_wmma_f32_16x16x16_f16 v[137:144], v[97:104], v[129:136], v[137:144]
	v_mbcnt_lo_u32_b32 v97, -1, 0
	s_waitcnt vmcnt(26)
	v_wmma_f32_16x16x16_f16 v[121:128], v[105:112], v[129:136], v[121:128]
	v_add_nc_u32_e32 v98, s12, v89
	ds_load_b128 v[89:92], v169 offset:14336
	ds_load_b128 v[93:96], v169 offset:15360
	v_xor_b32_e32 v99, 16, v97
	s_waitcnt vmcnt(0) lgkmcnt(0)
	s_barrier
	v_or_b32_e32 v98, v98, v75
	buffer_gl0_inv
	v_cmp_gt_i32_e32 vcc_lo, 32, v99
	v_or_b32_e32 v100, 4, v98
	v_or_b32_e32 v101, 22, v98
	;; [unrolled: 1-line block ×4, first 2 shown]
	v_wmma_f32_16x16x16_f16 v[137:144], v[113:120], v[81:88], v[137:144]
	v_wmma_f32_16x16x16_f16 v[121:128], v[145:152], v[81:88], v[121:128]
	v_or_b32_e32 v81, 6, v98
	v_or_b32_e32 v82, 8, v98
	;; [unrolled: 1-line block ×3, first 2 shown]
	v_cmp_gt_i32_e64 s3, s17, v100
	v_or_b32_e32 v84, 12, v98
	v_wmma_f32_16x16x16_f16 v[137:144], v[153:160], v[89:96], v[137:144]
	v_wmma_f32_16x16x16_f16 v[121:128], v[161:168], v[89:96], v[121:128]
	v_cndmask_b32_e32 v97, v97, v99, vcc_lo
	v_or_b32_e32 v99, 2, v98
	v_cmp_gt_i32_e32 vcc_lo, s17, v98
	v_dual_mul_f32 v95, s18, v138 :: v_dual_mul_f32 v96, s18, v137
	v_mul_f32_e32 v93, s18, v140
	s_delay_alu instid0(VALU_DEP_4)
	v_cmp_gt_i32_e64 s2, s17, v99
	v_mul_f32_e32 v94, s18, v139
	v_mul_f32_e32 v110, s18, v124
	v_cndmask_b32_e32 v96, 0xff7fffff, v96, vcc_lo
	v_cmp_gt_i32_e64 s4, s17, v81
	v_cndmask_b32_e64 v95, 0xff7fffff, v95, s2
	v_or_b32_e32 v85, 14, v98
	v_dual_mul_f32 v91, s18, v142 :: v_dual_mul_f32 v92, s18, v141
	v_cndmask_b32_e64 v94, 0xff7fffff, v94, s3
	v_cndmask_b32_e64 v81, 0xff7fffff, v93, s4
	v_max3_f32 v93, v96, 0xff7fffff, v95
	v_cmp_gt_i32_e64 s5, s17, v82
	v_cmp_gt_i32_e64 s6, s17, v83
	v_or_b32_e32 v86, 16, v98
	v_or_b32_e32 v87, 18, v98
	v_dual_mul_f32 v89, s18, v144 :: v_dual_mul_f32 v112, s18, v122
	v_mul_f32_e32 v90, s18, v143
	v_cndmask_b32_e64 v82, 0xff7fffff, v92, s5
	v_cndmask_b32_e64 v83, 0xff7fffff, v91, s6
	v_max3_f32 v81, v93, v94, v81
	v_cmp_gt_i32_e64 s7, s17, v84
	v_cmp_gt_i32_e64 s8, s17, v85
	v_or_b32_e32 v88, 20, v98
	v_mul_f32_e32 v113, s18, v121
	v_max3_f32 v81, v81, v82, v83
	v_cndmask_b32_e64 v84, 0xff7fffff, v90, s7
	v_cndmask_b32_e64 v85, 0xff7fffff, v89, s8
	v_cmp_gt_i32_e64 s9, s17, v86
	v_cmp_gt_i32_e64 s10, s17, v87
	v_mul_f32_e32 v111, s18, v123
	v_cmp_gt_i32_e64 s11, s17, v88
	v_max3_f32 v81, v81, v84, v85
	v_cndmask_b32_e64 v82, 0xff7fffff, v113, s9
	v_cndmask_b32_e64 v83, 0xff7fffff, v112, s10
	v_cmp_gt_i32_e64 s12, s17, v101
	v_or_b32_e32 v104, 28, v98
	v_or_b32_e32 v105, 30, v98
	v_dual_mul_f32 v108, s18, v126 :: v_dual_mul_f32 v109, s18, v125
	v_cndmask_b32_e64 v84, 0xff7fffff, v111, s11
	v_cndmask_b32_e64 v85, 0xff7fffff, v110, s12
	v_max3_f32 v81, v81, v82, v83
	v_cmp_gt_i32_e64 s13, s17, v102
	v_cmp_gt_i32_e64 s15, s17, v103
	v_dual_mul_f32 v106, s18, v128 :: v_dual_mul_f32 v107, s18, v127
	s_delay_alu instid0(VALU_DEP_4) | instskip(NEXT) | instid1(VALU_DEP_4)
	v_max3_f32 v81, v81, v84, v85
	v_cndmask_b32_e64 v82, 0xff7fffff, v109, s13
	s_delay_alu instid0(VALU_DEP_4) | instskip(SKIP_2) | instid1(VALU_DEP_3)
	v_cndmask_b32_e64 v83, 0xff7fffff, v108, s15
	v_cmp_gt_i32_e64 s16, s17, v104
	v_cmp_gt_i32_e64 s17, s17, v105
	v_max3_f32 v81, v81, v82, v83
	s_delay_alu instid0(VALU_DEP_3) | instskip(NEXT) | instid1(VALU_DEP_3)
	v_cndmask_b32_e64 v84, 0xff7fffff, v107, s16
	v_cndmask_b32_e64 v85, 0xff7fffff, v106, s17
	v_lshlrev_b32_e32 v83, 2, v97
	s_delay_alu instid0(VALU_DEP_2) | instskip(SKIP_3) | instid1(VALU_DEP_1)
	v_max3_f32 v81, v81, v84, v85
	ds_bpermute_b32 v82, v83, v81
	s_waitcnt lgkmcnt(0)
	v_max_f32_e32 v82, v82, v82
	v_max_f32_e32 v81, v81, v82
	s_delay_alu instid0(VALU_DEP_1)
	v_fma_f32 v82, s18, v137, -v81
	v_fma_f32 v84, s18, v138, -v81
	;; [unrolled: 1-line block ×5, first 2 shown]
	v_mul_f32_e32 v82, 0x3fb8aa3b, v82
	s_delay_alu instid0(VALU_DEP_4) | instskip(NEXT) | instid1(VALU_DEP_3)
	v_dual_mul_f32 v84, 0x3fb8aa3b, v84 :: v_dual_mul_f32 v85, 0x3fb8aa3b, v85
	v_dual_mul_f32 v86, 0x3fb8aa3b, v86 :: v_dual_mul_f32 v89, 0x3fb8aa3b, v87
	s_delay_alu instid0(VALU_DEP_3) | instskip(NEXT) | instid1(VALU_DEP_2)
	v_exp_f32_e32 v82, v82
	v_exp_f32_e32 v84, v84
	s_delay_alu instid0(VALU_DEP_2) | instskip(NEXT) | instid1(VALU_DEP_1)
	v_exp_f32_e32 v85, v85
	v_exp_f32_e32 v86, v86
	;; [unrolled: 1-line block ×3, first 2 shown]
	v_cndmask_b32_e32 v88, 0, v82, vcc_lo
	v_cndmask_b32_e64 v87, 0, v84, s2
	s_delay_alu instid0(TRANS32_DEP_3)
	v_cndmask_b32_e64 v90, 0, v85, s3
	s_waitcnt_depctr 0xfff
	v_cndmask_b32_e64 v89, 0, v86, s4
	v_cndmask_b32_e64 v92, 0, v92, s5
	v_add_f32_e32 v84, 0, v88
	v_cmp_gt_u32_e64 s2, 16, v80
	s_delay_alu instid0(VALU_DEP_2) | instskip(NEXT) | instid1(VALU_DEP_1)
	v_add_f32_e32 v84, v84, v87
	v_add_f32_e32 v84, v84, v90
	s_delay_alu instid0(VALU_DEP_1)
	v_add_f32_e32 v84, v84, v89
	v_fma_f32 v82, s18, v142, -v81
	v_fma_f32 v91, s18, v143, -v81
	;; [unrolled: 1-line block ×5, first 2 shown]
	s_delay_alu instid0(VALU_DEP_4) | instskip(SKIP_1) | instid1(VALU_DEP_4)
	v_dual_mul_f32 v82, 0x3fb8aa3b, v82 :: v_dual_mul_f32 v91, 0x3fb8aa3b, v91
	v_fma_f32 v96, s18, v124, -v81
	v_mul_f32_e32 v86, 0x3fb8aa3b, v86
	s_delay_alu instid0(VALU_DEP_4) | instskip(NEXT) | instid1(VALU_DEP_4)
	v_mul_f32_e32 v95, 0x3fb8aa3b, v94
	v_exp_f32_e32 v82, v82
	v_exp_f32_e32 v93, v91
	v_mul_f32_e32 v97, 0x3fb8aa3b, v96
	v_exp_f32_e32 v86, v86
	v_fma_f32 v99, s18, v127, -v81
	s_delay_alu instid0(VALU_DEP_2) | instskip(SKIP_2) | instid1(TRANS32_DEP_3)
	v_exp_f32_e32 v97, v97
	v_cndmask_b32_e64 v91, 0, v82, s6
	v_dual_add_f32 v82, v84, v92 :: v_dual_mul_f32 v85, 0x3fb8aa3b, v85
	v_cndmask_b32_e64 v94, 0, v93, s7
	v_fma_f32 v84, s18, v123, -v81
	s_delay_alu instid0(TRANS32_DEP_2) | instskip(NEXT) | instid1(VALU_DEP_4)
	v_cndmask_b32_e64 v96, 0, v86, s9
	v_add_f32_e32 v82, v82, v91
	v_exp_f32_e32 v85, v85
	v_fma_f32 v86, s18, v126, -v81
	v_mul_f32_e32 v84, 0x3fb8aa3b, v84
	v_cndmask_b32_e64 v97, 0, v97, s12
	v_add_f32_e32 v82, v82, v94
	s_delay_alu instid0(VALU_DEP_3) | instskip(SKIP_3) | instid1(VALU_DEP_2)
	v_exp_f32_e32 v84, v84
	s_waitcnt_depctr 0xfff
	v_cndmask_b32_e64 v93, 0, v85, s8
	v_fma_f32 v85, s18, v125, -v81
	v_add_f32_e32 v82, v82, v93
	v_exp_f32_e32 v95, v95
	s_delay_alu instid0(VALU_DEP_2)
	v_mul_f32_e32 v85, 0x3fb8aa3b, v85
	v_cndmask_b32_e64 v98, 0, v84, s11
	v_mul_f32_e32 v84, 0x3fb8aa3b, v99
	v_add_f32_e32 v82, v82, v96
	v_fma_f32 v99, s18, v128, -v81
	v_exp_f32_e32 v85, v85
	v_mul_f32_e32 v86, 0x3fb8aa3b, v86
	v_exp_f32_e32 v84, v84
	s_delay_alu instid0(TRANS32_DEP_3) | instskip(NEXT) | instid1(VALU_DEP_1)
	v_cndmask_b32_e64 v95, 0, v95, s10
	v_add_f32_e32 v82, v82, v95
	s_waitcnt_depctr 0xfff
	v_cndmask_b32_e64 v100, 0, v85, s13
	v_mul_f32_e32 v85, 0x3fb8aa3b, v99
	v_exp_f32_e32 v86, v86
	v_cndmask_b32_e64 v102, 0, v84, s16
	v_add_f32_e32 v82, v82, v98
	s_delay_alu instid0(VALU_DEP_3) | instskip(NEXT) | instid1(VALU_DEP_1)
	v_exp_f32_e32 v85, v85
	v_add_f32_e32 v82, v82, v97
	s_waitcnt_depctr 0xfff
	v_cndmask_b32_e64 v99, 0, v86, s15
	v_add_f32_e32 v82, v82, v100
	v_cndmask_b32_e64 v101, 0, v85, s17
	s_delay_alu instid0(VALU_DEP_2) | instskip(NEXT) | instid1(VALU_DEP_1)
	v_add_f32_e32 v82, v82, v99
	v_add_f32_e32 v82, v82, v102
	s_delay_alu instid0(VALU_DEP_1)
	v_add_f32_e32 v82, v82, v101
	ds_bpermute_b32 v83, v83, v82
	s_and_saveexec_b32 s3, s2
	s_cbranch_execz .LBB376_14
; %bb.13:
	v_mul_u32_u24_e32 v80, 0x44, v78
	s_waitcnt lgkmcnt(0)
	v_add_f32_e32 v82, v82, v83
	s_delay_alu instid0(VALU_DEP_2) | instskip(NEXT) | instid1(VALU_DEP_1)
	v_lshl_add_u32 v80, v77, 2, v80
	v_add_nc_u32_e32 v80, 0x4000, v80
	ds_store_2addr_b32 v80, v81, v82 offset1:136
.LBB376_14:
	s_or_b32 exec_lo, exec_lo, s3
	v_lshlrev_b32_e32 v80, 2, v77
	s_load_b32 s35, s[0:1], 0x94
	s_waitcnt lgkmcnt(0)
	s_barrier
	buffer_gl0_inv
	v_add_nc_u32_e32 v84, 0x4000, v80
	v_cmp_eq_u32_e32 vcc_lo, 1, v78
	v_cmp_eq_u32_e64 s3, 2, v78
	v_cmp_eq_u32_e64 s4, 3, v78
	;; [unrolled: 1-line block ×3, first 2 shown]
	ds_load_2addr_b32 v[80:81], v84 offset1:17
	ds_load_2addr_b32 v[82:83], v84 offset0:34 offset1:51
	ds_load_2addr_b32 v[103:104], v84 offset0:68 offset1:85
	;; [unrolled: 1-line block ×3, first 2 shown]
	v_cmp_eq_u32_e64 s6, 7, v78
	s_waitcnt lgkmcnt(3)
	v_max3_f32 v85, v80, 0xff7fffff, v81
	s_waitcnt lgkmcnt(2)
	s_delay_alu instid0(VALU_DEP_1) | instskip(SKIP_1) | instid1(VALU_DEP_1)
	v_max3_f32 v85, v85, v82, v83
	s_waitcnt lgkmcnt(1)
	v_max3_f32 v85, v85, v103, v104
	s_waitcnt lgkmcnt(0)
	s_delay_alu instid0(VALU_DEP_1) | instskip(NEXT) | instid1(VALU_DEP_1)
	v_max3_f32 v85, v85, v105, v106
	v_sub_f32_e32 v103, v103, v85
	ds_load_2addr_b32 v[107:108], v84 offset0:136 offset1:153
	v_sub_f32_e32 v80, v80, v85
	v_dual_sub_f32 v110, v83, v85 :: v_dual_mul_f32 v113, 0x3fb8aa3b, v103
	s_delay_alu instid0(VALU_DEP_2) | instskip(SKIP_3) | instid1(VALU_DEP_1)
	v_dual_sub_f32 v86, v81, v85 :: v_dual_mul_f32 v109, 0x3fb8aa3b, v80
	ds_load_2addr_b32 v[80:81], v84 offset0:170 offset1:187
	v_mul_f32_e32 v86, 0x3fb8aa3b, v86
	v_exp_f32_e32 v109, v109
	v_exp_f32_e32 v112, v86
	v_mul_f32_e32 v110, 0x3fb8aa3b, v110
	s_waitcnt lgkmcnt(1)
	s_waitcnt_depctr 0xfff
	v_fma_f32 v86, v109, v107, 0
	v_sub_f32_e32 v107, v104, v85
	v_sub_f32_e32 v82, v82, v85
	v_exp_f32_e32 v110, v110
	ds_load_2addr_b32 v[103:104], v84 offset0:238 offset1:255
	v_dual_fmac_f32 v86, v112, v108 :: v_dual_mul_f32 v111, 0x3fb8aa3b, v82
	ds_load_2addr_b32 v[82:83], v84 offset0:204 offset1:221
	v_dual_sub_f32 v84, v105, v85 :: v_dual_mul_f32 v105, 0x3fb8aa3b, v107
	v_exp_f32_e32 v107, v113
	v_exp_f32_e32 v111, v111
	s_waitcnt lgkmcnt(0)
	s_delay_alu instid0(VALU_DEP_1)
	v_mul_f32_e32 v84, 0x3fb8aa3b, v84
	v_exp_f32_e32 v105, v105
	s_barrier
	buffer_gl0_inv
	v_fmac_f32_e32 v86, v111, v80
	v_sub_f32_e32 v80, v106, v85
	v_exp_f32_e32 v106, v84
	s_delay_alu instid0(VALU_DEP_2) | instskip(NEXT) | instid1(VALU_DEP_2)
	v_fmac_f32_e32 v86, v110, v81
	v_mul_f32_e32 v80, 0x3fb8aa3b, v80
	s_delay_alu instid0(VALU_DEP_2) | instskip(NEXT) | instid1(VALU_DEP_2)
	v_dual_cndmask_b32 v81, v109, v112 :: v_dual_fmac_f32 v86, v107, v82
	v_exp_f32_e32 v108, v80
	s_delay_alu instid0(VALU_DEP_1) | instskip(SKIP_2) | instid1(VALU_DEP_1)
	v_fmac_f32_e32 v86, v105, v83
	s_waitcnt_depctr 0xfff
	v_fmac_f32_e32 v86, v106, v103
	v_fmac_f32_e32 v86, v108, v104
	s_delay_alu instid0(VALU_DEP_1) | instskip(NEXT) | instid1(VALU_DEP_1)
	v_add_f32_e32 v103, 0x358637bd, v86
	v_div_scale_f32 v104, null, v103, v103, 1.0
	v_div_scale_f32 v109, vcc_lo, 1.0, v103, 1.0
	s_delay_alu instid0(VALU_DEP_2) | instskip(SKIP_2) | instid1(VALU_DEP_1)
	v_rcp_f32_e32 v113, v104
	s_waitcnt_depctr 0xfff
	v_fma_f32 v80, -v104, v113, 1.0
	v_fmac_f32_e32 v113, v80, v113
	v_cndmask_b32_e64 v80, v81, v111, s3
	v_cmp_eq_u32_e64 s3, 4, v78
	v_lshl_or_b32 v81, v78, 11, v79
	s_delay_alu instid0(VALU_DEP_4) | instskip(NEXT) | instid1(VALU_DEP_4)
	v_mul_f32_e32 v111, v109, v113
	v_cndmask_b32_e64 v82, v80, v110, s4
	v_cmp_eq_u32_e64 s4, 6, v78
	s_delay_alu instid0(VALU_DEP_4) | instskip(SKIP_3) | instid1(VALU_DEP_3)
	v_lshl_or_b32 v78, v75, 4, v81
	v_lshlrev_b32_e32 v80, 2, v75
	v_fma_f32 v83, -v104, v111, v109
	v_cndmask_b32_e64 v84, v82, v107, s3
	v_or_b32_e32 v82, 1, v80
	s_delay_alu instid0(VALU_DEP_3) | instskip(NEXT) | instid1(VALU_DEP_3)
	v_fmac_f32_e32 v111, v83, v113
	v_cndmask_b32_e64 v105, v84, v105, s5
	v_or_b32_e32 v84, 2, v80
	v_or_b32_e32 v83, 3, v80
	v_cmp_eq_u32_e64 s3, 1, v80
	v_fma_f32 v104, -v104, v111, v109
	v_cndmask_b32_e64 v105, v105, v106, s4
	v_cmp_eq_u32_e64 s9, 1, v82
	v_cmp_eq_u32_e64 s10, 1, v84
	;; [unrolled: 1-line block ×3, first 2 shown]
	v_div_fmas_f32 v104, v104, v113, v111
	v_cndmask_b32_e64 v105, v105, v108, s6
	v_cmp_eq_u32_e32 vcc_lo, 2, v80
	v_cmp_eq_u32_e64 s12, 2, v82
	v_cmp_eq_u32_e64 s15, 2, v84
	v_div_fixup_f32 v103, v104, v103, 1.0
	v_cmp_eq_u32_e64 s16, 2, v83
	v_cmp_eq_u32_e64 s18, 3, v83
	;; [unrolled: 1-line block ×4, first 2 shown]
	v_mul_f32_e32 v111, v105, v103
	v_cmp_eq_u32_e64 s17, 3, v84
	v_cmp_eq_u32_e64 s22, 4, v83
	;; [unrolled: 1-line block ×4, first 2 shown]
	v_fma_mixlo_f16 v103, v111, v88, 0
	v_fma_mixlo_f16 v104, v111, v90, 0
	v_fma_mixlo_f16 v105, v111, v92, 0
	v_fma_mixlo_f16 v106, v111, v94, 0
	v_fma_mixlo_f16 v107, v111, v96, 0
	v_fma_mixlo_f16 v108, v111, v98, 0
	v_fma_mixlo_f16 v109, v111, v100, 0
	v_fma_mixlo_f16 v110, v111, v102, 0
	v_fma_mixhi_f16 v103, v111, v87, 0
	v_fma_mixhi_f16 v104, v111, v89, 0
	;; [unrolled: 1-line block ×8, first 2 shown]
	ds_store_b128 v78, v[103:106]
	ds_store_b128 v78, v[107:110] offset:1024
	s_waitcnt lgkmcnt(0)
	s_barrier
	buffer_gl0_inv
	ds_load_b128 v[87:90], v81
	ds_load_b128 v[91:94], v81 offset:16
	ds_load_b128 v[95:98], v81 offset:1024
	;; [unrolled: 1-line block ×3, first 2 shown]
	v_cmp_eq_u32_e64 s21, 4, v84
	v_cmp_eq_u32_e64 s24, 5, v83
	;; [unrolled: 1-line block ×13, first 2 shown]
	s_waitcnt lgkmcnt(3)
	v_lshrrev_b32_e32 v103, 16, v87
	s_waitcnt lgkmcnt(2)
	v_lshrrev_b32_e32 v107, 16, v91
	;; [unrolled: 2-line block ×4, first 2 shown]
	v_lshrrev_b32_e32 v104, 16, v88
	v_cndmask_b32_e64 v119, v87, v103, s3
	v_cndmask_b32_e64 v120, v91, v107, s3
	;; [unrolled: 1-line block ×8, first 2 shown]
	v_lshrrev_b32_e32 v108, 16, v92
	v_cndmask_b32_e64 v103, v95, v111, s3
	v_cndmask_b32_e64 v107, v99, v115, s3
	;; [unrolled: 1-line block ×5, first 2 shown]
	v_cndmask_b32_e32 v111, v119, v88, vcc_lo
	v_cndmask_b32_e64 v119, v121, v88, s12
	v_cndmask_b32_e64 v121, v123, v88, s15
	;; [unrolled: 1-line block ×4, first 2 shown]
	v_lshrrev_b32_e32 v112, 16, v96
	v_lshrrev_b32_e32 v116, 16, v100
	v_cndmask_b32_e64 v126, v99, v115, s9
	v_cndmask_b32_e64 v128, v99, v115, s10
	;; [unrolled: 1-line block ×3, first 2 shown]
	v_cndmask_b32_e32 v115, v120, v92, vcc_lo
	v_cndmask_b32_e64 v120, v122, v92, s12
	v_cndmask_b32_e64 v122, v124, v92, s15
	v_cndmask_b32_e32 v91, v103, v96, vcc_lo
	v_cndmask_b32_e32 v92, v107, v100, vcc_lo
	v_cndmask_b32_e64 v103, v125, v96, s12
	v_cndmask_b32_e64 v87, v87, v104, s18
	v_cndmask_b32_e64 v88, v88, v108, s18
	v_lshrrev_b32_e32 v105, 16, v89
	v_lshrrev_b32_e32 v109, 16, v93
	v_cndmask_b32_e64 v107, v127, v96, s15
	v_cndmask_b32_e64 v95, v95, v96, s16
	;; [unrolled: 1-line block ×14, first 2 shown]
	v_lshrrev_b32_e32 v113, 16, v97
	v_cndmask_b32_e64 v99, v99, v89, s5
	v_cndmask_b32_e64 v104, v111, v93, s5
	;; [unrolled: 1-line block ×11, first 2 shown]
	v_lshrrev_b32_e32 v106, 16, v90
	v_lshrrev_b32_e32 v110, 16, v94
	v_cndmask_b32_e64 v93, v99, v105, s6
	v_cndmask_b32_e64 v99, v104, v109, s6
	v_cndmask_b32_e64 v103, v108, v105, s20
	v_cndmask_b32_e64 v104, v111, v109, s20
	v_cndmask_b32_e64 v108, v115, v105, s23
	v_cndmask_b32_e64 v111, v119, v109, s23
	v_cndmask_b32_e64 v92, v92, v113, s20
	v_cndmask_b32_e64 v87, v87, v90, s27
	v_cndmask_b32_e64 v88, v88, v94, s27
	v_lshrrev_b32_e32 v114, 16, v98
	v_cndmask_b32_e64 v89, v89, v113, s6
	v_cndmask_b32_e64 v93, v93, v90, s7
	;; [unrolled: 1-line block ×19, first 2 shown]
	v_perm_b32 v90, v88, v87, 0x5040100
	v_cndmask_b32_e64 v87, v126, v100, s12
	v_cndmask_b32_e64 v105, v89, v114, s8
	v_perm_b32 v89, v103, v99, 0x5040100
	v_perm_b32 v88, v104, v94, 0x5040100
	v_cndmask_b32_e64 v94, v107, v112, s17
	v_cndmask_b32_e64 v95, v95, v112, s18
	;; [unrolled: 1-line block ×5, first 2 shown]
	v_lshrrev_b32_e32 v117, 16, v101
	v_cndmask_b32_e64 v94, v94, v97, s21
	v_cndmask_b32_e64 v95, v95, v97, s22
	;; [unrolled: 1-line block ×11, first 2 shown]
	v_lshrrev_b32_e32 v118, 16, v102
	v_cndmask_b32_e64 v91, v91, v102, s7
	v_cndmask_b32_e64 v94, v94, v98, s26
	;; [unrolled: 1-line block ×12, first 2 shown]
	v_perm_b32 v87, v93, v92, 0x5040100
	v_perm_b32 v94, v95, v94, 0x5040100
	v_perm_b32 v93, v96, v98, 0x5040100
	v_perm_b32 v92, v97, v106, 0x5040100
	v_perm_b32 v91, v91, v105, 0x5040100
	s_mul_i32 s7, s33, 11
	s_mov_b32 s3, exec_lo
	ds_store_b128 v78, v[87:90]
	ds_store_b128 v78, v[91:94] offset:1024
	v_cmpx_gt_u32_e32 11, v0
	s_cbranch_execz .LBB376_16
; %bb.15:
	s_mul_i32 s4, s7, s34
	s_load_b128 s[8:11], s[0:1], 0x58
	v_add3_u32 v77, s4, s31, v77
	s_delay_alu instid0(VALU_DEP_1) | instskip(NEXT) | instid1(VALU_DEP_1)
	v_mad_u64_u32 v[87:88], null, v77, s35, s[14:15]
	v_ashrrev_i32_e32 v88, 31, v87
	s_delay_alu instid0(VALU_DEP_1) | instskip(SKIP_1) | instid1(VALU_DEP_1)
	v_lshlrev_b64 v[87:88], 2, v[87:88]
	s_waitcnt lgkmcnt(0)
	v_add_co_u32 v89, vcc_lo, s10, v87
	s_delay_alu instid0(VALU_DEP_2)
	v_add_co_ci_u32_e32 v90, vcc_lo, s11, v88, vcc_lo
	v_add_co_u32 v87, vcc_lo, s8, v87
	v_add_co_ci_u32_e32 v88, vcc_lo, s9, v88, vcc_lo
	global_store_b32 v[89:90], v85, off
	global_store_b32 v[87:88], v86, off
.LBB376_16:
	s_or_b32 exec_lo, exec_lo, s3
	s_waitcnt lgkmcnt(0)
	s_waitcnt_vscnt null, 0x0
	s_barrier
	buffer_gl0_inv
	ds_load_b128 v[93:96], v79
	ds_load_b128 v[97:100], v79 offset:16
	ds_load_b128 v[105:108], v79 offset:1040
	;; [unrolled: 1-line block ×5, first 2 shown]
	v_cmp_eq_u32_e32 vcc_lo, 1, v84
	v_mov_b32_e32 v85, 0
	ds_load_b128 v[121:124], v79 offset:3088
	ds_load_b128 v[117:120], v79 offset:3072
	;; [unrolled: 1-line block ×4, first 2 shown]
	v_cmp_eq_u32_e64 s3, 1, v80
	v_cmp_eq_u32_e64 s4, 1, v83
	v_cmp_eq_u32_e64 s5, 1, v82
	v_mov_b32_e32 v86, v85
	v_mov_b32_e32 v87, v85
	;; [unrolled: 1-line block ×7, first 2 shown]
	v_cmp_eq_u32_e64 s6, 2, v80
	s_waitcnt lgkmcnt(8)
	s_delay_alu instid0(VALU_DEP_2)
	v_wmma_f32_16x16x16_f16 v[85:92], v[65:72], v[93:100], v[85:92]
	ds_load_b128 v[69:72], v79 offset:5136
	ds_load_b128 v[65:68], v79 offset:5120
	ds_load_b128 v[97:100], v79 offset:6160
	ds_load_b128 v[93:96], v79 offset:6144
	s_waitcnt lgkmcnt(10)
	v_wmma_f32_16x16x16_f16 v[85:92], v[57:64], v[101:108], v[85:92]
	s_waitcnt lgkmcnt(8)
	s_delay_alu instid0(VALU_DEP_1)
	v_wmma_f32_16x16x16_f16 v[85:92], v[57:64], v[109:116], v[85:92]
	ds_load_b128 v[61:64], v79 offset:7184
	ds_load_b128 v[57:60], v79 offset:7168
	;; [unrolled: 1-line block ×4, first 2 shown]
	s_waitcnt lgkmcnt(10)
	v_wmma_f32_16x16x16_f16 v[85:92], v[49:56], v[117:124], v[85:92]
	s_waitcnt lgkmcnt(8)
	s_delay_alu instid0(VALU_DEP_1)
	v_wmma_f32_16x16x16_f16 v[85:92], v[49:56], v[125:132], v[85:92]
	ds_load_b128 v[53:56], v79 offset:9232
	ds_load_b128 v[49:52], v79 offset:9216
	s_waitcnt lgkmcnt(8)
	v_wmma_f32_16x16x16_f16 v[85:92], v[41:48], v[65:72], v[85:92]
	ds_load_b128 v[69:72], v79 offset:10256
	ds_load_b128 v[65:68], v79 offset:10240
	s_waitcnt lgkmcnt(8)
	;; [unrolled: 4-line block ×7, first 2 shown]
	s_barrier
	buffer_gl0_inv
	v_wmma_f32_16x16x16_f16 v[85:92], v[33:40], v[41:48], v[85:92]
	s_delay_alu instid0(VALU_DEP_1) | instskip(NEXT) | instid1(VALU_DEP_1)
	v_wmma_f32_16x16x16_f16 v[85:92], v[33:40], v[57:64], v[85:92]
	v_wmma_f32_16x16x16_f16 v[85:92], v[25:32], v[9:16], v[85:92]
	s_delay_alu instid0(VALU_DEP_1) | instskip(NEXT) | instid1(VALU_DEP_1)
	v_wmma_f32_16x16x16_f16 v[85:92], v[25:32], v[49:56], v[85:92]
	v_wmma_f32_16x16x16_f16 v[85:92], v[17:24], v[1:8], v[85:92]
	s_delay_alu instid0(VALU_DEP_1) | instskip(NEXT) | instid1(VALU_DEP_2)
	v_cvt_f16_f32_e32 v1, v85
	v_cvt_f16_f32_e32 v2, v86
	s_delay_alu instid0(VALU_DEP_3) | instskip(NEXT) | instid1(VALU_DEP_4)
	v_cvt_f16_f32_e32 v3, v87
	v_cvt_f16_f32_e32 v4, v88
	;; [unrolled: 1-line block ×6, first 2 shown]
	v_pack_b32_f16 v1, v1, v2
	v_pack_b32_f16 v2, v3, v4
	v_pack_b32_f16 v3, v5, v6
	s_delay_alu instid0(VALU_DEP_4)
	v_pack_b32_f16 v4, v7, v8
	ds_store_b128 v78, v[1:4]
	s_waitcnt lgkmcnt(0)
	s_barrier
	buffer_gl0_inv
	ds_load_b128 v[1:4], v81
	ds_load_b128 v[5:8], v81 offset:16
	s_waitcnt lgkmcnt(1)
	v_lshrrev_b32_e32 v9, 16, v1
	s_waitcnt lgkmcnt(0)
	v_lshrrev_b32_e32 v13, 16, v5
	v_lshrrev_b32_e32 v15, 16, v7
	;; [unrolled: 1-line block ×4, first 2 shown]
	v_cndmask_b32_e64 v17, v1, v9, s3
	v_cndmask_b32_e64 v18, v5, v13, s3
	;; [unrolled: 1-line block ×3, first 2 shown]
	v_cmp_eq_u32_e64 s3, 2, v82
	v_cndmask_b32_e64 v20, v5, v13, s5
	v_cndmask_b32_e32 v21, v1, v9, vcc_lo
	v_cndmask_b32_e32 v22, v5, v13, vcc_lo
	v_cndmask_b32_e64 v1, v1, v9, s4
	v_cndmask_b32_e64 v5, v5, v13, s4
	v_cmp_eq_u32_e32 vcc_lo, 2, v84
	v_cmp_eq_u32_e64 s4, 2, v83
	v_cndmask_b32_e64 v9, v17, v2, s6
	v_cndmask_b32_e64 v13, v18, v6, s6
	;; [unrolled: 1-line block ×4, first 2 shown]
	v_cndmask_b32_e32 v19, v21, v2, vcc_lo
	v_cmp_eq_u32_e64 s3, 3, v84
	v_cndmask_b32_e32 v20, v22, v6, vcc_lo
	v_cndmask_b32_e64 v1, v1, v2, s4
	v_cmp_eq_u32_e32 vcc_lo, 3, v83
	v_cmp_eq_u32_e64 s5, 3, v80
	v_cndmask_b32_e64 v2, v5, v6, s4
	v_cmp_eq_u32_e64 s4, 3, v82
	v_lshrrev_b32_e32 v16, 16, v8
	v_cmp_eq_u32_e64 s6, 4, v80
	v_cndmask_b32_e64 v5, v9, v10, s5
	v_cndmask_b32_e64 v6, v13, v14, s5
	v_cndmask_b32_e64 v9, v17, v10, s4
	v_cmp_eq_u32_e64 s5, 4, v82
	v_cndmask_b32_e64 v13, v18, v14, s4
	v_cndmask_b32_e64 v17, v19, v10, s3
	;; [unrolled: 1-line block ×3, first 2 shown]
	v_cndmask_b32_e32 v1, v1, v10, vcc_lo
	v_cndmask_b32_e32 v2, v2, v14, vcc_lo
	v_cmp_eq_u32_e32 vcc_lo, 4, v84
	v_cmp_eq_u32_e64 s4, 4, v83
	v_lshrrev_b32_e32 v11, 16, v3
	v_cndmask_b32_e64 v5, v5, v3, s6
	v_cndmask_b32_e64 v6, v6, v7, s6
	;; [unrolled: 1-line block ×4, first 2 shown]
	v_cndmask_b32_e32 v13, v17, v3, vcc_lo
	v_cmp_eq_u32_e64 s3, 5, v84
	v_cndmask_b32_e32 v14, v18, v7, vcc_lo
	v_cndmask_b32_e64 v1, v1, v3, s4
	v_cmp_eq_u32_e32 vcc_lo, 5, v83
	v_cmp_eq_u32_e64 s5, 5, v80
	v_cndmask_b32_e64 v2, v2, v7, s4
	v_cmp_eq_u32_e64 s4, 5, v82
	v_cmp_eq_u32_e64 s6, 6, v80
	v_cndmask_b32_e32 v1, v1, v11, vcc_lo
	v_cndmask_b32_e64 v3, v5, v11, s5
	v_cndmask_b32_e64 v5, v6, v15, s5
	;; [unrolled: 1-line block ×3, first 2 shown]
	v_cmp_eq_u32_e64 s5, 6, v82
	v_cndmask_b32_e64 v7, v10, v15, s4
	v_cndmask_b32_e64 v9, v13, v11, s3
	v_cndmask_b32_e64 v10, v14, v15, s3
	v_cndmask_b32_e32 v2, v2, v15, vcc_lo
	v_cmp_eq_u32_e32 vcc_lo, 6, v84
	v_cmp_eq_u32_e64 s3, 6, v83
	v_lshrrev_b32_e32 v12, 16, v4
	v_cndmask_b32_e64 v3, v3, v4, s6
	v_cndmask_b32_e64 v5, v5, v8, s6
	;; [unrolled: 1-line block ×4, first 2 shown]
	v_cndmask_b32_e32 v9, v9, v4, vcc_lo
	v_cmp_eq_u32_e64 s4, 7, v84
	v_cndmask_b32_e32 v10, v10, v8, vcc_lo
	v_cndmask_b32_e64 v1, v1, v4, s3
	v_cmp_eq_u32_e32 vcc_lo, 7, v83
	v_cndmask_b32_e64 v2, v2, v8, s3
	v_cmp_eq_u32_e64 s3, 7, v80
	v_cmp_eq_u32_e64 s5, 7, v82
	v_cndmask_b32_e32 v1, v1, v12, vcc_lo
	s_delay_alu instid0(VALU_DEP_4) | instskip(NEXT) | instid1(VALU_DEP_4)
	v_cndmask_b32_e32 v2, v2, v16, vcc_lo
	v_cndmask_b32_e64 v8, v3, v12, s3
	s_delay_alu instid0(VALU_DEP_4)
	v_cndmask_b32_e64 v6, v6, v12, s5
	v_cndmask_b32_e64 v3, v9, v12, s4
	v_cndmask_b32_e64 v9, v10, v16, s4
	v_cndmask_b32_e64 v7, v7, v16, s5
	v_cndmask_b32_e64 v5, v5, v16, s3
	v_perm_b32 v4, v2, v1, 0x5040100
	s_mov_b32 s3, exec_lo
	v_perm_b32 v3, v9, v3, 0x5040100
	v_perm_b32 v2, v7, v6, 0x5040100
	;; [unrolled: 1-line block ×3, first 2 shown]
	ds_store_b128 v78, v[1:4]
	s_waitcnt lgkmcnt(0)
	s_barrier
	buffer_gl0_inv
	v_cmpx_gt_u32_e32 32, v0
	s_cbranch_execz .LBB376_2
; %bb.17:
	s_load_b64 s[4:5], s[0:1], 0x68
	v_lshlrev_b32_e32 v0, 10, v0
	v_lshlrev_b32_e32 v1, 4, v76
	s_lshl_b32 s0, s35, 7
	v_add_nc_u32_e32 v7, s31, v75
	s_mul_i32 s1, s0, s34
	s_delay_alu instid0(SALU_CYCLE_1) | instskip(SKIP_1) | instid1(VALU_DEP_2)
	s_mul_i32 s6, s1, s7
	v_and_or_b32 v0, 0x3800, v0, v1
	v_mul_lo_u32 v1, v7, s0
	v_add_nc_u32_e32 v2, 2, v7
	s_ashr_i32 s7, s6, 31
	v_add_nc_u32_e32 v4, 4, v7
	s_lshl_b64 s[6:7], s[6:7], 1
	v_add_nc_u32_e32 v8, 6, v7
	v_mul_lo_u32 v3, v2, s0
	v_lshl_or_b32 v19, v75, 6, v0
	v_ashrrev_i32_e32 v2, 31, v1
	v_mul_lo_u32 v11, v4, s0
	v_mul_lo_u32 v25, v8, s0
	s_waitcnt lgkmcnt(0)
	s_add_u32 s1, s4, s6
	s_addc_u32 s3, s5, s7
	s_lshl_b32 s4, s14, 7
	v_lshlrev_b64 v[5:6], 1, v[1:2]
	s_ashr_i32 s5, s4, 31
	v_ashrrev_i32_e32 v4, 31, v3
	s_lshl_b64 s[4:5], s[4:5], 1
	v_ashrrev_i32_e32 v12, 31, v11
	s_add_u32 s1, s1, s4
	s_addc_u32 s3, s3, s5
	v_add_co_u32 v1, vcc_lo, s1, v73
	v_add_co_ci_u32_e32 v2, vcc_lo, s3, v74, vcc_lo
	v_lshlrev_b64 v[3:4], 1, v[3:4]
	s_delay_alu instid0(VALU_DEP_3) | instskip(SKIP_1) | instid1(VALU_DEP_4)
	v_add_co_u32 v23, vcc_lo, v1, v5
	v_add_nc_u32_e32 v5, 8, v7
	v_add_co_ci_u32_e32 v24, vcc_lo, v2, v6, vcc_lo
	s_delay_alu instid0(VALU_DEP_4) | instskip(NEXT) | instid1(VALU_DEP_3)
	v_add_co_u32 v27, vcc_lo, v1, v3
	v_mul_lo_u32 v29, v5, s0
	v_add_co_ci_u32_e32 v28, vcc_lo, v2, v4, vcc_lo
	ds_load_b128 v[3:6], v19
	ds_load_b128 v[7:10], v19 offset:128
	v_lshlrev_b64 v[31:32], 1, v[11:12]
	ds_load_b128 v[11:14], v19 offset:256
	ds_load_b128 v[15:18], v19 offset:384
	;; [unrolled: 1-line block ×3, first 2 shown]
	v_ashrrev_i32_e32 v26, 31, v25
	v_ashrrev_i32_e32 v30, 31, v29
	v_add_co_u32 v31, vcc_lo, v1, v31
	s_delay_alu instid0(VALU_DEP_3) | instskip(NEXT) | instid1(VALU_DEP_3)
	v_lshlrev_b64 v[25:26], 1, v[25:26]
	v_lshlrev_b64 v[29:30], 1, v[29:30]
	v_add_co_ci_u32_e32 v32, vcc_lo, v2, v32, vcc_lo
	s_delay_alu instid0(VALU_DEP_3) | instskip(NEXT) | instid1(VALU_DEP_4)
	v_add_co_u32 v25, vcc_lo, v1, v25
	v_add_co_ci_u32_e32 v26, vcc_lo, v2, v26, vcc_lo
	s_delay_alu instid0(VALU_DEP_4)
	v_add_co_u32 v29, vcc_lo, v1, v29
	v_add_co_ci_u32_e32 v30, vcc_lo, v2, v30, vcc_lo
	s_waitcnt lgkmcnt(4)
	global_store_b128 v[23:24], v[3:6], off
	s_waitcnt lgkmcnt(3)
	global_store_b128 v[27:28], v[7:10], off
	;; [unrolled: 2-line block ×5, first 2 shown]
	s_and_b32 exec_lo, exec_lo, s2
	s_cbranch_execz .LBB376_2
; %bb.18:
	ds_load_b128 v[3:6], v0 offset:640
	s_add_i32 s1, s31, 10
	s_delay_alu instid0(SALU_CYCLE_1) | instskip(NEXT) | instid1(SALU_CYCLE_1)
	s_mul_i32 s0, s1, s0
	s_ashr_i32 s1, s0, 31
	s_delay_alu instid0(SALU_CYCLE_1) | instskip(NEXT) | instid1(SALU_CYCLE_1)
	s_lshl_b64 s[0:1], s[0:1], 1
	v_add_co_u32 v0, vcc_lo, v1, s0
	v_add_co_ci_u32_e32 v1, vcc_lo, s1, v2, vcc_lo
	s_waitcnt lgkmcnt(0)
	global_store_b128 v[0:1], v[3:6], off
	s_nop 0
	s_sendmsg sendmsg(MSG_DEALLOC_VGPRS)
	s_endpgm
	.section	.rodata,"a",@progbits
	.p2align	6, 0x0
	.amdhsa_kernel _Z39paged_attention_ll4mi_QKV_mfma16_kernelIDF16_DF16_LN4vllm18Fp8KVCacheDataTypeE0EDF16_Li32ELi128ELi256ELb0ELi11EL8MFMAType0EEvPKT_PKT0_S8_ifPKiSA_SA_iPKfiiiPfSD_PS3_PT2_iSC_SC_
		.amdhsa_group_segment_fixed_size 17472
		.amdhsa_private_segment_fixed_size 0
		.amdhsa_kernarg_size 400
		.amdhsa_user_sgpr_count 13
		.amdhsa_user_sgpr_dispatch_ptr 0
		.amdhsa_user_sgpr_queue_ptr 0
		.amdhsa_user_sgpr_kernarg_segment_ptr 1
		.amdhsa_user_sgpr_dispatch_id 0
		.amdhsa_user_sgpr_private_segment_size 0
		.amdhsa_wavefront_size32 1
		.amdhsa_uses_dynamic_stack 0
		.amdhsa_enable_private_segment 0
		.amdhsa_system_sgpr_workgroup_id_x 1
		.amdhsa_system_sgpr_workgroup_id_y 1
		.amdhsa_system_sgpr_workgroup_id_z 1
		.amdhsa_system_sgpr_workgroup_info 0
		.amdhsa_system_vgpr_workitem_id 0
		.amdhsa_next_free_vgpr 172
		.amdhsa_next_free_sgpr 39
		.amdhsa_reserve_vcc 1
		.amdhsa_float_round_mode_32 0
		.amdhsa_float_round_mode_16_64 0
		.amdhsa_float_denorm_mode_32 3
		.amdhsa_float_denorm_mode_16_64 3
		.amdhsa_dx10_clamp 1
		.amdhsa_ieee_mode 1
		.amdhsa_fp16_overflow 0
		.amdhsa_workgroup_processor_mode 1
		.amdhsa_memory_ordered 1
		.amdhsa_forward_progress 0
		.amdhsa_shared_vgpr_count 0
		.amdhsa_exception_fp_ieee_invalid_op 0
		.amdhsa_exception_fp_denorm_src 0
		.amdhsa_exception_fp_ieee_div_zero 0
		.amdhsa_exception_fp_ieee_overflow 0
		.amdhsa_exception_fp_ieee_underflow 0
		.amdhsa_exception_fp_ieee_inexact 0
		.amdhsa_exception_int_div_zero 0
	.end_amdhsa_kernel
	.section	.text._Z39paged_attention_ll4mi_QKV_mfma16_kernelIDF16_DF16_LN4vllm18Fp8KVCacheDataTypeE0EDF16_Li32ELi128ELi256ELb0ELi11EL8MFMAType0EEvPKT_PKT0_S8_ifPKiSA_SA_iPKfiiiPfSD_PS3_PT2_iSC_SC_,"axG",@progbits,_Z39paged_attention_ll4mi_QKV_mfma16_kernelIDF16_DF16_LN4vllm18Fp8KVCacheDataTypeE0EDF16_Li32ELi128ELi256ELb0ELi11EL8MFMAType0EEvPKT_PKT0_S8_ifPKiSA_SA_iPKfiiiPfSD_PS3_PT2_iSC_SC_,comdat
.Lfunc_end376:
	.size	_Z39paged_attention_ll4mi_QKV_mfma16_kernelIDF16_DF16_LN4vllm18Fp8KVCacheDataTypeE0EDF16_Li32ELi128ELi256ELb0ELi11EL8MFMAType0EEvPKT_PKT0_S8_ifPKiSA_SA_iPKfiiiPfSD_PS3_PT2_iSC_SC_, .Lfunc_end376-_Z39paged_attention_ll4mi_QKV_mfma16_kernelIDF16_DF16_LN4vllm18Fp8KVCacheDataTypeE0EDF16_Li32ELi128ELi256ELb0ELi11EL8MFMAType0EEvPKT_PKT0_S8_ifPKiSA_SA_iPKfiiiPfSD_PS3_PT2_iSC_SC_
                                        ; -- End function
	.section	.AMDGPU.csdata,"",@progbits
; Kernel info:
; codeLenInByte = 7656
; NumSgprs: 41
; NumVgprs: 172
; ScratchSize: 0
; MemoryBound: 0
; FloatMode: 240
; IeeeMode: 1
; LDSByteSize: 17472 bytes/workgroup (compile time only)
; SGPRBlocks: 5
; VGPRBlocks: 21
; NumSGPRsForWavesPerEU: 41
; NumVGPRsForWavesPerEU: 172
; Occupancy: 8
; WaveLimiterHint : 1
; COMPUTE_PGM_RSRC2:SCRATCH_EN: 0
; COMPUTE_PGM_RSRC2:USER_SGPR: 13
; COMPUTE_PGM_RSRC2:TRAP_HANDLER: 0
; COMPUTE_PGM_RSRC2:TGID_X_EN: 1
; COMPUTE_PGM_RSRC2:TGID_Y_EN: 1
; COMPUTE_PGM_RSRC2:TGID_Z_EN: 1
; COMPUTE_PGM_RSRC2:TIDIG_COMP_CNT: 0
	.section	.text._Z39paged_attention_ll4mi_QKV_mfma16_kernelIDF16_DF16_LN4vllm18Fp8KVCacheDataTypeE0EDF16_Li32ELi128ELi256ELb0ELi12EL8MFMAType0EEvPKT_PKT0_S8_ifPKiSA_SA_iPKfiiiPfSD_PS3_PT2_iSC_SC_,"axG",@progbits,_Z39paged_attention_ll4mi_QKV_mfma16_kernelIDF16_DF16_LN4vllm18Fp8KVCacheDataTypeE0EDF16_Li32ELi128ELi256ELb0ELi12EL8MFMAType0EEvPKT_PKT0_S8_ifPKiSA_SA_iPKfiiiPfSD_PS3_PT2_iSC_SC_,comdat
	.protected	_Z39paged_attention_ll4mi_QKV_mfma16_kernelIDF16_DF16_LN4vllm18Fp8KVCacheDataTypeE0EDF16_Li32ELi128ELi256ELb0ELi12EL8MFMAType0EEvPKT_PKT0_S8_ifPKiSA_SA_iPKfiiiPfSD_PS3_PT2_iSC_SC_ ; -- Begin function _Z39paged_attention_ll4mi_QKV_mfma16_kernelIDF16_DF16_LN4vllm18Fp8KVCacheDataTypeE0EDF16_Li32ELi128ELi256ELb0ELi12EL8MFMAType0EEvPKT_PKT0_S8_ifPKiSA_SA_iPKfiiiPfSD_PS3_PT2_iSC_SC_
	.globl	_Z39paged_attention_ll4mi_QKV_mfma16_kernelIDF16_DF16_LN4vllm18Fp8KVCacheDataTypeE0EDF16_Li32ELi128ELi256ELb0ELi12EL8MFMAType0EEvPKT_PKT0_S8_ifPKiSA_SA_iPKfiiiPfSD_PS3_PT2_iSC_SC_
	.p2align	8
	.type	_Z39paged_attention_ll4mi_QKV_mfma16_kernelIDF16_DF16_LN4vllm18Fp8KVCacheDataTypeE0EDF16_Li32ELi128ELi256ELb0ELi12EL8MFMAType0EEvPKT_PKT0_S8_ifPKiSA_SA_iPKfiiiPfSD_PS3_PT2_iSC_SC_,@function
_Z39paged_attention_ll4mi_QKV_mfma16_kernelIDF16_DF16_LN4vllm18Fp8KVCacheDataTypeE0EDF16_Li32ELi128ELi256ELb0ELi12EL8MFMAType0EEvPKT_PKT0_S8_ifPKiSA_SA_iPKfiiiPfSD_PS3_PT2_iSC_SC_: ; @_Z39paged_attention_ll4mi_QKV_mfma16_kernelIDF16_DF16_LN4vllm18Fp8KVCacheDataTypeE0EDF16_Li32ELi128ELi256ELb0ELi12EL8MFMAType0EEvPKT_PKT0_S8_ifPKiSA_SA_iPKfiiiPfSD_PS3_PT2_iSC_SC_
; %bb.0:
	s_load_b64 s[2:3], s[0:1], 0x30
	s_mov_b32 s30, s13
	s_waitcnt lgkmcnt(0)
	s_cmp_lg_u64 s[2:3], 0
	s_cselect_b32 s6, -1, 0
	s_ashr_i32 s31, s13, 31
	s_cmp_eq_u64 s[2:3], 0
	s_cbranch_scc1 .LBB377_3
; %bb.1:
	s_lshl_b64 s[4:5], s[30:31], 2
	s_delay_alu instid0(SALU_CYCLE_1) | instskip(SKIP_4) | instid1(SALU_CYCLE_1)
	s_add_u32 s4, s2, s4
	s_addc_u32 s5, s3, s5
	s_load_b64 s[4:5], s[4:5], 0x0
	s_waitcnt lgkmcnt(0)
	s_sub_i32 s4, s5, s4
	s_cmp_eq_u32 s4, 1
	s_cselect_b32 s4, -1, 0
	s_delay_alu instid0(SALU_CYCLE_1)
	s_and_not1_b32 vcc_lo, exec_lo, s4
	s_cbranch_vccz .LBB377_4
.LBB377_2:
	s_endpgm
.LBB377_3:
.LBB377_4:
	s_load_b64 s[8:9], s[0:1], 0x28
	s_lshl_b64 s[4:5], s[30:31], 2
	s_waitcnt lgkmcnt(0)
	s_add_u32 s8, s8, s4
	s_addc_u32 s9, s9, s5
	s_lshl_b32 s12, s14, 8
	s_load_b32 s17, s[8:9], 0x0
	s_waitcnt lgkmcnt(0)
	s_cmp_ge_i32 s12, s17
	s_cbranch_scc1 .LBB377_2
; %bb.5:
	s_and_not1_b32 vcc_lo, exec_lo, s6
	s_cbranch_vccnz .LBB377_7
; %bb.6:
	s_add_u32 s2, s2, s4
	s_addc_u32 s3, s3, s5
	s_load_b32 s13, s[2:3], 0x0
	s_branch .LBB377_8
.LBB377_7:
	s_mov_b32 s13, s30
.LBB377_8:
	s_clause 0x2
	s_load_b128 s[8:11], s[0:1], 0x8
	s_load_b64 s[2:3], s[0:1], 0x20
	s_load_b128 s[4:7], s[0:1], 0x48
	v_and_b32_e32 v77, 15, v0
	s_waitcnt lgkmcnt(0)
	s_mov_b32 s7, exec_lo
	s_delay_alu instid0(VALU_DEP_1)
	v_lshlrev_b32_e32 v1, 3, v77
	v_cmpx_lt_u32_e32 0xbf, v0
	s_xor_b32 s7, exec_lo, s7
; %bb.9:
	v_mov_b32_e32 v2, 0
; %bb.10:
	s_or_saveexec_b32 s7, s7
	v_lshrrev_b32_e32 v78, 5, v0
	v_and_b32_e32 v80, 31, v0
	v_and_b32_e32 v76, 1, v0
	v_bfe_u32 v75, v0, 4, 1
	s_mul_i32 s31, s15, 12
	s_xor_b32 exec_lo, exec_lo, s7
	s_cbranch_execz .LBB377_12
; %bb.11:
	s_load_b64 s[18:19], s[0:1], 0x0
	v_lshl_or_b32 v7, v78, 1, v75
	s_mul_hi_i32 s21, s13, s4
	s_mul_i32 s20, s13, s4
	v_lshlrev_b32_e32 v4, 1, v1
	s_lshl_b64 s[20:21], s[20:21], 1
	v_add_lshl_u32 v2, v7, s31, 7
	v_lshlrev_b32_e32 v7, 6, v7
	v_lshlrev_b32_e32 v8, 10, v76
	s_delay_alu instid0(VALU_DEP_3) | instskip(NEXT) | instid1(VALU_DEP_1)
	v_ashrrev_i32_e32 v3, 31, v2
	v_lshlrev_b64 v[2:3], 1, v[2:3]
	s_waitcnt lgkmcnt(0)
	s_add_u32 s4, s18, s20
	s_addc_u32 s13, s19, s21
	s_delay_alu instid0(VALU_DEP_1) | instskip(NEXT) | instid1(VALU_DEP_2)
	v_add_co_u32 v2, vcc_lo, s4, v2
	v_add_co_ci_u32_e32 v3, vcc_lo, s13, v3, vcc_lo
	s_delay_alu instid0(VALU_DEP_2) | instskip(NEXT) | instid1(VALU_DEP_2)
	v_add_co_u32 v2, vcc_lo, v2, v4
	v_add_co_ci_u32_e32 v3, vcc_lo, 0, v3, vcc_lo
	global_load_b128 v[3:6], v[2:3], off
	v_lshlrev_b32_e32 v2, 10, v77
	s_delay_alu instid0(VALU_DEP_1) | instskip(NEXT) | instid1(VALU_DEP_1)
	v_and_b32_e32 v2, 0x3800, v2
	v_or3_b32 v7, v2, v8, v7
	v_mov_b32_e32 v2, 0
	s_waitcnt vmcnt(0)
	ds_store_b128 v7, v[3:6]
.LBB377_12:
	s_or_b32 exec_lo, exec_lo, s7
	v_and_b32_e32 v3, 0xef, v0
	s_add_i32 s4, s17, 31
	s_clause 0x1
	s_load_b32 s7, s[0:1], 0x38
	s_load_b32 s33, s[0:1], 0x98
	s_ashr_i32 s13, s4, 31
	v_add_nc_u32_e32 v3, s12, v3
	s_lshr_b32 s13, s13, 27
	s_load_b32 s18, s[0:1], 0x1c
	s_add_i32 s4, s4, s13
	s_waitcnt lgkmcnt(0)
	v_ashrrev_i32_e32 v4, 31, v3
	v_cmp_gt_i32_e32 vcc_lo, s17, v3
	s_ashr_i32 s4, s4, 5
	s_barrier
	s_add_i32 s4, s4, -1
	v_lshrrev_b32_e32 v5, 27, v4
	v_or_b32_e32 v4, 16, v3
	buffer_gl0_inv
	v_lshlrev_b64 v[73:74], 1, v[1:2]
	v_lshlrev_b32_e32 v79, 6, v77
	v_add_nc_u32_e32 v6, v3, v5
	v_add_nc_u32_e32 v5, v4, v5
	s_mul_i32 s20, s30, s7
	s_delay_alu instid0(SALU_CYCLE_1) | instskip(NEXT) | instid1(VALU_DEP_2)
	s_ashr_i32 s21, s20, 31
	v_ashrrev_i32_e32 v6, 5, v6
	s_delay_alu instid0(VALU_DEP_2) | instskip(SKIP_1) | instid1(SALU_CYCLE_1)
	v_ashrrev_i32_e32 v5, 5, v5
	s_lshl_b64 s[20:21], s[20:21], 2
	s_add_u32 s13, s2, s20
	s_delay_alu instid0(VALU_DEP_2) | instskip(SKIP_3) | instid1(SALU_CYCLE_1)
	v_cndmask_b32_e32 v3, s4, v6, vcc_lo
	v_cmp_gt_i32_e32 vcc_lo, s17, v4
	s_addc_u32 s16, s3, s21
	s_mul_i32 s2, s15, s6
	s_ashr_i32 s3, s2, 31
	v_cndmask_b32_e32 v5, s4, v5, vcc_lo
	v_ashrrev_i32_e32 v4, 31, v3
	s_lshl_b64 s[2:3], s[2:3], 1
	s_delay_alu instid0(SALU_CYCLE_1) | instskip(NEXT) | instid1(VALU_DEP_2)
	s_add_u32 s15, s8, s2
	v_ashrrev_i32_e32 v6, 31, v5
	s_delay_alu instid0(VALU_DEP_2) | instskip(SKIP_2) | instid1(VALU_DEP_2)
	v_lshlrev_b64 v[3:4], 2, v[3:4]
	s_addc_u32 s19, s9, s3
	s_lshl_b32 s6, s14, 3
	v_lshlrev_b64 v[5:6], 2, v[5:6]
	s_ashr_i32 s7, s6, 31
	s_delay_alu instid0(VALU_DEP_2) | instskip(SKIP_1) | instid1(VALU_DEP_3)
	v_add_co_u32 v3, vcc_lo, s13, v3
	v_add_co_ci_u32_e32 v4, vcc_lo, s16, v4, vcc_lo
	v_add_co_u32 v5, vcc_lo, s13, v5
	s_delay_alu instid0(VALU_DEP_4)
	v_add_co_ci_u32_e32 v6, vcc_lo, s16, v6, vcc_lo
	s_lshl_b64 s[6:7], s[6:7], 2
	s_clause 0x1
	global_load_b32 v7, v[3:4], off
	global_load_b32 v8, v[5:6], off
	s_add_u32 s6, s13, s6
	s_addc_u32 s7, s16, s7
	s_or_b32 s8, s12, 32
	s_delay_alu instid0(SALU_CYCLE_1) | instskip(SKIP_2) | instid1(SALU_CYCLE_1)
	s_ashr_i32 s9, s8, 5
	s_cmp_lt_i32 s8, s17
	s_cselect_b32 s8, s9, s4
	s_ashr_i32 s9, s8, 31
	s_delay_alu instid0(SALU_CYCLE_1) | instskip(NEXT) | instid1(SALU_CYCLE_1)
	s_lshl_b64 s[8:9], s[8:9], 2
	s_add_u32 s8, s13, s8
	s_addc_u32 s9, s16, s9
	s_or_b32 s20, s12, 64
	s_delay_alu instid0(SALU_CYCLE_1) | instskip(SKIP_2) | instid1(SALU_CYCLE_1)
	s_ashr_i32 s21, s20, 5
	s_cmp_lt_i32 s20, s17
	s_cselect_b32 s20, s21, s4
	s_ashr_i32 s21, s20, 31
	s_delay_alu instid0(SALU_CYCLE_1) | instskip(NEXT) | instid1(SALU_CYCLE_1)
	s_lshl_b64 s[20:21], s[20:21], 2
	;; [unrolled: 10-line block ×5, first 2 shown]
	s_add_u32 s26, s13, s26
	s_addc_u32 s27, s16, s27
	s_clause 0x5
	s_load_b32 s28, s[6:7], 0x0
	s_load_b32 s29, s[8:9], 0x0
	s_load_b32 s34, s[20:21], 0x0
	s_load_b32 s35, s[22:23], 0x0
	s_load_b32 s36, s[24:25], 0x0
	s_load_b32 s37, s[26:27], 0x0
	s_mov_b32 s20, 0
	s_or_b32 s6, s12, 0xc0
	s_mov_b32 s21, s20
	s_mov_b32 s22, s20
	;; [unrolled: 1-line block ×7, first 2 shown]
	s_ashr_i32 s7, s6, 5
	v_mov_b32_e32 v128, s27
	s_cmp_lt_i32 s6, s17
	v_mov_b32_e32 v127, s26
	s_cselect_b32 s6, s7, s4
	v_mov_b32_e32 v126, s25
	s_ashr_i32 s7, s6, 31
	v_mov_b32_e32 v125, s24
	s_lshl_b64 s[6:7], s[6:7], 2
	v_mov_b32_e32 v124, s23
	s_add_u32 s6, s13, s6
	s_addc_u32 s7, s16, s7
	v_mov_b32_e32 v123, s22
	v_mov_b32_e32 v121, s20
	s_waitcnt lgkmcnt(0)
	s_mul_hi_i32 s9, s28, s5
	s_mul_i32 s8, s28, s5
	v_mov_b32_e32 v122, s21
	s_mul_hi_i32 s21, s29, s5
	s_mul_i32 s20, s29, s5
	s_mul_hi_i32 s25, s34, s5
	s_mul_i32 s24, s34, s5
	;; [unrolled: 2-line block ×4, first 2 shown]
	s_waitcnt vmcnt(1)
	v_mad_i64_i32 v[3:4], null, v7, s5, 0
	s_waitcnt vmcnt(0)
	v_mad_i64_i32 v[5:6], null, v8, s5, 0
	s_delay_alu instid0(VALU_DEP_2) | instskip(NEXT) | instid1(VALU_DEP_2)
	v_lshlrev_b64 v[3:4], 1, v[3:4]
	v_lshlrev_b64 v[1:2], 1, v[5:6]
	s_delay_alu instid0(VALU_DEP_2) | instskip(NEXT) | instid1(VALU_DEP_3)
	v_add_co_u32 v3, vcc_lo, s15, v3
	v_add_co_ci_u32_e32 v4, vcc_lo, s19, v4, vcc_lo
	s_delay_alu instid0(VALU_DEP_3) | instskip(NEXT) | instid1(VALU_DEP_4)
	v_add_co_u32 v1, vcc_lo, s15, v1
	v_add_co_ci_u32_e32 v2, vcc_lo, s19, v2, vcc_lo
	s_delay_alu instid0(VALU_DEP_4) | instskip(NEXT) | instid1(VALU_DEP_4)
	v_add_co_u32 v65, vcc_lo, v3, v73
	v_add_co_ci_u32_e32 v66, vcc_lo, v4, v74, vcc_lo
	s_delay_alu instid0(VALU_DEP_4) | instskip(NEXT) | instid1(VALU_DEP_4)
	v_add_co_u32 v67, vcc_lo, v1, v73
	v_add_co_ci_u32_e32 v68, vcc_lo, v2, v74, vcc_lo
	s_clause 0xf
	global_load_b128 v[1:4], v[65:66], off
	global_load_b128 v[5:8], v[65:66], off offset:512
	global_load_b128 v[9:12], v[67:68], off offset:256
	;; [unrolled: 1-line block ×15, first 2 shown]
	v_add_co_u32 v157, vcc_lo, 0x1000, v65
	v_add_co_ci_u32_e32 v158, vcc_lo, 0, v66, vcc_lo
	v_add_co_u32 v165, vcc_lo, 0x1000, v67
	v_add_co_ci_u32_e32 v166, vcc_lo, 0, v68, vcc_lo
	s_clause 0x7
	global_load_b128 v[81:84], v[157:158], off
	global_load_b128 v[85:88], v[157:158], off offset:512
	global_load_b128 v[89:92], v[165:166], off offset:256
	;; [unrolled: 1-line block ×7, first 2 shown]
	v_add_nc_u32_e32 v65, -12, v77
	v_cmp_gt_u32_e32 vcc_lo, 12, v77
	s_or_b32 s15, s12, 0xe0
	s_delay_alu instid0(SALU_CYCLE_1) | instskip(SKIP_3) | instid1(SALU_CYCLE_1)
	s_ashr_i32 s19, s15, 5
	s_cmp_lt_i32 s15, s17
	v_cndmask_b32_e32 v65, v65, v77, vcc_lo
	s_cselect_b32 s22, s19, s4
	s_ashr_i32 s23, s22, 31
	s_delay_alu instid0(VALU_DEP_1)
	v_lshlrev_b32_e32 v169, 6, v65
	ds_load_b128 v[65:68], v169
	ds_load_b128 v[69:72], v169 offset:1024
	s_clause 0x1
	global_load_b128 v[113:116], v[157:158], off offset:2048
	global_load_b128 v[117:120], v[157:158], off offset:2560
	ds_load_b128 v[129:132], v169 offset:2048
	ds_load_b128 v[133:136], v169 offset:3072
	s_clause 0x5
	global_load_b128 v[145:148], v[165:166], off offset:2304
	global_load_b128 v[149:152], v[165:166], off offset:2816
	;; [unrolled: 1-line block ×6, first 2 shown]
	s_lshl_b64 s[22:23], s[22:23], 2
	s_delay_alu instid0(SALU_CYCLE_1) | instskip(SKIP_2) | instid1(SALU_CYCLE_1)
	s_add_u32 s22, s13, s22
	s_addc_u32 s23, s16, s23
	s_add_i32 s15, s12, 0x100
	s_ashr_i32 s19, s15, 5
	s_cmp_lt_i32 s15, s17
	s_cselect_b32 s28, s19, s4
	s_delay_alu instid0(SALU_CYCLE_1) | instskip(NEXT) | instid1(SALU_CYCLE_1)
	s_ashr_i32 s29, s28, 31
	s_lshl_b64 s[28:29], s[28:29], 2
	s_delay_alu instid0(SALU_CYCLE_1)
	s_add_u32 s28, s13, s28
	s_addc_u32 s29, s16, s29
	s_add_u32 s4, s10, s2
	s_addc_u32 s19, s11, s3
	s_lshl_b64 s[2:3], s[8:9], 1
	s_lshl_b64 s[8:9], s[20:21], 1
	;; [unrolled: 1-line block ×4, first 2 shown]
	s_waitcnt vmcnt(30) lgkmcnt(2)
	v_wmma_f32_16x16x16_f16 v[137:144], v[1:8], v[65:72], v[121:128]
	ds_load_b128 v[1:4], v169 offset:4096
	ds_load_b128 v[5:8], v169 offset:5120
	s_waitcnt vmcnt(28)
	v_wmma_f32_16x16x16_f16 v[121:128], v[9:16], v[65:72], v[121:128]
	ds_load_b128 v[9:12], v169 offset:6144
	ds_load_b128 v[13:16], v169 offset:7168
	s_waitcnt vmcnt(26) lgkmcnt(4)
	v_wmma_f32_16x16x16_f16 v[137:144], v[17:24], v[129:136], v[137:144]
	ds_load_b128 v[17:20], v169 offset:8192
	ds_load_b128 v[21:24], v169 offset:9216
	s_waitcnt vmcnt(24)
	v_wmma_f32_16x16x16_f16 v[121:128], v[25:32], v[129:136], v[121:128]
	v_lshl_or_b32 v25, v78, 10, v79
	ds_load_b128 v[129:132], v169 offset:10240
	ds_load_b128 v[133:136], v169 offset:11264
	s_clause 0x2
	s_load_b32 s15, s[6:7], 0x0
	s_load_b32 s13, s[22:23], 0x0
	;; [unrolled: 1-line block ×3, first 2 shown]
	s_mul_hi_i32 s7, s36, s5
	v_add_co_u32 v170, s4, s4, v25
	s_delay_alu instid0(VALU_DEP_1)
	v_add_co_ci_u32_e64 v171, null, s19, 0, s4
	s_mul_i32 s6, s36, s5
	s_lshl_b64 s[22:23], s[34:35], 1
	s_lshl_b64 s[6:7], s[6:7], 1
	s_waitcnt vmcnt(22) lgkmcnt(0)
	v_wmma_f32_16x16x16_f16 v[137:144], v[33:40], v[1:8], v[137:144]
	s_waitcnt vmcnt(20)
	v_wmma_f32_16x16x16_f16 v[121:128], v[41:48], v[1:8], v[121:128]
	v_add_co_u32 v1, vcc_lo, v170, s2
	v_add_co_ci_u32_e32 v2, vcc_lo, s3, v171, vcc_lo
	v_add_co_u32 v3, vcc_lo, v170, s8
	v_add_co_ci_u32_e32 v4, vcc_lo, s9, v171, vcc_lo
	;; [unrolled: 2-line block ×4, first 2 shown]
	v_add_co_u32 v25, vcc_lo, v170, s6
	s_mul_hi_i32 s25, s15, s5
	s_mul_i32 s24, s15, s5
	v_add_co_ci_u32_e32 v26, vcc_lo, s7, v171, vcc_lo
	v_add_co_u32 v27, vcc_lo, v170, s22
	s_lshl_b64 s[24:25], s[24:25], 1
	s_waitcnt vmcnt(18)
	v_wmma_f32_16x16x16_f16 v[137:144], v[49:56], v[9:16], v[137:144]
	s_waitcnt vmcnt(16)
	v_wmma_f32_16x16x16_f16 v[121:128], v[57:64], v[9:16], v[121:128]
	v_add_co_ci_u32_e32 v28, vcc_lo, s23, v171, vcc_lo
	s_mul_hi_i32 s3, s13, s5
	s_mul_i32 s2, s13, s5
	v_add_co_u32 v29, vcc_lo, v170, s24
	s_lshl_b64 s[2:3], s[2:3], 1
	v_add_co_ci_u32_e32 v30, vcc_lo, s25, v171, vcc_lo
	s_waitcnt vmcnt(14)
	v_wmma_f32_16x16x16_f16 v[137:144], v[81:88], v[17:24], v[137:144]
	s_waitcnt vmcnt(12)
	v_wmma_f32_16x16x16_f16 v[121:128], v[89:96], v[17:24], v[121:128]
	v_add_co_u32 v17, vcc_lo, v170, s2
	v_add_co_ci_u32_e32 v18, vcc_lo, s3, v171, vcc_lo
	s_mul_hi_i32 s3, s16, s5
	s_mul_i32 s2, s16, s5
	s_clause 0x5
	global_load_b128 v[65:68], v[1:2], off
	global_load_b128 v[69:72], v[1:2], off offset:16
	global_load_b128 v[57:60], v[3:4], off
	global_load_b128 v[61:64], v[3:4], off offset:16
	;; [unrolled: 2-line block ×3, first 2 shown]
	s_lshl_b64 s[2:3], s[2:3], 1
	s_clause 0x1
	global_load_b128 v[41:44], v[7:8], off
	global_load_b128 v[45:48], v[7:8], off offset:16
	v_add_co_u32 v21, vcc_lo, v170, s2
	v_add_co_ci_u32_e32 v22, vcc_lo, s3, v171, vcc_lo
	s_clause 0x9
	global_load_b128 v[9:12], v[25:26], off
	global_load_b128 v[13:16], v[25:26], off offset:16
	global_load_b128 v[1:4], v[27:28], off
	global_load_b128 v[5:8], v[27:28], off offset:16
	;; [unrolled: 2-line block ×5, first 2 shown]
	ds_load_b128 v[81:84], v169 offset:12288
	ds_load_b128 v[85:88], v169 offset:13312
	v_and_b32_e32 v89, 0xe0, v0
	s_waitcnt vmcnt(28)
	v_wmma_f32_16x16x16_f16 v[137:144], v[97:104], v[129:136], v[137:144]
	v_mbcnt_lo_u32_b32 v97, -1, 0
	s_waitcnt vmcnt(26)
	v_wmma_f32_16x16x16_f16 v[121:128], v[105:112], v[129:136], v[121:128]
	v_add_nc_u32_e32 v98, s12, v89
	ds_load_b128 v[89:92], v169 offset:14336
	ds_load_b128 v[93:96], v169 offset:15360
	v_xor_b32_e32 v99, 16, v97
	s_waitcnt vmcnt(0) lgkmcnt(0)
	s_barrier
	v_or_b32_e32 v98, v98, v75
	buffer_gl0_inv
	v_cmp_gt_i32_e32 vcc_lo, 32, v99
	v_or_b32_e32 v100, 4, v98
	v_or_b32_e32 v101, 22, v98
	;; [unrolled: 1-line block ×4, first 2 shown]
	v_wmma_f32_16x16x16_f16 v[137:144], v[113:120], v[81:88], v[137:144]
	v_wmma_f32_16x16x16_f16 v[121:128], v[145:152], v[81:88], v[121:128]
	v_or_b32_e32 v81, 6, v98
	v_or_b32_e32 v82, 8, v98
	;; [unrolled: 1-line block ×3, first 2 shown]
	v_cmp_gt_i32_e64 s3, s17, v100
	v_or_b32_e32 v84, 12, v98
	v_wmma_f32_16x16x16_f16 v[137:144], v[153:160], v[89:96], v[137:144]
	v_wmma_f32_16x16x16_f16 v[121:128], v[161:168], v[89:96], v[121:128]
	v_cndmask_b32_e32 v97, v97, v99, vcc_lo
	v_or_b32_e32 v99, 2, v98
	v_cmp_gt_i32_e32 vcc_lo, s17, v98
	v_dual_mul_f32 v95, s18, v138 :: v_dual_mul_f32 v96, s18, v137
	v_mul_f32_e32 v93, s18, v140
	s_delay_alu instid0(VALU_DEP_4)
	v_cmp_gt_i32_e64 s2, s17, v99
	v_mul_f32_e32 v94, s18, v139
	v_mul_f32_e32 v110, s18, v124
	v_cndmask_b32_e32 v96, 0xff7fffff, v96, vcc_lo
	v_cmp_gt_i32_e64 s4, s17, v81
	v_cndmask_b32_e64 v95, 0xff7fffff, v95, s2
	v_or_b32_e32 v85, 14, v98
	v_dual_mul_f32 v91, s18, v142 :: v_dual_mul_f32 v92, s18, v141
	v_cndmask_b32_e64 v94, 0xff7fffff, v94, s3
	v_cndmask_b32_e64 v81, 0xff7fffff, v93, s4
	v_max3_f32 v93, v96, 0xff7fffff, v95
	v_cmp_gt_i32_e64 s5, s17, v82
	v_cmp_gt_i32_e64 s6, s17, v83
	v_or_b32_e32 v86, 16, v98
	v_or_b32_e32 v87, 18, v98
	v_dual_mul_f32 v89, s18, v144 :: v_dual_mul_f32 v112, s18, v122
	v_mul_f32_e32 v90, s18, v143
	v_cndmask_b32_e64 v82, 0xff7fffff, v92, s5
	v_cndmask_b32_e64 v83, 0xff7fffff, v91, s6
	v_max3_f32 v81, v93, v94, v81
	v_cmp_gt_i32_e64 s7, s17, v84
	v_cmp_gt_i32_e64 s8, s17, v85
	v_or_b32_e32 v88, 20, v98
	v_mul_f32_e32 v113, s18, v121
	v_max3_f32 v81, v81, v82, v83
	v_cndmask_b32_e64 v84, 0xff7fffff, v90, s7
	v_cndmask_b32_e64 v85, 0xff7fffff, v89, s8
	v_cmp_gt_i32_e64 s9, s17, v86
	v_cmp_gt_i32_e64 s10, s17, v87
	v_mul_f32_e32 v111, s18, v123
	v_cmp_gt_i32_e64 s11, s17, v88
	v_max3_f32 v81, v81, v84, v85
	v_cndmask_b32_e64 v82, 0xff7fffff, v113, s9
	v_cndmask_b32_e64 v83, 0xff7fffff, v112, s10
	v_cmp_gt_i32_e64 s12, s17, v101
	v_or_b32_e32 v104, 28, v98
	v_or_b32_e32 v105, 30, v98
	v_dual_mul_f32 v108, s18, v126 :: v_dual_mul_f32 v109, s18, v125
	v_cndmask_b32_e64 v84, 0xff7fffff, v111, s11
	v_cndmask_b32_e64 v85, 0xff7fffff, v110, s12
	v_max3_f32 v81, v81, v82, v83
	v_cmp_gt_i32_e64 s13, s17, v102
	v_cmp_gt_i32_e64 s15, s17, v103
	v_dual_mul_f32 v106, s18, v128 :: v_dual_mul_f32 v107, s18, v127
	s_delay_alu instid0(VALU_DEP_4) | instskip(NEXT) | instid1(VALU_DEP_4)
	v_max3_f32 v81, v81, v84, v85
	v_cndmask_b32_e64 v82, 0xff7fffff, v109, s13
	s_delay_alu instid0(VALU_DEP_4) | instskip(SKIP_2) | instid1(VALU_DEP_3)
	v_cndmask_b32_e64 v83, 0xff7fffff, v108, s15
	v_cmp_gt_i32_e64 s16, s17, v104
	v_cmp_gt_i32_e64 s17, s17, v105
	v_max3_f32 v81, v81, v82, v83
	s_delay_alu instid0(VALU_DEP_3) | instskip(NEXT) | instid1(VALU_DEP_3)
	v_cndmask_b32_e64 v84, 0xff7fffff, v107, s16
	v_cndmask_b32_e64 v85, 0xff7fffff, v106, s17
	v_lshlrev_b32_e32 v83, 2, v97
	s_delay_alu instid0(VALU_DEP_2) | instskip(SKIP_3) | instid1(VALU_DEP_1)
	v_max3_f32 v81, v81, v84, v85
	ds_bpermute_b32 v82, v83, v81
	s_waitcnt lgkmcnt(0)
	v_max_f32_e32 v82, v82, v82
	v_max_f32_e32 v81, v81, v82
	s_delay_alu instid0(VALU_DEP_1)
	v_fma_f32 v82, s18, v137, -v81
	v_fma_f32 v84, s18, v138, -v81
	;; [unrolled: 1-line block ×5, first 2 shown]
	v_mul_f32_e32 v82, 0x3fb8aa3b, v82
	s_delay_alu instid0(VALU_DEP_4) | instskip(NEXT) | instid1(VALU_DEP_3)
	v_dual_mul_f32 v84, 0x3fb8aa3b, v84 :: v_dual_mul_f32 v85, 0x3fb8aa3b, v85
	v_dual_mul_f32 v86, 0x3fb8aa3b, v86 :: v_dual_mul_f32 v89, 0x3fb8aa3b, v87
	s_delay_alu instid0(VALU_DEP_3) | instskip(NEXT) | instid1(VALU_DEP_2)
	v_exp_f32_e32 v82, v82
	v_exp_f32_e32 v84, v84
	s_delay_alu instid0(VALU_DEP_2) | instskip(NEXT) | instid1(VALU_DEP_1)
	v_exp_f32_e32 v85, v85
	v_exp_f32_e32 v86, v86
	v_exp_f32_e32 v92, v89
	v_cndmask_b32_e32 v88, 0, v82, vcc_lo
	v_cndmask_b32_e64 v87, 0, v84, s2
	s_delay_alu instid0(TRANS32_DEP_3)
	v_cndmask_b32_e64 v90, 0, v85, s3
	s_waitcnt_depctr 0xfff
	v_cndmask_b32_e64 v89, 0, v86, s4
	v_cndmask_b32_e64 v92, 0, v92, s5
	v_add_f32_e32 v84, 0, v88
	s_mov_b32 s2, exec_lo
	s_delay_alu instid0(VALU_DEP_1) | instskip(NEXT) | instid1(VALU_DEP_1)
	v_add_f32_e32 v84, v84, v87
	v_add_f32_e32 v84, v84, v90
	s_delay_alu instid0(VALU_DEP_1)
	v_add_f32_e32 v84, v84, v89
	v_fma_f32 v82, s18, v142, -v81
	v_fma_f32 v91, s18, v143, -v81
	;; [unrolled: 1-line block ×5, first 2 shown]
	s_delay_alu instid0(VALU_DEP_4) | instskip(SKIP_1) | instid1(VALU_DEP_4)
	v_dual_mul_f32 v82, 0x3fb8aa3b, v82 :: v_dual_mul_f32 v91, 0x3fb8aa3b, v91
	v_fma_f32 v96, s18, v124, -v81
	v_mul_f32_e32 v86, 0x3fb8aa3b, v86
	s_delay_alu instid0(VALU_DEP_4) | instskip(NEXT) | instid1(VALU_DEP_4)
	v_mul_f32_e32 v95, 0x3fb8aa3b, v94
	v_exp_f32_e32 v82, v82
	v_exp_f32_e32 v93, v91
	v_mul_f32_e32 v97, 0x3fb8aa3b, v96
	v_exp_f32_e32 v86, v86
	v_fma_f32 v99, s18, v127, -v81
	s_delay_alu instid0(VALU_DEP_2) | instskip(SKIP_2) | instid1(TRANS32_DEP_3)
	v_exp_f32_e32 v97, v97
	v_cndmask_b32_e64 v91, 0, v82, s6
	v_dual_add_f32 v82, v84, v92 :: v_dual_mul_f32 v85, 0x3fb8aa3b, v85
	v_cndmask_b32_e64 v94, 0, v93, s7
	v_fma_f32 v84, s18, v123, -v81
	s_delay_alu instid0(TRANS32_DEP_2) | instskip(NEXT) | instid1(VALU_DEP_4)
	v_cndmask_b32_e64 v96, 0, v86, s9
	v_add_f32_e32 v82, v82, v91
	v_exp_f32_e32 v85, v85
	v_fma_f32 v86, s18, v126, -v81
	v_mul_f32_e32 v84, 0x3fb8aa3b, v84
	v_cndmask_b32_e64 v97, 0, v97, s12
	v_add_f32_e32 v82, v82, v94
	s_delay_alu instid0(VALU_DEP_3) | instskip(SKIP_3) | instid1(VALU_DEP_2)
	v_exp_f32_e32 v84, v84
	s_waitcnt_depctr 0xfff
	v_cndmask_b32_e64 v93, 0, v85, s8
	v_fma_f32 v85, s18, v125, -v81
	v_add_f32_e32 v82, v82, v93
	v_exp_f32_e32 v95, v95
	s_delay_alu instid0(VALU_DEP_2)
	v_mul_f32_e32 v85, 0x3fb8aa3b, v85
	v_cndmask_b32_e64 v98, 0, v84, s11
	v_mul_f32_e32 v84, 0x3fb8aa3b, v99
	v_add_f32_e32 v82, v82, v96
	v_fma_f32 v99, s18, v128, -v81
	v_exp_f32_e32 v85, v85
	v_mul_f32_e32 v86, 0x3fb8aa3b, v86
	v_exp_f32_e32 v84, v84
	s_delay_alu instid0(TRANS32_DEP_3) | instskip(NEXT) | instid1(VALU_DEP_1)
	v_cndmask_b32_e64 v95, 0, v95, s10
	v_add_f32_e32 v82, v82, v95
	s_waitcnt_depctr 0xfff
	v_cndmask_b32_e64 v100, 0, v85, s13
	v_mul_f32_e32 v85, 0x3fb8aa3b, v99
	v_exp_f32_e32 v86, v86
	v_cndmask_b32_e64 v102, 0, v84, s16
	v_add_f32_e32 v82, v82, v98
	s_delay_alu instid0(VALU_DEP_3) | instskip(NEXT) | instid1(VALU_DEP_1)
	v_exp_f32_e32 v85, v85
	v_add_f32_e32 v82, v82, v97
	s_waitcnt_depctr 0xfff
	v_cndmask_b32_e64 v99, 0, v86, s15
	v_add_f32_e32 v82, v82, v100
	v_cndmask_b32_e64 v101, 0, v85, s17
	s_delay_alu instid0(VALU_DEP_2) | instskip(NEXT) | instid1(VALU_DEP_1)
	v_add_f32_e32 v82, v82, v99
	v_add_f32_e32 v82, v82, v102
	s_delay_alu instid0(VALU_DEP_1)
	v_add_f32_e32 v82, v82, v101
	ds_bpermute_b32 v83, v83, v82
	v_cmpx_gt_u32_e32 16, v80
	s_cbranch_execz .LBB377_14
; %bb.13:
	v_mul_u32_u24_e32 v80, 0x44, v78
	s_waitcnt lgkmcnt(0)
	v_add_f32_e32 v82, v82, v83
	s_delay_alu instid0(VALU_DEP_2) | instskip(NEXT) | instid1(VALU_DEP_1)
	v_lshl_add_u32 v80, v77, 2, v80
	v_add_nc_u32_e32 v80, 0x4000, v80
	ds_store_2addr_b32 v80, v81, v82 offset1:136
.LBB377_14:
	s_or_b32 exec_lo, exec_lo, s2
	v_lshlrev_b32_e32 v80, 2, v77
	s_load_b32 s34, s[0:1], 0x94
	s_waitcnt lgkmcnt(0)
	s_barrier
	buffer_gl0_inv
	v_add_nc_u32_e32 v84, 0x4000, v80
	v_cmp_eq_u32_e32 vcc_lo, 1, v78
	v_cmp_eq_u32_e64 s2, 2, v78
	v_cmp_eq_u32_e64 s3, 3, v78
	;; [unrolled: 1-line block ×3, first 2 shown]
	ds_load_2addr_b32 v[80:81], v84 offset1:17
	ds_load_2addr_b32 v[82:83], v84 offset0:34 offset1:51
	ds_load_2addr_b32 v[103:104], v84 offset0:68 offset1:85
	;; [unrolled: 1-line block ×3, first 2 shown]
	v_cmp_eq_u32_e64 s5, 7, v78
	s_waitcnt lgkmcnt(3)
	v_max3_f32 v85, v80, 0xff7fffff, v81
	s_waitcnt lgkmcnt(2)
	s_delay_alu instid0(VALU_DEP_1) | instskip(SKIP_1) | instid1(VALU_DEP_1)
	v_max3_f32 v85, v85, v82, v83
	s_waitcnt lgkmcnt(1)
	v_max3_f32 v85, v85, v103, v104
	s_waitcnt lgkmcnt(0)
	s_delay_alu instid0(VALU_DEP_1) | instskip(NEXT) | instid1(VALU_DEP_1)
	v_max3_f32 v85, v85, v105, v106
	v_sub_f32_e32 v103, v103, v85
	ds_load_2addr_b32 v[107:108], v84 offset0:136 offset1:153
	v_sub_f32_e32 v80, v80, v85
	v_dual_sub_f32 v110, v83, v85 :: v_dual_mul_f32 v113, 0x3fb8aa3b, v103
	s_delay_alu instid0(VALU_DEP_2) | instskip(SKIP_3) | instid1(VALU_DEP_1)
	v_dual_sub_f32 v86, v81, v85 :: v_dual_mul_f32 v109, 0x3fb8aa3b, v80
	ds_load_2addr_b32 v[80:81], v84 offset0:170 offset1:187
	v_mul_f32_e32 v86, 0x3fb8aa3b, v86
	v_exp_f32_e32 v109, v109
	v_exp_f32_e32 v112, v86
	v_mul_f32_e32 v110, 0x3fb8aa3b, v110
	s_waitcnt lgkmcnt(1)
	s_waitcnt_depctr 0xfff
	v_fma_f32 v86, v109, v107, 0
	v_sub_f32_e32 v107, v104, v85
	v_sub_f32_e32 v82, v82, v85
	v_exp_f32_e32 v110, v110
	ds_load_2addr_b32 v[103:104], v84 offset0:238 offset1:255
	v_dual_fmac_f32 v86, v112, v108 :: v_dual_mul_f32 v111, 0x3fb8aa3b, v82
	ds_load_2addr_b32 v[82:83], v84 offset0:204 offset1:221
	v_dual_sub_f32 v84, v105, v85 :: v_dual_mul_f32 v105, 0x3fb8aa3b, v107
	v_exp_f32_e32 v107, v113
	v_exp_f32_e32 v111, v111
	s_waitcnt lgkmcnt(0)
	s_delay_alu instid0(VALU_DEP_1)
	v_mul_f32_e32 v84, 0x3fb8aa3b, v84
	v_exp_f32_e32 v105, v105
	s_barrier
	buffer_gl0_inv
	v_fmac_f32_e32 v86, v111, v80
	v_sub_f32_e32 v80, v106, v85
	v_exp_f32_e32 v106, v84
	s_delay_alu instid0(VALU_DEP_2) | instskip(NEXT) | instid1(VALU_DEP_2)
	v_fmac_f32_e32 v86, v110, v81
	v_mul_f32_e32 v80, 0x3fb8aa3b, v80
	s_delay_alu instid0(VALU_DEP_2) | instskip(NEXT) | instid1(VALU_DEP_2)
	v_dual_cndmask_b32 v81, v109, v112 :: v_dual_fmac_f32 v86, v107, v82
	v_exp_f32_e32 v108, v80
	s_delay_alu instid0(VALU_DEP_1) | instskip(SKIP_2) | instid1(VALU_DEP_1)
	v_fmac_f32_e32 v86, v105, v83
	s_waitcnt_depctr 0xfff
	v_fmac_f32_e32 v86, v106, v103
	v_fmac_f32_e32 v86, v108, v104
	s_delay_alu instid0(VALU_DEP_1) | instskip(NEXT) | instid1(VALU_DEP_1)
	v_add_f32_e32 v103, 0x358637bd, v86
	v_div_scale_f32 v104, null, v103, v103, 1.0
	v_div_scale_f32 v109, vcc_lo, 1.0, v103, 1.0
	s_delay_alu instid0(VALU_DEP_2) | instskip(SKIP_2) | instid1(VALU_DEP_1)
	v_rcp_f32_e32 v113, v104
	s_waitcnt_depctr 0xfff
	v_fma_f32 v80, -v104, v113, 1.0
	v_fmac_f32_e32 v113, v80, v113
	v_cndmask_b32_e64 v80, v81, v111, s2
	v_cmp_eq_u32_e64 s2, 4, v78
	v_lshl_or_b32 v81, v78, 11, v79
	s_delay_alu instid0(VALU_DEP_4) | instskip(NEXT) | instid1(VALU_DEP_4)
	v_mul_f32_e32 v111, v109, v113
	v_cndmask_b32_e64 v82, v80, v110, s3
	v_cmp_eq_u32_e64 s3, 6, v78
	s_delay_alu instid0(VALU_DEP_4) | instskip(SKIP_3) | instid1(VALU_DEP_3)
	v_lshl_or_b32 v78, v75, 4, v81
	v_lshlrev_b32_e32 v80, 2, v75
	v_fma_f32 v83, -v104, v111, v109
	v_cndmask_b32_e64 v84, v82, v107, s2
	v_or_b32_e32 v82, 1, v80
	s_delay_alu instid0(VALU_DEP_3) | instskip(NEXT) | instid1(VALU_DEP_3)
	v_fmac_f32_e32 v111, v83, v113
	v_cndmask_b32_e64 v105, v84, v105, s4
	v_or_b32_e32 v84, 2, v80
	v_or_b32_e32 v83, 3, v80
	v_cmp_eq_u32_e64 s2, 1, v80
	v_fma_f32 v104, -v104, v111, v109
	v_cndmask_b32_e64 v105, v105, v106, s3
	v_cmp_eq_u32_e64 s8, 1, v82
	v_cmp_eq_u32_e64 s9, 1, v84
	;; [unrolled: 1-line block ×3, first 2 shown]
	v_div_fmas_f32 v104, v104, v113, v111
	v_cndmask_b32_e64 v105, v105, v108, s5
	v_cmp_eq_u32_e32 vcc_lo, 2, v80
	v_cmp_eq_u32_e64 s11, 2, v82
	v_cmp_eq_u32_e64 s13, 2, v84
	v_div_fixup_f32 v103, v104, v103, 1.0
	v_cmp_eq_u32_e64 s15, 2, v83
	v_cmp_eq_u32_e64 s17, 3, v83
	;; [unrolled: 1-line block ×4, first 2 shown]
	v_mul_f32_e32 v111, v105, v103
	v_cmp_eq_u32_e64 s16, 3, v84
	v_cmp_eq_u32_e64 s21, 4, v83
	;; [unrolled: 1-line block ×4, first 2 shown]
	v_fma_mixlo_f16 v103, v111, v88, 0
	v_fma_mixlo_f16 v104, v111, v90, 0
	;; [unrolled: 1-line block ×8, first 2 shown]
	v_fma_mixhi_f16 v103, v111, v87, 0
	v_fma_mixhi_f16 v104, v111, v89, 0
	;; [unrolled: 1-line block ×8, first 2 shown]
	ds_store_b128 v78, v[103:106]
	ds_store_b128 v78, v[107:110] offset:1024
	s_waitcnt lgkmcnt(0)
	s_barrier
	buffer_gl0_inv
	ds_load_b128 v[87:90], v81
	ds_load_b128 v[91:94], v81 offset:16
	ds_load_b128 v[95:98], v81 offset:1024
	;; [unrolled: 1-line block ×3, first 2 shown]
	v_cmp_eq_u32_e64 s20, 4, v84
	v_cmp_eq_u32_e64 s23, 5, v83
	;; [unrolled: 1-line block ×13, first 2 shown]
	s_waitcnt lgkmcnt(3)
	v_lshrrev_b32_e32 v103, 16, v87
	s_waitcnt lgkmcnt(2)
	v_lshrrev_b32_e32 v107, 16, v91
	;; [unrolled: 2-line block ×4, first 2 shown]
	v_lshrrev_b32_e32 v104, 16, v88
	v_cndmask_b32_e64 v119, v87, v103, s2
	v_cndmask_b32_e64 v120, v91, v107, s2
	;; [unrolled: 1-line block ×8, first 2 shown]
	v_lshrrev_b32_e32 v108, 16, v92
	v_cndmask_b32_e64 v103, v95, v111, s2
	v_cndmask_b32_e64 v107, v99, v115, s2
	;; [unrolled: 1-line block ×5, first 2 shown]
	v_cndmask_b32_e32 v111, v119, v88, vcc_lo
	v_cndmask_b32_e64 v119, v121, v88, s11
	v_cndmask_b32_e64 v121, v123, v88, s13
	;; [unrolled: 1-line block ×4, first 2 shown]
	v_lshrrev_b32_e32 v112, 16, v96
	v_lshrrev_b32_e32 v116, 16, v100
	v_cndmask_b32_e64 v126, v99, v115, s8
	v_cndmask_b32_e64 v128, v99, v115, s9
	;; [unrolled: 1-line block ×3, first 2 shown]
	v_cndmask_b32_e32 v115, v120, v92, vcc_lo
	v_cndmask_b32_e64 v120, v122, v92, s11
	v_cndmask_b32_e64 v122, v124, v92, s13
	v_cndmask_b32_e32 v91, v103, v96, vcc_lo
	v_cndmask_b32_e32 v92, v107, v100, vcc_lo
	v_cndmask_b32_e64 v103, v125, v96, s11
	v_cndmask_b32_e64 v87, v87, v104, s17
	v_cndmask_b32_e64 v88, v88, v108, s17
	v_lshrrev_b32_e32 v105, 16, v89
	v_lshrrev_b32_e32 v109, 16, v93
	v_cndmask_b32_e64 v107, v127, v96, s13
	v_cndmask_b32_e64 v95, v95, v96, s15
	;; [unrolled: 1-line block ×14, first 2 shown]
	v_lshrrev_b32_e32 v113, 16, v97
	v_cndmask_b32_e64 v99, v99, v89, s4
	v_cndmask_b32_e64 v104, v111, v93, s4
	;; [unrolled: 1-line block ×11, first 2 shown]
	v_lshrrev_b32_e32 v106, 16, v90
	v_lshrrev_b32_e32 v110, 16, v94
	v_cndmask_b32_e64 v93, v99, v105, s5
	v_cndmask_b32_e64 v99, v104, v109, s5
	;; [unrolled: 1-line block ×9, first 2 shown]
	v_lshrrev_b32_e32 v114, 16, v98
	v_cndmask_b32_e64 v89, v89, v113, s5
	v_cndmask_b32_e64 v93, v93, v90, s6
	;; [unrolled: 1-line block ×19, first 2 shown]
	v_perm_b32 v90, v88, v87, 0x5040100
	v_cndmask_b32_e64 v87, v126, v100, s11
	v_cndmask_b32_e64 v105, v89, v114, s7
	v_perm_b32 v89, v103, v99, 0x5040100
	v_perm_b32 v88, v104, v94, 0x5040100
	v_cndmask_b32_e64 v94, v107, v112, s16
	v_cndmask_b32_e64 v95, v95, v112, s17
	;; [unrolled: 1-line block ×5, first 2 shown]
	v_lshrrev_b32_e32 v117, 16, v101
	v_cndmask_b32_e64 v94, v94, v97, s20
	v_cndmask_b32_e64 v95, v95, v97, s21
	;; [unrolled: 1-line block ×11, first 2 shown]
	v_lshrrev_b32_e32 v118, 16, v102
	v_cndmask_b32_e64 v91, v91, v102, s6
	v_cndmask_b32_e64 v94, v94, v98, s25
	;; [unrolled: 1-line block ×12, first 2 shown]
	v_perm_b32 v87, v93, v92, 0x5040100
	v_perm_b32 v94, v95, v94, 0x5040100
	;; [unrolled: 1-line block ×5, first 2 shown]
	s_mul_i32 s6, s33, 12
	s_mov_b32 s2, exec_lo
	ds_store_b128 v78, v[87:90]
	ds_store_b128 v78, v[91:94] offset:1024
	v_cmpx_gt_u32_e32 12, v0
	s_cbranch_execz .LBB377_16
; %bb.15:
	s_mul_i32 s3, s6, s30
	s_load_b128 s[8:11], s[0:1], 0x58
	v_add3_u32 v77, s3, s31, v77
	s_delay_alu instid0(VALU_DEP_1) | instskip(NEXT) | instid1(VALU_DEP_1)
	v_mad_u64_u32 v[87:88], null, v77, s34, s[14:15]
	v_ashrrev_i32_e32 v88, 31, v87
	s_delay_alu instid0(VALU_DEP_1) | instskip(SKIP_1) | instid1(VALU_DEP_1)
	v_lshlrev_b64 v[87:88], 2, v[87:88]
	s_waitcnt lgkmcnt(0)
	v_add_co_u32 v89, vcc_lo, s10, v87
	s_delay_alu instid0(VALU_DEP_2)
	v_add_co_ci_u32_e32 v90, vcc_lo, s11, v88, vcc_lo
	v_add_co_u32 v87, vcc_lo, s8, v87
	v_add_co_ci_u32_e32 v88, vcc_lo, s9, v88, vcc_lo
	global_store_b32 v[89:90], v85, off
	global_store_b32 v[87:88], v86, off
.LBB377_16:
	s_or_b32 exec_lo, exec_lo, s2
	s_waitcnt lgkmcnt(0)
	s_waitcnt_vscnt null, 0x0
	s_barrier
	buffer_gl0_inv
	ds_load_b128 v[93:96], v79
	ds_load_b128 v[97:100], v79 offset:16
	ds_load_b128 v[105:108], v79 offset:1040
	;; [unrolled: 1-line block ×5, first 2 shown]
	v_cmp_eq_u32_e32 vcc_lo, 1, v84
	v_mov_b32_e32 v85, 0
	ds_load_b128 v[121:124], v79 offset:3088
	ds_load_b128 v[117:120], v79 offset:3072
	;; [unrolled: 1-line block ×4, first 2 shown]
	v_cmp_eq_u32_e64 s2, 1, v80
	v_cmp_eq_u32_e64 s3, 1, v83
	;; [unrolled: 1-line block ×3, first 2 shown]
	v_mov_b32_e32 v86, v85
	v_mov_b32_e32 v87, v85
	;; [unrolled: 1-line block ×7, first 2 shown]
	v_cmp_eq_u32_e64 s5, 2, v80
	s_waitcnt lgkmcnt(8)
	s_delay_alu instid0(VALU_DEP_2)
	v_wmma_f32_16x16x16_f16 v[85:92], v[65:72], v[93:100], v[85:92]
	ds_load_b128 v[69:72], v79 offset:5136
	ds_load_b128 v[65:68], v79 offset:5120
	;; [unrolled: 1-line block ×4, first 2 shown]
	s_waitcnt lgkmcnt(10)
	v_wmma_f32_16x16x16_f16 v[85:92], v[57:64], v[101:108], v[85:92]
	s_waitcnt lgkmcnt(8)
	s_delay_alu instid0(VALU_DEP_1)
	v_wmma_f32_16x16x16_f16 v[85:92], v[57:64], v[109:116], v[85:92]
	ds_load_b128 v[61:64], v79 offset:7184
	ds_load_b128 v[57:60], v79 offset:7168
	;; [unrolled: 1-line block ×4, first 2 shown]
	s_waitcnt lgkmcnt(10)
	v_wmma_f32_16x16x16_f16 v[85:92], v[49:56], v[117:124], v[85:92]
	s_waitcnt lgkmcnt(8)
	s_delay_alu instid0(VALU_DEP_1)
	v_wmma_f32_16x16x16_f16 v[85:92], v[49:56], v[125:132], v[85:92]
	ds_load_b128 v[53:56], v79 offset:9232
	ds_load_b128 v[49:52], v79 offset:9216
	s_waitcnt lgkmcnt(8)
	v_wmma_f32_16x16x16_f16 v[85:92], v[41:48], v[65:72], v[85:92]
	ds_load_b128 v[69:72], v79 offset:10256
	ds_load_b128 v[65:68], v79 offset:10240
	s_waitcnt lgkmcnt(8)
	;; [unrolled: 4-line block ×7, first 2 shown]
	s_barrier
	buffer_gl0_inv
	v_wmma_f32_16x16x16_f16 v[85:92], v[33:40], v[41:48], v[85:92]
	s_delay_alu instid0(VALU_DEP_1) | instskip(NEXT) | instid1(VALU_DEP_1)
	v_wmma_f32_16x16x16_f16 v[85:92], v[33:40], v[57:64], v[85:92]
	v_wmma_f32_16x16x16_f16 v[85:92], v[25:32], v[9:16], v[85:92]
	s_delay_alu instid0(VALU_DEP_1) | instskip(NEXT) | instid1(VALU_DEP_1)
	v_wmma_f32_16x16x16_f16 v[85:92], v[25:32], v[49:56], v[85:92]
	v_wmma_f32_16x16x16_f16 v[85:92], v[17:24], v[1:8], v[85:92]
	s_delay_alu instid0(VALU_DEP_1) | instskip(NEXT) | instid1(VALU_DEP_2)
	v_cvt_f16_f32_e32 v1, v85
	v_cvt_f16_f32_e32 v2, v86
	s_delay_alu instid0(VALU_DEP_3) | instskip(NEXT) | instid1(VALU_DEP_4)
	v_cvt_f16_f32_e32 v3, v87
	v_cvt_f16_f32_e32 v4, v88
	;; [unrolled: 1-line block ×6, first 2 shown]
	v_pack_b32_f16 v1, v1, v2
	v_pack_b32_f16 v2, v3, v4
	;; [unrolled: 1-line block ×3, first 2 shown]
	s_delay_alu instid0(VALU_DEP_4)
	v_pack_b32_f16 v4, v7, v8
	ds_store_b128 v78, v[1:4]
	s_waitcnt lgkmcnt(0)
	s_barrier
	buffer_gl0_inv
	ds_load_b128 v[1:4], v81
	ds_load_b128 v[5:8], v81 offset:16
	s_waitcnt lgkmcnt(1)
	v_lshrrev_b32_e32 v9, 16, v1
	s_waitcnt lgkmcnt(0)
	v_lshrrev_b32_e32 v13, 16, v5
	v_lshrrev_b32_e32 v15, 16, v7
	;; [unrolled: 1-line block ×4, first 2 shown]
	v_cndmask_b32_e64 v17, v1, v9, s2
	v_cndmask_b32_e64 v18, v5, v13, s2
	;; [unrolled: 1-line block ×3, first 2 shown]
	v_cmp_eq_u32_e64 s2, 2, v82
	v_cndmask_b32_e64 v20, v5, v13, s4
	v_cndmask_b32_e32 v21, v1, v9, vcc_lo
	v_cndmask_b32_e32 v22, v5, v13, vcc_lo
	v_cndmask_b32_e64 v1, v1, v9, s3
	v_cndmask_b32_e64 v5, v5, v13, s3
	v_cmp_eq_u32_e32 vcc_lo, 2, v84
	v_cmp_eq_u32_e64 s3, 2, v83
	v_cndmask_b32_e64 v9, v17, v2, s5
	v_cndmask_b32_e64 v13, v18, v6, s5
	;; [unrolled: 1-line block ×4, first 2 shown]
	v_cndmask_b32_e32 v19, v21, v2, vcc_lo
	v_cmp_eq_u32_e64 s2, 3, v84
	v_cndmask_b32_e32 v20, v22, v6, vcc_lo
	v_cndmask_b32_e64 v1, v1, v2, s3
	v_cmp_eq_u32_e32 vcc_lo, 3, v83
	v_cmp_eq_u32_e64 s4, 3, v80
	v_cndmask_b32_e64 v2, v5, v6, s3
	v_cmp_eq_u32_e64 s3, 3, v82
	v_lshrrev_b32_e32 v16, 16, v8
	v_cmp_eq_u32_e64 s5, 4, v80
	v_cndmask_b32_e64 v5, v9, v10, s4
	v_cndmask_b32_e64 v6, v13, v14, s4
	;; [unrolled: 1-line block ×3, first 2 shown]
	v_cmp_eq_u32_e64 s4, 4, v82
	v_cndmask_b32_e64 v13, v18, v14, s3
	v_cndmask_b32_e64 v17, v19, v10, s2
	;; [unrolled: 1-line block ×3, first 2 shown]
	v_cndmask_b32_e32 v1, v1, v10, vcc_lo
	v_cndmask_b32_e32 v2, v2, v14, vcc_lo
	v_cmp_eq_u32_e32 vcc_lo, 4, v84
	v_cmp_eq_u32_e64 s3, 4, v83
	v_lshrrev_b32_e32 v11, 16, v3
	v_cndmask_b32_e64 v5, v5, v3, s5
	v_cndmask_b32_e64 v6, v6, v7, s5
	;; [unrolled: 1-line block ×4, first 2 shown]
	v_cndmask_b32_e32 v13, v17, v3, vcc_lo
	v_cmp_eq_u32_e64 s2, 5, v84
	v_cndmask_b32_e32 v14, v18, v7, vcc_lo
	v_cndmask_b32_e64 v1, v1, v3, s3
	v_cmp_eq_u32_e32 vcc_lo, 5, v83
	v_cmp_eq_u32_e64 s4, 5, v80
	v_cndmask_b32_e64 v2, v2, v7, s3
	v_cmp_eq_u32_e64 s3, 5, v82
	v_cmp_eq_u32_e64 s5, 6, v80
	v_cndmask_b32_e32 v1, v1, v11, vcc_lo
	v_cndmask_b32_e64 v3, v5, v11, s4
	v_cndmask_b32_e64 v5, v6, v15, s4
	;; [unrolled: 1-line block ×3, first 2 shown]
	v_cmp_eq_u32_e64 s4, 6, v82
	v_cndmask_b32_e64 v7, v10, v15, s3
	v_cndmask_b32_e64 v9, v13, v11, s2
	;; [unrolled: 1-line block ×3, first 2 shown]
	v_cndmask_b32_e32 v2, v2, v15, vcc_lo
	v_cmp_eq_u32_e32 vcc_lo, 6, v84
	v_cmp_eq_u32_e64 s2, 6, v83
	v_lshrrev_b32_e32 v12, 16, v4
	v_cndmask_b32_e64 v3, v3, v4, s5
	v_cndmask_b32_e64 v5, v5, v8, s5
	;; [unrolled: 1-line block ×4, first 2 shown]
	v_cndmask_b32_e32 v9, v9, v4, vcc_lo
	v_cmp_eq_u32_e64 s3, 7, v84
	v_cndmask_b32_e32 v10, v10, v8, vcc_lo
	v_cndmask_b32_e64 v1, v1, v4, s2
	v_cmp_eq_u32_e32 vcc_lo, 7, v83
	v_cndmask_b32_e64 v2, v2, v8, s2
	v_cmp_eq_u32_e64 s2, 7, v80
	v_cmp_eq_u32_e64 s4, 7, v82
	v_cndmask_b32_e32 v1, v1, v12, vcc_lo
	s_delay_alu instid0(VALU_DEP_4) | instskip(NEXT) | instid1(VALU_DEP_4)
	v_cndmask_b32_e32 v2, v2, v16, vcc_lo
	v_cndmask_b32_e64 v8, v3, v12, s2
	s_delay_alu instid0(VALU_DEP_4)
	v_cndmask_b32_e64 v6, v6, v12, s4
	v_cndmask_b32_e64 v3, v9, v12, s3
	;; [unrolled: 1-line block ×5, first 2 shown]
	v_perm_b32 v4, v2, v1, 0x5040100
	s_mov_b32 s2, exec_lo
	v_perm_b32 v3, v9, v3, 0x5040100
	v_perm_b32 v2, v7, v6, 0x5040100
	;; [unrolled: 1-line block ×3, first 2 shown]
	ds_store_b128 v78, v[1:4]
	s_waitcnt lgkmcnt(0)
	s_barrier
	buffer_gl0_inv
	v_cmpx_gt_u32_e32 32, v0
	s_cbranch_execz .LBB377_2
; %bb.17:
	s_load_b64 s[0:1], s[0:1], 0x68
	v_lshlrev_b32_e32 v0, 10, v0
	s_lshl_b32 s4, s34, 7
	v_or_b32_e32 v3, s31, v75
	s_mul_i32 s2, s4, s30
	v_lshlrev_b32_e32 v1, 4, v76
	s_mul_i32 s2, s2, s6
	v_lshlrev_b32_e32 v2, 6, v75
	v_and_b32_e32 v0, 0x3800, v0
	s_ashr_i32 s3, s2, 31
	v_mul_lo_u32 v4, v3, s4
	s_lshl_b64 s[2:3], s[2:3], 1
	s_delay_alu instid0(VALU_DEP_2) | instskip(NEXT) | instid1(VALU_DEP_2)
	v_or3_b32 v16, v0, v1, v2
	v_ashrrev_i32_e32 v5, 31, v4
	ds_load_b128 v[0:3], v16
	s_waitcnt lgkmcnt(0)
	s_add_u32 s2, s0, s2
	s_addc_u32 s3, s1, s3
	s_lshl_b32 s0, s14, 7
	v_lshlrev_b64 v[5:6], 1, v[4:5]
	s_ashr_i32 s1, s0, 31
	s_delay_alu instid0(SALU_CYCLE_1) | instskip(NEXT) | instid1(SALU_CYCLE_1)
	s_lshl_b64 s[0:1], s[0:1], 1
	s_add_u32 s0, s2, s0
	s_addc_u32 s1, s3, s1
	s_lshl_b32 s2, s34, 8
	v_add_co_u32 v30, vcc_lo, s0, v73
	v_add_nc_u32_e32 v8, s2, v4
	v_add_co_ci_u32_e32 v31, vcc_lo, s1, v74, vcc_lo
	s_delay_alu instid0(VALU_DEP_3) | instskip(NEXT) | instid1(VALU_DEP_3)
	v_add_co_u32 v12, vcc_lo, v30, v5
	v_add_nc_u32_e32 v10, s2, v8
	v_ashrrev_i32_e32 v9, 31, v8
	s_delay_alu instid0(VALU_DEP_4)
	v_add_co_ci_u32_e32 v13, vcc_lo, v31, v6, vcc_lo
	ds_load_b128 v[4:7], v16 offset:128
	v_ashrrev_i32_e32 v11, 31, v10
	v_lshlrev_b64 v[8:9], 1, v[8:9]
	v_add_nc_u32_e32 v14, s2, v10
	global_store_b128 v[12:13], v[0:3], off
	v_lshlrev_b64 v[0:1], 1, v[10:11]
	v_ashrrev_i32_e32 v15, 31, v14
	v_add_co_u32 v22, vcc_lo, v30, v8
	v_add_nc_u32_e32 v20, s2, v14
	v_add_co_ci_u32_e32 v23, vcc_lo, v31, v9, vcc_lo
	v_add_co_u32 v26, vcc_lo, v30, v0
	v_lshlrev_b64 v[24:25], 1, v[14:15]
	v_add_co_ci_u32_e32 v27, vcc_lo, v31, v1, vcc_lo
	ds_load_b128 v[0:3], v16 offset:256
	ds_load_b128 v[8:11], v16 offset:384
	;; [unrolled: 1-line block ×4, first 2 shown]
	v_add_nc_u32_e32 v28, s2, v20
	v_ashrrev_i32_e32 v21, 31, v20
	v_add_co_u32 v24, vcc_lo, v30, v24
	v_add_co_ci_u32_e32 v25, vcc_lo, v31, v25, vcc_lo
	s_delay_alu instid0(VALU_DEP_4) | instskip(NEXT) | instid1(VALU_DEP_4)
	v_ashrrev_i32_e32 v29, 31, v28
	v_lshlrev_b64 v[20:21], 1, v[20:21]
	s_delay_alu instid0(VALU_DEP_2) | instskip(NEXT) | instid1(VALU_DEP_2)
	v_lshlrev_b64 v[28:29], 1, v[28:29]
	v_add_co_u32 v20, vcc_lo, v30, v20
	s_delay_alu instid0(VALU_DEP_3) | instskip(NEXT) | instid1(VALU_DEP_3)
	v_add_co_ci_u32_e32 v21, vcc_lo, v31, v21, vcc_lo
	v_add_co_u32 v28, vcc_lo, v30, v28
	s_delay_alu instid0(VALU_DEP_4)
	v_add_co_ci_u32_e32 v29, vcc_lo, v31, v29, vcc_lo
	s_waitcnt lgkmcnt(4)
	global_store_b128 v[22:23], v[4:7], off
	s_waitcnt lgkmcnt(3)
	global_store_b128 v[26:27], v[0:3], off
	s_waitcnt lgkmcnt(2)
	global_store_b128 v[24:25], v[8:11], off
	s_waitcnt lgkmcnt(1)
	global_store_b128 v[20:21], v[12:15], off
	s_waitcnt lgkmcnt(0)
	global_store_b128 v[28:29], v[16:19], off
	s_nop 0
	s_sendmsg sendmsg(MSG_DEALLOC_VGPRS)
	s_endpgm
	.section	.rodata,"a",@progbits
	.p2align	6, 0x0
	.amdhsa_kernel _Z39paged_attention_ll4mi_QKV_mfma16_kernelIDF16_DF16_LN4vllm18Fp8KVCacheDataTypeE0EDF16_Li32ELi128ELi256ELb0ELi12EL8MFMAType0EEvPKT_PKT0_S8_ifPKiSA_SA_iPKfiiiPfSD_PS3_PT2_iSC_SC_
		.amdhsa_group_segment_fixed_size 17472
		.amdhsa_private_segment_fixed_size 0
		.amdhsa_kernarg_size 400
		.amdhsa_user_sgpr_count 13
		.amdhsa_user_sgpr_dispatch_ptr 0
		.amdhsa_user_sgpr_queue_ptr 0
		.amdhsa_user_sgpr_kernarg_segment_ptr 1
		.amdhsa_user_sgpr_dispatch_id 0
		.amdhsa_user_sgpr_private_segment_size 0
		.amdhsa_wavefront_size32 1
		.amdhsa_uses_dynamic_stack 0
		.amdhsa_enable_private_segment 0
		.amdhsa_system_sgpr_workgroup_id_x 1
		.amdhsa_system_sgpr_workgroup_id_y 1
		.amdhsa_system_sgpr_workgroup_id_z 1
		.amdhsa_system_sgpr_workgroup_info 0
		.amdhsa_system_vgpr_workitem_id 0
		.amdhsa_next_free_vgpr 172
		.amdhsa_next_free_sgpr 38
		.amdhsa_reserve_vcc 1
		.amdhsa_float_round_mode_32 0
		.amdhsa_float_round_mode_16_64 0
		.amdhsa_float_denorm_mode_32 3
		.amdhsa_float_denorm_mode_16_64 3
		.amdhsa_dx10_clamp 1
		.amdhsa_ieee_mode 1
		.amdhsa_fp16_overflow 0
		.amdhsa_workgroup_processor_mode 1
		.amdhsa_memory_ordered 1
		.amdhsa_forward_progress 0
		.amdhsa_shared_vgpr_count 0
		.amdhsa_exception_fp_ieee_invalid_op 0
		.amdhsa_exception_fp_denorm_src 0
		.amdhsa_exception_fp_ieee_div_zero 0
		.amdhsa_exception_fp_ieee_overflow 0
		.amdhsa_exception_fp_ieee_underflow 0
		.amdhsa_exception_fp_ieee_inexact 0
		.amdhsa_exception_int_div_zero 0
	.end_amdhsa_kernel
	.section	.text._Z39paged_attention_ll4mi_QKV_mfma16_kernelIDF16_DF16_LN4vllm18Fp8KVCacheDataTypeE0EDF16_Li32ELi128ELi256ELb0ELi12EL8MFMAType0EEvPKT_PKT0_S8_ifPKiSA_SA_iPKfiiiPfSD_PS3_PT2_iSC_SC_,"axG",@progbits,_Z39paged_attention_ll4mi_QKV_mfma16_kernelIDF16_DF16_LN4vllm18Fp8KVCacheDataTypeE0EDF16_Li32ELi128ELi256ELb0ELi12EL8MFMAType0EEvPKT_PKT0_S8_ifPKiSA_SA_iPKfiiiPfSD_PS3_PT2_iSC_SC_,comdat
.Lfunc_end377:
	.size	_Z39paged_attention_ll4mi_QKV_mfma16_kernelIDF16_DF16_LN4vllm18Fp8KVCacheDataTypeE0EDF16_Li32ELi128ELi256ELb0ELi12EL8MFMAType0EEvPKT_PKT0_S8_ifPKiSA_SA_iPKfiiiPfSD_PS3_PT2_iSC_SC_, .Lfunc_end377-_Z39paged_attention_ll4mi_QKV_mfma16_kernelIDF16_DF16_LN4vllm18Fp8KVCacheDataTypeE0EDF16_Li32ELi128ELi256ELb0ELi12EL8MFMAType0EEvPKT_PKT0_S8_ifPKiSA_SA_iPKfiiiPfSD_PS3_PT2_iSC_SC_
                                        ; -- End function
	.section	.AMDGPU.csdata,"",@progbits
; Kernel info:
; codeLenInByte = 7608
; NumSgprs: 40
; NumVgprs: 172
; ScratchSize: 0
; MemoryBound: 0
; FloatMode: 240
; IeeeMode: 1
; LDSByteSize: 17472 bytes/workgroup (compile time only)
; SGPRBlocks: 4
; VGPRBlocks: 21
; NumSGPRsForWavesPerEU: 40
; NumVGPRsForWavesPerEU: 172
; Occupancy: 8
; WaveLimiterHint : 1
; COMPUTE_PGM_RSRC2:SCRATCH_EN: 0
; COMPUTE_PGM_RSRC2:USER_SGPR: 13
; COMPUTE_PGM_RSRC2:TRAP_HANDLER: 0
; COMPUTE_PGM_RSRC2:TGID_X_EN: 1
; COMPUTE_PGM_RSRC2:TGID_Y_EN: 1
; COMPUTE_PGM_RSRC2:TGID_Z_EN: 1
; COMPUTE_PGM_RSRC2:TIDIG_COMP_CNT: 0
	.section	.text._Z39paged_attention_ll4mi_QKV_mfma16_kernelIDF16_DF16_LN4vllm18Fp8KVCacheDataTypeE0EDF16_Li32ELi128ELi256ELb0ELi13EL8MFMAType0EEvPKT_PKT0_S8_ifPKiSA_SA_iPKfiiiPfSD_PS3_PT2_iSC_SC_,"axG",@progbits,_Z39paged_attention_ll4mi_QKV_mfma16_kernelIDF16_DF16_LN4vllm18Fp8KVCacheDataTypeE0EDF16_Li32ELi128ELi256ELb0ELi13EL8MFMAType0EEvPKT_PKT0_S8_ifPKiSA_SA_iPKfiiiPfSD_PS3_PT2_iSC_SC_,comdat
	.protected	_Z39paged_attention_ll4mi_QKV_mfma16_kernelIDF16_DF16_LN4vllm18Fp8KVCacheDataTypeE0EDF16_Li32ELi128ELi256ELb0ELi13EL8MFMAType0EEvPKT_PKT0_S8_ifPKiSA_SA_iPKfiiiPfSD_PS3_PT2_iSC_SC_ ; -- Begin function _Z39paged_attention_ll4mi_QKV_mfma16_kernelIDF16_DF16_LN4vllm18Fp8KVCacheDataTypeE0EDF16_Li32ELi128ELi256ELb0ELi13EL8MFMAType0EEvPKT_PKT0_S8_ifPKiSA_SA_iPKfiiiPfSD_PS3_PT2_iSC_SC_
	.globl	_Z39paged_attention_ll4mi_QKV_mfma16_kernelIDF16_DF16_LN4vllm18Fp8KVCacheDataTypeE0EDF16_Li32ELi128ELi256ELb0ELi13EL8MFMAType0EEvPKT_PKT0_S8_ifPKiSA_SA_iPKfiiiPfSD_PS3_PT2_iSC_SC_
	.p2align	8
	.type	_Z39paged_attention_ll4mi_QKV_mfma16_kernelIDF16_DF16_LN4vllm18Fp8KVCacheDataTypeE0EDF16_Li32ELi128ELi256ELb0ELi13EL8MFMAType0EEvPKT_PKT0_S8_ifPKiSA_SA_iPKfiiiPfSD_PS3_PT2_iSC_SC_,@function
_Z39paged_attention_ll4mi_QKV_mfma16_kernelIDF16_DF16_LN4vllm18Fp8KVCacheDataTypeE0EDF16_Li32ELi128ELi256ELb0ELi13EL8MFMAType0EEvPKT_PKT0_S8_ifPKiSA_SA_iPKfiiiPfSD_PS3_PT2_iSC_SC_: ; @_Z39paged_attention_ll4mi_QKV_mfma16_kernelIDF16_DF16_LN4vllm18Fp8KVCacheDataTypeE0EDF16_Li32ELi128ELi256ELb0ELi13EL8MFMAType0EEvPKT_PKT0_S8_ifPKiSA_SA_iPKfiiiPfSD_PS3_PT2_iSC_SC_
; %bb.0:
	s_load_b64 s[2:3], s[0:1], 0x30
	s_mov_b32 s34, s13
	s_waitcnt lgkmcnt(0)
	s_cmp_lg_u64 s[2:3], 0
	s_cselect_b32 s6, -1, 0
	s_ashr_i32 s35, s13, 31
	s_cmp_eq_u64 s[2:3], 0
	s_cbranch_scc1 .LBB378_3
; %bb.1:
	s_lshl_b64 s[4:5], s[34:35], 2
	s_delay_alu instid0(SALU_CYCLE_1) | instskip(SKIP_4) | instid1(SALU_CYCLE_1)
	s_add_u32 s4, s2, s4
	s_addc_u32 s5, s3, s5
	s_load_b64 s[4:5], s[4:5], 0x0
	s_waitcnt lgkmcnt(0)
	s_sub_i32 s4, s5, s4
	s_cmp_eq_u32 s4, 1
	s_cselect_b32 s4, -1, 0
	s_delay_alu instid0(SALU_CYCLE_1)
	s_and_not1_b32 vcc_lo, exec_lo, s4
	s_cbranch_vccz .LBB378_4
.LBB378_2:
	s_nop 0
	s_sendmsg sendmsg(MSG_DEALLOC_VGPRS)
	s_endpgm
.LBB378_3:
.LBB378_4:
	s_load_b64 s[8:9], s[0:1], 0x28
	s_lshl_b64 s[4:5], s[34:35], 2
	s_waitcnt lgkmcnt(0)
	s_add_u32 s8, s8, s4
	s_addc_u32 s9, s9, s5
	s_lshl_b32 s12, s14, 8
	s_load_b32 s17, s[8:9], 0x0
	s_waitcnt lgkmcnt(0)
	s_cmp_ge_i32 s12, s17
	s_cbranch_scc1 .LBB378_2
; %bb.5:
	s_and_not1_b32 vcc_lo, exec_lo, s6
	s_cbranch_vccnz .LBB378_7
; %bb.6:
	s_add_u32 s2, s2, s4
	s_addc_u32 s3, s3, s5
	s_load_b32 s13, s[2:3], 0x0
	s_branch .LBB378_8
.LBB378_7:
	s_mov_b32 s13, s34
.LBB378_8:
	s_clause 0x2
	s_load_b128 s[8:11], s[0:1], 0x8
	s_load_b64 s[2:3], s[0:1], 0x20
	s_load_b128 s[4:7], s[0:1], 0x48
	v_lshrrev_b32_e32 v78, 5, v0
	v_bfe_u32 v75, v0, 4, 1
	v_and_b32_e32 v77, 15, v0
	s_waitcnt lgkmcnt(0)
	s_mov_b32 s7, exec_lo
	s_delay_alu instid0(VALU_DEP_2) | instskip(NEXT) | instid1(VALU_DEP_2)
	v_lshl_or_b32 v3, v78, 1, v75
	v_lshlrev_b32_e32 v1, 3, v77
	s_delay_alu instid0(VALU_DEP_2)
	v_cmpx_lt_u32_e32 12, v3
	s_xor_b32 s7, exec_lo, s7
; %bb.9:
	v_mov_b32_e32 v2, 0
                                        ; implicit-def: $vgpr3
; %bb.10:
	s_or_saveexec_b32 s7, s7
	v_and_b32_e32 v80, 31, v0
	v_and_b32_e32 v76, 1, v0
	s_mul_i32 s31, s15, 13
	s_xor_b32 exec_lo, exec_lo, s7
	s_cbranch_execz .LBB378_12
; %bb.11:
	s_load_b64 s[18:19], s[0:1], 0x0
	v_add_lshl_u32 v4, v3, s31, 7
	s_mul_hi_i32 s21, s13, s4
	s_mul_i32 s20, s13, s4
	v_lshlrev_b32_e32 v2, 1, v1
	s_lshl_b64 s[20:21], s[20:21], 1
	v_ashrrev_i32_e32 v5, 31, v4
	v_lshlrev_b32_e32 v3, 6, v3
	v_lshlrev_b32_e32 v8, 10, v76
	s_delay_alu instid0(VALU_DEP_3) | instskip(SKIP_3) | instid1(VALU_DEP_1)
	v_lshlrev_b64 v[4:5], 1, v[4:5]
	s_waitcnt lgkmcnt(0)
	s_add_u32 s4, s18, s20
	s_addc_u32 s13, s19, s21
	v_add_co_u32 v4, vcc_lo, s4, v4
	s_delay_alu instid0(VALU_DEP_2) | instskip(NEXT) | instid1(VALU_DEP_2)
	v_add_co_ci_u32_e32 v5, vcc_lo, s13, v5, vcc_lo
	v_add_co_u32 v4, vcc_lo, v4, v2
	s_delay_alu instid0(VALU_DEP_2) | instskip(SKIP_3) | instid1(VALU_DEP_1)
	v_add_co_ci_u32_e32 v5, vcc_lo, 0, v5, vcc_lo
	v_lshlrev_b32_e32 v2, 10, v77
	global_load_b128 v[4:7], v[4:5], off
	v_and_b32_e32 v2, 0x3800, v2
	v_or3_b32 v3, v2, v8, v3
	v_mov_b32_e32 v2, 0
	s_waitcnt vmcnt(0)
	ds_store_b128 v3, v[4:7]
.LBB378_12:
	s_or_b32 exec_lo, exec_lo, s7
	v_and_b32_e32 v3, 0xef, v0
	s_add_i32 s4, s17, 31
	s_clause 0x1
	s_load_b32 s7, s[0:1], 0x38
	s_load_b32 s33, s[0:1], 0x98
	s_ashr_i32 s13, s4, 31
	v_add_nc_u32_e32 v3, s12, v3
	s_lshr_b32 s13, s13, 27
	s_load_b32 s18, s[0:1], 0x1c
	s_add_i32 s4, s4, s13
	s_waitcnt lgkmcnt(0)
	v_ashrrev_i32_e32 v4, 31, v3
	v_cmp_gt_i32_e32 vcc_lo, s17, v3
	s_ashr_i32 s4, s4, 5
	s_barrier
	s_add_i32 s4, s4, -1
	v_lshrrev_b32_e32 v5, 27, v4
	v_or_b32_e32 v4, 16, v3
	buffer_gl0_inv
	v_lshlrev_b64 v[73:74], 1, v[1:2]
	v_lshlrev_b32_e32 v79, 6, v77
	v_add_nc_u32_e32 v6, v3, v5
	v_add_nc_u32_e32 v5, v4, v5
	s_mul_i32 s20, s34, s7
	s_delay_alu instid0(SALU_CYCLE_1) | instskip(NEXT) | instid1(VALU_DEP_2)
	s_ashr_i32 s21, s20, 31
	v_ashrrev_i32_e32 v6, 5, v6
	s_delay_alu instid0(VALU_DEP_2) | instskip(SKIP_1) | instid1(SALU_CYCLE_1)
	v_ashrrev_i32_e32 v5, 5, v5
	s_lshl_b64 s[20:21], s[20:21], 2
	s_add_u32 s13, s2, s20
	s_delay_alu instid0(VALU_DEP_2) | instskip(SKIP_3) | instid1(SALU_CYCLE_1)
	v_cndmask_b32_e32 v3, s4, v6, vcc_lo
	v_cmp_gt_i32_e32 vcc_lo, s17, v4
	s_addc_u32 s16, s3, s21
	s_mul_i32 s2, s15, s6
	s_ashr_i32 s3, s2, 31
	v_cndmask_b32_e32 v5, s4, v5, vcc_lo
	v_ashrrev_i32_e32 v4, 31, v3
	s_lshl_b64 s[2:3], s[2:3], 1
	s_delay_alu instid0(SALU_CYCLE_1) | instskip(NEXT) | instid1(VALU_DEP_2)
	s_add_u32 s15, s8, s2
	v_ashrrev_i32_e32 v6, 31, v5
	s_delay_alu instid0(VALU_DEP_2) | instskip(SKIP_2) | instid1(VALU_DEP_2)
	v_lshlrev_b64 v[3:4], 2, v[3:4]
	s_addc_u32 s19, s9, s3
	s_lshl_b32 s6, s14, 3
	v_lshlrev_b64 v[5:6], 2, v[5:6]
	s_ashr_i32 s7, s6, 31
	s_delay_alu instid0(VALU_DEP_2) | instskip(SKIP_1) | instid1(VALU_DEP_3)
	v_add_co_u32 v3, vcc_lo, s13, v3
	v_add_co_ci_u32_e32 v4, vcc_lo, s16, v4, vcc_lo
	v_add_co_u32 v5, vcc_lo, s13, v5
	s_delay_alu instid0(VALU_DEP_4)
	v_add_co_ci_u32_e32 v6, vcc_lo, s16, v6, vcc_lo
	s_lshl_b64 s[6:7], s[6:7], 2
	s_clause 0x1
	global_load_b32 v7, v[3:4], off
	global_load_b32 v8, v[5:6], off
	s_add_u32 s6, s13, s6
	s_addc_u32 s7, s16, s7
	s_or_b32 s8, s12, 32
	s_delay_alu instid0(SALU_CYCLE_1) | instskip(SKIP_2) | instid1(SALU_CYCLE_1)
	s_ashr_i32 s9, s8, 5
	s_cmp_lt_i32 s8, s17
	s_cselect_b32 s8, s9, s4
	s_ashr_i32 s9, s8, 31
	s_delay_alu instid0(SALU_CYCLE_1) | instskip(NEXT) | instid1(SALU_CYCLE_1)
	s_lshl_b64 s[8:9], s[8:9], 2
	s_add_u32 s8, s13, s8
	s_addc_u32 s9, s16, s9
	s_or_b32 s20, s12, 64
	s_delay_alu instid0(SALU_CYCLE_1) | instskip(SKIP_2) | instid1(SALU_CYCLE_1)
	s_ashr_i32 s21, s20, 5
	s_cmp_lt_i32 s20, s17
	s_cselect_b32 s20, s21, s4
	s_ashr_i32 s21, s20, 31
	s_delay_alu instid0(SALU_CYCLE_1) | instskip(NEXT) | instid1(SALU_CYCLE_1)
	s_lshl_b64 s[20:21], s[20:21], 2
	;; [unrolled: 10-line block ×5, first 2 shown]
	s_add_u32 s26, s13, s26
	s_addc_u32 s27, s16, s27
	s_clause 0x5
	s_load_b32 s28, s[6:7], 0x0
	s_load_b32 s29, s[8:9], 0x0
	;; [unrolled: 1-line block ×6, first 2 shown]
	s_mov_b32 s20, 0
	s_or_b32 s6, s12, 0xc0
	s_mov_b32 s21, s20
	s_mov_b32 s22, s20
	s_mov_b32 s23, s20
	s_mov_b32 s24, s20
	s_mov_b32 s25, s20
	s_mov_b32 s26, s20
	s_mov_b32 s27, s20
	s_ashr_i32 s7, s6, 5
	v_mov_b32_e32 v128, s27
	s_cmp_lt_i32 s6, s17
	v_mov_b32_e32 v127, s26
	s_cselect_b32 s6, s7, s4
	v_mov_b32_e32 v126, s25
	s_ashr_i32 s7, s6, 31
	v_mov_b32_e32 v125, s24
	s_lshl_b64 s[6:7], s[6:7], 2
	v_mov_b32_e32 v124, s23
	s_add_u32 s6, s13, s6
	s_addc_u32 s7, s16, s7
	v_mov_b32_e32 v123, s22
	v_mov_b32_e32 v121, s20
	s_waitcnt lgkmcnt(0)
	s_mul_hi_i32 s9, s28, s5
	s_mul_i32 s8, s28, s5
	s_mul_hi_i32 s37, s38, s5
	v_mov_b32_e32 v122, s21
	s_mul_hi_i32 s21, s29, s5
	s_mul_i32 s20, s29, s5
	s_mul_hi_i32 s25, s30, s5
	s_mul_i32 s24, s30, s5
	;; [unrolled: 2-line block ×3, first 2 shown]
	s_waitcnt vmcnt(1)
	v_mad_i64_i32 v[3:4], null, v7, s5, 0
	s_waitcnt vmcnt(0)
	v_mad_i64_i32 v[5:6], null, v8, s5, 0
	s_delay_alu instid0(VALU_DEP_2) | instskip(NEXT) | instid1(VALU_DEP_2)
	v_lshlrev_b64 v[3:4], 1, v[3:4]
	v_lshlrev_b64 v[1:2], 1, v[5:6]
	s_delay_alu instid0(VALU_DEP_2) | instskip(NEXT) | instid1(VALU_DEP_3)
	v_add_co_u32 v3, vcc_lo, s15, v3
	v_add_co_ci_u32_e32 v4, vcc_lo, s19, v4, vcc_lo
	s_delay_alu instid0(VALU_DEP_3) | instskip(NEXT) | instid1(VALU_DEP_4)
	v_add_co_u32 v1, vcc_lo, s15, v1
	v_add_co_ci_u32_e32 v2, vcc_lo, s19, v2, vcc_lo
	s_delay_alu instid0(VALU_DEP_4) | instskip(NEXT) | instid1(VALU_DEP_4)
	v_add_co_u32 v65, vcc_lo, v3, v73
	v_add_co_ci_u32_e32 v66, vcc_lo, v4, v74, vcc_lo
	s_delay_alu instid0(VALU_DEP_4) | instskip(NEXT) | instid1(VALU_DEP_4)
	v_add_co_u32 v67, vcc_lo, v1, v73
	v_add_co_ci_u32_e32 v68, vcc_lo, v2, v74, vcc_lo
	s_clause 0xf
	global_load_b128 v[1:4], v[65:66], off
	global_load_b128 v[5:8], v[65:66], off offset:512
	global_load_b128 v[9:12], v[67:68], off offset:256
	global_load_b128 v[13:16], v[67:68], off offset:768
	global_load_b128 v[17:20], v[65:66], off offset:1024
	global_load_b128 v[21:24], v[65:66], off offset:1536
	global_load_b128 v[25:28], v[67:68], off offset:1280
	global_load_b128 v[29:32], v[67:68], off offset:1792
	global_load_b128 v[33:36], v[65:66], off offset:2048
	global_load_b128 v[37:40], v[65:66], off offset:2560
	global_load_b128 v[41:44], v[67:68], off offset:2304
	global_load_b128 v[45:48], v[67:68], off offset:2816
	global_load_b128 v[49:52], v[65:66], off offset:3072
	global_load_b128 v[53:56], v[65:66], off offset:3584
	global_load_b128 v[57:60], v[67:68], off offset:3328
	global_load_b128 v[61:64], v[67:68], off offset:3840
	v_add_co_u32 v157, vcc_lo, 0x1000, v65
	v_add_co_ci_u32_e32 v158, vcc_lo, 0, v66, vcc_lo
	v_add_co_u32 v165, vcc_lo, 0x1000, v67
	v_add_co_ci_u32_e32 v166, vcc_lo, 0, v68, vcc_lo
	s_clause 0x7
	global_load_b128 v[81:84], v[157:158], off
	global_load_b128 v[85:88], v[157:158], off offset:512
	global_load_b128 v[89:92], v[165:166], off offset:256
	;; [unrolled: 1-line block ×7, first 2 shown]
	v_add_nc_u32_e32 v65, -13, v77
	v_cmp_gt_u32_e32 vcc_lo, 13, v77
	s_or_b32 s15, s12, 0xe0
	s_delay_alu instid0(SALU_CYCLE_1) | instskip(SKIP_3) | instid1(SALU_CYCLE_1)
	s_ashr_i32 s19, s15, 5
	s_cmp_lt_i32 s15, s17
	v_cndmask_b32_e32 v65, v65, v77, vcc_lo
	s_cselect_b32 s22, s19, s4
	s_ashr_i32 s23, s22, 31
	s_delay_alu instid0(VALU_DEP_1)
	v_lshlrev_b32_e32 v169, 6, v65
	ds_load_b128 v[65:68], v169
	ds_load_b128 v[69:72], v169 offset:1024
	s_clause 0x1
	global_load_b128 v[113:116], v[157:158], off offset:2048
	global_load_b128 v[117:120], v[157:158], off offset:2560
	ds_load_b128 v[129:132], v169 offset:2048
	ds_load_b128 v[133:136], v169 offset:3072
	s_clause 0x5
	global_load_b128 v[145:148], v[165:166], off offset:2304
	global_load_b128 v[149:152], v[165:166], off offset:2816
	;; [unrolled: 1-line block ×6, first 2 shown]
	s_lshl_b64 s[22:23], s[22:23], 2
	s_delay_alu instid0(SALU_CYCLE_1) | instskip(SKIP_2) | instid1(SALU_CYCLE_1)
	s_add_u32 s22, s13, s22
	s_addc_u32 s23, s16, s23
	s_add_i32 s15, s12, 0x100
	s_ashr_i32 s19, s15, 5
	s_cmp_lt_i32 s15, s17
	s_cselect_b32 s28, s19, s4
	s_delay_alu instid0(SALU_CYCLE_1) | instskip(NEXT) | instid1(SALU_CYCLE_1)
	s_ashr_i32 s29, s28, 31
	s_lshl_b64 s[28:29], s[28:29], 2
	s_delay_alu instid0(SALU_CYCLE_1)
	s_add_u32 s28, s13, s28
	s_addc_u32 s29, s16, s29
	s_add_u32 s4, s10, s2
	s_addc_u32 s19, s11, s3
	s_lshl_b64 s[2:3], s[8:9], 1
	s_lshl_b64 s[8:9], s[20:21], 1
	;; [unrolled: 1-line block ×4, first 2 shown]
	s_waitcnt vmcnt(30) lgkmcnt(2)
	v_wmma_f32_16x16x16_f16 v[137:144], v[1:8], v[65:72], v[121:128]
	ds_load_b128 v[1:4], v169 offset:4096
	ds_load_b128 v[5:8], v169 offset:5120
	s_waitcnt vmcnt(28)
	v_wmma_f32_16x16x16_f16 v[121:128], v[9:16], v[65:72], v[121:128]
	ds_load_b128 v[9:12], v169 offset:6144
	ds_load_b128 v[13:16], v169 offset:7168
	s_waitcnt vmcnt(26) lgkmcnt(4)
	v_wmma_f32_16x16x16_f16 v[137:144], v[17:24], v[129:136], v[137:144]
	ds_load_b128 v[17:20], v169 offset:8192
	ds_load_b128 v[21:24], v169 offset:9216
	s_waitcnt vmcnt(24)
	v_wmma_f32_16x16x16_f16 v[121:128], v[25:32], v[129:136], v[121:128]
	v_lshl_or_b32 v25, v78, 10, v79
	ds_load_b128 v[129:132], v169 offset:10240
	ds_load_b128 v[133:136], v169 offset:11264
	s_clause 0x2
	s_load_b32 s15, s[6:7], 0x0
	s_load_b32 s13, s[22:23], 0x0
	;; [unrolled: 1-line block ×3, first 2 shown]
	s_mul_hi_i32 s7, s36, s5
	v_add_co_u32 v170, s4, s4, v25
	s_delay_alu instid0(VALU_DEP_1)
	v_add_co_ci_u32_e64 v171, null, s19, 0, s4
	s_mul_i32 s6, s36, s5
	s_mul_i32 s36, s38, s5
	s_lshl_b64 s[6:7], s[6:7], 1
	s_lshl_b64 s[22:23], s[36:37], 1
	s_waitcnt vmcnt(22) lgkmcnt(0)
	v_wmma_f32_16x16x16_f16 v[137:144], v[33:40], v[1:8], v[137:144]
	s_waitcnt vmcnt(20)
	v_wmma_f32_16x16x16_f16 v[121:128], v[41:48], v[1:8], v[121:128]
	v_add_co_u32 v1, vcc_lo, v170, s2
	v_add_co_ci_u32_e32 v2, vcc_lo, s3, v171, vcc_lo
	v_add_co_u32 v3, vcc_lo, v170, s8
	v_add_co_ci_u32_e32 v4, vcc_lo, s9, v171, vcc_lo
	;; [unrolled: 2-line block ×4, first 2 shown]
	v_add_co_u32 v25, vcc_lo, v170, s6
	s_mul_hi_i32 s25, s15, s5
	s_mul_i32 s24, s15, s5
	v_add_co_ci_u32_e32 v26, vcc_lo, s7, v171, vcc_lo
	v_add_co_u32 v27, vcc_lo, v170, s22
	s_lshl_b64 s[24:25], s[24:25], 1
	s_waitcnt vmcnt(18)
	v_wmma_f32_16x16x16_f16 v[137:144], v[49:56], v[9:16], v[137:144]
	s_waitcnt vmcnt(16)
	v_wmma_f32_16x16x16_f16 v[121:128], v[57:64], v[9:16], v[121:128]
	v_add_co_ci_u32_e32 v28, vcc_lo, s23, v171, vcc_lo
	s_mul_hi_i32 s3, s13, s5
	s_mul_i32 s2, s13, s5
	v_add_co_u32 v29, vcc_lo, v170, s24
	s_lshl_b64 s[2:3], s[2:3], 1
	v_add_co_ci_u32_e32 v30, vcc_lo, s25, v171, vcc_lo
	s_waitcnt vmcnt(14)
	v_wmma_f32_16x16x16_f16 v[137:144], v[81:88], v[17:24], v[137:144]
	s_waitcnt vmcnt(12)
	v_wmma_f32_16x16x16_f16 v[121:128], v[89:96], v[17:24], v[121:128]
	v_add_co_u32 v17, vcc_lo, v170, s2
	v_add_co_ci_u32_e32 v18, vcc_lo, s3, v171, vcc_lo
	s_mul_hi_i32 s3, s16, s5
	s_mul_i32 s2, s16, s5
	s_clause 0x5
	global_load_b128 v[65:68], v[1:2], off
	global_load_b128 v[69:72], v[1:2], off offset:16
	global_load_b128 v[57:60], v[3:4], off
	global_load_b128 v[61:64], v[3:4], off offset:16
	;; [unrolled: 2-line block ×3, first 2 shown]
	s_lshl_b64 s[2:3], s[2:3], 1
	s_clause 0x1
	global_load_b128 v[41:44], v[7:8], off
	global_load_b128 v[45:48], v[7:8], off offset:16
	v_add_co_u32 v21, vcc_lo, v170, s2
	v_add_co_ci_u32_e32 v22, vcc_lo, s3, v171, vcc_lo
	s_clause 0x9
	global_load_b128 v[9:12], v[25:26], off
	global_load_b128 v[13:16], v[25:26], off offset:16
	global_load_b128 v[1:4], v[27:28], off
	global_load_b128 v[5:8], v[27:28], off offset:16
	;; [unrolled: 2-line block ×5, first 2 shown]
	ds_load_b128 v[81:84], v169 offset:12288
	ds_load_b128 v[85:88], v169 offset:13312
	v_and_b32_e32 v89, 0xe0, v0
	s_waitcnt vmcnt(28)
	v_wmma_f32_16x16x16_f16 v[137:144], v[97:104], v[129:136], v[137:144]
	v_mbcnt_lo_u32_b32 v97, -1, 0
	s_waitcnt vmcnt(26)
	v_wmma_f32_16x16x16_f16 v[121:128], v[105:112], v[129:136], v[121:128]
	v_add_nc_u32_e32 v98, s12, v89
	ds_load_b128 v[89:92], v169 offset:14336
	ds_load_b128 v[93:96], v169 offset:15360
	v_xor_b32_e32 v99, 16, v97
	s_waitcnt vmcnt(0) lgkmcnt(0)
	s_barrier
	v_or_b32_e32 v98, v98, v75
	buffer_gl0_inv
	v_cmp_gt_i32_e32 vcc_lo, 32, v99
	v_or_b32_e32 v100, 4, v98
	v_or_b32_e32 v101, 22, v98
	;; [unrolled: 1-line block ×4, first 2 shown]
	v_wmma_f32_16x16x16_f16 v[137:144], v[113:120], v[81:88], v[137:144]
	v_wmma_f32_16x16x16_f16 v[121:128], v[145:152], v[81:88], v[121:128]
	v_or_b32_e32 v81, 6, v98
	v_or_b32_e32 v82, 8, v98
	;; [unrolled: 1-line block ×3, first 2 shown]
	v_cmp_gt_i32_e64 s3, s17, v100
	v_or_b32_e32 v84, 12, v98
	v_wmma_f32_16x16x16_f16 v[137:144], v[153:160], v[89:96], v[137:144]
	v_wmma_f32_16x16x16_f16 v[121:128], v[161:168], v[89:96], v[121:128]
	v_cndmask_b32_e32 v97, v97, v99, vcc_lo
	v_or_b32_e32 v99, 2, v98
	v_cmp_gt_i32_e32 vcc_lo, s17, v98
	v_dual_mul_f32 v95, s18, v138 :: v_dual_mul_f32 v96, s18, v137
	v_mul_f32_e32 v93, s18, v140
	s_delay_alu instid0(VALU_DEP_4)
	v_cmp_gt_i32_e64 s2, s17, v99
	v_mul_f32_e32 v94, s18, v139
	v_mul_f32_e32 v110, s18, v124
	v_cndmask_b32_e32 v96, 0xff7fffff, v96, vcc_lo
	v_cmp_gt_i32_e64 s4, s17, v81
	v_cndmask_b32_e64 v95, 0xff7fffff, v95, s2
	v_or_b32_e32 v85, 14, v98
	v_dual_mul_f32 v91, s18, v142 :: v_dual_mul_f32 v92, s18, v141
	v_cndmask_b32_e64 v94, 0xff7fffff, v94, s3
	v_cndmask_b32_e64 v81, 0xff7fffff, v93, s4
	v_max3_f32 v93, v96, 0xff7fffff, v95
	v_cmp_gt_i32_e64 s5, s17, v82
	v_cmp_gt_i32_e64 s6, s17, v83
	v_or_b32_e32 v86, 16, v98
	v_or_b32_e32 v87, 18, v98
	v_dual_mul_f32 v89, s18, v144 :: v_dual_mul_f32 v112, s18, v122
	v_mul_f32_e32 v90, s18, v143
	v_cndmask_b32_e64 v82, 0xff7fffff, v92, s5
	v_cndmask_b32_e64 v83, 0xff7fffff, v91, s6
	v_max3_f32 v81, v93, v94, v81
	v_cmp_gt_i32_e64 s7, s17, v84
	v_cmp_gt_i32_e64 s8, s17, v85
	v_or_b32_e32 v88, 20, v98
	v_mul_f32_e32 v113, s18, v121
	v_max3_f32 v81, v81, v82, v83
	v_cndmask_b32_e64 v84, 0xff7fffff, v90, s7
	v_cndmask_b32_e64 v85, 0xff7fffff, v89, s8
	v_cmp_gt_i32_e64 s9, s17, v86
	v_cmp_gt_i32_e64 s10, s17, v87
	v_mul_f32_e32 v111, s18, v123
	v_cmp_gt_i32_e64 s11, s17, v88
	v_max3_f32 v81, v81, v84, v85
	v_cndmask_b32_e64 v82, 0xff7fffff, v113, s9
	v_cndmask_b32_e64 v83, 0xff7fffff, v112, s10
	v_cmp_gt_i32_e64 s12, s17, v101
	v_or_b32_e32 v104, 28, v98
	v_or_b32_e32 v105, 30, v98
	v_dual_mul_f32 v108, s18, v126 :: v_dual_mul_f32 v109, s18, v125
	v_cndmask_b32_e64 v84, 0xff7fffff, v111, s11
	v_cndmask_b32_e64 v85, 0xff7fffff, v110, s12
	v_max3_f32 v81, v81, v82, v83
	v_cmp_gt_i32_e64 s13, s17, v102
	v_cmp_gt_i32_e64 s15, s17, v103
	v_dual_mul_f32 v106, s18, v128 :: v_dual_mul_f32 v107, s18, v127
	s_delay_alu instid0(VALU_DEP_4) | instskip(NEXT) | instid1(VALU_DEP_4)
	v_max3_f32 v81, v81, v84, v85
	v_cndmask_b32_e64 v82, 0xff7fffff, v109, s13
	s_delay_alu instid0(VALU_DEP_4) | instskip(SKIP_2) | instid1(VALU_DEP_3)
	v_cndmask_b32_e64 v83, 0xff7fffff, v108, s15
	v_cmp_gt_i32_e64 s16, s17, v104
	v_cmp_gt_i32_e64 s17, s17, v105
	v_max3_f32 v81, v81, v82, v83
	s_delay_alu instid0(VALU_DEP_3) | instskip(NEXT) | instid1(VALU_DEP_3)
	v_cndmask_b32_e64 v84, 0xff7fffff, v107, s16
	v_cndmask_b32_e64 v85, 0xff7fffff, v106, s17
	v_lshlrev_b32_e32 v83, 2, v97
	s_delay_alu instid0(VALU_DEP_2) | instskip(SKIP_3) | instid1(VALU_DEP_1)
	v_max3_f32 v81, v81, v84, v85
	ds_bpermute_b32 v82, v83, v81
	s_waitcnt lgkmcnt(0)
	v_max_f32_e32 v82, v82, v82
	v_max_f32_e32 v81, v81, v82
	s_delay_alu instid0(VALU_DEP_1)
	v_fma_f32 v82, s18, v137, -v81
	v_fma_f32 v84, s18, v138, -v81
	;; [unrolled: 1-line block ×5, first 2 shown]
	v_mul_f32_e32 v82, 0x3fb8aa3b, v82
	s_delay_alu instid0(VALU_DEP_4) | instskip(NEXT) | instid1(VALU_DEP_3)
	v_dual_mul_f32 v84, 0x3fb8aa3b, v84 :: v_dual_mul_f32 v85, 0x3fb8aa3b, v85
	v_dual_mul_f32 v86, 0x3fb8aa3b, v86 :: v_dual_mul_f32 v89, 0x3fb8aa3b, v87
	s_delay_alu instid0(VALU_DEP_3) | instskip(NEXT) | instid1(VALU_DEP_2)
	v_exp_f32_e32 v82, v82
	v_exp_f32_e32 v84, v84
	s_delay_alu instid0(VALU_DEP_2) | instskip(NEXT) | instid1(VALU_DEP_1)
	v_exp_f32_e32 v85, v85
	v_exp_f32_e32 v86, v86
	;; [unrolled: 1-line block ×3, first 2 shown]
	v_cndmask_b32_e32 v88, 0, v82, vcc_lo
	v_cndmask_b32_e64 v87, 0, v84, s2
	s_delay_alu instid0(TRANS32_DEP_3)
	v_cndmask_b32_e64 v90, 0, v85, s3
	s_waitcnt_depctr 0xfff
	v_cndmask_b32_e64 v89, 0, v86, s4
	v_cndmask_b32_e64 v92, 0, v92, s5
	v_add_f32_e32 v84, 0, v88
	v_cmp_gt_u32_e64 s2, 16, v80
	s_delay_alu instid0(VALU_DEP_2) | instskip(NEXT) | instid1(VALU_DEP_1)
	v_add_f32_e32 v84, v84, v87
	v_add_f32_e32 v84, v84, v90
	s_delay_alu instid0(VALU_DEP_1)
	v_add_f32_e32 v84, v84, v89
	v_fma_f32 v82, s18, v142, -v81
	v_fma_f32 v91, s18, v143, -v81
	;; [unrolled: 1-line block ×5, first 2 shown]
	s_delay_alu instid0(VALU_DEP_4) | instskip(SKIP_1) | instid1(VALU_DEP_4)
	v_dual_mul_f32 v82, 0x3fb8aa3b, v82 :: v_dual_mul_f32 v91, 0x3fb8aa3b, v91
	v_fma_f32 v96, s18, v124, -v81
	v_mul_f32_e32 v86, 0x3fb8aa3b, v86
	s_delay_alu instid0(VALU_DEP_4) | instskip(NEXT) | instid1(VALU_DEP_4)
	v_mul_f32_e32 v95, 0x3fb8aa3b, v94
	v_exp_f32_e32 v82, v82
	v_exp_f32_e32 v93, v91
	v_mul_f32_e32 v97, 0x3fb8aa3b, v96
	v_exp_f32_e32 v86, v86
	v_fma_f32 v99, s18, v127, -v81
	s_delay_alu instid0(VALU_DEP_2) | instskip(SKIP_2) | instid1(TRANS32_DEP_3)
	v_exp_f32_e32 v97, v97
	v_cndmask_b32_e64 v91, 0, v82, s6
	v_dual_add_f32 v82, v84, v92 :: v_dual_mul_f32 v85, 0x3fb8aa3b, v85
	v_cndmask_b32_e64 v94, 0, v93, s7
	v_fma_f32 v84, s18, v123, -v81
	s_delay_alu instid0(TRANS32_DEP_2) | instskip(NEXT) | instid1(VALU_DEP_4)
	v_cndmask_b32_e64 v96, 0, v86, s9
	v_add_f32_e32 v82, v82, v91
	v_exp_f32_e32 v85, v85
	v_fma_f32 v86, s18, v126, -v81
	v_mul_f32_e32 v84, 0x3fb8aa3b, v84
	v_cndmask_b32_e64 v97, 0, v97, s12
	v_add_f32_e32 v82, v82, v94
	s_delay_alu instid0(VALU_DEP_3) | instskip(SKIP_3) | instid1(VALU_DEP_2)
	v_exp_f32_e32 v84, v84
	s_waitcnt_depctr 0xfff
	v_cndmask_b32_e64 v93, 0, v85, s8
	v_fma_f32 v85, s18, v125, -v81
	v_add_f32_e32 v82, v82, v93
	v_exp_f32_e32 v95, v95
	s_delay_alu instid0(VALU_DEP_2)
	v_mul_f32_e32 v85, 0x3fb8aa3b, v85
	v_cndmask_b32_e64 v98, 0, v84, s11
	v_mul_f32_e32 v84, 0x3fb8aa3b, v99
	v_add_f32_e32 v82, v82, v96
	v_fma_f32 v99, s18, v128, -v81
	v_exp_f32_e32 v85, v85
	v_mul_f32_e32 v86, 0x3fb8aa3b, v86
	v_exp_f32_e32 v84, v84
	s_delay_alu instid0(TRANS32_DEP_3) | instskip(NEXT) | instid1(VALU_DEP_1)
	v_cndmask_b32_e64 v95, 0, v95, s10
	v_add_f32_e32 v82, v82, v95
	s_waitcnt_depctr 0xfff
	v_cndmask_b32_e64 v100, 0, v85, s13
	v_mul_f32_e32 v85, 0x3fb8aa3b, v99
	v_exp_f32_e32 v86, v86
	v_cndmask_b32_e64 v102, 0, v84, s16
	v_add_f32_e32 v82, v82, v98
	s_delay_alu instid0(VALU_DEP_3) | instskip(NEXT) | instid1(VALU_DEP_1)
	v_exp_f32_e32 v85, v85
	v_add_f32_e32 v82, v82, v97
	s_waitcnt_depctr 0xfff
	v_cndmask_b32_e64 v99, 0, v86, s15
	v_add_f32_e32 v82, v82, v100
	v_cndmask_b32_e64 v101, 0, v85, s17
	s_delay_alu instid0(VALU_DEP_2) | instskip(NEXT) | instid1(VALU_DEP_1)
	v_add_f32_e32 v82, v82, v99
	v_add_f32_e32 v82, v82, v102
	s_delay_alu instid0(VALU_DEP_1)
	v_add_f32_e32 v82, v82, v101
	ds_bpermute_b32 v83, v83, v82
	s_and_saveexec_b32 s3, s2
	s_cbranch_execz .LBB378_14
; %bb.13:
	v_mul_u32_u24_e32 v80, 0x44, v78
	s_waitcnt lgkmcnt(0)
	v_add_f32_e32 v82, v82, v83
	s_delay_alu instid0(VALU_DEP_2) | instskip(NEXT) | instid1(VALU_DEP_1)
	v_lshl_add_u32 v80, v77, 2, v80
	v_add_nc_u32_e32 v80, 0x4000, v80
	ds_store_2addr_b32 v80, v81, v82 offset1:136
.LBB378_14:
	s_or_b32 exec_lo, exec_lo, s3
	v_lshlrev_b32_e32 v80, 2, v77
	s_load_b32 s35, s[0:1], 0x94
	s_waitcnt lgkmcnt(0)
	s_barrier
	buffer_gl0_inv
	v_add_nc_u32_e32 v84, 0x4000, v80
	v_cmp_eq_u32_e32 vcc_lo, 1, v78
	v_cmp_eq_u32_e64 s3, 2, v78
	v_cmp_eq_u32_e64 s4, 3, v78
	v_cmp_eq_u32_e64 s5, 5, v78
	ds_load_2addr_b32 v[80:81], v84 offset1:17
	ds_load_2addr_b32 v[82:83], v84 offset0:34 offset1:51
	ds_load_2addr_b32 v[103:104], v84 offset0:68 offset1:85
	;; [unrolled: 1-line block ×3, first 2 shown]
	v_cmp_eq_u32_e64 s6, 7, v78
	s_waitcnt lgkmcnt(3)
	v_max3_f32 v85, v80, 0xff7fffff, v81
	s_waitcnt lgkmcnt(2)
	s_delay_alu instid0(VALU_DEP_1) | instskip(SKIP_1) | instid1(VALU_DEP_1)
	v_max3_f32 v85, v85, v82, v83
	s_waitcnt lgkmcnt(1)
	v_max3_f32 v85, v85, v103, v104
	s_waitcnt lgkmcnt(0)
	s_delay_alu instid0(VALU_DEP_1) | instskip(NEXT) | instid1(VALU_DEP_1)
	v_max3_f32 v85, v85, v105, v106
	v_sub_f32_e32 v103, v103, v85
	ds_load_2addr_b32 v[107:108], v84 offset0:136 offset1:153
	v_sub_f32_e32 v80, v80, v85
	v_dual_sub_f32 v110, v83, v85 :: v_dual_mul_f32 v113, 0x3fb8aa3b, v103
	s_delay_alu instid0(VALU_DEP_2) | instskip(SKIP_3) | instid1(VALU_DEP_1)
	v_dual_sub_f32 v86, v81, v85 :: v_dual_mul_f32 v109, 0x3fb8aa3b, v80
	ds_load_2addr_b32 v[80:81], v84 offset0:170 offset1:187
	v_mul_f32_e32 v86, 0x3fb8aa3b, v86
	v_exp_f32_e32 v109, v109
	v_exp_f32_e32 v112, v86
	v_mul_f32_e32 v110, 0x3fb8aa3b, v110
	s_waitcnt lgkmcnt(1)
	s_waitcnt_depctr 0xfff
	v_fma_f32 v86, v109, v107, 0
	v_sub_f32_e32 v107, v104, v85
	v_sub_f32_e32 v82, v82, v85
	v_exp_f32_e32 v110, v110
	ds_load_2addr_b32 v[103:104], v84 offset0:238 offset1:255
	v_dual_fmac_f32 v86, v112, v108 :: v_dual_mul_f32 v111, 0x3fb8aa3b, v82
	ds_load_2addr_b32 v[82:83], v84 offset0:204 offset1:221
	v_dual_sub_f32 v84, v105, v85 :: v_dual_mul_f32 v105, 0x3fb8aa3b, v107
	v_exp_f32_e32 v107, v113
	v_exp_f32_e32 v111, v111
	s_waitcnt lgkmcnt(0)
	s_delay_alu instid0(VALU_DEP_1)
	v_mul_f32_e32 v84, 0x3fb8aa3b, v84
	v_exp_f32_e32 v105, v105
	s_barrier
	buffer_gl0_inv
	v_fmac_f32_e32 v86, v111, v80
	v_sub_f32_e32 v80, v106, v85
	v_exp_f32_e32 v106, v84
	s_delay_alu instid0(VALU_DEP_2) | instskip(NEXT) | instid1(VALU_DEP_2)
	v_fmac_f32_e32 v86, v110, v81
	v_mul_f32_e32 v80, 0x3fb8aa3b, v80
	s_delay_alu instid0(VALU_DEP_2) | instskip(NEXT) | instid1(VALU_DEP_2)
	v_dual_cndmask_b32 v81, v109, v112 :: v_dual_fmac_f32 v86, v107, v82
	v_exp_f32_e32 v108, v80
	s_delay_alu instid0(VALU_DEP_1) | instskip(SKIP_2) | instid1(VALU_DEP_1)
	v_fmac_f32_e32 v86, v105, v83
	s_waitcnt_depctr 0xfff
	v_fmac_f32_e32 v86, v106, v103
	v_fmac_f32_e32 v86, v108, v104
	s_delay_alu instid0(VALU_DEP_1) | instskip(NEXT) | instid1(VALU_DEP_1)
	v_add_f32_e32 v103, 0x358637bd, v86
	v_div_scale_f32 v104, null, v103, v103, 1.0
	v_div_scale_f32 v109, vcc_lo, 1.0, v103, 1.0
	s_delay_alu instid0(VALU_DEP_2) | instskip(SKIP_2) | instid1(VALU_DEP_1)
	v_rcp_f32_e32 v113, v104
	s_waitcnt_depctr 0xfff
	v_fma_f32 v80, -v104, v113, 1.0
	v_fmac_f32_e32 v113, v80, v113
	v_cndmask_b32_e64 v80, v81, v111, s3
	v_cmp_eq_u32_e64 s3, 4, v78
	v_lshl_or_b32 v81, v78, 11, v79
	s_delay_alu instid0(VALU_DEP_4) | instskip(NEXT) | instid1(VALU_DEP_4)
	v_mul_f32_e32 v111, v109, v113
	v_cndmask_b32_e64 v82, v80, v110, s4
	v_cmp_eq_u32_e64 s4, 6, v78
	s_delay_alu instid0(VALU_DEP_4) | instskip(SKIP_3) | instid1(VALU_DEP_3)
	v_lshl_or_b32 v78, v75, 4, v81
	v_lshlrev_b32_e32 v80, 2, v75
	v_fma_f32 v83, -v104, v111, v109
	v_cndmask_b32_e64 v84, v82, v107, s3
	v_or_b32_e32 v82, 1, v80
	s_delay_alu instid0(VALU_DEP_3) | instskip(NEXT) | instid1(VALU_DEP_3)
	v_fmac_f32_e32 v111, v83, v113
	v_cndmask_b32_e64 v105, v84, v105, s5
	v_or_b32_e32 v84, 2, v80
	v_or_b32_e32 v83, 3, v80
	v_cmp_eq_u32_e64 s3, 1, v80
	v_fma_f32 v104, -v104, v111, v109
	v_cndmask_b32_e64 v105, v105, v106, s4
	v_cmp_eq_u32_e64 s9, 1, v82
	v_cmp_eq_u32_e64 s10, 1, v84
	;; [unrolled: 1-line block ×3, first 2 shown]
	v_div_fmas_f32 v104, v104, v113, v111
	v_cndmask_b32_e64 v105, v105, v108, s6
	v_cmp_eq_u32_e32 vcc_lo, 2, v80
	v_cmp_eq_u32_e64 s12, 2, v82
	v_cmp_eq_u32_e64 s15, 2, v84
	v_div_fixup_f32 v103, v104, v103, 1.0
	v_cmp_eq_u32_e64 s16, 2, v83
	v_cmp_eq_u32_e64 s18, 3, v83
	;; [unrolled: 1-line block ×4, first 2 shown]
	v_mul_f32_e32 v111, v105, v103
	v_cmp_eq_u32_e64 s17, 3, v84
	v_cmp_eq_u32_e64 s22, 4, v83
	;; [unrolled: 1-line block ×4, first 2 shown]
	v_fma_mixlo_f16 v103, v111, v88, 0
	v_fma_mixlo_f16 v104, v111, v90, 0
	;; [unrolled: 1-line block ×8, first 2 shown]
	v_fma_mixhi_f16 v103, v111, v87, 0
	v_fma_mixhi_f16 v104, v111, v89, 0
	;; [unrolled: 1-line block ×8, first 2 shown]
	ds_store_b128 v78, v[103:106]
	ds_store_b128 v78, v[107:110] offset:1024
	s_waitcnt lgkmcnt(0)
	s_barrier
	buffer_gl0_inv
	ds_load_b128 v[87:90], v81
	ds_load_b128 v[91:94], v81 offset:16
	ds_load_b128 v[95:98], v81 offset:1024
	;; [unrolled: 1-line block ×3, first 2 shown]
	v_cmp_eq_u32_e64 s21, 4, v84
	v_cmp_eq_u32_e64 s24, 5, v83
	;; [unrolled: 1-line block ×13, first 2 shown]
	s_waitcnt lgkmcnt(3)
	v_lshrrev_b32_e32 v103, 16, v87
	s_waitcnt lgkmcnt(2)
	v_lshrrev_b32_e32 v107, 16, v91
	;; [unrolled: 2-line block ×4, first 2 shown]
	v_lshrrev_b32_e32 v104, 16, v88
	v_cndmask_b32_e64 v119, v87, v103, s3
	v_cndmask_b32_e64 v120, v91, v107, s3
	;; [unrolled: 1-line block ×8, first 2 shown]
	v_lshrrev_b32_e32 v108, 16, v92
	v_cndmask_b32_e64 v103, v95, v111, s3
	v_cndmask_b32_e64 v107, v99, v115, s3
	;; [unrolled: 1-line block ×5, first 2 shown]
	v_cndmask_b32_e32 v111, v119, v88, vcc_lo
	v_cndmask_b32_e64 v119, v121, v88, s12
	v_cndmask_b32_e64 v121, v123, v88, s15
	;; [unrolled: 1-line block ×4, first 2 shown]
	v_lshrrev_b32_e32 v112, 16, v96
	v_lshrrev_b32_e32 v116, 16, v100
	v_cndmask_b32_e64 v126, v99, v115, s9
	v_cndmask_b32_e64 v128, v99, v115, s10
	v_cndmask_b32_e64 v99, v99, v115, s11
	v_cndmask_b32_e32 v115, v120, v92, vcc_lo
	v_cndmask_b32_e64 v120, v122, v92, s12
	v_cndmask_b32_e64 v122, v124, v92, s15
	v_cndmask_b32_e32 v91, v103, v96, vcc_lo
	v_cndmask_b32_e32 v92, v107, v100, vcc_lo
	v_cndmask_b32_e64 v103, v125, v96, s12
	v_cndmask_b32_e64 v87, v87, v104, s18
	;; [unrolled: 1-line block ×3, first 2 shown]
	v_lshrrev_b32_e32 v105, 16, v89
	v_lshrrev_b32_e32 v109, 16, v93
	v_cndmask_b32_e64 v107, v127, v96, s15
	v_cndmask_b32_e64 v95, v95, v96, s16
	;; [unrolled: 1-line block ×14, first 2 shown]
	v_lshrrev_b32_e32 v113, 16, v97
	v_cndmask_b32_e64 v99, v99, v89, s5
	v_cndmask_b32_e64 v104, v111, v93, s5
	;; [unrolled: 1-line block ×11, first 2 shown]
	v_lshrrev_b32_e32 v106, 16, v90
	v_lshrrev_b32_e32 v110, 16, v94
	v_cndmask_b32_e64 v93, v99, v105, s6
	v_cndmask_b32_e64 v99, v104, v109, s6
	;; [unrolled: 1-line block ×9, first 2 shown]
	v_lshrrev_b32_e32 v114, 16, v98
	v_cndmask_b32_e64 v89, v89, v113, s6
	v_cndmask_b32_e64 v93, v93, v90, s7
	;; [unrolled: 1-line block ×19, first 2 shown]
	v_perm_b32 v90, v88, v87, 0x5040100
	v_cndmask_b32_e64 v87, v126, v100, s12
	v_cndmask_b32_e64 v105, v89, v114, s8
	v_perm_b32 v89, v103, v99, 0x5040100
	v_perm_b32 v88, v104, v94, 0x5040100
	v_cndmask_b32_e64 v94, v107, v112, s17
	v_cndmask_b32_e64 v95, v95, v112, s18
	;; [unrolled: 1-line block ×5, first 2 shown]
	v_lshrrev_b32_e32 v117, 16, v101
	v_cndmask_b32_e64 v94, v94, v97, s21
	v_cndmask_b32_e64 v95, v95, v97, s22
	;; [unrolled: 1-line block ×11, first 2 shown]
	v_lshrrev_b32_e32 v118, 16, v102
	v_cndmask_b32_e64 v91, v91, v102, s7
	v_cndmask_b32_e64 v94, v94, v98, s26
	;; [unrolled: 1-line block ×12, first 2 shown]
	v_perm_b32 v87, v93, v92, 0x5040100
	v_perm_b32 v94, v95, v94, 0x5040100
	v_perm_b32 v93, v96, v98, 0x5040100
	v_perm_b32 v92, v97, v106, 0x5040100
	v_perm_b32 v91, v91, v105, 0x5040100
	s_mul_i32 s7, s33, 13
	s_mov_b32 s3, exec_lo
	ds_store_b128 v78, v[87:90]
	ds_store_b128 v78, v[91:94] offset:1024
	v_cmpx_gt_u32_e32 13, v0
	s_cbranch_execz .LBB378_16
; %bb.15:
	s_mul_i32 s4, s7, s34
	s_load_b128 s[8:11], s[0:1], 0x58
	v_add3_u32 v77, s4, s31, v77
	s_delay_alu instid0(VALU_DEP_1) | instskip(NEXT) | instid1(VALU_DEP_1)
	v_mad_u64_u32 v[87:88], null, v77, s35, s[14:15]
	v_ashrrev_i32_e32 v88, 31, v87
	s_delay_alu instid0(VALU_DEP_1) | instskip(SKIP_1) | instid1(VALU_DEP_1)
	v_lshlrev_b64 v[87:88], 2, v[87:88]
	s_waitcnt lgkmcnt(0)
	v_add_co_u32 v89, vcc_lo, s10, v87
	s_delay_alu instid0(VALU_DEP_2)
	v_add_co_ci_u32_e32 v90, vcc_lo, s11, v88, vcc_lo
	v_add_co_u32 v87, vcc_lo, s8, v87
	v_add_co_ci_u32_e32 v88, vcc_lo, s9, v88, vcc_lo
	global_store_b32 v[89:90], v85, off
	global_store_b32 v[87:88], v86, off
.LBB378_16:
	s_or_b32 exec_lo, exec_lo, s3
	s_waitcnt lgkmcnt(0)
	s_waitcnt_vscnt null, 0x0
	s_barrier
	buffer_gl0_inv
	ds_load_b128 v[93:96], v79
	ds_load_b128 v[97:100], v79 offset:16
	ds_load_b128 v[105:108], v79 offset:1040
	;; [unrolled: 1-line block ×5, first 2 shown]
	v_cmp_eq_u32_e32 vcc_lo, 1, v84
	v_mov_b32_e32 v85, 0
	ds_load_b128 v[121:124], v79 offset:3088
	ds_load_b128 v[117:120], v79 offset:3072
	;; [unrolled: 1-line block ×4, first 2 shown]
	v_cmp_eq_u32_e64 s3, 1, v80
	v_cmp_eq_u32_e64 s4, 1, v83
	;; [unrolled: 1-line block ×3, first 2 shown]
	v_mov_b32_e32 v86, v85
	v_mov_b32_e32 v87, v85
	;; [unrolled: 1-line block ×7, first 2 shown]
	v_cmp_eq_u32_e64 s6, 2, v80
	s_waitcnt lgkmcnt(8)
	s_delay_alu instid0(VALU_DEP_2)
	v_wmma_f32_16x16x16_f16 v[85:92], v[65:72], v[93:100], v[85:92]
	ds_load_b128 v[69:72], v79 offset:5136
	ds_load_b128 v[65:68], v79 offset:5120
	;; [unrolled: 1-line block ×4, first 2 shown]
	s_waitcnt lgkmcnt(10)
	v_wmma_f32_16x16x16_f16 v[85:92], v[57:64], v[101:108], v[85:92]
	s_waitcnt lgkmcnt(8)
	s_delay_alu instid0(VALU_DEP_1)
	v_wmma_f32_16x16x16_f16 v[85:92], v[57:64], v[109:116], v[85:92]
	ds_load_b128 v[61:64], v79 offset:7184
	ds_load_b128 v[57:60], v79 offset:7168
	;; [unrolled: 1-line block ×4, first 2 shown]
	s_waitcnt lgkmcnt(10)
	v_wmma_f32_16x16x16_f16 v[85:92], v[49:56], v[117:124], v[85:92]
	s_waitcnt lgkmcnt(8)
	s_delay_alu instid0(VALU_DEP_1)
	v_wmma_f32_16x16x16_f16 v[85:92], v[49:56], v[125:132], v[85:92]
	ds_load_b128 v[53:56], v79 offset:9232
	ds_load_b128 v[49:52], v79 offset:9216
	s_waitcnt lgkmcnt(8)
	v_wmma_f32_16x16x16_f16 v[85:92], v[41:48], v[65:72], v[85:92]
	ds_load_b128 v[69:72], v79 offset:10256
	ds_load_b128 v[65:68], v79 offset:10240
	s_waitcnt lgkmcnt(8)
	;; [unrolled: 4-line block ×7, first 2 shown]
	s_barrier
	buffer_gl0_inv
	v_wmma_f32_16x16x16_f16 v[85:92], v[33:40], v[41:48], v[85:92]
	s_delay_alu instid0(VALU_DEP_1) | instskip(NEXT) | instid1(VALU_DEP_1)
	v_wmma_f32_16x16x16_f16 v[85:92], v[33:40], v[57:64], v[85:92]
	v_wmma_f32_16x16x16_f16 v[85:92], v[25:32], v[9:16], v[85:92]
	s_delay_alu instid0(VALU_DEP_1) | instskip(NEXT) | instid1(VALU_DEP_1)
	v_wmma_f32_16x16x16_f16 v[85:92], v[25:32], v[49:56], v[85:92]
	v_wmma_f32_16x16x16_f16 v[85:92], v[17:24], v[1:8], v[85:92]
	s_delay_alu instid0(VALU_DEP_1) | instskip(NEXT) | instid1(VALU_DEP_2)
	v_cvt_f16_f32_e32 v1, v85
	v_cvt_f16_f32_e32 v2, v86
	s_delay_alu instid0(VALU_DEP_3) | instskip(NEXT) | instid1(VALU_DEP_4)
	v_cvt_f16_f32_e32 v3, v87
	v_cvt_f16_f32_e32 v4, v88
	;; [unrolled: 1-line block ×6, first 2 shown]
	v_pack_b32_f16 v1, v1, v2
	v_pack_b32_f16 v2, v3, v4
	v_pack_b32_f16 v3, v5, v6
	s_delay_alu instid0(VALU_DEP_4)
	v_pack_b32_f16 v4, v7, v8
	ds_store_b128 v78, v[1:4]
	s_waitcnt lgkmcnt(0)
	s_barrier
	buffer_gl0_inv
	ds_load_b128 v[1:4], v81
	ds_load_b128 v[5:8], v81 offset:16
	s_waitcnt lgkmcnt(1)
	v_lshrrev_b32_e32 v9, 16, v1
	s_waitcnt lgkmcnt(0)
	v_lshrrev_b32_e32 v13, 16, v5
	v_lshrrev_b32_e32 v15, 16, v7
	v_lshrrev_b32_e32 v10, 16, v2
	v_lshrrev_b32_e32 v14, 16, v6
	v_cndmask_b32_e64 v17, v1, v9, s3
	v_cndmask_b32_e64 v18, v5, v13, s3
	;; [unrolled: 1-line block ×3, first 2 shown]
	v_cmp_eq_u32_e64 s3, 2, v82
	v_cndmask_b32_e64 v20, v5, v13, s5
	v_cndmask_b32_e32 v21, v1, v9, vcc_lo
	v_cndmask_b32_e32 v22, v5, v13, vcc_lo
	v_cndmask_b32_e64 v1, v1, v9, s4
	v_cndmask_b32_e64 v5, v5, v13, s4
	v_cmp_eq_u32_e32 vcc_lo, 2, v84
	v_cmp_eq_u32_e64 s4, 2, v83
	v_cndmask_b32_e64 v9, v17, v2, s6
	v_cndmask_b32_e64 v13, v18, v6, s6
	;; [unrolled: 1-line block ×4, first 2 shown]
	v_cndmask_b32_e32 v19, v21, v2, vcc_lo
	v_cmp_eq_u32_e64 s3, 3, v84
	v_cndmask_b32_e32 v20, v22, v6, vcc_lo
	v_cndmask_b32_e64 v1, v1, v2, s4
	v_cmp_eq_u32_e32 vcc_lo, 3, v83
	v_cmp_eq_u32_e64 s5, 3, v80
	v_cndmask_b32_e64 v2, v5, v6, s4
	v_cmp_eq_u32_e64 s4, 3, v82
	v_lshrrev_b32_e32 v16, 16, v8
	v_cmp_eq_u32_e64 s6, 4, v80
	v_cndmask_b32_e64 v5, v9, v10, s5
	v_cndmask_b32_e64 v6, v13, v14, s5
	;; [unrolled: 1-line block ×3, first 2 shown]
	v_cmp_eq_u32_e64 s5, 4, v82
	v_cndmask_b32_e64 v13, v18, v14, s4
	v_cndmask_b32_e64 v17, v19, v10, s3
	;; [unrolled: 1-line block ×3, first 2 shown]
	v_cndmask_b32_e32 v1, v1, v10, vcc_lo
	v_cndmask_b32_e32 v2, v2, v14, vcc_lo
	v_cmp_eq_u32_e32 vcc_lo, 4, v84
	v_cmp_eq_u32_e64 s4, 4, v83
	v_lshrrev_b32_e32 v11, 16, v3
	v_cndmask_b32_e64 v5, v5, v3, s6
	v_cndmask_b32_e64 v6, v6, v7, s6
	;; [unrolled: 1-line block ×4, first 2 shown]
	v_cndmask_b32_e32 v13, v17, v3, vcc_lo
	v_cmp_eq_u32_e64 s3, 5, v84
	v_cndmask_b32_e32 v14, v18, v7, vcc_lo
	v_cndmask_b32_e64 v1, v1, v3, s4
	v_cmp_eq_u32_e32 vcc_lo, 5, v83
	v_cmp_eq_u32_e64 s5, 5, v80
	v_cndmask_b32_e64 v2, v2, v7, s4
	v_cmp_eq_u32_e64 s4, 5, v82
	v_cmp_eq_u32_e64 s6, 6, v80
	v_cndmask_b32_e32 v1, v1, v11, vcc_lo
	v_cndmask_b32_e64 v3, v5, v11, s5
	v_cndmask_b32_e64 v5, v6, v15, s5
	;; [unrolled: 1-line block ×3, first 2 shown]
	v_cmp_eq_u32_e64 s5, 6, v82
	v_cndmask_b32_e64 v7, v10, v15, s4
	v_cndmask_b32_e64 v9, v13, v11, s3
	;; [unrolled: 1-line block ×3, first 2 shown]
	v_cndmask_b32_e32 v2, v2, v15, vcc_lo
	v_cmp_eq_u32_e32 vcc_lo, 6, v84
	v_cmp_eq_u32_e64 s3, 6, v83
	v_lshrrev_b32_e32 v12, 16, v4
	v_cndmask_b32_e64 v3, v3, v4, s6
	v_cndmask_b32_e64 v5, v5, v8, s6
	;; [unrolled: 1-line block ×4, first 2 shown]
	v_cndmask_b32_e32 v9, v9, v4, vcc_lo
	v_cmp_eq_u32_e64 s4, 7, v84
	v_cndmask_b32_e32 v10, v10, v8, vcc_lo
	v_cndmask_b32_e64 v1, v1, v4, s3
	v_cmp_eq_u32_e32 vcc_lo, 7, v83
	v_cndmask_b32_e64 v2, v2, v8, s3
	v_cmp_eq_u32_e64 s3, 7, v80
	v_cmp_eq_u32_e64 s5, 7, v82
	v_cndmask_b32_e32 v1, v1, v12, vcc_lo
	s_delay_alu instid0(VALU_DEP_4) | instskip(NEXT) | instid1(VALU_DEP_4)
	v_cndmask_b32_e32 v2, v2, v16, vcc_lo
	v_cndmask_b32_e64 v8, v3, v12, s3
	s_delay_alu instid0(VALU_DEP_4)
	v_cndmask_b32_e64 v6, v6, v12, s5
	v_cndmask_b32_e64 v3, v9, v12, s4
	;; [unrolled: 1-line block ×5, first 2 shown]
	v_perm_b32 v4, v2, v1, 0x5040100
	s_mov_b32 s3, exec_lo
	v_perm_b32 v3, v9, v3, 0x5040100
	v_perm_b32 v2, v7, v6, 0x5040100
	v_perm_b32 v1, v5, v8, 0x5040100
	ds_store_b128 v78, v[1:4]
	s_waitcnt lgkmcnt(0)
	s_barrier
	buffer_gl0_inv
	v_cmpx_gt_u32_e32 32, v0
	s_cbranch_execz .LBB378_2
; %bb.17:
	s_load_b64 s[4:5], s[0:1], 0x68
	v_lshlrev_b32_e32 v0, 10, v0
	v_lshlrev_b32_e32 v1, 4, v76
	s_lshl_b32 s0, s35, 7
	v_add_nc_u32_e32 v18, s31, v75
	s_mul_i32 s1, s0, s34
	s_delay_alu instid0(VALU_DEP_2) | instskip(SKIP_1) | instid1(VALU_DEP_2)
	v_and_or_b32 v0, 0x3800, v0, v1
	s_mul_i32 s6, s1, s7
	v_mul_lo_u32 v1, v18, s0
	s_ashr_i32 s7, s6, 31
	v_add_nc_u32_e32 v2, 2, v18
	v_lshl_or_b32 v19, v75, 6, v0
	s_lshl_b64 s[6:7], s[6:7], 1
	v_add_nc_u32_e32 v8, 4, v18
	v_add_nc_u32_e32 v15, 6, v18
	v_mul_lo_u32 v7, v2, s0
	ds_load_b128 v[3:6], v19
	v_ashrrev_i32_e32 v2, 31, v1
	v_mul_lo_u32 v11, v8, s0
	s_waitcnt lgkmcnt(0)
	s_add_u32 s1, s4, s6
	s_addc_u32 s3, s5, s7
	s_lshl_b32 s4, s14, 7
	v_lshlrev_b64 v[9:10], 1, v[1:2]
	s_ashr_i32 s5, s4, 31
	v_ashrrev_i32_e32 v8, 31, v7
	s_lshl_b64 s[4:5], s[4:5], 1
	v_ashrrev_i32_e32 v12, 31, v11
	s_add_u32 s1, s1, s4
	s_addc_u32 s3, s3, s5
	v_add_co_u32 v1, vcc_lo, s1, v73
	v_add_co_ci_u32_e32 v2, vcc_lo, s3, v74, vcc_lo
	v_mul_lo_u32 v15, v15, s0
	s_delay_alu instid0(VALU_DEP_3) | instskip(NEXT) | instid1(VALU_DEP_3)
	v_add_co_u32 v13, vcc_lo, v1, v9
	v_add_co_ci_u32_e32 v14, vcc_lo, v2, v10, vcc_lo
	v_lshlrev_b64 v[16:17], 1, v[7:8]
	ds_load_b128 v[7:10], v19 offset:128
	global_store_b128 v[13:14], v[3:6], off
	v_add_nc_u32_e32 v5, 8, v18
	v_lshlrev_b64 v[3:4], 1, v[11:12]
	v_add_co_u32 v23, vcc_lo, v1, v16
	v_ashrrev_i32_e32 v16, 31, v15
	s_delay_alu instid0(VALU_DEP_4) | instskip(SKIP_3) | instid1(VALU_DEP_3)
	v_mul_lo_u32 v25, v5, s0
	v_add_nc_u32_e32 v5, 10, v18
	v_add_co_ci_u32_e32 v24, vcc_lo, v2, v17, vcc_lo
	v_add_co_u32 v27, vcc_lo, v1, v3
	v_mul_lo_u32 v29, v5, s0
	v_add_co_ci_u32_e32 v28, vcc_lo, v2, v4, vcc_lo
	v_lshlrev_b64 v[31:32], 1, v[15:16]
	ds_load_b128 v[3:6], v19 offset:256
	ds_load_b128 v[11:14], v19 offset:384
	;; [unrolled: 1-line block ×4, first 2 shown]
	v_ashrrev_i32_e32 v26, 31, v25
	v_ashrrev_i32_e32 v30, 31, v29
	v_add_co_u32 v31, vcc_lo, v1, v31
	s_delay_alu instid0(VALU_DEP_3) | instskip(SKIP_1) | instid1(VALU_DEP_4)
	v_lshlrev_b64 v[25:26], 1, v[25:26]
	v_add_co_ci_u32_e32 v32, vcc_lo, v2, v32, vcc_lo
	v_lshlrev_b64 v[29:30], 1, v[29:30]
	s_delay_alu instid0(VALU_DEP_3) | instskip(NEXT) | instid1(VALU_DEP_4)
	v_add_co_u32 v25, vcc_lo, v1, v25
	v_add_co_ci_u32_e32 v26, vcc_lo, v2, v26, vcc_lo
	s_delay_alu instid0(VALU_DEP_3) | instskip(NEXT) | instid1(VALU_DEP_4)
	v_add_co_u32 v29, vcc_lo, v1, v29
	v_add_co_ci_u32_e32 v30, vcc_lo, v2, v30, vcc_lo
	s_waitcnt lgkmcnt(4)
	global_store_b128 v[23:24], v[7:10], off
	s_waitcnt lgkmcnt(3)
	global_store_b128 v[27:28], v[3:6], off
	;; [unrolled: 2-line block ×5, first 2 shown]
	s_and_b32 exec_lo, exec_lo, s2
	s_cbranch_execz .LBB378_2
; %bb.18:
	ds_load_b128 v[3:6], v0 offset:768
	s_add_i32 s1, s31, 12
	s_delay_alu instid0(SALU_CYCLE_1) | instskip(NEXT) | instid1(SALU_CYCLE_1)
	s_mul_i32 s0, s1, s0
	s_ashr_i32 s1, s0, 31
	s_delay_alu instid0(SALU_CYCLE_1) | instskip(NEXT) | instid1(SALU_CYCLE_1)
	s_lshl_b64 s[0:1], s[0:1], 1
	v_add_co_u32 v0, vcc_lo, v1, s0
	v_add_co_ci_u32_e32 v1, vcc_lo, s1, v2, vcc_lo
	s_waitcnt lgkmcnt(0)
	global_store_b128 v[0:1], v[3:6], off
	s_nop 0
	s_sendmsg sendmsg(MSG_DEALLOC_VGPRS)
	s_endpgm
	.section	.rodata,"a",@progbits
	.p2align	6, 0x0
	.amdhsa_kernel _Z39paged_attention_ll4mi_QKV_mfma16_kernelIDF16_DF16_LN4vllm18Fp8KVCacheDataTypeE0EDF16_Li32ELi128ELi256ELb0ELi13EL8MFMAType0EEvPKT_PKT0_S8_ifPKiSA_SA_iPKfiiiPfSD_PS3_PT2_iSC_SC_
		.amdhsa_group_segment_fixed_size 17472
		.amdhsa_private_segment_fixed_size 0
		.amdhsa_kernarg_size 400
		.amdhsa_user_sgpr_count 13
		.amdhsa_user_sgpr_dispatch_ptr 0
		.amdhsa_user_sgpr_queue_ptr 0
		.amdhsa_user_sgpr_kernarg_segment_ptr 1
		.amdhsa_user_sgpr_dispatch_id 0
		.amdhsa_user_sgpr_private_segment_size 0
		.amdhsa_wavefront_size32 1
		.amdhsa_uses_dynamic_stack 0
		.amdhsa_enable_private_segment 0
		.amdhsa_system_sgpr_workgroup_id_x 1
		.amdhsa_system_sgpr_workgroup_id_y 1
		.amdhsa_system_sgpr_workgroup_id_z 1
		.amdhsa_system_sgpr_workgroup_info 0
		.amdhsa_system_vgpr_workitem_id 0
		.amdhsa_next_free_vgpr 172
		.amdhsa_next_free_sgpr 39
		.amdhsa_reserve_vcc 1
		.amdhsa_float_round_mode_32 0
		.amdhsa_float_round_mode_16_64 0
		.amdhsa_float_denorm_mode_32 3
		.amdhsa_float_denorm_mode_16_64 3
		.amdhsa_dx10_clamp 1
		.amdhsa_ieee_mode 1
		.amdhsa_fp16_overflow 0
		.amdhsa_workgroup_processor_mode 1
		.amdhsa_memory_ordered 1
		.amdhsa_forward_progress 0
		.amdhsa_shared_vgpr_count 0
		.amdhsa_exception_fp_ieee_invalid_op 0
		.amdhsa_exception_fp_denorm_src 0
		.amdhsa_exception_fp_ieee_div_zero 0
		.amdhsa_exception_fp_ieee_overflow 0
		.amdhsa_exception_fp_ieee_underflow 0
		.amdhsa_exception_fp_ieee_inexact 0
		.amdhsa_exception_int_div_zero 0
	.end_amdhsa_kernel
	.section	.text._Z39paged_attention_ll4mi_QKV_mfma16_kernelIDF16_DF16_LN4vllm18Fp8KVCacheDataTypeE0EDF16_Li32ELi128ELi256ELb0ELi13EL8MFMAType0EEvPKT_PKT0_S8_ifPKiSA_SA_iPKfiiiPfSD_PS3_PT2_iSC_SC_,"axG",@progbits,_Z39paged_attention_ll4mi_QKV_mfma16_kernelIDF16_DF16_LN4vllm18Fp8KVCacheDataTypeE0EDF16_Li32ELi128ELi256ELb0ELi13EL8MFMAType0EEvPKT_PKT0_S8_ifPKiSA_SA_iPKfiiiPfSD_PS3_PT2_iSC_SC_,comdat
.Lfunc_end378:
	.size	_Z39paged_attention_ll4mi_QKV_mfma16_kernelIDF16_DF16_LN4vllm18Fp8KVCacheDataTypeE0EDF16_Li32ELi128ELi256ELb0ELi13EL8MFMAType0EEvPKT_PKT0_S8_ifPKiSA_SA_iPKfiiiPfSD_PS3_PT2_iSC_SC_, .Lfunc_end378-_Z39paged_attention_ll4mi_QKV_mfma16_kernelIDF16_DF16_LN4vllm18Fp8KVCacheDataTypeE0EDF16_Li32ELi128ELi256ELb0ELi13EL8MFMAType0EEvPKT_PKT0_S8_ifPKiSA_SA_iPKfiiiPfSD_PS3_PT2_iSC_SC_
                                        ; -- End function
	.section	.AMDGPU.csdata,"",@progbits
; Kernel info:
; codeLenInByte = 7708
; NumSgprs: 41
; NumVgprs: 172
; ScratchSize: 0
; MemoryBound: 0
; FloatMode: 240
; IeeeMode: 1
; LDSByteSize: 17472 bytes/workgroup (compile time only)
; SGPRBlocks: 5
; VGPRBlocks: 21
; NumSGPRsForWavesPerEU: 41
; NumVGPRsForWavesPerEU: 172
; Occupancy: 8
; WaveLimiterHint : 1
; COMPUTE_PGM_RSRC2:SCRATCH_EN: 0
; COMPUTE_PGM_RSRC2:USER_SGPR: 13
; COMPUTE_PGM_RSRC2:TRAP_HANDLER: 0
; COMPUTE_PGM_RSRC2:TGID_X_EN: 1
; COMPUTE_PGM_RSRC2:TGID_Y_EN: 1
; COMPUTE_PGM_RSRC2:TGID_Z_EN: 1
; COMPUTE_PGM_RSRC2:TIDIG_COMP_CNT: 0
	.section	.text._Z39paged_attention_ll4mi_QKV_mfma16_kernelIDF16_DF16_LN4vllm18Fp8KVCacheDataTypeE0EDF16_Li32ELi128ELi256ELb0ELi14EL8MFMAType0EEvPKT_PKT0_S8_ifPKiSA_SA_iPKfiiiPfSD_PS3_PT2_iSC_SC_,"axG",@progbits,_Z39paged_attention_ll4mi_QKV_mfma16_kernelIDF16_DF16_LN4vllm18Fp8KVCacheDataTypeE0EDF16_Li32ELi128ELi256ELb0ELi14EL8MFMAType0EEvPKT_PKT0_S8_ifPKiSA_SA_iPKfiiiPfSD_PS3_PT2_iSC_SC_,comdat
	.protected	_Z39paged_attention_ll4mi_QKV_mfma16_kernelIDF16_DF16_LN4vllm18Fp8KVCacheDataTypeE0EDF16_Li32ELi128ELi256ELb0ELi14EL8MFMAType0EEvPKT_PKT0_S8_ifPKiSA_SA_iPKfiiiPfSD_PS3_PT2_iSC_SC_ ; -- Begin function _Z39paged_attention_ll4mi_QKV_mfma16_kernelIDF16_DF16_LN4vllm18Fp8KVCacheDataTypeE0EDF16_Li32ELi128ELi256ELb0ELi14EL8MFMAType0EEvPKT_PKT0_S8_ifPKiSA_SA_iPKfiiiPfSD_PS3_PT2_iSC_SC_
	.globl	_Z39paged_attention_ll4mi_QKV_mfma16_kernelIDF16_DF16_LN4vllm18Fp8KVCacheDataTypeE0EDF16_Li32ELi128ELi256ELb0ELi14EL8MFMAType0EEvPKT_PKT0_S8_ifPKiSA_SA_iPKfiiiPfSD_PS3_PT2_iSC_SC_
	.p2align	8
	.type	_Z39paged_attention_ll4mi_QKV_mfma16_kernelIDF16_DF16_LN4vllm18Fp8KVCacheDataTypeE0EDF16_Li32ELi128ELi256ELb0ELi14EL8MFMAType0EEvPKT_PKT0_S8_ifPKiSA_SA_iPKfiiiPfSD_PS3_PT2_iSC_SC_,@function
_Z39paged_attention_ll4mi_QKV_mfma16_kernelIDF16_DF16_LN4vllm18Fp8KVCacheDataTypeE0EDF16_Li32ELi128ELi256ELb0ELi14EL8MFMAType0EEvPKT_PKT0_S8_ifPKiSA_SA_iPKfiiiPfSD_PS3_PT2_iSC_SC_: ; @_Z39paged_attention_ll4mi_QKV_mfma16_kernelIDF16_DF16_LN4vllm18Fp8KVCacheDataTypeE0EDF16_Li32ELi128ELi256ELb0ELi14EL8MFMAType0EEvPKT_PKT0_S8_ifPKiSA_SA_iPKfiiiPfSD_PS3_PT2_iSC_SC_
; %bb.0:
	s_load_b64 s[2:3], s[0:1], 0x30
	s_mov_b32 s30, s13
	s_waitcnt lgkmcnt(0)
	s_cmp_lg_u64 s[2:3], 0
	s_cselect_b32 s6, -1, 0
	s_ashr_i32 s31, s13, 31
	s_cmp_eq_u64 s[2:3], 0
	s_cbranch_scc1 .LBB379_3
; %bb.1:
	s_lshl_b64 s[4:5], s[30:31], 2
	s_delay_alu instid0(SALU_CYCLE_1) | instskip(SKIP_4) | instid1(SALU_CYCLE_1)
	s_add_u32 s4, s2, s4
	s_addc_u32 s5, s3, s5
	s_load_b64 s[4:5], s[4:5], 0x0
	s_waitcnt lgkmcnt(0)
	s_sub_i32 s4, s5, s4
	s_cmp_eq_u32 s4, 1
	s_cselect_b32 s4, -1, 0
	s_delay_alu instid0(SALU_CYCLE_1)
	s_and_not1_b32 vcc_lo, exec_lo, s4
	s_cbranch_vccz .LBB379_4
.LBB379_2:
	s_endpgm
.LBB379_3:
.LBB379_4:
	s_load_b64 s[8:9], s[0:1], 0x28
	s_lshl_b64 s[4:5], s[30:31], 2
	s_waitcnt lgkmcnt(0)
	s_add_u32 s8, s8, s4
	s_addc_u32 s9, s9, s5
	s_lshl_b32 s12, s14, 8
	s_load_b32 s17, s[8:9], 0x0
	s_waitcnt lgkmcnt(0)
	s_cmp_ge_i32 s12, s17
	s_cbranch_scc1 .LBB379_2
; %bb.5:
	s_and_not1_b32 vcc_lo, exec_lo, s6
	s_cbranch_vccnz .LBB379_7
; %bb.6:
	s_add_u32 s2, s2, s4
	s_addc_u32 s3, s3, s5
	s_load_b32 s13, s[2:3], 0x0
	s_branch .LBB379_8
.LBB379_7:
	s_mov_b32 s13, s30
.LBB379_8:
	s_clause 0x2
	s_load_b128 s[8:11], s[0:1], 0x8
	s_load_b64 s[2:3], s[0:1], 0x20
	s_load_b128 s[4:7], s[0:1], 0x48
	v_and_b32_e32 v77, 15, v0
	s_waitcnt lgkmcnt(0)
	s_mov_b32 s7, exec_lo
	s_delay_alu instid0(VALU_DEP_1)
	v_lshlrev_b32_e32 v1, 3, v77
	v_cmpx_lt_u32_e32 0xdf, v0
	s_xor_b32 s7, exec_lo, s7
; %bb.9:
	v_mov_b32_e32 v2, 0
; %bb.10:
	s_or_saveexec_b32 s7, s7
	v_lshrrev_b32_e32 v78, 5, v0
	v_and_b32_e32 v80, 31, v0
	v_and_b32_e32 v76, 1, v0
	v_bfe_u32 v75, v0, 4, 1
	s_mul_i32 s31, s15, 14
	s_xor_b32 exec_lo, exec_lo, s7
	s_cbranch_execz .LBB379_12
; %bb.11:
	s_load_b64 s[18:19], s[0:1], 0x0
	v_lshl_or_b32 v7, v78, 1, v75
	s_mul_hi_i32 s21, s13, s4
	s_mul_i32 s20, s13, s4
	v_lshlrev_b32_e32 v4, 1, v1
	s_lshl_b64 s[20:21], s[20:21], 1
	v_add_lshl_u32 v2, v7, s31, 7
	v_lshlrev_b32_e32 v7, 6, v7
	v_lshlrev_b32_e32 v8, 10, v76
	s_delay_alu instid0(VALU_DEP_3) | instskip(NEXT) | instid1(VALU_DEP_1)
	v_ashrrev_i32_e32 v3, 31, v2
	v_lshlrev_b64 v[2:3], 1, v[2:3]
	s_waitcnt lgkmcnt(0)
	s_add_u32 s4, s18, s20
	s_addc_u32 s13, s19, s21
	s_delay_alu instid0(VALU_DEP_1) | instskip(NEXT) | instid1(VALU_DEP_2)
	v_add_co_u32 v2, vcc_lo, s4, v2
	v_add_co_ci_u32_e32 v3, vcc_lo, s13, v3, vcc_lo
	s_delay_alu instid0(VALU_DEP_2) | instskip(NEXT) | instid1(VALU_DEP_2)
	v_add_co_u32 v2, vcc_lo, v2, v4
	v_add_co_ci_u32_e32 v3, vcc_lo, 0, v3, vcc_lo
	global_load_b128 v[3:6], v[2:3], off
	v_lshlrev_b32_e32 v2, 10, v77
	s_delay_alu instid0(VALU_DEP_1) | instskip(NEXT) | instid1(VALU_DEP_1)
	v_and_b32_e32 v2, 0x3800, v2
	v_or3_b32 v7, v2, v8, v7
	v_mov_b32_e32 v2, 0
	s_waitcnt vmcnt(0)
	ds_store_b128 v7, v[3:6]
.LBB379_12:
	s_or_b32 exec_lo, exec_lo, s7
	v_and_b32_e32 v3, 0xef, v0
	s_add_i32 s4, s17, 31
	s_clause 0x1
	s_load_b32 s7, s[0:1], 0x38
	s_load_b32 s33, s[0:1], 0x98
	s_ashr_i32 s13, s4, 31
	v_add_nc_u32_e32 v3, s12, v3
	s_lshr_b32 s13, s13, 27
	s_load_b32 s18, s[0:1], 0x1c
	s_add_i32 s4, s4, s13
	s_waitcnt lgkmcnt(0)
	v_ashrrev_i32_e32 v4, 31, v3
	v_cmp_gt_i32_e32 vcc_lo, s17, v3
	s_ashr_i32 s4, s4, 5
	s_barrier
	s_add_i32 s4, s4, -1
	v_lshrrev_b32_e32 v5, 27, v4
	v_or_b32_e32 v4, 16, v3
	buffer_gl0_inv
	v_lshlrev_b64 v[73:74], 1, v[1:2]
	v_lshlrev_b32_e32 v79, 6, v77
	v_add_nc_u32_e32 v6, v3, v5
	v_add_nc_u32_e32 v5, v4, v5
	s_mul_i32 s20, s30, s7
	s_delay_alu instid0(SALU_CYCLE_1) | instskip(NEXT) | instid1(VALU_DEP_2)
	s_ashr_i32 s21, s20, 31
	v_ashrrev_i32_e32 v6, 5, v6
	s_delay_alu instid0(VALU_DEP_2) | instskip(SKIP_1) | instid1(SALU_CYCLE_1)
	v_ashrrev_i32_e32 v5, 5, v5
	s_lshl_b64 s[20:21], s[20:21], 2
	s_add_u32 s13, s2, s20
	s_delay_alu instid0(VALU_DEP_2) | instskip(SKIP_3) | instid1(SALU_CYCLE_1)
	v_cndmask_b32_e32 v3, s4, v6, vcc_lo
	v_cmp_gt_i32_e32 vcc_lo, s17, v4
	s_addc_u32 s16, s3, s21
	s_mul_i32 s2, s15, s6
	s_ashr_i32 s3, s2, 31
	v_cndmask_b32_e32 v5, s4, v5, vcc_lo
	v_ashrrev_i32_e32 v4, 31, v3
	s_lshl_b64 s[2:3], s[2:3], 1
	s_delay_alu instid0(SALU_CYCLE_1) | instskip(NEXT) | instid1(VALU_DEP_2)
	s_add_u32 s15, s8, s2
	v_ashrrev_i32_e32 v6, 31, v5
	s_delay_alu instid0(VALU_DEP_2) | instskip(SKIP_2) | instid1(VALU_DEP_2)
	v_lshlrev_b64 v[3:4], 2, v[3:4]
	s_addc_u32 s19, s9, s3
	s_lshl_b32 s6, s14, 3
	v_lshlrev_b64 v[5:6], 2, v[5:6]
	s_ashr_i32 s7, s6, 31
	s_delay_alu instid0(VALU_DEP_2) | instskip(SKIP_1) | instid1(VALU_DEP_3)
	v_add_co_u32 v3, vcc_lo, s13, v3
	v_add_co_ci_u32_e32 v4, vcc_lo, s16, v4, vcc_lo
	v_add_co_u32 v5, vcc_lo, s13, v5
	s_delay_alu instid0(VALU_DEP_4)
	v_add_co_ci_u32_e32 v6, vcc_lo, s16, v6, vcc_lo
	s_lshl_b64 s[6:7], s[6:7], 2
	s_clause 0x1
	global_load_b32 v7, v[3:4], off
	global_load_b32 v8, v[5:6], off
	s_add_u32 s6, s13, s6
	s_addc_u32 s7, s16, s7
	s_or_b32 s8, s12, 32
	s_delay_alu instid0(SALU_CYCLE_1) | instskip(SKIP_2) | instid1(SALU_CYCLE_1)
	s_ashr_i32 s9, s8, 5
	s_cmp_lt_i32 s8, s17
	s_cselect_b32 s8, s9, s4
	s_ashr_i32 s9, s8, 31
	s_delay_alu instid0(SALU_CYCLE_1) | instskip(NEXT) | instid1(SALU_CYCLE_1)
	s_lshl_b64 s[8:9], s[8:9], 2
	s_add_u32 s8, s13, s8
	s_addc_u32 s9, s16, s9
	s_or_b32 s20, s12, 64
	s_delay_alu instid0(SALU_CYCLE_1) | instskip(SKIP_2) | instid1(SALU_CYCLE_1)
	s_ashr_i32 s21, s20, 5
	s_cmp_lt_i32 s20, s17
	s_cselect_b32 s20, s21, s4
	s_ashr_i32 s21, s20, 31
	s_delay_alu instid0(SALU_CYCLE_1) | instskip(NEXT) | instid1(SALU_CYCLE_1)
	s_lshl_b64 s[20:21], s[20:21], 2
	;; [unrolled: 10-line block ×5, first 2 shown]
	s_add_u32 s26, s13, s26
	s_addc_u32 s27, s16, s27
	s_clause 0x5
	s_load_b32 s28, s[6:7], 0x0
	s_load_b32 s29, s[8:9], 0x0
	;; [unrolled: 1-line block ×6, first 2 shown]
	s_mov_b32 s20, 0
	s_or_b32 s6, s12, 0xc0
	s_mov_b32 s21, s20
	s_mov_b32 s22, s20
	;; [unrolled: 1-line block ×7, first 2 shown]
	s_ashr_i32 s7, s6, 5
	v_mov_b32_e32 v128, s27
	s_cmp_lt_i32 s6, s17
	v_mov_b32_e32 v127, s26
	s_cselect_b32 s6, s7, s4
	v_mov_b32_e32 v126, s25
	s_ashr_i32 s7, s6, 31
	v_mov_b32_e32 v125, s24
	s_lshl_b64 s[6:7], s[6:7], 2
	v_mov_b32_e32 v124, s23
	s_add_u32 s6, s13, s6
	s_addc_u32 s7, s16, s7
	v_mov_b32_e32 v123, s22
	v_mov_b32_e32 v121, s20
	s_waitcnt lgkmcnt(0)
	s_mul_hi_i32 s9, s28, s5
	s_mul_i32 s8, s28, s5
	v_mov_b32_e32 v122, s21
	s_mul_hi_i32 s21, s29, s5
	s_mul_i32 s20, s29, s5
	s_mul_hi_i32 s25, s34, s5
	s_mul_i32 s24, s34, s5
	;; [unrolled: 2-line block ×4, first 2 shown]
	s_waitcnt vmcnt(1)
	v_mad_i64_i32 v[3:4], null, v7, s5, 0
	s_waitcnt vmcnt(0)
	v_mad_i64_i32 v[5:6], null, v8, s5, 0
	s_delay_alu instid0(VALU_DEP_2) | instskip(NEXT) | instid1(VALU_DEP_2)
	v_lshlrev_b64 v[3:4], 1, v[3:4]
	v_lshlrev_b64 v[1:2], 1, v[5:6]
	s_delay_alu instid0(VALU_DEP_2) | instskip(NEXT) | instid1(VALU_DEP_3)
	v_add_co_u32 v3, vcc_lo, s15, v3
	v_add_co_ci_u32_e32 v4, vcc_lo, s19, v4, vcc_lo
	s_delay_alu instid0(VALU_DEP_3) | instskip(NEXT) | instid1(VALU_DEP_4)
	v_add_co_u32 v1, vcc_lo, s15, v1
	v_add_co_ci_u32_e32 v2, vcc_lo, s19, v2, vcc_lo
	s_delay_alu instid0(VALU_DEP_4) | instskip(NEXT) | instid1(VALU_DEP_4)
	v_add_co_u32 v65, vcc_lo, v3, v73
	v_add_co_ci_u32_e32 v66, vcc_lo, v4, v74, vcc_lo
	s_delay_alu instid0(VALU_DEP_4) | instskip(NEXT) | instid1(VALU_DEP_4)
	v_add_co_u32 v67, vcc_lo, v1, v73
	v_add_co_ci_u32_e32 v68, vcc_lo, v2, v74, vcc_lo
	s_clause 0xf
	global_load_b128 v[1:4], v[65:66], off
	global_load_b128 v[5:8], v[65:66], off offset:512
	global_load_b128 v[9:12], v[67:68], off offset:256
	;; [unrolled: 1-line block ×15, first 2 shown]
	v_add_co_u32 v157, vcc_lo, 0x1000, v65
	v_add_co_ci_u32_e32 v158, vcc_lo, 0, v66, vcc_lo
	v_add_co_u32 v165, vcc_lo, 0x1000, v67
	v_add_co_ci_u32_e32 v166, vcc_lo, 0, v68, vcc_lo
	s_clause 0x7
	global_load_b128 v[81:84], v[157:158], off
	global_load_b128 v[85:88], v[157:158], off offset:512
	global_load_b128 v[89:92], v[165:166], off offset:256
	global_load_b128 v[93:96], v[165:166], off offset:768
	global_load_b128 v[97:100], v[157:158], off offset:1024
	global_load_b128 v[101:104], v[157:158], off offset:1536
	global_load_b128 v[105:108], v[165:166], off offset:1280
	global_load_b128 v[109:112], v[165:166], off offset:1792
	v_add_nc_u32_e32 v65, -14, v77
	v_cmp_gt_u32_e32 vcc_lo, 14, v77
	s_or_b32 s15, s12, 0xe0
	s_delay_alu instid0(SALU_CYCLE_1) | instskip(SKIP_3) | instid1(SALU_CYCLE_1)
	s_ashr_i32 s19, s15, 5
	s_cmp_lt_i32 s15, s17
	v_cndmask_b32_e32 v65, v65, v77, vcc_lo
	s_cselect_b32 s22, s19, s4
	s_ashr_i32 s23, s22, 31
	s_delay_alu instid0(VALU_DEP_1)
	v_lshlrev_b32_e32 v169, 6, v65
	ds_load_b128 v[65:68], v169
	ds_load_b128 v[69:72], v169 offset:1024
	s_clause 0x1
	global_load_b128 v[113:116], v[157:158], off offset:2048
	global_load_b128 v[117:120], v[157:158], off offset:2560
	ds_load_b128 v[129:132], v169 offset:2048
	ds_load_b128 v[133:136], v169 offset:3072
	s_clause 0x5
	global_load_b128 v[145:148], v[165:166], off offset:2304
	global_load_b128 v[149:152], v[165:166], off offset:2816
	;; [unrolled: 1-line block ×6, first 2 shown]
	s_lshl_b64 s[22:23], s[22:23], 2
	s_delay_alu instid0(SALU_CYCLE_1) | instskip(SKIP_2) | instid1(SALU_CYCLE_1)
	s_add_u32 s22, s13, s22
	s_addc_u32 s23, s16, s23
	s_add_i32 s15, s12, 0x100
	s_ashr_i32 s19, s15, 5
	s_cmp_lt_i32 s15, s17
	s_cselect_b32 s28, s19, s4
	s_delay_alu instid0(SALU_CYCLE_1) | instskip(NEXT) | instid1(SALU_CYCLE_1)
	s_ashr_i32 s29, s28, 31
	s_lshl_b64 s[28:29], s[28:29], 2
	s_delay_alu instid0(SALU_CYCLE_1)
	s_add_u32 s28, s13, s28
	s_addc_u32 s29, s16, s29
	s_add_u32 s4, s10, s2
	s_addc_u32 s19, s11, s3
	s_lshl_b64 s[2:3], s[8:9], 1
	s_lshl_b64 s[8:9], s[20:21], 1
	;; [unrolled: 1-line block ×4, first 2 shown]
	s_waitcnt vmcnt(30) lgkmcnt(2)
	v_wmma_f32_16x16x16_f16 v[137:144], v[1:8], v[65:72], v[121:128]
	ds_load_b128 v[1:4], v169 offset:4096
	ds_load_b128 v[5:8], v169 offset:5120
	s_waitcnt vmcnt(28)
	v_wmma_f32_16x16x16_f16 v[121:128], v[9:16], v[65:72], v[121:128]
	ds_load_b128 v[9:12], v169 offset:6144
	ds_load_b128 v[13:16], v169 offset:7168
	s_waitcnt vmcnt(26) lgkmcnt(4)
	v_wmma_f32_16x16x16_f16 v[137:144], v[17:24], v[129:136], v[137:144]
	ds_load_b128 v[17:20], v169 offset:8192
	ds_load_b128 v[21:24], v169 offset:9216
	s_waitcnt vmcnt(24)
	v_wmma_f32_16x16x16_f16 v[121:128], v[25:32], v[129:136], v[121:128]
	v_lshl_or_b32 v25, v78, 10, v79
	ds_load_b128 v[129:132], v169 offset:10240
	ds_load_b128 v[133:136], v169 offset:11264
	s_clause 0x2
	s_load_b32 s15, s[6:7], 0x0
	s_load_b32 s13, s[22:23], 0x0
	;; [unrolled: 1-line block ×3, first 2 shown]
	s_mul_hi_i32 s7, s36, s5
	v_add_co_u32 v170, s4, s4, v25
	s_delay_alu instid0(VALU_DEP_1)
	v_add_co_ci_u32_e64 v171, null, s19, 0, s4
	s_mul_i32 s6, s36, s5
	s_lshl_b64 s[22:23], s[34:35], 1
	s_lshl_b64 s[6:7], s[6:7], 1
	s_waitcnt vmcnt(22) lgkmcnt(0)
	v_wmma_f32_16x16x16_f16 v[137:144], v[33:40], v[1:8], v[137:144]
	s_waitcnt vmcnt(20)
	v_wmma_f32_16x16x16_f16 v[121:128], v[41:48], v[1:8], v[121:128]
	v_add_co_u32 v1, vcc_lo, v170, s2
	v_add_co_ci_u32_e32 v2, vcc_lo, s3, v171, vcc_lo
	v_add_co_u32 v3, vcc_lo, v170, s8
	v_add_co_ci_u32_e32 v4, vcc_lo, s9, v171, vcc_lo
	;; [unrolled: 2-line block ×4, first 2 shown]
	v_add_co_u32 v25, vcc_lo, v170, s6
	s_mul_hi_i32 s25, s15, s5
	s_mul_i32 s24, s15, s5
	v_add_co_ci_u32_e32 v26, vcc_lo, s7, v171, vcc_lo
	v_add_co_u32 v27, vcc_lo, v170, s22
	s_lshl_b64 s[24:25], s[24:25], 1
	s_waitcnt vmcnt(18)
	v_wmma_f32_16x16x16_f16 v[137:144], v[49:56], v[9:16], v[137:144]
	s_waitcnt vmcnt(16)
	v_wmma_f32_16x16x16_f16 v[121:128], v[57:64], v[9:16], v[121:128]
	v_add_co_ci_u32_e32 v28, vcc_lo, s23, v171, vcc_lo
	s_mul_hi_i32 s3, s13, s5
	s_mul_i32 s2, s13, s5
	v_add_co_u32 v29, vcc_lo, v170, s24
	s_lshl_b64 s[2:3], s[2:3], 1
	v_add_co_ci_u32_e32 v30, vcc_lo, s25, v171, vcc_lo
	s_waitcnt vmcnt(14)
	v_wmma_f32_16x16x16_f16 v[137:144], v[81:88], v[17:24], v[137:144]
	s_waitcnt vmcnt(12)
	v_wmma_f32_16x16x16_f16 v[121:128], v[89:96], v[17:24], v[121:128]
	v_add_co_u32 v17, vcc_lo, v170, s2
	v_add_co_ci_u32_e32 v18, vcc_lo, s3, v171, vcc_lo
	s_mul_hi_i32 s3, s16, s5
	s_mul_i32 s2, s16, s5
	s_clause 0x5
	global_load_b128 v[65:68], v[1:2], off
	global_load_b128 v[69:72], v[1:2], off offset:16
	global_load_b128 v[57:60], v[3:4], off
	global_load_b128 v[61:64], v[3:4], off offset:16
	;; [unrolled: 2-line block ×3, first 2 shown]
	s_lshl_b64 s[2:3], s[2:3], 1
	s_clause 0x1
	global_load_b128 v[41:44], v[7:8], off
	global_load_b128 v[45:48], v[7:8], off offset:16
	v_add_co_u32 v21, vcc_lo, v170, s2
	v_add_co_ci_u32_e32 v22, vcc_lo, s3, v171, vcc_lo
	s_clause 0x9
	global_load_b128 v[9:12], v[25:26], off
	global_load_b128 v[13:16], v[25:26], off offset:16
	global_load_b128 v[1:4], v[27:28], off
	global_load_b128 v[5:8], v[27:28], off offset:16
	;; [unrolled: 2-line block ×5, first 2 shown]
	ds_load_b128 v[81:84], v169 offset:12288
	ds_load_b128 v[85:88], v169 offset:13312
	v_and_b32_e32 v89, 0xe0, v0
	s_waitcnt vmcnt(28)
	v_wmma_f32_16x16x16_f16 v[137:144], v[97:104], v[129:136], v[137:144]
	v_mbcnt_lo_u32_b32 v97, -1, 0
	s_waitcnt vmcnt(26)
	v_wmma_f32_16x16x16_f16 v[121:128], v[105:112], v[129:136], v[121:128]
	v_add_nc_u32_e32 v98, s12, v89
	ds_load_b128 v[89:92], v169 offset:14336
	ds_load_b128 v[93:96], v169 offset:15360
	v_xor_b32_e32 v99, 16, v97
	s_waitcnt vmcnt(0) lgkmcnt(0)
	s_barrier
	v_or_b32_e32 v98, v98, v75
	buffer_gl0_inv
	v_cmp_gt_i32_e32 vcc_lo, 32, v99
	v_or_b32_e32 v100, 4, v98
	v_or_b32_e32 v101, 22, v98
	;; [unrolled: 1-line block ×4, first 2 shown]
	v_wmma_f32_16x16x16_f16 v[137:144], v[113:120], v[81:88], v[137:144]
	v_wmma_f32_16x16x16_f16 v[121:128], v[145:152], v[81:88], v[121:128]
	v_or_b32_e32 v81, 6, v98
	v_or_b32_e32 v82, 8, v98
	;; [unrolled: 1-line block ×3, first 2 shown]
	v_cmp_gt_i32_e64 s3, s17, v100
	v_or_b32_e32 v84, 12, v98
	v_wmma_f32_16x16x16_f16 v[137:144], v[153:160], v[89:96], v[137:144]
	v_wmma_f32_16x16x16_f16 v[121:128], v[161:168], v[89:96], v[121:128]
	v_cndmask_b32_e32 v97, v97, v99, vcc_lo
	v_or_b32_e32 v99, 2, v98
	v_cmp_gt_i32_e32 vcc_lo, s17, v98
	v_dual_mul_f32 v95, s18, v138 :: v_dual_mul_f32 v96, s18, v137
	v_mul_f32_e32 v93, s18, v140
	s_delay_alu instid0(VALU_DEP_4)
	v_cmp_gt_i32_e64 s2, s17, v99
	v_mul_f32_e32 v94, s18, v139
	v_mul_f32_e32 v110, s18, v124
	v_cndmask_b32_e32 v96, 0xff7fffff, v96, vcc_lo
	v_cmp_gt_i32_e64 s4, s17, v81
	v_cndmask_b32_e64 v95, 0xff7fffff, v95, s2
	v_or_b32_e32 v85, 14, v98
	v_dual_mul_f32 v91, s18, v142 :: v_dual_mul_f32 v92, s18, v141
	v_cndmask_b32_e64 v94, 0xff7fffff, v94, s3
	v_cndmask_b32_e64 v81, 0xff7fffff, v93, s4
	v_max3_f32 v93, v96, 0xff7fffff, v95
	v_cmp_gt_i32_e64 s5, s17, v82
	v_cmp_gt_i32_e64 s6, s17, v83
	v_or_b32_e32 v86, 16, v98
	v_or_b32_e32 v87, 18, v98
	v_dual_mul_f32 v89, s18, v144 :: v_dual_mul_f32 v112, s18, v122
	v_mul_f32_e32 v90, s18, v143
	v_cndmask_b32_e64 v82, 0xff7fffff, v92, s5
	v_cndmask_b32_e64 v83, 0xff7fffff, v91, s6
	v_max3_f32 v81, v93, v94, v81
	v_cmp_gt_i32_e64 s7, s17, v84
	v_cmp_gt_i32_e64 s8, s17, v85
	v_or_b32_e32 v88, 20, v98
	v_mul_f32_e32 v113, s18, v121
	v_max3_f32 v81, v81, v82, v83
	v_cndmask_b32_e64 v84, 0xff7fffff, v90, s7
	v_cndmask_b32_e64 v85, 0xff7fffff, v89, s8
	v_cmp_gt_i32_e64 s9, s17, v86
	v_cmp_gt_i32_e64 s10, s17, v87
	v_mul_f32_e32 v111, s18, v123
	v_cmp_gt_i32_e64 s11, s17, v88
	v_max3_f32 v81, v81, v84, v85
	v_cndmask_b32_e64 v82, 0xff7fffff, v113, s9
	v_cndmask_b32_e64 v83, 0xff7fffff, v112, s10
	v_cmp_gt_i32_e64 s12, s17, v101
	v_or_b32_e32 v104, 28, v98
	v_or_b32_e32 v105, 30, v98
	v_dual_mul_f32 v108, s18, v126 :: v_dual_mul_f32 v109, s18, v125
	v_cndmask_b32_e64 v84, 0xff7fffff, v111, s11
	v_cndmask_b32_e64 v85, 0xff7fffff, v110, s12
	v_max3_f32 v81, v81, v82, v83
	v_cmp_gt_i32_e64 s13, s17, v102
	v_cmp_gt_i32_e64 s15, s17, v103
	v_dual_mul_f32 v106, s18, v128 :: v_dual_mul_f32 v107, s18, v127
	s_delay_alu instid0(VALU_DEP_4) | instskip(NEXT) | instid1(VALU_DEP_4)
	v_max3_f32 v81, v81, v84, v85
	v_cndmask_b32_e64 v82, 0xff7fffff, v109, s13
	s_delay_alu instid0(VALU_DEP_4) | instskip(SKIP_2) | instid1(VALU_DEP_3)
	v_cndmask_b32_e64 v83, 0xff7fffff, v108, s15
	v_cmp_gt_i32_e64 s16, s17, v104
	v_cmp_gt_i32_e64 s17, s17, v105
	v_max3_f32 v81, v81, v82, v83
	s_delay_alu instid0(VALU_DEP_3) | instskip(NEXT) | instid1(VALU_DEP_3)
	v_cndmask_b32_e64 v84, 0xff7fffff, v107, s16
	v_cndmask_b32_e64 v85, 0xff7fffff, v106, s17
	v_lshlrev_b32_e32 v83, 2, v97
	s_delay_alu instid0(VALU_DEP_2) | instskip(SKIP_3) | instid1(VALU_DEP_1)
	v_max3_f32 v81, v81, v84, v85
	ds_bpermute_b32 v82, v83, v81
	s_waitcnt lgkmcnt(0)
	v_max_f32_e32 v82, v82, v82
	v_max_f32_e32 v81, v81, v82
	s_delay_alu instid0(VALU_DEP_1)
	v_fma_f32 v82, s18, v137, -v81
	v_fma_f32 v84, s18, v138, -v81
	;; [unrolled: 1-line block ×5, first 2 shown]
	v_mul_f32_e32 v82, 0x3fb8aa3b, v82
	s_delay_alu instid0(VALU_DEP_4) | instskip(NEXT) | instid1(VALU_DEP_3)
	v_dual_mul_f32 v84, 0x3fb8aa3b, v84 :: v_dual_mul_f32 v85, 0x3fb8aa3b, v85
	v_dual_mul_f32 v86, 0x3fb8aa3b, v86 :: v_dual_mul_f32 v89, 0x3fb8aa3b, v87
	s_delay_alu instid0(VALU_DEP_3) | instskip(NEXT) | instid1(VALU_DEP_2)
	v_exp_f32_e32 v82, v82
	v_exp_f32_e32 v84, v84
	s_delay_alu instid0(VALU_DEP_2) | instskip(NEXT) | instid1(VALU_DEP_1)
	v_exp_f32_e32 v85, v85
	v_exp_f32_e32 v86, v86
	;; [unrolled: 1-line block ×3, first 2 shown]
	v_cndmask_b32_e32 v88, 0, v82, vcc_lo
	v_cndmask_b32_e64 v87, 0, v84, s2
	s_delay_alu instid0(TRANS32_DEP_3)
	v_cndmask_b32_e64 v90, 0, v85, s3
	s_waitcnt_depctr 0xfff
	v_cndmask_b32_e64 v89, 0, v86, s4
	v_cndmask_b32_e64 v92, 0, v92, s5
	v_add_f32_e32 v84, 0, v88
	s_mov_b32 s2, exec_lo
	s_delay_alu instid0(VALU_DEP_1) | instskip(NEXT) | instid1(VALU_DEP_1)
	v_add_f32_e32 v84, v84, v87
	v_add_f32_e32 v84, v84, v90
	s_delay_alu instid0(VALU_DEP_1)
	v_add_f32_e32 v84, v84, v89
	v_fma_f32 v82, s18, v142, -v81
	v_fma_f32 v91, s18, v143, -v81
	;; [unrolled: 1-line block ×5, first 2 shown]
	s_delay_alu instid0(VALU_DEP_4) | instskip(SKIP_1) | instid1(VALU_DEP_4)
	v_dual_mul_f32 v82, 0x3fb8aa3b, v82 :: v_dual_mul_f32 v91, 0x3fb8aa3b, v91
	v_fma_f32 v96, s18, v124, -v81
	v_mul_f32_e32 v86, 0x3fb8aa3b, v86
	s_delay_alu instid0(VALU_DEP_4) | instskip(NEXT) | instid1(VALU_DEP_4)
	v_mul_f32_e32 v95, 0x3fb8aa3b, v94
	v_exp_f32_e32 v82, v82
	v_exp_f32_e32 v93, v91
	v_mul_f32_e32 v97, 0x3fb8aa3b, v96
	v_exp_f32_e32 v86, v86
	v_fma_f32 v99, s18, v127, -v81
	s_delay_alu instid0(VALU_DEP_2) | instskip(SKIP_2) | instid1(TRANS32_DEP_3)
	v_exp_f32_e32 v97, v97
	v_cndmask_b32_e64 v91, 0, v82, s6
	v_dual_add_f32 v82, v84, v92 :: v_dual_mul_f32 v85, 0x3fb8aa3b, v85
	v_cndmask_b32_e64 v94, 0, v93, s7
	v_fma_f32 v84, s18, v123, -v81
	s_delay_alu instid0(TRANS32_DEP_2) | instskip(NEXT) | instid1(VALU_DEP_4)
	v_cndmask_b32_e64 v96, 0, v86, s9
	v_add_f32_e32 v82, v82, v91
	v_exp_f32_e32 v85, v85
	v_fma_f32 v86, s18, v126, -v81
	v_mul_f32_e32 v84, 0x3fb8aa3b, v84
	v_cndmask_b32_e64 v97, 0, v97, s12
	v_add_f32_e32 v82, v82, v94
	s_delay_alu instid0(VALU_DEP_3) | instskip(SKIP_3) | instid1(VALU_DEP_2)
	v_exp_f32_e32 v84, v84
	s_waitcnt_depctr 0xfff
	v_cndmask_b32_e64 v93, 0, v85, s8
	v_fma_f32 v85, s18, v125, -v81
	v_add_f32_e32 v82, v82, v93
	v_exp_f32_e32 v95, v95
	s_delay_alu instid0(VALU_DEP_2)
	v_mul_f32_e32 v85, 0x3fb8aa3b, v85
	v_cndmask_b32_e64 v98, 0, v84, s11
	v_mul_f32_e32 v84, 0x3fb8aa3b, v99
	v_add_f32_e32 v82, v82, v96
	v_fma_f32 v99, s18, v128, -v81
	v_exp_f32_e32 v85, v85
	v_mul_f32_e32 v86, 0x3fb8aa3b, v86
	v_exp_f32_e32 v84, v84
	s_delay_alu instid0(TRANS32_DEP_3) | instskip(NEXT) | instid1(VALU_DEP_1)
	v_cndmask_b32_e64 v95, 0, v95, s10
	v_add_f32_e32 v82, v82, v95
	s_waitcnt_depctr 0xfff
	v_cndmask_b32_e64 v100, 0, v85, s13
	v_mul_f32_e32 v85, 0x3fb8aa3b, v99
	v_exp_f32_e32 v86, v86
	v_cndmask_b32_e64 v102, 0, v84, s16
	v_add_f32_e32 v82, v82, v98
	s_delay_alu instid0(VALU_DEP_3) | instskip(NEXT) | instid1(VALU_DEP_1)
	v_exp_f32_e32 v85, v85
	v_add_f32_e32 v82, v82, v97
	s_waitcnt_depctr 0xfff
	v_cndmask_b32_e64 v99, 0, v86, s15
	v_add_f32_e32 v82, v82, v100
	v_cndmask_b32_e64 v101, 0, v85, s17
	s_delay_alu instid0(VALU_DEP_2) | instskip(NEXT) | instid1(VALU_DEP_1)
	v_add_f32_e32 v82, v82, v99
	v_add_f32_e32 v82, v82, v102
	s_delay_alu instid0(VALU_DEP_1)
	v_add_f32_e32 v82, v82, v101
	ds_bpermute_b32 v83, v83, v82
	v_cmpx_gt_u32_e32 16, v80
	s_cbranch_execz .LBB379_14
; %bb.13:
	v_mul_u32_u24_e32 v80, 0x44, v78
	s_waitcnt lgkmcnt(0)
	v_add_f32_e32 v82, v82, v83
	s_delay_alu instid0(VALU_DEP_2) | instskip(NEXT) | instid1(VALU_DEP_1)
	v_lshl_add_u32 v80, v77, 2, v80
	v_add_nc_u32_e32 v80, 0x4000, v80
	ds_store_2addr_b32 v80, v81, v82 offset1:136
.LBB379_14:
	s_or_b32 exec_lo, exec_lo, s2
	v_lshlrev_b32_e32 v80, 2, v77
	s_load_b32 s34, s[0:1], 0x94
	s_waitcnt lgkmcnt(0)
	s_barrier
	buffer_gl0_inv
	v_add_nc_u32_e32 v84, 0x4000, v80
	v_cmp_eq_u32_e32 vcc_lo, 1, v78
	v_cmp_eq_u32_e64 s2, 2, v78
	v_cmp_eq_u32_e64 s3, 3, v78
	;; [unrolled: 1-line block ×3, first 2 shown]
	ds_load_2addr_b32 v[80:81], v84 offset1:17
	ds_load_2addr_b32 v[82:83], v84 offset0:34 offset1:51
	ds_load_2addr_b32 v[103:104], v84 offset0:68 offset1:85
	;; [unrolled: 1-line block ×3, first 2 shown]
	v_cmp_eq_u32_e64 s5, 7, v78
	s_waitcnt lgkmcnt(3)
	v_max3_f32 v85, v80, 0xff7fffff, v81
	s_waitcnt lgkmcnt(2)
	s_delay_alu instid0(VALU_DEP_1) | instskip(SKIP_1) | instid1(VALU_DEP_1)
	v_max3_f32 v85, v85, v82, v83
	s_waitcnt lgkmcnt(1)
	v_max3_f32 v85, v85, v103, v104
	s_waitcnt lgkmcnt(0)
	s_delay_alu instid0(VALU_DEP_1) | instskip(NEXT) | instid1(VALU_DEP_1)
	v_max3_f32 v85, v85, v105, v106
	v_sub_f32_e32 v103, v103, v85
	ds_load_2addr_b32 v[107:108], v84 offset0:136 offset1:153
	v_sub_f32_e32 v80, v80, v85
	v_dual_sub_f32 v110, v83, v85 :: v_dual_mul_f32 v113, 0x3fb8aa3b, v103
	s_delay_alu instid0(VALU_DEP_2) | instskip(SKIP_3) | instid1(VALU_DEP_1)
	v_dual_sub_f32 v86, v81, v85 :: v_dual_mul_f32 v109, 0x3fb8aa3b, v80
	ds_load_2addr_b32 v[80:81], v84 offset0:170 offset1:187
	v_mul_f32_e32 v86, 0x3fb8aa3b, v86
	v_exp_f32_e32 v109, v109
	v_exp_f32_e32 v112, v86
	v_mul_f32_e32 v110, 0x3fb8aa3b, v110
	s_waitcnt lgkmcnt(1)
	s_waitcnt_depctr 0xfff
	v_fma_f32 v86, v109, v107, 0
	v_sub_f32_e32 v107, v104, v85
	v_sub_f32_e32 v82, v82, v85
	v_exp_f32_e32 v110, v110
	ds_load_2addr_b32 v[103:104], v84 offset0:238 offset1:255
	v_dual_fmac_f32 v86, v112, v108 :: v_dual_mul_f32 v111, 0x3fb8aa3b, v82
	ds_load_2addr_b32 v[82:83], v84 offset0:204 offset1:221
	v_dual_sub_f32 v84, v105, v85 :: v_dual_mul_f32 v105, 0x3fb8aa3b, v107
	v_exp_f32_e32 v107, v113
	v_exp_f32_e32 v111, v111
	s_waitcnt lgkmcnt(0)
	s_delay_alu instid0(VALU_DEP_1)
	v_mul_f32_e32 v84, 0x3fb8aa3b, v84
	v_exp_f32_e32 v105, v105
	s_barrier
	buffer_gl0_inv
	v_fmac_f32_e32 v86, v111, v80
	v_sub_f32_e32 v80, v106, v85
	v_exp_f32_e32 v106, v84
	s_delay_alu instid0(VALU_DEP_2) | instskip(NEXT) | instid1(VALU_DEP_2)
	v_fmac_f32_e32 v86, v110, v81
	v_mul_f32_e32 v80, 0x3fb8aa3b, v80
	s_delay_alu instid0(VALU_DEP_2) | instskip(NEXT) | instid1(VALU_DEP_2)
	v_dual_cndmask_b32 v81, v109, v112 :: v_dual_fmac_f32 v86, v107, v82
	v_exp_f32_e32 v108, v80
	s_delay_alu instid0(VALU_DEP_1) | instskip(SKIP_2) | instid1(VALU_DEP_1)
	v_fmac_f32_e32 v86, v105, v83
	s_waitcnt_depctr 0xfff
	v_fmac_f32_e32 v86, v106, v103
	v_fmac_f32_e32 v86, v108, v104
	s_delay_alu instid0(VALU_DEP_1) | instskip(NEXT) | instid1(VALU_DEP_1)
	v_add_f32_e32 v103, 0x358637bd, v86
	v_div_scale_f32 v104, null, v103, v103, 1.0
	v_div_scale_f32 v109, vcc_lo, 1.0, v103, 1.0
	s_delay_alu instid0(VALU_DEP_2) | instskip(SKIP_2) | instid1(VALU_DEP_1)
	v_rcp_f32_e32 v113, v104
	s_waitcnt_depctr 0xfff
	v_fma_f32 v80, -v104, v113, 1.0
	v_fmac_f32_e32 v113, v80, v113
	v_cndmask_b32_e64 v80, v81, v111, s2
	v_cmp_eq_u32_e64 s2, 4, v78
	v_lshl_or_b32 v81, v78, 11, v79
	s_delay_alu instid0(VALU_DEP_4) | instskip(NEXT) | instid1(VALU_DEP_4)
	v_mul_f32_e32 v111, v109, v113
	v_cndmask_b32_e64 v82, v80, v110, s3
	v_cmp_eq_u32_e64 s3, 6, v78
	s_delay_alu instid0(VALU_DEP_4) | instskip(SKIP_3) | instid1(VALU_DEP_3)
	v_lshl_or_b32 v78, v75, 4, v81
	v_lshlrev_b32_e32 v80, 2, v75
	v_fma_f32 v83, -v104, v111, v109
	v_cndmask_b32_e64 v84, v82, v107, s2
	v_or_b32_e32 v82, 1, v80
	s_delay_alu instid0(VALU_DEP_3) | instskip(NEXT) | instid1(VALU_DEP_3)
	v_fmac_f32_e32 v111, v83, v113
	v_cndmask_b32_e64 v105, v84, v105, s4
	v_or_b32_e32 v84, 2, v80
	v_or_b32_e32 v83, 3, v80
	v_cmp_eq_u32_e64 s2, 1, v80
	v_fma_f32 v104, -v104, v111, v109
	v_cndmask_b32_e64 v105, v105, v106, s3
	v_cmp_eq_u32_e64 s8, 1, v82
	v_cmp_eq_u32_e64 s9, 1, v84
	;; [unrolled: 1-line block ×3, first 2 shown]
	v_div_fmas_f32 v104, v104, v113, v111
	v_cndmask_b32_e64 v105, v105, v108, s5
	v_cmp_eq_u32_e32 vcc_lo, 2, v80
	v_cmp_eq_u32_e64 s11, 2, v82
	v_cmp_eq_u32_e64 s13, 2, v84
	v_div_fixup_f32 v103, v104, v103, 1.0
	v_cmp_eq_u32_e64 s15, 2, v83
	v_cmp_eq_u32_e64 s17, 3, v83
	;; [unrolled: 1-line block ×4, first 2 shown]
	v_mul_f32_e32 v111, v105, v103
	v_cmp_eq_u32_e64 s16, 3, v84
	v_cmp_eq_u32_e64 s21, 4, v83
	;; [unrolled: 1-line block ×4, first 2 shown]
	v_fma_mixlo_f16 v103, v111, v88, 0
	v_fma_mixlo_f16 v104, v111, v90, 0
	;; [unrolled: 1-line block ×8, first 2 shown]
	v_fma_mixhi_f16 v103, v111, v87, 0
	v_fma_mixhi_f16 v104, v111, v89, 0
	;; [unrolled: 1-line block ×8, first 2 shown]
	ds_store_b128 v78, v[103:106]
	ds_store_b128 v78, v[107:110] offset:1024
	s_waitcnt lgkmcnt(0)
	s_barrier
	buffer_gl0_inv
	ds_load_b128 v[87:90], v81
	ds_load_b128 v[91:94], v81 offset:16
	ds_load_b128 v[95:98], v81 offset:1024
	;; [unrolled: 1-line block ×3, first 2 shown]
	v_cmp_eq_u32_e64 s20, 4, v84
	v_cmp_eq_u32_e64 s23, 5, v83
	;; [unrolled: 1-line block ×13, first 2 shown]
	s_waitcnt lgkmcnt(3)
	v_lshrrev_b32_e32 v103, 16, v87
	s_waitcnt lgkmcnt(2)
	v_lshrrev_b32_e32 v107, 16, v91
	;; [unrolled: 2-line block ×4, first 2 shown]
	v_lshrrev_b32_e32 v104, 16, v88
	v_cndmask_b32_e64 v119, v87, v103, s2
	v_cndmask_b32_e64 v120, v91, v107, s2
	v_cndmask_b32_e64 v121, v87, v103, s8
	v_cndmask_b32_e64 v122, v91, v107, s8
	v_cndmask_b32_e64 v123, v87, v103, s9
	v_cndmask_b32_e64 v124, v91, v107, s9
	v_cndmask_b32_e64 v87, v87, v103, s10
	v_cndmask_b32_e64 v91, v91, v107, s10
	v_lshrrev_b32_e32 v108, 16, v92
	v_cndmask_b32_e64 v103, v95, v111, s2
	v_cndmask_b32_e64 v107, v99, v115, s2
	;; [unrolled: 1-line block ×5, first 2 shown]
	v_cndmask_b32_e32 v111, v119, v88, vcc_lo
	v_cndmask_b32_e64 v119, v121, v88, s11
	v_cndmask_b32_e64 v121, v123, v88, s13
	;; [unrolled: 1-line block ×4, first 2 shown]
	v_lshrrev_b32_e32 v112, 16, v96
	v_lshrrev_b32_e32 v116, 16, v100
	v_cndmask_b32_e64 v126, v99, v115, s8
	v_cndmask_b32_e64 v128, v99, v115, s9
	;; [unrolled: 1-line block ×3, first 2 shown]
	v_cndmask_b32_e32 v115, v120, v92, vcc_lo
	v_cndmask_b32_e64 v120, v122, v92, s11
	v_cndmask_b32_e64 v122, v124, v92, s13
	v_cndmask_b32_e32 v91, v103, v96, vcc_lo
	v_cndmask_b32_e32 v92, v107, v100, vcc_lo
	v_cndmask_b32_e64 v103, v125, v96, s11
	v_cndmask_b32_e64 v87, v87, v104, s17
	;; [unrolled: 1-line block ×3, first 2 shown]
	v_lshrrev_b32_e32 v105, 16, v89
	v_lshrrev_b32_e32 v109, 16, v93
	v_cndmask_b32_e64 v107, v127, v96, s13
	v_cndmask_b32_e64 v95, v95, v96, s15
	;; [unrolled: 1-line block ×14, first 2 shown]
	v_lshrrev_b32_e32 v113, 16, v97
	v_cndmask_b32_e64 v99, v99, v89, s4
	v_cndmask_b32_e64 v104, v111, v93, s4
	;; [unrolled: 1-line block ×11, first 2 shown]
	v_lshrrev_b32_e32 v106, 16, v90
	v_lshrrev_b32_e32 v110, 16, v94
	v_cndmask_b32_e64 v93, v99, v105, s5
	v_cndmask_b32_e64 v99, v104, v109, s5
	;; [unrolled: 1-line block ×9, first 2 shown]
	v_lshrrev_b32_e32 v114, 16, v98
	v_cndmask_b32_e64 v89, v89, v113, s5
	v_cndmask_b32_e64 v93, v93, v90, s6
	;; [unrolled: 1-line block ×19, first 2 shown]
	v_perm_b32 v90, v88, v87, 0x5040100
	v_cndmask_b32_e64 v87, v126, v100, s11
	v_cndmask_b32_e64 v105, v89, v114, s7
	v_perm_b32 v89, v103, v99, 0x5040100
	v_perm_b32 v88, v104, v94, 0x5040100
	v_cndmask_b32_e64 v94, v107, v112, s16
	v_cndmask_b32_e64 v95, v95, v112, s17
	;; [unrolled: 1-line block ×5, first 2 shown]
	v_lshrrev_b32_e32 v117, 16, v101
	v_cndmask_b32_e64 v94, v94, v97, s20
	v_cndmask_b32_e64 v95, v95, v97, s21
	;; [unrolled: 1-line block ×11, first 2 shown]
	v_lshrrev_b32_e32 v118, 16, v102
	v_cndmask_b32_e64 v91, v91, v102, s6
	v_cndmask_b32_e64 v94, v94, v98, s25
	;; [unrolled: 1-line block ×12, first 2 shown]
	v_perm_b32 v87, v93, v92, 0x5040100
	v_perm_b32 v94, v95, v94, 0x5040100
	;; [unrolled: 1-line block ×5, first 2 shown]
	s_mul_i32 s6, s33, 14
	s_mov_b32 s2, exec_lo
	ds_store_b128 v78, v[87:90]
	ds_store_b128 v78, v[91:94] offset:1024
	v_cmpx_gt_u32_e32 14, v0
	s_cbranch_execz .LBB379_16
; %bb.15:
	s_mul_i32 s3, s6, s30
	s_load_b128 s[8:11], s[0:1], 0x58
	v_add3_u32 v77, s3, s31, v77
	s_delay_alu instid0(VALU_DEP_1) | instskip(NEXT) | instid1(VALU_DEP_1)
	v_mad_u64_u32 v[87:88], null, v77, s34, s[14:15]
	v_ashrrev_i32_e32 v88, 31, v87
	s_delay_alu instid0(VALU_DEP_1) | instskip(SKIP_1) | instid1(VALU_DEP_1)
	v_lshlrev_b64 v[87:88], 2, v[87:88]
	s_waitcnt lgkmcnt(0)
	v_add_co_u32 v89, vcc_lo, s10, v87
	s_delay_alu instid0(VALU_DEP_2)
	v_add_co_ci_u32_e32 v90, vcc_lo, s11, v88, vcc_lo
	v_add_co_u32 v87, vcc_lo, s8, v87
	v_add_co_ci_u32_e32 v88, vcc_lo, s9, v88, vcc_lo
	global_store_b32 v[89:90], v85, off
	global_store_b32 v[87:88], v86, off
.LBB379_16:
	s_or_b32 exec_lo, exec_lo, s2
	s_waitcnt lgkmcnt(0)
	s_waitcnt_vscnt null, 0x0
	s_barrier
	buffer_gl0_inv
	ds_load_b128 v[93:96], v79
	ds_load_b128 v[97:100], v79 offset:16
	ds_load_b128 v[105:108], v79 offset:1040
	;; [unrolled: 1-line block ×5, first 2 shown]
	v_cmp_eq_u32_e32 vcc_lo, 1, v84
	v_mov_b32_e32 v85, 0
	ds_load_b128 v[121:124], v79 offset:3088
	ds_load_b128 v[117:120], v79 offset:3072
	;; [unrolled: 1-line block ×4, first 2 shown]
	v_cmp_eq_u32_e64 s2, 1, v80
	v_cmp_eq_u32_e64 s3, 1, v83
	v_cmp_eq_u32_e64 s4, 1, v82
	v_mov_b32_e32 v86, v85
	v_mov_b32_e32 v87, v85
	;; [unrolled: 1-line block ×7, first 2 shown]
	v_cmp_eq_u32_e64 s5, 2, v80
	s_waitcnt lgkmcnt(8)
	s_delay_alu instid0(VALU_DEP_2)
	v_wmma_f32_16x16x16_f16 v[85:92], v[65:72], v[93:100], v[85:92]
	ds_load_b128 v[69:72], v79 offset:5136
	ds_load_b128 v[65:68], v79 offset:5120
	;; [unrolled: 1-line block ×4, first 2 shown]
	s_waitcnt lgkmcnt(10)
	v_wmma_f32_16x16x16_f16 v[85:92], v[57:64], v[101:108], v[85:92]
	s_waitcnt lgkmcnt(8)
	s_delay_alu instid0(VALU_DEP_1)
	v_wmma_f32_16x16x16_f16 v[85:92], v[57:64], v[109:116], v[85:92]
	ds_load_b128 v[61:64], v79 offset:7184
	ds_load_b128 v[57:60], v79 offset:7168
	;; [unrolled: 1-line block ×4, first 2 shown]
	s_waitcnt lgkmcnt(10)
	v_wmma_f32_16x16x16_f16 v[85:92], v[49:56], v[117:124], v[85:92]
	s_waitcnt lgkmcnt(8)
	s_delay_alu instid0(VALU_DEP_1)
	v_wmma_f32_16x16x16_f16 v[85:92], v[49:56], v[125:132], v[85:92]
	ds_load_b128 v[53:56], v79 offset:9232
	ds_load_b128 v[49:52], v79 offset:9216
	s_waitcnt lgkmcnt(8)
	v_wmma_f32_16x16x16_f16 v[85:92], v[41:48], v[65:72], v[85:92]
	ds_load_b128 v[69:72], v79 offset:10256
	ds_load_b128 v[65:68], v79 offset:10240
	s_waitcnt lgkmcnt(8)
	;; [unrolled: 4-line block ×7, first 2 shown]
	s_barrier
	buffer_gl0_inv
	v_wmma_f32_16x16x16_f16 v[85:92], v[33:40], v[41:48], v[85:92]
	s_delay_alu instid0(VALU_DEP_1) | instskip(NEXT) | instid1(VALU_DEP_1)
	v_wmma_f32_16x16x16_f16 v[85:92], v[33:40], v[57:64], v[85:92]
	v_wmma_f32_16x16x16_f16 v[85:92], v[25:32], v[9:16], v[85:92]
	s_delay_alu instid0(VALU_DEP_1) | instskip(NEXT) | instid1(VALU_DEP_1)
	v_wmma_f32_16x16x16_f16 v[85:92], v[25:32], v[49:56], v[85:92]
	v_wmma_f32_16x16x16_f16 v[85:92], v[17:24], v[1:8], v[85:92]
	s_delay_alu instid0(VALU_DEP_1) | instskip(NEXT) | instid1(VALU_DEP_2)
	v_cvt_f16_f32_e32 v1, v85
	v_cvt_f16_f32_e32 v2, v86
	s_delay_alu instid0(VALU_DEP_3) | instskip(NEXT) | instid1(VALU_DEP_4)
	v_cvt_f16_f32_e32 v3, v87
	v_cvt_f16_f32_e32 v4, v88
	v_cvt_f16_f32_e32 v5, v89
	v_cvt_f16_f32_e32 v6, v90
	v_cvt_f16_f32_e32 v7, v91
	v_cvt_f16_f32_e32 v8, v92
	v_pack_b32_f16 v1, v1, v2
	v_pack_b32_f16 v2, v3, v4
	;; [unrolled: 1-line block ×3, first 2 shown]
	s_delay_alu instid0(VALU_DEP_4)
	v_pack_b32_f16 v4, v7, v8
	ds_store_b128 v78, v[1:4]
	s_waitcnt lgkmcnt(0)
	s_barrier
	buffer_gl0_inv
	ds_load_b128 v[1:4], v81
	ds_load_b128 v[5:8], v81 offset:16
	s_waitcnt lgkmcnt(1)
	v_lshrrev_b32_e32 v9, 16, v1
	s_waitcnt lgkmcnt(0)
	v_lshrrev_b32_e32 v13, 16, v5
	v_lshrrev_b32_e32 v15, 16, v7
	;; [unrolled: 1-line block ×4, first 2 shown]
	v_cndmask_b32_e64 v17, v1, v9, s2
	v_cndmask_b32_e64 v18, v5, v13, s2
	;; [unrolled: 1-line block ×3, first 2 shown]
	v_cmp_eq_u32_e64 s2, 2, v82
	v_cndmask_b32_e64 v20, v5, v13, s4
	v_cndmask_b32_e32 v21, v1, v9, vcc_lo
	v_cndmask_b32_e32 v22, v5, v13, vcc_lo
	v_cndmask_b32_e64 v1, v1, v9, s3
	v_cndmask_b32_e64 v5, v5, v13, s3
	v_cmp_eq_u32_e32 vcc_lo, 2, v84
	v_cmp_eq_u32_e64 s3, 2, v83
	v_cndmask_b32_e64 v9, v17, v2, s5
	v_cndmask_b32_e64 v13, v18, v6, s5
	v_cndmask_b32_e64 v17, v19, v2, s2
	v_cndmask_b32_e64 v18, v20, v6, s2
	v_cndmask_b32_e32 v19, v21, v2, vcc_lo
	v_cmp_eq_u32_e64 s2, 3, v84
	v_cndmask_b32_e32 v20, v22, v6, vcc_lo
	v_cndmask_b32_e64 v1, v1, v2, s3
	v_cmp_eq_u32_e32 vcc_lo, 3, v83
	v_cmp_eq_u32_e64 s4, 3, v80
	v_cndmask_b32_e64 v2, v5, v6, s3
	v_cmp_eq_u32_e64 s3, 3, v82
	v_lshrrev_b32_e32 v16, 16, v8
	v_cmp_eq_u32_e64 s5, 4, v80
	v_cndmask_b32_e64 v5, v9, v10, s4
	v_cndmask_b32_e64 v6, v13, v14, s4
	;; [unrolled: 1-line block ×3, first 2 shown]
	v_cmp_eq_u32_e64 s4, 4, v82
	v_cndmask_b32_e64 v13, v18, v14, s3
	v_cndmask_b32_e64 v17, v19, v10, s2
	;; [unrolled: 1-line block ×3, first 2 shown]
	v_cndmask_b32_e32 v1, v1, v10, vcc_lo
	v_cndmask_b32_e32 v2, v2, v14, vcc_lo
	v_cmp_eq_u32_e32 vcc_lo, 4, v84
	v_cmp_eq_u32_e64 s3, 4, v83
	v_lshrrev_b32_e32 v11, 16, v3
	v_cndmask_b32_e64 v5, v5, v3, s5
	v_cndmask_b32_e64 v6, v6, v7, s5
	;; [unrolled: 1-line block ×4, first 2 shown]
	v_cndmask_b32_e32 v13, v17, v3, vcc_lo
	v_cmp_eq_u32_e64 s2, 5, v84
	v_cndmask_b32_e32 v14, v18, v7, vcc_lo
	v_cndmask_b32_e64 v1, v1, v3, s3
	v_cmp_eq_u32_e32 vcc_lo, 5, v83
	v_cmp_eq_u32_e64 s4, 5, v80
	v_cndmask_b32_e64 v2, v2, v7, s3
	v_cmp_eq_u32_e64 s3, 5, v82
	v_cmp_eq_u32_e64 s5, 6, v80
	v_cndmask_b32_e32 v1, v1, v11, vcc_lo
	v_cndmask_b32_e64 v3, v5, v11, s4
	v_cndmask_b32_e64 v5, v6, v15, s4
	;; [unrolled: 1-line block ×3, first 2 shown]
	v_cmp_eq_u32_e64 s4, 6, v82
	v_cndmask_b32_e64 v7, v10, v15, s3
	v_cndmask_b32_e64 v9, v13, v11, s2
	;; [unrolled: 1-line block ×3, first 2 shown]
	v_cndmask_b32_e32 v2, v2, v15, vcc_lo
	v_cmp_eq_u32_e32 vcc_lo, 6, v84
	v_cmp_eq_u32_e64 s2, 6, v83
	v_lshrrev_b32_e32 v12, 16, v4
	v_cndmask_b32_e64 v3, v3, v4, s5
	v_cndmask_b32_e64 v5, v5, v8, s5
	;; [unrolled: 1-line block ×4, first 2 shown]
	v_cndmask_b32_e32 v9, v9, v4, vcc_lo
	v_cmp_eq_u32_e64 s3, 7, v84
	v_cndmask_b32_e32 v10, v10, v8, vcc_lo
	v_cndmask_b32_e64 v1, v1, v4, s2
	v_cmp_eq_u32_e32 vcc_lo, 7, v83
	v_cndmask_b32_e64 v2, v2, v8, s2
	v_cmp_eq_u32_e64 s2, 7, v80
	v_cmp_eq_u32_e64 s4, 7, v82
	v_cndmask_b32_e32 v1, v1, v12, vcc_lo
	s_delay_alu instid0(VALU_DEP_4) | instskip(NEXT) | instid1(VALU_DEP_4)
	v_cndmask_b32_e32 v2, v2, v16, vcc_lo
	v_cndmask_b32_e64 v8, v3, v12, s2
	s_delay_alu instid0(VALU_DEP_4)
	v_cndmask_b32_e64 v6, v6, v12, s4
	v_cndmask_b32_e64 v3, v9, v12, s3
	;; [unrolled: 1-line block ×5, first 2 shown]
	v_perm_b32 v4, v2, v1, 0x5040100
	s_mov_b32 s2, exec_lo
	v_perm_b32 v3, v9, v3, 0x5040100
	v_perm_b32 v2, v7, v6, 0x5040100
	v_perm_b32 v1, v5, v8, 0x5040100
	ds_store_b128 v78, v[1:4]
	s_waitcnt lgkmcnt(0)
	s_barrier
	buffer_gl0_inv
	v_cmpx_gt_u32_e32 32, v0
	s_cbranch_execz .LBB379_2
; %bb.17:
	s_load_b64 s[0:1], s[0:1], 0x68
	v_lshlrev_b32_e32 v0, 10, v0
	s_lshl_b32 s4, s34, 7
	v_or_b32_e32 v3, s31, v75
	s_mul_i32 s2, s4, s30
	v_lshlrev_b32_e32 v1, 4, v76
	v_lshlrev_b32_e32 v2, 6, v75
	v_and_b32_e32 v0, 0x3800, v0
	s_mul_i32 s2, s2, s6
	v_mul_lo_u32 v8, v3, s4
	s_ashr_i32 s3, s2, 31
	s_delay_alu instid0(SALU_CYCLE_1)
	s_lshl_b64 s[2:3], s[2:3], 1
	v_or3_b32 v16, v0, v1, v2
	ds_load_b128 v[0:3], v16
	ds_load_b128 v[4:7], v16 offset:128
	v_ashrrev_i32_e32 v9, 31, v8
	s_waitcnt lgkmcnt(0)
	s_add_u32 s2, s0, s2
	s_addc_u32 s3, s1, s3
	s_lshl_b32 s0, s14, 7
	s_delay_alu instid0(SALU_CYCLE_1) | instskip(SKIP_2) | instid1(SALU_CYCLE_1)
	s_ashr_i32 s1, s0, 31
	v_lshlrev_b64 v[9:10], 1, v[8:9]
	s_lshl_b64 s[0:1], s[0:1], 1
	s_add_u32 s0, s2, s0
	s_addc_u32 s1, s3, s1
	s_lshl_b32 s2, s34, 8
	v_add_co_u32 v30, vcc_lo, s0, v73
	v_add_nc_u32_e32 v11, s2, v8
	v_add_co_ci_u32_e32 v31, vcc_lo, s1, v74, vcc_lo
	s_delay_alu instid0(VALU_DEP_3) | instskip(NEXT) | instid1(VALU_DEP_3)
	v_add_co_u32 v9, vcc_lo, v30, v9
	v_add_nc_u32_e32 v8, s2, v11
	s_delay_alu instid0(VALU_DEP_3) | instskip(SKIP_1) | instid1(VALU_DEP_3)
	v_add_co_ci_u32_e32 v10, vcc_lo, v31, v10, vcc_lo
	v_ashrrev_i32_e32 v12, 31, v11
	v_add_nc_u32_e32 v13, s2, v8
	global_store_b128 v[9:10], v[0:3], off
	v_ashrrev_i32_e32 v9, 31, v8
	v_lshlrev_b64 v[11:12], 1, v[11:12]
	v_ashrrev_i32_e32 v14, 31, v13
	v_add_nc_u32_e32 v10, s2, v13
	s_delay_alu instid0(VALU_DEP_4) | instskip(NEXT) | instid1(VALU_DEP_4)
	v_lshlrev_b64 v[2:3], 1, v[8:9]
	v_add_co_u32 v0, vcc_lo, v30, v11
	s_delay_alu instid0(VALU_DEP_4)
	v_lshlrev_b64 v[8:9], 1, v[13:14]
	v_add_co_ci_u32_e32 v1, vcc_lo, v31, v12, vcc_lo
	v_ashrrev_i32_e32 v11, 31, v10
	v_add_co_u32 v22, vcc_lo, v30, v2
	v_add_nc_u32_e32 v20, s2, v10
	v_add_co_ci_u32_e32 v23, vcc_lo, v31, v3, vcc_lo
	v_add_co_u32 v24, vcc_lo, v30, v8
	global_store_b128 v[0:1], v[4:7], off
	v_add_co_ci_u32_e32 v25, vcc_lo, v31, v9, vcc_lo
	ds_load_b128 v[0:3], v16 offset:256
	ds_load_b128 v[4:7], v16 offset:384
	v_lshlrev_b64 v[26:27], 1, v[10:11]
	ds_load_b128 v[8:11], v16 offset:512
	ds_load_b128 v[12:15], v16 offset:640
	;; [unrolled: 1-line block ×3, first 2 shown]
	v_add_nc_u32_e32 v28, s2, v20
	v_ashrrev_i32_e32 v21, 31, v20
	v_add_co_u32 v26, vcc_lo, v30, v26
	s_delay_alu instid0(VALU_DEP_3) | instskip(NEXT) | instid1(VALU_DEP_3)
	v_ashrrev_i32_e32 v29, 31, v28
	v_lshlrev_b64 v[20:21], 1, v[20:21]
	v_add_co_ci_u32_e32 v27, vcc_lo, v31, v27, vcc_lo
	s_delay_alu instid0(VALU_DEP_3) | instskip(NEXT) | instid1(VALU_DEP_3)
	v_lshlrev_b64 v[28:29], 1, v[28:29]
	v_add_co_u32 v20, vcc_lo, v30, v20
	s_delay_alu instid0(VALU_DEP_4) | instskip(NEXT) | instid1(VALU_DEP_3)
	v_add_co_ci_u32_e32 v21, vcc_lo, v31, v21, vcc_lo
	v_add_co_u32 v28, vcc_lo, v30, v28
	s_delay_alu instid0(VALU_DEP_4)
	v_add_co_ci_u32_e32 v29, vcc_lo, v31, v29, vcc_lo
	s_waitcnt lgkmcnt(4)
	global_store_b128 v[22:23], v[0:3], off
	s_waitcnt lgkmcnt(3)
	global_store_b128 v[24:25], v[4:7], off
	;; [unrolled: 2-line block ×5, first 2 shown]
	s_nop 0
	s_sendmsg sendmsg(MSG_DEALLOC_VGPRS)
	s_endpgm
	.section	.rodata,"a",@progbits
	.p2align	6, 0x0
	.amdhsa_kernel _Z39paged_attention_ll4mi_QKV_mfma16_kernelIDF16_DF16_LN4vllm18Fp8KVCacheDataTypeE0EDF16_Li32ELi128ELi256ELb0ELi14EL8MFMAType0EEvPKT_PKT0_S8_ifPKiSA_SA_iPKfiiiPfSD_PS3_PT2_iSC_SC_
		.amdhsa_group_segment_fixed_size 17472
		.amdhsa_private_segment_fixed_size 0
		.amdhsa_kernarg_size 400
		.amdhsa_user_sgpr_count 13
		.amdhsa_user_sgpr_dispatch_ptr 0
		.amdhsa_user_sgpr_queue_ptr 0
		.amdhsa_user_sgpr_kernarg_segment_ptr 1
		.amdhsa_user_sgpr_dispatch_id 0
		.amdhsa_user_sgpr_private_segment_size 0
		.amdhsa_wavefront_size32 1
		.amdhsa_uses_dynamic_stack 0
		.amdhsa_enable_private_segment 0
		.amdhsa_system_sgpr_workgroup_id_x 1
		.amdhsa_system_sgpr_workgroup_id_y 1
		.amdhsa_system_sgpr_workgroup_id_z 1
		.amdhsa_system_sgpr_workgroup_info 0
		.amdhsa_system_vgpr_workitem_id 0
		.amdhsa_next_free_vgpr 172
		.amdhsa_next_free_sgpr 38
		.amdhsa_reserve_vcc 1
		.amdhsa_float_round_mode_32 0
		.amdhsa_float_round_mode_16_64 0
		.amdhsa_float_denorm_mode_32 3
		.amdhsa_float_denorm_mode_16_64 3
		.amdhsa_dx10_clamp 1
		.amdhsa_ieee_mode 1
		.amdhsa_fp16_overflow 0
		.amdhsa_workgroup_processor_mode 1
		.amdhsa_memory_ordered 1
		.amdhsa_forward_progress 0
		.amdhsa_shared_vgpr_count 0
		.amdhsa_exception_fp_ieee_invalid_op 0
		.amdhsa_exception_fp_denorm_src 0
		.amdhsa_exception_fp_ieee_div_zero 0
		.amdhsa_exception_fp_ieee_overflow 0
		.amdhsa_exception_fp_ieee_underflow 0
		.amdhsa_exception_fp_ieee_inexact 0
		.amdhsa_exception_int_div_zero 0
	.end_amdhsa_kernel
	.section	.text._Z39paged_attention_ll4mi_QKV_mfma16_kernelIDF16_DF16_LN4vllm18Fp8KVCacheDataTypeE0EDF16_Li32ELi128ELi256ELb0ELi14EL8MFMAType0EEvPKT_PKT0_S8_ifPKiSA_SA_iPKfiiiPfSD_PS3_PT2_iSC_SC_,"axG",@progbits,_Z39paged_attention_ll4mi_QKV_mfma16_kernelIDF16_DF16_LN4vllm18Fp8KVCacheDataTypeE0EDF16_Li32ELi128ELi256ELb0ELi14EL8MFMAType0EEvPKT_PKT0_S8_ifPKiSA_SA_iPKfiiiPfSD_PS3_PT2_iSC_SC_,comdat
.Lfunc_end379:
	.size	_Z39paged_attention_ll4mi_QKV_mfma16_kernelIDF16_DF16_LN4vllm18Fp8KVCacheDataTypeE0EDF16_Li32ELi128ELi256ELb0ELi14EL8MFMAType0EEvPKT_PKT0_S8_ifPKiSA_SA_iPKfiiiPfSD_PS3_PT2_iSC_SC_, .Lfunc_end379-_Z39paged_attention_ll4mi_QKV_mfma16_kernelIDF16_DF16_LN4vllm18Fp8KVCacheDataTypeE0EDF16_Li32ELi128ELi256ELb0ELi14EL8MFMAType0EEvPKT_PKT0_S8_ifPKiSA_SA_iPKfiiiPfSD_PS3_PT2_iSC_SC_
                                        ; -- End function
	.section	.AMDGPU.csdata,"",@progbits
; Kernel info:
; codeLenInByte = 7660
; NumSgprs: 40
; NumVgprs: 172
; ScratchSize: 0
; MemoryBound: 0
; FloatMode: 240
; IeeeMode: 1
; LDSByteSize: 17472 bytes/workgroup (compile time only)
; SGPRBlocks: 4
; VGPRBlocks: 21
; NumSGPRsForWavesPerEU: 40
; NumVGPRsForWavesPerEU: 172
; Occupancy: 8
; WaveLimiterHint : 1
; COMPUTE_PGM_RSRC2:SCRATCH_EN: 0
; COMPUTE_PGM_RSRC2:USER_SGPR: 13
; COMPUTE_PGM_RSRC2:TRAP_HANDLER: 0
; COMPUTE_PGM_RSRC2:TGID_X_EN: 1
; COMPUTE_PGM_RSRC2:TGID_Y_EN: 1
; COMPUTE_PGM_RSRC2:TGID_Z_EN: 1
; COMPUTE_PGM_RSRC2:TIDIG_COMP_CNT: 0
	.section	.text._Z39paged_attention_ll4mi_QKV_mfma16_kernelIDF16_DF16_LN4vllm18Fp8KVCacheDataTypeE0EDF16_Li32ELi128ELi256ELb0ELi15EL8MFMAType0EEvPKT_PKT0_S8_ifPKiSA_SA_iPKfiiiPfSD_PS3_PT2_iSC_SC_,"axG",@progbits,_Z39paged_attention_ll4mi_QKV_mfma16_kernelIDF16_DF16_LN4vllm18Fp8KVCacheDataTypeE0EDF16_Li32ELi128ELi256ELb0ELi15EL8MFMAType0EEvPKT_PKT0_S8_ifPKiSA_SA_iPKfiiiPfSD_PS3_PT2_iSC_SC_,comdat
	.protected	_Z39paged_attention_ll4mi_QKV_mfma16_kernelIDF16_DF16_LN4vllm18Fp8KVCacheDataTypeE0EDF16_Li32ELi128ELi256ELb0ELi15EL8MFMAType0EEvPKT_PKT0_S8_ifPKiSA_SA_iPKfiiiPfSD_PS3_PT2_iSC_SC_ ; -- Begin function _Z39paged_attention_ll4mi_QKV_mfma16_kernelIDF16_DF16_LN4vllm18Fp8KVCacheDataTypeE0EDF16_Li32ELi128ELi256ELb0ELi15EL8MFMAType0EEvPKT_PKT0_S8_ifPKiSA_SA_iPKfiiiPfSD_PS3_PT2_iSC_SC_
	.globl	_Z39paged_attention_ll4mi_QKV_mfma16_kernelIDF16_DF16_LN4vllm18Fp8KVCacheDataTypeE0EDF16_Li32ELi128ELi256ELb0ELi15EL8MFMAType0EEvPKT_PKT0_S8_ifPKiSA_SA_iPKfiiiPfSD_PS3_PT2_iSC_SC_
	.p2align	8
	.type	_Z39paged_attention_ll4mi_QKV_mfma16_kernelIDF16_DF16_LN4vllm18Fp8KVCacheDataTypeE0EDF16_Li32ELi128ELi256ELb0ELi15EL8MFMAType0EEvPKT_PKT0_S8_ifPKiSA_SA_iPKfiiiPfSD_PS3_PT2_iSC_SC_,@function
_Z39paged_attention_ll4mi_QKV_mfma16_kernelIDF16_DF16_LN4vllm18Fp8KVCacheDataTypeE0EDF16_Li32ELi128ELi256ELb0ELi15EL8MFMAType0EEvPKT_PKT0_S8_ifPKiSA_SA_iPKfiiiPfSD_PS3_PT2_iSC_SC_: ; @_Z39paged_attention_ll4mi_QKV_mfma16_kernelIDF16_DF16_LN4vllm18Fp8KVCacheDataTypeE0EDF16_Li32ELi128ELi256ELb0ELi15EL8MFMAType0EEvPKT_PKT0_S8_ifPKiSA_SA_iPKfiiiPfSD_PS3_PT2_iSC_SC_
; %bb.0:
	s_load_b64 s[2:3], s[0:1], 0x30
	s_mov_b32 s34, s13
	s_waitcnt lgkmcnt(0)
	s_cmp_lg_u64 s[2:3], 0
	s_cselect_b32 s6, -1, 0
	s_ashr_i32 s35, s13, 31
	s_cmp_eq_u64 s[2:3], 0
	s_cbranch_scc1 .LBB380_3
; %bb.1:
	s_lshl_b64 s[4:5], s[34:35], 2
	s_delay_alu instid0(SALU_CYCLE_1) | instskip(SKIP_4) | instid1(SALU_CYCLE_1)
	s_add_u32 s4, s2, s4
	s_addc_u32 s5, s3, s5
	s_load_b64 s[4:5], s[4:5], 0x0
	s_waitcnt lgkmcnt(0)
	s_sub_i32 s4, s5, s4
	s_cmp_eq_u32 s4, 1
	s_cselect_b32 s4, -1, 0
	s_delay_alu instid0(SALU_CYCLE_1)
	s_and_not1_b32 vcc_lo, exec_lo, s4
	s_cbranch_vccz .LBB380_4
.LBB380_2:
	s_nop 0
	s_sendmsg sendmsg(MSG_DEALLOC_VGPRS)
	s_endpgm
.LBB380_3:
.LBB380_4:
	s_load_b64 s[8:9], s[0:1], 0x28
	s_lshl_b64 s[4:5], s[34:35], 2
	s_waitcnt lgkmcnt(0)
	s_add_u32 s8, s8, s4
	s_addc_u32 s9, s9, s5
	s_lshl_b32 s12, s14, 8
	s_load_b32 s17, s[8:9], 0x0
	s_waitcnt lgkmcnt(0)
	s_cmp_ge_i32 s12, s17
	s_cbranch_scc1 .LBB380_2
; %bb.5:
	s_and_not1_b32 vcc_lo, exec_lo, s6
	s_cbranch_vccnz .LBB380_7
; %bb.6:
	s_add_u32 s2, s2, s4
	s_addc_u32 s3, s3, s5
	s_load_b32 s13, s[2:3], 0x0
	s_branch .LBB380_8
.LBB380_7:
	s_mov_b32 s13, s34
.LBB380_8:
	s_clause 0x2
	s_load_b128 s[8:11], s[0:1], 0x8
	s_load_b64 s[2:3], s[0:1], 0x20
	s_load_b128 s[4:7], s[0:1], 0x48
	v_lshrrev_b32_e32 v78, 5, v0
	v_bfe_u32 v75, v0, 4, 1
	v_and_b32_e32 v77, 15, v0
	s_waitcnt lgkmcnt(0)
	s_mov_b32 s7, exec_lo
	s_delay_alu instid0(VALU_DEP_2) | instskip(NEXT) | instid1(VALU_DEP_2)
	v_lshl_or_b32 v3, v78, 1, v75
	v_lshlrev_b32_e32 v1, 3, v77
	s_delay_alu instid0(VALU_DEP_2)
	v_cmpx_lt_u32_e32 14, v3
	s_xor_b32 s7, exec_lo, s7
; %bb.9:
	v_mov_b32_e32 v2, 0
                                        ; implicit-def: $vgpr3
; %bb.10:
	s_or_saveexec_b32 s7, s7
	v_and_b32_e32 v80, 31, v0
	v_and_b32_e32 v76, 1, v0
	s_mul_i32 s31, s15, 15
	s_xor_b32 exec_lo, exec_lo, s7
	s_cbranch_execz .LBB380_12
; %bb.11:
	s_load_b64 s[18:19], s[0:1], 0x0
	v_add_lshl_u32 v4, v3, s31, 7
	s_mul_hi_i32 s21, s13, s4
	s_mul_i32 s20, s13, s4
	v_lshlrev_b32_e32 v2, 1, v1
	s_lshl_b64 s[20:21], s[20:21], 1
	v_ashrrev_i32_e32 v5, 31, v4
	v_lshlrev_b32_e32 v3, 6, v3
	v_lshlrev_b32_e32 v8, 10, v76
	s_delay_alu instid0(VALU_DEP_3) | instskip(SKIP_3) | instid1(VALU_DEP_1)
	v_lshlrev_b64 v[4:5], 1, v[4:5]
	s_waitcnt lgkmcnt(0)
	s_add_u32 s4, s18, s20
	s_addc_u32 s13, s19, s21
	v_add_co_u32 v4, vcc_lo, s4, v4
	s_delay_alu instid0(VALU_DEP_2) | instskip(NEXT) | instid1(VALU_DEP_2)
	v_add_co_ci_u32_e32 v5, vcc_lo, s13, v5, vcc_lo
	v_add_co_u32 v4, vcc_lo, v4, v2
	s_delay_alu instid0(VALU_DEP_2) | instskip(SKIP_3) | instid1(VALU_DEP_1)
	v_add_co_ci_u32_e32 v5, vcc_lo, 0, v5, vcc_lo
	v_lshlrev_b32_e32 v2, 10, v77
	global_load_b128 v[4:7], v[4:5], off
	v_and_b32_e32 v2, 0x3800, v2
	v_or3_b32 v3, v2, v8, v3
	v_mov_b32_e32 v2, 0
	s_waitcnt vmcnt(0)
	ds_store_b128 v3, v[4:7]
.LBB380_12:
	s_or_b32 exec_lo, exec_lo, s7
	v_and_b32_e32 v3, 0xef, v0
	s_add_i32 s4, s17, 31
	s_clause 0x1
	s_load_b32 s7, s[0:1], 0x38
	s_load_b32 s33, s[0:1], 0x98
	s_ashr_i32 s13, s4, 31
	v_add_nc_u32_e32 v3, s12, v3
	s_lshr_b32 s13, s13, 27
	s_load_b32 s18, s[0:1], 0x1c
	s_add_i32 s4, s4, s13
	s_waitcnt lgkmcnt(0)
	v_ashrrev_i32_e32 v4, 31, v3
	v_cmp_gt_i32_e32 vcc_lo, s17, v3
	s_ashr_i32 s4, s4, 5
	s_barrier
	s_add_i32 s4, s4, -1
	v_lshrrev_b32_e32 v5, 27, v4
	v_or_b32_e32 v4, 16, v3
	buffer_gl0_inv
	v_lshlrev_b64 v[73:74], 1, v[1:2]
	v_lshlrev_b32_e32 v79, 6, v77
	v_add_nc_u32_e32 v6, v3, v5
	v_add_nc_u32_e32 v5, v4, v5
	s_mul_i32 s20, s34, s7
	s_delay_alu instid0(SALU_CYCLE_1) | instskip(NEXT) | instid1(VALU_DEP_2)
	s_ashr_i32 s21, s20, 31
	v_ashrrev_i32_e32 v6, 5, v6
	s_delay_alu instid0(VALU_DEP_2) | instskip(SKIP_1) | instid1(SALU_CYCLE_1)
	v_ashrrev_i32_e32 v5, 5, v5
	s_lshl_b64 s[20:21], s[20:21], 2
	s_add_u32 s13, s2, s20
	s_delay_alu instid0(VALU_DEP_2) | instskip(SKIP_3) | instid1(SALU_CYCLE_1)
	v_cndmask_b32_e32 v3, s4, v6, vcc_lo
	v_cmp_gt_i32_e32 vcc_lo, s17, v4
	s_addc_u32 s16, s3, s21
	s_mul_i32 s2, s15, s6
	s_ashr_i32 s3, s2, 31
	v_cndmask_b32_e32 v5, s4, v5, vcc_lo
	v_ashrrev_i32_e32 v4, 31, v3
	s_lshl_b64 s[2:3], s[2:3], 1
	s_delay_alu instid0(SALU_CYCLE_1) | instskip(NEXT) | instid1(VALU_DEP_2)
	s_add_u32 s15, s8, s2
	v_ashrrev_i32_e32 v6, 31, v5
	s_delay_alu instid0(VALU_DEP_2) | instskip(SKIP_2) | instid1(VALU_DEP_2)
	v_lshlrev_b64 v[3:4], 2, v[3:4]
	s_addc_u32 s19, s9, s3
	s_lshl_b32 s6, s14, 3
	v_lshlrev_b64 v[5:6], 2, v[5:6]
	s_ashr_i32 s7, s6, 31
	s_delay_alu instid0(VALU_DEP_2) | instskip(SKIP_1) | instid1(VALU_DEP_3)
	v_add_co_u32 v3, vcc_lo, s13, v3
	v_add_co_ci_u32_e32 v4, vcc_lo, s16, v4, vcc_lo
	v_add_co_u32 v5, vcc_lo, s13, v5
	s_delay_alu instid0(VALU_DEP_4)
	v_add_co_ci_u32_e32 v6, vcc_lo, s16, v6, vcc_lo
	s_lshl_b64 s[6:7], s[6:7], 2
	s_clause 0x1
	global_load_b32 v7, v[3:4], off
	global_load_b32 v8, v[5:6], off
	s_add_u32 s6, s13, s6
	s_addc_u32 s7, s16, s7
	s_or_b32 s8, s12, 32
	s_delay_alu instid0(SALU_CYCLE_1) | instskip(SKIP_2) | instid1(SALU_CYCLE_1)
	s_ashr_i32 s9, s8, 5
	s_cmp_lt_i32 s8, s17
	s_cselect_b32 s8, s9, s4
	s_ashr_i32 s9, s8, 31
	s_delay_alu instid0(SALU_CYCLE_1) | instskip(NEXT) | instid1(SALU_CYCLE_1)
	s_lshl_b64 s[8:9], s[8:9], 2
	s_add_u32 s8, s13, s8
	s_addc_u32 s9, s16, s9
	s_or_b32 s20, s12, 64
	s_delay_alu instid0(SALU_CYCLE_1) | instskip(SKIP_2) | instid1(SALU_CYCLE_1)
	s_ashr_i32 s21, s20, 5
	s_cmp_lt_i32 s20, s17
	s_cselect_b32 s20, s21, s4
	s_ashr_i32 s21, s20, 31
	s_delay_alu instid0(SALU_CYCLE_1) | instskip(NEXT) | instid1(SALU_CYCLE_1)
	s_lshl_b64 s[20:21], s[20:21], 2
	;; [unrolled: 10-line block ×5, first 2 shown]
	s_add_u32 s26, s13, s26
	s_addc_u32 s27, s16, s27
	s_clause 0x5
	s_load_b32 s28, s[6:7], 0x0
	s_load_b32 s29, s[8:9], 0x0
	;; [unrolled: 1-line block ×6, first 2 shown]
	s_mov_b32 s20, 0
	s_or_b32 s6, s12, 0xc0
	s_mov_b32 s21, s20
	s_mov_b32 s22, s20
	;; [unrolled: 1-line block ×7, first 2 shown]
	s_ashr_i32 s7, s6, 5
	v_mov_b32_e32 v128, s27
	s_cmp_lt_i32 s6, s17
	v_mov_b32_e32 v127, s26
	s_cselect_b32 s6, s7, s4
	v_mov_b32_e32 v126, s25
	s_ashr_i32 s7, s6, 31
	v_mov_b32_e32 v125, s24
	s_lshl_b64 s[6:7], s[6:7], 2
	v_mov_b32_e32 v124, s23
	s_add_u32 s6, s13, s6
	s_addc_u32 s7, s16, s7
	v_mov_b32_e32 v123, s22
	v_mov_b32_e32 v121, s20
	s_waitcnt lgkmcnt(0)
	s_mul_hi_i32 s9, s28, s5
	s_mul_i32 s8, s28, s5
	s_mul_hi_i32 s37, s38, s5
	v_mov_b32_e32 v122, s21
	s_mul_hi_i32 s21, s29, s5
	s_mul_i32 s20, s29, s5
	s_mul_hi_i32 s25, s30, s5
	s_mul_i32 s24, s30, s5
	;; [unrolled: 2-line block ×3, first 2 shown]
	s_waitcnt vmcnt(1)
	v_mad_i64_i32 v[3:4], null, v7, s5, 0
	s_waitcnt vmcnt(0)
	v_mad_i64_i32 v[5:6], null, v8, s5, 0
	s_delay_alu instid0(VALU_DEP_2) | instskip(NEXT) | instid1(VALU_DEP_2)
	v_lshlrev_b64 v[3:4], 1, v[3:4]
	v_lshlrev_b64 v[1:2], 1, v[5:6]
	s_delay_alu instid0(VALU_DEP_2) | instskip(NEXT) | instid1(VALU_DEP_3)
	v_add_co_u32 v3, vcc_lo, s15, v3
	v_add_co_ci_u32_e32 v4, vcc_lo, s19, v4, vcc_lo
	s_delay_alu instid0(VALU_DEP_3) | instskip(NEXT) | instid1(VALU_DEP_4)
	v_add_co_u32 v1, vcc_lo, s15, v1
	v_add_co_ci_u32_e32 v2, vcc_lo, s19, v2, vcc_lo
	s_delay_alu instid0(VALU_DEP_4) | instskip(NEXT) | instid1(VALU_DEP_4)
	v_add_co_u32 v65, vcc_lo, v3, v73
	v_add_co_ci_u32_e32 v66, vcc_lo, v4, v74, vcc_lo
	s_delay_alu instid0(VALU_DEP_4) | instskip(NEXT) | instid1(VALU_DEP_4)
	v_add_co_u32 v67, vcc_lo, v1, v73
	v_add_co_ci_u32_e32 v68, vcc_lo, v2, v74, vcc_lo
	s_clause 0xf
	global_load_b128 v[1:4], v[65:66], off
	global_load_b128 v[5:8], v[65:66], off offset:512
	global_load_b128 v[9:12], v[67:68], off offset:256
	;; [unrolled: 1-line block ×15, first 2 shown]
	v_add_co_u32 v157, vcc_lo, 0x1000, v65
	v_add_co_ci_u32_e32 v158, vcc_lo, 0, v66, vcc_lo
	v_add_co_u32 v165, vcc_lo, 0x1000, v67
	v_add_co_ci_u32_e32 v166, vcc_lo, 0, v68, vcc_lo
	s_clause 0x7
	global_load_b128 v[81:84], v[157:158], off
	global_load_b128 v[85:88], v[157:158], off offset:512
	global_load_b128 v[89:92], v[165:166], off offset:256
	;; [unrolled: 1-line block ×7, first 2 shown]
	v_cmp_ne_u32_e32 vcc_lo, 15, v77
	s_or_b32 s15, s12, 0xe0
	s_delay_alu instid0(SALU_CYCLE_1) | instskip(SKIP_3) | instid1(SALU_CYCLE_1)
	s_ashr_i32 s19, s15, 5
	s_cmp_lt_i32 s15, s17
	v_cndmask_b32_e32 v65, 0, v77, vcc_lo
	s_cselect_b32 s22, s19, s4
	s_ashr_i32 s23, s22, 31
	s_delay_alu instid0(VALU_DEP_1)
	v_lshlrev_b32_e32 v169, 6, v65
	ds_load_b128 v[65:68], v169
	ds_load_b128 v[69:72], v169 offset:1024
	s_clause 0x1
	global_load_b128 v[113:116], v[157:158], off offset:2048
	global_load_b128 v[117:120], v[157:158], off offset:2560
	ds_load_b128 v[129:132], v169 offset:2048
	ds_load_b128 v[133:136], v169 offset:3072
	s_clause 0x5
	global_load_b128 v[145:148], v[165:166], off offset:2304
	global_load_b128 v[149:152], v[165:166], off offset:2816
	;; [unrolled: 1-line block ×6, first 2 shown]
	s_lshl_b64 s[22:23], s[22:23], 2
	s_delay_alu instid0(SALU_CYCLE_1) | instskip(SKIP_2) | instid1(SALU_CYCLE_1)
	s_add_u32 s22, s13, s22
	s_addc_u32 s23, s16, s23
	s_add_i32 s15, s12, 0x100
	s_ashr_i32 s19, s15, 5
	s_cmp_lt_i32 s15, s17
	s_cselect_b32 s28, s19, s4
	s_delay_alu instid0(SALU_CYCLE_1) | instskip(NEXT) | instid1(SALU_CYCLE_1)
	s_ashr_i32 s29, s28, 31
	s_lshl_b64 s[28:29], s[28:29], 2
	s_delay_alu instid0(SALU_CYCLE_1)
	s_add_u32 s28, s13, s28
	s_addc_u32 s29, s16, s29
	s_add_u32 s4, s10, s2
	s_addc_u32 s19, s11, s3
	s_lshl_b64 s[2:3], s[8:9], 1
	s_lshl_b64 s[8:9], s[20:21], 1
	;; [unrolled: 1-line block ×4, first 2 shown]
	s_waitcnt vmcnt(30) lgkmcnt(2)
	v_wmma_f32_16x16x16_f16 v[137:144], v[1:8], v[65:72], v[121:128]
	ds_load_b128 v[1:4], v169 offset:4096
	ds_load_b128 v[5:8], v169 offset:5120
	s_waitcnt vmcnt(28)
	v_wmma_f32_16x16x16_f16 v[121:128], v[9:16], v[65:72], v[121:128]
	ds_load_b128 v[9:12], v169 offset:6144
	ds_load_b128 v[13:16], v169 offset:7168
	s_waitcnt vmcnt(26) lgkmcnt(4)
	v_wmma_f32_16x16x16_f16 v[137:144], v[17:24], v[129:136], v[137:144]
	ds_load_b128 v[17:20], v169 offset:8192
	ds_load_b128 v[21:24], v169 offset:9216
	s_waitcnt vmcnt(24)
	v_wmma_f32_16x16x16_f16 v[121:128], v[25:32], v[129:136], v[121:128]
	v_lshl_or_b32 v25, v78, 10, v79
	ds_load_b128 v[129:132], v169 offset:10240
	ds_load_b128 v[133:136], v169 offset:11264
	s_clause 0x2
	s_load_b32 s15, s[6:7], 0x0
	s_load_b32 s13, s[22:23], 0x0
	;; [unrolled: 1-line block ×3, first 2 shown]
	s_mul_hi_i32 s7, s36, s5
	v_add_co_u32 v170, s4, s4, v25
	s_delay_alu instid0(VALU_DEP_1)
	v_add_co_ci_u32_e64 v171, null, s19, 0, s4
	s_mul_i32 s6, s36, s5
	s_mul_i32 s36, s38, s5
	s_lshl_b64 s[6:7], s[6:7], 1
	s_lshl_b64 s[22:23], s[36:37], 1
	s_waitcnt vmcnt(22) lgkmcnt(0)
	v_wmma_f32_16x16x16_f16 v[137:144], v[33:40], v[1:8], v[137:144]
	s_waitcnt vmcnt(20)
	v_wmma_f32_16x16x16_f16 v[121:128], v[41:48], v[1:8], v[121:128]
	v_add_co_u32 v1, vcc_lo, v170, s2
	v_add_co_ci_u32_e32 v2, vcc_lo, s3, v171, vcc_lo
	v_add_co_u32 v3, vcc_lo, v170, s8
	v_add_co_ci_u32_e32 v4, vcc_lo, s9, v171, vcc_lo
	;; [unrolled: 2-line block ×4, first 2 shown]
	v_add_co_u32 v25, vcc_lo, v170, s6
	s_mul_hi_i32 s25, s15, s5
	s_mul_i32 s24, s15, s5
	v_add_co_ci_u32_e32 v26, vcc_lo, s7, v171, vcc_lo
	v_add_co_u32 v27, vcc_lo, v170, s22
	s_lshl_b64 s[24:25], s[24:25], 1
	s_waitcnt vmcnt(18)
	v_wmma_f32_16x16x16_f16 v[137:144], v[49:56], v[9:16], v[137:144]
	s_waitcnt vmcnt(16)
	v_wmma_f32_16x16x16_f16 v[121:128], v[57:64], v[9:16], v[121:128]
	v_add_co_ci_u32_e32 v28, vcc_lo, s23, v171, vcc_lo
	s_mul_hi_i32 s3, s13, s5
	s_mul_i32 s2, s13, s5
	v_add_co_u32 v29, vcc_lo, v170, s24
	s_lshl_b64 s[2:3], s[2:3], 1
	v_add_co_ci_u32_e32 v30, vcc_lo, s25, v171, vcc_lo
	s_waitcnt vmcnt(14)
	v_wmma_f32_16x16x16_f16 v[137:144], v[81:88], v[17:24], v[137:144]
	s_waitcnt vmcnt(12)
	v_wmma_f32_16x16x16_f16 v[121:128], v[89:96], v[17:24], v[121:128]
	v_add_co_u32 v17, vcc_lo, v170, s2
	v_add_co_ci_u32_e32 v18, vcc_lo, s3, v171, vcc_lo
	s_mul_hi_i32 s3, s16, s5
	s_mul_i32 s2, s16, s5
	s_clause 0x5
	global_load_b128 v[65:68], v[1:2], off
	global_load_b128 v[69:72], v[1:2], off offset:16
	global_load_b128 v[57:60], v[3:4], off
	global_load_b128 v[61:64], v[3:4], off offset:16
	;; [unrolled: 2-line block ×3, first 2 shown]
	s_lshl_b64 s[2:3], s[2:3], 1
	s_clause 0x1
	global_load_b128 v[41:44], v[7:8], off
	global_load_b128 v[45:48], v[7:8], off offset:16
	v_add_co_u32 v21, vcc_lo, v170, s2
	v_add_co_ci_u32_e32 v22, vcc_lo, s3, v171, vcc_lo
	s_clause 0x9
	global_load_b128 v[9:12], v[25:26], off
	global_load_b128 v[13:16], v[25:26], off offset:16
	global_load_b128 v[1:4], v[27:28], off
	global_load_b128 v[5:8], v[27:28], off offset:16
	;; [unrolled: 2-line block ×5, first 2 shown]
	ds_load_b128 v[81:84], v169 offset:12288
	ds_load_b128 v[85:88], v169 offset:13312
	v_and_b32_e32 v89, 0xe0, v0
	s_waitcnt vmcnt(28)
	v_wmma_f32_16x16x16_f16 v[137:144], v[97:104], v[129:136], v[137:144]
	v_mbcnt_lo_u32_b32 v97, -1, 0
	s_waitcnt vmcnt(26)
	v_wmma_f32_16x16x16_f16 v[121:128], v[105:112], v[129:136], v[121:128]
	v_add_nc_u32_e32 v98, s12, v89
	ds_load_b128 v[89:92], v169 offset:14336
	ds_load_b128 v[93:96], v169 offset:15360
	v_xor_b32_e32 v99, 16, v97
	s_waitcnt vmcnt(0) lgkmcnt(0)
	s_barrier
	v_or_b32_e32 v98, v98, v75
	buffer_gl0_inv
	v_cmp_gt_i32_e32 vcc_lo, 32, v99
	v_or_b32_e32 v100, 4, v98
	v_or_b32_e32 v101, 22, v98
	v_or_b32_e32 v102, 24, v98
	v_or_b32_e32 v103, 26, v98
	v_wmma_f32_16x16x16_f16 v[137:144], v[113:120], v[81:88], v[137:144]
	v_wmma_f32_16x16x16_f16 v[121:128], v[145:152], v[81:88], v[121:128]
	v_or_b32_e32 v81, 6, v98
	v_or_b32_e32 v82, 8, v98
	;; [unrolled: 1-line block ×3, first 2 shown]
	v_cmp_gt_i32_e64 s3, s17, v100
	v_or_b32_e32 v84, 12, v98
	v_wmma_f32_16x16x16_f16 v[137:144], v[153:160], v[89:96], v[137:144]
	v_wmma_f32_16x16x16_f16 v[121:128], v[161:168], v[89:96], v[121:128]
	v_cndmask_b32_e32 v97, v97, v99, vcc_lo
	v_or_b32_e32 v99, 2, v98
	v_cmp_gt_i32_e32 vcc_lo, s17, v98
	v_dual_mul_f32 v95, s18, v138 :: v_dual_mul_f32 v96, s18, v137
	v_mul_f32_e32 v93, s18, v140
	s_delay_alu instid0(VALU_DEP_4)
	v_cmp_gt_i32_e64 s2, s17, v99
	v_mul_f32_e32 v94, s18, v139
	v_mul_f32_e32 v108, s18, v126
	v_cndmask_b32_e32 v96, 0xff7fffff, v96, vcc_lo
	v_cmp_gt_i32_e64 s4, s17, v81
	v_cndmask_b32_e64 v95, 0xff7fffff, v95, s2
	v_or_b32_e32 v85, 14, v98
	v_dual_mul_f32 v91, s18, v142 :: v_dual_mul_f32 v110, s18, v124
	v_mul_f32_e32 v92, s18, v141
	v_cndmask_b32_e64 v94, 0xff7fffff, v94, s3
	v_cndmask_b32_e64 v81, 0xff7fffff, v93, s4
	v_max3_f32 v93, v96, 0xff7fffff, v95
	v_cmp_gt_i32_e64 s5, s17, v82
	v_cmp_gt_i32_e64 s6, s17, v83
	v_or_b32_e32 v86, 16, v98
	v_or_b32_e32 v87, 18, v98
	v_dual_mul_f32 v89, s18, v144 :: v_dual_mul_f32 v112, s18, v122
	v_mul_f32_e32 v90, s18, v143
	v_cndmask_b32_e64 v82, 0xff7fffff, v92, s5
	v_cndmask_b32_e64 v83, 0xff7fffff, v91, s6
	v_max3_f32 v81, v93, v94, v81
	v_cmp_gt_i32_e64 s7, s17, v84
	v_cmp_gt_i32_e64 s8, s17, v85
	v_or_b32_e32 v88, 20, v98
	v_mul_f32_e32 v113, s18, v121
	v_max3_f32 v81, v81, v82, v83
	v_cndmask_b32_e64 v84, 0xff7fffff, v90, s7
	v_cndmask_b32_e64 v85, 0xff7fffff, v89, s8
	v_cmp_gt_i32_e64 s9, s17, v86
	v_cmp_gt_i32_e64 s10, s17, v87
	v_mul_f32_e32 v111, s18, v123
	v_cmp_gt_i32_e64 s11, s17, v88
	v_max3_f32 v81, v81, v84, v85
	v_cndmask_b32_e64 v82, 0xff7fffff, v113, s9
	v_cndmask_b32_e64 v83, 0xff7fffff, v112, s10
	v_cmp_gt_i32_e64 s12, s17, v101
	v_or_b32_e32 v104, 28, v98
	v_or_b32_e32 v105, 30, v98
	v_mul_f32_e32 v109, s18, v125
	v_cndmask_b32_e64 v84, 0xff7fffff, v111, s11
	v_cndmask_b32_e64 v85, 0xff7fffff, v110, s12
	v_max3_f32 v81, v81, v82, v83
	v_cmp_gt_i32_e64 s13, s17, v102
	v_cmp_gt_i32_e64 s15, s17, v103
	v_dual_mul_f32 v106, s18, v128 :: v_dual_mul_f32 v107, s18, v127
	s_delay_alu instid0(VALU_DEP_4) | instskip(NEXT) | instid1(VALU_DEP_4)
	v_max3_f32 v81, v81, v84, v85
	v_cndmask_b32_e64 v82, 0xff7fffff, v109, s13
	s_delay_alu instid0(VALU_DEP_4) | instskip(SKIP_2) | instid1(VALU_DEP_3)
	v_cndmask_b32_e64 v83, 0xff7fffff, v108, s15
	v_cmp_gt_i32_e64 s16, s17, v104
	v_cmp_gt_i32_e64 s17, s17, v105
	v_max3_f32 v81, v81, v82, v83
	s_delay_alu instid0(VALU_DEP_3) | instskip(NEXT) | instid1(VALU_DEP_3)
	v_cndmask_b32_e64 v84, 0xff7fffff, v107, s16
	v_cndmask_b32_e64 v85, 0xff7fffff, v106, s17
	v_lshlrev_b32_e32 v83, 2, v97
	s_delay_alu instid0(VALU_DEP_2) | instskip(SKIP_3) | instid1(VALU_DEP_1)
	v_max3_f32 v81, v81, v84, v85
	ds_bpermute_b32 v82, v83, v81
	s_waitcnt lgkmcnt(0)
	v_max_f32_e32 v82, v82, v82
	v_max_f32_e32 v81, v81, v82
	s_delay_alu instid0(VALU_DEP_1)
	v_fma_f32 v82, s18, v137, -v81
	v_fma_f32 v84, s18, v138, -v81
	;; [unrolled: 1-line block ×5, first 2 shown]
	v_mul_f32_e32 v82, 0x3fb8aa3b, v82
	s_delay_alu instid0(VALU_DEP_4) | instskip(NEXT) | instid1(VALU_DEP_3)
	v_dual_mul_f32 v84, 0x3fb8aa3b, v84 :: v_dual_mul_f32 v89, 0x3fb8aa3b, v87
	v_mul_f32_e32 v86, 0x3fb8aa3b, v86
	s_delay_alu instid0(VALU_DEP_3) | instskip(NEXT) | instid1(VALU_DEP_2)
	v_exp_f32_e32 v82, v82
	v_exp_f32_e32 v84, v84
	s_delay_alu instid0(VALU_DEP_2) | instskip(NEXT) | instid1(VALU_DEP_1)
	v_exp_f32_e32 v92, v89
	v_exp_f32_e32 v86, v86
	v_cndmask_b32_e32 v88, 0, v82, vcc_lo
	s_delay_alu instid0(TRANS32_DEP_3)
	v_cndmask_b32_e64 v87, 0, v84, s2
	s_waitcnt_depctr 0xfff
	v_cndmask_b32_e64 v92, 0, v92, s5
	v_cmp_gt_u32_e64 s2, 16, v80
	v_cndmask_b32_e64 v89, 0, v86, s4
	v_add_f32_e32 v84, 0, v88
	s_delay_alu instid0(VALU_DEP_1) | instskip(NEXT) | instid1(VALU_DEP_1)
	v_dual_add_f32 v84, v84, v87 :: v_dual_mul_f32 v85, 0x3fb8aa3b, v85
	v_exp_f32_e32 v85, v85
	s_waitcnt_depctr 0xfff
	v_cndmask_b32_e64 v90, 0, v85, s3
	s_delay_alu instid0(VALU_DEP_1) | instskip(NEXT) | instid1(VALU_DEP_1)
	v_add_f32_e32 v84, v84, v90
	v_add_f32_e32 v84, v84, v89
	v_fma_f32 v82, s18, v142, -v81
	v_fma_f32 v91, s18, v143, -v81
	;; [unrolled: 1-line block ×5, first 2 shown]
	s_delay_alu instid0(VALU_DEP_4) | instskip(SKIP_1) | instid1(VALU_DEP_4)
	v_dual_mul_f32 v82, 0x3fb8aa3b, v82 :: v_dual_mul_f32 v91, 0x3fb8aa3b, v91
	v_fma_f32 v96, s18, v124, -v81
	v_mul_f32_e32 v86, 0x3fb8aa3b, v86
	v_fma_f32 v99, s18, v127, -v81
	s_delay_alu instid0(VALU_DEP_4) | instskip(SKIP_3) | instid1(VALU_DEP_1)
	v_exp_f32_e32 v82, v82
	v_exp_f32_e32 v93, v91
	v_mul_f32_e32 v97, 0x3fb8aa3b, v96
	v_exp_f32_e32 v86, v86
	v_exp_f32_e32 v97, v97
	v_cndmask_b32_e64 v91, 0, v82, s6
	v_dual_add_f32 v82, v84, v92 :: v_dual_mul_f32 v85, 0x3fb8aa3b, v85
	v_fma_f32 v84, s18, v123, -v81
	v_mul_f32_e32 v95, 0x3fb8aa3b, v94
	s_delay_alu instid0(TRANS32_DEP_3) | instskip(NEXT) | instid1(VALU_DEP_4)
	v_cndmask_b32_e64 v94, 0, v93, s7
	v_add_f32_e32 v82, v82, v91
	v_exp_f32_e32 v85, v85
	v_mul_f32_e32 v84, 0x3fb8aa3b, v84
	v_cndmask_b32_e64 v96, 0, v86, s9
	v_exp_f32_e32 v95, v95
	v_add_f32_e32 v82, v82, v94
	v_fma_f32 v86, s18, v126, -v81
	v_exp_f32_e32 v84, v84
	v_cndmask_b32_e64 v97, 0, v97, s12
	s_delay_alu instid0(TRANS32_DEP_3) | instskip(SKIP_2) | instid1(TRANS32_DEP_2)
	v_cndmask_b32_e64 v93, 0, v85, s8
	v_fma_f32 v85, s18, v125, -v81
	v_mul_f32_e32 v86, 0x3fb8aa3b, v86
	v_cndmask_b32_e64 v95, 0, v95, s10
	s_waitcnt_depctr 0xfff
	v_cndmask_b32_e64 v98, 0, v84, s11
	v_mul_f32_e32 v84, 0x3fb8aa3b, v99
	v_fma_f32 v99, s18, v128, -v81
	v_add_f32_e32 v82, v82, v93
	v_mul_f32_e32 v85, 0x3fb8aa3b, v85
	v_exp_f32_e32 v86, v86
	v_exp_f32_e32 v84, v84
	s_delay_alu instid0(VALU_DEP_1)
	v_exp_f32_e32 v85, v85
	s_waitcnt_depctr 0xfff
	v_cndmask_b32_e64 v102, 0, v84, s16
	v_cndmask_b32_e64 v100, 0, v85, s13
	v_dual_mul_f32 v85, 0x3fb8aa3b, v99 :: v_dual_add_f32 v82, v82, v96
	v_cndmask_b32_e64 v99, 0, v86, s15
	s_delay_alu instid0(VALU_DEP_2) | instskip(NEXT) | instid1(VALU_DEP_2)
	v_exp_f32_e32 v85, v85
	v_add_f32_e32 v82, v82, v95
	s_delay_alu instid0(VALU_DEP_1) | instskip(SKIP_3) | instid1(VALU_DEP_1)
	v_add_f32_e32 v82, v82, v98
	s_waitcnt_depctr 0xfff
	v_cndmask_b32_e64 v101, 0, v85, s17
	v_add_f32_e32 v82, v82, v97
	v_add_f32_e32 v82, v82, v100
	s_delay_alu instid0(VALU_DEP_1) | instskip(NEXT) | instid1(VALU_DEP_1)
	v_add_f32_e32 v82, v82, v99
	v_add_f32_e32 v82, v82, v102
	s_delay_alu instid0(VALU_DEP_1)
	v_add_f32_e32 v82, v82, v101
	ds_bpermute_b32 v83, v83, v82
	s_and_saveexec_b32 s3, s2
	s_cbranch_execz .LBB380_14
; %bb.13:
	v_mul_u32_u24_e32 v80, 0x44, v78
	s_waitcnt lgkmcnt(0)
	v_add_f32_e32 v82, v82, v83
	s_delay_alu instid0(VALU_DEP_2) | instskip(NEXT) | instid1(VALU_DEP_1)
	v_lshl_add_u32 v80, v77, 2, v80
	v_add_nc_u32_e32 v80, 0x4000, v80
	ds_store_2addr_b32 v80, v81, v82 offset1:136
.LBB380_14:
	s_or_b32 exec_lo, exec_lo, s3
	v_lshlrev_b32_e32 v80, 2, v77
	s_load_b32 s35, s[0:1], 0x94
	s_waitcnt lgkmcnt(0)
	s_barrier
	buffer_gl0_inv
	v_add_nc_u32_e32 v84, 0x4000, v80
	v_cmp_eq_u32_e32 vcc_lo, 1, v78
	v_cmp_eq_u32_e64 s3, 2, v78
	v_cmp_eq_u32_e64 s4, 3, v78
	;; [unrolled: 1-line block ×3, first 2 shown]
	ds_load_2addr_b32 v[80:81], v84 offset1:17
	ds_load_2addr_b32 v[82:83], v84 offset0:34 offset1:51
	ds_load_2addr_b32 v[103:104], v84 offset0:68 offset1:85
	ds_load_2addr_b32 v[105:106], v84 offset0:102 offset1:119
	v_cmp_eq_u32_e64 s6, 7, v78
	s_waitcnt lgkmcnt(3)
	v_max3_f32 v85, v80, 0xff7fffff, v81
	s_waitcnt lgkmcnt(2)
	s_delay_alu instid0(VALU_DEP_1) | instskip(SKIP_1) | instid1(VALU_DEP_1)
	v_max3_f32 v85, v85, v82, v83
	s_waitcnt lgkmcnt(1)
	v_max3_f32 v85, v85, v103, v104
	s_waitcnt lgkmcnt(0)
	s_delay_alu instid0(VALU_DEP_1) | instskip(NEXT) | instid1(VALU_DEP_1)
	v_max3_f32 v85, v85, v105, v106
	v_sub_f32_e32 v103, v103, v85
	ds_load_2addr_b32 v[107:108], v84 offset0:136 offset1:153
	v_sub_f32_e32 v80, v80, v85
	v_dual_sub_f32 v110, v83, v85 :: v_dual_mul_f32 v113, 0x3fb8aa3b, v103
	s_delay_alu instid0(VALU_DEP_2) | instskip(SKIP_3) | instid1(VALU_DEP_1)
	v_dual_sub_f32 v86, v81, v85 :: v_dual_mul_f32 v109, 0x3fb8aa3b, v80
	ds_load_2addr_b32 v[80:81], v84 offset0:170 offset1:187
	v_mul_f32_e32 v86, 0x3fb8aa3b, v86
	v_exp_f32_e32 v109, v109
	v_exp_f32_e32 v112, v86
	v_mul_f32_e32 v110, 0x3fb8aa3b, v110
	s_waitcnt lgkmcnt(1)
	s_waitcnt_depctr 0xfff
	v_fma_f32 v86, v109, v107, 0
	v_sub_f32_e32 v107, v104, v85
	v_sub_f32_e32 v82, v82, v85
	v_exp_f32_e32 v110, v110
	ds_load_2addr_b32 v[103:104], v84 offset0:238 offset1:255
	v_dual_fmac_f32 v86, v112, v108 :: v_dual_mul_f32 v111, 0x3fb8aa3b, v82
	ds_load_2addr_b32 v[82:83], v84 offset0:204 offset1:221
	v_dual_sub_f32 v84, v105, v85 :: v_dual_mul_f32 v105, 0x3fb8aa3b, v107
	v_exp_f32_e32 v107, v113
	v_exp_f32_e32 v111, v111
	s_waitcnt lgkmcnt(0)
	s_delay_alu instid0(VALU_DEP_1)
	v_mul_f32_e32 v84, 0x3fb8aa3b, v84
	v_exp_f32_e32 v105, v105
	s_barrier
	buffer_gl0_inv
	v_fmac_f32_e32 v86, v111, v80
	v_sub_f32_e32 v80, v106, v85
	v_exp_f32_e32 v106, v84
	s_delay_alu instid0(VALU_DEP_2) | instskip(NEXT) | instid1(VALU_DEP_2)
	v_fmac_f32_e32 v86, v110, v81
	v_mul_f32_e32 v80, 0x3fb8aa3b, v80
	s_delay_alu instid0(VALU_DEP_2) | instskip(NEXT) | instid1(VALU_DEP_2)
	v_dual_cndmask_b32 v81, v109, v112 :: v_dual_fmac_f32 v86, v107, v82
	v_exp_f32_e32 v108, v80
	s_delay_alu instid0(VALU_DEP_1) | instskip(SKIP_2) | instid1(VALU_DEP_1)
	v_fmac_f32_e32 v86, v105, v83
	s_waitcnt_depctr 0xfff
	v_fmac_f32_e32 v86, v106, v103
	v_fmac_f32_e32 v86, v108, v104
	s_delay_alu instid0(VALU_DEP_1) | instskip(NEXT) | instid1(VALU_DEP_1)
	v_add_f32_e32 v103, 0x358637bd, v86
	v_div_scale_f32 v104, null, v103, v103, 1.0
	v_div_scale_f32 v109, vcc_lo, 1.0, v103, 1.0
	s_delay_alu instid0(VALU_DEP_2) | instskip(SKIP_2) | instid1(VALU_DEP_1)
	v_rcp_f32_e32 v113, v104
	s_waitcnt_depctr 0xfff
	v_fma_f32 v80, -v104, v113, 1.0
	v_fmac_f32_e32 v113, v80, v113
	v_cndmask_b32_e64 v80, v81, v111, s3
	v_cmp_eq_u32_e64 s3, 4, v78
	v_lshl_or_b32 v81, v78, 11, v79
	s_delay_alu instid0(VALU_DEP_4) | instskip(NEXT) | instid1(VALU_DEP_4)
	v_mul_f32_e32 v111, v109, v113
	v_cndmask_b32_e64 v82, v80, v110, s4
	v_cmp_eq_u32_e64 s4, 6, v78
	s_delay_alu instid0(VALU_DEP_4) | instskip(SKIP_3) | instid1(VALU_DEP_3)
	v_lshl_or_b32 v78, v75, 4, v81
	v_lshlrev_b32_e32 v80, 2, v75
	v_fma_f32 v83, -v104, v111, v109
	v_cndmask_b32_e64 v84, v82, v107, s3
	v_or_b32_e32 v82, 1, v80
	s_delay_alu instid0(VALU_DEP_3) | instskip(NEXT) | instid1(VALU_DEP_3)
	v_fmac_f32_e32 v111, v83, v113
	v_cndmask_b32_e64 v105, v84, v105, s5
	v_or_b32_e32 v84, 2, v80
	v_or_b32_e32 v83, 3, v80
	v_cmp_eq_u32_e64 s3, 1, v80
	v_fma_f32 v104, -v104, v111, v109
	v_cndmask_b32_e64 v105, v105, v106, s4
	v_cmp_eq_u32_e64 s9, 1, v82
	v_cmp_eq_u32_e64 s10, 1, v84
	;; [unrolled: 1-line block ×3, first 2 shown]
	v_div_fmas_f32 v104, v104, v113, v111
	v_cndmask_b32_e64 v105, v105, v108, s6
	v_cmp_eq_u32_e32 vcc_lo, 2, v80
	v_cmp_eq_u32_e64 s12, 2, v82
	v_cmp_eq_u32_e64 s15, 2, v84
	v_div_fixup_f32 v103, v104, v103, 1.0
	v_cmp_eq_u32_e64 s16, 2, v83
	v_cmp_eq_u32_e64 s18, 3, v83
	;; [unrolled: 1-line block ×4, first 2 shown]
	v_mul_f32_e32 v111, v105, v103
	v_cmp_eq_u32_e64 s17, 3, v84
	v_cmp_eq_u32_e64 s22, 4, v83
	;; [unrolled: 1-line block ×4, first 2 shown]
	v_fma_mixlo_f16 v103, v111, v88, 0
	v_fma_mixlo_f16 v104, v111, v90, 0
	;; [unrolled: 1-line block ×8, first 2 shown]
	v_fma_mixhi_f16 v103, v111, v87, 0
	v_fma_mixhi_f16 v104, v111, v89, 0
	;; [unrolled: 1-line block ×8, first 2 shown]
	ds_store_b128 v78, v[103:106]
	ds_store_b128 v78, v[107:110] offset:1024
	s_waitcnt lgkmcnt(0)
	s_barrier
	buffer_gl0_inv
	ds_load_b128 v[87:90], v81
	ds_load_b128 v[91:94], v81 offset:16
	ds_load_b128 v[95:98], v81 offset:1024
	;; [unrolled: 1-line block ×3, first 2 shown]
	v_cmp_eq_u32_e64 s21, 4, v84
	v_cmp_eq_u32_e64 s24, 5, v83
	;; [unrolled: 1-line block ×13, first 2 shown]
	s_waitcnt lgkmcnt(3)
	v_lshrrev_b32_e32 v103, 16, v87
	s_waitcnt lgkmcnt(2)
	v_lshrrev_b32_e32 v107, 16, v91
	;; [unrolled: 2-line block ×4, first 2 shown]
	v_lshrrev_b32_e32 v104, 16, v88
	v_cndmask_b32_e64 v119, v87, v103, s3
	v_cndmask_b32_e64 v120, v91, v107, s3
	;; [unrolled: 1-line block ×8, first 2 shown]
	v_lshrrev_b32_e32 v108, 16, v92
	v_cndmask_b32_e64 v103, v95, v111, s3
	v_cndmask_b32_e64 v107, v99, v115, s3
	;; [unrolled: 1-line block ×5, first 2 shown]
	v_cndmask_b32_e32 v111, v119, v88, vcc_lo
	v_cndmask_b32_e64 v119, v121, v88, s12
	v_cndmask_b32_e64 v121, v123, v88, s15
	;; [unrolled: 1-line block ×4, first 2 shown]
	v_lshrrev_b32_e32 v112, 16, v96
	v_lshrrev_b32_e32 v116, 16, v100
	v_cndmask_b32_e64 v126, v99, v115, s9
	v_cndmask_b32_e64 v128, v99, v115, s10
	;; [unrolled: 1-line block ×3, first 2 shown]
	v_cndmask_b32_e32 v115, v120, v92, vcc_lo
	v_cndmask_b32_e64 v120, v122, v92, s12
	v_cndmask_b32_e64 v122, v124, v92, s15
	v_cndmask_b32_e32 v91, v103, v96, vcc_lo
	v_cndmask_b32_e32 v92, v107, v100, vcc_lo
	v_cndmask_b32_e64 v103, v125, v96, s12
	v_cndmask_b32_e64 v87, v87, v104, s18
	;; [unrolled: 1-line block ×3, first 2 shown]
	v_lshrrev_b32_e32 v105, 16, v89
	v_lshrrev_b32_e32 v109, 16, v93
	v_cndmask_b32_e64 v107, v127, v96, s15
	v_cndmask_b32_e64 v95, v95, v96, s16
	;; [unrolled: 1-line block ×14, first 2 shown]
	v_lshrrev_b32_e32 v113, 16, v97
	v_cndmask_b32_e64 v99, v99, v89, s5
	v_cndmask_b32_e64 v104, v111, v93, s5
	v_cndmask_b32_e64 v108, v115, v89, s19
	v_cndmask_b32_e64 v111, v119, v93, s19
	v_cndmask_b32_e64 v115, v120, v89, s21
	v_cndmask_b32_e64 v119, v121, v93, s21
	v_cndmask_b32_e64 v89, v91, v97, s5
	v_cndmask_b32_e64 v91, v92, v101, s5
	v_cndmask_b32_e64 v92, v103, v97, s19
	v_cndmask_b32_e64 v87, v87, v105, s24
	v_cndmask_b32_e64 v88, v88, v109, s24
	v_lshrrev_b32_e32 v106, 16, v90
	v_lshrrev_b32_e32 v110, 16, v94
	v_cndmask_b32_e64 v93, v99, v105, s6
	v_cndmask_b32_e64 v99, v104, v109, s6
	;; [unrolled: 1-line block ×9, first 2 shown]
	v_lshrrev_b32_e32 v114, 16, v98
	v_cndmask_b32_e64 v89, v89, v113, s6
	v_cndmask_b32_e64 v93, v93, v90, s7
	;; [unrolled: 1-line block ×19, first 2 shown]
	v_perm_b32 v90, v88, v87, 0x5040100
	v_cndmask_b32_e64 v87, v126, v100, s12
	v_cndmask_b32_e64 v105, v89, v114, s8
	v_perm_b32 v89, v103, v99, 0x5040100
	v_perm_b32 v88, v104, v94, 0x5040100
	v_cndmask_b32_e64 v94, v107, v112, s17
	v_cndmask_b32_e64 v95, v95, v112, s18
	;; [unrolled: 1-line block ×5, first 2 shown]
	v_lshrrev_b32_e32 v117, 16, v101
	v_cndmask_b32_e64 v94, v94, v97, s21
	v_cndmask_b32_e64 v95, v95, v97, s22
	;; [unrolled: 1-line block ×11, first 2 shown]
	v_lshrrev_b32_e32 v118, 16, v102
	v_cndmask_b32_e64 v91, v91, v102, s7
	v_cndmask_b32_e64 v94, v94, v98, s26
	;; [unrolled: 1-line block ×12, first 2 shown]
	v_perm_b32 v87, v93, v92, 0x5040100
	v_perm_b32 v94, v95, v94, 0x5040100
	;; [unrolled: 1-line block ×5, first 2 shown]
	s_mul_i32 s7, s33, 15
	s_mov_b32 s3, exec_lo
	ds_store_b128 v78, v[87:90]
	ds_store_b128 v78, v[91:94] offset:1024
	v_cmpx_gt_u32_e32 15, v0
	s_cbranch_execz .LBB380_16
; %bb.15:
	s_mul_i32 s4, s7, s34
	s_load_b128 s[8:11], s[0:1], 0x58
	v_add3_u32 v77, s4, s31, v77
	s_delay_alu instid0(VALU_DEP_1) | instskip(NEXT) | instid1(VALU_DEP_1)
	v_mad_u64_u32 v[87:88], null, v77, s35, s[14:15]
	v_ashrrev_i32_e32 v88, 31, v87
	s_delay_alu instid0(VALU_DEP_1) | instskip(SKIP_1) | instid1(VALU_DEP_1)
	v_lshlrev_b64 v[87:88], 2, v[87:88]
	s_waitcnt lgkmcnt(0)
	v_add_co_u32 v89, vcc_lo, s10, v87
	s_delay_alu instid0(VALU_DEP_2)
	v_add_co_ci_u32_e32 v90, vcc_lo, s11, v88, vcc_lo
	v_add_co_u32 v87, vcc_lo, s8, v87
	v_add_co_ci_u32_e32 v88, vcc_lo, s9, v88, vcc_lo
	global_store_b32 v[89:90], v85, off
	global_store_b32 v[87:88], v86, off
.LBB380_16:
	s_or_b32 exec_lo, exec_lo, s3
	s_waitcnt lgkmcnt(0)
	s_waitcnt_vscnt null, 0x0
	s_barrier
	buffer_gl0_inv
	ds_load_b128 v[93:96], v79
	ds_load_b128 v[97:100], v79 offset:16
	ds_load_b128 v[105:108], v79 offset:1040
	;; [unrolled: 1-line block ×5, first 2 shown]
	v_cmp_eq_u32_e32 vcc_lo, 1, v84
	v_mov_b32_e32 v85, 0
	ds_load_b128 v[121:124], v79 offset:3088
	ds_load_b128 v[117:120], v79 offset:3072
	;; [unrolled: 1-line block ×4, first 2 shown]
	v_cmp_eq_u32_e64 s3, 1, v80
	v_cmp_eq_u32_e64 s4, 1, v83
	;; [unrolled: 1-line block ×3, first 2 shown]
	v_mov_b32_e32 v86, v85
	v_mov_b32_e32 v87, v85
	;; [unrolled: 1-line block ×7, first 2 shown]
	v_cmp_eq_u32_e64 s6, 2, v80
	s_waitcnt lgkmcnt(8)
	s_delay_alu instid0(VALU_DEP_2)
	v_wmma_f32_16x16x16_f16 v[85:92], v[65:72], v[93:100], v[85:92]
	ds_load_b128 v[69:72], v79 offset:5136
	ds_load_b128 v[65:68], v79 offset:5120
	;; [unrolled: 1-line block ×4, first 2 shown]
	s_waitcnt lgkmcnt(10)
	v_wmma_f32_16x16x16_f16 v[85:92], v[57:64], v[101:108], v[85:92]
	s_waitcnt lgkmcnt(8)
	s_delay_alu instid0(VALU_DEP_1)
	v_wmma_f32_16x16x16_f16 v[85:92], v[57:64], v[109:116], v[85:92]
	ds_load_b128 v[61:64], v79 offset:7184
	ds_load_b128 v[57:60], v79 offset:7168
	;; [unrolled: 1-line block ×4, first 2 shown]
	s_waitcnt lgkmcnt(10)
	v_wmma_f32_16x16x16_f16 v[85:92], v[49:56], v[117:124], v[85:92]
	s_waitcnt lgkmcnt(8)
	s_delay_alu instid0(VALU_DEP_1)
	v_wmma_f32_16x16x16_f16 v[85:92], v[49:56], v[125:132], v[85:92]
	ds_load_b128 v[53:56], v79 offset:9232
	ds_load_b128 v[49:52], v79 offset:9216
	s_waitcnt lgkmcnt(8)
	v_wmma_f32_16x16x16_f16 v[85:92], v[41:48], v[65:72], v[85:92]
	ds_load_b128 v[69:72], v79 offset:10256
	ds_load_b128 v[65:68], v79 offset:10240
	s_waitcnt lgkmcnt(8)
	;; [unrolled: 4-line block ×7, first 2 shown]
	s_barrier
	buffer_gl0_inv
	v_wmma_f32_16x16x16_f16 v[85:92], v[33:40], v[41:48], v[85:92]
	s_delay_alu instid0(VALU_DEP_1) | instskip(NEXT) | instid1(VALU_DEP_1)
	v_wmma_f32_16x16x16_f16 v[85:92], v[33:40], v[57:64], v[85:92]
	v_wmma_f32_16x16x16_f16 v[85:92], v[25:32], v[9:16], v[85:92]
	s_delay_alu instid0(VALU_DEP_1) | instskip(NEXT) | instid1(VALU_DEP_1)
	v_wmma_f32_16x16x16_f16 v[85:92], v[25:32], v[49:56], v[85:92]
	v_wmma_f32_16x16x16_f16 v[85:92], v[17:24], v[1:8], v[85:92]
	s_delay_alu instid0(VALU_DEP_1) | instskip(NEXT) | instid1(VALU_DEP_2)
	v_cvt_f16_f32_e32 v1, v85
	v_cvt_f16_f32_e32 v2, v86
	s_delay_alu instid0(VALU_DEP_3) | instskip(NEXT) | instid1(VALU_DEP_4)
	v_cvt_f16_f32_e32 v3, v87
	v_cvt_f16_f32_e32 v4, v88
	;; [unrolled: 1-line block ×6, first 2 shown]
	v_pack_b32_f16 v1, v1, v2
	v_pack_b32_f16 v2, v3, v4
	;; [unrolled: 1-line block ×3, first 2 shown]
	s_delay_alu instid0(VALU_DEP_4)
	v_pack_b32_f16 v4, v7, v8
	ds_store_b128 v78, v[1:4]
	s_waitcnt lgkmcnt(0)
	s_barrier
	buffer_gl0_inv
	ds_load_b128 v[1:4], v81
	ds_load_b128 v[5:8], v81 offset:16
	s_waitcnt lgkmcnt(1)
	v_lshrrev_b32_e32 v9, 16, v1
	s_waitcnt lgkmcnt(0)
	v_lshrrev_b32_e32 v13, 16, v5
	v_lshrrev_b32_e32 v15, 16, v7
	;; [unrolled: 1-line block ×4, first 2 shown]
	v_cndmask_b32_e64 v17, v1, v9, s3
	v_cndmask_b32_e64 v18, v5, v13, s3
	;; [unrolled: 1-line block ×3, first 2 shown]
	v_cmp_eq_u32_e64 s3, 2, v82
	v_cndmask_b32_e64 v20, v5, v13, s5
	v_cndmask_b32_e32 v21, v1, v9, vcc_lo
	v_cndmask_b32_e32 v22, v5, v13, vcc_lo
	v_cndmask_b32_e64 v1, v1, v9, s4
	v_cndmask_b32_e64 v5, v5, v13, s4
	v_cmp_eq_u32_e32 vcc_lo, 2, v84
	v_cmp_eq_u32_e64 s4, 2, v83
	v_cndmask_b32_e64 v9, v17, v2, s6
	v_cndmask_b32_e64 v13, v18, v6, s6
	;; [unrolled: 1-line block ×4, first 2 shown]
	v_cndmask_b32_e32 v19, v21, v2, vcc_lo
	v_cmp_eq_u32_e64 s3, 3, v84
	v_cndmask_b32_e32 v20, v22, v6, vcc_lo
	v_cndmask_b32_e64 v1, v1, v2, s4
	v_cmp_eq_u32_e32 vcc_lo, 3, v83
	v_cmp_eq_u32_e64 s5, 3, v80
	v_cndmask_b32_e64 v2, v5, v6, s4
	v_cmp_eq_u32_e64 s4, 3, v82
	v_lshrrev_b32_e32 v16, 16, v8
	v_cmp_eq_u32_e64 s6, 4, v80
	v_cndmask_b32_e64 v5, v9, v10, s5
	v_cndmask_b32_e64 v6, v13, v14, s5
	;; [unrolled: 1-line block ×3, first 2 shown]
	v_cmp_eq_u32_e64 s5, 4, v82
	v_cndmask_b32_e64 v13, v18, v14, s4
	v_cndmask_b32_e64 v17, v19, v10, s3
	;; [unrolled: 1-line block ×3, first 2 shown]
	v_cndmask_b32_e32 v1, v1, v10, vcc_lo
	v_cndmask_b32_e32 v2, v2, v14, vcc_lo
	v_cmp_eq_u32_e32 vcc_lo, 4, v84
	v_cmp_eq_u32_e64 s4, 4, v83
	v_lshrrev_b32_e32 v11, 16, v3
	v_cndmask_b32_e64 v5, v5, v3, s6
	v_cndmask_b32_e64 v6, v6, v7, s6
	;; [unrolled: 1-line block ×4, first 2 shown]
	v_cndmask_b32_e32 v13, v17, v3, vcc_lo
	v_cmp_eq_u32_e64 s3, 5, v84
	v_cndmask_b32_e32 v14, v18, v7, vcc_lo
	v_cndmask_b32_e64 v1, v1, v3, s4
	v_cmp_eq_u32_e32 vcc_lo, 5, v83
	v_cmp_eq_u32_e64 s5, 5, v80
	v_cndmask_b32_e64 v2, v2, v7, s4
	v_cmp_eq_u32_e64 s4, 5, v82
	v_cmp_eq_u32_e64 s6, 6, v80
	v_cndmask_b32_e32 v1, v1, v11, vcc_lo
	v_cndmask_b32_e64 v3, v5, v11, s5
	v_cndmask_b32_e64 v5, v6, v15, s5
	;; [unrolled: 1-line block ×3, first 2 shown]
	v_cmp_eq_u32_e64 s5, 6, v82
	v_cndmask_b32_e64 v7, v10, v15, s4
	v_cndmask_b32_e64 v9, v13, v11, s3
	;; [unrolled: 1-line block ×3, first 2 shown]
	v_cndmask_b32_e32 v2, v2, v15, vcc_lo
	v_cmp_eq_u32_e32 vcc_lo, 6, v84
	v_cmp_eq_u32_e64 s3, 6, v83
	v_lshrrev_b32_e32 v12, 16, v4
	v_cndmask_b32_e64 v3, v3, v4, s6
	v_cndmask_b32_e64 v5, v5, v8, s6
	v_cndmask_b32_e64 v6, v6, v4, s5
	v_cndmask_b32_e64 v7, v7, v8, s5
	v_cndmask_b32_e32 v9, v9, v4, vcc_lo
	v_cmp_eq_u32_e64 s4, 7, v84
	v_cndmask_b32_e32 v10, v10, v8, vcc_lo
	v_cndmask_b32_e64 v1, v1, v4, s3
	v_cmp_eq_u32_e32 vcc_lo, 7, v83
	v_cndmask_b32_e64 v2, v2, v8, s3
	v_cmp_eq_u32_e64 s3, 7, v80
	v_cmp_eq_u32_e64 s5, 7, v82
	v_cndmask_b32_e32 v1, v1, v12, vcc_lo
	s_delay_alu instid0(VALU_DEP_4) | instskip(NEXT) | instid1(VALU_DEP_4)
	v_cndmask_b32_e32 v2, v2, v16, vcc_lo
	v_cndmask_b32_e64 v8, v3, v12, s3
	s_delay_alu instid0(VALU_DEP_4)
	v_cndmask_b32_e64 v6, v6, v12, s5
	v_cndmask_b32_e64 v3, v9, v12, s4
	;; [unrolled: 1-line block ×5, first 2 shown]
	v_perm_b32 v4, v2, v1, 0x5040100
	s_mov_b32 s3, exec_lo
	v_perm_b32 v3, v9, v3, 0x5040100
	v_perm_b32 v2, v7, v6, 0x5040100
	;; [unrolled: 1-line block ×3, first 2 shown]
	ds_store_b128 v78, v[1:4]
	s_waitcnt lgkmcnt(0)
	s_barrier
	buffer_gl0_inv
	v_cmpx_gt_u32_e32 32, v0
	s_cbranch_execz .LBB380_2
; %bb.17:
	s_load_b64 s[4:5], s[0:1], 0x68
	v_add_nc_u32_e32 v20, s31, v75
	v_lshlrev_b32_e32 v0, 10, v0
	v_lshlrev_b32_e32 v1, 4, v76
	s_lshl_b32 s0, s35, 7
	s_delay_alu instid0(SALU_CYCLE_1)
	s_mul_i32 s1, s0, s34
	v_add_nc_u32_e32 v2, 2, v20
	s_mul_i32 s6, s1, s7
	v_and_or_b32 v0, 0x3800, v0, v1
	v_mul_lo_u32 v1, v20, s0
	s_ashr_i32 s7, s6, 31
	v_mul_lo_u32 v11, v2, s0
	s_lshl_b64 s[6:7], s[6:7], 1
	v_add_nc_u32_e32 v3, 4, v20
	v_lshl_or_b32 v21, v75, 6, v0
	v_add_nc_u32_e32 v16, 6, v20
	v_ashrrev_i32_e32 v2, 31, v1
	s_delay_alu instid0(VALU_DEP_4)
	v_mul_lo_u32 v13, v3, s0
	s_waitcnt lgkmcnt(0)
	s_add_u32 s1, s4, s6
	s_addc_u32 s3, s5, s7
	s_lshl_b32 s4, s14, 7
	ds_load_b128 v[3:6], v21
	ds_load_b128 v[7:10], v21 offset:128
	s_ashr_i32 s5, s4, 31
	v_ashrrev_i32_e32 v12, 31, v11
	s_lshl_b64 s[4:5], s[4:5], 1
	v_lshlrev_b64 v[14:15], 1, v[1:2]
	s_add_u32 s1, s1, s4
	s_addc_u32 s3, s3, s5
	v_add_co_u32 v1, vcc_lo, s1, v73
	v_add_co_ci_u32_e32 v2, vcc_lo, s3, v74, vcc_lo
	v_lshlrev_b64 v[11:12], 1, v[11:12]
	s_delay_alu instid0(VALU_DEP_3) | instskip(SKIP_1) | instid1(VALU_DEP_4)
	v_add_co_u32 v18, vcc_lo, v1, v14
	v_mul_lo_u32 v16, v16, s0
	v_add_co_ci_u32_e32 v19, vcc_lo, v2, v15, vcc_lo
	s_delay_alu instid0(VALU_DEP_4)
	v_add_co_u32 v11, vcc_lo, v1, v11
	v_ashrrev_i32_e32 v14, 31, v13
	v_add_co_ci_u32_e32 v12, vcc_lo, v2, v12, vcc_lo
	v_add_nc_u32_e32 v15, 8, v20
	v_ashrrev_i32_e32 v17, 31, v16
	s_waitcnt lgkmcnt(1)
	global_store_b128 v[18:19], v[3:6], off
	v_lshlrev_b64 v[3:4], 1, v[13:14]
	s_waitcnt lgkmcnt(0)
	global_store_b128 v[11:12], v[7:10], off
	v_mul_lo_u32 v11, v15, s0
	v_add_nc_u32_e32 v7, 10, v20
	v_lshlrev_b64 v[5:6], 1, v[16:17]
	v_add_co_u32 v23, vcc_lo, v1, v3
	v_add_nc_u32_e32 v3, 12, v20
	s_delay_alu instid0(VALU_DEP_4)
	v_mul_lo_u32 v25, v7, s0
	v_ashrrev_i32_e32 v12, 31, v11
	v_add_co_ci_u32_e32 v24, vcc_lo, v2, v4, vcc_lo
	v_add_co_u32 v27, vcc_lo, v1, v5
	v_mul_lo_u32 v29, v3, s0
	v_add_co_ci_u32_e32 v28, vcc_lo, v2, v6, vcc_lo
	ds_load_b128 v[3:6], v21 offset:256
	ds_load_b128 v[7:10], v21 offset:384
	v_lshlrev_b64 v[31:32], 1, v[11:12]
	ds_load_b128 v[11:14], v21 offset:512
	ds_load_b128 v[15:18], v21 offset:640
	;; [unrolled: 1-line block ×3, first 2 shown]
	v_ashrrev_i32_e32 v26, 31, v25
	v_ashrrev_i32_e32 v30, 31, v29
	v_add_co_u32 v31, vcc_lo, v1, v31
	s_delay_alu instid0(VALU_DEP_3) | instskip(NEXT) | instid1(VALU_DEP_3)
	v_lshlrev_b64 v[25:26], 1, v[25:26]
	v_lshlrev_b64 v[29:30], 1, v[29:30]
	v_add_co_ci_u32_e32 v32, vcc_lo, v2, v32, vcc_lo
	s_delay_alu instid0(VALU_DEP_3) | instskip(NEXT) | instid1(VALU_DEP_4)
	v_add_co_u32 v25, vcc_lo, v1, v25
	v_add_co_ci_u32_e32 v26, vcc_lo, v2, v26, vcc_lo
	s_delay_alu instid0(VALU_DEP_4)
	v_add_co_u32 v29, vcc_lo, v1, v29
	v_add_co_ci_u32_e32 v30, vcc_lo, v2, v30, vcc_lo
	s_waitcnt lgkmcnt(4)
	global_store_b128 v[23:24], v[3:6], off
	s_waitcnt lgkmcnt(3)
	global_store_b128 v[27:28], v[7:10], off
	;; [unrolled: 2-line block ×5, first 2 shown]
	s_and_b32 exec_lo, exec_lo, s2
	s_cbranch_execz .LBB380_2
; %bb.18:
	ds_load_b128 v[3:6], v0 offset:896
	s_add_i32 s1, s31, 14
	s_delay_alu instid0(SALU_CYCLE_1) | instskip(NEXT) | instid1(SALU_CYCLE_1)
	s_mul_i32 s0, s1, s0
	s_ashr_i32 s1, s0, 31
	s_delay_alu instid0(SALU_CYCLE_1) | instskip(NEXT) | instid1(SALU_CYCLE_1)
	s_lshl_b64 s[0:1], s[0:1], 1
	v_add_co_u32 v0, vcc_lo, v1, s0
	v_add_co_ci_u32_e32 v1, vcc_lo, s1, v2, vcc_lo
	s_waitcnt lgkmcnt(0)
	global_store_b128 v[0:1], v[3:6], off
	s_nop 0
	s_sendmsg sendmsg(MSG_DEALLOC_VGPRS)
	s_endpgm
	.section	.rodata,"a",@progbits
	.p2align	6, 0x0
	.amdhsa_kernel _Z39paged_attention_ll4mi_QKV_mfma16_kernelIDF16_DF16_LN4vllm18Fp8KVCacheDataTypeE0EDF16_Li32ELi128ELi256ELb0ELi15EL8MFMAType0EEvPKT_PKT0_S8_ifPKiSA_SA_iPKfiiiPfSD_PS3_PT2_iSC_SC_
		.amdhsa_group_segment_fixed_size 17472
		.amdhsa_private_segment_fixed_size 0
		.amdhsa_kernarg_size 400
		.amdhsa_user_sgpr_count 13
		.amdhsa_user_sgpr_dispatch_ptr 0
		.amdhsa_user_sgpr_queue_ptr 0
		.amdhsa_user_sgpr_kernarg_segment_ptr 1
		.amdhsa_user_sgpr_dispatch_id 0
		.amdhsa_user_sgpr_private_segment_size 0
		.amdhsa_wavefront_size32 1
		.amdhsa_uses_dynamic_stack 0
		.amdhsa_enable_private_segment 0
		.amdhsa_system_sgpr_workgroup_id_x 1
		.amdhsa_system_sgpr_workgroup_id_y 1
		.amdhsa_system_sgpr_workgroup_id_z 1
		.amdhsa_system_sgpr_workgroup_info 0
		.amdhsa_system_vgpr_workitem_id 0
		.amdhsa_next_free_vgpr 172
		.amdhsa_next_free_sgpr 39
		.amdhsa_reserve_vcc 1
		.amdhsa_float_round_mode_32 0
		.amdhsa_float_round_mode_16_64 0
		.amdhsa_float_denorm_mode_32 3
		.amdhsa_float_denorm_mode_16_64 3
		.amdhsa_dx10_clamp 1
		.amdhsa_ieee_mode 1
		.amdhsa_fp16_overflow 0
		.amdhsa_workgroup_processor_mode 1
		.amdhsa_memory_ordered 1
		.amdhsa_forward_progress 0
		.amdhsa_shared_vgpr_count 0
		.amdhsa_exception_fp_ieee_invalid_op 0
		.amdhsa_exception_fp_denorm_src 0
		.amdhsa_exception_fp_ieee_div_zero 0
		.amdhsa_exception_fp_ieee_overflow 0
		.amdhsa_exception_fp_ieee_underflow 0
		.amdhsa_exception_fp_ieee_inexact 0
		.amdhsa_exception_int_div_zero 0
	.end_amdhsa_kernel
	.section	.text._Z39paged_attention_ll4mi_QKV_mfma16_kernelIDF16_DF16_LN4vllm18Fp8KVCacheDataTypeE0EDF16_Li32ELi128ELi256ELb0ELi15EL8MFMAType0EEvPKT_PKT0_S8_ifPKiSA_SA_iPKfiiiPfSD_PS3_PT2_iSC_SC_,"axG",@progbits,_Z39paged_attention_ll4mi_QKV_mfma16_kernelIDF16_DF16_LN4vllm18Fp8KVCacheDataTypeE0EDF16_Li32ELi128ELi256ELb0ELi15EL8MFMAType0EEvPKT_PKT0_S8_ifPKiSA_SA_iPKfiiiPfSD_PS3_PT2_iSC_SC_,comdat
.Lfunc_end380:
	.size	_Z39paged_attention_ll4mi_QKV_mfma16_kernelIDF16_DF16_LN4vllm18Fp8KVCacheDataTypeE0EDF16_Li32ELi128ELi256ELb0ELi15EL8MFMAType0EEvPKT_PKT0_S8_ifPKiSA_SA_iPKfiiiPfSD_PS3_PT2_iSC_SC_, .Lfunc_end380-_Z39paged_attention_ll4mi_QKV_mfma16_kernelIDF16_DF16_LN4vllm18Fp8KVCacheDataTypeE0EDF16_Li32ELi128ELi256ELb0ELi15EL8MFMAType0EEvPKT_PKT0_S8_ifPKiSA_SA_iPKfiiiPfSD_PS3_PT2_iSC_SC_
                                        ; -- End function
	.section	.AMDGPU.csdata,"",@progbits
; Kernel info:
; codeLenInByte = 7776
; NumSgprs: 41
; NumVgprs: 172
; ScratchSize: 0
; MemoryBound: 0
; FloatMode: 240
; IeeeMode: 1
; LDSByteSize: 17472 bytes/workgroup (compile time only)
; SGPRBlocks: 5
; VGPRBlocks: 21
; NumSGPRsForWavesPerEU: 41
; NumVGPRsForWavesPerEU: 172
; Occupancy: 8
; WaveLimiterHint : 1
; COMPUTE_PGM_RSRC2:SCRATCH_EN: 0
; COMPUTE_PGM_RSRC2:USER_SGPR: 13
; COMPUTE_PGM_RSRC2:TRAP_HANDLER: 0
; COMPUTE_PGM_RSRC2:TGID_X_EN: 1
; COMPUTE_PGM_RSRC2:TGID_Y_EN: 1
; COMPUTE_PGM_RSRC2:TGID_Z_EN: 1
; COMPUTE_PGM_RSRC2:TIDIG_COMP_CNT: 0
	.section	.text._Z39paged_attention_ll4mi_QKV_mfma16_kernelIDF16_DF16_LN4vllm18Fp8KVCacheDataTypeE0EDF16_Li32ELi128ELi256ELb0ELi16EL8MFMAType0EEvPKT_PKT0_S8_ifPKiSA_SA_iPKfiiiPfSD_PS3_PT2_iSC_SC_,"axG",@progbits,_Z39paged_attention_ll4mi_QKV_mfma16_kernelIDF16_DF16_LN4vllm18Fp8KVCacheDataTypeE0EDF16_Li32ELi128ELi256ELb0ELi16EL8MFMAType0EEvPKT_PKT0_S8_ifPKiSA_SA_iPKfiiiPfSD_PS3_PT2_iSC_SC_,comdat
	.protected	_Z39paged_attention_ll4mi_QKV_mfma16_kernelIDF16_DF16_LN4vllm18Fp8KVCacheDataTypeE0EDF16_Li32ELi128ELi256ELb0ELi16EL8MFMAType0EEvPKT_PKT0_S8_ifPKiSA_SA_iPKfiiiPfSD_PS3_PT2_iSC_SC_ ; -- Begin function _Z39paged_attention_ll4mi_QKV_mfma16_kernelIDF16_DF16_LN4vllm18Fp8KVCacheDataTypeE0EDF16_Li32ELi128ELi256ELb0ELi16EL8MFMAType0EEvPKT_PKT0_S8_ifPKiSA_SA_iPKfiiiPfSD_PS3_PT2_iSC_SC_
	.globl	_Z39paged_attention_ll4mi_QKV_mfma16_kernelIDF16_DF16_LN4vllm18Fp8KVCacheDataTypeE0EDF16_Li32ELi128ELi256ELb0ELi16EL8MFMAType0EEvPKT_PKT0_S8_ifPKiSA_SA_iPKfiiiPfSD_PS3_PT2_iSC_SC_
	.p2align	8
	.type	_Z39paged_attention_ll4mi_QKV_mfma16_kernelIDF16_DF16_LN4vllm18Fp8KVCacheDataTypeE0EDF16_Li32ELi128ELi256ELb0ELi16EL8MFMAType0EEvPKT_PKT0_S8_ifPKiSA_SA_iPKfiiiPfSD_PS3_PT2_iSC_SC_,@function
_Z39paged_attention_ll4mi_QKV_mfma16_kernelIDF16_DF16_LN4vllm18Fp8KVCacheDataTypeE0EDF16_Li32ELi128ELi256ELb0ELi16EL8MFMAType0EEvPKT_PKT0_S8_ifPKiSA_SA_iPKfiiiPfSD_PS3_PT2_iSC_SC_: ; @_Z39paged_attention_ll4mi_QKV_mfma16_kernelIDF16_DF16_LN4vllm18Fp8KVCacheDataTypeE0EDF16_Li32ELi128ELi256ELb0ELi16EL8MFMAType0EEvPKT_PKT0_S8_ifPKiSA_SA_iPKfiiiPfSD_PS3_PT2_iSC_SC_
; %bb.0:
	s_load_b64 s[2:3], s[0:1], 0x30
	s_mov_b32 s30, s13
	s_waitcnt lgkmcnt(0)
	s_cmp_lg_u64 s[2:3], 0
	s_cselect_b32 s6, -1, 0
	s_ashr_i32 s31, s13, 31
	s_cmp_eq_u64 s[2:3], 0
	s_cbranch_scc1 .LBB381_3
; %bb.1:
	s_lshl_b64 s[4:5], s[30:31], 2
	s_delay_alu instid0(SALU_CYCLE_1) | instskip(SKIP_4) | instid1(SALU_CYCLE_1)
	s_add_u32 s4, s2, s4
	s_addc_u32 s5, s3, s5
	s_load_b64 s[4:5], s[4:5], 0x0
	s_waitcnt lgkmcnt(0)
	s_sub_i32 s4, s5, s4
	s_cmp_eq_u32 s4, 1
	s_cselect_b32 s4, -1, 0
	s_delay_alu instid0(SALU_CYCLE_1)
	s_and_not1_b32 vcc_lo, exec_lo, s4
	s_cbranch_vccz .LBB381_4
.LBB381_2:
	s_endpgm
.LBB381_3:
.LBB381_4:
	s_load_b64 s[8:9], s[0:1], 0x28
	s_lshl_b64 s[4:5], s[30:31], 2
	s_waitcnt lgkmcnt(0)
	s_add_u32 s8, s8, s4
	s_addc_u32 s9, s9, s5
	s_lshl_b32 s12, s14, 8
	s_load_b32 s17, s[8:9], 0x0
	s_waitcnt lgkmcnt(0)
	s_cmp_ge_i32 s12, s17
	s_cbranch_scc1 .LBB381_2
; %bb.5:
	s_and_not1_b32 vcc_lo, exec_lo, s6
	s_cbranch_vccnz .LBB381_7
; %bb.6:
	s_add_u32 s2, s2, s4
	s_addc_u32 s3, s3, s5
	s_load_b32 s13, s[2:3], 0x0
	s_branch .LBB381_8
.LBB381_7:
	s_mov_b32 s13, s30
.LBB381_8:
	s_clause 0x2
	s_load_b128 s[8:11], s[0:1], 0x8
	s_load_b64 s[2:3], s[0:1], 0x20
	s_load_b128 s[4:7], s[0:1], 0x48
	v_and_b32_e32 v79, 15, v0
	s_waitcnt lgkmcnt(0)
	s_mov_b32 s7, exec_lo
	s_delay_alu instid0(VALU_DEP_1)
	v_lshlrev_b32_e32 v1, 3, v79
	v_cmpx_lt_u32_e32 0xff, v0
	s_xor_b32 s7, exec_lo, s7
; %bb.9:
	v_mov_b32_e32 v2, 0
; %bb.10:
	s_or_saveexec_b32 s7, s7
	v_lshrrev_b32_e32 v77, 5, v0
	v_and_b32_e32 v80, 31, v0
	v_and_b32_e32 v76, 1, v0
	v_bfe_u32 v75, v0, 4, 1
	s_lshl_b32 s31, s15, 4
	s_xor_b32 exec_lo, exec_lo, s7
	s_cbranch_execz .LBB381_12
; %bb.11:
	s_delay_alu instid0(VALU_DEP_1)
	v_lshl_or_b32 v7, v77, 1, v75
	s_load_b64 s[18:19], s[0:1], 0x0
	s_mul_hi_i32 s21, s13, s4
	s_mul_i32 s20, s13, s4
	v_lshlrev_b32_e32 v4, 1, v1
	v_or_b32_e32 v2, s31, v7
	s_lshl_b64 s[20:21], s[20:21], 1
	v_lshlrev_b32_e32 v7, 6, v7
	v_lshlrev_b32_e32 v8, 10, v76
	s_delay_alu instid0(VALU_DEP_3) | instskip(NEXT) | instid1(VALU_DEP_1)
	v_lshlrev_b32_e32 v2, 7, v2
	v_ashrrev_i32_e32 v3, 31, v2
	s_delay_alu instid0(VALU_DEP_1) | instskip(SKIP_3) | instid1(VALU_DEP_1)
	v_lshlrev_b64 v[2:3], 1, v[2:3]
	s_waitcnt lgkmcnt(0)
	s_add_u32 s4, s18, s20
	s_addc_u32 s13, s19, s21
	v_add_co_u32 v2, vcc_lo, s4, v2
	s_delay_alu instid0(VALU_DEP_2) | instskip(NEXT) | instid1(VALU_DEP_2)
	v_add_co_ci_u32_e32 v3, vcc_lo, s13, v3, vcc_lo
	v_add_co_u32 v2, vcc_lo, v2, v4
	s_delay_alu instid0(VALU_DEP_2) | instskip(SKIP_2) | instid1(VALU_DEP_1)
	v_add_co_ci_u32_e32 v3, vcc_lo, 0, v3, vcc_lo
	global_load_b128 v[3:6], v[2:3], off
	v_lshlrev_b32_e32 v2, 10, v79
	v_and_b32_e32 v2, 0x3800, v2
	s_delay_alu instid0(VALU_DEP_1)
	v_or3_b32 v7, v2, v8, v7
	v_mov_b32_e32 v2, 0
	s_waitcnt vmcnt(0)
	ds_store_b128 v7, v[3:6]
.LBB381_12:
	s_or_b32 exec_lo, exec_lo, s7
	v_and_b32_e32 v3, 0xef, v0
	s_add_i32 s4, s17, 31
	s_clause 0x1
	s_load_b32 s7, s[0:1], 0x38
	s_load_b32 s33, s[0:1], 0x98
	s_ashr_i32 s13, s4, 31
	v_add_nc_u32_e32 v3, s12, v3
	s_lshr_b32 s13, s13, 27
	s_load_b32 s18, s[0:1], 0x1c
	s_add_i32 s4, s4, s13
	s_waitcnt lgkmcnt(0)
	v_ashrrev_i32_e32 v4, 31, v3
	v_cmp_gt_i32_e32 vcc_lo, s17, v3
	s_ashr_i32 s4, s4, 5
	s_barrier
	s_add_i32 s4, s4, -1
	v_lshrrev_b32_e32 v5, 27, v4
	v_or_b32_e32 v4, 16, v3
	buffer_gl0_inv
	v_lshlrev_b64 v[73:74], 1, v[1:2]
	v_lshlrev_b32_e32 v78, 6, v79
	v_add_nc_u32_e32 v6, v3, v5
	v_add_nc_u32_e32 v5, v4, v5
	s_mul_i32 s20, s30, s7
	s_delay_alu instid0(SALU_CYCLE_1) | instskip(NEXT) | instid1(VALU_DEP_2)
	s_ashr_i32 s21, s20, 31
	v_ashrrev_i32_e32 v6, 5, v6
	s_delay_alu instid0(VALU_DEP_2) | instskip(SKIP_1) | instid1(SALU_CYCLE_1)
	v_ashrrev_i32_e32 v5, 5, v5
	s_lshl_b64 s[20:21], s[20:21], 2
	s_add_u32 s13, s2, s20
	s_delay_alu instid0(VALU_DEP_2) | instskip(SKIP_3) | instid1(SALU_CYCLE_1)
	v_cndmask_b32_e32 v3, s4, v6, vcc_lo
	v_cmp_gt_i32_e32 vcc_lo, s17, v4
	s_addc_u32 s16, s3, s21
	s_mul_i32 s2, s15, s6
	s_ashr_i32 s3, s2, 31
	v_cndmask_b32_e32 v5, s4, v5, vcc_lo
	v_ashrrev_i32_e32 v4, 31, v3
	s_lshl_b64 s[2:3], s[2:3], 1
	s_delay_alu instid0(SALU_CYCLE_1) | instskip(NEXT) | instid1(VALU_DEP_2)
	s_add_u32 s15, s8, s2
	v_ashrrev_i32_e32 v6, 31, v5
	s_delay_alu instid0(VALU_DEP_2) | instskip(SKIP_2) | instid1(VALU_DEP_2)
	v_lshlrev_b64 v[3:4], 2, v[3:4]
	s_addc_u32 s19, s9, s3
	s_lshl_b32 s6, s14, 3
	v_lshlrev_b64 v[5:6], 2, v[5:6]
	s_ashr_i32 s7, s6, 31
	s_delay_alu instid0(VALU_DEP_2) | instskip(SKIP_1) | instid1(VALU_DEP_3)
	v_add_co_u32 v3, vcc_lo, s13, v3
	v_add_co_ci_u32_e32 v4, vcc_lo, s16, v4, vcc_lo
	v_add_co_u32 v5, vcc_lo, s13, v5
	s_delay_alu instid0(VALU_DEP_4)
	v_add_co_ci_u32_e32 v6, vcc_lo, s16, v6, vcc_lo
	s_lshl_b64 s[6:7], s[6:7], 2
	s_clause 0x1
	global_load_b32 v7, v[3:4], off
	global_load_b32 v8, v[5:6], off
	s_add_u32 s6, s13, s6
	s_addc_u32 s7, s16, s7
	s_or_b32 s8, s12, 32
	s_delay_alu instid0(SALU_CYCLE_1) | instskip(SKIP_2) | instid1(SALU_CYCLE_1)
	s_ashr_i32 s9, s8, 5
	s_cmp_lt_i32 s8, s17
	s_cselect_b32 s8, s9, s4
	s_ashr_i32 s9, s8, 31
	s_delay_alu instid0(SALU_CYCLE_1) | instskip(NEXT) | instid1(SALU_CYCLE_1)
	s_lshl_b64 s[8:9], s[8:9], 2
	s_add_u32 s8, s13, s8
	s_addc_u32 s9, s16, s9
	s_or_b32 s20, s12, 64
	s_delay_alu instid0(SALU_CYCLE_1) | instskip(SKIP_2) | instid1(SALU_CYCLE_1)
	s_ashr_i32 s21, s20, 5
	s_cmp_lt_i32 s20, s17
	s_cselect_b32 s20, s21, s4
	s_ashr_i32 s21, s20, 31
	s_delay_alu instid0(SALU_CYCLE_1) | instskip(NEXT) | instid1(SALU_CYCLE_1)
	s_lshl_b64 s[20:21], s[20:21], 2
	;; [unrolled: 10-line block ×5, first 2 shown]
	s_add_u32 s26, s13, s26
	s_addc_u32 s27, s16, s27
	s_clause 0x5
	s_load_b32 s28, s[6:7], 0x0
	s_load_b32 s29, s[8:9], 0x0
	;; [unrolled: 1-line block ×6, first 2 shown]
	s_or_b32 s6, s12, 0xc0
	s_mov_b32 s20, 0
	s_ashr_i32 s7, s6, 5
	s_cmp_lt_i32 s6, s17
	s_mov_b32 s27, s20
	s_cselect_b32 s6, s7, s4
	s_mov_b32 s21, s20
	s_ashr_i32 s7, s6, 31
	s_mov_b32 s22, s20
	s_lshl_b64 s[6:7], s[6:7], 2
	s_mov_b32 s23, s20
	s_add_u32 s6, s13, s6
	s_addc_u32 s7, s16, s7
	s_mov_b32 s24, s20
	s_mov_b32 s25, s20
	;; [unrolled: 1-line block ×3, first 2 shown]
	s_delay_alu instid0(SALU_CYCLE_1)
	v_dual_mov_b32 v136, s27 :: v_dual_mov_b32 v135, s26
	v_dual_mov_b32 v134, s25 :: v_dual_mov_b32 v133, s24
	v_mov_b32_e32 v130, s21
	v_dual_mov_b32 v132, s23 :: v_dual_mov_b32 v131, s22
	v_mov_b32_e32 v129, s20
	s_waitcnt lgkmcnt(0)
	s_mul_hi_i32 s9, s28, s5
	s_mul_i32 s8, s28, s5
	s_mul_hi_i32 s21, s29, s5
	s_mul_i32 s20, s29, s5
	;; [unrolled: 2-line block ×5, first 2 shown]
	s_waitcnt vmcnt(1)
	v_mad_i64_i32 v[3:4], null, v7, s5, 0
	s_waitcnt vmcnt(0)
	v_mad_i64_i32 v[5:6], null, v8, s5, 0
	s_delay_alu instid0(VALU_DEP_2) | instskip(NEXT) | instid1(VALU_DEP_2)
	v_lshlrev_b64 v[3:4], 1, v[3:4]
	v_lshlrev_b64 v[1:2], 1, v[5:6]
	s_delay_alu instid0(VALU_DEP_2) | instskip(NEXT) | instid1(VALU_DEP_3)
	v_add_co_u32 v3, vcc_lo, s15, v3
	v_add_co_ci_u32_e32 v4, vcc_lo, s19, v4, vcc_lo
	s_delay_alu instid0(VALU_DEP_3) | instskip(NEXT) | instid1(VALU_DEP_4)
	v_add_co_u32 v1, vcc_lo, s15, v1
	v_add_co_ci_u32_e32 v2, vcc_lo, s19, v2, vcc_lo
	s_delay_alu instid0(VALU_DEP_4) | instskip(NEXT) | instid1(VALU_DEP_4)
	v_add_co_u32 v57, vcc_lo, v3, v73
	v_add_co_ci_u32_e32 v58, vcc_lo, v4, v74, vcc_lo
	s_delay_alu instid0(VALU_DEP_4) | instskip(NEXT) | instid1(VALU_DEP_4)
	v_add_co_u32 v59, vcc_lo, v1, v73
	v_add_co_ci_u32_e32 v60, vcc_lo, v2, v74, vcc_lo
	s_clause 0xf
	global_load_b128 v[1:4], v[57:58], off
	global_load_b128 v[5:8], v[57:58], off offset:512
	global_load_b128 v[9:12], v[59:60], off offset:256
	;; [unrolled: 1-line block ×15, first 2 shown]
	v_add_co_u32 v157, vcc_lo, 0x1000, v57
	v_add_co_ci_u32_e32 v158, vcc_lo, 0, v58, vcc_lo
	v_add_co_u32 v165, vcc_lo, 0x1000, v59
	v_add_co_ci_u32_e32 v166, vcc_lo, 0, v60, vcc_lo
	s_clause 0x7
	global_load_b128 v[89:92], v[157:158], off
	global_load_b128 v[93:96], v[157:158], off offset:512
	global_load_b128 v[97:100], v[165:166], off offset:256
	;; [unrolled: 1-line block ×7, first 2 shown]
	ds_load_b128 v[57:60], v78
	ds_load_b128 v[61:64], v78 offset:1024
	s_clause 0x1
	global_load_b128 v[121:124], v[157:158], off offset:2048
	global_load_b128 v[125:128], v[157:158], off offset:2560
	ds_load_b128 v[65:68], v78 offset:2048
	ds_load_b128 v[69:72], v78 offset:3072
	s_clause 0x5
	global_load_b128 v[145:148], v[165:166], off offset:2304
	global_load_b128 v[149:152], v[165:166], off offset:2816
	;; [unrolled: 1-line block ×6, first 2 shown]
	s_or_b32 s15, s12, 0xe0
	s_delay_alu instid0(SALU_CYCLE_1) | instskip(SKIP_2) | instid1(SALU_CYCLE_1)
	s_ashr_i32 s19, s15, 5
	s_cmp_lt_i32 s15, s17
	s_cselect_b32 s22, s19, s4
	s_ashr_i32 s23, s22, 31
	s_delay_alu instid0(SALU_CYCLE_1) | instskip(NEXT) | instid1(SALU_CYCLE_1)
	s_lshl_b64 s[22:23], s[22:23], 2
	s_add_u32 s22, s13, s22
	s_addc_u32 s23, s16, s23
	s_add_i32 s15, s12, 0x100
	s_delay_alu instid0(SALU_CYCLE_1) | instskip(SKIP_2) | instid1(SALU_CYCLE_1)
	s_ashr_i32 s19, s15, 5
	s_cmp_lt_i32 s15, s17
	s_cselect_b32 s28, s19, s4
	s_ashr_i32 s29, s28, 31
	s_delay_alu instid0(SALU_CYCLE_1) | instskip(NEXT) | instid1(SALU_CYCLE_1)
	s_lshl_b64 s[28:29], s[28:29], 2
	s_add_u32 s28, s13, s28
	s_addc_u32 s29, s16, s29
	s_add_u32 s4, s10, s2
	s_addc_u32 s19, s11, s3
	s_lshl_b64 s[2:3], s[8:9], 1
	s_lshl_b64 s[8:9], s[20:21], 1
	;; [unrolled: 1-line block ×4, first 2 shown]
	s_waitcnt vmcnt(30) lgkmcnt(2)
	v_wmma_f32_16x16x16_f16 v[137:144], v[1:8], v[57:64], v[129:136]
	ds_load_b128 v[1:4], v78 offset:4096
	ds_load_b128 v[5:8], v78 offset:5120
	s_waitcnt vmcnt(28)
	v_wmma_f32_16x16x16_f16 v[129:136], v[9:16], v[57:64], v[129:136]
	ds_load_b128 v[9:12], v78 offset:6144
	ds_load_b128 v[13:16], v78 offset:7168
	s_waitcnt vmcnt(26) lgkmcnt(4)
	v_wmma_f32_16x16x16_f16 v[137:144], v[17:24], v[65:72], v[137:144]
	ds_load_b128 v[17:20], v78 offset:8192
	ds_load_b128 v[21:24], v78 offset:9216
	s_load_b32 s15, s[6:7], 0x0
	s_waitcnt vmcnt(24)
	v_wmma_f32_16x16x16_f16 v[129:136], v[25:32], v[65:72], v[129:136]
	v_lshl_or_b32 v25, v77, 10, v78
	s_mul_hi_i32 s7, s36, s5
	s_mul_i32 s6, s36, s5
	s_clause 0x1
	s_load_b32 s13, s[22:23], 0x0
	s_load_b32 s16, s[28:29], 0x0
	s_lshl_b64 s[6:7], s[6:7], 1
	v_add_co_u32 v169, s4, s4, v25
	s_delay_alu instid0(VALU_DEP_1) | instskip(SKIP_1) | instid1(VALU_DEP_2)
	v_add_co_ci_u32_e64 v170, null, s19, 0, s4
	s_lshl_b64 s[22:23], s[34:35], 1
	v_add_co_u32 v25, vcc_lo, v169, s2
	s_delay_alu instid0(VALU_DEP_2)
	v_add_co_ci_u32_e32 v26, vcc_lo, s3, v170, vcc_lo
	s_waitcnt vmcnt(22) lgkmcnt(0)
	v_wmma_f32_16x16x16_f16 v[137:144], v[33:40], v[1:8], v[137:144]
	s_waitcnt vmcnt(20)
	v_wmma_f32_16x16x16_f16 v[129:136], v[41:48], v[1:8], v[129:136]
	v_add_co_u32 v1, vcc_lo, v169, s8
	v_add_co_ci_u32_e32 v2, vcc_lo, s9, v170, vcc_lo
	v_add_co_u32 v3, vcc_lo, v169, s10
	v_add_co_ci_u32_e32 v4, vcc_lo, s11, v170, vcc_lo
	;; [unrolled: 2-line block ×3, first 2 shown]
	v_add_co_u32 v7, vcc_lo, v169, s6
	s_mul_hi_i32 s25, s15, s5
	s_mul_i32 s24, s15, s5
	v_add_co_ci_u32_e32 v8, vcc_lo, s7, v170, vcc_lo
	s_clause 0x1
	global_load_b128 v[65:68], v[25:26], off
	global_load_b128 v[69:72], v[25:26], off offset:16
	s_waitcnt vmcnt(20)
	v_wmma_f32_16x16x16_f16 v[137:144], v[49:56], v[9:16], v[137:144]
	s_clause 0x1
	global_load_b128 v[57:60], v[1:2], off
	global_load_b128 v[61:64], v[1:2], off offset:16
	s_waitcnt vmcnt(20)
	v_wmma_f32_16x16x16_f16 v[129:136], v[81:88], v[9:16], v[129:136]
	s_clause 0x5
	global_load_b128 v[49:52], v[3:4], off
	global_load_b128 v[53:56], v[3:4], off offset:16
	global_load_b128 v[33:36], v[5:6], off
	global_load_b128 v[37:40], v[5:6], off offset:16
	;; [unrolled: 2-line block ×3, first 2 shown]
	v_add_co_u32 v5, vcc_lo, v169, s22
	s_lshl_b64 s[2:3], s[24:25], 1
	v_add_co_ci_u32_e32 v6, vcc_lo, s23, v170, vcc_lo
	v_add_co_u32 v29, vcc_lo, v169, s2
	v_add_co_ci_u32_e32 v30, vcc_lo, s3, v170, vcc_lo
	s_waitcnt vmcnt(24)
	v_wmma_f32_16x16x16_f16 v[137:144], v[89:96], v[17:24], v[137:144]
	s_clause 0x1
	global_load_b128 v[1:4], v[5:6], off
	global_load_b128 v[5:8], v[5:6], off offset:16
	s_waitcnt vmcnt(24)
	v_wmma_f32_16x16x16_f16 v[129:136], v[97:104], v[17:24], v[129:136]
	s_clause 0x1
	global_load_b128 v[25:28], v[29:30], off
	global_load_b128 v[29:32], v[29:30], off offset:16
	ds_load_b128 v[17:20], v78 offset:10240
	ds_load_b128 v[21:24], v78 offset:11264
	s_mul_hi_i32 s7, s13, s5
	s_mul_i32 s6, s13, s5
	v_and_b32_e32 v89, 0xe0, v0
	s_lshl_b64 s[2:3], s[6:7], 1
	v_mbcnt_lo_u32_b32 v97, -1, 0
	v_add_co_u32 v45, vcc_lo, v169, s2
	v_add_co_ci_u32_e32 v46, vcc_lo, s3, v170, vcc_lo
	s_mul_hi_i32 s3, s16, s5
	s_mul_i32 s2, s16, s5
	s_clause 0x1
	global_load_b128 v[41:44], v[45:46], off
	global_load_b128 v[45:48], v[45:46], off offset:16
	s_lshl_b64 s[2:3], s[2:3], 1
	v_add_nc_u32_e32 v98, s12, v89
	v_add_co_u32 v81, vcc_lo, v169, s2
	v_add_co_ci_u32_e32 v82, vcc_lo, s3, v170, vcc_lo
	s_waitcnt vmcnt(26) lgkmcnt(0)
	v_wmma_f32_16x16x16_f16 v[137:144], v[105:112], v[17:24], v[137:144]
	s_waitcnt vmcnt(24)
	v_wmma_f32_16x16x16_f16 v[129:136], v[113:120], v[17:24], v[129:136]
	s_clause 0x1
	global_load_b128 v[17:20], v[81:82], off
	global_load_b128 v[21:24], v[81:82], off offset:16
	ds_load_b128 v[81:84], v78 offset:12288
	ds_load_b128 v[85:88], v78 offset:13312
	;; [unrolled: 1-line block ×4, first 2 shown]
	v_xor_b32_e32 v99, 16, v97
	v_or_b32_e32 v98, v98, v75
	s_waitcnt vmcnt(0) lgkmcnt(0)
	s_barrier
	buffer_gl0_inv
	v_cmp_gt_i32_e32 vcc_lo, 32, v99
	v_or_b32_e32 v100, 4, v98
	v_or_b32_e32 v101, 22, v98
	;; [unrolled: 1-line block ×5, first 2 shown]
	v_cmp_gt_i32_e64 s3, s17, v100
	v_cmp_gt_i32_e64 s12, s17, v101
	v_or_b32_e32 v105, 30, v98
	v_cmp_gt_i32_e64 s13, s17, v102
	v_cmp_gt_i32_e64 s15, s17, v103
	;; [unrolled: 1-line block ×3, first 2 shown]
	v_wmma_f32_16x16x16_f16 v[137:144], v[121:128], v[81:88], v[137:144]
	v_wmma_f32_16x16x16_f16 v[129:136], v[145:152], v[81:88], v[129:136]
	v_or_b32_e32 v81, 6, v98
	v_or_b32_e32 v82, 8, v98
	;; [unrolled: 1-line block ×3, first 2 shown]
	v_wmma_f32_16x16x16_f16 v[137:144], v[153:160], v[89:96], v[137:144]
	v_cndmask_b32_e32 v97, v97, v99, vcc_lo
	v_or_b32_e32 v99, 2, v98
	v_wmma_f32_16x16x16_f16 v[129:136], v[161:168], v[89:96], v[129:136]
	v_cmp_gt_i32_e32 vcc_lo, s17, v98
	v_dual_mul_f32 v96, s18, v137 :: v_dual_mul_f32 v95, s18, v138
	s_delay_alu instid0(VALU_DEP_4) | instskip(NEXT) | instid1(VALU_DEP_4)
	v_cmp_gt_i32_e64 s2, s17, v99
	v_mul_f32_e32 v110, s18, v132
	v_dual_mul_f32 v89, s18, v144 :: v_dual_mul_f32 v94, s18, v139
	v_dual_mul_f32 v93, s18, v140 :: v_dual_mul_f32 v108, s18, v134
	v_cndmask_b32_e32 v96, 0xff7fffff, v96, vcc_lo
	v_cndmask_b32_e64 v95, 0xff7fffff, v95, s2
	v_cmp_gt_i32_e64 s4, s17, v81
	v_or_b32_e32 v84, 12, v98
	v_or_b32_e32 v85, 14, v98
	v_dual_mul_f32 v91, s18, v142 :: v_dual_mul_f32 v106, s18, v136
	v_mul_f32_e32 v92, s18, v141
	v_cndmask_b32_e64 v94, 0xff7fffff, v94, s3
	v_cndmask_b32_e64 v81, 0xff7fffff, v93, s4
	v_max3_f32 v93, v96, 0xff7fffff, v95
	v_cmp_gt_i32_e64 s5, s17, v82
	v_cmp_gt_i32_e64 s6, s17, v83
	v_or_b32_e32 v86, 16, v98
	v_or_b32_e32 v87, 18, v98
	v_mul_f32_e32 v90, s18, v143
	v_cndmask_b32_e64 v82, 0xff7fffff, v92, s5
	v_cndmask_b32_e64 v83, 0xff7fffff, v91, s6
	v_max3_f32 v81, v93, v94, v81
	v_cmp_gt_i32_e64 s7, s17, v84
	v_cmp_gt_i32_e64 s8, s17, v85
	v_or_b32_e32 v88, 20, v98
	v_dual_mul_f32 v107, s18, v135 :: v_dual_mul_f32 v112, s18, v130
	v_mul_f32_e32 v113, s18, v129
	v_cndmask_b32_e64 v84, 0xff7fffff, v90, s7
	v_cndmask_b32_e64 v85, 0xff7fffff, v89, s8
	v_max3_f32 v81, v81, v82, v83
	v_cmp_gt_i32_e64 s9, s17, v86
	v_cmp_gt_i32_e64 s10, s17, v87
	v_mul_f32_e32 v111, s18, v131
	v_cmp_gt_i32_e64 s11, s17, v88
	v_max3_f32 v81, v81, v84, v85
	v_cndmask_b32_e64 v82, 0xff7fffff, v113, s9
	v_cndmask_b32_e64 v83, 0xff7fffff, v112, s10
	v_mul_f32_e32 v109, s18, v133
	v_cndmask_b32_e64 v84, 0xff7fffff, v111, s11
	v_cndmask_b32_e64 v85, 0xff7fffff, v110, s12
	v_cmp_gt_i32_e64 s17, s17, v105
	v_max3_f32 v81, v81, v82, v83
	v_cndmask_b32_e64 v82, 0xff7fffff, v109, s13
	v_cndmask_b32_e64 v83, 0xff7fffff, v108, s15
	s_delay_alu instid0(VALU_DEP_3) | instskip(SKIP_2) | instid1(VALU_DEP_3)
	v_max3_f32 v81, v81, v84, v85
	v_cndmask_b32_e64 v84, 0xff7fffff, v107, s16
	v_cndmask_b32_e64 v85, 0xff7fffff, v106, s17
	v_max3_f32 v81, v81, v82, v83
	v_lshlrev_b32_e32 v83, 2, v97
	s_delay_alu instid0(VALU_DEP_2) | instskip(SKIP_3) | instid1(VALU_DEP_1)
	v_max3_f32 v81, v81, v84, v85
	ds_bpermute_b32 v82, v83, v81
	s_waitcnt lgkmcnt(0)
	v_max_f32_e32 v82, v82, v82
	v_max_f32_e32 v81, v81, v82
	s_delay_alu instid0(VALU_DEP_1) | instskip(NEXT) | instid1(VALU_DEP_1)
	v_fma_f32 v88, s18, v141, -v81
	v_mul_f32_e32 v88, 0x3fb8aa3b, v88
	v_fma_f32 v82, s18, v137, -v81
	v_fma_f32 v84, s18, v138, -v81
	;; [unrolled: 1-line block ×5, first 2 shown]
	v_mul_f32_e32 v82, 0x3fb8aa3b, v82
	v_mul_f32_e32 v84, 0x3fb8aa3b, v84
	v_exp_f32_e32 v92, v88
	s_delay_alu instid0(VALU_DEP_3) | instskip(NEXT) | instid1(VALU_DEP_3)
	v_dual_mul_f32 v86, 0x3fb8aa3b, v86 :: v_dual_mul_f32 v91, 0x3fb8aa3b, v91
	v_exp_f32_e32 v82, v82
	s_delay_alu instid0(VALU_DEP_2) | instskip(SKIP_1) | instid1(VALU_DEP_2)
	v_exp_f32_e32 v84, v84
	v_fma_f32 v95, s18, v132, -v81
	v_exp_f32_e32 v90, v86
	v_exp_f32_e32 v93, v91
	v_fma_f32 v100, s18, v136, -v81
	v_fma_f32 v98, s18, v134, -v81
	v_cndmask_b32_e64 v91, 0, v92, s5
	v_fma_f32 v92, s18, v130, -v81
	v_mul_f32_e32 v97, 0x3fb8aa3b, v95
	v_cndmask_b32_e32 v87, 0, v82, vcc_lo
	v_mul_f32_e32 v85, 0x3fb8aa3b, v85
	v_cndmask_b32_e64 v86, 0, v84, s2
	v_fma_f32 v82, s18, v142, -v81
	v_cndmask_b32_e64 v88, 0, v90, s4
	v_add_f32_e32 v84, 0, v87
	v_exp_f32_e32 v85, v85
	v_fma_f32 v90, s18, v129, -v81
	v_mul_f32_e32 v82, 0x3fb8aa3b, v82
	v_mul_f32_e32 v92, 0x3fb8aa3b, v92
	v_exp_f32_e32 v99, v97
	v_cndmask_b32_e64 v93, 0, v93, s7
	v_mul_f32_e32 v98, 0x3fb8aa3b, v98
	v_exp_f32_e32 v82, v82
	v_exp_f32_e32 v96, v92
	s_mov_b32 s2, exec_lo
	v_cndmask_b32_e64 v89, 0, v85, s3
	v_fma_f32 v85, s18, v144, -v81
	v_add_f32_e32 v84, v84, v86
	v_exp_f32_e32 v98, v98
	s_delay_alu instid0(VALU_DEP_2) | instskip(NEXT) | instid1(VALU_DEP_2)
	v_mul_f32_e32 v85, 0x3fb8aa3b, v85
	v_add_f32_e32 v84, v84, v89
	s_delay_alu instid0(VALU_DEP_2) | instskip(NEXT) | instid1(VALU_DEP_1)
	v_exp_f32_e32 v85, v85
	v_add_f32_e32 v84, v84, v88
	s_waitcnt_depctr 0xfff
	v_cndmask_b32_e64 v98, 0, v98, s15
	v_cndmask_b32_e64 v92, 0, v85, s8
	v_fma_f32 v85, s18, v133, -v81
	v_mul_f32_e32 v94, 0x3fb8aa3b, v90
	v_cndmask_b32_e64 v90, 0, v82, s6
	v_add_f32_e32 v82, v84, v91
	v_fma_f32 v84, s18, v131, -v81
	v_mul_f32_e32 v85, 0x3fb8aa3b, v85
	v_exp_f32_e32 v94, v94
	s_delay_alu instid0(VALU_DEP_2) | instskip(NEXT) | instid1(VALU_DEP_2)
	v_mul_f32_e32 v84, 0x3fb8aa3b, v84
	v_exp_f32_e32 v85, v85
	s_delay_alu instid0(VALU_DEP_1) | instskip(NEXT) | instid1(TRANS32_DEP_3)
	v_exp_f32_e32 v84, v84
	v_cndmask_b32_e64 v95, 0, v94, s9
	v_cndmask_b32_e64 v94, 0, v96, s10
	v_fma_f32 v96, s18, v135, -v81
	s_waitcnt_depctr 0xfff
	v_cndmask_b32_e64 v97, 0, v84, s11
	v_mul_f32_e32 v84, 0x3fb8aa3b, v96
	v_cndmask_b32_e64 v96, 0, v99, s12
	v_cndmask_b32_e64 v99, 0, v85, s13
	v_dual_mul_f32 v85, 0x3fb8aa3b, v100 :: v_dual_add_f32 v82, v82, v90
	s_delay_alu instid0(VALU_DEP_4) | instskip(NEXT) | instid1(VALU_DEP_1)
	v_exp_f32_e32 v84, v84
	v_exp_f32_e32 v85, v85
	s_delay_alu instid0(VALU_DEP_1) | instskip(NEXT) | instid1(VALU_DEP_1)
	v_add_f32_e32 v82, v82, v93
	v_add_f32_e32 v82, v82, v92
	s_waitcnt_depctr 0xfff
	v_cndmask_b32_e64 v101, 0, v84, s16
	v_cndmask_b32_e64 v100, 0, v85, s17
	v_add_f32_e32 v82, v82, v95
	s_delay_alu instid0(VALU_DEP_1) | instskip(NEXT) | instid1(VALU_DEP_1)
	v_add_f32_e32 v82, v82, v94
	v_add_f32_e32 v82, v82, v97
	s_delay_alu instid0(VALU_DEP_1) | instskip(NEXT) | instid1(VALU_DEP_1)
	v_add_f32_e32 v82, v82, v96
	v_add_f32_e32 v82, v82, v99
	s_delay_alu instid0(VALU_DEP_1) | instskip(NEXT) | instid1(VALU_DEP_1)
	v_add_f32_e32 v82, v82, v98
	v_add_f32_e32 v82, v82, v101
	s_delay_alu instid0(VALU_DEP_1)
	v_add_f32_e32 v82, v82, v100
	ds_bpermute_b32 v83, v83, v82
	v_cmpx_gt_u32_e32 16, v80
	s_cbranch_execz .LBB381_14
; %bb.13:
	v_mul_u32_u24_e32 v80, 0x44, v77
	s_waitcnt lgkmcnt(0)
	v_add_f32_e32 v82, v82, v83
	s_delay_alu instid0(VALU_DEP_2) | instskip(NEXT) | instid1(VALU_DEP_1)
	v_lshl_add_u32 v80, v79, 2, v80
	v_add_nc_u32_e32 v80, 0x4000, v80
	ds_store_2addr_b32 v80, v81, v82 offset1:136
.LBB381_14:
	s_or_b32 exec_lo, exec_lo, s2
	v_lshlrev_b32_e32 v79, 2, v79
	s_load_b32 s34, s[0:1], 0x94
	s_waitcnt lgkmcnt(0)
	s_barrier
	buffer_gl0_inv
	v_add_nc_u32_e32 v83, 0x4000, v79
	v_cmp_eq_u32_e32 vcc_lo, 1, v77
	v_cmp_eq_u32_e64 s2, 2, v77
	v_cmp_eq_u32_e64 s3, 3, v77
	;; [unrolled: 1-line block ×3, first 2 shown]
	ds_load_2addr_b32 v[79:80], v83 offset1:17
	ds_load_2addr_b32 v[81:82], v83 offset0:34 offset1:51
	ds_load_2addr_b32 v[102:103], v83 offset0:68 offset1:85
	;; [unrolled: 1-line block ×3, first 2 shown]
	v_cmp_eq_u32_e64 s5, 7, v77
	s_waitcnt lgkmcnt(3)
	v_max3_f32 v84, v79, 0xff7fffff, v80
	s_waitcnt lgkmcnt(2)
	s_delay_alu instid0(VALU_DEP_1) | instskip(SKIP_1) | instid1(VALU_DEP_1)
	v_max3_f32 v84, v84, v81, v82
	s_waitcnt lgkmcnt(1)
	v_max3_f32 v84, v84, v102, v103
	s_waitcnt lgkmcnt(0)
	s_delay_alu instid0(VALU_DEP_1) | instskip(NEXT) | instid1(VALU_DEP_1)
	v_max3_f32 v84, v84, v104, v105
	v_sub_f32_e32 v102, v102, v84
	ds_load_2addr_b32 v[106:107], v83 offset0:136 offset1:153
	v_sub_f32_e32 v79, v79, v84
	v_dual_sub_f32 v109, v82, v84 :: v_dual_mul_f32 v112, 0x3fb8aa3b, v102
	s_delay_alu instid0(VALU_DEP_2) | instskip(SKIP_3) | instid1(VALU_DEP_1)
	v_dual_sub_f32 v85, v80, v84 :: v_dual_mul_f32 v108, 0x3fb8aa3b, v79
	ds_load_2addr_b32 v[79:80], v83 offset0:170 offset1:187
	v_mul_f32_e32 v85, 0x3fb8aa3b, v85
	v_exp_f32_e32 v108, v108
	v_exp_f32_e32 v111, v85
	v_mul_f32_e32 v109, 0x3fb8aa3b, v109
	s_waitcnt lgkmcnt(1)
	s_waitcnt_depctr 0xfff
	v_fma_f32 v85, v108, v106, 0
	v_sub_f32_e32 v106, v103, v84
	v_sub_f32_e32 v81, v81, v84
	v_exp_f32_e32 v109, v109
	ds_load_2addr_b32 v[102:103], v83 offset0:238 offset1:255
	v_dual_fmac_f32 v85, v111, v107 :: v_dual_mul_f32 v110, 0x3fb8aa3b, v81
	ds_load_2addr_b32 v[81:82], v83 offset0:204 offset1:221
	v_dual_sub_f32 v83, v104, v84 :: v_dual_mul_f32 v104, 0x3fb8aa3b, v106
	v_exp_f32_e32 v106, v112
	v_exp_f32_e32 v110, v110
	s_waitcnt lgkmcnt(0)
	s_delay_alu instid0(VALU_DEP_1)
	v_mul_f32_e32 v83, 0x3fb8aa3b, v83
	v_exp_f32_e32 v104, v104
	s_barrier
	buffer_gl0_inv
	v_fmac_f32_e32 v85, v110, v79
	v_sub_f32_e32 v79, v105, v84
	v_exp_f32_e32 v105, v83
	s_delay_alu instid0(VALU_DEP_2) | instskip(NEXT) | instid1(VALU_DEP_2)
	v_fmac_f32_e32 v85, v109, v80
	v_mul_f32_e32 v79, 0x3fb8aa3b, v79
	s_delay_alu instid0(VALU_DEP_2) | instskip(NEXT) | instid1(VALU_DEP_2)
	v_dual_cndmask_b32 v80, v108, v111 :: v_dual_fmac_f32 v85, v106, v81
	v_exp_f32_e32 v107, v79
	s_delay_alu instid0(VALU_DEP_1) | instskip(SKIP_2) | instid1(VALU_DEP_1)
	v_fmac_f32_e32 v85, v104, v82
	s_waitcnt_depctr 0xfff
	v_fmac_f32_e32 v85, v105, v102
	v_fmac_f32_e32 v85, v107, v103
	s_delay_alu instid0(VALU_DEP_1) | instskip(NEXT) | instid1(VALU_DEP_1)
	v_add_f32_e32 v102, 0x358637bd, v85
	v_div_scale_f32 v103, null, v102, v102, 1.0
	v_div_scale_f32 v108, vcc_lo, 1.0, v102, 1.0
	s_delay_alu instid0(VALU_DEP_2) | instskip(SKIP_2) | instid1(VALU_DEP_1)
	v_rcp_f32_e32 v112, v103
	s_waitcnt_depctr 0xfff
	v_fma_f32 v79, -v103, v112, 1.0
	v_fmac_f32_e32 v112, v79, v112
	v_cndmask_b32_e64 v79, v80, v110, s2
	v_cmp_eq_u32_e64 s2, 4, v77
	v_lshl_or_b32 v80, v77, 11, v78
	s_delay_alu instid0(VALU_DEP_4) | instskip(NEXT) | instid1(VALU_DEP_4)
	v_mul_f32_e32 v110, v108, v112
	v_cndmask_b32_e64 v81, v79, v109, s3
	v_cmp_eq_u32_e64 s3, 6, v77
	s_delay_alu instid0(VALU_DEP_4) | instskip(SKIP_3) | instid1(VALU_DEP_3)
	v_lshl_or_b32 v77, v75, 4, v80
	v_lshlrev_b32_e32 v79, 2, v75
	v_fma_f32 v82, -v103, v110, v108
	v_cndmask_b32_e64 v83, v81, v106, s2
	v_or_b32_e32 v81, 1, v79
	s_delay_alu instid0(VALU_DEP_3) | instskip(NEXT) | instid1(VALU_DEP_3)
	v_fmac_f32_e32 v110, v82, v112
	v_cndmask_b32_e64 v104, v83, v104, s4
	v_or_b32_e32 v83, 2, v79
	v_or_b32_e32 v82, 3, v79
	v_cmp_eq_u32_e64 s2, 1, v79
	v_fma_f32 v103, -v103, v110, v108
	v_cndmask_b32_e64 v104, v104, v105, s3
	v_cmp_eq_u32_e64 s8, 1, v81
	v_cmp_eq_u32_e64 s9, 1, v83
	;; [unrolled: 1-line block ×3, first 2 shown]
	v_div_fmas_f32 v103, v103, v112, v110
	v_cndmask_b32_e64 v104, v104, v107, s5
	v_cmp_eq_u32_e32 vcc_lo, 2, v79
	v_cmp_eq_u32_e64 s11, 2, v81
	v_cmp_eq_u32_e64 s13, 2, v83
	v_div_fixup_f32 v102, v103, v102, 1.0
	v_cmp_eq_u32_e64 s15, 2, v82
	v_cmp_eq_u32_e64 s17, 3, v82
	;; [unrolled: 1-line block ×4, first 2 shown]
	v_mul_f32_e32 v110, v104, v102
	v_cmp_eq_u32_e64 s16, 3, v83
	v_cmp_eq_u32_e64 s21, 4, v82
	v_cmp_eq_u32_e64 s4, 4, v79
	v_cmp_eq_u32_e64 s18, 4, v81
	v_fma_mixlo_f16 v102, v110, v87, 0
	v_fma_mixlo_f16 v103, v110, v89, 0
	;; [unrolled: 1-line block ×8, first 2 shown]
	v_fma_mixhi_f16 v102, v110, v86, 0
	v_fma_mixhi_f16 v103, v110, v88, 0
	;; [unrolled: 1-line block ×8, first 2 shown]
	ds_store_b128 v77, v[102:105]
	ds_store_b128 v77, v[106:109] offset:1024
	s_waitcnt lgkmcnt(0)
	s_barrier
	buffer_gl0_inv
	ds_load_b128 v[86:89], v80
	ds_load_b128 v[90:93], v80 offset:16
	ds_load_b128 v[94:97], v80 offset:1024
	ds_load_b128 v[98:101], v80 offset:1040
	v_cmp_eq_u32_e64 s20, 4, v83
	v_cmp_eq_u32_e64 s23, 5, v82
	;; [unrolled: 1-line block ×13, first 2 shown]
	s_waitcnt lgkmcnt(3)
	v_lshrrev_b32_e32 v102, 16, v86
	s_waitcnt lgkmcnt(2)
	v_lshrrev_b32_e32 v106, 16, v90
	;; [unrolled: 2-line block ×4, first 2 shown]
	v_lshrrev_b32_e32 v103, 16, v87
	v_cndmask_b32_e64 v118, v86, v102, s2
	v_cndmask_b32_e64 v119, v90, v106, s2
	;; [unrolled: 1-line block ×8, first 2 shown]
	v_lshrrev_b32_e32 v107, 16, v91
	v_cndmask_b32_e64 v102, v94, v110, s2
	v_cndmask_b32_e64 v106, v98, v114, s2
	;; [unrolled: 1-line block ×5, first 2 shown]
	v_cndmask_b32_e32 v110, v118, v87, vcc_lo
	v_cndmask_b32_e64 v118, v120, v87, s11
	v_cndmask_b32_e64 v120, v122, v87, s13
	;; [unrolled: 1-line block ×4, first 2 shown]
	v_lshrrev_b32_e32 v111, 16, v95
	v_lshrrev_b32_e32 v115, 16, v99
	v_cndmask_b32_e64 v125, v98, v114, s8
	v_cndmask_b32_e64 v127, v98, v114, s9
	;; [unrolled: 1-line block ×3, first 2 shown]
	v_cndmask_b32_e32 v114, v119, v91, vcc_lo
	v_cndmask_b32_e64 v119, v121, v91, s11
	v_cndmask_b32_e64 v121, v123, v91, s13
	v_cndmask_b32_e32 v90, v102, v95, vcc_lo
	v_cndmask_b32_e32 v91, v106, v99, vcc_lo
	v_cndmask_b32_e64 v102, v124, v95, s11
	v_cndmask_b32_e64 v86, v86, v103, s17
	;; [unrolled: 1-line block ×3, first 2 shown]
	v_lshrrev_b32_e32 v104, 16, v88
	v_lshrrev_b32_e32 v108, 16, v92
	v_cndmask_b32_e64 v106, v126, v95, s13
	v_cndmask_b32_e64 v94, v94, v95, s15
	;; [unrolled: 1-line block ×14, first 2 shown]
	v_lshrrev_b32_e32 v112, 16, v96
	v_cndmask_b32_e64 v98, v98, v88, s4
	v_cndmask_b32_e64 v103, v110, v92, s4
	;; [unrolled: 1-line block ×11, first 2 shown]
	v_lshrrev_b32_e32 v105, 16, v89
	v_lshrrev_b32_e32 v109, 16, v93
	v_cndmask_b32_e64 v92, v98, v104, s5
	v_cndmask_b32_e64 v98, v103, v108, s5
	;; [unrolled: 1-line block ×9, first 2 shown]
	v_lshrrev_b32_e32 v113, 16, v97
	v_cndmask_b32_e64 v88, v88, v112, s5
	v_cndmask_b32_e64 v92, v92, v89, s6
	v_cndmask_b32_e64 v98, v98, v93, s6
	v_cndmask_b32_e64 v102, v102, v89, s24
	v_cndmask_b32_e64 v103, v103, v93, s24
	v_cndmask_b32_e64 v104, v107, v89, s25
	v_cndmask_b32_e64 v107, v110, v93, s25
	v_cndmask_b32_e64 v89, v91, v97, s24
	v_cndmask_b32_e64 v86, v86, v105, s28
	v_cndmask_b32_e64 v87, v87, v109, s28
	v_cndmask_b32_e64 v122, v127, v99, s13
	v_cndmask_b32_e64 v88, v88, v97, s6
	v_cndmask_b32_e64 v91, v92, v105, s7
	v_cndmask_b32_e64 v92, v98, v109, s7
	v_cndmask_b32_e64 v93, v102, v105, s29
	v_cndmask_b32_e64 v98, v104, v105, s27
	v_cndmask_b32_e64 v102, v107, v109, s27
	v_cndmask_b32_e64 v103, v103, v109, s29
	v_cndmask_b32_e64 v105, v89, v113, s29
	v_perm_b32 v89, v87, v86, 0x5040100
	v_cndmask_b32_e64 v86, v125, v99, s11
	v_cndmask_b32_e64 v104, v88, v113, s7
	v_perm_b32 v88, v102, v98, 0x5040100
	v_perm_b32 v87, v103, v93, 0x5040100
	v_cndmask_b32_e64 v93, v106, v111, s16
	v_cndmask_b32_e64 v94, v94, v111, s17
	;; [unrolled: 1-line block ×5, first 2 shown]
	v_lshrrev_b32_e32 v116, 16, v100
	v_cndmask_b32_e64 v93, v93, v96, s20
	v_cndmask_b32_e64 v94, v94, v96, s21
	;; [unrolled: 1-line block ×11, first 2 shown]
	v_lshrrev_b32_e32 v117, 16, v101
	v_cndmask_b32_e64 v90, v90, v101, s6
	v_cndmask_b32_e64 v93, v93, v97, s25
	;; [unrolled: 1-line block ×12, first 2 shown]
	v_perm_b32 v86, v92, v91, 0x5040100
	v_perm_b32 v93, v94, v93, 0x5040100
	;; [unrolled: 1-line block ×5, first 2 shown]
	s_lshl_b32 s6, s33, 4
	s_mov_b32 s2, exec_lo
	ds_store_b128 v77, v[86:89]
	ds_store_b128 v77, v[90:93] offset:1024
	v_cmpx_gt_u32_e32 16, v0
	s_cbranch_execz .LBB381_16
; %bb.15:
	v_or_b32_e32 v86, s31, v0
	s_load_b128 s[8:11], s[0:1], 0x58
	s_delay_alu instid0(VALU_DEP_1) | instskip(NEXT) | instid1(VALU_DEP_1)
	v_mad_u64_u32 v[87:88], null, s6, s30, v[86:87]
	v_mad_u64_u32 v[88:89], null, v87, s34, s[14:15]
	s_delay_alu instid0(VALU_DEP_1) | instskip(NEXT) | instid1(VALU_DEP_1)
	v_ashrrev_i32_e32 v89, 31, v88
	v_lshlrev_b64 v[86:87], 2, v[88:89]
	s_waitcnt lgkmcnt(0)
	s_delay_alu instid0(VALU_DEP_1) | instskip(NEXT) | instid1(VALU_DEP_2)
	v_add_co_u32 v88, vcc_lo, s10, v86
	v_add_co_ci_u32_e32 v89, vcc_lo, s11, v87, vcc_lo
	v_add_co_u32 v86, vcc_lo, s8, v86
	v_add_co_ci_u32_e32 v87, vcc_lo, s9, v87, vcc_lo
	global_store_b32 v[88:89], v84, off
	global_store_b32 v[86:87], v85, off
.LBB381_16:
	s_or_b32 exec_lo, exec_lo, s2
	s_waitcnt lgkmcnt(0)
	s_waitcnt_vscnt null, 0x0
	s_barrier
	buffer_gl0_inv
	ds_load_b128 v[92:95], v78
	ds_load_b128 v[96:99], v78 offset:16
	ds_load_b128 v[104:107], v78 offset:1040
	;; [unrolled: 1-line block ×5, first 2 shown]
	v_cmp_eq_u32_e32 vcc_lo, 1, v83
	v_mov_b32_e32 v84, 0
	ds_load_b128 v[120:123], v78 offset:3088
	ds_load_b128 v[116:119], v78 offset:3072
	;; [unrolled: 1-line block ×4, first 2 shown]
	v_cmp_eq_u32_e64 s2, 1, v79
	v_cmp_eq_u32_e64 s3, 1, v82
	;; [unrolled: 1-line block ×3, first 2 shown]
	v_mov_b32_e32 v85, v84
	v_mov_b32_e32 v86, v84
	;; [unrolled: 1-line block ×7, first 2 shown]
	v_cmp_eq_u32_e64 s5, 2, v79
	s_waitcnt lgkmcnt(8)
	s_delay_alu instid0(VALU_DEP_2)
	v_wmma_f32_16x16x16_f16 v[84:91], v[65:72], v[92:99], v[84:91]
	ds_load_b128 v[69:72], v78 offset:5136
	ds_load_b128 v[65:68], v78 offset:5120
	;; [unrolled: 1-line block ×4, first 2 shown]
	s_waitcnt lgkmcnt(10)
	v_wmma_f32_16x16x16_f16 v[84:91], v[57:64], v[100:107], v[84:91]
	s_waitcnt lgkmcnt(8)
	s_delay_alu instid0(VALU_DEP_1)
	v_wmma_f32_16x16x16_f16 v[84:91], v[57:64], v[108:115], v[84:91]
	ds_load_b128 v[61:64], v78 offset:7184
	ds_load_b128 v[57:60], v78 offset:7168
	;; [unrolled: 1-line block ×4, first 2 shown]
	s_waitcnt lgkmcnt(10)
	v_wmma_f32_16x16x16_f16 v[84:91], v[49:56], v[116:123], v[84:91]
	s_waitcnt lgkmcnt(8)
	s_delay_alu instid0(VALU_DEP_1)
	v_wmma_f32_16x16x16_f16 v[84:91], v[49:56], v[124:131], v[84:91]
	ds_load_b128 v[53:56], v78 offset:9232
	ds_load_b128 v[49:52], v78 offset:9216
	s_waitcnt lgkmcnt(8)
	v_wmma_f32_16x16x16_f16 v[84:91], v[33:40], v[65:72], v[84:91]
	ds_load_b128 v[69:72], v78 offset:10256
	ds_load_b128 v[65:68], v78 offset:10240
	s_waitcnt lgkmcnt(8)
	;; [unrolled: 4-line block ×7, first 2 shown]
	s_barrier
	buffer_gl0_inv
	v_wmma_f32_16x16x16_f16 v[84:91], v[25:32], v[33:40], v[84:91]
	s_delay_alu instid0(VALU_DEP_1) | instskip(NEXT) | instid1(VALU_DEP_1)
	v_wmma_f32_16x16x16_f16 v[84:91], v[25:32], v[57:64], v[84:91]
	v_wmma_f32_16x16x16_f16 v[84:91], v[41:48], v[9:16], v[84:91]
	s_delay_alu instid0(VALU_DEP_1) | instskip(NEXT) | instid1(VALU_DEP_1)
	v_wmma_f32_16x16x16_f16 v[84:91], v[41:48], v[49:56], v[84:91]
	v_wmma_f32_16x16x16_f16 v[84:91], v[17:24], v[1:8], v[84:91]
	s_delay_alu instid0(VALU_DEP_1) | instskip(NEXT) | instid1(VALU_DEP_2)
	v_cvt_f16_f32_e32 v1, v84
	v_cvt_f16_f32_e32 v2, v85
	s_delay_alu instid0(VALU_DEP_3) | instskip(NEXT) | instid1(VALU_DEP_4)
	v_cvt_f16_f32_e32 v3, v86
	v_cvt_f16_f32_e32 v4, v87
	;; [unrolled: 1-line block ×6, first 2 shown]
	v_pack_b32_f16 v1, v1, v2
	v_pack_b32_f16 v2, v3, v4
	;; [unrolled: 1-line block ×3, first 2 shown]
	s_delay_alu instid0(VALU_DEP_4)
	v_pack_b32_f16 v4, v7, v8
	ds_store_b128 v77, v[1:4]
	s_waitcnt lgkmcnt(0)
	s_barrier
	buffer_gl0_inv
	ds_load_b128 v[1:4], v80
	ds_load_b128 v[5:8], v80 offset:16
	s_waitcnt lgkmcnt(1)
	v_lshrrev_b32_e32 v9, 16, v1
	s_waitcnt lgkmcnt(0)
	v_lshrrev_b32_e32 v13, 16, v5
	v_lshrrev_b32_e32 v10, 16, v2
	;; [unrolled: 1-line block ×4, first 2 shown]
	v_cndmask_b32_e64 v17, v1, v9, s2
	v_cndmask_b32_e64 v18, v5, v13, s2
	;; [unrolled: 1-line block ×3, first 2 shown]
	v_cmp_eq_u32_e64 s2, 2, v81
	v_cndmask_b32_e64 v20, v5, v13, s4
	v_cndmask_b32_e32 v21, v1, v9, vcc_lo
	v_cndmask_b32_e32 v22, v5, v13, vcc_lo
	v_cndmask_b32_e64 v1, v1, v9, s3
	v_cndmask_b32_e64 v5, v5, v13, s3
	v_cmp_eq_u32_e32 vcc_lo, 2, v83
	v_cmp_eq_u32_e64 s3, 2, v82
	v_cndmask_b32_e64 v9, v17, v2, s5
	v_cndmask_b32_e64 v13, v18, v6, s5
	;; [unrolled: 1-line block ×4, first 2 shown]
	v_cndmask_b32_e32 v19, v21, v2, vcc_lo
	v_cmp_eq_u32_e64 s2, 3, v83
	v_cndmask_b32_e32 v20, v22, v6, vcc_lo
	v_cndmask_b32_e64 v1, v1, v2, s3
	v_cmp_eq_u32_e32 vcc_lo, 3, v82
	v_cmp_eq_u32_e64 s4, 3, v79
	v_cndmask_b32_e64 v2, v5, v6, s3
	v_cmp_eq_u32_e64 s3, 3, v81
	v_cmp_eq_u32_e64 s5, 4, v79
	v_cndmask_b32_e32 v1, v1, v10, vcc_lo
	v_cndmask_b32_e64 v5, v9, v10, s4
	v_cndmask_b32_e64 v6, v13, v14, s4
	;; [unrolled: 1-line block ×3, first 2 shown]
	v_cmp_eq_u32_e64 s4, 4, v81
	v_cndmask_b32_e64 v13, v18, v14, s3
	v_cndmask_b32_e64 v17, v19, v10, s2
	;; [unrolled: 1-line block ×3, first 2 shown]
	v_cndmask_b32_e32 v2, v2, v14, vcc_lo
	v_cmp_eq_u32_e32 vcc_lo, 4, v83
	v_cmp_eq_u32_e64 s3, 4, v82
	v_lshrrev_b32_e32 v15, 16, v7
	v_cndmask_b32_e64 v5, v5, v3, s5
	v_cndmask_b32_e64 v6, v6, v7, s5
	v_cndmask_b32_e32 v14, v18, v7, vcc_lo
	v_cndmask_b32_e64 v9, v9, v3, s4
	v_cndmask_b32_e64 v10, v13, v7, s4
	v_cndmask_b32_e32 v13, v17, v3, vcc_lo
	v_cmp_eq_u32_e64 s2, 5, v83
	v_cndmask_b32_e64 v1, v1, v3, s3
	v_cmp_eq_u32_e32 vcc_lo, 5, v82
	v_cmp_eq_u32_e64 s4, 5, v79
	v_cndmask_b32_e64 v2, v2, v7, s3
	v_cmp_eq_u32_e64 s3, 5, v81
	v_cmp_eq_u32_e64 s5, 6, v79
	v_lshrrev_b32_e32 v12, 16, v4
	v_cndmask_b32_e64 v3, v5, v11, s4
	v_cndmask_b32_e64 v5, v6, v15, s4
	v_cndmask_b32_e64 v6, v9, v11, s3
	v_cmp_eq_u32_e64 s4, 6, v81
	v_cndmask_b32_e64 v7, v10, v15, s3
	v_cndmask_b32_e64 v9, v13, v11, s2
	;; [unrolled: 1-line block ×3, first 2 shown]
	v_cndmask_b32_e32 v1, v1, v11, vcc_lo
	v_cndmask_b32_e32 v2, v2, v15, vcc_lo
	v_cmp_eq_u32_e32 vcc_lo, 6, v83
	v_cmp_eq_u32_e64 s2, 6, v82
	v_lshrrev_b32_e32 v16, 16, v8
	v_cndmask_b32_e64 v3, v3, v4, s5
	v_cndmask_b32_e64 v5, v5, v8, s5
	v_cndmask_b32_e32 v9, v9, v4, vcc_lo
	v_cndmask_b32_e64 v6, v6, v4, s4
	v_cndmask_b32_e64 v7, v7, v8, s4
	v_cmp_eq_u32_e64 s3, 7, v83
	v_cndmask_b32_e32 v10, v10, v8, vcc_lo
	v_cndmask_b32_e64 v1, v1, v4, s2
	v_cmp_eq_u32_e32 vcc_lo, 7, v82
	v_cndmask_b32_e64 v2, v2, v8, s2
	v_cmp_eq_u32_e64 s2, 7, v79
	v_cmp_eq_u32_e64 s4, 7, v81
	v_cndmask_b32_e32 v1, v1, v12, vcc_lo
	s_delay_alu instid0(VALU_DEP_4) | instskip(NEXT) | instid1(VALU_DEP_4)
	v_cndmask_b32_e32 v2, v2, v16, vcc_lo
	v_cndmask_b32_e64 v8, v3, v12, s2
	s_delay_alu instid0(VALU_DEP_4)
	v_cndmask_b32_e64 v6, v6, v12, s4
	v_cndmask_b32_e64 v3, v9, v12, s3
	;; [unrolled: 1-line block ×5, first 2 shown]
	v_perm_b32 v4, v2, v1, 0x5040100
	s_mov_b32 s2, exec_lo
	v_perm_b32 v3, v9, v3, 0x5040100
	v_perm_b32 v2, v7, v6, 0x5040100
	v_perm_b32 v1, v5, v8, 0x5040100
	ds_store_b128 v77, v[1:4]
	s_waitcnt lgkmcnt(0)
	s_barrier
	buffer_gl0_inv
	v_cmpx_gt_u32_e32 32, v0
	s_cbranch_execz .LBB381_2
; %bb.17:
	s_load_b64 s[0:1], s[0:1], 0x68
	v_lshlrev_b32_e32 v0, 10, v0
	s_lshl_b32 s4, s34, 7
	v_or_b32_e32 v23, s31, v75
	s_mul_i32 s2, s4, s30
	v_lshlrev_b32_e32 v1, 4, v76
	v_lshlrev_b32_e32 v2, 6, v75
	s_mul_i32 s2, s2, s6
	v_and_b32_e32 v0, 0x3800, v0
	v_mul_lo_u32 v8, v23, s4
	s_ashr_i32 s3, s2, 31
	v_or_b32_e32 v3, 2, v23
	s_lshl_b64 s[2:3], s[2:3], 1
	v_or3_b32 v27, v0, v1, v2
	v_or_b32_e32 v11, 4, v23
	v_or_b32_e32 v18, 6, v23
	v_mul_lo_u32 v10, v3, s4
	v_ashrrev_i32_e32 v9, 31, v8
	ds_load_b128 v[0:3], v27
	ds_load_b128 v[4:7], v27 offset:128
	v_mul_lo_u32 v12, v11, s4
	s_waitcnt lgkmcnt(0)
	s_add_u32 s2, s0, s2
	s_addc_u32 s3, s1, s3
	s_lshl_b32 s0, s14, 7
	v_lshlrev_b64 v[8:9], 1, v[8:9]
	s_ashr_i32 s1, s0, 31
	v_ashrrev_i32_e32 v11, 31, v10
	s_lshl_b64 s[0:1], s[0:1], 1
	v_ashrrev_i32_e32 v13, 31, v12
	s_add_u32 s0, s2, s0
	s_addc_u32 s1, s3, s1
	v_add_co_u32 v30, vcc_lo, s0, v73
	v_add_co_ci_u32_e32 v31, vcc_lo, s1, v74, vcc_lo
	v_lshlrev_b64 v[16:17], 1, v[10:11]
	s_delay_alu instid0(VALU_DEP_3) | instskip(NEXT) | instid1(VALU_DEP_3)
	v_add_co_u32 v14, vcc_lo, v30, v8
	v_add_co_ci_u32_e32 v15, vcc_lo, v31, v9, vcc_lo
	ds_load_b128 v[8:11], v27 offset:256
	v_mul_lo_u32 v18, v18, s4
	v_or_b32_e32 v19, 8, v23
	v_add_co_u32 v16, vcc_lo, v30, v16
	global_store_b128 v[14:15], v[0:3], off
	v_lshlrev_b64 v[0:1], 1, v[12:13]
	v_add_co_ci_u32_e32 v17, vcc_lo, v31, v17, vcc_lo
	v_mul_lo_u32 v12, v19, s4
	v_ashrrev_i32_e32 v19, 31, v18
	v_or_b32_e32 v14, 10, v23
	global_store_b128 v[16:17], v[4:7], off
	v_add_co_u32 v4, vcc_lo, v30, v0
	v_add_co_ci_u32_e32 v5, vcc_lo, v31, v1, vcc_lo
	ds_load_b128 v[0:3], v27 offset:384
	v_ashrrev_i32_e32 v13, 31, v12
	v_lshlrev_b64 v[6:7], 1, v[18:19]
	v_mul_lo_u32 v14, v14, s4
	s_waitcnt lgkmcnt(1)
	global_store_b128 v[4:5], v[8:11], off
	v_or_b32_e32 v8, 12, v23
	v_lshlrev_b64 v[4:5], 1, v[12:13]
	v_add_co_u32 v20, vcc_lo, v30, v6
	v_or_b32_e32 v6, 14, v23
	v_ashrrev_i32_e32 v15, 31, v14
	v_mul_lo_u32 v22, v8, s4
	v_add_co_ci_u32_e32 v21, vcc_lo, v31, v7, vcc_lo
	v_add_co_u32 v24, vcc_lo, v30, v4
	v_mul_lo_u32 v26, v6, s4
	v_add_co_ci_u32_e32 v25, vcc_lo, v31, v5, vcc_lo
	v_lshlrev_b64 v[28:29], 1, v[14:15]
	ds_load_b128 v[4:7], v27 offset:512
	ds_load_b128 v[8:11], v27 offset:640
	;; [unrolled: 1-line block ×4, first 2 shown]
	v_ashrrev_i32_e32 v23, 31, v22
	v_ashrrev_i32_e32 v27, 31, v26
	v_add_co_u32 v28, vcc_lo, v30, v28
	s_delay_alu instid0(VALU_DEP_3) | instskip(SKIP_1) | instid1(VALU_DEP_4)
	v_lshlrev_b64 v[22:23], 1, v[22:23]
	v_add_co_ci_u32_e32 v29, vcc_lo, v31, v29, vcc_lo
	v_lshlrev_b64 v[26:27], 1, v[26:27]
	s_delay_alu instid0(VALU_DEP_3) | instskip(NEXT) | instid1(VALU_DEP_4)
	v_add_co_u32 v22, vcc_lo, v30, v22
	v_add_co_ci_u32_e32 v23, vcc_lo, v31, v23, vcc_lo
	s_delay_alu instid0(VALU_DEP_3) | instskip(NEXT) | instid1(VALU_DEP_4)
	v_add_co_u32 v26, vcc_lo, v30, v26
	v_add_co_ci_u32_e32 v27, vcc_lo, v31, v27, vcc_lo
	s_waitcnt lgkmcnt(4)
	global_store_b128 v[20:21], v[0:3], off
	s_waitcnt lgkmcnt(3)
	global_store_b128 v[24:25], v[4:7], off
	;; [unrolled: 2-line block ×5, first 2 shown]
	s_nop 0
	s_sendmsg sendmsg(MSG_DEALLOC_VGPRS)
	s_endpgm
	.section	.rodata,"a",@progbits
	.p2align	6, 0x0
	.amdhsa_kernel _Z39paged_attention_ll4mi_QKV_mfma16_kernelIDF16_DF16_LN4vllm18Fp8KVCacheDataTypeE0EDF16_Li32ELi128ELi256ELb0ELi16EL8MFMAType0EEvPKT_PKT0_S8_ifPKiSA_SA_iPKfiiiPfSD_PS3_PT2_iSC_SC_
		.amdhsa_group_segment_fixed_size 17472
		.amdhsa_private_segment_fixed_size 0
		.amdhsa_kernarg_size 400
		.amdhsa_user_sgpr_count 13
		.amdhsa_user_sgpr_dispatch_ptr 0
		.amdhsa_user_sgpr_queue_ptr 0
		.amdhsa_user_sgpr_kernarg_segment_ptr 1
		.amdhsa_user_sgpr_dispatch_id 0
		.amdhsa_user_sgpr_private_segment_size 0
		.amdhsa_wavefront_size32 1
		.amdhsa_uses_dynamic_stack 0
		.amdhsa_enable_private_segment 0
		.amdhsa_system_sgpr_workgroup_id_x 1
		.amdhsa_system_sgpr_workgroup_id_y 1
		.amdhsa_system_sgpr_workgroup_id_z 1
		.amdhsa_system_sgpr_workgroup_info 0
		.amdhsa_system_vgpr_workitem_id 0
		.amdhsa_next_free_vgpr 171
		.amdhsa_next_free_sgpr 38
		.amdhsa_reserve_vcc 1
		.amdhsa_float_round_mode_32 0
		.amdhsa_float_round_mode_16_64 0
		.amdhsa_float_denorm_mode_32 3
		.amdhsa_float_denorm_mode_16_64 3
		.amdhsa_dx10_clamp 1
		.amdhsa_ieee_mode 1
		.amdhsa_fp16_overflow 0
		.amdhsa_workgroup_processor_mode 1
		.amdhsa_memory_ordered 1
		.amdhsa_forward_progress 0
		.amdhsa_shared_vgpr_count 0
		.amdhsa_exception_fp_ieee_invalid_op 0
		.amdhsa_exception_fp_denorm_src 0
		.amdhsa_exception_fp_ieee_div_zero 0
		.amdhsa_exception_fp_ieee_overflow 0
		.amdhsa_exception_fp_ieee_underflow 0
		.amdhsa_exception_fp_ieee_inexact 0
		.amdhsa_exception_int_div_zero 0
	.end_amdhsa_kernel
	.section	.text._Z39paged_attention_ll4mi_QKV_mfma16_kernelIDF16_DF16_LN4vllm18Fp8KVCacheDataTypeE0EDF16_Li32ELi128ELi256ELb0ELi16EL8MFMAType0EEvPKT_PKT0_S8_ifPKiSA_SA_iPKfiiiPfSD_PS3_PT2_iSC_SC_,"axG",@progbits,_Z39paged_attention_ll4mi_QKV_mfma16_kernelIDF16_DF16_LN4vllm18Fp8KVCacheDataTypeE0EDF16_Li32ELi128ELi256ELb0ELi16EL8MFMAType0EEvPKT_PKT0_S8_ifPKiSA_SA_iPKfiiiPfSD_PS3_PT2_iSC_SC_,comdat
.Lfunc_end381:
	.size	_Z39paged_attention_ll4mi_QKV_mfma16_kernelIDF16_DF16_LN4vllm18Fp8KVCacheDataTypeE0EDF16_Li32ELi128ELi256ELb0ELi16EL8MFMAType0EEvPKT_PKT0_S8_ifPKiSA_SA_iPKfiiiPfSD_PS3_PT2_iSC_SC_, .Lfunc_end381-_Z39paged_attention_ll4mi_QKV_mfma16_kernelIDF16_DF16_LN4vllm18Fp8KVCacheDataTypeE0EDF16_Li32ELi128ELi256ELb0ELi16EL8MFMAType0EEvPKT_PKT0_S8_ifPKiSA_SA_iPKfiiiPfSD_PS3_PT2_iSC_SC_
                                        ; -- End function
	.section	.AMDGPU.csdata,"",@progbits
; Kernel info:
; codeLenInByte = 7728
; NumSgprs: 40
; NumVgprs: 171
; ScratchSize: 0
; MemoryBound: 0
; FloatMode: 240
; IeeeMode: 1
; LDSByteSize: 17472 bytes/workgroup (compile time only)
; SGPRBlocks: 4
; VGPRBlocks: 21
; NumSGPRsForWavesPerEU: 40
; NumVGPRsForWavesPerEU: 171
; Occupancy: 8
; WaveLimiterHint : 1
; COMPUTE_PGM_RSRC2:SCRATCH_EN: 0
; COMPUTE_PGM_RSRC2:USER_SGPR: 13
; COMPUTE_PGM_RSRC2:TRAP_HANDLER: 0
; COMPUTE_PGM_RSRC2:TGID_X_EN: 1
; COMPUTE_PGM_RSRC2:TGID_Y_EN: 1
; COMPUTE_PGM_RSRC2:TGID_Z_EN: 1
; COMPUTE_PGM_RSRC2:TIDIG_COMP_CNT: 0
	.section	.text._Z39paged_attention_ll4mi_QKV_mfma16_kernelIDF16_DF16_LN4vllm18Fp8KVCacheDataTypeE0EDF16_Li32ELi128ELi256ELb0ELi1EL8MFMAType0EEvPKT_PKT0_S8_ifPKiSA_SA_iPKfiiiPfSD_PS3_PT2_iSC_SC_,"axG",@progbits,_Z39paged_attention_ll4mi_QKV_mfma16_kernelIDF16_DF16_LN4vllm18Fp8KVCacheDataTypeE0EDF16_Li32ELi128ELi256ELb0ELi1EL8MFMAType0EEvPKT_PKT0_S8_ifPKiSA_SA_iPKfiiiPfSD_PS3_PT2_iSC_SC_,comdat
	.protected	_Z39paged_attention_ll4mi_QKV_mfma16_kernelIDF16_DF16_LN4vllm18Fp8KVCacheDataTypeE0EDF16_Li32ELi128ELi256ELb0ELi1EL8MFMAType0EEvPKT_PKT0_S8_ifPKiSA_SA_iPKfiiiPfSD_PS3_PT2_iSC_SC_ ; -- Begin function _Z39paged_attention_ll4mi_QKV_mfma16_kernelIDF16_DF16_LN4vllm18Fp8KVCacheDataTypeE0EDF16_Li32ELi128ELi256ELb0ELi1EL8MFMAType0EEvPKT_PKT0_S8_ifPKiSA_SA_iPKfiiiPfSD_PS3_PT2_iSC_SC_
	.globl	_Z39paged_attention_ll4mi_QKV_mfma16_kernelIDF16_DF16_LN4vllm18Fp8KVCacheDataTypeE0EDF16_Li32ELi128ELi256ELb0ELi1EL8MFMAType0EEvPKT_PKT0_S8_ifPKiSA_SA_iPKfiiiPfSD_PS3_PT2_iSC_SC_
	.p2align	8
	.type	_Z39paged_attention_ll4mi_QKV_mfma16_kernelIDF16_DF16_LN4vllm18Fp8KVCacheDataTypeE0EDF16_Li32ELi128ELi256ELb0ELi1EL8MFMAType0EEvPKT_PKT0_S8_ifPKiSA_SA_iPKfiiiPfSD_PS3_PT2_iSC_SC_,@function
_Z39paged_attention_ll4mi_QKV_mfma16_kernelIDF16_DF16_LN4vllm18Fp8KVCacheDataTypeE0EDF16_Li32ELi128ELi256ELb0ELi1EL8MFMAType0EEvPKT_PKT0_S8_ifPKiSA_SA_iPKfiiiPfSD_PS3_PT2_iSC_SC_: ; @_Z39paged_attention_ll4mi_QKV_mfma16_kernelIDF16_DF16_LN4vllm18Fp8KVCacheDataTypeE0EDF16_Li32ELi128ELi256ELb0ELi1EL8MFMAType0EEvPKT_PKT0_S8_ifPKiSA_SA_iPKfiiiPfSD_PS3_PT2_iSC_SC_
; %bb.0:
	s_load_b64 s[4:5], s[0:1], 0x30
	s_mov_b32 s34, s13
	s_waitcnt lgkmcnt(0)
	s_cmp_lg_u64 s[4:5], 0
	s_cselect_b32 s6, -1, 0
	s_ashr_i32 s35, s13, 31
	s_cmp_eq_u64 s[4:5], 0
	s_cbranch_scc1 .LBB382_3
; %bb.1:
	s_lshl_b64 s[2:3], s[34:35], 2
	s_delay_alu instid0(SALU_CYCLE_1) | instskip(SKIP_4) | instid1(SALU_CYCLE_1)
	s_add_u32 s2, s4, s2
	s_addc_u32 s3, s5, s3
	s_load_b64 s[2:3], s[2:3], 0x0
	s_waitcnt lgkmcnt(0)
	s_sub_i32 s2, s3, s2
	s_cmp_eq_u32 s2, 1
	s_cselect_b32 s2, -1, 0
	s_delay_alu instid0(SALU_CYCLE_1)
	s_and_not1_b32 vcc_lo, exec_lo, s2
	s_cbranch_vccz .LBB382_4
.LBB382_2:
	s_endpgm
.LBB382_3:
.LBB382_4:
	s_load_b64 s[2:3], s[0:1], 0x28
	s_lshl_b64 s[8:9], s[34:35], 2
	s_waitcnt lgkmcnt(0)
	s_add_u32 s2, s2, s8
	s_addc_u32 s3, s3, s9
	s_lshl_b32 s84, s14, 8
	s_load_b32 s33, s[2:3], 0x0
	s_waitcnt lgkmcnt(0)
	s_cmp_ge_i32 s84, s33
	s_cbranch_scc1 .LBB382_2
; %bb.5:
	s_clause 0x1
	s_load_b128 s[80:83], s[0:1], 0x8
	s_load_b64 s[2:3], s[0:1], 0x20
	s_and_not1_b32 vcc_lo, exec_lo, s6
	s_mov_b64 s[6:7], s[34:35]
	s_cbranch_vccnz .LBB382_7
; %bb.6:
	s_add_u32 s4, s4, s8
	s_addc_u32 s5, s5, s9
	s_load_b32 s6, s[4:5], 0x0
.LBB382_7:
	s_load_b128 s[76:79], s[0:1], 0x48
	v_and_b32_e32 v81, 15, v0
	s_mov_b32 s12, exec_lo
                                        ; implicit-def: $sgpr52
                                        ; implicit-def: $sgpr36
                                        ; implicit-def: $sgpr44
                                        ; implicit-def: $sgpr60
                                        ; implicit-def: $sgpr68
                                        ; implicit-def: $sgpr24
                                        ; implicit-def: $sgpr4
                                        ; implicit-def: $sgpr16
	s_delay_alu instid0(VALU_DEP_1)
	v_cmpx_eq_u32_e32 0, v81
	s_cbranch_execz .LBB382_9
; %bb.8:
	s_load_b64 s[4:5], s[0:1], 0x0
	s_waitcnt lgkmcnt(0)
	s_mul_hi_i32 s7, s6, s76
	s_mul_i32 s6, s6, s76
	s_delay_alu instid0(SALU_CYCLE_1) | instskip(NEXT) | instid1(SALU_CYCLE_1)
	s_lshl_b64 s[6:7], s[6:7], 1
	s_add_u32 s6, s4, s6
	s_addc_u32 s7, s5, s7
	s_lshl_b32 s4, s15, 7
	s_delay_alu instid0(SALU_CYCLE_1) | instskip(NEXT) | instid1(SALU_CYCLE_1)
	s_ashr_i32 s5, s4, 31
	s_lshl_b64 s[4:5], s[4:5], 1
	s_delay_alu instid0(SALU_CYCLE_1)
	s_add_u32 s16, s6, s4
	s_addc_u32 s17, s7, s5
	s_clause 0x7
	s_load_b256 s[52:59], s[16:17], 0x0
	s_load_b256 s[36:43], s[16:17], 0x20
	;; [unrolled: 1-line block ×8, first 2 shown]
.LBB382_9:
	s_or_b32 exec_lo, exec_lo, s12
	v_and_b32_e32 v1, 0xef, v0
	s_add_i32 s35, s33, 31
	s_load_b32 s13, s[0:1], 0x38
	s_waitcnt lgkmcnt(0)
	s_ashr_i32 s76, s35, 31
	s_mul_i32 s12, s15, s78
	s_load_b32 s78, s[0:1], 0x1c
	v_add_nc_u32_e32 v2, s84, v1
	s_lshr_b32 s76, s76, 27
	v_lshrrev_b32_e32 v84, 5, v0
	s_add_i32 s35, s35, s76
	v_mov_b32_e32 v164, s31
	v_ashrrev_i32_e32 v1, 31, v2
	v_cmp_gt_i32_e32 vcc_lo, s33, v2
	s_ashr_i32 s79, s35, 5
	v_mov_b32_e32 v163, s30
	s_add_i32 s79, s79, -1
	v_lshrrev_b32_e32 v3, 27, v1
	v_dual_mov_b32 v162, s29 :: v_dual_mov_b32 v161, s28
	v_dual_mov_b32 v160, s27 :: v_dual_mov_b32 v159, s26
	s_delay_alu instid0(VALU_DEP_3)
	v_add_nc_u32_e32 v1, v2, v3
	v_or_b32_e32 v2, 16, v2
	s_mul_i32 s86, s34, s13
	v_mov_b32_e32 v158, s25
	s_ashr_i32 s87, s86, 31
	v_ashrrev_i32_e32 v1, 5, v1
	v_add_nc_u32_e32 v3, v2, v3
	s_lshl_b64 s[86:87], s[86:87], 2
	v_mov_b32_e32 v157, s24
	s_add_u32 s35, s2, s86
	v_cndmask_b32_e32 v1, s79, v1, vcc_lo
	v_ashrrev_i32_e32 v3, 5, v3
	v_cmp_gt_i32_e32 vcc_lo, s33, v2
	s_addc_u32 s76, s3, s87
	s_ashr_i32 s13, s12, 31
	v_ashrrev_i32_e32 v2, 31, v1
	s_lshl_b64 s[2:3], s[12:13], 1
	v_cndmask_b32_e32 v3, s79, v3, vcc_lo
	s_add_u32 s85, s80, s2
	s_addc_u32 s94, s81, s3
	v_lshlrev_b64 v[1:2], 2, v[1:2]
	s_lshl_b32 s12, s14, 3
	v_ashrrev_i32_e32 v4, 31, v3
	s_ashr_i32 s13, s12, 31
	s_delay_alu instid0(SALU_CYCLE_1) | instskip(NEXT) | instid1(VALU_DEP_2)
	s_lshl_b64 s[12:13], s[12:13], 2
	v_add_co_u32 v1, vcc_lo, s35, v1
	s_delay_alu instid0(VALU_DEP_2) | instskip(SKIP_4) | instid1(VALU_DEP_2)
	v_lshlrev_b64 v[3:4], 2, v[3:4]
	v_add_co_ci_u32_e32 v2, vcc_lo, s76, v2, vcc_lo
	s_add_u32 s12, s35, s12
	s_addc_u32 s13, s76, s13
	s_or_b32 s80, s84, 32
	v_add_co_u32 v3, vcc_lo, s35, v3
	v_add_co_ci_u32_e32 v4, vcc_lo, s76, v4, vcc_lo
	s_clause 0x1
	global_load_b32 v5, v[1:2], off
	global_load_b32 v6, v[3:4], off
	s_ashr_i32 s81, s80, 5
	s_cmp_lt_i32 s80, s33
	s_cselect_b32 s80, s81, s79
	s_delay_alu instid0(SALU_CYCLE_1) | instskip(NEXT) | instid1(SALU_CYCLE_1)
	s_ashr_i32 s81, s80, 31
	s_lshl_b64 s[80:81], s[80:81], 2
	s_delay_alu instid0(SALU_CYCLE_1) | instskip(SKIP_2) | instid1(SALU_CYCLE_1)
	s_add_u32 s80, s35, s80
	s_addc_u32 s81, s76, s81
	s_or_b32 s86, s84, 64
	s_ashr_i32 s87, s86, 5
	s_cmp_lt_i32 s86, s33
	s_cselect_b32 s86, s87, s79
	s_delay_alu instid0(SALU_CYCLE_1) | instskip(NEXT) | instid1(SALU_CYCLE_1)
	s_ashr_i32 s87, s86, 31
	s_lshl_b64 s[86:87], s[86:87], 2
	s_delay_alu instid0(SALU_CYCLE_1) | instskip(SKIP_2) | instid1(SALU_CYCLE_1)
	s_add_u32 s86, s35, s86
	s_addc_u32 s87, s76, s87
	s_or_b32 s88, s84, 0x60
	;; [unrolled: 10-line block ×4, first 2 shown]
	s_ashr_i32 s93, s92, 5
	s_cmp_lt_i32 s92, s33
	s_cselect_b32 s92, s93, s79
	s_delay_alu instid0(SALU_CYCLE_1) | instskip(NEXT) | instid1(SALU_CYCLE_1)
	s_ashr_i32 s93, s92, 31
	s_lshl_b64 s[92:93], s[92:93], 2
	s_delay_alu instid0(SALU_CYCLE_1)
	s_add_u32 s92, s35, s92
	s_addc_u32 s93, s76, s93
	s_clause 0x5
	s_load_b32 s13, s[12:13], 0x0
	s_load_b32 s80, s[80:81], 0x0
	;; [unrolled: 1-line block ×6, first 2 shown]
	s_mov_b32 s88, 0
	s_delay_alu instid0(SALU_CYCLE_1)
	s_mov_b32 s89, s88
	s_mov_b32 s90, s88
	;; [unrolled: 1-line block ×6, first 2 shown]
	s_waitcnt lgkmcnt(0)
	s_mul_hi_i32 s27, s13, s77
	s_mul_i32 s26, s13, s77
	s_mul_hi_i32 s29, s80, s77
	s_mul_i32 s28, s80, s77
	s_waitcnt vmcnt(1)
	v_mad_i64_i32 v[1:2], null, v5, s77, 0
	s_waitcnt vmcnt(0)
	v_mad_i64_i32 v[3:4], null, v6, s77, 0
	v_lshlrev_b32_e32 v5, 4, v81
	s_delay_alu instid0(VALU_DEP_3) | instskip(NEXT) | instid1(VALU_DEP_3)
	v_lshlrev_b64 v[1:2], 1, v[1:2]
	v_lshlrev_b64 v[3:4], 1, v[3:4]
	s_delay_alu instid0(VALU_DEP_2) | instskip(NEXT) | instid1(VALU_DEP_3)
	v_add_co_u32 v1, vcc_lo, s85, v1
	v_add_co_ci_u32_e32 v2, vcc_lo, s94, v2, vcc_lo
	s_delay_alu instid0(VALU_DEP_3) | instskip(NEXT) | instid1(VALU_DEP_4)
	v_add_co_u32 v3, vcc_lo, s85, v3
	v_add_co_ci_u32_e32 v4, vcc_lo, s94, v4, vcc_lo
	s_delay_alu instid0(VALU_DEP_4) | instskip(NEXT) | instid1(VALU_DEP_4)
	v_add_co_u32 v65, vcc_lo, v1, v5
	v_add_co_ci_u32_e32 v66, vcc_lo, 0, v2, vcc_lo
	s_delay_alu instid0(VALU_DEP_4) | instskip(NEXT) | instid1(VALU_DEP_4)
	v_add_co_u32 v67, vcc_lo, v3, v5
	v_add_co_ci_u32_e32 v68, vcc_lo, 0, v4, vcc_lo
	s_clause 0xf
	global_load_b128 v[1:4], v[65:66], off
	global_load_b128 v[5:8], v[65:66], off offset:512
	global_load_b128 v[9:12], v[67:68], off offset:256
	;; [unrolled: 1-line block ×15, first 2 shown]
	v_add_co_u32 v73, vcc_lo, 0x1000, v65
	v_add_co_ci_u32_e32 v74, vcc_lo, 0, v66, vcc_lo
	v_add_co_u32 v82, vcc_lo, 0x1000, v67
	v_add_co_ci_u32_e32 v83, vcc_lo, 0, v68, vcc_lo
	s_clause 0xf
	global_load_b128 v[85:88], v[73:74], off
	global_load_b128 v[89:92], v[73:74], off offset:512
	global_load_b128 v[93:96], v[82:83], off offset:256
	;; [unrolled: 1-line block ×15, first 2 shown]
	s_mov_b32 s94, s88
	v_mov_b32_e32 v72, s59
	v_dual_mov_b32 v66, s53 :: v_dual_mov_b32 v73, s88
	v_dual_mov_b32 v80, s95 :: v_dual_mov_b32 v71, s58
	;; [unrolled: 1-line block ×3, first 2 shown]
	v_mov_b32_e32 v74, s89
	v_dual_mov_b32 v68, s55 :: v_dual_mov_b32 v67, s54
	v_dual_mov_b32 v76, s91 :: v_dual_mov_b32 v65, s52
	;; [unrolled: 1-line block ×3, first 2 shown]
	v_mov_b32_e32 v77, s92
	v_mov_b32_e32 v79, s94
	v_lshlrev_b32_e32 v83, 6, v81
	v_bfe_u32 v82, v0, 4, 1
	s_waitcnt vmcnt(30)
	s_delay_alu instid0(VALU_DEP_3)
	v_wmma_f32_16x16x16_f16 v[141:148], v[1:8], v[65:72], v[73:80]
	v_dual_mov_b32 v1, s36 :: v_dual_mov_b32 v8, s43
	v_dual_mov_b32 v2, s37 :: v_dual_mov_b32 v3, s38
	;; [unrolled: 1-line block ×3, first 2 shown]
	v_mov_b32_e32 v6, s41
	s_waitcnt vmcnt(28)
	v_wmma_f32_16x16x16_f16 v[73:80], v[9:16], v[65:72], v[73:80]
	v_mov_b32_e32 v7, s42
	s_or_b32 s36, s84, 0xc0
	v_dual_mov_b32 v9, s44 :: v_dual_mov_b32 v16, s51
	s_ashr_i32 s37, s36, 5
	v_mov_b32_e32 v10, s45
	v_mov_b32_e32 v12, s47
	;; [unrolled: 1-line block ×3, first 2 shown]
	s_waitcnt vmcnt(24)
	v_wmma_f32_16x16x16_f16 v[73:80], v[25:32], v[1:8], v[73:80]
	v_dual_mov_b32 v25, s68 :: v_dual_mov_b32 v32, s75
	s_cmp_lt_i32 s36, s33
	v_mov_b32_e32 v27, s70
	v_mov_b32_e32 v29, s72
	;; [unrolled: 1-line block ×3, first 2 shown]
	s_cselect_b32 s24, s37, s79
	v_wmma_f32_16x16x16_f16 v[141:148], v[17:24], v[1:8], v[141:148]
	s_ashr_i32 s25, s24, 31
	v_mov_b32_e32 v11, s46
	s_lshl_b64 s[24:25], s[24:25], 2
	v_mov_b32_e32 v13, s48
	s_add_u32 s24, s35, s24
	s_addc_u32 s25, s76, s25
	s_or_b32 s13, s84, 0xe0
	v_mov_b32_e32 v15, s50
	s_ashr_i32 s30, s13, 5
	s_cmp_lt_i32 s13, s33
	v_dual_mov_b32 v1, s60 :: v_dual_mov_b32 v8, s67
	s_cselect_b32 s30, s30, s79
	v_mov_b32_e32 v2, s61
	s_ashr_i32 s31, s30, 31
	v_mov_b32_e32 v4, s63
	s_lshl_b64 s[30:31], s[30:31], 2
	v_mov_b32_e32 v6, s65
	s_add_u32 s30, s35, s30
	s_addc_u32 s31, s76, s31
	s_add_i32 s13, s84, 0x100
	s_waitcnt vmcnt(22)
	v_wmma_f32_16x16x16_f16 v[141:148], v[33:40], v[9:16], v[141:148]
	s_ashr_i32 s40, s13, 5
	s_cmp_lt_i32 s13, s33
	s_waitcnt vmcnt(20)
	v_wmma_f32_16x16x16_f16 v[73:80], v[41:48], v[9:16], v[73:80]
	s_cselect_b32 s40, s40, s79
	v_lshl_or_b32 v9, v84, 10, v83
	s_ashr_i32 s41, s40, 31
	s_load_b32 s42, s[24:25], 0x0
	s_lshl_b64 s[40:41], s[40:41], 2
	s_mul_hi_i32 s37, s81, s77
	s_add_u32 s40, s35, s40
	s_addc_u32 s41, s76, s41
	s_add_u32 s35, s82, s2
	s_clause 0x1
	s_load_b32 s43, s[30:31], 0x0
	s_load_b32 s40, s[40:41], 0x0
	s_addc_u32 s41, s83, s3
	v_add_co_u32 v35, s35, s35, v9
	s_delay_alu instid0(VALU_DEP_1) | instskip(SKIP_2) | instid1(VALU_DEP_2)
	v_add_co_ci_u32_e64 v36, null, s41, 0, s35
	s_lshl_b64 s[2:3], s[26:27], 1
	s_lshl_b64 s[26:27], s[28:29], 1
	v_add_co_u32 v9, vcc_lo, v35, s2
	s_mul_i32 s36, s81, s77
	v_add_co_ci_u32_e32 v10, vcc_lo, s3, v36, vcc_lo
	v_add_co_u32 v11, vcc_lo, v35, s26
	s_lshl_b64 s[28:29], s[36:37], 1
	s_mul_hi_i32 s39, s86, s77
	s_mul_i32 s38, s86, s77
	v_add_co_ci_u32_e32 v12, vcc_lo, s27, v36, vcc_lo
	v_add_co_u32 v13, vcc_lo, v35, s28
	s_lshl_b64 s[30:31], s[38:39], 1
	s_mul_hi_i32 s25, s87, s77
	s_mul_i32 s24, s87, s77
	v_add_co_ci_u32_e32 v14, vcc_lo, s29, v36, vcc_lo
	v_add_co_u32 v15, vcc_lo, v35, s30
	s_lshl_b64 s[24:25], s[24:25], 1
	v_dual_mov_b32 v3, s62 :: v_dual_mov_b32 v26, s69
	v_dual_mov_b32 v5, s64 :: v_dual_mov_b32 v28, s71
	;; [unrolled: 1-line block ×3, first 2 shown]
	s_mul_hi_i32 s13, s12, s77
	s_mul_i32 s12, s12, s77
	v_add_co_ci_u32_e32 v16, vcc_lo, s31, v36, vcc_lo
	v_add_co_u32 v21, vcc_lo, v35, s24
	s_lshl_b64 s[12:13], s[12:13], 1
	s_waitcnt lgkmcnt(0)
	s_mul_hi_i32 s37, s42, s77
	s_mul_i32 s36, s42, s77
	v_add_co_ci_u32_e32 v22, vcc_lo, s25, v36, vcc_lo
	v_add_co_u32 v33, vcc_lo, v35, s12
	s_lshl_b64 s[36:37], s[36:37], 1
	s_waitcnt vmcnt(18)
	v_wmma_f32_16x16x16_f16 v[141:148], v[49:56], v[1:8], v[141:148]
	s_waitcnt vmcnt(16)
	v_wmma_f32_16x16x16_f16 v[73:80], v[57:64], v[1:8], v[73:80]
	v_add_co_ci_u32_e32 v34, vcc_lo, s13, v36, vcc_lo
	s_mul_hi_i32 s3, s43, s77
	s_mul_i32 s2, s43, s77
	v_add_co_u32 v5, vcc_lo, v35, s36
	s_lshl_b64 s[2:3], s[2:3], 1
	v_add_co_ci_u32_e32 v6, vcc_lo, s37, v36, vcc_lo
	s_waitcnt vmcnt(14)
	v_wmma_f32_16x16x16_f16 v[141:148], v[85:92], v[25:32], v[141:148]
	s_waitcnt vmcnt(12)
	v_wmma_f32_16x16x16_f16 v[73:80], v[93:100], v[25:32], v[73:80]
	s_mul_hi_i32 s13, s40, s77
	s_mul_i32 s12, s40, s77
	v_add_co_u32 v25, vcc_lo, v35, s2
	v_add_co_ci_u32_e32 v26, vcc_lo, s3, v36, vcc_lo
	s_lshl_b64 s[2:3], s[12:13], 1
	s_clause 0x1
	global_load_b128 v[65:68], v[9:10], off
	global_load_b128 v[69:72], v[9:10], off offset:16
	v_add_co_u32 v29, vcc_lo, v35, s2
	v_add_co_ci_u32_e32 v30, vcc_lo, s3, v36, vcc_lo
	s_clause 0xf
	global_load_b128 v[57:60], v[11:12], off
	global_load_b128 v[61:64], v[11:12], off offset:16
	global_load_b128 v[49:52], v[13:14], off
	global_load_b128 v[53:56], v[13:14], off offset:16
	;; [unrolled: 2-line block ×8, first 2 shown]
	v_and_b32_e32 v85, 0xe0, v0
	s_waitcnt vmcnt(0)
	s_barrier
	buffer_gl0_inv
	v_dual_mov_b32 v92, s11 :: v_dual_add_nc_u32 v93, s84, v85
	v_dual_mov_b32 v91, s10 :: v_dual_mov_b32 v90, s9
	v_dual_mov_b32 v89, s8 :: v_dual_mov_b32 v88, s7
	;; [unrolled: 1-line block ×3, first 2 shown]
	v_wmma_f32_16x16x16_f16 v[141:148], v[101:108], v[157:164], v[141:148]
	v_wmma_f32_16x16x16_f16 v[73:80], v[109:116], v[157:164], v[73:80]
	v_mbcnt_lo_u32_b32 v101, -1, 0
	v_mov_b32_e32 v85, s4
	v_or_b32_e32 v103, v93, v82
	v_dual_mov_b32 v100, s23 :: v_dual_mov_b32 v99, s22
	s_delay_alu instid0(VALU_DEP_4)
	v_xor_b32_e32 v102, 16, v101
	v_dual_mov_b32 v98, s21 :: v_dual_mov_b32 v97, s20
	v_dual_mov_b32 v96, s19 :: v_dual_mov_b32 v95, s18
	;; [unrolled: 1-line block ×3, first 2 shown]
	v_wmma_f32_16x16x16_f16 v[73:80], v[125:132], v[85:92], v[73:80]
	v_wmma_f32_16x16x16_f16 v[141:148], v[117:124], v[85:92], v[141:148]
	v_cmp_gt_i32_e32 vcc_lo, 32, v102
	v_or_b32_e32 v104, 4, v103
	v_or_b32_e32 v105, 6, v103
	v_wmma_f32_16x16x16_f16 v[73:80], v[149:156], v[93:100], v[73:80]
	v_or_b32_e32 v106, 8, v103
	v_cndmask_b32_e32 v101, v101, v102, vcc_lo
	v_or_b32_e32 v102, 2, v103
	v_cmp_gt_i32_e32 vcc_lo, s33, v103
	v_mul_f32_e32 v114, s78, v76
	v_mul_f32_e32 v110, s78, v80
	;; [unrolled: 1-line block ×3, first 2 shown]
	v_wmma_f32_16x16x16_f16 v[141:148], v[133:140], v[93:100], v[141:148]
	v_cmp_gt_i32_e64 s2, s33, v102
	v_or_b32_e32 v107, 10, v103
	v_cmp_gt_i32_e64 s3, s33, v104
	v_cmp_gt_i32_e64 s4, s33, v105
	v_dual_mul_f32 v99, s78, v142 :: v_dual_mul_f32 v100, s78, v141
	v_dual_mul_f32 v97, s78, v144 :: v_dual_mul_f32 v98, s78, v143
	v_or_b32_e32 v85, 12, v103
	s_delay_alu instid0(VALU_DEP_3) | instskip(NEXT) | instid1(VALU_DEP_4)
	v_cndmask_b32_e64 v99, 0xff7fffff, v99, s2
	v_cndmask_b32_e32 v100, 0xff7fffff, v100, vcc_lo
	v_or_b32_e32 v86, 14, v103
	v_dual_mul_f32 v95, s78, v146 :: v_dual_mul_f32 v96, s78, v145
	v_cndmask_b32_e64 v98, 0xff7fffff, v98, s3
	v_cndmask_b32_e64 v97, 0xff7fffff, v97, s4
	v_max3_f32 v99, v100, 0xff7fffff, v99
	v_cmp_gt_i32_e64 s5, s33, v106
	v_cmp_gt_i32_e64 s6, s33, v107
	v_or_b32_e32 v87, 16, v103
	v_or_b32_e32 v88, 18, v103
	v_dual_mul_f32 v93, s78, v148 :: v_dual_mul_f32 v116, s78, v74
	v_mul_f32_e32 v94, s78, v147
	v_cndmask_b32_e64 v96, 0xff7fffff, v96, s5
	v_cndmask_b32_e64 v95, 0xff7fffff, v95, s6
	v_max3_f32 v97, v99, v98, v97
	v_cmp_gt_i32_e64 s7, s33, v85
	v_cmp_gt_i32_e64 s8, s33, v86
	v_or_b32_e32 v89, 20, v103
	v_or_b32_e32 v90, 22, v103
	v_mul_f32_e32 v117, s78, v73
	v_cndmask_b32_e64 v85, 0xff7fffff, v94, s7
	v_cndmask_b32_e64 v86, 0xff7fffff, v93, s8
	v_max3_f32 v93, v97, v96, v95
	v_cmp_gt_i32_e64 s9, s33, v87
	v_cmp_gt_i32_e64 s10, s33, v88
	v_or_b32_e32 v91, 24, v103
	v_or_b32_e32 v92, 26, v103
	;; [unrolled: 8-line block ×3, first 2 shown]
	v_mul_f32_e32 v113, s78, v77
	v_cndmask_b32_e64 v86, 0xff7fffff, v115, s11
	v_cndmask_b32_e64 v89, 0xff7fffff, v114, s12
	v_max3_f32 v85, v85, v87, v88
	v_cmp_gt_i32_e64 s13, s33, v91
	v_cmp_gt_i32_e64 s16, s33, v92
	v_mul_f32_e32 v111, s78, v79
	v_cmp_gt_i32_e64 s17, s33, v108
	v_max3_f32 v85, v85, v86, v89
	v_cndmask_b32_e64 v87, 0xff7fffff, v113, s13
	v_cndmask_b32_e64 v88, 0xff7fffff, v112, s16
	v_cmp_gt_i32_e64 s18, s33, v109
	v_cndmask_b32_e64 v86, 0xff7fffff, v111, s17
	s_delay_alu instid0(VALU_DEP_3) | instskip(NEXT) | instid1(VALU_DEP_3)
	v_max3_f32 v85, v85, v87, v88
	v_cndmask_b32_e64 v89, 0xff7fffff, v110, s18
	v_lshlrev_b32_e32 v87, 2, v101
	s_delay_alu instid0(VALU_DEP_2) | instskip(SKIP_3) | instid1(VALU_DEP_1)
	v_max3_f32 v85, v85, v86, v89
	ds_bpermute_b32 v86, v87, v85
	s_waitcnt lgkmcnt(0)
	v_max_f32_e32 v86, v86, v86
	v_max_f32_e32 v85, v85, v86
	s_delay_alu instid0(VALU_DEP_1) | instskip(SKIP_3) | instid1(VALU_DEP_4)
	v_fma_f32 v86, s78, v141, -v85
	v_fma_f32 v88, s78, v142, -v85
	;; [unrolled: 1-line block ×4, first 2 shown]
	v_mul_f32_e32 v86, 0x3fb8aa3b, v86
	s_delay_alu instid0(VALU_DEP_3) | instskip(NEXT) | instid1(VALU_DEP_3)
	v_dual_mul_f32 v88, 0x3fb8aa3b, v88 :: v_dual_mul_f32 v89, 0x3fb8aa3b, v89
	v_mul_f32_e32 v90, 0x3fb8aa3b, v90
	s_delay_alu instid0(VALU_DEP_3) | instskip(NEXT) | instid1(VALU_DEP_2)
	v_exp_f32_e32 v86, v86
	v_exp_f32_e32 v88, v88
	s_delay_alu instid0(VALU_DEP_2) | instskip(NEXT) | instid1(VALU_DEP_1)
	v_exp_f32_e32 v89, v89
	v_exp_f32_e32 v94, v90
	v_cndmask_b32_e32 v91, 0, v86, vcc_lo
	s_delay_alu instid0(TRANS32_DEP_3) | instskip(SKIP_4) | instid1(VALU_DEP_1)
	v_cndmask_b32_e64 v90, 0, v88, s2
	s_waitcnt_depctr 0xfff
	v_cndmask_b32_e64 v93, 0, v89, s3
	s_mov_b32 s3, exec_lo
	v_add_f32_e32 v88, 0, v91
	v_add_f32_e32 v88, v88, v90
	s_delay_alu instid0(VALU_DEP_1)
	v_add_f32_e32 v88, v88, v93
	v_fma_f32 v92, s78, v145, -v85
	v_fma_f32 v86, s78, v146, -v85
	;; [unrolled: 1-line block ×5, first 2 shown]
	v_mul_f32_e32 v92, 0x3fb8aa3b, v92
	s_delay_alu instid0(VALU_DEP_4) | instskip(NEXT) | instid1(VALU_DEP_4)
	v_dual_mul_f32 v86, 0x3fb8aa3b, v86 :: v_dual_mul_f32 v95, 0x3fb8aa3b, v95
	v_mul_f32_e32 v74, 0x3fb8aa3b, v74
	v_fma_f32 v73, s78, v73, -v85
	s_delay_alu instid0(VALU_DEP_4) | instskip(NEXT) | instid1(VALU_DEP_3)
	v_exp_f32_e32 v96, v92
	v_exp_f32_e32 v86, v86
	v_cndmask_b32_e64 v92, 0, v94, s4
	v_exp_f32_e32 v97, v95
	v_fma_f32 v75, s78, v75, -v85
	v_exp_f32_e32 v74, v74
	v_fma_f32 v77, s78, v77, -v85
	v_add_f32_e32 v88, v88, v92
	v_fma_f32 v78, s78, v78, -v85
	v_mul_f32_e32 v75, 0x3fb8aa3b, v75
	v_cndmask_b32_e64 v95, 0, v96, s5
	v_cndmask_b32_e64 v94, 0, v86, s6
	v_fma_f32 v80, s78, v80, -v85
	v_cndmask_b32_e64 v96, 0, v97, s7
	v_mul_f32_e32 v78, 0x3fb8aa3b, v78
	v_dual_add_f32 v86, v88, v95 :: v_dual_mul_f32 v89, 0x3fb8aa3b, v89
	v_fma_f32 v88, s78, v76, -v85
	s_delay_alu instid0(VALU_DEP_2) | instskip(NEXT) | instid1(VALU_DEP_3)
	v_dual_mul_f32 v73, 0x3fb8aa3b, v73 :: v_dual_add_f32 v86, v86, v94
	v_exp_f32_e32 v89, v89
	s_delay_alu instid0(VALU_DEP_2) | instskip(NEXT) | instid1(VALU_DEP_2)
	v_mul_f32_e32 v88, 0x3fb8aa3b, v88
	v_exp_f32_e32 v73, v73
	s_delay_alu instid0(VALU_DEP_2) | instskip(NEXT) | instid1(VALU_DEP_2)
	v_add_f32_e32 v86, v86, v96
	v_exp_f32_e32 v88, v88
	s_delay_alu instid0(TRANS32_DEP_3)
	v_cndmask_b32_e64 v76, 0, v89, s8
	s_waitcnt_depctr 0xfff
	v_cndmask_b32_e64 v97, 0, v73, s9
	v_dual_add_f32 v73, v86, v76 :: v_dual_mul_f32 v86, 0x3fb8aa3b, v77
	v_exp_f32_e32 v75, v75
	v_cndmask_b32_e64 v77, 0, v74, s10
	v_fma_f32 v74, s78, v79, -v85
	s_delay_alu instid0(VALU_DEP_3) | instskip(SKIP_1) | instid1(VALU_DEP_1)
	v_add_f32_e32 v73, v73, v97
	v_exp_f32_e32 v86, v86
	v_dual_mul_f32 v74, 0x3fb8aa3b, v74 :: v_dual_add_f32 v73, v73, v77
	s_waitcnt_depctr 0xfff
	v_cndmask_b32_e64 v79, 0, v75, s11
	v_exp_f32_e32 v75, v78
	v_cndmask_b32_e64 v78, 0, v88, s12
	v_exp_f32_e32 v74, v74
	v_cndmask_b32_e64 v98, 0, v86, s13
	v_dual_mul_f32 v86, 0x3fb8aa3b, v80 :: v_dual_add_f32 v73, v73, v79
	s_delay_alu instid0(VALU_DEP_1)
	v_add_f32_e32 v73, v73, v78
	s_waitcnt_depctr 0xfff
	v_cndmask_b32_e64 v80, 0, v75, s16
	v_exp_f32_e32 v75, v86
	v_cndmask_b32_e64 v100, 0, v74, s17
	v_add_f32_e32 v73, v73, v98
	s_delay_alu instid0(VALU_DEP_1) | instskip(SKIP_4) | instid1(VALU_DEP_2)
	v_add_f32_e32 v73, v73, v80
	s_waitcnt_depctr 0xfff
	v_cndmask_b32_e64 v99, 0, v75, s18
	v_and_b32_e32 v75, 31, v0
	v_add_f32_e32 v73, v73, v100
	v_cmp_lt_u32_e64 s2, 15, v75
	s_delay_alu instid0(VALU_DEP_2)
	v_add_f32_e32 v73, v73, v99
	ds_bpermute_b32 v74, v87, v73
	v_cmpx_gt_u32_e32 16, v75
	s_cbranch_execz .LBB382_11
; %bb.10:
	v_mul_u32_u24_e32 v75, 0x44, v84
	s_delay_alu instid0(VALU_DEP_1) | instskip(SKIP_1) | instid1(VALU_DEP_1)
	v_lshl_add_u32 v75, v81, 2, v75
	s_waitcnt lgkmcnt(0)
	v_dual_add_f32 v73, v73, v74 :: v_dual_add_nc_u32 v74, 0x4000, v75
	ds_store_2addr_b32 v74, v85, v73 offset1:136
.LBB382_11:
	s_or_b32 exec_lo, exec_lo, s3
	v_lshlrev_b32_e32 v73, 2, v81
	s_load_b64 s[36:37], s[0:1], 0x94
	s_waitcnt lgkmcnt(0)
	s_barrier
	buffer_gl0_inv
	v_add_nc_u32_e32 v73, 0x4000, v73
	v_cmp_eq_u32_e32 vcc_lo, 1, v84
	v_cmp_eq_u32_e64 s3, 2, v84
	v_cmp_eq_u32_e64 s4, 3, v84
	v_cmp_eq_u32_e64 s6, 4, v84
	ds_load_2addr_b32 v[85:86], v73 offset1:17
	ds_load_2addr_b32 v[87:88], v73 offset0:34 offset1:51
	ds_load_2addr_b32 v[101:102], v73 offset0:68 offset1:85
	ds_load_2addr_b32 v[103:104], v73 offset0:102 offset1:119
	ds_load_2addr_b32 v[105:106], v73 offset0:136 offset1:153
	v_cmp_eq_u32_e64 s7, 5, v84
	v_cmp_eq_u32_e64 s5, 6, v84
	s_waitcnt lgkmcnt(4)
	v_max3_f32 v74, v85, 0xff7fffff, v86
	s_waitcnt lgkmcnt(3)
	s_delay_alu instid0(VALU_DEP_1) | instskip(SKIP_1) | instid1(VALU_DEP_1)
	v_max3_f32 v74, v74, v87, v88
	s_waitcnt lgkmcnt(2)
	v_max3_f32 v74, v74, v101, v102
	s_waitcnt lgkmcnt(1)
	s_delay_alu instid0(VALU_DEP_1) | instskip(NEXT) | instid1(VALU_DEP_1)
	v_max3_f32 v74, v74, v103, v104
	v_sub_f32_e32 v101, v101, v74
	v_sub_f32_e32 v75, v85, v74
	;; [unrolled: 1-line block ×3, first 2 shown]
	ds_load_2addr_b32 v[85:86], v73 offset0:170 offset1:187
	v_dual_sub_f32 v87, v87, v74 :: v_dual_mul_f32 v110, 0x3fb8aa3b, v101
	v_mul_f32_e32 v75, 0x3fb8aa3b, v75
	s_delay_alu instid0(VALU_DEP_2) | instskip(NEXT) | instid1(VALU_DEP_2)
	v_dual_mul_f32 v89, 0x3fb8aa3b, v89 :: v_dual_mul_f32 v108, 0x3fb8aa3b, v87
	v_exp_f32_e32 v107, v75
	v_sub_f32_e32 v75, v88, v74
	s_delay_alu instid0(VALU_DEP_2)
	v_exp_f32_e32 v89, v89
	ds_load_2addr_b32 v[87:88], v73 offset0:204 offset1:221
	v_exp_f32_e32 v108, v108
	v_mul_f32_e32 v109, 0x3fb8aa3b, v75
	s_waitcnt lgkmcnt(2)
	v_fma_f32 v75, v107, v105, 0
	v_sub_f32_e32 v105, v102, v74
	s_delay_alu instid0(VALU_DEP_3)
	v_exp_f32_e32 v109, v109
	ds_load_2addr_b32 v[101:102], v73 offset0:238 offset1:255
	v_sub_f32_e32 v73, v103, v74
	v_fmac_f32_e32 v75, v89, v106
	v_mul_f32_e32 v103, 0x3fb8aa3b, v105
	v_exp_f32_e32 v105, v110
	s_waitcnt lgkmcnt(0)
	v_mul_f32_e32 v73, 0x3fb8aa3b, v73
	v_fmac_f32_e32 v75, v108, v85
	v_sub_f32_e32 v85, v104, v74
	v_exp_f32_e32 v103, v103
	s_barrier
	v_exp_f32_e32 v104, v73
	v_fmac_f32_e32 v75, v109, v86
	v_mul_f32_e32 v85, 0x3fb8aa3b, v85
	v_lshl_or_b32 v86, v84, 11, v83
	buffer_gl0_inv
	v_fmac_f32_e32 v75, v105, v87
	v_exp_f32_e32 v106, v85
	v_cndmask_b32_e32 v85, v107, v89, vcc_lo
	s_delay_alu instid0(VALU_DEP_2) | instskip(NEXT) | instid1(VALU_DEP_1)
	v_fmac_f32_e32 v75, v103, v88
	v_fmac_f32_e32 v75, v104, v101
	s_waitcnt_depctr 0xfff
	v_fmac_f32_e32 v75, v106, v102
	s_delay_alu instid0(VALU_DEP_1) | instskip(NEXT) | instid1(VALU_DEP_1)
	v_add_f32_e32 v101, 0x358637bd, v75
	v_div_scale_f32 v102, null, v101, v101, 1.0
	v_div_scale_f32 v107, vcc_lo, 1.0, v101, 1.0
	s_delay_alu instid0(VALU_DEP_2) | instskip(SKIP_2) | instid1(VALU_DEP_1)
	v_rcp_f32_e32 v110, v102
	s_waitcnt_depctr 0xfff
	v_fma_f32 v73, -v102, v110, 1.0
	v_fmac_f32_e32 v110, v73, v110
	v_cndmask_b32_e64 v73, v85, v108, s3
	v_cmp_eq_u32_e64 s3, 7, v84
	v_lshl_or_b32 v84, v82, 4, v86
	v_lshlrev_b32_e32 v85, 2, v82
	v_mul_f32_e32 v108, v107, v110
	v_cndmask_b32_e64 v73, v73, v109, s4
	s_delay_alu instid0(VALU_DEP_3) | instskip(NEXT) | instid1(VALU_DEP_3)
	v_or_b32_e32 v89, 2, v85
	v_fma_f32 v87, -v102, v108, v107
	s_delay_alu instid0(VALU_DEP_3)
	v_cndmask_b32_e64 v88, v73, v105, s6
	v_cmp_eq_u32_e64 s4, 1, v85
	v_cmp_eq_u32_e64 s6, 4, v85
	;; [unrolled: 1-line block ×3, first 2 shown]
	v_fmac_f32_e32 v108, v87, v110
	v_cndmask_b32_e64 v103, v88, v103, s7
	v_or_b32_e32 v87, 1, v85
	v_or_b32_e32 v88, 3, v85
	v_cmp_eq_u32_e64 s16, 2, v89
	v_fma_f32 v102, -v102, v108, v107
	v_cndmask_b32_e64 v103, v103, v104, s5
	v_cmp_eq_u32_e64 s9, 1, v87
	v_cmp_eq_u32_e64 s11, 1, v88
	;; [unrolled: 1-line block ×3, first 2 shown]
	v_div_fmas_f32 v102, v102, v110, v108
	v_cndmask_b32_e64 v103, v103, v106, s3
	v_cmp_eq_u32_e32 vcc_lo, 2, v85
	v_cmp_eq_u32_e64 s17, 2, v88
	v_cmp_eq_u32_e64 s5, 3, v85
	v_div_fixup_f32 v101, v102, v101, 1.0
	v_cmp_eq_u32_e64 s13, 3, v87
	v_cmp_eq_u32_e64 s19, 3, v88
	;; [unrolled: 1-line block ×4, first 2 shown]
	v_mul_f32_e32 v105, v103, v101
	v_cmp_eq_u32_e64 s23, 4, v88
	v_cmp_eq_u32_e64 s3, 5, v85
	;; [unrolled: 1-line block ×4, first 2 shown]
	v_fma_mixlo_f16 v101, v105, v91, 0
	v_fma_mixlo_f16 v102, v105, v93, 0
	;; [unrolled: 1-line block ×8, first 2 shown]
	v_fma_mixhi_f16 v101, v105, v90, 0
	v_fma_mixhi_f16 v102, v105, v92, 0
	;; [unrolled: 1-line block ×8, first 2 shown]
	ds_store_b128 v84, v[101:104]
	ds_store_b128 v84, v[95:98] offset:1024
	s_waitcnt lgkmcnt(0)
	s_barrier
	buffer_gl0_inv
	ds_load_b128 v[76:79], v86
	ds_load_b128 v[90:93], v86 offset:16
	ds_load_b128 v[94:97], v86 offset:1024
	;; [unrolled: 1-line block ×3, first 2 shown]
	v_cmp_eq_u32_e64 s25, 5, v88
	v_cmp_eq_u32_e64 s7, 6, v85
	;; [unrolled: 1-line block ×10, first 2 shown]
	v_mov_b32_e32 v73, 0
	s_waitcnt lgkmcnt(3)
	v_lshrrev_b32_e32 v80, 16, v76
	s_waitcnt lgkmcnt(2)
	v_lshrrev_b32_e32 v105, 16, v90
	;; [unrolled: 2-line block ×4, first 2 shown]
	v_lshrrev_b32_e32 v102, 16, v77
	v_cndmask_b32_e64 v117, v76, v80, s4
	v_cndmask_b32_e64 v118, v90, v105, s4
	;; [unrolled: 1-line block ×7, first 2 shown]
	v_lshrrev_b32_e32 v106, 16, v91
	v_cndmask_b32_e64 v122, v90, v105, s10
	v_cndmask_b32_e64 v90, v94, v109, s4
	;; [unrolled: 1-line block ×9, first 2 shown]
	v_cndmask_b32_e32 v109, v117, v77, vcc_lo
	v_cndmask_b32_e32 v113, v118, v91, vcc_lo
	v_cndmask_b32_e64 v117, v119, v77, s12
	v_cndmask_b32_e64 v118, v120, v91, s12
	;; [unrolled: 1-line block ×5, first 2 shown]
	v_lshrrev_b32_e32 v110, 16, v95
	v_lshrrev_b32_e32 v114, 16, v99
	v_cndmask_b32_e64 v120, v122, v91, s16
	v_cndmask_b32_e32 v80, v90, v95, vcc_lo
	v_cndmask_b32_e32 v90, v105, v99, vcc_lo
	v_cndmask_b32_e64 v91, v123, v95, s12
	v_cndmask_b32_e64 v105, v125, v95, s16
	;; [unrolled: 1-line block ×10, first 2 shown]
	v_lshrrev_b32_e32 v103, 16, v78
	v_lshrrev_b32_e32 v107, 16, v92
	v_cndmask_b32_e64 v118, v119, v102, s18
	v_cndmask_b32_e64 v119, v120, v106, s18
	;; [unrolled: 1-line block ×11, first 2 shown]
	v_lshrrev_b32_e32 v111, 16, v96
	v_cndmask_b32_e64 v113, v118, v78, s22
	v_cndmask_b32_e64 v117, v119, v92, s22
	;; [unrolled: 1-line block ×11, first 2 shown]
	v_lshrrev_b32_e32 v104, 16, v79
	v_lshrrev_b32_e32 v108, 16, v93
	v_cndmask_b32_e64 v106, v113, v103, s24
	v_cndmask_b32_e64 v109, v117, v107, s24
	;; [unrolled: 1-line block ×9, first 2 shown]
	v_lshrrev_b32_e32 v112, 16, v97
	v_cndmask_b32_e64 v78, v78, v111, s3
	v_cndmask_b32_e64 v103, v106, v79, s27
	;; [unrolled: 1-line block ×14, first 2 shown]
	v_perm_b32 v79, v77, v76, 0x5040100
	v_perm_b32 v77, v102, v92, 0x5040100
	v_cndmask_b32_e64 v76, v126, v99, s16
	v_cndmask_b32_e64 v92, v124, v99, s12
	v_cndmask_b32_e64 v103, v78, v112, s8
	v_perm_b32 v78, v98, v93, 0x5040100
	v_cndmask_b32_e64 v93, v105, v110, s18
	v_cndmask_b32_e64 v94, v94, v110, s19
	;; [unrolled: 1-line block ×5, first 2 shown]
	v_lshrrev_b32_e32 v115, 16, v100
	v_cndmask_b32_e64 v93, v93, v96, s22
	v_cndmask_b32_e64 v94, v94, v96, s23
	;; [unrolled: 1-line block ×11, first 2 shown]
	v_lshrrev_b32_e32 v116, 16, v101
	v_cndmask_b32_e64 v80, v80, v101, s7
	v_cndmask_b32_e64 v93, v93, v97, s27
	;; [unrolled: 1-line block ×12, first 2 shown]
	v_perm_b32 v76, v91, v90, 0x5040100
	v_perm_b32 v93, v94, v93, 0x5040100
	;; [unrolled: 1-line block ×5, first 2 shown]
	s_mov_b32 s3, exec_lo
	ds_store_b128 v84, v[76:79]
	ds_store_b128 v84, v[90:93] offset:1024
	v_cmpx_eq_u32_e32 0, v0
	s_cbranch_execz .LBB382_13
; %bb.12:
	s_load_b128 s[4:7], s[0:1], 0x58
	s_mul_i32 s8, s37, s34
	s_delay_alu instid0(SALU_CYCLE_1) | instskip(NEXT) | instid1(SALU_CYCLE_1)
	s_add_i32 s8, s8, s15
	s_mul_i32 s8, s8, s36
	s_delay_alu instid0(SALU_CYCLE_1) | instskip(NEXT) | instid1(SALU_CYCLE_1)
	s_add_i32 s8, s8, s14
	s_ashr_i32 s9, s8, 31
	s_delay_alu instid0(SALU_CYCLE_1)
	s_lshl_b64 s[8:9], s[8:9], 2
	s_waitcnt lgkmcnt(0)
	s_add_u32 s6, s6, s8
	s_addc_u32 s7, s7, s9
	s_add_u32 s4, s4, s8
	s_addc_u32 s5, s5, s9
	s_clause 0x1
	global_store_b32 v73, v74, s[6:7]
	global_store_b32 v73, v75, s[4:5]
.LBB382_13:
	s_or_b32 exec_lo, exec_lo, s3
	s_waitcnt lgkmcnt(0)
	s_waitcnt_vscnt null, 0x0
	s_barrier
	buffer_gl0_inv
	ds_load_b128 v[90:93], v83
	ds_load_b128 v[94:97], v83 offset:16
	ds_load_b128 v[102:105], v83 offset:1040
	;; [unrolled: 1-line block ×5, first 2 shown]
	v_mov_b32_e32 v74, v73
	v_mov_b32_e32 v75, v73
	;; [unrolled: 1-line block ×7, first 2 shown]
	ds_load_b128 v[118:121], v83 offset:3088
	ds_load_b128 v[114:117], v83 offset:3072
	;; [unrolled: 1-line block ×4, first 2 shown]
	v_cmp_eq_u32_e32 vcc_lo, 1, v89
	v_cmp_eq_u32_e64 s3, 1, v85
	v_cmp_eq_u32_e64 s4, 1, v88
	;; [unrolled: 1-line block ×4, first 2 shown]
	s_xor_b32 s2, s2, -1
	s_waitcnt lgkmcnt(8)
	v_wmma_f32_16x16x16_f16 v[73:80], v[65:72], v[90:97], v[73:80]
	ds_load_b128 v[69:72], v83 offset:5136
	ds_load_b128 v[65:68], v83 offset:5120
	;; [unrolled: 1-line block ×4, first 2 shown]
	s_waitcnt lgkmcnt(10)
	v_wmma_f32_16x16x16_f16 v[73:80], v[57:64], v[98:105], v[73:80]
	s_waitcnt lgkmcnt(8)
	s_delay_alu instid0(VALU_DEP_1)
	v_wmma_f32_16x16x16_f16 v[73:80], v[57:64], v[106:113], v[73:80]
	ds_load_b128 v[61:64], v83 offset:7184
	ds_load_b128 v[57:60], v83 offset:7168
	;; [unrolled: 1-line block ×4, first 2 shown]
	s_waitcnt lgkmcnt(10)
	v_wmma_f32_16x16x16_f16 v[73:80], v[49:56], v[114:121], v[73:80]
	s_waitcnt lgkmcnt(8)
	s_delay_alu instid0(VALU_DEP_1)
	v_wmma_f32_16x16x16_f16 v[73:80], v[49:56], v[122:129], v[73:80]
	ds_load_b128 v[53:56], v83 offset:9232
	ds_load_b128 v[49:52], v83 offset:9216
	s_waitcnt lgkmcnt(8)
	v_wmma_f32_16x16x16_f16 v[73:80], v[41:48], v[65:72], v[73:80]
	ds_load_b128 v[69:72], v83 offset:10256
	ds_load_b128 v[65:68], v83 offset:10240
	s_waitcnt lgkmcnt(8)
	;; [unrolled: 4-line block ×7, first 2 shown]
	s_barrier
	buffer_gl0_inv
	v_wmma_f32_16x16x16_f16 v[73:80], v[1:8], v[41:48], v[73:80]
	s_delay_alu instid0(VALU_DEP_1) | instskip(NEXT) | instid1(VALU_DEP_1)
	v_wmma_f32_16x16x16_f16 v[73:80], v[1:8], v[57:64], v[73:80]
	v_wmma_f32_16x16x16_f16 v[73:80], v[33:40], v[17:24], v[73:80]
	s_delay_alu instid0(VALU_DEP_1) | instskip(NEXT) | instid1(VALU_DEP_1)
	v_wmma_f32_16x16x16_f16 v[73:80], v[33:40], v[49:56], v[73:80]
	v_wmma_f32_16x16x16_f16 v[73:80], v[25:32], v[9:16], v[73:80]
	s_delay_alu instid0(VALU_DEP_1) | instskip(NEXT) | instid1(VALU_DEP_2)
	v_cvt_f16_f32_e32 v1, v73
	v_cvt_f16_f32_e32 v2, v74
	s_delay_alu instid0(VALU_DEP_3) | instskip(NEXT) | instid1(VALU_DEP_4)
	v_cvt_f16_f32_e32 v3, v75
	v_cvt_f16_f32_e32 v4, v76
	;; [unrolled: 1-line block ×6, first 2 shown]
	v_pack_b32_f16 v1, v1, v2
	v_pack_b32_f16 v2, v3, v4
	;; [unrolled: 1-line block ×3, first 2 shown]
	s_delay_alu instid0(VALU_DEP_4)
	v_pack_b32_f16 v4, v7, v8
	ds_store_b128 v84, v[1:4]
	s_waitcnt lgkmcnt(0)
	s_barrier
	buffer_gl0_inv
	ds_load_b128 v[1:4], v86
	ds_load_b128 v[5:8], v86 offset:16
	s_waitcnt lgkmcnt(1)
	v_lshrrev_b32_e32 v9, 16, v1
	s_waitcnt lgkmcnt(0)
	v_lshrrev_b32_e32 v13, 16, v5
	v_lshrrev_b32_e32 v15, 16, v7
	;; [unrolled: 1-line block ×4, first 2 shown]
	v_cndmask_b32_e64 v17, v1, v9, s3
	v_cndmask_b32_e64 v18, v5, v13, s3
	;; [unrolled: 1-line block ×3, first 2 shown]
	v_cmp_eq_u32_e64 s3, 2, v87
	v_cndmask_b32_e64 v20, v5, v13, s5
	v_cndmask_b32_e32 v21, v1, v9, vcc_lo
	v_cndmask_b32_e32 v22, v5, v13, vcc_lo
	v_cndmask_b32_e64 v1, v1, v9, s4
	v_cndmask_b32_e64 v5, v5, v13, s4
	v_cmp_eq_u32_e32 vcc_lo, 2, v89
	v_cmp_eq_u32_e64 s4, 2, v88
	v_cndmask_b32_e64 v9, v17, v2, s6
	v_cndmask_b32_e64 v13, v18, v6, s6
	;; [unrolled: 1-line block ×4, first 2 shown]
	v_cndmask_b32_e32 v19, v21, v2, vcc_lo
	v_cmp_eq_u32_e64 s3, 3, v89
	v_cndmask_b32_e32 v20, v22, v6, vcc_lo
	v_cndmask_b32_e64 v1, v1, v2, s4
	v_cmp_eq_u32_e32 vcc_lo, 3, v88
	v_cmp_eq_u32_e64 s5, 3, v85
	v_cndmask_b32_e64 v2, v5, v6, s4
	v_cmp_eq_u32_e64 s4, 3, v87
	v_lshrrev_b32_e32 v16, 16, v8
	v_cmp_eq_u32_e64 s6, 4, v85
	v_cndmask_b32_e64 v5, v9, v10, s5
	v_cndmask_b32_e64 v6, v13, v14, s5
	;; [unrolled: 1-line block ×3, first 2 shown]
	v_cmp_eq_u32_e64 s5, 4, v87
	v_cndmask_b32_e64 v13, v18, v14, s4
	v_cndmask_b32_e64 v17, v19, v10, s3
	;; [unrolled: 1-line block ×3, first 2 shown]
	v_cndmask_b32_e32 v1, v1, v10, vcc_lo
	v_cndmask_b32_e32 v2, v2, v14, vcc_lo
	v_cmp_eq_u32_e32 vcc_lo, 4, v89
	v_cmp_eq_u32_e64 s4, 4, v88
	v_lshrrev_b32_e32 v11, 16, v3
	v_cndmask_b32_e64 v5, v5, v3, s6
	v_cndmask_b32_e64 v6, v6, v7, s6
	v_cndmask_b32_e64 v9, v9, v3, s5
	v_cndmask_b32_e64 v10, v13, v7, s5
	v_cndmask_b32_e32 v13, v17, v3, vcc_lo
	v_cmp_eq_u32_e64 s3, 5, v89
	v_cndmask_b32_e32 v14, v18, v7, vcc_lo
	v_cndmask_b32_e64 v1, v1, v3, s4
	v_cmp_eq_u32_e32 vcc_lo, 5, v88
	v_cmp_eq_u32_e64 s5, 5, v85
	v_cndmask_b32_e64 v2, v2, v7, s4
	v_cmp_eq_u32_e64 s4, 5, v87
	v_cmp_eq_u32_e64 s6, 6, v85
	v_cndmask_b32_e32 v1, v1, v11, vcc_lo
	v_cndmask_b32_e64 v3, v5, v11, s5
	v_cndmask_b32_e64 v5, v6, v15, s5
	;; [unrolled: 1-line block ×3, first 2 shown]
	v_cmp_eq_u32_e64 s5, 6, v87
	v_cndmask_b32_e64 v7, v10, v15, s4
	v_cndmask_b32_e64 v9, v13, v11, s3
	v_cndmask_b32_e64 v10, v14, v15, s3
	v_cndmask_b32_e32 v2, v2, v15, vcc_lo
	v_cmp_eq_u32_e32 vcc_lo, 6, v89
	v_cmp_eq_u32_e64 s3, 6, v88
	v_lshrrev_b32_e32 v12, 16, v4
	v_cndmask_b32_e64 v3, v3, v4, s6
	v_cndmask_b32_e64 v5, v5, v8, s6
	;; [unrolled: 1-line block ×4, first 2 shown]
	v_cndmask_b32_e32 v9, v9, v4, vcc_lo
	v_cmp_eq_u32_e64 s4, 7, v89
	v_cndmask_b32_e32 v10, v10, v8, vcc_lo
	v_cndmask_b32_e64 v1, v1, v4, s3
	v_cmp_eq_u32_e32 vcc_lo, 7, v88
	v_cndmask_b32_e64 v2, v2, v8, s3
	v_cmp_eq_u32_e64 s3, 7, v85
	v_cmp_eq_u32_e64 s5, 7, v87
	v_cndmask_b32_e32 v1, v1, v12, vcc_lo
	s_delay_alu instid0(VALU_DEP_4) | instskip(NEXT) | instid1(VALU_DEP_4)
	v_cndmask_b32_e32 v2, v2, v16, vcc_lo
	v_cndmask_b32_e64 v8, v3, v12, s3
	s_delay_alu instid0(VALU_DEP_4)
	v_cndmask_b32_e64 v6, v6, v12, s5
	v_cndmask_b32_e64 v3, v9, v12, s4
	;; [unrolled: 1-line block ×5, first 2 shown]
	v_cmp_gt_u32_e32 vcc_lo, 32, v0
	v_perm_b32 v4, v2, v1, 0x5040100
	v_perm_b32 v3, v9, v3, 0x5040100
	;; [unrolled: 1-line block ×4, first 2 shown]
	s_and_b32 s2, vcc_lo, s2
	ds_store_b128 v84, v[1:4]
	s_waitcnt lgkmcnt(0)
	s_barrier
	buffer_gl0_inv
	s_and_saveexec_b32 s3, s2
	s_cbranch_execz .LBB382_2
; %bb.14:
	s_load_b64 s[0:1], s[0:1], 0x68
	v_lshlrev_b32_e32 v1, 10, v0
	v_and_b32_e32 v0, 1, v0
	v_lshlrev_b32_e32 v2, 6, v82
	s_lshl_b32 s4, s36, 7
	v_lshlrev_b32_e32 v4, 3, v81
	v_and_b32_e32 v1, 0x3800, v1
	v_lshlrev_b32_e32 v0, 4, v0
	s_mul_i32 s2, s4, s34
	s_delay_alu instid0(SALU_CYCLE_1) | instskip(SKIP_1) | instid1(VALU_DEP_2)
	s_mul_i32 s2, s2, s37
	v_lshlrev_b32_e32 v4, 1, v4
	v_or3_b32 v0, v1, v2, v0
	s_ashr_i32 s3, s2, 31
	s_delay_alu instid0(SALU_CYCLE_1)
	s_lshl_b64 s[2:3], s[2:3], 1
	ds_load_b128 v[0:3], v0
	s_waitcnt lgkmcnt(0)
	s_add_u32 s5, s0, s2
	s_addc_u32 s3, s1, s3
	s_lshl_b32 s0, s14, 7
	s_mul_i32 s2, s4, s15
	s_ashr_i32 s1, s0, 31
	s_delay_alu instid0(SALU_CYCLE_1) | instskip(NEXT) | instid1(SALU_CYCLE_1)
	s_lshl_b64 s[0:1], s[0:1], 1
	s_add_u32 s4, s5, s0
	s_addc_u32 s5, s3, s1
	s_ashr_i32 s3, s2, 31
	s_delay_alu instid0(SALU_CYCLE_1) | instskip(NEXT) | instid1(SALU_CYCLE_1)
	s_lshl_b64 s[0:1], s[2:3], 1
	s_add_u32 s0, s4, s0
	s_addc_u32 s1, s5, s1
	global_store_b128 v4, v[0:3], s[0:1]
	s_nop 0
	s_sendmsg sendmsg(MSG_DEALLOC_VGPRS)
	s_endpgm
	.section	.rodata,"a",@progbits
	.p2align	6, 0x0
	.amdhsa_kernel _Z39paged_attention_ll4mi_QKV_mfma16_kernelIDF16_DF16_LN4vllm18Fp8KVCacheDataTypeE0EDF16_Li32ELi128ELi256ELb0ELi1EL8MFMAType0EEvPKT_PKT0_S8_ifPKiSA_SA_iPKfiiiPfSD_PS3_PT2_iSC_SC_
		.amdhsa_group_segment_fixed_size 17472
		.amdhsa_private_segment_fixed_size 0
		.amdhsa_kernarg_size 400
		.amdhsa_user_sgpr_count 13
		.amdhsa_user_sgpr_dispatch_ptr 0
		.amdhsa_user_sgpr_queue_ptr 0
		.amdhsa_user_sgpr_kernarg_segment_ptr 1
		.amdhsa_user_sgpr_dispatch_id 0
		.amdhsa_user_sgpr_private_segment_size 0
		.amdhsa_wavefront_size32 1
		.amdhsa_uses_dynamic_stack 0
		.amdhsa_enable_private_segment 0
		.amdhsa_system_sgpr_workgroup_id_x 1
		.amdhsa_system_sgpr_workgroup_id_y 1
		.amdhsa_system_sgpr_workgroup_id_z 1
		.amdhsa_system_sgpr_workgroup_info 0
		.amdhsa_system_vgpr_workitem_id 0
		.amdhsa_next_free_vgpr 165
		.amdhsa_next_free_sgpr 96
		.amdhsa_reserve_vcc 1
		.amdhsa_float_round_mode_32 0
		.amdhsa_float_round_mode_16_64 0
		.amdhsa_float_denorm_mode_32 3
		.amdhsa_float_denorm_mode_16_64 3
		.amdhsa_dx10_clamp 1
		.amdhsa_ieee_mode 1
		.amdhsa_fp16_overflow 0
		.amdhsa_workgroup_processor_mode 1
		.amdhsa_memory_ordered 1
		.amdhsa_forward_progress 0
		.amdhsa_shared_vgpr_count 0
		.amdhsa_exception_fp_ieee_invalid_op 0
		.amdhsa_exception_fp_denorm_src 0
		.amdhsa_exception_fp_ieee_div_zero 0
		.amdhsa_exception_fp_ieee_overflow 0
		.amdhsa_exception_fp_ieee_underflow 0
		.amdhsa_exception_fp_ieee_inexact 0
		.amdhsa_exception_int_div_zero 0
	.end_amdhsa_kernel
	.section	.text._Z39paged_attention_ll4mi_QKV_mfma16_kernelIDF16_DF16_LN4vllm18Fp8KVCacheDataTypeE0EDF16_Li32ELi128ELi256ELb0ELi1EL8MFMAType0EEvPKT_PKT0_S8_ifPKiSA_SA_iPKfiiiPfSD_PS3_PT2_iSC_SC_,"axG",@progbits,_Z39paged_attention_ll4mi_QKV_mfma16_kernelIDF16_DF16_LN4vllm18Fp8KVCacheDataTypeE0EDF16_Li32ELi128ELi256ELb0ELi1EL8MFMAType0EEvPKT_PKT0_S8_ifPKiSA_SA_iPKfiiiPfSD_PS3_PT2_iSC_SC_,comdat
.Lfunc_end382:
	.size	_Z39paged_attention_ll4mi_QKV_mfma16_kernelIDF16_DF16_LN4vllm18Fp8KVCacheDataTypeE0EDF16_Li32ELi128ELi256ELb0ELi1EL8MFMAType0EEvPKT_PKT0_S8_ifPKiSA_SA_iPKfiiiPfSD_PS3_PT2_iSC_SC_, .Lfunc_end382-_Z39paged_attention_ll4mi_QKV_mfma16_kernelIDF16_DF16_LN4vllm18Fp8KVCacheDataTypeE0EDF16_Li32ELi128ELi256ELb0ELi1EL8MFMAType0EEvPKT_PKT0_S8_ifPKiSA_SA_iPKfiiiPfSD_PS3_PT2_iSC_SC_
                                        ; -- End function
	.section	.AMDGPU.csdata,"",@progbits
; Kernel info:
; codeLenInByte = 7284
; NumSgprs: 98
; NumVgprs: 165
; ScratchSize: 0
; MemoryBound: 1
; FloatMode: 240
; IeeeMode: 1
; LDSByteSize: 17472 bytes/workgroup (compile time only)
; SGPRBlocks: 12
; VGPRBlocks: 20
; NumSGPRsForWavesPerEU: 98
; NumVGPRsForWavesPerEU: 165
; Occupancy: 9
; WaveLimiterHint : 1
; COMPUTE_PGM_RSRC2:SCRATCH_EN: 0
; COMPUTE_PGM_RSRC2:USER_SGPR: 13
; COMPUTE_PGM_RSRC2:TRAP_HANDLER: 0
; COMPUTE_PGM_RSRC2:TGID_X_EN: 1
; COMPUTE_PGM_RSRC2:TGID_Y_EN: 1
; COMPUTE_PGM_RSRC2:TGID_Z_EN: 1
; COMPUTE_PGM_RSRC2:TIDIG_COMP_CNT: 0
	.section	.text._Z39paged_attention_ll4mi_QKV_mfma16_kernelIDF16_DF16_LN4vllm18Fp8KVCacheDataTypeE0EDF16_Li32ELi128ELi256ELb0ELi2EL8MFMAType0EEvPKT_PKT0_S8_ifPKiSA_SA_iPKfiiiPfSD_PS3_PT2_iSC_SC_,"axG",@progbits,_Z39paged_attention_ll4mi_QKV_mfma16_kernelIDF16_DF16_LN4vllm18Fp8KVCacheDataTypeE0EDF16_Li32ELi128ELi256ELb0ELi2EL8MFMAType0EEvPKT_PKT0_S8_ifPKiSA_SA_iPKfiiiPfSD_PS3_PT2_iSC_SC_,comdat
	.protected	_Z39paged_attention_ll4mi_QKV_mfma16_kernelIDF16_DF16_LN4vllm18Fp8KVCacheDataTypeE0EDF16_Li32ELi128ELi256ELb0ELi2EL8MFMAType0EEvPKT_PKT0_S8_ifPKiSA_SA_iPKfiiiPfSD_PS3_PT2_iSC_SC_ ; -- Begin function _Z39paged_attention_ll4mi_QKV_mfma16_kernelIDF16_DF16_LN4vllm18Fp8KVCacheDataTypeE0EDF16_Li32ELi128ELi256ELb0ELi2EL8MFMAType0EEvPKT_PKT0_S8_ifPKiSA_SA_iPKfiiiPfSD_PS3_PT2_iSC_SC_
	.globl	_Z39paged_attention_ll4mi_QKV_mfma16_kernelIDF16_DF16_LN4vllm18Fp8KVCacheDataTypeE0EDF16_Li32ELi128ELi256ELb0ELi2EL8MFMAType0EEvPKT_PKT0_S8_ifPKiSA_SA_iPKfiiiPfSD_PS3_PT2_iSC_SC_
	.p2align	8
	.type	_Z39paged_attention_ll4mi_QKV_mfma16_kernelIDF16_DF16_LN4vllm18Fp8KVCacheDataTypeE0EDF16_Li32ELi128ELi256ELb0ELi2EL8MFMAType0EEvPKT_PKT0_S8_ifPKiSA_SA_iPKfiiiPfSD_PS3_PT2_iSC_SC_,@function
_Z39paged_attention_ll4mi_QKV_mfma16_kernelIDF16_DF16_LN4vllm18Fp8KVCacheDataTypeE0EDF16_Li32ELi128ELi256ELb0ELi2EL8MFMAType0EEvPKT_PKT0_S8_ifPKiSA_SA_iPKfiiiPfSD_PS3_PT2_iSC_SC_: ; @_Z39paged_attention_ll4mi_QKV_mfma16_kernelIDF16_DF16_LN4vllm18Fp8KVCacheDataTypeE0EDF16_Li32ELi128ELi256ELb0ELi2EL8MFMAType0EEvPKT_PKT0_S8_ifPKiSA_SA_iPKfiiiPfSD_PS3_PT2_iSC_SC_
; %bb.0:
	s_load_b64 s[2:3], s[0:1], 0x30
	s_mov_b32 s34, s13
	s_waitcnt lgkmcnt(0)
	s_cmp_lg_u64 s[2:3], 0
	s_cselect_b32 s6, -1, 0
	s_ashr_i32 s35, s13, 31
	s_cmp_eq_u64 s[2:3], 0
	s_cbranch_scc1 .LBB383_3
; %bb.1:
	s_lshl_b64 s[4:5], s[34:35], 2
	s_delay_alu instid0(SALU_CYCLE_1) | instskip(SKIP_4) | instid1(SALU_CYCLE_1)
	s_add_u32 s4, s2, s4
	s_addc_u32 s5, s3, s5
	s_load_b64 s[4:5], s[4:5], 0x0
	s_waitcnt lgkmcnt(0)
	s_sub_i32 s4, s5, s4
	s_cmp_eq_u32 s4, 1
	s_cselect_b32 s4, -1, 0
	s_delay_alu instid0(SALU_CYCLE_1)
	s_and_not1_b32 vcc_lo, exec_lo, s4
	s_cbranch_vccz .LBB383_4
.LBB383_2:
	s_endpgm
.LBB383_3:
.LBB383_4:
	s_load_b64 s[8:9], s[0:1], 0x28
	s_lshl_b64 s[4:5], s[34:35], 2
	s_waitcnt lgkmcnt(0)
	s_add_u32 s8, s8, s4
	s_addc_u32 s9, s9, s5
	s_lshl_b32 s16, s14, 8
	s_load_b32 s18, s[8:9], 0x0
	s_waitcnt lgkmcnt(0)
	s_cmp_ge_i32 s16, s18
	s_cbranch_scc1 .LBB383_2
; %bb.5:
	s_and_not1_b32 vcc_lo, exec_lo, s6
	s_cbranch_vccnz .LBB383_7
; %bb.6:
	s_add_u32 s2, s2, s4
	s_addc_u32 s3, s3, s5
	s_load_b32 s3, s[2:3], 0x0
	s_branch .LBB383_8
.LBB383_7:
	s_mov_b32 s3, s34
.LBB383_8:
	s_clause 0x2
	s_load_b128 s[8:11], s[0:1], 0x8
	s_load_b64 s[12:13], s[0:1], 0x20
	s_load_b128 s[4:7], s[0:1], 0x48
	v_and_b32_e32 v79, 15, v0
	v_bfe_u32 v78, v0, 4, 1
	v_cmp_gt_u32_e64 s2, 32, v0
	s_lshl_b32 s31, s15, 1
	s_waitcnt lgkmcnt(0)
	s_mov_b32 s7, exec_lo
	v_lshlrev_b32_e32 v1, 3, v79
	v_cmpx_lt_u32_e32 31, v0
	s_xor_b32 s7, exec_lo, s7
; %bb.9:
	v_mov_b32_e32 v2, 0
; %bb.10:
	s_or_saveexec_b32 s7, s7
	v_and_b32_e32 v81, 31, v0
	v_and_b32_e32 v77, 1, v0
	v_or_b32_e32 v76, s31, v78
	v_lshlrev_b32_e32 v75, 6, v78
	s_xor_b32 exec_lo, exec_lo, s7
	s_cbranch_execz .LBB383_12
; %bb.11:
	s_load_b64 s[20:21], s[0:1], 0x0
	v_lshlrev_b32_e32 v2, 7, v76
	s_mul_hi_i32 s23, s3, s4
	s_mul_i32 s22, s3, s4
	v_lshlrev_b32_e32 v4, 1, v1
	s_lshl_b64 s[22:23], s[22:23], 1
	v_ashrrev_i32_e32 v3, 31, v2
	v_lshlrev_b32_e32 v7, 10, v77
	s_delay_alu instid0(VALU_DEP_2) | instskip(SKIP_3) | instid1(VALU_DEP_1)
	v_lshlrev_b64 v[2:3], 1, v[2:3]
	s_waitcnt lgkmcnt(0)
	s_add_u32 s3, s20, s22
	s_addc_u32 s4, s21, s23
	v_add_co_u32 v2, vcc_lo, s3, v2
	s_delay_alu instid0(VALU_DEP_2) | instskip(NEXT) | instid1(VALU_DEP_2)
	v_add_co_ci_u32_e32 v3, vcc_lo, s4, v3, vcc_lo
	v_add_co_u32 v2, vcc_lo, v2, v4
	s_delay_alu instid0(VALU_DEP_2) | instskip(SKIP_2) | instid1(VALU_DEP_1)
	v_add_co_ci_u32_e32 v3, vcc_lo, 0, v3, vcc_lo
	global_load_b128 v[3:6], v[2:3], off
	v_lshlrev_b32_e32 v2, 10, v79
	v_and_b32_e32 v2, 0x3800, v2
	s_delay_alu instid0(VALU_DEP_1)
	v_or3_b32 v7, v2, v7, v75
	v_mov_b32_e32 v2, 0
	s_waitcnt vmcnt(0)
	ds_store_b128 v7, v[3:6]
.LBB383_12:
	s_or_b32 exec_lo, exec_lo, s7
	v_and_b32_e32 v3, 0xef, v0
	s_add_i32 s3, s18, 31
	s_clause 0x1
	s_load_b32 s4, s[0:1], 0x38
	s_load_b32 s33, s[0:1], 0x98
	s_ashr_i32 s7, s3, 31
	v_add_nc_u32_e32 v3, s16, v3
	s_lshr_b32 s7, s7, 27
	s_load_b32 s19, s[0:1], 0x1c
	s_add_i32 s3, s3, s7
	s_waitcnt lgkmcnt(0)
	v_ashrrev_i32_e32 v4, 31, v3
	v_cmp_gt_i32_e32 vcc_lo, s18, v3
	s_ashr_i32 s3, s3, 5
	s_barrier
	s_add_i32 s3, s3, -1
	v_lshrrev_b32_e32 v5, 27, v4
	v_or_b32_e32 v4, 16, v3
	buffer_gl0_inv
	s_mul_i32 s6, s15, s6
	v_lshlrev_b64 v[73:74], 1, v[1:2]
	v_add_nc_u32_e32 v6, v3, v5
	v_add_nc_u32_e32 v5, v4, v5
	s_mul_i32 s20, s34, s4
	v_lshrrev_b32_e32 v82, 5, v0
	s_ashr_i32 s21, s20, 31
	v_ashrrev_i32_e32 v6, 5, v6
	v_ashrrev_i32_e32 v5, 5, v5
	s_lshl_b64 s[20:21], s[20:21], 2
	v_lshlrev_b32_e32 v80, 6, v79
	s_add_u32 s4, s12, s20
	v_cndmask_b32_e32 v3, s3, v6, vcc_lo
	v_cmp_gt_i32_e32 vcc_lo, s18, v4
	s_addc_u32 s17, s13, s21
	s_ashr_i32 s7, s6, 31
	s_delay_alu instid0(SALU_CYCLE_1)
	s_lshl_b64 s[6:7], s[6:7], 1
	v_cndmask_b32_e32 v5, s3, v5, vcc_lo
	v_ashrrev_i32_e32 v4, 31, v3
	s_add_u32 s15, s8, s6
	s_addc_u32 s28, s9, s7
	s_lshl_b32 s8, s14, 3
	v_ashrrev_i32_e32 v6, 31, v5
	v_lshlrev_b64 v[3:4], 2, v[3:4]
	s_ashr_i32 s9, s8, 31
	s_delay_alu instid0(SALU_CYCLE_1) | instskip(NEXT) | instid1(VALU_DEP_2)
	s_lshl_b64 s[8:9], s[8:9], 2
	v_lshlrev_b64 v[5:6], 2, v[5:6]
	s_add_u32 s8, s4, s8
	s_delay_alu instid0(VALU_DEP_2) | instskip(SKIP_1) | instid1(VALU_DEP_3)
	v_add_co_u32 v3, vcc_lo, s4, v3
	v_add_co_ci_u32_e32 v4, vcc_lo, s17, v4, vcc_lo
	v_add_co_u32 v5, vcc_lo, s4, v5
	s_delay_alu instid0(VALU_DEP_4)
	v_add_co_ci_u32_e32 v6, vcc_lo, s17, v6, vcc_lo
	s_addc_u32 s9, s17, s9
	s_clause 0x1
	global_load_b32 v7, v[3:4], off
	global_load_b32 v8, v[5:6], off
	s_or_b32 s12, s16, 32
	s_delay_alu instid0(SALU_CYCLE_1) | instskip(SKIP_2) | instid1(SALU_CYCLE_1)
	s_ashr_i32 s13, s12, 5
	s_cmp_lt_i32 s12, s18
	s_cselect_b32 s12, s13, s3
	s_ashr_i32 s13, s12, 31
	s_delay_alu instid0(SALU_CYCLE_1) | instskip(NEXT) | instid1(SALU_CYCLE_1)
	s_lshl_b64 s[12:13], s[12:13], 2
	s_add_u32 s12, s4, s12
	s_addc_u32 s13, s17, s13
	s_or_b32 s20, s16, 64
	s_delay_alu instid0(SALU_CYCLE_1) | instskip(SKIP_2) | instid1(SALU_CYCLE_1)
	s_ashr_i32 s21, s20, 5
	s_cmp_lt_i32 s20, s18
	s_cselect_b32 s20, s21, s3
	s_ashr_i32 s21, s20, 31
	s_delay_alu instid0(SALU_CYCLE_1) | instskip(NEXT) | instid1(SALU_CYCLE_1)
	s_lshl_b64 s[20:21], s[20:21], 2
	s_add_u32 s20, s4, s20
	s_addc_u32 s21, s17, s21
	;; [unrolled: 10-line block ×5, first 2 shown]
	s_clause 0x5
	s_load_b32 s29, s[8:9], 0x0
	s_load_b32 s30, s[12:13], 0x0
	;; [unrolled: 1-line block ×6, first 2 shown]
	s_mov_b32 s20, 0
	s_or_b32 s8, s16, 0xc0
	s_mov_b32 s21, s20
	s_mov_b32 s22, s20
	;; [unrolled: 1-line block ×7, first 2 shown]
	s_delay_alu instid0(SALU_CYCLE_1)
	v_dual_mov_b32 v130, s27 :: v_dual_lshlrev_b32 v171, 6, v77
	v_mov_b32_e32 v124, s21
	s_ashr_i32 s9, s8, 5
	s_cmp_lt_i32 s8, s18
	v_mov_b32_e32 v129, s26
	s_cselect_b32 s8, s9, s3
	v_mov_b32_e32 v128, s25
	s_ashr_i32 s9, s8, 31
	v_dual_mov_b32 v127, s24 :: v_dual_mov_b32 v126, s23
	v_mov_b32_e32 v125, s22
	v_mov_b32_e32 v123, s20
	s_lshl_b64 s[8:9], s[8:9], 2
	s_waitcnt lgkmcnt(0)
	s_mul_hi_i32 s13, s29, s5
	s_add_u32 s8, s4, s8
	s_addc_u32 s9, s17, s9
	s_mul_i32 s12, s29, s5
	s_mul_hi_i32 s21, s30, s5
	s_mul_i32 s20, s30, s5
	s_mul_hi_i32 s25, s35, s5
	;; [unrolled: 2-line block ×3, first 2 shown]
	s_mul_i32 s26, s36, s5
	s_mul_i32 s36, s38, s5
	s_waitcnt vmcnt(1)
	v_mad_i64_i32 v[3:4], null, v7, s5, 0
	s_waitcnt vmcnt(0)
	v_mad_i64_i32 v[5:6], null, v8, s5, 0
	s_delay_alu instid0(VALU_DEP_2) | instskip(NEXT) | instid1(VALU_DEP_2)
	v_lshlrev_b64 v[3:4], 1, v[3:4]
	v_lshlrev_b64 v[1:2], 1, v[5:6]
	s_delay_alu instid0(VALU_DEP_2) | instskip(NEXT) | instid1(VALU_DEP_3)
	v_add_co_u32 v3, vcc_lo, s15, v3
	v_add_co_ci_u32_e32 v4, vcc_lo, s28, v4, vcc_lo
	s_delay_alu instid0(VALU_DEP_3) | instskip(NEXT) | instid1(VALU_DEP_4)
	v_add_co_u32 v1, vcc_lo, s15, v1
	v_add_co_ci_u32_e32 v2, vcc_lo, s28, v2, vcc_lo
	s_delay_alu instid0(VALU_DEP_4) | instskip(NEXT) | instid1(VALU_DEP_4)
	v_add_co_u32 v65, vcc_lo, v3, v73
	v_add_co_ci_u32_e32 v66, vcc_lo, v4, v74, vcc_lo
	s_delay_alu instid0(VALU_DEP_4) | instskip(NEXT) | instid1(VALU_DEP_4)
	v_add_co_u32 v67, vcc_lo, v1, v73
	v_add_co_ci_u32_e32 v68, vcc_lo, v2, v74, vcc_lo
	s_clause 0xf
	global_load_b128 v[1:4], v[65:66], off
	global_load_b128 v[5:8], v[65:66], off offset:512
	global_load_b128 v[9:12], v[67:68], off offset:256
	;; [unrolled: 1-line block ×15, first 2 shown]
	v_add_co_u32 v159, vcc_lo, 0x1000, v65
	v_add_co_ci_u32_e32 v160, vcc_lo, 0, v66, vcc_lo
	v_add_co_u32 v167, vcc_lo, 0x1000, v67
	v_add_co_ci_u32_e32 v168, vcc_lo, 0, v68, vcc_lo
	s_clause 0x7
	global_load_b128 v[83:86], v[159:160], off
	global_load_b128 v[87:90], v[159:160], off offset:512
	global_load_b128 v[91:94], v[167:168], off offset:256
	;; [unrolled: 1-line block ×7, first 2 shown]
	ds_load_b128 v[65:68], v171
	ds_load_b128 v[69:72], v171 offset:1024
	s_clause 0x1
	global_load_b128 v[115:118], v[159:160], off offset:2048
	global_load_b128 v[119:122], v[159:160], off offset:2560
	ds_load_b128 v[131:134], v171 offset:2048
	ds_load_b128 v[135:138], v171 offset:3072
	s_clause 0x5
	global_load_b128 v[147:150], v[167:168], off offset:2304
	global_load_b128 v[151:154], v[167:168], off offset:2816
	;; [unrolled: 1-line block ×6, first 2 shown]
	s_or_b32 s15, s16, 0xe0
	s_delay_alu instid0(SALU_CYCLE_1) | instskip(SKIP_2) | instid1(SALU_CYCLE_1)
	s_ashr_i32 s22, s15, 5
	s_cmp_lt_i32 s15, s18
	s_cselect_b32 s22, s22, s3
	s_ashr_i32 s23, s22, 31
	s_delay_alu instid0(SALU_CYCLE_1) | instskip(NEXT) | instid1(SALU_CYCLE_1)
	s_lshl_b64 s[22:23], s[22:23], 2
	s_add_u32 s22, s4, s22
	s_addc_u32 s23, s17, s23
	s_add_i32 s15, s16, 0x100
	s_delay_alu instid0(SALU_CYCLE_1) | instskip(SKIP_2) | instid1(SALU_CYCLE_1)
	s_ashr_i32 s28, s15, 5
	s_cmp_lt_i32 s15, s18
	s_cselect_b32 s28, s28, s3
	s_ashr_i32 s29, s28, 31
	s_delay_alu instid0(SALU_CYCLE_1) | instskip(NEXT) | instid1(SALU_CYCLE_1)
	s_lshl_b64 s[28:29], s[28:29], 2
	s_add_u32 s28, s4, s28
	s_addc_u32 s29, s17, s29
	s_add_u32 s3, s10, s6
	s_waitcnt vmcnt(30) lgkmcnt(2)
	v_wmma_f32_16x16x16_f16 v[139:146], v[1:8], v[65:72], v[123:130]
	ds_load_b128 v[1:4], v171 offset:4096
	ds_load_b128 v[5:8], v171 offset:5120
	s_waitcnt vmcnt(28)
	v_wmma_f32_16x16x16_f16 v[123:130], v[9:16], v[65:72], v[123:130]
	ds_load_b128 v[9:12], v171 offset:6144
	ds_load_b128 v[13:16], v171 offset:7168
	s_waitcnt vmcnt(26) lgkmcnt(4)
	v_wmma_f32_16x16x16_f16 v[139:146], v[17:24], v[131:138], v[139:146]
	ds_load_b128 v[17:20], v171 offset:8192
	ds_load_b128 v[21:24], v171 offset:9216
	s_waitcnt vmcnt(24)
	v_wmma_f32_16x16x16_f16 v[123:130], v[25:32], v[131:138], v[123:130]
	ds_load_b128 v[131:134], v171 offset:10240
	ds_load_b128 v[135:138], v171 offset:11264
	s_clause 0x2
	s_load_b32 s15, s[8:9], 0x0
	s_load_b32 s4, s[22:23], 0x0
	;; [unrolled: 1-line block ×3, first 2 shown]
	s_addc_u32 s28, s11, s7
	s_lshl_b64 s[6:7], s[12:13], 1
	s_lshl_b64 s[10:11], s[20:21], 1
	;; [unrolled: 1-line block ×4, first 2 shown]
	s_mul_hi_i32 s9, s37, s5
	s_mul_i32 s8, s37, s5
	s_mul_hi_i32 s37, s38, s5
	s_lshl_b64 s[8:9], s[8:9], 1
	s_lshl_b64 s[22:23], s[36:37], 1
	s_waitcnt vmcnt(22) lgkmcnt(0)
	v_wmma_f32_16x16x16_f16 v[139:146], v[33:40], v[1:8], v[139:146]
	s_waitcnt vmcnt(20)
	v_wmma_f32_16x16x16_f16 v[123:130], v[41:48], v[1:8], v[123:130]
	v_lshl_or_b32 v1, v82, 10, v80
	s_waitcnt vmcnt(18)
	v_wmma_f32_16x16x16_f16 v[139:146], v[49:56], v[9:16], v[139:146]
	s_waitcnt vmcnt(16)
	v_wmma_f32_16x16x16_f16 v[123:130], v[57:64], v[9:16], v[123:130]
	v_add_co_u32 v172, s3, s3, v1
	s_delay_alu instid0(VALU_DEP_1) | instskip(SKIP_1) | instid1(VALU_DEP_2)
	v_add_co_ci_u32_e64 v173, null, s28, 0, s3
	s_mul_hi_i32 s25, s15, s5
	v_add_co_u32 v1, vcc_lo, v172, s6
	s_delay_alu instid0(VALU_DEP_2)
	v_add_co_ci_u32_e32 v2, vcc_lo, s7, v173, vcc_lo
	v_add_co_u32 v3, vcc_lo, v172, s10
	v_add_co_ci_u32_e32 v4, vcc_lo, s11, v173, vcc_lo
	v_add_co_u32 v5, vcc_lo, v172, s12
	;; [unrolled: 2-line block ×4, first 2 shown]
	s_mul_i32 s24, s15, s5
	v_add_co_ci_u32_e32 v26, vcc_lo, s9, v173, vcc_lo
	v_add_co_u32 v27, vcc_lo, v172, s22
	s_lshl_b64 s[24:25], s[24:25], 1
	v_add_co_ci_u32_e32 v28, vcc_lo, s23, v173, vcc_lo
	s_mul_hi_i32 s7, s4, s5
	s_mul_i32 s6, s4, s5
	v_add_co_u32 v29, vcc_lo, v172, s24
	s_lshl_b64 s[6:7], s[6:7], 1
	v_add_co_ci_u32_e32 v30, vcc_lo, s25, v173, vcc_lo
	s_waitcnt vmcnt(14)
	v_wmma_f32_16x16x16_f16 v[139:146], v[83:90], v[17:24], v[139:146]
	s_waitcnt vmcnt(12)
	v_wmma_f32_16x16x16_f16 v[123:130], v[91:98], v[17:24], v[123:130]
	v_add_co_u32 v17, vcc_lo, v172, s6
	v_add_co_ci_u32_e32 v18, vcc_lo, s7, v173, vcc_lo
	s_mul_hi_i32 s7, s17, s5
	s_mul_i32 s6, s17, s5
	s_clause 0x5
	global_load_b128 v[65:68], v[1:2], off
	global_load_b128 v[69:72], v[1:2], off offset:16
	global_load_b128 v[57:60], v[3:4], off
	global_load_b128 v[61:64], v[3:4], off offset:16
	;; [unrolled: 2-line block ×3, first 2 shown]
	s_lshl_b64 s[4:5], s[6:7], 1
	s_clause 0x1
	global_load_b128 v[41:44], v[7:8], off
	global_load_b128 v[45:48], v[7:8], off offset:16
	v_add_co_u32 v21, vcc_lo, v172, s4
	v_add_co_ci_u32_e32 v22, vcc_lo, s5, v173, vcc_lo
	s_clause 0x9
	global_load_b128 v[9:12], v[25:26], off
	global_load_b128 v[13:16], v[25:26], off offset:16
	global_load_b128 v[1:4], v[27:28], off
	global_load_b128 v[5:8], v[27:28], off offset:16
	;; [unrolled: 2-line block ×5, first 2 shown]
	ds_load_b128 v[83:86], v171 offset:12288
	ds_load_b128 v[87:90], v171 offset:13312
	v_and_b32_e32 v91, 0xe0, v0
	s_waitcnt vmcnt(28)
	v_wmma_f32_16x16x16_f16 v[139:146], v[99:106], v[131:138], v[139:146]
	v_mbcnt_lo_u32_b32 v99, -1, 0
	s_waitcnt vmcnt(26)
	v_wmma_f32_16x16x16_f16 v[123:130], v[107:114], v[131:138], v[123:130]
	v_add_nc_u32_e32 v100, s16, v91
	ds_load_b128 v[91:94], v171 offset:14336
	ds_load_b128 v[95:98], v171 offset:15360
	v_xor_b32_e32 v101, 16, v99
	s_waitcnt vmcnt(0) lgkmcnt(0)
	s_barrier
	v_or_b32_e32 v100, v100, v78
	buffer_gl0_inv
	v_cmp_gt_i32_e32 vcc_lo, 32, v101
	v_or_b32_e32 v102, 20, v100
	v_or_b32_e32 v103, 22, v100
	;; [unrolled: 1-line block ×4, first 2 shown]
	v_wmma_f32_16x16x16_f16 v[139:146], v[115:122], v[83:90], v[139:146]
	v_wmma_f32_16x16x16_f16 v[123:130], v[147:154], v[83:90], v[123:130]
	v_or_b32_e32 v83, 4, v100
	v_or_b32_e32 v84, 6, v100
	;; [unrolled: 1-line block ×5, first 2 shown]
	v_wmma_f32_16x16x16_f16 v[139:146], v[155:162], v[91:98], v[139:146]
	v_cndmask_b32_e32 v99, v99, v101, vcc_lo
	v_or_b32_e32 v101, 2, v100
	v_wmma_f32_16x16x16_f16 v[123:130], v[163:170], v[91:98], v[123:130]
	v_cmp_gt_i32_e32 vcc_lo, s18, v100
	v_dual_mul_f32 v98, s19, v139 :: v_dual_mul_f32 v97, s19, v140
	s_delay_alu instid0(VALU_DEP_4) | instskip(NEXT) | instid1(VALU_DEP_4)
	v_cmp_gt_i32_e64 s3, s18, v101
	v_mul_f32_e32 v112, s19, v126
	v_dual_mul_f32 v95, s19, v142 :: v_dual_mul_f32 v114, s19, v124
	v_mul_f32_e32 v96, s19, v141
	v_cndmask_b32_e32 v98, 0xff7fffff, v98, vcc_lo
	v_cndmask_b32_e64 v97, 0xff7fffff, v97, s3
	v_cmp_gt_i32_e64 s4, s18, v83
	v_cmp_gt_i32_e64 s5, s18, v84
	v_or_b32_e32 v88, 14, v100
	v_dual_mul_f32 v93, s19, v144 :: v_dual_mul_f32 v108, s19, v130
	v_mul_f32_e32 v94, s19, v143
	v_cndmask_b32_e64 v83, 0xff7fffff, v96, s4
	v_cndmask_b32_e64 v84, 0xff7fffff, v95, s5
	v_max3_f32 v95, v98, 0xff7fffff, v97
	v_cmp_gt_i32_e64 s6, s18, v85
	v_cmp_gt_i32_e64 s7, s18, v86
	v_or_b32_e32 v89, 16, v100
	v_or_b32_e32 v90, 18, v100
	v_dual_mul_f32 v91, s19, v146 :: v_dual_mul_f32 v110, s19, v128
	v_mul_f32_e32 v92, s19, v145
	v_cndmask_b32_e64 v85, 0xff7fffff, v94, s6
	v_cndmask_b32_e64 v86, 0xff7fffff, v93, s7
	v_max3_f32 v83, v95, v83, v84
	v_cmp_gt_i32_e64 s8, s18, v87
	v_cmp_gt_i32_e64 s9, s18, v88
	v_mul_f32_e32 v115, s19, v123
	v_cmp_gt_i32_e64 s10, s18, v89
	v_max3_f32 v83, v83, v85, v86
	v_cndmask_b32_e64 v84, 0xff7fffff, v92, s8
	v_cndmask_b32_e64 v87, 0xff7fffff, v91, s9
	v_cmp_gt_i32_e64 s11, s18, v90
	v_mul_f32_e32 v113, s19, v125
	v_cndmask_b32_e64 v85, 0xff7fffff, v115, s10
	v_cmp_gt_i32_e64 s12, s18, v102
	v_max3_f32 v83, v83, v84, v87
	v_cndmask_b32_e64 v86, 0xff7fffff, v114, s11
	v_cmp_gt_i32_e64 s13, s18, v103
	v_or_b32_e32 v106, 28, v100
	v_or_b32_e32 v107, 30, v100
	v_mul_f32_e32 v111, s19, v127
	v_cndmask_b32_e64 v84, 0xff7fffff, v113, s12
	v_cndmask_b32_e64 v87, 0xff7fffff, v112, s13
	v_max3_f32 v83, v83, v85, v86
	v_cmp_gt_i32_e64 s15, s18, v104
	v_cmp_gt_i32_e64 s16, s18, v105
	v_mul_f32_e32 v109, s19, v129
	v_cmp_gt_i32_e64 s17, s18, v106
	v_max3_f32 v83, v83, v84, v87
	v_cndmask_b32_e64 v85, 0xff7fffff, v111, s15
	v_cndmask_b32_e64 v86, 0xff7fffff, v110, s16
	v_cmp_gt_i32_e64 s18, s18, v107
	v_cndmask_b32_e64 v84, 0xff7fffff, v109, s17
	s_delay_alu instid0(VALU_DEP_3) | instskip(NEXT) | instid1(VALU_DEP_3)
	v_max3_f32 v83, v83, v85, v86
	v_cndmask_b32_e64 v87, 0xff7fffff, v108, s18
	v_lshlrev_b32_e32 v85, 2, v99
	s_delay_alu instid0(VALU_DEP_2) | instskip(SKIP_3) | instid1(VALU_DEP_1)
	v_max3_f32 v83, v83, v84, v87
	ds_bpermute_b32 v84, v85, v83
	s_waitcnt lgkmcnt(0)
	v_max_f32_e32 v84, v84, v84
	v_max_f32_e32 v83, v83, v84
	s_delay_alu instid0(VALU_DEP_1) | instskip(SKIP_3) | instid1(VALU_DEP_4)
	v_fma_f32 v84, s19, v139, -v83
	v_fma_f32 v86, s19, v140, -v83
	;; [unrolled: 1-line block ×4, first 2 shown]
	v_mul_f32_e32 v84, 0x3fb8aa3b, v84
	s_delay_alu instid0(VALU_DEP_4) | instskip(NEXT) | instid1(VALU_DEP_3)
	v_mul_f32_e32 v86, 0x3fb8aa3b, v86
	v_mul_f32_e32 v90, 0x3fb8aa3b, v88
	s_delay_alu instid0(VALU_DEP_3) | instskip(NEXT) | instid1(VALU_DEP_2)
	v_exp_f32_e32 v84, v84
	v_exp_f32_e32 v86, v86
	s_delay_alu instid0(VALU_DEP_1) | instskip(NEXT) | instid1(TRANS32_DEP_3)
	v_exp_f32_e32 v92, v90
	v_dual_cndmask_b32 v88, 0, v84 :: v_dual_mul_f32 v87, 0x3fb8aa3b, v87
	s_delay_alu instid0(VALU_DEP_1) | instskip(NEXT) | instid1(TRANS32_DEP_3)
	v_exp_f32_e32 v91, v87
	v_cndmask_b32_e64 v87, 0, v86, s3
	s_delay_alu instid0(VALU_DEP_2) | instskip(SKIP_1) | instid1(VALU_DEP_1)
	v_add_f32_e32 v86, 0, v88
	s_mov_b32 s3, exec_lo
	v_add_f32_e32 v86, v86, v87
	v_fma_f32 v89, s19, v143, -v83
	v_fma_f32 v84, s19, v144, -v83
	;; [unrolled: 1-line block ×3, first 2 shown]
	s_delay_alu instid0(TRANS32_DEP_1) | instskip(SKIP_1) | instid1(VALU_DEP_4)
	v_cndmask_b32_e64 v90, 0, v91, s4
	v_fma_f32 v91, s19, v146, -v83
	v_dual_mul_f32 v89, 0x3fb8aa3b, v89 :: v_dual_mul_f32 v84, 0x3fb8aa3b, v84
	s_delay_alu instid0(VALU_DEP_3) | instskip(SKIP_1) | instid1(VALU_DEP_3)
	v_dual_mul_f32 v93, 0x3fb8aa3b, v93 :: v_dual_add_f32 v86, v86, v90
	v_fma_f32 v95, s19, v123, -v83
	v_exp_f32_e32 v94, v89
	s_delay_alu instid0(VALU_DEP_3)
	v_exp_f32_e32 v84, v84
	v_cndmask_b32_e64 v89, 0, v92, s5
	v_mul_f32_e32 v91, 0x3fb8aa3b, v91
	v_fma_f32 v98, s19, v126, -v83
	v_exp_f32_e32 v93, v93
	v_fma_f32 v99, s19, v127, -v83
	v_add_f32_e32 v86, v86, v89
	v_exp_f32_e32 v96, v91
	v_mul_f32_e32 v98, 0x3fb8aa3b, v98
	v_cndmask_b32_e64 v92, 0, v94, s6
	v_fma_f32 v94, s19, v124, -v83
	v_mul_f32_e32 v95, 0x3fb8aa3b, v95
	v_cndmask_b32_e64 v91, 0, v84, s7
	s_delay_alu instid0(VALU_DEP_4)
	v_dual_mul_f32 v99, 0x3fb8aa3b, v99 :: v_dual_add_f32 v84, v86, v92
	v_fma_f32 v86, s19, v125, -v83
	v_mul_f32_e32 v97, 0x3fb8aa3b, v94
	v_exp_f32_e32 v95, v95
	v_exp_f32_e32 v101, v98
	v_add_f32_e32 v84, v84, v91
	v_mul_f32_e32 v86, 0x3fb8aa3b, v86
	v_exp_f32_e32 v97, v97
	v_cndmask_b32_e64 v94, 0, v93, s8
	v_cndmask_b32_e64 v93, 0, v96, s9
	v_fma_f32 v100, s19, v128, -v83
	v_exp_f32_e32 v86, v86
	v_exp_f32_e32 v99, v99
	v_cndmask_b32_e64 v96, 0, v95, s10
	s_delay_alu instid0(VALU_DEP_2) | instskip(NEXT) | instid1(TRANS32_DEP_3)
	v_mul_f32_e32 v100, 0x3fb8aa3b, v100
	v_cndmask_b32_e64 v95, 0, v97, s11
	v_fma_f32 v97, s19, v129, -v83
	s_delay_alu instid0(VALU_DEP_3) | instskip(NEXT) | instid1(TRANS32_DEP_3)
	v_exp_f32_e32 v102, v100
	v_cndmask_b32_e64 v98, 0, v86, s12
	s_delay_alu instid0(TRANS32_DEP_2) | instskip(NEXT) | instid1(VALU_DEP_3)
	v_cndmask_b32_e64 v100, 0, v99, s15
	v_mul_f32_e32 v86, 0x3fb8aa3b, v97
	v_cndmask_b32_e64 v97, 0, v101, s13
	v_fma_f32 v101, s19, v130, -v83
	v_add_f32_e32 v84, v84, v94
	s_delay_alu instid0(VALU_DEP_4) | instskip(NEXT) | instid1(VALU_DEP_2)
	v_exp_f32_e32 v86, v86
	v_mul_f32_e32 v101, 0x3fb8aa3b, v101
	s_delay_alu instid0(VALU_DEP_2) | instskip(SKIP_1) | instid1(VALU_DEP_3)
	v_add_f32_e32 v84, v84, v93
	v_cndmask_b32_e64 v99, 0, v102, s16
	v_exp_f32_e32 v101, v101
	s_delay_alu instid0(VALU_DEP_2) | instskip(SKIP_4) | instid1(VALU_DEP_2)
	v_add_f32_e32 v84, v84, v96
	s_waitcnt_depctr 0xfff
	v_cndmask_b32_e64 v102, 0, v86, s17
	v_add_f32_e32 v84, v84, v95
	v_cndmask_b32_e64 v101, 0, v101, s18
	v_add_f32_e32 v84, v84, v98
	s_delay_alu instid0(VALU_DEP_1) | instskip(NEXT) | instid1(VALU_DEP_1)
	v_add_f32_e32 v84, v84, v97
	v_add_f32_e32 v84, v84, v100
	s_delay_alu instid0(VALU_DEP_1) | instskip(NEXT) | instid1(VALU_DEP_1)
	v_add_f32_e32 v84, v84, v99
	v_add_f32_e32 v84, v84, v102
	s_delay_alu instid0(VALU_DEP_1)
	v_add_f32_e32 v84, v84, v101
	ds_bpermute_b32 v85, v85, v84
	v_cmpx_gt_u32_e32 16, v81
	s_cbranch_execz .LBB383_14
; %bb.13:
	v_mul_u32_u24_e32 v81, 0x44, v82
	s_waitcnt lgkmcnt(0)
	v_add_f32_e32 v84, v84, v85
	s_delay_alu instid0(VALU_DEP_2) | instskip(NEXT) | instid1(VALU_DEP_1)
	v_lshl_add_u32 v81, v79, 2, v81
	v_add_nc_u32_e32 v81, 0x4000, v81
	ds_store_2addr_b32 v81, v83, v84 offset1:136
.LBB383_14:
	s_or_b32 exec_lo, exec_lo, s3
	v_lshlrev_b32_e32 v79, 2, v79
	s_load_b32 s35, s[0:1], 0x94
	s_waitcnt lgkmcnt(0)
	s_barrier
	buffer_gl0_inv
	v_add_nc_u32_e32 v79, 0x4000, v79
	v_cmp_eq_u32_e32 vcc_lo, 1, v82
	v_cmp_eq_u32_e64 s3, 2, v82
	v_cmp_eq_u32_e64 s4, 3, v82
	;; [unrolled: 1-line block ×3, first 2 shown]
	ds_load_2addr_b32 v[83:84], v79 offset1:17
	ds_load_2addr_b32 v[103:104], v79 offset0:34 offset1:51
	ds_load_2addr_b32 v[105:106], v79 offset0:68 offset1:85
	;; [unrolled: 1-line block ×4, first 2 shown]
	v_cmp_eq_u32_e64 s6, 7, v82
	s_waitcnt lgkmcnt(4)
	v_max3_f32 v81, v83, 0xff7fffff, v84
	s_waitcnt lgkmcnt(3)
	s_delay_alu instid0(VALU_DEP_1) | instskip(SKIP_1) | instid1(VALU_DEP_1)
	v_max3_f32 v81, v81, v103, v104
	s_waitcnt lgkmcnt(2)
	v_max3_f32 v81, v81, v105, v106
	s_waitcnt lgkmcnt(1)
	s_delay_alu instid0(VALU_DEP_1) | instskip(NEXT) | instid1(VALU_DEP_1)
	v_max3_f32 v85, v81, v107, v108
	v_sub_f32_e32 v86, v84, v85
	v_sub_f32_e32 v81, v83, v85
	;; [unrolled: 1-line block ×3, first 2 shown]
	s_delay_alu instid0(VALU_DEP_3) | instskip(NEXT) | instid1(VALU_DEP_2)
	v_dual_sub_f32 v111, v104, v85 :: v_dual_mul_f32 v86, 0x3fb8aa3b, v86
	v_dual_mul_f32 v81, 0x3fb8aa3b, v81 :: v_dual_mul_f32 v112, 0x3fb8aa3b, v103
	s_delay_alu instid0(VALU_DEP_2) | instskip(NEXT) | instid1(VALU_DEP_3)
	v_mul_f32_e32 v111, 0x3fb8aa3b, v111
	v_exp_f32_e32 v113, v86
	s_delay_alu instid0(VALU_DEP_2) | instskip(NEXT) | instid1(VALU_DEP_2)
	v_exp_f32_e32 v81, v81
	v_exp_f32_e32 v112, v112
	s_delay_alu instid0(VALU_DEP_1) | instskip(SKIP_1) | instid1(TRANS32_DEP_3)
	v_exp_f32_e32 v111, v111
	s_waitcnt lgkmcnt(0)
	v_fma_f32 v86, v81, v109, 0
	s_delay_alu instid0(VALU_DEP_1)
	v_fmac_f32_e32 v86, v113, v110
	ds_load_2addr_b32 v[83:84], v79 offset0:170 offset1:187
	ds_load_2addr_b32 v[103:104], v79 offset0:204 offset1:221
	s_waitcnt lgkmcnt(1)
	v_dual_sub_f32 v109, v106, v85 :: v_dual_fmac_f32 v86, v112, v83
	v_sub_f32_e32 v105, v105, v85
	s_delay_alu instid0(VALU_DEP_2) | instskip(NEXT) | instid1(VALU_DEP_2)
	v_dual_sub_f32 v83, v108, v85 :: v_dual_fmac_f32 v86, v111, v84
	v_mul_f32_e32 v114, 0x3fb8aa3b, v105
	ds_load_2addr_b32 v[105:106], v79 offset0:238 offset1:255
	v_sub_f32_e32 v79, v107, v85
	v_mul_f32_e32 v107, 0x3fb8aa3b, v109
	v_mul_f32_e32 v83, 0x3fb8aa3b, v83
	v_exp_f32_e32 v109, v114
	s_waitcnt lgkmcnt(0)
	s_barrier
	v_exp_f32_e32 v107, v107
	buffer_gl0_inv
	v_fmac_f32_e32 v86, v109, v103
	v_exp_f32_e32 v103, v83
	s_delay_alu instid0(VALU_DEP_1) | instskip(NEXT) | instid1(VALU_DEP_1)
	v_dual_fmac_f32 v86, v107, v104 :: v_dual_mul_f32 v79, 0x3fb8aa3b, v79
	v_exp_f32_e32 v108, v79
	s_waitcnt_depctr 0xfff
	v_fmac_f32_e32 v86, v108, v105
	s_delay_alu instid0(VALU_DEP_1) | instskip(NEXT) | instid1(VALU_DEP_1)
	v_fmac_f32_e32 v86, v103, v106
	v_add_f32_e32 v104, 0x358637bd, v86
	s_delay_alu instid0(VALU_DEP_1) | instskip(NEXT) | instid1(VALU_DEP_1)
	v_div_scale_f32 v105, null, v104, v104, 1.0
	v_rcp_f32_e32 v106, v105
	s_waitcnt_depctr 0xfff
	v_fma_f32 v79, -v105, v106, 1.0
	s_delay_alu instid0(VALU_DEP_1) | instskip(SKIP_1) | instid1(VALU_DEP_2)
	v_dual_fmac_f32 v106, v79, v106 :: v_dual_cndmask_b32 v81, v81, v113
	v_div_scale_f32 v110, vcc_lo, 1.0, v104, 1.0
	v_cndmask_b32_e64 v79, v81, v112, s3
	s_delay_alu instid0(VALU_DEP_2) | instskip(SKIP_2) | instid1(VALU_DEP_4)
	v_mul_f32_e32 v112, v110, v106
	v_cmp_eq_u32_e64 s3, 4, v82
	v_lshl_or_b32 v81, v82, 11, v80
	v_cndmask_b32_e64 v83, v79, v111, s4
	s_delay_alu instid0(VALU_DEP_4)
	v_fma_f32 v84, -v105, v112, v110
	v_cmp_eq_u32_e64 s4, 6, v82
	v_lshlrev_b32_e32 v79, 2, v78
	v_lshl_or_b32 v78, v78, 4, v81
	v_cndmask_b32_e64 v83, v83, v109, s3
	v_fmac_f32_e32 v112, v84, v106
	s_delay_alu instid0(VALU_DEP_4) | instskip(SKIP_1) | instid1(VALU_DEP_4)
	v_or_b32_e32 v82, 1, v79
	v_or_b32_e32 v84, 2, v79
	v_cndmask_b32_e64 v107, v83, v107, s5
	s_delay_alu instid0(VALU_DEP_4)
	v_fma_f32 v105, -v105, v112, v110
	v_or_b32_e32 v83, 3, v79
	v_cmp_eq_u32_e64 s3, 1, v79
	v_cmp_eq_u32_e64 s9, 1, v82
	v_cndmask_b32_e64 v107, v107, v108, s4
	v_div_fmas_f32 v105, v105, v106, v112
	v_cmp_eq_u32_e64 s10, 1, v84
	v_cmp_eq_u32_e64 s11, 1, v83
	v_cmp_eq_u32_e32 vcc_lo, 2, v79
	v_cndmask_b32_e64 v103, v107, v103, s6
	v_div_fixup_f32 v104, v105, v104, 1.0
	v_cmp_eq_u32_e64 s12, 2, v82
	v_cmp_eq_u32_e64 s15, 2, v84
	;; [unrolled: 1-line block ×4, first 2 shown]
	v_mul_f32_e32 v111, v103, v104
	v_cmp_eq_u32_e64 s13, 3, v82
	v_cmp_eq_u32_e64 s17, 3, v84
	;; [unrolled: 1-line block ×4, first 2 shown]
	v_fma_mixlo_f16 v103, v111, v88, 0
	v_fma_mixlo_f16 v104, v111, v90, 0
	;; [unrolled: 1-line block ×8, first 2 shown]
	v_fma_mixhi_f16 v103, v111, v87, 0
	v_fma_mixhi_f16 v104, v111, v89, 0
	;; [unrolled: 1-line block ×8, first 2 shown]
	ds_store_b128 v78, v[103:106]
	ds_store_b128 v78, v[107:110] offset:1024
	s_waitcnt lgkmcnt(0)
	s_barrier
	buffer_gl0_inv
	ds_load_b128 v[87:90], v81
	ds_load_b128 v[91:94], v81 offset:16
	ds_load_b128 v[95:98], v81 offset:1024
	;; [unrolled: 1-line block ×3, first 2 shown]
	v_cmp_eq_u32_e64 s21, 4, v84
	v_cmp_eq_u32_e64 s24, 5, v83
	;; [unrolled: 1-line block ×10, first 2 shown]
	s_waitcnt lgkmcnt(3)
	v_lshrrev_b32_e32 v103, 16, v87
	s_waitcnt lgkmcnt(2)
	v_lshrrev_b32_e32 v107, 16, v91
	;; [unrolled: 2-line block ×4, first 2 shown]
	v_lshrrev_b32_e32 v104, 16, v88
	v_cndmask_b32_e64 v119, v87, v103, s3
	v_cndmask_b32_e64 v120, v91, v107, s3
	;; [unrolled: 1-line block ×8, first 2 shown]
	v_lshrrev_b32_e32 v108, 16, v92
	v_cndmask_b32_e64 v103, v95, v111, s3
	v_cndmask_b32_e64 v107, v99, v115, s3
	;; [unrolled: 1-line block ×5, first 2 shown]
	v_cndmask_b32_e32 v111, v119, v88, vcc_lo
	v_cndmask_b32_e64 v119, v121, v88, s12
	v_cndmask_b32_e64 v121, v123, v88, s15
	;; [unrolled: 1-line block ×4, first 2 shown]
	v_lshrrev_b32_e32 v112, 16, v96
	v_lshrrev_b32_e32 v116, 16, v100
	v_cndmask_b32_e64 v126, v99, v115, s9
	v_cndmask_b32_e64 v128, v99, v115, s10
	;; [unrolled: 1-line block ×3, first 2 shown]
	v_cndmask_b32_e32 v115, v120, v92, vcc_lo
	v_cndmask_b32_e64 v120, v122, v92, s12
	v_cndmask_b32_e64 v122, v124, v92, s15
	v_cndmask_b32_e32 v91, v103, v96, vcc_lo
	v_cndmask_b32_e32 v92, v107, v100, vcc_lo
	v_cmp_eq_u32_e64 s4, 3, v79
	v_cndmask_b32_e64 v103, v125, v96, s12
	v_cndmask_b32_e64 v87, v87, v104, s18
	;; [unrolled: 1-line block ×3, first 2 shown]
	v_cmp_eq_u32_e64 s5, 4, v79
	v_lshrrev_b32_e32 v105, 16, v89
	v_lshrrev_b32_e32 v109, 16, v93
	v_cndmask_b32_e64 v107, v127, v96, s15
	v_cndmask_b32_e64 v95, v95, v96, s16
	;; [unrolled: 1-line block ×14, first 2 shown]
	v_cmp_eq_u32_e64 s6, 5, v79
	v_lshrrev_b32_e32 v113, 16, v97
	v_cndmask_b32_e64 v99, v99, v89, s5
	v_cndmask_b32_e64 v104, v111, v93, s5
	;; [unrolled: 1-line block ×11, first 2 shown]
	v_cmp_eq_u32_e64 s7, 6, v79
	v_lshrrev_b32_e32 v106, 16, v90
	v_lshrrev_b32_e32 v110, 16, v94
	v_cndmask_b32_e64 v93, v99, v105, s6
	v_cndmask_b32_e64 v99, v104, v109, s6
	;; [unrolled: 1-line block ×9, first 2 shown]
	v_cmp_eq_u32_e64 s8, 7, v79
	v_lshrrev_b32_e32 v114, 16, v98
	v_cndmask_b32_e64 v89, v89, v113, s6
	v_cndmask_b32_e64 v93, v93, v90, s7
	;; [unrolled: 1-line block ×19, first 2 shown]
	v_perm_b32 v90, v88, v87, 0x5040100
	v_cndmask_b32_e64 v87, v126, v100, s12
	v_cndmask_b32_e64 v105, v89, v114, s8
	v_perm_b32 v89, v103, v99, 0x5040100
	v_perm_b32 v88, v104, v94, 0x5040100
	v_cndmask_b32_e64 v94, v107, v112, s17
	v_cndmask_b32_e64 v95, v95, v112, s18
	;; [unrolled: 1-line block ×5, first 2 shown]
	v_lshrrev_b32_e32 v117, 16, v101
	v_cndmask_b32_e64 v94, v94, v97, s21
	v_cndmask_b32_e64 v95, v95, v97, s22
	;; [unrolled: 1-line block ×11, first 2 shown]
	v_lshrrev_b32_e32 v118, 16, v102
	v_cndmask_b32_e64 v91, v91, v102, s7
	v_cndmask_b32_e64 v94, v94, v98, s26
	;; [unrolled: 1-line block ×12, first 2 shown]
	v_perm_b32 v87, v93, v92, 0x5040100
	v_perm_b32 v94, v95, v94, 0x5040100
	;; [unrolled: 1-line block ×5, first 2 shown]
	s_lshl_b32 s7, s33, 1
	s_mov_b32 s3, exec_lo
	ds_store_b128 v78, v[87:90]
	ds_store_b128 v78, v[91:94] offset:1024
	v_cmpx_gt_u32_e32 2, v0
	s_cbranch_execz .LBB383_16
; %bb.15:
	v_or_b32_e32 v87, s31, v0
	s_load_b128 s[8:11], s[0:1], 0x58
	s_delay_alu instid0(VALU_DEP_1) | instskip(NEXT) | instid1(VALU_DEP_1)
	v_mad_u64_u32 v[88:89], null, s7, s34, v[87:88]
	v_mad_u64_u32 v[89:90], null, v88, s35, s[14:15]
	s_delay_alu instid0(VALU_DEP_1) | instskip(NEXT) | instid1(VALU_DEP_1)
	v_ashrrev_i32_e32 v90, 31, v89
	v_lshlrev_b64 v[87:88], 2, v[89:90]
	s_waitcnt lgkmcnt(0)
	s_delay_alu instid0(VALU_DEP_1) | instskip(NEXT) | instid1(VALU_DEP_2)
	v_add_co_u32 v89, vcc_lo, s10, v87
	v_add_co_ci_u32_e32 v90, vcc_lo, s11, v88, vcc_lo
	v_add_co_u32 v87, vcc_lo, s8, v87
	v_add_co_ci_u32_e32 v88, vcc_lo, s9, v88, vcc_lo
	global_store_b32 v[89:90], v85, off
	global_store_b32 v[87:88], v86, off
.LBB383_16:
	s_or_b32 exec_lo, exec_lo, s3
	s_waitcnt lgkmcnt(0)
	s_waitcnt_vscnt null, 0x0
	s_barrier
	buffer_gl0_inv
	ds_load_b128 v[93:96], v80
	ds_load_b128 v[97:100], v80 offset:16
	ds_load_b128 v[105:108], v80 offset:1040
	;; [unrolled: 1-line block ×5, first 2 shown]
	v_cmp_eq_u32_e32 vcc_lo, 1, v84
	v_mov_b32_e32 v85, 0
	ds_load_b128 v[121:124], v80 offset:3088
	ds_load_b128 v[117:120], v80 offset:3072
	;; [unrolled: 1-line block ×4, first 2 shown]
	v_cmp_eq_u32_e64 s3, 1, v79
	v_cmp_eq_u32_e64 s4, 1, v83
	;; [unrolled: 1-line block ×3, first 2 shown]
	v_mov_b32_e32 v86, v85
	v_mov_b32_e32 v87, v85
	;; [unrolled: 1-line block ×7, first 2 shown]
	v_cmp_eq_u32_e64 s6, 2, v79
	s_waitcnt lgkmcnt(8)
	s_delay_alu instid0(VALU_DEP_2)
	v_wmma_f32_16x16x16_f16 v[85:92], v[65:72], v[93:100], v[85:92]
	ds_load_b128 v[69:72], v80 offset:5136
	ds_load_b128 v[65:68], v80 offset:5120
	;; [unrolled: 1-line block ×4, first 2 shown]
	s_waitcnt lgkmcnt(10)
	v_wmma_f32_16x16x16_f16 v[85:92], v[57:64], v[101:108], v[85:92]
	s_waitcnt lgkmcnt(8)
	s_delay_alu instid0(VALU_DEP_1)
	v_wmma_f32_16x16x16_f16 v[85:92], v[57:64], v[109:116], v[85:92]
	ds_load_b128 v[61:64], v80 offset:7184
	ds_load_b128 v[57:60], v80 offset:7168
	;; [unrolled: 1-line block ×4, first 2 shown]
	s_waitcnt lgkmcnt(10)
	v_wmma_f32_16x16x16_f16 v[85:92], v[49:56], v[117:124], v[85:92]
	s_waitcnt lgkmcnt(8)
	s_delay_alu instid0(VALU_DEP_1)
	v_wmma_f32_16x16x16_f16 v[85:92], v[49:56], v[125:132], v[85:92]
	ds_load_b128 v[53:56], v80 offset:9232
	ds_load_b128 v[49:52], v80 offset:9216
	s_waitcnt lgkmcnt(8)
	v_wmma_f32_16x16x16_f16 v[85:92], v[41:48], v[65:72], v[85:92]
	ds_load_b128 v[69:72], v80 offset:10256
	ds_load_b128 v[65:68], v80 offset:10240
	s_waitcnt lgkmcnt(8)
	;; [unrolled: 4-line block ×7, first 2 shown]
	s_barrier
	buffer_gl0_inv
	v_wmma_f32_16x16x16_f16 v[85:92], v[33:40], v[41:48], v[85:92]
	s_delay_alu instid0(VALU_DEP_1) | instskip(NEXT) | instid1(VALU_DEP_1)
	v_wmma_f32_16x16x16_f16 v[85:92], v[33:40], v[57:64], v[85:92]
	v_wmma_f32_16x16x16_f16 v[85:92], v[25:32], v[9:16], v[85:92]
	s_delay_alu instid0(VALU_DEP_1) | instskip(NEXT) | instid1(VALU_DEP_1)
	v_wmma_f32_16x16x16_f16 v[85:92], v[25:32], v[49:56], v[85:92]
	v_wmma_f32_16x16x16_f16 v[85:92], v[17:24], v[1:8], v[85:92]
	s_delay_alu instid0(VALU_DEP_1) | instskip(NEXT) | instid1(VALU_DEP_2)
	v_cvt_f16_f32_e32 v1, v85
	v_cvt_f16_f32_e32 v2, v86
	s_delay_alu instid0(VALU_DEP_3) | instskip(NEXT) | instid1(VALU_DEP_4)
	v_cvt_f16_f32_e32 v3, v87
	v_cvt_f16_f32_e32 v4, v88
	;; [unrolled: 1-line block ×6, first 2 shown]
	v_pack_b32_f16 v1, v1, v2
	v_pack_b32_f16 v2, v3, v4
	;; [unrolled: 1-line block ×3, first 2 shown]
	s_delay_alu instid0(VALU_DEP_4)
	v_pack_b32_f16 v4, v7, v8
	ds_store_b128 v78, v[1:4]
	s_waitcnt lgkmcnt(0)
	s_barrier
	buffer_gl0_inv
	ds_load_b128 v[1:4], v81
	ds_load_b128 v[5:8], v81 offset:16
	s_waitcnt lgkmcnt(1)
	v_lshrrev_b32_e32 v9, 16, v1
	s_waitcnt lgkmcnt(0)
	v_lshrrev_b32_e32 v13, 16, v5
	v_lshrrev_b32_e32 v15, 16, v7
	v_lshrrev_b32_e32 v10, 16, v2
	v_lshrrev_b32_e32 v14, 16, v6
	v_cndmask_b32_e64 v17, v1, v9, s3
	v_cndmask_b32_e64 v18, v5, v13, s3
	v_cndmask_b32_e64 v19, v1, v9, s5
	v_cmp_eq_u32_e64 s3, 2, v82
	v_cndmask_b32_e64 v20, v5, v13, s5
	v_cndmask_b32_e32 v21, v1, v9, vcc_lo
	v_cndmask_b32_e32 v22, v5, v13, vcc_lo
	v_cndmask_b32_e64 v1, v1, v9, s4
	v_cndmask_b32_e64 v5, v5, v13, s4
	v_cmp_eq_u32_e32 vcc_lo, 2, v84
	v_cmp_eq_u32_e64 s4, 2, v83
	v_cndmask_b32_e64 v9, v17, v2, s6
	v_cndmask_b32_e64 v13, v18, v6, s6
	;; [unrolled: 1-line block ×4, first 2 shown]
	v_cndmask_b32_e32 v19, v21, v2, vcc_lo
	v_cmp_eq_u32_e64 s3, 3, v84
	v_cndmask_b32_e32 v20, v22, v6, vcc_lo
	v_cndmask_b32_e64 v1, v1, v2, s4
	v_cmp_eq_u32_e32 vcc_lo, 3, v83
	v_cmp_eq_u32_e64 s5, 3, v79
	v_cndmask_b32_e64 v2, v5, v6, s4
	v_cmp_eq_u32_e64 s4, 3, v82
	v_lshrrev_b32_e32 v16, 16, v8
	v_cmp_eq_u32_e64 s6, 4, v79
	v_cndmask_b32_e64 v5, v9, v10, s5
	v_cndmask_b32_e64 v6, v13, v14, s5
	;; [unrolled: 1-line block ×3, first 2 shown]
	v_cmp_eq_u32_e64 s5, 4, v82
	v_cndmask_b32_e64 v13, v18, v14, s4
	v_cndmask_b32_e64 v17, v19, v10, s3
	;; [unrolled: 1-line block ×3, first 2 shown]
	v_cndmask_b32_e32 v1, v1, v10, vcc_lo
	v_cndmask_b32_e32 v2, v2, v14, vcc_lo
	v_cmp_eq_u32_e32 vcc_lo, 4, v84
	v_cmp_eq_u32_e64 s4, 4, v83
	v_lshrrev_b32_e32 v11, 16, v3
	v_cndmask_b32_e64 v5, v5, v3, s6
	v_cndmask_b32_e64 v6, v6, v7, s6
	v_cndmask_b32_e64 v9, v9, v3, s5
	v_cndmask_b32_e64 v10, v13, v7, s5
	v_cndmask_b32_e32 v13, v17, v3, vcc_lo
	v_cmp_eq_u32_e64 s3, 5, v84
	v_cndmask_b32_e32 v14, v18, v7, vcc_lo
	v_cndmask_b32_e64 v1, v1, v3, s4
	v_cmp_eq_u32_e32 vcc_lo, 5, v83
	v_cmp_eq_u32_e64 s5, 5, v79
	v_cndmask_b32_e64 v2, v2, v7, s4
	v_cmp_eq_u32_e64 s4, 5, v82
	v_cmp_eq_u32_e64 s6, 6, v79
	v_cndmask_b32_e32 v1, v1, v11, vcc_lo
	v_cndmask_b32_e64 v3, v5, v11, s5
	v_cndmask_b32_e64 v5, v6, v15, s5
	;; [unrolled: 1-line block ×3, first 2 shown]
	v_cmp_eq_u32_e64 s5, 6, v82
	v_cndmask_b32_e64 v7, v10, v15, s4
	v_cndmask_b32_e64 v9, v13, v11, s3
	v_cndmask_b32_e64 v10, v14, v15, s3
	v_cndmask_b32_e32 v2, v2, v15, vcc_lo
	v_cmp_eq_u32_e32 vcc_lo, 6, v84
	v_cmp_eq_u32_e64 s3, 6, v83
	v_lshrrev_b32_e32 v12, 16, v4
	v_cndmask_b32_e64 v3, v3, v4, s6
	v_cndmask_b32_e64 v5, v5, v8, s6
	;; [unrolled: 1-line block ×4, first 2 shown]
	v_cndmask_b32_e32 v9, v9, v4, vcc_lo
	v_cmp_eq_u32_e64 s4, 7, v84
	v_cndmask_b32_e32 v10, v10, v8, vcc_lo
	v_cndmask_b32_e64 v1, v1, v4, s3
	v_cmp_eq_u32_e32 vcc_lo, 7, v83
	v_cndmask_b32_e64 v2, v2, v8, s3
	v_cmp_eq_u32_e64 s3, 7, v79
	v_cmp_eq_u32_e64 s5, 7, v82
	v_cndmask_b32_e32 v1, v1, v12, vcc_lo
	s_delay_alu instid0(VALU_DEP_4) | instskip(NEXT) | instid1(VALU_DEP_4)
	v_cndmask_b32_e32 v2, v2, v16, vcc_lo
	v_cndmask_b32_e64 v8, v3, v12, s3
	s_delay_alu instid0(VALU_DEP_4)
	v_cndmask_b32_e64 v6, v6, v12, s5
	v_cndmask_b32_e64 v3, v9, v12, s4
	;; [unrolled: 1-line block ×5, first 2 shown]
	v_perm_b32 v4, v2, v1, 0x5040100
	s_delay_alu instid0(VALU_DEP_4) | instskip(NEXT) | instid1(VALU_DEP_4)
	v_perm_b32 v3, v9, v3, 0x5040100
	v_perm_b32 v2, v7, v6, 0x5040100
	s_delay_alu instid0(VALU_DEP_4)
	v_perm_b32 v1, v5, v8, 0x5040100
	ds_store_b128 v78, v[1:4]
	s_waitcnt lgkmcnt(0)
	s_barrier
	buffer_gl0_inv
	s_and_saveexec_b32 s3, s2
	s_cbranch_execz .LBB383_2
; %bb.17:
	s_load_b64 s[0:1], s[0:1], 0x68
	v_lshlrev_b32_e32 v0, 10, v0
	s_lshl_b32 s2, s35, 7
	v_lshlrev_b32_e32 v1, 4, v77
	v_mul_lo_u32 v4, s2, v76
	s_mul_i32 s3, s2, s34
	v_and_b32_e32 v0, 0x3800, v0
	s_mul_i32 s2, s3, s7
	s_delay_alu instid0(SALU_CYCLE_1) | instskip(NEXT) | instid1(VALU_DEP_1)
	s_ashr_i32 s3, s2, 31
	v_or3_b32 v0, v0, v75, v1
	s_lshl_b64 s[2:3], s[2:3], 1
	s_delay_alu instid0(VALU_DEP_3)
	v_ashrrev_i32_e32 v5, 31, v4
	ds_load_b128 v[0:3], v0
	v_lshlrev_b64 v[4:5], 1, v[4:5]
	s_waitcnt lgkmcnt(0)
	s_add_u32 s2, s0, s2
	s_addc_u32 s3, s1, s3
	s_lshl_b32 s0, s14, 7
	s_delay_alu instid0(SALU_CYCLE_1) | instskip(NEXT) | instid1(SALU_CYCLE_1)
	s_ashr_i32 s1, s0, 31
	s_lshl_b64 s[0:1], s[0:1], 1
	s_delay_alu instid0(SALU_CYCLE_1) | instskip(SKIP_3) | instid1(VALU_DEP_2)
	s_add_u32 s0, s2, s0
	s_addc_u32 s1, s3, s1
	v_add_co_u32 v4, vcc_lo, s0, v4
	v_add_co_ci_u32_e32 v5, vcc_lo, s1, v5, vcc_lo
	v_add_co_u32 v4, vcc_lo, v4, v73
	s_delay_alu instid0(VALU_DEP_2)
	v_add_co_ci_u32_e32 v5, vcc_lo, v5, v74, vcc_lo
	global_store_b128 v[4:5], v[0:3], off
	s_nop 0
	s_sendmsg sendmsg(MSG_DEALLOC_VGPRS)
	s_endpgm
	.section	.rodata,"a",@progbits
	.p2align	6, 0x0
	.amdhsa_kernel _Z39paged_attention_ll4mi_QKV_mfma16_kernelIDF16_DF16_LN4vllm18Fp8KVCacheDataTypeE0EDF16_Li32ELi128ELi256ELb0ELi2EL8MFMAType0EEvPKT_PKT0_S8_ifPKiSA_SA_iPKfiiiPfSD_PS3_PT2_iSC_SC_
		.amdhsa_group_segment_fixed_size 17472
		.amdhsa_private_segment_fixed_size 0
		.amdhsa_kernarg_size 400
		.amdhsa_user_sgpr_count 13
		.amdhsa_user_sgpr_dispatch_ptr 0
		.amdhsa_user_sgpr_queue_ptr 0
		.amdhsa_user_sgpr_kernarg_segment_ptr 1
		.amdhsa_user_sgpr_dispatch_id 0
		.amdhsa_user_sgpr_private_segment_size 0
		.amdhsa_wavefront_size32 1
		.amdhsa_uses_dynamic_stack 0
		.amdhsa_enable_private_segment 0
		.amdhsa_system_sgpr_workgroup_id_x 1
		.amdhsa_system_sgpr_workgroup_id_y 1
		.amdhsa_system_sgpr_workgroup_id_z 1
		.amdhsa_system_sgpr_workgroup_info 0
		.amdhsa_system_vgpr_workitem_id 0
		.amdhsa_next_free_vgpr 174
		.amdhsa_next_free_sgpr 39
		.amdhsa_reserve_vcc 1
		.amdhsa_float_round_mode_32 0
		.amdhsa_float_round_mode_16_64 0
		.amdhsa_float_denorm_mode_32 3
		.amdhsa_float_denorm_mode_16_64 3
		.amdhsa_dx10_clamp 1
		.amdhsa_ieee_mode 1
		.amdhsa_fp16_overflow 0
		.amdhsa_workgroup_processor_mode 1
		.amdhsa_memory_ordered 1
		.amdhsa_forward_progress 0
		.amdhsa_shared_vgpr_count 0
		.amdhsa_exception_fp_ieee_invalid_op 0
		.amdhsa_exception_fp_denorm_src 0
		.amdhsa_exception_fp_ieee_div_zero 0
		.amdhsa_exception_fp_ieee_overflow 0
		.amdhsa_exception_fp_ieee_underflow 0
		.amdhsa_exception_fp_ieee_inexact 0
		.amdhsa_exception_int_div_zero 0
	.end_amdhsa_kernel
	.section	.text._Z39paged_attention_ll4mi_QKV_mfma16_kernelIDF16_DF16_LN4vllm18Fp8KVCacheDataTypeE0EDF16_Li32ELi128ELi256ELb0ELi2EL8MFMAType0EEvPKT_PKT0_S8_ifPKiSA_SA_iPKfiiiPfSD_PS3_PT2_iSC_SC_,"axG",@progbits,_Z39paged_attention_ll4mi_QKV_mfma16_kernelIDF16_DF16_LN4vllm18Fp8KVCacheDataTypeE0EDF16_Li32ELi128ELi256ELb0ELi2EL8MFMAType0EEvPKT_PKT0_S8_ifPKiSA_SA_iPKfiiiPfSD_PS3_PT2_iSC_SC_,comdat
.Lfunc_end383:
	.size	_Z39paged_attention_ll4mi_QKV_mfma16_kernelIDF16_DF16_LN4vllm18Fp8KVCacheDataTypeE0EDF16_Li32ELi128ELi256ELb0ELi2EL8MFMAType0EEvPKT_PKT0_S8_ifPKiSA_SA_iPKfiiiPfSD_PS3_PT2_iSC_SC_, .Lfunc_end383-_Z39paged_attention_ll4mi_QKV_mfma16_kernelIDF16_DF16_LN4vllm18Fp8KVCacheDataTypeE0EDF16_Li32ELi128ELi256ELb0ELi2EL8MFMAType0EEvPKT_PKT0_S8_ifPKiSA_SA_iPKfiiiPfSD_PS3_PT2_iSC_SC_
                                        ; -- End function
	.section	.AMDGPU.csdata,"",@progbits
; Kernel info:
; codeLenInByte = 7328
; NumSgprs: 41
; NumVgprs: 174
; ScratchSize: 0
; MemoryBound: 0
; FloatMode: 240
; IeeeMode: 1
; LDSByteSize: 17472 bytes/workgroup (compile time only)
; SGPRBlocks: 5
; VGPRBlocks: 21
; NumSGPRsForWavesPerEU: 41
; NumVGPRsForWavesPerEU: 174
; Occupancy: 8
; WaveLimiterHint : 1
; COMPUTE_PGM_RSRC2:SCRATCH_EN: 0
; COMPUTE_PGM_RSRC2:USER_SGPR: 13
; COMPUTE_PGM_RSRC2:TRAP_HANDLER: 0
; COMPUTE_PGM_RSRC2:TGID_X_EN: 1
; COMPUTE_PGM_RSRC2:TGID_Y_EN: 1
; COMPUTE_PGM_RSRC2:TGID_Z_EN: 1
; COMPUTE_PGM_RSRC2:TIDIG_COMP_CNT: 0
	.section	.text._Z39paged_attention_ll4mi_QKV_mfma16_kernelIDF16_DF16_LN4vllm18Fp8KVCacheDataTypeE0EDF16_Li32ELi128ELi256ELb0ELi3EL8MFMAType0EEvPKT_PKT0_S8_ifPKiSA_SA_iPKfiiiPfSD_PS3_PT2_iSC_SC_,"axG",@progbits,_Z39paged_attention_ll4mi_QKV_mfma16_kernelIDF16_DF16_LN4vllm18Fp8KVCacheDataTypeE0EDF16_Li32ELi128ELi256ELb0ELi3EL8MFMAType0EEvPKT_PKT0_S8_ifPKiSA_SA_iPKfiiiPfSD_PS3_PT2_iSC_SC_,comdat
	.protected	_Z39paged_attention_ll4mi_QKV_mfma16_kernelIDF16_DF16_LN4vllm18Fp8KVCacheDataTypeE0EDF16_Li32ELi128ELi256ELb0ELi3EL8MFMAType0EEvPKT_PKT0_S8_ifPKiSA_SA_iPKfiiiPfSD_PS3_PT2_iSC_SC_ ; -- Begin function _Z39paged_attention_ll4mi_QKV_mfma16_kernelIDF16_DF16_LN4vllm18Fp8KVCacheDataTypeE0EDF16_Li32ELi128ELi256ELb0ELi3EL8MFMAType0EEvPKT_PKT0_S8_ifPKiSA_SA_iPKfiiiPfSD_PS3_PT2_iSC_SC_
	.globl	_Z39paged_attention_ll4mi_QKV_mfma16_kernelIDF16_DF16_LN4vllm18Fp8KVCacheDataTypeE0EDF16_Li32ELi128ELi256ELb0ELi3EL8MFMAType0EEvPKT_PKT0_S8_ifPKiSA_SA_iPKfiiiPfSD_PS3_PT2_iSC_SC_
	.p2align	8
	.type	_Z39paged_attention_ll4mi_QKV_mfma16_kernelIDF16_DF16_LN4vllm18Fp8KVCacheDataTypeE0EDF16_Li32ELi128ELi256ELb0ELi3EL8MFMAType0EEvPKT_PKT0_S8_ifPKiSA_SA_iPKfiiiPfSD_PS3_PT2_iSC_SC_,@function
_Z39paged_attention_ll4mi_QKV_mfma16_kernelIDF16_DF16_LN4vllm18Fp8KVCacheDataTypeE0EDF16_Li32ELi128ELi256ELb0ELi3EL8MFMAType0EEvPKT_PKT0_S8_ifPKiSA_SA_iPKfiiiPfSD_PS3_PT2_iSC_SC_: ; @_Z39paged_attention_ll4mi_QKV_mfma16_kernelIDF16_DF16_LN4vllm18Fp8KVCacheDataTypeE0EDF16_Li32ELi128ELi256ELb0ELi3EL8MFMAType0EEvPKT_PKT0_S8_ifPKiSA_SA_iPKfiiiPfSD_PS3_PT2_iSC_SC_
; %bb.0:
	s_load_b64 s[2:3], s[0:1], 0x30
	s_mov_b32 s34, s13
	s_waitcnt lgkmcnt(0)
	s_cmp_lg_u64 s[2:3], 0
	s_cselect_b32 s6, -1, 0
	s_ashr_i32 s35, s13, 31
	s_cmp_eq_u64 s[2:3], 0
	s_cbranch_scc1 .LBB384_3
; %bb.1:
	s_lshl_b64 s[4:5], s[34:35], 2
	s_delay_alu instid0(SALU_CYCLE_1) | instskip(SKIP_4) | instid1(SALU_CYCLE_1)
	s_add_u32 s4, s2, s4
	s_addc_u32 s5, s3, s5
	s_load_b64 s[4:5], s[4:5], 0x0
	s_waitcnt lgkmcnt(0)
	s_sub_i32 s4, s5, s4
	s_cmp_eq_u32 s4, 1
	s_cselect_b32 s4, -1, 0
	s_delay_alu instid0(SALU_CYCLE_1)
	s_and_not1_b32 vcc_lo, exec_lo, s4
	s_cbranch_vccz .LBB384_4
.LBB384_2:
	s_nop 0
	s_sendmsg sendmsg(MSG_DEALLOC_VGPRS)
	s_endpgm
.LBB384_3:
.LBB384_4:
	s_load_b64 s[8:9], s[0:1], 0x28
	s_lshl_b64 s[4:5], s[34:35], 2
	s_waitcnt lgkmcnt(0)
	s_add_u32 s8, s8, s4
	s_addc_u32 s9, s9, s5
	s_lshl_b32 s12, s14, 8
	s_load_b32 s17, s[8:9], 0x0
	s_waitcnt lgkmcnt(0)
	s_cmp_ge_i32 s12, s17
	s_cbranch_scc1 .LBB384_2
; %bb.5:
	s_and_not1_b32 vcc_lo, exec_lo, s6
	s_cbranch_vccnz .LBB384_7
; %bb.6:
	s_add_u32 s2, s2, s4
	s_addc_u32 s3, s3, s5
	s_load_b32 s13, s[2:3], 0x0
	s_branch .LBB384_8
.LBB384_7:
	s_mov_b32 s13, s34
.LBB384_8:
	s_clause 0x2
	s_load_b128 s[8:11], s[0:1], 0x8
	s_load_b64 s[2:3], s[0:1], 0x20
	s_load_b128 s[4:7], s[0:1], 0x48
	v_lshrrev_b32_e32 v78, 5, v0
	v_bfe_u32 v75, v0, 4, 1
	v_and_b32_e32 v77, 15, v0
	s_waitcnt lgkmcnt(0)
	s_mov_b32 s7, exec_lo
	s_delay_alu instid0(VALU_DEP_2) | instskip(NEXT) | instid1(VALU_DEP_2)
	v_lshl_or_b32 v3, v78, 1, v75
	v_lshlrev_b32_e32 v1, 3, v77
	s_delay_alu instid0(VALU_DEP_2)
	v_cmpx_lt_u32_e32 2, v3
	s_xor_b32 s7, exec_lo, s7
; %bb.9:
	v_mov_b32_e32 v2, 0
                                        ; implicit-def: $vgpr3
; %bb.10:
	s_or_saveexec_b32 s7, s7
	v_and_b32_e32 v80, 31, v0
	v_and_b32_e32 v76, 1, v0
	s_mul_i32 s31, s15, 3
	s_xor_b32 exec_lo, exec_lo, s7
	s_cbranch_execz .LBB384_12
; %bb.11:
	s_load_b64 s[18:19], s[0:1], 0x0
	v_add_lshl_u32 v4, v3, s31, 7
	s_mul_hi_i32 s21, s13, s4
	s_mul_i32 s20, s13, s4
	v_lshlrev_b32_e32 v2, 1, v1
	s_lshl_b64 s[20:21], s[20:21], 1
	v_ashrrev_i32_e32 v5, 31, v4
	v_lshlrev_b32_e32 v3, 6, v3
	v_lshlrev_b32_e32 v8, 10, v76
	s_delay_alu instid0(VALU_DEP_3) | instskip(SKIP_3) | instid1(VALU_DEP_1)
	v_lshlrev_b64 v[4:5], 1, v[4:5]
	s_waitcnt lgkmcnt(0)
	s_add_u32 s4, s18, s20
	s_addc_u32 s13, s19, s21
	v_add_co_u32 v4, vcc_lo, s4, v4
	s_delay_alu instid0(VALU_DEP_2) | instskip(NEXT) | instid1(VALU_DEP_2)
	v_add_co_ci_u32_e32 v5, vcc_lo, s13, v5, vcc_lo
	v_add_co_u32 v4, vcc_lo, v4, v2
	s_delay_alu instid0(VALU_DEP_2) | instskip(SKIP_3) | instid1(VALU_DEP_1)
	v_add_co_ci_u32_e32 v5, vcc_lo, 0, v5, vcc_lo
	v_lshlrev_b32_e32 v2, 10, v77
	global_load_b128 v[4:7], v[4:5], off
	v_and_b32_e32 v2, 0x3800, v2
	v_or3_b32 v3, v2, v8, v3
	v_mov_b32_e32 v2, 0
	s_waitcnt vmcnt(0)
	ds_store_b128 v3, v[4:7]
.LBB384_12:
	s_or_b32 exec_lo, exec_lo, s7
	v_and_b32_e32 v3, 0xef, v0
	s_add_i32 s4, s17, 31
	s_clause 0x1
	s_load_b32 s7, s[0:1], 0x38
	s_load_b32 s33, s[0:1], 0x98
	s_ashr_i32 s13, s4, 31
	v_add_nc_u32_e32 v3, s12, v3
	s_lshr_b32 s13, s13, 27
	s_load_b32 s18, s[0:1], 0x1c
	s_add_i32 s4, s4, s13
	s_waitcnt lgkmcnt(0)
	v_ashrrev_i32_e32 v4, 31, v3
	v_cmp_gt_i32_e32 vcc_lo, s17, v3
	s_ashr_i32 s4, s4, 5
	s_barrier
	s_add_i32 s4, s4, -1
	v_lshrrev_b32_e32 v5, 27, v4
	v_or_b32_e32 v4, 16, v3
	buffer_gl0_inv
	v_lshlrev_b64 v[73:74], 1, v[1:2]
	v_lshlrev_b32_e32 v79, 6, v77
	v_add_nc_u32_e32 v6, v3, v5
	v_add_nc_u32_e32 v5, v4, v5
	s_mul_i32 s20, s34, s7
	s_delay_alu instid0(SALU_CYCLE_1) | instskip(NEXT) | instid1(VALU_DEP_2)
	s_ashr_i32 s21, s20, 31
	v_ashrrev_i32_e32 v6, 5, v6
	s_delay_alu instid0(VALU_DEP_2) | instskip(SKIP_1) | instid1(SALU_CYCLE_1)
	v_ashrrev_i32_e32 v5, 5, v5
	s_lshl_b64 s[20:21], s[20:21], 2
	s_add_u32 s13, s2, s20
	s_delay_alu instid0(VALU_DEP_2) | instskip(SKIP_3) | instid1(SALU_CYCLE_1)
	v_cndmask_b32_e32 v3, s4, v6, vcc_lo
	v_cmp_gt_i32_e32 vcc_lo, s17, v4
	s_addc_u32 s16, s3, s21
	s_mul_i32 s2, s15, s6
	s_ashr_i32 s3, s2, 31
	v_cndmask_b32_e32 v5, s4, v5, vcc_lo
	v_ashrrev_i32_e32 v4, 31, v3
	s_lshl_b64 s[2:3], s[2:3], 1
	s_delay_alu instid0(SALU_CYCLE_1) | instskip(NEXT) | instid1(VALU_DEP_2)
	s_add_u32 s15, s8, s2
	v_ashrrev_i32_e32 v6, 31, v5
	s_delay_alu instid0(VALU_DEP_2) | instskip(SKIP_2) | instid1(VALU_DEP_2)
	v_lshlrev_b64 v[3:4], 2, v[3:4]
	s_addc_u32 s19, s9, s3
	s_lshl_b32 s6, s14, 3
	v_lshlrev_b64 v[5:6], 2, v[5:6]
	s_ashr_i32 s7, s6, 31
	s_delay_alu instid0(VALU_DEP_2) | instskip(SKIP_1) | instid1(VALU_DEP_3)
	v_add_co_u32 v3, vcc_lo, s13, v3
	v_add_co_ci_u32_e32 v4, vcc_lo, s16, v4, vcc_lo
	v_add_co_u32 v5, vcc_lo, s13, v5
	s_delay_alu instid0(VALU_DEP_4)
	v_add_co_ci_u32_e32 v6, vcc_lo, s16, v6, vcc_lo
	s_lshl_b64 s[6:7], s[6:7], 2
	s_clause 0x1
	global_load_b32 v7, v[3:4], off
	global_load_b32 v8, v[5:6], off
	s_add_u32 s6, s13, s6
	s_addc_u32 s7, s16, s7
	s_or_b32 s8, s12, 32
	s_delay_alu instid0(SALU_CYCLE_1) | instskip(SKIP_2) | instid1(SALU_CYCLE_1)
	s_ashr_i32 s9, s8, 5
	s_cmp_lt_i32 s8, s17
	s_cselect_b32 s8, s9, s4
	s_ashr_i32 s9, s8, 31
	s_delay_alu instid0(SALU_CYCLE_1) | instskip(NEXT) | instid1(SALU_CYCLE_1)
	s_lshl_b64 s[8:9], s[8:9], 2
	s_add_u32 s8, s13, s8
	s_addc_u32 s9, s16, s9
	s_or_b32 s20, s12, 64
	s_delay_alu instid0(SALU_CYCLE_1) | instskip(SKIP_2) | instid1(SALU_CYCLE_1)
	s_ashr_i32 s21, s20, 5
	s_cmp_lt_i32 s20, s17
	s_cselect_b32 s20, s21, s4
	s_ashr_i32 s21, s20, 31
	s_delay_alu instid0(SALU_CYCLE_1) | instskip(NEXT) | instid1(SALU_CYCLE_1)
	s_lshl_b64 s[20:21], s[20:21], 2
	;; [unrolled: 10-line block ×5, first 2 shown]
	s_add_u32 s26, s13, s26
	s_addc_u32 s27, s16, s27
	s_clause 0x5
	s_load_b32 s28, s[6:7], 0x0
	s_load_b32 s29, s[8:9], 0x0
	;; [unrolled: 1-line block ×6, first 2 shown]
	s_mov_b32 s20, 0
	s_or_b32 s6, s12, 0xc0
	s_mov_b32 s21, s20
	s_mov_b32 s22, s20
	;; [unrolled: 1-line block ×7, first 2 shown]
	s_ashr_i32 s7, s6, 5
	v_mov_b32_e32 v128, s27
	s_cmp_lt_i32 s6, s17
	v_mov_b32_e32 v127, s26
	s_cselect_b32 s6, s7, s4
	v_mov_b32_e32 v126, s25
	s_ashr_i32 s7, s6, 31
	v_mov_b32_e32 v125, s24
	s_lshl_b64 s[6:7], s[6:7], 2
	v_mov_b32_e32 v124, s23
	s_add_u32 s6, s13, s6
	s_addc_u32 s7, s16, s7
	v_mov_b32_e32 v123, s22
	v_mov_b32_e32 v121, s20
	s_waitcnt lgkmcnt(0)
	s_mul_hi_i32 s9, s28, s5
	s_mul_i32 s8, s28, s5
	s_mul_hi_i32 s37, s38, s5
	v_mov_b32_e32 v122, s21
	s_mul_hi_i32 s21, s29, s5
	s_mul_i32 s20, s29, s5
	s_mul_hi_i32 s25, s30, s5
	s_mul_i32 s24, s30, s5
	s_mul_hi_i32 s27, s35, s5
	s_mul_i32 s26, s35, s5
	s_waitcnt vmcnt(1)
	v_mad_i64_i32 v[3:4], null, v7, s5, 0
	s_waitcnt vmcnt(0)
	v_mad_i64_i32 v[5:6], null, v8, s5, 0
	s_delay_alu instid0(VALU_DEP_2) | instskip(NEXT) | instid1(VALU_DEP_2)
	v_lshlrev_b64 v[3:4], 1, v[3:4]
	v_lshlrev_b64 v[1:2], 1, v[5:6]
	s_delay_alu instid0(VALU_DEP_2) | instskip(NEXT) | instid1(VALU_DEP_3)
	v_add_co_u32 v3, vcc_lo, s15, v3
	v_add_co_ci_u32_e32 v4, vcc_lo, s19, v4, vcc_lo
	s_delay_alu instid0(VALU_DEP_3) | instskip(NEXT) | instid1(VALU_DEP_4)
	v_add_co_u32 v1, vcc_lo, s15, v1
	v_add_co_ci_u32_e32 v2, vcc_lo, s19, v2, vcc_lo
	s_delay_alu instid0(VALU_DEP_4) | instskip(NEXT) | instid1(VALU_DEP_4)
	v_add_co_u32 v65, vcc_lo, v3, v73
	v_add_co_ci_u32_e32 v66, vcc_lo, v4, v74, vcc_lo
	s_delay_alu instid0(VALU_DEP_4) | instskip(NEXT) | instid1(VALU_DEP_4)
	v_add_co_u32 v67, vcc_lo, v1, v73
	v_add_co_ci_u32_e32 v68, vcc_lo, v2, v74, vcc_lo
	s_clause 0xf
	global_load_b128 v[1:4], v[65:66], off
	global_load_b128 v[5:8], v[65:66], off offset:512
	global_load_b128 v[9:12], v[67:68], off offset:256
	;; [unrolled: 1-line block ×15, first 2 shown]
	v_add_co_u32 v157, vcc_lo, 0x1000, v65
	v_add_co_ci_u32_e32 v158, vcc_lo, 0, v66, vcc_lo
	v_add_co_u32 v165, vcc_lo, 0x1000, v67
	v_add_co_ci_u32_e32 v166, vcc_lo, 0, v68, vcc_lo
	s_clause 0x7
	global_load_b128 v[81:84], v[157:158], off
	global_load_b128 v[85:88], v[157:158], off offset:512
	global_load_b128 v[89:92], v[165:166], off offset:256
	;; [unrolled: 1-line block ×7, first 2 shown]
	v_mul_lo_u16 v65, 0x56, v77
	s_or_b32 s15, s12, 0xe0
	s_delay_alu instid0(SALU_CYCLE_1) | instskip(SKIP_1) | instid1(VALU_DEP_1)
	s_ashr_i32 s19, s15, 5
	s_cmp_lt_i32 s15, s17
	v_lshrrev_b16 v65, 8, v65
	s_cselect_b32 s22, s19, s4
	s_delay_alu instid0(SALU_CYCLE_1) | instskip(NEXT) | instid1(VALU_DEP_1)
	s_ashr_i32 s23, s22, 31
	v_mul_lo_u16 v65, v65, 3
	s_lshl_b64 s[22:23], s[22:23], 2
	s_delay_alu instid0(SALU_CYCLE_1) | instskip(SKIP_1) | instid1(VALU_DEP_1)
	s_add_u32 s22, s13, s22
	s_addc_u32 s23, s16, s23
	v_sub_nc_u16 v65, v77, v65
	s_add_i32 s15, s12, 0x100
	s_delay_alu instid0(SALU_CYCLE_1) | instskip(SKIP_1) | instid1(VALU_DEP_1)
	s_ashr_i32 s19, s15, 5
	s_cmp_lt_i32 s15, s17
	v_and_b32_e32 v65, 0xff, v65
	s_cselect_b32 s28, s19, s4
	s_delay_alu instid0(SALU_CYCLE_1) | instskip(NEXT) | instid1(VALU_DEP_1)
	s_ashr_i32 s29, s28, 31
	v_lshlrev_b32_e32 v169, 6, v65
	ds_load_b128 v[65:68], v169
	ds_load_b128 v[69:72], v169 offset:1024
	s_clause 0x1
	global_load_b128 v[113:116], v[157:158], off offset:2048
	global_load_b128 v[117:120], v[157:158], off offset:2560
	ds_load_b128 v[129:132], v169 offset:2048
	ds_load_b128 v[133:136], v169 offset:3072
	s_clause 0x5
	global_load_b128 v[145:148], v[165:166], off offset:2304
	global_load_b128 v[149:152], v[165:166], off offset:2816
	;; [unrolled: 1-line block ×6, first 2 shown]
	s_lshl_b64 s[28:29], s[28:29], 2
	s_delay_alu instid0(SALU_CYCLE_1)
	s_add_u32 s28, s13, s28
	s_addc_u32 s29, s16, s29
	s_add_u32 s4, s10, s2
	s_addc_u32 s19, s11, s3
	s_lshl_b64 s[2:3], s[8:9], 1
	s_lshl_b64 s[8:9], s[20:21], 1
	;; [unrolled: 1-line block ×4, first 2 shown]
	s_waitcnt vmcnt(30) lgkmcnt(2)
	v_wmma_f32_16x16x16_f16 v[137:144], v[1:8], v[65:72], v[121:128]
	ds_load_b128 v[1:4], v169 offset:4096
	ds_load_b128 v[5:8], v169 offset:5120
	s_waitcnt vmcnt(28)
	v_wmma_f32_16x16x16_f16 v[121:128], v[9:16], v[65:72], v[121:128]
	ds_load_b128 v[9:12], v169 offset:6144
	ds_load_b128 v[13:16], v169 offset:7168
	s_waitcnt vmcnt(26) lgkmcnt(4)
	v_wmma_f32_16x16x16_f16 v[137:144], v[17:24], v[129:136], v[137:144]
	ds_load_b128 v[17:20], v169 offset:8192
	ds_load_b128 v[21:24], v169 offset:9216
	s_waitcnt vmcnt(24)
	v_wmma_f32_16x16x16_f16 v[121:128], v[25:32], v[129:136], v[121:128]
	v_lshl_or_b32 v25, v78, 10, v79
	ds_load_b128 v[129:132], v169 offset:10240
	ds_load_b128 v[133:136], v169 offset:11264
	s_clause 0x2
	s_load_b32 s15, s[6:7], 0x0
	s_load_b32 s13, s[22:23], 0x0
	s_load_b32 s16, s[28:29], 0x0
	s_mul_hi_i32 s7, s36, s5
	v_add_co_u32 v170, s4, s4, v25
	s_delay_alu instid0(VALU_DEP_1)
	v_add_co_ci_u32_e64 v171, null, s19, 0, s4
	s_mul_i32 s6, s36, s5
	s_mul_i32 s36, s38, s5
	s_lshl_b64 s[6:7], s[6:7], 1
	s_lshl_b64 s[22:23], s[36:37], 1
	s_waitcnt vmcnt(22) lgkmcnt(0)
	v_wmma_f32_16x16x16_f16 v[137:144], v[33:40], v[1:8], v[137:144]
	s_waitcnt vmcnt(20)
	v_wmma_f32_16x16x16_f16 v[121:128], v[41:48], v[1:8], v[121:128]
	v_add_co_u32 v1, vcc_lo, v170, s2
	v_add_co_ci_u32_e32 v2, vcc_lo, s3, v171, vcc_lo
	v_add_co_u32 v3, vcc_lo, v170, s8
	v_add_co_ci_u32_e32 v4, vcc_lo, s9, v171, vcc_lo
	;; [unrolled: 2-line block ×4, first 2 shown]
	v_add_co_u32 v25, vcc_lo, v170, s6
	s_mul_hi_i32 s25, s15, s5
	s_mul_i32 s24, s15, s5
	v_add_co_ci_u32_e32 v26, vcc_lo, s7, v171, vcc_lo
	v_add_co_u32 v27, vcc_lo, v170, s22
	s_lshl_b64 s[24:25], s[24:25], 1
	s_waitcnt vmcnt(18)
	v_wmma_f32_16x16x16_f16 v[137:144], v[49:56], v[9:16], v[137:144]
	s_waitcnt vmcnt(16)
	v_wmma_f32_16x16x16_f16 v[121:128], v[57:64], v[9:16], v[121:128]
	v_add_co_ci_u32_e32 v28, vcc_lo, s23, v171, vcc_lo
	s_mul_hi_i32 s3, s13, s5
	s_mul_i32 s2, s13, s5
	v_add_co_u32 v29, vcc_lo, v170, s24
	s_lshl_b64 s[2:3], s[2:3], 1
	v_add_co_ci_u32_e32 v30, vcc_lo, s25, v171, vcc_lo
	s_waitcnt vmcnt(14)
	v_wmma_f32_16x16x16_f16 v[137:144], v[81:88], v[17:24], v[137:144]
	s_waitcnt vmcnt(12)
	v_wmma_f32_16x16x16_f16 v[121:128], v[89:96], v[17:24], v[121:128]
	v_add_co_u32 v17, vcc_lo, v170, s2
	v_add_co_ci_u32_e32 v18, vcc_lo, s3, v171, vcc_lo
	s_mul_hi_i32 s3, s16, s5
	s_mul_i32 s2, s16, s5
	s_clause 0x5
	global_load_b128 v[65:68], v[1:2], off
	global_load_b128 v[69:72], v[1:2], off offset:16
	global_load_b128 v[57:60], v[3:4], off
	global_load_b128 v[61:64], v[3:4], off offset:16
	;; [unrolled: 2-line block ×3, first 2 shown]
	s_lshl_b64 s[2:3], s[2:3], 1
	s_clause 0x1
	global_load_b128 v[41:44], v[7:8], off
	global_load_b128 v[45:48], v[7:8], off offset:16
	v_add_co_u32 v21, vcc_lo, v170, s2
	v_add_co_ci_u32_e32 v22, vcc_lo, s3, v171, vcc_lo
	s_clause 0x9
	global_load_b128 v[9:12], v[25:26], off
	global_load_b128 v[13:16], v[25:26], off offset:16
	global_load_b128 v[1:4], v[27:28], off
	global_load_b128 v[5:8], v[27:28], off offset:16
	;; [unrolled: 2-line block ×5, first 2 shown]
	ds_load_b128 v[81:84], v169 offset:12288
	ds_load_b128 v[85:88], v169 offset:13312
	v_and_b32_e32 v89, 0xe0, v0
	s_waitcnt vmcnt(28)
	v_wmma_f32_16x16x16_f16 v[137:144], v[97:104], v[129:136], v[137:144]
	v_mbcnt_lo_u32_b32 v97, -1, 0
	s_waitcnt vmcnt(26)
	v_wmma_f32_16x16x16_f16 v[121:128], v[105:112], v[129:136], v[121:128]
	v_add_nc_u32_e32 v98, s12, v89
	ds_load_b128 v[89:92], v169 offset:14336
	ds_load_b128 v[93:96], v169 offset:15360
	v_xor_b32_e32 v99, 16, v97
	s_waitcnt vmcnt(0) lgkmcnt(0)
	s_barrier
	v_or_b32_e32 v98, v98, v75
	buffer_gl0_inv
	v_cmp_gt_i32_e32 vcc_lo, 32, v99
	v_or_b32_e32 v100, 4, v98
	v_or_b32_e32 v101, 22, v98
	;; [unrolled: 1-line block ×4, first 2 shown]
	v_wmma_f32_16x16x16_f16 v[137:144], v[113:120], v[81:88], v[137:144]
	v_wmma_f32_16x16x16_f16 v[121:128], v[145:152], v[81:88], v[121:128]
	v_or_b32_e32 v81, 6, v98
	v_or_b32_e32 v82, 8, v98
	v_or_b32_e32 v83, 10, v98
	v_cmp_gt_i32_e64 s3, s17, v100
	v_or_b32_e32 v84, 12, v98
	v_wmma_f32_16x16x16_f16 v[137:144], v[153:160], v[89:96], v[137:144]
	v_wmma_f32_16x16x16_f16 v[121:128], v[161:168], v[89:96], v[121:128]
	v_cndmask_b32_e32 v97, v97, v99, vcc_lo
	v_or_b32_e32 v99, 2, v98
	v_cmp_gt_i32_e32 vcc_lo, s17, v98
	v_dual_mul_f32 v95, s18, v138 :: v_dual_mul_f32 v96, s18, v137
	v_mul_f32_e32 v93, s18, v140
	s_delay_alu instid0(VALU_DEP_4)
	v_cmp_gt_i32_e64 s2, s17, v99
	v_mul_f32_e32 v94, s18, v139
	v_mul_f32_e32 v108, s18, v126
	v_cndmask_b32_e32 v96, 0xff7fffff, v96, vcc_lo
	v_cmp_gt_i32_e64 s4, s17, v81
	v_cndmask_b32_e64 v95, 0xff7fffff, v95, s2
	v_or_b32_e32 v85, 14, v98
	v_dual_mul_f32 v91, s18, v142 :: v_dual_mul_f32 v110, s18, v124
	v_mul_f32_e32 v92, s18, v141
	v_cndmask_b32_e64 v94, 0xff7fffff, v94, s3
	v_cndmask_b32_e64 v81, 0xff7fffff, v93, s4
	v_max3_f32 v93, v96, 0xff7fffff, v95
	v_cmp_gt_i32_e64 s5, s17, v82
	v_cmp_gt_i32_e64 s6, s17, v83
	v_or_b32_e32 v86, 16, v98
	v_or_b32_e32 v87, 18, v98
	v_dual_mul_f32 v89, s18, v144 :: v_dual_mul_f32 v112, s18, v122
	v_mul_f32_e32 v90, s18, v143
	v_cndmask_b32_e64 v82, 0xff7fffff, v92, s5
	v_cndmask_b32_e64 v83, 0xff7fffff, v91, s6
	v_max3_f32 v81, v93, v94, v81
	v_cmp_gt_i32_e64 s7, s17, v84
	v_cmp_gt_i32_e64 s8, s17, v85
	v_or_b32_e32 v88, 20, v98
	v_mul_f32_e32 v113, s18, v121
	v_max3_f32 v81, v81, v82, v83
	v_cndmask_b32_e64 v84, 0xff7fffff, v90, s7
	v_cndmask_b32_e64 v85, 0xff7fffff, v89, s8
	v_cmp_gt_i32_e64 s9, s17, v86
	v_cmp_gt_i32_e64 s10, s17, v87
	v_mul_f32_e32 v111, s18, v123
	v_cmp_gt_i32_e64 s11, s17, v88
	v_max3_f32 v81, v81, v84, v85
	v_cndmask_b32_e64 v82, 0xff7fffff, v113, s9
	v_cndmask_b32_e64 v83, 0xff7fffff, v112, s10
	v_cmp_gt_i32_e64 s12, s17, v101
	v_or_b32_e32 v104, 28, v98
	v_or_b32_e32 v105, 30, v98
	v_mul_f32_e32 v109, s18, v125
	v_cndmask_b32_e64 v84, 0xff7fffff, v111, s11
	v_cndmask_b32_e64 v85, 0xff7fffff, v110, s12
	v_max3_f32 v81, v81, v82, v83
	v_cmp_gt_i32_e64 s13, s17, v102
	v_cmp_gt_i32_e64 s15, s17, v103
	v_dual_mul_f32 v106, s18, v128 :: v_dual_mul_f32 v107, s18, v127
	s_delay_alu instid0(VALU_DEP_4) | instskip(NEXT) | instid1(VALU_DEP_4)
	v_max3_f32 v81, v81, v84, v85
	v_cndmask_b32_e64 v82, 0xff7fffff, v109, s13
	s_delay_alu instid0(VALU_DEP_4) | instskip(SKIP_2) | instid1(VALU_DEP_3)
	v_cndmask_b32_e64 v83, 0xff7fffff, v108, s15
	v_cmp_gt_i32_e64 s16, s17, v104
	v_cmp_gt_i32_e64 s17, s17, v105
	v_max3_f32 v81, v81, v82, v83
	s_delay_alu instid0(VALU_DEP_3) | instskip(NEXT) | instid1(VALU_DEP_3)
	v_cndmask_b32_e64 v84, 0xff7fffff, v107, s16
	v_cndmask_b32_e64 v85, 0xff7fffff, v106, s17
	v_lshlrev_b32_e32 v83, 2, v97
	s_delay_alu instid0(VALU_DEP_2) | instskip(SKIP_3) | instid1(VALU_DEP_1)
	v_max3_f32 v81, v81, v84, v85
	ds_bpermute_b32 v82, v83, v81
	s_waitcnt lgkmcnt(0)
	v_max_f32_e32 v82, v82, v82
	v_max_f32_e32 v81, v81, v82
	s_delay_alu instid0(VALU_DEP_1)
	v_fma_f32 v82, s18, v137, -v81
	v_fma_f32 v84, s18, v138, -v81
	;; [unrolled: 1-line block ×5, first 2 shown]
	v_mul_f32_e32 v82, 0x3fb8aa3b, v82
	s_delay_alu instid0(VALU_DEP_4) | instskip(NEXT) | instid1(VALU_DEP_3)
	v_dual_mul_f32 v84, 0x3fb8aa3b, v84 :: v_dual_mul_f32 v89, 0x3fb8aa3b, v87
	v_mul_f32_e32 v86, 0x3fb8aa3b, v86
	s_delay_alu instid0(VALU_DEP_3) | instskip(NEXT) | instid1(VALU_DEP_2)
	v_exp_f32_e32 v82, v82
	v_exp_f32_e32 v84, v84
	s_delay_alu instid0(VALU_DEP_2) | instskip(NEXT) | instid1(VALU_DEP_1)
	v_exp_f32_e32 v92, v89
	v_exp_f32_e32 v86, v86
	v_cndmask_b32_e32 v88, 0, v82, vcc_lo
	s_delay_alu instid0(TRANS32_DEP_3)
	v_cndmask_b32_e64 v87, 0, v84, s2
	s_waitcnt_depctr 0xfff
	v_cndmask_b32_e64 v92, 0, v92, s5
	v_cmp_gt_u32_e64 s2, 16, v80
	v_cndmask_b32_e64 v89, 0, v86, s4
	v_add_f32_e32 v84, 0, v88
	s_delay_alu instid0(VALU_DEP_1) | instskip(NEXT) | instid1(VALU_DEP_1)
	v_dual_add_f32 v84, v84, v87 :: v_dual_mul_f32 v85, 0x3fb8aa3b, v85
	v_exp_f32_e32 v85, v85
	s_waitcnt_depctr 0xfff
	v_cndmask_b32_e64 v90, 0, v85, s3
	s_delay_alu instid0(VALU_DEP_1) | instskip(NEXT) | instid1(VALU_DEP_1)
	v_add_f32_e32 v84, v84, v90
	v_add_f32_e32 v84, v84, v89
	v_fma_f32 v82, s18, v142, -v81
	v_fma_f32 v91, s18, v143, -v81
	;; [unrolled: 1-line block ×5, first 2 shown]
	s_delay_alu instid0(VALU_DEP_4) | instskip(SKIP_1) | instid1(VALU_DEP_4)
	v_dual_mul_f32 v82, 0x3fb8aa3b, v82 :: v_dual_mul_f32 v91, 0x3fb8aa3b, v91
	v_fma_f32 v96, s18, v124, -v81
	v_mul_f32_e32 v86, 0x3fb8aa3b, v86
	v_fma_f32 v99, s18, v127, -v81
	s_delay_alu instid0(VALU_DEP_4) | instskip(SKIP_3) | instid1(VALU_DEP_1)
	v_exp_f32_e32 v82, v82
	v_exp_f32_e32 v93, v91
	v_mul_f32_e32 v97, 0x3fb8aa3b, v96
	v_exp_f32_e32 v86, v86
	v_exp_f32_e32 v97, v97
	v_cndmask_b32_e64 v91, 0, v82, s6
	v_dual_add_f32 v82, v84, v92 :: v_dual_mul_f32 v85, 0x3fb8aa3b, v85
	v_fma_f32 v84, s18, v123, -v81
	v_mul_f32_e32 v95, 0x3fb8aa3b, v94
	s_delay_alu instid0(TRANS32_DEP_3) | instskip(NEXT) | instid1(VALU_DEP_4)
	v_cndmask_b32_e64 v94, 0, v93, s7
	v_add_f32_e32 v82, v82, v91
	v_exp_f32_e32 v85, v85
	v_mul_f32_e32 v84, 0x3fb8aa3b, v84
	v_cndmask_b32_e64 v96, 0, v86, s9
	v_exp_f32_e32 v95, v95
	v_add_f32_e32 v82, v82, v94
	v_fma_f32 v86, s18, v126, -v81
	v_exp_f32_e32 v84, v84
	v_cndmask_b32_e64 v97, 0, v97, s12
	s_delay_alu instid0(TRANS32_DEP_3) | instskip(SKIP_2) | instid1(TRANS32_DEP_2)
	v_cndmask_b32_e64 v93, 0, v85, s8
	v_fma_f32 v85, s18, v125, -v81
	v_mul_f32_e32 v86, 0x3fb8aa3b, v86
	v_cndmask_b32_e64 v95, 0, v95, s10
	s_waitcnt_depctr 0xfff
	v_cndmask_b32_e64 v98, 0, v84, s11
	v_mul_f32_e32 v84, 0x3fb8aa3b, v99
	v_fma_f32 v99, s18, v128, -v81
	v_add_f32_e32 v82, v82, v93
	v_mul_f32_e32 v85, 0x3fb8aa3b, v85
	v_exp_f32_e32 v86, v86
	v_exp_f32_e32 v84, v84
	s_delay_alu instid0(VALU_DEP_1)
	v_exp_f32_e32 v85, v85
	s_waitcnt_depctr 0xfff
	v_cndmask_b32_e64 v102, 0, v84, s16
	v_cndmask_b32_e64 v100, 0, v85, s13
	v_dual_mul_f32 v85, 0x3fb8aa3b, v99 :: v_dual_add_f32 v82, v82, v96
	v_cndmask_b32_e64 v99, 0, v86, s15
	s_delay_alu instid0(VALU_DEP_2) | instskip(NEXT) | instid1(VALU_DEP_2)
	v_exp_f32_e32 v85, v85
	v_add_f32_e32 v82, v82, v95
	s_delay_alu instid0(VALU_DEP_1) | instskip(SKIP_3) | instid1(VALU_DEP_1)
	v_add_f32_e32 v82, v82, v98
	s_waitcnt_depctr 0xfff
	v_cndmask_b32_e64 v101, 0, v85, s17
	v_add_f32_e32 v82, v82, v97
	v_add_f32_e32 v82, v82, v100
	s_delay_alu instid0(VALU_DEP_1) | instskip(NEXT) | instid1(VALU_DEP_1)
	v_add_f32_e32 v82, v82, v99
	v_add_f32_e32 v82, v82, v102
	s_delay_alu instid0(VALU_DEP_1)
	v_add_f32_e32 v82, v82, v101
	ds_bpermute_b32 v83, v83, v82
	s_and_saveexec_b32 s3, s2
	s_cbranch_execz .LBB384_14
; %bb.13:
	v_mul_u32_u24_e32 v80, 0x44, v78
	s_waitcnt lgkmcnt(0)
	v_add_f32_e32 v82, v82, v83
	s_delay_alu instid0(VALU_DEP_2) | instskip(NEXT) | instid1(VALU_DEP_1)
	v_lshl_add_u32 v80, v77, 2, v80
	v_add_nc_u32_e32 v80, 0x4000, v80
	ds_store_2addr_b32 v80, v81, v82 offset1:136
.LBB384_14:
	s_or_b32 exec_lo, exec_lo, s3
	v_lshlrev_b32_e32 v80, 2, v77
	s_load_b32 s35, s[0:1], 0x94
	s_waitcnt lgkmcnt(0)
	s_barrier
	buffer_gl0_inv
	v_add_nc_u32_e32 v84, 0x4000, v80
	v_cmp_eq_u32_e32 vcc_lo, 1, v78
	v_cmp_eq_u32_e64 s3, 2, v78
	v_cmp_eq_u32_e64 s4, 3, v78
	;; [unrolled: 1-line block ×3, first 2 shown]
	ds_load_2addr_b32 v[80:81], v84 offset1:17
	ds_load_2addr_b32 v[82:83], v84 offset0:34 offset1:51
	ds_load_2addr_b32 v[103:104], v84 offset0:68 offset1:85
	;; [unrolled: 1-line block ×3, first 2 shown]
	v_cmp_eq_u32_e64 s6, 7, v78
	s_waitcnt lgkmcnt(3)
	v_max3_f32 v85, v80, 0xff7fffff, v81
	s_waitcnt lgkmcnt(2)
	s_delay_alu instid0(VALU_DEP_1) | instskip(SKIP_1) | instid1(VALU_DEP_1)
	v_max3_f32 v85, v85, v82, v83
	s_waitcnt lgkmcnt(1)
	v_max3_f32 v85, v85, v103, v104
	s_waitcnt lgkmcnt(0)
	s_delay_alu instid0(VALU_DEP_1) | instskip(NEXT) | instid1(VALU_DEP_1)
	v_max3_f32 v85, v85, v105, v106
	v_sub_f32_e32 v103, v103, v85
	ds_load_2addr_b32 v[107:108], v84 offset0:136 offset1:153
	v_sub_f32_e32 v80, v80, v85
	v_dual_sub_f32 v110, v83, v85 :: v_dual_mul_f32 v113, 0x3fb8aa3b, v103
	s_delay_alu instid0(VALU_DEP_2) | instskip(SKIP_3) | instid1(VALU_DEP_1)
	v_dual_sub_f32 v86, v81, v85 :: v_dual_mul_f32 v109, 0x3fb8aa3b, v80
	ds_load_2addr_b32 v[80:81], v84 offset0:170 offset1:187
	v_mul_f32_e32 v86, 0x3fb8aa3b, v86
	v_exp_f32_e32 v109, v109
	v_exp_f32_e32 v112, v86
	v_mul_f32_e32 v110, 0x3fb8aa3b, v110
	s_waitcnt lgkmcnt(1)
	s_waitcnt_depctr 0xfff
	v_fma_f32 v86, v109, v107, 0
	v_sub_f32_e32 v107, v104, v85
	v_sub_f32_e32 v82, v82, v85
	v_exp_f32_e32 v110, v110
	ds_load_2addr_b32 v[103:104], v84 offset0:238 offset1:255
	v_dual_fmac_f32 v86, v112, v108 :: v_dual_mul_f32 v111, 0x3fb8aa3b, v82
	ds_load_2addr_b32 v[82:83], v84 offset0:204 offset1:221
	v_dual_sub_f32 v84, v105, v85 :: v_dual_mul_f32 v105, 0x3fb8aa3b, v107
	v_exp_f32_e32 v107, v113
	v_exp_f32_e32 v111, v111
	s_waitcnt lgkmcnt(0)
	s_delay_alu instid0(VALU_DEP_1)
	v_mul_f32_e32 v84, 0x3fb8aa3b, v84
	v_exp_f32_e32 v105, v105
	s_barrier
	buffer_gl0_inv
	v_fmac_f32_e32 v86, v111, v80
	v_sub_f32_e32 v80, v106, v85
	v_exp_f32_e32 v106, v84
	s_delay_alu instid0(VALU_DEP_2) | instskip(NEXT) | instid1(VALU_DEP_2)
	v_fmac_f32_e32 v86, v110, v81
	v_mul_f32_e32 v80, 0x3fb8aa3b, v80
	s_delay_alu instid0(VALU_DEP_2) | instskip(NEXT) | instid1(VALU_DEP_2)
	v_dual_cndmask_b32 v81, v109, v112 :: v_dual_fmac_f32 v86, v107, v82
	v_exp_f32_e32 v108, v80
	s_delay_alu instid0(VALU_DEP_1) | instskip(SKIP_2) | instid1(VALU_DEP_1)
	v_fmac_f32_e32 v86, v105, v83
	s_waitcnt_depctr 0xfff
	v_fmac_f32_e32 v86, v106, v103
	v_fmac_f32_e32 v86, v108, v104
	s_delay_alu instid0(VALU_DEP_1) | instskip(NEXT) | instid1(VALU_DEP_1)
	v_add_f32_e32 v103, 0x358637bd, v86
	v_div_scale_f32 v104, null, v103, v103, 1.0
	v_div_scale_f32 v109, vcc_lo, 1.0, v103, 1.0
	s_delay_alu instid0(VALU_DEP_2) | instskip(SKIP_2) | instid1(VALU_DEP_1)
	v_rcp_f32_e32 v113, v104
	s_waitcnt_depctr 0xfff
	v_fma_f32 v80, -v104, v113, 1.0
	v_fmac_f32_e32 v113, v80, v113
	v_cndmask_b32_e64 v80, v81, v111, s3
	v_cmp_eq_u32_e64 s3, 4, v78
	v_lshl_or_b32 v81, v78, 11, v79
	s_delay_alu instid0(VALU_DEP_4) | instskip(NEXT) | instid1(VALU_DEP_4)
	v_mul_f32_e32 v111, v109, v113
	v_cndmask_b32_e64 v82, v80, v110, s4
	v_cmp_eq_u32_e64 s4, 6, v78
	s_delay_alu instid0(VALU_DEP_4) | instskip(SKIP_3) | instid1(VALU_DEP_3)
	v_lshl_or_b32 v78, v75, 4, v81
	v_lshlrev_b32_e32 v80, 2, v75
	v_fma_f32 v83, -v104, v111, v109
	v_cndmask_b32_e64 v84, v82, v107, s3
	v_or_b32_e32 v82, 1, v80
	s_delay_alu instid0(VALU_DEP_3) | instskip(NEXT) | instid1(VALU_DEP_3)
	v_fmac_f32_e32 v111, v83, v113
	v_cndmask_b32_e64 v105, v84, v105, s5
	v_or_b32_e32 v84, 2, v80
	v_or_b32_e32 v83, 3, v80
	v_cmp_eq_u32_e64 s3, 1, v80
	v_fma_f32 v104, -v104, v111, v109
	v_cndmask_b32_e64 v105, v105, v106, s4
	v_cmp_eq_u32_e64 s9, 1, v82
	v_cmp_eq_u32_e64 s10, 1, v84
	;; [unrolled: 1-line block ×3, first 2 shown]
	v_div_fmas_f32 v104, v104, v113, v111
	v_cndmask_b32_e64 v105, v105, v108, s6
	v_cmp_eq_u32_e32 vcc_lo, 2, v80
	v_cmp_eq_u32_e64 s12, 2, v82
	v_cmp_eq_u32_e64 s15, 2, v84
	v_div_fixup_f32 v103, v104, v103, 1.0
	v_cmp_eq_u32_e64 s16, 2, v83
	v_cmp_eq_u32_e64 s18, 3, v83
	v_cmp_eq_u32_e64 s4, 3, v80
	v_cmp_eq_u32_e64 s13, 3, v82
	v_mul_f32_e32 v111, v105, v103
	v_cmp_eq_u32_e64 s17, 3, v84
	v_cmp_eq_u32_e64 s22, 4, v83
	;; [unrolled: 1-line block ×4, first 2 shown]
	v_fma_mixlo_f16 v103, v111, v88, 0
	v_fma_mixlo_f16 v104, v111, v90, 0
	;; [unrolled: 1-line block ×8, first 2 shown]
	v_fma_mixhi_f16 v103, v111, v87, 0
	v_fma_mixhi_f16 v104, v111, v89, 0
	;; [unrolled: 1-line block ×8, first 2 shown]
	ds_store_b128 v78, v[103:106]
	ds_store_b128 v78, v[107:110] offset:1024
	s_waitcnt lgkmcnt(0)
	s_barrier
	buffer_gl0_inv
	ds_load_b128 v[87:90], v81
	ds_load_b128 v[91:94], v81 offset:16
	ds_load_b128 v[95:98], v81 offset:1024
	;; [unrolled: 1-line block ×3, first 2 shown]
	v_cmp_eq_u32_e64 s21, 4, v84
	v_cmp_eq_u32_e64 s24, 5, v83
	;; [unrolled: 1-line block ×13, first 2 shown]
	s_waitcnt lgkmcnt(3)
	v_lshrrev_b32_e32 v103, 16, v87
	s_waitcnt lgkmcnt(2)
	v_lshrrev_b32_e32 v107, 16, v91
	;; [unrolled: 2-line block ×4, first 2 shown]
	v_lshrrev_b32_e32 v104, 16, v88
	v_cndmask_b32_e64 v119, v87, v103, s3
	v_cndmask_b32_e64 v120, v91, v107, s3
	;; [unrolled: 1-line block ×8, first 2 shown]
	v_lshrrev_b32_e32 v108, 16, v92
	v_cndmask_b32_e64 v103, v95, v111, s3
	v_cndmask_b32_e64 v107, v99, v115, s3
	;; [unrolled: 1-line block ×5, first 2 shown]
	v_cndmask_b32_e32 v111, v119, v88, vcc_lo
	v_cndmask_b32_e64 v119, v121, v88, s12
	v_cndmask_b32_e64 v121, v123, v88, s15
	;; [unrolled: 1-line block ×4, first 2 shown]
	v_lshrrev_b32_e32 v112, 16, v96
	v_lshrrev_b32_e32 v116, 16, v100
	v_cndmask_b32_e64 v126, v99, v115, s9
	v_cndmask_b32_e64 v128, v99, v115, s10
	;; [unrolled: 1-line block ×3, first 2 shown]
	v_cndmask_b32_e32 v115, v120, v92, vcc_lo
	v_cndmask_b32_e64 v120, v122, v92, s12
	v_cndmask_b32_e64 v122, v124, v92, s15
	v_cndmask_b32_e32 v91, v103, v96, vcc_lo
	v_cndmask_b32_e32 v92, v107, v100, vcc_lo
	v_cndmask_b32_e64 v103, v125, v96, s12
	v_cndmask_b32_e64 v87, v87, v104, s18
	;; [unrolled: 1-line block ×3, first 2 shown]
	v_lshrrev_b32_e32 v105, 16, v89
	v_lshrrev_b32_e32 v109, 16, v93
	v_cndmask_b32_e64 v107, v127, v96, s15
	v_cndmask_b32_e64 v95, v95, v96, s16
	;; [unrolled: 1-line block ×14, first 2 shown]
	v_lshrrev_b32_e32 v113, 16, v97
	v_cndmask_b32_e64 v99, v99, v89, s5
	v_cndmask_b32_e64 v104, v111, v93, s5
	v_cndmask_b32_e64 v108, v115, v89, s19
	v_cndmask_b32_e64 v111, v119, v93, s19
	v_cndmask_b32_e64 v115, v120, v89, s21
	v_cndmask_b32_e64 v119, v121, v93, s21
	v_cndmask_b32_e64 v89, v91, v97, s5
	v_cndmask_b32_e64 v91, v92, v101, s5
	v_cndmask_b32_e64 v92, v103, v97, s19
	v_cndmask_b32_e64 v87, v87, v105, s24
	v_cndmask_b32_e64 v88, v88, v109, s24
	v_lshrrev_b32_e32 v106, 16, v90
	v_lshrrev_b32_e32 v110, 16, v94
	v_cndmask_b32_e64 v93, v99, v105, s6
	v_cndmask_b32_e64 v99, v104, v109, s6
	;; [unrolled: 1-line block ×9, first 2 shown]
	v_lshrrev_b32_e32 v114, 16, v98
	v_cndmask_b32_e64 v89, v89, v113, s6
	v_cndmask_b32_e64 v93, v93, v90, s7
	;; [unrolled: 1-line block ×19, first 2 shown]
	v_perm_b32 v90, v88, v87, 0x5040100
	v_cndmask_b32_e64 v87, v126, v100, s12
	v_cndmask_b32_e64 v105, v89, v114, s8
	v_perm_b32 v89, v103, v99, 0x5040100
	v_perm_b32 v88, v104, v94, 0x5040100
	v_cndmask_b32_e64 v94, v107, v112, s17
	v_cndmask_b32_e64 v95, v95, v112, s18
	;; [unrolled: 1-line block ×5, first 2 shown]
	v_lshrrev_b32_e32 v117, 16, v101
	v_cndmask_b32_e64 v94, v94, v97, s21
	v_cndmask_b32_e64 v95, v95, v97, s22
	;; [unrolled: 1-line block ×11, first 2 shown]
	v_lshrrev_b32_e32 v118, 16, v102
	v_cndmask_b32_e64 v91, v91, v102, s7
	v_cndmask_b32_e64 v94, v94, v98, s26
	;; [unrolled: 1-line block ×12, first 2 shown]
	v_perm_b32 v87, v93, v92, 0x5040100
	v_perm_b32 v94, v95, v94, 0x5040100
	v_perm_b32 v93, v96, v98, 0x5040100
	v_perm_b32 v92, v97, v106, 0x5040100
	v_perm_b32 v91, v91, v105, 0x5040100
	s_mul_i32 s7, s33, 3
	s_mov_b32 s3, exec_lo
	ds_store_b128 v78, v[87:90]
	ds_store_b128 v78, v[91:94] offset:1024
	v_cmpx_gt_u32_e32 3, v0
	s_cbranch_execz .LBB384_16
; %bb.15:
	s_mul_i32 s4, s7, s34
	s_load_b128 s[8:11], s[0:1], 0x58
	v_add3_u32 v77, s4, s31, v77
	s_delay_alu instid0(VALU_DEP_1) | instskip(NEXT) | instid1(VALU_DEP_1)
	v_mad_u64_u32 v[87:88], null, v77, s35, s[14:15]
	v_ashrrev_i32_e32 v88, 31, v87
	s_delay_alu instid0(VALU_DEP_1) | instskip(SKIP_1) | instid1(VALU_DEP_1)
	v_lshlrev_b64 v[87:88], 2, v[87:88]
	s_waitcnt lgkmcnt(0)
	v_add_co_u32 v89, vcc_lo, s10, v87
	s_delay_alu instid0(VALU_DEP_2)
	v_add_co_ci_u32_e32 v90, vcc_lo, s11, v88, vcc_lo
	v_add_co_u32 v87, vcc_lo, s8, v87
	v_add_co_ci_u32_e32 v88, vcc_lo, s9, v88, vcc_lo
	global_store_b32 v[89:90], v85, off
	global_store_b32 v[87:88], v86, off
.LBB384_16:
	s_or_b32 exec_lo, exec_lo, s3
	s_waitcnt lgkmcnt(0)
	s_waitcnt_vscnt null, 0x0
	s_barrier
	buffer_gl0_inv
	ds_load_b128 v[93:96], v79
	ds_load_b128 v[97:100], v79 offset:16
	ds_load_b128 v[105:108], v79 offset:1040
	;; [unrolled: 1-line block ×5, first 2 shown]
	v_cmp_eq_u32_e32 vcc_lo, 1, v84
	v_mov_b32_e32 v85, 0
	ds_load_b128 v[121:124], v79 offset:3088
	ds_load_b128 v[117:120], v79 offset:3072
	;; [unrolled: 1-line block ×4, first 2 shown]
	v_cmp_eq_u32_e64 s3, 1, v80
	v_cmp_eq_u32_e64 s4, 1, v83
	;; [unrolled: 1-line block ×3, first 2 shown]
	v_mov_b32_e32 v86, v85
	v_mov_b32_e32 v87, v85
	;; [unrolled: 1-line block ×7, first 2 shown]
	v_cmp_eq_u32_e64 s6, 2, v80
	s_waitcnt lgkmcnt(8)
	s_delay_alu instid0(VALU_DEP_2)
	v_wmma_f32_16x16x16_f16 v[85:92], v[65:72], v[93:100], v[85:92]
	ds_load_b128 v[69:72], v79 offset:5136
	ds_load_b128 v[65:68], v79 offset:5120
	;; [unrolled: 1-line block ×4, first 2 shown]
	s_waitcnt lgkmcnt(10)
	v_wmma_f32_16x16x16_f16 v[85:92], v[57:64], v[101:108], v[85:92]
	s_waitcnt lgkmcnt(8)
	s_delay_alu instid0(VALU_DEP_1)
	v_wmma_f32_16x16x16_f16 v[85:92], v[57:64], v[109:116], v[85:92]
	ds_load_b128 v[61:64], v79 offset:7184
	ds_load_b128 v[57:60], v79 offset:7168
	;; [unrolled: 1-line block ×4, first 2 shown]
	s_waitcnt lgkmcnt(10)
	v_wmma_f32_16x16x16_f16 v[85:92], v[49:56], v[117:124], v[85:92]
	s_waitcnt lgkmcnt(8)
	s_delay_alu instid0(VALU_DEP_1)
	v_wmma_f32_16x16x16_f16 v[85:92], v[49:56], v[125:132], v[85:92]
	ds_load_b128 v[53:56], v79 offset:9232
	ds_load_b128 v[49:52], v79 offset:9216
	s_waitcnt lgkmcnt(8)
	v_wmma_f32_16x16x16_f16 v[85:92], v[41:48], v[65:72], v[85:92]
	ds_load_b128 v[69:72], v79 offset:10256
	ds_load_b128 v[65:68], v79 offset:10240
	s_waitcnt lgkmcnt(8)
	v_wmma_f32_16x16x16_f16 v[85:92], v[41:48], v[93:100], v[85:92]
	ds_load_b128 v[45:48], v79 offset:11280
	ds_load_b128 v[41:44], v79 offset:11264
	s_waitcnt lgkmcnt(8)
	v_wmma_f32_16x16x16_f16 v[85:92], v[9:16], v[57:64], v[85:92]
	ds_load_b128 v[61:64], v79 offset:12304
	ds_load_b128 v[57:60], v79 offset:12288
	s_waitcnt lgkmcnt(8)
	v_wmma_f32_16x16x16_f16 v[85:92], v[9:16], v[101:108], v[85:92]
	ds_load_b128 v[13:16], v79 offset:13328
	ds_load_b128 v[9:12], v79 offset:13312
	s_waitcnt lgkmcnt(8)
	v_wmma_f32_16x16x16_f16 v[85:92], v[1:8], v[49:56], v[85:92]
	ds_load_b128 v[53:56], v79 offset:14352
	ds_load_b128 v[49:52], v79 offset:14336
	s_waitcnt lgkmcnt(8)
	v_wmma_f32_16x16x16_f16 v[85:92], v[1:8], v[65:72], v[85:92]
	ds_load_b128 v[5:8], v79 offset:15376
	ds_load_b128 v[1:4], v79 offset:15360
	s_waitcnt lgkmcnt(0)
	s_barrier
	buffer_gl0_inv
	v_wmma_f32_16x16x16_f16 v[85:92], v[33:40], v[41:48], v[85:92]
	s_delay_alu instid0(VALU_DEP_1) | instskip(NEXT) | instid1(VALU_DEP_1)
	v_wmma_f32_16x16x16_f16 v[85:92], v[33:40], v[57:64], v[85:92]
	v_wmma_f32_16x16x16_f16 v[85:92], v[25:32], v[9:16], v[85:92]
	s_delay_alu instid0(VALU_DEP_1) | instskip(NEXT) | instid1(VALU_DEP_1)
	v_wmma_f32_16x16x16_f16 v[85:92], v[25:32], v[49:56], v[85:92]
	v_wmma_f32_16x16x16_f16 v[85:92], v[17:24], v[1:8], v[85:92]
	s_delay_alu instid0(VALU_DEP_1) | instskip(NEXT) | instid1(VALU_DEP_2)
	v_cvt_f16_f32_e32 v1, v85
	v_cvt_f16_f32_e32 v2, v86
	s_delay_alu instid0(VALU_DEP_3) | instskip(NEXT) | instid1(VALU_DEP_4)
	v_cvt_f16_f32_e32 v3, v87
	v_cvt_f16_f32_e32 v4, v88
	;; [unrolled: 1-line block ×6, first 2 shown]
	v_pack_b32_f16 v1, v1, v2
	v_pack_b32_f16 v2, v3, v4
	;; [unrolled: 1-line block ×3, first 2 shown]
	s_delay_alu instid0(VALU_DEP_4)
	v_pack_b32_f16 v4, v7, v8
	ds_store_b128 v78, v[1:4]
	s_waitcnt lgkmcnt(0)
	s_barrier
	buffer_gl0_inv
	ds_load_b128 v[1:4], v81
	ds_load_b128 v[5:8], v81 offset:16
	s_waitcnt lgkmcnt(1)
	v_lshrrev_b32_e32 v9, 16, v1
	s_waitcnt lgkmcnt(0)
	v_lshrrev_b32_e32 v13, 16, v5
	v_lshrrev_b32_e32 v15, 16, v7
	;; [unrolled: 1-line block ×4, first 2 shown]
	v_cndmask_b32_e64 v17, v1, v9, s3
	v_cndmask_b32_e64 v18, v5, v13, s3
	;; [unrolled: 1-line block ×3, first 2 shown]
	v_cmp_eq_u32_e64 s3, 2, v82
	v_cndmask_b32_e64 v20, v5, v13, s5
	v_cndmask_b32_e32 v21, v1, v9, vcc_lo
	v_cndmask_b32_e32 v22, v5, v13, vcc_lo
	v_cndmask_b32_e64 v1, v1, v9, s4
	v_cndmask_b32_e64 v5, v5, v13, s4
	v_cmp_eq_u32_e32 vcc_lo, 2, v84
	v_cmp_eq_u32_e64 s4, 2, v83
	v_cndmask_b32_e64 v9, v17, v2, s6
	v_cndmask_b32_e64 v13, v18, v6, s6
	;; [unrolled: 1-line block ×4, first 2 shown]
	v_cndmask_b32_e32 v19, v21, v2, vcc_lo
	v_cmp_eq_u32_e64 s3, 3, v84
	v_cndmask_b32_e32 v20, v22, v6, vcc_lo
	v_cndmask_b32_e64 v1, v1, v2, s4
	v_cmp_eq_u32_e32 vcc_lo, 3, v83
	v_cmp_eq_u32_e64 s5, 3, v80
	v_cndmask_b32_e64 v2, v5, v6, s4
	v_cmp_eq_u32_e64 s4, 3, v82
	v_lshrrev_b32_e32 v16, 16, v8
	v_cmp_eq_u32_e64 s6, 4, v80
	v_cndmask_b32_e64 v5, v9, v10, s5
	v_cndmask_b32_e64 v6, v13, v14, s5
	;; [unrolled: 1-line block ×3, first 2 shown]
	v_cmp_eq_u32_e64 s5, 4, v82
	v_cndmask_b32_e64 v13, v18, v14, s4
	v_cndmask_b32_e64 v17, v19, v10, s3
	;; [unrolled: 1-line block ×3, first 2 shown]
	v_cndmask_b32_e32 v1, v1, v10, vcc_lo
	v_cndmask_b32_e32 v2, v2, v14, vcc_lo
	v_cmp_eq_u32_e32 vcc_lo, 4, v84
	v_cmp_eq_u32_e64 s4, 4, v83
	v_lshrrev_b32_e32 v11, 16, v3
	v_cndmask_b32_e64 v5, v5, v3, s6
	v_cndmask_b32_e64 v6, v6, v7, s6
	;; [unrolled: 1-line block ×4, first 2 shown]
	v_cndmask_b32_e32 v13, v17, v3, vcc_lo
	v_cmp_eq_u32_e64 s3, 5, v84
	v_cndmask_b32_e32 v14, v18, v7, vcc_lo
	v_cndmask_b32_e64 v1, v1, v3, s4
	v_cmp_eq_u32_e32 vcc_lo, 5, v83
	v_cmp_eq_u32_e64 s5, 5, v80
	v_cndmask_b32_e64 v2, v2, v7, s4
	v_cmp_eq_u32_e64 s4, 5, v82
	v_cmp_eq_u32_e64 s6, 6, v80
	v_cndmask_b32_e32 v1, v1, v11, vcc_lo
	v_cndmask_b32_e64 v3, v5, v11, s5
	v_cndmask_b32_e64 v5, v6, v15, s5
	;; [unrolled: 1-line block ×3, first 2 shown]
	v_cmp_eq_u32_e64 s5, 6, v82
	v_cndmask_b32_e64 v7, v10, v15, s4
	v_cndmask_b32_e64 v9, v13, v11, s3
	;; [unrolled: 1-line block ×3, first 2 shown]
	v_cndmask_b32_e32 v2, v2, v15, vcc_lo
	v_cmp_eq_u32_e32 vcc_lo, 6, v84
	v_cmp_eq_u32_e64 s3, 6, v83
	v_lshrrev_b32_e32 v12, 16, v4
	v_cndmask_b32_e64 v3, v3, v4, s6
	v_cndmask_b32_e64 v5, v5, v8, s6
	;; [unrolled: 1-line block ×4, first 2 shown]
	v_cndmask_b32_e32 v9, v9, v4, vcc_lo
	v_cmp_eq_u32_e64 s4, 7, v84
	v_cndmask_b32_e32 v10, v10, v8, vcc_lo
	v_cndmask_b32_e64 v1, v1, v4, s3
	v_cmp_eq_u32_e32 vcc_lo, 7, v83
	v_cndmask_b32_e64 v2, v2, v8, s3
	v_cmp_eq_u32_e64 s3, 7, v80
	v_cmp_eq_u32_e64 s5, 7, v82
	v_cndmask_b32_e32 v1, v1, v12, vcc_lo
	s_delay_alu instid0(VALU_DEP_4) | instskip(NEXT) | instid1(VALU_DEP_4)
	v_cndmask_b32_e32 v2, v2, v16, vcc_lo
	v_cndmask_b32_e64 v8, v3, v12, s3
	s_delay_alu instid0(VALU_DEP_4)
	v_cndmask_b32_e64 v6, v6, v12, s5
	v_cndmask_b32_e64 v3, v9, v12, s4
	;; [unrolled: 1-line block ×5, first 2 shown]
	v_perm_b32 v4, v2, v1, 0x5040100
	s_mov_b32 s3, exec_lo
	v_perm_b32 v3, v9, v3, 0x5040100
	v_perm_b32 v2, v7, v6, 0x5040100
	;; [unrolled: 1-line block ×3, first 2 shown]
	ds_store_b128 v78, v[1:4]
	s_waitcnt lgkmcnt(0)
	s_barrier
	buffer_gl0_inv
	v_cmpx_gt_u32_e32 32, v0
	s_cbranch_execz .LBB384_2
; %bb.17:
	s_load_b64 s[4:5], s[0:1], 0x68
	v_lshlrev_b32_e32 v0, 10, v0
	v_lshlrev_b32_e32 v2, 4, v76
	v_add_nc_u32_e32 v1, s31, v75
	s_lshl_b32 s0, s35, 7
	s_delay_alu instid0(SALU_CYCLE_1) | instskip(NEXT) | instid1(VALU_DEP_2)
	s_mul_i32 s1, s0, s34
	v_and_or_b32 v0, 0x3800, v0, v2
	s_mul_i32 s6, s1, s7
	v_mul_lo_u32 v1, v1, s0
	s_ashr_i32 s7, s6, 31
	s_delay_alu instid0(VALU_DEP_2) | instskip(SKIP_1) | instid1(VALU_DEP_2)
	v_lshl_or_b32 v3, v75, 6, v0
	s_lshl_b64 s[6:7], s[6:7], 1
	v_ashrrev_i32_e32 v2, 31, v1
	ds_load_b128 v[3:6], v3
	s_waitcnt lgkmcnt(0)
	s_add_u32 s1, s4, s6
	s_addc_u32 s3, s5, s7
	s_lshl_b32 s4, s14, 7
	v_lshlrev_b64 v[7:8], 1, v[1:2]
	s_ashr_i32 s5, s4, 31
	s_delay_alu instid0(SALU_CYCLE_1) | instskip(NEXT) | instid1(SALU_CYCLE_1)
	s_lshl_b64 s[4:5], s[4:5], 1
	s_add_u32 s1, s1, s4
	s_addc_u32 s3, s3, s5
	v_add_co_u32 v1, vcc_lo, s1, v73
	v_add_co_ci_u32_e32 v2, vcc_lo, s3, v74, vcc_lo
	s_delay_alu instid0(VALU_DEP_2) | instskip(NEXT) | instid1(VALU_DEP_2)
	v_add_co_u32 v7, vcc_lo, v1, v7
	v_add_co_ci_u32_e32 v8, vcc_lo, v2, v8, vcc_lo
	global_store_b128 v[7:8], v[3:6], off
	s_and_b32 exec_lo, exec_lo, s2
	s_cbranch_execz .LBB384_2
; %bb.18:
	ds_load_b128 v[3:6], v0 offset:128
	s_add_i32 s1, s31, 2
	s_delay_alu instid0(SALU_CYCLE_1) | instskip(NEXT) | instid1(SALU_CYCLE_1)
	s_mul_i32 s0, s1, s0
	s_ashr_i32 s1, s0, 31
	s_delay_alu instid0(SALU_CYCLE_1) | instskip(NEXT) | instid1(SALU_CYCLE_1)
	s_lshl_b64 s[0:1], s[0:1], 1
	v_add_co_u32 v0, vcc_lo, v1, s0
	v_add_co_ci_u32_e32 v1, vcc_lo, s1, v2, vcc_lo
	s_waitcnt lgkmcnt(0)
	global_store_b128 v[0:1], v[3:6], off
	s_nop 0
	s_sendmsg sendmsg(MSG_DEALLOC_VGPRS)
	s_endpgm
	.section	.rodata,"a",@progbits
	.p2align	6, 0x0
	.amdhsa_kernel _Z39paged_attention_ll4mi_QKV_mfma16_kernelIDF16_DF16_LN4vllm18Fp8KVCacheDataTypeE0EDF16_Li32ELi128ELi256ELb0ELi3EL8MFMAType0EEvPKT_PKT0_S8_ifPKiSA_SA_iPKfiiiPfSD_PS3_PT2_iSC_SC_
		.amdhsa_group_segment_fixed_size 17472
		.amdhsa_private_segment_fixed_size 0
		.amdhsa_kernarg_size 400
		.amdhsa_user_sgpr_count 13
		.amdhsa_user_sgpr_dispatch_ptr 0
		.amdhsa_user_sgpr_queue_ptr 0
		.amdhsa_user_sgpr_kernarg_segment_ptr 1
		.amdhsa_user_sgpr_dispatch_id 0
		.amdhsa_user_sgpr_private_segment_size 0
		.amdhsa_wavefront_size32 1
		.amdhsa_uses_dynamic_stack 0
		.amdhsa_enable_private_segment 0
		.amdhsa_system_sgpr_workgroup_id_x 1
		.amdhsa_system_sgpr_workgroup_id_y 1
		.amdhsa_system_sgpr_workgroup_id_z 1
		.amdhsa_system_sgpr_workgroup_info 0
		.amdhsa_system_vgpr_workitem_id 0
		.amdhsa_next_free_vgpr 172
		.amdhsa_next_free_sgpr 39
		.amdhsa_reserve_vcc 1
		.amdhsa_float_round_mode_32 0
		.amdhsa_float_round_mode_16_64 0
		.amdhsa_float_denorm_mode_32 3
		.amdhsa_float_denorm_mode_16_64 3
		.amdhsa_dx10_clamp 1
		.amdhsa_ieee_mode 1
		.amdhsa_fp16_overflow 0
		.amdhsa_workgroup_processor_mode 1
		.amdhsa_memory_ordered 1
		.amdhsa_forward_progress 0
		.amdhsa_shared_vgpr_count 0
		.amdhsa_exception_fp_ieee_invalid_op 0
		.amdhsa_exception_fp_denorm_src 0
		.amdhsa_exception_fp_ieee_div_zero 0
		.amdhsa_exception_fp_ieee_overflow 0
		.amdhsa_exception_fp_ieee_underflow 0
		.amdhsa_exception_fp_ieee_inexact 0
		.amdhsa_exception_int_div_zero 0
	.end_amdhsa_kernel
	.section	.text._Z39paged_attention_ll4mi_QKV_mfma16_kernelIDF16_DF16_LN4vllm18Fp8KVCacheDataTypeE0EDF16_Li32ELi128ELi256ELb0ELi3EL8MFMAType0EEvPKT_PKT0_S8_ifPKiSA_SA_iPKfiiiPfSD_PS3_PT2_iSC_SC_,"axG",@progbits,_Z39paged_attention_ll4mi_QKV_mfma16_kernelIDF16_DF16_LN4vllm18Fp8KVCacheDataTypeE0EDF16_Li32ELi128ELi256ELb0ELi3EL8MFMAType0EEvPKT_PKT0_S8_ifPKiSA_SA_iPKfiiiPfSD_PS3_PT2_iSC_SC_,comdat
.Lfunc_end384:
	.size	_Z39paged_attention_ll4mi_QKV_mfma16_kernelIDF16_DF16_LN4vllm18Fp8KVCacheDataTypeE0EDF16_Li32ELi128ELi256ELb0ELi3EL8MFMAType0EEvPKT_PKT0_S8_ifPKiSA_SA_iPKfiiiPfSD_PS3_PT2_iSC_SC_, .Lfunc_end384-_Z39paged_attention_ll4mi_QKV_mfma16_kernelIDF16_DF16_LN4vllm18Fp8KVCacheDataTypeE0EDF16_Li32ELi128ELi256ELb0ELi3EL8MFMAType0EEvPKT_PKT0_S8_ifPKiSA_SA_iPKfiiiPfSD_PS3_PT2_iSC_SC_
                                        ; -- End function
	.section	.AMDGPU.csdata,"",@progbits
; Kernel info:
; codeLenInByte = 7460
; NumSgprs: 41
; NumVgprs: 172
; ScratchSize: 0
; MemoryBound: 0
; FloatMode: 240
; IeeeMode: 1
; LDSByteSize: 17472 bytes/workgroup (compile time only)
; SGPRBlocks: 5
; VGPRBlocks: 21
; NumSGPRsForWavesPerEU: 41
; NumVGPRsForWavesPerEU: 172
; Occupancy: 8
; WaveLimiterHint : 1
; COMPUTE_PGM_RSRC2:SCRATCH_EN: 0
; COMPUTE_PGM_RSRC2:USER_SGPR: 13
; COMPUTE_PGM_RSRC2:TRAP_HANDLER: 0
; COMPUTE_PGM_RSRC2:TGID_X_EN: 1
; COMPUTE_PGM_RSRC2:TGID_Y_EN: 1
; COMPUTE_PGM_RSRC2:TGID_Z_EN: 1
; COMPUTE_PGM_RSRC2:TIDIG_COMP_CNT: 0
	.section	.text._Z39paged_attention_ll4mi_QKV_mfma16_kernelIDF16_DF16_LN4vllm18Fp8KVCacheDataTypeE0EDF16_Li32ELi128ELi256ELb0ELi4EL8MFMAType0EEvPKT_PKT0_S8_ifPKiSA_SA_iPKfiiiPfSD_PS3_PT2_iSC_SC_,"axG",@progbits,_Z39paged_attention_ll4mi_QKV_mfma16_kernelIDF16_DF16_LN4vllm18Fp8KVCacheDataTypeE0EDF16_Li32ELi128ELi256ELb0ELi4EL8MFMAType0EEvPKT_PKT0_S8_ifPKiSA_SA_iPKfiiiPfSD_PS3_PT2_iSC_SC_,comdat
	.protected	_Z39paged_attention_ll4mi_QKV_mfma16_kernelIDF16_DF16_LN4vllm18Fp8KVCacheDataTypeE0EDF16_Li32ELi128ELi256ELb0ELi4EL8MFMAType0EEvPKT_PKT0_S8_ifPKiSA_SA_iPKfiiiPfSD_PS3_PT2_iSC_SC_ ; -- Begin function _Z39paged_attention_ll4mi_QKV_mfma16_kernelIDF16_DF16_LN4vllm18Fp8KVCacheDataTypeE0EDF16_Li32ELi128ELi256ELb0ELi4EL8MFMAType0EEvPKT_PKT0_S8_ifPKiSA_SA_iPKfiiiPfSD_PS3_PT2_iSC_SC_
	.globl	_Z39paged_attention_ll4mi_QKV_mfma16_kernelIDF16_DF16_LN4vllm18Fp8KVCacheDataTypeE0EDF16_Li32ELi128ELi256ELb0ELi4EL8MFMAType0EEvPKT_PKT0_S8_ifPKiSA_SA_iPKfiiiPfSD_PS3_PT2_iSC_SC_
	.p2align	8
	.type	_Z39paged_attention_ll4mi_QKV_mfma16_kernelIDF16_DF16_LN4vllm18Fp8KVCacheDataTypeE0EDF16_Li32ELi128ELi256ELb0ELi4EL8MFMAType0EEvPKT_PKT0_S8_ifPKiSA_SA_iPKfiiiPfSD_PS3_PT2_iSC_SC_,@function
_Z39paged_attention_ll4mi_QKV_mfma16_kernelIDF16_DF16_LN4vllm18Fp8KVCacheDataTypeE0EDF16_Li32ELi128ELi256ELb0ELi4EL8MFMAType0EEvPKT_PKT0_S8_ifPKiSA_SA_iPKfiiiPfSD_PS3_PT2_iSC_SC_: ; @_Z39paged_attention_ll4mi_QKV_mfma16_kernelIDF16_DF16_LN4vllm18Fp8KVCacheDataTypeE0EDF16_Li32ELi128ELi256ELb0ELi4EL8MFMAType0EEvPKT_PKT0_S8_ifPKiSA_SA_iPKfiiiPfSD_PS3_PT2_iSC_SC_
; %bb.0:
	s_load_b64 s[2:3], s[0:1], 0x30
	s_mov_b32 s30, s13
	s_waitcnt lgkmcnt(0)
	s_cmp_lg_u64 s[2:3], 0
	s_cselect_b32 s6, -1, 0
	s_ashr_i32 s31, s13, 31
	s_cmp_eq_u64 s[2:3], 0
	s_cbranch_scc1 .LBB385_3
; %bb.1:
	s_lshl_b64 s[4:5], s[30:31], 2
	s_delay_alu instid0(SALU_CYCLE_1) | instskip(SKIP_4) | instid1(SALU_CYCLE_1)
	s_add_u32 s4, s2, s4
	s_addc_u32 s5, s3, s5
	s_load_b64 s[4:5], s[4:5], 0x0
	s_waitcnt lgkmcnt(0)
	s_sub_i32 s4, s5, s4
	s_cmp_eq_u32 s4, 1
	s_cselect_b32 s4, -1, 0
	s_delay_alu instid0(SALU_CYCLE_1)
	s_and_not1_b32 vcc_lo, exec_lo, s4
	s_cbranch_vccz .LBB385_4
.LBB385_2:
	s_endpgm
.LBB385_3:
.LBB385_4:
	s_load_b64 s[8:9], s[0:1], 0x28
	s_lshl_b64 s[4:5], s[30:31], 2
	s_waitcnt lgkmcnt(0)
	s_add_u32 s8, s8, s4
	s_addc_u32 s9, s9, s5
	s_lshl_b32 s12, s14, 8
	s_load_b32 s17, s[8:9], 0x0
	s_waitcnt lgkmcnt(0)
	s_cmp_ge_i32 s12, s17
	s_cbranch_scc1 .LBB385_2
; %bb.5:
	s_and_not1_b32 vcc_lo, exec_lo, s6
	s_cbranch_vccnz .LBB385_7
; %bb.6:
	s_add_u32 s2, s2, s4
	s_addc_u32 s3, s3, s5
	s_load_b32 s13, s[2:3], 0x0
	s_branch .LBB385_8
.LBB385_7:
	s_mov_b32 s13, s30
.LBB385_8:
	s_clause 0x2
	s_load_b128 s[8:11], s[0:1], 0x8
	s_load_b64 s[2:3], s[0:1], 0x20
	s_load_b128 s[4:7], s[0:1], 0x48
	v_and_b32_e32 v78, 15, v0
	s_waitcnt lgkmcnt(0)
	s_mov_b32 s7, exec_lo
	s_delay_alu instid0(VALU_DEP_1)
	v_lshlrev_b32_e32 v1, 3, v78
	v_cmpx_lt_u32_e32 63, v0
	s_xor_b32 s7, exec_lo, s7
; %bb.9:
	v_mov_b32_e32 v2, 0
; %bb.10:
	s_or_saveexec_b32 s7, s7
	v_lshrrev_b32_e32 v77, 5, v0
	v_and_b32_e32 v80, 31, v0
	v_and_b32_e32 v76, 1, v0
	v_bfe_u32 v75, v0, 4, 1
	s_lshl_b32 s31, s15, 2
	s_xor_b32 exec_lo, exec_lo, s7
	s_cbranch_execz .LBB385_12
; %bb.11:
	s_delay_alu instid0(VALU_DEP_1)
	v_lshl_or_b32 v7, v77, 1, v75
	s_load_b64 s[18:19], s[0:1], 0x0
	s_mul_hi_i32 s21, s13, s4
	s_mul_i32 s20, s13, s4
	v_lshlrev_b32_e32 v4, 1, v1
	v_or_b32_e32 v2, s31, v7
	s_lshl_b64 s[20:21], s[20:21], 1
	v_lshlrev_b32_e32 v7, 6, v7
	v_lshlrev_b32_e32 v8, 10, v76
	s_delay_alu instid0(VALU_DEP_3) | instskip(NEXT) | instid1(VALU_DEP_1)
	v_lshlrev_b32_e32 v2, 7, v2
	v_ashrrev_i32_e32 v3, 31, v2
	s_delay_alu instid0(VALU_DEP_1) | instskip(SKIP_3) | instid1(VALU_DEP_1)
	v_lshlrev_b64 v[2:3], 1, v[2:3]
	s_waitcnt lgkmcnt(0)
	s_add_u32 s4, s18, s20
	s_addc_u32 s13, s19, s21
	v_add_co_u32 v2, vcc_lo, s4, v2
	s_delay_alu instid0(VALU_DEP_2) | instskip(NEXT) | instid1(VALU_DEP_2)
	v_add_co_ci_u32_e32 v3, vcc_lo, s13, v3, vcc_lo
	v_add_co_u32 v2, vcc_lo, v2, v4
	s_delay_alu instid0(VALU_DEP_2) | instskip(SKIP_2) | instid1(VALU_DEP_1)
	v_add_co_ci_u32_e32 v3, vcc_lo, 0, v3, vcc_lo
	global_load_b128 v[3:6], v[2:3], off
	v_lshlrev_b32_e32 v2, 10, v78
	v_and_b32_e32 v2, 0x3800, v2
	s_delay_alu instid0(VALU_DEP_1)
	v_or3_b32 v7, v2, v8, v7
	v_mov_b32_e32 v2, 0
	s_waitcnt vmcnt(0)
	ds_store_b128 v7, v[3:6]
.LBB385_12:
	s_or_b32 exec_lo, exec_lo, s7
	v_and_b32_e32 v3, 0xef, v0
	s_add_i32 s4, s17, 31
	s_clause 0x1
	s_load_b32 s7, s[0:1], 0x38
	s_load_b32 s33, s[0:1], 0x98
	s_ashr_i32 s13, s4, 31
	v_add_nc_u32_e32 v3, s12, v3
	s_lshr_b32 s13, s13, 27
	s_load_b32 s18, s[0:1], 0x1c
	s_add_i32 s4, s4, s13
	s_waitcnt lgkmcnt(0)
	v_ashrrev_i32_e32 v4, 31, v3
	v_cmp_gt_i32_e32 vcc_lo, s17, v3
	s_ashr_i32 s4, s4, 5
	s_barrier
	s_add_i32 s4, s4, -1
	v_lshrrev_b32_e32 v5, 27, v4
	v_or_b32_e32 v4, 16, v3
	buffer_gl0_inv
	v_lshlrev_b64 v[73:74], 1, v[1:2]
	v_lshlrev_b32_e32 v79, 6, v78
	v_add_nc_u32_e32 v6, v3, v5
	v_add_nc_u32_e32 v5, v4, v5
	s_mul_i32 s20, s30, s7
	s_delay_alu instid0(SALU_CYCLE_1) | instskip(NEXT) | instid1(VALU_DEP_2)
	s_ashr_i32 s21, s20, 31
	v_ashrrev_i32_e32 v6, 5, v6
	s_delay_alu instid0(VALU_DEP_2) | instskip(SKIP_1) | instid1(SALU_CYCLE_1)
	v_ashrrev_i32_e32 v5, 5, v5
	s_lshl_b64 s[20:21], s[20:21], 2
	s_add_u32 s13, s2, s20
	s_delay_alu instid0(VALU_DEP_2) | instskip(SKIP_3) | instid1(SALU_CYCLE_1)
	v_cndmask_b32_e32 v3, s4, v6, vcc_lo
	v_cmp_gt_i32_e32 vcc_lo, s17, v4
	s_addc_u32 s16, s3, s21
	s_mul_i32 s2, s15, s6
	s_ashr_i32 s3, s2, 31
	v_cndmask_b32_e32 v5, s4, v5, vcc_lo
	v_ashrrev_i32_e32 v4, 31, v3
	s_lshl_b64 s[2:3], s[2:3], 1
	s_delay_alu instid0(SALU_CYCLE_1) | instskip(NEXT) | instid1(VALU_DEP_2)
	s_add_u32 s15, s8, s2
	v_ashrrev_i32_e32 v6, 31, v5
	s_delay_alu instid0(VALU_DEP_2) | instskip(SKIP_2) | instid1(VALU_DEP_2)
	v_lshlrev_b64 v[3:4], 2, v[3:4]
	s_addc_u32 s19, s9, s3
	s_lshl_b32 s6, s14, 3
	v_lshlrev_b64 v[5:6], 2, v[5:6]
	s_ashr_i32 s7, s6, 31
	s_delay_alu instid0(VALU_DEP_2) | instskip(SKIP_1) | instid1(VALU_DEP_3)
	v_add_co_u32 v3, vcc_lo, s13, v3
	v_add_co_ci_u32_e32 v4, vcc_lo, s16, v4, vcc_lo
	v_add_co_u32 v5, vcc_lo, s13, v5
	s_delay_alu instid0(VALU_DEP_4)
	v_add_co_ci_u32_e32 v6, vcc_lo, s16, v6, vcc_lo
	s_lshl_b64 s[6:7], s[6:7], 2
	s_clause 0x1
	global_load_b32 v7, v[3:4], off
	global_load_b32 v8, v[5:6], off
	s_add_u32 s6, s13, s6
	s_addc_u32 s7, s16, s7
	s_or_b32 s8, s12, 32
	s_delay_alu instid0(SALU_CYCLE_1) | instskip(SKIP_2) | instid1(SALU_CYCLE_1)
	s_ashr_i32 s9, s8, 5
	s_cmp_lt_i32 s8, s17
	s_cselect_b32 s8, s9, s4
	s_ashr_i32 s9, s8, 31
	s_delay_alu instid0(SALU_CYCLE_1) | instskip(NEXT) | instid1(SALU_CYCLE_1)
	s_lshl_b64 s[8:9], s[8:9], 2
	s_add_u32 s8, s13, s8
	s_addc_u32 s9, s16, s9
	s_or_b32 s20, s12, 64
	s_delay_alu instid0(SALU_CYCLE_1) | instskip(SKIP_2) | instid1(SALU_CYCLE_1)
	s_ashr_i32 s21, s20, 5
	s_cmp_lt_i32 s20, s17
	s_cselect_b32 s20, s21, s4
	s_ashr_i32 s21, s20, 31
	s_delay_alu instid0(SALU_CYCLE_1) | instskip(NEXT) | instid1(SALU_CYCLE_1)
	s_lshl_b64 s[20:21], s[20:21], 2
	;; [unrolled: 10-line block ×5, first 2 shown]
	s_add_u32 s26, s13, s26
	s_addc_u32 s27, s16, s27
	s_clause 0x5
	s_load_b32 s28, s[6:7], 0x0
	s_load_b32 s29, s[8:9], 0x0
	s_load_b32 s34, s[20:21], 0x0
	s_load_b32 s35, s[22:23], 0x0
	s_load_b32 s36, s[24:25], 0x0
	s_load_b32 s37, s[26:27], 0x0
	s_mov_b32 s20, 0
	s_or_b32 s6, s12, 0xc0
	s_mov_b32 s21, s20
	s_mov_b32 s22, s20
	;; [unrolled: 1-line block ×7, first 2 shown]
	s_ashr_i32 s7, s6, 5
	v_mov_b32_e32 v128, s27
	s_cmp_lt_i32 s6, s17
	v_mov_b32_e32 v127, s26
	s_cselect_b32 s6, s7, s4
	v_mov_b32_e32 v126, s25
	s_ashr_i32 s7, s6, 31
	v_mov_b32_e32 v125, s24
	s_lshl_b64 s[6:7], s[6:7], 2
	v_mov_b32_e32 v124, s23
	s_add_u32 s6, s13, s6
	s_addc_u32 s7, s16, s7
	v_mov_b32_e32 v123, s22
	v_mov_b32_e32 v121, s20
	s_waitcnt lgkmcnt(0)
	s_mul_hi_i32 s9, s28, s5
	s_mul_i32 s8, s28, s5
	v_mov_b32_e32 v122, s21
	s_mul_hi_i32 s21, s29, s5
	s_mul_i32 s20, s29, s5
	s_mul_hi_i32 s25, s34, s5
	s_mul_i32 s24, s34, s5
	;; [unrolled: 2-line block ×4, first 2 shown]
	s_waitcnt vmcnt(1)
	v_mad_i64_i32 v[3:4], null, v7, s5, 0
	s_waitcnt vmcnt(0)
	v_mad_i64_i32 v[5:6], null, v8, s5, 0
	s_delay_alu instid0(VALU_DEP_2) | instskip(NEXT) | instid1(VALU_DEP_2)
	v_lshlrev_b64 v[3:4], 1, v[3:4]
	v_lshlrev_b64 v[1:2], 1, v[5:6]
	s_delay_alu instid0(VALU_DEP_2) | instskip(NEXT) | instid1(VALU_DEP_3)
	v_add_co_u32 v3, vcc_lo, s15, v3
	v_add_co_ci_u32_e32 v4, vcc_lo, s19, v4, vcc_lo
	s_delay_alu instid0(VALU_DEP_3) | instskip(NEXT) | instid1(VALU_DEP_4)
	v_add_co_u32 v1, vcc_lo, s15, v1
	v_add_co_ci_u32_e32 v2, vcc_lo, s19, v2, vcc_lo
	s_delay_alu instid0(VALU_DEP_4) | instskip(NEXT) | instid1(VALU_DEP_4)
	v_add_co_u32 v65, vcc_lo, v3, v73
	v_add_co_ci_u32_e32 v66, vcc_lo, v4, v74, vcc_lo
	s_delay_alu instid0(VALU_DEP_4) | instskip(NEXT) | instid1(VALU_DEP_4)
	v_add_co_u32 v67, vcc_lo, v1, v73
	v_add_co_ci_u32_e32 v68, vcc_lo, v2, v74, vcc_lo
	s_clause 0xf
	global_load_b128 v[1:4], v[65:66], off
	global_load_b128 v[5:8], v[65:66], off offset:512
	global_load_b128 v[9:12], v[67:68], off offset:256
	global_load_b128 v[13:16], v[67:68], off offset:768
	global_load_b128 v[17:20], v[65:66], off offset:1024
	global_load_b128 v[21:24], v[65:66], off offset:1536
	global_load_b128 v[25:28], v[67:68], off offset:1280
	global_load_b128 v[29:32], v[67:68], off offset:1792
	global_load_b128 v[33:36], v[65:66], off offset:2048
	global_load_b128 v[37:40], v[65:66], off offset:2560
	global_load_b128 v[41:44], v[67:68], off offset:2304
	global_load_b128 v[45:48], v[67:68], off offset:2816
	global_load_b128 v[49:52], v[65:66], off offset:3072
	global_load_b128 v[53:56], v[65:66], off offset:3584
	global_load_b128 v[57:60], v[67:68], off offset:3328
	global_load_b128 v[61:64], v[67:68], off offset:3840
	v_add_co_u32 v157, vcc_lo, 0x1000, v65
	v_add_co_ci_u32_e32 v158, vcc_lo, 0, v66, vcc_lo
	v_add_co_u32 v165, vcc_lo, 0x1000, v67
	v_add_co_ci_u32_e32 v166, vcc_lo, 0, v68, vcc_lo
	s_clause 0x7
	global_load_b128 v[81:84], v[157:158], off
	global_load_b128 v[85:88], v[157:158], off offset:512
	global_load_b128 v[89:92], v[165:166], off offset:256
	;; [unrolled: 1-line block ×7, first 2 shown]
	v_and_b32_e32 v65, 3, v0
	s_or_b32 s15, s12, 0xe0
	s_delay_alu instid0(SALU_CYCLE_1) | instskip(SKIP_1) | instid1(VALU_DEP_1)
	s_ashr_i32 s19, s15, 5
	s_cmp_lt_i32 s15, s17
	v_lshlrev_b32_e32 v169, 6, v65
	ds_load_b128 v[65:68], v169
	ds_load_b128 v[69:72], v169 offset:1024
	s_clause 0x1
	global_load_b128 v[113:116], v[157:158], off offset:2048
	global_load_b128 v[117:120], v[157:158], off offset:2560
	ds_load_b128 v[129:132], v169 offset:2048
	ds_load_b128 v[133:136], v169 offset:3072
	s_clause 0x5
	global_load_b128 v[145:148], v[165:166], off offset:2304
	global_load_b128 v[149:152], v[165:166], off offset:2816
	;; [unrolled: 1-line block ×6, first 2 shown]
	s_cselect_b32 s22, s19, s4
	s_delay_alu instid0(SALU_CYCLE_1) | instskip(NEXT) | instid1(SALU_CYCLE_1)
	s_ashr_i32 s23, s22, 31
	s_lshl_b64 s[22:23], s[22:23], 2
	s_delay_alu instid0(SALU_CYCLE_1) | instskip(SKIP_2) | instid1(SALU_CYCLE_1)
	s_add_u32 s22, s13, s22
	s_addc_u32 s23, s16, s23
	s_add_i32 s15, s12, 0x100
	s_ashr_i32 s19, s15, 5
	s_cmp_lt_i32 s15, s17
	s_cselect_b32 s28, s19, s4
	s_delay_alu instid0(SALU_CYCLE_1) | instskip(NEXT) | instid1(SALU_CYCLE_1)
	s_ashr_i32 s29, s28, 31
	s_lshl_b64 s[28:29], s[28:29], 2
	s_delay_alu instid0(SALU_CYCLE_1)
	s_add_u32 s28, s13, s28
	s_addc_u32 s29, s16, s29
	s_add_u32 s4, s10, s2
	s_addc_u32 s19, s11, s3
	s_lshl_b64 s[2:3], s[8:9], 1
	s_lshl_b64 s[8:9], s[20:21], 1
	;; [unrolled: 1-line block ×4, first 2 shown]
	s_waitcnt vmcnt(30) lgkmcnt(2)
	v_wmma_f32_16x16x16_f16 v[137:144], v[1:8], v[65:72], v[121:128]
	ds_load_b128 v[1:4], v169 offset:4096
	ds_load_b128 v[5:8], v169 offset:5120
	s_waitcnt vmcnt(28)
	v_wmma_f32_16x16x16_f16 v[121:128], v[9:16], v[65:72], v[121:128]
	ds_load_b128 v[9:12], v169 offset:6144
	ds_load_b128 v[13:16], v169 offset:7168
	s_waitcnt vmcnt(26) lgkmcnt(4)
	v_wmma_f32_16x16x16_f16 v[137:144], v[17:24], v[129:136], v[137:144]
	ds_load_b128 v[17:20], v169 offset:8192
	ds_load_b128 v[21:24], v169 offset:9216
	s_waitcnt vmcnt(24)
	v_wmma_f32_16x16x16_f16 v[121:128], v[25:32], v[129:136], v[121:128]
	v_lshl_or_b32 v25, v77, 10, v79
	ds_load_b128 v[129:132], v169 offset:10240
	ds_load_b128 v[133:136], v169 offset:11264
	s_clause 0x2
	s_load_b32 s15, s[6:7], 0x0
	s_load_b32 s13, s[22:23], 0x0
	;; [unrolled: 1-line block ×3, first 2 shown]
	s_mul_hi_i32 s7, s36, s5
	v_add_co_u32 v170, s4, s4, v25
	s_delay_alu instid0(VALU_DEP_1)
	v_add_co_ci_u32_e64 v171, null, s19, 0, s4
	s_mul_i32 s6, s36, s5
	s_lshl_b64 s[22:23], s[34:35], 1
	s_lshl_b64 s[6:7], s[6:7], 1
	s_waitcnt vmcnt(22) lgkmcnt(0)
	v_wmma_f32_16x16x16_f16 v[137:144], v[33:40], v[1:8], v[137:144]
	s_waitcnt vmcnt(20)
	v_wmma_f32_16x16x16_f16 v[121:128], v[41:48], v[1:8], v[121:128]
	v_add_co_u32 v1, vcc_lo, v170, s2
	v_add_co_ci_u32_e32 v2, vcc_lo, s3, v171, vcc_lo
	v_add_co_u32 v3, vcc_lo, v170, s8
	v_add_co_ci_u32_e32 v4, vcc_lo, s9, v171, vcc_lo
	;; [unrolled: 2-line block ×4, first 2 shown]
	v_add_co_u32 v25, vcc_lo, v170, s6
	s_mul_hi_i32 s25, s15, s5
	s_mul_i32 s24, s15, s5
	v_add_co_ci_u32_e32 v26, vcc_lo, s7, v171, vcc_lo
	v_add_co_u32 v27, vcc_lo, v170, s22
	s_lshl_b64 s[24:25], s[24:25], 1
	s_waitcnt vmcnt(18)
	v_wmma_f32_16x16x16_f16 v[137:144], v[49:56], v[9:16], v[137:144]
	s_waitcnt vmcnt(16)
	v_wmma_f32_16x16x16_f16 v[121:128], v[57:64], v[9:16], v[121:128]
	v_add_co_ci_u32_e32 v28, vcc_lo, s23, v171, vcc_lo
	s_mul_hi_i32 s3, s13, s5
	s_mul_i32 s2, s13, s5
	v_add_co_u32 v29, vcc_lo, v170, s24
	s_lshl_b64 s[2:3], s[2:3], 1
	v_add_co_ci_u32_e32 v30, vcc_lo, s25, v171, vcc_lo
	s_waitcnt vmcnt(14)
	v_wmma_f32_16x16x16_f16 v[137:144], v[81:88], v[17:24], v[137:144]
	s_waitcnt vmcnt(12)
	v_wmma_f32_16x16x16_f16 v[121:128], v[89:96], v[17:24], v[121:128]
	v_add_co_u32 v17, vcc_lo, v170, s2
	v_add_co_ci_u32_e32 v18, vcc_lo, s3, v171, vcc_lo
	s_mul_hi_i32 s3, s16, s5
	s_mul_i32 s2, s16, s5
	s_clause 0x5
	global_load_b128 v[65:68], v[1:2], off
	global_load_b128 v[69:72], v[1:2], off offset:16
	global_load_b128 v[57:60], v[3:4], off
	global_load_b128 v[61:64], v[3:4], off offset:16
	;; [unrolled: 2-line block ×3, first 2 shown]
	s_lshl_b64 s[2:3], s[2:3], 1
	s_clause 0x1
	global_load_b128 v[41:44], v[7:8], off
	global_load_b128 v[45:48], v[7:8], off offset:16
	v_add_co_u32 v21, vcc_lo, v170, s2
	v_add_co_ci_u32_e32 v22, vcc_lo, s3, v171, vcc_lo
	s_clause 0x9
	global_load_b128 v[9:12], v[25:26], off
	global_load_b128 v[13:16], v[25:26], off offset:16
	global_load_b128 v[1:4], v[27:28], off
	global_load_b128 v[5:8], v[27:28], off offset:16
	;; [unrolled: 2-line block ×5, first 2 shown]
	ds_load_b128 v[81:84], v169 offset:12288
	ds_load_b128 v[85:88], v169 offset:13312
	v_and_b32_e32 v89, 0xe0, v0
	s_waitcnt vmcnt(28)
	v_wmma_f32_16x16x16_f16 v[137:144], v[97:104], v[129:136], v[137:144]
	v_mbcnt_lo_u32_b32 v97, -1, 0
	s_waitcnt vmcnt(26)
	v_wmma_f32_16x16x16_f16 v[121:128], v[105:112], v[129:136], v[121:128]
	v_add_nc_u32_e32 v98, s12, v89
	ds_load_b128 v[89:92], v169 offset:14336
	ds_load_b128 v[93:96], v169 offset:15360
	v_xor_b32_e32 v99, 16, v97
	s_waitcnt vmcnt(0) lgkmcnt(0)
	s_barrier
	v_or_b32_e32 v98, v98, v75
	buffer_gl0_inv
	v_cmp_gt_i32_e32 vcc_lo, 32, v99
	v_or_b32_e32 v100, 4, v98
	v_or_b32_e32 v101, 22, v98
	;; [unrolled: 1-line block ×4, first 2 shown]
	v_wmma_f32_16x16x16_f16 v[137:144], v[113:120], v[81:88], v[137:144]
	v_wmma_f32_16x16x16_f16 v[121:128], v[145:152], v[81:88], v[121:128]
	v_or_b32_e32 v81, 6, v98
	v_or_b32_e32 v82, 8, v98
	;; [unrolled: 1-line block ×3, first 2 shown]
	v_cmp_gt_i32_e64 s3, s17, v100
	v_or_b32_e32 v84, 12, v98
	v_wmma_f32_16x16x16_f16 v[137:144], v[153:160], v[89:96], v[137:144]
	v_wmma_f32_16x16x16_f16 v[121:128], v[161:168], v[89:96], v[121:128]
	v_cndmask_b32_e32 v97, v97, v99, vcc_lo
	v_or_b32_e32 v99, 2, v98
	v_cmp_gt_i32_e32 vcc_lo, s17, v98
	v_dual_mul_f32 v95, s18, v138 :: v_dual_mul_f32 v96, s18, v137
	v_mul_f32_e32 v93, s18, v140
	s_delay_alu instid0(VALU_DEP_4)
	v_cmp_gt_i32_e64 s2, s17, v99
	v_mul_f32_e32 v94, s18, v139
	v_mul_f32_e32 v106, s18, v128
	v_cndmask_b32_e32 v96, 0xff7fffff, v96, vcc_lo
	v_cmp_gt_i32_e64 s4, s17, v81
	v_cndmask_b32_e64 v95, 0xff7fffff, v95, s2
	v_or_b32_e32 v85, 14, v98
	v_dual_mul_f32 v91, s18, v142 :: v_dual_mul_f32 v110, s18, v124
	v_mul_f32_e32 v92, s18, v141
	v_cndmask_b32_e64 v94, 0xff7fffff, v94, s3
	v_cndmask_b32_e64 v81, 0xff7fffff, v93, s4
	v_max3_f32 v93, v96, 0xff7fffff, v95
	v_cmp_gt_i32_e64 s5, s17, v82
	v_cmp_gt_i32_e64 s6, s17, v83
	v_or_b32_e32 v86, 16, v98
	v_or_b32_e32 v87, 18, v98
	v_dual_mul_f32 v89, s18, v144 :: v_dual_mul_f32 v112, s18, v122
	v_mul_f32_e32 v90, s18, v143
	v_cndmask_b32_e64 v82, 0xff7fffff, v92, s5
	v_cndmask_b32_e64 v83, 0xff7fffff, v91, s6
	v_max3_f32 v81, v93, v94, v81
	v_cmp_gt_i32_e64 s7, s17, v84
	v_cmp_gt_i32_e64 s8, s17, v85
	v_or_b32_e32 v88, 20, v98
	v_mul_f32_e32 v113, s18, v121
	v_max3_f32 v81, v81, v82, v83
	v_cndmask_b32_e64 v84, 0xff7fffff, v90, s7
	v_cndmask_b32_e64 v85, 0xff7fffff, v89, s8
	v_cmp_gt_i32_e64 s9, s17, v86
	v_cmp_gt_i32_e64 s10, s17, v87
	v_mul_f32_e32 v111, s18, v123
	v_cmp_gt_i32_e64 s11, s17, v88
	v_max3_f32 v81, v81, v84, v85
	v_cndmask_b32_e64 v82, 0xff7fffff, v113, s9
	v_cndmask_b32_e64 v83, 0xff7fffff, v112, s10
	v_cmp_gt_i32_e64 s12, s17, v101
	v_or_b32_e32 v104, 28, v98
	v_or_b32_e32 v105, 30, v98
	v_dual_mul_f32 v108, s18, v126 :: v_dual_mul_f32 v109, s18, v125
	v_cndmask_b32_e64 v84, 0xff7fffff, v111, s11
	v_cndmask_b32_e64 v85, 0xff7fffff, v110, s12
	v_max3_f32 v81, v81, v82, v83
	v_cmp_gt_i32_e64 s13, s17, v102
	v_cmp_gt_i32_e64 s15, s17, v103
	v_mul_f32_e32 v107, s18, v127
	v_cmp_gt_i32_e64 s16, s17, v104
	v_max3_f32 v81, v81, v84, v85
	v_cndmask_b32_e64 v82, 0xff7fffff, v109, s13
	v_cndmask_b32_e64 v83, 0xff7fffff, v108, s15
	v_cmp_gt_i32_e64 s17, s17, v105
	v_cndmask_b32_e64 v84, 0xff7fffff, v107, s16
	s_delay_alu instid0(VALU_DEP_3) | instskip(NEXT) | instid1(VALU_DEP_3)
	v_max3_f32 v81, v81, v82, v83
	v_cndmask_b32_e64 v85, 0xff7fffff, v106, s17
	v_lshlrev_b32_e32 v83, 2, v97
	s_delay_alu instid0(VALU_DEP_2) | instskip(SKIP_3) | instid1(VALU_DEP_1)
	v_max3_f32 v81, v81, v84, v85
	ds_bpermute_b32 v82, v83, v81
	s_waitcnt lgkmcnt(0)
	v_max_f32_e32 v82, v82, v82
	v_max_f32_e32 v81, v81, v82
	s_delay_alu instid0(VALU_DEP_1) | instskip(SKIP_3) | instid1(VALU_DEP_4)
	v_fma_f32 v82, s18, v137, -v81
	v_fma_f32 v84, s18, v138, -v81
	;; [unrolled: 1-line block ×4, first 2 shown]
	v_mul_f32_e32 v82, 0x3fb8aa3b, v82
	s_delay_alu instid0(VALU_DEP_3) | instskip(NEXT) | instid1(VALU_DEP_3)
	v_dual_mul_f32 v84, 0x3fb8aa3b, v84 :: v_dual_mul_f32 v85, 0x3fb8aa3b, v85
	v_mul_f32_e32 v86, 0x3fb8aa3b, v86
	s_delay_alu instid0(VALU_DEP_3) | instskip(NEXT) | instid1(VALU_DEP_2)
	v_exp_f32_e32 v82, v82
	v_exp_f32_e32 v84, v84
	s_delay_alu instid0(VALU_DEP_2) | instskip(NEXT) | instid1(VALU_DEP_1)
	v_exp_f32_e32 v85, v85
	v_exp_f32_e32 v90, v86
	v_cndmask_b32_e32 v87, 0, v82, vcc_lo
	s_delay_alu instid0(TRANS32_DEP_3) | instskip(SKIP_4) | instid1(VALU_DEP_1)
	v_cndmask_b32_e64 v86, 0, v84, s2
	s_waitcnt_depctr 0xfff
	v_cndmask_b32_e64 v89, 0, v85, s3
	s_mov_b32 s2, exec_lo
	v_add_f32_e32 v84, 0, v87
	v_add_f32_e32 v84, v84, v86
	s_delay_alu instid0(VALU_DEP_1)
	v_add_f32_e32 v84, v84, v89
	v_fma_f32 v88, s18, v141, -v81
	v_fma_f32 v91, s18, v143, -v81
	v_fma_f32 v82, s18, v142, -v81
	v_fma_f32 v85, s18, v144, -v81
	v_fma_f32 v95, s18, v124, -v81
	v_mul_f32_e32 v88, 0x3fb8aa3b, v88
	v_fma_f32 v100, s18, v128, -v81
	v_mul_f32_e32 v82, 0x3fb8aa3b, v82
	v_fma_f32 v98, s18, v126, -v81
	v_mul_f32_e32 v97, 0x3fb8aa3b, v95
	v_exp_f32_e32 v92, v88
	v_cndmask_b32_e64 v88, 0, v90, s4
	v_fma_f32 v90, s18, v121, -v81
	v_mul_f32_e32 v91, 0x3fb8aa3b, v91
	v_exp_f32_e32 v82, v82
	v_exp_f32_e32 v99, v97
	v_add_f32_e32 v84, v84, v88
	v_mul_f32_e32 v94, 0x3fb8aa3b, v90
	v_exp_f32_e32 v93, v91
	v_mul_f32_e32 v98, 0x3fb8aa3b, v98
	v_cndmask_b32_e64 v91, 0, v92, s5
	v_fma_f32 v92, s18, v122, -v81
	v_mul_f32_e32 v85, 0x3fb8aa3b, v85
	v_exp_f32_e32 v94, v94
	v_cndmask_b32_e64 v90, 0, v82, s6
	v_add_f32_e32 v82, v84, v91
	v_mul_f32_e32 v92, 0x3fb8aa3b, v92
	v_exp_f32_e32 v85, v85
	v_fma_f32 v84, s18, v123, -v81
	v_cndmask_b32_e64 v93, 0, v93, s7
	v_add_f32_e32 v82, v82, v90
	v_exp_f32_e32 v96, v92
	v_exp_f32_e32 v98, v98
	v_cndmask_b32_e64 v95, 0, v94, s9
	s_delay_alu instid0(VALU_DEP_2) | instskip(NEXT) | instid1(TRANS32_DEP_3)
	v_add_f32_e32 v82, v82, v93
	v_cndmask_b32_e64 v92, 0, v85, s8
	v_fma_f32 v85, s18, v125, -v81
	v_mul_f32_e32 v84, 0x3fb8aa3b, v84
	s_delay_alu instid0(TRANS32_DEP_2) | instskip(SKIP_1) | instid1(VALU_DEP_4)
	v_cndmask_b32_e64 v94, 0, v96, s10
	v_fma_f32 v96, s18, v127, -v81
	v_mul_f32_e32 v85, 0x3fb8aa3b, v85
	s_delay_alu instid0(VALU_DEP_4) | instskip(SKIP_1) | instid1(VALU_DEP_2)
	v_exp_f32_e32 v84, v84
	v_cndmask_b32_e64 v98, 0, v98, s15
	v_exp_f32_e32 v85, v85
	s_waitcnt_depctr 0xfff
	v_cndmask_b32_e64 v97, 0, v84, s11
	v_mul_f32_e32 v84, 0x3fb8aa3b, v96
	v_cndmask_b32_e64 v96, 0, v99, s12
	v_cndmask_b32_e64 v99, 0, v85, s13
	v_mul_f32_e32 v85, 0x3fb8aa3b, v100
	v_add_f32_e32 v82, v82, v92
	v_exp_f32_e32 v84, v84
	s_delay_alu instid0(VALU_DEP_2) | instskip(NEXT) | instid1(VALU_DEP_1)
	v_exp_f32_e32 v85, v85
	v_add_f32_e32 v82, v82, v95
	s_delay_alu instid0(VALU_DEP_1) | instskip(SKIP_4) | instid1(VALU_DEP_1)
	v_add_f32_e32 v82, v82, v94
	s_waitcnt_depctr 0xfff
	v_cndmask_b32_e64 v101, 0, v84, s16
	v_cndmask_b32_e64 v100, 0, v85, s17
	v_add_f32_e32 v82, v82, v97
	v_add_f32_e32 v82, v82, v96
	s_delay_alu instid0(VALU_DEP_1) | instskip(NEXT) | instid1(VALU_DEP_1)
	v_add_f32_e32 v82, v82, v99
	v_add_f32_e32 v82, v82, v98
	s_delay_alu instid0(VALU_DEP_1) | instskip(NEXT) | instid1(VALU_DEP_1)
	v_add_f32_e32 v82, v82, v101
	v_add_f32_e32 v82, v82, v100
	ds_bpermute_b32 v83, v83, v82
	v_cmpx_gt_u32_e32 16, v80
	s_cbranch_execz .LBB385_14
; %bb.13:
	v_mul_u32_u24_e32 v80, 0x44, v77
	s_waitcnt lgkmcnt(0)
	v_add_f32_e32 v82, v82, v83
	s_delay_alu instid0(VALU_DEP_2) | instskip(NEXT) | instid1(VALU_DEP_1)
	v_lshl_add_u32 v80, v78, 2, v80
	v_add_nc_u32_e32 v80, 0x4000, v80
	ds_store_2addr_b32 v80, v81, v82 offset1:136
.LBB385_14:
	s_or_b32 exec_lo, exec_lo, s2
	v_lshlrev_b32_e32 v78, 2, v78
	s_load_b32 s34, s[0:1], 0x94
	s_waitcnt lgkmcnt(0)
	s_barrier
	buffer_gl0_inv
	v_add_nc_u32_e32 v78, 0x4000, v78
	v_cmp_eq_u32_e32 vcc_lo, 1, v77
	v_cmp_eq_u32_e64 s2, 2, v77
	v_cmp_eq_u32_e64 s3, 3, v77
	;; [unrolled: 1-line block ×3, first 2 shown]
	ds_load_2addr_b32 v[80:81], v78 offset1:17
	ds_load_2addr_b32 v[82:83], v78 offset0:34 offset1:51
	ds_load_2addr_b32 v[102:103], v78 offset0:68 offset1:85
	;; [unrolled: 1-line block ×3, first 2 shown]
	v_cmp_eq_u32_e64 s5, 7, v77
	s_waitcnt lgkmcnt(3)
	v_max3_f32 v84, v80, 0xff7fffff, v81
	s_waitcnt lgkmcnt(2)
	s_delay_alu instid0(VALU_DEP_1) | instskip(SKIP_1) | instid1(VALU_DEP_1)
	v_max3_f32 v84, v84, v82, v83
	s_waitcnt lgkmcnt(1)
	v_max3_f32 v84, v84, v102, v103
	s_waitcnt lgkmcnt(0)
	s_delay_alu instid0(VALU_DEP_1) | instskip(NEXT) | instid1(VALU_DEP_1)
	v_max3_f32 v84, v84, v104, v105
	v_sub_f32_e32 v109, v83, v84
	ds_load_2addr_b32 v[106:107], v78 offset0:136 offset1:153
	v_sub_f32_e32 v85, v81, v84
	v_dual_sub_f32 v80, v80, v84 :: v_dual_mul_f32 v109, 0x3fb8aa3b, v109
	s_delay_alu instid0(VALU_DEP_1)
	v_dual_mul_f32 v85, 0x3fb8aa3b, v85 :: v_dual_mul_f32 v108, 0x3fb8aa3b, v80
	ds_load_2addr_b32 v[80:81], v78 offset0:170 offset1:187
	v_exp_f32_e32 v109, v109
	v_exp_f32_e32 v111, v85
	;; [unrolled: 1-line block ×3, first 2 shown]
	s_waitcnt lgkmcnt(1)
	s_waitcnt_depctr 0xfff
	v_fma_f32 v85, v108, v106, 0
	v_sub_f32_e32 v82, v82, v84
	v_sub_f32_e32 v106, v103, v84
	s_delay_alu instid0(VALU_DEP_2) | instskip(SKIP_3) | instid1(VALU_DEP_1)
	v_dual_fmac_f32 v85, v111, v107 :: v_dual_mul_f32 v110, 0x3fb8aa3b, v82
	ds_load_2addr_b32 v[82:83], v78 offset0:204 offset1:221
	v_sub_f32_e32 v102, v102, v84
	v_exp_f32_e32 v110, v110
	v_mul_f32_e32 v112, 0x3fb8aa3b, v102
	ds_load_2addr_b32 v[102:103], v78 offset0:238 offset1:255
	s_waitcnt lgkmcnt(0)
	s_barrier
	buffer_gl0_inv
	v_fmac_f32_e32 v85, v110, v80
	v_sub_f32_e32 v80, v105, v84
	s_delay_alu instid0(VALU_DEP_1) | instskip(SKIP_1) | instid1(VALU_DEP_2)
	v_dual_fmac_f32 v85, v109, v81 :: v_dual_mul_f32 v80, 0x3fb8aa3b, v80
	v_sub_f32_e32 v78, v104, v84
	v_exp_f32_e32 v107, v80
	v_mul_f32_e32 v104, 0x3fb8aa3b, v106
	v_exp_f32_e32 v106, v112
	v_cndmask_b32_e32 v80, v108, v111, vcc_lo
	s_delay_alu instid0(VALU_DEP_2) | instskip(SKIP_2) | instid1(VALU_DEP_1)
	v_exp_f32_e32 v104, v104
	s_waitcnt_depctr 0xfff
	v_fmac_f32_e32 v85, v106, v82
	v_dual_mul_f32 v78, 0x3fb8aa3b, v78 :: v_dual_fmac_f32 v85, v104, v83
	s_delay_alu instid0(VALU_DEP_1) | instskip(SKIP_2) | instid1(VALU_DEP_1)
	v_exp_f32_e32 v105, v78
	s_waitcnt_depctr 0xfff
	v_fmac_f32_e32 v85, v105, v102
	v_fmac_f32_e32 v85, v107, v103
	s_delay_alu instid0(VALU_DEP_1) | instskip(NEXT) | instid1(VALU_DEP_1)
	v_add_f32_e32 v102, 0x358637bd, v85
	v_div_scale_f32 v103, null, v102, v102, 1.0
	v_div_scale_f32 v108, vcc_lo, 1.0, v102, 1.0
	s_delay_alu instid0(VALU_DEP_2) | instskip(SKIP_2) | instid1(VALU_DEP_1)
	v_rcp_f32_e32 v112, v103
	s_waitcnt_depctr 0xfff
	v_fma_f32 v78, -v103, v112, 1.0
	v_fmac_f32_e32 v112, v78, v112
	v_cndmask_b32_e64 v78, v80, v110, s2
	v_cmp_eq_u32_e64 s2, 4, v77
	v_lshl_or_b32 v80, v77, 11, v79
	s_delay_alu instid0(VALU_DEP_4) | instskip(NEXT) | instid1(VALU_DEP_4)
	v_mul_f32_e32 v110, v108, v112
	v_cndmask_b32_e64 v81, v78, v109, s3
	v_cmp_eq_u32_e64 s3, 6, v77
	s_delay_alu instid0(VALU_DEP_4) | instskip(SKIP_3) | instid1(VALU_DEP_3)
	v_lshl_or_b32 v77, v75, 4, v80
	v_lshlrev_b32_e32 v78, 2, v75
	v_fma_f32 v82, -v103, v110, v108
	v_cndmask_b32_e64 v83, v81, v106, s2
	v_or_b32_e32 v81, 1, v78
	s_delay_alu instid0(VALU_DEP_3) | instskip(NEXT) | instid1(VALU_DEP_3)
	v_fmac_f32_e32 v110, v82, v112
	v_cndmask_b32_e64 v104, v83, v104, s4
	v_or_b32_e32 v83, 2, v78
	v_or_b32_e32 v82, 3, v78
	v_cmp_eq_u32_e64 s2, 1, v78
	v_fma_f32 v103, -v103, v110, v108
	v_cndmask_b32_e64 v104, v104, v105, s3
	v_cmp_eq_u32_e64 s8, 1, v81
	v_cmp_eq_u32_e64 s9, 1, v83
	;; [unrolled: 1-line block ×3, first 2 shown]
	v_div_fmas_f32 v103, v103, v112, v110
	v_cndmask_b32_e64 v104, v104, v107, s5
	v_cmp_eq_u32_e32 vcc_lo, 2, v78
	v_cmp_eq_u32_e64 s11, 2, v81
	v_cmp_eq_u32_e64 s13, 2, v83
	v_div_fixup_f32 v102, v103, v102, 1.0
	v_cmp_eq_u32_e64 s15, 2, v82
	v_cmp_eq_u32_e64 s17, 3, v82
	v_cmp_eq_u32_e64 s3, 3, v78
	v_cmp_eq_u32_e64 s12, 3, v81
	v_mul_f32_e32 v110, v104, v102
	v_cmp_eq_u32_e64 s16, 3, v83
	v_cmp_eq_u32_e64 s21, 4, v82
	;; [unrolled: 1-line block ×4, first 2 shown]
	v_fma_mixlo_f16 v102, v110, v87, 0
	v_fma_mixlo_f16 v103, v110, v89, 0
	;; [unrolled: 1-line block ×8, first 2 shown]
	v_fma_mixhi_f16 v102, v110, v86, 0
	v_fma_mixhi_f16 v103, v110, v88, 0
	;; [unrolled: 1-line block ×8, first 2 shown]
	ds_store_b128 v77, v[102:105]
	ds_store_b128 v77, v[106:109] offset:1024
	s_waitcnt lgkmcnt(0)
	s_barrier
	buffer_gl0_inv
	ds_load_b128 v[86:89], v80
	ds_load_b128 v[90:93], v80 offset:16
	ds_load_b128 v[94:97], v80 offset:1024
	;; [unrolled: 1-line block ×3, first 2 shown]
	v_cmp_eq_u32_e64 s20, 4, v83
	v_cmp_eq_u32_e64 s23, 5, v82
	;; [unrolled: 1-line block ×13, first 2 shown]
	s_waitcnt lgkmcnt(3)
	v_lshrrev_b32_e32 v102, 16, v86
	s_waitcnt lgkmcnt(2)
	v_lshrrev_b32_e32 v106, 16, v90
	;; [unrolled: 2-line block ×4, first 2 shown]
	v_lshrrev_b32_e32 v103, 16, v87
	v_cndmask_b32_e64 v118, v86, v102, s2
	v_cndmask_b32_e64 v119, v90, v106, s2
	;; [unrolled: 1-line block ×8, first 2 shown]
	v_lshrrev_b32_e32 v107, 16, v91
	v_cndmask_b32_e64 v102, v94, v110, s2
	v_cndmask_b32_e64 v106, v98, v114, s2
	;; [unrolled: 1-line block ×5, first 2 shown]
	v_cndmask_b32_e32 v110, v118, v87, vcc_lo
	v_cndmask_b32_e64 v118, v120, v87, s11
	v_cndmask_b32_e64 v120, v122, v87, s13
	;; [unrolled: 1-line block ×4, first 2 shown]
	v_lshrrev_b32_e32 v111, 16, v95
	v_lshrrev_b32_e32 v115, 16, v99
	v_cndmask_b32_e64 v125, v98, v114, s8
	v_cndmask_b32_e64 v127, v98, v114, s9
	v_cndmask_b32_e64 v98, v98, v114, s10
	v_cndmask_b32_e32 v114, v119, v91, vcc_lo
	v_cndmask_b32_e64 v119, v121, v91, s11
	v_cndmask_b32_e64 v121, v123, v91, s13
	v_cndmask_b32_e32 v90, v102, v95, vcc_lo
	v_cndmask_b32_e32 v91, v106, v99, vcc_lo
	v_cndmask_b32_e64 v102, v124, v95, s11
	v_cndmask_b32_e64 v86, v86, v103, s17
	;; [unrolled: 1-line block ×3, first 2 shown]
	v_lshrrev_b32_e32 v104, 16, v88
	v_lshrrev_b32_e32 v108, 16, v92
	v_cndmask_b32_e64 v106, v126, v95, s13
	v_cndmask_b32_e64 v94, v94, v95, s15
	;; [unrolled: 1-line block ×14, first 2 shown]
	v_lshrrev_b32_e32 v112, 16, v96
	v_cndmask_b32_e64 v98, v98, v88, s4
	v_cndmask_b32_e64 v103, v110, v92, s4
	;; [unrolled: 1-line block ×11, first 2 shown]
	v_lshrrev_b32_e32 v105, 16, v89
	v_lshrrev_b32_e32 v109, 16, v93
	v_cndmask_b32_e64 v92, v98, v104, s5
	v_cndmask_b32_e64 v98, v103, v108, s5
	;; [unrolled: 1-line block ×9, first 2 shown]
	v_lshrrev_b32_e32 v113, 16, v97
	v_cndmask_b32_e64 v88, v88, v112, s5
	v_cndmask_b32_e64 v92, v92, v89, s6
	;; [unrolled: 1-line block ×19, first 2 shown]
	v_perm_b32 v89, v87, v86, 0x5040100
	v_cndmask_b32_e64 v86, v125, v99, s11
	v_cndmask_b32_e64 v104, v88, v113, s7
	v_perm_b32 v88, v102, v98, 0x5040100
	v_perm_b32 v87, v103, v93, 0x5040100
	v_cndmask_b32_e64 v93, v106, v111, s16
	v_cndmask_b32_e64 v94, v94, v111, s17
	;; [unrolled: 1-line block ×5, first 2 shown]
	v_lshrrev_b32_e32 v116, 16, v100
	v_cndmask_b32_e64 v93, v93, v96, s20
	v_cndmask_b32_e64 v94, v94, v96, s21
	;; [unrolled: 1-line block ×11, first 2 shown]
	v_lshrrev_b32_e32 v117, 16, v101
	v_cndmask_b32_e64 v90, v90, v101, s6
	v_cndmask_b32_e64 v93, v93, v97, s25
	;; [unrolled: 1-line block ×12, first 2 shown]
	v_perm_b32 v86, v92, v91, 0x5040100
	v_perm_b32 v93, v94, v93, 0x5040100
	;; [unrolled: 1-line block ×5, first 2 shown]
	s_lshl_b32 s6, s33, 2
	s_mov_b32 s2, exec_lo
	ds_store_b128 v77, v[86:89]
	ds_store_b128 v77, v[90:93] offset:1024
	v_cmpx_gt_u32_e32 4, v0
	s_cbranch_execz .LBB385_16
; %bb.15:
	v_or_b32_e32 v86, s31, v0
	s_load_b128 s[8:11], s[0:1], 0x58
	s_delay_alu instid0(VALU_DEP_1) | instskip(NEXT) | instid1(VALU_DEP_1)
	v_mad_u64_u32 v[87:88], null, s6, s30, v[86:87]
	v_mad_u64_u32 v[88:89], null, v87, s34, s[14:15]
	s_delay_alu instid0(VALU_DEP_1) | instskip(NEXT) | instid1(VALU_DEP_1)
	v_ashrrev_i32_e32 v89, 31, v88
	v_lshlrev_b64 v[86:87], 2, v[88:89]
	s_waitcnt lgkmcnt(0)
	s_delay_alu instid0(VALU_DEP_1) | instskip(NEXT) | instid1(VALU_DEP_2)
	v_add_co_u32 v88, vcc_lo, s10, v86
	v_add_co_ci_u32_e32 v89, vcc_lo, s11, v87, vcc_lo
	v_add_co_u32 v86, vcc_lo, s8, v86
	v_add_co_ci_u32_e32 v87, vcc_lo, s9, v87, vcc_lo
	global_store_b32 v[88:89], v84, off
	global_store_b32 v[86:87], v85, off
.LBB385_16:
	s_or_b32 exec_lo, exec_lo, s2
	s_waitcnt lgkmcnt(0)
	s_waitcnt_vscnt null, 0x0
	s_barrier
	buffer_gl0_inv
	ds_load_b128 v[92:95], v79
	ds_load_b128 v[96:99], v79 offset:16
	ds_load_b128 v[104:107], v79 offset:1040
	;; [unrolled: 1-line block ×5, first 2 shown]
	v_cmp_eq_u32_e32 vcc_lo, 1, v83
	v_mov_b32_e32 v84, 0
	ds_load_b128 v[120:123], v79 offset:3088
	ds_load_b128 v[116:119], v79 offset:3072
	;; [unrolled: 1-line block ×4, first 2 shown]
	v_cmp_eq_u32_e64 s2, 1, v78
	v_cmp_eq_u32_e64 s3, 1, v82
	;; [unrolled: 1-line block ×3, first 2 shown]
	v_mov_b32_e32 v85, v84
	v_mov_b32_e32 v86, v84
	;; [unrolled: 1-line block ×7, first 2 shown]
	v_cmp_eq_u32_e64 s5, 2, v78
	s_waitcnt lgkmcnt(8)
	s_delay_alu instid0(VALU_DEP_2)
	v_wmma_f32_16x16x16_f16 v[84:91], v[65:72], v[92:99], v[84:91]
	ds_load_b128 v[69:72], v79 offset:5136
	ds_load_b128 v[65:68], v79 offset:5120
	;; [unrolled: 1-line block ×4, first 2 shown]
	s_waitcnt lgkmcnt(10)
	v_wmma_f32_16x16x16_f16 v[84:91], v[57:64], v[100:107], v[84:91]
	s_waitcnt lgkmcnt(8)
	s_delay_alu instid0(VALU_DEP_1)
	v_wmma_f32_16x16x16_f16 v[84:91], v[57:64], v[108:115], v[84:91]
	ds_load_b128 v[61:64], v79 offset:7184
	ds_load_b128 v[57:60], v79 offset:7168
	;; [unrolled: 1-line block ×4, first 2 shown]
	s_waitcnt lgkmcnt(10)
	v_wmma_f32_16x16x16_f16 v[84:91], v[49:56], v[116:123], v[84:91]
	s_waitcnt lgkmcnt(8)
	s_delay_alu instid0(VALU_DEP_1)
	v_wmma_f32_16x16x16_f16 v[84:91], v[49:56], v[124:131], v[84:91]
	ds_load_b128 v[53:56], v79 offset:9232
	ds_load_b128 v[49:52], v79 offset:9216
	s_waitcnt lgkmcnt(8)
	v_wmma_f32_16x16x16_f16 v[84:91], v[41:48], v[65:72], v[84:91]
	ds_load_b128 v[69:72], v79 offset:10256
	ds_load_b128 v[65:68], v79 offset:10240
	s_waitcnt lgkmcnt(8)
	;; [unrolled: 4-line block ×7, first 2 shown]
	s_barrier
	buffer_gl0_inv
	v_wmma_f32_16x16x16_f16 v[84:91], v[33:40], v[41:48], v[84:91]
	s_delay_alu instid0(VALU_DEP_1) | instskip(NEXT) | instid1(VALU_DEP_1)
	v_wmma_f32_16x16x16_f16 v[84:91], v[33:40], v[57:64], v[84:91]
	v_wmma_f32_16x16x16_f16 v[84:91], v[25:32], v[9:16], v[84:91]
	s_delay_alu instid0(VALU_DEP_1) | instskip(NEXT) | instid1(VALU_DEP_1)
	v_wmma_f32_16x16x16_f16 v[84:91], v[25:32], v[49:56], v[84:91]
	v_wmma_f32_16x16x16_f16 v[84:91], v[17:24], v[1:8], v[84:91]
	s_delay_alu instid0(VALU_DEP_1) | instskip(NEXT) | instid1(VALU_DEP_2)
	v_cvt_f16_f32_e32 v1, v84
	v_cvt_f16_f32_e32 v2, v85
	s_delay_alu instid0(VALU_DEP_3) | instskip(NEXT) | instid1(VALU_DEP_4)
	v_cvt_f16_f32_e32 v3, v86
	v_cvt_f16_f32_e32 v4, v87
	;; [unrolled: 1-line block ×6, first 2 shown]
	v_pack_b32_f16 v1, v1, v2
	v_pack_b32_f16 v2, v3, v4
	;; [unrolled: 1-line block ×3, first 2 shown]
	s_delay_alu instid0(VALU_DEP_4)
	v_pack_b32_f16 v4, v7, v8
	ds_store_b128 v77, v[1:4]
	s_waitcnt lgkmcnt(0)
	s_barrier
	buffer_gl0_inv
	ds_load_b128 v[1:4], v80
	ds_load_b128 v[5:8], v80 offset:16
	s_waitcnt lgkmcnt(1)
	v_lshrrev_b32_e32 v9, 16, v1
	s_waitcnt lgkmcnt(0)
	v_lshrrev_b32_e32 v13, 16, v5
	v_lshrrev_b32_e32 v10, 16, v2
	;; [unrolled: 1-line block ×4, first 2 shown]
	v_cndmask_b32_e64 v17, v1, v9, s2
	v_cndmask_b32_e64 v18, v5, v13, s2
	;; [unrolled: 1-line block ×3, first 2 shown]
	v_cmp_eq_u32_e64 s2, 2, v81
	v_cndmask_b32_e64 v20, v5, v13, s4
	v_cndmask_b32_e32 v21, v1, v9, vcc_lo
	v_cndmask_b32_e32 v22, v5, v13, vcc_lo
	v_cndmask_b32_e64 v1, v1, v9, s3
	v_cndmask_b32_e64 v5, v5, v13, s3
	v_cmp_eq_u32_e32 vcc_lo, 2, v83
	v_cmp_eq_u32_e64 s3, 2, v82
	v_cndmask_b32_e64 v9, v17, v2, s5
	v_cndmask_b32_e64 v13, v18, v6, s5
	;; [unrolled: 1-line block ×4, first 2 shown]
	v_cndmask_b32_e32 v19, v21, v2, vcc_lo
	v_cmp_eq_u32_e64 s2, 3, v83
	v_cndmask_b32_e32 v20, v22, v6, vcc_lo
	v_cndmask_b32_e64 v1, v1, v2, s3
	v_cmp_eq_u32_e32 vcc_lo, 3, v82
	v_cmp_eq_u32_e64 s4, 3, v78
	v_cndmask_b32_e64 v2, v5, v6, s3
	v_cmp_eq_u32_e64 s3, 3, v81
	v_cmp_eq_u32_e64 s5, 4, v78
	v_cndmask_b32_e32 v1, v1, v10, vcc_lo
	v_cndmask_b32_e64 v5, v9, v10, s4
	v_cndmask_b32_e64 v6, v13, v14, s4
	;; [unrolled: 1-line block ×3, first 2 shown]
	v_cmp_eq_u32_e64 s4, 4, v81
	v_cndmask_b32_e64 v13, v18, v14, s3
	v_cndmask_b32_e64 v17, v19, v10, s2
	;; [unrolled: 1-line block ×3, first 2 shown]
	v_cndmask_b32_e32 v2, v2, v14, vcc_lo
	v_cmp_eq_u32_e32 vcc_lo, 4, v83
	v_cmp_eq_u32_e64 s3, 4, v82
	v_lshrrev_b32_e32 v15, 16, v7
	v_cndmask_b32_e64 v5, v5, v3, s5
	v_cndmask_b32_e64 v6, v6, v7, s5
	v_cndmask_b32_e32 v14, v18, v7, vcc_lo
	v_cndmask_b32_e64 v9, v9, v3, s4
	v_cndmask_b32_e64 v10, v13, v7, s4
	v_cndmask_b32_e32 v13, v17, v3, vcc_lo
	v_cmp_eq_u32_e64 s2, 5, v83
	v_cndmask_b32_e64 v1, v1, v3, s3
	v_cmp_eq_u32_e32 vcc_lo, 5, v82
	v_cmp_eq_u32_e64 s4, 5, v78
	v_cndmask_b32_e64 v2, v2, v7, s3
	v_cmp_eq_u32_e64 s3, 5, v81
	v_cmp_eq_u32_e64 s5, 6, v78
	v_lshrrev_b32_e32 v12, 16, v4
	v_cndmask_b32_e64 v3, v5, v11, s4
	v_cndmask_b32_e64 v5, v6, v15, s4
	;; [unrolled: 1-line block ×3, first 2 shown]
	v_cmp_eq_u32_e64 s4, 6, v81
	v_cndmask_b32_e64 v7, v10, v15, s3
	v_cndmask_b32_e64 v9, v13, v11, s2
	;; [unrolled: 1-line block ×3, first 2 shown]
	v_cndmask_b32_e32 v1, v1, v11, vcc_lo
	v_cndmask_b32_e32 v2, v2, v15, vcc_lo
	v_cmp_eq_u32_e32 vcc_lo, 6, v83
	v_cmp_eq_u32_e64 s2, 6, v82
	v_lshrrev_b32_e32 v16, 16, v8
	v_cndmask_b32_e64 v3, v3, v4, s5
	v_cndmask_b32_e64 v5, v5, v8, s5
	v_cndmask_b32_e32 v9, v9, v4, vcc_lo
	v_cndmask_b32_e64 v6, v6, v4, s4
	v_cndmask_b32_e64 v7, v7, v8, s4
	v_cmp_eq_u32_e64 s3, 7, v83
	v_cndmask_b32_e32 v10, v10, v8, vcc_lo
	v_cndmask_b32_e64 v1, v1, v4, s2
	v_cmp_eq_u32_e32 vcc_lo, 7, v82
	v_cndmask_b32_e64 v2, v2, v8, s2
	v_cmp_eq_u32_e64 s2, 7, v78
	v_cmp_eq_u32_e64 s4, 7, v81
	v_cndmask_b32_e32 v1, v1, v12, vcc_lo
	s_delay_alu instid0(VALU_DEP_4) | instskip(NEXT) | instid1(VALU_DEP_4)
	v_cndmask_b32_e32 v2, v2, v16, vcc_lo
	v_cndmask_b32_e64 v8, v3, v12, s2
	s_delay_alu instid0(VALU_DEP_4)
	v_cndmask_b32_e64 v6, v6, v12, s4
	v_cndmask_b32_e64 v3, v9, v12, s3
	;; [unrolled: 1-line block ×5, first 2 shown]
	v_perm_b32 v4, v2, v1, 0x5040100
	s_mov_b32 s2, exec_lo
	v_perm_b32 v3, v9, v3, 0x5040100
	v_perm_b32 v2, v7, v6, 0x5040100
	;; [unrolled: 1-line block ×3, first 2 shown]
	ds_store_b128 v77, v[1:4]
	s_waitcnt lgkmcnt(0)
	s_barrier
	buffer_gl0_inv
	v_cmpx_gt_u32_e32 32, v0
	s_cbranch_execz .LBB385_2
; %bb.17:
	s_load_b64 s[0:1], s[0:1], 0x68
	v_lshlrev_b32_e32 v0, 10, v0
	v_or_b32_e32 v1, s31, v75
	s_lshl_b32 s4, s34, 7
	v_lshlrev_b32_e32 v2, 4, v76
	s_mul_i32 s2, s4, s30
	v_lshlrev_b32_e32 v3, 6, v75
	v_mul_lo_u32 v8, v1, s4
	v_and_b32_e32 v0, 0x3800, v0
	v_or_b32_e32 v1, 2, v1
	s_mul_i32 s2, s2, s6
	s_delay_alu instid0(SALU_CYCLE_1) | instskip(NEXT) | instid1(VALU_DEP_2)
	s_ashr_i32 s3, s2, 31
	v_or3_b32 v4, v0, v2, v3
	s_lshl_b64 s[2:3], s[2:3], 1
	v_mul_lo_u32 v10, v1, s4
	v_ashrrev_i32_e32 v9, 31, v8
	ds_load_b128 v[0:3], v4
	ds_load_b128 v[4:7], v4 offset:128
	s_waitcnt lgkmcnt(0)
	s_add_u32 s2, s0, s2
	s_addc_u32 s3, s1, s3
	s_lshl_b32 s0, s14, 7
	v_ashrrev_i32_e32 v11, 31, v10
	s_ashr_i32 s1, s0, 31
	v_lshlrev_b64 v[8:9], 1, v[8:9]
	s_lshl_b64 s[0:1], s[0:1], 1
	s_delay_alu instid0(SALU_CYCLE_1) | instskip(SKIP_4) | instid1(VALU_DEP_3)
	s_add_u32 s0, s2, s0
	s_addc_u32 s1, s3, s1
	v_add_co_u32 v12, vcc_lo, s0, v73
	v_add_co_ci_u32_e32 v13, vcc_lo, s1, v74, vcc_lo
	v_lshlrev_b64 v[10:11], 1, v[10:11]
	v_add_co_u32 v8, vcc_lo, v12, v8
	s_delay_alu instid0(VALU_DEP_3) | instskip(NEXT) | instid1(VALU_DEP_3)
	v_add_co_ci_u32_e32 v9, vcc_lo, v13, v9, vcc_lo
	v_add_co_u32 v10, vcc_lo, v12, v10
	s_delay_alu instid0(VALU_DEP_4)
	v_add_co_ci_u32_e32 v11, vcc_lo, v13, v11, vcc_lo
	s_clause 0x1
	global_store_b128 v[8:9], v[0:3], off
	global_store_b128 v[10:11], v[4:7], off
	s_nop 0
	s_sendmsg sendmsg(MSG_DEALLOC_VGPRS)
	s_endpgm
	.section	.rodata,"a",@progbits
	.p2align	6, 0x0
	.amdhsa_kernel _Z39paged_attention_ll4mi_QKV_mfma16_kernelIDF16_DF16_LN4vllm18Fp8KVCacheDataTypeE0EDF16_Li32ELi128ELi256ELb0ELi4EL8MFMAType0EEvPKT_PKT0_S8_ifPKiSA_SA_iPKfiiiPfSD_PS3_PT2_iSC_SC_
		.amdhsa_group_segment_fixed_size 17472
		.amdhsa_private_segment_fixed_size 0
		.amdhsa_kernarg_size 400
		.amdhsa_user_sgpr_count 13
		.amdhsa_user_sgpr_dispatch_ptr 0
		.amdhsa_user_sgpr_queue_ptr 0
		.amdhsa_user_sgpr_kernarg_segment_ptr 1
		.amdhsa_user_sgpr_dispatch_id 0
		.amdhsa_user_sgpr_private_segment_size 0
		.amdhsa_wavefront_size32 1
		.amdhsa_uses_dynamic_stack 0
		.amdhsa_enable_private_segment 0
		.amdhsa_system_sgpr_workgroup_id_x 1
		.amdhsa_system_sgpr_workgroup_id_y 1
		.amdhsa_system_sgpr_workgroup_id_z 1
		.amdhsa_system_sgpr_workgroup_info 0
		.amdhsa_system_vgpr_workitem_id 0
		.amdhsa_next_free_vgpr 172
		.amdhsa_next_free_sgpr 38
		.amdhsa_reserve_vcc 1
		.amdhsa_float_round_mode_32 0
		.amdhsa_float_round_mode_16_64 0
		.amdhsa_float_denorm_mode_32 3
		.amdhsa_float_denorm_mode_16_64 3
		.amdhsa_dx10_clamp 1
		.amdhsa_ieee_mode 1
		.amdhsa_fp16_overflow 0
		.amdhsa_workgroup_processor_mode 1
		.amdhsa_memory_ordered 1
		.amdhsa_forward_progress 0
		.amdhsa_shared_vgpr_count 0
		.amdhsa_exception_fp_ieee_invalid_op 0
		.amdhsa_exception_fp_denorm_src 0
		.amdhsa_exception_fp_ieee_div_zero 0
		.amdhsa_exception_fp_ieee_overflow 0
		.amdhsa_exception_fp_ieee_underflow 0
		.amdhsa_exception_fp_ieee_inexact 0
		.amdhsa_exception_int_div_zero 0
	.end_amdhsa_kernel
	.section	.text._Z39paged_attention_ll4mi_QKV_mfma16_kernelIDF16_DF16_LN4vllm18Fp8KVCacheDataTypeE0EDF16_Li32ELi128ELi256ELb0ELi4EL8MFMAType0EEvPKT_PKT0_S8_ifPKiSA_SA_iPKfiiiPfSD_PS3_PT2_iSC_SC_,"axG",@progbits,_Z39paged_attention_ll4mi_QKV_mfma16_kernelIDF16_DF16_LN4vllm18Fp8KVCacheDataTypeE0EDF16_Li32ELi128ELi256ELb0ELi4EL8MFMAType0EEvPKT_PKT0_S8_ifPKiSA_SA_iPKfiiiPfSD_PS3_PT2_iSC_SC_,comdat
.Lfunc_end385:
	.size	_Z39paged_attention_ll4mi_QKV_mfma16_kernelIDF16_DF16_LN4vllm18Fp8KVCacheDataTypeE0EDF16_Li32ELi128ELi256ELb0ELi4EL8MFMAType0EEvPKT_PKT0_S8_ifPKiSA_SA_iPKfiiiPfSD_PS3_PT2_iSC_SC_, .Lfunc_end385-_Z39paged_attention_ll4mi_QKV_mfma16_kernelIDF16_DF16_LN4vllm18Fp8KVCacheDataTypeE0EDF16_Li32ELi128ELi256ELb0ELi4EL8MFMAType0EEvPKT_PKT0_S8_ifPKiSA_SA_iPKfiiiPfSD_PS3_PT2_iSC_SC_
                                        ; -- End function
	.section	.AMDGPU.csdata,"",@progbits
; Kernel info:
; codeLenInByte = 7380
; NumSgprs: 40
; NumVgprs: 172
; ScratchSize: 0
; MemoryBound: 0
; FloatMode: 240
; IeeeMode: 1
; LDSByteSize: 17472 bytes/workgroup (compile time only)
; SGPRBlocks: 4
; VGPRBlocks: 21
; NumSGPRsForWavesPerEU: 40
; NumVGPRsForWavesPerEU: 172
; Occupancy: 8
; WaveLimiterHint : 1
; COMPUTE_PGM_RSRC2:SCRATCH_EN: 0
; COMPUTE_PGM_RSRC2:USER_SGPR: 13
; COMPUTE_PGM_RSRC2:TRAP_HANDLER: 0
; COMPUTE_PGM_RSRC2:TGID_X_EN: 1
; COMPUTE_PGM_RSRC2:TGID_Y_EN: 1
; COMPUTE_PGM_RSRC2:TGID_Z_EN: 1
; COMPUTE_PGM_RSRC2:TIDIG_COMP_CNT: 0
	.section	.text._Z38paged_attention_ll4mi_QKV_mfma4_kernelI14__hip_bfloat16S0_LN4vllm18Fp8KVCacheDataTypeE0EhLi16ELi64ELi256ELb1ELi1EEvPKT_PKT0_S8_ifPKiSA_SA_iPKfiiiPfSD_PS3_PT2_iSC_SC_,"axG",@progbits,_Z38paged_attention_ll4mi_QKV_mfma4_kernelI14__hip_bfloat16S0_LN4vllm18Fp8KVCacheDataTypeE0EhLi16ELi64ELi256ELb1ELi1EEvPKT_PKT0_S8_ifPKiSA_SA_iPKfiiiPfSD_PS3_PT2_iSC_SC_,comdat
	.protected	_Z38paged_attention_ll4mi_QKV_mfma4_kernelI14__hip_bfloat16S0_LN4vllm18Fp8KVCacheDataTypeE0EhLi16ELi64ELi256ELb1ELi1EEvPKT_PKT0_S8_ifPKiSA_SA_iPKfiiiPfSD_PS3_PT2_iSC_SC_ ; -- Begin function _Z38paged_attention_ll4mi_QKV_mfma4_kernelI14__hip_bfloat16S0_LN4vllm18Fp8KVCacheDataTypeE0EhLi16ELi64ELi256ELb1ELi1EEvPKT_PKT0_S8_ifPKiSA_SA_iPKfiiiPfSD_PS3_PT2_iSC_SC_
	.globl	_Z38paged_attention_ll4mi_QKV_mfma4_kernelI14__hip_bfloat16S0_LN4vllm18Fp8KVCacheDataTypeE0EhLi16ELi64ELi256ELb1ELi1EEvPKT_PKT0_S8_ifPKiSA_SA_iPKfiiiPfSD_PS3_PT2_iSC_SC_
	.p2align	8
	.type	_Z38paged_attention_ll4mi_QKV_mfma4_kernelI14__hip_bfloat16S0_LN4vllm18Fp8KVCacheDataTypeE0EhLi16ELi64ELi256ELb1ELi1EEvPKT_PKT0_S8_ifPKiSA_SA_iPKfiiiPfSD_PS3_PT2_iSC_SC_,@function
_Z38paged_attention_ll4mi_QKV_mfma4_kernelI14__hip_bfloat16S0_LN4vllm18Fp8KVCacheDataTypeE0EhLi16ELi64ELi256ELb1ELi1EEvPKT_PKT0_S8_ifPKiSA_SA_iPKfiiiPfSD_PS3_PT2_iSC_SC_: ; @_Z38paged_attention_ll4mi_QKV_mfma4_kernelI14__hip_bfloat16S0_LN4vllm18Fp8KVCacheDataTypeE0EhLi16ELi64ELi256ELb1ELi1EEvPKT_PKT0_S8_ifPKiSA_SA_iPKfiiiPfSD_PS3_PT2_iSC_SC_
; %bb.0:
	s_add_u32 s8, s0, 0x90
	s_addc_u32 s9, s1, 0
	s_getpc_b64 s[0:1]
	s_add_u32 s0, s0, __PRETTY_FUNCTION__._Z38paged_attention_ll4mi_QKV_mfma4_kernelI14__hip_bfloat16S0_LN4vllm18Fp8KVCacheDataTypeE0EhLi16ELi64ELi256ELb1ELi1EEvPKT_PKT0_S8_ifPKiSA_SA_iPKfiiiPfSD_PS3_PT2_iSC_SC_@rel32@lo+4
	s_addc_u32 s1, s1, __PRETTY_FUNCTION__._Z38paged_attention_ll4mi_QKV_mfma4_kernelI14__hip_bfloat16S0_LN4vllm18Fp8KVCacheDataTypeE0EhLi16ELi64ELi256ELb1ELi1EEvPKT_PKT0_S8_ifPKiSA_SA_iPKfiiiPfSD_PS3_PT2_iSC_SC_@rel32@hi+12
	s_delay_alu instid0(SALU_CYCLE_1) | instskip(SKIP_4) | instid1(SALU_CYCLE_1)
	v_dual_mov_b32 v0, s0 :: v_dual_mov_b32 v1, s1
	s_mov_b32 s32, 0
	s_getpc_b64 s[2:3]
	s_add_u32 s2, s2, __assert_fail@rel32@lo+4
	s_addc_u32 s3, s3, __assert_fail@rel32@hi+12
	s_swappc_b64 s[30:31], s[2:3]
	.section	.rodata,"a",@progbits
	.p2align	6, 0x0
	.amdhsa_kernel _Z38paged_attention_ll4mi_QKV_mfma4_kernelI14__hip_bfloat16S0_LN4vllm18Fp8KVCacheDataTypeE0EhLi16ELi64ELi256ELb1ELi1EEvPKT_PKT0_S8_ifPKiSA_SA_iPKfiiiPfSD_PS3_PT2_iSC_SC_
		.amdhsa_group_segment_fixed_size 0
		.amdhsa_private_segment_fixed_size 64
		.amdhsa_kernarg_size 400
		.amdhsa_user_sgpr_count 15
		.amdhsa_user_sgpr_dispatch_ptr 0
		.amdhsa_user_sgpr_queue_ptr 0
		.amdhsa_user_sgpr_kernarg_segment_ptr 1
		.amdhsa_user_sgpr_dispatch_id 0
		.amdhsa_user_sgpr_private_segment_size 0
		.amdhsa_wavefront_size32 1
		.amdhsa_uses_dynamic_stack 0
		.amdhsa_enable_private_segment 1
		.amdhsa_system_sgpr_workgroup_id_x 1
		.amdhsa_system_sgpr_workgroup_id_y 0
		.amdhsa_system_sgpr_workgroup_id_z 0
		.amdhsa_system_sgpr_workgroup_info 0
		.amdhsa_system_vgpr_workitem_id 0
		.amdhsa_next_free_vgpr 41
		.amdhsa_next_free_sgpr 34
		.amdhsa_reserve_vcc 1
		.amdhsa_float_round_mode_32 0
		.amdhsa_float_round_mode_16_64 0
		.amdhsa_float_denorm_mode_32 3
		.amdhsa_float_denorm_mode_16_64 3
		.amdhsa_dx10_clamp 1
		.amdhsa_ieee_mode 1
		.amdhsa_fp16_overflow 0
		.amdhsa_workgroup_processor_mode 1
		.amdhsa_memory_ordered 1
		.amdhsa_forward_progress 0
		.amdhsa_shared_vgpr_count 0
		.amdhsa_exception_fp_ieee_invalid_op 0
		.amdhsa_exception_fp_denorm_src 0
		.amdhsa_exception_fp_ieee_div_zero 0
		.amdhsa_exception_fp_ieee_overflow 0
		.amdhsa_exception_fp_ieee_underflow 0
		.amdhsa_exception_fp_ieee_inexact 0
		.amdhsa_exception_int_div_zero 0
	.end_amdhsa_kernel
	.section	.text._Z38paged_attention_ll4mi_QKV_mfma4_kernelI14__hip_bfloat16S0_LN4vllm18Fp8KVCacheDataTypeE0EhLi16ELi64ELi256ELb1ELi1EEvPKT_PKT0_S8_ifPKiSA_SA_iPKfiiiPfSD_PS3_PT2_iSC_SC_,"axG",@progbits,_Z38paged_attention_ll4mi_QKV_mfma4_kernelI14__hip_bfloat16S0_LN4vllm18Fp8KVCacheDataTypeE0EhLi16ELi64ELi256ELb1ELi1EEvPKT_PKT0_S8_ifPKiSA_SA_iPKfiiiPfSD_PS3_PT2_iSC_SC_,comdat
.Lfunc_end386:
	.size	_Z38paged_attention_ll4mi_QKV_mfma4_kernelI14__hip_bfloat16S0_LN4vllm18Fp8KVCacheDataTypeE0EhLi16ELi64ELi256ELb1ELi1EEvPKT_PKT0_S8_ifPKiSA_SA_iPKfiiiPfSD_PS3_PT2_iSC_SC_, .Lfunc_end386-_Z38paged_attention_ll4mi_QKV_mfma4_kernelI14__hip_bfloat16S0_LN4vllm18Fp8KVCacheDataTypeE0EhLi16ELi64ELi256ELb1ELi1EEvPKT_PKT0_S8_ifPKiSA_SA_iPKfiiiPfSD_PS3_PT2_iSC_SC_
                                        ; -- End function
	.section	.AMDGPU.csdata,"",@progbits
; Kernel info:
; codeLenInByte = 72
; NumSgprs: 36
; NumVgprs: 41
; ScratchSize: 64
; MemoryBound: 0
; FloatMode: 240
; IeeeMode: 1
; LDSByteSize: 0 bytes/workgroup (compile time only)
; SGPRBlocks: 4
; VGPRBlocks: 5
; NumSGPRsForWavesPerEU: 36
; NumVGPRsForWavesPerEU: 41
; Occupancy: 16
; WaveLimiterHint : 1
; COMPUTE_PGM_RSRC2:SCRATCH_EN: 1
; COMPUTE_PGM_RSRC2:USER_SGPR: 15
; COMPUTE_PGM_RSRC2:TRAP_HANDLER: 0
; COMPUTE_PGM_RSRC2:TGID_X_EN: 1
; COMPUTE_PGM_RSRC2:TGID_Y_EN: 0
; COMPUTE_PGM_RSRC2:TGID_Z_EN: 0
; COMPUTE_PGM_RSRC2:TIDIG_COMP_CNT: 0
	.section	.text._Z38paged_attention_ll4mi_QKV_mfma4_kernelI14__hip_bfloat16S0_LN4vllm18Fp8KVCacheDataTypeE0EhLi16ELi64ELi256ELb1ELi2EEvPKT_PKT0_S8_ifPKiSA_SA_iPKfiiiPfSD_PS3_PT2_iSC_SC_,"axG",@progbits,_Z38paged_attention_ll4mi_QKV_mfma4_kernelI14__hip_bfloat16S0_LN4vllm18Fp8KVCacheDataTypeE0EhLi16ELi64ELi256ELb1ELi2EEvPKT_PKT0_S8_ifPKiSA_SA_iPKfiiiPfSD_PS3_PT2_iSC_SC_,comdat
	.protected	_Z38paged_attention_ll4mi_QKV_mfma4_kernelI14__hip_bfloat16S0_LN4vllm18Fp8KVCacheDataTypeE0EhLi16ELi64ELi256ELb1ELi2EEvPKT_PKT0_S8_ifPKiSA_SA_iPKfiiiPfSD_PS3_PT2_iSC_SC_ ; -- Begin function _Z38paged_attention_ll4mi_QKV_mfma4_kernelI14__hip_bfloat16S0_LN4vllm18Fp8KVCacheDataTypeE0EhLi16ELi64ELi256ELb1ELi2EEvPKT_PKT0_S8_ifPKiSA_SA_iPKfiiiPfSD_PS3_PT2_iSC_SC_
	.globl	_Z38paged_attention_ll4mi_QKV_mfma4_kernelI14__hip_bfloat16S0_LN4vllm18Fp8KVCacheDataTypeE0EhLi16ELi64ELi256ELb1ELi2EEvPKT_PKT0_S8_ifPKiSA_SA_iPKfiiiPfSD_PS3_PT2_iSC_SC_
	.p2align	8
	.type	_Z38paged_attention_ll4mi_QKV_mfma4_kernelI14__hip_bfloat16S0_LN4vllm18Fp8KVCacheDataTypeE0EhLi16ELi64ELi256ELb1ELi2EEvPKT_PKT0_S8_ifPKiSA_SA_iPKfiiiPfSD_PS3_PT2_iSC_SC_,@function
_Z38paged_attention_ll4mi_QKV_mfma4_kernelI14__hip_bfloat16S0_LN4vllm18Fp8KVCacheDataTypeE0EhLi16ELi64ELi256ELb1ELi2EEvPKT_PKT0_S8_ifPKiSA_SA_iPKfiiiPfSD_PS3_PT2_iSC_SC_: ; @_Z38paged_attention_ll4mi_QKV_mfma4_kernelI14__hip_bfloat16S0_LN4vllm18Fp8KVCacheDataTypeE0EhLi16ELi64ELi256ELb1ELi2EEvPKT_PKT0_S8_ifPKiSA_SA_iPKfiiiPfSD_PS3_PT2_iSC_SC_
; %bb.0:
	s_add_u32 s8, s0, 0x90
	s_addc_u32 s9, s1, 0
	s_getpc_b64 s[0:1]
	s_add_u32 s0, s0, __PRETTY_FUNCTION__._Z38paged_attention_ll4mi_QKV_mfma4_kernelI14__hip_bfloat16S0_LN4vllm18Fp8KVCacheDataTypeE0EhLi16ELi64ELi256ELb1ELi2EEvPKT_PKT0_S8_ifPKiSA_SA_iPKfiiiPfSD_PS3_PT2_iSC_SC_@rel32@lo+4
	s_addc_u32 s1, s1, __PRETTY_FUNCTION__._Z38paged_attention_ll4mi_QKV_mfma4_kernelI14__hip_bfloat16S0_LN4vllm18Fp8KVCacheDataTypeE0EhLi16ELi64ELi256ELb1ELi2EEvPKT_PKT0_S8_ifPKiSA_SA_iPKfiiiPfSD_PS3_PT2_iSC_SC_@rel32@hi+12
	s_delay_alu instid0(SALU_CYCLE_1) | instskip(SKIP_4) | instid1(SALU_CYCLE_1)
	v_dual_mov_b32 v0, s0 :: v_dual_mov_b32 v1, s1
	s_mov_b32 s32, 0
	s_getpc_b64 s[2:3]
	s_add_u32 s2, s2, __assert_fail@rel32@lo+4
	s_addc_u32 s3, s3, __assert_fail@rel32@hi+12
	s_swappc_b64 s[30:31], s[2:3]
	.section	.rodata,"a",@progbits
	.p2align	6, 0x0
	.amdhsa_kernel _Z38paged_attention_ll4mi_QKV_mfma4_kernelI14__hip_bfloat16S0_LN4vllm18Fp8KVCacheDataTypeE0EhLi16ELi64ELi256ELb1ELi2EEvPKT_PKT0_S8_ifPKiSA_SA_iPKfiiiPfSD_PS3_PT2_iSC_SC_
		.amdhsa_group_segment_fixed_size 0
		.amdhsa_private_segment_fixed_size 64
		.amdhsa_kernarg_size 400
		.amdhsa_user_sgpr_count 15
		.amdhsa_user_sgpr_dispatch_ptr 0
		.amdhsa_user_sgpr_queue_ptr 0
		.amdhsa_user_sgpr_kernarg_segment_ptr 1
		.amdhsa_user_sgpr_dispatch_id 0
		.amdhsa_user_sgpr_private_segment_size 0
		.amdhsa_wavefront_size32 1
		.amdhsa_uses_dynamic_stack 0
		.amdhsa_enable_private_segment 1
		.amdhsa_system_sgpr_workgroup_id_x 1
		.amdhsa_system_sgpr_workgroup_id_y 0
		.amdhsa_system_sgpr_workgroup_id_z 0
		.amdhsa_system_sgpr_workgroup_info 0
		.amdhsa_system_vgpr_workitem_id 0
		.amdhsa_next_free_vgpr 41
		.amdhsa_next_free_sgpr 34
		.amdhsa_reserve_vcc 1
		.amdhsa_float_round_mode_32 0
		.amdhsa_float_round_mode_16_64 0
		.amdhsa_float_denorm_mode_32 3
		.amdhsa_float_denorm_mode_16_64 3
		.amdhsa_dx10_clamp 1
		.amdhsa_ieee_mode 1
		.amdhsa_fp16_overflow 0
		.amdhsa_workgroup_processor_mode 1
		.amdhsa_memory_ordered 1
		.amdhsa_forward_progress 0
		.amdhsa_shared_vgpr_count 0
		.amdhsa_exception_fp_ieee_invalid_op 0
		.amdhsa_exception_fp_denorm_src 0
		.amdhsa_exception_fp_ieee_div_zero 0
		.amdhsa_exception_fp_ieee_overflow 0
		.amdhsa_exception_fp_ieee_underflow 0
		.amdhsa_exception_fp_ieee_inexact 0
		.amdhsa_exception_int_div_zero 0
	.end_amdhsa_kernel
	.section	.text._Z38paged_attention_ll4mi_QKV_mfma4_kernelI14__hip_bfloat16S0_LN4vllm18Fp8KVCacheDataTypeE0EhLi16ELi64ELi256ELb1ELi2EEvPKT_PKT0_S8_ifPKiSA_SA_iPKfiiiPfSD_PS3_PT2_iSC_SC_,"axG",@progbits,_Z38paged_attention_ll4mi_QKV_mfma4_kernelI14__hip_bfloat16S0_LN4vllm18Fp8KVCacheDataTypeE0EhLi16ELi64ELi256ELb1ELi2EEvPKT_PKT0_S8_ifPKiSA_SA_iPKfiiiPfSD_PS3_PT2_iSC_SC_,comdat
.Lfunc_end387:
	.size	_Z38paged_attention_ll4mi_QKV_mfma4_kernelI14__hip_bfloat16S0_LN4vllm18Fp8KVCacheDataTypeE0EhLi16ELi64ELi256ELb1ELi2EEvPKT_PKT0_S8_ifPKiSA_SA_iPKfiiiPfSD_PS3_PT2_iSC_SC_, .Lfunc_end387-_Z38paged_attention_ll4mi_QKV_mfma4_kernelI14__hip_bfloat16S0_LN4vllm18Fp8KVCacheDataTypeE0EhLi16ELi64ELi256ELb1ELi2EEvPKT_PKT0_S8_ifPKiSA_SA_iPKfiiiPfSD_PS3_PT2_iSC_SC_
                                        ; -- End function
	.section	.AMDGPU.csdata,"",@progbits
; Kernel info:
; codeLenInByte = 72
; NumSgprs: 36
; NumVgprs: 41
; ScratchSize: 64
; MemoryBound: 0
; FloatMode: 240
; IeeeMode: 1
; LDSByteSize: 0 bytes/workgroup (compile time only)
; SGPRBlocks: 4
; VGPRBlocks: 5
; NumSGPRsForWavesPerEU: 36
; NumVGPRsForWavesPerEU: 41
; Occupancy: 16
; WaveLimiterHint : 1
; COMPUTE_PGM_RSRC2:SCRATCH_EN: 1
; COMPUTE_PGM_RSRC2:USER_SGPR: 15
; COMPUTE_PGM_RSRC2:TRAP_HANDLER: 0
; COMPUTE_PGM_RSRC2:TGID_X_EN: 1
; COMPUTE_PGM_RSRC2:TGID_Y_EN: 0
; COMPUTE_PGM_RSRC2:TGID_Z_EN: 0
; COMPUTE_PGM_RSRC2:TIDIG_COMP_CNT: 0
	.section	.text._Z38paged_attention_ll4mi_QKV_mfma4_kernelI14__hip_bfloat16S0_LN4vllm18Fp8KVCacheDataTypeE0EhLi16ELi64ELi256ELb1ELi3EEvPKT_PKT0_S8_ifPKiSA_SA_iPKfiiiPfSD_PS3_PT2_iSC_SC_,"axG",@progbits,_Z38paged_attention_ll4mi_QKV_mfma4_kernelI14__hip_bfloat16S0_LN4vllm18Fp8KVCacheDataTypeE0EhLi16ELi64ELi256ELb1ELi3EEvPKT_PKT0_S8_ifPKiSA_SA_iPKfiiiPfSD_PS3_PT2_iSC_SC_,comdat
	.protected	_Z38paged_attention_ll4mi_QKV_mfma4_kernelI14__hip_bfloat16S0_LN4vllm18Fp8KVCacheDataTypeE0EhLi16ELi64ELi256ELb1ELi3EEvPKT_PKT0_S8_ifPKiSA_SA_iPKfiiiPfSD_PS3_PT2_iSC_SC_ ; -- Begin function _Z38paged_attention_ll4mi_QKV_mfma4_kernelI14__hip_bfloat16S0_LN4vllm18Fp8KVCacheDataTypeE0EhLi16ELi64ELi256ELb1ELi3EEvPKT_PKT0_S8_ifPKiSA_SA_iPKfiiiPfSD_PS3_PT2_iSC_SC_
	.globl	_Z38paged_attention_ll4mi_QKV_mfma4_kernelI14__hip_bfloat16S0_LN4vllm18Fp8KVCacheDataTypeE0EhLi16ELi64ELi256ELb1ELi3EEvPKT_PKT0_S8_ifPKiSA_SA_iPKfiiiPfSD_PS3_PT2_iSC_SC_
	.p2align	8
	.type	_Z38paged_attention_ll4mi_QKV_mfma4_kernelI14__hip_bfloat16S0_LN4vllm18Fp8KVCacheDataTypeE0EhLi16ELi64ELi256ELb1ELi3EEvPKT_PKT0_S8_ifPKiSA_SA_iPKfiiiPfSD_PS3_PT2_iSC_SC_,@function
_Z38paged_attention_ll4mi_QKV_mfma4_kernelI14__hip_bfloat16S0_LN4vllm18Fp8KVCacheDataTypeE0EhLi16ELi64ELi256ELb1ELi3EEvPKT_PKT0_S8_ifPKiSA_SA_iPKfiiiPfSD_PS3_PT2_iSC_SC_: ; @_Z38paged_attention_ll4mi_QKV_mfma4_kernelI14__hip_bfloat16S0_LN4vllm18Fp8KVCacheDataTypeE0EhLi16ELi64ELi256ELb1ELi3EEvPKT_PKT0_S8_ifPKiSA_SA_iPKfiiiPfSD_PS3_PT2_iSC_SC_
; %bb.0:
	s_add_u32 s8, s0, 0x90
	s_addc_u32 s9, s1, 0
	s_getpc_b64 s[0:1]
	s_add_u32 s0, s0, __PRETTY_FUNCTION__._Z38paged_attention_ll4mi_QKV_mfma4_kernelI14__hip_bfloat16S0_LN4vllm18Fp8KVCacheDataTypeE0EhLi16ELi64ELi256ELb1ELi3EEvPKT_PKT0_S8_ifPKiSA_SA_iPKfiiiPfSD_PS3_PT2_iSC_SC_@rel32@lo+4
	s_addc_u32 s1, s1, __PRETTY_FUNCTION__._Z38paged_attention_ll4mi_QKV_mfma4_kernelI14__hip_bfloat16S0_LN4vllm18Fp8KVCacheDataTypeE0EhLi16ELi64ELi256ELb1ELi3EEvPKT_PKT0_S8_ifPKiSA_SA_iPKfiiiPfSD_PS3_PT2_iSC_SC_@rel32@hi+12
	s_delay_alu instid0(SALU_CYCLE_1) | instskip(SKIP_4) | instid1(SALU_CYCLE_1)
	v_dual_mov_b32 v0, s0 :: v_dual_mov_b32 v1, s1
	s_mov_b32 s32, 0
	s_getpc_b64 s[2:3]
	s_add_u32 s2, s2, __assert_fail@rel32@lo+4
	s_addc_u32 s3, s3, __assert_fail@rel32@hi+12
	s_swappc_b64 s[30:31], s[2:3]
	.section	.rodata,"a",@progbits
	.p2align	6, 0x0
	.amdhsa_kernel _Z38paged_attention_ll4mi_QKV_mfma4_kernelI14__hip_bfloat16S0_LN4vllm18Fp8KVCacheDataTypeE0EhLi16ELi64ELi256ELb1ELi3EEvPKT_PKT0_S8_ifPKiSA_SA_iPKfiiiPfSD_PS3_PT2_iSC_SC_
		.amdhsa_group_segment_fixed_size 0
		.amdhsa_private_segment_fixed_size 64
		.amdhsa_kernarg_size 400
		.amdhsa_user_sgpr_count 15
		.amdhsa_user_sgpr_dispatch_ptr 0
		.amdhsa_user_sgpr_queue_ptr 0
		.amdhsa_user_sgpr_kernarg_segment_ptr 1
		.amdhsa_user_sgpr_dispatch_id 0
		.amdhsa_user_sgpr_private_segment_size 0
		.amdhsa_wavefront_size32 1
		.amdhsa_uses_dynamic_stack 0
		.amdhsa_enable_private_segment 1
		.amdhsa_system_sgpr_workgroup_id_x 1
		.amdhsa_system_sgpr_workgroup_id_y 0
		.amdhsa_system_sgpr_workgroup_id_z 0
		.amdhsa_system_sgpr_workgroup_info 0
		.amdhsa_system_vgpr_workitem_id 0
		.amdhsa_next_free_vgpr 41
		.amdhsa_next_free_sgpr 34
		.amdhsa_reserve_vcc 1
		.amdhsa_float_round_mode_32 0
		.amdhsa_float_round_mode_16_64 0
		.amdhsa_float_denorm_mode_32 3
		.amdhsa_float_denorm_mode_16_64 3
		.amdhsa_dx10_clamp 1
		.amdhsa_ieee_mode 1
		.amdhsa_fp16_overflow 0
		.amdhsa_workgroup_processor_mode 1
		.amdhsa_memory_ordered 1
		.amdhsa_forward_progress 0
		.amdhsa_shared_vgpr_count 0
		.amdhsa_exception_fp_ieee_invalid_op 0
		.amdhsa_exception_fp_denorm_src 0
		.amdhsa_exception_fp_ieee_div_zero 0
		.amdhsa_exception_fp_ieee_overflow 0
		.amdhsa_exception_fp_ieee_underflow 0
		.amdhsa_exception_fp_ieee_inexact 0
		.amdhsa_exception_int_div_zero 0
	.end_amdhsa_kernel
	.section	.text._Z38paged_attention_ll4mi_QKV_mfma4_kernelI14__hip_bfloat16S0_LN4vllm18Fp8KVCacheDataTypeE0EhLi16ELi64ELi256ELb1ELi3EEvPKT_PKT0_S8_ifPKiSA_SA_iPKfiiiPfSD_PS3_PT2_iSC_SC_,"axG",@progbits,_Z38paged_attention_ll4mi_QKV_mfma4_kernelI14__hip_bfloat16S0_LN4vllm18Fp8KVCacheDataTypeE0EhLi16ELi64ELi256ELb1ELi3EEvPKT_PKT0_S8_ifPKiSA_SA_iPKfiiiPfSD_PS3_PT2_iSC_SC_,comdat
.Lfunc_end388:
	.size	_Z38paged_attention_ll4mi_QKV_mfma4_kernelI14__hip_bfloat16S0_LN4vllm18Fp8KVCacheDataTypeE0EhLi16ELi64ELi256ELb1ELi3EEvPKT_PKT0_S8_ifPKiSA_SA_iPKfiiiPfSD_PS3_PT2_iSC_SC_, .Lfunc_end388-_Z38paged_attention_ll4mi_QKV_mfma4_kernelI14__hip_bfloat16S0_LN4vllm18Fp8KVCacheDataTypeE0EhLi16ELi64ELi256ELb1ELi3EEvPKT_PKT0_S8_ifPKiSA_SA_iPKfiiiPfSD_PS3_PT2_iSC_SC_
                                        ; -- End function
	.section	.AMDGPU.csdata,"",@progbits
; Kernel info:
; codeLenInByte = 72
; NumSgprs: 36
; NumVgprs: 41
; ScratchSize: 64
; MemoryBound: 0
; FloatMode: 240
; IeeeMode: 1
; LDSByteSize: 0 bytes/workgroup (compile time only)
; SGPRBlocks: 4
; VGPRBlocks: 5
; NumSGPRsForWavesPerEU: 36
; NumVGPRsForWavesPerEU: 41
; Occupancy: 16
; WaveLimiterHint : 1
; COMPUTE_PGM_RSRC2:SCRATCH_EN: 1
; COMPUTE_PGM_RSRC2:USER_SGPR: 15
; COMPUTE_PGM_RSRC2:TRAP_HANDLER: 0
; COMPUTE_PGM_RSRC2:TGID_X_EN: 1
; COMPUTE_PGM_RSRC2:TGID_Y_EN: 0
; COMPUTE_PGM_RSRC2:TGID_Z_EN: 0
; COMPUTE_PGM_RSRC2:TIDIG_COMP_CNT: 0
	.section	.text._Z38paged_attention_ll4mi_QKV_mfma4_kernelI14__hip_bfloat16S0_LN4vllm18Fp8KVCacheDataTypeE0EhLi16ELi64ELi256ELb1ELi4EEvPKT_PKT0_S8_ifPKiSA_SA_iPKfiiiPfSD_PS3_PT2_iSC_SC_,"axG",@progbits,_Z38paged_attention_ll4mi_QKV_mfma4_kernelI14__hip_bfloat16S0_LN4vllm18Fp8KVCacheDataTypeE0EhLi16ELi64ELi256ELb1ELi4EEvPKT_PKT0_S8_ifPKiSA_SA_iPKfiiiPfSD_PS3_PT2_iSC_SC_,comdat
	.protected	_Z38paged_attention_ll4mi_QKV_mfma4_kernelI14__hip_bfloat16S0_LN4vllm18Fp8KVCacheDataTypeE0EhLi16ELi64ELi256ELb1ELi4EEvPKT_PKT0_S8_ifPKiSA_SA_iPKfiiiPfSD_PS3_PT2_iSC_SC_ ; -- Begin function _Z38paged_attention_ll4mi_QKV_mfma4_kernelI14__hip_bfloat16S0_LN4vllm18Fp8KVCacheDataTypeE0EhLi16ELi64ELi256ELb1ELi4EEvPKT_PKT0_S8_ifPKiSA_SA_iPKfiiiPfSD_PS3_PT2_iSC_SC_
	.globl	_Z38paged_attention_ll4mi_QKV_mfma4_kernelI14__hip_bfloat16S0_LN4vllm18Fp8KVCacheDataTypeE0EhLi16ELi64ELi256ELb1ELi4EEvPKT_PKT0_S8_ifPKiSA_SA_iPKfiiiPfSD_PS3_PT2_iSC_SC_
	.p2align	8
	.type	_Z38paged_attention_ll4mi_QKV_mfma4_kernelI14__hip_bfloat16S0_LN4vllm18Fp8KVCacheDataTypeE0EhLi16ELi64ELi256ELb1ELi4EEvPKT_PKT0_S8_ifPKiSA_SA_iPKfiiiPfSD_PS3_PT2_iSC_SC_,@function
_Z38paged_attention_ll4mi_QKV_mfma4_kernelI14__hip_bfloat16S0_LN4vllm18Fp8KVCacheDataTypeE0EhLi16ELi64ELi256ELb1ELi4EEvPKT_PKT0_S8_ifPKiSA_SA_iPKfiiiPfSD_PS3_PT2_iSC_SC_: ; @_Z38paged_attention_ll4mi_QKV_mfma4_kernelI14__hip_bfloat16S0_LN4vllm18Fp8KVCacheDataTypeE0EhLi16ELi64ELi256ELb1ELi4EEvPKT_PKT0_S8_ifPKiSA_SA_iPKfiiiPfSD_PS3_PT2_iSC_SC_
; %bb.0:
	s_add_u32 s8, s0, 0x90
	s_addc_u32 s9, s1, 0
	s_getpc_b64 s[0:1]
	s_add_u32 s0, s0, __PRETTY_FUNCTION__._Z38paged_attention_ll4mi_QKV_mfma4_kernelI14__hip_bfloat16S0_LN4vllm18Fp8KVCacheDataTypeE0EhLi16ELi64ELi256ELb1ELi4EEvPKT_PKT0_S8_ifPKiSA_SA_iPKfiiiPfSD_PS3_PT2_iSC_SC_@rel32@lo+4
	s_addc_u32 s1, s1, __PRETTY_FUNCTION__._Z38paged_attention_ll4mi_QKV_mfma4_kernelI14__hip_bfloat16S0_LN4vllm18Fp8KVCacheDataTypeE0EhLi16ELi64ELi256ELb1ELi4EEvPKT_PKT0_S8_ifPKiSA_SA_iPKfiiiPfSD_PS3_PT2_iSC_SC_@rel32@hi+12
	s_delay_alu instid0(SALU_CYCLE_1) | instskip(SKIP_4) | instid1(SALU_CYCLE_1)
	v_dual_mov_b32 v0, s0 :: v_dual_mov_b32 v1, s1
	s_mov_b32 s32, 0
	s_getpc_b64 s[2:3]
	s_add_u32 s2, s2, __assert_fail@rel32@lo+4
	s_addc_u32 s3, s3, __assert_fail@rel32@hi+12
	s_swappc_b64 s[30:31], s[2:3]
	.section	.rodata,"a",@progbits
	.p2align	6, 0x0
	.amdhsa_kernel _Z38paged_attention_ll4mi_QKV_mfma4_kernelI14__hip_bfloat16S0_LN4vllm18Fp8KVCacheDataTypeE0EhLi16ELi64ELi256ELb1ELi4EEvPKT_PKT0_S8_ifPKiSA_SA_iPKfiiiPfSD_PS3_PT2_iSC_SC_
		.amdhsa_group_segment_fixed_size 0
		.amdhsa_private_segment_fixed_size 64
		.amdhsa_kernarg_size 400
		.amdhsa_user_sgpr_count 15
		.amdhsa_user_sgpr_dispatch_ptr 0
		.amdhsa_user_sgpr_queue_ptr 0
		.amdhsa_user_sgpr_kernarg_segment_ptr 1
		.amdhsa_user_sgpr_dispatch_id 0
		.amdhsa_user_sgpr_private_segment_size 0
		.amdhsa_wavefront_size32 1
		.amdhsa_uses_dynamic_stack 0
		.amdhsa_enable_private_segment 1
		.amdhsa_system_sgpr_workgroup_id_x 1
		.amdhsa_system_sgpr_workgroup_id_y 0
		.amdhsa_system_sgpr_workgroup_id_z 0
		.amdhsa_system_sgpr_workgroup_info 0
		.amdhsa_system_vgpr_workitem_id 0
		.amdhsa_next_free_vgpr 41
		.amdhsa_next_free_sgpr 34
		.amdhsa_reserve_vcc 1
		.amdhsa_float_round_mode_32 0
		.amdhsa_float_round_mode_16_64 0
		.amdhsa_float_denorm_mode_32 3
		.amdhsa_float_denorm_mode_16_64 3
		.amdhsa_dx10_clamp 1
		.amdhsa_ieee_mode 1
		.amdhsa_fp16_overflow 0
		.amdhsa_workgroup_processor_mode 1
		.amdhsa_memory_ordered 1
		.amdhsa_forward_progress 0
		.amdhsa_shared_vgpr_count 0
		.amdhsa_exception_fp_ieee_invalid_op 0
		.amdhsa_exception_fp_denorm_src 0
		.amdhsa_exception_fp_ieee_div_zero 0
		.amdhsa_exception_fp_ieee_overflow 0
		.amdhsa_exception_fp_ieee_underflow 0
		.amdhsa_exception_fp_ieee_inexact 0
		.amdhsa_exception_int_div_zero 0
	.end_amdhsa_kernel
	.section	.text._Z38paged_attention_ll4mi_QKV_mfma4_kernelI14__hip_bfloat16S0_LN4vllm18Fp8KVCacheDataTypeE0EhLi16ELi64ELi256ELb1ELi4EEvPKT_PKT0_S8_ifPKiSA_SA_iPKfiiiPfSD_PS3_PT2_iSC_SC_,"axG",@progbits,_Z38paged_attention_ll4mi_QKV_mfma4_kernelI14__hip_bfloat16S0_LN4vllm18Fp8KVCacheDataTypeE0EhLi16ELi64ELi256ELb1ELi4EEvPKT_PKT0_S8_ifPKiSA_SA_iPKfiiiPfSD_PS3_PT2_iSC_SC_,comdat
.Lfunc_end389:
	.size	_Z38paged_attention_ll4mi_QKV_mfma4_kernelI14__hip_bfloat16S0_LN4vllm18Fp8KVCacheDataTypeE0EhLi16ELi64ELi256ELb1ELi4EEvPKT_PKT0_S8_ifPKiSA_SA_iPKfiiiPfSD_PS3_PT2_iSC_SC_, .Lfunc_end389-_Z38paged_attention_ll4mi_QKV_mfma4_kernelI14__hip_bfloat16S0_LN4vllm18Fp8KVCacheDataTypeE0EhLi16ELi64ELi256ELb1ELi4EEvPKT_PKT0_S8_ifPKiSA_SA_iPKfiiiPfSD_PS3_PT2_iSC_SC_
                                        ; -- End function
	.section	.AMDGPU.csdata,"",@progbits
; Kernel info:
; codeLenInByte = 72
; NumSgprs: 36
; NumVgprs: 41
; ScratchSize: 64
; MemoryBound: 0
; FloatMode: 240
; IeeeMode: 1
; LDSByteSize: 0 bytes/workgroup (compile time only)
; SGPRBlocks: 4
; VGPRBlocks: 5
; NumSGPRsForWavesPerEU: 36
; NumVGPRsForWavesPerEU: 41
; Occupancy: 16
; WaveLimiterHint : 1
; COMPUTE_PGM_RSRC2:SCRATCH_EN: 1
; COMPUTE_PGM_RSRC2:USER_SGPR: 15
; COMPUTE_PGM_RSRC2:TRAP_HANDLER: 0
; COMPUTE_PGM_RSRC2:TGID_X_EN: 1
; COMPUTE_PGM_RSRC2:TGID_Y_EN: 0
; COMPUTE_PGM_RSRC2:TGID_Z_EN: 0
; COMPUTE_PGM_RSRC2:TIDIG_COMP_CNT: 0
	.section	.text._Z39paged_attention_ll4mi_QKV_mfma16_kernelI14__hip_bfloat16S0_LN4vllm18Fp8KVCacheDataTypeE0EhLi16ELi64ELi256ELb1ELi5EL8MFMAType0EEvPKT_PKT0_S9_ifPKiSB_SB_iPKfiiiPfSE_PS4_PT2_iSD_SD_,"axG",@progbits,_Z39paged_attention_ll4mi_QKV_mfma16_kernelI14__hip_bfloat16S0_LN4vllm18Fp8KVCacheDataTypeE0EhLi16ELi64ELi256ELb1ELi5EL8MFMAType0EEvPKT_PKT0_S9_ifPKiSB_SB_iPKfiiiPfSE_PS4_PT2_iSD_SD_,comdat
	.protected	_Z39paged_attention_ll4mi_QKV_mfma16_kernelI14__hip_bfloat16S0_LN4vllm18Fp8KVCacheDataTypeE0EhLi16ELi64ELi256ELb1ELi5EL8MFMAType0EEvPKT_PKT0_S9_ifPKiSB_SB_iPKfiiiPfSE_PS4_PT2_iSD_SD_ ; -- Begin function _Z39paged_attention_ll4mi_QKV_mfma16_kernelI14__hip_bfloat16S0_LN4vllm18Fp8KVCacheDataTypeE0EhLi16ELi64ELi256ELb1ELi5EL8MFMAType0EEvPKT_PKT0_S9_ifPKiSB_SB_iPKfiiiPfSE_PS4_PT2_iSD_SD_
	.globl	_Z39paged_attention_ll4mi_QKV_mfma16_kernelI14__hip_bfloat16S0_LN4vllm18Fp8KVCacheDataTypeE0EhLi16ELi64ELi256ELb1ELi5EL8MFMAType0EEvPKT_PKT0_S9_ifPKiSB_SB_iPKfiiiPfSE_PS4_PT2_iSD_SD_
	.p2align	8
	.type	_Z39paged_attention_ll4mi_QKV_mfma16_kernelI14__hip_bfloat16S0_LN4vllm18Fp8KVCacheDataTypeE0EhLi16ELi64ELi256ELb1ELi5EL8MFMAType0EEvPKT_PKT0_S9_ifPKiSB_SB_iPKfiiiPfSE_PS4_PT2_iSD_SD_,@function
_Z39paged_attention_ll4mi_QKV_mfma16_kernelI14__hip_bfloat16S0_LN4vllm18Fp8KVCacheDataTypeE0EhLi16ELi64ELi256ELb1ELi5EL8MFMAType0EEvPKT_PKT0_S9_ifPKiSB_SB_iPKfiiiPfSE_PS4_PT2_iSD_SD_: ; @_Z39paged_attention_ll4mi_QKV_mfma16_kernelI14__hip_bfloat16S0_LN4vllm18Fp8KVCacheDataTypeE0EhLi16ELi64ELi256ELb1ELi5EL8MFMAType0EEvPKT_PKT0_S9_ifPKiSB_SB_iPKfiiiPfSE_PS4_PT2_iSD_SD_
; %bb.0:
	s_load_b64 s[2:3], s[0:1], 0x30
	s_mov_b32 s34, s13
	s_waitcnt lgkmcnt(0)
	s_cmp_lg_u64 s[2:3], 0
	s_cselect_b32 s8, -1, 0
	s_ashr_i32 s35, s13, 31
	s_cmp_eq_u64 s[2:3], 0
	s_cbranch_scc1 .LBB390_3
; %bb.1:
	s_lshl_b64 s[4:5], s[34:35], 2
	s_delay_alu instid0(SALU_CYCLE_1) | instskip(SKIP_4) | instid1(SALU_CYCLE_1)
	s_add_u32 s4, s2, s4
	s_addc_u32 s5, s3, s5
	s_load_b64 s[4:5], s[4:5], 0x0
	s_waitcnt lgkmcnt(0)
	s_sub_i32 s4, s5, s4
	s_cmp_eq_u32 s4, 1
	s_cselect_b32 s4, -1, 0
	s_delay_alu instid0(SALU_CYCLE_1)
	s_and_not1_b32 vcc_lo, exec_lo, s4
	s_cbranch_vccz .LBB390_4
.LBB390_2:
	s_nop 0
	s_sendmsg sendmsg(MSG_DEALLOC_VGPRS)
	s_endpgm
.LBB390_3:
.LBB390_4:
	s_load_b64 s[4:5], s[0:1], 0x28
	s_lshl_b64 s[6:7], s[34:35], 2
	s_waitcnt lgkmcnt(0)
	s_add_u32 s4, s4, s6
	s_addc_u32 s5, s5, s7
	s_lshl_b32 s33, s14, 8
	s_load_b32 s30, s[4:5], 0x0
	s_waitcnt lgkmcnt(0)
	s_cmp_ge_i32 s33, s30
	s_cbranch_scc1 .LBB390_2
; %bb.5:
	s_clause 0x1
	s_load_b128 s[20:23], s[0:1], 0x8
	s_load_b64 s[4:5], s[0:1], 0x20
	s_and_not1_b32 vcc_lo, exec_lo, s8
	s_cbranch_vccnz .LBB390_7
; %bb.6:
	s_add_u32 s2, s2, s6
	s_addc_u32 s3, s3, s7
	s_load_b32 s3, s[2:3], 0x0
	s_branch .LBB390_8
.LBB390_7:
	s_mov_b32 s3, s34
.LBB390_8:
	s_load_b128 s[16:19], s[0:1], 0x48
	v_lshrrev_b32_e32 v149, 5, v0
	v_bfe_u32 v146, v0, 4, 1
	v_and_b32_e32 v148, 15, v0
	v_and_b32_e32 v150, 31, v0
	;; [unrolled: 1-line block ×3, first 2 shown]
	s_mul_i32 s31, s15, 5
	v_lshl_or_b32 v1, v149, 1, v146
	v_lshlrev_b32_e32 v2, 3, v148
	v_cmp_gt_u32_e64 s2, 8, v148
	s_delay_alu instid0(VALU_DEP_3) | instskip(NEXT) | instid1(VALU_DEP_3)
	v_cmp_gt_u32_e32 vcc_lo, 5, v1
	v_lshlrev_b32_e32 v145, 1, v2
	s_delay_alu instid0(VALU_DEP_3) | instskip(NEXT) | instid1(SALU_CYCLE_1)
	s_and_b32 s7, s2, vcc_lo
	s_and_saveexec_b32 s6, s7
	s_cbranch_execz .LBB390_10
; %bb.9:
	s_load_b64 s[8:9], s[0:1], 0x0
	v_add_lshl_u32 v2, v1, s31, 6
	s_waitcnt lgkmcnt(0)
	s_mul_hi_i32 s11, s3, s16
	s_mul_i32 s10, s3, s16
	v_lshlrev_b32_e32 v6, 10, v148
	s_lshl_b64 s[10:11], s[10:11], 1
	v_ashrrev_i32_e32 v3, 31, v2
	v_lshlrev_b32_e32 v1, 6, v1
	v_lshlrev_b32_e32 v7, 10, v147
	v_and_b32_e32 v6, 0x3800, v6
	s_delay_alu instid0(VALU_DEP_4) | instskip(NEXT) | instid1(VALU_DEP_2)
	v_lshlrev_b64 v[2:3], 1, v[2:3]
	v_or3_b32 v1, v6, v7, v1
	s_add_u32 s3, s8, s10
	s_addc_u32 s7, s9, s11
	s_delay_alu instid0(VALU_DEP_2) | instskip(NEXT) | instid1(VALU_DEP_3)
	v_add_co_u32 v2, vcc_lo, s3, v2
	v_add_co_ci_u32_e32 v3, vcc_lo, s7, v3, vcc_lo
	s_delay_alu instid0(VALU_DEP_2) | instskip(NEXT) | instid1(VALU_DEP_2)
	v_add_co_u32 v2, vcc_lo, v2, v145
	v_add_co_ci_u32_e32 v3, vcc_lo, 0, v3, vcc_lo
	global_load_b128 v[2:5], v[2:3], off
	s_waitcnt vmcnt(0)
	ds_store_b128 v1, v[2:5]
.LBB390_10:
	s_or_b32 exec_lo, exec_lo, s6
	v_and_b32_e32 v1, 0xef, v0
	s_waitcnt lgkmcnt(0)
	s_add_i32 s3, s30, 15
	s_clause 0x1
	s_load_b32 s6, s[0:1], 0x38
	s_load_b32 s35, s[0:1], 0x1c
	s_ashr_i32 s7, s3, 31
	v_add_nc_u32_e32 v1, s33, v1
	s_lshr_b32 s7, s7, 28
	s_waitcnt lgkmcnt(0)
	s_add_i32 s3, s3, s7
	s_barrier
	v_ashrrev_i32_e32 v2, 31, v1
	v_or_b32_e32 v3, 16, v1
	s_ashr_i32 s3, s3, 4
	v_cmp_gt_i32_e32 vcc_lo, s30, v1
	s_add_i32 s3, s3, -1
	v_lshrrev_b32_e32 v2, 28, v2
	buffer_gl0_inv
	v_mul_lo_u16 v21, v148, 52
	v_lshlrev_b32_e32 v22, 5, v148
	v_add_nc_u32_e32 v4, v1, v2
	s_mul_i32 s6, s34, s6
	s_delay_alu instid0(VALU_DEP_3) | instskip(SKIP_1) | instid1(VALU_DEP_2)
	v_lshrrev_b16 v21, 8, v21
	s_ashr_i32 s7, s6, 31
	v_ashrrev_i32_e32 v4, 4, v4
	v_add_nc_u32_e32 v2, v3, v2
	s_lshl_b64 s[6:7], s[6:7], 2
	v_mul_lo_u16 v21, v21, 5
	s_add_u32 s16, s4, s6
	v_cndmask_b32_e32 v1, s3, v4, vcc_lo
	v_ashrrev_i32_e32 v2, 4, v2
	v_cmp_gt_i32_e32 vcc_lo, s30, v3
	s_addc_u32 s36, s5, s7
	s_mul_i32 s4, s15, s18
	v_sub_nc_u16 v21, v148, v21
	s_ashr_i32 s5, s4, 31
	v_cndmask_b32_e32 v3, s3, v2, vcc_lo
	v_ashrrev_i32_e32 v2, 31, v1
	s_lshl_b64 s[12:13], s[4:5], 1
	v_and_b32_e32 v21, 0xff, v21
	s_add_u32 s26, s20, s12
	v_ashrrev_i32_e32 v4, 31, v3
	v_lshlrev_b64 v[1:2], 2, v[1:2]
	s_addc_u32 s27, s21, s13
	s_lshl_b32 s4, s14, 4
	v_lshlrev_b32_e32 v197, 6, v21
	v_lshlrev_b64 v[3:4], 2, v[3:4]
	s_ashr_i32 s5, s4, 31
	v_add_co_u32 v1, vcc_lo, s16, v1
	v_add_co_ci_u32_e32 v2, vcc_lo, s36, v2, vcc_lo
	s_delay_alu instid0(VALU_DEP_3) | instskip(NEXT) | instid1(VALU_DEP_4)
	v_add_co_u32 v3, vcc_lo, s16, v3
	v_add_co_ci_u32_e32 v4, vcc_lo, s36, v4, vcc_lo
	s_clause 0x1
	global_load_b32 v5, v[1:2], off
	global_load_b32 v6, v[3:4], off
	s_lshl_b64 s[4:5], s[4:5], 2
	v_lshlrev_b32_e32 v3, 4, v0
	s_add_u32 s4, s16, s4
	s_addc_u32 s5, s36, s5
	s_or_b32 s6, s33, 16
	v_lshl_or_b32 v22, v149, 9, v22
	s_ashr_i32 s7, s6, 4
	s_cmp_lt_i32 s6, s30
	s_cselect_b32 s6, s7, s3
	s_delay_alu instid0(SALU_CYCLE_1) | instskip(NEXT) | instid1(SALU_CYCLE_1)
	s_ashr_i32 s7, s6, 31
	s_lshl_b64 s[6:7], s[6:7], 2
	s_delay_alu instid0(SALU_CYCLE_1) | instskip(SKIP_2) | instid1(SALU_CYCLE_1)
	s_add_u32 s6, s16, s6
	s_addc_u32 s7, s36, s7
	s_or_b32 s8, s33, 32
	s_ashr_i32 s9, s8, 4
	s_cmp_lt_i32 s8, s30
	s_cselect_b32 s8, s9, s3
	s_delay_alu instid0(SALU_CYCLE_1) | instskip(NEXT) | instid1(SALU_CYCLE_1)
	s_ashr_i32 s9, s8, 31
	s_lshl_b64 s[8:9], s[8:9], 2
	s_delay_alu instid0(SALU_CYCLE_1) | instskip(SKIP_2) | instid1(SALU_CYCLE_1)
	s_add_u32 s8, s16, s8
	s_addc_u32 s9, s36, s9
	s_or_b32 s10, s33, 48
	;; [unrolled: 10-line block ×4, first 2 shown]
	s_ashr_i32 s18, s15, 4
	s_cmp_lt_i32 s15, s30
	s_cselect_b32 s18, s18, s3
	s_delay_alu instid0(SALU_CYCLE_1) | instskip(NEXT) | instid1(SALU_CYCLE_1)
	s_ashr_i32 s19, s18, 31
	s_lshl_b64 s[18:19], s[18:19], 2
	s_delay_alu instid0(SALU_CYCLE_1)
	s_add_u32 s24, s16, s18
	s_addc_u32 s25, s36, s19
	s_clause 0x5
	s_load_b32 s37, s[4:5], 0x0
	s_load_b32 s29, s[6:7], 0x0
	s_load_b32 s28, s[8:9], 0x0
	s_load_b32 s19, s[10:11], 0x0
	s_load_b32 s18, s[20:21], 0x0
	s_load_b32 s15, s[24:25], 0x0
	s_waitcnt vmcnt(1)
	v_mad_i64_i32 v[1:2], null, v5, s17, 0
	v_and_b32_e32 v5, 0xf0, v3
	s_waitcnt vmcnt(0)
	v_mad_i64_i32 v[3:4], null, v6, s17, 0
	s_delay_alu instid0(VALU_DEP_2) | instskip(NEXT) | instid1(VALU_DEP_4)
	v_add_co_u32 v5, s4, s26, v5
	v_lshlrev_b64 v[1:2], 1, v[1:2]
	v_add_co_ci_u32_e64 v6, null, s27, 0, s4
	s_delay_alu instid0(VALU_DEP_4) | instskip(SKIP_1) | instid1(VALU_DEP_3)
	v_lshlrev_b64 v[3:4], 1, v[3:4]
	s_or_b32 s4, s33, 0x60
	v_add_co_u32 v19, vcc_lo, v5, v1
	s_delay_alu instid0(VALU_DEP_3) | instskip(NEXT) | instid1(VALU_DEP_3)
	v_add_co_ci_u32_e32 v20, vcc_lo, v6, v2, vcc_lo
	v_add_co_u32 v17, vcc_lo, v5, v3
	s_delay_alu instid0(VALU_DEP_4)
	v_add_co_ci_u32_e32 v18, vcc_lo, v6, v4, vcc_lo
	s_clause 0xb
	global_load_b128 v[1:4], v[19:20], off
	global_load_b128 v[5:8], v[19:20], off offset:256
	global_load_b128 v[129:132], v[17:18], off
	global_load_b128 v[133:136], v[17:18], off offset:256
	global_load_b128 v[33:36], v[19:20], off offset:512
	;; [unrolled: 1-line block ×9, first 2 shown]
	ds_load_b128 v[159:162], v197
	ds_load_b128 v[163:166], v197 offset:1024
	s_clause 0x3
	global_load_b128 v[167:170], v[19:20], off offset:1536
	global_load_b128 v[171:174], v[19:20], off offset:1792
	;; [unrolled: 1-line block ×4, first 2 shown]
	s_ashr_i32 s5, s4, 4
	s_cmp_lt_i32 s4, s30
	s_cselect_b32 s4, s5, s3
	s_delay_alu instid0(SALU_CYCLE_1) | instskip(NEXT) | instid1(SALU_CYCLE_1)
	s_ashr_i32 s5, s4, 31
	s_lshl_b64 s[4:5], s[4:5], 2
	s_delay_alu instid0(SALU_CYCLE_1) | instskip(SKIP_2) | instid1(SALU_CYCLE_1)
	s_add_u32 s20, s16, s4
	s_addc_u32 s21, s36, s5
	s_or_b32 s4, s33, 0x70
	s_ashr_i32 s5, s4, 4
	s_cmp_lt_i32 s4, s30
	s_cselect_b32 s4, s5, s3
	s_delay_alu instid0(SALU_CYCLE_1) | instskip(NEXT) | instid1(SALU_CYCLE_1)
	s_ashr_i32 s5, s4, 31
	s_lshl_b64 s[6:7], s[4:5], 2
	s_mov_b32 s4, 0
	s_add_u32 s24, s16, s6
	s_addc_u32 s25, s36, s7
	s_or_b32 s5, s33, 0x80
	s_mov_b32 s11, s4
	s_ashr_i32 s6, s5, 4
	s_cmp_lt_i32 s5, s30
	s_mov_b32 s5, s4
	s_cselect_b32 s8, s6, s3
	s_mov_b32 s6, s4
	s_ashr_i32 s9, s8, 31
	s_mov_b32 s7, s4
	s_lshl_b64 s[8:9], s[8:9], 2
	s_load_b32 s46, s[24:25], 0x0
	s_add_u32 s26, s16, s8
	s_addc_u32 s27, s36, s9
	s_or_b32 s9, s33, 0x90
	s_load_b32 s47, s[26:27], 0x0
	s_ashr_i32 s10, s9, 4
	s_cmp_lt_i32 s9, s30
	s_mov_b32 s8, s4
	s_cselect_b32 s38, s10, s3
	s_mov_b32 s9, s4
	s_ashr_i32 s39, s38, 31
	s_mov_b32 s10, s4
	s_lshl_b64 s[38:39], s[38:39], 2
	v_mov_b32_e32 v144, s11
	s_add_u32 s38, s16, s38
	s_addc_u32 s39, s36, s39
	s_or_b32 s40, s33, 0xa0
	v_mov_b32_e32 v143, s10
	s_ashr_i32 s41, s40, 4
	s_cmp_lt_i32 s40, s30
	v_mov_b32_e32 v142, s9
	s_cselect_b32 s40, s41, s3
	v_mov_b32_e32 v141, s8
	s_ashr_i32 s41, s40, 31
	v_dual_mov_b32 v140, s7 :: v_dual_mov_b32 v139, s6
	v_dual_mov_b32 v138, s5 :: v_dual_mov_b32 v137, s4
	s_lshl_b64 s[4:5], s[40:41], 2
	s_waitcnt lgkmcnt(0)
	s_mul_hi_i32 s7, s29, s17
	s_add_u32 s42, s16, s4
	s_addc_u32 s43, s36, s5
	s_or_b32 s4, s33, 0xb0
	s_mul_hi_i32 s5, s37, s17
	s_ashr_i32 s6, s4, 4
	s_cmp_lt_i32 s4, s30
	s_mul_i32 s4, s37, s17
	s_cselect_b32 s8, s6, s3
	s_mul_i32 s6, s29, s17
	s_ashr_i32 s9, s8, 31
	s_load_b32 s41, s[20:21], 0x0
	s_lshl_b64 s[8:9], s[8:9], 2
	s_load_b32 s40, s[38:39], 0x0
	s_add_u32 s44, s16, s8
	s_addc_u32 s45, s36, s9
	s_or_b32 s8, s33, 0xc0
	s_mul_hi_i32 s9, s28, s17
	s_ashr_i32 s10, s8, 4
	s_cmp_lt_i32 s8, s30
	s_mul_i32 s8, s28, s17
	s_cselect_b32 s28, s10, s3
	s_load_b32 s39, s[42:43], 0x0
	s_ashr_i32 s29, s28, 31
	s_mul_hi_i32 s21, s15, s17
	s_lshl_b64 s[28:29], s[28:29], 2
	s_mul_hi_i32 s27, s46, s17
	s_add_u32 s28, s16, s28
	s_addc_u32 s29, s36, s29
	s_or_b32 s37, s33, 0xd0
	s_mul_i32 s26, s46, s17
	s_ashr_i32 s20, s37, 4
	s_cmp_lt_i32 s37, s30
	s_mul_hi_i32 s11, s19, s17
	s_cselect_b32 s24, s20, s3
	s_mul_i32 s20, s15, s17
	s_ashr_i32 s25, s24, 31
	s_mul_i32 s10, s19, s17
	s_lshl_b64 s[24:25], s[24:25], 2
	s_mul_hi_i32 s19, s18, s17
	s_add_u32 s24, s16, s24
	s_addc_u32 s25, s36, s25
	s_or_b32 s42, s33, 0xe0
	s_clause 0x2
	s_load_b32 s38, s[44:45], 0x0
	s_load_b32 s37, s[28:29], 0x0
	;; [unrolled: 1-line block ×3, first 2 shown]
	s_ashr_i32 s43, s42, 4
	s_cmp_lt_i32 s42, s30
	s_mul_hi_i32 s29, s47, s17
	s_cselect_b32 s42, s43, s3
	s_mul_i32 s28, s47, s17
	s_ashr_i32 s43, s42, 31
	s_mul_i32 s18, s18, s17
	s_lshl_b64 s[42:43], s[42:43], 2
	s_waitcnt lgkmcnt(0)
	s_mul_hi_i32 s25, s41, s17
	s_add_u32 s42, s16, s42
	s_addc_u32 s43, s36, s43
	s_or_b32 s46, s33, 0xf0
	s_mul_i32 s24, s41, s17
	s_ashr_i32 s47, s46, 4
	s_cmp_lt_i32 s46, s30
	s_mul_hi_i32 s41, s40, s17
	s_cselect_b32 s46, s47, s3
	s_mul_i32 s40, s40, s17
	s_ashr_i32 s47, s46, 31
	s_mul_hi_i32 s51, s15, s17
	s_lshl_b64 s[46:47], s[46:47], 2
	s_mul_i32 s50, s15, s17
	s_add_u32 s46, s16, s46
	s_addc_u32 s47, s36, s47
	s_add_u32 s3, s22, s12
	s_addc_u32 s15, s23, s13
	v_add_co_u32 v195, s3, s3, v22
	s_delay_alu instid0(VALU_DEP_1) | instskip(SKIP_2) | instid1(VALU_DEP_2)
	v_add_co_ci_u32_e64 v196, null, s15, 0, s3
	s_lshl_b64 s[4:5], s[4:5], 1
	s_lshl_b64 s[6:7], s[6:7], 1
	v_add_co_u32 v17, vcc_lo, v195, s4
	s_delay_alu instid0(VALU_DEP_2)
	v_add_co_ci_u32_e32 v18, vcc_lo, s5, v196, vcc_lo
	v_add_co_u32 v19, vcc_lo, v195, s6
	s_lshl_b64 s[8:9], s[8:9], 1
	v_add_co_ci_u32_e32 v20, vcc_lo, s7, v196, vcc_lo
	v_add_co_u32 v21, vcc_lo, v195, s8
	s_lshl_b64 s[10:11], s[10:11], 1
	;; [unrolled: 3-line block ×8, first 2 shown]
	s_mul_hi_i32 s45, s39, s17
	s_mul_i32 s44, s39, s17
	v_add_co_ci_u32_e32 v50, vcc_lo, s25, v196, vcc_lo
	v_add_co_u32 v53, vcc_lo, v195, s26
	s_lshl_b64 s[28:29], s[44:45], 1
	s_mul_hi_i32 s39, s38, s17
	s_mul_i32 s38, s38, s17
	v_add_co_ci_u32_e32 v54, vcc_lo, s27, v196, vcc_lo
	v_add_co_u32 v183, vcc_lo, v195, s28
	s_mul_hi_i32 s49, s37, s17
	s_mul_i32 s48, s37, s17
	s_lshl_b64 s[36:37], s[38:39], 1
	v_add_co_ci_u32_e32 v184, vcc_lo, s29, v196, vcc_lo
	v_add_co_u32 v185, vcc_lo, v195, s36
	s_lshl_b64 s[38:39], s[48:49], 1
	s_clause 0x1
	s_load_b32 s3, s[42:43], 0x0
	s_load_b32 s15, s[46:47], 0x0
	v_add_co_ci_u32_e32 v186, vcc_lo, s37, v196, vcc_lo
	v_add_co_u32 v191, vcc_lo, v195, s38
	v_add_co_ci_u32_e32 v192, vcc_lo, s39, v196, vcc_lo
	s_clause 0x17
	global_load_b128 v[121:124], v[17:18], off
	global_load_b128 v[125:128], v[17:18], off offset:16
	global_load_b128 v[113:116], v[19:20], off
	global_load_b128 v[117:120], v[19:20], off offset:16
	;; [unrolled: 2-line block ×12, first 2 shown]
	s_lshl_b64 s[40:41], s[50:51], 1
	s_delay_alu instid0(SALU_CYCLE_1)
	v_add_co_u32 v193, vcc_lo, v195, s40
	v_add_co_ci_u32_e32 v194, vcc_lo, s41, v196, vcc_lo
	s_waitcnt lgkmcnt(0)
	s_mul_hi_i32 s5, s3, s17
	s_mul_i32 s4, s3, s17
	s_mul_hi_i32 s7, s15, s17
	s_lshl_b64 s[4:5], s[4:5], 1
	s_mul_i32 s6, s15, s17
	s_waitcnt vmcnt(38)
	v_wmma_f32_16x16x16_bf16 v[183:190], v[1:8], v[159:166], v[137:144]
	s_waitcnt vmcnt(36)
	v_wmma_f32_16x16x16_bf16 v[137:144], v[129:136], v[159:166], v[137:144]
	s_clause 0x1
	global_load_b128 v[1:4], v[191:192], off
	global_load_b128 v[5:8], v[191:192], off offset:16
	ds_load_b128 v[129:132], v197 offset:2048
	ds_load_b128 v[133:136], v197 offset:3072
	;; [unrolled: 1-line block ×4, first 2 shown]
	v_add_co_u32 v191, vcc_lo, v195, s4
	v_add_co_ci_u32_e32 v192, vcc_lo, s5, v196, vcc_lo
	s_lshl_b64 s[4:5], s[6:7], 1
	s_delay_alu instid0(SALU_CYCLE_1)
	v_add_co_u32 v195, vcc_lo, v195, s4
	v_add_co_ci_u32_e32 v196, vcc_lo, s5, v196, vcc_lo
	s_waitcnt vmcnt(36) lgkmcnt(2)
	v_wmma_f32_16x16x16_bf16 v[183:190], v[33:40], v[129:136], v[183:190]
	s_waitcnt vmcnt(34)
	v_wmma_f32_16x16x16_bf16 v[137:144], v[25:32], v[129:136], v[137:144]
	s_clause 0x3
	global_load_b128 v[25:28], v[193:194], off
	global_load_b128 v[29:32], v[193:194], off offset:16
	global_load_b128 v[33:36], v[191:192], off
	global_load_b128 v[37:40], v[191:192], off offset:16
	v_and_b32_e32 v129, 0xe0, v0
	v_mbcnt_lo_u32_b32 v191, -1, 0
	s_waitcnt vmcnt(36) lgkmcnt(0)
	v_wmma_f32_16x16x16_bf16 v[183:190], v[9:16], v[159:166], v[183:190]
	s_clause 0x1
	global_load_b128 v[9:12], v[195:196], off
	global_load_b128 v[13:16], v[195:196], off offset:16
	s_waitcnt vmcnt(36)
	v_wmma_f32_16x16x16_bf16 v[137:144], v[151:158], v[159:166], v[137:144]
	v_add_nc_u32_e32 v192, s33, v129
	ds_load_b128 v[129:132], v197 offset:6144
	ds_load_b128 v[133:136], v197 offset:7168
	v_xor_b32_e32 v151, 16, v191
	s_waitcnt vmcnt(0) lgkmcnt(0)
	s_barrier
	v_or_b32_e32 v152, v192, v146
	buffer_gl0_inv
	v_cmp_gt_i32_e32 vcc_lo, 32, v151
	v_or_b32_e32 v153, 2, v152
	v_or_b32_e32 v154, 4, v152
	;; [unrolled: 1-line block ×5, first 2 shown]
	v_cmp_gt_i32_e64 s3, s30, v153
	v_or_b32_e32 v158, 12, v152
	v_cmp_gt_i32_e64 s4, s30, v154
	v_cmp_gt_i32_e64 s5, s30, v155
	v_or_b32_e32 v159, 14, v152
	v_cmp_gt_i32_e64 s6, s30, v156
	v_wmma_f32_16x16x16_bf16 v[183:190], v[167:174], v[129:136], v[183:190]
	v_wmma_f32_16x16x16_bf16 v[137:144], v[175:182], v[129:136], v[137:144]
	v_cndmask_b32_e32 v151, v191, v151, vcc_lo
	v_cmp_gt_i32_e32 vcc_lo, s30, v152
	v_cmp_gt_i32_e64 s7, s30, v157
	v_dual_mul_f32 v135, s35, v184 :: v_dual_mul_f32 v136, s35, v183
	v_mul_f32_e32 v134, s35, v185
	v_dual_mul_f32 v168, s35, v144 :: v_dual_mul_f32 v133, s35, v186
	s_delay_alu instid0(VALU_DEP_3) | instskip(NEXT) | instid1(VALU_DEP_4)
	v_cndmask_b32_e64 v135, 0xff7fffff, v135, s3
	v_cndmask_b32_e32 v136, 0xff7fffff, v136, vcc_lo
	v_dual_mul_f32 v131, s35, v188 :: v_dual_mul_f32 v174, s35, v138
	v_mul_f32_e32 v132, s35, v187
	v_cndmask_b32_e64 v134, 0xff7fffff, v134, s4
	s_delay_alu instid0(VALU_DEP_4)
	v_max3_f32 v135, v136, 0xff7fffff, v135
	v_cmp_gt_i32_e64 s8, s30, v158
	v_lshlrev_b32_e32 v158, 2, v151
	v_cndmask_b32_e64 v133, 0xff7fffff, v133, s5
	v_or_b32_e32 v160, 16, v152
	v_or_b32_e32 v161, 18, v152
	v_dual_mul_f32 v129, s35, v190 :: v_dual_mul_f32 v172, s35, v140
	v_mul_f32_e32 v130, s35, v189
	v_cndmask_b32_e64 v132, 0xff7fffff, v132, s6
	v_cndmask_b32_e64 v131, 0xff7fffff, v131, s7
	v_max3_f32 v133, v135, v134, v133
	v_cmp_gt_i32_e64 s9, s30, v159
	v_or_b32_e32 v162, 20, v152
	v_or_b32_e32 v163, 22, v152
	v_mul_f32_e32 v175, s35, v137
	v_cndmask_b32_e64 v130, 0xff7fffff, v130, s8
	v_cndmask_b32_e64 v129, 0xff7fffff, v129, s9
	v_max3_f32 v131, v133, v132, v131
	v_cmp_gt_i32_e64 s10, s30, v160
	v_cmp_gt_i32_e64 s11, s30, v161
	v_or_b32_e32 v164, 24, v152
	v_or_b32_e32 v165, 26, v152
	v_mul_f32_e32 v173, s35, v139
	v_cndmask_b32_e64 v132, 0xff7fffff, v175, s10
	v_cndmask_b32_e64 v133, 0xff7fffff, v174, s11
	v_max3_f32 v129, v131, v130, v129
	v_cmp_gt_i32_e64 s12, s30, v162
	v_cmp_gt_i32_e64 s13, s30, v163
	v_or_b32_e32 v166, 28, v152
	v_or_b32_e32 v167, 30, v152
	v_dual_mul_f32 v170, s35, v142 :: v_dual_mul_f32 v171, s35, v141
	v_cndmask_b32_e64 v130, 0xff7fffff, v173, s12
	v_cndmask_b32_e64 v131, 0xff7fffff, v172, s13
	v_max3_f32 v129, v129, v132, v133
	v_cmp_gt_i32_e64 s15, s30, v164
	v_cmp_gt_i32_e64 s16, s30, v165
	v_mul_f32_e32 v169, s35, v143
	v_cmp_gt_i32_e64 s17, s30, v166
	v_max3_f32 v129, v129, v130, v131
	v_cndmask_b32_e64 v132, 0xff7fffff, v171, s15
	v_cndmask_b32_e64 v133, 0xff7fffff, v170, s16
	v_cmp_gt_i32_e64 s18, s30, v167
	v_cndmask_b32_e64 v130, 0xff7fffff, v169, s17
	s_delay_alu instid0(VALU_DEP_3) | instskip(NEXT) | instid1(VALU_DEP_3)
	v_max3_f32 v129, v129, v132, v133
	v_cndmask_b32_e64 v131, 0xff7fffff, v168, s18
	s_delay_alu instid0(VALU_DEP_1) | instskip(SKIP_3) | instid1(VALU_DEP_1)
	v_max3_f32 v129, v129, v130, v131
	ds_bpermute_b32 v130, v158, v129
	s_waitcnt lgkmcnt(0)
	v_max_f32_e32 v130, v130, v130
	v_max_f32_e32 v129, v129, v130
	s_delay_alu instid0(VALU_DEP_1)
	v_fma_f32 v130, s35, v183, -v129
	v_fma_f32 v132, s35, v185, -v129
	;; [unrolled: 1-line block ×5, first 2 shown]
	v_mul_f32_e32 v130, 0x3fb8aa3b, v130
	v_mul_f32_e32 v132, 0x3fb8aa3b, v132
	v_fma_f32 v135, s35, v189, -v129
	v_mul_f32_e32 v134, 0x3fb8aa3b, v134
	s_delay_alu instid0(VALU_DEP_4) | instskip(NEXT) | instid1(VALU_DEP_3)
	v_exp_f32_e32 v130, v130
	v_exp_f32_e32 v132, v132
	s_delay_alu instid0(VALU_DEP_1) | instskip(NEXT) | instid1(TRANS32_DEP_3)
	v_exp_f32_e32 v134, v134
	v_cndmask_b32_e32 v152, 0, v130, vcc_lo
	v_fma_f32 v130, s35, v188, -v129
	v_mul_f32_e32 v131, 0x3fb8aa3b, v131
	s_waitcnt_depctr 0xfff
	v_cndmask_b32_e64 v153, 0, v132, s4
	v_fma_f32 v132, s35, v190, -v129
	v_dual_mul_f32 v133, 0x3fb8aa3b, v133 :: v_dual_mul_f32 v130, 0x3fb8aa3b, v130
	v_exp_f32_e32 v131, v131
	v_cndmask_b32_e64 v155, 0, v134, s6
	s_delay_alu instid0(VALU_DEP_3) | instskip(NEXT) | instid1(VALU_DEP_3)
	v_mul_f32_e32 v132, 0x3fb8aa3b, v132
	v_exp_f32_e32 v133, v133
	v_exp_f32_e32 v130, v130
	v_fma_f32 v134, s35, v138, -v129
	s_delay_alu instid0(VALU_DEP_2) | instskip(SKIP_1) | instid1(VALU_DEP_2)
	v_exp_f32_e32 v132, v132
	v_cndmask_b32_e64 v151, 0, v131, s3
	v_dual_add_f32 v131, 0, v152 :: v_dual_mul_f32 v134, 0x3fb8aa3b, v134
	s_delay_alu instid0(TRANS32_DEP_3)
	v_cndmask_b32_e64 v154, 0, v133, s5
	s_waitcnt_depctr 0xfff
	v_cndmask_b32_e64 v156, 0, v130, s7
	v_fma_f32 v133, s35, v137, -v129
	v_add_f32_e32 v131, v131, v151
	v_exp_f32_e32 v134, v134
	v_cmp_gt_u32_e64 s3, 16, v150
	s_delay_alu instid0(VALU_DEP_2) | instskip(NEXT) | instid1(VALU_DEP_1)
	v_add_f32_e32 v131, v131, v153
	v_add_f32_e32 v131, v131, v154
	s_delay_alu instid0(VALU_DEP_1) | instskip(SKIP_1) | instid1(VALU_DEP_2)
	v_dual_mul_f32 v133, 0x3fb8aa3b, v133 :: v_dual_add_f32 v130, v131, v155
	v_fma_f32 v131, s35, v139, -v129
	v_exp_f32_e32 v133, v133
	v_fma_f32 v139, s35, v144, -v129
	s_delay_alu instid0(VALU_DEP_3) | instskip(NEXT) | instid1(VALU_DEP_1)
	v_dual_add_f32 v130, v130, v156 :: v_dual_mul_f32 v135, 0x3fb8aa3b, v135
	v_exp_f32_e32 v135, v135
	s_waitcnt_depctr 0xfff
	v_cndmask_b32_e64 v157, 0, v135, s8
	v_fma_f32 v135, s35, v140, -v129
	v_cndmask_b32_e64 v140, 0, v132, s9
	v_fma_f32 v132, s35, v141, -v129
	s_delay_alu instid0(VALU_DEP_4) | instskip(NEXT) | instid1(VALU_DEP_1)
	v_add_f32_e32 v130, v130, v157
	v_add_f32_e32 v130, v130, v140
	s_delay_alu instid0(VALU_DEP_3) | instskip(SKIP_4) | instid1(VALU_DEP_3)
	v_mul_f32_e32 v137, 0x3fb8aa3b, v132
	v_cndmask_b32_e64 v132, 0, v134, s11
	v_mul_f32_e32 v131, 0x3fb8aa3b, v131
	v_fma_f32 v134, s35, v143, -v129
	v_mul_f32_e32 v135, 0x3fb8aa3b, v135
	v_exp_f32_e32 v136, v131
	v_cndmask_b32_e64 v131, 0, v133, s10
	v_fma_f32 v133, s35, v142, -v129
	s_delay_alu instid0(VALU_DEP_2) | instskip(NEXT) | instid1(VALU_DEP_2)
	v_add_f32_e32 v130, v130, v131
	v_mul_f32_e32 v138, 0x3fb8aa3b, v133
	v_exp_f32_e32 v137, v137
	s_waitcnt_depctr 0xfff
	v_cndmask_b32_e64 v133, 0, v136, s12
	v_mul_f32_e32 v136, 0x3fb8aa3b, v134
	v_exp_f32_e32 v135, v135
	v_add_f32_e32 v130, v130, v132
	v_exp_f32_e32 v138, v138
	s_delay_alu instid0(VALU_DEP_2) | instskip(NEXT) | instid1(VALU_DEP_1)
	v_exp_f32_e32 v141, v136
	v_add_f32_e32 v130, v130, v133
	s_delay_alu instid0(TRANS32_DEP_3)
	v_cndmask_b32_e64 v134, 0, v135, s13
	v_cndmask_b32_e64 v135, 0, v137, s15
	v_mul_f32_e32 v137, 0x3fb8aa3b, v139
	s_waitcnt_depctr 0xfff
	v_cndmask_b32_e64 v136, 0, v138, s16
	v_add_f32_e32 v130, v130, v134
	v_exp_f32_e32 v138, v137
	v_cndmask_b32_e64 v137, 0, v141, s17
	s_delay_alu instid0(VALU_DEP_2) | instskip(NEXT) | instid1(VALU_DEP_1)
	v_add_f32_e32 v130, v130, v135
	v_add_f32_e32 v130, v130, v136
	s_waitcnt_depctr 0xfff
	v_cndmask_b32_e64 v138, 0, v138, s18
	v_add_f32_e32 v130, v130, v137
	s_delay_alu instid0(VALU_DEP_1)
	v_add_f32_e32 v130, v130, v138
	ds_bpermute_b32 v139, v158, v130
	s_and_saveexec_b32 s4, s3
	s_cbranch_execz .LBB390_12
; %bb.11:
	v_mul_u32_u24_e32 v141, 0x44, v149
	s_delay_alu instid0(VALU_DEP_1) | instskip(SKIP_1) | instid1(VALU_DEP_1)
	v_lshl_add_u32 v141, v148, 2, v141
	s_waitcnt lgkmcnt(0)
	v_dual_add_f32 v130, v130, v139 :: v_dual_add_nc_u32 v139, 0x4000, v141
	ds_store_2addr_b32 v139, v129, v130 offset1:136
.LBB390_12:
	s_or_b32 exec_lo, exec_lo, s4
	v_lshlrev_b32_e32 v129, 2, v148
	s_waitcnt lgkmcnt(0)
	s_barrier
	buffer_gl0_inv
	v_cmp_eq_u32_e64 s4, 1, v149
	v_add_nc_u32_e32 v139, 0x4000, v129
	ds_load_2addr_b32 v[141:142], v139 offset1:17
	ds_load_2addr_b32 v[143:144], v139 offset0:34 offset1:51
	ds_load_2addr_b32 v[158:159], v139 offset0:68 offset1:85
	;; [unrolled: 1-line block ×4, first 2 shown]
	s_waitcnt lgkmcnt(4)
	v_max3_f32 v129, v141, 0xff7fffff, v142
	s_waitcnt lgkmcnt(3)
	s_delay_alu instid0(VALU_DEP_1) | instskip(SKIP_1) | instid1(VALU_DEP_1)
	v_max3_f32 v129, v129, v143, v144
	s_waitcnt lgkmcnt(2)
	v_max3_f32 v129, v129, v158, v159
	s_waitcnt lgkmcnt(1)
	s_delay_alu instid0(VALU_DEP_1) | instskip(NEXT) | instid1(VALU_DEP_1)
	v_max3_f32 v129, v129, v160, v161
	v_sub_f32_e32 v158, v158, v129
	s_delay_alu instid0(VALU_DEP_1) | instskip(NEXT) | instid1(VALU_DEP_1)
	v_dual_sub_f32 v150, v142, v129 :: v_dual_mul_f32 v167, 0x3fb8aa3b, v158
	v_dual_sub_f32 v143, v143, v129 :: v_dual_mul_f32 v150, 0x3fb8aa3b, v150
	s_delay_alu instid0(VALU_DEP_1) | instskip(NEXT) | instid1(VALU_DEP_2)
	v_dual_sub_f32 v130, v141, v129 :: v_dual_mul_f32 v165, 0x3fb8aa3b, v143
	v_exp_f32_e32 v150, v150
	s_delay_alu instid0(VALU_DEP_1) | instskip(NEXT) | instid1(VALU_DEP_2)
	v_mul_f32_e32 v130, 0x3fb8aa3b, v130
	v_exp_f32_e32 v165, v165
	s_delay_alu instid0(VALU_DEP_1) | instskip(SKIP_1) | instid1(VALU_DEP_1)
	v_exp_f32_e32 v164, v130
	v_sub_f32_e32 v130, v144, v129
	v_mul_f32_e32 v166, 0x3fb8aa3b, v130
	s_waitcnt lgkmcnt(0)
	s_waitcnt_depctr 0xfff
	v_fma_f32 v130, v164, v162, 0
	v_sub_f32_e32 v162, v159, v129
	s_delay_alu instid0(VALU_DEP_2)
	v_fmac_f32_e32 v130, v150, v163
	ds_load_2addr_b32 v[141:142], v139 offset0:170 offset1:187
	ds_load_2addr_b32 v[143:144], v139 offset0:204 offset1:221
	;; [unrolled: 1-line block ×3, first 2 shown]
	v_sub_f32_e32 v139, v160, v129
	v_exp_f32_e32 v166, v166
	v_mul_f32_e32 v160, 0x3fb8aa3b, v162
	v_exp_f32_e32 v162, v167
	v_cndmask_b32_e64 v150, v164, v150, s4
	v_mul_f32_e32 v139, 0x3fb8aa3b, v139
	v_cmp_eq_u32_e64 s4, 2, v149
	s_waitcnt lgkmcnt(0)
	s_barrier
	buffer_gl0_inv
	v_exp_f32_e32 v139, v139
	v_cndmask_b32_e64 v150, v150, v165, s4
	v_cmp_eq_u32_e64 s4, 3, v149
	v_fmac_f32_e32 v130, v165, v141
	v_sub_f32_e32 v141, v161, v129
	v_exp_f32_e32 v160, v160
	s_delay_alu instid0(VALU_DEP_3) | instskip(SKIP_1) | instid1(VALU_DEP_3)
	v_cndmask_b32_e64 v150, v150, v166, s4
	v_cmp_eq_u32_e64 s4, 4, v149
	v_dual_fmac_f32 v130, v166, v142 :: v_dual_mul_f32 v141, 0x3fb8aa3b, v141
	s_delay_alu instid0(VALU_DEP_2) | instskip(SKIP_1) | instid1(VALU_DEP_3)
	v_cndmask_b32_e64 v150, v150, v162, s4
	v_cmp_eq_u32_e64 s4, 5, v149
	v_exp_f32_e32 v141, v141
	s_delay_alu instid0(VALU_DEP_3)
	v_fmac_f32_e32 v130, v162, v143
	s_delay_alu instid0(TRANS32_DEP_2) | instid1(VALU_DEP_2)
	v_cndmask_b32_e64 v150, v150, v160, s4
	s_delay_alu instid0(VALU_DEP_2) | instskip(NEXT) | instid1(VALU_DEP_1)
	v_fmac_f32_e32 v130, v160, v144
	v_fmac_f32_e32 v130, v139, v158
	s_waitcnt_depctr 0xfff
	v_fmac_f32_e32 v130, v141, v159
	s_delay_alu instid0(VALU_DEP_1) | instskip(NEXT) | instid1(VALU_DEP_1)
	v_add_f32_e32 v142, 0x358637bd, v130
	v_div_scale_f32 v143, null, v142, v142, 1.0
	v_div_scale_f32 v159, vcc_lo, 1.0, v142, 1.0
	s_delay_alu instid0(VALU_DEP_2) | instskip(SKIP_2) | instid1(VALU_DEP_1)
	v_rcp_f32_e32 v144, v143
	s_waitcnt_depctr 0xfff
	v_fma_f32 v158, -v143, v144, 1.0
	v_fmac_f32_e32 v144, v158, v144
	s_delay_alu instid0(VALU_DEP_1) | instskip(NEXT) | instid1(VALU_DEP_1)
	v_mul_f32_e32 v158, v159, v144
	v_fma_f32 v161, -v143, v158, v159
	s_delay_alu instid0(VALU_DEP_1) | instskip(NEXT) | instid1(VALU_DEP_1)
	v_fmac_f32_e32 v158, v161, v144
	v_fma_f32 v143, -v143, v158, v159
	s_delay_alu instid0(VALU_DEP_1) | instskip(SKIP_1) | instid1(VALU_DEP_2)
	v_div_fmas_f32 v143, v143, v144, v158
	v_cmp_eq_u32_e32 vcc_lo, 6, v149
	v_div_fixup_f32 v142, v143, v142, 1.0
	v_cndmask_b32_e32 v139, v150, v139, vcc_lo
	v_cmp_eq_u32_e32 vcc_lo, 7, v149
	s_delay_alu instid0(VALU_DEP_2) | instskip(NEXT) | instid1(VALU_DEP_1)
	v_cndmask_b32_e32 v139, v139, v141, vcc_lo
	v_mul_f32_e32 v139, v139, v142
	s_delay_alu instid0(VALU_DEP_1) | instskip(SKIP_4) | instid1(VALU_DEP_4)
	v_mul_f32_e32 v153, v139, v153
	v_mul_f32_e32 v142, v139, v152
	;; [unrolled: 1-line block ×5, first 2 shown]
	v_dual_mul_f32 v152, v139, v155 :: v_dual_and_b32 v141, 0x7f800000, v142
	v_mul_f32_e32 v154, v139, v154
	v_mul_f32_e32 v144, v139, v151
	s_delay_alu instid0(VALU_DEP_3) | instskip(SKIP_1) | instid1(SALU_CYCLE_1)
	v_cmp_ne_u32_e32 vcc_lo, 0x7f800000, v141
                                        ; implicit-def: $vgpr141
	s_and_saveexec_b32 s4, vcc_lo
	s_xor_b32 s4, exec_lo, s4
; %bb.13:
	v_bfe_u32 v141, v142, 16, 1
	s_delay_alu instid0(VALU_DEP_1)
	v_add3_u32 v141, v142, v141, 0x7fff
                                        ; implicit-def: $vgpr142
; %bb.14:
	s_and_not1_saveexec_b32 s4, s4
; %bb.15:
	v_and_b32_e32 v141, 0xffff, v142
	v_or_b32_e32 v151, 0x10000, v142
	s_delay_alu instid0(VALU_DEP_2) | instskip(NEXT) | instid1(VALU_DEP_2)
	v_cmp_eq_u32_e32 vcc_lo, 0, v141
	v_cndmask_b32_e32 v141, v151, v142, vcc_lo
; %bb.16:
	s_or_b32 exec_lo, exec_lo, s4
	v_and_b32_e32 v142, 0x7f800000, v144
	s_delay_alu instid0(VALU_DEP_1) | instskip(SKIP_1) | instid1(SALU_CYCLE_1)
	v_cmp_ne_u32_e32 vcc_lo, 0x7f800000, v142
                                        ; implicit-def: $vgpr142
	s_and_saveexec_b32 s4, vcc_lo
	s_xor_b32 s4, exec_lo, s4
; %bb.17:
	v_bfe_u32 v142, v144, 16, 1
	s_delay_alu instid0(VALU_DEP_1)
	v_add3_u32 v142, v144, v142, 0x7fff
                                        ; implicit-def: $vgpr144
; %bb.18:
	s_and_not1_saveexec_b32 s4, s4
; %bb.19:
	v_and_b32_e32 v142, 0xffff, v144
	v_or_b32_e32 v151, 0x10000, v144
	s_delay_alu instid0(VALU_DEP_2) | instskip(NEXT) | instid1(VALU_DEP_2)
	v_cmp_eq_u32_e32 vcc_lo, 0, v142
	v_cndmask_b32_e32 v142, v151, v144, vcc_lo
; %bb.20:
	s_or_b32 exec_lo, exec_lo, s4
	v_and_b32_e32 v144, 0x7f800000, v153
	s_delay_alu instid0(VALU_DEP_1) | instskip(SKIP_1) | instid1(SALU_CYCLE_1)
	v_cmp_ne_u32_e32 vcc_lo, 0x7f800000, v144
                                        ; implicit-def: $vgpr144
	s_and_saveexec_b32 s4, vcc_lo
	s_xor_b32 s4, exec_lo, s4
; %bb.21:
	v_bfe_u32 v144, v153, 16, 1
	s_delay_alu instid0(VALU_DEP_1)
	v_add3_u32 v144, v153, v144, 0x7fff
                                        ; implicit-def: $vgpr153
; %bb.22:
	s_and_not1_saveexec_b32 s4, s4
; %bb.23:
	v_and_b32_e32 v144, 0xffff, v153
	v_or_b32_e32 v151, 0x10000, v153
	s_delay_alu instid0(VALU_DEP_2) | instskip(NEXT) | instid1(VALU_DEP_2)
	v_cmp_eq_u32_e32 vcc_lo, 0, v144
	v_cndmask_b32_e32 v144, v151, v153, vcc_lo
; %bb.24:
	s_or_b32 exec_lo, exec_lo, s4
	v_and_b32_e32 v151, 0x7f800000, v154
	s_delay_alu instid0(VALU_DEP_1) | instskip(SKIP_1) | instid1(SALU_CYCLE_1)
	v_cmp_ne_u32_e32 vcc_lo, 0x7f800000, v151
                                        ; implicit-def: $vgpr151
	s_and_saveexec_b32 s4, vcc_lo
	s_xor_b32 s4, exec_lo, s4
; %bb.25:
	v_bfe_u32 v151, v154, 16, 1
	s_delay_alu instid0(VALU_DEP_1)
	v_add3_u32 v151, v154, v151, 0x7fff
                                        ; implicit-def: $vgpr154
; %bb.26:
	s_and_not1_saveexec_b32 s4, s4
; %bb.27:
	v_and_b32_e32 v151, 0xffff, v154
	v_or_b32_e32 v153, 0x10000, v154
	s_delay_alu instid0(VALU_DEP_2) | instskip(NEXT) | instid1(VALU_DEP_2)
	v_cmp_eq_u32_e32 vcc_lo, 0, v151
	v_cndmask_b32_e32 v151, v153, v154, vcc_lo
; %bb.28:
	s_or_b32 exec_lo, exec_lo, s4
	v_and_b32_e32 v153, 0x7f800000, v152
	s_delay_alu instid0(VALU_DEP_1) | instskip(SKIP_1) | instid1(SALU_CYCLE_1)
	v_cmp_ne_u32_e32 vcc_lo, 0x7f800000, v153
                                        ; implicit-def: $vgpr153
	s_and_saveexec_b32 s4, vcc_lo
	s_xor_b32 s4, exec_lo, s4
; %bb.29:
	v_bfe_u32 v153, v152, 16, 1
	s_delay_alu instid0(VALU_DEP_1)
	v_add3_u32 v153, v152, v153, 0x7fff
                                        ; implicit-def: $vgpr152
; %bb.30:
	s_and_not1_saveexec_b32 s4, s4
; %bb.31:
	v_and_b32_e32 v153, 0xffff, v152
	v_or_b32_e32 v154, 0x10000, v152
	s_delay_alu instid0(VALU_DEP_2) | instskip(NEXT) | instid1(VALU_DEP_2)
	v_cmp_eq_u32_e32 vcc_lo, 0, v153
	v_cndmask_b32_e32 v153, v154, v152, vcc_lo
; %bb.32:
	s_or_b32 exec_lo, exec_lo, s4
	v_and_b32_e32 v152, 0x7f800000, v150
	s_delay_alu instid0(VALU_DEP_1) | instskip(SKIP_1) | instid1(SALU_CYCLE_1)
	v_cmp_ne_u32_e32 vcc_lo, 0x7f800000, v152
                                        ; implicit-def: $vgpr152
	s_and_saveexec_b32 s4, vcc_lo
	s_xor_b32 s4, exec_lo, s4
; %bb.33:
	v_bfe_u32 v152, v150, 16, 1
	s_delay_alu instid0(VALU_DEP_1)
	v_add3_u32 v152, v150, v152, 0x7fff
                                        ; implicit-def: $vgpr150
; %bb.34:
	s_and_not1_saveexec_b32 s4, s4
; %bb.35:
	v_and_b32_e32 v152, 0xffff, v150
	v_or_b32_e32 v154, 0x10000, v150
	s_delay_alu instid0(VALU_DEP_2) | instskip(NEXT) | instid1(VALU_DEP_2)
	v_cmp_eq_u32_e32 vcc_lo, 0, v152
	v_cndmask_b32_e32 v152, v154, v150, vcc_lo
; %bb.36:
	s_or_b32 exec_lo, exec_lo, s4
	v_and_b32_e32 v150, 0x7f800000, v143
	s_delay_alu instid0(VALU_DEP_1) | instskip(SKIP_1) | instid1(SALU_CYCLE_1)
	v_cmp_ne_u32_e32 vcc_lo, 0x7f800000, v150
                                        ; implicit-def: $vgpr150
	s_and_saveexec_b32 s4, vcc_lo
	s_xor_b32 s4, exec_lo, s4
; %bb.37:
	v_bfe_u32 v150, v143, 16, 1
	s_delay_alu instid0(VALU_DEP_1)
	v_add3_u32 v150, v143, v150, 0x7fff
                                        ; implicit-def: $vgpr143
; %bb.38:
	s_and_not1_saveexec_b32 s4, s4
; %bb.39:
	v_and_b32_e32 v150, 0xffff, v143
	v_or_b32_e32 v154, 0x10000, v143
	s_delay_alu instid0(VALU_DEP_2) | instskip(NEXT) | instid1(VALU_DEP_2)
	v_cmp_eq_u32_e32 vcc_lo, 0, v150
	v_cndmask_b32_e32 v150, v154, v143, vcc_lo
; %bb.40:
	s_or_b32 exec_lo, exec_lo, s4
	v_and_b32_e32 v143, 0x7f800000, v140
	s_delay_alu instid0(VALU_DEP_1) | instskip(SKIP_1) | instid1(SALU_CYCLE_1)
	v_cmp_ne_u32_e32 vcc_lo, 0x7f800000, v143
                                        ; implicit-def: $vgpr143
	s_and_saveexec_b32 s4, vcc_lo
	s_xor_b32 s4, exec_lo, s4
; %bb.41:
	v_bfe_u32 v143, v140, 16, 1
	s_delay_alu instid0(VALU_DEP_1)
	v_add3_u32 v143, v140, v143, 0x7fff
                                        ; implicit-def: $vgpr140
; %bb.42:
	s_and_not1_saveexec_b32 s4, s4
; %bb.43:
	v_and_b32_e32 v143, 0xffff, v140
	v_or_b32_e32 v154, 0x10000, v140
	s_delay_alu instid0(VALU_DEP_2) | instskip(NEXT) | instid1(VALU_DEP_2)
	v_cmp_eq_u32_e32 vcc_lo, 0, v143
	v_cndmask_b32_e32 v143, v154, v140, vcc_lo
; %bb.44:
	s_or_b32 exec_lo, exec_lo, s4
	s_load_b64 s[36:37], s[0:1], 0x94
	v_dual_mul_f32 v136, v139, v136 :: v_dual_lshlrev_b32 v155, 4, v146
	s_delay_alu instid0(VALU_DEP_2)
	v_perm_b32 v154, v143, v150, 0x7060302
	v_dual_mul_f32 v143, v139, v131 :: v_dual_lshlrev_b32 v140, 6, v148
	v_dual_mul_f32 v135, v139, v135 :: v_dual_lshlrev_b32 v150, 11, v149
	v_perm_b32 v153, v152, v153, 0x7060302
	v_perm_b32 v152, v151, v144, 0x7060302
	;; [unrolled: 1-line block ×3, first 2 shown]
	s_delay_alu instid0(VALU_DEP_4)
	v_or3_b32 v131, v155, v150, v140
	v_mul_f32_e32 v138, v139, v138
	v_dual_mul_f32 v137, v139, v137 :: v_dual_and_b32 v144, 0x7f800000, v143
	v_mul_f32_e32 v141, v139, v134
	v_mul_f32_e32 v142, v139, v133
	;; [unrolled: 1-line block ×3, first 2 shown]
	s_mov_b32 s4, exec_lo
	ds_store_b128 v131, v[151:154]
                                        ; implicit-def: $vgpr132
	v_cmpx_ne_u32_e32 0x7f800000, v144
	s_xor_b32 s4, exec_lo, s4
; %bb.45:
	v_bfe_u32 v132, v143, 16, 1
	s_delay_alu instid0(VALU_DEP_1)
	v_add3_u32 v132, v143, v132, 0x7fff
                                        ; implicit-def: $vgpr143
; %bb.46:
	s_and_not1_saveexec_b32 s4, s4
; %bb.47:
	v_and_b32_e32 v132, 0xffff, v143
	v_or_b32_e32 v133, 0x10000, v143
	s_delay_alu instid0(VALU_DEP_2) | instskip(NEXT) | instid1(VALU_DEP_2)
	v_cmp_eq_u32_e32 vcc_lo, 0, v132
	v_cndmask_b32_e32 v132, v133, v143, vcc_lo
; %bb.48:
	s_or_b32 exec_lo, exec_lo, s4
	v_and_b32_e32 v133, 0x7f800000, v134
	s_delay_alu instid0(VALU_DEP_1) | instskip(SKIP_1) | instid1(SALU_CYCLE_1)
	v_cmp_ne_u32_e32 vcc_lo, 0x7f800000, v133
                                        ; implicit-def: $vgpr133
	s_and_saveexec_b32 s4, vcc_lo
	s_xor_b32 s4, exec_lo, s4
; %bb.49:
	v_bfe_u32 v133, v134, 16, 1
	s_delay_alu instid0(VALU_DEP_1)
	v_add3_u32 v133, v134, v133, 0x7fff
                                        ; implicit-def: $vgpr134
; %bb.50:
	s_and_not1_saveexec_b32 s4, s4
; %bb.51:
	v_and_b32_e32 v133, 0xffff, v134
	v_or_b32_e32 v139, 0x10000, v134
	s_delay_alu instid0(VALU_DEP_2) | instskip(NEXT) | instid1(VALU_DEP_2)
	v_cmp_eq_u32_e32 vcc_lo, 0, v133
	v_cndmask_b32_e32 v133, v139, v134, vcc_lo
; %bb.52:
	s_or_b32 exec_lo, exec_lo, s4
	v_and_b32_e32 v134, 0x7f800000, v142
	s_delay_alu instid0(VALU_DEP_1) | instskip(SKIP_1) | instid1(SALU_CYCLE_1)
	v_cmp_ne_u32_e32 vcc_lo, 0x7f800000, v134
                                        ; implicit-def: $vgpr134
	s_and_saveexec_b32 s4, vcc_lo
	s_xor_b32 s4, exec_lo, s4
; %bb.53:
	v_bfe_u32 v134, v142, 16, 1
	s_delay_alu instid0(VALU_DEP_1)
	v_add3_u32 v134, v142, v134, 0x7fff
                                        ; implicit-def: $vgpr142
; %bb.54:
	s_and_not1_saveexec_b32 s4, s4
; %bb.55:
	v_and_b32_e32 v134, 0xffff, v142
	v_or_b32_e32 v139, 0x10000, v142
	s_delay_alu instid0(VALU_DEP_2) | instskip(NEXT) | instid1(VALU_DEP_2)
	v_cmp_eq_u32_e32 vcc_lo, 0, v134
	v_cndmask_b32_e32 v134, v139, v142, vcc_lo
; %bb.56:
	s_or_b32 exec_lo, exec_lo, s4
	v_and_b32_e32 v139, 0x7f800000, v141
	s_delay_alu instid0(VALU_DEP_1) | instskip(SKIP_1) | instid1(SALU_CYCLE_1)
	v_cmp_ne_u32_e32 vcc_lo, 0x7f800000, v139
                                        ; implicit-def: $vgpr139
	s_and_saveexec_b32 s4, vcc_lo
	s_xor_b32 s4, exec_lo, s4
; %bb.57:
	v_bfe_u32 v139, v141, 16, 1
	s_delay_alu instid0(VALU_DEP_1)
	v_add3_u32 v139, v141, v139, 0x7fff
                                        ; implicit-def: $vgpr141
; %bb.58:
	s_and_not1_saveexec_b32 s4, s4
; %bb.59:
	v_and_b32_e32 v139, 0xffff, v141
	v_or_b32_e32 v142, 0x10000, v141
	s_delay_alu instid0(VALU_DEP_2) | instskip(NEXT) | instid1(VALU_DEP_2)
	v_cmp_eq_u32_e32 vcc_lo, 0, v139
	v_cndmask_b32_e32 v139, v142, v141, vcc_lo
; %bb.60:
	s_or_b32 exec_lo, exec_lo, s4
	v_and_b32_e32 v141, 0x7f800000, v135
	s_delay_alu instid0(VALU_DEP_1) | instskip(SKIP_1) | instid1(SALU_CYCLE_1)
	v_cmp_ne_u32_e32 vcc_lo, 0x7f800000, v141
                                        ; implicit-def: $vgpr141
	s_and_saveexec_b32 s4, vcc_lo
	s_xor_b32 s4, exec_lo, s4
; %bb.61:
	v_bfe_u32 v141, v135, 16, 1
	s_delay_alu instid0(VALU_DEP_1)
	v_add3_u32 v141, v135, v141, 0x7fff
                                        ; implicit-def: $vgpr135
; %bb.62:
	s_and_not1_saveexec_b32 s4, s4
; %bb.63:
	v_and_b32_e32 v141, 0xffff, v135
	v_or_b32_e32 v142, 0x10000, v135
	s_delay_alu instid0(VALU_DEP_2) | instskip(NEXT) | instid1(VALU_DEP_2)
	v_cmp_eq_u32_e32 vcc_lo, 0, v141
	v_cndmask_b32_e32 v141, v142, v135, vcc_lo
; %bb.64:
	s_or_b32 exec_lo, exec_lo, s4
	v_and_b32_e32 v135, 0x7f800000, v136
	s_delay_alu instid0(VALU_DEP_1) | instskip(SKIP_1) | instid1(SALU_CYCLE_1)
	v_cmp_ne_u32_e32 vcc_lo, 0x7f800000, v135
                                        ; implicit-def: $vgpr135
	s_and_saveexec_b32 s4, vcc_lo
	s_xor_b32 s4, exec_lo, s4
; %bb.65:
	v_bfe_u32 v135, v136, 16, 1
	s_delay_alu instid0(VALU_DEP_1)
	v_add3_u32 v135, v136, v135, 0x7fff
                                        ; implicit-def: $vgpr136
; %bb.66:
	s_and_not1_saveexec_b32 s4, s4
; %bb.67:
	v_and_b32_e32 v135, 0xffff, v136
	v_or_b32_e32 v142, 0x10000, v136
	s_delay_alu instid0(VALU_DEP_2) | instskip(NEXT) | instid1(VALU_DEP_2)
	v_cmp_eq_u32_e32 vcc_lo, 0, v135
	v_cndmask_b32_e32 v135, v142, v136, vcc_lo
; %bb.68:
	s_or_b32 exec_lo, exec_lo, s4
	v_and_b32_e32 v136, 0x7f800000, v137
	s_delay_alu instid0(VALU_DEP_1) | instskip(SKIP_1) | instid1(SALU_CYCLE_1)
	v_cmp_ne_u32_e32 vcc_lo, 0x7f800000, v136
                                        ; implicit-def: $vgpr136
	s_and_saveexec_b32 s4, vcc_lo
	s_xor_b32 s4, exec_lo, s4
; %bb.69:
	v_bfe_u32 v136, v137, 16, 1
	s_delay_alu instid0(VALU_DEP_1)
	v_add3_u32 v136, v137, v136, 0x7fff
                                        ; implicit-def: $vgpr137
; %bb.70:
	s_and_not1_saveexec_b32 s4, s4
; %bb.71:
	v_and_b32_e32 v136, 0xffff, v137
	v_or_b32_e32 v142, 0x10000, v137
	s_delay_alu instid0(VALU_DEP_2) | instskip(NEXT) | instid1(VALU_DEP_2)
	v_cmp_eq_u32_e32 vcc_lo, 0, v136
	v_cndmask_b32_e32 v136, v142, v137, vcc_lo
; %bb.72:
	s_or_b32 exec_lo, exec_lo, s4
	v_and_b32_e32 v137, 0x7f800000, v138
	s_delay_alu instid0(VALU_DEP_1) | instskip(SKIP_1) | instid1(SALU_CYCLE_1)
	v_cmp_ne_u32_e32 vcc_lo, 0x7f800000, v137
                                        ; implicit-def: $vgpr137
	s_and_saveexec_b32 s4, vcc_lo
	s_xor_b32 s4, exec_lo, s4
; %bb.73:
	v_bfe_u32 v137, v138, 16, 1
	s_delay_alu instid0(VALU_DEP_1)
	v_add3_u32 v137, v138, v137, 0x7fff
                                        ; implicit-def: $vgpr138
; %bb.74:
	s_and_not1_saveexec_b32 s4, s4
; %bb.75:
	v_and_b32_e32 v137, 0xffff, v138
	v_or_b32_e32 v142, 0x10000, v138
	s_delay_alu instid0(VALU_DEP_2) | instskip(NEXT) | instid1(VALU_DEP_2)
	v_cmp_eq_u32_e32 vcc_lo, 0, v137
	v_cndmask_b32_e32 v137, v142, v138, vcc_lo
; %bb.76:
	s_or_b32 exec_lo, exec_lo, s4
	s_delay_alu instid0(VALU_DEP_1)
	v_perm_b32 v136, v137, v136, 0x7060302
	v_perm_b32 v135, v135, v141, 0x7060302
	;; [unrolled: 1-line block ×4, first 2 shown]
	v_lshl_or_b32 v141, v149, 11, v140
	ds_store_b128 v131, v[133:136] offset:1024
	s_waitcnt lgkmcnt(0)
	s_barrier
	buffer_gl0_inv
	ds_load_b128 v[132:135], v141
	ds_load_b128 v[149:152], v141 offset:16
	s_waitcnt lgkmcnt(1)
	v_lshrrev_b32_e32 v136, 16, v132
	s_waitcnt lgkmcnt(0)
	v_lshrrev_b32_e32 v164, 16, v151
	v_lshlrev_b32_e32 v138, 2, v146
	v_lshrrev_b32_e32 v143, 16, v149
	v_lshrrev_b32_e32 v162, 16, v150
	;; [unrolled: 1-line block ×4, first 2 shown]
	v_or_b32_e32 v139, 1, v138
	v_lshrrev_b32_e32 v165, 16, v152
	v_lshrrev_b32_e32 v163, 16, v135
	s_delay_alu instid0(VALU_DEP_3)
	v_cmp_eq_u32_e64 s8, 1, v139
	v_cmp_eq_u32_e64 s7, 2, v139
	;; [unrolled: 1-line block ×4, first 2 shown]
	v_cmp_eq_u32_e32 vcc_lo, 5, v139
	v_cndmask_b32_e64 v155, v149, v143, s8
	v_cndmask_b32_e64 v154, v132, v136, s8
	v_cmp_eq_u32_e64 s5, 6, v139
	v_cmp_eq_u32_e64 s20, 7, v139
	s_delay_alu instid0(VALU_DEP_4) | instskip(NEXT) | instid1(VALU_DEP_4)
	v_cndmask_b32_e64 v155, v155, v150, s7
	v_cndmask_b32_e64 v154, v154, v133, s7
	s_delay_alu instid0(VALU_DEP_2) | instskip(NEXT) | instid1(VALU_DEP_2)
	v_cndmask_b32_e64 v155, v155, v162, s6
	v_cndmask_b32_e64 v154, v154, v144, s6
	s_delay_alu instid0(VALU_DEP_2) | instskip(NEXT) | instid1(VALU_DEP_2)
	v_cndmask_b32_e64 v155, v155, v151, s4
	v_cndmask_b32_e64 v154, v154, v134, s4
	s_delay_alu instid0(VALU_DEP_2)
	v_cndmask_b32_e32 v157, v155, v164, vcc_lo
	v_cmp_eq_u32_e64 s13, 1, v138
	v_cmp_eq_u32_e64 s12, 2, v138
	;; [unrolled: 1-line block ×3, first 2 shown]
	v_or_b32_e32 v137, 2, v138
	v_cmp_eq_u32_e64 s18, 4, v138
	v_cndmask_b32_e64 v153, v149, v143, s13
	v_cndmask_b32_e64 v142, v132, v136, s13
	v_cmp_eq_u32_e64 s15, 5, v138
	v_cmp_eq_u32_e64 s9, 1, v137
	;; [unrolled: 1-line block ×3, first 2 shown]
	v_cndmask_b32_e64 v153, v153, v150, s12
	v_cndmask_b32_e64 v142, v142, v133, s12
	v_cmp_eq_u32_e64 s11, 2, v137
	v_cndmask_b32_e64 v156, v132, v136, s9
	v_cndmask_b32_e32 v154, v154, v161, vcc_lo
	v_cndmask_b32_e64 v153, v153, v162, s17
	v_cndmask_b32_e64 v142, v142, v144, s17
	v_cmp_eq_u32_e64 s10, 7, v138
	v_cndmask_b32_e64 v156, v156, v133, s11
	v_cmp_eq_u32_e64 s19, 3, v137
	v_cndmask_b32_e64 v153, v153, v151, s18
	v_cndmask_b32_e64 v142, v142, v134, s18
	;; [unrolled: 1-line block ×3, first 2 shown]
	v_cmp_eq_u32_e64 s21, 4, v137
	v_cndmask_b32_e64 v156, v156, v144, s19
	v_cndmask_b32_e64 v153, v153, v164, s15
	;; [unrolled: 1-line block ×4, first 2 shown]
	v_cmp_eq_u32_e64 s23, 5, v137
	v_cndmask_b32_e64 v159, v156, v134, s21
	v_cndmask_b32_e64 v153, v153, v152, s16
	;; [unrolled: 1-line block ×3, first 2 shown]
	v_cmp_eq_u32_e64 s26, 6, v137
	v_cmp_eq_u32_e64 s28, 7, v137
	v_cndmask_b32_e64 v169, v159, v161, s23
	v_cndmask_b32_e64 v167, v153, v165, s10
	;; [unrolled: 1-line block ×4, first 2 shown]
	v_or_b32_e32 v142, 3, v138
	s_delay_alu instid0(VALU_DEP_3)
	v_cndmask_b32_e64 v158, v153, v150, s11
	ds_load_b128 v[153:156], v141 offset:1024
	v_cmp_eq_u32_e64 s22, 1, v142
	v_cmp_eq_u32_e64 s24, 2, v142
	;; [unrolled: 1-line block ×3, first 2 shown]
	v_cndmask_b32_e64 v158, v158, v162, s19
	v_cmp_eq_u32_e64 s27, 4, v142
	v_cndmask_b32_e64 v132, v132, v136, s22
	v_cndmask_b32_e64 v136, v157, v152, s5
	;; [unrolled: 1-line block ×4, first 2 shown]
	ds_load_b128 v[157:160], v141 offset:1040
	v_cndmask_b32_e64 v132, v132, v133, s24
	v_cmp_eq_u32_e64 s29, 5, v142
	v_cndmask_b32_e64 v143, v143, v150, s24
	v_cmp_eq_u32_e64 s30, 6, v142
	v_cndmask_b32_e64 v133, v170, v164, s23
	v_cndmask_b32_e64 v132, v132, v144, s25
	;; [unrolled: 1-line block ×5, first 2 shown]
	s_waitcnt lgkmcnt(1)
	v_lshrrev_b32_e32 v149, 16, v153
	v_cndmask_b32_e64 v132, v132, v134, s27
	v_cndmask_b32_e64 v133, v133, v152, s26
	;; [unrolled: 1-line block ×3, first 2 shown]
	v_lshrrev_b32_e32 v151, 16, v154
	v_cndmask_b32_e64 v143, v153, v149, s13
	v_cndmask_b32_e64 v132, v132, v161, s29
	;; [unrolled: 1-line block ×5, first 2 shown]
	s_waitcnt lgkmcnt(0)
	v_lshrrev_b32_e32 v150, 16, v157
	v_cndmask_b32_e64 v143, v143, v154, s12
	v_cndmask_b32_e64 v132, v132, v135, s30
	;; [unrolled: 1-line block ×3, first 2 shown]
	v_lshrrev_b32_e32 v164, 16, v159
	v_cndmask_b32_e64 v162, v157, v150, s13
	v_cndmask_b32_e64 v135, v143, v151, s17
	;; [unrolled: 1-line block ×3, first 2 shown]
	v_lshrrev_b32_e32 v161, 16, v158
	v_cndmask_b32_e64 v133, v133, v165, s28
	v_cndmask_b32_e64 v152, v162, v158, s12
	v_cmp_eq_u32_e64 s12, 7, v142
	v_cndmask_b32_e64 v143, v143, v151, s6
	v_cndmask_b32_e64 v135, v135, v155, s18
	v_lshrrev_b32_e32 v162, 16, v155
	v_cndmask_b32_e64 v152, v152, v161, s17
	v_cndmask_b32_e64 v132, v132, v163, s12
	;; [unrolled: 1-line block ×6, first 2 shown]
	s_delay_alu instid0(VALU_DEP_4) | instskip(NEXT) | instid1(VALU_DEP_4)
	v_perm_b32 v135, v134, v132, 0x5040100
	v_cndmask_b32_e32 v132, v143, v162, vcc_lo
	s_delay_alu instid0(VALU_DEP_4)
	v_cndmask_b32_e64 v143, v163, v156, s16
	v_lshrrev_b32_e32 v163, 16, v156
	v_cndmask_b32_e64 v152, v152, v164, s15
	v_perm_b32 v134, v133, v144, 0x5040100
	v_cndmask_b32_e64 v132, v132, v156, s5
	v_perm_b32 v133, v136, v168, 0x5040100
	v_cndmask_b32_e64 v136, v143, v163, s10
	v_cndmask_b32_e64 v143, v152, v160, s16
	v_cndmask_b32_e64 v152, v157, v150, s22
	v_cndmask_b32_e64 v165, v132, v163, s20
	v_cndmask_b32_e64 v132, v153, v149, s9
	v_cndmask_b32_e64 v149, v153, v149, s22
	v_cndmask_b32_e64 v153, v157, v150, s9
	v_cndmask_b32_e64 v150, v157, v150, s8
	v_cndmask_b32_e64 v152, v152, v158, s24
	v_cndmask_b32_e64 v132, v132, v154, s11
	v_cndmask_b32_e64 v149, v149, v154, s24
	v_cndmask_b32_e64 v153, v153, v158, s11
	v_cndmask_b32_e64 v150, v150, v158, s7
	v_lshrrev_b32_e32 v144, 16, v160
	v_cndmask_b32_e64 v132, v132, v151, s19
	v_cndmask_b32_e64 v149, v149, v151, s25
	;; [unrolled: 1-line block ×14, first 2 shown]
	v_cndmask_b32_e32 v150, v150, v164, vcc_lo
	v_cndmask_b32_e64 v132, v132, v156, s26
	v_cndmask_b32_e64 v149, v149, v156, s30
	;; [unrolled: 1-line block ×11, first 2 shown]
	v_perm_b32 v132, v167, v166, 0x5040100
	v_perm_b32 v152, v151, v149, 0x5040100
	;; [unrolled: 1-line block ×5, first 2 shown]
	s_mul_i32 s9, s37, 5
	s_mov_b32 s4, exec_lo
	ds_store_b128 v131, v[132:135]
	ds_store_b128 v131, v[149:152] offset:1024
	v_cmpx_gt_u32_e32 5, v0
	s_cbranch_execz .LBB390_78
; %bb.77:
	s_mul_i32 s5, s9, s34
	s_load_b128 s[16:19], s[0:1], 0x58
	v_add3_u32 v133, s5, s31, v148
	s_delay_alu instid0(VALU_DEP_1) | instskip(NEXT) | instid1(VALU_DEP_1)
	v_mad_u64_u32 v[131:132], null, v133, s36, s[14:15]
	v_ashrrev_i32_e32 v132, 31, v131
	s_delay_alu instid0(VALU_DEP_1) | instskip(SKIP_1) | instid1(VALU_DEP_1)
	v_lshlrev_b64 v[131:132], 2, v[131:132]
	s_waitcnt lgkmcnt(0)
	v_add_co_u32 v133, vcc_lo, s18, v131
	s_delay_alu instid0(VALU_DEP_2)
	v_add_co_ci_u32_e32 v134, vcc_lo, s19, v132, vcc_lo
	v_add_co_u32 v131, vcc_lo, s16, v131
	v_add_co_ci_u32_e32 v132, vcc_lo, s17, v132, vcc_lo
	global_store_b32 v[133:134], v129, off
	global_store_b32 v[131:132], v130, off
.LBB390_78:
	s_or_b32 exec_lo, exec_lo, s4
	s_waitcnt lgkmcnt(0)
	s_waitcnt_vscnt null, 0x0
	s_barrier
	buffer_gl0_inv
	ds_load_b128 v[148:151], v140
	ds_load_b128 v[152:155], v140 offset:16
	ds_load_b128 v[160:163], v140 offset:1040
	;; [unrolled: 1-line block ×3, first 2 shown]
	v_mov_b32_e32 v129, 0
	ds_load_b128 v[168:171], v140 offset:2064
	ds_load_b128 v[164:167], v140 offset:2048
	;; [unrolled: 1-line block ×6, first 2 shown]
	v_mov_b32_e32 v130, v129
	v_mov_b32_e32 v131, v129
	;; [unrolled: 1-line block ×7, first 2 shown]
	s_waitcnt lgkmcnt(8)
	s_delay_alu instid0(VALU_DEP_1)
	v_wmma_f32_16x16x16_bf16 v[129:136], v[121:128], v[148:155], v[129:136]
	ds_load_b128 v[125:128], v140 offset:5136
	ds_load_b128 v[121:124], v140 offset:5120
	s_waitcnt lgkmcnt(8)
	v_wmma_f32_16x16x16_bf16 v[129:136], v[113:120], v[156:163], v[129:136]
	ds_load_b128 v[117:120], v140 offset:6160
	ds_load_b128 v[113:116], v140 offset:6144
	s_waitcnt lgkmcnt(8)
	v_wmma_f32_16x16x16_bf16 v[129:136], v[105:112], v[164:171], v[129:136]
	ds_load_b128 v[109:112], v140 offset:7184
	ds_load_b128 v[105:108], v140 offset:7168
	s_waitcnt lgkmcnt(8)
	v_wmma_f32_16x16x16_bf16 v[129:136], v[97:104], v[172:179], v[129:136]
	ds_load_b128 v[101:104], v140 offset:8208
	ds_load_b128 v[97:100], v140 offset:8192
	s_waitcnt lgkmcnt(8)
	v_wmma_f32_16x16x16_bf16 v[129:136], v[89:96], v[180:187], v[129:136]
	ds_load_b128 v[93:96], v140 offset:9232
	ds_load_b128 v[89:92], v140 offset:9216
	s_waitcnt lgkmcnt(8)
	v_wmma_f32_16x16x16_bf16 v[129:136], v[81:88], v[121:128], v[129:136]
	ds_load_b128 v[85:88], v140 offset:10256
	ds_load_b128 v[81:84], v140 offset:10240
	s_waitcnt lgkmcnt(8)
	v_wmma_f32_16x16x16_bf16 v[129:136], v[73:80], v[113:120], v[129:136]
	ds_load_b128 v[77:80], v140 offset:11280
	ds_load_b128 v[73:76], v140 offset:11264
	s_waitcnt lgkmcnt(8)
	v_wmma_f32_16x16x16_bf16 v[129:136], v[57:64], v[105:112], v[129:136]
	ds_load_b128 v[61:64], v140 offset:12304
	ds_load_b128 v[57:60], v140 offset:12288
	s_waitcnt lgkmcnt(8)
	v_wmma_f32_16x16x16_bf16 v[129:136], v[65:72], v[97:104], v[129:136]
	s_waitcnt lgkmcnt(6)
	s_delay_alu instid0(VALU_DEP_1)
	v_wmma_f32_16x16x16_bf16 v[129:136], v[49:56], v[89:96], v[129:136]
	ds_load_b128 v[53:56], v140 offset:13328
	ds_load_b128 v[49:52], v140 offset:13312
	s_waitcnt lgkmcnt(6)
	v_wmma_f32_16x16x16_bf16 v[129:136], v[41:48], v[81:88], v[129:136]
	ds_load_b128 v[45:48], v140 offset:14352
	ds_load_b128 v[41:44], v140 offset:14336
	s_waitcnt lgkmcnt(6)
	;; [unrolled: 4-line block ×3, first 2 shown]
	v_wmma_f32_16x16x16_bf16 v[129:136], v[1:8], v[57:64], v[129:136]
	s_waitcnt lgkmcnt(4)
	s_delay_alu instid0(VALU_DEP_1) | instskip(SKIP_1) | instid1(VALU_DEP_1)
	v_wmma_f32_16x16x16_bf16 v[129:136], v[25:32], v[49:56], v[129:136]
	s_waitcnt lgkmcnt(2)
	v_wmma_f32_16x16x16_bf16 v[129:136], v[33:40], v[41:48], v[129:136]
	s_waitcnt lgkmcnt(0)
	s_delay_alu instid0(VALU_DEP_1) | instskip(NEXT) | instid1(VALU_DEP_1)
	v_wmma_f32_16x16x16_bf16 v[129:136], v[9:16], v[17:24], v[129:136]
	v_and_b32_e32 v1, 0x7f800000, v129
	s_delay_alu instid0(VALU_DEP_1) | instskip(SKIP_1) | instid1(SALU_CYCLE_1)
	v_cmp_ne_u32_e32 vcc_lo, 0x7f800000, v1
                                        ; implicit-def: $vgpr1
	s_and_saveexec_b32 s4, vcc_lo
	s_xor_b32 s4, exec_lo, s4
; %bb.79:
	v_bfe_u32 v1, v129, 16, 1
	s_delay_alu instid0(VALU_DEP_1)
	v_add3_u32 v1, v129, v1, 0x7fff
; %bb.80:
	s_and_not1_saveexec_b32 s4, s4
; %bb.81:
	v_and_b32_e32 v1, 0xffff, v129
	v_or_b32_e32 v2, 0x10000, v129
	s_delay_alu instid0(VALU_DEP_2) | instskip(NEXT) | instid1(VALU_DEP_2)
	v_cmp_eq_u32_e32 vcc_lo, 0, v1
	v_cndmask_b32_e32 v1, v2, v129, vcc_lo
; %bb.82:
	s_or_b32 exec_lo, exec_lo, s4
	v_and_b32_e32 v2, 0x7f800000, v130
	s_delay_alu instid0(VALU_DEP_1) | instskip(SKIP_1) | instid1(SALU_CYCLE_1)
	v_cmp_ne_u32_e32 vcc_lo, 0x7f800000, v2
                                        ; implicit-def: $vgpr2
	s_and_saveexec_b32 s4, vcc_lo
	s_xor_b32 s4, exec_lo, s4
; %bb.83:
	v_bfe_u32 v2, v130, 16, 1
	s_delay_alu instid0(VALU_DEP_1)
	v_add3_u32 v2, v130, v2, 0x7fff
; %bb.84:
	s_and_not1_saveexec_b32 s4, s4
; %bb.85:
	v_and_b32_e32 v2, 0xffff, v130
	v_or_b32_e32 v3, 0x10000, v130
	s_delay_alu instid0(VALU_DEP_2) | instskip(NEXT) | instid1(VALU_DEP_2)
	v_cmp_eq_u32_e32 vcc_lo, 0, v2
	v_cndmask_b32_e32 v2, v3, v130, vcc_lo
; %bb.86:
	s_or_b32 exec_lo, exec_lo, s4
	v_and_b32_e32 v3, 0x7f800000, v131
	s_delay_alu instid0(VALU_DEP_1) | instskip(SKIP_1) | instid1(SALU_CYCLE_1)
	v_cmp_ne_u32_e32 vcc_lo, 0x7f800000, v3
                                        ; implicit-def: $vgpr3
	s_and_saveexec_b32 s4, vcc_lo
	s_xor_b32 s4, exec_lo, s4
; %bb.87:
	v_bfe_u32 v3, v131, 16, 1
	s_delay_alu instid0(VALU_DEP_1)
	v_add3_u32 v3, v131, v3, 0x7fff
; %bb.88:
	s_and_not1_saveexec_b32 s4, s4
; %bb.89:
	v_and_b32_e32 v3, 0xffff, v131
	v_or_b32_e32 v4, 0x10000, v131
	s_delay_alu instid0(VALU_DEP_2) | instskip(NEXT) | instid1(VALU_DEP_2)
	v_cmp_eq_u32_e32 vcc_lo, 0, v3
	v_cndmask_b32_e32 v3, v4, v131, vcc_lo
; %bb.90:
	s_or_b32 exec_lo, exec_lo, s4
	v_and_b32_e32 v4, 0x7f800000, v132
	s_delay_alu instid0(VALU_DEP_1) | instskip(SKIP_1) | instid1(SALU_CYCLE_1)
	v_cmp_ne_u32_e32 vcc_lo, 0x7f800000, v4
                                        ; implicit-def: $vgpr4
	s_and_saveexec_b32 s4, vcc_lo
	s_xor_b32 s4, exec_lo, s4
; %bb.91:
	v_bfe_u32 v4, v132, 16, 1
	s_delay_alu instid0(VALU_DEP_1)
	v_add3_u32 v4, v132, v4, 0x7fff
; %bb.92:
	s_and_not1_saveexec_b32 s4, s4
; %bb.93:
	v_and_b32_e32 v4, 0xffff, v132
	v_or_b32_e32 v5, 0x10000, v132
	s_delay_alu instid0(VALU_DEP_2) | instskip(NEXT) | instid1(VALU_DEP_2)
	v_cmp_eq_u32_e32 vcc_lo, 0, v4
	v_cndmask_b32_e32 v4, v5, v132, vcc_lo
; %bb.94:
	s_or_b32 exec_lo, exec_lo, s4
	v_and_b32_e32 v5, 0x7f800000, v133
	s_delay_alu instid0(VALU_DEP_1) | instskip(SKIP_1) | instid1(SALU_CYCLE_1)
	v_cmp_ne_u32_e32 vcc_lo, 0x7f800000, v5
                                        ; implicit-def: $vgpr5
	s_and_saveexec_b32 s4, vcc_lo
	s_xor_b32 s4, exec_lo, s4
; %bb.95:
	v_bfe_u32 v5, v133, 16, 1
	s_delay_alu instid0(VALU_DEP_1)
	v_add3_u32 v5, v133, v5, 0x7fff
; %bb.96:
	s_and_not1_saveexec_b32 s4, s4
; %bb.97:
	v_and_b32_e32 v5, 0xffff, v133
	v_or_b32_e32 v6, 0x10000, v133
	s_delay_alu instid0(VALU_DEP_2) | instskip(NEXT) | instid1(VALU_DEP_2)
	v_cmp_eq_u32_e32 vcc_lo, 0, v5
	v_cndmask_b32_e32 v5, v6, v133, vcc_lo
; %bb.98:
	s_or_b32 exec_lo, exec_lo, s4
	v_and_b32_e32 v6, 0x7f800000, v134
	s_delay_alu instid0(VALU_DEP_1) | instskip(SKIP_1) | instid1(SALU_CYCLE_1)
	v_cmp_ne_u32_e32 vcc_lo, 0x7f800000, v6
                                        ; implicit-def: $vgpr6
	s_and_saveexec_b32 s4, vcc_lo
	s_xor_b32 s4, exec_lo, s4
; %bb.99:
	v_bfe_u32 v6, v134, 16, 1
	s_delay_alu instid0(VALU_DEP_1)
	v_add3_u32 v6, v134, v6, 0x7fff
; %bb.100:
	s_and_not1_saveexec_b32 s4, s4
; %bb.101:
	v_and_b32_e32 v6, 0xffff, v134
	v_or_b32_e32 v7, 0x10000, v134
	s_delay_alu instid0(VALU_DEP_2) | instskip(NEXT) | instid1(VALU_DEP_2)
	v_cmp_eq_u32_e32 vcc_lo, 0, v6
	v_cndmask_b32_e32 v6, v7, v134, vcc_lo
; %bb.102:
	s_or_b32 exec_lo, exec_lo, s4
	v_and_b32_e32 v7, 0x7f800000, v135
	s_delay_alu instid0(VALU_DEP_1) | instskip(SKIP_1) | instid1(SALU_CYCLE_1)
	v_cmp_ne_u32_e32 vcc_lo, 0x7f800000, v7
                                        ; implicit-def: $vgpr7
	s_and_saveexec_b32 s4, vcc_lo
	s_xor_b32 s4, exec_lo, s4
; %bb.103:
	v_bfe_u32 v7, v135, 16, 1
	s_delay_alu instid0(VALU_DEP_1)
	v_add3_u32 v7, v135, v7, 0x7fff
; %bb.104:
	s_and_not1_saveexec_b32 s4, s4
; %bb.105:
	v_and_b32_e32 v7, 0xffff, v135
	v_or_b32_e32 v8, 0x10000, v135
	s_delay_alu instid0(VALU_DEP_2) | instskip(NEXT) | instid1(VALU_DEP_2)
	v_cmp_eq_u32_e32 vcc_lo, 0, v7
	v_cndmask_b32_e32 v7, v8, v135, vcc_lo
; %bb.106:
	s_or_b32 exec_lo, exec_lo, s4
	v_and_b32_e32 v8, 0x7f800000, v136
	s_delay_alu instid0(VALU_DEP_1) | instskip(SKIP_1) | instid1(SALU_CYCLE_1)
	v_cmp_ne_u32_e32 vcc_lo, 0x7f800000, v8
                                        ; implicit-def: $vgpr8
	s_and_saveexec_b32 s4, vcc_lo
	s_xor_b32 s4, exec_lo, s4
; %bb.107:
	v_bfe_u32 v8, v136, 16, 1
	s_delay_alu instid0(VALU_DEP_1)
	v_add3_u32 v8, v136, v8, 0x7fff
                                        ; implicit-def: $vgpr129_vgpr130_vgpr131_vgpr132_vgpr133_vgpr134_vgpr135_vgpr136
; %bb.108:
	s_and_not1_saveexec_b32 s4, s4
; %bb.109:
	v_and_b32_e32 v8, 0xffff, v136
	v_or_b32_e32 v9, 0x10000, v136
	s_delay_alu instid0(VALU_DEP_2) | instskip(NEXT) | instid1(VALU_DEP_2)
	v_cmp_eq_u32_e32 vcc_lo, 0, v8
	v_cndmask_b32_e32 v8, v9, v136, vcc_lo
; %bb.110:
	s_or_b32 exec_lo, exec_lo, s4
	s_delay_alu instid0(VALU_DEP_1)
	v_perm_b32 v7, v8, v7, 0x7060302
	v_perm_b32 v6, v6, v5, 0x7060302
	v_perm_b32 v5, v4, v3, 0x7060302
	v_perm_b32 v4, v2, v1, 0x7060302
	v_lshl_or_b32 v9, v146, 4, v141
	s_barrier
	buffer_gl0_inv
	v_cmp_eq_u32_e32 vcc_lo, 1, v138
	ds_store_b128 v9, v[4:7]
	s_waitcnt lgkmcnt(0)
	s_barrier
	buffer_gl0_inv
	ds_load_b128 v[1:4], v141
	ds_load_b128 v[5:8], v141 offset:16
	v_cmp_eq_u32_e64 s5, 2, v138
	v_cmp_eq_u32_e64 s4, 1, v139
	;; [unrolled: 1-line block ×5, first 2 shown]
	s_waitcnt lgkmcnt(1)
	v_lshrrev_b32_e32 v10, 16, v1
	s_waitcnt lgkmcnt(0)
	v_lshrrev_b32_e32 v14, 16, v5
	v_lshrrev_b32_e32 v15, 16, v6
	;; [unrolled: 1-line block ×4, first 2 shown]
	v_cndmask_b32_e64 v20, v1, v10, s4
	v_cndmask_b32_e32 v19, v5, v14, vcc_lo
	v_cndmask_b32_e64 v21, v5, v14, s4
	v_lshrrev_b32_e32 v16, 16, v7
	v_cmp_eq_u32_e64 s4, 1, v137
	v_lshrrev_b32_e32 v13, 16, v4
	v_cndmask_b32_e64 v19, v19, v6, s5
	v_lshrrev_b32_e32 v17, 16, v8
	s_delay_alu instid0(VALU_DEP_4) | instskip(SKIP_1) | instid1(VALU_DEP_4)
	v_cndmask_b32_e64 v22, v1, v10, s4
	v_cndmask_b32_e64 v23, v5, v14, s4
	;; [unrolled: 1-line block ×3, first 2 shown]
	v_cndmask_b32_e32 v18, v1, v10, vcc_lo
	v_cmp_eq_u32_e32 vcc_lo, 2, v139
	v_cmp_eq_u32_e64 s4, 2, v142
	v_cndmask_b32_e64 v22, v22, v2, s8
	v_cndmask_b32_e32 v20, v20, v2, vcc_lo
	v_cndmask_b32_e32 v21, v21, v6, vcc_lo
	v_cmp_eq_u32_e32 vcc_lo, 4, v138
	v_cndmask_b32_e32 v19, v19, v7, vcc_lo
	v_cndmask_b32_e64 v18, v18, v2, s5
	v_cmp_eq_u32_e64 s5, 3, v139
	s_delay_alu instid0(VALU_DEP_2) | instskip(NEXT) | instid1(VALU_DEP_2)
	v_cndmask_b32_e64 v18, v18, v11, s6
	v_cndmask_b32_e64 v21, v21, v15, s5
	v_cmp_eq_u32_e64 s6, 5, v138
	s_delay_alu instid0(VALU_DEP_3) | instskip(SKIP_1) | instid1(VALU_DEP_3)
	v_cndmask_b32_e32 v18, v18, v3, vcc_lo
	v_cmp_eq_u32_e32 vcc_lo, 4, v139
	v_cndmask_b32_e64 v19, v19, v16, s6
	s_delay_alu instid0(VALU_DEP_3) | instskip(SKIP_4) | instid1(VALU_DEP_3)
	v_cndmask_b32_e64 v18, v18, v12, s6
	v_cndmask_b32_e32 v21, v21, v7, vcc_lo
	v_cndmask_b32_e64 v20, v20, v11, s5
	v_cmp_eq_u32_e64 s5, 5, v139
	v_cmp_eq_u32_e64 s6, 6, v138
	v_cndmask_b32_e32 v20, v20, v3, vcc_lo
	s_delay_alu instid0(VALU_DEP_3) | instskip(SKIP_1) | instid1(VALU_DEP_4)
	v_cndmask_b32_e64 v21, v21, v16, s5
	v_cmp_eq_u32_e32 vcc_lo, 6, v139
	v_cndmask_b32_e64 v18, v18, v4, s6
	v_cndmask_b32_e64 v19, v19, v8, s6
	;; [unrolled: 1-line block ×3, first 2 shown]
	v_cmp_eq_u32_e64 s5, 1, v142
	v_cmp_eq_u32_e64 s6, 7, v138
	s_delay_alu instid0(VALU_DEP_3) | instskip(NEXT) | instid1(VALU_DEP_3)
	v_cndmask_b32_e32 v20, v20, v4, vcc_lo
	v_cndmask_b32_e64 v1, v1, v10, s5
	v_cndmask_b32_e64 v5, v5, v14, s5
	v_cmp_eq_u32_e64 s5, 3, v137
	v_cndmask_b32_e64 v14, v23, v6, s8
	v_cmp_eq_u32_e64 s8, 3, v142
	v_cndmask_b32_e64 v1, v1, v2, s4
	v_cndmask_b32_e64 v2, v5, v6, s4
	;; [unrolled: 1-line block ×3, first 2 shown]
	v_cmp_eq_u32_e64 s4, 4, v137
	v_cndmask_b32_e64 v6, v14, v15, s5
	v_cndmask_b32_e64 v1, v1, v11, s8
	v_cmp_eq_u32_e64 s5, 4, v142
	v_cndmask_b32_e64 v2, v2, v15, s8
	v_cndmask_b32_e64 v5, v10, v3, s4
	;; [unrolled: 3-line block ×3, first 2 shown]
	v_cndmask_b32_e64 v2, v2, v7, s5
	v_cmp_eq_u32_e64 s4, 5, v142
	v_cndmask_b32_e64 v5, v5, v12, s8
	v_cmp_eq_u32_e64 s5, 6, v137
	;; [unrolled: 2-line block ×3, first 2 shown]
	v_cndmask_b32_e64 v1, v1, v12, s4
	v_cndmask_b32_e64 v2, v2, v16, s4
	;; [unrolled: 1-line block ×4, first 2 shown]
	v_cmp_eq_u32_e64 s4, 7, v142
	v_cndmask_b32_e64 v1, v1, v4, s8
	v_cndmask_b32_e64 v2, v2, v8, s8
	v_cmp_eq_u32_e64 s5, 7, v137
	v_cndmask_b32_e32 v4, v21, v8, vcc_lo
	v_cndmask_b32_e64 v18, v18, v13, s6
	v_cndmask_b32_e64 v20, v20, v13, s7
	;; [unrolled: 1-line block ×8, first 2 shown]
	v_cmp_gt_u32_e32 vcc_lo, 32, v0
	v_perm_b32 v4, v2, v1, 0x5040100
	v_perm_b32 v3, v3, v5, 0x5040100
	;; [unrolled: 1-line block ×4, first 2 shown]
	s_and_b32 s2, vcc_lo, s2
	ds_store_b128 v9, v[1:4]
	s_waitcnt lgkmcnt(0)
	s_barrier
	buffer_gl0_inv
	s_and_saveexec_b32 s4, s2
	s_cbranch_execz .LBB390_2
; %bb.111:
	s_load_b64 s[4:5], s[0:1], 0x68
	v_lshlrev_b32_e32 v0, 10, v0
	v_add_nc_u32_e32 v2, s31, v146
	v_lshlrev_b32_e32 v3, 4, v147
	s_lshl_b32 s0, s36, 6
	s_delay_alu instid0(SALU_CYCLE_1) | instskip(NEXT) | instid1(VALU_DEP_2)
	s_mul_i32 s1, s0, s34
	v_mul_lo_u32 v1, v2, s0
	s_delay_alu instid0(VALU_DEP_2) | instskip(SKIP_2) | instid1(SALU_CYCLE_1)
	v_and_or_b32 v0, 0x3800, v0, v3
	v_add_nc_u32_e32 v2, 2, v2
	s_mul_i32 s6, s1, s9
	s_ashr_i32 s7, s6, 31
	s_delay_alu instid0(VALU_DEP_2)
	v_lshl_or_b32 v7, v146, 6, v0
	s_lshl_b64 s[6:7], s[6:7], 1
	v_mul_lo_u32 v11, v2, s0
	v_ashrrev_i32_e32 v2, 31, v1
	ds_load_b128 v[3:6], v7
	ds_load_b128 v[7:10], v7 offset:128
	s_waitcnt lgkmcnt(0)
	s_add_u32 s1, s4, s6
	s_addc_u32 s2, s5, s7
	s_lshl_b32 s4, s14, 6
	v_ashrrev_i32_e32 v12, 31, v11
	s_ashr_i32 s5, s4, 31
	v_lshlrev_b64 v[13:14], 1, v[1:2]
	s_lshl_b64 s[4:5], s[4:5], 1
	s_delay_alu instid0(SALU_CYCLE_1) | instskip(SKIP_2) | instid1(VALU_DEP_1)
	s_add_u32 s1, s1, s4
	s_addc_u32 s2, s2, s5
	v_add_co_u32 v1, s1, s1, v145
	v_add_co_ci_u32_e64 v2, null, s2, 0, s1
	v_lshlrev_b64 v[11:12], 1, v[11:12]
	s_delay_alu instid0(VALU_DEP_3) | instskip(NEXT) | instid1(VALU_DEP_3)
	v_add_co_u32 v13, vcc_lo, v1, v13
	v_add_co_ci_u32_e32 v14, vcc_lo, v2, v14, vcc_lo
	s_delay_alu instid0(VALU_DEP_3) | instskip(NEXT) | instid1(VALU_DEP_4)
	v_add_co_u32 v11, vcc_lo, v1, v11
	v_add_co_ci_u32_e32 v12, vcc_lo, v2, v12, vcc_lo
	s_clause 0x1
	global_store_b128 v[13:14], v[3:6], off
	global_store_b128 v[11:12], v[7:10], off
	s_and_b32 exec_lo, exec_lo, s3
	s_cbranch_execz .LBB390_2
; %bb.112:
	ds_load_b128 v[3:6], v0 offset:256
	s_add_i32 s1, s31, 4
	s_delay_alu instid0(SALU_CYCLE_1) | instskip(NEXT) | instid1(SALU_CYCLE_1)
	s_mul_i32 s0, s1, s0
	s_ashr_i32 s1, s0, 31
	s_delay_alu instid0(SALU_CYCLE_1) | instskip(NEXT) | instid1(SALU_CYCLE_1)
	s_lshl_b64 s[0:1], s[0:1], 1
	v_add_co_u32 v0, vcc_lo, v1, s0
	v_add_co_ci_u32_e32 v1, vcc_lo, s1, v2, vcc_lo
	s_waitcnt lgkmcnt(0)
	global_store_b128 v[0:1], v[3:6], off
	s_nop 0
	s_sendmsg sendmsg(MSG_DEALLOC_VGPRS)
	s_endpgm
	.section	.rodata,"a",@progbits
	.p2align	6, 0x0
	.amdhsa_kernel _Z39paged_attention_ll4mi_QKV_mfma16_kernelI14__hip_bfloat16S0_LN4vllm18Fp8KVCacheDataTypeE0EhLi16ELi64ELi256ELb1ELi5EL8MFMAType0EEvPKT_PKT0_S9_ifPKiSB_SB_iPKfiiiPfSE_PS4_PT2_iSD_SD_
		.amdhsa_group_segment_fixed_size 17472
		.amdhsa_private_segment_fixed_size 0
		.amdhsa_kernarg_size 400
		.amdhsa_user_sgpr_count 13
		.amdhsa_user_sgpr_dispatch_ptr 0
		.amdhsa_user_sgpr_queue_ptr 0
		.amdhsa_user_sgpr_kernarg_segment_ptr 1
		.amdhsa_user_sgpr_dispatch_id 0
		.amdhsa_user_sgpr_private_segment_size 0
		.amdhsa_wavefront_size32 1
		.amdhsa_uses_dynamic_stack 0
		.amdhsa_enable_private_segment 0
		.amdhsa_system_sgpr_workgroup_id_x 1
		.amdhsa_system_sgpr_workgroup_id_y 1
		.amdhsa_system_sgpr_workgroup_id_z 1
		.amdhsa_system_sgpr_workgroup_info 0
		.amdhsa_system_vgpr_workitem_id 0
		.amdhsa_next_free_vgpr 198
		.amdhsa_next_free_sgpr 52
		.amdhsa_reserve_vcc 1
		.amdhsa_float_round_mode_32 0
		.amdhsa_float_round_mode_16_64 0
		.amdhsa_float_denorm_mode_32 3
		.amdhsa_float_denorm_mode_16_64 3
		.amdhsa_dx10_clamp 1
		.amdhsa_ieee_mode 1
		.amdhsa_fp16_overflow 0
		.amdhsa_workgroup_processor_mode 1
		.amdhsa_memory_ordered 1
		.amdhsa_forward_progress 0
		.amdhsa_shared_vgpr_count 0
		.amdhsa_exception_fp_ieee_invalid_op 0
		.amdhsa_exception_fp_denorm_src 0
		.amdhsa_exception_fp_ieee_div_zero 0
		.amdhsa_exception_fp_ieee_overflow 0
		.amdhsa_exception_fp_ieee_underflow 0
		.amdhsa_exception_fp_ieee_inexact 0
		.amdhsa_exception_int_div_zero 0
	.end_amdhsa_kernel
	.section	.text._Z39paged_attention_ll4mi_QKV_mfma16_kernelI14__hip_bfloat16S0_LN4vllm18Fp8KVCacheDataTypeE0EhLi16ELi64ELi256ELb1ELi5EL8MFMAType0EEvPKT_PKT0_S9_ifPKiSB_SB_iPKfiiiPfSE_PS4_PT2_iSD_SD_,"axG",@progbits,_Z39paged_attention_ll4mi_QKV_mfma16_kernelI14__hip_bfloat16S0_LN4vllm18Fp8KVCacheDataTypeE0EhLi16ELi64ELi256ELb1ELi5EL8MFMAType0EEvPKT_PKT0_S9_ifPKiSB_SB_iPKfiiiPfSE_PS4_PT2_iSD_SD_,comdat
.Lfunc_end390:
	.size	_Z39paged_attention_ll4mi_QKV_mfma16_kernelI14__hip_bfloat16S0_LN4vllm18Fp8KVCacheDataTypeE0EhLi16ELi64ELi256ELb1ELi5EL8MFMAType0EEvPKT_PKT0_S9_ifPKiSB_SB_iPKfiiiPfSE_PS4_PT2_iSD_SD_, .Lfunc_end390-_Z39paged_attention_ll4mi_QKV_mfma16_kernelI14__hip_bfloat16S0_LN4vllm18Fp8KVCacheDataTypeE0EhLi16ELi64ELi256ELb1ELi5EL8MFMAType0EEvPKT_PKT0_S9_ifPKiSB_SB_iPKfiiiPfSE_PS4_PT2_iSD_SD_
                                        ; -- End function
	.section	.AMDGPU.csdata,"",@progbits
; Kernel info:
; codeLenInByte = 10016
; NumSgprs: 54
; NumVgprs: 198
; ScratchSize: 0
; MemoryBound: 0
; FloatMode: 240
; IeeeMode: 1
; LDSByteSize: 17472 bytes/workgroup (compile time only)
; SGPRBlocks: 6
; VGPRBlocks: 24
; NumSGPRsForWavesPerEU: 54
; NumVGPRsForWavesPerEU: 198
; Occupancy: 7
; WaveLimiterHint : 1
; COMPUTE_PGM_RSRC2:SCRATCH_EN: 0
; COMPUTE_PGM_RSRC2:USER_SGPR: 13
; COMPUTE_PGM_RSRC2:TRAP_HANDLER: 0
; COMPUTE_PGM_RSRC2:TGID_X_EN: 1
; COMPUTE_PGM_RSRC2:TGID_Y_EN: 1
; COMPUTE_PGM_RSRC2:TGID_Z_EN: 1
; COMPUTE_PGM_RSRC2:TIDIG_COMP_CNT: 0
	.section	.text._Z39paged_attention_ll4mi_QKV_mfma16_kernelI14__hip_bfloat16S0_LN4vllm18Fp8KVCacheDataTypeE0EhLi16ELi64ELi256ELb1ELi6EL8MFMAType0EEvPKT_PKT0_S9_ifPKiSB_SB_iPKfiiiPfSE_PS4_PT2_iSD_SD_,"axG",@progbits,_Z39paged_attention_ll4mi_QKV_mfma16_kernelI14__hip_bfloat16S0_LN4vllm18Fp8KVCacheDataTypeE0EhLi16ELi64ELi256ELb1ELi6EL8MFMAType0EEvPKT_PKT0_S9_ifPKiSB_SB_iPKfiiiPfSE_PS4_PT2_iSD_SD_,comdat
	.protected	_Z39paged_attention_ll4mi_QKV_mfma16_kernelI14__hip_bfloat16S0_LN4vllm18Fp8KVCacheDataTypeE0EhLi16ELi64ELi256ELb1ELi6EL8MFMAType0EEvPKT_PKT0_S9_ifPKiSB_SB_iPKfiiiPfSE_PS4_PT2_iSD_SD_ ; -- Begin function _Z39paged_attention_ll4mi_QKV_mfma16_kernelI14__hip_bfloat16S0_LN4vllm18Fp8KVCacheDataTypeE0EhLi16ELi64ELi256ELb1ELi6EL8MFMAType0EEvPKT_PKT0_S9_ifPKiSB_SB_iPKfiiiPfSE_PS4_PT2_iSD_SD_
	.globl	_Z39paged_attention_ll4mi_QKV_mfma16_kernelI14__hip_bfloat16S0_LN4vllm18Fp8KVCacheDataTypeE0EhLi16ELi64ELi256ELb1ELi6EL8MFMAType0EEvPKT_PKT0_S9_ifPKiSB_SB_iPKfiiiPfSE_PS4_PT2_iSD_SD_
	.p2align	8
	.type	_Z39paged_attention_ll4mi_QKV_mfma16_kernelI14__hip_bfloat16S0_LN4vllm18Fp8KVCacheDataTypeE0EhLi16ELi64ELi256ELb1ELi6EL8MFMAType0EEvPKT_PKT0_S9_ifPKiSB_SB_iPKfiiiPfSE_PS4_PT2_iSD_SD_,@function
_Z39paged_attention_ll4mi_QKV_mfma16_kernelI14__hip_bfloat16S0_LN4vllm18Fp8KVCacheDataTypeE0EhLi16ELi64ELi256ELb1ELi6EL8MFMAType0EEvPKT_PKT0_S9_ifPKiSB_SB_iPKfiiiPfSE_PS4_PT2_iSD_SD_: ; @_Z39paged_attention_ll4mi_QKV_mfma16_kernelI14__hip_bfloat16S0_LN4vllm18Fp8KVCacheDataTypeE0EhLi16ELi64ELi256ELb1ELi6EL8MFMAType0EEvPKT_PKT0_S9_ifPKiSB_SB_iPKfiiiPfSE_PS4_PT2_iSD_SD_
; %bb.0:
	s_load_b64 s[2:3], s[0:1], 0x30
	s_mov_b32 s30, s13
	s_waitcnt lgkmcnt(0)
	s_cmp_lg_u64 s[2:3], 0
	s_cselect_b32 s8, -1, 0
	s_ashr_i32 s31, s13, 31
	s_cmp_eq_u64 s[2:3], 0
	s_cbranch_scc1 .LBB391_3
; %bb.1:
	s_lshl_b64 s[4:5], s[30:31], 2
	s_delay_alu instid0(SALU_CYCLE_1) | instskip(SKIP_4) | instid1(SALU_CYCLE_1)
	s_add_u32 s4, s2, s4
	s_addc_u32 s5, s3, s5
	s_load_b64 s[4:5], s[4:5], 0x0
	s_waitcnt lgkmcnt(0)
	s_sub_i32 s4, s5, s4
	s_cmp_eq_u32 s4, 1
	s_cselect_b32 s4, -1, 0
	s_delay_alu instid0(SALU_CYCLE_1)
	s_and_not1_b32 vcc_lo, exec_lo, s4
	s_cbranch_vccz .LBB391_4
.LBB391_2:
	s_endpgm
.LBB391_3:
.LBB391_4:
	s_load_b64 s[4:5], s[0:1], 0x28
	s_lshl_b64 s[6:7], s[30:31], 2
	s_waitcnt lgkmcnt(0)
	s_add_u32 s4, s4, s6
	s_addc_u32 s5, s5, s7
	s_lshl_b32 s34, s14, 8
	s_load_b32 s33, s[4:5], 0x0
	s_waitcnt lgkmcnt(0)
	s_cmp_ge_i32 s34, s33
	s_cbranch_scc1 .LBB391_2
; %bb.5:
	s_clause 0x1
	s_load_b128 s[20:23], s[0:1], 0x8
	s_load_b64 s[4:5], s[0:1], 0x20
	s_and_not1_b32 vcc_lo, exec_lo, s8
	s_cbranch_vccnz .LBB391_7
; %bb.6:
	s_add_u32 s2, s2, s6
	s_addc_u32 s3, s3, s7
	s_load_b32 s3, s[2:3], 0x0
	s_branch .LBB391_8
.LBB391_7:
	s_mov_b32 s3, s30
.LBB391_8:
	s_load_b128 s[16:19], s[0:1], 0x48
	v_and_b32_e32 v148, 15, v0
	v_cmp_gt_u32_e32 vcc_lo, 0x60, v0
	v_lshrrev_b32_e32 v149, 5, v0
	v_and_b32_e32 v150, 31, v0
	v_and_b32_e32 v147, 1, v0
	v_lshlrev_b32_e32 v1, 3, v148
	v_cmp_gt_u32_e64 s2, 8, v148
	v_bfe_u32 v146, v0, 4, 1
	s_mul_i32 s31, s15, 6
	s_delay_alu instid0(VALU_DEP_3) | instskip(NEXT) | instid1(VALU_DEP_3)
	v_lshlrev_b32_e32 v145, 1, v1
	s_and_b32 s7, vcc_lo, s2
	s_delay_alu instid0(SALU_CYCLE_1)
	s_and_saveexec_b32 s6, s7
	s_cbranch_execz .LBB391_10
; %bb.9:
	s_load_b64 s[8:9], s[0:1], 0x0
	v_lshl_or_b32 v5, v149, 1, v146
	s_waitcnt lgkmcnt(0)
	s_mul_hi_i32 s11, s3, s16
	s_mul_i32 s10, s3, s16
	v_lshlrev_b32_e32 v6, 10, v148
	s_lshl_b64 s[10:11], s[10:11], 1
	v_add_lshl_u32 v1, v5, s31, 6
	v_lshlrev_b32_e32 v5, 6, v5
	v_lshlrev_b32_e32 v7, 10, v147
	v_and_b32_e32 v6, 0x3800, v6
	s_delay_alu instid0(VALU_DEP_4) | instskip(NEXT) | instid1(VALU_DEP_2)
	v_ashrrev_i32_e32 v2, 31, v1
	v_or3_b32 v5, v6, v7, v5
	s_delay_alu instid0(VALU_DEP_2) | instskip(SKIP_2) | instid1(VALU_DEP_1)
	v_lshlrev_b64 v[1:2], 1, v[1:2]
	s_add_u32 s3, s8, s10
	s_addc_u32 s7, s9, s11
	v_add_co_u32 v1, vcc_lo, s3, v1
	s_delay_alu instid0(VALU_DEP_2) | instskip(NEXT) | instid1(VALU_DEP_2)
	v_add_co_ci_u32_e32 v2, vcc_lo, s7, v2, vcc_lo
	v_add_co_u32 v1, vcc_lo, v1, v145
	s_delay_alu instid0(VALU_DEP_2)
	v_add_co_ci_u32_e32 v2, vcc_lo, 0, v2, vcc_lo
	global_load_b128 v[1:4], v[1:2], off
	s_waitcnt vmcnt(0)
	ds_store_b128 v5, v[1:4]
.LBB391_10:
	s_or_b32 exec_lo, exec_lo, s6
	v_and_b32_e32 v1, 0xef, v0
	s_waitcnt lgkmcnt(0)
	s_add_i32 s3, s33, 15
	s_clause 0x1
	s_load_b32 s6, s[0:1], 0x38
	s_load_b32 s35, s[0:1], 0x1c
	s_ashr_i32 s7, s3, 31
	v_add_nc_u32_e32 v1, s34, v1
	s_lshr_b32 s7, s7, 28
	s_waitcnt lgkmcnt(0)
	s_add_i32 s3, s3, s7
	s_barrier
	v_ashrrev_i32_e32 v2, 31, v1
	v_or_b32_e32 v3, 16, v1
	s_ashr_i32 s3, s3, 4
	v_cmp_gt_i32_e32 vcc_lo, s33, v1
	s_add_i32 s3, s3, -1
	v_lshrrev_b32_e32 v2, 28, v2
	buffer_gl0_inv
	v_mul_lo_u16 v21, v148, 43
	v_lshlrev_b32_e32 v22, 5, v148
	v_add_nc_u32_e32 v4, v1, v2
	s_mul_i32 s6, s30, s6
	s_delay_alu instid0(VALU_DEP_3) | instskip(SKIP_1) | instid1(VALU_DEP_2)
	v_lshrrev_b16 v21, 8, v21
	s_ashr_i32 s7, s6, 31
	v_ashrrev_i32_e32 v4, 4, v4
	v_add_nc_u32_e32 v2, v3, v2
	s_lshl_b64 s[6:7], s[6:7], 2
	v_mul_lo_u16 v21, v21, 6
	s_add_u32 s16, s4, s6
	v_cndmask_b32_e32 v1, s3, v4, vcc_lo
	v_ashrrev_i32_e32 v2, 4, v2
	v_cmp_gt_i32_e32 vcc_lo, s33, v3
	s_addc_u32 s36, s5, s7
	s_mul_i32 s4, s15, s18
	v_sub_nc_u16 v21, v148, v21
	s_ashr_i32 s5, s4, 31
	v_cndmask_b32_e32 v3, s3, v2, vcc_lo
	v_ashrrev_i32_e32 v2, 31, v1
	s_lshl_b64 s[12:13], s[4:5], 1
	v_and_b32_e32 v21, 0xff, v21
	s_add_u32 s26, s20, s12
	v_ashrrev_i32_e32 v4, 31, v3
	v_lshlrev_b64 v[1:2], 2, v[1:2]
	s_addc_u32 s27, s21, s13
	s_lshl_b32 s4, s14, 4
	v_lshlrev_b32_e32 v197, 6, v21
	v_lshlrev_b64 v[3:4], 2, v[3:4]
	s_ashr_i32 s5, s4, 31
	v_add_co_u32 v1, vcc_lo, s16, v1
	v_add_co_ci_u32_e32 v2, vcc_lo, s36, v2, vcc_lo
	s_delay_alu instid0(VALU_DEP_3) | instskip(NEXT) | instid1(VALU_DEP_4)
	v_add_co_u32 v3, vcc_lo, s16, v3
	v_add_co_ci_u32_e32 v4, vcc_lo, s36, v4, vcc_lo
	s_clause 0x1
	global_load_b32 v5, v[1:2], off
	global_load_b32 v6, v[3:4], off
	s_lshl_b64 s[4:5], s[4:5], 2
	v_lshlrev_b32_e32 v3, 4, v0
	s_add_u32 s4, s16, s4
	s_addc_u32 s5, s36, s5
	s_or_b32 s6, s34, 16
	v_lshl_or_b32 v22, v149, 9, v22
	s_ashr_i32 s7, s6, 4
	s_cmp_lt_i32 s6, s33
	s_cselect_b32 s6, s7, s3
	s_delay_alu instid0(SALU_CYCLE_1) | instskip(NEXT) | instid1(SALU_CYCLE_1)
	s_ashr_i32 s7, s6, 31
	s_lshl_b64 s[6:7], s[6:7], 2
	s_delay_alu instid0(SALU_CYCLE_1) | instskip(SKIP_2) | instid1(SALU_CYCLE_1)
	s_add_u32 s6, s16, s6
	s_addc_u32 s7, s36, s7
	s_or_b32 s8, s34, 32
	s_ashr_i32 s9, s8, 4
	s_cmp_lt_i32 s8, s33
	s_cselect_b32 s8, s9, s3
	s_delay_alu instid0(SALU_CYCLE_1) | instskip(NEXT) | instid1(SALU_CYCLE_1)
	s_ashr_i32 s9, s8, 31
	s_lshl_b64 s[8:9], s[8:9], 2
	s_delay_alu instid0(SALU_CYCLE_1) | instskip(SKIP_2) | instid1(SALU_CYCLE_1)
	s_add_u32 s8, s16, s8
	s_addc_u32 s9, s36, s9
	s_or_b32 s10, s34, 48
	s_ashr_i32 s11, s10, 4
	s_cmp_lt_i32 s10, s33
	s_cselect_b32 s10, s11, s3
	s_delay_alu instid0(SALU_CYCLE_1) | instskip(NEXT) | instid1(SALU_CYCLE_1)
	s_ashr_i32 s11, s10, 31
	s_lshl_b64 s[10:11], s[10:11], 2
	s_delay_alu instid0(SALU_CYCLE_1) | instskip(SKIP_2) | instid1(SALU_CYCLE_1)
	s_add_u32 s10, s16, s10
	s_addc_u32 s11, s36, s11
	s_or_b32 s15, s34, 64
	s_ashr_i32 s18, s15, 4
	s_cmp_lt_i32 s15, s33
	s_cselect_b32 s18, s18, s3
	s_delay_alu instid0(SALU_CYCLE_1) | instskip(NEXT) | instid1(SALU_CYCLE_1)
	s_ashr_i32 s19, s18, 31
	s_lshl_b64 s[18:19], s[18:19], 2
	s_delay_alu instid0(SALU_CYCLE_1) | instskip(SKIP_2) | instid1(SALU_CYCLE_1)
	s_add_u32 s20, s16, s18
	s_addc_u32 s21, s36, s19
	s_or_b32 s15, s34, 0x50
	s_ashr_i32 s18, s15, 4
	s_cmp_lt_i32 s15, s33
	s_cselect_b32 s18, s18, s3
	s_delay_alu instid0(SALU_CYCLE_1) | instskip(NEXT) | instid1(SALU_CYCLE_1)
	s_ashr_i32 s19, s18, 31
	s_lshl_b64 s[18:19], s[18:19], 2
	s_delay_alu instid0(SALU_CYCLE_1)
	s_add_u32 s24, s16, s18
	s_addc_u32 s25, s36, s19
	s_clause 0x5
	s_load_b32 s37, s[4:5], 0x0
	s_load_b32 s29, s[6:7], 0x0
	;; [unrolled: 1-line block ×6, first 2 shown]
	s_waitcnt vmcnt(1)
	v_mad_i64_i32 v[1:2], null, v5, s17, 0
	v_and_b32_e32 v5, 0xf0, v3
	s_waitcnt vmcnt(0)
	v_mad_i64_i32 v[3:4], null, v6, s17, 0
	s_delay_alu instid0(VALU_DEP_2) | instskip(NEXT) | instid1(VALU_DEP_4)
	v_add_co_u32 v5, s4, s26, v5
	v_lshlrev_b64 v[1:2], 1, v[1:2]
	v_add_co_ci_u32_e64 v6, null, s27, 0, s4
	s_delay_alu instid0(VALU_DEP_4) | instskip(SKIP_1) | instid1(VALU_DEP_3)
	v_lshlrev_b64 v[3:4], 1, v[3:4]
	s_or_b32 s4, s34, 0x60
	v_add_co_u32 v19, vcc_lo, v5, v1
	s_delay_alu instid0(VALU_DEP_3) | instskip(NEXT) | instid1(VALU_DEP_3)
	v_add_co_ci_u32_e32 v20, vcc_lo, v6, v2, vcc_lo
	v_add_co_u32 v17, vcc_lo, v5, v3
	s_delay_alu instid0(VALU_DEP_4)
	v_add_co_ci_u32_e32 v18, vcc_lo, v6, v4, vcc_lo
	s_clause 0xb
	global_load_b128 v[1:4], v[19:20], off
	global_load_b128 v[5:8], v[19:20], off offset:256
	global_load_b128 v[129:132], v[17:18], off
	global_load_b128 v[133:136], v[17:18], off offset:256
	global_load_b128 v[33:36], v[19:20], off offset:512
	;; [unrolled: 1-line block ×9, first 2 shown]
	ds_load_b128 v[159:162], v197
	ds_load_b128 v[163:166], v197 offset:1024
	s_clause 0x3
	global_load_b128 v[167:170], v[19:20], off offset:1536
	global_load_b128 v[171:174], v[19:20], off offset:1792
	global_load_b128 v[175:178], v[17:18], off offset:1536
	global_load_b128 v[179:182], v[17:18], off offset:1792
	s_ashr_i32 s5, s4, 4
	s_cmp_lt_i32 s4, s33
	s_cselect_b32 s4, s5, s3
	s_delay_alu instid0(SALU_CYCLE_1) | instskip(NEXT) | instid1(SALU_CYCLE_1)
	s_ashr_i32 s5, s4, 31
	s_lshl_b64 s[4:5], s[4:5], 2
	s_delay_alu instid0(SALU_CYCLE_1) | instskip(SKIP_2) | instid1(SALU_CYCLE_1)
	s_add_u32 s20, s16, s4
	s_addc_u32 s21, s36, s5
	s_or_b32 s4, s34, 0x70
	s_ashr_i32 s5, s4, 4
	s_cmp_lt_i32 s4, s33
	s_cselect_b32 s4, s5, s3
	s_delay_alu instid0(SALU_CYCLE_1) | instskip(NEXT) | instid1(SALU_CYCLE_1)
	s_ashr_i32 s5, s4, 31
	s_lshl_b64 s[6:7], s[4:5], 2
	s_mov_b32 s4, 0
	s_add_u32 s24, s16, s6
	s_addc_u32 s25, s36, s7
	s_or_b32 s5, s34, 0x80
	s_mov_b32 s11, s4
	s_ashr_i32 s6, s5, 4
	s_cmp_lt_i32 s5, s33
	s_mov_b32 s5, s4
	s_cselect_b32 s8, s6, s3
	s_mov_b32 s6, s4
	s_ashr_i32 s9, s8, 31
	s_mov_b32 s7, s4
	s_lshl_b64 s[8:9], s[8:9], 2
	s_load_b32 s46, s[24:25], 0x0
	s_add_u32 s26, s16, s8
	s_addc_u32 s27, s36, s9
	s_or_b32 s9, s34, 0x90
	s_load_b32 s47, s[26:27], 0x0
	s_ashr_i32 s10, s9, 4
	s_cmp_lt_i32 s9, s33
	s_mov_b32 s8, s4
	s_cselect_b32 s38, s10, s3
	s_mov_b32 s9, s4
	s_ashr_i32 s39, s38, 31
	s_mov_b32 s10, s4
	s_lshl_b64 s[38:39], s[38:39], 2
	v_mov_b32_e32 v144, s11
	s_add_u32 s38, s16, s38
	s_addc_u32 s39, s36, s39
	s_or_b32 s40, s34, 0xa0
	v_mov_b32_e32 v143, s10
	s_ashr_i32 s41, s40, 4
	s_cmp_lt_i32 s40, s33
	v_mov_b32_e32 v142, s9
	s_cselect_b32 s40, s41, s3
	v_mov_b32_e32 v141, s8
	s_ashr_i32 s41, s40, 31
	v_dual_mov_b32 v140, s7 :: v_dual_mov_b32 v139, s6
	v_dual_mov_b32 v138, s5 :: v_dual_mov_b32 v137, s4
	s_lshl_b64 s[4:5], s[40:41], 2
	s_waitcnt lgkmcnt(0)
	s_mul_hi_i32 s7, s29, s17
	s_add_u32 s42, s16, s4
	s_addc_u32 s43, s36, s5
	s_or_b32 s4, s34, 0xb0
	s_mul_hi_i32 s5, s37, s17
	s_ashr_i32 s6, s4, 4
	s_cmp_lt_i32 s4, s33
	s_mul_i32 s4, s37, s17
	s_cselect_b32 s8, s6, s3
	s_mul_i32 s6, s29, s17
	s_ashr_i32 s9, s8, 31
	s_load_b32 s41, s[20:21], 0x0
	s_lshl_b64 s[8:9], s[8:9], 2
	s_load_b32 s40, s[38:39], 0x0
	s_add_u32 s44, s16, s8
	s_addc_u32 s45, s36, s9
	s_or_b32 s8, s34, 0xc0
	s_mul_hi_i32 s9, s28, s17
	s_ashr_i32 s10, s8, 4
	s_cmp_lt_i32 s8, s33
	s_mul_i32 s8, s28, s17
	s_cselect_b32 s28, s10, s3
	s_load_b32 s39, s[42:43], 0x0
	s_ashr_i32 s29, s28, 31
	s_mul_hi_i32 s21, s15, s17
	s_lshl_b64 s[28:29], s[28:29], 2
	s_mul_hi_i32 s27, s46, s17
	s_add_u32 s28, s16, s28
	s_addc_u32 s29, s36, s29
	s_or_b32 s37, s34, 0xd0
	s_mul_i32 s26, s46, s17
	s_ashr_i32 s20, s37, 4
	s_cmp_lt_i32 s37, s33
	s_mul_hi_i32 s11, s19, s17
	s_cselect_b32 s24, s20, s3
	s_mul_i32 s20, s15, s17
	s_ashr_i32 s25, s24, 31
	s_mul_i32 s10, s19, s17
	s_lshl_b64 s[24:25], s[24:25], 2
	s_mul_hi_i32 s19, s18, s17
	s_add_u32 s24, s16, s24
	s_addc_u32 s25, s36, s25
	s_or_b32 s42, s34, 0xe0
	s_clause 0x2
	s_load_b32 s38, s[44:45], 0x0
	s_load_b32 s37, s[28:29], 0x0
	;; [unrolled: 1-line block ×3, first 2 shown]
	s_ashr_i32 s43, s42, 4
	s_cmp_lt_i32 s42, s33
	s_mul_hi_i32 s29, s47, s17
	s_cselect_b32 s42, s43, s3
	s_mul_i32 s28, s47, s17
	s_ashr_i32 s43, s42, 31
	s_mul_i32 s18, s18, s17
	s_lshl_b64 s[42:43], s[42:43], 2
	s_waitcnt lgkmcnt(0)
	s_mul_hi_i32 s25, s41, s17
	s_add_u32 s42, s16, s42
	s_addc_u32 s43, s36, s43
	s_or_b32 s46, s34, 0xf0
	s_mul_i32 s24, s41, s17
	s_ashr_i32 s47, s46, 4
	s_cmp_lt_i32 s46, s33
	s_mul_hi_i32 s41, s40, s17
	s_cselect_b32 s46, s47, s3
	s_mul_i32 s40, s40, s17
	s_ashr_i32 s47, s46, 31
	s_mul_hi_i32 s51, s15, s17
	s_lshl_b64 s[46:47], s[46:47], 2
	s_mul_i32 s50, s15, s17
	s_add_u32 s46, s16, s46
	s_addc_u32 s47, s36, s47
	s_add_u32 s3, s22, s12
	s_addc_u32 s15, s23, s13
	v_add_co_u32 v195, s3, s3, v22
	s_delay_alu instid0(VALU_DEP_1) | instskip(SKIP_2) | instid1(VALU_DEP_2)
	v_add_co_ci_u32_e64 v196, null, s15, 0, s3
	s_lshl_b64 s[4:5], s[4:5], 1
	s_lshl_b64 s[6:7], s[6:7], 1
	v_add_co_u32 v17, vcc_lo, v195, s4
	s_delay_alu instid0(VALU_DEP_2)
	v_add_co_ci_u32_e32 v18, vcc_lo, s5, v196, vcc_lo
	v_add_co_u32 v19, vcc_lo, v195, s6
	s_lshl_b64 s[8:9], s[8:9], 1
	v_add_co_ci_u32_e32 v20, vcc_lo, s7, v196, vcc_lo
	v_add_co_u32 v21, vcc_lo, v195, s8
	s_lshl_b64 s[10:11], s[10:11], 1
	;; [unrolled: 3-line block ×8, first 2 shown]
	s_mul_hi_i32 s45, s39, s17
	s_mul_i32 s44, s39, s17
	v_add_co_ci_u32_e32 v50, vcc_lo, s25, v196, vcc_lo
	v_add_co_u32 v53, vcc_lo, v195, s26
	s_lshl_b64 s[28:29], s[44:45], 1
	s_mul_hi_i32 s39, s38, s17
	s_mul_i32 s38, s38, s17
	v_add_co_ci_u32_e32 v54, vcc_lo, s27, v196, vcc_lo
	v_add_co_u32 v183, vcc_lo, v195, s28
	s_mul_hi_i32 s49, s37, s17
	s_mul_i32 s48, s37, s17
	s_lshl_b64 s[36:37], s[38:39], 1
	v_add_co_ci_u32_e32 v184, vcc_lo, s29, v196, vcc_lo
	v_add_co_u32 v185, vcc_lo, v195, s36
	s_lshl_b64 s[38:39], s[48:49], 1
	s_clause 0x1
	s_load_b32 s3, s[42:43], 0x0
	s_load_b32 s15, s[46:47], 0x0
	v_add_co_ci_u32_e32 v186, vcc_lo, s37, v196, vcc_lo
	v_add_co_u32 v191, vcc_lo, v195, s38
	v_add_co_ci_u32_e32 v192, vcc_lo, s39, v196, vcc_lo
	s_clause 0x17
	global_load_b128 v[121:124], v[17:18], off
	global_load_b128 v[125:128], v[17:18], off offset:16
	global_load_b128 v[113:116], v[19:20], off
	global_load_b128 v[117:120], v[19:20], off offset:16
	;; [unrolled: 2-line block ×12, first 2 shown]
	s_lshl_b64 s[40:41], s[50:51], 1
	s_delay_alu instid0(SALU_CYCLE_1)
	v_add_co_u32 v193, vcc_lo, v195, s40
	v_add_co_ci_u32_e32 v194, vcc_lo, s41, v196, vcc_lo
	s_waitcnt lgkmcnt(0)
	s_mul_hi_i32 s5, s3, s17
	s_mul_i32 s4, s3, s17
	s_mul_hi_i32 s7, s15, s17
	s_lshl_b64 s[4:5], s[4:5], 1
	s_mul_i32 s6, s15, s17
	s_waitcnt vmcnt(38)
	v_wmma_f32_16x16x16_bf16 v[183:190], v[1:8], v[159:166], v[137:144]
	s_waitcnt vmcnt(36)
	v_wmma_f32_16x16x16_bf16 v[137:144], v[129:136], v[159:166], v[137:144]
	s_clause 0x1
	global_load_b128 v[1:4], v[191:192], off
	global_load_b128 v[5:8], v[191:192], off offset:16
	ds_load_b128 v[129:132], v197 offset:2048
	ds_load_b128 v[133:136], v197 offset:3072
	;; [unrolled: 1-line block ×4, first 2 shown]
	v_add_co_u32 v191, vcc_lo, v195, s4
	v_add_co_ci_u32_e32 v192, vcc_lo, s5, v196, vcc_lo
	s_lshl_b64 s[4:5], s[6:7], 1
	s_delay_alu instid0(SALU_CYCLE_1)
	v_add_co_u32 v195, vcc_lo, v195, s4
	v_add_co_ci_u32_e32 v196, vcc_lo, s5, v196, vcc_lo
	s_waitcnt vmcnt(36) lgkmcnt(2)
	v_wmma_f32_16x16x16_bf16 v[183:190], v[33:40], v[129:136], v[183:190]
	s_waitcnt vmcnt(34)
	v_wmma_f32_16x16x16_bf16 v[137:144], v[25:32], v[129:136], v[137:144]
	s_clause 0x3
	global_load_b128 v[25:28], v[193:194], off
	global_load_b128 v[29:32], v[193:194], off offset:16
	global_load_b128 v[33:36], v[191:192], off
	global_load_b128 v[37:40], v[191:192], off offset:16
	v_and_b32_e32 v129, 0xe0, v0
	v_mbcnt_lo_u32_b32 v191, -1, 0
	s_waitcnt vmcnt(36) lgkmcnt(0)
	v_wmma_f32_16x16x16_bf16 v[183:190], v[9:16], v[159:166], v[183:190]
	s_clause 0x1
	global_load_b128 v[9:12], v[195:196], off
	global_load_b128 v[13:16], v[195:196], off offset:16
	s_waitcnt vmcnt(36)
	v_wmma_f32_16x16x16_bf16 v[137:144], v[151:158], v[159:166], v[137:144]
	v_add_nc_u32_e32 v192, s34, v129
	ds_load_b128 v[129:132], v197 offset:6144
	ds_load_b128 v[133:136], v197 offset:7168
	v_xor_b32_e32 v151, 16, v191
	s_waitcnt vmcnt(0) lgkmcnt(0)
	s_barrier
	v_or_b32_e32 v152, v192, v146
	buffer_gl0_inv
	v_cmp_gt_i32_e32 vcc_lo, 32, v151
	v_or_b32_e32 v153, 2, v152
	v_or_b32_e32 v154, 4, v152
	;; [unrolled: 1-line block ×5, first 2 shown]
	v_cmp_gt_i32_e64 s3, s33, v153
	v_or_b32_e32 v158, 12, v152
	v_cmp_gt_i32_e64 s4, s33, v154
	v_cmp_gt_i32_e64 s5, s33, v155
	v_or_b32_e32 v159, 14, v152
	v_cmp_gt_i32_e64 s6, s33, v156
	v_wmma_f32_16x16x16_bf16 v[183:190], v[167:174], v[129:136], v[183:190]
	v_wmma_f32_16x16x16_bf16 v[137:144], v[175:182], v[129:136], v[137:144]
	v_cndmask_b32_e32 v151, v191, v151, vcc_lo
	v_cmp_gt_i32_e32 vcc_lo, s33, v152
	v_cmp_gt_i32_e64 s7, s33, v157
	v_dual_mul_f32 v135, s35, v184 :: v_dual_mul_f32 v136, s35, v183
	v_mul_f32_e32 v134, s35, v185
	v_dual_mul_f32 v168, s35, v144 :: v_dual_mul_f32 v133, s35, v186
	s_delay_alu instid0(VALU_DEP_3) | instskip(NEXT) | instid1(VALU_DEP_4)
	v_cndmask_b32_e64 v135, 0xff7fffff, v135, s3
	v_cndmask_b32_e32 v136, 0xff7fffff, v136, vcc_lo
	v_dual_mul_f32 v131, s35, v188 :: v_dual_mul_f32 v174, s35, v138
	v_mul_f32_e32 v132, s35, v187
	v_cndmask_b32_e64 v134, 0xff7fffff, v134, s4
	s_delay_alu instid0(VALU_DEP_4)
	v_max3_f32 v135, v136, 0xff7fffff, v135
	v_cmp_gt_i32_e64 s8, s33, v158
	v_lshlrev_b32_e32 v158, 2, v151
	v_cndmask_b32_e64 v133, 0xff7fffff, v133, s5
	v_or_b32_e32 v160, 16, v152
	v_or_b32_e32 v161, 18, v152
	v_dual_mul_f32 v129, s35, v190 :: v_dual_mul_f32 v172, s35, v140
	v_mul_f32_e32 v130, s35, v189
	v_cndmask_b32_e64 v132, 0xff7fffff, v132, s6
	v_cndmask_b32_e64 v131, 0xff7fffff, v131, s7
	v_max3_f32 v133, v135, v134, v133
	v_cmp_gt_i32_e64 s9, s33, v159
	v_or_b32_e32 v162, 20, v152
	v_or_b32_e32 v163, 22, v152
	v_mul_f32_e32 v175, s35, v137
	v_cndmask_b32_e64 v130, 0xff7fffff, v130, s8
	v_cndmask_b32_e64 v129, 0xff7fffff, v129, s9
	v_max3_f32 v131, v133, v132, v131
	v_cmp_gt_i32_e64 s10, s33, v160
	v_cmp_gt_i32_e64 s11, s33, v161
	v_or_b32_e32 v164, 24, v152
	v_or_b32_e32 v165, 26, v152
	v_mul_f32_e32 v173, s35, v139
	v_cndmask_b32_e64 v132, 0xff7fffff, v175, s10
	v_cndmask_b32_e64 v133, 0xff7fffff, v174, s11
	v_max3_f32 v129, v131, v130, v129
	v_cmp_gt_i32_e64 s12, s33, v162
	v_cmp_gt_i32_e64 s13, s33, v163
	v_or_b32_e32 v166, 28, v152
	v_or_b32_e32 v167, 30, v152
	v_dual_mul_f32 v170, s35, v142 :: v_dual_mul_f32 v171, s35, v141
	v_cndmask_b32_e64 v130, 0xff7fffff, v173, s12
	v_cndmask_b32_e64 v131, 0xff7fffff, v172, s13
	v_max3_f32 v129, v129, v132, v133
	v_cmp_gt_i32_e64 s15, s33, v164
	v_cmp_gt_i32_e64 s16, s33, v165
	v_mul_f32_e32 v169, s35, v143
	v_cmp_gt_i32_e64 s17, s33, v166
	v_max3_f32 v129, v129, v130, v131
	v_cndmask_b32_e64 v132, 0xff7fffff, v171, s15
	v_cndmask_b32_e64 v133, 0xff7fffff, v170, s16
	v_cmp_gt_i32_e64 s18, s33, v167
	v_cndmask_b32_e64 v130, 0xff7fffff, v169, s17
	s_delay_alu instid0(VALU_DEP_3) | instskip(NEXT) | instid1(VALU_DEP_3)
	v_max3_f32 v129, v129, v132, v133
	v_cndmask_b32_e64 v131, 0xff7fffff, v168, s18
	s_delay_alu instid0(VALU_DEP_1) | instskip(SKIP_3) | instid1(VALU_DEP_1)
	v_max3_f32 v129, v129, v130, v131
	ds_bpermute_b32 v130, v158, v129
	s_waitcnt lgkmcnt(0)
	v_max_f32_e32 v130, v130, v130
	v_max_f32_e32 v129, v129, v130
	s_delay_alu instid0(VALU_DEP_1)
	v_fma_f32 v130, s35, v183, -v129
	v_fma_f32 v132, s35, v185, -v129
	;; [unrolled: 1-line block ×5, first 2 shown]
	v_mul_f32_e32 v130, 0x3fb8aa3b, v130
	v_mul_f32_e32 v132, 0x3fb8aa3b, v132
	v_fma_f32 v135, s35, v189, -v129
	v_mul_f32_e32 v134, 0x3fb8aa3b, v134
	s_delay_alu instid0(VALU_DEP_4) | instskip(NEXT) | instid1(VALU_DEP_3)
	v_exp_f32_e32 v130, v130
	v_exp_f32_e32 v132, v132
	s_delay_alu instid0(VALU_DEP_1) | instskip(NEXT) | instid1(TRANS32_DEP_3)
	v_exp_f32_e32 v134, v134
	v_cndmask_b32_e32 v152, 0, v130, vcc_lo
	v_fma_f32 v130, s35, v188, -v129
	v_mul_f32_e32 v131, 0x3fb8aa3b, v131
	s_waitcnt_depctr 0xfff
	v_cndmask_b32_e64 v153, 0, v132, s4
	v_fma_f32 v132, s35, v190, -v129
	v_dual_mul_f32 v133, 0x3fb8aa3b, v133 :: v_dual_mul_f32 v130, 0x3fb8aa3b, v130
	v_exp_f32_e32 v131, v131
	v_cndmask_b32_e64 v155, 0, v134, s6
	s_delay_alu instid0(VALU_DEP_3) | instskip(NEXT) | instid1(VALU_DEP_3)
	v_mul_f32_e32 v132, 0x3fb8aa3b, v132
	v_exp_f32_e32 v133, v133
	v_exp_f32_e32 v130, v130
	v_fma_f32 v134, s35, v138, -v129
	s_delay_alu instid0(VALU_DEP_2) | instskip(SKIP_1) | instid1(VALU_DEP_2)
	v_exp_f32_e32 v132, v132
	v_cndmask_b32_e64 v151, 0, v131, s3
	v_dual_add_f32 v131, 0, v152 :: v_dual_mul_f32 v134, 0x3fb8aa3b, v134
	s_delay_alu instid0(TRANS32_DEP_3)
	v_cndmask_b32_e64 v154, 0, v133, s5
	s_waitcnt_depctr 0xfff
	v_cndmask_b32_e64 v156, 0, v130, s7
	v_fma_f32 v133, s35, v137, -v129
	v_add_f32_e32 v131, v131, v151
	v_exp_f32_e32 v134, v134
	s_mov_b32 s3, exec_lo
	s_delay_alu instid0(VALU_DEP_1) | instskip(NEXT) | instid1(VALU_DEP_1)
	v_add_f32_e32 v131, v131, v153
	v_add_f32_e32 v131, v131, v154
	s_delay_alu instid0(VALU_DEP_1) | instskip(SKIP_1) | instid1(VALU_DEP_2)
	v_dual_mul_f32 v133, 0x3fb8aa3b, v133 :: v_dual_add_f32 v130, v131, v155
	v_fma_f32 v131, s35, v139, -v129
	v_exp_f32_e32 v133, v133
	v_fma_f32 v139, s35, v144, -v129
	s_delay_alu instid0(VALU_DEP_3) | instskip(NEXT) | instid1(VALU_DEP_1)
	v_dual_add_f32 v130, v130, v156 :: v_dual_mul_f32 v135, 0x3fb8aa3b, v135
	v_exp_f32_e32 v135, v135
	s_waitcnt_depctr 0xfff
	v_cndmask_b32_e64 v157, 0, v135, s8
	v_fma_f32 v135, s35, v140, -v129
	v_cndmask_b32_e64 v140, 0, v132, s9
	v_fma_f32 v132, s35, v141, -v129
	s_delay_alu instid0(VALU_DEP_4) | instskip(NEXT) | instid1(VALU_DEP_1)
	v_add_f32_e32 v130, v130, v157
	v_add_f32_e32 v130, v130, v140
	s_delay_alu instid0(VALU_DEP_3) | instskip(SKIP_4) | instid1(VALU_DEP_3)
	v_mul_f32_e32 v137, 0x3fb8aa3b, v132
	v_cndmask_b32_e64 v132, 0, v134, s11
	v_mul_f32_e32 v131, 0x3fb8aa3b, v131
	v_fma_f32 v134, s35, v143, -v129
	v_mul_f32_e32 v135, 0x3fb8aa3b, v135
	v_exp_f32_e32 v136, v131
	v_cndmask_b32_e64 v131, 0, v133, s10
	v_fma_f32 v133, s35, v142, -v129
	s_delay_alu instid0(VALU_DEP_2) | instskip(NEXT) | instid1(VALU_DEP_2)
	v_add_f32_e32 v130, v130, v131
	v_mul_f32_e32 v138, 0x3fb8aa3b, v133
	v_exp_f32_e32 v137, v137
	s_waitcnt_depctr 0xfff
	v_cndmask_b32_e64 v133, 0, v136, s12
	v_mul_f32_e32 v136, 0x3fb8aa3b, v134
	v_exp_f32_e32 v135, v135
	v_add_f32_e32 v130, v130, v132
	v_exp_f32_e32 v138, v138
	s_delay_alu instid0(VALU_DEP_2) | instskip(NEXT) | instid1(VALU_DEP_1)
	v_exp_f32_e32 v141, v136
	v_add_f32_e32 v130, v130, v133
	s_delay_alu instid0(TRANS32_DEP_3)
	v_cndmask_b32_e64 v134, 0, v135, s13
	v_cndmask_b32_e64 v135, 0, v137, s15
	v_mul_f32_e32 v137, 0x3fb8aa3b, v139
	s_waitcnt_depctr 0xfff
	v_cndmask_b32_e64 v136, 0, v138, s16
	v_add_f32_e32 v130, v130, v134
	v_exp_f32_e32 v138, v137
	v_cndmask_b32_e64 v137, 0, v141, s17
	s_delay_alu instid0(VALU_DEP_2) | instskip(NEXT) | instid1(VALU_DEP_1)
	v_add_f32_e32 v130, v130, v135
	v_add_f32_e32 v130, v130, v136
	s_waitcnt_depctr 0xfff
	v_cndmask_b32_e64 v138, 0, v138, s18
	v_add_f32_e32 v130, v130, v137
	s_delay_alu instid0(VALU_DEP_1)
	v_add_f32_e32 v130, v130, v138
	ds_bpermute_b32 v139, v158, v130
	v_cmpx_gt_u32_e32 16, v150
	s_cbranch_execz .LBB391_12
; %bb.11:
	v_mul_u32_u24_e32 v141, 0x44, v149
	s_delay_alu instid0(VALU_DEP_1) | instskip(SKIP_1) | instid1(VALU_DEP_1)
	v_lshl_add_u32 v141, v148, 2, v141
	s_waitcnt lgkmcnt(0)
	v_dual_add_f32 v130, v130, v139 :: v_dual_add_nc_u32 v139, 0x4000, v141
	ds_store_2addr_b32 v139, v129, v130 offset1:136
.LBB391_12:
	s_or_b32 exec_lo, exec_lo, s3
	v_lshlrev_b32_e32 v129, 2, v148
	s_waitcnt lgkmcnt(0)
	s_barrier
	buffer_gl0_inv
	v_cmp_eq_u32_e64 s3, 1, v149
	v_add_nc_u32_e32 v139, 0x4000, v129
	ds_load_2addr_b32 v[141:142], v139 offset1:17
	ds_load_2addr_b32 v[143:144], v139 offset0:34 offset1:51
	ds_load_2addr_b32 v[158:159], v139 offset0:68 offset1:85
	;; [unrolled: 1-line block ×4, first 2 shown]
	s_waitcnt lgkmcnt(4)
	v_max3_f32 v129, v141, 0xff7fffff, v142
	s_waitcnt lgkmcnt(3)
	s_delay_alu instid0(VALU_DEP_1) | instskip(SKIP_1) | instid1(VALU_DEP_1)
	v_max3_f32 v129, v129, v143, v144
	s_waitcnt lgkmcnt(2)
	v_max3_f32 v129, v129, v158, v159
	s_waitcnt lgkmcnt(1)
	s_delay_alu instid0(VALU_DEP_1) | instskip(NEXT) | instid1(VALU_DEP_1)
	v_max3_f32 v129, v129, v160, v161
	v_sub_f32_e32 v158, v158, v129
	s_delay_alu instid0(VALU_DEP_1) | instskip(NEXT) | instid1(VALU_DEP_1)
	v_dual_sub_f32 v150, v142, v129 :: v_dual_mul_f32 v167, 0x3fb8aa3b, v158
	v_dual_sub_f32 v143, v143, v129 :: v_dual_mul_f32 v150, 0x3fb8aa3b, v150
	s_delay_alu instid0(VALU_DEP_1) | instskip(NEXT) | instid1(VALU_DEP_2)
	v_dual_sub_f32 v130, v141, v129 :: v_dual_mul_f32 v165, 0x3fb8aa3b, v143
	v_exp_f32_e32 v150, v150
	s_delay_alu instid0(VALU_DEP_1) | instskip(NEXT) | instid1(VALU_DEP_2)
	v_mul_f32_e32 v130, 0x3fb8aa3b, v130
	v_exp_f32_e32 v165, v165
	s_delay_alu instid0(VALU_DEP_1) | instskip(SKIP_1) | instid1(VALU_DEP_1)
	v_exp_f32_e32 v164, v130
	v_sub_f32_e32 v130, v144, v129
	v_mul_f32_e32 v166, 0x3fb8aa3b, v130
	s_waitcnt lgkmcnt(0)
	s_waitcnt_depctr 0xfff
	v_fma_f32 v130, v164, v162, 0
	v_sub_f32_e32 v162, v159, v129
	s_delay_alu instid0(VALU_DEP_2)
	v_fmac_f32_e32 v130, v150, v163
	ds_load_2addr_b32 v[141:142], v139 offset0:170 offset1:187
	ds_load_2addr_b32 v[143:144], v139 offset0:204 offset1:221
	;; [unrolled: 1-line block ×3, first 2 shown]
	v_sub_f32_e32 v139, v160, v129
	v_exp_f32_e32 v166, v166
	v_mul_f32_e32 v160, 0x3fb8aa3b, v162
	v_exp_f32_e32 v162, v167
	v_cndmask_b32_e64 v150, v164, v150, s3
	v_mul_f32_e32 v139, 0x3fb8aa3b, v139
	v_cmp_eq_u32_e64 s3, 2, v149
	s_waitcnt lgkmcnt(0)
	s_barrier
	buffer_gl0_inv
	v_exp_f32_e32 v139, v139
	v_cndmask_b32_e64 v150, v150, v165, s3
	v_cmp_eq_u32_e64 s3, 3, v149
	v_fmac_f32_e32 v130, v165, v141
	v_sub_f32_e32 v141, v161, v129
	v_exp_f32_e32 v160, v160
	s_delay_alu instid0(VALU_DEP_3) | instskip(SKIP_1) | instid1(VALU_DEP_3)
	v_cndmask_b32_e64 v150, v150, v166, s3
	v_cmp_eq_u32_e64 s3, 4, v149
	v_dual_fmac_f32 v130, v166, v142 :: v_dual_mul_f32 v141, 0x3fb8aa3b, v141
	s_delay_alu instid0(VALU_DEP_2) | instskip(SKIP_1) | instid1(VALU_DEP_3)
	v_cndmask_b32_e64 v150, v150, v162, s3
	v_cmp_eq_u32_e64 s3, 5, v149
	v_exp_f32_e32 v141, v141
	s_delay_alu instid0(VALU_DEP_3)
	v_fmac_f32_e32 v130, v162, v143
	s_delay_alu instid0(TRANS32_DEP_2) | instid1(VALU_DEP_2)
	v_cndmask_b32_e64 v150, v150, v160, s3
	s_delay_alu instid0(VALU_DEP_2) | instskip(NEXT) | instid1(VALU_DEP_1)
	v_fmac_f32_e32 v130, v160, v144
	v_fmac_f32_e32 v130, v139, v158
	s_waitcnt_depctr 0xfff
	v_fmac_f32_e32 v130, v141, v159
	s_delay_alu instid0(VALU_DEP_1) | instskip(NEXT) | instid1(VALU_DEP_1)
	v_add_f32_e32 v142, 0x358637bd, v130
	v_div_scale_f32 v143, null, v142, v142, 1.0
	v_div_scale_f32 v159, vcc_lo, 1.0, v142, 1.0
	s_delay_alu instid0(VALU_DEP_2) | instskip(SKIP_2) | instid1(VALU_DEP_1)
	v_rcp_f32_e32 v144, v143
	s_waitcnt_depctr 0xfff
	v_fma_f32 v158, -v143, v144, 1.0
	v_fmac_f32_e32 v144, v158, v144
	s_delay_alu instid0(VALU_DEP_1) | instskip(NEXT) | instid1(VALU_DEP_1)
	v_mul_f32_e32 v158, v159, v144
	v_fma_f32 v161, -v143, v158, v159
	s_delay_alu instid0(VALU_DEP_1) | instskip(NEXT) | instid1(VALU_DEP_1)
	v_fmac_f32_e32 v158, v161, v144
	v_fma_f32 v143, -v143, v158, v159
	s_delay_alu instid0(VALU_DEP_1) | instskip(SKIP_1) | instid1(VALU_DEP_2)
	v_div_fmas_f32 v143, v143, v144, v158
	v_cmp_eq_u32_e32 vcc_lo, 6, v149
	v_div_fixup_f32 v142, v143, v142, 1.0
	v_cndmask_b32_e32 v139, v150, v139, vcc_lo
	v_cmp_eq_u32_e32 vcc_lo, 7, v149
	s_delay_alu instid0(VALU_DEP_2) | instskip(NEXT) | instid1(VALU_DEP_1)
	v_cndmask_b32_e32 v139, v139, v141, vcc_lo
	v_mul_f32_e32 v139, v139, v142
	s_delay_alu instid0(VALU_DEP_1) | instskip(SKIP_4) | instid1(VALU_DEP_4)
	v_mul_f32_e32 v153, v139, v153
	v_mul_f32_e32 v142, v139, v152
	;; [unrolled: 1-line block ×5, first 2 shown]
	v_dual_mul_f32 v152, v139, v155 :: v_dual_and_b32 v141, 0x7f800000, v142
	v_mul_f32_e32 v154, v139, v154
	v_mul_f32_e32 v144, v139, v151
	s_delay_alu instid0(VALU_DEP_3) | instskip(SKIP_1) | instid1(SALU_CYCLE_1)
	v_cmp_ne_u32_e32 vcc_lo, 0x7f800000, v141
                                        ; implicit-def: $vgpr141
	s_and_saveexec_b32 s3, vcc_lo
	s_xor_b32 s3, exec_lo, s3
; %bb.13:
	v_bfe_u32 v141, v142, 16, 1
	s_delay_alu instid0(VALU_DEP_1)
	v_add3_u32 v141, v142, v141, 0x7fff
                                        ; implicit-def: $vgpr142
; %bb.14:
	s_and_not1_saveexec_b32 s3, s3
; %bb.15:
	v_and_b32_e32 v141, 0xffff, v142
	v_or_b32_e32 v151, 0x10000, v142
	s_delay_alu instid0(VALU_DEP_2) | instskip(NEXT) | instid1(VALU_DEP_2)
	v_cmp_eq_u32_e32 vcc_lo, 0, v141
	v_cndmask_b32_e32 v141, v151, v142, vcc_lo
; %bb.16:
	s_or_b32 exec_lo, exec_lo, s3
	v_and_b32_e32 v142, 0x7f800000, v144
	s_delay_alu instid0(VALU_DEP_1) | instskip(SKIP_1) | instid1(SALU_CYCLE_1)
	v_cmp_ne_u32_e32 vcc_lo, 0x7f800000, v142
                                        ; implicit-def: $vgpr142
	s_and_saveexec_b32 s3, vcc_lo
	s_xor_b32 s3, exec_lo, s3
; %bb.17:
	v_bfe_u32 v142, v144, 16, 1
	s_delay_alu instid0(VALU_DEP_1)
	v_add3_u32 v142, v144, v142, 0x7fff
                                        ; implicit-def: $vgpr144
; %bb.18:
	s_and_not1_saveexec_b32 s3, s3
; %bb.19:
	v_and_b32_e32 v142, 0xffff, v144
	v_or_b32_e32 v151, 0x10000, v144
	s_delay_alu instid0(VALU_DEP_2) | instskip(NEXT) | instid1(VALU_DEP_2)
	v_cmp_eq_u32_e32 vcc_lo, 0, v142
	v_cndmask_b32_e32 v142, v151, v144, vcc_lo
; %bb.20:
	s_or_b32 exec_lo, exec_lo, s3
	v_and_b32_e32 v144, 0x7f800000, v153
	s_delay_alu instid0(VALU_DEP_1) | instskip(SKIP_1) | instid1(SALU_CYCLE_1)
	v_cmp_ne_u32_e32 vcc_lo, 0x7f800000, v144
                                        ; implicit-def: $vgpr144
	s_and_saveexec_b32 s3, vcc_lo
	s_xor_b32 s3, exec_lo, s3
; %bb.21:
	v_bfe_u32 v144, v153, 16, 1
	s_delay_alu instid0(VALU_DEP_1)
	v_add3_u32 v144, v153, v144, 0x7fff
                                        ; implicit-def: $vgpr153
; %bb.22:
	s_and_not1_saveexec_b32 s3, s3
; %bb.23:
	v_and_b32_e32 v144, 0xffff, v153
	v_or_b32_e32 v151, 0x10000, v153
	s_delay_alu instid0(VALU_DEP_2) | instskip(NEXT) | instid1(VALU_DEP_2)
	v_cmp_eq_u32_e32 vcc_lo, 0, v144
	v_cndmask_b32_e32 v144, v151, v153, vcc_lo
; %bb.24:
	s_or_b32 exec_lo, exec_lo, s3
	v_and_b32_e32 v151, 0x7f800000, v154
	s_delay_alu instid0(VALU_DEP_1) | instskip(SKIP_1) | instid1(SALU_CYCLE_1)
	v_cmp_ne_u32_e32 vcc_lo, 0x7f800000, v151
                                        ; implicit-def: $vgpr151
	s_and_saveexec_b32 s3, vcc_lo
	s_xor_b32 s3, exec_lo, s3
; %bb.25:
	v_bfe_u32 v151, v154, 16, 1
	s_delay_alu instid0(VALU_DEP_1)
	v_add3_u32 v151, v154, v151, 0x7fff
                                        ; implicit-def: $vgpr154
; %bb.26:
	s_and_not1_saveexec_b32 s3, s3
; %bb.27:
	v_and_b32_e32 v151, 0xffff, v154
	v_or_b32_e32 v153, 0x10000, v154
	s_delay_alu instid0(VALU_DEP_2) | instskip(NEXT) | instid1(VALU_DEP_2)
	v_cmp_eq_u32_e32 vcc_lo, 0, v151
	v_cndmask_b32_e32 v151, v153, v154, vcc_lo
; %bb.28:
	s_or_b32 exec_lo, exec_lo, s3
	v_and_b32_e32 v153, 0x7f800000, v152
	s_delay_alu instid0(VALU_DEP_1) | instskip(SKIP_1) | instid1(SALU_CYCLE_1)
	v_cmp_ne_u32_e32 vcc_lo, 0x7f800000, v153
                                        ; implicit-def: $vgpr153
	s_and_saveexec_b32 s3, vcc_lo
	s_xor_b32 s3, exec_lo, s3
; %bb.29:
	v_bfe_u32 v153, v152, 16, 1
	s_delay_alu instid0(VALU_DEP_1)
	v_add3_u32 v153, v152, v153, 0x7fff
                                        ; implicit-def: $vgpr152
; %bb.30:
	s_and_not1_saveexec_b32 s3, s3
; %bb.31:
	v_and_b32_e32 v153, 0xffff, v152
	v_or_b32_e32 v154, 0x10000, v152
	s_delay_alu instid0(VALU_DEP_2) | instskip(NEXT) | instid1(VALU_DEP_2)
	v_cmp_eq_u32_e32 vcc_lo, 0, v153
	v_cndmask_b32_e32 v153, v154, v152, vcc_lo
; %bb.32:
	s_or_b32 exec_lo, exec_lo, s3
	v_and_b32_e32 v152, 0x7f800000, v150
	s_delay_alu instid0(VALU_DEP_1) | instskip(SKIP_1) | instid1(SALU_CYCLE_1)
	v_cmp_ne_u32_e32 vcc_lo, 0x7f800000, v152
                                        ; implicit-def: $vgpr152
	s_and_saveexec_b32 s3, vcc_lo
	s_xor_b32 s3, exec_lo, s3
; %bb.33:
	v_bfe_u32 v152, v150, 16, 1
	s_delay_alu instid0(VALU_DEP_1)
	v_add3_u32 v152, v150, v152, 0x7fff
                                        ; implicit-def: $vgpr150
; %bb.34:
	s_and_not1_saveexec_b32 s3, s3
; %bb.35:
	v_and_b32_e32 v152, 0xffff, v150
	v_or_b32_e32 v154, 0x10000, v150
	s_delay_alu instid0(VALU_DEP_2) | instskip(NEXT) | instid1(VALU_DEP_2)
	v_cmp_eq_u32_e32 vcc_lo, 0, v152
	v_cndmask_b32_e32 v152, v154, v150, vcc_lo
; %bb.36:
	s_or_b32 exec_lo, exec_lo, s3
	v_and_b32_e32 v150, 0x7f800000, v143
	s_delay_alu instid0(VALU_DEP_1) | instskip(SKIP_1) | instid1(SALU_CYCLE_1)
	v_cmp_ne_u32_e32 vcc_lo, 0x7f800000, v150
                                        ; implicit-def: $vgpr150
	s_and_saveexec_b32 s3, vcc_lo
	s_xor_b32 s3, exec_lo, s3
; %bb.37:
	v_bfe_u32 v150, v143, 16, 1
	s_delay_alu instid0(VALU_DEP_1)
	v_add3_u32 v150, v143, v150, 0x7fff
                                        ; implicit-def: $vgpr143
; %bb.38:
	s_and_not1_saveexec_b32 s3, s3
; %bb.39:
	v_and_b32_e32 v150, 0xffff, v143
	v_or_b32_e32 v154, 0x10000, v143
	s_delay_alu instid0(VALU_DEP_2) | instskip(NEXT) | instid1(VALU_DEP_2)
	v_cmp_eq_u32_e32 vcc_lo, 0, v150
	v_cndmask_b32_e32 v150, v154, v143, vcc_lo
; %bb.40:
	s_or_b32 exec_lo, exec_lo, s3
	v_and_b32_e32 v143, 0x7f800000, v140
	s_delay_alu instid0(VALU_DEP_1) | instskip(SKIP_1) | instid1(SALU_CYCLE_1)
	v_cmp_ne_u32_e32 vcc_lo, 0x7f800000, v143
                                        ; implicit-def: $vgpr143
	s_and_saveexec_b32 s3, vcc_lo
	s_xor_b32 s3, exec_lo, s3
; %bb.41:
	v_bfe_u32 v143, v140, 16, 1
	s_delay_alu instid0(VALU_DEP_1)
	v_add3_u32 v143, v140, v143, 0x7fff
                                        ; implicit-def: $vgpr140
; %bb.42:
	s_and_not1_saveexec_b32 s3, s3
; %bb.43:
	v_and_b32_e32 v143, 0xffff, v140
	v_or_b32_e32 v154, 0x10000, v140
	s_delay_alu instid0(VALU_DEP_2) | instskip(NEXT) | instid1(VALU_DEP_2)
	v_cmp_eq_u32_e32 vcc_lo, 0, v143
	v_cndmask_b32_e32 v143, v154, v140, vcc_lo
; %bb.44:
	s_or_b32 exec_lo, exec_lo, s3
	s_load_b64 s[34:35], s[0:1], 0x94
	v_dual_mul_f32 v136, v139, v136 :: v_dual_lshlrev_b32 v155, 4, v146
	s_delay_alu instid0(VALU_DEP_2)
	v_perm_b32 v154, v143, v150, 0x7060302
	v_dual_mul_f32 v143, v139, v131 :: v_dual_lshlrev_b32 v140, 6, v148
	v_dual_mul_f32 v135, v139, v135 :: v_dual_lshlrev_b32 v150, 11, v149
	v_perm_b32 v153, v152, v153, 0x7060302
	v_perm_b32 v152, v151, v144, 0x7060302
	;; [unrolled: 1-line block ×3, first 2 shown]
	s_delay_alu instid0(VALU_DEP_4)
	v_or3_b32 v131, v155, v150, v140
	v_mul_f32_e32 v138, v139, v138
	v_dual_mul_f32 v137, v139, v137 :: v_dual_and_b32 v144, 0x7f800000, v143
	v_mul_f32_e32 v141, v139, v134
	v_mul_f32_e32 v142, v139, v133
	;; [unrolled: 1-line block ×3, first 2 shown]
	s_mov_b32 s3, exec_lo
	ds_store_b128 v131, v[151:154]
                                        ; implicit-def: $vgpr132
	v_cmpx_ne_u32_e32 0x7f800000, v144
	s_xor_b32 s3, exec_lo, s3
; %bb.45:
	v_bfe_u32 v132, v143, 16, 1
	s_delay_alu instid0(VALU_DEP_1)
	v_add3_u32 v132, v143, v132, 0x7fff
                                        ; implicit-def: $vgpr143
; %bb.46:
	s_and_not1_saveexec_b32 s3, s3
; %bb.47:
	v_and_b32_e32 v132, 0xffff, v143
	v_or_b32_e32 v133, 0x10000, v143
	s_delay_alu instid0(VALU_DEP_2) | instskip(NEXT) | instid1(VALU_DEP_2)
	v_cmp_eq_u32_e32 vcc_lo, 0, v132
	v_cndmask_b32_e32 v132, v133, v143, vcc_lo
; %bb.48:
	s_or_b32 exec_lo, exec_lo, s3
	v_and_b32_e32 v133, 0x7f800000, v134
	s_delay_alu instid0(VALU_DEP_1) | instskip(SKIP_1) | instid1(SALU_CYCLE_1)
	v_cmp_ne_u32_e32 vcc_lo, 0x7f800000, v133
                                        ; implicit-def: $vgpr133
	s_and_saveexec_b32 s3, vcc_lo
	s_xor_b32 s3, exec_lo, s3
; %bb.49:
	v_bfe_u32 v133, v134, 16, 1
	s_delay_alu instid0(VALU_DEP_1)
	v_add3_u32 v133, v134, v133, 0x7fff
                                        ; implicit-def: $vgpr134
; %bb.50:
	s_and_not1_saveexec_b32 s3, s3
; %bb.51:
	v_and_b32_e32 v133, 0xffff, v134
	v_or_b32_e32 v139, 0x10000, v134
	s_delay_alu instid0(VALU_DEP_2) | instskip(NEXT) | instid1(VALU_DEP_2)
	v_cmp_eq_u32_e32 vcc_lo, 0, v133
	v_cndmask_b32_e32 v133, v139, v134, vcc_lo
; %bb.52:
	s_or_b32 exec_lo, exec_lo, s3
	v_and_b32_e32 v134, 0x7f800000, v142
	s_delay_alu instid0(VALU_DEP_1) | instskip(SKIP_1) | instid1(SALU_CYCLE_1)
	v_cmp_ne_u32_e32 vcc_lo, 0x7f800000, v134
                                        ; implicit-def: $vgpr134
	s_and_saveexec_b32 s3, vcc_lo
	s_xor_b32 s3, exec_lo, s3
; %bb.53:
	v_bfe_u32 v134, v142, 16, 1
	s_delay_alu instid0(VALU_DEP_1)
	v_add3_u32 v134, v142, v134, 0x7fff
                                        ; implicit-def: $vgpr142
; %bb.54:
	s_and_not1_saveexec_b32 s3, s3
; %bb.55:
	v_and_b32_e32 v134, 0xffff, v142
	v_or_b32_e32 v139, 0x10000, v142
	s_delay_alu instid0(VALU_DEP_2) | instskip(NEXT) | instid1(VALU_DEP_2)
	v_cmp_eq_u32_e32 vcc_lo, 0, v134
	v_cndmask_b32_e32 v134, v139, v142, vcc_lo
; %bb.56:
	s_or_b32 exec_lo, exec_lo, s3
	v_and_b32_e32 v139, 0x7f800000, v141
	s_delay_alu instid0(VALU_DEP_1) | instskip(SKIP_1) | instid1(SALU_CYCLE_1)
	v_cmp_ne_u32_e32 vcc_lo, 0x7f800000, v139
                                        ; implicit-def: $vgpr139
	s_and_saveexec_b32 s3, vcc_lo
	s_xor_b32 s3, exec_lo, s3
; %bb.57:
	v_bfe_u32 v139, v141, 16, 1
	s_delay_alu instid0(VALU_DEP_1)
	v_add3_u32 v139, v141, v139, 0x7fff
                                        ; implicit-def: $vgpr141
; %bb.58:
	s_and_not1_saveexec_b32 s3, s3
; %bb.59:
	v_and_b32_e32 v139, 0xffff, v141
	v_or_b32_e32 v142, 0x10000, v141
	s_delay_alu instid0(VALU_DEP_2) | instskip(NEXT) | instid1(VALU_DEP_2)
	v_cmp_eq_u32_e32 vcc_lo, 0, v139
	v_cndmask_b32_e32 v139, v142, v141, vcc_lo
; %bb.60:
	s_or_b32 exec_lo, exec_lo, s3
	v_and_b32_e32 v141, 0x7f800000, v135
	s_delay_alu instid0(VALU_DEP_1) | instskip(SKIP_1) | instid1(SALU_CYCLE_1)
	v_cmp_ne_u32_e32 vcc_lo, 0x7f800000, v141
                                        ; implicit-def: $vgpr141
	s_and_saveexec_b32 s3, vcc_lo
	s_xor_b32 s3, exec_lo, s3
; %bb.61:
	v_bfe_u32 v141, v135, 16, 1
	s_delay_alu instid0(VALU_DEP_1)
	v_add3_u32 v141, v135, v141, 0x7fff
                                        ; implicit-def: $vgpr135
; %bb.62:
	s_and_not1_saveexec_b32 s3, s3
; %bb.63:
	v_and_b32_e32 v141, 0xffff, v135
	v_or_b32_e32 v142, 0x10000, v135
	s_delay_alu instid0(VALU_DEP_2) | instskip(NEXT) | instid1(VALU_DEP_2)
	v_cmp_eq_u32_e32 vcc_lo, 0, v141
	v_cndmask_b32_e32 v141, v142, v135, vcc_lo
; %bb.64:
	s_or_b32 exec_lo, exec_lo, s3
	v_and_b32_e32 v135, 0x7f800000, v136
	s_delay_alu instid0(VALU_DEP_1) | instskip(SKIP_1) | instid1(SALU_CYCLE_1)
	v_cmp_ne_u32_e32 vcc_lo, 0x7f800000, v135
                                        ; implicit-def: $vgpr135
	s_and_saveexec_b32 s3, vcc_lo
	s_xor_b32 s3, exec_lo, s3
; %bb.65:
	v_bfe_u32 v135, v136, 16, 1
	s_delay_alu instid0(VALU_DEP_1)
	v_add3_u32 v135, v136, v135, 0x7fff
                                        ; implicit-def: $vgpr136
; %bb.66:
	s_and_not1_saveexec_b32 s3, s3
; %bb.67:
	v_and_b32_e32 v135, 0xffff, v136
	v_or_b32_e32 v142, 0x10000, v136
	s_delay_alu instid0(VALU_DEP_2) | instskip(NEXT) | instid1(VALU_DEP_2)
	v_cmp_eq_u32_e32 vcc_lo, 0, v135
	v_cndmask_b32_e32 v135, v142, v136, vcc_lo
; %bb.68:
	s_or_b32 exec_lo, exec_lo, s3
	v_and_b32_e32 v136, 0x7f800000, v137
	s_delay_alu instid0(VALU_DEP_1) | instskip(SKIP_1) | instid1(SALU_CYCLE_1)
	v_cmp_ne_u32_e32 vcc_lo, 0x7f800000, v136
                                        ; implicit-def: $vgpr136
	s_and_saveexec_b32 s3, vcc_lo
	s_xor_b32 s3, exec_lo, s3
; %bb.69:
	v_bfe_u32 v136, v137, 16, 1
	s_delay_alu instid0(VALU_DEP_1)
	v_add3_u32 v136, v137, v136, 0x7fff
                                        ; implicit-def: $vgpr137
; %bb.70:
	s_and_not1_saveexec_b32 s3, s3
; %bb.71:
	v_and_b32_e32 v136, 0xffff, v137
	v_or_b32_e32 v142, 0x10000, v137
	s_delay_alu instid0(VALU_DEP_2) | instskip(NEXT) | instid1(VALU_DEP_2)
	v_cmp_eq_u32_e32 vcc_lo, 0, v136
	v_cndmask_b32_e32 v136, v142, v137, vcc_lo
; %bb.72:
	s_or_b32 exec_lo, exec_lo, s3
	v_and_b32_e32 v137, 0x7f800000, v138
	s_delay_alu instid0(VALU_DEP_1) | instskip(SKIP_1) | instid1(SALU_CYCLE_1)
	v_cmp_ne_u32_e32 vcc_lo, 0x7f800000, v137
                                        ; implicit-def: $vgpr137
	s_and_saveexec_b32 s3, vcc_lo
	s_xor_b32 s3, exec_lo, s3
; %bb.73:
	v_bfe_u32 v137, v138, 16, 1
	s_delay_alu instid0(VALU_DEP_1)
	v_add3_u32 v137, v138, v137, 0x7fff
                                        ; implicit-def: $vgpr138
; %bb.74:
	s_and_not1_saveexec_b32 s3, s3
; %bb.75:
	v_and_b32_e32 v137, 0xffff, v138
	v_or_b32_e32 v142, 0x10000, v138
	s_delay_alu instid0(VALU_DEP_2) | instskip(NEXT) | instid1(VALU_DEP_2)
	v_cmp_eq_u32_e32 vcc_lo, 0, v137
	v_cndmask_b32_e32 v137, v142, v138, vcc_lo
; %bb.76:
	s_or_b32 exec_lo, exec_lo, s3
	s_delay_alu instid0(VALU_DEP_1)
	v_perm_b32 v136, v137, v136, 0x7060302
	v_perm_b32 v135, v135, v141, 0x7060302
	;; [unrolled: 1-line block ×4, first 2 shown]
	v_lshl_or_b32 v141, v149, 11, v140
	ds_store_b128 v131, v[133:136] offset:1024
	s_waitcnt lgkmcnt(0)
	s_barrier
	buffer_gl0_inv
	ds_load_b128 v[132:135], v141
	ds_load_b128 v[149:152], v141 offset:16
	s_waitcnt lgkmcnt(1)
	v_lshrrev_b32_e32 v136, 16, v132
	s_waitcnt lgkmcnt(0)
	v_lshrrev_b32_e32 v164, 16, v151
	v_lshlrev_b32_e32 v138, 2, v146
	v_lshrrev_b32_e32 v143, 16, v149
	v_lshrrev_b32_e32 v162, 16, v150
	;; [unrolled: 1-line block ×4, first 2 shown]
	v_or_b32_e32 v139, 1, v138
	v_lshrrev_b32_e32 v165, 16, v152
	v_lshrrev_b32_e32 v163, 16, v135
	s_delay_alu instid0(VALU_DEP_3)
	v_cmp_eq_u32_e64 s7, 1, v139
	v_cmp_eq_u32_e64 s6, 2, v139
	;; [unrolled: 1-line block ×4, first 2 shown]
	v_cmp_eq_u32_e32 vcc_lo, 5, v139
	v_cndmask_b32_e64 v155, v149, v143, s7
	v_cndmask_b32_e64 v154, v132, v136, s7
	v_cmp_eq_u32_e64 s4, 6, v139
	v_cmp_eq_u32_e64 s19, 7, v139
	s_delay_alu instid0(VALU_DEP_4) | instskip(NEXT) | instid1(VALU_DEP_4)
	v_cndmask_b32_e64 v155, v155, v150, s6
	v_cndmask_b32_e64 v154, v154, v133, s6
	s_delay_alu instid0(VALU_DEP_2) | instskip(NEXT) | instid1(VALU_DEP_2)
	v_cndmask_b32_e64 v155, v155, v162, s5
	v_cndmask_b32_e64 v154, v154, v144, s5
	s_delay_alu instid0(VALU_DEP_2) | instskip(NEXT) | instid1(VALU_DEP_2)
	v_cndmask_b32_e64 v155, v155, v151, s3
	v_cndmask_b32_e64 v154, v154, v134, s3
	s_delay_alu instid0(VALU_DEP_2)
	v_cndmask_b32_e32 v157, v155, v164, vcc_lo
	v_cmp_eq_u32_e64 s12, 1, v138
	v_cmp_eq_u32_e64 s11, 2, v138
	v_cmp_eq_u32_e64 s16, 3, v138
	v_or_b32_e32 v137, 2, v138
	v_cmp_eq_u32_e64 s17, 4, v138
	v_cndmask_b32_e64 v153, v149, v143, s12
	v_cndmask_b32_e64 v142, v132, v136, s12
	v_cmp_eq_u32_e64 s13, 5, v138
	v_cmp_eq_u32_e64 s8, 1, v137
	;; [unrolled: 1-line block ×3, first 2 shown]
	v_cndmask_b32_e64 v153, v153, v150, s11
	v_cndmask_b32_e64 v142, v142, v133, s11
	v_cmp_eq_u32_e64 s10, 2, v137
	v_cndmask_b32_e64 v156, v132, v136, s8
	v_cndmask_b32_e32 v154, v154, v161, vcc_lo
	v_cndmask_b32_e64 v153, v153, v162, s16
	v_cndmask_b32_e64 v142, v142, v144, s16
	v_cmp_eq_u32_e64 s9, 7, v138
	v_cndmask_b32_e64 v156, v156, v133, s10
	v_cmp_eq_u32_e64 s18, 3, v137
	v_cndmask_b32_e64 v153, v153, v151, s17
	v_cndmask_b32_e64 v142, v142, v134, s17
	;; [unrolled: 1-line block ×3, first 2 shown]
	v_cmp_eq_u32_e64 s20, 4, v137
	v_cndmask_b32_e64 v156, v156, v144, s18
	v_cndmask_b32_e64 v153, v153, v164, s13
	;; [unrolled: 1-line block ×4, first 2 shown]
	v_cmp_eq_u32_e64 s22, 5, v137
	v_cndmask_b32_e64 v159, v156, v134, s20
	v_cndmask_b32_e64 v153, v153, v152, s15
	;; [unrolled: 1-line block ×3, first 2 shown]
	v_cmp_eq_u32_e64 s25, 6, v137
	v_cmp_eq_u32_e64 s27, 7, v137
	v_cndmask_b32_e64 v169, v159, v161, s22
	v_cndmask_b32_e64 v167, v153, v165, s9
	v_cndmask_b32_e64 v153, v149, v143, s8
	v_cndmask_b32_e64 v166, v142, v163, s9
	v_or_b32_e32 v142, 3, v138
	s_delay_alu instid0(VALU_DEP_3)
	v_cndmask_b32_e64 v158, v153, v150, s10
	ds_load_b128 v[153:156], v141 offset:1024
	v_cmp_eq_u32_e64 s21, 1, v142
	v_cmp_eq_u32_e64 s23, 2, v142
	;; [unrolled: 1-line block ×3, first 2 shown]
	v_cndmask_b32_e64 v158, v158, v162, s18
	v_cmp_eq_u32_e64 s26, 4, v142
	v_cndmask_b32_e64 v132, v132, v136, s21
	v_cndmask_b32_e64 v136, v157, v152, s4
	;; [unrolled: 1-line block ×4, first 2 shown]
	ds_load_b128 v[157:160], v141 offset:1040
	v_cndmask_b32_e64 v132, v132, v133, s23
	v_cmp_eq_u32_e64 s28, 5, v142
	v_cndmask_b32_e64 v143, v143, v150, s23
	v_cmp_eq_u32_e64 s29, 6, v142
	v_cndmask_b32_e64 v133, v170, v164, s22
	v_cndmask_b32_e64 v132, v132, v144, s24
	;; [unrolled: 1-line block ×5, first 2 shown]
	s_waitcnt lgkmcnt(1)
	v_lshrrev_b32_e32 v149, 16, v153
	v_cndmask_b32_e64 v132, v132, v134, s26
	v_cndmask_b32_e64 v133, v133, v152, s25
	;; [unrolled: 1-line block ×3, first 2 shown]
	v_lshrrev_b32_e32 v151, 16, v154
	v_cndmask_b32_e64 v143, v153, v149, s12
	v_cndmask_b32_e64 v132, v132, v161, s28
	v_cndmask_b32_e64 v161, v153, v149, s7
	v_cndmask_b32_e64 v134, v134, v164, s28
	v_cndmask_b32_e64 v144, v144, v163, s27
	s_waitcnt lgkmcnt(0)
	v_lshrrev_b32_e32 v150, 16, v157
	v_cndmask_b32_e64 v143, v143, v154, s11
	v_cndmask_b32_e64 v132, v132, v135, s29
	;; [unrolled: 1-line block ×3, first 2 shown]
	v_lshrrev_b32_e32 v164, 16, v159
	v_cndmask_b32_e64 v162, v157, v150, s12
	v_cndmask_b32_e64 v135, v143, v151, s16
	;; [unrolled: 1-line block ×3, first 2 shown]
	v_lshrrev_b32_e32 v161, 16, v158
	v_cndmask_b32_e64 v133, v133, v165, s27
	v_cndmask_b32_e64 v152, v162, v158, s11
	v_cmp_eq_u32_e64 s11, 7, v142
	v_cndmask_b32_e64 v143, v143, v151, s5
	v_cndmask_b32_e64 v135, v135, v155, s17
	v_lshrrev_b32_e32 v162, 16, v155
	v_cndmask_b32_e64 v152, v152, v161, s16
	v_cndmask_b32_e64 v132, v132, v163, s11
	;; [unrolled: 1-line block ×6, first 2 shown]
	s_delay_alu instid0(VALU_DEP_4) | instskip(NEXT) | instid1(VALU_DEP_4)
	v_perm_b32 v135, v134, v132, 0x5040100
	v_cndmask_b32_e32 v132, v143, v162, vcc_lo
	s_delay_alu instid0(VALU_DEP_4)
	v_cndmask_b32_e64 v143, v163, v156, s15
	v_lshrrev_b32_e32 v163, 16, v156
	v_cndmask_b32_e64 v152, v152, v164, s13
	v_perm_b32 v134, v133, v144, 0x5040100
	v_cndmask_b32_e64 v132, v132, v156, s4
	v_perm_b32 v133, v136, v168, 0x5040100
	v_cndmask_b32_e64 v136, v143, v163, s9
	v_cndmask_b32_e64 v143, v152, v160, s15
	;; [unrolled: 1-line block ×13, first 2 shown]
	v_lshrrev_b32_e32 v144, 16, v160
	v_cndmask_b32_e64 v132, v132, v151, s18
	v_cndmask_b32_e64 v149, v149, v151, s24
	;; [unrolled: 1-line block ×14, first 2 shown]
	v_cndmask_b32_e32 v150, v150, v164, vcc_lo
	v_cndmask_b32_e64 v132, v132, v156, s25
	v_cndmask_b32_e64 v149, v149, v156, s29
	;; [unrolled: 1-line block ×11, first 2 shown]
	v_perm_b32 v132, v167, v166, 0x5040100
	v_perm_b32 v152, v151, v149, 0x5040100
	;; [unrolled: 1-line block ×5, first 2 shown]
	s_mul_i32 s8, s35, 6
	s_mov_b32 s3, exec_lo
	ds_store_b128 v131, v[132:135]
	ds_store_b128 v131, v[149:152] offset:1024
	v_cmpx_gt_u32_e32 6, v0
	s_cbranch_execz .LBB391_78
; %bb.77:
	s_mul_i32 s4, s8, s30
	s_delay_alu instid0(SALU_CYCLE_1) | instskip(SKIP_1) | instid1(VALU_DEP_1)
	v_add3_u32 v133, s4, s31, v148
	s_load_b128 s[4:7], s[0:1], 0x58
	v_mad_u64_u32 v[131:132], null, v133, s34, s[14:15]
	s_delay_alu instid0(VALU_DEP_1) | instskip(NEXT) | instid1(VALU_DEP_1)
	v_ashrrev_i32_e32 v132, 31, v131
	v_lshlrev_b64 v[131:132], 2, v[131:132]
	s_waitcnt lgkmcnt(0)
	s_delay_alu instid0(VALU_DEP_1) | instskip(NEXT) | instid1(VALU_DEP_2)
	v_add_co_u32 v133, vcc_lo, s6, v131
	v_add_co_ci_u32_e32 v134, vcc_lo, s7, v132, vcc_lo
	v_add_co_u32 v131, vcc_lo, s4, v131
	v_add_co_ci_u32_e32 v132, vcc_lo, s5, v132, vcc_lo
	global_store_b32 v[133:134], v129, off
	global_store_b32 v[131:132], v130, off
.LBB391_78:
	s_or_b32 exec_lo, exec_lo, s3
	s_waitcnt lgkmcnt(0)
	s_waitcnt_vscnt null, 0x0
	s_barrier
	buffer_gl0_inv
	ds_load_b128 v[148:151], v140
	ds_load_b128 v[152:155], v140 offset:16
	ds_load_b128 v[160:163], v140 offset:1040
	;; [unrolled: 1-line block ×3, first 2 shown]
	v_mov_b32_e32 v129, 0
	ds_load_b128 v[168:171], v140 offset:2064
	ds_load_b128 v[164:167], v140 offset:2048
	;; [unrolled: 1-line block ×6, first 2 shown]
	v_mov_b32_e32 v130, v129
	v_mov_b32_e32 v131, v129
	v_mov_b32_e32 v132, v129
	v_mov_b32_e32 v133, v129
	v_mov_b32_e32 v134, v129
	v_mov_b32_e32 v135, v129
	v_mov_b32_e32 v136, v129
	s_waitcnt lgkmcnt(8)
	s_delay_alu instid0(VALU_DEP_1)
	v_wmma_f32_16x16x16_bf16 v[129:136], v[121:128], v[148:155], v[129:136]
	ds_load_b128 v[125:128], v140 offset:5136
	ds_load_b128 v[121:124], v140 offset:5120
	s_waitcnt lgkmcnt(8)
	v_wmma_f32_16x16x16_bf16 v[129:136], v[113:120], v[156:163], v[129:136]
	ds_load_b128 v[117:120], v140 offset:6160
	ds_load_b128 v[113:116], v140 offset:6144
	s_waitcnt lgkmcnt(8)
	v_wmma_f32_16x16x16_bf16 v[129:136], v[105:112], v[164:171], v[129:136]
	ds_load_b128 v[109:112], v140 offset:7184
	ds_load_b128 v[105:108], v140 offset:7168
	s_waitcnt lgkmcnt(8)
	v_wmma_f32_16x16x16_bf16 v[129:136], v[97:104], v[172:179], v[129:136]
	ds_load_b128 v[101:104], v140 offset:8208
	ds_load_b128 v[97:100], v140 offset:8192
	s_waitcnt lgkmcnt(8)
	v_wmma_f32_16x16x16_bf16 v[129:136], v[89:96], v[180:187], v[129:136]
	ds_load_b128 v[93:96], v140 offset:9232
	ds_load_b128 v[89:92], v140 offset:9216
	s_waitcnt lgkmcnt(8)
	v_wmma_f32_16x16x16_bf16 v[129:136], v[81:88], v[121:128], v[129:136]
	ds_load_b128 v[85:88], v140 offset:10256
	ds_load_b128 v[81:84], v140 offset:10240
	s_waitcnt lgkmcnt(8)
	v_wmma_f32_16x16x16_bf16 v[129:136], v[73:80], v[113:120], v[129:136]
	ds_load_b128 v[77:80], v140 offset:11280
	ds_load_b128 v[73:76], v140 offset:11264
	s_waitcnt lgkmcnt(8)
	v_wmma_f32_16x16x16_bf16 v[129:136], v[57:64], v[105:112], v[129:136]
	ds_load_b128 v[61:64], v140 offset:12304
	ds_load_b128 v[57:60], v140 offset:12288
	s_waitcnt lgkmcnt(8)
	v_wmma_f32_16x16x16_bf16 v[129:136], v[65:72], v[97:104], v[129:136]
	s_waitcnt lgkmcnt(6)
	s_delay_alu instid0(VALU_DEP_1)
	v_wmma_f32_16x16x16_bf16 v[129:136], v[49:56], v[89:96], v[129:136]
	ds_load_b128 v[53:56], v140 offset:13328
	ds_load_b128 v[49:52], v140 offset:13312
	s_waitcnt lgkmcnt(6)
	v_wmma_f32_16x16x16_bf16 v[129:136], v[41:48], v[81:88], v[129:136]
	ds_load_b128 v[45:48], v140 offset:14352
	ds_load_b128 v[41:44], v140 offset:14336
	s_waitcnt lgkmcnt(6)
	;; [unrolled: 4-line block ×3, first 2 shown]
	v_wmma_f32_16x16x16_bf16 v[129:136], v[1:8], v[57:64], v[129:136]
	s_waitcnt lgkmcnt(4)
	s_delay_alu instid0(VALU_DEP_1) | instskip(SKIP_1) | instid1(VALU_DEP_1)
	v_wmma_f32_16x16x16_bf16 v[129:136], v[25:32], v[49:56], v[129:136]
	s_waitcnt lgkmcnt(2)
	v_wmma_f32_16x16x16_bf16 v[129:136], v[33:40], v[41:48], v[129:136]
	s_waitcnt lgkmcnt(0)
	s_delay_alu instid0(VALU_DEP_1) | instskip(NEXT) | instid1(VALU_DEP_1)
	v_wmma_f32_16x16x16_bf16 v[129:136], v[9:16], v[17:24], v[129:136]
	v_and_b32_e32 v1, 0x7f800000, v129
	s_delay_alu instid0(VALU_DEP_1) | instskip(SKIP_1) | instid1(SALU_CYCLE_1)
	v_cmp_ne_u32_e32 vcc_lo, 0x7f800000, v1
                                        ; implicit-def: $vgpr1
	s_and_saveexec_b32 s3, vcc_lo
	s_xor_b32 s3, exec_lo, s3
; %bb.79:
	v_bfe_u32 v1, v129, 16, 1
	s_delay_alu instid0(VALU_DEP_1)
	v_add3_u32 v1, v129, v1, 0x7fff
; %bb.80:
	s_and_not1_saveexec_b32 s3, s3
; %bb.81:
	v_and_b32_e32 v1, 0xffff, v129
	v_or_b32_e32 v2, 0x10000, v129
	s_delay_alu instid0(VALU_DEP_2) | instskip(NEXT) | instid1(VALU_DEP_2)
	v_cmp_eq_u32_e32 vcc_lo, 0, v1
	v_cndmask_b32_e32 v1, v2, v129, vcc_lo
; %bb.82:
	s_or_b32 exec_lo, exec_lo, s3
	v_and_b32_e32 v2, 0x7f800000, v130
	s_delay_alu instid0(VALU_DEP_1) | instskip(SKIP_1) | instid1(SALU_CYCLE_1)
	v_cmp_ne_u32_e32 vcc_lo, 0x7f800000, v2
                                        ; implicit-def: $vgpr2
	s_and_saveexec_b32 s3, vcc_lo
	s_xor_b32 s3, exec_lo, s3
; %bb.83:
	v_bfe_u32 v2, v130, 16, 1
	s_delay_alu instid0(VALU_DEP_1)
	v_add3_u32 v2, v130, v2, 0x7fff
; %bb.84:
	s_and_not1_saveexec_b32 s3, s3
; %bb.85:
	v_and_b32_e32 v2, 0xffff, v130
	v_or_b32_e32 v3, 0x10000, v130
	s_delay_alu instid0(VALU_DEP_2) | instskip(NEXT) | instid1(VALU_DEP_2)
	v_cmp_eq_u32_e32 vcc_lo, 0, v2
	v_cndmask_b32_e32 v2, v3, v130, vcc_lo
; %bb.86:
	s_or_b32 exec_lo, exec_lo, s3
	v_and_b32_e32 v3, 0x7f800000, v131
	s_delay_alu instid0(VALU_DEP_1) | instskip(SKIP_1) | instid1(SALU_CYCLE_1)
	v_cmp_ne_u32_e32 vcc_lo, 0x7f800000, v3
                                        ; implicit-def: $vgpr3
	s_and_saveexec_b32 s3, vcc_lo
	s_xor_b32 s3, exec_lo, s3
; %bb.87:
	v_bfe_u32 v3, v131, 16, 1
	s_delay_alu instid0(VALU_DEP_1)
	v_add3_u32 v3, v131, v3, 0x7fff
; %bb.88:
	s_and_not1_saveexec_b32 s3, s3
; %bb.89:
	v_and_b32_e32 v3, 0xffff, v131
	v_or_b32_e32 v4, 0x10000, v131
	s_delay_alu instid0(VALU_DEP_2) | instskip(NEXT) | instid1(VALU_DEP_2)
	v_cmp_eq_u32_e32 vcc_lo, 0, v3
	v_cndmask_b32_e32 v3, v4, v131, vcc_lo
; %bb.90:
	s_or_b32 exec_lo, exec_lo, s3
	v_and_b32_e32 v4, 0x7f800000, v132
	s_delay_alu instid0(VALU_DEP_1) | instskip(SKIP_1) | instid1(SALU_CYCLE_1)
	v_cmp_ne_u32_e32 vcc_lo, 0x7f800000, v4
                                        ; implicit-def: $vgpr4
	s_and_saveexec_b32 s3, vcc_lo
	s_xor_b32 s3, exec_lo, s3
; %bb.91:
	v_bfe_u32 v4, v132, 16, 1
	s_delay_alu instid0(VALU_DEP_1)
	v_add3_u32 v4, v132, v4, 0x7fff
; %bb.92:
	s_and_not1_saveexec_b32 s3, s3
; %bb.93:
	v_and_b32_e32 v4, 0xffff, v132
	v_or_b32_e32 v5, 0x10000, v132
	s_delay_alu instid0(VALU_DEP_2) | instskip(NEXT) | instid1(VALU_DEP_2)
	v_cmp_eq_u32_e32 vcc_lo, 0, v4
	v_cndmask_b32_e32 v4, v5, v132, vcc_lo
; %bb.94:
	s_or_b32 exec_lo, exec_lo, s3
	v_and_b32_e32 v5, 0x7f800000, v133
	s_delay_alu instid0(VALU_DEP_1) | instskip(SKIP_1) | instid1(SALU_CYCLE_1)
	v_cmp_ne_u32_e32 vcc_lo, 0x7f800000, v5
                                        ; implicit-def: $vgpr5
	s_and_saveexec_b32 s3, vcc_lo
	s_xor_b32 s3, exec_lo, s3
; %bb.95:
	v_bfe_u32 v5, v133, 16, 1
	s_delay_alu instid0(VALU_DEP_1)
	v_add3_u32 v5, v133, v5, 0x7fff
; %bb.96:
	s_and_not1_saveexec_b32 s3, s3
; %bb.97:
	v_and_b32_e32 v5, 0xffff, v133
	v_or_b32_e32 v6, 0x10000, v133
	s_delay_alu instid0(VALU_DEP_2) | instskip(NEXT) | instid1(VALU_DEP_2)
	v_cmp_eq_u32_e32 vcc_lo, 0, v5
	v_cndmask_b32_e32 v5, v6, v133, vcc_lo
; %bb.98:
	s_or_b32 exec_lo, exec_lo, s3
	v_and_b32_e32 v6, 0x7f800000, v134
	s_delay_alu instid0(VALU_DEP_1) | instskip(SKIP_1) | instid1(SALU_CYCLE_1)
	v_cmp_ne_u32_e32 vcc_lo, 0x7f800000, v6
                                        ; implicit-def: $vgpr6
	s_and_saveexec_b32 s3, vcc_lo
	s_xor_b32 s3, exec_lo, s3
; %bb.99:
	v_bfe_u32 v6, v134, 16, 1
	s_delay_alu instid0(VALU_DEP_1)
	v_add3_u32 v6, v134, v6, 0x7fff
; %bb.100:
	s_and_not1_saveexec_b32 s3, s3
; %bb.101:
	v_and_b32_e32 v6, 0xffff, v134
	v_or_b32_e32 v7, 0x10000, v134
	s_delay_alu instid0(VALU_DEP_2) | instskip(NEXT) | instid1(VALU_DEP_2)
	v_cmp_eq_u32_e32 vcc_lo, 0, v6
	v_cndmask_b32_e32 v6, v7, v134, vcc_lo
; %bb.102:
	s_or_b32 exec_lo, exec_lo, s3
	v_and_b32_e32 v7, 0x7f800000, v135
	s_delay_alu instid0(VALU_DEP_1) | instskip(SKIP_1) | instid1(SALU_CYCLE_1)
	v_cmp_ne_u32_e32 vcc_lo, 0x7f800000, v7
                                        ; implicit-def: $vgpr7
	s_and_saveexec_b32 s3, vcc_lo
	s_xor_b32 s3, exec_lo, s3
; %bb.103:
	v_bfe_u32 v7, v135, 16, 1
	s_delay_alu instid0(VALU_DEP_1)
	v_add3_u32 v7, v135, v7, 0x7fff
; %bb.104:
	s_and_not1_saveexec_b32 s3, s3
; %bb.105:
	v_and_b32_e32 v7, 0xffff, v135
	v_or_b32_e32 v8, 0x10000, v135
	s_delay_alu instid0(VALU_DEP_2) | instskip(NEXT) | instid1(VALU_DEP_2)
	v_cmp_eq_u32_e32 vcc_lo, 0, v7
	v_cndmask_b32_e32 v7, v8, v135, vcc_lo
; %bb.106:
	s_or_b32 exec_lo, exec_lo, s3
	v_and_b32_e32 v8, 0x7f800000, v136
	s_delay_alu instid0(VALU_DEP_1) | instskip(SKIP_1) | instid1(SALU_CYCLE_1)
	v_cmp_ne_u32_e32 vcc_lo, 0x7f800000, v8
                                        ; implicit-def: $vgpr8
	s_and_saveexec_b32 s3, vcc_lo
	s_xor_b32 s3, exec_lo, s3
; %bb.107:
	v_bfe_u32 v8, v136, 16, 1
	s_delay_alu instid0(VALU_DEP_1)
	v_add3_u32 v8, v136, v8, 0x7fff
                                        ; implicit-def: $vgpr129_vgpr130_vgpr131_vgpr132_vgpr133_vgpr134_vgpr135_vgpr136
; %bb.108:
	s_and_not1_saveexec_b32 s3, s3
; %bb.109:
	v_and_b32_e32 v8, 0xffff, v136
	v_or_b32_e32 v9, 0x10000, v136
	s_delay_alu instid0(VALU_DEP_2) | instskip(NEXT) | instid1(VALU_DEP_2)
	v_cmp_eq_u32_e32 vcc_lo, 0, v8
	v_cndmask_b32_e32 v8, v9, v136, vcc_lo
; %bb.110:
	s_or_b32 exec_lo, exec_lo, s3
	s_delay_alu instid0(VALU_DEP_1)
	v_perm_b32 v7, v8, v7, 0x7060302
	v_perm_b32 v6, v6, v5, 0x7060302
	;; [unrolled: 1-line block ×4, first 2 shown]
	v_lshl_or_b32 v9, v146, 4, v141
	s_barrier
	buffer_gl0_inv
	v_cmp_eq_u32_e32 vcc_lo, 1, v138
	ds_store_b128 v9, v[4:7]
	s_waitcnt lgkmcnt(0)
	s_barrier
	buffer_gl0_inv
	ds_load_b128 v[1:4], v141
	ds_load_b128 v[5:8], v141 offset:16
	v_cmp_eq_u32_e64 s4, 2, v138
	v_cmp_eq_u32_e64 s3, 1, v139
	;; [unrolled: 1-line block ×5, first 2 shown]
	s_waitcnt lgkmcnt(1)
	v_lshrrev_b32_e32 v10, 16, v1
	s_waitcnt lgkmcnt(0)
	v_lshrrev_b32_e32 v14, 16, v5
	v_lshrrev_b32_e32 v15, 16, v6
	;; [unrolled: 1-line block ×4, first 2 shown]
	v_cndmask_b32_e64 v20, v1, v10, s3
	v_cndmask_b32_e32 v19, v5, v14, vcc_lo
	v_cndmask_b32_e64 v21, v5, v14, s3
	v_lshrrev_b32_e32 v16, 16, v7
	v_cmp_eq_u32_e64 s3, 1, v137
	v_lshrrev_b32_e32 v13, 16, v4
	v_cndmask_b32_e64 v19, v19, v6, s4
	v_lshrrev_b32_e32 v17, 16, v8
	s_delay_alu instid0(VALU_DEP_4) | instskip(SKIP_1) | instid1(VALU_DEP_4)
	v_cndmask_b32_e64 v22, v1, v10, s3
	v_cndmask_b32_e64 v23, v5, v14, s3
	;; [unrolled: 1-line block ×3, first 2 shown]
	v_cndmask_b32_e32 v18, v1, v10, vcc_lo
	v_cmp_eq_u32_e32 vcc_lo, 2, v139
	v_cmp_eq_u32_e64 s3, 2, v142
	v_cndmask_b32_e64 v22, v22, v2, s7
	v_cndmask_b32_e32 v20, v20, v2, vcc_lo
	v_cndmask_b32_e32 v21, v21, v6, vcc_lo
	v_cmp_eq_u32_e32 vcc_lo, 4, v138
	v_cndmask_b32_e32 v19, v19, v7, vcc_lo
	v_cndmask_b32_e64 v18, v18, v2, s4
	v_cmp_eq_u32_e64 s4, 3, v139
	s_delay_alu instid0(VALU_DEP_2) | instskip(NEXT) | instid1(VALU_DEP_2)
	v_cndmask_b32_e64 v18, v18, v11, s5
	v_cndmask_b32_e64 v21, v21, v15, s4
	v_cmp_eq_u32_e64 s5, 5, v138
	s_delay_alu instid0(VALU_DEP_3) | instskip(SKIP_1) | instid1(VALU_DEP_3)
	v_cndmask_b32_e32 v18, v18, v3, vcc_lo
	v_cmp_eq_u32_e32 vcc_lo, 4, v139
	v_cndmask_b32_e64 v19, v19, v16, s5
	s_delay_alu instid0(VALU_DEP_3) | instskip(SKIP_4) | instid1(VALU_DEP_3)
	v_cndmask_b32_e64 v18, v18, v12, s5
	v_cndmask_b32_e32 v21, v21, v7, vcc_lo
	v_cndmask_b32_e64 v20, v20, v11, s4
	v_cmp_eq_u32_e64 s4, 5, v139
	v_cmp_eq_u32_e64 s5, 6, v138
	v_cndmask_b32_e32 v20, v20, v3, vcc_lo
	s_delay_alu instid0(VALU_DEP_3) | instskip(SKIP_1) | instid1(VALU_DEP_4)
	v_cndmask_b32_e64 v21, v21, v16, s4
	v_cmp_eq_u32_e32 vcc_lo, 6, v139
	v_cndmask_b32_e64 v18, v18, v4, s5
	v_cndmask_b32_e64 v19, v19, v8, s5
	;; [unrolled: 1-line block ×3, first 2 shown]
	v_cmp_eq_u32_e64 s4, 1, v142
	v_cmp_eq_u32_e64 s5, 7, v138
	s_delay_alu instid0(VALU_DEP_3) | instskip(NEXT) | instid1(VALU_DEP_3)
	v_cndmask_b32_e32 v20, v20, v4, vcc_lo
	v_cndmask_b32_e64 v1, v1, v10, s4
	v_cndmask_b32_e64 v5, v5, v14, s4
	v_cmp_eq_u32_e64 s4, 3, v137
	v_cndmask_b32_e64 v14, v23, v6, s7
	v_cmp_eq_u32_e64 s7, 3, v142
	v_cndmask_b32_e64 v1, v1, v2, s3
	v_cndmask_b32_e64 v2, v5, v6, s3
	;; [unrolled: 1-line block ×3, first 2 shown]
	v_cmp_eq_u32_e64 s3, 4, v137
	v_cndmask_b32_e64 v6, v14, v15, s4
	v_cndmask_b32_e64 v1, v1, v11, s7
	v_cmp_eq_u32_e64 s4, 4, v142
	v_cndmask_b32_e64 v2, v2, v15, s7
	v_cndmask_b32_e64 v5, v10, v3, s3
	;; [unrolled: 3-line block ×3, first 2 shown]
	v_cndmask_b32_e64 v2, v2, v7, s4
	v_cmp_eq_u32_e64 s3, 5, v142
	v_cndmask_b32_e64 v5, v5, v12, s7
	v_cmp_eq_u32_e64 s4, 6, v137
	;; [unrolled: 2-line block ×3, first 2 shown]
	v_cndmask_b32_e64 v1, v1, v12, s3
	v_cndmask_b32_e64 v2, v2, v16, s3
	;; [unrolled: 1-line block ×4, first 2 shown]
	v_cmp_eq_u32_e64 s3, 7, v142
	v_cndmask_b32_e64 v1, v1, v4, s7
	v_cndmask_b32_e64 v2, v2, v8, s7
	v_cmp_eq_u32_e64 s4, 7, v137
	v_cndmask_b32_e32 v4, v21, v8, vcc_lo
	v_cndmask_b32_e64 v18, v18, v13, s5
	v_cndmask_b32_e64 v20, v20, v13, s6
	;; [unrolled: 1-line block ×8, first 2 shown]
	v_cmp_gt_u32_e32 vcc_lo, 32, v0
	v_perm_b32 v4, v2, v1, 0x5040100
	v_perm_b32 v3, v3, v5, 0x5040100
	v_perm_b32 v2, v6, v20, 0x5040100
	v_perm_b32 v1, v7, v18, 0x5040100
	s_and_b32 s2, vcc_lo, s2
	ds_store_b128 v9, v[1:4]
	s_waitcnt lgkmcnt(0)
	s_barrier
	buffer_gl0_inv
	s_and_saveexec_b32 s3, s2
	s_cbranch_execz .LBB391_2
; %bb.111:
	s_load_b64 s[0:1], s[0:1], 0x68
	s_lshl_b32 s4, s34, 6
	v_or_b32_e32 v3, s31, v146
	s_mul_i32 s2, s4, s30
	v_lshlrev_b32_e32 v0, 10, v0
	s_mul_i32 s2, s2, s8
	v_lshlrev_b32_e32 v1, 4, v147
	s_ashr_i32 s3, s2, 31
	v_mul_lo_u32 v12, v3, s4
	s_lshl_b64 s[2:3], s[2:3], 1
	v_lshlrev_b32_e32 v2, 6, v146
	v_and_b32_e32 v0, 0x3800, v0
	s_delay_alu instid0(VALU_DEP_1) | instskip(NEXT) | instid1(VALU_DEP_4)
	v_or3_b32 v8, v0, v1, v2
	v_ashrrev_i32_e32 v13, 31, v12
	ds_load_b128 v[0:3], v8
	ds_load_b128 v[4:7], v8 offset:128
	ds_load_b128 v[8:11], v8 offset:256
	s_waitcnt lgkmcnt(0)
	s_add_u32 s2, s0, s2
	s_addc_u32 s3, s1, s3
	s_lshl_b32 s0, s14, 6
	s_delay_alu instid0(SALU_CYCLE_1) | instskip(NEXT) | instid1(SALU_CYCLE_1)
	s_ashr_i32 s1, s0, 31
	s_lshl_b64 s[0:1], s[0:1], 1
	s_delay_alu instid0(SALU_CYCLE_1)
	s_add_u32 s0, s2, s0
	s_addc_u32 s1, s3, s1
	s_lshl_b32 s2, s34, 7
	v_add_co_u32 v18, s0, s0, v145
	v_add_nc_u32_e32 v14, s2, v12
	v_lshlrev_b64 v[12:13], 1, v[12:13]
	v_add_co_ci_u32_e64 v19, null, s1, 0, s0
	s_delay_alu instid0(VALU_DEP_3) | instskip(SKIP_1) | instid1(VALU_DEP_4)
	v_add_nc_u32_e32 v16, s2, v14
	v_ashrrev_i32_e32 v15, 31, v14
	v_add_co_u32 v12, vcc_lo, v18, v12
	s_delay_alu instid0(VALU_DEP_4) | instskip(NEXT) | instid1(VALU_DEP_4)
	v_add_co_ci_u32_e32 v13, vcc_lo, v19, v13, vcc_lo
	v_ashrrev_i32_e32 v17, 31, v16
	s_delay_alu instid0(VALU_DEP_4) | instskip(NEXT) | instid1(VALU_DEP_2)
	v_lshlrev_b64 v[14:15], 1, v[14:15]
	v_lshlrev_b64 v[16:17], 1, v[16:17]
	s_delay_alu instid0(VALU_DEP_2) | instskip(NEXT) | instid1(VALU_DEP_3)
	v_add_co_u32 v14, vcc_lo, v18, v14
	v_add_co_ci_u32_e32 v15, vcc_lo, v19, v15, vcc_lo
	s_delay_alu instid0(VALU_DEP_3) | instskip(NEXT) | instid1(VALU_DEP_4)
	v_add_co_u32 v16, vcc_lo, v18, v16
	v_add_co_ci_u32_e32 v17, vcc_lo, v19, v17, vcc_lo
	s_clause 0x2
	global_store_b128 v[12:13], v[0:3], off
	global_store_b128 v[14:15], v[4:7], off
	;; [unrolled: 1-line block ×3, first 2 shown]
	s_nop 0
	s_sendmsg sendmsg(MSG_DEALLOC_VGPRS)
	s_endpgm
	.section	.rodata,"a",@progbits
	.p2align	6, 0x0
	.amdhsa_kernel _Z39paged_attention_ll4mi_QKV_mfma16_kernelI14__hip_bfloat16S0_LN4vllm18Fp8KVCacheDataTypeE0EhLi16ELi64ELi256ELb1ELi6EL8MFMAType0EEvPKT_PKT0_S9_ifPKiSB_SB_iPKfiiiPfSE_PS4_PT2_iSD_SD_
		.amdhsa_group_segment_fixed_size 17472
		.amdhsa_private_segment_fixed_size 0
		.amdhsa_kernarg_size 400
		.amdhsa_user_sgpr_count 13
		.amdhsa_user_sgpr_dispatch_ptr 0
		.amdhsa_user_sgpr_queue_ptr 0
		.amdhsa_user_sgpr_kernarg_segment_ptr 1
		.amdhsa_user_sgpr_dispatch_id 0
		.amdhsa_user_sgpr_private_segment_size 0
		.amdhsa_wavefront_size32 1
		.amdhsa_uses_dynamic_stack 0
		.amdhsa_enable_private_segment 0
		.amdhsa_system_sgpr_workgroup_id_x 1
		.amdhsa_system_sgpr_workgroup_id_y 1
		.amdhsa_system_sgpr_workgroup_id_z 1
		.amdhsa_system_sgpr_workgroup_info 0
		.amdhsa_system_vgpr_workitem_id 0
		.amdhsa_next_free_vgpr 198
		.amdhsa_next_free_sgpr 52
		.amdhsa_reserve_vcc 1
		.amdhsa_float_round_mode_32 0
		.amdhsa_float_round_mode_16_64 0
		.amdhsa_float_denorm_mode_32 3
		.amdhsa_float_denorm_mode_16_64 3
		.amdhsa_dx10_clamp 1
		.amdhsa_ieee_mode 1
		.amdhsa_fp16_overflow 0
		.amdhsa_workgroup_processor_mode 1
		.amdhsa_memory_ordered 1
		.amdhsa_forward_progress 0
		.amdhsa_shared_vgpr_count 0
		.amdhsa_exception_fp_ieee_invalid_op 0
		.amdhsa_exception_fp_denorm_src 0
		.amdhsa_exception_fp_ieee_div_zero 0
		.amdhsa_exception_fp_ieee_overflow 0
		.amdhsa_exception_fp_ieee_underflow 0
		.amdhsa_exception_fp_ieee_inexact 0
		.amdhsa_exception_int_div_zero 0
	.end_amdhsa_kernel
	.section	.text._Z39paged_attention_ll4mi_QKV_mfma16_kernelI14__hip_bfloat16S0_LN4vllm18Fp8KVCacheDataTypeE0EhLi16ELi64ELi256ELb1ELi6EL8MFMAType0EEvPKT_PKT0_S9_ifPKiSB_SB_iPKfiiiPfSE_PS4_PT2_iSD_SD_,"axG",@progbits,_Z39paged_attention_ll4mi_QKV_mfma16_kernelI14__hip_bfloat16S0_LN4vllm18Fp8KVCacheDataTypeE0EhLi16ELi64ELi256ELb1ELi6EL8MFMAType0EEvPKT_PKT0_S9_ifPKiSB_SB_iPKfiiiPfSE_PS4_PT2_iSD_SD_,comdat
.Lfunc_end391:
	.size	_Z39paged_attention_ll4mi_QKV_mfma16_kernelI14__hip_bfloat16S0_LN4vllm18Fp8KVCacheDataTypeE0EhLi16ELi64ELi256ELb1ELi6EL8MFMAType0EEvPKT_PKT0_S9_ifPKiSB_SB_iPKfiiiPfSE_PS4_PT2_iSD_SD_, .Lfunc_end391-_Z39paged_attention_ll4mi_QKV_mfma16_kernelI14__hip_bfloat16S0_LN4vllm18Fp8KVCacheDataTypeE0EhLi16ELi64ELi256ELb1ELi6EL8MFMAType0EEvPKT_PKT0_S9_ifPKiSB_SB_iPKfiiiPfSE_PS4_PT2_iSD_SD_
                                        ; -- End function
	.section	.AMDGPU.csdata,"",@progbits
; Kernel info:
; codeLenInByte = 9996
; NumSgprs: 54
; NumVgprs: 198
; ScratchSize: 0
; MemoryBound: 0
; FloatMode: 240
; IeeeMode: 1
; LDSByteSize: 17472 bytes/workgroup (compile time only)
; SGPRBlocks: 6
; VGPRBlocks: 24
; NumSGPRsForWavesPerEU: 54
; NumVGPRsForWavesPerEU: 198
; Occupancy: 7
; WaveLimiterHint : 1
; COMPUTE_PGM_RSRC2:SCRATCH_EN: 0
; COMPUTE_PGM_RSRC2:USER_SGPR: 13
; COMPUTE_PGM_RSRC2:TRAP_HANDLER: 0
; COMPUTE_PGM_RSRC2:TGID_X_EN: 1
; COMPUTE_PGM_RSRC2:TGID_Y_EN: 1
; COMPUTE_PGM_RSRC2:TGID_Z_EN: 1
; COMPUTE_PGM_RSRC2:TIDIG_COMP_CNT: 0
	.section	.text._Z39paged_attention_ll4mi_QKV_mfma16_kernelI14__hip_bfloat16S0_LN4vllm18Fp8KVCacheDataTypeE0EhLi16ELi64ELi256ELb1ELi7EL8MFMAType0EEvPKT_PKT0_S9_ifPKiSB_SB_iPKfiiiPfSE_PS4_PT2_iSD_SD_,"axG",@progbits,_Z39paged_attention_ll4mi_QKV_mfma16_kernelI14__hip_bfloat16S0_LN4vllm18Fp8KVCacheDataTypeE0EhLi16ELi64ELi256ELb1ELi7EL8MFMAType0EEvPKT_PKT0_S9_ifPKiSB_SB_iPKfiiiPfSE_PS4_PT2_iSD_SD_,comdat
	.protected	_Z39paged_attention_ll4mi_QKV_mfma16_kernelI14__hip_bfloat16S0_LN4vllm18Fp8KVCacheDataTypeE0EhLi16ELi64ELi256ELb1ELi7EL8MFMAType0EEvPKT_PKT0_S9_ifPKiSB_SB_iPKfiiiPfSE_PS4_PT2_iSD_SD_ ; -- Begin function _Z39paged_attention_ll4mi_QKV_mfma16_kernelI14__hip_bfloat16S0_LN4vllm18Fp8KVCacheDataTypeE0EhLi16ELi64ELi256ELb1ELi7EL8MFMAType0EEvPKT_PKT0_S9_ifPKiSB_SB_iPKfiiiPfSE_PS4_PT2_iSD_SD_
	.globl	_Z39paged_attention_ll4mi_QKV_mfma16_kernelI14__hip_bfloat16S0_LN4vllm18Fp8KVCacheDataTypeE0EhLi16ELi64ELi256ELb1ELi7EL8MFMAType0EEvPKT_PKT0_S9_ifPKiSB_SB_iPKfiiiPfSE_PS4_PT2_iSD_SD_
	.p2align	8
	.type	_Z39paged_attention_ll4mi_QKV_mfma16_kernelI14__hip_bfloat16S0_LN4vllm18Fp8KVCacheDataTypeE0EhLi16ELi64ELi256ELb1ELi7EL8MFMAType0EEvPKT_PKT0_S9_ifPKiSB_SB_iPKfiiiPfSE_PS4_PT2_iSD_SD_,@function
_Z39paged_attention_ll4mi_QKV_mfma16_kernelI14__hip_bfloat16S0_LN4vllm18Fp8KVCacheDataTypeE0EhLi16ELi64ELi256ELb1ELi7EL8MFMAType0EEvPKT_PKT0_S9_ifPKiSB_SB_iPKfiiiPfSE_PS4_PT2_iSD_SD_: ; @_Z39paged_attention_ll4mi_QKV_mfma16_kernelI14__hip_bfloat16S0_LN4vllm18Fp8KVCacheDataTypeE0EhLi16ELi64ELi256ELb1ELi7EL8MFMAType0EEvPKT_PKT0_S9_ifPKiSB_SB_iPKfiiiPfSE_PS4_PT2_iSD_SD_
; %bb.0:
	s_load_b64 s[2:3], s[0:1], 0x30
	s_mov_b32 s34, s13
	s_waitcnt lgkmcnt(0)
	s_cmp_lg_u64 s[2:3], 0
	s_cselect_b32 s8, -1, 0
	s_ashr_i32 s35, s13, 31
	s_cmp_eq_u64 s[2:3], 0
	s_cbranch_scc1 .LBB392_3
; %bb.1:
	s_lshl_b64 s[4:5], s[34:35], 2
	s_delay_alu instid0(SALU_CYCLE_1) | instskip(SKIP_4) | instid1(SALU_CYCLE_1)
	s_add_u32 s4, s2, s4
	s_addc_u32 s5, s3, s5
	s_load_b64 s[4:5], s[4:5], 0x0
	s_waitcnt lgkmcnt(0)
	s_sub_i32 s4, s5, s4
	s_cmp_eq_u32 s4, 1
	s_cselect_b32 s4, -1, 0
	s_delay_alu instid0(SALU_CYCLE_1)
	s_and_not1_b32 vcc_lo, exec_lo, s4
	s_cbranch_vccz .LBB392_4
.LBB392_2:
	s_nop 0
	s_sendmsg sendmsg(MSG_DEALLOC_VGPRS)
	s_endpgm
.LBB392_3:
.LBB392_4:
	s_load_b64 s[4:5], s[0:1], 0x28
	s_lshl_b64 s[6:7], s[34:35], 2
	s_waitcnt lgkmcnt(0)
	s_add_u32 s4, s4, s6
	s_addc_u32 s5, s5, s7
	s_lshl_b32 s33, s14, 8
	s_load_b32 s30, s[4:5], 0x0
	s_waitcnt lgkmcnt(0)
	s_cmp_ge_i32 s33, s30
	s_cbranch_scc1 .LBB392_2
; %bb.5:
	s_clause 0x1
	s_load_b128 s[20:23], s[0:1], 0x8
	s_load_b64 s[4:5], s[0:1], 0x20
	s_and_not1_b32 vcc_lo, exec_lo, s8
	s_cbranch_vccnz .LBB392_7
; %bb.6:
	s_add_u32 s2, s2, s6
	s_addc_u32 s3, s3, s7
	s_load_b32 s3, s[2:3], 0x0
	s_branch .LBB392_8
.LBB392_7:
	s_mov_b32 s3, s34
.LBB392_8:
	s_load_b128 s[16:19], s[0:1], 0x48
	v_lshrrev_b32_e32 v149, 5, v0
	v_bfe_u32 v146, v0, 4, 1
	v_and_b32_e32 v148, 15, v0
	v_and_b32_e32 v150, 31, v0
	;; [unrolled: 1-line block ×3, first 2 shown]
	s_mul_i32 s31, s15, 7
	v_lshl_or_b32 v1, v149, 1, v146
	v_lshlrev_b32_e32 v2, 3, v148
	v_cmp_gt_u32_e64 s2, 8, v148
	s_delay_alu instid0(VALU_DEP_3) | instskip(NEXT) | instid1(VALU_DEP_3)
	v_cmp_gt_u32_e32 vcc_lo, 7, v1
	v_lshlrev_b32_e32 v145, 1, v2
	s_delay_alu instid0(VALU_DEP_3) | instskip(NEXT) | instid1(SALU_CYCLE_1)
	s_and_b32 s7, s2, vcc_lo
	s_and_saveexec_b32 s6, s7
	s_cbranch_execz .LBB392_10
; %bb.9:
	s_load_b64 s[8:9], s[0:1], 0x0
	v_add_lshl_u32 v2, v1, s31, 6
	s_waitcnt lgkmcnt(0)
	s_mul_hi_i32 s11, s3, s16
	s_mul_i32 s10, s3, s16
	v_lshlrev_b32_e32 v6, 10, v148
	s_lshl_b64 s[10:11], s[10:11], 1
	v_ashrrev_i32_e32 v3, 31, v2
	v_lshlrev_b32_e32 v1, 6, v1
	v_lshlrev_b32_e32 v7, 10, v147
	v_and_b32_e32 v6, 0x3800, v6
	s_delay_alu instid0(VALU_DEP_4) | instskip(NEXT) | instid1(VALU_DEP_2)
	v_lshlrev_b64 v[2:3], 1, v[2:3]
	v_or3_b32 v1, v6, v7, v1
	s_add_u32 s3, s8, s10
	s_addc_u32 s7, s9, s11
	s_delay_alu instid0(VALU_DEP_2) | instskip(NEXT) | instid1(VALU_DEP_3)
	v_add_co_u32 v2, vcc_lo, s3, v2
	v_add_co_ci_u32_e32 v3, vcc_lo, s7, v3, vcc_lo
	s_delay_alu instid0(VALU_DEP_2) | instskip(NEXT) | instid1(VALU_DEP_2)
	v_add_co_u32 v2, vcc_lo, v2, v145
	v_add_co_ci_u32_e32 v3, vcc_lo, 0, v3, vcc_lo
	global_load_b128 v[2:5], v[2:3], off
	s_waitcnt vmcnt(0)
	ds_store_b128 v1, v[2:5]
.LBB392_10:
	s_or_b32 exec_lo, exec_lo, s6
	v_and_b32_e32 v1, 0xef, v0
	s_waitcnt lgkmcnt(0)
	s_add_i32 s3, s30, 15
	s_clause 0x1
	s_load_b32 s6, s[0:1], 0x38
	s_load_b32 s35, s[0:1], 0x1c
	s_ashr_i32 s7, s3, 31
	v_add_nc_u32_e32 v1, s33, v1
	s_lshr_b32 s7, s7, 28
	s_waitcnt lgkmcnt(0)
	s_add_i32 s3, s3, s7
	s_barrier
	v_ashrrev_i32_e32 v2, 31, v1
	v_or_b32_e32 v3, 16, v1
	s_ashr_i32 s3, s3, 4
	v_cmp_gt_i32_e32 vcc_lo, s30, v1
	s_add_i32 s3, s3, -1
	v_lshrrev_b32_e32 v2, 28, v2
	buffer_gl0_inv
	v_mul_lo_u16 v21, v148, 37
	v_lshlrev_b32_e32 v22, 5, v148
	v_add_nc_u32_e32 v4, v1, v2
	s_mul_i32 s6, s34, s6
	s_delay_alu instid0(VALU_DEP_3) | instskip(SKIP_1) | instid1(VALU_DEP_2)
	v_lshrrev_b16 v21, 8, v21
	s_ashr_i32 s7, s6, 31
	v_ashrrev_i32_e32 v4, 4, v4
	v_add_nc_u32_e32 v2, v3, v2
	s_lshl_b64 s[6:7], s[6:7], 2
	v_mul_lo_u16 v21, v21, 7
	s_add_u32 s16, s4, s6
	v_cndmask_b32_e32 v1, s3, v4, vcc_lo
	v_ashrrev_i32_e32 v2, 4, v2
	v_cmp_gt_i32_e32 vcc_lo, s30, v3
	s_addc_u32 s36, s5, s7
	s_mul_i32 s4, s15, s18
	v_sub_nc_u16 v21, v148, v21
	s_ashr_i32 s5, s4, 31
	v_cndmask_b32_e32 v3, s3, v2, vcc_lo
	v_ashrrev_i32_e32 v2, 31, v1
	s_lshl_b64 s[12:13], s[4:5], 1
	v_and_b32_e32 v21, 0xff, v21
	s_add_u32 s26, s20, s12
	v_ashrrev_i32_e32 v4, 31, v3
	v_lshlrev_b64 v[1:2], 2, v[1:2]
	s_addc_u32 s27, s21, s13
	s_lshl_b32 s4, s14, 4
	v_lshlrev_b32_e32 v197, 6, v21
	v_lshlrev_b64 v[3:4], 2, v[3:4]
	s_ashr_i32 s5, s4, 31
	v_add_co_u32 v1, vcc_lo, s16, v1
	v_add_co_ci_u32_e32 v2, vcc_lo, s36, v2, vcc_lo
	s_delay_alu instid0(VALU_DEP_3) | instskip(NEXT) | instid1(VALU_DEP_4)
	v_add_co_u32 v3, vcc_lo, s16, v3
	v_add_co_ci_u32_e32 v4, vcc_lo, s36, v4, vcc_lo
	s_clause 0x1
	global_load_b32 v5, v[1:2], off
	global_load_b32 v6, v[3:4], off
	s_lshl_b64 s[4:5], s[4:5], 2
	v_lshlrev_b32_e32 v3, 4, v0
	s_add_u32 s4, s16, s4
	s_addc_u32 s5, s36, s5
	s_or_b32 s6, s33, 16
	v_lshl_or_b32 v22, v149, 9, v22
	s_ashr_i32 s7, s6, 4
	s_cmp_lt_i32 s6, s30
	s_cselect_b32 s6, s7, s3
	s_delay_alu instid0(SALU_CYCLE_1) | instskip(NEXT) | instid1(SALU_CYCLE_1)
	s_ashr_i32 s7, s6, 31
	s_lshl_b64 s[6:7], s[6:7], 2
	s_delay_alu instid0(SALU_CYCLE_1) | instskip(SKIP_2) | instid1(SALU_CYCLE_1)
	s_add_u32 s6, s16, s6
	s_addc_u32 s7, s36, s7
	s_or_b32 s8, s33, 32
	s_ashr_i32 s9, s8, 4
	s_cmp_lt_i32 s8, s30
	s_cselect_b32 s8, s9, s3
	s_delay_alu instid0(SALU_CYCLE_1) | instskip(NEXT) | instid1(SALU_CYCLE_1)
	s_ashr_i32 s9, s8, 31
	s_lshl_b64 s[8:9], s[8:9], 2
	s_delay_alu instid0(SALU_CYCLE_1) | instskip(SKIP_2) | instid1(SALU_CYCLE_1)
	s_add_u32 s8, s16, s8
	s_addc_u32 s9, s36, s9
	s_or_b32 s10, s33, 48
	;; [unrolled: 10-line block ×4, first 2 shown]
	s_ashr_i32 s18, s15, 4
	s_cmp_lt_i32 s15, s30
	s_cselect_b32 s18, s18, s3
	s_delay_alu instid0(SALU_CYCLE_1) | instskip(NEXT) | instid1(SALU_CYCLE_1)
	s_ashr_i32 s19, s18, 31
	s_lshl_b64 s[18:19], s[18:19], 2
	s_delay_alu instid0(SALU_CYCLE_1)
	s_add_u32 s24, s16, s18
	s_addc_u32 s25, s36, s19
	s_clause 0x5
	s_load_b32 s37, s[4:5], 0x0
	s_load_b32 s29, s[6:7], 0x0
	;; [unrolled: 1-line block ×6, first 2 shown]
	s_waitcnt vmcnt(1)
	v_mad_i64_i32 v[1:2], null, v5, s17, 0
	v_and_b32_e32 v5, 0xf0, v3
	s_waitcnt vmcnt(0)
	v_mad_i64_i32 v[3:4], null, v6, s17, 0
	s_delay_alu instid0(VALU_DEP_2) | instskip(NEXT) | instid1(VALU_DEP_4)
	v_add_co_u32 v5, s4, s26, v5
	v_lshlrev_b64 v[1:2], 1, v[1:2]
	v_add_co_ci_u32_e64 v6, null, s27, 0, s4
	s_delay_alu instid0(VALU_DEP_4) | instskip(SKIP_1) | instid1(VALU_DEP_3)
	v_lshlrev_b64 v[3:4], 1, v[3:4]
	s_or_b32 s4, s33, 0x60
	v_add_co_u32 v19, vcc_lo, v5, v1
	s_delay_alu instid0(VALU_DEP_3) | instskip(NEXT) | instid1(VALU_DEP_3)
	v_add_co_ci_u32_e32 v20, vcc_lo, v6, v2, vcc_lo
	v_add_co_u32 v17, vcc_lo, v5, v3
	s_delay_alu instid0(VALU_DEP_4)
	v_add_co_ci_u32_e32 v18, vcc_lo, v6, v4, vcc_lo
	s_clause 0xb
	global_load_b128 v[1:4], v[19:20], off
	global_load_b128 v[5:8], v[19:20], off offset:256
	global_load_b128 v[129:132], v[17:18], off
	global_load_b128 v[133:136], v[17:18], off offset:256
	global_load_b128 v[33:36], v[19:20], off offset:512
	;; [unrolled: 1-line block ×9, first 2 shown]
	ds_load_b128 v[159:162], v197
	ds_load_b128 v[163:166], v197 offset:1024
	s_clause 0x3
	global_load_b128 v[167:170], v[19:20], off offset:1536
	global_load_b128 v[171:174], v[19:20], off offset:1792
	global_load_b128 v[175:178], v[17:18], off offset:1536
	global_load_b128 v[179:182], v[17:18], off offset:1792
	s_ashr_i32 s5, s4, 4
	s_cmp_lt_i32 s4, s30
	s_cselect_b32 s4, s5, s3
	s_delay_alu instid0(SALU_CYCLE_1) | instskip(NEXT) | instid1(SALU_CYCLE_1)
	s_ashr_i32 s5, s4, 31
	s_lshl_b64 s[4:5], s[4:5], 2
	s_delay_alu instid0(SALU_CYCLE_1) | instskip(SKIP_2) | instid1(SALU_CYCLE_1)
	s_add_u32 s20, s16, s4
	s_addc_u32 s21, s36, s5
	s_or_b32 s4, s33, 0x70
	s_ashr_i32 s5, s4, 4
	s_cmp_lt_i32 s4, s30
	s_cselect_b32 s4, s5, s3
	s_delay_alu instid0(SALU_CYCLE_1) | instskip(NEXT) | instid1(SALU_CYCLE_1)
	s_ashr_i32 s5, s4, 31
	s_lshl_b64 s[6:7], s[4:5], 2
	s_mov_b32 s4, 0
	s_add_u32 s24, s16, s6
	s_addc_u32 s25, s36, s7
	s_or_b32 s5, s33, 0x80
	s_mov_b32 s11, s4
	s_ashr_i32 s6, s5, 4
	s_cmp_lt_i32 s5, s30
	s_mov_b32 s5, s4
	s_cselect_b32 s8, s6, s3
	s_mov_b32 s6, s4
	s_ashr_i32 s9, s8, 31
	s_mov_b32 s7, s4
	s_lshl_b64 s[8:9], s[8:9], 2
	s_load_b32 s46, s[24:25], 0x0
	s_add_u32 s26, s16, s8
	s_addc_u32 s27, s36, s9
	s_or_b32 s9, s33, 0x90
	s_load_b32 s47, s[26:27], 0x0
	s_ashr_i32 s10, s9, 4
	s_cmp_lt_i32 s9, s30
	s_mov_b32 s8, s4
	s_cselect_b32 s38, s10, s3
	s_mov_b32 s9, s4
	s_ashr_i32 s39, s38, 31
	s_mov_b32 s10, s4
	s_lshl_b64 s[38:39], s[38:39], 2
	v_mov_b32_e32 v144, s11
	s_add_u32 s38, s16, s38
	s_addc_u32 s39, s36, s39
	s_or_b32 s40, s33, 0xa0
	v_mov_b32_e32 v143, s10
	s_ashr_i32 s41, s40, 4
	s_cmp_lt_i32 s40, s30
	v_mov_b32_e32 v142, s9
	s_cselect_b32 s40, s41, s3
	v_mov_b32_e32 v141, s8
	s_ashr_i32 s41, s40, 31
	v_dual_mov_b32 v140, s7 :: v_dual_mov_b32 v139, s6
	v_dual_mov_b32 v138, s5 :: v_dual_mov_b32 v137, s4
	s_lshl_b64 s[4:5], s[40:41], 2
	s_waitcnt lgkmcnt(0)
	s_mul_hi_i32 s7, s29, s17
	s_add_u32 s42, s16, s4
	s_addc_u32 s43, s36, s5
	s_or_b32 s4, s33, 0xb0
	s_mul_hi_i32 s5, s37, s17
	s_ashr_i32 s6, s4, 4
	s_cmp_lt_i32 s4, s30
	s_mul_i32 s4, s37, s17
	s_cselect_b32 s8, s6, s3
	s_mul_i32 s6, s29, s17
	s_ashr_i32 s9, s8, 31
	s_load_b32 s41, s[20:21], 0x0
	s_lshl_b64 s[8:9], s[8:9], 2
	s_load_b32 s40, s[38:39], 0x0
	s_add_u32 s44, s16, s8
	s_addc_u32 s45, s36, s9
	s_or_b32 s8, s33, 0xc0
	s_mul_hi_i32 s9, s28, s17
	s_ashr_i32 s10, s8, 4
	s_cmp_lt_i32 s8, s30
	s_mul_i32 s8, s28, s17
	s_cselect_b32 s28, s10, s3
	s_load_b32 s39, s[42:43], 0x0
	s_ashr_i32 s29, s28, 31
	s_mul_hi_i32 s21, s15, s17
	s_lshl_b64 s[28:29], s[28:29], 2
	s_mul_hi_i32 s27, s46, s17
	s_add_u32 s28, s16, s28
	s_addc_u32 s29, s36, s29
	s_or_b32 s37, s33, 0xd0
	s_mul_i32 s26, s46, s17
	s_ashr_i32 s20, s37, 4
	s_cmp_lt_i32 s37, s30
	s_mul_hi_i32 s11, s19, s17
	s_cselect_b32 s24, s20, s3
	s_mul_i32 s20, s15, s17
	s_ashr_i32 s25, s24, 31
	s_mul_i32 s10, s19, s17
	s_lshl_b64 s[24:25], s[24:25], 2
	s_mul_hi_i32 s19, s18, s17
	s_add_u32 s24, s16, s24
	s_addc_u32 s25, s36, s25
	s_or_b32 s42, s33, 0xe0
	s_clause 0x2
	s_load_b32 s38, s[44:45], 0x0
	s_load_b32 s37, s[28:29], 0x0
	;; [unrolled: 1-line block ×3, first 2 shown]
	s_ashr_i32 s43, s42, 4
	s_cmp_lt_i32 s42, s30
	s_mul_hi_i32 s29, s47, s17
	s_cselect_b32 s42, s43, s3
	s_mul_i32 s28, s47, s17
	s_ashr_i32 s43, s42, 31
	s_mul_i32 s18, s18, s17
	s_lshl_b64 s[42:43], s[42:43], 2
	s_waitcnt lgkmcnt(0)
	s_mul_hi_i32 s25, s41, s17
	s_add_u32 s42, s16, s42
	s_addc_u32 s43, s36, s43
	s_or_b32 s46, s33, 0xf0
	s_mul_i32 s24, s41, s17
	s_ashr_i32 s47, s46, 4
	s_cmp_lt_i32 s46, s30
	s_mul_hi_i32 s41, s40, s17
	s_cselect_b32 s46, s47, s3
	s_mul_i32 s40, s40, s17
	s_ashr_i32 s47, s46, 31
	s_mul_hi_i32 s51, s15, s17
	s_lshl_b64 s[46:47], s[46:47], 2
	s_mul_i32 s50, s15, s17
	s_add_u32 s46, s16, s46
	s_addc_u32 s47, s36, s47
	s_add_u32 s3, s22, s12
	s_addc_u32 s15, s23, s13
	v_add_co_u32 v195, s3, s3, v22
	s_delay_alu instid0(VALU_DEP_1) | instskip(SKIP_2) | instid1(VALU_DEP_2)
	v_add_co_ci_u32_e64 v196, null, s15, 0, s3
	s_lshl_b64 s[4:5], s[4:5], 1
	s_lshl_b64 s[6:7], s[6:7], 1
	v_add_co_u32 v17, vcc_lo, v195, s4
	s_delay_alu instid0(VALU_DEP_2)
	v_add_co_ci_u32_e32 v18, vcc_lo, s5, v196, vcc_lo
	v_add_co_u32 v19, vcc_lo, v195, s6
	s_lshl_b64 s[8:9], s[8:9], 1
	v_add_co_ci_u32_e32 v20, vcc_lo, s7, v196, vcc_lo
	v_add_co_u32 v21, vcc_lo, v195, s8
	s_lshl_b64 s[10:11], s[10:11], 1
	;; [unrolled: 3-line block ×8, first 2 shown]
	s_mul_hi_i32 s45, s39, s17
	s_mul_i32 s44, s39, s17
	v_add_co_ci_u32_e32 v50, vcc_lo, s25, v196, vcc_lo
	v_add_co_u32 v53, vcc_lo, v195, s26
	s_lshl_b64 s[28:29], s[44:45], 1
	s_mul_hi_i32 s39, s38, s17
	s_mul_i32 s38, s38, s17
	v_add_co_ci_u32_e32 v54, vcc_lo, s27, v196, vcc_lo
	v_add_co_u32 v183, vcc_lo, v195, s28
	s_mul_hi_i32 s49, s37, s17
	s_mul_i32 s48, s37, s17
	s_lshl_b64 s[36:37], s[38:39], 1
	v_add_co_ci_u32_e32 v184, vcc_lo, s29, v196, vcc_lo
	v_add_co_u32 v185, vcc_lo, v195, s36
	s_lshl_b64 s[38:39], s[48:49], 1
	s_clause 0x1
	s_load_b32 s3, s[42:43], 0x0
	s_load_b32 s15, s[46:47], 0x0
	v_add_co_ci_u32_e32 v186, vcc_lo, s37, v196, vcc_lo
	v_add_co_u32 v191, vcc_lo, v195, s38
	v_add_co_ci_u32_e32 v192, vcc_lo, s39, v196, vcc_lo
	s_clause 0x17
	global_load_b128 v[121:124], v[17:18], off
	global_load_b128 v[125:128], v[17:18], off offset:16
	global_load_b128 v[113:116], v[19:20], off
	global_load_b128 v[117:120], v[19:20], off offset:16
	global_load_b128 v[105:108], v[21:22], off
	global_load_b128 v[109:112], v[21:22], off offset:16
	global_load_b128 v[97:100], v[23:24], off
	global_load_b128 v[101:104], v[23:24], off offset:16
	global_load_b128 v[89:92], v[41:42], off
	global_load_b128 v[93:96], v[41:42], off offset:16
	global_load_b128 v[81:84], v[43:44], off
	global_load_b128 v[85:88], v[43:44], off offset:16
	global_load_b128 v[73:76], v[45:46], off
	global_load_b128 v[77:80], v[45:46], off offset:16
	global_load_b128 v[57:60], v[47:48], off
	global_load_b128 v[61:64], v[47:48], off offset:16
	global_load_b128 v[65:68], v[49:50], off
	global_load_b128 v[69:72], v[49:50], off offset:16
	global_load_b128 v[49:52], v[53:54], off
	global_load_b128 v[53:56], v[53:54], off offset:16
	global_load_b128 v[41:44], v[183:184], off
	global_load_b128 v[45:48], v[183:184], off offset:16
	global_load_b128 v[17:20], v[185:186], off
	global_load_b128 v[21:24], v[185:186], off offset:16
	s_lshl_b64 s[40:41], s[50:51], 1
	s_delay_alu instid0(SALU_CYCLE_1)
	v_add_co_u32 v193, vcc_lo, v195, s40
	v_add_co_ci_u32_e32 v194, vcc_lo, s41, v196, vcc_lo
	s_waitcnt lgkmcnt(0)
	s_mul_hi_i32 s5, s3, s17
	s_mul_i32 s4, s3, s17
	s_mul_hi_i32 s7, s15, s17
	s_lshl_b64 s[4:5], s[4:5], 1
	s_mul_i32 s6, s15, s17
	s_waitcnt vmcnt(38)
	v_wmma_f32_16x16x16_bf16 v[183:190], v[1:8], v[159:166], v[137:144]
	s_waitcnt vmcnt(36)
	v_wmma_f32_16x16x16_bf16 v[137:144], v[129:136], v[159:166], v[137:144]
	s_clause 0x1
	global_load_b128 v[1:4], v[191:192], off
	global_load_b128 v[5:8], v[191:192], off offset:16
	ds_load_b128 v[129:132], v197 offset:2048
	ds_load_b128 v[133:136], v197 offset:3072
	;; [unrolled: 1-line block ×4, first 2 shown]
	v_add_co_u32 v191, vcc_lo, v195, s4
	v_add_co_ci_u32_e32 v192, vcc_lo, s5, v196, vcc_lo
	s_lshl_b64 s[4:5], s[6:7], 1
	s_delay_alu instid0(SALU_CYCLE_1)
	v_add_co_u32 v195, vcc_lo, v195, s4
	v_add_co_ci_u32_e32 v196, vcc_lo, s5, v196, vcc_lo
	s_waitcnt vmcnt(36) lgkmcnt(2)
	v_wmma_f32_16x16x16_bf16 v[183:190], v[33:40], v[129:136], v[183:190]
	s_waitcnt vmcnt(34)
	v_wmma_f32_16x16x16_bf16 v[137:144], v[25:32], v[129:136], v[137:144]
	s_clause 0x3
	global_load_b128 v[25:28], v[193:194], off
	global_load_b128 v[29:32], v[193:194], off offset:16
	global_load_b128 v[33:36], v[191:192], off
	global_load_b128 v[37:40], v[191:192], off offset:16
	v_and_b32_e32 v129, 0xe0, v0
	v_mbcnt_lo_u32_b32 v191, -1, 0
	s_waitcnt vmcnt(36) lgkmcnt(0)
	v_wmma_f32_16x16x16_bf16 v[183:190], v[9:16], v[159:166], v[183:190]
	s_clause 0x1
	global_load_b128 v[9:12], v[195:196], off
	global_load_b128 v[13:16], v[195:196], off offset:16
	s_waitcnt vmcnt(36)
	v_wmma_f32_16x16x16_bf16 v[137:144], v[151:158], v[159:166], v[137:144]
	v_add_nc_u32_e32 v192, s33, v129
	ds_load_b128 v[129:132], v197 offset:6144
	ds_load_b128 v[133:136], v197 offset:7168
	v_xor_b32_e32 v151, 16, v191
	s_waitcnt vmcnt(0) lgkmcnt(0)
	s_barrier
	v_or_b32_e32 v152, v192, v146
	buffer_gl0_inv
	v_cmp_gt_i32_e32 vcc_lo, 32, v151
	v_or_b32_e32 v153, 2, v152
	v_or_b32_e32 v154, 4, v152
	;; [unrolled: 1-line block ×5, first 2 shown]
	v_cmp_gt_i32_e64 s3, s30, v153
	v_or_b32_e32 v158, 12, v152
	v_cmp_gt_i32_e64 s4, s30, v154
	v_cmp_gt_i32_e64 s5, s30, v155
	v_or_b32_e32 v159, 14, v152
	v_cmp_gt_i32_e64 s6, s30, v156
	v_wmma_f32_16x16x16_bf16 v[183:190], v[167:174], v[129:136], v[183:190]
	v_wmma_f32_16x16x16_bf16 v[137:144], v[175:182], v[129:136], v[137:144]
	v_cndmask_b32_e32 v151, v191, v151, vcc_lo
	v_cmp_gt_i32_e32 vcc_lo, s30, v152
	v_cmp_gt_i32_e64 s7, s30, v157
	v_dual_mul_f32 v135, s35, v184 :: v_dual_mul_f32 v136, s35, v183
	v_mul_f32_e32 v134, s35, v185
	v_dual_mul_f32 v168, s35, v144 :: v_dual_mul_f32 v133, s35, v186
	s_delay_alu instid0(VALU_DEP_3) | instskip(NEXT) | instid1(VALU_DEP_4)
	v_cndmask_b32_e64 v135, 0xff7fffff, v135, s3
	v_cndmask_b32_e32 v136, 0xff7fffff, v136, vcc_lo
	v_dual_mul_f32 v131, s35, v188 :: v_dual_mul_f32 v174, s35, v138
	v_mul_f32_e32 v132, s35, v187
	v_cndmask_b32_e64 v134, 0xff7fffff, v134, s4
	s_delay_alu instid0(VALU_DEP_4)
	v_max3_f32 v135, v136, 0xff7fffff, v135
	v_cmp_gt_i32_e64 s8, s30, v158
	v_lshlrev_b32_e32 v158, 2, v151
	v_cndmask_b32_e64 v133, 0xff7fffff, v133, s5
	v_or_b32_e32 v160, 16, v152
	v_or_b32_e32 v161, 18, v152
	v_dual_mul_f32 v129, s35, v190 :: v_dual_mul_f32 v172, s35, v140
	v_mul_f32_e32 v130, s35, v189
	v_cndmask_b32_e64 v132, 0xff7fffff, v132, s6
	v_cndmask_b32_e64 v131, 0xff7fffff, v131, s7
	v_max3_f32 v133, v135, v134, v133
	v_cmp_gt_i32_e64 s9, s30, v159
	v_or_b32_e32 v162, 20, v152
	v_or_b32_e32 v163, 22, v152
	v_mul_f32_e32 v175, s35, v137
	v_cndmask_b32_e64 v130, 0xff7fffff, v130, s8
	v_cndmask_b32_e64 v129, 0xff7fffff, v129, s9
	v_max3_f32 v131, v133, v132, v131
	v_cmp_gt_i32_e64 s10, s30, v160
	v_cmp_gt_i32_e64 s11, s30, v161
	v_or_b32_e32 v164, 24, v152
	v_or_b32_e32 v165, 26, v152
	v_mul_f32_e32 v173, s35, v139
	v_cndmask_b32_e64 v132, 0xff7fffff, v175, s10
	v_cndmask_b32_e64 v133, 0xff7fffff, v174, s11
	v_max3_f32 v129, v131, v130, v129
	v_cmp_gt_i32_e64 s12, s30, v162
	v_cmp_gt_i32_e64 s13, s30, v163
	v_or_b32_e32 v166, 28, v152
	v_or_b32_e32 v167, 30, v152
	v_dual_mul_f32 v170, s35, v142 :: v_dual_mul_f32 v171, s35, v141
	v_cndmask_b32_e64 v130, 0xff7fffff, v173, s12
	v_cndmask_b32_e64 v131, 0xff7fffff, v172, s13
	v_max3_f32 v129, v129, v132, v133
	v_cmp_gt_i32_e64 s15, s30, v164
	v_cmp_gt_i32_e64 s16, s30, v165
	v_mul_f32_e32 v169, s35, v143
	v_cmp_gt_i32_e64 s17, s30, v166
	v_max3_f32 v129, v129, v130, v131
	v_cndmask_b32_e64 v132, 0xff7fffff, v171, s15
	v_cndmask_b32_e64 v133, 0xff7fffff, v170, s16
	v_cmp_gt_i32_e64 s18, s30, v167
	v_cndmask_b32_e64 v130, 0xff7fffff, v169, s17
	s_delay_alu instid0(VALU_DEP_3) | instskip(NEXT) | instid1(VALU_DEP_3)
	v_max3_f32 v129, v129, v132, v133
	v_cndmask_b32_e64 v131, 0xff7fffff, v168, s18
	s_delay_alu instid0(VALU_DEP_1) | instskip(SKIP_3) | instid1(VALU_DEP_1)
	v_max3_f32 v129, v129, v130, v131
	ds_bpermute_b32 v130, v158, v129
	s_waitcnt lgkmcnt(0)
	v_max_f32_e32 v130, v130, v130
	v_max_f32_e32 v129, v129, v130
	s_delay_alu instid0(VALU_DEP_1)
	v_fma_f32 v130, s35, v183, -v129
	v_fma_f32 v132, s35, v185, -v129
	;; [unrolled: 1-line block ×5, first 2 shown]
	v_mul_f32_e32 v130, 0x3fb8aa3b, v130
	v_mul_f32_e32 v132, 0x3fb8aa3b, v132
	v_fma_f32 v135, s35, v189, -v129
	v_mul_f32_e32 v134, 0x3fb8aa3b, v134
	s_delay_alu instid0(VALU_DEP_4) | instskip(NEXT) | instid1(VALU_DEP_3)
	v_exp_f32_e32 v130, v130
	v_exp_f32_e32 v132, v132
	s_delay_alu instid0(VALU_DEP_1) | instskip(NEXT) | instid1(TRANS32_DEP_3)
	v_exp_f32_e32 v134, v134
	v_cndmask_b32_e32 v152, 0, v130, vcc_lo
	v_fma_f32 v130, s35, v188, -v129
	v_mul_f32_e32 v131, 0x3fb8aa3b, v131
	s_waitcnt_depctr 0xfff
	v_cndmask_b32_e64 v153, 0, v132, s4
	v_fma_f32 v132, s35, v190, -v129
	v_dual_mul_f32 v133, 0x3fb8aa3b, v133 :: v_dual_mul_f32 v130, 0x3fb8aa3b, v130
	v_exp_f32_e32 v131, v131
	v_cndmask_b32_e64 v155, 0, v134, s6
	s_delay_alu instid0(VALU_DEP_3) | instskip(NEXT) | instid1(VALU_DEP_3)
	v_mul_f32_e32 v132, 0x3fb8aa3b, v132
	v_exp_f32_e32 v133, v133
	v_exp_f32_e32 v130, v130
	v_fma_f32 v134, s35, v138, -v129
	s_delay_alu instid0(VALU_DEP_2) | instskip(SKIP_1) | instid1(VALU_DEP_2)
	v_exp_f32_e32 v132, v132
	v_cndmask_b32_e64 v151, 0, v131, s3
	v_dual_add_f32 v131, 0, v152 :: v_dual_mul_f32 v134, 0x3fb8aa3b, v134
	s_delay_alu instid0(TRANS32_DEP_3)
	v_cndmask_b32_e64 v154, 0, v133, s5
	s_waitcnt_depctr 0xfff
	v_cndmask_b32_e64 v156, 0, v130, s7
	v_fma_f32 v133, s35, v137, -v129
	v_add_f32_e32 v131, v131, v151
	v_exp_f32_e32 v134, v134
	v_cmp_gt_u32_e64 s3, 16, v150
	s_delay_alu instid0(VALU_DEP_2) | instskip(NEXT) | instid1(VALU_DEP_1)
	v_add_f32_e32 v131, v131, v153
	v_add_f32_e32 v131, v131, v154
	s_delay_alu instid0(VALU_DEP_1) | instskip(SKIP_1) | instid1(VALU_DEP_2)
	v_dual_mul_f32 v133, 0x3fb8aa3b, v133 :: v_dual_add_f32 v130, v131, v155
	v_fma_f32 v131, s35, v139, -v129
	v_exp_f32_e32 v133, v133
	v_fma_f32 v139, s35, v144, -v129
	s_delay_alu instid0(VALU_DEP_3) | instskip(NEXT) | instid1(VALU_DEP_1)
	v_dual_add_f32 v130, v130, v156 :: v_dual_mul_f32 v135, 0x3fb8aa3b, v135
	v_exp_f32_e32 v135, v135
	s_waitcnt_depctr 0xfff
	v_cndmask_b32_e64 v157, 0, v135, s8
	v_fma_f32 v135, s35, v140, -v129
	v_cndmask_b32_e64 v140, 0, v132, s9
	v_fma_f32 v132, s35, v141, -v129
	s_delay_alu instid0(VALU_DEP_4) | instskip(NEXT) | instid1(VALU_DEP_1)
	v_add_f32_e32 v130, v130, v157
	v_add_f32_e32 v130, v130, v140
	s_delay_alu instid0(VALU_DEP_3) | instskip(SKIP_4) | instid1(VALU_DEP_3)
	v_mul_f32_e32 v137, 0x3fb8aa3b, v132
	v_cndmask_b32_e64 v132, 0, v134, s11
	v_mul_f32_e32 v131, 0x3fb8aa3b, v131
	v_fma_f32 v134, s35, v143, -v129
	v_mul_f32_e32 v135, 0x3fb8aa3b, v135
	v_exp_f32_e32 v136, v131
	v_cndmask_b32_e64 v131, 0, v133, s10
	v_fma_f32 v133, s35, v142, -v129
	s_delay_alu instid0(VALU_DEP_2) | instskip(NEXT) | instid1(VALU_DEP_2)
	v_add_f32_e32 v130, v130, v131
	v_mul_f32_e32 v138, 0x3fb8aa3b, v133
	v_exp_f32_e32 v137, v137
	s_waitcnt_depctr 0xfff
	v_cndmask_b32_e64 v133, 0, v136, s12
	v_mul_f32_e32 v136, 0x3fb8aa3b, v134
	v_exp_f32_e32 v135, v135
	v_add_f32_e32 v130, v130, v132
	v_exp_f32_e32 v138, v138
	s_delay_alu instid0(VALU_DEP_2) | instskip(NEXT) | instid1(VALU_DEP_1)
	v_exp_f32_e32 v141, v136
	v_add_f32_e32 v130, v130, v133
	s_delay_alu instid0(TRANS32_DEP_3)
	v_cndmask_b32_e64 v134, 0, v135, s13
	v_cndmask_b32_e64 v135, 0, v137, s15
	v_mul_f32_e32 v137, 0x3fb8aa3b, v139
	s_waitcnt_depctr 0xfff
	v_cndmask_b32_e64 v136, 0, v138, s16
	v_add_f32_e32 v130, v130, v134
	v_exp_f32_e32 v138, v137
	v_cndmask_b32_e64 v137, 0, v141, s17
	s_delay_alu instid0(VALU_DEP_2) | instskip(NEXT) | instid1(VALU_DEP_1)
	v_add_f32_e32 v130, v130, v135
	v_add_f32_e32 v130, v130, v136
	s_waitcnt_depctr 0xfff
	v_cndmask_b32_e64 v138, 0, v138, s18
	v_add_f32_e32 v130, v130, v137
	s_delay_alu instid0(VALU_DEP_1)
	v_add_f32_e32 v130, v130, v138
	ds_bpermute_b32 v139, v158, v130
	s_and_saveexec_b32 s4, s3
	s_cbranch_execz .LBB392_12
; %bb.11:
	v_mul_u32_u24_e32 v141, 0x44, v149
	s_delay_alu instid0(VALU_DEP_1) | instskip(SKIP_1) | instid1(VALU_DEP_1)
	v_lshl_add_u32 v141, v148, 2, v141
	s_waitcnt lgkmcnt(0)
	v_dual_add_f32 v130, v130, v139 :: v_dual_add_nc_u32 v139, 0x4000, v141
	ds_store_2addr_b32 v139, v129, v130 offset1:136
.LBB392_12:
	s_or_b32 exec_lo, exec_lo, s4
	v_lshlrev_b32_e32 v129, 2, v148
	s_waitcnt lgkmcnt(0)
	s_barrier
	buffer_gl0_inv
	v_cmp_eq_u32_e64 s4, 1, v149
	v_add_nc_u32_e32 v139, 0x4000, v129
	ds_load_2addr_b32 v[141:142], v139 offset1:17
	ds_load_2addr_b32 v[143:144], v139 offset0:34 offset1:51
	ds_load_2addr_b32 v[158:159], v139 offset0:68 offset1:85
	;; [unrolled: 1-line block ×4, first 2 shown]
	s_waitcnt lgkmcnt(4)
	v_max3_f32 v129, v141, 0xff7fffff, v142
	s_waitcnt lgkmcnt(3)
	s_delay_alu instid0(VALU_DEP_1) | instskip(SKIP_1) | instid1(VALU_DEP_1)
	v_max3_f32 v129, v129, v143, v144
	s_waitcnt lgkmcnt(2)
	v_max3_f32 v129, v129, v158, v159
	s_waitcnt lgkmcnt(1)
	s_delay_alu instid0(VALU_DEP_1) | instskip(NEXT) | instid1(VALU_DEP_1)
	v_max3_f32 v129, v129, v160, v161
	v_sub_f32_e32 v158, v158, v129
	s_delay_alu instid0(VALU_DEP_1) | instskip(NEXT) | instid1(VALU_DEP_1)
	v_dual_sub_f32 v150, v142, v129 :: v_dual_mul_f32 v167, 0x3fb8aa3b, v158
	v_dual_sub_f32 v143, v143, v129 :: v_dual_mul_f32 v150, 0x3fb8aa3b, v150
	s_delay_alu instid0(VALU_DEP_1) | instskip(NEXT) | instid1(VALU_DEP_2)
	v_dual_sub_f32 v130, v141, v129 :: v_dual_mul_f32 v165, 0x3fb8aa3b, v143
	v_exp_f32_e32 v150, v150
	s_delay_alu instid0(VALU_DEP_1) | instskip(NEXT) | instid1(VALU_DEP_2)
	v_mul_f32_e32 v130, 0x3fb8aa3b, v130
	v_exp_f32_e32 v165, v165
	s_delay_alu instid0(VALU_DEP_1) | instskip(SKIP_1) | instid1(VALU_DEP_1)
	v_exp_f32_e32 v164, v130
	v_sub_f32_e32 v130, v144, v129
	v_mul_f32_e32 v166, 0x3fb8aa3b, v130
	s_waitcnt lgkmcnt(0)
	s_waitcnt_depctr 0xfff
	v_fma_f32 v130, v164, v162, 0
	v_sub_f32_e32 v162, v159, v129
	s_delay_alu instid0(VALU_DEP_2)
	v_fmac_f32_e32 v130, v150, v163
	ds_load_2addr_b32 v[141:142], v139 offset0:170 offset1:187
	ds_load_2addr_b32 v[143:144], v139 offset0:204 offset1:221
	;; [unrolled: 1-line block ×3, first 2 shown]
	v_sub_f32_e32 v139, v160, v129
	v_exp_f32_e32 v166, v166
	v_mul_f32_e32 v160, 0x3fb8aa3b, v162
	v_exp_f32_e32 v162, v167
	v_cndmask_b32_e64 v150, v164, v150, s4
	v_mul_f32_e32 v139, 0x3fb8aa3b, v139
	v_cmp_eq_u32_e64 s4, 2, v149
	s_waitcnt lgkmcnt(0)
	s_barrier
	buffer_gl0_inv
	v_exp_f32_e32 v139, v139
	v_cndmask_b32_e64 v150, v150, v165, s4
	v_cmp_eq_u32_e64 s4, 3, v149
	v_fmac_f32_e32 v130, v165, v141
	v_sub_f32_e32 v141, v161, v129
	v_exp_f32_e32 v160, v160
	s_delay_alu instid0(VALU_DEP_3) | instskip(SKIP_1) | instid1(VALU_DEP_3)
	v_cndmask_b32_e64 v150, v150, v166, s4
	v_cmp_eq_u32_e64 s4, 4, v149
	v_dual_fmac_f32 v130, v166, v142 :: v_dual_mul_f32 v141, 0x3fb8aa3b, v141
	s_delay_alu instid0(VALU_DEP_2) | instskip(SKIP_1) | instid1(VALU_DEP_3)
	v_cndmask_b32_e64 v150, v150, v162, s4
	v_cmp_eq_u32_e64 s4, 5, v149
	v_exp_f32_e32 v141, v141
	s_delay_alu instid0(VALU_DEP_3)
	v_fmac_f32_e32 v130, v162, v143
	s_delay_alu instid0(TRANS32_DEP_2) | instid1(VALU_DEP_2)
	v_cndmask_b32_e64 v150, v150, v160, s4
	s_delay_alu instid0(VALU_DEP_2) | instskip(NEXT) | instid1(VALU_DEP_1)
	v_fmac_f32_e32 v130, v160, v144
	v_fmac_f32_e32 v130, v139, v158
	s_waitcnt_depctr 0xfff
	v_fmac_f32_e32 v130, v141, v159
	s_delay_alu instid0(VALU_DEP_1) | instskip(NEXT) | instid1(VALU_DEP_1)
	v_add_f32_e32 v142, 0x358637bd, v130
	v_div_scale_f32 v143, null, v142, v142, 1.0
	v_div_scale_f32 v159, vcc_lo, 1.0, v142, 1.0
	s_delay_alu instid0(VALU_DEP_2) | instskip(SKIP_2) | instid1(VALU_DEP_1)
	v_rcp_f32_e32 v144, v143
	s_waitcnt_depctr 0xfff
	v_fma_f32 v158, -v143, v144, 1.0
	v_fmac_f32_e32 v144, v158, v144
	s_delay_alu instid0(VALU_DEP_1) | instskip(NEXT) | instid1(VALU_DEP_1)
	v_mul_f32_e32 v158, v159, v144
	v_fma_f32 v161, -v143, v158, v159
	s_delay_alu instid0(VALU_DEP_1) | instskip(NEXT) | instid1(VALU_DEP_1)
	v_fmac_f32_e32 v158, v161, v144
	v_fma_f32 v143, -v143, v158, v159
	s_delay_alu instid0(VALU_DEP_1) | instskip(SKIP_1) | instid1(VALU_DEP_2)
	v_div_fmas_f32 v143, v143, v144, v158
	v_cmp_eq_u32_e32 vcc_lo, 6, v149
	v_div_fixup_f32 v142, v143, v142, 1.0
	v_cndmask_b32_e32 v139, v150, v139, vcc_lo
	v_cmp_eq_u32_e32 vcc_lo, 7, v149
	s_delay_alu instid0(VALU_DEP_2) | instskip(NEXT) | instid1(VALU_DEP_1)
	v_cndmask_b32_e32 v139, v139, v141, vcc_lo
	v_mul_f32_e32 v139, v139, v142
	s_delay_alu instid0(VALU_DEP_1) | instskip(SKIP_4) | instid1(VALU_DEP_4)
	v_mul_f32_e32 v153, v139, v153
	v_mul_f32_e32 v142, v139, v152
	;; [unrolled: 1-line block ×5, first 2 shown]
	v_dual_mul_f32 v152, v139, v155 :: v_dual_and_b32 v141, 0x7f800000, v142
	v_mul_f32_e32 v154, v139, v154
	v_mul_f32_e32 v144, v139, v151
	s_delay_alu instid0(VALU_DEP_3) | instskip(SKIP_1) | instid1(SALU_CYCLE_1)
	v_cmp_ne_u32_e32 vcc_lo, 0x7f800000, v141
                                        ; implicit-def: $vgpr141
	s_and_saveexec_b32 s4, vcc_lo
	s_xor_b32 s4, exec_lo, s4
; %bb.13:
	v_bfe_u32 v141, v142, 16, 1
	s_delay_alu instid0(VALU_DEP_1)
	v_add3_u32 v141, v142, v141, 0x7fff
                                        ; implicit-def: $vgpr142
; %bb.14:
	s_and_not1_saveexec_b32 s4, s4
; %bb.15:
	v_and_b32_e32 v141, 0xffff, v142
	v_or_b32_e32 v151, 0x10000, v142
	s_delay_alu instid0(VALU_DEP_2) | instskip(NEXT) | instid1(VALU_DEP_2)
	v_cmp_eq_u32_e32 vcc_lo, 0, v141
	v_cndmask_b32_e32 v141, v151, v142, vcc_lo
; %bb.16:
	s_or_b32 exec_lo, exec_lo, s4
	v_and_b32_e32 v142, 0x7f800000, v144
	s_delay_alu instid0(VALU_DEP_1) | instskip(SKIP_1) | instid1(SALU_CYCLE_1)
	v_cmp_ne_u32_e32 vcc_lo, 0x7f800000, v142
                                        ; implicit-def: $vgpr142
	s_and_saveexec_b32 s4, vcc_lo
	s_xor_b32 s4, exec_lo, s4
; %bb.17:
	v_bfe_u32 v142, v144, 16, 1
	s_delay_alu instid0(VALU_DEP_1)
	v_add3_u32 v142, v144, v142, 0x7fff
                                        ; implicit-def: $vgpr144
; %bb.18:
	s_and_not1_saveexec_b32 s4, s4
; %bb.19:
	v_and_b32_e32 v142, 0xffff, v144
	v_or_b32_e32 v151, 0x10000, v144
	s_delay_alu instid0(VALU_DEP_2) | instskip(NEXT) | instid1(VALU_DEP_2)
	v_cmp_eq_u32_e32 vcc_lo, 0, v142
	v_cndmask_b32_e32 v142, v151, v144, vcc_lo
; %bb.20:
	s_or_b32 exec_lo, exec_lo, s4
	v_and_b32_e32 v144, 0x7f800000, v153
	s_delay_alu instid0(VALU_DEP_1) | instskip(SKIP_1) | instid1(SALU_CYCLE_1)
	v_cmp_ne_u32_e32 vcc_lo, 0x7f800000, v144
                                        ; implicit-def: $vgpr144
	s_and_saveexec_b32 s4, vcc_lo
	s_xor_b32 s4, exec_lo, s4
; %bb.21:
	v_bfe_u32 v144, v153, 16, 1
	s_delay_alu instid0(VALU_DEP_1)
	v_add3_u32 v144, v153, v144, 0x7fff
                                        ; implicit-def: $vgpr153
; %bb.22:
	s_and_not1_saveexec_b32 s4, s4
; %bb.23:
	v_and_b32_e32 v144, 0xffff, v153
	v_or_b32_e32 v151, 0x10000, v153
	s_delay_alu instid0(VALU_DEP_2) | instskip(NEXT) | instid1(VALU_DEP_2)
	v_cmp_eq_u32_e32 vcc_lo, 0, v144
	v_cndmask_b32_e32 v144, v151, v153, vcc_lo
; %bb.24:
	s_or_b32 exec_lo, exec_lo, s4
	v_and_b32_e32 v151, 0x7f800000, v154
	s_delay_alu instid0(VALU_DEP_1) | instskip(SKIP_1) | instid1(SALU_CYCLE_1)
	v_cmp_ne_u32_e32 vcc_lo, 0x7f800000, v151
                                        ; implicit-def: $vgpr151
	s_and_saveexec_b32 s4, vcc_lo
	s_xor_b32 s4, exec_lo, s4
; %bb.25:
	v_bfe_u32 v151, v154, 16, 1
	s_delay_alu instid0(VALU_DEP_1)
	v_add3_u32 v151, v154, v151, 0x7fff
                                        ; implicit-def: $vgpr154
; %bb.26:
	s_and_not1_saveexec_b32 s4, s4
; %bb.27:
	v_and_b32_e32 v151, 0xffff, v154
	v_or_b32_e32 v153, 0x10000, v154
	s_delay_alu instid0(VALU_DEP_2) | instskip(NEXT) | instid1(VALU_DEP_2)
	v_cmp_eq_u32_e32 vcc_lo, 0, v151
	v_cndmask_b32_e32 v151, v153, v154, vcc_lo
; %bb.28:
	s_or_b32 exec_lo, exec_lo, s4
	v_and_b32_e32 v153, 0x7f800000, v152
	s_delay_alu instid0(VALU_DEP_1) | instskip(SKIP_1) | instid1(SALU_CYCLE_1)
	v_cmp_ne_u32_e32 vcc_lo, 0x7f800000, v153
                                        ; implicit-def: $vgpr153
	s_and_saveexec_b32 s4, vcc_lo
	s_xor_b32 s4, exec_lo, s4
; %bb.29:
	v_bfe_u32 v153, v152, 16, 1
	s_delay_alu instid0(VALU_DEP_1)
	v_add3_u32 v153, v152, v153, 0x7fff
                                        ; implicit-def: $vgpr152
; %bb.30:
	s_and_not1_saveexec_b32 s4, s4
; %bb.31:
	v_and_b32_e32 v153, 0xffff, v152
	v_or_b32_e32 v154, 0x10000, v152
	s_delay_alu instid0(VALU_DEP_2) | instskip(NEXT) | instid1(VALU_DEP_2)
	v_cmp_eq_u32_e32 vcc_lo, 0, v153
	v_cndmask_b32_e32 v153, v154, v152, vcc_lo
; %bb.32:
	s_or_b32 exec_lo, exec_lo, s4
	v_and_b32_e32 v152, 0x7f800000, v150
	s_delay_alu instid0(VALU_DEP_1) | instskip(SKIP_1) | instid1(SALU_CYCLE_1)
	v_cmp_ne_u32_e32 vcc_lo, 0x7f800000, v152
                                        ; implicit-def: $vgpr152
	s_and_saveexec_b32 s4, vcc_lo
	s_xor_b32 s4, exec_lo, s4
; %bb.33:
	v_bfe_u32 v152, v150, 16, 1
	s_delay_alu instid0(VALU_DEP_1)
	v_add3_u32 v152, v150, v152, 0x7fff
                                        ; implicit-def: $vgpr150
; %bb.34:
	s_and_not1_saveexec_b32 s4, s4
; %bb.35:
	v_and_b32_e32 v152, 0xffff, v150
	v_or_b32_e32 v154, 0x10000, v150
	s_delay_alu instid0(VALU_DEP_2) | instskip(NEXT) | instid1(VALU_DEP_2)
	v_cmp_eq_u32_e32 vcc_lo, 0, v152
	v_cndmask_b32_e32 v152, v154, v150, vcc_lo
; %bb.36:
	s_or_b32 exec_lo, exec_lo, s4
	v_and_b32_e32 v150, 0x7f800000, v143
	s_delay_alu instid0(VALU_DEP_1) | instskip(SKIP_1) | instid1(SALU_CYCLE_1)
	v_cmp_ne_u32_e32 vcc_lo, 0x7f800000, v150
                                        ; implicit-def: $vgpr150
	s_and_saveexec_b32 s4, vcc_lo
	s_xor_b32 s4, exec_lo, s4
; %bb.37:
	v_bfe_u32 v150, v143, 16, 1
	s_delay_alu instid0(VALU_DEP_1)
	v_add3_u32 v150, v143, v150, 0x7fff
                                        ; implicit-def: $vgpr143
; %bb.38:
	s_and_not1_saveexec_b32 s4, s4
; %bb.39:
	v_and_b32_e32 v150, 0xffff, v143
	v_or_b32_e32 v154, 0x10000, v143
	s_delay_alu instid0(VALU_DEP_2) | instskip(NEXT) | instid1(VALU_DEP_2)
	v_cmp_eq_u32_e32 vcc_lo, 0, v150
	v_cndmask_b32_e32 v150, v154, v143, vcc_lo
; %bb.40:
	s_or_b32 exec_lo, exec_lo, s4
	v_and_b32_e32 v143, 0x7f800000, v140
	s_delay_alu instid0(VALU_DEP_1) | instskip(SKIP_1) | instid1(SALU_CYCLE_1)
	v_cmp_ne_u32_e32 vcc_lo, 0x7f800000, v143
                                        ; implicit-def: $vgpr143
	s_and_saveexec_b32 s4, vcc_lo
	s_xor_b32 s4, exec_lo, s4
; %bb.41:
	v_bfe_u32 v143, v140, 16, 1
	s_delay_alu instid0(VALU_DEP_1)
	v_add3_u32 v143, v140, v143, 0x7fff
                                        ; implicit-def: $vgpr140
; %bb.42:
	s_and_not1_saveexec_b32 s4, s4
; %bb.43:
	v_and_b32_e32 v143, 0xffff, v140
	v_or_b32_e32 v154, 0x10000, v140
	s_delay_alu instid0(VALU_DEP_2) | instskip(NEXT) | instid1(VALU_DEP_2)
	v_cmp_eq_u32_e32 vcc_lo, 0, v143
	v_cndmask_b32_e32 v143, v154, v140, vcc_lo
; %bb.44:
	s_or_b32 exec_lo, exec_lo, s4
	s_load_b64 s[36:37], s[0:1], 0x94
	v_dual_mul_f32 v136, v139, v136 :: v_dual_lshlrev_b32 v155, 4, v146
	s_delay_alu instid0(VALU_DEP_2)
	v_perm_b32 v154, v143, v150, 0x7060302
	v_dual_mul_f32 v143, v139, v131 :: v_dual_lshlrev_b32 v140, 6, v148
	v_dual_mul_f32 v135, v139, v135 :: v_dual_lshlrev_b32 v150, 11, v149
	v_perm_b32 v153, v152, v153, 0x7060302
	v_perm_b32 v152, v151, v144, 0x7060302
	;; [unrolled: 1-line block ×3, first 2 shown]
	s_delay_alu instid0(VALU_DEP_4)
	v_or3_b32 v131, v155, v150, v140
	v_mul_f32_e32 v138, v139, v138
	v_dual_mul_f32 v137, v139, v137 :: v_dual_and_b32 v144, 0x7f800000, v143
	v_mul_f32_e32 v141, v139, v134
	v_mul_f32_e32 v142, v139, v133
	;; [unrolled: 1-line block ×3, first 2 shown]
	s_mov_b32 s4, exec_lo
	ds_store_b128 v131, v[151:154]
                                        ; implicit-def: $vgpr132
	v_cmpx_ne_u32_e32 0x7f800000, v144
	s_xor_b32 s4, exec_lo, s4
; %bb.45:
	v_bfe_u32 v132, v143, 16, 1
	s_delay_alu instid0(VALU_DEP_1)
	v_add3_u32 v132, v143, v132, 0x7fff
                                        ; implicit-def: $vgpr143
; %bb.46:
	s_and_not1_saveexec_b32 s4, s4
; %bb.47:
	v_and_b32_e32 v132, 0xffff, v143
	v_or_b32_e32 v133, 0x10000, v143
	s_delay_alu instid0(VALU_DEP_2) | instskip(NEXT) | instid1(VALU_DEP_2)
	v_cmp_eq_u32_e32 vcc_lo, 0, v132
	v_cndmask_b32_e32 v132, v133, v143, vcc_lo
; %bb.48:
	s_or_b32 exec_lo, exec_lo, s4
	v_and_b32_e32 v133, 0x7f800000, v134
	s_delay_alu instid0(VALU_DEP_1) | instskip(SKIP_1) | instid1(SALU_CYCLE_1)
	v_cmp_ne_u32_e32 vcc_lo, 0x7f800000, v133
                                        ; implicit-def: $vgpr133
	s_and_saveexec_b32 s4, vcc_lo
	s_xor_b32 s4, exec_lo, s4
; %bb.49:
	v_bfe_u32 v133, v134, 16, 1
	s_delay_alu instid0(VALU_DEP_1)
	v_add3_u32 v133, v134, v133, 0x7fff
                                        ; implicit-def: $vgpr134
; %bb.50:
	s_and_not1_saveexec_b32 s4, s4
; %bb.51:
	v_and_b32_e32 v133, 0xffff, v134
	v_or_b32_e32 v139, 0x10000, v134
	s_delay_alu instid0(VALU_DEP_2) | instskip(NEXT) | instid1(VALU_DEP_2)
	v_cmp_eq_u32_e32 vcc_lo, 0, v133
	v_cndmask_b32_e32 v133, v139, v134, vcc_lo
; %bb.52:
	s_or_b32 exec_lo, exec_lo, s4
	v_and_b32_e32 v134, 0x7f800000, v142
	s_delay_alu instid0(VALU_DEP_1) | instskip(SKIP_1) | instid1(SALU_CYCLE_1)
	v_cmp_ne_u32_e32 vcc_lo, 0x7f800000, v134
                                        ; implicit-def: $vgpr134
	s_and_saveexec_b32 s4, vcc_lo
	s_xor_b32 s4, exec_lo, s4
; %bb.53:
	v_bfe_u32 v134, v142, 16, 1
	s_delay_alu instid0(VALU_DEP_1)
	v_add3_u32 v134, v142, v134, 0x7fff
                                        ; implicit-def: $vgpr142
; %bb.54:
	s_and_not1_saveexec_b32 s4, s4
; %bb.55:
	v_and_b32_e32 v134, 0xffff, v142
	v_or_b32_e32 v139, 0x10000, v142
	s_delay_alu instid0(VALU_DEP_2) | instskip(NEXT) | instid1(VALU_DEP_2)
	v_cmp_eq_u32_e32 vcc_lo, 0, v134
	v_cndmask_b32_e32 v134, v139, v142, vcc_lo
; %bb.56:
	s_or_b32 exec_lo, exec_lo, s4
	v_and_b32_e32 v139, 0x7f800000, v141
	s_delay_alu instid0(VALU_DEP_1) | instskip(SKIP_1) | instid1(SALU_CYCLE_1)
	v_cmp_ne_u32_e32 vcc_lo, 0x7f800000, v139
                                        ; implicit-def: $vgpr139
	s_and_saveexec_b32 s4, vcc_lo
	s_xor_b32 s4, exec_lo, s4
; %bb.57:
	v_bfe_u32 v139, v141, 16, 1
	s_delay_alu instid0(VALU_DEP_1)
	v_add3_u32 v139, v141, v139, 0x7fff
                                        ; implicit-def: $vgpr141
; %bb.58:
	s_and_not1_saveexec_b32 s4, s4
; %bb.59:
	v_and_b32_e32 v139, 0xffff, v141
	v_or_b32_e32 v142, 0x10000, v141
	s_delay_alu instid0(VALU_DEP_2) | instskip(NEXT) | instid1(VALU_DEP_2)
	v_cmp_eq_u32_e32 vcc_lo, 0, v139
	v_cndmask_b32_e32 v139, v142, v141, vcc_lo
; %bb.60:
	s_or_b32 exec_lo, exec_lo, s4
	v_and_b32_e32 v141, 0x7f800000, v135
	s_delay_alu instid0(VALU_DEP_1) | instskip(SKIP_1) | instid1(SALU_CYCLE_1)
	v_cmp_ne_u32_e32 vcc_lo, 0x7f800000, v141
                                        ; implicit-def: $vgpr141
	s_and_saveexec_b32 s4, vcc_lo
	s_xor_b32 s4, exec_lo, s4
; %bb.61:
	v_bfe_u32 v141, v135, 16, 1
	s_delay_alu instid0(VALU_DEP_1)
	v_add3_u32 v141, v135, v141, 0x7fff
                                        ; implicit-def: $vgpr135
; %bb.62:
	s_and_not1_saveexec_b32 s4, s4
; %bb.63:
	v_and_b32_e32 v141, 0xffff, v135
	v_or_b32_e32 v142, 0x10000, v135
	s_delay_alu instid0(VALU_DEP_2) | instskip(NEXT) | instid1(VALU_DEP_2)
	v_cmp_eq_u32_e32 vcc_lo, 0, v141
	v_cndmask_b32_e32 v141, v142, v135, vcc_lo
; %bb.64:
	s_or_b32 exec_lo, exec_lo, s4
	v_and_b32_e32 v135, 0x7f800000, v136
	s_delay_alu instid0(VALU_DEP_1) | instskip(SKIP_1) | instid1(SALU_CYCLE_1)
	v_cmp_ne_u32_e32 vcc_lo, 0x7f800000, v135
                                        ; implicit-def: $vgpr135
	s_and_saveexec_b32 s4, vcc_lo
	s_xor_b32 s4, exec_lo, s4
; %bb.65:
	v_bfe_u32 v135, v136, 16, 1
	s_delay_alu instid0(VALU_DEP_1)
	v_add3_u32 v135, v136, v135, 0x7fff
                                        ; implicit-def: $vgpr136
; %bb.66:
	s_and_not1_saveexec_b32 s4, s4
; %bb.67:
	v_and_b32_e32 v135, 0xffff, v136
	v_or_b32_e32 v142, 0x10000, v136
	s_delay_alu instid0(VALU_DEP_2) | instskip(NEXT) | instid1(VALU_DEP_2)
	v_cmp_eq_u32_e32 vcc_lo, 0, v135
	v_cndmask_b32_e32 v135, v142, v136, vcc_lo
; %bb.68:
	s_or_b32 exec_lo, exec_lo, s4
	v_and_b32_e32 v136, 0x7f800000, v137
	s_delay_alu instid0(VALU_DEP_1) | instskip(SKIP_1) | instid1(SALU_CYCLE_1)
	v_cmp_ne_u32_e32 vcc_lo, 0x7f800000, v136
                                        ; implicit-def: $vgpr136
	s_and_saveexec_b32 s4, vcc_lo
	s_xor_b32 s4, exec_lo, s4
; %bb.69:
	v_bfe_u32 v136, v137, 16, 1
	s_delay_alu instid0(VALU_DEP_1)
	v_add3_u32 v136, v137, v136, 0x7fff
                                        ; implicit-def: $vgpr137
; %bb.70:
	s_and_not1_saveexec_b32 s4, s4
; %bb.71:
	v_and_b32_e32 v136, 0xffff, v137
	v_or_b32_e32 v142, 0x10000, v137
	s_delay_alu instid0(VALU_DEP_2) | instskip(NEXT) | instid1(VALU_DEP_2)
	v_cmp_eq_u32_e32 vcc_lo, 0, v136
	v_cndmask_b32_e32 v136, v142, v137, vcc_lo
; %bb.72:
	s_or_b32 exec_lo, exec_lo, s4
	v_and_b32_e32 v137, 0x7f800000, v138
	s_delay_alu instid0(VALU_DEP_1) | instskip(SKIP_1) | instid1(SALU_CYCLE_1)
	v_cmp_ne_u32_e32 vcc_lo, 0x7f800000, v137
                                        ; implicit-def: $vgpr137
	s_and_saveexec_b32 s4, vcc_lo
	s_xor_b32 s4, exec_lo, s4
; %bb.73:
	v_bfe_u32 v137, v138, 16, 1
	s_delay_alu instid0(VALU_DEP_1)
	v_add3_u32 v137, v138, v137, 0x7fff
                                        ; implicit-def: $vgpr138
; %bb.74:
	s_and_not1_saveexec_b32 s4, s4
; %bb.75:
	v_and_b32_e32 v137, 0xffff, v138
	v_or_b32_e32 v142, 0x10000, v138
	s_delay_alu instid0(VALU_DEP_2) | instskip(NEXT) | instid1(VALU_DEP_2)
	v_cmp_eq_u32_e32 vcc_lo, 0, v137
	v_cndmask_b32_e32 v137, v142, v138, vcc_lo
; %bb.76:
	s_or_b32 exec_lo, exec_lo, s4
	s_delay_alu instid0(VALU_DEP_1)
	v_perm_b32 v136, v137, v136, 0x7060302
	v_perm_b32 v135, v135, v141, 0x7060302
	v_perm_b32 v134, v139, v134, 0x7060302
	v_perm_b32 v133, v133, v132, 0x7060302
	v_lshl_or_b32 v141, v149, 11, v140
	ds_store_b128 v131, v[133:136] offset:1024
	s_waitcnt lgkmcnt(0)
	s_barrier
	buffer_gl0_inv
	ds_load_b128 v[132:135], v141
	ds_load_b128 v[149:152], v141 offset:16
	s_waitcnt lgkmcnt(1)
	v_lshrrev_b32_e32 v136, 16, v132
	s_waitcnt lgkmcnt(0)
	v_lshrrev_b32_e32 v164, 16, v151
	v_lshlrev_b32_e32 v138, 2, v146
	v_lshrrev_b32_e32 v143, 16, v149
	v_lshrrev_b32_e32 v162, 16, v150
	;; [unrolled: 1-line block ×4, first 2 shown]
	v_or_b32_e32 v139, 1, v138
	v_lshrrev_b32_e32 v165, 16, v152
	v_lshrrev_b32_e32 v163, 16, v135
	s_delay_alu instid0(VALU_DEP_3)
	v_cmp_eq_u32_e64 s8, 1, v139
	v_cmp_eq_u32_e64 s7, 2, v139
	;; [unrolled: 1-line block ×4, first 2 shown]
	v_cmp_eq_u32_e32 vcc_lo, 5, v139
	v_cndmask_b32_e64 v155, v149, v143, s8
	v_cndmask_b32_e64 v154, v132, v136, s8
	v_cmp_eq_u32_e64 s5, 6, v139
	v_cmp_eq_u32_e64 s20, 7, v139
	s_delay_alu instid0(VALU_DEP_4) | instskip(NEXT) | instid1(VALU_DEP_4)
	v_cndmask_b32_e64 v155, v155, v150, s7
	v_cndmask_b32_e64 v154, v154, v133, s7
	s_delay_alu instid0(VALU_DEP_2) | instskip(NEXT) | instid1(VALU_DEP_2)
	v_cndmask_b32_e64 v155, v155, v162, s6
	v_cndmask_b32_e64 v154, v154, v144, s6
	s_delay_alu instid0(VALU_DEP_2) | instskip(NEXT) | instid1(VALU_DEP_2)
	v_cndmask_b32_e64 v155, v155, v151, s4
	v_cndmask_b32_e64 v154, v154, v134, s4
	s_delay_alu instid0(VALU_DEP_2)
	v_cndmask_b32_e32 v157, v155, v164, vcc_lo
	v_cmp_eq_u32_e64 s13, 1, v138
	v_cmp_eq_u32_e64 s12, 2, v138
	;; [unrolled: 1-line block ×3, first 2 shown]
	v_or_b32_e32 v137, 2, v138
	v_cmp_eq_u32_e64 s18, 4, v138
	v_cndmask_b32_e64 v153, v149, v143, s13
	v_cndmask_b32_e64 v142, v132, v136, s13
	v_cmp_eq_u32_e64 s15, 5, v138
	v_cmp_eq_u32_e64 s9, 1, v137
	;; [unrolled: 1-line block ×3, first 2 shown]
	v_cndmask_b32_e64 v153, v153, v150, s12
	v_cndmask_b32_e64 v142, v142, v133, s12
	v_cmp_eq_u32_e64 s11, 2, v137
	v_cndmask_b32_e64 v156, v132, v136, s9
	v_cndmask_b32_e32 v154, v154, v161, vcc_lo
	v_cndmask_b32_e64 v153, v153, v162, s17
	v_cndmask_b32_e64 v142, v142, v144, s17
	v_cmp_eq_u32_e64 s10, 7, v138
	v_cndmask_b32_e64 v156, v156, v133, s11
	v_cmp_eq_u32_e64 s19, 3, v137
	v_cndmask_b32_e64 v153, v153, v151, s18
	v_cndmask_b32_e64 v142, v142, v134, s18
	v_cndmask_b32_e64 v154, v154, v135, s5
	v_cmp_eq_u32_e64 s21, 4, v137
	v_cndmask_b32_e64 v156, v156, v144, s19
	v_cndmask_b32_e64 v153, v153, v164, s15
	v_cndmask_b32_e64 v142, v142, v161, s15
	v_cndmask_b32_e64 v168, v154, v163, s20
	v_cmp_eq_u32_e64 s23, 5, v137
	v_cndmask_b32_e64 v159, v156, v134, s21
	v_cndmask_b32_e64 v153, v153, v152, s16
	;; [unrolled: 1-line block ×3, first 2 shown]
	v_cmp_eq_u32_e64 s26, 6, v137
	v_cmp_eq_u32_e64 s28, 7, v137
	v_cndmask_b32_e64 v169, v159, v161, s23
	v_cndmask_b32_e64 v167, v153, v165, s10
	v_cndmask_b32_e64 v153, v149, v143, s9
	v_cndmask_b32_e64 v166, v142, v163, s10
	v_or_b32_e32 v142, 3, v138
	s_delay_alu instid0(VALU_DEP_3)
	v_cndmask_b32_e64 v158, v153, v150, s11
	ds_load_b128 v[153:156], v141 offset:1024
	v_cmp_eq_u32_e64 s22, 1, v142
	v_cmp_eq_u32_e64 s24, 2, v142
	;; [unrolled: 1-line block ×3, first 2 shown]
	v_cndmask_b32_e64 v158, v158, v162, s19
	v_cmp_eq_u32_e64 s27, 4, v142
	v_cndmask_b32_e64 v132, v132, v136, s22
	v_cndmask_b32_e64 v136, v157, v152, s5
	;; [unrolled: 1-line block ×4, first 2 shown]
	ds_load_b128 v[157:160], v141 offset:1040
	v_cndmask_b32_e64 v132, v132, v133, s24
	v_cmp_eq_u32_e64 s29, 5, v142
	v_cndmask_b32_e64 v143, v143, v150, s24
	v_cmp_eq_u32_e64 s30, 6, v142
	v_cndmask_b32_e64 v133, v170, v164, s23
	v_cndmask_b32_e64 v132, v132, v144, s25
	;; [unrolled: 1-line block ×5, first 2 shown]
	s_waitcnt lgkmcnt(1)
	v_lshrrev_b32_e32 v149, 16, v153
	v_cndmask_b32_e64 v132, v132, v134, s27
	v_cndmask_b32_e64 v133, v133, v152, s26
	;; [unrolled: 1-line block ×3, first 2 shown]
	v_lshrrev_b32_e32 v151, 16, v154
	v_cndmask_b32_e64 v143, v153, v149, s13
	v_cndmask_b32_e64 v132, v132, v161, s29
	;; [unrolled: 1-line block ×5, first 2 shown]
	s_waitcnt lgkmcnt(0)
	v_lshrrev_b32_e32 v150, 16, v157
	v_cndmask_b32_e64 v143, v143, v154, s12
	v_cndmask_b32_e64 v132, v132, v135, s30
	;; [unrolled: 1-line block ×3, first 2 shown]
	v_lshrrev_b32_e32 v164, 16, v159
	v_cndmask_b32_e64 v162, v157, v150, s13
	v_cndmask_b32_e64 v135, v143, v151, s17
	;; [unrolled: 1-line block ×3, first 2 shown]
	v_lshrrev_b32_e32 v161, 16, v158
	v_cndmask_b32_e64 v133, v133, v165, s28
	v_cndmask_b32_e64 v152, v162, v158, s12
	v_cmp_eq_u32_e64 s12, 7, v142
	v_cndmask_b32_e64 v143, v143, v151, s6
	v_cndmask_b32_e64 v135, v135, v155, s18
	v_lshrrev_b32_e32 v162, 16, v155
	v_cndmask_b32_e64 v152, v152, v161, s17
	v_cndmask_b32_e64 v132, v132, v163, s12
	;; [unrolled: 1-line block ×6, first 2 shown]
	s_delay_alu instid0(VALU_DEP_4) | instskip(NEXT) | instid1(VALU_DEP_4)
	v_perm_b32 v135, v134, v132, 0x5040100
	v_cndmask_b32_e32 v132, v143, v162, vcc_lo
	s_delay_alu instid0(VALU_DEP_4)
	v_cndmask_b32_e64 v143, v163, v156, s16
	v_lshrrev_b32_e32 v163, 16, v156
	v_cndmask_b32_e64 v152, v152, v164, s15
	v_perm_b32 v134, v133, v144, 0x5040100
	v_cndmask_b32_e64 v132, v132, v156, s5
	v_perm_b32 v133, v136, v168, 0x5040100
	v_cndmask_b32_e64 v136, v143, v163, s10
	v_cndmask_b32_e64 v143, v152, v160, s16
	;; [unrolled: 1-line block ×13, first 2 shown]
	v_lshrrev_b32_e32 v144, 16, v160
	v_cndmask_b32_e64 v132, v132, v151, s19
	v_cndmask_b32_e64 v149, v149, v151, s25
	;; [unrolled: 1-line block ×14, first 2 shown]
	v_cndmask_b32_e32 v150, v150, v164, vcc_lo
	v_cndmask_b32_e64 v132, v132, v156, s26
	v_cndmask_b32_e64 v149, v149, v156, s30
	;; [unrolled: 1-line block ×11, first 2 shown]
	v_perm_b32 v132, v167, v166, 0x5040100
	v_perm_b32 v152, v151, v149, 0x5040100
	v_perm_b32 v151, v154, v153, 0x5040100
	v_perm_b32 v150, v150, v165, 0x5040100
	v_perm_b32 v149, v143, v136, 0x5040100
	s_mul_i32 s9, s37, 7
	s_mov_b32 s4, exec_lo
	ds_store_b128 v131, v[132:135]
	ds_store_b128 v131, v[149:152] offset:1024
	v_cmpx_gt_u32_e32 7, v0
	s_cbranch_execz .LBB392_78
; %bb.77:
	s_mul_i32 s5, s9, s34
	s_load_b128 s[16:19], s[0:1], 0x58
	v_add3_u32 v133, s5, s31, v148
	s_delay_alu instid0(VALU_DEP_1) | instskip(NEXT) | instid1(VALU_DEP_1)
	v_mad_u64_u32 v[131:132], null, v133, s36, s[14:15]
	v_ashrrev_i32_e32 v132, 31, v131
	s_delay_alu instid0(VALU_DEP_1) | instskip(SKIP_1) | instid1(VALU_DEP_1)
	v_lshlrev_b64 v[131:132], 2, v[131:132]
	s_waitcnt lgkmcnt(0)
	v_add_co_u32 v133, vcc_lo, s18, v131
	s_delay_alu instid0(VALU_DEP_2)
	v_add_co_ci_u32_e32 v134, vcc_lo, s19, v132, vcc_lo
	v_add_co_u32 v131, vcc_lo, s16, v131
	v_add_co_ci_u32_e32 v132, vcc_lo, s17, v132, vcc_lo
	global_store_b32 v[133:134], v129, off
	global_store_b32 v[131:132], v130, off
.LBB392_78:
	s_or_b32 exec_lo, exec_lo, s4
	s_waitcnt lgkmcnt(0)
	s_waitcnt_vscnt null, 0x0
	s_barrier
	buffer_gl0_inv
	ds_load_b128 v[148:151], v140
	ds_load_b128 v[152:155], v140 offset:16
	ds_load_b128 v[160:163], v140 offset:1040
	;; [unrolled: 1-line block ×3, first 2 shown]
	v_mov_b32_e32 v129, 0
	ds_load_b128 v[168:171], v140 offset:2064
	ds_load_b128 v[164:167], v140 offset:2048
	;; [unrolled: 1-line block ×6, first 2 shown]
	v_mov_b32_e32 v130, v129
	v_mov_b32_e32 v131, v129
	;; [unrolled: 1-line block ×7, first 2 shown]
	s_waitcnt lgkmcnt(8)
	s_delay_alu instid0(VALU_DEP_1)
	v_wmma_f32_16x16x16_bf16 v[129:136], v[121:128], v[148:155], v[129:136]
	ds_load_b128 v[125:128], v140 offset:5136
	ds_load_b128 v[121:124], v140 offset:5120
	s_waitcnt lgkmcnt(8)
	v_wmma_f32_16x16x16_bf16 v[129:136], v[113:120], v[156:163], v[129:136]
	ds_load_b128 v[117:120], v140 offset:6160
	ds_load_b128 v[113:116], v140 offset:6144
	s_waitcnt lgkmcnt(8)
	;; [unrolled: 4-line block ×8, first 2 shown]
	v_wmma_f32_16x16x16_bf16 v[129:136], v[65:72], v[97:104], v[129:136]
	s_waitcnt lgkmcnt(6)
	s_delay_alu instid0(VALU_DEP_1)
	v_wmma_f32_16x16x16_bf16 v[129:136], v[49:56], v[89:96], v[129:136]
	ds_load_b128 v[53:56], v140 offset:13328
	ds_load_b128 v[49:52], v140 offset:13312
	s_waitcnt lgkmcnt(6)
	v_wmma_f32_16x16x16_bf16 v[129:136], v[41:48], v[81:88], v[129:136]
	ds_load_b128 v[45:48], v140 offset:14352
	ds_load_b128 v[41:44], v140 offset:14336
	s_waitcnt lgkmcnt(6)
	;; [unrolled: 4-line block ×3, first 2 shown]
	v_wmma_f32_16x16x16_bf16 v[129:136], v[1:8], v[57:64], v[129:136]
	s_waitcnt lgkmcnt(4)
	s_delay_alu instid0(VALU_DEP_1) | instskip(SKIP_1) | instid1(VALU_DEP_1)
	v_wmma_f32_16x16x16_bf16 v[129:136], v[25:32], v[49:56], v[129:136]
	s_waitcnt lgkmcnt(2)
	v_wmma_f32_16x16x16_bf16 v[129:136], v[33:40], v[41:48], v[129:136]
	s_waitcnt lgkmcnt(0)
	s_delay_alu instid0(VALU_DEP_1) | instskip(NEXT) | instid1(VALU_DEP_1)
	v_wmma_f32_16x16x16_bf16 v[129:136], v[9:16], v[17:24], v[129:136]
	v_and_b32_e32 v1, 0x7f800000, v129
	s_delay_alu instid0(VALU_DEP_1) | instskip(SKIP_1) | instid1(SALU_CYCLE_1)
	v_cmp_ne_u32_e32 vcc_lo, 0x7f800000, v1
                                        ; implicit-def: $vgpr1
	s_and_saveexec_b32 s4, vcc_lo
	s_xor_b32 s4, exec_lo, s4
; %bb.79:
	v_bfe_u32 v1, v129, 16, 1
	s_delay_alu instid0(VALU_DEP_1)
	v_add3_u32 v1, v129, v1, 0x7fff
; %bb.80:
	s_and_not1_saveexec_b32 s4, s4
; %bb.81:
	v_and_b32_e32 v1, 0xffff, v129
	v_or_b32_e32 v2, 0x10000, v129
	s_delay_alu instid0(VALU_DEP_2) | instskip(NEXT) | instid1(VALU_DEP_2)
	v_cmp_eq_u32_e32 vcc_lo, 0, v1
	v_cndmask_b32_e32 v1, v2, v129, vcc_lo
; %bb.82:
	s_or_b32 exec_lo, exec_lo, s4
	v_and_b32_e32 v2, 0x7f800000, v130
	s_delay_alu instid0(VALU_DEP_1) | instskip(SKIP_1) | instid1(SALU_CYCLE_1)
	v_cmp_ne_u32_e32 vcc_lo, 0x7f800000, v2
                                        ; implicit-def: $vgpr2
	s_and_saveexec_b32 s4, vcc_lo
	s_xor_b32 s4, exec_lo, s4
; %bb.83:
	v_bfe_u32 v2, v130, 16, 1
	s_delay_alu instid0(VALU_DEP_1)
	v_add3_u32 v2, v130, v2, 0x7fff
; %bb.84:
	s_and_not1_saveexec_b32 s4, s4
; %bb.85:
	v_and_b32_e32 v2, 0xffff, v130
	v_or_b32_e32 v3, 0x10000, v130
	s_delay_alu instid0(VALU_DEP_2) | instskip(NEXT) | instid1(VALU_DEP_2)
	v_cmp_eq_u32_e32 vcc_lo, 0, v2
	v_cndmask_b32_e32 v2, v3, v130, vcc_lo
; %bb.86:
	s_or_b32 exec_lo, exec_lo, s4
	v_and_b32_e32 v3, 0x7f800000, v131
	s_delay_alu instid0(VALU_DEP_1) | instskip(SKIP_1) | instid1(SALU_CYCLE_1)
	v_cmp_ne_u32_e32 vcc_lo, 0x7f800000, v3
                                        ; implicit-def: $vgpr3
	s_and_saveexec_b32 s4, vcc_lo
	s_xor_b32 s4, exec_lo, s4
; %bb.87:
	v_bfe_u32 v3, v131, 16, 1
	s_delay_alu instid0(VALU_DEP_1)
	v_add3_u32 v3, v131, v3, 0x7fff
; %bb.88:
	s_and_not1_saveexec_b32 s4, s4
; %bb.89:
	v_and_b32_e32 v3, 0xffff, v131
	v_or_b32_e32 v4, 0x10000, v131
	s_delay_alu instid0(VALU_DEP_2) | instskip(NEXT) | instid1(VALU_DEP_2)
	v_cmp_eq_u32_e32 vcc_lo, 0, v3
	v_cndmask_b32_e32 v3, v4, v131, vcc_lo
; %bb.90:
	s_or_b32 exec_lo, exec_lo, s4
	v_and_b32_e32 v4, 0x7f800000, v132
	s_delay_alu instid0(VALU_DEP_1) | instskip(SKIP_1) | instid1(SALU_CYCLE_1)
	v_cmp_ne_u32_e32 vcc_lo, 0x7f800000, v4
                                        ; implicit-def: $vgpr4
	s_and_saveexec_b32 s4, vcc_lo
	s_xor_b32 s4, exec_lo, s4
; %bb.91:
	v_bfe_u32 v4, v132, 16, 1
	s_delay_alu instid0(VALU_DEP_1)
	v_add3_u32 v4, v132, v4, 0x7fff
; %bb.92:
	s_and_not1_saveexec_b32 s4, s4
; %bb.93:
	v_and_b32_e32 v4, 0xffff, v132
	v_or_b32_e32 v5, 0x10000, v132
	s_delay_alu instid0(VALU_DEP_2) | instskip(NEXT) | instid1(VALU_DEP_2)
	v_cmp_eq_u32_e32 vcc_lo, 0, v4
	v_cndmask_b32_e32 v4, v5, v132, vcc_lo
; %bb.94:
	s_or_b32 exec_lo, exec_lo, s4
	v_and_b32_e32 v5, 0x7f800000, v133
	s_delay_alu instid0(VALU_DEP_1) | instskip(SKIP_1) | instid1(SALU_CYCLE_1)
	v_cmp_ne_u32_e32 vcc_lo, 0x7f800000, v5
                                        ; implicit-def: $vgpr5
	s_and_saveexec_b32 s4, vcc_lo
	s_xor_b32 s4, exec_lo, s4
; %bb.95:
	v_bfe_u32 v5, v133, 16, 1
	s_delay_alu instid0(VALU_DEP_1)
	v_add3_u32 v5, v133, v5, 0x7fff
; %bb.96:
	s_and_not1_saveexec_b32 s4, s4
; %bb.97:
	v_and_b32_e32 v5, 0xffff, v133
	v_or_b32_e32 v6, 0x10000, v133
	s_delay_alu instid0(VALU_DEP_2) | instskip(NEXT) | instid1(VALU_DEP_2)
	v_cmp_eq_u32_e32 vcc_lo, 0, v5
	v_cndmask_b32_e32 v5, v6, v133, vcc_lo
; %bb.98:
	s_or_b32 exec_lo, exec_lo, s4
	v_and_b32_e32 v6, 0x7f800000, v134
	s_delay_alu instid0(VALU_DEP_1) | instskip(SKIP_1) | instid1(SALU_CYCLE_1)
	v_cmp_ne_u32_e32 vcc_lo, 0x7f800000, v6
                                        ; implicit-def: $vgpr6
	s_and_saveexec_b32 s4, vcc_lo
	s_xor_b32 s4, exec_lo, s4
; %bb.99:
	v_bfe_u32 v6, v134, 16, 1
	s_delay_alu instid0(VALU_DEP_1)
	v_add3_u32 v6, v134, v6, 0x7fff
; %bb.100:
	s_and_not1_saveexec_b32 s4, s4
; %bb.101:
	v_and_b32_e32 v6, 0xffff, v134
	v_or_b32_e32 v7, 0x10000, v134
	s_delay_alu instid0(VALU_DEP_2) | instskip(NEXT) | instid1(VALU_DEP_2)
	v_cmp_eq_u32_e32 vcc_lo, 0, v6
	v_cndmask_b32_e32 v6, v7, v134, vcc_lo
; %bb.102:
	s_or_b32 exec_lo, exec_lo, s4
	v_and_b32_e32 v7, 0x7f800000, v135
	s_delay_alu instid0(VALU_DEP_1) | instskip(SKIP_1) | instid1(SALU_CYCLE_1)
	v_cmp_ne_u32_e32 vcc_lo, 0x7f800000, v7
                                        ; implicit-def: $vgpr7
	s_and_saveexec_b32 s4, vcc_lo
	s_xor_b32 s4, exec_lo, s4
; %bb.103:
	v_bfe_u32 v7, v135, 16, 1
	s_delay_alu instid0(VALU_DEP_1)
	v_add3_u32 v7, v135, v7, 0x7fff
; %bb.104:
	s_and_not1_saveexec_b32 s4, s4
; %bb.105:
	v_and_b32_e32 v7, 0xffff, v135
	v_or_b32_e32 v8, 0x10000, v135
	s_delay_alu instid0(VALU_DEP_2) | instskip(NEXT) | instid1(VALU_DEP_2)
	v_cmp_eq_u32_e32 vcc_lo, 0, v7
	v_cndmask_b32_e32 v7, v8, v135, vcc_lo
; %bb.106:
	s_or_b32 exec_lo, exec_lo, s4
	v_and_b32_e32 v8, 0x7f800000, v136
	s_delay_alu instid0(VALU_DEP_1) | instskip(SKIP_1) | instid1(SALU_CYCLE_1)
	v_cmp_ne_u32_e32 vcc_lo, 0x7f800000, v8
                                        ; implicit-def: $vgpr8
	s_and_saveexec_b32 s4, vcc_lo
	s_xor_b32 s4, exec_lo, s4
; %bb.107:
	v_bfe_u32 v8, v136, 16, 1
	s_delay_alu instid0(VALU_DEP_1)
	v_add3_u32 v8, v136, v8, 0x7fff
                                        ; implicit-def: $vgpr129_vgpr130_vgpr131_vgpr132_vgpr133_vgpr134_vgpr135_vgpr136
; %bb.108:
	s_and_not1_saveexec_b32 s4, s4
; %bb.109:
	v_and_b32_e32 v8, 0xffff, v136
	v_or_b32_e32 v9, 0x10000, v136
	s_delay_alu instid0(VALU_DEP_2) | instskip(NEXT) | instid1(VALU_DEP_2)
	v_cmp_eq_u32_e32 vcc_lo, 0, v8
	v_cndmask_b32_e32 v8, v9, v136, vcc_lo
; %bb.110:
	s_or_b32 exec_lo, exec_lo, s4
	s_delay_alu instid0(VALU_DEP_1)
	v_perm_b32 v7, v8, v7, 0x7060302
	v_perm_b32 v6, v6, v5, 0x7060302
	;; [unrolled: 1-line block ×4, first 2 shown]
	v_lshl_or_b32 v9, v146, 4, v141
	s_barrier
	buffer_gl0_inv
	v_cmp_eq_u32_e32 vcc_lo, 1, v138
	ds_store_b128 v9, v[4:7]
	s_waitcnt lgkmcnt(0)
	s_barrier
	buffer_gl0_inv
	ds_load_b128 v[1:4], v141
	ds_load_b128 v[5:8], v141 offset:16
	v_cmp_eq_u32_e64 s5, 2, v138
	v_cmp_eq_u32_e64 s4, 1, v139
	;; [unrolled: 1-line block ×5, first 2 shown]
	s_waitcnt lgkmcnt(1)
	v_lshrrev_b32_e32 v10, 16, v1
	s_waitcnt lgkmcnt(0)
	v_lshrrev_b32_e32 v14, 16, v5
	v_lshrrev_b32_e32 v15, 16, v6
	;; [unrolled: 1-line block ×4, first 2 shown]
	v_cndmask_b32_e64 v20, v1, v10, s4
	v_cndmask_b32_e32 v19, v5, v14, vcc_lo
	v_cndmask_b32_e64 v21, v5, v14, s4
	v_lshrrev_b32_e32 v16, 16, v7
	v_cmp_eq_u32_e64 s4, 1, v137
	v_lshrrev_b32_e32 v13, 16, v4
	v_cndmask_b32_e64 v19, v19, v6, s5
	v_lshrrev_b32_e32 v17, 16, v8
	s_delay_alu instid0(VALU_DEP_4) | instskip(SKIP_1) | instid1(VALU_DEP_4)
	v_cndmask_b32_e64 v22, v1, v10, s4
	v_cndmask_b32_e64 v23, v5, v14, s4
	;; [unrolled: 1-line block ×3, first 2 shown]
	v_cndmask_b32_e32 v18, v1, v10, vcc_lo
	v_cmp_eq_u32_e32 vcc_lo, 2, v139
	v_cmp_eq_u32_e64 s4, 2, v142
	v_cndmask_b32_e64 v22, v22, v2, s8
	v_cndmask_b32_e32 v20, v20, v2, vcc_lo
	v_cndmask_b32_e32 v21, v21, v6, vcc_lo
	v_cmp_eq_u32_e32 vcc_lo, 4, v138
	v_cndmask_b32_e32 v19, v19, v7, vcc_lo
	v_cndmask_b32_e64 v18, v18, v2, s5
	v_cmp_eq_u32_e64 s5, 3, v139
	s_delay_alu instid0(VALU_DEP_2) | instskip(NEXT) | instid1(VALU_DEP_2)
	v_cndmask_b32_e64 v18, v18, v11, s6
	v_cndmask_b32_e64 v21, v21, v15, s5
	v_cmp_eq_u32_e64 s6, 5, v138
	s_delay_alu instid0(VALU_DEP_3) | instskip(SKIP_1) | instid1(VALU_DEP_3)
	v_cndmask_b32_e32 v18, v18, v3, vcc_lo
	v_cmp_eq_u32_e32 vcc_lo, 4, v139
	v_cndmask_b32_e64 v19, v19, v16, s6
	s_delay_alu instid0(VALU_DEP_3) | instskip(SKIP_4) | instid1(VALU_DEP_3)
	v_cndmask_b32_e64 v18, v18, v12, s6
	v_cndmask_b32_e32 v21, v21, v7, vcc_lo
	v_cndmask_b32_e64 v20, v20, v11, s5
	v_cmp_eq_u32_e64 s5, 5, v139
	v_cmp_eq_u32_e64 s6, 6, v138
	v_cndmask_b32_e32 v20, v20, v3, vcc_lo
	s_delay_alu instid0(VALU_DEP_3) | instskip(SKIP_1) | instid1(VALU_DEP_4)
	v_cndmask_b32_e64 v21, v21, v16, s5
	v_cmp_eq_u32_e32 vcc_lo, 6, v139
	v_cndmask_b32_e64 v18, v18, v4, s6
	v_cndmask_b32_e64 v19, v19, v8, s6
	;; [unrolled: 1-line block ×3, first 2 shown]
	v_cmp_eq_u32_e64 s5, 1, v142
	v_cmp_eq_u32_e64 s6, 7, v138
	s_delay_alu instid0(VALU_DEP_3) | instskip(NEXT) | instid1(VALU_DEP_3)
	v_cndmask_b32_e32 v20, v20, v4, vcc_lo
	v_cndmask_b32_e64 v1, v1, v10, s5
	v_cndmask_b32_e64 v5, v5, v14, s5
	v_cmp_eq_u32_e64 s5, 3, v137
	v_cndmask_b32_e64 v14, v23, v6, s8
	v_cmp_eq_u32_e64 s8, 3, v142
	v_cndmask_b32_e64 v1, v1, v2, s4
	v_cndmask_b32_e64 v2, v5, v6, s4
	;; [unrolled: 1-line block ×3, first 2 shown]
	v_cmp_eq_u32_e64 s4, 4, v137
	v_cndmask_b32_e64 v6, v14, v15, s5
	v_cndmask_b32_e64 v1, v1, v11, s8
	v_cmp_eq_u32_e64 s5, 4, v142
	v_cndmask_b32_e64 v2, v2, v15, s8
	v_cndmask_b32_e64 v5, v10, v3, s4
	;; [unrolled: 3-line block ×3, first 2 shown]
	v_cndmask_b32_e64 v2, v2, v7, s5
	v_cmp_eq_u32_e64 s4, 5, v142
	v_cndmask_b32_e64 v5, v5, v12, s8
	v_cmp_eq_u32_e64 s5, 6, v137
	;; [unrolled: 2-line block ×3, first 2 shown]
	v_cndmask_b32_e64 v1, v1, v12, s4
	v_cndmask_b32_e64 v2, v2, v16, s4
	;; [unrolled: 1-line block ×4, first 2 shown]
	v_cmp_eq_u32_e64 s4, 7, v142
	v_cndmask_b32_e64 v1, v1, v4, s8
	v_cndmask_b32_e64 v2, v2, v8, s8
	v_cmp_eq_u32_e64 s5, 7, v137
	v_cndmask_b32_e32 v4, v21, v8, vcc_lo
	v_cndmask_b32_e64 v18, v18, v13, s6
	v_cndmask_b32_e64 v20, v20, v13, s7
	;; [unrolled: 1-line block ×8, first 2 shown]
	v_cmp_gt_u32_e32 vcc_lo, 32, v0
	v_perm_b32 v4, v2, v1, 0x5040100
	v_perm_b32 v3, v3, v5, 0x5040100
	;; [unrolled: 1-line block ×4, first 2 shown]
	s_and_b32 s2, vcc_lo, s2
	ds_store_b128 v9, v[1:4]
	s_waitcnt lgkmcnt(0)
	s_barrier
	buffer_gl0_inv
	s_and_saveexec_b32 s4, s2
	s_cbranch_execz .LBB392_2
; %bb.111:
	s_load_b64 s[4:5], s[0:1], 0x68
	v_lshlrev_b32_e32 v0, 10, v0
	v_add_nc_u32_e32 v2, s31, v146
	v_lshlrev_b32_e32 v3, 4, v147
	s_lshl_b32 s0, s36, 6
	s_delay_alu instid0(SALU_CYCLE_1) | instskip(NEXT) | instid1(VALU_DEP_2)
	s_mul_i32 s1, s0, s34
	v_mul_lo_u32 v1, v2, s0
	s_delay_alu instid0(VALU_DEP_2)
	v_and_or_b32 v0, 0x3800, v0, v3
	v_add_nc_u32_e32 v3, 2, v2
	s_mul_i32 s6, s1, s9
	v_add_nc_u32_e32 v4, 4, v2
	s_ashr_i32 s7, s6, 31
	v_lshl_or_b32 v11, v146, 6, v0
	s_lshl_b64 s[6:7], s[6:7], 1
	v_mul_lo_u32 v15, v3, s0
	v_mul_lo_u32 v17, v4, s0
	v_ashrrev_i32_e32 v2, 31, v1
	ds_load_b128 v[3:6], v11
	ds_load_b128 v[7:10], v11 offset:128
	ds_load_b128 v[11:14], v11 offset:256
	s_waitcnt lgkmcnt(0)
	s_add_u32 s1, s4, s6
	s_addc_u32 s2, s5, s7
	s_lshl_b32 s4, s14, 6
	v_ashrrev_i32_e32 v16, 31, v15
	s_ashr_i32 s5, s4, 31
	v_lshlrev_b64 v[19:20], 1, v[1:2]
	s_lshl_b64 s[4:5], s[4:5], 1
	v_ashrrev_i32_e32 v18, 31, v17
	s_add_u32 s1, s1, s4
	s_addc_u32 s2, s2, s5
	v_add_co_u32 v1, s1, s1, v145
	s_delay_alu instid0(VALU_DEP_1) | instskip(SKIP_1) | instid1(VALU_DEP_3)
	v_add_co_ci_u32_e64 v2, null, s2, 0, s1
	v_lshlrev_b64 v[15:16], 1, v[15:16]
	v_add_co_u32 v19, vcc_lo, v1, v19
	v_lshlrev_b64 v[17:18], 1, v[17:18]
	s_delay_alu instid0(VALU_DEP_4) | instskip(NEXT) | instid1(VALU_DEP_4)
	v_add_co_ci_u32_e32 v20, vcc_lo, v2, v20, vcc_lo
	v_add_co_u32 v15, vcc_lo, v1, v15
	v_add_co_ci_u32_e32 v16, vcc_lo, v2, v16, vcc_lo
	s_delay_alu instid0(VALU_DEP_4)
	v_add_co_u32 v17, vcc_lo, v1, v17
	v_add_co_ci_u32_e32 v18, vcc_lo, v2, v18, vcc_lo
	s_clause 0x2
	global_store_b128 v[19:20], v[3:6], off
	global_store_b128 v[15:16], v[7:10], off
	;; [unrolled: 1-line block ×3, first 2 shown]
	s_and_b32 exec_lo, exec_lo, s3
	s_cbranch_execz .LBB392_2
; %bb.112:
	ds_load_b128 v[3:6], v0 offset:384
	s_add_i32 s1, s31, 6
	s_delay_alu instid0(SALU_CYCLE_1) | instskip(NEXT) | instid1(SALU_CYCLE_1)
	s_mul_i32 s0, s1, s0
	s_ashr_i32 s1, s0, 31
	s_delay_alu instid0(SALU_CYCLE_1) | instskip(NEXT) | instid1(SALU_CYCLE_1)
	s_lshl_b64 s[0:1], s[0:1], 1
	v_add_co_u32 v0, vcc_lo, v1, s0
	v_add_co_ci_u32_e32 v1, vcc_lo, s1, v2, vcc_lo
	s_waitcnt lgkmcnt(0)
	global_store_b128 v[0:1], v[3:6], off
	s_nop 0
	s_sendmsg sendmsg(MSG_DEALLOC_VGPRS)
	s_endpgm
	.section	.rodata,"a",@progbits
	.p2align	6, 0x0
	.amdhsa_kernel _Z39paged_attention_ll4mi_QKV_mfma16_kernelI14__hip_bfloat16S0_LN4vllm18Fp8KVCacheDataTypeE0EhLi16ELi64ELi256ELb1ELi7EL8MFMAType0EEvPKT_PKT0_S9_ifPKiSB_SB_iPKfiiiPfSE_PS4_PT2_iSD_SD_
		.amdhsa_group_segment_fixed_size 17472
		.amdhsa_private_segment_fixed_size 0
		.amdhsa_kernarg_size 400
		.amdhsa_user_sgpr_count 13
		.amdhsa_user_sgpr_dispatch_ptr 0
		.amdhsa_user_sgpr_queue_ptr 0
		.amdhsa_user_sgpr_kernarg_segment_ptr 1
		.amdhsa_user_sgpr_dispatch_id 0
		.amdhsa_user_sgpr_private_segment_size 0
		.amdhsa_wavefront_size32 1
		.amdhsa_uses_dynamic_stack 0
		.amdhsa_enable_private_segment 0
		.amdhsa_system_sgpr_workgroup_id_x 1
		.amdhsa_system_sgpr_workgroup_id_y 1
		.amdhsa_system_sgpr_workgroup_id_z 1
		.amdhsa_system_sgpr_workgroup_info 0
		.amdhsa_system_vgpr_workitem_id 0
		.amdhsa_next_free_vgpr 198
		.amdhsa_next_free_sgpr 52
		.amdhsa_reserve_vcc 1
		.amdhsa_float_round_mode_32 0
		.amdhsa_float_round_mode_16_64 0
		.amdhsa_float_denorm_mode_32 3
		.amdhsa_float_denorm_mode_16_64 3
		.amdhsa_dx10_clamp 1
		.amdhsa_ieee_mode 1
		.amdhsa_fp16_overflow 0
		.amdhsa_workgroup_processor_mode 1
		.amdhsa_memory_ordered 1
		.amdhsa_forward_progress 0
		.amdhsa_shared_vgpr_count 0
		.amdhsa_exception_fp_ieee_invalid_op 0
		.amdhsa_exception_fp_denorm_src 0
		.amdhsa_exception_fp_ieee_div_zero 0
		.amdhsa_exception_fp_ieee_overflow 0
		.amdhsa_exception_fp_ieee_underflow 0
		.amdhsa_exception_fp_ieee_inexact 0
		.amdhsa_exception_int_div_zero 0
	.end_amdhsa_kernel
	.section	.text._Z39paged_attention_ll4mi_QKV_mfma16_kernelI14__hip_bfloat16S0_LN4vllm18Fp8KVCacheDataTypeE0EhLi16ELi64ELi256ELb1ELi7EL8MFMAType0EEvPKT_PKT0_S9_ifPKiSB_SB_iPKfiiiPfSE_PS4_PT2_iSD_SD_,"axG",@progbits,_Z39paged_attention_ll4mi_QKV_mfma16_kernelI14__hip_bfloat16S0_LN4vllm18Fp8KVCacheDataTypeE0EhLi16ELi64ELi256ELb1ELi7EL8MFMAType0EEvPKT_PKT0_S9_ifPKiSB_SB_iPKfiiiPfSE_PS4_PT2_iSD_SD_,comdat
.Lfunc_end392:
	.size	_Z39paged_attention_ll4mi_QKV_mfma16_kernelI14__hip_bfloat16S0_LN4vllm18Fp8KVCacheDataTypeE0EhLi16ELi64ELi256ELb1ELi7EL8MFMAType0EEvPKT_PKT0_S9_ifPKiSB_SB_iPKfiiiPfSE_PS4_PT2_iSD_SD_, .Lfunc_end392-_Z39paged_attention_ll4mi_QKV_mfma16_kernelI14__hip_bfloat16S0_LN4vllm18Fp8KVCacheDataTypeE0EhLi16ELi64ELi256ELb1ELi7EL8MFMAType0EEvPKT_PKT0_S9_ifPKiSB_SB_iPKfiiiPfSE_PS4_PT2_iSD_SD_
                                        ; -- End function
	.section	.AMDGPU.csdata,"",@progbits
; Kernel info:
; codeLenInByte = 10064
; NumSgprs: 54
; NumVgprs: 198
; ScratchSize: 0
; MemoryBound: 0
; FloatMode: 240
; IeeeMode: 1
; LDSByteSize: 17472 bytes/workgroup (compile time only)
; SGPRBlocks: 6
; VGPRBlocks: 24
; NumSGPRsForWavesPerEU: 54
; NumVGPRsForWavesPerEU: 198
; Occupancy: 7
; WaveLimiterHint : 1
; COMPUTE_PGM_RSRC2:SCRATCH_EN: 0
; COMPUTE_PGM_RSRC2:USER_SGPR: 13
; COMPUTE_PGM_RSRC2:TRAP_HANDLER: 0
; COMPUTE_PGM_RSRC2:TGID_X_EN: 1
; COMPUTE_PGM_RSRC2:TGID_Y_EN: 1
; COMPUTE_PGM_RSRC2:TGID_Z_EN: 1
; COMPUTE_PGM_RSRC2:TIDIG_COMP_CNT: 0
	.section	.text._Z39paged_attention_ll4mi_QKV_mfma16_kernelI14__hip_bfloat16S0_LN4vllm18Fp8KVCacheDataTypeE0EhLi16ELi64ELi256ELb1ELi8EL8MFMAType0EEvPKT_PKT0_S9_ifPKiSB_SB_iPKfiiiPfSE_PS4_PT2_iSD_SD_,"axG",@progbits,_Z39paged_attention_ll4mi_QKV_mfma16_kernelI14__hip_bfloat16S0_LN4vllm18Fp8KVCacheDataTypeE0EhLi16ELi64ELi256ELb1ELi8EL8MFMAType0EEvPKT_PKT0_S9_ifPKiSB_SB_iPKfiiiPfSE_PS4_PT2_iSD_SD_,comdat
	.protected	_Z39paged_attention_ll4mi_QKV_mfma16_kernelI14__hip_bfloat16S0_LN4vllm18Fp8KVCacheDataTypeE0EhLi16ELi64ELi256ELb1ELi8EL8MFMAType0EEvPKT_PKT0_S9_ifPKiSB_SB_iPKfiiiPfSE_PS4_PT2_iSD_SD_ ; -- Begin function _Z39paged_attention_ll4mi_QKV_mfma16_kernelI14__hip_bfloat16S0_LN4vllm18Fp8KVCacheDataTypeE0EhLi16ELi64ELi256ELb1ELi8EL8MFMAType0EEvPKT_PKT0_S9_ifPKiSB_SB_iPKfiiiPfSE_PS4_PT2_iSD_SD_
	.globl	_Z39paged_attention_ll4mi_QKV_mfma16_kernelI14__hip_bfloat16S0_LN4vllm18Fp8KVCacheDataTypeE0EhLi16ELi64ELi256ELb1ELi8EL8MFMAType0EEvPKT_PKT0_S9_ifPKiSB_SB_iPKfiiiPfSE_PS4_PT2_iSD_SD_
	.p2align	8
	.type	_Z39paged_attention_ll4mi_QKV_mfma16_kernelI14__hip_bfloat16S0_LN4vllm18Fp8KVCacheDataTypeE0EhLi16ELi64ELi256ELb1ELi8EL8MFMAType0EEvPKT_PKT0_S9_ifPKiSB_SB_iPKfiiiPfSE_PS4_PT2_iSD_SD_,@function
_Z39paged_attention_ll4mi_QKV_mfma16_kernelI14__hip_bfloat16S0_LN4vllm18Fp8KVCacheDataTypeE0EhLi16ELi64ELi256ELb1ELi8EL8MFMAType0EEvPKT_PKT0_S9_ifPKiSB_SB_iPKfiiiPfSE_PS4_PT2_iSD_SD_: ; @_Z39paged_attention_ll4mi_QKV_mfma16_kernelI14__hip_bfloat16S0_LN4vllm18Fp8KVCacheDataTypeE0EhLi16ELi64ELi256ELb1ELi8EL8MFMAType0EEvPKT_PKT0_S9_ifPKiSB_SB_iPKfiiiPfSE_PS4_PT2_iSD_SD_
; %bb.0:
	s_load_b64 s[2:3], s[0:1], 0x30
	s_mov_b32 s30, s13
	s_waitcnt lgkmcnt(0)
	s_cmp_lg_u64 s[2:3], 0
	s_cselect_b32 s6, -1, 0
	s_ashr_i32 s31, s13, 31
	s_cmp_eq_u64 s[2:3], 0
	s_cbranch_scc1 .LBB393_3
; %bb.1:
	s_lshl_b64 s[4:5], s[30:31], 2
	s_delay_alu instid0(SALU_CYCLE_1) | instskip(SKIP_4) | instid1(SALU_CYCLE_1)
	s_add_u32 s4, s2, s4
	s_addc_u32 s5, s3, s5
	s_load_b64 s[4:5], s[4:5], 0x0
	s_waitcnt lgkmcnt(0)
	s_sub_i32 s4, s5, s4
	s_cmp_eq_u32 s4, 1
	s_cselect_b32 s4, -1, 0
	s_delay_alu instid0(SALU_CYCLE_1)
	s_and_not1_b32 vcc_lo, exec_lo, s4
	s_cbranch_vccz .LBB393_4
.LBB393_2:
	s_endpgm
.LBB393_3:
.LBB393_4:
	s_load_b64 s[8:9], s[0:1], 0x28
	s_lshl_b64 s[4:5], s[30:31], 2
	s_waitcnt lgkmcnt(0)
	s_add_u32 s8, s8, s4
	s_addc_u32 s9, s9, s5
	s_lshl_b32 s34, s14, 8
	s_load_b32 s33, s[8:9], 0x0
	s_waitcnt lgkmcnt(0)
	s_cmp_ge_i32 s34, s33
	s_cbranch_scc1 .LBB393_2
; %bb.5:
	s_clause 0x1
	s_load_b128 s[8:11], s[0:1], 0x8
	s_load_b64 s[12:13], s[0:1], 0x20
	s_and_not1_b32 vcc_lo, exec_lo, s6
	s_cbranch_vccnz .LBB393_7
; %bb.6:
	s_add_u32 s2, s2, s4
	s_addc_u32 s3, s3, s5
	s_load_b32 s3, s[2:3], 0x0
	s_branch .LBB393_8
.LBB393_7:
	s_mov_b32 s3, s30
.LBB393_8:
	s_load_b128 s[4:7], s[0:1], 0x48
	v_and_b32_e32 v149, 15, v0
	v_cmp_gt_u32_e32 vcc_lo, 0x80, v0
	v_lshrrev_b32_e32 v148, 5, v0
	v_and_b32_e32 v150, 31, v0
	v_and_b32_e32 v146, 1, v0
	v_lshlrev_b32_e32 v1, 3, v149
	v_cmp_gt_u32_e64 s2, 8, v149
	v_bfe_u32 v147, v0, 4, 1
	s_lshl_b32 s31, s15, 3
	s_delay_alu instid0(VALU_DEP_3) | instskip(NEXT) | instid1(VALU_DEP_3)
	v_lshlrev_b32_e32 v145, 1, v1
	s_and_b32 s16, vcc_lo, s2
	s_waitcnt lgkmcnt(0)
	s_and_saveexec_b32 s7, s16
	s_cbranch_execz .LBB393_10
; %bb.9:
	v_lshl_or_b32 v5, v148, 1, v147
	s_load_b64 s[16:17], s[0:1], 0x0
	s_mul_hi_i32 s19, s3, s4
	s_mul_i32 s18, s3, s4
	v_lshlrev_b32_e32 v6, 10, v149
	v_or_b32_e32 v1, s31, v5
	s_lshl_b64 s[18:19], s[18:19], 1
	v_lshlrev_b32_e32 v5, 6, v5
	v_lshlrev_b32_e32 v7, 10, v146
	v_and_b32_e32 v6, 0x3800, v6
	v_lshlrev_b32_e32 v1, 6, v1
	s_delay_alu instid0(VALU_DEP_2) | instskip(NEXT) | instid1(VALU_DEP_2)
	v_or3_b32 v5, v6, v7, v5
	v_ashrrev_i32_e32 v2, 31, v1
	s_delay_alu instid0(VALU_DEP_1) | instskip(SKIP_3) | instid1(VALU_DEP_1)
	v_lshlrev_b64 v[1:2], 1, v[1:2]
	s_waitcnt lgkmcnt(0)
	s_add_u32 s3, s16, s18
	s_addc_u32 s4, s17, s19
	v_add_co_u32 v1, vcc_lo, s3, v1
	s_delay_alu instid0(VALU_DEP_2) | instskip(NEXT) | instid1(VALU_DEP_2)
	v_add_co_ci_u32_e32 v2, vcc_lo, s4, v2, vcc_lo
	v_add_co_u32 v1, vcc_lo, v1, v145
	s_delay_alu instid0(VALU_DEP_2)
	v_add_co_ci_u32_e32 v2, vcc_lo, 0, v2, vcc_lo
	global_load_b128 v[1:4], v[1:2], off
	s_waitcnt vmcnt(0)
	ds_store_b128 v5, v[1:4]
.LBB393_10:
	s_or_b32 exec_lo, exec_lo, s7
	s_mov_b32 s40, 0
	s_add_i32 s3, s33, 15
	s_mov_b32 s41, s40
	s_mov_b32 s42, s40
	;; [unrolled: 1-line block ×7, first 2 shown]
	s_delay_alu instid0(SALU_CYCLE_1)
	v_dual_mov_b32 v136, s47 :: v_dual_and_b32 v1, 0xef, v0
	v_mov_b32_e32 v134, s45
	s_clause 0x1
	s_load_b32 s4, s[0:1], 0x38
	s_load_b32 s35, s[0:1], 0x1c
	v_add_nc_u32_e32 v1, s34, v1
	s_ashr_i32 s7, s3, 31
	s_waitcnt lgkmcnt(0)
	s_lshr_b32 s7, s7, 28
	s_barrier
	v_ashrrev_i32_e32 v2, 31, v1
	s_add_i32 s3, s3, s7
	v_cmp_gt_i32_e32 vcc_lo, s33, v1
	v_mov_b32_e32 v135, s46
	s_ashr_i32 s3, s3, 4
	v_lshrrev_b32_e32 v3, 28, v2
	v_or_b32_e32 v2, 16, v1
	s_add_i32 s3, s3, -1
	v_mov_b32_e32 v132, s43
	buffer_gl0_inv
	v_add_nc_u32_e32 v4, v1, v3
	v_add_nc_u32_e32 v3, v2, v3
	s_mul_i32 s6, s15, s6
	v_lshlrev_b32_e32 v22, 5, v149
	s_mul_i32 s16, s30, s4
	v_ashrrev_i32_e32 v4, 4, v4
	v_ashrrev_i32_e32 v3, 4, v3
	s_ashr_i32 s17, s16, 31
	v_and_b32_e32 v21, 7, v0
	s_lshl_b64 s[16:17], s[16:17], 2
	v_cndmask_b32_e32 v1, s3, v4, vcc_lo
	v_cmp_gt_i32_e32 vcc_lo, s33, v2
	s_add_u32 s4, s12, s16
	s_addc_u32 s36, s13, s17
	s_ashr_i32 s7, s6, 31
	v_ashrrev_i32_e32 v2, 31, v1
	v_cndmask_b32_e32 v3, s3, v3, vcc_lo
	s_lshl_b64 s[6:7], s[6:7], 1
	v_lshlrev_b32_e32 v197, 6, v21
	s_add_u32 s24, s8, s6
	v_lshlrev_b64 v[1:2], 2, v[1:2]
	v_ashrrev_i32_e32 v4, 31, v3
	s_addc_u32 s25, s9, s7
	s_lshl_b32 s8, s14, 4
	v_mov_b32_e32 v133, s44
	s_ashr_i32 s9, s8, 31
	v_lshlrev_b64 v[3:4], 2, v[3:4]
	v_add_co_u32 v1, vcc_lo, s4, v1
	v_add_co_ci_u32_e32 v2, vcc_lo, s36, v2, vcc_lo
	s_lshl_b64 s[8:9], s[8:9], 2
	s_delay_alu instid0(VALU_DEP_3) | instskip(NEXT) | instid1(VALU_DEP_4)
	v_add_co_u32 v3, vcc_lo, s4, v3
	v_add_co_ci_u32_e32 v4, vcc_lo, s36, v4, vcc_lo
	s_clause 0x1
	global_load_b32 v5, v[1:2], off
	global_load_b32 v6, v[3:4], off
	s_add_u32 s8, s4, s8
	s_addc_u32 s9, s36, s9
	s_or_b32 s12, s34, 16
	v_dual_mov_b32 v130, s41 :: v_dual_lshlrev_b32 v3, 4, v0
	s_ashr_i32 s13, s12, 4
	s_cmp_lt_i32 s12, s33
	v_mov_b32_e32 v131, s42
	s_cselect_b32 s12, s13, s3
	v_mov_b32_e32 v129, s40
	s_ashr_i32 s13, s12, 31
	v_lshl_or_b32 v21, v148, 9, v22
	s_lshl_b64 s[12:13], s[12:13], 2
	s_delay_alu instid0(SALU_CYCLE_1) | instskip(SKIP_2) | instid1(SALU_CYCLE_1)
	s_add_u32 s12, s4, s12
	s_addc_u32 s13, s36, s13
	s_or_b32 s15, s34, 32
	s_ashr_i32 s16, s15, 4
	s_cmp_lt_i32 s15, s33
	s_cselect_b32 s16, s16, s3
	s_delay_alu instid0(SALU_CYCLE_1) | instskip(NEXT) | instid1(SALU_CYCLE_1)
	s_ashr_i32 s17, s16, 31
	s_lshl_b64 s[16:17], s[16:17], 2
	s_delay_alu instid0(SALU_CYCLE_1) | instskip(SKIP_2) | instid1(SALU_CYCLE_1)
	s_add_u32 s16, s4, s16
	s_addc_u32 s17, s36, s17
	s_or_b32 s15, s34, 48
	s_ashr_i32 s18, s15, 4
	s_cmp_lt_i32 s15, s33
	s_cselect_b32 s18, s18, s3
	s_delay_alu instid0(SALU_CYCLE_1) | instskip(NEXT) | instid1(SALU_CYCLE_1)
	s_ashr_i32 s19, s18, 31
	;; [unrolled: 10-line block ×4, first 2 shown]
	s_lshl_b64 s[22:23], s[22:23], 2
	s_delay_alu instid0(SALU_CYCLE_1)
	s_add_u32 s22, s4, s22
	s_addc_u32 s23, s36, s23
	s_clause 0x5
	s_load_b32 s8, s[8:9], 0x0
	s_load_b32 s12, s[12:13], 0x0
	s_load_b32 s16, s[16:17], 0x0
	s_load_b32 s18, s[18:19], 0x0
	s_load_b32 s20, s[20:21], 0x0
	s_load_b32 s15, s[22:23], 0x0
	s_waitcnt lgkmcnt(0)
	s_mul_hi_i32 s17, s16, s5
	s_mul_i32 s16, s16, s5
	s_waitcnt vmcnt(1)
	v_mad_i64_i32 v[1:2], null, v5, s5, 0
	v_and_b32_e32 v5, 0xf0, v3
	s_waitcnt vmcnt(0)
	v_mad_i64_i32 v[3:4], null, v6, s5, 0
	s_delay_alu instid0(VALU_DEP_2) | instskip(NEXT) | instid1(VALU_DEP_4)
	v_add_co_u32 v5, s9, s24, v5
	v_lshlrev_b64 v[1:2], 1, v[1:2]
	v_add_co_ci_u32_e64 v6, null, s25, 0, s9
	s_delay_alu instid0(VALU_DEP_4) | instskip(SKIP_1) | instid1(VALU_DEP_3)
	v_lshlrev_b64 v[3:4], 1, v[3:4]
	s_or_b32 s9, s34, 0x60
	v_add_co_u32 v17, vcc_lo, v5, v1
	s_delay_alu instid0(VALU_DEP_3) | instskip(NEXT) | instid1(VALU_DEP_3)
	v_add_co_ci_u32_e32 v18, vcc_lo, v6, v2, vcc_lo
	v_add_co_u32 v19, vcc_lo, v5, v3
	s_delay_alu instid0(VALU_DEP_4)
	v_add_co_ci_u32_e32 v20, vcc_lo, v6, v4, vcc_lo
	s_clause 0xb
	global_load_b128 v[1:4], v[17:18], off
	global_load_b128 v[5:8], v[17:18], off offset:256
	global_load_b128 v[137:140], v[19:20], off
	global_load_b128 v[141:144], v[19:20], off offset:256
	global_load_b128 v[33:36], v[17:18], off offset:512
	;; [unrolled: 1-line block ×9, first 2 shown]
	ds_load_b128 v[159:162], v197
	ds_load_b128 v[163:166], v197 offset:1024
	s_clause 0x3
	global_load_b128 v[167:170], v[17:18], off offset:1536
	global_load_b128 v[171:174], v[17:18], off offset:1792
	;; [unrolled: 1-line block ×4, first 2 shown]
	s_ashr_i32 s13, s9, 4
	s_cmp_lt_i32 s9, s33
	s_cselect_b32 s22, s13, s3
	s_delay_alu instid0(SALU_CYCLE_1) | instskip(NEXT) | instid1(SALU_CYCLE_1)
	s_ashr_i32 s23, s22, 31
	s_lshl_b64 s[22:23], s[22:23], 2
	s_delay_alu instid0(SALU_CYCLE_1) | instskip(SKIP_2) | instid1(SALU_CYCLE_1)
	s_add_u32 s22, s4, s22
	s_addc_u32 s23, s36, s23
	s_or_b32 s9, s34, 0x70
	s_ashr_i32 s13, s9, 4
	s_cmp_lt_i32 s9, s33
	s_cselect_b32 s24, s13, s3
	s_delay_alu instid0(SALU_CYCLE_1) | instskip(NEXT) | instid1(SALU_CYCLE_1)
	s_ashr_i32 s25, s24, 31
	s_lshl_b64 s[24:25], s[24:25], 2
	s_delay_alu instid0(SALU_CYCLE_1)
	s_add_u32 s24, s4, s24
	s_addc_u32 s25, s36, s25
	s_or_b32 s9, s34, 0x80
	s_load_b32 s46, s[24:25], 0x0
	s_ashr_i32 s13, s9, 4
	s_cmp_lt_i32 s9, s33
	s_cselect_b32 s26, s13, s3
	s_delay_alu instid0(SALU_CYCLE_1) | instskip(NEXT) | instid1(SALU_CYCLE_1)
	s_ashr_i32 s27, s26, 31
	s_lshl_b64 s[26:27], s[26:27], 2
	s_delay_alu instid0(SALU_CYCLE_1)
	s_add_u32 s26, s4, s26
	s_addc_u32 s27, s36, s27
	s_or_b32 s9, s34, 0x90
	s_load_b32 s47, s[26:27], 0x0
	s_ashr_i32 s13, s9, 4
	s_cmp_lt_i32 s9, s33
	s_cselect_b32 s28, s13, s3
	s_delay_alu instid0(SALU_CYCLE_1) | instskip(NEXT) | instid1(SALU_CYCLE_1)
	s_ashr_i32 s29, s28, 31
	s_lshl_b64 s[28:29], s[28:29], 2
	s_delay_alu instid0(SALU_CYCLE_1) | instskip(SKIP_2) | instid1(SALU_CYCLE_1)
	s_add_u32 s28, s4, s28
	s_addc_u32 s29, s36, s29
	s_or_b32 s9, s34, 0xa0
	s_ashr_i32 s13, s9, 4
	s_cmp_lt_i32 s9, s33
	s_cselect_b32 s38, s13, s3
	s_delay_alu instid0(SALU_CYCLE_1) | instskip(NEXT) | instid1(SALU_CYCLE_1)
	s_ashr_i32 s39, s38, 31
	s_lshl_b64 s[38:39], s[38:39], 2
	s_delay_alu instid0(SALU_CYCLE_1)
	s_add_u32 s38, s4, s38
	s_addc_u32 s39, s36, s39
	s_or_b32 s9, s34, 0xb0
	s_load_b32 s39, s[38:39], 0x0
	s_ashr_i32 s13, s9, 4
	s_cmp_lt_i32 s9, s33
	s_mul_hi_i32 s9, s8, s5
	s_cselect_b32 s40, s13, s3
	s_mul_i32 s8, s8, s5
	s_ashr_i32 s41, s40, 31
	s_mul_hi_i32 s13, s12, s5
	s_lshl_b64 s[40:41], s[40:41], 2
	s_mul_i32 s12, s12, s5
	s_add_u32 s42, s4, s40
	s_addc_u32 s43, s36, s41
	s_or_b32 s19, s34, 0xc0
	s_delay_alu instid0(SALU_CYCLE_1)
	s_ashr_i32 s21, s19, 4
	s_cmp_lt_i32 s19, s33
	s_mul_hi_i32 s19, s18, s5
	s_cselect_b32 s40, s21, s3
	s_mul_i32 s18, s18, s5
	s_ashr_i32 s41, s40, 31
	s_mul_hi_i32 s21, s20, s5
	s_lshl_b64 s[40:41], s[40:41], 2
	s_mul_i32 s20, s20, s5
	s_add_u32 s44, s4, s40
	s_load_b32 s40, s[28:29], 0x0
	s_addc_u32 s45, s36, s41
	s_or_b32 s37, s34, 0xd0
	s_load_b32 s41, s[22:23], 0x0
	s_ashr_i32 s22, s37, 4
	s_cmp_lt_i32 s37, s33
	s_mul_hi_i32 s23, s15, s5
	s_cselect_b32 s24, s22, s3
	s_mul_i32 s22, s15, s5
	s_ashr_i32 s25, s24, 31
	s_waitcnt lgkmcnt(0)
	s_mul_hi_i32 s27, s46, s5
	s_lshl_b64 s[24:25], s[24:25], 2
	s_mul_i32 s26, s46, s5
	s_add_u32 s24, s4, s24
	s_addc_u32 s25, s36, s25
	s_or_b32 s48, s34, 0xe0
	s_clause 0x2
	s_load_b32 s38, s[42:43], 0x0
	s_load_b32 s37, s[44:45], 0x0
	s_load_b32 s15, s[24:25], 0x0
	s_ashr_i32 s49, s48, 4
	s_cmp_lt_i32 s48, s33
	s_mul_hi_i32 s29, s47, s5
	s_cselect_b32 s42, s49, s3
	s_mul_i32 s28, s47, s5
	s_ashr_i32 s43, s42, 31
	s_mul_hi_i32 s25, s41, s5
	s_lshl_b64 s[42:43], s[42:43], 2
	s_mul_i32 s24, s41, s5
	s_add_u32 s42, s4, s42
	s_addc_u32 s43, s36, s43
	s_or_b32 s46, s34, 0xf0
	s_mul_hi_i32 s41, s40, s5
	s_ashr_i32 s47, s46, 4
	s_cmp_lt_i32 s46, s33
	s_mul_i32 s40, s40, s5
	s_cselect_b32 s46, s47, s3
	s_mul_hi_i32 s45, s39, s5
	s_ashr_i32 s47, s46, 31
	s_mul_i32 s44, s39, s5
	s_lshl_b64 s[46:47], s[46:47], 2
	s_waitcnt lgkmcnt(0)
	s_mul_hi_i32 s39, s38, s5
	s_add_u32 s46, s4, s46
	s_addc_u32 s47, s36, s47
	s_add_u32 s3, s10, s6
	s_addc_u32 s4, s11, s7
	v_add_co_u32 v195, s3, s3, v21
	s_delay_alu instid0(VALU_DEP_1) | instskip(SKIP_2) | instid1(VALU_DEP_2)
	v_add_co_ci_u32_e64 v196, null, s4, 0, s3
	s_lshl_b64 s[6:7], s[8:9], 1
	s_lshl_b64 s[8:9], s[12:13], 1
	v_add_co_u32 v17, vcc_lo, v195, s6
	s_delay_alu instid0(VALU_DEP_2)
	v_add_co_ci_u32_e32 v18, vcc_lo, s7, v196, vcc_lo
	v_add_co_u32 v19, vcc_lo, v195, s8
	s_lshl_b64 s[10:11], s[16:17], 1
	v_add_co_ci_u32_e32 v20, vcc_lo, s9, v196, vcc_lo
	v_add_co_u32 v21, vcc_lo, v195, s10
	s_lshl_b64 s[12:13], s[18:19], 1
	;; [unrolled: 3-line block ×9, first 2 shown]
	s_mul_i32 s38, s38, s5
	v_add_co_ci_u32_e32 v54, vcc_lo, s27, v196, vcc_lo
	v_add_co_u32 v183, vcc_lo, v195, s28
	s_mul_hi_i32 s49, s37, s5
	s_mul_i32 s48, s37, s5
	s_lshl_b64 s[36:37], s[38:39], 1
	v_add_co_ci_u32_e32 v184, vcc_lo, s29, v196, vcc_lo
	v_add_co_u32 v185, vcc_lo, v195, s36
	s_lshl_b64 s[38:39], s[48:49], 1
	s_clause 0x1
	s_load_b32 s3, s[42:43], 0x0
	s_load_b32 s4, s[46:47], 0x0
	v_add_co_ci_u32_e32 v186, vcc_lo, s37, v196, vcc_lo
	v_add_co_u32 v191, vcc_lo, v195, s38
	v_add_co_ci_u32_e32 v192, vcc_lo, s39, v196, vcc_lo
	s_clause 0x17
	global_load_b128 v[121:124], v[17:18], off
	global_load_b128 v[125:128], v[17:18], off offset:16
	global_load_b128 v[113:116], v[19:20], off
	global_load_b128 v[117:120], v[19:20], off offset:16
	global_load_b128 v[105:108], v[21:22], off
	global_load_b128 v[109:112], v[21:22], off offset:16
	global_load_b128 v[97:100], v[23:24], off
	global_load_b128 v[101:104], v[23:24], off offset:16
	global_load_b128 v[89:92], v[41:42], off
	global_load_b128 v[93:96], v[41:42], off offset:16
	global_load_b128 v[81:84], v[43:44], off
	global_load_b128 v[85:88], v[43:44], off offset:16
	global_load_b128 v[73:76], v[45:46], off
	global_load_b128 v[77:80], v[45:46], off offset:16
	global_load_b128 v[57:60], v[47:48], off
	global_load_b128 v[61:64], v[47:48], off offset:16
	global_load_b128 v[65:68], v[49:50], off
	global_load_b128 v[69:72], v[49:50], off offset:16
	global_load_b128 v[49:52], v[53:54], off
	global_load_b128 v[53:56], v[53:54], off offset:16
	global_load_b128 v[41:44], v[183:184], off
	global_load_b128 v[45:48], v[183:184], off offset:16
	global_load_b128 v[17:20], v[185:186], off
	global_load_b128 v[21:24], v[185:186], off offset:16
	s_mul_hi_i32 s51, s15, s5
	s_mul_i32 s50, s15, s5
	s_delay_alu instid0(SALU_CYCLE_1) | instskip(NEXT) | instid1(SALU_CYCLE_1)
	s_lshl_b64 s[40:41], s[50:51], 1
	v_add_co_u32 v193, vcc_lo, v195, s40
	v_add_co_ci_u32_e32 v194, vcc_lo, s41, v196, vcc_lo
	s_waitcnt lgkmcnt(0)
	s_mul_hi_i32 s7, s3, s5
	s_mul_i32 s6, s3, s5
	s_mul_hi_i32 s9, s4, s5
	s_lshl_b64 s[6:7], s[6:7], 1
	s_mul_i32 s8, s4, s5
	s_delay_alu instid0(SALU_CYCLE_1)
	s_lshl_b64 s[4:5], s[8:9], 1
	s_waitcnt vmcnt(38)
	v_wmma_f32_16x16x16_bf16 v[183:190], v[1:8], v[159:166], v[129:136]
	s_waitcnt vmcnt(36)
	v_wmma_f32_16x16x16_bf16 v[129:136], v[137:144], v[159:166], v[129:136]
	s_clause 0x1
	global_load_b128 v[1:4], v[191:192], off
	global_load_b128 v[5:8], v[191:192], off offset:16
	ds_load_b128 v[137:140], v197 offset:2048
	ds_load_b128 v[141:144], v197 offset:3072
	;; [unrolled: 1-line block ×4, first 2 shown]
	v_add_co_u32 v191, vcc_lo, v195, s6
	v_add_co_ci_u32_e32 v192, vcc_lo, s7, v196, vcc_lo
	v_add_co_u32 v195, vcc_lo, v195, s4
	v_add_co_ci_u32_e32 v196, vcc_lo, s5, v196, vcc_lo
	s_waitcnt vmcnt(36) lgkmcnt(2)
	v_wmma_f32_16x16x16_bf16 v[183:190], v[33:40], v[137:144], v[183:190]
	s_waitcnt vmcnt(34)
	v_wmma_f32_16x16x16_bf16 v[129:136], v[25:32], v[137:144], v[129:136]
	s_clause 0x3
	global_load_b128 v[25:28], v[193:194], off
	global_load_b128 v[29:32], v[193:194], off offset:16
	global_load_b128 v[33:36], v[191:192], off
	global_load_b128 v[37:40], v[191:192], off offset:16
	v_and_b32_e32 v137, 0xe0, v0
	v_mbcnt_lo_u32_b32 v191, -1, 0
	s_waitcnt vmcnt(36) lgkmcnt(0)
	v_wmma_f32_16x16x16_bf16 v[183:190], v[9:16], v[159:166], v[183:190]
	s_clause 0x1
	global_load_b128 v[9:12], v[195:196], off
	global_load_b128 v[13:16], v[195:196], off offset:16
	s_waitcnt vmcnt(36)
	v_wmma_f32_16x16x16_bf16 v[129:136], v[151:158], v[159:166], v[129:136]
	v_add_nc_u32_e32 v192, s34, v137
	ds_load_b128 v[137:140], v197 offset:6144
	ds_load_b128 v[141:144], v197 offset:7168
	v_xor_b32_e32 v151, 16, v191
	s_waitcnt vmcnt(0) lgkmcnt(0)
	s_barrier
	v_or_b32_e32 v152, v192, v147
	buffer_gl0_inv
	v_cmp_gt_i32_e32 vcc_lo, 32, v151
	v_or_b32_e32 v153, 2, v152
	v_or_b32_e32 v154, 4, v152
	;; [unrolled: 1-line block ×5, first 2 shown]
	v_cmp_gt_i32_e64 s3, s33, v153
	v_cmp_gt_i32_e64 s4, s33, v154
	;; [unrolled: 1-line block ×3, first 2 shown]
	v_or_b32_e32 v158, 12, v152
	v_or_b32_e32 v159, 14, v152
	v_cmp_gt_i32_e64 s6, s33, v156
	v_wmma_f32_16x16x16_bf16 v[183:190], v[167:174], v[137:144], v[183:190]
	v_wmma_f32_16x16x16_bf16 v[129:136], v[175:182], v[137:144], v[129:136]
	v_cndmask_b32_e32 v151, v191, v151, vcc_lo
	v_cmp_gt_i32_e32 vcc_lo, s33, v152
	v_cmp_gt_i32_e64 s7, s33, v157
	v_dual_mul_f32 v143, s35, v184 :: v_dual_mul_f32 v144, s35, v183
	v_dual_mul_f32 v141, s35, v186 :: v_dual_mul_f32 v142, s35, v185
	;; [unrolled: 1-line block ×3, first 2 shown]
	s_delay_alu instid0(VALU_DEP_3) | instskip(NEXT) | instid1(VALU_DEP_4)
	v_cndmask_b32_e32 v144, 0xff7fffff, v144, vcc_lo
	v_cndmask_b32_e64 v143, 0xff7fffff, v143, s3
	v_mul_f32_e32 v140, s35, v187
	v_cndmask_b32_e64 v142, 0xff7fffff, v142, s4
	v_cndmask_b32_e64 v141, 0xff7fffff, v141, s5
	v_or_b32_e32 v160, 16, v152
	v_max3_f32 v143, v144, 0xff7fffff, v143
	v_or_b32_e32 v161, 18, v152
	v_mul_f32_e32 v138, s35, v189
	v_dual_mul_f32 v172, s35, v132 :: v_dual_mul_f32 v137, s35, v190
	v_lshlrev_b32_e32 v154, 2, v151
	v_cndmask_b32_e64 v140, 0xff7fffff, v140, s6
	v_cndmask_b32_e64 v139, 0xff7fffff, v139, s7
	v_max3_f32 v141, v143, v142, v141
	v_cmp_gt_i32_e64 s8, s33, v158
	v_cmp_gt_i32_e64 s9, s33, v159
	v_or_b32_e32 v162, 20, v152
	v_or_b32_e32 v163, 22, v152
	v_mul_f32_e32 v175, s35, v129
	v_cndmask_b32_e64 v138, 0xff7fffff, v138, s8
	v_cndmask_b32_e64 v137, 0xff7fffff, v137, s9
	v_max3_f32 v139, v141, v140, v139
	v_cmp_gt_i32_e64 s10, s33, v160
	v_cmp_gt_i32_e64 s11, s33, v161
	v_or_b32_e32 v164, 24, v152
	v_or_b32_e32 v165, 26, v152
	v_mul_f32_e32 v173, s35, v131
	v_cndmask_b32_e64 v140, 0xff7fffff, v175, s10
	v_cndmask_b32_e64 v141, 0xff7fffff, v174, s11
	v_max3_f32 v137, v139, v138, v137
	v_cmp_gt_i32_e64 s12, s33, v162
	v_cmp_gt_i32_e64 s13, s33, v163
	v_or_b32_e32 v166, 28, v152
	v_or_b32_e32 v167, 30, v152
	v_dual_mul_f32 v170, s35, v134 :: v_dual_mul_f32 v171, s35, v133
	v_cndmask_b32_e64 v138, 0xff7fffff, v173, s12
	v_cndmask_b32_e64 v139, 0xff7fffff, v172, s13
	v_max3_f32 v137, v137, v140, v141
	v_cmp_gt_i32_e64 s15, s33, v164
	v_cmp_gt_i32_e64 s16, s33, v165
	v_dual_mul_f32 v168, s35, v136 :: v_dual_mul_f32 v169, s35, v135
	s_delay_alu instid0(VALU_DEP_4) | instskip(NEXT) | instid1(VALU_DEP_4)
	v_max3_f32 v137, v137, v138, v139
	v_cndmask_b32_e64 v140, 0xff7fffff, v171, s15
	s_delay_alu instid0(VALU_DEP_4) | instskip(SKIP_2) | instid1(VALU_DEP_3)
	v_cndmask_b32_e64 v141, 0xff7fffff, v170, s16
	v_cmp_gt_i32_e64 s17, s33, v166
	v_cmp_gt_i32_e64 s18, s33, v167
	v_max3_f32 v137, v137, v140, v141
	s_delay_alu instid0(VALU_DEP_3) | instskip(NEXT) | instid1(VALU_DEP_3)
	v_cndmask_b32_e64 v138, 0xff7fffff, v169, s17
	v_cndmask_b32_e64 v139, 0xff7fffff, v168, s18
	s_delay_alu instid0(VALU_DEP_1) | instskip(SKIP_3) | instid1(VALU_DEP_1)
	v_max3_f32 v137, v137, v138, v139
	ds_bpermute_b32 v138, v154, v137
	s_waitcnt lgkmcnt(0)
	v_max_f32_e32 v138, v138, v138
	v_max_f32_e32 v139, v137, v138
	s_delay_alu instid0(VALU_DEP_1) | instskip(SKIP_4) | instid1(VALU_DEP_4)
	v_fma_f32 v141, s35, v186, -v139
	v_fma_f32 v130, s35, v130, -v139
	;; [unrolled: 1-line block ×5, first 2 shown]
	v_dual_mul_f32 v141, 0x3fb8aa3b, v141 :: v_dual_mul_f32 v130, 0x3fb8aa3b, v130
	v_fma_f32 v142, s35, v187, -v139
	s_delay_alu instid0(VALU_DEP_4) | instskip(NEXT) | instid1(VALU_DEP_4)
	v_mul_f32_e32 v138, 0x3fb8aa3b, v138
	v_mul_f32_e32 v140, 0x3fb8aa3b, v140
	s_delay_alu instid0(VALU_DEP_4)
	v_exp_f32_e32 v144, v141
	v_fma_f32 v151, s35, v189, -v139
	v_mul_f32_e32 v142, 0x3fb8aa3b, v142
	v_exp_f32_e32 v138, v138
	v_exp_f32_e32 v143, v140
	v_fma_f32 v132, s35, v132, -v139
	v_mul_f32_e32 v151, 0x3fb8aa3b, v151
	v_exp_f32_e32 v152, v142
	v_fma_f32 v129, s35, v129, -v139
	v_fma_f32 v134, s35, v134, -v139
	v_cndmask_b32_e64 v144, 0, v144, s5
	v_dual_mul_f32 v137, 0x3fb8aa3b, v137 :: v_dual_mul_f32 v132, 0x3fb8aa3b, v132
	s_delay_alu instid0(TRANS32_DEP_3) | instskip(NEXT) | instid1(TRANS32_DEP_2)
	v_cndmask_b32_e64 v141, 0, v138, s3
	v_cndmask_b32_e64 v142, 0, v143, s4
	v_fma_f32 v143, s35, v190, -v139
	s_delay_alu instid0(VALU_DEP_4)
	v_exp_f32_e32 v137, v137
	v_exp_f32_e32 v153, v151
	v_cndmask_b32_e64 v151, 0, v152, s6
	v_mul_f32_e32 v129, 0x3fb8aa3b, v129
	v_dual_mul_f32 v143, 0x3fb8aa3b, v143 :: v_dual_mul_f32 v134, 0x3fb8aa3b, v134
	v_fma_f32 v131, s35, v131, -v139
	v_exp_f32_e32 v130, v130
	s_delay_alu instid0(VALU_DEP_3) | instskip(NEXT) | instid1(VALU_DEP_2)
	v_exp_f32_e32 v129, v129
	v_exp_f32_e32 v155, v143
	v_cndmask_b32_e32 v140, 0, v137, vcc_lo
	v_fma_f32 v137, s35, v188, -v139
	v_cndmask_b32_e64 v143, 0, v153, s8
	v_mul_f32_e32 v131, 0x3fb8aa3b, v131
	v_fma_f32 v133, s35, v133, -v139
	s_delay_alu instid0(VALU_DEP_4) | instskip(SKIP_2) | instid1(TRANS32_DEP_1)
	v_dual_add_f32 v138, 0, v140 :: v_dual_mul_f32 v137, 0x3fb8aa3b, v137
	v_fma_f32 v136, s35, v136, -v139
	s_mov_b32 s3, exec_lo
	v_cndmask_b32_e64 v153, 0, v155, s9
	s_delay_alu instid0(VALU_DEP_3) | instskip(SKIP_1) | instid1(VALU_DEP_1)
	v_add_f32_e32 v138, v138, v141
	v_exp_f32_e32 v137, v137
	v_dual_mul_f32 v133, 0x3fb8aa3b, v133 :: v_dual_add_f32 v138, v138, v142
	s_delay_alu instid0(VALU_DEP_1)
	v_add_f32_e32 v138, v138, v144
	s_waitcnt_depctr 0xfff
	v_cndmask_b32_e64 v152, 0, v137, s7
	v_add_f32_e32 v137, v138, v151
	v_exp_f32_e32 v138, v131
	v_cndmask_b32_e64 v131, 0, v129, s10
	s_delay_alu instid0(VALU_DEP_2) | instskip(NEXT) | instid1(VALU_DEP_1)
	v_add_f32_e32 v137, v137, v152
	v_add_f32_e32 v137, v137, v143
	s_delay_alu instid0(VALU_DEP_1)
	v_add_f32_e32 v129, v137, v153
	v_exp_f32_e32 v137, v132
	v_cndmask_b32_e64 v132, 0, v130, s11
	v_fma_f32 v130, s35, v135, -v139
	v_exp_f32_e32 v135, v133
	v_add_f32_e32 v129, v129, v131
	v_cndmask_b32_e64 v133, 0, v138, s12
	v_exp_f32_e32 v138, v134
	s_delay_alu instid0(VALU_DEP_2) | instskip(NEXT) | instid1(TRANS32_DEP_3)
	v_dual_mul_f32 v130, 0x3fb8aa3b, v130 :: v_dual_add_f32 v129, v129, v132
	v_cndmask_b32_e64 v134, 0, v137, s13
	v_mul_f32_e32 v137, 0x3fb8aa3b, v136
	s_delay_alu instid0(VALU_DEP_3) | instskip(NEXT) | instid1(TRANS32_DEP_3)
	v_exp_f32_e32 v130, v130
	v_cndmask_b32_e64 v135, 0, v135, s15
	v_add_f32_e32 v129, v129, v133
	s_delay_alu instid0(TRANS32_DEP_2) | instskip(SKIP_1) | instid1(VALU_DEP_2)
	v_cndmask_b32_e64 v136, 0, v138, s16
	v_exp_f32_e32 v138, v137
	v_add_f32_e32 v129, v129, v134
	s_waitcnt_depctr 0xfff
	v_cndmask_b32_e64 v137, 0, v130, s17
	v_add_f32_e32 v129, v129, v135
	v_cndmask_b32_e64 v138, 0, v138, s18
	s_delay_alu instid0(VALU_DEP_2) | instskip(NEXT) | instid1(VALU_DEP_1)
	v_add_f32_e32 v129, v129, v136
	v_add_f32_e32 v129, v129, v137
	s_delay_alu instid0(VALU_DEP_1)
	v_add_f32_e32 v129, v129, v138
	ds_bpermute_b32 v130, v154, v129
	v_cmpx_gt_u32_e32 16, v150
	s_cbranch_execz .LBB393_12
; %bb.11:
	v_mul_u32_u24_e32 v150, 0x44, v148
	s_waitcnt lgkmcnt(0)
	v_add_f32_e32 v129, v129, v130
	s_delay_alu instid0(VALU_DEP_2) | instskip(NEXT) | instid1(VALU_DEP_1)
	v_lshl_add_u32 v150, v149, 2, v150
	v_add_nc_u32_e32 v130, 0x4000, v150
	ds_store_2addr_b32 v130, v139, v129 offset1:136
.LBB393_12:
	s_or_b32 exec_lo, exec_lo, s3
	v_lshlrev_b32_e32 v129, 2, v149
	s_waitcnt lgkmcnt(0)
	s_barrier
	buffer_gl0_inv
	v_cmp_eq_u32_e64 s3, 1, v148
	v_add_nc_u32_e32 v139, 0x4000, v129
	ds_load_2addr_b32 v[154:155], v139 offset1:17
	ds_load_2addr_b32 v[156:157], v139 offset0:34 offset1:51
	ds_load_2addr_b32 v[158:159], v139 offset0:68 offset1:85
	ds_load_2addr_b32 v[160:161], v139 offset0:102 offset1:119
	ds_load_2addr_b32 v[162:163], v139 offset0:136 offset1:153
	s_waitcnt lgkmcnt(4)
	v_max3_f32 v129, v154, 0xff7fffff, v155
	s_waitcnt lgkmcnt(3)
	s_delay_alu instid0(VALU_DEP_1) | instskip(SKIP_1) | instid1(VALU_DEP_1)
	v_max3_f32 v129, v129, v156, v157
	s_waitcnt lgkmcnt(2)
	v_max3_f32 v129, v129, v158, v159
	s_waitcnt lgkmcnt(1)
	s_delay_alu instid0(VALU_DEP_1) | instskip(NEXT) | instid1(VALU_DEP_1)
	v_max3_f32 v129, v129, v160, v161
	v_sub_f32_e32 v156, v156, v129
	v_sub_f32_e32 v130, v154, v129
	;; [unrolled: 1-line block ×3, first 2 shown]
	s_delay_alu instid0(VALU_DEP_3) | instskip(NEXT) | instid1(VALU_DEP_3)
	v_dual_sub_f32 v150, v155, v129 :: v_dual_mul_f32 v165, 0x3fb8aa3b, v156
	v_mul_f32_e32 v130, 0x3fb8aa3b, v130
	s_delay_alu instid0(VALU_DEP_3) | instskip(NEXT) | instid1(VALU_DEP_3)
	v_mul_f32_e32 v167, 0x3fb8aa3b, v158
	v_mul_f32_e32 v150, 0x3fb8aa3b, v150
	s_delay_alu instid0(VALU_DEP_4) | instskip(NEXT) | instid1(VALU_DEP_3)
	v_exp_f32_e32 v165, v165
	v_exp_f32_e32 v164, v130
	v_sub_f32_e32 v130, v157, v129
	s_delay_alu instid0(VALU_DEP_2) | instskip(NEXT) | instid1(VALU_DEP_1)
	v_exp_f32_e32 v150, v150
	v_mul_f32_e32 v166, 0x3fb8aa3b, v130
	s_waitcnt lgkmcnt(0)
	s_waitcnt_depctr 0xfff
	v_fma_f32 v130, v164, v162, 0
	v_sub_f32_e32 v162, v159, v129
	v_exp_f32_e32 v166, v166
	s_delay_alu instid0(VALU_DEP_2)
	v_fmac_f32_e32 v130, v150, v163
	ds_load_2addr_b32 v[154:155], v139 offset0:170 offset1:187
	ds_load_2addr_b32 v[156:157], v139 offset0:204 offset1:221
	;; [unrolled: 1-line block ×3, first 2 shown]
	v_dual_sub_f32 v139, v160, v129 :: v_dual_mul_f32 v160, 0x3fb8aa3b, v162
	v_exp_f32_e32 v162, v167
	v_cndmask_b32_e64 v150, v164, v150, s3
	v_cmp_eq_u32_e64 s3, 2, v148
	s_delay_alu instid0(VALU_DEP_3)
	v_mul_f32_e32 v139, 0x3fb8aa3b, v139
	v_exp_f32_e32 v160, v160
	s_waitcnt lgkmcnt(0)
	s_barrier
	v_cndmask_b32_e64 v150, v150, v165, s3
	v_exp_f32_e32 v139, v139
	v_cmp_eq_u32_e64 s3, 3, v148
	buffer_gl0_inv
	v_cndmask_b32_e64 v150, v150, v166, s3
	v_fmac_f32_e32 v130, v165, v154
	v_sub_f32_e32 v154, v161, v129
	v_cmp_eq_u32_e64 s3, 4, v148
	s_delay_alu instid0(VALU_DEP_2) | instskip(NEXT) | instid1(VALU_DEP_2)
	v_mul_f32_e32 v154, 0x3fb8aa3b, v154
	v_cndmask_b32_e64 v150, v150, v162, s3
	v_cmp_eq_u32_e64 s3, 5, v148
	s_delay_alu instid0(VALU_DEP_3) | instskip(SKIP_1) | instid1(VALU_DEP_2)
	v_exp_f32_e32 v154, v154
	v_fmac_f32_e32 v130, v166, v155
	v_cndmask_b32_e64 v150, v150, v160, s3
	s_mov_b32 s3, exec_lo
	s_delay_alu instid0(VALU_DEP_2) | instskip(NEXT) | instid1(VALU_DEP_1)
	v_fmac_f32_e32 v130, v162, v156
	v_fmac_f32_e32 v130, v160, v157
	s_delay_alu instid0(VALU_DEP_1) | instskip(SKIP_2) | instid1(VALU_DEP_1)
	v_fmac_f32_e32 v130, v139, v158
	s_waitcnt_depctr 0xfff
	v_fmac_f32_e32 v130, v154, v159
	v_add_f32_e32 v155, 0x358637bd, v130
	s_delay_alu instid0(VALU_DEP_1) | instskip(SKIP_1) | instid1(VALU_DEP_2)
	v_div_scale_f32 v156, null, v155, v155, 1.0
	v_div_scale_f32 v159, vcc_lo, 1.0, v155, 1.0
	v_rcp_f32_e32 v157, v156
	s_waitcnt_depctr 0xfff
	v_fma_f32 v158, -v156, v157, 1.0
	s_delay_alu instid0(VALU_DEP_1) | instskip(NEXT) | instid1(VALU_DEP_1)
	v_fmac_f32_e32 v157, v158, v157
	v_mul_f32_e32 v158, v159, v157
	s_delay_alu instid0(VALU_DEP_1) | instskip(NEXT) | instid1(VALU_DEP_1)
	v_fma_f32 v161, -v156, v158, v159
	v_fmac_f32_e32 v158, v161, v157
	s_delay_alu instid0(VALU_DEP_1) | instskip(NEXT) | instid1(VALU_DEP_1)
	v_fma_f32 v156, -v156, v158, v159
	v_div_fmas_f32 v156, v156, v157, v158
	v_cmp_eq_u32_e32 vcc_lo, 6, v148
	v_cndmask_b32_e32 v139, v150, v139, vcc_lo
	v_cmp_eq_u32_e32 vcc_lo, 7, v148
	s_delay_alu instid0(VALU_DEP_4) | instskip(NEXT) | instid1(VALU_DEP_3)
	v_div_fixup_f32 v150, v156, v155, 1.0
	v_cndmask_b32_e32 v139, v139, v154, vcc_lo
	s_delay_alu instid0(VALU_DEP_1) | instskip(NEXT) | instid1(VALU_DEP_1)
	v_mul_f32_e32 v139, v139, v150
	v_mul_f32_e32 v154, v139, v140
	;; [unrolled: 1-line block ×7, first 2 shown]
	v_and_b32_e32 v155, 0x7f800000, v154
	v_mul_f32_e32 v153, v139, v144
	v_mul_f32_e32 v144, v139, v141
                                        ; implicit-def: $vgpr141
	s_delay_alu instid0(VALU_DEP_3)
	v_cmpx_ne_u32_e32 0x7f800000, v155
	s_xor_b32 s3, exec_lo, s3
; %bb.13:
	v_bfe_u32 v141, v154, 16, 1
	s_delay_alu instid0(VALU_DEP_1)
	v_add3_u32 v141, v154, v141, 0x7fff
                                        ; implicit-def: $vgpr154
; %bb.14:
	s_and_not1_saveexec_b32 s3, s3
; %bb.15:
	v_and_b32_e32 v141, 0xffff, v154
	v_or_b32_e32 v142, 0x10000, v154
	s_delay_alu instid0(VALU_DEP_2) | instskip(NEXT) | instid1(VALU_DEP_2)
	v_cmp_eq_u32_e32 vcc_lo, 0, v141
	v_cndmask_b32_e32 v141, v142, v154, vcc_lo
; %bb.16:
	s_or_b32 exec_lo, exec_lo, s3
	v_and_b32_e32 v142, 0x7f800000, v144
	s_delay_alu instid0(VALU_DEP_1) | instskip(SKIP_1) | instid1(SALU_CYCLE_1)
	v_cmp_ne_u32_e32 vcc_lo, 0x7f800000, v142
                                        ; implicit-def: $vgpr142
	s_and_saveexec_b32 s3, vcc_lo
	s_xor_b32 s3, exec_lo, s3
; %bb.17:
	v_bfe_u32 v142, v144, 16, 1
	s_delay_alu instid0(VALU_DEP_1)
	v_add3_u32 v142, v144, v142, 0x7fff
                                        ; implicit-def: $vgpr144
; %bb.18:
	s_and_not1_saveexec_b32 s3, s3
; %bb.19:
	v_and_b32_e32 v142, 0xffff, v144
	v_or_b32_e32 v154, 0x10000, v144
	s_delay_alu instid0(VALU_DEP_2) | instskip(NEXT) | instid1(VALU_DEP_2)
	v_cmp_eq_u32_e32 vcc_lo, 0, v142
	v_cndmask_b32_e32 v142, v154, v144, vcc_lo
; %bb.20:
	s_or_b32 exec_lo, exec_lo, s3
	v_and_b32_e32 v144, 0x7f800000, v151
	s_delay_alu instid0(VALU_DEP_1) | instskip(SKIP_1) | instid1(SALU_CYCLE_1)
	v_cmp_ne_u32_e32 vcc_lo, 0x7f800000, v144
                                        ; implicit-def: $vgpr144
	s_and_saveexec_b32 s3, vcc_lo
	s_xor_b32 s3, exec_lo, s3
; %bb.21:
	v_bfe_u32 v144, v151, 16, 1
	s_delay_alu instid0(VALU_DEP_1)
	v_add3_u32 v144, v151, v144, 0x7fff
                                        ; implicit-def: $vgpr151
; %bb.22:
	s_and_not1_saveexec_b32 s3, s3
; %bb.23:
	v_and_b32_e32 v144, 0xffff, v151
	v_or_b32_e32 v154, 0x10000, v151
	s_delay_alu instid0(VALU_DEP_2) | instskip(NEXT) | instid1(VALU_DEP_2)
	v_cmp_eq_u32_e32 vcc_lo, 0, v144
	v_cndmask_b32_e32 v144, v154, v151, vcc_lo
; %bb.24:
	s_or_b32 exec_lo, exec_lo, s3
	v_and_b32_e32 v151, 0x7f800000, v153
	s_delay_alu instid0(VALU_DEP_1) | instskip(SKIP_1) | instid1(SALU_CYCLE_1)
	v_cmp_ne_u32_e32 vcc_lo, 0x7f800000, v151
                                        ; implicit-def: $vgpr151
	s_and_saveexec_b32 s3, vcc_lo
	s_xor_b32 s3, exec_lo, s3
; %bb.25:
	v_bfe_u32 v151, v153, 16, 1
	s_delay_alu instid0(VALU_DEP_1)
	v_add3_u32 v151, v153, v151, 0x7fff
                                        ; implicit-def: $vgpr153
; %bb.26:
	s_and_not1_saveexec_b32 s3, s3
; %bb.27:
	v_and_b32_e32 v151, 0xffff, v153
	v_or_b32_e32 v154, 0x10000, v153
	s_delay_alu instid0(VALU_DEP_2) | instskip(NEXT) | instid1(VALU_DEP_2)
	v_cmp_eq_u32_e32 vcc_lo, 0, v151
	v_cndmask_b32_e32 v151, v154, v153, vcc_lo
; %bb.28:
	s_or_b32 exec_lo, exec_lo, s3
	v_and_b32_e32 v153, 0x7f800000, v152
	s_delay_alu instid0(VALU_DEP_1) | instskip(SKIP_1) | instid1(SALU_CYCLE_1)
	v_cmp_ne_u32_e32 vcc_lo, 0x7f800000, v153
                                        ; implicit-def: $vgpr153
	s_and_saveexec_b32 s3, vcc_lo
	s_xor_b32 s3, exec_lo, s3
; %bb.29:
	v_bfe_u32 v153, v152, 16, 1
	s_delay_alu instid0(VALU_DEP_1)
	v_add3_u32 v153, v152, v153, 0x7fff
                                        ; implicit-def: $vgpr152
; %bb.30:
	s_and_not1_saveexec_b32 s3, s3
; %bb.31:
	v_and_b32_e32 v153, 0xffff, v152
	v_or_b32_e32 v154, 0x10000, v152
	s_delay_alu instid0(VALU_DEP_2) | instskip(NEXT) | instid1(VALU_DEP_2)
	v_cmp_eq_u32_e32 vcc_lo, 0, v153
	v_cndmask_b32_e32 v153, v154, v152, vcc_lo
; %bb.32:
	s_or_b32 exec_lo, exec_lo, s3
	v_and_b32_e32 v152, 0x7f800000, v150
	s_delay_alu instid0(VALU_DEP_1) | instskip(SKIP_1) | instid1(SALU_CYCLE_1)
	v_cmp_ne_u32_e32 vcc_lo, 0x7f800000, v152
                                        ; implicit-def: $vgpr152
	s_and_saveexec_b32 s3, vcc_lo
	s_xor_b32 s3, exec_lo, s3
; %bb.33:
	v_bfe_u32 v152, v150, 16, 1
	s_delay_alu instid0(VALU_DEP_1)
	v_add3_u32 v152, v150, v152, 0x7fff
                                        ; implicit-def: $vgpr150
; %bb.34:
	s_and_not1_saveexec_b32 s3, s3
; %bb.35:
	v_and_b32_e32 v152, 0xffff, v150
	v_or_b32_e32 v154, 0x10000, v150
	s_delay_alu instid0(VALU_DEP_2) | instskip(NEXT) | instid1(VALU_DEP_2)
	v_cmp_eq_u32_e32 vcc_lo, 0, v152
	v_cndmask_b32_e32 v152, v154, v150, vcc_lo
; %bb.36:
	s_or_b32 exec_lo, exec_lo, s3
	v_and_b32_e32 v150, 0x7f800000, v143
	s_delay_alu instid0(VALU_DEP_1) | instskip(SKIP_1) | instid1(SALU_CYCLE_1)
	v_cmp_ne_u32_e32 vcc_lo, 0x7f800000, v150
                                        ; implicit-def: $vgpr150
	s_and_saveexec_b32 s3, vcc_lo
	s_xor_b32 s3, exec_lo, s3
; %bb.37:
	v_bfe_u32 v150, v143, 16, 1
	s_delay_alu instid0(VALU_DEP_1)
	v_add3_u32 v150, v143, v150, 0x7fff
                                        ; implicit-def: $vgpr143
; %bb.38:
	s_and_not1_saveexec_b32 s3, s3
; %bb.39:
	v_and_b32_e32 v150, 0xffff, v143
	v_or_b32_e32 v154, 0x10000, v143
	s_delay_alu instid0(VALU_DEP_2) | instskip(NEXT) | instid1(VALU_DEP_2)
	v_cmp_eq_u32_e32 vcc_lo, 0, v150
	v_cndmask_b32_e32 v150, v154, v143, vcc_lo
; %bb.40:
	s_or_b32 exec_lo, exec_lo, s3
	v_and_b32_e32 v143, 0x7f800000, v140
	s_delay_alu instid0(VALU_DEP_1) | instskip(SKIP_1) | instid1(SALU_CYCLE_1)
	v_cmp_ne_u32_e32 vcc_lo, 0x7f800000, v143
                                        ; implicit-def: $vgpr143
	s_and_saveexec_b32 s3, vcc_lo
	s_xor_b32 s3, exec_lo, s3
; %bb.41:
	v_bfe_u32 v143, v140, 16, 1
	s_delay_alu instid0(VALU_DEP_1)
	v_add3_u32 v143, v140, v143, 0x7fff
                                        ; implicit-def: $vgpr140
; %bb.42:
	s_and_not1_saveexec_b32 s3, s3
; %bb.43:
	v_and_b32_e32 v143, 0xffff, v140
	v_or_b32_e32 v154, 0x10000, v140
	s_delay_alu instid0(VALU_DEP_2) | instskip(NEXT) | instid1(VALU_DEP_2)
	v_cmp_eq_u32_e32 vcc_lo, 0, v143
	v_cndmask_b32_e32 v143, v154, v140, vcc_lo
; %bb.44:
	s_or_b32 exec_lo, exec_lo, s3
	s_load_b64 s[34:35], s[0:1], 0x94
	v_dual_mul_f32 v138, v139, v138 :: v_dual_lshlrev_b32 v155, 4, v147
	s_delay_alu instid0(VALU_DEP_2)
	v_perm_b32 v154, v143, v150, 0x7060302
	v_dual_mul_f32 v143, v139, v131 :: v_dual_lshlrev_b32 v140, 6, v149
	v_lshlrev_b32_e32 v149, 11, v148
	v_perm_b32 v153, v152, v153, 0x7060302
	v_perm_b32 v152, v151, v144, 0x7060302
	;; [unrolled: 1-line block ×3, first 2 shown]
	v_mul_f32_e32 v142, v139, v133
	v_or3_b32 v131, v155, v149, v140
	v_dual_mul_f32 v137, v139, v137 :: v_dual_and_b32 v144, 0x7f800000, v143
	v_mul_f32_e32 v136, v139, v136
	v_mul_f32_e32 v135, v139, v135
	;; [unrolled: 1-line block ×4, first 2 shown]
	s_mov_b32 s3, exec_lo
	ds_store_b128 v131, v[151:154]
                                        ; implicit-def: $vgpr132
	v_cmpx_ne_u32_e32 0x7f800000, v144
	s_xor_b32 s3, exec_lo, s3
; %bb.45:
	v_bfe_u32 v132, v143, 16, 1
	s_delay_alu instid0(VALU_DEP_1)
	v_add3_u32 v132, v143, v132, 0x7fff
                                        ; implicit-def: $vgpr143
; %bb.46:
	s_and_not1_saveexec_b32 s3, s3
; %bb.47:
	v_and_b32_e32 v132, 0xffff, v143
	v_or_b32_e32 v133, 0x10000, v143
	s_delay_alu instid0(VALU_DEP_2) | instskip(NEXT) | instid1(VALU_DEP_2)
	v_cmp_eq_u32_e32 vcc_lo, 0, v132
	v_cndmask_b32_e32 v132, v133, v143, vcc_lo
; %bb.48:
	s_or_b32 exec_lo, exec_lo, s3
	v_and_b32_e32 v133, 0x7f800000, v134
	s_delay_alu instid0(VALU_DEP_1) | instskip(SKIP_1) | instid1(SALU_CYCLE_1)
	v_cmp_ne_u32_e32 vcc_lo, 0x7f800000, v133
                                        ; implicit-def: $vgpr133
	s_and_saveexec_b32 s3, vcc_lo
	s_xor_b32 s3, exec_lo, s3
; %bb.49:
	v_bfe_u32 v133, v134, 16, 1
	s_delay_alu instid0(VALU_DEP_1)
	v_add3_u32 v133, v134, v133, 0x7fff
                                        ; implicit-def: $vgpr134
; %bb.50:
	s_and_not1_saveexec_b32 s3, s3
; %bb.51:
	v_and_b32_e32 v133, 0xffff, v134
	v_or_b32_e32 v139, 0x10000, v134
	s_delay_alu instid0(VALU_DEP_2) | instskip(NEXT) | instid1(VALU_DEP_2)
	v_cmp_eq_u32_e32 vcc_lo, 0, v133
	v_cndmask_b32_e32 v133, v139, v134, vcc_lo
; %bb.52:
	s_or_b32 exec_lo, exec_lo, s3
	v_and_b32_e32 v134, 0x7f800000, v142
	s_delay_alu instid0(VALU_DEP_1) | instskip(SKIP_1) | instid1(SALU_CYCLE_1)
	v_cmp_ne_u32_e32 vcc_lo, 0x7f800000, v134
                                        ; implicit-def: $vgpr134
	s_and_saveexec_b32 s3, vcc_lo
	s_xor_b32 s3, exec_lo, s3
; %bb.53:
	v_bfe_u32 v134, v142, 16, 1
	s_delay_alu instid0(VALU_DEP_1)
	v_add3_u32 v134, v142, v134, 0x7fff
                                        ; implicit-def: $vgpr142
; %bb.54:
	s_and_not1_saveexec_b32 s3, s3
; %bb.55:
	v_and_b32_e32 v134, 0xffff, v142
	v_or_b32_e32 v139, 0x10000, v142
	s_delay_alu instid0(VALU_DEP_2) | instskip(NEXT) | instid1(VALU_DEP_2)
	v_cmp_eq_u32_e32 vcc_lo, 0, v134
	v_cndmask_b32_e32 v134, v139, v142, vcc_lo
; %bb.56:
	s_or_b32 exec_lo, exec_lo, s3
	v_and_b32_e32 v139, 0x7f800000, v141
	s_delay_alu instid0(VALU_DEP_1) | instskip(SKIP_1) | instid1(SALU_CYCLE_1)
	v_cmp_ne_u32_e32 vcc_lo, 0x7f800000, v139
                                        ; implicit-def: $vgpr139
	s_and_saveexec_b32 s3, vcc_lo
	s_xor_b32 s3, exec_lo, s3
; %bb.57:
	v_bfe_u32 v139, v141, 16, 1
	s_delay_alu instid0(VALU_DEP_1)
	v_add3_u32 v139, v141, v139, 0x7fff
                                        ; implicit-def: $vgpr141
; %bb.58:
	s_and_not1_saveexec_b32 s3, s3
; %bb.59:
	v_and_b32_e32 v139, 0xffff, v141
	v_or_b32_e32 v142, 0x10000, v141
	s_delay_alu instid0(VALU_DEP_2) | instskip(NEXT) | instid1(VALU_DEP_2)
	v_cmp_eq_u32_e32 vcc_lo, 0, v139
	v_cndmask_b32_e32 v139, v142, v141, vcc_lo
; %bb.60:
	s_or_b32 exec_lo, exec_lo, s3
	v_and_b32_e32 v141, 0x7f800000, v135
	s_delay_alu instid0(VALU_DEP_1) | instskip(SKIP_1) | instid1(SALU_CYCLE_1)
	v_cmp_ne_u32_e32 vcc_lo, 0x7f800000, v141
                                        ; implicit-def: $vgpr141
	s_and_saveexec_b32 s3, vcc_lo
	s_xor_b32 s3, exec_lo, s3
; %bb.61:
	v_bfe_u32 v141, v135, 16, 1
	s_delay_alu instid0(VALU_DEP_1)
	v_add3_u32 v141, v135, v141, 0x7fff
                                        ; implicit-def: $vgpr135
; %bb.62:
	s_and_not1_saveexec_b32 s3, s3
; %bb.63:
	v_and_b32_e32 v141, 0xffff, v135
	v_or_b32_e32 v142, 0x10000, v135
	s_delay_alu instid0(VALU_DEP_2) | instskip(NEXT) | instid1(VALU_DEP_2)
	v_cmp_eq_u32_e32 vcc_lo, 0, v141
	v_cndmask_b32_e32 v141, v142, v135, vcc_lo
; %bb.64:
	s_or_b32 exec_lo, exec_lo, s3
	v_and_b32_e32 v135, 0x7f800000, v136
	s_delay_alu instid0(VALU_DEP_1) | instskip(SKIP_1) | instid1(SALU_CYCLE_1)
	v_cmp_ne_u32_e32 vcc_lo, 0x7f800000, v135
                                        ; implicit-def: $vgpr135
	s_and_saveexec_b32 s3, vcc_lo
	s_xor_b32 s3, exec_lo, s3
; %bb.65:
	v_bfe_u32 v135, v136, 16, 1
	s_delay_alu instid0(VALU_DEP_1)
	v_add3_u32 v135, v136, v135, 0x7fff
                                        ; implicit-def: $vgpr136
; %bb.66:
	s_and_not1_saveexec_b32 s3, s3
; %bb.67:
	v_and_b32_e32 v135, 0xffff, v136
	v_or_b32_e32 v142, 0x10000, v136
	s_delay_alu instid0(VALU_DEP_2) | instskip(NEXT) | instid1(VALU_DEP_2)
	v_cmp_eq_u32_e32 vcc_lo, 0, v135
	v_cndmask_b32_e32 v135, v142, v136, vcc_lo
; %bb.68:
	s_or_b32 exec_lo, exec_lo, s3
	v_and_b32_e32 v136, 0x7f800000, v137
	s_delay_alu instid0(VALU_DEP_1) | instskip(SKIP_1) | instid1(SALU_CYCLE_1)
	v_cmp_ne_u32_e32 vcc_lo, 0x7f800000, v136
                                        ; implicit-def: $vgpr136
	s_and_saveexec_b32 s3, vcc_lo
	s_xor_b32 s3, exec_lo, s3
; %bb.69:
	v_bfe_u32 v136, v137, 16, 1
	s_delay_alu instid0(VALU_DEP_1)
	v_add3_u32 v136, v137, v136, 0x7fff
                                        ; implicit-def: $vgpr137
; %bb.70:
	s_and_not1_saveexec_b32 s3, s3
; %bb.71:
	v_and_b32_e32 v136, 0xffff, v137
	v_or_b32_e32 v142, 0x10000, v137
	s_delay_alu instid0(VALU_DEP_2) | instskip(NEXT) | instid1(VALU_DEP_2)
	v_cmp_eq_u32_e32 vcc_lo, 0, v136
	v_cndmask_b32_e32 v136, v142, v137, vcc_lo
; %bb.72:
	s_or_b32 exec_lo, exec_lo, s3
	v_and_b32_e32 v137, 0x7f800000, v138
	s_delay_alu instid0(VALU_DEP_1) | instskip(SKIP_1) | instid1(SALU_CYCLE_1)
	v_cmp_ne_u32_e32 vcc_lo, 0x7f800000, v137
                                        ; implicit-def: $vgpr137
	s_and_saveexec_b32 s3, vcc_lo
	s_xor_b32 s3, exec_lo, s3
; %bb.73:
	v_bfe_u32 v137, v138, 16, 1
	s_delay_alu instid0(VALU_DEP_1)
	v_add3_u32 v137, v138, v137, 0x7fff
                                        ; implicit-def: $vgpr138
; %bb.74:
	s_and_not1_saveexec_b32 s3, s3
; %bb.75:
	v_and_b32_e32 v137, 0xffff, v138
	v_or_b32_e32 v142, 0x10000, v138
	s_delay_alu instid0(VALU_DEP_2) | instskip(NEXT) | instid1(VALU_DEP_2)
	v_cmp_eq_u32_e32 vcc_lo, 0, v137
	v_cndmask_b32_e32 v137, v142, v138, vcc_lo
; %bb.76:
	s_or_b32 exec_lo, exec_lo, s3
	s_delay_alu instid0(VALU_DEP_1)
	v_perm_b32 v136, v137, v136, 0x7060302
	v_perm_b32 v135, v135, v141, 0x7060302
	;; [unrolled: 1-line block ×4, first 2 shown]
	v_lshl_or_b32 v141, v148, 11, v140
	ds_store_b128 v131, v[133:136] offset:1024
	s_waitcnt lgkmcnt(0)
	s_barrier
	buffer_gl0_inv
	ds_load_b128 v[132:135], v141
	ds_load_b128 v[148:151], v141 offset:16
	s_waitcnt lgkmcnt(1)
	v_lshrrev_b32_e32 v160, 16, v134
	v_lshlrev_b32_e32 v138, 2, v147
	v_lshrrev_b32_e32 v136, 16, v132
	v_lshrrev_b32_e32 v144, 16, v133
	s_waitcnt lgkmcnt(0)
	v_lshrrev_b32_e32 v143, 16, v148
	v_lshrrev_b32_e32 v161, 16, v149
	v_or_b32_e32 v139, 1, v138
	v_lshrrev_b32_e32 v163, 16, v150
	v_lshrrev_b32_e32 v164, 16, v151
	v_lshrrev_b32_e32 v162, 16, v135
	s_delay_alu instid0(VALU_DEP_4)
	v_cmp_eq_u32_e64 s7, 1, v139
	v_cmp_eq_u32_e64 s6, 2, v139
	;; [unrolled: 1-line block ×4, first 2 shown]
	v_cmp_eq_u32_e32 vcc_lo, 5, v139
	v_cndmask_b32_e64 v153, v132, v136, s7
	v_cndmask_b32_e64 v154, v148, v143, s7
	v_cmp_eq_u32_e64 s4, 6, v139
	v_cmp_eq_u32_e64 s19, 7, v139
	s_delay_alu instid0(VALU_DEP_4) | instskip(NEXT) | instid1(VALU_DEP_4)
	v_cndmask_b32_e64 v153, v153, v133, s6
	v_cndmask_b32_e64 v154, v154, v149, s6
	s_delay_alu instid0(VALU_DEP_2) | instskip(NEXT) | instid1(VALU_DEP_2)
	v_cndmask_b32_e64 v153, v153, v144, s5
	v_cndmask_b32_e64 v154, v154, v161, s5
	s_delay_alu instid0(VALU_DEP_2) | instskip(NEXT) | instid1(VALU_DEP_2)
	v_cndmask_b32_e64 v153, v153, v134, s3
	v_cndmask_b32_e64 v154, v154, v150, s3
	s_delay_alu instid0(VALU_DEP_2)
	v_cndmask_b32_e32 v153, v153, v160, vcc_lo
	v_cmp_eq_u32_e64 s12, 1, v138
	v_cmp_eq_u32_e64 s11, 2, v138
	;; [unrolled: 1-line block ×3, first 2 shown]
	v_or_b32_e32 v137, 2, v138
	v_cmp_eq_u32_e64 s17, 4, v138
	v_cndmask_b32_e64 v152, v148, v143, s12
	v_cndmask_b32_e64 v142, v132, v136, s12
	v_cmp_eq_u32_e64 s13, 5, v138
	v_cmp_eq_u32_e64 s8, 1, v137
	;; [unrolled: 1-line block ×3, first 2 shown]
	v_cndmask_b32_e64 v152, v152, v149, s11
	v_cndmask_b32_e64 v142, v142, v133, s11
	v_cmp_eq_u32_e64 s10, 2, v137
	v_cndmask_b32_e64 v155, v132, v136, s8
	v_cmp_eq_u32_e64 s9, 7, v138
	v_cndmask_b32_e64 v152, v152, v161, s16
	v_cndmask_b32_e64 v142, v142, v144, s16
	v_cmp_eq_u32_e64 s18, 3, v137
	v_cndmask_b32_e64 v155, v155, v133, s10
	v_cndmask_b32_e64 v153, v153, v135, s4
	;; [unrolled: 1-line block ×4, first 2 shown]
	v_cmp_eq_u32_e64 s20, 4, v137
	v_cndmask_b32_e64 v155, v155, v144, s18
	v_cndmask_b32_e64 v167, v153, v162, s19
	;; [unrolled: 1-line block ×4, first 2 shown]
	v_cndmask_b32_e32 v156, v154, v163, vcc_lo
	v_cndmask_b32_e64 v158, v155, v134, s20
	v_cmp_eq_u32_e64 s22, 5, v137
	v_cndmask_b32_e64 v152, v152, v151, s15
	v_cndmask_b32_e64 v142, v142, v135, s15
	v_cmp_eq_u32_e64 s25, 6, v137
	v_cmp_eq_u32_e64 s27, 7, v137
	v_cndmask_b32_e64 v168, v158, v160, s22
	v_cndmask_b32_e64 v166, v152, v164, s9
	v_cndmask_b32_e64 v152, v148, v143, s8
	v_cndmask_b32_e64 v165, v142, v162, s9
	v_or_b32_e32 v142, 3, v138
	s_delay_alu instid0(VALU_DEP_3)
	v_cndmask_b32_e64 v157, v152, v149, s10
	ds_load_b128 v[152:155], v141 offset:1024
	v_cmp_eq_u32_e64 s21, 1, v142
	v_cmp_eq_u32_e64 s23, 2, v142
	;; [unrolled: 1-line block ×3, first 2 shown]
	v_cndmask_b32_e64 v157, v157, v161, s18
	v_cmp_eq_u32_e64 s26, 4, v142
	v_cndmask_b32_e64 v132, v132, v136, s21
	v_cndmask_b32_e64 v136, v156, v151, s4
	;; [unrolled: 1-line block ×4, first 2 shown]
	ds_load_b128 v[156:159], v141 offset:1040
	v_cndmask_b32_e64 v132, v132, v133, s23
	v_cmp_eq_u32_e64 s28, 5, v142
	v_cndmask_b32_e64 v143, v143, v149, s23
	v_cmp_eq_u32_e64 s29, 6, v142
	v_cndmask_b32_e64 v133, v169, v163, s22
	v_cndmask_b32_e64 v132, v132, v144, s24
	v_cndmask_b32_e64 v144, v168, v135, s25
	v_cndmask_b32_e64 v143, v143, v161, s24
	v_cndmask_b32_e64 v136, v136, v164, s19
	s_waitcnt lgkmcnt(1)
	v_lshrrev_b32_e32 v148, 16, v152
	v_cndmask_b32_e64 v132, v132, v134, s26
	v_cndmask_b32_e64 v133, v133, v151, s25
	;; [unrolled: 1-line block ×3, first 2 shown]
	v_lshrrev_b32_e32 v150, 16, v153
	v_cndmask_b32_e64 v143, v152, v148, s12
	v_cndmask_b32_e64 v132, v132, v160, s28
	;; [unrolled: 1-line block ×5, first 2 shown]
	s_waitcnt lgkmcnt(0)
	v_lshrrev_b32_e32 v149, 16, v156
	v_cndmask_b32_e64 v143, v143, v153, s11
	v_cndmask_b32_e64 v132, v132, v135, s29
	v_cndmask_b32_e64 v134, v134, v151, s29
	v_lshrrev_b32_e32 v163, 16, v158
	v_cndmask_b32_e64 v161, v156, v149, s12
	v_cndmask_b32_e64 v135, v143, v150, s16
	;; [unrolled: 1-line block ×3, first 2 shown]
	v_lshrrev_b32_e32 v160, 16, v157
	v_cndmask_b32_e64 v133, v133, v164, s27
	v_cndmask_b32_e64 v151, v161, v157, s11
	v_cmp_eq_u32_e64 s11, 7, v142
	v_cndmask_b32_e64 v143, v143, v150, s5
	v_cndmask_b32_e64 v135, v135, v154, s17
	v_lshrrev_b32_e32 v161, 16, v154
	v_cndmask_b32_e64 v151, v151, v160, s16
	v_cndmask_b32_e64 v132, v132, v162, s11
	;; [unrolled: 1-line block ×6, first 2 shown]
	s_delay_alu instid0(VALU_DEP_4) | instskip(NEXT) | instid1(VALU_DEP_4)
	v_perm_b32 v135, v134, v132, 0x5040100
	v_cndmask_b32_e32 v132, v143, v161, vcc_lo
	s_delay_alu instid0(VALU_DEP_4)
	v_cndmask_b32_e64 v143, v162, v155, s15
	v_lshrrev_b32_e32 v162, 16, v155
	v_cndmask_b32_e64 v151, v151, v163, s13
	v_perm_b32 v134, v133, v144, 0x5040100
	v_cndmask_b32_e64 v132, v132, v155, s4
	v_perm_b32 v133, v136, v167, 0x5040100
	v_cndmask_b32_e64 v136, v143, v162, s9
	v_cndmask_b32_e64 v143, v151, v159, s15
	;; [unrolled: 1-line block ×13, first 2 shown]
	v_lshrrev_b32_e32 v144, 16, v159
	v_cndmask_b32_e64 v132, v132, v150, s18
	v_cndmask_b32_e64 v148, v148, v150, s24
	;; [unrolled: 1-line block ×14, first 2 shown]
	v_cndmask_b32_e32 v149, v149, v163, vcc_lo
	v_cndmask_b32_e64 v132, v132, v155, s25
	v_cndmask_b32_e64 v148, v148, v155, s29
	;; [unrolled: 1-line block ×11, first 2 shown]
	v_perm_b32 v132, v166, v165, 0x5040100
	v_perm_b32 v151, v150, v148, 0x5040100
	;; [unrolled: 1-line block ×5, first 2 shown]
	s_lshl_b32 s8, s35, 3
	s_mov_b32 s3, exec_lo
	ds_store_b128 v131, v[132:135]
	ds_store_b128 v131, v[148:151] offset:1024
	v_cmpx_gt_u32_e32 8, v0
	s_cbranch_execz .LBB393_78
; %bb.77:
	v_or_b32_e32 v131, s31, v0
	s_load_b128 s[4:7], s[0:1], 0x58
	s_delay_alu instid0(VALU_DEP_1) | instskip(NEXT) | instid1(VALU_DEP_1)
	v_mad_u64_u32 v[132:133], null, s8, s30, v[131:132]
	v_mad_u64_u32 v[133:134], null, v132, s34, s[14:15]
	s_delay_alu instid0(VALU_DEP_1) | instskip(NEXT) | instid1(VALU_DEP_1)
	v_ashrrev_i32_e32 v134, 31, v133
	v_lshlrev_b64 v[131:132], 2, v[133:134]
	s_waitcnt lgkmcnt(0)
	s_delay_alu instid0(VALU_DEP_1) | instskip(NEXT) | instid1(VALU_DEP_2)
	v_add_co_u32 v133, vcc_lo, s6, v131
	v_add_co_ci_u32_e32 v134, vcc_lo, s7, v132, vcc_lo
	v_add_co_u32 v131, vcc_lo, s4, v131
	v_add_co_ci_u32_e32 v132, vcc_lo, s5, v132, vcc_lo
	global_store_b32 v[133:134], v129, off
	global_store_b32 v[131:132], v130, off
.LBB393_78:
	s_or_b32 exec_lo, exec_lo, s3
	s_waitcnt lgkmcnt(0)
	s_waitcnt_vscnt null, 0x0
	s_barrier
	buffer_gl0_inv
	ds_load_b128 v[148:151], v140
	ds_load_b128 v[152:155], v140 offset:16
	ds_load_b128 v[160:163], v140 offset:1040
	;; [unrolled: 1-line block ×3, first 2 shown]
	v_mov_b32_e32 v129, 0
	ds_load_b128 v[168:171], v140 offset:2064
	ds_load_b128 v[164:167], v140 offset:2048
	;; [unrolled: 1-line block ×6, first 2 shown]
	v_mov_b32_e32 v130, v129
	v_mov_b32_e32 v131, v129
	v_mov_b32_e32 v132, v129
	v_mov_b32_e32 v133, v129
	v_mov_b32_e32 v134, v129
	v_mov_b32_e32 v135, v129
	v_mov_b32_e32 v136, v129
	s_waitcnt lgkmcnt(8)
	s_delay_alu instid0(VALU_DEP_1)
	v_wmma_f32_16x16x16_bf16 v[129:136], v[121:128], v[148:155], v[129:136]
	ds_load_b128 v[125:128], v140 offset:5136
	ds_load_b128 v[121:124], v140 offset:5120
	s_waitcnt lgkmcnt(8)
	v_wmma_f32_16x16x16_bf16 v[129:136], v[113:120], v[156:163], v[129:136]
	ds_load_b128 v[117:120], v140 offset:6160
	ds_load_b128 v[113:116], v140 offset:6144
	s_waitcnt lgkmcnt(8)
	;; [unrolled: 4-line block ×8, first 2 shown]
	v_wmma_f32_16x16x16_bf16 v[129:136], v[65:72], v[97:104], v[129:136]
	s_waitcnt lgkmcnt(6)
	s_delay_alu instid0(VALU_DEP_1)
	v_wmma_f32_16x16x16_bf16 v[129:136], v[49:56], v[89:96], v[129:136]
	ds_load_b128 v[53:56], v140 offset:13328
	ds_load_b128 v[49:52], v140 offset:13312
	s_waitcnt lgkmcnt(6)
	v_wmma_f32_16x16x16_bf16 v[129:136], v[41:48], v[81:88], v[129:136]
	ds_load_b128 v[45:48], v140 offset:14352
	ds_load_b128 v[41:44], v140 offset:14336
	s_waitcnt lgkmcnt(6)
	;; [unrolled: 4-line block ×3, first 2 shown]
	v_wmma_f32_16x16x16_bf16 v[129:136], v[1:8], v[57:64], v[129:136]
	s_waitcnt lgkmcnt(4)
	s_delay_alu instid0(VALU_DEP_1) | instskip(SKIP_1) | instid1(VALU_DEP_1)
	v_wmma_f32_16x16x16_bf16 v[129:136], v[25:32], v[49:56], v[129:136]
	s_waitcnt lgkmcnt(2)
	v_wmma_f32_16x16x16_bf16 v[129:136], v[33:40], v[41:48], v[129:136]
	s_waitcnt lgkmcnt(0)
	s_delay_alu instid0(VALU_DEP_1) | instskip(NEXT) | instid1(VALU_DEP_1)
	v_wmma_f32_16x16x16_bf16 v[129:136], v[9:16], v[17:24], v[129:136]
	v_and_b32_e32 v1, 0x7f800000, v129
	s_delay_alu instid0(VALU_DEP_1) | instskip(SKIP_1) | instid1(SALU_CYCLE_1)
	v_cmp_ne_u32_e32 vcc_lo, 0x7f800000, v1
                                        ; implicit-def: $vgpr1
	s_and_saveexec_b32 s3, vcc_lo
	s_xor_b32 s3, exec_lo, s3
; %bb.79:
	v_bfe_u32 v1, v129, 16, 1
	s_delay_alu instid0(VALU_DEP_1)
	v_add3_u32 v1, v129, v1, 0x7fff
; %bb.80:
	s_and_not1_saveexec_b32 s3, s3
; %bb.81:
	v_and_b32_e32 v1, 0xffff, v129
	v_or_b32_e32 v2, 0x10000, v129
	s_delay_alu instid0(VALU_DEP_2) | instskip(NEXT) | instid1(VALU_DEP_2)
	v_cmp_eq_u32_e32 vcc_lo, 0, v1
	v_cndmask_b32_e32 v1, v2, v129, vcc_lo
; %bb.82:
	s_or_b32 exec_lo, exec_lo, s3
	v_and_b32_e32 v2, 0x7f800000, v130
	s_delay_alu instid0(VALU_DEP_1) | instskip(SKIP_1) | instid1(SALU_CYCLE_1)
	v_cmp_ne_u32_e32 vcc_lo, 0x7f800000, v2
                                        ; implicit-def: $vgpr2
	s_and_saveexec_b32 s3, vcc_lo
	s_xor_b32 s3, exec_lo, s3
; %bb.83:
	v_bfe_u32 v2, v130, 16, 1
	s_delay_alu instid0(VALU_DEP_1)
	v_add3_u32 v2, v130, v2, 0x7fff
; %bb.84:
	s_and_not1_saveexec_b32 s3, s3
; %bb.85:
	v_and_b32_e32 v2, 0xffff, v130
	v_or_b32_e32 v3, 0x10000, v130
	s_delay_alu instid0(VALU_DEP_2) | instskip(NEXT) | instid1(VALU_DEP_2)
	v_cmp_eq_u32_e32 vcc_lo, 0, v2
	v_cndmask_b32_e32 v2, v3, v130, vcc_lo
; %bb.86:
	s_or_b32 exec_lo, exec_lo, s3
	v_and_b32_e32 v3, 0x7f800000, v131
	s_delay_alu instid0(VALU_DEP_1) | instskip(SKIP_1) | instid1(SALU_CYCLE_1)
	v_cmp_ne_u32_e32 vcc_lo, 0x7f800000, v3
                                        ; implicit-def: $vgpr3
	s_and_saveexec_b32 s3, vcc_lo
	s_xor_b32 s3, exec_lo, s3
; %bb.87:
	v_bfe_u32 v3, v131, 16, 1
	s_delay_alu instid0(VALU_DEP_1)
	v_add3_u32 v3, v131, v3, 0x7fff
; %bb.88:
	s_and_not1_saveexec_b32 s3, s3
; %bb.89:
	v_and_b32_e32 v3, 0xffff, v131
	v_or_b32_e32 v4, 0x10000, v131
	s_delay_alu instid0(VALU_DEP_2) | instskip(NEXT) | instid1(VALU_DEP_2)
	v_cmp_eq_u32_e32 vcc_lo, 0, v3
	v_cndmask_b32_e32 v3, v4, v131, vcc_lo
; %bb.90:
	s_or_b32 exec_lo, exec_lo, s3
	v_and_b32_e32 v4, 0x7f800000, v132
	s_delay_alu instid0(VALU_DEP_1) | instskip(SKIP_1) | instid1(SALU_CYCLE_1)
	v_cmp_ne_u32_e32 vcc_lo, 0x7f800000, v4
                                        ; implicit-def: $vgpr4
	s_and_saveexec_b32 s3, vcc_lo
	s_xor_b32 s3, exec_lo, s3
; %bb.91:
	v_bfe_u32 v4, v132, 16, 1
	s_delay_alu instid0(VALU_DEP_1)
	v_add3_u32 v4, v132, v4, 0x7fff
; %bb.92:
	s_and_not1_saveexec_b32 s3, s3
; %bb.93:
	v_and_b32_e32 v4, 0xffff, v132
	v_or_b32_e32 v5, 0x10000, v132
	s_delay_alu instid0(VALU_DEP_2) | instskip(NEXT) | instid1(VALU_DEP_2)
	v_cmp_eq_u32_e32 vcc_lo, 0, v4
	v_cndmask_b32_e32 v4, v5, v132, vcc_lo
; %bb.94:
	s_or_b32 exec_lo, exec_lo, s3
	v_and_b32_e32 v5, 0x7f800000, v133
	s_delay_alu instid0(VALU_DEP_1) | instskip(SKIP_1) | instid1(SALU_CYCLE_1)
	v_cmp_ne_u32_e32 vcc_lo, 0x7f800000, v5
                                        ; implicit-def: $vgpr5
	s_and_saveexec_b32 s3, vcc_lo
	s_xor_b32 s3, exec_lo, s3
; %bb.95:
	v_bfe_u32 v5, v133, 16, 1
	s_delay_alu instid0(VALU_DEP_1)
	v_add3_u32 v5, v133, v5, 0x7fff
; %bb.96:
	s_and_not1_saveexec_b32 s3, s3
; %bb.97:
	v_and_b32_e32 v5, 0xffff, v133
	v_or_b32_e32 v6, 0x10000, v133
	s_delay_alu instid0(VALU_DEP_2) | instskip(NEXT) | instid1(VALU_DEP_2)
	v_cmp_eq_u32_e32 vcc_lo, 0, v5
	v_cndmask_b32_e32 v5, v6, v133, vcc_lo
; %bb.98:
	s_or_b32 exec_lo, exec_lo, s3
	v_and_b32_e32 v6, 0x7f800000, v134
	s_delay_alu instid0(VALU_DEP_1) | instskip(SKIP_1) | instid1(SALU_CYCLE_1)
	v_cmp_ne_u32_e32 vcc_lo, 0x7f800000, v6
                                        ; implicit-def: $vgpr6
	s_and_saveexec_b32 s3, vcc_lo
	s_xor_b32 s3, exec_lo, s3
; %bb.99:
	v_bfe_u32 v6, v134, 16, 1
	s_delay_alu instid0(VALU_DEP_1)
	v_add3_u32 v6, v134, v6, 0x7fff
; %bb.100:
	s_and_not1_saveexec_b32 s3, s3
; %bb.101:
	v_and_b32_e32 v6, 0xffff, v134
	v_or_b32_e32 v7, 0x10000, v134
	s_delay_alu instid0(VALU_DEP_2) | instskip(NEXT) | instid1(VALU_DEP_2)
	v_cmp_eq_u32_e32 vcc_lo, 0, v6
	v_cndmask_b32_e32 v6, v7, v134, vcc_lo
; %bb.102:
	s_or_b32 exec_lo, exec_lo, s3
	v_and_b32_e32 v7, 0x7f800000, v135
	s_delay_alu instid0(VALU_DEP_1) | instskip(SKIP_1) | instid1(SALU_CYCLE_1)
	v_cmp_ne_u32_e32 vcc_lo, 0x7f800000, v7
                                        ; implicit-def: $vgpr7
	s_and_saveexec_b32 s3, vcc_lo
	s_xor_b32 s3, exec_lo, s3
; %bb.103:
	v_bfe_u32 v7, v135, 16, 1
	s_delay_alu instid0(VALU_DEP_1)
	v_add3_u32 v7, v135, v7, 0x7fff
; %bb.104:
	s_and_not1_saveexec_b32 s3, s3
; %bb.105:
	v_and_b32_e32 v7, 0xffff, v135
	v_or_b32_e32 v8, 0x10000, v135
	s_delay_alu instid0(VALU_DEP_2) | instskip(NEXT) | instid1(VALU_DEP_2)
	v_cmp_eq_u32_e32 vcc_lo, 0, v7
	v_cndmask_b32_e32 v7, v8, v135, vcc_lo
; %bb.106:
	s_or_b32 exec_lo, exec_lo, s3
	v_and_b32_e32 v8, 0x7f800000, v136
	s_delay_alu instid0(VALU_DEP_1) | instskip(SKIP_1) | instid1(SALU_CYCLE_1)
	v_cmp_ne_u32_e32 vcc_lo, 0x7f800000, v8
                                        ; implicit-def: $vgpr8
	s_and_saveexec_b32 s3, vcc_lo
	s_xor_b32 s3, exec_lo, s3
; %bb.107:
	v_bfe_u32 v8, v136, 16, 1
	s_delay_alu instid0(VALU_DEP_1)
	v_add3_u32 v8, v136, v8, 0x7fff
                                        ; implicit-def: $vgpr129_vgpr130_vgpr131_vgpr132_vgpr133_vgpr134_vgpr135_vgpr136
; %bb.108:
	s_and_not1_saveexec_b32 s3, s3
; %bb.109:
	v_and_b32_e32 v8, 0xffff, v136
	v_or_b32_e32 v9, 0x10000, v136
	s_delay_alu instid0(VALU_DEP_2) | instskip(NEXT) | instid1(VALU_DEP_2)
	v_cmp_eq_u32_e32 vcc_lo, 0, v8
	v_cndmask_b32_e32 v8, v9, v136, vcc_lo
; %bb.110:
	s_or_b32 exec_lo, exec_lo, s3
	s_delay_alu instid0(VALU_DEP_1)
	v_perm_b32 v7, v8, v7, 0x7060302
	v_perm_b32 v6, v6, v5, 0x7060302
	;; [unrolled: 1-line block ×4, first 2 shown]
	v_lshl_or_b32 v9, v147, 4, v141
	s_barrier
	buffer_gl0_inv
	v_cmp_eq_u32_e32 vcc_lo, 1, v138
	ds_store_b128 v9, v[4:7]
	s_waitcnt lgkmcnt(0)
	s_barrier
	buffer_gl0_inv
	ds_load_b128 v[1:4], v141
	ds_load_b128 v[5:8], v141 offset:16
	v_cmp_eq_u32_e64 s4, 2, v138
	v_cmp_eq_u32_e64 s3, 1, v139
	;; [unrolled: 1-line block ×5, first 2 shown]
	s_waitcnt lgkmcnt(1)
	v_lshrrev_b32_e32 v10, 16, v1
	s_waitcnt lgkmcnt(0)
	v_lshrrev_b32_e32 v14, 16, v5
	v_lshrrev_b32_e32 v15, 16, v6
	;; [unrolled: 1-line block ×4, first 2 shown]
	v_cndmask_b32_e64 v20, v1, v10, s3
	v_cndmask_b32_e32 v19, v5, v14, vcc_lo
	v_cndmask_b32_e64 v21, v5, v14, s3
	v_lshrrev_b32_e32 v16, 16, v7
	v_cmp_eq_u32_e64 s3, 1, v137
	v_lshrrev_b32_e32 v13, 16, v4
	v_cndmask_b32_e64 v19, v19, v6, s4
	v_lshrrev_b32_e32 v17, 16, v8
	s_delay_alu instid0(VALU_DEP_4) | instskip(SKIP_1) | instid1(VALU_DEP_4)
	v_cndmask_b32_e64 v22, v1, v10, s3
	v_cndmask_b32_e64 v23, v5, v14, s3
	;; [unrolled: 1-line block ×3, first 2 shown]
	v_cndmask_b32_e32 v18, v1, v10, vcc_lo
	v_cmp_eq_u32_e32 vcc_lo, 2, v139
	v_cmp_eq_u32_e64 s3, 2, v142
	v_cndmask_b32_e64 v22, v22, v2, s7
	v_cndmask_b32_e32 v20, v20, v2, vcc_lo
	v_cndmask_b32_e32 v21, v21, v6, vcc_lo
	v_cmp_eq_u32_e32 vcc_lo, 4, v138
	v_cndmask_b32_e32 v19, v19, v7, vcc_lo
	v_cndmask_b32_e64 v18, v18, v2, s4
	v_cmp_eq_u32_e64 s4, 3, v139
	s_delay_alu instid0(VALU_DEP_2) | instskip(NEXT) | instid1(VALU_DEP_2)
	v_cndmask_b32_e64 v18, v18, v11, s5
	v_cndmask_b32_e64 v21, v21, v15, s4
	v_cmp_eq_u32_e64 s5, 5, v138
	s_delay_alu instid0(VALU_DEP_3) | instskip(SKIP_1) | instid1(VALU_DEP_3)
	v_cndmask_b32_e32 v18, v18, v3, vcc_lo
	v_cmp_eq_u32_e32 vcc_lo, 4, v139
	v_cndmask_b32_e64 v19, v19, v16, s5
	s_delay_alu instid0(VALU_DEP_3) | instskip(SKIP_4) | instid1(VALU_DEP_3)
	v_cndmask_b32_e64 v18, v18, v12, s5
	v_cndmask_b32_e32 v21, v21, v7, vcc_lo
	v_cndmask_b32_e64 v20, v20, v11, s4
	v_cmp_eq_u32_e64 s4, 5, v139
	v_cmp_eq_u32_e64 s5, 6, v138
	v_cndmask_b32_e32 v20, v20, v3, vcc_lo
	s_delay_alu instid0(VALU_DEP_3) | instskip(SKIP_1) | instid1(VALU_DEP_4)
	v_cndmask_b32_e64 v21, v21, v16, s4
	v_cmp_eq_u32_e32 vcc_lo, 6, v139
	v_cndmask_b32_e64 v18, v18, v4, s5
	v_cndmask_b32_e64 v19, v19, v8, s5
	;; [unrolled: 1-line block ×3, first 2 shown]
	v_cmp_eq_u32_e64 s4, 1, v142
	v_cmp_eq_u32_e64 s5, 7, v138
	s_delay_alu instid0(VALU_DEP_3) | instskip(NEXT) | instid1(VALU_DEP_3)
	v_cndmask_b32_e32 v20, v20, v4, vcc_lo
	v_cndmask_b32_e64 v1, v1, v10, s4
	v_cndmask_b32_e64 v5, v5, v14, s4
	v_cmp_eq_u32_e64 s4, 3, v137
	v_cndmask_b32_e64 v14, v23, v6, s7
	v_cmp_eq_u32_e64 s7, 3, v142
	v_cndmask_b32_e64 v1, v1, v2, s3
	v_cndmask_b32_e64 v2, v5, v6, s3
	;; [unrolled: 1-line block ×3, first 2 shown]
	v_cmp_eq_u32_e64 s3, 4, v137
	v_cndmask_b32_e64 v6, v14, v15, s4
	v_cndmask_b32_e64 v1, v1, v11, s7
	v_cmp_eq_u32_e64 s4, 4, v142
	v_cndmask_b32_e64 v2, v2, v15, s7
	v_cndmask_b32_e64 v5, v10, v3, s3
	v_cmp_eq_u32_e64 s7, 5, v137
	v_cndmask_b32_e64 v6, v6, v7, s3
	v_cndmask_b32_e64 v1, v1, v3, s4
	v_cndmask_b32_e64 v2, v2, v7, s4
	v_cmp_eq_u32_e64 s3, 5, v142
	v_cndmask_b32_e64 v5, v5, v12, s7
	v_cmp_eq_u32_e64 s4, 6, v137
	;; [unrolled: 2-line block ×3, first 2 shown]
	v_cndmask_b32_e64 v1, v1, v12, s3
	v_cndmask_b32_e64 v2, v2, v16, s3
	;; [unrolled: 1-line block ×4, first 2 shown]
	v_cmp_eq_u32_e64 s3, 7, v142
	v_cndmask_b32_e64 v1, v1, v4, s7
	v_cndmask_b32_e64 v2, v2, v8, s7
	v_cmp_eq_u32_e64 s4, 7, v137
	v_cndmask_b32_e32 v4, v21, v8, vcc_lo
	v_cndmask_b32_e64 v18, v18, v13, s5
	v_cndmask_b32_e64 v20, v20, v13, s6
	;; [unrolled: 1-line block ×8, first 2 shown]
	v_cmp_gt_u32_e32 vcc_lo, 32, v0
	v_perm_b32 v4, v2, v1, 0x5040100
	v_perm_b32 v3, v3, v5, 0x5040100
	;; [unrolled: 1-line block ×4, first 2 shown]
	s_and_b32 s2, vcc_lo, s2
	ds_store_b128 v9, v[1:4]
	s_waitcnt lgkmcnt(0)
	s_barrier
	buffer_gl0_inv
	s_and_saveexec_b32 s3, s2
	s_cbranch_execz .LBB393_2
; %bb.111:
	s_load_b64 s[0:1], s[0:1], 0x68
	s_lshl_b32 s4, s34, 6
	v_or_b32_e32 v2, s31, v147
	s_mul_i32 s2, s4, s30
	v_lshlrev_b32_e32 v1, 10, v0
	s_mul_i32 s2, s2, s8
	v_lshlrev_b32_e32 v3, 4, v146
	v_mul_lo_u32 v0, v2, s4
	s_ashr_i32 s3, s2, 31
	v_lshlrev_b32_e32 v4, 6, v147
	v_and_b32_e32 v1, 0x3800, v1
	v_or_b32_e32 v5, 2, v2
	s_lshl_b64 s[2:3], s[2:3], 1
	v_or_b32_e32 v6, 4, v2
	v_or_b32_e32 v7, 6, v2
	v_or3_b32 v12, v1, v3, v4
	v_ashrrev_i32_e32 v1, 31, v0
	v_mul_lo_u32 v2, v5, s4
	v_mul_lo_u32 v16, v6, s4
	;; [unrolled: 1-line block ×3, first 2 shown]
	s_waitcnt lgkmcnt(0)
	s_add_u32 s2, s0, s2
	s_addc_u32 s3, s1, s3
	s_lshl_b32 s0, s14, 6
	v_lshlrev_b64 v[0:1], 1, v[0:1]
	s_ashr_i32 s1, s0, 31
	v_ashrrev_i32_e32 v3, 31, v2
	s_lshl_b64 s[0:1], s[0:1], 1
	v_ashrrev_i32_e32 v17, 31, v16
	s_add_u32 s0, s2, s0
	s_addc_u32 s1, s3, s1
	v_add_co_u32 v24, s0, s0, v145
	s_delay_alu instid0(VALU_DEP_1) | instskip(SKIP_1) | instid1(VALU_DEP_3)
	v_add_co_ci_u32_e64 v25, null, s1, 0, s0
	v_lshlrev_b64 v[22:23], 1, v[2:3]
	v_add_co_u32 v18, vcc_lo, v24, v0
	s_delay_alu instid0(VALU_DEP_3)
	v_add_co_ci_u32_e32 v19, vcc_lo, v25, v1, vcc_lo
	ds_load_b128 v[0:3], v12
	ds_load_b128 v[4:7], v12 offset:128
	ds_load_b128 v[8:11], v12 offset:256
	;; [unrolled: 1-line block ×3, first 2 shown]
	v_ashrrev_i32_e32 v21, 31, v20
	v_lshlrev_b64 v[16:17], 1, v[16:17]
	v_add_co_u32 v22, vcc_lo, v24, v22
	v_add_co_ci_u32_e32 v23, vcc_lo, v25, v23, vcc_lo
	s_delay_alu instid0(VALU_DEP_4) | instskip(NEXT) | instid1(VALU_DEP_4)
	v_lshlrev_b64 v[20:21], 1, v[20:21]
	v_add_co_u32 v16, vcc_lo, v24, v16
	v_add_co_ci_u32_e32 v17, vcc_lo, v25, v17, vcc_lo
	s_delay_alu instid0(VALU_DEP_3) | instskip(NEXT) | instid1(VALU_DEP_4)
	v_add_co_u32 v20, vcc_lo, v24, v20
	v_add_co_ci_u32_e32 v21, vcc_lo, v25, v21, vcc_lo
	s_waitcnt lgkmcnt(3)
	global_store_b128 v[18:19], v[0:3], off
	s_waitcnt lgkmcnt(2)
	global_store_b128 v[22:23], v[4:7], off
	;; [unrolled: 2-line block ×4, first 2 shown]
	s_nop 0
	s_sendmsg sendmsg(MSG_DEALLOC_VGPRS)
	s_endpgm
	.section	.rodata,"a",@progbits
	.p2align	6, 0x0
	.amdhsa_kernel _Z39paged_attention_ll4mi_QKV_mfma16_kernelI14__hip_bfloat16S0_LN4vllm18Fp8KVCacheDataTypeE0EhLi16ELi64ELi256ELb1ELi8EL8MFMAType0EEvPKT_PKT0_S9_ifPKiSB_SB_iPKfiiiPfSE_PS4_PT2_iSD_SD_
		.amdhsa_group_segment_fixed_size 17472
		.amdhsa_private_segment_fixed_size 0
		.amdhsa_kernarg_size 400
		.amdhsa_user_sgpr_count 13
		.amdhsa_user_sgpr_dispatch_ptr 0
		.amdhsa_user_sgpr_queue_ptr 0
		.amdhsa_user_sgpr_kernarg_segment_ptr 1
		.amdhsa_user_sgpr_dispatch_id 0
		.amdhsa_user_sgpr_private_segment_size 0
		.amdhsa_wavefront_size32 1
		.amdhsa_uses_dynamic_stack 0
		.amdhsa_enable_private_segment 0
		.amdhsa_system_sgpr_workgroup_id_x 1
		.amdhsa_system_sgpr_workgroup_id_y 1
		.amdhsa_system_sgpr_workgroup_id_z 1
		.amdhsa_system_sgpr_workgroup_info 0
		.amdhsa_system_vgpr_workitem_id 0
		.amdhsa_next_free_vgpr 198
		.amdhsa_next_free_sgpr 52
		.amdhsa_reserve_vcc 1
		.amdhsa_float_round_mode_32 0
		.amdhsa_float_round_mode_16_64 0
		.amdhsa_float_denorm_mode_32 3
		.amdhsa_float_denorm_mode_16_64 3
		.amdhsa_dx10_clamp 1
		.amdhsa_ieee_mode 1
		.amdhsa_fp16_overflow 0
		.amdhsa_workgroup_processor_mode 1
		.amdhsa_memory_ordered 1
		.amdhsa_forward_progress 0
		.amdhsa_shared_vgpr_count 0
		.amdhsa_exception_fp_ieee_invalid_op 0
		.amdhsa_exception_fp_denorm_src 0
		.amdhsa_exception_fp_ieee_div_zero 0
		.amdhsa_exception_fp_ieee_overflow 0
		.amdhsa_exception_fp_ieee_underflow 0
		.amdhsa_exception_fp_ieee_inexact 0
		.amdhsa_exception_int_div_zero 0
	.end_amdhsa_kernel
	.section	.text._Z39paged_attention_ll4mi_QKV_mfma16_kernelI14__hip_bfloat16S0_LN4vllm18Fp8KVCacheDataTypeE0EhLi16ELi64ELi256ELb1ELi8EL8MFMAType0EEvPKT_PKT0_S9_ifPKiSB_SB_iPKfiiiPfSE_PS4_PT2_iSD_SD_,"axG",@progbits,_Z39paged_attention_ll4mi_QKV_mfma16_kernelI14__hip_bfloat16S0_LN4vllm18Fp8KVCacheDataTypeE0EhLi16ELi64ELi256ELb1ELi8EL8MFMAType0EEvPKT_PKT0_S9_ifPKiSB_SB_iPKfiiiPfSE_PS4_PT2_iSD_SD_,comdat
.Lfunc_end393:
	.size	_Z39paged_attention_ll4mi_QKV_mfma16_kernelI14__hip_bfloat16S0_LN4vllm18Fp8KVCacheDataTypeE0EhLi16ELi64ELi256ELb1ELi8EL8MFMAType0EEvPKT_PKT0_S9_ifPKiSB_SB_iPKfiiiPfSE_PS4_PT2_iSD_SD_, .Lfunc_end393-_Z39paged_attention_ll4mi_QKV_mfma16_kernelI14__hip_bfloat16S0_LN4vllm18Fp8KVCacheDataTypeE0EhLi16ELi64ELi256ELb1ELi8EL8MFMAType0EEvPKT_PKT0_S9_ifPKiSB_SB_iPKfiiiPfSE_PS4_PT2_iSD_SD_
                                        ; -- End function
	.section	.AMDGPU.csdata,"",@progbits
; Kernel info:
; codeLenInByte = 10020
; NumSgprs: 54
; NumVgprs: 198
; ScratchSize: 0
; MemoryBound: 0
; FloatMode: 240
; IeeeMode: 1
; LDSByteSize: 17472 bytes/workgroup (compile time only)
; SGPRBlocks: 6
; VGPRBlocks: 24
; NumSGPRsForWavesPerEU: 54
; NumVGPRsForWavesPerEU: 198
; Occupancy: 7
; WaveLimiterHint : 1
; COMPUTE_PGM_RSRC2:SCRATCH_EN: 0
; COMPUTE_PGM_RSRC2:USER_SGPR: 13
; COMPUTE_PGM_RSRC2:TRAP_HANDLER: 0
; COMPUTE_PGM_RSRC2:TGID_X_EN: 1
; COMPUTE_PGM_RSRC2:TGID_Y_EN: 1
; COMPUTE_PGM_RSRC2:TGID_Z_EN: 1
; COMPUTE_PGM_RSRC2:TIDIG_COMP_CNT: 0
	.section	.text._Z39paged_attention_ll4mi_QKV_mfma16_kernelI14__hip_bfloat16S0_LN4vllm18Fp8KVCacheDataTypeE0EhLi16ELi64ELi256ELb1ELi9EL8MFMAType0EEvPKT_PKT0_S9_ifPKiSB_SB_iPKfiiiPfSE_PS4_PT2_iSD_SD_,"axG",@progbits,_Z39paged_attention_ll4mi_QKV_mfma16_kernelI14__hip_bfloat16S0_LN4vllm18Fp8KVCacheDataTypeE0EhLi16ELi64ELi256ELb1ELi9EL8MFMAType0EEvPKT_PKT0_S9_ifPKiSB_SB_iPKfiiiPfSE_PS4_PT2_iSD_SD_,comdat
	.protected	_Z39paged_attention_ll4mi_QKV_mfma16_kernelI14__hip_bfloat16S0_LN4vllm18Fp8KVCacheDataTypeE0EhLi16ELi64ELi256ELb1ELi9EL8MFMAType0EEvPKT_PKT0_S9_ifPKiSB_SB_iPKfiiiPfSE_PS4_PT2_iSD_SD_ ; -- Begin function _Z39paged_attention_ll4mi_QKV_mfma16_kernelI14__hip_bfloat16S0_LN4vllm18Fp8KVCacheDataTypeE0EhLi16ELi64ELi256ELb1ELi9EL8MFMAType0EEvPKT_PKT0_S9_ifPKiSB_SB_iPKfiiiPfSE_PS4_PT2_iSD_SD_
	.globl	_Z39paged_attention_ll4mi_QKV_mfma16_kernelI14__hip_bfloat16S0_LN4vllm18Fp8KVCacheDataTypeE0EhLi16ELi64ELi256ELb1ELi9EL8MFMAType0EEvPKT_PKT0_S9_ifPKiSB_SB_iPKfiiiPfSE_PS4_PT2_iSD_SD_
	.p2align	8
	.type	_Z39paged_attention_ll4mi_QKV_mfma16_kernelI14__hip_bfloat16S0_LN4vllm18Fp8KVCacheDataTypeE0EhLi16ELi64ELi256ELb1ELi9EL8MFMAType0EEvPKT_PKT0_S9_ifPKiSB_SB_iPKfiiiPfSE_PS4_PT2_iSD_SD_,@function
_Z39paged_attention_ll4mi_QKV_mfma16_kernelI14__hip_bfloat16S0_LN4vllm18Fp8KVCacheDataTypeE0EhLi16ELi64ELi256ELb1ELi9EL8MFMAType0EEvPKT_PKT0_S9_ifPKiSB_SB_iPKfiiiPfSE_PS4_PT2_iSD_SD_: ; @_Z39paged_attention_ll4mi_QKV_mfma16_kernelI14__hip_bfloat16S0_LN4vllm18Fp8KVCacheDataTypeE0EhLi16ELi64ELi256ELb1ELi9EL8MFMAType0EEvPKT_PKT0_S9_ifPKiSB_SB_iPKfiiiPfSE_PS4_PT2_iSD_SD_
; %bb.0:
	s_load_b64 s[2:3], s[0:1], 0x30
	s_mov_b32 s34, s13
	s_waitcnt lgkmcnt(0)
	s_cmp_lg_u64 s[2:3], 0
	s_cselect_b32 s6, -1, 0
	s_ashr_i32 s35, s13, 31
	s_cmp_eq_u64 s[2:3], 0
	s_cbranch_scc1 .LBB394_3
; %bb.1:
	s_lshl_b64 s[4:5], s[34:35], 2
	s_delay_alu instid0(SALU_CYCLE_1) | instskip(SKIP_4) | instid1(SALU_CYCLE_1)
	s_add_u32 s4, s2, s4
	s_addc_u32 s5, s3, s5
	s_load_b64 s[4:5], s[4:5], 0x0
	s_waitcnt lgkmcnt(0)
	s_sub_i32 s4, s5, s4
	s_cmp_eq_u32 s4, 1
	s_cselect_b32 s4, -1, 0
	s_delay_alu instid0(SALU_CYCLE_1)
	s_and_not1_b32 vcc_lo, exec_lo, s4
	s_cbranch_vccz .LBB394_4
.LBB394_2:
	s_nop 0
	s_sendmsg sendmsg(MSG_DEALLOC_VGPRS)
	s_endpgm
.LBB394_3:
.LBB394_4:
	s_load_b64 s[8:9], s[0:1], 0x28
	s_lshl_b64 s[4:5], s[34:35], 2
	s_waitcnt lgkmcnt(0)
	s_add_u32 s8, s8, s4
	s_addc_u32 s9, s9, s5
	s_lshl_b32 s33, s14, 8
	s_load_b32 s30, s[8:9], 0x0
	s_waitcnt lgkmcnt(0)
	s_cmp_ge_i32 s33, s30
	s_cbranch_scc1 .LBB394_2
; %bb.5:
	s_clause 0x1
	s_load_b128 s[8:11], s[0:1], 0x8
	s_load_b64 s[12:13], s[0:1], 0x20
	s_and_not1_b32 vcc_lo, exec_lo, s6
	s_cbranch_vccnz .LBB394_7
; %bb.6:
	s_add_u32 s2, s2, s4
	s_addc_u32 s3, s3, s5
	s_load_b32 s3, s[2:3], 0x0
	s_branch .LBB394_8
.LBB394_7:
	s_mov_b32 s3, s34
.LBB394_8:
	s_load_b128 s[4:7], s[0:1], 0x48
	v_lshrrev_b32_e32 v149, 5, v0
	v_bfe_u32 v146, v0, 4, 1
	v_and_b32_e32 v148, 15, v0
	v_and_b32_e32 v150, 31, v0
	;; [unrolled: 1-line block ×3, first 2 shown]
	s_mul_i32 s31, s15, 9
	v_lshl_or_b32 v1, v149, 1, v146
	v_lshlrev_b32_e32 v2, 3, v148
	v_cmp_gt_u32_e64 s2, 8, v148
	s_delay_alu instid0(VALU_DEP_3) | instskip(NEXT) | instid1(VALU_DEP_3)
	v_cmp_gt_u32_e32 vcc_lo, 9, v1
	v_lshlrev_b32_e32 v145, 1, v2
	s_delay_alu instid0(VALU_DEP_3)
	s_and_b32 s16, s2, vcc_lo
	s_waitcnt lgkmcnt(0)
	s_and_saveexec_b32 s7, s16
	s_cbranch_execz .LBB394_10
; %bb.9:
	s_load_b64 s[16:17], s[0:1], 0x0
	v_add_lshl_u32 v2, v1, s31, 6
	s_mul_hi_i32 s19, s3, s4
	s_mul_i32 s18, s3, s4
	v_lshlrev_b32_e32 v6, 10, v148
	s_lshl_b64 s[18:19], s[18:19], 1
	v_ashrrev_i32_e32 v3, 31, v2
	v_lshlrev_b32_e32 v1, 6, v1
	v_lshlrev_b32_e32 v7, 10, v147
	v_and_b32_e32 v6, 0x3800, v6
	s_delay_alu instid0(VALU_DEP_4) | instskip(NEXT) | instid1(VALU_DEP_2)
	v_lshlrev_b64 v[2:3], 1, v[2:3]
	v_or3_b32 v1, v6, v7, v1
	s_waitcnt lgkmcnt(0)
	s_add_u32 s3, s16, s18
	s_addc_u32 s4, s17, s19
	s_delay_alu instid0(VALU_DEP_2) | instskip(SKIP_1) | instid1(VALU_DEP_2)
	v_add_co_u32 v2, vcc_lo, s3, v2
	v_add_co_ci_u32_e32 v3, vcc_lo, s4, v3, vcc_lo
	v_add_co_u32 v2, vcc_lo, v2, v145
	s_delay_alu instid0(VALU_DEP_2)
	v_add_co_ci_u32_e32 v3, vcc_lo, 0, v3, vcc_lo
	global_load_b128 v[2:5], v[2:3], off
	s_waitcnt vmcnt(0)
	ds_store_b128 v1, v[2:5]
.LBB394_10:
	s_or_b32 exec_lo, exec_lo, s7
	s_mov_b32 s40, 0
	s_add_i32 s3, s30, 15
	s_mov_b32 s41, s40
	s_mov_b32 s42, s40
	;; [unrolled: 1-line block ×7, first 2 shown]
	s_delay_alu instid0(SALU_CYCLE_1)
	v_dual_mov_b32 v144, s47 :: v_dual_and_b32 v1, 0xef, v0
	v_mov_b32_e32 v142, s45
	s_ashr_i32 s7, s3, 31
	s_clause 0x1
	s_load_b32 s4, s[0:1], 0x38
	s_load_b32 s35, s[0:1], 0x1c
	v_add_nc_u32_e32 v1, s33, v1
	s_lshr_b32 s7, s7, 28
	s_waitcnt lgkmcnt(0)
	s_add_i32 s3, s3, s7
	s_barrier
	v_ashrrev_i32_e32 v2, 31, v1
	v_or_b32_e32 v3, 16, v1
	s_ashr_i32 s3, s3, 4
	v_cmp_gt_i32_e32 vcc_lo, s30, v1
	s_add_i32 s3, s3, -1
	v_lshrrev_b32_e32 v2, 28, v2
	v_mov_b32_e32 v143, s46
	buffer_gl0_inv
	s_mul_i32 s6, s15, s6
	v_add_nc_u32_e32 v21, -9, v148
	v_dual_mov_b32 v141, s44 :: v_dual_add_nc_u32 v4, v1, v2
	v_mov_b32_e32 v139, s42
	s_mul_i32 s16, s34, s4
	v_mov_b32_e32 v137, s40
	s_delay_alu instid0(VALU_DEP_3)
	v_ashrrev_i32_e32 v4, 4, v4
	v_add_nc_u32_e32 v2, v3, v2
	v_lshlrev_b32_e32 v22, 5, v148
	s_ashr_i32 s17, s16, 31
	v_mov_b32_e32 v140, s43
	v_cndmask_b32_e32 v1, s3, v4, vcc_lo
	v_ashrrev_i32_e32 v2, 4, v2
	v_cmp_gt_i32_e32 vcc_lo, s30, v3
	s_lshl_b64 s[16:17], s[16:17], 2
	v_lshl_or_b32 v22, v149, 9, v22
	s_add_u32 s4, s12, s16
	s_addc_u32 s36, s13, s17
	v_cndmask_b32_e32 v3, s3, v2, vcc_lo
	v_ashrrev_i32_e32 v2, 31, v1
	s_ashr_i32 s7, s6, 31
	v_mov_b32_e32 v138, s41
	s_lshl_b64 s[6:7], s[6:7], 1
	v_ashrrev_i32_e32 v4, 31, v3
	v_lshlrev_b64 v[1:2], 2, v[1:2]
	s_add_u32 s24, s8, s6
	s_addc_u32 s25, s9, s7
	s_lshl_b32 s8, s14, 4
	v_lshlrev_b64 v[3:4], 2, v[3:4]
	s_ashr_i32 s9, s8, 31
	v_add_co_u32 v1, vcc_lo, s4, v1
	v_add_co_ci_u32_e32 v2, vcc_lo, s36, v2, vcc_lo
	s_delay_alu instid0(VALU_DEP_3) | instskip(NEXT) | instid1(VALU_DEP_4)
	v_add_co_u32 v3, vcc_lo, s4, v3
	v_add_co_ci_u32_e32 v4, vcc_lo, s36, v4, vcc_lo
	s_clause 0x1
	global_load_b32 v5, v[1:2], off
	global_load_b32 v6, v[3:4], off
	s_lshl_b64 s[8:9], s[8:9], 2
	v_lshlrev_b32_e32 v3, 4, v0
	s_add_u32 s8, s4, s8
	s_addc_u32 s9, s36, s9
	s_or_b32 s12, s33, 16
	s_delay_alu instid0(SALU_CYCLE_1) | instskip(SKIP_2) | instid1(SALU_CYCLE_1)
	s_ashr_i32 s13, s12, 4
	s_cmp_lt_i32 s12, s30
	s_cselect_b32 s12, s13, s3
	s_ashr_i32 s13, s12, 31
	s_delay_alu instid0(SALU_CYCLE_1) | instskip(NEXT) | instid1(SALU_CYCLE_1)
	s_lshl_b64 s[12:13], s[12:13], 2
	s_add_u32 s12, s4, s12
	s_addc_u32 s13, s36, s13
	s_or_b32 s15, s33, 32
	s_delay_alu instid0(SALU_CYCLE_1) | instskip(SKIP_2) | instid1(SALU_CYCLE_1)
	s_ashr_i32 s16, s15, 4
	s_cmp_lt_i32 s15, s30
	s_cselect_b32 s16, s16, s3
	s_ashr_i32 s17, s16, 31
	s_delay_alu instid0(SALU_CYCLE_1) | instskip(NEXT) | instid1(SALU_CYCLE_1)
	s_lshl_b64 s[16:17], s[16:17], 2
	;; [unrolled: 10-line block ×5, first 2 shown]
	s_add_u32 s22, s4, s22
	s_addc_u32 s23, s36, s23
	s_clause 0x5
	s_load_b32 s8, s[8:9], 0x0
	s_load_b32 s12, s[12:13], 0x0
	;; [unrolled: 1-line block ×6, first 2 shown]
	s_waitcnt lgkmcnt(0)
	s_mul_hi_i32 s17, s16, s5
	s_mul_i32 s16, s16, s5
	s_waitcnt vmcnt(1)
	v_mad_i64_i32 v[1:2], null, v5, s5, 0
	v_and_b32_e32 v5, 0xf0, v3
	s_waitcnt vmcnt(0)
	v_mad_i64_i32 v[3:4], null, v6, s5, 0
	s_delay_alu instid0(VALU_DEP_2) | instskip(NEXT) | instid1(VALU_DEP_4)
	v_add_co_u32 v5, s9, s24, v5
	v_lshlrev_b64 v[1:2], 1, v[1:2]
	v_add_co_ci_u32_e64 v6, null, s25, 0, s9
	s_delay_alu instid0(VALU_DEP_4) | instskip(SKIP_1) | instid1(VALU_DEP_3)
	v_lshlrev_b64 v[3:4], 1, v[3:4]
	s_or_b32 s9, s33, 0x60
	v_add_co_u32 v19, vcc_lo, v5, v1
	s_delay_alu instid0(VALU_DEP_3) | instskip(NEXT) | instid1(VALU_DEP_3)
	v_add_co_ci_u32_e32 v20, vcc_lo, v6, v2, vcc_lo
	v_add_co_u32 v17, vcc_lo, v5, v3
	s_delay_alu instid0(VALU_DEP_4)
	v_add_co_ci_u32_e32 v18, vcc_lo, v6, v4, vcc_lo
	s_clause 0x9
	global_load_b128 v[1:4], v[19:20], off
	global_load_b128 v[5:8], v[19:20], off offset:256
	global_load_b128 v[129:132], v[17:18], off
	global_load_b128 v[133:136], v[17:18], off offset:256
	global_load_b128 v[33:36], v[19:20], off offset:512
	;; [unrolled: 1-line block ×7, first 2 shown]
	v_cmp_gt_u32_e32 vcc_lo, 9, v148
	s_clause 0x1
	global_load_b128 v[151:154], v[17:18], off offset:1024
	global_load_b128 v[155:158], v[17:18], off offset:1280
	s_ashr_i32 s13, s9, 4
	s_cmp_lt_i32 s9, s30
	v_cndmask_b32_e32 v21, v21, v148, vcc_lo
	s_cselect_b32 s22, s13, s3
	s_delay_alu instid0(SALU_CYCLE_1) | instskip(NEXT) | instid1(VALU_DEP_1)
	s_ashr_i32 s23, s22, 31
	v_lshlrev_b32_e32 v197, 6, v21
	ds_load_b128 v[159:162], v197
	ds_load_b128 v[163:166], v197 offset:1024
	s_clause 0x3
	global_load_b128 v[167:170], v[19:20], off offset:1536
	global_load_b128 v[171:174], v[19:20], off offset:1792
	;; [unrolled: 1-line block ×4, first 2 shown]
	s_lshl_b64 s[22:23], s[22:23], 2
	s_delay_alu instid0(SALU_CYCLE_1) | instskip(SKIP_2) | instid1(SALU_CYCLE_1)
	s_add_u32 s22, s4, s22
	s_addc_u32 s23, s36, s23
	s_or_b32 s9, s33, 0x70
	s_ashr_i32 s13, s9, 4
	s_cmp_lt_i32 s9, s30
	s_cselect_b32 s24, s13, s3
	s_delay_alu instid0(SALU_CYCLE_1) | instskip(NEXT) | instid1(SALU_CYCLE_1)
	s_ashr_i32 s25, s24, 31
	s_lshl_b64 s[24:25], s[24:25], 2
	s_delay_alu instid0(SALU_CYCLE_1)
	s_add_u32 s24, s4, s24
	s_addc_u32 s25, s36, s25
	s_or_b32 s9, s33, 0x80
	s_load_b32 s46, s[24:25], 0x0
	s_ashr_i32 s13, s9, 4
	s_cmp_lt_i32 s9, s30
	s_cselect_b32 s26, s13, s3
	s_delay_alu instid0(SALU_CYCLE_1) | instskip(NEXT) | instid1(SALU_CYCLE_1)
	s_ashr_i32 s27, s26, 31
	s_lshl_b64 s[26:27], s[26:27], 2
	s_delay_alu instid0(SALU_CYCLE_1)
	s_add_u32 s26, s4, s26
	s_addc_u32 s27, s36, s27
	s_or_b32 s9, s33, 0x90
	s_load_b32 s47, s[26:27], 0x0
	s_ashr_i32 s13, s9, 4
	s_cmp_lt_i32 s9, s30
	s_cselect_b32 s28, s13, s3
	s_delay_alu instid0(SALU_CYCLE_1) | instskip(NEXT) | instid1(SALU_CYCLE_1)
	s_ashr_i32 s29, s28, 31
	s_lshl_b64 s[28:29], s[28:29], 2
	s_delay_alu instid0(SALU_CYCLE_1) | instskip(SKIP_2) | instid1(SALU_CYCLE_1)
	s_add_u32 s28, s4, s28
	s_addc_u32 s29, s36, s29
	s_or_b32 s9, s33, 0xa0
	s_ashr_i32 s13, s9, 4
	s_cmp_lt_i32 s9, s30
	s_cselect_b32 s38, s13, s3
	s_delay_alu instid0(SALU_CYCLE_1) | instskip(NEXT) | instid1(SALU_CYCLE_1)
	s_ashr_i32 s39, s38, 31
	s_lshl_b64 s[38:39], s[38:39], 2
	s_delay_alu instid0(SALU_CYCLE_1)
	s_add_u32 s38, s4, s38
	s_addc_u32 s39, s36, s39
	s_or_b32 s9, s33, 0xb0
	s_load_b32 s39, s[38:39], 0x0
	s_ashr_i32 s13, s9, 4
	s_cmp_lt_i32 s9, s30
	s_mul_hi_i32 s9, s8, s5
	s_cselect_b32 s40, s13, s3
	s_mul_i32 s8, s8, s5
	s_ashr_i32 s41, s40, 31
	s_mul_hi_i32 s13, s12, s5
	s_lshl_b64 s[40:41], s[40:41], 2
	s_mul_i32 s12, s12, s5
	s_add_u32 s42, s4, s40
	s_addc_u32 s43, s36, s41
	s_or_b32 s19, s33, 0xc0
	s_delay_alu instid0(SALU_CYCLE_1)
	s_ashr_i32 s21, s19, 4
	s_cmp_lt_i32 s19, s30
	s_mul_hi_i32 s19, s18, s5
	s_cselect_b32 s40, s21, s3
	s_mul_i32 s18, s18, s5
	s_ashr_i32 s41, s40, 31
	s_mul_hi_i32 s21, s20, s5
	s_lshl_b64 s[40:41], s[40:41], 2
	s_mul_i32 s20, s20, s5
	s_add_u32 s44, s4, s40
	s_load_b32 s40, s[28:29], 0x0
	s_addc_u32 s45, s36, s41
	s_or_b32 s37, s33, 0xd0
	s_load_b32 s41, s[22:23], 0x0
	s_ashr_i32 s22, s37, 4
	s_cmp_lt_i32 s37, s30
	s_mul_hi_i32 s23, s15, s5
	s_cselect_b32 s24, s22, s3
	s_mul_i32 s22, s15, s5
	s_ashr_i32 s25, s24, 31
	s_waitcnt lgkmcnt(0)
	s_mul_hi_i32 s27, s46, s5
	s_lshl_b64 s[24:25], s[24:25], 2
	s_mul_i32 s26, s46, s5
	s_add_u32 s24, s4, s24
	s_addc_u32 s25, s36, s25
	s_or_b32 s48, s33, 0xe0
	s_clause 0x2
	s_load_b32 s38, s[42:43], 0x0
	s_load_b32 s37, s[44:45], 0x0
	;; [unrolled: 1-line block ×3, first 2 shown]
	s_ashr_i32 s49, s48, 4
	s_cmp_lt_i32 s48, s30
	s_mul_hi_i32 s29, s47, s5
	s_cselect_b32 s42, s49, s3
	s_mul_i32 s28, s47, s5
	s_ashr_i32 s43, s42, 31
	s_mul_hi_i32 s25, s41, s5
	s_lshl_b64 s[42:43], s[42:43], 2
	s_mul_i32 s24, s41, s5
	s_add_u32 s42, s4, s42
	s_addc_u32 s43, s36, s43
	s_or_b32 s46, s33, 0xf0
	s_mul_hi_i32 s41, s40, s5
	s_ashr_i32 s47, s46, 4
	s_cmp_lt_i32 s46, s30
	s_mul_i32 s40, s40, s5
	s_cselect_b32 s46, s47, s3
	s_mul_hi_i32 s45, s39, s5
	s_ashr_i32 s47, s46, 31
	s_mul_i32 s44, s39, s5
	s_lshl_b64 s[46:47], s[46:47], 2
	s_waitcnt lgkmcnt(0)
	s_mul_hi_i32 s39, s38, s5
	s_add_u32 s46, s4, s46
	s_addc_u32 s47, s36, s47
	s_add_u32 s3, s10, s6
	s_addc_u32 s4, s11, s7
	v_add_co_u32 v195, s3, s3, v22
	s_delay_alu instid0(VALU_DEP_1) | instskip(SKIP_2) | instid1(VALU_DEP_2)
	v_add_co_ci_u32_e64 v196, null, s4, 0, s3
	s_lshl_b64 s[6:7], s[8:9], 1
	s_lshl_b64 s[8:9], s[12:13], 1
	v_add_co_u32 v17, vcc_lo, v195, s6
	s_delay_alu instid0(VALU_DEP_2)
	v_add_co_ci_u32_e32 v18, vcc_lo, s7, v196, vcc_lo
	v_add_co_u32 v19, vcc_lo, v195, s8
	s_lshl_b64 s[10:11], s[16:17], 1
	v_add_co_ci_u32_e32 v20, vcc_lo, s9, v196, vcc_lo
	v_add_co_u32 v21, vcc_lo, v195, s10
	s_lshl_b64 s[12:13], s[18:19], 1
	;; [unrolled: 3-line block ×9, first 2 shown]
	s_mul_i32 s38, s38, s5
	v_add_co_ci_u32_e32 v54, vcc_lo, s27, v196, vcc_lo
	v_add_co_u32 v183, vcc_lo, v195, s28
	s_mul_hi_i32 s49, s37, s5
	s_mul_i32 s48, s37, s5
	s_lshl_b64 s[36:37], s[38:39], 1
	v_add_co_ci_u32_e32 v184, vcc_lo, s29, v196, vcc_lo
	v_add_co_u32 v185, vcc_lo, v195, s36
	s_lshl_b64 s[38:39], s[48:49], 1
	s_clause 0x1
	s_load_b32 s3, s[42:43], 0x0
	s_load_b32 s4, s[46:47], 0x0
	v_add_co_ci_u32_e32 v186, vcc_lo, s37, v196, vcc_lo
	v_add_co_u32 v191, vcc_lo, v195, s38
	v_add_co_ci_u32_e32 v192, vcc_lo, s39, v196, vcc_lo
	s_clause 0x17
	global_load_b128 v[121:124], v[17:18], off
	global_load_b128 v[125:128], v[17:18], off offset:16
	global_load_b128 v[113:116], v[19:20], off
	global_load_b128 v[117:120], v[19:20], off offset:16
	;; [unrolled: 2-line block ×12, first 2 shown]
	s_mul_hi_i32 s51, s15, s5
	s_mul_i32 s50, s15, s5
	s_delay_alu instid0(SALU_CYCLE_1) | instskip(NEXT) | instid1(SALU_CYCLE_1)
	s_lshl_b64 s[40:41], s[50:51], 1
	v_add_co_u32 v193, vcc_lo, v195, s40
	v_add_co_ci_u32_e32 v194, vcc_lo, s41, v196, vcc_lo
	s_waitcnt lgkmcnt(0)
	s_mul_hi_i32 s7, s3, s5
	s_mul_i32 s6, s3, s5
	s_mul_hi_i32 s9, s4, s5
	s_lshl_b64 s[6:7], s[6:7], 1
	s_mul_i32 s8, s4, s5
	s_delay_alu instid0(SALU_CYCLE_1)
	s_lshl_b64 s[4:5], s[8:9], 1
	s_waitcnt vmcnt(38)
	v_wmma_f32_16x16x16_bf16 v[183:190], v[1:8], v[159:166], v[137:144]
	s_waitcnt vmcnt(36)
	v_wmma_f32_16x16x16_bf16 v[137:144], v[129:136], v[159:166], v[137:144]
	s_clause 0x1
	global_load_b128 v[1:4], v[191:192], off
	global_load_b128 v[5:8], v[191:192], off offset:16
	ds_load_b128 v[129:132], v197 offset:2048
	ds_load_b128 v[133:136], v197 offset:3072
	;; [unrolled: 1-line block ×4, first 2 shown]
	v_add_co_u32 v191, vcc_lo, v195, s6
	v_add_co_ci_u32_e32 v192, vcc_lo, s7, v196, vcc_lo
	v_add_co_u32 v195, vcc_lo, v195, s4
	v_add_co_ci_u32_e32 v196, vcc_lo, s5, v196, vcc_lo
	s_waitcnt vmcnt(36) lgkmcnt(2)
	v_wmma_f32_16x16x16_bf16 v[183:190], v[33:40], v[129:136], v[183:190]
	s_waitcnt vmcnt(34)
	v_wmma_f32_16x16x16_bf16 v[137:144], v[25:32], v[129:136], v[137:144]
	s_clause 0x3
	global_load_b128 v[25:28], v[193:194], off
	global_load_b128 v[29:32], v[193:194], off offset:16
	global_load_b128 v[33:36], v[191:192], off
	global_load_b128 v[37:40], v[191:192], off offset:16
	v_and_b32_e32 v129, 0xe0, v0
	v_mbcnt_lo_u32_b32 v191, -1, 0
	s_waitcnt vmcnt(36) lgkmcnt(0)
	v_wmma_f32_16x16x16_bf16 v[183:190], v[9:16], v[159:166], v[183:190]
	s_clause 0x1
	global_load_b128 v[9:12], v[195:196], off
	global_load_b128 v[13:16], v[195:196], off offset:16
	s_waitcnt vmcnt(36)
	v_wmma_f32_16x16x16_bf16 v[137:144], v[151:158], v[159:166], v[137:144]
	v_add_nc_u32_e32 v192, s33, v129
	ds_load_b128 v[129:132], v197 offset:6144
	ds_load_b128 v[133:136], v197 offset:7168
	v_xor_b32_e32 v151, 16, v191
	s_waitcnt vmcnt(0) lgkmcnt(0)
	s_barrier
	v_or_b32_e32 v152, v192, v146
	buffer_gl0_inv
	v_cmp_gt_i32_e32 vcc_lo, 32, v151
	v_or_b32_e32 v153, 2, v152
	v_or_b32_e32 v154, 4, v152
	;; [unrolled: 1-line block ×5, first 2 shown]
	v_cmp_gt_i32_e64 s3, s30, v153
	v_cmp_gt_i32_e64 s4, s30, v154
	;; [unrolled: 1-line block ×3, first 2 shown]
	v_or_b32_e32 v158, 12, v152
	v_or_b32_e32 v159, 14, v152
	v_cmp_gt_i32_e64 s6, s30, v156
	v_wmma_f32_16x16x16_bf16 v[183:190], v[167:174], v[129:136], v[183:190]
	v_wmma_f32_16x16x16_bf16 v[137:144], v[175:182], v[129:136], v[137:144]
	v_cndmask_b32_e32 v151, v191, v151, vcc_lo
	v_cmp_gt_i32_e32 vcc_lo, s30, v152
	v_cmp_gt_i32_e64 s7, s30, v157
	v_dual_mul_f32 v135, s35, v184 :: v_dual_mul_f32 v136, s35, v183
	v_dual_mul_f32 v133, s35, v186 :: v_dual_mul_f32 v134, s35, v185
	;; [unrolled: 1-line block ×3, first 2 shown]
	s_delay_alu instid0(VALU_DEP_3) | instskip(NEXT) | instid1(VALU_DEP_4)
	v_cndmask_b32_e32 v136, 0xff7fffff, v136, vcc_lo
	v_cndmask_b32_e64 v135, 0xff7fffff, v135, s3
	v_mul_f32_e32 v132, s35, v187
	v_cndmask_b32_e64 v134, 0xff7fffff, v134, s4
	v_cndmask_b32_e64 v133, 0xff7fffff, v133, s5
	v_or_b32_e32 v160, 16, v152
	v_max3_f32 v135, v136, 0xff7fffff, v135
	v_or_b32_e32 v161, 18, v152
	v_mul_f32_e32 v130, s35, v189
	v_dual_mul_f32 v172, s35, v140 :: v_dual_mul_f32 v129, s35, v190
	v_cndmask_b32_e64 v132, 0xff7fffff, v132, s6
	v_cndmask_b32_e64 v131, 0xff7fffff, v131, s7
	v_max3_f32 v133, v135, v134, v133
	v_cmp_gt_i32_e64 s8, s30, v158
	v_lshlrev_b32_e32 v158, 2, v151
	v_cmp_gt_i32_e64 s9, s30, v159
	v_or_b32_e32 v162, 20, v152
	v_or_b32_e32 v163, 22, v152
	v_mul_f32_e32 v175, s35, v137
	v_cndmask_b32_e64 v130, 0xff7fffff, v130, s8
	v_cndmask_b32_e64 v129, 0xff7fffff, v129, s9
	v_max3_f32 v131, v133, v132, v131
	v_cmp_gt_i32_e64 s10, s30, v160
	v_cmp_gt_i32_e64 s11, s30, v161
	v_or_b32_e32 v164, 24, v152
	v_or_b32_e32 v165, 26, v152
	v_mul_f32_e32 v173, s35, v139
	v_cndmask_b32_e64 v132, 0xff7fffff, v175, s10
	v_cndmask_b32_e64 v133, 0xff7fffff, v174, s11
	v_max3_f32 v129, v131, v130, v129
	v_cmp_gt_i32_e64 s12, s30, v162
	v_cmp_gt_i32_e64 s13, s30, v163
	v_or_b32_e32 v166, 28, v152
	v_or_b32_e32 v167, 30, v152
	v_dual_mul_f32 v170, s35, v142 :: v_dual_mul_f32 v171, s35, v141
	v_cndmask_b32_e64 v130, 0xff7fffff, v173, s12
	v_cndmask_b32_e64 v131, 0xff7fffff, v172, s13
	v_max3_f32 v129, v129, v132, v133
	v_cmp_gt_i32_e64 s15, s30, v164
	v_cmp_gt_i32_e64 s16, s30, v165
	v_dual_mul_f32 v168, s35, v144 :: v_dual_mul_f32 v169, s35, v143
	s_delay_alu instid0(VALU_DEP_4) | instskip(NEXT) | instid1(VALU_DEP_4)
	v_max3_f32 v129, v129, v130, v131
	v_cndmask_b32_e64 v132, 0xff7fffff, v171, s15
	s_delay_alu instid0(VALU_DEP_4) | instskip(SKIP_2) | instid1(VALU_DEP_3)
	v_cndmask_b32_e64 v133, 0xff7fffff, v170, s16
	v_cmp_gt_i32_e64 s17, s30, v166
	v_cmp_gt_i32_e64 s18, s30, v167
	v_max3_f32 v129, v129, v132, v133
	s_delay_alu instid0(VALU_DEP_3) | instskip(NEXT) | instid1(VALU_DEP_3)
	v_cndmask_b32_e64 v130, 0xff7fffff, v169, s17
	v_cndmask_b32_e64 v131, 0xff7fffff, v168, s18
	s_delay_alu instid0(VALU_DEP_1) | instskip(SKIP_3) | instid1(VALU_DEP_1)
	v_max3_f32 v129, v129, v130, v131
	ds_bpermute_b32 v130, v158, v129
	s_waitcnt lgkmcnt(0)
	v_max_f32_e32 v130, v130, v130
	v_max_f32_e32 v129, v129, v130
	s_delay_alu instid0(VALU_DEP_1)
	v_fma_f32 v130, s35, v183, -v129
	v_fma_f32 v132, s35, v185, -v129
	;; [unrolled: 1-line block ×5, first 2 shown]
	v_mul_f32_e32 v130, 0x3fb8aa3b, v130
	v_mul_f32_e32 v132, 0x3fb8aa3b, v132
	;; [unrolled: 1-line block ×3, first 2 shown]
	v_fma_f32 v135, s35, v189, -v129
	s_delay_alu instid0(VALU_DEP_4) | instskip(NEXT) | instid1(VALU_DEP_3)
	v_exp_f32_e32 v130, v130
	v_exp_f32_e32 v132, v132
	s_delay_alu instid0(VALU_DEP_2) | instskip(NEXT) | instid1(TRANS32_DEP_3)
	v_exp_f32_e32 v134, v134
	v_cndmask_b32_e32 v152, 0, v130, vcc_lo
	v_fma_f32 v130, s35, v188, -v129
	s_waitcnt_depctr 0xfff
	v_cndmask_b32_e64 v153, 0, v132, s4
	v_fma_f32 v132, s35, v190, -v129
	v_mul_f32_e32 v131, 0x3fb8aa3b, v131
	v_cndmask_b32_e64 v155, 0, v134, s6
	v_dual_mul_f32 v130, 0x3fb8aa3b, v130 :: v_dual_mul_f32 v133, 0x3fb8aa3b, v133
	s_delay_alu instid0(VALU_DEP_4) | instskip(NEXT) | instid1(VALU_DEP_4)
	v_mul_f32_e32 v132, 0x3fb8aa3b, v132
	v_exp_f32_e32 v131, v131
	v_fma_f32 v134, s35, v138, -v129
	s_delay_alu instid0(VALU_DEP_3) | instskip(SKIP_2) | instid1(VALU_DEP_1)
	v_exp_f32_e32 v130, v130
	v_exp_f32_e32 v133, v133
	;; [unrolled: 1-line block ×3, first 2 shown]
	v_mul_f32_e32 v134, 0x3fb8aa3b, v134
	v_cndmask_b32_e64 v151, 0, v131, s3
	v_add_f32_e32 v131, 0, v152
	s_delay_alu instid0(TRANS32_DEP_3)
	v_cndmask_b32_e64 v156, 0, v130, s7
	s_waitcnt_depctr 0xfff
	v_cndmask_b32_e64 v154, 0, v133, s5
	v_fma_f32 v133, s35, v137, -v129
	v_exp_f32_e32 v134, v134
	v_add_f32_e32 v131, v131, v151
	v_cmp_gt_u32_e64 s3, 16, v150
	s_delay_alu instid0(VALU_DEP_2) | instskip(NEXT) | instid1(VALU_DEP_1)
	v_add_f32_e32 v131, v131, v153
	v_add_f32_e32 v131, v131, v154
	s_delay_alu instid0(VALU_DEP_1) | instskip(SKIP_2) | instid1(VALU_DEP_3)
	v_add_f32_e32 v130, v131, v155
	v_fma_f32 v131, s35, v139, -v129
	v_fma_f32 v139, s35, v144, -v129
	v_dual_add_f32 v130, v130, v156 :: v_dual_mul_f32 v135, 0x3fb8aa3b, v135
	s_delay_alu instid0(VALU_DEP_1)
	v_exp_f32_e32 v135, v135
	s_waitcnt_depctr 0xfff
	v_cndmask_b32_e64 v157, 0, v135, s8
	v_fma_f32 v135, s35, v140, -v129
	v_cndmask_b32_e64 v140, 0, v132, s9
	v_fma_f32 v132, s35, v141, -v129
	s_delay_alu instid0(VALU_DEP_1) | instskip(SKIP_1) | instid1(VALU_DEP_2)
	v_dual_add_f32 v130, v130, v157 :: v_dual_mul_f32 v137, 0x3fb8aa3b, v132
	v_cndmask_b32_e64 v132, 0, v134, s11
	v_dual_add_f32 v130, v130, v140 :: v_dual_mul_f32 v133, 0x3fb8aa3b, v133
	v_mul_f32_e32 v131, 0x3fb8aa3b, v131
	v_fma_f32 v134, s35, v143, -v129
	v_mul_f32_e32 v135, 0x3fb8aa3b, v135
	s_delay_alu instid0(VALU_DEP_4) | instskip(NEXT) | instid1(VALU_DEP_3)
	v_exp_f32_e32 v133, v133
	v_exp_f32_e32 v136, v131
	s_waitcnt_depctr 0xfff
	v_cndmask_b32_e64 v131, 0, v133, s10
	v_fma_f32 v133, s35, v142, -v129
	s_delay_alu instid0(VALU_DEP_2) | instskip(NEXT) | instid1(VALU_DEP_2)
	v_add_f32_e32 v130, v130, v131
	v_mul_f32_e32 v138, 0x3fb8aa3b, v133
	v_cndmask_b32_e64 v133, 0, v136, s12
	v_mul_f32_e32 v136, 0x3fb8aa3b, v134
	v_exp_f32_e32 v135, v135
	v_add_f32_e32 v130, v130, v132
	v_exp_f32_e32 v138, v138
	s_delay_alu instid0(VALU_DEP_2) | instskip(NEXT) | instid1(VALU_DEP_1)
	v_exp_f32_e32 v141, v136
	v_add_f32_e32 v130, v130, v133
	v_exp_f32_e32 v137, v137
	v_cndmask_b32_e64 v134, 0, v135, s13
	s_delay_alu instid0(TRANS32_DEP_3) | instskip(NEXT) | instid1(VALU_DEP_2)
	v_cndmask_b32_e64 v136, 0, v138, s16
	v_add_f32_e32 v130, v130, v134
	s_waitcnt_depctr 0xfff
	v_cndmask_b32_e64 v135, 0, v137, s15
	v_mul_f32_e32 v137, 0x3fb8aa3b, v139
	s_delay_alu instid0(VALU_DEP_2) | instskip(NEXT) | instid1(VALU_DEP_2)
	v_add_f32_e32 v130, v130, v135
	v_exp_f32_e32 v138, v137
	v_cndmask_b32_e64 v137, 0, v141, s17
	s_delay_alu instid0(VALU_DEP_2) | instskip(NEXT) | instid1(VALU_DEP_1)
	v_add_f32_e32 v130, v130, v136
	v_add_f32_e32 v130, v130, v137
	s_waitcnt_depctr 0xfff
	v_cndmask_b32_e64 v138, 0, v138, s18
	s_delay_alu instid0(VALU_DEP_1)
	v_add_f32_e32 v130, v130, v138
	ds_bpermute_b32 v139, v158, v130
	s_and_saveexec_b32 s4, s3
	s_cbranch_execz .LBB394_12
; %bb.11:
	v_mul_u32_u24_e32 v141, 0x44, v149
	s_delay_alu instid0(VALU_DEP_1) | instskip(SKIP_1) | instid1(VALU_DEP_1)
	v_lshl_add_u32 v141, v148, 2, v141
	s_waitcnt lgkmcnt(0)
	v_dual_add_f32 v130, v130, v139 :: v_dual_add_nc_u32 v139, 0x4000, v141
	ds_store_2addr_b32 v139, v129, v130 offset1:136
.LBB394_12:
	s_or_b32 exec_lo, exec_lo, s4
	v_lshlrev_b32_e32 v129, 2, v148
	s_waitcnt lgkmcnt(0)
	s_barrier
	buffer_gl0_inv
	v_cmp_eq_u32_e64 s4, 1, v149
	v_add_nc_u32_e32 v139, 0x4000, v129
	ds_load_2addr_b32 v[141:142], v139 offset1:17
	ds_load_2addr_b32 v[143:144], v139 offset0:34 offset1:51
	ds_load_2addr_b32 v[158:159], v139 offset0:68 offset1:85
	;; [unrolled: 1-line block ×4, first 2 shown]
	s_waitcnt lgkmcnt(4)
	v_max3_f32 v129, v141, 0xff7fffff, v142
	s_waitcnt lgkmcnt(3)
	s_delay_alu instid0(VALU_DEP_1) | instskip(SKIP_1) | instid1(VALU_DEP_1)
	v_max3_f32 v129, v129, v143, v144
	s_waitcnt lgkmcnt(2)
	v_max3_f32 v129, v129, v158, v159
	s_waitcnt lgkmcnt(1)
	s_delay_alu instid0(VALU_DEP_1) | instskip(NEXT) | instid1(VALU_DEP_1)
	v_max3_f32 v129, v129, v160, v161
	v_sub_f32_e32 v158, v158, v129
	s_delay_alu instid0(VALU_DEP_1) | instskip(NEXT) | instid1(VALU_DEP_1)
	v_dual_sub_f32 v150, v142, v129 :: v_dual_mul_f32 v167, 0x3fb8aa3b, v158
	v_dual_sub_f32 v143, v143, v129 :: v_dual_mul_f32 v150, 0x3fb8aa3b, v150
	s_delay_alu instid0(VALU_DEP_1) | instskip(NEXT) | instid1(VALU_DEP_2)
	v_dual_sub_f32 v130, v141, v129 :: v_dual_mul_f32 v165, 0x3fb8aa3b, v143
	v_exp_f32_e32 v150, v150
	s_delay_alu instid0(VALU_DEP_1) | instskip(NEXT) | instid1(VALU_DEP_2)
	v_mul_f32_e32 v130, 0x3fb8aa3b, v130
	v_exp_f32_e32 v165, v165
	s_delay_alu instid0(VALU_DEP_1) | instskip(SKIP_1) | instid1(VALU_DEP_1)
	v_exp_f32_e32 v164, v130
	v_sub_f32_e32 v130, v144, v129
	v_mul_f32_e32 v166, 0x3fb8aa3b, v130
	s_waitcnt lgkmcnt(0)
	s_waitcnt_depctr 0xfff
	v_fma_f32 v130, v164, v162, 0
	v_sub_f32_e32 v162, v159, v129
	s_delay_alu instid0(VALU_DEP_2)
	v_fmac_f32_e32 v130, v150, v163
	ds_load_2addr_b32 v[141:142], v139 offset0:170 offset1:187
	ds_load_2addr_b32 v[143:144], v139 offset0:204 offset1:221
	;; [unrolled: 1-line block ×3, first 2 shown]
	v_sub_f32_e32 v139, v160, v129
	v_exp_f32_e32 v166, v166
	v_mul_f32_e32 v160, 0x3fb8aa3b, v162
	v_exp_f32_e32 v162, v167
	v_cndmask_b32_e64 v150, v164, v150, s4
	v_mul_f32_e32 v139, 0x3fb8aa3b, v139
	v_cmp_eq_u32_e64 s4, 2, v149
	s_waitcnt lgkmcnt(0)
	s_barrier
	buffer_gl0_inv
	v_exp_f32_e32 v139, v139
	v_cndmask_b32_e64 v150, v150, v165, s4
	v_cmp_eq_u32_e64 s4, 3, v149
	v_fmac_f32_e32 v130, v165, v141
	v_sub_f32_e32 v141, v161, v129
	v_exp_f32_e32 v160, v160
	s_delay_alu instid0(VALU_DEP_3) | instskip(SKIP_1) | instid1(VALU_DEP_3)
	v_cndmask_b32_e64 v150, v150, v166, s4
	v_cmp_eq_u32_e64 s4, 4, v149
	v_dual_fmac_f32 v130, v166, v142 :: v_dual_mul_f32 v141, 0x3fb8aa3b, v141
	s_delay_alu instid0(VALU_DEP_2) | instskip(SKIP_1) | instid1(VALU_DEP_3)
	v_cndmask_b32_e64 v150, v150, v162, s4
	v_cmp_eq_u32_e64 s4, 5, v149
	v_exp_f32_e32 v141, v141
	s_delay_alu instid0(VALU_DEP_3)
	v_fmac_f32_e32 v130, v162, v143
	s_delay_alu instid0(TRANS32_DEP_2) | instid1(VALU_DEP_2)
	v_cndmask_b32_e64 v150, v150, v160, s4
	s_delay_alu instid0(VALU_DEP_2) | instskip(NEXT) | instid1(VALU_DEP_1)
	v_fmac_f32_e32 v130, v160, v144
	v_fmac_f32_e32 v130, v139, v158
	s_waitcnt_depctr 0xfff
	v_fmac_f32_e32 v130, v141, v159
	s_delay_alu instid0(VALU_DEP_1) | instskip(NEXT) | instid1(VALU_DEP_1)
	v_add_f32_e32 v142, 0x358637bd, v130
	v_div_scale_f32 v143, null, v142, v142, 1.0
	v_div_scale_f32 v159, vcc_lo, 1.0, v142, 1.0
	s_delay_alu instid0(VALU_DEP_2) | instskip(SKIP_2) | instid1(VALU_DEP_1)
	v_rcp_f32_e32 v144, v143
	s_waitcnt_depctr 0xfff
	v_fma_f32 v158, -v143, v144, 1.0
	v_fmac_f32_e32 v144, v158, v144
	s_delay_alu instid0(VALU_DEP_1) | instskip(NEXT) | instid1(VALU_DEP_1)
	v_mul_f32_e32 v158, v159, v144
	v_fma_f32 v161, -v143, v158, v159
	s_delay_alu instid0(VALU_DEP_1) | instskip(NEXT) | instid1(VALU_DEP_1)
	v_fmac_f32_e32 v158, v161, v144
	v_fma_f32 v143, -v143, v158, v159
	s_delay_alu instid0(VALU_DEP_1) | instskip(SKIP_1) | instid1(VALU_DEP_2)
	v_div_fmas_f32 v143, v143, v144, v158
	v_cmp_eq_u32_e32 vcc_lo, 6, v149
	v_div_fixup_f32 v142, v143, v142, 1.0
	v_cndmask_b32_e32 v139, v150, v139, vcc_lo
	v_cmp_eq_u32_e32 vcc_lo, 7, v149
	s_delay_alu instid0(VALU_DEP_2) | instskip(NEXT) | instid1(VALU_DEP_1)
	v_cndmask_b32_e32 v139, v139, v141, vcc_lo
	v_mul_f32_e32 v139, v139, v142
	s_delay_alu instid0(VALU_DEP_1) | instskip(SKIP_4) | instid1(VALU_DEP_4)
	v_mul_f32_e32 v153, v139, v153
	v_mul_f32_e32 v142, v139, v152
	;; [unrolled: 1-line block ×5, first 2 shown]
	v_dual_mul_f32 v152, v139, v155 :: v_dual_and_b32 v141, 0x7f800000, v142
	v_mul_f32_e32 v154, v139, v154
	v_mul_f32_e32 v144, v139, v151
	s_delay_alu instid0(VALU_DEP_3) | instskip(SKIP_1) | instid1(SALU_CYCLE_1)
	v_cmp_ne_u32_e32 vcc_lo, 0x7f800000, v141
                                        ; implicit-def: $vgpr141
	s_and_saveexec_b32 s4, vcc_lo
	s_xor_b32 s4, exec_lo, s4
; %bb.13:
	v_bfe_u32 v141, v142, 16, 1
	s_delay_alu instid0(VALU_DEP_1)
	v_add3_u32 v141, v142, v141, 0x7fff
                                        ; implicit-def: $vgpr142
; %bb.14:
	s_and_not1_saveexec_b32 s4, s4
; %bb.15:
	v_and_b32_e32 v141, 0xffff, v142
	v_or_b32_e32 v151, 0x10000, v142
	s_delay_alu instid0(VALU_DEP_2) | instskip(NEXT) | instid1(VALU_DEP_2)
	v_cmp_eq_u32_e32 vcc_lo, 0, v141
	v_cndmask_b32_e32 v141, v151, v142, vcc_lo
; %bb.16:
	s_or_b32 exec_lo, exec_lo, s4
	v_and_b32_e32 v142, 0x7f800000, v144
	s_delay_alu instid0(VALU_DEP_1) | instskip(SKIP_1) | instid1(SALU_CYCLE_1)
	v_cmp_ne_u32_e32 vcc_lo, 0x7f800000, v142
                                        ; implicit-def: $vgpr142
	s_and_saveexec_b32 s4, vcc_lo
	s_xor_b32 s4, exec_lo, s4
; %bb.17:
	v_bfe_u32 v142, v144, 16, 1
	s_delay_alu instid0(VALU_DEP_1)
	v_add3_u32 v142, v144, v142, 0x7fff
                                        ; implicit-def: $vgpr144
; %bb.18:
	s_and_not1_saveexec_b32 s4, s4
; %bb.19:
	v_and_b32_e32 v142, 0xffff, v144
	v_or_b32_e32 v151, 0x10000, v144
	s_delay_alu instid0(VALU_DEP_2) | instskip(NEXT) | instid1(VALU_DEP_2)
	v_cmp_eq_u32_e32 vcc_lo, 0, v142
	v_cndmask_b32_e32 v142, v151, v144, vcc_lo
; %bb.20:
	s_or_b32 exec_lo, exec_lo, s4
	v_and_b32_e32 v144, 0x7f800000, v153
	s_delay_alu instid0(VALU_DEP_1) | instskip(SKIP_1) | instid1(SALU_CYCLE_1)
	v_cmp_ne_u32_e32 vcc_lo, 0x7f800000, v144
                                        ; implicit-def: $vgpr144
	s_and_saveexec_b32 s4, vcc_lo
	s_xor_b32 s4, exec_lo, s4
; %bb.21:
	v_bfe_u32 v144, v153, 16, 1
	s_delay_alu instid0(VALU_DEP_1)
	v_add3_u32 v144, v153, v144, 0x7fff
                                        ; implicit-def: $vgpr153
; %bb.22:
	s_and_not1_saveexec_b32 s4, s4
; %bb.23:
	v_and_b32_e32 v144, 0xffff, v153
	v_or_b32_e32 v151, 0x10000, v153
	s_delay_alu instid0(VALU_DEP_2) | instskip(NEXT) | instid1(VALU_DEP_2)
	v_cmp_eq_u32_e32 vcc_lo, 0, v144
	v_cndmask_b32_e32 v144, v151, v153, vcc_lo
; %bb.24:
	s_or_b32 exec_lo, exec_lo, s4
	v_and_b32_e32 v151, 0x7f800000, v154
	s_delay_alu instid0(VALU_DEP_1) | instskip(SKIP_1) | instid1(SALU_CYCLE_1)
	v_cmp_ne_u32_e32 vcc_lo, 0x7f800000, v151
                                        ; implicit-def: $vgpr151
	s_and_saveexec_b32 s4, vcc_lo
	s_xor_b32 s4, exec_lo, s4
; %bb.25:
	v_bfe_u32 v151, v154, 16, 1
	s_delay_alu instid0(VALU_DEP_1)
	v_add3_u32 v151, v154, v151, 0x7fff
                                        ; implicit-def: $vgpr154
; %bb.26:
	s_and_not1_saveexec_b32 s4, s4
; %bb.27:
	v_and_b32_e32 v151, 0xffff, v154
	v_or_b32_e32 v153, 0x10000, v154
	s_delay_alu instid0(VALU_DEP_2) | instskip(NEXT) | instid1(VALU_DEP_2)
	v_cmp_eq_u32_e32 vcc_lo, 0, v151
	v_cndmask_b32_e32 v151, v153, v154, vcc_lo
; %bb.28:
	s_or_b32 exec_lo, exec_lo, s4
	v_and_b32_e32 v153, 0x7f800000, v152
	s_delay_alu instid0(VALU_DEP_1) | instskip(SKIP_1) | instid1(SALU_CYCLE_1)
	v_cmp_ne_u32_e32 vcc_lo, 0x7f800000, v153
                                        ; implicit-def: $vgpr153
	s_and_saveexec_b32 s4, vcc_lo
	s_xor_b32 s4, exec_lo, s4
; %bb.29:
	v_bfe_u32 v153, v152, 16, 1
	s_delay_alu instid0(VALU_DEP_1)
	v_add3_u32 v153, v152, v153, 0x7fff
                                        ; implicit-def: $vgpr152
; %bb.30:
	s_and_not1_saveexec_b32 s4, s4
; %bb.31:
	v_and_b32_e32 v153, 0xffff, v152
	v_or_b32_e32 v154, 0x10000, v152
	s_delay_alu instid0(VALU_DEP_2) | instskip(NEXT) | instid1(VALU_DEP_2)
	v_cmp_eq_u32_e32 vcc_lo, 0, v153
	v_cndmask_b32_e32 v153, v154, v152, vcc_lo
; %bb.32:
	s_or_b32 exec_lo, exec_lo, s4
	v_and_b32_e32 v152, 0x7f800000, v150
	s_delay_alu instid0(VALU_DEP_1) | instskip(SKIP_1) | instid1(SALU_CYCLE_1)
	v_cmp_ne_u32_e32 vcc_lo, 0x7f800000, v152
                                        ; implicit-def: $vgpr152
	s_and_saveexec_b32 s4, vcc_lo
	s_xor_b32 s4, exec_lo, s4
; %bb.33:
	v_bfe_u32 v152, v150, 16, 1
	s_delay_alu instid0(VALU_DEP_1)
	v_add3_u32 v152, v150, v152, 0x7fff
                                        ; implicit-def: $vgpr150
; %bb.34:
	s_and_not1_saveexec_b32 s4, s4
; %bb.35:
	v_and_b32_e32 v152, 0xffff, v150
	v_or_b32_e32 v154, 0x10000, v150
	s_delay_alu instid0(VALU_DEP_2) | instskip(NEXT) | instid1(VALU_DEP_2)
	v_cmp_eq_u32_e32 vcc_lo, 0, v152
	v_cndmask_b32_e32 v152, v154, v150, vcc_lo
; %bb.36:
	s_or_b32 exec_lo, exec_lo, s4
	v_and_b32_e32 v150, 0x7f800000, v143
	s_delay_alu instid0(VALU_DEP_1) | instskip(SKIP_1) | instid1(SALU_CYCLE_1)
	v_cmp_ne_u32_e32 vcc_lo, 0x7f800000, v150
                                        ; implicit-def: $vgpr150
	s_and_saveexec_b32 s4, vcc_lo
	s_xor_b32 s4, exec_lo, s4
; %bb.37:
	v_bfe_u32 v150, v143, 16, 1
	s_delay_alu instid0(VALU_DEP_1)
	v_add3_u32 v150, v143, v150, 0x7fff
                                        ; implicit-def: $vgpr143
; %bb.38:
	s_and_not1_saveexec_b32 s4, s4
; %bb.39:
	v_and_b32_e32 v150, 0xffff, v143
	v_or_b32_e32 v154, 0x10000, v143
	s_delay_alu instid0(VALU_DEP_2) | instskip(NEXT) | instid1(VALU_DEP_2)
	v_cmp_eq_u32_e32 vcc_lo, 0, v150
	v_cndmask_b32_e32 v150, v154, v143, vcc_lo
; %bb.40:
	s_or_b32 exec_lo, exec_lo, s4
	v_and_b32_e32 v143, 0x7f800000, v140
	s_delay_alu instid0(VALU_DEP_1) | instskip(SKIP_1) | instid1(SALU_CYCLE_1)
	v_cmp_ne_u32_e32 vcc_lo, 0x7f800000, v143
                                        ; implicit-def: $vgpr143
	s_and_saveexec_b32 s4, vcc_lo
	s_xor_b32 s4, exec_lo, s4
; %bb.41:
	v_bfe_u32 v143, v140, 16, 1
	s_delay_alu instid0(VALU_DEP_1)
	v_add3_u32 v143, v140, v143, 0x7fff
                                        ; implicit-def: $vgpr140
; %bb.42:
	s_and_not1_saveexec_b32 s4, s4
; %bb.43:
	v_and_b32_e32 v143, 0xffff, v140
	v_or_b32_e32 v154, 0x10000, v140
	s_delay_alu instid0(VALU_DEP_2) | instskip(NEXT) | instid1(VALU_DEP_2)
	v_cmp_eq_u32_e32 vcc_lo, 0, v143
	v_cndmask_b32_e32 v143, v154, v140, vcc_lo
; %bb.44:
	s_or_b32 exec_lo, exec_lo, s4
	s_load_b64 s[36:37], s[0:1], 0x94
	v_dual_mul_f32 v136, v139, v136 :: v_dual_lshlrev_b32 v155, 4, v146
	s_delay_alu instid0(VALU_DEP_2)
	v_perm_b32 v154, v143, v150, 0x7060302
	v_dual_mul_f32 v143, v139, v131 :: v_dual_lshlrev_b32 v140, 6, v148
	v_dual_mul_f32 v135, v139, v135 :: v_dual_lshlrev_b32 v150, 11, v149
	v_perm_b32 v153, v152, v153, 0x7060302
	v_perm_b32 v152, v151, v144, 0x7060302
	;; [unrolled: 1-line block ×3, first 2 shown]
	s_delay_alu instid0(VALU_DEP_4)
	v_or3_b32 v131, v155, v150, v140
	v_mul_f32_e32 v138, v139, v138
	v_dual_mul_f32 v137, v139, v137 :: v_dual_and_b32 v144, 0x7f800000, v143
	v_mul_f32_e32 v141, v139, v134
	v_mul_f32_e32 v142, v139, v133
	;; [unrolled: 1-line block ×3, first 2 shown]
	s_mov_b32 s4, exec_lo
	ds_store_b128 v131, v[151:154]
                                        ; implicit-def: $vgpr132
	v_cmpx_ne_u32_e32 0x7f800000, v144
	s_xor_b32 s4, exec_lo, s4
; %bb.45:
	v_bfe_u32 v132, v143, 16, 1
	s_delay_alu instid0(VALU_DEP_1)
	v_add3_u32 v132, v143, v132, 0x7fff
                                        ; implicit-def: $vgpr143
; %bb.46:
	s_and_not1_saveexec_b32 s4, s4
; %bb.47:
	v_and_b32_e32 v132, 0xffff, v143
	v_or_b32_e32 v133, 0x10000, v143
	s_delay_alu instid0(VALU_DEP_2) | instskip(NEXT) | instid1(VALU_DEP_2)
	v_cmp_eq_u32_e32 vcc_lo, 0, v132
	v_cndmask_b32_e32 v132, v133, v143, vcc_lo
; %bb.48:
	s_or_b32 exec_lo, exec_lo, s4
	v_and_b32_e32 v133, 0x7f800000, v134
	s_delay_alu instid0(VALU_DEP_1) | instskip(SKIP_1) | instid1(SALU_CYCLE_1)
	v_cmp_ne_u32_e32 vcc_lo, 0x7f800000, v133
                                        ; implicit-def: $vgpr133
	s_and_saveexec_b32 s4, vcc_lo
	s_xor_b32 s4, exec_lo, s4
; %bb.49:
	v_bfe_u32 v133, v134, 16, 1
	s_delay_alu instid0(VALU_DEP_1)
	v_add3_u32 v133, v134, v133, 0x7fff
                                        ; implicit-def: $vgpr134
; %bb.50:
	s_and_not1_saveexec_b32 s4, s4
; %bb.51:
	v_and_b32_e32 v133, 0xffff, v134
	v_or_b32_e32 v139, 0x10000, v134
	s_delay_alu instid0(VALU_DEP_2) | instskip(NEXT) | instid1(VALU_DEP_2)
	v_cmp_eq_u32_e32 vcc_lo, 0, v133
	v_cndmask_b32_e32 v133, v139, v134, vcc_lo
; %bb.52:
	s_or_b32 exec_lo, exec_lo, s4
	v_and_b32_e32 v134, 0x7f800000, v142
	s_delay_alu instid0(VALU_DEP_1) | instskip(SKIP_1) | instid1(SALU_CYCLE_1)
	v_cmp_ne_u32_e32 vcc_lo, 0x7f800000, v134
                                        ; implicit-def: $vgpr134
	s_and_saveexec_b32 s4, vcc_lo
	s_xor_b32 s4, exec_lo, s4
; %bb.53:
	v_bfe_u32 v134, v142, 16, 1
	s_delay_alu instid0(VALU_DEP_1)
	v_add3_u32 v134, v142, v134, 0x7fff
                                        ; implicit-def: $vgpr142
; %bb.54:
	s_and_not1_saveexec_b32 s4, s4
; %bb.55:
	v_and_b32_e32 v134, 0xffff, v142
	v_or_b32_e32 v139, 0x10000, v142
	s_delay_alu instid0(VALU_DEP_2) | instskip(NEXT) | instid1(VALU_DEP_2)
	v_cmp_eq_u32_e32 vcc_lo, 0, v134
	v_cndmask_b32_e32 v134, v139, v142, vcc_lo
; %bb.56:
	s_or_b32 exec_lo, exec_lo, s4
	v_and_b32_e32 v139, 0x7f800000, v141
	s_delay_alu instid0(VALU_DEP_1) | instskip(SKIP_1) | instid1(SALU_CYCLE_1)
	v_cmp_ne_u32_e32 vcc_lo, 0x7f800000, v139
                                        ; implicit-def: $vgpr139
	s_and_saveexec_b32 s4, vcc_lo
	s_xor_b32 s4, exec_lo, s4
; %bb.57:
	v_bfe_u32 v139, v141, 16, 1
	s_delay_alu instid0(VALU_DEP_1)
	v_add3_u32 v139, v141, v139, 0x7fff
                                        ; implicit-def: $vgpr141
; %bb.58:
	s_and_not1_saveexec_b32 s4, s4
; %bb.59:
	v_and_b32_e32 v139, 0xffff, v141
	v_or_b32_e32 v142, 0x10000, v141
	s_delay_alu instid0(VALU_DEP_2) | instskip(NEXT) | instid1(VALU_DEP_2)
	v_cmp_eq_u32_e32 vcc_lo, 0, v139
	v_cndmask_b32_e32 v139, v142, v141, vcc_lo
; %bb.60:
	s_or_b32 exec_lo, exec_lo, s4
	v_and_b32_e32 v141, 0x7f800000, v135
	s_delay_alu instid0(VALU_DEP_1) | instskip(SKIP_1) | instid1(SALU_CYCLE_1)
	v_cmp_ne_u32_e32 vcc_lo, 0x7f800000, v141
                                        ; implicit-def: $vgpr141
	s_and_saveexec_b32 s4, vcc_lo
	s_xor_b32 s4, exec_lo, s4
; %bb.61:
	v_bfe_u32 v141, v135, 16, 1
	s_delay_alu instid0(VALU_DEP_1)
	v_add3_u32 v141, v135, v141, 0x7fff
                                        ; implicit-def: $vgpr135
; %bb.62:
	s_and_not1_saveexec_b32 s4, s4
; %bb.63:
	v_and_b32_e32 v141, 0xffff, v135
	v_or_b32_e32 v142, 0x10000, v135
	s_delay_alu instid0(VALU_DEP_2) | instskip(NEXT) | instid1(VALU_DEP_2)
	v_cmp_eq_u32_e32 vcc_lo, 0, v141
	v_cndmask_b32_e32 v141, v142, v135, vcc_lo
; %bb.64:
	s_or_b32 exec_lo, exec_lo, s4
	v_and_b32_e32 v135, 0x7f800000, v136
	s_delay_alu instid0(VALU_DEP_1) | instskip(SKIP_1) | instid1(SALU_CYCLE_1)
	v_cmp_ne_u32_e32 vcc_lo, 0x7f800000, v135
                                        ; implicit-def: $vgpr135
	s_and_saveexec_b32 s4, vcc_lo
	s_xor_b32 s4, exec_lo, s4
; %bb.65:
	v_bfe_u32 v135, v136, 16, 1
	s_delay_alu instid0(VALU_DEP_1)
	v_add3_u32 v135, v136, v135, 0x7fff
                                        ; implicit-def: $vgpr136
; %bb.66:
	s_and_not1_saveexec_b32 s4, s4
; %bb.67:
	v_and_b32_e32 v135, 0xffff, v136
	v_or_b32_e32 v142, 0x10000, v136
	s_delay_alu instid0(VALU_DEP_2) | instskip(NEXT) | instid1(VALU_DEP_2)
	v_cmp_eq_u32_e32 vcc_lo, 0, v135
	v_cndmask_b32_e32 v135, v142, v136, vcc_lo
; %bb.68:
	s_or_b32 exec_lo, exec_lo, s4
	v_and_b32_e32 v136, 0x7f800000, v137
	s_delay_alu instid0(VALU_DEP_1) | instskip(SKIP_1) | instid1(SALU_CYCLE_1)
	v_cmp_ne_u32_e32 vcc_lo, 0x7f800000, v136
                                        ; implicit-def: $vgpr136
	s_and_saveexec_b32 s4, vcc_lo
	s_xor_b32 s4, exec_lo, s4
; %bb.69:
	v_bfe_u32 v136, v137, 16, 1
	s_delay_alu instid0(VALU_DEP_1)
	v_add3_u32 v136, v137, v136, 0x7fff
                                        ; implicit-def: $vgpr137
; %bb.70:
	s_and_not1_saveexec_b32 s4, s4
; %bb.71:
	v_and_b32_e32 v136, 0xffff, v137
	v_or_b32_e32 v142, 0x10000, v137
	s_delay_alu instid0(VALU_DEP_2) | instskip(NEXT) | instid1(VALU_DEP_2)
	v_cmp_eq_u32_e32 vcc_lo, 0, v136
	v_cndmask_b32_e32 v136, v142, v137, vcc_lo
; %bb.72:
	s_or_b32 exec_lo, exec_lo, s4
	v_and_b32_e32 v137, 0x7f800000, v138
	s_delay_alu instid0(VALU_DEP_1) | instskip(SKIP_1) | instid1(SALU_CYCLE_1)
	v_cmp_ne_u32_e32 vcc_lo, 0x7f800000, v137
                                        ; implicit-def: $vgpr137
	s_and_saveexec_b32 s4, vcc_lo
	s_xor_b32 s4, exec_lo, s4
; %bb.73:
	v_bfe_u32 v137, v138, 16, 1
	s_delay_alu instid0(VALU_DEP_1)
	v_add3_u32 v137, v138, v137, 0x7fff
                                        ; implicit-def: $vgpr138
; %bb.74:
	s_and_not1_saveexec_b32 s4, s4
; %bb.75:
	v_and_b32_e32 v137, 0xffff, v138
	v_or_b32_e32 v142, 0x10000, v138
	s_delay_alu instid0(VALU_DEP_2) | instskip(NEXT) | instid1(VALU_DEP_2)
	v_cmp_eq_u32_e32 vcc_lo, 0, v137
	v_cndmask_b32_e32 v137, v142, v138, vcc_lo
; %bb.76:
	s_or_b32 exec_lo, exec_lo, s4
	s_delay_alu instid0(VALU_DEP_1)
	v_perm_b32 v136, v137, v136, 0x7060302
	v_perm_b32 v135, v135, v141, 0x7060302
	v_perm_b32 v134, v139, v134, 0x7060302
	v_perm_b32 v133, v133, v132, 0x7060302
	v_lshl_or_b32 v141, v149, 11, v140
	ds_store_b128 v131, v[133:136] offset:1024
	s_waitcnt lgkmcnt(0)
	s_barrier
	buffer_gl0_inv
	ds_load_b128 v[132:135], v141
	ds_load_b128 v[149:152], v141 offset:16
	s_waitcnt lgkmcnt(1)
	v_lshrrev_b32_e32 v136, 16, v132
	s_waitcnt lgkmcnt(0)
	v_lshrrev_b32_e32 v164, 16, v151
	v_lshlrev_b32_e32 v138, 2, v146
	v_lshrrev_b32_e32 v143, 16, v149
	v_lshrrev_b32_e32 v162, 16, v150
	;; [unrolled: 1-line block ×4, first 2 shown]
	v_or_b32_e32 v139, 1, v138
	v_lshrrev_b32_e32 v165, 16, v152
	v_lshrrev_b32_e32 v163, 16, v135
	s_delay_alu instid0(VALU_DEP_3)
	v_cmp_eq_u32_e64 s8, 1, v139
	v_cmp_eq_u32_e64 s7, 2, v139
	v_cmp_eq_u32_e64 s6, 3, v139
	v_cmp_eq_u32_e64 s4, 4, v139
	v_cmp_eq_u32_e32 vcc_lo, 5, v139
	v_cndmask_b32_e64 v155, v149, v143, s8
	v_cndmask_b32_e64 v154, v132, v136, s8
	v_cmp_eq_u32_e64 s5, 6, v139
	v_cmp_eq_u32_e64 s20, 7, v139
	s_delay_alu instid0(VALU_DEP_4) | instskip(NEXT) | instid1(VALU_DEP_4)
	v_cndmask_b32_e64 v155, v155, v150, s7
	v_cndmask_b32_e64 v154, v154, v133, s7
	s_delay_alu instid0(VALU_DEP_2) | instskip(NEXT) | instid1(VALU_DEP_2)
	v_cndmask_b32_e64 v155, v155, v162, s6
	v_cndmask_b32_e64 v154, v154, v144, s6
	s_delay_alu instid0(VALU_DEP_2) | instskip(NEXT) | instid1(VALU_DEP_2)
	v_cndmask_b32_e64 v155, v155, v151, s4
	v_cndmask_b32_e64 v154, v154, v134, s4
	s_delay_alu instid0(VALU_DEP_2)
	v_cndmask_b32_e32 v157, v155, v164, vcc_lo
	v_cmp_eq_u32_e64 s13, 1, v138
	v_cmp_eq_u32_e64 s12, 2, v138
	;; [unrolled: 1-line block ×3, first 2 shown]
	v_or_b32_e32 v137, 2, v138
	v_cmp_eq_u32_e64 s18, 4, v138
	v_cndmask_b32_e64 v153, v149, v143, s13
	v_cndmask_b32_e64 v142, v132, v136, s13
	v_cmp_eq_u32_e64 s15, 5, v138
	v_cmp_eq_u32_e64 s9, 1, v137
	;; [unrolled: 1-line block ×3, first 2 shown]
	v_cndmask_b32_e64 v153, v153, v150, s12
	v_cndmask_b32_e64 v142, v142, v133, s12
	v_cmp_eq_u32_e64 s11, 2, v137
	v_cndmask_b32_e64 v156, v132, v136, s9
	v_cndmask_b32_e32 v154, v154, v161, vcc_lo
	v_cndmask_b32_e64 v153, v153, v162, s17
	v_cndmask_b32_e64 v142, v142, v144, s17
	v_cmp_eq_u32_e64 s10, 7, v138
	v_cndmask_b32_e64 v156, v156, v133, s11
	v_cmp_eq_u32_e64 s19, 3, v137
	v_cndmask_b32_e64 v153, v153, v151, s18
	v_cndmask_b32_e64 v142, v142, v134, s18
	;; [unrolled: 1-line block ×3, first 2 shown]
	v_cmp_eq_u32_e64 s21, 4, v137
	v_cndmask_b32_e64 v156, v156, v144, s19
	v_cndmask_b32_e64 v153, v153, v164, s15
	;; [unrolled: 1-line block ×4, first 2 shown]
	v_cmp_eq_u32_e64 s23, 5, v137
	v_cndmask_b32_e64 v159, v156, v134, s21
	v_cndmask_b32_e64 v153, v153, v152, s16
	v_cndmask_b32_e64 v142, v142, v135, s16
	v_cmp_eq_u32_e64 s26, 6, v137
	v_cmp_eq_u32_e64 s28, 7, v137
	v_cndmask_b32_e64 v169, v159, v161, s23
	v_cndmask_b32_e64 v167, v153, v165, s10
	;; [unrolled: 1-line block ×4, first 2 shown]
	v_or_b32_e32 v142, 3, v138
	s_delay_alu instid0(VALU_DEP_3)
	v_cndmask_b32_e64 v158, v153, v150, s11
	ds_load_b128 v[153:156], v141 offset:1024
	v_cmp_eq_u32_e64 s22, 1, v142
	v_cmp_eq_u32_e64 s24, 2, v142
	;; [unrolled: 1-line block ×3, first 2 shown]
	v_cndmask_b32_e64 v158, v158, v162, s19
	v_cmp_eq_u32_e64 s27, 4, v142
	v_cndmask_b32_e64 v132, v132, v136, s22
	v_cndmask_b32_e64 v136, v157, v152, s5
	;; [unrolled: 1-line block ×4, first 2 shown]
	ds_load_b128 v[157:160], v141 offset:1040
	v_cndmask_b32_e64 v132, v132, v133, s24
	v_cmp_eq_u32_e64 s29, 5, v142
	v_cndmask_b32_e64 v143, v143, v150, s24
	v_cmp_eq_u32_e64 s30, 6, v142
	v_cndmask_b32_e64 v133, v170, v164, s23
	v_cndmask_b32_e64 v132, v132, v144, s25
	v_cndmask_b32_e64 v144, v169, v135, s26
	v_cndmask_b32_e64 v143, v143, v162, s25
	v_cndmask_b32_e64 v136, v136, v165, s20
	s_waitcnt lgkmcnt(1)
	v_lshrrev_b32_e32 v149, 16, v153
	v_cndmask_b32_e64 v132, v132, v134, s27
	v_cndmask_b32_e64 v133, v133, v152, s26
	;; [unrolled: 1-line block ×3, first 2 shown]
	v_lshrrev_b32_e32 v151, 16, v154
	v_cndmask_b32_e64 v143, v153, v149, s13
	v_cndmask_b32_e64 v132, v132, v161, s29
	v_cndmask_b32_e64 v161, v153, v149, s8
	v_cndmask_b32_e64 v134, v134, v164, s29
	v_cndmask_b32_e64 v144, v144, v163, s28
	s_waitcnt lgkmcnt(0)
	v_lshrrev_b32_e32 v150, 16, v157
	v_cndmask_b32_e64 v143, v143, v154, s12
	v_cndmask_b32_e64 v132, v132, v135, s30
	;; [unrolled: 1-line block ×3, first 2 shown]
	v_lshrrev_b32_e32 v164, 16, v159
	v_cndmask_b32_e64 v162, v157, v150, s13
	v_cndmask_b32_e64 v135, v143, v151, s17
	;; [unrolled: 1-line block ×3, first 2 shown]
	v_lshrrev_b32_e32 v161, 16, v158
	v_cndmask_b32_e64 v133, v133, v165, s28
	v_cndmask_b32_e64 v152, v162, v158, s12
	v_cmp_eq_u32_e64 s12, 7, v142
	v_cndmask_b32_e64 v143, v143, v151, s6
	v_cndmask_b32_e64 v135, v135, v155, s18
	v_lshrrev_b32_e32 v162, 16, v155
	v_cndmask_b32_e64 v152, v152, v161, s17
	v_cndmask_b32_e64 v132, v132, v163, s12
	;; [unrolled: 1-line block ×6, first 2 shown]
	s_delay_alu instid0(VALU_DEP_4) | instskip(NEXT) | instid1(VALU_DEP_4)
	v_perm_b32 v135, v134, v132, 0x5040100
	v_cndmask_b32_e32 v132, v143, v162, vcc_lo
	s_delay_alu instid0(VALU_DEP_4)
	v_cndmask_b32_e64 v143, v163, v156, s16
	v_lshrrev_b32_e32 v163, 16, v156
	v_cndmask_b32_e64 v152, v152, v164, s15
	v_perm_b32 v134, v133, v144, 0x5040100
	v_cndmask_b32_e64 v132, v132, v156, s5
	v_perm_b32 v133, v136, v168, 0x5040100
	v_cndmask_b32_e64 v136, v143, v163, s10
	v_cndmask_b32_e64 v143, v152, v160, s16
	;; [unrolled: 1-line block ×13, first 2 shown]
	v_lshrrev_b32_e32 v144, 16, v160
	v_cndmask_b32_e64 v132, v132, v151, s19
	v_cndmask_b32_e64 v149, v149, v151, s25
	v_cndmask_b32_e64 v151, v152, v161, s25
	v_cndmask_b32_e64 v152, v153, v161, s19
	v_cndmask_b32_e64 v150, v150, v161, s6
	v_cndmask_b32_e64 v132, v132, v155, s21
	v_cndmask_b32_e64 v149, v149, v155, s27
	v_cndmask_b32_e64 v151, v151, v159, s27
	v_cndmask_b32_e64 v152, v152, v159, s21
	v_cndmask_b32_e64 v150, v150, v159, s4
	v_cndmask_b32_e64 v132, v132, v162, s23
	v_cndmask_b32_e64 v149, v149, v162, s29
	v_cndmask_b32_e64 v151, v151, v164, s29
	v_cndmask_b32_e64 v152, v152, v164, s23
	v_cndmask_b32_e32 v150, v150, v164, vcc_lo
	v_cndmask_b32_e64 v132, v132, v156, s26
	v_cndmask_b32_e64 v149, v149, v156, s30
	;; [unrolled: 1-line block ×11, first 2 shown]
	v_perm_b32 v132, v167, v166, 0x5040100
	v_perm_b32 v152, v151, v149, 0x5040100
	;; [unrolled: 1-line block ×5, first 2 shown]
	s_mul_i32 s9, s37, 9
	s_mov_b32 s4, exec_lo
	ds_store_b128 v131, v[132:135]
	ds_store_b128 v131, v[149:152] offset:1024
	v_cmpx_gt_u32_e32 9, v0
	s_cbranch_execz .LBB394_78
; %bb.77:
	s_mul_i32 s5, s9, s34
	s_load_b128 s[16:19], s[0:1], 0x58
	v_add3_u32 v133, s5, s31, v148
	s_delay_alu instid0(VALU_DEP_1) | instskip(NEXT) | instid1(VALU_DEP_1)
	v_mad_u64_u32 v[131:132], null, v133, s36, s[14:15]
	v_ashrrev_i32_e32 v132, 31, v131
	s_delay_alu instid0(VALU_DEP_1) | instskip(SKIP_1) | instid1(VALU_DEP_1)
	v_lshlrev_b64 v[131:132], 2, v[131:132]
	s_waitcnt lgkmcnt(0)
	v_add_co_u32 v133, vcc_lo, s18, v131
	s_delay_alu instid0(VALU_DEP_2)
	v_add_co_ci_u32_e32 v134, vcc_lo, s19, v132, vcc_lo
	v_add_co_u32 v131, vcc_lo, s16, v131
	v_add_co_ci_u32_e32 v132, vcc_lo, s17, v132, vcc_lo
	global_store_b32 v[133:134], v129, off
	global_store_b32 v[131:132], v130, off
.LBB394_78:
	s_or_b32 exec_lo, exec_lo, s4
	s_waitcnt lgkmcnt(0)
	s_waitcnt_vscnt null, 0x0
	s_barrier
	buffer_gl0_inv
	ds_load_b128 v[148:151], v140
	ds_load_b128 v[152:155], v140 offset:16
	ds_load_b128 v[160:163], v140 offset:1040
	;; [unrolled: 1-line block ×3, first 2 shown]
	v_mov_b32_e32 v129, 0
	ds_load_b128 v[168:171], v140 offset:2064
	ds_load_b128 v[164:167], v140 offset:2048
	ds_load_b128 v[176:179], v140 offset:3088
	ds_load_b128 v[172:175], v140 offset:3072
	ds_load_b128 v[184:187], v140 offset:4112
	ds_load_b128 v[180:183], v140 offset:4096
	v_mov_b32_e32 v130, v129
	v_mov_b32_e32 v131, v129
	;; [unrolled: 1-line block ×7, first 2 shown]
	s_waitcnt lgkmcnt(8)
	s_delay_alu instid0(VALU_DEP_1)
	v_wmma_f32_16x16x16_bf16 v[129:136], v[121:128], v[148:155], v[129:136]
	ds_load_b128 v[125:128], v140 offset:5136
	ds_load_b128 v[121:124], v140 offset:5120
	s_waitcnt lgkmcnt(8)
	v_wmma_f32_16x16x16_bf16 v[129:136], v[113:120], v[156:163], v[129:136]
	ds_load_b128 v[117:120], v140 offset:6160
	ds_load_b128 v[113:116], v140 offset:6144
	s_waitcnt lgkmcnt(8)
	;; [unrolled: 4-line block ×8, first 2 shown]
	v_wmma_f32_16x16x16_bf16 v[129:136], v[65:72], v[97:104], v[129:136]
	s_waitcnt lgkmcnt(6)
	s_delay_alu instid0(VALU_DEP_1)
	v_wmma_f32_16x16x16_bf16 v[129:136], v[49:56], v[89:96], v[129:136]
	ds_load_b128 v[53:56], v140 offset:13328
	ds_load_b128 v[49:52], v140 offset:13312
	s_waitcnt lgkmcnt(6)
	v_wmma_f32_16x16x16_bf16 v[129:136], v[41:48], v[81:88], v[129:136]
	ds_load_b128 v[45:48], v140 offset:14352
	ds_load_b128 v[41:44], v140 offset:14336
	s_waitcnt lgkmcnt(6)
	;; [unrolled: 4-line block ×3, first 2 shown]
	v_wmma_f32_16x16x16_bf16 v[129:136], v[1:8], v[57:64], v[129:136]
	s_waitcnt lgkmcnt(4)
	s_delay_alu instid0(VALU_DEP_1) | instskip(SKIP_1) | instid1(VALU_DEP_1)
	v_wmma_f32_16x16x16_bf16 v[129:136], v[25:32], v[49:56], v[129:136]
	s_waitcnt lgkmcnt(2)
	v_wmma_f32_16x16x16_bf16 v[129:136], v[33:40], v[41:48], v[129:136]
	s_waitcnt lgkmcnt(0)
	s_delay_alu instid0(VALU_DEP_1) | instskip(NEXT) | instid1(VALU_DEP_1)
	v_wmma_f32_16x16x16_bf16 v[129:136], v[9:16], v[17:24], v[129:136]
	v_and_b32_e32 v1, 0x7f800000, v129
	s_delay_alu instid0(VALU_DEP_1) | instskip(SKIP_1) | instid1(SALU_CYCLE_1)
	v_cmp_ne_u32_e32 vcc_lo, 0x7f800000, v1
                                        ; implicit-def: $vgpr1
	s_and_saveexec_b32 s4, vcc_lo
	s_xor_b32 s4, exec_lo, s4
; %bb.79:
	v_bfe_u32 v1, v129, 16, 1
	s_delay_alu instid0(VALU_DEP_1)
	v_add3_u32 v1, v129, v1, 0x7fff
; %bb.80:
	s_and_not1_saveexec_b32 s4, s4
; %bb.81:
	v_and_b32_e32 v1, 0xffff, v129
	v_or_b32_e32 v2, 0x10000, v129
	s_delay_alu instid0(VALU_DEP_2) | instskip(NEXT) | instid1(VALU_DEP_2)
	v_cmp_eq_u32_e32 vcc_lo, 0, v1
	v_cndmask_b32_e32 v1, v2, v129, vcc_lo
; %bb.82:
	s_or_b32 exec_lo, exec_lo, s4
	v_and_b32_e32 v2, 0x7f800000, v130
	s_delay_alu instid0(VALU_DEP_1) | instskip(SKIP_1) | instid1(SALU_CYCLE_1)
	v_cmp_ne_u32_e32 vcc_lo, 0x7f800000, v2
                                        ; implicit-def: $vgpr2
	s_and_saveexec_b32 s4, vcc_lo
	s_xor_b32 s4, exec_lo, s4
; %bb.83:
	v_bfe_u32 v2, v130, 16, 1
	s_delay_alu instid0(VALU_DEP_1)
	v_add3_u32 v2, v130, v2, 0x7fff
; %bb.84:
	s_and_not1_saveexec_b32 s4, s4
; %bb.85:
	v_and_b32_e32 v2, 0xffff, v130
	v_or_b32_e32 v3, 0x10000, v130
	s_delay_alu instid0(VALU_DEP_2) | instskip(NEXT) | instid1(VALU_DEP_2)
	v_cmp_eq_u32_e32 vcc_lo, 0, v2
	v_cndmask_b32_e32 v2, v3, v130, vcc_lo
; %bb.86:
	s_or_b32 exec_lo, exec_lo, s4
	v_and_b32_e32 v3, 0x7f800000, v131
	s_delay_alu instid0(VALU_DEP_1) | instskip(SKIP_1) | instid1(SALU_CYCLE_1)
	v_cmp_ne_u32_e32 vcc_lo, 0x7f800000, v3
                                        ; implicit-def: $vgpr3
	s_and_saveexec_b32 s4, vcc_lo
	s_xor_b32 s4, exec_lo, s4
; %bb.87:
	v_bfe_u32 v3, v131, 16, 1
	s_delay_alu instid0(VALU_DEP_1)
	v_add3_u32 v3, v131, v3, 0x7fff
; %bb.88:
	s_and_not1_saveexec_b32 s4, s4
; %bb.89:
	v_and_b32_e32 v3, 0xffff, v131
	v_or_b32_e32 v4, 0x10000, v131
	s_delay_alu instid0(VALU_DEP_2) | instskip(NEXT) | instid1(VALU_DEP_2)
	v_cmp_eq_u32_e32 vcc_lo, 0, v3
	v_cndmask_b32_e32 v3, v4, v131, vcc_lo
; %bb.90:
	s_or_b32 exec_lo, exec_lo, s4
	v_and_b32_e32 v4, 0x7f800000, v132
	s_delay_alu instid0(VALU_DEP_1) | instskip(SKIP_1) | instid1(SALU_CYCLE_1)
	v_cmp_ne_u32_e32 vcc_lo, 0x7f800000, v4
                                        ; implicit-def: $vgpr4
	s_and_saveexec_b32 s4, vcc_lo
	s_xor_b32 s4, exec_lo, s4
; %bb.91:
	v_bfe_u32 v4, v132, 16, 1
	s_delay_alu instid0(VALU_DEP_1)
	v_add3_u32 v4, v132, v4, 0x7fff
; %bb.92:
	s_and_not1_saveexec_b32 s4, s4
; %bb.93:
	v_and_b32_e32 v4, 0xffff, v132
	v_or_b32_e32 v5, 0x10000, v132
	s_delay_alu instid0(VALU_DEP_2) | instskip(NEXT) | instid1(VALU_DEP_2)
	v_cmp_eq_u32_e32 vcc_lo, 0, v4
	v_cndmask_b32_e32 v4, v5, v132, vcc_lo
; %bb.94:
	s_or_b32 exec_lo, exec_lo, s4
	v_and_b32_e32 v5, 0x7f800000, v133
	s_delay_alu instid0(VALU_DEP_1) | instskip(SKIP_1) | instid1(SALU_CYCLE_1)
	v_cmp_ne_u32_e32 vcc_lo, 0x7f800000, v5
                                        ; implicit-def: $vgpr5
	s_and_saveexec_b32 s4, vcc_lo
	s_xor_b32 s4, exec_lo, s4
; %bb.95:
	v_bfe_u32 v5, v133, 16, 1
	s_delay_alu instid0(VALU_DEP_1)
	v_add3_u32 v5, v133, v5, 0x7fff
; %bb.96:
	s_and_not1_saveexec_b32 s4, s4
; %bb.97:
	v_and_b32_e32 v5, 0xffff, v133
	v_or_b32_e32 v6, 0x10000, v133
	s_delay_alu instid0(VALU_DEP_2) | instskip(NEXT) | instid1(VALU_DEP_2)
	v_cmp_eq_u32_e32 vcc_lo, 0, v5
	v_cndmask_b32_e32 v5, v6, v133, vcc_lo
; %bb.98:
	s_or_b32 exec_lo, exec_lo, s4
	v_and_b32_e32 v6, 0x7f800000, v134
	s_delay_alu instid0(VALU_DEP_1) | instskip(SKIP_1) | instid1(SALU_CYCLE_1)
	v_cmp_ne_u32_e32 vcc_lo, 0x7f800000, v6
                                        ; implicit-def: $vgpr6
	s_and_saveexec_b32 s4, vcc_lo
	s_xor_b32 s4, exec_lo, s4
; %bb.99:
	v_bfe_u32 v6, v134, 16, 1
	s_delay_alu instid0(VALU_DEP_1)
	v_add3_u32 v6, v134, v6, 0x7fff
; %bb.100:
	s_and_not1_saveexec_b32 s4, s4
; %bb.101:
	v_and_b32_e32 v6, 0xffff, v134
	v_or_b32_e32 v7, 0x10000, v134
	s_delay_alu instid0(VALU_DEP_2) | instskip(NEXT) | instid1(VALU_DEP_2)
	v_cmp_eq_u32_e32 vcc_lo, 0, v6
	v_cndmask_b32_e32 v6, v7, v134, vcc_lo
; %bb.102:
	s_or_b32 exec_lo, exec_lo, s4
	v_and_b32_e32 v7, 0x7f800000, v135
	s_delay_alu instid0(VALU_DEP_1) | instskip(SKIP_1) | instid1(SALU_CYCLE_1)
	v_cmp_ne_u32_e32 vcc_lo, 0x7f800000, v7
                                        ; implicit-def: $vgpr7
	s_and_saveexec_b32 s4, vcc_lo
	s_xor_b32 s4, exec_lo, s4
; %bb.103:
	v_bfe_u32 v7, v135, 16, 1
	s_delay_alu instid0(VALU_DEP_1)
	v_add3_u32 v7, v135, v7, 0x7fff
; %bb.104:
	s_and_not1_saveexec_b32 s4, s4
; %bb.105:
	v_and_b32_e32 v7, 0xffff, v135
	v_or_b32_e32 v8, 0x10000, v135
	s_delay_alu instid0(VALU_DEP_2) | instskip(NEXT) | instid1(VALU_DEP_2)
	v_cmp_eq_u32_e32 vcc_lo, 0, v7
	v_cndmask_b32_e32 v7, v8, v135, vcc_lo
; %bb.106:
	s_or_b32 exec_lo, exec_lo, s4
	v_and_b32_e32 v8, 0x7f800000, v136
	s_delay_alu instid0(VALU_DEP_1) | instskip(SKIP_1) | instid1(SALU_CYCLE_1)
	v_cmp_ne_u32_e32 vcc_lo, 0x7f800000, v8
                                        ; implicit-def: $vgpr8
	s_and_saveexec_b32 s4, vcc_lo
	s_xor_b32 s4, exec_lo, s4
; %bb.107:
	v_bfe_u32 v8, v136, 16, 1
	s_delay_alu instid0(VALU_DEP_1)
	v_add3_u32 v8, v136, v8, 0x7fff
                                        ; implicit-def: $vgpr129_vgpr130_vgpr131_vgpr132_vgpr133_vgpr134_vgpr135_vgpr136
; %bb.108:
	s_and_not1_saveexec_b32 s4, s4
; %bb.109:
	v_and_b32_e32 v8, 0xffff, v136
	v_or_b32_e32 v9, 0x10000, v136
	s_delay_alu instid0(VALU_DEP_2) | instskip(NEXT) | instid1(VALU_DEP_2)
	v_cmp_eq_u32_e32 vcc_lo, 0, v8
	v_cndmask_b32_e32 v8, v9, v136, vcc_lo
; %bb.110:
	s_or_b32 exec_lo, exec_lo, s4
	s_delay_alu instid0(VALU_DEP_1)
	v_perm_b32 v7, v8, v7, 0x7060302
	v_perm_b32 v6, v6, v5, 0x7060302
	;; [unrolled: 1-line block ×4, first 2 shown]
	v_lshl_or_b32 v9, v146, 4, v141
	s_barrier
	buffer_gl0_inv
	v_cmp_eq_u32_e32 vcc_lo, 1, v138
	ds_store_b128 v9, v[4:7]
	s_waitcnt lgkmcnt(0)
	s_barrier
	buffer_gl0_inv
	ds_load_b128 v[1:4], v141
	ds_load_b128 v[5:8], v141 offset:16
	v_cmp_eq_u32_e64 s5, 2, v138
	v_cmp_eq_u32_e64 s4, 1, v139
	v_cmp_eq_u32_e64 s6, 3, v138
	v_cmp_eq_u32_e64 s8, 2, v137
	v_cmp_eq_u32_e64 s7, 7, v139
	s_waitcnt lgkmcnt(1)
	v_lshrrev_b32_e32 v10, 16, v1
	s_waitcnt lgkmcnt(0)
	v_lshrrev_b32_e32 v14, 16, v5
	v_lshrrev_b32_e32 v15, 16, v6
	;; [unrolled: 1-line block ×4, first 2 shown]
	v_cndmask_b32_e64 v20, v1, v10, s4
	v_cndmask_b32_e32 v19, v5, v14, vcc_lo
	v_cndmask_b32_e64 v21, v5, v14, s4
	v_lshrrev_b32_e32 v16, 16, v7
	v_cmp_eq_u32_e64 s4, 1, v137
	v_lshrrev_b32_e32 v13, 16, v4
	v_cndmask_b32_e64 v19, v19, v6, s5
	v_lshrrev_b32_e32 v17, 16, v8
	s_delay_alu instid0(VALU_DEP_4) | instskip(SKIP_1) | instid1(VALU_DEP_4)
	v_cndmask_b32_e64 v22, v1, v10, s4
	v_cndmask_b32_e64 v23, v5, v14, s4
	v_cndmask_b32_e64 v19, v19, v15, s6
	v_cndmask_b32_e32 v18, v1, v10, vcc_lo
	v_cmp_eq_u32_e32 vcc_lo, 2, v139
	v_cmp_eq_u32_e64 s4, 2, v142
	v_cndmask_b32_e64 v22, v22, v2, s8
	v_cndmask_b32_e32 v20, v20, v2, vcc_lo
	v_cndmask_b32_e32 v21, v21, v6, vcc_lo
	v_cmp_eq_u32_e32 vcc_lo, 4, v138
	v_cndmask_b32_e32 v19, v19, v7, vcc_lo
	v_cndmask_b32_e64 v18, v18, v2, s5
	v_cmp_eq_u32_e64 s5, 3, v139
	s_delay_alu instid0(VALU_DEP_2) | instskip(NEXT) | instid1(VALU_DEP_2)
	v_cndmask_b32_e64 v18, v18, v11, s6
	v_cndmask_b32_e64 v21, v21, v15, s5
	v_cmp_eq_u32_e64 s6, 5, v138
	s_delay_alu instid0(VALU_DEP_3) | instskip(SKIP_1) | instid1(VALU_DEP_3)
	v_cndmask_b32_e32 v18, v18, v3, vcc_lo
	v_cmp_eq_u32_e32 vcc_lo, 4, v139
	v_cndmask_b32_e64 v19, v19, v16, s6
	s_delay_alu instid0(VALU_DEP_3) | instskip(SKIP_4) | instid1(VALU_DEP_3)
	v_cndmask_b32_e64 v18, v18, v12, s6
	v_cndmask_b32_e32 v21, v21, v7, vcc_lo
	v_cndmask_b32_e64 v20, v20, v11, s5
	v_cmp_eq_u32_e64 s5, 5, v139
	v_cmp_eq_u32_e64 s6, 6, v138
	v_cndmask_b32_e32 v20, v20, v3, vcc_lo
	s_delay_alu instid0(VALU_DEP_3) | instskip(SKIP_1) | instid1(VALU_DEP_4)
	v_cndmask_b32_e64 v21, v21, v16, s5
	v_cmp_eq_u32_e32 vcc_lo, 6, v139
	v_cndmask_b32_e64 v18, v18, v4, s6
	v_cndmask_b32_e64 v19, v19, v8, s6
	;; [unrolled: 1-line block ×3, first 2 shown]
	v_cmp_eq_u32_e64 s5, 1, v142
	v_cmp_eq_u32_e64 s6, 7, v138
	s_delay_alu instid0(VALU_DEP_3) | instskip(NEXT) | instid1(VALU_DEP_3)
	v_cndmask_b32_e32 v20, v20, v4, vcc_lo
	v_cndmask_b32_e64 v1, v1, v10, s5
	v_cndmask_b32_e64 v5, v5, v14, s5
	v_cmp_eq_u32_e64 s5, 3, v137
	v_cndmask_b32_e64 v14, v23, v6, s8
	v_cmp_eq_u32_e64 s8, 3, v142
	v_cndmask_b32_e64 v1, v1, v2, s4
	v_cndmask_b32_e64 v2, v5, v6, s4
	;; [unrolled: 1-line block ×3, first 2 shown]
	v_cmp_eq_u32_e64 s4, 4, v137
	v_cndmask_b32_e64 v6, v14, v15, s5
	v_cndmask_b32_e64 v1, v1, v11, s8
	v_cmp_eq_u32_e64 s5, 4, v142
	v_cndmask_b32_e64 v2, v2, v15, s8
	v_cndmask_b32_e64 v5, v10, v3, s4
	;; [unrolled: 3-line block ×3, first 2 shown]
	v_cndmask_b32_e64 v2, v2, v7, s5
	v_cmp_eq_u32_e64 s4, 5, v142
	v_cndmask_b32_e64 v5, v5, v12, s8
	v_cmp_eq_u32_e64 s5, 6, v137
	;; [unrolled: 2-line block ×3, first 2 shown]
	v_cndmask_b32_e64 v1, v1, v12, s4
	v_cndmask_b32_e64 v2, v2, v16, s4
	;; [unrolled: 1-line block ×4, first 2 shown]
	v_cmp_eq_u32_e64 s4, 7, v142
	v_cndmask_b32_e64 v1, v1, v4, s8
	v_cndmask_b32_e64 v2, v2, v8, s8
	v_cmp_eq_u32_e64 s5, 7, v137
	v_cndmask_b32_e32 v4, v21, v8, vcc_lo
	v_cndmask_b32_e64 v18, v18, v13, s6
	v_cndmask_b32_e64 v20, v20, v13, s7
	;; [unrolled: 1-line block ×8, first 2 shown]
	v_cmp_gt_u32_e32 vcc_lo, 32, v0
	v_perm_b32 v4, v2, v1, 0x5040100
	v_perm_b32 v3, v3, v5, 0x5040100
	v_perm_b32 v2, v6, v20, 0x5040100
	v_perm_b32 v1, v7, v18, 0x5040100
	s_and_b32 s2, vcc_lo, s2
	ds_store_b128 v9, v[1:4]
	s_waitcnt lgkmcnt(0)
	s_barrier
	buffer_gl0_inv
	s_and_saveexec_b32 s4, s2
	s_cbranch_execz .LBB394_2
; %bb.111:
	s_load_b64 s[4:5], s[0:1], 0x68
	v_lshlrev_b32_e32 v0, 10, v0
	v_lshlrev_b32_e32 v1, 4, v147
	s_lshl_b32 s0, s36, 6
	v_add_nc_u32_e32 v2, s31, v146
	s_mul_i32 s1, s0, s34
	s_delay_alu instid0(SALU_CYCLE_1) | instskip(SKIP_1) | instid1(VALU_DEP_2)
	s_mul_i32 s6, s1, s9
	v_and_or_b32 v0, 0x3800, v0, v1
	v_mul_lo_u32 v1, v2, s0
	s_ashr_i32 s7, s6, 31
	v_add_nc_u32_e32 v3, 2, v2
	s_lshl_b64 s[6:7], s[6:7], 1
	v_add_nc_u32_e32 v4, 4, v2
	v_add_nc_u32_e32 v5, 6, v2
	v_lshl_or_b32 v15, v146, 6, v0
	v_mul_lo_u32 v3, v3, s0
	v_ashrrev_i32_e32 v2, 31, v1
	v_mul_lo_u32 v19, v4, s0
	v_mul_lo_u32 v21, v5, s0
	s_waitcnt lgkmcnt(0)
	s_add_u32 s1, s4, s6
	s_addc_u32 s2, s5, s7
	s_lshl_b32 s4, s14, 6
	v_lshlrev_b64 v[5:6], 1, v[1:2]
	s_ashr_i32 s5, s4, 31
	v_ashrrev_i32_e32 v4, 31, v3
	s_lshl_b64 s[4:5], s[4:5], 1
	v_ashrrev_i32_e32 v20, 31, v19
	s_add_u32 s1, s1, s4
	s_addc_u32 s2, s2, s5
	v_add_co_u32 v1, s1, s1, v145
	s_delay_alu instid0(VALU_DEP_1) | instskip(SKIP_1) | instid1(VALU_DEP_3)
	v_add_co_ci_u32_e64 v2, null, s2, 0, s1
	v_lshlrev_b64 v[25:26], 1, v[3:4]
	v_add_co_u32 v23, vcc_lo, v1, v5
	s_delay_alu instid0(VALU_DEP_3)
	v_add_co_ci_u32_e32 v24, vcc_lo, v2, v6, vcc_lo
	ds_load_b128 v[3:6], v15
	ds_load_b128 v[7:10], v15 offset:128
	ds_load_b128 v[11:14], v15 offset:256
	;; [unrolled: 1-line block ×3, first 2 shown]
	v_ashrrev_i32_e32 v22, 31, v21
	v_lshlrev_b64 v[19:20], 1, v[19:20]
	v_add_co_u32 v25, vcc_lo, v1, v25
	v_add_co_ci_u32_e32 v26, vcc_lo, v2, v26, vcc_lo
	s_delay_alu instid0(VALU_DEP_4) | instskip(NEXT) | instid1(VALU_DEP_4)
	v_lshlrev_b64 v[21:22], 1, v[21:22]
	v_add_co_u32 v19, vcc_lo, v1, v19
	v_add_co_ci_u32_e32 v20, vcc_lo, v2, v20, vcc_lo
	s_delay_alu instid0(VALU_DEP_3) | instskip(NEXT) | instid1(VALU_DEP_4)
	v_add_co_u32 v21, vcc_lo, v1, v21
	v_add_co_ci_u32_e32 v22, vcc_lo, v2, v22, vcc_lo
	s_waitcnt lgkmcnt(3)
	global_store_b128 v[23:24], v[3:6], off
	s_waitcnt lgkmcnt(2)
	global_store_b128 v[25:26], v[7:10], off
	;; [unrolled: 2-line block ×4, first 2 shown]
	s_and_b32 exec_lo, exec_lo, s3
	s_cbranch_execz .LBB394_2
; %bb.112:
	ds_load_b128 v[3:6], v0 offset:512
	s_add_i32 s1, s31, 8
	s_delay_alu instid0(SALU_CYCLE_1) | instskip(NEXT) | instid1(SALU_CYCLE_1)
	s_mul_i32 s0, s1, s0
	s_ashr_i32 s1, s0, 31
	s_delay_alu instid0(SALU_CYCLE_1) | instskip(NEXT) | instid1(SALU_CYCLE_1)
	s_lshl_b64 s[0:1], s[0:1], 1
	v_add_co_u32 v0, vcc_lo, v1, s0
	v_add_co_ci_u32_e32 v1, vcc_lo, s1, v2, vcc_lo
	s_waitcnt lgkmcnt(0)
	global_store_b128 v[0:1], v[3:6], off
	s_nop 0
	s_sendmsg sendmsg(MSG_DEALLOC_VGPRS)
	s_endpgm
	.section	.rodata,"a",@progbits
	.p2align	6, 0x0
	.amdhsa_kernel _Z39paged_attention_ll4mi_QKV_mfma16_kernelI14__hip_bfloat16S0_LN4vllm18Fp8KVCacheDataTypeE0EhLi16ELi64ELi256ELb1ELi9EL8MFMAType0EEvPKT_PKT0_S9_ifPKiSB_SB_iPKfiiiPfSE_PS4_PT2_iSD_SD_
		.amdhsa_group_segment_fixed_size 17472
		.amdhsa_private_segment_fixed_size 0
		.amdhsa_kernarg_size 400
		.amdhsa_user_sgpr_count 13
		.amdhsa_user_sgpr_dispatch_ptr 0
		.amdhsa_user_sgpr_queue_ptr 0
		.amdhsa_user_sgpr_kernarg_segment_ptr 1
		.amdhsa_user_sgpr_dispatch_id 0
		.amdhsa_user_sgpr_private_segment_size 0
		.amdhsa_wavefront_size32 1
		.amdhsa_uses_dynamic_stack 0
		.amdhsa_enable_private_segment 0
		.amdhsa_system_sgpr_workgroup_id_x 1
		.amdhsa_system_sgpr_workgroup_id_y 1
		.amdhsa_system_sgpr_workgroup_id_z 1
		.amdhsa_system_sgpr_workgroup_info 0
		.amdhsa_system_vgpr_workitem_id 0
		.amdhsa_next_free_vgpr 198
		.amdhsa_next_free_sgpr 52
		.amdhsa_reserve_vcc 1
		.amdhsa_float_round_mode_32 0
		.amdhsa_float_round_mode_16_64 0
		.amdhsa_float_denorm_mode_32 3
		.amdhsa_float_denorm_mode_16_64 3
		.amdhsa_dx10_clamp 1
		.amdhsa_ieee_mode 1
		.amdhsa_fp16_overflow 0
		.amdhsa_workgroup_processor_mode 1
		.amdhsa_memory_ordered 1
		.amdhsa_forward_progress 0
		.amdhsa_shared_vgpr_count 0
		.amdhsa_exception_fp_ieee_invalid_op 0
		.amdhsa_exception_fp_denorm_src 0
		.amdhsa_exception_fp_ieee_div_zero 0
		.amdhsa_exception_fp_ieee_overflow 0
		.amdhsa_exception_fp_ieee_underflow 0
		.amdhsa_exception_fp_ieee_inexact 0
		.amdhsa_exception_int_div_zero 0
	.end_amdhsa_kernel
	.section	.text._Z39paged_attention_ll4mi_QKV_mfma16_kernelI14__hip_bfloat16S0_LN4vllm18Fp8KVCacheDataTypeE0EhLi16ELi64ELi256ELb1ELi9EL8MFMAType0EEvPKT_PKT0_S9_ifPKiSB_SB_iPKfiiiPfSE_PS4_PT2_iSD_SD_,"axG",@progbits,_Z39paged_attention_ll4mi_QKV_mfma16_kernelI14__hip_bfloat16S0_LN4vllm18Fp8KVCacheDataTypeE0EhLi16ELi64ELi256ELb1ELi9EL8MFMAType0EEvPKT_PKT0_S9_ifPKiSB_SB_iPKfiiiPfSE_PS4_PT2_iSD_SD_,comdat
.Lfunc_end394:
	.size	_Z39paged_attention_ll4mi_QKV_mfma16_kernelI14__hip_bfloat16S0_LN4vllm18Fp8KVCacheDataTypeE0EhLi16ELi64ELi256ELb1ELi9EL8MFMAType0EEvPKT_PKT0_S9_ifPKiSB_SB_iPKfiiiPfSE_PS4_PT2_iSD_SD_, .Lfunc_end394-_Z39paged_attention_ll4mi_QKV_mfma16_kernelI14__hip_bfloat16S0_LN4vllm18Fp8KVCacheDataTypeE0EhLi16ELi64ELi256ELb1ELi9EL8MFMAType0EEvPKT_PKT0_S9_ifPKiSB_SB_iPKfiiiPfSE_PS4_PT2_iSD_SD_
                                        ; -- End function
	.section	.AMDGPU.csdata,"",@progbits
; Kernel info:
; codeLenInByte = 10152
; NumSgprs: 54
; NumVgprs: 198
; ScratchSize: 0
; MemoryBound: 0
; FloatMode: 240
; IeeeMode: 1
; LDSByteSize: 17472 bytes/workgroup (compile time only)
; SGPRBlocks: 6
; VGPRBlocks: 24
; NumSGPRsForWavesPerEU: 54
; NumVGPRsForWavesPerEU: 198
; Occupancy: 7
; WaveLimiterHint : 1
; COMPUTE_PGM_RSRC2:SCRATCH_EN: 0
; COMPUTE_PGM_RSRC2:USER_SGPR: 13
; COMPUTE_PGM_RSRC2:TRAP_HANDLER: 0
; COMPUTE_PGM_RSRC2:TGID_X_EN: 1
; COMPUTE_PGM_RSRC2:TGID_Y_EN: 1
; COMPUTE_PGM_RSRC2:TGID_Z_EN: 1
; COMPUTE_PGM_RSRC2:TIDIG_COMP_CNT: 0
	.section	.text._Z39paged_attention_ll4mi_QKV_mfma16_kernelI14__hip_bfloat16S0_LN4vllm18Fp8KVCacheDataTypeE0EhLi16ELi64ELi256ELb1ELi10EL8MFMAType0EEvPKT_PKT0_S9_ifPKiSB_SB_iPKfiiiPfSE_PS4_PT2_iSD_SD_,"axG",@progbits,_Z39paged_attention_ll4mi_QKV_mfma16_kernelI14__hip_bfloat16S0_LN4vllm18Fp8KVCacheDataTypeE0EhLi16ELi64ELi256ELb1ELi10EL8MFMAType0EEvPKT_PKT0_S9_ifPKiSB_SB_iPKfiiiPfSE_PS4_PT2_iSD_SD_,comdat
	.protected	_Z39paged_attention_ll4mi_QKV_mfma16_kernelI14__hip_bfloat16S0_LN4vllm18Fp8KVCacheDataTypeE0EhLi16ELi64ELi256ELb1ELi10EL8MFMAType0EEvPKT_PKT0_S9_ifPKiSB_SB_iPKfiiiPfSE_PS4_PT2_iSD_SD_ ; -- Begin function _Z39paged_attention_ll4mi_QKV_mfma16_kernelI14__hip_bfloat16S0_LN4vllm18Fp8KVCacheDataTypeE0EhLi16ELi64ELi256ELb1ELi10EL8MFMAType0EEvPKT_PKT0_S9_ifPKiSB_SB_iPKfiiiPfSE_PS4_PT2_iSD_SD_
	.globl	_Z39paged_attention_ll4mi_QKV_mfma16_kernelI14__hip_bfloat16S0_LN4vllm18Fp8KVCacheDataTypeE0EhLi16ELi64ELi256ELb1ELi10EL8MFMAType0EEvPKT_PKT0_S9_ifPKiSB_SB_iPKfiiiPfSE_PS4_PT2_iSD_SD_
	.p2align	8
	.type	_Z39paged_attention_ll4mi_QKV_mfma16_kernelI14__hip_bfloat16S0_LN4vllm18Fp8KVCacheDataTypeE0EhLi16ELi64ELi256ELb1ELi10EL8MFMAType0EEvPKT_PKT0_S9_ifPKiSB_SB_iPKfiiiPfSE_PS4_PT2_iSD_SD_,@function
_Z39paged_attention_ll4mi_QKV_mfma16_kernelI14__hip_bfloat16S0_LN4vllm18Fp8KVCacheDataTypeE0EhLi16ELi64ELi256ELb1ELi10EL8MFMAType0EEvPKT_PKT0_S9_ifPKiSB_SB_iPKfiiiPfSE_PS4_PT2_iSD_SD_: ; @_Z39paged_attention_ll4mi_QKV_mfma16_kernelI14__hip_bfloat16S0_LN4vllm18Fp8KVCacheDataTypeE0EhLi16ELi64ELi256ELb1ELi10EL8MFMAType0EEvPKT_PKT0_S9_ifPKiSB_SB_iPKfiiiPfSE_PS4_PT2_iSD_SD_
; %bb.0:
	s_load_b64 s[2:3], s[0:1], 0x30
	s_mov_b32 s30, s13
	s_waitcnt lgkmcnt(0)
	s_cmp_lg_u64 s[2:3], 0
	s_cselect_b32 s6, -1, 0
	s_ashr_i32 s31, s13, 31
	s_cmp_eq_u64 s[2:3], 0
	s_cbranch_scc1 .LBB395_3
; %bb.1:
	s_lshl_b64 s[4:5], s[30:31], 2
	s_delay_alu instid0(SALU_CYCLE_1) | instskip(SKIP_4) | instid1(SALU_CYCLE_1)
	s_add_u32 s4, s2, s4
	s_addc_u32 s5, s3, s5
	s_load_b64 s[4:5], s[4:5], 0x0
	s_waitcnt lgkmcnt(0)
	s_sub_i32 s4, s5, s4
	s_cmp_eq_u32 s4, 1
	s_cselect_b32 s4, -1, 0
	s_delay_alu instid0(SALU_CYCLE_1)
	s_and_not1_b32 vcc_lo, exec_lo, s4
	s_cbranch_vccz .LBB395_4
.LBB395_2:
	s_endpgm
.LBB395_3:
.LBB395_4:
	s_load_b64 s[8:9], s[0:1], 0x28
	s_lshl_b64 s[4:5], s[30:31], 2
	s_waitcnt lgkmcnt(0)
	s_add_u32 s8, s8, s4
	s_addc_u32 s9, s9, s5
	s_lshl_b32 s34, s14, 8
	s_load_b32 s33, s[8:9], 0x0
	s_waitcnt lgkmcnt(0)
	s_cmp_ge_i32 s34, s33
	s_cbranch_scc1 .LBB395_2
; %bb.5:
	s_clause 0x1
	s_load_b128 s[8:11], s[0:1], 0x8
	s_load_b64 s[12:13], s[0:1], 0x20
	s_and_not1_b32 vcc_lo, exec_lo, s6
	s_cbranch_vccnz .LBB395_7
; %bb.6:
	s_add_u32 s2, s2, s4
	s_addc_u32 s3, s3, s5
	s_load_b32 s3, s[2:3], 0x0
	s_branch .LBB395_8
.LBB395_7:
	s_mov_b32 s3, s30
.LBB395_8:
	s_load_b128 s[4:7], s[0:1], 0x48
	v_and_b32_e32 v148, 15, v0
	v_cmp_gt_u32_e32 vcc_lo, 0xa0, v0
	v_lshrrev_b32_e32 v149, 5, v0
	v_and_b32_e32 v150, 31, v0
	v_and_b32_e32 v147, 1, v0
	v_lshlrev_b32_e32 v1, 3, v148
	v_cmp_gt_u32_e64 s2, 8, v148
	v_bfe_u32 v146, v0, 4, 1
	s_mul_i32 s31, s15, 10
	s_delay_alu instid0(VALU_DEP_3) | instskip(NEXT) | instid1(VALU_DEP_3)
	v_lshlrev_b32_e32 v145, 1, v1
	s_and_b32 s16, vcc_lo, s2
	s_waitcnt lgkmcnt(0)
	s_and_saveexec_b32 s7, s16
	s_cbranch_execz .LBB395_10
; %bb.9:
	s_load_b64 s[16:17], s[0:1], 0x0
	v_lshl_or_b32 v5, v149, 1, v146
	s_mul_hi_i32 s19, s3, s4
	s_mul_i32 s18, s3, s4
	v_lshlrev_b32_e32 v6, 10, v148
	s_lshl_b64 s[18:19], s[18:19], 1
	v_add_lshl_u32 v1, v5, s31, 6
	v_lshlrev_b32_e32 v5, 6, v5
	v_lshlrev_b32_e32 v7, 10, v147
	v_and_b32_e32 v6, 0x3800, v6
	s_delay_alu instid0(VALU_DEP_4) | instskip(NEXT) | instid1(VALU_DEP_2)
	v_ashrrev_i32_e32 v2, 31, v1
	v_or3_b32 v5, v6, v7, v5
	s_delay_alu instid0(VALU_DEP_2) | instskip(SKIP_3) | instid1(VALU_DEP_1)
	v_lshlrev_b64 v[1:2], 1, v[1:2]
	s_waitcnt lgkmcnt(0)
	s_add_u32 s3, s16, s18
	s_addc_u32 s4, s17, s19
	v_add_co_u32 v1, vcc_lo, s3, v1
	s_delay_alu instid0(VALU_DEP_2) | instskip(NEXT) | instid1(VALU_DEP_2)
	v_add_co_ci_u32_e32 v2, vcc_lo, s4, v2, vcc_lo
	v_add_co_u32 v1, vcc_lo, v1, v145
	s_delay_alu instid0(VALU_DEP_2)
	v_add_co_ci_u32_e32 v2, vcc_lo, 0, v2, vcc_lo
	global_load_b128 v[1:4], v[1:2], off
	s_waitcnt vmcnt(0)
	ds_store_b128 v5, v[1:4]
.LBB395_10:
	s_or_b32 exec_lo, exec_lo, s7
	s_mov_b32 s40, 0
	s_add_i32 s3, s33, 15
	s_mov_b32 s41, s40
	s_mov_b32 s42, s40
	;; [unrolled: 1-line block ×7, first 2 shown]
	s_delay_alu instid0(SALU_CYCLE_1)
	v_dual_mov_b32 v144, s47 :: v_dual_and_b32 v1, 0xef, v0
	v_mov_b32_e32 v142, s45
	s_ashr_i32 s7, s3, 31
	s_clause 0x1
	s_load_b32 s4, s[0:1], 0x38
	s_load_b32 s35, s[0:1], 0x1c
	v_add_nc_u32_e32 v1, s34, v1
	s_lshr_b32 s7, s7, 28
	s_waitcnt lgkmcnt(0)
	s_add_i32 s3, s3, s7
	s_barrier
	v_ashrrev_i32_e32 v2, 31, v1
	v_or_b32_e32 v3, 16, v1
	s_ashr_i32 s3, s3, 4
	v_cmp_gt_i32_e32 vcc_lo, s33, v1
	s_add_i32 s3, s3, -1
	v_lshrrev_b32_e32 v2, 28, v2
	v_mov_b32_e32 v143, s46
	buffer_gl0_inv
	s_mul_i32 s6, s15, s6
	v_add_nc_u32_e32 v21, -10, v148
	v_dual_mov_b32 v141, s44 :: v_dual_add_nc_u32 v4, v1, v2
	v_mov_b32_e32 v139, s42
	s_mul_i32 s16, s30, s4
	v_mov_b32_e32 v137, s40
	s_delay_alu instid0(VALU_DEP_3)
	v_ashrrev_i32_e32 v4, 4, v4
	v_add_nc_u32_e32 v2, v3, v2
	v_lshlrev_b32_e32 v22, 5, v148
	s_ashr_i32 s17, s16, 31
	v_mov_b32_e32 v140, s43
	v_cndmask_b32_e32 v1, s3, v4, vcc_lo
	v_ashrrev_i32_e32 v2, 4, v2
	v_cmp_gt_i32_e32 vcc_lo, s33, v3
	s_lshl_b64 s[16:17], s[16:17], 2
	v_lshl_or_b32 v22, v149, 9, v22
	s_add_u32 s4, s12, s16
	s_addc_u32 s36, s13, s17
	v_cndmask_b32_e32 v3, s3, v2, vcc_lo
	v_ashrrev_i32_e32 v2, 31, v1
	s_ashr_i32 s7, s6, 31
	v_mov_b32_e32 v138, s41
	s_lshl_b64 s[6:7], s[6:7], 1
	v_ashrrev_i32_e32 v4, 31, v3
	v_lshlrev_b64 v[1:2], 2, v[1:2]
	s_add_u32 s24, s8, s6
	s_addc_u32 s25, s9, s7
	s_lshl_b32 s8, s14, 4
	v_lshlrev_b64 v[3:4], 2, v[3:4]
	s_ashr_i32 s9, s8, 31
	v_add_co_u32 v1, vcc_lo, s4, v1
	v_add_co_ci_u32_e32 v2, vcc_lo, s36, v2, vcc_lo
	s_delay_alu instid0(VALU_DEP_3) | instskip(NEXT) | instid1(VALU_DEP_4)
	v_add_co_u32 v3, vcc_lo, s4, v3
	v_add_co_ci_u32_e32 v4, vcc_lo, s36, v4, vcc_lo
	s_clause 0x1
	global_load_b32 v5, v[1:2], off
	global_load_b32 v6, v[3:4], off
	s_lshl_b64 s[8:9], s[8:9], 2
	v_lshlrev_b32_e32 v3, 4, v0
	s_add_u32 s8, s4, s8
	s_addc_u32 s9, s36, s9
	s_or_b32 s12, s34, 16
	s_delay_alu instid0(SALU_CYCLE_1) | instskip(SKIP_2) | instid1(SALU_CYCLE_1)
	s_ashr_i32 s13, s12, 4
	s_cmp_lt_i32 s12, s33
	s_cselect_b32 s12, s13, s3
	s_ashr_i32 s13, s12, 31
	s_delay_alu instid0(SALU_CYCLE_1) | instskip(NEXT) | instid1(SALU_CYCLE_1)
	s_lshl_b64 s[12:13], s[12:13], 2
	s_add_u32 s12, s4, s12
	s_addc_u32 s13, s36, s13
	s_or_b32 s15, s34, 32
	s_delay_alu instid0(SALU_CYCLE_1) | instskip(SKIP_2) | instid1(SALU_CYCLE_1)
	s_ashr_i32 s16, s15, 4
	s_cmp_lt_i32 s15, s33
	s_cselect_b32 s16, s16, s3
	s_ashr_i32 s17, s16, 31
	s_delay_alu instid0(SALU_CYCLE_1) | instskip(NEXT) | instid1(SALU_CYCLE_1)
	s_lshl_b64 s[16:17], s[16:17], 2
	;; [unrolled: 10-line block ×5, first 2 shown]
	s_add_u32 s22, s4, s22
	s_addc_u32 s23, s36, s23
	s_clause 0x5
	s_load_b32 s8, s[8:9], 0x0
	s_load_b32 s12, s[12:13], 0x0
	;; [unrolled: 1-line block ×6, first 2 shown]
	s_waitcnt lgkmcnt(0)
	s_mul_hi_i32 s17, s16, s5
	s_mul_i32 s16, s16, s5
	s_waitcnt vmcnt(1)
	v_mad_i64_i32 v[1:2], null, v5, s5, 0
	v_and_b32_e32 v5, 0xf0, v3
	s_waitcnt vmcnt(0)
	v_mad_i64_i32 v[3:4], null, v6, s5, 0
	s_delay_alu instid0(VALU_DEP_2) | instskip(NEXT) | instid1(VALU_DEP_4)
	v_add_co_u32 v5, s9, s24, v5
	v_lshlrev_b64 v[1:2], 1, v[1:2]
	v_add_co_ci_u32_e64 v6, null, s25, 0, s9
	s_delay_alu instid0(VALU_DEP_4) | instskip(SKIP_1) | instid1(VALU_DEP_3)
	v_lshlrev_b64 v[3:4], 1, v[3:4]
	s_or_b32 s9, s34, 0x60
	v_add_co_u32 v19, vcc_lo, v5, v1
	s_delay_alu instid0(VALU_DEP_3) | instskip(NEXT) | instid1(VALU_DEP_3)
	v_add_co_ci_u32_e32 v20, vcc_lo, v6, v2, vcc_lo
	v_add_co_u32 v17, vcc_lo, v5, v3
	s_delay_alu instid0(VALU_DEP_4)
	v_add_co_ci_u32_e32 v18, vcc_lo, v6, v4, vcc_lo
	s_clause 0x9
	global_load_b128 v[1:4], v[19:20], off
	global_load_b128 v[5:8], v[19:20], off offset:256
	global_load_b128 v[129:132], v[17:18], off
	global_load_b128 v[133:136], v[17:18], off offset:256
	global_load_b128 v[33:36], v[19:20], off offset:512
	;; [unrolled: 1-line block ×7, first 2 shown]
	v_cmp_gt_u32_e32 vcc_lo, 10, v148
	s_clause 0x1
	global_load_b128 v[151:154], v[17:18], off offset:1024
	global_load_b128 v[155:158], v[17:18], off offset:1280
	s_ashr_i32 s13, s9, 4
	s_cmp_lt_i32 s9, s33
	v_cndmask_b32_e32 v21, v21, v148, vcc_lo
	s_cselect_b32 s22, s13, s3
	s_delay_alu instid0(SALU_CYCLE_1) | instskip(NEXT) | instid1(VALU_DEP_1)
	s_ashr_i32 s23, s22, 31
	v_lshlrev_b32_e32 v197, 6, v21
	ds_load_b128 v[159:162], v197
	ds_load_b128 v[163:166], v197 offset:1024
	s_clause 0x3
	global_load_b128 v[167:170], v[19:20], off offset:1536
	global_load_b128 v[171:174], v[19:20], off offset:1792
	;; [unrolled: 1-line block ×4, first 2 shown]
	s_lshl_b64 s[22:23], s[22:23], 2
	s_delay_alu instid0(SALU_CYCLE_1) | instskip(SKIP_2) | instid1(SALU_CYCLE_1)
	s_add_u32 s22, s4, s22
	s_addc_u32 s23, s36, s23
	s_or_b32 s9, s34, 0x70
	s_ashr_i32 s13, s9, 4
	s_cmp_lt_i32 s9, s33
	s_cselect_b32 s24, s13, s3
	s_delay_alu instid0(SALU_CYCLE_1) | instskip(NEXT) | instid1(SALU_CYCLE_1)
	s_ashr_i32 s25, s24, 31
	s_lshl_b64 s[24:25], s[24:25], 2
	s_delay_alu instid0(SALU_CYCLE_1)
	s_add_u32 s24, s4, s24
	s_addc_u32 s25, s36, s25
	s_or_b32 s9, s34, 0x80
	s_load_b32 s46, s[24:25], 0x0
	s_ashr_i32 s13, s9, 4
	s_cmp_lt_i32 s9, s33
	s_cselect_b32 s26, s13, s3
	s_delay_alu instid0(SALU_CYCLE_1) | instskip(NEXT) | instid1(SALU_CYCLE_1)
	s_ashr_i32 s27, s26, 31
	s_lshl_b64 s[26:27], s[26:27], 2
	s_delay_alu instid0(SALU_CYCLE_1)
	s_add_u32 s26, s4, s26
	s_addc_u32 s27, s36, s27
	s_or_b32 s9, s34, 0x90
	s_load_b32 s47, s[26:27], 0x0
	s_ashr_i32 s13, s9, 4
	s_cmp_lt_i32 s9, s33
	s_cselect_b32 s28, s13, s3
	s_delay_alu instid0(SALU_CYCLE_1) | instskip(NEXT) | instid1(SALU_CYCLE_1)
	s_ashr_i32 s29, s28, 31
	s_lshl_b64 s[28:29], s[28:29], 2
	s_delay_alu instid0(SALU_CYCLE_1) | instskip(SKIP_2) | instid1(SALU_CYCLE_1)
	s_add_u32 s28, s4, s28
	s_addc_u32 s29, s36, s29
	s_or_b32 s9, s34, 0xa0
	s_ashr_i32 s13, s9, 4
	s_cmp_lt_i32 s9, s33
	s_cselect_b32 s38, s13, s3
	s_delay_alu instid0(SALU_CYCLE_1) | instskip(NEXT) | instid1(SALU_CYCLE_1)
	s_ashr_i32 s39, s38, 31
	s_lshl_b64 s[38:39], s[38:39], 2
	s_delay_alu instid0(SALU_CYCLE_1)
	s_add_u32 s38, s4, s38
	s_addc_u32 s39, s36, s39
	s_or_b32 s9, s34, 0xb0
	s_load_b32 s39, s[38:39], 0x0
	s_ashr_i32 s13, s9, 4
	s_cmp_lt_i32 s9, s33
	s_mul_hi_i32 s9, s8, s5
	s_cselect_b32 s40, s13, s3
	s_mul_i32 s8, s8, s5
	s_ashr_i32 s41, s40, 31
	s_mul_hi_i32 s13, s12, s5
	s_lshl_b64 s[40:41], s[40:41], 2
	s_mul_i32 s12, s12, s5
	s_add_u32 s42, s4, s40
	s_addc_u32 s43, s36, s41
	s_or_b32 s19, s34, 0xc0
	s_delay_alu instid0(SALU_CYCLE_1)
	s_ashr_i32 s21, s19, 4
	s_cmp_lt_i32 s19, s33
	s_mul_hi_i32 s19, s18, s5
	s_cselect_b32 s40, s21, s3
	s_mul_i32 s18, s18, s5
	s_ashr_i32 s41, s40, 31
	s_mul_hi_i32 s21, s20, s5
	s_lshl_b64 s[40:41], s[40:41], 2
	s_mul_i32 s20, s20, s5
	s_add_u32 s44, s4, s40
	s_load_b32 s40, s[28:29], 0x0
	s_addc_u32 s45, s36, s41
	s_or_b32 s37, s34, 0xd0
	s_load_b32 s41, s[22:23], 0x0
	s_ashr_i32 s22, s37, 4
	s_cmp_lt_i32 s37, s33
	s_mul_hi_i32 s23, s15, s5
	s_cselect_b32 s24, s22, s3
	s_mul_i32 s22, s15, s5
	s_ashr_i32 s25, s24, 31
	s_waitcnt lgkmcnt(0)
	s_mul_hi_i32 s27, s46, s5
	s_lshl_b64 s[24:25], s[24:25], 2
	s_mul_i32 s26, s46, s5
	s_add_u32 s24, s4, s24
	s_addc_u32 s25, s36, s25
	s_or_b32 s48, s34, 0xe0
	s_clause 0x2
	s_load_b32 s38, s[42:43], 0x0
	s_load_b32 s37, s[44:45], 0x0
	;; [unrolled: 1-line block ×3, first 2 shown]
	s_ashr_i32 s49, s48, 4
	s_cmp_lt_i32 s48, s33
	s_mul_hi_i32 s29, s47, s5
	s_cselect_b32 s42, s49, s3
	s_mul_i32 s28, s47, s5
	s_ashr_i32 s43, s42, 31
	s_mul_hi_i32 s25, s41, s5
	s_lshl_b64 s[42:43], s[42:43], 2
	s_mul_i32 s24, s41, s5
	s_add_u32 s42, s4, s42
	s_addc_u32 s43, s36, s43
	s_or_b32 s46, s34, 0xf0
	s_mul_hi_i32 s41, s40, s5
	s_ashr_i32 s47, s46, 4
	s_cmp_lt_i32 s46, s33
	s_mul_i32 s40, s40, s5
	s_cselect_b32 s46, s47, s3
	s_mul_hi_i32 s45, s39, s5
	s_ashr_i32 s47, s46, 31
	s_mul_i32 s44, s39, s5
	s_lshl_b64 s[46:47], s[46:47], 2
	s_waitcnt lgkmcnt(0)
	s_mul_hi_i32 s39, s38, s5
	s_add_u32 s46, s4, s46
	s_addc_u32 s47, s36, s47
	s_add_u32 s3, s10, s6
	s_addc_u32 s4, s11, s7
	v_add_co_u32 v195, s3, s3, v22
	s_delay_alu instid0(VALU_DEP_1) | instskip(SKIP_2) | instid1(VALU_DEP_2)
	v_add_co_ci_u32_e64 v196, null, s4, 0, s3
	s_lshl_b64 s[6:7], s[8:9], 1
	s_lshl_b64 s[8:9], s[12:13], 1
	v_add_co_u32 v17, vcc_lo, v195, s6
	s_delay_alu instid0(VALU_DEP_2)
	v_add_co_ci_u32_e32 v18, vcc_lo, s7, v196, vcc_lo
	v_add_co_u32 v19, vcc_lo, v195, s8
	s_lshl_b64 s[10:11], s[16:17], 1
	v_add_co_ci_u32_e32 v20, vcc_lo, s9, v196, vcc_lo
	v_add_co_u32 v21, vcc_lo, v195, s10
	s_lshl_b64 s[12:13], s[18:19], 1
	;; [unrolled: 3-line block ×9, first 2 shown]
	s_mul_i32 s38, s38, s5
	v_add_co_ci_u32_e32 v54, vcc_lo, s27, v196, vcc_lo
	v_add_co_u32 v183, vcc_lo, v195, s28
	s_mul_hi_i32 s49, s37, s5
	s_mul_i32 s48, s37, s5
	s_lshl_b64 s[36:37], s[38:39], 1
	v_add_co_ci_u32_e32 v184, vcc_lo, s29, v196, vcc_lo
	v_add_co_u32 v185, vcc_lo, v195, s36
	s_lshl_b64 s[38:39], s[48:49], 1
	s_clause 0x1
	s_load_b32 s3, s[42:43], 0x0
	s_load_b32 s4, s[46:47], 0x0
	v_add_co_ci_u32_e32 v186, vcc_lo, s37, v196, vcc_lo
	v_add_co_u32 v191, vcc_lo, v195, s38
	v_add_co_ci_u32_e32 v192, vcc_lo, s39, v196, vcc_lo
	s_clause 0x17
	global_load_b128 v[121:124], v[17:18], off
	global_load_b128 v[125:128], v[17:18], off offset:16
	global_load_b128 v[113:116], v[19:20], off
	global_load_b128 v[117:120], v[19:20], off offset:16
	;; [unrolled: 2-line block ×12, first 2 shown]
	s_mul_hi_i32 s51, s15, s5
	s_mul_i32 s50, s15, s5
	s_delay_alu instid0(SALU_CYCLE_1) | instskip(NEXT) | instid1(SALU_CYCLE_1)
	s_lshl_b64 s[40:41], s[50:51], 1
	v_add_co_u32 v193, vcc_lo, v195, s40
	v_add_co_ci_u32_e32 v194, vcc_lo, s41, v196, vcc_lo
	s_waitcnt lgkmcnt(0)
	s_mul_hi_i32 s7, s3, s5
	s_mul_i32 s6, s3, s5
	s_mul_hi_i32 s9, s4, s5
	s_lshl_b64 s[6:7], s[6:7], 1
	s_mul_i32 s8, s4, s5
	s_delay_alu instid0(SALU_CYCLE_1)
	s_lshl_b64 s[4:5], s[8:9], 1
	s_waitcnt vmcnt(38)
	v_wmma_f32_16x16x16_bf16 v[183:190], v[1:8], v[159:166], v[137:144]
	s_waitcnt vmcnt(36)
	v_wmma_f32_16x16x16_bf16 v[137:144], v[129:136], v[159:166], v[137:144]
	s_clause 0x1
	global_load_b128 v[1:4], v[191:192], off
	global_load_b128 v[5:8], v[191:192], off offset:16
	ds_load_b128 v[129:132], v197 offset:2048
	ds_load_b128 v[133:136], v197 offset:3072
	;; [unrolled: 1-line block ×4, first 2 shown]
	v_add_co_u32 v191, vcc_lo, v195, s6
	v_add_co_ci_u32_e32 v192, vcc_lo, s7, v196, vcc_lo
	v_add_co_u32 v195, vcc_lo, v195, s4
	v_add_co_ci_u32_e32 v196, vcc_lo, s5, v196, vcc_lo
	s_waitcnt vmcnt(36) lgkmcnt(2)
	v_wmma_f32_16x16x16_bf16 v[183:190], v[33:40], v[129:136], v[183:190]
	s_waitcnt vmcnt(34)
	v_wmma_f32_16x16x16_bf16 v[137:144], v[25:32], v[129:136], v[137:144]
	s_clause 0x3
	global_load_b128 v[25:28], v[193:194], off
	global_load_b128 v[29:32], v[193:194], off offset:16
	global_load_b128 v[33:36], v[191:192], off
	global_load_b128 v[37:40], v[191:192], off offset:16
	v_and_b32_e32 v129, 0xe0, v0
	v_mbcnt_lo_u32_b32 v191, -1, 0
	s_waitcnt vmcnt(36) lgkmcnt(0)
	v_wmma_f32_16x16x16_bf16 v[183:190], v[9:16], v[159:166], v[183:190]
	s_clause 0x1
	global_load_b128 v[9:12], v[195:196], off
	global_load_b128 v[13:16], v[195:196], off offset:16
	s_waitcnt vmcnt(36)
	v_wmma_f32_16x16x16_bf16 v[137:144], v[151:158], v[159:166], v[137:144]
	v_add_nc_u32_e32 v192, s34, v129
	ds_load_b128 v[129:132], v197 offset:6144
	ds_load_b128 v[133:136], v197 offset:7168
	v_xor_b32_e32 v151, 16, v191
	s_waitcnt vmcnt(0) lgkmcnt(0)
	s_barrier
	v_or_b32_e32 v152, v192, v146
	buffer_gl0_inv
	v_cmp_gt_i32_e32 vcc_lo, 32, v151
	v_or_b32_e32 v153, 2, v152
	v_or_b32_e32 v154, 4, v152
	;; [unrolled: 1-line block ×5, first 2 shown]
	v_cmp_gt_i32_e64 s3, s33, v153
	v_cmp_gt_i32_e64 s4, s33, v154
	;; [unrolled: 1-line block ×3, first 2 shown]
	v_or_b32_e32 v158, 12, v152
	v_or_b32_e32 v159, 14, v152
	v_cmp_gt_i32_e64 s6, s33, v156
	v_wmma_f32_16x16x16_bf16 v[183:190], v[167:174], v[129:136], v[183:190]
	v_wmma_f32_16x16x16_bf16 v[137:144], v[175:182], v[129:136], v[137:144]
	v_cndmask_b32_e32 v151, v191, v151, vcc_lo
	v_cmp_gt_i32_e32 vcc_lo, s33, v152
	v_cmp_gt_i32_e64 s7, s33, v157
	v_dual_mul_f32 v135, s35, v184 :: v_dual_mul_f32 v136, s35, v183
	v_dual_mul_f32 v133, s35, v186 :: v_dual_mul_f32 v134, s35, v185
	;; [unrolled: 1-line block ×3, first 2 shown]
	s_delay_alu instid0(VALU_DEP_3) | instskip(NEXT) | instid1(VALU_DEP_4)
	v_cndmask_b32_e32 v136, 0xff7fffff, v136, vcc_lo
	v_cndmask_b32_e64 v135, 0xff7fffff, v135, s3
	v_mul_f32_e32 v132, s35, v187
	v_cndmask_b32_e64 v134, 0xff7fffff, v134, s4
	v_cndmask_b32_e64 v133, 0xff7fffff, v133, s5
	v_or_b32_e32 v160, 16, v152
	v_max3_f32 v135, v136, 0xff7fffff, v135
	v_or_b32_e32 v161, 18, v152
	v_mul_f32_e32 v130, s35, v189
	v_dual_mul_f32 v172, s35, v140 :: v_dual_mul_f32 v129, s35, v190
	v_cndmask_b32_e64 v132, 0xff7fffff, v132, s6
	v_cndmask_b32_e64 v131, 0xff7fffff, v131, s7
	v_max3_f32 v133, v135, v134, v133
	v_cmp_gt_i32_e64 s8, s33, v158
	v_lshlrev_b32_e32 v158, 2, v151
	v_cmp_gt_i32_e64 s9, s33, v159
	v_or_b32_e32 v162, 20, v152
	v_or_b32_e32 v163, 22, v152
	v_mul_f32_e32 v175, s35, v137
	v_cndmask_b32_e64 v130, 0xff7fffff, v130, s8
	v_cndmask_b32_e64 v129, 0xff7fffff, v129, s9
	v_max3_f32 v131, v133, v132, v131
	v_cmp_gt_i32_e64 s10, s33, v160
	v_cmp_gt_i32_e64 s11, s33, v161
	v_or_b32_e32 v164, 24, v152
	v_or_b32_e32 v165, 26, v152
	v_mul_f32_e32 v173, s35, v139
	v_cndmask_b32_e64 v132, 0xff7fffff, v175, s10
	v_cndmask_b32_e64 v133, 0xff7fffff, v174, s11
	v_max3_f32 v129, v131, v130, v129
	v_cmp_gt_i32_e64 s12, s33, v162
	v_cmp_gt_i32_e64 s13, s33, v163
	v_or_b32_e32 v166, 28, v152
	v_or_b32_e32 v167, 30, v152
	v_dual_mul_f32 v170, s35, v142 :: v_dual_mul_f32 v171, s35, v141
	v_cndmask_b32_e64 v130, 0xff7fffff, v173, s12
	v_cndmask_b32_e64 v131, 0xff7fffff, v172, s13
	v_max3_f32 v129, v129, v132, v133
	v_cmp_gt_i32_e64 s15, s33, v164
	v_cmp_gt_i32_e64 s16, s33, v165
	v_dual_mul_f32 v168, s35, v144 :: v_dual_mul_f32 v169, s35, v143
	s_delay_alu instid0(VALU_DEP_4) | instskip(NEXT) | instid1(VALU_DEP_4)
	v_max3_f32 v129, v129, v130, v131
	v_cndmask_b32_e64 v132, 0xff7fffff, v171, s15
	s_delay_alu instid0(VALU_DEP_4) | instskip(SKIP_2) | instid1(VALU_DEP_3)
	v_cndmask_b32_e64 v133, 0xff7fffff, v170, s16
	v_cmp_gt_i32_e64 s17, s33, v166
	v_cmp_gt_i32_e64 s18, s33, v167
	v_max3_f32 v129, v129, v132, v133
	s_delay_alu instid0(VALU_DEP_3) | instskip(NEXT) | instid1(VALU_DEP_3)
	v_cndmask_b32_e64 v130, 0xff7fffff, v169, s17
	v_cndmask_b32_e64 v131, 0xff7fffff, v168, s18
	s_delay_alu instid0(VALU_DEP_1) | instskip(SKIP_3) | instid1(VALU_DEP_1)
	v_max3_f32 v129, v129, v130, v131
	ds_bpermute_b32 v130, v158, v129
	s_waitcnt lgkmcnt(0)
	v_max_f32_e32 v130, v130, v130
	v_max_f32_e32 v129, v129, v130
	s_delay_alu instid0(VALU_DEP_1)
	v_fma_f32 v130, s35, v183, -v129
	v_fma_f32 v132, s35, v185, -v129
	;; [unrolled: 1-line block ×5, first 2 shown]
	v_mul_f32_e32 v130, 0x3fb8aa3b, v130
	v_mul_f32_e32 v132, 0x3fb8aa3b, v132
	;; [unrolled: 1-line block ×3, first 2 shown]
	v_fma_f32 v135, s35, v189, -v129
	s_delay_alu instid0(VALU_DEP_4) | instskip(NEXT) | instid1(VALU_DEP_3)
	v_exp_f32_e32 v130, v130
	v_exp_f32_e32 v132, v132
	s_delay_alu instid0(VALU_DEP_2) | instskip(NEXT) | instid1(TRANS32_DEP_3)
	v_exp_f32_e32 v134, v134
	v_cndmask_b32_e32 v152, 0, v130, vcc_lo
	v_fma_f32 v130, s35, v188, -v129
	s_waitcnt_depctr 0xfff
	v_cndmask_b32_e64 v153, 0, v132, s4
	v_fma_f32 v132, s35, v190, -v129
	v_mul_f32_e32 v131, 0x3fb8aa3b, v131
	v_cndmask_b32_e64 v155, 0, v134, s6
	v_dual_mul_f32 v130, 0x3fb8aa3b, v130 :: v_dual_mul_f32 v133, 0x3fb8aa3b, v133
	s_delay_alu instid0(VALU_DEP_4) | instskip(NEXT) | instid1(VALU_DEP_4)
	v_mul_f32_e32 v132, 0x3fb8aa3b, v132
	v_exp_f32_e32 v131, v131
	v_fma_f32 v134, s35, v138, -v129
	s_delay_alu instid0(VALU_DEP_3) | instskip(SKIP_2) | instid1(VALU_DEP_1)
	v_exp_f32_e32 v130, v130
	v_exp_f32_e32 v133, v133
	;; [unrolled: 1-line block ×3, first 2 shown]
	v_mul_f32_e32 v134, 0x3fb8aa3b, v134
	v_cndmask_b32_e64 v151, 0, v131, s3
	v_add_f32_e32 v131, 0, v152
	s_delay_alu instid0(TRANS32_DEP_3)
	v_cndmask_b32_e64 v156, 0, v130, s7
	s_waitcnt_depctr 0xfff
	v_cndmask_b32_e64 v154, 0, v133, s5
	v_fma_f32 v133, s35, v137, -v129
	v_exp_f32_e32 v134, v134
	v_add_f32_e32 v131, v131, v151
	s_mov_b32 s3, exec_lo
	s_delay_alu instid0(VALU_DEP_1) | instskip(NEXT) | instid1(VALU_DEP_1)
	v_add_f32_e32 v131, v131, v153
	v_add_f32_e32 v131, v131, v154
	s_delay_alu instid0(VALU_DEP_1) | instskip(SKIP_2) | instid1(VALU_DEP_3)
	v_add_f32_e32 v130, v131, v155
	v_fma_f32 v131, s35, v139, -v129
	v_fma_f32 v139, s35, v144, -v129
	v_dual_add_f32 v130, v130, v156 :: v_dual_mul_f32 v135, 0x3fb8aa3b, v135
	s_delay_alu instid0(VALU_DEP_1)
	v_exp_f32_e32 v135, v135
	s_waitcnt_depctr 0xfff
	v_cndmask_b32_e64 v157, 0, v135, s8
	v_fma_f32 v135, s35, v140, -v129
	v_cndmask_b32_e64 v140, 0, v132, s9
	v_fma_f32 v132, s35, v141, -v129
	s_delay_alu instid0(VALU_DEP_1) | instskip(SKIP_1) | instid1(VALU_DEP_2)
	v_dual_add_f32 v130, v130, v157 :: v_dual_mul_f32 v137, 0x3fb8aa3b, v132
	v_cndmask_b32_e64 v132, 0, v134, s11
	v_dual_add_f32 v130, v130, v140 :: v_dual_mul_f32 v133, 0x3fb8aa3b, v133
	v_mul_f32_e32 v131, 0x3fb8aa3b, v131
	v_fma_f32 v134, s35, v143, -v129
	v_mul_f32_e32 v135, 0x3fb8aa3b, v135
	s_delay_alu instid0(VALU_DEP_4) | instskip(NEXT) | instid1(VALU_DEP_3)
	v_exp_f32_e32 v133, v133
	v_exp_f32_e32 v136, v131
	s_waitcnt_depctr 0xfff
	v_cndmask_b32_e64 v131, 0, v133, s10
	v_fma_f32 v133, s35, v142, -v129
	s_delay_alu instid0(VALU_DEP_2) | instskip(NEXT) | instid1(VALU_DEP_2)
	v_add_f32_e32 v130, v130, v131
	v_mul_f32_e32 v138, 0x3fb8aa3b, v133
	v_cndmask_b32_e64 v133, 0, v136, s12
	v_mul_f32_e32 v136, 0x3fb8aa3b, v134
	v_exp_f32_e32 v135, v135
	v_add_f32_e32 v130, v130, v132
	v_exp_f32_e32 v138, v138
	s_delay_alu instid0(VALU_DEP_2) | instskip(NEXT) | instid1(VALU_DEP_1)
	v_exp_f32_e32 v141, v136
	v_add_f32_e32 v130, v130, v133
	v_exp_f32_e32 v137, v137
	v_cndmask_b32_e64 v134, 0, v135, s13
	s_delay_alu instid0(TRANS32_DEP_3) | instskip(NEXT) | instid1(VALU_DEP_2)
	v_cndmask_b32_e64 v136, 0, v138, s16
	v_add_f32_e32 v130, v130, v134
	s_waitcnt_depctr 0xfff
	v_cndmask_b32_e64 v135, 0, v137, s15
	v_mul_f32_e32 v137, 0x3fb8aa3b, v139
	s_delay_alu instid0(VALU_DEP_2) | instskip(NEXT) | instid1(VALU_DEP_2)
	v_add_f32_e32 v130, v130, v135
	v_exp_f32_e32 v138, v137
	v_cndmask_b32_e64 v137, 0, v141, s17
	s_delay_alu instid0(VALU_DEP_2) | instskip(NEXT) | instid1(VALU_DEP_1)
	v_add_f32_e32 v130, v130, v136
	v_add_f32_e32 v130, v130, v137
	s_waitcnt_depctr 0xfff
	v_cndmask_b32_e64 v138, 0, v138, s18
	s_delay_alu instid0(VALU_DEP_1)
	v_add_f32_e32 v130, v130, v138
	ds_bpermute_b32 v139, v158, v130
	v_cmpx_gt_u32_e32 16, v150
	s_cbranch_execz .LBB395_12
; %bb.11:
	v_mul_u32_u24_e32 v141, 0x44, v149
	s_delay_alu instid0(VALU_DEP_1) | instskip(SKIP_1) | instid1(VALU_DEP_1)
	v_lshl_add_u32 v141, v148, 2, v141
	s_waitcnt lgkmcnt(0)
	v_dual_add_f32 v130, v130, v139 :: v_dual_add_nc_u32 v139, 0x4000, v141
	ds_store_2addr_b32 v139, v129, v130 offset1:136
.LBB395_12:
	s_or_b32 exec_lo, exec_lo, s3
	v_lshlrev_b32_e32 v129, 2, v148
	s_waitcnt lgkmcnt(0)
	s_barrier
	buffer_gl0_inv
	v_cmp_eq_u32_e64 s3, 1, v149
	v_add_nc_u32_e32 v139, 0x4000, v129
	ds_load_2addr_b32 v[141:142], v139 offset1:17
	ds_load_2addr_b32 v[143:144], v139 offset0:34 offset1:51
	ds_load_2addr_b32 v[158:159], v139 offset0:68 offset1:85
	;; [unrolled: 1-line block ×4, first 2 shown]
	s_waitcnt lgkmcnt(4)
	v_max3_f32 v129, v141, 0xff7fffff, v142
	s_waitcnt lgkmcnt(3)
	s_delay_alu instid0(VALU_DEP_1) | instskip(SKIP_1) | instid1(VALU_DEP_1)
	v_max3_f32 v129, v129, v143, v144
	s_waitcnt lgkmcnt(2)
	v_max3_f32 v129, v129, v158, v159
	s_waitcnt lgkmcnt(1)
	s_delay_alu instid0(VALU_DEP_1) | instskip(NEXT) | instid1(VALU_DEP_1)
	v_max3_f32 v129, v129, v160, v161
	v_sub_f32_e32 v158, v158, v129
	s_delay_alu instid0(VALU_DEP_1) | instskip(NEXT) | instid1(VALU_DEP_1)
	v_dual_sub_f32 v150, v142, v129 :: v_dual_mul_f32 v167, 0x3fb8aa3b, v158
	v_dual_sub_f32 v143, v143, v129 :: v_dual_mul_f32 v150, 0x3fb8aa3b, v150
	s_delay_alu instid0(VALU_DEP_1) | instskip(NEXT) | instid1(VALU_DEP_2)
	v_dual_sub_f32 v130, v141, v129 :: v_dual_mul_f32 v165, 0x3fb8aa3b, v143
	v_exp_f32_e32 v150, v150
	s_delay_alu instid0(VALU_DEP_1) | instskip(NEXT) | instid1(VALU_DEP_2)
	v_mul_f32_e32 v130, 0x3fb8aa3b, v130
	v_exp_f32_e32 v165, v165
	s_delay_alu instid0(VALU_DEP_1) | instskip(SKIP_1) | instid1(VALU_DEP_1)
	v_exp_f32_e32 v164, v130
	v_sub_f32_e32 v130, v144, v129
	v_mul_f32_e32 v166, 0x3fb8aa3b, v130
	s_waitcnt lgkmcnt(0)
	s_waitcnt_depctr 0xfff
	v_fma_f32 v130, v164, v162, 0
	v_sub_f32_e32 v162, v159, v129
	s_delay_alu instid0(VALU_DEP_2)
	v_fmac_f32_e32 v130, v150, v163
	ds_load_2addr_b32 v[141:142], v139 offset0:170 offset1:187
	ds_load_2addr_b32 v[143:144], v139 offset0:204 offset1:221
	;; [unrolled: 1-line block ×3, first 2 shown]
	v_sub_f32_e32 v139, v160, v129
	v_exp_f32_e32 v166, v166
	v_mul_f32_e32 v160, 0x3fb8aa3b, v162
	v_exp_f32_e32 v162, v167
	v_cndmask_b32_e64 v150, v164, v150, s3
	v_mul_f32_e32 v139, 0x3fb8aa3b, v139
	v_cmp_eq_u32_e64 s3, 2, v149
	s_waitcnt lgkmcnt(0)
	s_barrier
	buffer_gl0_inv
	v_exp_f32_e32 v139, v139
	v_cndmask_b32_e64 v150, v150, v165, s3
	v_cmp_eq_u32_e64 s3, 3, v149
	v_fmac_f32_e32 v130, v165, v141
	v_sub_f32_e32 v141, v161, v129
	v_exp_f32_e32 v160, v160
	s_delay_alu instid0(VALU_DEP_3) | instskip(SKIP_1) | instid1(VALU_DEP_3)
	v_cndmask_b32_e64 v150, v150, v166, s3
	v_cmp_eq_u32_e64 s3, 4, v149
	v_dual_fmac_f32 v130, v166, v142 :: v_dual_mul_f32 v141, 0x3fb8aa3b, v141
	s_delay_alu instid0(VALU_DEP_2) | instskip(SKIP_1) | instid1(VALU_DEP_3)
	v_cndmask_b32_e64 v150, v150, v162, s3
	v_cmp_eq_u32_e64 s3, 5, v149
	v_exp_f32_e32 v141, v141
	s_delay_alu instid0(VALU_DEP_3)
	v_fmac_f32_e32 v130, v162, v143
	s_delay_alu instid0(TRANS32_DEP_2) | instid1(VALU_DEP_2)
	v_cndmask_b32_e64 v150, v150, v160, s3
	s_delay_alu instid0(VALU_DEP_2) | instskip(NEXT) | instid1(VALU_DEP_1)
	v_fmac_f32_e32 v130, v160, v144
	v_fmac_f32_e32 v130, v139, v158
	s_waitcnt_depctr 0xfff
	v_fmac_f32_e32 v130, v141, v159
	s_delay_alu instid0(VALU_DEP_1) | instskip(NEXT) | instid1(VALU_DEP_1)
	v_add_f32_e32 v142, 0x358637bd, v130
	v_div_scale_f32 v143, null, v142, v142, 1.0
	v_div_scale_f32 v159, vcc_lo, 1.0, v142, 1.0
	s_delay_alu instid0(VALU_DEP_2) | instskip(SKIP_2) | instid1(VALU_DEP_1)
	v_rcp_f32_e32 v144, v143
	s_waitcnt_depctr 0xfff
	v_fma_f32 v158, -v143, v144, 1.0
	v_fmac_f32_e32 v144, v158, v144
	s_delay_alu instid0(VALU_DEP_1) | instskip(NEXT) | instid1(VALU_DEP_1)
	v_mul_f32_e32 v158, v159, v144
	v_fma_f32 v161, -v143, v158, v159
	s_delay_alu instid0(VALU_DEP_1) | instskip(NEXT) | instid1(VALU_DEP_1)
	v_fmac_f32_e32 v158, v161, v144
	v_fma_f32 v143, -v143, v158, v159
	s_delay_alu instid0(VALU_DEP_1) | instskip(SKIP_1) | instid1(VALU_DEP_2)
	v_div_fmas_f32 v143, v143, v144, v158
	v_cmp_eq_u32_e32 vcc_lo, 6, v149
	v_div_fixup_f32 v142, v143, v142, 1.0
	v_cndmask_b32_e32 v139, v150, v139, vcc_lo
	v_cmp_eq_u32_e32 vcc_lo, 7, v149
	s_delay_alu instid0(VALU_DEP_2) | instskip(NEXT) | instid1(VALU_DEP_1)
	v_cndmask_b32_e32 v139, v139, v141, vcc_lo
	v_mul_f32_e32 v139, v139, v142
	s_delay_alu instid0(VALU_DEP_1) | instskip(SKIP_4) | instid1(VALU_DEP_4)
	v_mul_f32_e32 v153, v139, v153
	v_mul_f32_e32 v142, v139, v152
	;; [unrolled: 1-line block ×5, first 2 shown]
	v_dual_mul_f32 v152, v139, v155 :: v_dual_and_b32 v141, 0x7f800000, v142
	v_mul_f32_e32 v154, v139, v154
	v_mul_f32_e32 v144, v139, v151
	s_delay_alu instid0(VALU_DEP_3) | instskip(SKIP_1) | instid1(SALU_CYCLE_1)
	v_cmp_ne_u32_e32 vcc_lo, 0x7f800000, v141
                                        ; implicit-def: $vgpr141
	s_and_saveexec_b32 s3, vcc_lo
	s_xor_b32 s3, exec_lo, s3
; %bb.13:
	v_bfe_u32 v141, v142, 16, 1
	s_delay_alu instid0(VALU_DEP_1)
	v_add3_u32 v141, v142, v141, 0x7fff
                                        ; implicit-def: $vgpr142
; %bb.14:
	s_and_not1_saveexec_b32 s3, s3
; %bb.15:
	v_and_b32_e32 v141, 0xffff, v142
	v_or_b32_e32 v151, 0x10000, v142
	s_delay_alu instid0(VALU_DEP_2) | instskip(NEXT) | instid1(VALU_DEP_2)
	v_cmp_eq_u32_e32 vcc_lo, 0, v141
	v_cndmask_b32_e32 v141, v151, v142, vcc_lo
; %bb.16:
	s_or_b32 exec_lo, exec_lo, s3
	v_and_b32_e32 v142, 0x7f800000, v144
	s_delay_alu instid0(VALU_DEP_1) | instskip(SKIP_1) | instid1(SALU_CYCLE_1)
	v_cmp_ne_u32_e32 vcc_lo, 0x7f800000, v142
                                        ; implicit-def: $vgpr142
	s_and_saveexec_b32 s3, vcc_lo
	s_xor_b32 s3, exec_lo, s3
; %bb.17:
	v_bfe_u32 v142, v144, 16, 1
	s_delay_alu instid0(VALU_DEP_1)
	v_add3_u32 v142, v144, v142, 0x7fff
                                        ; implicit-def: $vgpr144
; %bb.18:
	s_and_not1_saveexec_b32 s3, s3
; %bb.19:
	v_and_b32_e32 v142, 0xffff, v144
	v_or_b32_e32 v151, 0x10000, v144
	s_delay_alu instid0(VALU_DEP_2) | instskip(NEXT) | instid1(VALU_DEP_2)
	v_cmp_eq_u32_e32 vcc_lo, 0, v142
	v_cndmask_b32_e32 v142, v151, v144, vcc_lo
; %bb.20:
	s_or_b32 exec_lo, exec_lo, s3
	v_and_b32_e32 v144, 0x7f800000, v153
	s_delay_alu instid0(VALU_DEP_1) | instskip(SKIP_1) | instid1(SALU_CYCLE_1)
	v_cmp_ne_u32_e32 vcc_lo, 0x7f800000, v144
                                        ; implicit-def: $vgpr144
	s_and_saveexec_b32 s3, vcc_lo
	s_xor_b32 s3, exec_lo, s3
; %bb.21:
	v_bfe_u32 v144, v153, 16, 1
	s_delay_alu instid0(VALU_DEP_1)
	v_add3_u32 v144, v153, v144, 0x7fff
                                        ; implicit-def: $vgpr153
; %bb.22:
	s_and_not1_saveexec_b32 s3, s3
; %bb.23:
	v_and_b32_e32 v144, 0xffff, v153
	v_or_b32_e32 v151, 0x10000, v153
	s_delay_alu instid0(VALU_DEP_2) | instskip(NEXT) | instid1(VALU_DEP_2)
	v_cmp_eq_u32_e32 vcc_lo, 0, v144
	v_cndmask_b32_e32 v144, v151, v153, vcc_lo
; %bb.24:
	s_or_b32 exec_lo, exec_lo, s3
	v_and_b32_e32 v151, 0x7f800000, v154
	s_delay_alu instid0(VALU_DEP_1) | instskip(SKIP_1) | instid1(SALU_CYCLE_1)
	v_cmp_ne_u32_e32 vcc_lo, 0x7f800000, v151
                                        ; implicit-def: $vgpr151
	s_and_saveexec_b32 s3, vcc_lo
	s_xor_b32 s3, exec_lo, s3
; %bb.25:
	v_bfe_u32 v151, v154, 16, 1
	s_delay_alu instid0(VALU_DEP_1)
	v_add3_u32 v151, v154, v151, 0x7fff
                                        ; implicit-def: $vgpr154
; %bb.26:
	s_and_not1_saveexec_b32 s3, s3
; %bb.27:
	v_and_b32_e32 v151, 0xffff, v154
	v_or_b32_e32 v153, 0x10000, v154
	s_delay_alu instid0(VALU_DEP_2) | instskip(NEXT) | instid1(VALU_DEP_2)
	v_cmp_eq_u32_e32 vcc_lo, 0, v151
	v_cndmask_b32_e32 v151, v153, v154, vcc_lo
; %bb.28:
	s_or_b32 exec_lo, exec_lo, s3
	v_and_b32_e32 v153, 0x7f800000, v152
	s_delay_alu instid0(VALU_DEP_1) | instskip(SKIP_1) | instid1(SALU_CYCLE_1)
	v_cmp_ne_u32_e32 vcc_lo, 0x7f800000, v153
                                        ; implicit-def: $vgpr153
	s_and_saveexec_b32 s3, vcc_lo
	s_xor_b32 s3, exec_lo, s3
; %bb.29:
	v_bfe_u32 v153, v152, 16, 1
	s_delay_alu instid0(VALU_DEP_1)
	v_add3_u32 v153, v152, v153, 0x7fff
                                        ; implicit-def: $vgpr152
; %bb.30:
	s_and_not1_saveexec_b32 s3, s3
; %bb.31:
	v_and_b32_e32 v153, 0xffff, v152
	v_or_b32_e32 v154, 0x10000, v152
	s_delay_alu instid0(VALU_DEP_2) | instskip(NEXT) | instid1(VALU_DEP_2)
	v_cmp_eq_u32_e32 vcc_lo, 0, v153
	v_cndmask_b32_e32 v153, v154, v152, vcc_lo
; %bb.32:
	s_or_b32 exec_lo, exec_lo, s3
	v_and_b32_e32 v152, 0x7f800000, v150
	s_delay_alu instid0(VALU_DEP_1) | instskip(SKIP_1) | instid1(SALU_CYCLE_1)
	v_cmp_ne_u32_e32 vcc_lo, 0x7f800000, v152
                                        ; implicit-def: $vgpr152
	s_and_saveexec_b32 s3, vcc_lo
	s_xor_b32 s3, exec_lo, s3
; %bb.33:
	v_bfe_u32 v152, v150, 16, 1
	s_delay_alu instid0(VALU_DEP_1)
	v_add3_u32 v152, v150, v152, 0x7fff
                                        ; implicit-def: $vgpr150
; %bb.34:
	s_and_not1_saveexec_b32 s3, s3
; %bb.35:
	v_and_b32_e32 v152, 0xffff, v150
	v_or_b32_e32 v154, 0x10000, v150
	s_delay_alu instid0(VALU_DEP_2) | instskip(NEXT) | instid1(VALU_DEP_2)
	v_cmp_eq_u32_e32 vcc_lo, 0, v152
	v_cndmask_b32_e32 v152, v154, v150, vcc_lo
; %bb.36:
	s_or_b32 exec_lo, exec_lo, s3
	v_and_b32_e32 v150, 0x7f800000, v143
	s_delay_alu instid0(VALU_DEP_1) | instskip(SKIP_1) | instid1(SALU_CYCLE_1)
	v_cmp_ne_u32_e32 vcc_lo, 0x7f800000, v150
                                        ; implicit-def: $vgpr150
	s_and_saveexec_b32 s3, vcc_lo
	s_xor_b32 s3, exec_lo, s3
; %bb.37:
	v_bfe_u32 v150, v143, 16, 1
	s_delay_alu instid0(VALU_DEP_1)
	v_add3_u32 v150, v143, v150, 0x7fff
                                        ; implicit-def: $vgpr143
; %bb.38:
	s_and_not1_saveexec_b32 s3, s3
; %bb.39:
	v_and_b32_e32 v150, 0xffff, v143
	v_or_b32_e32 v154, 0x10000, v143
	s_delay_alu instid0(VALU_DEP_2) | instskip(NEXT) | instid1(VALU_DEP_2)
	v_cmp_eq_u32_e32 vcc_lo, 0, v150
	v_cndmask_b32_e32 v150, v154, v143, vcc_lo
; %bb.40:
	s_or_b32 exec_lo, exec_lo, s3
	v_and_b32_e32 v143, 0x7f800000, v140
	s_delay_alu instid0(VALU_DEP_1) | instskip(SKIP_1) | instid1(SALU_CYCLE_1)
	v_cmp_ne_u32_e32 vcc_lo, 0x7f800000, v143
                                        ; implicit-def: $vgpr143
	s_and_saveexec_b32 s3, vcc_lo
	s_xor_b32 s3, exec_lo, s3
; %bb.41:
	v_bfe_u32 v143, v140, 16, 1
	s_delay_alu instid0(VALU_DEP_1)
	v_add3_u32 v143, v140, v143, 0x7fff
                                        ; implicit-def: $vgpr140
; %bb.42:
	s_and_not1_saveexec_b32 s3, s3
; %bb.43:
	v_and_b32_e32 v143, 0xffff, v140
	v_or_b32_e32 v154, 0x10000, v140
	s_delay_alu instid0(VALU_DEP_2) | instskip(NEXT) | instid1(VALU_DEP_2)
	v_cmp_eq_u32_e32 vcc_lo, 0, v143
	v_cndmask_b32_e32 v143, v154, v140, vcc_lo
; %bb.44:
	s_or_b32 exec_lo, exec_lo, s3
	s_load_b64 s[34:35], s[0:1], 0x94
	v_dual_mul_f32 v136, v139, v136 :: v_dual_lshlrev_b32 v155, 4, v146
	s_delay_alu instid0(VALU_DEP_2)
	v_perm_b32 v154, v143, v150, 0x7060302
	v_dual_mul_f32 v143, v139, v131 :: v_dual_lshlrev_b32 v140, 6, v148
	v_dual_mul_f32 v135, v139, v135 :: v_dual_lshlrev_b32 v150, 11, v149
	v_perm_b32 v153, v152, v153, 0x7060302
	v_perm_b32 v152, v151, v144, 0x7060302
	;; [unrolled: 1-line block ×3, first 2 shown]
	s_delay_alu instid0(VALU_DEP_4)
	v_or3_b32 v131, v155, v150, v140
	v_mul_f32_e32 v138, v139, v138
	v_dual_mul_f32 v137, v139, v137 :: v_dual_and_b32 v144, 0x7f800000, v143
	v_mul_f32_e32 v141, v139, v134
	v_mul_f32_e32 v142, v139, v133
	;; [unrolled: 1-line block ×3, first 2 shown]
	s_mov_b32 s3, exec_lo
	ds_store_b128 v131, v[151:154]
                                        ; implicit-def: $vgpr132
	v_cmpx_ne_u32_e32 0x7f800000, v144
	s_xor_b32 s3, exec_lo, s3
; %bb.45:
	v_bfe_u32 v132, v143, 16, 1
	s_delay_alu instid0(VALU_DEP_1)
	v_add3_u32 v132, v143, v132, 0x7fff
                                        ; implicit-def: $vgpr143
; %bb.46:
	s_and_not1_saveexec_b32 s3, s3
; %bb.47:
	v_and_b32_e32 v132, 0xffff, v143
	v_or_b32_e32 v133, 0x10000, v143
	s_delay_alu instid0(VALU_DEP_2) | instskip(NEXT) | instid1(VALU_DEP_2)
	v_cmp_eq_u32_e32 vcc_lo, 0, v132
	v_cndmask_b32_e32 v132, v133, v143, vcc_lo
; %bb.48:
	s_or_b32 exec_lo, exec_lo, s3
	v_and_b32_e32 v133, 0x7f800000, v134
	s_delay_alu instid0(VALU_DEP_1) | instskip(SKIP_1) | instid1(SALU_CYCLE_1)
	v_cmp_ne_u32_e32 vcc_lo, 0x7f800000, v133
                                        ; implicit-def: $vgpr133
	s_and_saveexec_b32 s3, vcc_lo
	s_xor_b32 s3, exec_lo, s3
; %bb.49:
	v_bfe_u32 v133, v134, 16, 1
	s_delay_alu instid0(VALU_DEP_1)
	v_add3_u32 v133, v134, v133, 0x7fff
                                        ; implicit-def: $vgpr134
; %bb.50:
	s_and_not1_saveexec_b32 s3, s3
; %bb.51:
	v_and_b32_e32 v133, 0xffff, v134
	v_or_b32_e32 v139, 0x10000, v134
	s_delay_alu instid0(VALU_DEP_2) | instskip(NEXT) | instid1(VALU_DEP_2)
	v_cmp_eq_u32_e32 vcc_lo, 0, v133
	v_cndmask_b32_e32 v133, v139, v134, vcc_lo
; %bb.52:
	s_or_b32 exec_lo, exec_lo, s3
	v_and_b32_e32 v134, 0x7f800000, v142
	s_delay_alu instid0(VALU_DEP_1) | instskip(SKIP_1) | instid1(SALU_CYCLE_1)
	v_cmp_ne_u32_e32 vcc_lo, 0x7f800000, v134
                                        ; implicit-def: $vgpr134
	s_and_saveexec_b32 s3, vcc_lo
	s_xor_b32 s3, exec_lo, s3
; %bb.53:
	v_bfe_u32 v134, v142, 16, 1
	s_delay_alu instid0(VALU_DEP_1)
	v_add3_u32 v134, v142, v134, 0x7fff
                                        ; implicit-def: $vgpr142
; %bb.54:
	s_and_not1_saveexec_b32 s3, s3
; %bb.55:
	v_and_b32_e32 v134, 0xffff, v142
	v_or_b32_e32 v139, 0x10000, v142
	s_delay_alu instid0(VALU_DEP_2) | instskip(NEXT) | instid1(VALU_DEP_2)
	v_cmp_eq_u32_e32 vcc_lo, 0, v134
	v_cndmask_b32_e32 v134, v139, v142, vcc_lo
; %bb.56:
	s_or_b32 exec_lo, exec_lo, s3
	v_and_b32_e32 v139, 0x7f800000, v141
	s_delay_alu instid0(VALU_DEP_1) | instskip(SKIP_1) | instid1(SALU_CYCLE_1)
	v_cmp_ne_u32_e32 vcc_lo, 0x7f800000, v139
                                        ; implicit-def: $vgpr139
	s_and_saveexec_b32 s3, vcc_lo
	s_xor_b32 s3, exec_lo, s3
; %bb.57:
	v_bfe_u32 v139, v141, 16, 1
	s_delay_alu instid0(VALU_DEP_1)
	v_add3_u32 v139, v141, v139, 0x7fff
                                        ; implicit-def: $vgpr141
; %bb.58:
	s_and_not1_saveexec_b32 s3, s3
; %bb.59:
	v_and_b32_e32 v139, 0xffff, v141
	v_or_b32_e32 v142, 0x10000, v141
	s_delay_alu instid0(VALU_DEP_2) | instskip(NEXT) | instid1(VALU_DEP_2)
	v_cmp_eq_u32_e32 vcc_lo, 0, v139
	v_cndmask_b32_e32 v139, v142, v141, vcc_lo
; %bb.60:
	s_or_b32 exec_lo, exec_lo, s3
	v_and_b32_e32 v141, 0x7f800000, v135
	s_delay_alu instid0(VALU_DEP_1) | instskip(SKIP_1) | instid1(SALU_CYCLE_1)
	v_cmp_ne_u32_e32 vcc_lo, 0x7f800000, v141
                                        ; implicit-def: $vgpr141
	s_and_saveexec_b32 s3, vcc_lo
	s_xor_b32 s3, exec_lo, s3
; %bb.61:
	v_bfe_u32 v141, v135, 16, 1
	s_delay_alu instid0(VALU_DEP_1)
	v_add3_u32 v141, v135, v141, 0x7fff
                                        ; implicit-def: $vgpr135
; %bb.62:
	s_and_not1_saveexec_b32 s3, s3
; %bb.63:
	v_and_b32_e32 v141, 0xffff, v135
	v_or_b32_e32 v142, 0x10000, v135
	s_delay_alu instid0(VALU_DEP_2) | instskip(NEXT) | instid1(VALU_DEP_2)
	v_cmp_eq_u32_e32 vcc_lo, 0, v141
	v_cndmask_b32_e32 v141, v142, v135, vcc_lo
; %bb.64:
	s_or_b32 exec_lo, exec_lo, s3
	v_and_b32_e32 v135, 0x7f800000, v136
	s_delay_alu instid0(VALU_DEP_1) | instskip(SKIP_1) | instid1(SALU_CYCLE_1)
	v_cmp_ne_u32_e32 vcc_lo, 0x7f800000, v135
                                        ; implicit-def: $vgpr135
	s_and_saveexec_b32 s3, vcc_lo
	s_xor_b32 s3, exec_lo, s3
; %bb.65:
	v_bfe_u32 v135, v136, 16, 1
	s_delay_alu instid0(VALU_DEP_1)
	v_add3_u32 v135, v136, v135, 0x7fff
                                        ; implicit-def: $vgpr136
; %bb.66:
	s_and_not1_saveexec_b32 s3, s3
; %bb.67:
	v_and_b32_e32 v135, 0xffff, v136
	v_or_b32_e32 v142, 0x10000, v136
	s_delay_alu instid0(VALU_DEP_2) | instskip(NEXT) | instid1(VALU_DEP_2)
	v_cmp_eq_u32_e32 vcc_lo, 0, v135
	v_cndmask_b32_e32 v135, v142, v136, vcc_lo
; %bb.68:
	s_or_b32 exec_lo, exec_lo, s3
	v_and_b32_e32 v136, 0x7f800000, v137
	s_delay_alu instid0(VALU_DEP_1) | instskip(SKIP_1) | instid1(SALU_CYCLE_1)
	v_cmp_ne_u32_e32 vcc_lo, 0x7f800000, v136
                                        ; implicit-def: $vgpr136
	s_and_saveexec_b32 s3, vcc_lo
	s_xor_b32 s3, exec_lo, s3
; %bb.69:
	v_bfe_u32 v136, v137, 16, 1
	s_delay_alu instid0(VALU_DEP_1)
	v_add3_u32 v136, v137, v136, 0x7fff
                                        ; implicit-def: $vgpr137
; %bb.70:
	s_and_not1_saveexec_b32 s3, s3
; %bb.71:
	v_and_b32_e32 v136, 0xffff, v137
	v_or_b32_e32 v142, 0x10000, v137
	s_delay_alu instid0(VALU_DEP_2) | instskip(NEXT) | instid1(VALU_DEP_2)
	v_cmp_eq_u32_e32 vcc_lo, 0, v136
	v_cndmask_b32_e32 v136, v142, v137, vcc_lo
; %bb.72:
	s_or_b32 exec_lo, exec_lo, s3
	v_and_b32_e32 v137, 0x7f800000, v138
	s_delay_alu instid0(VALU_DEP_1) | instskip(SKIP_1) | instid1(SALU_CYCLE_1)
	v_cmp_ne_u32_e32 vcc_lo, 0x7f800000, v137
                                        ; implicit-def: $vgpr137
	s_and_saveexec_b32 s3, vcc_lo
	s_xor_b32 s3, exec_lo, s3
; %bb.73:
	v_bfe_u32 v137, v138, 16, 1
	s_delay_alu instid0(VALU_DEP_1)
	v_add3_u32 v137, v138, v137, 0x7fff
                                        ; implicit-def: $vgpr138
; %bb.74:
	s_and_not1_saveexec_b32 s3, s3
; %bb.75:
	v_and_b32_e32 v137, 0xffff, v138
	v_or_b32_e32 v142, 0x10000, v138
	s_delay_alu instid0(VALU_DEP_2) | instskip(NEXT) | instid1(VALU_DEP_2)
	v_cmp_eq_u32_e32 vcc_lo, 0, v137
	v_cndmask_b32_e32 v137, v142, v138, vcc_lo
; %bb.76:
	s_or_b32 exec_lo, exec_lo, s3
	s_delay_alu instid0(VALU_DEP_1)
	v_perm_b32 v136, v137, v136, 0x7060302
	v_perm_b32 v135, v135, v141, 0x7060302
	;; [unrolled: 1-line block ×4, first 2 shown]
	v_lshl_or_b32 v141, v149, 11, v140
	ds_store_b128 v131, v[133:136] offset:1024
	s_waitcnt lgkmcnt(0)
	s_barrier
	buffer_gl0_inv
	ds_load_b128 v[132:135], v141
	ds_load_b128 v[149:152], v141 offset:16
	s_waitcnt lgkmcnt(1)
	v_lshrrev_b32_e32 v136, 16, v132
	s_waitcnt lgkmcnt(0)
	v_lshrrev_b32_e32 v164, 16, v151
	v_lshlrev_b32_e32 v138, 2, v146
	v_lshrrev_b32_e32 v143, 16, v149
	v_lshrrev_b32_e32 v162, 16, v150
	;; [unrolled: 1-line block ×4, first 2 shown]
	v_or_b32_e32 v139, 1, v138
	v_lshrrev_b32_e32 v165, 16, v152
	v_lshrrev_b32_e32 v163, 16, v135
	s_delay_alu instid0(VALU_DEP_3)
	v_cmp_eq_u32_e64 s7, 1, v139
	v_cmp_eq_u32_e64 s6, 2, v139
	;; [unrolled: 1-line block ×4, first 2 shown]
	v_cmp_eq_u32_e32 vcc_lo, 5, v139
	v_cndmask_b32_e64 v155, v149, v143, s7
	v_cndmask_b32_e64 v154, v132, v136, s7
	v_cmp_eq_u32_e64 s4, 6, v139
	v_cmp_eq_u32_e64 s19, 7, v139
	s_delay_alu instid0(VALU_DEP_4) | instskip(NEXT) | instid1(VALU_DEP_4)
	v_cndmask_b32_e64 v155, v155, v150, s6
	v_cndmask_b32_e64 v154, v154, v133, s6
	s_delay_alu instid0(VALU_DEP_2) | instskip(NEXT) | instid1(VALU_DEP_2)
	v_cndmask_b32_e64 v155, v155, v162, s5
	v_cndmask_b32_e64 v154, v154, v144, s5
	s_delay_alu instid0(VALU_DEP_2) | instskip(NEXT) | instid1(VALU_DEP_2)
	v_cndmask_b32_e64 v155, v155, v151, s3
	v_cndmask_b32_e64 v154, v154, v134, s3
	s_delay_alu instid0(VALU_DEP_2)
	v_cndmask_b32_e32 v157, v155, v164, vcc_lo
	v_cmp_eq_u32_e64 s12, 1, v138
	v_cmp_eq_u32_e64 s11, 2, v138
	;; [unrolled: 1-line block ×3, first 2 shown]
	v_or_b32_e32 v137, 2, v138
	v_cmp_eq_u32_e64 s17, 4, v138
	v_cndmask_b32_e64 v153, v149, v143, s12
	v_cndmask_b32_e64 v142, v132, v136, s12
	v_cmp_eq_u32_e64 s13, 5, v138
	v_cmp_eq_u32_e64 s8, 1, v137
	;; [unrolled: 1-line block ×3, first 2 shown]
	v_cndmask_b32_e64 v153, v153, v150, s11
	v_cndmask_b32_e64 v142, v142, v133, s11
	v_cmp_eq_u32_e64 s10, 2, v137
	v_cndmask_b32_e64 v156, v132, v136, s8
	v_cndmask_b32_e32 v154, v154, v161, vcc_lo
	v_cndmask_b32_e64 v153, v153, v162, s16
	v_cndmask_b32_e64 v142, v142, v144, s16
	v_cmp_eq_u32_e64 s9, 7, v138
	v_cndmask_b32_e64 v156, v156, v133, s10
	v_cmp_eq_u32_e64 s18, 3, v137
	v_cndmask_b32_e64 v153, v153, v151, s17
	v_cndmask_b32_e64 v142, v142, v134, s17
	;; [unrolled: 1-line block ×3, first 2 shown]
	v_cmp_eq_u32_e64 s20, 4, v137
	v_cndmask_b32_e64 v156, v156, v144, s18
	v_cndmask_b32_e64 v153, v153, v164, s13
	;; [unrolled: 1-line block ×4, first 2 shown]
	v_cmp_eq_u32_e64 s22, 5, v137
	v_cndmask_b32_e64 v159, v156, v134, s20
	v_cndmask_b32_e64 v153, v153, v152, s15
	;; [unrolled: 1-line block ×3, first 2 shown]
	v_cmp_eq_u32_e64 s25, 6, v137
	v_cmp_eq_u32_e64 s27, 7, v137
	v_cndmask_b32_e64 v169, v159, v161, s22
	v_cndmask_b32_e64 v167, v153, v165, s9
	;; [unrolled: 1-line block ×4, first 2 shown]
	v_or_b32_e32 v142, 3, v138
	s_delay_alu instid0(VALU_DEP_3)
	v_cndmask_b32_e64 v158, v153, v150, s10
	ds_load_b128 v[153:156], v141 offset:1024
	v_cmp_eq_u32_e64 s21, 1, v142
	v_cmp_eq_u32_e64 s23, 2, v142
	;; [unrolled: 1-line block ×3, first 2 shown]
	v_cndmask_b32_e64 v158, v158, v162, s18
	v_cmp_eq_u32_e64 s26, 4, v142
	v_cndmask_b32_e64 v132, v132, v136, s21
	v_cndmask_b32_e64 v136, v157, v152, s4
	;; [unrolled: 1-line block ×4, first 2 shown]
	ds_load_b128 v[157:160], v141 offset:1040
	v_cndmask_b32_e64 v132, v132, v133, s23
	v_cmp_eq_u32_e64 s28, 5, v142
	v_cndmask_b32_e64 v143, v143, v150, s23
	v_cmp_eq_u32_e64 s29, 6, v142
	v_cndmask_b32_e64 v133, v170, v164, s22
	v_cndmask_b32_e64 v132, v132, v144, s24
	;; [unrolled: 1-line block ×5, first 2 shown]
	s_waitcnt lgkmcnt(1)
	v_lshrrev_b32_e32 v149, 16, v153
	v_cndmask_b32_e64 v132, v132, v134, s26
	v_cndmask_b32_e64 v133, v133, v152, s25
	v_cndmask_b32_e64 v134, v143, v151, s26
	v_lshrrev_b32_e32 v151, 16, v154
	v_cndmask_b32_e64 v143, v153, v149, s12
	v_cndmask_b32_e64 v132, v132, v161, s28
	v_cndmask_b32_e64 v161, v153, v149, s7
	v_cndmask_b32_e64 v134, v134, v164, s28
	v_cndmask_b32_e64 v144, v144, v163, s27
	s_waitcnt lgkmcnt(0)
	v_lshrrev_b32_e32 v150, 16, v157
	v_cndmask_b32_e64 v143, v143, v154, s11
	v_cndmask_b32_e64 v132, v132, v135, s29
	;; [unrolled: 1-line block ×3, first 2 shown]
	v_lshrrev_b32_e32 v164, 16, v159
	v_cndmask_b32_e64 v162, v157, v150, s12
	v_cndmask_b32_e64 v135, v143, v151, s16
	v_cndmask_b32_e64 v143, v161, v154, s6
	v_lshrrev_b32_e32 v161, 16, v158
	v_cndmask_b32_e64 v133, v133, v165, s27
	v_cndmask_b32_e64 v152, v162, v158, s11
	v_cmp_eq_u32_e64 s11, 7, v142
	v_cndmask_b32_e64 v143, v143, v151, s5
	v_cndmask_b32_e64 v135, v135, v155, s17
	v_lshrrev_b32_e32 v162, 16, v155
	v_cndmask_b32_e64 v152, v152, v161, s16
	v_cndmask_b32_e64 v132, v132, v163, s11
	;; [unrolled: 1-line block ×6, first 2 shown]
	s_delay_alu instid0(VALU_DEP_4) | instskip(NEXT) | instid1(VALU_DEP_4)
	v_perm_b32 v135, v134, v132, 0x5040100
	v_cndmask_b32_e32 v132, v143, v162, vcc_lo
	s_delay_alu instid0(VALU_DEP_4)
	v_cndmask_b32_e64 v143, v163, v156, s15
	v_lshrrev_b32_e32 v163, 16, v156
	v_cndmask_b32_e64 v152, v152, v164, s13
	v_perm_b32 v134, v133, v144, 0x5040100
	v_cndmask_b32_e64 v132, v132, v156, s4
	v_perm_b32 v133, v136, v168, 0x5040100
	v_cndmask_b32_e64 v136, v143, v163, s9
	v_cndmask_b32_e64 v143, v152, v160, s15
	v_cndmask_b32_e64 v152, v157, v150, s21
	v_cndmask_b32_e64 v165, v132, v163, s19
	v_cndmask_b32_e64 v132, v153, v149, s8
	v_cndmask_b32_e64 v149, v153, v149, s21
	v_cndmask_b32_e64 v153, v157, v150, s8
	v_cndmask_b32_e64 v150, v157, v150, s7
	v_cndmask_b32_e64 v152, v152, v158, s23
	v_cndmask_b32_e64 v132, v132, v154, s10
	v_cndmask_b32_e64 v149, v149, v154, s23
	v_cndmask_b32_e64 v153, v153, v158, s10
	v_cndmask_b32_e64 v150, v150, v158, s6
	v_lshrrev_b32_e32 v144, 16, v160
	v_cndmask_b32_e64 v132, v132, v151, s18
	v_cndmask_b32_e64 v149, v149, v151, s24
	;; [unrolled: 1-line block ×14, first 2 shown]
	v_cndmask_b32_e32 v150, v150, v164, vcc_lo
	v_cndmask_b32_e64 v132, v132, v156, s25
	v_cndmask_b32_e64 v149, v149, v156, s29
	;; [unrolled: 1-line block ×11, first 2 shown]
	v_perm_b32 v132, v167, v166, 0x5040100
	v_perm_b32 v152, v151, v149, 0x5040100
	v_perm_b32 v151, v154, v153, 0x5040100
	v_perm_b32 v150, v150, v165, 0x5040100
	v_perm_b32 v149, v143, v136, 0x5040100
	s_mul_i32 s8, s35, 10
	s_mov_b32 s3, exec_lo
	ds_store_b128 v131, v[132:135]
	ds_store_b128 v131, v[149:152] offset:1024
	v_cmpx_gt_u32_e32 10, v0
	s_cbranch_execz .LBB395_78
; %bb.77:
	s_mul_i32 s4, s8, s30
	s_delay_alu instid0(SALU_CYCLE_1) | instskip(SKIP_1) | instid1(VALU_DEP_1)
	v_add3_u32 v133, s4, s31, v148
	s_load_b128 s[4:7], s[0:1], 0x58
	v_mad_u64_u32 v[131:132], null, v133, s34, s[14:15]
	s_delay_alu instid0(VALU_DEP_1) | instskip(NEXT) | instid1(VALU_DEP_1)
	v_ashrrev_i32_e32 v132, 31, v131
	v_lshlrev_b64 v[131:132], 2, v[131:132]
	s_waitcnt lgkmcnt(0)
	s_delay_alu instid0(VALU_DEP_1) | instskip(NEXT) | instid1(VALU_DEP_2)
	v_add_co_u32 v133, vcc_lo, s6, v131
	v_add_co_ci_u32_e32 v134, vcc_lo, s7, v132, vcc_lo
	v_add_co_u32 v131, vcc_lo, s4, v131
	v_add_co_ci_u32_e32 v132, vcc_lo, s5, v132, vcc_lo
	global_store_b32 v[133:134], v129, off
	global_store_b32 v[131:132], v130, off
.LBB395_78:
	s_or_b32 exec_lo, exec_lo, s3
	s_waitcnt lgkmcnt(0)
	s_waitcnt_vscnt null, 0x0
	s_barrier
	buffer_gl0_inv
	ds_load_b128 v[148:151], v140
	ds_load_b128 v[152:155], v140 offset:16
	ds_load_b128 v[160:163], v140 offset:1040
	;; [unrolled: 1-line block ×3, first 2 shown]
	v_mov_b32_e32 v129, 0
	ds_load_b128 v[168:171], v140 offset:2064
	ds_load_b128 v[164:167], v140 offset:2048
	;; [unrolled: 1-line block ×6, first 2 shown]
	v_mov_b32_e32 v130, v129
	v_mov_b32_e32 v131, v129
	;; [unrolled: 1-line block ×7, first 2 shown]
	s_waitcnt lgkmcnt(8)
	s_delay_alu instid0(VALU_DEP_1)
	v_wmma_f32_16x16x16_bf16 v[129:136], v[121:128], v[148:155], v[129:136]
	ds_load_b128 v[125:128], v140 offset:5136
	ds_load_b128 v[121:124], v140 offset:5120
	s_waitcnt lgkmcnt(8)
	v_wmma_f32_16x16x16_bf16 v[129:136], v[113:120], v[156:163], v[129:136]
	ds_load_b128 v[117:120], v140 offset:6160
	ds_load_b128 v[113:116], v140 offset:6144
	s_waitcnt lgkmcnt(8)
	;; [unrolled: 4-line block ×8, first 2 shown]
	v_wmma_f32_16x16x16_bf16 v[129:136], v[65:72], v[97:104], v[129:136]
	s_waitcnt lgkmcnt(6)
	s_delay_alu instid0(VALU_DEP_1)
	v_wmma_f32_16x16x16_bf16 v[129:136], v[49:56], v[89:96], v[129:136]
	ds_load_b128 v[53:56], v140 offset:13328
	ds_load_b128 v[49:52], v140 offset:13312
	s_waitcnt lgkmcnt(6)
	v_wmma_f32_16x16x16_bf16 v[129:136], v[41:48], v[81:88], v[129:136]
	ds_load_b128 v[45:48], v140 offset:14352
	ds_load_b128 v[41:44], v140 offset:14336
	s_waitcnt lgkmcnt(6)
	;; [unrolled: 4-line block ×3, first 2 shown]
	v_wmma_f32_16x16x16_bf16 v[129:136], v[1:8], v[57:64], v[129:136]
	s_waitcnt lgkmcnt(4)
	s_delay_alu instid0(VALU_DEP_1) | instskip(SKIP_1) | instid1(VALU_DEP_1)
	v_wmma_f32_16x16x16_bf16 v[129:136], v[25:32], v[49:56], v[129:136]
	s_waitcnt lgkmcnt(2)
	v_wmma_f32_16x16x16_bf16 v[129:136], v[33:40], v[41:48], v[129:136]
	s_waitcnt lgkmcnt(0)
	s_delay_alu instid0(VALU_DEP_1) | instskip(NEXT) | instid1(VALU_DEP_1)
	v_wmma_f32_16x16x16_bf16 v[129:136], v[9:16], v[17:24], v[129:136]
	v_and_b32_e32 v1, 0x7f800000, v129
	s_delay_alu instid0(VALU_DEP_1) | instskip(SKIP_1) | instid1(SALU_CYCLE_1)
	v_cmp_ne_u32_e32 vcc_lo, 0x7f800000, v1
                                        ; implicit-def: $vgpr1
	s_and_saveexec_b32 s3, vcc_lo
	s_xor_b32 s3, exec_lo, s3
; %bb.79:
	v_bfe_u32 v1, v129, 16, 1
	s_delay_alu instid0(VALU_DEP_1)
	v_add3_u32 v1, v129, v1, 0x7fff
; %bb.80:
	s_and_not1_saveexec_b32 s3, s3
; %bb.81:
	v_and_b32_e32 v1, 0xffff, v129
	v_or_b32_e32 v2, 0x10000, v129
	s_delay_alu instid0(VALU_DEP_2) | instskip(NEXT) | instid1(VALU_DEP_2)
	v_cmp_eq_u32_e32 vcc_lo, 0, v1
	v_cndmask_b32_e32 v1, v2, v129, vcc_lo
; %bb.82:
	s_or_b32 exec_lo, exec_lo, s3
	v_and_b32_e32 v2, 0x7f800000, v130
	s_delay_alu instid0(VALU_DEP_1) | instskip(SKIP_1) | instid1(SALU_CYCLE_1)
	v_cmp_ne_u32_e32 vcc_lo, 0x7f800000, v2
                                        ; implicit-def: $vgpr2
	s_and_saveexec_b32 s3, vcc_lo
	s_xor_b32 s3, exec_lo, s3
; %bb.83:
	v_bfe_u32 v2, v130, 16, 1
	s_delay_alu instid0(VALU_DEP_1)
	v_add3_u32 v2, v130, v2, 0x7fff
; %bb.84:
	s_and_not1_saveexec_b32 s3, s3
; %bb.85:
	v_and_b32_e32 v2, 0xffff, v130
	v_or_b32_e32 v3, 0x10000, v130
	s_delay_alu instid0(VALU_DEP_2) | instskip(NEXT) | instid1(VALU_DEP_2)
	v_cmp_eq_u32_e32 vcc_lo, 0, v2
	v_cndmask_b32_e32 v2, v3, v130, vcc_lo
; %bb.86:
	s_or_b32 exec_lo, exec_lo, s3
	v_and_b32_e32 v3, 0x7f800000, v131
	s_delay_alu instid0(VALU_DEP_1) | instskip(SKIP_1) | instid1(SALU_CYCLE_1)
	v_cmp_ne_u32_e32 vcc_lo, 0x7f800000, v3
                                        ; implicit-def: $vgpr3
	s_and_saveexec_b32 s3, vcc_lo
	s_xor_b32 s3, exec_lo, s3
; %bb.87:
	v_bfe_u32 v3, v131, 16, 1
	s_delay_alu instid0(VALU_DEP_1)
	v_add3_u32 v3, v131, v3, 0x7fff
; %bb.88:
	s_and_not1_saveexec_b32 s3, s3
; %bb.89:
	v_and_b32_e32 v3, 0xffff, v131
	v_or_b32_e32 v4, 0x10000, v131
	s_delay_alu instid0(VALU_DEP_2) | instskip(NEXT) | instid1(VALU_DEP_2)
	v_cmp_eq_u32_e32 vcc_lo, 0, v3
	v_cndmask_b32_e32 v3, v4, v131, vcc_lo
; %bb.90:
	s_or_b32 exec_lo, exec_lo, s3
	v_and_b32_e32 v4, 0x7f800000, v132
	s_delay_alu instid0(VALU_DEP_1) | instskip(SKIP_1) | instid1(SALU_CYCLE_1)
	v_cmp_ne_u32_e32 vcc_lo, 0x7f800000, v4
                                        ; implicit-def: $vgpr4
	s_and_saveexec_b32 s3, vcc_lo
	s_xor_b32 s3, exec_lo, s3
; %bb.91:
	v_bfe_u32 v4, v132, 16, 1
	s_delay_alu instid0(VALU_DEP_1)
	v_add3_u32 v4, v132, v4, 0x7fff
; %bb.92:
	s_and_not1_saveexec_b32 s3, s3
; %bb.93:
	v_and_b32_e32 v4, 0xffff, v132
	v_or_b32_e32 v5, 0x10000, v132
	s_delay_alu instid0(VALU_DEP_2) | instskip(NEXT) | instid1(VALU_DEP_2)
	v_cmp_eq_u32_e32 vcc_lo, 0, v4
	v_cndmask_b32_e32 v4, v5, v132, vcc_lo
; %bb.94:
	s_or_b32 exec_lo, exec_lo, s3
	v_and_b32_e32 v5, 0x7f800000, v133
	s_delay_alu instid0(VALU_DEP_1) | instskip(SKIP_1) | instid1(SALU_CYCLE_1)
	v_cmp_ne_u32_e32 vcc_lo, 0x7f800000, v5
                                        ; implicit-def: $vgpr5
	s_and_saveexec_b32 s3, vcc_lo
	s_xor_b32 s3, exec_lo, s3
; %bb.95:
	v_bfe_u32 v5, v133, 16, 1
	s_delay_alu instid0(VALU_DEP_1)
	v_add3_u32 v5, v133, v5, 0x7fff
; %bb.96:
	s_and_not1_saveexec_b32 s3, s3
; %bb.97:
	v_and_b32_e32 v5, 0xffff, v133
	v_or_b32_e32 v6, 0x10000, v133
	s_delay_alu instid0(VALU_DEP_2) | instskip(NEXT) | instid1(VALU_DEP_2)
	v_cmp_eq_u32_e32 vcc_lo, 0, v5
	v_cndmask_b32_e32 v5, v6, v133, vcc_lo
; %bb.98:
	s_or_b32 exec_lo, exec_lo, s3
	v_and_b32_e32 v6, 0x7f800000, v134
	s_delay_alu instid0(VALU_DEP_1) | instskip(SKIP_1) | instid1(SALU_CYCLE_1)
	v_cmp_ne_u32_e32 vcc_lo, 0x7f800000, v6
                                        ; implicit-def: $vgpr6
	s_and_saveexec_b32 s3, vcc_lo
	s_xor_b32 s3, exec_lo, s3
; %bb.99:
	v_bfe_u32 v6, v134, 16, 1
	s_delay_alu instid0(VALU_DEP_1)
	v_add3_u32 v6, v134, v6, 0x7fff
; %bb.100:
	s_and_not1_saveexec_b32 s3, s3
; %bb.101:
	v_and_b32_e32 v6, 0xffff, v134
	v_or_b32_e32 v7, 0x10000, v134
	s_delay_alu instid0(VALU_DEP_2) | instskip(NEXT) | instid1(VALU_DEP_2)
	v_cmp_eq_u32_e32 vcc_lo, 0, v6
	v_cndmask_b32_e32 v6, v7, v134, vcc_lo
; %bb.102:
	s_or_b32 exec_lo, exec_lo, s3
	v_and_b32_e32 v7, 0x7f800000, v135
	s_delay_alu instid0(VALU_DEP_1) | instskip(SKIP_1) | instid1(SALU_CYCLE_1)
	v_cmp_ne_u32_e32 vcc_lo, 0x7f800000, v7
                                        ; implicit-def: $vgpr7
	s_and_saveexec_b32 s3, vcc_lo
	s_xor_b32 s3, exec_lo, s3
; %bb.103:
	v_bfe_u32 v7, v135, 16, 1
	s_delay_alu instid0(VALU_DEP_1)
	v_add3_u32 v7, v135, v7, 0x7fff
; %bb.104:
	s_and_not1_saveexec_b32 s3, s3
; %bb.105:
	v_and_b32_e32 v7, 0xffff, v135
	v_or_b32_e32 v8, 0x10000, v135
	s_delay_alu instid0(VALU_DEP_2) | instskip(NEXT) | instid1(VALU_DEP_2)
	v_cmp_eq_u32_e32 vcc_lo, 0, v7
	v_cndmask_b32_e32 v7, v8, v135, vcc_lo
; %bb.106:
	s_or_b32 exec_lo, exec_lo, s3
	v_and_b32_e32 v8, 0x7f800000, v136
	s_delay_alu instid0(VALU_DEP_1) | instskip(SKIP_1) | instid1(SALU_CYCLE_1)
	v_cmp_ne_u32_e32 vcc_lo, 0x7f800000, v8
                                        ; implicit-def: $vgpr8
	s_and_saveexec_b32 s3, vcc_lo
	s_xor_b32 s3, exec_lo, s3
; %bb.107:
	v_bfe_u32 v8, v136, 16, 1
	s_delay_alu instid0(VALU_DEP_1)
	v_add3_u32 v8, v136, v8, 0x7fff
                                        ; implicit-def: $vgpr129_vgpr130_vgpr131_vgpr132_vgpr133_vgpr134_vgpr135_vgpr136
; %bb.108:
	s_and_not1_saveexec_b32 s3, s3
; %bb.109:
	v_and_b32_e32 v8, 0xffff, v136
	v_or_b32_e32 v9, 0x10000, v136
	s_delay_alu instid0(VALU_DEP_2) | instskip(NEXT) | instid1(VALU_DEP_2)
	v_cmp_eq_u32_e32 vcc_lo, 0, v8
	v_cndmask_b32_e32 v8, v9, v136, vcc_lo
; %bb.110:
	s_or_b32 exec_lo, exec_lo, s3
	s_delay_alu instid0(VALU_DEP_1)
	v_perm_b32 v7, v8, v7, 0x7060302
	v_perm_b32 v6, v6, v5, 0x7060302
	;; [unrolled: 1-line block ×4, first 2 shown]
	v_lshl_or_b32 v9, v146, 4, v141
	s_barrier
	buffer_gl0_inv
	v_cmp_eq_u32_e32 vcc_lo, 1, v138
	ds_store_b128 v9, v[4:7]
	s_waitcnt lgkmcnt(0)
	s_barrier
	buffer_gl0_inv
	ds_load_b128 v[1:4], v141
	ds_load_b128 v[5:8], v141 offset:16
	v_cmp_eq_u32_e64 s4, 2, v138
	v_cmp_eq_u32_e64 s3, 1, v139
	;; [unrolled: 1-line block ×5, first 2 shown]
	s_waitcnt lgkmcnt(1)
	v_lshrrev_b32_e32 v10, 16, v1
	s_waitcnt lgkmcnt(0)
	v_lshrrev_b32_e32 v14, 16, v5
	v_lshrrev_b32_e32 v15, 16, v6
	;; [unrolled: 1-line block ×4, first 2 shown]
	v_cndmask_b32_e64 v20, v1, v10, s3
	v_cndmask_b32_e32 v19, v5, v14, vcc_lo
	v_cndmask_b32_e64 v21, v5, v14, s3
	v_lshrrev_b32_e32 v16, 16, v7
	v_cmp_eq_u32_e64 s3, 1, v137
	v_lshrrev_b32_e32 v13, 16, v4
	v_cndmask_b32_e64 v19, v19, v6, s4
	v_lshrrev_b32_e32 v17, 16, v8
	s_delay_alu instid0(VALU_DEP_4) | instskip(SKIP_1) | instid1(VALU_DEP_4)
	v_cndmask_b32_e64 v22, v1, v10, s3
	v_cndmask_b32_e64 v23, v5, v14, s3
	;; [unrolled: 1-line block ×3, first 2 shown]
	v_cndmask_b32_e32 v18, v1, v10, vcc_lo
	v_cmp_eq_u32_e32 vcc_lo, 2, v139
	v_cmp_eq_u32_e64 s3, 2, v142
	v_cndmask_b32_e64 v22, v22, v2, s7
	v_cndmask_b32_e32 v20, v20, v2, vcc_lo
	v_cndmask_b32_e32 v21, v21, v6, vcc_lo
	v_cmp_eq_u32_e32 vcc_lo, 4, v138
	v_cndmask_b32_e32 v19, v19, v7, vcc_lo
	v_cndmask_b32_e64 v18, v18, v2, s4
	v_cmp_eq_u32_e64 s4, 3, v139
	s_delay_alu instid0(VALU_DEP_2) | instskip(NEXT) | instid1(VALU_DEP_2)
	v_cndmask_b32_e64 v18, v18, v11, s5
	v_cndmask_b32_e64 v21, v21, v15, s4
	v_cmp_eq_u32_e64 s5, 5, v138
	s_delay_alu instid0(VALU_DEP_3) | instskip(SKIP_1) | instid1(VALU_DEP_3)
	v_cndmask_b32_e32 v18, v18, v3, vcc_lo
	v_cmp_eq_u32_e32 vcc_lo, 4, v139
	v_cndmask_b32_e64 v19, v19, v16, s5
	s_delay_alu instid0(VALU_DEP_3) | instskip(SKIP_4) | instid1(VALU_DEP_3)
	v_cndmask_b32_e64 v18, v18, v12, s5
	v_cndmask_b32_e32 v21, v21, v7, vcc_lo
	v_cndmask_b32_e64 v20, v20, v11, s4
	v_cmp_eq_u32_e64 s4, 5, v139
	v_cmp_eq_u32_e64 s5, 6, v138
	v_cndmask_b32_e32 v20, v20, v3, vcc_lo
	s_delay_alu instid0(VALU_DEP_3) | instskip(SKIP_1) | instid1(VALU_DEP_4)
	v_cndmask_b32_e64 v21, v21, v16, s4
	v_cmp_eq_u32_e32 vcc_lo, 6, v139
	v_cndmask_b32_e64 v18, v18, v4, s5
	v_cndmask_b32_e64 v19, v19, v8, s5
	;; [unrolled: 1-line block ×3, first 2 shown]
	v_cmp_eq_u32_e64 s4, 1, v142
	v_cmp_eq_u32_e64 s5, 7, v138
	s_delay_alu instid0(VALU_DEP_3) | instskip(NEXT) | instid1(VALU_DEP_3)
	v_cndmask_b32_e32 v20, v20, v4, vcc_lo
	v_cndmask_b32_e64 v1, v1, v10, s4
	v_cndmask_b32_e64 v5, v5, v14, s4
	v_cmp_eq_u32_e64 s4, 3, v137
	v_cndmask_b32_e64 v14, v23, v6, s7
	v_cmp_eq_u32_e64 s7, 3, v142
	v_cndmask_b32_e64 v1, v1, v2, s3
	v_cndmask_b32_e64 v2, v5, v6, s3
	;; [unrolled: 1-line block ×3, first 2 shown]
	v_cmp_eq_u32_e64 s3, 4, v137
	v_cndmask_b32_e64 v6, v14, v15, s4
	v_cndmask_b32_e64 v1, v1, v11, s7
	v_cmp_eq_u32_e64 s4, 4, v142
	v_cndmask_b32_e64 v2, v2, v15, s7
	v_cndmask_b32_e64 v5, v10, v3, s3
	v_cmp_eq_u32_e64 s7, 5, v137
	v_cndmask_b32_e64 v6, v6, v7, s3
	v_cndmask_b32_e64 v1, v1, v3, s4
	v_cndmask_b32_e64 v2, v2, v7, s4
	v_cmp_eq_u32_e64 s3, 5, v142
	v_cndmask_b32_e64 v5, v5, v12, s7
	v_cmp_eq_u32_e64 s4, 6, v137
	;; [unrolled: 2-line block ×3, first 2 shown]
	v_cndmask_b32_e64 v1, v1, v12, s3
	v_cndmask_b32_e64 v2, v2, v16, s3
	;; [unrolled: 1-line block ×4, first 2 shown]
	v_cmp_eq_u32_e64 s3, 7, v142
	v_cndmask_b32_e64 v1, v1, v4, s7
	v_cndmask_b32_e64 v2, v2, v8, s7
	v_cmp_eq_u32_e64 s4, 7, v137
	v_cndmask_b32_e32 v4, v21, v8, vcc_lo
	v_cndmask_b32_e64 v18, v18, v13, s5
	v_cndmask_b32_e64 v20, v20, v13, s6
	;; [unrolled: 1-line block ×8, first 2 shown]
	v_cmp_gt_u32_e32 vcc_lo, 32, v0
	v_perm_b32 v4, v2, v1, 0x5040100
	v_perm_b32 v3, v3, v5, 0x5040100
	;; [unrolled: 1-line block ×4, first 2 shown]
	s_and_b32 s2, vcc_lo, s2
	ds_store_b128 v9, v[1:4]
	s_waitcnt lgkmcnt(0)
	s_barrier
	buffer_gl0_inv
	s_and_saveexec_b32 s3, s2
	s_cbranch_execz .LBB395_2
; %bb.111:
	s_load_b64 s[0:1], s[0:1], 0x68
	s_lshl_b32 s4, s34, 6
	v_or_b32_e32 v2, s31, v146
	s_mul_i32 s2, s4, s30
	v_lshlrev_b32_e32 v0, 10, v0
	s_mul_i32 s2, s2, s8
	v_lshlrev_b32_e32 v1, 4, v147
	s_ashr_i32 s3, s2, 31
	v_mul_lo_u32 v20, v2, s4
	s_lshl_b64 s[2:3], s[2:3], 1
	v_lshlrev_b32_e32 v3, 6, v146
	v_and_b32_e32 v0, 0x3800, v0
	s_delay_alu instid0(VALU_DEP_1) | instskip(NEXT) | instid1(VALU_DEP_4)
	v_or3_b32 v16, v0, v1, v3
	v_ashrrev_i32_e32 v21, 31, v20
	ds_load_b128 v[0:3], v16
	ds_load_b128 v[4:7], v16 offset:128
	s_waitcnt lgkmcnt(0)
	s_add_u32 s2, s0, s2
	s_addc_u32 s3, s1, s3
	s_lshl_b32 s0, s14, 6
	ds_load_b128 v[8:11], v16 offset:256
	ds_load_b128 v[12:15], v16 offset:384
	;; [unrolled: 1-line block ×3, first 2 shown]
	s_ashr_i32 s1, s0, 31
	s_delay_alu instid0(SALU_CYCLE_1) | instskip(NEXT) | instid1(SALU_CYCLE_1)
	s_lshl_b64 s[0:1], s[0:1], 1
	s_add_u32 s0, s2, s0
	s_addc_u32 s1, s3, s1
	s_lshl_b32 s2, s34, 7
	v_add_co_u32 v30, s0, s0, v145
	v_add_nc_u32_e32 v22, s2, v20
	v_lshlrev_b64 v[20:21], 1, v[20:21]
	v_add_co_ci_u32_e64 v31, null, s1, 0, s0
	s_delay_alu instid0(VALU_DEP_3) | instskip(SKIP_1) | instid1(VALU_DEP_4)
	v_add_nc_u32_e32 v24, s2, v22
	v_ashrrev_i32_e32 v23, 31, v22
	v_add_co_u32 v20, vcc_lo, v30, v20
	s_delay_alu instid0(VALU_DEP_4) | instskip(NEXT) | instid1(VALU_DEP_4)
	v_add_co_ci_u32_e32 v21, vcc_lo, v31, v21, vcc_lo
	v_add_nc_u32_e32 v26, s2, v24
	v_ashrrev_i32_e32 v25, 31, v24
	v_lshlrev_b64 v[22:23], 1, v[22:23]
	s_delay_alu instid0(VALU_DEP_3) | instskip(SKIP_1) | instid1(VALU_DEP_4)
	v_add_nc_u32_e32 v28, s2, v26
	v_ashrrev_i32_e32 v27, 31, v26
	v_lshlrev_b64 v[24:25], 1, v[24:25]
	s_delay_alu instid0(VALU_DEP_4) | instskip(NEXT) | instid1(VALU_DEP_4)
	v_add_co_u32 v22, vcc_lo, v30, v22
	v_ashrrev_i32_e32 v29, 31, v28
	s_delay_alu instid0(VALU_DEP_4) | instskip(SKIP_2) | instid1(VALU_DEP_4)
	v_lshlrev_b64 v[26:27], 1, v[26:27]
	v_add_co_ci_u32_e32 v23, vcc_lo, v31, v23, vcc_lo
	v_add_co_u32 v24, vcc_lo, v30, v24
	v_lshlrev_b64 v[28:29], 1, v[28:29]
	v_add_co_ci_u32_e32 v25, vcc_lo, v31, v25, vcc_lo
	v_add_co_u32 v26, vcc_lo, v30, v26
	v_add_co_ci_u32_e32 v27, vcc_lo, v31, v27, vcc_lo
	s_delay_alu instid0(VALU_DEP_4)
	v_add_co_u32 v28, vcc_lo, v30, v28
	v_add_co_ci_u32_e32 v29, vcc_lo, v31, v29, vcc_lo
	s_clause 0x1
	global_store_b128 v[20:21], v[0:3], off
	global_store_b128 v[22:23], v[4:7], off
	s_waitcnt lgkmcnt(2)
	global_store_b128 v[24:25], v[8:11], off
	s_waitcnt lgkmcnt(1)
	;; [unrolled: 2-line block ×3, first 2 shown]
	global_store_b128 v[28:29], v[16:19], off
	s_nop 0
	s_sendmsg sendmsg(MSG_DEALLOC_VGPRS)
	s_endpgm
	.section	.rodata,"a",@progbits
	.p2align	6, 0x0
	.amdhsa_kernel _Z39paged_attention_ll4mi_QKV_mfma16_kernelI14__hip_bfloat16S0_LN4vllm18Fp8KVCacheDataTypeE0EhLi16ELi64ELi256ELb1ELi10EL8MFMAType0EEvPKT_PKT0_S9_ifPKiSB_SB_iPKfiiiPfSE_PS4_PT2_iSD_SD_
		.amdhsa_group_segment_fixed_size 17472
		.amdhsa_private_segment_fixed_size 0
		.amdhsa_kernarg_size 400
		.amdhsa_user_sgpr_count 13
		.amdhsa_user_sgpr_dispatch_ptr 0
		.amdhsa_user_sgpr_queue_ptr 0
		.amdhsa_user_sgpr_kernarg_segment_ptr 1
		.amdhsa_user_sgpr_dispatch_id 0
		.amdhsa_user_sgpr_private_segment_size 0
		.amdhsa_wavefront_size32 1
		.amdhsa_uses_dynamic_stack 0
		.amdhsa_enable_private_segment 0
		.amdhsa_system_sgpr_workgroup_id_x 1
		.amdhsa_system_sgpr_workgroup_id_y 1
		.amdhsa_system_sgpr_workgroup_id_z 1
		.amdhsa_system_sgpr_workgroup_info 0
		.amdhsa_system_vgpr_workitem_id 0
		.amdhsa_next_free_vgpr 198
		.amdhsa_next_free_sgpr 52
		.amdhsa_reserve_vcc 1
		.amdhsa_float_round_mode_32 0
		.amdhsa_float_round_mode_16_64 0
		.amdhsa_float_denorm_mode_32 3
		.amdhsa_float_denorm_mode_16_64 3
		.amdhsa_dx10_clamp 1
		.amdhsa_ieee_mode 1
		.amdhsa_fp16_overflow 0
		.amdhsa_workgroup_processor_mode 1
		.amdhsa_memory_ordered 1
		.amdhsa_forward_progress 0
		.amdhsa_shared_vgpr_count 0
		.amdhsa_exception_fp_ieee_invalid_op 0
		.amdhsa_exception_fp_denorm_src 0
		.amdhsa_exception_fp_ieee_div_zero 0
		.amdhsa_exception_fp_ieee_overflow 0
		.amdhsa_exception_fp_ieee_underflow 0
		.amdhsa_exception_fp_ieee_inexact 0
		.amdhsa_exception_int_div_zero 0
	.end_amdhsa_kernel
	.section	.text._Z39paged_attention_ll4mi_QKV_mfma16_kernelI14__hip_bfloat16S0_LN4vllm18Fp8KVCacheDataTypeE0EhLi16ELi64ELi256ELb1ELi10EL8MFMAType0EEvPKT_PKT0_S9_ifPKiSB_SB_iPKfiiiPfSE_PS4_PT2_iSD_SD_,"axG",@progbits,_Z39paged_attention_ll4mi_QKV_mfma16_kernelI14__hip_bfloat16S0_LN4vllm18Fp8KVCacheDataTypeE0EhLi16ELi64ELi256ELb1ELi10EL8MFMAType0EEvPKT_PKT0_S9_ifPKiSB_SB_iPKfiiiPfSE_PS4_PT2_iSD_SD_,comdat
.Lfunc_end395:
	.size	_Z39paged_attention_ll4mi_QKV_mfma16_kernelI14__hip_bfloat16S0_LN4vllm18Fp8KVCacheDataTypeE0EhLi16ELi64ELi256ELb1ELi10EL8MFMAType0EEvPKT_PKT0_S9_ifPKiSB_SB_iPKfiiiPfSE_PS4_PT2_iSD_SD_, .Lfunc_end395-_Z39paged_attention_ll4mi_QKV_mfma16_kernelI14__hip_bfloat16S0_LN4vllm18Fp8KVCacheDataTypeE0EhLi16ELi64ELi256ELb1ELi10EL8MFMAType0EEvPKT_PKT0_S9_ifPKiSB_SB_iPKfiiiPfSE_PS4_PT2_iSD_SD_
                                        ; -- End function
	.section	.AMDGPU.csdata,"",@progbits
; Kernel info:
; codeLenInByte = 10116
; NumSgprs: 54
; NumVgprs: 198
; ScratchSize: 0
; MemoryBound: 0
; FloatMode: 240
; IeeeMode: 1
; LDSByteSize: 17472 bytes/workgroup (compile time only)
; SGPRBlocks: 6
; VGPRBlocks: 24
; NumSGPRsForWavesPerEU: 54
; NumVGPRsForWavesPerEU: 198
; Occupancy: 7
; WaveLimiterHint : 1
; COMPUTE_PGM_RSRC2:SCRATCH_EN: 0
; COMPUTE_PGM_RSRC2:USER_SGPR: 13
; COMPUTE_PGM_RSRC2:TRAP_HANDLER: 0
; COMPUTE_PGM_RSRC2:TGID_X_EN: 1
; COMPUTE_PGM_RSRC2:TGID_Y_EN: 1
; COMPUTE_PGM_RSRC2:TGID_Z_EN: 1
; COMPUTE_PGM_RSRC2:TIDIG_COMP_CNT: 0
	.section	.text._Z39paged_attention_ll4mi_QKV_mfma16_kernelI14__hip_bfloat16S0_LN4vllm18Fp8KVCacheDataTypeE0EhLi16ELi64ELi256ELb1ELi11EL8MFMAType0EEvPKT_PKT0_S9_ifPKiSB_SB_iPKfiiiPfSE_PS4_PT2_iSD_SD_,"axG",@progbits,_Z39paged_attention_ll4mi_QKV_mfma16_kernelI14__hip_bfloat16S0_LN4vllm18Fp8KVCacheDataTypeE0EhLi16ELi64ELi256ELb1ELi11EL8MFMAType0EEvPKT_PKT0_S9_ifPKiSB_SB_iPKfiiiPfSE_PS4_PT2_iSD_SD_,comdat
	.protected	_Z39paged_attention_ll4mi_QKV_mfma16_kernelI14__hip_bfloat16S0_LN4vllm18Fp8KVCacheDataTypeE0EhLi16ELi64ELi256ELb1ELi11EL8MFMAType0EEvPKT_PKT0_S9_ifPKiSB_SB_iPKfiiiPfSE_PS4_PT2_iSD_SD_ ; -- Begin function _Z39paged_attention_ll4mi_QKV_mfma16_kernelI14__hip_bfloat16S0_LN4vllm18Fp8KVCacheDataTypeE0EhLi16ELi64ELi256ELb1ELi11EL8MFMAType0EEvPKT_PKT0_S9_ifPKiSB_SB_iPKfiiiPfSE_PS4_PT2_iSD_SD_
	.globl	_Z39paged_attention_ll4mi_QKV_mfma16_kernelI14__hip_bfloat16S0_LN4vllm18Fp8KVCacheDataTypeE0EhLi16ELi64ELi256ELb1ELi11EL8MFMAType0EEvPKT_PKT0_S9_ifPKiSB_SB_iPKfiiiPfSE_PS4_PT2_iSD_SD_
	.p2align	8
	.type	_Z39paged_attention_ll4mi_QKV_mfma16_kernelI14__hip_bfloat16S0_LN4vllm18Fp8KVCacheDataTypeE0EhLi16ELi64ELi256ELb1ELi11EL8MFMAType0EEvPKT_PKT0_S9_ifPKiSB_SB_iPKfiiiPfSE_PS4_PT2_iSD_SD_,@function
_Z39paged_attention_ll4mi_QKV_mfma16_kernelI14__hip_bfloat16S0_LN4vllm18Fp8KVCacheDataTypeE0EhLi16ELi64ELi256ELb1ELi11EL8MFMAType0EEvPKT_PKT0_S9_ifPKiSB_SB_iPKfiiiPfSE_PS4_PT2_iSD_SD_: ; @_Z39paged_attention_ll4mi_QKV_mfma16_kernelI14__hip_bfloat16S0_LN4vllm18Fp8KVCacheDataTypeE0EhLi16ELi64ELi256ELb1ELi11EL8MFMAType0EEvPKT_PKT0_S9_ifPKiSB_SB_iPKfiiiPfSE_PS4_PT2_iSD_SD_
; %bb.0:
	s_load_b64 s[2:3], s[0:1], 0x30
	s_mov_b32 s34, s13
	s_waitcnt lgkmcnt(0)
	s_cmp_lg_u64 s[2:3], 0
	s_cselect_b32 s6, -1, 0
	s_ashr_i32 s35, s13, 31
	s_cmp_eq_u64 s[2:3], 0
	s_cbranch_scc1 .LBB396_3
; %bb.1:
	s_lshl_b64 s[4:5], s[34:35], 2
	s_delay_alu instid0(SALU_CYCLE_1) | instskip(SKIP_4) | instid1(SALU_CYCLE_1)
	s_add_u32 s4, s2, s4
	s_addc_u32 s5, s3, s5
	s_load_b64 s[4:5], s[4:5], 0x0
	s_waitcnt lgkmcnt(0)
	s_sub_i32 s4, s5, s4
	s_cmp_eq_u32 s4, 1
	s_cselect_b32 s4, -1, 0
	s_delay_alu instid0(SALU_CYCLE_1)
	s_and_not1_b32 vcc_lo, exec_lo, s4
	s_cbranch_vccz .LBB396_4
.LBB396_2:
	s_nop 0
	s_sendmsg sendmsg(MSG_DEALLOC_VGPRS)
	s_endpgm
.LBB396_3:
.LBB396_4:
	s_load_b64 s[8:9], s[0:1], 0x28
	s_lshl_b64 s[4:5], s[34:35], 2
	s_waitcnt lgkmcnt(0)
	s_add_u32 s8, s8, s4
	s_addc_u32 s9, s9, s5
	s_lshl_b32 s33, s14, 8
	s_load_b32 s30, s[8:9], 0x0
	s_waitcnt lgkmcnt(0)
	s_cmp_ge_i32 s33, s30
	s_cbranch_scc1 .LBB396_2
; %bb.5:
	s_clause 0x1
	s_load_b128 s[8:11], s[0:1], 0x8
	s_load_b64 s[12:13], s[0:1], 0x20
	s_and_not1_b32 vcc_lo, exec_lo, s6
	s_cbranch_vccnz .LBB396_7
; %bb.6:
	s_add_u32 s2, s2, s4
	s_addc_u32 s3, s3, s5
	s_load_b32 s3, s[2:3], 0x0
	s_branch .LBB396_8
.LBB396_7:
	s_mov_b32 s3, s34
.LBB396_8:
	s_load_b128 s[4:7], s[0:1], 0x48
	v_lshrrev_b32_e32 v149, 5, v0
	v_bfe_u32 v146, v0, 4, 1
	v_and_b32_e32 v148, 15, v0
	v_and_b32_e32 v150, 31, v0
	;; [unrolled: 1-line block ×3, first 2 shown]
	s_mul_i32 s31, s15, 11
	v_lshl_or_b32 v1, v149, 1, v146
	v_lshlrev_b32_e32 v2, 3, v148
	v_cmp_gt_u32_e64 s2, 8, v148
	s_delay_alu instid0(VALU_DEP_3) | instskip(NEXT) | instid1(VALU_DEP_3)
	v_cmp_gt_u32_e32 vcc_lo, 11, v1
	v_lshlrev_b32_e32 v145, 1, v2
	s_delay_alu instid0(VALU_DEP_3)
	s_and_b32 s16, s2, vcc_lo
	s_waitcnt lgkmcnt(0)
	s_and_saveexec_b32 s7, s16
	s_cbranch_execz .LBB396_10
; %bb.9:
	s_load_b64 s[16:17], s[0:1], 0x0
	v_add_lshl_u32 v2, v1, s31, 6
	s_mul_hi_i32 s19, s3, s4
	s_mul_i32 s18, s3, s4
	v_lshlrev_b32_e32 v6, 10, v148
	s_lshl_b64 s[18:19], s[18:19], 1
	v_ashrrev_i32_e32 v3, 31, v2
	v_lshlrev_b32_e32 v1, 6, v1
	v_lshlrev_b32_e32 v7, 10, v147
	v_and_b32_e32 v6, 0x3800, v6
	s_delay_alu instid0(VALU_DEP_4) | instskip(NEXT) | instid1(VALU_DEP_2)
	v_lshlrev_b64 v[2:3], 1, v[2:3]
	v_or3_b32 v1, v6, v7, v1
	s_waitcnt lgkmcnt(0)
	s_add_u32 s3, s16, s18
	s_addc_u32 s4, s17, s19
	s_delay_alu instid0(VALU_DEP_2) | instskip(SKIP_1) | instid1(VALU_DEP_2)
	v_add_co_u32 v2, vcc_lo, s3, v2
	v_add_co_ci_u32_e32 v3, vcc_lo, s4, v3, vcc_lo
	v_add_co_u32 v2, vcc_lo, v2, v145
	s_delay_alu instid0(VALU_DEP_2)
	v_add_co_ci_u32_e32 v3, vcc_lo, 0, v3, vcc_lo
	global_load_b128 v[2:5], v[2:3], off
	s_waitcnt vmcnt(0)
	ds_store_b128 v1, v[2:5]
.LBB396_10:
	s_or_b32 exec_lo, exec_lo, s7
	s_mov_b32 s40, 0
	s_add_i32 s3, s30, 15
	s_mov_b32 s41, s40
	s_mov_b32 s42, s40
	;; [unrolled: 1-line block ×7, first 2 shown]
	s_delay_alu instid0(SALU_CYCLE_1)
	v_dual_mov_b32 v144, s47 :: v_dual_and_b32 v1, 0xef, v0
	v_mov_b32_e32 v142, s45
	s_ashr_i32 s7, s3, 31
	s_clause 0x1
	s_load_b32 s4, s[0:1], 0x38
	s_load_b32 s35, s[0:1], 0x1c
	v_add_nc_u32_e32 v1, s33, v1
	s_lshr_b32 s7, s7, 28
	s_waitcnt lgkmcnt(0)
	s_add_i32 s3, s3, s7
	s_barrier
	v_ashrrev_i32_e32 v2, 31, v1
	v_or_b32_e32 v3, 16, v1
	s_ashr_i32 s3, s3, 4
	v_cmp_gt_i32_e32 vcc_lo, s30, v1
	s_add_i32 s3, s3, -1
	v_lshrrev_b32_e32 v2, 28, v2
	v_mov_b32_e32 v143, s46
	buffer_gl0_inv
	s_mul_i32 s6, s15, s6
	v_add_nc_u32_e32 v21, -11, v148
	v_dual_mov_b32 v141, s44 :: v_dual_add_nc_u32 v4, v1, v2
	v_mov_b32_e32 v139, s42
	s_mul_i32 s16, s34, s4
	v_mov_b32_e32 v137, s40
	s_delay_alu instid0(VALU_DEP_3)
	v_ashrrev_i32_e32 v4, 4, v4
	v_add_nc_u32_e32 v2, v3, v2
	v_lshlrev_b32_e32 v22, 5, v148
	s_ashr_i32 s17, s16, 31
	v_mov_b32_e32 v140, s43
	v_cndmask_b32_e32 v1, s3, v4, vcc_lo
	v_ashrrev_i32_e32 v2, 4, v2
	v_cmp_gt_i32_e32 vcc_lo, s30, v3
	s_lshl_b64 s[16:17], s[16:17], 2
	v_lshl_or_b32 v22, v149, 9, v22
	s_add_u32 s4, s12, s16
	s_addc_u32 s36, s13, s17
	v_cndmask_b32_e32 v3, s3, v2, vcc_lo
	v_ashrrev_i32_e32 v2, 31, v1
	s_ashr_i32 s7, s6, 31
	v_mov_b32_e32 v138, s41
	s_lshl_b64 s[6:7], s[6:7], 1
	v_ashrrev_i32_e32 v4, 31, v3
	v_lshlrev_b64 v[1:2], 2, v[1:2]
	s_add_u32 s24, s8, s6
	s_addc_u32 s25, s9, s7
	s_lshl_b32 s8, s14, 4
	v_lshlrev_b64 v[3:4], 2, v[3:4]
	s_ashr_i32 s9, s8, 31
	v_add_co_u32 v1, vcc_lo, s4, v1
	v_add_co_ci_u32_e32 v2, vcc_lo, s36, v2, vcc_lo
	s_delay_alu instid0(VALU_DEP_3) | instskip(NEXT) | instid1(VALU_DEP_4)
	v_add_co_u32 v3, vcc_lo, s4, v3
	v_add_co_ci_u32_e32 v4, vcc_lo, s36, v4, vcc_lo
	s_clause 0x1
	global_load_b32 v5, v[1:2], off
	global_load_b32 v6, v[3:4], off
	s_lshl_b64 s[8:9], s[8:9], 2
	v_lshlrev_b32_e32 v3, 4, v0
	s_add_u32 s8, s4, s8
	s_addc_u32 s9, s36, s9
	s_or_b32 s12, s33, 16
	s_delay_alu instid0(SALU_CYCLE_1) | instskip(SKIP_2) | instid1(SALU_CYCLE_1)
	s_ashr_i32 s13, s12, 4
	s_cmp_lt_i32 s12, s30
	s_cselect_b32 s12, s13, s3
	s_ashr_i32 s13, s12, 31
	s_delay_alu instid0(SALU_CYCLE_1) | instskip(NEXT) | instid1(SALU_CYCLE_1)
	s_lshl_b64 s[12:13], s[12:13], 2
	s_add_u32 s12, s4, s12
	s_addc_u32 s13, s36, s13
	s_or_b32 s15, s33, 32
	s_delay_alu instid0(SALU_CYCLE_1) | instskip(SKIP_2) | instid1(SALU_CYCLE_1)
	s_ashr_i32 s16, s15, 4
	s_cmp_lt_i32 s15, s30
	s_cselect_b32 s16, s16, s3
	s_ashr_i32 s17, s16, 31
	s_delay_alu instid0(SALU_CYCLE_1) | instskip(NEXT) | instid1(SALU_CYCLE_1)
	s_lshl_b64 s[16:17], s[16:17], 2
	;; [unrolled: 10-line block ×5, first 2 shown]
	s_add_u32 s22, s4, s22
	s_addc_u32 s23, s36, s23
	s_clause 0x5
	s_load_b32 s8, s[8:9], 0x0
	s_load_b32 s12, s[12:13], 0x0
	;; [unrolled: 1-line block ×6, first 2 shown]
	s_waitcnt lgkmcnt(0)
	s_mul_hi_i32 s17, s16, s5
	s_mul_i32 s16, s16, s5
	s_waitcnt vmcnt(1)
	v_mad_i64_i32 v[1:2], null, v5, s5, 0
	v_and_b32_e32 v5, 0xf0, v3
	s_waitcnt vmcnt(0)
	v_mad_i64_i32 v[3:4], null, v6, s5, 0
	s_delay_alu instid0(VALU_DEP_2) | instskip(NEXT) | instid1(VALU_DEP_4)
	v_add_co_u32 v5, s9, s24, v5
	v_lshlrev_b64 v[1:2], 1, v[1:2]
	v_add_co_ci_u32_e64 v6, null, s25, 0, s9
	s_delay_alu instid0(VALU_DEP_4) | instskip(SKIP_1) | instid1(VALU_DEP_3)
	v_lshlrev_b64 v[3:4], 1, v[3:4]
	s_or_b32 s9, s33, 0x60
	v_add_co_u32 v19, vcc_lo, v5, v1
	s_delay_alu instid0(VALU_DEP_3) | instskip(NEXT) | instid1(VALU_DEP_3)
	v_add_co_ci_u32_e32 v20, vcc_lo, v6, v2, vcc_lo
	v_add_co_u32 v17, vcc_lo, v5, v3
	s_delay_alu instid0(VALU_DEP_4)
	v_add_co_ci_u32_e32 v18, vcc_lo, v6, v4, vcc_lo
	s_clause 0x9
	global_load_b128 v[1:4], v[19:20], off
	global_load_b128 v[5:8], v[19:20], off offset:256
	global_load_b128 v[129:132], v[17:18], off
	global_load_b128 v[133:136], v[17:18], off offset:256
	global_load_b128 v[33:36], v[19:20], off offset:512
	;; [unrolled: 1-line block ×7, first 2 shown]
	v_cmp_gt_u32_e32 vcc_lo, 11, v148
	s_clause 0x1
	global_load_b128 v[151:154], v[17:18], off offset:1024
	global_load_b128 v[155:158], v[17:18], off offset:1280
	s_ashr_i32 s13, s9, 4
	s_cmp_lt_i32 s9, s30
	v_cndmask_b32_e32 v21, v21, v148, vcc_lo
	s_cselect_b32 s22, s13, s3
	s_delay_alu instid0(SALU_CYCLE_1) | instskip(NEXT) | instid1(VALU_DEP_1)
	s_ashr_i32 s23, s22, 31
	v_lshlrev_b32_e32 v197, 6, v21
	ds_load_b128 v[159:162], v197
	ds_load_b128 v[163:166], v197 offset:1024
	s_clause 0x3
	global_load_b128 v[167:170], v[19:20], off offset:1536
	global_load_b128 v[171:174], v[19:20], off offset:1792
	;; [unrolled: 1-line block ×4, first 2 shown]
	s_lshl_b64 s[22:23], s[22:23], 2
	s_delay_alu instid0(SALU_CYCLE_1) | instskip(SKIP_2) | instid1(SALU_CYCLE_1)
	s_add_u32 s22, s4, s22
	s_addc_u32 s23, s36, s23
	s_or_b32 s9, s33, 0x70
	s_ashr_i32 s13, s9, 4
	s_cmp_lt_i32 s9, s30
	s_cselect_b32 s24, s13, s3
	s_delay_alu instid0(SALU_CYCLE_1) | instskip(NEXT) | instid1(SALU_CYCLE_1)
	s_ashr_i32 s25, s24, 31
	s_lshl_b64 s[24:25], s[24:25], 2
	s_delay_alu instid0(SALU_CYCLE_1)
	s_add_u32 s24, s4, s24
	s_addc_u32 s25, s36, s25
	s_or_b32 s9, s33, 0x80
	s_load_b32 s46, s[24:25], 0x0
	s_ashr_i32 s13, s9, 4
	s_cmp_lt_i32 s9, s30
	s_cselect_b32 s26, s13, s3
	s_delay_alu instid0(SALU_CYCLE_1) | instskip(NEXT) | instid1(SALU_CYCLE_1)
	s_ashr_i32 s27, s26, 31
	s_lshl_b64 s[26:27], s[26:27], 2
	s_delay_alu instid0(SALU_CYCLE_1)
	s_add_u32 s26, s4, s26
	s_addc_u32 s27, s36, s27
	s_or_b32 s9, s33, 0x90
	s_load_b32 s47, s[26:27], 0x0
	s_ashr_i32 s13, s9, 4
	s_cmp_lt_i32 s9, s30
	s_cselect_b32 s28, s13, s3
	s_delay_alu instid0(SALU_CYCLE_1) | instskip(NEXT) | instid1(SALU_CYCLE_1)
	s_ashr_i32 s29, s28, 31
	s_lshl_b64 s[28:29], s[28:29], 2
	s_delay_alu instid0(SALU_CYCLE_1) | instskip(SKIP_2) | instid1(SALU_CYCLE_1)
	s_add_u32 s28, s4, s28
	s_addc_u32 s29, s36, s29
	s_or_b32 s9, s33, 0xa0
	s_ashr_i32 s13, s9, 4
	s_cmp_lt_i32 s9, s30
	s_cselect_b32 s38, s13, s3
	s_delay_alu instid0(SALU_CYCLE_1) | instskip(NEXT) | instid1(SALU_CYCLE_1)
	s_ashr_i32 s39, s38, 31
	s_lshl_b64 s[38:39], s[38:39], 2
	s_delay_alu instid0(SALU_CYCLE_1)
	s_add_u32 s38, s4, s38
	s_addc_u32 s39, s36, s39
	s_or_b32 s9, s33, 0xb0
	s_load_b32 s39, s[38:39], 0x0
	s_ashr_i32 s13, s9, 4
	s_cmp_lt_i32 s9, s30
	s_mul_hi_i32 s9, s8, s5
	s_cselect_b32 s40, s13, s3
	s_mul_i32 s8, s8, s5
	s_ashr_i32 s41, s40, 31
	s_mul_hi_i32 s13, s12, s5
	s_lshl_b64 s[40:41], s[40:41], 2
	s_mul_i32 s12, s12, s5
	s_add_u32 s42, s4, s40
	s_addc_u32 s43, s36, s41
	s_or_b32 s19, s33, 0xc0
	s_delay_alu instid0(SALU_CYCLE_1)
	s_ashr_i32 s21, s19, 4
	s_cmp_lt_i32 s19, s30
	s_mul_hi_i32 s19, s18, s5
	s_cselect_b32 s40, s21, s3
	s_mul_i32 s18, s18, s5
	s_ashr_i32 s41, s40, 31
	s_mul_hi_i32 s21, s20, s5
	s_lshl_b64 s[40:41], s[40:41], 2
	s_mul_i32 s20, s20, s5
	s_add_u32 s44, s4, s40
	s_load_b32 s40, s[28:29], 0x0
	s_addc_u32 s45, s36, s41
	s_or_b32 s37, s33, 0xd0
	s_load_b32 s41, s[22:23], 0x0
	s_ashr_i32 s22, s37, 4
	s_cmp_lt_i32 s37, s30
	s_mul_hi_i32 s23, s15, s5
	s_cselect_b32 s24, s22, s3
	s_mul_i32 s22, s15, s5
	s_ashr_i32 s25, s24, 31
	s_waitcnt lgkmcnt(0)
	s_mul_hi_i32 s27, s46, s5
	s_lshl_b64 s[24:25], s[24:25], 2
	s_mul_i32 s26, s46, s5
	s_add_u32 s24, s4, s24
	s_addc_u32 s25, s36, s25
	s_or_b32 s48, s33, 0xe0
	s_clause 0x2
	s_load_b32 s38, s[42:43], 0x0
	s_load_b32 s37, s[44:45], 0x0
	;; [unrolled: 1-line block ×3, first 2 shown]
	s_ashr_i32 s49, s48, 4
	s_cmp_lt_i32 s48, s30
	s_mul_hi_i32 s29, s47, s5
	s_cselect_b32 s42, s49, s3
	s_mul_i32 s28, s47, s5
	s_ashr_i32 s43, s42, 31
	s_mul_hi_i32 s25, s41, s5
	s_lshl_b64 s[42:43], s[42:43], 2
	s_mul_i32 s24, s41, s5
	s_add_u32 s42, s4, s42
	s_addc_u32 s43, s36, s43
	s_or_b32 s46, s33, 0xf0
	s_mul_hi_i32 s41, s40, s5
	s_ashr_i32 s47, s46, 4
	s_cmp_lt_i32 s46, s30
	s_mul_i32 s40, s40, s5
	s_cselect_b32 s46, s47, s3
	s_mul_hi_i32 s45, s39, s5
	s_ashr_i32 s47, s46, 31
	s_mul_i32 s44, s39, s5
	s_lshl_b64 s[46:47], s[46:47], 2
	s_waitcnt lgkmcnt(0)
	s_mul_hi_i32 s39, s38, s5
	s_add_u32 s46, s4, s46
	s_addc_u32 s47, s36, s47
	s_add_u32 s3, s10, s6
	s_addc_u32 s4, s11, s7
	v_add_co_u32 v195, s3, s3, v22
	s_delay_alu instid0(VALU_DEP_1) | instskip(SKIP_2) | instid1(VALU_DEP_2)
	v_add_co_ci_u32_e64 v196, null, s4, 0, s3
	s_lshl_b64 s[6:7], s[8:9], 1
	s_lshl_b64 s[8:9], s[12:13], 1
	v_add_co_u32 v17, vcc_lo, v195, s6
	s_delay_alu instid0(VALU_DEP_2)
	v_add_co_ci_u32_e32 v18, vcc_lo, s7, v196, vcc_lo
	v_add_co_u32 v19, vcc_lo, v195, s8
	s_lshl_b64 s[10:11], s[16:17], 1
	v_add_co_ci_u32_e32 v20, vcc_lo, s9, v196, vcc_lo
	v_add_co_u32 v21, vcc_lo, v195, s10
	s_lshl_b64 s[12:13], s[18:19], 1
	;; [unrolled: 3-line block ×9, first 2 shown]
	s_mul_i32 s38, s38, s5
	v_add_co_ci_u32_e32 v54, vcc_lo, s27, v196, vcc_lo
	v_add_co_u32 v183, vcc_lo, v195, s28
	s_mul_hi_i32 s49, s37, s5
	s_mul_i32 s48, s37, s5
	s_lshl_b64 s[36:37], s[38:39], 1
	v_add_co_ci_u32_e32 v184, vcc_lo, s29, v196, vcc_lo
	v_add_co_u32 v185, vcc_lo, v195, s36
	s_lshl_b64 s[38:39], s[48:49], 1
	s_clause 0x1
	s_load_b32 s3, s[42:43], 0x0
	s_load_b32 s4, s[46:47], 0x0
	v_add_co_ci_u32_e32 v186, vcc_lo, s37, v196, vcc_lo
	v_add_co_u32 v191, vcc_lo, v195, s38
	v_add_co_ci_u32_e32 v192, vcc_lo, s39, v196, vcc_lo
	s_clause 0x17
	global_load_b128 v[121:124], v[17:18], off
	global_load_b128 v[125:128], v[17:18], off offset:16
	global_load_b128 v[113:116], v[19:20], off
	global_load_b128 v[117:120], v[19:20], off offset:16
	;; [unrolled: 2-line block ×12, first 2 shown]
	s_mul_hi_i32 s51, s15, s5
	s_mul_i32 s50, s15, s5
	s_delay_alu instid0(SALU_CYCLE_1) | instskip(NEXT) | instid1(SALU_CYCLE_1)
	s_lshl_b64 s[40:41], s[50:51], 1
	v_add_co_u32 v193, vcc_lo, v195, s40
	v_add_co_ci_u32_e32 v194, vcc_lo, s41, v196, vcc_lo
	s_waitcnt lgkmcnt(0)
	s_mul_hi_i32 s7, s3, s5
	s_mul_i32 s6, s3, s5
	s_mul_hi_i32 s9, s4, s5
	s_lshl_b64 s[6:7], s[6:7], 1
	s_mul_i32 s8, s4, s5
	s_delay_alu instid0(SALU_CYCLE_1)
	s_lshl_b64 s[4:5], s[8:9], 1
	s_waitcnt vmcnt(38)
	v_wmma_f32_16x16x16_bf16 v[183:190], v[1:8], v[159:166], v[137:144]
	s_waitcnt vmcnt(36)
	v_wmma_f32_16x16x16_bf16 v[137:144], v[129:136], v[159:166], v[137:144]
	s_clause 0x1
	global_load_b128 v[1:4], v[191:192], off
	global_load_b128 v[5:8], v[191:192], off offset:16
	ds_load_b128 v[129:132], v197 offset:2048
	ds_load_b128 v[133:136], v197 offset:3072
	;; [unrolled: 1-line block ×4, first 2 shown]
	v_add_co_u32 v191, vcc_lo, v195, s6
	v_add_co_ci_u32_e32 v192, vcc_lo, s7, v196, vcc_lo
	v_add_co_u32 v195, vcc_lo, v195, s4
	v_add_co_ci_u32_e32 v196, vcc_lo, s5, v196, vcc_lo
	s_waitcnt vmcnt(36) lgkmcnt(2)
	v_wmma_f32_16x16x16_bf16 v[183:190], v[33:40], v[129:136], v[183:190]
	s_waitcnt vmcnt(34)
	v_wmma_f32_16x16x16_bf16 v[137:144], v[25:32], v[129:136], v[137:144]
	s_clause 0x3
	global_load_b128 v[25:28], v[193:194], off
	global_load_b128 v[29:32], v[193:194], off offset:16
	global_load_b128 v[33:36], v[191:192], off
	global_load_b128 v[37:40], v[191:192], off offset:16
	v_and_b32_e32 v129, 0xe0, v0
	v_mbcnt_lo_u32_b32 v191, -1, 0
	s_waitcnt vmcnt(36) lgkmcnt(0)
	v_wmma_f32_16x16x16_bf16 v[183:190], v[9:16], v[159:166], v[183:190]
	s_clause 0x1
	global_load_b128 v[9:12], v[195:196], off
	global_load_b128 v[13:16], v[195:196], off offset:16
	s_waitcnt vmcnt(36)
	v_wmma_f32_16x16x16_bf16 v[137:144], v[151:158], v[159:166], v[137:144]
	v_add_nc_u32_e32 v192, s33, v129
	ds_load_b128 v[129:132], v197 offset:6144
	ds_load_b128 v[133:136], v197 offset:7168
	v_xor_b32_e32 v151, 16, v191
	s_waitcnt vmcnt(0) lgkmcnt(0)
	s_barrier
	v_or_b32_e32 v152, v192, v146
	buffer_gl0_inv
	v_cmp_gt_i32_e32 vcc_lo, 32, v151
	v_or_b32_e32 v153, 2, v152
	v_or_b32_e32 v154, 4, v152
	;; [unrolled: 1-line block ×5, first 2 shown]
	v_cmp_gt_i32_e64 s3, s30, v153
	v_cmp_gt_i32_e64 s4, s30, v154
	;; [unrolled: 1-line block ×3, first 2 shown]
	v_or_b32_e32 v158, 12, v152
	v_or_b32_e32 v159, 14, v152
	v_cmp_gt_i32_e64 s6, s30, v156
	v_wmma_f32_16x16x16_bf16 v[183:190], v[167:174], v[129:136], v[183:190]
	v_wmma_f32_16x16x16_bf16 v[137:144], v[175:182], v[129:136], v[137:144]
	v_cndmask_b32_e32 v151, v191, v151, vcc_lo
	v_cmp_gt_i32_e32 vcc_lo, s30, v152
	v_cmp_gt_i32_e64 s7, s30, v157
	v_dual_mul_f32 v135, s35, v184 :: v_dual_mul_f32 v136, s35, v183
	v_dual_mul_f32 v133, s35, v186 :: v_dual_mul_f32 v134, s35, v185
	;; [unrolled: 1-line block ×3, first 2 shown]
	s_delay_alu instid0(VALU_DEP_3) | instskip(NEXT) | instid1(VALU_DEP_4)
	v_cndmask_b32_e32 v136, 0xff7fffff, v136, vcc_lo
	v_cndmask_b32_e64 v135, 0xff7fffff, v135, s3
	v_mul_f32_e32 v132, s35, v187
	v_cndmask_b32_e64 v134, 0xff7fffff, v134, s4
	v_cndmask_b32_e64 v133, 0xff7fffff, v133, s5
	v_or_b32_e32 v160, 16, v152
	v_max3_f32 v135, v136, 0xff7fffff, v135
	v_or_b32_e32 v161, 18, v152
	v_mul_f32_e32 v130, s35, v189
	v_dual_mul_f32 v172, s35, v140 :: v_dual_mul_f32 v129, s35, v190
	v_cndmask_b32_e64 v132, 0xff7fffff, v132, s6
	v_cndmask_b32_e64 v131, 0xff7fffff, v131, s7
	v_max3_f32 v133, v135, v134, v133
	v_cmp_gt_i32_e64 s8, s30, v158
	v_lshlrev_b32_e32 v158, 2, v151
	v_cmp_gt_i32_e64 s9, s30, v159
	v_or_b32_e32 v162, 20, v152
	v_or_b32_e32 v163, 22, v152
	v_mul_f32_e32 v175, s35, v137
	v_cndmask_b32_e64 v130, 0xff7fffff, v130, s8
	v_cndmask_b32_e64 v129, 0xff7fffff, v129, s9
	v_max3_f32 v131, v133, v132, v131
	v_cmp_gt_i32_e64 s10, s30, v160
	v_cmp_gt_i32_e64 s11, s30, v161
	v_or_b32_e32 v164, 24, v152
	v_or_b32_e32 v165, 26, v152
	v_mul_f32_e32 v173, s35, v139
	v_cndmask_b32_e64 v132, 0xff7fffff, v175, s10
	v_cndmask_b32_e64 v133, 0xff7fffff, v174, s11
	v_max3_f32 v129, v131, v130, v129
	v_cmp_gt_i32_e64 s12, s30, v162
	v_cmp_gt_i32_e64 s13, s30, v163
	v_or_b32_e32 v166, 28, v152
	v_or_b32_e32 v167, 30, v152
	v_dual_mul_f32 v170, s35, v142 :: v_dual_mul_f32 v171, s35, v141
	v_cndmask_b32_e64 v130, 0xff7fffff, v173, s12
	v_cndmask_b32_e64 v131, 0xff7fffff, v172, s13
	v_max3_f32 v129, v129, v132, v133
	v_cmp_gt_i32_e64 s15, s30, v164
	v_cmp_gt_i32_e64 s16, s30, v165
	v_dual_mul_f32 v168, s35, v144 :: v_dual_mul_f32 v169, s35, v143
	s_delay_alu instid0(VALU_DEP_4) | instskip(NEXT) | instid1(VALU_DEP_4)
	v_max3_f32 v129, v129, v130, v131
	v_cndmask_b32_e64 v132, 0xff7fffff, v171, s15
	s_delay_alu instid0(VALU_DEP_4) | instskip(SKIP_2) | instid1(VALU_DEP_3)
	v_cndmask_b32_e64 v133, 0xff7fffff, v170, s16
	v_cmp_gt_i32_e64 s17, s30, v166
	v_cmp_gt_i32_e64 s18, s30, v167
	v_max3_f32 v129, v129, v132, v133
	s_delay_alu instid0(VALU_DEP_3) | instskip(NEXT) | instid1(VALU_DEP_3)
	v_cndmask_b32_e64 v130, 0xff7fffff, v169, s17
	v_cndmask_b32_e64 v131, 0xff7fffff, v168, s18
	s_delay_alu instid0(VALU_DEP_1) | instskip(SKIP_3) | instid1(VALU_DEP_1)
	v_max3_f32 v129, v129, v130, v131
	ds_bpermute_b32 v130, v158, v129
	s_waitcnt lgkmcnt(0)
	v_max_f32_e32 v130, v130, v130
	v_max_f32_e32 v129, v129, v130
	s_delay_alu instid0(VALU_DEP_1)
	v_fma_f32 v130, s35, v183, -v129
	v_fma_f32 v132, s35, v185, -v129
	;; [unrolled: 1-line block ×5, first 2 shown]
	v_mul_f32_e32 v130, 0x3fb8aa3b, v130
	v_mul_f32_e32 v132, 0x3fb8aa3b, v132
	;; [unrolled: 1-line block ×3, first 2 shown]
	v_fma_f32 v135, s35, v189, -v129
	s_delay_alu instid0(VALU_DEP_4) | instskip(NEXT) | instid1(VALU_DEP_3)
	v_exp_f32_e32 v130, v130
	v_exp_f32_e32 v132, v132
	s_delay_alu instid0(VALU_DEP_2) | instskip(NEXT) | instid1(TRANS32_DEP_3)
	v_exp_f32_e32 v134, v134
	v_cndmask_b32_e32 v152, 0, v130, vcc_lo
	v_fma_f32 v130, s35, v188, -v129
	s_waitcnt_depctr 0xfff
	v_cndmask_b32_e64 v153, 0, v132, s4
	v_fma_f32 v132, s35, v190, -v129
	v_mul_f32_e32 v131, 0x3fb8aa3b, v131
	v_cndmask_b32_e64 v155, 0, v134, s6
	v_dual_mul_f32 v130, 0x3fb8aa3b, v130 :: v_dual_mul_f32 v133, 0x3fb8aa3b, v133
	s_delay_alu instid0(VALU_DEP_4) | instskip(NEXT) | instid1(VALU_DEP_4)
	v_mul_f32_e32 v132, 0x3fb8aa3b, v132
	v_exp_f32_e32 v131, v131
	v_fma_f32 v134, s35, v138, -v129
	s_delay_alu instid0(VALU_DEP_3) | instskip(SKIP_2) | instid1(VALU_DEP_1)
	v_exp_f32_e32 v130, v130
	v_exp_f32_e32 v133, v133
	v_exp_f32_e32 v132, v132
	v_mul_f32_e32 v134, 0x3fb8aa3b, v134
	v_cndmask_b32_e64 v151, 0, v131, s3
	v_add_f32_e32 v131, 0, v152
	s_delay_alu instid0(TRANS32_DEP_3)
	v_cndmask_b32_e64 v156, 0, v130, s7
	s_waitcnt_depctr 0xfff
	v_cndmask_b32_e64 v154, 0, v133, s5
	v_fma_f32 v133, s35, v137, -v129
	v_exp_f32_e32 v134, v134
	v_add_f32_e32 v131, v131, v151
	v_cmp_gt_u32_e64 s3, 16, v150
	s_delay_alu instid0(VALU_DEP_2) | instskip(NEXT) | instid1(VALU_DEP_1)
	v_add_f32_e32 v131, v131, v153
	v_add_f32_e32 v131, v131, v154
	s_delay_alu instid0(VALU_DEP_1) | instskip(SKIP_2) | instid1(VALU_DEP_3)
	v_add_f32_e32 v130, v131, v155
	v_fma_f32 v131, s35, v139, -v129
	v_fma_f32 v139, s35, v144, -v129
	v_dual_add_f32 v130, v130, v156 :: v_dual_mul_f32 v135, 0x3fb8aa3b, v135
	s_delay_alu instid0(VALU_DEP_1)
	v_exp_f32_e32 v135, v135
	s_waitcnt_depctr 0xfff
	v_cndmask_b32_e64 v157, 0, v135, s8
	v_fma_f32 v135, s35, v140, -v129
	v_cndmask_b32_e64 v140, 0, v132, s9
	v_fma_f32 v132, s35, v141, -v129
	s_delay_alu instid0(VALU_DEP_1) | instskip(SKIP_1) | instid1(VALU_DEP_2)
	v_dual_add_f32 v130, v130, v157 :: v_dual_mul_f32 v137, 0x3fb8aa3b, v132
	v_cndmask_b32_e64 v132, 0, v134, s11
	v_dual_add_f32 v130, v130, v140 :: v_dual_mul_f32 v133, 0x3fb8aa3b, v133
	v_mul_f32_e32 v131, 0x3fb8aa3b, v131
	v_fma_f32 v134, s35, v143, -v129
	v_mul_f32_e32 v135, 0x3fb8aa3b, v135
	s_delay_alu instid0(VALU_DEP_4) | instskip(NEXT) | instid1(VALU_DEP_3)
	v_exp_f32_e32 v133, v133
	v_exp_f32_e32 v136, v131
	s_waitcnt_depctr 0xfff
	v_cndmask_b32_e64 v131, 0, v133, s10
	v_fma_f32 v133, s35, v142, -v129
	s_delay_alu instid0(VALU_DEP_2) | instskip(NEXT) | instid1(VALU_DEP_2)
	v_add_f32_e32 v130, v130, v131
	v_mul_f32_e32 v138, 0x3fb8aa3b, v133
	v_cndmask_b32_e64 v133, 0, v136, s12
	v_mul_f32_e32 v136, 0x3fb8aa3b, v134
	v_exp_f32_e32 v135, v135
	v_add_f32_e32 v130, v130, v132
	v_exp_f32_e32 v138, v138
	s_delay_alu instid0(VALU_DEP_2) | instskip(NEXT) | instid1(VALU_DEP_1)
	v_exp_f32_e32 v141, v136
	v_add_f32_e32 v130, v130, v133
	v_exp_f32_e32 v137, v137
	v_cndmask_b32_e64 v134, 0, v135, s13
	s_delay_alu instid0(TRANS32_DEP_3) | instskip(NEXT) | instid1(VALU_DEP_2)
	v_cndmask_b32_e64 v136, 0, v138, s16
	v_add_f32_e32 v130, v130, v134
	s_waitcnt_depctr 0xfff
	v_cndmask_b32_e64 v135, 0, v137, s15
	v_mul_f32_e32 v137, 0x3fb8aa3b, v139
	s_delay_alu instid0(VALU_DEP_2) | instskip(NEXT) | instid1(VALU_DEP_2)
	v_add_f32_e32 v130, v130, v135
	v_exp_f32_e32 v138, v137
	v_cndmask_b32_e64 v137, 0, v141, s17
	s_delay_alu instid0(VALU_DEP_2) | instskip(NEXT) | instid1(VALU_DEP_1)
	v_add_f32_e32 v130, v130, v136
	v_add_f32_e32 v130, v130, v137
	s_waitcnt_depctr 0xfff
	v_cndmask_b32_e64 v138, 0, v138, s18
	s_delay_alu instid0(VALU_DEP_1)
	v_add_f32_e32 v130, v130, v138
	ds_bpermute_b32 v139, v158, v130
	s_and_saveexec_b32 s4, s3
	s_cbranch_execz .LBB396_12
; %bb.11:
	v_mul_u32_u24_e32 v141, 0x44, v149
	s_delay_alu instid0(VALU_DEP_1) | instskip(SKIP_1) | instid1(VALU_DEP_1)
	v_lshl_add_u32 v141, v148, 2, v141
	s_waitcnt lgkmcnt(0)
	v_dual_add_f32 v130, v130, v139 :: v_dual_add_nc_u32 v139, 0x4000, v141
	ds_store_2addr_b32 v139, v129, v130 offset1:136
.LBB396_12:
	s_or_b32 exec_lo, exec_lo, s4
	v_lshlrev_b32_e32 v129, 2, v148
	s_waitcnt lgkmcnt(0)
	s_barrier
	buffer_gl0_inv
	v_cmp_eq_u32_e64 s4, 1, v149
	v_add_nc_u32_e32 v139, 0x4000, v129
	ds_load_2addr_b32 v[141:142], v139 offset1:17
	ds_load_2addr_b32 v[143:144], v139 offset0:34 offset1:51
	ds_load_2addr_b32 v[158:159], v139 offset0:68 offset1:85
	;; [unrolled: 1-line block ×4, first 2 shown]
	s_waitcnt lgkmcnt(4)
	v_max3_f32 v129, v141, 0xff7fffff, v142
	s_waitcnt lgkmcnt(3)
	s_delay_alu instid0(VALU_DEP_1) | instskip(SKIP_1) | instid1(VALU_DEP_1)
	v_max3_f32 v129, v129, v143, v144
	s_waitcnt lgkmcnt(2)
	v_max3_f32 v129, v129, v158, v159
	s_waitcnt lgkmcnt(1)
	s_delay_alu instid0(VALU_DEP_1) | instskip(NEXT) | instid1(VALU_DEP_1)
	v_max3_f32 v129, v129, v160, v161
	v_sub_f32_e32 v158, v158, v129
	s_delay_alu instid0(VALU_DEP_1) | instskip(NEXT) | instid1(VALU_DEP_1)
	v_dual_sub_f32 v150, v142, v129 :: v_dual_mul_f32 v167, 0x3fb8aa3b, v158
	v_dual_sub_f32 v143, v143, v129 :: v_dual_mul_f32 v150, 0x3fb8aa3b, v150
	s_delay_alu instid0(VALU_DEP_1) | instskip(NEXT) | instid1(VALU_DEP_2)
	v_dual_sub_f32 v130, v141, v129 :: v_dual_mul_f32 v165, 0x3fb8aa3b, v143
	v_exp_f32_e32 v150, v150
	s_delay_alu instid0(VALU_DEP_1) | instskip(NEXT) | instid1(VALU_DEP_2)
	v_mul_f32_e32 v130, 0x3fb8aa3b, v130
	v_exp_f32_e32 v165, v165
	s_delay_alu instid0(VALU_DEP_1) | instskip(SKIP_1) | instid1(VALU_DEP_1)
	v_exp_f32_e32 v164, v130
	v_sub_f32_e32 v130, v144, v129
	v_mul_f32_e32 v166, 0x3fb8aa3b, v130
	s_waitcnt lgkmcnt(0)
	s_waitcnt_depctr 0xfff
	v_fma_f32 v130, v164, v162, 0
	v_sub_f32_e32 v162, v159, v129
	s_delay_alu instid0(VALU_DEP_2)
	v_fmac_f32_e32 v130, v150, v163
	ds_load_2addr_b32 v[141:142], v139 offset0:170 offset1:187
	ds_load_2addr_b32 v[143:144], v139 offset0:204 offset1:221
	;; [unrolled: 1-line block ×3, first 2 shown]
	v_sub_f32_e32 v139, v160, v129
	v_exp_f32_e32 v166, v166
	v_mul_f32_e32 v160, 0x3fb8aa3b, v162
	v_exp_f32_e32 v162, v167
	v_cndmask_b32_e64 v150, v164, v150, s4
	v_mul_f32_e32 v139, 0x3fb8aa3b, v139
	v_cmp_eq_u32_e64 s4, 2, v149
	s_waitcnt lgkmcnt(0)
	s_barrier
	buffer_gl0_inv
	v_exp_f32_e32 v139, v139
	v_cndmask_b32_e64 v150, v150, v165, s4
	v_cmp_eq_u32_e64 s4, 3, v149
	v_fmac_f32_e32 v130, v165, v141
	v_sub_f32_e32 v141, v161, v129
	v_exp_f32_e32 v160, v160
	s_delay_alu instid0(VALU_DEP_3) | instskip(SKIP_1) | instid1(VALU_DEP_3)
	v_cndmask_b32_e64 v150, v150, v166, s4
	v_cmp_eq_u32_e64 s4, 4, v149
	v_dual_fmac_f32 v130, v166, v142 :: v_dual_mul_f32 v141, 0x3fb8aa3b, v141
	s_delay_alu instid0(VALU_DEP_2) | instskip(SKIP_1) | instid1(VALU_DEP_3)
	v_cndmask_b32_e64 v150, v150, v162, s4
	v_cmp_eq_u32_e64 s4, 5, v149
	v_exp_f32_e32 v141, v141
	s_delay_alu instid0(VALU_DEP_3)
	v_fmac_f32_e32 v130, v162, v143
	s_delay_alu instid0(TRANS32_DEP_2) | instid1(VALU_DEP_2)
	v_cndmask_b32_e64 v150, v150, v160, s4
	s_delay_alu instid0(VALU_DEP_2) | instskip(NEXT) | instid1(VALU_DEP_1)
	v_fmac_f32_e32 v130, v160, v144
	v_fmac_f32_e32 v130, v139, v158
	s_waitcnt_depctr 0xfff
	v_fmac_f32_e32 v130, v141, v159
	s_delay_alu instid0(VALU_DEP_1) | instskip(NEXT) | instid1(VALU_DEP_1)
	v_add_f32_e32 v142, 0x358637bd, v130
	v_div_scale_f32 v143, null, v142, v142, 1.0
	v_div_scale_f32 v159, vcc_lo, 1.0, v142, 1.0
	s_delay_alu instid0(VALU_DEP_2) | instskip(SKIP_2) | instid1(VALU_DEP_1)
	v_rcp_f32_e32 v144, v143
	s_waitcnt_depctr 0xfff
	v_fma_f32 v158, -v143, v144, 1.0
	v_fmac_f32_e32 v144, v158, v144
	s_delay_alu instid0(VALU_DEP_1) | instskip(NEXT) | instid1(VALU_DEP_1)
	v_mul_f32_e32 v158, v159, v144
	v_fma_f32 v161, -v143, v158, v159
	s_delay_alu instid0(VALU_DEP_1) | instskip(NEXT) | instid1(VALU_DEP_1)
	v_fmac_f32_e32 v158, v161, v144
	v_fma_f32 v143, -v143, v158, v159
	s_delay_alu instid0(VALU_DEP_1) | instskip(SKIP_1) | instid1(VALU_DEP_2)
	v_div_fmas_f32 v143, v143, v144, v158
	v_cmp_eq_u32_e32 vcc_lo, 6, v149
	v_div_fixup_f32 v142, v143, v142, 1.0
	v_cndmask_b32_e32 v139, v150, v139, vcc_lo
	v_cmp_eq_u32_e32 vcc_lo, 7, v149
	s_delay_alu instid0(VALU_DEP_2) | instskip(NEXT) | instid1(VALU_DEP_1)
	v_cndmask_b32_e32 v139, v139, v141, vcc_lo
	v_mul_f32_e32 v139, v139, v142
	s_delay_alu instid0(VALU_DEP_1) | instskip(SKIP_4) | instid1(VALU_DEP_4)
	v_mul_f32_e32 v153, v139, v153
	v_mul_f32_e32 v142, v139, v152
	;; [unrolled: 1-line block ×5, first 2 shown]
	v_dual_mul_f32 v152, v139, v155 :: v_dual_and_b32 v141, 0x7f800000, v142
	v_mul_f32_e32 v154, v139, v154
	v_mul_f32_e32 v144, v139, v151
	s_delay_alu instid0(VALU_DEP_3) | instskip(SKIP_1) | instid1(SALU_CYCLE_1)
	v_cmp_ne_u32_e32 vcc_lo, 0x7f800000, v141
                                        ; implicit-def: $vgpr141
	s_and_saveexec_b32 s4, vcc_lo
	s_xor_b32 s4, exec_lo, s4
; %bb.13:
	v_bfe_u32 v141, v142, 16, 1
	s_delay_alu instid0(VALU_DEP_1)
	v_add3_u32 v141, v142, v141, 0x7fff
                                        ; implicit-def: $vgpr142
; %bb.14:
	s_and_not1_saveexec_b32 s4, s4
; %bb.15:
	v_and_b32_e32 v141, 0xffff, v142
	v_or_b32_e32 v151, 0x10000, v142
	s_delay_alu instid0(VALU_DEP_2) | instskip(NEXT) | instid1(VALU_DEP_2)
	v_cmp_eq_u32_e32 vcc_lo, 0, v141
	v_cndmask_b32_e32 v141, v151, v142, vcc_lo
; %bb.16:
	s_or_b32 exec_lo, exec_lo, s4
	v_and_b32_e32 v142, 0x7f800000, v144
	s_delay_alu instid0(VALU_DEP_1) | instskip(SKIP_1) | instid1(SALU_CYCLE_1)
	v_cmp_ne_u32_e32 vcc_lo, 0x7f800000, v142
                                        ; implicit-def: $vgpr142
	s_and_saveexec_b32 s4, vcc_lo
	s_xor_b32 s4, exec_lo, s4
; %bb.17:
	v_bfe_u32 v142, v144, 16, 1
	s_delay_alu instid0(VALU_DEP_1)
	v_add3_u32 v142, v144, v142, 0x7fff
                                        ; implicit-def: $vgpr144
; %bb.18:
	s_and_not1_saveexec_b32 s4, s4
; %bb.19:
	v_and_b32_e32 v142, 0xffff, v144
	v_or_b32_e32 v151, 0x10000, v144
	s_delay_alu instid0(VALU_DEP_2) | instskip(NEXT) | instid1(VALU_DEP_2)
	v_cmp_eq_u32_e32 vcc_lo, 0, v142
	v_cndmask_b32_e32 v142, v151, v144, vcc_lo
; %bb.20:
	s_or_b32 exec_lo, exec_lo, s4
	v_and_b32_e32 v144, 0x7f800000, v153
	s_delay_alu instid0(VALU_DEP_1) | instskip(SKIP_1) | instid1(SALU_CYCLE_1)
	v_cmp_ne_u32_e32 vcc_lo, 0x7f800000, v144
                                        ; implicit-def: $vgpr144
	s_and_saveexec_b32 s4, vcc_lo
	s_xor_b32 s4, exec_lo, s4
; %bb.21:
	v_bfe_u32 v144, v153, 16, 1
	s_delay_alu instid0(VALU_DEP_1)
	v_add3_u32 v144, v153, v144, 0x7fff
                                        ; implicit-def: $vgpr153
; %bb.22:
	s_and_not1_saveexec_b32 s4, s4
; %bb.23:
	v_and_b32_e32 v144, 0xffff, v153
	v_or_b32_e32 v151, 0x10000, v153
	s_delay_alu instid0(VALU_DEP_2) | instskip(NEXT) | instid1(VALU_DEP_2)
	v_cmp_eq_u32_e32 vcc_lo, 0, v144
	v_cndmask_b32_e32 v144, v151, v153, vcc_lo
; %bb.24:
	s_or_b32 exec_lo, exec_lo, s4
	v_and_b32_e32 v151, 0x7f800000, v154
	s_delay_alu instid0(VALU_DEP_1) | instskip(SKIP_1) | instid1(SALU_CYCLE_1)
	v_cmp_ne_u32_e32 vcc_lo, 0x7f800000, v151
                                        ; implicit-def: $vgpr151
	s_and_saveexec_b32 s4, vcc_lo
	s_xor_b32 s4, exec_lo, s4
; %bb.25:
	v_bfe_u32 v151, v154, 16, 1
	s_delay_alu instid0(VALU_DEP_1)
	v_add3_u32 v151, v154, v151, 0x7fff
                                        ; implicit-def: $vgpr154
; %bb.26:
	s_and_not1_saveexec_b32 s4, s4
; %bb.27:
	v_and_b32_e32 v151, 0xffff, v154
	v_or_b32_e32 v153, 0x10000, v154
	s_delay_alu instid0(VALU_DEP_2) | instskip(NEXT) | instid1(VALU_DEP_2)
	v_cmp_eq_u32_e32 vcc_lo, 0, v151
	v_cndmask_b32_e32 v151, v153, v154, vcc_lo
; %bb.28:
	s_or_b32 exec_lo, exec_lo, s4
	v_and_b32_e32 v153, 0x7f800000, v152
	s_delay_alu instid0(VALU_DEP_1) | instskip(SKIP_1) | instid1(SALU_CYCLE_1)
	v_cmp_ne_u32_e32 vcc_lo, 0x7f800000, v153
                                        ; implicit-def: $vgpr153
	s_and_saveexec_b32 s4, vcc_lo
	s_xor_b32 s4, exec_lo, s4
; %bb.29:
	v_bfe_u32 v153, v152, 16, 1
	s_delay_alu instid0(VALU_DEP_1)
	v_add3_u32 v153, v152, v153, 0x7fff
                                        ; implicit-def: $vgpr152
; %bb.30:
	s_and_not1_saveexec_b32 s4, s4
; %bb.31:
	v_and_b32_e32 v153, 0xffff, v152
	v_or_b32_e32 v154, 0x10000, v152
	s_delay_alu instid0(VALU_DEP_2) | instskip(NEXT) | instid1(VALU_DEP_2)
	v_cmp_eq_u32_e32 vcc_lo, 0, v153
	v_cndmask_b32_e32 v153, v154, v152, vcc_lo
; %bb.32:
	s_or_b32 exec_lo, exec_lo, s4
	v_and_b32_e32 v152, 0x7f800000, v150
	s_delay_alu instid0(VALU_DEP_1) | instskip(SKIP_1) | instid1(SALU_CYCLE_1)
	v_cmp_ne_u32_e32 vcc_lo, 0x7f800000, v152
                                        ; implicit-def: $vgpr152
	s_and_saveexec_b32 s4, vcc_lo
	s_xor_b32 s4, exec_lo, s4
; %bb.33:
	v_bfe_u32 v152, v150, 16, 1
	s_delay_alu instid0(VALU_DEP_1)
	v_add3_u32 v152, v150, v152, 0x7fff
                                        ; implicit-def: $vgpr150
; %bb.34:
	s_and_not1_saveexec_b32 s4, s4
; %bb.35:
	v_and_b32_e32 v152, 0xffff, v150
	v_or_b32_e32 v154, 0x10000, v150
	s_delay_alu instid0(VALU_DEP_2) | instskip(NEXT) | instid1(VALU_DEP_2)
	v_cmp_eq_u32_e32 vcc_lo, 0, v152
	v_cndmask_b32_e32 v152, v154, v150, vcc_lo
; %bb.36:
	s_or_b32 exec_lo, exec_lo, s4
	v_and_b32_e32 v150, 0x7f800000, v143
	s_delay_alu instid0(VALU_DEP_1) | instskip(SKIP_1) | instid1(SALU_CYCLE_1)
	v_cmp_ne_u32_e32 vcc_lo, 0x7f800000, v150
                                        ; implicit-def: $vgpr150
	s_and_saveexec_b32 s4, vcc_lo
	s_xor_b32 s4, exec_lo, s4
; %bb.37:
	v_bfe_u32 v150, v143, 16, 1
	s_delay_alu instid0(VALU_DEP_1)
	v_add3_u32 v150, v143, v150, 0x7fff
                                        ; implicit-def: $vgpr143
; %bb.38:
	s_and_not1_saveexec_b32 s4, s4
; %bb.39:
	v_and_b32_e32 v150, 0xffff, v143
	v_or_b32_e32 v154, 0x10000, v143
	s_delay_alu instid0(VALU_DEP_2) | instskip(NEXT) | instid1(VALU_DEP_2)
	v_cmp_eq_u32_e32 vcc_lo, 0, v150
	v_cndmask_b32_e32 v150, v154, v143, vcc_lo
; %bb.40:
	s_or_b32 exec_lo, exec_lo, s4
	v_and_b32_e32 v143, 0x7f800000, v140
	s_delay_alu instid0(VALU_DEP_1) | instskip(SKIP_1) | instid1(SALU_CYCLE_1)
	v_cmp_ne_u32_e32 vcc_lo, 0x7f800000, v143
                                        ; implicit-def: $vgpr143
	s_and_saveexec_b32 s4, vcc_lo
	s_xor_b32 s4, exec_lo, s4
; %bb.41:
	v_bfe_u32 v143, v140, 16, 1
	s_delay_alu instid0(VALU_DEP_1)
	v_add3_u32 v143, v140, v143, 0x7fff
                                        ; implicit-def: $vgpr140
; %bb.42:
	s_and_not1_saveexec_b32 s4, s4
; %bb.43:
	v_and_b32_e32 v143, 0xffff, v140
	v_or_b32_e32 v154, 0x10000, v140
	s_delay_alu instid0(VALU_DEP_2) | instskip(NEXT) | instid1(VALU_DEP_2)
	v_cmp_eq_u32_e32 vcc_lo, 0, v143
	v_cndmask_b32_e32 v143, v154, v140, vcc_lo
; %bb.44:
	s_or_b32 exec_lo, exec_lo, s4
	s_load_b64 s[36:37], s[0:1], 0x94
	v_dual_mul_f32 v136, v139, v136 :: v_dual_lshlrev_b32 v155, 4, v146
	s_delay_alu instid0(VALU_DEP_2)
	v_perm_b32 v154, v143, v150, 0x7060302
	v_dual_mul_f32 v143, v139, v131 :: v_dual_lshlrev_b32 v140, 6, v148
	v_dual_mul_f32 v135, v139, v135 :: v_dual_lshlrev_b32 v150, 11, v149
	v_perm_b32 v153, v152, v153, 0x7060302
	v_perm_b32 v152, v151, v144, 0x7060302
	;; [unrolled: 1-line block ×3, first 2 shown]
	s_delay_alu instid0(VALU_DEP_4)
	v_or3_b32 v131, v155, v150, v140
	v_mul_f32_e32 v138, v139, v138
	v_dual_mul_f32 v137, v139, v137 :: v_dual_and_b32 v144, 0x7f800000, v143
	v_mul_f32_e32 v141, v139, v134
	v_mul_f32_e32 v142, v139, v133
	;; [unrolled: 1-line block ×3, first 2 shown]
	s_mov_b32 s4, exec_lo
	ds_store_b128 v131, v[151:154]
                                        ; implicit-def: $vgpr132
	v_cmpx_ne_u32_e32 0x7f800000, v144
	s_xor_b32 s4, exec_lo, s4
; %bb.45:
	v_bfe_u32 v132, v143, 16, 1
	s_delay_alu instid0(VALU_DEP_1)
	v_add3_u32 v132, v143, v132, 0x7fff
                                        ; implicit-def: $vgpr143
; %bb.46:
	s_and_not1_saveexec_b32 s4, s4
; %bb.47:
	v_and_b32_e32 v132, 0xffff, v143
	v_or_b32_e32 v133, 0x10000, v143
	s_delay_alu instid0(VALU_DEP_2) | instskip(NEXT) | instid1(VALU_DEP_2)
	v_cmp_eq_u32_e32 vcc_lo, 0, v132
	v_cndmask_b32_e32 v132, v133, v143, vcc_lo
; %bb.48:
	s_or_b32 exec_lo, exec_lo, s4
	v_and_b32_e32 v133, 0x7f800000, v134
	s_delay_alu instid0(VALU_DEP_1) | instskip(SKIP_1) | instid1(SALU_CYCLE_1)
	v_cmp_ne_u32_e32 vcc_lo, 0x7f800000, v133
                                        ; implicit-def: $vgpr133
	s_and_saveexec_b32 s4, vcc_lo
	s_xor_b32 s4, exec_lo, s4
; %bb.49:
	v_bfe_u32 v133, v134, 16, 1
	s_delay_alu instid0(VALU_DEP_1)
	v_add3_u32 v133, v134, v133, 0x7fff
                                        ; implicit-def: $vgpr134
; %bb.50:
	s_and_not1_saveexec_b32 s4, s4
; %bb.51:
	v_and_b32_e32 v133, 0xffff, v134
	v_or_b32_e32 v139, 0x10000, v134
	s_delay_alu instid0(VALU_DEP_2) | instskip(NEXT) | instid1(VALU_DEP_2)
	v_cmp_eq_u32_e32 vcc_lo, 0, v133
	v_cndmask_b32_e32 v133, v139, v134, vcc_lo
; %bb.52:
	s_or_b32 exec_lo, exec_lo, s4
	v_and_b32_e32 v134, 0x7f800000, v142
	s_delay_alu instid0(VALU_DEP_1) | instskip(SKIP_1) | instid1(SALU_CYCLE_1)
	v_cmp_ne_u32_e32 vcc_lo, 0x7f800000, v134
                                        ; implicit-def: $vgpr134
	s_and_saveexec_b32 s4, vcc_lo
	s_xor_b32 s4, exec_lo, s4
; %bb.53:
	v_bfe_u32 v134, v142, 16, 1
	s_delay_alu instid0(VALU_DEP_1)
	v_add3_u32 v134, v142, v134, 0x7fff
                                        ; implicit-def: $vgpr142
; %bb.54:
	s_and_not1_saveexec_b32 s4, s4
; %bb.55:
	v_and_b32_e32 v134, 0xffff, v142
	v_or_b32_e32 v139, 0x10000, v142
	s_delay_alu instid0(VALU_DEP_2) | instskip(NEXT) | instid1(VALU_DEP_2)
	v_cmp_eq_u32_e32 vcc_lo, 0, v134
	v_cndmask_b32_e32 v134, v139, v142, vcc_lo
; %bb.56:
	s_or_b32 exec_lo, exec_lo, s4
	v_and_b32_e32 v139, 0x7f800000, v141
	s_delay_alu instid0(VALU_DEP_1) | instskip(SKIP_1) | instid1(SALU_CYCLE_1)
	v_cmp_ne_u32_e32 vcc_lo, 0x7f800000, v139
                                        ; implicit-def: $vgpr139
	s_and_saveexec_b32 s4, vcc_lo
	s_xor_b32 s4, exec_lo, s4
; %bb.57:
	v_bfe_u32 v139, v141, 16, 1
	s_delay_alu instid0(VALU_DEP_1)
	v_add3_u32 v139, v141, v139, 0x7fff
                                        ; implicit-def: $vgpr141
; %bb.58:
	s_and_not1_saveexec_b32 s4, s4
; %bb.59:
	v_and_b32_e32 v139, 0xffff, v141
	v_or_b32_e32 v142, 0x10000, v141
	s_delay_alu instid0(VALU_DEP_2) | instskip(NEXT) | instid1(VALU_DEP_2)
	v_cmp_eq_u32_e32 vcc_lo, 0, v139
	v_cndmask_b32_e32 v139, v142, v141, vcc_lo
; %bb.60:
	s_or_b32 exec_lo, exec_lo, s4
	v_and_b32_e32 v141, 0x7f800000, v135
	s_delay_alu instid0(VALU_DEP_1) | instskip(SKIP_1) | instid1(SALU_CYCLE_1)
	v_cmp_ne_u32_e32 vcc_lo, 0x7f800000, v141
                                        ; implicit-def: $vgpr141
	s_and_saveexec_b32 s4, vcc_lo
	s_xor_b32 s4, exec_lo, s4
; %bb.61:
	v_bfe_u32 v141, v135, 16, 1
	s_delay_alu instid0(VALU_DEP_1)
	v_add3_u32 v141, v135, v141, 0x7fff
                                        ; implicit-def: $vgpr135
; %bb.62:
	s_and_not1_saveexec_b32 s4, s4
; %bb.63:
	v_and_b32_e32 v141, 0xffff, v135
	v_or_b32_e32 v142, 0x10000, v135
	s_delay_alu instid0(VALU_DEP_2) | instskip(NEXT) | instid1(VALU_DEP_2)
	v_cmp_eq_u32_e32 vcc_lo, 0, v141
	v_cndmask_b32_e32 v141, v142, v135, vcc_lo
; %bb.64:
	s_or_b32 exec_lo, exec_lo, s4
	v_and_b32_e32 v135, 0x7f800000, v136
	s_delay_alu instid0(VALU_DEP_1) | instskip(SKIP_1) | instid1(SALU_CYCLE_1)
	v_cmp_ne_u32_e32 vcc_lo, 0x7f800000, v135
                                        ; implicit-def: $vgpr135
	s_and_saveexec_b32 s4, vcc_lo
	s_xor_b32 s4, exec_lo, s4
; %bb.65:
	v_bfe_u32 v135, v136, 16, 1
	s_delay_alu instid0(VALU_DEP_1)
	v_add3_u32 v135, v136, v135, 0x7fff
                                        ; implicit-def: $vgpr136
; %bb.66:
	s_and_not1_saveexec_b32 s4, s4
; %bb.67:
	v_and_b32_e32 v135, 0xffff, v136
	v_or_b32_e32 v142, 0x10000, v136
	s_delay_alu instid0(VALU_DEP_2) | instskip(NEXT) | instid1(VALU_DEP_2)
	v_cmp_eq_u32_e32 vcc_lo, 0, v135
	v_cndmask_b32_e32 v135, v142, v136, vcc_lo
; %bb.68:
	s_or_b32 exec_lo, exec_lo, s4
	v_and_b32_e32 v136, 0x7f800000, v137
	s_delay_alu instid0(VALU_DEP_1) | instskip(SKIP_1) | instid1(SALU_CYCLE_1)
	v_cmp_ne_u32_e32 vcc_lo, 0x7f800000, v136
                                        ; implicit-def: $vgpr136
	s_and_saveexec_b32 s4, vcc_lo
	s_xor_b32 s4, exec_lo, s4
; %bb.69:
	v_bfe_u32 v136, v137, 16, 1
	s_delay_alu instid0(VALU_DEP_1)
	v_add3_u32 v136, v137, v136, 0x7fff
                                        ; implicit-def: $vgpr137
; %bb.70:
	s_and_not1_saveexec_b32 s4, s4
; %bb.71:
	v_and_b32_e32 v136, 0xffff, v137
	v_or_b32_e32 v142, 0x10000, v137
	s_delay_alu instid0(VALU_DEP_2) | instskip(NEXT) | instid1(VALU_DEP_2)
	v_cmp_eq_u32_e32 vcc_lo, 0, v136
	v_cndmask_b32_e32 v136, v142, v137, vcc_lo
; %bb.72:
	s_or_b32 exec_lo, exec_lo, s4
	v_and_b32_e32 v137, 0x7f800000, v138
	s_delay_alu instid0(VALU_DEP_1) | instskip(SKIP_1) | instid1(SALU_CYCLE_1)
	v_cmp_ne_u32_e32 vcc_lo, 0x7f800000, v137
                                        ; implicit-def: $vgpr137
	s_and_saveexec_b32 s4, vcc_lo
	s_xor_b32 s4, exec_lo, s4
; %bb.73:
	v_bfe_u32 v137, v138, 16, 1
	s_delay_alu instid0(VALU_DEP_1)
	v_add3_u32 v137, v138, v137, 0x7fff
                                        ; implicit-def: $vgpr138
; %bb.74:
	s_and_not1_saveexec_b32 s4, s4
; %bb.75:
	v_and_b32_e32 v137, 0xffff, v138
	v_or_b32_e32 v142, 0x10000, v138
	s_delay_alu instid0(VALU_DEP_2) | instskip(NEXT) | instid1(VALU_DEP_2)
	v_cmp_eq_u32_e32 vcc_lo, 0, v137
	v_cndmask_b32_e32 v137, v142, v138, vcc_lo
; %bb.76:
	s_or_b32 exec_lo, exec_lo, s4
	s_delay_alu instid0(VALU_DEP_1)
	v_perm_b32 v136, v137, v136, 0x7060302
	v_perm_b32 v135, v135, v141, 0x7060302
	;; [unrolled: 1-line block ×4, first 2 shown]
	v_lshl_or_b32 v141, v149, 11, v140
	ds_store_b128 v131, v[133:136] offset:1024
	s_waitcnt lgkmcnt(0)
	s_barrier
	buffer_gl0_inv
	ds_load_b128 v[132:135], v141
	ds_load_b128 v[149:152], v141 offset:16
	s_waitcnt lgkmcnt(1)
	v_lshrrev_b32_e32 v136, 16, v132
	s_waitcnt lgkmcnt(0)
	v_lshrrev_b32_e32 v164, 16, v151
	v_lshlrev_b32_e32 v138, 2, v146
	v_lshrrev_b32_e32 v143, 16, v149
	v_lshrrev_b32_e32 v162, 16, v150
	;; [unrolled: 1-line block ×4, first 2 shown]
	v_or_b32_e32 v139, 1, v138
	v_lshrrev_b32_e32 v165, 16, v152
	v_lshrrev_b32_e32 v163, 16, v135
	s_delay_alu instid0(VALU_DEP_3)
	v_cmp_eq_u32_e64 s8, 1, v139
	v_cmp_eq_u32_e64 s7, 2, v139
	;; [unrolled: 1-line block ×4, first 2 shown]
	v_cmp_eq_u32_e32 vcc_lo, 5, v139
	v_cndmask_b32_e64 v155, v149, v143, s8
	v_cndmask_b32_e64 v154, v132, v136, s8
	v_cmp_eq_u32_e64 s5, 6, v139
	v_cmp_eq_u32_e64 s20, 7, v139
	s_delay_alu instid0(VALU_DEP_4) | instskip(NEXT) | instid1(VALU_DEP_4)
	v_cndmask_b32_e64 v155, v155, v150, s7
	v_cndmask_b32_e64 v154, v154, v133, s7
	s_delay_alu instid0(VALU_DEP_2) | instskip(NEXT) | instid1(VALU_DEP_2)
	v_cndmask_b32_e64 v155, v155, v162, s6
	v_cndmask_b32_e64 v154, v154, v144, s6
	s_delay_alu instid0(VALU_DEP_2) | instskip(NEXT) | instid1(VALU_DEP_2)
	v_cndmask_b32_e64 v155, v155, v151, s4
	v_cndmask_b32_e64 v154, v154, v134, s4
	s_delay_alu instid0(VALU_DEP_2)
	v_cndmask_b32_e32 v157, v155, v164, vcc_lo
	v_cmp_eq_u32_e64 s13, 1, v138
	v_cmp_eq_u32_e64 s12, 2, v138
	;; [unrolled: 1-line block ×3, first 2 shown]
	v_or_b32_e32 v137, 2, v138
	v_cmp_eq_u32_e64 s18, 4, v138
	v_cndmask_b32_e64 v153, v149, v143, s13
	v_cndmask_b32_e64 v142, v132, v136, s13
	v_cmp_eq_u32_e64 s15, 5, v138
	v_cmp_eq_u32_e64 s9, 1, v137
	;; [unrolled: 1-line block ×3, first 2 shown]
	v_cndmask_b32_e64 v153, v153, v150, s12
	v_cndmask_b32_e64 v142, v142, v133, s12
	v_cmp_eq_u32_e64 s11, 2, v137
	v_cndmask_b32_e64 v156, v132, v136, s9
	v_cndmask_b32_e32 v154, v154, v161, vcc_lo
	v_cndmask_b32_e64 v153, v153, v162, s17
	v_cndmask_b32_e64 v142, v142, v144, s17
	v_cmp_eq_u32_e64 s10, 7, v138
	v_cndmask_b32_e64 v156, v156, v133, s11
	v_cmp_eq_u32_e64 s19, 3, v137
	v_cndmask_b32_e64 v153, v153, v151, s18
	v_cndmask_b32_e64 v142, v142, v134, s18
	v_cndmask_b32_e64 v154, v154, v135, s5
	v_cmp_eq_u32_e64 s21, 4, v137
	v_cndmask_b32_e64 v156, v156, v144, s19
	v_cndmask_b32_e64 v153, v153, v164, s15
	;; [unrolled: 1-line block ×4, first 2 shown]
	v_cmp_eq_u32_e64 s23, 5, v137
	v_cndmask_b32_e64 v159, v156, v134, s21
	v_cndmask_b32_e64 v153, v153, v152, s16
	;; [unrolled: 1-line block ×3, first 2 shown]
	v_cmp_eq_u32_e64 s26, 6, v137
	v_cmp_eq_u32_e64 s28, 7, v137
	v_cndmask_b32_e64 v169, v159, v161, s23
	v_cndmask_b32_e64 v167, v153, v165, s10
	;; [unrolled: 1-line block ×4, first 2 shown]
	v_or_b32_e32 v142, 3, v138
	s_delay_alu instid0(VALU_DEP_3)
	v_cndmask_b32_e64 v158, v153, v150, s11
	ds_load_b128 v[153:156], v141 offset:1024
	v_cmp_eq_u32_e64 s22, 1, v142
	v_cmp_eq_u32_e64 s24, 2, v142
	;; [unrolled: 1-line block ×3, first 2 shown]
	v_cndmask_b32_e64 v158, v158, v162, s19
	v_cmp_eq_u32_e64 s27, 4, v142
	v_cndmask_b32_e64 v132, v132, v136, s22
	v_cndmask_b32_e64 v136, v157, v152, s5
	;; [unrolled: 1-line block ×4, first 2 shown]
	ds_load_b128 v[157:160], v141 offset:1040
	v_cndmask_b32_e64 v132, v132, v133, s24
	v_cmp_eq_u32_e64 s29, 5, v142
	v_cndmask_b32_e64 v143, v143, v150, s24
	v_cmp_eq_u32_e64 s30, 6, v142
	v_cndmask_b32_e64 v133, v170, v164, s23
	v_cndmask_b32_e64 v132, v132, v144, s25
	;; [unrolled: 1-line block ×5, first 2 shown]
	s_waitcnt lgkmcnt(1)
	v_lshrrev_b32_e32 v149, 16, v153
	v_cndmask_b32_e64 v132, v132, v134, s27
	v_cndmask_b32_e64 v133, v133, v152, s26
	v_cndmask_b32_e64 v134, v143, v151, s27
	v_lshrrev_b32_e32 v151, 16, v154
	v_cndmask_b32_e64 v143, v153, v149, s13
	v_cndmask_b32_e64 v132, v132, v161, s29
	;; [unrolled: 1-line block ×5, first 2 shown]
	s_waitcnt lgkmcnt(0)
	v_lshrrev_b32_e32 v150, 16, v157
	v_cndmask_b32_e64 v143, v143, v154, s12
	v_cndmask_b32_e64 v132, v132, v135, s30
	v_cndmask_b32_e64 v134, v134, v152, s30
	v_lshrrev_b32_e32 v164, 16, v159
	v_cndmask_b32_e64 v162, v157, v150, s13
	v_cndmask_b32_e64 v135, v143, v151, s17
	;; [unrolled: 1-line block ×3, first 2 shown]
	v_lshrrev_b32_e32 v161, 16, v158
	v_cndmask_b32_e64 v133, v133, v165, s28
	v_cndmask_b32_e64 v152, v162, v158, s12
	v_cmp_eq_u32_e64 s12, 7, v142
	v_cndmask_b32_e64 v143, v143, v151, s6
	v_cndmask_b32_e64 v135, v135, v155, s18
	v_lshrrev_b32_e32 v162, 16, v155
	v_cndmask_b32_e64 v152, v152, v161, s17
	v_cndmask_b32_e64 v132, v132, v163, s12
	;; [unrolled: 1-line block ×6, first 2 shown]
	s_delay_alu instid0(VALU_DEP_4) | instskip(NEXT) | instid1(VALU_DEP_4)
	v_perm_b32 v135, v134, v132, 0x5040100
	v_cndmask_b32_e32 v132, v143, v162, vcc_lo
	s_delay_alu instid0(VALU_DEP_4)
	v_cndmask_b32_e64 v143, v163, v156, s16
	v_lshrrev_b32_e32 v163, 16, v156
	v_cndmask_b32_e64 v152, v152, v164, s15
	v_perm_b32 v134, v133, v144, 0x5040100
	v_cndmask_b32_e64 v132, v132, v156, s5
	v_perm_b32 v133, v136, v168, 0x5040100
	v_cndmask_b32_e64 v136, v143, v163, s10
	v_cndmask_b32_e64 v143, v152, v160, s16
	;; [unrolled: 1-line block ×13, first 2 shown]
	v_lshrrev_b32_e32 v144, 16, v160
	v_cndmask_b32_e64 v132, v132, v151, s19
	v_cndmask_b32_e64 v149, v149, v151, s25
	;; [unrolled: 1-line block ×14, first 2 shown]
	v_cndmask_b32_e32 v150, v150, v164, vcc_lo
	v_cndmask_b32_e64 v132, v132, v156, s26
	v_cndmask_b32_e64 v149, v149, v156, s30
	v_cndmask_b32_e64 v151, v151, v160, s30
	v_cndmask_b32_e64 v152, v152, v160, s26
	v_cndmask_b32_e64 v150, v150, v160, s5
	v_cndmask_b32_e64 v153, v132, v163, s28
	v_cndmask_b32_e64 v149, v149, v163, s12
	v_cndmask_b32_e64 v151, v151, v144, s12
	v_cndmask_b32_e64 v154, v152, v144, s28
	v_cndmask_b32_e64 v150, v150, v144, s20
	v_cndmask_b32_e64 v143, v143, v144, s10
	v_perm_b32 v132, v167, v166, 0x5040100
	v_perm_b32 v152, v151, v149, 0x5040100
	;; [unrolled: 1-line block ×5, first 2 shown]
	s_mul_i32 s9, s37, 11
	s_mov_b32 s4, exec_lo
	ds_store_b128 v131, v[132:135]
	ds_store_b128 v131, v[149:152] offset:1024
	v_cmpx_gt_u32_e32 11, v0
	s_cbranch_execz .LBB396_78
; %bb.77:
	s_mul_i32 s5, s9, s34
	s_load_b128 s[16:19], s[0:1], 0x58
	v_add3_u32 v133, s5, s31, v148
	s_delay_alu instid0(VALU_DEP_1) | instskip(NEXT) | instid1(VALU_DEP_1)
	v_mad_u64_u32 v[131:132], null, v133, s36, s[14:15]
	v_ashrrev_i32_e32 v132, 31, v131
	s_delay_alu instid0(VALU_DEP_1) | instskip(SKIP_1) | instid1(VALU_DEP_1)
	v_lshlrev_b64 v[131:132], 2, v[131:132]
	s_waitcnt lgkmcnt(0)
	v_add_co_u32 v133, vcc_lo, s18, v131
	s_delay_alu instid0(VALU_DEP_2)
	v_add_co_ci_u32_e32 v134, vcc_lo, s19, v132, vcc_lo
	v_add_co_u32 v131, vcc_lo, s16, v131
	v_add_co_ci_u32_e32 v132, vcc_lo, s17, v132, vcc_lo
	global_store_b32 v[133:134], v129, off
	global_store_b32 v[131:132], v130, off
.LBB396_78:
	s_or_b32 exec_lo, exec_lo, s4
	s_waitcnt lgkmcnt(0)
	s_waitcnt_vscnt null, 0x0
	s_barrier
	buffer_gl0_inv
	ds_load_b128 v[148:151], v140
	ds_load_b128 v[152:155], v140 offset:16
	ds_load_b128 v[160:163], v140 offset:1040
	;; [unrolled: 1-line block ×3, first 2 shown]
	v_mov_b32_e32 v129, 0
	ds_load_b128 v[168:171], v140 offset:2064
	ds_load_b128 v[164:167], v140 offset:2048
	;; [unrolled: 1-line block ×6, first 2 shown]
	v_mov_b32_e32 v130, v129
	v_mov_b32_e32 v131, v129
	;; [unrolled: 1-line block ×7, first 2 shown]
	s_waitcnt lgkmcnt(8)
	s_delay_alu instid0(VALU_DEP_1)
	v_wmma_f32_16x16x16_bf16 v[129:136], v[121:128], v[148:155], v[129:136]
	ds_load_b128 v[125:128], v140 offset:5136
	ds_load_b128 v[121:124], v140 offset:5120
	s_waitcnt lgkmcnt(8)
	v_wmma_f32_16x16x16_bf16 v[129:136], v[113:120], v[156:163], v[129:136]
	ds_load_b128 v[117:120], v140 offset:6160
	ds_load_b128 v[113:116], v140 offset:6144
	s_waitcnt lgkmcnt(8)
	;; [unrolled: 4-line block ×8, first 2 shown]
	v_wmma_f32_16x16x16_bf16 v[129:136], v[65:72], v[97:104], v[129:136]
	s_waitcnt lgkmcnt(6)
	s_delay_alu instid0(VALU_DEP_1)
	v_wmma_f32_16x16x16_bf16 v[129:136], v[49:56], v[89:96], v[129:136]
	ds_load_b128 v[53:56], v140 offset:13328
	ds_load_b128 v[49:52], v140 offset:13312
	s_waitcnt lgkmcnt(6)
	v_wmma_f32_16x16x16_bf16 v[129:136], v[41:48], v[81:88], v[129:136]
	ds_load_b128 v[45:48], v140 offset:14352
	ds_load_b128 v[41:44], v140 offset:14336
	s_waitcnt lgkmcnt(6)
	;; [unrolled: 4-line block ×3, first 2 shown]
	v_wmma_f32_16x16x16_bf16 v[129:136], v[1:8], v[57:64], v[129:136]
	s_waitcnt lgkmcnt(4)
	s_delay_alu instid0(VALU_DEP_1) | instskip(SKIP_1) | instid1(VALU_DEP_1)
	v_wmma_f32_16x16x16_bf16 v[129:136], v[25:32], v[49:56], v[129:136]
	s_waitcnt lgkmcnt(2)
	v_wmma_f32_16x16x16_bf16 v[129:136], v[33:40], v[41:48], v[129:136]
	s_waitcnt lgkmcnt(0)
	s_delay_alu instid0(VALU_DEP_1) | instskip(NEXT) | instid1(VALU_DEP_1)
	v_wmma_f32_16x16x16_bf16 v[129:136], v[9:16], v[17:24], v[129:136]
	v_and_b32_e32 v1, 0x7f800000, v129
	s_delay_alu instid0(VALU_DEP_1) | instskip(SKIP_1) | instid1(SALU_CYCLE_1)
	v_cmp_ne_u32_e32 vcc_lo, 0x7f800000, v1
                                        ; implicit-def: $vgpr1
	s_and_saveexec_b32 s4, vcc_lo
	s_xor_b32 s4, exec_lo, s4
; %bb.79:
	v_bfe_u32 v1, v129, 16, 1
	s_delay_alu instid0(VALU_DEP_1)
	v_add3_u32 v1, v129, v1, 0x7fff
; %bb.80:
	s_and_not1_saveexec_b32 s4, s4
; %bb.81:
	v_and_b32_e32 v1, 0xffff, v129
	v_or_b32_e32 v2, 0x10000, v129
	s_delay_alu instid0(VALU_DEP_2) | instskip(NEXT) | instid1(VALU_DEP_2)
	v_cmp_eq_u32_e32 vcc_lo, 0, v1
	v_cndmask_b32_e32 v1, v2, v129, vcc_lo
; %bb.82:
	s_or_b32 exec_lo, exec_lo, s4
	v_and_b32_e32 v2, 0x7f800000, v130
	s_delay_alu instid0(VALU_DEP_1) | instskip(SKIP_1) | instid1(SALU_CYCLE_1)
	v_cmp_ne_u32_e32 vcc_lo, 0x7f800000, v2
                                        ; implicit-def: $vgpr2
	s_and_saveexec_b32 s4, vcc_lo
	s_xor_b32 s4, exec_lo, s4
; %bb.83:
	v_bfe_u32 v2, v130, 16, 1
	s_delay_alu instid0(VALU_DEP_1)
	v_add3_u32 v2, v130, v2, 0x7fff
; %bb.84:
	s_and_not1_saveexec_b32 s4, s4
; %bb.85:
	v_and_b32_e32 v2, 0xffff, v130
	v_or_b32_e32 v3, 0x10000, v130
	s_delay_alu instid0(VALU_DEP_2) | instskip(NEXT) | instid1(VALU_DEP_2)
	v_cmp_eq_u32_e32 vcc_lo, 0, v2
	v_cndmask_b32_e32 v2, v3, v130, vcc_lo
; %bb.86:
	s_or_b32 exec_lo, exec_lo, s4
	v_and_b32_e32 v3, 0x7f800000, v131
	s_delay_alu instid0(VALU_DEP_1) | instskip(SKIP_1) | instid1(SALU_CYCLE_1)
	v_cmp_ne_u32_e32 vcc_lo, 0x7f800000, v3
                                        ; implicit-def: $vgpr3
	s_and_saveexec_b32 s4, vcc_lo
	s_xor_b32 s4, exec_lo, s4
; %bb.87:
	v_bfe_u32 v3, v131, 16, 1
	s_delay_alu instid0(VALU_DEP_1)
	v_add3_u32 v3, v131, v3, 0x7fff
; %bb.88:
	s_and_not1_saveexec_b32 s4, s4
; %bb.89:
	v_and_b32_e32 v3, 0xffff, v131
	v_or_b32_e32 v4, 0x10000, v131
	s_delay_alu instid0(VALU_DEP_2) | instskip(NEXT) | instid1(VALU_DEP_2)
	v_cmp_eq_u32_e32 vcc_lo, 0, v3
	v_cndmask_b32_e32 v3, v4, v131, vcc_lo
; %bb.90:
	s_or_b32 exec_lo, exec_lo, s4
	v_and_b32_e32 v4, 0x7f800000, v132
	s_delay_alu instid0(VALU_DEP_1) | instskip(SKIP_1) | instid1(SALU_CYCLE_1)
	v_cmp_ne_u32_e32 vcc_lo, 0x7f800000, v4
                                        ; implicit-def: $vgpr4
	s_and_saveexec_b32 s4, vcc_lo
	s_xor_b32 s4, exec_lo, s4
; %bb.91:
	v_bfe_u32 v4, v132, 16, 1
	s_delay_alu instid0(VALU_DEP_1)
	v_add3_u32 v4, v132, v4, 0x7fff
; %bb.92:
	s_and_not1_saveexec_b32 s4, s4
; %bb.93:
	v_and_b32_e32 v4, 0xffff, v132
	v_or_b32_e32 v5, 0x10000, v132
	s_delay_alu instid0(VALU_DEP_2) | instskip(NEXT) | instid1(VALU_DEP_2)
	v_cmp_eq_u32_e32 vcc_lo, 0, v4
	v_cndmask_b32_e32 v4, v5, v132, vcc_lo
; %bb.94:
	s_or_b32 exec_lo, exec_lo, s4
	v_and_b32_e32 v5, 0x7f800000, v133
	s_delay_alu instid0(VALU_DEP_1) | instskip(SKIP_1) | instid1(SALU_CYCLE_1)
	v_cmp_ne_u32_e32 vcc_lo, 0x7f800000, v5
                                        ; implicit-def: $vgpr5
	s_and_saveexec_b32 s4, vcc_lo
	s_xor_b32 s4, exec_lo, s4
; %bb.95:
	v_bfe_u32 v5, v133, 16, 1
	s_delay_alu instid0(VALU_DEP_1)
	v_add3_u32 v5, v133, v5, 0x7fff
; %bb.96:
	s_and_not1_saveexec_b32 s4, s4
; %bb.97:
	v_and_b32_e32 v5, 0xffff, v133
	v_or_b32_e32 v6, 0x10000, v133
	s_delay_alu instid0(VALU_DEP_2) | instskip(NEXT) | instid1(VALU_DEP_2)
	v_cmp_eq_u32_e32 vcc_lo, 0, v5
	v_cndmask_b32_e32 v5, v6, v133, vcc_lo
; %bb.98:
	s_or_b32 exec_lo, exec_lo, s4
	v_and_b32_e32 v6, 0x7f800000, v134
	s_delay_alu instid0(VALU_DEP_1) | instskip(SKIP_1) | instid1(SALU_CYCLE_1)
	v_cmp_ne_u32_e32 vcc_lo, 0x7f800000, v6
                                        ; implicit-def: $vgpr6
	s_and_saveexec_b32 s4, vcc_lo
	s_xor_b32 s4, exec_lo, s4
; %bb.99:
	v_bfe_u32 v6, v134, 16, 1
	s_delay_alu instid0(VALU_DEP_1)
	v_add3_u32 v6, v134, v6, 0x7fff
; %bb.100:
	s_and_not1_saveexec_b32 s4, s4
; %bb.101:
	v_and_b32_e32 v6, 0xffff, v134
	v_or_b32_e32 v7, 0x10000, v134
	s_delay_alu instid0(VALU_DEP_2) | instskip(NEXT) | instid1(VALU_DEP_2)
	v_cmp_eq_u32_e32 vcc_lo, 0, v6
	v_cndmask_b32_e32 v6, v7, v134, vcc_lo
; %bb.102:
	s_or_b32 exec_lo, exec_lo, s4
	v_and_b32_e32 v7, 0x7f800000, v135
	s_delay_alu instid0(VALU_DEP_1) | instskip(SKIP_1) | instid1(SALU_CYCLE_1)
	v_cmp_ne_u32_e32 vcc_lo, 0x7f800000, v7
                                        ; implicit-def: $vgpr7
	s_and_saveexec_b32 s4, vcc_lo
	s_xor_b32 s4, exec_lo, s4
; %bb.103:
	v_bfe_u32 v7, v135, 16, 1
	s_delay_alu instid0(VALU_DEP_1)
	v_add3_u32 v7, v135, v7, 0x7fff
; %bb.104:
	s_and_not1_saveexec_b32 s4, s4
; %bb.105:
	v_and_b32_e32 v7, 0xffff, v135
	v_or_b32_e32 v8, 0x10000, v135
	s_delay_alu instid0(VALU_DEP_2) | instskip(NEXT) | instid1(VALU_DEP_2)
	v_cmp_eq_u32_e32 vcc_lo, 0, v7
	v_cndmask_b32_e32 v7, v8, v135, vcc_lo
; %bb.106:
	s_or_b32 exec_lo, exec_lo, s4
	v_and_b32_e32 v8, 0x7f800000, v136
	s_delay_alu instid0(VALU_DEP_1) | instskip(SKIP_1) | instid1(SALU_CYCLE_1)
	v_cmp_ne_u32_e32 vcc_lo, 0x7f800000, v8
                                        ; implicit-def: $vgpr8
	s_and_saveexec_b32 s4, vcc_lo
	s_xor_b32 s4, exec_lo, s4
; %bb.107:
	v_bfe_u32 v8, v136, 16, 1
	s_delay_alu instid0(VALU_DEP_1)
	v_add3_u32 v8, v136, v8, 0x7fff
                                        ; implicit-def: $vgpr129_vgpr130_vgpr131_vgpr132_vgpr133_vgpr134_vgpr135_vgpr136
; %bb.108:
	s_and_not1_saveexec_b32 s4, s4
; %bb.109:
	v_and_b32_e32 v8, 0xffff, v136
	v_or_b32_e32 v9, 0x10000, v136
	s_delay_alu instid0(VALU_DEP_2) | instskip(NEXT) | instid1(VALU_DEP_2)
	v_cmp_eq_u32_e32 vcc_lo, 0, v8
	v_cndmask_b32_e32 v8, v9, v136, vcc_lo
; %bb.110:
	s_or_b32 exec_lo, exec_lo, s4
	s_delay_alu instid0(VALU_DEP_1)
	v_perm_b32 v7, v8, v7, 0x7060302
	v_perm_b32 v6, v6, v5, 0x7060302
	;; [unrolled: 1-line block ×4, first 2 shown]
	v_lshl_or_b32 v9, v146, 4, v141
	s_barrier
	buffer_gl0_inv
	v_cmp_eq_u32_e32 vcc_lo, 1, v138
	ds_store_b128 v9, v[4:7]
	s_waitcnt lgkmcnt(0)
	s_barrier
	buffer_gl0_inv
	ds_load_b128 v[1:4], v141
	ds_load_b128 v[5:8], v141 offset:16
	v_cmp_eq_u32_e64 s5, 2, v138
	v_cmp_eq_u32_e64 s4, 1, v139
	;; [unrolled: 1-line block ×5, first 2 shown]
	s_waitcnt lgkmcnt(1)
	v_lshrrev_b32_e32 v10, 16, v1
	s_waitcnt lgkmcnt(0)
	v_lshrrev_b32_e32 v14, 16, v5
	v_lshrrev_b32_e32 v15, 16, v6
	;; [unrolled: 1-line block ×4, first 2 shown]
	v_cndmask_b32_e64 v20, v1, v10, s4
	v_cndmask_b32_e32 v19, v5, v14, vcc_lo
	v_cndmask_b32_e64 v21, v5, v14, s4
	v_lshrrev_b32_e32 v16, 16, v7
	v_cmp_eq_u32_e64 s4, 1, v137
	v_lshrrev_b32_e32 v13, 16, v4
	v_cndmask_b32_e64 v19, v19, v6, s5
	v_lshrrev_b32_e32 v17, 16, v8
	s_delay_alu instid0(VALU_DEP_4) | instskip(SKIP_1) | instid1(VALU_DEP_4)
	v_cndmask_b32_e64 v22, v1, v10, s4
	v_cndmask_b32_e64 v23, v5, v14, s4
	;; [unrolled: 1-line block ×3, first 2 shown]
	v_cndmask_b32_e32 v18, v1, v10, vcc_lo
	v_cmp_eq_u32_e32 vcc_lo, 2, v139
	v_cmp_eq_u32_e64 s4, 2, v142
	v_cndmask_b32_e64 v22, v22, v2, s8
	v_cndmask_b32_e32 v20, v20, v2, vcc_lo
	v_cndmask_b32_e32 v21, v21, v6, vcc_lo
	v_cmp_eq_u32_e32 vcc_lo, 4, v138
	v_cndmask_b32_e32 v19, v19, v7, vcc_lo
	v_cndmask_b32_e64 v18, v18, v2, s5
	v_cmp_eq_u32_e64 s5, 3, v139
	s_delay_alu instid0(VALU_DEP_2) | instskip(NEXT) | instid1(VALU_DEP_2)
	v_cndmask_b32_e64 v18, v18, v11, s6
	v_cndmask_b32_e64 v21, v21, v15, s5
	v_cmp_eq_u32_e64 s6, 5, v138
	s_delay_alu instid0(VALU_DEP_3) | instskip(SKIP_1) | instid1(VALU_DEP_3)
	v_cndmask_b32_e32 v18, v18, v3, vcc_lo
	v_cmp_eq_u32_e32 vcc_lo, 4, v139
	v_cndmask_b32_e64 v19, v19, v16, s6
	s_delay_alu instid0(VALU_DEP_3) | instskip(SKIP_4) | instid1(VALU_DEP_3)
	v_cndmask_b32_e64 v18, v18, v12, s6
	v_cndmask_b32_e32 v21, v21, v7, vcc_lo
	v_cndmask_b32_e64 v20, v20, v11, s5
	v_cmp_eq_u32_e64 s5, 5, v139
	v_cmp_eq_u32_e64 s6, 6, v138
	v_cndmask_b32_e32 v20, v20, v3, vcc_lo
	s_delay_alu instid0(VALU_DEP_3) | instskip(SKIP_1) | instid1(VALU_DEP_4)
	v_cndmask_b32_e64 v21, v21, v16, s5
	v_cmp_eq_u32_e32 vcc_lo, 6, v139
	v_cndmask_b32_e64 v18, v18, v4, s6
	v_cndmask_b32_e64 v19, v19, v8, s6
	v_cndmask_b32_e64 v20, v20, v12, s5
	v_cmp_eq_u32_e64 s5, 1, v142
	v_cmp_eq_u32_e64 s6, 7, v138
	s_delay_alu instid0(VALU_DEP_3) | instskip(NEXT) | instid1(VALU_DEP_3)
	v_cndmask_b32_e32 v20, v20, v4, vcc_lo
	v_cndmask_b32_e64 v1, v1, v10, s5
	v_cndmask_b32_e64 v5, v5, v14, s5
	v_cmp_eq_u32_e64 s5, 3, v137
	v_cndmask_b32_e64 v14, v23, v6, s8
	v_cmp_eq_u32_e64 s8, 3, v142
	v_cndmask_b32_e64 v1, v1, v2, s4
	v_cndmask_b32_e64 v2, v5, v6, s4
	v_cndmask_b32_e64 v10, v22, v11, s5
	v_cmp_eq_u32_e64 s4, 4, v137
	v_cndmask_b32_e64 v6, v14, v15, s5
	v_cndmask_b32_e64 v1, v1, v11, s8
	v_cmp_eq_u32_e64 s5, 4, v142
	v_cndmask_b32_e64 v2, v2, v15, s8
	v_cndmask_b32_e64 v5, v10, v3, s4
	;; [unrolled: 3-line block ×3, first 2 shown]
	v_cndmask_b32_e64 v2, v2, v7, s5
	v_cmp_eq_u32_e64 s4, 5, v142
	v_cndmask_b32_e64 v5, v5, v12, s8
	v_cmp_eq_u32_e64 s5, 6, v137
	;; [unrolled: 2-line block ×3, first 2 shown]
	v_cndmask_b32_e64 v1, v1, v12, s4
	v_cndmask_b32_e64 v2, v2, v16, s4
	;; [unrolled: 1-line block ×4, first 2 shown]
	v_cmp_eq_u32_e64 s4, 7, v142
	v_cndmask_b32_e64 v1, v1, v4, s8
	v_cndmask_b32_e64 v2, v2, v8, s8
	v_cmp_eq_u32_e64 s5, 7, v137
	v_cndmask_b32_e32 v4, v21, v8, vcc_lo
	v_cndmask_b32_e64 v18, v18, v13, s6
	v_cndmask_b32_e64 v20, v20, v13, s7
	;; [unrolled: 1-line block ×8, first 2 shown]
	v_cmp_gt_u32_e32 vcc_lo, 32, v0
	v_perm_b32 v4, v2, v1, 0x5040100
	v_perm_b32 v3, v3, v5, 0x5040100
	;; [unrolled: 1-line block ×4, first 2 shown]
	s_and_b32 s2, vcc_lo, s2
	ds_store_b128 v9, v[1:4]
	s_waitcnt lgkmcnt(0)
	s_barrier
	buffer_gl0_inv
	s_and_saveexec_b32 s4, s2
	s_cbranch_execz .LBB396_2
; %bb.111:
	s_load_b64 s[4:5], s[0:1], 0x68
	v_lshlrev_b32_e32 v0, 10, v0
	v_lshlrev_b32_e32 v1, 4, v147
	s_lshl_b32 s0, s36, 6
	v_add_nc_u32_e32 v7, s31, v146
	s_mul_i32 s1, s0, s34
	s_delay_alu instid0(SALU_CYCLE_1) | instskip(SKIP_1) | instid1(VALU_DEP_2)
	s_mul_i32 s6, s1, s9
	v_and_or_b32 v0, 0x3800, v0, v1
	v_mul_lo_u32 v1, v7, s0
	v_add_nc_u32_e32 v2, 2, v7
	s_ashr_i32 s7, s6, 31
	v_add_nc_u32_e32 v4, 4, v7
	s_lshl_b64 s[6:7], s[6:7], 1
	v_add_nc_u32_e32 v8, 6, v7
	v_mul_lo_u32 v3, v2, s0
	v_lshl_or_b32 v19, v146, 6, v0
	v_ashrrev_i32_e32 v2, 31, v1
	v_mul_lo_u32 v11, v4, s0
	v_mul_lo_u32 v25, v8, s0
	s_waitcnt lgkmcnt(0)
	s_add_u32 s1, s4, s6
	s_addc_u32 s2, s5, s7
	s_lshl_b32 s4, s14, 6
	v_lshlrev_b64 v[5:6], 1, v[1:2]
	s_ashr_i32 s5, s4, 31
	v_ashrrev_i32_e32 v4, 31, v3
	s_lshl_b64 s[4:5], s[4:5], 1
	v_ashrrev_i32_e32 v12, 31, v11
	s_add_u32 s1, s1, s4
	s_addc_u32 s2, s2, s5
	v_add_co_u32 v1, s1, s1, v145
	s_delay_alu instid0(VALU_DEP_1) | instskip(SKIP_1) | instid1(VALU_DEP_3)
	v_add_co_ci_u32_e64 v2, null, s2, 0, s1
	v_lshlrev_b64 v[3:4], 1, v[3:4]
	v_add_co_u32 v23, vcc_lo, v1, v5
	v_add_nc_u32_e32 v5, 8, v7
	s_delay_alu instid0(VALU_DEP_4) | instskip(NEXT) | instid1(VALU_DEP_4)
	v_add_co_ci_u32_e32 v24, vcc_lo, v2, v6, vcc_lo
	v_add_co_u32 v27, vcc_lo, v1, v3
	s_delay_alu instid0(VALU_DEP_3)
	v_mul_lo_u32 v29, v5, s0
	v_add_co_ci_u32_e32 v28, vcc_lo, v2, v4, vcc_lo
	ds_load_b128 v[3:6], v19
	ds_load_b128 v[7:10], v19 offset:128
	v_lshlrev_b64 v[31:32], 1, v[11:12]
	ds_load_b128 v[11:14], v19 offset:256
	ds_load_b128 v[15:18], v19 offset:384
	;; [unrolled: 1-line block ×3, first 2 shown]
	v_ashrrev_i32_e32 v26, 31, v25
	v_ashrrev_i32_e32 v30, 31, v29
	v_add_co_u32 v31, vcc_lo, v1, v31
	s_delay_alu instid0(VALU_DEP_3) | instskip(NEXT) | instid1(VALU_DEP_3)
	v_lshlrev_b64 v[25:26], 1, v[25:26]
	v_lshlrev_b64 v[29:30], 1, v[29:30]
	v_add_co_ci_u32_e32 v32, vcc_lo, v2, v32, vcc_lo
	s_delay_alu instid0(VALU_DEP_3) | instskip(NEXT) | instid1(VALU_DEP_4)
	v_add_co_u32 v25, vcc_lo, v1, v25
	v_add_co_ci_u32_e32 v26, vcc_lo, v2, v26, vcc_lo
	s_delay_alu instid0(VALU_DEP_4)
	v_add_co_u32 v29, vcc_lo, v1, v29
	v_add_co_ci_u32_e32 v30, vcc_lo, v2, v30, vcc_lo
	s_waitcnt lgkmcnt(4)
	global_store_b128 v[23:24], v[3:6], off
	s_waitcnt lgkmcnt(3)
	global_store_b128 v[27:28], v[7:10], off
	;; [unrolled: 2-line block ×5, first 2 shown]
	s_and_b32 exec_lo, exec_lo, s3
	s_cbranch_execz .LBB396_2
; %bb.112:
	ds_load_b128 v[3:6], v0 offset:640
	s_add_i32 s1, s31, 10
	s_delay_alu instid0(SALU_CYCLE_1) | instskip(NEXT) | instid1(SALU_CYCLE_1)
	s_mul_i32 s0, s1, s0
	s_ashr_i32 s1, s0, 31
	s_delay_alu instid0(SALU_CYCLE_1) | instskip(NEXT) | instid1(SALU_CYCLE_1)
	s_lshl_b64 s[0:1], s[0:1], 1
	v_add_co_u32 v0, vcc_lo, v1, s0
	v_add_co_ci_u32_e32 v1, vcc_lo, s1, v2, vcc_lo
	s_waitcnt lgkmcnt(0)
	global_store_b128 v[0:1], v[3:6], off
	s_nop 0
	s_sendmsg sendmsg(MSG_DEALLOC_VGPRS)
	s_endpgm
	.section	.rodata,"a",@progbits
	.p2align	6, 0x0
	.amdhsa_kernel _Z39paged_attention_ll4mi_QKV_mfma16_kernelI14__hip_bfloat16S0_LN4vllm18Fp8KVCacheDataTypeE0EhLi16ELi64ELi256ELb1ELi11EL8MFMAType0EEvPKT_PKT0_S9_ifPKiSB_SB_iPKfiiiPfSE_PS4_PT2_iSD_SD_
		.amdhsa_group_segment_fixed_size 17472
		.amdhsa_private_segment_fixed_size 0
		.amdhsa_kernarg_size 400
		.amdhsa_user_sgpr_count 13
		.amdhsa_user_sgpr_dispatch_ptr 0
		.amdhsa_user_sgpr_queue_ptr 0
		.amdhsa_user_sgpr_kernarg_segment_ptr 1
		.amdhsa_user_sgpr_dispatch_id 0
		.amdhsa_user_sgpr_private_segment_size 0
		.amdhsa_wavefront_size32 1
		.amdhsa_uses_dynamic_stack 0
		.amdhsa_enable_private_segment 0
		.amdhsa_system_sgpr_workgroup_id_x 1
		.amdhsa_system_sgpr_workgroup_id_y 1
		.amdhsa_system_sgpr_workgroup_id_z 1
		.amdhsa_system_sgpr_workgroup_info 0
		.amdhsa_system_vgpr_workitem_id 0
		.amdhsa_next_free_vgpr 198
		.amdhsa_next_free_sgpr 52
		.amdhsa_reserve_vcc 1
		.amdhsa_float_round_mode_32 0
		.amdhsa_float_round_mode_16_64 0
		.amdhsa_float_denorm_mode_32 3
		.amdhsa_float_denorm_mode_16_64 3
		.amdhsa_dx10_clamp 1
		.amdhsa_ieee_mode 1
		.amdhsa_fp16_overflow 0
		.amdhsa_workgroup_processor_mode 1
		.amdhsa_memory_ordered 1
		.amdhsa_forward_progress 0
		.amdhsa_shared_vgpr_count 0
		.amdhsa_exception_fp_ieee_invalid_op 0
		.amdhsa_exception_fp_denorm_src 0
		.amdhsa_exception_fp_ieee_div_zero 0
		.amdhsa_exception_fp_ieee_overflow 0
		.amdhsa_exception_fp_ieee_underflow 0
		.amdhsa_exception_fp_ieee_inexact 0
		.amdhsa_exception_int_div_zero 0
	.end_amdhsa_kernel
	.section	.text._Z39paged_attention_ll4mi_QKV_mfma16_kernelI14__hip_bfloat16S0_LN4vllm18Fp8KVCacheDataTypeE0EhLi16ELi64ELi256ELb1ELi11EL8MFMAType0EEvPKT_PKT0_S9_ifPKiSB_SB_iPKfiiiPfSE_PS4_PT2_iSD_SD_,"axG",@progbits,_Z39paged_attention_ll4mi_QKV_mfma16_kernelI14__hip_bfloat16S0_LN4vllm18Fp8KVCacheDataTypeE0EhLi16ELi64ELi256ELb1ELi11EL8MFMAType0EEvPKT_PKT0_S9_ifPKiSB_SB_iPKfiiiPfSE_PS4_PT2_iSD_SD_,comdat
.Lfunc_end396:
	.size	_Z39paged_attention_ll4mi_QKV_mfma16_kernelI14__hip_bfloat16S0_LN4vllm18Fp8KVCacheDataTypeE0EhLi16ELi64ELi256ELb1ELi11EL8MFMAType0EEvPKT_PKT0_S9_ifPKiSB_SB_iPKfiiiPfSE_PS4_PT2_iSD_SD_, .Lfunc_end396-_Z39paged_attention_ll4mi_QKV_mfma16_kernelI14__hip_bfloat16S0_LN4vllm18Fp8KVCacheDataTypeE0EhLi16ELi64ELi256ELb1ELi11EL8MFMAType0EEvPKT_PKT0_S9_ifPKiSB_SB_iPKfiiiPfSE_PS4_PT2_iSD_SD_
                                        ; -- End function
	.section	.AMDGPU.csdata,"",@progbits
; Kernel info:
; codeLenInByte = 10216
; NumSgprs: 54
; NumVgprs: 198
; ScratchSize: 0
; MemoryBound: 0
; FloatMode: 240
; IeeeMode: 1
; LDSByteSize: 17472 bytes/workgroup (compile time only)
; SGPRBlocks: 6
; VGPRBlocks: 24
; NumSGPRsForWavesPerEU: 54
; NumVGPRsForWavesPerEU: 198
; Occupancy: 7
; WaveLimiterHint : 1
; COMPUTE_PGM_RSRC2:SCRATCH_EN: 0
; COMPUTE_PGM_RSRC2:USER_SGPR: 13
; COMPUTE_PGM_RSRC2:TRAP_HANDLER: 0
; COMPUTE_PGM_RSRC2:TGID_X_EN: 1
; COMPUTE_PGM_RSRC2:TGID_Y_EN: 1
; COMPUTE_PGM_RSRC2:TGID_Z_EN: 1
; COMPUTE_PGM_RSRC2:TIDIG_COMP_CNT: 0
	.section	.text._Z39paged_attention_ll4mi_QKV_mfma16_kernelI14__hip_bfloat16S0_LN4vllm18Fp8KVCacheDataTypeE0EhLi16ELi64ELi256ELb1ELi12EL8MFMAType0EEvPKT_PKT0_S9_ifPKiSB_SB_iPKfiiiPfSE_PS4_PT2_iSD_SD_,"axG",@progbits,_Z39paged_attention_ll4mi_QKV_mfma16_kernelI14__hip_bfloat16S0_LN4vllm18Fp8KVCacheDataTypeE0EhLi16ELi64ELi256ELb1ELi12EL8MFMAType0EEvPKT_PKT0_S9_ifPKiSB_SB_iPKfiiiPfSE_PS4_PT2_iSD_SD_,comdat
	.protected	_Z39paged_attention_ll4mi_QKV_mfma16_kernelI14__hip_bfloat16S0_LN4vllm18Fp8KVCacheDataTypeE0EhLi16ELi64ELi256ELb1ELi12EL8MFMAType0EEvPKT_PKT0_S9_ifPKiSB_SB_iPKfiiiPfSE_PS4_PT2_iSD_SD_ ; -- Begin function _Z39paged_attention_ll4mi_QKV_mfma16_kernelI14__hip_bfloat16S0_LN4vllm18Fp8KVCacheDataTypeE0EhLi16ELi64ELi256ELb1ELi12EL8MFMAType0EEvPKT_PKT0_S9_ifPKiSB_SB_iPKfiiiPfSE_PS4_PT2_iSD_SD_
	.globl	_Z39paged_attention_ll4mi_QKV_mfma16_kernelI14__hip_bfloat16S0_LN4vllm18Fp8KVCacheDataTypeE0EhLi16ELi64ELi256ELb1ELi12EL8MFMAType0EEvPKT_PKT0_S9_ifPKiSB_SB_iPKfiiiPfSE_PS4_PT2_iSD_SD_
	.p2align	8
	.type	_Z39paged_attention_ll4mi_QKV_mfma16_kernelI14__hip_bfloat16S0_LN4vllm18Fp8KVCacheDataTypeE0EhLi16ELi64ELi256ELb1ELi12EL8MFMAType0EEvPKT_PKT0_S9_ifPKiSB_SB_iPKfiiiPfSE_PS4_PT2_iSD_SD_,@function
_Z39paged_attention_ll4mi_QKV_mfma16_kernelI14__hip_bfloat16S0_LN4vllm18Fp8KVCacheDataTypeE0EhLi16ELi64ELi256ELb1ELi12EL8MFMAType0EEvPKT_PKT0_S9_ifPKiSB_SB_iPKfiiiPfSE_PS4_PT2_iSD_SD_: ; @_Z39paged_attention_ll4mi_QKV_mfma16_kernelI14__hip_bfloat16S0_LN4vllm18Fp8KVCacheDataTypeE0EhLi16ELi64ELi256ELb1ELi12EL8MFMAType0EEvPKT_PKT0_S9_ifPKiSB_SB_iPKfiiiPfSE_PS4_PT2_iSD_SD_
; %bb.0:
	s_load_b64 s[2:3], s[0:1], 0x30
	s_mov_b32 s30, s13
	s_waitcnt lgkmcnt(0)
	s_cmp_lg_u64 s[2:3], 0
	s_cselect_b32 s6, -1, 0
	s_ashr_i32 s31, s13, 31
	s_cmp_eq_u64 s[2:3], 0
	s_cbranch_scc1 .LBB397_3
; %bb.1:
	s_lshl_b64 s[4:5], s[30:31], 2
	s_delay_alu instid0(SALU_CYCLE_1) | instskip(SKIP_4) | instid1(SALU_CYCLE_1)
	s_add_u32 s4, s2, s4
	s_addc_u32 s5, s3, s5
	s_load_b64 s[4:5], s[4:5], 0x0
	s_waitcnt lgkmcnt(0)
	s_sub_i32 s4, s5, s4
	s_cmp_eq_u32 s4, 1
	s_cselect_b32 s4, -1, 0
	s_delay_alu instid0(SALU_CYCLE_1)
	s_and_not1_b32 vcc_lo, exec_lo, s4
	s_cbranch_vccz .LBB397_4
.LBB397_2:
	s_endpgm
.LBB397_3:
.LBB397_4:
	s_load_b64 s[8:9], s[0:1], 0x28
	s_lshl_b64 s[4:5], s[30:31], 2
	s_waitcnt lgkmcnt(0)
	s_add_u32 s8, s8, s4
	s_addc_u32 s9, s9, s5
	s_lshl_b32 s34, s14, 8
	s_load_b32 s33, s[8:9], 0x0
	s_waitcnt lgkmcnt(0)
	s_cmp_ge_i32 s34, s33
	s_cbranch_scc1 .LBB397_2
; %bb.5:
	s_clause 0x1
	s_load_b128 s[8:11], s[0:1], 0x8
	s_load_b64 s[12:13], s[0:1], 0x20
	s_and_not1_b32 vcc_lo, exec_lo, s6
	s_cbranch_vccnz .LBB397_7
; %bb.6:
	s_add_u32 s2, s2, s4
	s_addc_u32 s3, s3, s5
	s_load_b32 s3, s[2:3], 0x0
	s_branch .LBB397_8
.LBB397_7:
	s_mov_b32 s3, s30
.LBB397_8:
	s_load_b128 s[4:7], s[0:1], 0x48
	v_and_b32_e32 v148, 15, v0
	v_cmp_gt_u32_e32 vcc_lo, 0xc0, v0
	v_lshrrev_b32_e32 v149, 5, v0
	v_and_b32_e32 v150, 31, v0
	v_and_b32_e32 v147, 1, v0
	v_lshlrev_b32_e32 v1, 3, v148
	v_cmp_gt_u32_e64 s2, 8, v148
	v_bfe_u32 v146, v0, 4, 1
	s_mul_i32 s31, s15, 12
	s_delay_alu instid0(VALU_DEP_3) | instskip(NEXT) | instid1(VALU_DEP_3)
	v_lshlrev_b32_e32 v145, 1, v1
	s_and_b32 s16, vcc_lo, s2
	s_waitcnt lgkmcnt(0)
	s_and_saveexec_b32 s7, s16
	s_cbranch_execz .LBB397_10
; %bb.9:
	s_load_b64 s[16:17], s[0:1], 0x0
	v_lshl_or_b32 v5, v149, 1, v146
	s_mul_hi_i32 s19, s3, s4
	s_mul_i32 s18, s3, s4
	v_lshlrev_b32_e32 v6, 10, v148
	s_lshl_b64 s[18:19], s[18:19], 1
	v_add_lshl_u32 v1, v5, s31, 6
	v_lshlrev_b32_e32 v5, 6, v5
	v_lshlrev_b32_e32 v7, 10, v147
	v_and_b32_e32 v6, 0x3800, v6
	s_delay_alu instid0(VALU_DEP_4) | instskip(NEXT) | instid1(VALU_DEP_2)
	v_ashrrev_i32_e32 v2, 31, v1
	v_or3_b32 v5, v6, v7, v5
	s_delay_alu instid0(VALU_DEP_2) | instskip(SKIP_3) | instid1(VALU_DEP_1)
	v_lshlrev_b64 v[1:2], 1, v[1:2]
	s_waitcnt lgkmcnt(0)
	s_add_u32 s3, s16, s18
	s_addc_u32 s4, s17, s19
	v_add_co_u32 v1, vcc_lo, s3, v1
	s_delay_alu instid0(VALU_DEP_2) | instskip(NEXT) | instid1(VALU_DEP_2)
	v_add_co_ci_u32_e32 v2, vcc_lo, s4, v2, vcc_lo
	v_add_co_u32 v1, vcc_lo, v1, v145
	s_delay_alu instid0(VALU_DEP_2)
	v_add_co_ci_u32_e32 v2, vcc_lo, 0, v2, vcc_lo
	global_load_b128 v[1:4], v[1:2], off
	s_waitcnt vmcnt(0)
	ds_store_b128 v5, v[1:4]
.LBB397_10:
	s_or_b32 exec_lo, exec_lo, s7
	s_mov_b32 s40, 0
	s_add_i32 s3, s33, 15
	s_mov_b32 s41, s40
	s_mov_b32 s42, s40
	;; [unrolled: 1-line block ×7, first 2 shown]
	s_delay_alu instid0(SALU_CYCLE_1)
	v_dual_mov_b32 v144, s47 :: v_dual_and_b32 v1, 0xef, v0
	v_mov_b32_e32 v142, s45
	s_ashr_i32 s7, s3, 31
	s_clause 0x1
	s_load_b32 s4, s[0:1], 0x38
	s_load_b32 s35, s[0:1], 0x1c
	v_add_nc_u32_e32 v1, s34, v1
	s_lshr_b32 s7, s7, 28
	s_waitcnt lgkmcnt(0)
	s_add_i32 s3, s3, s7
	s_barrier
	v_ashrrev_i32_e32 v2, 31, v1
	v_or_b32_e32 v3, 16, v1
	s_ashr_i32 s3, s3, 4
	v_cmp_gt_i32_e32 vcc_lo, s33, v1
	s_add_i32 s3, s3, -1
	v_lshrrev_b32_e32 v2, 28, v2
	v_mov_b32_e32 v143, s46
	buffer_gl0_inv
	s_mul_i32 s6, s15, s6
	v_add_nc_u32_e32 v21, -12, v148
	v_dual_mov_b32 v141, s44 :: v_dual_add_nc_u32 v4, v1, v2
	v_mov_b32_e32 v139, s42
	s_mul_i32 s16, s30, s4
	v_mov_b32_e32 v137, s40
	s_delay_alu instid0(VALU_DEP_3)
	v_ashrrev_i32_e32 v4, 4, v4
	v_add_nc_u32_e32 v2, v3, v2
	v_lshlrev_b32_e32 v22, 5, v148
	s_ashr_i32 s17, s16, 31
	v_mov_b32_e32 v140, s43
	v_cndmask_b32_e32 v1, s3, v4, vcc_lo
	v_ashrrev_i32_e32 v2, 4, v2
	v_cmp_gt_i32_e32 vcc_lo, s33, v3
	s_lshl_b64 s[16:17], s[16:17], 2
	v_lshl_or_b32 v22, v149, 9, v22
	s_add_u32 s4, s12, s16
	s_addc_u32 s36, s13, s17
	v_cndmask_b32_e32 v3, s3, v2, vcc_lo
	v_ashrrev_i32_e32 v2, 31, v1
	s_ashr_i32 s7, s6, 31
	v_mov_b32_e32 v138, s41
	s_lshl_b64 s[6:7], s[6:7], 1
	v_ashrrev_i32_e32 v4, 31, v3
	v_lshlrev_b64 v[1:2], 2, v[1:2]
	s_add_u32 s24, s8, s6
	s_addc_u32 s25, s9, s7
	s_lshl_b32 s8, s14, 4
	v_lshlrev_b64 v[3:4], 2, v[3:4]
	s_ashr_i32 s9, s8, 31
	v_add_co_u32 v1, vcc_lo, s4, v1
	v_add_co_ci_u32_e32 v2, vcc_lo, s36, v2, vcc_lo
	s_delay_alu instid0(VALU_DEP_3) | instskip(NEXT) | instid1(VALU_DEP_4)
	v_add_co_u32 v3, vcc_lo, s4, v3
	v_add_co_ci_u32_e32 v4, vcc_lo, s36, v4, vcc_lo
	s_clause 0x1
	global_load_b32 v5, v[1:2], off
	global_load_b32 v6, v[3:4], off
	s_lshl_b64 s[8:9], s[8:9], 2
	v_lshlrev_b32_e32 v3, 4, v0
	s_add_u32 s8, s4, s8
	s_addc_u32 s9, s36, s9
	s_or_b32 s12, s34, 16
	s_delay_alu instid0(SALU_CYCLE_1) | instskip(SKIP_2) | instid1(SALU_CYCLE_1)
	s_ashr_i32 s13, s12, 4
	s_cmp_lt_i32 s12, s33
	s_cselect_b32 s12, s13, s3
	s_ashr_i32 s13, s12, 31
	s_delay_alu instid0(SALU_CYCLE_1) | instskip(NEXT) | instid1(SALU_CYCLE_1)
	s_lshl_b64 s[12:13], s[12:13], 2
	s_add_u32 s12, s4, s12
	s_addc_u32 s13, s36, s13
	s_or_b32 s15, s34, 32
	s_delay_alu instid0(SALU_CYCLE_1) | instskip(SKIP_2) | instid1(SALU_CYCLE_1)
	s_ashr_i32 s16, s15, 4
	s_cmp_lt_i32 s15, s33
	s_cselect_b32 s16, s16, s3
	s_ashr_i32 s17, s16, 31
	s_delay_alu instid0(SALU_CYCLE_1) | instskip(NEXT) | instid1(SALU_CYCLE_1)
	s_lshl_b64 s[16:17], s[16:17], 2
	;; [unrolled: 10-line block ×5, first 2 shown]
	s_add_u32 s22, s4, s22
	s_addc_u32 s23, s36, s23
	s_clause 0x5
	s_load_b32 s8, s[8:9], 0x0
	s_load_b32 s12, s[12:13], 0x0
	;; [unrolled: 1-line block ×6, first 2 shown]
	s_waitcnt lgkmcnt(0)
	s_mul_hi_i32 s17, s16, s5
	s_mul_i32 s16, s16, s5
	s_waitcnt vmcnt(1)
	v_mad_i64_i32 v[1:2], null, v5, s5, 0
	v_and_b32_e32 v5, 0xf0, v3
	s_waitcnt vmcnt(0)
	v_mad_i64_i32 v[3:4], null, v6, s5, 0
	s_delay_alu instid0(VALU_DEP_2) | instskip(NEXT) | instid1(VALU_DEP_4)
	v_add_co_u32 v5, s9, s24, v5
	v_lshlrev_b64 v[1:2], 1, v[1:2]
	v_add_co_ci_u32_e64 v6, null, s25, 0, s9
	s_delay_alu instid0(VALU_DEP_4) | instskip(SKIP_1) | instid1(VALU_DEP_3)
	v_lshlrev_b64 v[3:4], 1, v[3:4]
	s_or_b32 s9, s34, 0x60
	v_add_co_u32 v19, vcc_lo, v5, v1
	s_delay_alu instid0(VALU_DEP_3) | instskip(NEXT) | instid1(VALU_DEP_3)
	v_add_co_ci_u32_e32 v20, vcc_lo, v6, v2, vcc_lo
	v_add_co_u32 v17, vcc_lo, v5, v3
	s_delay_alu instid0(VALU_DEP_4)
	v_add_co_ci_u32_e32 v18, vcc_lo, v6, v4, vcc_lo
	s_clause 0x9
	global_load_b128 v[1:4], v[19:20], off
	global_load_b128 v[5:8], v[19:20], off offset:256
	global_load_b128 v[129:132], v[17:18], off
	global_load_b128 v[133:136], v[17:18], off offset:256
	global_load_b128 v[33:36], v[19:20], off offset:512
	;; [unrolled: 1-line block ×7, first 2 shown]
	v_cmp_gt_u32_e32 vcc_lo, 12, v148
	s_clause 0x1
	global_load_b128 v[151:154], v[17:18], off offset:1024
	global_load_b128 v[155:158], v[17:18], off offset:1280
	s_ashr_i32 s13, s9, 4
	s_cmp_lt_i32 s9, s33
	v_cndmask_b32_e32 v21, v21, v148, vcc_lo
	s_cselect_b32 s22, s13, s3
	s_delay_alu instid0(SALU_CYCLE_1) | instskip(NEXT) | instid1(VALU_DEP_1)
	s_ashr_i32 s23, s22, 31
	v_lshlrev_b32_e32 v197, 6, v21
	ds_load_b128 v[159:162], v197
	ds_load_b128 v[163:166], v197 offset:1024
	s_clause 0x3
	global_load_b128 v[167:170], v[19:20], off offset:1536
	global_load_b128 v[171:174], v[19:20], off offset:1792
	;; [unrolled: 1-line block ×4, first 2 shown]
	s_lshl_b64 s[22:23], s[22:23], 2
	s_delay_alu instid0(SALU_CYCLE_1) | instskip(SKIP_2) | instid1(SALU_CYCLE_1)
	s_add_u32 s22, s4, s22
	s_addc_u32 s23, s36, s23
	s_or_b32 s9, s34, 0x70
	s_ashr_i32 s13, s9, 4
	s_cmp_lt_i32 s9, s33
	s_cselect_b32 s24, s13, s3
	s_delay_alu instid0(SALU_CYCLE_1) | instskip(NEXT) | instid1(SALU_CYCLE_1)
	s_ashr_i32 s25, s24, 31
	s_lshl_b64 s[24:25], s[24:25], 2
	s_delay_alu instid0(SALU_CYCLE_1)
	s_add_u32 s24, s4, s24
	s_addc_u32 s25, s36, s25
	s_or_b32 s9, s34, 0x80
	s_load_b32 s46, s[24:25], 0x0
	s_ashr_i32 s13, s9, 4
	s_cmp_lt_i32 s9, s33
	s_cselect_b32 s26, s13, s3
	s_delay_alu instid0(SALU_CYCLE_1) | instskip(NEXT) | instid1(SALU_CYCLE_1)
	s_ashr_i32 s27, s26, 31
	s_lshl_b64 s[26:27], s[26:27], 2
	s_delay_alu instid0(SALU_CYCLE_1)
	s_add_u32 s26, s4, s26
	s_addc_u32 s27, s36, s27
	s_or_b32 s9, s34, 0x90
	s_load_b32 s47, s[26:27], 0x0
	s_ashr_i32 s13, s9, 4
	s_cmp_lt_i32 s9, s33
	s_cselect_b32 s28, s13, s3
	s_delay_alu instid0(SALU_CYCLE_1) | instskip(NEXT) | instid1(SALU_CYCLE_1)
	s_ashr_i32 s29, s28, 31
	s_lshl_b64 s[28:29], s[28:29], 2
	s_delay_alu instid0(SALU_CYCLE_1) | instskip(SKIP_2) | instid1(SALU_CYCLE_1)
	s_add_u32 s28, s4, s28
	s_addc_u32 s29, s36, s29
	s_or_b32 s9, s34, 0xa0
	s_ashr_i32 s13, s9, 4
	s_cmp_lt_i32 s9, s33
	s_cselect_b32 s38, s13, s3
	s_delay_alu instid0(SALU_CYCLE_1) | instskip(NEXT) | instid1(SALU_CYCLE_1)
	s_ashr_i32 s39, s38, 31
	s_lshl_b64 s[38:39], s[38:39], 2
	s_delay_alu instid0(SALU_CYCLE_1)
	s_add_u32 s38, s4, s38
	s_addc_u32 s39, s36, s39
	s_or_b32 s9, s34, 0xb0
	s_load_b32 s39, s[38:39], 0x0
	s_ashr_i32 s13, s9, 4
	s_cmp_lt_i32 s9, s33
	s_mul_hi_i32 s9, s8, s5
	s_cselect_b32 s40, s13, s3
	s_mul_i32 s8, s8, s5
	s_ashr_i32 s41, s40, 31
	s_mul_hi_i32 s13, s12, s5
	s_lshl_b64 s[40:41], s[40:41], 2
	s_mul_i32 s12, s12, s5
	s_add_u32 s42, s4, s40
	s_addc_u32 s43, s36, s41
	s_or_b32 s19, s34, 0xc0
	s_delay_alu instid0(SALU_CYCLE_1)
	s_ashr_i32 s21, s19, 4
	s_cmp_lt_i32 s19, s33
	s_mul_hi_i32 s19, s18, s5
	s_cselect_b32 s40, s21, s3
	s_mul_i32 s18, s18, s5
	s_ashr_i32 s41, s40, 31
	s_mul_hi_i32 s21, s20, s5
	s_lshl_b64 s[40:41], s[40:41], 2
	s_mul_i32 s20, s20, s5
	s_add_u32 s44, s4, s40
	s_load_b32 s40, s[28:29], 0x0
	s_addc_u32 s45, s36, s41
	s_or_b32 s37, s34, 0xd0
	s_load_b32 s41, s[22:23], 0x0
	s_ashr_i32 s22, s37, 4
	s_cmp_lt_i32 s37, s33
	s_mul_hi_i32 s23, s15, s5
	s_cselect_b32 s24, s22, s3
	s_mul_i32 s22, s15, s5
	s_ashr_i32 s25, s24, 31
	s_waitcnt lgkmcnt(0)
	s_mul_hi_i32 s27, s46, s5
	s_lshl_b64 s[24:25], s[24:25], 2
	s_mul_i32 s26, s46, s5
	s_add_u32 s24, s4, s24
	s_addc_u32 s25, s36, s25
	s_or_b32 s48, s34, 0xe0
	s_clause 0x2
	s_load_b32 s38, s[42:43], 0x0
	s_load_b32 s37, s[44:45], 0x0
	s_load_b32 s15, s[24:25], 0x0
	s_ashr_i32 s49, s48, 4
	s_cmp_lt_i32 s48, s33
	s_mul_hi_i32 s29, s47, s5
	s_cselect_b32 s42, s49, s3
	s_mul_i32 s28, s47, s5
	s_ashr_i32 s43, s42, 31
	s_mul_hi_i32 s25, s41, s5
	s_lshl_b64 s[42:43], s[42:43], 2
	s_mul_i32 s24, s41, s5
	s_add_u32 s42, s4, s42
	s_addc_u32 s43, s36, s43
	s_or_b32 s46, s34, 0xf0
	s_mul_hi_i32 s41, s40, s5
	s_ashr_i32 s47, s46, 4
	s_cmp_lt_i32 s46, s33
	s_mul_i32 s40, s40, s5
	s_cselect_b32 s46, s47, s3
	s_mul_hi_i32 s45, s39, s5
	s_ashr_i32 s47, s46, 31
	s_mul_i32 s44, s39, s5
	s_lshl_b64 s[46:47], s[46:47], 2
	s_waitcnt lgkmcnt(0)
	s_mul_hi_i32 s39, s38, s5
	s_add_u32 s46, s4, s46
	s_addc_u32 s47, s36, s47
	s_add_u32 s3, s10, s6
	s_addc_u32 s4, s11, s7
	v_add_co_u32 v195, s3, s3, v22
	s_delay_alu instid0(VALU_DEP_1) | instskip(SKIP_2) | instid1(VALU_DEP_2)
	v_add_co_ci_u32_e64 v196, null, s4, 0, s3
	s_lshl_b64 s[6:7], s[8:9], 1
	s_lshl_b64 s[8:9], s[12:13], 1
	v_add_co_u32 v17, vcc_lo, v195, s6
	s_delay_alu instid0(VALU_DEP_2)
	v_add_co_ci_u32_e32 v18, vcc_lo, s7, v196, vcc_lo
	v_add_co_u32 v19, vcc_lo, v195, s8
	s_lshl_b64 s[10:11], s[16:17], 1
	v_add_co_ci_u32_e32 v20, vcc_lo, s9, v196, vcc_lo
	v_add_co_u32 v21, vcc_lo, v195, s10
	s_lshl_b64 s[12:13], s[18:19], 1
	;; [unrolled: 3-line block ×9, first 2 shown]
	s_mul_i32 s38, s38, s5
	v_add_co_ci_u32_e32 v54, vcc_lo, s27, v196, vcc_lo
	v_add_co_u32 v183, vcc_lo, v195, s28
	s_mul_hi_i32 s49, s37, s5
	s_mul_i32 s48, s37, s5
	s_lshl_b64 s[36:37], s[38:39], 1
	v_add_co_ci_u32_e32 v184, vcc_lo, s29, v196, vcc_lo
	v_add_co_u32 v185, vcc_lo, v195, s36
	s_lshl_b64 s[38:39], s[48:49], 1
	s_clause 0x1
	s_load_b32 s3, s[42:43], 0x0
	s_load_b32 s4, s[46:47], 0x0
	v_add_co_ci_u32_e32 v186, vcc_lo, s37, v196, vcc_lo
	v_add_co_u32 v191, vcc_lo, v195, s38
	v_add_co_ci_u32_e32 v192, vcc_lo, s39, v196, vcc_lo
	s_clause 0x17
	global_load_b128 v[121:124], v[17:18], off
	global_load_b128 v[125:128], v[17:18], off offset:16
	global_load_b128 v[113:116], v[19:20], off
	global_load_b128 v[117:120], v[19:20], off offset:16
	;; [unrolled: 2-line block ×12, first 2 shown]
	s_mul_hi_i32 s51, s15, s5
	s_mul_i32 s50, s15, s5
	s_delay_alu instid0(SALU_CYCLE_1) | instskip(NEXT) | instid1(SALU_CYCLE_1)
	s_lshl_b64 s[40:41], s[50:51], 1
	v_add_co_u32 v193, vcc_lo, v195, s40
	v_add_co_ci_u32_e32 v194, vcc_lo, s41, v196, vcc_lo
	s_waitcnt lgkmcnt(0)
	s_mul_hi_i32 s7, s3, s5
	s_mul_i32 s6, s3, s5
	s_mul_hi_i32 s9, s4, s5
	s_lshl_b64 s[6:7], s[6:7], 1
	s_mul_i32 s8, s4, s5
	s_delay_alu instid0(SALU_CYCLE_1)
	s_lshl_b64 s[4:5], s[8:9], 1
	s_waitcnt vmcnt(38)
	v_wmma_f32_16x16x16_bf16 v[183:190], v[1:8], v[159:166], v[137:144]
	s_waitcnt vmcnt(36)
	v_wmma_f32_16x16x16_bf16 v[137:144], v[129:136], v[159:166], v[137:144]
	s_clause 0x1
	global_load_b128 v[1:4], v[191:192], off
	global_load_b128 v[5:8], v[191:192], off offset:16
	ds_load_b128 v[129:132], v197 offset:2048
	ds_load_b128 v[133:136], v197 offset:3072
	;; [unrolled: 1-line block ×4, first 2 shown]
	v_add_co_u32 v191, vcc_lo, v195, s6
	v_add_co_ci_u32_e32 v192, vcc_lo, s7, v196, vcc_lo
	v_add_co_u32 v195, vcc_lo, v195, s4
	v_add_co_ci_u32_e32 v196, vcc_lo, s5, v196, vcc_lo
	s_waitcnt vmcnt(36) lgkmcnt(2)
	v_wmma_f32_16x16x16_bf16 v[183:190], v[33:40], v[129:136], v[183:190]
	s_waitcnt vmcnt(34)
	v_wmma_f32_16x16x16_bf16 v[137:144], v[25:32], v[129:136], v[137:144]
	s_clause 0x3
	global_load_b128 v[25:28], v[193:194], off
	global_load_b128 v[29:32], v[193:194], off offset:16
	global_load_b128 v[33:36], v[191:192], off
	global_load_b128 v[37:40], v[191:192], off offset:16
	v_and_b32_e32 v129, 0xe0, v0
	v_mbcnt_lo_u32_b32 v191, -1, 0
	s_waitcnt vmcnt(36) lgkmcnt(0)
	v_wmma_f32_16x16x16_bf16 v[183:190], v[9:16], v[159:166], v[183:190]
	s_clause 0x1
	global_load_b128 v[9:12], v[195:196], off
	global_load_b128 v[13:16], v[195:196], off offset:16
	s_waitcnt vmcnt(36)
	v_wmma_f32_16x16x16_bf16 v[137:144], v[151:158], v[159:166], v[137:144]
	v_add_nc_u32_e32 v192, s34, v129
	ds_load_b128 v[129:132], v197 offset:6144
	ds_load_b128 v[133:136], v197 offset:7168
	v_xor_b32_e32 v151, 16, v191
	s_waitcnt vmcnt(0) lgkmcnt(0)
	s_barrier
	v_or_b32_e32 v152, v192, v146
	buffer_gl0_inv
	v_cmp_gt_i32_e32 vcc_lo, 32, v151
	v_or_b32_e32 v153, 2, v152
	v_or_b32_e32 v154, 4, v152
	;; [unrolled: 1-line block ×5, first 2 shown]
	v_cmp_gt_i32_e64 s3, s33, v153
	v_cmp_gt_i32_e64 s4, s33, v154
	;; [unrolled: 1-line block ×3, first 2 shown]
	v_or_b32_e32 v158, 12, v152
	v_or_b32_e32 v159, 14, v152
	v_cmp_gt_i32_e64 s6, s33, v156
	v_wmma_f32_16x16x16_bf16 v[183:190], v[167:174], v[129:136], v[183:190]
	v_wmma_f32_16x16x16_bf16 v[137:144], v[175:182], v[129:136], v[137:144]
	v_cndmask_b32_e32 v151, v191, v151, vcc_lo
	v_cmp_gt_i32_e32 vcc_lo, s33, v152
	v_cmp_gt_i32_e64 s7, s33, v157
	v_dual_mul_f32 v135, s35, v184 :: v_dual_mul_f32 v136, s35, v183
	v_dual_mul_f32 v133, s35, v186 :: v_dual_mul_f32 v134, s35, v185
	;; [unrolled: 1-line block ×3, first 2 shown]
	s_delay_alu instid0(VALU_DEP_3) | instskip(NEXT) | instid1(VALU_DEP_4)
	v_cndmask_b32_e32 v136, 0xff7fffff, v136, vcc_lo
	v_cndmask_b32_e64 v135, 0xff7fffff, v135, s3
	v_mul_f32_e32 v132, s35, v187
	v_cndmask_b32_e64 v134, 0xff7fffff, v134, s4
	v_cndmask_b32_e64 v133, 0xff7fffff, v133, s5
	v_or_b32_e32 v160, 16, v152
	v_max3_f32 v135, v136, 0xff7fffff, v135
	v_or_b32_e32 v161, 18, v152
	v_mul_f32_e32 v130, s35, v189
	v_dual_mul_f32 v172, s35, v140 :: v_dual_mul_f32 v129, s35, v190
	v_cndmask_b32_e64 v132, 0xff7fffff, v132, s6
	v_cndmask_b32_e64 v131, 0xff7fffff, v131, s7
	v_max3_f32 v133, v135, v134, v133
	v_cmp_gt_i32_e64 s8, s33, v158
	v_lshlrev_b32_e32 v158, 2, v151
	v_cmp_gt_i32_e64 s9, s33, v159
	v_or_b32_e32 v162, 20, v152
	v_or_b32_e32 v163, 22, v152
	v_mul_f32_e32 v175, s35, v137
	v_cndmask_b32_e64 v130, 0xff7fffff, v130, s8
	v_cndmask_b32_e64 v129, 0xff7fffff, v129, s9
	v_max3_f32 v131, v133, v132, v131
	v_cmp_gt_i32_e64 s10, s33, v160
	v_cmp_gt_i32_e64 s11, s33, v161
	v_or_b32_e32 v164, 24, v152
	v_or_b32_e32 v165, 26, v152
	v_mul_f32_e32 v173, s35, v139
	v_cndmask_b32_e64 v132, 0xff7fffff, v175, s10
	v_cndmask_b32_e64 v133, 0xff7fffff, v174, s11
	v_max3_f32 v129, v131, v130, v129
	v_cmp_gt_i32_e64 s12, s33, v162
	v_cmp_gt_i32_e64 s13, s33, v163
	v_or_b32_e32 v166, 28, v152
	v_or_b32_e32 v167, 30, v152
	v_dual_mul_f32 v170, s35, v142 :: v_dual_mul_f32 v171, s35, v141
	v_cndmask_b32_e64 v130, 0xff7fffff, v173, s12
	v_cndmask_b32_e64 v131, 0xff7fffff, v172, s13
	v_max3_f32 v129, v129, v132, v133
	v_cmp_gt_i32_e64 s15, s33, v164
	v_cmp_gt_i32_e64 s16, s33, v165
	v_dual_mul_f32 v168, s35, v144 :: v_dual_mul_f32 v169, s35, v143
	s_delay_alu instid0(VALU_DEP_4) | instskip(NEXT) | instid1(VALU_DEP_4)
	v_max3_f32 v129, v129, v130, v131
	v_cndmask_b32_e64 v132, 0xff7fffff, v171, s15
	s_delay_alu instid0(VALU_DEP_4) | instskip(SKIP_2) | instid1(VALU_DEP_3)
	v_cndmask_b32_e64 v133, 0xff7fffff, v170, s16
	v_cmp_gt_i32_e64 s17, s33, v166
	v_cmp_gt_i32_e64 s18, s33, v167
	v_max3_f32 v129, v129, v132, v133
	s_delay_alu instid0(VALU_DEP_3) | instskip(NEXT) | instid1(VALU_DEP_3)
	v_cndmask_b32_e64 v130, 0xff7fffff, v169, s17
	v_cndmask_b32_e64 v131, 0xff7fffff, v168, s18
	s_delay_alu instid0(VALU_DEP_1) | instskip(SKIP_3) | instid1(VALU_DEP_1)
	v_max3_f32 v129, v129, v130, v131
	ds_bpermute_b32 v130, v158, v129
	s_waitcnt lgkmcnt(0)
	v_max_f32_e32 v130, v130, v130
	v_max_f32_e32 v129, v129, v130
	s_delay_alu instid0(VALU_DEP_1)
	v_fma_f32 v130, s35, v183, -v129
	v_fma_f32 v132, s35, v185, -v129
	;; [unrolled: 1-line block ×5, first 2 shown]
	v_mul_f32_e32 v130, 0x3fb8aa3b, v130
	v_mul_f32_e32 v132, 0x3fb8aa3b, v132
	;; [unrolled: 1-line block ×3, first 2 shown]
	v_fma_f32 v135, s35, v189, -v129
	s_delay_alu instid0(VALU_DEP_4) | instskip(NEXT) | instid1(VALU_DEP_3)
	v_exp_f32_e32 v130, v130
	v_exp_f32_e32 v132, v132
	s_delay_alu instid0(VALU_DEP_2) | instskip(NEXT) | instid1(TRANS32_DEP_3)
	v_exp_f32_e32 v134, v134
	v_cndmask_b32_e32 v152, 0, v130, vcc_lo
	v_fma_f32 v130, s35, v188, -v129
	s_waitcnt_depctr 0xfff
	v_cndmask_b32_e64 v153, 0, v132, s4
	v_fma_f32 v132, s35, v190, -v129
	v_mul_f32_e32 v131, 0x3fb8aa3b, v131
	v_cndmask_b32_e64 v155, 0, v134, s6
	v_dual_mul_f32 v130, 0x3fb8aa3b, v130 :: v_dual_mul_f32 v133, 0x3fb8aa3b, v133
	s_delay_alu instid0(VALU_DEP_4) | instskip(NEXT) | instid1(VALU_DEP_4)
	v_mul_f32_e32 v132, 0x3fb8aa3b, v132
	v_exp_f32_e32 v131, v131
	v_fma_f32 v134, s35, v138, -v129
	s_delay_alu instid0(VALU_DEP_3) | instskip(SKIP_2) | instid1(VALU_DEP_1)
	v_exp_f32_e32 v130, v130
	v_exp_f32_e32 v133, v133
	;; [unrolled: 1-line block ×3, first 2 shown]
	v_mul_f32_e32 v134, 0x3fb8aa3b, v134
	v_cndmask_b32_e64 v151, 0, v131, s3
	v_add_f32_e32 v131, 0, v152
	s_delay_alu instid0(TRANS32_DEP_3)
	v_cndmask_b32_e64 v156, 0, v130, s7
	s_waitcnt_depctr 0xfff
	v_cndmask_b32_e64 v154, 0, v133, s5
	v_fma_f32 v133, s35, v137, -v129
	v_exp_f32_e32 v134, v134
	v_add_f32_e32 v131, v131, v151
	s_mov_b32 s3, exec_lo
	s_delay_alu instid0(VALU_DEP_1) | instskip(NEXT) | instid1(VALU_DEP_1)
	v_add_f32_e32 v131, v131, v153
	v_add_f32_e32 v131, v131, v154
	s_delay_alu instid0(VALU_DEP_1) | instskip(SKIP_2) | instid1(VALU_DEP_3)
	v_add_f32_e32 v130, v131, v155
	v_fma_f32 v131, s35, v139, -v129
	v_fma_f32 v139, s35, v144, -v129
	v_dual_add_f32 v130, v130, v156 :: v_dual_mul_f32 v135, 0x3fb8aa3b, v135
	s_delay_alu instid0(VALU_DEP_1)
	v_exp_f32_e32 v135, v135
	s_waitcnt_depctr 0xfff
	v_cndmask_b32_e64 v157, 0, v135, s8
	v_fma_f32 v135, s35, v140, -v129
	v_cndmask_b32_e64 v140, 0, v132, s9
	v_fma_f32 v132, s35, v141, -v129
	s_delay_alu instid0(VALU_DEP_1) | instskip(SKIP_1) | instid1(VALU_DEP_2)
	v_dual_add_f32 v130, v130, v157 :: v_dual_mul_f32 v137, 0x3fb8aa3b, v132
	v_cndmask_b32_e64 v132, 0, v134, s11
	v_dual_add_f32 v130, v130, v140 :: v_dual_mul_f32 v133, 0x3fb8aa3b, v133
	v_mul_f32_e32 v131, 0x3fb8aa3b, v131
	v_fma_f32 v134, s35, v143, -v129
	v_mul_f32_e32 v135, 0x3fb8aa3b, v135
	s_delay_alu instid0(VALU_DEP_4) | instskip(NEXT) | instid1(VALU_DEP_3)
	v_exp_f32_e32 v133, v133
	v_exp_f32_e32 v136, v131
	s_waitcnt_depctr 0xfff
	v_cndmask_b32_e64 v131, 0, v133, s10
	v_fma_f32 v133, s35, v142, -v129
	s_delay_alu instid0(VALU_DEP_2) | instskip(NEXT) | instid1(VALU_DEP_2)
	v_add_f32_e32 v130, v130, v131
	v_mul_f32_e32 v138, 0x3fb8aa3b, v133
	v_cndmask_b32_e64 v133, 0, v136, s12
	v_mul_f32_e32 v136, 0x3fb8aa3b, v134
	v_exp_f32_e32 v135, v135
	v_add_f32_e32 v130, v130, v132
	v_exp_f32_e32 v138, v138
	s_delay_alu instid0(VALU_DEP_2) | instskip(NEXT) | instid1(VALU_DEP_1)
	v_exp_f32_e32 v141, v136
	v_add_f32_e32 v130, v130, v133
	v_exp_f32_e32 v137, v137
	v_cndmask_b32_e64 v134, 0, v135, s13
	s_delay_alu instid0(TRANS32_DEP_3) | instskip(NEXT) | instid1(VALU_DEP_2)
	v_cndmask_b32_e64 v136, 0, v138, s16
	v_add_f32_e32 v130, v130, v134
	s_waitcnt_depctr 0xfff
	v_cndmask_b32_e64 v135, 0, v137, s15
	v_mul_f32_e32 v137, 0x3fb8aa3b, v139
	s_delay_alu instid0(VALU_DEP_2) | instskip(NEXT) | instid1(VALU_DEP_2)
	v_add_f32_e32 v130, v130, v135
	v_exp_f32_e32 v138, v137
	v_cndmask_b32_e64 v137, 0, v141, s17
	s_delay_alu instid0(VALU_DEP_2) | instskip(NEXT) | instid1(VALU_DEP_1)
	v_add_f32_e32 v130, v130, v136
	v_add_f32_e32 v130, v130, v137
	s_waitcnt_depctr 0xfff
	v_cndmask_b32_e64 v138, 0, v138, s18
	s_delay_alu instid0(VALU_DEP_1)
	v_add_f32_e32 v130, v130, v138
	ds_bpermute_b32 v139, v158, v130
	v_cmpx_gt_u32_e32 16, v150
	s_cbranch_execz .LBB397_12
; %bb.11:
	v_mul_u32_u24_e32 v141, 0x44, v149
	s_delay_alu instid0(VALU_DEP_1) | instskip(SKIP_1) | instid1(VALU_DEP_1)
	v_lshl_add_u32 v141, v148, 2, v141
	s_waitcnt lgkmcnt(0)
	v_dual_add_f32 v130, v130, v139 :: v_dual_add_nc_u32 v139, 0x4000, v141
	ds_store_2addr_b32 v139, v129, v130 offset1:136
.LBB397_12:
	s_or_b32 exec_lo, exec_lo, s3
	v_lshlrev_b32_e32 v129, 2, v148
	s_waitcnt lgkmcnt(0)
	s_barrier
	buffer_gl0_inv
	v_cmp_eq_u32_e64 s3, 1, v149
	v_add_nc_u32_e32 v139, 0x4000, v129
	ds_load_2addr_b32 v[141:142], v139 offset1:17
	ds_load_2addr_b32 v[143:144], v139 offset0:34 offset1:51
	ds_load_2addr_b32 v[158:159], v139 offset0:68 offset1:85
	;; [unrolled: 1-line block ×4, first 2 shown]
	s_waitcnt lgkmcnt(4)
	v_max3_f32 v129, v141, 0xff7fffff, v142
	s_waitcnt lgkmcnt(3)
	s_delay_alu instid0(VALU_DEP_1) | instskip(SKIP_1) | instid1(VALU_DEP_1)
	v_max3_f32 v129, v129, v143, v144
	s_waitcnt lgkmcnt(2)
	v_max3_f32 v129, v129, v158, v159
	s_waitcnt lgkmcnt(1)
	s_delay_alu instid0(VALU_DEP_1) | instskip(NEXT) | instid1(VALU_DEP_1)
	v_max3_f32 v129, v129, v160, v161
	v_sub_f32_e32 v158, v158, v129
	s_delay_alu instid0(VALU_DEP_1) | instskip(NEXT) | instid1(VALU_DEP_1)
	v_dual_sub_f32 v150, v142, v129 :: v_dual_mul_f32 v167, 0x3fb8aa3b, v158
	v_dual_sub_f32 v143, v143, v129 :: v_dual_mul_f32 v150, 0x3fb8aa3b, v150
	s_delay_alu instid0(VALU_DEP_1) | instskip(NEXT) | instid1(VALU_DEP_2)
	v_dual_sub_f32 v130, v141, v129 :: v_dual_mul_f32 v165, 0x3fb8aa3b, v143
	v_exp_f32_e32 v150, v150
	s_delay_alu instid0(VALU_DEP_1) | instskip(NEXT) | instid1(VALU_DEP_2)
	v_mul_f32_e32 v130, 0x3fb8aa3b, v130
	v_exp_f32_e32 v165, v165
	s_delay_alu instid0(VALU_DEP_1) | instskip(SKIP_1) | instid1(VALU_DEP_1)
	v_exp_f32_e32 v164, v130
	v_sub_f32_e32 v130, v144, v129
	v_mul_f32_e32 v166, 0x3fb8aa3b, v130
	s_waitcnt lgkmcnt(0)
	s_waitcnt_depctr 0xfff
	v_fma_f32 v130, v164, v162, 0
	v_sub_f32_e32 v162, v159, v129
	s_delay_alu instid0(VALU_DEP_2)
	v_fmac_f32_e32 v130, v150, v163
	ds_load_2addr_b32 v[141:142], v139 offset0:170 offset1:187
	ds_load_2addr_b32 v[143:144], v139 offset0:204 offset1:221
	;; [unrolled: 1-line block ×3, first 2 shown]
	v_sub_f32_e32 v139, v160, v129
	v_exp_f32_e32 v166, v166
	v_mul_f32_e32 v160, 0x3fb8aa3b, v162
	v_exp_f32_e32 v162, v167
	v_cndmask_b32_e64 v150, v164, v150, s3
	v_mul_f32_e32 v139, 0x3fb8aa3b, v139
	v_cmp_eq_u32_e64 s3, 2, v149
	s_waitcnt lgkmcnt(0)
	s_barrier
	buffer_gl0_inv
	v_exp_f32_e32 v139, v139
	v_cndmask_b32_e64 v150, v150, v165, s3
	v_cmp_eq_u32_e64 s3, 3, v149
	v_fmac_f32_e32 v130, v165, v141
	v_sub_f32_e32 v141, v161, v129
	v_exp_f32_e32 v160, v160
	s_delay_alu instid0(VALU_DEP_3) | instskip(SKIP_1) | instid1(VALU_DEP_3)
	v_cndmask_b32_e64 v150, v150, v166, s3
	v_cmp_eq_u32_e64 s3, 4, v149
	v_dual_fmac_f32 v130, v166, v142 :: v_dual_mul_f32 v141, 0x3fb8aa3b, v141
	s_delay_alu instid0(VALU_DEP_2) | instskip(SKIP_1) | instid1(VALU_DEP_3)
	v_cndmask_b32_e64 v150, v150, v162, s3
	v_cmp_eq_u32_e64 s3, 5, v149
	v_exp_f32_e32 v141, v141
	s_delay_alu instid0(VALU_DEP_3)
	v_fmac_f32_e32 v130, v162, v143
	s_delay_alu instid0(TRANS32_DEP_2) | instid1(VALU_DEP_2)
	v_cndmask_b32_e64 v150, v150, v160, s3
	s_delay_alu instid0(VALU_DEP_2) | instskip(NEXT) | instid1(VALU_DEP_1)
	v_fmac_f32_e32 v130, v160, v144
	v_fmac_f32_e32 v130, v139, v158
	s_waitcnt_depctr 0xfff
	v_fmac_f32_e32 v130, v141, v159
	s_delay_alu instid0(VALU_DEP_1) | instskip(NEXT) | instid1(VALU_DEP_1)
	v_add_f32_e32 v142, 0x358637bd, v130
	v_div_scale_f32 v143, null, v142, v142, 1.0
	v_div_scale_f32 v159, vcc_lo, 1.0, v142, 1.0
	s_delay_alu instid0(VALU_DEP_2) | instskip(SKIP_2) | instid1(VALU_DEP_1)
	v_rcp_f32_e32 v144, v143
	s_waitcnt_depctr 0xfff
	v_fma_f32 v158, -v143, v144, 1.0
	v_fmac_f32_e32 v144, v158, v144
	s_delay_alu instid0(VALU_DEP_1) | instskip(NEXT) | instid1(VALU_DEP_1)
	v_mul_f32_e32 v158, v159, v144
	v_fma_f32 v161, -v143, v158, v159
	s_delay_alu instid0(VALU_DEP_1) | instskip(NEXT) | instid1(VALU_DEP_1)
	v_fmac_f32_e32 v158, v161, v144
	v_fma_f32 v143, -v143, v158, v159
	s_delay_alu instid0(VALU_DEP_1) | instskip(SKIP_1) | instid1(VALU_DEP_2)
	v_div_fmas_f32 v143, v143, v144, v158
	v_cmp_eq_u32_e32 vcc_lo, 6, v149
	v_div_fixup_f32 v142, v143, v142, 1.0
	v_cndmask_b32_e32 v139, v150, v139, vcc_lo
	v_cmp_eq_u32_e32 vcc_lo, 7, v149
	s_delay_alu instid0(VALU_DEP_2) | instskip(NEXT) | instid1(VALU_DEP_1)
	v_cndmask_b32_e32 v139, v139, v141, vcc_lo
	v_mul_f32_e32 v139, v139, v142
	s_delay_alu instid0(VALU_DEP_1) | instskip(SKIP_4) | instid1(VALU_DEP_4)
	v_mul_f32_e32 v153, v139, v153
	v_mul_f32_e32 v142, v139, v152
	;; [unrolled: 1-line block ×5, first 2 shown]
	v_dual_mul_f32 v152, v139, v155 :: v_dual_and_b32 v141, 0x7f800000, v142
	v_mul_f32_e32 v154, v139, v154
	v_mul_f32_e32 v144, v139, v151
	s_delay_alu instid0(VALU_DEP_3) | instskip(SKIP_1) | instid1(SALU_CYCLE_1)
	v_cmp_ne_u32_e32 vcc_lo, 0x7f800000, v141
                                        ; implicit-def: $vgpr141
	s_and_saveexec_b32 s3, vcc_lo
	s_xor_b32 s3, exec_lo, s3
; %bb.13:
	v_bfe_u32 v141, v142, 16, 1
	s_delay_alu instid0(VALU_DEP_1)
	v_add3_u32 v141, v142, v141, 0x7fff
                                        ; implicit-def: $vgpr142
; %bb.14:
	s_and_not1_saveexec_b32 s3, s3
; %bb.15:
	v_and_b32_e32 v141, 0xffff, v142
	v_or_b32_e32 v151, 0x10000, v142
	s_delay_alu instid0(VALU_DEP_2) | instskip(NEXT) | instid1(VALU_DEP_2)
	v_cmp_eq_u32_e32 vcc_lo, 0, v141
	v_cndmask_b32_e32 v141, v151, v142, vcc_lo
; %bb.16:
	s_or_b32 exec_lo, exec_lo, s3
	v_and_b32_e32 v142, 0x7f800000, v144
	s_delay_alu instid0(VALU_DEP_1) | instskip(SKIP_1) | instid1(SALU_CYCLE_1)
	v_cmp_ne_u32_e32 vcc_lo, 0x7f800000, v142
                                        ; implicit-def: $vgpr142
	s_and_saveexec_b32 s3, vcc_lo
	s_xor_b32 s3, exec_lo, s3
; %bb.17:
	v_bfe_u32 v142, v144, 16, 1
	s_delay_alu instid0(VALU_DEP_1)
	v_add3_u32 v142, v144, v142, 0x7fff
                                        ; implicit-def: $vgpr144
; %bb.18:
	s_and_not1_saveexec_b32 s3, s3
; %bb.19:
	v_and_b32_e32 v142, 0xffff, v144
	v_or_b32_e32 v151, 0x10000, v144
	s_delay_alu instid0(VALU_DEP_2) | instskip(NEXT) | instid1(VALU_DEP_2)
	v_cmp_eq_u32_e32 vcc_lo, 0, v142
	v_cndmask_b32_e32 v142, v151, v144, vcc_lo
; %bb.20:
	s_or_b32 exec_lo, exec_lo, s3
	v_and_b32_e32 v144, 0x7f800000, v153
	s_delay_alu instid0(VALU_DEP_1) | instskip(SKIP_1) | instid1(SALU_CYCLE_1)
	v_cmp_ne_u32_e32 vcc_lo, 0x7f800000, v144
                                        ; implicit-def: $vgpr144
	s_and_saveexec_b32 s3, vcc_lo
	s_xor_b32 s3, exec_lo, s3
; %bb.21:
	v_bfe_u32 v144, v153, 16, 1
	s_delay_alu instid0(VALU_DEP_1)
	v_add3_u32 v144, v153, v144, 0x7fff
                                        ; implicit-def: $vgpr153
; %bb.22:
	s_and_not1_saveexec_b32 s3, s3
; %bb.23:
	v_and_b32_e32 v144, 0xffff, v153
	v_or_b32_e32 v151, 0x10000, v153
	s_delay_alu instid0(VALU_DEP_2) | instskip(NEXT) | instid1(VALU_DEP_2)
	v_cmp_eq_u32_e32 vcc_lo, 0, v144
	v_cndmask_b32_e32 v144, v151, v153, vcc_lo
; %bb.24:
	s_or_b32 exec_lo, exec_lo, s3
	v_and_b32_e32 v151, 0x7f800000, v154
	s_delay_alu instid0(VALU_DEP_1) | instskip(SKIP_1) | instid1(SALU_CYCLE_1)
	v_cmp_ne_u32_e32 vcc_lo, 0x7f800000, v151
                                        ; implicit-def: $vgpr151
	s_and_saveexec_b32 s3, vcc_lo
	s_xor_b32 s3, exec_lo, s3
; %bb.25:
	v_bfe_u32 v151, v154, 16, 1
	s_delay_alu instid0(VALU_DEP_1)
	v_add3_u32 v151, v154, v151, 0x7fff
                                        ; implicit-def: $vgpr154
; %bb.26:
	s_and_not1_saveexec_b32 s3, s3
; %bb.27:
	v_and_b32_e32 v151, 0xffff, v154
	v_or_b32_e32 v153, 0x10000, v154
	s_delay_alu instid0(VALU_DEP_2) | instskip(NEXT) | instid1(VALU_DEP_2)
	v_cmp_eq_u32_e32 vcc_lo, 0, v151
	v_cndmask_b32_e32 v151, v153, v154, vcc_lo
; %bb.28:
	s_or_b32 exec_lo, exec_lo, s3
	v_and_b32_e32 v153, 0x7f800000, v152
	s_delay_alu instid0(VALU_DEP_1) | instskip(SKIP_1) | instid1(SALU_CYCLE_1)
	v_cmp_ne_u32_e32 vcc_lo, 0x7f800000, v153
                                        ; implicit-def: $vgpr153
	s_and_saveexec_b32 s3, vcc_lo
	s_xor_b32 s3, exec_lo, s3
; %bb.29:
	v_bfe_u32 v153, v152, 16, 1
	s_delay_alu instid0(VALU_DEP_1)
	v_add3_u32 v153, v152, v153, 0x7fff
                                        ; implicit-def: $vgpr152
; %bb.30:
	s_and_not1_saveexec_b32 s3, s3
; %bb.31:
	v_and_b32_e32 v153, 0xffff, v152
	v_or_b32_e32 v154, 0x10000, v152
	s_delay_alu instid0(VALU_DEP_2) | instskip(NEXT) | instid1(VALU_DEP_2)
	v_cmp_eq_u32_e32 vcc_lo, 0, v153
	v_cndmask_b32_e32 v153, v154, v152, vcc_lo
; %bb.32:
	s_or_b32 exec_lo, exec_lo, s3
	v_and_b32_e32 v152, 0x7f800000, v150
	s_delay_alu instid0(VALU_DEP_1) | instskip(SKIP_1) | instid1(SALU_CYCLE_1)
	v_cmp_ne_u32_e32 vcc_lo, 0x7f800000, v152
                                        ; implicit-def: $vgpr152
	s_and_saveexec_b32 s3, vcc_lo
	s_xor_b32 s3, exec_lo, s3
; %bb.33:
	v_bfe_u32 v152, v150, 16, 1
	s_delay_alu instid0(VALU_DEP_1)
	v_add3_u32 v152, v150, v152, 0x7fff
                                        ; implicit-def: $vgpr150
; %bb.34:
	s_and_not1_saveexec_b32 s3, s3
; %bb.35:
	v_and_b32_e32 v152, 0xffff, v150
	v_or_b32_e32 v154, 0x10000, v150
	s_delay_alu instid0(VALU_DEP_2) | instskip(NEXT) | instid1(VALU_DEP_2)
	v_cmp_eq_u32_e32 vcc_lo, 0, v152
	v_cndmask_b32_e32 v152, v154, v150, vcc_lo
; %bb.36:
	s_or_b32 exec_lo, exec_lo, s3
	v_and_b32_e32 v150, 0x7f800000, v143
	s_delay_alu instid0(VALU_DEP_1) | instskip(SKIP_1) | instid1(SALU_CYCLE_1)
	v_cmp_ne_u32_e32 vcc_lo, 0x7f800000, v150
                                        ; implicit-def: $vgpr150
	s_and_saveexec_b32 s3, vcc_lo
	s_xor_b32 s3, exec_lo, s3
; %bb.37:
	v_bfe_u32 v150, v143, 16, 1
	s_delay_alu instid0(VALU_DEP_1)
	v_add3_u32 v150, v143, v150, 0x7fff
                                        ; implicit-def: $vgpr143
; %bb.38:
	s_and_not1_saveexec_b32 s3, s3
; %bb.39:
	v_and_b32_e32 v150, 0xffff, v143
	v_or_b32_e32 v154, 0x10000, v143
	s_delay_alu instid0(VALU_DEP_2) | instskip(NEXT) | instid1(VALU_DEP_2)
	v_cmp_eq_u32_e32 vcc_lo, 0, v150
	v_cndmask_b32_e32 v150, v154, v143, vcc_lo
; %bb.40:
	s_or_b32 exec_lo, exec_lo, s3
	v_and_b32_e32 v143, 0x7f800000, v140
	s_delay_alu instid0(VALU_DEP_1) | instskip(SKIP_1) | instid1(SALU_CYCLE_1)
	v_cmp_ne_u32_e32 vcc_lo, 0x7f800000, v143
                                        ; implicit-def: $vgpr143
	s_and_saveexec_b32 s3, vcc_lo
	s_xor_b32 s3, exec_lo, s3
; %bb.41:
	v_bfe_u32 v143, v140, 16, 1
	s_delay_alu instid0(VALU_DEP_1)
	v_add3_u32 v143, v140, v143, 0x7fff
                                        ; implicit-def: $vgpr140
; %bb.42:
	s_and_not1_saveexec_b32 s3, s3
; %bb.43:
	v_and_b32_e32 v143, 0xffff, v140
	v_or_b32_e32 v154, 0x10000, v140
	s_delay_alu instid0(VALU_DEP_2) | instskip(NEXT) | instid1(VALU_DEP_2)
	v_cmp_eq_u32_e32 vcc_lo, 0, v143
	v_cndmask_b32_e32 v143, v154, v140, vcc_lo
; %bb.44:
	s_or_b32 exec_lo, exec_lo, s3
	s_load_b64 s[34:35], s[0:1], 0x94
	v_dual_mul_f32 v136, v139, v136 :: v_dual_lshlrev_b32 v155, 4, v146
	s_delay_alu instid0(VALU_DEP_2)
	v_perm_b32 v154, v143, v150, 0x7060302
	v_dual_mul_f32 v143, v139, v131 :: v_dual_lshlrev_b32 v140, 6, v148
	v_dual_mul_f32 v135, v139, v135 :: v_dual_lshlrev_b32 v150, 11, v149
	v_perm_b32 v153, v152, v153, 0x7060302
	v_perm_b32 v152, v151, v144, 0x7060302
	;; [unrolled: 1-line block ×3, first 2 shown]
	s_delay_alu instid0(VALU_DEP_4)
	v_or3_b32 v131, v155, v150, v140
	v_mul_f32_e32 v138, v139, v138
	v_dual_mul_f32 v137, v139, v137 :: v_dual_and_b32 v144, 0x7f800000, v143
	v_mul_f32_e32 v141, v139, v134
	v_mul_f32_e32 v142, v139, v133
	;; [unrolled: 1-line block ×3, first 2 shown]
	s_mov_b32 s3, exec_lo
	ds_store_b128 v131, v[151:154]
                                        ; implicit-def: $vgpr132
	v_cmpx_ne_u32_e32 0x7f800000, v144
	s_xor_b32 s3, exec_lo, s3
; %bb.45:
	v_bfe_u32 v132, v143, 16, 1
	s_delay_alu instid0(VALU_DEP_1)
	v_add3_u32 v132, v143, v132, 0x7fff
                                        ; implicit-def: $vgpr143
; %bb.46:
	s_and_not1_saveexec_b32 s3, s3
; %bb.47:
	v_and_b32_e32 v132, 0xffff, v143
	v_or_b32_e32 v133, 0x10000, v143
	s_delay_alu instid0(VALU_DEP_2) | instskip(NEXT) | instid1(VALU_DEP_2)
	v_cmp_eq_u32_e32 vcc_lo, 0, v132
	v_cndmask_b32_e32 v132, v133, v143, vcc_lo
; %bb.48:
	s_or_b32 exec_lo, exec_lo, s3
	v_and_b32_e32 v133, 0x7f800000, v134
	s_delay_alu instid0(VALU_DEP_1) | instskip(SKIP_1) | instid1(SALU_CYCLE_1)
	v_cmp_ne_u32_e32 vcc_lo, 0x7f800000, v133
                                        ; implicit-def: $vgpr133
	s_and_saveexec_b32 s3, vcc_lo
	s_xor_b32 s3, exec_lo, s3
; %bb.49:
	v_bfe_u32 v133, v134, 16, 1
	s_delay_alu instid0(VALU_DEP_1)
	v_add3_u32 v133, v134, v133, 0x7fff
                                        ; implicit-def: $vgpr134
; %bb.50:
	s_and_not1_saveexec_b32 s3, s3
; %bb.51:
	v_and_b32_e32 v133, 0xffff, v134
	v_or_b32_e32 v139, 0x10000, v134
	s_delay_alu instid0(VALU_DEP_2) | instskip(NEXT) | instid1(VALU_DEP_2)
	v_cmp_eq_u32_e32 vcc_lo, 0, v133
	v_cndmask_b32_e32 v133, v139, v134, vcc_lo
; %bb.52:
	s_or_b32 exec_lo, exec_lo, s3
	v_and_b32_e32 v134, 0x7f800000, v142
	s_delay_alu instid0(VALU_DEP_1) | instskip(SKIP_1) | instid1(SALU_CYCLE_1)
	v_cmp_ne_u32_e32 vcc_lo, 0x7f800000, v134
                                        ; implicit-def: $vgpr134
	s_and_saveexec_b32 s3, vcc_lo
	s_xor_b32 s3, exec_lo, s3
; %bb.53:
	v_bfe_u32 v134, v142, 16, 1
	s_delay_alu instid0(VALU_DEP_1)
	v_add3_u32 v134, v142, v134, 0x7fff
                                        ; implicit-def: $vgpr142
; %bb.54:
	s_and_not1_saveexec_b32 s3, s3
; %bb.55:
	v_and_b32_e32 v134, 0xffff, v142
	v_or_b32_e32 v139, 0x10000, v142
	s_delay_alu instid0(VALU_DEP_2) | instskip(NEXT) | instid1(VALU_DEP_2)
	v_cmp_eq_u32_e32 vcc_lo, 0, v134
	v_cndmask_b32_e32 v134, v139, v142, vcc_lo
; %bb.56:
	s_or_b32 exec_lo, exec_lo, s3
	v_and_b32_e32 v139, 0x7f800000, v141
	s_delay_alu instid0(VALU_DEP_1) | instskip(SKIP_1) | instid1(SALU_CYCLE_1)
	v_cmp_ne_u32_e32 vcc_lo, 0x7f800000, v139
                                        ; implicit-def: $vgpr139
	s_and_saveexec_b32 s3, vcc_lo
	s_xor_b32 s3, exec_lo, s3
; %bb.57:
	v_bfe_u32 v139, v141, 16, 1
	s_delay_alu instid0(VALU_DEP_1)
	v_add3_u32 v139, v141, v139, 0x7fff
                                        ; implicit-def: $vgpr141
; %bb.58:
	s_and_not1_saveexec_b32 s3, s3
; %bb.59:
	v_and_b32_e32 v139, 0xffff, v141
	v_or_b32_e32 v142, 0x10000, v141
	s_delay_alu instid0(VALU_DEP_2) | instskip(NEXT) | instid1(VALU_DEP_2)
	v_cmp_eq_u32_e32 vcc_lo, 0, v139
	v_cndmask_b32_e32 v139, v142, v141, vcc_lo
; %bb.60:
	s_or_b32 exec_lo, exec_lo, s3
	v_and_b32_e32 v141, 0x7f800000, v135
	s_delay_alu instid0(VALU_DEP_1) | instskip(SKIP_1) | instid1(SALU_CYCLE_1)
	v_cmp_ne_u32_e32 vcc_lo, 0x7f800000, v141
                                        ; implicit-def: $vgpr141
	s_and_saveexec_b32 s3, vcc_lo
	s_xor_b32 s3, exec_lo, s3
; %bb.61:
	v_bfe_u32 v141, v135, 16, 1
	s_delay_alu instid0(VALU_DEP_1)
	v_add3_u32 v141, v135, v141, 0x7fff
                                        ; implicit-def: $vgpr135
; %bb.62:
	s_and_not1_saveexec_b32 s3, s3
; %bb.63:
	v_and_b32_e32 v141, 0xffff, v135
	v_or_b32_e32 v142, 0x10000, v135
	s_delay_alu instid0(VALU_DEP_2) | instskip(NEXT) | instid1(VALU_DEP_2)
	v_cmp_eq_u32_e32 vcc_lo, 0, v141
	v_cndmask_b32_e32 v141, v142, v135, vcc_lo
; %bb.64:
	s_or_b32 exec_lo, exec_lo, s3
	v_and_b32_e32 v135, 0x7f800000, v136
	s_delay_alu instid0(VALU_DEP_1) | instskip(SKIP_1) | instid1(SALU_CYCLE_1)
	v_cmp_ne_u32_e32 vcc_lo, 0x7f800000, v135
                                        ; implicit-def: $vgpr135
	s_and_saveexec_b32 s3, vcc_lo
	s_xor_b32 s3, exec_lo, s3
; %bb.65:
	v_bfe_u32 v135, v136, 16, 1
	s_delay_alu instid0(VALU_DEP_1)
	v_add3_u32 v135, v136, v135, 0x7fff
                                        ; implicit-def: $vgpr136
; %bb.66:
	s_and_not1_saveexec_b32 s3, s3
; %bb.67:
	v_and_b32_e32 v135, 0xffff, v136
	v_or_b32_e32 v142, 0x10000, v136
	s_delay_alu instid0(VALU_DEP_2) | instskip(NEXT) | instid1(VALU_DEP_2)
	v_cmp_eq_u32_e32 vcc_lo, 0, v135
	v_cndmask_b32_e32 v135, v142, v136, vcc_lo
; %bb.68:
	s_or_b32 exec_lo, exec_lo, s3
	v_and_b32_e32 v136, 0x7f800000, v137
	s_delay_alu instid0(VALU_DEP_1) | instskip(SKIP_1) | instid1(SALU_CYCLE_1)
	v_cmp_ne_u32_e32 vcc_lo, 0x7f800000, v136
                                        ; implicit-def: $vgpr136
	s_and_saveexec_b32 s3, vcc_lo
	s_xor_b32 s3, exec_lo, s3
; %bb.69:
	v_bfe_u32 v136, v137, 16, 1
	s_delay_alu instid0(VALU_DEP_1)
	v_add3_u32 v136, v137, v136, 0x7fff
                                        ; implicit-def: $vgpr137
; %bb.70:
	s_and_not1_saveexec_b32 s3, s3
; %bb.71:
	v_and_b32_e32 v136, 0xffff, v137
	v_or_b32_e32 v142, 0x10000, v137
	s_delay_alu instid0(VALU_DEP_2) | instskip(NEXT) | instid1(VALU_DEP_2)
	v_cmp_eq_u32_e32 vcc_lo, 0, v136
	v_cndmask_b32_e32 v136, v142, v137, vcc_lo
; %bb.72:
	s_or_b32 exec_lo, exec_lo, s3
	v_and_b32_e32 v137, 0x7f800000, v138
	s_delay_alu instid0(VALU_DEP_1) | instskip(SKIP_1) | instid1(SALU_CYCLE_1)
	v_cmp_ne_u32_e32 vcc_lo, 0x7f800000, v137
                                        ; implicit-def: $vgpr137
	s_and_saveexec_b32 s3, vcc_lo
	s_xor_b32 s3, exec_lo, s3
; %bb.73:
	v_bfe_u32 v137, v138, 16, 1
	s_delay_alu instid0(VALU_DEP_1)
	v_add3_u32 v137, v138, v137, 0x7fff
                                        ; implicit-def: $vgpr138
; %bb.74:
	s_and_not1_saveexec_b32 s3, s3
; %bb.75:
	v_and_b32_e32 v137, 0xffff, v138
	v_or_b32_e32 v142, 0x10000, v138
	s_delay_alu instid0(VALU_DEP_2) | instskip(NEXT) | instid1(VALU_DEP_2)
	v_cmp_eq_u32_e32 vcc_lo, 0, v137
	v_cndmask_b32_e32 v137, v142, v138, vcc_lo
; %bb.76:
	s_or_b32 exec_lo, exec_lo, s3
	s_delay_alu instid0(VALU_DEP_1)
	v_perm_b32 v136, v137, v136, 0x7060302
	v_perm_b32 v135, v135, v141, 0x7060302
	;; [unrolled: 1-line block ×4, first 2 shown]
	v_lshl_or_b32 v141, v149, 11, v140
	ds_store_b128 v131, v[133:136] offset:1024
	s_waitcnt lgkmcnt(0)
	s_barrier
	buffer_gl0_inv
	ds_load_b128 v[132:135], v141
	ds_load_b128 v[149:152], v141 offset:16
	s_waitcnt lgkmcnt(1)
	v_lshrrev_b32_e32 v136, 16, v132
	s_waitcnt lgkmcnt(0)
	v_lshrrev_b32_e32 v164, 16, v151
	v_lshlrev_b32_e32 v138, 2, v146
	v_lshrrev_b32_e32 v143, 16, v149
	v_lshrrev_b32_e32 v162, 16, v150
	;; [unrolled: 1-line block ×4, first 2 shown]
	v_or_b32_e32 v139, 1, v138
	v_lshrrev_b32_e32 v165, 16, v152
	v_lshrrev_b32_e32 v163, 16, v135
	s_delay_alu instid0(VALU_DEP_3)
	v_cmp_eq_u32_e64 s7, 1, v139
	v_cmp_eq_u32_e64 s6, 2, v139
	;; [unrolled: 1-line block ×4, first 2 shown]
	v_cmp_eq_u32_e32 vcc_lo, 5, v139
	v_cndmask_b32_e64 v155, v149, v143, s7
	v_cndmask_b32_e64 v154, v132, v136, s7
	v_cmp_eq_u32_e64 s4, 6, v139
	v_cmp_eq_u32_e64 s19, 7, v139
	s_delay_alu instid0(VALU_DEP_4) | instskip(NEXT) | instid1(VALU_DEP_4)
	v_cndmask_b32_e64 v155, v155, v150, s6
	v_cndmask_b32_e64 v154, v154, v133, s6
	s_delay_alu instid0(VALU_DEP_2) | instskip(NEXT) | instid1(VALU_DEP_2)
	v_cndmask_b32_e64 v155, v155, v162, s5
	v_cndmask_b32_e64 v154, v154, v144, s5
	s_delay_alu instid0(VALU_DEP_2) | instskip(NEXT) | instid1(VALU_DEP_2)
	v_cndmask_b32_e64 v155, v155, v151, s3
	v_cndmask_b32_e64 v154, v154, v134, s3
	s_delay_alu instid0(VALU_DEP_2)
	v_cndmask_b32_e32 v157, v155, v164, vcc_lo
	v_cmp_eq_u32_e64 s12, 1, v138
	v_cmp_eq_u32_e64 s11, 2, v138
	;; [unrolled: 1-line block ×3, first 2 shown]
	v_or_b32_e32 v137, 2, v138
	v_cmp_eq_u32_e64 s17, 4, v138
	v_cndmask_b32_e64 v153, v149, v143, s12
	v_cndmask_b32_e64 v142, v132, v136, s12
	v_cmp_eq_u32_e64 s13, 5, v138
	v_cmp_eq_u32_e64 s8, 1, v137
	;; [unrolled: 1-line block ×3, first 2 shown]
	v_cndmask_b32_e64 v153, v153, v150, s11
	v_cndmask_b32_e64 v142, v142, v133, s11
	v_cmp_eq_u32_e64 s10, 2, v137
	v_cndmask_b32_e64 v156, v132, v136, s8
	v_cndmask_b32_e32 v154, v154, v161, vcc_lo
	v_cndmask_b32_e64 v153, v153, v162, s16
	v_cndmask_b32_e64 v142, v142, v144, s16
	v_cmp_eq_u32_e64 s9, 7, v138
	v_cndmask_b32_e64 v156, v156, v133, s10
	v_cmp_eq_u32_e64 s18, 3, v137
	v_cndmask_b32_e64 v153, v153, v151, s17
	v_cndmask_b32_e64 v142, v142, v134, s17
	;; [unrolled: 1-line block ×3, first 2 shown]
	v_cmp_eq_u32_e64 s20, 4, v137
	v_cndmask_b32_e64 v156, v156, v144, s18
	v_cndmask_b32_e64 v153, v153, v164, s13
	;; [unrolled: 1-line block ×4, first 2 shown]
	v_cmp_eq_u32_e64 s22, 5, v137
	v_cndmask_b32_e64 v159, v156, v134, s20
	v_cndmask_b32_e64 v153, v153, v152, s15
	;; [unrolled: 1-line block ×3, first 2 shown]
	v_cmp_eq_u32_e64 s25, 6, v137
	v_cmp_eq_u32_e64 s27, 7, v137
	v_cndmask_b32_e64 v169, v159, v161, s22
	v_cndmask_b32_e64 v167, v153, v165, s9
	;; [unrolled: 1-line block ×4, first 2 shown]
	v_or_b32_e32 v142, 3, v138
	s_delay_alu instid0(VALU_DEP_3)
	v_cndmask_b32_e64 v158, v153, v150, s10
	ds_load_b128 v[153:156], v141 offset:1024
	v_cmp_eq_u32_e64 s21, 1, v142
	v_cmp_eq_u32_e64 s23, 2, v142
	;; [unrolled: 1-line block ×3, first 2 shown]
	v_cndmask_b32_e64 v158, v158, v162, s18
	v_cmp_eq_u32_e64 s26, 4, v142
	v_cndmask_b32_e64 v132, v132, v136, s21
	v_cndmask_b32_e64 v136, v157, v152, s4
	;; [unrolled: 1-line block ×4, first 2 shown]
	ds_load_b128 v[157:160], v141 offset:1040
	v_cndmask_b32_e64 v132, v132, v133, s23
	v_cmp_eq_u32_e64 s28, 5, v142
	v_cndmask_b32_e64 v143, v143, v150, s23
	v_cmp_eq_u32_e64 s29, 6, v142
	v_cndmask_b32_e64 v133, v170, v164, s22
	v_cndmask_b32_e64 v132, v132, v144, s24
	;; [unrolled: 1-line block ×5, first 2 shown]
	s_waitcnt lgkmcnt(1)
	v_lshrrev_b32_e32 v149, 16, v153
	v_cndmask_b32_e64 v132, v132, v134, s26
	v_cndmask_b32_e64 v133, v133, v152, s25
	;; [unrolled: 1-line block ×3, first 2 shown]
	v_lshrrev_b32_e32 v151, 16, v154
	v_cndmask_b32_e64 v143, v153, v149, s12
	v_cndmask_b32_e64 v132, v132, v161, s28
	;; [unrolled: 1-line block ×5, first 2 shown]
	s_waitcnt lgkmcnt(0)
	v_lshrrev_b32_e32 v150, 16, v157
	v_cndmask_b32_e64 v143, v143, v154, s11
	v_cndmask_b32_e64 v132, v132, v135, s29
	;; [unrolled: 1-line block ×3, first 2 shown]
	v_lshrrev_b32_e32 v164, 16, v159
	v_cndmask_b32_e64 v162, v157, v150, s12
	v_cndmask_b32_e64 v135, v143, v151, s16
	;; [unrolled: 1-line block ×3, first 2 shown]
	v_lshrrev_b32_e32 v161, 16, v158
	v_cndmask_b32_e64 v133, v133, v165, s27
	v_cndmask_b32_e64 v152, v162, v158, s11
	v_cmp_eq_u32_e64 s11, 7, v142
	v_cndmask_b32_e64 v143, v143, v151, s5
	v_cndmask_b32_e64 v135, v135, v155, s17
	v_lshrrev_b32_e32 v162, 16, v155
	v_cndmask_b32_e64 v152, v152, v161, s16
	v_cndmask_b32_e64 v132, v132, v163, s11
	;; [unrolled: 1-line block ×6, first 2 shown]
	s_delay_alu instid0(VALU_DEP_4) | instskip(NEXT) | instid1(VALU_DEP_4)
	v_perm_b32 v135, v134, v132, 0x5040100
	v_cndmask_b32_e32 v132, v143, v162, vcc_lo
	s_delay_alu instid0(VALU_DEP_4)
	v_cndmask_b32_e64 v143, v163, v156, s15
	v_lshrrev_b32_e32 v163, 16, v156
	v_cndmask_b32_e64 v152, v152, v164, s13
	v_perm_b32 v134, v133, v144, 0x5040100
	v_cndmask_b32_e64 v132, v132, v156, s4
	v_perm_b32 v133, v136, v168, 0x5040100
	v_cndmask_b32_e64 v136, v143, v163, s9
	v_cndmask_b32_e64 v143, v152, v160, s15
	;; [unrolled: 1-line block ×13, first 2 shown]
	v_lshrrev_b32_e32 v144, 16, v160
	v_cndmask_b32_e64 v132, v132, v151, s18
	v_cndmask_b32_e64 v149, v149, v151, s24
	;; [unrolled: 1-line block ×14, first 2 shown]
	v_cndmask_b32_e32 v150, v150, v164, vcc_lo
	v_cndmask_b32_e64 v132, v132, v156, s25
	v_cndmask_b32_e64 v149, v149, v156, s29
	;; [unrolled: 1-line block ×11, first 2 shown]
	v_perm_b32 v132, v167, v166, 0x5040100
	v_perm_b32 v152, v151, v149, 0x5040100
	;; [unrolled: 1-line block ×5, first 2 shown]
	s_mul_i32 s8, s35, 12
	s_mov_b32 s3, exec_lo
	ds_store_b128 v131, v[132:135]
	ds_store_b128 v131, v[149:152] offset:1024
	v_cmpx_gt_u32_e32 12, v0
	s_cbranch_execz .LBB397_78
; %bb.77:
	s_mul_i32 s4, s8, s30
	s_delay_alu instid0(SALU_CYCLE_1) | instskip(SKIP_1) | instid1(VALU_DEP_1)
	v_add3_u32 v133, s4, s31, v148
	s_load_b128 s[4:7], s[0:1], 0x58
	v_mad_u64_u32 v[131:132], null, v133, s34, s[14:15]
	s_delay_alu instid0(VALU_DEP_1) | instskip(NEXT) | instid1(VALU_DEP_1)
	v_ashrrev_i32_e32 v132, 31, v131
	v_lshlrev_b64 v[131:132], 2, v[131:132]
	s_waitcnt lgkmcnt(0)
	s_delay_alu instid0(VALU_DEP_1) | instskip(NEXT) | instid1(VALU_DEP_2)
	v_add_co_u32 v133, vcc_lo, s6, v131
	v_add_co_ci_u32_e32 v134, vcc_lo, s7, v132, vcc_lo
	v_add_co_u32 v131, vcc_lo, s4, v131
	v_add_co_ci_u32_e32 v132, vcc_lo, s5, v132, vcc_lo
	global_store_b32 v[133:134], v129, off
	global_store_b32 v[131:132], v130, off
.LBB397_78:
	s_or_b32 exec_lo, exec_lo, s3
	s_waitcnt lgkmcnt(0)
	s_waitcnt_vscnt null, 0x0
	s_barrier
	buffer_gl0_inv
	ds_load_b128 v[148:151], v140
	ds_load_b128 v[152:155], v140 offset:16
	ds_load_b128 v[160:163], v140 offset:1040
	;; [unrolled: 1-line block ×3, first 2 shown]
	v_mov_b32_e32 v129, 0
	ds_load_b128 v[168:171], v140 offset:2064
	ds_load_b128 v[164:167], v140 offset:2048
	;; [unrolled: 1-line block ×6, first 2 shown]
	v_mov_b32_e32 v130, v129
	v_mov_b32_e32 v131, v129
	;; [unrolled: 1-line block ×7, first 2 shown]
	s_waitcnt lgkmcnt(8)
	s_delay_alu instid0(VALU_DEP_1)
	v_wmma_f32_16x16x16_bf16 v[129:136], v[121:128], v[148:155], v[129:136]
	ds_load_b128 v[125:128], v140 offset:5136
	ds_load_b128 v[121:124], v140 offset:5120
	s_waitcnt lgkmcnt(8)
	v_wmma_f32_16x16x16_bf16 v[129:136], v[113:120], v[156:163], v[129:136]
	ds_load_b128 v[117:120], v140 offset:6160
	ds_load_b128 v[113:116], v140 offset:6144
	s_waitcnt lgkmcnt(8)
	;; [unrolled: 4-line block ×8, first 2 shown]
	v_wmma_f32_16x16x16_bf16 v[129:136], v[65:72], v[97:104], v[129:136]
	s_waitcnt lgkmcnt(6)
	s_delay_alu instid0(VALU_DEP_1)
	v_wmma_f32_16x16x16_bf16 v[129:136], v[49:56], v[89:96], v[129:136]
	ds_load_b128 v[53:56], v140 offset:13328
	ds_load_b128 v[49:52], v140 offset:13312
	s_waitcnt lgkmcnt(6)
	v_wmma_f32_16x16x16_bf16 v[129:136], v[41:48], v[81:88], v[129:136]
	ds_load_b128 v[45:48], v140 offset:14352
	ds_load_b128 v[41:44], v140 offset:14336
	s_waitcnt lgkmcnt(6)
	;; [unrolled: 4-line block ×3, first 2 shown]
	v_wmma_f32_16x16x16_bf16 v[129:136], v[1:8], v[57:64], v[129:136]
	s_waitcnt lgkmcnt(4)
	s_delay_alu instid0(VALU_DEP_1) | instskip(SKIP_1) | instid1(VALU_DEP_1)
	v_wmma_f32_16x16x16_bf16 v[129:136], v[25:32], v[49:56], v[129:136]
	s_waitcnt lgkmcnt(2)
	v_wmma_f32_16x16x16_bf16 v[129:136], v[33:40], v[41:48], v[129:136]
	s_waitcnt lgkmcnt(0)
	s_delay_alu instid0(VALU_DEP_1) | instskip(NEXT) | instid1(VALU_DEP_1)
	v_wmma_f32_16x16x16_bf16 v[129:136], v[9:16], v[17:24], v[129:136]
	v_and_b32_e32 v1, 0x7f800000, v129
	s_delay_alu instid0(VALU_DEP_1) | instskip(SKIP_1) | instid1(SALU_CYCLE_1)
	v_cmp_ne_u32_e32 vcc_lo, 0x7f800000, v1
                                        ; implicit-def: $vgpr1
	s_and_saveexec_b32 s3, vcc_lo
	s_xor_b32 s3, exec_lo, s3
; %bb.79:
	v_bfe_u32 v1, v129, 16, 1
	s_delay_alu instid0(VALU_DEP_1)
	v_add3_u32 v1, v129, v1, 0x7fff
; %bb.80:
	s_and_not1_saveexec_b32 s3, s3
; %bb.81:
	v_and_b32_e32 v1, 0xffff, v129
	v_or_b32_e32 v2, 0x10000, v129
	s_delay_alu instid0(VALU_DEP_2) | instskip(NEXT) | instid1(VALU_DEP_2)
	v_cmp_eq_u32_e32 vcc_lo, 0, v1
	v_cndmask_b32_e32 v1, v2, v129, vcc_lo
; %bb.82:
	s_or_b32 exec_lo, exec_lo, s3
	v_and_b32_e32 v2, 0x7f800000, v130
	s_delay_alu instid0(VALU_DEP_1) | instskip(SKIP_1) | instid1(SALU_CYCLE_1)
	v_cmp_ne_u32_e32 vcc_lo, 0x7f800000, v2
                                        ; implicit-def: $vgpr2
	s_and_saveexec_b32 s3, vcc_lo
	s_xor_b32 s3, exec_lo, s3
; %bb.83:
	v_bfe_u32 v2, v130, 16, 1
	s_delay_alu instid0(VALU_DEP_1)
	v_add3_u32 v2, v130, v2, 0x7fff
; %bb.84:
	s_and_not1_saveexec_b32 s3, s3
; %bb.85:
	v_and_b32_e32 v2, 0xffff, v130
	v_or_b32_e32 v3, 0x10000, v130
	s_delay_alu instid0(VALU_DEP_2) | instskip(NEXT) | instid1(VALU_DEP_2)
	v_cmp_eq_u32_e32 vcc_lo, 0, v2
	v_cndmask_b32_e32 v2, v3, v130, vcc_lo
; %bb.86:
	s_or_b32 exec_lo, exec_lo, s3
	v_and_b32_e32 v3, 0x7f800000, v131
	s_delay_alu instid0(VALU_DEP_1) | instskip(SKIP_1) | instid1(SALU_CYCLE_1)
	v_cmp_ne_u32_e32 vcc_lo, 0x7f800000, v3
                                        ; implicit-def: $vgpr3
	s_and_saveexec_b32 s3, vcc_lo
	s_xor_b32 s3, exec_lo, s3
; %bb.87:
	v_bfe_u32 v3, v131, 16, 1
	s_delay_alu instid0(VALU_DEP_1)
	v_add3_u32 v3, v131, v3, 0x7fff
; %bb.88:
	s_and_not1_saveexec_b32 s3, s3
; %bb.89:
	v_and_b32_e32 v3, 0xffff, v131
	v_or_b32_e32 v4, 0x10000, v131
	s_delay_alu instid0(VALU_DEP_2) | instskip(NEXT) | instid1(VALU_DEP_2)
	v_cmp_eq_u32_e32 vcc_lo, 0, v3
	v_cndmask_b32_e32 v3, v4, v131, vcc_lo
; %bb.90:
	s_or_b32 exec_lo, exec_lo, s3
	v_and_b32_e32 v4, 0x7f800000, v132
	s_delay_alu instid0(VALU_DEP_1) | instskip(SKIP_1) | instid1(SALU_CYCLE_1)
	v_cmp_ne_u32_e32 vcc_lo, 0x7f800000, v4
                                        ; implicit-def: $vgpr4
	s_and_saveexec_b32 s3, vcc_lo
	s_xor_b32 s3, exec_lo, s3
; %bb.91:
	v_bfe_u32 v4, v132, 16, 1
	s_delay_alu instid0(VALU_DEP_1)
	v_add3_u32 v4, v132, v4, 0x7fff
; %bb.92:
	s_and_not1_saveexec_b32 s3, s3
; %bb.93:
	v_and_b32_e32 v4, 0xffff, v132
	v_or_b32_e32 v5, 0x10000, v132
	s_delay_alu instid0(VALU_DEP_2) | instskip(NEXT) | instid1(VALU_DEP_2)
	v_cmp_eq_u32_e32 vcc_lo, 0, v4
	v_cndmask_b32_e32 v4, v5, v132, vcc_lo
; %bb.94:
	s_or_b32 exec_lo, exec_lo, s3
	v_and_b32_e32 v5, 0x7f800000, v133
	s_delay_alu instid0(VALU_DEP_1) | instskip(SKIP_1) | instid1(SALU_CYCLE_1)
	v_cmp_ne_u32_e32 vcc_lo, 0x7f800000, v5
                                        ; implicit-def: $vgpr5
	s_and_saveexec_b32 s3, vcc_lo
	s_xor_b32 s3, exec_lo, s3
; %bb.95:
	v_bfe_u32 v5, v133, 16, 1
	s_delay_alu instid0(VALU_DEP_1)
	v_add3_u32 v5, v133, v5, 0x7fff
; %bb.96:
	s_and_not1_saveexec_b32 s3, s3
; %bb.97:
	v_and_b32_e32 v5, 0xffff, v133
	v_or_b32_e32 v6, 0x10000, v133
	s_delay_alu instid0(VALU_DEP_2) | instskip(NEXT) | instid1(VALU_DEP_2)
	v_cmp_eq_u32_e32 vcc_lo, 0, v5
	v_cndmask_b32_e32 v5, v6, v133, vcc_lo
; %bb.98:
	s_or_b32 exec_lo, exec_lo, s3
	v_and_b32_e32 v6, 0x7f800000, v134
	s_delay_alu instid0(VALU_DEP_1) | instskip(SKIP_1) | instid1(SALU_CYCLE_1)
	v_cmp_ne_u32_e32 vcc_lo, 0x7f800000, v6
                                        ; implicit-def: $vgpr6
	s_and_saveexec_b32 s3, vcc_lo
	s_xor_b32 s3, exec_lo, s3
; %bb.99:
	v_bfe_u32 v6, v134, 16, 1
	s_delay_alu instid0(VALU_DEP_1)
	v_add3_u32 v6, v134, v6, 0x7fff
; %bb.100:
	s_and_not1_saveexec_b32 s3, s3
; %bb.101:
	v_and_b32_e32 v6, 0xffff, v134
	v_or_b32_e32 v7, 0x10000, v134
	s_delay_alu instid0(VALU_DEP_2) | instskip(NEXT) | instid1(VALU_DEP_2)
	v_cmp_eq_u32_e32 vcc_lo, 0, v6
	v_cndmask_b32_e32 v6, v7, v134, vcc_lo
; %bb.102:
	s_or_b32 exec_lo, exec_lo, s3
	v_and_b32_e32 v7, 0x7f800000, v135
	s_delay_alu instid0(VALU_DEP_1) | instskip(SKIP_1) | instid1(SALU_CYCLE_1)
	v_cmp_ne_u32_e32 vcc_lo, 0x7f800000, v7
                                        ; implicit-def: $vgpr7
	s_and_saveexec_b32 s3, vcc_lo
	s_xor_b32 s3, exec_lo, s3
; %bb.103:
	v_bfe_u32 v7, v135, 16, 1
	s_delay_alu instid0(VALU_DEP_1)
	v_add3_u32 v7, v135, v7, 0x7fff
; %bb.104:
	s_and_not1_saveexec_b32 s3, s3
; %bb.105:
	v_and_b32_e32 v7, 0xffff, v135
	v_or_b32_e32 v8, 0x10000, v135
	s_delay_alu instid0(VALU_DEP_2) | instskip(NEXT) | instid1(VALU_DEP_2)
	v_cmp_eq_u32_e32 vcc_lo, 0, v7
	v_cndmask_b32_e32 v7, v8, v135, vcc_lo
; %bb.106:
	s_or_b32 exec_lo, exec_lo, s3
	v_and_b32_e32 v8, 0x7f800000, v136
	s_delay_alu instid0(VALU_DEP_1) | instskip(SKIP_1) | instid1(SALU_CYCLE_1)
	v_cmp_ne_u32_e32 vcc_lo, 0x7f800000, v8
                                        ; implicit-def: $vgpr8
	s_and_saveexec_b32 s3, vcc_lo
	s_xor_b32 s3, exec_lo, s3
; %bb.107:
	v_bfe_u32 v8, v136, 16, 1
	s_delay_alu instid0(VALU_DEP_1)
	v_add3_u32 v8, v136, v8, 0x7fff
                                        ; implicit-def: $vgpr129_vgpr130_vgpr131_vgpr132_vgpr133_vgpr134_vgpr135_vgpr136
; %bb.108:
	s_and_not1_saveexec_b32 s3, s3
; %bb.109:
	v_and_b32_e32 v8, 0xffff, v136
	v_or_b32_e32 v9, 0x10000, v136
	s_delay_alu instid0(VALU_DEP_2) | instskip(NEXT) | instid1(VALU_DEP_2)
	v_cmp_eq_u32_e32 vcc_lo, 0, v8
	v_cndmask_b32_e32 v8, v9, v136, vcc_lo
; %bb.110:
	s_or_b32 exec_lo, exec_lo, s3
	s_delay_alu instid0(VALU_DEP_1)
	v_perm_b32 v7, v8, v7, 0x7060302
	v_perm_b32 v6, v6, v5, 0x7060302
	;; [unrolled: 1-line block ×4, first 2 shown]
	v_lshl_or_b32 v9, v146, 4, v141
	s_barrier
	buffer_gl0_inv
	v_cmp_eq_u32_e32 vcc_lo, 1, v138
	ds_store_b128 v9, v[4:7]
	s_waitcnt lgkmcnt(0)
	s_barrier
	buffer_gl0_inv
	ds_load_b128 v[1:4], v141
	ds_load_b128 v[5:8], v141 offset:16
	v_cmp_eq_u32_e64 s4, 2, v138
	v_cmp_eq_u32_e64 s3, 1, v139
	;; [unrolled: 1-line block ×5, first 2 shown]
	s_waitcnt lgkmcnt(1)
	v_lshrrev_b32_e32 v10, 16, v1
	s_waitcnt lgkmcnt(0)
	v_lshrrev_b32_e32 v14, 16, v5
	v_lshrrev_b32_e32 v15, 16, v6
	;; [unrolled: 1-line block ×4, first 2 shown]
	v_cndmask_b32_e64 v20, v1, v10, s3
	v_cndmask_b32_e32 v19, v5, v14, vcc_lo
	v_cndmask_b32_e64 v21, v5, v14, s3
	v_lshrrev_b32_e32 v16, 16, v7
	v_cmp_eq_u32_e64 s3, 1, v137
	v_lshrrev_b32_e32 v13, 16, v4
	v_cndmask_b32_e64 v19, v19, v6, s4
	v_lshrrev_b32_e32 v17, 16, v8
	s_delay_alu instid0(VALU_DEP_4) | instskip(SKIP_1) | instid1(VALU_DEP_4)
	v_cndmask_b32_e64 v22, v1, v10, s3
	v_cndmask_b32_e64 v23, v5, v14, s3
	;; [unrolled: 1-line block ×3, first 2 shown]
	v_cndmask_b32_e32 v18, v1, v10, vcc_lo
	v_cmp_eq_u32_e32 vcc_lo, 2, v139
	v_cmp_eq_u32_e64 s3, 2, v142
	v_cndmask_b32_e64 v22, v22, v2, s7
	v_cndmask_b32_e32 v20, v20, v2, vcc_lo
	v_cndmask_b32_e32 v21, v21, v6, vcc_lo
	v_cmp_eq_u32_e32 vcc_lo, 4, v138
	v_cndmask_b32_e32 v19, v19, v7, vcc_lo
	v_cndmask_b32_e64 v18, v18, v2, s4
	v_cmp_eq_u32_e64 s4, 3, v139
	s_delay_alu instid0(VALU_DEP_2) | instskip(NEXT) | instid1(VALU_DEP_2)
	v_cndmask_b32_e64 v18, v18, v11, s5
	v_cndmask_b32_e64 v21, v21, v15, s4
	v_cmp_eq_u32_e64 s5, 5, v138
	s_delay_alu instid0(VALU_DEP_3) | instskip(SKIP_1) | instid1(VALU_DEP_3)
	v_cndmask_b32_e32 v18, v18, v3, vcc_lo
	v_cmp_eq_u32_e32 vcc_lo, 4, v139
	v_cndmask_b32_e64 v19, v19, v16, s5
	s_delay_alu instid0(VALU_DEP_3) | instskip(SKIP_4) | instid1(VALU_DEP_3)
	v_cndmask_b32_e64 v18, v18, v12, s5
	v_cndmask_b32_e32 v21, v21, v7, vcc_lo
	v_cndmask_b32_e64 v20, v20, v11, s4
	v_cmp_eq_u32_e64 s4, 5, v139
	v_cmp_eq_u32_e64 s5, 6, v138
	v_cndmask_b32_e32 v20, v20, v3, vcc_lo
	s_delay_alu instid0(VALU_DEP_3) | instskip(SKIP_1) | instid1(VALU_DEP_4)
	v_cndmask_b32_e64 v21, v21, v16, s4
	v_cmp_eq_u32_e32 vcc_lo, 6, v139
	v_cndmask_b32_e64 v18, v18, v4, s5
	v_cndmask_b32_e64 v19, v19, v8, s5
	;; [unrolled: 1-line block ×3, first 2 shown]
	v_cmp_eq_u32_e64 s4, 1, v142
	v_cmp_eq_u32_e64 s5, 7, v138
	s_delay_alu instid0(VALU_DEP_3) | instskip(NEXT) | instid1(VALU_DEP_3)
	v_cndmask_b32_e32 v20, v20, v4, vcc_lo
	v_cndmask_b32_e64 v1, v1, v10, s4
	v_cndmask_b32_e64 v5, v5, v14, s4
	v_cmp_eq_u32_e64 s4, 3, v137
	v_cndmask_b32_e64 v14, v23, v6, s7
	v_cmp_eq_u32_e64 s7, 3, v142
	v_cndmask_b32_e64 v1, v1, v2, s3
	v_cndmask_b32_e64 v2, v5, v6, s3
	;; [unrolled: 1-line block ×3, first 2 shown]
	v_cmp_eq_u32_e64 s3, 4, v137
	v_cndmask_b32_e64 v6, v14, v15, s4
	v_cndmask_b32_e64 v1, v1, v11, s7
	v_cmp_eq_u32_e64 s4, 4, v142
	v_cndmask_b32_e64 v2, v2, v15, s7
	v_cndmask_b32_e64 v5, v10, v3, s3
	;; [unrolled: 3-line block ×3, first 2 shown]
	v_cndmask_b32_e64 v2, v2, v7, s4
	v_cmp_eq_u32_e64 s3, 5, v142
	v_cndmask_b32_e64 v5, v5, v12, s7
	v_cmp_eq_u32_e64 s4, 6, v137
	;; [unrolled: 2-line block ×3, first 2 shown]
	v_cndmask_b32_e64 v1, v1, v12, s3
	v_cndmask_b32_e64 v2, v2, v16, s3
	;; [unrolled: 1-line block ×4, first 2 shown]
	v_cmp_eq_u32_e64 s3, 7, v142
	v_cndmask_b32_e64 v1, v1, v4, s7
	v_cndmask_b32_e64 v2, v2, v8, s7
	v_cmp_eq_u32_e64 s4, 7, v137
	v_cndmask_b32_e32 v4, v21, v8, vcc_lo
	v_cndmask_b32_e64 v18, v18, v13, s5
	v_cndmask_b32_e64 v20, v20, v13, s6
	;; [unrolled: 1-line block ×8, first 2 shown]
	v_cmp_gt_u32_e32 vcc_lo, 32, v0
	v_perm_b32 v4, v2, v1, 0x5040100
	v_perm_b32 v3, v3, v5, 0x5040100
	;; [unrolled: 1-line block ×4, first 2 shown]
	s_and_b32 s2, vcc_lo, s2
	ds_store_b128 v9, v[1:4]
	s_waitcnt lgkmcnt(0)
	s_barrier
	buffer_gl0_inv
	s_and_saveexec_b32 s3, s2
	s_cbranch_execz .LBB397_2
; %bb.111:
	s_load_b64 s[0:1], s[0:1], 0x68
	v_lshlrev_b32_e32 v0, 10, v0
	s_lshl_b32 s4, s34, 6
	v_or_b32_e32 v3, s31, v146
	s_mul_i32 s2, s4, s30
	v_lshlrev_b32_e32 v1, 4, v147
	s_mul_i32 s2, s2, s8
	v_lshlrev_b32_e32 v2, 6, v146
	v_and_b32_e32 v0, 0x3800, v0
	s_ashr_i32 s3, s2, 31
	v_mul_lo_u32 v4, v3, s4
	s_lshl_b64 s[2:3], s[2:3], 1
	s_delay_alu instid0(VALU_DEP_2) | instskip(NEXT) | instid1(VALU_DEP_2)
	v_or3_b32 v16, v0, v1, v2
	v_ashrrev_i32_e32 v5, 31, v4
	ds_load_b128 v[0:3], v16
	s_waitcnt lgkmcnt(0)
	s_add_u32 s2, s0, s2
	s_addc_u32 s3, s1, s3
	s_lshl_b32 s0, s14, 6
	v_lshlrev_b64 v[5:6], 1, v[4:5]
	s_ashr_i32 s1, s0, 31
	s_delay_alu instid0(SALU_CYCLE_1) | instskip(NEXT) | instid1(SALU_CYCLE_1)
	s_lshl_b64 s[0:1], s[0:1], 1
	s_add_u32 s0, s2, s0
	s_addc_u32 s1, s3, s1
	s_lshl_b32 s2, s34, 7
	v_add_co_u32 v30, s0, s0, v145
	v_add_nc_u32_e32 v8, s2, v4
	v_add_co_ci_u32_e64 v31, null, s1, 0, s0
	s_delay_alu instid0(VALU_DEP_3) | instskip(NEXT) | instid1(VALU_DEP_3)
	v_add_co_u32 v12, vcc_lo, v30, v5
	v_add_nc_u32_e32 v10, s2, v8
	v_ashrrev_i32_e32 v9, 31, v8
	s_delay_alu instid0(VALU_DEP_4)
	v_add_co_ci_u32_e32 v13, vcc_lo, v31, v6, vcc_lo
	ds_load_b128 v[4:7], v16 offset:128
	v_ashrrev_i32_e32 v11, 31, v10
	v_lshlrev_b64 v[8:9], 1, v[8:9]
	v_add_nc_u32_e32 v14, s2, v10
	global_store_b128 v[12:13], v[0:3], off
	v_lshlrev_b64 v[0:1], 1, v[10:11]
	v_ashrrev_i32_e32 v15, 31, v14
	v_add_co_u32 v22, vcc_lo, v30, v8
	v_add_nc_u32_e32 v20, s2, v14
	v_add_co_ci_u32_e32 v23, vcc_lo, v31, v9, vcc_lo
	v_add_co_u32 v26, vcc_lo, v30, v0
	v_lshlrev_b64 v[24:25], 1, v[14:15]
	v_add_co_ci_u32_e32 v27, vcc_lo, v31, v1, vcc_lo
	ds_load_b128 v[0:3], v16 offset:256
	ds_load_b128 v[8:11], v16 offset:384
	;; [unrolled: 1-line block ×4, first 2 shown]
	v_add_nc_u32_e32 v28, s2, v20
	v_ashrrev_i32_e32 v21, 31, v20
	v_add_co_u32 v24, vcc_lo, v30, v24
	v_add_co_ci_u32_e32 v25, vcc_lo, v31, v25, vcc_lo
	s_delay_alu instid0(VALU_DEP_4) | instskip(NEXT) | instid1(VALU_DEP_4)
	v_ashrrev_i32_e32 v29, 31, v28
	v_lshlrev_b64 v[20:21], 1, v[20:21]
	s_delay_alu instid0(VALU_DEP_2) | instskip(NEXT) | instid1(VALU_DEP_2)
	v_lshlrev_b64 v[28:29], 1, v[28:29]
	v_add_co_u32 v20, vcc_lo, v30, v20
	s_delay_alu instid0(VALU_DEP_3) | instskip(NEXT) | instid1(VALU_DEP_3)
	v_add_co_ci_u32_e32 v21, vcc_lo, v31, v21, vcc_lo
	v_add_co_u32 v28, vcc_lo, v30, v28
	s_delay_alu instid0(VALU_DEP_4)
	v_add_co_ci_u32_e32 v29, vcc_lo, v31, v29, vcc_lo
	s_waitcnt lgkmcnt(4)
	global_store_b128 v[22:23], v[4:7], off
	s_waitcnt lgkmcnt(3)
	global_store_b128 v[26:27], v[0:3], off
	;; [unrolled: 2-line block ×5, first 2 shown]
	s_nop 0
	s_sendmsg sendmsg(MSG_DEALLOC_VGPRS)
	s_endpgm
	.section	.rodata,"a",@progbits
	.p2align	6, 0x0
	.amdhsa_kernel _Z39paged_attention_ll4mi_QKV_mfma16_kernelI14__hip_bfloat16S0_LN4vllm18Fp8KVCacheDataTypeE0EhLi16ELi64ELi256ELb1ELi12EL8MFMAType0EEvPKT_PKT0_S9_ifPKiSB_SB_iPKfiiiPfSE_PS4_PT2_iSD_SD_
		.amdhsa_group_segment_fixed_size 17472
		.amdhsa_private_segment_fixed_size 0
		.amdhsa_kernarg_size 400
		.amdhsa_user_sgpr_count 13
		.amdhsa_user_sgpr_dispatch_ptr 0
		.amdhsa_user_sgpr_queue_ptr 0
		.amdhsa_user_sgpr_kernarg_segment_ptr 1
		.amdhsa_user_sgpr_dispatch_id 0
		.amdhsa_user_sgpr_private_segment_size 0
		.amdhsa_wavefront_size32 1
		.amdhsa_uses_dynamic_stack 0
		.amdhsa_enable_private_segment 0
		.amdhsa_system_sgpr_workgroup_id_x 1
		.amdhsa_system_sgpr_workgroup_id_y 1
		.amdhsa_system_sgpr_workgroup_id_z 1
		.amdhsa_system_sgpr_workgroup_info 0
		.amdhsa_system_vgpr_workitem_id 0
		.amdhsa_next_free_vgpr 198
		.amdhsa_next_free_sgpr 52
		.amdhsa_reserve_vcc 1
		.amdhsa_float_round_mode_32 0
		.amdhsa_float_round_mode_16_64 0
		.amdhsa_float_denorm_mode_32 3
		.amdhsa_float_denorm_mode_16_64 3
		.amdhsa_dx10_clamp 1
		.amdhsa_ieee_mode 1
		.amdhsa_fp16_overflow 0
		.amdhsa_workgroup_processor_mode 1
		.amdhsa_memory_ordered 1
		.amdhsa_forward_progress 0
		.amdhsa_shared_vgpr_count 0
		.amdhsa_exception_fp_ieee_invalid_op 0
		.amdhsa_exception_fp_denorm_src 0
		.amdhsa_exception_fp_ieee_div_zero 0
		.amdhsa_exception_fp_ieee_overflow 0
		.amdhsa_exception_fp_ieee_underflow 0
		.amdhsa_exception_fp_ieee_inexact 0
		.amdhsa_exception_int_div_zero 0
	.end_amdhsa_kernel
	.section	.text._Z39paged_attention_ll4mi_QKV_mfma16_kernelI14__hip_bfloat16S0_LN4vllm18Fp8KVCacheDataTypeE0EhLi16ELi64ELi256ELb1ELi12EL8MFMAType0EEvPKT_PKT0_S9_ifPKiSB_SB_iPKfiiiPfSE_PS4_PT2_iSD_SD_,"axG",@progbits,_Z39paged_attention_ll4mi_QKV_mfma16_kernelI14__hip_bfloat16S0_LN4vllm18Fp8KVCacheDataTypeE0EhLi16ELi64ELi256ELb1ELi12EL8MFMAType0EEvPKT_PKT0_S9_ifPKiSB_SB_iPKfiiiPfSE_PS4_PT2_iSD_SD_,comdat
.Lfunc_end397:
	.size	_Z39paged_attention_ll4mi_QKV_mfma16_kernelI14__hip_bfloat16S0_LN4vllm18Fp8KVCacheDataTypeE0EhLi16ELi64ELi256ELb1ELi12EL8MFMAType0EEvPKT_PKT0_S9_ifPKiSB_SB_iPKfiiiPfSE_PS4_PT2_iSD_SD_, .Lfunc_end397-_Z39paged_attention_ll4mi_QKV_mfma16_kernelI14__hip_bfloat16S0_LN4vllm18Fp8KVCacheDataTypeE0EhLi16ELi64ELi256ELb1ELi12EL8MFMAType0EEvPKT_PKT0_S9_ifPKiSB_SB_iPKfiiiPfSE_PS4_PT2_iSD_SD_
                                        ; -- End function
	.section	.AMDGPU.csdata,"",@progbits
; Kernel info:
; codeLenInByte = 10164
; NumSgprs: 54
; NumVgprs: 198
; ScratchSize: 0
; MemoryBound: 0
; FloatMode: 240
; IeeeMode: 1
; LDSByteSize: 17472 bytes/workgroup (compile time only)
; SGPRBlocks: 6
; VGPRBlocks: 24
; NumSGPRsForWavesPerEU: 54
; NumVGPRsForWavesPerEU: 198
; Occupancy: 7
; WaveLimiterHint : 1
; COMPUTE_PGM_RSRC2:SCRATCH_EN: 0
; COMPUTE_PGM_RSRC2:USER_SGPR: 13
; COMPUTE_PGM_RSRC2:TRAP_HANDLER: 0
; COMPUTE_PGM_RSRC2:TGID_X_EN: 1
; COMPUTE_PGM_RSRC2:TGID_Y_EN: 1
; COMPUTE_PGM_RSRC2:TGID_Z_EN: 1
; COMPUTE_PGM_RSRC2:TIDIG_COMP_CNT: 0
	.section	.text._Z39paged_attention_ll4mi_QKV_mfma16_kernelI14__hip_bfloat16S0_LN4vllm18Fp8KVCacheDataTypeE0EhLi16ELi64ELi256ELb1ELi13EL8MFMAType0EEvPKT_PKT0_S9_ifPKiSB_SB_iPKfiiiPfSE_PS4_PT2_iSD_SD_,"axG",@progbits,_Z39paged_attention_ll4mi_QKV_mfma16_kernelI14__hip_bfloat16S0_LN4vllm18Fp8KVCacheDataTypeE0EhLi16ELi64ELi256ELb1ELi13EL8MFMAType0EEvPKT_PKT0_S9_ifPKiSB_SB_iPKfiiiPfSE_PS4_PT2_iSD_SD_,comdat
	.protected	_Z39paged_attention_ll4mi_QKV_mfma16_kernelI14__hip_bfloat16S0_LN4vllm18Fp8KVCacheDataTypeE0EhLi16ELi64ELi256ELb1ELi13EL8MFMAType0EEvPKT_PKT0_S9_ifPKiSB_SB_iPKfiiiPfSE_PS4_PT2_iSD_SD_ ; -- Begin function _Z39paged_attention_ll4mi_QKV_mfma16_kernelI14__hip_bfloat16S0_LN4vllm18Fp8KVCacheDataTypeE0EhLi16ELi64ELi256ELb1ELi13EL8MFMAType0EEvPKT_PKT0_S9_ifPKiSB_SB_iPKfiiiPfSE_PS4_PT2_iSD_SD_
	.globl	_Z39paged_attention_ll4mi_QKV_mfma16_kernelI14__hip_bfloat16S0_LN4vllm18Fp8KVCacheDataTypeE0EhLi16ELi64ELi256ELb1ELi13EL8MFMAType0EEvPKT_PKT0_S9_ifPKiSB_SB_iPKfiiiPfSE_PS4_PT2_iSD_SD_
	.p2align	8
	.type	_Z39paged_attention_ll4mi_QKV_mfma16_kernelI14__hip_bfloat16S0_LN4vllm18Fp8KVCacheDataTypeE0EhLi16ELi64ELi256ELb1ELi13EL8MFMAType0EEvPKT_PKT0_S9_ifPKiSB_SB_iPKfiiiPfSE_PS4_PT2_iSD_SD_,@function
_Z39paged_attention_ll4mi_QKV_mfma16_kernelI14__hip_bfloat16S0_LN4vllm18Fp8KVCacheDataTypeE0EhLi16ELi64ELi256ELb1ELi13EL8MFMAType0EEvPKT_PKT0_S9_ifPKiSB_SB_iPKfiiiPfSE_PS4_PT2_iSD_SD_: ; @_Z39paged_attention_ll4mi_QKV_mfma16_kernelI14__hip_bfloat16S0_LN4vllm18Fp8KVCacheDataTypeE0EhLi16ELi64ELi256ELb1ELi13EL8MFMAType0EEvPKT_PKT0_S9_ifPKiSB_SB_iPKfiiiPfSE_PS4_PT2_iSD_SD_
; %bb.0:
	s_load_b64 s[2:3], s[0:1], 0x30
	s_mov_b32 s34, s13
	s_waitcnt lgkmcnt(0)
	s_cmp_lg_u64 s[2:3], 0
	s_cselect_b32 s6, -1, 0
	s_ashr_i32 s35, s13, 31
	s_cmp_eq_u64 s[2:3], 0
	s_cbranch_scc1 .LBB398_3
; %bb.1:
	s_lshl_b64 s[4:5], s[34:35], 2
	s_delay_alu instid0(SALU_CYCLE_1) | instskip(SKIP_4) | instid1(SALU_CYCLE_1)
	s_add_u32 s4, s2, s4
	s_addc_u32 s5, s3, s5
	s_load_b64 s[4:5], s[4:5], 0x0
	s_waitcnt lgkmcnt(0)
	s_sub_i32 s4, s5, s4
	s_cmp_eq_u32 s4, 1
	s_cselect_b32 s4, -1, 0
	s_delay_alu instid0(SALU_CYCLE_1)
	s_and_not1_b32 vcc_lo, exec_lo, s4
	s_cbranch_vccz .LBB398_4
.LBB398_2:
	s_nop 0
	s_sendmsg sendmsg(MSG_DEALLOC_VGPRS)
	s_endpgm
.LBB398_3:
.LBB398_4:
	s_load_b64 s[8:9], s[0:1], 0x28
	s_lshl_b64 s[4:5], s[34:35], 2
	s_waitcnt lgkmcnt(0)
	s_add_u32 s8, s8, s4
	s_addc_u32 s9, s9, s5
	s_lshl_b32 s33, s14, 8
	s_load_b32 s30, s[8:9], 0x0
	s_waitcnt lgkmcnt(0)
	s_cmp_ge_i32 s33, s30
	s_cbranch_scc1 .LBB398_2
; %bb.5:
	s_clause 0x1
	s_load_b128 s[8:11], s[0:1], 0x8
	s_load_b64 s[12:13], s[0:1], 0x20
	s_and_not1_b32 vcc_lo, exec_lo, s6
	s_cbranch_vccnz .LBB398_7
; %bb.6:
	s_add_u32 s2, s2, s4
	s_addc_u32 s3, s3, s5
	s_load_b32 s3, s[2:3], 0x0
	s_branch .LBB398_8
.LBB398_7:
	s_mov_b32 s3, s34
.LBB398_8:
	s_load_b128 s[4:7], s[0:1], 0x48
	v_lshrrev_b32_e32 v149, 5, v0
	v_bfe_u32 v146, v0, 4, 1
	v_and_b32_e32 v148, 15, v0
	v_and_b32_e32 v150, 31, v0
	;; [unrolled: 1-line block ×3, first 2 shown]
	s_mul_i32 s31, s15, 13
	v_lshl_or_b32 v1, v149, 1, v146
	v_lshlrev_b32_e32 v2, 3, v148
	v_cmp_gt_u32_e64 s2, 8, v148
	s_delay_alu instid0(VALU_DEP_3) | instskip(NEXT) | instid1(VALU_DEP_3)
	v_cmp_gt_u32_e32 vcc_lo, 13, v1
	v_lshlrev_b32_e32 v145, 1, v2
	s_delay_alu instid0(VALU_DEP_3)
	s_and_b32 s16, s2, vcc_lo
	s_waitcnt lgkmcnt(0)
	s_and_saveexec_b32 s7, s16
	s_cbranch_execz .LBB398_10
; %bb.9:
	s_load_b64 s[16:17], s[0:1], 0x0
	v_add_lshl_u32 v2, v1, s31, 6
	s_mul_hi_i32 s19, s3, s4
	s_mul_i32 s18, s3, s4
	v_lshlrev_b32_e32 v6, 10, v148
	s_lshl_b64 s[18:19], s[18:19], 1
	v_ashrrev_i32_e32 v3, 31, v2
	v_lshlrev_b32_e32 v1, 6, v1
	v_lshlrev_b32_e32 v7, 10, v147
	v_and_b32_e32 v6, 0x3800, v6
	s_delay_alu instid0(VALU_DEP_4) | instskip(NEXT) | instid1(VALU_DEP_2)
	v_lshlrev_b64 v[2:3], 1, v[2:3]
	v_or3_b32 v1, v6, v7, v1
	s_waitcnt lgkmcnt(0)
	s_add_u32 s3, s16, s18
	s_addc_u32 s4, s17, s19
	s_delay_alu instid0(VALU_DEP_2) | instskip(SKIP_1) | instid1(VALU_DEP_2)
	v_add_co_u32 v2, vcc_lo, s3, v2
	v_add_co_ci_u32_e32 v3, vcc_lo, s4, v3, vcc_lo
	v_add_co_u32 v2, vcc_lo, v2, v145
	s_delay_alu instid0(VALU_DEP_2)
	v_add_co_ci_u32_e32 v3, vcc_lo, 0, v3, vcc_lo
	global_load_b128 v[2:5], v[2:3], off
	s_waitcnt vmcnt(0)
	ds_store_b128 v1, v[2:5]
.LBB398_10:
	s_or_b32 exec_lo, exec_lo, s7
	s_mov_b32 s40, 0
	s_add_i32 s3, s30, 15
	s_mov_b32 s41, s40
	s_mov_b32 s42, s40
	;; [unrolled: 1-line block ×7, first 2 shown]
	s_delay_alu instid0(SALU_CYCLE_1)
	v_dual_mov_b32 v144, s47 :: v_dual_and_b32 v1, 0xef, v0
	v_mov_b32_e32 v142, s45
	s_ashr_i32 s7, s3, 31
	s_clause 0x1
	s_load_b32 s4, s[0:1], 0x38
	s_load_b32 s35, s[0:1], 0x1c
	v_add_nc_u32_e32 v1, s33, v1
	s_lshr_b32 s7, s7, 28
	s_waitcnt lgkmcnt(0)
	s_add_i32 s3, s3, s7
	s_barrier
	v_ashrrev_i32_e32 v2, 31, v1
	v_or_b32_e32 v3, 16, v1
	s_ashr_i32 s3, s3, 4
	v_cmp_gt_i32_e32 vcc_lo, s30, v1
	s_add_i32 s3, s3, -1
	v_lshrrev_b32_e32 v2, 28, v2
	v_mov_b32_e32 v143, s46
	buffer_gl0_inv
	s_mul_i32 s6, s15, s6
	v_add_nc_u32_e32 v21, -13, v148
	v_dual_mov_b32 v141, s44 :: v_dual_add_nc_u32 v4, v1, v2
	v_mov_b32_e32 v139, s42
	s_mul_i32 s16, s34, s4
	v_mov_b32_e32 v137, s40
	s_delay_alu instid0(VALU_DEP_3)
	v_ashrrev_i32_e32 v4, 4, v4
	v_add_nc_u32_e32 v2, v3, v2
	v_lshlrev_b32_e32 v22, 5, v148
	s_ashr_i32 s17, s16, 31
	v_mov_b32_e32 v140, s43
	v_cndmask_b32_e32 v1, s3, v4, vcc_lo
	v_ashrrev_i32_e32 v2, 4, v2
	v_cmp_gt_i32_e32 vcc_lo, s30, v3
	s_lshl_b64 s[16:17], s[16:17], 2
	v_lshl_or_b32 v22, v149, 9, v22
	s_add_u32 s4, s12, s16
	s_addc_u32 s36, s13, s17
	v_cndmask_b32_e32 v3, s3, v2, vcc_lo
	v_ashrrev_i32_e32 v2, 31, v1
	s_ashr_i32 s7, s6, 31
	v_mov_b32_e32 v138, s41
	s_lshl_b64 s[6:7], s[6:7], 1
	v_ashrrev_i32_e32 v4, 31, v3
	v_lshlrev_b64 v[1:2], 2, v[1:2]
	s_add_u32 s24, s8, s6
	s_addc_u32 s25, s9, s7
	s_lshl_b32 s8, s14, 4
	v_lshlrev_b64 v[3:4], 2, v[3:4]
	s_ashr_i32 s9, s8, 31
	v_add_co_u32 v1, vcc_lo, s4, v1
	v_add_co_ci_u32_e32 v2, vcc_lo, s36, v2, vcc_lo
	s_delay_alu instid0(VALU_DEP_3) | instskip(NEXT) | instid1(VALU_DEP_4)
	v_add_co_u32 v3, vcc_lo, s4, v3
	v_add_co_ci_u32_e32 v4, vcc_lo, s36, v4, vcc_lo
	s_clause 0x1
	global_load_b32 v5, v[1:2], off
	global_load_b32 v6, v[3:4], off
	s_lshl_b64 s[8:9], s[8:9], 2
	v_lshlrev_b32_e32 v3, 4, v0
	s_add_u32 s8, s4, s8
	s_addc_u32 s9, s36, s9
	s_or_b32 s12, s33, 16
	s_delay_alu instid0(SALU_CYCLE_1) | instskip(SKIP_2) | instid1(SALU_CYCLE_1)
	s_ashr_i32 s13, s12, 4
	s_cmp_lt_i32 s12, s30
	s_cselect_b32 s12, s13, s3
	s_ashr_i32 s13, s12, 31
	s_delay_alu instid0(SALU_CYCLE_1) | instskip(NEXT) | instid1(SALU_CYCLE_1)
	s_lshl_b64 s[12:13], s[12:13], 2
	s_add_u32 s12, s4, s12
	s_addc_u32 s13, s36, s13
	s_or_b32 s15, s33, 32
	s_delay_alu instid0(SALU_CYCLE_1) | instskip(SKIP_2) | instid1(SALU_CYCLE_1)
	s_ashr_i32 s16, s15, 4
	s_cmp_lt_i32 s15, s30
	s_cselect_b32 s16, s16, s3
	s_ashr_i32 s17, s16, 31
	s_delay_alu instid0(SALU_CYCLE_1) | instskip(NEXT) | instid1(SALU_CYCLE_1)
	s_lshl_b64 s[16:17], s[16:17], 2
	;; [unrolled: 10-line block ×5, first 2 shown]
	s_add_u32 s22, s4, s22
	s_addc_u32 s23, s36, s23
	s_clause 0x5
	s_load_b32 s8, s[8:9], 0x0
	s_load_b32 s12, s[12:13], 0x0
	;; [unrolled: 1-line block ×6, first 2 shown]
	s_waitcnt lgkmcnt(0)
	s_mul_hi_i32 s17, s16, s5
	s_mul_i32 s16, s16, s5
	s_waitcnt vmcnt(1)
	v_mad_i64_i32 v[1:2], null, v5, s5, 0
	v_and_b32_e32 v5, 0xf0, v3
	s_waitcnt vmcnt(0)
	v_mad_i64_i32 v[3:4], null, v6, s5, 0
	s_delay_alu instid0(VALU_DEP_2) | instskip(NEXT) | instid1(VALU_DEP_4)
	v_add_co_u32 v5, s9, s24, v5
	v_lshlrev_b64 v[1:2], 1, v[1:2]
	v_add_co_ci_u32_e64 v6, null, s25, 0, s9
	s_delay_alu instid0(VALU_DEP_4) | instskip(SKIP_1) | instid1(VALU_DEP_3)
	v_lshlrev_b64 v[3:4], 1, v[3:4]
	s_or_b32 s9, s33, 0x60
	v_add_co_u32 v19, vcc_lo, v5, v1
	s_delay_alu instid0(VALU_DEP_3) | instskip(NEXT) | instid1(VALU_DEP_3)
	v_add_co_ci_u32_e32 v20, vcc_lo, v6, v2, vcc_lo
	v_add_co_u32 v17, vcc_lo, v5, v3
	s_delay_alu instid0(VALU_DEP_4)
	v_add_co_ci_u32_e32 v18, vcc_lo, v6, v4, vcc_lo
	s_clause 0x9
	global_load_b128 v[1:4], v[19:20], off
	global_load_b128 v[5:8], v[19:20], off offset:256
	global_load_b128 v[129:132], v[17:18], off
	global_load_b128 v[133:136], v[17:18], off offset:256
	global_load_b128 v[33:36], v[19:20], off offset:512
	;; [unrolled: 1-line block ×7, first 2 shown]
	v_cmp_gt_u32_e32 vcc_lo, 13, v148
	s_clause 0x1
	global_load_b128 v[151:154], v[17:18], off offset:1024
	global_load_b128 v[155:158], v[17:18], off offset:1280
	s_ashr_i32 s13, s9, 4
	s_cmp_lt_i32 s9, s30
	v_cndmask_b32_e32 v21, v21, v148, vcc_lo
	s_cselect_b32 s22, s13, s3
	s_delay_alu instid0(SALU_CYCLE_1) | instskip(NEXT) | instid1(VALU_DEP_1)
	s_ashr_i32 s23, s22, 31
	v_lshlrev_b32_e32 v197, 6, v21
	ds_load_b128 v[159:162], v197
	ds_load_b128 v[163:166], v197 offset:1024
	s_clause 0x3
	global_load_b128 v[167:170], v[19:20], off offset:1536
	global_load_b128 v[171:174], v[19:20], off offset:1792
	;; [unrolled: 1-line block ×4, first 2 shown]
	s_lshl_b64 s[22:23], s[22:23], 2
	s_delay_alu instid0(SALU_CYCLE_1) | instskip(SKIP_2) | instid1(SALU_CYCLE_1)
	s_add_u32 s22, s4, s22
	s_addc_u32 s23, s36, s23
	s_or_b32 s9, s33, 0x70
	s_ashr_i32 s13, s9, 4
	s_cmp_lt_i32 s9, s30
	s_cselect_b32 s24, s13, s3
	s_delay_alu instid0(SALU_CYCLE_1) | instskip(NEXT) | instid1(SALU_CYCLE_1)
	s_ashr_i32 s25, s24, 31
	s_lshl_b64 s[24:25], s[24:25], 2
	s_delay_alu instid0(SALU_CYCLE_1)
	s_add_u32 s24, s4, s24
	s_addc_u32 s25, s36, s25
	s_or_b32 s9, s33, 0x80
	s_load_b32 s46, s[24:25], 0x0
	s_ashr_i32 s13, s9, 4
	s_cmp_lt_i32 s9, s30
	s_cselect_b32 s26, s13, s3
	s_delay_alu instid0(SALU_CYCLE_1) | instskip(NEXT) | instid1(SALU_CYCLE_1)
	s_ashr_i32 s27, s26, 31
	s_lshl_b64 s[26:27], s[26:27], 2
	s_delay_alu instid0(SALU_CYCLE_1)
	s_add_u32 s26, s4, s26
	s_addc_u32 s27, s36, s27
	s_or_b32 s9, s33, 0x90
	s_load_b32 s47, s[26:27], 0x0
	s_ashr_i32 s13, s9, 4
	s_cmp_lt_i32 s9, s30
	s_cselect_b32 s28, s13, s3
	s_delay_alu instid0(SALU_CYCLE_1) | instskip(NEXT) | instid1(SALU_CYCLE_1)
	s_ashr_i32 s29, s28, 31
	s_lshl_b64 s[28:29], s[28:29], 2
	s_delay_alu instid0(SALU_CYCLE_1) | instskip(SKIP_2) | instid1(SALU_CYCLE_1)
	s_add_u32 s28, s4, s28
	s_addc_u32 s29, s36, s29
	s_or_b32 s9, s33, 0xa0
	s_ashr_i32 s13, s9, 4
	s_cmp_lt_i32 s9, s30
	s_cselect_b32 s38, s13, s3
	s_delay_alu instid0(SALU_CYCLE_1) | instskip(NEXT) | instid1(SALU_CYCLE_1)
	s_ashr_i32 s39, s38, 31
	s_lshl_b64 s[38:39], s[38:39], 2
	s_delay_alu instid0(SALU_CYCLE_1)
	s_add_u32 s38, s4, s38
	s_addc_u32 s39, s36, s39
	s_or_b32 s9, s33, 0xb0
	s_load_b32 s39, s[38:39], 0x0
	s_ashr_i32 s13, s9, 4
	s_cmp_lt_i32 s9, s30
	s_mul_hi_i32 s9, s8, s5
	s_cselect_b32 s40, s13, s3
	s_mul_i32 s8, s8, s5
	s_ashr_i32 s41, s40, 31
	s_mul_hi_i32 s13, s12, s5
	s_lshl_b64 s[40:41], s[40:41], 2
	s_mul_i32 s12, s12, s5
	s_add_u32 s42, s4, s40
	s_addc_u32 s43, s36, s41
	s_or_b32 s19, s33, 0xc0
	s_delay_alu instid0(SALU_CYCLE_1)
	s_ashr_i32 s21, s19, 4
	s_cmp_lt_i32 s19, s30
	s_mul_hi_i32 s19, s18, s5
	s_cselect_b32 s40, s21, s3
	s_mul_i32 s18, s18, s5
	s_ashr_i32 s41, s40, 31
	s_mul_hi_i32 s21, s20, s5
	s_lshl_b64 s[40:41], s[40:41], 2
	s_mul_i32 s20, s20, s5
	s_add_u32 s44, s4, s40
	s_load_b32 s40, s[28:29], 0x0
	s_addc_u32 s45, s36, s41
	s_or_b32 s37, s33, 0xd0
	s_load_b32 s41, s[22:23], 0x0
	s_ashr_i32 s22, s37, 4
	s_cmp_lt_i32 s37, s30
	s_mul_hi_i32 s23, s15, s5
	s_cselect_b32 s24, s22, s3
	s_mul_i32 s22, s15, s5
	s_ashr_i32 s25, s24, 31
	s_waitcnt lgkmcnt(0)
	s_mul_hi_i32 s27, s46, s5
	s_lshl_b64 s[24:25], s[24:25], 2
	s_mul_i32 s26, s46, s5
	s_add_u32 s24, s4, s24
	s_addc_u32 s25, s36, s25
	s_or_b32 s48, s33, 0xe0
	s_clause 0x2
	s_load_b32 s38, s[42:43], 0x0
	s_load_b32 s37, s[44:45], 0x0
	;; [unrolled: 1-line block ×3, first 2 shown]
	s_ashr_i32 s49, s48, 4
	s_cmp_lt_i32 s48, s30
	s_mul_hi_i32 s29, s47, s5
	s_cselect_b32 s42, s49, s3
	s_mul_i32 s28, s47, s5
	s_ashr_i32 s43, s42, 31
	s_mul_hi_i32 s25, s41, s5
	s_lshl_b64 s[42:43], s[42:43], 2
	s_mul_i32 s24, s41, s5
	s_add_u32 s42, s4, s42
	s_addc_u32 s43, s36, s43
	s_or_b32 s46, s33, 0xf0
	s_mul_hi_i32 s41, s40, s5
	s_ashr_i32 s47, s46, 4
	s_cmp_lt_i32 s46, s30
	s_mul_i32 s40, s40, s5
	s_cselect_b32 s46, s47, s3
	s_mul_hi_i32 s45, s39, s5
	s_ashr_i32 s47, s46, 31
	s_mul_i32 s44, s39, s5
	s_lshl_b64 s[46:47], s[46:47], 2
	s_waitcnt lgkmcnt(0)
	s_mul_hi_i32 s39, s38, s5
	s_add_u32 s46, s4, s46
	s_addc_u32 s47, s36, s47
	s_add_u32 s3, s10, s6
	s_addc_u32 s4, s11, s7
	v_add_co_u32 v195, s3, s3, v22
	s_delay_alu instid0(VALU_DEP_1) | instskip(SKIP_2) | instid1(VALU_DEP_2)
	v_add_co_ci_u32_e64 v196, null, s4, 0, s3
	s_lshl_b64 s[6:7], s[8:9], 1
	s_lshl_b64 s[8:9], s[12:13], 1
	v_add_co_u32 v17, vcc_lo, v195, s6
	s_delay_alu instid0(VALU_DEP_2)
	v_add_co_ci_u32_e32 v18, vcc_lo, s7, v196, vcc_lo
	v_add_co_u32 v19, vcc_lo, v195, s8
	s_lshl_b64 s[10:11], s[16:17], 1
	v_add_co_ci_u32_e32 v20, vcc_lo, s9, v196, vcc_lo
	v_add_co_u32 v21, vcc_lo, v195, s10
	s_lshl_b64 s[12:13], s[18:19], 1
	;; [unrolled: 3-line block ×9, first 2 shown]
	s_mul_i32 s38, s38, s5
	v_add_co_ci_u32_e32 v54, vcc_lo, s27, v196, vcc_lo
	v_add_co_u32 v183, vcc_lo, v195, s28
	s_mul_hi_i32 s49, s37, s5
	s_mul_i32 s48, s37, s5
	s_lshl_b64 s[36:37], s[38:39], 1
	v_add_co_ci_u32_e32 v184, vcc_lo, s29, v196, vcc_lo
	v_add_co_u32 v185, vcc_lo, v195, s36
	s_lshl_b64 s[38:39], s[48:49], 1
	s_clause 0x1
	s_load_b32 s3, s[42:43], 0x0
	s_load_b32 s4, s[46:47], 0x0
	v_add_co_ci_u32_e32 v186, vcc_lo, s37, v196, vcc_lo
	v_add_co_u32 v191, vcc_lo, v195, s38
	v_add_co_ci_u32_e32 v192, vcc_lo, s39, v196, vcc_lo
	s_clause 0x17
	global_load_b128 v[121:124], v[17:18], off
	global_load_b128 v[125:128], v[17:18], off offset:16
	global_load_b128 v[113:116], v[19:20], off
	global_load_b128 v[117:120], v[19:20], off offset:16
	;; [unrolled: 2-line block ×12, first 2 shown]
	s_mul_hi_i32 s51, s15, s5
	s_mul_i32 s50, s15, s5
	s_delay_alu instid0(SALU_CYCLE_1) | instskip(NEXT) | instid1(SALU_CYCLE_1)
	s_lshl_b64 s[40:41], s[50:51], 1
	v_add_co_u32 v193, vcc_lo, v195, s40
	v_add_co_ci_u32_e32 v194, vcc_lo, s41, v196, vcc_lo
	s_waitcnt lgkmcnt(0)
	s_mul_hi_i32 s7, s3, s5
	s_mul_i32 s6, s3, s5
	s_mul_hi_i32 s9, s4, s5
	s_lshl_b64 s[6:7], s[6:7], 1
	s_mul_i32 s8, s4, s5
	s_delay_alu instid0(SALU_CYCLE_1)
	s_lshl_b64 s[4:5], s[8:9], 1
	s_waitcnt vmcnt(38)
	v_wmma_f32_16x16x16_bf16 v[183:190], v[1:8], v[159:166], v[137:144]
	s_waitcnt vmcnt(36)
	v_wmma_f32_16x16x16_bf16 v[137:144], v[129:136], v[159:166], v[137:144]
	s_clause 0x1
	global_load_b128 v[1:4], v[191:192], off
	global_load_b128 v[5:8], v[191:192], off offset:16
	ds_load_b128 v[129:132], v197 offset:2048
	ds_load_b128 v[133:136], v197 offset:3072
	;; [unrolled: 1-line block ×4, first 2 shown]
	v_add_co_u32 v191, vcc_lo, v195, s6
	v_add_co_ci_u32_e32 v192, vcc_lo, s7, v196, vcc_lo
	v_add_co_u32 v195, vcc_lo, v195, s4
	v_add_co_ci_u32_e32 v196, vcc_lo, s5, v196, vcc_lo
	s_waitcnt vmcnt(36) lgkmcnt(2)
	v_wmma_f32_16x16x16_bf16 v[183:190], v[33:40], v[129:136], v[183:190]
	s_waitcnt vmcnt(34)
	v_wmma_f32_16x16x16_bf16 v[137:144], v[25:32], v[129:136], v[137:144]
	s_clause 0x3
	global_load_b128 v[25:28], v[193:194], off
	global_load_b128 v[29:32], v[193:194], off offset:16
	global_load_b128 v[33:36], v[191:192], off
	global_load_b128 v[37:40], v[191:192], off offset:16
	v_and_b32_e32 v129, 0xe0, v0
	v_mbcnt_lo_u32_b32 v191, -1, 0
	s_waitcnt vmcnt(36) lgkmcnt(0)
	v_wmma_f32_16x16x16_bf16 v[183:190], v[9:16], v[159:166], v[183:190]
	s_clause 0x1
	global_load_b128 v[9:12], v[195:196], off
	global_load_b128 v[13:16], v[195:196], off offset:16
	s_waitcnt vmcnt(36)
	v_wmma_f32_16x16x16_bf16 v[137:144], v[151:158], v[159:166], v[137:144]
	v_add_nc_u32_e32 v192, s33, v129
	ds_load_b128 v[129:132], v197 offset:6144
	ds_load_b128 v[133:136], v197 offset:7168
	v_xor_b32_e32 v151, 16, v191
	s_waitcnt vmcnt(0) lgkmcnt(0)
	s_barrier
	v_or_b32_e32 v152, v192, v146
	buffer_gl0_inv
	v_cmp_gt_i32_e32 vcc_lo, 32, v151
	v_or_b32_e32 v153, 2, v152
	v_or_b32_e32 v154, 4, v152
	;; [unrolled: 1-line block ×5, first 2 shown]
	v_cmp_gt_i32_e64 s3, s30, v153
	v_cmp_gt_i32_e64 s4, s30, v154
	;; [unrolled: 1-line block ×3, first 2 shown]
	v_or_b32_e32 v158, 12, v152
	v_or_b32_e32 v159, 14, v152
	v_cmp_gt_i32_e64 s6, s30, v156
	v_wmma_f32_16x16x16_bf16 v[183:190], v[167:174], v[129:136], v[183:190]
	v_wmma_f32_16x16x16_bf16 v[137:144], v[175:182], v[129:136], v[137:144]
	v_cndmask_b32_e32 v151, v191, v151, vcc_lo
	v_cmp_gt_i32_e32 vcc_lo, s30, v152
	v_cmp_gt_i32_e64 s7, s30, v157
	v_dual_mul_f32 v135, s35, v184 :: v_dual_mul_f32 v136, s35, v183
	v_dual_mul_f32 v133, s35, v186 :: v_dual_mul_f32 v134, s35, v185
	;; [unrolled: 1-line block ×3, first 2 shown]
	s_delay_alu instid0(VALU_DEP_3) | instskip(NEXT) | instid1(VALU_DEP_4)
	v_cndmask_b32_e32 v136, 0xff7fffff, v136, vcc_lo
	v_cndmask_b32_e64 v135, 0xff7fffff, v135, s3
	v_mul_f32_e32 v132, s35, v187
	v_cndmask_b32_e64 v134, 0xff7fffff, v134, s4
	v_cndmask_b32_e64 v133, 0xff7fffff, v133, s5
	v_or_b32_e32 v160, 16, v152
	v_max3_f32 v135, v136, 0xff7fffff, v135
	v_or_b32_e32 v161, 18, v152
	v_mul_f32_e32 v130, s35, v189
	v_dual_mul_f32 v172, s35, v140 :: v_dual_mul_f32 v129, s35, v190
	v_cndmask_b32_e64 v132, 0xff7fffff, v132, s6
	v_cndmask_b32_e64 v131, 0xff7fffff, v131, s7
	v_max3_f32 v133, v135, v134, v133
	v_cmp_gt_i32_e64 s8, s30, v158
	v_lshlrev_b32_e32 v158, 2, v151
	v_cmp_gt_i32_e64 s9, s30, v159
	v_or_b32_e32 v162, 20, v152
	v_or_b32_e32 v163, 22, v152
	v_mul_f32_e32 v175, s35, v137
	v_cndmask_b32_e64 v130, 0xff7fffff, v130, s8
	v_cndmask_b32_e64 v129, 0xff7fffff, v129, s9
	v_max3_f32 v131, v133, v132, v131
	v_cmp_gt_i32_e64 s10, s30, v160
	v_cmp_gt_i32_e64 s11, s30, v161
	v_or_b32_e32 v164, 24, v152
	v_or_b32_e32 v165, 26, v152
	v_mul_f32_e32 v173, s35, v139
	v_cndmask_b32_e64 v132, 0xff7fffff, v175, s10
	v_cndmask_b32_e64 v133, 0xff7fffff, v174, s11
	v_max3_f32 v129, v131, v130, v129
	v_cmp_gt_i32_e64 s12, s30, v162
	v_cmp_gt_i32_e64 s13, s30, v163
	v_or_b32_e32 v166, 28, v152
	v_or_b32_e32 v167, 30, v152
	v_dual_mul_f32 v170, s35, v142 :: v_dual_mul_f32 v171, s35, v141
	v_cndmask_b32_e64 v130, 0xff7fffff, v173, s12
	v_cndmask_b32_e64 v131, 0xff7fffff, v172, s13
	v_max3_f32 v129, v129, v132, v133
	v_cmp_gt_i32_e64 s15, s30, v164
	v_cmp_gt_i32_e64 s16, s30, v165
	v_dual_mul_f32 v168, s35, v144 :: v_dual_mul_f32 v169, s35, v143
	s_delay_alu instid0(VALU_DEP_4) | instskip(NEXT) | instid1(VALU_DEP_4)
	v_max3_f32 v129, v129, v130, v131
	v_cndmask_b32_e64 v132, 0xff7fffff, v171, s15
	s_delay_alu instid0(VALU_DEP_4) | instskip(SKIP_2) | instid1(VALU_DEP_3)
	v_cndmask_b32_e64 v133, 0xff7fffff, v170, s16
	v_cmp_gt_i32_e64 s17, s30, v166
	v_cmp_gt_i32_e64 s18, s30, v167
	v_max3_f32 v129, v129, v132, v133
	s_delay_alu instid0(VALU_DEP_3) | instskip(NEXT) | instid1(VALU_DEP_3)
	v_cndmask_b32_e64 v130, 0xff7fffff, v169, s17
	v_cndmask_b32_e64 v131, 0xff7fffff, v168, s18
	s_delay_alu instid0(VALU_DEP_1) | instskip(SKIP_3) | instid1(VALU_DEP_1)
	v_max3_f32 v129, v129, v130, v131
	ds_bpermute_b32 v130, v158, v129
	s_waitcnt lgkmcnt(0)
	v_max_f32_e32 v130, v130, v130
	v_max_f32_e32 v129, v129, v130
	s_delay_alu instid0(VALU_DEP_1)
	v_fma_f32 v130, s35, v183, -v129
	v_fma_f32 v132, s35, v185, -v129
	;; [unrolled: 1-line block ×5, first 2 shown]
	v_mul_f32_e32 v130, 0x3fb8aa3b, v130
	v_mul_f32_e32 v132, 0x3fb8aa3b, v132
	;; [unrolled: 1-line block ×3, first 2 shown]
	v_fma_f32 v135, s35, v189, -v129
	s_delay_alu instid0(VALU_DEP_4) | instskip(NEXT) | instid1(VALU_DEP_3)
	v_exp_f32_e32 v130, v130
	v_exp_f32_e32 v132, v132
	s_delay_alu instid0(VALU_DEP_2) | instskip(NEXT) | instid1(TRANS32_DEP_3)
	v_exp_f32_e32 v134, v134
	v_cndmask_b32_e32 v152, 0, v130, vcc_lo
	v_fma_f32 v130, s35, v188, -v129
	s_waitcnt_depctr 0xfff
	v_cndmask_b32_e64 v153, 0, v132, s4
	v_fma_f32 v132, s35, v190, -v129
	v_mul_f32_e32 v131, 0x3fb8aa3b, v131
	v_cndmask_b32_e64 v155, 0, v134, s6
	v_dual_mul_f32 v130, 0x3fb8aa3b, v130 :: v_dual_mul_f32 v133, 0x3fb8aa3b, v133
	s_delay_alu instid0(VALU_DEP_4) | instskip(NEXT) | instid1(VALU_DEP_4)
	v_mul_f32_e32 v132, 0x3fb8aa3b, v132
	v_exp_f32_e32 v131, v131
	v_fma_f32 v134, s35, v138, -v129
	s_delay_alu instid0(VALU_DEP_3) | instskip(SKIP_2) | instid1(VALU_DEP_1)
	v_exp_f32_e32 v130, v130
	v_exp_f32_e32 v133, v133
	;; [unrolled: 1-line block ×3, first 2 shown]
	v_mul_f32_e32 v134, 0x3fb8aa3b, v134
	v_cndmask_b32_e64 v151, 0, v131, s3
	v_add_f32_e32 v131, 0, v152
	s_delay_alu instid0(TRANS32_DEP_3)
	v_cndmask_b32_e64 v156, 0, v130, s7
	s_waitcnt_depctr 0xfff
	v_cndmask_b32_e64 v154, 0, v133, s5
	v_fma_f32 v133, s35, v137, -v129
	v_exp_f32_e32 v134, v134
	v_add_f32_e32 v131, v131, v151
	v_cmp_gt_u32_e64 s3, 16, v150
	s_delay_alu instid0(VALU_DEP_2) | instskip(NEXT) | instid1(VALU_DEP_1)
	v_add_f32_e32 v131, v131, v153
	v_add_f32_e32 v131, v131, v154
	s_delay_alu instid0(VALU_DEP_1) | instskip(SKIP_2) | instid1(VALU_DEP_3)
	v_add_f32_e32 v130, v131, v155
	v_fma_f32 v131, s35, v139, -v129
	v_fma_f32 v139, s35, v144, -v129
	v_dual_add_f32 v130, v130, v156 :: v_dual_mul_f32 v135, 0x3fb8aa3b, v135
	s_delay_alu instid0(VALU_DEP_1)
	v_exp_f32_e32 v135, v135
	s_waitcnt_depctr 0xfff
	v_cndmask_b32_e64 v157, 0, v135, s8
	v_fma_f32 v135, s35, v140, -v129
	v_cndmask_b32_e64 v140, 0, v132, s9
	v_fma_f32 v132, s35, v141, -v129
	s_delay_alu instid0(VALU_DEP_1) | instskip(SKIP_1) | instid1(VALU_DEP_2)
	v_dual_add_f32 v130, v130, v157 :: v_dual_mul_f32 v137, 0x3fb8aa3b, v132
	v_cndmask_b32_e64 v132, 0, v134, s11
	v_dual_add_f32 v130, v130, v140 :: v_dual_mul_f32 v133, 0x3fb8aa3b, v133
	v_mul_f32_e32 v131, 0x3fb8aa3b, v131
	v_fma_f32 v134, s35, v143, -v129
	v_mul_f32_e32 v135, 0x3fb8aa3b, v135
	s_delay_alu instid0(VALU_DEP_4) | instskip(NEXT) | instid1(VALU_DEP_3)
	v_exp_f32_e32 v133, v133
	v_exp_f32_e32 v136, v131
	s_waitcnt_depctr 0xfff
	v_cndmask_b32_e64 v131, 0, v133, s10
	v_fma_f32 v133, s35, v142, -v129
	s_delay_alu instid0(VALU_DEP_2) | instskip(NEXT) | instid1(VALU_DEP_2)
	v_add_f32_e32 v130, v130, v131
	v_mul_f32_e32 v138, 0x3fb8aa3b, v133
	v_cndmask_b32_e64 v133, 0, v136, s12
	v_mul_f32_e32 v136, 0x3fb8aa3b, v134
	v_exp_f32_e32 v135, v135
	v_add_f32_e32 v130, v130, v132
	v_exp_f32_e32 v138, v138
	s_delay_alu instid0(VALU_DEP_2) | instskip(NEXT) | instid1(VALU_DEP_1)
	v_exp_f32_e32 v141, v136
	v_add_f32_e32 v130, v130, v133
	v_exp_f32_e32 v137, v137
	v_cndmask_b32_e64 v134, 0, v135, s13
	s_delay_alu instid0(TRANS32_DEP_3) | instskip(NEXT) | instid1(VALU_DEP_2)
	v_cndmask_b32_e64 v136, 0, v138, s16
	v_add_f32_e32 v130, v130, v134
	s_waitcnt_depctr 0xfff
	v_cndmask_b32_e64 v135, 0, v137, s15
	v_mul_f32_e32 v137, 0x3fb8aa3b, v139
	s_delay_alu instid0(VALU_DEP_2) | instskip(NEXT) | instid1(VALU_DEP_2)
	v_add_f32_e32 v130, v130, v135
	v_exp_f32_e32 v138, v137
	v_cndmask_b32_e64 v137, 0, v141, s17
	s_delay_alu instid0(VALU_DEP_2) | instskip(NEXT) | instid1(VALU_DEP_1)
	v_add_f32_e32 v130, v130, v136
	v_add_f32_e32 v130, v130, v137
	s_waitcnt_depctr 0xfff
	v_cndmask_b32_e64 v138, 0, v138, s18
	s_delay_alu instid0(VALU_DEP_1)
	v_add_f32_e32 v130, v130, v138
	ds_bpermute_b32 v139, v158, v130
	s_and_saveexec_b32 s4, s3
	s_cbranch_execz .LBB398_12
; %bb.11:
	v_mul_u32_u24_e32 v141, 0x44, v149
	s_delay_alu instid0(VALU_DEP_1) | instskip(SKIP_1) | instid1(VALU_DEP_1)
	v_lshl_add_u32 v141, v148, 2, v141
	s_waitcnt lgkmcnt(0)
	v_dual_add_f32 v130, v130, v139 :: v_dual_add_nc_u32 v139, 0x4000, v141
	ds_store_2addr_b32 v139, v129, v130 offset1:136
.LBB398_12:
	s_or_b32 exec_lo, exec_lo, s4
	v_lshlrev_b32_e32 v129, 2, v148
	s_waitcnt lgkmcnt(0)
	s_barrier
	buffer_gl0_inv
	v_cmp_eq_u32_e64 s4, 1, v149
	v_add_nc_u32_e32 v139, 0x4000, v129
	ds_load_2addr_b32 v[141:142], v139 offset1:17
	ds_load_2addr_b32 v[143:144], v139 offset0:34 offset1:51
	ds_load_2addr_b32 v[158:159], v139 offset0:68 offset1:85
	;; [unrolled: 1-line block ×4, first 2 shown]
	s_waitcnt lgkmcnt(4)
	v_max3_f32 v129, v141, 0xff7fffff, v142
	s_waitcnt lgkmcnt(3)
	s_delay_alu instid0(VALU_DEP_1) | instskip(SKIP_1) | instid1(VALU_DEP_1)
	v_max3_f32 v129, v129, v143, v144
	s_waitcnt lgkmcnt(2)
	v_max3_f32 v129, v129, v158, v159
	s_waitcnt lgkmcnt(1)
	s_delay_alu instid0(VALU_DEP_1) | instskip(NEXT) | instid1(VALU_DEP_1)
	v_max3_f32 v129, v129, v160, v161
	v_sub_f32_e32 v158, v158, v129
	s_delay_alu instid0(VALU_DEP_1) | instskip(NEXT) | instid1(VALU_DEP_1)
	v_dual_sub_f32 v150, v142, v129 :: v_dual_mul_f32 v167, 0x3fb8aa3b, v158
	v_dual_sub_f32 v143, v143, v129 :: v_dual_mul_f32 v150, 0x3fb8aa3b, v150
	s_delay_alu instid0(VALU_DEP_1) | instskip(NEXT) | instid1(VALU_DEP_2)
	v_dual_sub_f32 v130, v141, v129 :: v_dual_mul_f32 v165, 0x3fb8aa3b, v143
	v_exp_f32_e32 v150, v150
	s_delay_alu instid0(VALU_DEP_1) | instskip(NEXT) | instid1(VALU_DEP_2)
	v_mul_f32_e32 v130, 0x3fb8aa3b, v130
	v_exp_f32_e32 v165, v165
	s_delay_alu instid0(VALU_DEP_1) | instskip(SKIP_1) | instid1(VALU_DEP_1)
	v_exp_f32_e32 v164, v130
	v_sub_f32_e32 v130, v144, v129
	v_mul_f32_e32 v166, 0x3fb8aa3b, v130
	s_waitcnt lgkmcnt(0)
	s_waitcnt_depctr 0xfff
	v_fma_f32 v130, v164, v162, 0
	v_sub_f32_e32 v162, v159, v129
	s_delay_alu instid0(VALU_DEP_2)
	v_fmac_f32_e32 v130, v150, v163
	ds_load_2addr_b32 v[141:142], v139 offset0:170 offset1:187
	ds_load_2addr_b32 v[143:144], v139 offset0:204 offset1:221
	;; [unrolled: 1-line block ×3, first 2 shown]
	v_sub_f32_e32 v139, v160, v129
	v_exp_f32_e32 v166, v166
	v_mul_f32_e32 v160, 0x3fb8aa3b, v162
	v_exp_f32_e32 v162, v167
	v_cndmask_b32_e64 v150, v164, v150, s4
	v_mul_f32_e32 v139, 0x3fb8aa3b, v139
	v_cmp_eq_u32_e64 s4, 2, v149
	s_waitcnt lgkmcnt(0)
	s_barrier
	buffer_gl0_inv
	v_exp_f32_e32 v139, v139
	v_cndmask_b32_e64 v150, v150, v165, s4
	v_cmp_eq_u32_e64 s4, 3, v149
	v_fmac_f32_e32 v130, v165, v141
	v_sub_f32_e32 v141, v161, v129
	v_exp_f32_e32 v160, v160
	s_delay_alu instid0(VALU_DEP_3) | instskip(SKIP_1) | instid1(VALU_DEP_3)
	v_cndmask_b32_e64 v150, v150, v166, s4
	v_cmp_eq_u32_e64 s4, 4, v149
	v_dual_fmac_f32 v130, v166, v142 :: v_dual_mul_f32 v141, 0x3fb8aa3b, v141
	s_delay_alu instid0(VALU_DEP_2) | instskip(SKIP_1) | instid1(VALU_DEP_3)
	v_cndmask_b32_e64 v150, v150, v162, s4
	v_cmp_eq_u32_e64 s4, 5, v149
	v_exp_f32_e32 v141, v141
	s_delay_alu instid0(VALU_DEP_3)
	v_fmac_f32_e32 v130, v162, v143
	s_delay_alu instid0(TRANS32_DEP_2) | instid1(VALU_DEP_2)
	v_cndmask_b32_e64 v150, v150, v160, s4
	s_delay_alu instid0(VALU_DEP_2) | instskip(NEXT) | instid1(VALU_DEP_1)
	v_fmac_f32_e32 v130, v160, v144
	v_fmac_f32_e32 v130, v139, v158
	s_waitcnt_depctr 0xfff
	v_fmac_f32_e32 v130, v141, v159
	s_delay_alu instid0(VALU_DEP_1) | instskip(NEXT) | instid1(VALU_DEP_1)
	v_add_f32_e32 v142, 0x358637bd, v130
	v_div_scale_f32 v143, null, v142, v142, 1.0
	v_div_scale_f32 v159, vcc_lo, 1.0, v142, 1.0
	s_delay_alu instid0(VALU_DEP_2) | instskip(SKIP_2) | instid1(VALU_DEP_1)
	v_rcp_f32_e32 v144, v143
	s_waitcnt_depctr 0xfff
	v_fma_f32 v158, -v143, v144, 1.0
	v_fmac_f32_e32 v144, v158, v144
	s_delay_alu instid0(VALU_DEP_1) | instskip(NEXT) | instid1(VALU_DEP_1)
	v_mul_f32_e32 v158, v159, v144
	v_fma_f32 v161, -v143, v158, v159
	s_delay_alu instid0(VALU_DEP_1) | instskip(NEXT) | instid1(VALU_DEP_1)
	v_fmac_f32_e32 v158, v161, v144
	v_fma_f32 v143, -v143, v158, v159
	s_delay_alu instid0(VALU_DEP_1) | instskip(SKIP_1) | instid1(VALU_DEP_2)
	v_div_fmas_f32 v143, v143, v144, v158
	v_cmp_eq_u32_e32 vcc_lo, 6, v149
	v_div_fixup_f32 v142, v143, v142, 1.0
	v_cndmask_b32_e32 v139, v150, v139, vcc_lo
	v_cmp_eq_u32_e32 vcc_lo, 7, v149
	s_delay_alu instid0(VALU_DEP_2) | instskip(NEXT) | instid1(VALU_DEP_1)
	v_cndmask_b32_e32 v139, v139, v141, vcc_lo
	v_mul_f32_e32 v139, v139, v142
	s_delay_alu instid0(VALU_DEP_1) | instskip(SKIP_4) | instid1(VALU_DEP_4)
	v_mul_f32_e32 v153, v139, v153
	v_mul_f32_e32 v142, v139, v152
	;; [unrolled: 1-line block ×5, first 2 shown]
	v_dual_mul_f32 v152, v139, v155 :: v_dual_and_b32 v141, 0x7f800000, v142
	v_mul_f32_e32 v154, v139, v154
	v_mul_f32_e32 v144, v139, v151
	s_delay_alu instid0(VALU_DEP_3) | instskip(SKIP_1) | instid1(SALU_CYCLE_1)
	v_cmp_ne_u32_e32 vcc_lo, 0x7f800000, v141
                                        ; implicit-def: $vgpr141
	s_and_saveexec_b32 s4, vcc_lo
	s_xor_b32 s4, exec_lo, s4
; %bb.13:
	v_bfe_u32 v141, v142, 16, 1
	s_delay_alu instid0(VALU_DEP_1)
	v_add3_u32 v141, v142, v141, 0x7fff
                                        ; implicit-def: $vgpr142
; %bb.14:
	s_and_not1_saveexec_b32 s4, s4
; %bb.15:
	v_and_b32_e32 v141, 0xffff, v142
	v_or_b32_e32 v151, 0x10000, v142
	s_delay_alu instid0(VALU_DEP_2) | instskip(NEXT) | instid1(VALU_DEP_2)
	v_cmp_eq_u32_e32 vcc_lo, 0, v141
	v_cndmask_b32_e32 v141, v151, v142, vcc_lo
; %bb.16:
	s_or_b32 exec_lo, exec_lo, s4
	v_and_b32_e32 v142, 0x7f800000, v144
	s_delay_alu instid0(VALU_DEP_1) | instskip(SKIP_1) | instid1(SALU_CYCLE_1)
	v_cmp_ne_u32_e32 vcc_lo, 0x7f800000, v142
                                        ; implicit-def: $vgpr142
	s_and_saveexec_b32 s4, vcc_lo
	s_xor_b32 s4, exec_lo, s4
; %bb.17:
	v_bfe_u32 v142, v144, 16, 1
	s_delay_alu instid0(VALU_DEP_1)
	v_add3_u32 v142, v144, v142, 0x7fff
                                        ; implicit-def: $vgpr144
; %bb.18:
	s_and_not1_saveexec_b32 s4, s4
; %bb.19:
	v_and_b32_e32 v142, 0xffff, v144
	v_or_b32_e32 v151, 0x10000, v144
	s_delay_alu instid0(VALU_DEP_2) | instskip(NEXT) | instid1(VALU_DEP_2)
	v_cmp_eq_u32_e32 vcc_lo, 0, v142
	v_cndmask_b32_e32 v142, v151, v144, vcc_lo
; %bb.20:
	s_or_b32 exec_lo, exec_lo, s4
	v_and_b32_e32 v144, 0x7f800000, v153
	s_delay_alu instid0(VALU_DEP_1) | instskip(SKIP_1) | instid1(SALU_CYCLE_1)
	v_cmp_ne_u32_e32 vcc_lo, 0x7f800000, v144
                                        ; implicit-def: $vgpr144
	s_and_saveexec_b32 s4, vcc_lo
	s_xor_b32 s4, exec_lo, s4
; %bb.21:
	v_bfe_u32 v144, v153, 16, 1
	s_delay_alu instid0(VALU_DEP_1)
	v_add3_u32 v144, v153, v144, 0x7fff
                                        ; implicit-def: $vgpr153
; %bb.22:
	s_and_not1_saveexec_b32 s4, s4
; %bb.23:
	v_and_b32_e32 v144, 0xffff, v153
	v_or_b32_e32 v151, 0x10000, v153
	s_delay_alu instid0(VALU_DEP_2) | instskip(NEXT) | instid1(VALU_DEP_2)
	v_cmp_eq_u32_e32 vcc_lo, 0, v144
	v_cndmask_b32_e32 v144, v151, v153, vcc_lo
; %bb.24:
	s_or_b32 exec_lo, exec_lo, s4
	v_and_b32_e32 v151, 0x7f800000, v154
	s_delay_alu instid0(VALU_DEP_1) | instskip(SKIP_1) | instid1(SALU_CYCLE_1)
	v_cmp_ne_u32_e32 vcc_lo, 0x7f800000, v151
                                        ; implicit-def: $vgpr151
	s_and_saveexec_b32 s4, vcc_lo
	s_xor_b32 s4, exec_lo, s4
; %bb.25:
	v_bfe_u32 v151, v154, 16, 1
	s_delay_alu instid0(VALU_DEP_1)
	v_add3_u32 v151, v154, v151, 0x7fff
                                        ; implicit-def: $vgpr154
; %bb.26:
	s_and_not1_saveexec_b32 s4, s4
; %bb.27:
	v_and_b32_e32 v151, 0xffff, v154
	v_or_b32_e32 v153, 0x10000, v154
	s_delay_alu instid0(VALU_DEP_2) | instskip(NEXT) | instid1(VALU_DEP_2)
	v_cmp_eq_u32_e32 vcc_lo, 0, v151
	v_cndmask_b32_e32 v151, v153, v154, vcc_lo
; %bb.28:
	s_or_b32 exec_lo, exec_lo, s4
	v_and_b32_e32 v153, 0x7f800000, v152
	s_delay_alu instid0(VALU_DEP_1) | instskip(SKIP_1) | instid1(SALU_CYCLE_1)
	v_cmp_ne_u32_e32 vcc_lo, 0x7f800000, v153
                                        ; implicit-def: $vgpr153
	s_and_saveexec_b32 s4, vcc_lo
	s_xor_b32 s4, exec_lo, s4
; %bb.29:
	v_bfe_u32 v153, v152, 16, 1
	s_delay_alu instid0(VALU_DEP_1)
	v_add3_u32 v153, v152, v153, 0x7fff
                                        ; implicit-def: $vgpr152
; %bb.30:
	s_and_not1_saveexec_b32 s4, s4
; %bb.31:
	v_and_b32_e32 v153, 0xffff, v152
	v_or_b32_e32 v154, 0x10000, v152
	s_delay_alu instid0(VALU_DEP_2) | instskip(NEXT) | instid1(VALU_DEP_2)
	v_cmp_eq_u32_e32 vcc_lo, 0, v153
	v_cndmask_b32_e32 v153, v154, v152, vcc_lo
; %bb.32:
	s_or_b32 exec_lo, exec_lo, s4
	v_and_b32_e32 v152, 0x7f800000, v150
	s_delay_alu instid0(VALU_DEP_1) | instskip(SKIP_1) | instid1(SALU_CYCLE_1)
	v_cmp_ne_u32_e32 vcc_lo, 0x7f800000, v152
                                        ; implicit-def: $vgpr152
	s_and_saveexec_b32 s4, vcc_lo
	s_xor_b32 s4, exec_lo, s4
; %bb.33:
	v_bfe_u32 v152, v150, 16, 1
	s_delay_alu instid0(VALU_DEP_1)
	v_add3_u32 v152, v150, v152, 0x7fff
                                        ; implicit-def: $vgpr150
; %bb.34:
	s_and_not1_saveexec_b32 s4, s4
; %bb.35:
	v_and_b32_e32 v152, 0xffff, v150
	v_or_b32_e32 v154, 0x10000, v150
	s_delay_alu instid0(VALU_DEP_2) | instskip(NEXT) | instid1(VALU_DEP_2)
	v_cmp_eq_u32_e32 vcc_lo, 0, v152
	v_cndmask_b32_e32 v152, v154, v150, vcc_lo
; %bb.36:
	s_or_b32 exec_lo, exec_lo, s4
	v_and_b32_e32 v150, 0x7f800000, v143
	s_delay_alu instid0(VALU_DEP_1) | instskip(SKIP_1) | instid1(SALU_CYCLE_1)
	v_cmp_ne_u32_e32 vcc_lo, 0x7f800000, v150
                                        ; implicit-def: $vgpr150
	s_and_saveexec_b32 s4, vcc_lo
	s_xor_b32 s4, exec_lo, s4
; %bb.37:
	v_bfe_u32 v150, v143, 16, 1
	s_delay_alu instid0(VALU_DEP_1)
	v_add3_u32 v150, v143, v150, 0x7fff
                                        ; implicit-def: $vgpr143
; %bb.38:
	s_and_not1_saveexec_b32 s4, s4
; %bb.39:
	v_and_b32_e32 v150, 0xffff, v143
	v_or_b32_e32 v154, 0x10000, v143
	s_delay_alu instid0(VALU_DEP_2) | instskip(NEXT) | instid1(VALU_DEP_2)
	v_cmp_eq_u32_e32 vcc_lo, 0, v150
	v_cndmask_b32_e32 v150, v154, v143, vcc_lo
; %bb.40:
	s_or_b32 exec_lo, exec_lo, s4
	v_and_b32_e32 v143, 0x7f800000, v140
	s_delay_alu instid0(VALU_DEP_1) | instskip(SKIP_1) | instid1(SALU_CYCLE_1)
	v_cmp_ne_u32_e32 vcc_lo, 0x7f800000, v143
                                        ; implicit-def: $vgpr143
	s_and_saveexec_b32 s4, vcc_lo
	s_xor_b32 s4, exec_lo, s4
; %bb.41:
	v_bfe_u32 v143, v140, 16, 1
	s_delay_alu instid0(VALU_DEP_1)
	v_add3_u32 v143, v140, v143, 0x7fff
                                        ; implicit-def: $vgpr140
; %bb.42:
	s_and_not1_saveexec_b32 s4, s4
; %bb.43:
	v_and_b32_e32 v143, 0xffff, v140
	v_or_b32_e32 v154, 0x10000, v140
	s_delay_alu instid0(VALU_DEP_2) | instskip(NEXT) | instid1(VALU_DEP_2)
	v_cmp_eq_u32_e32 vcc_lo, 0, v143
	v_cndmask_b32_e32 v143, v154, v140, vcc_lo
; %bb.44:
	s_or_b32 exec_lo, exec_lo, s4
	s_load_b64 s[36:37], s[0:1], 0x94
	v_dual_mul_f32 v136, v139, v136 :: v_dual_lshlrev_b32 v155, 4, v146
	s_delay_alu instid0(VALU_DEP_2)
	v_perm_b32 v154, v143, v150, 0x7060302
	v_dual_mul_f32 v143, v139, v131 :: v_dual_lshlrev_b32 v140, 6, v148
	v_dual_mul_f32 v135, v139, v135 :: v_dual_lshlrev_b32 v150, 11, v149
	v_perm_b32 v153, v152, v153, 0x7060302
	v_perm_b32 v152, v151, v144, 0x7060302
	;; [unrolled: 1-line block ×3, first 2 shown]
	s_delay_alu instid0(VALU_DEP_4)
	v_or3_b32 v131, v155, v150, v140
	v_mul_f32_e32 v138, v139, v138
	v_dual_mul_f32 v137, v139, v137 :: v_dual_and_b32 v144, 0x7f800000, v143
	v_mul_f32_e32 v141, v139, v134
	v_mul_f32_e32 v142, v139, v133
	;; [unrolled: 1-line block ×3, first 2 shown]
	s_mov_b32 s4, exec_lo
	ds_store_b128 v131, v[151:154]
                                        ; implicit-def: $vgpr132
	v_cmpx_ne_u32_e32 0x7f800000, v144
	s_xor_b32 s4, exec_lo, s4
; %bb.45:
	v_bfe_u32 v132, v143, 16, 1
	s_delay_alu instid0(VALU_DEP_1)
	v_add3_u32 v132, v143, v132, 0x7fff
                                        ; implicit-def: $vgpr143
; %bb.46:
	s_and_not1_saveexec_b32 s4, s4
; %bb.47:
	v_and_b32_e32 v132, 0xffff, v143
	v_or_b32_e32 v133, 0x10000, v143
	s_delay_alu instid0(VALU_DEP_2) | instskip(NEXT) | instid1(VALU_DEP_2)
	v_cmp_eq_u32_e32 vcc_lo, 0, v132
	v_cndmask_b32_e32 v132, v133, v143, vcc_lo
; %bb.48:
	s_or_b32 exec_lo, exec_lo, s4
	v_and_b32_e32 v133, 0x7f800000, v134
	s_delay_alu instid0(VALU_DEP_1) | instskip(SKIP_1) | instid1(SALU_CYCLE_1)
	v_cmp_ne_u32_e32 vcc_lo, 0x7f800000, v133
                                        ; implicit-def: $vgpr133
	s_and_saveexec_b32 s4, vcc_lo
	s_xor_b32 s4, exec_lo, s4
; %bb.49:
	v_bfe_u32 v133, v134, 16, 1
	s_delay_alu instid0(VALU_DEP_1)
	v_add3_u32 v133, v134, v133, 0x7fff
                                        ; implicit-def: $vgpr134
; %bb.50:
	s_and_not1_saveexec_b32 s4, s4
; %bb.51:
	v_and_b32_e32 v133, 0xffff, v134
	v_or_b32_e32 v139, 0x10000, v134
	s_delay_alu instid0(VALU_DEP_2) | instskip(NEXT) | instid1(VALU_DEP_2)
	v_cmp_eq_u32_e32 vcc_lo, 0, v133
	v_cndmask_b32_e32 v133, v139, v134, vcc_lo
; %bb.52:
	s_or_b32 exec_lo, exec_lo, s4
	v_and_b32_e32 v134, 0x7f800000, v142
	s_delay_alu instid0(VALU_DEP_1) | instskip(SKIP_1) | instid1(SALU_CYCLE_1)
	v_cmp_ne_u32_e32 vcc_lo, 0x7f800000, v134
                                        ; implicit-def: $vgpr134
	s_and_saveexec_b32 s4, vcc_lo
	s_xor_b32 s4, exec_lo, s4
; %bb.53:
	v_bfe_u32 v134, v142, 16, 1
	s_delay_alu instid0(VALU_DEP_1)
	v_add3_u32 v134, v142, v134, 0x7fff
                                        ; implicit-def: $vgpr142
; %bb.54:
	s_and_not1_saveexec_b32 s4, s4
; %bb.55:
	v_and_b32_e32 v134, 0xffff, v142
	v_or_b32_e32 v139, 0x10000, v142
	s_delay_alu instid0(VALU_DEP_2) | instskip(NEXT) | instid1(VALU_DEP_2)
	v_cmp_eq_u32_e32 vcc_lo, 0, v134
	v_cndmask_b32_e32 v134, v139, v142, vcc_lo
; %bb.56:
	s_or_b32 exec_lo, exec_lo, s4
	v_and_b32_e32 v139, 0x7f800000, v141
	s_delay_alu instid0(VALU_DEP_1) | instskip(SKIP_1) | instid1(SALU_CYCLE_1)
	v_cmp_ne_u32_e32 vcc_lo, 0x7f800000, v139
                                        ; implicit-def: $vgpr139
	s_and_saveexec_b32 s4, vcc_lo
	s_xor_b32 s4, exec_lo, s4
; %bb.57:
	v_bfe_u32 v139, v141, 16, 1
	s_delay_alu instid0(VALU_DEP_1)
	v_add3_u32 v139, v141, v139, 0x7fff
                                        ; implicit-def: $vgpr141
; %bb.58:
	s_and_not1_saveexec_b32 s4, s4
; %bb.59:
	v_and_b32_e32 v139, 0xffff, v141
	v_or_b32_e32 v142, 0x10000, v141
	s_delay_alu instid0(VALU_DEP_2) | instskip(NEXT) | instid1(VALU_DEP_2)
	v_cmp_eq_u32_e32 vcc_lo, 0, v139
	v_cndmask_b32_e32 v139, v142, v141, vcc_lo
; %bb.60:
	s_or_b32 exec_lo, exec_lo, s4
	v_and_b32_e32 v141, 0x7f800000, v135
	s_delay_alu instid0(VALU_DEP_1) | instskip(SKIP_1) | instid1(SALU_CYCLE_1)
	v_cmp_ne_u32_e32 vcc_lo, 0x7f800000, v141
                                        ; implicit-def: $vgpr141
	s_and_saveexec_b32 s4, vcc_lo
	s_xor_b32 s4, exec_lo, s4
; %bb.61:
	v_bfe_u32 v141, v135, 16, 1
	s_delay_alu instid0(VALU_DEP_1)
	v_add3_u32 v141, v135, v141, 0x7fff
                                        ; implicit-def: $vgpr135
; %bb.62:
	s_and_not1_saveexec_b32 s4, s4
; %bb.63:
	v_and_b32_e32 v141, 0xffff, v135
	v_or_b32_e32 v142, 0x10000, v135
	s_delay_alu instid0(VALU_DEP_2) | instskip(NEXT) | instid1(VALU_DEP_2)
	v_cmp_eq_u32_e32 vcc_lo, 0, v141
	v_cndmask_b32_e32 v141, v142, v135, vcc_lo
; %bb.64:
	s_or_b32 exec_lo, exec_lo, s4
	v_and_b32_e32 v135, 0x7f800000, v136
	s_delay_alu instid0(VALU_DEP_1) | instskip(SKIP_1) | instid1(SALU_CYCLE_1)
	v_cmp_ne_u32_e32 vcc_lo, 0x7f800000, v135
                                        ; implicit-def: $vgpr135
	s_and_saveexec_b32 s4, vcc_lo
	s_xor_b32 s4, exec_lo, s4
; %bb.65:
	v_bfe_u32 v135, v136, 16, 1
	s_delay_alu instid0(VALU_DEP_1)
	v_add3_u32 v135, v136, v135, 0x7fff
                                        ; implicit-def: $vgpr136
; %bb.66:
	s_and_not1_saveexec_b32 s4, s4
; %bb.67:
	v_and_b32_e32 v135, 0xffff, v136
	v_or_b32_e32 v142, 0x10000, v136
	s_delay_alu instid0(VALU_DEP_2) | instskip(NEXT) | instid1(VALU_DEP_2)
	v_cmp_eq_u32_e32 vcc_lo, 0, v135
	v_cndmask_b32_e32 v135, v142, v136, vcc_lo
; %bb.68:
	s_or_b32 exec_lo, exec_lo, s4
	v_and_b32_e32 v136, 0x7f800000, v137
	s_delay_alu instid0(VALU_DEP_1) | instskip(SKIP_1) | instid1(SALU_CYCLE_1)
	v_cmp_ne_u32_e32 vcc_lo, 0x7f800000, v136
                                        ; implicit-def: $vgpr136
	s_and_saveexec_b32 s4, vcc_lo
	s_xor_b32 s4, exec_lo, s4
; %bb.69:
	v_bfe_u32 v136, v137, 16, 1
	s_delay_alu instid0(VALU_DEP_1)
	v_add3_u32 v136, v137, v136, 0x7fff
                                        ; implicit-def: $vgpr137
; %bb.70:
	s_and_not1_saveexec_b32 s4, s4
; %bb.71:
	v_and_b32_e32 v136, 0xffff, v137
	v_or_b32_e32 v142, 0x10000, v137
	s_delay_alu instid0(VALU_DEP_2) | instskip(NEXT) | instid1(VALU_DEP_2)
	v_cmp_eq_u32_e32 vcc_lo, 0, v136
	v_cndmask_b32_e32 v136, v142, v137, vcc_lo
; %bb.72:
	s_or_b32 exec_lo, exec_lo, s4
	v_and_b32_e32 v137, 0x7f800000, v138
	s_delay_alu instid0(VALU_DEP_1) | instskip(SKIP_1) | instid1(SALU_CYCLE_1)
	v_cmp_ne_u32_e32 vcc_lo, 0x7f800000, v137
                                        ; implicit-def: $vgpr137
	s_and_saveexec_b32 s4, vcc_lo
	s_xor_b32 s4, exec_lo, s4
; %bb.73:
	v_bfe_u32 v137, v138, 16, 1
	s_delay_alu instid0(VALU_DEP_1)
	v_add3_u32 v137, v138, v137, 0x7fff
                                        ; implicit-def: $vgpr138
; %bb.74:
	s_and_not1_saveexec_b32 s4, s4
; %bb.75:
	v_and_b32_e32 v137, 0xffff, v138
	v_or_b32_e32 v142, 0x10000, v138
	s_delay_alu instid0(VALU_DEP_2) | instskip(NEXT) | instid1(VALU_DEP_2)
	v_cmp_eq_u32_e32 vcc_lo, 0, v137
	v_cndmask_b32_e32 v137, v142, v138, vcc_lo
; %bb.76:
	s_or_b32 exec_lo, exec_lo, s4
	s_delay_alu instid0(VALU_DEP_1)
	v_perm_b32 v136, v137, v136, 0x7060302
	v_perm_b32 v135, v135, v141, 0x7060302
	;; [unrolled: 1-line block ×4, first 2 shown]
	v_lshl_or_b32 v141, v149, 11, v140
	ds_store_b128 v131, v[133:136] offset:1024
	s_waitcnt lgkmcnt(0)
	s_barrier
	buffer_gl0_inv
	ds_load_b128 v[132:135], v141
	ds_load_b128 v[149:152], v141 offset:16
	s_waitcnt lgkmcnt(1)
	v_lshrrev_b32_e32 v136, 16, v132
	s_waitcnt lgkmcnt(0)
	v_lshrrev_b32_e32 v164, 16, v151
	v_lshlrev_b32_e32 v138, 2, v146
	v_lshrrev_b32_e32 v143, 16, v149
	v_lshrrev_b32_e32 v162, 16, v150
	;; [unrolled: 1-line block ×4, first 2 shown]
	v_or_b32_e32 v139, 1, v138
	v_lshrrev_b32_e32 v165, 16, v152
	v_lshrrev_b32_e32 v163, 16, v135
	s_delay_alu instid0(VALU_DEP_3)
	v_cmp_eq_u32_e64 s8, 1, v139
	v_cmp_eq_u32_e64 s7, 2, v139
	;; [unrolled: 1-line block ×4, first 2 shown]
	v_cmp_eq_u32_e32 vcc_lo, 5, v139
	v_cndmask_b32_e64 v155, v149, v143, s8
	v_cndmask_b32_e64 v154, v132, v136, s8
	v_cmp_eq_u32_e64 s5, 6, v139
	v_cmp_eq_u32_e64 s20, 7, v139
	s_delay_alu instid0(VALU_DEP_4) | instskip(NEXT) | instid1(VALU_DEP_4)
	v_cndmask_b32_e64 v155, v155, v150, s7
	v_cndmask_b32_e64 v154, v154, v133, s7
	s_delay_alu instid0(VALU_DEP_2) | instskip(NEXT) | instid1(VALU_DEP_2)
	v_cndmask_b32_e64 v155, v155, v162, s6
	v_cndmask_b32_e64 v154, v154, v144, s6
	s_delay_alu instid0(VALU_DEP_2) | instskip(NEXT) | instid1(VALU_DEP_2)
	v_cndmask_b32_e64 v155, v155, v151, s4
	v_cndmask_b32_e64 v154, v154, v134, s4
	s_delay_alu instid0(VALU_DEP_2)
	v_cndmask_b32_e32 v157, v155, v164, vcc_lo
	v_cmp_eq_u32_e64 s13, 1, v138
	v_cmp_eq_u32_e64 s12, 2, v138
	;; [unrolled: 1-line block ×3, first 2 shown]
	v_or_b32_e32 v137, 2, v138
	v_cmp_eq_u32_e64 s18, 4, v138
	v_cndmask_b32_e64 v153, v149, v143, s13
	v_cndmask_b32_e64 v142, v132, v136, s13
	v_cmp_eq_u32_e64 s15, 5, v138
	v_cmp_eq_u32_e64 s9, 1, v137
	;; [unrolled: 1-line block ×3, first 2 shown]
	v_cndmask_b32_e64 v153, v153, v150, s12
	v_cndmask_b32_e64 v142, v142, v133, s12
	v_cmp_eq_u32_e64 s11, 2, v137
	v_cndmask_b32_e64 v156, v132, v136, s9
	v_cndmask_b32_e32 v154, v154, v161, vcc_lo
	v_cndmask_b32_e64 v153, v153, v162, s17
	v_cndmask_b32_e64 v142, v142, v144, s17
	v_cmp_eq_u32_e64 s10, 7, v138
	v_cndmask_b32_e64 v156, v156, v133, s11
	v_cmp_eq_u32_e64 s19, 3, v137
	v_cndmask_b32_e64 v153, v153, v151, s18
	v_cndmask_b32_e64 v142, v142, v134, s18
	;; [unrolled: 1-line block ×3, first 2 shown]
	v_cmp_eq_u32_e64 s21, 4, v137
	v_cndmask_b32_e64 v156, v156, v144, s19
	v_cndmask_b32_e64 v153, v153, v164, s15
	;; [unrolled: 1-line block ×4, first 2 shown]
	v_cmp_eq_u32_e64 s23, 5, v137
	v_cndmask_b32_e64 v159, v156, v134, s21
	v_cndmask_b32_e64 v153, v153, v152, s16
	;; [unrolled: 1-line block ×3, first 2 shown]
	v_cmp_eq_u32_e64 s26, 6, v137
	v_cmp_eq_u32_e64 s28, 7, v137
	v_cndmask_b32_e64 v169, v159, v161, s23
	v_cndmask_b32_e64 v167, v153, v165, s10
	;; [unrolled: 1-line block ×4, first 2 shown]
	v_or_b32_e32 v142, 3, v138
	s_delay_alu instid0(VALU_DEP_3)
	v_cndmask_b32_e64 v158, v153, v150, s11
	ds_load_b128 v[153:156], v141 offset:1024
	v_cmp_eq_u32_e64 s22, 1, v142
	v_cmp_eq_u32_e64 s24, 2, v142
	;; [unrolled: 1-line block ×3, first 2 shown]
	v_cndmask_b32_e64 v158, v158, v162, s19
	v_cmp_eq_u32_e64 s27, 4, v142
	v_cndmask_b32_e64 v132, v132, v136, s22
	v_cndmask_b32_e64 v136, v157, v152, s5
	;; [unrolled: 1-line block ×4, first 2 shown]
	ds_load_b128 v[157:160], v141 offset:1040
	v_cndmask_b32_e64 v132, v132, v133, s24
	v_cmp_eq_u32_e64 s29, 5, v142
	v_cndmask_b32_e64 v143, v143, v150, s24
	v_cmp_eq_u32_e64 s30, 6, v142
	v_cndmask_b32_e64 v133, v170, v164, s23
	v_cndmask_b32_e64 v132, v132, v144, s25
	;; [unrolled: 1-line block ×5, first 2 shown]
	s_waitcnt lgkmcnt(1)
	v_lshrrev_b32_e32 v149, 16, v153
	v_cndmask_b32_e64 v132, v132, v134, s27
	v_cndmask_b32_e64 v133, v133, v152, s26
	v_cndmask_b32_e64 v134, v143, v151, s27
	v_lshrrev_b32_e32 v151, 16, v154
	v_cndmask_b32_e64 v143, v153, v149, s13
	v_cndmask_b32_e64 v132, v132, v161, s29
	;; [unrolled: 1-line block ×5, first 2 shown]
	s_waitcnt lgkmcnt(0)
	v_lshrrev_b32_e32 v150, 16, v157
	v_cndmask_b32_e64 v143, v143, v154, s12
	v_cndmask_b32_e64 v132, v132, v135, s30
	;; [unrolled: 1-line block ×3, first 2 shown]
	v_lshrrev_b32_e32 v164, 16, v159
	v_cndmask_b32_e64 v162, v157, v150, s13
	v_cndmask_b32_e64 v135, v143, v151, s17
	;; [unrolled: 1-line block ×3, first 2 shown]
	v_lshrrev_b32_e32 v161, 16, v158
	v_cndmask_b32_e64 v133, v133, v165, s28
	v_cndmask_b32_e64 v152, v162, v158, s12
	v_cmp_eq_u32_e64 s12, 7, v142
	v_cndmask_b32_e64 v143, v143, v151, s6
	v_cndmask_b32_e64 v135, v135, v155, s18
	v_lshrrev_b32_e32 v162, 16, v155
	v_cndmask_b32_e64 v152, v152, v161, s17
	v_cndmask_b32_e64 v132, v132, v163, s12
	;; [unrolled: 1-line block ×6, first 2 shown]
	s_delay_alu instid0(VALU_DEP_4) | instskip(NEXT) | instid1(VALU_DEP_4)
	v_perm_b32 v135, v134, v132, 0x5040100
	v_cndmask_b32_e32 v132, v143, v162, vcc_lo
	s_delay_alu instid0(VALU_DEP_4)
	v_cndmask_b32_e64 v143, v163, v156, s16
	v_lshrrev_b32_e32 v163, 16, v156
	v_cndmask_b32_e64 v152, v152, v164, s15
	v_perm_b32 v134, v133, v144, 0x5040100
	v_cndmask_b32_e64 v132, v132, v156, s5
	v_perm_b32 v133, v136, v168, 0x5040100
	v_cndmask_b32_e64 v136, v143, v163, s10
	v_cndmask_b32_e64 v143, v152, v160, s16
	;; [unrolled: 1-line block ×13, first 2 shown]
	v_lshrrev_b32_e32 v144, 16, v160
	v_cndmask_b32_e64 v132, v132, v151, s19
	v_cndmask_b32_e64 v149, v149, v151, s25
	v_cndmask_b32_e64 v151, v152, v161, s25
	v_cndmask_b32_e64 v152, v153, v161, s19
	v_cndmask_b32_e64 v150, v150, v161, s6
	v_cndmask_b32_e64 v132, v132, v155, s21
	v_cndmask_b32_e64 v149, v149, v155, s27
	v_cndmask_b32_e64 v151, v151, v159, s27
	v_cndmask_b32_e64 v152, v152, v159, s21
	v_cndmask_b32_e64 v150, v150, v159, s4
	v_cndmask_b32_e64 v132, v132, v162, s23
	v_cndmask_b32_e64 v149, v149, v162, s29
	v_cndmask_b32_e64 v151, v151, v164, s29
	v_cndmask_b32_e64 v152, v152, v164, s23
	v_cndmask_b32_e32 v150, v150, v164, vcc_lo
	v_cndmask_b32_e64 v132, v132, v156, s26
	v_cndmask_b32_e64 v149, v149, v156, s30
	;; [unrolled: 1-line block ×11, first 2 shown]
	v_perm_b32 v132, v167, v166, 0x5040100
	v_perm_b32 v152, v151, v149, 0x5040100
	;; [unrolled: 1-line block ×5, first 2 shown]
	s_mul_i32 s9, s37, 13
	s_mov_b32 s4, exec_lo
	ds_store_b128 v131, v[132:135]
	ds_store_b128 v131, v[149:152] offset:1024
	v_cmpx_gt_u32_e32 13, v0
	s_cbranch_execz .LBB398_78
; %bb.77:
	s_mul_i32 s5, s9, s34
	s_load_b128 s[16:19], s[0:1], 0x58
	v_add3_u32 v133, s5, s31, v148
	s_delay_alu instid0(VALU_DEP_1) | instskip(NEXT) | instid1(VALU_DEP_1)
	v_mad_u64_u32 v[131:132], null, v133, s36, s[14:15]
	v_ashrrev_i32_e32 v132, 31, v131
	s_delay_alu instid0(VALU_DEP_1) | instskip(SKIP_1) | instid1(VALU_DEP_1)
	v_lshlrev_b64 v[131:132], 2, v[131:132]
	s_waitcnt lgkmcnt(0)
	v_add_co_u32 v133, vcc_lo, s18, v131
	s_delay_alu instid0(VALU_DEP_2)
	v_add_co_ci_u32_e32 v134, vcc_lo, s19, v132, vcc_lo
	v_add_co_u32 v131, vcc_lo, s16, v131
	v_add_co_ci_u32_e32 v132, vcc_lo, s17, v132, vcc_lo
	global_store_b32 v[133:134], v129, off
	global_store_b32 v[131:132], v130, off
.LBB398_78:
	s_or_b32 exec_lo, exec_lo, s4
	s_waitcnt lgkmcnt(0)
	s_waitcnt_vscnt null, 0x0
	s_barrier
	buffer_gl0_inv
	ds_load_b128 v[148:151], v140
	ds_load_b128 v[152:155], v140 offset:16
	ds_load_b128 v[160:163], v140 offset:1040
	;; [unrolled: 1-line block ×3, first 2 shown]
	v_mov_b32_e32 v129, 0
	ds_load_b128 v[168:171], v140 offset:2064
	ds_load_b128 v[164:167], v140 offset:2048
	;; [unrolled: 1-line block ×6, first 2 shown]
	v_mov_b32_e32 v130, v129
	v_mov_b32_e32 v131, v129
	;; [unrolled: 1-line block ×7, first 2 shown]
	s_waitcnt lgkmcnt(8)
	s_delay_alu instid0(VALU_DEP_1)
	v_wmma_f32_16x16x16_bf16 v[129:136], v[121:128], v[148:155], v[129:136]
	ds_load_b128 v[125:128], v140 offset:5136
	ds_load_b128 v[121:124], v140 offset:5120
	s_waitcnt lgkmcnt(8)
	v_wmma_f32_16x16x16_bf16 v[129:136], v[113:120], v[156:163], v[129:136]
	ds_load_b128 v[117:120], v140 offset:6160
	ds_load_b128 v[113:116], v140 offset:6144
	s_waitcnt lgkmcnt(8)
	;; [unrolled: 4-line block ×8, first 2 shown]
	v_wmma_f32_16x16x16_bf16 v[129:136], v[65:72], v[97:104], v[129:136]
	s_waitcnt lgkmcnt(6)
	s_delay_alu instid0(VALU_DEP_1)
	v_wmma_f32_16x16x16_bf16 v[129:136], v[49:56], v[89:96], v[129:136]
	ds_load_b128 v[53:56], v140 offset:13328
	ds_load_b128 v[49:52], v140 offset:13312
	s_waitcnt lgkmcnt(6)
	v_wmma_f32_16x16x16_bf16 v[129:136], v[41:48], v[81:88], v[129:136]
	ds_load_b128 v[45:48], v140 offset:14352
	ds_load_b128 v[41:44], v140 offset:14336
	s_waitcnt lgkmcnt(6)
	;; [unrolled: 4-line block ×3, first 2 shown]
	v_wmma_f32_16x16x16_bf16 v[129:136], v[1:8], v[57:64], v[129:136]
	s_waitcnt lgkmcnt(4)
	s_delay_alu instid0(VALU_DEP_1) | instskip(SKIP_1) | instid1(VALU_DEP_1)
	v_wmma_f32_16x16x16_bf16 v[129:136], v[25:32], v[49:56], v[129:136]
	s_waitcnt lgkmcnt(2)
	v_wmma_f32_16x16x16_bf16 v[129:136], v[33:40], v[41:48], v[129:136]
	s_waitcnt lgkmcnt(0)
	s_delay_alu instid0(VALU_DEP_1) | instskip(NEXT) | instid1(VALU_DEP_1)
	v_wmma_f32_16x16x16_bf16 v[129:136], v[9:16], v[17:24], v[129:136]
	v_and_b32_e32 v1, 0x7f800000, v129
	s_delay_alu instid0(VALU_DEP_1) | instskip(SKIP_1) | instid1(SALU_CYCLE_1)
	v_cmp_ne_u32_e32 vcc_lo, 0x7f800000, v1
                                        ; implicit-def: $vgpr1
	s_and_saveexec_b32 s4, vcc_lo
	s_xor_b32 s4, exec_lo, s4
; %bb.79:
	v_bfe_u32 v1, v129, 16, 1
	s_delay_alu instid0(VALU_DEP_1)
	v_add3_u32 v1, v129, v1, 0x7fff
; %bb.80:
	s_and_not1_saveexec_b32 s4, s4
; %bb.81:
	v_and_b32_e32 v1, 0xffff, v129
	v_or_b32_e32 v2, 0x10000, v129
	s_delay_alu instid0(VALU_DEP_2) | instskip(NEXT) | instid1(VALU_DEP_2)
	v_cmp_eq_u32_e32 vcc_lo, 0, v1
	v_cndmask_b32_e32 v1, v2, v129, vcc_lo
; %bb.82:
	s_or_b32 exec_lo, exec_lo, s4
	v_and_b32_e32 v2, 0x7f800000, v130
	s_delay_alu instid0(VALU_DEP_1) | instskip(SKIP_1) | instid1(SALU_CYCLE_1)
	v_cmp_ne_u32_e32 vcc_lo, 0x7f800000, v2
                                        ; implicit-def: $vgpr2
	s_and_saveexec_b32 s4, vcc_lo
	s_xor_b32 s4, exec_lo, s4
; %bb.83:
	v_bfe_u32 v2, v130, 16, 1
	s_delay_alu instid0(VALU_DEP_1)
	v_add3_u32 v2, v130, v2, 0x7fff
; %bb.84:
	s_and_not1_saveexec_b32 s4, s4
; %bb.85:
	v_and_b32_e32 v2, 0xffff, v130
	v_or_b32_e32 v3, 0x10000, v130
	s_delay_alu instid0(VALU_DEP_2) | instskip(NEXT) | instid1(VALU_DEP_2)
	v_cmp_eq_u32_e32 vcc_lo, 0, v2
	v_cndmask_b32_e32 v2, v3, v130, vcc_lo
; %bb.86:
	s_or_b32 exec_lo, exec_lo, s4
	v_and_b32_e32 v3, 0x7f800000, v131
	s_delay_alu instid0(VALU_DEP_1) | instskip(SKIP_1) | instid1(SALU_CYCLE_1)
	v_cmp_ne_u32_e32 vcc_lo, 0x7f800000, v3
                                        ; implicit-def: $vgpr3
	s_and_saveexec_b32 s4, vcc_lo
	s_xor_b32 s4, exec_lo, s4
; %bb.87:
	v_bfe_u32 v3, v131, 16, 1
	s_delay_alu instid0(VALU_DEP_1)
	v_add3_u32 v3, v131, v3, 0x7fff
; %bb.88:
	s_and_not1_saveexec_b32 s4, s4
; %bb.89:
	v_and_b32_e32 v3, 0xffff, v131
	v_or_b32_e32 v4, 0x10000, v131
	s_delay_alu instid0(VALU_DEP_2) | instskip(NEXT) | instid1(VALU_DEP_2)
	v_cmp_eq_u32_e32 vcc_lo, 0, v3
	v_cndmask_b32_e32 v3, v4, v131, vcc_lo
; %bb.90:
	s_or_b32 exec_lo, exec_lo, s4
	v_and_b32_e32 v4, 0x7f800000, v132
	s_delay_alu instid0(VALU_DEP_1) | instskip(SKIP_1) | instid1(SALU_CYCLE_1)
	v_cmp_ne_u32_e32 vcc_lo, 0x7f800000, v4
                                        ; implicit-def: $vgpr4
	s_and_saveexec_b32 s4, vcc_lo
	s_xor_b32 s4, exec_lo, s4
; %bb.91:
	v_bfe_u32 v4, v132, 16, 1
	s_delay_alu instid0(VALU_DEP_1)
	v_add3_u32 v4, v132, v4, 0x7fff
; %bb.92:
	s_and_not1_saveexec_b32 s4, s4
; %bb.93:
	v_and_b32_e32 v4, 0xffff, v132
	v_or_b32_e32 v5, 0x10000, v132
	s_delay_alu instid0(VALU_DEP_2) | instskip(NEXT) | instid1(VALU_DEP_2)
	v_cmp_eq_u32_e32 vcc_lo, 0, v4
	v_cndmask_b32_e32 v4, v5, v132, vcc_lo
; %bb.94:
	s_or_b32 exec_lo, exec_lo, s4
	v_and_b32_e32 v5, 0x7f800000, v133
	s_delay_alu instid0(VALU_DEP_1) | instskip(SKIP_1) | instid1(SALU_CYCLE_1)
	v_cmp_ne_u32_e32 vcc_lo, 0x7f800000, v5
                                        ; implicit-def: $vgpr5
	s_and_saveexec_b32 s4, vcc_lo
	s_xor_b32 s4, exec_lo, s4
; %bb.95:
	v_bfe_u32 v5, v133, 16, 1
	s_delay_alu instid0(VALU_DEP_1)
	v_add3_u32 v5, v133, v5, 0x7fff
; %bb.96:
	s_and_not1_saveexec_b32 s4, s4
; %bb.97:
	v_and_b32_e32 v5, 0xffff, v133
	v_or_b32_e32 v6, 0x10000, v133
	s_delay_alu instid0(VALU_DEP_2) | instskip(NEXT) | instid1(VALU_DEP_2)
	v_cmp_eq_u32_e32 vcc_lo, 0, v5
	v_cndmask_b32_e32 v5, v6, v133, vcc_lo
; %bb.98:
	s_or_b32 exec_lo, exec_lo, s4
	v_and_b32_e32 v6, 0x7f800000, v134
	s_delay_alu instid0(VALU_DEP_1) | instskip(SKIP_1) | instid1(SALU_CYCLE_1)
	v_cmp_ne_u32_e32 vcc_lo, 0x7f800000, v6
                                        ; implicit-def: $vgpr6
	s_and_saveexec_b32 s4, vcc_lo
	s_xor_b32 s4, exec_lo, s4
; %bb.99:
	v_bfe_u32 v6, v134, 16, 1
	s_delay_alu instid0(VALU_DEP_1)
	v_add3_u32 v6, v134, v6, 0x7fff
; %bb.100:
	s_and_not1_saveexec_b32 s4, s4
; %bb.101:
	v_and_b32_e32 v6, 0xffff, v134
	v_or_b32_e32 v7, 0x10000, v134
	s_delay_alu instid0(VALU_DEP_2) | instskip(NEXT) | instid1(VALU_DEP_2)
	v_cmp_eq_u32_e32 vcc_lo, 0, v6
	v_cndmask_b32_e32 v6, v7, v134, vcc_lo
; %bb.102:
	s_or_b32 exec_lo, exec_lo, s4
	v_and_b32_e32 v7, 0x7f800000, v135
	s_delay_alu instid0(VALU_DEP_1) | instskip(SKIP_1) | instid1(SALU_CYCLE_1)
	v_cmp_ne_u32_e32 vcc_lo, 0x7f800000, v7
                                        ; implicit-def: $vgpr7
	s_and_saveexec_b32 s4, vcc_lo
	s_xor_b32 s4, exec_lo, s4
; %bb.103:
	v_bfe_u32 v7, v135, 16, 1
	s_delay_alu instid0(VALU_DEP_1)
	v_add3_u32 v7, v135, v7, 0x7fff
; %bb.104:
	s_and_not1_saveexec_b32 s4, s4
; %bb.105:
	v_and_b32_e32 v7, 0xffff, v135
	v_or_b32_e32 v8, 0x10000, v135
	s_delay_alu instid0(VALU_DEP_2) | instskip(NEXT) | instid1(VALU_DEP_2)
	v_cmp_eq_u32_e32 vcc_lo, 0, v7
	v_cndmask_b32_e32 v7, v8, v135, vcc_lo
; %bb.106:
	s_or_b32 exec_lo, exec_lo, s4
	v_and_b32_e32 v8, 0x7f800000, v136
	s_delay_alu instid0(VALU_DEP_1) | instskip(SKIP_1) | instid1(SALU_CYCLE_1)
	v_cmp_ne_u32_e32 vcc_lo, 0x7f800000, v8
                                        ; implicit-def: $vgpr8
	s_and_saveexec_b32 s4, vcc_lo
	s_xor_b32 s4, exec_lo, s4
; %bb.107:
	v_bfe_u32 v8, v136, 16, 1
	s_delay_alu instid0(VALU_DEP_1)
	v_add3_u32 v8, v136, v8, 0x7fff
                                        ; implicit-def: $vgpr129_vgpr130_vgpr131_vgpr132_vgpr133_vgpr134_vgpr135_vgpr136
; %bb.108:
	s_and_not1_saveexec_b32 s4, s4
; %bb.109:
	v_and_b32_e32 v8, 0xffff, v136
	v_or_b32_e32 v9, 0x10000, v136
	s_delay_alu instid0(VALU_DEP_2) | instskip(NEXT) | instid1(VALU_DEP_2)
	v_cmp_eq_u32_e32 vcc_lo, 0, v8
	v_cndmask_b32_e32 v8, v9, v136, vcc_lo
; %bb.110:
	s_or_b32 exec_lo, exec_lo, s4
	s_delay_alu instid0(VALU_DEP_1)
	v_perm_b32 v7, v8, v7, 0x7060302
	v_perm_b32 v6, v6, v5, 0x7060302
	;; [unrolled: 1-line block ×4, first 2 shown]
	v_lshl_or_b32 v9, v146, 4, v141
	s_barrier
	buffer_gl0_inv
	v_cmp_eq_u32_e32 vcc_lo, 1, v138
	ds_store_b128 v9, v[4:7]
	s_waitcnt lgkmcnt(0)
	s_barrier
	buffer_gl0_inv
	ds_load_b128 v[1:4], v141
	ds_load_b128 v[5:8], v141 offset:16
	v_cmp_eq_u32_e64 s5, 2, v138
	v_cmp_eq_u32_e64 s4, 1, v139
	;; [unrolled: 1-line block ×5, first 2 shown]
	s_waitcnt lgkmcnt(1)
	v_lshrrev_b32_e32 v10, 16, v1
	s_waitcnt lgkmcnt(0)
	v_lshrrev_b32_e32 v14, 16, v5
	v_lshrrev_b32_e32 v15, 16, v6
	;; [unrolled: 1-line block ×4, first 2 shown]
	v_cndmask_b32_e64 v20, v1, v10, s4
	v_cndmask_b32_e32 v19, v5, v14, vcc_lo
	v_cndmask_b32_e64 v21, v5, v14, s4
	v_lshrrev_b32_e32 v16, 16, v7
	v_cmp_eq_u32_e64 s4, 1, v137
	v_lshrrev_b32_e32 v13, 16, v4
	v_cndmask_b32_e64 v19, v19, v6, s5
	v_lshrrev_b32_e32 v17, 16, v8
	s_delay_alu instid0(VALU_DEP_4) | instskip(SKIP_1) | instid1(VALU_DEP_4)
	v_cndmask_b32_e64 v22, v1, v10, s4
	v_cndmask_b32_e64 v23, v5, v14, s4
	;; [unrolled: 1-line block ×3, first 2 shown]
	v_cndmask_b32_e32 v18, v1, v10, vcc_lo
	v_cmp_eq_u32_e32 vcc_lo, 2, v139
	v_cmp_eq_u32_e64 s4, 2, v142
	v_cndmask_b32_e64 v22, v22, v2, s8
	v_cndmask_b32_e32 v20, v20, v2, vcc_lo
	v_cndmask_b32_e32 v21, v21, v6, vcc_lo
	v_cmp_eq_u32_e32 vcc_lo, 4, v138
	v_cndmask_b32_e32 v19, v19, v7, vcc_lo
	v_cndmask_b32_e64 v18, v18, v2, s5
	v_cmp_eq_u32_e64 s5, 3, v139
	s_delay_alu instid0(VALU_DEP_2) | instskip(NEXT) | instid1(VALU_DEP_2)
	v_cndmask_b32_e64 v18, v18, v11, s6
	v_cndmask_b32_e64 v21, v21, v15, s5
	v_cmp_eq_u32_e64 s6, 5, v138
	s_delay_alu instid0(VALU_DEP_3) | instskip(SKIP_1) | instid1(VALU_DEP_3)
	v_cndmask_b32_e32 v18, v18, v3, vcc_lo
	v_cmp_eq_u32_e32 vcc_lo, 4, v139
	v_cndmask_b32_e64 v19, v19, v16, s6
	s_delay_alu instid0(VALU_DEP_3) | instskip(SKIP_4) | instid1(VALU_DEP_3)
	v_cndmask_b32_e64 v18, v18, v12, s6
	v_cndmask_b32_e32 v21, v21, v7, vcc_lo
	v_cndmask_b32_e64 v20, v20, v11, s5
	v_cmp_eq_u32_e64 s5, 5, v139
	v_cmp_eq_u32_e64 s6, 6, v138
	v_cndmask_b32_e32 v20, v20, v3, vcc_lo
	s_delay_alu instid0(VALU_DEP_3) | instskip(SKIP_1) | instid1(VALU_DEP_4)
	v_cndmask_b32_e64 v21, v21, v16, s5
	v_cmp_eq_u32_e32 vcc_lo, 6, v139
	v_cndmask_b32_e64 v18, v18, v4, s6
	v_cndmask_b32_e64 v19, v19, v8, s6
	;; [unrolled: 1-line block ×3, first 2 shown]
	v_cmp_eq_u32_e64 s5, 1, v142
	v_cmp_eq_u32_e64 s6, 7, v138
	s_delay_alu instid0(VALU_DEP_3) | instskip(NEXT) | instid1(VALU_DEP_3)
	v_cndmask_b32_e32 v20, v20, v4, vcc_lo
	v_cndmask_b32_e64 v1, v1, v10, s5
	v_cndmask_b32_e64 v5, v5, v14, s5
	v_cmp_eq_u32_e64 s5, 3, v137
	v_cndmask_b32_e64 v14, v23, v6, s8
	v_cmp_eq_u32_e64 s8, 3, v142
	v_cndmask_b32_e64 v1, v1, v2, s4
	v_cndmask_b32_e64 v2, v5, v6, s4
	;; [unrolled: 1-line block ×3, first 2 shown]
	v_cmp_eq_u32_e64 s4, 4, v137
	v_cndmask_b32_e64 v6, v14, v15, s5
	v_cndmask_b32_e64 v1, v1, v11, s8
	v_cmp_eq_u32_e64 s5, 4, v142
	v_cndmask_b32_e64 v2, v2, v15, s8
	v_cndmask_b32_e64 v5, v10, v3, s4
	;; [unrolled: 3-line block ×3, first 2 shown]
	v_cndmask_b32_e64 v2, v2, v7, s5
	v_cmp_eq_u32_e64 s4, 5, v142
	v_cndmask_b32_e64 v5, v5, v12, s8
	v_cmp_eq_u32_e64 s5, 6, v137
	;; [unrolled: 2-line block ×3, first 2 shown]
	v_cndmask_b32_e64 v1, v1, v12, s4
	v_cndmask_b32_e64 v2, v2, v16, s4
	;; [unrolled: 1-line block ×4, first 2 shown]
	v_cmp_eq_u32_e64 s4, 7, v142
	v_cndmask_b32_e64 v1, v1, v4, s8
	v_cndmask_b32_e64 v2, v2, v8, s8
	v_cmp_eq_u32_e64 s5, 7, v137
	v_cndmask_b32_e32 v4, v21, v8, vcc_lo
	v_cndmask_b32_e64 v18, v18, v13, s6
	v_cndmask_b32_e64 v20, v20, v13, s7
	;; [unrolled: 1-line block ×8, first 2 shown]
	v_cmp_gt_u32_e32 vcc_lo, 32, v0
	v_perm_b32 v4, v2, v1, 0x5040100
	v_perm_b32 v3, v3, v5, 0x5040100
	;; [unrolled: 1-line block ×4, first 2 shown]
	s_and_b32 s2, vcc_lo, s2
	ds_store_b128 v9, v[1:4]
	s_waitcnt lgkmcnt(0)
	s_barrier
	buffer_gl0_inv
	s_and_saveexec_b32 s4, s2
	s_cbranch_execz .LBB398_2
; %bb.111:
	s_load_b64 s[4:5], s[0:1], 0x68
	v_lshlrev_b32_e32 v0, 10, v0
	v_lshlrev_b32_e32 v1, 4, v147
	s_lshl_b32 s0, s36, 6
	v_add_nc_u32_e32 v18, s31, v146
	s_mul_i32 s1, s0, s34
	s_delay_alu instid0(VALU_DEP_2) | instskip(SKIP_1) | instid1(VALU_DEP_2)
	v_and_or_b32 v0, 0x3800, v0, v1
	s_mul_i32 s6, s1, s9
	v_mul_lo_u32 v1, v18, s0
	s_ashr_i32 s7, s6, 31
	v_add_nc_u32_e32 v2, 2, v18
	v_lshl_or_b32 v19, v146, 6, v0
	s_lshl_b64 s[6:7], s[6:7], 1
	v_add_nc_u32_e32 v8, 4, v18
	v_add_nc_u32_e32 v15, 6, v18
	v_mul_lo_u32 v7, v2, s0
	ds_load_b128 v[3:6], v19
	v_ashrrev_i32_e32 v2, 31, v1
	v_mul_lo_u32 v11, v8, s0
	s_waitcnt lgkmcnt(0)
	s_add_u32 s1, s4, s6
	s_addc_u32 s2, s5, s7
	s_lshl_b32 s4, s14, 6
	v_lshlrev_b64 v[9:10], 1, v[1:2]
	s_ashr_i32 s5, s4, 31
	v_ashrrev_i32_e32 v8, 31, v7
	s_lshl_b64 s[4:5], s[4:5], 1
	v_ashrrev_i32_e32 v12, 31, v11
	s_add_u32 s1, s1, s4
	s_addc_u32 s2, s2, s5
	v_add_co_u32 v1, s1, s1, v145
	s_delay_alu instid0(VALU_DEP_1) | instskip(SKIP_1) | instid1(VALU_DEP_3)
	v_add_co_ci_u32_e64 v2, null, s2, 0, s1
	v_mul_lo_u32 v15, v15, s0
	v_add_co_u32 v13, vcc_lo, v1, v9
	s_delay_alu instid0(VALU_DEP_3)
	v_add_co_ci_u32_e32 v14, vcc_lo, v2, v10, vcc_lo
	v_lshlrev_b64 v[16:17], 1, v[7:8]
	ds_load_b128 v[7:10], v19 offset:128
	global_store_b128 v[13:14], v[3:6], off
	v_add_nc_u32_e32 v5, 8, v18
	v_lshlrev_b64 v[3:4], 1, v[11:12]
	v_add_co_u32 v23, vcc_lo, v1, v16
	v_ashrrev_i32_e32 v16, 31, v15
	s_delay_alu instid0(VALU_DEP_4) | instskip(SKIP_3) | instid1(VALU_DEP_3)
	v_mul_lo_u32 v25, v5, s0
	v_add_nc_u32_e32 v5, 10, v18
	v_add_co_ci_u32_e32 v24, vcc_lo, v2, v17, vcc_lo
	v_add_co_u32 v27, vcc_lo, v1, v3
	v_mul_lo_u32 v29, v5, s0
	v_add_co_ci_u32_e32 v28, vcc_lo, v2, v4, vcc_lo
	v_lshlrev_b64 v[31:32], 1, v[15:16]
	ds_load_b128 v[3:6], v19 offset:256
	ds_load_b128 v[11:14], v19 offset:384
	;; [unrolled: 1-line block ×4, first 2 shown]
	v_ashrrev_i32_e32 v26, 31, v25
	v_ashrrev_i32_e32 v30, 31, v29
	v_add_co_u32 v31, vcc_lo, v1, v31
	s_delay_alu instid0(VALU_DEP_3) | instskip(SKIP_1) | instid1(VALU_DEP_4)
	v_lshlrev_b64 v[25:26], 1, v[25:26]
	v_add_co_ci_u32_e32 v32, vcc_lo, v2, v32, vcc_lo
	v_lshlrev_b64 v[29:30], 1, v[29:30]
	s_delay_alu instid0(VALU_DEP_3) | instskip(NEXT) | instid1(VALU_DEP_4)
	v_add_co_u32 v25, vcc_lo, v1, v25
	v_add_co_ci_u32_e32 v26, vcc_lo, v2, v26, vcc_lo
	s_delay_alu instid0(VALU_DEP_3) | instskip(NEXT) | instid1(VALU_DEP_4)
	v_add_co_u32 v29, vcc_lo, v1, v29
	v_add_co_ci_u32_e32 v30, vcc_lo, v2, v30, vcc_lo
	s_waitcnt lgkmcnt(4)
	global_store_b128 v[23:24], v[7:10], off
	s_waitcnt lgkmcnt(3)
	global_store_b128 v[27:28], v[3:6], off
	;; [unrolled: 2-line block ×5, first 2 shown]
	s_and_b32 exec_lo, exec_lo, s3
	s_cbranch_execz .LBB398_2
; %bb.112:
	ds_load_b128 v[3:6], v0 offset:768
	s_add_i32 s1, s31, 12
	s_delay_alu instid0(SALU_CYCLE_1) | instskip(NEXT) | instid1(SALU_CYCLE_1)
	s_mul_i32 s0, s1, s0
	s_ashr_i32 s1, s0, 31
	s_delay_alu instid0(SALU_CYCLE_1) | instskip(NEXT) | instid1(SALU_CYCLE_1)
	s_lshl_b64 s[0:1], s[0:1], 1
	v_add_co_u32 v0, vcc_lo, v1, s0
	v_add_co_ci_u32_e32 v1, vcc_lo, s1, v2, vcc_lo
	s_waitcnt lgkmcnt(0)
	global_store_b128 v[0:1], v[3:6], off
	s_nop 0
	s_sendmsg sendmsg(MSG_DEALLOC_VGPRS)
	s_endpgm
	.section	.rodata,"a",@progbits
	.p2align	6, 0x0
	.amdhsa_kernel _Z39paged_attention_ll4mi_QKV_mfma16_kernelI14__hip_bfloat16S0_LN4vllm18Fp8KVCacheDataTypeE0EhLi16ELi64ELi256ELb1ELi13EL8MFMAType0EEvPKT_PKT0_S9_ifPKiSB_SB_iPKfiiiPfSE_PS4_PT2_iSD_SD_
		.amdhsa_group_segment_fixed_size 17472
		.amdhsa_private_segment_fixed_size 0
		.amdhsa_kernarg_size 400
		.amdhsa_user_sgpr_count 13
		.amdhsa_user_sgpr_dispatch_ptr 0
		.amdhsa_user_sgpr_queue_ptr 0
		.amdhsa_user_sgpr_kernarg_segment_ptr 1
		.amdhsa_user_sgpr_dispatch_id 0
		.amdhsa_user_sgpr_private_segment_size 0
		.amdhsa_wavefront_size32 1
		.amdhsa_uses_dynamic_stack 0
		.amdhsa_enable_private_segment 0
		.amdhsa_system_sgpr_workgroup_id_x 1
		.amdhsa_system_sgpr_workgroup_id_y 1
		.amdhsa_system_sgpr_workgroup_id_z 1
		.amdhsa_system_sgpr_workgroup_info 0
		.amdhsa_system_vgpr_workitem_id 0
		.amdhsa_next_free_vgpr 198
		.amdhsa_next_free_sgpr 52
		.amdhsa_reserve_vcc 1
		.amdhsa_float_round_mode_32 0
		.amdhsa_float_round_mode_16_64 0
		.amdhsa_float_denorm_mode_32 3
		.amdhsa_float_denorm_mode_16_64 3
		.amdhsa_dx10_clamp 1
		.amdhsa_ieee_mode 1
		.amdhsa_fp16_overflow 0
		.amdhsa_workgroup_processor_mode 1
		.amdhsa_memory_ordered 1
		.amdhsa_forward_progress 0
		.amdhsa_shared_vgpr_count 0
		.amdhsa_exception_fp_ieee_invalid_op 0
		.amdhsa_exception_fp_denorm_src 0
		.amdhsa_exception_fp_ieee_div_zero 0
		.amdhsa_exception_fp_ieee_overflow 0
		.amdhsa_exception_fp_ieee_underflow 0
		.amdhsa_exception_fp_ieee_inexact 0
		.amdhsa_exception_int_div_zero 0
	.end_amdhsa_kernel
	.section	.text._Z39paged_attention_ll4mi_QKV_mfma16_kernelI14__hip_bfloat16S0_LN4vllm18Fp8KVCacheDataTypeE0EhLi16ELi64ELi256ELb1ELi13EL8MFMAType0EEvPKT_PKT0_S9_ifPKiSB_SB_iPKfiiiPfSE_PS4_PT2_iSD_SD_,"axG",@progbits,_Z39paged_attention_ll4mi_QKV_mfma16_kernelI14__hip_bfloat16S0_LN4vllm18Fp8KVCacheDataTypeE0EhLi16ELi64ELi256ELb1ELi13EL8MFMAType0EEvPKT_PKT0_S9_ifPKiSB_SB_iPKfiiiPfSE_PS4_PT2_iSD_SD_,comdat
.Lfunc_end398:
	.size	_Z39paged_attention_ll4mi_QKV_mfma16_kernelI14__hip_bfloat16S0_LN4vllm18Fp8KVCacheDataTypeE0EhLi16ELi64ELi256ELb1ELi13EL8MFMAType0EEvPKT_PKT0_S9_ifPKiSB_SB_iPKfiiiPfSE_PS4_PT2_iSD_SD_, .Lfunc_end398-_Z39paged_attention_ll4mi_QKV_mfma16_kernelI14__hip_bfloat16S0_LN4vllm18Fp8KVCacheDataTypeE0EhLi16ELi64ELi256ELb1ELi13EL8MFMAType0EEvPKT_PKT0_S9_ifPKiSB_SB_iPKfiiiPfSE_PS4_PT2_iSD_SD_
                                        ; -- End function
	.section	.AMDGPU.csdata,"",@progbits
; Kernel info:
; codeLenInByte = 10268
; NumSgprs: 54
; NumVgprs: 198
; ScratchSize: 0
; MemoryBound: 0
; FloatMode: 240
; IeeeMode: 1
; LDSByteSize: 17472 bytes/workgroup (compile time only)
; SGPRBlocks: 6
; VGPRBlocks: 24
; NumSGPRsForWavesPerEU: 54
; NumVGPRsForWavesPerEU: 198
; Occupancy: 7
; WaveLimiterHint : 1
; COMPUTE_PGM_RSRC2:SCRATCH_EN: 0
; COMPUTE_PGM_RSRC2:USER_SGPR: 13
; COMPUTE_PGM_RSRC2:TRAP_HANDLER: 0
; COMPUTE_PGM_RSRC2:TGID_X_EN: 1
; COMPUTE_PGM_RSRC2:TGID_Y_EN: 1
; COMPUTE_PGM_RSRC2:TGID_Z_EN: 1
; COMPUTE_PGM_RSRC2:TIDIG_COMP_CNT: 0
	.section	.text._Z39paged_attention_ll4mi_QKV_mfma16_kernelI14__hip_bfloat16S0_LN4vllm18Fp8KVCacheDataTypeE0EhLi16ELi64ELi256ELb1ELi14EL8MFMAType0EEvPKT_PKT0_S9_ifPKiSB_SB_iPKfiiiPfSE_PS4_PT2_iSD_SD_,"axG",@progbits,_Z39paged_attention_ll4mi_QKV_mfma16_kernelI14__hip_bfloat16S0_LN4vllm18Fp8KVCacheDataTypeE0EhLi16ELi64ELi256ELb1ELi14EL8MFMAType0EEvPKT_PKT0_S9_ifPKiSB_SB_iPKfiiiPfSE_PS4_PT2_iSD_SD_,comdat
	.protected	_Z39paged_attention_ll4mi_QKV_mfma16_kernelI14__hip_bfloat16S0_LN4vllm18Fp8KVCacheDataTypeE0EhLi16ELi64ELi256ELb1ELi14EL8MFMAType0EEvPKT_PKT0_S9_ifPKiSB_SB_iPKfiiiPfSE_PS4_PT2_iSD_SD_ ; -- Begin function _Z39paged_attention_ll4mi_QKV_mfma16_kernelI14__hip_bfloat16S0_LN4vllm18Fp8KVCacheDataTypeE0EhLi16ELi64ELi256ELb1ELi14EL8MFMAType0EEvPKT_PKT0_S9_ifPKiSB_SB_iPKfiiiPfSE_PS4_PT2_iSD_SD_
	.globl	_Z39paged_attention_ll4mi_QKV_mfma16_kernelI14__hip_bfloat16S0_LN4vllm18Fp8KVCacheDataTypeE0EhLi16ELi64ELi256ELb1ELi14EL8MFMAType0EEvPKT_PKT0_S9_ifPKiSB_SB_iPKfiiiPfSE_PS4_PT2_iSD_SD_
	.p2align	8
	.type	_Z39paged_attention_ll4mi_QKV_mfma16_kernelI14__hip_bfloat16S0_LN4vllm18Fp8KVCacheDataTypeE0EhLi16ELi64ELi256ELb1ELi14EL8MFMAType0EEvPKT_PKT0_S9_ifPKiSB_SB_iPKfiiiPfSE_PS4_PT2_iSD_SD_,@function
_Z39paged_attention_ll4mi_QKV_mfma16_kernelI14__hip_bfloat16S0_LN4vllm18Fp8KVCacheDataTypeE0EhLi16ELi64ELi256ELb1ELi14EL8MFMAType0EEvPKT_PKT0_S9_ifPKiSB_SB_iPKfiiiPfSE_PS4_PT2_iSD_SD_: ; @_Z39paged_attention_ll4mi_QKV_mfma16_kernelI14__hip_bfloat16S0_LN4vllm18Fp8KVCacheDataTypeE0EhLi16ELi64ELi256ELb1ELi14EL8MFMAType0EEvPKT_PKT0_S9_ifPKiSB_SB_iPKfiiiPfSE_PS4_PT2_iSD_SD_
; %bb.0:
	s_load_b64 s[2:3], s[0:1], 0x30
	s_mov_b32 s30, s13
	s_waitcnt lgkmcnt(0)
	s_cmp_lg_u64 s[2:3], 0
	s_cselect_b32 s6, -1, 0
	s_ashr_i32 s31, s13, 31
	s_cmp_eq_u64 s[2:3], 0
	s_cbranch_scc1 .LBB399_3
; %bb.1:
	s_lshl_b64 s[4:5], s[30:31], 2
	s_delay_alu instid0(SALU_CYCLE_1) | instskip(SKIP_4) | instid1(SALU_CYCLE_1)
	s_add_u32 s4, s2, s4
	s_addc_u32 s5, s3, s5
	s_load_b64 s[4:5], s[4:5], 0x0
	s_waitcnt lgkmcnt(0)
	s_sub_i32 s4, s5, s4
	s_cmp_eq_u32 s4, 1
	s_cselect_b32 s4, -1, 0
	s_delay_alu instid0(SALU_CYCLE_1)
	s_and_not1_b32 vcc_lo, exec_lo, s4
	s_cbranch_vccz .LBB399_4
.LBB399_2:
	s_endpgm
.LBB399_3:
.LBB399_4:
	s_load_b64 s[8:9], s[0:1], 0x28
	s_lshl_b64 s[4:5], s[30:31], 2
	s_waitcnt lgkmcnt(0)
	s_add_u32 s8, s8, s4
	s_addc_u32 s9, s9, s5
	s_lshl_b32 s34, s14, 8
	s_load_b32 s33, s[8:9], 0x0
	s_waitcnt lgkmcnt(0)
	s_cmp_ge_i32 s34, s33
	s_cbranch_scc1 .LBB399_2
; %bb.5:
	s_clause 0x1
	s_load_b128 s[8:11], s[0:1], 0x8
	s_load_b64 s[12:13], s[0:1], 0x20
	s_and_not1_b32 vcc_lo, exec_lo, s6
	s_cbranch_vccnz .LBB399_7
; %bb.6:
	s_add_u32 s2, s2, s4
	s_addc_u32 s3, s3, s5
	s_load_b32 s3, s[2:3], 0x0
	s_branch .LBB399_8
.LBB399_7:
	s_mov_b32 s3, s30
.LBB399_8:
	s_load_b128 s[4:7], s[0:1], 0x48
	v_and_b32_e32 v148, 15, v0
	v_cmp_gt_u32_e32 vcc_lo, 0xe0, v0
	v_lshrrev_b32_e32 v149, 5, v0
	v_and_b32_e32 v150, 31, v0
	v_and_b32_e32 v147, 1, v0
	v_lshlrev_b32_e32 v1, 3, v148
	v_cmp_gt_u32_e64 s2, 8, v148
	v_bfe_u32 v146, v0, 4, 1
	s_mul_i32 s31, s15, 14
	s_delay_alu instid0(VALU_DEP_3) | instskip(NEXT) | instid1(VALU_DEP_3)
	v_lshlrev_b32_e32 v145, 1, v1
	s_and_b32 s16, vcc_lo, s2
	s_waitcnt lgkmcnt(0)
	s_and_saveexec_b32 s7, s16
	s_cbranch_execz .LBB399_10
; %bb.9:
	s_load_b64 s[16:17], s[0:1], 0x0
	v_lshl_or_b32 v5, v149, 1, v146
	s_mul_hi_i32 s19, s3, s4
	s_mul_i32 s18, s3, s4
	v_lshlrev_b32_e32 v6, 10, v148
	s_lshl_b64 s[18:19], s[18:19], 1
	v_add_lshl_u32 v1, v5, s31, 6
	v_lshlrev_b32_e32 v5, 6, v5
	v_lshlrev_b32_e32 v7, 10, v147
	v_and_b32_e32 v6, 0x3800, v6
	s_delay_alu instid0(VALU_DEP_4) | instskip(NEXT) | instid1(VALU_DEP_2)
	v_ashrrev_i32_e32 v2, 31, v1
	v_or3_b32 v5, v6, v7, v5
	s_delay_alu instid0(VALU_DEP_2) | instskip(SKIP_3) | instid1(VALU_DEP_1)
	v_lshlrev_b64 v[1:2], 1, v[1:2]
	s_waitcnt lgkmcnt(0)
	s_add_u32 s3, s16, s18
	s_addc_u32 s4, s17, s19
	v_add_co_u32 v1, vcc_lo, s3, v1
	s_delay_alu instid0(VALU_DEP_2) | instskip(NEXT) | instid1(VALU_DEP_2)
	v_add_co_ci_u32_e32 v2, vcc_lo, s4, v2, vcc_lo
	v_add_co_u32 v1, vcc_lo, v1, v145
	s_delay_alu instid0(VALU_DEP_2)
	v_add_co_ci_u32_e32 v2, vcc_lo, 0, v2, vcc_lo
	global_load_b128 v[1:4], v[1:2], off
	s_waitcnt vmcnt(0)
	ds_store_b128 v5, v[1:4]
.LBB399_10:
	s_or_b32 exec_lo, exec_lo, s7
	s_mov_b32 s40, 0
	s_add_i32 s3, s33, 15
	s_mov_b32 s41, s40
	s_mov_b32 s42, s40
	;; [unrolled: 1-line block ×7, first 2 shown]
	s_delay_alu instid0(SALU_CYCLE_1)
	v_dual_mov_b32 v144, s47 :: v_dual_and_b32 v1, 0xef, v0
	v_mov_b32_e32 v142, s45
	s_ashr_i32 s7, s3, 31
	s_clause 0x1
	s_load_b32 s4, s[0:1], 0x38
	s_load_b32 s35, s[0:1], 0x1c
	v_add_nc_u32_e32 v1, s34, v1
	s_lshr_b32 s7, s7, 28
	s_waitcnt lgkmcnt(0)
	s_add_i32 s3, s3, s7
	s_barrier
	v_ashrrev_i32_e32 v2, 31, v1
	v_or_b32_e32 v3, 16, v1
	s_ashr_i32 s3, s3, 4
	v_cmp_gt_i32_e32 vcc_lo, s33, v1
	s_add_i32 s3, s3, -1
	v_lshrrev_b32_e32 v2, 28, v2
	v_mov_b32_e32 v143, s46
	buffer_gl0_inv
	s_mul_i32 s6, s15, s6
	v_add_nc_u32_e32 v21, -14, v148
	v_dual_mov_b32 v141, s44 :: v_dual_add_nc_u32 v4, v1, v2
	v_mov_b32_e32 v139, s42
	s_mul_i32 s16, s30, s4
	v_mov_b32_e32 v137, s40
	s_delay_alu instid0(VALU_DEP_3)
	v_ashrrev_i32_e32 v4, 4, v4
	v_add_nc_u32_e32 v2, v3, v2
	v_lshlrev_b32_e32 v22, 5, v148
	s_ashr_i32 s17, s16, 31
	v_mov_b32_e32 v140, s43
	v_cndmask_b32_e32 v1, s3, v4, vcc_lo
	v_ashrrev_i32_e32 v2, 4, v2
	v_cmp_gt_i32_e32 vcc_lo, s33, v3
	s_lshl_b64 s[16:17], s[16:17], 2
	v_lshl_or_b32 v22, v149, 9, v22
	s_add_u32 s4, s12, s16
	s_addc_u32 s36, s13, s17
	v_cndmask_b32_e32 v3, s3, v2, vcc_lo
	v_ashrrev_i32_e32 v2, 31, v1
	s_ashr_i32 s7, s6, 31
	v_mov_b32_e32 v138, s41
	s_lshl_b64 s[6:7], s[6:7], 1
	v_ashrrev_i32_e32 v4, 31, v3
	v_lshlrev_b64 v[1:2], 2, v[1:2]
	s_add_u32 s24, s8, s6
	s_addc_u32 s25, s9, s7
	s_lshl_b32 s8, s14, 4
	v_lshlrev_b64 v[3:4], 2, v[3:4]
	s_ashr_i32 s9, s8, 31
	v_add_co_u32 v1, vcc_lo, s4, v1
	v_add_co_ci_u32_e32 v2, vcc_lo, s36, v2, vcc_lo
	s_delay_alu instid0(VALU_DEP_3) | instskip(NEXT) | instid1(VALU_DEP_4)
	v_add_co_u32 v3, vcc_lo, s4, v3
	v_add_co_ci_u32_e32 v4, vcc_lo, s36, v4, vcc_lo
	s_clause 0x1
	global_load_b32 v5, v[1:2], off
	global_load_b32 v6, v[3:4], off
	s_lshl_b64 s[8:9], s[8:9], 2
	v_lshlrev_b32_e32 v3, 4, v0
	s_add_u32 s8, s4, s8
	s_addc_u32 s9, s36, s9
	s_or_b32 s12, s34, 16
	s_delay_alu instid0(SALU_CYCLE_1) | instskip(SKIP_2) | instid1(SALU_CYCLE_1)
	s_ashr_i32 s13, s12, 4
	s_cmp_lt_i32 s12, s33
	s_cselect_b32 s12, s13, s3
	s_ashr_i32 s13, s12, 31
	s_delay_alu instid0(SALU_CYCLE_1) | instskip(NEXT) | instid1(SALU_CYCLE_1)
	s_lshl_b64 s[12:13], s[12:13], 2
	s_add_u32 s12, s4, s12
	s_addc_u32 s13, s36, s13
	s_or_b32 s15, s34, 32
	s_delay_alu instid0(SALU_CYCLE_1) | instskip(SKIP_2) | instid1(SALU_CYCLE_1)
	s_ashr_i32 s16, s15, 4
	s_cmp_lt_i32 s15, s33
	s_cselect_b32 s16, s16, s3
	s_ashr_i32 s17, s16, 31
	s_delay_alu instid0(SALU_CYCLE_1) | instskip(NEXT) | instid1(SALU_CYCLE_1)
	s_lshl_b64 s[16:17], s[16:17], 2
	;; [unrolled: 10-line block ×5, first 2 shown]
	s_add_u32 s22, s4, s22
	s_addc_u32 s23, s36, s23
	s_clause 0x5
	s_load_b32 s8, s[8:9], 0x0
	s_load_b32 s12, s[12:13], 0x0
	;; [unrolled: 1-line block ×6, first 2 shown]
	s_waitcnt lgkmcnt(0)
	s_mul_hi_i32 s17, s16, s5
	s_mul_i32 s16, s16, s5
	s_waitcnt vmcnt(1)
	v_mad_i64_i32 v[1:2], null, v5, s5, 0
	v_and_b32_e32 v5, 0xf0, v3
	s_waitcnt vmcnt(0)
	v_mad_i64_i32 v[3:4], null, v6, s5, 0
	s_delay_alu instid0(VALU_DEP_2) | instskip(NEXT) | instid1(VALU_DEP_4)
	v_add_co_u32 v5, s9, s24, v5
	v_lshlrev_b64 v[1:2], 1, v[1:2]
	v_add_co_ci_u32_e64 v6, null, s25, 0, s9
	s_delay_alu instid0(VALU_DEP_4) | instskip(SKIP_1) | instid1(VALU_DEP_3)
	v_lshlrev_b64 v[3:4], 1, v[3:4]
	s_or_b32 s9, s34, 0x60
	v_add_co_u32 v19, vcc_lo, v5, v1
	s_delay_alu instid0(VALU_DEP_3) | instskip(NEXT) | instid1(VALU_DEP_3)
	v_add_co_ci_u32_e32 v20, vcc_lo, v6, v2, vcc_lo
	v_add_co_u32 v17, vcc_lo, v5, v3
	s_delay_alu instid0(VALU_DEP_4)
	v_add_co_ci_u32_e32 v18, vcc_lo, v6, v4, vcc_lo
	s_clause 0x9
	global_load_b128 v[1:4], v[19:20], off
	global_load_b128 v[5:8], v[19:20], off offset:256
	global_load_b128 v[129:132], v[17:18], off
	global_load_b128 v[133:136], v[17:18], off offset:256
	global_load_b128 v[33:36], v[19:20], off offset:512
	;; [unrolled: 1-line block ×7, first 2 shown]
	v_cmp_gt_u32_e32 vcc_lo, 14, v148
	s_clause 0x1
	global_load_b128 v[151:154], v[17:18], off offset:1024
	global_load_b128 v[155:158], v[17:18], off offset:1280
	s_ashr_i32 s13, s9, 4
	s_cmp_lt_i32 s9, s33
	v_cndmask_b32_e32 v21, v21, v148, vcc_lo
	s_cselect_b32 s22, s13, s3
	s_delay_alu instid0(SALU_CYCLE_1) | instskip(NEXT) | instid1(VALU_DEP_1)
	s_ashr_i32 s23, s22, 31
	v_lshlrev_b32_e32 v197, 6, v21
	ds_load_b128 v[159:162], v197
	ds_load_b128 v[163:166], v197 offset:1024
	s_clause 0x3
	global_load_b128 v[167:170], v[19:20], off offset:1536
	global_load_b128 v[171:174], v[19:20], off offset:1792
	;; [unrolled: 1-line block ×4, first 2 shown]
	s_lshl_b64 s[22:23], s[22:23], 2
	s_delay_alu instid0(SALU_CYCLE_1) | instskip(SKIP_2) | instid1(SALU_CYCLE_1)
	s_add_u32 s22, s4, s22
	s_addc_u32 s23, s36, s23
	s_or_b32 s9, s34, 0x70
	s_ashr_i32 s13, s9, 4
	s_cmp_lt_i32 s9, s33
	s_cselect_b32 s24, s13, s3
	s_delay_alu instid0(SALU_CYCLE_1) | instskip(NEXT) | instid1(SALU_CYCLE_1)
	s_ashr_i32 s25, s24, 31
	s_lshl_b64 s[24:25], s[24:25], 2
	s_delay_alu instid0(SALU_CYCLE_1)
	s_add_u32 s24, s4, s24
	s_addc_u32 s25, s36, s25
	s_or_b32 s9, s34, 0x80
	s_load_b32 s46, s[24:25], 0x0
	s_ashr_i32 s13, s9, 4
	s_cmp_lt_i32 s9, s33
	s_cselect_b32 s26, s13, s3
	s_delay_alu instid0(SALU_CYCLE_1) | instskip(NEXT) | instid1(SALU_CYCLE_1)
	s_ashr_i32 s27, s26, 31
	s_lshl_b64 s[26:27], s[26:27], 2
	s_delay_alu instid0(SALU_CYCLE_1)
	s_add_u32 s26, s4, s26
	s_addc_u32 s27, s36, s27
	s_or_b32 s9, s34, 0x90
	s_load_b32 s47, s[26:27], 0x0
	s_ashr_i32 s13, s9, 4
	s_cmp_lt_i32 s9, s33
	s_cselect_b32 s28, s13, s3
	s_delay_alu instid0(SALU_CYCLE_1) | instskip(NEXT) | instid1(SALU_CYCLE_1)
	s_ashr_i32 s29, s28, 31
	s_lshl_b64 s[28:29], s[28:29], 2
	s_delay_alu instid0(SALU_CYCLE_1) | instskip(SKIP_2) | instid1(SALU_CYCLE_1)
	s_add_u32 s28, s4, s28
	s_addc_u32 s29, s36, s29
	s_or_b32 s9, s34, 0xa0
	s_ashr_i32 s13, s9, 4
	s_cmp_lt_i32 s9, s33
	s_cselect_b32 s38, s13, s3
	s_delay_alu instid0(SALU_CYCLE_1) | instskip(NEXT) | instid1(SALU_CYCLE_1)
	s_ashr_i32 s39, s38, 31
	s_lshl_b64 s[38:39], s[38:39], 2
	s_delay_alu instid0(SALU_CYCLE_1)
	s_add_u32 s38, s4, s38
	s_addc_u32 s39, s36, s39
	s_or_b32 s9, s34, 0xb0
	s_load_b32 s39, s[38:39], 0x0
	s_ashr_i32 s13, s9, 4
	s_cmp_lt_i32 s9, s33
	s_mul_hi_i32 s9, s8, s5
	s_cselect_b32 s40, s13, s3
	s_mul_i32 s8, s8, s5
	s_ashr_i32 s41, s40, 31
	s_mul_hi_i32 s13, s12, s5
	s_lshl_b64 s[40:41], s[40:41], 2
	s_mul_i32 s12, s12, s5
	s_add_u32 s42, s4, s40
	s_addc_u32 s43, s36, s41
	s_or_b32 s19, s34, 0xc0
	s_delay_alu instid0(SALU_CYCLE_1)
	s_ashr_i32 s21, s19, 4
	s_cmp_lt_i32 s19, s33
	s_mul_hi_i32 s19, s18, s5
	s_cselect_b32 s40, s21, s3
	s_mul_i32 s18, s18, s5
	s_ashr_i32 s41, s40, 31
	s_mul_hi_i32 s21, s20, s5
	s_lshl_b64 s[40:41], s[40:41], 2
	s_mul_i32 s20, s20, s5
	s_add_u32 s44, s4, s40
	s_load_b32 s40, s[28:29], 0x0
	s_addc_u32 s45, s36, s41
	s_or_b32 s37, s34, 0xd0
	s_load_b32 s41, s[22:23], 0x0
	s_ashr_i32 s22, s37, 4
	s_cmp_lt_i32 s37, s33
	s_mul_hi_i32 s23, s15, s5
	s_cselect_b32 s24, s22, s3
	s_mul_i32 s22, s15, s5
	s_ashr_i32 s25, s24, 31
	s_waitcnt lgkmcnt(0)
	s_mul_hi_i32 s27, s46, s5
	s_lshl_b64 s[24:25], s[24:25], 2
	s_mul_i32 s26, s46, s5
	s_add_u32 s24, s4, s24
	s_addc_u32 s25, s36, s25
	s_or_b32 s48, s34, 0xe0
	s_clause 0x2
	s_load_b32 s38, s[42:43], 0x0
	s_load_b32 s37, s[44:45], 0x0
	;; [unrolled: 1-line block ×3, first 2 shown]
	s_ashr_i32 s49, s48, 4
	s_cmp_lt_i32 s48, s33
	s_mul_hi_i32 s29, s47, s5
	s_cselect_b32 s42, s49, s3
	s_mul_i32 s28, s47, s5
	s_ashr_i32 s43, s42, 31
	s_mul_hi_i32 s25, s41, s5
	s_lshl_b64 s[42:43], s[42:43], 2
	s_mul_i32 s24, s41, s5
	s_add_u32 s42, s4, s42
	s_addc_u32 s43, s36, s43
	s_or_b32 s46, s34, 0xf0
	s_mul_hi_i32 s41, s40, s5
	s_ashr_i32 s47, s46, 4
	s_cmp_lt_i32 s46, s33
	s_mul_i32 s40, s40, s5
	s_cselect_b32 s46, s47, s3
	s_mul_hi_i32 s45, s39, s5
	s_ashr_i32 s47, s46, 31
	s_mul_i32 s44, s39, s5
	s_lshl_b64 s[46:47], s[46:47], 2
	s_waitcnt lgkmcnt(0)
	s_mul_hi_i32 s39, s38, s5
	s_add_u32 s46, s4, s46
	s_addc_u32 s47, s36, s47
	s_add_u32 s3, s10, s6
	s_addc_u32 s4, s11, s7
	v_add_co_u32 v195, s3, s3, v22
	s_delay_alu instid0(VALU_DEP_1) | instskip(SKIP_2) | instid1(VALU_DEP_2)
	v_add_co_ci_u32_e64 v196, null, s4, 0, s3
	s_lshl_b64 s[6:7], s[8:9], 1
	s_lshl_b64 s[8:9], s[12:13], 1
	v_add_co_u32 v17, vcc_lo, v195, s6
	s_delay_alu instid0(VALU_DEP_2)
	v_add_co_ci_u32_e32 v18, vcc_lo, s7, v196, vcc_lo
	v_add_co_u32 v19, vcc_lo, v195, s8
	s_lshl_b64 s[10:11], s[16:17], 1
	v_add_co_ci_u32_e32 v20, vcc_lo, s9, v196, vcc_lo
	v_add_co_u32 v21, vcc_lo, v195, s10
	s_lshl_b64 s[12:13], s[18:19], 1
	v_add_co_ci_u32_e32 v22, vcc_lo, s11, v196, vcc_lo
	v_add_co_u32 v23, vcc_lo, v195, s12
	s_lshl_b64 s[16:17], s[20:21], 1
	v_add_co_ci_u32_e32 v24, vcc_lo, s13, v196, vcc_lo
	v_add_co_u32 v41, vcc_lo, v195, s16
	s_lshl_b64 s[18:19], s[22:23], 1
	v_add_co_ci_u32_e32 v42, vcc_lo, s17, v196, vcc_lo
	v_add_co_u32 v43, vcc_lo, v195, s18
	s_lshl_b64 s[20:21], s[24:25], 1
	v_add_co_ci_u32_e32 v44, vcc_lo, s19, v196, vcc_lo
	v_add_co_u32 v45, vcc_lo, v195, s20
	s_lshl_b64 s[22:23], s[26:27], 1
	v_add_co_ci_u32_e32 v46, vcc_lo, s21, v196, vcc_lo
	v_add_co_u32 v47, vcc_lo, v195, s22
	s_lshl_b64 s[24:25], s[28:29], 1
	v_add_co_ci_u32_e32 v48, vcc_lo, s23, v196, vcc_lo
	v_add_co_u32 v49, vcc_lo, v195, s24
	s_lshl_b64 s[26:27], s[40:41], 1
	v_add_co_ci_u32_e32 v50, vcc_lo, s25, v196, vcc_lo
	v_add_co_u32 v53, vcc_lo, v195, s26
	s_lshl_b64 s[28:29], s[44:45], 1
	s_mul_i32 s38, s38, s5
	v_add_co_ci_u32_e32 v54, vcc_lo, s27, v196, vcc_lo
	v_add_co_u32 v183, vcc_lo, v195, s28
	s_mul_hi_i32 s49, s37, s5
	s_mul_i32 s48, s37, s5
	s_lshl_b64 s[36:37], s[38:39], 1
	v_add_co_ci_u32_e32 v184, vcc_lo, s29, v196, vcc_lo
	v_add_co_u32 v185, vcc_lo, v195, s36
	s_lshl_b64 s[38:39], s[48:49], 1
	s_clause 0x1
	s_load_b32 s3, s[42:43], 0x0
	s_load_b32 s4, s[46:47], 0x0
	v_add_co_ci_u32_e32 v186, vcc_lo, s37, v196, vcc_lo
	v_add_co_u32 v191, vcc_lo, v195, s38
	v_add_co_ci_u32_e32 v192, vcc_lo, s39, v196, vcc_lo
	s_clause 0x17
	global_load_b128 v[121:124], v[17:18], off
	global_load_b128 v[125:128], v[17:18], off offset:16
	global_load_b128 v[113:116], v[19:20], off
	global_load_b128 v[117:120], v[19:20], off offset:16
	;; [unrolled: 2-line block ×12, first 2 shown]
	s_mul_hi_i32 s51, s15, s5
	s_mul_i32 s50, s15, s5
	s_delay_alu instid0(SALU_CYCLE_1) | instskip(NEXT) | instid1(SALU_CYCLE_1)
	s_lshl_b64 s[40:41], s[50:51], 1
	v_add_co_u32 v193, vcc_lo, v195, s40
	v_add_co_ci_u32_e32 v194, vcc_lo, s41, v196, vcc_lo
	s_waitcnt lgkmcnt(0)
	s_mul_hi_i32 s7, s3, s5
	s_mul_i32 s6, s3, s5
	s_mul_hi_i32 s9, s4, s5
	s_lshl_b64 s[6:7], s[6:7], 1
	s_mul_i32 s8, s4, s5
	s_delay_alu instid0(SALU_CYCLE_1)
	s_lshl_b64 s[4:5], s[8:9], 1
	s_waitcnt vmcnt(38)
	v_wmma_f32_16x16x16_bf16 v[183:190], v[1:8], v[159:166], v[137:144]
	s_waitcnt vmcnt(36)
	v_wmma_f32_16x16x16_bf16 v[137:144], v[129:136], v[159:166], v[137:144]
	s_clause 0x1
	global_load_b128 v[1:4], v[191:192], off
	global_load_b128 v[5:8], v[191:192], off offset:16
	ds_load_b128 v[129:132], v197 offset:2048
	ds_load_b128 v[133:136], v197 offset:3072
	;; [unrolled: 1-line block ×4, first 2 shown]
	v_add_co_u32 v191, vcc_lo, v195, s6
	v_add_co_ci_u32_e32 v192, vcc_lo, s7, v196, vcc_lo
	v_add_co_u32 v195, vcc_lo, v195, s4
	v_add_co_ci_u32_e32 v196, vcc_lo, s5, v196, vcc_lo
	s_waitcnt vmcnt(36) lgkmcnt(2)
	v_wmma_f32_16x16x16_bf16 v[183:190], v[33:40], v[129:136], v[183:190]
	s_waitcnt vmcnt(34)
	v_wmma_f32_16x16x16_bf16 v[137:144], v[25:32], v[129:136], v[137:144]
	s_clause 0x3
	global_load_b128 v[25:28], v[193:194], off
	global_load_b128 v[29:32], v[193:194], off offset:16
	global_load_b128 v[33:36], v[191:192], off
	global_load_b128 v[37:40], v[191:192], off offset:16
	v_and_b32_e32 v129, 0xe0, v0
	v_mbcnt_lo_u32_b32 v191, -1, 0
	s_waitcnt vmcnt(36) lgkmcnt(0)
	v_wmma_f32_16x16x16_bf16 v[183:190], v[9:16], v[159:166], v[183:190]
	s_clause 0x1
	global_load_b128 v[9:12], v[195:196], off
	global_load_b128 v[13:16], v[195:196], off offset:16
	s_waitcnt vmcnt(36)
	v_wmma_f32_16x16x16_bf16 v[137:144], v[151:158], v[159:166], v[137:144]
	v_add_nc_u32_e32 v192, s34, v129
	ds_load_b128 v[129:132], v197 offset:6144
	ds_load_b128 v[133:136], v197 offset:7168
	v_xor_b32_e32 v151, 16, v191
	s_waitcnt vmcnt(0) lgkmcnt(0)
	s_barrier
	v_or_b32_e32 v152, v192, v146
	buffer_gl0_inv
	v_cmp_gt_i32_e32 vcc_lo, 32, v151
	v_or_b32_e32 v153, 2, v152
	v_or_b32_e32 v154, 4, v152
	;; [unrolled: 1-line block ×5, first 2 shown]
	v_cmp_gt_i32_e64 s3, s33, v153
	v_cmp_gt_i32_e64 s4, s33, v154
	;; [unrolled: 1-line block ×3, first 2 shown]
	v_or_b32_e32 v158, 12, v152
	v_or_b32_e32 v159, 14, v152
	v_cmp_gt_i32_e64 s6, s33, v156
	v_wmma_f32_16x16x16_bf16 v[183:190], v[167:174], v[129:136], v[183:190]
	v_wmma_f32_16x16x16_bf16 v[137:144], v[175:182], v[129:136], v[137:144]
	v_cndmask_b32_e32 v151, v191, v151, vcc_lo
	v_cmp_gt_i32_e32 vcc_lo, s33, v152
	v_cmp_gt_i32_e64 s7, s33, v157
	v_dual_mul_f32 v135, s35, v184 :: v_dual_mul_f32 v136, s35, v183
	v_dual_mul_f32 v133, s35, v186 :: v_dual_mul_f32 v134, s35, v185
	;; [unrolled: 1-line block ×3, first 2 shown]
	s_delay_alu instid0(VALU_DEP_3) | instskip(NEXT) | instid1(VALU_DEP_4)
	v_cndmask_b32_e32 v136, 0xff7fffff, v136, vcc_lo
	v_cndmask_b32_e64 v135, 0xff7fffff, v135, s3
	v_mul_f32_e32 v132, s35, v187
	v_cndmask_b32_e64 v134, 0xff7fffff, v134, s4
	v_cndmask_b32_e64 v133, 0xff7fffff, v133, s5
	v_or_b32_e32 v160, 16, v152
	v_max3_f32 v135, v136, 0xff7fffff, v135
	v_or_b32_e32 v161, 18, v152
	v_mul_f32_e32 v130, s35, v189
	v_dual_mul_f32 v172, s35, v140 :: v_dual_mul_f32 v129, s35, v190
	v_cndmask_b32_e64 v132, 0xff7fffff, v132, s6
	v_cndmask_b32_e64 v131, 0xff7fffff, v131, s7
	v_max3_f32 v133, v135, v134, v133
	v_cmp_gt_i32_e64 s8, s33, v158
	v_lshlrev_b32_e32 v158, 2, v151
	v_cmp_gt_i32_e64 s9, s33, v159
	v_or_b32_e32 v162, 20, v152
	v_or_b32_e32 v163, 22, v152
	v_mul_f32_e32 v175, s35, v137
	v_cndmask_b32_e64 v130, 0xff7fffff, v130, s8
	v_cndmask_b32_e64 v129, 0xff7fffff, v129, s9
	v_max3_f32 v131, v133, v132, v131
	v_cmp_gt_i32_e64 s10, s33, v160
	v_cmp_gt_i32_e64 s11, s33, v161
	v_or_b32_e32 v164, 24, v152
	v_or_b32_e32 v165, 26, v152
	v_mul_f32_e32 v173, s35, v139
	v_cndmask_b32_e64 v132, 0xff7fffff, v175, s10
	v_cndmask_b32_e64 v133, 0xff7fffff, v174, s11
	v_max3_f32 v129, v131, v130, v129
	v_cmp_gt_i32_e64 s12, s33, v162
	v_cmp_gt_i32_e64 s13, s33, v163
	v_or_b32_e32 v166, 28, v152
	v_or_b32_e32 v167, 30, v152
	v_dual_mul_f32 v170, s35, v142 :: v_dual_mul_f32 v171, s35, v141
	v_cndmask_b32_e64 v130, 0xff7fffff, v173, s12
	v_cndmask_b32_e64 v131, 0xff7fffff, v172, s13
	v_max3_f32 v129, v129, v132, v133
	v_cmp_gt_i32_e64 s15, s33, v164
	v_cmp_gt_i32_e64 s16, s33, v165
	v_dual_mul_f32 v168, s35, v144 :: v_dual_mul_f32 v169, s35, v143
	s_delay_alu instid0(VALU_DEP_4) | instskip(NEXT) | instid1(VALU_DEP_4)
	v_max3_f32 v129, v129, v130, v131
	v_cndmask_b32_e64 v132, 0xff7fffff, v171, s15
	s_delay_alu instid0(VALU_DEP_4) | instskip(SKIP_2) | instid1(VALU_DEP_3)
	v_cndmask_b32_e64 v133, 0xff7fffff, v170, s16
	v_cmp_gt_i32_e64 s17, s33, v166
	v_cmp_gt_i32_e64 s18, s33, v167
	v_max3_f32 v129, v129, v132, v133
	s_delay_alu instid0(VALU_DEP_3) | instskip(NEXT) | instid1(VALU_DEP_3)
	v_cndmask_b32_e64 v130, 0xff7fffff, v169, s17
	v_cndmask_b32_e64 v131, 0xff7fffff, v168, s18
	s_delay_alu instid0(VALU_DEP_1) | instskip(SKIP_3) | instid1(VALU_DEP_1)
	v_max3_f32 v129, v129, v130, v131
	ds_bpermute_b32 v130, v158, v129
	s_waitcnt lgkmcnt(0)
	v_max_f32_e32 v130, v130, v130
	v_max_f32_e32 v129, v129, v130
	s_delay_alu instid0(VALU_DEP_1)
	v_fma_f32 v130, s35, v183, -v129
	v_fma_f32 v132, s35, v185, -v129
	;; [unrolled: 1-line block ×5, first 2 shown]
	v_mul_f32_e32 v130, 0x3fb8aa3b, v130
	v_mul_f32_e32 v132, 0x3fb8aa3b, v132
	;; [unrolled: 1-line block ×3, first 2 shown]
	v_fma_f32 v135, s35, v189, -v129
	s_delay_alu instid0(VALU_DEP_4) | instskip(NEXT) | instid1(VALU_DEP_3)
	v_exp_f32_e32 v130, v130
	v_exp_f32_e32 v132, v132
	s_delay_alu instid0(VALU_DEP_2) | instskip(NEXT) | instid1(TRANS32_DEP_3)
	v_exp_f32_e32 v134, v134
	v_cndmask_b32_e32 v152, 0, v130, vcc_lo
	v_fma_f32 v130, s35, v188, -v129
	s_waitcnt_depctr 0xfff
	v_cndmask_b32_e64 v153, 0, v132, s4
	v_fma_f32 v132, s35, v190, -v129
	v_mul_f32_e32 v131, 0x3fb8aa3b, v131
	v_cndmask_b32_e64 v155, 0, v134, s6
	v_dual_mul_f32 v130, 0x3fb8aa3b, v130 :: v_dual_mul_f32 v133, 0x3fb8aa3b, v133
	s_delay_alu instid0(VALU_DEP_4) | instskip(NEXT) | instid1(VALU_DEP_4)
	v_mul_f32_e32 v132, 0x3fb8aa3b, v132
	v_exp_f32_e32 v131, v131
	v_fma_f32 v134, s35, v138, -v129
	s_delay_alu instid0(VALU_DEP_3) | instskip(SKIP_2) | instid1(VALU_DEP_1)
	v_exp_f32_e32 v130, v130
	v_exp_f32_e32 v133, v133
	;; [unrolled: 1-line block ×3, first 2 shown]
	v_mul_f32_e32 v134, 0x3fb8aa3b, v134
	v_cndmask_b32_e64 v151, 0, v131, s3
	v_add_f32_e32 v131, 0, v152
	s_delay_alu instid0(TRANS32_DEP_3)
	v_cndmask_b32_e64 v156, 0, v130, s7
	s_waitcnt_depctr 0xfff
	v_cndmask_b32_e64 v154, 0, v133, s5
	v_fma_f32 v133, s35, v137, -v129
	v_exp_f32_e32 v134, v134
	v_add_f32_e32 v131, v131, v151
	s_mov_b32 s3, exec_lo
	s_delay_alu instid0(VALU_DEP_1) | instskip(NEXT) | instid1(VALU_DEP_1)
	v_add_f32_e32 v131, v131, v153
	v_add_f32_e32 v131, v131, v154
	s_delay_alu instid0(VALU_DEP_1) | instskip(SKIP_2) | instid1(VALU_DEP_3)
	v_add_f32_e32 v130, v131, v155
	v_fma_f32 v131, s35, v139, -v129
	v_fma_f32 v139, s35, v144, -v129
	v_dual_add_f32 v130, v130, v156 :: v_dual_mul_f32 v135, 0x3fb8aa3b, v135
	s_delay_alu instid0(VALU_DEP_1)
	v_exp_f32_e32 v135, v135
	s_waitcnt_depctr 0xfff
	v_cndmask_b32_e64 v157, 0, v135, s8
	v_fma_f32 v135, s35, v140, -v129
	v_cndmask_b32_e64 v140, 0, v132, s9
	v_fma_f32 v132, s35, v141, -v129
	s_delay_alu instid0(VALU_DEP_1) | instskip(SKIP_1) | instid1(VALU_DEP_2)
	v_dual_add_f32 v130, v130, v157 :: v_dual_mul_f32 v137, 0x3fb8aa3b, v132
	v_cndmask_b32_e64 v132, 0, v134, s11
	v_dual_add_f32 v130, v130, v140 :: v_dual_mul_f32 v133, 0x3fb8aa3b, v133
	v_mul_f32_e32 v131, 0x3fb8aa3b, v131
	v_fma_f32 v134, s35, v143, -v129
	v_mul_f32_e32 v135, 0x3fb8aa3b, v135
	s_delay_alu instid0(VALU_DEP_4) | instskip(NEXT) | instid1(VALU_DEP_3)
	v_exp_f32_e32 v133, v133
	v_exp_f32_e32 v136, v131
	s_waitcnt_depctr 0xfff
	v_cndmask_b32_e64 v131, 0, v133, s10
	v_fma_f32 v133, s35, v142, -v129
	s_delay_alu instid0(VALU_DEP_2) | instskip(NEXT) | instid1(VALU_DEP_2)
	v_add_f32_e32 v130, v130, v131
	v_mul_f32_e32 v138, 0x3fb8aa3b, v133
	v_cndmask_b32_e64 v133, 0, v136, s12
	v_mul_f32_e32 v136, 0x3fb8aa3b, v134
	v_exp_f32_e32 v135, v135
	v_add_f32_e32 v130, v130, v132
	v_exp_f32_e32 v138, v138
	s_delay_alu instid0(VALU_DEP_2) | instskip(NEXT) | instid1(VALU_DEP_1)
	v_exp_f32_e32 v141, v136
	v_add_f32_e32 v130, v130, v133
	v_exp_f32_e32 v137, v137
	v_cndmask_b32_e64 v134, 0, v135, s13
	s_delay_alu instid0(TRANS32_DEP_3) | instskip(NEXT) | instid1(VALU_DEP_2)
	v_cndmask_b32_e64 v136, 0, v138, s16
	v_add_f32_e32 v130, v130, v134
	s_waitcnt_depctr 0xfff
	v_cndmask_b32_e64 v135, 0, v137, s15
	v_mul_f32_e32 v137, 0x3fb8aa3b, v139
	s_delay_alu instid0(VALU_DEP_2) | instskip(NEXT) | instid1(VALU_DEP_2)
	v_add_f32_e32 v130, v130, v135
	v_exp_f32_e32 v138, v137
	v_cndmask_b32_e64 v137, 0, v141, s17
	s_delay_alu instid0(VALU_DEP_2) | instskip(NEXT) | instid1(VALU_DEP_1)
	v_add_f32_e32 v130, v130, v136
	v_add_f32_e32 v130, v130, v137
	s_waitcnt_depctr 0xfff
	v_cndmask_b32_e64 v138, 0, v138, s18
	s_delay_alu instid0(VALU_DEP_1)
	v_add_f32_e32 v130, v130, v138
	ds_bpermute_b32 v139, v158, v130
	v_cmpx_gt_u32_e32 16, v150
	s_cbranch_execz .LBB399_12
; %bb.11:
	v_mul_u32_u24_e32 v141, 0x44, v149
	s_delay_alu instid0(VALU_DEP_1) | instskip(SKIP_1) | instid1(VALU_DEP_1)
	v_lshl_add_u32 v141, v148, 2, v141
	s_waitcnt lgkmcnt(0)
	v_dual_add_f32 v130, v130, v139 :: v_dual_add_nc_u32 v139, 0x4000, v141
	ds_store_2addr_b32 v139, v129, v130 offset1:136
.LBB399_12:
	s_or_b32 exec_lo, exec_lo, s3
	v_lshlrev_b32_e32 v129, 2, v148
	s_waitcnt lgkmcnt(0)
	s_barrier
	buffer_gl0_inv
	v_cmp_eq_u32_e64 s3, 1, v149
	v_add_nc_u32_e32 v139, 0x4000, v129
	ds_load_2addr_b32 v[141:142], v139 offset1:17
	ds_load_2addr_b32 v[143:144], v139 offset0:34 offset1:51
	ds_load_2addr_b32 v[158:159], v139 offset0:68 offset1:85
	;; [unrolled: 1-line block ×4, first 2 shown]
	s_waitcnt lgkmcnt(4)
	v_max3_f32 v129, v141, 0xff7fffff, v142
	s_waitcnt lgkmcnt(3)
	s_delay_alu instid0(VALU_DEP_1) | instskip(SKIP_1) | instid1(VALU_DEP_1)
	v_max3_f32 v129, v129, v143, v144
	s_waitcnt lgkmcnt(2)
	v_max3_f32 v129, v129, v158, v159
	s_waitcnt lgkmcnt(1)
	s_delay_alu instid0(VALU_DEP_1) | instskip(NEXT) | instid1(VALU_DEP_1)
	v_max3_f32 v129, v129, v160, v161
	v_sub_f32_e32 v158, v158, v129
	s_delay_alu instid0(VALU_DEP_1) | instskip(NEXT) | instid1(VALU_DEP_1)
	v_dual_sub_f32 v150, v142, v129 :: v_dual_mul_f32 v167, 0x3fb8aa3b, v158
	v_dual_sub_f32 v143, v143, v129 :: v_dual_mul_f32 v150, 0x3fb8aa3b, v150
	s_delay_alu instid0(VALU_DEP_1) | instskip(NEXT) | instid1(VALU_DEP_2)
	v_dual_sub_f32 v130, v141, v129 :: v_dual_mul_f32 v165, 0x3fb8aa3b, v143
	v_exp_f32_e32 v150, v150
	s_delay_alu instid0(VALU_DEP_1) | instskip(NEXT) | instid1(VALU_DEP_2)
	v_mul_f32_e32 v130, 0x3fb8aa3b, v130
	v_exp_f32_e32 v165, v165
	s_delay_alu instid0(VALU_DEP_1) | instskip(SKIP_1) | instid1(VALU_DEP_1)
	v_exp_f32_e32 v164, v130
	v_sub_f32_e32 v130, v144, v129
	v_mul_f32_e32 v166, 0x3fb8aa3b, v130
	s_waitcnt lgkmcnt(0)
	s_waitcnt_depctr 0xfff
	v_fma_f32 v130, v164, v162, 0
	v_sub_f32_e32 v162, v159, v129
	s_delay_alu instid0(VALU_DEP_2)
	v_fmac_f32_e32 v130, v150, v163
	ds_load_2addr_b32 v[141:142], v139 offset0:170 offset1:187
	ds_load_2addr_b32 v[143:144], v139 offset0:204 offset1:221
	;; [unrolled: 1-line block ×3, first 2 shown]
	v_sub_f32_e32 v139, v160, v129
	v_exp_f32_e32 v166, v166
	v_mul_f32_e32 v160, 0x3fb8aa3b, v162
	v_exp_f32_e32 v162, v167
	v_cndmask_b32_e64 v150, v164, v150, s3
	v_mul_f32_e32 v139, 0x3fb8aa3b, v139
	v_cmp_eq_u32_e64 s3, 2, v149
	s_waitcnt lgkmcnt(0)
	s_barrier
	buffer_gl0_inv
	v_exp_f32_e32 v139, v139
	v_cndmask_b32_e64 v150, v150, v165, s3
	v_cmp_eq_u32_e64 s3, 3, v149
	v_fmac_f32_e32 v130, v165, v141
	v_sub_f32_e32 v141, v161, v129
	v_exp_f32_e32 v160, v160
	s_delay_alu instid0(VALU_DEP_3) | instskip(SKIP_1) | instid1(VALU_DEP_3)
	v_cndmask_b32_e64 v150, v150, v166, s3
	v_cmp_eq_u32_e64 s3, 4, v149
	v_dual_fmac_f32 v130, v166, v142 :: v_dual_mul_f32 v141, 0x3fb8aa3b, v141
	s_delay_alu instid0(VALU_DEP_2) | instskip(SKIP_1) | instid1(VALU_DEP_3)
	v_cndmask_b32_e64 v150, v150, v162, s3
	v_cmp_eq_u32_e64 s3, 5, v149
	v_exp_f32_e32 v141, v141
	s_delay_alu instid0(VALU_DEP_3)
	v_fmac_f32_e32 v130, v162, v143
	s_delay_alu instid0(TRANS32_DEP_2) | instid1(VALU_DEP_2)
	v_cndmask_b32_e64 v150, v150, v160, s3
	s_delay_alu instid0(VALU_DEP_2) | instskip(NEXT) | instid1(VALU_DEP_1)
	v_fmac_f32_e32 v130, v160, v144
	v_fmac_f32_e32 v130, v139, v158
	s_waitcnt_depctr 0xfff
	v_fmac_f32_e32 v130, v141, v159
	s_delay_alu instid0(VALU_DEP_1) | instskip(NEXT) | instid1(VALU_DEP_1)
	v_add_f32_e32 v142, 0x358637bd, v130
	v_div_scale_f32 v143, null, v142, v142, 1.0
	v_div_scale_f32 v159, vcc_lo, 1.0, v142, 1.0
	s_delay_alu instid0(VALU_DEP_2) | instskip(SKIP_2) | instid1(VALU_DEP_1)
	v_rcp_f32_e32 v144, v143
	s_waitcnt_depctr 0xfff
	v_fma_f32 v158, -v143, v144, 1.0
	v_fmac_f32_e32 v144, v158, v144
	s_delay_alu instid0(VALU_DEP_1) | instskip(NEXT) | instid1(VALU_DEP_1)
	v_mul_f32_e32 v158, v159, v144
	v_fma_f32 v161, -v143, v158, v159
	s_delay_alu instid0(VALU_DEP_1) | instskip(NEXT) | instid1(VALU_DEP_1)
	v_fmac_f32_e32 v158, v161, v144
	v_fma_f32 v143, -v143, v158, v159
	s_delay_alu instid0(VALU_DEP_1) | instskip(SKIP_1) | instid1(VALU_DEP_2)
	v_div_fmas_f32 v143, v143, v144, v158
	v_cmp_eq_u32_e32 vcc_lo, 6, v149
	v_div_fixup_f32 v142, v143, v142, 1.0
	v_cndmask_b32_e32 v139, v150, v139, vcc_lo
	v_cmp_eq_u32_e32 vcc_lo, 7, v149
	s_delay_alu instid0(VALU_DEP_2) | instskip(NEXT) | instid1(VALU_DEP_1)
	v_cndmask_b32_e32 v139, v139, v141, vcc_lo
	v_mul_f32_e32 v139, v139, v142
	s_delay_alu instid0(VALU_DEP_1) | instskip(SKIP_4) | instid1(VALU_DEP_4)
	v_mul_f32_e32 v153, v139, v153
	v_mul_f32_e32 v142, v139, v152
	;; [unrolled: 1-line block ×5, first 2 shown]
	v_dual_mul_f32 v152, v139, v155 :: v_dual_and_b32 v141, 0x7f800000, v142
	v_mul_f32_e32 v154, v139, v154
	v_mul_f32_e32 v144, v139, v151
	s_delay_alu instid0(VALU_DEP_3) | instskip(SKIP_1) | instid1(SALU_CYCLE_1)
	v_cmp_ne_u32_e32 vcc_lo, 0x7f800000, v141
                                        ; implicit-def: $vgpr141
	s_and_saveexec_b32 s3, vcc_lo
	s_xor_b32 s3, exec_lo, s3
; %bb.13:
	v_bfe_u32 v141, v142, 16, 1
	s_delay_alu instid0(VALU_DEP_1)
	v_add3_u32 v141, v142, v141, 0x7fff
                                        ; implicit-def: $vgpr142
; %bb.14:
	s_and_not1_saveexec_b32 s3, s3
; %bb.15:
	v_and_b32_e32 v141, 0xffff, v142
	v_or_b32_e32 v151, 0x10000, v142
	s_delay_alu instid0(VALU_DEP_2) | instskip(NEXT) | instid1(VALU_DEP_2)
	v_cmp_eq_u32_e32 vcc_lo, 0, v141
	v_cndmask_b32_e32 v141, v151, v142, vcc_lo
; %bb.16:
	s_or_b32 exec_lo, exec_lo, s3
	v_and_b32_e32 v142, 0x7f800000, v144
	s_delay_alu instid0(VALU_DEP_1) | instskip(SKIP_1) | instid1(SALU_CYCLE_1)
	v_cmp_ne_u32_e32 vcc_lo, 0x7f800000, v142
                                        ; implicit-def: $vgpr142
	s_and_saveexec_b32 s3, vcc_lo
	s_xor_b32 s3, exec_lo, s3
; %bb.17:
	v_bfe_u32 v142, v144, 16, 1
	s_delay_alu instid0(VALU_DEP_1)
	v_add3_u32 v142, v144, v142, 0x7fff
                                        ; implicit-def: $vgpr144
; %bb.18:
	s_and_not1_saveexec_b32 s3, s3
; %bb.19:
	v_and_b32_e32 v142, 0xffff, v144
	v_or_b32_e32 v151, 0x10000, v144
	s_delay_alu instid0(VALU_DEP_2) | instskip(NEXT) | instid1(VALU_DEP_2)
	v_cmp_eq_u32_e32 vcc_lo, 0, v142
	v_cndmask_b32_e32 v142, v151, v144, vcc_lo
; %bb.20:
	s_or_b32 exec_lo, exec_lo, s3
	v_and_b32_e32 v144, 0x7f800000, v153
	s_delay_alu instid0(VALU_DEP_1) | instskip(SKIP_1) | instid1(SALU_CYCLE_1)
	v_cmp_ne_u32_e32 vcc_lo, 0x7f800000, v144
                                        ; implicit-def: $vgpr144
	s_and_saveexec_b32 s3, vcc_lo
	s_xor_b32 s3, exec_lo, s3
; %bb.21:
	v_bfe_u32 v144, v153, 16, 1
	s_delay_alu instid0(VALU_DEP_1)
	v_add3_u32 v144, v153, v144, 0x7fff
                                        ; implicit-def: $vgpr153
; %bb.22:
	s_and_not1_saveexec_b32 s3, s3
; %bb.23:
	v_and_b32_e32 v144, 0xffff, v153
	v_or_b32_e32 v151, 0x10000, v153
	s_delay_alu instid0(VALU_DEP_2) | instskip(NEXT) | instid1(VALU_DEP_2)
	v_cmp_eq_u32_e32 vcc_lo, 0, v144
	v_cndmask_b32_e32 v144, v151, v153, vcc_lo
; %bb.24:
	s_or_b32 exec_lo, exec_lo, s3
	v_and_b32_e32 v151, 0x7f800000, v154
	s_delay_alu instid0(VALU_DEP_1) | instskip(SKIP_1) | instid1(SALU_CYCLE_1)
	v_cmp_ne_u32_e32 vcc_lo, 0x7f800000, v151
                                        ; implicit-def: $vgpr151
	s_and_saveexec_b32 s3, vcc_lo
	s_xor_b32 s3, exec_lo, s3
; %bb.25:
	v_bfe_u32 v151, v154, 16, 1
	s_delay_alu instid0(VALU_DEP_1)
	v_add3_u32 v151, v154, v151, 0x7fff
                                        ; implicit-def: $vgpr154
; %bb.26:
	s_and_not1_saveexec_b32 s3, s3
; %bb.27:
	v_and_b32_e32 v151, 0xffff, v154
	v_or_b32_e32 v153, 0x10000, v154
	s_delay_alu instid0(VALU_DEP_2) | instskip(NEXT) | instid1(VALU_DEP_2)
	v_cmp_eq_u32_e32 vcc_lo, 0, v151
	v_cndmask_b32_e32 v151, v153, v154, vcc_lo
; %bb.28:
	s_or_b32 exec_lo, exec_lo, s3
	v_and_b32_e32 v153, 0x7f800000, v152
	s_delay_alu instid0(VALU_DEP_1) | instskip(SKIP_1) | instid1(SALU_CYCLE_1)
	v_cmp_ne_u32_e32 vcc_lo, 0x7f800000, v153
                                        ; implicit-def: $vgpr153
	s_and_saveexec_b32 s3, vcc_lo
	s_xor_b32 s3, exec_lo, s3
; %bb.29:
	v_bfe_u32 v153, v152, 16, 1
	s_delay_alu instid0(VALU_DEP_1)
	v_add3_u32 v153, v152, v153, 0x7fff
                                        ; implicit-def: $vgpr152
; %bb.30:
	s_and_not1_saveexec_b32 s3, s3
; %bb.31:
	v_and_b32_e32 v153, 0xffff, v152
	v_or_b32_e32 v154, 0x10000, v152
	s_delay_alu instid0(VALU_DEP_2) | instskip(NEXT) | instid1(VALU_DEP_2)
	v_cmp_eq_u32_e32 vcc_lo, 0, v153
	v_cndmask_b32_e32 v153, v154, v152, vcc_lo
; %bb.32:
	s_or_b32 exec_lo, exec_lo, s3
	v_and_b32_e32 v152, 0x7f800000, v150
	s_delay_alu instid0(VALU_DEP_1) | instskip(SKIP_1) | instid1(SALU_CYCLE_1)
	v_cmp_ne_u32_e32 vcc_lo, 0x7f800000, v152
                                        ; implicit-def: $vgpr152
	s_and_saveexec_b32 s3, vcc_lo
	s_xor_b32 s3, exec_lo, s3
; %bb.33:
	v_bfe_u32 v152, v150, 16, 1
	s_delay_alu instid0(VALU_DEP_1)
	v_add3_u32 v152, v150, v152, 0x7fff
                                        ; implicit-def: $vgpr150
; %bb.34:
	s_and_not1_saveexec_b32 s3, s3
; %bb.35:
	v_and_b32_e32 v152, 0xffff, v150
	v_or_b32_e32 v154, 0x10000, v150
	s_delay_alu instid0(VALU_DEP_2) | instskip(NEXT) | instid1(VALU_DEP_2)
	v_cmp_eq_u32_e32 vcc_lo, 0, v152
	v_cndmask_b32_e32 v152, v154, v150, vcc_lo
; %bb.36:
	s_or_b32 exec_lo, exec_lo, s3
	v_and_b32_e32 v150, 0x7f800000, v143
	s_delay_alu instid0(VALU_DEP_1) | instskip(SKIP_1) | instid1(SALU_CYCLE_1)
	v_cmp_ne_u32_e32 vcc_lo, 0x7f800000, v150
                                        ; implicit-def: $vgpr150
	s_and_saveexec_b32 s3, vcc_lo
	s_xor_b32 s3, exec_lo, s3
; %bb.37:
	v_bfe_u32 v150, v143, 16, 1
	s_delay_alu instid0(VALU_DEP_1)
	v_add3_u32 v150, v143, v150, 0x7fff
                                        ; implicit-def: $vgpr143
; %bb.38:
	s_and_not1_saveexec_b32 s3, s3
; %bb.39:
	v_and_b32_e32 v150, 0xffff, v143
	v_or_b32_e32 v154, 0x10000, v143
	s_delay_alu instid0(VALU_DEP_2) | instskip(NEXT) | instid1(VALU_DEP_2)
	v_cmp_eq_u32_e32 vcc_lo, 0, v150
	v_cndmask_b32_e32 v150, v154, v143, vcc_lo
; %bb.40:
	s_or_b32 exec_lo, exec_lo, s3
	v_and_b32_e32 v143, 0x7f800000, v140
	s_delay_alu instid0(VALU_DEP_1) | instskip(SKIP_1) | instid1(SALU_CYCLE_1)
	v_cmp_ne_u32_e32 vcc_lo, 0x7f800000, v143
                                        ; implicit-def: $vgpr143
	s_and_saveexec_b32 s3, vcc_lo
	s_xor_b32 s3, exec_lo, s3
; %bb.41:
	v_bfe_u32 v143, v140, 16, 1
	s_delay_alu instid0(VALU_DEP_1)
	v_add3_u32 v143, v140, v143, 0x7fff
                                        ; implicit-def: $vgpr140
; %bb.42:
	s_and_not1_saveexec_b32 s3, s3
; %bb.43:
	v_and_b32_e32 v143, 0xffff, v140
	v_or_b32_e32 v154, 0x10000, v140
	s_delay_alu instid0(VALU_DEP_2) | instskip(NEXT) | instid1(VALU_DEP_2)
	v_cmp_eq_u32_e32 vcc_lo, 0, v143
	v_cndmask_b32_e32 v143, v154, v140, vcc_lo
; %bb.44:
	s_or_b32 exec_lo, exec_lo, s3
	s_load_b64 s[34:35], s[0:1], 0x94
	v_dual_mul_f32 v136, v139, v136 :: v_dual_lshlrev_b32 v155, 4, v146
	s_delay_alu instid0(VALU_DEP_2)
	v_perm_b32 v154, v143, v150, 0x7060302
	v_dual_mul_f32 v143, v139, v131 :: v_dual_lshlrev_b32 v140, 6, v148
	v_dual_mul_f32 v135, v139, v135 :: v_dual_lshlrev_b32 v150, 11, v149
	v_perm_b32 v153, v152, v153, 0x7060302
	v_perm_b32 v152, v151, v144, 0x7060302
	;; [unrolled: 1-line block ×3, first 2 shown]
	s_delay_alu instid0(VALU_DEP_4)
	v_or3_b32 v131, v155, v150, v140
	v_mul_f32_e32 v138, v139, v138
	v_dual_mul_f32 v137, v139, v137 :: v_dual_and_b32 v144, 0x7f800000, v143
	v_mul_f32_e32 v141, v139, v134
	v_mul_f32_e32 v142, v139, v133
	v_mul_f32_e32 v134, v139, v132
	s_mov_b32 s3, exec_lo
	ds_store_b128 v131, v[151:154]
                                        ; implicit-def: $vgpr132
	v_cmpx_ne_u32_e32 0x7f800000, v144
	s_xor_b32 s3, exec_lo, s3
; %bb.45:
	v_bfe_u32 v132, v143, 16, 1
	s_delay_alu instid0(VALU_DEP_1)
	v_add3_u32 v132, v143, v132, 0x7fff
                                        ; implicit-def: $vgpr143
; %bb.46:
	s_and_not1_saveexec_b32 s3, s3
; %bb.47:
	v_and_b32_e32 v132, 0xffff, v143
	v_or_b32_e32 v133, 0x10000, v143
	s_delay_alu instid0(VALU_DEP_2) | instskip(NEXT) | instid1(VALU_DEP_2)
	v_cmp_eq_u32_e32 vcc_lo, 0, v132
	v_cndmask_b32_e32 v132, v133, v143, vcc_lo
; %bb.48:
	s_or_b32 exec_lo, exec_lo, s3
	v_and_b32_e32 v133, 0x7f800000, v134
	s_delay_alu instid0(VALU_DEP_1) | instskip(SKIP_1) | instid1(SALU_CYCLE_1)
	v_cmp_ne_u32_e32 vcc_lo, 0x7f800000, v133
                                        ; implicit-def: $vgpr133
	s_and_saveexec_b32 s3, vcc_lo
	s_xor_b32 s3, exec_lo, s3
; %bb.49:
	v_bfe_u32 v133, v134, 16, 1
	s_delay_alu instid0(VALU_DEP_1)
	v_add3_u32 v133, v134, v133, 0x7fff
                                        ; implicit-def: $vgpr134
; %bb.50:
	s_and_not1_saveexec_b32 s3, s3
; %bb.51:
	v_and_b32_e32 v133, 0xffff, v134
	v_or_b32_e32 v139, 0x10000, v134
	s_delay_alu instid0(VALU_DEP_2) | instskip(NEXT) | instid1(VALU_DEP_2)
	v_cmp_eq_u32_e32 vcc_lo, 0, v133
	v_cndmask_b32_e32 v133, v139, v134, vcc_lo
; %bb.52:
	s_or_b32 exec_lo, exec_lo, s3
	v_and_b32_e32 v134, 0x7f800000, v142
	s_delay_alu instid0(VALU_DEP_1) | instskip(SKIP_1) | instid1(SALU_CYCLE_1)
	v_cmp_ne_u32_e32 vcc_lo, 0x7f800000, v134
                                        ; implicit-def: $vgpr134
	s_and_saveexec_b32 s3, vcc_lo
	s_xor_b32 s3, exec_lo, s3
; %bb.53:
	v_bfe_u32 v134, v142, 16, 1
	s_delay_alu instid0(VALU_DEP_1)
	v_add3_u32 v134, v142, v134, 0x7fff
                                        ; implicit-def: $vgpr142
; %bb.54:
	s_and_not1_saveexec_b32 s3, s3
; %bb.55:
	v_and_b32_e32 v134, 0xffff, v142
	v_or_b32_e32 v139, 0x10000, v142
	s_delay_alu instid0(VALU_DEP_2) | instskip(NEXT) | instid1(VALU_DEP_2)
	v_cmp_eq_u32_e32 vcc_lo, 0, v134
	v_cndmask_b32_e32 v134, v139, v142, vcc_lo
; %bb.56:
	s_or_b32 exec_lo, exec_lo, s3
	v_and_b32_e32 v139, 0x7f800000, v141
	s_delay_alu instid0(VALU_DEP_1) | instskip(SKIP_1) | instid1(SALU_CYCLE_1)
	v_cmp_ne_u32_e32 vcc_lo, 0x7f800000, v139
                                        ; implicit-def: $vgpr139
	s_and_saveexec_b32 s3, vcc_lo
	s_xor_b32 s3, exec_lo, s3
; %bb.57:
	v_bfe_u32 v139, v141, 16, 1
	s_delay_alu instid0(VALU_DEP_1)
	v_add3_u32 v139, v141, v139, 0x7fff
                                        ; implicit-def: $vgpr141
; %bb.58:
	s_and_not1_saveexec_b32 s3, s3
; %bb.59:
	v_and_b32_e32 v139, 0xffff, v141
	v_or_b32_e32 v142, 0x10000, v141
	s_delay_alu instid0(VALU_DEP_2) | instskip(NEXT) | instid1(VALU_DEP_2)
	v_cmp_eq_u32_e32 vcc_lo, 0, v139
	v_cndmask_b32_e32 v139, v142, v141, vcc_lo
; %bb.60:
	s_or_b32 exec_lo, exec_lo, s3
	v_and_b32_e32 v141, 0x7f800000, v135
	s_delay_alu instid0(VALU_DEP_1) | instskip(SKIP_1) | instid1(SALU_CYCLE_1)
	v_cmp_ne_u32_e32 vcc_lo, 0x7f800000, v141
                                        ; implicit-def: $vgpr141
	s_and_saveexec_b32 s3, vcc_lo
	s_xor_b32 s3, exec_lo, s3
; %bb.61:
	v_bfe_u32 v141, v135, 16, 1
	s_delay_alu instid0(VALU_DEP_1)
	v_add3_u32 v141, v135, v141, 0x7fff
                                        ; implicit-def: $vgpr135
; %bb.62:
	s_and_not1_saveexec_b32 s3, s3
; %bb.63:
	v_and_b32_e32 v141, 0xffff, v135
	v_or_b32_e32 v142, 0x10000, v135
	s_delay_alu instid0(VALU_DEP_2) | instskip(NEXT) | instid1(VALU_DEP_2)
	v_cmp_eq_u32_e32 vcc_lo, 0, v141
	v_cndmask_b32_e32 v141, v142, v135, vcc_lo
; %bb.64:
	s_or_b32 exec_lo, exec_lo, s3
	v_and_b32_e32 v135, 0x7f800000, v136
	s_delay_alu instid0(VALU_DEP_1) | instskip(SKIP_1) | instid1(SALU_CYCLE_1)
	v_cmp_ne_u32_e32 vcc_lo, 0x7f800000, v135
                                        ; implicit-def: $vgpr135
	s_and_saveexec_b32 s3, vcc_lo
	s_xor_b32 s3, exec_lo, s3
; %bb.65:
	v_bfe_u32 v135, v136, 16, 1
	s_delay_alu instid0(VALU_DEP_1)
	v_add3_u32 v135, v136, v135, 0x7fff
                                        ; implicit-def: $vgpr136
; %bb.66:
	s_and_not1_saveexec_b32 s3, s3
; %bb.67:
	v_and_b32_e32 v135, 0xffff, v136
	v_or_b32_e32 v142, 0x10000, v136
	s_delay_alu instid0(VALU_DEP_2) | instskip(NEXT) | instid1(VALU_DEP_2)
	v_cmp_eq_u32_e32 vcc_lo, 0, v135
	v_cndmask_b32_e32 v135, v142, v136, vcc_lo
; %bb.68:
	s_or_b32 exec_lo, exec_lo, s3
	v_and_b32_e32 v136, 0x7f800000, v137
	s_delay_alu instid0(VALU_DEP_1) | instskip(SKIP_1) | instid1(SALU_CYCLE_1)
	v_cmp_ne_u32_e32 vcc_lo, 0x7f800000, v136
                                        ; implicit-def: $vgpr136
	s_and_saveexec_b32 s3, vcc_lo
	s_xor_b32 s3, exec_lo, s3
; %bb.69:
	v_bfe_u32 v136, v137, 16, 1
	s_delay_alu instid0(VALU_DEP_1)
	v_add3_u32 v136, v137, v136, 0x7fff
                                        ; implicit-def: $vgpr137
; %bb.70:
	s_and_not1_saveexec_b32 s3, s3
; %bb.71:
	v_and_b32_e32 v136, 0xffff, v137
	v_or_b32_e32 v142, 0x10000, v137
	s_delay_alu instid0(VALU_DEP_2) | instskip(NEXT) | instid1(VALU_DEP_2)
	v_cmp_eq_u32_e32 vcc_lo, 0, v136
	v_cndmask_b32_e32 v136, v142, v137, vcc_lo
; %bb.72:
	s_or_b32 exec_lo, exec_lo, s3
	v_and_b32_e32 v137, 0x7f800000, v138
	s_delay_alu instid0(VALU_DEP_1) | instskip(SKIP_1) | instid1(SALU_CYCLE_1)
	v_cmp_ne_u32_e32 vcc_lo, 0x7f800000, v137
                                        ; implicit-def: $vgpr137
	s_and_saveexec_b32 s3, vcc_lo
	s_xor_b32 s3, exec_lo, s3
; %bb.73:
	v_bfe_u32 v137, v138, 16, 1
	s_delay_alu instid0(VALU_DEP_1)
	v_add3_u32 v137, v138, v137, 0x7fff
                                        ; implicit-def: $vgpr138
; %bb.74:
	s_and_not1_saveexec_b32 s3, s3
; %bb.75:
	v_and_b32_e32 v137, 0xffff, v138
	v_or_b32_e32 v142, 0x10000, v138
	s_delay_alu instid0(VALU_DEP_2) | instskip(NEXT) | instid1(VALU_DEP_2)
	v_cmp_eq_u32_e32 vcc_lo, 0, v137
	v_cndmask_b32_e32 v137, v142, v138, vcc_lo
; %bb.76:
	s_or_b32 exec_lo, exec_lo, s3
	s_delay_alu instid0(VALU_DEP_1)
	v_perm_b32 v136, v137, v136, 0x7060302
	v_perm_b32 v135, v135, v141, 0x7060302
	;; [unrolled: 1-line block ×4, first 2 shown]
	v_lshl_or_b32 v141, v149, 11, v140
	ds_store_b128 v131, v[133:136] offset:1024
	s_waitcnt lgkmcnt(0)
	s_barrier
	buffer_gl0_inv
	ds_load_b128 v[132:135], v141
	ds_load_b128 v[149:152], v141 offset:16
	s_waitcnt lgkmcnt(1)
	v_lshrrev_b32_e32 v136, 16, v132
	s_waitcnt lgkmcnt(0)
	v_lshrrev_b32_e32 v164, 16, v151
	v_lshlrev_b32_e32 v138, 2, v146
	v_lshrrev_b32_e32 v143, 16, v149
	v_lshrrev_b32_e32 v162, 16, v150
	;; [unrolled: 1-line block ×4, first 2 shown]
	v_or_b32_e32 v139, 1, v138
	v_lshrrev_b32_e32 v165, 16, v152
	v_lshrrev_b32_e32 v163, 16, v135
	s_delay_alu instid0(VALU_DEP_3)
	v_cmp_eq_u32_e64 s7, 1, v139
	v_cmp_eq_u32_e64 s6, 2, v139
	;; [unrolled: 1-line block ×4, first 2 shown]
	v_cmp_eq_u32_e32 vcc_lo, 5, v139
	v_cndmask_b32_e64 v155, v149, v143, s7
	v_cndmask_b32_e64 v154, v132, v136, s7
	v_cmp_eq_u32_e64 s4, 6, v139
	v_cmp_eq_u32_e64 s19, 7, v139
	s_delay_alu instid0(VALU_DEP_4) | instskip(NEXT) | instid1(VALU_DEP_4)
	v_cndmask_b32_e64 v155, v155, v150, s6
	v_cndmask_b32_e64 v154, v154, v133, s6
	s_delay_alu instid0(VALU_DEP_2) | instskip(NEXT) | instid1(VALU_DEP_2)
	v_cndmask_b32_e64 v155, v155, v162, s5
	v_cndmask_b32_e64 v154, v154, v144, s5
	s_delay_alu instid0(VALU_DEP_2) | instskip(NEXT) | instid1(VALU_DEP_2)
	v_cndmask_b32_e64 v155, v155, v151, s3
	v_cndmask_b32_e64 v154, v154, v134, s3
	s_delay_alu instid0(VALU_DEP_2)
	v_cndmask_b32_e32 v157, v155, v164, vcc_lo
	v_cmp_eq_u32_e64 s12, 1, v138
	v_cmp_eq_u32_e64 s11, 2, v138
	;; [unrolled: 1-line block ×3, first 2 shown]
	v_or_b32_e32 v137, 2, v138
	v_cmp_eq_u32_e64 s17, 4, v138
	v_cndmask_b32_e64 v153, v149, v143, s12
	v_cndmask_b32_e64 v142, v132, v136, s12
	v_cmp_eq_u32_e64 s13, 5, v138
	v_cmp_eq_u32_e64 s8, 1, v137
	;; [unrolled: 1-line block ×3, first 2 shown]
	v_cndmask_b32_e64 v153, v153, v150, s11
	v_cndmask_b32_e64 v142, v142, v133, s11
	v_cmp_eq_u32_e64 s10, 2, v137
	v_cndmask_b32_e64 v156, v132, v136, s8
	v_cndmask_b32_e32 v154, v154, v161, vcc_lo
	v_cndmask_b32_e64 v153, v153, v162, s16
	v_cndmask_b32_e64 v142, v142, v144, s16
	v_cmp_eq_u32_e64 s9, 7, v138
	v_cndmask_b32_e64 v156, v156, v133, s10
	v_cmp_eq_u32_e64 s18, 3, v137
	v_cndmask_b32_e64 v153, v153, v151, s17
	v_cndmask_b32_e64 v142, v142, v134, s17
	;; [unrolled: 1-line block ×3, first 2 shown]
	v_cmp_eq_u32_e64 s20, 4, v137
	v_cndmask_b32_e64 v156, v156, v144, s18
	v_cndmask_b32_e64 v153, v153, v164, s13
	;; [unrolled: 1-line block ×4, first 2 shown]
	v_cmp_eq_u32_e64 s22, 5, v137
	v_cndmask_b32_e64 v159, v156, v134, s20
	v_cndmask_b32_e64 v153, v153, v152, s15
	;; [unrolled: 1-line block ×3, first 2 shown]
	v_cmp_eq_u32_e64 s25, 6, v137
	v_cmp_eq_u32_e64 s27, 7, v137
	v_cndmask_b32_e64 v169, v159, v161, s22
	v_cndmask_b32_e64 v167, v153, v165, s9
	;; [unrolled: 1-line block ×4, first 2 shown]
	v_or_b32_e32 v142, 3, v138
	s_delay_alu instid0(VALU_DEP_3)
	v_cndmask_b32_e64 v158, v153, v150, s10
	ds_load_b128 v[153:156], v141 offset:1024
	v_cmp_eq_u32_e64 s21, 1, v142
	v_cmp_eq_u32_e64 s23, 2, v142
	;; [unrolled: 1-line block ×3, first 2 shown]
	v_cndmask_b32_e64 v158, v158, v162, s18
	v_cmp_eq_u32_e64 s26, 4, v142
	v_cndmask_b32_e64 v132, v132, v136, s21
	v_cndmask_b32_e64 v136, v157, v152, s4
	;; [unrolled: 1-line block ×4, first 2 shown]
	ds_load_b128 v[157:160], v141 offset:1040
	v_cndmask_b32_e64 v132, v132, v133, s23
	v_cmp_eq_u32_e64 s28, 5, v142
	v_cndmask_b32_e64 v143, v143, v150, s23
	v_cmp_eq_u32_e64 s29, 6, v142
	v_cndmask_b32_e64 v133, v170, v164, s22
	v_cndmask_b32_e64 v132, v132, v144, s24
	;; [unrolled: 1-line block ×5, first 2 shown]
	s_waitcnt lgkmcnt(1)
	v_lshrrev_b32_e32 v149, 16, v153
	v_cndmask_b32_e64 v132, v132, v134, s26
	v_cndmask_b32_e64 v133, v133, v152, s25
	;; [unrolled: 1-line block ×3, first 2 shown]
	v_lshrrev_b32_e32 v151, 16, v154
	v_cndmask_b32_e64 v143, v153, v149, s12
	v_cndmask_b32_e64 v132, v132, v161, s28
	;; [unrolled: 1-line block ×5, first 2 shown]
	s_waitcnt lgkmcnt(0)
	v_lshrrev_b32_e32 v150, 16, v157
	v_cndmask_b32_e64 v143, v143, v154, s11
	v_cndmask_b32_e64 v132, v132, v135, s29
	;; [unrolled: 1-line block ×3, first 2 shown]
	v_lshrrev_b32_e32 v164, 16, v159
	v_cndmask_b32_e64 v162, v157, v150, s12
	v_cndmask_b32_e64 v135, v143, v151, s16
	;; [unrolled: 1-line block ×3, first 2 shown]
	v_lshrrev_b32_e32 v161, 16, v158
	v_cndmask_b32_e64 v133, v133, v165, s27
	v_cndmask_b32_e64 v152, v162, v158, s11
	v_cmp_eq_u32_e64 s11, 7, v142
	v_cndmask_b32_e64 v143, v143, v151, s5
	v_cndmask_b32_e64 v135, v135, v155, s17
	v_lshrrev_b32_e32 v162, 16, v155
	v_cndmask_b32_e64 v152, v152, v161, s16
	v_cndmask_b32_e64 v132, v132, v163, s11
	;; [unrolled: 1-line block ×6, first 2 shown]
	s_delay_alu instid0(VALU_DEP_4) | instskip(NEXT) | instid1(VALU_DEP_4)
	v_perm_b32 v135, v134, v132, 0x5040100
	v_cndmask_b32_e32 v132, v143, v162, vcc_lo
	s_delay_alu instid0(VALU_DEP_4)
	v_cndmask_b32_e64 v143, v163, v156, s15
	v_lshrrev_b32_e32 v163, 16, v156
	v_cndmask_b32_e64 v152, v152, v164, s13
	v_perm_b32 v134, v133, v144, 0x5040100
	v_cndmask_b32_e64 v132, v132, v156, s4
	v_perm_b32 v133, v136, v168, 0x5040100
	v_cndmask_b32_e64 v136, v143, v163, s9
	v_cndmask_b32_e64 v143, v152, v160, s15
	;; [unrolled: 1-line block ×13, first 2 shown]
	v_lshrrev_b32_e32 v144, 16, v160
	v_cndmask_b32_e64 v132, v132, v151, s18
	v_cndmask_b32_e64 v149, v149, v151, s24
	;; [unrolled: 1-line block ×14, first 2 shown]
	v_cndmask_b32_e32 v150, v150, v164, vcc_lo
	v_cndmask_b32_e64 v132, v132, v156, s25
	v_cndmask_b32_e64 v149, v149, v156, s29
	;; [unrolled: 1-line block ×11, first 2 shown]
	v_perm_b32 v132, v167, v166, 0x5040100
	v_perm_b32 v152, v151, v149, 0x5040100
	;; [unrolled: 1-line block ×5, first 2 shown]
	s_mul_i32 s8, s35, 14
	s_mov_b32 s3, exec_lo
	ds_store_b128 v131, v[132:135]
	ds_store_b128 v131, v[149:152] offset:1024
	v_cmpx_gt_u32_e32 14, v0
	s_cbranch_execz .LBB399_78
; %bb.77:
	s_mul_i32 s4, s8, s30
	s_delay_alu instid0(SALU_CYCLE_1) | instskip(SKIP_1) | instid1(VALU_DEP_1)
	v_add3_u32 v133, s4, s31, v148
	s_load_b128 s[4:7], s[0:1], 0x58
	v_mad_u64_u32 v[131:132], null, v133, s34, s[14:15]
	s_delay_alu instid0(VALU_DEP_1) | instskip(NEXT) | instid1(VALU_DEP_1)
	v_ashrrev_i32_e32 v132, 31, v131
	v_lshlrev_b64 v[131:132], 2, v[131:132]
	s_waitcnt lgkmcnt(0)
	s_delay_alu instid0(VALU_DEP_1) | instskip(NEXT) | instid1(VALU_DEP_2)
	v_add_co_u32 v133, vcc_lo, s6, v131
	v_add_co_ci_u32_e32 v134, vcc_lo, s7, v132, vcc_lo
	v_add_co_u32 v131, vcc_lo, s4, v131
	v_add_co_ci_u32_e32 v132, vcc_lo, s5, v132, vcc_lo
	global_store_b32 v[133:134], v129, off
	global_store_b32 v[131:132], v130, off
.LBB399_78:
	s_or_b32 exec_lo, exec_lo, s3
	s_waitcnt lgkmcnt(0)
	s_waitcnt_vscnt null, 0x0
	s_barrier
	buffer_gl0_inv
	ds_load_b128 v[148:151], v140
	ds_load_b128 v[152:155], v140 offset:16
	ds_load_b128 v[160:163], v140 offset:1040
	;; [unrolled: 1-line block ×3, first 2 shown]
	v_mov_b32_e32 v129, 0
	ds_load_b128 v[168:171], v140 offset:2064
	ds_load_b128 v[164:167], v140 offset:2048
	ds_load_b128 v[176:179], v140 offset:3088
	ds_load_b128 v[172:175], v140 offset:3072
	ds_load_b128 v[184:187], v140 offset:4112
	ds_load_b128 v[180:183], v140 offset:4096
	v_mov_b32_e32 v130, v129
	v_mov_b32_e32 v131, v129
	;; [unrolled: 1-line block ×7, first 2 shown]
	s_waitcnt lgkmcnt(8)
	s_delay_alu instid0(VALU_DEP_1)
	v_wmma_f32_16x16x16_bf16 v[129:136], v[121:128], v[148:155], v[129:136]
	ds_load_b128 v[125:128], v140 offset:5136
	ds_load_b128 v[121:124], v140 offset:5120
	s_waitcnt lgkmcnt(8)
	v_wmma_f32_16x16x16_bf16 v[129:136], v[113:120], v[156:163], v[129:136]
	ds_load_b128 v[117:120], v140 offset:6160
	ds_load_b128 v[113:116], v140 offset:6144
	s_waitcnt lgkmcnt(8)
	;; [unrolled: 4-line block ×8, first 2 shown]
	v_wmma_f32_16x16x16_bf16 v[129:136], v[65:72], v[97:104], v[129:136]
	s_waitcnt lgkmcnt(6)
	s_delay_alu instid0(VALU_DEP_1)
	v_wmma_f32_16x16x16_bf16 v[129:136], v[49:56], v[89:96], v[129:136]
	ds_load_b128 v[53:56], v140 offset:13328
	ds_load_b128 v[49:52], v140 offset:13312
	s_waitcnt lgkmcnt(6)
	v_wmma_f32_16x16x16_bf16 v[129:136], v[41:48], v[81:88], v[129:136]
	ds_load_b128 v[45:48], v140 offset:14352
	ds_load_b128 v[41:44], v140 offset:14336
	s_waitcnt lgkmcnt(6)
	;; [unrolled: 4-line block ×3, first 2 shown]
	v_wmma_f32_16x16x16_bf16 v[129:136], v[1:8], v[57:64], v[129:136]
	s_waitcnt lgkmcnt(4)
	s_delay_alu instid0(VALU_DEP_1) | instskip(SKIP_1) | instid1(VALU_DEP_1)
	v_wmma_f32_16x16x16_bf16 v[129:136], v[25:32], v[49:56], v[129:136]
	s_waitcnt lgkmcnt(2)
	v_wmma_f32_16x16x16_bf16 v[129:136], v[33:40], v[41:48], v[129:136]
	s_waitcnt lgkmcnt(0)
	s_delay_alu instid0(VALU_DEP_1) | instskip(NEXT) | instid1(VALU_DEP_1)
	v_wmma_f32_16x16x16_bf16 v[129:136], v[9:16], v[17:24], v[129:136]
	v_and_b32_e32 v1, 0x7f800000, v129
	s_delay_alu instid0(VALU_DEP_1) | instskip(SKIP_1) | instid1(SALU_CYCLE_1)
	v_cmp_ne_u32_e32 vcc_lo, 0x7f800000, v1
                                        ; implicit-def: $vgpr1
	s_and_saveexec_b32 s3, vcc_lo
	s_xor_b32 s3, exec_lo, s3
; %bb.79:
	v_bfe_u32 v1, v129, 16, 1
	s_delay_alu instid0(VALU_DEP_1)
	v_add3_u32 v1, v129, v1, 0x7fff
; %bb.80:
	s_and_not1_saveexec_b32 s3, s3
; %bb.81:
	v_and_b32_e32 v1, 0xffff, v129
	v_or_b32_e32 v2, 0x10000, v129
	s_delay_alu instid0(VALU_DEP_2) | instskip(NEXT) | instid1(VALU_DEP_2)
	v_cmp_eq_u32_e32 vcc_lo, 0, v1
	v_cndmask_b32_e32 v1, v2, v129, vcc_lo
; %bb.82:
	s_or_b32 exec_lo, exec_lo, s3
	v_and_b32_e32 v2, 0x7f800000, v130
	s_delay_alu instid0(VALU_DEP_1) | instskip(SKIP_1) | instid1(SALU_CYCLE_1)
	v_cmp_ne_u32_e32 vcc_lo, 0x7f800000, v2
                                        ; implicit-def: $vgpr2
	s_and_saveexec_b32 s3, vcc_lo
	s_xor_b32 s3, exec_lo, s3
; %bb.83:
	v_bfe_u32 v2, v130, 16, 1
	s_delay_alu instid0(VALU_DEP_1)
	v_add3_u32 v2, v130, v2, 0x7fff
; %bb.84:
	s_and_not1_saveexec_b32 s3, s3
; %bb.85:
	v_and_b32_e32 v2, 0xffff, v130
	v_or_b32_e32 v3, 0x10000, v130
	s_delay_alu instid0(VALU_DEP_2) | instskip(NEXT) | instid1(VALU_DEP_2)
	v_cmp_eq_u32_e32 vcc_lo, 0, v2
	v_cndmask_b32_e32 v2, v3, v130, vcc_lo
; %bb.86:
	s_or_b32 exec_lo, exec_lo, s3
	v_and_b32_e32 v3, 0x7f800000, v131
	s_delay_alu instid0(VALU_DEP_1) | instskip(SKIP_1) | instid1(SALU_CYCLE_1)
	v_cmp_ne_u32_e32 vcc_lo, 0x7f800000, v3
                                        ; implicit-def: $vgpr3
	s_and_saveexec_b32 s3, vcc_lo
	s_xor_b32 s3, exec_lo, s3
; %bb.87:
	v_bfe_u32 v3, v131, 16, 1
	s_delay_alu instid0(VALU_DEP_1)
	v_add3_u32 v3, v131, v3, 0x7fff
; %bb.88:
	s_and_not1_saveexec_b32 s3, s3
; %bb.89:
	v_and_b32_e32 v3, 0xffff, v131
	v_or_b32_e32 v4, 0x10000, v131
	s_delay_alu instid0(VALU_DEP_2) | instskip(NEXT) | instid1(VALU_DEP_2)
	v_cmp_eq_u32_e32 vcc_lo, 0, v3
	v_cndmask_b32_e32 v3, v4, v131, vcc_lo
; %bb.90:
	s_or_b32 exec_lo, exec_lo, s3
	v_and_b32_e32 v4, 0x7f800000, v132
	s_delay_alu instid0(VALU_DEP_1) | instskip(SKIP_1) | instid1(SALU_CYCLE_1)
	v_cmp_ne_u32_e32 vcc_lo, 0x7f800000, v4
                                        ; implicit-def: $vgpr4
	s_and_saveexec_b32 s3, vcc_lo
	s_xor_b32 s3, exec_lo, s3
; %bb.91:
	v_bfe_u32 v4, v132, 16, 1
	s_delay_alu instid0(VALU_DEP_1)
	v_add3_u32 v4, v132, v4, 0x7fff
; %bb.92:
	s_and_not1_saveexec_b32 s3, s3
; %bb.93:
	v_and_b32_e32 v4, 0xffff, v132
	v_or_b32_e32 v5, 0x10000, v132
	s_delay_alu instid0(VALU_DEP_2) | instskip(NEXT) | instid1(VALU_DEP_2)
	v_cmp_eq_u32_e32 vcc_lo, 0, v4
	v_cndmask_b32_e32 v4, v5, v132, vcc_lo
; %bb.94:
	s_or_b32 exec_lo, exec_lo, s3
	v_and_b32_e32 v5, 0x7f800000, v133
	s_delay_alu instid0(VALU_DEP_1) | instskip(SKIP_1) | instid1(SALU_CYCLE_1)
	v_cmp_ne_u32_e32 vcc_lo, 0x7f800000, v5
                                        ; implicit-def: $vgpr5
	s_and_saveexec_b32 s3, vcc_lo
	s_xor_b32 s3, exec_lo, s3
; %bb.95:
	v_bfe_u32 v5, v133, 16, 1
	s_delay_alu instid0(VALU_DEP_1)
	v_add3_u32 v5, v133, v5, 0x7fff
; %bb.96:
	s_and_not1_saveexec_b32 s3, s3
; %bb.97:
	v_and_b32_e32 v5, 0xffff, v133
	v_or_b32_e32 v6, 0x10000, v133
	s_delay_alu instid0(VALU_DEP_2) | instskip(NEXT) | instid1(VALU_DEP_2)
	v_cmp_eq_u32_e32 vcc_lo, 0, v5
	v_cndmask_b32_e32 v5, v6, v133, vcc_lo
; %bb.98:
	s_or_b32 exec_lo, exec_lo, s3
	v_and_b32_e32 v6, 0x7f800000, v134
	s_delay_alu instid0(VALU_DEP_1) | instskip(SKIP_1) | instid1(SALU_CYCLE_1)
	v_cmp_ne_u32_e32 vcc_lo, 0x7f800000, v6
                                        ; implicit-def: $vgpr6
	s_and_saveexec_b32 s3, vcc_lo
	s_xor_b32 s3, exec_lo, s3
; %bb.99:
	v_bfe_u32 v6, v134, 16, 1
	s_delay_alu instid0(VALU_DEP_1)
	v_add3_u32 v6, v134, v6, 0x7fff
; %bb.100:
	s_and_not1_saveexec_b32 s3, s3
; %bb.101:
	v_and_b32_e32 v6, 0xffff, v134
	v_or_b32_e32 v7, 0x10000, v134
	s_delay_alu instid0(VALU_DEP_2) | instskip(NEXT) | instid1(VALU_DEP_2)
	v_cmp_eq_u32_e32 vcc_lo, 0, v6
	v_cndmask_b32_e32 v6, v7, v134, vcc_lo
; %bb.102:
	s_or_b32 exec_lo, exec_lo, s3
	v_and_b32_e32 v7, 0x7f800000, v135
	s_delay_alu instid0(VALU_DEP_1) | instskip(SKIP_1) | instid1(SALU_CYCLE_1)
	v_cmp_ne_u32_e32 vcc_lo, 0x7f800000, v7
                                        ; implicit-def: $vgpr7
	s_and_saveexec_b32 s3, vcc_lo
	s_xor_b32 s3, exec_lo, s3
; %bb.103:
	v_bfe_u32 v7, v135, 16, 1
	s_delay_alu instid0(VALU_DEP_1)
	v_add3_u32 v7, v135, v7, 0x7fff
; %bb.104:
	s_and_not1_saveexec_b32 s3, s3
; %bb.105:
	v_and_b32_e32 v7, 0xffff, v135
	v_or_b32_e32 v8, 0x10000, v135
	s_delay_alu instid0(VALU_DEP_2) | instskip(NEXT) | instid1(VALU_DEP_2)
	v_cmp_eq_u32_e32 vcc_lo, 0, v7
	v_cndmask_b32_e32 v7, v8, v135, vcc_lo
; %bb.106:
	s_or_b32 exec_lo, exec_lo, s3
	v_and_b32_e32 v8, 0x7f800000, v136
	s_delay_alu instid0(VALU_DEP_1) | instskip(SKIP_1) | instid1(SALU_CYCLE_1)
	v_cmp_ne_u32_e32 vcc_lo, 0x7f800000, v8
                                        ; implicit-def: $vgpr8
	s_and_saveexec_b32 s3, vcc_lo
	s_xor_b32 s3, exec_lo, s3
; %bb.107:
	v_bfe_u32 v8, v136, 16, 1
	s_delay_alu instid0(VALU_DEP_1)
	v_add3_u32 v8, v136, v8, 0x7fff
                                        ; implicit-def: $vgpr129_vgpr130_vgpr131_vgpr132_vgpr133_vgpr134_vgpr135_vgpr136
; %bb.108:
	s_and_not1_saveexec_b32 s3, s3
; %bb.109:
	v_and_b32_e32 v8, 0xffff, v136
	v_or_b32_e32 v9, 0x10000, v136
	s_delay_alu instid0(VALU_DEP_2) | instskip(NEXT) | instid1(VALU_DEP_2)
	v_cmp_eq_u32_e32 vcc_lo, 0, v8
	v_cndmask_b32_e32 v8, v9, v136, vcc_lo
; %bb.110:
	s_or_b32 exec_lo, exec_lo, s3
	s_delay_alu instid0(VALU_DEP_1)
	v_perm_b32 v7, v8, v7, 0x7060302
	v_perm_b32 v6, v6, v5, 0x7060302
	;; [unrolled: 1-line block ×4, first 2 shown]
	v_lshl_or_b32 v9, v146, 4, v141
	s_barrier
	buffer_gl0_inv
	v_cmp_eq_u32_e32 vcc_lo, 1, v138
	ds_store_b128 v9, v[4:7]
	s_waitcnt lgkmcnt(0)
	s_barrier
	buffer_gl0_inv
	ds_load_b128 v[1:4], v141
	ds_load_b128 v[5:8], v141 offset:16
	v_cmp_eq_u32_e64 s4, 2, v138
	v_cmp_eq_u32_e64 s3, 1, v139
	;; [unrolled: 1-line block ×5, first 2 shown]
	s_waitcnt lgkmcnt(1)
	v_lshrrev_b32_e32 v10, 16, v1
	s_waitcnt lgkmcnt(0)
	v_lshrrev_b32_e32 v14, 16, v5
	v_lshrrev_b32_e32 v15, 16, v6
	;; [unrolled: 1-line block ×4, first 2 shown]
	v_cndmask_b32_e64 v20, v1, v10, s3
	v_cndmask_b32_e32 v19, v5, v14, vcc_lo
	v_cndmask_b32_e64 v21, v5, v14, s3
	v_lshrrev_b32_e32 v16, 16, v7
	v_cmp_eq_u32_e64 s3, 1, v137
	v_lshrrev_b32_e32 v13, 16, v4
	v_cndmask_b32_e64 v19, v19, v6, s4
	v_lshrrev_b32_e32 v17, 16, v8
	s_delay_alu instid0(VALU_DEP_4) | instskip(SKIP_1) | instid1(VALU_DEP_4)
	v_cndmask_b32_e64 v22, v1, v10, s3
	v_cndmask_b32_e64 v23, v5, v14, s3
	;; [unrolled: 1-line block ×3, first 2 shown]
	v_cndmask_b32_e32 v18, v1, v10, vcc_lo
	v_cmp_eq_u32_e32 vcc_lo, 2, v139
	v_cmp_eq_u32_e64 s3, 2, v142
	v_cndmask_b32_e64 v22, v22, v2, s7
	v_cndmask_b32_e32 v20, v20, v2, vcc_lo
	v_cndmask_b32_e32 v21, v21, v6, vcc_lo
	v_cmp_eq_u32_e32 vcc_lo, 4, v138
	v_cndmask_b32_e32 v19, v19, v7, vcc_lo
	v_cndmask_b32_e64 v18, v18, v2, s4
	v_cmp_eq_u32_e64 s4, 3, v139
	s_delay_alu instid0(VALU_DEP_2) | instskip(NEXT) | instid1(VALU_DEP_2)
	v_cndmask_b32_e64 v18, v18, v11, s5
	v_cndmask_b32_e64 v21, v21, v15, s4
	v_cmp_eq_u32_e64 s5, 5, v138
	s_delay_alu instid0(VALU_DEP_3) | instskip(SKIP_1) | instid1(VALU_DEP_3)
	v_cndmask_b32_e32 v18, v18, v3, vcc_lo
	v_cmp_eq_u32_e32 vcc_lo, 4, v139
	v_cndmask_b32_e64 v19, v19, v16, s5
	s_delay_alu instid0(VALU_DEP_3) | instskip(SKIP_4) | instid1(VALU_DEP_3)
	v_cndmask_b32_e64 v18, v18, v12, s5
	v_cndmask_b32_e32 v21, v21, v7, vcc_lo
	v_cndmask_b32_e64 v20, v20, v11, s4
	v_cmp_eq_u32_e64 s4, 5, v139
	v_cmp_eq_u32_e64 s5, 6, v138
	v_cndmask_b32_e32 v20, v20, v3, vcc_lo
	s_delay_alu instid0(VALU_DEP_3) | instskip(SKIP_1) | instid1(VALU_DEP_4)
	v_cndmask_b32_e64 v21, v21, v16, s4
	v_cmp_eq_u32_e32 vcc_lo, 6, v139
	v_cndmask_b32_e64 v18, v18, v4, s5
	v_cndmask_b32_e64 v19, v19, v8, s5
	;; [unrolled: 1-line block ×3, first 2 shown]
	v_cmp_eq_u32_e64 s4, 1, v142
	v_cmp_eq_u32_e64 s5, 7, v138
	s_delay_alu instid0(VALU_DEP_3) | instskip(NEXT) | instid1(VALU_DEP_3)
	v_cndmask_b32_e32 v20, v20, v4, vcc_lo
	v_cndmask_b32_e64 v1, v1, v10, s4
	v_cndmask_b32_e64 v5, v5, v14, s4
	v_cmp_eq_u32_e64 s4, 3, v137
	v_cndmask_b32_e64 v14, v23, v6, s7
	v_cmp_eq_u32_e64 s7, 3, v142
	v_cndmask_b32_e64 v1, v1, v2, s3
	v_cndmask_b32_e64 v2, v5, v6, s3
	;; [unrolled: 1-line block ×3, first 2 shown]
	v_cmp_eq_u32_e64 s3, 4, v137
	v_cndmask_b32_e64 v6, v14, v15, s4
	v_cndmask_b32_e64 v1, v1, v11, s7
	v_cmp_eq_u32_e64 s4, 4, v142
	v_cndmask_b32_e64 v2, v2, v15, s7
	v_cndmask_b32_e64 v5, v10, v3, s3
	;; [unrolled: 3-line block ×3, first 2 shown]
	v_cndmask_b32_e64 v2, v2, v7, s4
	v_cmp_eq_u32_e64 s3, 5, v142
	v_cndmask_b32_e64 v5, v5, v12, s7
	v_cmp_eq_u32_e64 s4, 6, v137
	v_cndmask_b32_e64 v3, v6, v16, s7
	v_cmp_eq_u32_e64 s7, 6, v142
	v_cndmask_b32_e64 v1, v1, v12, s3
	v_cndmask_b32_e64 v2, v2, v16, s3
	;; [unrolled: 1-line block ×4, first 2 shown]
	v_cmp_eq_u32_e64 s3, 7, v142
	v_cndmask_b32_e64 v1, v1, v4, s7
	v_cndmask_b32_e64 v2, v2, v8, s7
	v_cmp_eq_u32_e64 s4, 7, v137
	v_cndmask_b32_e32 v4, v21, v8, vcc_lo
	v_cndmask_b32_e64 v18, v18, v13, s5
	v_cndmask_b32_e64 v20, v20, v13, s6
	;; [unrolled: 1-line block ×8, first 2 shown]
	v_cmp_gt_u32_e32 vcc_lo, 32, v0
	v_perm_b32 v4, v2, v1, 0x5040100
	v_perm_b32 v3, v3, v5, 0x5040100
	;; [unrolled: 1-line block ×4, first 2 shown]
	s_and_b32 s2, vcc_lo, s2
	ds_store_b128 v9, v[1:4]
	s_waitcnt lgkmcnt(0)
	s_barrier
	buffer_gl0_inv
	s_and_saveexec_b32 s3, s2
	s_cbranch_execz .LBB399_2
; %bb.111:
	s_load_b64 s[0:1], s[0:1], 0x68
	v_lshlrev_b32_e32 v0, 10, v0
	s_lshl_b32 s4, s34, 6
	v_or_b32_e32 v3, s31, v146
	s_mul_i32 s2, s4, s30
	v_lshlrev_b32_e32 v1, 4, v147
	v_lshlrev_b32_e32 v2, 6, v146
	v_and_b32_e32 v0, 0x3800, v0
	s_mul_i32 s2, s2, s8
	v_mul_lo_u32 v8, v3, s4
	s_ashr_i32 s3, s2, 31
	s_delay_alu instid0(SALU_CYCLE_1)
	s_lshl_b64 s[2:3], s[2:3], 1
	v_or3_b32 v16, v0, v1, v2
	ds_load_b128 v[0:3], v16
	ds_load_b128 v[4:7], v16 offset:128
	v_ashrrev_i32_e32 v9, 31, v8
	s_waitcnt lgkmcnt(0)
	s_add_u32 s2, s0, s2
	s_addc_u32 s3, s1, s3
	s_lshl_b32 s0, s14, 6
	s_delay_alu instid0(SALU_CYCLE_1) | instskip(SKIP_2) | instid1(SALU_CYCLE_1)
	s_ashr_i32 s1, s0, 31
	v_lshlrev_b64 v[9:10], 1, v[8:9]
	s_lshl_b64 s[0:1], s[0:1], 1
	s_add_u32 s0, s2, s0
	s_addc_u32 s1, s3, s1
	s_lshl_b32 s2, s34, 7
	v_add_co_u32 v30, s0, s0, v145
	v_add_nc_u32_e32 v11, s2, v8
	v_add_co_ci_u32_e64 v31, null, s1, 0, s0
	s_delay_alu instid0(VALU_DEP_3) | instskip(NEXT) | instid1(VALU_DEP_3)
	v_add_co_u32 v9, vcc_lo, v30, v9
	v_add_nc_u32_e32 v8, s2, v11
	s_delay_alu instid0(VALU_DEP_3) | instskip(SKIP_1) | instid1(VALU_DEP_3)
	v_add_co_ci_u32_e32 v10, vcc_lo, v31, v10, vcc_lo
	v_ashrrev_i32_e32 v12, 31, v11
	v_add_nc_u32_e32 v13, s2, v8
	global_store_b128 v[9:10], v[0:3], off
	v_ashrrev_i32_e32 v9, 31, v8
	v_lshlrev_b64 v[11:12], 1, v[11:12]
	v_ashrrev_i32_e32 v14, 31, v13
	v_add_nc_u32_e32 v10, s2, v13
	s_delay_alu instid0(VALU_DEP_4) | instskip(NEXT) | instid1(VALU_DEP_4)
	v_lshlrev_b64 v[2:3], 1, v[8:9]
	v_add_co_u32 v0, vcc_lo, v30, v11
	s_delay_alu instid0(VALU_DEP_4)
	v_lshlrev_b64 v[8:9], 1, v[13:14]
	v_add_co_ci_u32_e32 v1, vcc_lo, v31, v12, vcc_lo
	v_ashrrev_i32_e32 v11, 31, v10
	v_add_co_u32 v22, vcc_lo, v30, v2
	v_add_nc_u32_e32 v20, s2, v10
	v_add_co_ci_u32_e32 v23, vcc_lo, v31, v3, vcc_lo
	v_add_co_u32 v24, vcc_lo, v30, v8
	global_store_b128 v[0:1], v[4:7], off
	v_add_co_ci_u32_e32 v25, vcc_lo, v31, v9, vcc_lo
	ds_load_b128 v[0:3], v16 offset:256
	ds_load_b128 v[4:7], v16 offset:384
	v_lshlrev_b64 v[26:27], 1, v[10:11]
	ds_load_b128 v[8:11], v16 offset:512
	ds_load_b128 v[12:15], v16 offset:640
	;; [unrolled: 1-line block ×3, first 2 shown]
	v_add_nc_u32_e32 v28, s2, v20
	v_ashrrev_i32_e32 v21, 31, v20
	v_add_co_u32 v26, vcc_lo, v30, v26
	s_delay_alu instid0(VALU_DEP_3) | instskip(NEXT) | instid1(VALU_DEP_3)
	v_ashrrev_i32_e32 v29, 31, v28
	v_lshlrev_b64 v[20:21], 1, v[20:21]
	v_add_co_ci_u32_e32 v27, vcc_lo, v31, v27, vcc_lo
	s_delay_alu instid0(VALU_DEP_3) | instskip(NEXT) | instid1(VALU_DEP_3)
	v_lshlrev_b64 v[28:29], 1, v[28:29]
	v_add_co_u32 v20, vcc_lo, v30, v20
	s_delay_alu instid0(VALU_DEP_4) | instskip(NEXT) | instid1(VALU_DEP_3)
	v_add_co_ci_u32_e32 v21, vcc_lo, v31, v21, vcc_lo
	v_add_co_u32 v28, vcc_lo, v30, v28
	s_delay_alu instid0(VALU_DEP_4)
	v_add_co_ci_u32_e32 v29, vcc_lo, v31, v29, vcc_lo
	s_waitcnt lgkmcnt(4)
	global_store_b128 v[22:23], v[0:3], off
	s_waitcnt lgkmcnt(3)
	global_store_b128 v[24:25], v[4:7], off
	;; [unrolled: 2-line block ×5, first 2 shown]
	s_nop 0
	s_sendmsg sendmsg(MSG_DEALLOC_VGPRS)
	s_endpgm
	.section	.rodata,"a",@progbits
	.p2align	6, 0x0
	.amdhsa_kernel _Z39paged_attention_ll4mi_QKV_mfma16_kernelI14__hip_bfloat16S0_LN4vllm18Fp8KVCacheDataTypeE0EhLi16ELi64ELi256ELb1ELi14EL8MFMAType0EEvPKT_PKT0_S9_ifPKiSB_SB_iPKfiiiPfSE_PS4_PT2_iSD_SD_
		.amdhsa_group_segment_fixed_size 17472
		.amdhsa_private_segment_fixed_size 0
		.amdhsa_kernarg_size 400
		.amdhsa_user_sgpr_count 13
		.amdhsa_user_sgpr_dispatch_ptr 0
		.amdhsa_user_sgpr_queue_ptr 0
		.amdhsa_user_sgpr_kernarg_segment_ptr 1
		.amdhsa_user_sgpr_dispatch_id 0
		.amdhsa_user_sgpr_private_segment_size 0
		.amdhsa_wavefront_size32 1
		.amdhsa_uses_dynamic_stack 0
		.amdhsa_enable_private_segment 0
		.amdhsa_system_sgpr_workgroup_id_x 1
		.amdhsa_system_sgpr_workgroup_id_y 1
		.amdhsa_system_sgpr_workgroup_id_z 1
		.amdhsa_system_sgpr_workgroup_info 0
		.amdhsa_system_vgpr_workitem_id 0
		.amdhsa_next_free_vgpr 198
		.amdhsa_next_free_sgpr 52
		.amdhsa_reserve_vcc 1
		.amdhsa_float_round_mode_32 0
		.amdhsa_float_round_mode_16_64 0
		.amdhsa_float_denorm_mode_32 3
		.amdhsa_float_denorm_mode_16_64 3
		.amdhsa_dx10_clamp 1
		.amdhsa_ieee_mode 1
		.amdhsa_fp16_overflow 0
		.amdhsa_workgroup_processor_mode 1
		.amdhsa_memory_ordered 1
		.amdhsa_forward_progress 0
		.amdhsa_shared_vgpr_count 0
		.amdhsa_exception_fp_ieee_invalid_op 0
		.amdhsa_exception_fp_denorm_src 0
		.amdhsa_exception_fp_ieee_div_zero 0
		.amdhsa_exception_fp_ieee_overflow 0
		.amdhsa_exception_fp_ieee_underflow 0
		.amdhsa_exception_fp_ieee_inexact 0
		.amdhsa_exception_int_div_zero 0
	.end_amdhsa_kernel
	.section	.text._Z39paged_attention_ll4mi_QKV_mfma16_kernelI14__hip_bfloat16S0_LN4vllm18Fp8KVCacheDataTypeE0EhLi16ELi64ELi256ELb1ELi14EL8MFMAType0EEvPKT_PKT0_S9_ifPKiSB_SB_iPKfiiiPfSE_PS4_PT2_iSD_SD_,"axG",@progbits,_Z39paged_attention_ll4mi_QKV_mfma16_kernelI14__hip_bfloat16S0_LN4vllm18Fp8KVCacheDataTypeE0EhLi16ELi64ELi256ELb1ELi14EL8MFMAType0EEvPKT_PKT0_S9_ifPKiSB_SB_iPKfiiiPfSE_PS4_PT2_iSD_SD_,comdat
.Lfunc_end399:
	.size	_Z39paged_attention_ll4mi_QKV_mfma16_kernelI14__hip_bfloat16S0_LN4vllm18Fp8KVCacheDataTypeE0EhLi16ELi64ELi256ELb1ELi14EL8MFMAType0EEvPKT_PKT0_S9_ifPKiSB_SB_iPKfiiiPfSE_PS4_PT2_iSD_SD_, .Lfunc_end399-_Z39paged_attention_ll4mi_QKV_mfma16_kernelI14__hip_bfloat16S0_LN4vllm18Fp8KVCacheDataTypeE0EhLi16ELi64ELi256ELb1ELi14EL8MFMAType0EEvPKT_PKT0_S9_ifPKiSB_SB_iPKfiiiPfSE_PS4_PT2_iSD_SD_
                                        ; -- End function
	.section	.AMDGPU.csdata,"",@progbits
; Kernel info:
; codeLenInByte = 10216
; NumSgprs: 54
; NumVgprs: 198
; ScratchSize: 0
; MemoryBound: 0
; FloatMode: 240
; IeeeMode: 1
; LDSByteSize: 17472 bytes/workgroup (compile time only)
; SGPRBlocks: 6
; VGPRBlocks: 24
; NumSGPRsForWavesPerEU: 54
; NumVGPRsForWavesPerEU: 198
; Occupancy: 7
; WaveLimiterHint : 1
; COMPUTE_PGM_RSRC2:SCRATCH_EN: 0
; COMPUTE_PGM_RSRC2:USER_SGPR: 13
; COMPUTE_PGM_RSRC2:TRAP_HANDLER: 0
; COMPUTE_PGM_RSRC2:TGID_X_EN: 1
; COMPUTE_PGM_RSRC2:TGID_Y_EN: 1
; COMPUTE_PGM_RSRC2:TGID_Z_EN: 1
; COMPUTE_PGM_RSRC2:TIDIG_COMP_CNT: 0
	.section	.text._Z39paged_attention_ll4mi_QKV_mfma16_kernelI14__hip_bfloat16S0_LN4vllm18Fp8KVCacheDataTypeE0EhLi16ELi64ELi256ELb1ELi15EL8MFMAType0EEvPKT_PKT0_S9_ifPKiSB_SB_iPKfiiiPfSE_PS4_PT2_iSD_SD_,"axG",@progbits,_Z39paged_attention_ll4mi_QKV_mfma16_kernelI14__hip_bfloat16S0_LN4vllm18Fp8KVCacheDataTypeE0EhLi16ELi64ELi256ELb1ELi15EL8MFMAType0EEvPKT_PKT0_S9_ifPKiSB_SB_iPKfiiiPfSE_PS4_PT2_iSD_SD_,comdat
	.protected	_Z39paged_attention_ll4mi_QKV_mfma16_kernelI14__hip_bfloat16S0_LN4vllm18Fp8KVCacheDataTypeE0EhLi16ELi64ELi256ELb1ELi15EL8MFMAType0EEvPKT_PKT0_S9_ifPKiSB_SB_iPKfiiiPfSE_PS4_PT2_iSD_SD_ ; -- Begin function _Z39paged_attention_ll4mi_QKV_mfma16_kernelI14__hip_bfloat16S0_LN4vllm18Fp8KVCacheDataTypeE0EhLi16ELi64ELi256ELb1ELi15EL8MFMAType0EEvPKT_PKT0_S9_ifPKiSB_SB_iPKfiiiPfSE_PS4_PT2_iSD_SD_
	.globl	_Z39paged_attention_ll4mi_QKV_mfma16_kernelI14__hip_bfloat16S0_LN4vllm18Fp8KVCacheDataTypeE0EhLi16ELi64ELi256ELb1ELi15EL8MFMAType0EEvPKT_PKT0_S9_ifPKiSB_SB_iPKfiiiPfSE_PS4_PT2_iSD_SD_
	.p2align	8
	.type	_Z39paged_attention_ll4mi_QKV_mfma16_kernelI14__hip_bfloat16S0_LN4vllm18Fp8KVCacheDataTypeE0EhLi16ELi64ELi256ELb1ELi15EL8MFMAType0EEvPKT_PKT0_S9_ifPKiSB_SB_iPKfiiiPfSE_PS4_PT2_iSD_SD_,@function
_Z39paged_attention_ll4mi_QKV_mfma16_kernelI14__hip_bfloat16S0_LN4vllm18Fp8KVCacheDataTypeE0EhLi16ELi64ELi256ELb1ELi15EL8MFMAType0EEvPKT_PKT0_S9_ifPKiSB_SB_iPKfiiiPfSE_PS4_PT2_iSD_SD_: ; @_Z39paged_attention_ll4mi_QKV_mfma16_kernelI14__hip_bfloat16S0_LN4vllm18Fp8KVCacheDataTypeE0EhLi16ELi64ELi256ELb1ELi15EL8MFMAType0EEvPKT_PKT0_S9_ifPKiSB_SB_iPKfiiiPfSE_PS4_PT2_iSD_SD_
; %bb.0:
	s_load_b64 s[2:3], s[0:1], 0x30
	s_mov_b32 s34, s13
	s_waitcnt lgkmcnt(0)
	s_cmp_lg_u64 s[2:3], 0
	s_cselect_b32 s6, -1, 0
	s_ashr_i32 s35, s13, 31
	s_cmp_eq_u64 s[2:3], 0
	s_cbranch_scc1 .LBB400_3
; %bb.1:
	s_lshl_b64 s[4:5], s[34:35], 2
	s_delay_alu instid0(SALU_CYCLE_1) | instskip(SKIP_4) | instid1(SALU_CYCLE_1)
	s_add_u32 s4, s2, s4
	s_addc_u32 s5, s3, s5
	s_load_b64 s[4:5], s[4:5], 0x0
	s_waitcnt lgkmcnt(0)
	s_sub_i32 s4, s5, s4
	s_cmp_eq_u32 s4, 1
	s_cselect_b32 s4, -1, 0
	s_delay_alu instid0(SALU_CYCLE_1)
	s_and_not1_b32 vcc_lo, exec_lo, s4
	s_cbranch_vccz .LBB400_4
.LBB400_2:
	s_nop 0
	s_sendmsg sendmsg(MSG_DEALLOC_VGPRS)
	s_endpgm
.LBB400_3:
.LBB400_4:
	s_load_b64 s[8:9], s[0:1], 0x28
	s_lshl_b64 s[4:5], s[34:35], 2
	s_waitcnt lgkmcnt(0)
	s_add_u32 s8, s8, s4
	s_addc_u32 s9, s9, s5
	s_lshl_b32 s33, s14, 8
	s_load_b32 s30, s[8:9], 0x0
	s_waitcnt lgkmcnt(0)
	s_cmp_ge_i32 s33, s30
	s_cbranch_scc1 .LBB400_2
; %bb.5:
	s_clause 0x1
	s_load_b128 s[8:11], s[0:1], 0x8
	s_load_b64 s[12:13], s[0:1], 0x20
	s_and_not1_b32 vcc_lo, exec_lo, s6
	s_cbranch_vccnz .LBB400_7
; %bb.6:
	s_add_u32 s2, s2, s4
	s_addc_u32 s3, s3, s5
	s_load_b32 s3, s[2:3], 0x0
	s_branch .LBB400_8
.LBB400_7:
	s_mov_b32 s3, s34
.LBB400_8:
	s_load_b128 s[4:7], s[0:1], 0x48
	v_lshrrev_b32_e32 v149, 5, v0
	v_bfe_u32 v146, v0, 4, 1
	v_and_b32_e32 v148, 15, v0
	v_and_b32_e32 v150, 31, v0
	;; [unrolled: 1-line block ×3, first 2 shown]
	s_mul_i32 s31, s15, 15
	v_lshl_or_b32 v1, v149, 1, v146
	v_lshlrev_b32_e32 v2, 3, v148
	v_cmp_gt_u32_e64 s2, 8, v148
	s_delay_alu instid0(VALU_DEP_3) | instskip(NEXT) | instid1(VALU_DEP_3)
	v_cmp_gt_u32_e32 vcc_lo, 15, v1
	v_lshlrev_b32_e32 v145, 1, v2
	s_delay_alu instid0(VALU_DEP_3)
	s_and_b32 s16, s2, vcc_lo
	s_waitcnt lgkmcnt(0)
	s_and_saveexec_b32 s7, s16
	s_cbranch_execz .LBB400_10
; %bb.9:
	s_load_b64 s[16:17], s[0:1], 0x0
	v_add_lshl_u32 v2, v1, s31, 6
	s_mul_hi_i32 s19, s3, s4
	s_mul_i32 s18, s3, s4
	v_lshlrev_b32_e32 v6, 10, v148
	s_lshl_b64 s[18:19], s[18:19], 1
	v_ashrrev_i32_e32 v3, 31, v2
	v_lshlrev_b32_e32 v1, 6, v1
	v_lshlrev_b32_e32 v7, 10, v147
	v_and_b32_e32 v6, 0x3800, v6
	s_delay_alu instid0(VALU_DEP_4) | instskip(NEXT) | instid1(VALU_DEP_2)
	v_lshlrev_b64 v[2:3], 1, v[2:3]
	v_or3_b32 v1, v6, v7, v1
	s_waitcnt lgkmcnt(0)
	s_add_u32 s3, s16, s18
	s_addc_u32 s4, s17, s19
	s_delay_alu instid0(VALU_DEP_2) | instskip(SKIP_1) | instid1(VALU_DEP_2)
	v_add_co_u32 v2, vcc_lo, s3, v2
	v_add_co_ci_u32_e32 v3, vcc_lo, s4, v3, vcc_lo
	v_add_co_u32 v2, vcc_lo, v2, v145
	s_delay_alu instid0(VALU_DEP_2)
	v_add_co_ci_u32_e32 v3, vcc_lo, 0, v3, vcc_lo
	global_load_b128 v[2:5], v[2:3], off
	s_waitcnt vmcnt(0)
	ds_store_b128 v1, v[2:5]
.LBB400_10:
	s_or_b32 exec_lo, exec_lo, s7
	s_mov_b32 s40, 0
	s_add_i32 s3, s30, 15
	s_mov_b32 s41, s40
	s_mov_b32 s42, s40
	s_mov_b32 s43, s40
	s_mov_b32 s44, s40
	s_mov_b32 s45, s40
	s_mov_b32 s46, s40
	s_mov_b32 s47, s40
	s_delay_alu instid0(SALU_CYCLE_1)
	v_dual_mov_b32 v136, s47 :: v_dual_and_b32 v1, 0xef, v0
	v_mov_b32_e32 v134, s45
	s_clause 0x1
	s_load_b32 s4, s[0:1], 0x38
	s_load_b32 s35, s[0:1], 0x1c
	v_add_nc_u32_e32 v1, s33, v1
	s_ashr_i32 s7, s3, 31
	s_waitcnt lgkmcnt(0)
	s_lshr_b32 s7, s7, 28
	s_barrier
	v_ashrrev_i32_e32 v2, 31, v1
	s_add_i32 s3, s3, s7
	v_cmp_gt_i32_e32 vcc_lo, s30, v1
	s_ashr_i32 s3, s3, 4
	v_mov_b32_e32 v132, s43
	v_lshrrev_b32_e32 v3, 28, v2
	v_or_b32_e32 v2, 16, v1
	s_add_i32 s3, s3, -1
	buffer_gl0_inv
	s_mul_i32 s6, s15, s6
	v_add_nc_u32_e32 v4, v1, v3
	v_add_nc_u32_e32 v3, v2, v3
	v_mov_b32_e32 v135, s46
	s_mul_i32 s16, s34, s4
	v_mov_b32_e32 v133, s44
	v_ashrrev_i32_e32 v4, 4, v4
	v_ashrrev_i32_e32 v3, 4, v3
	s_ashr_i32 s17, s16, 31
	v_lshlrev_b32_e32 v22, 5, v148
	s_lshl_b64 s[16:17], s[16:17], 2
	v_cndmask_b32_e32 v1, s3, v4, vcc_lo
	v_cmp_gt_i32_e32 vcc_lo, s30, v2
	s_add_u32 s4, s12, s16
	s_addc_u32 s36, s13, s17
	s_ashr_i32 s7, s6, 31
	v_ashrrev_i32_e32 v2, 31, v1
	v_cndmask_b32_e32 v3, s3, v3, vcc_lo
	s_lshl_b64 s[6:7], s[6:7], 1
	v_mov_b32_e32 v131, s42
	s_add_u32 s24, s8, s6
	v_lshlrev_b64 v[1:2], 2, v[1:2]
	v_ashrrev_i32_e32 v4, 31, v3
	s_addc_u32 s25, s9, s7
	s_lshl_b32 s8, s14, 4
	v_mov_b32_e32 v129, s40
	s_ashr_i32 s9, s8, 31
	v_lshlrev_b64 v[3:4], 2, v[3:4]
	v_add_co_u32 v1, vcc_lo, s4, v1
	v_add_co_ci_u32_e32 v2, vcc_lo, s36, v2, vcc_lo
	s_lshl_b64 s[8:9], s[8:9], 2
	s_delay_alu instid0(VALU_DEP_3) | instskip(NEXT) | instid1(VALU_DEP_4)
	v_add_co_u32 v3, vcc_lo, s4, v3
	v_add_co_ci_u32_e32 v4, vcc_lo, s36, v4, vcc_lo
	s_clause 0x1
	global_load_b32 v5, v[1:2], off
	global_load_b32 v6, v[3:4], off
	s_add_u32 s8, s4, s8
	s_addc_u32 s9, s36, s9
	s_or_b32 s12, s33, 16
	v_dual_mov_b32 v130, s41 :: v_dual_lshlrev_b32 v3, 4, v0
	s_ashr_i32 s13, s12, 4
	s_cmp_lt_i32 s12, s30
	s_cselect_b32 s12, s13, s3
	s_delay_alu instid0(SALU_CYCLE_1) | instskip(NEXT) | instid1(SALU_CYCLE_1)
	s_ashr_i32 s13, s12, 31
	s_lshl_b64 s[12:13], s[12:13], 2
	s_delay_alu instid0(SALU_CYCLE_1) | instskip(SKIP_2) | instid1(SALU_CYCLE_1)
	s_add_u32 s12, s4, s12
	s_addc_u32 s13, s36, s13
	s_or_b32 s15, s33, 32
	s_ashr_i32 s16, s15, 4
	s_cmp_lt_i32 s15, s30
	s_cselect_b32 s16, s16, s3
	s_delay_alu instid0(SALU_CYCLE_1) | instskip(NEXT) | instid1(SALU_CYCLE_1)
	s_ashr_i32 s17, s16, 31
	s_lshl_b64 s[16:17], s[16:17], 2
	s_delay_alu instid0(SALU_CYCLE_1) | instskip(SKIP_2) | instid1(SALU_CYCLE_1)
	s_add_u32 s16, s4, s16
	s_addc_u32 s17, s36, s17
	s_or_b32 s15, s33, 48
	s_ashr_i32 s18, s15, 4
	s_cmp_lt_i32 s15, s30
	s_cselect_b32 s18, s18, s3
	s_delay_alu instid0(SALU_CYCLE_1) | instskip(NEXT) | instid1(SALU_CYCLE_1)
	s_ashr_i32 s19, s18, 31
	s_lshl_b64 s[18:19], s[18:19], 2
	s_delay_alu instid0(SALU_CYCLE_1) | instskip(SKIP_2) | instid1(SALU_CYCLE_1)
	s_add_u32 s18, s4, s18
	s_addc_u32 s19, s36, s19
	s_or_b32 s15, s33, 64
	s_ashr_i32 s20, s15, 4
	s_cmp_lt_i32 s15, s30
	s_cselect_b32 s20, s20, s3
	s_delay_alu instid0(SALU_CYCLE_1) | instskip(NEXT) | instid1(SALU_CYCLE_1)
	s_ashr_i32 s21, s20, 31
	s_lshl_b64 s[20:21], s[20:21], 2
	s_delay_alu instid0(SALU_CYCLE_1) | instskip(SKIP_2) | instid1(SALU_CYCLE_1)
	s_add_u32 s20, s4, s20
	s_addc_u32 s21, s36, s21
	s_or_b32 s15, s33, 0x50
	s_ashr_i32 s22, s15, 4
	s_cmp_lt_i32 s15, s30
	s_cselect_b32 s22, s22, s3
	s_delay_alu instid0(SALU_CYCLE_1) | instskip(NEXT) | instid1(SALU_CYCLE_1)
	s_ashr_i32 s23, s22, 31
	s_lshl_b64 s[22:23], s[22:23], 2
	s_delay_alu instid0(SALU_CYCLE_1)
	s_add_u32 s22, s4, s22
	s_addc_u32 s23, s36, s23
	s_clause 0x5
	s_load_b32 s8, s[8:9], 0x0
	s_load_b32 s12, s[12:13], 0x0
	;; [unrolled: 1-line block ×6, first 2 shown]
	s_waitcnt lgkmcnt(0)
	s_mul_hi_i32 s17, s16, s5
	s_mul_i32 s16, s16, s5
	s_waitcnt vmcnt(1)
	v_mad_i64_i32 v[1:2], null, v5, s5, 0
	v_and_b32_e32 v5, 0xf0, v3
	s_waitcnt vmcnt(0)
	v_mad_i64_i32 v[3:4], null, v6, s5, 0
	s_delay_alu instid0(VALU_DEP_2) | instskip(NEXT) | instid1(VALU_DEP_4)
	v_add_co_u32 v5, s9, s24, v5
	v_lshlrev_b64 v[1:2], 1, v[1:2]
	v_add_co_ci_u32_e64 v6, null, s25, 0, s9
	s_delay_alu instid0(VALU_DEP_4) | instskip(SKIP_1) | instid1(VALU_DEP_3)
	v_lshlrev_b64 v[3:4], 1, v[3:4]
	s_or_b32 s9, s33, 0x60
	v_add_co_u32 v17, vcc_lo, v5, v1
	s_delay_alu instid0(VALU_DEP_3) | instskip(NEXT) | instid1(VALU_DEP_3)
	v_add_co_ci_u32_e32 v18, vcc_lo, v6, v2, vcc_lo
	v_add_co_u32 v19, vcc_lo, v5, v3
	s_delay_alu instid0(VALU_DEP_4)
	v_add_co_ci_u32_e32 v20, vcc_lo, v6, v4, vcc_lo
	s_clause 0x9
	global_load_b128 v[1:4], v[17:18], off
	global_load_b128 v[5:8], v[17:18], off offset:256
	global_load_b128 v[137:140], v[19:20], off
	global_load_b128 v[141:144], v[19:20], off offset:256
	global_load_b128 v[33:36], v[17:18], off offset:512
	;; [unrolled: 1-line block ×7, first 2 shown]
	v_cmp_ne_u32_e32 vcc_lo, 15, v148
	s_clause 0x1
	global_load_b128 v[151:154], v[19:20], off offset:1024
	global_load_b128 v[155:158], v[19:20], off offset:1280
	s_ashr_i32 s13, s9, 4
	s_cmp_lt_i32 s9, s30
	v_cndmask_b32_e32 v21, 0, v148, vcc_lo
	s_cselect_b32 s22, s13, s3
	s_delay_alu instid0(SALU_CYCLE_1) | instskip(NEXT) | instid1(VALU_DEP_1)
	s_ashr_i32 s23, s22, 31
	v_lshlrev_b32_e32 v197, 6, v21
	ds_load_b128 v[159:162], v197
	ds_load_b128 v[163:166], v197 offset:1024
	s_clause 0x3
	global_load_b128 v[167:170], v[17:18], off offset:1536
	global_load_b128 v[171:174], v[17:18], off offset:1792
	;; [unrolled: 1-line block ×4, first 2 shown]
	s_lshl_b64 s[22:23], s[22:23], 2
	v_lshl_or_b32 v21, v149, 9, v22
	s_add_u32 s22, s4, s22
	s_addc_u32 s23, s36, s23
	s_or_b32 s9, s33, 0x70
	s_delay_alu instid0(SALU_CYCLE_1) | instskip(SKIP_2) | instid1(SALU_CYCLE_1)
	s_ashr_i32 s13, s9, 4
	s_cmp_lt_i32 s9, s30
	s_cselect_b32 s24, s13, s3
	s_ashr_i32 s25, s24, 31
	s_delay_alu instid0(SALU_CYCLE_1) | instskip(NEXT) | instid1(SALU_CYCLE_1)
	s_lshl_b64 s[24:25], s[24:25], 2
	s_add_u32 s24, s4, s24
	s_addc_u32 s25, s36, s25
	s_or_b32 s9, s33, 0x80
	s_load_b32 s46, s[24:25], 0x0
	s_ashr_i32 s13, s9, 4
	s_cmp_lt_i32 s9, s30
	s_cselect_b32 s26, s13, s3
	s_delay_alu instid0(SALU_CYCLE_1) | instskip(NEXT) | instid1(SALU_CYCLE_1)
	s_ashr_i32 s27, s26, 31
	s_lshl_b64 s[26:27], s[26:27], 2
	s_delay_alu instid0(SALU_CYCLE_1)
	s_add_u32 s26, s4, s26
	s_addc_u32 s27, s36, s27
	s_or_b32 s9, s33, 0x90
	s_load_b32 s47, s[26:27], 0x0
	s_ashr_i32 s13, s9, 4
	s_cmp_lt_i32 s9, s30
	s_cselect_b32 s28, s13, s3
	s_delay_alu instid0(SALU_CYCLE_1) | instskip(NEXT) | instid1(SALU_CYCLE_1)
	s_ashr_i32 s29, s28, 31
	s_lshl_b64 s[28:29], s[28:29], 2
	s_delay_alu instid0(SALU_CYCLE_1) | instskip(SKIP_2) | instid1(SALU_CYCLE_1)
	s_add_u32 s28, s4, s28
	s_addc_u32 s29, s36, s29
	s_or_b32 s9, s33, 0xa0
	s_ashr_i32 s13, s9, 4
	s_cmp_lt_i32 s9, s30
	s_cselect_b32 s38, s13, s3
	s_delay_alu instid0(SALU_CYCLE_1) | instskip(NEXT) | instid1(SALU_CYCLE_1)
	s_ashr_i32 s39, s38, 31
	s_lshl_b64 s[38:39], s[38:39], 2
	s_delay_alu instid0(SALU_CYCLE_1)
	s_add_u32 s38, s4, s38
	s_addc_u32 s39, s36, s39
	s_or_b32 s9, s33, 0xb0
	s_load_b32 s39, s[38:39], 0x0
	s_ashr_i32 s13, s9, 4
	s_cmp_lt_i32 s9, s30
	s_mul_hi_i32 s9, s8, s5
	s_cselect_b32 s40, s13, s3
	s_mul_i32 s8, s8, s5
	s_ashr_i32 s41, s40, 31
	s_mul_hi_i32 s13, s12, s5
	s_lshl_b64 s[40:41], s[40:41], 2
	s_mul_i32 s12, s12, s5
	s_add_u32 s42, s4, s40
	s_addc_u32 s43, s36, s41
	s_or_b32 s19, s33, 0xc0
	s_delay_alu instid0(SALU_CYCLE_1)
	s_ashr_i32 s21, s19, 4
	s_cmp_lt_i32 s19, s30
	s_mul_hi_i32 s19, s18, s5
	s_cselect_b32 s40, s21, s3
	s_mul_i32 s18, s18, s5
	s_ashr_i32 s41, s40, 31
	s_mul_hi_i32 s21, s20, s5
	s_lshl_b64 s[40:41], s[40:41], 2
	s_mul_i32 s20, s20, s5
	s_add_u32 s44, s4, s40
	s_load_b32 s40, s[28:29], 0x0
	s_addc_u32 s45, s36, s41
	s_or_b32 s37, s33, 0xd0
	s_load_b32 s41, s[22:23], 0x0
	s_ashr_i32 s22, s37, 4
	s_cmp_lt_i32 s37, s30
	s_mul_hi_i32 s23, s15, s5
	s_cselect_b32 s24, s22, s3
	s_mul_i32 s22, s15, s5
	s_ashr_i32 s25, s24, 31
	s_waitcnt lgkmcnt(0)
	s_mul_hi_i32 s27, s46, s5
	s_lshl_b64 s[24:25], s[24:25], 2
	s_mul_i32 s26, s46, s5
	s_add_u32 s24, s4, s24
	s_addc_u32 s25, s36, s25
	s_or_b32 s48, s33, 0xe0
	s_clause 0x2
	s_load_b32 s38, s[42:43], 0x0
	s_load_b32 s37, s[44:45], 0x0
	;; [unrolled: 1-line block ×3, first 2 shown]
	s_ashr_i32 s49, s48, 4
	s_cmp_lt_i32 s48, s30
	s_mul_hi_i32 s29, s47, s5
	s_cselect_b32 s42, s49, s3
	s_mul_i32 s28, s47, s5
	s_ashr_i32 s43, s42, 31
	s_mul_hi_i32 s25, s41, s5
	s_lshl_b64 s[42:43], s[42:43], 2
	s_mul_i32 s24, s41, s5
	s_add_u32 s42, s4, s42
	s_addc_u32 s43, s36, s43
	s_or_b32 s46, s33, 0xf0
	s_mul_hi_i32 s41, s40, s5
	s_ashr_i32 s47, s46, 4
	s_cmp_lt_i32 s46, s30
	s_mul_i32 s40, s40, s5
	s_cselect_b32 s46, s47, s3
	s_mul_hi_i32 s45, s39, s5
	s_ashr_i32 s47, s46, 31
	s_mul_i32 s44, s39, s5
	s_lshl_b64 s[46:47], s[46:47], 2
	s_waitcnt lgkmcnt(0)
	s_mul_hi_i32 s39, s38, s5
	s_add_u32 s46, s4, s46
	s_addc_u32 s47, s36, s47
	s_add_u32 s3, s10, s6
	s_addc_u32 s4, s11, s7
	v_add_co_u32 v195, s3, s3, v21
	s_delay_alu instid0(VALU_DEP_1) | instskip(SKIP_2) | instid1(VALU_DEP_2)
	v_add_co_ci_u32_e64 v196, null, s4, 0, s3
	s_lshl_b64 s[6:7], s[8:9], 1
	s_lshl_b64 s[8:9], s[12:13], 1
	v_add_co_u32 v17, vcc_lo, v195, s6
	s_delay_alu instid0(VALU_DEP_2)
	v_add_co_ci_u32_e32 v18, vcc_lo, s7, v196, vcc_lo
	v_add_co_u32 v19, vcc_lo, v195, s8
	s_lshl_b64 s[10:11], s[16:17], 1
	v_add_co_ci_u32_e32 v20, vcc_lo, s9, v196, vcc_lo
	v_add_co_u32 v21, vcc_lo, v195, s10
	s_lshl_b64 s[12:13], s[18:19], 1
	v_add_co_ci_u32_e32 v22, vcc_lo, s11, v196, vcc_lo
	v_add_co_u32 v23, vcc_lo, v195, s12
	s_lshl_b64 s[16:17], s[20:21], 1
	v_add_co_ci_u32_e32 v24, vcc_lo, s13, v196, vcc_lo
	v_add_co_u32 v41, vcc_lo, v195, s16
	s_lshl_b64 s[18:19], s[22:23], 1
	v_add_co_ci_u32_e32 v42, vcc_lo, s17, v196, vcc_lo
	v_add_co_u32 v43, vcc_lo, v195, s18
	s_lshl_b64 s[20:21], s[24:25], 1
	v_add_co_ci_u32_e32 v44, vcc_lo, s19, v196, vcc_lo
	v_add_co_u32 v45, vcc_lo, v195, s20
	s_lshl_b64 s[22:23], s[26:27], 1
	v_add_co_ci_u32_e32 v46, vcc_lo, s21, v196, vcc_lo
	v_add_co_u32 v47, vcc_lo, v195, s22
	s_lshl_b64 s[24:25], s[28:29], 1
	v_add_co_ci_u32_e32 v48, vcc_lo, s23, v196, vcc_lo
	v_add_co_u32 v49, vcc_lo, v195, s24
	s_lshl_b64 s[26:27], s[40:41], 1
	v_add_co_ci_u32_e32 v50, vcc_lo, s25, v196, vcc_lo
	v_add_co_u32 v53, vcc_lo, v195, s26
	s_lshl_b64 s[28:29], s[44:45], 1
	s_mul_i32 s38, s38, s5
	v_add_co_ci_u32_e32 v54, vcc_lo, s27, v196, vcc_lo
	v_add_co_u32 v183, vcc_lo, v195, s28
	s_mul_hi_i32 s49, s37, s5
	s_mul_i32 s48, s37, s5
	s_lshl_b64 s[36:37], s[38:39], 1
	v_add_co_ci_u32_e32 v184, vcc_lo, s29, v196, vcc_lo
	v_add_co_u32 v185, vcc_lo, v195, s36
	s_lshl_b64 s[38:39], s[48:49], 1
	s_clause 0x1
	s_load_b32 s3, s[42:43], 0x0
	s_load_b32 s4, s[46:47], 0x0
	v_add_co_ci_u32_e32 v186, vcc_lo, s37, v196, vcc_lo
	v_add_co_u32 v191, vcc_lo, v195, s38
	v_add_co_ci_u32_e32 v192, vcc_lo, s39, v196, vcc_lo
	s_clause 0x17
	global_load_b128 v[121:124], v[17:18], off
	global_load_b128 v[125:128], v[17:18], off offset:16
	global_load_b128 v[113:116], v[19:20], off
	global_load_b128 v[117:120], v[19:20], off offset:16
	;; [unrolled: 2-line block ×12, first 2 shown]
	s_mul_hi_i32 s51, s15, s5
	s_mul_i32 s50, s15, s5
	s_delay_alu instid0(SALU_CYCLE_1) | instskip(NEXT) | instid1(SALU_CYCLE_1)
	s_lshl_b64 s[40:41], s[50:51], 1
	v_add_co_u32 v193, vcc_lo, v195, s40
	v_add_co_ci_u32_e32 v194, vcc_lo, s41, v196, vcc_lo
	s_waitcnt lgkmcnt(0)
	s_mul_hi_i32 s7, s3, s5
	s_mul_i32 s6, s3, s5
	s_mul_hi_i32 s9, s4, s5
	s_lshl_b64 s[6:7], s[6:7], 1
	s_mul_i32 s8, s4, s5
	s_delay_alu instid0(SALU_CYCLE_1)
	s_lshl_b64 s[4:5], s[8:9], 1
	s_waitcnt vmcnt(38)
	v_wmma_f32_16x16x16_bf16 v[183:190], v[1:8], v[159:166], v[129:136]
	s_waitcnt vmcnt(36)
	v_wmma_f32_16x16x16_bf16 v[129:136], v[137:144], v[159:166], v[129:136]
	s_clause 0x1
	global_load_b128 v[1:4], v[191:192], off
	global_load_b128 v[5:8], v[191:192], off offset:16
	ds_load_b128 v[137:140], v197 offset:2048
	ds_load_b128 v[141:144], v197 offset:3072
	;; [unrolled: 1-line block ×4, first 2 shown]
	v_add_co_u32 v191, vcc_lo, v195, s6
	v_add_co_ci_u32_e32 v192, vcc_lo, s7, v196, vcc_lo
	v_add_co_u32 v195, vcc_lo, v195, s4
	v_add_co_ci_u32_e32 v196, vcc_lo, s5, v196, vcc_lo
	s_waitcnt vmcnt(36) lgkmcnt(2)
	v_wmma_f32_16x16x16_bf16 v[183:190], v[33:40], v[137:144], v[183:190]
	s_waitcnt vmcnt(34)
	v_wmma_f32_16x16x16_bf16 v[129:136], v[25:32], v[137:144], v[129:136]
	s_clause 0x3
	global_load_b128 v[25:28], v[193:194], off
	global_load_b128 v[29:32], v[193:194], off offset:16
	global_load_b128 v[33:36], v[191:192], off
	global_load_b128 v[37:40], v[191:192], off offset:16
	v_and_b32_e32 v137, 0xe0, v0
	v_mbcnt_lo_u32_b32 v191, -1, 0
	s_waitcnt vmcnt(36) lgkmcnt(0)
	v_wmma_f32_16x16x16_bf16 v[183:190], v[9:16], v[159:166], v[183:190]
	s_clause 0x1
	global_load_b128 v[9:12], v[195:196], off
	global_load_b128 v[13:16], v[195:196], off offset:16
	s_waitcnt vmcnt(36)
	v_wmma_f32_16x16x16_bf16 v[129:136], v[151:158], v[159:166], v[129:136]
	v_add_nc_u32_e32 v192, s33, v137
	ds_load_b128 v[137:140], v197 offset:6144
	ds_load_b128 v[141:144], v197 offset:7168
	v_xor_b32_e32 v151, 16, v191
	s_waitcnt vmcnt(0) lgkmcnt(0)
	s_barrier
	v_or_b32_e32 v152, v192, v146
	buffer_gl0_inv
	v_cmp_gt_i32_e32 vcc_lo, 32, v151
	v_or_b32_e32 v153, 2, v152
	v_or_b32_e32 v154, 4, v152
	;; [unrolled: 1-line block ×5, first 2 shown]
	v_cmp_gt_i32_e64 s3, s30, v153
	v_cmp_gt_i32_e64 s4, s30, v154
	;; [unrolled: 1-line block ×3, first 2 shown]
	v_or_b32_e32 v158, 12, v152
	v_or_b32_e32 v159, 14, v152
	v_cmp_gt_i32_e64 s6, s30, v156
	v_wmma_f32_16x16x16_bf16 v[183:190], v[167:174], v[137:144], v[183:190]
	v_wmma_f32_16x16x16_bf16 v[129:136], v[175:182], v[137:144], v[129:136]
	v_cndmask_b32_e32 v151, v191, v151, vcc_lo
	v_cmp_gt_i32_e32 vcc_lo, s30, v152
	v_cmp_gt_i32_e64 s7, s30, v157
	v_dual_mul_f32 v143, s35, v184 :: v_dual_mul_f32 v144, s35, v183
	v_dual_mul_f32 v141, s35, v186 :: v_dual_mul_f32 v142, s35, v185
	;; [unrolled: 1-line block ×3, first 2 shown]
	s_delay_alu instid0(VALU_DEP_3) | instskip(NEXT) | instid1(VALU_DEP_4)
	v_cndmask_b32_e32 v144, 0xff7fffff, v144, vcc_lo
	v_cndmask_b32_e64 v143, 0xff7fffff, v143, s3
	v_mul_f32_e32 v140, s35, v187
	v_cndmask_b32_e64 v142, 0xff7fffff, v142, s4
	v_cndmask_b32_e64 v141, 0xff7fffff, v141, s5
	v_or_b32_e32 v160, 16, v152
	v_max3_f32 v143, v144, 0xff7fffff, v143
	v_or_b32_e32 v161, 18, v152
	v_dual_mul_f32 v137, s35, v190 :: v_dual_mul_f32 v138, s35, v189
	v_cndmask_b32_e64 v140, 0xff7fffff, v140, s6
	v_cndmask_b32_e64 v139, 0xff7fffff, v139, s7
	v_max3_f32 v141, v143, v142, v141
	v_cmp_gt_i32_e64 s8, s30, v158
	v_cmp_gt_i32_e64 s9, s30, v159
	v_or_b32_e32 v162, 20, v152
	v_or_b32_e32 v163, 22, v152
	v_mul_f32_e32 v175, s35, v129
	v_cndmask_b32_e64 v138, 0xff7fffff, v138, s8
	v_cndmask_b32_e64 v137, 0xff7fffff, v137, s9
	v_max3_f32 v139, v141, v140, v139
	v_cmp_gt_i32_e64 s10, s30, v160
	v_cmp_gt_i32_e64 s11, s30, v161
	v_or_b32_e32 v164, 24, v152
	v_or_b32_e32 v165, 26, v152
	v_dual_mul_f32 v172, s35, v132 :: v_dual_mul_f32 v173, s35, v131
	v_cndmask_b32_e64 v140, 0xff7fffff, v175, s10
	v_cndmask_b32_e64 v141, 0xff7fffff, v174, s11
	v_max3_f32 v137, v139, v138, v137
	v_cmp_gt_i32_e64 s12, s30, v162
	v_cmp_gt_i32_e64 s13, s30, v163
	v_or_b32_e32 v166, 28, v152
	v_or_b32_e32 v167, 30, v152
	v_dual_mul_f32 v170, s35, v134 :: v_dual_mul_f32 v171, s35, v133
	v_cndmask_b32_e64 v138, 0xff7fffff, v173, s12
	v_cndmask_b32_e64 v139, 0xff7fffff, v172, s13
	v_max3_f32 v137, v137, v140, v141
	v_cmp_gt_i32_e64 s15, s30, v164
	v_cmp_gt_i32_e64 s16, s30, v165
	v_dual_mul_f32 v168, s35, v136 :: v_dual_mul_f32 v169, s35, v135
	s_delay_alu instid0(VALU_DEP_4) | instskip(NEXT) | instid1(VALU_DEP_4)
	v_max3_f32 v137, v137, v138, v139
	v_cndmask_b32_e64 v140, 0xff7fffff, v171, s15
	s_delay_alu instid0(VALU_DEP_4) | instskip(SKIP_3) | instid1(VALU_DEP_4)
	v_cndmask_b32_e64 v141, 0xff7fffff, v170, s16
	v_cmp_gt_i32_e64 s17, s30, v166
	v_cmp_gt_i32_e64 s18, s30, v167
	v_lshlrev_b32_e32 v154, 2, v151
	v_max3_f32 v137, v137, v140, v141
	s_delay_alu instid0(VALU_DEP_4) | instskip(NEXT) | instid1(VALU_DEP_4)
	v_cndmask_b32_e64 v138, 0xff7fffff, v169, s17
	v_cndmask_b32_e64 v139, 0xff7fffff, v168, s18
	s_delay_alu instid0(VALU_DEP_1) | instskip(SKIP_3) | instid1(VALU_DEP_1)
	v_max3_f32 v137, v137, v138, v139
	ds_bpermute_b32 v138, v154, v137
	s_waitcnt lgkmcnt(0)
	v_max_f32_e32 v138, v138, v138
	v_max_f32_e32 v139, v137, v138
	s_delay_alu instid0(VALU_DEP_1) | instskip(SKIP_4) | instid1(VALU_DEP_4)
	v_fma_f32 v141, s35, v186, -v139
	v_fma_f32 v130, s35, v130, -v139
	;; [unrolled: 1-line block ×5, first 2 shown]
	v_dual_mul_f32 v141, 0x3fb8aa3b, v141 :: v_dual_mul_f32 v130, 0x3fb8aa3b, v130
	v_fma_f32 v142, s35, v187, -v139
	s_delay_alu instid0(VALU_DEP_4) | instskip(NEXT) | instid1(VALU_DEP_4)
	v_mul_f32_e32 v138, 0x3fb8aa3b, v138
	v_mul_f32_e32 v140, 0x3fb8aa3b, v140
	s_delay_alu instid0(VALU_DEP_4)
	v_exp_f32_e32 v144, v141
	v_fma_f32 v151, s35, v189, -v139
	v_mul_f32_e32 v142, 0x3fb8aa3b, v142
	v_exp_f32_e32 v138, v138
	v_exp_f32_e32 v143, v140
	v_fma_f32 v132, s35, v132, -v139
	v_mul_f32_e32 v151, 0x3fb8aa3b, v151
	v_exp_f32_e32 v152, v142
	v_fma_f32 v129, s35, v129, -v139
	v_fma_f32 v134, s35, v134, -v139
	v_cndmask_b32_e64 v144, 0, v144, s5
	v_dual_mul_f32 v137, 0x3fb8aa3b, v137 :: v_dual_mul_f32 v132, 0x3fb8aa3b, v132
	s_delay_alu instid0(TRANS32_DEP_3) | instskip(NEXT) | instid1(TRANS32_DEP_2)
	v_cndmask_b32_e64 v141, 0, v138, s3
	v_cndmask_b32_e64 v142, 0, v143, s4
	v_fma_f32 v143, s35, v190, -v139
	s_delay_alu instid0(VALU_DEP_4)
	v_exp_f32_e32 v137, v137
	v_exp_f32_e32 v153, v151
	v_cndmask_b32_e64 v151, 0, v152, s6
	v_mul_f32_e32 v129, 0x3fb8aa3b, v129
	v_dual_mul_f32 v143, 0x3fb8aa3b, v143 :: v_dual_mul_f32 v134, 0x3fb8aa3b, v134
	v_fma_f32 v131, s35, v131, -v139
	v_exp_f32_e32 v130, v130
	s_delay_alu instid0(VALU_DEP_3) | instskip(NEXT) | instid1(VALU_DEP_2)
	v_exp_f32_e32 v129, v129
	v_exp_f32_e32 v155, v143
	v_cndmask_b32_e32 v140, 0, v137, vcc_lo
	v_fma_f32 v137, s35, v188, -v139
	v_cndmask_b32_e64 v143, 0, v153, s8
	v_mul_f32_e32 v131, 0x3fb8aa3b, v131
	v_fma_f32 v133, s35, v133, -v139
	s_delay_alu instid0(VALU_DEP_4) | instskip(SKIP_2) | instid1(TRANS32_DEP_1)
	v_dual_add_f32 v138, 0, v140 :: v_dual_mul_f32 v137, 0x3fb8aa3b, v137
	v_fma_f32 v136, s35, v136, -v139
	v_cmp_gt_u32_e64 s3, 16, v150
	v_cndmask_b32_e64 v153, 0, v155, s9
	s_delay_alu instid0(VALU_DEP_4) | instskip(SKIP_1) | instid1(VALU_DEP_1)
	v_add_f32_e32 v138, v138, v141
	v_exp_f32_e32 v137, v137
	v_dual_mul_f32 v133, 0x3fb8aa3b, v133 :: v_dual_add_f32 v138, v138, v142
	s_delay_alu instid0(VALU_DEP_1)
	v_add_f32_e32 v138, v138, v144
	s_waitcnt_depctr 0xfff
	v_cndmask_b32_e64 v152, 0, v137, s7
	v_add_f32_e32 v137, v138, v151
	v_exp_f32_e32 v138, v131
	v_cndmask_b32_e64 v131, 0, v129, s10
	s_delay_alu instid0(VALU_DEP_2) | instskip(NEXT) | instid1(VALU_DEP_1)
	v_add_f32_e32 v137, v137, v152
	v_add_f32_e32 v137, v137, v143
	s_delay_alu instid0(VALU_DEP_1)
	v_add_f32_e32 v129, v137, v153
	v_exp_f32_e32 v137, v132
	v_cndmask_b32_e64 v132, 0, v130, s11
	v_fma_f32 v130, s35, v135, -v139
	v_exp_f32_e32 v135, v133
	v_add_f32_e32 v129, v129, v131
	v_cndmask_b32_e64 v133, 0, v138, s12
	v_exp_f32_e32 v138, v134
	s_delay_alu instid0(VALU_DEP_2) | instskip(NEXT) | instid1(TRANS32_DEP_3)
	v_dual_mul_f32 v130, 0x3fb8aa3b, v130 :: v_dual_add_f32 v129, v129, v132
	v_cndmask_b32_e64 v134, 0, v137, s13
	v_mul_f32_e32 v137, 0x3fb8aa3b, v136
	s_delay_alu instid0(VALU_DEP_3) | instskip(NEXT) | instid1(TRANS32_DEP_3)
	v_exp_f32_e32 v130, v130
	v_cndmask_b32_e64 v135, 0, v135, s15
	v_add_f32_e32 v129, v129, v133
	s_delay_alu instid0(TRANS32_DEP_2) | instskip(SKIP_1) | instid1(VALU_DEP_2)
	v_cndmask_b32_e64 v136, 0, v138, s16
	v_exp_f32_e32 v138, v137
	v_add_f32_e32 v129, v129, v134
	s_waitcnt_depctr 0xfff
	v_cndmask_b32_e64 v137, 0, v130, s17
	v_add_f32_e32 v129, v129, v135
	v_cndmask_b32_e64 v138, 0, v138, s18
	s_delay_alu instid0(VALU_DEP_2) | instskip(NEXT) | instid1(VALU_DEP_1)
	v_add_f32_e32 v129, v129, v136
	v_add_f32_e32 v129, v129, v137
	s_delay_alu instid0(VALU_DEP_1)
	v_add_f32_e32 v129, v129, v138
	ds_bpermute_b32 v130, v154, v129
	s_and_saveexec_b32 s4, s3
	s_cbranch_execz .LBB400_12
; %bb.11:
	v_mul_u32_u24_e32 v150, 0x44, v149
	s_waitcnt lgkmcnt(0)
	v_add_f32_e32 v129, v129, v130
	s_delay_alu instid0(VALU_DEP_2) | instskip(NEXT) | instid1(VALU_DEP_1)
	v_lshl_add_u32 v150, v148, 2, v150
	v_add_nc_u32_e32 v130, 0x4000, v150
	ds_store_2addr_b32 v130, v139, v129 offset1:136
.LBB400_12:
	s_or_b32 exec_lo, exec_lo, s4
	v_lshlrev_b32_e32 v129, 2, v148
	s_waitcnt lgkmcnt(0)
	s_barrier
	buffer_gl0_inv
	v_cmp_eq_u32_e64 s4, 1, v149
	v_add_nc_u32_e32 v139, 0x4000, v129
	ds_load_2addr_b32 v[154:155], v139 offset1:17
	ds_load_2addr_b32 v[156:157], v139 offset0:34 offset1:51
	ds_load_2addr_b32 v[158:159], v139 offset0:68 offset1:85
	ds_load_2addr_b32 v[160:161], v139 offset0:102 offset1:119
	ds_load_2addr_b32 v[162:163], v139 offset0:136 offset1:153
	s_waitcnt lgkmcnt(4)
	v_max3_f32 v129, v154, 0xff7fffff, v155
	s_waitcnt lgkmcnt(3)
	s_delay_alu instid0(VALU_DEP_1) | instskip(SKIP_1) | instid1(VALU_DEP_1)
	v_max3_f32 v129, v129, v156, v157
	s_waitcnt lgkmcnt(2)
	v_max3_f32 v129, v129, v158, v159
	s_waitcnt lgkmcnt(1)
	s_delay_alu instid0(VALU_DEP_1) | instskip(NEXT) | instid1(VALU_DEP_1)
	v_max3_f32 v129, v129, v160, v161
	v_sub_f32_e32 v156, v156, v129
	v_sub_f32_e32 v130, v154, v129
	v_sub_f32_e32 v158, v158, v129
	s_delay_alu instid0(VALU_DEP_3) | instskip(NEXT) | instid1(VALU_DEP_3)
	v_dual_sub_f32 v150, v155, v129 :: v_dual_mul_f32 v165, 0x3fb8aa3b, v156
	v_mul_f32_e32 v130, 0x3fb8aa3b, v130
	s_delay_alu instid0(VALU_DEP_3) | instskip(NEXT) | instid1(VALU_DEP_3)
	v_mul_f32_e32 v167, 0x3fb8aa3b, v158
	v_mul_f32_e32 v150, 0x3fb8aa3b, v150
	s_delay_alu instid0(VALU_DEP_4) | instskip(NEXT) | instid1(VALU_DEP_3)
	v_exp_f32_e32 v165, v165
	v_exp_f32_e32 v164, v130
	v_sub_f32_e32 v130, v157, v129
	s_delay_alu instid0(VALU_DEP_2) | instskip(NEXT) | instid1(VALU_DEP_1)
	v_exp_f32_e32 v150, v150
	v_mul_f32_e32 v166, 0x3fb8aa3b, v130
	s_waitcnt lgkmcnt(0)
	s_waitcnt_depctr 0xfff
	v_fma_f32 v130, v164, v162, 0
	v_sub_f32_e32 v162, v159, v129
	v_exp_f32_e32 v166, v166
	s_delay_alu instid0(VALU_DEP_2)
	v_fmac_f32_e32 v130, v150, v163
	ds_load_2addr_b32 v[154:155], v139 offset0:170 offset1:187
	ds_load_2addr_b32 v[156:157], v139 offset0:204 offset1:221
	;; [unrolled: 1-line block ×3, first 2 shown]
	v_dual_sub_f32 v139, v160, v129 :: v_dual_mul_f32 v160, 0x3fb8aa3b, v162
	v_exp_f32_e32 v162, v167
	v_cndmask_b32_e64 v150, v164, v150, s4
	v_cmp_eq_u32_e64 s4, 2, v149
	s_delay_alu instid0(VALU_DEP_3)
	v_mul_f32_e32 v139, 0x3fb8aa3b, v139
	v_exp_f32_e32 v160, v160
	s_waitcnt lgkmcnt(0)
	s_barrier
	v_cndmask_b32_e64 v150, v150, v165, s4
	v_exp_f32_e32 v139, v139
	v_cmp_eq_u32_e64 s4, 3, v149
	buffer_gl0_inv
	v_cndmask_b32_e64 v150, v150, v166, s4
	v_fmac_f32_e32 v130, v165, v154
	v_sub_f32_e32 v154, v161, v129
	v_cmp_eq_u32_e64 s4, 4, v149
	s_delay_alu instid0(VALU_DEP_2) | instskip(NEXT) | instid1(VALU_DEP_2)
	v_mul_f32_e32 v154, 0x3fb8aa3b, v154
	v_cndmask_b32_e64 v150, v150, v162, s4
	v_cmp_eq_u32_e64 s4, 5, v149
	s_delay_alu instid0(VALU_DEP_3) | instskip(SKIP_1) | instid1(VALU_DEP_2)
	v_exp_f32_e32 v154, v154
	v_fmac_f32_e32 v130, v166, v155
	v_cndmask_b32_e64 v150, v150, v160, s4
	s_mov_b32 s4, exec_lo
	s_delay_alu instid0(VALU_DEP_2) | instskip(NEXT) | instid1(VALU_DEP_1)
	v_fmac_f32_e32 v130, v162, v156
	v_fmac_f32_e32 v130, v160, v157
	s_delay_alu instid0(VALU_DEP_1) | instskip(SKIP_2) | instid1(VALU_DEP_1)
	v_fmac_f32_e32 v130, v139, v158
	s_waitcnt_depctr 0xfff
	v_fmac_f32_e32 v130, v154, v159
	v_add_f32_e32 v155, 0x358637bd, v130
	s_delay_alu instid0(VALU_DEP_1) | instskip(SKIP_1) | instid1(VALU_DEP_2)
	v_div_scale_f32 v156, null, v155, v155, 1.0
	v_div_scale_f32 v159, vcc_lo, 1.0, v155, 1.0
	v_rcp_f32_e32 v157, v156
	s_waitcnt_depctr 0xfff
	v_fma_f32 v158, -v156, v157, 1.0
	s_delay_alu instid0(VALU_DEP_1) | instskip(NEXT) | instid1(VALU_DEP_1)
	v_fmac_f32_e32 v157, v158, v157
	v_mul_f32_e32 v158, v159, v157
	s_delay_alu instid0(VALU_DEP_1) | instskip(NEXT) | instid1(VALU_DEP_1)
	v_fma_f32 v161, -v156, v158, v159
	v_fmac_f32_e32 v158, v161, v157
	s_delay_alu instid0(VALU_DEP_1) | instskip(NEXT) | instid1(VALU_DEP_1)
	v_fma_f32 v156, -v156, v158, v159
	v_div_fmas_f32 v156, v156, v157, v158
	v_cmp_eq_u32_e32 vcc_lo, 6, v149
	v_cndmask_b32_e32 v139, v150, v139, vcc_lo
	v_cmp_eq_u32_e32 vcc_lo, 7, v149
	s_delay_alu instid0(VALU_DEP_4) | instskip(NEXT) | instid1(VALU_DEP_3)
	v_div_fixup_f32 v150, v156, v155, 1.0
	v_cndmask_b32_e32 v139, v139, v154, vcc_lo
	s_delay_alu instid0(VALU_DEP_1) | instskip(NEXT) | instid1(VALU_DEP_1)
	v_mul_f32_e32 v139, v139, v150
	v_mul_f32_e32 v154, v139, v140
	;; [unrolled: 1-line block ×7, first 2 shown]
	v_and_b32_e32 v155, 0x7f800000, v154
	v_mul_f32_e32 v153, v139, v144
	v_mul_f32_e32 v144, v139, v141
                                        ; implicit-def: $vgpr141
	s_delay_alu instid0(VALU_DEP_3)
	v_cmpx_ne_u32_e32 0x7f800000, v155
	s_xor_b32 s4, exec_lo, s4
; %bb.13:
	v_bfe_u32 v141, v154, 16, 1
	s_delay_alu instid0(VALU_DEP_1)
	v_add3_u32 v141, v154, v141, 0x7fff
                                        ; implicit-def: $vgpr154
; %bb.14:
	s_and_not1_saveexec_b32 s4, s4
; %bb.15:
	v_and_b32_e32 v141, 0xffff, v154
	v_or_b32_e32 v142, 0x10000, v154
	s_delay_alu instid0(VALU_DEP_2) | instskip(NEXT) | instid1(VALU_DEP_2)
	v_cmp_eq_u32_e32 vcc_lo, 0, v141
	v_cndmask_b32_e32 v141, v142, v154, vcc_lo
; %bb.16:
	s_or_b32 exec_lo, exec_lo, s4
	v_and_b32_e32 v142, 0x7f800000, v144
	s_delay_alu instid0(VALU_DEP_1) | instskip(SKIP_1) | instid1(SALU_CYCLE_1)
	v_cmp_ne_u32_e32 vcc_lo, 0x7f800000, v142
                                        ; implicit-def: $vgpr142
	s_and_saveexec_b32 s4, vcc_lo
	s_xor_b32 s4, exec_lo, s4
; %bb.17:
	v_bfe_u32 v142, v144, 16, 1
	s_delay_alu instid0(VALU_DEP_1)
	v_add3_u32 v142, v144, v142, 0x7fff
                                        ; implicit-def: $vgpr144
; %bb.18:
	s_and_not1_saveexec_b32 s4, s4
; %bb.19:
	v_and_b32_e32 v142, 0xffff, v144
	v_or_b32_e32 v154, 0x10000, v144
	s_delay_alu instid0(VALU_DEP_2) | instskip(NEXT) | instid1(VALU_DEP_2)
	v_cmp_eq_u32_e32 vcc_lo, 0, v142
	v_cndmask_b32_e32 v142, v154, v144, vcc_lo
; %bb.20:
	s_or_b32 exec_lo, exec_lo, s4
	v_and_b32_e32 v144, 0x7f800000, v151
	s_delay_alu instid0(VALU_DEP_1) | instskip(SKIP_1) | instid1(SALU_CYCLE_1)
	v_cmp_ne_u32_e32 vcc_lo, 0x7f800000, v144
                                        ; implicit-def: $vgpr144
	s_and_saveexec_b32 s4, vcc_lo
	s_xor_b32 s4, exec_lo, s4
; %bb.21:
	v_bfe_u32 v144, v151, 16, 1
	s_delay_alu instid0(VALU_DEP_1)
	v_add3_u32 v144, v151, v144, 0x7fff
                                        ; implicit-def: $vgpr151
; %bb.22:
	s_and_not1_saveexec_b32 s4, s4
; %bb.23:
	v_and_b32_e32 v144, 0xffff, v151
	v_or_b32_e32 v154, 0x10000, v151
	s_delay_alu instid0(VALU_DEP_2) | instskip(NEXT) | instid1(VALU_DEP_2)
	v_cmp_eq_u32_e32 vcc_lo, 0, v144
	v_cndmask_b32_e32 v144, v154, v151, vcc_lo
; %bb.24:
	s_or_b32 exec_lo, exec_lo, s4
	v_and_b32_e32 v151, 0x7f800000, v153
	s_delay_alu instid0(VALU_DEP_1) | instskip(SKIP_1) | instid1(SALU_CYCLE_1)
	v_cmp_ne_u32_e32 vcc_lo, 0x7f800000, v151
                                        ; implicit-def: $vgpr151
	s_and_saveexec_b32 s4, vcc_lo
	s_xor_b32 s4, exec_lo, s4
; %bb.25:
	v_bfe_u32 v151, v153, 16, 1
	s_delay_alu instid0(VALU_DEP_1)
	v_add3_u32 v151, v153, v151, 0x7fff
                                        ; implicit-def: $vgpr153
; %bb.26:
	s_and_not1_saveexec_b32 s4, s4
; %bb.27:
	v_and_b32_e32 v151, 0xffff, v153
	v_or_b32_e32 v154, 0x10000, v153
	s_delay_alu instid0(VALU_DEP_2) | instskip(NEXT) | instid1(VALU_DEP_2)
	v_cmp_eq_u32_e32 vcc_lo, 0, v151
	v_cndmask_b32_e32 v151, v154, v153, vcc_lo
; %bb.28:
	s_or_b32 exec_lo, exec_lo, s4
	v_and_b32_e32 v153, 0x7f800000, v152
	s_delay_alu instid0(VALU_DEP_1) | instskip(SKIP_1) | instid1(SALU_CYCLE_1)
	v_cmp_ne_u32_e32 vcc_lo, 0x7f800000, v153
                                        ; implicit-def: $vgpr153
	s_and_saveexec_b32 s4, vcc_lo
	s_xor_b32 s4, exec_lo, s4
; %bb.29:
	v_bfe_u32 v153, v152, 16, 1
	s_delay_alu instid0(VALU_DEP_1)
	v_add3_u32 v153, v152, v153, 0x7fff
                                        ; implicit-def: $vgpr152
; %bb.30:
	s_and_not1_saveexec_b32 s4, s4
; %bb.31:
	v_and_b32_e32 v153, 0xffff, v152
	v_or_b32_e32 v154, 0x10000, v152
	s_delay_alu instid0(VALU_DEP_2) | instskip(NEXT) | instid1(VALU_DEP_2)
	v_cmp_eq_u32_e32 vcc_lo, 0, v153
	v_cndmask_b32_e32 v153, v154, v152, vcc_lo
; %bb.32:
	s_or_b32 exec_lo, exec_lo, s4
	v_and_b32_e32 v152, 0x7f800000, v150
	s_delay_alu instid0(VALU_DEP_1) | instskip(SKIP_1) | instid1(SALU_CYCLE_1)
	v_cmp_ne_u32_e32 vcc_lo, 0x7f800000, v152
                                        ; implicit-def: $vgpr152
	s_and_saveexec_b32 s4, vcc_lo
	s_xor_b32 s4, exec_lo, s4
; %bb.33:
	v_bfe_u32 v152, v150, 16, 1
	s_delay_alu instid0(VALU_DEP_1)
	v_add3_u32 v152, v150, v152, 0x7fff
                                        ; implicit-def: $vgpr150
; %bb.34:
	s_and_not1_saveexec_b32 s4, s4
; %bb.35:
	v_and_b32_e32 v152, 0xffff, v150
	v_or_b32_e32 v154, 0x10000, v150
	s_delay_alu instid0(VALU_DEP_2) | instskip(NEXT) | instid1(VALU_DEP_2)
	v_cmp_eq_u32_e32 vcc_lo, 0, v152
	v_cndmask_b32_e32 v152, v154, v150, vcc_lo
; %bb.36:
	s_or_b32 exec_lo, exec_lo, s4
	v_and_b32_e32 v150, 0x7f800000, v143
	s_delay_alu instid0(VALU_DEP_1) | instskip(SKIP_1) | instid1(SALU_CYCLE_1)
	v_cmp_ne_u32_e32 vcc_lo, 0x7f800000, v150
                                        ; implicit-def: $vgpr150
	s_and_saveexec_b32 s4, vcc_lo
	s_xor_b32 s4, exec_lo, s4
; %bb.37:
	v_bfe_u32 v150, v143, 16, 1
	s_delay_alu instid0(VALU_DEP_1)
	v_add3_u32 v150, v143, v150, 0x7fff
                                        ; implicit-def: $vgpr143
; %bb.38:
	s_and_not1_saveexec_b32 s4, s4
; %bb.39:
	v_and_b32_e32 v150, 0xffff, v143
	v_or_b32_e32 v154, 0x10000, v143
	s_delay_alu instid0(VALU_DEP_2) | instskip(NEXT) | instid1(VALU_DEP_2)
	v_cmp_eq_u32_e32 vcc_lo, 0, v150
	v_cndmask_b32_e32 v150, v154, v143, vcc_lo
; %bb.40:
	s_or_b32 exec_lo, exec_lo, s4
	v_and_b32_e32 v143, 0x7f800000, v140
	s_delay_alu instid0(VALU_DEP_1) | instskip(SKIP_1) | instid1(SALU_CYCLE_1)
	v_cmp_ne_u32_e32 vcc_lo, 0x7f800000, v143
                                        ; implicit-def: $vgpr143
	s_and_saveexec_b32 s4, vcc_lo
	s_xor_b32 s4, exec_lo, s4
; %bb.41:
	v_bfe_u32 v143, v140, 16, 1
	s_delay_alu instid0(VALU_DEP_1)
	v_add3_u32 v143, v140, v143, 0x7fff
                                        ; implicit-def: $vgpr140
; %bb.42:
	s_and_not1_saveexec_b32 s4, s4
; %bb.43:
	v_and_b32_e32 v143, 0xffff, v140
	v_or_b32_e32 v154, 0x10000, v140
	s_delay_alu instid0(VALU_DEP_2) | instskip(NEXT) | instid1(VALU_DEP_2)
	v_cmp_eq_u32_e32 vcc_lo, 0, v143
	v_cndmask_b32_e32 v143, v154, v140, vcc_lo
; %bb.44:
	s_or_b32 exec_lo, exec_lo, s4
	s_load_b64 s[36:37], s[0:1], 0x94
	v_dual_mul_f32 v136, v139, v136 :: v_dual_lshlrev_b32 v155, 4, v146
	s_delay_alu instid0(VALU_DEP_2)
	v_perm_b32 v154, v143, v150, 0x7060302
	v_dual_mul_f32 v143, v139, v131 :: v_dual_lshlrev_b32 v140, 6, v148
	v_dual_mul_f32 v135, v139, v135 :: v_dual_lshlrev_b32 v150, 11, v149
	v_perm_b32 v153, v152, v153, 0x7060302
	v_perm_b32 v152, v151, v144, 0x7060302
	;; [unrolled: 1-line block ×3, first 2 shown]
	s_delay_alu instid0(VALU_DEP_4)
	v_or3_b32 v131, v155, v150, v140
	v_mul_f32_e32 v138, v139, v138
	v_dual_mul_f32 v137, v139, v137 :: v_dual_and_b32 v144, 0x7f800000, v143
	v_mul_f32_e32 v141, v139, v134
	v_mul_f32_e32 v142, v139, v133
	;; [unrolled: 1-line block ×3, first 2 shown]
	s_mov_b32 s4, exec_lo
	ds_store_b128 v131, v[151:154]
                                        ; implicit-def: $vgpr132
	v_cmpx_ne_u32_e32 0x7f800000, v144
	s_xor_b32 s4, exec_lo, s4
; %bb.45:
	v_bfe_u32 v132, v143, 16, 1
	s_delay_alu instid0(VALU_DEP_1)
	v_add3_u32 v132, v143, v132, 0x7fff
                                        ; implicit-def: $vgpr143
; %bb.46:
	s_and_not1_saveexec_b32 s4, s4
; %bb.47:
	v_and_b32_e32 v132, 0xffff, v143
	v_or_b32_e32 v133, 0x10000, v143
	s_delay_alu instid0(VALU_DEP_2) | instskip(NEXT) | instid1(VALU_DEP_2)
	v_cmp_eq_u32_e32 vcc_lo, 0, v132
	v_cndmask_b32_e32 v132, v133, v143, vcc_lo
; %bb.48:
	s_or_b32 exec_lo, exec_lo, s4
	v_and_b32_e32 v133, 0x7f800000, v134
	s_delay_alu instid0(VALU_DEP_1) | instskip(SKIP_1) | instid1(SALU_CYCLE_1)
	v_cmp_ne_u32_e32 vcc_lo, 0x7f800000, v133
                                        ; implicit-def: $vgpr133
	s_and_saveexec_b32 s4, vcc_lo
	s_xor_b32 s4, exec_lo, s4
; %bb.49:
	v_bfe_u32 v133, v134, 16, 1
	s_delay_alu instid0(VALU_DEP_1)
	v_add3_u32 v133, v134, v133, 0x7fff
                                        ; implicit-def: $vgpr134
; %bb.50:
	s_and_not1_saveexec_b32 s4, s4
; %bb.51:
	v_and_b32_e32 v133, 0xffff, v134
	v_or_b32_e32 v139, 0x10000, v134
	s_delay_alu instid0(VALU_DEP_2) | instskip(NEXT) | instid1(VALU_DEP_2)
	v_cmp_eq_u32_e32 vcc_lo, 0, v133
	v_cndmask_b32_e32 v133, v139, v134, vcc_lo
; %bb.52:
	s_or_b32 exec_lo, exec_lo, s4
	v_and_b32_e32 v134, 0x7f800000, v142
	s_delay_alu instid0(VALU_DEP_1) | instskip(SKIP_1) | instid1(SALU_CYCLE_1)
	v_cmp_ne_u32_e32 vcc_lo, 0x7f800000, v134
                                        ; implicit-def: $vgpr134
	s_and_saveexec_b32 s4, vcc_lo
	s_xor_b32 s4, exec_lo, s4
; %bb.53:
	v_bfe_u32 v134, v142, 16, 1
	s_delay_alu instid0(VALU_DEP_1)
	v_add3_u32 v134, v142, v134, 0x7fff
                                        ; implicit-def: $vgpr142
; %bb.54:
	s_and_not1_saveexec_b32 s4, s4
; %bb.55:
	v_and_b32_e32 v134, 0xffff, v142
	v_or_b32_e32 v139, 0x10000, v142
	s_delay_alu instid0(VALU_DEP_2) | instskip(NEXT) | instid1(VALU_DEP_2)
	v_cmp_eq_u32_e32 vcc_lo, 0, v134
	v_cndmask_b32_e32 v134, v139, v142, vcc_lo
; %bb.56:
	s_or_b32 exec_lo, exec_lo, s4
	v_and_b32_e32 v139, 0x7f800000, v141
	s_delay_alu instid0(VALU_DEP_1) | instskip(SKIP_1) | instid1(SALU_CYCLE_1)
	v_cmp_ne_u32_e32 vcc_lo, 0x7f800000, v139
                                        ; implicit-def: $vgpr139
	s_and_saveexec_b32 s4, vcc_lo
	s_xor_b32 s4, exec_lo, s4
; %bb.57:
	v_bfe_u32 v139, v141, 16, 1
	s_delay_alu instid0(VALU_DEP_1)
	v_add3_u32 v139, v141, v139, 0x7fff
                                        ; implicit-def: $vgpr141
; %bb.58:
	s_and_not1_saveexec_b32 s4, s4
; %bb.59:
	v_and_b32_e32 v139, 0xffff, v141
	v_or_b32_e32 v142, 0x10000, v141
	s_delay_alu instid0(VALU_DEP_2) | instskip(NEXT) | instid1(VALU_DEP_2)
	v_cmp_eq_u32_e32 vcc_lo, 0, v139
	v_cndmask_b32_e32 v139, v142, v141, vcc_lo
; %bb.60:
	s_or_b32 exec_lo, exec_lo, s4
	v_and_b32_e32 v141, 0x7f800000, v135
	s_delay_alu instid0(VALU_DEP_1) | instskip(SKIP_1) | instid1(SALU_CYCLE_1)
	v_cmp_ne_u32_e32 vcc_lo, 0x7f800000, v141
                                        ; implicit-def: $vgpr141
	s_and_saveexec_b32 s4, vcc_lo
	s_xor_b32 s4, exec_lo, s4
; %bb.61:
	v_bfe_u32 v141, v135, 16, 1
	s_delay_alu instid0(VALU_DEP_1)
	v_add3_u32 v141, v135, v141, 0x7fff
                                        ; implicit-def: $vgpr135
; %bb.62:
	s_and_not1_saveexec_b32 s4, s4
; %bb.63:
	v_and_b32_e32 v141, 0xffff, v135
	v_or_b32_e32 v142, 0x10000, v135
	s_delay_alu instid0(VALU_DEP_2) | instskip(NEXT) | instid1(VALU_DEP_2)
	v_cmp_eq_u32_e32 vcc_lo, 0, v141
	v_cndmask_b32_e32 v141, v142, v135, vcc_lo
; %bb.64:
	s_or_b32 exec_lo, exec_lo, s4
	v_and_b32_e32 v135, 0x7f800000, v136
	s_delay_alu instid0(VALU_DEP_1) | instskip(SKIP_1) | instid1(SALU_CYCLE_1)
	v_cmp_ne_u32_e32 vcc_lo, 0x7f800000, v135
                                        ; implicit-def: $vgpr135
	s_and_saveexec_b32 s4, vcc_lo
	s_xor_b32 s4, exec_lo, s4
; %bb.65:
	v_bfe_u32 v135, v136, 16, 1
	s_delay_alu instid0(VALU_DEP_1)
	v_add3_u32 v135, v136, v135, 0x7fff
                                        ; implicit-def: $vgpr136
; %bb.66:
	s_and_not1_saveexec_b32 s4, s4
; %bb.67:
	v_and_b32_e32 v135, 0xffff, v136
	v_or_b32_e32 v142, 0x10000, v136
	s_delay_alu instid0(VALU_DEP_2) | instskip(NEXT) | instid1(VALU_DEP_2)
	v_cmp_eq_u32_e32 vcc_lo, 0, v135
	v_cndmask_b32_e32 v135, v142, v136, vcc_lo
; %bb.68:
	s_or_b32 exec_lo, exec_lo, s4
	v_and_b32_e32 v136, 0x7f800000, v137
	s_delay_alu instid0(VALU_DEP_1) | instskip(SKIP_1) | instid1(SALU_CYCLE_1)
	v_cmp_ne_u32_e32 vcc_lo, 0x7f800000, v136
                                        ; implicit-def: $vgpr136
	s_and_saveexec_b32 s4, vcc_lo
	s_xor_b32 s4, exec_lo, s4
; %bb.69:
	v_bfe_u32 v136, v137, 16, 1
	s_delay_alu instid0(VALU_DEP_1)
	v_add3_u32 v136, v137, v136, 0x7fff
                                        ; implicit-def: $vgpr137
; %bb.70:
	s_and_not1_saveexec_b32 s4, s4
; %bb.71:
	v_and_b32_e32 v136, 0xffff, v137
	v_or_b32_e32 v142, 0x10000, v137
	s_delay_alu instid0(VALU_DEP_2) | instskip(NEXT) | instid1(VALU_DEP_2)
	v_cmp_eq_u32_e32 vcc_lo, 0, v136
	v_cndmask_b32_e32 v136, v142, v137, vcc_lo
; %bb.72:
	s_or_b32 exec_lo, exec_lo, s4
	v_and_b32_e32 v137, 0x7f800000, v138
	s_delay_alu instid0(VALU_DEP_1) | instskip(SKIP_1) | instid1(SALU_CYCLE_1)
	v_cmp_ne_u32_e32 vcc_lo, 0x7f800000, v137
                                        ; implicit-def: $vgpr137
	s_and_saveexec_b32 s4, vcc_lo
	s_xor_b32 s4, exec_lo, s4
; %bb.73:
	v_bfe_u32 v137, v138, 16, 1
	s_delay_alu instid0(VALU_DEP_1)
	v_add3_u32 v137, v138, v137, 0x7fff
                                        ; implicit-def: $vgpr138
; %bb.74:
	s_and_not1_saveexec_b32 s4, s4
; %bb.75:
	v_and_b32_e32 v137, 0xffff, v138
	v_or_b32_e32 v142, 0x10000, v138
	s_delay_alu instid0(VALU_DEP_2) | instskip(NEXT) | instid1(VALU_DEP_2)
	v_cmp_eq_u32_e32 vcc_lo, 0, v137
	v_cndmask_b32_e32 v137, v142, v138, vcc_lo
; %bb.76:
	s_or_b32 exec_lo, exec_lo, s4
	s_delay_alu instid0(VALU_DEP_1)
	v_perm_b32 v136, v137, v136, 0x7060302
	v_perm_b32 v135, v135, v141, 0x7060302
	;; [unrolled: 1-line block ×4, first 2 shown]
	v_lshl_or_b32 v141, v149, 11, v140
	ds_store_b128 v131, v[133:136] offset:1024
	s_waitcnt lgkmcnt(0)
	s_barrier
	buffer_gl0_inv
	ds_load_b128 v[132:135], v141
	ds_load_b128 v[149:152], v141 offset:16
	s_waitcnt lgkmcnt(1)
	v_lshrrev_b32_e32 v136, 16, v132
	s_waitcnt lgkmcnt(0)
	v_lshrrev_b32_e32 v164, 16, v151
	v_lshlrev_b32_e32 v138, 2, v146
	v_lshrrev_b32_e32 v143, 16, v149
	v_lshrrev_b32_e32 v162, 16, v150
	;; [unrolled: 1-line block ×4, first 2 shown]
	v_or_b32_e32 v139, 1, v138
	v_lshrrev_b32_e32 v165, 16, v152
	v_lshrrev_b32_e32 v163, 16, v135
	s_delay_alu instid0(VALU_DEP_3)
	v_cmp_eq_u32_e64 s8, 1, v139
	v_cmp_eq_u32_e64 s7, 2, v139
	;; [unrolled: 1-line block ×4, first 2 shown]
	v_cmp_eq_u32_e32 vcc_lo, 5, v139
	v_cndmask_b32_e64 v155, v149, v143, s8
	v_cndmask_b32_e64 v154, v132, v136, s8
	v_cmp_eq_u32_e64 s5, 6, v139
	v_cmp_eq_u32_e64 s20, 7, v139
	s_delay_alu instid0(VALU_DEP_4) | instskip(NEXT) | instid1(VALU_DEP_4)
	v_cndmask_b32_e64 v155, v155, v150, s7
	v_cndmask_b32_e64 v154, v154, v133, s7
	s_delay_alu instid0(VALU_DEP_2) | instskip(NEXT) | instid1(VALU_DEP_2)
	v_cndmask_b32_e64 v155, v155, v162, s6
	v_cndmask_b32_e64 v154, v154, v144, s6
	s_delay_alu instid0(VALU_DEP_2) | instskip(NEXT) | instid1(VALU_DEP_2)
	v_cndmask_b32_e64 v155, v155, v151, s4
	v_cndmask_b32_e64 v154, v154, v134, s4
	s_delay_alu instid0(VALU_DEP_2)
	v_cndmask_b32_e32 v157, v155, v164, vcc_lo
	v_cmp_eq_u32_e64 s13, 1, v138
	v_cmp_eq_u32_e64 s12, 2, v138
	;; [unrolled: 1-line block ×3, first 2 shown]
	v_or_b32_e32 v137, 2, v138
	v_cmp_eq_u32_e64 s18, 4, v138
	v_cndmask_b32_e64 v153, v149, v143, s13
	v_cndmask_b32_e64 v142, v132, v136, s13
	v_cmp_eq_u32_e64 s15, 5, v138
	v_cmp_eq_u32_e64 s9, 1, v137
	;; [unrolled: 1-line block ×3, first 2 shown]
	v_cndmask_b32_e64 v153, v153, v150, s12
	v_cndmask_b32_e64 v142, v142, v133, s12
	v_cmp_eq_u32_e64 s11, 2, v137
	v_cndmask_b32_e64 v156, v132, v136, s9
	v_cndmask_b32_e32 v154, v154, v161, vcc_lo
	v_cndmask_b32_e64 v153, v153, v162, s17
	v_cndmask_b32_e64 v142, v142, v144, s17
	v_cmp_eq_u32_e64 s10, 7, v138
	v_cndmask_b32_e64 v156, v156, v133, s11
	v_cmp_eq_u32_e64 s19, 3, v137
	v_cndmask_b32_e64 v153, v153, v151, s18
	v_cndmask_b32_e64 v142, v142, v134, s18
	;; [unrolled: 1-line block ×3, first 2 shown]
	v_cmp_eq_u32_e64 s21, 4, v137
	v_cndmask_b32_e64 v156, v156, v144, s19
	v_cndmask_b32_e64 v153, v153, v164, s15
	;; [unrolled: 1-line block ×4, first 2 shown]
	v_cmp_eq_u32_e64 s23, 5, v137
	v_cndmask_b32_e64 v159, v156, v134, s21
	v_cndmask_b32_e64 v153, v153, v152, s16
	;; [unrolled: 1-line block ×3, first 2 shown]
	v_cmp_eq_u32_e64 s26, 6, v137
	v_cmp_eq_u32_e64 s28, 7, v137
	v_cndmask_b32_e64 v169, v159, v161, s23
	v_cndmask_b32_e64 v167, v153, v165, s10
	v_cndmask_b32_e64 v153, v149, v143, s9
	v_cndmask_b32_e64 v166, v142, v163, s10
	v_or_b32_e32 v142, 3, v138
	s_delay_alu instid0(VALU_DEP_3)
	v_cndmask_b32_e64 v158, v153, v150, s11
	ds_load_b128 v[153:156], v141 offset:1024
	v_cmp_eq_u32_e64 s22, 1, v142
	v_cmp_eq_u32_e64 s24, 2, v142
	;; [unrolled: 1-line block ×3, first 2 shown]
	v_cndmask_b32_e64 v158, v158, v162, s19
	v_cmp_eq_u32_e64 s27, 4, v142
	v_cndmask_b32_e64 v132, v132, v136, s22
	v_cndmask_b32_e64 v136, v157, v152, s5
	;; [unrolled: 1-line block ×4, first 2 shown]
	ds_load_b128 v[157:160], v141 offset:1040
	v_cndmask_b32_e64 v132, v132, v133, s24
	v_cmp_eq_u32_e64 s29, 5, v142
	v_cndmask_b32_e64 v143, v143, v150, s24
	v_cmp_eq_u32_e64 s30, 6, v142
	v_cndmask_b32_e64 v133, v170, v164, s23
	v_cndmask_b32_e64 v132, v132, v144, s25
	;; [unrolled: 1-line block ×5, first 2 shown]
	s_waitcnt lgkmcnt(1)
	v_lshrrev_b32_e32 v149, 16, v153
	v_cndmask_b32_e64 v132, v132, v134, s27
	v_cndmask_b32_e64 v133, v133, v152, s26
	;; [unrolled: 1-line block ×3, first 2 shown]
	v_lshrrev_b32_e32 v151, 16, v154
	v_cndmask_b32_e64 v143, v153, v149, s13
	v_cndmask_b32_e64 v132, v132, v161, s29
	;; [unrolled: 1-line block ×5, first 2 shown]
	s_waitcnt lgkmcnt(0)
	v_lshrrev_b32_e32 v150, 16, v157
	v_cndmask_b32_e64 v143, v143, v154, s12
	v_cndmask_b32_e64 v132, v132, v135, s30
	v_cndmask_b32_e64 v134, v134, v152, s30
	v_lshrrev_b32_e32 v164, 16, v159
	v_cndmask_b32_e64 v162, v157, v150, s13
	v_cndmask_b32_e64 v135, v143, v151, s17
	;; [unrolled: 1-line block ×3, first 2 shown]
	v_lshrrev_b32_e32 v161, 16, v158
	v_cndmask_b32_e64 v133, v133, v165, s28
	v_cndmask_b32_e64 v152, v162, v158, s12
	v_cmp_eq_u32_e64 s12, 7, v142
	v_cndmask_b32_e64 v143, v143, v151, s6
	v_cndmask_b32_e64 v135, v135, v155, s18
	v_lshrrev_b32_e32 v162, 16, v155
	v_cndmask_b32_e64 v152, v152, v161, s17
	v_cndmask_b32_e64 v132, v132, v163, s12
	;; [unrolled: 1-line block ×6, first 2 shown]
	s_delay_alu instid0(VALU_DEP_4) | instskip(NEXT) | instid1(VALU_DEP_4)
	v_perm_b32 v135, v134, v132, 0x5040100
	v_cndmask_b32_e32 v132, v143, v162, vcc_lo
	s_delay_alu instid0(VALU_DEP_4)
	v_cndmask_b32_e64 v143, v163, v156, s16
	v_lshrrev_b32_e32 v163, 16, v156
	v_cndmask_b32_e64 v152, v152, v164, s15
	v_perm_b32 v134, v133, v144, 0x5040100
	v_cndmask_b32_e64 v132, v132, v156, s5
	v_perm_b32 v133, v136, v168, 0x5040100
	v_cndmask_b32_e64 v136, v143, v163, s10
	v_cndmask_b32_e64 v143, v152, v160, s16
	;; [unrolled: 1-line block ×13, first 2 shown]
	v_lshrrev_b32_e32 v144, 16, v160
	v_cndmask_b32_e64 v132, v132, v151, s19
	v_cndmask_b32_e64 v149, v149, v151, s25
	;; [unrolled: 1-line block ×14, first 2 shown]
	v_cndmask_b32_e32 v150, v150, v164, vcc_lo
	v_cndmask_b32_e64 v132, v132, v156, s26
	v_cndmask_b32_e64 v149, v149, v156, s30
	;; [unrolled: 1-line block ×11, first 2 shown]
	v_perm_b32 v132, v167, v166, 0x5040100
	v_perm_b32 v152, v151, v149, 0x5040100
	;; [unrolled: 1-line block ×5, first 2 shown]
	s_mul_i32 s9, s37, 15
	s_mov_b32 s4, exec_lo
	ds_store_b128 v131, v[132:135]
	ds_store_b128 v131, v[149:152] offset:1024
	v_cmpx_gt_u32_e32 15, v0
	s_cbranch_execz .LBB400_78
; %bb.77:
	s_mul_i32 s5, s9, s34
	s_load_b128 s[16:19], s[0:1], 0x58
	v_add3_u32 v133, s5, s31, v148
	s_delay_alu instid0(VALU_DEP_1) | instskip(NEXT) | instid1(VALU_DEP_1)
	v_mad_u64_u32 v[131:132], null, v133, s36, s[14:15]
	v_ashrrev_i32_e32 v132, 31, v131
	s_delay_alu instid0(VALU_DEP_1) | instskip(SKIP_1) | instid1(VALU_DEP_1)
	v_lshlrev_b64 v[131:132], 2, v[131:132]
	s_waitcnt lgkmcnt(0)
	v_add_co_u32 v133, vcc_lo, s18, v131
	s_delay_alu instid0(VALU_DEP_2)
	v_add_co_ci_u32_e32 v134, vcc_lo, s19, v132, vcc_lo
	v_add_co_u32 v131, vcc_lo, s16, v131
	v_add_co_ci_u32_e32 v132, vcc_lo, s17, v132, vcc_lo
	global_store_b32 v[133:134], v129, off
	global_store_b32 v[131:132], v130, off
.LBB400_78:
	s_or_b32 exec_lo, exec_lo, s4
	s_waitcnt lgkmcnt(0)
	s_waitcnt_vscnt null, 0x0
	s_barrier
	buffer_gl0_inv
	ds_load_b128 v[148:151], v140
	ds_load_b128 v[152:155], v140 offset:16
	ds_load_b128 v[160:163], v140 offset:1040
	;; [unrolled: 1-line block ×3, first 2 shown]
	v_mov_b32_e32 v129, 0
	ds_load_b128 v[168:171], v140 offset:2064
	ds_load_b128 v[164:167], v140 offset:2048
	;; [unrolled: 1-line block ×6, first 2 shown]
	v_mov_b32_e32 v130, v129
	v_mov_b32_e32 v131, v129
	;; [unrolled: 1-line block ×7, first 2 shown]
	s_waitcnt lgkmcnt(8)
	s_delay_alu instid0(VALU_DEP_1)
	v_wmma_f32_16x16x16_bf16 v[129:136], v[121:128], v[148:155], v[129:136]
	ds_load_b128 v[125:128], v140 offset:5136
	ds_load_b128 v[121:124], v140 offset:5120
	s_waitcnt lgkmcnt(8)
	v_wmma_f32_16x16x16_bf16 v[129:136], v[113:120], v[156:163], v[129:136]
	ds_load_b128 v[117:120], v140 offset:6160
	ds_load_b128 v[113:116], v140 offset:6144
	s_waitcnt lgkmcnt(8)
	;; [unrolled: 4-line block ×8, first 2 shown]
	v_wmma_f32_16x16x16_bf16 v[129:136], v[65:72], v[97:104], v[129:136]
	s_waitcnt lgkmcnt(6)
	s_delay_alu instid0(VALU_DEP_1)
	v_wmma_f32_16x16x16_bf16 v[129:136], v[49:56], v[89:96], v[129:136]
	ds_load_b128 v[53:56], v140 offset:13328
	ds_load_b128 v[49:52], v140 offset:13312
	s_waitcnt lgkmcnt(6)
	v_wmma_f32_16x16x16_bf16 v[129:136], v[41:48], v[81:88], v[129:136]
	ds_load_b128 v[45:48], v140 offset:14352
	ds_load_b128 v[41:44], v140 offset:14336
	s_waitcnt lgkmcnt(6)
	;; [unrolled: 4-line block ×3, first 2 shown]
	v_wmma_f32_16x16x16_bf16 v[129:136], v[1:8], v[57:64], v[129:136]
	s_waitcnt lgkmcnt(4)
	s_delay_alu instid0(VALU_DEP_1) | instskip(SKIP_1) | instid1(VALU_DEP_1)
	v_wmma_f32_16x16x16_bf16 v[129:136], v[25:32], v[49:56], v[129:136]
	s_waitcnt lgkmcnt(2)
	v_wmma_f32_16x16x16_bf16 v[129:136], v[33:40], v[41:48], v[129:136]
	s_waitcnt lgkmcnt(0)
	s_delay_alu instid0(VALU_DEP_1) | instskip(NEXT) | instid1(VALU_DEP_1)
	v_wmma_f32_16x16x16_bf16 v[129:136], v[9:16], v[17:24], v[129:136]
	v_and_b32_e32 v1, 0x7f800000, v129
	s_delay_alu instid0(VALU_DEP_1) | instskip(SKIP_1) | instid1(SALU_CYCLE_1)
	v_cmp_ne_u32_e32 vcc_lo, 0x7f800000, v1
                                        ; implicit-def: $vgpr1
	s_and_saveexec_b32 s4, vcc_lo
	s_xor_b32 s4, exec_lo, s4
; %bb.79:
	v_bfe_u32 v1, v129, 16, 1
	s_delay_alu instid0(VALU_DEP_1)
	v_add3_u32 v1, v129, v1, 0x7fff
; %bb.80:
	s_and_not1_saveexec_b32 s4, s4
; %bb.81:
	v_and_b32_e32 v1, 0xffff, v129
	v_or_b32_e32 v2, 0x10000, v129
	s_delay_alu instid0(VALU_DEP_2) | instskip(NEXT) | instid1(VALU_DEP_2)
	v_cmp_eq_u32_e32 vcc_lo, 0, v1
	v_cndmask_b32_e32 v1, v2, v129, vcc_lo
; %bb.82:
	s_or_b32 exec_lo, exec_lo, s4
	v_and_b32_e32 v2, 0x7f800000, v130
	s_delay_alu instid0(VALU_DEP_1) | instskip(SKIP_1) | instid1(SALU_CYCLE_1)
	v_cmp_ne_u32_e32 vcc_lo, 0x7f800000, v2
                                        ; implicit-def: $vgpr2
	s_and_saveexec_b32 s4, vcc_lo
	s_xor_b32 s4, exec_lo, s4
; %bb.83:
	v_bfe_u32 v2, v130, 16, 1
	s_delay_alu instid0(VALU_DEP_1)
	v_add3_u32 v2, v130, v2, 0x7fff
; %bb.84:
	s_and_not1_saveexec_b32 s4, s4
; %bb.85:
	v_and_b32_e32 v2, 0xffff, v130
	v_or_b32_e32 v3, 0x10000, v130
	s_delay_alu instid0(VALU_DEP_2) | instskip(NEXT) | instid1(VALU_DEP_2)
	v_cmp_eq_u32_e32 vcc_lo, 0, v2
	v_cndmask_b32_e32 v2, v3, v130, vcc_lo
; %bb.86:
	s_or_b32 exec_lo, exec_lo, s4
	v_and_b32_e32 v3, 0x7f800000, v131
	s_delay_alu instid0(VALU_DEP_1) | instskip(SKIP_1) | instid1(SALU_CYCLE_1)
	v_cmp_ne_u32_e32 vcc_lo, 0x7f800000, v3
                                        ; implicit-def: $vgpr3
	s_and_saveexec_b32 s4, vcc_lo
	s_xor_b32 s4, exec_lo, s4
; %bb.87:
	v_bfe_u32 v3, v131, 16, 1
	s_delay_alu instid0(VALU_DEP_1)
	v_add3_u32 v3, v131, v3, 0x7fff
; %bb.88:
	s_and_not1_saveexec_b32 s4, s4
; %bb.89:
	v_and_b32_e32 v3, 0xffff, v131
	v_or_b32_e32 v4, 0x10000, v131
	s_delay_alu instid0(VALU_DEP_2) | instskip(NEXT) | instid1(VALU_DEP_2)
	v_cmp_eq_u32_e32 vcc_lo, 0, v3
	v_cndmask_b32_e32 v3, v4, v131, vcc_lo
; %bb.90:
	s_or_b32 exec_lo, exec_lo, s4
	v_and_b32_e32 v4, 0x7f800000, v132
	s_delay_alu instid0(VALU_DEP_1) | instskip(SKIP_1) | instid1(SALU_CYCLE_1)
	v_cmp_ne_u32_e32 vcc_lo, 0x7f800000, v4
                                        ; implicit-def: $vgpr4
	s_and_saveexec_b32 s4, vcc_lo
	s_xor_b32 s4, exec_lo, s4
; %bb.91:
	v_bfe_u32 v4, v132, 16, 1
	s_delay_alu instid0(VALU_DEP_1)
	v_add3_u32 v4, v132, v4, 0x7fff
; %bb.92:
	s_and_not1_saveexec_b32 s4, s4
; %bb.93:
	v_and_b32_e32 v4, 0xffff, v132
	v_or_b32_e32 v5, 0x10000, v132
	s_delay_alu instid0(VALU_DEP_2) | instskip(NEXT) | instid1(VALU_DEP_2)
	v_cmp_eq_u32_e32 vcc_lo, 0, v4
	v_cndmask_b32_e32 v4, v5, v132, vcc_lo
; %bb.94:
	s_or_b32 exec_lo, exec_lo, s4
	v_and_b32_e32 v5, 0x7f800000, v133
	s_delay_alu instid0(VALU_DEP_1) | instskip(SKIP_1) | instid1(SALU_CYCLE_1)
	v_cmp_ne_u32_e32 vcc_lo, 0x7f800000, v5
                                        ; implicit-def: $vgpr5
	s_and_saveexec_b32 s4, vcc_lo
	s_xor_b32 s4, exec_lo, s4
; %bb.95:
	v_bfe_u32 v5, v133, 16, 1
	s_delay_alu instid0(VALU_DEP_1)
	v_add3_u32 v5, v133, v5, 0x7fff
; %bb.96:
	s_and_not1_saveexec_b32 s4, s4
; %bb.97:
	v_and_b32_e32 v5, 0xffff, v133
	v_or_b32_e32 v6, 0x10000, v133
	s_delay_alu instid0(VALU_DEP_2) | instskip(NEXT) | instid1(VALU_DEP_2)
	v_cmp_eq_u32_e32 vcc_lo, 0, v5
	v_cndmask_b32_e32 v5, v6, v133, vcc_lo
; %bb.98:
	s_or_b32 exec_lo, exec_lo, s4
	v_and_b32_e32 v6, 0x7f800000, v134
	s_delay_alu instid0(VALU_DEP_1) | instskip(SKIP_1) | instid1(SALU_CYCLE_1)
	v_cmp_ne_u32_e32 vcc_lo, 0x7f800000, v6
                                        ; implicit-def: $vgpr6
	s_and_saveexec_b32 s4, vcc_lo
	s_xor_b32 s4, exec_lo, s4
; %bb.99:
	v_bfe_u32 v6, v134, 16, 1
	s_delay_alu instid0(VALU_DEP_1)
	v_add3_u32 v6, v134, v6, 0x7fff
; %bb.100:
	s_and_not1_saveexec_b32 s4, s4
; %bb.101:
	v_and_b32_e32 v6, 0xffff, v134
	v_or_b32_e32 v7, 0x10000, v134
	s_delay_alu instid0(VALU_DEP_2) | instskip(NEXT) | instid1(VALU_DEP_2)
	v_cmp_eq_u32_e32 vcc_lo, 0, v6
	v_cndmask_b32_e32 v6, v7, v134, vcc_lo
; %bb.102:
	s_or_b32 exec_lo, exec_lo, s4
	v_and_b32_e32 v7, 0x7f800000, v135
	s_delay_alu instid0(VALU_DEP_1) | instskip(SKIP_1) | instid1(SALU_CYCLE_1)
	v_cmp_ne_u32_e32 vcc_lo, 0x7f800000, v7
                                        ; implicit-def: $vgpr7
	s_and_saveexec_b32 s4, vcc_lo
	s_xor_b32 s4, exec_lo, s4
; %bb.103:
	v_bfe_u32 v7, v135, 16, 1
	s_delay_alu instid0(VALU_DEP_1)
	v_add3_u32 v7, v135, v7, 0x7fff
; %bb.104:
	s_and_not1_saveexec_b32 s4, s4
; %bb.105:
	v_and_b32_e32 v7, 0xffff, v135
	v_or_b32_e32 v8, 0x10000, v135
	s_delay_alu instid0(VALU_DEP_2) | instskip(NEXT) | instid1(VALU_DEP_2)
	v_cmp_eq_u32_e32 vcc_lo, 0, v7
	v_cndmask_b32_e32 v7, v8, v135, vcc_lo
; %bb.106:
	s_or_b32 exec_lo, exec_lo, s4
	v_and_b32_e32 v8, 0x7f800000, v136
	s_delay_alu instid0(VALU_DEP_1) | instskip(SKIP_1) | instid1(SALU_CYCLE_1)
	v_cmp_ne_u32_e32 vcc_lo, 0x7f800000, v8
                                        ; implicit-def: $vgpr8
	s_and_saveexec_b32 s4, vcc_lo
	s_xor_b32 s4, exec_lo, s4
; %bb.107:
	v_bfe_u32 v8, v136, 16, 1
	s_delay_alu instid0(VALU_DEP_1)
	v_add3_u32 v8, v136, v8, 0x7fff
                                        ; implicit-def: $vgpr129_vgpr130_vgpr131_vgpr132_vgpr133_vgpr134_vgpr135_vgpr136
; %bb.108:
	s_and_not1_saveexec_b32 s4, s4
; %bb.109:
	v_and_b32_e32 v8, 0xffff, v136
	v_or_b32_e32 v9, 0x10000, v136
	s_delay_alu instid0(VALU_DEP_2) | instskip(NEXT) | instid1(VALU_DEP_2)
	v_cmp_eq_u32_e32 vcc_lo, 0, v8
	v_cndmask_b32_e32 v8, v9, v136, vcc_lo
; %bb.110:
	s_or_b32 exec_lo, exec_lo, s4
	s_delay_alu instid0(VALU_DEP_1)
	v_perm_b32 v7, v8, v7, 0x7060302
	v_perm_b32 v6, v6, v5, 0x7060302
	;; [unrolled: 1-line block ×4, first 2 shown]
	v_lshl_or_b32 v9, v146, 4, v141
	s_barrier
	buffer_gl0_inv
	v_cmp_eq_u32_e32 vcc_lo, 1, v138
	ds_store_b128 v9, v[4:7]
	s_waitcnt lgkmcnt(0)
	s_barrier
	buffer_gl0_inv
	ds_load_b128 v[1:4], v141
	ds_load_b128 v[5:8], v141 offset:16
	v_cmp_eq_u32_e64 s5, 2, v138
	v_cmp_eq_u32_e64 s4, 1, v139
	;; [unrolled: 1-line block ×5, first 2 shown]
	s_waitcnt lgkmcnt(1)
	v_lshrrev_b32_e32 v10, 16, v1
	s_waitcnt lgkmcnt(0)
	v_lshrrev_b32_e32 v14, 16, v5
	v_lshrrev_b32_e32 v15, 16, v6
	;; [unrolled: 1-line block ×4, first 2 shown]
	v_cndmask_b32_e64 v20, v1, v10, s4
	v_cndmask_b32_e32 v19, v5, v14, vcc_lo
	v_cndmask_b32_e64 v21, v5, v14, s4
	v_lshrrev_b32_e32 v16, 16, v7
	v_cmp_eq_u32_e64 s4, 1, v137
	v_lshrrev_b32_e32 v13, 16, v4
	v_cndmask_b32_e64 v19, v19, v6, s5
	v_lshrrev_b32_e32 v17, 16, v8
	s_delay_alu instid0(VALU_DEP_4) | instskip(SKIP_1) | instid1(VALU_DEP_4)
	v_cndmask_b32_e64 v22, v1, v10, s4
	v_cndmask_b32_e64 v23, v5, v14, s4
	;; [unrolled: 1-line block ×3, first 2 shown]
	v_cndmask_b32_e32 v18, v1, v10, vcc_lo
	v_cmp_eq_u32_e32 vcc_lo, 2, v139
	v_cmp_eq_u32_e64 s4, 2, v142
	v_cndmask_b32_e64 v22, v22, v2, s8
	v_cndmask_b32_e32 v20, v20, v2, vcc_lo
	v_cndmask_b32_e32 v21, v21, v6, vcc_lo
	v_cmp_eq_u32_e32 vcc_lo, 4, v138
	v_cndmask_b32_e32 v19, v19, v7, vcc_lo
	v_cndmask_b32_e64 v18, v18, v2, s5
	v_cmp_eq_u32_e64 s5, 3, v139
	s_delay_alu instid0(VALU_DEP_2) | instskip(NEXT) | instid1(VALU_DEP_2)
	v_cndmask_b32_e64 v18, v18, v11, s6
	v_cndmask_b32_e64 v21, v21, v15, s5
	v_cmp_eq_u32_e64 s6, 5, v138
	s_delay_alu instid0(VALU_DEP_3) | instskip(SKIP_1) | instid1(VALU_DEP_3)
	v_cndmask_b32_e32 v18, v18, v3, vcc_lo
	v_cmp_eq_u32_e32 vcc_lo, 4, v139
	v_cndmask_b32_e64 v19, v19, v16, s6
	s_delay_alu instid0(VALU_DEP_3) | instskip(SKIP_4) | instid1(VALU_DEP_3)
	v_cndmask_b32_e64 v18, v18, v12, s6
	v_cndmask_b32_e32 v21, v21, v7, vcc_lo
	v_cndmask_b32_e64 v20, v20, v11, s5
	v_cmp_eq_u32_e64 s5, 5, v139
	v_cmp_eq_u32_e64 s6, 6, v138
	v_cndmask_b32_e32 v20, v20, v3, vcc_lo
	s_delay_alu instid0(VALU_DEP_3) | instskip(SKIP_1) | instid1(VALU_DEP_4)
	v_cndmask_b32_e64 v21, v21, v16, s5
	v_cmp_eq_u32_e32 vcc_lo, 6, v139
	v_cndmask_b32_e64 v18, v18, v4, s6
	v_cndmask_b32_e64 v19, v19, v8, s6
	;; [unrolled: 1-line block ×3, first 2 shown]
	v_cmp_eq_u32_e64 s5, 1, v142
	v_cmp_eq_u32_e64 s6, 7, v138
	s_delay_alu instid0(VALU_DEP_3) | instskip(NEXT) | instid1(VALU_DEP_3)
	v_cndmask_b32_e32 v20, v20, v4, vcc_lo
	v_cndmask_b32_e64 v1, v1, v10, s5
	v_cndmask_b32_e64 v5, v5, v14, s5
	v_cmp_eq_u32_e64 s5, 3, v137
	v_cndmask_b32_e64 v14, v23, v6, s8
	v_cmp_eq_u32_e64 s8, 3, v142
	v_cndmask_b32_e64 v1, v1, v2, s4
	v_cndmask_b32_e64 v2, v5, v6, s4
	;; [unrolled: 1-line block ×3, first 2 shown]
	v_cmp_eq_u32_e64 s4, 4, v137
	v_cndmask_b32_e64 v6, v14, v15, s5
	v_cndmask_b32_e64 v1, v1, v11, s8
	v_cmp_eq_u32_e64 s5, 4, v142
	v_cndmask_b32_e64 v2, v2, v15, s8
	v_cndmask_b32_e64 v5, v10, v3, s4
	;; [unrolled: 3-line block ×3, first 2 shown]
	v_cndmask_b32_e64 v2, v2, v7, s5
	v_cmp_eq_u32_e64 s4, 5, v142
	v_cndmask_b32_e64 v5, v5, v12, s8
	v_cmp_eq_u32_e64 s5, 6, v137
	;; [unrolled: 2-line block ×3, first 2 shown]
	v_cndmask_b32_e64 v1, v1, v12, s4
	v_cndmask_b32_e64 v2, v2, v16, s4
	v_cndmask_b32_e64 v5, v5, v4, s5
	v_cndmask_b32_e64 v3, v3, v8, s5
	v_cmp_eq_u32_e64 s4, 7, v142
	v_cndmask_b32_e64 v1, v1, v4, s8
	v_cndmask_b32_e64 v2, v2, v8, s8
	v_cmp_eq_u32_e64 s5, 7, v137
	v_cndmask_b32_e32 v4, v21, v8, vcc_lo
	v_cndmask_b32_e64 v18, v18, v13, s6
	v_cndmask_b32_e64 v20, v20, v13, s7
	v_cndmask_b32_e64 v1, v1, v13, s4
	v_cndmask_b32_e64 v5, v5, v13, s5
	v_cndmask_b32_e64 v2, v2, v17, s4
	v_cndmask_b32_e64 v3, v3, v17, s5
	v_cndmask_b32_e64 v6, v4, v17, s7
	v_cndmask_b32_e64 v7, v19, v17, s6
	v_cmp_gt_u32_e32 vcc_lo, 32, v0
	v_perm_b32 v4, v2, v1, 0x5040100
	v_perm_b32 v3, v3, v5, 0x5040100
	;; [unrolled: 1-line block ×4, first 2 shown]
	s_and_b32 s2, vcc_lo, s2
	ds_store_b128 v9, v[1:4]
	s_waitcnt lgkmcnt(0)
	s_barrier
	buffer_gl0_inv
	s_and_saveexec_b32 s4, s2
	s_cbranch_execz .LBB400_2
; %bb.111:
	s_load_b64 s[4:5], s[0:1], 0x68
	v_add_nc_u32_e32 v20, s31, v146
	v_lshlrev_b32_e32 v0, 10, v0
	v_lshlrev_b32_e32 v1, 4, v147
	s_lshl_b32 s0, s36, 6
	s_delay_alu instid0(SALU_CYCLE_1)
	s_mul_i32 s1, s0, s34
	v_add_nc_u32_e32 v2, 2, v20
	s_mul_i32 s6, s1, s9
	v_and_or_b32 v0, 0x3800, v0, v1
	v_mul_lo_u32 v1, v20, s0
	s_ashr_i32 s7, s6, 31
	v_mul_lo_u32 v11, v2, s0
	s_lshl_b64 s[6:7], s[6:7], 1
	v_add_nc_u32_e32 v3, 4, v20
	v_lshl_or_b32 v21, v146, 6, v0
	v_add_nc_u32_e32 v16, 6, v20
	v_ashrrev_i32_e32 v2, 31, v1
	s_delay_alu instid0(VALU_DEP_4)
	v_mul_lo_u32 v13, v3, s0
	s_waitcnt lgkmcnt(0)
	s_add_u32 s1, s4, s6
	s_addc_u32 s2, s5, s7
	s_lshl_b32 s4, s14, 6
	ds_load_b128 v[3:6], v21
	ds_load_b128 v[7:10], v21 offset:128
	s_ashr_i32 s5, s4, 31
	v_ashrrev_i32_e32 v12, 31, v11
	s_lshl_b64 s[4:5], s[4:5], 1
	v_lshlrev_b64 v[14:15], 1, v[1:2]
	s_add_u32 s1, s1, s4
	s_addc_u32 s2, s2, s5
	v_add_co_u32 v1, s1, s1, v145
	s_delay_alu instid0(VALU_DEP_1) | instskip(SKIP_1) | instid1(VALU_DEP_3)
	v_add_co_ci_u32_e64 v2, null, s2, 0, s1
	v_lshlrev_b64 v[11:12], 1, v[11:12]
	v_add_co_u32 v18, vcc_lo, v1, v14
	v_mul_lo_u32 v16, v16, s0
	s_delay_alu instid0(VALU_DEP_4) | instskip(NEXT) | instid1(VALU_DEP_4)
	v_add_co_ci_u32_e32 v19, vcc_lo, v2, v15, vcc_lo
	v_add_co_u32 v11, vcc_lo, v1, v11
	v_ashrrev_i32_e32 v14, 31, v13
	v_add_co_ci_u32_e32 v12, vcc_lo, v2, v12, vcc_lo
	v_add_nc_u32_e32 v15, 8, v20
	v_ashrrev_i32_e32 v17, 31, v16
	s_waitcnt lgkmcnt(1)
	global_store_b128 v[18:19], v[3:6], off
	v_lshlrev_b64 v[3:4], 1, v[13:14]
	s_waitcnt lgkmcnt(0)
	global_store_b128 v[11:12], v[7:10], off
	v_mul_lo_u32 v11, v15, s0
	v_add_nc_u32_e32 v7, 10, v20
	v_lshlrev_b64 v[5:6], 1, v[16:17]
	v_add_co_u32 v23, vcc_lo, v1, v3
	v_add_nc_u32_e32 v3, 12, v20
	s_delay_alu instid0(VALU_DEP_4)
	v_mul_lo_u32 v25, v7, s0
	v_ashrrev_i32_e32 v12, 31, v11
	v_add_co_ci_u32_e32 v24, vcc_lo, v2, v4, vcc_lo
	v_add_co_u32 v27, vcc_lo, v1, v5
	v_mul_lo_u32 v29, v3, s0
	v_add_co_ci_u32_e32 v28, vcc_lo, v2, v6, vcc_lo
	ds_load_b128 v[3:6], v21 offset:256
	ds_load_b128 v[7:10], v21 offset:384
	v_lshlrev_b64 v[31:32], 1, v[11:12]
	ds_load_b128 v[11:14], v21 offset:512
	ds_load_b128 v[15:18], v21 offset:640
	;; [unrolled: 1-line block ×3, first 2 shown]
	v_ashrrev_i32_e32 v26, 31, v25
	v_ashrrev_i32_e32 v30, 31, v29
	v_add_co_u32 v31, vcc_lo, v1, v31
	s_delay_alu instid0(VALU_DEP_3) | instskip(NEXT) | instid1(VALU_DEP_3)
	v_lshlrev_b64 v[25:26], 1, v[25:26]
	v_lshlrev_b64 v[29:30], 1, v[29:30]
	v_add_co_ci_u32_e32 v32, vcc_lo, v2, v32, vcc_lo
	s_delay_alu instid0(VALU_DEP_3) | instskip(NEXT) | instid1(VALU_DEP_4)
	v_add_co_u32 v25, vcc_lo, v1, v25
	v_add_co_ci_u32_e32 v26, vcc_lo, v2, v26, vcc_lo
	s_delay_alu instid0(VALU_DEP_4)
	v_add_co_u32 v29, vcc_lo, v1, v29
	v_add_co_ci_u32_e32 v30, vcc_lo, v2, v30, vcc_lo
	s_waitcnt lgkmcnt(4)
	global_store_b128 v[23:24], v[3:6], off
	s_waitcnt lgkmcnt(3)
	global_store_b128 v[27:28], v[7:10], off
	;; [unrolled: 2-line block ×5, first 2 shown]
	s_and_b32 exec_lo, exec_lo, s3
	s_cbranch_execz .LBB400_2
; %bb.112:
	ds_load_b128 v[3:6], v0 offset:896
	s_add_i32 s1, s31, 14
	s_delay_alu instid0(SALU_CYCLE_1) | instskip(NEXT) | instid1(SALU_CYCLE_1)
	s_mul_i32 s0, s1, s0
	s_ashr_i32 s1, s0, 31
	s_delay_alu instid0(SALU_CYCLE_1) | instskip(NEXT) | instid1(SALU_CYCLE_1)
	s_lshl_b64 s[0:1], s[0:1], 1
	v_add_co_u32 v0, vcc_lo, v1, s0
	v_add_co_ci_u32_e32 v1, vcc_lo, s1, v2, vcc_lo
	s_waitcnt lgkmcnt(0)
	global_store_b128 v[0:1], v[3:6], off
	s_nop 0
	s_sendmsg sendmsg(MSG_DEALLOC_VGPRS)
	s_endpgm
	.section	.rodata,"a",@progbits
	.p2align	6, 0x0
	.amdhsa_kernel _Z39paged_attention_ll4mi_QKV_mfma16_kernelI14__hip_bfloat16S0_LN4vllm18Fp8KVCacheDataTypeE0EhLi16ELi64ELi256ELb1ELi15EL8MFMAType0EEvPKT_PKT0_S9_ifPKiSB_SB_iPKfiiiPfSE_PS4_PT2_iSD_SD_
		.amdhsa_group_segment_fixed_size 17472
		.amdhsa_private_segment_fixed_size 0
		.amdhsa_kernarg_size 400
		.amdhsa_user_sgpr_count 13
		.amdhsa_user_sgpr_dispatch_ptr 0
		.amdhsa_user_sgpr_queue_ptr 0
		.amdhsa_user_sgpr_kernarg_segment_ptr 1
		.amdhsa_user_sgpr_dispatch_id 0
		.amdhsa_user_sgpr_private_segment_size 0
		.amdhsa_wavefront_size32 1
		.amdhsa_uses_dynamic_stack 0
		.amdhsa_enable_private_segment 0
		.amdhsa_system_sgpr_workgroup_id_x 1
		.amdhsa_system_sgpr_workgroup_id_y 1
		.amdhsa_system_sgpr_workgroup_id_z 1
		.amdhsa_system_sgpr_workgroup_info 0
		.amdhsa_system_vgpr_workitem_id 0
		.amdhsa_next_free_vgpr 198
		.amdhsa_next_free_sgpr 52
		.amdhsa_reserve_vcc 1
		.amdhsa_float_round_mode_32 0
		.amdhsa_float_round_mode_16_64 0
		.amdhsa_float_denorm_mode_32 3
		.amdhsa_float_denorm_mode_16_64 3
		.amdhsa_dx10_clamp 1
		.amdhsa_ieee_mode 1
		.amdhsa_fp16_overflow 0
		.amdhsa_workgroup_processor_mode 1
		.amdhsa_memory_ordered 1
		.amdhsa_forward_progress 0
		.amdhsa_shared_vgpr_count 0
		.amdhsa_exception_fp_ieee_invalid_op 0
		.amdhsa_exception_fp_denorm_src 0
		.amdhsa_exception_fp_ieee_div_zero 0
		.amdhsa_exception_fp_ieee_overflow 0
		.amdhsa_exception_fp_ieee_underflow 0
		.amdhsa_exception_fp_ieee_inexact 0
		.amdhsa_exception_int_div_zero 0
	.end_amdhsa_kernel
	.section	.text._Z39paged_attention_ll4mi_QKV_mfma16_kernelI14__hip_bfloat16S0_LN4vllm18Fp8KVCacheDataTypeE0EhLi16ELi64ELi256ELb1ELi15EL8MFMAType0EEvPKT_PKT0_S9_ifPKiSB_SB_iPKfiiiPfSE_PS4_PT2_iSD_SD_,"axG",@progbits,_Z39paged_attention_ll4mi_QKV_mfma16_kernelI14__hip_bfloat16S0_LN4vllm18Fp8KVCacheDataTypeE0EhLi16ELi64ELi256ELb1ELi15EL8MFMAType0EEvPKT_PKT0_S9_ifPKiSB_SB_iPKfiiiPfSE_PS4_PT2_iSD_SD_,comdat
.Lfunc_end400:
	.size	_Z39paged_attention_ll4mi_QKV_mfma16_kernelI14__hip_bfloat16S0_LN4vllm18Fp8KVCacheDataTypeE0EhLi16ELi64ELi256ELb1ELi15EL8MFMAType0EEvPKT_PKT0_S9_ifPKiSB_SB_iPKfiiiPfSE_PS4_PT2_iSD_SD_, .Lfunc_end400-_Z39paged_attention_ll4mi_QKV_mfma16_kernelI14__hip_bfloat16S0_LN4vllm18Fp8KVCacheDataTypeE0EhLi16ELi64ELi256ELb1ELi15EL8MFMAType0EEvPKT_PKT0_S9_ifPKiSB_SB_iPKfiiiPfSE_PS4_PT2_iSD_SD_
                                        ; -- End function
	.section	.AMDGPU.csdata,"",@progbits
; Kernel info:
; codeLenInByte = 10288
; NumSgprs: 54
; NumVgprs: 198
; ScratchSize: 0
; MemoryBound: 0
; FloatMode: 240
; IeeeMode: 1
; LDSByteSize: 17472 bytes/workgroup (compile time only)
; SGPRBlocks: 6
; VGPRBlocks: 24
; NumSGPRsForWavesPerEU: 54
; NumVGPRsForWavesPerEU: 198
; Occupancy: 7
; WaveLimiterHint : 1
; COMPUTE_PGM_RSRC2:SCRATCH_EN: 0
; COMPUTE_PGM_RSRC2:USER_SGPR: 13
; COMPUTE_PGM_RSRC2:TRAP_HANDLER: 0
; COMPUTE_PGM_RSRC2:TGID_X_EN: 1
; COMPUTE_PGM_RSRC2:TGID_Y_EN: 1
; COMPUTE_PGM_RSRC2:TGID_Z_EN: 1
; COMPUTE_PGM_RSRC2:TIDIG_COMP_CNT: 0
	.section	.text._Z39paged_attention_ll4mi_QKV_mfma16_kernelI14__hip_bfloat16S0_LN4vllm18Fp8KVCacheDataTypeE0EhLi16ELi64ELi256ELb1ELi16EL8MFMAType0EEvPKT_PKT0_S9_ifPKiSB_SB_iPKfiiiPfSE_PS4_PT2_iSD_SD_,"axG",@progbits,_Z39paged_attention_ll4mi_QKV_mfma16_kernelI14__hip_bfloat16S0_LN4vllm18Fp8KVCacheDataTypeE0EhLi16ELi64ELi256ELb1ELi16EL8MFMAType0EEvPKT_PKT0_S9_ifPKiSB_SB_iPKfiiiPfSE_PS4_PT2_iSD_SD_,comdat
	.protected	_Z39paged_attention_ll4mi_QKV_mfma16_kernelI14__hip_bfloat16S0_LN4vllm18Fp8KVCacheDataTypeE0EhLi16ELi64ELi256ELb1ELi16EL8MFMAType0EEvPKT_PKT0_S9_ifPKiSB_SB_iPKfiiiPfSE_PS4_PT2_iSD_SD_ ; -- Begin function _Z39paged_attention_ll4mi_QKV_mfma16_kernelI14__hip_bfloat16S0_LN4vllm18Fp8KVCacheDataTypeE0EhLi16ELi64ELi256ELb1ELi16EL8MFMAType0EEvPKT_PKT0_S9_ifPKiSB_SB_iPKfiiiPfSE_PS4_PT2_iSD_SD_
	.globl	_Z39paged_attention_ll4mi_QKV_mfma16_kernelI14__hip_bfloat16S0_LN4vllm18Fp8KVCacheDataTypeE0EhLi16ELi64ELi256ELb1ELi16EL8MFMAType0EEvPKT_PKT0_S9_ifPKiSB_SB_iPKfiiiPfSE_PS4_PT2_iSD_SD_
	.p2align	8
	.type	_Z39paged_attention_ll4mi_QKV_mfma16_kernelI14__hip_bfloat16S0_LN4vllm18Fp8KVCacheDataTypeE0EhLi16ELi64ELi256ELb1ELi16EL8MFMAType0EEvPKT_PKT0_S9_ifPKiSB_SB_iPKfiiiPfSE_PS4_PT2_iSD_SD_,@function
_Z39paged_attention_ll4mi_QKV_mfma16_kernelI14__hip_bfloat16S0_LN4vllm18Fp8KVCacheDataTypeE0EhLi16ELi64ELi256ELb1ELi16EL8MFMAType0EEvPKT_PKT0_S9_ifPKiSB_SB_iPKfiiiPfSE_PS4_PT2_iSD_SD_: ; @_Z39paged_attention_ll4mi_QKV_mfma16_kernelI14__hip_bfloat16S0_LN4vllm18Fp8KVCacheDataTypeE0EhLi16ELi64ELi256ELb1ELi16EL8MFMAType0EEvPKT_PKT0_S9_ifPKiSB_SB_iPKfiiiPfSE_PS4_PT2_iSD_SD_
; %bb.0:
	s_load_b64 s[2:3], s[0:1], 0x30
	s_mov_b32 s30, s13
	s_waitcnt lgkmcnt(0)
	s_cmp_lg_u64 s[2:3], 0
	s_cselect_b32 s6, -1, 0
	s_ashr_i32 s31, s13, 31
	s_cmp_eq_u64 s[2:3], 0
	s_cbranch_scc1 .LBB401_3
; %bb.1:
	s_lshl_b64 s[4:5], s[30:31], 2
	s_delay_alu instid0(SALU_CYCLE_1) | instskip(SKIP_4) | instid1(SALU_CYCLE_1)
	s_add_u32 s4, s2, s4
	s_addc_u32 s5, s3, s5
	s_load_b64 s[4:5], s[4:5], 0x0
	s_waitcnt lgkmcnt(0)
	s_sub_i32 s4, s5, s4
	s_cmp_eq_u32 s4, 1
	s_cselect_b32 s4, -1, 0
	s_delay_alu instid0(SALU_CYCLE_1)
	s_and_not1_b32 vcc_lo, exec_lo, s4
	s_cbranch_vccz .LBB401_4
.LBB401_2:
	s_endpgm
.LBB401_3:
.LBB401_4:
	s_load_b64 s[8:9], s[0:1], 0x28
	s_lshl_b64 s[4:5], s[30:31], 2
	s_waitcnt lgkmcnt(0)
	s_add_u32 s8, s8, s4
	s_addc_u32 s9, s9, s5
	s_lshl_b32 s34, s14, 8
	s_load_b32 s33, s[8:9], 0x0
	s_waitcnt lgkmcnt(0)
	s_cmp_ge_i32 s34, s33
	s_cbranch_scc1 .LBB401_2
; %bb.5:
	s_clause 0x1
	s_load_b128 s[8:11], s[0:1], 0x8
	s_load_b64 s[12:13], s[0:1], 0x20
	s_and_not1_b32 vcc_lo, exec_lo, s6
	s_cbranch_vccnz .LBB401_7
; %bb.6:
	s_add_u32 s2, s2, s4
	s_addc_u32 s3, s3, s5
	s_load_b32 s3, s[2:3], 0x0
	s_branch .LBB401_8
.LBB401_7:
	s_mov_b32 s3, s30
.LBB401_8:
	s_load_b128 s[4:7], s[0:1], 0x48
	v_and_b32_e32 v150, 15, v0
	v_cmp_gt_u32_e32 vcc_lo, 0x100, v0
	v_lshrrev_b32_e32 v148, 5, v0
	v_and_b32_e32 v151, 31, v0
	v_and_b32_e32 v147, 1, v0
	v_lshlrev_b32_e32 v1, 3, v150
	v_cmp_gt_u32_e64 s2, 8, v150
	v_bfe_u32 v146, v0, 4, 1
	s_lshl_b32 s31, s15, 4
	s_delay_alu instid0(VALU_DEP_3) | instskip(NEXT) | instid1(VALU_DEP_3)
	v_lshlrev_b32_e32 v145, 1, v1
	s_and_b32 s16, vcc_lo, s2
	s_waitcnt lgkmcnt(0)
	s_and_saveexec_b32 s7, s16
	s_cbranch_execz .LBB401_10
; %bb.9:
	v_lshl_or_b32 v5, v148, 1, v146
	s_load_b64 s[16:17], s[0:1], 0x0
	s_mul_hi_i32 s19, s3, s4
	s_mul_i32 s18, s3, s4
	v_lshlrev_b32_e32 v6, 10, v150
	v_or_b32_e32 v1, s31, v5
	s_lshl_b64 s[18:19], s[18:19], 1
	v_lshlrev_b32_e32 v5, 6, v5
	v_lshlrev_b32_e32 v7, 10, v147
	v_and_b32_e32 v6, 0x3800, v6
	v_lshlrev_b32_e32 v1, 6, v1
	s_delay_alu instid0(VALU_DEP_2) | instskip(NEXT) | instid1(VALU_DEP_2)
	v_or3_b32 v5, v6, v7, v5
	v_ashrrev_i32_e32 v2, 31, v1
	s_delay_alu instid0(VALU_DEP_1) | instskip(SKIP_3) | instid1(VALU_DEP_1)
	v_lshlrev_b64 v[1:2], 1, v[1:2]
	s_waitcnt lgkmcnt(0)
	s_add_u32 s3, s16, s18
	s_addc_u32 s4, s17, s19
	v_add_co_u32 v1, vcc_lo, s3, v1
	s_delay_alu instid0(VALU_DEP_2) | instskip(NEXT) | instid1(VALU_DEP_2)
	v_add_co_ci_u32_e32 v2, vcc_lo, s4, v2, vcc_lo
	v_add_co_u32 v1, vcc_lo, v1, v145
	s_delay_alu instid0(VALU_DEP_2)
	v_add_co_ci_u32_e32 v2, vcc_lo, 0, v2, vcc_lo
	global_load_b128 v[1:4], v[1:2], off
	s_waitcnt vmcnt(0)
	ds_store_b128 v5, v[1:4]
.LBB401_10:
	s_or_b32 exec_lo, exec_lo, s7
	s_mov_b32 s40, 0
	s_add_i32 s3, s33, 15
	s_mov_b32 s41, s40
	s_mov_b32 s42, s40
	;; [unrolled: 1-line block ×7, first 2 shown]
	s_delay_alu instid0(SALU_CYCLE_1)
	v_dual_mov_b32 v136, s47 :: v_dual_and_b32 v1, 0xef, v0
	v_mov_b32_e32 v134, s45
	s_clause 0x1
	s_load_b32 s4, s[0:1], 0x38
	s_load_b32 s35, s[0:1], 0x1c
	v_add_nc_u32_e32 v1, s34, v1
	s_ashr_i32 s7, s3, 31
	s_waitcnt lgkmcnt(0)
	s_lshr_b32 s7, s7, 28
	s_barrier
	v_ashrrev_i32_e32 v2, 31, v1
	s_add_i32 s3, s3, s7
	v_cmp_gt_i32_e32 vcc_lo, s33, v1
	v_mov_b32_e32 v135, s46
	s_ashr_i32 s3, s3, 4
	v_lshrrev_b32_e32 v3, 28, v2
	v_or_b32_e32 v2, 16, v1
	s_add_i32 s3, s3, -1
	v_mov_b32_e32 v132, s43
	buffer_gl0_inv
	v_add_nc_u32_e32 v4, v1, v3
	v_add_nc_u32_e32 v3, v2, v3
	s_mul_i32 s6, s15, s6
	s_mul_i32 s16, s30, s4
	v_lshlrev_b32_e32 v149, 6, v150
	v_ashrrev_i32_e32 v4, 4, v4
	v_ashrrev_i32_e32 v3, 4, v3
	s_ashr_i32 s17, s16, 31
	v_mov_b32_e32 v133, s44
	s_lshl_b64 s[16:17], s[16:17], 2
	v_cndmask_b32_e32 v1, s3, v4, vcc_lo
	v_cmp_gt_i32_e32 vcc_lo, s33, v2
	s_add_u32 s4, s12, s16
	s_addc_u32 s36, s13, s17
	s_ashr_i32 s7, s6, 31
	v_ashrrev_i32_e32 v2, 31, v1
	v_cndmask_b32_e32 v3, s3, v3, vcc_lo
	s_lshl_b64 s[6:7], s[6:7], 1
	v_mov_b32_e32 v131, s42
	s_add_u32 s24, s8, s6
	v_lshlrev_b64 v[1:2], 2, v[1:2]
	v_ashrrev_i32_e32 v4, 31, v3
	s_addc_u32 s25, s9, s7
	s_lshl_b32 s8, s14, 4
	v_mov_b32_e32 v129, s40
	s_ashr_i32 s9, s8, 31
	v_lshlrev_b64 v[3:4], 2, v[3:4]
	v_add_co_u32 v1, vcc_lo, s4, v1
	v_add_co_ci_u32_e32 v2, vcc_lo, s36, v2, vcc_lo
	s_lshl_b64 s[8:9], s[8:9], 2
	s_delay_alu instid0(VALU_DEP_3) | instskip(NEXT) | instid1(VALU_DEP_4)
	v_add_co_u32 v3, vcc_lo, s4, v3
	v_add_co_ci_u32_e32 v4, vcc_lo, s36, v4, vcc_lo
	s_clause 0x1
	global_load_b32 v5, v[1:2], off
	global_load_b32 v6, v[3:4], off
	s_add_u32 s8, s4, s8
	s_addc_u32 s9, s36, s9
	s_or_b32 s12, s34, 16
	v_dual_mov_b32 v130, s41 :: v_dual_lshlrev_b32 v3, 4, v0
	s_ashr_i32 s13, s12, 4
	s_cmp_lt_i32 s12, s33
	v_lshlrev_b32_e32 v21, 5, v150
	s_cselect_b32 s12, s13, s3
	s_delay_alu instid0(SALU_CYCLE_1) | instskip(NEXT) | instid1(SALU_CYCLE_1)
	s_ashr_i32 s13, s12, 31
	s_lshl_b64 s[12:13], s[12:13], 2
	s_delay_alu instid0(VALU_DEP_1) | instskip(SKIP_3) | instid1(SALU_CYCLE_1)
	v_lshl_or_b32 v21, v148, 9, v21
	s_add_u32 s12, s4, s12
	s_addc_u32 s13, s36, s13
	s_or_b32 s15, s34, 32
	s_ashr_i32 s16, s15, 4
	s_cmp_lt_i32 s15, s33
	s_cselect_b32 s16, s16, s3
	s_delay_alu instid0(SALU_CYCLE_1) | instskip(NEXT) | instid1(SALU_CYCLE_1)
	s_ashr_i32 s17, s16, 31
	s_lshl_b64 s[16:17], s[16:17], 2
	s_delay_alu instid0(SALU_CYCLE_1) | instskip(SKIP_2) | instid1(SALU_CYCLE_1)
	s_add_u32 s16, s4, s16
	s_addc_u32 s17, s36, s17
	s_or_b32 s15, s34, 48
	s_ashr_i32 s18, s15, 4
	s_cmp_lt_i32 s15, s33
	s_cselect_b32 s18, s18, s3
	s_delay_alu instid0(SALU_CYCLE_1) | instskip(NEXT) | instid1(SALU_CYCLE_1)
	s_ashr_i32 s19, s18, 31
	s_lshl_b64 s[18:19], s[18:19], 2
	s_delay_alu instid0(SALU_CYCLE_1) | instskip(SKIP_2) | instid1(SALU_CYCLE_1)
	;; [unrolled: 10-line block ×3, first 2 shown]
	s_add_u32 s20, s4, s20
	s_addc_u32 s21, s36, s21
	s_or_b32 s15, s34, 0x50
	s_ashr_i32 s22, s15, 4
	s_cmp_lt_i32 s15, s33
	s_cselect_b32 s22, s22, s3
	s_delay_alu instid0(SALU_CYCLE_1) | instskip(NEXT) | instid1(SALU_CYCLE_1)
	s_ashr_i32 s23, s22, 31
	s_lshl_b64 s[22:23], s[22:23], 2
	s_delay_alu instid0(SALU_CYCLE_1)
	s_add_u32 s22, s4, s22
	s_addc_u32 s23, s36, s23
	s_clause 0x5
	s_load_b32 s37, s[8:9], 0x0
	s_load_b32 s12, s[12:13], 0x0
	;; [unrolled: 1-line block ×6, first 2 shown]
	s_waitcnt lgkmcnt(0)
	s_mul_hi_i32 s17, s16, s5
	s_mul_i32 s16, s16, s5
	s_waitcnt vmcnt(1)
	v_mad_i64_i32 v[1:2], null, v5, s5, 0
	v_and_b32_e32 v5, 0xf0, v3
	s_waitcnt vmcnt(0)
	v_mad_i64_i32 v[3:4], null, v6, s5, 0
	s_delay_alu instid0(VALU_DEP_2) | instskip(NEXT) | instid1(VALU_DEP_4)
	v_add_co_u32 v5, s8, s24, v5
	v_lshlrev_b64 v[1:2], 1, v[1:2]
	v_add_co_ci_u32_e64 v6, null, s25, 0, s8
	s_delay_alu instid0(VALU_DEP_4) | instskip(SKIP_1) | instid1(VALU_DEP_3)
	v_lshlrev_b64 v[3:4], 1, v[3:4]
	s_or_b32 s8, s34, 0x60
	v_add_co_u32 v17, vcc_lo, v5, v1
	s_delay_alu instid0(VALU_DEP_3) | instskip(NEXT) | instid1(VALU_DEP_3)
	v_add_co_ci_u32_e32 v18, vcc_lo, v6, v2, vcc_lo
	v_add_co_u32 v19, vcc_lo, v5, v3
	s_delay_alu instid0(VALU_DEP_4)
	v_add_co_ci_u32_e32 v20, vcc_lo, v6, v4, vcc_lo
	s_clause 0x9
	global_load_b128 v[1:4], v[17:18], off
	global_load_b128 v[5:8], v[17:18], off offset:256
	global_load_b128 v[137:140], v[19:20], off
	global_load_b128 v[141:144], v[19:20], off offset:256
	global_load_b128 v[33:36], v[17:18], off offset:512
	;; [unrolled: 1-line block ×7, first 2 shown]
	ds_load_b128 v[152:155], v149
	ds_load_b128 v[156:159], v149 offset:1024
	s_clause 0x5
	global_load_b128 v[160:163], v[19:20], off offset:1024
	global_load_b128 v[164:167], v[19:20], off offset:1280
	;; [unrolled: 1-line block ×6, first 2 shown]
	s_ashr_i32 s9, s8, 4
	s_cmp_lt_i32 s8, s33
	s_cselect_b32 s8, s9, s3
	s_delay_alu instid0(SALU_CYCLE_1) | instskip(NEXT) | instid1(SALU_CYCLE_1)
	s_ashr_i32 s9, s8, 31
	s_lshl_b64 s[8:9], s[8:9], 2
	s_delay_alu instid0(SALU_CYCLE_1) | instskip(SKIP_2) | instid1(SALU_CYCLE_1)
	s_add_u32 s22, s4, s8
	s_addc_u32 s23, s36, s9
	s_or_b32 s8, s34, 0x70
	s_ashr_i32 s9, s8, 4
	s_cmp_lt_i32 s8, s33
	s_cselect_b32 s8, s9, s3
	s_delay_alu instid0(SALU_CYCLE_1) | instskip(NEXT) | instid1(SALU_CYCLE_1)
	s_ashr_i32 s9, s8, 31
	s_lshl_b64 s[8:9], s[8:9], 2
	s_delay_alu instid0(SALU_CYCLE_1)
	s_add_u32 s24, s4, s8
	s_addc_u32 s25, s36, s9
	s_or_b32 s8, s34, 0x80
	s_load_b32 s46, s[24:25], 0x0
	s_ashr_i32 s9, s8, 4
	s_cmp_lt_i32 s8, s33
	s_cselect_b32 s8, s9, s3
	s_delay_alu instid0(SALU_CYCLE_1) | instskip(NEXT) | instid1(SALU_CYCLE_1)
	s_ashr_i32 s9, s8, 31
	s_lshl_b64 s[8:9], s[8:9], 2
	s_delay_alu instid0(SALU_CYCLE_1)
	s_add_u32 s26, s4, s8
	s_addc_u32 s27, s36, s9
	s_or_b32 s8, s34, 0x90
	s_load_b32 s47, s[26:27], 0x0
	s_ashr_i32 s9, s8, 4
	s_cmp_lt_i32 s8, s33
	s_cselect_b32 s8, s9, s3
	s_delay_alu instid0(SALU_CYCLE_1) | instskip(NEXT) | instid1(SALU_CYCLE_1)
	s_ashr_i32 s9, s8, 31
	s_lshl_b64 s[8:9], s[8:9], 2
	s_delay_alu instid0(SALU_CYCLE_1) | instskip(SKIP_2) | instid1(SALU_CYCLE_1)
	s_add_u32 s28, s4, s8
	s_addc_u32 s29, s36, s9
	s_or_b32 s8, s34, 0xa0
	s_ashr_i32 s9, s8, 4
	s_cmp_lt_i32 s8, s33
	s_cselect_b32 s8, s9, s3
	s_delay_alu instid0(SALU_CYCLE_1) | instskip(NEXT) | instid1(SALU_CYCLE_1)
	s_ashr_i32 s9, s8, 31
	s_lshl_b64 s[8:9], s[8:9], 2
	s_delay_alu instid0(SALU_CYCLE_1)
	s_add_u32 s38, s4, s8
	s_addc_u32 s39, s36, s9
	s_or_b32 s8, s34, 0xb0
	s_mul_hi_i32 s9, s37, s5
	s_ashr_i32 s13, s8, 4
	s_cmp_lt_i32 s8, s33
	s_mul_i32 s8, s37, s5
	s_cselect_b32 s40, s13, s3
	s_load_b32 s39, s[38:39], 0x0
	s_ashr_i32 s41, s40, 31
	s_mul_hi_i32 s13, s12, s5
	s_lshl_b64 s[40:41], s[40:41], 2
	s_mul_i32 s12, s12, s5
	s_add_u32 s42, s4, s40
	s_addc_u32 s43, s36, s41
	s_or_b32 s19, s34, 0xc0
	s_delay_alu instid0(SALU_CYCLE_1)
	s_ashr_i32 s21, s19, 4
	s_cmp_lt_i32 s19, s33
	s_mul_hi_i32 s19, s18, s5
	s_cselect_b32 s40, s21, s3
	s_mul_i32 s18, s18, s5
	s_ashr_i32 s41, s40, 31
	s_mul_hi_i32 s21, s20, s5
	s_lshl_b64 s[40:41], s[40:41], 2
	s_mul_i32 s20, s20, s5
	s_add_u32 s44, s4, s40
	s_load_b32 s40, s[28:29], 0x0
	s_addc_u32 s45, s36, s41
	s_or_b32 s37, s34, 0xd0
	s_load_b32 s41, s[22:23], 0x0
	s_ashr_i32 s22, s37, 4
	s_cmp_lt_i32 s37, s33
	s_mul_hi_i32 s23, s15, s5
	s_cselect_b32 s24, s22, s3
	s_mul_i32 s22, s15, s5
	s_ashr_i32 s25, s24, 31
	s_waitcnt lgkmcnt(0)
	s_mul_hi_i32 s27, s46, s5
	s_lshl_b64 s[24:25], s[24:25], 2
	s_mul_i32 s26, s46, s5
	s_add_u32 s24, s4, s24
	s_addc_u32 s25, s36, s25
	s_or_b32 s48, s34, 0xe0
	s_clause 0x2
	s_load_b32 s38, s[42:43], 0x0
	s_load_b32 s37, s[44:45], 0x0
	;; [unrolled: 1-line block ×3, first 2 shown]
	s_ashr_i32 s49, s48, 4
	s_cmp_lt_i32 s48, s33
	s_mul_hi_i32 s29, s47, s5
	s_cselect_b32 s42, s49, s3
	s_mul_i32 s28, s47, s5
	s_ashr_i32 s43, s42, 31
	s_mul_hi_i32 s25, s41, s5
	s_lshl_b64 s[42:43], s[42:43], 2
	s_mul_i32 s24, s41, s5
	s_add_u32 s42, s4, s42
	s_addc_u32 s43, s36, s43
	s_or_b32 s46, s34, 0xf0
	s_mul_hi_i32 s41, s40, s5
	s_ashr_i32 s47, s46, 4
	s_cmp_lt_i32 s46, s33
	s_mul_i32 s40, s40, s5
	s_cselect_b32 s46, s47, s3
	s_mul_hi_i32 s45, s39, s5
	s_ashr_i32 s47, s46, 31
	s_mul_i32 s44, s39, s5
	s_lshl_b64 s[46:47], s[46:47], 2
	s_waitcnt lgkmcnt(0)
	s_mul_hi_i32 s39, s38, s5
	s_add_u32 s46, s4, s46
	s_addc_u32 s47, s36, s47
	s_add_u32 s3, s10, s6
	s_addc_u32 s4, s11, s7
	v_add_co_u32 v196, s3, s3, v21
	s_delay_alu instid0(VALU_DEP_1) | instskip(SKIP_2) | instid1(VALU_DEP_2)
	v_add_co_ci_u32_e64 v197, null, s4, 0, s3
	s_lshl_b64 s[6:7], s[8:9], 1
	s_lshl_b64 s[8:9], s[12:13], 1
	v_add_co_u32 v17, vcc_lo, v196, s6
	s_delay_alu instid0(VALU_DEP_2)
	v_add_co_ci_u32_e32 v18, vcc_lo, s7, v197, vcc_lo
	v_add_co_u32 v19, vcc_lo, v196, s8
	s_lshl_b64 s[10:11], s[16:17], 1
	v_add_co_ci_u32_e32 v20, vcc_lo, s9, v197, vcc_lo
	v_add_co_u32 v21, vcc_lo, v196, s10
	s_lshl_b64 s[12:13], s[18:19], 1
	;; [unrolled: 3-line block ×9, first 2 shown]
	s_mul_i32 s38, s38, s5
	v_add_co_ci_u32_e32 v54, vcc_lo, s27, v197, vcc_lo
	v_add_co_u32 v184, vcc_lo, v196, s28
	s_mul_hi_i32 s49, s37, s5
	s_mul_i32 s48, s37, s5
	s_lshl_b64 s[36:37], s[38:39], 1
	v_add_co_ci_u32_e32 v185, vcc_lo, s29, v197, vcc_lo
	v_add_co_u32 v186, vcc_lo, v196, s36
	s_lshl_b64 s[38:39], s[48:49], 1
	s_clause 0x1
	s_load_b32 s3, s[42:43], 0x0
	s_load_b32 s4, s[46:47], 0x0
	v_add_co_ci_u32_e32 v187, vcc_lo, s37, v197, vcc_lo
	v_add_co_u32 v192, vcc_lo, v196, s38
	v_add_co_ci_u32_e32 v193, vcc_lo, s39, v197, vcc_lo
	s_clause 0x17
	global_load_b128 v[121:124], v[17:18], off
	global_load_b128 v[125:128], v[17:18], off offset:16
	global_load_b128 v[113:116], v[19:20], off
	global_load_b128 v[117:120], v[19:20], off offset:16
	;; [unrolled: 2-line block ×12, first 2 shown]
	s_mul_hi_i32 s51, s15, s5
	s_mul_i32 s50, s15, s5
	s_delay_alu instid0(SALU_CYCLE_1) | instskip(NEXT) | instid1(SALU_CYCLE_1)
	s_lshl_b64 s[40:41], s[50:51], 1
	v_add_co_u32 v194, vcc_lo, v196, s40
	v_add_co_ci_u32_e32 v195, vcc_lo, s41, v197, vcc_lo
	s_waitcnt lgkmcnt(0)
	s_mul_hi_i32 s7, s3, s5
	s_mul_i32 s6, s3, s5
	s_mul_hi_i32 s9, s4, s5
	s_lshl_b64 s[6:7], s[6:7], 1
	s_mul_i32 s8, s4, s5
	s_delay_alu instid0(SALU_CYCLE_1)
	s_lshl_b64 s[4:5], s[8:9], 1
	s_waitcnt vmcnt(38)
	v_wmma_f32_16x16x16_bf16 v[184:191], v[1:8], v[152:159], v[129:136]
	s_waitcnt vmcnt(36)
	v_wmma_f32_16x16x16_bf16 v[129:136], v[137:144], v[152:159], v[129:136]
	s_clause 0x1
	global_load_b128 v[1:4], v[192:193], off
	global_load_b128 v[5:8], v[192:193], off offset:16
	ds_load_b128 v[137:140], v149 offset:2048
	ds_load_b128 v[141:144], v149 offset:3072
	;; [unrolled: 1-line block ×4, first 2 shown]
	v_add_co_u32 v192, vcc_lo, v196, s6
	v_add_co_ci_u32_e32 v193, vcc_lo, s7, v197, vcc_lo
	v_add_co_u32 v196, vcc_lo, v196, s4
	v_add_co_ci_u32_e32 v197, vcc_lo, s5, v197, vcc_lo
	s_waitcnt vmcnt(36) lgkmcnt(2)
	v_wmma_f32_16x16x16_bf16 v[184:191], v[33:40], v[137:144], v[184:191]
	s_waitcnt vmcnt(34)
	v_wmma_f32_16x16x16_bf16 v[129:136], v[25:32], v[137:144], v[129:136]
	s_clause 0x3
	global_load_b128 v[25:28], v[194:195], off
	global_load_b128 v[29:32], v[194:195], off offset:16
	global_load_b128 v[33:36], v[192:193], off
	global_load_b128 v[37:40], v[192:193], off offset:16
	v_and_b32_e32 v137, 0xe0, v0
	v_mbcnt_lo_u32_b32 v192, -1, 0
	s_waitcnt vmcnt(36) lgkmcnt(0)
	v_wmma_f32_16x16x16_bf16 v[184:191], v[9:16], v[152:159], v[184:191]
	s_clause 0x1
	global_load_b128 v[9:12], v[196:197], off
	global_load_b128 v[13:16], v[196:197], off offset:16
	s_waitcnt vmcnt(36)
	v_wmma_f32_16x16x16_bf16 v[129:136], v[160:167], v[152:159], v[129:136]
	v_add_nc_u32_e32 v193, s34, v137
	ds_load_b128 v[137:140], v149 offset:6144
	ds_load_b128 v[141:144], v149 offset:7168
	v_xor_b32_e32 v152, 16, v192
	s_waitcnt vmcnt(0) lgkmcnt(0)
	s_barrier
	buffer_gl0_inv
	v_cmp_gt_i32_e32 vcc_lo, 32, v152
	v_cndmask_b32_e32 v152, v192, v152, vcc_lo
	v_wmma_f32_16x16x16_bf16 v[129:136], v[176:183], v[137:144], v[129:136]
	v_wmma_f32_16x16x16_bf16 v[184:191], v[168:175], v[137:144], v[184:191]
	s_delay_alu instid0(VALU_DEP_2) | instskip(SKIP_1) | instid1(VALU_DEP_3)
	v_mul_f32_e32 v174, s35, v131
	v_or_b32_e32 v153, v193, v146
	v_dual_mul_f32 v143, s35, v185 :: v_dual_mul_f32 v144, s35, v184
	s_delay_alu instid0(VALU_DEP_4) | instskip(NEXT) | instid1(VALU_DEP_3)
	v_dual_mul_f32 v141, s35, v187 :: v_dual_mul_f32 v142, s35, v186
	v_or_b32_e32 v154, 2, v153
	v_or_b32_e32 v155, 4, v153
	;; [unrolled: 1-line block ×3, first 2 shown]
	v_cmp_gt_i32_e32 vcc_lo, s33, v153
	v_or_b32_e32 v157, 8, v153
	v_cmp_gt_i32_e64 s3, s33, v154
	v_or_b32_e32 v158, 10, v153
	v_cmp_gt_i32_e64 s4, s33, v155
	v_cndmask_b32_e32 v144, 0xff7fffff, v144, vcc_lo
	v_cmp_gt_i32_e64 s5, s33, v156
	v_cndmask_b32_e64 v143, 0xff7fffff, v143, s3
	v_or_b32_e32 v159, 12, v153
	v_or_b32_e32 v160, 14, v153
	v_dual_mul_f32 v139, s35, v189 :: v_dual_mul_f32 v140, s35, v188
	v_cndmask_b32_e64 v142, 0xff7fffff, v142, s4
	v_cndmask_b32_e64 v141, 0xff7fffff, v141, s5
	v_max3_f32 v143, v144, 0xff7fffff, v143
	v_cmp_gt_i32_e64 s6, s33, v157
	v_cmp_gt_i32_e64 s7, s33, v158
	v_or_b32_e32 v161, 16, v153
	v_or_b32_e32 v162, 18, v153
	v_dual_mul_f32 v137, s35, v191 :: v_dual_mul_f32 v176, s35, v129
	v_mul_f32_e32 v138, s35, v190
	v_cndmask_b32_e64 v140, 0xff7fffff, v140, s6
	v_cndmask_b32_e64 v139, 0xff7fffff, v139, s7
	v_max3_f32 v141, v143, v142, v141
	v_cmp_gt_i32_e64 s8, s33, v159
	v_cmp_gt_i32_e64 s9, s33, v160
	v_or_b32_e32 v163, 20, v153
	v_or_b32_e32 v164, 22, v153
	v_mul_f32_e32 v175, s35, v130
	v_cndmask_b32_e64 v138, 0xff7fffff, v138, s8
	v_cndmask_b32_e64 v137, 0xff7fffff, v137, s9
	v_max3_f32 v139, v141, v140, v139
	v_cmp_gt_i32_e64 s10, s33, v161
	v_cmp_gt_i32_e64 s11, s33, v162
	v_or_b32_e32 v165, 24, v153
	v_or_b32_e32 v166, 26, v153
	v_mul_f32_e32 v173, s35, v132
	v_cndmask_b32_e64 v140, 0xff7fffff, v176, s10
	v_cndmask_b32_e64 v141, 0xff7fffff, v175, s11
	v_max3_f32 v137, v139, v138, v137
	v_cmp_gt_i32_e64 s12, s33, v163
	v_cmp_gt_i32_e64 s13, s33, v164
	v_or_b32_e32 v167, 28, v153
	v_or_b32_e32 v168, 30, v153
	v_dual_mul_f32 v171, s35, v134 :: v_dual_mul_f32 v172, s35, v133
	v_cndmask_b32_e64 v138, 0xff7fffff, v174, s12
	v_cndmask_b32_e64 v139, 0xff7fffff, v173, s13
	v_max3_f32 v137, v137, v140, v141
	v_cmp_gt_i32_e64 s15, s33, v165
	v_cmp_gt_i32_e64 s16, s33, v166
	v_dual_mul_f32 v169, s35, v136 :: v_dual_mul_f32 v170, s35, v135
	s_delay_alu instid0(VALU_DEP_4) | instskip(NEXT) | instid1(VALU_DEP_4)
	v_max3_f32 v137, v137, v138, v139
	v_cndmask_b32_e64 v140, 0xff7fffff, v172, s15
	s_delay_alu instid0(VALU_DEP_4) | instskip(SKIP_3) | instid1(VALU_DEP_4)
	v_cndmask_b32_e64 v141, 0xff7fffff, v171, s16
	v_cmp_gt_i32_e64 s17, s33, v167
	v_cmp_gt_i32_e64 s18, s33, v168
	v_lshlrev_b32_e32 v155, 2, v152
	v_max3_f32 v137, v137, v140, v141
	s_delay_alu instid0(VALU_DEP_4) | instskip(NEXT) | instid1(VALU_DEP_4)
	v_cndmask_b32_e64 v138, 0xff7fffff, v170, s17
	v_cndmask_b32_e64 v139, 0xff7fffff, v169, s18
	s_delay_alu instid0(VALU_DEP_1) | instskip(SKIP_3) | instid1(VALU_DEP_1)
	v_max3_f32 v137, v137, v138, v139
	ds_bpermute_b32 v138, v155, v137
	s_waitcnt lgkmcnt(0)
	v_max_f32_e32 v138, v138, v138
	v_max_f32_e32 v139, v137, v138
	s_delay_alu instid0(VALU_DEP_1) | instskip(SKIP_4) | instid1(VALU_DEP_4)
	v_fma_f32 v140, s35, v186, -v139
	v_fma_f32 v141, s35, v187, -v139
	;; [unrolled: 1-line block ×5, first 2 shown]
	v_dual_mul_f32 v140, 0x3fb8aa3b, v140 :: v_dual_mul_f32 v143, 0x3fb8aa3b, v141
	s_delay_alu instid0(VALU_DEP_4) | instskip(NEXT) | instid1(VALU_DEP_4)
	v_mul_f32_e32 v132, 0x3fb8aa3b, v132
	v_mul_f32_e32 v142, 0x3fb8aa3b, v142
	v_fma_f32 v138, s35, v185, -v139
	s_delay_alu instid0(VALU_DEP_4)
	v_exp_f32_e32 v144, v140
	v_exp_f32_e32 v143, v143
	v_fma_f32 v152, s35, v190, -v139
	v_exp_f32_e32 v153, v142
	v_mul_f32_e32 v138, 0x3fb8aa3b, v138
	v_fma_f32 v154, s35, v191, -v139
	v_fma_f32 v129, s35, v129, -v139
	v_mul_f32_e32 v152, 0x3fb8aa3b, v152
	v_fma_f32 v130, s35, v130, -v139
	v_exp_f32_e32 v138, v138
	v_cndmask_b32_e64 v142, 0, v144, s4
	v_cndmask_b32_e64 v144, 0, v143, s5
	v_mul_f32_e32 v137, 0x3fb8aa3b, v137
	v_mul_f32_e32 v143, 0x3fb8aa3b, v154
	v_exp_f32_e32 v154, v152
	v_cndmask_b32_e64 v152, 0, v153, s6
	v_mul_f32_e32 v129, 0x3fb8aa3b, v129
	v_exp_f32_e32 v137, v137
	v_exp_f32_e32 v156, v143
	v_cndmask_b32_e64 v140, 0, v138, s3
	v_fma_f32 v131, s35, v131, -v139
	v_mul_f32_e32 v130, 0x3fb8aa3b, v130
	v_exp_f32_e32 v129, v129
	v_fma_f32 v133, s35, v133, -v139
	v_cndmask_b32_e64 v143, 0, v154, s8
	v_mul_f32_e32 v131, 0x3fb8aa3b, v131
	v_exp_f32_e32 v130, v130
	v_cndmask_b32_e32 v141, 0, v137, vcc_lo
	v_fma_f32 v137, s35, v189, -v139
	v_cndmask_b32_e64 v154, 0, v156, s9
	v_fma_f32 v134, s35, v134, -v139
	v_mul_f32_e32 v133, 0x3fb8aa3b, v133
	v_add_f32_e32 v138, 0, v141
	v_mul_f32_e32 v137, 0x3fb8aa3b, v137
	v_fma_f32 v136, s35, v136, -v139
	v_mul_f32_e32 v134, 0x3fb8aa3b, v134
	s_mov_b32 s3, exec_lo
	v_add_f32_e32 v138, v138, v140
	v_exp_f32_e32 v137, v137
	s_delay_alu instid0(VALU_DEP_1) | instskip(NEXT) | instid1(VALU_DEP_1)
	v_add_f32_e32 v138, v138, v142
	v_add_f32_e32 v138, v138, v144
	s_waitcnt_depctr 0xfff
	v_cndmask_b32_e64 v153, 0, v137, s7
	v_add_f32_e32 v137, v138, v152
	v_exp_f32_e32 v138, v131
	v_cndmask_b32_e64 v131, 0, v129, s10
	s_delay_alu instid0(VALU_DEP_2) | instskip(NEXT) | instid1(VALU_DEP_1)
	v_add_f32_e32 v137, v137, v153
	v_add_f32_e32 v137, v137, v143
	s_delay_alu instid0(VALU_DEP_1)
	v_add_f32_e32 v129, v137, v154
	v_exp_f32_e32 v137, v132
	v_cndmask_b32_e64 v132, 0, v130, s11
	v_fma_f32 v130, s35, v135, -v139
	v_exp_f32_e32 v135, v133
	v_add_f32_e32 v129, v129, v131
	v_cndmask_b32_e64 v133, 0, v138, s12
	v_exp_f32_e32 v138, v134
	s_delay_alu instid0(VALU_DEP_2) | instskip(NEXT) | instid1(TRANS32_DEP_3)
	v_dual_mul_f32 v130, 0x3fb8aa3b, v130 :: v_dual_add_f32 v129, v129, v132
	v_cndmask_b32_e64 v134, 0, v137, s13
	v_mul_f32_e32 v137, 0x3fb8aa3b, v136
	s_delay_alu instid0(VALU_DEP_3) | instskip(NEXT) | instid1(TRANS32_DEP_3)
	v_exp_f32_e32 v130, v130
	v_cndmask_b32_e64 v135, 0, v135, s15
	v_add_f32_e32 v129, v129, v133
	s_delay_alu instid0(TRANS32_DEP_2) | instskip(SKIP_1) | instid1(VALU_DEP_2)
	v_cndmask_b32_e64 v136, 0, v138, s16
	v_exp_f32_e32 v138, v137
	v_add_f32_e32 v129, v129, v134
	s_waitcnt_depctr 0xfff
	v_cndmask_b32_e64 v137, 0, v130, s17
	v_add_f32_e32 v129, v129, v135
	v_cndmask_b32_e64 v138, 0, v138, s18
	s_delay_alu instid0(VALU_DEP_2) | instskip(NEXT) | instid1(VALU_DEP_1)
	v_add_f32_e32 v129, v129, v136
	v_add_f32_e32 v129, v129, v137
	s_delay_alu instid0(VALU_DEP_1)
	v_add_f32_e32 v129, v129, v138
	ds_bpermute_b32 v130, v155, v129
	v_cmpx_gt_u32_e32 16, v151
	s_cbranch_execz .LBB401_12
; %bb.11:
	v_mul_u32_u24_e32 v151, 0x44, v148
	s_delay_alu instid0(VALU_DEP_1) | instskip(SKIP_1) | instid1(VALU_DEP_1)
	v_lshl_add_u32 v151, v150, 2, v151
	s_waitcnt lgkmcnt(0)
	v_dual_add_f32 v129, v129, v130 :: v_dual_add_nc_u32 v130, 0x4000, v151
	ds_store_2addr_b32 v130, v139, v129 offset1:136
.LBB401_12:
	s_or_b32 exec_lo, exec_lo, s3
	v_lshlrev_b32_e32 v129, 2, v150
	s_waitcnt lgkmcnt(0)
	s_barrier
	buffer_gl0_inv
	v_cmp_eq_u32_e64 s3, 1, v148
	v_add_nc_u32_e32 v139, 0x4000, v129
	ds_load_2addr_b32 v[150:151], v139 offset1:17
	ds_load_2addr_b32 v[155:156], v139 offset0:34 offset1:51
	ds_load_2addr_b32 v[157:158], v139 offset0:68 offset1:85
	;; [unrolled: 1-line block ×4, first 2 shown]
	s_waitcnt lgkmcnt(4)
	v_max3_f32 v129, v150, 0xff7fffff, v151
	s_waitcnt lgkmcnt(3)
	s_delay_alu instid0(VALU_DEP_1) | instskip(SKIP_1) | instid1(VALU_DEP_1)
	v_max3_f32 v129, v129, v155, v156
	s_waitcnt lgkmcnt(2)
	v_max3_f32 v129, v129, v157, v158
	s_waitcnt lgkmcnt(1)
	s_delay_alu instid0(VALU_DEP_1) | instskip(NEXT) | instid1(VALU_DEP_1)
	v_max3_f32 v129, v129, v159, v160
	v_sub_f32_e32 v163, v151, v129
	s_delay_alu instid0(VALU_DEP_1) | instskip(NEXT) | instid1(VALU_DEP_1)
	v_dual_sub_f32 v130, v150, v129 :: v_dual_mul_f32 v163, 0x3fb8aa3b, v163
	v_mul_f32_e32 v130, 0x3fb8aa3b, v130
	s_delay_alu instid0(VALU_DEP_2) | instskip(NEXT) | instid1(VALU_DEP_1)
	v_exp_f32_e32 v163, v163
	v_exp_f32_e32 v164, v130
	v_sub_f32_e32 v130, v156, v129
	s_delay_alu instid0(VALU_DEP_1) | instskip(NEXT) | instid1(VALU_DEP_1)
	v_dual_sub_f32 v155, v155, v129 :: v_dual_mul_f32 v166, 0x3fb8aa3b, v130
	v_mul_f32_e32 v165, 0x3fb8aa3b, v155
	s_waitcnt lgkmcnt(0)
	s_waitcnt_depctr 0xfff
	v_fma_f32 v130, v164, v161, 0
	v_exp_f32_e32 v166, v166
	v_exp_f32_e32 v165, v165
	s_delay_alu instid0(VALU_DEP_1)
	v_fmac_f32_e32 v130, v163, v162
	ds_load_2addr_b32 v[150:151], v139 offset0:170 offset1:187
	ds_load_2addr_b32 v[155:156], v139 offset0:204 offset1:221
	s_waitcnt lgkmcnt(1)
	v_dual_sub_f32 v161, v158, v129 :: v_dual_fmac_f32 v130, v165, v150
	v_sub_f32_e32 v150, v160, v129
	s_delay_alu instid0(VALU_DEP_2) | instskip(NEXT) | instid1(VALU_DEP_1)
	v_dual_sub_f32 v157, v157, v129 :: v_dual_fmac_f32 v130, v166, v151
	v_dual_mul_f32 v150, 0x3fb8aa3b, v150 :: v_dual_mul_f32 v167, 0x3fb8aa3b, v157
	ds_load_2addr_b32 v[157:158], v139 offset0:238 offset1:255
	s_waitcnt lgkmcnt(0)
	s_barrier
	v_exp_f32_e32 v150, v150
	v_sub_f32_e32 v139, v159, v129
	v_mul_f32_e32 v159, 0x3fb8aa3b, v161
	v_exp_f32_e32 v161, v167
	buffer_gl0_inv
	v_mul_f32_e32 v139, 0x3fb8aa3b, v139
	v_exp_f32_e32 v159, v159
	s_delay_alu instid0(VALU_DEP_1) | instskip(SKIP_3) | instid1(VALU_DEP_1)
	v_exp_f32_e32 v139, v139
	v_fmac_f32_e32 v130, v161, v155
	s_waitcnt_depctr 0xfff
	v_fmac_f32_e32 v130, v159, v156
	v_fmac_f32_e32 v130, v139, v157
	s_delay_alu instid0(VALU_DEP_1) | instskip(NEXT) | instid1(VALU_DEP_1)
	v_fmac_f32_e32 v130, v150, v158
	v_add_f32_e32 v151, 0x358637bd, v130
	s_delay_alu instid0(VALU_DEP_1) | instskip(SKIP_1) | instid1(VALU_DEP_2)
	v_div_scale_f32 v155, null, v151, v151, 1.0
	v_div_scale_f32 v158, vcc_lo, 1.0, v151, 1.0
	v_rcp_f32_e32 v156, v155
	s_waitcnt_depctr 0xfff
	v_fma_f32 v157, -v155, v156, 1.0
	s_delay_alu instid0(VALU_DEP_1) | instskip(SKIP_2) | instid1(VALU_DEP_3)
	v_fmac_f32_e32 v156, v157, v156
	v_cndmask_b32_e64 v157, v164, v163, s3
	v_cmp_eq_u32_e64 s3, 2, v148
	v_mul_f32_e32 v160, v158, v156
	s_delay_alu instid0(VALU_DEP_2) | instskip(SKIP_1) | instid1(VALU_DEP_3)
	v_cndmask_b32_e64 v157, v157, v165, s3
	v_cmp_eq_u32_e64 s3, 3, v148
	v_fma_f32 v162, -v155, v160, v158
	s_delay_alu instid0(VALU_DEP_2) | instskip(SKIP_1) | instid1(VALU_DEP_3)
	v_cndmask_b32_e64 v157, v157, v166, s3
	v_cmp_eq_u32_e64 s3, 4, v148
	v_fmac_f32_e32 v160, v162, v156
	s_delay_alu instid0(VALU_DEP_2) | instskip(NEXT) | instid1(VALU_DEP_2)
	v_cndmask_b32_e64 v157, v157, v161, s3
	v_fma_f32 v155, -v155, v160, v158
	v_cmp_eq_u32_e64 s3, 5, v148
	s_delay_alu instid0(VALU_DEP_2) | instskip(NEXT) | instid1(VALU_DEP_2)
	v_div_fmas_f32 v155, v155, v156, v160
	v_cndmask_b32_e64 v157, v157, v159, s3
	v_cmp_eq_u32_e32 vcc_lo, 6, v148
	s_mov_b32 s3, exec_lo
	s_delay_alu instid0(VALU_DEP_3) | instskip(NEXT) | instid1(VALU_DEP_3)
	v_div_fixup_f32 v151, v155, v151, 1.0
	v_cndmask_b32_e32 v139, v157, v139, vcc_lo
	v_cmp_eq_u32_e32 vcc_lo, 7, v148
	s_delay_alu instid0(VALU_DEP_2) | instskip(NEXT) | instid1(VALU_DEP_1)
	v_cndmask_b32_e32 v139, v139, v150, vcc_lo
	v_mul_f32_e32 v139, v139, v151
	s_delay_alu instid0(VALU_DEP_1)
	v_mul_f32_e32 v155, v139, v141
	v_mul_f32_e32 v141, v139, v154
	;; [unrolled: 1-line block ×5, first 2 shown]
	v_dual_mul_f32 v153, v139, v144 :: v_dual_and_b32 v154, 0x7f800000, v155
	v_mul_f32_e32 v151, v139, v142
	v_mul_f32_e32 v144, v139, v140
                                        ; implicit-def: $vgpr140
	s_delay_alu instid0(VALU_DEP_3)
	v_cmpx_ne_u32_e32 0x7f800000, v154
	s_xor_b32 s3, exec_lo, s3
; %bb.13:
	v_bfe_u32 v140, v155, 16, 1
	s_delay_alu instid0(VALU_DEP_1)
	v_add3_u32 v140, v155, v140, 0x7fff
                                        ; implicit-def: $vgpr155
; %bb.14:
	s_and_not1_saveexec_b32 s3, s3
; %bb.15:
	v_and_b32_e32 v140, 0xffff, v155
	v_or_b32_e32 v142, 0x10000, v155
	s_delay_alu instid0(VALU_DEP_2) | instskip(NEXT) | instid1(VALU_DEP_2)
	v_cmp_eq_u32_e32 vcc_lo, 0, v140
	v_cndmask_b32_e32 v140, v142, v155, vcc_lo
; %bb.16:
	s_or_b32 exec_lo, exec_lo, s3
	v_and_b32_e32 v142, 0x7f800000, v144
	s_delay_alu instid0(VALU_DEP_1) | instskip(SKIP_1) | instid1(SALU_CYCLE_1)
	v_cmp_ne_u32_e32 vcc_lo, 0x7f800000, v142
                                        ; implicit-def: $vgpr142
	s_and_saveexec_b32 s3, vcc_lo
	s_xor_b32 s3, exec_lo, s3
; %bb.17:
	v_bfe_u32 v142, v144, 16, 1
	s_delay_alu instid0(VALU_DEP_1)
	v_add3_u32 v142, v144, v142, 0x7fff
                                        ; implicit-def: $vgpr144
; %bb.18:
	s_and_not1_saveexec_b32 s3, s3
; %bb.19:
	v_and_b32_e32 v142, 0xffff, v144
	v_or_b32_e32 v154, 0x10000, v144
	s_delay_alu instid0(VALU_DEP_2) | instskip(NEXT) | instid1(VALU_DEP_2)
	v_cmp_eq_u32_e32 vcc_lo, 0, v142
	v_cndmask_b32_e32 v142, v154, v144, vcc_lo
; %bb.20:
	s_or_b32 exec_lo, exec_lo, s3
	v_and_b32_e32 v144, 0x7f800000, v151
	s_delay_alu instid0(VALU_DEP_1) | instskip(SKIP_1) | instid1(SALU_CYCLE_1)
	v_cmp_ne_u32_e32 vcc_lo, 0x7f800000, v144
                                        ; implicit-def: $vgpr144
	s_and_saveexec_b32 s3, vcc_lo
	s_xor_b32 s3, exec_lo, s3
; %bb.21:
	v_bfe_u32 v144, v151, 16, 1
	s_delay_alu instid0(VALU_DEP_1)
	v_add3_u32 v144, v151, v144, 0x7fff
                                        ; implicit-def: $vgpr151
; %bb.22:
	s_and_not1_saveexec_b32 s3, s3
; %bb.23:
	v_and_b32_e32 v144, 0xffff, v151
	v_or_b32_e32 v154, 0x10000, v151
	s_delay_alu instid0(VALU_DEP_2) | instskip(NEXT) | instid1(VALU_DEP_2)
	v_cmp_eq_u32_e32 vcc_lo, 0, v144
	v_cndmask_b32_e32 v144, v154, v151, vcc_lo
; %bb.24:
	s_or_b32 exec_lo, exec_lo, s3
	v_and_b32_e32 v151, 0x7f800000, v153
	s_delay_alu instid0(VALU_DEP_1) | instskip(SKIP_1) | instid1(SALU_CYCLE_1)
	v_cmp_ne_u32_e32 vcc_lo, 0x7f800000, v151
                                        ; implicit-def: $vgpr151
	s_and_saveexec_b32 s3, vcc_lo
	s_xor_b32 s3, exec_lo, s3
; %bb.25:
	v_bfe_u32 v151, v153, 16, 1
	s_delay_alu instid0(VALU_DEP_1)
	v_add3_u32 v151, v153, v151, 0x7fff
                                        ; implicit-def: $vgpr153
; %bb.26:
	s_and_not1_saveexec_b32 s3, s3
; %bb.27:
	v_and_b32_e32 v151, 0xffff, v153
	v_or_b32_e32 v154, 0x10000, v153
	s_delay_alu instid0(VALU_DEP_2) | instskip(NEXT) | instid1(VALU_DEP_2)
	v_cmp_eq_u32_e32 vcc_lo, 0, v151
	v_cndmask_b32_e32 v151, v154, v153, vcc_lo
; %bb.28:
	s_or_b32 exec_lo, exec_lo, s3
	v_and_b32_e32 v153, 0x7f800000, v152
	s_delay_alu instid0(VALU_DEP_1) | instskip(SKIP_1) | instid1(SALU_CYCLE_1)
	v_cmp_ne_u32_e32 vcc_lo, 0x7f800000, v153
                                        ; implicit-def: $vgpr153
	s_and_saveexec_b32 s3, vcc_lo
	s_xor_b32 s3, exec_lo, s3
; %bb.29:
	v_bfe_u32 v153, v152, 16, 1
	s_delay_alu instid0(VALU_DEP_1)
	v_add3_u32 v153, v152, v153, 0x7fff
                                        ; implicit-def: $vgpr152
; %bb.30:
	s_and_not1_saveexec_b32 s3, s3
; %bb.31:
	v_and_b32_e32 v153, 0xffff, v152
	v_or_b32_e32 v154, 0x10000, v152
	s_delay_alu instid0(VALU_DEP_2) | instskip(NEXT) | instid1(VALU_DEP_2)
	v_cmp_eq_u32_e32 vcc_lo, 0, v153
	v_cndmask_b32_e32 v153, v154, v152, vcc_lo
; %bb.32:
	s_or_b32 exec_lo, exec_lo, s3
	v_and_b32_e32 v152, 0x7f800000, v150
	s_delay_alu instid0(VALU_DEP_1) | instskip(SKIP_1) | instid1(SALU_CYCLE_1)
	v_cmp_ne_u32_e32 vcc_lo, 0x7f800000, v152
                                        ; implicit-def: $vgpr152
	s_and_saveexec_b32 s3, vcc_lo
	s_xor_b32 s3, exec_lo, s3
; %bb.33:
	v_bfe_u32 v152, v150, 16, 1
	s_delay_alu instid0(VALU_DEP_1)
	v_add3_u32 v152, v150, v152, 0x7fff
                                        ; implicit-def: $vgpr150
; %bb.34:
	s_and_not1_saveexec_b32 s3, s3
; %bb.35:
	v_and_b32_e32 v152, 0xffff, v150
	v_or_b32_e32 v154, 0x10000, v150
	s_delay_alu instid0(VALU_DEP_2) | instskip(NEXT) | instid1(VALU_DEP_2)
	v_cmp_eq_u32_e32 vcc_lo, 0, v152
	v_cndmask_b32_e32 v152, v154, v150, vcc_lo
; %bb.36:
	s_or_b32 exec_lo, exec_lo, s3
	v_and_b32_e32 v150, 0x7f800000, v143
	s_delay_alu instid0(VALU_DEP_1) | instskip(SKIP_1) | instid1(SALU_CYCLE_1)
	v_cmp_ne_u32_e32 vcc_lo, 0x7f800000, v150
                                        ; implicit-def: $vgpr150
	s_and_saveexec_b32 s3, vcc_lo
	s_xor_b32 s3, exec_lo, s3
; %bb.37:
	v_bfe_u32 v150, v143, 16, 1
	s_delay_alu instid0(VALU_DEP_1)
	v_add3_u32 v150, v143, v150, 0x7fff
                                        ; implicit-def: $vgpr143
; %bb.38:
	s_and_not1_saveexec_b32 s3, s3
; %bb.39:
	v_and_b32_e32 v150, 0xffff, v143
	v_or_b32_e32 v154, 0x10000, v143
	s_delay_alu instid0(VALU_DEP_2) | instskip(NEXT) | instid1(VALU_DEP_2)
	v_cmp_eq_u32_e32 vcc_lo, 0, v150
	v_cndmask_b32_e32 v150, v154, v143, vcc_lo
; %bb.40:
	s_or_b32 exec_lo, exec_lo, s3
	v_and_b32_e32 v143, 0x7f800000, v141
	s_delay_alu instid0(VALU_DEP_1) | instskip(SKIP_1) | instid1(SALU_CYCLE_1)
	v_cmp_ne_u32_e32 vcc_lo, 0x7f800000, v143
                                        ; implicit-def: $vgpr143
	s_and_saveexec_b32 s3, vcc_lo
	s_xor_b32 s3, exec_lo, s3
; %bb.41:
	v_bfe_u32 v143, v141, 16, 1
	s_delay_alu instid0(VALU_DEP_1)
	v_add3_u32 v143, v141, v143, 0x7fff
                                        ; implicit-def: $vgpr141
; %bb.42:
	s_and_not1_saveexec_b32 s3, s3
; %bb.43:
	v_and_b32_e32 v143, 0xffff, v141
	v_or_b32_e32 v154, 0x10000, v141
	s_delay_alu instid0(VALU_DEP_2) | instskip(NEXT) | instid1(VALU_DEP_2)
	v_cmp_eq_u32_e32 vcc_lo, 0, v143
	v_cndmask_b32_e32 v143, v154, v141, vcc_lo
; %bb.44:
	s_or_b32 exec_lo, exec_lo, s3
	s_load_b64 s[34:35], s[0:1], 0x94
	v_lshlrev_b32_e32 v141, 4, v146
	s_delay_alu instid0(VALU_DEP_2)
	v_perm_b32 v154, v143, v150, 0x7060302
	v_dual_mul_f32 v138, v139, v138 :: v_dual_lshlrev_b32 v143, 11, v148
	v_perm_b32 v153, v152, v153, 0x7060302
	v_perm_b32 v152, v151, v144, 0x7060302
	;; [unrolled: 1-line block ×3, first 2 shown]
	v_mul_f32_e32 v142, v139, v131
	v_or3_b32 v131, v141, v143, v149
	v_mul_f32_e32 v137, v139, v137
	v_mul_f32_e32 v136, v139, v136
	;; [unrolled: 1-line block ×3, first 2 shown]
	v_and_b32_e32 v143, 0x7f800000, v142
	v_mul_f32_e32 v140, v139, v134
	v_mul_f32_e32 v141, v139, v133
	;; [unrolled: 1-line block ×3, first 2 shown]
	s_mov_b32 s3, exec_lo
	ds_store_b128 v131, v[151:154]
                                        ; implicit-def: $vgpr132
	v_cmpx_ne_u32_e32 0x7f800000, v143
	s_xor_b32 s3, exec_lo, s3
; %bb.45:
	v_bfe_u32 v132, v142, 16, 1
	s_delay_alu instid0(VALU_DEP_1)
	v_add3_u32 v132, v142, v132, 0x7fff
                                        ; implicit-def: $vgpr142
; %bb.46:
	s_and_not1_saveexec_b32 s3, s3
; %bb.47:
	v_and_b32_e32 v132, 0xffff, v142
	v_or_b32_e32 v133, 0x10000, v142
	s_delay_alu instid0(VALU_DEP_2) | instskip(NEXT) | instid1(VALU_DEP_2)
	v_cmp_eq_u32_e32 vcc_lo, 0, v132
	v_cndmask_b32_e32 v132, v133, v142, vcc_lo
; %bb.48:
	s_or_b32 exec_lo, exec_lo, s3
	v_and_b32_e32 v133, 0x7f800000, v134
	s_delay_alu instid0(VALU_DEP_1) | instskip(SKIP_1) | instid1(SALU_CYCLE_1)
	v_cmp_ne_u32_e32 vcc_lo, 0x7f800000, v133
                                        ; implicit-def: $vgpr133
	s_and_saveexec_b32 s3, vcc_lo
	s_xor_b32 s3, exec_lo, s3
; %bb.49:
	v_bfe_u32 v133, v134, 16, 1
	s_delay_alu instid0(VALU_DEP_1)
	v_add3_u32 v133, v134, v133, 0x7fff
                                        ; implicit-def: $vgpr134
; %bb.50:
	s_and_not1_saveexec_b32 s3, s3
; %bb.51:
	v_and_b32_e32 v133, 0xffff, v134
	v_or_b32_e32 v139, 0x10000, v134
	s_delay_alu instid0(VALU_DEP_2) | instskip(NEXT) | instid1(VALU_DEP_2)
	v_cmp_eq_u32_e32 vcc_lo, 0, v133
	v_cndmask_b32_e32 v133, v139, v134, vcc_lo
; %bb.52:
	s_or_b32 exec_lo, exec_lo, s3
	v_and_b32_e32 v134, 0x7f800000, v141
	s_delay_alu instid0(VALU_DEP_1) | instskip(SKIP_1) | instid1(SALU_CYCLE_1)
	v_cmp_ne_u32_e32 vcc_lo, 0x7f800000, v134
                                        ; implicit-def: $vgpr134
	s_and_saveexec_b32 s3, vcc_lo
	s_xor_b32 s3, exec_lo, s3
; %bb.53:
	v_bfe_u32 v134, v141, 16, 1
	s_delay_alu instid0(VALU_DEP_1)
	v_add3_u32 v134, v141, v134, 0x7fff
                                        ; implicit-def: $vgpr141
; %bb.54:
	s_and_not1_saveexec_b32 s3, s3
; %bb.55:
	v_and_b32_e32 v134, 0xffff, v141
	v_or_b32_e32 v139, 0x10000, v141
	s_delay_alu instid0(VALU_DEP_2) | instskip(NEXT) | instid1(VALU_DEP_2)
	v_cmp_eq_u32_e32 vcc_lo, 0, v134
	v_cndmask_b32_e32 v134, v139, v141, vcc_lo
; %bb.56:
	s_or_b32 exec_lo, exec_lo, s3
	v_and_b32_e32 v139, 0x7f800000, v140
	s_delay_alu instid0(VALU_DEP_1) | instskip(SKIP_1) | instid1(SALU_CYCLE_1)
	v_cmp_ne_u32_e32 vcc_lo, 0x7f800000, v139
                                        ; implicit-def: $vgpr139
	s_and_saveexec_b32 s3, vcc_lo
	s_xor_b32 s3, exec_lo, s3
; %bb.57:
	v_bfe_u32 v139, v140, 16, 1
	s_delay_alu instid0(VALU_DEP_1)
	v_add3_u32 v139, v140, v139, 0x7fff
                                        ; implicit-def: $vgpr140
; %bb.58:
	s_and_not1_saveexec_b32 s3, s3
; %bb.59:
	v_and_b32_e32 v139, 0xffff, v140
	v_or_b32_e32 v141, 0x10000, v140
	s_delay_alu instid0(VALU_DEP_2) | instskip(NEXT) | instid1(VALU_DEP_2)
	v_cmp_eq_u32_e32 vcc_lo, 0, v139
	v_cndmask_b32_e32 v139, v141, v140, vcc_lo
; %bb.60:
	s_or_b32 exec_lo, exec_lo, s3
	v_and_b32_e32 v140, 0x7f800000, v135
	s_delay_alu instid0(VALU_DEP_1) | instskip(SKIP_1) | instid1(SALU_CYCLE_1)
	v_cmp_ne_u32_e32 vcc_lo, 0x7f800000, v140
                                        ; implicit-def: $vgpr140
	s_and_saveexec_b32 s3, vcc_lo
	s_xor_b32 s3, exec_lo, s3
; %bb.61:
	v_bfe_u32 v140, v135, 16, 1
	s_delay_alu instid0(VALU_DEP_1)
	v_add3_u32 v140, v135, v140, 0x7fff
                                        ; implicit-def: $vgpr135
; %bb.62:
	s_and_not1_saveexec_b32 s3, s3
; %bb.63:
	v_and_b32_e32 v140, 0xffff, v135
	v_or_b32_e32 v141, 0x10000, v135
	s_delay_alu instid0(VALU_DEP_2) | instskip(NEXT) | instid1(VALU_DEP_2)
	v_cmp_eq_u32_e32 vcc_lo, 0, v140
	v_cndmask_b32_e32 v140, v141, v135, vcc_lo
; %bb.64:
	s_or_b32 exec_lo, exec_lo, s3
	v_and_b32_e32 v135, 0x7f800000, v136
	s_delay_alu instid0(VALU_DEP_1) | instskip(SKIP_1) | instid1(SALU_CYCLE_1)
	v_cmp_ne_u32_e32 vcc_lo, 0x7f800000, v135
                                        ; implicit-def: $vgpr135
	s_and_saveexec_b32 s3, vcc_lo
	s_xor_b32 s3, exec_lo, s3
; %bb.65:
	v_bfe_u32 v135, v136, 16, 1
	s_delay_alu instid0(VALU_DEP_1)
	v_add3_u32 v135, v136, v135, 0x7fff
                                        ; implicit-def: $vgpr136
; %bb.66:
	s_and_not1_saveexec_b32 s3, s3
; %bb.67:
	v_and_b32_e32 v135, 0xffff, v136
	v_or_b32_e32 v141, 0x10000, v136
	s_delay_alu instid0(VALU_DEP_2) | instskip(NEXT) | instid1(VALU_DEP_2)
	v_cmp_eq_u32_e32 vcc_lo, 0, v135
	v_cndmask_b32_e32 v135, v141, v136, vcc_lo
; %bb.68:
	s_or_b32 exec_lo, exec_lo, s3
	v_and_b32_e32 v136, 0x7f800000, v137
	s_delay_alu instid0(VALU_DEP_1) | instskip(SKIP_1) | instid1(SALU_CYCLE_1)
	v_cmp_ne_u32_e32 vcc_lo, 0x7f800000, v136
                                        ; implicit-def: $vgpr136
	s_and_saveexec_b32 s3, vcc_lo
	s_xor_b32 s3, exec_lo, s3
; %bb.69:
	v_bfe_u32 v136, v137, 16, 1
	s_delay_alu instid0(VALU_DEP_1)
	v_add3_u32 v136, v137, v136, 0x7fff
                                        ; implicit-def: $vgpr137
; %bb.70:
	s_and_not1_saveexec_b32 s3, s3
; %bb.71:
	v_and_b32_e32 v136, 0xffff, v137
	v_or_b32_e32 v141, 0x10000, v137
	s_delay_alu instid0(VALU_DEP_2) | instskip(NEXT) | instid1(VALU_DEP_2)
	v_cmp_eq_u32_e32 vcc_lo, 0, v136
	v_cndmask_b32_e32 v136, v141, v137, vcc_lo
; %bb.72:
	s_or_b32 exec_lo, exec_lo, s3
	v_and_b32_e32 v137, 0x7f800000, v138
	s_delay_alu instid0(VALU_DEP_1) | instskip(SKIP_1) | instid1(SALU_CYCLE_1)
	v_cmp_ne_u32_e32 vcc_lo, 0x7f800000, v137
                                        ; implicit-def: $vgpr137
	s_and_saveexec_b32 s3, vcc_lo
	s_xor_b32 s3, exec_lo, s3
; %bb.73:
	v_bfe_u32 v137, v138, 16, 1
	s_delay_alu instid0(VALU_DEP_1)
	v_add3_u32 v137, v138, v137, 0x7fff
                                        ; implicit-def: $vgpr138
; %bb.74:
	s_and_not1_saveexec_b32 s3, s3
; %bb.75:
	v_and_b32_e32 v137, 0xffff, v138
	v_or_b32_e32 v141, 0x10000, v138
	s_delay_alu instid0(VALU_DEP_2) | instskip(NEXT) | instid1(VALU_DEP_2)
	v_cmp_eq_u32_e32 vcc_lo, 0, v137
	v_cndmask_b32_e32 v137, v141, v138, vcc_lo
; %bb.76:
	s_or_b32 exec_lo, exec_lo, s3
	s_delay_alu instid0(VALU_DEP_1)
	v_perm_b32 v136, v137, v136, 0x7060302
	v_perm_b32 v135, v135, v140, 0x7060302
	;; [unrolled: 1-line block ×4, first 2 shown]
	v_lshl_or_b32 v140, v148, 11, v149
	v_lshlrev_b32_e32 v138, 2, v146
	ds_store_b128 v131, v[133:136] offset:1024
	s_waitcnt lgkmcnt(0)
	s_barrier
	buffer_gl0_inv
	ds_load_b128 v[132:135], v140
	ds_load_b128 v[150:153], v140 offset:16
	v_or_b32_e32 v139, 1, v138
	v_cmp_eq_u32_e64 s12, 1, v138
	v_cmp_eq_u32_e64 s11, 2, v138
	v_or_b32_e32 v137, 2, v138
	v_cmp_eq_u32_e64 s16, 3, v138
	v_cmp_eq_u32_e64 s7, 1, v139
	;; [unrolled: 1-line block ×8, first 2 shown]
	v_cmp_eq_u32_e32 vcc_lo, 5, v139
	v_cmp_eq_u32_e64 s10, 2, v137
	v_cmp_eq_u32_e64 s15, 6, v138
	;; [unrolled: 1-line block ×5, first 2 shown]
	s_waitcnt lgkmcnt(1)
	v_lshrrev_b32_e32 v136, 16, v132
	s_waitcnt lgkmcnt(0)
	v_lshrrev_b32_e32 v142, 16, v150
	v_lshrrev_b32_e32 v143, 16, v133
	;; [unrolled: 1-line block ×4, first 2 shown]
	v_cndmask_b32_e64 v141, v132, v136, s12
	v_cndmask_b32_e64 v154, v132, v136, s7
	;; [unrolled: 1-line block ×4, first 2 shown]
	v_lshrrev_b32_e32 v163, 16, v135
	v_cndmask_b32_e64 v141, v141, v133, s11
	v_cndmask_b32_e64 v154, v154, v133, s6
	;; [unrolled: 1-line block ×4, first 2 shown]
	v_lshrrev_b32_e32 v164, 16, v152
	v_cndmask_b32_e64 v141, v141, v143, s16
	v_cndmask_b32_e64 v154, v154, v143, s5
	;; [unrolled: 1-line block ×3, first 2 shown]
	v_cmp_eq_u32_e64 s19, 7, v139
	v_cndmask_b32_e64 v157, v150, v142, s8
	v_cndmask_b32_e64 v141, v141, v134, s17
	;; [unrolled: 1-line block ×5, first 2 shown]
	v_cmp_eq_u32_e64 s20, 4, v137
	v_cndmask_b32_e64 v141, v141, v148, s13
	v_cndmask_b32_e32 v154, v154, v148, vcc_lo
	v_cndmask_b32_e32 v158, v155, v164, vcc_lo
	v_cndmask_b32_e64 v159, v157, v151, s10
	v_cndmask_b32_e64 v160, v156, v134, s20
	;; [unrolled: 1-line block ×4, first 2 shown]
	v_cmp_eq_u32_e64 s22, 5, v137
	v_cndmask_b32_e64 v159, v159, v162, s18
	v_cndmask_b32_e64 v144, v150, v142, s12
	;; [unrolled: 1-line block ×3, first 2 shown]
	v_or_b32_e32 v141, 3, v138
	v_cndmask_b32_e64 v167, v154, v163, s19
	ds_load_b128 v[154:157], v140 offset:1024
	v_cndmask_b32_e64 v168, v160, v148, s22
	v_cndmask_b32_e64 v169, v159, v152, s20
	v_cmp_eq_u32_e64 s21, 1, v141
	v_cmp_eq_u32_e64 s23, 2, v141
	;; [unrolled: 1-line block ×3, first 2 shown]
	v_cndmask_b32_e64 v144, v144, v151, s11
	v_cmp_eq_u32_e64 s26, 4, v141
	v_cndmask_b32_e64 v132, v132, v136, s21
	v_cndmask_b32_e64 v136, v158, v153, s4
	ds_load_b128 v[158:161], v140 offset:1040
	v_cndmask_b32_e64 v142, v150, v142, s21
	v_cndmask_b32_e64 v144, v144, v162, s16
	;; [unrolled: 1-line block ×3, first 2 shown]
	v_cmp_eq_u32_e64 s28, 5, v141
	v_cmp_eq_u32_e64 s25, 6, v137
	v_cndmask_b32_e64 v142, v142, v151, s23
	v_cndmask_b32_e64 v144, v144, v152, s17
	;; [unrolled: 1-line block ×3, first 2 shown]
	v_cmp_eq_u32_e64 s29, 6, v141
	s_waitcnt lgkmcnt(1)
	v_lshrrev_b32_e32 v150, 16, v154
	v_cndmask_b32_e64 v142, v142, v162, s24
	v_lshrrev_b32_e32 v151, 16, v155
	v_cndmask_b32_e64 v132, v132, v134, s26
	v_cndmask_b32_e64 v144, v144, v164, s13
	;; [unrolled: 1-line block ×7, first 2 shown]
	s_waitcnt lgkmcnt(0)
	v_lshrrev_b32_e32 v148, 16, v158
	v_cndmask_b32_e64 v143, v168, v135, s25
	v_cndmask_b32_e64 v142, v142, v155, s11
	;; [unrolled: 1-line block ×5, first 2 shown]
	v_lshrrev_b32_e32 v165, 16, v153
	v_cndmask_b32_e64 v135, v142, v151, s16
	v_cndmask_b32_e64 v142, v152, v155, s6
	;; [unrolled: 1-line block ×6, first 2 shown]
	v_lshrrev_b32_e32 v153, 16, v159
	v_cmp_eq_u32_e64 s11, 7, v141
	v_cndmask_b32_e64 v142, v142, v151, s5
	v_cmp_eq_u32_e64 s27, 7, v137
	v_cndmask_b32_e64 v135, v135, v156, s17
	v_lshrrev_b32_e32 v162, 16, v156
	v_cndmask_b32_e64 v152, v152, v153, s16
	v_cndmask_b32_e64 v132, v132, v163, s11
	;; [unrolled: 1-line block ×7, first 2 shown]
	v_lshrrev_b32_e32 v164, 16, v160
	v_perm_b32 v135, v134, v132, 0x5040100
	v_cndmask_b32_e32 v132, v142, v162, vcc_lo
	v_cndmask_b32_e64 v136, v136, v165, s19
	v_cndmask_b32_e64 v133, v133, v165, s27
	;; [unrolled: 1-line block ×3, first 2 shown]
	v_lshrrev_b32_e32 v163, 16, v157
	v_cndmask_b32_e64 v152, v152, v164, s13
	v_cndmask_b32_e64 v132, v132, v157, s4
	;; [unrolled: 1-line block ×3, first 2 shown]
	v_perm_b32 v134, v133, v143, 0x5040100
	v_perm_b32 v133, v136, v167, 0x5040100
	v_cndmask_b32_e64 v136, v142, v163, s9
	v_cndmask_b32_e64 v142, v152, v161, s15
	;; [unrolled: 1-line block ×27, first 2 shown]
	v_cndmask_b32_e32 v148, v148, v164, vcc_lo
	v_lshrrev_b32_e32 v143, 16, v161
	v_cndmask_b32_e64 v132, v132, v157, s25
	v_cndmask_b32_e64 v150, v150, v157, s29
	;; [unrolled: 1-line block ×11, first 2 shown]
	v_perm_b32 v132, v144, v166, 0x5040100
	v_perm_b32 v153, v151, v150, 0x5040100
	;; [unrolled: 1-line block ×5, first 2 shown]
	s_lshl_b32 s8, s35, 4
	s_mov_b32 s3, exec_lo
	ds_store_b128 v131, v[132:135]
	ds_store_b128 v131, v[150:153] offset:1024
	v_cmpx_gt_u32_e32 16, v0
	s_cbranch_execz .LBB401_78
; %bb.77:
	v_or_b32_e32 v131, s31, v0
	s_load_b128 s[4:7], s[0:1], 0x58
	s_delay_alu instid0(VALU_DEP_1) | instskip(NEXT) | instid1(VALU_DEP_1)
	v_mad_u64_u32 v[132:133], null, s8, s30, v[131:132]
	v_mad_u64_u32 v[133:134], null, v132, s34, s[14:15]
	s_delay_alu instid0(VALU_DEP_1) | instskip(NEXT) | instid1(VALU_DEP_1)
	v_ashrrev_i32_e32 v134, 31, v133
	v_lshlrev_b64 v[131:132], 2, v[133:134]
	s_waitcnt lgkmcnt(0)
	s_delay_alu instid0(VALU_DEP_1) | instskip(NEXT) | instid1(VALU_DEP_2)
	v_add_co_u32 v133, vcc_lo, s6, v131
	v_add_co_ci_u32_e32 v134, vcc_lo, s7, v132, vcc_lo
	v_add_co_u32 v131, vcc_lo, s4, v131
	v_add_co_ci_u32_e32 v132, vcc_lo, s5, v132, vcc_lo
	global_store_b32 v[133:134], v129, off
	global_store_b32 v[131:132], v130, off
.LBB401_78:
	s_or_b32 exec_lo, exec_lo, s3
	s_waitcnt lgkmcnt(0)
	s_waitcnt_vscnt null, 0x0
	s_barrier
	buffer_gl0_inv
	ds_load_b128 v[150:153], v149
	ds_load_b128 v[154:157], v149 offset:16
	ds_load_b128 v[162:165], v149 offset:1040
	;; [unrolled: 1-line block ×3, first 2 shown]
	v_mov_b32_e32 v129, 0
	ds_load_b128 v[170:173], v149 offset:2064
	ds_load_b128 v[166:169], v149 offset:2048
	;; [unrolled: 1-line block ×6, first 2 shown]
	v_mov_b32_e32 v130, v129
	v_mov_b32_e32 v131, v129
	;; [unrolled: 1-line block ×7, first 2 shown]
	s_waitcnt lgkmcnt(8)
	s_delay_alu instid0(VALU_DEP_1)
	v_wmma_f32_16x16x16_bf16 v[129:136], v[121:128], v[150:157], v[129:136]
	ds_load_b128 v[125:128], v149 offset:5136
	ds_load_b128 v[121:124], v149 offset:5120
	s_waitcnt lgkmcnt(8)
	v_wmma_f32_16x16x16_bf16 v[129:136], v[113:120], v[158:165], v[129:136]
	ds_load_b128 v[117:120], v149 offset:6160
	ds_load_b128 v[113:116], v149 offset:6144
	s_waitcnt lgkmcnt(8)
	;; [unrolled: 4-line block ×8, first 2 shown]
	v_wmma_f32_16x16x16_bf16 v[129:136], v[65:72], v[97:104], v[129:136]
	s_waitcnt lgkmcnt(6)
	s_delay_alu instid0(VALU_DEP_1)
	v_wmma_f32_16x16x16_bf16 v[129:136], v[49:56], v[89:96], v[129:136]
	ds_load_b128 v[53:56], v149 offset:13328
	ds_load_b128 v[49:52], v149 offset:13312
	s_waitcnt lgkmcnt(6)
	v_wmma_f32_16x16x16_bf16 v[129:136], v[41:48], v[81:88], v[129:136]
	ds_load_b128 v[45:48], v149 offset:14352
	ds_load_b128 v[41:44], v149 offset:14336
	s_waitcnt lgkmcnt(6)
	;; [unrolled: 4-line block ×3, first 2 shown]
	v_wmma_f32_16x16x16_bf16 v[129:136], v[1:8], v[57:64], v[129:136]
	s_waitcnt lgkmcnt(4)
	s_delay_alu instid0(VALU_DEP_1) | instskip(SKIP_1) | instid1(VALU_DEP_1)
	v_wmma_f32_16x16x16_bf16 v[129:136], v[25:32], v[49:56], v[129:136]
	s_waitcnt lgkmcnt(2)
	v_wmma_f32_16x16x16_bf16 v[129:136], v[33:40], v[41:48], v[129:136]
	s_waitcnt lgkmcnt(0)
	s_delay_alu instid0(VALU_DEP_1) | instskip(NEXT) | instid1(VALU_DEP_1)
	v_wmma_f32_16x16x16_bf16 v[129:136], v[9:16], v[17:24], v[129:136]
	v_and_b32_e32 v1, 0x7f800000, v129
	s_delay_alu instid0(VALU_DEP_1) | instskip(SKIP_1) | instid1(SALU_CYCLE_1)
	v_cmp_ne_u32_e32 vcc_lo, 0x7f800000, v1
                                        ; implicit-def: $vgpr1
	s_and_saveexec_b32 s3, vcc_lo
	s_xor_b32 s3, exec_lo, s3
; %bb.79:
	v_bfe_u32 v1, v129, 16, 1
	s_delay_alu instid0(VALU_DEP_1)
	v_add3_u32 v1, v129, v1, 0x7fff
; %bb.80:
	s_and_not1_saveexec_b32 s3, s3
; %bb.81:
	v_and_b32_e32 v1, 0xffff, v129
	v_or_b32_e32 v2, 0x10000, v129
	s_delay_alu instid0(VALU_DEP_2) | instskip(NEXT) | instid1(VALU_DEP_2)
	v_cmp_eq_u32_e32 vcc_lo, 0, v1
	v_cndmask_b32_e32 v1, v2, v129, vcc_lo
; %bb.82:
	s_or_b32 exec_lo, exec_lo, s3
	v_and_b32_e32 v2, 0x7f800000, v130
	s_delay_alu instid0(VALU_DEP_1) | instskip(SKIP_1) | instid1(SALU_CYCLE_1)
	v_cmp_ne_u32_e32 vcc_lo, 0x7f800000, v2
                                        ; implicit-def: $vgpr2
	s_and_saveexec_b32 s3, vcc_lo
	s_xor_b32 s3, exec_lo, s3
; %bb.83:
	v_bfe_u32 v2, v130, 16, 1
	s_delay_alu instid0(VALU_DEP_1)
	v_add3_u32 v2, v130, v2, 0x7fff
; %bb.84:
	s_and_not1_saveexec_b32 s3, s3
; %bb.85:
	v_and_b32_e32 v2, 0xffff, v130
	v_or_b32_e32 v3, 0x10000, v130
	s_delay_alu instid0(VALU_DEP_2) | instskip(NEXT) | instid1(VALU_DEP_2)
	v_cmp_eq_u32_e32 vcc_lo, 0, v2
	v_cndmask_b32_e32 v2, v3, v130, vcc_lo
; %bb.86:
	s_or_b32 exec_lo, exec_lo, s3
	v_and_b32_e32 v3, 0x7f800000, v131
	s_delay_alu instid0(VALU_DEP_1) | instskip(SKIP_1) | instid1(SALU_CYCLE_1)
	v_cmp_ne_u32_e32 vcc_lo, 0x7f800000, v3
                                        ; implicit-def: $vgpr3
	s_and_saveexec_b32 s3, vcc_lo
	s_xor_b32 s3, exec_lo, s3
; %bb.87:
	v_bfe_u32 v3, v131, 16, 1
	s_delay_alu instid0(VALU_DEP_1)
	v_add3_u32 v3, v131, v3, 0x7fff
; %bb.88:
	s_and_not1_saveexec_b32 s3, s3
; %bb.89:
	v_and_b32_e32 v3, 0xffff, v131
	v_or_b32_e32 v4, 0x10000, v131
	s_delay_alu instid0(VALU_DEP_2) | instskip(NEXT) | instid1(VALU_DEP_2)
	v_cmp_eq_u32_e32 vcc_lo, 0, v3
	v_cndmask_b32_e32 v3, v4, v131, vcc_lo
; %bb.90:
	s_or_b32 exec_lo, exec_lo, s3
	v_and_b32_e32 v4, 0x7f800000, v132
	s_delay_alu instid0(VALU_DEP_1) | instskip(SKIP_1) | instid1(SALU_CYCLE_1)
	v_cmp_ne_u32_e32 vcc_lo, 0x7f800000, v4
                                        ; implicit-def: $vgpr4
	s_and_saveexec_b32 s3, vcc_lo
	s_xor_b32 s3, exec_lo, s3
; %bb.91:
	v_bfe_u32 v4, v132, 16, 1
	s_delay_alu instid0(VALU_DEP_1)
	v_add3_u32 v4, v132, v4, 0x7fff
; %bb.92:
	s_and_not1_saveexec_b32 s3, s3
; %bb.93:
	v_and_b32_e32 v4, 0xffff, v132
	v_or_b32_e32 v5, 0x10000, v132
	s_delay_alu instid0(VALU_DEP_2) | instskip(NEXT) | instid1(VALU_DEP_2)
	v_cmp_eq_u32_e32 vcc_lo, 0, v4
	v_cndmask_b32_e32 v4, v5, v132, vcc_lo
; %bb.94:
	s_or_b32 exec_lo, exec_lo, s3
	v_and_b32_e32 v5, 0x7f800000, v133
	s_delay_alu instid0(VALU_DEP_1) | instskip(SKIP_1) | instid1(SALU_CYCLE_1)
	v_cmp_ne_u32_e32 vcc_lo, 0x7f800000, v5
                                        ; implicit-def: $vgpr5
	s_and_saveexec_b32 s3, vcc_lo
	s_xor_b32 s3, exec_lo, s3
; %bb.95:
	v_bfe_u32 v5, v133, 16, 1
	s_delay_alu instid0(VALU_DEP_1)
	v_add3_u32 v5, v133, v5, 0x7fff
; %bb.96:
	s_and_not1_saveexec_b32 s3, s3
; %bb.97:
	v_and_b32_e32 v5, 0xffff, v133
	v_or_b32_e32 v6, 0x10000, v133
	s_delay_alu instid0(VALU_DEP_2) | instskip(NEXT) | instid1(VALU_DEP_2)
	v_cmp_eq_u32_e32 vcc_lo, 0, v5
	v_cndmask_b32_e32 v5, v6, v133, vcc_lo
; %bb.98:
	s_or_b32 exec_lo, exec_lo, s3
	v_and_b32_e32 v6, 0x7f800000, v134
	s_delay_alu instid0(VALU_DEP_1) | instskip(SKIP_1) | instid1(SALU_CYCLE_1)
	v_cmp_ne_u32_e32 vcc_lo, 0x7f800000, v6
                                        ; implicit-def: $vgpr6
	s_and_saveexec_b32 s3, vcc_lo
	s_xor_b32 s3, exec_lo, s3
; %bb.99:
	v_bfe_u32 v6, v134, 16, 1
	s_delay_alu instid0(VALU_DEP_1)
	v_add3_u32 v6, v134, v6, 0x7fff
; %bb.100:
	s_and_not1_saveexec_b32 s3, s3
; %bb.101:
	v_and_b32_e32 v6, 0xffff, v134
	v_or_b32_e32 v7, 0x10000, v134
	s_delay_alu instid0(VALU_DEP_2) | instskip(NEXT) | instid1(VALU_DEP_2)
	v_cmp_eq_u32_e32 vcc_lo, 0, v6
	v_cndmask_b32_e32 v6, v7, v134, vcc_lo
; %bb.102:
	s_or_b32 exec_lo, exec_lo, s3
	v_and_b32_e32 v7, 0x7f800000, v135
	s_delay_alu instid0(VALU_DEP_1) | instskip(SKIP_1) | instid1(SALU_CYCLE_1)
	v_cmp_ne_u32_e32 vcc_lo, 0x7f800000, v7
                                        ; implicit-def: $vgpr7
	s_and_saveexec_b32 s3, vcc_lo
	s_xor_b32 s3, exec_lo, s3
; %bb.103:
	v_bfe_u32 v7, v135, 16, 1
	s_delay_alu instid0(VALU_DEP_1)
	v_add3_u32 v7, v135, v7, 0x7fff
; %bb.104:
	s_and_not1_saveexec_b32 s3, s3
; %bb.105:
	v_and_b32_e32 v7, 0xffff, v135
	v_or_b32_e32 v8, 0x10000, v135
	s_delay_alu instid0(VALU_DEP_2) | instskip(NEXT) | instid1(VALU_DEP_2)
	v_cmp_eq_u32_e32 vcc_lo, 0, v7
	v_cndmask_b32_e32 v7, v8, v135, vcc_lo
; %bb.106:
	s_or_b32 exec_lo, exec_lo, s3
	v_and_b32_e32 v8, 0x7f800000, v136
	s_delay_alu instid0(VALU_DEP_1) | instskip(SKIP_1) | instid1(SALU_CYCLE_1)
	v_cmp_ne_u32_e32 vcc_lo, 0x7f800000, v8
                                        ; implicit-def: $vgpr8
	s_and_saveexec_b32 s3, vcc_lo
	s_xor_b32 s3, exec_lo, s3
; %bb.107:
	v_bfe_u32 v8, v136, 16, 1
	s_delay_alu instid0(VALU_DEP_1)
	v_add3_u32 v8, v136, v8, 0x7fff
                                        ; implicit-def: $vgpr129_vgpr130_vgpr131_vgpr132_vgpr133_vgpr134_vgpr135_vgpr136
; %bb.108:
	s_and_not1_saveexec_b32 s3, s3
; %bb.109:
	v_and_b32_e32 v8, 0xffff, v136
	v_or_b32_e32 v9, 0x10000, v136
	s_delay_alu instid0(VALU_DEP_2) | instskip(NEXT) | instid1(VALU_DEP_2)
	v_cmp_eq_u32_e32 vcc_lo, 0, v8
	v_cndmask_b32_e32 v8, v9, v136, vcc_lo
; %bb.110:
	s_or_b32 exec_lo, exec_lo, s3
	s_delay_alu instid0(VALU_DEP_1)
	v_perm_b32 v7, v8, v7, 0x7060302
	v_perm_b32 v6, v6, v5, 0x7060302
	;; [unrolled: 1-line block ×4, first 2 shown]
	v_lshl_or_b32 v9, v146, 4, v140
	s_barrier
	buffer_gl0_inv
	v_cmp_eq_u32_e32 vcc_lo, 1, v138
	ds_store_b128 v9, v[4:7]
	s_waitcnt lgkmcnt(0)
	s_barrier
	buffer_gl0_inv
	ds_load_b128 v[1:4], v140
	ds_load_b128 v[5:8], v140 offset:16
	v_cmp_eq_u32_e64 s4, 2, v138
	v_cmp_eq_u32_e64 s3, 1, v139
	;; [unrolled: 1-line block ×5, first 2 shown]
	s_waitcnt lgkmcnt(1)
	v_lshrrev_b32_e32 v10, 16, v1
	s_waitcnt lgkmcnt(0)
	v_lshrrev_b32_e32 v14, 16, v5
	v_lshrrev_b32_e32 v15, 16, v6
	;; [unrolled: 1-line block ×4, first 2 shown]
	v_cndmask_b32_e64 v20, v1, v10, s3
	v_cndmask_b32_e32 v19, v5, v14, vcc_lo
	v_cndmask_b32_e64 v21, v5, v14, s3
	v_lshrrev_b32_e32 v16, 16, v7
	v_cmp_eq_u32_e64 s3, 1, v137
	v_lshrrev_b32_e32 v13, 16, v4
	v_cndmask_b32_e64 v19, v19, v6, s4
	v_lshrrev_b32_e32 v17, 16, v8
	s_delay_alu instid0(VALU_DEP_4) | instskip(SKIP_1) | instid1(VALU_DEP_4)
	v_cndmask_b32_e64 v22, v1, v10, s3
	v_cndmask_b32_e64 v23, v5, v14, s3
	;; [unrolled: 1-line block ×3, first 2 shown]
	v_cndmask_b32_e32 v18, v1, v10, vcc_lo
	v_cmp_eq_u32_e32 vcc_lo, 2, v139
	v_cmp_eq_u32_e64 s3, 2, v141
	v_cndmask_b32_e64 v22, v22, v2, s7
	v_cndmask_b32_e32 v20, v20, v2, vcc_lo
	v_cndmask_b32_e32 v21, v21, v6, vcc_lo
	v_cmp_eq_u32_e32 vcc_lo, 4, v138
	v_cndmask_b32_e32 v19, v19, v7, vcc_lo
	v_cndmask_b32_e64 v18, v18, v2, s4
	v_cmp_eq_u32_e64 s4, 3, v139
	s_delay_alu instid0(VALU_DEP_2) | instskip(NEXT) | instid1(VALU_DEP_2)
	v_cndmask_b32_e64 v18, v18, v11, s5
	v_cndmask_b32_e64 v21, v21, v15, s4
	v_cmp_eq_u32_e64 s5, 5, v138
	s_delay_alu instid0(VALU_DEP_3) | instskip(SKIP_1) | instid1(VALU_DEP_3)
	v_cndmask_b32_e32 v18, v18, v3, vcc_lo
	v_cmp_eq_u32_e32 vcc_lo, 4, v139
	v_cndmask_b32_e64 v19, v19, v16, s5
	s_delay_alu instid0(VALU_DEP_3) | instskip(SKIP_4) | instid1(VALU_DEP_3)
	v_cndmask_b32_e64 v18, v18, v12, s5
	v_cndmask_b32_e32 v21, v21, v7, vcc_lo
	v_cndmask_b32_e64 v20, v20, v11, s4
	v_cmp_eq_u32_e64 s4, 5, v139
	v_cmp_eq_u32_e64 s5, 6, v138
	v_cndmask_b32_e32 v20, v20, v3, vcc_lo
	s_delay_alu instid0(VALU_DEP_3) | instskip(SKIP_1) | instid1(VALU_DEP_4)
	v_cndmask_b32_e64 v21, v21, v16, s4
	v_cmp_eq_u32_e32 vcc_lo, 6, v139
	v_cndmask_b32_e64 v18, v18, v4, s5
	v_cndmask_b32_e64 v19, v19, v8, s5
	;; [unrolled: 1-line block ×3, first 2 shown]
	v_cmp_eq_u32_e64 s4, 1, v141
	v_cmp_eq_u32_e64 s5, 7, v138
	s_delay_alu instid0(VALU_DEP_3) | instskip(NEXT) | instid1(VALU_DEP_3)
	v_cndmask_b32_e32 v20, v20, v4, vcc_lo
	v_cndmask_b32_e64 v1, v1, v10, s4
	v_cndmask_b32_e64 v5, v5, v14, s4
	v_cmp_eq_u32_e64 s4, 3, v137
	v_cndmask_b32_e64 v14, v23, v6, s7
	v_cmp_eq_u32_e64 s7, 3, v141
	v_cndmask_b32_e64 v1, v1, v2, s3
	v_cndmask_b32_e64 v2, v5, v6, s3
	v_cndmask_b32_e64 v10, v22, v11, s4
	v_cmp_eq_u32_e64 s3, 4, v137
	v_cndmask_b32_e64 v6, v14, v15, s4
	v_cndmask_b32_e64 v1, v1, v11, s7
	v_cmp_eq_u32_e64 s4, 4, v141
	v_cndmask_b32_e64 v2, v2, v15, s7
	v_cndmask_b32_e64 v5, v10, v3, s3
	;; [unrolled: 3-line block ×3, first 2 shown]
	v_cndmask_b32_e64 v2, v2, v7, s4
	v_cmp_eq_u32_e64 s3, 5, v141
	v_cndmask_b32_e64 v5, v5, v12, s7
	v_cmp_eq_u32_e64 s4, 6, v137
	;; [unrolled: 2-line block ×3, first 2 shown]
	v_cndmask_b32_e64 v1, v1, v12, s3
	v_cndmask_b32_e64 v2, v2, v16, s3
	;; [unrolled: 1-line block ×4, first 2 shown]
	v_cmp_eq_u32_e64 s3, 7, v141
	v_cndmask_b32_e64 v1, v1, v4, s7
	v_cndmask_b32_e64 v2, v2, v8, s7
	v_cmp_eq_u32_e64 s4, 7, v137
	v_cndmask_b32_e32 v4, v21, v8, vcc_lo
	v_cndmask_b32_e64 v18, v18, v13, s5
	v_cndmask_b32_e64 v20, v20, v13, s6
	;; [unrolled: 1-line block ×8, first 2 shown]
	v_cmp_gt_u32_e32 vcc_lo, 32, v0
	v_perm_b32 v4, v2, v1, 0x5040100
	v_perm_b32 v3, v3, v5, 0x5040100
	;; [unrolled: 1-line block ×4, first 2 shown]
	s_and_b32 s2, vcc_lo, s2
	ds_store_b128 v9, v[1:4]
	s_waitcnt lgkmcnt(0)
	s_barrier
	buffer_gl0_inv
	s_and_saveexec_b32 s3, s2
	s_cbranch_execz .LBB401_2
; %bb.111:
	s_load_b64 s[0:1], s[0:1], 0x68
	v_lshlrev_b32_e32 v0, 10, v0
	s_lshl_b32 s4, s34, 6
	v_or_b32_e32 v23, s31, v146
	s_mul_i32 s2, s4, s30
	v_lshlrev_b32_e32 v1, 4, v147
	v_lshlrev_b32_e32 v2, 6, v146
	s_mul_i32 s2, s2, s8
	v_and_b32_e32 v0, 0x3800, v0
	v_mul_lo_u32 v8, v23, s4
	s_ashr_i32 s3, s2, 31
	v_or_b32_e32 v3, 2, v23
	s_lshl_b64 s[2:3], s[2:3], 1
	v_or3_b32 v27, v0, v1, v2
	v_or_b32_e32 v11, 4, v23
	v_or_b32_e32 v18, 6, v23
	v_mul_lo_u32 v10, v3, s4
	v_ashrrev_i32_e32 v9, 31, v8
	ds_load_b128 v[0:3], v27
	ds_load_b128 v[4:7], v27 offset:128
	v_mul_lo_u32 v12, v11, s4
	s_waitcnt lgkmcnt(0)
	s_add_u32 s2, s0, s2
	s_addc_u32 s3, s1, s3
	s_lshl_b32 s0, s14, 6
	v_lshlrev_b64 v[8:9], 1, v[8:9]
	s_ashr_i32 s1, s0, 31
	v_ashrrev_i32_e32 v11, 31, v10
	s_lshl_b64 s[0:1], s[0:1], 1
	v_ashrrev_i32_e32 v13, 31, v12
	s_add_u32 s0, s2, s0
	s_addc_u32 s1, s3, s1
	v_add_co_u32 v30, s0, s0, v145
	s_delay_alu instid0(VALU_DEP_1) | instskip(SKIP_1) | instid1(VALU_DEP_3)
	v_add_co_ci_u32_e64 v31, null, s1, 0, s0
	v_lshlrev_b64 v[16:17], 1, v[10:11]
	v_add_co_u32 v14, vcc_lo, v30, v8
	s_delay_alu instid0(VALU_DEP_3)
	v_add_co_ci_u32_e32 v15, vcc_lo, v31, v9, vcc_lo
	ds_load_b128 v[8:11], v27 offset:256
	v_mul_lo_u32 v18, v18, s4
	v_or_b32_e32 v19, 8, v23
	v_add_co_u32 v16, vcc_lo, v30, v16
	global_store_b128 v[14:15], v[0:3], off
	v_lshlrev_b64 v[0:1], 1, v[12:13]
	v_add_co_ci_u32_e32 v17, vcc_lo, v31, v17, vcc_lo
	v_mul_lo_u32 v12, v19, s4
	v_ashrrev_i32_e32 v19, 31, v18
	v_or_b32_e32 v14, 10, v23
	global_store_b128 v[16:17], v[4:7], off
	v_add_co_u32 v4, vcc_lo, v30, v0
	v_add_co_ci_u32_e32 v5, vcc_lo, v31, v1, vcc_lo
	ds_load_b128 v[0:3], v27 offset:384
	v_ashrrev_i32_e32 v13, 31, v12
	v_lshlrev_b64 v[6:7], 1, v[18:19]
	v_mul_lo_u32 v14, v14, s4
	s_waitcnt lgkmcnt(1)
	global_store_b128 v[4:5], v[8:11], off
	v_or_b32_e32 v8, 12, v23
	v_lshlrev_b64 v[4:5], 1, v[12:13]
	v_add_co_u32 v20, vcc_lo, v30, v6
	v_or_b32_e32 v6, 14, v23
	v_ashrrev_i32_e32 v15, 31, v14
	v_mul_lo_u32 v22, v8, s4
	v_add_co_ci_u32_e32 v21, vcc_lo, v31, v7, vcc_lo
	v_add_co_u32 v24, vcc_lo, v30, v4
	v_mul_lo_u32 v26, v6, s4
	v_add_co_ci_u32_e32 v25, vcc_lo, v31, v5, vcc_lo
	v_lshlrev_b64 v[28:29], 1, v[14:15]
	ds_load_b128 v[4:7], v27 offset:512
	ds_load_b128 v[8:11], v27 offset:640
	;; [unrolled: 1-line block ×4, first 2 shown]
	v_ashrrev_i32_e32 v23, 31, v22
	v_ashrrev_i32_e32 v27, 31, v26
	v_add_co_u32 v28, vcc_lo, v30, v28
	s_delay_alu instid0(VALU_DEP_3) | instskip(SKIP_1) | instid1(VALU_DEP_4)
	v_lshlrev_b64 v[22:23], 1, v[22:23]
	v_add_co_ci_u32_e32 v29, vcc_lo, v31, v29, vcc_lo
	v_lshlrev_b64 v[26:27], 1, v[26:27]
	s_delay_alu instid0(VALU_DEP_3) | instskip(NEXT) | instid1(VALU_DEP_4)
	v_add_co_u32 v22, vcc_lo, v30, v22
	v_add_co_ci_u32_e32 v23, vcc_lo, v31, v23, vcc_lo
	s_delay_alu instid0(VALU_DEP_3) | instskip(NEXT) | instid1(VALU_DEP_4)
	v_add_co_u32 v26, vcc_lo, v30, v26
	v_add_co_ci_u32_e32 v27, vcc_lo, v31, v27, vcc_lo
	s_waitcnt lgkmcnt(4)
	global_store_b128 v[20:21], v[0:3], off
	s_waitcnt lgkmcnt(3)
	global_store_b128 v[24:25], v[4:7], off
	;; [unrolled: 2-line block ×5, first 2 shown]
	s_nop 0
	s_sendmsg sendmsg(MSG_DEALLOC_VGPRS)
	s_endpgm
	.section	.rodata,"a",@progbits
	.p2align	6, 0x0
	.amdhsa_kernel _Z39paged_attention_ll4mi_QKV_mfma16_kernelI14__hip_bfloat16S0_LN4vllm18Fp8KVCacheDataTypeE0EhLi16ELi64ELi256ELb1ELi16EL8MFMAType0EEvPKT_PKT0_S9_ifPKiSB_SB_iPKfiiiPfSE_PS4_PT2_iSD_SD_
		.amdhsa_group_segment_fixed_size 17472
		.amdhsa_private_segment_fixed_size 0
		.amdhsa_kernarg_size 400
		.amdhsa_user_sgpr_count 13
		.amdhsa_user_sgpr_dispatch_ptr 0
		.amdhsa_user_sgpr_queue_ptr 0
		.amdhsa_user_sgpr_kernarg_segment_ptr 1
		.amdhsa_user_sgpr_dispatch_id 0
		.amdhsa_user_sgpr_private_segment_size 0
		.amdhsa_wavefront_size32 1
		.amdhsa_uses_dynamic_stack 0
		.amdhsa_enable_private_segment 0
		.amdhsa_system_sgpr_workgroup_id_x 1
		.amdhsa_system_sgpr_workgroup_id_y 1
		.amdhsa_system_sgpr_workgroup_id_z 1
		.amdhsa_system_sgpr_workgroup_info 0
		.amdhsa_system_vgpr_workitem_id 0
		.amdhsa_next_free_vgpr 198
		.amdhsa_next_free_sgpr 52
		.amdhsa_reserve_vcc 1
		.amdhsa_float_round_mode_32 0
		.amdhsa_float_round_mode_16_64 0
		.amdhsa_float_denorm_mode_32 3
		.amdhsa_float_denorm_mode_16_64 3
		.amdhsa_dx10_clamp 1
		.amdhsa_ieee_mode 1
		.amdhsa_fp16_overflow 0
		.amdhsa_workgroup_processor_mode 1
		.amdhsa_memory_ordered 1
		.amdhsa_forward_progress 0
		.amdhsa_shared_vgpr_count 0
		.amdhsa_exception_fp_ieee_invalid_op 0
		.amdhsa_exception_fp_denorm_src 0
		.amdhsa_exception_fp_ieee_div_zero 0
		.amdhsa_exception_fp_ieee_overflow 0
		.amdhsa_exception_fp_ieee_underflow 0
		.amdhsa_exception_fp_ieee_inexact 0
		.amdhsa_exception_int_div_zero 0
	.end_amdhsa_kernel
	.section	.text._Z39paged_attention_ll4mi_QKV_mfma16_kernelI14__hip_bfloat16S0_LN4vllm18Fp8KVCacheDataTypeE0EhLi16ELi64ELi256ELb1ELi16EL8MFMAType0EEvPKT_PKT0_S9_ifPKiSB_SB_iPKfiiiPfSE_PS4_PT2_iSD_SD_,"axG",@progbits,_Z39paged_attention_ll4mi_QKV_mfma16_kernelI14__hip_bfloat16S0_LN4vllm18Fp8KVCacheDataTypeE0EhLi16ELi64ELi256ELb1ELi16EL8MFMAType0EEvPKT_PKT0_S9_ifPKiSB_SB_iPKfiiiPfSE_PS4_PT2_iSD_SD_,comdat
.Lfunc_end401:
	.size	_Z39paged_attention_ll4mi_QKV_mfma16_kernelI14__hip_bfloat16S0_LN4vllm18Fp8KVCacheDataTypeE0EhLi16ELi64ELi256ELb1ELi16EL8MFMAType0EEvPKT_PKT0_S9_ifPKiSB_SB_iPKfiiiPfSE_PS4_PT2_iSD_SD_, .Lfunc_end401-_Z39paged_attention_ll4mi_QKV_mfma16_kernelI14__hip_bfloat16S0_LN4vllm18Fp8KVCacheDataTypeE0EhLi16ELi64ELi256ELb1ELi16EL8MFMAType0EEvPKT_PKT0_S9_ifPKiSB_SB_iPKfiiiPfSE_PS4_PT2_iSD_SD_
                                        ; -- End function
	.section	.AMDGPU.csdata,"",@progbits
; Kernel info:
; codeLenInByte = 10196
; NumSgprs: 54
; NumVgprs: 198
; ScratchSize: 0
; MemoryBound: 0
; FloatMode: 240
; IeeeMode: 1
; LDSByteSize: 17472 bytes/workgroup (compile time only)
; SGPRBlocks: 6
; VGPRBlocks: 24
; NumSGPRsForWavesPerEU: 54
; NumVGPRsForWavesPerEU: 198
; Occupancy: 7
; WaveLimiterHint : 1
; COMPUTE_PGM_RSRC2:SCRATCH_EN: 0
; COMPUTE_PGM_RSRC2:USER_SGPR: 13
; COMPUTE_PGM_RSRC2:TRAP_HANDLER: 0
; COMPUTE_PGM_RSRC2:TGID_X_EN: 1
; COMPUTE_PGM_RSRC2:TGID_Y_EN: 1
; COMPUTE_PGM_RSRC2:TGID_Z_EN: 1
; COMPUTE_PGM_RSRC2:TIDIG_COMP_CNT: 0
	.section	.text._Z35paged_attention_ll4mi_reduce_kernelI14__hip_bfloat16hLi64ELi64ELi256ELi1EEvPT0_PKfS4_PKT_PKiS9_iS4_,"axG",@progbits,_Z35paged_attention_ll4mi_reduce_kernelI14__hip_bfloat16hLi64ELi64ELi256ELi1EEvPT0_PKfS4_PKT_PKiS9_iS4_,comdat
	.protected	_Z35paged_attention_ll4mi_reduce_kernelI14__hip_bfloat16hLi64ELi64ELi256ELi1EEvPT0_PKfS4_PKT_PKiS9_iS4_ ; -- Begin function _Z35paged_attention_ll4mi_reduce_kernelI14__hip_bfloat16hLi64ELi64ELi256ELi1EEvPT0_PKfS4_PKT_PKiS9_iS4_
	.globl	_Z35paged_attention_ll4mi_reduce_kernelI14__hip_bfloat16hLi64ELi64ELi256ELi1EEvPT0_PKfS4_PKT_PKiS9_iS4_
	.p2align	8
	.type	_Z35paged_attention_ll4mi_reduce_kernelI14__hip_bfloat16hLi64ELi64ELi256ELi1EEvPT0_PKfS4_PKT_PKiS9_iS4_,@function
_Z35paged_attention_ll4mi_reduce_kernelI14__hip_bfloat16hLi64ELi64ELi256ELi1EEvPT0_PKfS4_PKT_PKiS9_iS4_: ; @_Z35paged_attention_ll4mi_reduce_kernelI14__hip_bfloat16hLi64ELi64ELi256ELi1EEvPT0_PKfS4_PKT_PKiS9_iS4_
; %bb.0:
	s_load_b64 s[16:17], s[0:1], 0x28
	s_mov_b32 s12, s15
	s_waitcnt lgkmcnt(0)
	s_cmp_lg_u64 s[16:17], 0
	s_cselect_b32 s15, -1, 0
	s_delay_alu instid0(SALU_CYCLE_1)
	s_and_b32 vcc_lo, exec_lo, s15
	s_cbranch_vccz .LBB402_20
; %bb.1:
	s_add_i32 s2, s12, 1
	s_mov_b32 s3, 0
	s_delay_alu instid0(SALU_CYCLE_1) | instskip(SKIP_4) | instid1(SALU_CYCLE_1)
	s_lshl_b64 s[4:5], s[2:3], 2
	s_mov_b32 s13, s3
	s_add_u32 s4, s16, s4
	s_addc_u32 s5, s17, s5
	s_lshl_b64 s[6:7], s[12:13], 2
	s_add_u32 s6, s16, s6
	s_addc_u32 s7, s17, s7
	s_clause 0x1
	s_load_b32 s2, s[4:5], 0x0
	s_load_b32 s4, s[6:7], 0x0
	s_waitcnt lgkmcnt(0)
	s_sub_i32 s2, s2, s4
	s_delay_alu instid0(SALU_CYCLE_1)
	s_cmp_eq_u32 s2, 1
	s_cselect_b32 s2, -1, 0
	s_cbranch_execnz .LBB402_3
.LBB402_2:
	s_mov_b32 s13, 0
	s_mov_b32 s2, -1
.LBB402_3:
	s_delay_alu instid0(SALU_CYCLE_1)
	s_and_not1_b32 vcc_lo, exec_lo, s2
	s_cbranch_vccz .LBB402_5
; %bb.4:
	s_endpgm
.LBB402_5:
	s_clause 0x1
	s_load_b128 s[4:7], s[0:1], 0x18
	s_load_b32 s8, s[0:1], 0x30
	s_lshl_b64 s[18:19], s[12:13], 2
	s_waitcnt lgkmcnt(0)
	s_add_u32 s2, s6, s18
	s_addc_u32 s3, s7, s19
	s_mov_b32 s7, exec_lo
	s_load_b32 s23, s[2:3], 0x0
	s_load_b32 s22, s[0:1], 0x40
	s_waitcnt lgkmcnt(0)
	s_add_i32 s3, s23, 0xff
	s_delay_alu instid0(SALU_CYCLE_1) | instskip(NEXT) | instid1(SALU_CYCLE_1)
	s_ashr_i32 s2, s3, 31
	s_lshr_b32 s6, s2, 24
	s_mul_i32 s2, s12, s8
	s_add_i32 s3, s3, s6
	s_mul_i32 s6, s14, s8
	v_cmpx_lt_u32_e32 31, v0
	s_xor_b32 s7, exec_lo, s7
	s_delay_alu instid0(SALU_CYCLE_1)
	s_or_saveexec_b32 s24, s7
	v_mov_b32_e32 v1, s6
	s_ashr_i32 s3, s3, 8
	s_mul_i32 s20, s2, s22
	s_xor_b32 exec_lo, exec_lo, s24
	s_cbranch_execz .LBB402_9
; %bb.6:
	s_load_b128 s[8:11], s[0:1], 0x8
	s_mov_b32 s21, 0
	v_cmp_gt_i32_e32 vcc_lo, s3, v0
	s_lshl_b64 s[26:27], s[20:21], 2
	s_mov_b32 s7, s21
	s_waitcnt lgkmcnt(0)
	s_add_u32 s2, s10, s26
	s_addc_u32 s21, s11, s27
	s_lshl_b64 s[10:11], s[6:7], 2
	s_delay_alu instid0(SALU_CYCLE_1) | instskip(SKIP_2) | instid1(SALU_CYCLE_1)
	s_add_u32 s2, s2, s10
	s_addc_u32 s7, s21, s11
	s_add_i32 s21, s3, -1
	v_cndmask_b32_e32 v1, s21, v0, vcc_lo
	s_delay_alu instid0(VALU_DEP_1) | instskip(NEXT) | instid1(VALU_DEP_1)
	v_ashrrev_i32_e32 v2, 31, v1
	v_lshlrev_b64 v[1:2], 2, v[1:2]
	s_delay_alu instid0(VALU_DEP_1) | instskip(NEXT) | instid1(VALU_DEP_1)
	v_add_co_u32 v3, s2, s2, v1
	v_add_co_ci_u32_e64 v4, s2, s7, v2, s2
	s_add_u32 s2, s8, s26
	s_addc_u32 s7, s9, s27
	s_add_u32 s2, s2, s10
	global_load_b32 v3, v[3:4], off
	s_addc_u32 s7, s7, s11
	v_add_co_u32 v1, s2, s2, v1
	s_delay_alu instid0(VALU_DEP_1) | instskip(SKIP_2) | instid1(VALU_DEP_1)
	v_add_co_ci_u32_e64 v2, s2, s7, v2, s2
	global_load_b32 v1, v[1:2], off
	v_mbcnt_lo_u32_b32 v2, -1, 0
	v_xor_b32_e32 v4, 16, v2
	v_xor_b32_e32 v6, 8, v2
	;; [unrolled: 1-line block ×5, first 2 shown]
	v_cmp_gt_i32_e64 s2, 32, v4
	s_delay_alu instid0(VALU_DEP_1) | instskip(SKIP_1) | instid1(VALU_DEP_2)
	v_cndmask_b32_e64 v4, v2, v4, s2
	v_cmp_gt_i32_e64 s2, 32, v6
	v_lshlrev_b32_e32 v4, 2, v4
	s_delay_alu instid0(VALU_DEP_2) | instskip(SKIP_1) | instid1(VALU_DEP_2)
	v_cndmask_b32_e64 v6, v2, v6, s2
	v_cmp_gt_i32_e64 s2, 32, v8
	v_lshlrev_b32_e32 v6, 2, v6
	s_delay_alu instid0(VALU_DEP_2) | instskip(SKIP_1) | instid1(VALU_DEP_2)
	;; [unrolled: 4-line block ×3, first 2 shown]
	v_cndmask_b32_e64 v9, v2, v9, s2
	v_cmp_gt_i32_e64 s2, 32, v10
	v_lshlrev_b32_e32 v9, 2, v9
	s_delay_alu instid0(VALU_DEP_2) | instskip(SKIP_1) | instid1(VALU_DEP_1)
	v_cndmask_b32_e64 v2, v2, v10, s2
	s_waitcnt vmcnt(1)
	v_dual_max_f32 v7, v3, v3 :: v_dual_lshlrev_b32 v2, 2, v2
	ds_bpermute_b32 v5, v4, v3
	s_waitcnt lgkmcnt(0)
	v_max_f32_e32 v5, v5, v5
	s_delay_alu instid0(VALU_DEP_1) | instskip(SKIP_3) | instid1(VALU_DEP_1)
	v_max_f32_e32 v5, v7, v5
	ds_bpermute_b32 v7, v6, v5
	s_waitcnt lgkmcnt(0)
	v_max_f32_e32 v7, v7, v7
	v_max_f32_e32 v5, v5, v7
	ds_bpermute_b32 v7, v8, v5
	s_waitcnt lgkmcnt(0)
	v_max_f32_e32 v7, v7, v7
	s_delay_alu instid0(VALU_DEP_1) | instskip(SKIP_3) | instid1(VALU_DEP_1)
	v_max_f32_e32 v5, v5, v7
	ds_bpermute_b32 v7, v9, v5
	s_waitcnt lgkmcnt(0)
	v_max_f32_e32 v7, v7, v7
	v_max_f32_e32 v5, v5, v7
	ds_bpermute_b32 v7, v2, v5
	s_waitcnt lgkmcnt(0)
	v_max_f32_e32 v7, v7, v7
	s_delay_alu instid0(VALU_DEP_1) | instskip(NEXT) | instid1(VALU_DEP_1)
	v_max_f32_e32 v5, v5, v7
	v_sub_f32_e32 v3, v3, v5
	s_delay_alu instid0(VALU_DEP_1) | instskip(SKIP_1) | instid1(VALU_DEP_2)
	v_mul_f32_e32 v5, 0x3fb8aa3b, v3
	v_cmp_ngt_f32_e64 s2, 0xc2ce8ed0, v3
	v_fma_f32 v7, 0x3fb8aa3b, v3, -v5
	v_rndne_f32_e32 v10, v5
	s_delay_alu instid0(VALU_DEP_2) | instskip(NEXT) | instid1(VALU_DEP_2)
	v_fmamk_f32 v7, v3, 0x32a5705f, v7
	v_sub_f32_e32 v5, v5, v10
	s_delay_alu instid0(VALU_DEP_1) | instskip(SKIP_1) | instid1(VALU_DEP_2)
	v_add_f32_e32 v5, v5, v7
	v_cvt_i32_f32_e32 v7, v10
	v_exp_f32_e32 v5, v5
	s_waitcnt_depctr 0xfff
	v_ldexp_f32 v5, v5, v7
	s_delay_alu instid0(VALU_DEP_1) | instskip(SKIP_1) | instid1(VALU_DEP_1)
	v_cndmask_b32_e64 v5, 0, v5, s2
	v_cmp_nlt_f32_e64 s2, 0x42b17218, v3
	v_cndmask_b32_e64 v3, 0x7f800000, v5, s2
	s_mov_b32 s2, exec_lo
	s_delay_alu instid0(VALU_DEP_1) | instskip(SKIP_1) | instid1(VALU_DEP_1)
	v_cndmask_b32_e32 v3, 0, v3, vcc_lo
	s_waitcnt vmcnt(0)
	v_mul_f32_e32 v3, v3, v1
	ds_bpermute_b32 v1, v4, v3
	s_waitcnt lgkmcnt(0)
	v_add_f32_e32 v1, v3, v1
	ds_bpermute_b32 v4, v6, v1
	s_waitcnt lgkmcnt(0)
	v_add_f32_e32 v1, v1, v4
	;; [unrolled: 3-line block ×4, first 2 shown]
	v_lshlrev_b32_e32 v4, 2, v0
	ds_bpermute_b32 v2, v2, v1
	ds_store_b32 v4, v3
	v_cmpx_eq_u32_e32 0, v0
	s_cbranch_execz .LBB402_8
; %bb.7:
	s_waitcnt lgkmcnt(1)
	v_dual_add_f32 v1, v1, v2 :: v_dual_mov_b32 v2, 0
	ds_store_b32 v2, v1 offset:128
.LBB402_8:
	s_or_b32 exec_lo, exec_lo, s2
	v_mov_b32_e32 v1, s6
.LBB402_9:
	s_or_b32 exec_lo, exec_lo, s24
	s_lshl_b32 s6, s20, 6
	s_mov_b32 s7, 0
	s_waitcnt lgkmcnt(1)
	v_dual_mov_b32 v2, 0 :: v_dual_lshlrev_b32 v1, 6, v1
	s_lshl_b64 s[6:7], s[6:7], 1
	v_dual_mov_b32 v33, 0 :: v_dual_mov_b32 v34, 0
	s_add_u32 s9, s4, s6
	s_addc_u32 s33, s5, s7
	s_lshl_b32 s2, s3, 6
	v_lshlrev_b64 v[3:4], 1, v[1:2]
	s_sub_i32 s8, s2, 64
	s_cmp_lt_i32 s23, 1
	v_lshlrev_b32_e32 v1, 1, v0
	s_cselect_b32 s2, s8, 0
	v_mov_b32_e32 v35, 0
	s_ashr_i32 s3, s2, 31
	v_add_co_u32 v3, vcc_lo, s9, v3
	s_lshl_b64 s[2:3], s[2:3], 1
	s_cmpk_lt_i32 s23, 0x101
	v_add_co_ci_u32_e32 v4, vcc_lo, s33, v4, vcc_lo
	s_cselect_b32 s4, s8, 64
	v_add_co_u32 v3, vcc_lo, v3, v1
	s_ashr_i32 s5, s4, 31
	s_delay_alu instid0(VALU_DEP_2)
	v_add_co_ci_u32_e32 v4, vcc_lo, 0, v4, vcc_lo
	s_lshl_b64 s[4:5], s[4:5], 1
	s_cmpk_lt_i32 s23, 0x201
	v_add_co_u32 v5, vcc_lo, v3, s2
	s_cselect_b32 s6, s8, 0x80
	v_add_co_ci_u32_e32 v6, vcc_lo, s3, v4, vcc_lo
	s_ashr_i32 s7, s6, 31
	v_add_co_u32 v7, vcc_lo, v3, s4
	s_lshl_b64 s[6:7], s[6:7], 1
	s_cmpk_lt_i32 s23, 0x301
	v_add_co_ci_u32_e32 v8, vcc_lo, s5, v4, vcc_lo
	s_cselect_b32 s10, s8, 0xc0
	v_add_co_u32 v9, vcc_lo, v3, s6
	s_ashr_i32 s11, s10, 31
	v_add_co_ci_u32_e32 v10, vcc_lo, s7, v4, vcc_lo
	s_lshl_b64 s[10:11], s[10:11], 1
	s_cmpk_lt_i32 s23, 0x401
	v_add_co_u32 v14, vcc_lo, v3, s10
	s_cselect_b32 s20, s8, 0x100
	v_add_co_ci_u32_e32 v15, vcc_lo, s11, v4, vcc_lo
	s_ashr_i32 s21, s20, 31
	v_mov_b32_e32 v32, 0
	s_lshl_b64 s[20:21], s[20:21], 1
	s_cmpk_lt_i32 s23, 0x501
	v_add_co_u32 v16, vcc_lo, v3, s20
	s_cselect_b32 s24, s8, 0x140
	v_add_co_ci_u32_e32 v17, vcc_lo, s21, v4, vcc_lo
	s_ashr_i32 s25, s24, 31
	s_delay_alu instid0(SALU_CYCLE_1)
	s_lshl_b64 s[24:25], s[24:25], 1
	s_cmpk_lt_i32 s23, 0x601
	v_add_co_u32 v18, vcc_lo, v3, s24
	s_cselect_b32 s26, s8, 0x180
	v_add_co_ci_u32_e32 v19, vcc_lo, s25, v4, vcc_lo
	s_ashr_i32 s27, s26, 31
	s_delay_alu instid0(SALU_CYCLE_1)
	s_lshl_b64 s[26:27], s[26:27], 1
	s_cmpk_lt_i32 s23, 0x701
	v_add_co_u32 v20, vcc_lo, v3, s26
	s_cselect_b32 s28, s8, 0x1c0
	v_add_co_ci_u32_e32 v21, vcc_lo, s27, v4, vcc_lo
	s_ashr_i32 s29, s28, 31
	s_delay_alu instid0(SALU_CYCLE_1)
	s_lshl_b64 s[28:29], s[28:29], 1
	s_cmpk_lt_i32 s23, 0x801
	v_add_co_u32 v22, vcc_lo, v3, s28
	s_cselect_b32 s30, s8, 0x200
	v_add_co_ci_u32_e32 v23, vcc_lo, s29, v4, vcc_lo
	s_ashr_i32 s31, s30, 31
	s_clause 0x7
	global_load_u16 v13, v[5:6], off
	global_load_u16 v11, v[7:8], off
	;; [unrolled: 1-line block ×8, first 2 shown]
	s_lshl_b64 s[30:31], s[30:31], 1
	s_cmpk_lt_i32 s23, 0x901
	v_add_co_u32 v14, vcc_lo, v3, s30
	s_cselect_b32 s34, s8, 0x240
	v_add_co_ci_u32_e32 v15, vcc_lo, s31, v4, vcc_lo
	s_ashr_i32 s35, s34, 31
	s_delay_alu instid0(SALU_CYCLE_1)
	s_lshl_b64 s[34:35], s[34:35], 1
	s_cmpk_lt_i32 s23, 0xa01
	v_add_co_u32 v16, vcc_lo, v3, s34
	s_cselect_b32 s36, s8, 0x280
	v_add_co_ci_u32_e32 v17, vcc_lo, s35, v4, vcc_lo
	s_ashr_i32 s37, s36, 31
	s_delay_alu instid0(SALU_CYCLE_1)
	;; [unrolled: 7-line block ×7, first 2 shown]
	s_lshl_b64 s[2:3], s[4:5], 1
	s_cmpk_gt_i32 s23, 0x1000
	v_add_co_u32 v30, vcc_lo, v3, s2
	v_add_co_ci_u32_e32 v31, vcc_lo, s3, v4, vcc_lo
	s_clause 0x7
	global_load_u16 v19, v[14:15], off
	global_load_u16 v18, v[16:17], off
	;; [unrolled: 1-line block ×8, first 2 shown]
	v_dual_mov_b32 v20, 0 :: v_dual_mov_b32 v21, 0
	v_dual_mov_b32 v22, 0 :: v_dual_mov_b32 v23, 0
	;; [unrolled: 1-line block ×6, first 2 shown]
	s_cselect_b32 s2, -1, 0
	s_cmpk_lt_i32 s23, 0x1001
	s_waitcnt vmcnt(0) lgkmcnt(0)
	s_barrier
	buffer_gl0_inv
	s_cbranch_scc1 .LBB402_11
; %bb.10:
	s_cmpk_lt_u32 s23, 0x1101
	s_cselect_b32 s4, s8, 0x440
	s_delay_alu instid0(SALU_CYCLE_1) | instskip(NEXT) | instid1(SALU_CYCLE_1)
	s_ashr_i32 s5, s4, 31
	s_lshl_b64 s[4:5], s[4:5], 1
	s_cmpk_lt_u32 s23, 0x1201
	v_add_co_u32 v20, vcc_lo, v3, s4
	s_cselect_b32 s6, s8, 0x480
	v_add_co_ci_u32_e32 v21, vcc_lo, s5, v4, vcc_lo
	s_ashr_i32 s7, s6, 31
	s_delay_alu instid0(SALU_CYCLE_1)
	s_lshl_b64 s[6:7], s[6:7], 1
	s_cmpk_lt_u32 s23, 0x1301
	v_add_co_u32 v22, vcc_lo, v3, s6
	s_cselect_b32 s10, s8, 0x4c0
	v_add_co_ci_u32_e32 v23, vcc_lo, s7, v4, vcc_lo
	s_ashr_i32 s11, s10, 31
	s_delay_alu instid0(SALU_CYCLE_1)
	;; [unrolled: 7-line block ×6, first 2 shown]
	s_lshl_b64 s[28:29], s[28:29], 1
	s_cmpk_lt_u32 s23, 0x1801
	v_add_co_u32 v32, vcc_lo, v3, s28
	s_cselect_b32 s30, s8, 0x600
	v_add_co_ci_u32_e32 v33, vcc_lo, s29, v4, vcc_lo
	s_ashr_i32 s31, s30, 31
	s_clause 0x7
	global_load_u16 v20, v[20:21], off
	global_load_u16 v21, v[22:23], off
	;; [unrolled: 1-line block ×7, first 2 shown]
	global_load_u16 v27, v[3:4], off offset:2048
	s_lshl_b64 s[30:31], s[30:31], 1
	s_cmpk_lt_u32 s23, 0x1901
	v_add_co_u32 v34, vcc_lo, v3, s30
	s_cselect_b32 s34, s8, 0x640
	v_add_co_ci_u32_e32 v35, vcc_lo, s31, v4, vcc_lo
	s_ashr_i32 s35, s34, 31
	s_delay_alu instid0(SALU_CYCLE_1)
	s_lshl_b64 s[34:35], s[34:35], 1
	s_cmpk_lt_u32 s23, 0x1a01
	v_add_co_u32 v36, vcc_lo, v3, s34
	s_cselect_b32 s36, s8, 0x680
	v_add_co_ci_u32_e32 v37, vcc_lo, s35, v4, vcc_lo
	s_ashr_i32 s37, s36, 31
	s_delay_alu instid0(SALU_CYCLE_1)
	;; [unrolled: 7-line block ×6, first 2 shown]
	s_lshl_b64 s[4:5], s[20:21], 1
	s_cmpk_lt_u32 s23, 0x1f01
	v_add_co_u32 v46, vcc_lo, v3, s4
	s_cselect_b32 s6, s8, 0x7c0
	v_add_co_ci_u32_e32 v47, vcc_lo, s5, v4, vcc_lo
	s_ashr_i32 s7, s6, 31
	s_delay_alu instid0(SALU_CYCLE_1) | instskip(NEXT) | instid1(SALU_CYCLE_1)
	s_lshl_b64 s[4:5], s[6:7], 1
	v_add_co_u32 v3, vcc_lo, v3, s4
	v_add_co_ci_u32_e32 v4, vcc_lo, s5, v4, vcc_lo
	s_clause 0x7
	global_load_u16 v48, v[34:35], off
	global_load_u16 v36, v[36:37], off
	global_load_u16 v37, v[38:39], off
	global_load_u16 v38, v[40:41], off
	global_load_u16 v39, v[42:43], off
	global_load_u16 v40, v[44:45], off
	global_load_u16 v3, v[3:4], off
	global_load_u16 v4, v[46:47], off
	s_waitcnt vmcnt(15)
	v_lshlrev_b32_e32 v34, 16, v20
	s_waitcnt vmcnt(14)
	v_lshlrev_b32_e32 v33, 16, v21
	;; [unrolled: 2-line block ×16, first 2 shown]
.LBB402_11:
	ds_load_b128 v[36:39], v2
	ds_load_b128 v[40:43], v2 offset:16
	v_lshlrev_b32_e32 v3, 16, v13
	v_lshlrev_b32_e32 v7, 16, v7
	;; [unrolled: 1-line block ×4, first 2 shown]
	s_and_not1_b32 vcc_lo, exec_lo, s2
	s_waitcnt lgkmcnt(1)
	v_fma_f32 v3, v36, v3, 0
	v_lshlrev_b32_e32 v10, 16, v10
	v_lshlrev_b32_e32 v4, 16, v11
	s_delay_alu instid0(VALU_DEP_1) | instskip(SKIP_1) | instid1(VALU_DEP_2)
	v_fmac_f32_e32 v3, v37, v4
	v_lshlrev_b32_e32 v4, 16, v8
	v_dual_fmac_f32 v3, v38, v10 :: v_dual_lshlrev_b32 v8, 16, v19
	s_delay_alu instid0(VALU_DEP_1) | instskip(SKIP_3) | instid1(VALU_DEP_1)
	v_dual_fmac_f32 v3, v39, v4 :: v_dual_lshlrev_b32 v4, 16, v6
	ds_load_b128 v[36:39], v2 offset:32
	s_waitcnt lgkmcnt(1)
	v_fmac_f32_e32 v3, v40, v7
	v_fmac_f32_e32 v3, v41, v4
	s_delay_alu instid0(VALU_DEP_1) | instskip(SKIP_4) | instid1(VALU_DEP_2)
	v_fmac_f32_e32 v3, v42, v5
	ds_load_b128 v[4:7], v2 offset:48
	v_fmac_f32_e32 v3, v43, v1
	v_lshlrev_b32_e32 v1, 16, v18
	s_waitcnt lgkmcnt(1)
	v_dual_fmac_f32 v3, v36, v8 :: v_dual_lshlrev_b32 v8, 16, v17
	s_delay_alu instid0(VALU_DEP_1) | instskip(SKIP_1) | instid1(VALU_DEP_2)
	v_fmac_f32_e32 v3, v37, v1
	v_lshlrev_b32_e32 v1, 16, v16
	v_dual_fmac_f32 v3, v38, v8 :: v_dual_lshlrev_b32 v8, 16, v15
	s_delay_alu instid0(VALU_DEP_1) | instskip(SKIP_2) | instid1(VALU_DEP_2)
	v_fmac_f32_e32 v3, v39, v1
	v_lshlrev_b32_e32 v1, 16, v14
	s_waitcnt lgkmcnt(0)
	v_fmac_f32_e32 v3, v4, v8
	s_delay_alu instid0(VALU_DEP_1) | instskip(SKIP_1) | instid1(VALU_DEP_2)
	v_dual_fmac_f32 v3, v5, v1 :: v_dual_lshlrev_b32 v4, 16, v12
	v_lshlrev_b32_e32 v1, 16, v9
	v_fmac_f32_e32 v3, v6, v4
	s_delay_alu instid0(VALU_DEP_1)
	v_fmac_f32_e32 v3, v7, v1
	s_cbranch_vccnz .LBB402_13
; %bb.12:
	ds_load_b128 v[4:7], v2 offset:64
	ds_load_b128 v[8:11], v2 offset:80
	s_waitcnt lgkmcnt(1)
	v_fmac_f32_e32 v3, v4, v35
	s_delay_alu instid0(VALU_DEP_1) | instskip(NEXT) | instid1(VALU_DEP_1)
	v_fmac_f32_e32 v3, v5, v34
	v_fmac_f32_e32 v3, v6, v33
	s_delay_alu instid0(VALU_DEP_1) | instskip(SKIP_3) | instid1(VALU_DEP_1)
	v_fmac_f32_e32 v3, v7, v32
	ds_load_b128 v[4:7], v2 offset:96
	s_waitcnt lgkmcnt(1)
	v_fmac_f32_e32 v3, v8, v31
	v_fmac_f32_e32 v3, v9, v30
	s_delay_alu instid0(VALU_DEP_1) | instskip(NEXT) | instid1(VALU_DEP_1)
	v_fmac_f32_e32 v3, v10, v29
	v_fmac_f32_e32 v3, v11, v28
	ds_load_b128 v[8:11], v2 offset:112
	s_waitcnt lgkmcnt(1)
	v_fmac_f32_e32 v3, v4, v27
	s_delay_alu instid0(VALU_DEP_1) | instskip(NEXT) | instid1(VALU_DEP_1)
	v_fmac_f32_e32 v3, v5, v26
	v_fmac_f32_e32 v3, v6, v25
	s_delay_alu instid0(VALU_DEP_1) | instskip(SKIP_1) | instid1(VALU_DEP_1)
	v_fmac_f32_e32 v3, v7, v24
	s_waitcnt lgkmcnt(0)
	v_fmac_f32_e32 v3, v8, v23
	s_delay_alu instid0(VALU_DEP_1) | instskip(NEXT) | instid1(VALU_DEP_1)
	v_fmac_f32_e32 v3, v9, v22
	v_fmac_f32_e32 v3, v10, v21
	s_delay_alu instid0(VALU_DEP_1)
	v_fmac_f32_e32 v3, v11, v20
.LBB402_13:
	ds_load_b32 v1, v2 offset:128
	s_and_not1_b32 vcc_lo, exec_lo, s15
	s_cbranch_vccnz .LBB402_15
; %bb.14:
	s_add_u32 s2, s16, s18
	s_addc_u32 s3, s17, s19
	s_mov_b32 s13, 0
	s_load_b32 s12, s[2:3], 0x0
.LBB402_15:
	s_waitcnt lgkmcnt(0)
	v_add_f32_e32 v1, 0x358637bd, v1
	s_load_b64 s[0:1], s[0:1], 0x0
	s_delay_alu instid0(VALU_DEP_1) | instskip(NEXT) | instid1(VALU_DEP_1)
	v_div_scale_f32 v2, null, v1, v1, 1.0
	v_rcp_f32_e32 v4, v2
	s_waitcnt_depctr 0xfff
	v_fma_f32 v5, -v2, v4, 1.0
	s_delay_alu instid0(VALU_DEP_1) | instskip(SKIP_1) | instid1(VALU_DEP_1)
	v_fmac_f32_e32 v4, v5, v4
	v_div_scale_f32 v5, vcc_lo, 1.0, v1, 1.0
	v_mul_f32_e32 v6, v5, v4
	s_delay_alu instid0(VALU_DEP_1) | instskip(NEXT) | instid1(VALU_DEP_1)
	v_fma_f32 v7, -v2, v6, v5
	v_fmac_f32_e32 v6, v7, v4
	s_delay_alu instid0(VALU_DEP_1) | instskip(NEXT) | instid1(VALU_DEP_1)
	v_fma_f32 v2, -v2, v6, v5
	v_div_fmas_f32 v2, v2, v4, v6
	s_delay_alu instid0(VALU_DEP_1) | instskip(NEXT) | instid1(VALU_DEP_1)
	v_div_fixup_f32 v1, v2, v1, 1.0
	v_mul_f32_e32 v2, v3, v1
	s_delay_alu instid0(VALU_DEP_1) | instskip(NEXT) | instid1(VALU_DEP_1)
	v_and_b32_e32 v1, 0x7f800000, v2
	v_cmp_ne_u32_e32 vcc_lo, 0x7f800000, v1
                                        ; implicit-def: $vgpr1
	s_and_saveexec_b32 s2, vcc_lo
	s_delay_alu instid0(SALU_CYCLE_1)
	s_xor_b32 s2, exec_lo, s2
; %bb.16:
	v_bfe_u32 v1, v2, 16, 1
	s_delay_alu instid0(VALU_DEP_1)
	v_add3_u32 v1, v2, v1, 0x7fff
                                        ; implicit-def: $vgpr2
; %bb.17:
	s_and_not1_saveexec_b32 s2, s2
; %bb.18:
	v_and_b32_e32 v1, 0xffff, v2
	v_or_b32_e32 v3, 0x10000, v2
	s_delay_alu instid0(VALU_DEP_2) | instskip(NEXT) | instid1(VALU_DEP_2)
	v_cmp_eq_u32_e32 vcc_lo, 0, v1
	v_cndmask_b32_e32 v1, v3, v2, vcc_lo
; %bb.19:
	s_or_b32 exec_lo, exec_lo, s2
	s_mul_i32 s3, s22, s13
	s_mul_hi_u32 s4, s22, s12
	s_mul_i32 s2, s22, s12
	s_add_i32 s3, s4, s3
	s_mov_b32 s15, 0
	s_lshl_b64 s[2:3], s[2:3], 6
	v_and_b32_e32 v1, 0xffff0000, v1
	s_waitcnt lgkmcnt(0)
	s_add_u32 s2, s0, s2
	s_addc_u32 s3, s1, s3
	s_lshl_b64 s[0:1], s[14:15], 6
	s_delay_alu instid0(SALU_CYCLE_1)
	s_add_u32 s0, s2, s0
	s_addc_u32 s1, s3, s1
	v_add_co_u32 v0, s0, s0, v0
	v_cvt_i32_f32_e32 v2, v1
	v_add_co_ci_u32_e64 v1, null, s1, 0, s0
	global_store_b8 v[0:1], v2, off
	s_nop 0
	s_sendmsg sendmsg(MSG_DEALLOC_VGPRS)
	s_endpgm
.LBB402_20:
	s_mov_b32 s2, 0
	s_branch .LBB402_2
	.section	.rodata,"a",@progbits
	.p2align	6, 0x0
	.amdhsa_kernel _Z35paged_attention_ll4mi_reduce_kernelI14__hip_bfloat16hLi64ELi64ELi256ELi1EEvPT0_PKfS4_PKT_PKiS9_iS4_
		.amdhsa_group_segment_fixed_size 132
		.amdhsa_private_segment_fixed_size 0
		.amdhsa_kernarg_size 320
		.amdhsa_user_sgpr_count 14
		.amdhsa_user_sgpr_dispatch_ptr 0
		.amdhsa_user_sgpr_queue_ptr 0
		.amdhsa_user_sgpr_kernarg_segment_ptr 1
		.amdhsa_user_sgpr_dispatch_id 0
		.amdhsa_user_sgpr_private_segment_size 0
		.amdhsa_wavefront_size32 1
		.amdhsa_uses_dynamic_stack 0
		.amdhsa_enable_private_segment 0
		.amdhsa_system_sgpr_workgroup_id_x 1
		.amdhsa_system_sgpr_workgroup_id_y 1
		.amdhsa_system_sgpr_workgroup_id_z 0
		.amdhsa_system_sgpr_workgroup_info 0
		.amdhsa_system_vgpr_workitem_id 0
		.amdhsa_next_free_vgpr 49
		.amdhsa_next_free_sgpr 40
		.amdhsa_reserve_vcc 1
		.amdhsa_float_round_mode_32 0
		.amdhsa_float_round_mode_16_64 0
		.amdhsa_float_denorm_mode_32 3
		.amdhsa_float_denorm_mode_16_64 3
		.amdhsa_dx10_clamp 1
		.amdhsa_ieee_mode 1
		.amdhsa_fp16_overflow 0
		.amdhsa_workgroup_processor_mode 1
		.amdhsa_memory_ordered 1
		.amdhsa_forward_progress 0
		.amdhsa_shared_vgpr_count 0
		.amdhsa_exception_fp_ieee_invalid_op 0
		.amdhsa_exception_fp_denorm_src 0
		.amdhsa_exception_fp_ieee_div_zero 0
		.amdhsa_exception_fp_ieee_overflow 0
		.amdhsa_exception_fp_ieee_underflow 0
		.amdhsa_exception_fp_ieee_inexact 0
		.amdhsa_exception_int_div_zero 0
	.end_amdhsa_kernel
	.section	.text._Z35paged_attention_ll4mi_reduce_kernelI14__hip_bfloat16hLi64ELi64ELi256ELi1EEvPT0_PKfS4_PKT_PKiS9_iS4_,"axG",@progbits,_Z35paged_attention_ll4mi_reduce_kernelI14__hip_bfloat16hLi64ELi64ELi256ELi1EEvPT0_PKfS4_PKT_PKiS9_iS4_,comdat
.Lfunc_end402:
	.size	_Z35paged_attention_ll4mi_reduce_kernelI14__hip_bfloat16hLi64ELi64ELi256ELi1EEvPT0_PKfS4_PKT_PKiS9_iS4_, .Lfunc_end402-_Z35paged_attention_ll4mi_reduce_kernelI14__hip_bfloat16hLi64ELi64ELi256ELi1EEvPT0_PKfS4_PKT_PKiS9_iS4_
                                        ; -- End function
	.section	.AMDGPU.csdata,"",@progbits
; Kernel info:
; codeLenInByte = 3324
; NumSgprs: 42
; NumVgprs: 49
; ScratchSize: 0
; MemoryBound: 0
; FloatMode: 240
; IeeeMode: 1
; LDSByteSize: 132 bytes/workgroup (compile time only)
; SGPRBlocks: 5
; VGPRBlocks: 6
; NumSGPRsForWavesPerEU: 42
; NumVGPRsForWavesPerEU: 49
; Occupancy: 16
; WaveLimiterHint : 1
; COMPUTE_PGM_RSRC2:SCRATCH_EN: 0
; COMPUTE_PGM_RSRC2:USER_SGPR: 14
; COMPUTE_PGM_RSRC2:TRAP_HANDLER: 0
; COMPUTE_PGM_RSRC2:TGID_X_EN: 1
; COMPUTE_PGM_RSRC2:TGID_Y_EN: 1
; COMPUTE_PGM_RSRC2:TGID_Z_EN: 0
; COMPUTE_PGM_RSRC2:TIDIG_COMP_CNT: 0
	.section	.text._Z35paged_attention_ll4mi_reduce_kernelI14__hip_bfloat16hLi64ELi64ELi256ELi2EEvPT0_PKfS4_PKT_PKiS9_iS4_,"axG",@progbits,_Z35paged_attention_ll4mi_reduce_kernelI14__hip_bfloat16hLi64ELi64ELi256ELi2EEvPT0_PKfS4_PKT_PKiS9_iS4_,comdat
	.protected	_Z35paged_attention_ll4mi_reduce_kernelI14__hip_bfloat16hLi64ELi64ELi256ELi2EEvPT0_PKfS4_PKT_PKiS9_iS4_ ; -- Begin function _Z35paged_attention_ll4mi_reduce_kernelI14__hip_bfloat16hLi64ELi64ELi256ELi2EEvPT0_PKfS4_PKT_PKiS9_iS4_
	.globl	_Z35paged_attention_ll4mi_reduce_kernelI14__hip_bfloat16hLi64ELi64ELi256ELi2EEvPT0_PKfS4_PKT_PKiS9_iS4_
	.p2align	8
	.type	_Z35paged_attention_ll4mi_reduce_kernelI14__hip_bfloat16hLi64ELi64ELi256ELi2EEvPT0_PKfS4_PKT_PKiS9_iS4_,@function
_Z35paged_attention_ll4mi_reduce_kernelI14__hip_bfloat16hLi64ELi64ELi256ELi2EEvPT0_PKfS4_PKT_PKiS9_iS4_: ; @_Z35paged_attention_ll4mi_reduce_kernelI14__hip_bfloat16hLi64ELi64ELi256ELi2EEvPT0_PKfS4_PKT_PKiS9_iS4_
; %bb.0:
	s_load_b64 s[12:13], s[0:1], 0x28
	s_mov_b32 s2, s15
	s_waitcnt lgkmcnt(0)
	s_cmp_lg_u64 s[12:13], 0
	s_cselect_b32 s15, -1, 0
	s_delay_alu instid0(SALU_CYCLE_1)
	s_and_b32 vcc_lo, exec_lo, s15
	s_cbranch_vccz .LBB403_20
; %bb.1:
	s_add_i32 s4, s2, 1
	s_mov_b32 s5, 0
	s_delay_alu instid0(SALU_CYCLE_1) | instskip(SKIP_4) | instid1(SALU_CYCLE_1)
	s_lshl_b64 s[6:7], s[4:5], 2
	s_mov_b32 s3, s5
	s_add_u32 s6, s12, s6
	s_addc_u32 s7, s13, s7
	s_lshl_b64 s[8:9], s[2:3], 2
	s_add_u32 s8, s12, s8
	s_addc_u32 s9, s13, s9
	s_clause 0x1
	s_load_b32 s4, s[6:7], 0x0
	s_load_b32 s6, s[8:9], 0x0
	s_waitcnt lgkmcnt(0)
	s_sub_i32 s4, s4, s6
	s_delay_alu instid0(SALU_CYCLE_1)
	s_cmp_eq_u32 s4, 1
	s_cselect_b32 s4, -1, 0
	s_cbranch_execnz .LBB403_3
.LBB403_2:
	s_mov_b32 s3, 0
	s_mov_b32 s4, -1
.LBB403_3:
	s_delay_alu instid0(SALU_CYCLE_1)
	s_and_not1_b32 vcc_lo, exec_lo, s4
	s_cbranch_vccz .LBB403_5
; %bb.4:
	s_endpgm
.LBB403_5:
	s_clause 0x1
	s_load_b128 s[4:7], s[0:1], 0x18
	s_load_b32 s9, s[0:1], 0x30
	s_lshl_b64 s[16:17], s[2:3], 2
	s_waitcnt lgkmcnt(0)
	s_add_u32 s6, s6, s16
	s_addc_u32 s7, s7, s17
	s_load_b32 s20, s[6:7], 0x0
	s_load_b32 s33, s[0:1], 0x40
	s_mul_i32 s7, s2, s9
	s_waitcnt lgkmcnt(0)
	s_add_i32 s50, s20, 0xff
	s_delay_alu instid0(SALU_CYCLE_1) | instskip(NEXT) | instid1(SALU_CYCLE_1)
	s_ashr_i32 s6, s50, 31
	s_lshr_b32 s6, s6, 24
	s_delay_alu instid0(SALU_CYCLE_1) | instskip(SKIP_4) | instid1(SALU_CYCLE_1)
	s_add_i32 s8, s50, s6
	s_mul_i32 s6, s14, s9
	s_mov_b32 s9, exec_lo
	v_cmpx_lt_u32_e32 31, v0
	s_xor_b32 s9, exec_lo, s9
	s_or_saveexec_b32 s22, s9
	v_mov_b32_e32 v1, s6
	s_ashr_i32 s21, s8, 8
	s_mul_i32 s18, s7, s33
	s_xor_b32 exec_lo, exec_lo, s22
	s_cbranch_execz .LBB403_9
; %bb.6:
	v_or_b32_e32 v1, 32, v0
	s_load_b128 s[8:11], s[0:1], 0x8
	s_add_i32 s7, s21, -1
	s_mov_b32 s19, 0
	s_delay_alu instid0(SALU_CYCLE_1) | instskip(SKIP_3) | instid1(VALU_DEP_2)
	s_lshl_b64 s[24:25], s[18:19], 2
	v_cmp_gt_i32_e32 vcc_lo, s21, v1
	v_cndmask_b32_e32 v1, s7, v1, vcc_lo
	v_cmp_gt_i32_e32 vcc_lo, s21, v0
	v_ashrrev_i32_e32 v2, 31, v1
	v_cndmask_b32_e32 v3, s7, v0, vcc_lo
	s_mov_b32 s7, s19
	s_delay_alu instid0(VALU_DEP_2) | instskip(NEXT) | instid1(VALU_DEP_2)
	v_lshlrev_b64 v[1:2], 2, v[1:2]
	v_ashrrev_i32_e32 v4, 31, v3
	s_waitcnt lgkmcnt(0)
	s_add_u32 s19, s10, s24
	s_addc_u32 s23, s11, s25
	s_lshl_b64 s[10:11], s[6:7], 2
	v_lshlrev_b64 v[3:4], 2, v[3:4]
	s_add_u32 s7, s19, s10
	s_addc_u32 s19, s23, s11
	v_add_co_u32 v5, vcc_lo, s7, v1
	v_add_co_ci_u32_e32 v6, vcc_lo, s19, v2, vcc_lo
	s_delay_alu instid0(VALU_DEP_3)
	v_add_co_u32 v7, vcc_lo, s7, v3
	v_add_co_ci_u32_e32 v8, vcc_lo, s19, v4, vcc_lo
	s_clause 0x1
	global_load_b32 v5, v[5:6], off
	global_load_b32 v6, v[7:8], off
	s_add_u32 s7, s8, s24
	s_addc_u32 s8, s9, s25
	s_add_u32 s7, s7, s10
	s_addc_u32 s8, s8, s11
	v_add_co_u32 v3, vcc_lo, s7, v3
	v_add_co_ci_u32_e32 v4, vcc_lo, s8, v4, vcc_lo
	v_add_co_u32 v1, vcc_lo, s7, v1
	v_add_co_ci_u32_e32 v2, vcc_lo, s8, v2, vcc_lo
	s_clause 0x1
	global_load_b32 v3, v[3:4], off
	global_load_b32 v1, v[1:2], off
	v_mbcnt_lo_u32_b32 v2, -1, 0
	s_mov_b32 s7, exec_lo
	s_delay_alu instid0(VALU_DEP_1)
	v_xor_b32_e32 v4, 16, v2
	v_xor_b32_e32 v9, 8, v2
	;; [unrolled: 1-line block ×5, first 2 shown]
	v_cmp_gt_i32_e32 vcc_lo, 32, v4
	v_cndmask_b32_e32 v4, v2, v4, vcc_lo
	v_cmp_gt_i32_e32 vcc_lo, 32, v9
	s_waitcnt vmcnt(2)
	v_dual_max_f32 v7, v5, v5 :: v_dual_max_f32 v8, v6, v6
	s_delay_alu instid0(VALU_DEP_1)
	v_dual_max_f32 v7, v8, v7 :: v_dual_lshlrev_b32 v4, 2, v4
	ds_bpermute_b32 v8, v4, v7
	v_cndmask_b32_e32 v9, v2, v9, vcc_lo
	v_cmp_gt_i32_e32 vcc_lo, 32, v10
	v_cndmask_b32_e32 v10, v2, v10, vcc_lo
	v_cmp_gt_i32_e32 vcc_lo, 32, v11
	s_delay_alu instid0(VALU_DEP_2) | instskip(SKIP_1) | instid1(VALU_DEP_2)
	v_dual_cndmask_b32 v11, v2, v11 :: v_dual_lshlrev_b32 v10, 2, v10
	v_cmp_gt_i32_e32 vcc_lo, 32, v12
	v_dual_cndmask_b32 v2, v2, v12 :: v_dual_lshlrev_b32 v11, 2, v11
	s_waitcnt lgkmcnt(0)
	v_dual_max_f32 v8, v8, v8 :: v_dual_lshlrev_b32 v9, 2, v9
	s_delay_alu instid0(VALU_DEP_1) | instskip(SKIP_3) | instid1(VALU_DEP_1)
	v_dual_max_f32 v7, v7, v8 :: v_dual_lshlrev_b32 v2, 2, v2
	ds_bpermute_b32 v8, v9, v7
	s_waitcnt lgkmcnt(0)
	v_max_f32_e32 v8, v8, v8
	v_max_f32_e32 v7, v7, v8
	ds_bpermute_b32 v8, v10, v7
	s_waitcnt lgkmcnt(0)
	v_max_f32_e32 v8, v8, v8
	s_delay_alu instid0(VALU_DEP_1) | instskip(SKIP_3) | instid1(VALU_DEP_1)
	v_max_f32_e32 v7, v7, v8
	ds_bpermute_b32 v8, v11, v7
	s_waitcnt lgkmcnt(0)
	v_max_f32_e32 v8, v8, v8
	v_max_f32_e32 v7, v7, v8
	ds_bpermute_b32 v8, v2, v7
	s_waitcnt lgkmcnt(0)
	v_max_f32_e32 v8, v8, v8
	s_delay_alu instid0(VALU_DEP_1) | instskip(NEXT) | instid1(VALU_DEP_1)
	v_max_f32_e32 v7, v7, v8
	v_sub_f32_e32 v5, v5, v7
	s_delay_alu instid0(VALU_DEP_1) | instskip(NEXT) | instid1(VALU_DEP_1)
	v_mul_f32_e32 v8, 0x3fb8aa3b, v5
	v_rndne_f32_e32 v15, v8
	v_fma_f32 v14, 0x3fb8aa3b, v5, -v8
	s_delay_alu instid0(VALU_DEP_2) | instskip(SKIP_1) | instid1(VALU_DEP_3)
	v_sub_f32_e32 v8, v8, v15
	v_sub_f32_e32 v6, v6, v7
	v_fmac_f32_e32 v14, 0x32a5705f, v5
	s_delay_alu instid0(VALU_DEP_2) | instskip(NEXT) | instid1(VALU_DEP_1)
	v_mul_f32_e32 v7, 0x3fb8aa3b, v6
	v_fma_f32 v12, 0x3fb8aa3b, v6, -v7
	v_rndne_f32_e32 v13, v7
	s_delay_alu instid0(VALU_DEP_1) | instskip(NEXT) | instid1(VALU_DEP_1)
	v_dual_fmac_f32 v12, 0x32a5705f, v6 :: v_dual_sub_f32 v7, v7, v13
	v_add_f32_e32 v7, v7, v12
	v_cvt_i32_f32_e32 v12, v13
	v_cmp_ngt_f32_e32 vcc_lo, 0xc2ce8ed0, v6
	v_cvt_i32_f32_e32 v13, v15
	s_delay_alu instid0(VALU_DEP_4) | instskip(SKIP_4) | instid1(VALU_DEP_3)
	v_exp_f32_e32 v7, v7
	s_waitcnt_depctr 0xfff
	v_ldexp_f32 v7, v7, v12
	v_add_f32_e32 v8, v8, v14
	v_sub_nc_u32_e32 v12, s21, v0
	v_cndmask_b32_e32 v7, 0, v7, vcc_lo
	s_delay_alu instid0(VALU_DEP_3) | instskip(SKIP_3) | instid1(VALU_DEP_1)
	v_exp_f32_e32 v8, v8
	v_cmp_ngt_f32_e32 vcc_lo, 0xc2ce8ed0, v5
	s_waitcnt_depctr 0xfff
	v_ldexp_f32 v8, v8, v13
	v_cndmask_b32_e32 v8, 0, v8, vcc_lo
	v_cmp_nlt_f32_e32 vcc_lo, 0x42b17218, v6
	v_dual_cndmask_b32 v6, 0x7f800000, v7 :: v_dual_lshlrev_b32 v7, 2, v0
	v_cmp_nlt_f32_e32 vcc_lo, 0x42b17218, v5
	s_delay_alu instid0(VALU_DEP_4) | instskip(SKIP_1) | instid1(VALU_DEP_4)
	v_cndmask_b32_e32 v5, 0x7f800000, v8, vcc_lo
	v_cmp_lt_i32_e32 vcc_lo, 0, v12
	v_cndmask_b32_e32 v6, 0, v6, vcc_lo
	v_cmp_lt_i32_e32 vcc_lo, 32, v12
	s_delay_alu instid0(VALU_DEP_4) | instskip(SKIP_1) | instid1(VALU_DEP_1)
	v_cndmask_b32_e32 v5, 0, v5, vcc_lo
	s_waitcnt vmcnt(0)
	v_dual_mul_f32 v3, v3, v6 :: v_dual_mul_f32 v6, v1, v5
	ds_store_2addr_b32 v7, v3, v6 offset1:32
	v_fmac_f32_e32 v3, v1, v5
	ds_bpermute_b32 v1, v4, v3
	s_waitcnt lgkmcnt(0)
	v_add_f32_e32 v1, v3, v1
	ds_bpermute_b32 v3, v9, v1
	s_waitcnt lgkmcnt(0)
	v_add_f32_e32 v1, v1, v3
	;; [unrolled: 3-line block ×4, first 2 shown]
	ds_bpermute_b32 v2, v2, v1
	v_cmpx_eq_u32_e32 0, v0
	s_cbranch_execz .LBB403_8
; %bb.7:
	s_waitcnt lgkmcnt(0)
	v_dual_add_f32 v1, v1, v2 :: v_dual_mov_b32 v2, 0
	ds_store_b32 v2, v1 offset:256
.LBB403_8:
	s_or_b32 exec_lo, exec_lo, s7
	v_mov_b32_e32 v1, s6
.LBB403_9:
	s_or_b32 exec_lo, exec_lo, s22
	s_lshl_b32 s6, s18, 6
	s_mov_b32 s7, 0
	s_waitcnt lgkmcnt(0)
	v_dual_mov_b32 v2, 0 :: v_dual_lshlrev_b32 v1, 6, v1
	s_lshl_b64 s[6:7], s[6:7], 1
	v_dual_mov_b32 v33, 0 :: v_dual_mov_b32 v34, 0
	s_add_u32 s34, s4, s6
	s_addc_u32 s35, s5, s7
	s_lshl_b32 s4, s21, 6
	v_lshlrev_b64 v[3:4], 1, v[1:2]
	s_sub_i32 s51, s4, 64
	s_cmpk_lt_i32 s50, 0x100
	v_lshlrev_b32_e32 v1, 1, v0
	s_cselect_b32 s4, s51, 0
	v_mov_b32_e32 v35, 0
	s_ashr_i32 s5, s4, 31
	v_add_co_u32 v3, vcc_lo, s34, v3
	s_lshl_b64 s[4:5], s[4:5], 1
	s_cmpk_lt_i32 s50, 0x200
	v_add_co_ci_u32_e32 v4, vcc_lo, s35, v4, vcc_lo
	s_cselect_b32 s6, s51, 64
	v_add_co_u32 v1, vcc_lo, v3, v1
	s_ashr_i32 s7, s6, 31
	s_delay_alu instid0(VALU_DEP_2)
	v_add_co_ci_u32_e32 v3, vcc_lo, 0, v4, vcc_lo
	s_lshl_b64 s[6:7], s[6:7], 1
	s_cmpk_lt_i32 s50, 0x300
	v_add_co_u32 v4, vcc_lo, v1, s4
	s_cselect_b32 s8, s51, 0x80
	v_add_co_ci_u32_e32 v5, vcc_lo, s5, v3, vcc_lo
	s_ashr_i32 s9, s8, 31
	v_add_co_u32 v6, vcc_lo, v1, s6
	s_lshl_b64 s[8:9], s[8:9], 1
	s_cmpk_lt_i32 s50, 0x400
	v_add_co_ci_u32_e32 v7, vcc_lo, s7, v3, vcc_lo
	s_cselect_b32 s10, s51, 0xc0
	v_add_co_u32 v8, vcc_lo, v1, s8
	s_ashr_i32 s11, s10, 31
	v_add_co_ci_u32_e32 v9, vcc_lo, s9, v3, vcc_lo
	s_lshl_b64 s[10:11], s[10:11], 1
	s_cmpk_lt_i32 s50, 0x500
	v_add_co_u32 v14, vcc_lo, v1, s10
	s_cselect_b32 s18, s51, 0x100
	v_add_co_ci_u32_e32 v15, vcc_lo, s11, v3, vcc_lo
	s_ashr_i32 s19, s18, 31
	v_mov_b32_e32 v32, 0
	s_lshl_b64 s[18:19], s[18:19], 1
	s_cmpk_lt_i32 s50, 0x600
	v_add_co_u32 v16, vcc_lo, v1, s18
	s_cselect_b32 s22, s51, 0x140
	v_add_co_ci_u32_e32 v17, vcc_lo, s19, v3, vcc_lo
	s_ashr_i32 s23, s22, 31
	s_delay_alu instid0(SALU_CYCLE_1)
	s_lshl_b64 s[22:23], s[22:23], 1
	s_cmpk_lt_i32 s50, 0x700
	v_add_co_u32 v18, vcc_lo, v1, s22
	s_cselect_b32 s24, s51, 0x180
	v_add_co_ci_u32_e32 v19, vcc_lo, s23, v3, vcc_lo
	s_ashr_i32 s25, s24, 31
	s_delay_alu instid0(SALU_CYCLE_1)
	;; [unrolled: 7-line block ×3, first 2 shown]
	s_lshl_b64 s[26:27], s[26:27], 1
	s_cmpk_lt_i32 s50, 0x900
	v_add_co_u32 v22, vcc_lo, v1, s26
	s_cselect_b32 s28, s51, 0x200
	v_add_co_ci_u32_e32 v23, vcc_lo, s27, v3, vcc_lo
	s_ashr_i32 s29, s28, 31
	s_clause 0x7
	global_load_u16 v13, v[4:5], off
	global_load_u16 v4, v[6:7], off
	;; [unrolled: 1-line block ×8, first 2 shown]
	s_lshl_b64 s[28:29], s[28:29], 1
	s_cmpk_lt_i32 s50, 0xa00
	v_add_co_u32 v14, vcc_lo, v1, s28
	s_cselect_b32 s30, s51, 0x240
	v_add_co_ci_u32_e32 v15, vcc_lo, s29, v3, vcc_lo
	s_ashr_i32 s31, s30, 31
	s_delay_alu instid0(SALU_CYCLE_1)
	s_lshl_b64 s[30:31], s[30:31], 1
	s_cmpk_lt_i32 s50, 0xb00
	v_add_co_u32 v16, vcc_lo, v1, s30
	s_cselect_b32 s34, s51, 0x280
	v_add_co_ci_u32_e32 v17, vcc_lo, s31, v3, vcc_lo
	s_ashr_i32 s35, s34, 31
	s_delay_alu instid0(SALU_CYCLE_1)
	;; [unrolled: 7-line block ×7, first 2 shown]
	s_lshl_b64 s[4:5], s[6:7], 1
	s_cmpk_gt_i32 s20, 0x1000
	v_add_co_u32 v30, vcc_lo, v1, s4
	v_add_co_ci_u32_e32 v31, vcc_lo, s5, v3, vcc_lo
	s_clause 0x7
	global_load_u16 v19, v[14:15], off
	global_load_u16 v18, v[16:17], off
	;; [unrolled: 1-line block ×8, first 2 shown]
	v_dual_mov_b32 v20, 0 :: v_dual_mov_b32 v21, 0
	v_dual_mov_b32 v22, 0 :: v_dual_mov_b32 v23, 0
	;; [unrolled: 1-line block ×6, first 2 shown]
	s_cselect_b32 s6, -1, 0
	s_cmpk_lt_i32 s20, 0x1001
	s_waitcnt vmcnt(0)
	s_barrier
	buffer_gl0_inv
	s_cbranch_scc1 .LBB403_11
; %bb.10:
	s_cmpk_lt_i32 s50, 0x1100
	s_cselect_b32 s4, s51, 0x400
	s_delay_alu instid0(SALU_CYCLE_1) | instskip(NEXT) | instid1(SALU_CYCLE_1)
	s_ashr_i32 s5, s4, 31
	s_lshl_b64 s[4:5], s[4:5], 1
	s_cmpk_lt_i32 s50, 0x1200
	v_add_co_u32 v20, vcc_lo, v1, s4
	s_cselect_b32 s8, s51, 0x440
	v_add_co_ci_u32_e32 v21, vcc_lo, s5, v3, vcc_lo
	s_ashr_i32 s9, s8, 31
	s_delay_alu instid0(SALU_CYCLE_1)
	s_lshl_b64 s[8:9], s[8:9], 1
	s_cmpk_lt_i32 s50, 0x1300
	v_add_co_u32 v22, vcc_lo, v1, s8
	s_cselect_b32 s10, s51, 0x480
	v_add_co_ci_u32_e32 v23, vcc_lo, s9, v3, vcc_lo
	s_ashr_i32 s11, s10, 31
	s_delay_alu instid0(SALU_CYCLE_1)
	;; [unrolled: 7-line block ×14, first 2 shown]
	s_lshl_b64 s[4:5], s[18:19], 1
	s_cmpk_lt_i32 s50, 0x2000
	v_add_co_u32 v48, vcc_lo, v1, s4
	s_cselect_b32 s8, s51, 0x7c0
	v_add_co_ci_u32_e32 v49, vcc_lo, s5, v3, vcc_lo
	s_ashr_i32 s9, s8, 31
	s_delay_alu instid0(SALU_CYCLE_1) | instskip(NEXT) | instid1(SALU_CYCLE_1)
	s_lshl_b64 s[4:5], s[8:9], 1
	v_add_co_u32 v50, vcc_lo, v1, s4
	v_add_co_ci_u32_e32 v51, vcc_lo, s5, v3, vcc_lo
	s_clause 0xf
	global_load_u16 v20, v[20:21], off
	global_load_u16 v21, v[22:23], off
	;; [unrolled: 1-line block ×16, first 2 shown]
	s_waitcnt vmcnt(15)
	v_lshlrev_b32_e32 v35, 16, v20
	s_waitcnt vmcnt(14)
	v_lshlrev_b32_e32 v34, 16, v21
	;; [unrolled: 2-line block ×16, first 2 shown]
.LBB403_11:
	ds_load_b128 v[36:39], v2
	ds_load_b128 v[40:43], v2 offset:16
	v_lshlrev_b32_e32 v44, 16, v4
	v_lshlrev_b32_e32 v13, 16, v13
	;; [unrolled: 1-line block ×4, first 2 shown]
	s_and_not1_b32 vcc_lo, exec_lo, s6
	v_lshlrev_b32_e32 v5, 16, v5
	s_waitcnt lgkmcnt(1)
	v_fma_f32 v4, v36, v13, 0
	s_delay_alu instid0(VALU_DEP_1) | instskip(SKIP_1) | instid1(VALU_DEP_1)
	v_dual_fmac_f32 v4, v37, v44 :: v_dual_lshlrev_b32 v9, 16, v9
	v_lshlrev_b32_e32 v11, 16, v11
	v_dual_fmac_f32 v4, v38, v11 :: v_dual_lshlrev_b32 v11, 16, v18
	s_delay_alu instid0(VALU_DEP_1) | instskip(SKIP_3) | instid1(VALU_DEP_1)
	v_dual_fmac_f32 v4, v39, v9 :: v_dual_lshlrev_b32 v7, 16, v7
	ds_load_b128 v[36:39], v2 offset:32
	s_waitcnt lgkmcnt(1)
	v_dual_fmac_f32 v4, v40, v8 :: v_dual_lshlrev_b32 v9, 16, v19
	v_fmac_f32_e32 v4, v41, v7
	s_delay_alu instid0(VALU_DEP_1) | instskip(NEXT) | instid1(VALU_DEP_1)
	v_fmac_f32_e32 v4, v42, v6
	v_fmac_f32_e32 v4, v43, v5
	ds_load_b128 v[5:8], v2 offset:48
	s_waitcnt lgkmcnt(1)
	v_fmac_f32_e32 v4, v36, v9
	s_delay_alu instid0(VALU_DEP_1) | instskip(NEXT) | instid1(VALU_DEP_1)
	v_dual_fmac_f32 v4, v37, v11 :: v_dual_lshlrev_b32 v9, 16, v17
	v_dual_fmac_f32 v4, v38, v9 :: v_dual_lshlrev_b32 v11, 16, v16
	v_lshlrev_b32_e32 v9, 16, v15
	s_delay_alu instid0(VALU_DEP_2) | instskip(SKIP_1) | instid1(VALU_DEP_1)
	v_dual_fmac_f32 v4, v39, v11 :: v_dual_lshlrev_b32 v11, 16, v14
	s_waitcnt lgkmcnt(0)
	v_dual_fmac_f32 v4, v5, v9 :: v_dual_lshlrev_b32 v5, 16, v12
	s_delay_alu instid0(VALU_DEP_1) | instskip(NEXT) | instid1(VALU_DEP_1)
	v_fmac_f32_e32 v4, v6, v11
	v_dual_fmac_f32 v4, v7, v5 :: v_dual_lshlrev_b32 v5, 16, v10
	s_delay_alu instid0(VALU_DEP_1)
	v_fmac_f32_e32 v4, v8, v5
	s_cbranch_vccz .LBB403_21
; %bb.12:
	s_cmpk_lt_i32 s20, 0x2001
	s_cbranch_scc0 .LBB403_22
.LBB403_13:
	v_mov_b32_e32 v1, 0
	s_and_not1_b32 vcc_lo, exec_lo, s15
	ds_load_b32 v1, v1 offset:256
	s_cbranch_vccnz .LBB403_15
.LBB403_14:
	s_add_u32 s2, s12, s16
	s_addc_u32 s3, s13, s17
	s_load_b32 s2, s[2:3], 0x0
	s_mov_b32 s3, 0
.LBB403_15:
	s_waitcnt lgkmcnt(0)
	v_add_f32_e32 v1, 0x358637bd, v1
	s_load_b64 s[0:1], s[0:1], 0x0
	s_delay_alu instid0(VALU_DEP_1) | instskip(NEXT) | instid1(VALU_DEP_1)
	v_div_scale_f32 v2, null, v1, v1, 1.0
	v_rcp_f32_e32 v3, v2
	s_waitcnt_depctr 0xfff
	v_fma_f32 v5, -v2, v3, 1.0
	s_delay_alu instid0(VALU_DEP_1) | instskip(SKIP_1) | instid1(VALU_DEP_1)
	v_fmac_f32_e32 v3, v5, v3
	v_div_scale_f32 v5, vcc_lo, 1.0, v1, 1.0
	v_mul_f32_e32 v6, v5, v3
	s_delay_alu instid0(VALU_DEP_1) | instskip(NEXT) | instid1(VALU_DEP_1)
	v_fma_f32 v7, -v2, v6, v5
	v_fmac_f32_e32 v6, v7, v3
	s_delay_alu instid0(VALU_DEP_1) | instskip(NEXT) | instid1(VALU_DEP_1)
	v_fma_f32 v2, -v2, v6, v5
	v_div_fmas_f32 v2, v2, v3, v6
	s_delay_alu instid0(VALU_DEP_1) | instskip(NEXT) | instid1(VALU_DEP_1)
	v_div_fixup_f32 v1, v2, v1, 1.0
	v_mul_f32_e32 v2, v4, v1
	s_delay_alu instid0(VALU_DEP_1) | instskip(NEXT) | instid1(VALU_DEP_1)
	v_and_b32_e32 v1, 0x7f800000, v2
	v_cmp_ne_u32_e32 vcc_lo, 0x7f800000, v1
                                        ; implicit-def: $vgpr1
	s_and_saveexec_b32 s4, vcc_lo
	s_delay_alu instid0(SALU_CYCLE_1)
	s_xor_b32 s4, exec_lo, s4
; %bb.16:
	v_bfe_u32 v1, v2, 16, 1
	s_delay_alu instid0(VALU_DEP_1)
	v_add3_u32 v1, v2, v1, 0x7fff
                                        ; implicit-def: $vgpr2
; %bb.17:
	s_and_not1_saveexec_b32 s4, s4
; %bb.18:
	v_and_b32_e32 v1, 0xffff, v2
	v_or_b32_e32 v3, 0x10000, v2
	s_delay_alu instid0(VALU_DEP_2) | instskip(NEXT) | instid1(VALU_DEP_2)
	v_cmp_eq_u32_e32 vcc_lo, 0, v1
	v_cndmask_b32_e32 v1, v3, v2, vcc_lo
; %bb.19:
	s_or_b32 exec_lo, exec_lo, s4
	s_mul_i32 s3, s33, s3
	s_mul_hi_u32 s4, s33, s2
	s_mul_i32 s2, s33, s2
	s_add_i32 s3, s4, s3
	s_mov_b32 s15, 0
	s_lshl_b64 s[2:3], s[2:3], 6
	v_and_b32_e32 v1, 0xffff0000, v1
	s_waitcnt lgkmcnt(0)
	s_add_u32 s2, s0, s2
	s_addc_u32 s3, s1, s3
	s_lshl_b64 s[0:1], s[14:15], 6
	s_delay_alu instid0(SALU_CYCLE_1)
	s_add_u32 s0, s2, s0
	s_addc_u32 s1, s3, s1
	v_add_co_u32 v0, s0, s0, v0
	v_cvt_i32_f32_e32 v2, v1
	v_add_co_ci_u32_e64 v1, null, s1, 0, s0
	global_store_b8 v[0:1], v2, off
	s_nop 0
	s_sendmsg sendmsg(MSG_DEALLOC_VGPRS)
	s_endpgm
.LBB403_20:
	s_mov_b32 s4, 0
	s_branch .LBB403_2
.LBB403_21:
	ds_load_b128 v[5:8], v2 offset:64
	ds_load_b128 v[9:12], v2 offset:80
	s_waitcnt lgkmcnt(1)
	v_fmac_f32_e32 v4, v5, v35
	s_delay_alu instid0(VALU_DEP_1) | instskip(NEXT) | instid1(VALU_DEP_1)
	v_fmac_f32_e32 v4, v6, v34
	v_fmac_f32_e32 v4, v7, v33
	s_delay_alu instid0(VALU_DEP_1) | instskip(SKIP_3) | instid1(VALU_DEP_1)
	v_fmac_f32_e32 v4, v8, v32
	ds_load_b128 v[5:8], v2 offset:96
	s_waitcnt lgkmcnt(1)
	v_fmac_f32_e32 v4, v9, v31
	v_fmac_f32_e32 v4, v10, v30
	s_delay_alu instid0(VALU_DEP_1) | instskip(NEXT) | instid1(VALU_DEP_1)
	v_fmac_f32_e32 v4, v11, v29
	v_fmac_f32_e32 v4, v12, v28
	ds_load_b128 v[9:12], v2 offset:112
	s_waitcnt lgkmcnt(1)
	v_fmac_f32_e32 v4, v5, v27
	s_delay_alu instid0(VALU_DEP_1) | instskip(NEXT) | instid1(VALU_DEP_1)
	v_fmac_f32_e32 v4, v6, v26
	v_fmac_f32_e32 v4, v7, v25
	s_delay_alu instid0(VALU_DEP_1) | instskip(SKIP_1) | instid1(VALU_DEP_1)
	v_fmac_f32_e32 v4, v8, v24
	s_waitcnt lgkmcnt(0)
	v_fmac_f32_e32 v4, v9, v23
	s_delay_alu instid0(VALU_DEP_1) | instskip(NEXT) | instid1(VALU_DEP_1)
	v_fmac_f32_e32 v4, v10, v22
	v_fmac_f32_e32 v4, v11, v21
	s_delay_alu instid0(VALU_DEP_1)
	v_fmac_f32_e32 v4, v12, v20
	s_cmpk_lt_i32 s20, 0x2001
	s_cbranch_scc1 .LBB403_13
.LBB403_22:
	s_cmpk_lt_i32 s50, 0x2100
	s_cselect_b32 s4, s51, 0x800
	s_delay_alu instid0(SALU_CYCLE_1) | instskip(NEXT) | instid1(SALU_CYCLE_1)
	s_ashr_i32 s5, s4, 31
	s_lshl_b64 s[40:41], s[4:5], 1
	s_cmpk_lt_i32 s50, 0x2200
	v_add_co_u32 v5, vcc_lo, v1, s40
	s_cselect_b32 s4, s51, 0x840
	v_add_co_ci_u32_e32 v6, vcc_lo, s41, v3, vcc_lo
	s_ashr_i32 s5, s4, 31
	s_delay_alu instid0(SALU_CYCLE_1)
	s_lshl_b64 s[42:43], s[4:5], 1
	s_cmpk_lt_i32 s50, 0x2300
	v_add_co_u32 v7, vcc_lo, v1, s42
	s_cselect_b32 s4, s51, 0x880
	v_add_co_ci_u32_e32 v8, vcc_lo, s43, v3, vcc_lo
	s_ashr_i32 s5, s4, 31
	s_delay_alu instid0(SALU_CYCLE_1)
	;; [unrolled: 7-line block ×4, first 2 shown]
	s_lshl_b64 s[48:49], s[4:5], 1
	s_cmpk_lt_i32 s50, 0x2600
	v_add_co_u32 v13, vcc_lo, v1, s48
	s_cselect_b32 s4, s51, 0x940
	v_add_co_ci_u32_e32 v14, vcc_lo, s49, v3, vcc_lo
	s_ashr_i32 s5, s4, 31
	s_clause 0x4
	global_load_u16 v15, v[5:6], off
	global_load_u16 v16, v[7:8], off
	;; [unrolled: 1-line block ×5, first 2 shown]
	s_lshl_b64 s[4:5], s[4:5], 1
	s_cmpk_lt_i32 s50, 0x2700
	v_add_co_u32 v5, vcc_lo, v1, s4
	s_cselect_b32 s6, s51, 0x980
	v_add_co_ci_u32_e32 v6, vcc_lo, s5, v3, vcc_lo
	s_ashr_i32 s7, s6, 31
	s_delay_alu instid0(SALU_CYCLE_1)
	s_lshl_b64 s[6:7], s[6:7], 1
	s_cmpk_lt_i32 s50, 0x2800
	v_add_co_u32 v7, vcc_lo, v1, s6
	s_cselect_b32 s8, s51, 0x9c0
	v_add_co_ci_u32_e32 v8, vcc_lo, s7, v3, vcc_lo
	s_ashr_i32 s9, s8, 31
	global_load_u16 v20, v[5:6], off
	s_lshl_b64 s[10:11], s[8:9], 1
	s_cmpk_lt_i32 s50, 0x2900
	v_add_co_u32 v9, vcc_lo, v1, s10
	s_cselect_b32 s8, s51, 0xa00
	v_add_co_ci_u32_e32 v10, vcc_lo, s11, v3, vcc_lo
	s_ashr_i32 s9, s8, 31
	s_clause 0x1
	global_load_u16 v21, v[7:8], off
	global_load_u16 v22, v[9:10], off
	s_lshl_b64 s[22:23], s[8:9], 1
	s_cmpk_lt_i32 s50, 0x2a00
	v_add_co_u32 v11, vcc_lo, v1, s22
	s_cselect_b32 s8, s51, 0xa40
	v_add_co_ci_u32_e32 v12, vcc_lo, s23, v3, vcc_lo
	s_ashr_i32 s9, s8, 31
	s_delay_alu instid0(SALU_CYCLE_1)
	s_lshl_b64 s[28:29], s[8:9], 1
	s_cmpk_lt_i32 s50, 0x2b00
	v_add_co_u32 v13, vcc_lo, v1, s28
	s_cselect_b32 s8, s51, 0xa80
	v_add_co_ci_u32_e32 v14, vcc_lo, s29, v3, vcc_lo
	s_ashr_i32 s9, s8, 31
	s_clause 0x1
	global_load_u16 v23, v[11:12], off
	global_load_u16 v13, v[13:14], off
	s_lshl_b64 s[8:9], s[8:9], 1
	s_cmpk_lt_i32 s50, 0x2c00
	v_add_co_u32 v5, vcc_lo, v1, s8
	s_cselect_b32 s18, s51, 0xac0
	v_add_co_ci_u32_e32 v6, vcc_lo, s9, v3, vcc_lo
	s_ashr_i32 s19, s18, 31
	s_delay_alu instid0(SALU_CYCLE_1)
	s_lshl_b64 s[18:19], s[18:19], 1
	s_cmpk_lt_i32 s50, 0x2d00
	v_add_co_u32 v7, vcc_lo, v1, s18
	s_cselect_b32 s20, s51, 0xb00
	v_add_co_ci_u32_e32 v8, vcc_lo, s19, v3, vcc_lo
	s_ashr_i32 s21, s20, 31
	global_load_u16 v14, v[5:6], off
	s_lshl_b64 s[24:25], s[20:21], 1
	s_cmpk_lt_i32 s50, 0x2e00
	v_add_co_u32 v9, vcc_lo, v1, s24
	s_cselect_b32 s20, s51, 0xb40
	v_add_co_ci_u32_e32 v10, vcc_lo, s25, v3, vcc_lo
	s_ashr_i32 s21, s20, 31
	s_delay_alu instid0(SALU_CYCLE_1)
	s_lshl_b64 s[30:31], s[20:21], 1
	s_cmpk_lt_i32 s50, 0x2f00
	v_add_co_u32 v11, vcc_lo, v1, s30
	s_cselect_b32 s20, s51, 0xb80
	v_add_co_ci_u32_e32 v12, vcc_lo, s31, v3, vcc_lo
	s_ashr_i32 s21, s20, 31
	s_clause 0x2
	global_load_u16 v24, v[7:8], off
	global_load_u16 v25, v[9:10], off
	;; [unrolled: 1-line block ×3, first 2 shown]
	s_lshl_b64 s[20:21], s[20:21], 1
	s_cmpk_lt_i32 s50, 0x3000
	v_add_co_u32 v5, vcc_lo, v1, s20
	s_cselect_b32 s26, s51, 0xbc0
	v_add_co_ci_u32_e32 v6, vcc_lo, s21, v3, vcc_lo
	s_ashr_i32 s27, s26, 31
	s_delay_alu instid0(SALU_CYCLE_1)
	s_lshl_b64 s[26:27], s[26:27], 1
	s_cmpk_lt_i32 s50, 0x3100
	v_add_co_u32 v7, vcc_lo, v1, s26
	s_cselect_b32 s34, s51, 0xc00
	v_add_co_ci_u32_e32 v8, vcc_lo, s27, v3, vcc_lo
	s_ashr_i32 s35, s34, 31
	global_load_u16 v27, v[5:6], off
	s_lshl_b64 s[34:35], s[34:35], 1
	global_load_u16 v28, v[7:8], off
	s_cmpk_lt_i32 s50, 0x3200
	v_add_co_u32 v9, vcc_lo, v1, s34
	s_cselect_b32 s36, s51, 0xc40
	v_add_co_ci_u32_e32 v10, vcc_lo, s35, v3, vcc_lo
	s_ashr_i32 s37, s36, 31
	s_delay_alu instid0(SALU_CYCLE_1)
	s_lshl_b64 s[36:37], s[36:37], 1
	global_load_u16 v29, v[9:10], off
	s_cmpk_lt_i32 s50, 0x3300
	v_add_co_u32 v5, vcc_lo, v1, s36
	s_cselect_b32 s38, s51, 0xc80
	v_add_co_ci_u32_e32 v6, vcc_lo, s37, v3, vcc_lo
	s_ashr_i32 s39, s38, 31
	s_delay_alu instid0(SALU_CYCLE_1)
	s_lshl_b64 s[38:39], s[38:39], 1
	s_cmpk_lt_i32 s50, 0x3400
	v_add_co_u32 v7, vcc_lo, v1, s38
	s_cselect_b32 s52, s51, 0xcc0
	v_add_co_ci_u32_e32 v8, vcc_lo, s39, v3, vcc_lo
	s_ashr_i32 s53, s52, 31
	global_load_u16 v30, v[5:6], off
	s_lshl_b64 s[40:41], s[52:53], 1
	global_load_u16 v31, v[7:8], off
	s_cmpk_lt_i32 s50, 0x3500
	v_add_co_u32 v9, vcc_lo, v1, s40
	s_cselect_b32 s42, s51, 0xd00
	v_add_co_ci_u32_e32 v10, vcc_lo, s41, v3, vcc_lo
	s_ashr_i32 s43, s42, 31
	s_delay_alu instid0(SALU_CYCLE_1)
	s_lshl_b64 s[42:43], s[42:43], 1
	s_cmpk_lt_i32 s50, 0x3600
	v_add_co_u32 v5, vcc_lo, v1, s42
	s_cselect_b32 s44, s51, 0xd40
	v_add_co_ci_u32_e32 v6, vcc_lo, s43, v3, vcc_lo
	s_ashr_i32 s45, s44, 31
	global_load_u16 v32, v[9:10], off
	s_lshl_b64 s[4:5], s[44:45], 1
	s_cmpk_lt_i32 s50, 0x3700
	v_add_co_u32 v7, vcc_lo, v1, s4
	s_cselect_b32 s6, s51, 0xd80
	v_add_co_ci_u32_e32 v8, vcc_lo, s5, v3, vcc_lo
	s_ashr_i32 s7, s6, 31
	global_load_u16 v33, v[5:6], off
	s_lshl_b64 s[6:7], s[6:7], 1
	global_load_u16 v34, v[7:8], off
	s_cmpk_lt_i32 s50, 0x3800
	v_add_co_u32 v5, vcc_lo, v1, s6
	s_cselect_b32 s10, s51, 0xdc0
	v_add_co_ci_u32_e32 v6, vcc_lo, s7, v3, vcc_lo
	s_ashr_i32 s11, s10, 31
	s_delay_alu instid0(SALU_CYCLE_1)
	s_lshl_b64 s[8:9], s[10:11], 1
	s_cmpk_lt_i32 s50, 0x3900
	v_add_co_u32 v7, vcc_lo, v1, s8
	s_cselect_b32 s10, s51, 0xe00
	v_add_co_ci_u32_e32 v8, vcc_lo, s9, v3, vcc_lo
	s_ashr_i32 s11, s10, 31
	global_load_u16 v35, v[5:6], off
	s_lshl_b64 s[10:11], s[10:11], 1
	global_load_u16 v36, v[7:8], off
	s_cmpk_lt_i32 s50, 0x3a00
	v_add_co_u32 v5, vcc_lo, v1, s10
	s_cselect_b32 s18, s51, 0xe40
	v_add_co_ci_u32_e32 v6, vcc_lo, s11, v3, vcc_lo
	s_ashr_i32 s19, s18, 31
	s_delay_alu instid0(SALU_CYCLE_1)
	;; [unrolled: 15-line block ×5, first 2 shown]
	s_lshl_b64 s[4:5], s[6:7], 1
	global_load_u16 v43, v[5:6], off
	v_add_co_u32 v1, vcc_lo, v1, s4
	v_add_co_ci_u32_e32 v2, vcc_lo, s5, v3, vcc_lo
	global_load_u16 v1, v[1:2], off
	s_waitcnt vmcnt(31)
	v_dual_mov_b32 v2, 0 :: v_dual_lshlrev_b32 v3, 16, v15
	ds_load_b128 v[5:8], v2 offset:128
	ds_load_b128 v[9:12], v2 offset:144
	s_waitcnt vmcnt(30) lgkmcnt(1)
	v_dual_fmac_f32 v4, v5, v3 :: v_dual_lshlrev_b32 v3, 16, v16
	s_waitcnt vmcnt(29)
	s_delay_alu instid0(VALU_DEP_1) | instskip(SKIP_1) | instid1(VALU_DEP_1)
	v_dual_fmac_f32 v4, v6, v3 :: v_dual_lshlrev_b32 v3, 16, v17
	s_waitcnt vmcnt(28)
	v_dual_fmac_f32 v4, v7, v3 :: v_dual_lshlrev_b32 v3, 16, v18
	s_delay_alu instid0(VALU_DEP_1)
	v_fmac_f32_e32 v4, v8, v3
	s_waitcnt vmcnt(27)
	v_lshlrev_b32_e32 v3, 16, v19
	ds_load_b128 v[5:8], v2 offset:160
	s_waitcnt vmcnt(26) lgkmcnt(1)
	v_dual_fmac_f32 v4, v9, v3 :: v_dual_lshlrev_b32 v3, 16, v20
	s_waitcnt vmcnt(25)
	s_delay_alu instid0(VALU_DEP_1) | instskip(SKIP_1) | instid1(VALU_DEP_1)
	v_dual_fmac_f32 v4, v10, v3 :: v_dual_lshlrev_b32 v3, 16, v21
	s_waitcnt vmcnt(24)
	v_dual_fmac_f32 v4, v11, v3 :: v_dual_lshlrev_b32 v3, 16, v22
	s_delay_alu instid0(VALU_DEP_1)
	v_fmac_f32_e32 v4, v12, v3
	s_waitcnt vmcnt(23)
	v_lshlrev_b32_e32 v3, 16, v23
	ds_load_b128 v[9:12], v2 offset:176
	s_waitcnt vmcnt(22) lgkmcnt(1)
	v_dual_fmac_f32 v4, v5, v3 :: v_dual_lshlrev_b32 v3, 16, v13
	s_waitcnt vmcnt(21)
	s_delay_alu instid0(VALU_DEP_1) | instskip(SKIP_1) | instid1(VALU_DEP_1)
	v_dual_fmac_f32 v4, v6, v3 :: v_dual_lshlrev_b32 v3, 16, v14
	s_waitcnt vmcnt(20)
	v_dual_fmac_f32 v4, v7, v3 :: v_dual_lshlrev_b32 v3, 16, v24
	s_waitcnt vmcnt(19)
	s_delay_alu instid0(VALU_DEP_1) | instskip(SKIP_3) | instid1(VALU_DEP_1)
	v_dual_fmac_f32 v4, v8, v3 :: v_dual_lshlrev_b32 v3, 16, v25
	ds_load_b128 v[5:8], v2 offset:192
	s_waitcnt vmcnt(18) lgkmcnt(1)
	v_dual_fmac_f32 v4, v9, v3 :: v_dual_lshlrev_b32 v3, 16, v26
	v_fmac_f32_e32 v4, v10, v3
	s_waitcnt vmcnt(17)
	v_lshlrev_b32_e32 v3, 16, v27
	s_waitcnt vmcnt(16)
	s_delay_alu instid0(VALU_DEP_1) | instskip(SKIP_1) | instid1(VALU_DEP_1)
	v_dual_fmac_f32 v4, v11, v3 :: v_dual_lshlrev_b32 v3, 16, v28
	s_waitcnt vmcnt(15)
	v_dual_fmac_f32 v4, v12, v3 :: v_dual_lshlrev_b32 v3, 16, v29
	ds_load_b128 v[9:12], v2 offset:208
	s_waitcnt vmcnt(14) lgkmcnt(1)
	v_dual_fmac_f32 v4, v5, v3 :: v_dual_lshlrev_b32 v3, 16, v30
	s_delay_alu instid0(VALU_DEP_1) | instskip(SKIP_3) | instid1(VALU_DEP_1)
	v_fmac_f32_e32 v4, v6, v3
	s_waitcnt vmcnt(13)
	v_lshlrev_b32_e32 v3, 16, v31
	s_waitcnt vmcnt(12)
	v_dual_fmac_f32 v4, v7, v3 :: v_dual_lshlrev_b32 v3, 16, v32
	s_delay_alu instid0(VALU_DEP_1) | instskip(SKIP_4) | instid1(VALU_DEP_1)
	v_fmac_f32_e32 v4, v8, v3
	ds_load_b128 v[5:8], v2 offset:224
	s_waitcnt vmcnt(11)
	v_lshlrev_b32_e32 v3, 16, v33
	s_waitcnt vmcnt(0) lgkmcnt(1)
	v_dual_fmac_f32 v4, v9, v3 :: v_dual_lshlrev_b32 v1, 16, v1
	v_lshlrev_b32_e32 v3, 16, v34
	s_delay_alu instid0(VALU_DEP_1) | instskip(SKIP_1) | instid1(VALU_DEP_1)
	v_fmac_f32_e32 v4, v10, v3
	v_lshlrev_b32_e32 v3, 16, v35
	v_dual_fmac_f32 v4, v11, v3 :: v_dual_lshlrev_b32 v3, 16, v36
	s_delay_alu instid0(VALU_DEP_1) | instskip(SKIP_4) | instid1(VALU_DEP_1)
	v_dual_fmac_f32 v4, v12, v3 :: v_dual_lshlrev_b32 v3, 16, v37
	ds_load_b128 v[9:12], v2 offset:240
	v_lshlrev_b32_e32 v2, 16, v38
	s_waitcnt lgkmcnt(1)
	v_fmac_f32_e32 v4, v5, v3
	v_fmac_f32_e32 v4, v6, v2
	v_lshlrev_b32_e32 v2, 16, v39
	s_delay_alu instid0(VALU_DEP_1) | instskip(SKIP_1) | instid1(VALU_DEP_1)
	v_fmac_f32_e32 v4, v7, v2
	v_lshlrev_b32_e32 v2, 16, v40
	v_fmac_f32_e32 v4, v8, v2
	v_lshlrev_b32_e32 v2, 16, v41
	s_waitcnt lgkmcnt(0)
	s_delay_alu instid0(VALU_DEP_1) | instskip(SKIP_1) | instid1(VALU_DEP_1)
	v_fmac_f32_e32 v4, v9, v2
	v_lshlrev_b32_e32 v2, 16, v42
	v_fmac_f32_e32 v4, v10, v2
	v_lshlrev_b32_e32 v2, 16, v43
	s_delay_alu instid0(VALU_DEP_1) | instskip(NEXT) | instid1(VALU_DEP_1)
	v_fmac_f32_e32 v4, v11, v2
	v_dual_fmac_f32 v4, v12, v1 :: v_dual_mov_b32 v1, 0
	s_and_not1_b32 vcc_lo, exec_lo, s15
	ds_load_b32 v1, v1 offset:256
	s_cbranch_vccz .LBB403_14
	s_branch .LBB403_15
	.section	.rodata,"a",@progbits
	.p2align	6, 0x0
	.amdhsa_kernel _Z35paged_attention_ll4mi_reduce_kernelI14__hip_bfloat16hLi64ELi64ELi256ELi2EEvPT0_PKfS4_PKT_PKiS9_iS4_
		.amdhsa_group_segment_fixed_size 260
		.amdhsa_private_segment_fixed_size 0
		.amdhsa_kernarg_size 320
		.amdhsa_user_sgpr_count 14
		.amdhsa_user_sgpr_dispatch_ptr 0
		.amdhsa_user_sgpr_queue_ptr 0
		.amdhsa_user_sgpr_kernarg_segment_ptr 1
		.amdhsa_user_sgpr_dispatch_id 0
		.amdhsa_user_sgpr_private_segment_size 0
		.amdhsa_wavefront_size32 1
		.amdhsa_uses_dynamic_stack 0
		.amdhsa_enable_private_segment 0
		.amdhsa_system_sgpr_workgroup_id_x 1
		.amdhsa_system_sgpr_workgroup_id_y 1
		.amdhsa_system_sgpr_workgroup_id_z 0
		.amdhsa_system_sgpr_workgroup_info 0
		.amdhsa_system_vgpr_workitem_id 0
		.amdhsa_next_free_vgpr 52
		.amdhsa_next_free_sgpr 54
		.amdhsa_reserve_vcc 1
		.amdhsa_float_round_mode_32 0
		.amdhsa_float_round_mode_16_64 0
		.amdhsa_float_denorm_mode_32 3
		.amdhsa_float_denorm_mode_16_64 3
		.amdhsa_dx10_clamp 1
		.amdhsa_ieee_mode 1
		.amdhsa_fp16_overflow 0
		.amdhsa_workgroup_processor_mode 1
		.amdhsa_memory_ordered 1
		.amdhsa_forward_progress 0
		.amdhsa_shared_vgpr_count 0
		.amdhsa_exception_fp_ieee_invalid_op 0
		.amdhsa_exception_fp_denorm_src 0
		.amdhsa_exception_fp_ieee_div_zero 0
		.amdhsa_exception_fp_ieee_overflow 0
		.amdhsa_exception_fp_ieee_underflow 0
		.amdhsa_exception_fp_ieee_inexact 0
		.amdhsa_exception_int_div_zero 0
	.end_amdhsa_kernel
	.section	.text._Z35paged_attention_ll4mi_reduce_kernelI14__hip_bfloat16hLi64ELi64ELi256ELi2EEvPT0_PKfS4_PKT_PKiS9_iS4_,"axG",@progbits,_Z35paged_attention_ll4mi_reduce_kernelI14__hip_bfloat16hLi64ELi64ELi256ELi2EEvPT0_PKfS4_PKT_PKiS9_iS4_,comdat
.Lfunc_end403:
	.size	_Z35paged_attention_ll4mi_reduce_kernelI14__hip_bfloat16hLi64ELi64ELi256ELi2EEvPT0_PKfS4_PKT_PKiS9_iS4_, .Lfunc_end403-_Z35paged_attention_ll4mi_reduce_kernelI14__hip_bfloat16hLi64ELi64ELi256ELi2EEvPT0_PKfS4_PKT_PKiS9_iS4_
                                        ; -- End function
	.section	.AMDGPU.csdata,"",@progbits
; Kernel info:
; codeLenInByte = 5380
; NumSgprs: 56
; NumVgprs: 52
; ScratchSize: 0
; MemoryBound: 0
; FloatMode: 240
; IeeeMode: 1
; LDSByteSize: 260 bytes/workgroup (compile time only)
; SGPRBlocks: 6
; VGPRBlocks: 6
; NumSGPRsForWavesPerEU: 56
; NumVGPRsForWavesPerEU: 52
; Occupancy: 16
; WaveLimiterHint : 0
; COMPUTE_PGM_RSRC2:SCRATCH_EN: 0
; COMPUTE_PGM_RSRC2:USER_SGPR: 14
; COMPUTE_PGM_RSRC2:TRAP_HANDLER: 0
; COMPUTE_PGM_RSRC2:TGID_X_EN: 1
; COMPUTE_PGM_RSRC2:TGID_Y_EN: 1
; COMPUTE_PGM_RSRC2:TGID_Z_EN: 0
; COMPUTE_PGM_RSRC2:TIDIG_COMP_CNT: 0
	.section	.text._Z35paged_attention_ll4mi_reduce_kernelI14__hip_bfloat16hLi64ELi64ELi256ELi3EEvPT0_PKfS4_PKT_PKiS9_iS4_,"axG",@progbits,_Z35paged_attention_ll4mi_reduce_kernelI14__hip_bfloat16hLi64ELi64ELi256ELi3EEvPT0_PKfS4_PKT_PKiS9_iS4_,comdat
	.protected	_Z35paged_attention_ll4mi_reduce_kernelI14__hip_bfloat16hLi64ELi64ELi256ELi3EEvPT0_PKfS4_PKT_PKiS9_iS4_ ; -- Begin function _Z35paged_attention_ll4mi_reduce_kernelI14__hip_bfloat16hLi64ELi64ELi256ELi3EEvPT0_PKfS4_PKT_PKiS9_iS4_
	.globl	_Z35paged_attention_ll4mi_reduce_kernelI14__hip_bfloat16hLi64ELi64ELi256ELi3EEvPT0_PKfS4_PKT_PKiS9_iS4_
	.p2align	8
	.type	_Z35paged_attention_ll4mi_reduce_kernelI14__hip_bfloat16hLi64ELi64ELi256ELi3EEvPT0_PKfS4_PKT_PKiS9_iS4_,@function
_Z35paged_attention_ll4mi_reduce_kernelI14__hip_bfloat16hLi64ELi64ELi256ELi3EEvPT0_PKfS4_PKT_PKiS9_iS4_: ; @_Z35paged_attention_ll4mi_reduce_kernelI14__hip_bfloat16hLi64ELi64ELi256ELi3EEvPT0_PKfS4_PKT_PKiS9_iS4_
; %bb.0:
	s_load_b64 s[12:13], s[0:1], 0x28
	s_mov_b32 s2, s15
	s_waitcnt lgkmcnt(0)
	s_cmp_lg_u64 s[12:13], 0
	s_cselect_b32 s15, -1, 0
	s_delay_alu instid0(SALU_CYCLE_1)
	s_and_b32 vcc_lo, exec_lo, s15
	s_cbranch_vccz .LBB404_21
; %bb.1:
	s_add_i32 s4, s2, 1
	s_mov_b32 s5, 0
	s_delay_alu instid0(SALU_CYCLE_1) | instskip(SKIP_4) | instid1(SALU_CYCLE_1)
	s_lshl_b64 s[6:7], s[4:5], 2
	s_mov_b32 s3, s5
	s_add_u32 s6, s12, s6
	s_addc_u32 s7, s13, s7
	s_lshl_b64 s[8:9], s[2:3], 2
	s_add_u32 s8, s12, s8
	s_addc_u32 s9, s13, s9
	s_clause 0x1
	s_load_b32 s4, s[6:7], 0x0
	s_load_b32 s6, s[8:9], 0x0
	s_waitcnt lgkmcnt(0)
	s_sub_i32 s4, s4, s6
	s_delay_alu instid0(SALU_CYCLE_1)
	s_cmp_eq_u32 s4, 1
	s_cselect_b32 s4, -1, 0
	s_cbranch_execnz .LBB404_3
.LBB404_2:
	s_mov_b32 s3, 0
	s_mov_b32 s4, -1
.LBB404_3:
	s_delay_alu instid0(SALU_CYCLE_1)
	s_and_not1_b32 vcc_lo, exec_lo, s4
	s_cbranch_vccz .LBB404_5
; %bb.4:
	s_endpgm
.LBB404_5:
	s_clause 0x1
	s_load_b128 s[4:7], s[0:1], 0x18
	s_load_b32 s9, s[0:1], 0x30
	s_lshl_b64 s[16:17], s[2:3], 2
	s_waitcnt lgkmcnt(0)
	s_add_u32 s6, s6, s16
	s_addc_u32 s7, s7, s17
	s_load_b32 s20, s[6:7], 0x0
	s_load_b32 s33, s[0:1], 0x40
	s_mul_i32 s7, s2, s9
	s_waitcnt lgkmcnt(0)
	s_add_i32 s50, s20, 0xff
	s_delay_alu instid0(SALU_CYCLE_1) | instskip(NEXT) | instid1(SALU_CYCLE_1)
	s_ashr_i32 s6, s50, 31
	s_lshr_b32 s6, s6, 24
	s_delay_alu instid0(SALU_CYCLE_1) | instskip(SKIP_4) | instid1(SALU_CYCLE_1)
	s_add_i32 s8, s50, s6
	s_mul_i32 s6, s14, s9
	s_mov_b32 s9, exec_lo
	v_cmpx_lt_u32_e32 31, v0
	s_xor_b32 s9, exec_lo, s9
	s_or_saveexec_b32 s22, s9
	v_mov_b32_e32 v1, s6
	s_ashr_i32 s21, s8, 8
	s_mul_i32 s18, s7, s33
	s_xor_b32 exec_lo, exec_lo, s22
	s_cbranch_execz .LBB404_9
; %bb.6:
	s_load_b128 s[8:11], s[0:1], 0x8
	v_or_b32_e32 v2, 32, v0
	v_cmp_gt_i32_e32 vcc_lo, s21, v0
	s_add_i32 s7, s21, -1
	v_or_b32_e32 v4, 64, v0
	s_mov_b32 s19, 0
	v_cndmask_b32_e32 v1, s7, v0, vcc_lo
	v_cmp_gt_i32_e32 vcc_lo, s21, v2
	s_lshl_b64 s[24:25], s[18:19], 2
	v_cndmask_b32_e32 v3, s7, v2, vcc_lo
	v_cmp_gt_i32_e32 vcc_lo, s21, v4
	v_ashrrev_i32_e32 v2, 31, v1
	v_cndmask_b32_e32 v5, s7, v4, vcc_lo
	s_delay_alu instid0(VALU_DEP_4) | instskip(SKIP_1) | instid1(VALU_DEP_3)
	v_ashrrev_i32_e32 v4, 31, v3
	s_mov_b32 s7, s19
	v_lshlrev_b64 v[1:2], 2, v[1:2]
	s_waitcnt lgkmcnt(0)
	s_add_u32 s19, s10, s24
	v_ashrrev_i32_e32 v6, 31, v5
	s_addc_u32 s23, s11, s25
	s_lshl_b64 s[10:11], s[6:7], 2
	v_lshlrev_b64 v[3:4], 2, v[3:4]
	s_add_u32 s7, s19, s10
	s_addc_u32 s19, s23, s11
	v_add_co_u32 v7, vcc_lo, s7, v1
	v_lshlrev_b64 v[5:6], 2, v[5:6]
	v_add_co_ci_u32_e32 v8, vcc_lo, s19, v2, vcc_lo
	v_add_co_u32 v9, vcc_lo, s7, v3
	v_add_co_ci_u32_e32 v10, vcc_lo, s19, v4, vcc_lo
	s_delay_alu instid0(VALU_DEP_4)
	v_add_co_u32 v11, vcc_lo, s7, v5
	v_add_co_ci_u32_e32 v12, vcc_lo, s19, v6, vcc_lo
	s_clause 0x2
	global_load_b32 v7, v[7:8], off
	global_load_b32 v8, v[9:10], off
	;; [unrolled: 1-line block ×3, first 2 shown]
	s_add_u32 s7, s8, s24
	s_addc_u32 s8, s9, s25
	s_add_u32 s7, s7, s10
	s_addc_u32 s8, s8, s11
	v_add_co_u32 v1, vcc_lo, s7, v1
	v_add_co_ci_u32_e32 v2, vcc_lo, s8, v2, vcc_lo
	v_add_co_u32 v3, vcc_lo, s7, v3
	v_add_co_ci_u32_e32 v4, vcc_lo, s8, v4, vcc_lo
	;; [unrolled: 2-line block ×3, first 2 shown]
	s_clause 0x2
	global_load_b32 v1, v[1:2], off
	global_load_b32 v2, v[3:4], off
	;; [unrolled: 1-line block ×3, first 2 shown]
	v_mbcnt_lo_u32_b32 v4, -1, 0
	s_mov_b32 s7, exec_lo
	s_delay_alu instid0(VALU_DEP_1)
	v_xor_b32_e32 v5, 16, v4
	v_xor_b32_e32 v11, 8, v4
	v_xor_b32_e32 v12, 4, v4
	v_xor_b32_e32 v13, 2, v4
	v_xor_b32_e32 v14, 1, v4
	v_cmp_gt_i32_e32 vcc_lo, 32, v5
	v_cndmask_b32_e32 v5, v4, v5, vcc_lo
	v_cmp_gt_i32_e32 vcc_lo, 32, v11
	v_cndmask_b32_e32 v11, v4, v11, vcc_lo
	v_cmp_gt_i32_e32 vcc_lo, 32, v12
	s_delay_alu instid0(VALU_DEP_4) | instskip(NEXT) | instid1(VALU_DEP_3)
	v_lshlrev_b32_e32 v5, 2, v5
	v_dual_cndmask_b32 v12, v4, v12 :: v_dual_lshlrev_b32 v11, 2, v11
	v_cmp_gt_i32_e32 vcc_lo, 32, v13
	s_delay_alu instid0(VALU_DEP_2)
	v_lshlrev_b32_e32 v12, 2, v12
	s_waitcnt vmcnt(3)
	v_max3_f32 v6, v7, v8, v9
	ds_bpermute_b32 v10, v5, v6
	s_waitcnt lgkmcnt(0)
	v_max_f32_e32 v10, v10, v10
	s_delay_alu instid0(VALU_DEP_1) | instskip(SKIP_3) | instid1(VALU_DEP_1)
	v_max_f32_e32 v6, v6, v10
	ds_bpermute_b32 v10, v11, v6
	s_waitcnt lgkmcnt(0)
	v_max_f32_e32 v10, v10, v10
	v_max_f32_e32 v6, v6, v10
	ds_bpermute_b32 v10, v12, v6
	s_waitcnt lgkmcnt(0)
	v_dual_max_f32 v10, v10, v10 :: v_dual_cndmask_b32 v13, v4, v13
	v_cmp_gt_i32_e32 vcc_lo, 32, v14
	s_delay_alu instid0(VALU_DEP_2)
	v_dual_max_f32 v6, v6, v10 :: v_dual_lshlrev_b32 v13, 2, v13
	v_cndmask_b32_e32 v4, v4, v14, vcc_lo
	ds_bpermute_b32 v10, v13, v6
	v_lshlrev_b32_e32 v4, 2, v4
	s_waitcnt lgkmcnt(0)
	v_max_f32_e32 v10, v10, v10
	s_delay_alu instid0(VALU_DEP_1) | instskip(SKIP_3) | instid1(VALU_DEP_1)
	v_max_f32_e32 v6, v6, v10
	ds_bpermute_b32 v10, v4, v6
	s_waitcnt lgkmcnt(0)
	v_max_f32_e32 v10, v10, v10
	v_max_f32_e32 v6, v6, v10
	s_delay_alu instid0(VALU_DEP_1) | instskip(NEXT) | instid1(VALU_DEP_1)
	v_sub_f32_e32 v8, v8, v6
	v_mul_f32_e32 v10, 0x3fb8aa3b, v8
	s_delay_alu instid0(VALU_DEP_1) | instskip(SKIP_1) | instid1(VALU_DEP_2)
	v_fma_f32 v17, 0x3fb8aa3b, v8, -v10
	v_rndne_f32_e32 v18, v10
	v_fmac_f32_e32 v17, 0x32a5705f, v8
	v_sub_f32_e32 v7, v7, v6
	s_delay_alu instid0(VALU_DEP_1) | instskip(SKIP_1) | instid1(VALU_DEP_1)
	v_cmp_ngt_f32_e32 vcc_lo, 0xc2ce8ed0, v7
	v_dual_sub_f32 v6, v9, v6 :: v_dual_mul_f32 v9, 0x3fb8aa3b, v7
	v_fma_f32 v15, 0x3fb8aa3b, v7, -v9
	v_rndne_f32_e32 v16, v9
	s_delay_alu instid0(VALU_DEP_2) | instskip(NEXT) | instid1(VALU_DEP_2)
	v_fmac_f32_e32 v15, 0x32a5705f, v7
	v_sub_f32_e32 v9, v9, v16
	s_delay_alu instid0(VALU_DEP_1) | instskip(SKIP_2) | instid1(VALU_DEP_3)
	v_add_f32_e32 v9, v9, v15
	v_cvt_i32_f32_e32 v15, v16
	v_cvt_i32_f32_e32 v16, v18
	v_exp_f32_e32 v9, v9
	s_waitcnt_depctr 0xfff
	v_ldexp_f32 v9, v9, v15
	v_sub_nc_u32_e32 v15, s21, v0
	s_delay_alu instid0(VALU_DEP_2) | instskip(SKIP_2) | instid1(VALU_DEP_3)
	v_dual_cndmask_b32 v9, 0, v9 :: v_dual_mul_f32 v14, 0x3fb8aa3b, v6
	v_sub_f32_e32 v10, v10, v18
	v_cmp_ngt_f32_e32 vcc_lo, 0xc2ce8ed0, v8
	v_fma_f32 v19, 0x3fb8aa3b, v6, -v14
	v_rndne_f32_e32 v20, v14
	s_delay_alu instid0(VALU_DEP_2) | instskip(NEXT) | instid1(VALU_DEP_2)
	v_dual_add_f32 v10, v10, v17 :: v_dual_fmac_f32 v19, 0x32a5705f, v6
	v_sub_f32_e32 v14, v14, v20
	s_delay_alu instid0(VALU_DEP_2) | instskip(SKIP_1) | instid1(VALU_DEP_2)
	v_exp_f32_e32 v10, v10
	v_cvt_i32_f32_e32 v17, v20
	v_add_f32_e32 v14, v14, v19
	s_delay_alu instid0(VALU_DEP_1) | instskip(SKIP_2) | instid1(VALU_DEP_1)
	v_exp_f32_e32 v14, v14
	s_waitcnt_depctr 0xfff
	v_ldexp_f32 v10, v10, v16
	v_cndmask_b32_e32 v10, 0, v10, vcc_lo
	v_cmp_ngt_f32_e32 vcc_lo, 0xc2ce8ed0, v6
	v_ldexp_f32 v14, v14, v17
	s_delay_alu instid0(VALU_DEP_1)
	v_cndmask_b32_e32 v14, 0, v14, vcc_lo
	v_cmp_nlt_f32_e32 vcc_lo, 0x42b17218, v7
	v_cndmask_b32_e32 v7, 0x7f800000, v9, vcc_lo
	v_cmp_nlt_f32_e32 vcc_lo, 0x42b17218, v8
	;; [unrolled: 2-line block ×3, first 2 shown]
	v_cndmask_b32_e32 v6, 0x7f800000, v14, vcc_lo
	v_cmp_lt_i32_e32 vcc_lo, 0, v15
	v_cndmask_b32_e32 v7, 0, v7, vcc_lo
	v_cmp_lt_i32_e32 vcc_lo, 32, v15
	s_waitcnt vmcnt(2)
	s_delay_alu instid0(VALU_DEP_2) | instskip(SKIP_2) | instid1(VALU_DEP_2)
	v_dual_mul_f32 v7, v1, v7 :: v_dual_cndmask_b32 v8, 0, v8
	v_cmp_lt_i32_e32 vcc_lo, 64, v15
	s_waitcnt vmcnt(1)
	v_mul_f32_e32 v8, v2, v8
	s_delay_alu instid0(VALU_DEP_1) | instskip(SKIP_1) | instid1(VALU_DEP_1)
	v_dual_cndmask_b32 v6, 0, v6 :: v_dual_add_f32 v1, v7, v8
	s_waitcnt vmcnt(0)
	v_mul_f32_e32 v3, v3, v6
	s_delay_alu instid0(VALU_DEP_1)
	v_add_f32_e32 v1, v1, v3
	ds_bpermute_b32 v2, v5, v1
	s_waitcnt lgkmcnt(0)
	v_add_f32_e32 v1, v1, v2
	ds_bpermute_b32 v2, v11, v1
	s_waitcnt lgkmcnt(0)
	;; [unrolled: 3-line block ×4, first 2 shown]
	v_add_f32_e32 v1, v1, v2
	ds_bpermute_b32 v2, v4, v1
	v_lshlrev_b32_e32 v4, 2, v0
	ds_store_2addr_b32 v4, v7, v8 offset1:32
	ds_store_b32 v4, v3 offset:256
	v_cmpx_eq_u32_e32 0, v0
	s_cbranch_execz .LBB404_8
; %bb.7:
	s_waitcnt lgkmcnt(2)
	v_dual_add_f32 v1, v1, v2 :: v_dual_mov_b32 v2, 0
	ds_store_b32 v2, v1 offset:384
.LBB404_8:
	s_or_b32 exec_lo, exec_lo, s7
	v_mov_b32_e32 v1, s6
.LBB404_9:
	s_or_b32 exec_lo, exec_lo, s22
	s_lshl_b32 s6, s18, 6
	s_mov_b32 s7, 0
	s_waitcnt lgkmcnt(2)
	v_dual_mov_b32 v2, 0 :: v_dual_lshlrev_b32 v1, 6, v1
	s_lshl_b64 s[6:7], s[6:7], 1
	v_dual_mov_b32 v33, 0 :: v_dual_mov_b32 v34, 0
	s_add_u32 s34, s4, s6
	s_addc_u32 s35, s5, s7
	s_lshl_b32 s4, s21, 6
	v_lshlrev_b64 v[3:4], 1, v[1:2]
	s_sub_i32 s51, s4, 64
	s_cmpk_lt_i32 s50, 0x100
	v_lshlrev_b32_e32 v1, 1, v0
	s_cselect_b32 s4, s51, 0
	v_mov_b32_e32 v35, 0
	s_ashr_i32 s5, s4, 31
	v_add_co_u32 v3, vcc_lo, s34, v3
	s_lshl_b64 s[4:5], s[4:5], 1
	s_cmpk_lt_i32 s50, 0x200
	v_add_co_ci_u32_e32 v4, vcc_lo, s35, v4, vcc_lo
	s_cselect_b32 s6, s51, 64
	v_add_co_u32 v1, vcc_lo, v3, v1
	s_ashr_i32 s7, s6, 31
	s_delay_alu instid0(VALU_DEP_2)
	v_add_co_ci_u32_e32 v3, vcc_lo, 0, v4, vcc_lo
	s_lshl_b64 s[6:7], s[6:7], 1
	s_cmpk_lt_i32 s50, 0x300
	v_add_co_u32 v4, vcc_lo, v1, s4
	s_cselect_b32 s8, s51, 0x80
	v_add_co_ci_u32_e32 v5, vcc_lo, s5, v3, vcc_lo
	s_ashr_i32 s9, s8, 31
	v_add_co_u32 v6, vcc_lo, v1, s6
	s_lshl_b64 s[8:9], s[8:9], 1
	s_cmpk_lt_i32 s50, 0x400
	v_add_co_ci_u32_e32 v7, vcc_lo, s7, v3, vcc_lo
	s_cselect_b32 s10, s51, 0xc0
	v_add_co_u32 v8, vcc_lo, v1, s8
	s_ashr_i32 s11, s10, 31
	v_add_co_ci_u32_e32 v9, vcc_lo, s9, v3, vcc_lo
	s_lshl_b64 s[10:11], s[10:11], 1
	s_cmpk_lt_i32 s50, 0x500
	v_add_co_u32 v14, vcc_lo, v1, s10
	s_cselect_b32 s18, s51, 0x100
	v_add_co_ci_u32_e32 v15, vcc_lo, s11, v3, vcc_lo
	s_ashr_i32 s19, s18, 31
	v_mov_b32_e32 v32, 0
	s_lshl_b64 s[18:19], s[18:19], 1
	s_cmpk_lt_i32 s50, 0x600
	v_add_co_u32 v16, vcc_lo, v1, s18
	s_cselect_b32 s22, s51, 0x140
	v_add_co_ci_u32_e32 v17, vcc_lo, s19, v3, vcc_lo
	s_ashr_i32 s23, s22, 31
	s_delay_alu instid0(SALU_CYCLE_1)
	s_lshl_b64 s[22:23], s[22:23], 1
	s_cmpk_lt_i32 s50, 0x700
	v_add_co_u32 v18, vcc_lo, v1, s22
	s_cselect_b32 s24, s51, 0x180
	v_add_co_ci_u32_e32 v19, vcc_lo, s23, v3, vcc_lo
	s_ashr_i32 s25, s24, 31
	s_delay_alu instid0(SALU_CYCLE_1)
	;; [unrolled: 7-line block ×3, first 2 shown]
	s_lshl_b64 s[26:27], s[26:27], 1
	s_cmpk_lt_i32 s50, 0x900
	v_add_co_u32 v22, vcc_lo, v1, s26
	s_cselect_b32 s28, s51, 0x200
	v_add_co_ci_u32_e32 v23, vcc_lo, s27, v3, vcc_lo
	s_ashr_i32 s29, s28, 31
	s_clause 0x7
	global_load_u16 v13, v[4:5], off
	global_load_u16 v4, v[6:7], off
	;; [unrolled: 1-line block ×8, first 2 shown]
	s_lshl_b64 s[28:29], s[28:29], 1
	s_cmpk_lt_i32 s50, 0xa00
	v_add_co_u32 v14, vcc_lo, v1, s28
	s_cselect_b32 s30, s51, 0x240
	v_add_co_ci_u32_e32 v15, vcc_lo, s29, v3, vcc_lo
	s_ashr_i32 s31, s30, 31
	s_delay_alu instid0(SALU_CYCLE_1)
	s_lshl_b64 s[30:31], s[30:31], 1
	s_cmpk_lt_i32 s50, 0xb00
	v_add_co_u32 v16, vcc_lo, v1, s30
	s_cselect_b32 s34, s51, 0x280
	v_add_co_ci_u32_e32 v17, vcc_lo, s31, v3, vcc_lo
	s_ashr_i32 s35, s34, 31
	s_delay_alu instid0(SALU_CYCLE_1)
	;; [unrolled: 7-line block ×7, first 2 shown]
	s_lshl_b64 s[4:5], s[6:7], 1
	s_cmpk_gt_i32 s20, 0x1000
	v_add_co_u32 v30, vcc_lo, v1, s4
	v_add_co_ci_u32_e32 v31, vcc_lo, s5, v3, vcc_lo
	s_clause 0x7
	global_load_u16 v19, v[14:15], off
	global_load_u16 v18, v[16:17], off
	;; [unrolled: 1-line block ×8, first 2 shown]
	v_dual_mov_b32 v20, 0 :: v_dual_mov_b32 v21, 0
	v_dual_mov_b32 v22, 0 :: v_dual_mov_b32 v23, 0
	;; [unrolled: 1-line block ×6, first 2 shown]
	s_cselect_b32 s6, -1, 0
	s_cmpk_lt_i32 s20, 0x1001
	s_waitcnt vmcnt(0) lgkmcnt(0)
	s_barrier
	buffer_gl0_inv
	s_cbranch_scc1 .LBB404_11
; %bb.10:
	s_cmpk_lt_i32 s50, 0x1100
	s_cselect_b32 s4, s51, 0x400
	s_delay_alu instid0(SALU_CYCLE_1) | instskip(NEXT) | instid1(SALU_CYCLE_1)
	s_ashr_i32 s5, s4, 31
	s_lshl_b64 s[4:5], s[4:5], 1
	s_cmpk_lt_i32 s50, 0x1200
	v_add_co_u32 v20, vcc_lo, v1, s4
	s_cselect_b32 s8, s51, 0x440
	v_add_co_ci_u32_e32 v21, vcc_lo, s5, v3, vcc_lo
	s_ashr_i32 s9, s8, 31
	s_delay_alu instid0(SALU_CYCLE_1)
	s_lshl_b64 s[8:9], s[8:9], 1
	s_cmpk_lt_i32 s50, 0x1300
	v_add_co_u32 v22, vcc_lo, v1, s8
	s_cselect_b32 s10, s51, 0x480
	v_add_co_ci_u32_e32 v23, vcc_lo, s9, v3, vcc_lo
	s_ashr_i32 s11, s10, 31
	s_delay_alu instid0(SALU_CYCLE_1)
	;; [unrolled: 7-line block ×14, first 2 shown]
	s_lshl_b64 s[4:5], s[18:19], 1
	s_cmpk_lt_i32 s50, 0x2000
	v_add_co_u32 v48, vcc_lo, v1, s4
	s_cselect_b32 s8, s51, 0x7c0
	v_add_co_ci_u32_e32 v49, vcc_lo, s5, v3, vcc_lo
	s_ashr_i32 s9, s8, 31
	s_delay_alu instid0(SALU_CYCLE_1) | instskip(NEXT) | instid1(SALU_CYCLE_1)
	s_lshl_b64 s[4:5], s[8:9], 1
	v_add_co_u32 v50, vcc_lo, v1, s4
	v_add_co_ci_u32_e32 v51, vcc_lo, s5, v3, vcc_lo
	s_clause 0xf
	global_load_u16 v20, v[20:21], off
	global_load_u16 v21, v[22:23], off
	;; [unrolled: 1-line block ×16, first 2 shown]
	s_waitcnt vmcnt(15)
	v_lshlrev_b32_e32 v35, 16, v20
	s_waitcnt vmcnt(14)
	v_lshlrev_b32_e32 v34, 16, v21
	;; [unrolled: 2-line block ×16, first 2 shown]
.LBB404_11:
	ds_load_b128 v[36:39], v2
	ds_load_b128 v[40:43], v2 offset:16
	v_lshlrev_b32_e32 v44, 16, v4
	v_lshlrev_b32_e32 v13, 16, v13
	;; [unrolled: 1-line block ×4, first 2 shown]
	s_and_not1_b32 vcc_lo, exec_lo, s6
	v_lshlrev_b32_e32 v5, 16, v5
	s_waitcnt lgkmcnt(1)
	v_fma_f32 v4, v36, v13, 0
	s_delay_alu instid0(VALU_DEP_1) | instskip(SKIP_1) | instid1(VALU_DEP_1)
	v_dual_fmac_f32 v4, v37, v44 :: v_dual_lshlrev_b32 v9, 16, v9
	v_lshlrev_b32_e32 v11, 16, v11
	v_dual_fmac_f32 v4, v38, v11 :: v_dual_lshlrev_b32 v11, 16, v18
	s_delay_alu instid0(VALU_DEP_1) | instskip(SKIP_3) | instid1(VALU_DEP_1)
	v_dual_fmac_f32 v4, v39, v9 :: v_dual_lshlrev_b32 v7, 16, v7
	ds_load_b128 v[36:39], v2 offset:32
	s_waitcnt lgkmcnt(1)
	v_dual_fmac_f32 v4, v40, v8 :: v_dual_lshlrev_b32 v9, 16, v19
	v_fmac_f32_e32 v4, v41, v7
	s_delay_alu instid0(VALU_DEP_1) | instskip(NEXT) | instid1(VALU_DEP_1)
	v_fmac_f32_e32 v4, v42, v6
	v_fmac_f32_e32 v4, v43, v5
	ds_load_b128 v[5:8], v2 offset:48
	s_waitcnt lgkmcnt(1)
	v_fmac_f32_e32 v4, v36, v9
	s_delay_alu instid0(VALU_DEP_1) | instskip(NEXT) | instid1(VALU_DEP_1)
	v_dual_fmac_f32 v4, v37, v11 :: v_dual_lshlrev_b32 v9, 16, v17
	v_dual_fmac_f32 v4, v38, v9 :: v_dual_lshlrev_b32 v11, 16, v16
	v_lshlrev_b32_e32 v9, 16, v15
	s_delay_alu instid0(VALU_DEP_2) | instskip(SKIP_1) | instid1(VALU_DEP_1)
	v_dual_fmac_f32 v4, v39, v11 :: v_dual_lshlrev_b32 v11, 16, v14
	s_waitcnt lgkmcnt(0)
	v_dual_fmac_f32 v4, v5, v9 :: v_dual_lshlrev_b32 v5, 16, v12
	s_delay_alu instid0(VALU_DEP_1) | instskip(NEXT) | instid1(VALU_DEP_1)
	v_fmac_f32_e32 v4, v6, v11
	v_dual_fmac_f32 v4, v7, v5 :: v_dual_lshlrev_b32 v5, 16, v10
	s_delay_alu instid0(VALU_DEP_1)
	v_fmac_f32_e32 v4, v8, v5
	s_cbranch_vccz .LBB404_22
; %bb.12:
	s_cmpk_lt_i32 s50, 0x2100
	s_cbranch_scc0 .LBB404_23
.LBB404_13:
	s_cmpk_lt_i32 s50, 0x4100
	s_cbranch_scc0 .LBB404_24
.LBB404_14:
	v_mov_b32_e32 v1, 0
	s_and_not1_b32 vcc_lo, exec_lo, s15
	ds_load_b32 v1, v1 offset:384
	s_cbranch_vccnz .LBB404_16
.LBB404_15:
	s_add_u32 s2, s12, s16
	s_addc_u32 s3, s13, s17
	s_load_b32 s2, s[2:3], 0x0
	s_mov_b32 s3, 0
.LBB404_16:
	s_waitcnt lgkmcnt(0)
	v_add_f32_e32 v1, 0x358637bd, v1
	s_load_b64 s[0:1], s[0:1], 0x0
	s_delay_alu instid0(VALU_DEP_1) | instskip(NEXT) | instid1(VALU_DEP_1)
	v_div_scale_f32 v2, null, v1, v1, 1.0
	v_rcp_f32_e32 v3, v2
	s_waitcnt_depctr 0xfff
	v_fma_f32 v5, -v2, v3, 1.0
	s_delay_alu instid0(VALU_DEP_1) | instskip(SKIP_1) | instid1(VALU_DEP_1)
	v_fmac_f32_e32 v3, v5, v3
	v_div_scale_f32 v5, vcc_lo, 1.0, v1, 1.0
	v_mul_f32_e32 v6, v5, v3
	s_delay_alu instid0(VALU_DEP_1) | instskip(NEXT) | instid1(VALU_DEP_1)
	v_fma_f32 v7, -v2, v6, v5
	v_fmac_f32_e32 v6, v7, v3
	s_delay_alu instid0(VALU_DEP_1) | instskip(NEXT) | instid1(VALU_DEP_1)
	v_fma_f32 v2, -v2, v6, v5
	v_div_fmas_f32 v2, v2, v3, v6
	s_delay_alu instid0(VALU_DEP_1) | instskip(NEXT) | instid1(VALU_DEP_1)
	v_div_fixup_f32 v1, v2, v1, 1.0
	v_mul_f32_e32 v2, v4, v1
	s_delay_alu instid0(VALU_DEP_1) | instskip(NEXT) | instid1(VALU_DEP_1)
	v_and_b32_e32 v1, 0x7f800000, v2
	v_cmp_ne_u32_e32 vcc_lo, 0x7f800000, v1
                                        ; implicit-def: $vgpr1
	s_and_saveexec_b32 s4, vcc_lo
	s_delay_alu instid0(SALU_CYCLE_1)
	s_xor_b32 s4, exec_lo, s4
; %bb.17:
	v_bfe_u32 v1, v2, 16, 1
	s_delay_alu instid0(VALU_DEP_1)
	v_add3_u32 v1, v2, v1, 0x7fff
                                        ; implicit-def: $vgpr2
; %bb.18:
	s_and_not1_saveexec_b32 s4, s4
; %bb.19:
	v_and_b32_e32 v1, 0xffff, v2
	v_or_b32_e32 v3, 0x10000, v2
	s_delay_alu instid0(VALU_DEP_2) | instskip(NEXT) | instid1(VALU_DEP_2)
	v_cmp_eq_u32_e32 vcc_lo, 0, v1
	v_cndmask_b32_e32 v1, v3, v2, vcc_lo
; %bb.20:
	s_or_b32 exec_lo, exec_lo, s4
	s_mul_i32 s3, s33, s3
	s_mul_hi_u32 s4, s33, s2
	s_mul_i32 s2, s33, s2
	s_add_i32 s3, s4, s3
	s_mov_b32 s15, 0
	s_lshl_b64 s[2:3], s[2:3], 6
	v_and_b32_e32 v1, 0xffff0000, v1
	s_waitcnt lgkmcnt(0)
	s_add_u32 s2, s0, s2
	s_addc_u32 s3, s1, s3
	s_lshl_b64 s[0:1], s[14:15], 6
	s_delay_alu instid0(SALU_CYCLE_1)
	s_add_u32 s0, s2, s0
	s_addc_u32 s1, s3, s1
	v_add_co_u32 v0, s0, s0, v0
	v_cvt_i32_f32_e32 v2, v1
	v_add_co_ci_u32_e64 v1, null, s1, 0, s0
	global_store_b8 v[0:1], v2, off
	s_nop 0
	s_sendmsg sendmsg(MSG_DEALLOC_VGPRS)
	s_endpgm
.LBB404_21:
	s_mov_b32 s4, 0
	s_branch .LBB404_2
.LBB404_22:
	ds_load_b128 v[5:8], v2 offset:64
	ds_load_b128 v[9:12], v2 offset:80
	s_waitcnt lgkmcnt(1)
	v_fmac_f32_e32 v4, v5, v35
	s_delay_alu instid0(VALU_DEP_1) | instskip(NEXT) | instid1(VALU_DEP_1)
	v_fmac_f32_e32 v4, v6, v34
	v_fmac_f32_e32 v4, v7, v33
	s_delay_alu instid0(VALU_DEP_1) | instskip(SKIP_3) | instid1(VALU_DEP_1)
	v_fmac_f32_e32 v4, v8, v32
	ds_load_b128 v[5:8], v2 offset:96
	s_waitcnt lgkmcnt(1)
	v_fmac_f32_e32 v4, v9, v31
	v_fmac_f32_e32 v4, v10, v30
	s_delay_alu instid0(VALU_DEP_1) | instskip(NEXT) | instid1(VALU_DEP_1)
	v_fmac_f32_e32 v4, v11, v29
	v_fmac_f32_e32 v4, v12, v28
	ds_load_b128 v[9:12], v2 offset:112
	s_waitcnt lgkmcnt(1)
	v_fmac_f32_e32 v4, v5, v27
	s_delay_alu instid0(VALU_DEP_1) | instskip(NEXT) | instid1(VALU_DEP_1)
	v_fmac_f32_e32 v4, v6, v26
	v_fmac_f32_e32 v4, v7, v25
	s_delay_alu instid0(VALU_DEP_1) | instskip(SKIP_1) | instid1(VALU_DEP_1)
	v_fmac_f32_e32 v4, v8, v24
	s_waitcnt lgkmcnt(0)
	v_fmac_f32_e32 v4, v9, v23
	s_delay_alu instid0(VALU_DEP_1) | instskip(NEXT) | instid1(VALU_DEP_1)
	v_fmac_f32_e32 v4, v10, v22
	v_fmac_f32_e32 v4, v11, v21
	s_delay_alu instid0(VALU_DEP_1)
	v_fmac_f32_e32 v4, v12, v20
	s_cmpk_lt_i32 s50, 0x2100
	s_cbranch_scc1 .LBB404_13
.LBB404_23:
	s_cmpk_lt_u32 s50, 0x2200
	v_add_co_u32 v5, vcc_lo, 0x1000, v1
	s_cselect_b32 s4, s51, 0x840
	v_add_co_ci_u32_e32 v6, vcc_lo, 0, v3, vcc_lo
	s_ashr_i32 s5, s4, 31
	v_mov_b32_e32 v44, 0
	s_lshl_b64 s[4:5], s[4:5], 1
	s_cmpk_lt_u32 s50, 0x2300
	global_load_u16 v2, v[5:6], off
	s_cselect_b32 s6, s51, 0x880
	v_add_co_u32 v5, vcc_lo, v1, s4
	s_ashr_i32 s7, s6, 31
	v_add_co_ci_u32_e32 v6, vcc_lo, s5, v3, vcc_lo
	s_lshl_b64 s[8:9], s[6:7], 1
	s_cmpk_lt_u32 s50, 0x2400
	v_add_co_u32 v7, vcc_lo, v1, s8
	s_cselect_b32 s6, s51, 0x8c0
	v_add_co_ci_u32_e32 v8, vcc_lo, s9, v3, vcc_lo
	s_ashr_i32 s7, s6, 31
	s_delay_alu instid0(SALU_CYCLE_1)
	s_lshl_b64 s[18:19], s[6:7], 1
	s_cmpk_lt_u32 s50, 0x2500
	v_add_co_u32 v9, vcc_lo, v1, s18
	s_cselect_b32 s6, s51, 0x900
	v_add_co_ci_u32_e32 v10, vcc_lo, s19, v3, vcc_lo
	s_ashr_i32 s7, s6, 31
	s_delay_alu instid0(SALU_CYCLE_1)
	s_lshl_b64 s[24:25], s[6:7], 1
	s_cmpk_lt_u32 s50, 0x2600
	v_add_co_u32 v11, vcc_lo, v1, s24
	s_cselect_b32 s6, s51, 0x940
	v_add_co_ci_u32_e32 v12, vcc_lo, s25, v3, vcc_lo
	s_ashr_i32 s7, s6, 31
	s_clause 0x3
	global_load_u16 v13, v[5:6], off
	global_load_u16 v14, v[7:8], off
	;; [unrolled: 1-line block ×4, first 2 shown]
	s_lshl_b64 s[6:7], s[6:7], 1
	s_cmpk_lt_u32 s50, 0x2700
	v_add_co_u32 v5, vcc_lo, v1, s6
	s_cselect_b32 s10, s51, 0x980
	v_add_co_ci_u32_e32 v6, vcc_lo, s7, v3, vcc_lo
	s_ashr_i32 s11, s10, 31
	s_delay_alu instid0(SALU_CYCLE_1)
	s_lshl_b64 s[10:11], s[10:11], 1
	s_cmpk_lt_u32 s50, 0x2800
	v_add_co_u32 v7, vcc_lo, v1, s10
	s_cselect_b32 s20, s51, 0x9c0
	v_add_co_ci_u32_e32 v8, vcc_lo, s11, v3, vcc_lo
	s_ashr_i32 s21, s20, 31
	s_delay_alu instid0(SALU_CYCLE_1)
	;; [unrolled: 7-line block ×3, first 2 shown]
	s_lshl_b64 s[30:31], s[20:21], 1
	s_cmpk_lt_u32 s50, 0x2a00
	v_add_co_u32 v11, vcc_lo, v1, s30
	s_cselect_b32 s20, s51, 0xa40
	v_add_co_ci_u32_e32 v12, vcc_lo, s31, v3, vcc_lo
	s_ashr_i32 s21, s20, 31
	s_clause 0x3
	global_load_u16 v17, v[5:6], off
	global_load_u16 v18, v[7:8], off
	;; [unrolled: 1-line block ×4, first 2 shown]
	s_lshl_b64 s[20:21], s[20:21], 1
	s_cmpk_lt_u32 s50, 0x2b00
	v_add_co_u32 v5, vcc_lo, v1, s20
	s_cselect_b32 s26, s51, 0xa80
	v_add_co_ci_u32_e32 v6, vcc_lo, s21, v3, vcc_lo
	s_ashr_i32 s27, s26, 31
	s_delay_alu instid0(SALU_CYCLE_1)
	s_lshl_b64 s[26:27], s[26:27], 1
	s_cmpk_lt_u32 s50, 0x2c00
	v_add_co_u32 v7, vcc_lo, v1, s26
	s_cselect_b32 s28, s51, 0xac0
	v_add_co_ci_u32_e32 v8, vcc_lo, s27, v3, vcc_lo
	s_ashr_i32 s29, s28, 31
	global_load_u16 v21, v[5:6], off
	s_lshl_b64 s[34:35], s[28:29], 1
	s_cmpk_lt_u32 s50, 0x2d00
	v_add_co_u32 v9, vcc_lo, v1, s34
	s_cselect_b32 s28, s51, 0xb00
	v_add_co_ci_u32_e32 v10, vcc_lo, s35, v3, vcc_lo
	s_ashr_i32 s29, s28, 31
	s_delay_alu instid0(SALU_CYCLE_1)
	s_lshl_b64 s[38:39], s[28:29], 1
	s_cmpk_lt_u32 s50, 0x2e00
	v_add_co_u32 v11, vcc_lo, v1, s38
	s_cselect_b32 s28, s51, 0xb40
	v_add_co_ci_u32_e32 v12, vcc_lo, s39, v3, vcc_lo
	s_ashr_i32 s29, s28, 31
	s_clause 0x2
	global_load_u16 v22, v[7:8], off
	global_load_u16 v23, v[9:10], off
	;; [unrolled: 1-line block ×3, first 2 shown]
	s_lshl_b64 s[28:29], s[28:29], 1
	s_cmpk_lt_u32 s50, 0x2f00
	v_add_co_u32 v5, vcc_lo, v1, s28
	s_cselect_b32 s36, s51, 0xb80
	v_add_co_ci_u32_e32 v6, vcc_lo, s29, v3, vcc_lo
	s_ashr_i32 s37, s36, 31
	s_delay_alu instid0(SALU_CYCLE_1)
	s_lshl_b64 s[36:37], s[36:37], 1
	s_cmpk_lt_u32 s50, 0x3000
	v_add_co_u32 v7, vcc_lo, v1, s36
	s_cselect_b32 s40, s51, 0xbc0
	v_add_co_ci_u32_e32 v8, vcc_lo, s37, v3, vcc_lo
	s_ashr_i32 s41, s40, 31
	global_load_u16 v25, v[5:6], off
	s_lshl_b64 s[40:41], s[40:41], 1
	global_load_u16 v26, v[7:8], off
	s_cmpk_lt_u32 s50, 0x3100
	v_add_co_u32 v9, vcc_lo, v1, s40
	s_cselect_b32 s42, s51, 0xc00
	v_add_co_ci_u32_e32 v10, vcc_lo, s41, v3, vcc_lo
	s_ashr_i32 s43, s42, 31
	s_delay_alu instid0(SALU_CYCLE_1)
	s_lshl_b64 s[42:43], s[42:43], 1
	global_load_u16 v27, v[9:10], off
	s_cmpk_lt_u32 s50, 0x3200
	v_add_co_u32 v5, vcc_lo, v1, s42
	s_cselect_b32 s44, s51, 0xc40
	v_add_co_ci_u32_e32 v6, vcc_lo, s43, v3, vcc_lo
	s_ashr_i32 s45, s44, 31
	s_delay_alu instid0(SALU_CYCLE_1)
	s_lshl_b64 s[44:45], s[44:45], 1
	s_cmpk_lt_u32 s50, 0x3300
	v_add_co_u32 v7, vcc_lo, v1, s44
	s_cselect_b32 s46, s51, 0xc80
	v_add_co_ci_u32_e32 v8, vcc_lo, s45, v3, vcc_lo
	s_ashr_i32 s47, s46, 31
	global_load_u16 v28, v[5:6], off
	s_lshl_b64 s[46:47], s[46:47], 1
	global_load_u16 v29, v[7:8], off
	s_cmpk_lt_u32 s50, 0x3400
	v_add_co_u32 v9, vcc_lo, v1, s46
	s_cselect_b32 s48, s51, 0xcc0
	v_add_co_ci_u32_e32 v10, vcc_lo, s47, v3, vcc_lo
	s_ashr_i32 s49, s48, 31
	s_delay_alu instid0(SALU_CYCLE_1)
	s_lshl_b64 s[48:49], s[48:49], 1
	s_cmpk_lt_u32 s50, 0x3500
	v_add_co_u32 v5, vcc_lo, v1, s48
	s_cselect_b32 s4, s51, 0xd00
	v_add_co_ci_u32_e32 v6, vcc_lo, s49, v3, vcc_lo
	s_ashr_i32 s5, s4, 31
	global_load_u16 v30, v[9:10], off
	s_lshl_b64 s[4:5], s[4:5], 1
	s_cmpk_lt_u32 s50, 0x3600
	v_add_co_u32 v7, vcc_lo, v1, s4
	s_cselect_b32 s8, s51, 0xd40
	v_add_co_ci_u32_e32 v8, vcc_lo, s5, v3, vcc_lo
	s_ashr_i32 s9, s8, 31
	global_load_u16 v31, v[5:6], off
	s_lshl_b64 s[6:7], s[8:9], 1
	global_load_u16 v32, v[7:8], off
	s_cmpk_lt_u32 s50, 0x3700
	v_add_co_u32 v5, vcc_lo, v1, s6
	s_cselect_b32 s8, s51, 0xd80
	v_add_co_ci_u32_e32 v6, vcc_lo, s7, v3, vcc_lo
	s_ashr_i32 s9, s8, 31
	s_delay_alu instid0(SALU_CYCLE_1)
	s_lshl_b64 s[8:9], s[8:9], 1
	s_cmpk_lt_u32 s50, 0x3800
	v_add_co_u32 v7, vcc_lo, v1, s8
	s_cselect_b32 s10, s51, 0xdc0
	v_add_co_ci_u32_e32 v8, vcc_lo, s9, v3, vcc_lo
	s_ashr_i32 s11, s10, 31
	global_load_u16 v33, v[5:6], off
	s_lshl_b64 s[10:11], s[10:11], 1
	global_load_u16 v34, v[7:8], off
	s_cmpk_lt_u32 s50, 0x3900
	v_add_co_u32 v5, vcc_lo, v1, s10
	s_cselect_b32 s18, s51, 0xe00
	v_add_co_ci_u32_e32 v6, vcc_lo, s11, v3, vcc_lo
	s_ashr_i32 s19, s18, 31
	s_delay_alu instid0(SALU_CYCLE_1)
	s_lshl_b64 s[18:19], s[18:19], 1
	s_cmpk_lt_u32 s50, 0x3a00
	v_add_co_u32 v7, vcc_lo, v1, s18
	s_cselect_b32 s20, s51, 0xe40
	v_add_co_ci_u32_e32 v8, vcc_lo, s19, v3, vcc_lo
	s_ashr_i32 s21, s20, 31
	global_load_u16 v35, v[5:6], off
	s_lshl_b64 s[20:21], s[20:21], 1
	global_load_u16 v36, v[7:8], off
	s_cmpk_lt_u32 s50, 0x3b00
	v_add_co_u32 v5, vcc_lo, v1, s20
	s_cselect_b32 s22, s51, 0xe80
	v_add_co_ci_u32_e32 v6, vcc_lo, s21, v3, vcc_lo
	s_ashr_i32 s23, s22, 31
	s_delay_alu instid0(SALU_CYCLE_1)
	s_lshl_b64 s[22:23], s[22:23], 1
	s_cmpk_lt_u32 s50, 0x3c00
	v_add_co_u32 v7, vcc_lo, v1, s22
	s_cselect_b32 s24, s51, 0xec0
	v_add_co_ci_u32_e32 v8, vcc_lo, s23, v3, vcc_lo
	s_ashr_i32 s25, s24, 31
	global_load_u16 v37, v[5:6], off
	s_lshl_b64 s[24:25], s[24:25], 1
	global_load_u16 v38, v[7:8], off
	s_cmpk_lt_u32 s50, 0x3d00
	v_add_co_u32 v5, vcc_lo, v1, s24
	s_cselect_b32 s4, s51, 0xf00
	v_add_co_ci_u32_e32 v6, vcc_lo, s25, v3, vcc_lo
	s_ashr_i32 s5, s4, 31
	s_delay_alu instid0(SALU_CYCLE_1)
	s_lshl_b64 s[4:5], s[4:5], 1
	s_cmpk_lt_u32 s50, 0x3e00
	v_add_co_u32 v7, vcc_lo, v1, s4
	s_cselect_b32 s6, s51, 0xf40
	v_add_co_ci_u32_e32 v8, vcc_lo, s5, v3, vcc_lo
	s_ashr_i32 s7, s6, 31
	global_load_u16 v39, v[5:6], off
	s_lshl_b64 s[6:7], s[6:7], 1
	global_load_u16 v40, v[7:8], off
	s_cmpk_lt_u32 s50, 0x3f00
	v_add_co_u32 v5, vcc_lo, v1, s6
	s_cselect_b32 s8, s51, 0xf80
	v_add_co_ci_u32_e32 v6, vcc_lo, s7, v3, vcc_lo
	s_ashr_i32 s9, s8, 31
	s_delay_alu instid0(SALU_CYCLE_1)
	s_lshl_b64 s[4:5], s[8:9], 1
	s_cmpk_lt_u32 s50, 0x4000
	v_add_co_u32 v7, vcc_lo, v1, s4
	s_cselect_b32 s6, s51, 0xfc0
	v_add_co_ci_u32_e32 v8, vcc_lo, s5, v3, vcc_lo
	s_ashr_i32 s7, s6, 31
	global_load_u16 v41, v[5:6], off
	s_lshl_b64 s[4:5], s[6:7], 1
	global_load_u16 v42, v[7:8], off
	v_add_co_u32 v5, vcc_lo, v1, s4
	v_add_co_ci_u32_e32 v6, vcc_lo, s5, v3, vcc_lo
	global_load_u16 v43, v[5:6], off
	ds_load_b128 v[5:8], v44 offset:128
	ds_load_b128 v[9:12], v44 offset:144
	s_waitcnt vmcnt(31)
	v_lshlrev_b32_e32 v2, 16, v2
	s_waitcnt lgkmcnt(1)
	s_delay_alu instid0(VALU_DEP_1) | instskip(SKIP_2) | instid1(VALU_DEP_1)
	v_fmac_f32_e32 v4, v5, v2
	s_waitcnt vmcnt(30)
	v_lshlrev_b32_e32 v2, 16, v13
	v_fmac_f32_e32 v4, v6, v2
	s_waitcnt vmcnt(29)
	v_lshlrev_b32_e32 v2, 16, v14
	s_delay_alu instid0(VALU_DEP_1) | instskip(SKIP_2) | instid1(VALU_DEP_1)
	v_fmac_f32_e32 v4, v7, v2
	s_waitcnt vmcnt(28)
	v_lshlrev_b32_e32 v2, 16, v15
	v_fmac_f32_e32 v4, v8, v2
	s_waitcnt vmcnt(27)
	v_lshlrev_b32_e32 v2, 16, v16
	ds_load_b128 v[5:8], v44 offset:160
	s_waitcnt lgkmcnt(1)
	v_fmac_f32_e32 v4, v9, v2
	s_waitcnt vmcnt(26)
	v_lshlrev_b32_e32 v2, 16, v17
	s_delay_alu instid0(VALU_DEP_1) | instskip(SKIP_2) | instid1(VALU_DEP_1)
	v_fmac_f32_e32 v4, v10, v2
	s_waitcnt vmcnt(25)
	v_lshlrev_b32_e32 v2, 16, v18
	v_fmac_f32_e32 v4, v11, v2
	s_waitcnt vmcnt(24)
	v_lshlrev_b32_e32 v2, 16, v19
	s_delay_alu instid0(VALU_DEP_1) | instskip(SKIP_4) | instid1(VALU_DEP_1)
	v_fmac_f32_e32 v4, v12, v2
	ds_load_b128 v[9:12], v44 offset:176
	s_waitcnt vmcnt(23)
	v_lshlrev_b32_e32 v2, 16, v20
	s_waitcnt lgkmcnt(1)
	v_fmac_f32_e32 v4, v5, v2
	s_waitcnt vmcnt(22)
	v_lshlrev_b32_e32 v2, 16, v21
	s_delay_alu instid0(VALU_DEP_1) | instskip(SKIP_2) | instid1(VALU_DEP_1)
	v_fmac_f32_e32 v4, v6, v2
	s_waitcnt vmcnt(21)
	v_lshlrev_b32_e32 v2, 16, v22
	v_fmac_f32_e32 v4, v7, v2
	s_waitcnt vmcnt(20)
	v_lshlrev_b32_e32 v2, 16, v23
	s_delay_alu instid0(VALU_DEP_1)
	v_fmac_f32_e32 v4, v8, v2
	s_waitcnt vmcnt(19)
	v_lshlrev_b32_e32 v2, 16, v24
	ds_load_b128 v[5:8], v44 offset:192
	s_waitcnt lgkmcnt(1)
	v_fmac_f32_e32 v4, v9, v2
	s_waitcnt vmcnt(18)
	v_lshlrev_b32_e32 v2, 16, v25
	s_delay_alu instid0(VALU_DEP_1) | instskip(SKIP_2) | instid1(VALU_DEP_1)
	v_fmac_f32_e32 v4, v10, v2
	s_waitcnt vmcnt(17)
	v_lshlrev_b32_e32 v2, 16, v26
	v_fmac_f32_e32 v4, v11, v2
	s_waitcnt vmcnt(16)
	v_lshlrev_b32_e32 v2, 16, v27
	s_delay_alu instid0(VALU_DEP_1) | instskip(SKIP_4) | instid1(VALU_DEP_1)
	v_fmac_f32_e32 v4, v12, v2
	ds_load_b128 v[9:12], v44 offset:208
	s_waitcnt vmcnt(15)
	v_lshlrev_b32_e32 v2, 16, v28
	s_waitcnt lgkmcnt(1)
	v_fmac_f32_e32 v4, v5, v2
	s_waitcnt vmcnt(14)
	v_lshlrev_b32_e32 v2, 16, v29
	s_delay_alu instid0(VALU_DEP_1) | instskip(SKIP_2) | instid1(VALU_DEP_1)
	v_fmac_f32_e32 v4, v6, v2
	s_waitcnt vmcnt(13)
	v_lshlrev_b32_e32 v2, 16, v30
	v_fmac_f32_e32 v4, v7, v2
	s_waitcnt vmcnt(12)
	v_lshlrev_b32_e32 v2, 16, v31
	s_delay_alu instid0(VALU_DEP_1)
	v_fmac_f32_e32 v4, v8, v2
	s_waitcnt vmcnt(11)
	v_lshlrev_b32_e32 v2, 16, v32
	ds_load_b128 v[5:8], v44 offset:224
	s_waitcnt lgkmcnt(1)
	v_fmac_f32_e32 v4, v9, v2
	s_waitcnt vmcnt(10)
	v_lshlrev_b32_e32 v2, 16, v33
	s_delay_alu instid0(VALU_DEP_1) | instskip(SKIP_2) | instid1(VALU_DEP_1)
	v_fmac_f32_e32 v4, v10, v2
	s_waitcnt vmcnt(9)
	v_lshlrev_b32_e32 v2, 16, v34
	v_fmac_f32_e32 v4, v11, v2
	s_waitcnt vmcnt(8)
	v_lshlrev_b32_e32 v2, 16, v35
	s_delay_alu instid0(VALU_DEP_1) | instskip(SKIP_4) | instid1(VALU_DEP_1)
	v_fmac_f32_e32 v4, v12, v2
	ds_load_b128 v[9:12], v44 offset:240
	s_waitcnt vmcnt(7)
	v_lshlrev_b32_e32 v2, 16, v36
	s_waitcnt lgkmcnt(1)
	v_fmac_f32_e32 v4, v5, v2
	s_waitcnt vmcnt(6)
	v_lshlrev_b32_e32 v2, 16, v37
	s_delay_alu instid0(VALU_DEP_1) | instskip(SKIP_2) | instid1(VALU_DEP_1)
	v_fmac_f32_e32 v4, v6, v2
	s_waitcnt vmcnt(5)
	v_lshlrev_b32_e32 v2, 16, v38
	v_fmac_f32_e32 v4, v7, v2
	s_waitcnt vmcnt(4)
	v_lshlrev_b32_e32 v2, 16, v39
	s_delay_alu instid0(VALU_DEP_1) | instskip(SKIP_3) | instid1(VALU_DEP_1)
	v_fmac_f32_e32 v4, v8, v2
	s_waitcnt vmcnt(3)
	v_lshlrev_b32_e32 v2, 16, v40
	s_waitcnt lgkmcnt(0)
	v_fmac_f32_e32 v4, v9, v2
	s_waitcnt vmcnt(2)
	v_lshlrev_b32_e32 v2, 16, v41
	s_delay_alu instid0(VALU_DEP_1) | instskip(SKIP_2) | instid1(VALU_DEP_1)
	v_fmac_f32_e32 v4, v10, v2
	s_waitcnt vmcnt(1)
	v_lshlrev_b32_e32 v2, 16, v42
	v_fmac_f32_e32 v4, v11, v2
	s_waitcnt vmcnt(0)
	v_lshlrev_b32_e32 v2, 16, v43
	s_delay_alu instid0(VALU_DEP_1)
	v_fmac_f32_e32 v4, v12, v2
	s_cmpk_lt_i32 s50, 0x4100
	s_cbranch_scc1 .LBB404_14
.LBB404_24:
	s_cmpk_lt_u32 s50, 0x4200
	v_add_co_u32 v5, vcc_lo, 0x2000, v1
	s_cselect_b32 s4, s51, 0x1040
	v_add_co_ci_u32_e32 v6, vcc_lo, 0, v3, vcc_lo
	s_ashr_i32 s5, s4, 31
	s_delay_alu instid0(SALU_CYCLE_1)
	s_lshl_b64 s[4:5], s[4:5], 1
	s_cmpk_lt_u32 s50, 0x4300
	global_load_u16 v13, v[5:6], off
	s_cselect_b32 s6, s51, 0x1080
	v_add_co_u32 v5, vcc_lo, v1, s4
	s_ashr_i32 s7, s6, 31
	v_add_co_ci_u32_e32 v6, vcc_lo, s5, v3, vcc_lo
	s_lshl_b64 s[8:9], s[6:7], 1
	s_cmpk_lt_u32 s50, 0x4400
	v_add_co_u32 v7, vcc_lo, v1, s8
	s_cselect_b32 s6, s51, 0x10c0
	v_add_co_ci_u32_e32 v8, vcc_lo, s9, v3, vcc_lo
	s_ashr_i32 s7, s6, 31
	s_delay_alu instid0(SALU_CYCLE_1)
	s_lshl_b64 s[18:19], s[6:7], 1
	s_cmpk_lt_u32 s50, 0x4500
	v_add_co_u32 v9, vcc_lo, v1, s18
	s_cselect_b32 s6, s51, 0x1100
	v_add_co_ci_u32_e32 v10, vcc_lo, s19, v3, vcc_lo
	s_ashr_i32 s7, s6, 31
	s_delay_alu instid0(SALU_CYCLE_1)
	s_lshl_b64 s[24:25], s[6:7], 1
	s_cmpk_lt_u32 s50, 0x4600
	v_add_co_u32 v11, vcc_lo, v1, s24
	s_cselect_b32 s6, s51, 0x1140
	v_add_co_ci_u32_e32 v12, vcc_lo, s25, v3, vcc_lo
	s_ashr_i32 s7, s6, 31
	s_clause 0x3
	global_load_u16 v14, v[5:6], off
	global_load_u16 v15, v[7:8], off
	;; [unrolled: 1-line block ×4, first 2 shown]
	s_lshl_b64 s[6:7], s[6:7], 1
	s_cmpk_lt_u32 s50, 0x4700
	v_add_co_u32 v5, vcc_lo, v1, s6
	s_cselect_b32 s10, s51, 0x1180
	v_add_co_ci_u32_e32 v6, vcc_lo, s7, v3, vcc_lo
	s_ashr_i32 s11, s10, 31
	s_delay_alu instid0(SALU_CYCLE_1)
	s_lshl_b64 s[10:11], s[10:11], 1
	s_cmpk_lt_u32 s50, 0x4800
	v_add_co_u32 v7, vcc_lo, v1, s10
	s_cselect_b32 s20, s51, 0x11c0
	v_add_co_ci_u32_e32 v8, vcc_lo, s11, v3, vcc_lo
	s_ashr_i32 s21, s20, 31
	s_delay_alu instid0(SALU_CYCLE_1)
	;; [unrolled: 7-line block ×3, first 2 shown]
	s_lshl_b64 s[30:31], s[20:21], 1
	s_cmpk_lt_u32 s50, 0x4a00
	v_add_co_u32 v11, vcc_lo, v1, s30
	s_cselect_b32 s20, s51, 0x1240
	v_add_co_ci_u32_e32 v12, vcc_lo, s31, v3, vcc_lo
	s_ashr_i32 s21, s20, 31
	s_clause 0x3
	global_load_u16 v18, v[5:6], off
	global_load_u16 v19, v[7:8], off
	;; [unrolled: 1-line block ×4, first 2 shown]
	s_lshl_b64 s[20:21], s[20:21], 1
	s_cmpk_lt_u32 s50, 0x4b00
	v_add_co_u32 v5, vcc_lo, v1, s20
	s_cselect_b32 s26, s51, 0x1280
	v_add_co_ci_u32_e32 v6, vcc_lo, s21, v3, vcc_lo
	s_ashr_i32 s27, s26, 31
	s_delay_alu instid0(SALU_CYCLE_1)
	s_lshl_b64 s[26:27], s[26:27], 1
	s_cmpk_lt_u32 s50, 0x4c00
	v_add_co_u32 v7, vcc_lo, v1, s26
	s_cselect_b32 s28, s51, 0x12c0
	v_add_co_ci_u32_e32 v8, vcc_lo, s27, v3, vcc_lo
	s_ashr_i32 s29, s28, 31
	global_load_u16 v22, v[5:6], off
	s_lshl_b64 s[34:35], s[28:29], 1
	s_cmpk_lt_u32 s50, 0x4d00
	v_add_co_u32 v9, vcc_lo, v1, s34
	s_cselect_b32 s28, s51, 0x1300
	v_add_co_ci_u32_e32 v10, vcc_lo, s35, v3, vcc_lo
	s_ashr_i32 s29, s28, 31
	s_delay_alu instid0(SALU_CYCLE_1)
	s_lshl_b64 s[38:39], s[28:29], 1
	s_cmpk_lt_u32 s50, 0x4e00
	v_add_co_u32 v11, vcc_lo, v1, s38
	s_cselect_b32 s28, s51, 0x1340
	v_add_co_ci_u32_e32 v12, vcc_lo, s39, v3, vcc_lo
	s_ashr_i32 s29, s28, 31
	s_clause 0x2
	global_load_u16 v23, v[7:8], off
	global_load_u16 v24, v[9:10], off
	;; [unrolled: 1-line block ×3, first 2 shown]
	s_lshl_b64 s[28:29], s[28:29], 1
	s_cmpk_lt_u32 s50, 0x4f00
	v_add_co_u32 v5, vcc_lo, v1, s28
	s_cselect_b32 s36, s51, 0x1380
	v_add_co_ci_u32_e32 v6, vcc_lo, s29, v3, vcc_lo
	s_ashr_i32 s37, s36, 31
	s_delay_alu instid0(SALU_CYCLE_1)
	s_lshl_b64 s[36:37], s[36:37], 1
	s_cmpk_lt_u32 s50, 0x5000
	v_add_co_u32 v7, vcc_lo, v1, s36
	s_cselect_b32 s40, s51, 0x13c0
	v_add_co_ci_u32_e32 v8, vcc_lo, s37, v3, vcc_lo
	s_ashr_i32 s41, s40, 31
	global_load_u16 v26, v[5:6], off
	s_lshl_b64 s[40:41], s[40:41], 1
	global_load_u16 v27, v[7:8], off
	s_cmpk_lt_u32 s50, 0x5100
	v_add_co_u32 v9, vcc_lo, v1, s40
	s_cselect_b32 s42, s51, 0x1400
	v_add_co_ci_u32_e32 v10, vcc_lo, s41, v3, vcc_lo
	s_ashr_i32 s43, s42, 31
	s_delay_alu instid0(SALU_CYCLE_1)
	s_lshl_b64 s[42:43], s[42:43], 1
	global_load_u16 v28, v[9:10], off
	s_cmpk_lt_u32 s50, 0x5200
	v_add_co_u32 v5, vcc_lo, v1, s42
	s_cselect_b32 s44, s51, 0x1440
	v_add_co_ci_u32_e32 v6, vcc_lo, s43, v3, vcc_lo
	s_ashr_i32 s45, s44, 31
	s_delay_alu instid0(SALU_CYCLE_1)
	s_lshl_b64 s[44:45], s[44:45], 1
	s_cmpk_lt_u32 s50, 0x5300
	v_add_co_u32 v7, vcc_lo, v1, s44
	s_cselect_b32 s46, s51, 0x1480
	v_add_co_ci_u32_e32 v8, vcc_lo, s45, v3, vcc_lo
	s_ashr_i32 s47, s46, 31
	global_load_u16 v29, v[5:6], off
	s_lshl_b64 s[46:47], s[46:47], 1
	global_load_u16 v30, v[7:8], off
	s_cmpk_lt_u32 s50, 0x5400
	v_add_co_u32 v9, vcc_lo, v1, s46
	s_cselect_b32 s48, s51, 0x14c0
	v_add_co_ci_u32_e32 v10, vcc_lo, s47, v3, vcc_lo
	s_ashr_i32 s49, s48, 31
	s_delay_alu instid0(SALU_CYCLE_1)
	s_lshl_b64 s[48:49], s[48:49], 1
	global_load_u16 v31, v[9:10], off
	s_cmpk_lt_u32 s50, 0x5500
	v_add_co_u32 v5, vcc_lo, v1, s48
	s_cselect_b32 s4, s51, 0x1500
	v_add_co_ci_u32_e32 v6, vcc_lo, s49, v3, vcc_lo
	s_ashr_i32 s5, s4, 31
	s_delay_alu instid0(SALU_CYCLE_1)
	s_lshl_b64 s[4:5], s[4:5], 1
	s_cmpk_lt_u32 s50, 0x5600
	v_add_co_u32 v7, vcc_lo, v1, s4
	s_cselect_b32 s8, s51, 0x1540
	v_add_co_ci_u32_e32 v8, vcc_lo, s5, v3, vcc_lo
	s_ashr_i32 s9, s8, 31
	global_load_u16 v32, v[5:6], off
	s_lshl_b64 s[6:7], s[8:9], 1
	global_load_u16 v33, v[7:8], off
	s_cmpk_lt_u32 s50, 0x5700
	v_add_co_u32 v5, vcc_lo, v1, s6
	s_cselect_b32 s8, s51, 0x1580
	v_add_co_ci_u32_e32 v6, vcc_lo, s7, v3, vcc_lo
	s_ashr_i32 s9, s8, 31
	s_delay_alu instid0(SALU_CYCLE_1)
	s_lshl_b64 s[8:9], s[8:9], 1
	s_cmpk_lt_u32 s50, 0x5800
	v_add_co_u32 v7, vcc_lo, v1, s8
	s_cselect_b32 s10, s51, 0x15c0
	v_add_co_ci_u32_e32 v8, vcc_lo, s9, v3, vcc_lo
	s_ashr_i32 s11, s10, 31
	global_load_u16 v34, v[5:6], off
	;; [unrolled: 15-line block ×6, first 2 shown]
	s_lshl_b64 s[4:5], s[6:7], 1
	global_load_u16 v43, v[7:8], off
	v_add_co_u32 v1, vcc_lo, v1, s4
	v_add_co_ci_u32_e32 v2, vcc_lo, s5, v3, vcc_lo
	global_load_u16 v1, v[1:2], off
	s_waitcnt vmcnt(31)
	v_dual_mov_b32 v2, 0 :: v_dual_lshlrev_b32 v3, 16, v13
	ds_load_b128 v[5:8], v2 offset:256
	ds_load_b128 v[9:12], v2 offset:272
	s_waitcnt vmcnt(30) lgkmcnt(1)
	v_dual_fmac_f32 v4, v5, v3 :: v_dual_lshlrev_b32 v3, 16, v14
	s_delay_alu instid0(VALU_DEP_1) | instskip(SKIP_3) | instid1(VALU_DEP_1)
	v_fmac_f32_e32 v4, v6, v3
	s_waitcnt vmcnt(29)
	v_lshlrev_b32_e32 v3, 16, v15
	s_waitcnt vmcnt(28)
	v_dual_fmac_f32 v4, v7, v3 :: v_dual_lshlrev_b32 v3, 16, v16
	s_waitcnt vmcnt(27)
	s_delay_alu instid0(VALU_DEP_1) | instskip(SKIP_3) | instid1(VALU_DEP_1)
	v_dual_fmac_f32 v4, v8, v3 :: v_dual_lshlrev_b32 v3, 16, v17
	ds_load_b128 v[5:8], v2 offset:288
	s_waitcnt vmcnt(26) lgkmcnt(1)
	v_dual_fmac_f32 v4, v9, v3 :: v_dual_lshlrev_b32 v3, 16, v18
	v_fmac_f32_e32 v4, v10, v3
	s_waitcnt vmcnt(25)
	v_lshlrev_b32_e32 v3, 16, v19
	s_waitcnt vmcnt(24)
	s_delay_alu instid0(VALU_DEP_1) | instskip(SKIP_1) | instid1(VALU_DEP_1)
	v_dual_fmac_f32 v4, v11, v3 :: v_dual_lshlrev_b32 v3, 16, v20
	s_waitcnt vmcnt(23)
	v_dual_fmac_f32 v4, v12, v3 :: v_dual_lshlrev_b32 v3, 16, v21
	ds_load_b128 v[9:12], v2 offset:304
	s_waitcnt vmcnt(22) lgkmcnt(1)
	v_dual_fmac_f32 v4, v5, v3 :: v_dual_lshlrev_b32 v3, 16, v22
	s_delay_alu instid0(VALU_DEP_1) | instskip(SKIP_3) | instid1(VALU_DEP_1)
	v_fmac_f32_e32 v4, v6, v3
	s_waitcnt vmcnt(21)
	v_lshlrev_b32_e32 v3, 16, v23
	s_waitcnt vmcnt(20)
	v_dual_fmac_f32 v4, v7, v3 :: v_dual_lshlrev_b32 v3, 16, v24
	s_waitcnt vmcnt(19)
	s_delay_alu instid0(VALU_DEP_1) | instskip(SKIP_3) | instid1(VALU_DEP_1)
	v_dual_fmac_f32 v4, v8, v3 :: v_dual_lshlrev_b32 v3, 16, v25
	ds_load_b128 v[5:8], v2 offset:320
	s_waitcnt vmcnt(18) lgkmcnt(1)
	v_dual_fmac_f32 v4, v9, v3 :: v_dual_lshlrev_b32 v3, 16, v26
	v_fmac_f32_e32 v4, v10, v3
	s_waitcnt vmcnt(17)
	v_lshlrev_b32_e32 v3, 16, v27
	s_waitcnt vmcnt(16)
	s_delay_alu instid0(VALU_DEP_1) | instskip(NEXT) | instid1(VALU_DEP_1)
	v_dual_fmac_f32 v4, v11, v3 :: v_dual_lshlrev_b32 v3, 16, v28
	v_fmac_f32_e32 v4, v12, v3
	ds_load_b128 v[9:12], v2 offset:336
	s_waitcnt vmcnt(15)
	v_lshlrev_b32_e32 v3, 16, v29
	s_waitcnt vmcnt(14) lgkmcnt(1)
	s_delay_alu instid0(VALU_DEP_1) | instskip(NEXT) | instid1(VALU_DEP_1)
	v_dual_fmac_f32 v4, v5, v3 :: v_dual_lshlrev_b32 v3, 16, v30
	v_fmac_f32_e32 v4, v6, v3
	s_waitcnt vmcnt(13)
	v_lshlrev_b32_e32 v3, 16, v31
	s_waitcnt vmcnt(12)
	s_delay_alu instid0(VALU_DEP_1) | instskip(SKIP_1) | instid1(VALU_DEP_1)
	v_dual_fmac_f32 v4, v7, v3 :: v_dual_lshlrev_b32 v3, 16, v32
	s_waitcnt vmcnt(0)
	v_dual_fmac_f32 v4, v8, v3 :: v_dual_lshlrev_b32 v1, 16, v1
	v_lshlrev_b32_e32 v3, 16, v33
	ds_load_b128 v[5:8], v2 offset:352
	s_waitcnt lgkmcnt(1)
	v_dual_fmac_f32 v4, v9, v3 :: v_dual_lshlrev_b32 v3, 16, v34
	s_delay_alu instid0(VALU_DEP_1) | instskip(SKIP_1) | instid1(VALU_DEP_1)
	v_fmac_f32_e32 v4, v10, v3
	v_lshlrev_b32_e32 v3, 16, v35
	v_dual_fmac_f32 v4, v11, v3 :: v_dual_lshlrev_b32 v3, 16, v36
	s_delay_alu instid0(VALU_DEP_1) | instskip(SKIP_4) | instid1(VALU_DEP_1)
	v_dual_fmac_f32 v4, v12, v3 :: v_dual_lshlrev_b32 v3, 16, v37
	ds_load_b128 v[9:12], v2 offset:368
	v_lshlrev_b32_e32 v2, 16, v38
	s_waitcnt lgkmcnt(1)
	v_fmac_f32_e32 v4, v5, v3
	v_fmac_f32_e32 v4, v6, v2
	v_lshlrev_b32_e32 v2, 16, v39
	s_delay_alu instid0(VALU_DEP_1) | instskip(SKIP_1) | instid1(VALU_DEP_1)
	v_fmac_f32_e32 v4, v7, v2
	v_lshlrev_b32_e32 v2, 16, v40
	v_fmac_f32_e32 v4, v8, v2
	v_lshlrev_b32_e32 v2, 16, v41
	s_waitcnt lgkmcnt(0)
	s_delay_alu instid0(VALU_DEP_1) | instskip(SKIP_1) | instid1(VALU_DEP_1)
	v_fmac_f32_e32 v4, v9, v2
	v_lshlrev_b32_e32 v2, 16, v42
	v_fmac_f32_e32 v4, v10, v2
	v_lshlrev_b32_e32 v2, 16, v43
	s_delay_alu instid0(VALU_DEP_1) | instskip(NEXT) | instid1(VALU_DEP_1)
	v_fmac_f32_e32 v4, v11, v2
	v_dual_fmac_f32 v4, v12, v1 :: v_dual_mov_b32 v1, 0
	s_and_not1_b32 vcc_lo, exec_lo, s15
	ds_load_b32 v1, v1 offset:384
	s_cbranch_vccz .LBB404_15
	s_branch .LBB404_16
	.section	.rodata,"a",@progbits
	.p2align	6, 0x0
	.amdhsa_kernel _Z35paged_attention_ll4mi_reduce_kernelI14__hip_bfloat16hLi64ELi64ELi256ELi3EEvPT0_PKfS4_PKT_PKiS9_iS4_
		.amdhsa_group_segment_fixed_size 388
		.amdhsa_private_segment_fixed_size 0
		.amdhsa_kernarg_size 320
		.amdhsa_user_sgpr_count 14
		.amdhsa_user_sgpr_dispatch_ptr 0
		.amdhsa_user_sgpr_queue_ptr 0
		.amdhsa_user_sgpr_kernarg_segment_ptr 1
		.amdhsa_user_sgpr_dispatch_id 0
		.amdhsa_user_sgpr_private_segment_size 0
		.amdhsa_wavefront_size32 1
		.amdhsa_uses_dynamic_stack 0
		.amdhsa_enable_private_segment 0
		.amdhsa_system_sgpr_workgroup_id_x 1
		.amdhsa_system_sgpr_workgroup_id_y 1
		.amdhsa_system_sgpr_workgroup_id_z 0
		.amdhsa_system_sgpr_workgroup_info 0
		.amdhsa_system_vgpr_workitem_id 0
		.amdhsa_next_free_vgpr 52
		.amdhsa_next_free_sgpr 52
		.amdhsa_reserve_vcc 1
		.amdhsa_float_round_mode_32 0
		.amdhsa_float_round_mode_16_64 0
		.amdhsa_float_denorm_mode_32 3
		.amdhsa_float_denorm_mode_16_64 3
		.amdhsa_dx10_clamp 1
		.amdhsa_ieee_mode 1
		.amdhsa_fp16_overflow 0
		.amdhsa_workgroup_processor_mode 1
		.amdhsa_memory_ordered 1
		.amdhsa_forward_progress 0
		.amdhsa_shared_vgpr_count 0
		.amdhsa_exception_fp_ieee_invalid_op 0
		.amdhsa_exception_fp_denorm_src 0
		.amdhsa_exception_fp_ieee_div_zero 0
		.amdhsa_exception_fp_ieee_overflow 0
		.amdhsa_exception_fp_ieee_underflow 0
		.amdhsa_exception_fp_ieee_inexact 0
		.amdhsa_exception_int_div_zero 0
	.end_amdhsa_kernel
	.section	.text._Z35paged_attention_ll4mi_reduce_kernelI14__hip_bfloat16hLi64ELi64ELi256ELi3EEvPT0_PKfS4_PKT_PKiS9_iS4_,"axG",@progbits,_Z35paged_attention_ll4mi_reduce_kernelI14__hip_bfloat16hLi64ELi64ELi256ELi3EEvPT0_PKfS4_PKT_PKiS9_iS4_,comdat
.Lfunc_end404:
	.size	_Z35paged_attention_ll4mi_reduce_kernelI14__hip_bfloat16hLi64ELi64ELi256ELi3EEvPT0_PKfS4_PKT_PKiS9_iS4_, .Lfunc_end404-_Z35paged_attention_ll4mi_reduce_kernelI14__hip_bfloat16hLi64ELi64ELi256ELi3EEvPT0_PKfS4_PKT_PKiS9_iS4_
                                        ; -- End function
	.section	.AMDGPU.csdata,"",@progbits
; Kernel info:
; codeLenInByte = 7456
; NumSgprs: 54
; NumVgprs: 52
; ScratchSize: 0
; MemoryBound: 0
; FloatMode: 240
; IeeeMode: 1
; LDSByteSize: 388 bytes/workgroup (compile time only)
; SGPRBlocks: 6
; VGPRBlocks: 6
; NumSGPRsForWavesPerEU: 54
; NumVGPRsForWavesPerEU: 52
; Occupancy: 16
; WaveLimiterHint : 0
; COMPUTE_PGM_RSRC2:SCRATCH_EN: 0
; COMPUTE_PGM_RSRC2:USER_SGPR: 14
; COMPUTE_PGM_RSRC2:TRAP_HANDLER: 0
; COMPUTE_PGM_RSRC2:TGID_X_EN: 1
; COMPUTE_PGM_RSRC2:TGID_Y_EN: 1
; COMPUTE_PGM_RSRC2:TGID_Z_EN: 0
; COMPUTE_PGM_RSRC2:TIDIG_COMP_CNT: 0
	.section	.text._Z35paged_attention_ll4mi_reduce_kernelI14__hip_bfloat16hLi64ELi64ELi256ELi4EEvPT0_PKfS4_PKT_PKiS9_iS4_,"axG",@progbits,_Z35paged_attention_ll4mi_reduce_kernelI14__hip_bfloat16hLi64ELi64ELi256ELi4EEvPT0_PKfS4_PKT_PKiS9_iS4_,comdat
	.protected	_Z35paged_attention_ll4mi_reduce_kernelI14__hip_bfloat16hLi64ELi64ELi256ELi4EEvPT0_PKfS4_PKT_PKiS9_iS4_ ; -- Begin function _Z35paged_attention_ll4mi_reduce_kernelI14__hip_bfloat16hLi64ELi64ELi256ELi4EEvPT0_PKfS4_PKT_PKiS9_iS4_
	.globl	_Z35paged_attention_ll4mi_reduce_kernelI14__hip_bfloat16hLi64ELi64ELi256ELi4EEvPT0_PKfS4_PKT_PKiS9_iS4_
	.p2align	8
	.type	_Z35paged_attention_ll4mi_reduce_kernelI14__hip_bfloat16hLi64ELi64ELi256ELi4EEvPT0_PKfS4_PKT_PKiS9_iS4_,@function
_Z35paged_attention_ll4mi_reduce_kernelI14__hip_bfloat16hLi64ELi64ELi256ELi4EEvPT0_PKfS4_PKT_PKiS9_iS4_: ; @_Z35paged_attention_ll4mi_reduce_kernelI14__hip_bfloat16hLi64ELi64ELi256ELi4EEvPT0_PKfS4_PKT_PKiS9_iS4_
; %bb.0:
	s_load_b64 s[12:13], s[0:1], 0x28
	s_mov_b32 s2, s15
	s_waitcnt lgkmcnt(0)
	s_cmp_lg_u64 s[12:13], 0
	s_cselect_b32 s15, -1, 0
	s_delay_alu instid0(SALU_CYCLE_1)
	s_and_b32 vcc_lo, exec_lo, s15
	s_cbranch_vccz .LBB405_22
; %bb.1:
	s_add_i32 s4, s2, 1
	s_mov_b32 s5, 0
	s_delay_alu instid0(SALU_CYCLE_1) | instskip(SKIP_4) | instid1(SALU_CYCLE_1)
	s_lshl_b64 s[6:7], s[4:5], 2
	s_mov_b32 s3, s5
	s_add_u32 s6, s12, s6
	s_addc_u32 s7, s13, s7
	s_lshl_b64 s[8:9], s[2:3], 2
	s_add_u32 s8, s12, s8
	s_addc_u32 s9, s13, s9
	s_clause 0x1
	s_load_b32 s4, s[6:7], 0x0
	s_load_b32 s6, s[8:9], 0x0
	s_waitcnt lgkmcnt(0)
	s_sub_i32 s4, s4, s6
	s_delay_alu instid0(SALU_CYCLE_1)
	s_cmp_eq_u32 s4, 1
	s_cselect_b32 s4, -1, 0
	s_cbranch_execnz .LBB405_3
.LBB405_2:
	s_mov_b32 s3, 0
	s_mov_b32 s4, -1
.LBB405_3:
	s_delay_alu instid0(SALU_CYCLE_1)
	s_and_not1_b32 vcc_lo, exec_lo, s4
	s_cbranch_vccz .LBB405_5
; %bb.4:
	s_endpgm
.LBB405_5:
	s_clause 0x1
	s_load_b128 s[4:7], s[0:1], 0x18
	s_load_b32 s9, s[0:1], 0x30
	s_lshl_b64 s[16:17], s[2:3], 2
	s_waitcnt lgkmcnt(0)
	s_add_u32 s6, s6, s16
	s_addc_u32 s7, s7, s17
	s_load_b32 s20, s[6:7], 0x0
	s_load_b32 s33, s[0:1], 0x40
	s_mul_i32 s7, s2, s9
	s_waitcnt lgkmcnt(0)
	s_add_i32 s50, s20, 0xff
	s_delay_alu instid0(SALU_CYCLE_1) | instskip(NEXT) | instid1(SALU_CYCLE_1)
	s_ashr_i32 s6, s50, 31
	s_lshr_b32 s6, s6, 24
	s_delay_alu instid0(SALU_CYCLE_1) | instskip(SKIP_4) | instid1(SALU_CYCLE_1)
	s_add_i32 s8, s50, s6
	s_mul_i32 s6, s14, s9
	s_mov_b32 s9, exec_lo
	v_cmpx_lt_u32_e32 31, v0
	s_xor_b32 s9, exec_lo, s9
	s_or_saveexec_b32 s22, s9
	v_mov_b32_e32 v1, s6
	s_ashr_i32 s21, s8, 8
	s_mul_i32 s18, s7, s33
	s_xor_b32 exec_lo, exec_lo, s22
	s_cbranch_execz .LBB405_9
; %bb.6:
	s_load_b128 s[8:11], s[0:1], 0x8
	v_or_b32_e32 v2, 32, v0
	v_cmp_gt_i32_e32 vcc_lo, s21, v0
	s_add_i32 s23, s21, -1
	v_or_b32_e32 v4, 64, v0
	v_or_b32_e32 v6, 0x60, v0
	s_mov_b32 s19, 0
	v_cndmask_b32_e32 v1, s23, v0, vcc_lo
	v_cmp_gt_i32_e32 vcc_lo, s21, v2
	s_lshl_b64 s[24:25], s[18:19], 2
	s_mov_b32 s7, s19
	v_cndmask_b32_e32 v3, s23, v2, vcc_lo
	v_cmp_gt_i32_e32 vcc_lo, s21, v4
	v_ashrrev_i32_e32 v2, 31, v1
	v_cndmask_b32_e32 v5, s23, v4, vcc_lo
	v_cmp_gt_i32_e32 vcc_lo, s21, v6
	v_ashrrev_i32_e32 v4, 31, v3
	s_delay_alu instid0(VALU_DEP_4)
	v_lshlrev_b64 v[1:2], 2, v[1:2]
	s_waitcnt lgkmcnt(0)
	s_add_u32 s19, s10, s24
	v_cndmask_b32_e32 v7, s23, v6, vcc_lo
	s_addc_u32 s23, s11, s25
	s_lshl_b64 s[10:11], s[6:7], 2
	v_lshlrev_b64 v[3:4], 2, v[3:4]
	s_add_u32 s7, s19, s10
	v_ashrrev_i32_e32 v6, 31, v5
	s_addc_u32 s19, s23, s11
	v_add_co_u32 v9, vcc_lo, s7, v1
	v_add_co_ci_u32_e32 v10, vcc_lo, s19, v2, vcc_lo
	v_ashrrev_i32_e32 v8, 31, v7
	v_add_co_u32 v11, vcc_lo, s7, v3
	v_lshlrev_b64 v[5:6], 2, v[5:6]
	v_add_co_ci_u32_e32 v12, vcc_lo, s19, v4, vcc_lo
	s_delay_alu instid0(VALU_DEP_4)
	v_lshlrev_b64 v[7:8], 2, v[7:8]
	s_clause 0x1
	global_load_b32 v13, v[9:10], off
	global_load_b32 v14, v[11:12], off
	v_add_co_u32 v9, vcc_lo, s7, v5
	v_add_co_ci_u32_e32 v10, vcc_lo, s19, v6, vcc_lo
	v_add_co_u32 v11, vcc_lo, s7, v7
	v_add_co_ci_u32_e32 v12, vcc_lo, s19, v8, vcc_lo
	s_clause 0x1
	global_load_b32 v9, v[9:10], off
	global_load_b32 v10, v[11:12], off
	s_add_u32 s7, s8, s24
	s_addc_u32 s8, s9, s25
	s_add_u32 s7, s7, s10
	s_addc_u32 s8, s8, s11
	v_add_co_u32 v1, vcc_lo, s7, v1
	v_add_co_ci_u32_e32 v2, vcc_lo, s8, v2, vcc_lo
	v_add_co_u32 v3, vcc_lo, s7, v3
	v_add_co_ci_u32_e32 v4, vcc_lo, s8, v4, vcc_lo
	v_add_co_u32 v5, vcc_lo, s7, v5
	v_add_co_ci_u32_e32 v6, vcc_lo, s8, v6, vcc_lo
	s_clause 0x2
	global_load_b32 v11, v[1:2], off
	global_load_b32 v3, v[3:4], off
	;; [unrolled: 1-line block ×3, first 2 shown]
	v_add_co_u32 v1, vcc_lo, s7, v7
	v_add_co_ci_u32_e32 v2, vcc_lo, s8, v8, vcc_lo
	s_mov_b32 s7, exec_lo
	global_load_b32 v5, v[1:2], off
	v_mbcnt_lo_u32_b32 v1, -1, 0
	s_delay_alu instid0(VALU_DEP_1)
	v_xor_b32_e32 v2, 16, v1
	v_xor_b32_e32 v8, 8, v1
	;; [unrolled: 1-line block ×5, first 2 shown]
	v_cmp_gt_i32_e32 vcc_lo, 32, v2
	v_cndmask_b32_e32 v2, v1, v2, vcc_lo
	v_cmp_gt_i32_e32 vcc_lo, 32, v8
	s_delay_alu instid0(VALU_DEP_2) | instskip(SKIP_2) | instid1(VALU_DEP_2)
	v_lshlrev_b32_e32 v2, 2, v2
	v_cndmask_b32_e32 v8, v1, v8, vcc_lo
	v_cmp_gt_i32_e32 vcc_lo, 32, v12
	v_lshlrev_b32_e32 v8, 2, v8
	v_cndmask_b32_e32 v12, v1, v12, vcc_lo
	v_cmp_gt_i32_e32 vcc_lo, 32, v15
	s_delay_alu instid0(VALU_DEP_2) | instskip(SKIP_2) | instid1(VALU_DEP_1)
	v_dual_cndmask_b32 v15, v1, v15 :: v_dual_lshlrev_b32 v12, 2, v12
	v_cmp_gt_i32_e32 vcc_lo, 32, v16
	v_cndmask_b32_e32 v1, v1, v16, vcc_lo
	v_lshlrev_b32_e32 v16, 2, v1
	s_delay_alu instid0(VALU_DEP_4) | instskip(SKIP_2) | instid1(VALU_DEP_1)
	v_lshlrev_b32_e32 v15, 2, v15
	s_waitcnt vmcnt(6)
	v_dual_max_f32 v7, v13, v13 :: v_dual_max_f32 v6, v14, v14
	v_max_f32_e32 v6, v7, v6
	s_waitcnt vmcnt(4)
	s_delay_alu instid0(VALU_DEP_1) | instskip(SKIP_3) | instid1(VALU_DEP_1)
	v_max3_f32 v6, v6, v9, v10
	ds_bpermute_b32 v7, v2, v6
	s_waitcnt lgkmcnt(0)
	v_max_f32_e32 v7, v7, v7
	v_max_f32_e32 v6, v6, v7
	ds_bpermute_b32 v7, v8, v6
	s_waitcnt lgkmcnt(0)
	v_max_f32_e32 v7, v7, v7
	s_delay_alu instid0(VALU_DEP_1) | instskip(SKIP_3) | instid1(VALU_DEP_1)
	v_max_f32_e32 v6, v6, v7
	ds_bpermute_b32 v7, v12, v6
	s_waitcnt lgkmcnt(0)
	v_max_f32_e32 v7, v7, v7
	v_max_f32_e32 v6, v6, v7
	ds_bpermute_b32 v7, v15, v6
	s_waitcnt lgkmcnt(0)
	v_max_f32_e32 v7, v7, v7
	s_delay_alu instid0(VALU_DEP_1) | instskip(SKIP_3) | instid1(VALU_DEP_1)
	v_max_f32_e32 v1, v6, v7
	ds_bpermute_b32 v6, v16, v1
	s_waitcnt lgkmcnt(0)
	v_max_f32_e32 v6, v6, v6
	v_max_f32_e32 v1, v1, v6
	s_delay_alu instid0(VALU_DEP_1) | instskip(SKIP_1) | instid1(VALU_DEP_2)
	v_sub_f32_e32 v9, v9, v1
	v_sub_f32_e32 v7, v14, v1
	v_mul_f32_e32 v14, 0x3fb8aa3b, v9
	v_sub_f32_e32 v6, v13, v1
	v_sub_f32_e32 v1, v10, v1
	s_delay_alu instid0(VALU_DEP_3) | instskip(NEXT) | instid1(VALU_DEP_3)
	v_fma_f32 v22, 0x3fb8aa3b, v9, -v14
	v_mul_f32_e32 v10, 0x3fb8aa3b, v6
	v_rndne_f32_e32 v23, v14
	v_cmp_ngt_f32_e32 vcc_lo, 0xc2ce8ed0, v6
	s_delay_alu instid0(VALU_DEP_3) | instskip(SKIP_1) | instid1(VALU_DEP_2)
	v_fma_f32 v18, 0x3fb8aa3b, v6, -v10
	v_rndne_f32_e32 v19, v10
	v_fmac_f32_e32 v18, 0x32a5705f, v6
	s_delay_alu instid0(VALU_DEP_2) | instskip(NEXT) | instid1(VALU_DEP_1)
	v_sub_f32_e32 v10, v10, v19
	v_dual_mul_f32 v13, 0x3fb8aa3b, v7 :: v_dual_add_f32 v10, v10, v18
	s_delay_alu instid0(VALU_DEP_1) | instskip(SKIP_2) | instid1(VALU_DEP_4)
	v_fma_f32 v20, 0x3fb8aa3b, v7, -v13
	v_rndne_f32_e32 v21, v13
	v_cvt_i32_f32_e32 v18, v19
	v_exp_f32_e32 v10, v10
	s_delay_alu instid0(VALU_DEP_3) | instskip(SKIP_4) | instid1(VALU_DEP_4)
	v_fmac_f32_e32 v20, 0x32a5705f, v7
	v_mul_f32_e32 v17, 0x3fb8aa3b, v1
	v_sub_f32_e32 v13, v13, v21
	v_fmac_f32_e32 v22, 0x32a5705f, v9
	v_cvt_i32_f32_e32 v19, v21
	v_rndne_f32_e32 v25, v17
	s_delay_alu instid0(VALU_DEP_4) | instskip(SKIP_1) | instid1(TRANS32_DEP_1)
	v_dual_add_f32 v13, v13, v20 :: v_dual_sub_f32 v14, v14, v23
	v_fma_f32 v24, 0x3fb8aa3b, v1, -v17
	v_ldexp_f32 v10, v10, v18
	s_delay_alu instid0(VALU_DEP_4) | instskip(NEXT) | instid1(VALU_DEP_4)
	v_sub_f32_e32 v17, v17, v25
	v_exp_f32_e32 v13, v13
	v_add_f32_e32 v14, v14, v22
	v_cvt_i32_f32_e32 v20, v23
	v_sub_nc_u32_e32 v22, s21, v0
	v_cvt_i32_f32_e32 v21, v25
	s_delay_alu instid0(VALU_DEP_4)
	v_exp_f32_e32 v14, v14
	s_waitcnt_depctr 0xfff
	v_ldexp_f32 v13, v13, v19
	v_cndmask_b32_e32 v10, 0, v10, vcc_lo
	v_cmp_ngt_f32_e32 vcc_lo, 0xc2ce8ed0, v7
	v_ldexp_f32 v14, v14, v20
	s_delay_alu instid0(VALU_DEP_4) | instskip(SKIP_1) | instid1(VALU_DEP_3)
	v_cndmask_b32_e32 v13, 0, v13, vcc_lo
	v_cmp_ngt_f32_e32 vcc_lo, 0xc2ce8ed0, v9
	v_cndmask_b32_e32 v14, 0, v14, vcc_lo
	v_cmp_nlt_f32_e32 vcc_lo, 0x42b17218, v6
	v_cndmask_b32_e32 v6, 0x7f800000, v10, vcc_lo
	v_cmp_nlt_f32_e32 vcc_lo, 0x42b17218, v7
	;; [unrolled: 2-line block ×3, first 2 shown]
	v_cndmask_b32_e32 v9, 0x7f800000, v14, vcc_lo
	v_cmp_lt_i32_e32 vcc_lo, 0, v22
	v_cndmask_b32_e32 v6, 0, v6, vcc_lo
	v_cmp_lt_i32_e32 vcc_lo, 32, v22
	s_waitcnt vmcnt(3)
	s_delay_alu instid0(VALU_DEP_2) | instskip(SKIP_2) | instid1(VALU_DEP_2)
	v_mul_f32_e32 v6, v11, v6
	v_dual_fmac_f32 v24, 0x32a5705f, v1 :: v_dual_cndmask_b32 v7, 0, v7
	v_cmp_lt_i32_e32 vcc_lo, 64, v22
	v_add_f32_e32 v17, v17, v24
	s_waitcnt vmcnt(2)
	s_delay_alu instid0(VALU_DEP_3) | instskip(SKIP_3) | instid1(VALU_DEP_3)
	v_mul_f32_e32 v3, v3, v7
	v_cndmask_b32_e32 v9, 0, v9, vcc_lo
	v_cmp_ngt_f32_e32 vcc_lo, 0xc2ce8ed0, v1
	v_exp_f32_e32 v17, v17
	v_add_f32_e32 v7, v6, v3
	s_waitcnt_depctr 0xfff
	v_ldexp_f32 v17, v17, v21
	s_delay_alu instid0(VALU_DEP_1) | instskip(SKIP_2) | instid1(VALU_DEP_2)
	v_cndmask_b32_e32 v10, 0, v17, vcc_lo
	v_cmp_nlt_f32_e32 vcc_lo, 0x42b17218, v1
	s_waitcnt vmcnt(1)
	v_dual_mul_f32 v4, v4, v9 :: v_dual_cndmask_b32 v1, 0x7f800000, v10
	v_cmp_lt_i32_e32 vcc_lo, 0x60, v22
	s_delay_alu instid0(VALU_DEP_2) | instskip(NEXT) | instid1(VALU_DEP_3)
	v_cndmask_b32_e32 v9, 0, v1, vcc_lo
	v_add_f32_e32 v1, v7, v4
	v_lshlrev_b32_e32 v7, 2, v0
	s_waitcnt vmcnt(0)
	s_delay_alu instid0(VALU_DEP_2)
	v_fmac_f32_e32 v1, v5, v9
	v_mul_f32_e32 v5, v5, v9
	ds_store_2addr_b32 v7, v6, v3 offset1:32
	ds_store_2addr_b32 v7, v4, v5 offset0:64 offset1:96
	ds_bpermute_b32 v2, v2, v1
	s_waitcnt lgkmcnt(0)
	v_add_f32_e32 v1, v1, v2
	ds_bpermute_b32 v2, v8, v1
	s_waitcnt lgkmcnt(0)
	v_add_f32_e32 v1, v1, v2
	;; [unrolled: 3-line block ×4, first 2 shown]
	ds_bpermute_b32 v2, v16, v1
	v_cmpx_eq_u32_e32 0, v0
	s_cbranch_execz .LBB405_8
; %bb.7:
	s_waitcnt lgkmcnt(0)
	v_dual_add_f32 v1, v1, v2 :: v_dual_mov_b32 v2, 0
	ds_store_b32 v2, v1 offset:512
.LBB405_8:
	s_or_b32 exec_lo, exec_lo, s7
	v_mov_b32_e32 v1, s6
.LBB405_9:
	s_or_b32 exec_lo, exec_lo, s22
	s_lshl_b32 s6, s18, 6
	s_mov_b32 s7, 0
	s_waitcnt lgkmcnt(0)
	v_dual_mov_b32 v2, 0 :: v_dual_lshlrev_b32 v1, 6, v1
	s_lshl_b64 s[6:7], s[6:7], 1
	v_dual_mov_b32 v33, 0 :: v_dual_mov_b32 v34, 0
	s_add_u32 s34, s4, s6
	s_addc_u32 s35, s5, s7
	s_lshl_b32 s4, s21, 6
	v_lshlrev_b64 v[3:4], 1, v[1:2]
	s_sub_i32 s51, s4, 64
	s_cmpk_lt_i32 s50, 0x100
	v_lshlrev_b32_e32 v1, 1, v0
	s_cselect_b32 s4, s51, 0
	v_mov_b32_e32 v35, 0
	s_ashr_i32 s5, s4, 31
	v_add_co_u32 v3, vcc_lo, s34, v3
	s_lshl_b64 s[4:5], s[4:5], 1
	s_cmpk_lt_i32 s50, 0x200
	v_add_co_ci_u32_e32 v4, vcc_lo, s35, v4, vcc_lo
	s_cselect_b32 s6, s51, 64
	v_add_co_u32 v1, vcc_lo, v3, v1
	s_ashr_i32 s7, s6, 31
	s_delay_alu instid0(VALU_DEP_2)
	v_add_co_ci_u32_e32 v3, vcc_lo, 0, v4, vcc_lo
	s_lshl_b64 s[6:7], s[6:7], 1
	s_cmpk_lt_i32 s50, 0x300
	v_add_co_u32 v4, vcc_lo, v1, s4
	s_cselect_b32 s8, s51, 0x80
	v_add_co_ci_u32_e32 v5, vcc_lo, s5, v3, vcc_lo
	s_ashr_i32 s9, s8, 31
	v_add_co_u32 v6, vcc_lo, v1, s6
	s_lshl_b64 s[8:9], s[8:9], 1
	s_cmpk_lt_i32 s50, 0x400
	v_add_co_ci_u32_e32 v7, vcc_lo, s7, v3, vcc_lo
	s_cselect_b32 s10, s51, 0xc0
	v_add_co_u32 v8, vcc_lo, v1, s8
	s_ashr_i32 s11, s10, 31
	v_add_co_ci_u32_e32 v9, vcc_lo, s9, v3, vcc_lo
	s_lshl_b64 s[10:11], s[10:11], 1
	s_cmpk_lt_i32 s50, 0x500
	v_add_co_u32 v14, vcc_lo, v1, s10
	s_cselect_b32 s18, s51, 0x100
	v_add_co_ci_u32_e32 v15, vcc_lo, s11, v3, vcc_lo
	s_ashr_i32 s19, s18, 31
	v_mov_b32_e32 v32, 0
	s_lshl_b64 s[18:19], s[18:19], 1
	s_cmpk_lt_i32 s50, 0x600
	v_add_co_u32 v16, vcc_lo, v1, s18
	s_cselect_b32 s22, s51, 0x140
	v_add_co_ci_u32_e32 v17, vcc_lo, s19, v3, vcc_lo
	s_ashr_i32 s23, s22, 31
	s_delay_alu instid0(SALU_CYCLE_1)
	s_lshl_b64 s[22:23], s[22:23], 1
	s_cmpk_lt_i32 s50, 0x700
	v_add_co_u32 v18, vcc_lo, v1, s22
	s_cselect_b32 s24, s51, 0x180
	v_add_co_ci_u32_e32 v19, vcc_lo, s23, v3, vcc_lo
	s_ashr_i32 s25, s24, 31
	s_delay_alu instid0(SALU_CYCLE_1)
	;; [unrolled: 7-line block ×3, first 2 shown]
	s_lshl_b64 s[26:27], s[26:27], 1
	s_cmpk_lt_i32 s50, 0x900
	v_add_co_u32 v22, vcc_lo, v1, s26
	s_cselect_b32 s28, s51, 0x200
	v_add_co_ci_u32_e32 v23, vcc_lo, s27, v3, vcc_lo
	s_ashr_i32 s29, s28, 31
	s_clause 0x7
	global_load_u16 v13, v[4:5], off
	global_load_u16 v4, v[6:7], off
	;; [unrolled: 1-line block ×8, first 2 shown]
	s_lshl_b64 s[28:29], s[28:29], 1
	s_cmpk_lt_i32 s50, 0xa00
	v_add_co_u32 v14, vcc_lo, v1, s28
	s_cselect_b32 s30, s51, 0x240
	v_add_co_ci_u32_e32 v15, vcc_lo, s29, v3, vcc_lo
	s_ashr_i32 s31, s30, 31
	s_delay_alu instid0(SALU_CYCLE_1)
	s_lshl_b64 s[30:31], s[30:31], 1
	s_cmpk_lt_i32 s50, 0xb00
	v_add_co_u32 v16, vcc_lo, v1, s30
	s_cselect_b32 s34, s51, 0x280
	v_add_co_ci_u32_e32 v17, vcc_lo, s31, v3, vcc_lo
	s_ashr_i32 s35, s34, 31
	s_delay_alu instid0(SALU_CYCLE_1)
	;; [unrolled: 7-line block ×7, first 2 shown]
	s_lshl_b64 s[4:5], s[6:7], 1
	s_cmpk_gt_i32 s20, 0x1000
	v_add_co_u32 v30, vcc_lo, v1, s4
	v_add_co_ci_u32_e32 v31, vcc_lo, s5, v3, vcc_lo
	s_clause 0x7
	global_load_u16 v19, v[14:15], off
	global_load_u16 v18, v[16:17], off
	;; [unrolled: 1-line block ×8, first 2 shown]
	v_dual_mov_b32 v20, 0 :: v_dual_mov_b32 v21, 0
	v_dual_mov_b32 v22, 0 :: v_dual_mov_b32 v23, 0
	v_dual_mov_b32 v24, 0 :: v_dual_mov_b32 v25, 0
	v_dual_mov_b32 v26, 0 :: v_dual_mov_b32 v27, 0
	v_dual_mov_b32 v28, 0 :: v_dual_mov_b32 v29, 0
	v_dual_mov_b32 v30, 0 :: v_dual_mov_b32 v31, 0
	s_cselect_b32 s6, -1, 0
	s_cmpk_lt_i32 s20, 0x1001
	s_waitcnt vmcnt(0)
	s_barrier
	buffer_gl0_inv
	s_cbranch_scc1 .LBB405_11
; %bb.10:
	s_cmpk_lt_i32 s50, 0x1100
	s_cselect_b32 s4, s51, 0x400
	s_delay_alu instid0(SALU_CYCLE_1) | instskip(NEXT) | instid1(SALU_CYCLE_1)
	s_ashr_i32 s5, s4, 31
	s_lshl_b64 s[4:5], s[4:5], 1
	s_cmpk_lt_i32 s50, 0x1200
	v_add_co_u32 v20, vcc_lo, v1, s4
	s_cselect_b32 s8, s51, 0x440
	v_add_co_ci_u32_e32 v21, vcc_lo, s5, v3, vcc_lo
	s_ashr_i32 s9, s8, 31
	s_delay_alu instid0(SALU_CYCLE_1)
	s_lshl_b64 s[8:9], s[8:9], 1
	s_cmpk_lt_i32 s50, 0x1300
	v_add_co_u32 v22, vcc_lo, v1, s8
	s_cselect_b32 s10, s51, 0x480
	v_add_co_ci_u32_e32 v23, vcc_lo, s9, v3, vcc_lo
	s_ashr_i32 s11, s10, 31
	s_delay_alu instid0(SALU_CYCLE_1)
	;; [unrolled: 7-line block ×14, first 2 shown]
	s_lshl_b64 s[4:5], s[18:19], 1
	s_cmpk_lt_i32 s50, 0x2000
	v_add_co_u32 v48, vcc_lo, v1, s4
	s_cselect_b32 s8, s51, 0x7c0
	v_add_co_ci_u32_e32 v49, vcc_lo, s5, v3, vcc_lo
	s_ashr_i32 s9, s8, 31
	s_delay_alu instid0(SALU_CYCLE_1) | instskip(NEXT) | instid1(SALU_CYCLE_1)
	s_lshl_b64 s[4:5], s[8:9], 1
	v_add_co_u32 v50, vcc_lo, v1, s4
	v_add_co_ci_u32_e32 v51, vcc_lo, s5, v3, vcc_lo
	s_clause 0xf
	global_load_u16 v20, v[20:21], off
	global_load_u16 v21, v[22:23], off
	;; [unrolled: 1-line block ×16, first 2 shown]
	s_waitcnt vmcnt(15)
	v_lshlrev_b32_e32 v35, 16, v20
	s_waitcnt vmcnt(14)
	v_lshlrev_b32_e32 v34, 16, v21
	;; [unrolled: 2-line block ×16, first 2 shown]
.LBB405_11:
	ds_load_b128 v[36:39], v2
	ds_load_b128 v[40:43], v2 offset:16
	v_lshlrev_b32_e32 v44, 16, v4
	v_lshlrev_b32_e32 v13, 16, v13
	;; [unrolled: 1-line block ×4, first 2 shown]
	s_and_not1_b32 vcc_lo, exec_lo, s6
	v_lshlrev_b32_e32 v5, 16, v5
	s_waitcnt lgkmcnt(1)
	v_fma_f32 v4, v36, v13, 0
	s_delay_alu instid0(VALU_DEP_1) | instskip(SKIP_1) | instid1(VALU_DEP_1)
	v_dual_fmac_f32 v4, v37, v44 :: v_dual_lshlrev_b32 v9, 16, v9
	v_lshlrev_b32_e32 v11, 16, v11
	v_dual_fmac_f32 v4, v38, v11 :: v_dual_lshlrev_b32 v11, 16, v18
	s_delay_alu instid0(VALU_DEP_1) | instskip(SKIP_3) | instid1(VALU_DEP_1)
	v_dual_fmac_f32 v4, v39, v9 :: v_dual_lshlrev_b32 v7, 16, v7
	ds_load_b128 v[36:39], v2 offset:32
	s_waitcnt lgkmcnt(1)
	v_dual_fmac_f32 v4, v40, v8 :: v_dual_lshlrev_b32 v9, 16, v19
	v_fmac_f32_e32 v4, v41, v7
	s_delay_alu instid0(VALU_DEP_1) | instskip(NEXT) | instid1(VALU_DEP_1)
	v_fmac_f32_e32 v4, v42, v6
	v_fmac_f32_e32 v4, v43, v5
	ds_load_b128 v[5:8], v2 offset:48
	s_waitcnt lgkmcnt(1)
	v_fmac_f32_e32 v4, v36, v9
	s_delay_alu instid0(VALU_DEP_1) | instskip(NEXT) | instid1(VALU_DEP_1)
	v_dual_fmac_f32 v4, v37, v11 :: v_dual_lshlrev_b32 v9, 16, v17
	v_dual_fmac_f32 v4, v38, v9 :: v_dual_lshlrev_b32 v11, 16, v16
	v_lshlrev_b32_e32 v9, 16, v15
	s_delay_alu instid0(VALU_DEP_2) | instskip(SKIP_1) | instid1(VALU_DEP_1)
	v_dual_fmac_f32 v4, v39, v11 :: v_dual_lshlrev_b32 v11, 16, v14
	s_waitcnt lgkmcnt(0)
	v_dual_fmac_f32 v4, v5, v9 :: v_dual_lshlrev_b32 v5, 16, v12
	s_delay_alu instid0(VALU_DEP_1) | instskip(NEXT) | instid1(VALU_DEP_1)
	v_fmac_f32_e32 v4, v6, v11
	v_dual_fmac_f32 v4, v7, v5 :: v_dual_lshlrev_b32 v5, 16, v10
	s_delay_alu instid0(VALU_DEP_1)
	v_fmac_f32_e32 v4, v8, v5
	s_cbranch_vccz .LBB405_23
; %bb.12:
	s_cmpk_lt_i32 s50, 0x2100
	s_cbranch_scc0 .LBB405_24
.LBB405_13:
	s_cmpk_lt_i32 s50, 0x4100
	s_cbranch_scc0 .LBB405_25
.LBB405_14:
	s_cmpk_lt_i32 s50, 0x6100
	s_cbranch_scc0 .LBB405_26
.LBB405_15:
	v_mov_b32_e32 v1, 0
	s_and_not1_b32 vcc_lo, exec_lo, s15
	ds_load_b32 v1, v1 offset:512
	s_cbranch_vccnz .LBB405_17
.LBB405_16:
	s_add_u32 s2, s12, s16
	s_addc_u32 s3, s13, s17
	s_load_b32 s2, s[2:3], 0x0
	s_mov_b32 s3, 0
.LBB405_17:
	s_waitcnt lgkmcnt(0)
	v_add_f32_e32 v1, 0x358637bd, v1
	s_load_b64 s[0:1], s[0:1], 0x0
	s_delay_alu instid0(VALU_DEP_1) | instskip(NEXT) | instid1(VALU_DEP_1)
	v_div_scale_f32 v2, null, v1, v1, 1.0
	v_rcp_f32_e32 v3, v2
	s_waitcnt_depctr 0xfff
	v_fma_f32 v5, -v2, v3, 1.0
	s_delay_alu instid0(VALU_DEP_1) | instskip(SKIP_1) | instid1(VALU_DEP_1)
	v_fmac_f32_e32 v3, v5, v3
	v_div_scale_f32 v5, vcc_lo, 1.0, v1, 1.0
	v_mul_f32_e32 v6, v5, v3
	s_delay_alu instid0(VALU_DEP_1) | instskip(NEXT) | instid1(VALU_DEP_1)
	v_fma_f32 v7, -v2, v6, v5
	v_fmac_f32_e32 v6, v7, v3
	s_delay_alu instid0(VALU_DEP_1) | instskip(NEXT) | instid1(VALU_DEP_1)
	v_fma_f32 v2, -v2, v6, v5
	v_div_fmas_f32 v2, v2, v3, v6
	s_delay_alu instid0(VALU_DEP_1) | instskip(NEXT) | instid1(VALU_DEP_1)
	v_div_fixup_f32 v1, v2, v1, 1.0
	v_mul_f32_e32 v2, v4, v1
	s_delay_alu instid0(VALU_DEP_1) | instskip(NEXT) | instid1(VALU_DEP_1)
	v_and_b32_e32 v1, 0x7f800000, v2
	v_cmp_ne_u32_e32 vcc_lo, 0x7f800000, v1
                                        ; implicit-def: $vgpr1
	s_and_saveexec_b32 s4, vcc_lo
	s_delay_alu instid0(SALU_CYCLE_1)
	s_xor_b32 s4, exec_lo, s4
; %bb.18:
	v_bfe_u32 v1, v2, 16, 1
	s_delay_alu instid0(VALU_DEP_1)
	v_add3_u32 v1, v2, v1, 0x7fff
                                        ; implicit-def: $vgpr2
; %bb.19:
	s_and_not1_saveexec_b32 s4, s4
; %bb.20:
	v_and_b32_e32 v1, 0xffff, v2
	v_or_b32_e32 v3, 0x10000, v2
	s_delay_alu instid0(VALU_DEP_2) | instskip(NEXT) | instid1(VALU_DEP_2)
	v_cmp_eq_u32_e32 vcc_lo, 0, v1
	v_cndmask_b32_e32 v1, v3, v2, vcc_lo
; %bb.21:
	s_or_b32 exec_lo, exec_lo, s4
	s_mul_i32 s3, s33, s3
	s_mul_hi_u32 s4, s33, s2
	s_mul_i32 s2, s33, s2
	s_add_i32 s3, s4, s3
	s_mov_b32 s15, 0
	s_lshl_b64 s[2:3], s[2:3], 6
	v_and_b32_e32 v1, 0xffff0000, v1
	s_waitcnt lgkmcnt(0)
	s_add_u32 s2, s0, s2
	s_addc_u32 s3, s1, s3
	s_lshl_b64 s[0:1], s[14:15], 6
	s_delay_alu instid0(SALU_CYCLE_1)
	s_add_u32 s0, s2, s0
	s_addc_u32 s1, s3, s1
	v_add_co_u32 v0, s0, s0, v0
	v_cvt_i32_f32_e32 v2, v1
	v_add_co_ci_u32_e64 v1, null, s1, 0, s0
	global_store_b8 v[0:1], v2, off
	s_nop 0
	s_sendmsg sendmsg(MSG_DEALLOC_VGPRS)
	s_endpgm
.LBB405_22:
	s_mov_b32 s4, 0
	s_branch .LBB405_2
.LBB405_23:
	ds_load_b128 v[5:8], v2 offset:64
	ds_load_b128 v[9:12], v2 offset:80
	s_waitcnt lgkmcnt(1)
	v_fmac_f32_e32 v4, v5, v35
	s_delay_alu instid0(VALU_DEP_1) | instskip(NEXT) | instid1(VALU_DEP_1)
	v_fmac_f32_e32 v4, v6, v34
	v_fmac_f32_e32 v4, v7, v33
	s_delay_alu instid0(VALU_DEP_1) | instskip(SKIP_3) | instid1(VALU_DEP_1)
	v_fmac_f32_e32 v4, v8, v32
	ds_load_b128 v[5:8], v2 offset:96
	s_waitcnt lgkmcnt(1)
	v_fmac_f32_e32 v4, v9, v31
	v_fmac_f32_e32 v4, v10, v30
	s_delay_alu instid0(VALU_DEP_1) | instskip(NEXT) | instid1(VALU_DEP_1)
	v_fmac_f32_e32 v4, v11, v29
	v_fmac_f32_e32 v4, v12, v28
	ds_load_b128 v[9:12], v2 offset:112
	s_waitcnt lgkmcnt(1)
	v_fmac_f32_e32 v4, v5, v27
	s_delay_alu instid0(VALU_DEP_1) | instskip(NEXT) | instid1(VALU_DEP_1)
	v_fmac_f32_e32 v4, v6, v26
	v_fmac_f32_e32 v4, v7, v25
	s_delay_alu instid0(VALU_DEP_1) | instskip(SKIP_1) | instid1(VALU_DEP_1)
	v_fmac_f32_e32 v4, v8, v24
	s_waitcnt lgkmcnt(0)
	v_fmac_f32_e32 v4, v9, v23
	s_delay_alu instid0(VALU_DEP_1) | instskip(NEXT) | instid1(VALU_DEP_1)
	v_fmac_f32_e32 v4, v10, v22
	v_fmac_f32_e32 v4, v11, v21
	s_delay_alu instid0(VALU_DEP_1)
	v_fmac_f32_e32 v4, v12, v20
	s_cmpk_lt_i32 s50, 0x2100
	s_cbranch_scc1 .LBB405_13
.LBB405_24:
	s_cmpk_lt_u32 s50, 0x2200
	v_add_co_u32 v5, vcc_lo, 0x1000, v1
	s_cselect_b32 s4, s51, 0x840
	v_add_co_ci_u32_e32 v6, vcc_lo, 0, v3, vcc_lo
	s_ashr_i32 s5, s4, 31
	v_mov_b32_e32 v44, 0
	s_lshl_b64 s[4:5], s[4:5], 1
	s_cmpk_lt_u32 s50, 0x2300
	global_load_u16 v2, v[5:6], off
	s_cselect_b32 s6, s51, 0x880
	v_add_co_u32 v5, vcc_lo, v1, s4
	s_ashr_i32 s7, s6, 31
	v_add_co_ci_u32_e32 v6, vcc_lo, s5, v3, vcc_lo
	s_lshl_b64 s[8:9], s[6:7], 1
	s_cmpk_lt_u32 s50, 0x2400
	v_add_co_u32 v7, vcc_lo, v1, s8
	s_cselect_b32 s6, s51, 0x8c0
	v_add_co_ci_u32_e32 v8, vcc_lo, s9, v3, vcc_lo
	s_ashr_i32 s7, s6, 31
	s_delay_alu instid0(SALU_CYCLE_1)
	s_lshl_b64 s[18:19], s[6:7], 1
	s_cmpk_lt_u32 s50, 0x2500
	v_add_co_u32 v9, vcc_lo, v1, s18
	s_cselect_b32 s6, s51, 0x900
	v_add_co_ci_u32_e32 v10, vcc_lo, s19, v3, vcc_lo
	s_ashr_i32 s7, s6, 31
	s_delay_alu instid0(SALU_CYCLE_1)
	s_lshl_b64 s[24:25], s[6:7], 1
	s_cmpk_lt_u32 s50, 0x2600
	v_add_co_u32 v11, vcc_lo, v1, s24
	s_cselect_b32 s6, s51, 0x940
	v_add_co_ci_u32_e32 v12, vcc_lo, s25, v3, vcc_lo
	s_ashr_i32 s7, s6, 31
	s_clause 0x3
	global_load_u16 v13, v[5:6], off
	global_load_u16 v14, v[7:8], off
	;; [unrolled: 1-line block ×4, first 2 shown]
	s_lshl_b64 s[6:7], s[6:7], 1
	s_cmpk_lt_u32 s50, 0x2700
	v_add_co_u32 v5, vcc_lo, v1, s6
	s_cselect_b32 s10, s51, 0x980
	v_add_co_ci_u32_e32 v6, vcc_lo, s7, v3, vcc_lo
	s_ashr_i32 s11, s10, 31
	s_delay_alu instid0(SALU_CYCLE_1)
	s_lshl_b64 s[10:11], s[10:11], 1
	s_cmpk_lt_u32 s50, 0x2800
	v_add_co_u32 v7, vcc_lo, v1, s10
	s_cselect_b32 s20, s51, 0x9c0
	v_add_co_ci_u32_e32 v8, vcc_lo, s11, v3, vcc_lo
	s_ashr_i32 s21, s20, 31
	s_delay_alu instid0(SALU_CYCLE_1)
	;; [unrolled: 7-line block ×3, first 2 shown]
	s_lshl_b64 s[30:31], s[20:21], 1
	s_cmpk_lt_u32 s50, 0x2a00
	v_add_co_u32 v11, vcc_lo, v1, s30
	s_cselect_b32 s20, s51, 0xa40
	v_add_co_ci_u32_e32 v12, vcc_lo, s31, v3, vcc_lo
	s_ashr_i32 s21, s20, 31
	s_clause 0x3
	global_load_u16 v17, v[5:6], off
	global_load_u16 v18, v[7:8], off
	;; [unrolled: 1-line block ×4, first 2 shown]
	s_lshl_b64 s[20:21], s[20:21], 1
	s_cmpk_lt_u32 s50, 0x2b00
	v_add_co_u32 v5, vcc_lo, v1, s20
	s_cselect_b32 s26, s51, 0xa80
	v_add_co_ci_u32_e32 v6, vcc_lo, s21, v3, vcc_lo
	s_ashr_i32 s27, s26, 31
	s_delay_alu instid0(SALU_CYCLE_1)
	s_lshl_b64 s[26:27], s[26:27], 1
	s_cmpk_lt_u32 s50, 0x2c00
	v_add_co_u32 v7, vcc_lo, v1, s26
	s_cselect_b32 s28, s51, 0xac0
	v_add_co_ci_u32_e32 v8, vcc_lo, s27, v3, vcc_lo
	s_ashr_i32 s29, s28, 31
	global_load_u16 v21, v[5:6], off
	s_lshl_b64 s[34:35], s[28:29], 1
	s_cmpk_lt_u32 s50, 0x2d00
	v_add_co_u32 v9, vcc_lo, v1, s34
	s_cselect_b32 s28, s51, 0xb00
	v_add_co_ci_u32_e32 v10, vcc_lo, s35, v3, vcc_lo
	s_ashr_i32 s29, s28, 31
	s_delay_alu instid0(SALU_CYCLE_1)
	s_lshl_b64 s[38:39], s[28:29], 1
	s_cmpk_lt_u32 s50, 0x2e00
	v_add_co_u32 v11, vcc_lo, v1, s38
	s_cselect_b32 s28, s51, 0xb40
	v_add_co_ci_u32_e32 v12, vcc_lo, s39, v3, vcc_lo
	s_ashr_i32 s29, s28, 31
	s_clause 0x2
	global_load_u16 v22, v[7:8], off
	global_load_u16 v23, v[9:10], off
	;; [unrolled: 1-line block ×3, first 2 shown]
	s_lshl_b64 s[28:29], s[28:29], 1
	s_cmpk_lt_u32 s50, 0x2f00
	v_add_co_u32 v5, vcc_lo, v1, s28
	s_cselect_b32 s36, s51, 0xb80
	v_add_co_ci_u32_e32 v6, vcc_lo, s29, v3, vcc_lo
	s_ashr_i32 s37, s36, 31
	s_delay_alu instid0(SALU_CYCLE_1)
	s_lshl_b64 s[36:37], s[36:37], 1
	s_cmpk_lt_u32 s50, 0x3000
	v_add_co_u32 v7, vcc_lo, v1, s36
	s_cselect_b32 s40, s51, 0xbc0
	v_add_co_ci_u32_e32 v8, vcc_lo, s37, v3, vcc_lo
	s_ashr_i32 s41, s40, 31
	global_load_u16 v25, v[5:6], off
	s_lshl_b64 s[40:41], s[40:41], 1
	global_load_u16 v26, v[7:8], off
	s_cmpk_lt_u32 s50, 0x3100
	v_add_co_u32 v9, vcc_lo, v1, s40
	s_cselect_b32 s42, s51, 0xc00
	v_add_co_ci_u32_e32 v10, vcc_lo, s41, v3, vcc_lo
	s_ashr_i32 s43, s42, 31
	s_delay_alu instid0(SALU_CYCLE_1)
	s_lshl_b64 s[42:43], s[42:43], 1
	global_load_u16 v27, v[9:10], off
	s_cmpk_lt_u32 s50, 0x3200
	v_add_co_u32 v5, vcc_lo, v1, s42
	s_cselect_b32 s44, s51, 0xc40
	v_add_co_ci_u32_e32 v6, vcc_lo, s43, v3, vcc_lo
	s_ashr_i32 s45, s44, 31
	s_delay_alu instid0(SALU_CYCLE_1)
	s_lshl_b64 s[44:45], s[44:45], 1
	s_cmpk_lt_u32 s50, 0x3300
	v_add_co_u32 v7, vcc_lo, v1, s44
	s_cselect_b32 s46, s51, 0xc80
	v_add_co_ci_u32_e32 v8, vcc_lo, s45, v3, vcc_lo
	s_ashr_i32 s47, s46, 31
	global_load_u16 v28, v[5:6], off
	s_lshl_b64 s[46:47], s[46:47], 1
	global_load_u16 v29, v[7:8], off
	s_cmpk_lt_u32 s50, 0x3400
	v_add_co_u32 v9, vcc_lo, v1, s46
	s_cselect_b32 s48, s51, 0xcc0
	v_add_co_ci_u32_e32 v10, vcc_lo, s47, v3, vcc_lo
	s_ashr_i32 s49, s48, 31
	s_delay_alu instid0(SALU_CYCLE_1)
	s_lshl_b64 s[48:49], s[48:49], 1
	s_cmpk_lt_u32 s50, 0x3500
	v_add_co_u32 v5, vcc_lo, v1, s48
	s_cselect_b32 s4, s51, 0xd00
	v_add_co_ci_u32_e32 v6, vcc_lo, s49, v3, vcc_lo
	s_ashr_i32 s5, s4, 31
	global_load_u16 v30, v[9:10], off
	s_lshl_b64 s[4:5], s[4:5], 1
	s_cmpk_lt_u32 s50, 0x3600
	v_add_co_u32 v7, vcc_lo, v1, s4
	s_cselect_b32 s8, s51, 0xd40
	v_add_co_ci_u32_e32 v8, vcc_lo, s5, v3, vcc_lo
	s_ashr_i32 s9, s8, 31
	global_load_u16 v31, v[5:6], off
	s_lshl_b64 s[6:7], s[8:9], 1
	global_load_u16 v32, v[7:8], off
	s_cmpk_lt_u32 s50, 0x3700
	v_add_co_u32 v5, vcc_lo, v1, s6
	s_cselect_b32 s8, s51, 0xd80
	v_add_co_ci_u32_e32 v6, vcc_lo, s7, v3, vcc_lo
	s_ashr_i32 s9, s8, 31
	s_delay_alu instid0(SALU_CYCLE_1)
	s_lshl_b64 s[8:9], s[8:9], 1
	s_cmpk_lt_u32 s50, 0x3800
	v_add_co_u32 v7, vcc_lo, v1, s8
	s_cselect_b32 s10, s51, 0xdc0
	v_add_co_ci_u32_e32 v8, vcc_lo, s9, v3, vcc_lo
	s_ashr_i32 s11, s10, 31
	global_load_u16 v33, v[5:6], off
	s_lshl_b64 s[10:11], s[10:11], 1
	global_load_u16 v34, v[7:8], off
	s_cmpk_lt_u32 s50, 0x3900
	v_add_co_u32 v5, vcc_lo, v1, s10
	s_cselect_b32 s18, s51, 0xe00
	v_add_co_ci_u32_e32 v6, vcc_lo, s11, v3, vcc_lo
	s_ashr_i32 s19, s18, 31
	s_delay_alu instid0(SALU_CYCLE_1)
	s_lshl_b64 s[18:19], s[18:19], 1
	s_cmpk_lt_u32 s50, 0x3a00
	v_add_co_u32 v7, vcc_lo, v1, s18
	s_cselect_b32 s20, s51, 0xe40
	v_add_co_ci_u32_e32 v8, vcc_lo, s19, v3, vcc_lo
	s_ashr_i32 s21, s20, 31
	global_load_u16 v35, v[5:6], off
	s_lshl_b64 s[20:21], s[20:21], 1
	global_load_u16 v36, v[7:8], off
	s_cmpk_lt_u32 s50, 0x3b00
	v_add_co_u32 v5, vcc_lo, v1, s20
	s_cselect_b32 s22, s51, 0xe80
	v_add_co_ci_u32_e32 v6, vcc_lo, s21, v3, vcc_lo
	s_ashr_i32 s23, s22, 31
	s_delay_alu instid0(SALU_CYCLE_1)
	s_lshl_b64 s[22:23], s[22:23], 1
	s_cmpk_lt_u32 s50, 0x3c00
	v_add_co_u32 v7, vcc_lo, v1, s22
	s_cselect_b32 s24, s51, 0xec0
	v_add_co_ci_u32_e32 v8, vcc_lo, s23, v3, vcc_lo
	s_ashr_i32 s25, s24, 31
	global_load_u16 v37, v[5:6], off
	s_lshl_b64 s[24:25], s[24:25], 1
	global_load_u16 v38, v[7:8], off
	s_cmpk_lt_u32 s50, 0x3d00
	v_add_co_u32 v5, vcc_lo, v1, s24
	s_cselect_b32 s4, s51, 0xf00
	v_add_co_ci_u32_e32 v6, vcc_lo, s25, v3, vcc_lo
	s_ashr_i32 s5, s4, 31
	s_delay_alu instid0(SALU_CYCLE_1)
	s_lshl_b64 s[4:5], s[4:5], 1
	s_cmpk_lt_u32 s50, 0x3e00
	v_add_co_u32 v7, vcc_lo, v1, s4
	s_cselect_b32 s6, s51, 0xf40
	v_add_co_ci_u32_e32 v8, vcc_lo, s5, v3, vcc_lo
	s_ashr_i32 s7, s6, 31
	global_load_u16 v39, v[5:6], off
	s_lshl_b64 s[6:7], s[6:7], 1
	global_load_u16 v40, v[7:8], off
	s_cmpk_lt_u32 s50, 0x3f00
	v_add_co_u32 v5, vcc_lo, v1, s6
	s_cselect_b32 s8, s51, 0xf80
	v_add_co_ci_u32_e32 v6, vcc_lo, s7, v3, vcc_lo
	s_ashr_i32 s9, s8, 31
	s_delay_alu instid0(SALU_CYCLE_1)
	s_lshl_b64 s[4:5], s[8:9], 1
	s_cmpk_lt_u32 s50, 0x4000
	v_add_co_u32 v7, vcc_lo, v1, s4
	s_cselect_b32 s6, s51, 0xfc0
	v_add_co_ci_u32_e32 v8, vcc_lo, s5, v3, vcc_lo
	s_ashr_i32 s7, s6, 31
	global_load_u16 v41, v[5:6], off
	s_lshl_b64 s[4:5], s[6:7], 1
	global_load_u16 v42, v[7:8], off
	v_add_co_u32 v5, vcc_lo, v1, s4
	v_add_co_ci_u32_e32 v6, vcc_lo, s5, v3, vcc_lo
	global_load_u16 v43, v[5:6], off
	ds_load_b128 v[5:8], v44 offset:128
	ds_load_b128 v[9:12], v44 offset:144
	s_waitcnt vmcnt(31)
	v_lshlrev_b32_e32 v2, 16, v2
	s_waitcnt lgkmcnt(1)
	s_delay_alu instid0(VALU_DEP_1) | instskip(SKIP_2) | instid1(VALU_DEP_1)
	v_fmac_f32_e32 v4, v5, v2
	s_waitcnt vmcnt(30)
	v_lshlrev_b32_e32 v2, 16, v13
	v_fmac_f32_e32 v4, v6, v2
	s_waitcnt vmcnt(29)
	v_lshlrev_b32_e32 v2, 16, v14
	s_delay_alu instid0(VALU_DEP_1) | instskip(SKIP_2) | instid1(VALU_DEP_1)
	v_fmac_f32_e32 v4, v7, v2
	s_waitcnt vmcnt(28)
	v_lshlrev_b32_e32 v2, 16, v15
	v_fmac_f32_e32 v4, v8, v2
	s_waitcnt vmcnt(27)
	v_lshlrev_b32_e32 v2, 16, v16
	ds_load_b128 v[5:8], v44 offset:160
	s_waitcnt lgkmcnt(1)
	v_fmac_f32_e32 v4, v9, v2
	s_waitcnt vmcnt(26)
	v_lshlrev_b32_e32 v2, 16, v17
	s_delay_alu instid0(VALU_DEP_1) | instskip(SKIP_2) | instid1(VALU_DEP_1)
	v_fmac_f32_e32 v4, v10, v2
	s_waitcnt vmcnt(25)
	v_lshlrev_b32_e32 v2, 16, v18
	v_fmac_f32_e32 v4, v11, v2
	s_waitcnt vmcnt(24)
	v_lshlrev_b32_e32 v2, 16, v19
	s_delay_alu instid0(VALU_DEP_1) | instskip(SKIP_4) | instid1(VALU_DEP_1)
	v_fmac_f32_e32 v4, v12, v2
	ds_load_b128 v[9:12], v44 offset:176
	s_waitcnt vmcnt(23)
	v_lshlrev_b32_e32 v2, 16, v20
	s_waitcnt lgkmcnt(1)
	v_fmac_f32_e32 v4, v5, v2
	s_waitcnt vmcnt(22)
	v_lshlrev_b32_e32 v2, 16, v21
	s_delay_alu instid0(VALU_DEP_1) | instskip(SKIP_2) | instid1(VALU_DEP_1)
	v_fmac_f32_e32 v4, v6, v2
	s_waitcnt vmcnt(21)
	v_lshlrev_b32_e32 v2, 16, v22
	v_fmac_f32_e32 v4, v7, v2
	s_waitcnt vmcnt(20)
	v_lshlrev_b32_e32 v2, 16, v23
	s_delay_alu instid0(VALU_DEP_1)
	v_fmac_f32_e32 v4, v8, v2
	s_waitcnt vmcnt(19)
	v_lshlrev_b32_e32 v2, 16, v24
	ds_load_b128 v[5:8], v44 offset:192
	s_waitcnt lgkmcnt(1)
	v_fmac_f32_e32 v4, v9, v2
	s_waitcnt vmcnt(18)
	v_lshlrev_b32_e32 v2, 16, v25
	s_delay_alu instid0(VALU_DEP_1) | instskip(SKIP_2) | instid1(VALU_DEP_1)
	v_fmac_f32_e32 v4, v10, v2
	s_waitcnt vmcnt(17)
	v_lshlrev_b32_e32 v2, 16, v26
	v_fmac_f32_e32 v4, v11, v2
	s_waitcnt vmcnt(16)
	v_lshlrev_b32_e32 v2, 16, v27
	s_delay_alu instid0(VALU_DEP_1) | instskip(SKIP_4) | instid1(VALU_DEP_1)
	v_fmac_f32_e32 v4, v12, v2
	ds_load_b128 v[9:12], v44 offset:208
	s_waitcnt vmcnt(15)
	v_lshlrev_b32_e32 v2, 16, v28
	s_waitcnt lgkmcnt(1)
	v_fmac_f32_e32 v4, v5, v2
	s_waitcnt vmcnt(14)
	v_lshlrev_b32_e32 v2, 16, v29
	s_delay_alu instid0(VALU_DEP_1) | instskip(SKIP_2) | instid1(VALU_DEP_1)
	v_fmac_f32_e32 v4, v6, v2
	s_waitcnt vmcnt(13)
	v_lshlrev_b32_e32 v2, 16, v30
	v_fmac_f32_e32 v4, v7, v2
	s_waitcnt vmcnt(12)
	v_lshlrev_b32_e32 v2, 16, v31
	s_delay_alu instid0(VALU_DEP_1)
	v_fmac_f32_e32 v4, v8, v2
	s_waitcnt vmcnt(11)
	v_lshlrev_b32_e32 v2, 16, v32
	ds_load_b128 v[5:8], v44 offset:224
	s_waitcnt lgkmcnt(1)
	v_fmac_f32_e32 v4, v9, v2
	s_waitcnt vmcnt(10)
	v_lshlrev_b32_e32 v2, 16, v33
	s_delay_alu instid0(VALU_DEP_1) | instskip(SKIP_2) | instid1(VALU_DEP_1)
	v_fmac_f32_e32 v4, v10, v2
	s_waitcnt vmcnt(9)
	v_lshlrev_b32_e32 v2, 16, v34
	v_fmac_f32_e32 v4, v11, v2
	s_waitcnt vmcnt(8)
	v_lshlrev_b32_e32 v2, 16, v35
	s_delay_alu instid0(VALU_DEP_1) | instskip(SKIP_4) | instid1(VALU_DEP_1)
	v_fmac_f32_e32 v4, v12, v2
	ds_load_b128 v[9:12], v44 offset:240
	s_waitcnt vmcnt(7)
	v_lshlrev_b32_e32 v2, 16, v36
	s_waitcnt lgkmcnt(1)
	v_fmac_f32_e32 v4, v5, v2
	s_waitcnt vmcnt(6)
	v_lshlrev_b32_e32 v2, 16, v37
	s_delay_alu instid0(VALU_DEP_1) | instskip(SKIP_2) | instid1(VALU_DEP_1)
	v_fmac_f32_e32 v4, v6, v2
	s_waitcnt vmcnt(5)
	v_lshlrev_b32_e32 v2, 16, v38
	v_fmac_f32_e32 v4, v7, v2
	s_waitcnt vmcnt(4)
	v_lshlrev_b32_e32 v2, 16, v39
	s_delay_alu instid0(VALU_DEP_1) | instskip(SKIP_3) | instid1(VALU_DEP_1)
	v_fmac_f32_e32 v4, v8, v2
	s_waitcnt vmcnt(3)
	v_lshlrev_b32_e32 v2, 16, v40
	s_waitcnt lgkmcnt(0)
	v_fmac_f32_e32 v4, v9, v2
	s_waitcnt vmcnt(2)
	v_lshlrev_b32_e32 v2, 16, v41
	s_delay_alu instid0(VALU_DEP_1) | instskip(SKIP_2) | instid1(VALU_DEP_1)
	v_fmac_f32_e32 v4, v10, v2
	s_waitcnt vmcnt(1)
	v_lshlrev_b32_e32 v2, 16, v42
	v_fmac_f32_e32 v4, v11, v2
	s_waitcnt vmcnt(0)
	v_lshlrev_b32_e32 v2, 16, v43
	s_delay_alu instid0(VALU_DEP_1)
	v_fmac_f32_e32 v4, v12, v2
	s_cmpk_lt_i32 s50, 0x4100
	s_cbranch_scc1 .LBB405_14
.LBB405_25:
	s_cmpk_lt_u32 s50, 0x4200
	v_add_co_u32 v5, vcc_lo, 0x2000, v1
	s_cselect_b32 s4, s51, 0x1040
	v_add_co_ci_u32_e32 v6, vcc_lo, 0, v3, vcc_lo
	s_ashr_i32 s5, s4, 31
	v_mov_b32_e32 v44, 0
	s_lshl_b64 s[4:5], s[4:5], 1
	s_cmpk_lt_u32 s50, 0x4300
	global_load_u16 v2, v[5:6], off
	s_cselect_b32 s6, s51, 0x1080
	v_add_co_u32 v5, vcc_lo, v1, s4
	s_ashr_i32 s7, s6, 31
	v_add_co_ci_u32_e32 v6, vcc_lo, s5, v3, vcc_lo
	s_lshl_b64 s[8:9], s[6:7], 1
	s_cmpk_lt_u32 s50, 0x4400
	v_add_co_u32 v7, vcc_lo, v1, s8
	s_cselect_b32 s6, s51, 0x10c0
	v_add_co_ci_u32_e32 v8, vcc_lo, s9, v3, vcc_lo
	s_ashr_i32 s7, s6, 31
	s_delay_alu instid0(SALU_CYCLE_1)
	s_lshl_b64 s[18:19], s[6:7], 1
	s_cmpk_lt_u32 s50, 0x4500
	v_add_co_u32 v9, vcc_lo, v1, s18
	s_cselect_b32 s6, s51, 0x1100
	v_add_co_ci_u32_e32 v10, vcc_lo, s19, v3, vcc_lo
	s_ashr_i32 s7, s6, 31
	s_delay_alu instid0(SALU_CYCLE_1)
	s_lshl_b64 s[24:25], s[6:7], 1
	s_cmpk_lt_u32 s50, 0x4600
	v_add_co_u32 v11, vcc_lo, v1, s24
	s_cselect_b32 s6, s51, 0x1140
	v_add_co_ci_u32_e32 v12, vcc_lo, s25, v3, vcc_lo
	s_ashr_i32 s7, s6, 31
	s_clause 0x3
	global_load_u16 v13, v[5:6], off
	global_load_u16 v14, v[7:8], off
	;; [unrolled: 1-line block ×4, first 2 shown]
	s_lshl_b64 s[6:7], s[6:7], 1
	s_cmpk_lt_u32 s50, 0x4700
	v_add_co_u32 v5, vcc_lo, v1, s6
	s_cselect_b32 s10, s51, 0x1180
	v_add_co_ci_u32_e32 v6, vcc_lo, s7, v3, vcc_lo
	s_ashr_i32 s11, s10, 31
	s_delay_alu instid0(SALU_CYCLE_1)
	s_lshl_b64 s[10:11], s[10:11], 1
	s_cmpk_lt_u32 s50, 0x4800
	v_add_co_u32 v7, vcc_lo, v1, s10
	s_cselect_b32 s20, s51, 0x11c0
	v_add_co_ci_u32_e32 v8, vcc_lo, s11, v3, vcc_lo
	s_ashr_i32 s21, s20, 31
	s_delay_alu instid0(SALU_CYCLE_1)
	;; [unrolled: 7-line block ×3, first 2 shown]
	s_lshl_b64 s[30:31], s[20:21], 1
	s_cmpk_lt_u32 s50, 0x4a00
	v_add_co_u32 v11, vcc_lo, v1, s30
	s_cselect_b32 s20, s51, 0x1240
	v_add_co_ci_u32_e32 v12, vcc_lo, s31, v3, vcc_lo
	s_ashr_i32 s21, s20, 31
	s_clause 0x3
	global_load_u16 v17, v[5:6], off
	global_load_u16 v18, v[7:8], off
	;; [unrolled: 1-line block ×4, first 2 shown]
	s_lshl_b64 s[20:21], s[20:21], 1
	s_cmpk_lt_u32 s50, 0x4b00
	v_add_co_u32 v5, vcc_lo, v1, s20
	s_cselect_b32 s26, s51, 0x1280
	v_add_co_ci_u32_e32 v6, vcc_lo, s21, v3, vcc_lo
	s_ashr_i32 s27, s26, 31
	s_delay_alu instid0(SALU_CYCLE_1)
	s_lshl_b64 s[26:27], s[26:27], 1
	s_cmpk_lt_u32 s50, 0x4c00
	v_add_co_u32 v7, vcc_lo, v1, s26
	s_cselect_b32 s28, s51, 0x12c0
	v_add_co_ci_u32_e32 v8, vcc_lo, s27, v3, vcc_lo
	s_ashr_i32 s29, s28, 31
	global_load_u16 v21, v[5:6], off
	s_lshl_b64 s[34:35], s[28:29], 1
	s_cmpk_lt_u32 s50, 0x4d00
	v_add_co_u32 v9, vcc_lo, v1, s34
	s_cselect_b32 s28, s51, 0x1300
	v_add_co_ci_u32_e32 v10, vcc_lo, s35, v3, vcc_lo
	s_ashr_i32 s29, s28, 31
	s_delay_alu instid0(SALU_CYCLE_1)
	s_lshl_b64 s[38:39], s[28:29], 1
	s_cmpk_lt_u32 s50, 0x4e00
	v_add_co_u32 v11, vcc_lo, v1, s38
	s_cselect_b32 s28, s51, 0x1340
	v_add_co_ci_u32_e32 v12, vcc_lo, s39, v3, vcc_lo
	s_ashr_i32 s29, s28, 31
	s_clause 0x2
	global_load_u16 v22, v[7:8], off
	global_load_u16 v23, v[9:10], off
	;; [unrolled: 1-line block ×3, first 2 shown]
	s_lshl_b64 s[28:29], s[28:29], 1
	s_cmpk_lt_u32 s50, 0x4f00
	v_add_co_u32 v5, vcc_lo, v1, s28
	s_cselect_b32 s36, s51, 0x1380
	v_add_co_ci_u32_e32 v6, vcc_lo, s29, v3, vcc_lo
	s_ashr_i32 s37, s36, 31
	s_delay_alu instid0(SALU_CYCLE_1)
	s_lshl_b64 s[36:37], s[36:37], 1
	s_cmpk_lt_u32 s50, 0x5000
	v_add_co_u32 v7, vcc_lo, v1, s36
	s_cselect_b32 s40, s51, 0x13c0
	v_add_co_ci_u32_e32 v8, vcc_lo, s37, v3, vcc_lo
	s_ashr_i32 s41, s40, 31
	global_load_u16 v25, v[5:6], off
	s_lshl_b64 s[40:41], s[40:41], 1
	global_load_u16 v26, v[7:8], off
	s_cmpk_lt_u32 s50, 0x5100
	v_add_co_u32 v9, vcc_lo, v1, s40
	s_cselect_b32 s42, s51, 0x1400
	v_add_co_ci_u32_e32 v10, vcc_lo, s41, v3, vcc_lo
	s_ashr_i32 s43, s42, 31
	s_delay_alu instid0(SALU_CYCLE_1)
	s_lshl_b64 s[42:43], s[42:43], 1
	global_load_u16 v27, v[9:10], off
	s_cmpk_lt_u32 s50, 0x5200
	v_add_co_u32 v5, vcc_lo, v1, s42
	s_cselect_b32 s44, s51, 0x1440
	v_add_co_ci_u32_e32 v6, vcc_lo, s43, v3, vcc_lo
	s_ashr_i32 s45, s44, 31
	s_delay_alu instid0(SALU_CYCLE_1)
	s_lshl_b64 s[44:45], s[44:45], 1
	s_cmpk_lt_u32 s50, 0x5300
	v_add_co_u32 v7, vcc_lo, v1, s44
	s_cselect_b32 s46, s51, 0x1480
	v_add_co_ci_u32_e32 v8, vcc_lo, s45, v3, vcc_lo
	s_ashr_i32 s47, s46, 31
	global_load_u16 v28, v[5:6], off
	s_lshl_b64 s[46:47], s[46:47], 1
	global_load_u16 v29, v[7:8], off
	s_cmpk_lt_u32 s50, 0x5400
	v_add_co_u32 v9, vcc_lo, v1, s46
	s_cselect_b32 s48, s51, 0x14c0
	v_add_co_ci_u32_e32 v10, vcc_lo, s47, v3, vcc_lo
	s_ashr_i32 s49, s48, 31
	s_delay_alu instid0(SALU_CYCLE_1)
	s_lshl_b64 s[48:49], s[48:49], 1
	s_cmpk_lt_u32 s50, 0x5500
	v_add_co_u32 v5, vcc_lo, v1, s48
	s_cselect_b32 s4, s51, 0x1500
	v_add_co_ci_u32_e32 v6, vcc_lo, s49, v3, vcc_lo
	s_ashr_i32 s5, s4, 31
	global_load_u16 v30, v[9:10], off
	s_lshl_b64 s[4:5], s[4:5], 1
	s_cmpk_lt_u32 s50, 0x5600
	v_add_co_u32 v7, vcc_lo, v1, s4
	s_cselect_b32 s8, s51, 0x1540
	v_add_co_ci_u32_e32 v8, vcc_lo, s5, v3, vcc_lo
	s_ashr_i32 s9, s8, 31
	global_load_u16 v31, v[5:6], off
	s_lshl_b64 s[6:7], s[8:9], 1
	global_load_u16 v32, v[7:8], off
	s_cmpk_lt_u32 s50, 0x5700
	v_add_co_u32 v5, vcc_lo, v1, s6
	s_cselect_b32 s8, s51, 0x1580
	v_add_co_ci_u32_e32 v6, vcc_lo, s7, v3, vcc_lo
	s_ashr_i32 s9, s8, 31
	s_delay_alu instid0(SALU_CYCLE_1)
	s_lshl_b64 s[8:9], s[8:9], 1
	s_cmpk_lt_u32 s50, 0x5800
	v_add_co_u32 v7, vcc_lo, v1, s8
	s_cselect_b32 s10, s51, 0x15c0
	v_add_co_ci_u32_e32 v8, vcc_lo, s9, v3, vcc_lo
	s_ashr_i32 s11, s10, 31
	global_load_u16 v33, v[5:6], off
	s_lshl_b64 s[10:11], s[10:11], 1
	global_load_u16 v34, v[7:8], off
	s_cmpk_lt_u32 s50, 0x5900
	v_add_co_u32 v5, vcc_lo, v1, s10
	s_cselect_b32 s18, s51, 0x1600
	v_add_co_ci_u32_e32 v6, vcc_lo, s11, v3, vcc_lo
	s_ashr_i32 s19, s18, 31
	s_delay_alu instid0(SALU_CYCLE_1)
	;; [unrolled: 15-line block ×5, first 2 shown]
	s_lshl_b64 s[4:5], s[8:9], 1
	s_cmpk_lt_u32 s50, 0x6000
	v_add_co_u32 v7, vcc_lo, v1, s4
	s_cselect_b32 s6, s51, 0x17c0
	v_add_co_ci_u32_e32 v8, vcc_lo, s5, v3, vcc_lo
	s_ashr_i32 s7, s6, 31
	global_load_u16 v41, v[5:6], off
	s_lshl_b64 s[4:5], s[6:7], 1
	global_load_u16 v42, v[7:8], off
	v_add_co_u32 v5, vcc_lo, v1, s4
	v_add_co_ci_u32_e32 v6, vcc_lo, s5, v3, vcc_lo
	global_load_u16 v43, v[5:6], off
	ds_load_b128 v[5:8], v44 offset:256
	ds_load_b128 v[9:12], v44 offset:272
	s_waitcnt vmcnt(31)
	v_lshlrev_b32_e32 v2, 16, v2
	s_waitcnt lgkmcnt(1)
	s_delay_alu instid0(VALU_DEP_1) | instskip(SKIP_2) | instid1(VALU_DEP_1)
	v_fmac_f32_e32 v4, v5, v2
	s_waitcnt vmcnt(30)
	v_lshlrev_b32_e32 v2, 16, v13
	v_fmac_f32_e32 v4, v6, v2
	s_waitcnt vmcnt(29)
	v_lshlrev_b32_e32 v2, 16, v14
	s_delay_alu instid0(VALU_DEP_1) | instskip(SKIP_2) | instid1(VALU_DEP_1)
	v_fmac_f32_e32 v4, v7, v2
	s_waitcnt vmcnt(28)
	v_lshlrev_b32_e32 v2, 16, v15
	v_fmac_f32_e32 v4, v8, v2
	s_waitcnt vmcnt(27)
	v_lshlrev_b32_e32 v2, 16, v16
	ds_load_b128 v[5:8], v44 offset:288
	s_waitcnt lgkmcnt(1)
	v_fmac_f32_e32 v4, v9, v2
	s_waitcnt vmcnt(26)
	v_lshlrev_b32_e32 v2, 16, v17
	s_delay_alu instid0(VALU_DEP_1) | instskip(SKIP_2) | instid1(VALU_DEP_1)
	v_fmac_f32_e32 v4, v10, v2
	s_waitcnt vmcnt(25)
	v_lshlrev_b32_e32 v2, 16, v18
	v_fmac_f32_e32 v4, v11, v2
	s_waitcnt vmcnt(24)
	v_lshlrev_b32_e32 v2, 16, v19
	s_delay_alu instid0(VALU_DEP_1) | instskip(SKIP_4) | instid1(VALU_DEP_1)
	v_fmac_f32_e32 v4, v12, v2
	ds_load_b128 v[9:12], v44 offset:304
	s_waitcnt vmcnt(23)
	v_lshlrev_b32_e32 v2, 16, v20
	s_waitcnt lgkmcnt(1)
	v_fmac_f32_e32 v4, v5, v2
	s_waitcnt vmcnt(22)
	v_lshlrev_b32_e32 v2, 16, v21
	s_delay_alu instid0(VALU_DEP_1) | instskip(SKIP_2) | instid1(VALU_DEP_1)
	v_fmac_f32_e32 v4, v6, v2
	s_waitcnt vmcnt(21)
	v_lshlrev_b32_e32 v2, 16, v22
	v_fmac_f32_e32 v4, v7, v2
	s_waitcnt vmcnt(20)
	v_lshlrev_b32_e32 v2, 16, v23
	s_delay_alu instid0(VALU_DEP_1)
	v_fmac_f32_e32 v4, v8, v2
	s_waitcnt vmcnt(19)
	v_lshlrev_b32_e32 v2, 16, v24
	ds_load_b128 v[5:8], v44 offset:320
	s_waitcnt lgkmcnt(1)
	v_fmac_f32_e32 v4, v9, v2
	s_waitcnt vmcnt(18)
	v_lshlrev_b32_e32 v2, 16, v25
	s_delay_alu instid0(VALU_DEP_1) | instskip(SKIP_2) | instid1(VALU_DEP_1)
	v_fmac_f32_e32 v4, v10, v2
	s_waitcnt vmcnt(17)
	v_lshlrev_b32_e32 v2, 16, v26
	v_fmac_f32_e32 v4, v11, v2
	s_waitcnt vmcnt(16)
	v_lshlrev_b32_e32 v2, 16, v27
	s_delay_alu instid0(VALU_DEP_1) | instskip(SKIP_4) | instid1(VALU_DEP_1)
	v_fmac_f32_e32 v4, v12, v2
	ds_load_b128 v[9:12], v44 offset:336
	s_waitcnt vmcnt(15)
	v_lshlrev_b32_e32 v2, 16, v28
	s_waitcnt lgkmcnt(1)
	v_fmac_f32_e32 v4, v5, v2
	s_waitcnt vmcnt(14)
	v_lshlrev_b32_e32 v2, 16, v29
	s_delay_alu instid0(VALU_DEP_1) | instskip(SKIP_2) | instid1(VALU_DEP_1)
	v_fmac_f32_e32 v4, v6, v2
	s_waitcnt vmcnt(13)
	v_lshlrev_b32_e32 v2, 16, v30
	v_fmac_f32_e32 v4, v7, v2
	s_waitcnt vmcnt(12)
	v_lshlrev_b32_e32 v2, 16, v31
	s_delay_alu instid0(VALU_DEP_1)
	v_fmac_f32_e32 v4, v8, v2
	s_waitcnt vmcnt(11)
	v_lshlrev_b32_e32 v2, 16, v32
	ds_load_b128 v[5:8], v44 offset:352
	s_waitcnt lgkmcnt(1)
	v_fmac_f32_e32 v4, v9, v2
	s_waitcnt vmcnt(10)
	v_lshlrev_b32_e32 v2, 16, v33
	s_delay_alu instid0(VALU_DEP_1) | instskip(SKIP_2) | instid1(VALU_DEP_1)
	v_fmac_f32_e32 v4, v10, v2
	s_waitcnt vmcnt(9)
	v_lshlrev_b32_e32 v2, 16, v34
	v_fmac_f32_e32 v4, v11, v2
	s_waitcnt vmcnt(8)
	v_lshlrev_b32_e32 v2, 16, v35
	s_delay_alu instid0(VALU_DEP_1) | instskip(SKIP_4) | instid1(VALU_DEP_1)
	v_fmac_f32_e32 v4, v12, v2
	ds_load_b128 v[9:12], v44 offset:368
	s_waitcnt vmcnt(7)
	v_lshlrev_b32_e32 v2, 16, v36
	s_waitcnt lgkmcnt(1)
	v_fmac_f32_e32 v4, v5, v2
	s_waitcnt vmcnt(6)
	v_lshlrev_b32_e32 v2, 16, v37
	s_delay_alu instid0(VALU_DEP_1) | instskip(SKIP_2) | instid1(VALU_DEP_1)
	v_fmac_f32_e32 v4, v6, v2
	s_waitcnt vmcnt(5)
	v_lshlrev_b32_e32 v2, 16, v38
	v_fmac_f32_e32 v4, v7, v2
	s_waitcnt vmcnt(4)
	v_lshlrev_b32_e32 v2, 16, v39
	s_delay_alu instid0(VALU_DEP_1) | instskip(SKIP_3) | instid1(VALU_DEP_1)
	v_fmac_f32_e32 v4, v8, v2
	s_waitcnt vmcnt(3)
	v_lshlrev_b32_e32 v2, 16, v40
	s_waitcnt lgkmcnt(0)
	v_fmac_f32_e32 v4, v9, v2
	s_waitcnt vmcnt(2)
	v_lshlrev_b32_e32 v2, 16, v41
	s_delay_alu instid0(VALU_DEP_1) | instskip(SKIP_2) | instid1(VALU_DEP_1)
	v_fmac_f32_e32 v4, v10, v2
	s_waitcnt vmcnt(1)
	v_lshlrev_b32_e32 v2, 16, v42
	v_fmac_f32_e32 v4, v11, v2
	s_waitcnt vmcnt(0)
	v_lshlrev_b32_e32 v2, 16, v43
	s_delay_alu instid0(VALU_DEP_1)
	v_fmac_f32_e32 v4, v12, v2
	s_cmpk_lt_i32 s50, 0x6100
	s_cbranch_scc1 .LBB405_15
.LBB405_26:
	s_cmpk_lt_u32 s50, 0x6200
	v_add_co_u32 v5, vcc_lo, 0x3000, v1
	s_cselect_b32 s4, s51, 0x1840
	v_add_co_ci_u32_e32 v6, vcc_lo, 0, v3, vcc_lo
	s_ashr_i32 s5, s4, 31
	s_delay_alu instid0(SALU_CYCLE_1)
	s_lshl_b64 s[4:5], s[4:5], 1
	s_cmpk_lt_u32 s50, 0x6300
	global_load_u16 v13, v[5:6], off
	s_cselect_b32 s6, s51, 0x1880
	v_add_co_u32 v5, vcc_lo, v1, s4
	s_ashr_i32 s7, s6, 31
	v_add_co_ci_u32_e32 v6, vcc_lo, s5, v3, vcc_lo
	s_lshl_b64 s[8:9], s[6:7], 1
	s_cmpk_lt_u32 s50, 0x6400
	v_add_co_u32 v7, vcc_lo, v1, s8
	s_cselect_b32 s6, s51, 0x18c0
	v_add_co_ci_u32_e32 v8, vcc_lo, s9, v3, vcc_lo
	s_ashr_i32 s7, s6, 31
	s_delay_alu instid0(SALU_CYCLE_1)
	s_lshl_b64 s[18:19], s[6:7], 1
	s_cmpk_lt_u32 s50, 0x6500
	v_add_co_u32 v9, vcc_lo, v1, s18
	s_cselect_b32 s6, s51, 0x1900
	v_add_co_ci_u32_e32 v10, vcc_lo, s19, v3, vcc_lo
	s_ashr_i32 s7, s6, 31
	s_delay_alu instid0(SALU_CYCLE_1)
	s_lshl_b64 s[24:25], s[6:7], 1
	s_cmpk_lt_u32 s50, 0x6600
	v_add_co_u32 v11, vcc_lo, v1, s24
	s_cselect_b32 s6, s51, 0x1940
	v_add_co_ci_u32_e32 v12, vcc_lo, s25, v3, vcc_lo
	s_ashr_i32 s7, s6, 31
	s_clause 0x3
	global_load_u16 v14, v[5:6], off
	global_load_u16 v15, v[7:8], off
	;; [unrolled: 1-line block ×4, first 2 shown]
	s_lshl_b64 s[6:7], s[6:7], 1
	s_cmpk_lt_u32 s50, 0x6700
	v_add_co_u32 v5, vcc_lo, v1, s6
	s_cselect_b32 s10, s51, 0x1980
	v_add_co_ci_u32_e32 v6, vcc_lo, s7, v3, vcc_lo
	s_ashr_i32 s11, s10, 31
	s_delay_alu instid0(SALU_CYCLE_1)
	s_lshl_b64 s[10:11], s[10:11], 1
	s_cmpk_lt_u32 s50, 0x6800
	v_add_co_u32 v7, vcc_lo, v1, s10
	s_cselect_b32 s20, s51, 0x19c0
	v_add_co_ci_u32_e32 v8, vcc_lo, s11, v3, vcc_lo
	s_ashr_i32 s21, s20, 31
	s_delay_alu instid0(SALU_CYCLE_1)
	;; [unrolled: 7-line block ×3, first 2 shown]
	s_lshl_b64 s[30:31], s[20:21], 1
	s_cmpk_lt_u32 s50, 0x6a00
	v_add_co_u32 v11, vcc_lo, v1, s30
	s_cselect_b32 s20, s51, 0x1a40
	v_add_co_ci_u32_e32 v12, vcc_lo, s31, v3, vcc_lo
	s_ashr_i32 s21, s20, 31
	s_clause 0x3
	global_load_u16 v18, v[5:6], off
	global_load_u16 v19, v[7:8], off
	;; [unrolled: 1-line block ×4, first 2 shown]
	s_lshl_b64 s[20:21], s[20:21], 1
	s_cmpk_lt_u32 s50, 0x6b00
	v_add_co_u32 v5, vcc_lo, v1, s20
	s_cselect_b32 s26, s51, 0x1a80
	v_add_co_ci_u32_e32 v6, vcc_lo, s21, v3, vcc_lo
	s_ashr_i32 s27, s26, 31
	s_delay_alu instid0(SALU_CYCLE_1)
	s_lshl_b64 s[26:27], s[26:27], 1
	s_cmpk_lt_u32 s50, 0x6c00
	v_add_co_u32 v7, vcc_lo, v1, s26
	s_cselect_b32 s28, s51, 0x1ac0
	v_add_co_ci_u32_e32 v8, vcc_lo, s27, v3, vcc_lo
	s_ashr_i32 s29, s28, 31
	global_load_u16 v22, v[5:6], off
	s_lshl_b64 s[34:35], s[28:29], 1
	s_cmpk_lt_u32 s50, 0x6d00
	v_add_co_u32 v9, vcc_lo, v1, s34
	s_cselect_b32 s28, s51, 0x1b00
	v_add_co_ci_u32_e32 v10, vcc_lo, s35, v3, vcc_lo
	s_ashr_i32 s29, s28, 31
	s_delay_alu instid0(SALU_CYCLE_1)
	s_lshl_b64 s[38:39], s[28:29], 1
	s_cmpk_lt_u32 s50, 0x6e00
	v_add_co_u32 v11, vcc_lo, v1, s38
	s_cselect_b32 s28, s51, 0x1b40
	v_add_co_ci_u32_e32 v12, vcc_lo, s39, v3, vcc_lo
	s_ashr_i32 s29, s28, 31
	s_clause 0x2
	global_load_u16 v23, v[7:8], off
	global_load_u16 v24, v[9:10], off
	;; [unrolled: 1-line block ×3, first 2 shown]
	s_lshl_b64 s[28:29], s[28:29], 1
	s_cmpk_lt_u32 s50, 0x6f00
	v_add_co_u32 v5, vcc_lo, v1, s28
	s_cselect_b32 s36, s51, 0x1b80
	v_add_co_ci_u32_e32 v6, vcc_lo, s29, v3, vcc_lo
	s_ashr_i32 s37, s36, 31
	s_delay_alu instid0(SALU_CYCLE_1)
	s_lshl_b64 s[36:37], s[36:37], 1
	s_cmpk_lt_u32 s50, 0x7000
	v_add_co_u32 v7, vcc_lo, v1, s36
	s_cselect_b32 s40, s51, 0x1bc0
	v_add_co_ci_u32_e32 v8, vcc_lo, s37, v3, vcc_lo
	s_ashr_i32 s41, s40, 31
	global_load_u16 v26, v[5:6], off
	s_lshl_b64 s[40:41], s[40:41], 1
	global_load_u16 v27, v[7:8], off
	s_cmpk_lt_u32 s50, 0x7100
	v_add_co_u32 v9, vcc_lo, v1, s40
	s_cselect_b32 s42, s51, 0x1c00
	v_add_co_ci_u32_e32 v10, vcc_lo, s41, v3, vcc_lo
	s_ashr_i32 s43, s42, 31
	s_delay_alu instid0(SALU_CYCLE_1)
	s_lshl_b64 s[42:43], s[42:43], 1
	global_load_u16 v28, v[9:10], off
	s_cmpk_lt_u32 s50, 0x7200
	v_add_co_u32 v5, vcc_lo, v1, s42
	s_cselect_b32 s44, s51, 0x1c40
	v_add_co_ci_u32_e32 v6, vcc_lo, s43, v3, vcc_lo
	s_ashr_i32 s45, s44, 31
	s_delay_alu instid0(SALU_CYCLE_1)
	s_lshl_b64 s[44:45], s[44:45], 1
	s_cmpk_lt_u32 s50, 0x7300
	v_add_co_u32 v7, vcc_lo, v1, s44
	s_cselect_b32 s46, s51, 0x1c80
	v_add_co_ci_u32_e32 v8, vcc_lo, s45, v3, vcc_lo
	s_ashr_i32 s47, s46, 31
	global_load_u16 v29, v[5:6], off
	s_lshl_b64 s[46:47], s[46:47], 1
	global_load_u16 v30, v[7:8], off
	s_cmpk_lt_u32 s50, 0x7400
	v_add_co_u32 v9, vcc_lo, v1, s46
	s_cselect_b32 s48, s51, 0x1cc0
	v_add_co_ci_u32_e32 v10, vcc_lo, s47, v3, vcc_lo
	s_ashr_i32 s49, s48, 31
	s_delay_alu instid0(SALU_CYCLE_1)
	s_lshl_b64 s[48:49], s[48:49], 1
	global_load_u16 v31, v[9:10], off
	s_cmpk_lt_u32 s50, 0x7500
	v_add_co_u32 v5, vcc_lo, v1, s48
	s_cselect_b32 s4, s51, 0x1d00
	v_add_co_ci_u32_e32 v6, vcc_lo, s49, v3, vcc_lo
	s_ashr_i32 s5, s4, 31
	s_delay_alu instid0(SALU_CYCLE_1)
	s_lshl_b64 s[4:5], s[4:5], 1
	s_cmpk_lt_u32 s50, 0x7600
	v_add_co_u32 v7, vcc_lo, v1, s4
	s_cselect_b32 s8, s51, 0x1d40
	v_add_co_ci_u32_e32 v8, vcc_lo, s5, v3, vcc_lo
	s_ashr_i32 s9, s8, 31
	global_load_u16 v32, v[5:6], off
	s_lshl_b64 s[6:7], s[8:9], 1
	global_load_u16 v33, v[7:8], off
	s_cmpk_lt_u32 s50, 0x7700
	v_add_co_u32 v5, vcc_lo, v1, s6
	s_cselect_b32 s8, s51, 0x1d80
	v_add_co_ci_u32_e32 v6, vcc_lo, s7, v3, vcc_lo
	s_ashr_i32 s9, s8, 31
	s_delay_alu instid0(SALU_CYCLE_1)
	s_lshl_b64 s[8:9], s[8:9], 1
	s_cmpk_lt_u32 s50, 0x7800
	v_add_co_u32 v7, vcc_lo, v1, s8
	s_cselect_b32 s10, s51, 0x1dc0
	v_add_co_ci_u32_e32 v8, vcc_lo, s9, v3, vcc_lo
	s_ashr_i32 s11, s10, 31
	global_load_u16 v34, v[5:6], off
	;; [unrolled: 15-line block ×6, first 2 shown]
	s_lshl_b64 s[4:5], s[6:7], 1
	global_load_u16 v43, v[7:8], off
	v_add_co_u32 v1, vcc_lo, v1, s4
	v_add_co_ci_u32_e32 v2, vcc_lo, s5, v3, vcc_lo
	global_load_u16 v1, v[1:2], off
	s_waitcnt vmcnt(31)
	v_dual_mov_b32 v2, 0 :: v_dual_lshlrev_b32 v3, 16, v13
	ds_load_b128 v[5:8], v2 offset:384
	ds_load_b128 v[9:12], v2 offset:400
	s_waitcnt vmcnt(30) lgkmcnt(1)
	v_dual_fmac_f32 v4, v5, v3 :: v_dual_lshlrev_b32 v3, 16, v14
	s_delay_alu instid0(VALU_DEP_1) | instskip(SKIP_3) | instid1(VALU_DEP_1)
	v_fmac_f32_e32 v4, v6, v3
	s_waitcnt vmcnt(29)
	v_lshlrev_b32_e32 v3, 16, v15
	s_waitcnt vmcnt(28)
	v_dual_fmac_f32 v4, v7, v3 :: v_dual_lshlrev_b32 v3, 16, v16
	s_waitcnt vmcnt(27)
	s_delay_alu instid0(VALU_DEP_1) | instskip(SKIP_3) | instid1(VALU_DEP_1)
	v_dual_fmac_f32 v4, v8, v3 :: v_dual_lshlrev_b32 v3, 16, v17
	ds_load_b128 v[5:8], v2 offset:416
	s_waitcnt vmcnt(26) lgkmcnt(1)
	v_dual_fmac_f32 v4, v9, v3 :: v_dual_lshlrev_b32 v3, 16, v18
	v_fmac_f32_e32 v4, v10, v3
	s_waitcnt vmcnt(25)
	v_lshlrev_b32_e32 v3, 16, v19
	s_waitcnt vmcnt(24)
	s_delay_alu instid0(VALU_DEP_1) | instskip(SKIP_1) | instid1(VALU_DEP_1)
	v_dual_fmac_f32 v4, v11, v3 :: v_dual_lshlrev_b32 v3, 16, v20
	s_waitcnt vmcnt(23)
	v_dual_fmac_f32 v4, v12, v3 :: v_dual_lshlrev_b32 v3, 16, v21
	ds_load_b128 v[9:12], v2 offset:432
	s_waitcnt vmcnt(22) lgkmcnt(1)
	v_dual_fmac_f32 v4, v5, v3 :: v_dual_lshlrev_b32 v3, 16, v22
	s_delay_alu instid0(VALU_DEP_1) | instskip(SKIP_3) | instid1(VALU_DEP_1)
	v_fmac_f32_e32 v4, v6, v3
	s_waitcnt vmcnt(21)
	v_lshlrev_b32_e32 v3, 16, v23
	s_waitcnt vmcnt(20)
	v_dual_fmac_f32 v4, v7, v3 :: v_dual_lshlrev_b32 v3, 16, v24
	s_waitcnt vmcnt(19)
	s_delay_alu instid0(VALU_DEP_1) | instskip(SKIP_3) | instid1(VALU_DEP_1)
	v_dual_fmac_f32 v4, v8, v3 :: v_dual_lshlrev_b32 v3, 16, v25
	ds_load_b128 v[5:8], v2 offset:448
	s_waitcnt vmcnt(18) lgkmcnt(1)
	v_dual_fmac_f32 v4, v9, v3 :: v_dual_lshlrev_b32 v3, 16, v26
	v_fmac_f32_e32 v4, v10, v3
	s_waitcnt vmcnt(17)
	v_lshlrev_b32_e32 v3, 16, v27
	s_waitcnt vmcnt(16)
	s_delay_alu instid0(VALU_DEP_1) | instskip(NEXT) | instid1(VALU_DEP_1)
	v_dual_fmac_f32 v4, v11, v3 :: v_dual_lshlrev_b32 v3, 16, v28
	v_fmac_f32_e32 v4, v12, v3
	ds_load_b128 v[9:12], v2 offset:464
	s_waitcnt vmcnt(15)
	v_lshlrev_b32_e32 v3, 16, v29
	s_waitcnt vmcnt(14) lgkmcnt(1)
	s_delay_alu instid0(VALU_DEP_1) | instskip(NEXT) | instid1(VALU_DEP_1)
	v_dual_fmac_f32 v4, v5, v3 :: v_dual_lshlrev_b32 v3, 16, v30
	v_fmac_f32_e32 v4, v6, v3
	s_waitcnt vmcnt(13)
	v_lshlrev_b32_e32 v3, 16, v31
	s_waitcnt vmcnt(12)
	s_delay_alu instid0(VALU_DEP_1) | instskip(SKIP_1) | instid1(VALU_DEP_1)
	v_dual_fmac_f32 v4, v7, v3 :: v_dual_lshlrev_b32 v3, 16, v32
	s_waitcnt vmcnt(0)
	v_dual_fmac_f32 v4, v8, v3 :: v_dual_lshlrev_b32 v1, 16, v1
	v_lshlrev_b32_e32 v3, 16, v33
	ds_load_b128 v[5:8], v2 offset:480
	s_waitcnt lgkmcnt(1)
	v_dual_fmac_f32 v4, v9, v3 :: v_dual_lshlrev_b32 v3, 16, v34
	s_delay_alu instid0(VALU_DEP_1) | instskip(SKIP_1) | instid1(VALU_DEP_1)
	v_fmac_f32_e32 v4, v10, v3
	v_lshlrev_b32_e32 v3, 16, v35
	v_dual_fmac_f32 v4, v11, v3 :: v_dual_lshlrev_b32 v3, 16, v36
	s_delay_alu instid0(VALU_DEP_1) | instskip(SKIP_4) | instid1(VALU_DEP_1)
	v_dual_fmac_f32 v4, v12, v3 :: v_dual_lshlrev_b32 v3, 16, v37
	ds_load_b128 v[9:12], v2 offset:496
	v_lshlrev_b32_e32 v2, 16, v38
	s_waitcnt lgkmcnt(1)
	v_fmac_f32_e32 v4, v5, v3
	v_fmac_f32_e32 v4, v6, v2
	v_lshlrev_b32_e32 v2, 16, v39
	s_delay_alu instid0(VALU_DEP_1) | instskip(SKIP_1) | instid1(VALU_DEP_1)
	v_fmac_f32_e32 v4, v7, v2
	v_lshlrev_b32_e32 v2, 16, v40
	v_fmac_f32_e32 v4, v8, v2
	v_lshlrev_b32_e32 v2, 16, v41
	s_waitcnt lgkmcnt(0)
	s_delay_alu instid0(VALU_DEP_1) | instskip(SKIP_1) | instid1(VALU_DEP_1)
	v_fmac_f32_e32 v4, v9, v2
	v_lshlrev_b32_e32 v2, 16, v42
	v_fmac_f32_e32 v4, v10, v2
	v_lshlrev_b32_e32 v2, 16, v43
	s_delay_alu instid0(VALU_DEP_1) | instskip(NEXT) | instid1(VALU_DEP_1)
	v_fmac_f32_e32 v4, v11, v2
	v_dual_fmac_f32 v4, v12, v1 :: v_dual_mov_b32 v1, 0
	s_and_not1_b32 vcc_lo, exec_lo, s15
	ds_load_b32 v1, v1 offset:512
	s_cbranch_vccz .LBB405_16
	s_branch .LBB405_17
	.section	.rodata,"a",@progbits
	.p2align	6, 0x0
	.amdhsa_kernel _Z35paged_attention_ll4mi_reduce_kernelI14__hip_bfloat16hLi64ELi64ELi256ELi4EEvPT0_PKfS4_PKT_PKiS9_iS4_
		.amdhsa_group_segment_fixed_size 516
		.amdhsa_private_segment_fixed_size 0
		.amdhsa_kernarg_size 320
		.amdhsa_user_sgpr_count 14
		.amdhsa_user_sgpr_dispatch_ptr 0
		.amdhsa_user_sgpr_queue_ptr 0
		.amdhsa_user_sgpr_kernarg_segment_ptr 1
		.amdhsa_user_sgpr_dispatch_id 0
		.amdhsa_user_sgpr_private_segment_size 0
		.amdhsa_wavefront_size32 1
		.amdhsa_uses_dynamic_stack 0
		.amdhsa_enable_private_segment 0
		.amdhsa_system_sgpr_workgroup_id_x 1
		.amdhsa_system_sgpr_workgroup_id_y 1
		.amdhsa_system_sgpr_workgroup_id_z 0
		.amdhsa_system_sgpr_workgroup_info 0
		.amdhsa_system_vgpr_workitem_id 0
		.amdhsa_next_free_vgpr 52
		.amdhsa_next_free_sgpr 52
		.amdhsa_reserve_vcc 1
		.amdhsa_float_round_mode_32 0
		.amdhsa_float_round_mode_16_64 0
		.amdhsa_float_denorm_mode_32 3
		.amdhsa_float_denorm_mode_16_64 3
		.amdhsa_dx10_clamp 1
		.amdhsa_ieee_mode 1
		.amdhsa_fp16_overflow 0
		.amdhsa_workgroup_processor_mode 1
		.amdhsa_memory_ordered 1
		.amdhsa_forward_progress 0
		.amdhsa_shared_vgpr_count 0
		.amdhsa_exception_fp_ieee_invalid_op 0
		.amdhsa_exception_fp_denorm_src 0
		.amdhsa_exception_fp_ieee_div_zero 0
		.amdhsa_exception_fp_ieee_overflow 0
		.amdhsa_exception_fp_ieee_underflow 0
		.amdhsa_exception_fp_ieee_inexact 0
		.amdhsa_exception_int_div_zero 0
	.end_amdhsa_kernel
	.section	.text._Z35paged_attention_ll4mi_reduce_kernelI14__hip_bfloat16hLi64ELi64ELi256ELi4EEvPT0_PKfS4_PKT_PKiS9_iS4_,"axG",@progbits,_Z35paged_attention_ll4mi_reduce_kernelI14__hip_bfloat16hLi64ELi64ELi256ELi4EEvPT0_PKfS4_PKT_PKiS9_iS4_,comdat
.Lfunc_end405:
	.size	_Z35paged_attention_ll4mi_reduce_kernelI14__hip_bfloat16hLi64ELi64ELi256ELi4EEvPT0_PKfS4_PKT_PKiS9_iS4_, .Lfunc_end405-_Z35paged_attention_ll4mi_reduce_kernelI14__hip_bfloat16hLi64ELi64ELi256ELi4EEvPT0_PKfS4_PKT_PKiS9_iS4_
                                        ; -- End function
	.section	.AMDGPU.csdata,"",@progbits
; Kernel info:
; codeLenInByte = 9572
; NumSgprs: 54
; NumVgprs: 52
; ScratchSize: 0
; MemoryBound: 0
; FloatMode: 240
; IeeeMode: 1
; LDSByteSize: 516 bytes/workgroup (compile time only)
; SGPRBlocks: 6
; VGPRBlocks: 6
; NumSGPRsForWavesPerEU: 54
; NumVGPRsForWavesPerEU: 52
; Occupancy: 16
; WaveLimiterHint : 0
; COMPUTE_PGM_RSRC2:SCRATCH_EN: 0
; COMPUTE_PGM_RSRC2:USER_SGPR: 14
; COMPUTE_PGM_RSRC2:TRAP_HANDLER: 0
; COMPUTE_PGM_RSRC2:TGID_X_EN: 1
; COMPUTE_PGM_RSRC2:TGID_Y_EN: 1
; COMPUTE_PGM_RSRC2:TGID_Z_EN: 0
; COMPUTE_PGM_RSRC2:TIDIG_COMP_CNT: 0
	.section	.text._Z35paged_attention_ll4mi_reduce_kernelI14__hip_bfloat16hLi64ELi64ELi256ELi5EEvPT0_PKfS4_PKT_PKiS9_iS4_,"axG",@progbits,_Z35paged_attention_ll4mi_reduce_kernelI14__hip_bfloat16hLi64ELi64ELi256ELi5EEvPT0_PKfS4_PKT_PKiS9_iS4_,comdat
	.protected	_Z35paged_attention_ll4mi_reduce_kernelI14__hip_bfloat16hLi64ELi64ELi256ELi5EEvPT0_PKfS4_PKT_PKiS9_iS4_ ; -- Begin function _Z35paged_attention_ll4mi_reduce_kernelI14__hip_bfloat16hLi64ELi64ELi256ELi5EEvPT0_PKfS4_PKT_PKiS9_iS4_
	.globl	_Z35paged_attention_ll4mi_reduce_kernelI14__hip_bfloat16hLi64ELi64ELi256ELi5EEvPT0_PKfS4_PKT_PKiS9_iS4_
	.p2align	8
	.type	_Z35paged_attention_ll4mi_reduce_kernelI14__hip_bfloat16hLi64ELi64ELi256ELi5EEvPT0_PKfS4_PKT_PKiS9_iS4_,@function
_Z35paged_attention_ll4mi_reduce_kernelI14__hip_bfloat16hLi64ELi64ELi256ELi5EEvPT0_PKfS4_PKT_PKiS9_iS4_: ; @_Z35paged_attention_ll4mi_reduce_kernelI14__hip_bfloat16hLi64ELi64ELi256ELi5EEvPT0_PKfS4_PKT_PKiS9_iS4_
; %bb.0:
	s_load_b64 s[12:13], s[0:1], 0x28
	s_mov_b32 s2, s15
	s_waitcnt lgkmcnt(0)
	s_cmp_lg_u64 s[12:13], 0
	s_cselect_b32 s15, -1, 0
	s_delay_alu instid0(SALU_CYCLE_1)
	s_and_b32 vcc_lo, exec_lo, s15
	s_cbranch_vccz .LBB406_23
; %bb.1:
	s_add_i32 s4, s2, 1
	s_mov_b32 s5, 0
	s_delay_alu instid0(SALU_CYCLE_1) | instskip(SKIP_4) | instid1(SALU_CYCLE_1)
	s_lshl_b64 s[6:7], s[4:5], 2
	s_mov_b32 s3, s5
	s_add_u32 s6, s12, s6
	s_addc_u32 s7, s13, s7
	s_lshl_b64 s[8:9], s[2:3], 2
	s_add_u32 s8, s12, s8
	s_addc_u32 s9, s13, s9
	s_clause 0x1
	s_load_b32 s4, s[6:7], 0x0
	s_load_b32 s6, s[8:9], 0x0
	s_waitcnt lgkmcnt(0)
	s_sub_i32 s4, s4, s6
	s_delay_alu instid0(SALU_CYCLE_1)
	s_cmp_eq_u32 s4, 1
	s_cselect_b32 s4, -1, 0
	s_cbranch_execnz .LBB406_3
.LBB406_2:
	s_mov_b32 s3, 0
	s_mov_b32 s4, -1
.LBB406_3:
	s_delay_alu instid0(SALU_CYCLE_1)
	s_and_not1_b32 vcc_lo, exec_lo, s4
	s_cbranch_vccz .LBB406_5
; %bb.4:
	s_endpgm
.LBB406_5:
	s_clause 0x1
	s_load_b128 s[4:7], s[0:1], 0x18
	s_load_b32 s9, s[0:1], 0x30
	s_lshl_b64 s[16:17], s[2:3], 2
	s_waitcnt lgkmcnt(0)
	s_add_u32 s6, s6, s16
	s_addc_u32 s7, s7, s17
	s_load_b32 s22, s[6:7], 0x0
	s_load_b32 s33, s[0:1], 0x40
	s_mul_i32 s7, s2, s9
	s_waitcnt lgkmcnt(0)
	s_add_i32 s50, s22, 0xff
	s_delay_alu instid0(SALU_CYCLE_1) | instskip(NEXT) | instid1(SALU_CYCLE_1)
	s_ashr_i32 s6, s50, 31
	s_lshr_b32 s6, s6, 24
	s_delay_alu instid0(SALU_CYCLE_1) | instskip(SKIP_4) | instid1(SALU_CYCLE_1)
	s_add_i32 s8, s50, s6
	s_mul_i32 s6, s14, s9
	s_mov_b32 s9, exec_lo
	v_cmpx_lt_u32_e32 31, v0
	s_xor_b32 s9, exec_lo, s9
	s_or_saveexec_b32 s24, s9
	v_mov_b32_e32 v1, s6
	s_ashr_i32 s23, s8, 8
	s_mul_i32 s18, s7, s33
	s_xor_b32 exec_lo, exec_lo, s24
	s_cbranch_execz .LBB406_9
; %bb.6:
	v_or_b32_e32 v2, 32, v0
	v_cmp_gt_i32_e32 vcc_lo, s23, v0
	s_add_i32 s25, s23, -1
	s_load_b128 s[8:11], s[0:1], 0x8
	v_or_b32_e32 v4, 64, v0
	v_or_b32_e32 v6, 0x60, v0
	v_cndmask_b32_e32 v1, s25, v0, vcc_lo
	v_cmp_gt_i32_e32 vcc_lo, s23, v2
	v_or_b32_e32 v8, 0x80, v0
	s_mov_b32 s19, 0
	s_delay_alu instid0(SALU_CYCLE_1)
	s_lshl_b64 s[20:21], s[18:19], 2
	v_cndmask_b32_e32 v3, s25, v2, vcc_lo
	v_cmp_gt_i32_e32 vcc_lo, s23, v4
	v_ashrrev_i32_e32 v2, 31, v1
	s_mov_b32 s7, s19
	v_cndmask_b32_e32 v5, s25, v4, vcc_lo
	v_cmp_gt_i32_e32 vcc_lo, s23, v6
	v_ashrrev_i32_e32 v4, 31, v3
	v_lshlrev_b64 v[1:2], 2, v[1:2]
	s_waitcnt lgkmcnt(0)
	s_add_u32 s19, s10, s20
	v_cndmask_b32_e32 v7, s25, v6, vcc_lo
	v_cmp_gt_i32_e32 vcc_lo, s23, v8
	v_ashrrev_i32_e32 v6, 31, v5
	v_lshlrev_b64 v[3:4], 2, v[3:4]
	v_cndmask_b32_e32 v9, s25, v8, vcc_lo
	s_addc_u32 s25, s11, s21
	s_lshl_b64 s[10:11], s[6:7], 2
	v_ashrrev_i32_e32 v8, 31, v7
	s_add_u32 s7, s19, s10
	s_addc_u32 s19, s25, s11
	v_add_co_u32 v11, vcc_lo, s7, v1
	v_lshlrev_b64 v[5:6], 2, v[5:6]
	v_ashrrev_i32_e32 v10, 31, v9
	v_add_co_ci_u32_e32 v12, vcc_lo, s19, v2, vcc_lo
	v_add_co_u32 v13, vcc_lo, s7, v3
	v_lshlrev_b64 v[7:8], 2, v[7:8]
	v_add_co_ci_u32_e32 v14, vcc_lo, s19, v4, vcc_lo
	v_add_co_u32 v15, vcc_lo, s7, v5
	v_lshlrev_b64 v[9:10], 2, v[9:10]
	v_add_co_ci_u32_e32 v16, vcc_lo, s19, v6, vcc_lo
	v_add_co_u32 v17, vcc_lo, s7, v7
	v_add_co_ci_u32_e32 v18, vcc_lo, s19, v8, vcc_lo
	s_delay_alu instid0(VALU_DEP_4)
	v_add_co_u32 v19, vcc_lo, s7, v9
	v_add_co_ci_u32_e32 v20, vcc_lo, s19, v10, vcc_lo
	s_clause 0x4
	global_load_b32 v11, v[11:12], off
	global_load_b32 v12, v[13:14], off
	;; [unrolled: 1-line block ×5, first 2 shown]
	s_add_u32 s7, s8, s20
	s_addc_u32 s8, s9, s21
	s_add_u32 s7, s7, s10
	s_addc_u32 s8, s8, s11
	v_add_co_u32 v1, vcc_lo, s7, v1
	v_add_co_ci_u32_e32 v2, vcc_lo, s8, v2, vcc_lo
	v_add_co_u32 v3, vcc_lo, s7, v3
	v_add_co_ci_u32_e32 v4, vcc_lo, s8, v4, vcc_lo
	;; [unrolled: 2-line block ×4, first 2 shown]
	s_clause 0x3
	global_load_b32 v16, v[1:2], off
	global_load_b32 v3, v[3:4], off
	;; [unrolled: 1-line block ×4, first 2 shown]
	v_add_co_u32 v1, vcc_lo, s7, v9
	v_add_co_ci_u32_e32 v2, vcc_lo, s8, v10, vcc_lo
	s_mov_b32 s7, exec_lo
	global_load_b32 v1, v[1:2], off
	v_mbcnt_lo_u32_b32 v2, -1, 0
	s_delay_alu instid0(VALU_DEP_1)
	v_xor_b32_e32 v6, 16, v2
	v_xor_b32_e32 v9, 8, v2
	;; [unrolled: 1-line block ×5, first 2 shown]
	v_cmp_gt_i32_e32 vcc_lo, 32, v6
	v_cndmask_b32_e32 v6, v2, v6, vcc_lo
	v_cmp_gt_i32_e32 vcc_lo, 32, v9
	v_cndmask_b32_e32 v9, v2, v9, vcc_lo
	v_cmp_gt_i32_e32 vcc_lo, 32, v10
	s_delay_alu instid0(VALU_DEP_2) | instskip(SKIP_3) | instid1(VALU_DEP_2)
	v_lshlrev_b32_e32 v9, 2, v9
	v_lshlrev_b32_e32 v6, 2, v6
	v_cndmask_b32_e32 v10, v2, v10, vcc_lo
	v_cmp_gt_i32_e32 vcc_lo, 32, v17
	v_dual_cndmask_b32 v17, v2, v17 :: v_dual_lshlrev_b32 v10, 2, v10
	v_cmp_gt_i32_e32 vcc_lo, 32, v18
	s_delay_alu instid0(VALU_DEP_2) | instskip(NEXT) | instid1(VALU_DEP_1)
	v_dual_cndmask_b32 v2, v2, v18 :: v_dual_lshlrev_b32 v17, 2, v17
	v_lshlrev_b32_e32 v2, 2, v2
	s_waitcnt vmcnt(7)
	v_max3_f32 v7, v11, v12, v13
	s_waitcnt vmcnt(5)
	s_delay_alu instid0(VALU_DEP_1) | instskip(SKIP_3) | instid1(VALU_DEP_1)
	v_max3_f32 v7, v7, v14, v15
	ds_bpermute_b32 v8, v6, v7
	s_waitcnt lgkmcnt(0)
	v_max_f32_e32 v8, v8, v8
	v_max_f32_e32 v7, v7, v8
	ds_bpermute_b32 v8, v9, v7
	s_waitcnt lgkmcnt(0)
	v_max_f32_e32 v8, v8, v8
	s_delay_alu instid0(VALU_DEP_1) | instskip(SKIP_3) | instid1(VALU_DEP_1)
	v_max_f32_e32 v7, v7, v8
	ds_bpermute_b32 v8, v10, v7
	s_waitcnt lgkmcnt(0)
	v_max_f32_e32 v8, v8, v8
	v_max_f32_e32 v7, v7, v8
	ds_bpermute_b32 v8, v17, v7
	s_waitcnt lgkmcnt(0)
	v_max_f32_e32 v8, v8, v8
	s_delay_alu instid0(VALU_DEP_1) | instskip(SKIP_3) | instid1(VALU_DEP_1)
	v_max_f32_e32 v7, v7, v8
	ds_bpermute_b32 v8, v2, v7
	s_waitcnt lgkmcnt(0)
	v_max_f32_e32 v8, v8, v8
	v_max_f32_e32 v7, v7, v8
	v_sub_nc_u32_e32 v8, s23, v0
	s_delay_alu instid0(VALU_DEP_2) | instskip(NEXT) | instid1(VALU_DEP_1)
	v_sub_f32_e32 v12, v12, v7
	v_mul_f32_e32 v18, 0x3fb8aa3b, v12
	s_delay_alu instid0(VALU_DEP_1) | instskip(SKIP_1) | instid1(VALU_DEP_2)
	v_rndne_f32_e32 v25, v18
	v_fma_f32 v24, 0x3fb8aa3b, v12, -v18
	v_sub_f32_e32 v18, v18, v25
	v_sub_f32_e32 v14, v14, v7
	s_delay_alu instid0(VALU_DEP_1) | instskip(NEXT) | instid1(VALU_DEP_1)
	v_mul_f32_e32 v20, 0x3fb8aa3b, v14
	v_fma_f32 v28, 0x3fb8aa3b, v14, -v20
	v_sub_f32_e32 v13, v13, v7
	v_rndne_f32_e32 v29, v20
	s_delay_alu instid0(VALU_DEP_3) | instskip(NEXT) | instid1(VALU_DEP_3)
	v_fmac_f32_e32 v28, 0x32a5705f, v14
	v_mul_f32_e32 v19, 0x3fb8aa3b, v13
	v_dual_sub_f32 v11, v11, v7 :: v_dual_fmac_f32 v24, 0x32a5705f, v12
	s_delay_alu instid0(VALU_DEP_4) | instskip(NEXT) | instid1(VALU_DEP_3)
	v_sub_f32_e32 v20, v20, v29
	v_fma_f32 v26, 0x3fb8aa3b, v13, -v19
	v_sub_f32_e32 v7, v15, v7
	s_delay_alu instid0(VALU_DEP_4)
	v_mul_f32_e32 v15, 0x3fb8aa3b, v11
	v_rndne_f32_e32 v27, v19
	v_add_f32_e32 v18, v18, v24
	v_fmac_f32_e32 v26, 0x32a5705f, v13
	v_mul_f32_e32 v21, 0x3fb8aa3b, v7
	v_fma_f32 v22, 0x3fb8aa3b, v11, -v15
	v_rndne_f32_e32 v23, v15
	v_dual_sub_f32 v19, v19, v27 :: v_dual_add_f32 v20, v20, v28
	s_delay_alu instid0(VALU_DEP_4) | instskip(NEXT) | instid1(VALU_DEP_4)
	v_fma_f32 v30, 0x3fb8aa3b, v7, -v21
	v_fmac_f32_e32 v22, 0x32a5705f, v11
	s_delay_alu instid0(VALU_DEP_4) | instskip(NEXT) | instid1(VALU_DEP_4)
	v_sub_f32_e32 v15, v15, v23
	v_add_f32_e32 v19, v19, v26
	v_exp_f32_e32 v18, v18
	v_fmac_f32_e32 v30, 0x32a5705f, v7
	v_cmp_ngt_f32_e32 vcc_lo, 0xc2ce8ed0, v11
	v_add_f32_e32 v15, v15, v22
	v_cvt_i32_f32_e32 v22, v23
	v_exp_f32_e32 v19, v19
	v_cvt_i32_f32_e32 v23, v25
	v_rndne_f32_e32 v31, v21
	v_exp_f32_e32 v15, v15
	v_exp_f32_e32 v20, v20
	v_cvt_i32_f32_e32 v24, v27
	v_ldexp_f32 v18, v18, v23
	v_cvt_i32_f32_e32 v25, v29
	v_cvt_i32_f32_e32 v26, v31
	s_delay_alu instid0(TRANS32_DEP_3) | instid1(VALU_DEP_4)
	v_ldexp_f32 v19, v19, v24
	s_delay_alu instid0(TRANS32_DEP_2)
	v_ldexp_f32 v15, v15, v22
	s_delay_alu instid0(TRANS32_DEP_1) | instid1(VALU_DEP_4)
	v_ldexp_f32 v20, v20, v25
	s_delay_alu instid0(VALU_DEP_2)
	v_cndmask_b32_e32 v15, 0, v15, vcc_lo
	v_cmp_ngt_f32_e32 vcc_lo, 0xc2ce8ed0, v12
	v_dual_sub_f32 v21, v21, v31 :: v_dual_cndmask_b32 v18, 0, v18
	v_cmp_ngt_f32_e32 vcc_lo, 0xc2ce8ed0, v13
	v_cndmask_b32_e32 v19, 0, v19, vcc_lo
	v_cmp_ngt_f32_e32 vcc_lo, 0xc2ce8ed0, v14
	s_delay_alu instid0(VALU_DEP_4) | instskip(NEXT) | instid1(VALU_DEP_1)
	v_dual_add_f32 v21, v21, v30 :: v_dual_cndmask_b32 v20, 0, v20
	v_exp_f32_e32 v21, v21
	v_cmp_ngt_f32_e32 vcc_lo, 0xc2ce8ed0, v7
	s_waitcnt_depctr 0xfff
	v_ldexp_f32 v21, v21, v26
	s_delay_alu instid0(VALU_DEP_1)
	v_cndmask_b32_e32 v21, 0, v21, vcc_lo
	v_cmp_nlt_f32_e32 vcc_lo, 0x42b17218, v11
	v_cndmask_b32_e32 v11, 0x7f800000, v15, vcc_lo
	v_cmp_nlt_f32_e32 vcc_lo, 0x42b17218, v12
	;; [unrolled: 2-line block ×3, first 2 shown]
	v_cndmask_b32_e32 v13, 0x7f800000, v19, vcc_lo
	v_cmp_lt_i32_e32 vcc_lo, 0, v8
	v_cndmask_b32_e32 v11, 0, v11, vcc_lo
	v_cmp_lt_i32_e32 vcc_lo, 32, v8
	s_waitcnt vmcnt(4)
	s_delay_alu instid0(VALU_DEP_2) | instskip(SKIP_2) | instid1(VALU_DEP_2)
	v_dual_mul_f32 v11, v16, v11 :: v_dual_cndmask_b32 v12, 0, v12
	v_cmp_lt_i32_e32 vcc_lo, 64, v8
	s_waitcnt vmcnt(3)
	v_mul_f32_e32 v3, v3, v12
	v_cndmask_b32_e32 v13, 0, v13, vcc_lo
	v_cmp_nlt_f32_e32 vcc_lo, 0x42b17218, v14
	s_waitcnt vmcnt(2)
	s_delay_alu instid0(VALU_DEP_2) | instskip(SKIP_2) | instid1(VALU_DEP_2)
	v_mul_f32_e32 v4, v4, v13
	v_dual_cndmask_b32 v14, 0x7f800000, v20 :: v_dual_add_f32 v13, v11, v3
	v_cmp_lt_i32_e32 vcc_lo, 0x60, v8
	v_cndmask_b32_e32 v12, 0, v14, vcc_lo
	v_cmp_nlt_f32_e32 vcc_lo, 0x42b17218, v7
	s_waitcnt vmcnt(1)
	s_delay_alu instid0(VALU_DEP_2) | instskip(SKIP_2) | instid1(VALU_DEP_2)
	v_mul_f32_e32 v5, v5, v12
	v_cndmask_b32_e32 v7, 0x7f800000, v21, vcc_lo
	v_cmp_lt_i32_e32 vcc_lo, 0x80, v8
	v_dual_add_f32 v8, v13, v4 :: v_dual_cndmask_b32 v7, 0, v7
	s_waitcnt vmcnt(0)
	s_delay_alu instid0(VALU_DEP_1) | instskip(NEXT) | instid1(VALU_DEP_2)
	v_mul_f32_e32 v7, v1, v7
	v_add_f32_e32 v1, v8, v5
	s_delay_alu instid0(VALU_DEP_1)
	v_add_f32_e32 v1, v1, v7
	ds_bpermute_b32 v6, v6, v1
	s_waitcnt lgkmcnt(0)
	v_add_f32_e32 v1, v1, v6
	ds_bpermute_b32 v6, v9, v1
	s_waitcnt lgkmcnt(0)
	;; [unrolled: 3-line block ×4, first 2 shown]
	v_dual_add_f32 v1, v1, v6 :: v_dual_lshlrev_b32 v6, 2, v0
	ds_store_2addr_b32 v6, v11, v3 offset1:32
	ds_store_2addr_b32 v6, v4, v5 offset0:64 offset1:96
	ds_store_b32 v6, v7 offset:512
	ds_bpermute_b32 v2, v2, v1
	v_cmpx_eq_u32_e32 0, v0
	s_cbranch_execz .LBB406_8
; %bb.7:
	s_waitcnt lgkmcnt(0)
	v_dual_add_f32 v1, v1, v2 :: v_dual_mov_b32 v2, 0
	ds_store_b32 v2, v1 offset:640
.LBB406_8:
	s_or_b32 exec_lo, exec_lo, s7
	v_mov_b32_e32 v1, s6
.LBB406_9:
	s_or_b32 exec_lo, exec_lo, s24
	s_lshl_b32 s6, s18, 6
	s_mov_b32 s7, 0
	s_waitcnt lgkmcnt(0)
	v_dual_mov_b32 v2, 0 :: v_dual_lshlrev_b32 v1, 6, v1
	s_lshl_b64 s[6:7], s[6:7], 1
	v_dual_mov_b32 v33, 0 :: v_dual_mov_b32 v34, 0
	s_add_u32 s34, s4, s6
	s_addc_u32 s35, s5, s7
	s_lshl_b32 s4, s23, 6
	v_lshlrev_b64 v[3:4], 1, v[1:2]
	s_sub_i32 s51, s4, 64
	s_cmpk_lt_i32 s50, 0x100
	v_lshlrev_b32_e32 v1, 1, v0
	s_cselect_b32 s4, s51, 0
	v_mov_b32_e32 v35, 0
	s_ashr_i32 s5, s4, 31
	v_add_co_u32 v3, vcc_lo, s34, v3
	s_lshl_b64 s[4:5], s[4:5], 1
	s_cmpk_lt_i32 s50, 0x200
	v_add_co_ci_u32_e32 v4, vcc_lo, s35, v4, vcc_lo
	s_cselect_b32 s6, s51, 64
	v_add_co_u32 v1, vcc_lo, v3, v1
	s_ashr_i32 s7, s6, 31
	s_delay_alu instid0(VALU_DEP_2)
	v_add_co_ci_u32_e32 v3, vcc_lo, 0, v4, vcc_lo
	s_lshl_b64 s[6:7], s[6:7], 1
	s_cmpk_lt_i32 s50, 0x300
	v_add_co_u32 v4, vcc_lo, v1, s4
	s_cselect_b32 s8, s51, 0x80
	v_add_co_ci_u32_e32 v5, vcc_lo, s5, v3, vcc_lo
	s_ashr_i32 s9, s8, 31
	v_add_co_u32 v6, vcc_lo, v1, s6
	s_lshl_b64 s[8:9], s[8:9], 1
	s_cmpk_lt_i32 s50, 0x400
	v_add_co_ci_u32_e32 v7, vcc_lo, s7, v3, vcc_lo
	s_cselect_b32 s10, s51, 0xc0
	v_add_co_u32 v8, vcc_lo, v1, s8
	s_ashr_i32 s11, s10, 31
	v_add_co_ci_u32_e32 v9, vcc_lo, s9, v3, vcc_lo
	s_lshl_b64 s[10:11], s[10:11], 1
	s_cmpk_lt_i32 s50, 0x500
	v_add_co_u32 v14, vcc_lo, v1, s10
	s_cselect_b32 s18, s51, 0x100
	v_add_co_ci_u32_e32 v15, vcc_lo, s11, v3, vcc_lo
	s_ashr_i32 s19, s18, 31
	v_mov_b32_e32 v32, 0
	s_lshl_b64 s[18:19], s[18:19], 1
	s_cmpk_lt_i32 s50, 0x600
	v_add_co_u32 v16, vcc_lo, v1, s18
	s_cselect_b32 s20, s51, 0x140
	v_add_co_ci_u32_e32 v17, vcc_lo, s19, v3, vcc_lo
	s_ashr_i32 s21, s20, 31
	s_delay_alu instid0(SALU_CYCLE_1)
	s_lshl_b64 s[20:21], s[20:21], 1
	s_cmpk_lt_i32 s50, 0x700
	v_add_co_u32 v18, vcc_lo, v1, s20
	s_cselect_b32 s24, s51, 0x180
	v_add_co_ci_u32_e32 v19, vcc_lo, s21, v3, vcc_lo
	s_ashr_i32 s25, s24, 31
	s_delay_alu instid0(SALU_CYCLE_1)
	;; [unrolled: 7-line block ×3, first 2 shown]
	s_lshl_b64 s[26:27], s[26:27], 1
	s_cmpk_lt_i32 s50, 0x900
	v_add_co_u32 v22, vcc_lo, v1, s26
	s_cselect_b32 s28, s51, 0x200
	v_add_co_ci_u32_e32 v23, vcc_lo, s27, v3, vcc_lo
	s_ashr_i32 s29, s28, 31
	s_clause 0x7
	global_load_u16 v13, v[4:5], off
	global_load_u16 v4, v[6:7], off
	;; [unrolled: 1-line block ×8, first 2 shown]
	s_lshl_b64 s[28:29], s[28:29], 1
	s_cmpk_lt_i32 s50, 0xa00
	v_add_co_u32 v14, vcc_lo, v1, s28
	s_cselect_b32 s30, s51, 0x240
	v_add_co_ci_u32_e32 v15, vcc_lo, s29, v3, vcc_lo
	s_ashr_i32 s31, s30, 31
	s_delay_alu instid0(SALU_CYCLE_1)
	s_lshl_b64 s[30:31], s[30:31], 1
	s_cmpk_lt_i32 s50, 0xb00
	v_add_co_u32 v16, vcc_lo, v1, s30
	s_cselect_b32 s34, s51, 0x280
	v_add_co_ci_u32_e32 v17, vcc_lo, s31, v3, vcc_lo
	s_ashr_i32 s35, s34, 31
	s_delay_alu instid0(SALU_CYCLE_1)
	;; [unrolled: 7-line block ×7, first 2 shown]
	s_lshl_b64 s[4:5], s[6:7], 1
	s_cmpk_gt_i32 s22, 0x1000
	v_add_co_u32 v30, vcc_lo, v1, s4
	v_add_co_ci_u32_e32 v31, vcc_lo, s5, v3, vcc_lo
	s_clause 0x7
	global_load_u16 v19, v[14:15], off
	global_load_u16 v18, v[16:17], off
	;; [unrolled: 1-line block ×8, first 2 shown]
	v_dual_mov_b32 v20, 0 :: v_dual_mov_b32 v21, 0
	v_dual_mov_b32 v22, 0 :: v_dual_mov_b32 v23, 0
	;; [unrolled: 1-line block ×6, first 2 shown]
	s_cselect_b32 s6, -1, 0
	s_cmpk_lt_i32 s22, 0x1001
	s_waitcnt vmcnt(0)
	s_barrier
	buffer_gl0_inv
	s_cbranch_scc1 .LBB406_11
; %bb.10:
	s_cmpk_lt_i32 s50, 0x1100
	s_cselect_b32 s4, s51, 0x400
	s_delay_alu instid0(SALU_CYCLE_1) | instskip(NEXT) | instid1(SALU_CYCLE_1)
	s_ashr_i32 s5, s4, 31
	s_lshl_b64 s[4:5], s[4:5], 1
	s_cmpk_lt_i32 s50, 0x1200
	v_add_co_u32 v20, vcc_lo, v1, s4
	s_cselect_b32 s8, s51, 0x440
	v_add_co_ci_u32_e32 v21, vcc_lo, s5, v3, vcc_lo
	s_ashr_i32 s9, s8, 31
	s_delay_alu instid0(SALU_CYCLE_1)
	s_lshl_b64 s[8:9], s[8:9], 1
	s_cmpk_lt_i32 s50, 0x1300
	v_add_co_u32 v22, vcc_lo, v1, s8
	s_cselect_b32 s10, s51, 0x480
	v_add_co_ci_u32_e32 v23, vcc_lo, s9, v3, vcc_lo
	s_ashr_i32 s11, s10, 31
	s_delay_alu instid0(SALU_CYCLE_1)
	;; [unrolled: 7-line block ×14, first 2 shown]
	s_lshl_b64 s[4:5], s[18:19], 1
	s_cmpk_lt_i32 s50, 0x2000
	v_add_co_u32 v48, vcc_lo, v1, s4
	s_cselect_b32 s8, s51, 0x7c0
	v_add_co_ci_u32_e32 v49, vcc_lo, s5, v3, vcc_lo
	s_ashr_i32 s9, s8, 31
	s_delay_alu instid0(SALU_CYCLE_1) | instskip(NEXT) | instid1(SALU_CYCLE_1)
	s_lshl_b64 s[4:5], s[8:9], 1
	v_add_co_u32 v50, vcc_lo, v1, s4
	v_add_co_ci_u32_e32 v51, vcc_lo, s5, v3, vcc_lo
	s_clause 0xf
	global_load_u16 v20, v[20:21], off
	global_load_u16 v21, v[22:23], off
	;; [unrolled: 1-line block ×16, first 2 shown]
	s_waitcnt vmcnt(15)
	v_lshlrev_b32_e32 v35, 16, v20
	s_waitcnt vmcnt(14)
	v_lshlrev_b32_e32 v34, 16, v21
	;; [unrolled: 2-line block ×16, first 2 shown]
.LBB406_11:
	ds_load_b128 v[36:39], v2
	ds_load_b128 v[40:43], v2 offset:16
	v_lshlrev_b32_e32 v44, 16, v4
	v_lshlrev_b32_e32 v13, 16, v13
	;; [unrolled: 1-line block ×4, first 2 shown]
	s_and_not1_b32 vcc_lo, exec_lo, s6
	v_lshlrev_b32_e32 v5, 16, v5
	s_waitcnt lgkmcnt(1)
	v_fma_f32 v4, v36, v13, 0
	s_delay_alu instid0(VALU_DEP_1) | instskip(SKIP_1) | instid1(VALU_DEP_1)
	v_dual_fmac_f32 v4, v37, v44 :: v_dual_lshlrev_b32 v9, 16, v9
	v_lshlrev_b32_e32 v11, 16, v11
	v_dual_fmac_f32 v4, v38, v11 :: v_dual_lshlrev_b32 v11, 16, v18
	s_delay_alu instid0(VALU_DEP_1) | instskip(SKIP_3) | instid1(VALU_DEP_1)
	v_dual_fmac_f32 v4, v39, v9 :: v_dual_lshlrev_b32 v7, 16, v7
	ds_load_b128 v[36:39], v2 offset:32
	s_waitcnt lgkmcnt(1)
	v_dual_fmac_f32 v4, v40, v8 :: v_dual_lshlrev_b32 v9, 16, v19
	v_fmac_f32_e32 v4, v41, v7
	s_delay_alu instid0(VALU_DEP_1) | instskip(NEXT) | instid1(VALU_DEP_1)
	v_fmac_f32_e32 v4, v42, v6
	v_fmac_f32_e32 v4, v43, v5
	ds_load_b128 v[5:8], v2 offset:48
	s_waitcnt lgkmcnt(1)
	v_fmac_f32_e32 v4, v36, v9
	s_delay_alu instid0(VALU_DEP_1) | instskip(NEXT) | instid1(VALU_DEP_1)
	v_dual_fmac_f32 v4, v37, v11 :: v_dual_lshlrev_b32 v9, 16, v17
	v_dual_fmac_f32 v4, v38, v9 :: v_dual_lshlrev_b32 v11, 16, v16
	v_lshlrev_b32_e32 v9, 16, v15
	s_delay_alu instid0(VALU_DEP_2) | instskip(SKIP_1) | instid1(VALU_DEP_1)
	v_dual_fmac_f32 v4, v39, v11 :: v_dual_lshlrev_b32 v11, 16, v14
	s_waitcnt lgkmcnt(0)
	v_dual_fmac_f32 v4, v5, v9 :: v_dual_lshlrev_b32 v5, 16, v12
	s_delay_alu instid0(VALU_DEP_1) | instskip(NEXT) | instid1(VALU_DEP_1)
	v_fmac_f32_e32 v4, v6, v11
	v_dual_fmac_f32 v4, v7, v5 :: v_dual_lshlrev_b32 v5, 16, v10
	s_delay_alu instid0(VALU_DEP_1)
	v_fmac_f32_e32 v4, v8, v5
	s_cbranch_vccz .LBB406_24
; %bb.12:
	s_cmpk_lt_i32 s50, 0x2100
	s_cbranch_scc0 .LBB406_25
.LBB406_13:
	s_cmpk_lt_i32 s50, 0x4100
	s_cbranch_scc0 .LBB406_26
.LBB406_14:
	s_cmpk_lt_i32 s50, 0x6100
	s_cbranch_scc0 .LBB406_27
.LBB406_15:
	s_cmp_lt_i32 s50, 0x8100
	s_cbranch_scc0 .LBB406_28
.LBB406_16:
	v_mov_b32_e32 v1, 0
	s_and_not1_b32 vcc_lo, exec_lo, s15
	ds_load_b32 v1, v1 offset:640
	s_cbranch_vccnz .LBB406_18
.LBB406_17:
	s_add_u32 s2, s12, s16
	s_addc_u32 s3, s13, s17
	s_load_b32 s2, s[2:3], 0x0
	s_mov_b32 s3, 0
.LBB406_18:
	s_waitcnt lgkmcnt(0)
	v_add_f32_e32 v1, 0x358637bd, v1
	s_load_b64 s[0:1], s[0:1], 0x0
	s_delay_alu instid0(VALU_DEP_1) | instskip(NEXT) | instid1(VALU_DEP_1)
	v_div_scale_f32 v2, null, v1, v1, 1.0
	v_rcp_f32_e32 v3, v2
	s_waitcnt_depctr 0xfff
	v_fma_f32 v5, -v2, v3, 1.0
	s_delay_alu instid0(VALU_DEP_1) | instskip(SKIP_1) | instid1(VALU_DEP_1)
	v_fmac_f32_e32 v3, v5, v3
	v_div_scale_f32 v5, vcc_lo, 1.0, v1, 1.0
	v_mul_f32_e32 v6, v5, v3
	s_delay_alu instid0(VALU_DEP_1) | instskip(NEXT) | instid1(VALU_DEP_1)
	v_fma_f32 v7, -v2, v6, v5
	v_fmac_f32_e32 v6, v7, v3
	s_delay_alu instid0(VALU_DEP_1) | instskip(NEXT) | instid1(VALU_DEP_1)
	v_fma_f32 v2, -v2, v6, v5
	v_div_fmas_f32 v2, v2, v3, v6
	s_delay_alu instid0(VALU_DEP_1) | instskip(NEXT) | instid1(VALU_DEP_1)
	v_div_fixup_f32 v1, v2, v1, 1.0
	v_mul_f32_e32 v2, v4, v1
	s_delay_alu instid0(VALU_DEP_1) | instskip(NEXT) | instid1(VALU_DEP_1)
	v_and_b32_e32 v1, 0x7f800000, v2
	v_cmp_ne_u32_e32 vcc_lo, 0x7f800000, v1
                                        ; implicit-def: $vgpr1
	s_and_saveexec_b32 s4, vcc_lo
	s_delay_alu instid0(SALU_CYCLE_1)
	s_xor_b32 s4, exec_lo, s4
; %bb.19:
	v_bfe_u32 v1, v2, 16, 1
	s_delay_alu instid0(VALU_DEP_1)
	v_add3_u32 v1, v2, v1, 0x7fff
                                        ; implicit-def: $vgpr2
; %bb.20:
	s_and_not1_saveexec_b32 s4, s4
; %bb.21:
	v_and_b32_e32 v1, 0xffff, v2
	v_or_b32_e32 v3, 0x10000, v2
	s_delay_alu instid0(VALU_DEP_2) | instskip(NEXT) | instid1(VALU_DEP_2)
	v_cmp_eq_u32_e32 vcc_lo, 0, v1
	v_cndmask_b32_e32 v1, v3, v2, vcc_lo
; %bb.22:
	s_or_b32 exec_lo, exec_lo, s4
	s_mul_i32 s3, s33, s3
	s_mul_hi_u32 s4, s33, s2
	s_mul_i32 s2, s33, s2
	s_add_i32 s3, s4, s3
	s_mov_b32 s15, 0
	s_lshl_b64 s[2:3], s[2:3], 6
	v_and_b32_e32 v1, 0xffff0000, v1
	s_waitcnt lgkmcnt(0)
	s_add_u32 s2, s0, s2
	s_addc_u32 s3, s1, s3
	s_lshl_b64 s[0:1], s[14:15], 6
	s_delay_alu instid0(SALU_CYCLE_1)
	s_add_u32 s0, s2, s0
	s_addc_u32 s1, s3, s1
	v_add_co_u32 v0, s0, s0, v0
	v_cvt_i32_f32_e32 v2, v1
	v_add_co_ci_u32_e64 v1, null, s1, 0, s0
	global_store_b8 v[0:1], v2, off
	s_nop 0
	s_sendmsg sendmsg(MSG_DEALLOC_VGPRS)
	s_endpgm
.LBB406_23:
	s_mov_b32 s4, 0
	s_branch .LBB406_2
.LBB406_24:
	ds_load_b128 v[5:8], v2 offset:64
	ds_load_b128 v[9:12], v2 offset:80
	s_waitcnt lgkmcnt(1)
	v_fmac_f32_e32 v4, v5, v35
	s_delay_alu instid0(VALU_DEP_1) | instskip(NEXT) | instid1(VALU_DEP_1)
	v_fmac_f32_e32 v4, v6, v34
	v_fmac_f32_e32 v4, v7, v33
	s_delay_alu instid0(VALU_DEP_1) | instskip(SKIP_3) | instid1(VALU_DEP_1)
	v_fmac_f32_e32 v4, v8, v32
	ds_load_b128 v[5:8], v2 offset:96
	s_waitcnt lgkmcnt(1)
	v_fmac_f32_e32 v4, v9, v31
	v_fmac_f32_e32 v4, v10, v30
	s_delay_alu instid0(VALU_DEP_1) | instskip(NEXT) | instid1(VALU_DEP_1)
	v_fmac_f32_e32 v4, v11, v29
	v_fmac_f32_e32 v4, v12, v28
	ds_load_b128 v[9:12], v2 offset:112
	s_waitcnt lgkmcnt(1)
	v_fmac_f32_e32 v4, v5, v27
	s_delay_alu instid0(VALU_DEP_1) | instskip(NEXT) | instid1(VALU_DEP_1)
	v_fmac_f32_e32 v4, v6, v26
	v_fmac_f32_e32 v4, v7, v25
	s_delay_alu instid0(VALU_DEP_1) | instskip(SKIP_1) | instid1(VALU_DEP_1)
	v_fmac_f32_e32 v4, v8, v24
	s_waitcnt lgkmcnt(0)
	v_fmac_f32_e32 v4, v9, v23
	s_delay_alu instid0(VALU_DEP_1) | instskip(NEXT) | instid1(VALU_DEP_1)
	v_fmac_f32_e32 v4, v10, v22
	v_fmac_f32_e32 v4, v11, v21
	s_delay_alu instid0(VALU_DEP_1)
	v_fmac_f32_e32 v4, v12, v20
	s_cmpk_lt_i32 s50, 0x2100
	s_cbranch_scc1 .LBB406_13
.LBB406_25:
	s_cmpk_lt_i32 s50, 0x2200
	v_add_co_u32 v5, vcc_lo, 0x1000, v1
	s_cselect_b32 s4, s51, 0x840
	v_add_co_ci_u32_e32 v6, vcc_lo, 0, v3, vcc_lo
	s_ashr_i32 s5, s4, 31
	v_mov_b32_e32 v44, 0
	s_lshl_b64 s[4:5], s[4:5], 1
	s_cmpk_lt_i32 s50, 0x2300
	global_load_u16 v2, v[5:6], off
	s_cselect_b32 s6, s51, 0x880
	v_add_co_u32 v5, vcc_lo, v1, s4
	s_ashr_i32 s7, s6, 31
	v_add_co_ci_u32_e32 v6, vcc_lo, s5, v3, vcc_lo
	s_lshl_b64 s[8:9], s[6:7], 1
	s_cmpk_lt_i32 s50, 0x2400
	v_add_co_u32 v7, vcc_lo, v1, s8
	s_cselect_b32 s6, s51, 0x8c0
	v_add_co_ci_u32_e32 v8, vcc_lo, s9, v3, vcc_lo
	s_ashr_i32 s7, s6, 31
	s_delay_alu instid0(SALU_CYCLE_1)
	s_lshl_b64 s[18:19], s[6:7], 1
	s_cmpk_lt_i32 s50, 0x2500
	v_add_co_u32 v9, vcc_lo, v1, s18
	s_cselect_b32 s6, s51, 0x900
	v_add_co_ci_u32_e32 v10, vcc_lo, s19, v3, vcc_lo
	s_ashr_i32 s7, s6, 31
	s_delay_alu instid0(SALU_CYCLE_1)
	s_lshl_b64 s[24:25], s[6:7], 1
	s_cmpk_lt_i32 s50, 0x2600
	v_add_co_u32 v11, vcc_lo, v1, s24
	s_cselect_b32 s6, s51, 0x940
	v_add_co_ci_u32_e32 v12, vcc_lo, s25, v3, vcc_lo
	s_ashr_i32 s7, s6, 31
	s_clause 0x3
	global_load_u16 v13, v[5:6], off
	global_load_u16 v14, v[7:8], off
	;; [unrolled: 1-line block ×4, first 2 shown]
	s_lshl_b64 s[6:7], s[6:7], 1
	s_cmpk_lt_i32 s50, 0x2700
	v_add_co_u32 v5, vcc_lo, v1, s6
	s_cselect_b32 s10, s51, 0x980
	v_add_co_ci_u32_e32 v6, vcc_lo, s7, v3, vcc_lo
	s_ashr_i32 s11, s10, 31
	s_delay_alu instid0(SALU_CYCLE_1)
	s_lshl_b64 s[10:11], s[10:11], 1
	s_cmpk_lt_i32 s50, 0x2800
	v_add_co_u32 v7, vcc_lo, v1, s10
	s_cselect_b32 s20, s51, 0x9c0
	v_add_co_ci_u32_e32 v8, vcc_lo, s11, v3, vcc_lo
	s_ashr_i32 s21, s20, 31
	s_delay_alu instid0(SALU_CYCLE_1)
	;; [unrolled: 7-line block ×3, first 2 shown]
	s_lshl_b64 s[30:31], s[20:21], 1
	s_cmpk_lt_i32 s50, 0x2a00
	v_add_co_u32 v11, vcc_lo, v1, s30
	s_cselect_b32 s20, s51, 0xa40
	v_add_co_ci_u32_e32 v12, vcc_lo, s31, v3, vcc_lo
	s_ashr_i32 s21, s20, 31
	s_clause 0x3
	global_load_u16 v17, v[5:6], off
	global_load_u16 v18, v[7:8], off
	;; [unrolled: 1-line block ×4, first 2 shown]
	s_lshl_b64 s[20:21], s[20:21], 1
	s_cmpk_lt_i32 s50, 0x2b00
	v_add_co_u32 v5, vcc_lo, v1, s20
	s_cselect_b32 s26, s51, 0xa80
	v_add_co_ci_u32_e32 v6, vcc_lo, s21, v3, vcc_lo
	s_ashr_i32 s27, s26, 31
	s_delay_alu instid0(SALU_CYCLE_1)
	s_lshl_b64 s[26:27], s[26:27], 1
	s_cmpk_lt_i32 s50, 0x2c00
	v_add_co_u32 v7, vcc_lo, v1, s26
	s_cselect_b32 s28, s51, 0xac0
	v_add_co_ci_u32_e32 v8, vcc_lo, s27, v3, vcc_lo
	s_ashr_i32 s29, s28, 31
	global_load_u16 v21, v[5:6], off
	s_lshl_b64 s[34:35], s[28:29], 1
	s_cmpk_lt_i32 s50, 0x2d00
	v_add_co_u32 v9, vcc_lo, v1, s34
	s_cselect_b32 s28, s51, 0xb00
	v_add_co_ci_u32_e32 v10, vcc_lo, s35, v3, vcc_lo
	s_ashr_i32 s29, s28, 31
	s_delay_alu instid0(SALU_CYCLE_1)
	s_lshl_b64 s[38:39], s[28:29], 1
	s_cmpk_lt_i32 s50, 0x2e00
	v_add_co_u32 v11, vcc_lo, v1, s38
	s_cselect_b32 s28, s51, 0xb40
	v_add_co_ci_u32_e32 v12, vcc_lo, s39, v3, vcc_lo
	s_ashr_i32 s29, s28, 31
	s_clause 0x2
	global_load_u16 v22, v[7:8], off
	global_load_u16 v23, v[9:10], off
	;; [unrolled: 1-line block ×3, first 2 shown]
	s_lshl_b64 s[28:29], s[28:29], 1
	s_cmpk_lt_i32 s50, 0x2f00
	v_add_co_u32 v5, vcc_lo, v1, s28
	s_cselect_b32 s36, s51, 0xb80
	v_add_co_ci_u32_e32 v6, vcc_lo, s29, v3, vcc_lo
	s_ashr_i32 s37, s36, 31
	s_delay_alu instid0(SALU_CYCLE_1)
	s_lshl_b64 s[36:37], s[36:37], 1
	s_cmpk_lt_i32 s50, 0x3000
	v_add_co_u32 v7, vcc_lo, v1, s36
	s_cselect_b32 s40, s51, 0xbc0
	v_add_co_ci_u32_e32 v8, vcc_lo, s37, v3, vcc_lo
	s_ashr_i32 s41, s40, 31
	global_load_u16 v25, v[5:6], off
	s_lshl_b64 s[40:41], s[40:41], 1
	global_load_u16 v26, v[7:8], off
	s_cmpk_lt_i32 s50, 0x3100
	v_add_co_u32 v9, vcc_lo, v1, s40
	s_cselect_b32 s42, s51, 0xc00
	v_add_co_ci_u32_e32 v10, vcc_lo, s41, v3, vcc_lo
	s_ashr_i32 s43, s42, 31
	s_delay_alu instid0(SALU_CYCLE_1)
	s_lshl_b64 s[42:43], s[42:43], 1
	global_load_u16 v27, v[9:10], off
	s_cmpk_lt_i32 s50, 0x3200
	v_add_co_u32 v5, vcc_lo, v1, s42
	s_cselect_b32 s44, s51, 0xc40
	v_add_co_ci_u32_e32 v6, vcc_lo, s43, v3, vcc_lo
	s_ashr_i32 s45, s44, 31
	s_delay_alu instid0(SALU_CYCLE_1)
	s_lshl_b64 s[44:45], s[44:45], 1
	s_cmpk_lt_i32 s50, 0x3300
	v_add_co_u32 v7, vcc_lo, v1, s44
	s_cselect_b32 s46, s51, 0xc80
	v_add_co_ci_u32_e32 v8, vcc_lo, s45, v3, vcc_lo
	s_ashr_i32 s47, s46, 31
	global_load_u16 v28, v[5:6], off
	s_lshl_b64 s[46:47], s[46:47], 1
	global_load_u16 v29, v[7:8], off
	s_cmpk_lt_i32 s50, 0x3400
	v_add_co_u32 v9, vcc_lo, v1, s46
	s_cselect_b32 s48, s51, 0xcc0
	v_add_co_ci_u32_e32 v10, vcc_lo, s47, v3, vcc_lo
	s_ashr_i32 s49, s48, 31
	s_delay_alu instid0(SALU_CYCLE_1)
	s_lshl_b64 s[48:49], s[48:49], 1
	s_cmpk_lt_i32 s50, 0x3500
	v_add_co_u32 v5, vcc_lo, v1, s48
	s_cselect_b32 s4, s51, 0xd00
	v_add_co_ci_u32_e32 v6, vcc_lo, s49, v3, vcc_lo
	s_ashr_i32 s5, s4, 31
	global_load_u16 v30, v[9:10], off
	s_lshl_b64 s[4:5], s[4:5], 1
	s_cmpk_lt_i32 s50, 0x3600
	v_add_co_u32 v7, vcc_lo, v1, s4
	s_cselect_b32 s8, s51, 0xd40
	v_add_co_ci_u32_e32 v8, vcc_lo, s5, v3, vcc_lo
	s_ashr_i32 s9, s8, 31
	global_load_u16 v31, v[5:6], off
	s_lshl_b64 s[6:7], s[8:9], 1
	global_load_u16 v32, v[7:8], off
	s_cmpk_lt_i32 s50, 0x3700
	v_add_co_u32 v5, vcc_lo, v1, s6
	s_cselect_b32 s8, s51, 0xd80
	v_add_co_ci_u32_e32 v6, vcc_lo, s7, v3, vcc_lo
	s_ashr_i32 s9, s8, 31
	s_delay_alu instid0(SALU_CYCLE_1)
	s_lshl_b64 s[8:9], s[8:9], 1
	s_cmpk_lt_i32 s50, 0x3800
	v_add_co_u32 v7, vcc_lo, v1, s8
	s_cselect_b32 s10, s51, 0xdc0
	v_add_co_ci_u32_e32 v8, vcc_lo, s9, v3, vcc_lo
	s_ashr_i32 s11, s10, 31
	global_load_u16 v33, v[5:6], off
	s_lshl_b64 s[10:11], s[10:11], 1
	global_load_u16 v34, v[7:8], off
	s_cmpk_lt_i32 s50, 0x3900
	v_add_co_u32 v5, vcc_lo, v1, s10
	s_cselect_b32 s18, s51, 0xe00
	v_add_co_ci_u32_e32 v6, vcc_lo, s11, v3, vcc_lo
	s_ashr_i32 s19, s18, 31
	s_delay_alu instid0(SALU_CYCLE_1)
	;; [unrolled: 15-line block ×5, first 2 shown]
	s_lshl_b64 s[4:5], s[8:9], 1
	s_cmpk_lt_i32 s50, 0x4000
	v_add_co_u32 v7, vcc_lo, v1, s4
	s_cselect_b32 s6, s51, 0xfc0
	v_add_co_ci_u32_e32 v8, vcc_lo, s5, v3, vcc_lo
	s_ashr_i32 s7, s6, 31
	global_load_u16 v41, v[5:6], off
	s_lshl_b64 s[4:5], s[6:7], 1
	global_load_u16 v42, v[7:8], off
	v_add_co_u32 v5, vcc_lo, v1, s4
	v_add_co_ci_u32_e32 v6, vcc_lo, s5, v3, vcc_lo
	global_load_u16 v43, v[5:6], off
	ds_load_b128 v[5:8], v44 offset:128
	ds_load_b128 v[9:12], v44 offset:144
	s_waitcnt vmcnt(31)
	v_lshlrev_b32_e32 v2, 16, v2
	s_waitcnt lgkmcnt(1)
	s_delay_alu instid0(VALU_DEP_1) | instskip(SKIP_2) | instid1(VALU_DEP_1)
	v_fmac_f32_e32 v4, v5, v2
	s_waitcnt vmcnt(30)
	v_lshlrev_b32_e32 v2, 16, v13
	v_fmac_f32_e32 v4, v6, v2
	s_waitcnt vmcnt(29)
	v_lshlrev_b32_e32 v2, 16, v14
	s_delay_alu instid0(VALU_DEP_1) | instskip(SKIP_2) | instid1(VALU_DEP_1)
	v_fmac_f32_e32 v4, v7, v2
	s_waitcnt vmcnt(28)
	v_lshlrev_b32_e32 v2, 16, v15
	v_fmac_f32_e32 v4, v8, v2
	s_waitcnt vmcnt(27)
	v_lshlrev_b32_e32 v2, 16, v16
	ds_load_b128 v[5:8], v44 offset:160
	s_waitcnt lgkmcnt(1)
	v_fmac_f32_e32 v4, v9, v2
	s_waitcnt vmcnt(26)
	v_lshlrev_b32_e32 v2, 16, v17
	s_delay_alu instid0(VALU_DEP_1) | instskip(SKIP_2) | instid1(VALU_DEP_1)
	v_fmac_f32_e32 v4, v10, v2
	s_waitcnt vmcnt(25)
	v_lshlrev_b32_e32 v2, 16, v18
	v_fmac_f32_e32 v4, v11, v2
	s_waitcnt vmcnt(24)
	v_lshlrev_b32_e32 v2, 16, v19
	s_delay_alu instid0(VALU_DEP_1) | instskip(SKIP_4) | instid1(VALU_DEP_1)
	v_fmac_f32_e32 v4, v12, v2
	ds_load_b128 v[9:12], v44 offset:176
	s_waitcnt vmcnt(23)
	v_lshlrev_b32_e32 v2, 16, v20
	s_waitcnt lgkmcnt(1)
	v_fmac_f32_e32 v4, v5, v2
	s_waitcnt vmcnt(22)
	v_lshlrev_b32_e32 v2, 16, v21
	s_delay_alu instid0(VALU_DEP_1) | instskip(SKIP_2) | instid1(VALU_DEP_1)
	v_fmac_f32_e32 v4, v6, v2
	s_waitcnt vmcnt(21)
	v_lshlrev_b32_e32 v2, 16, v22
	v_fmac_f32_e32 v4, v7, v2
	s_waitcnt vmcnt(20)
	v_lshlrev_b32_e32 v2, 16, v23
	s_delay_alu instid0(VALU_DEP_1)
	v_fmac_f32_e32 v4, v8, v2
	s_waitcnt vmcnt(19)
	v_lshlrev_b32_e32 v2, 16, v24
	ds_load_b128 v[5:8], v44 offset:192
	s_waitcnt lgkmcnt(1)
	v_fmac_f32_e32 v4, v9, v2
	s_waitcnt vmcnt(18)
	v_lshlrev_b32_e32 v2, 16, v25
	s_delay_alu instid0(VALU_DEP_1) | instskip(SKIP_2) | instid1(VALU_DEP_1)
	v_fmac_f32_e32 v4, v10, v2
	s_waitcnt vmcnt(17)
	v_lshlrev_b32_e32 v2, 16, v26
	v_fmac_f32_e32 v4, v11, v2
	s_waitcnt vmcnt(16)
	v_lshlrev_b32_e32 v2, 16, v27
	s_delay_alu instid0(VALU_DEP_1) | instskip(SKIP_4) | instid1(VALU_DEP_1)
	v_fmac_f32_e32 v4, v12, v2
	ds_load_b128 v[9:12], v44 offset:208
	s_waitcnt vmcnt(15)
	v_lshlrev_b32_e32 v2, 16, v28
	s_waitcnt lgkmcnt(1)
	v_fmac_f32_e32 v4, v5, v2
	s_waitcnt vmcnt(14)
	v_lshlrev_b32_e32 v2, 16, v29
	s_delay_alu instid0(VALU_DEP_1) | instskip(SKIP_2) | instid1(VALU_DEP_1)
	v_fmac_f32_e32 v4, v6, v2
	s_waitcnt vmcnt(13)
	v_lshlrev_b32_e32 v2, 16, v30
	v_fmac_f32_e32 v4, v7, v2
	s_waitcnt vmcnt(12)
	v_lshlrev_b32_e32 v2, 16, v31
	s_delay_alu instid0(VALU_DEP_1)
	v_fmac_f32_e32 v4, v8, v2
	s_waitcnt vmcnt(11)
	v_lshlrev_b32_e32 v2, 16, v32
	ds_load_b128 v[5:8], v44 offset:224
	s_waitcnt lgkmcnt(1)
	v_fmac_f32_e32 v4, v9, v2
	s_waitcnt vmcnt(10)
	v_lshlrev_b32_e32 v2, 16, v33
	s_delay_alu instid0(VALU_DEP_1) | instskip(SKIP_2) | instid1(VALU_DEP_1)
	v_fmac_f32_e32 v4, v10, v2
	s_waitcnt vmcnt(9)
	v_lshlrev_b32_e32 v2, 16, v34
	v_fmac_f32_e32 v4, v11, v2
	s_waitcnt vmcnt(8)
	v_lshlrev_b32_e32 v2, 16, v35
	s_delay_alu instid0(VALU_DEP_1) | instskip(SKIP_4) | instid1(VALU_DEP_1)
	v_fmac_f32_e32 v4, v12, v2
	ds_load_b128 v[9:12], v44 offset:240
	s_waitcnt vmcnt(7)
	v_lshlrev_b32_e32 v2, 16, v36
	s_waitcnt lgkmcnt(1)
	v_fmac_f32_e32 v4, v5, v2
	s_waitcnt vmcnt(6)
	v_lshlrev_b32_e32 v2, 16, v37
	s_delay_alu instid0(VALU_DEP_1) | instskip(SKIP_2) | instid1(VALU_DEP_1)
	v_fmac_f32_e32 v4, v6, v2
	s_waitcnt vmcnt(5)
	v_lshlrev_b32_e32 v2, 16, v38
	v_fmac_f32_e32 v4, v7, v2
	s_waitcnt vmcnt(4)
	v_lshlrev_b32_e32 v2, 16, v39
	s_delay_alu instid0(VALU_DEP_1) | instskip(SKIP_3) | instid1(VALU_DEP_1)
	v_fmac_f32_e32 v4, v8, v2
	s_waitcnt vmcnt(3)
	v_lshlrev_b32_e32 v2, 16, v40
	s_waitcnt lgkmcnt(0)
	v_fmac_f32_e32 v4, v9, v2
	s_waitcnt vmcnt(2)
	v_lshlrev_b32_e32 v2, 16, v41
	s_delay_alu instid0(VALU_DEP_1) | instskip(SKIP_2) | instid1(VALU_DEP_1)
	v_fmac_f32_e32 v4, v10, v2
	s_waitcnt vmcnt(1)
	v_lshlrev_b32_e32 v2, 16, v42
	v_fmac_f32_e32 v4, v11, v2
	s_waitcnt vmcnt(0)
	v_lshlrev_b32_e32 v2, 16, v43
	s_delay_alu instid0(VALU_DEP_1)
	v_fmac_f32_e32 v4, v12, v2
	s_cmpk_lt_i32 s50, 0x4100
	s_cbranch_scc1 .LBB406_14
.LBB406_26:
	s_cmpk_lt_i32 s50, 0x4200
	v_add_co_u32 v5, vcc_lo, 0x2000, v1
	s_cselect_b32 s4, s51, 0x1040
	v_add_co_ci_u32_e32 v6, vcc_lo, 0, v3, vcc_lo
	s_ashr_i32 s5, s4, 31
	v_mov_b32_e32 v44, 0
	s_lshl_b64 s[4:5], s[4:5], 1
	s_cmpk_lt_i32 s50, 0x4300
	global_load_u16 v2, v[5:6], off
	s_cselect_b32 s6, s51, 0x1080
	v_add_co_u32 v5, vcc_lo, v1, s4
	s_ashr_i32 s7, s6, 31
	v_add_co_ci_u32_e32 v6, vcc_lo, s5, v3, vcc_lo
	s_lshl_b64 s[8:9], s[6:7], 1
	s_cmpk_lt_i32 s50, 0x4400
	v_add_co_u32 v7, vcc_lo, v1, s8
	s_cselect_b32 s6, s51, 0x10c0
	v_add_co_ci_u32_e32 v8, vcc_lo, s9, v3, vcc_lo
	s_ashr_i32 s7, s6, 31
	s_delay_alu instid0(SALU_CYCLE_1)
	s_lshl_b64 s[18:19], s[6:7], 1
	s_cmpk_lt_i32 s50, 0x4500
	v_add_co_u32 v9, vcc_lo, v1, s18
	s_cselect_b32 s6, s51, 0x1100
	v_add_co_ci_u32_e32 v10, vcc_lo, s19, v3, vcc_lo
	s_ashr_i32 s7, s6, 31
	s_delay_alu instid0(SALU_CYCLE_1)
	s_lshl_b64 s[24:25], s[6:7], 1
	s_cmpk_lt_i32 s50, 0x4600
	v_add_co_u32 v11, vcc_lo, v1, s24
	s_cselect_b32 s6, s51, 0x1140
	v_add_co_ci_u32_e32 v12, vcc_lo, s25, v3, vcc_lo
	s_ashr_i32 s7, s6, 31
	s_clause 0x3
	global_load_u16 v13, v[5:6], off
	global_load_u16 v14, v[7:8], off
	;; [unrolled: 1-line block ×4, first 2 shown]
	s_lshl_b64 s[6:7], s[6:7], 1
	s_cmpk_lt_i32 s50, 0x4700
	v_add_co_u32 v5, vcc_lo, v1, s6
	s_cselect_b32 s10, s51, 0x1180
	v_add_co_ci_u32_e32 v6, vcc_lo, s7, v3, vcc_lo
	s_ashr_i32 s11, s10, 31
	s_delay_alu instid0(SALU_CYCLE_1)
	s_lshl_b64 s[10:11], s[10:11], 1
	s_cmpk_lt_i32 s50, 0x4800
	v_add_co_u32 v7, vcc_lo, v1, s10
	s_cselect_b32 s20, s51, 0x11c0
	v_add_co_ci_u32_e32 v8, vcc_lo, s11, v3, vcc_lo
	s_ashr_i32 s21, s20, 31
	s_delay_alu instid0(SALU_CYCLE_1)
	;; [unrolled: 7-line block ×3, first 2 shown]
	s_lshl_b64 s[30:31], s[20:21], 1
	s_cmpk_lt_i32 s50, 0x4a00
	v_add_co_u32 v11, vcc_lo, v1, s30
	s_cselect_b32 s20, s51, 0x1240
	v_add_co_ci_u32_e32 v12, vcc_lo, s31, v3, vcc_lo
	s_ashr_i32 s21, s20, 31
	s_clause 0x3
	global_load_u16 v17, v[5:6], off
	global_load_u16 v18, v[7:8], off
	;; [unrolled: 1-line block ×4, first 2 shown]
	s_lshl_b64 s[20:21], s[20:21], 1
	s_cmpk_lt_i32 s50, 0x4b00
	v_add_co_u32 v5, vcc_lo, v1, s20
	s_cselect_b32 s26, s51, 0x1280
	v_add_co_ci_u32_e32 v6, vcc_lo, s21, v3, vcc_lo
	s_ashr_i32 s27, s26, 31
	s_delay_alu instid0(SALU_CYCLE_1)
	s_lshl_b64 s[26:27], s[26:27], 1
	s_cmpk_lt_i32 s50, 0x4c00
	v_add_co_u32 v7, vcc_lo, v1, s26
	s_cselect_b32 s28, s51, 0x12c0
	v_add_co_ci_u32_e32 v8, vcc_lo, s27, v3, vcc_lo
	s_ashr_i32 s29, s28, 31
	global_load_u16 v21, v[5:6], off
	s_lshl_b64 s[34:35], s[28:29], 1
	s_cmpk_lt_i32 s50, 0x4d00
	v_add_co_u32 v9, vcc_lo, v1, s34
	s_cselect_b32 s28, s51, 0x1300
	v_add_co_ci_u32_e32 v10, vcc_lo, s35, v3, vcc_lo
	s_ashr_i32 s29, s28, 31
	s_delay_alu instid0(SALU_CYCLE_1)
	s_lshl_b64 s[38:39], s[28:29], 1
	s_cmpk_lt_i32 s50, 0x4e00
	v_add_co_u32 v11, vcc_lo, v1, s38
	s_cselect_b32 s28, s51, 0x1340
	v_add_co_ci_u32_e32 v12, vcc_lo, s39, v3, vcc_lo
	s_ashr_i32 s29, s28, 31
	s_clause 0x2
	global_load_u16 v22, v[7:8], off
	global_load_u16 v23, v[9:10], off
	;; [unrolled: 1-line block ×3, first 2 shown]
	s_lshl_b64 s[28:29], s[28:29], 1
	s_cmpk_lt_i32 s50, 0x4f00
	v_add_co_u32 v5, vcc_lo, v1, s28
	s_cselect_b32 s36, s51, 0x1380
	v_add_co_ci_u32_e32 v6, vcc_lo, s29, v3, vcc_lo
	s_ashr_i32 s37, s36, 31
	s_delay_alu instid0(SALU_CYCLE_1)
	s_lshl_b64 s[36:37], s[36:37], 1
	s_cmpk_lt_i32 s50, 0x5000
	v_add_co_u32 v7, vcc_lo, v1, s36
	s_cselect_b32 s40, s51, 0x13c0
	v_add_co_ci_u32_e32 v8, vcc_lo, s37, v3, vcc_lo
	s_ashr_i32 s41, s40, 31
	global_load_u16 v25, v[5:6], off
	s_lshl_b64 s[40:41], s[40:41], 1
	global_load_u16 v26, v[7:8], off
	s_cmpk_lt_i32 s50, 0x5100
	v_add_co_u32 v9, vcc_lo, v1, s40
	s_cselect_b32 s42, s51, 0x1400
	v_add_co_ci_u32_e32 v10, vcc_lo, s41, v3, vcc_lo
	s_ashr_i32 s43, s42, 31
	s_delay_alu instid0(SALU_CYCLE_1)
	s_lshl_b64 s[42:43], s[42:43], 1
	global_load_u16 v27, v[9:10], off
	s_cmpk_lt_i32 s50, 0x5200
	v_add_co_u32 v5, vcc_lo, v1, s42
	s_cselect_b32 s44, s51, 0x1440
	v_add_co_ci_u32_e32 v6, vcc_lo, s43, v3, vcc_lo
	s_ashr_i32 s45, s44, 31
	s_delay_alu instid0(SALU_CYCLE_1)
	s_lshl_b64 s[44:45], s[44:45], 1
	s_cmpk_lt_i32 s50, 0x5300
	v_add_co_u32 v7, vcc_lo, v1, s44
	s_cselect_b32 s46, s51, 0x1480
	v_add_co_ci_u32_e32 v8, vcc_lo, s45, v3, vcc_lo
	s_ashr_i32 s47, s46, 31
	global_load_u16 v28, v[5:6], off
	s_lshl_b64 s[46:47], s[46:47], 1
	global_load_u16 v29, v[7:8], off
	s_cmpk_lt_i32 s50, 0x5400
	v_add_co_u32 v9, vcc_lo, v1, s46
	s_cselect_b32 s48, s51, 0x14c0
	v_add_co_ci_u32_e32 v10, vcc_lo, s47, v3, vcc_lo
	s_ashr_i32 s49, s48, 31
	s_delay_alu instid0(SALU_CYCLE_1)
	s_lshl_b64 s[48:49], s[48:49], 1
	s_cmpk_lt_i32 s50, 0x5500
	v_add_co_u32 v5, vcc_lo, v1, s48
	s_cselect_b32 s4, s51, 0x1500
	v_add_co_ci_u32_e32 v6, vcc_lo, s49, v3, vcc_lo
	s_ashr_i32 s5, s4, 31
	global_load_u16 v30, v[9:10], off
	s_lshl_b64 s[4:5], s[4:5], 1
	s_cmpk_lt_i32 s50, 0x5600
	v_add_co_u32 v7, vcc_lo, v1, s4
	s_cselect_b32 s8, s51, 0x1540
	v_add_co_ci_u32_e32 v8, vcc_lo, s5, v3, vcc_lo
	s_ashr_i32 s9, s8, 31
	global_load_u16 v31, v[5:6], off
	s_lshl_b64 s[6:7], s[8:9], 1
	global_load_u16 v32, v[7:8], off
	s_cmpk_lt_i32 s50, 0x5700
	v_add_co_u32 v5, vcc_lo, v1, s6
	s_cselect_b32 s8, s51, 0x1580
	v_add_co_ci_u32_e32 v6, vcc_lo, s7, v3, vcc_lo
	s_ashr_i32 s9, s8, 31
	s_delay_alu instid0(SALU_CYCLE_1)
	s_lshl_b64 s[8:9], s[8:9], 1
	s_cmpk_lt_i32 s50, 0x5800
	v_add_co_u32 v7, vcc_lo, v1, s8
	s_cselect_b32 s10, s51, 0x15c0
	v_add_co_ci_u32_e32 v8, vcc_lo, s9, v3, vcc_lo
	s_ashr_i32 s11, s10, 31
	global_load_u16 v33, v[5:6], off
	s_lshl_b64 s[10:11], s[10:11], 1
	global_load_u16 v34, v[7:8], off
	s_cmpk_lt_i32 s50, 0x5900
	v_add_co_u32 v5, vcc_lo, v1, s10
	s_cselect_b32 s18, s51, 0x1600
	v_add_co_ci_u32_e32 v6, vcc_lo, s11, v3, vcc_lo
	s_ashr_i32 s19, s18, 31
	s_delay_alu instid0(SALU_CYCLE_1)
	;; [unrolled: 15-line block ×5, first 2 shown]
	s_lshl_b64 s[4:5], s[8:9], 1
	s_cmpk_lt_i32 s50, 0x6000
	v_add_co_u32 v7, vcc_lo, v1, s4
	s_cselect_b32 s6, s51, 0x17c0
	v_add_co_ci_u32_e32 v8, vcc_lo, s5, v3, vcc_lo
	s_ashr_i32 s7, s6, 31
	global_load_u16 v41, v[5:6], off
	s_lshl_b64 s[4:5], s[6:7], 1
	global_load_u16 v42, v[7:8], off
	v_add_co_u32 v5, vcc_lo, v1, s4
	v_add_co_ci_u32_e32 v6, vcc_lo, s5, v3, vcc_lo
	global_load_u16 v43, v[5:6], off
	ds_load_b128 v[5:8], v44 offset:256
	ds_load_b128 v[9:12], v44 offset:272
	s_waitcnt vmcnt(31)
	v_lshlrev_b32_e32 v2, 16, v2
	s_waitcnt lgkmcnt(1)
	s_delay_alu instid0(VALU_DEP_1) | instskip(SKIP_2) | instid1(VALU_DEP_1)
	v_fmac_f32_e32 v4, v5, v2
	s_waitcnt vmcnt(30)
	v_lshlrev_b32_e32 v2, 16, v13
	v_fmac_f32_e32 v4, v6, v2
	s_waitcnt vmcnt(29)
	v_lshlrev_b32_e32 v2, 16, v14
	s_delay_alu instid0(VALU_DEP_1) | instskip(SKIP_2) | instid1(VALU_DEP_1)
	v_fmac_f32_e32 v4, v7, v2
	s_waitcnt vmcnt(28)
	v_lshlrev_b32_e32 v2, 16, v15
	v_fmac_f32_e32 v4, v8, v2
	s_waitcnt vmcnt(27)
	v_lshlrev_b32_e32 v2, 16, v16
	ds_load_b128 v[5:8], v44 offset:288
	s_waitcnt lgkmcnt(1)
	v_fmac_f32_e32 v4, v9, v2
	s_waitcnt vmcnt(26)
	v_lshlrev_b32_e32 v2, 16, v17
	s_delay_alu instid0(VALU_DEP_1) | instskip(SKIP_2) | instid1(VALU_DEP_1)
	v_fmac_f32_e32 v4, v10, v2
	s_waitcnt vmcnt(25)
	v_lshlrev_b32_e32 v2, 16, v18
	v_fmac_f32_e32 v4, v11, v2
	s_waitcnt vmcnt(24)
	v_lshlrev_b32_e32 v2, 16, v19
	s_delay_alu instid0(VALU_DEP_1) | instskip(SKIP_4) | instid1(VALU_DEP_1)
	v_fmac_f32_e32 v4, v12, v2
	ds_load_b128 v[9:12], v44 offset:304
	s_waitcnt vmcnt(23)
	v_lshlrev_b32_e32 v2, 16, v20
	s_waitcnt lgkmcnt(1)
	v_fmac_f32_e32 v4, v5, v2
	s_waitcnt vmcnt(22)
	v_lshlrev_b32_e32 v2, 16, v21
	s_delay_alu instid0(VALU_DEP_1) | instskip(SKIP_2) | instid1(VALU_DEP_1)
	v_fmac_f32_e32 v4, v6, v2
	s_waitcnt vmcnt(21)
	v_lshlrev_b32_e32 v2, 16, v22
	v_fmac_f32_e32 v4, v7, v2
	s_waitcnt vmcnt(20)
	v_lshlrev_b32_e32 v2, 16, v23
	s_delay_alu instid0(VALU_DEP_1)
	v_fmac_f32_e32 v4, v8, v2
	s_waitcnt vmcnt(19)
	v_lshlrev_b32_e32 v2, 16, v24
	ds_load_b128 v[5:8], v44 offset:320
	s_waitcnt lgkmcnt(1)
	v_fmac_f32_e32 v4, v9, v2
	s_waitcnt vmcnt(18)
	v_lshlrev_b32_e32 v2, 16, v25
	s_delay_alu instid0(VALU_DEP_1) | instskip(SKIP_2) | instid1(VALU_DEP_1)
	v_fmac_f32_e32 v4, v10, v2
	s_waitcnt vmcnt(17)
	v_lshlrev_b32_e32 v2, 16, v26
	v_fmac_f32_e32 v4, v11, v2
	s_waitcnt vmcnt(16)
	v_lshlrev_b32_e32 v2, 16, v27
	s_delay_alu instid0(VALU_DEP_1) | instskip(SKIP_4) | instid1(VALU_DEP_1)
	v_fmac_f32_e32 v4, v12, v2
	ds_load_b128 v[9:12], v44 offset:336
	s_waitcnt vmcnt(15)
	v_lshlrev_b32_e32 v2, 16, v28
	s_waitcnt lgkmcnt(1)
	v_fmac_f32_e32 v4, v5, v2
	s_waitcnt vmcnt(14)
	v_lshlrev_b32_e32 v2, 16, v29
	s_delay_alu instid0(VALU_DEP_1) | instskip(SKIP_2) | instid1(VALU_DEP_1)
	v_fmac_f32_e32 v4, v6, v2
	s_waitcnt vmcnt(13)
	v_lshlrev_b32_e32 v2, 16, v30
	v_fmac_f32_e32 v4, v7, v2
	s_waitcnt vmcnt(12)
	v_lshlrev_b32_e32 v2, 16, v31
	s_delay_alu instid0(VALU_DEP_1)
	v_fmac_f32_e32 v4, v8, v2
	s_waitcnt vmcnt(11)
	v_lshlrev_b32_e32 v2, 16, v32
	ds_load_b128 v[5:8], v44 offset:352
	s_waitcnt lgkmcnt(1)
	v_fmac_f32_e32 v4, v9, v2
	s_waitcnt vmcnt(10)
	v_lshlrev_b32_e32 v2, 16, v33
	s_delay_alu instid0(VALU_DEP_1) | instskip(SKIP_2) | instid1(VALU_DEP_1)
	v_fmac_f32_e32 v4, v10, v2
	s_waitcnt vmcnt(9)
	v_lshlrev_b32_e32 v2, 16, v34
	v_fmac_f32_e32 v4, v11, v2
	s_waitcnt vmcnt(8)
	v_lshlrev_b32_e32 v2, 16, v35
	s_delay_alu instid0(VALU_DEP_1) | instskip(SKIP_4) | instid1(VALU_DEP_1)
	v_fmac_f32_e32 v4, v12, v2
	ds_load_b128 v[9:12], v44 offset:368
	s_waitcnt vmcnt(7)
	v_lshlrev_b32_e32 v2, 16, v36
	s_waitcnt lgkmcnt(1)
	v_fmac_f32_e32 v4, v5, v2
	s_waitcnt vmcnt(6)
	v_lshlrev_b32_e32 v2, 16, v37
	s_delay_alu instid0(VALU_DEP_1) | instskip(SKIP_2) | instid1(VALU_DEP_1)
	v_fmac_f32_e32 v4, v6, v2
	s_waitcnt vmcnt(5)
	v_lshlrev_b32_e32 v2, 16, v38
	v_fmac_f32_e32 v4, v7, v2
	s_waitcnt vmcnt(4)
	v_lshlrev_b32_e32 v2, 16, v39
	s_delay_alu instid0(VALU_DEP_1) | instskip(SKIP_3) | instid1(VALU_DEP_1)
	v_fmac_f32_e32 v4, v8, v2
	s_waitcnt vmcnt(3)
	v_lshlrev_b32_e32 v2, 16, v40
	s_waitcnt lgkmcnt(0)
	v_fmac_f32_e32 v4, v9, v2
	s_waitcnt vmcnt(2)
	v_lshlrev_b32_e32 v2, 16, v41
	s_delay_alu instid0(VALU_DEP_1) | instskip(SKIP_2) | instid1(VALU_DEP_1)
	v_fmac_f32_e32 v4, v10, v2
	s_waitcnt vmcnt(1)
	v_lshlrev_b32_e32 v2, 16, v42
	v_fmac_f32_e32 v4, v11, v2
	s_waitcnt vmcnt(0)
	v_lshlrev_b32_e32 v2, 16, v43
	s_delay_alu instid0(VALU_DEP_1)
	v_fmac_f32_e32 v4, v12, v2
	s_cmpk_lt_i32 s50, 0x6100
	s_cbranch_scc1 .LBB406_15
.LBB406_27:
	s_cmpk_lt_i32 s50, 0x6200
	v_add_co_u32 v5, vcc_lo, 0x3000, v1
	s_cselect_b32 s4, s51, 0x1840
	v_add_co_ci_u32_e32 v6, vcc_lo, 0, v3, vcc_lo
	s_ashr_i32 s5, s4, 31
	v_mov_b32_e32 v44, 0
	s_lshl_b64 s[4:5], s[4:5], 1
	s_cmpk_lt_i32 s50, 0x6300
	global_load_u16 v2, v[5:6], off
	s_cselect_b32 s6, s51, 0x1880
	v_add_co_u32 v5, vcc_lo, v1, s4
	s_ashr_i32 s7, s6, 31
	v_add_co_ci_u32_e32 v6, vcc_lo, s5, v3, vcc_lo
	s_lshl_b64 s[8:9], s[6:7], 1
	s_cmpk_lt_i32 s50, 0x6400
	v_add_co_u32 v7, vcc_lo, v1, s8
	s_cselect_b32 s6, s51, 0x18c0
	v_add_co_ci_u32_e32 v8, vcc_lo, s9, v3, vcc_lo
	s_ashr_i32 s7, s6, 31
	s_delay_alu instid0(SALU_CYCLE_1)
	s_lshl_b64 s[18:19], s[6:7], 1
	s_cmpk_lt_i32 s50, 0x6500
	v_add_co_u32 v9, vcc_lo, v1, s18
	s_cselect_b32 s6, s51, 0x1900
	v_add_co_ci_u32_e32 v10, vcc_lo, s19, v3, vcc_lo
	s_ashr_i32 s7, s6, 31
	s_delay_alu instid0(SALU_CYCLE_1)
	s_lshl_b64 s[24:25], s[6:7], 1
	s_cmpk_lt_i32 s50, 0x6600
	v_add_co_u32 v11, vcc_lo, v1, s24
	s_cselect_b32 s6, s51, 0x1940
	v_add_co_ci_u32_e32 v12, vcc_lo, s25, v3, vcc_lo
	s_ashr_i32 s7, s6, 31
	s_clause 0x3
	global_load_u16 v13, v[5:6], off
	global_load_u16 v14, v[7:8], off
	;; [unrolled: 1-line block ×4, first 2 shown]
	s_lshl_b64 s[6:7], s[6:7], 1
	s_cmpk_lt_i32 s50, 0x6700
	v_add_co_u32 v5, vcc_lo, v1, s6
	s_cselect_b32 s10, s51, 0x1980
	v_add_co_ci_u32_e32 v6, vcc_lo, s7, v3, vcc_lo
	s_ashr_i32 s11, s10, 31
	s_delay_alu instid0(SALU_CYCLE_1)
	s_lshl_b64 s[10:11], s[10:11], 1
	s_cmpk_lt_i32 s50, 0x6800
	v_add_co_u32 v7, vcc_lo, v1, s10
	s_cselect_b32 s20, s51, 0x19c0
	v_add_co_ci_u32_e32 v8, vcc_lo, s11, v3, vcc_lo
	s_ashr_i32 s21, s20, 31
	s_delay_alu instid0(SALU_CYCLE_1)
	;; [unrolled: 7-line block ×3, first 2 shown]
	s_lshl_b64 s[30:31], s[20:21], 1
	s_cmpk_lt_i32 s50, 0x6a00
	v_add_co_u32 v11, vcc_lo, v1, s30
	s_cselect_b32 s20, s51, 0x1a40
	v_add_co_ci_u32_e32 v12, vcc_lo, s31, v3, vcc_lo
	s_ashr_i32 s21, s20, 31
	s_clause 0x3
	global_load_u16 v17, v[5:6], off
	global_load_u16 v18, v[7:8], off
	;; [unrolled: 1-line block ×4, first 2 shown]
	s_lshl_b64 s[20:21], s[20:21], 1
	s_cmpk_lt_i32 s50, 0x6b00
	v_add_co_u32 v5, vcc_lo, v1, s20
	s_cselect_b32 s26, s51, 0x1a80
	v_add_co_ci_u32_e32 v6, vcc_lo, s21, v3, vcc_lo
	s_ashr_i32 s27, s26, 31
	s_delay_alu instid0(SALU_CYCLE_1)
	s_lshl_b64 s[26:27], s[26:27], 1
	s_cmpk_lt_i32 s50, 0x6c00
	v_add_co_u32 v7, vcc_lo, v1, s26
	s_cselect_b32 s28, s51, 0x1ac0
	v_add_co_ci_u32_e32 v8, vcc_lo, s27, v3, vcc_lo
	s_ashr_i32 s29, s28, 31
	global_load_u16 v21, v[5:6], off
	s_lshl_b64 s[34:35], s[28:29], 1
	s_cmpk_lt_i32 s50, 0x6d00
	v_add_co_u32 v9, vcc_lo, v1, s34
	s_cselect_b32 s28, s51, 0x1b00
	v_add_co_ci_u32_e32 v10, vcc_lo, s35, v3, vcc_lo
	s_ashr_i32 s29, s28, 31
	s_delay_alu instid0(SALU_CYCLE_1)
	s_lshl_b64 s[38:39], s[28:29], 1
	s_cmpk_lt_i32 s50, 0x6e00
	v_add_co_u32 v11, vcc_lo, v1, s38
	s_cselect_b32 s28, s51, 0x1b40
	v_add_co_ci_u32_e32 v12, vcc_lo, s39, v3, vcc_lo
	s_ashr_i32 s29, s28, 31
	s_clause 0x2
	global_load_u16 v22, v[7:8], off
	global_load_u16 v23, v[9:10], off
	;; [unrolled: 1-line block ×3, first 2 shown]
	s_lshl_b64 s[28:29], s[28:29], 1
	s_cmpk_lt_i32 s50, 0x6f00
	v_add_co_u32 v5, vcc_lo, v1, s28
	s_cselect_b32 s36, s51, 0x1b80
	v_add_co_ci_u32_e32 v6, vcc_lo, s29, v3, vcc_lo
	s_ashr_i32 s37, s36, 31
	s_delay_alu instid0(SALU_CYCLE_1)
	s_lshl_b64 s[36:37], s[36:37], 1
	s_cmpk_lt_i32 s50, 0x7000
	v_add_co_u32 v7, vcc_lo, v1, s36
	s_cselect_b32 s40, s51, 0x1bc0
	v_add_co_ci_u32_e32 v8, vcc_lo, s37, v3, vcc_lo
	s_ashr_i32 s41, s40, 31
	global_load_u16 v25, v[5:6], off
	s_lshl_b64 s[40:41], s[40:41], 1
	global_load_u16 v26, v[7:8], off
	s_cmpk_lt_i32 s50, 0x7100
	v_add_co_u32 v9, vcc_lo, v1, s40
	s_cselect_b32 s42, s51, 0x1c00
	v_add_co_ci_u32_e32 v10, vcc_lo, s41, v3, vcc_lo
	s_ashr_i32 s43, s42, 31
	s_delay_alu instid0(SALU_CYCLE_1)
	s_lshl_b64 s[42:43], s[42:43], 1
	global_load_u16 v27, v[9:10], off
	s_cmpk_lt_i32 s50, 0x7200
	v_add_co_u32 v5, vcc_lo, v1, s42
	s_cselect_b32 s44, s51, 0x1c40
	v_add_co_ci_u32_e32 v6, vcc_lo, s43, v3, vcc_lo
	s_ashr_i32 s45, s44, 31
	s_delay_alu instid0(SALU_CYCLE_1)
	s_lshl_b64 s[44:45], s[44:45], 1
	s_cmpk_lt_i32 s50, 0x7300
	v_add_co_u32 v7, vcc_lo, v1, s44
	s_cselect_b32 s46, s51, 0x1c80
	v_add_co_ci_u32_e32 v8, vcc_lo, s45, v3, vcc_lo
	s_ashr_i32 s47, s46, 31
	global_load_u16 v28, v[5:6], off
	s_lshl_b64 s[46:47], s[46:47], 1
	global_load_u16 v29, v[7:8], off
	s_cmpk_lt_i32 s50, 0x7400
	v_add_co_u32 v9, vcc_lo, v1, s46
	s_cselect_b32 s48, s51, 0x1cc0
	v_add_co_ci_u32_e32 v10, vcc_lo, s47, v3, vcc_lo
	s_ashr_i32 s49, s48, 31
	s_delay_alu instid0(SALU_CYCLE_1)
	s_lshl_b64 s[48:49], s[48:49], 1
	s_cmpk_lt_i32 s50, 0x7500
	v_add_co_u32 v5, vcc_lo, v1, s48
	s_cselect_b32 s4, s51, 0x1d00
	v_add_co_ci_u32_e32 v6, vcc_lo, s49, v3, vcc_lo
	s_ashr_i32 s5, s4, 31
	global_load_u16 v30, v[9:10], off
	s_lshl_b64 s[4:5], s[4:5], 1
	s_cmpk_lt_i32 s50, 0x7600
	v_add_co_u32 v7, vcc_lo, v1, s4
	s_cselect_b32 s8, s51, 0x1d40
	v_add_co_ci_u32_e32 v8, vcc_lo, s5, v3, vcc_lo
	s_ashr_i32 s9, s8, 31
	global_load_u16 v31, v[5:6], off
	s_lshl_b64 s[6:7], s[8:9], 1
	global_load_u16 v32, v[7:8], off
	s_cmpk_lt_i32 s50, 0x7700
	v_add_co_u32 v5, vcc_lo, v1, s6
	s_cselect_b32 s8, s51, 0x1d80
	v_add_co_ci_u32_e32 v6, vcc_lo, s7, v3, vcc_lo
	s_ashr_i32 s9, s8, 31
	s_delay_alu instid0(SALU_CYCLE_1)
	s_lshl_b64 s[8:9], s[8:9], 1
	s_cmpk_lt_i32 s50, 0x7800
	v_add_co_u32 v7, vcc_lo, v1, s8
	s_cselect_b32 s10, s51, 0x1dc0
	v_add_co_ci_u32_e32 v8, vcc_lo, s9, v3, vcc_lo
	s_ashr_i32 s11, s10, 31
	global_load_u16 v33, v[5:6], off
	s_lshl_b64 s[10:11], s[10:11], 1
	global_load_u16 v34, v[7:8], off
	s_cmpk_lt_i32 s50, 0x7900
	v_add_co_u32 v5, vcc_lo, v1, s10
	s_cselect_b32 s18, s51, 0x1e00
	v_add_co_ci_u32_e32 v6, vcc_lo, s11, v3, vcc_lo
	s_ashr_i32 s19, s18, 31
	s_delay_alu instid0(SALU_CYCLE_1)
	;; [unrolled: 15-line block ×5, first 2 shown]
	s_lshl_b64 s[4:5], s[8:9], 1
	s_cmp_lt_i32 s50, 0x8000
	v_add_co_u32 v7, vcc_lo, v1, s4
	s_cselect_b32 s6, s51, 0x1fc0
	v_add_co_ci_u32_e32 v8, vcc_lo, s5, v3, vcc_lo
	s_ashr_i32 s7, s6, 31
	global_load_u16 v41, v[5:6], off
	s_lshl_b64 s[4:5], s[6:7], 1
	global_load_u16 v42, v[7:8], off
	v_add_co_u32 v5, vcc_lo, v1, s4
	v_add_co_ci_u32_e32 v6, vcc_lo, s5, v3, vcc_lo
	global_load_u16 v43, v[5:6], off
	ds_load_b128 v[5:8], v44 offset:384
	ds_load_b128 v[9:12], v44 offset:400
	s_waitcnt vmcnt(31)
	v_lshlrev_b32_e32 v2, 16, v2
	s_waitcnt lgkmcnt(1)
	s_delay_alu instid0(VALU_DEP_1) | instskip(SKIP_2) | instid1(VALU_DEP_1)
	v_fmac_f32_e32 v4, v5, v2
	s_waitcnt vmcnt(30)
	v_lshlrev_b32_e32 v2, 16, v13
	v_fmac_f32_e32 v4, v6, v2
	s_waitcnt vmcnt(29)
	v_lshlrev_b32_e32 v2, 16, v14
	s_delay_alu instid0(VALU_DEP_1) | instskip(SKIP_2) | instid1(VALU_DEP_1)
	v_fmac_f32_e32 v4, v7, v2
	s_waitcnt vmcnt(28)
	v_lshlrev_b32_e32 v2, 16, v15
	v_fmac_f32_e32 v4, v8, v2
	s_waitcnt vmcnt(27)
	v_lshlrev_b32_e32 v2, 16, v16
	ds_load_b128 v[5:8], v44 offset:416
	s_waitcnt lgkmcnt(1)
	v_fmac_f32_e32 v4, v9, v2
	s_waitcnt vmcnt(26)
	v_lshlrev_b32_e32 v2, 16, v17
	s_delay_alu instid0(VALU_DEP_1) | instskip(SKIP_2) | instid1(VALU_DEP_1)
	v_fmac_f32_e32 v4, v10, v2
	s_waitcnt vmcnt(25)
	v_lshlrev_b32_e32 v2, 16, v18
	v_fmac_f32_e32 v4, v11, v2
	s_waitcnt vmcnt(24)
	v_lshlrev_b32_e32 v2, 16, v19
	s_delay_alu instid0(VALU_DEP_1) | instskip(SKIP_4) | instid1(VALU_DEP_1)
	v_fmac_f32_e32 v4, v12, v2
	ds_load_b128 v[9:12], v44 offset:432
	s_waitcnt vmcnt(23)
	v_lshlrev_b32_e32 v2, 16, v20
	s_waitcnt lgkmcnt(1)
	v_fmac_f32_e32 v4, v5, v2
	s_waitcnt vmcnt(22)
	v_lshlrev_b32_e32 v2, 16, v21
	s_delay_alu instid0(VALU_DEP_1) | instskip(SKIP_2) | instid1(VALU_DEP_1)
	v_fmac_f32_e32 v4, v6, v2
	s_waitcnt vmcnt(21)
	v_lshlrev_b32_e32 v2, 16, v22
	v_fmac_f32_e32 v4, v7, v2
	s_waitcnt vmcnt(20)
	v_lshlrev_b32_e32 v2, 16, v23
	s_delay_alu instid0(VALU_DEP_1)
	v_fmac_f32_e32 v4, v8, v2
	s_waitcnt vmcnt(19)
	v_lshlrev_b32_e32 v2, 16, v24
	ds_load_b128 v[5:8], v44 offset:448
	s_waitcnt lgkmcnt(1)
	v_fmac_f32_e32 v4, v9, v2
	s_waitcnt vmcnt(18)
	v_lshlrev_b32_e32 v2, 16, v25
	s_delay_alu instid0(VALU_DEP_1) | instskip(SKIP_2) | instid1(VALU_DEP_1)
	v_fmac_f32_e32 v4, v10, v2
	s_waitcnt vmcnt(17)
	v_lshlrev_b32_e32 v2, 16, v26
	v_fmac_f32_e32 v4, v11, v2
	s_waitcnt vmcnt(16)
	v_lshlrev_b32_e32 v2, 16, v27
	s_delay_alu instid0(VALU_DEP_1) | instskip(SKIP_4) | instid1(VALU_DEP_1)
	v_fmac_f32_e32 v4, v12, v2
	ds_load_b128 v[9:12], v44 offset:464
	s_waitcnt vmcnt(15)
	v_lshlrev_b32_e32 v2, 16, v28
	s_waitcnt lgkmcnt(1)
	v_fmac_f32_e32 v4, v5, v2
	s_waitcnt vmcnt(14)
	v_lshlrev_b32_e32 v2, 16, v29
	s_delay_alu instid0(VALU_DEP_1) | instskip(SKIP_2) | instid1(VALU_DEP_1)
	v_fmac_f32_e32 v4, v6, v2
	s_waitcnt vmcnt(13)
	v_lshlrev_b32_e32 v2, 16, v30
	v_fmac_f32_e32 v4, v7, v2
	s_waitcnt vmcnt(12)
	v_lshlrev_b32_e32 v2, 16, v31
	s_delay_alu instid0(VALU_DEP_1)
	v_fmac_f32_e32 v4, v8, v2
	s_waitcnt vmcnt(11)
	v_lshlrev_b32_e32 v2, 16, v32
	ds_load_b128 v[5:8], v44 offset:480
	s_waitcnt lgkmcnt(1)
	v_fmac_f32_e32 v4, v9, v2
	s_waitcnt vmcnt(10)
	v_lshlrev_b32_e32 v2, 16, v33
	s_delay_alu instid0(VALU_DEP_1) | instskip(SKIP_2) | instid1(VALU_DEP_1)
	v_fmac_f32_e32 v4, v10, v2
	s_waitcnt vmcnt(9)
	v_lshlrev_b32_e32 v2, 16, v34
	v_fmac_f32_e32 v4, v11, v2
	s_waitcnt vmcnt(8)
	v_lshlrev_b32_e32 v2, 16, v35
	s_delay_alu instid0(VALU_DEP_1) | instskip(SKIP_4) | instid1(VALU_DEP_1)
	v_fmac_f32_e32 v4, v12, v2
	ds_load_b128 v[9:12], v44 offset:496
	s_waitcnt vmcnt(7)
	v_lshlrev_b32_e32 v2, 16, v36
	s_waitcnt lgkmcnt(1)
	v_fmac_f32_e32 v4, v5, v2
	s_waitcnt vmcnt(6)
	v_lshlrev_b32_e32 v2, 16, v37
	s_delay_alu instid0(VALU_DEP_1) | instskip(SKIP_2) | instid1(VALU_DEP_1)
	v_fmac_f32_e32 v4, v6, v2
	s_waitcnt vmcnt(5)
	v_lshlrev_b32_e32 v2, 16, v38
	v_fmac_f32_e32 v4, v7, v2
	s_waitcnt vmcnt(4)
	v_lshlrev_b32_e32 v2, 16, v39
	s_delay_alu instid0(VALU_DEP_1) | instskip(SKIP_3) | instid1(VALU_DEP_1)
	v_fmac_f32_e32 v4, v8, v2
	s_waitcnt vmcnt(3)
	v_lshlrev_b32_e32 v2, 16, v40
	s_waitcnt lgkmcnt(0)
	v_fmac_f32_e32 v4, v9, v2
	s_waitcnt vmcnt(2)
	v_lshlrev_b32_e32 v2, 16, v41
	s_delay_alu instid0(VALU_DEP_1) | instskip(SKIP_2) | instid1(VALU_DEP_1)
	v_fmac_f32_e32 v4, v10, v2
	s_waitcnt vmcnt(1)
	v_lshlrev_b32_e32 v2, 16, v42
	v_fmac_f32_e32 v4, v11, v2
	s_waitcnt vmcnt(0)
	v_lshlrev_b32_e32 v2, 16, v43
	s_delay_alu instid0(VALU_DEP_1)
	v_fmac_f32_e32 v4, v12, v2
	s_cmp_lt_i32 s50, 0x8100
	s_cbranch_scc1 .LBB406_16
.LBB406_28:
	s_cmp_lt_i32 s50, 0x8200
	v_add_co_u32 v5, vcc_lo, 0x4000, v1
	s_cselect_b32 s4, s51, 0x2040
	v_add_co_ci_u32_e32 v6, vcc_lo, 0, v3, vcc_lo
	s_ashr_i32 s5, s4, 31
	s_delay_alu instid0(SALU_CYCLE_1)
	s_lshl_b64 s[4:5], s[4:5], 1
	s_cmp_lt_i32 s50, 0x8300
	global_load_u16 v13, v[5:6], off
	s_cselect_b32 s6, s51, 0x2080
	v_add_co_u32 v5, vcc_lo, v1, s4
	s_ashr_i32 s7, s6, 31
	v_add_co_ci_u32_e32 v6, vcc_lo, s5, v3, vcc_lo
	s_lshl_b64 s[8:9], s[6:7], 1
	s_cmp_lt_i32 s50, 0x8400
	v_add_co_u32 v7, vcc_lo, v1, s8
	s_cselect_b32 s6, s51, 0x20c0
	v_add_co_ci_u32_e32 v8, vcc_lo, s9, v3, vcc_lo
	s_ashr_i32 s7, s6, 31
	s_delay_alu instid0(SALU_CYCLE_1)
	s_lshl_b64 s[18:19], s[6:7], 1
	s_cmp_lt_i32 s50, 0x8500
	v_add_co_u32 v9, vcc_lo, v1, s18
	s_cselect_b32 s6, s51, 0x2100
	v_add_co_ci_u32_e32 v10, vcc_lo, s19, v3, vcc_lo
	s_ashr_i32 s7, s6, 31
	s_delay_alu instid0(SALU_CYCLE_1)
	s_lshl_b64 s[24:25], s[6:7], 1
	s_cmp_lt_i32 s50, 0x8600
	v_add_co_u32 v11, vcc_lo, v1, s24
	s_cselect_b32 s6, s51, 0x2140
	v_add_co_ci_u32_e32 v12, vcc_lo, s25, v3, vcc_lo
	s_ashr_i32 s7, s6, 31
	s_clause 0x3
	global_load_u16 v14, v[5:6], off
	global_load_u16 v15, v[7:8], off
	;; [unrolled: 1-line block ×4, first 2 shown]
	s_lshl_b64 s[6:7], s[6:7], 1
	s_cmp_lt_i32 s50, 0x8700
	v_add_co_u32 v5, vcc_lo, v1, s6
	s_cselect_b32 s10, s51, 0x2180
	v_add_co_ci_u32_e32 v6, vcc_lo, s7, v3, vcc_lo
	s_ashr_i32 s11, s10, 31
	s_delay_alu instid0(SALU_CYCLE_1)
	s_lshl_b64 s[10:11], s[10:11], 1
	s_cmp_lt_i32 s50, 0x8800
	v_add_co_u32 v7, vcc_lo, v1, s10
	s_cselect_b32 s20, s51, 0x21c0
	v_add_co_ci_u32_e32 v8, vcc_lo, s11, v3, vcc_lo
	s_ashr_i32 s21, s20, 31
	s_delay_alu instid0(SALU_CYCLE_1)
	;; [unrolled: 7-line block ×3, first 2 shown]
	s_lshl_b64 s[30:31], s[20:21], 1
	s_cmp_lt_i32 s50, 0x8a00
	v_add_co_u32 v11, vcc_lo, v1, s30
	s_cselect_b32 s20, s51, 0x2240
	v_add_co_ci_u32_e32 v12, vcc_lo, s31, v3, vcc_lo
	s_ashr_i32 s21, s20, 31
	s_clause 0x3
	global_load_u16 v18, v[5:6], off
	global_load_u16 v19, v[7:8], off
	;; [unrolled: 1-line block ×4, first 2 shown]
	s_lshl_b64 s[20:21], s[20:21], 1
	s_cmp_lt_i32 s50, 0x8b00
	v_add_co_u32 v5, vcc_lo, v1, s20
	s_cselect_b32 s26, s51, 0x2280
	v_add_co_ci_u32_e32 v6, vcc_lo, s21, v3, vcc_lo
	s_ashr_i32 s27, s26, 31
	s_delay_alu instid0(SALU_CYCLE_1)
	s_lshl_b64 s[26:27], s[26:27], 1
	s_cmp_lt_i32 s50, 0x8c00
	v_add_co_u32 v7, vcc_lo, v1, s26
	s_cselect_b32 s28, s51, 0x22c0
	v_add_co_ci_u32_e32 v8, vcc_lo, s27, v3, vcc_lo
	s_ashr_i32 s29, s28, 31
	global_load_u16 v22, v[5:6], off
	s_lshl_b64 s[34:35], s[28:29], 1
	s_cmp_lt_i32 s50, 0x8d00
	v_add_co_u32 v9, vcc_lo, v1, s34
	s_cselect_b32 s28, s51, 0x2300
	v_add_co_ci_u32_e32 v10, vcc_lo, s35, v3, vcc_lo
	s_ashr_i32 s29, s28, 31
	s_delay_alu instid0(SALU_CYCLE_1)
	s_lshl_b64 s[38:39], s[28:29], 1
	s_cmp_lt_i32 s50, 0x8e00
	v_add_co_u32 v11, vcc_lo, v1, s38
	s_cselect_b32 s28, s51, 0x2340
	v_add_co_ci_u32_e32 v12, vcc_lo, s39, v3, vcc_lo
	s_ashr_i32 s29, s28, 31
	s_clause 0x2
	global_load_u16 v23, v[7:8], off
	global_load_u16 v24, v[9:10], off
	;; [unrolled: 1-line block ×3, first 2 shown]
	s_lshl_b64 s[28:29], s[28:29], 1
	s_cmp_lt_i32 s50, 0x8f00
	v_add_co_u32 v5, vcc_lo, v1, s28
	s_cselect_b32 s36, s51, 0x2380
	v_add_co_ci_u32_e32 v6, vcc_lo, s29, v3, vcc_lo
	s_ashr_i32 s37, s36, 31
	s_delay_alu instid0(SALU_CYCLE_1)
	s_lshl_b64 s[36:37], s[36:37], 1
	s_cmp_lt_i32 s50, 0x9000
	v_add_co_u32 v7, vcc_lo, v1, s36
	s_cselect_b32 s40, s51, 0x23c0
	v_add_co_ci_u32_e32 v8, vcc_lo, s37, v3, vcc_lo
	s_ashr_i32 s41, s40, 31
	global_load_u16 v26, v[5:6], off
	s_lshl_b64 s[40:41], s[40:41], 1
	global_load_u16 v27, v[7:8], off
	s_cmp_lt_i32 s50, 0x9100
	v_add_co_u32 v9, vcc_lo, v1, s40
	s_cselect_b32 s42, s51, 0x2400
	v_add_co_ci_u32_e32 v10, vcc_lo, s41, v3, vcc_lo
	s_ashr_i32 s43, s42, 31
	s_delay_alu instid0(SALU_CYCLE_1)
	s_lshl_b64 s[42:43], s[42:43], 1
	global_load_u16 v28, v[9:10], off
	s_cmp_lt_i32 s50, 0x9200
	v_add_co_u32 v5, vcc_lo, v1, s42
	s_cselect_b32 s44, s51, 0x2440
	v_add_co_ci_u32_e32 v6, vcc_lo, s43, v3, vcc_lo
	s_ashr_i32 s45, s44, 31
	s_delay_alu instid0(SALU_CYCLE_1)
	s_lshl_b64 s[44:45], s[44:45], 1
	s_cmp_lt_i32 s50, 0x9300
	v_add_co_u32 v7, vcc_lo, v1, s44
	s_cselect_b32 s46, s51, 0x2480
	v_add_co_ci_u32_e32 v8, vcc_lo, s45, v3, vcc_lo
	s_ashr_i32 s47, s46, 31
	global_load_u16 v29, v[5:6], off
	s_lshl_b64 s[46:47], s[46:47], 1
	global_load_u16 v30, v[7:8], off
	s_cmp_lt_i32 s50, 0x9400
	v_add_co_u32 v9, vcc_lo, v1, s46
	s_cselect_b32 s48, s51, 0x24c0
	v_add_co_ci_u32_e32 v10, vcc_lo, s47, v3, vcc_lo
	s_ashr_i32 s49, s48, 31
	s_delay_alu instid0(SALU_CYCLE_1)
	s_lshl_b64 s[48:49], s[48:49], 1
	global_load_u16 v31, v[9:10], off
	s_cmp_lt_i32 s50, 0x9500
	v_add_co_u32 v5, vcc_lo, v1, s48
	s_cselect_b32 s4, s51, 0x2500
	v_add_co_ci_u32_e32 v6, vcc_lo, s49, v3, vcc_lo
	s_ashr_i32 s5, s4, 31
	s_delay_alu instid0(SALU_CYCLE_1)
	s_lshl_b64 s[4:5], s[4:5], 1
	s_cmp_lt_i32 s50, 0x9600
	v_add_co_u32 v7, vcc_lo, v1, s4
	s_cselect_b32 s8, s51, 0x2540
	v_add_co_ci_u32_e32 v8, vcc_lo, s5, v3, vcc_lo
	s_ashr_i32 s9, s8, 31
	global_load_u16 v32, v[5:6], off
	s_lshl_b64 s[6:7], s[8:9], 1
	global_load_u16 v33, v[7:8], off
	s_cmp_lt_i32 s50, 0x9700
	v_add_co_u32 v5, vcc_lo, v1, s6
	s_cselect_b32 s8, s51, 0x2580
	v_add_co_ci_u32_e32 v6, vcc_lo, s7, v3, vcc_lo
	s_ashr_i32 s9, s8, 31
	s_delay_alu instid0(SALU_CYCLE_1)
	s_lshl_b64 s[8:9], s[8:9], 1
	s_cmp_lt_i32 s50, 0x9800
	v_add_co_u32 v7, vcc_lo, v1, s8
	s_cselect_b32 s10, s51, 0x25c0
	v_add_co_ci_u32_e32 v8, vcc_lo, s9, v3, vcc_lo
	s_ashr_i32 s11, s10, 31
	global_load_u16 v34, v[5:6], off
	;; [unrolled: 15-line block ×6, first 2 shown]
	s_lshl_b64 s[4:5], s[6:7], 1
	global_load_u16 v43, v[7:8], off
	v_add_co_u32 v1, vcc_lo, v1, s4
	v_add_co_ci_u32_e32 v2, vcc_lo, s5, v3, vcc_lo
	global_load_u16 v1, v[1:2], off
	s_waitcnt vmcnt(31)
	v_dual_mov_b32 v2, 0 :: v_dual_lshlrev_b32 v3, 16, v13
	ds_load_b128 v[5:8], v2 offset:512
	ds_load_b128 v[9:12], v2 offset:528
	s_waitcnt vmcnt(30) lgkmcnt(1)
	v_dual_fmac_f32 v4, v5, v3 :: v_dual_lshlrev_b32 v3, 16, v14
	s_delay_alu instid0(VALU_DEP_1) | instskip(SKIP_3) | instid1(VALU_DEP_1)
	v_fmac_f32_e32 v4, v6, v3
	s_waitcnt vmcnt(29)
	v_lshlrev_b32_e32 v3, 16, v15
	s_waitcnt vmcnt(28)
	v_dual_fmac_f32 v4, v7, v3 :: v_dual_lshlrev_b32 v3, 16, v16
	s_waitcnt vmcnt(27)
	s_delay_alu instid0(VALU_DEP_1) | instskip(SKIP_3) | instid1(VALU_DEP_1)
	v_dual_fmac_f32 v4, v8, v3 :: v_dual_lshlrev_b32 v3, 16, v17
	ds_load_b128 v[5:8], v2 offset:544
	s_waitcnt vmcnt(26) lgkmcnt(1)
	v_dual_fmac_f32 v4, v9, v3 :: v_dual_lshlrev_b32 v3, 16, v18
	v_fmac_f32_e32 v4, v10, v3
	s_waitcnt vmcnt(25)
	v_lshlrev_b32_e32 v3, 16, v19
	s_waitcnt vmcnt(24)
	s_delay_alu instid0(VALU_DEP_1) | instskip(SKIP_1) | instid1(VALU_DEP_1)
	v_dual_fmac_f32 v4, v11, v3 :: v_dual_lshlrev_b32 v3, 16, v20
	s_waitcnt vmcnt(23)
	v_dual_fmac_f32 v4, v12, v3 :: v_dual_lshlrev_b32 v3, 16, v21
	ds_load_b128 v[9:12], v2 offset:560
	s_waitcnt vmcnt(22) lgkmcnt(1)
	v_dual_fmac_f32 v4, v5, v3 :: v_dual_lshlrev_b32 v3, 16, v22
	s_delay_alu instid0(VALU_DEP_1) | instskip(SKIP_3) | instid1(VALU_DEP_1)
	v_fmac_f32_e32 v4, v6, v3
	s_waitcnt vmcnt(21)
	v_lshlrev_b32_e32 v3, 16, v23
	s_waitcnt vmcnt(20)
	v_dual_fmac_f32 v4, v7, v3 :: v_dual_lshlrev_b32 v3, 16, v24
	s_waitcnt vmcnt(19)
	s_delay_alu instid0(VALU_DEP_1) | instskip(SKIP_3) | instid1(VALU_DEP_1)
	v_dual_fmac_f32 v4, v8, v3 :: v_dual_lshlrev_b32 v3, 16, v25
	ds_load_b128 v[5:8], v2 offset:576
	s_waitcnt vmcnt(18) lgkmcnt(1)
	v_dual_fmac_f32 v4, v9, v3 :: v_dual_lshlrev_b32 v3, 16, v26
	v_fmac_f32_e32 v4, v10, v3
	s_waitcnt vmcnt(17)
	v_lshlrev_b32_e32 v3, 16, v27
	s_waitcnt vmcnt(16)
	s_delay_alu instid0(VALU_DEP_1) | instskip(NEXT) | instid1(VALU_DEP_1)
	v_dual_fmac_f32 v4, v11, v3 :: v_dual_lshlrev_b32 v3, 16, v28
	v_fmac_f32_e32 v4, v12, v3
	ds_load_b128 v[9:12], v2 offset:592
	s_waitcnt vmcnt(15)
	v_lshlrev_b32_e32 v3, 16, v29
	s_waitcnt vmcnt(14) lgkmcnt(1)
	s_delay_alu instid0(VALU_DEP_1) | instskip(NEXT) | instid1(VALU_DEP_1)
	v_dual_fmac_f32 v4, v5, v3 :: v_dual_lshlrev_b32 v3, 16, v30
	v_fmac_f32_e32 v4, v6, v3
	s_waitcnt vmcnt(13)
	v_lshlrev_b32_e32 v3, 16, v31
	s_waitcnt vmcnt(12)
	s_delay_alu instid0(VALU_DEP_1) | instskip(SKIP_1) | instid1(VALU_DEP_1)
	v_dual_fmac_f32 v4, v7, v3 :: v_dual_lshlrev_b32 v3, 16, v32
	s_waitcnt vmcnt(0)
	v_dual_fmac_f32 v4, v8, v3 :: v_dual_lshlrev_b32 v1, 16, v1
	v_lshlrev_b32_e32 v3, 16, v33
	ds_load_b128 v[5:8], v2 offset:608
	s_waitcnt lgkmcnt(1)
	v_dual_fmac_f32 v4, v9, v3 :: v_dual_lshlrev_b32 v3, 16, v34
	s_delay_alu instid0(VALU_DEP_1) | instskip(SKIP_1) | instid1(VALU_DEP_1)
	v_fmac_f32_e32 v4, v10, v3
	v_lshlrev_b32_e32 v3, 16, v35
	v_dual_fmac_f32 v4, v11, v3 :: v_dual_lshlrev_b32 v3, 16, v36
	s_delay_alu instid0(VALU_DEP_1) | instskip(SKIP_4) | instid1(VALU_DEP_1)
	v_dual_fmac_f32 v4, v12, v3 :: v_dual_lshlrev_b32 v3, 16, v37
	ds_load_b128 v[9:12], v2 offset:624
	v_lshlrev_b32_e32 v2, 16, v38
	s_waitcnt lgkmcnt(1)
	v_fmac_f32_e32 v4, v5, v3
	v_fmac_f32_e32 v4, v6, v2
	v_lshlrev_b32_e32 v2, 16, v39
	s_delay_alu instid0(VALU_DEP_1) | instskip(SKIP_1) | instid1(VALU_DEP_1)
	v_fmac_f32_e32 v4, v7, v2
	v_lshlrev_b32_e32 v2, 16, v40
	v_fmac_f32_e32 v4, v8, v2
	v_lshlrev_b32_e32 v2, 16, v41
	s_waitcnt lgkmcnt(0)
	s_delay_alu instid0(VALU_DEP_1) | instskip(SKIP_1) | instid1(VALU_DEP_1)
	v_fmac_f32_e32 v4, v9, v2
	v_lshlrev_b32_e32 v2, 16, v42
	v_fmac_f32_e32 v4, v10, v2
	v_lshlrev_b32_e32 v2, 16, v43
	s_delay_alu instid0(VALU_DEP_1) | instskip(NEXT) | instid1(VALU_DEP_1)
	v_fmac_f32_e32 v4, v11, v2
	v_dual_fmac_f32 v4, v12, v1 :: v_dual_mov_b32 v1, 0
	s_and_not1_b32 vcc_lo, exec_lo, s15
	ds_load_b32 v1, v1 offset:640
	s_cbranch_vccz .LBB406_17
	s_branch .LBB406_18
	.section	.rodata,"a",@progbits
	.p2align	6, 0x0
	.amdhsa_kernel _Z35paged_attention_ll4mi_reduce_kernelI14__hip_bfloat16hLi64ELi64ELi256ELi5EEvPT0_PKfS4_PKT_PKiS9_iS4_
		.amdhsa_group_segment_fixed_size 644
		.amdhsa_private_segment_fixed_size 0
		.amdhsa_kernarg_size 320
		.amdhsa_user_sgpr_count 14
		.amdhsa_user_sgpr_dispatch_ptr 0
		.amdhsa_user_sgpr_queue_ptr 0
		.amdhsa_user_sgpr_kernarg_segment_ptr 1
		.amdhsa_user_sgpr_dispatch_id 0
		.amdhsa_user_sgpr_private_segment_size 0
		.amdhsa_wavefront_size32 1
		.amdhsa_uses_dynamic_stack 0
		.amdhsa_enable_private_segment 0
		.amdhsa_system_sgpr_workgroup_id_x 1
		.amdhsa_system_sgpr_workgroup_id_y 1
		.amdhsa_system_sgpr_workgroup_id_z 0
		.amdhsa_system_sgpr_workgroup_info 0
		.amdhsa_system_vgpr_workitem_id 0
		.amdhsa_next_free_vgpr 52
		.amdhsa_next_free_sgpr 52
		.amdhsa_reserve_vcc 1
		.amdhsa_float_round_mode_32 0
		.amdhsa_float_round_mode_16_64 0
		.amdhsa_float_denorm_mode_32 3
		.amdhsa_float_denorm_mode_16_64 3
		.amdhsa_dx10_clamp 1
		.amdhsa_ieee_mode 1
		.amdhsa_fp16_overflow 0
		.amdhsa_workgroup_processor_mode 1
		.amdhsa_memory_ordered 1
		.amdhsa_forward_progress 0
		.amdhsa_shared_vgpr_count 0
		.amdhsa_exception_fp_ieee_invalid_op 0
		.amdhsa_exception_fp_denorm_src 0
		.amdhsa_exception_fp_ieee_div_zero 0
		.amdhsa_exception_fp_ieee_overflow 0
		.amdhsa_exception_fp_ieee_underflow 0
		.amdhsa_exception_fp_ieee_inexact 0
		.amdhsa_exception_int_div_zero 0
	.end_amdhsa_kernel
	.section	.text._Z35paged_attention_ll4mi_reduce_kernelI14__hip_bfloat16hLi64ELi64ELi256ELi5EEvPT0_PKfS4_PKT_PKiS9_iS4_,"axG",@progbits,_Z35paged_attention_ll4mi_reduce_kernelI14__hip_bfloat16hLi64ELi64ELi256ELi5EEvPT0_PKfS4_PKT_PKiS9_iS4_,comdat
.Lfunc_end406:
	.size	_Z35paged_attention_ll4mi_reduce_kernelI14__hip_bfloat16hLi64ELi64ELi256ELi5EEvPT0_PKfS4_PKT_PKiS9_iS4_, .Lfunc_end406-_Z35paged_attention_ll4mi_reduce_kernelI14__hip_bfloat16hLi64ELi64ELi256ELi5EEvPT0_PKfS4_PKT_PKiS9_iS4_
                                        ; -- End function
	.section	.AMDGPU.csdata,"",@progbits
; Kernel info:
; codeLenInByte = 11800
; NumSgprs: 54
; NumVgprs: 52
; ScratchSize: 0
; MemoryBound: 0
; FloatMode: 240
; IeeeMode: 1
; LDSByteSize: 644 bytes/workgroup (compile time only)
; SGPRBlocks: 6
; VGPRBlocks: 6
; NumSGPRsForWavesPerEU: 54
; NumVGPRsForWavesPerEU: 52
; Occupancy: 16
; WaveLimiterHint : 0
; COMPUTE_PGM_RSRC2:SCRATCH_EN: 0
; COMPUTE_PGM_RSRC2:USER_SGPR: 14
; COMPUTE_PGM_RSRC2:TRAP_HANDLER: 0
; COMPUTE_PGM_RSRC2:TGID_X_EN: 1
; COMPUTE_PGM_RSRC2:TGID_Y_EN: 1
; COMPUTE_PGM_RSRC2:TGID_Z_EN: 0
; COMPUTE_PGM_RSRC2:TIDIG_COMP_CNT: 0
	.section	.text._Z35paged_attention_ll4mi_reduce_kernelI14__hip_bfloat16hLi64ELi64ELi256ELi6EEvPT0_PKfS4_PKT_PKiS9_iS4_,"axG",@progbits,_Z35paged_attention_ll4mi_reduce_kernelI14__hip_bfloat16hLi64ELi64ELi256ELi6EEvPT0_PKfS4_PKT_PKiS9_iS4_,comdat
	.protected	_Z35paged_attention_ll4mi_reduce_kernelI14__hip_bfloat16hLi64ELi64ELi256ELi6EEvPT0_PKfS4_PKT_PKiS9_iS4_ ; -- Begin function _Z35paged_attention_ll4mi_reduce_kernelI14__hip_bfloat16hLi64ELi64ELi256ELi6EEvPT0_PKfS4_PKT_PKiS9_iS4_
	.globl	_Z35paged_attention_ll4mi_reduce_kernelI14__hip_bfloat16hLi64ELi64ELi256ELi6EEvPT0_PKfS4_PKT_PKiS9_iS4_
	.p2align	8
	.type	_Z35paged_attention_ll4mi_reduce_kernelI14__hip_bfloat16hLi64ELi64ELi256ELi6EEvPT0_PKfS4_PKT_PKiS9_iS4_,@function
_Z35paged_attention_ll4mi_reduce_kernelI14__hip_bfloat16hLi64ELi64ELi256ELi6EEvPT0_PKfS4_PKT_PKiS9_iS4_: ; @_Z35paged_attention_ll4mi_reduce_kernelI14__hip_bfloat16hLi64ELi64ELi256ELi6EEvPT0_PKfS4_PKT_PKiS9_iS4_
; %bb.0:
	s_load_b64 s[12:13], s[0:1], 0x28
	s_mov_b32 s2, s15
	s_waitcnt lgkmcnt(0)
	s_cmp_lg_u64 s[12:13], 0
	s_cselect_b32 s15, -1, 0
	s_delay_alu instid0(SALU_CYCLE_1)
	s_and_b32 vcc_lo, exec_lo, s15
	s_cbranch_vccz .LBB407_24
; %bb.1:
	s_add_i32 s4, s2, 1
	s_mov_b32 s5, 0
	s_delay_alu instid0(SALU_CYCLE_1) | instskip(SKIP_4) | instid1(SALU_CYCLE_1)
	s_lshl_b64 s[6:7], s[4:5], 2
	s_mov_b32 s3, s5
	s_add_u32 s6, s12, s6
	s_addc_u32 s7, s13, s7
	s_lshl_b64 s[8:9], s[2:3], 2
	s_add_u32 s8, s12, s8
	s_addc_u32 s9, s13, s9
	s_clause 0x1
	s_load_b32 s4, s[6:7], 0x0
	s_load_b32 s6, s[8:9], 0x0
	s_waitcnt lgkmcnt(0)
	s_sub_i32 s4, s4, s6
	s_delay_alu instid0(SALU_CYCLE_1)
	s_cmp_eq_u32 s4, 1
	s_cselect_b32 s4, -1, 0
	s_cbranch_execnz .LBB407_3
.LBB407_2:
	s_mov_b32 s3, 0
	s_mov_b32 s4, -1
.LBB407_3:
	s_delay_alu instid0(SALU_CYCLE_1)
	s_and_not1_b32 vcc_lo, exec_lo, s4
	s_cbranch_vccz .LBB407_5
; %bb.4:
	s_endpgm
.LBB407_5:
	s_clause 0x1
	s_load_b128 s[4:7], s[0:1], 0x18
	s_load_b32 s9, s[0:1], 0x30
	s_lshl_b64 s[16:17], s[2:3], 2
	s_waitcnt lgkmcnt(0)
	s_add_u32 s6, s6, s16
	s_addc_u32 s7, s7, s17
	s_load_b32 s23, s[6:7], 0x0
	s_load_b32 s33, s[0:1], 0x40
	s_mul_i32 s7, s2, s9
	s_waitcnt lgkmcnt(0)
	s_add_i32 s22, s23, 0xff
	s_delay_alu instid0(SALU_CYCLE_1) | instskip(NEXT) | instid1(SALU_CYCLE_1)
	s_ashr_i32 s6, s22, 31
	s_lshr_b32 s6, s6, 24
	s_delay_alu instid0(SALU_CYCLE_1) | instskip(SKIP_4) | instid1(SALU_CYCLE_1)
	s_add_i32 s8, s22, s6
	s_mul_i32 s6, s14, s9
	s_mov_b32 s9, exec_lo
	v_cmpx_lt_u32_e32 31, v0
	s_xor_b32 s9, exec_lo, s9
	s_or_saveexec_b32 s24, s9
	v_mov_b32_e32 v1, s6
	s_ashr_i32 s40, s8, 8
	s_mul_i32 s18, s7, s33
	s_xor_b32 exec_lo, exec_lo, s24
	s_cbranch_execz .LBB407_9
; %bb.6:
	s_load_b128 s[8:11], s[0:1], 0x8
	v_or_b32_e32 v2, 32, v0
	v_cmp_gt_i32_e32 vcc_lo, s40, v0
	s_add_i32 s25, s40, -1
	v_or_b32_e32 v4, 64, v0
	v_or_b32_e32 v6, 0x60, v0
	;; [unrolled: 1-line block ×3, first 2 shown]
	v_cndmask_b32_e32 v1, s25, v0, vcc_lo
	v_cmp_gt_i32_e32 vcc_lo, s40, v2
	s_mov_b32 s19, 0
	v_or_b32_e32 v14, 0xa0, v0
	s_lshl_b64 s[20:21], s[18:19], 2
	s_mov_b32 s7, s19
	v_cndmask_b32_e32 v3, s25, v2, vcc_lo
	v_cmp_gt_i32_e32 vcc_lo, s40, v4
	v_ashrrev_i32_e32 v2, 31, v1
	v_cndmask_b32_e32 v5, s25, v4, vcc_lo
	v_cmp_gt_i32_e32 vcc_lo, s40, v6
	v_ashrrev_i32_e32 v4, 31, v3
	s_delay_alu instid0(VALU_DEP_4)
	v_lshlrev_b64 v[1:2], 2, v[1:2]
	s_waitcnt lgkmcnt(0)
	s_add_u32 s19, s10, s20
	s_addc_u32 s26, s11, s21
	v_cndmask_b32_e32 v7, s25, v6, vcc_lo
	v_cmp_gt_i32_e32 vcc_lo, s40, v8
	s_lshl_b64 s[10:11], s[6:7], 2
	v_lshlrev_b64 v[3:4], 2, v[3:4]
	s_add_u32 s7, s19, s10
	s_addc_u32 s19, s26, s11
	v_cndmask_b32_e32 v9, s25, v8, vcc_lo
	v_add_co_u32 v10, vcc_lo, s7, v1
	v_add_co_ci_u32_e32 v11, vcc_lo, s19, v2, vcc_lo
	v_add_co_u32 v12, vcc_lo, s7, v3
	v_add_co_ci_u32_e32 v13, vcc_lo, s19, v4, vcc_lo
	v_cmp_gt_i32_e32 vcc_lo, s40, v14
	v_ashrrev_i32_e32 v6, 31, v5
	v_ashrrev_i32_e32 v8, 31, v7
	s_clause 0x1
	global_load_b32 v22, v[10:11], off
	global_load_b32 v23, v[12:13], off
	v_ashrrev_i32_e32 v10, 31, v9
	v_cndmask_b32_e32 v14, s25, v14, vcc_lo
	v_lshlrev_b64 v[5:6], 2, v[5:6]
	v_lshlrev_b64 v[7:8], 2, v[7:8]
	s_delay_alu instid0(VALU_DEP_4) | instskip(NEXT) | instid1(VALU_DEP_4)
	v_lshlrev_b64 v[9:10], 2, v[9:10]
	v_ashrrev_i32_e32 v15, 31, v14
	s_delay_alu instid0(VALU_DEP_4) | instskip(SKIP_2) | instid1(VALU_DEP_4)
	v_add_co_u32 v11, vcc_lo, s7, v5
	v_add_co_ci_u32_e32 v12, vcc_lo, s19, v6, vcc_lo
	v_add_co_u32 v16, vcc_lo, s7, v7
	v_lshlrev_b64 v[13:14], 2, v[14:15]
	v_add_co_ci_u32_e32 v17, vcc_lo, s19, v8, vcc_lo
	v_add_co_u32 v18, vcc_lo, s7, v9
	v_add_co_ci_u32_e32 v19, vcc_lo, s19, v10, vcc_lo
	s_delay_alu instid0(VALU_DEP_4)
	v_add_co_u32 v20, vcc_lo, s7, v13
	v_add_co_ci_u32_e32 v21, vcc_lo, s19, v14, vcc_lo
	s_clause 0x3
	global_load_b32 v11, v[11:12], off
	global_load_b32 v12, v[16:17], off
	;; [unrolled: 1-line block ×4, first 2 shown]
	s_add_u32 s7, s8, s20
	s_addc_u32 s8, s9, s21
	s_add_u32 s7, s7, s10
	s_addc_u32 s8, s8, s11
	v_add_co_u32 v1, vcc_lo, s7, v1
	v_add_co_ci_u32_e32 v2, vcc_lo, s8, v2, vcc_lo
	v_add_co_u32 v3, vcc_lo, s7, v3
	v_add_co_ci_u32_e32 v4, vcc_lo, s8, v4, vcc_lo
	;; [unrolled: 2-line block ×4, first 2 shown]
	s_clause 0x3
	global_load_b32 v17, v[1:2], off
	global_load_b32 v3, v[3:4], off
	;; [unrolled: 1-line block ×4, first 2 shown]
	v_add_co_u32 v1, vcc_lo, s7, v9
	v_add_co_ci_u32_e32 v2, vcc_lo, s8, v10, vcc_lo
	global_load_b32 v6, v[1:2], off
	v_add_co_u32 v1, vcc_lo, s7, v13
	v_add_co_ci_u32_e32 v2, vcc_lo, s8, v14, vcc_lo
	s_mov_b32 s7, exec_lo
	global_load_b32 v7, v[1:2], off
	v_mbcnt_lo_u32_b32 v1, -1, 0
	s_delay_alu instid0(VALU_DEP_1)
	v_xor_b32_e32 v9, 16, v1
	v_xor_b32_e32 v10, 8, v1
	;; [unrolled: 1-line block ×5, first 2 shown]
	v_cmp_gt_i32_e32 vcc_lo, 32, v9
	s_waitcnt vmcnt(11)
	v_max_f32_e32 v8, v22, v22
	s_waitcnt vmcnt(10)
	v_max_f32_e32 v2, v23, v23
	s_delay_alu instid0(VALU_DEP_1) | instskip(SKIP_2) | instid1(VALU_DEP_2)
	v_max_f32_e32 v2, v8, v2
	v_cndmask_b32_e32 v8, v1, v9, vcc_lo
	v_cmp_gt_i32_e32 vcc_lo, 32, v10
	v_lshlrev_b32_e32 v8, 2, v8
	v_cndmask_b32_e32 v10, v1, v10, vcc_lo
	v_cmp_gt_i32_e32 vcc_lo, 32, v13
	v_cndmask_b32_e32 v13, v1, v13, vcc_lo
	v_cmp_gt_i32_e32 vcc_lo, 32, v14
	s_waitcnt vmcnt(8)
	v_max3_f32 v2, v2, v11, v12
	v_cndmask_b32_e32 v14, v1, v14, vcc_lo
	v_cmp_gt_i32_e32 vcc_lo, 32, v18
	s_waitcnt vmcnt(6)
	s_delay_alu instid0(VALU_DEP_3) | instskip(NEXT) | instid1(VALU_DEP_3)
	v_max3_f32 v2, v2, v15, v16
	v_lshlrev_b32_e32 v14, 2, v14
	v_lshlrev_b32_e32 v13, 2, v13
	;; [unrolled: 1-line block ×3, first 2 shown]
	v_cndmask_b32_e32 v1, v1, v18, vcc_lo
	ds_bpermute_b32 v9, v8, v2
	v_lshlrev_b32_e32 v18, 2, v1
	s_waitcnt lgkmcnt(0)
	v_max_f32_e32 v9, v9, v9
	s_delay_alu instid0(VALU_DEP_1) | instskip(SKIP_3) | instid1(VALU_DEP_1)
	v_max_f32_e32 v2, v2, v9
	ds_bpermute_b32 v9, v10, v2
	s_waitcnt lgkmcnt(0)
	v_max_f32_e32 v9, v9, v9
	v_max_f32_e32 v2, v2, v9
	ds_bpermute_b32 v9, v13, v2
	s_waitcnt lgkmcnt(0)
	v_max_f32_e32 v9, v9, v9
	s_delay_alu instid0(VALU_DEP_1) | instskip(SKIP_3) | instid1(VALU_DEP_1)
	v_max_f32_e32 v2, v2, v9
	ds_bpermute_b32 v9, v14, v2
	s_waitcnt lgkmcnt(0)
	v_max_f32_e32 v9, v9, v9
	v_max_f32_e32 v1, v2, v9
	ds_bpermute_b32 v2, v18, v1
	s_waitcnt lgkmcnt(0)
	v_max_f32_e32 v2, v2, v2
	s_delay_alu instid0(VALU_DEP_1) | instskip(SKIP_1) | instid1(VALU_DEP_2)
	v_max_f32_e32 v1, v1, v2
	v_sub_nc_u32_e32 v2, s40, v0
	v_sub_f32_e32 v19, v23, v1
	v_sub_f32_e32 v12, v12, v1
	;; [unrolled: 1-line block ×3, first 2 shown]
	s_delay_alu instid0(VALU_DEP_2) | instskip(NEXT) | instid1(VALU_DEP_2)
	v_dual_sub_f32 v11, v11, v1 :: v_dual_mul_f32 v22, 0x3fb8aa3b, v12
	v_cmp_ngt_f32_e32 vcc_lo, 0xc2ce8ed0, v9
	s_delay_alu instid0(VALU_DEP_2) | instskip(SKIP_3) | instid1(VALU_DEP_1)
	v_rndne_f32_e32 v32, v22
	v_sub_f32_e32 v15, v15, v1
	v_sub_f32_e32 v1, v16, v1
	v_mul_f32_e32 v16, 0x3fb8aa3b, v9
	v_rndne_f32_e32 v26, v16
	v_fma_f32 v25, 0x3fb8aa3b, v9, -v16
	s_delay_alu instid0(VALU_DEP_2) | instskip(SKIP_2) | instid1(VALU_DEP_2)
	v_sub_f32_e32 v16, v16, v26
	v_mul_f32_e32 v20, 0x3fb8aa3b, v19
	v_cvt_i32_f32_e32 v26, v26
	v_fma_f32 v27, 0x3fb8aa3b, v19, -v20
	v_rndne_f32_e32 v28, v20
	s_delay_alu instid0(VALU_DEP_2) | instskip(SKIP_1) | instid1(VALU_DEP_3)
	v_fmac_f32_e32 v27, 0x32a5705f, v19
	v_fma_f32 v31, 0x3fb8aa3b, v12, -v22
	v_sub_f32_e32 v20, v20, v28
	v_dual_sub_f32 v22, v22, v32 :: v_dual_mul_f32 v23, 0x3fb8aa3b, v15
	v_mul_f32_e32 v21, 0x3fb8aa3b, v11
	s_delay_alu instid0(VALU_DEP_3) | instskip(SKIP_1) | instid1(VALU_DEP_4)
	v_dual_fmac_f32 v31, 0x32a5705f, v12 :: v_dual_add_f32 v20, v20, v27
	v_cvt_i32_f32_e32 v28, v28
	v_rndne_f32_e32 v34, v23
	s_delay_alu instid0(VALU_DEP_4) | instskip(NEXT) | instid1(VALU_DEP_4)
	v_fma_f32 v29, 0x3fb8aa3b, v11, -v21
	v_add_f32_e32 v22, v22, v31
	v_mul_f32_e32 v24, 0x3fb8aa3b, v1
	v_fma_f32 v33, 0x3fb8aa3b, v15, -v23
	v_sub_f32_e32 v23, v23, v34
	v_exp_f32_e32 v20, v20
	v_rndne_f32_e32 v30, v21
	v_rndne_f32_e32 v36, v24
	v_fmac_f32_e32 v25, 0x32a5705f, v9
	v_fma_f32 v35, 0x3fb8aa3b, v1, -v24
	v_exp_f32_e32 v22, v22
	s_delay_alu instid0(VALU_DEP_3) | instskip(NEXT) | instid1(VALU_DEP_3)
	v_dual_sub_f32 v21, v21, v30 :: v_dual_sub_f32 v24, v24, v36
	v_dual_fmac_f32 v29, 0x32a5705f, v11 :: v_dual_add_f32 v16, v16, v25
	s_delay_alu instid0(TRANS32_DEP_2)
	v_ldexp_f32 v20, v20, v28
	v_cvt_i32_f32_e32 v25, v30
	v_cvt_i32_f32_e32 v27, v32
	v_cvt_i32_f32_e32 v30, v36
	v_exp_f32_e32 v16, v16
	s_delay_alu instid0(TRANS32_DEP_2) | instid1(VALU_DEP_2)
	v_ldexp_f32 v22, v22, v27
	s_waitcnt_depctr 0xfff
	v_ldexp_f32 v16, v16, v26
	s_delay_alu instid0(VALU_DEP_1) | instskip(SKIP_2) | instid1(VALU_DEP_1)
	v_dual_fmac_f32 v33, 0x32a5705f, v15 :: v_dual_cndmask_b32 v16, 0, v16
	v_cmp_ngt_f32_e32 vcc_lo, 0xc2ce8ed0, v19
	v_dual_fmac_f32 v35, 0x32a5705f, v1 :: v_dual_cndmask_b32 v20, 0, v20
	v_dual_add_f32 v21, v21, v29 :: v_dual_add_f32 v24, v24, v35
	v_cmp_ngt_f32_e32 vcc_lo, 0xc2ce8ed0, v11
	v_cvt_i32_f32_e32 v29, v34
	s_delay_alu instid0(VALU_DEP_3) | instskip(NEXT) | instid1(VALU_DEP_3)
	v_exp_f32_e32 v21, v21
	v_exp_f32_e32 v24, v24
	s_waitcnt_depctr 0xfff
	v_ldexp_f32 v21, v21, v25
	s_delay_alu instid0(VALU_DEP_1) | instskip(SKIP_2) | instid1(VALU_DEP_1)
	v_cndmask_b32_e32 v21, 0, v21, vcc_lo
	v_cmp_ngt_f32_e32 vcc_lo, 0xc2ce8ed0, v12
	v_dual_add_f32 v23, v23, v33 :: v_dual_cndmask_b32 v22, 0, v22
	v_exp_f32_e32 v23, v23
	v_cmp_ngt_f32_e32 vcc_lo, 0xc2ce8ed0, v15
	s_waitcnt_depctr 0xfff
	v_ldexp_f32 v23, v23, v29
	s_delay_alu instid0(VALU_DEP_1)
	v_cndmask_b32_e32 v23, 0, v23, vcc_lo
	v_cmp_nlt_f32_e32 vcc_lo, 0x42b17218, v9
	v_cndmask_b32_e32 v9, 0x7f800000, v16, vcc_lo
	v_cmp_nlt_f32_e32 vcc_lo, 0x42b17218, v19
	;; [unrolled: 2-line block ×4, first 2 shown]
	v_cndmask_b32_e32 v12, 0x7f800000, v22, vcc_lo
	v_cmp_lt_i32_e32 vcc_lo, 0, v2
	v_cndmask_b32_e32 v9, 0, v9, vcc_lo
	v_cmp_lt_i32_e32 vcc_lo, 32, v2
	s_waitcnt vmcnt(5)
	s_delay_alu instid0(VALU_DEP_2) | instskip(SKIP_2) | instid1(VALU_DEP_2)
	v_dual_mul_f32 v9, v17, v9 :: v_dual_cndmask_b32 v16, 0, v16
	v_cmp_lt_i32_e32 vcc_lo, 64, v2
	s_waitcnt vmcnt(4)
	v_mul_f32_e32 v3, v3, v16
	v_cndmask_b32_e32 v11, 0, v11, vcc_lo
	v_cmp_lt_i32_e32 vcc_lo, 0x60, v2
	s_waitcnt vmcnt(3)
	s_delay_alu instid0(VALU_DEP_2)
	v_mul_f32_e32 v4, v4, v11
	v_cndmask_b32_e32 v12, 0, v12, vcc_lo
	v_cmp_nlt_f32_e32 vcc_lo, 0x42b17218, v15
	v_add_f32_e32 v15, v9, v3
	v_cndmask_b32_e32 v11, 0x7f800000, v23, vcc_lo
	v_cmp_lt_i32_e32 vcc_lo, 0x80, v2
	s_delay_alu instid0(VALU_DEP_3) | instskip(NEXT) | instid1(VALU_DEP_3)
	v_add_f32_e32 v15, v15, v4
	v_cndmask_b32_e32 v11, 0, v11, vcc_lo
	s_waitcnt vmcnt(2)
	v_mul_f32_e32 v5, v5, v12
	v_ldexp_f32 v12, v24, v30
	v_cmp_ngt_f32_e32 vcc_lo, 0xc2ce8ed0, v1
	s_waitcnt vmcnt(1)
	s_delay_alu instid0(VALU_DEP_3) | instskip(NEXT) | instid1(VALU_DEP_3)
	v_dual_mul_f32 v6, v6, v11 :: v_dual_add_f32 v11, v15, v5
	v_cndmask_b32_e32 v12, 0, v12, vcc_lo
	v_cmp_nlt_f32_e32 vcc_lo, 0x42b17218, v1
	s_delay_alu instid0(VALU_DEP_2) | instskip(SKIP_1) | instid1(VALU_DEP_2)
	v_cndmask_b32_e32 v1, 0x7f800000, v12, vcc_lo
	v_cmp_lt_i32_e32 vcc_lo, 0xa0, v2
	v_dual_cndmask_b32 v12, 0, v1 :: v_dual_add_f32 v1, v11, v6
	s_waitcnt vmcnt(0)
	s_delay_alu instid0(VALU_DEP_1)
	v_fmac_f32_e32 v1, v7, v12
	v_mul_f32_e32 v7, v7, v12
	ds_bpermute_b32 v2, v8, v1
	v_lshlrev_b32_e32 v8, 2, v0
	ds_store_2addr_b32 v8, v9, v3 offset1:32
	ds_store_2addr_b32 v8, v4, v5 offset0:64 offset1:96
	ds_store_2addr_b32 v8, v6, v7 offset0:128 offset1:160
	s_waitcnt lgkmcnt(3)
	v_add_f32_e32 v1, v1, v2
	ds_bpermute_b32 v2, v10, v1
	s_waitcnt lgkmcnt(0)
	v_add_f32_e32 v1, v1, v2
	ds_bpermute_b32 v2, v13, v1
	;; [unrolled: 3-line block ×4, first 2 shown]
	v_cmpx_eq_u32_e32 0, v0
	s_cbranch_execz .LBB407_8
; %bb.7:
	s_waitcnt lgkmcnt(0)
	v_dual_add_f32 v1, v1, v2 :: v_dual_mov_b32 v2, 0
	ds_store_b32 v2, v1 offset:768
.LBB407_8:
	s_or_b32 exec_lo, exec_lo, s7
	v_mov_b32_e32 v1, s6
.LBB407_9:
	s_or_b32 exec_lo, exec_lo, s24
	s_lshl_b32 s6, s18, 6
	s_mov_b32 s7, 0
	s_waitcnt lgkmcnt(0)
	v_dual_mov_b32 v2, 0 :: v_dual_lshlrev_b32 v1, 6, v1
	s_lshl_b64 s[6:7], s[6:7], 1
	v_dual_mov_b32 v31, 0 :: v_dual_mov_b32 v32, 0
	s_add_u32 s34, s4, s6
	s_addc_u32 s35, s5, s7
	s_lshl_b32 s41, s40, 6
	v_lshlrev_b64 v[3:4], 1, v[1:2]
	s_sub_i32 s42, s41, 64
	s_cmpk_lt_i32 s22, 0x100
	v_lshlrev_b32_e32 v1, 1, v0
	s_cselect_b32 s4, s42, 0
	v_dual_mov_b32 v33, 0 :: v_dual_mov_b32 v34, 0
	s_ashr_i32 s5, s4, 31
	v_add_co_u32 v3, vcc_lo, s34, v3
	s_lshl_b64 s[4:5], s[4:5], 1
	s_cmpk_lt_i32 s22, 0x200
	v_add_co_ci_u32_e32 v4, vcc_lo, s35, v4, vcc_lo
	s_cselect_b32 s6, s42, 64
	v_add_co_u32 v1, vcc_lo, v3, v1
	s_ashr_i32 s7, s6, 31
	s_delay_alu instid0(VALU_DEP_2)
	v_add_co_ci_u32_e32 v3, vcc_lo, 0, v4, vcc_lo
	s_lshl_b64 s[6:7], s[6:7], 1
	s_cmpk_lt_i32 s22, 0x300
	v_add_co_u32 v4, vcc_lo, v1, s4
	s_cselect_b32 s8, s42, 0x80
	v_add_co_ci_u32_e32 v5, vcc_lo, s5, v3, vcc_lo
	s_ashr_i32 s9, s8, 31
	v_add_co_u32 v6, vcc_lo, v1, s6
	s_lshl_b64 s[8:9], s[8:9], 1
	s_cmpk_lt_i32 s22, 0x400
	v_add_co_ci_u32_e32 v7, vcc_lo, s7, v3, vcc_lo
	s_cselect_b32 s10, s42, 0xc0
	v_add_co_u32 v8, vcc_lo, v1, s8
	s_ashr_i32 s11, s10, 31
	v_add_co_ci_u32_e32 v9, vcc_lo, s9, v3, vcc_lo
	s_lshl_b64 s[10:11], s[10:11], 1
	s_cmpk_lt_i32 s22, 0x500
	v_add_co_u32 v11, vcc_lo, v1, s10
	s_cselect_b32 s18, s42, 0x100
	v_add_co_ci_u32_e32 v12, vcc_lo, s11, v3, vcc_lo
	s_ashr_i32 s19, s18, 31
	v_mov_b32_e32 v35, 0
	s_lshl_b64 s[18:19], s[18:19], 1
	s_cmpk_lt_i32 s22, 0x600
	v_add_co_u32 v14, vcc_lo, v1, s18
	s_cselect_b32 s20, s42, 0x140
	v_add_co_ci_u32_e32 v15, vcc_lo, s19, v3, vcc_lo
	s_ashr_i32 s21, s20, 31
	v_mov_b32_e32 v30, 0
	s_lshl_b64 s[20:21], s[20:21], 1
	s_cmpk_lt_i32 s22, 0x700
	v_add_co_u32 v16, vcc_lo, v1, s20
	s_cselect_b32 s24, s42, 0x180
	v_add_co_ci_u32_e32 v17, vcc_lo, s21, v3, vcc_lo
	s_ashr_i32 s25, s24, 31
	s_delay_alu instid0(SALU_CYCLE_1)
	s_lshl_b64 s[24:25], s[24:25], 1
	s_cmpk_lt_i32 s22, 0x800
	v_add_co_u32 v18, vcc_lo, v1, s24
	s_cselect_b32 s26, s42, 0x1c0
	v_add_co_ci_u32_e32 v19, vcc_lo, s25, v3, vcc_lo
	s_ashr_i32 s27, s26, 31
	s_delay_alu instid0(SALU_CYCLE_1)
	s_lshl_b64 s[26:27], s[26:27], 1
	s_cmpk_lt_i32 s22, 0x900
	v_add_co_u32 v20, vcc_lo, v1, s26
	s_cselect_b32 s28, s42, 0x200
	v_add_co_ci_u32_e32 v21, vcc_lo, s27, v3, vcc_lo
	s_ashr_i32 s29, s28, 31
	s_clause 0x7
	global_load_u16 v13, v[4:5], off
	global_load_u16 v4, v[6:7], off
	;; [unrolled: 1-line block ×8, first 2 shown]
	s_lshl_b64 s[28:29], s[28:29], 1
	s_cmpk_lt_i32 s22, 0xa00
	v_add_co_u32 v11, vcc_lo, v1, s28
	s_cselect_b32 s30, s42, 0x240
	v_add_co_ci_u32_e32 v12, vcc_lo, s29, v3, vcc_lo
	s_ashr_i32 s31, s30, 31
	s_delay_alu instid0(SALU_CYCLE_1)
	s_lshl_b64 s[30:31], s[30:31], 1
	s_cmpk_lt_i32 s22, 0xb00
	v_add_co_u32 v14, vcc_lo, v1, s30
	s_cselect_b32 s34, s42, 0x280
	v_add_co_ci_u32_e32 v15, vcc_lo, s31, v3, vcc_lo
	s_ashr_i32 s35, s34, 31
	s_delay_alu instid0(SALU_CYCLE_1)
	;; [unrolled: 7-line block ×7, first 2 shown]
	s_lshl_b64 s[4:5], s[6:7], 1
	s_cmpk_gt_i32 s23, 0x1000
	v_add_co_u32 v28, vcc_lo, v1, s4
	v_add_co_ci_u32_e32 v29, vcc_lo, s5, v3, vcc_lo
	s_clause 0x7
	global_load_u16 v19, v[11:12], off
	global_load_u16 v18, v[14:15], off
	;; [unrolled: 1-line block ×8, first 2 shown]
	v_dual_mov_b32 v20, 0 :: v_dual_mov_b32 v21, 0
	v_dual_mov_b32 v22, 0 :: v_dual_mov_b32 v23, 0
	;; [unrolled: 1-line block ×5, first 2 shown]
	s_cselect_b32 s6, -1, 0
	s_cmpk_lt_i32 s23, 0x1001
	s_waitcnt vmcnt(0)
	s_barrier
	buffer_gl0_inv
	s_cbranch_scc1 .LBB407_11
; %bb.10:
	s_cmpk_lt_i32 s22, 0x1100
	s_cselect_b32 s4, s42, 0x400
	s_delay_alu instid0(SALU_CYCLE_1) | instskip(NEXT) | instid1(SALU_CYCLE_1)
	s_ashr_i32 s5, s4, 31
	s_lshl_b64 s[4:5], s[4:5], 1
	s_cmpk_lt_i32 s22, 0x1200
	v_add_co_u32 v20, vcc_lo, v1, s4
	s_cselect_b32 s8, s42, 0x440
	v_add_co_ci_u32_e32 v21, vcc_lo, s5, v3, vcc_lo
	s_ashr_i32 s9, s8, 31
	s_delay_alu instid0(SALU_CYCLE_1)
	s_lshl_b64 s[8:9], s[8:9], 1
	s_cmpk_lt_i32 s22, 0x1300
	v_add_co_u32 v22, vcc_lo, v1, s8
	s_cselect_b32 s10, s42, 0x480
	v_add_co_ci_u32_e32 v23, vcc_lo, s9, v3, vcc_lo
	s_ashr_i32 s11, s10, 31
	s_delay_alu instid0(SALU_CYCLE_1)
	;; [unrolled: 7-line block ×14, first 2 shown]
	s_lshl_b64 s[4:5], s[18:19], 1
	s_cmpk_lt_i32 s22, 0x2000
	v_add_co_u32 v48, vcc_lo, v1, s4
	s_cselect_b32 s8, s42, 0x7c0
	v_add_co_ci_u32_e32 v49, vcc_lo, s5, v3, vcc_lo
	s_ashr_i32 s9, s8, 31
	s_delay_alu instid0(SALU_CYCLE_1) | instskip(NEXT) | instid1(SALU_CYCLE_1)
	s_lshl_b64 s[4:5], s[8:9], 1
	v_add_co_u32 v50, vcc_lo, v1, s4
	v_add_co_ci_u32_e32 v51, vcc_lo, s5, v3, vcc_lo
	s_clause 0xf
	global_load_u16 v20, v[20:21], off
	global_load_u16 v21, v[22:23], off
	global_load_u16 v22, v[24:25], off
	global_load_u16 v23, v[26:27], off
	global_load_u16 v24, v[28:29], off
	global_load_u16 v25, v[30:31], off
	global_load_u16 v26, v[32:33], off
	global_load_u16 v27, v[34:35], off
	global_load_u16 v36, v[36:37], off
	global_load_u16 v37, v[38:39], off
	global_load_u16 v38, v[40:41], off
	global_load_u16 v39, v[42:43], off
	global_load_u16 v40, v[44:45], off
	global_load_u16 v41, v[46:47], off
	global_load_u16 v42, v[48:49], off
	global_load_u16 v43, v[50:51], off
	s_waitcnt vmcnt(15)
	v_lshlrev_b32_e32 v35, 16, v20
	s_waitcnt vmcnt(14)
	v_lshlrev_b32_e32 v34, 16, v21
	;; [unrolled: 2-line block ×16, first 2 shown]
.LBB407_11:
	ds_load_b128 v[36:39], v2
	ds_load_b128 v[40:43], v2 offset:16
	v_lshlrev_b32_e32 v44, 16, v4
	v_lshlrev_b32_e32 v13, 16, v13
	;; [unrolled: 1-line block ×5, first 2 shown]
	s_load_b64 s[0:1], s[0:1], 0x0
	s_and_b32 vcc_lo, exec_lo, s6
	v_lshlrev_b32_e32 v5, 16, v5
	s_waitcnt lgkmcnt(0)
	v_fma_f32 v4, v36, v13, 0
	s_delay_alu instid0(VALU_DEP_1) | instskip(NEXT) | instid1(VALU_DEP_1)
	v_dual_fmac_f32 v4, v37, v44 :: v_dual_lshlrev_b32 v13, 16, v7
	v_dual_fmac_f32 v4, v38, v10 :: v_dual_lshlrev_b32 v9, 16, v9
	s_delay_alu instid0(VALU_DEP_1) | instskip(SKIP_4) | instid1(VALU_DEP_1)
	v_fmac_f32_e32 v4, v39, v9
	ds_load_b128 v[36:39], v2 offset:48
	v_fmac_f32_e32 v4, v40, v8
	ds_load_b128 v[7:10], v2 offset:32
	v_fmac_f32_e32 v4, v41, v13
	v_fmac_f32_e32 v4, v42, v6
	v_lshlrev_b32_e32 v6, 16, v19
	s_delay_alu instid0(VALU_DEP_2) | instskip(SKIP_1) | instid1(VALU_DEP_1)
	v_dual_fmac_f32 v4, v43, v5 :: v_dual_lshlrev_b32 v5, 16, v18
	s_waitcnt lgkmcnt(0)
	v_fmac_f32_e32 v4, v7, v6
	v_lshlrev_b32_e32 v6, 16, v17
	s_delay_alu instid0(VALU_DEP_2) | instskip(NEXT) | instid1(VALU_DEP_1)
	v_dual_fmac_f32 v4, v8, v5 :: v_dual_lshlrev_b32 v5, 16, v16
	v_fmac_f32_e32 v4, v9, v6
	v_lshlrev_b32_e32 v6, 16, v15
	s_delay_alu instid0(VALU_DEP_2) | instskip(NEXT) | instid1(VALU_DEP_1)
	v_dual_fmac_f32 v4, v10, v5 :: v_dual_lshlrev_b32 v5, 16, v14
	;; [unrolled: 4-line block ×3, first 2 shown]
	v_fmac_f32_e32 v4, v38, v6
	s_delay_alu instid0(VALU_DEP_1)
	v_fmac_f32_e32 v4, v39, v5
	s_cbranch_vccz .LBB407_13
; %bb.12:
	ds_load_b128 v[5:8], v2 offset:64
	ds_load_b128 v[9:12], v2 offset:80
	s_waitcnt lgkmcnt(1)
	v_fmac_f32_e32 v4, v5, v35
	s_delay_alu instid0(VALU_DEP_1) | instskip(NEXT) | instid1(VALU_DEP_1)
	v_fmac_f32_e32 v4, v6, v34
	v_fmac_f32_e32 v4, v7, v33
	s_delay_alu instid0(VALU_DEP_1) | instskip(SKIP_3) | instid1(VALU_DEP_1)
	v_fmac_f32_e32 v4, v8, v32
	ds_load_b128 v[5:8], v2 offset:96
	s_waitcnt lgkmcnt(1)
	v_fmac_f32_e32 v4, v9, v31
	v_fmac_f32_e32 v4, v10, v30
	s_delay_alu instid0(VALU_DEP_1) | instskip(NEXT) | instid1(VALU_DEP_1)
	v_fmac_f32_e32 v4, v11, v29
	v_fmac_f32_e32 v4, v12, v28
	ds_load_b128 v[9:12], v2 offset:112
	s_waitcnt lgkmcnt(1)
	v_fmac_f32_e32 v4, v5, v27
	s_delay_alu instid0(VALU_DEP_1) | instskip(NEXT) | instid1(VALU_DEP_1)
	v_fmac_f32_e32 v4, v6, v26
	v_fmac_f32_e32 v4, v7, v25
	s_delay_alu instid0(VALU_DEP_1) | instskip(SKIP_1) | instid1(VALU_DEP_1)
	v_fmac_f32_e32 v4, v8, v24
	s_waitcnt lgkmcnt(0)
	v_fmac_f32_e32 v4, v9, v23
	s_delay_alu instid0(VALU_DEP_1) | instskip(NEXT) | instid1(VALU_DEP_1)
	v_fmac_f32_e32 v4, v10, v22
	v_fmac_f32_e32 v4, v11, v21
	s_delay_alu instid0(VALU_DEP_1)
	v_fmac_f32_e32 v4, v12, v20
.LBB407_13:
	s_movk_i32 s43, 0xfc0
	s_movk_i32 s44, 0x80
	s_mov_b32 s45, 32
	s_branch .LBB407_15
.LBB407_14:                             ;   in Loop: Header=BB407_15 Depth=1
	s_addk_i32 s43, 0x800
	s_addk_i32 s44, 0x80
	s_add_i32 s45, s45, 32
	s_cmpk_eq_i32 s43, 0x37c0
	s_cbranch_scc1 .LBB407_17
.LBB407_15:                             ; =>This Inner Loop Header: Depth=1
	s_cmp_le_i32 s40, s45
	s_cbranch_scc1 .LBB407_14
; %bb.16:                               ;   in Loop: Header=BB407_15 Depth=1
	s_add_i32 s4, s43, 0xfffff840
	v_mov_b32_e32 v44, s44
	s_cmp_lt_i32 s4, s41
	s_cselect_b32 s4, s4, s42
	s_add_i32 s6, s43, 0xfffff880
	s_ashr_i32 s5, s4, 31
	s_delay_alu instid0(SALU_CYCLE_1)
	s_lshl_b64 s[38:39], s[4:5], 1
	s_cmp_lt_i32 s6, s41
	v_add_co_u32 v5, vcc_lo, v1, s38
	s_cselect_b32 s4, s6, s42
	s_add_i32 s6, s43, 0xfffff8c0
	s_ashr_i32 s5, s4, 31
	v_add_co_ci_u32_e32 v6, vcc_lo, s39, v3, vcc_lo
	s_lshl_b64 s[4:5], s[4:5], 1
	s_cmp_lt_i32 s6, s41
	s_cselect_b32 s6, s6, s42
	s_add_i32 s8, s43, 0xfffff900
	s_ashr_i32 s7, s6, 31
	global_load_u16 v2, v[5:6], off
	s_lshl_b64 s[6:7], s[6:7], 1
	s_cmp_lt_i32 s8, s41
	v_add_co_u32 v5, vcc_lo, v1, s4
	s_cselect_b32 s8, s8, s42
	s_add_i32 s10, s43, 0xfffff940
	s_ashr_i32 s9, s8, 31
	v_add_co_ci_u32_e32 v6, vcc_lo, s5, v3, vcc_lo
	s_lshl_b64 s[8:9], s[8:9], 1
	s_cmp_lt_i32 s10, s41
	v_add_co_u32 v7, vcc_lo, v1, s6
	s_cselect_b32 s10, s10, s42
	s_add_i32 s18, s43, 0xfffff980
	s_ashr_i32 s11, s10, 31
	v_add_co_ci_u32_e32 v8, vcc_lo, s7, v3, vcc_lo
	s_lshl_b64 s[10:11], s[10:11], 1
	s_cmp_lt_i32 s18, s41
	v_add_co_u32 v9, vcc_lo, v1, s8
	s_cselect_b32 s18, s18, s42
	s_add_i32 s20, s43, 0xfffff9c0
	s_ashr_i32 s19, s18, 31
	s_clause 0x1
	global_load_u16 v23, v[5:6], off
	global_load_u16 v24, v[7:8], off
	s_lshl_b64 s[18:19], s[18:19], 1
	s_cmp_lt_i32 s20, s41
	v_add_co_ci_u32_e32 v10, vcc_lo, s9, v3, vcc_lo
	s_cselect_b32 s20, s20, s42
	s_add_i32 s22, s43, 0xfffffa00
	s_ashr_i32 s21, s20, 31
	global_load_u16 v25, v[9:10], off
	s_lshl_b64 s[20:21], s[20:21], 1
	s_cmp_lt_i32 s22, s41
	v_add_co_u32 v11, vcc_lo, v1, s10
	s_cselect_b32 s22, s22, s42
	s_add_i32 s24, s43, 0xfffffa40
	s_ashr_i32 s23, s22, 31
	v_add_co_ci_u32_e32 v12, vcc_lo, s11, v3, vcc_lo
	s_lshl_b64 s[22:23], s[22:23], 1
	s_cmp_lt_i32 s24, s41
	v_add_co_u32 v13, vcc_lo, v1, s18
	global_load_u16 v26, v[11:12], off
	s_cselect_b32 s24, s24, s42
	s_add_i32 s26, s43, 0xfffffa80
	s_ashr_i32 s25, s24, 31
	v_add_co_ci_u32_e32 v14, vcc_lo, s19, v3, vcc_lo
	s_lshl_b64 s[24:25], s[24:25], 1
	s_cmp_lt_i32 s26, s41
	v_add_co_u32 v15, vcc_lo, v1, s20
	global_load_u16 v27, v[13:14], off
	s_cselect_b32 s26, s26, s42
	s_add_i32 s28, s43, 0xfffffac0
	s_ashr_i32 s27, s26, 31
	v_add_co_ci_u32_e32 v16, vcc_lo, s21, v3, vcc_lo
	s_lshl_b64 s[36:37], s[26:27], 1
	s_cmp_lt_i32 s28, s41
	v_add_co_u32 v17, vcc_lo, v1, s22
	s_cselect_b32 s26, s28, s42
	s_add_i32 s30, s43, 0xfffffb00
	s_ashr_i32 s27, s26, 31
	v_add_co_ci_u32_e32 v18, vcc_lo, s23, v3, vcc_lo
	s_lshl_b64 s[28:29], s[26:27], 1
	s_cmp_lt_i32 s30, s41
	v_add_co_u32 v19, vcc_lo, v1, s24
	global_load_u16 v17, v[17:18], off
	s_cselect_b32 s26, s30, s42
	s_add_i32 s30, s43, 0xfffffb40
	s_ashr_i32 s27, s26, 31
	v_add_co_ci_u32_e32 v20, vcc_lo, s25, v3, vcc_lo
	s_lshl_b64 s[26:27], s[26:27], 1
	s_cmp_lt_i32 s30, s41
	v_add_co_u32 v21, vcc_lo, v1, s36
	s_cselect_b32 s30, s30, s42
	s_add_i32 s46, s43, 0xfffffb80
	s_ashr_i32 s31, s30, 31
	v_add_co_ci_u32_e32 v22, vcc_lo, s37, v3, vcc_lo
	s_lshl_b64 s[34:35], s[30:31], 1
	s_cmp_lt_i32 s46, s41
	v_add_co_u32 v5, vcc_lo, v1, s28
	s_cselect_b32 s30, s46, s42
	s_add_i32 s46, s43, 0xfffffbc0
	s_ashr_i32 s31, s30, 31
	v_add_co_ci_u32_e32 v6, vcc_lo, s29, v3, vcc_lo
	s_lshl_b64 s[30:31], s[30:31], 1
	s_cmp_lt_i32 s46, s41
	v_add_co_u32 v7, vcc_lo, v1, s26
	s_cselect_b32 s46, s46, s42
	s_add_i32 s48, s43, 0xfffffc00
	s_ashr_i32 s47, s46, 31
	global_load_u16 v28, v[15:16], off
	s_lshl_b64 s[38:39], s[46:47], 1
	s_cmp_lt_i32 s48, s41
	v_add_co_ci_u32_e32 v8, vcc_lo, s27, v3, vcc_lo
	s_cselect_b32 s46, s48, s42
	v_add_co_u32 v9, vcc_lo, v1, s34
	s_ashr_i32 s47, s46, 31
	s_add_i32 s4, s43, 0xfffffc40
	s_lshl_b64 s[46:47], s[46:47], 1
	v_add_co_ci_u32_e32 v10, vcc_lo, s35, v3, vcc_lo
	s_cmp_lt_i32 s4, s41
	v_add_co_u32 v11, vcc_lo, v1, s30
	s_cselect_b32 s4, s4, s42
	v_add_co_ci_u32_e32 v12, vcc_lo, s31, v3, vcc_lo
	v_add_co_u32 v13, vcc_lo, v1, s38
	s_ashr_i32 s5, s4, 31
	s_add_i32 s6, s43, 0xfffffc80
	v_add_co_ci_u32_e32 v14, vcc_lo, s39, v3, vcc_lo
	global_load_u16 v18, v[19:20], off
	s_lshl_b64 s[8:9], s[4:5], 1
	s_cmp_lt_i32 s6, s41
	global_load_u16 v30, v[13:14], off
	s_cselect_b32 s4, s6, s42
	global_load_u16 v19, v[21:22], off
	s_ashr_i32 s5, s4, 31
	s_add_i32 s6, s43, 0xfffffcc0
	s_lshl_b64 s[10:11], s[4:5], 1
	s_cmp_lt_i32 s6, s41
	s_clause 0x3
	global_load_u16 v20, v[5:6], off
	global_load_u16 v21, v[7:8], off
	;; [unrolled: 1-line block ×4, first 2 shown]
	s_cselect_b32 s4, s6, s42
	s_add_i32 s6, s43, 0xfffffd00
	s_ashr_i32 s5, s4, 31
	v_add_co_u32 v15, vcc_lo, v1, s46
	s_lshl_b64 s[4:5], s[4:5], 1
	s_cmp_lt_i32 s6, s41
	v_add_co_ci_u32_e32 v16, vcc_lo, s47, v3, vcc_lo
	s_cselect_b32 s6, s6, s42
	s_add_i32 s18, s43, 0xfffffd40
	s_ashr_i32 s7, s6, 31
	v_add_co_u32 v5, vcc_lo, v1, s8
	s_lshl_b64 s[6:7], s[6:7], 1
	s_cmp_lt_i32 s18, s41
	v_add_co_ci_u32_e32 v6, vcc_lo, s9, v3, vcc_lo
	s_cselect_b32 s18, s18, s42
	v_add_co_u32 v7, vcc_lo, v1, s10
	s_ashr_i32 s19, s18, 31
	s_add_i32 s20, s43, 0xfffffd80
	s_lshl_b64 s[18:19], s[18:19], 1
	v_add_co_ci_u32_e32 v8, vcc_lo, s11, v3, vcc_lo
	s_cmp_lt_i32 s20, s41
	v_add_co_u32 v9, vcc_lo, v1, s4
	s_cselect_b32 s20, s20, s42
	v_add_co_ci_u32_e32 v10, vcc_lo, s5, v3, vcc_lo
	v_add_co_u32 v11, vcc_lo, v1, s6
	s_ashr_i32 s21, s20, 31
	s_add_i32 s22, s43, 0xfffffdc0
	v_add_co_ci_u32_e32 v12, vcc_lo, s7, v3, vcc_lo
	global_load_u16 v15, v[15:16], off
	s_lshl_b64 s[20:21], s[20:21], 1
	s_cmp_lt_i32 s22, s41
	global_load_u16 v33, v[11:12], off
	s_cselect_b32 s22, s22, s42
	s_clause 0x2
	global_load_u16 v16, v[5:6], off
	global_load_u16 v31, v[7:8], off
	;; [unrolled: 1-line block ×3, first 2 shown]
	s_ashr_i32 s23, s22, 31
	s_add_i32 s24, s43, 0xfffffe00
	s_lshl_b64 s[22:23], s[22:23], 1
	s_cmp_lt_i32 s24, s41
	v_add_co_u32 v13, vcc_lo, v1, s18
	s_cselect_b32 s24, s24, s42
	s_add_i32 s26, s43, 0xfffffe40
	s_ashr_i32 s25, s24, 31
	v_add_co_ci_u32_e32 v14, vcc_lo, s19, v3, vcc_lo
	s_lshl_b64 s[24:25], s[24:25], 1
	s_cmp_lt_i32 s26, s41
	v_add_co_u32 v5, vcc_lo, v1, s20
	s_cselect_b32 s8, s26, s42
	v_add_co_ci_u32_e32 v6, vcc_lo, s21, v3, vcc_lo
	s_ashr_i32 s9, s8, 31
	v_add_co_u32 v7, vcc_lo, v1, s22
	s_add_i32 s10, s43, 0xfffffe80
	s_lshl_b64 s[8:9], s[8:9], 1
	v_add_co_ci_u32_e32 v8, vcc_lo, s23, v3, vcc_lo
	s_cmp_lt_i32 s10, s41
	v_add_co_u32 v9, vcc_lo, v1, s24
	s_cselect_b32 s4, s10, s42
	global_load_u16 v13, v[13:14], off
	v_add_co_ci_u32_e32 v10, vcc_lo, s25, v3, vcc_lo
	s_ashr_i32 s5, s4, 31
	s_add_i32 s6, s43, 0xfffffec0
	s_lshl_b64 s[4:5], s[4:5], 1
	global_load_u16 v35, v[9:10], off
	s_cmp_lt_i32 s6, s41
	s_clause 0x1
	global_load_u16 v14, v[5:6], off
	global_load_u16 v34, v[7:8], off
	s_cselect_b32 s6, s6, s42
	s_add_i32 s10, s43, 0xffffff00
	s_ashr_i32 s7, s6, 31
	v_add_co_u32 v5, vcc_lo, v1, s8
	s_lshl_b64 s[6:7], s[6:7], 1
	s_cmp_lt_i32 s10, s41
	v_add_co_ci_u32_e32 v6, vcc_lo, s9, v3, vcc_lo
	s_cselect_b32 s10, s10, s42
	v_add_co_u32 v7, vcc_lo, v1, s4
	s_ashr_i32 s11, s10, 31
	v_add_co_ci_u32_e32 v8, vcc_lo, s5, v3, vcc_lo
	s_add_i32 s18, s43, 0xffffff40
	s_lshl_b64 s[10:11], s[10:11], 1
	s_cmp_lt_i32 s18, s41
	s_clause 0x1
	global_load_u16 v36, v[5:6], off
	global_load_u16 v37, v[7:8], off
	s_cselect_b32 s18, s18, s42
	v_add_co_u32 v5, vcc_lo, v1, s6
	s_ashr_i32 s19, s18, 31
	v_add_co_ci_u32_e32 v6, vcc_lo, s7, v3, vcc_lo
	s_add_i32 s20, s43, 0xffffff80
	v_add_co_u32 v7, vcc_lo, v1, s10
	s_lshl_b64 s[8:9], s[18:19], 1
	s_cmp_lt_i32 s20, s41
	v_add_co_ci_u32_e32 v8, vcc_lo, s11, v3, vcc_lo
	s_cselect_b32 s4, s20, s42
	global_load_u16 v38, v[5:6], off
	s_ashr_i32 s5, s4, 31
	global_load_u16 v39, v[7:8], off
	s_sub_i32 s18, s43, 64
	v_add_co_u32 v5, vcc_lo, v1, s8
	s_lshl_b64 s[4:5], s[4:5], 1
	s_cmp_lt_i32 s18, s41
	v_add_co_ci_u32_e32 v6, vcc_lo, s9, v3, vcc_lo
	v_add_co_u32 v7, vcc_lo, v1, s4
	s_cselect_b32 s6, s18, s42
	v_add_co_ci_u32_e32 v8, vcc_lo, s5, v3, vcc_lo
	s_ashr_i32 s7, s6, 31
	global_load_u16 v40, v[5:6], off
	s_lshl_b64 s[6:7], s[6:7], 1
	global_load_u16 v41, v[7:8], off
	s_cmp_lt_i32 s43, s41
	v_add_co_u32 v5, vcc_lo, v1, s6
	s_cselect_b32 s4, s43, s42
	v_add_co_ci_u32_e32 v6, vcc_lo, s7, v3, vcc_lo
	s_ashr_i32 s5, s4, 31
	s_delay_alu instid0(SALU_CYCLE_1)
	s_lshl_b64 s[4:5], s[4:5], 1
	global_load_u16 v42, v[5:6], off
	v_add_co_u32 v5, vcc_lo, v1, s4
	v_add_co_ci_u32_e32 v6, vcc_lo, s5, v3, vcc_lo
	global_load_u16 v43, v[5:6], off
	ds_load_b128 v[5:8], v44
	ds_load_b128 v[9:12], v44 offset:16
	s_waitcnt vmcnt(31)
	v_lshlrev_b32_e32 v2, 16, v2
	s_waitcnt lgkmcnt(1)
	s_delay_alu instid0(VALU_DEP_1) | instskip(SKIP_2) | instid1(VALU_DEP_1)
	v_fmac_f32_e32 v4, v5, v2
	s_waitcnt vmcnt(30)
	v_lshlrev_b32_e32 v2, 16, v23
	v_fmac_f32_e32 v4, v6, v2
	s_waitcnt vmcnt(29)
	v_lshlrev_b32_e32 v2, 16, v24
	s_delay_alu instid0(VALU_DEP_1) | instskip(SKIP_2) | instid1(VALU_DEP_1)
	v_fmac_f32_e32 v4, v7, v2
	s_waitcnt vmcnt(28)
	v_lshlrev_b32_e32 v2, 16, v25
	v_fmac_f32_e32 v4, v8, v2
	ds_load_b128 v[5:8], v44 offset:32
	s_waitcnt vmcnt(27)
	v_lshlrev_b32_e32 v2, 16, v26
	s_waitcnt lgkmcnt(1)
	s_delay_alu instid0(VALU_DEP_1) | instskip(SKIP_2) | instid1(VALU_DEP_1)
	v_fmac_f32_e32 v4, v9, v2
	s_waitcnt vmcnt(26)
	v_lshlrev_b32_e32 v2, 16, v27
	v_fmac_f32_e32 v4, v10, v2
	s_waitcnt vmcnt(24)
	v_lshlrev_b32_e32 v2, 16, v28
	s_delay_alu instid0(VALU_DEP_1) | instskip(SKIP_1) | instid1(VALU_DEP_1)
	v_fmac_f32_e32 v4, v11, v2
	v_lshlrev_b32_e32 v2, 16, v17
	v_fmac_f32_e32 v4, v12, v2
	ds_load_b128 v[9:12], v44 offset:48
	s_waitcnt vmcnt(23)
	v_lshlrev_b32_e32 v2, 16, v18
	s_waitcnt lgkmcnt(1)
	s_delay_alu instid0(VALU_DEP_1) | instskip(SKIP_2) | instid1(VALU_DEP_1)
	v_fmac_f32_e32 v4, v5, v2
	s_waitcnt vmcnt(21)
	v_lshlrev_b32_e32 v2, 16, v19
	v_fmac_f32_e32 v4, v6, v2
	s_waitcnt vmcnt(20)
	v_lshlrev_b32_e32 v2, 16, v20
	s_delay_alu instid0(VALU_DEP_1) | instskip(SKIP_2) | instid1(VALU_DEP_1)
	v_fmac_f32_e32 v4, v7, v2
	s_waitcnt vmcnt(19)
	v_lshlrev_b32_e32 v2, 16, v21
	v_fmac_f32_e32 v4, v8, v2
	s_waitcnt vmcnt(18)
	v_lshlrev_b32_e32 v2, 16, v22
	ds_load_b128 v[5:8], v44 offset:64
	s_waitcnt lgkmcnt(1)
	v_fmac_f32_e32 v4, v9, v2
	s_waitcnt vmcnt(17)
	v_lshlrev_b32_e32 v2, 16, v29
	s_delay_alu instid0(VALU_DEP_1) | instskip(SKIP_1) | instid1(VALU_DEP_1)
	v_fmac_f32_e32 v4, v10, v2
	v_lshlrev_b32_e32 v2, 16, v30
	v_fmac_f32_e32 v4, v11, v2
	s_waitcnt vmcnt(16)
	v_lshlrev_b32_e32 v2, 16, v15
	s_delay_alu instid0(VALU_DEP_1) | instskip(SKIP_4) | instid1(VALU_DEP_1)
	v_fmac_f32_e32 v4, v12, v2
	ds_load_b128 v[9:12], v44 offset:80
	s_waitcnt vmcnt(14)
	v_lshlrev_b32_e32 v2, 16, v16
	s_waitcnt lgkmcnt(1)
	v_fmac_f32_e32 v4, v5, v2
	s_waitcnt vmcnt(13)
	v_lshlrev_b32_e32 v2, 16, v31
	s_delay_alu instid0(VALU_DEP_1) | instskip(SKIP_2) | instid1(VALU_DEP_1)
	v_fmac_f32_e32 v4, v6, v2
	s_waitcnt vmcnt(12)
	v_lshlrev_b32_e32 v2, 16, v32
	v_fmac_f32_e32 v4, v7, v2
	v_lshlrev_b32_e32 v2, 16, v33
	s_delay_alu instid0(VALU_DEP_1) | instskip(SKIP_4) | instid1(VALU_DEP_1)
	v_fmac_f32_e32 v4, v8, v2
	ds_load_b128 v[5:8], v44 offset:96
	s_waitcnt vmcnt(11)
	v_lshlrev_b32_e32 v2, 16, v13
	s_waitcnt lgkmcnt(1)
	v_fmac_f32_e32 v4, v9, v2
	s_waitcnt vmcnt(9)
	v_lshlrev_b32_e32 v2, 16, v14
	s_delay_alu instid0(VALU_DEP_1) | instskip(SKIP_2) | instid1(VALU_DEP_1)
	v_fmac_f32_e32 v4, v10, v2
	s_waitcnt vmcnt(8)
	v_lshlrev_b32_e32 v2, 16, v34
	v_fmac_f32_e32 v4, v11, v2
	;; [unrolled: 15-line block ×3, first 2 shown]
	s_waitcnt vmcnt(4)
	v_lshlrev_b32_e32 v2, 16, v39
	s_delay_alu instid0(VALU_DEP_1) | instskip(SKIP_3) | instid1(VALU_DEP_1)
	v_fmac_f32_e32 v4, v8, v2
	s_waitcnt vmcnt(3)
	v_lshlrev_b32_e32 v2, 16, v40
	s_waitcnt lgkmcnt(0)
	v_fmac_f32_e32 v4, v9, v2
	s_waitcnt vmcnt(2)
	v_lshlrev_b32_e32 v2, 16, v41
	s_delay_alu instid0(VALU_DEP_1) | instskip(SKIP_2) | instid1(VALU_DEP_1)
	v_fmac_f32_e32 v4, v10, v2
	s_waitcnt vmcnt(1)
	v_lshlrev_b32_e32 v2, 16, v42
	v_fmac_f32_e32 v4, v11, v2
	s_waitcnt vmcnt(0)
	v_lshlrev_b32_e32 v2, 16, v43
	s_delay_alu instid0(VALU_DEP_1)
	v_fmac_f32_e32 v4, v12, v2
	s_branch .LBB407_14
.LBB407_17:
	v_mov_b32_e32 v1, 0
	s_and_b32 vcc_lo, exec_lo, s15
	ds_load_b32 v1, v1 offset:768
	s_cbranch_vccz .LBB407_19
; %bb.18:
	s_add_u32 s2, s12, s16
	s_addc_u32 s3, s13, s17
	s_load_b32 s2, s[2:3], 0x0
	s_mov_b32 s3, 0
.LBB407_19:
	s_waitcnt lgkmcnt(0)
	v_add_f32_e32 v1, 0x358637bd, v1
	s_delay_alu instid0(VALU_DEP_1) | instskip(NEXT) | instid1(VALU_DEP_1)
	v_div_scale_f32 v2, null, v1, v1, 1.0
	v_rcp_f32_e32 v3, v2
	s_waitcnt_depctr 0xfff
	v_fma_f32 v5, -v2, v3, 1.0
	s_delay_alu instid0(VALU_DEP_1) | instskip(SKIP_1) | instid1(VALU_DEP_1)
	v_fmac_f32_e32 v3, v5, v3
	v_div_scale_f32 v5, vcc_lo, 1.0, v1, 1.0
	v_mul_f32_e32 v6, v5, v3
	s_delay_alu instid0(VALU_DEP_1) | instskip(NEXT) | instid1(VALU_DEP_1)
	v_fma_f32 v7, -v2, v6, v5
	v_fmac_f32_e32 v6, v7, v3
	s_delay_alu instid0(VALU_DEP_1) | instskip(NEXT) | instid1(VALU_DEP_1)
	v_fma_f32 v2, -v2, v6, v5
	v_div_fmas_f32 v2, v2, v3, v6
	s_delay_alu instid0(VALU_DEP_1) | instskip(NEXT) | instid1(VALU_DEP_1)
	v_div_fixup_f32 v1, v2, v1, 1.0
	v_mul_f32_e32 v2, v4, v1
	s_delay_alu instid0(VALU_DEP_1) | instskip(NEXT) | instid1(VALU_DEP_1)
	v_and_b32_e32 v1, 0x7f800000, v2
	v_cmp_ne_u32_e32 vcc_lo, 0x7f800000, v1
                                        ; implicit-def: $vgpr1
	s_and_saveexec_b32 s4, vcc_lo
	s_delay_alu instid0(SALU_CYCLE_1)
	s_xor_b32 s4, exec_lo, s4
; %bb.20:
	v_bfe_u32 v1, v2, 16, 1
	s_delay_alu instid0(VALU_DEP_1)
	v_add3_u32 v1, v2, v1, 0x7fff
                                        ; implicit-def: $vgpr2
; %bb.21:
	s_and_not1_saveexec_b32 s4, s4
; %bb.22:
	v_and_b32_e32 v1, 0xffff, v2
	v_or_b32_e32 v3, 0x10000, v2
	s_delay_alu instid0(VALU_DEP_2) | instskip(NEXT) | instid1(VALU_DEP_2)
	v_cmp_eq_u32_e32 vcc_lo, 0, v1
	v_cndmask_b32_e32 v1, v3, v2, vcc_lo
; %bb.23:
	s_or_b32 exec_lo, exec_lo, s4
	s_mul_i32 s3, s33, s3
	s_mul_hi_u32 s4, s33, s2
	s_mul_i32 s2, s33, s2
	s_add_i32 s3, s4, s3
	s_mov_b32 s15, 0
	s_lshl_b64 s[2:3], s[2:3], 6
	v_and_b32_e32 v1, 0xffff0000, v1
	s_add_u32 s2, s0, s2
	s_addc_u32 s3, s1, s3
	s_lshl_b64 s[0:1], s[14:15], 6
	s_delay_alu instid0(SALU_CYCLE_1)
	s_add_u32 s0, s2, s0
	s_addc_u32 s1, s3, s1
	v_add_co_u32 v0, s0, s0, v0
	v_cvt_i32_f32_e32 v2, v1
	v_add_co_ci_u32_e64 v1, null, s1, 0, s0
	global_store_b8 v[0:1], v2, off
	s_nop 0
	s_sendmsg sendmsg(MSG_DEALLOC_VGPRS)
	s_endpgm
.LBB407_24:
	s_mov_b32 s4, 0
	s_branch .LBB407_2
	.section	.rodata,"a",@progbits
	.p2align	6, 0x0
	.amdhsa_kernel _Z35paged_attention_ll4mi_reduce_kernelI14__hip_bfloat16hLi64ELi64ELi256ELi6EEvPT0_PKfS4_PKT_PKiS9_iS4_
		.amdhsa_group_segment_fixed_size 772
		.amdhsa_private_segment_fixed_size 0
		.amdhsa_kernarg_size 320
		.amdhsa_user_sgpr_count 14
		.amdhsa_user_sgpr_dispatch_ptr 0
		.amdhsa_user_sgpr_queue_ptr 0
		.amdhsa_user_sgpr_kernarg_segment_ptr 1
		.amdhsa_user_sgpr_dispatch_id 0
		.amdhsa_user_sgpr_private_segment_size 0
		.amdhsa_wavefront_size32 1
		.amdhsa_uses_dynamic_stack 0
		.amdhsa_enable_private_segment 0
		.amdhsa_system_sgpr_workgroup_id_x 1
		.amdhsa_system_sgpr_workgroup_id_y 1
		.amdhsa_system_sgpr_workgroup_id_z 0
		.amdhsa_system_sgpr_workgroup_info 0
		.amdhsa_system_vgpr_workitem_id 0
		.amdhsa_next_free_vgpr 52
		.amdhsa_next_free_sgpr 49
		.amdhsa_reserve_vcc 1
		.amdhsa_float_round_mode_32 0
		.amdhsa_float_round_mode_16_64 0
		.amdhsa_float_denorm_mode_32 3
		.amdhsa_float_denorm_mode_16_64 3
		.amdhsa_dx10_clamp 1
		.amdhsa_ieee_mode 1
		.amdhsa_fp16_overflow 0
		.amdhsa_workgroup_processor_mode 1
		.amdhsa_memory_ordered 1
		.amdhsa_forward_progress 0
		.amdhsa_shared_vgpr_count 0
		.amdhsa_exception_fp_ieee_invalid_op 0
		.amdhsa_exception_fp_denorm_src 0
		.amdhsa_exception_fp_ieee_div_zero 0
		.amdhsa_exception_fp_ieee_overflow 0
		.amdhsa_exception_fp_ieee_underflow 0
		.amdhsa_exception_fp_ieee_inexact 0
		.amdhsa_exception_int_div_zero 0
	.end_amdhsa_kernel
	.section	.text._Z35paged_attention_ll4mi_reduce_kernelI14__hip_bfloat16hLi64ELi64ELi256ELi6EEvPT0_PKfS4_PKT_PKiS9_iS4_,"axG",@progbits,_Z35paged_attention_ll4mi_reduce_kernelI14__hip_bfloat16hLi64ELi64ELi256ELi6EEvPT0_PKfS4_PKT_PKiS9_iS4_,comdat
.Lfunc_end407:
	.size	_Z35paged_attention_ll4mi_reduce_kernelI14__hip_bfloat16hLi64ELi64ELi256ELi6EEvPT0_PKfS4_PKT_PKiS9_iS4_, .Lfunc_end407-_Z35paged_attention_ll4mi_reduce_kernelI14__hip_bfloat16hLi64ELi64ELi256ELi6EEvPT0_PKfS4_PKT_PKiS9_iS4_
                                        ; -- End function
	.section	.AMDGPU.csdata,"",@progbits
; Kernel info:
; codeLenInByte = 6300
; NumSgprs: 51
; NumVgprs: 52
; ScratchSize: 0
; MemoryBound: 0
; FloatMode: 240
; IeeeMode: 1
; LDSByteSize: 772 bytes/workgroup (compile time only)
; SGPRBlocks: 6
; VGPRBlocks: 6
; NumSGPRsForWavesPerEU: 51
; NumVGPRsForWavesPerEU: 52
; Occupancy: 16
; WaveLimiterHint : 0
; COMPUTE_PGM_RSRC2:SCRATCH_EN: 0
; COMPUTE_PGM_RSRC2:USER_SGPR: 14
; COMPUTE_PGM_RSRC2:TRAP_HANDLER: 0
; COMPUTE_PGM_RSRC2:TGID_X_EN: 1
; COMPUTE_PGM_RSRC2:TGID_Y_EN: 1
; COMPUTE_PGM_RSRC2:TGID_Z_EN: 0
; COMPUTE_PGM_RSRC2:TIDIG_COMP_CNT: 0
	.section	.text._Z35paged_attention_ll4mi_reduce_kernelI14__hip_bfloat16hLi64ELi64ELi256ELi7EEvPT0_PKfS4_PKT_PKiS9_iS4_,"axG",@progbits,_Z35paged_attention_ll4mi_reduce_kernelI14__hip_bfloat16hLi64ELi64ELi256ELi7EEvPT0_PKfS4_PKT_PKiS9_iS4_,comdat
	.protected	_Z35paged_attention_ll4mi_reduce_kernelI14__hip_bfloat16hLi64ELi64ELi256ELi7EEvPT0_PKfS4_PKT_PKiS9_iS4_ ; -- Begin function _Z35paged_attention_ll4mi_reduce_kernelI14__hip_bfloat16hLi64ELi64ELi256ELi7EEvPT0_PKfS4_PKT_PKiS9_iS4_
	.globl	_Z35paged_attention_ll4mi_reduce_kernelI14__hip_bfloat16hLi64ELi64ELi256ELi7EEvPT0_PKfS4_PKT_PKiS9_iS4_
	.p2align	8
	.type	_Z35paged_attention_ll4mi_reduce_kernelI14__hip_bfloat16hLi64ELi64ELi256ELi7EEvPT0_PKfS4_PKT_PKiS9_iS4_,@function
_Z35paged_attention_ll4mi_reduce_kernelI14__hip_bfloat16hLi64ELi64ELi256ELi7EEvPT0_PKfS4_PKT_PKiS9_iS4_: ; @_Z35paged_attention_ll4mi_reduce_kernelI14__hip_bfloat16hLi64ELi64ELi256ELi7EEvPT0_PKfS4_PKT_PKiS9_iS4_
; %bb.0:
	s_load_b64 s[12:13], s[0:1], 0x28
	s_mov_b32 s2, s15
	s_waitcnt lgkmcnt(0)
	s_cmp_lg_u64 s[12:13], 0
	s_cselect_b32 s15, -1, 0
	s_delay_alu instid0(SALU_CYCLE_1)
	s_and_b32 vcc_lo, exec_lo, s15
	s_cbranch_vccz .LBB408_24
; %bb.1:
	s_add_i32 s4, s2, 1
	s_mov_b32 s5, 0
	s_delay_alu instid0(SALU_CYCLE_1) | instskip(SKIP_4) | instid1(SALU_CYCLE_1)
	s_lshl_b64 s[6:7], s[4:5], 2
	s_mov_b32 s3, s5
	s_add_u32 s6, s12, s6
	s_addc_u32 s7, s13, s7
	s_lshl_b64 s[8:9], s[2:3], 2
	s_add_u32 s8, s12, s8
	s_addc_u32 s9, s13, s9
	s_clause 0x1
	s_load_b32 s4, s[6:7], 0x0
	s_load_b32 s6, s[8:9], 0x0
	s_waitcnt lgkmcnt(0)
	s_sub_i32 s4, s4, s6
	s_delay_alu instid0(SALU_CYCLE_1)
	s_cmp_eq_u32 s4, 1
	s_cselect_b32 s4, -1, 0
	s_cbranch_execnz .LBB408_3
.LBB408_2:
	s_mov_b32 s3, 0
	s_mov_b32 s4, -1
.LBB408_3:
	s_delay_alu instid0(SALU_CYCLE_1)
	s_and_not1_b32 vcc_lo, exec_lo, s4
	s_cbranch_vccz .LBB408_5
; %bb.4:
	s_endpgm
.LBB408_5:
	s_clause 0x1
	s_load_b128 s[4:7], s[0:1], 0x18
	s_load_b32 s9, s[0:1], 0x30
	s_lshl_b64 s[16:17], s[2:3], 2
	s_waitcnt lgkmcnt(0)
	s_add_u32 s6, s6, s16
	s_addc_u32 s7, s7, s17
	s_load_b32 s23, s[6:7], 0x0
	s_load_b32 s33, s[0:1], 0x40
	s_mul_i32 s7, s2, s9
	s_waitcnt lgkmcnt(0)
	s_add_i32 s22, s23, 0xff
	s_delay_alu instid0(SALU_CYCLE_1) | instskip(NEXT) | instid1(SALU_CYCLE_1)
	s_ashr_i32 s6, s22, 31
	s_lshr_b32 s6, s6, 24
	s_delay_alu instid0(SALU_CYCLE_1) | instskip(SKIP_4) | instid1(SALU_CYCLE_1)
	s_add_i32 s8, s22, s6
	s_mul_i32 s6, s14, s9
	s_mov_b32 s9, exec_lo
	v_cmpx_lt_u32_e32 31, v0
	s_xor_b32 s9, exec_lo, s9
	s_or_saveexec_b32 s24, s9
	v_mov_b32_e32 v1, s6
	s_ashr_i32 s40, s8, 8
	s_mul_i32 s18, s7, s33
	s_xor_b32 exec_lo, exec_lo, s24
	s_cbranch_execz .LBB408_9
; %bb.6:
	v_or_b32_e32 v2, 32, v0
	v_cmp_gt_i32_e32 vcc_lo, s40, v0
	s_add_i32 s20, s40, -1
	v_or_b32_e32 v4, 64, v0
	v_or_b32_e32 v6, 0xa0, v0
	s_load_b128 s[8:11], s[0:1], 0x8
	v_cndmask_b32_e32 v1, s20, v0, vcc_lo
	v_cmp_gt_i32_e32 vcc_lo, s40, v2
	s_mov_b32 s19, 0
	s_delay_alu instid0(SALU_CYCLE_1)
	s_mov_b32 s7, s19
	v_cndmask_b32_e32 v3, s20, v2, vcc_lo
	v_or_b32_e32 v2, 0x60, v0
	v_cmp_gt_i32_e32 vcc_lo, s40, v4
	v_cndmask_b32_e32 v5, s20, v4, vcc_lo
	v_or_b32_e32 v4, 0x80, v0
	s_delay_alu instid0(VALU_DEP_4) | instskip(SKIP_1) | instid1(VALU_DEP_3)
	v_cmp_gt_i32_e32 vcc_lo, s40, v2
	v_cndmask_b32_e32 v7, s20, v2, vcc_lo
	v_cmp_gt_i32_e32 vcc_lo, s40, v4
	v_or_b32_e32 v2, 0xc0, v0
	s_delay_alu instid0(VALU_DEP_3) | instskip(SKIP_3) | instid1(VALU_DEP_4)
	v_ashrrev_i32_e32 v8, 31, v7
	v_cndmask_b32_e32 v9, s20, v4, vcc_lo
	v_cmp_gt_i32_e32 vcc_lo, s40, v6
	v_ashrrev_i32_e32 v4, 31, v3
	v_lshlrev_b64 v[7:8], 2, v[7:8]
	s_delay_alu instid0(VALU_DEP_4)
	v_ashrrev_i32_e32 v10, 31, v9
	v_cndmask_b32_e32 v11, s20, v6, vcc_lo
	v_cmp_gt_i32_e32 vcc_lo, s40, v2
	v_ashrrev_i32_e32 v6, 31, v5
	v_lshlrev_b64 v[3:4], 2, v[3:4]
	v_lshlrev_b64 v[9:10], 2, v[9:10]
	v_ashrrev_i32_e32 v12, 31, v11
	v_cndmask_b32_e32 v13, s20, v2, vcc_lo
	v_ashrrev_i32_e32 v2, 31, v1
	s_lshl_b64 s[20:21], s[18:19], 2
	v_lshlrev_b64 v[5:6], 2, v[5:6]
	s_waitcnt lgkmcnt(0)
	s_add_u32 s19, s10, s20
	s_addc_u32 s25, s11, s21
	v_lshlrev_b64 v[1:2], 2, v[1:2]
	s_lshl_b64 s[10:11], s[6:7], 2
	v_lshlrev_b64 v[11:12], 2, v[11:12]
	s_add_u32 s7, s19, s10
	s_addc_u32 s19, s25, s11
	s_delay_alu instid0(VALU_DEP_2)
	v_add_co_u32 v14, vcc_lo, s7, v1
	v_add_co_ci_u32_e32 v15, vcc_lo, s19, v2, vcc_lo
	v_add_co_u32 v16, vcc_lo, s7, v3
	v_add_co_ci_u32_e32 v17, vcc_lo, s19, v4, vcc_lo
	;; [unrolled: 2-line block ×3, first 2 shown]
	s_clause 0x2
	global_load_b32 v23, v[14:15], off
	global_load_b32 v24, v[16:17], off
	;; [unrolled: 1-line block ×3, first 2 shown]
	v_ashrrev_i32_e32 v14, 31, v13
	v_add_co_u32 v15, vcc_lo, s7, v7
	v_add_co_ci_u32_e32 v16, vcc_lo, s19, v8, vcc_lo
	v_add_co_u32 v17, vcc_lo, s7, v9
	s_delay_alu instid0(VALU_DEP_4) | instskip(SKIP_3) | instid1(VALU_DEP_4)
	v_lshlrev_b64 v[13:14], 2, v[13:14]
	v_add_co_ci_u32_e32 v18, vcc_lo, s19, v10, vcc_lo
	v_add_co_u32 v19, vcc_lo, s7, v11
	v_add_co_ci_u32_e32 v20, vcc_lo, s19, v12, vcc_lo
	v_add_co_u32 v21, vcc_lo, s7, v13
	v_add_co_ci_u32_e32 v22, vcc_lo, s19, v14, vcc_lo
	s_clause 0x3
	global_load_b32 v15, v[15:16], off
	global_load_b32 v16, v[17:18], off
	;; [unrolled: 1-line block ×4, first 2 shown]
	s_add_u32 s7, s8, s20
	s_addc_u32 s8, s9, s21
	s_add_u32 s7, s7, s10
	s_addc_u32 s8, s8, s11
	v_add_co_u32 v1, vcc_lo, s7, v1
	v_add_co_ci_u32_e32 v2, vcc_lo, s8, v2, vcc_lo
	v_add_co_u32 v3, vcc_lo, s7, v3
	v_add_co_ci_u32_e32 v4, vcc_lo, s8, v4, vcc_lo
	;; [unrolled: 2-line block ×5, first 2 shown]
	s_clause 0x4
	global_load_b32 v19, v[1:2], off
	global_load_b32 v3, v[3:4], off
	;; [unrolled: 1-line block ×5, first 2 shown]
	v_add_co_u32 v1, vcc_lo, s7, v11
	v_add_co_ci_u32_e32 v2, vcc_lo, s8, v12, vcc_lo
	global_load_b32 v7, v[1:2], off
	v_add_co_u32 v1, vcc_lo, s7, v13
	v_add_co_ci_u32_e32 v2, vcc_lo, s8, v14, vcc_lo
	s_mov_b32 s7, exec_lo
	global_load_b32 v1, v[1:2], off
	v_mbcnt_lo_u32_b32 v2, -1, 0
	s_delay_alu instid0(VALU_DEP_1)
	v_xor_b32_e32 v8, 16, v2
	v_xor_b32_e32 v11, 8, v2
	v_xor_b32_e32 v12, 4, v2
	v_xor_b32_e32 v13, 2, v2
	v_xor_b32_e32 v14, 1, v2
	v_cmp_gt_i32_e32 vcc_lo, 32, v8
	v_cndmask_b32_e32 v8, v2, v8, vcc_lo
	v_cmp_gt_i32_e32 vcc_lo, 32, v11
	v_cndmask_b32_e32 v11, v2, v11, vcc_lo
	;; [unrolled: 2-line block ×4, first 2 shown]
	v_cmp_gt_i32_e32 vcc_lo, 32, v14
	s_delay_alu instid0(VALU_DEP_2) | instskip(NEXT) | instid1(VALU_DEP_1)
	v_dual_cndmask_b32 v2, v2, v14 :: v_dual_lshlrev_b32 v13, 2, v13
	v_lshlrev_b32_e32 v2, 2, v2
	v_lshlrev_b32_e32 v11, 2, v11
	;; [unrolled: 1-line block ×3, first 2 shown]
	s_waitcnt vmcnt(11)
	v_max3_f32 v9, v23, v24, v25
	s_waitcnt vmcnt(9)
	s_delay_alu instid0(VALU_DEP_1) | instskip(SKIP_1) | instid1(VALU_DEP_1)
	v_max3_f32 v9, v9, v15, v16
	s_waitcnt vmcnt(7)
	v_max3_f32 v9, v9, v17, v18
	ds_bpermute_b32 v10, v8, v9
	s_waitcnt lgkmcnt(0)
	v_max_f32_e32 v10, v10, v10
	s_delay_alu instid0(VALU_DEP_1) | instskip(SKIP_3) | instid1(VALU_DEP_1)
	v_max_f32_e32 v9, v9, v10
	ds_bpermute_b32 v10, v11, v9
	s_waitcnt lgkmcnt(0)
	v_max_f32_e32 v10, v10, v10
	v_dual_max_f32 v9, v9, v10 :: v_dual_lshlrev_b32 v12, 2, v12
	ds_bpermute_b32 v10, v12, v9
	s_waitcnt lgkmcnt(0)
	v_max_f32_e32 v10, v10, v10
	s_delay_alu instid0(VALU_DEP_1) | instskip(SKIP_3) | instid1(VALU_DEP_1)
	v_max_f32_e32 v9, v9, v10
	ds_bpermute_b32 v10, v13, v9
	s_waitcnt lgkmcnt(0)
	v_max_f32_e32 v10, v10, v10
	v_max_f32_e32 v9, v9, v10
	ds_bpermute_b32 v10, v2, v9
	s_waitcnt lgkmcnt(0)
	v_max_f32_e32 v10, v10, v10
	s_delay_alu instid0(VALU_DEP_1) | instskip(SKIP_1) | instid1(VALU_DEP_2)
	v_max_f32_e32 v9, v9, v10
	v_sub_nc_u32_e32 v10, s40, v0
	v_sub_f32_e32 v20, v24, v9
	v_sub_f32_e32 v21, v25, v9
	;; [unrolled: 1-line block ×4, first 2 shown]
	s_delay_alu instid0(VALU_DEP_4) | instskip(NEXT) | instid1(VALU_DEP_3)
	v_dual_sub_f32 v17, v17, v9 :: v_dual_mul_f32 v22, 0x3fb8aa3b, v20
	v_mul_f32_e32 v24, 0x3fb8aa3b, v15
	s_delay_alu instid0(VALU_DEP_3) | instskip(NEXT) | instid1(VALU_DEP_3)
	v_cmp_ngt_f32_e32 vcc_lo, 0xc2ce8ed0, v14
	v_rndne_f32_e32 v31, v22
	v_mul_f32_e32 v23, 0x3fb8aa3b, v21
	v_fma_f32 v30, 0x3fb8aa3b, v20, -v22
	v_fma_f32 v34, 0x3fb8aa3b, v15, -v24
	v_rndne_f32_e32 v35, v24
	v_sub_f32_e32 v22, v22, v31
	v_fma_f32 v32, 0x3fb8aa3b, v21, -v23
	v_rndne_f32_e32 v33, v23
	v_fmac_f32_e32 v34, 0x32a5705f, v15
	v_sub_f32_e32 v24, v24, v35
	v_fmac_f32_e32 v30, 0x32a5705f, v20
	v_fmac_f32_e32 v32, 0x32a5705f, v21
	v_sub_f32_e32 v23, v23, v33
	v_sub_f32_e32 v16, v16, v9
	v_dual_sub_f32 v9, v18, v9 :: v_dual_mul_f32 v18, 0x3fb8aa3b, v14
	v_cvt_i32_f32_e32 v31, v31
	s_delay_alu instid0(VALU_DEP_4) | instskip(NEXT) | instid1(VALU_DEP_4)
	v_add_f32_e32 v23, v23, v32
	v_dual_mul_f32 v25, 0x3fb8aa3b, v16 :: v_dual_add_f32 v24, v24, v34
	s_delay_alu instid0(VALU_DEP_4) | instskip(SKIP_1) | instid1(VALU_DEP_4)
	v_fma_f32 v28, 0x3fb8aa3b, v14, -v18
	v_rndne_f32_e32 v29, v18
	v_exp_f32_e32 v23, v23
	s_delay_alu instid0(VALU_DEP_3) | instskip(SKIP_4) | instid1(VALU_DEP_4)
	v_fma_f32 v36, 0x3fb8aa3b, v16, -v25
	v_rndne_f32_e32 v37, v25
	v_fmac_f32_e32 v28, 0x32a5705f, v14
	v_mul_f32_e32 v26, 0x3fb8aa3b, v17
	v_sub_f32_e32 v18, v18, v29
	v_dual_fmac_f32 v36, 0x32a5705f, v16 :: v_dual_sub_f32 v25, v25, v37
	v_cvt_i32_f32_e32 v29, v29
	s_delay_alu instid0(VALU_DEP_4)
	v_rndne_f32_e32 v39, v26
	v_mul_f32_e32 v27, 0x3fb8aa3b, v9
	v_fma_f32 v38, 0x3fb8aa3b, v17, -v26
	v_add_f32_e32 v25, v25, v36
	v_add_f32_e32 v18, v18, v28
	v_sub_f32_e32 v26, v26, v39
	v_rndne_f32_e32 v41, v27
	v_fma_f32 v40, 0x3fb8aa3b, v9, -v27
	v_exp_f32_e32 v25, v25
	v_cvt_i32_f32_e32 v28, v37
	v_exp_f32_e32 v18, v18
	v_sub_f32_e32 v27, v27, v41
	v_cvt_i32_f32_e32 v33, v33
	v_exp_f32_e32 v24, v24
	v_cvt_i32_f32_e32 v35, v35
	v_cvt_i32_f32_e32 v32, v41
	s_delay_alu instid0(VALU_DEP_3) | instskip(NEXT) | instid1(TRANS32_DEP_3)
	v_ldexp_f32 v23, v23, v33
	v_ldexp_f32 v25, v25, v28
	v_add_f32_e32 v22, v22, v30
	s_delay_alu instid0(TRANS32_DEP_2) | instskip(SKIP_1) | instid1(TRANS32_DEP_1)
	v_ldexp_f32 v18, v18, v29
	v_cvt_i32_f32_e32 v30, v39
	v_ldexp_f32 v24, v24, v35
	s_delay_alu instid0(VALU_DEP_4) | instskip(NEXT) | instid1(VALU_DEP_3)
	v_exp_f32_e32 v22, v22
	v_cndmask_b32_e32 v18, 0, v18, vcc_lo
	v_cmp_ngt_f32_e32 vcc_lo, 0xc2ce8ed0, v20
	s_waitcnt_depctr 0xfff
	v_ldexp_f32 v22, v22, v31
	s_delay_alu instid0(VALU_DEP_1) | instskip(SKIP_3) | instid1(VALU_DEP_2)
	v_cndmask_b32_e32 v22, 0, v22, vcc_lo
	v_cmp_ngt_f32_e32 vcc_lo, 0xc2ce8ed0, v21
	v_dual_fmac_f32 v40, 0x32a5705f, v9 :: v_dual_cndmask_b32 v23, 0, v23
	v_cmp_ngt_f32_e32 vcc_lo, 0xc2ce8ed0, v15
	v_dual_fmac_f32 v38, 0x32a5705f, v17 :: v_dual_add_f32 v27, v27, v40
	v_cndmask_b32_e32 v24, 0, v24, vcc_lo
	v_cmp_ngt_f32_e32 vcc_lo, 0xc2ce8ed0, v16
	s_delay_alu instid0(VALU_DEP_3)
	v_exp_f32_e32 v27, v27
	v_cndmask_b32_e32 v25, 0, v25, vcc_lo
	v_cmp_nlt_f32_e32 vcc_lo, 0x42b17218, v14
	v_cndmask_b32_e32 v14, 0x7f800000, v18, vcc_lo
	v_cmp_nlt_f32_e32 vcc_lo, 0x42b17218, v20
	;; [unrolled: 2-line block ×4, first 2 shown]
	v_dual_add_f32 v26, v26, v38 :: v_dual_cndmask_b32 v15, 0x7f800000, v24
	v_cmp_nlt_f32_e32 vcc_lo, 0x42b17218, v16
	s_delay_alu instid0(VALU_DEP_2)
	v_exp_f32_e32 v26, v26
	v_cndmask_b32_e32 v16, 0x7f800000, v25, vcc_lo
	v_cmp_lt_i32_e32 vcc_lo, 0, v10
	v_cndmask_b32_e32 v14, 0, v14, vcc_lo
	v_cmp_lt_i32_e32 vcc_lo, 32, v10
	s_waitcnt_depctr 0xfff
	v_ldexp_f32 v26, v26, v30
	v_cndmask_b32_e32 v18, 0, v18, vcc_lo
	v_cmp_lt_i32_e32 vcc_lo, 64, v10
	v_cndmask_b32_e32 v20, 0, v20, vcc_lo
	v_cmp_lt_i32_e32 vcc_lo, 0x60, v10
	;; [unrolled: 2-line block ×3, first 2 shown]
	s_waitcnt vmcnt(3)
	s_delay_alu instid0(VALU_DEP_2) | instskip(SKIP_2) | instid1(VALU_DEP_2)
	v_dual_mul_f32 v5, v5, v15 :: v_dual_cndmask_b32 v16, 0, v16
	v_cmp_ngt_f32_e32 vcc_lo, 0xc2ce8ed0, v17
	s_waitcnt vmcnt(2)
	v_dual_mul_f32 v6, v6, v16 :: v_dual_cndmask_b32 v15, 0, v26
	v_cmp_nlt_f32_e32 vcc_lo, 0x42b17218, v17
	v_mul_f32_e32 v4, v4, v20
	v_ldexp_f32 v16, v27, v32
	s_delay_alu instid0(VALU_DEP_4) | instskip(SKIP_1) | instid1(VALU_DEP_3)
	v_cndmask_b32_e32 v15, 0x7f800000, v15, vcc_lo
	v_cmp_ngt_f32_e32 vcc_lo, 0xc2ce8ed0, v9
	v_cndmask_b32_e32 v16, 0, v16, vcc_lo
	v_cmp_lt_i32_e32 vcc_lo, 0xa0, v10
	s_delay_alu instid0(VALU_DEP_4) | instskip(SKIP_3) | instid1(VALU_DEP_3)
	v_cndmask_b32_e32 v15, 0, v15, vcc_lo
	v_cmp_nlt_f32_e32 vcc_lo, 0x42b17218, v9
	v_mul_f32_e32 v14, v19, v14
	s_waitcnt vmcnt(1)
	v_mul_f32_e32 v7, v7, v15
	v_cndmask_b32_e32 v9, 0x7f800000, v16, vcc_lo
	v_cmp_lt_i32_e32 vcc_lo, 0xc0, v10
	s_delay_alu instid0(VALU_DEP_2) | instskip(SKIP_2) | instid1(VALU_DEP_1)
	v_cndmask_b32_e32 v9, 0, v9, vcc_lo
	v_mul_f32_e32 v3, v3, v18
	s_waitcnt vmcnt(0)
	v_dual_mul_f32 v9, v1, v9 :: v_dual_add_f32 v18, v14, v3
	s_delay_alu instid0(VALU_DEP_1) | instskip(NEXT) | instid1(VALU_DEP_1)
	v_add_f32_e32 v17, v18, v4
	v_add_f32_e32 v16, v17, v5
	s_delay_alu instid0(VALU_DEP_1) | instskip(NEXT) | instid1(VALU_DEP_1)
	v_add_f32_e32 v10, v16, v6
	v_add_f32_e32 v1, v10, v7
	s_delay_alu instid0(VALU_DEP_1)
	v_add_f32_e32 v1, v1, v9
	ds_bpermute_b32 v8, v8, v1
	s_waitcnt lgkmcnt(0)
	v_add_f32_e32 v1, v1, v8
	ds_bpermute_b32 v8, v11, v1
	s_waitcnt lgkmcnt(0)
	;; [unrolled: 3-line block ×4, first 2 shown]
	v_add_f32_e32 v1, v1, v8
	v_lshlrev_b32_e32 v8, 2, v0
	ds_store_2addr_b32 v8, v14, v3 offset1:32
	ds_store_2addr_b32 v8, v4, v5 offset0:64 offset1:96
	ds_store_2addr_b32 v8, v6, v7 offset0:128 offset1:160
	ds_store_b32 v8, v9 offset:768
	ds_bpermute_b32 v2, v2, v1
	v_cmpx_eq_u32_e32 0, v0
	s_cbranch_execz .LBB408_8
; %bb.7:
	s_waitcnt lgkmcnt(0)
	v_dual_add_f32 v1, v1, v2 :: v_dual_mov_b32 v2, 0
	ds_store_b32 v2, v1 offset:896
.LBB408_8:
	s_or_b32 exec_lo, exec_lo, s7
	v_mov_b32_e32 v1, s6
.LBB408_9:
	s_or_b32 exec_lo, exec_lo, s24
	s_lshl_b32 s6, s18, 6
	s_mov_b32 s7, 0
	s_waitcnt lgkmcnt(0)
	v_dual_mov_b32 v2, 0 :: v_dual_lshlrev_b32 v1, 6, v1
	s_lshl_b64 s[6:7], s[6:7], 1
	v_dual_mov_b32 v31, 0 :: v_dual_mov_b32 v32, 0
	s_add_u32 s34, s4, s6
	s_addc_u32 s35, s5, s7
	s_lshl_b32 s41, s40, 6
	v_lshlrev_b64 v[3:4], 1, v[1:2]
	s_sub_i32 s42, s41, 64
	s_cmpk_lt_i32 s22, 0x100
	v_lshlrev_b32_e32 v1, 1, v0
	s_cselect_b32 s4, s42, 0
	v_dual_mov_b32 v33, 0 :: v_dual_mov_b32 v34, 0
	s_ashr_i32 s5, s4, 31
	v_add_co_u32 v3, vcc_lo, s34, v3
	s_lshl_b64 s[4:5], s[4:5], 1
	s_cmpk_lt_i32 s22, 0x200
	v_add_co_ci_u32_e32 v4, vcc_lo, s35, v4, vcc_lo
	s_cselect_b32 s6, s42, 64
	v_add_co_u32 v1, vcc_lo, v3, v1
	s_ashr_i32 s7, s6, 31
	s_delay_alu instid0(VALU_DEP_2)
	v_add_co_ci_u32_e32 v3, vcc_lo, 0, v4, vcc_lo
	s_lshl_b64 s[6:7], s[6:7], 1
	s_cmpk_lt_i32 s22, 0x300
	v_add_co_u32 v4, vcc_lo, v1, s4
	s_cselect_b32 s8, s42, 0x80
	v_add_co_ci_u32_e32 v5, vcc_lo, s5, v3, vcc_lo
	s_ashr_i32 s9, s8, 31
	v_add_co_u32 v6, vcc_lo, v1, s6
	s_lshl_b64 s[8:9], s[8:9], 1
	s_cmpk_lt_i32 s22, 0x400
	v_add_co_ci_u32_e32 v7, vcc_lo, s7, v3, vcc_lo
	s_cselect_b32 s10, s42, 0xc0
	v_add_co_u32 v8, vcc_lo, v1, s8
	s_ashr_i32 s11, s10, 31
	v_add_co_ci_u32_e32 v9, vcc_lo, s9, v3, vcc_lo
	s_lshl_b64 s[10:11], s[10:11], 1
	s_cmpk_lt_i32 s22, 0x500
	v_add_co_u32 v11, vcc_lo, v1, s10
	s_cselect_b32 s18, s42, 0x100
	v_add_co_ci_u32_e32 v12, vcc_lo, s11, v3, vcc_lo
	s_ashr_i32 s19, s18, 31
	v_mov_b32_e32 v35, 0
	s_lshl_b64 s[18:19], s[18:19], 1
	s_cmpk_lt_i32 s22, 0x600
	v_add_co_u32 v14, vcc_lo, v1, s18
	s_cselect_b32 s20, s42, 0x140
	v_add_co_ci_u32_e32 v15, vcc_lo, s19, v3, vcc_lo
	s_ashr_i32 s21, s20, 31
	v_mov_b32_e32 v30, 0
	s_lshl_b64 s[20:21], s[20:21], 1
	s_cmpk_lt_i32 s22, 0x700
	v_add_co_u32 v16, vcc_lo, v1, s20
	s_cselect_b32 s24, s42, 0x180
	v_add_co_ci_u32_e32 v17, vcc_lo, s21, v3, vcc_lo
	s_ashr_i32 s25, s24, 31
	s_delay_alu instid0(SALU_CYCLE_1)
	s_lshl_b64 s[24:25], s[24:25], 1
	s_cmpk_lt_i32 s22, 0x800
	v_add_co_u32 v18, vcc_lo, v1, s24
	s_cselect_b32 s26, s42, 0x1c0
	v_add_co_ci_u32_e32 v19, vcc_lo, s25, v3, vcc_lo
	s_ashr_i32 s27, s26, 31
	s_delay_alu instid0(SALU_CYCLE_1)
	s_lshl_b64 s[26:27], s[26:27], 1
	s_cmpk_lt_i32 s22, 0x900
	v_add_co_u32 v20, vcc_lo, v1, s26
	s_cselect_b32 s28, s42, 0x200
	v_add_co_ci_u32_e32 v21, vcc_lo, s27, v3, vcc_lo
	s_ashr_i32 s29, s28, 31
	s_clause 0x7
	global_load_u16 v13, v[4:5], off
	global_load_u16 v4, v[6:7], off
	;; [unrolled: 1-line block ×8, first 2 shown]
	s_lshl_b64 s[28:29], s[28:29], 1
	s_cmpk_lt_i32 s22, 0xa00
	v_add_co_u32 v11, vcc_lo, v1, s28
	s_cselect_b32 s30, s42, 0x240
	v_add_co_ci_u32_e32 v12, vcc_lo, s29, v3, vcc_lo
	s_ashr_i32 s31, s30, 31
	s_delay_alu instid0(SALU_CYCLE_1)
	s_lshl_b64 s[30:31], s[30:31], 1
	s_cmpk_lt_i32 s22, 0xb00
	v_add_co_u32 v14, vcc_lo, v1, s30
	s_cselect_b32 s34, s42, 0x280
	v_add_co_ci_u32_e32 v15, vcc_lo, s31, v3, vcc_lo
	s_ashr_i32 s35, s34, 31
	s_delay_alu instid0(SALU_CYCLE_1)
	;; [unrolled: 7-line block ×7, first 2 shown]
	s_lshl_b64 s[4:5], s[6:7], 1
	s_cmpk_gt_i32 s23, 0x1000
	v_add_co_u32 v28, vcc_lo, v1, s4
	v_add_co_ci_u32_e32 v29, vcc_lo, s5, v3, vcc_lo
	s_clause 0x7
	global_load_u16 v19, v[11:12], off
	global_load_u16 v18, v[14:15], off
	;; [unrolled: 1-line block ×8, first 2 shown]
	v_dual_mov_b32 v20, 0 :: v_dual_mov_b32 v21, 0
	v_dual_mov_b32 v22, 0 :: v_dual_mov_b32 v23, 0
	v_dual_mov_b32 v24, 0 :: v_dual_mov_b32 v25, 0
	v_dual_mov_b32 v26, 0 :: v_dual_mov_b32 v27, 0
	v_dual_mov_b32 v28, 0 :: v_dual_mov_b32 v29, 0
	s_cselect_b32 s6, -1, 0
	s_cmpk_lt_i32 s23, 0x1001
	s_waitcnt vmcnt(0)
	s_barrier
	buffer_gl0_inv
	s_cbranch_scc1 .LBB408_11
; %bb.10:
	s_cmpk_lt_i32 s22, 0x1100
	s_cselect_b32 s4, s42, 0x400
	s_delay_alu instid0(SALU_CYCLE_1) | instskip(NEXT) | instid1(SALU_CYCLE_1)
	s_ashr_i32 s5, s4, 31
	s_lshl_b64 s[4:5], s[4:5], 1
	s_cmpk_lt_i32 s22, 0x1200
	v_add_co_u32 v20, vcc_lo, v1, s4
	s_cselect_b32 s8, s42, 0x440
	v_add_co_ci_u32_e32 v21, vcc_lo, s5, v3, vcc_lo
	s_ashr_i32 s9, s8, 31
	s_delay_alu instid0(SALU_CYCLE_1)
	s_lshl_b64 s[8:9], s[8:9], 1
	s_cmpk_lt_i32 s22, 0x1300
	v_add_co_u32 v22, vcc_lo, v1, s8
	s_cselect_b32 s10, s42, 0x480
	v_add_co_ci_u32_e32 v23, vcc_lo, s9, v3, vcc_lo
	s_ashr_i32 s11, s10, 31
	s_delay_alu instid0(SALU_CYCLE_1)
	;; [unrolled: 7-line block ×14, first 2 shown]
	s_lshl_b64 s[4:5], s[18:19], 1
	s_cmpk_lt_i32 s22, 0x2000
	v_add_co_u32 v48, vcc_lo, v1, s4
	s_cselect_b32 s8, s42, 0x7c0
	v_add_co_ci_u32_e32 v49, vcc_lo, s5, v3, vcc_lo
	s_ashr_i32 s9, s8, 31
	s_delay_alu instid0(SALU_CYCLE_1) | instskip(NEXT) | instid1(SALU_CYCLE_1)
	s_lshl_b64 s[4:5], s[8:9], 1
	v_add_co_u32 v50, vcc_lo, v1, s4
	v_add_co_ci_u32_e32 v51, vcc_lo, s5, v3, vcc_lo
	s_clause 0xf
	global_load_u16 v20, v[20:21], off
	global_load_u16 v21, v[22:23], off
	;; [unrolled: 1-line block ×16, first 2 shown]
	s_waitcnt vmcnt(15)
	v_lshlrev_b32_e32 v35, 16, v20
	s_waitcnt vmcnt(14)
	v_lshlrev_b32_e32 v34, 16, v21
	;; [unrolled: 2-line block ×16, first 2 shown]
.LBB408_11:
	ds_load_b128 v[36:39], v2
	ds_load_b128 v[40:43], v2 offset:16
	v_lshlrev_b32_e32 v44, 16, v4
	v_lshlrev_b32_e32 v13, 16, v13
	;; [unrolled: 1-line block ×5, first 2 shown]
	s_load_b64 s[0:1], s[0:1], 0x0
	s_and_b32 vcc_lo, exec_lo, s6
	v_lshlrev_b32_e32 v5, 16, v5
	s_waitcnt lgkmcnt(0)
	v_fma_f32 v4, v36, v13, 0
	s_delay_alu instid0(VALU_DEP_1) | instskip(NEXT) | instid1(VALU_DEP_1)
	v_dual_fmac_f32 v4, v37, v44 :: v_dual_lshlrev_b32 v13, 16, v7
	v_dual_fmac_f32 v4, v38, v10 :: v_dual_lshlrev_b32 v9, 16, v9
	s_delay_alu instid0(VALU_DEP_1) | instskip(SKIP_4) | instid1(VALU_DEP_1)
	v_fmac_f32_e32 v4, v39, v9
	ds_load_b128 v[36:39], v2 offset:48
	v_fmac_f32_e32 v4, v40, v8
	ds_load_b128 v[7:10], v2 offset:32
	v_fmac_f32_e32 v4, v41, v13
	v_fmac_f32_e32 v4, v42, v6
	v_lshlrev_b32_e32 v6, 16, v19
	s_delay_alu instid0(VALU_DEP_2) | instskip(SKIP_1) | instid1(VALU_DEP_1)
	v_dual_fmac_f32 v4, v43, v5 :: v_dual_lshlrev_b32 v5, 16, v18
	s_waitcnt lgkmcnt(0)
	v_fmac_f32_e32 v4, v7, v6
	v_lshlrev_b32_e32 v6, 16, v17
	s_delay_alu instid0(VALU_DEP_2) | instskip(NEXT) | instid1(VALU_DEP_1)
	v_dual_fmac_f32 v4, v8, v5 :: v_dual_lshlrev_b32 v5, 16, v16
	v_fmac_f32_e32 v4, v9, v6
	v_lshlrev_b32_e32 v6, 16, v15
	s_delay_alu instid0(VALU_DEP_2) | instskip(NEXT) | instid1(VALU_DEP_1)
	v_dual_fmac_f32 v4, v10, v5 :: v_dual_lshlrev_b32 v5, 16, v14
	;; [unrolled: 4-line block ×3, first 2 shown]
	v_fmac_f32_e32 v4, v38, v6
	s_delay_alu instid0(VALU_DEP_1)
	v_fmac_f32_e32 v4, v39, v5
	s_cbranch_vccz .LBB408_13
; %bb.12:
	ds_load_b128 v[5:8], v2 offset:64
	ds_load_b128 v[9:12], v2 offset:80
	s_waitcnt lgkmcnt(1)
	v_fmac_f32_e32 v4, v5, v35
	s_delay_alu instid0(VALU_DEP_1) | instskip(NEXT) | instid1(VALU_DEP_1)
	v_fmac_f32_e32 v4, v6, v34
	v_fmac_f32_e32 v4, v7, v33
	s_delay_alu instid0(VALU_DEP_1) | instskip(SKIP_3) | instid1(VALU_DEP_1)
	v_fmac_f32_e32 v4, v8, v32
	ds_load_b128 v[5:8], v2 offset:96
	s_waitcnt lgkmcnt(1)
	v_fmac_f32_e32 v4, v9, v31
	v_fmac_f32_e32 v4, v10, v30
	s_delay_alu instid0(VALU_DEP_1) | instskip(NEXT) | instid1(VALU_DEP_1)
	v_fmac_f32_e32 v4, v11, v29
	v_fmac_f32_e32 v4, v12, v28
	ds_load_b128 v[9:12], v2 offset:112
	s_waitcnt lgkmcnt(1)
	v_fmac_f32_e32 v4, v5, v27
	s_delay_alu instid0(VALU_DEP_1) | instskip(NEXT) | instid1(VALU_DEP_1)
	v_fmac_f32_e32 v4, v6, v26
	v_fmac_f32_e32 v4, v7, v25
	s_delay_alu instid0(VALU_DEP_1) | instskip(SKIP_1) | instid1(VALU_DEP_1)
	v_fmac_f32_e32 v4, v8, v24
	s_waitcnt lgkmcnt(0)
	v_fmac_f32_e32 v4, v9, v23
	s_delay_alu instid0(VALU_DEP_1) | instskip(NEXT) | instid1(VALU_DEP_1)
	v_fmac_f32_e32 v4, v10, v22
	v_fmac_f32_e32 v4, v11, v21
	s_delay_alu instid0(VALU_DEP_1)
	v_fmac_f32_e32 v4, v12, v20
.LBB408_13:
	s_movk_i32 s43, 0xfc0
	s_movk_i32 s44, 0x80
	s_mov_b32 s45, 32
	s_branch .LBB408_15
.LBB408_14:                             ;   in Loop: Header=BB408_15 Depth=1
	s_addk_i32 s43, 0x800
	s_addk_i32 s44, 0x80
	s_add_i32 s45, s45, 32
	s_cmpk_eq_i32 s43, 0x3fc0
	s_cbranch_scc1 .LBB408_17
.LBB408_15:                             ; =>This Inner Loop Header: Depth=1
	s_cmp_le_i32 s40, s45
	s_cbranch_scc1 .LBB408_14
; %bb.16:                               ;   in Loop: Header=BB408_15 Depth=1
	s_add_i32 s4, s43, 0xfffff840
	v_mov_b32_e32 v44, s44
	s_cmp_lt_i32 s4, s41
	s_cselect_b32 s4, s4, s42
	s_add_i32 s6, s43, 0xfffff880
	s_ashr_i32 s5, s4, 31
	s_delay_alu instid0(SALU_CYCLE_1)
	s_lshl_b64 s[38:39], s[4:5], 1
	s_cmp_lt_i32 s6, s41
	v_add_co_u32 v5, vcc_lo, v1, s38
	s_cselect_b32 s4, s6, s42
	s_add_i32 s6, s43, 0xfffff8c0
	s_ashr_i32 s5, s4, 31
	v_add_co_ci_u32_e32 v6, vcc_lo, s39, v3, vcc_lo
	s_lshl_b64 s[4:5], s[4:5], 1
	s_cmp_lt_i32 s6, s41
	s_cselect_b32 s6, s6, s42
	s_add_i32 s8, s43, 0xfffff900
	s_ashr_i32 s7, s6, 31
	global_load_u16 v2, v[5:6], off
	s_lshl_b64 s[6:7], s[6:7], 1
	s_cmp_lt_i32 s8, s41
	v_add_co_u32 v5, vcc_lo, v1, s4
	s_cselect_b32 s8, s8, s42
	s_add_i32 s10, s43, 0xfffff940
	s_ashr_i32 s9, s8, 31
	v_add_co_ci_u32_e32 v6, vcc_lo, s5, v3, vcc_lo
	s_lshl_b64 s[8:9], s[8:9], 1
	s_cmp_lt_i32 s10, s41
	v_add_co_u32 v7, vcc_lo, v1, s6
	s_cselect_b32 s10, s10, s42
	s_add_i32 s18, s43, 0xfffff980
	s_ashr_i32 s11, s10, 31
	v_add_co_ci_u32_e32 v8, vcc_lo, s7, v3, vcc_lo
	s_lshl_b64 s[10:11], s[10:11], 1
	s_cmp_lt_i32 s18, s41
	v_add_co_u32 v9, vcc_lo, v1, s8
	s_cselect_b32 s18, s18, s42
	s_add_i32 s20, s43, 0xfffff9c0
	s_ashr_i32 s19, s18, 31
	s_clause 0x1
	global_load_u16 v23, v[5:6], off
	global_load_u16 v24, v[7:8], off
	s_lshl_b64 s[18:19], s[18:19], 1
	s_cmp_lt_i32 s20, s41
	v_add_co_ci_u32_e32 v10, vcc_lo, s9, v3, vcc_lo
	s_cselect_b32 s20, s20, s42
	s_add_i32 s22, s43, 0xfffffa00
	s_ashr_i32 s21, s20, 31
	global_load_u16 v25, v[9:10], off
	s_lshl_b64 s[20:21], s[20:21], 1
	s_cmp_lt_i32 s22, s41
	v_add_co_u32 v11, vcc_lo, v1, s10
	s_cselect_b32 s22, s22, s42
	s_add_i32 s24, s43, 0xfffffa40
	s_ashr_i32 s23, s22, 31
	v_add_co_ci_u32_e32 v12, vcc_lo, s11, v3, vcc_lo
	s_lshl_b64 s[22:23], s[22:23], 1
	s_cmp_lt_i32 s24, s41
	v_add_co_u32 v13, vcc_lo, v1, s18
	global_load_u16 v26, v[11:12], off
	s_cselect_b32 s24, s24, s42
	s_add_i32 s26, s43, 0xfffffa80
	s_ashr_i32 s25, s24, 31
	v_add_co_ci_u32_e32 v14, vcc_lo, s19, v3, vcc_lo
	s_lshl_b64 s[24:25], s[24:25], 1
	s_cmp_lt_i32 s26, s41
	v_add_co_u32 v15, vcc_lo, v1, s20
	global_load_u16 v27, v[13:14], off
	s_cselect_b32 s26, s26, s42
	s_add_i32 s28, s43, 0xfffffac0
	s_ashr_i32 s27, s26, 31
	v_add_co_ci_u32_e32 v16, vcc_lo, s21, v3, vcc_lo
	s_lshl_b64 s[36:37], s[26:27], 1
	s_cmp_lt_i32 s28, s41
	v_add_co_u32 v17, vcc_lo, v1, s22
	s_cselect_b32 s26, s28, s42
	s_add_i32 s30, s43, 0xfffffb00
	s_ashr_i32 s27, s26, 31
	v_add_co_ci_u32_e32 v18, vcc_lo, s23, v3, vcc_lo
	s_lshl_b64 s[28:29], s[26:27], 1
	s_cmp_lt_i32 s30, s41
	v_add_co_u32 v19, vcc_lo, v1, s24
	global_load_u16 v17, v[17:18], off
	s_cselect_b32 s26, s30, s42
	s_add_i32 s30, s43, 0xfffffb40
	s_ashr_i32 s27, s26, 31
	v_add_co_ci_u32_e32 v20, vcc_lo, s25, v3, vcc_lo
	s_lshl_b64 s[26:27], s[26:27], 1
	s_cmp_lt_i32 s30, s41
	v_add_co_u32 v21, vcc_lo, v1, s36
	s_cselect_b32 s30, s30, s42
	s_add_i32 s46, s43, 0xfffffb80
	s_ashr_i32 s31, s30, 31
	v_add_co_ci_u32_e32 v22, vcc_lo, s37, v3, vcc_lo
	s_lshl_b64 s[34:35], s[30:31], 1
	s_cmp_lt_i32 s46, s41
	v_add_co_u32 v5, vcc_lo, v1, s28
	;; [unrolled: 7-line block ×3, first 2 shown]
	s_cselect_b32 s46, s46, s42
	s_add_i32 s48, s43, 0xfffffc00
	s_ashr_i32 s47, s46, 31
	global_load_u16 v28, v[15:16], off
	s_lshl_b64 s[38:39], s[46:47], 1
	s_cmp_lt_i32 s48, s41
	v_add_co_ci_u32_e32 v8, vcc_lo, s27, v3, vcc_lo
	s_cselect_b32 s46, s48, s42
	v_add_co_u32 v9, vcc_lo, v1, s34
	s_ashr_i32 s47, s46, 31
	s_add_i32 s4, s43, 0xfffffc40
	s_lshl_b64 s[46:47], s[46:47], 1
	v_add_co_ci_u32_e32 v10, vcc_lo, s35, v3, vcc_lo
	s_cmp_lt_i32 s4, s41
	v_add_co_u32 v11, vcc_lo, v1, s30
	s_cselect_b32 s4, s4, s42
	v_add_co_ci_u32_e32 v12, vcc_lo, s31, v3, vcc_lo
	v_add_co_u32 v13, vcc_lo, v1, s38
	s_ashr_i32 s5, s4, 31
	s_add_i32 s6, s43, 0xfffffc80
	v_add_co_ci_u32_e32 v14, vcc_lo, s39, v3, vcc_lo
	global_load_u16 v18, v[19:20], off
	s_lshl_b64 s[8:9], s[4:5], 1
	s_cmp_lt_i32 s6, s41
	global_load_u16 v30, v[13:14], off
	s_cselect_b32 s4, s6, s42
	global_load_u16 v19, v[21:22], off
	s_ashr_i32 s5, s4, 31
	s_add_i32 s6, s43, 0xfffffcc0
	s_lshl_b64 s[10:11], s[4:5], 1
	s_cmp_lt_i32 s6, s41
	s_clause 0x3
	global_load_u16 v20, v[5:6], off
	global_load_u16 v21, v[7:8], off
	;; [unrolled: 1-line block ×4, first 2 shown]
	s_cselect_b32 s4, s6, s42
	s_add_i32 s6, s43, 0xfffffd00
	s_ashr_i32 s5, s4, 31
	v_add_co_u32 v15, vcc_lo, v1, s46
	s_lshl_b64 s[4:5], s[4:5], 1
	s_cmp_lt_i32 s6, s41
	v_add_co_ci_u32_e32 v16, vcc_lo, s47, v3, vcc_lo
	s_cselect_b32 s6, s6, s42
	s_add_i32 s18, s43, 0xfffffd40
	s_ashr_i32 s7, s6, 31
	v_add_co_u32 v5, vcc_lo, v1, s8
	s_lshl_b64 s[6:7], s[6:7], 1
	s_cmp_lt_i32 s18, s41
	v_add_co_ci_u32_e32 v6, vcc_lo, s9, v3, vcc_lo
	s_cselect_b32 s18, s18, s42
	v_add_co_u32 v7, vcc_lo, v1, s10
	s_ashr_i32 s19, s18, 31
	s_add_i32 s20, s43, 0xfffffd80
	s_lshl_b64 s[18:19], s[18:19], 1
	v_add_co_ci_u32_e32 v8, vcc_lo, s11, v3, vcc_lo
	s_cmp_lt_i32 s20, s41
	v_add_co_u32 v9, vcc_lo, v1, s4
	s_cselect_b32 s20, s20, s42
	v_add_co_ci_u32_e32 v10, vcc_lo, s5, v3, vcc_lo
	v_add_co_u32 v11, vcc_lo, v1, s6
	s_ashr_i32 s21, s20, 31
	s_add_i32 s22, s43, 0xfffffdc0
	v_add_co_ci_u32_e32 v12, vcc_lo, s7, v3, vcc_lo
	global_load_u16 v15, v[15:16], off
	s_lshl_b64 s[20:21], s[20:21], 1
	s_cmp_lt_i32 s22, s41
	global_load_u16 v33, v[11:12], off
	s_cselect_b32 s22, s22, s42
	s_clause 0x2
	global_load_u16 v16, v[5:6], off
	global_load_u16 v31, v[7:8], off
	;; [unrolled: 1-line block ×3, first 2 shown]
	s_ashr_i32 s23, s22, 31
	s_add_i32 s24, s43, 0xfffffe00
	s_lshl_b64 s[22:23], s[22:23], 1
	s_cmp_lt_i32 s24, s41
	v_add_co_u32 v13, vcc_lo, v1, s18
	s_cselect_b32 s24, s24, s42
	s_add_i32 s26, s43, 0xfffffe40
	s_ashr_i32 s25, s24, 31
	v_add_co_ci_u32_e32 v14, vcc_lo, s19, v3, vcc_lo
	s_lshl_b64 s[24:25], s[24:25], 1
	s_cmp_lt_i32 s26, s41
	v_add_co_u32 v5, vcc_lo, v1, s20
	s_cselect_b32 s8, s26, s42
	v_add_co_ci_u32_e32 v6, vcc_lo, s21, v3, vcc_lo
	s_ashr_i32 s9, s8, 31
	v_add_co_u32 v7, vcc_lo, v1, s22
	s_add_i32 s10, s43, 0xfffffe80
	s_lshl_b64 s[8:9], s[8:9], 1
	v_add_co_ci_u32_e32 v8, vcc_lo, s23, v3, vcc_lo
	s_cmp_lt_i32 s10, s41
	v_add_co_u32 v9, vcc_lo, v1, s24
	s_cselect_b32 s4, s10, s42
	global_load_u16 v13, v[13:14], off
	v_add_co_ci_u32_e32 v10, vcc_lo, s25, v3, vcc_lo
	s_ashr_i32 s5, s4, 31
	s_add_i32 s6, s43, 0xfffffec0
	s_lshl_b64 s[4:5], s[4:5], 1
	global_load_u16 v35, v[9:10], off
	s_cmp_lt_i32 s6, s41
	s_clause 0x1
	global_load_u16 v14, v[5:6], off
	global_load_u16 v34, v[7:8], off
	s_cselect_b32 s6, s6, s42
	s_add_i32 s10, s43, 0xffffff00
	s_ashr_i32 s7, s6, 31
	v_add_co_u32 v5, vcc_lo, v1, s8
	s_lshl_b64 s[6:7], s[6:7], 1
	s_cmp_lt_i32 s10, s41
	v_add_co_ci_u32_e32 v6, vcc_lo, s9, v3, vcc_lo
	s_cselect_b32 s10, s10, s42
	v_add_co_u32 v7, vcc_lo, v1, s4
	s_ashr_i32 s11, s10, 31
	v_add_co_ci_u32_e32 v8, vcc_lo, s5, v3, vcc_lo
	s_add_i32 s18, s43, 0xffffff40
	s_lshl_b64 s[10:11], s[10:11], 1
	s_cmp_lt_i32 s18, s41
	s_clause 0x1
	global_load_u16 v36, v[5:6], off
	global_load_u16 v37, v[7:8], off
	s_cselect_b32 s18, s18, s42
	v_add_co_u32 v5, vcc_lo, v1, s6
	s_ashr_i32 s19, s18, 31
	v_add_co_ci_u32_e32 v6, vcc_lo, s7, v3, vcc_lo
	s_add_i32 s20, s43, 0xffffff80
	v_add_co_u32 v7, vcc_lo, v1, s10
	s_lshl_b64 s[8:9], s[18:19], 1
	s_cmp_lt_i32 s20, s41
	v_add_co_ci_u32_e32 v8, vcc_lo, s11, v3, vcc_lo
	s_cselect_b32 s4, s20, s42
	global_load_u16 v38, v[5:6], off
	s_ashr_i32 s5, s4, 31
	global_load_u16 v39, v[7:8], off
	s_sub_i32 s18, s43, 64
	v_add_co_u32 v5, vcc_lo, v1, s8
	s_lshl_b64 s[4:5], s[4:5], 1
	s_cmp_lt_i32 s18, s41
	v_add_co_ci_u32_e32 v6, vcc_lo, s9, v3, vcc_lo
	v_add_co_u32 v7, vcc_lo, v1, s4
	s_cselect_b32 s6, s18, s42
	v_add_co_ci_u32_e32 v8, vcc_lo, s5, v3, vcc_lo
	s_ashr_i32 s7, s6, 31
	global_load_u16 v40, v[5:6], off
	s_lshl_b64 s[6:7], s[6:7], 1
	global_load_u16 v41, v[7:8], off
	s_cmp_lt_i32 s43, s41
	v_add_co_u32 v5, vcc_lo, v1, s6
	s_cselect_b32 s4, s43, s42
	v_add_co_ci_u32_e32 v6, vcc_lo, s7, v3, vcc_lo
	s_ashr_i32 s5, s4, 31
	s_delay_alu instid0(SALU_CYCLE_1)
	s_lshl_b64 s[4:5], s[4:5], 1
	global_load_u16 v42, v[5:6], off
	v_add_co_u32 v5, vcc_lo, v1, s4
	v_add_co_ci_u32_e32 v6, vcc_lo, s5, v3, vcc_lo
	global_load_u16 v43, v[5:6], off
	ds_load_b128 v[5:8], v44
	ds_load_b128 v[9:12], v44 offset:16
	s_waitcnt vmcnt(31)
	v_lshlrev_b32_e32 v2, 16, v2
	s_waitcnt lgkmcnt(1)
	s_delay_alu instid0(VALU_DEP_1) | instskip(SKIP_2) | instid1(VALU_DEP_1)
	v_fmac_f32_e32 v4, v5, v2
	s_waitcnt vmcnt(30)
	v_lshlrev_b32_e32 v2, 16, v23
	v_fmac_f32_e32 v4, v6, v2
	s_waitcnt vmcnt(29)
	v_lshlrev_b32_e32 v2, 16, v24
	s_delay_alu instid0(VALU_DEP_1) | instskip(SKIP_2) | instid1(VALU_DEP_1)
	v_fmac_f32_e32 v4, v7, v2
	s_waitcnt vmcnt(28)
	v_lshlrev_b32_e32 v2, 16, v25
	v_fmac_f32_e32 v4, v8, v2
	ds_load_b128 v[5:8], v44 offset:32
	s_waitcnt vmcnt(27)
	v_lshlrev_b32_e32 v2, 16, v26
	s_waitcnt lgkmcnt(1)
	s_delay_alu instid0(VALU_DEP_1) | instskip(SKIP_2) | instid1(VALU_DEP_1)
	v_fmac_f32_e32 v4, v9, v2
	s_waitcnt vmcnt(26)
	v_lshlrev_b32_e32 v2, 16, v27
	v_fmac_f32_e32 v4, v10, v2
	s_waitcnt vmcnt(24)
	v_lshlrev_b32_e32 v2, 16, v28
	s_delay_alu instid0(VALU_DEP_1) | instskip(SKIP_1) | instid1(VALU_DEP_1)
	v_fmac_f32_e32 v4, v11, v2
	v_lshlrev_b32_e32 v2, 16, v17
	v_fmac_f32_e32 v4, v12, v2
	ds_load_b128 v[9:12], v44 offset:48
	s_waitcnt vmcnt(23)
	v_lshlrev_b32_e32 v2, 16, v18
	s_waitcnt lgkmcnt(1)
	s_delay_alu instid0(VALU_DEP_1) | instskip(SKIP_2) | instid1(VALU_DEP_1)
	v_fmac_f32_e32 v4, v5, v2
	s_waitcnt vmcnt(21)
	v_lshlrev_b32_e32 v2, 16, v19
	v_fmac_f32_e32 v4, v6, v2
	s_waitcnt vmcnt(20)
	v_lshlrev_b32_e32 v2, 16, v20
	s_delay_alu instid0(VALU_DEP_1) | instskip(SKIP_2) | instid1(VALU_DEP_1)
	v_fmac_f32_e32 v4, v7, v2
	s_waitcnt vmcnt(19)
	v_lshlrev_b32_e32 v2, 16, v21
	v_fmac_f32_e32 v4, v8, v2
	s_waitcnt vmcnt(18)
	v_lshlrev_b32_e32 v2, 16, v22
	ds_load_b128 v[5:8], v44 offset:64
	s_waitcnt lgkmcnt(1)
	v_fmac_f32_e32 v4, v9, v2
	s_waitcnt vmcnt(17)
	v_lshlrev_b32_e32 v2, 16, v29
	s_delay_alu instid0(VALU_DEP_1) | instskip(SKIP_1) | instid1(VALU_DEP_1)
	v_fmac_f32_e32 v4, v10, v2
	v_lshlrev_b32_e32 v2, 16, v30
	v_fmac_f32_e32 v4, v11, v2
	s_waitcnt vmcnt(16)
	v_lshlrev_b32_e32 v2, 16, v15
	s_delay_alu instid0(VALU_DEP_1) | instskip(SKIP_4) | instid1(VALU_DEP_1)
	v_fmac_f32_e32 v4, v12, v2
	ds_load_b128 v[9:12], v44 offset:80
	s_waitcnt vmcnt(14)
	v_lshlrev_b32_e32 v2, 16, v16
	s_waitcnt lgkmcnt(1)
	v_fmac_f32_e32 v4, v5, v2
	s_waitcnt vmcnt(13)
	v_lshlrev_b32_e32 v2, 16, v31
	s_delay_alu instid0(VALU_DEP_1) | instskip(SKIP_2) | instid1(VALU_DEP_1)
	v_fmac_f32_e32 v4, v6, v2
	s_waitcnt vmcnt(12)
	v_lshlrev_b32_e32 v2, 16, v32
	v_fmac_f32_e32 v4, v7, v2
	v_lshlrev_b32_e32 v2, 16, v33
	s_delay_alu instid0(VALU_DEP_1) | instskip(SKIP_4) | instid1(VALU_DEP_1)
	v_fmac_f32_e32 v4, v8, v2
	ds_load_b128 v[5:8], v44 offset:96
	s_waitcnt vmcnt(11)
	v_lshlrev_b32_e32 v2, 16, v13
	s_waitcnt lgkmcnt(1)
	v_fmac_f32_e32 v4, v9, v2
	s_waitcnt vmcnt(9)
	v_lshlrev_b32_e32 v2, 16, v14
	s_delay_alu instid0(VALU_DEP_1) | instskip(SKIP_2) | instid1(VALU_DEP_1)
	v_fmac_f32_e32 v4, v10, v2
	s_waitcnt vmcnt(8)
	v_lshlrev_b32_e32 v2, 16, v34
	v_fmac_f32_e32 v4, v11, v2
	;; [unrolled: 15-line block ×3, first 2 shown]
	s_waitcnt vmcnt(4)
	v_lshlrev_b32_e32 v2, 16, v39
	s_delay_alu instid0(VALU_DEP_1) | instskip(SKIP_3) | instid1(VALU_DEP_1)
	v_fmac_f32_e32 v4, v8, v2
	s_waitcnt vmcnt(3)
	v_lshlrev_b32_e32 v2, 16, v40
	s_waitcnt lgkmcnt(0)
	v_fmac_f32_e32 v4, v9, v2
	s_waitcnt vmcnt(2)
	v_lshlrev_b32_e32 v2, 16, v41
	s_delay_alu instid0(VALU_DEP_1) | instskip(SKIP_2) | instid1(VALU_DEP_1)
	v_fmac_f32_e32 v4, v10, v2
	s_waitcnt vmcnt(1)
	v_lshlrev_b32_e32 v2, 16, v42
	v_fmac_f32_e32 v4, v11, v2
	s_waitcnt vmcnt(0)
	v_lshlrev_b32_e32 v2, 16, v43
	s_delay_alu instid0(VALU_DEP_1)
	v_fmac_f32_e32 v4, v12, v2
	s_branch .LBB408_14
.LBB408_17:
	v_mov_b32_e32 v1, 0
	s_and_b32 vcc_lo, exec_lo, s15
	ds_load_b32 v1, v1 offset:896
	s_cbranch_vccz .LBB408_19
; %bb.18:
	s_add_u32 s2, s12, s16
	s_addc_u32 s3, s13, s17
	s_load_b32 s2, s[2:3], 0x0
	s_mov_b32 s3, 0
.LBB408_19:
	s_waitcnt lgkmcnt(0)
	v_add_f32_e32 v1, 0x358637bd, v1
	s_delay_alu instid0(VALU_DEP_1) | instskip(NEXT) | instid1(VALU_DEP_1)
	v_div_scale_f32 v2, null, v1, v1, 1.0
	v_rcp_f32_e32 v3, v2
	s_waitcnt_depctr 0xfff
	v_fma_f32 v5, -v2, v3, 1.0
	s_delay_alu instid0(VALU_DEP_1) | instskip(SKIP_1) | instid1(VALU_DEP_1)
	v_fmac_f32_e32 v3, v5, v3
	v_div_scale_f32 v5, vcc_lo, 1.0, v1, 1.0
	v_mul_f32_e32 v6, v5, v3
	s_delay_alu instid0(VALU_DEP_1) | instskip(NEXT) | instid1(VALU_DEP_1)
	v_fma_f32 v7, -v2, v6, v5
	v_fmac_f32_e32 v6, v7, v3
	s_delay_alu instid0(VALU_DEP_1) | instskip(NEXT) | instid1(VALU_DEP_1)
	v_fma_f32 v2, -v2, v6, v5
	v_div_fmas_f32 v2, v2, v3, v6
	s_delay_alu instid0(VALU_DEP_1) | instskip(NEXT) | instid1(VALU_DEP_1)
	v_div_fixup_f32 v1, v2, v1, 1.0
	v_mul_f32_e32 v2, v4, v1
	s_delay_alu instid0(VALU_DEP_1) | instskip(NEXT) | instid1(VALU_DEP_1)
	v_and_b32_e32 v1, 0x7f800000, v2
	v_cmp_ne_u32_e32 vcc_lo, 0x7f800000, v1
                                        ; implicit-def: $vgpr1
	s_and_saveexec_b32 s4, vcc_lo
	s_delay_alu instid0(SALU_CYCLE_1)
	s_xor_b32 s4, exec_lo, s4
; %bb.20:
	v_bfe_u32 v1, v2, 16, 1
	s_delay_alu instid0(VALU_DEP_1)
	v_add3_u32 v1, v2, v1, 0x7fff
                                        ; implicit-def: $vgpr2
; %bb.21:
	s_and_not1_saveexec_b32 s4, s4
; %bb.22:
	v_and_b32_e32 v1, 0xffff, v2
	v_or_b32_e32 v3, 0x10000, v2
	s_delay_alu instid0(VALU_DEP_2) | instskip(NEXT) | instid1(VALU_DEP_2)
	v_cmp_eq_u32_e32 vcc_lo, 0, v1
	v_cndmask_b32_e32 v1, v3, v2, vcc_lo
; %bb.23:
	s_or_b32 exec_lo, exec_lo, s4
	s_mul_i32 s3, s33, s3
	s_mul_hi_u32 s4, s33, s2
	s_mul_i32 s2, s33, s2
	s_add_i32 s3, s4, s3
	s_mov_b32 s15, 0
	s_lshl_b64 s[2:3], s[2:3], 6
	v_and_b32_e32 v1, 0xffff0000, v1
	s_add_u32 s2, s0, s2
	s_addc_u32 s3, s1, s3
	s_lshl_b64 s[0:1], s[14:15], 6
	s_delay_alu instid0(SALU_CYCLE_1)
	s_add_u32 s0, s2, s0
	s_addc_u32 s1, s3, s1
	v_add_co_u32 v0, s0, s0, v0
	v_cvt_i32_f32_e32 v2, v1
	v_add_co_ci_u32_e64 v1, null, s1, 0, s0
	global_store_b8 v[0:1], v2, off
	s_nop 0
	s_sendmsg sendmsg(MSG_DEALLOC_VGPRS)
	s_endpgm
.LBB408_24:
	s_mov_b32 s4, 0
	s_branch .LBB408_2
	.section	.rodata,"a",@progbits
	.p2align	6, 0x0
	.amdhsa_kernel _Z35paged_attention_ll4mi_reduce_kernelI14__hip_bfloat16hLi64ELi64ELi256ELi7EEvPT0_PKfS4_PKT_PKiS9_iS4_
		.amdhsa_group_segment_fixed_size 900
		.amdhsa_private_segment_fixed_size 0
		.amdhsa_kernarg_size 320
		.amdhsa_user_sgpr_count 14
		.amdhsa_user_sgpr_dispatch_ptr 0
		.amdhsa_user_sgpr_queue_ptr 0
		.amdhsa_user_sgpr_kernarg_segment_ptr 1
		.amdhsa_user_sgpr_dispatch_id 0
		.amdhsa_user_sgpr_private_segment_size 0
		.amdhsa_wavefront_size32 1
		.amdhsa_uses_dynamic_stack 0
		.amdhsa_enable_private_segment 0
		.amdhsa_system_sgpr_workgroup_id_x 1
		.amdhsa_system_sgpr_workgroup_id_y 1
		.amdhsa_system_sgpr_workgroup_id_z 0
		.amdhsa_system_sgpr_workgroup_info 0
		.amdhsa_system_vgpr_workitem_id 0
		.amdhsa_next_free_vgpr 52
		.amdhsa_next_free_sgpr 49
		.amdhsa_reserve_vcc 1
		.amdhsa_float_round_mode_32 0
		.amdhsa_float_round_mode_16_64 0
		.amdhsa_float_denorm_mode_32 3
		.amdhsa_float_denorm_mode_16_64 3
		.amdhsa_dx10_clamp 1
		.amdhsa_ieee_mode 1
		.amdhsa_fp16_overflow 0
		.amdhsa_workgroup_processor_mode 1
		.amdhsa_memory_ordered 1
		.amdhsa_forward_progress 0
		.amdhsa_shared_vgpr_count 0
		.amdhsa_exception_fp_ieee_invalid_op 0
		.amdhsa_exception_fp_denorm_src 0
		.amdhsa_exception_fp_ieee_div_zero 0
		.amdhsa_exception_fp_ieee_overflow 0
		.amdhsa_exception_fp_ieee_underflow 0
		.amdhsa_exception_fp_ieee_inexact 0
		.amdhsa_exception_int_div_zero 0
	.end_amdhsa_kernel
	.section	.text._Z35paged_attention_ll4mi_reduce_kernelI14__hip_bfloat16hLi64ELi64ELi256ELi7EEvPT0_PKfS4_PKT_PKiS9_iS4_,"axG",@progbits,_Z35paged_attention_ll4mi_reduce_kernelI14__hip_bfloat16hLi64ELi64ELi256ELi7EEvPT0_PKfS4_PKT_PKiS9_iS4_,comdat
.Lfunc_end408:
	.size	_Z35paged_attention_ll4mi_reduce_kernelI14__hip_bfloat16hLi64ELi64ELi256ELi7EEvPT0_PKfS4_PKT_PKiS9_iS4_, .Lfunc_end408-_Z35paged_attention_ll4mi_reduce_kernelI14__hip_bfloat16hLi64ELi64ELi256ELi7EEvPT0_PKfS4_PKT_PKiS9_iS4_
                                        ; -- End function
	.section	.AMDGPU.csdata,"",@progbits
; Kernel info:
; codeLenInByte = 6472
; NumSgprs: 51
; NumVgprs: 52
; ScratchSize: 0
; MemoryBound: 0
; FloatMode: 240
; IeeeMode: 1
; LDSByteSize: 900 bytes/workgroup (compile time only)
; SGPRBlocks: 6
; VGPRBlocks: 6
; NumSGPRsForWavesPerEU: 51
; NumVGPRsForWavesPerEU: 52
; Occupancy: 16
; WaveLimiterHint : 0
; COMPUTE_PGM_RSRC2:SCRATCH_EN: 0
; COMPUTE_PGM_RSRC2:USER_SGPR: 14
; COMPUTE_PGM_RSRC2:TRAP_HANDLER: 0
; COMPUTE_PGM_RSRC2:TGID_X_EN: 1
; COMPUTE_PGM_RSRC2:TGID_Y_EN: 1
; COMPUTE_PGM_RSRC2:TGID_Z_EN: 0
; COMPUTE_PGM_RSRC2:TIDIG_COMP_CNT: 0
	.section	.text._Z35paged_attention_ll4mi_reduce_kernelI14__hip_bfloat16hLi64ELi64ELi256ELi8EEvPT0_PKfS4_PKT_PKiS9_iS4_,"axG",@progbits,_Z35paged_attention_ll4mi_reduce_kernelI14__hip_bfloat16hLi64ELi64ELi256ELi8EEvPT0_PKfS4_PKT_PKiS9_iS4_,comdat
	.protected	_Z35paged_attention_ll4mi_reduce_kernelI14__hip_bfloat16hLi64ELi64ELi256ELi8EEvPT0_PKfS4_PKT_PKiS9_iS4_ ; -- Begin function _Z35paged_attention_ll4mi_reduce_kernelI14__hip_bfloat16hLi64ELi64ELi256ELi8EEvPT0_PKfS4_PKT_PKiS9_iS4_
	.globl	_Z35paged_attention_ll4mi_reduce_kernelI14__hip_bfloat16hLi64ELi64ELi256ELi8EEvPT0_PKfS4_PKT_PKiS9_iS4_
	.p2align	8
	.type	_Z35paged_attention_ll4mi_reduce_kernelI14__hip_bfloat16hLi64ELi64ELi256ELi8EEvPT0_PKfS4_PKT_PKiS9_iS4_,@function
_Z35paged_attention_ll4mi_reduce_kernelI14__hip_bfloat16hLi64ELi64ELi256ELi8EEvPT0_PKfS4_PKT_PKiS9_iS4_: ; @_Z35paged_attention_ll4mi_reduce_kernelI14__hip_bfloat16hLi64ELi64ELi256ELi8EEvPT0_PKfS4_PKT_PKiS9_iS4_
; %bb.0:
	s_load_b64 s[12:13], s[0:1], 0x28
	s_mov_b32 s2, s15
	s_waitcnt lgkmcnt(0)
	s_cmp_lg_u64 s[12:13], 0
	s_cselect_b32 s15, -1, 0
	s_delay_alu instid0(SALU_CYCLE_1)
	s_and_b32 vcc_lo, exec_lo, s15
	s_cbranch_vccz .LBB409_24
; %bb.1:
	s_add_i32 s4, s2, 1
	s_mov_b32 s5, 0
	s_delay_alu instid0(SALU_CYCLE_1) | instskip(SKIP_4) | instid1(SALU_CYCLE_1)
	s_lshl_b64 s[6:7], s[4:5], 2
	s_mov_b32 s3, s5
	s_add_u32 s6, s12, s6
	s_addc_u32 s7, s13, s7
	s_lshl_b64 s[8:9], s[2:3], 2
	s_add_u32 s8, s12, s8
	s_addc_u32 s9, s13, s9
	s_clause 0x1
	s_load_b32 s4, s[6:7], 0x0
	s_load_b32 s6, s[8:9], 0x0
	s_waitcnt lgkmcnt(0)
	s_sub_i32 s4, s4, s6
	s_delay_alu instid0(SALU_CYCLE_1)
	s_cmp_eq_u32 s4, 1
	s_cselect_b32 s4, -1, 0
	s_cbranch_execnz .LBB409_3
.LBB409_2:
	s_mov_b32 s3, 0
	s_mov_b32 s4, -1
.LBB409_3:
	s_delay_alu instid0(SALU_CYCLE_1)
	s_and_not1_b32 vcc_lo, exec_lo, s4
	s_cbranch_vccz .LBB409_5
; %bb.4:
	s_endpgm
.LBB409_5:
	s_clause 0x1
	s_load_b128 s[4:7], s[0:1], 0x18
	s_load_b32 s9, s[0:1], 0x30
	s_lshl_b64 s[16:17], s[2:3], 2
	s_waitcnt lgkmcnt(0)
	s_add_u32 s6, s6, s16
	s_addc_u32 s7, s7, s17
	s_load_b32 s23, s[6:7], 0x0
	s_load_b32 s33, s[0:1], 0x40
	s_mul_i32 s7, s2, s9
	s_waitcnt lgkmcnt(0)
	s_add_i32 s22, s23, 0xff
	s_delay_alu instid0(SALU_CYCLE_1) | instskip(NEXT) | instid1(SALU_CYCLE_1)
	s_ashr_i32 s6, s22, 31
	s_lshr_b32 s6, s6, 24
	s_delay_alu instid0(SALU_CYCLE_1) | instskip(SKIP_4) | instid1(SALU_CYCLE_1)
	s_add_i32 s8, s22, s6
	s_mul_i32 s6, s14, s9
	s_mov_b32 s9, exec_lo
	v_cmpx_lt_u32_e32 31, v0
	s_xor_b32 s9, exec_lo, s9
	s_or_saveexec_b32 s24, s9
	v_mov_b32_e32 v1, s6
	s_ashr_i32 s40, s8, 8
	s_mul_i32 s18, s7, s33
	s_xor_b32 exec_lo, exec_lo, s24
	s_cbranch_execz .LBB409_9
; %bb.6:
	v_or_b32_e32 v2, 32, v0
	v_cmp_gt_i32_e32 vcc_lo, s40, v0
	s_add_i32 s20, s40, -1
	v_or_b32_e32 v4, 64, v0
	v_or_b32_e32 v6, 0x60, v0
	s_load_b128 s[8:11], s[0:1], 0x8
	v_cndmask_b32_e32 v1, s20, v0, vcc_lo
	v_cmp_gt_i32_e32 vcc_lo, s40, v2
	s_mov_b32 s19, 0
	s_delay_alu instid0(SALU_CYCLE_1)
	s_mov_b32 s7, s19
	v_cndmask_b32_e32 v3, s20, v2, vcc_lo
	v_cmp_gt_i32_e32 vcc_lo, s40, v4
	v_or_b32_e32 v2, 0x80, v0
	v_cndmask_b32_e32 v5, s20, v4, vcc_lo
	v_cmp_gt_i32_e32 vcc_lo, s40, v6
	v_or_b32_e32 v4, 0xa0, v0
	;; [unrolled: 3-line block ×3, first 2 shown]
	s_delay_alu instid0(VALU_DEP_3) | instskip(SKIP_3) | instid1(VALU_DEP_4)
	v_ashrrev_i32_e32 v8, 31, v7
	v_cndmask_b32_e32 v9, s20, v2, vcc_lo
	v_cmp_gt_i32_e32 vcc_lo, s40, v4
	v_or_b32_e32 v2, 0xe0, v0
	v_lshlrev_b64 v[7:8], 2, v[7:8]
	s_delay_alu instid0(VALU_DEP_4) | instskip(SKIP_3) | instid1(VALU_DEP_4)
	v_ashrrev_i32_e32 v10, 31, v9
	v_cndmask_b32_e32 v11, s20, v4, vcc_lo
	v_cmp_gt_i32_e32 vcc_lo, s40, v6
	v_ashrrev_i32_e32 v4, 31, v3
	v_lshlrev_b64 v[9:10], 2, v[9:10]
	s_delay_alu instid0(VALU_DEP_4)
	v_ashrrev_i32_e32 v12, 31, v11
	v_cndmask_b32_e32 v13, s20, v6, vcc_lo
	v_cmp_gt_i32_e32 vcc_lo, s40, v2
	v_ashrrev_i32_e32 v6, 31, v5
	v_lshlrev_b64 v[3:4], 2, v[3:4]
	v_lshlrev_b64 v[11:12], 2, v[11:12]
	v_ashrrev_i32_e32 v14, 31, v13
	v_cndmask_b32_e32 v15, s20, v2, vcc_lo
	v_ashrrev_i32_e32 v2, 31, v1
	s_lshl_b64 s[20:21], s[18:19], 2
	v_lshlrev_b64 v[5:6], 2, v[5:6]
	s_waitcnt lgkmcnt(0)
	s_add_u32 s19, s10, s20
	s_addc_u32 s25, s11, s21
	v_lshlrev_b64 v[1:2], 2, v[1:2]
	s_lshl_b64 s[10:11], s[6:7], 2
	v_lshlrev_b64 v[13:14], 2, v[13:14]
	s_add_u32 s7, s19, s10
	s_addc_u32 s19, s25, s11
	s_delay_alu instid0(VALU_DEP_2)
	v_add_co_u32 v16, vcc_lo, s7, v1
	v_add_co_ci_u32_e32 v17, vcc_lo, s19, v2, vcc_lo
	v_add_co_u32 v18, vcc_lo, s7, v3
	v_add_co_ci_u32_e32 v19, vcc_lo, s19, v4, vcc_lo
	;; [unrolled: 2-line block ×4, first 2 shown]
	s_clause 0x3
	global_load_b32 v25, v[16:17], off
	global_load_b32 v26, v[18:19], off
	;; [unrolled: 1-line block ×4, first 2 shown]
	v_ashrrev_i32_e32 v16, 31, v15
	v_add_co_u32 v17, vcc_lo, s7, v9
	v_add_co_ci_u32_e32 v18, vcc_lo, s19, v10, vcc_lo
	v_add_co_u32 v19, vcc_lo, s7, v11
	s_delay_alu instid0(VALU_DEP_4) | instskip(SKIP_3) | instid1(VALU_DEP_4)
	v_lshlrev_b64 v[15:16], 2, v[15:16]
	v_add_co_ci_u32_e32 v20, vcc_lo, s19, v12, vcc_lo
	v_add_co_u32 v21, vcc_lo, s7, v13
	v_add_co_ci_u32_e32 v22, vcc_lo, s19, v14, vcc_lo
	v_add_co_u32 v23, vcc_lo, s7, v15
	v_add_co_ci_u32_e32 v24, vcc_lo, s19, v16, vcc_lo
	s_clause 0x3
	global_load_b32 v17, v[17:18], off
	global_load_b32 v18, v[19:20], off
	;; [unrolled: 1-line block ×4, first 2 shown]
	s_add_u32 s7, s8, s20
	s_addc_u32 s8, s9, s21
	s_add_u32 s7, s7, s10
	s_addc_u32 s8, s8, s11
	v_add_co_u32 v1, vcc_lo, s7, v1
	v_add_co_ci_u32_e32 v2, vcc_lo, s8, v2, vcc_lo
	v_add_co_u32 v3, vcc_lo, s7, v3
	v_add_co_ci_u32_e32 v4, vcc_lo, s8, v4, vcc_lo
	;; [unrolled: 2-line block ×5, first 2 shown]
	s_clause 0x4
	global_load_b32 v21, v[1:2], off
	global_load_b32 v3, v[3:4], off
	;; [unrolled: 1-line block ×5, first 2 shown]
	v_add_co_u32 v1, vcc_lo, s7, v11
	v_add_co_ci_u32_e32 v2, vcc_lo, s8, v12, vcc_lo
	global_load_b32 v7, v[1:2], off
	v_add_co_u32 v1, vcc_lo, s7, v13
	v_add_co_ci_u32_e32 v2, vcc_lo, s8, v14, vcc_lo
	global_load_b32 v8, v[1:2], off
	v_add_co_u32 v1, vcc_lo, s7, v15
	v_add_co_ci_u32_e32 v2, vcc_lo, s8, v16, vcc_lo
	s_mov_b32 s7, exec_lo
	global_load_b32 v11, v[1:2], off
	v_mbcnt_lo_u32_b32 v1, -1, 0
	s_delay_alu instid0(VALU_DEP_1)
	v_xor_b32_e32 v12, 8, v1
	v_xor_b32_e32 v13, 4, v1
	v_xor_b32_e32 v14, 2, v1
	v_xor_b32_e32 v15, 1, v1
	s_waitcnt vmcnt(14)
	v_dual_max_f32 v10, v25, v25 :: v_dual_max_f32 v9, v26, v26
	s_delay_alu instid0(VALU_DEP_1) | instskip(SKIP_2) | instid1(VALU_DEP_2)
	v_max_f32_e32 v2, v10, v9
	v_xor_b32_e32 v9, 16, v1
	s_waitcnt vmcnt(12)
	v_max3_f32 v2, v2, v27, v28
	s_delay_alu instid0(VALU_DEP_2) | instskip(SKIP_4) | instid1(VALU_DEP_3)
	v_cmp_gt_i32_e32 vcc_lo, 32, v9
	v_cndmask_b32_e32 v9, v1, v9, vcc_lo
	v_cmp_gt_i32_e32 vcc_lo, 32, v12
	s_waitcnt vmcnt(10)
	v_max3_f32 v2, v2, v17, v18
	v_dual_cndmask_b32 v12, v1, v12 :: v_dual_lshlrev_b32 v9, 2, v9
	v_cmp_gt_i32_e32 vcc_lo, 32, v13
	s_waitcnt vmcnt(8)
	s_delay_alu instid0(VALU_DEP_3) | instskip(NEXT) | instid1(VALU_DEP_3)
	v_max3_f32 v2, v2, v19, v20
	v_dual_cndmask_b32 v13, v1, v13 :: v_dual_lshlrev_b32 v12, 2, v12
	ds_bpermute_b32 v10, v9, v2
	v_cmp_gt_i32_e32 vcc_lo, 32, v14
	v_dual_cndmask_b32 v14, v1, v14 :: v_dual_lshlrev_b32 v13, 2, v13
	v_cmp_gt_i32_e32 vcc_lo, 32, v15
	s_delay_alu instid0(VALU_DEP_2) | instskip(SKIP_1) | instid1(VALU_DEP_1)
	v_dual_cndmask_b32 v1, v1, v15 :: v_dual_lshlrev_b32 v14, 2, v14
	s_waitcnt lgkmcnt(0)
	v_dual_max_f32 v10, v10, v10 :: v_dual_lshlrev_b32 v15, 2, v1
	s_delay_alu instid0(VALU_DEP_1) | instskip(SKIP_3) | instid1(VALU_DEP_1)
	v_max_f32_e32 v2, v2, v10
	ds_bpermute_b32 v10, v12, v2
	s_waitcnt lgkmcnt(0)
	v_max_f32_e32 v10, v10, v10
	v_max_f32_e32 v2, v2, v10
	ds_bpermute_b32 v10, v13, v2
	s_waitcnt lgkmcnt(0)
	v_max_f32_e32 v10, v10, v10
	s_delay_alu instid0(VALU_DEP_1) | instskip(SKIP_3) | instid1(VALU_DEP_1)
	v_max_f32_e32 v2, v2, v10
	ds_bpermute_b32 v10, v14, v2
	s_waitcnt lgkmcnt(0)
	v_max_f32_e32 v10, v10, v10
	v_max_f32_e32 v1, v2, v10
	ds_bpermute_b32 v2, v15, v1
	s_waitcnt lgkmcnt(0)
	v_max_f32_e32 v2, v2, v2
	s_delay_alu instid0(VALU_DEP_1) | instskip(SKIP_1) | instid1(VALU_DEP_2)
	v_max_f32_e32 v1, v1, v2
	v_sub_nc_u32_e32 v2, s40, v0
	v_sub_f32_e32 v23, v28, v1
	v_sub_f32_e32 v16, v26, v1
	s_delay_alu instid0(VALU_DEP_2)
	v_mul_f32_e32 v26, 0x3fb8aa3b, v23
	v_sub_f32_e32 v10, v25, v1
	v_sub_f32_e32 v22, v27, v1
	;; [unrolled: 1-line block ×4, first 2 shown]
	v_dual_sub_f32 v19, v19, v1 :: v_dual_mul_f32 v24, 0x3fb8aa3b, v16
	s_delay_alu instid0(VALU_DEP_4) | instskip(NEXT) | instid1(VALU_DEP_3)
	v_mul_f32_e32 v25, 0x3fb8aa3b, v22
	v_dual_sub_f32 v1, v20, v1 :: v_dual_mul_f32 v28, 0x3fb8aa3b, v18
	v_mul_f32_e32 v20, 0x3fb8aa3b, v10
	s_delay_alu instid0(VALU_DEP_4)
	v_fma_f32 v33, 0x3fb8aa3b, v16, -v24
	v_rndne_f32_e32 v34, v24
	v_fma_f32 v35, 0x3fb8aa3b, v22, -v25
	v_dual_mul_f32 v29, 0x3fb8aa3b, v19 :: v_dual_mul_f32 v30, 0x3fb8aa3b, v1
	v_fma_f32 v31, 0x3fb8aa3b, v10, -v20
	v_rndne_f32_e32 v32, v20
	v_mul_f32_e32 v27, 0x3fb8aa3b, v17
	v_dual_fmac_f32 v33, 0x32a5705f, v16 :: v_dual_sub_f32 v24, v24, v34
	s_delay_alu instid0(VALU_DEP_3) | instskip(SKIP_2) | instid1(VALU_DEP_4)
	v_dual_fmac_f32 v31, 0x32a5705f, v10 :: v_dual_sub_f32 v20, v20, v32
	v_cvt_i32_f32_e32 v32, v32
	v_fma_f32 v37, 0x3fb8aa3b, v23, -v26
	v_dual_add_f32 v24, v24, v33 :: v_dual_fmac_f32 v35, 0x32a5705f, v22
	s_delay_alu instid0(VALU_DEP_4)
	v_add_f32_e32 v20, v20, v31
	v_fma_f32 v39, 0x3fb8aa3b, v17, -v27
	v_fma_f32 v41, 0x3fb8aa3b, v18, -v28
	v_rndne_f32_e32 v42, v28
	v_fma_f32 v45, 0x3fb8aa3b, v1, -v30
	v_exp_f32_e32 v20, v20
	v_rndne_f32_e32 v46, v30
	v_cmp_ngt_f32_e32 vcc_lo, 0xc2ce8ed0, v10
	v_rndne_f32_e32 v36, v25
	v_fma_f32 v43, 0x3fb8aa3b, v19, -v29
	v_dual_fmac_f32 v37, 0x32a5705f, v23 :: v_dual_sub_f32 v28, v28, v42
	v_dual_fmac_f32 v39, 0x32a5705f, v17 :: v_dual_sub_f32 v30, v30, v46
	v_exp_f32_e32 v24, v24
	s_delay_alu instid0(TRANS32_DEP_2)
	v_ldexp_f32 v20, v20, v32
	v_fmac_f32_e32 v45, 0x32a5705f, v1
	v_rndne_f32_e32 v38, v26
	v_cvt_i32_f32_e32 v34, v34
	v_sub_f32_e32 v25, v25, v36
	v_dual_cndmask_b32 v20, 0, v20 :: v_dual_fmac_f32 v41, 0x32a5705f, v18
	v_dual_add_f32 v30, v30, v45 :: v_dual_fmac_f32 v43, 0x32a5705f, v19
	v_rndne_f32_e32 v40, v27
	v_sub_f32_e32 v26, v26, v38
	s_delay_alu instid0(VALU_DEP_4)
	v_add_f32_e32 v28, v28, v41
	v_ldexp_f32 v24, v24, v34
	v_cmp_ngt_f32_e32 vcc_lo, 0xc2ce8ed0, v16
	v_add_f32_e32 v25, v25, v35
	v_dual_sub_f32 v27, v27, v40 :: v_dual_add_f32 v26, v26, v37
	v_exp_f32_e32 v28, v28
	v_cvt_i32_f32_e32 v31, v42
	v_cndmask_b32_e32 v24, 0, v24, vcc_lo
	v_exp_f32_e32 v25, v25
	v_cvt_i32_f32_e32 v36, v36
	v_exp_f32_e32 v26, v26
	v_cvt_i32_f32_e32 v38, v38
	v_cmp_ngt_f32_e32 vcc_lo, 0xc2ce8ed0, v22
	v_rndne_f32_e32 v44, v29
	v_cvt_i32_f32_e32 v40, v40
	v_ldexp_f32 v28, v28, v31
	v_add_f32_e32 v27, v27, v39
	v_exp_f32_e32 v30, v30
	v_ldexp_f32 v25, v25, v36
	v_cvt_i32_f32_e32 v33, v44
	v_ldexp_f32 v26, v26, v38
	v_exp_f32_e32 v27, v27
	s_delay_alu instid0(VALU_DEP_3) | instskip(SKIP_1) | instid1(VALU_DEP_3)
	v_cndmask_b32_e32 v25, 0, v25, vcc_lo
	v_cmp_ngt_f32_e32 vcc_lo, 0xc2ce8ed0, v23
	v_dual_sub_f32 v29, v29, v44 :: v_dual_cndmask_b32 v26, 0, v26
	v_cmp_ngt_f32_e32 vcc_lo, 0xc2ce8ed0, v17
	s_waitcnt_depctr 0xfff
	v_ldexp_f32 v27, v27, v40
	s_delay_alu instid0(VALU_DEP_1)
	v_cndmask_b32_e32 v27, 0, v27, vcc_lo
	v_cmp_ngt_f32_e32 vcc_lo, 0xc2ce8ed0, v18
	v_cndmask_b32_e32 v28, 0, v28, vcc_lo
	v_cmp_nlt_f32_e32 vcc_lo, 0x42b17218, v10
	v_dual_add_f32 v29, v29, v43 :: v_dual_cndmask_b32 v10, 0x7f800000, v20
	v_cmp_nlt_f32_e32 vcc_lo, 0x42b17218, v16
	s_delay_alu instid0(VALU_DEP_2)
	v_exp_f32_e32 v29, v29
	v_cndmask_b32_e32 v16, 0x7f800000, v24, vcc_lo
	v_cmp_nlt_f32_e32 vcc_lo, 0x42b17218, v22
	v_cndmask_b32_e32 v20, 0x7f800000, v25, vcc_lo
	v_cmp_nlt_f32_e32 vcc_lo, 0x42b17218, v23
	s_waitcnt_depctr 0xfff
	v_ldexp_f32 v29, v29, v33
	v_cndmask_b32_e32 v22, 0x7f800000, v26, vcc_lo
	v_cmp_nlt_f32_e32 vcc_lo, 0x42b17218, v17
	v_cndmask_b32_e32 v17, 0x7f800000, v27, vcc_lo
	v_cmp_lt_i32_e32 vcc_lo, 0, v2
	v_cndmask_b32_e32 v10, 0, v10, vcc_lo
	v_cmp_lt_i32_e32 vcc_lo, 32, v2
	s_waitcnt vmcnt(7)
	s_delay_alu instid0(VALU_DEP_2) | instskip(SKIP_3) | instid1(VALU_DEP_2)
	v_mul_f32_e32 v10, v21, v10
	v_cndmask_b32_e32 v16, 0, v16, vcc_lo
	v_cmp_lt_i32_e32 vcc_lo, 64, v2
	s_waitcnt vmcnt(6)
	v_mul_f32_e32 v3, v3, v16
	v_cndmask_b32_e32 v20, 0, v20, vcc_lo
	v_cmp_lt_i32_e32 vcc_lo, 0x60, v2
	v_cndmask_b32_e32 v22, 0, v22, vcc_lo
	v_cmp_lt_i32_e32 vcc_lo, 0x80, v2
	v_cndmask_b32_e32 v17, 0, v17, vcc_lo
	v_cmp_nlt_f32_e32 vcc_lo, 0x42b17218, v18
	s_waitcnt vmcnt(3)
	s_delay_alu instid0(VALU_DEP_2) | instskip(SKIP_2) | instid1(VALU_DEP_2)
	v_mul_f32_e32 v6, v6, v17
	v_dual_mul_f32 v4, v4, v20 :: v_dual_add_f32 v17, v10, v3
	v_cvt_i32_f32_e32 v20, v46
	v_add_f32_e32 v17, v17, v4
	v_dual_mul_f32 v5, v5, v22 :: v_dual_cndmask_b32 v16, 0x7f800000, v28
	v_cmp_ngt_f32_e32 vcc_lo, 0xc2ce8ed0, v19
	s_delay_alu instid0(VALU_DEP_2)
	v_add_f32_e32 v17, v17, v5
	v_cndmask_b32_e32 v18, 0, v29, vcc_lo
	v_cmp_lt_i32_e32 vcc_lo, 0xa0, v2
	v_cndmask_b32_e32 v16, 0, v16, vcc_lo
	v_cmp_nlt_f32_e32 vcc_lo, 0x42b17218, v19
	s_waitcnt vmcnt(2)
	s_delay_alu instid0(VALU_DEP_2) | instskip(SKIP_3) | instid1(VALU_DEP_4)
	v_dual_mul_f32 v7, v7, v16 :: v_dual_cndmask_b32 v18, 0x7f800000, v18
	v_cmp_lt_i32_e32 vcc_lo, 0xc0, v2
	v_ldexp_f32 v16, v30, v20
	v_add_f32_e32 v17, v17, v6
	v_cndmask_b32_e32 v18, 0, v18, vcc_lo
	v_cmp_ngt_f32_e32 vcc_lo, 0xc2ce8ed0, v1
	s_delay_alu instid0(VALU_DEP_4) | instskip(SKIP_2) | instid1(VALU_DEP_2)
	v_cndmask_b32_e32 v16, 0, v16, vcc_lo
	v_cmp_nlt_f32_e32 vcc_lo, 0x42b17218, v1
	s_waitcnt vmcnt(1)
	v_dual_mul_f32 v8, v8, v18 :: v_dual_cndmask_b32 v1, 0x7f800000, v16
	v_add_f32_e32 v16, v17, v7
	v_cmp_lt_i32_e32 vcc_lo, 0xe0, v2
	s_delay_alu instid0(VALU_DEP_3) | instskip(NEXT) | instid1(VALU_DEP_3)
	v_cndmask_b32_e32 v17, 0, v1, vcc_lo
	v_add_f32_e32 v1, v16, v8
	s_waitcnt vmcnt(0)
	s_delay_alu instid0(VALU_DEP_1)
	v_fmac_f32_e32 v1, v11, v17
	v_mul_f32_e32 v11, v11, v17
	ds_bpermute_b32 v2, v9, v1
	v_lshlrev_b32_e32 v9, 2, v0
	ds_store_2addr_b32 v9, v10, v3 offset1:32
	ds_store_2addr_b32 v9, v4, v5 offset0:64 offset1:96
	ds_store_2addr_b32 v9, v6, v7 offset0:128 offset1:160
	;; [unrolled: 1-line block ×3, first 2 shown]
	s_waitcnt lgkmcnt(4)
	v_add_f32_e32 v1, v1, v2
	ds_bpermute_b32 v2, v12, v1
	s_waitcnt lgkmcnt(0)
	v_add_f32_e32 v1, v1, v2
	ds_bpermute_b32 v2, v13, v1
	;; [unrolled: 3-line block ×4, first 2 shown]
	v_cmpx_eq_u32_e32 0, v0
	s_cbranch_execz .LBB409_8
; %bb.7:
	s_waitcnt lgkmcnt(0)
	v_dual_add_f32 v1, v1, v2 :: v_dual_mov_b32 v2, 0
	ds_store_b32 v2, v1 offset:1024
.LBB409_8:
	s_or_b32 exec_lo, exec_lo, s7
	v_mov_b32_e32 v1, s6
.LBB409_9:
	s_or_b32 exec_lo, exec_lo, s24
	s_lshl_b32 s6, s18, 6
	s_mov_b32 s7, 0
	s_waitcnt lgkmcnt(0)
	v_dual_mov_b32 v2, 0 :: v_dual_lshlrev_b32 v1, 6, v1
	s_lshl_b64 s[6:7], s[6:7], 1
	v_dual_mov_b32 v31, 0 :: v_dual_mov_b32 v32, 0
	s_add_u32 s34, s4, s6
	s_addc_u32 s35, s5, s7
	s_lshl_b32 s41, s40, 6
	v_lshlrev_b64 v[3:4], 1, v[1:2]
	s_sub_i32 s42, s41, 64
	s_cmpk_lt_i32 s22, 0x100
	v_lshlrev_b32_e32 v1, 1, v0
	s_cselect_b32 s4, s42, 0
	v_dual_mov_b32 v33, 0 :: v_dual_mov_b32 v34, 0
	s_ashr_i32 s5, s4, 31
	v_add_co_u32 v3, vcc_lo, s34, v3
	s_lshl_b64 s[4:5], s[4:5], 1
	s_cmpk_lt_i32 s22, 0x200
	v_add_co_ci_u32_e32 v4, vcc_lo, s35, v4, vcc_lo
	s_cselect_b32 s6, s42, 64
	v_add_co_u32 v1, vcc_lo, v3, v1
	s_ashr_i32 s7, s6, 31
	s_delay_alu instid0(VALU_DEP_2)
	v_add_co_ci_u32_e32 v3, vcc_lo, 0, v4, vcc_lo
	s_lshl_b64 s[6:7], s[6:7], 1
	s_cmpk_lt_i32 s22, 0x300
	v_add_co_u32 v4, vcc_lo, v1, s4
	s_cselect_b32 s8, s42, 0x80
	v_add_co_ci_u32_e32 v5, vcc_lo, s5, v3, vcc_lo
	s_ashr_i32 s9, s8, 31
	v_add_co_u32 v6, vcc_lo, v1, s6
	s_lshl_b64 s[8:9], s[8:9], 1
	s_cmpk_lt_i32 s22, 0x400
	v_add_co_ci_u32_e32 v7, vcc_lo, s7, v3, vcc_lo
	s_cselect_b32 s10, s42, 0xc0
	v_add_co_u32 v8, vcc_lo, v1, s8
	s_ashr_i32 s11, s10, 31
	v_add_co_ci_u32_e32 v9, vcc_lo, s9, v3, vcc_lo
	s_lshl_b64 s[10:11], s[10:11], 1
	s_cmpk_lt_i32 s22, 0x500
	v_add_co_u32 v11, vcc_lo, v1, s10
	s_cselect_b32 s18, s42, 0x100
	v_add_co_ci_u32_e32 v12, vcc_lo, s11, v3, vcc_lo
	s_ashr_i32 s19, s18, 31
	v_mov_b32_e32 v35, 0
	s_lshl_b64 s[18:19], s[18:19], 1
	s_cmpk_lt_i32 s22, 0x600
	v_add_co_u32 v14, vcc_lo, v1, s18
	s_cselect_b32 s20, s42, 0x140
	v_add_co_ci_u32_e32 v15, vcc_lo, s19, v3, vcc_lo
	s_ashr_i32 s21, s20, 31
	v_mov_b32_e32 v30, 0
	s_lshl_b64 s[20:21], s[20:21], 1
	s_cmpk_lt_i32 s22, 0x700
	v_add_co_u32 v16, vcc_lo, v1, s20
	s_cselect_b32 s24, s42, 0x180
	v_add_co_ci_u32_e32 v17, vcc_lo, s21, v3, vcc_lo
	s_ashr_i32 s25, s24, 31
	s_delay_alu instid0(SALU_CYCLE_1)
	s_lshl_b64 s[24:25], s[24:25], 1
	s_cmpk_lt_i32 s22, 0x800
	v_add_co_u32 v18, vcc_lo, v1, s24
	s_cselect_b32 s26, s42, 0x1c0
	v_add_co_ci_u32_e32 v19, vcc_lo, s25, v3, vcc_lo
	s_ashr_i32 s27, s26, 31
	s_delay_alu instid0(SALU_CYCLE_1)
	s_lshl_b64 s[26:27], s[26:27], 1
	s_cmpk_lt_i32 s22, 0x900
	v_add_co_u32 v20, vcc_lo, v1, s26
	s_cselect_b32 s28, s42, 0x200
	v_add_co_ci_u32_e32 v21, vcc_lo, s27, v3, vcc_lo
	s_ashr_i32 s29, s28, 31
	s_clause 0x7
	global_load_u16 v13, v[4:5], off
	global_load_u16 v4, v[6:7], off
	;; [unrolled: 1-line block ×8, first 2 shown]
	s_lshl_b64 s[28:29], s[28:29], 1
	s_cmpk_lt_i32 s22, 0xa00
	v_add_co_u32 v11, vcc_lo, v1, s28
	s_cselect_b32 s30, s42, 0x240
	v_add_co_ci_u32_e32 v12, vcc_lo, s29, v3, vcc_lo
	s_ashr_i32 s31, s30, 31
	s_delay_alu instid0(SALU_CYCLE_1)
	s_lshl_b64 s[30:31], s[30:31], 1
	s_cmpk_lt_i32 s22, 0xb00
	v_add_co_u32 v14, vcc_lo, v1, s30
	s_cselect_b32 s34, s42, 0x280
	v_add_co_ci_u32_e32 v15, vcc_lo, s31, v3, vcc_lo
	s_ashr_i32 s35, s34, 31
	s_delay_alu instid0(SALU_CYCLE_1)
	;; [unrolled: 7-line block ×7, first 2 shown]
	s_lshl_b64 s[4:5], s[6:7], 1
	s_cmpk_gt_i32 s23, 0x1000
	v_add_co_u32 v28, vcc_lo, v1, s4
	v_add_co_ci_u32_e32 v29, vcc_lo, s5, v3, vcc_lo
	s_clause 0x7
	global_load_u16 v19, v[11:12], off
	global_load_u16 v18, v[14:15], off
	;; [unrolled: 1-line block ×8, first 2 shown]
	v_dual_mov_b32 v20, 0 :: v_dual_mov_b32 v21, 0
	v_dual_mov_b32 v22, 0 :: v_dual_mov_b32 v23, 0
	;; [unrolled: 1-line block ×5, first 2 shown]
	s_cselect_b32 s6, -1, 0
	s_cmpk_lt_i32 s23, 0x1001
	s_waitcnt vmcnt(0)
	s_barrier
	buffer_gl0_inv
	s_cbranch_scc1 .LBB409_11
; %bb.10:
	s_cmpk_lt_i32 s22, 0x1100
	s_cselect_b32 s4, s42, 0x400
	s_delay_alu instid0(SALU_CYCLE_1) | instskip(NEXT) | instid1(SALU_CYCLE_1)
	s_ashr_i32 s5, s4, 31
	s_lshl_b64 s[4:5], s[4:5], 1
	s_cmpk_lt_i32 s22, 0x1200
	v_add_co_u32 v20, vcc_lo, v1, s4
	s_cselect_b32 s8, s42, 0x440
	v_add_co_ci_u32_e32 v21, vcc_lo, s5, v3, vcc_lo
	s_ashr_i32 s9, s8, 31
	s_delay_alu instid0(SALU_CYCLE_1)
	s_lshl_b64 s[8:9], s[8:9], 1
	s_cmpk_lt_i32 s22, 0x1300
	v_add_co_u32 v22, vcc_lo, v1, s8
	s_cselect_b32 s10, s42, 0x480
	v_add_co_ci_u32_e32 v23, vcc_lo, s9, v3, vcc_lo
	s_ashr_i32 s11, s10, 31
	s_delay_alu instid0(SALU_CYCLE_1)
	;; [unrolled: 7-line block ×14, first 2 shown]
	s_lshl_b64 s[4:5], s[18:19], 1
	s_cmpk_lt_i32 s22, 0x2000
	v_add_co_u32 v48, vcc_lo, v1, s4
	s_cselect_b32 s8, s42, 0x7c0
	v_add_co_ci_u32_e32 v49, vcc_lo, s5, v3, vcc_lo
	s_ashr_i32 s9, s8, 31
	s_delay_alu instid0(SALU_CYCLE_1) | instskip(NEXT) | instid1(SALU_CYCLE_1)
	s_lshl_b64 s[4:5], s[8:9], 1
	v_add_co_u32 v50, vcc_lo, v1, s4
	v_add_co_ci_u32_e32 v51, vcc_lo, s5, v3, vcc_lo
	s_clause 0xf
	global_load_u16 v20, v[20:21], off
	global_load_u16 v21, v[22:23], off
	;; [unrolled: 1-line block ×16, first 2 shown]
	s_waitcnt vmcnt(15)
	v_lshlrev_b32_e32 v35, 16, v20
	s_waitcnt vmcnt(14)
	v_lshlrev_b32_e32 v34, 16, v21
	;; [unrolled: 2-line block ×16, first 2 shown]
.LBB409_11:
	ds_load_b128 v[36:39], v2
	ds_load_b128 v[40:43], v2 offset:16
	v_lshlrev_b32_e32 v44, 16, v4
	v_lshlrev_b32_e32 v13, 16, v13
	v_lshlrev_b32_e32 v10, 16, v10
	v_lshlrev_b32_e32 v8, 16, v8
	v_lshlrev_b32_e32 v6, 16, v6
	s_load_b64 s[0:1], s[0:1], 0x0
	s_and_b32 vcc_lo, exec_lo, s6
	v_lshlrev_b32_e32 v5, 16, v5
	s_waitcnt lgkmcnt(0)
	v_fma_f32 v4, v36, v13, 0
	s_delay_alu instid0(VALU_DEP_1) | instskip(NEXT) | instid1(VALU_DEP_1)
	v_dual_fmac_f32 v4, v37, v44 :: v_dual_lshlrev_b32 v13, 16, v7
	v_dual_fmac_f32 v4, v38, v10 :: v_dual_lshlrev_b32 v9, 16, v9
	s_delay_alu instid0(VALU_DEP_1) | instskip(SKIP_4) | instid1(VALU_DEP_1)
	v_fmac_f32_e32 v4, v39, v9
	ds_load_b128 v[36:39], v2 offset:48
	v_fmac_f32_e32 v4, v40, v8
	ds_load_b128 v[7:10], v2 offset:32
	v_fmac_f32_e32 v4, v41, v13
	v_fmac_f32_e32 v4, v42, v6
	v_lshlrev_b32_e32 v6, 16, v19
	s_delay_alu instid0(VALU_DEP_2) | instskip(SKIP_1) | instid1(VALU_DEP_1)
	v_dual_fmac_f32 v4, v43, v5 :: v_dual_lshlrev_b32 v5, 16, v18
	s_waitcnt lgkmcnt(0)
	v_fmac_f32_e32 v4, v7, v6
	v_lshlrev_b32_e32 v6, 16, v17
	s_delay_alu instid0(VALU_DEP_2) | instskip(NEXT) | instid1(VALU_DEP_1)
	v_dual_fmac_f32 v4, v8, v5 :: v_dual_lshlrev_b32 v5, 16, v16
	v_fmac_f32_e32 v4, v9, v6
	v_lshlrev_b32_e32 v6, 16, v15
	s_delay_alu instid0(VALU_DEP_2) | instskip(NEXT) | instid1(VALU_DEP_1)
	v_dual_fmac_f32 v4, v10, v5 :: v_dual_lshlrev_b32 v5, 16, v14
	;; [unrolled: 4-line block ×3, first 2 shown]
	v_fmac_f32_e32 v4, v38, v6
	s_delay_alu instid0(VALU_DEP_1)
	v_fmac_f32_e32 v4, v39, v5
	s_cbranch_vccz .LBB409_13
; %bb.12:
	ds_load_b128 v[5:8], v2 offset:64
	ds_load_b128 v[9:12], v2 offset:80
	s_waitcnt lgkmcnt(1)
	v_fmac_f32_e32 v4, v5, v35
	s_delay_alu instid0(VALU_DEP_1) | instskip(NEXT) | instid1(VALU_DEP_1)
	v_fmac_f32_e32 v4, v6, v34
	v_fmac_f32_e32 v4, v7, v33
	s_delay_alu instid0(VALU_DEP_1) | instskip(SKIP_3) | instid1(VALU_DEP_1)
	v_fmac_f32_e32 v4, v8, v32
	ds_load_b128 v[5:8], v2 offset:96
	s_waitcnt lgkmcnt(1)
	v_fmac_f32_e32 v4, v9, v31
	v_fmac_f32_e32 v4, v10, v30
	s_delay_alu instid0(VALU_DEP_1) | instskip(NEXT) | instid1(VALU_DEP_1)
	v_fmac_f32_e32 v4, v11, v29
	v_fmac_f32_e32 v4, v12, v28
	ds_load_b128 v[9:12], v2 offset:112
	s_waitcnt lgkmcnt(1)
	v_fmac_f32_e32 v4, v5, v27
	s_delay_alu instid0(VALU_DEP_1) | instskip(NEXT) | instid1(VALU_DEP_1)
	v_fmac_f32_e32 v4, v6, v26
	v_fmac_f32_e32 v4, v7, v25
	s_delay_alu instid0(VALU_DEP_1) | instskip(SKIP_1) | instid1(VALU_DEP_1)
	v_fmac_f32_e32 v4, v8, v24
	s_waitcnt lgkmcnt(0)
	v_fmac_f32_e32 v4, v9, v23
	s_delay_alu instid0(VALU_DEP_1) | instskip(NEXT) | instid1(VALU_DEP_1)
	v_fmac_f32_e32 v4, v10, v22
	v_fmac_f32_e32 v4, v11, v21
	s_delay_alu instid0(VALU_DEP_1)
	v_fmac_f32_e32 v4, v12, v20
.LBB409_13:
	s_movk_i32 s43, 0xfc0
	s_movk_i32 s44, 0x80
	s_mov_b32 s45, 32
	s_branch .LBB409_15
.LBB409_14:                             ;   in Loop: Header=BB409_15 Depth=1
	s_addk_i32 s43, 0x800
	s_addk_i32 s44, 0x80
	s_add_i32 s45, s45, 32
	s_cmpk_eq_i32 s43, 0x47c0
	s_cbranch_scc1 .LBB409_17
.LBB409_15:                             ; =>This Inner Loop Header: Depth=1
	s_cmp_le_i32 s40, s45
	s_cbranch_scc1 .LBB409_14
; %bb.16:                               ;   in Loop: Header=BB409_15 Depth=1
	s_add_i32 s4, s43, 0xfffff840
	v_mov_b32_e32 v44, s44
	s_cmp_lt_i32 s4, s41
	s_cselect_b32 s4, s4, s42
	s_add_i32 s6, s43, 0xfffff880
	s_ashr_i32 s5, s4, 31
	s_delay_alu instid0(SALU_CYCLE_1)
	s_lshl_b64 s[38:39], s[4:5], 1
	s_cmp_lt_i32 s6, s41
	v_add_co_u32 v5, vcc_lo, v1, s38
	s_cselect_b32 s4, s6, s42
	s_add_i32 s6, s43, 0xfffff8c0
	s_ashr_i32 s5, s4, 31
	v_add_co_ci_u32_e32 v6, vcc_lo, s39, v3, vcc_lo
	s_lshl_b64 s[4:5], s[4:5], 1
	s_cmp_lt_i32 s6, s41
	s_cselect_b32 s6, s6, s42
	s_add_i32 s8, s43, 0xfffff900
	s_ashr_i32 s7, s6, 31
	global_load_u16 v2, v[5:6], off
	s_lshl_b64 s[6:7], s[6:7], 1
	s_cmp_lt_i32 s8, s41
	v_add_co_u32 v5, vcc_lo, v1, s4
	s_cselect_b32 s8, s8, s42
	s_add_i32 s10, s43, 0xfffff940
	s_ashr_i32 s9, s8, 31
	v_add_co_ci_u32_e32 v6, vcc_lo, s5, v3, vcc_lo
	s_lshl_b64 s[8:9], s[8:9], 1
	s_cmp_lt_i32 s10, s41
	v_add_co_u32 v7, vcc_lo, v1, s6
	s_cselect_b32 s10, s10, s42
	s_add_i32 s18, s43, 0xfffff980
	s_ashr_i32 s11, s10, 31
	v_add_co_ci_u32_e32 v8, vcc_lo, s7, v3, vcc_lo
	s_lshl_b64 s[10:11], s[10:11], 1
	s_cmp_lt_i32 s18, s41
	v_add_co_u32 v9, vcc_lo, v1, s8
	s_cselect_b32 s18, s18, s42
	s_add_i32 s20, s43, 0xfffff9c0
	s_ashr_i32 s19, s18, 31
	s_clause 0x1
	global_load_u16 v23, v[5:6], off
	global_load_u16 v24, v[7:8], off
	s_lshl_b64 s[18:19], s[18:19], 1
	s_cmp_lt_i32 s20, s41
	v_add_co_ci_u32_e32 v10, vcc_lo, s9, v3, vcc_lo
	s_cselect_b32 s20, s20, s42
	s_add_i32 s22, s43, 0xfffffa00
	s_ashr_i32 s21, s20, 31
	global_load_u16 v25, v[9:10], off
	s_lshl_b64 s[20:21], s[20:21], 1
	s_cmp_lt_i32 s22, s41
	v_add_co_u32 v11, vcc_lo, v1, s10
	s_cselect_b32 s22, s22, s42
	s_add_i32 s24, s43, 0xfffffa40
	s_ashr_i32 s23, s22, 31
	v_add_co_ci_u32_e32 v12, vcc_lo, s11, v3, vcc_lo
	s_lshl_b64 s[22:23], s[22:23], 1
	s_cmp_lt_i32 s24, s41
	v_add_co_u32 v13, vcc_lo, v1, s18
	global_load_u16 v26, v[11:12], off
	s_cselect_b32 s24, s24, s42
	s_add_i32 s26, s43, 0xfffffa80
	s_ashr_i32 s25, s24, 31
	v_add_co_ci_u32_e32 v14, vcc_lo, s19, v3, vcc_lo
	s_lshl_b64 s[24:25], s[24:25], 1
	s_cmp_lt_i32 s26, s41
	v_add_co_u32 v15, vcc_lo, v1, s20
	global_load_u16 v27, v[13:14], off
	s_cselect_b32 s26, s26, s42
	s_add_i32 s28, s43, 0xfffffac0
	s_ashr_i32 s27, s26, 31
	v_add_co_ci_u32_e32 v16, vcc_lo, s21, v3, vcc_lo
	s_lshl_b64 s[36:37], s[26:27], 1
	s_cmp_lt_i32 s28, s41
	v_add_co_u32 v17, vcc_lo, v1, s22
	s_cselect_b32 s26, s28, s42
	s_add_i32 s30, s43, 0xfffffb00
	s_ashr_i32 s27, s26, 31
	v_add_co_ci_u32_e32 v18, vcc_lo, s23, v3, vcc_lo
	s_lshl_b64 s[28:29], s[26:27], 1
	s_cmp_lt_i32 s30, s41
	v_add_co_u32 v19, vcc_lo, v1, s24
	global_load_u16 v17, v[17:18], off
	s_cselect_b32 s26, s30, s42
	s_add_i32 s30, s43, 0xfffffb40
	s_ashr_i32 s27, s26, 31
	v_add_co_ci_u32_e32 v20, vcc_lo, s25, v3, vcc_lo
	s_lshl_b64 s[26:27], s[26:27], 1
	s_cmp_lt_i32 s30, s41
	v_add_co_u32 v21, vcc_lo, v1, s36
	s_cselect_b32 s30, s30, s42
	s_add_i32 s46, s43, 0xfffffb80
	s_ashr_i32 s31, s30, 31
	v_add_co_ci_u32_e32 v22, vcc_lo, s37, v3, vcc_lo
	s_lshl_b64 s[34:35], s[30:31], 1
	s_cmp_lt_i32 s46, s41
	v_add_co_u32 v5, vcc_lo, v1, s28
	;; [unrolled: 7-line block ×3, first 2 shown]
	s_cselect_b32 s46, s46, s42
	s_add_i32 s48, s43, 0xfffffc00
	s_ashr_i32 s47, s46, 31
	global_load_u16 v28, v[15:16], off
	s_lshl_b64 s[38:39], s[46:47], 1
	s_cmp_lt_i32 s48, s41
	v_add_co_ci_u32_e32 v8, vcc_lo, s27, v3, vcc_lo
	s_cselect_b32 s46, s48, s42
	v_add_co_u32 v9, vcc_lo, v1, s34
	s_ashr_i32 s47, s46, 31
	s_add_i32 s4, s43, 0xfffffc40
	s_lshl_b64 s[46:47], s[46:47], 1
	v_add_co_ci_u32_e32 v10, vcc_lo, s35, v3, vcc_lo
	s_cmp_lt_i32 s4, s41
	v_add_co_u32 v11, vcc_lo, v1, s30
	s_cselect_b32 s4, s4, s42
	v_add_co_ci_u32_e32 v12, vcc_lo, s31, v3, vcc_lo
	v_add_co_u32 v13, vcc_lo, v1, s38
	s_ashr_i32 s5, s4, 31
	s_add_i32 s6, s43, 0xfffffc80
	v_add_co_ci_u32_e32 v14, vcc_lo, s39, v3, vcc_lo
	global_load_u16 v18, v[19:20], off
	s_lshl_b64 s[8:9], s[4:5], 1
	s_cmp_lt_i32 s6, s41
	global_load_u16 v30, v[13:14], off
	s_cselect_b32 s4, s6, s42
	global_load_u16 v19, v[21:22], off
	s_ashr_i32 s5, s4, 31
	s_add_i32 s6, s43, 0xfffffcc0
	s_lshl_b64 s[10:11], s[4:5], 1
	s_cmp_lt_i32 s6, s41
	s_clause 0x3
	global_load_u16 v20, v[5:6], off
	global_load_u16 v21, v[7:8], off
	;; [unrolled: 1-line block ×4, first 2 shown]
	s_cselect_b32 s4, s6, s42
	s_add_i32 s6, s43, 0xfffffd00
	s_ashr_i32 s5, s4, 31
	v_add_co_u32 v15, vcc_lo, v1, s46
	s_lshl_b64 s[4:5], s[4:5], 1
	s_cmp_lt_i32 s6, s41
	v_add_co_ci_u32_e32 v16, vcc_lo, s47, v3, vcc_lo
	s_cselect_b32 s6, s6, s42
	s_add_i32 s18, s43, 0xfffffd40
	s_ashr_i32 s7, s6, 31
	v_add_co_u32 v5, vcc_lo, v1, s8
	s_lshl_b64 s[6:7], s[6:7], 1
	s_cmp_lt_i32 s18, s41
	v_add_co_ci_u32_e32 v6, vcc_lo, s9, v3, vcc_lo
	s_cselect_b32 s18, s18, s42
	v_add_co_u32 v7, vcc_lo, v1, s10
	s_ashr_i32 s19, s18, 31
	s_add_i32 s20, s43, 0xfffffd80
	s_lshl_b64 s[18:19], s[18:19], 1
	v_add_co_ci_u32_e32 v8, vcc_lo, s11, v3, vcc_lo
	s_cmp_lt_i32 s20, s41
	v_add_co_u32 v9, vcc_lo, v1, s4
	s_cselect_b32 s20, s20, s42
	v_add_co_ci_u32_e32 v10, vcc_lo, s5, v3, vcc_lo
	v_add_co_u32 v11, vcc_lo, v1, s6
	s_ashr_i32 s21, s20, 31
	s_add_i32 s22, s43, 0xfffffdc0
	v_add_co_ci_u32_e32 v12, vcc_lo, s7, v3, vcc_lo
	global_load_u16 v15, v[15:16], off
	s_lshl_b64 s[20:21], s[20:21], 1
	s_cmp_lt_i32 s22, s41
	global_load_u16 v33, v[11:12], off
	s_cselect_b32 s22, s22, s42
	s_clause 0x2
	global_load_u16 v16, v[5:6], off
	global_load_u16 v31, v[7:8], off
	;; [unrolled: 1-line block ×3, first 2 shown]
	s_ashr_i32 s23, s22, 31
	s_add_i32 s24, s43, 0xfffffe00
	s_lshl_b64 s[22:23], s[22:23], 1
	s_cmp_lt_i32 s24, s41
	v_add_co_u32 v13, vcc_lo, v1, s18
	s_cselect_b32 s24, s24, s42
	s_add_i32 s26, s43, 0xfffffe40
	s_ashr_i32 s25, s24, 31
	v_add_co_ci_u32_e32 v14, vcc_lo, s19, v3, vcc_lo
	s_lshl_b64 s[24:25], s[24:25], 1
	s_cmp_lt_i32 s26, s41
	v_add_co_u32 v5, vcc_lo, v1, s20
	s_cselect_b32 s8, s26, s42
	v_add_co_ci_u32_e32 v6, vcc_lo, s21, v3, vcc_lo
	s_ashr_i32 s9, s8, 31
	v_add_co_u32 v7, vcc_lo, v1, s22
	s_add_i32 s10, s43, 0xfffffe80
	s_lshl_b64 s[8:9], s[8:9], 1
	v_add_co_ci_u32_e32 v8, vcc_lo, s23, v3, vcc_lo
	s_cmp_lt_i32 s10, s41
	v_add_co_u32 v9, vcc_lo, v1, s24
	s_cselect_b32 s4, s10, s42
	global_load_u16 v13, v[13:14], off
	v_add_co_ci_u32_e32 v10, vcc_lo, s25, v3, vcc_lo
	s_ashr_i32 s5, s4, 31
	s_add_i32 s6, s43, 0xfffffec0
	s_lshl_b64 s[4:5], s[4:5], 1
	global_load_u16 v35, v[9:10], off
	s_cmp_lt_i32 s6, s41
	s_clause 0x1
	global_load_u16 v14, v[5:6], off
	global_load_u16 v34, v[7:8], off
	s_cselect_b32 s6, s6, s42
	s_add_i32 s10, s43, 0xffffff00
	s_ashr_i32 s7, s6, 31
	v_add_co_u32 v5, vcc_lo, v1, s8
	s_lshl_b64 s[6:7], s[6:7], 1
	s_cmp_lt_i32 s10, s41
	v_add_co_ci_u32_e32 v6, vcc_lo, s9, v3, vcc_lo
	s_cselect_b32 s10, s10, s42
	v_add_co_u32 v7, vcc_lo, v1, s4
	s_ashr_i32 s11, s10, 31
	v_add_co_ci_u32_e32 v8, vcc_lo, s5, v3, vcc_lo
	s_add_i32 s18, s43, 0xffffff40
	s_lshl_b64 s[10:11], s[10:11], 1
	s_cmp_lt_i32 s18, s41
	s_clause 0x1
	global_load_u16 v36, v[5:6], off
	global_load_u16 v37, v[7:8], off
	s_cselect_b32 s18, s18, s42
	v_add_co_u32 v5, vcc_lo, v1, s6
	s_ashr_i32 s19, s18, 31
	v_add_co_ci_u32_e32 v6, vcc_lo, s7, v3, vcc_lo
	s_add_i32 s20, s43, 0xffffff80
	v_add_co_u32 v7, vcc_lo, v1, s10
	s_lshl_b64 s[8:9], s[18:19], 1
	s_cmp_lt_i32 s20, s41
	v_add_co_ci_u32_e32 v8, vcc_lo, s11, v3, vcc_lo
	s_cselect_b32 s4, s20, s42
	global_load_u16 v38, v[5:6], off
	s_ashr_i32 s5, s4, 31
	global_load_u16 v39, v[7:8], off
	s_sub_i32 s18, s43, 64
	v_add_co_u32 v5, vcc_lo, v1, s8
	s_lshl_b64 s[4:5], s[4:5], 1
	s_cmp_lt_i32 s18, s41
	v_add_co_ci_u32_e32 v6, vcc_lo, s9, v3, vcc_lo
	v_add_co_u32 v7, vcc_lo, v1, s4
	s_cselect_b32 s6, s18, s42
	v_add_co_ci_u32_e32 v8, vcc_lo, s5, v3, vcc_lo
	s_ashr_i32 s7, s6, 31
	global_load_u16 v40, v[5:6], off
	s_lshl_b64 s[6:7], s[6:7], 1
	global_load_u16 v41, v[7:8], off
	s_cmp_lt_i32 s43, s41
	v_add_co_u32 v5, vcc_lo, v1, s6
	s_cselect_b32 s4, s43, s42
	v_add_co_ci_u32_e32 v6, vcc_lo, s7, v3, vcc_lo
	s_ashr_i32 s5, s4, 31
	s_delay_alu instid0(SALU_CYCLE_1)
	s_lshl_b64 s[4:5], s[4:5], 1
	global_load_u16 v42, v[5:6], off
	v_add_co_u32 v5, vcc_lo, v1, s4
	v_add_co_ci_u32_e32 v6, vcc_lo, s5, v3, vcc_lo
	global_load_u16 v43, v[5:6], off
	ds_load_b128 v[5:8], v44
	ds_load_b128 v[9:12], v44 offset:16
	s_waitcnt vmcnt(31)
	v_lshlrev_b32_e32 v2, 16, v2
	s_waitcnt lgkmcnt(1)
	s_delay_alu instid0(VALU_DEP_1) | instskip(SKIP_2) | instid1(VALU_DEP_1)
	v_fmac_f32_e32 v4, v5, v2
	s_waitcnt vmcnt(30)
	v_lshlrev_b32_e32 v2, 16, v23
	v_fmac_f32_e32 v4, v6, v2
	s_waitcnt vmcnt(29)
	v_lshlrev_b32_e32 v2, 16, v24
	s_delay_alu instid0(VALU_DEP_1) | instskip(SKIP_2) | instid1(VALU_DEP_1)
	v_fmac_f32_e32 v4, v7, v2
	s_waitcnt vmcnt(28)
	v_lshlrev_b32_e32 v2, 16, v25
	v_fmac_f32_e32 v4, v8, v2
	ds_load_b128 v[5:8], v44 offset:32
	s_waitcnt vmcnt(27)
	v_lshlrev_b32_e32 v2, 16, v26
	s_waitcnt lgkmcnt(1)
	s_delay_alu instid0(VALU_DEP_1) | instskip(SKIP_2) | instid1(VALU_DEP_1)
	v_fmac_f32_e32 v4, v9, v2
	s_waitcnt vmcnt(26)
	v_lshlrev_b32_e32 v2, 16, v27
	v_fmac_f32_e32 v4, v10, v2
	s_waitcnt vmcnt(24)
	v_lshlrev_b32_e32 v2, 16, v28
	s_delay_alu instid0(VALU_DEP_1) | instskip(SKIP_1) | instid1(VALU_DEP_1)
	v_fmac_f32_e32 v4, v11, v2
	v_lshlrev_b32_e32 v2, 16, v17
	v_fmac_f32_e32 v4, v12, v2
	ds_load_b128 v[9:12], v44 offset:48
	s_waitcnt vmcnt(23)
	v_lshlrev_b32_e32 v2, 16, v18
	s_waitcnt lgkmcnt(1)
	s_delay_alu instid0(VALU_DEP_1) | instskip(SKIP_2) | instid1(VALU_DEP_1)
	v_fmac_f32_e32 v4, v5, v2
	s_waitcnt vmcnt(21)
	v_lshlrev_b32_e32 v2, 16, v19
	v_fmac_f32_e32 v4, v6, v2
	s_waitcnt vmcnt(20)
	v_lshlrev_b32_e32 v2, 16, v20
	s_delay_alu instid0(VALU_DEP_1) | instskip(SKIP_2) | instid1(VALU_DEP_1)
	v_fmac_f32_e32 v4, v7, v2
	s_waitcnt vmcnt(19)
	v_lshlrev_b32_e32 v2, 16, v21
	v_fmac_f32_e32 v4, v8, v2
	s_waitcnt vmcnt(18)
	v_lshlrev_b32_e32 v2, 16, v22
	ds_load_b128 v[5:8], v44 offset:64
	s_waitcnt lgkmcnt(1)
	v_fmac_f32_e32 v4, v9, v2
	s_waitcnt vmcnt(17)
	v_lshlrev_b32_e32 v2, 16, v29
	s_delay_alu instid0(VALU_DEP_1) | instskip(SKIP_1) | instid1(VALU_DEP_1)
	v_fmac_f32_e32 v4, v10, v2
	v_lshlrev_b32_e32 v2, 16, v30
	v_fmac_f32_e32 v4, v11, v2
	s_waitcnt vmcnt(16)
	v_lshlrev_b32_e32 v2, 16, v15
	s_delay_alu instid0(VALU_DEP_1) | instskip(SKIP_4) | instid1(VALU_DEP_1)
	v_fmac_f32_e32 v4, v12, v2
	ds_load_b128 v[9:12], v44 offset:80
	s_waitcnt vmcnt(14)
	v_lshlrev_b32_e32 v2, 16, v16
	s_waitcnt lgkmcnt(1)
	v_fmac_f32_e32 v4, v5, v2
	s_waitcnt vmcnt(13)
	v_lshlrev_b32_e32 v2, 16, v31
	s_delay_alu instid0(VALU_DEP_1) | instskip(SKIP_2) | instid1(VALU_DEP_1)
	v_fmac_f32_e32 v4, v6, v2
	s_waitcnt vmcnt(12)
	v_lshlrev_b32_e32 v2, 16, v32
	v_fmac_f32_e32 v4, v7, v2
	v_lshlrev_b32_e32 v2, 16, v33
	s_delay_alu instid0(VALU_DEP_1) | instskip(SKIP_4) | instid1(VALU_DEP_1)
	v_fmac_f32_e32 v4, v8, v2
	ds_load_b128 v[5:8], v44 offset:96
	s_waitcnt vmcnt(11)
	v_lshlrev_b32_e32 v2, 16, v13
	s_waitcnt lgkmcnt(1)
	v_fmac_f32_e32 v4, v9, v2
	s_waitcnt vmcnt(9)
	v_lshlrev_b32_e32 v2, 16, v14
	s_delay_alu instid0(VALU_DEP_1) | instskip(SKIP_2) | instid1(VALU_DEP_1)
	v_fmac_f32_e32 v4, v10, v2
	s_waitcnt vmcnt(8)
	v_lshlrev_b32_e32 v2, 16, v34
	v_fmac_f32_e32 v4, v11, v2
	;; [unrolled: 15-line block ×3, first 2 shown]
	s_waitcnt vmcnt(4)
	v_lshlrev_b32_e32 v2, 16, v39
	s_delay_alu instid0(VALU_DEP_1) | instskip(SKIP_3) | instid1(VALU_DEP_1)
	v_fmac_f32_e32 v4, v8, v2
	s_waitcnt vmcnt(3)
	v_lshlrev_b32_e32 v2, 16, v40
	s_waitcnt lgkmcnt(0)
	v_fmac_f32_e32 v4, v9, v2
	s_waitcnt vmcnt(2)
	v_lshlrev_b32_e32 v2, 16, v41
	s_delay_alu instid0(VALU_DEP_1) | instskip(SKIP_2) | instid1(VALU_DEP_1)
	v_fmac_f32_e32 v4, v10, v2
	s_waitcnt vmcnt(1)
	v_lshlrev_b32_e32 v2, 16, v42
	v_fmac_f32_e32 v4, v11, v2
	s_waitcnt vmcnt(0)
	v_lshlrev_b32_e32 v2, 16, v43
	s_delay_alu instid0(VALU_DEP_1)
	v_fmac_f32_e32 v4, v12, v2
	s_branch .LBB409_14
.LBB409_17:
	v_mov_b32_e32 v1, 0
	s_and_b32 vcc_lo, exec_lo, s15
	ds_load_b32 v1, v1 offset:1024
	s_cbranch_vccz .LBB409_19
; %bb.18:
	s_add_u32 s2, s12, s16
	s_addc_u32 s3, s13, s17
	s_load_b32 s2, s[2:3], 0x0
	s_mov_b32 s3, 0
.LBB409_19:
	s_waitcnt lgkmcnt(0)
	v_add_f32_e32 v1, 0x358637bd, v1
	s_delay_alu instid0(VALU_DEP_1) | instskip(NEXT) | instid1(VALU_DEP_1)
	v_div_scale_f32 v2, null, v1, v1, 1.0
	v_rcp_f32_e32 v3, v2
	s_waitcnt_depctr 0xfff
	v_fma_f32 v5, -v2, v3, 1.0
	s_delay_alu instid0(VALU_DEP_1) | instskip(SKIP_1) | instid1(VALU_DEP_1)
	v_fmac_f32_e32 v3, v5, v3
	v_div_scale_f32 v5, vcc_lo, 1.0, v1, 1.0
	v_mul_f32_e32 v6, v5, v3
	s_delay_alu instid0(VALU_DEP_1) | instskip(NEXT) | instid1(VALU_DEP_1)
	v_fma_f32 v7, -v2, v6, v5
	v_fmac_f32_e32 v6, v7, v3
	s_delay_alu instid0(VALU_DEP_1) | instskip(NEXT) | instid1(VALU_DEP_1)
	v_fma_f32 v2, -v2, v6, v5
	v_div_fmas_f32 v2, v2, v3, v6
	s_delay_alu instid0(VALU_DEP_1) | instskip(NEXT) | instid1(VALU_DEP_1)
	v_div_fixup_f32 v1, v2, v1, 1.0
	v_mul_f32_e32 v2, v4, v1
	s_delay_alu instid0(VALU_DEP_1) | instskip(NEXT) | instid1(VALU_DEP_1)
	v_and_b32_e32 v1, 0x7f800000, v2
	v_cmp_ne_u32_e32 vcc_lo, 0x7f800000, v1
                                        ; implicit-def: $vgpr1
	s_and_saveexec_b32 s4, vcc_lo
	s_delay_alu instid0(SALU_CYCLE_1)
	s_xor_b32 s4, exec_lo, s4
; %bb.20:
	v_bfe_u32 v1, v2, 16, 1
	s_delay_alu instid0(VALU_DEP_1)
	v_add3_u32 v1, v2, v1, 0x7fff
                                        ; implicit-def: $vgpr2
; %bb.21:
	s_and_not1_saveexec_b32 s4, s4
; %bb.22:
	v_and_b32_e32 v1, 0xffff, v2
	v_or_b32_e32 v3, 0x10000, v2
	s_delay_alu instid0(VALU_DEP_2) | instskip(NEXT) | instid1(VALU_DEP_2)
	v_cmp_eq_u32_e32 vcc_lo, 0, v1
	v_cndmask_b32_e32 v1, v3, v2, vcc_lo
; %bb.23:
	s_or_b32 exec_lo, exec_lo, s4
	s_mul_i32 s3, s33, s3
	s_mul_hi_u32 s4, s33, s2
	s_mul_i32 s2, s33, s2
	s_add_i32 s3, s4, s3
	s_mov_b32 s15, 0
	s_lshl_b64 s[2:3], s[2:3], 6
	v_and_b32_e32 v1, 0xffff0000, v1
	s_add_u32 s2, s0, s2
	s_addc_u32 s3, s1, s3
	s_lshl_b64 s[0:1], s[14:15], 6
	s_delay_alu instid0(SALU_CYCLE_1)
	s_add_u32 s0, s2, s0
	s_addc_u32 s1, s3, s1
	v_add_co_u32 v0, s0, s0, v0
	v_cvt_i32_f32_e32 v2, v1
	v_add_co_ci_u32_e64 v1, null, s1, 0, s0
	global_store_b8 v[0:1], v2, off
	s_nop 0
	s_sendmsg sendmsg(MSG_DEALLOC_VGPRS)
	s_endpgm
.LBB409_24:
	s_mov_b32 s4, 0
	s_branch .LBB409_2
	.section	.rodata,"a",@progbits
	.p2align	6, 0x0
	.amdhsa_kernel _Z35paged_attention_ll4mi_reduce_kernelI14__hip_bfloat16hLi64ELi64ELi256ELi8EEvPT0_PKfS4_PKT_PKiS9_iS4_
		.amdhsa_group_segment_fixed_size 1028
		.amdhsa_private_segment_fixed_size 0
		.amdhsa_kernarg_size 320
		.amdhsa_user_sgpr_count 14
		.amdhsa_user_sgpr_dispatch_ptr 0
		.amdhsa_user_sgpr_queue_ptr 0
		.amdhsa_user_sgpr_kernarg_segment_ptr 1
		.amdhsa_user_sgpr_dispatch_id 0
		.amdhsa_user_sgpr_private_segment_size 0
		.amdhsa_wavefront_size32 1
		.amdhsa_uses_dynamic_stack 0
		.amdhsa_enable_private_segment 0
		.amdhsa_system_sgpr_workgroup_id_x 1
		.amdhsa_system_sgpr_workgroup_id_y 1
		.amdhsa_system_sgpr_workgroup_id_z 0
		.amdhsa_system_sgpr_workgroup_info 0
		.amdhsa_system_vgpr_workitem_id 0
		.amdhsa_next_free_vgpr 52
		.amdhsa_next_free_sgpr 49
		.amdhsa_reserve_vcc 1
		.amdhsa_float_round_mode_32 0
		.amdhsa_float_round_mode_16_64 0
		.amdhsa_float_denorm_mode_32 3
		.amdhsa_float_denorm_mode_16_64 3
		.amdhsa_dx10_clamp 1
		.amdhsa_ieee_mode 1
		.amdhsa_fp16_overflow 0
		.amdhsa_workgroup_processor_mode 1
		.amdhsa_memory_ordered 1
		.amdhsa_forward_progress 0
		.amdhsa_shared_vgpr_count 0
		.amdhsa_exception_fp_ieee_invalid_op 0
		.amdhsa_exception_fp_denorm_src 0
		.amdhsa_exception_fp_ieee_div_zero 0
		.amdhsa_exception_fp_ieee_overflow 0
		.amdhsa_exception_fp_ieee_underflow 0
		.amdhsa_exception_fp_ieee_inexact 0
		.amdhsa_exception_int_div_zero 0
	.end_amdhsa_kernel
	.section	.text._Z35paged_attention_ll4mi_reduce_kernelI14__hip_bfloat16hLi64ELi64ELi256ELi8EEvPT0_PKfS4_PKT_PKiS9_iS4_,"axG",@progbits,_Z35paged_attention_ll4mi_reduce_kernelI14__hip_bfloat16hLi64ELi64ELi256ELi8EEvPT0_PKfS4_PKT_PKiS9_iS4_,comdat
.Lfunc_end409:
	.size	_Z35paged_attention_ll4mi_reduce_kernelI14__hip_bfloat16hLi64ELi64ELi256ELi8EEvPT0_PKfS4_PKT_PKiS9_iS4_, .Lfunc_end409-_Z35paged_attention_ll4mi_reduce_kernelI14__hip_bfloat16hLi64ELi64ELi256ELi8EEvPT0_PKfS4_PKT_PKiS9_iS4_
                                        ; -- End function
	.section	.AMDGPU.csdata,"",@progbits
; Kernel info:
; codeLenInByte = 6668
; NumSgprs: 51
; NumVgprs: 52
; ScratchSize: 0
; MemoryBound: 0
; FloatMode: 240
; IeeeMode: 1
; LDSByteSize: 1028 bytes/workgroup (compile time only)
; SGPRBlocks: 6
; VGPRBlocks: 6
; NumSGPRsForWavesPerEU: 51
; NumVGPRsForWavesPerEU: 52
; Occupancy: 16
; WaveLimiterHint : 0
; COMPUTE_PGM_RSRC2:SCRATCH_EN: 0
; COMPUTE_PGM_RSRC2:USER_SGPR: 14
; COMPUTE_PGM_RSRC2:TRAP_HANDLER: 0
; COMPUTE_PGM_RSRC2:TGID_X_EN: 1
; COMPUTE_PGM_RSRC2:TGID_Y_EN: 1
; COMPUTE_PGM_RSRC2:TGID_Z_EN: 0
; COMPUTE_PGM_RSRC2:TIDIG_COMP_CNT: 0
	.section	.text._Z39paged_attention_ll4mi_QKV_mfma16_kernelI14__hip_bfloat16S0_LN4vllm18Fp8KVCacheDataTypeE0EhLi16ELi64ELi256ELb1ELi1EL8MFMAType0EEvPKT_PKT0_S9_ifPKiSB_SB_iPKfiiiPfSE_PS4_PT2_iSD_SD_,"axG",@progbits,_Z39paged_attention_ll4mi_QKV_mfma16_kernelI14__hip_bfloat16S0_LN4vllm18Fp8KVCacheDataTypeE0EhLi16ELi64ELi256ELb1ELi1EL8MFMAType0EEvPKT_PKT0_S9_ifPKiSB_SB_iPKfiiiPfSE_PS4_PT2_iSD_SD_,comdat
	.protected	_Z39paged_attention_ll4mi_QKV_mfma16_kernelI14__hip_bfloat16S0_LN4vllm18Fp8KVCacheDataTypeE0EhLi16ELi64ELi256ELb1ELi1EL8MFMAType0EEvPKT_PKT0_S9_ifPKiSB_SB_iPKfiiiPfSE_PS4_PT2_iSD_SD_ ; -- Begin function _Z39paged_attention_ll4mi_QKV_mfma16_kernelI14__hip_bfloat16S0_LN4vllm18Fp8KVCacheDataTypeE0EhLi16ELi64ELi256ELb1ELi1EL8MFMAType0EEvPKT_PKT0_S9_ifPKiSB_SB_iPKfiiiPfSE_PS4_PT2_iSD_SD_
	.globl	_Z39paged_attention_ll4mi_QKV_mfma16_kernelI14__hip_bfloat16S0_LN4vllm18Fp8KVCacheDataTypeE0EhLi16ELi64ELi256ELb1ELi1EL8MFMAType0EEvPKT_PKT0_S9_ifPKiSB_SB_iPKfiiiPfSE_PS4_PT2_iSD_SD_
	.p2align	8
	.type	_Z39paged_attention_ll4mi_QKV_mfma16_kernelI14__hip_bfloat16S0_LN4vllm18Fp8KVCacheDataTypeE0EhLi16ELi64ELi256ELb1ELi1EL8MFMAType0EEvPKT_PKT0_S9_ifPKiSB_SB_iPKfiiiPfSE_PS4_PT2_iSD_SD_,@function
_Z39paged_attention_ll4mi_QKV_mfma16_kernelI14__hip_bfloat16S0_LN4vllm18Fp8KVCacheDataTypeE0EhLi16ELi64ELi256ELb1ELi1EL8MFMAType0EEvPKT_PKT0_S9_ifPKiSB_SB_iPKfiiiPfSE_PS4_PT2_iSD_SD_: ; @_Z39paged_attention_ll4mi_QKV_mfma16_kernelI14__hip_bfloat16S0_LN4vllm18Fp8KVCacheDataTypeE0EhLi16ELi64ELi256ELb1ELi1EL8MFMAType0EEvPKT_PKT0_S9_ifPKiSB_SB_iPKfiiiPfSE_PS4_PT2_iSD_SD_
; %bb.0:
	s_load_b64 s[4:5], s[0:1], 0x30
	s_mov_b32 s34, s13
	s_waitcnt lgkmcnt(0)
	s_cmp_lg_u64 s[4:5], 0
	s_cselect_b32 s6, -1, 0
	s_ashr_i32 s35, s13, 31
	s_cmp_eq_u64 s[4:5], 0
	s_cbranch_scc1 .LBB410_3
; %bb.1:
	s_lshl_b64 s[2:3], s[34:35], 2
	s_delay_alu instid0(SALU_CYCLE_1) | instskip(SKIP_4) | instid1(SALU_CYCLE_1)
	s_add_u32 s2, s4, s2
	s_addc_u32 s3, s5, s3
	s_load_b64 s[2:3], s[2:3], 0x0
	s_waitcnt lgkmcnt(0)
	s_sub_i32 s2, s3, s2
	s_cmp_eq_u32 s2, 1
	s_cselect_b32 s2, -1, 0
	s_delay_alu instid0(SALU_CYCLE_1)
	s_and_not1_b32 vcc_lo, exec_lo, s2
	s_cbranch_vccz .LBB410_4
.LBB410_2:
	s_endpgm
.LBB410_3:
.LBB410_4:
	s_load_b64 s[2:3], s[0:1], 0x28
	s_lshl_b64 s[8:9], s[34:35], 2
	s_waitcnt lgkmcnt(0)
	s_add_u32 s2, s2, s8
	s_addc_u32 s3, s3, s9
	s_lshl_b32 s60, s14, 8
	s_load_b32 s33, s[2:3], 0x0
	s_waitcnt lgkmcnt(0)
	s_cmp_ge_i32 s60, s33
	s_cbranch_scc1 .LBB410_2
; %bb.5:
	s_clause 0x1
	s_load_b128 s[56:59], s[0:1], 0x8
	s_load_b64 s[2:3], s[0:1], 0x20
	s_and_not1_b32 vcc_lo, exec_lo, s6
	s_mov_b64 s[6:7], s[34:35]
	s_cbranch_vccnz .LBB410_7
; %bb.6:
	s_add_u32 s4, s4, s8
	s_addc_u32 s5, s5, s9
	s_load_b32 s6, s[4:5], 0x0
.LBB410_7:
	s_load_b128 s[52:55], s[0:1], 0x48
	v_and_b32_e32 v137, 15, v0
	s_mov_b32 s12, exec_lo
                                        ; implicit-def: $sgpr4
                                        ; implicit-def: $sgpr16
                                        ; implicit-def: $sgpr24
                                        ; implicit-def: $sgpr36
	s_delay_alu instid0(VALU_DEP_1)
	v_cmpx_eq_u32_e32 0, v137
	s_cbranch_execz .LBB410_9
; %bb.8:
	s_load_b64 s[4:5], s[0:1], 0x0
	s_waitcnt lgkmcnt(0)
	s_mul_hi_i32 s7, s6, s52
	s_mul_i32 s6, s6, s52
	s_delay_alu instid0(SALU_CYCLE_1) | instskip(NEXT) | instid1(SALU_CYCLE_1)
	s_lshl_b64 s[6:7], s[6:7], 1
	s_add_u32 s6, s4, s6
	s_addc_u32 s7, s5, s7
	s_lshl_b32 s4, s15, 6
	s_delay_alu instid0(SALU_CYCLE_1) | instskip(NEXT) | instid1(SALU_CYCLE_1)
	s_ashr_i32 s5, s4, 31
	s_lshl_b64 s[4:5], s[4:5], 1
	s_delay_alu instid0(SALU_CYCLE_1)
	s_add_u32 s36, s6, s4
	s_addc_u32 s37, s7, s5
	s_clause 0x3
	s_load_b256 s[4:11], s[36:37], 0x0
	s_load_b256 s[16:23], s[36:37], 0x20
	;; [unrolled: 1-line block ×4, first 2 shown]
.LBB410_9:
	s_or_b32 exec_lo, exec_lo, s12
	v_and_b32_e32 v1, 0xef, v0
	s_add_i32 s13, s33, 15
	s_load_b32 s12, s[0:1], 0x38
	s_waitcnt lgkmcnt(0)
	s_load_b32 s52, s[0:1], 0x1c
	s_ashr_i32 s35, s13, 31
	v_add_nc_u32_e32 v1, s60, v1
	s_lshr_b32 s35, s35, 28
	v_mov_b32_e32 v155, s23
	s_add_i32 s13, s13, s35
	v_dual_mov_b32 v154, s22 :: v_dual_lshlrev_b32 v65, 5, v137
	v_ashrrev_i32_e32 v2, 31, v1
	v_or_b32_e32 v3, 16, v1
	s_ashr_i32 s35, s13, 4
	v_cmp_gt_i32_e32 vcc_lo, s33, v1
	s_add_i32 s35, s35, -1
	v_lshrrev_b32_e32 v2, 28, v2
	v_mov_b32_e32 v153, s21
	v_mov_b32_e32 v151, s19
	;; [unrolled: 1-line block ×3, first 2 shown]
	s_delay_alu instid0(VALU_DEP_4)
	v_dual_mov_b32 v163, s31 :: v_dual_add_nc_u32 v4, v1, v2
	s_mul_i32 s12, s34, s12
	v_mov_b32_e32 v162, s30
	s_ashr_i32 s13, s12, 31
	v_mov_b32_e32 v161, s29
	v_ashrrev_i32_e32 v4, 4, v4
	v_add_nc_u32_e32 v2, v3, v2
	s_lshl_b64 s[12:13], s[12:13], 2
	v_mov_b32_e32 v160, s28
	s_add_u32 s61, s2, s12
	v_cndmask_b32_e32 v1, s35, v4, vcc_lo
	v_ashrrev_i32_e32 v2, 4, v2
	v_cmp_gt_i32_e32 vcc_lo, s33, v3
	s_addc_u32 s62, s3, s13
	s_mul_i32 s2, s15, s54
	v_mov_b32_e32 v159, s27
	s_ashr_i32 s3, s2, 31
	v_cndmask_b32_e32 v3, s35, v2, vcc_lo
	v_ashrrev_i32_e32 v2, 31, v1
	s_lshl_b64 s[2:3], s[2:3], 1
	v_mov_b32_e32 v158, s26
	s_add_u32 s56, s56, s2
	v_ashrrev_i32_e32 v4, 31, v3
	v_lshlrev_b64 v[1:2], 2, v[1:2]
	s_addc_u32 s57, s57, s3
	s_lshl_b32 s12, s14, 4
	v_mov_b32_e32 v157, s25
	v_lshlrev_b64 v[3:4], 2, v[3:4]
	s_ashr_i32 s13, s12, 31
	v_add_co_u32 v1, vcc_lo, s61, v1
	v_add_co_ci_u32_e32 v2, vcc_lo, s62, v2, vcc_lo
	s_delay_alu instid0(VALU_DEP_3) | instskip(NEXT) | instid1(VALU_DEP_4)
	v_add_co_u32 v3, vcc_lo, s61, v3
	v_add_co_ci_u32_e32 v4, vcc_lo, s62, v4, vcc_lo
	s_clause 0x1
	global_load_b32 v5, v[1:2], off
	global_load_b32 v6, v[3:4], off
	s_lshl_b64 s[12:13], s[12:13], 2
	v_lshlrev_b32_e32 v3, 4, v0
	s_add_u32 s12, s61, s12
	s_addc_u32 s13, s62, s13
	s_or_b32 s44, s60, 16
	v_mov_b32_e32 v156, s24
	s_ashr_i32 s45, s44, 4
	s_cmp_lt_i32 s44, s33
	v_lshrrev_b32_e32 v139, 5, v0
	s_cselect_b32 s44, s45, s35
	v_mov_b32_e32 v152, s20
	s_ashr_i32 s45, s44, 31
	v_mov_b32_e32 v150, s18
	s_lshl_b64 s[44:45], s[44:45], 2
	v_mov_b32_e32 v148, s16
	s_add_u32 s44, s61, s44
	s_addc_u32 s45, s62, s45
	s_or_b32 s46, s60, 32
	v_lshl_or_b32 v65, v139, 9, v65
	s_ashr_i32 s47, s46, 4
	s_cmp_lt_i32 s46, s33
	s_cselect_b32 s46, s47, s35
	s_delay_alu instid0(SALU_CYCLE_1) | instskip(NEXT) | instid1(SALU_CYCLE_1)
	s_ashr_i32 s47, s46, 31
	s_lshl_b64 s[46:47], s[46:47], 2
	s_delay_alu instid0(SALU_CYCLE_1) | instskip(SKIP_2) | instid1(SALU_CYCLE_1)
	s_add_u32 s46, s61, s46
	s_addc_u32 s47, s62, s47
	s_or_b32 s48, s60, 48
	s_ashr_i32 s49, s48, 4
	s_cmp_lt_i32 s48, s33
	s_cselect_b32 s48, s49, s35
	s_delay_alu instid0(SALU_CYCLE_1) | instskip(NEXT) | instid1(SALU_CYCLE_1)
	s_ashr_i32 s49, s48, 31
	s_lshl_b64 s[48:49], s[48:49], 2
	s_delay_alu instid0(SALU_CYCLE_1) | instskip(SKIP_2) | instid1(SALU_CYCLE_1)
	s_add_u32 s48, s61, s48
	s_addc_u32 s49, s62, s49
	s_or_b32 s50, s60, 64
	;; [unrolled: 10-line block ×3, first 2 shown]
	s_ashr_i32 s55, s54, 4
	s_cmp_lt_i32 s54, s33
	s_cselect_b32 s54, s55, s35
	s_delay_alu instid0(SALU_CYCLE_1) | instskip(NEXT) | instid1(SALU_CYCLE_1)
	s_ashr_i32 s55, s54, 31
	s_lshl_b64 s[54:55], s[54:55], 2
	s_delay_alu instid0(SALU_CYCLE_1)
	s_add_u32 s54, s61, s54
	s_addc_u32 s55, s62, s55
	s_clause 0x5
	s_load_b32 s66, s[12:13], 0x0
	s_load_b32 s65, s[44:45], 0x0
	;; [unrolled: 1-line block ×6, first 2 shown]
	s_waitcnt vmcnt(1)
	v_mad_i64_i32 v[1:2], null, v5, s53, 0
	v_and_b32_e32 v5, 0xf0, v3
	s_waitcnt vmcnt(0)
	v_mad_i64_i32 v[3:4], null, v6, s53, 0
	s_delay_alu instid0(VALU_DEP_2) | instskip(NEXT) | instid1(VALU_DEP_4)
	v_add_co_u32 v5, s44, s56, v5
	v_lshlrev_b64 v[1:2], 1, v[1:2]
	v_add_co_ci_u32_e64 v6, null, s57, 0, s44
	s_delay_alu instid0(VALU_DEP_4) | instskip(SKIP_1) | instid1(VALU_DEP_3)
	v_lshlrev_b64 v[3:4], 1, v[3:4]
	s_or_b32 s44, s60, 0x60
	v_add_co_u32 v13, vcc_lo, v5, v1
	s_delay_alu instid0(VALU_DEP_3) | instskip(NEXT) | instid1(VALU_DEP_3)
	v_add_co_ci_u32_e32 v14, vcc_lo, v6, v2, vcc_lo
	v_add_co_u32 v57, vcc_lo, v5, v3
	s_delay_alu instid0(VALU_DEP_4)
	v_add_co_ci_u32_e32 v58, vcc_lo, v6, v4, vcc_lo
	s_clause 0xf
	global_load_b128 v[41:44], v[13:14], off
	global_load_b128 v[45:48], v[13:14], off offset:256
	global_load_b128 v[49:52], v[57:58], off
	global_load_b128 v[53:56], v[57:58], off offset:256
	global_load_b128 v[33:36], v[13:14], off offset:512
	;; [unrolled: 1-line block ×13, first 2 shown]
	s_ashr_i32 s45, s44, 4
	s_cmp_lt_i32 s44, s33
	v_mov_b32_e32 v64, s11
	v_mov_b32_e32 v58, s5
	s_cselect_b32 s44, s45, s35
	v_mov_b32_e32 v63, s10
	s_ashr_i32 s45, s44, 31
	v_mov_b32_e32 v62, s9
	s_lshl_b64 s[44:45], s[44:45], 2
	v_mov_b32_e32 v61, s8
	s_add_u32 s54, s61, s44
	s_addc_u32 s55, s62, s45
	s_or_b32 s44, s60, 0x70
	v_mov_b32_e32 v60, s7
	s_ashr_i32 s45, s44, 4
	s_cmp_lt_i32 s44, s33
	v_mov_b32_e32 v59, s6
	s_cselect_b32 s44, s45, s35
	v_mov_b32_e32 v57, s4
	s_ashr_i32 s45, s44, 31
	s_load_b32 s29, s[54:55], 0x0
	s_lshl_b64 s[44:45], s[44:45], 2
	s_waitcnt lgkmcnt(0)
	s_mul_hi_i32 s7, s65, s53
	s_add_u32 s56, s61, s44
	s_addc_u32 s57, s62, s45
	s_or_b32 s44, s60, 0x80
	s_load_b32 s30, s[56:57], 0x0
	s_ashr_i32 s45, s44, 4
	s_cmp_lt_i32 s44, s33
	s_mov_b32 s44, 0
	s_cselect_b32 s46, s45, s35
	s_mov_b32 s45, s44
	s_ashr_i32 s47, s46, 31
	s_mov_b32 s48, s44
	s_lshl_b64 s[4:5], s[46:47], 2
	s_mov_b32 s46, s44
	s_add_u32 s16, s61, s4
	s_addc_u32 s17, s62, s5
	s_or_b32 s4, s60, 0x90
	s_load_b32 s31, s[16:17], 0x0
	s_ashr_i32 s5, s4, 4
	s_cmp_lt_i32 s4, s33
	s_mov_b32 s47, s44
	s_cselect_b32 s4, s5, s35
	s_mov_b32 s49, s44
	s_ashr_i32 s5, s4, 31
	s_mov_b32 s50, s44
	s_lshl_b64 s[4:5], s[4:5], 2
	s_mov_b32 s51, s44
	s_add_u32 s18, s61, s4
	s_addc_u32 s19, s62, s5
	s_or_b32 s4, s60, 0xa0
	s_load_b32 s28, s[18:19], 0x0
	s_ashr_i32 s5, s4, 4
	s_cmp_lt_i32 s4, s33
	v_dual_mov_b32 v171, s43 :: v_dual_mov_b32 v136, s51
	s_cselect_b32 s4, s5, s35
	v_mov_b32_e32 v170, s42
	s_ashr_i32 s5, s4, 31
	v_dual_mov_b32 v169, s41 :: v_dual_mov_b32 v134, s49
	s_lshl_b64 s[4:5], s[4:5], 2
	v_mov_b32_e32 v168, s40
	s_add_u32 s20, s61, s4
	s_addc_u32 s21, s62, s5
	s_or_b32 s4, s60, 0xb0
	v_dual_mov_b32 v167, s39 :: v_dual_mov_b32 v132, s47
	s_ashr_i32 s6, s4, 4
	s_cmp_lt_i32 s4, s33
	v_mov_b32_e32 v166, s38
	s_cselect_b32 s8, s6, s35
	v_dual_mov_b32 v165, s37 :: v_dual_mov_b32 v130, s45
	s_ashr_i32 s9, s8, 31
	v_mov_b32_e32 v164, s36
	s_lshl_b64 s[8:9], s[8:9], 2
	s_mul_hi_i32 s5, s66, s53
	s_add_u32 s22, s61, s8
	s_addc_u32 s23, s62, s9
	s_or_b32 s8, s60, 0xc0
	s_mul_i32 s4, s66, s53
	s_ashr_i32 s10, s8, 4
	s_cmp_lt_i32 s8, s33
	s_mul_i32 s6, s65, s53
	s_cselect_b32 s24, s10, s35
	s_mul_hi_i32 s9, s64, s53
	s_ashr_i32 s25, s24, 31
	s_mul_i32 s8, s64, s53
	s_lshl_b64 s[24:25], s[24:25], 2
	s_mul_hi_i32 s11, s13, s53
	s_add_u32 s24, s61, s24
	s_addc_u32 s25, s62, s25
	s_or_b32 s26, s60, 0xd0
	s_mul_i32 s10, s13, s53
	s_ashr_i32 s27, s26, 4
	s_cmp_lt_i32 s26, s33
	s_mul_hi_i32 s13, s12, s53
	s_cselect_b32 s26, s27, s35
	s_mul_i32 s12, s12, s53
	s_ashr_i32 s27, s26, 31
	s_mul_hi_i32 s17, s63, s53
	s_lshl_b64 s[18:19], s[26:27], 2
	s_load_b32 s27, s[20:21], 0x0
	s_add_u32 s18, s61, s18
	s_addc_u32 s19, s62, s19
	s_or_b32 s36, s60, 0xe0
	s_waitcnt lgkmcnt(0)
	s_mul_hi_i32 s21, s30, s53
	s_ashr_i32 s37, s36, 4
	s_cmp_lt_i32 s36, s33
	s_mul_i32 s20, s30, s53
	s_cselect_b32 s30, s37, s35
	s_clause 0x2
	s_load_b32 s26, s[22:23], 0x0
	s_load_b32 s25, s[24:25], 0x0
	;; [unrolled: 1-line block ×3, first 2 shown]
	s_mul_hi_i32 s23, s31, s53
	s_mul_i32 s22, s31, s53
	s_ashr_i32 s31, s30, 31
	s_mul_i32 s16, s63, s53
	s_lshl_b64 s[30:31], s[30:31], 2
	s_mul_hi_i32 s19, s29, s53
	s_add_u32 s30, s61, s30
	s_addc_u32 s31, s62, s31
	s_or_b32 s38, s60, 0xf0
	s_mul_i32 s18, s29, s53
	s_ashr_i32 s39, s38, 4
	s_cmp_lt_i32 s38, s33
	s_mul_hi_i32 s29, s28, s53
	s_cselect_b32 s38, s39, s35
	s_mul_i32 s28, s28, s53
	s_ashr_i32 s39, s38, 31
	s_mul_hi_i32 s37, s27, s53
	s_lshl_b64 s[38:39], s[38:39], 2
	s_mul_i32 s36, s27, s53
	s_add_u32 s38, s61, s38
	s_addc_u32 s39, s62, s39
	s_add_u32 s35, s58, s2
	s_addc_u32 s42, s59, s3
	v_add_co_u32 v138, s35, s35, v65
	s_delay_alu instid0(VALU_DEP_1) | instskip(SKIP_2) | instid1(VALU_DEP_2)
	v_add_co_ci_u32_e64 v192, null, s42, 0, s35
	s_lshl_b64 s[2:3], s[4:5], 1
	s_lshl_b64 s[4:5], s[6:7], 1
	v_add_co_u32 v65, vcc_lo, v138, s2
	s_delay_alu instid0(VALU_DEP_2)
	v_add_co_ci_u32_e32 v66, vcc_lo, s3, v192, vcc_lo
	v_add_co_u32 v67, vcc_lo, v138, s4
	s_lshl_b64 s[6:7], s[8:9], 1
	v_add_co_ci_u32_e32 v68, vcc_lo, s5, v192, vcc_lo
	v_add_co_u32 v69, vcc_lo, v138, s6
	s_lshl_b64 s[8:9], s[10:11], 1
	;; [unrolled: 3-line block ×6, first 2 shown]
	s_clause 0x1
	s_load_b32 s30, s[30:31], 0x0
	s_load_b32 s31, s[38:39], 0x0
	v_add_co_ci_u32_e32 v78, vcc_lo, s17, v192, vcc_lo
	v_add_co_u32 v180, vcc_lo, v138, s18
	s_lshl_b64 s[20:21], s[22:23], 1
	v_add_co_ci_u32_e32 v181, vcc_lo, s19, v192, vcc_lo
	v_add_co_u32 v182, vcc_lo, v138, s20
	s_lshl_b64 s[22:23], s[28:29], 1
	;; [unrolled: 3-line block ×3, first 2 shown]
	v_mov_b32_e32 v135, s50
	v_mov_b32_e32 v133, s48
	;; [unrolled: 1-line block ×4, first 2 shown]
	s_waitcnt lgkmcnt(0)
	s_mul_hi_i32 s27, s26, s53
	s_mul_i32 s26, s26, s53
	v_add_co_ci_u32_e32 v185, vcc_lo, s23, v192, vcc_lo
	v_add_co_u32 v186, vcc_lo, v138, s28
	s_lshl_b64 s[26:27], s[26:27], 1
	s_mul_hi_i32 s41, s25, s53
	s_mul_i32 s40, s25, s53
	v_add_co_ci_u32_e32 v187, vcc_lo, s29, v192, vcc_lo
	v_add_co_u32 v188, vcc_lo, v138, s26
	s_lshl_b64 s[36:37], s[40:41], 1
	;; [unrolled: 5-line block ×3, first 2 shown]
	v_add_co_ci_u32_e32 v191, vcc_lo, s37, v192, vcc_lo
	s_mul_hi_i32 s3, s30, s53
	s_mul_i32 s2, s30, s53
	s_mul_hi_i32 s5, s31, s53
	s_lshl_b64 s[2:3], s[2:3], 1
	s_mul_i32 s4, s31, s53
	s_clause 0xf
	global_load_b128 v[121:124], v[65:66], off
	global_load_b128 v[125:128], v[65:66], off offset:16
	global_load_b128 v[113:116], v[67:68], off
	global_load_b128 v[117:120], v[67:68], off offset:16
	;; [unrolled: 2-line block ×8, first 2 shown]
	s_waitcnt vmcnt(30)
	v_wmma_f32_16x16x16_bf16 v[172:179], v[41:48], v[57:64], v[129:136]
	s_waitcnt vmcnt(28)
	v_wmma_f32_16x16x16_bf16 v[129:136], v[49:56], v[57:64], v[129:136]
	s_clause 0x5
	global_load_b128 v[57:60], v[182:183], off
	global_load_b128 v[61:64], v[182:183], off offset:16
	global_load_b128 v[49:52], v[184:185], off
	global_load_b128 v[53:56], v[184:185], off offset:16
	;; [unrolled: 2-line block ×3, first 2 shown]
	s_waitcnt vmcnt(32)
	v_wmma_f32_16x16x16_bf16 v[172:179], v[33:40], v[148:155], v[172:179]
	s_waitcnt vmcnt(30)
	v_wmma_f32_16x16x16_bf16 v[129:136], v[25:32], v[148:155], v[129:136]
	v_add_co_u32 v29, vcc_lo, v138, s24
	v_add_co_ci_u32_e32 v30, vcc_lo, s25, v192, vcc_lo
	v_add_co_u32 v37, vcc_lo, v138, s2
	v_add_co_ci_u32_e32 v38, vcc_lo, s3, v192, vcc_lo
	s_lshl_b64 s[2:3], s[4:5], 1
	s_waitcnt vmcnt(28)
	v_wmma_f32_16x16x16_bf16 v[172:179], v[17:24], v[156:163], v[172:179]
	v_add_co_u32 v148, vcc_lo, v138, s2
	v_add_co_ci_u32_e32 v149, vcc_lo, s3, v192, vcc_lo
	s_clause 0x1
	global_load_b128 v[17:20], v[188:189], off
	global_load_b128 v[21:24], v[188:189], off offset:16
	s_waitcnt vmcnt(28)
	v_wmma_f32_16x16x16_bf16 v[129:136], v[1:8], v[156:163], v[129:136]
	s_clause 0x3
	global_load_b128 v[1:4], v[190:191], off
	global_load_b128 v[5:8], v[190:191], off offset:16
	global_load_b128 v[25:28], v[29:30], off
	global_load_b128 v[29:32], v[29:30], off offset:16
	s_waitcnt vmcnt(30)
	v_wmma_f32_16x16x16_bf16 v[172:179], v[9:16], v[164:171], v[172:179]
	s_clause 0x3
	global_load_b128 v[33:36], v[37:38], off
	global_load_b128 v[37:40], v[37:38], off offset:16
	global_load_b128 v[9:12], v[148:149], off
	global_load_b128 v[13:16], v[148:149], off offset:16
	v_and_b32_e32 v148, 0xe0, v0
	s_waitcnt vmcnt(32)
	v_wmma_f32_16x16x16_bf16 v[129:136], v[140:147], v[164:171], v[129:136]
	v_mbcnt_lo_u32_b32 v140, -1, 0
	v_bfe_u32 v138, v0, 4, 1
	v_mul_f32_e32 v154, s52, v172
	v_add_nc_u32_e32 v141, s60, v148
	v_mul_f32_e32 v155, s52, v173
	v_xor_b32_e32 v142, 16, v140
	v_mul_f32_e32 v153, s52, v175
	s_waitcnt vmcnt(0)
	v_or_b32_e32 v141, v141, v138
	s_barrier
	v_cmp_gt_i32_e32 vcc_lo, 32, v142
	buffer_gl0_inv
	v_or_b32_e32 v143, 4, v141
	v_or_b32_e32 v144, 6, v141
	v_cndmask_b32_e32 v140, v140, v142, vcc_lo
	v_or_b32_e32 v142, 2, v141
	v_cmp_gt_i32_e64 s2, s33, v141
	v_cmp_gt_i32_e64 s3, s33, v143
	;; [unrolled: 1-line block ×3, first 2 shown]
	v_or_b32_e32 v145, 8, v141
	v_cmp_gt_i32_e32 vcc_lo, s33, v142
	v_mul_f32_e32 v142, s52, v174
	v_cndmask_b32_e64 v154, 0xff7fffff, v154, s2
	v_or_b32_e32 v146, 10, v141
	v_cndmask_b32_e64 v143, 0xff7fffff, v153, s4
	v_cndmask_b32_e32 v155, 0xff7fffff, v155, vcc_lo
	v_cndmask_b32_e64 v142, 0xff7fffff, v142, s3
	v_or_b32_e32 v147, 12, v141
	v_or_b32_e32 v148, 14, v141
	;; [unrolled: 1-line block ×3, first 2 shown]
	v_max3_f32 v144, v154, 0xff7fffff, v155
	v_cmp_gt_i32_e64 s5, s33, v146
	v_cmp_gt_i32_e64 s6, s33, v145
	v_dual_mul_f32 v146, s52, v178 :: v_dual_mul_f32 v145, s52, v179
	s_delay_alu instid0(VALU_DEP_4)
	v_max3_f32 v142, v144, v142, v143
	v_dual_mul_f32 v143, s52, v177 :: v_dual_mul_f32 v144, s52, v176
	v_cmp_gt_i32_e64 s7, s33, v147
	v_cmp_gt_i32_e64 s8, s33, v148
	;; [unrolled: 1-line block ×3, first 2 shown]
	v_mul_f32_e32 v150, s52, v131
	v_cndmask_b32_e64 v144, 0xff7fffff, v144, s6
	v_cndmask_b32_e64 v143, 0xff7fffff, v143, s5
	v_or_b32_e32 v149, 16, v141
	v_cndmask_b32_e64 v146, 0xff7fffff, v146, s7
	v_mul_f32_e32 v148, s52, v133
	v_cndmask_b32_e64 v145, 0xff7fffff, v145, s8
	v_max3_f32 v142, v142, v144, v143
	v_or_b32_e32 v151, 20, v141
	v_or_b32_e32 v152, 22, v141
	v_mul_f32_e32 v143, s52, v136
	v_cmp_gt_i32_e64 s10, s33, v149
	v_max3_f32 v142, v142, v146, v145
	v_dual_mul_f32 v146, s52, v129 :: v_dual_mul_f32 v145, s52, v130
	v_or_b32_e32 v153, 24, v141
	v_or_b32_e32 v154, 26, v141
	v_mul_f32_e32 v149, s52, v132
	s_delay_alu instid0(VALU_DEP_4)
	v_cndmask_b32_e64 v146, 0xff7fffff, v146, s10
	v_cndmask_b32_e64 v145, 0xff7fffff, v145, s9
	v_cmp_gt_i32_e64 s11, s33, v151
	v_cmp_gt_i32_e64 s12, s33, v152
	v_or_b32_e32 v155, 28, v141
	v_or_b32_e32 v141, 30, v141
	v_mul_f32_e32 v147, s52, v134
	v_cndmask_b32_e64 v150, 0xff7fffff, v150, s11
	v_cndmask_b32_e64 v149, 0xff7fffff, v149, s12
	v_max3_f32 v142, v142, v146, v145
	v_cmp_gt_i32_e64 s13, s33, v153
	v_cmp_gt_i32_e64 s16, s33, v154
	v_mul_f32_e32 v144, s52, v135
	v_cmp_gt_i32_e64 s17, s33, v155
	v_max3_f32 v142, v142, v150, v149
	v_cndmask_b32_e64 v145, 0xff7fffff, v148, s13
	v_cndmask_b32_e64 v146, 0xff7fffff, v147, s16
	v_cmp_gt_i32_e64 s18, s33, v141
	v_cndmask_b32_e64 v144, 0xff7fffff, v144, s17
	v_lshlrev_b32_e32 v151, 2, v140
	s_delay_alu instid0(VALU_DEP_4) | instskip(NEXT) | instid1(VALU_DEP_4)
	v_max3_f32 v142, v142, v145, v146
	v_cndmask_b32_e64 v141, 0xff7fffff, v143, s18
	s_delay_alu instid0(VALU_DEP_1) | instskip(SKIP_3) | instid1(VALU_DEP_1)
	v_max3_f32 v140, v142, v144, v141
	ds_bpermute_b32 v141, v151, v140
	s_waitcnt lgkmcnt(0)
	v_max_f32_e32 v141, v141, v141
	v_max_f32_e32 v142, v140, v141
	s_delay_alu instid0(VALU_DEP_1) | instskip(SKIP_4) | instid1(VALU_DEP_4)
	v_fma_f32 v140, s52, v172, -v142
	v_fma_f32 v143, s52, v174, -v142
	;; [unrolled: 1-line block ×5, first 2 shown]
	v_dual_mul_f32 v140, 0x3fb8aa3b, v140 :: v_dual_mul_f32 v143, 0x3fb8aa3b, v143
	s_delay_alu instid0(VALU_DEP_4) | instskip(SKIP_2) | instid1(VALU_DEP_4)
	v_mul_f32_e32 v130, 0x3fb8aa3b, v130
	v_fma_f32 v148, s52, v178, -v142
	v_mul_f32_e32 v141, 0x3fb8aa3b, v141
	v_exp_f32_e32 v140, v140
	v_exp_f32_e32 v146, v143
	v_mul_f32_e32 v145, 0x3fb8aa3b, v145
	v_fma_f32 v144, s52, v175, -v142
	v_mul_f32_e32 v148, 0x3fb8aa3b, v148
	v_exp_f32_e32 v141, v141
	v_fma_f32 v134, s52, v134, -v142
	v_exp_f32_e32 v149, v145
	v_mul_f32_e32 v144, 0x3fb8aa3b, v144
	v_exp_f32_e32 v150, v148
	v_cndmask_b32_e64 v143, 0, v140, s2
	v_fma_f32 v140, s52, v177, -v142
	v_cndmask_b32_e64 v145, 0, v146, s3
	v_exp_f32_e32 v147, v144
	v_fma_f32 v146, s52, v179, -v142
	v_cndmask_b32_e32 v144, 0, v141, vcc_lo
	v_mul_f32_e32 v140, 0x3fb8aa3b, v140
	v_cndmask_b32_e64 v148, 0, v149, s6
	v_fma_f32 v132, s52, v132, -v142
	v_mul_f32_e32 v134, 0x3fb8aa3b, v134
	v_fma_f32 v129, s52, v129, -v142
	v_exp_f32_e32 v140, v140
	v_mul_f32_e32 v146, 0x3fb8aa3b, v146
	v_cndmask_b32_e64 v147, 0, v147, s4
	v_mul_f32_e32 v132, 0x3fb8aa3b, v132
	v_fma_f32 v136, s52, v136, -v142
	v_mul_f32_e32 v129, 0x3fb8aa3b, v129
	v_exp_f32_e32 v152, v146
	v_fma_f32 v131, s52, v131, -v142
	v_cndmask_b32_e64 v146, 0, v150, s7
	v_exp_f32_e32 v130, v130
	v_cndmask_b32_e64 v149, 0, v140, s5
	v_add_f32_e32 v141, 0, v143
	v_exp_f32_e32 v129, v129
	v_mul_f32_e32 v131, 0x3fb8aa3b, v131
	v_fma_f32 v133, s52, v133, -v142
	s_mov_b32 s3, exec_lo
	v_add_f32_e32 v141, v141, v144
	v_cndmask_b32_e64 v150, 0, v152, s8
	s_delay_alu instid0(VALU_DEP_3) | instskip(NEXT) | instid1(VALU_DEP_3)
	v_mul_f32_e32 v133, 0x3fb8aa3b, v133
	v_add_f32_e32 v141, v141, v145
	s_delay_alu instid0(VALU_DEP_1) | instskip(NEXT) | instid1(VALU_DEP_1)
	v_add_f32_e32 v141, v141, v147
	v_add_f32_e32 v140, v141, v148
	v_exp_f32_e32 v141, v131
	v_cndmask_b32_e64 v131, 0, v129, s10
	s_delay_alu instid0(VALU_DEP_2) | instskip(NEXT) | instid1(VALU_DEP_1)
	v_add_f32_e32 v140, v140, v149
	v_add_f32_e32 v140, v140, v146
	s_delay_alu instid0(VALU_DEP_1)
	v_add_f32_e32 v129, v140, v150
	v_exp_f32_e32 v140, v132
	v_cndmask_b32_e64 v132, 0, v130, s9
	v_fma_f32 v130, s52, v135, -v142
	v_exp_f32_e32 v135, v133
	v_add_f32_e32 v129, v129, v131
	v_cndmask_b32_e64 v133, 0, v141, s11
	v_exp_f32_e32 v141, v134
	s_delay_alu instid0(VALU_DEP_2) | instskip(NEXT) | instid1(TRANS32_DEP_3)
	v_dual_mul_f32 v130, 0x3fb8aa3b, v130 :: v_dual_add_f32 v129, v129, v132
	v_cndmask_b32_e64 v134, 0, v140, s12
	v_mul_f32_e32 v140, 0x3fb8aa3b, v136
	s_delay_alu instid0(VALU_DEP_3) | instskip(NEXT) | instid1(TRANS32_DEP_3)
	v_exp_f32_e32 v130, v130
	v_cndmask_b32_e64 v135, 0, v135, s13
	v_add_f32_e32 v129, v129, v133
	s_delay_alu instid0(TRANS32_DEP_2) | instskip(SKIP_1) | instid1(VALU_DEP_2)
	v_cndmask_b32_e64 v136, 0, v141, s16
	v_exp_f32_e32 v141, v140
	v_add_f32_e32 v129, v129, v134
	s_waitcnt_depctr 0xfff
	v_cndmask_b32_e64 v140, 0, v130, s17
	v_add_f32_e32 v129, v129, v135
	v_cndmask_b32_e64 v141, 0, v141, s18
	s_delay_alu instid0(VALU_DEP_2) | instskip(NEXT) | instid1(VALU_DEP_1)
	v_add_f32_e32 v129, v129, v136
	v_add_f32_e32 v129, v129, v140
	s_delay_alu instid0(VALU_DEP_1) | instskip(SKIP_2) | instid1(VALU_DEP_1)
	v_add_f32_e32 v129, v129, v141
	ds_bpermute_b32 v130, v151, v129
	v_and_b32_e32 v151, 31, v0
	v_cmp_lt_u32_e64 s2, 15, v151
	v_cmpx_gt_u32_e32 16, v151
	s_cbranch_execz .LBB410_11
; %bb.10:
	v_mul_u32_u24_e32 v151, 0x44, v139
	s_delay_alu instid0(VALU_DEP_1) | instskip(SKIP_1) | instid1(VALU_DEP_1)
	v_lshl_add_u32 v151, v137, 2, v151
	s_waitcnt lgkmcnt(0)
	v_dual_add_f32 v129, v129, v130 :: v_dual_add_nc_u32 v130, 0x4000, v151
	ds_store_2addr_b32 v130, v142, v129 offset1:136
.LBB410_11:
	s_or_b32 exec_lo, exec_lo, s3
	v_lshlrev_b32_e32 v129, 2, v137
	s_waitcnt lgkmcnt(0)
	s_barrier
	buffer_gl0_inv
	v_cmp_eq_u32_e64 s3, 1, v139
	v_add_nc_u32_e32 v142, 0x4000, v129
	ds_load_2addr_b32 v[151:152], v142 offset1:17
	ds_load_2addr_b32 v[153:154], v142 offset0:34 offset1:51
	ds_load_2addr_b32 v[155:156], v142 offset0:68 offset1:85
	;; [unrolled: 1-line block ×4, first 2 shown]
	s_waitcnt lgkmcnt(4)
	v_max3_f32 v129, v151, 0xff7fffff, v152
	s_waitcnt lgkmcnt(3)
	s_delay_alu instid0(VALU_DEP_1) | instskip(SKIP_1) | instid1(VALU_DEP_1)
	v_max3_f32 v129, v129, v153, v154
	s_waitcnt lgkmcnt(2)
	v_max3_f32 v129, v129, v155, v156
	s_waitcnt lgkmcnt(1)
	s_delay_alu instid0(VALU_DEP_1) | instskip(NEXT) | instid1(VALU_DEP_1)
	v_max3_f32 v129, v129, v157, v158
	v_sub_f32_e32 v155, v155, v129
	s_delay_alu instid0(VALU_DEP_1) | instskip(NEXT) | instid1(VALU_DEP_1)
	v_dual_sub_f32 v130, v151, v129 :: v_dual_mul_f32 v165, 0x3fb8aa3b, v155
	v_mul_f32_e32 v130, 0x3fb8aa3b, v130
	s_delay_alu instid0(VALU_DEP_1)
	v_exp_f32_e32 v162, v130
	v_sub_f32_e32 v130, v154, v129
	v_sub_f32_e32 v161, v152, v129
	ds_load_2addr_b32 v[151:152], v142 offset0:170 offset1:187
	v_dual_mul_f32 v164, 0x3fb8aa3b, v130 :: v_dual_mul_f32 v161, 0x3fb8aa3b, v161
	s_waitcnt lgkmcnt(1)
	v_fma_f32 v130, v162, v159, 0
	s_delay_alu instid0(VALU_DEP_2) | instskip(NEXT) | instid1(VALU_DEP_2)
	v_exp_f32_e32 v164, v164
	v_exp_f32_e32 v161, v161
	s_waitcnt_depctr 0xfff
	v_fmac_f32_e32 v130, v161, v160
	v_sub_f32_e32 v153, v153, v129
	s_delay_alu instid0(VALU_DEP_1)
	v_mul_f32_e32 v163, 0x3fb8aa3b, v153
	ds_load_2addr_b32 v[153:154], v142 offset0:204 offset1:221
	v_sub_f32_e32 v159, v156, v129
	ds_load_2addr_b32 v[155:156], v142 offset0:238 offset1:255
	s_waitcnt lgkmcnt(0)
	v_exp_f32_e32 v163, v163
	s_barrier
	buffer_gl0_inv
	v_dual_fmac_f32 v130, v163, v151 :: v_dual_sub_f32 v151, v158, v129
	v_dual_sub_f32 v142, v157, v129 :: v_dual_mul_f32 v157, 0x3fb8aa3b, v159
	v_exp_f32_e32 v159, v165
	s_delay_alu instid0(VALU_DEP_2) | instskip(NEXT) | instid1(VALU_DEP_2)
	v_dual_fmac_f32 v130, v164, v152 :: v_dual_mul_f32 v151, 0x3fb8aa3b, v151
	v_mul_f32_e32 v142, 0x3fb8aa3b, v142
	s_delay_alu instid0(VALU_DEP_3) | instskip(NEXT) | instid1(VALU_DEP_2)
	v_exp_f32_e32 v157, v157
	v_exp_f32_e32 v151, v151
	s_delay_alu instid0(VALU_DEP_1)
	v_exp_f32_e32 v142, v142
	v_fmac_f32_e32 v130, v159, v153
	s_delay_alu instid0(TRANS32_DEP_3) | instid1(VALU_DEP_1)
	v_fmac_f32_e32 v130, v157, v154
	s_waitcnt_depctr 0xfff
	v_fmac_f32_e32 v130, v142, v155
	s_delay_alu instid0(VALU_DEP_1) | instskip(NEXT) | instid1(VALU_DEP_1)
	v_fmac_f32_e32 v130, v151, v156
	v_add_f32_e32 v152, 0x358637bd, v130
	s_delay_alu instid0(VALU_DEP_1) | instskip(SKIP_1) | instid1(VALU_DEP_2)
	v_div_scale_f32 v153, null, v152, v152, 1.0
	v_div_scale_f32 v156, vcc_lo, 1.0, v152, 1.0
	v_rcp_f32_e32 v154, v153
	s_waitcnt_depctr 0xfff
	v_fma_f32 v155, -v153, v154, 1.0
	s_delay_alu instid0(VALU_DEP_1) | instskip(SKIP_2) | instid1(VALU_DEP_3)
	v_fmac_f32_e32 v154, v155, v154
	v_cndmask_b32_e64 v155, v162, v161, s3
	v_cmp_eq_u32_e64 s3, 2, v139
	v_mul_f32_e32 v158, v156, v154
	s_delay_alu instid0(VALU_DEP_2) | instskip(SKIP_1) | instid1(VALU_DEP_3)
	v_cndmask_b32_e64 v155, v155, v163, s3
	v_cmp_eq_u32_e64 s3, 3, v139
	v_fma_f32 v160, -v153, v158, v156
	s_delay_alu instid0(VALU_DEP_2) | instskip(SKIP_1) | instid1(VALU_DEP_3)
	v_cndmask_b32_e64 v155, v155, v164, s3
	v_cmp_eq_u32_e64 s3, 4, v139
	v_fmac_f32_e32 v158, v160, v154
	s_delay_alu instid0(VALU_DEP_2) | instskip(NEXT) | instid1(VALU_DEP_2)
	v_cndmask_b32_e64 v155, v155, v159, s3
	v_fma_f32 v153, -v153, v158, v156
	v_cmp_eq_u32_e64 s3, 5, v139
	s_delay_alu instid0(VALU_DEP_2) | instskip(NEXT) | instid1(VALU_DEP_2)
	v_div_fmas_f32 v153, v153, v154, v158
	v_cndmask_b32_e64 v155, v155, v157, s3
	v_cmp_eq_u32_e32 vcc_lo, 6, v139
	s_mov_b32 s3, exec_lo
	s_delay_alu instid0(VALU_DEP_3) | instskip(NEXT) | instid1(VALU_DEP_3)
	v_div_fixup_f32 v152, v153, v152, 1.0
	v_cndmask_b32_e32 v142, v155, v142, vcc_lo
	v_cmp_eq_u32_e32 vcc_lo, 7, v139
	s_delay_alu instid0(VALU_DEP_2) | instskip(NEXT) | instid1(VALU_DEP_1)
	v_cndmask_b32_e32 v142, v142, v151, vcc_lo
	v_mul_f32_e32 v142, v142, v152
	s_delay_alu instid0(VALU_DEP_1)
	v_mul_f32_e32 v152, v142, v143
	v_mul_f32_e32 v143, v142, v150
	;; [unrolled: 1-line block ×5, first 2 shown]
	v_and_b32_e32 v153, 0x7f800000, v152
	v_mul_f32_e32 v151, v142, v147
	v_mul_f32_e32 v147, v142, v144
	;; [unrolled: 1-line block ×3, first 2 shown]
                                        ; implicit-def: $vgpr144
	s_delay_alu instid0(VALU_DEP_4)
	v_cmpx_ne_u32_e32 0x7f800000, v153
	s_xor_b32 s3, exec_lo, s3
; %bb.12:
	v_bfe_u32 v144, v152, 16, 1
	s_delay_alu instid0(VALU_DEP_1)
	v_add3_u32 v144, v152, v144, 0x7fff
                                        ; implicit-def: $vgpr152
; %bb.13:
	s_and_not1_saveexec_b32 s3, s3
; %bb.14:
	v_and_b32_e32 v144, 0xffff, v152
	v_or_b32_e32 v145, 0x10000, v152
	s_delay_alu instid0(VALU_DEP_2) | instskip(NEXT) | instid1(VALU_DEP_2)
	v_cmp_eq_u32_e32 vcc_lo, 0, v144
	v_cndmask_b32_e32 v144, v145, v152, vcc_lo
; %bb.15:
	s_or_b32 exec_lo, exec_lo, s3
	v_and_b32_e32 v145, 0x7f800000, v147
	s_delay_alu instid0(VALU_DEP_1) | instskip(SKIP_1) | instid1(SALU_CYCLE_1)
	v_cmp_ne_u32_e32 vcc_lo, 0x7f800000, v145
                                        ; implicit-def: $vgpr145
	s_and_saveexec_b32 s3, vcc_lo
	s_xor_b32 s3, exec_lo, s3
; %bb.16:
	v_bfe_u32 v145, v147, 16, 1
	s_delay_alu instid0(VALU_DEP_1)
	v_add3_u32 v145, v147, v145, 0x7fff
                                        ; implicit-def: $vgpr147
; %bb.17:
	s_and_not1_saveexec_b32 s3, s3
; %bb.18:
	v_and_b32_e32 v145, 0xffff, v147
	v_or_b32_e32 v152, 0x10000, v147
	s_delay_alu instid0(VALU_DEP_2) | instskip(NEXT) | instid1(VALU_DEP_2)
	v_cmp_eq_u32_e32 vcc_lo, 0, v145
	v_cndmask_b32_e32 v145, v152, v147, vcc_lo
; %bb.19:
	s_or_b32 exec_lo, exec_lo, s3
	v_and_b32_e32 v147, 0x7f800000, v148
	s_delay_alu instid0(VALU_DEP_1) | instskip(SKIP_1) | instid1(SALU_CYCLE_1)
	v_cmp_ne_u32_e32 vcc_lo, 0x7f800000, v147
                                        ; implicit-def: $vgpr147
	s_and_saveexec_b32 s3, vcc_lo
	s_xor_b32 s3, exec_lo, s3
; %bb.20:
	v_bfe_u32 v147, v148, 16, 1
	s_delay_alu instid0(VALU_DEP_1)
	v_add3_u32 v147, v148, v147, 0x7fff
                                        ; implicit-def: $vgpr148
; %bb.21:
	s_and_not1_saveexec_b32 s3, s3
; %bb.22:
	v_and_b32_e32 v147, 0xffff, v148
	v_or_b32_e32 v152, 0x10000, v148
	s_delay_alu instid0(VALU_DEP_2) | instskip(NEXT) | instid1(VALU_DEP_2)
	v_cmp_eq_u32_e32 vcc_lo, 0, v147
	v_cndmask_b32_e32 v147, v152, v148, vcc_lo
; %bb.23:
	s_or_b32 exec_lo, exec_lo, s3
	v_and_b32_e32 v148, 0x7f800000, v151
	s_delay_alu instid0(VALU_DEP_1) | instskip(SKIP_1) | instid1(SALU_CYCLE_1)
	v_cmp_ne_u32_e32 vcc_lo, 0x7f800000, v148
                                        ; implicit-def: $vgpr148
	s_and_saveexec_b32 s3, vcc_lo
	s_xor_b32 s3, exec_lo, s3
; %bb.24:
	v_bfe_u32 v148, v151, 16, 1
	s_delay_alu instid0(VALU_DEP_1)
	v_add3_u32 v148, v151, v148, 0x7fff
                                        ; implicit-def: $vgpr151
; %bb.25:
	s_and_not1_saveexec_b32 s3, s3
; %bb.26:
	v_and_b32_e32 v148, 0xffff, v151
	v_or_b32_e32 v152, 0x10000, v151
	s_delay_alu instid0(VALU_DEP_2) | instskip(NEXT) | instid1(VALU_DEP_2)
	v_cmp_eq_u32_e32 vcc_lo, 0, v148
	v_cndmask_b32_e32 v148, v152, v151, vcc_lo
; %bb.27:
	s_or_b32 exec_lo, exec_lo, s3
	v_and_b32_e32 v151, 0x7f800000, v150
	s_delay_alu instid0(VALU_DEP_1) | instskip(SKIP_1) | instid1(SALU_CYCLE_1)
	v_cmp_ne_u32_e32 vcc_lo, 0x7f800000, v151
                                        ; implicit-def: $vgpr151
	s_and_saveexec_b32 s3, vcc_lo
	s_xor_b32 s3, exec_lo, s3
; %bb.28:
	v_bfe_u32 v151, v150, 16, 1
	s_delay_alu instid0(VALU_DEP_1)
	v_add3_u32 v151, v150, v151, 0x7fff
                                        ; implicit-def: $vgpr150
; %bb.29:
	s_and_not1_saveexec_b32 s3, s3
; %bb.30:
	v_and_b32_e32 v151, 0xffff, v150
	v_or_b32_e32 v152, 0x10000, v150
	s_delay_alu instid0(VALU_DEP_2) | instskip(NEXT) | instid1(VALU_DEP_2)
	v_cmp_eq_u32_e32 vcc_lo, 0, v151
	v_cndmask_b32_e32 v151, v152, v150, vcc_lo
; %bb.31:
	s_or_b32 exec_lo, exec_lo, s3
	v_and_b32_e32 v150, 0x7f800000, v149
	s_delay_alu instid0(VALU_DEP_1) | instskip(SKIP_1) | instid1(SALU_CYCLE_1)
	v_cmp_ne_u32_e32 vcc_lo, 0x7f800000, v150
                                        ; implicit-def: $vgpr150
	s_and_saveexec_b32 s3, vcc_lo
	s_xor_b32 s3, exec_lo, s3
; %bb.32:
	v_bfe_u32 v150, v149, 16, 1
	s_delay_alu instid0(VALU_DEP_1)
	v_add3_u32 v150, v149, v150, 0x7fff
                                        ; implicit-def: $vgpr149
; %bb.33:
	s_and_not1_saveexec_b32 s3, s3
; %bb.34:
	v_and_b32_e32 v150, 0xffff, v149
	v_or_b32_e32 v152, 0x10000, v149
	s_delay_alu instid0(VALU_DEP_2) | instskip(NEXT) | instid1(VALU_DEP_2)
	v_cmp_eq_u32_e32 vcc_lo, 0, v150
	v_cndmask_b32_e32 v150, v152, v149, vcc_lo
; %bb.35:
	s_or_b32 exec_lo, exec_lo, s3
	v_and_b32_e32 v149, 0x7f800000, v146
	s_delay_alu instid0(VALU_DEP_1) | instskip(SKIP_1) | instid1(SALU_CYCLE_1)
	v_cmp_ne_u32_e32 vcc_lo, 0x7f800000, v149
                                        ; implicit-def: $vgpr149
	s_and_saveexec_b32 s3, vcc_lo
	s_xor_b32 s3, exec_lo, s3
; %bb.36:
	v_bfe_u32 v149, v146, 16, 1
	s_delay_alu instid0(VALU_DEP_1)
	v_add3_u32 v149, v146, v149, 0x7fff
                                        ; implicit-def: $vgpr146
; %bb.37:
	s_and_not1_saveexec_b32 s3, s3
; %bb.38:
	v_and_b32_e32 v149, 0xffff, v146
	v_or_b32_e32 v152, 0x10000, v146
	s_delay_alu instid0(VALU_DEP_2) | instskip(NEXT) | instid1(VALU_DEP_2)
	v_cmp_eq_u32_e32 vcc_lo, 0, v149
	v_cndmask_b32_e32 v149, v152, v146, vcc_lo
; %bb.39:
	s_or_b32 exec_lo, exec_lo, s3
	v_and_b32_e32 v146, 0x7f800000, v143
	s_delay_alu instid0(VALU_DEP_1) | instskip(SKIP_1) | instid1(SALU_CYCLE_1)
	v_cmp_ne_u32_e32 vcc_lo, 0x7f800000, v146
                                        ; implicit-def: $vgpr146
	s_and_saveexec_b32 s3, vcc_lo
	s_xor_b32 s3, exec_lo, s3
; %bb.40:
	v_bfe_u32 v146, v143, 16, 1
	s_delay_alu instid0(VALU_DEP_1)
	v_add3_u32 v146, v143, v146, 0x7fff
                                        ; implicit-def: $vgpr143
; %bb.41:
	s_and_not1_saveexec_b32 s3, s3
; %bb.42:
	v_and_b32_e32 v146, 0xffff, v143
	v_or_b32_e32 v152, 0x10000, v143
	s_delay_alu instid0(VALU_DEP_2) | instskip(NEXT) | instid1(VALU_DEP_2)
	v_cmp_eq_u32_e32 vcc_lo, 0, v146
	v_cndmask_b32_e32 v146, v152, v143, vcc_lo
; %bb.43:
	s_or_b32 exec_lo, exec_lo, s3
	s_load_b64 s[36:37], s[0:1], 0x94
	v_lshlrev_b32_e32 v153, 4, v138
	s_delay_alu instid0(VALU_DEP_2)
	v_perm_b32 v152, v146, v149, 0x7060302
	v_dual_mul_f32 v146, v142, v131 :: v_dual_lshlrev_b32 v143, 6, v137
	v_mul_f32_e32 v140, v142, v140
	v_dual_mul_f32 v141, v142, v141 :: v_dual_lshlrev_b32 v154, 11, v139
	v_perm_b32 v151, v150, v151, 0x7060302
	v_perm_b32 v150, v148, v147, 0x7060302
	;; [unrolled: 1-line block ×3, first 2 shown]
	s_delay_alu instid0(VALU_DEP_4)
	v_or3_b32 v131, v153, v154, v143
	v_dual_mul_f32 v136, v142, v136 :: v_dual_and_b32 v147, 0x7f800000, v146
	v_mul_f32_e32 v135, v142, v135
	v_mul_f32_e32 v144, v142, v134
	;; [unrolled: 1-line block ×4, first 2 shown]
	s_mov_b32 s3, exec_lo
	ds_store_b128 v131, v[149:152]
                                        ; implicit-def: $vgpr132
	v_cmpx_ne_u32_e32 0x7f800000, v147
	s_xor_b32 s3, exec_lo, s3
; %bb.44:
	v_bfe_u32 v132, v146, 16, 1
	s_delay_alu instid0(VALU_DEP_1)
	v_add3_u32 v132, v146, v132, 0x7fff
                                        ; implicit-def: $vgpr146
; %bb.45:
	s_and_not1_saveexec_b32 s3, s3
; %bb.46:
	v_and_b32_e32 v132, 0xffff, v146
	v_or_b32_e32 v133, 0x10000, v146
	s_delay_alu instid0(VALU_DEP_2) | instskip(NEXT) | instid1(VALU_DEP_2)
	v_cmp_eq_u32_e32 vcc_lo, 0, v132
	v_cndmask_b32_e32 v132, v133, v146, vcc_lo
; %bb.47:
	s_or_b32 exec_lo, exec_lo, s3
	v_and_b32_e32 v133, 0x7f800000, v134
	s_delay_alu instid0(VALU_DEP_1) | instskip(SKIP_1) | instid1(SALU_CYCLE_1)
	v_cmp_ne_u32_e32 vcc_lo, 0x7f800000, v133
                                        ; implicit-def: $vgpr133
	s_and_saveexec_b32 s3, vcc_lo
	s_xor_b32 s3, exec_lo, s3
; %bb.48:
	v_bfe_u32 v133, v134, 16, 1
	s_delay_alu instid0(VALU_DEP_1)
	v_add3_u32 v133, v134, v133, 0x7fff
                                        ; implicit-def: $vgpr134
; %bb.49:
	s_and_not1_saveexec_b32 s3, s3
; %bb.50:
	v_and_b32_e32 v133, 0xffff, v134
	v_or_b32_e32 v142, 0x10000, v134
	s_delay_alu instid0(VALU_DEP_2) | instskip(NEXT) | instid1(VALU_DEP_2)
	v_cmp_eq_u32_e32 vcc_lo, 0, v133
	v_cndmask_b32_e32 v133, v142, v134, vcc_lo
; %bb.51:
	s_or_b32 exec_lo, exec_lo, s3
	v_and_b32_e32 v134, 0x7f800000, v145
	s_delay_alu instid0(VALU_DEP_1) | instskip(SKIP_1) | instid1(SALU_CYCLE_1)
	v_cmp_ne_u32_e32 vcc_lo, 0x7f800000, v134
                                        ; implicit-def: $vgpr134
	s_and_saveexec_b32 s3, vcc_lo
	s_xor_b32 s3, exec_lo, s3
; %bb.52:
	v_bfe_u32 v134, v145, 16, 1
	s_delay_alu instid0(VALU_DEP_1)
	v_add3_u32 v134, v145, v134, 0x7fff
                                        ; implicit-def: $vgpr145
; %bb.53:
	s_and_not1_saveexec_b32 s3, s3
; %bb.54:
	v_and_b32_e32 v134, 0xffff, v145
	v_or_b32_e32 v142, 0x10000, v145
	s_delay_alu instid0(VALU_DEP_2) | instskip(NEXT) | instid1(VALU_DEP_2)
	v_cmp_eq_u32_e32 vcc_lo, 0, v134
	v_cndmask_b32_e32 v134, v142, v145, vcc_lo
; %bb.55:
	s_or_b32 exec_lo, exec_lo, s3
	v_and_b32_e32 v142, 0x7f800000, v144
	s_delay_alu instid0(VALU_DEP_1) | instskip(SKIP_1) | instid1(SALU_CYCLE_1)
	v_cmp_ne_u32_e32 vcc_lo, 0x7f800000, v142
                                        ; implicit-def: $vgpr142
	s_and_saveexec_b32 s3, vcc_lo
	s_xor_b32 s3, exec_lo, s3
; %bb.56:
	v_bfe_u32 v142, v144, 16, 1
	s_delay_alu instid0(VALU_DEP_1)
	v_add3_u32 v142, v144, v142, 0x7fff
                                        ; implicit-def: $vgpr144
; %bb.57:
	s_and_not1_saveexec_b32 s3, s3
; %bb.58:
	v_and_b32_e32 v142, 0xffff, v144
	v_or_b32_e32 v145, 0x10000, v144
	s_delay_alu instid0(VALU_DEP_2) | instskip(NEXT) | instid1(VALU_DEP_2)
	v_cmp_eq_u32_e32 vcc_lo, 0, v142
	v_cndmask_b32_e32 v142, v145, v144, vcc_lo
; %bb.59:
	s_or_b32 exec_lo, exec_lo, s3
	v_and_b32_e32 v144, 0x7f800000, v135
	s_delay_alu instid0(VALU_DEP_1) | instskip(SKIP_1) | instid1(SALU_CYCLE_1)
	v_cmp_ne_u32_e32 vcc_lo, 0x7f800000, v144
                                        ; implicit-def: $vgpr144
	s_and_saveexec_b32 s3, vcc_lo
	s_xor_b32 s3, exec_lo, s3
; %bb.60:
	v_bfe_u32 v144, v135, 16, 1
	s_delay_alu instid0(VALU_DEP_1)
	v_add3_u32 v144, v135, v144, 0x7fff
                                        ; implicit-def: $vgpr135
; %bb.61:
	s_and_not1_saveexec_b32 s3, s3
; %bb.62:
	v_and_b32_e32 v144, 0xffff, v135
	v_or_b32_e32 v145, 0x10000, v135
	s_delay_alu instid0(VALU_DEP_2) | instskip(NEXT) | instid1(VALU_DEP_2)
	v_cmp_eq_u32_e32 vcc_lo, 0, v144
	v_cndmask_b32_e32 v144, v145, v135, vcc_lo
; %bb.63:
	s_or_b32 exec_lo, exec_lo, s3
	v_and_b32_e32 v135, 0x7f800000, v136
	s_delay_alu instid0(VALU_DEP_1) | instskip(SKIP_1) | instid1(SALU_CYCLE_1)
	v_cmp_ne_u32_e32 vcc_lo, 0x7f800000, v135
                                        ; implicit-def: $vgpr135
	s_and_saveexec_b32 s3, vcc_lo
	s_xor_b32 s3, exec_lo, s3
; %bb.64:
	v_bfe_u32 v135, v136, 16, 1
	s_delay_alu instid0(VALU_DEP_1)
	v_add3_u32 v135, v136, v135, 0x7fff
                                        ; implicit-def: $vgpr136
; %bb.65:
	s_and_not1_saveexec_b32 s3, s3
; %bb.66:
	v_and_b32_e32 v135, 0xffff, v136
	v_or_b32_e32 v145, 0x10000, v136
	s_delay_alu instid0(VALU_DEP_2) | instskip(NEXT) | instid1(VALU_DEP_2)
	v_cmp_eq_u32_e32 vcc_lo, 0, v135
	v_cndmask_b32_e32 v135, v145, v136, vcc_lo
; %bb.67:
	s_or_b32 exec_lo, exec_lo, s3
	v_and_b32_e32 v136, 0x7f800000, v140
	s_delay_alu instid0(VALU_DEP_1) | instskip(SKIP_1) | instid1(SALU_CYCLE_1)
	v_cmp_ne_u32_e32 vcc_lo, 0x7f800000, v136
                                        ; implicit-def: $vgpr136
	s_and_saveexec_b32 s3, vcc_lo
	s_xor_b32 s3, exec_lo, s3
; %bb.68:
	v_bfe_u32 v136, v140, 16, 1
	s_delay_alu instid0(VALU_DEP_1)
	v_add3_u32 v136, v140, v136, 0x7fff
                                        ; implicit-def: $vgpr140
; %bb.69:
	s_and_not1_saveexec_b32 s3, s3
; %bb.70:
	v_and_b32_e32 v136, 0xffff, v140
	v_or_b32_e32 v145, 0x10000, v140
	s_delay_alu instid0(VALU_DEP_2) | instskip(NEXT) | instid1(VALU_DEP_2)
	v_cmp_eq_u32_e32 vcc_lo, 0, v136
	v_cndmask_b32_e32 v136, v145, v140, vcc_lo
; %bb.71:
	s_or_b32 exec_lo, exec_lo, s3
	v_and_b32_e32 v140, 0x7f800000, v141
	s_delay_alu instid0(VALU_DEP_1) | instskip(SKIP_1) | instid1(SALU_CYCLE_1)
	v_cmp_ne_u32_e32 vcc_lo, 0x7f800000, v140
                                        ; implicit-def: $vgpr140
	s_and_saveexec_b32 s3, vcc_lo
	s_xor_b32 s3, exec_lo, s3
; %bb.72:
	v_bfe_u32 v140, v141, 16, 1
	s_delay_alu instid0(VALU_DEP_1)
	v_add3_u32 v140, v141, v140, 0x7fff
                                        ; implicit-def: $vgpr141
; %bb.73:
	s_and_not1_saveexec_b32 s3, s3
; %bb.74:
	v_and_b32_e32 v140, 0xffff, v141
	v_or_b32_e32 v145, 0x10000, v141
	s_delay_alu instid0(VALU_DEP_2) | instskip(NEXT) | instid1(VALU_DEP_2)
	v_cmp_eq_u32_e32 vcc_lo, 0, v140
	v_cndmask_b32_e32 v140, v145, v141, vcc_lo
; %bb.75:
	s_or_b32 exec_lo, exec_lo, s3
	s_delay_alu instid0(VALU_DEP_1)
	v_perm_b32 v136, v140, v136, 0x7060302
	v_perm_b32 v135, v135, v144, 0x7060302
	;; [unrolled: 1-line block ×4, first 2 shown]
	v_lshl_or_b32 v144, v139, 11, v143
	ds_store_b128 v131, v[133:136] offset:1024
	s_waitcnt lgkmcnt(0)
	s_barrier
	buffer_gl0_inv
	ds_load_b128 v[132:135], v144
	ds_load_b128 v[145:148], v144 offset:16
	s_waitcnt lgkmcnt(1)
	v_lshrrev_b32_e32 v136, 16, v132
	s_waitcnt lgkmcnt(0)
	v_lshrrev_b32_e32 v153, 16, v145
	v_lshlrev_b32_e32 v140, 2, v138
	v_lshrrev_b32_e32 v157, 16, v133
	v_lshrrev_b32_e32 v160, 16, v146
	;; [unrolled: 1-line block ×4, first 2 shown]
	v_cmp_eq_u32_e32 vcc_lo, 1, v140
	v_lshrrev_b32_e32 v159, 16, v135
	v_lshrrev_b32_e32 v162, 16, v148
	v_cndmask_b32_e32 v149, v145, v153, vcc_lo
	v_or_b32_e32 v141, 1, v140
	v_cndmask_b32_e32 v142, v132, v136, vcc_lo
	v_cmp_eq_u32_e64 s4, 2, v140
	v_cmp_eq_u32_e64 s7, 3, v140
	;; [unrolled: 1-line block ×5, first 2 shown]
	v_cndmask_b32_e64 v142, v142, v133, s4
	v_cndmask_b32_e64 v149, v149, v146, s4
	v_cmp_eq_u32_e64 s8, 3, v141
	v_cndmask_b32_e64 v150, v132, v136, s3
	v_or_b32_e32 v139, 2, v140
	v_cndmask_b32_e64 v142, v142, v157, s7
	v_cndmask_b32_e64 v149, v149, v160, s7
	;; [unrolled: 1-line block ×4, first 2 shown]
	v_cmp_eq_u32_e64 s10, 5, v140
	v_cndmask_b32_e64 v142, v142, v134, s9
	v_cndmask_b32_e64 v149, v149, v147, s9
	v_cmp_eq_u32_e64 s11, 4, v141
	v_cndmask_b32_e64 v150, v150, v157, s8
	v_cmp_eq_u32_e64 s5, 1, v139
	v_cndmask_b32_e64 v151, v151, v146, s6
	v_cndmask_b32_e64 v142, v142, v158, s10
	v_cmp_eq_u32_e64 s12, 6, v140
	v_cndmask_b32_e64 v150, v150, v134, s11
	;; [unrolled: 3-line block ×3, first 2 shown]
	v_cndmask_b32_e64 v151, v151, v160, s8
	v_cndmask_b32_e64 v142, v142, v135, s12
	v_cmp_eq_u32_e64 s16, 7, v140
	v_cndmask_b32_e64 v150, v150, v158, s13
	v_cndmask_b32_e64 v149, v149, v148, s12
	v_cmp_eq_u32_e64 s17, 6, v141
	v_cmp_eq_u32_e64 s18, 2, v139
	v_cndmask_b32_e64 v151, v151, v147, s11
	v_cndmask_b32_e64 v163, v142, v159, s16
	;; [unrolled: 1-line block ×6, first 2 shown]
	v_cmp_eq_u32_e64 s19, 7, v141
	v_cmp_eq_u32_e64 s20, 3, v139
	;; [unrolled: 1-line block ×4, first 2 shown]
	v_cndmask_b32_e64 v149, v149, v146, s18
	v_cndmask_b32_e64 v165, v150, v159, s19
	;; [unrolled: 1-line block ×4, first 2 shown]
	v_or_b32_e32 v142, 3, v140
	v_cndmask_b32_e64 v155, v149, v160, s20
	v_cmp_eq_u32_e64 s25, 6, v139
	v_cndmask_b32_e64 v166, v150, v148, s17
	v_cndmask_b32_e64 v154, v151, v134, s21
	ds_load_b128 v[149:152], v144 offset:1024
	v_cmp_eq_u32_e64 s22, 1, v142
	v_cmp_eq_u32_e64 s24, 2, v142
	v_cmp_eq_u32_e64 s26, 3, v142
	v_cndmask_b32_e64 v167, v154, v158, s23
	v_cmp_eq_u32_e64 s27, 4, v142
	v_cndmask_b32_e64 v132, v132, v136, s22
	v_cndmask_b32_e64 v136, v155, v147, s21
	;; [unrolled: 1-line block ×3, first 2 shown]
	ds_load_b128 v[153:156], v144 offset:1040
	v_cmp_eq_u32_e64 s28, 7, v139
	v_cndmask_b32_e64 v132, v132, v133, s24
	v_cndmask_b32_e64 v133, v136, v161, s23
	;; [unrolled: 1-line block ×4, first 2 shown]
	v_cmp_eq_u32_e64 s29, 5, v142
	v_cndmask_b32_e64 v132, v132, v157, s26
	v_cmp_eq_u32_e64 s30, 6, v142
	v_cndmask_b32_e64 v136, v136, v160, s26
	v_cndmask_b32_e64 v133, v133, v148, s25
	s_waitcnt lgkmcnt(1)
	v_lshrrev_b32_e32 v157, 16, v149
	v_cndmask_b32_e64 v132, v132, v134, s27
	v_cndmask_b32_e64 v145, v166, v162, s19
	;; [unrolled: 1-line block ×4, first 2 shown]
	v_cndmask_b32_e32 v146, v149, v157, vcc_lo
	v_cndmask_b32_e64 v132, v132, v158, s29
	v_lshrrev_b32_e32 v158, 16, v150
	v_cndmask_b32_e64 v160, v149, v157, s3
	s_waitcnt lgkmcnt(0)
	v_lshrrev_b32_e32 v147, 16, v153
	v_cndmask_b32_e64 v146, v146, v150, s4
	v_cndmask_b32_e64 v134, v134, v161, s29
	;; [unrolled: 1-line block ×4, first 2 shown]
	v_cndmask_b32_e32 v161, v153, v147, vcc_lo
	v_cndmask_b32_e64 v135, v146, v158, s7
	v_cndmask_b32_e64 v146, v160, v150, s6
	;; [unrolled: 1-line block ×3, first 2 shown]
	v_lshrrev_b32_e32 v160, 16, v154
	v_cndmask_b32_e64 v148, v161, v154, s4
	v_cmp_eq_u32_e32 vcc_lo, 7, v142
	v_cndmask_b32_e64 v146, v146, v158, s8
	v_cndmask_b32_e64 v135, v135, v151, s9
	v_lshrrev_b32_e32 v161, 16, v151
	v_cndmask_b32_e64 v148, v148, v160, s7
	v_cndmask_b32_e32 v132, v132, v159, vcc_lo
	v_cndmask_b32_e32 v134, v134, v162, vcc_lo
	v_cndmask_b32_e64 v146, v146, v151, s11
	v_cndmask_b32_e64 v159, v135, v161, s10
	;; [unrolled: 1-line block ×3, first 2 shown]
	v_lshrrev_b32_e32 v162, 16, v155
	v_perm_b32 v135, v134, v132, 0x5040100
	v_cndmask_b32_e64 v132, v146, v161, s13
	v_cndmask_b32_e64 v146, v159, v152, s12
	v_lshrrev_b32_e32 v159, 16, v152
	v_cndmask_b32_e64 v148, v148, v162, s10
	v_perm_b32 v134, v133, v136, 0x5040100
	v_cndmask_b32_e64 v132, v132, v152, s17
	v_perm_b32 v133, v145, v165, 0x5040100
	v_cndmask_b32_e64 v136, v146, v159, s16
	v_cndmask_b32_e64 v145, v148, v156, s12
	;; [unrolled: 1-line block ×28, first 2 shown]
	v_lshrrev_b32_e32 v146, 16, v156
	v_cndmask_b32_e64 v132, v132, v152, s25
	v_cndmask_b32_e64 v148, v148, v152, s30
	;; [unrolled: 1-line block ×6, first 2 shown]
	s_delay_alu instid0(VALU_DEP_4) | instskip(NEXT) | instid1(VALU_DEP_4)
	v_dual_cndmask_b32 v148, v148, v159 :: v_dual_cndmask_b32 v149, v149, v146
	v_cndmask_b32_e64 v150, v150, v146, s28
	s_delay_alu instid0(VALU_DEP_4)
	v_cndmask_b32_e64 v152, v147, v146, s19
	v_cndmask_b32_e64 v145, v145, v146, s16
	v_perm_b32 v132, v164, v163, 0x5040100
	v_perm_b32 v148, v149, v148, 0x5040100
	;; [unrolled: 1-line block ×5, first 2 shown]
	s_mov_b32 s3, exec_lo
	ds_store_b128 v131, v[132:135]
	ds_store_b128 v131, v[145:148] offset:1024
	v_cmpx_eq_u32_e32 0, v0
	s_cbranch_execz .LBB410_77
; %bb.76:
	s_load_b128 s[4:7], s[0:1], 0x58
	s_mul_i32 s8, s37, s34
	v_mov_b32_e32 v131, 0
	s_add_i32 s8, s8, s15
	s_delay_alu instid0(SALU_CYCLE_1) | instskip(NEXT) | instid1(SALU_CYCLE_1)
	s_mul_i32 s8, s8, s36
	s_add_i32 s8, s8, s14
	s_delay_alu instid0(SALU_CYCLE_1) | instskip(NEXT) | instid1(SALU_CYCLE_1)
	s_ashr_i32 s9, s8, 31
	s_lshl_b64 s[8:9], s[8:9], 2
	s_waitcnt lgkmcnt(0)
	s_add_u32 s6, s6, s8
	s_addc_u32 s7, s7, s9
	s_add_u32 s4, s4, s8
	s_addc_u32 s5, s5, s9
	s_clause 0x1
	global_store_b32 v131, v129, s[6:7]
	global_store_b32 v131, v130, s[4:5]
.LBB410_77:
	s_or_b32 exec_lo, exec_lo, s3
	s_waitcnt lgkmcnt(0)
	s_waitcnt_vscnt null, 0x0
	s_barrier
	buffer_gl0_inv
	ds_load_b128 v[145:148], v143
	ds_load_b128 v[149:152], v143 offset:16
	ds_load_b128 v[157:160], v143 offset:1040
	;; [unrolled: 1-line block ×3, first 2 shown]
	v_mov_b32_e32 v129, 0
	ds_load_b128 v[165:168], v143 offset:2064
	ds_load_b128 v[161:164], v143 offset:2048
	v_mov_b32_e32 v130, v129
	v_mov_b32_e32 v131, v129
	;; [unrolled: 1-line block ×7, first 2 shown]
	s_waitcnt lgkmcnt(4)
	s_delay_alu instid0(VALU_DEP_1)
	v_wmma_f32_16x16x16_bf16 v[129:136], v[121:128], v[145:152], v[129:136]
	ds_load_b128 v[125:128], v143 offset:3088
	ds_load_b128 v[121:124], v143 offset:3072
	;; [unrolled: 1-line block ×4, first 2 shown]
	s_waitcnt lgkmcnt(6)
	v_wmma_f32_16x16x16_bf16 v[129:136], v[113:120], v[153:160], v[129:136]
	ds_load_b128 v[117:120], v143 offset:5136
	ds_load_b128 v[113:116], v143 offset:5120
	;; [unrolled: 1-line block ×4, first 2 shown]
	s_waitcnt lgkmcnt(8)
	v_wmma_f32_16x16x16_bf16 v[129:136], v[105:112], v[161:168], v[129:136]
	ds_load_b128 v[109:112], v143 offset:7184
	ds_load_b128 v[105:108], v143 offset:7168
	s_waitcnt lgkmcnt(8)
	v_wmma_f32_16x16x16_bf16 v[129:136], v[97:104], v[121:128], v[129:136]
	ds_load_b128 v[101:104], v143 offset:8208
	ds_load_b128 v[97:100], v143 offset:8192
	;; [unrolled: 4-line block ×5, first 2 shown]
	s_waitcnt lgkmcnt(8)
	v_wmma_f32_16x16x16_bf16 v[129:136], v[65:72], v[105:112], v[129:136]
	s_waitcnt lgkmcnt(6)
	s_delay_alu instid0(VALU_DEP_1)
	v_wmma_f32_16x16x16_bf16 v[129:136], v[57:64], v[97:104], v[129:136]
	ds_load_b128 v[61:64], v143 offset:12304
	ds_load_b128 v[57:60], v143 offset:12288
	s_waitcnt lgkmcnt(6)
	v_wmma_f32_16x16x16_bf16 v[129:136], v[49:56], v[89:96], v[129:136]
	ds_load_b128 v[53:56], v143 offset:13328
	ds_load_b128 v[49:52], v143 offset:13312
	s_waitcnt lgkmcnt(6)
	;; [unrolled: 4-line block ×4, first 2 shown]
	v_wmma_f32_16x16x16_bf16 v[129:136], v[1:8], v[57:64], v[129:136]
	s_waitcnt lgkmcnt(4)
	s_delay_alu instid0(VALU_DEP_1) | instskip(SKIP_1) | instid1(VALU_DEP_1)
	v_wmma_f32_16x16x16_bf16 v[129:136], v[25:32], v[49:56], v[129:136]
	s_waitcnt lgkmcnt(2)
	v_wmma_f32_16x16x16_bf16 v[129:136], v[33:40], v[41:48], v[129:136]
	s_waitcnt lgkmcnt(0)
	s_delay_alu instid0(VALU_DEP_1) | instskip(NEXT) | instid1(VALU_DEP_1)
	v_wmma_f32_16x16x16_bf16 v[129:136], v[9:16], v[17:24], v[129:136]
	v_and_b32_e32 v1, 0x7f800000, v129
	s_delay_alu instid0(VALU_DEP_1) | instskip(SKIP_1) | instid1(SALU_CYCLE_1)
	v_cmp_ne_u32_e32 vcc_lo, 0x7f800000, v1
                                        ; implicit-def: $vgpr1
	s_and_saveexec_b32 s3, vcc_lo
	s_xor_b32 s3, exec_lo, s3
; %bb.78:
	v_bfe_u32 v1, v129, 16, 1
	s_delay_alu instid0(VALU_DEP_1)
	v_add3_u32 v1, v129, v1, 0x7fff
; %bb.79:
	s_and_not1_saveexec_b32 s3, s3
; %bb.80:
	v_and_b32_e32 v1, 0xffff, v129
	v_or_b32_e32 v2, 0x10000, v129
	s_delay_alu instid0(VALU_DEP_2) | instskip(NEXT) | instid1(VALU_DEP_2)
	v_cmp_eq_u32_e32 vcc_lo, 0, v1
	v_cndmask_b32_e32 v1, v2, v129, vcc_lo
; %bb.81:
	s_or_b32 exec_lo, exec_lo, s3
	v_and_b32_e32 v2, 0x7f800000, v130
	s_delay_alu instid0(VALU_DEP_1) | instskip(SKIP_1) | instid1(SALU_CYCLE_1)
	v_cmp_ne_u32_e32 vcc_lo, 0x7f800000, v2
                                        ; implicit-def: $vgpr2
	s_and_saveexec_b32 s3, vcc_lo
	s_xor_b32 s3, exec_lo, s3
; %bb.82:
	v_bfe_u32 v2, v130, 16, 1
	s_delay_alu instid0(VALU_DEP_1)
	v_add3_u32 v2, v130, v2, 0x7fff
; %bb.83:
	s_and_not1_saveexec_b32 s3, s3
; %bb.84:
	v_and_b32_e32 v2, 0xffff, v130
	v_or_b32_e32 v3, 0x10000, v130
	s_delay_alu instid0(VALU_DEP_2) | instskip(NEXT) | instid1(VALU_DEP_2)
	v_cmp_eq_u32_e32 vcc_lo, 0, v2
	v_cndmask_b32_e32 v2, v3, v130, vcc_lo
; %bb.85:
	s_or_b32 exec_lo, exec_lo, s3
	v_and_b32_e32 v3, 0x7f800000, v131
	s_delay_alu instid0(VALU_DEP_1) | instskip(SKIP_1) | instid1(SALU_CYCLE_1)
	v_cmp_ne_u32_e32 vcc_lo, 0x7f800000, v3
                                        ; implicit-def: $vgpr3
	s_and_saveexec_b32 s3, vcc_lo
	s_xor_b32 s3, exec_lo, s3
; %bb.86:
	v_bfe_u32 v3, v131, 16, 1
	s_delay_alu instid0(VALU_DEP_1)
	v_add3_u32 v3, v131, v3, 0x7fff
; %bb.87:
	s_and_not1_saveexec_b32 s3, s3
; %bb.88:
	v_and_b32_e32 v3, 0xffff, v131
	v_or_b32_e32 v4, 0x10000, v131
	s_delay_alu instid0(VALU_DEP_2) | instskip(NEXT) | instid1(VALU_DEP_2)
	v_cmp_eq_u32_e32 vcc_lo, 0, v3
	v_cndmask_b32_e32 v3, v4, v131, vcc_lo
; %bb.89:
	s_or_b32 exec_lo, exec_lo, s3
	v_and_b32_e32 v4, 0x7f800000, v132
	s_delay_alu instid0(VALU_DEP_1) | instskip(SKIP_1) | instid1(SALU_CYCLE_1)
	v_cmp_ne_u32_e32 vcc_lo, 0x7f800000, v4
                                        ; implicit-def: $vgpr4
	s_and_saveexec_b32 s3, vcc_lo
	s_xor_b32 s3, exec_lo, s3
; %bb.90:
	v_bfe_u32 v4, v132, 16, 1
	s_delay_alu instid0(VALU_DEP_1)
	v_add3_u32 v4, v132, v4, 0x7fff
; %bb.91:
	s_and_not1_saveexec_b32 s3, s3
; %bb.92:
	v_and_b32_e32 v4, 0xffff, v132
	v_or_b32_e32 v5, 0x10000, v132
	s_delay_alu instid0(VALU_DEP_2) | instskip(NEXT) | instid1(VALU_DEP_2)
	v_cmp_eq_u32_e32 vcc_lo, 0, v4
	v_cndmask_b32_e32 v4, v5, v132, vcc_lo
; %bb.93:
	s_or_b32 exec_lo, exec_lo, s3
	v_and_b32_e32 v5, 0x7f800000, v133
	s_delay_alu instid0(VALU_DEP_1) | instskip(SKIP_1) | instid1(SALU_CYCLE_1)
	v_cmp_ne_u32_e32 vcc_lo, 0x7f800000, v5
                                        ; implicit-def: $vgpr5
	s_and_saveexec_b32 s3, vcc_lo
	s_xor_b32 s3, exec_lo, s3
; %bb.94:
	v_bfe_u32 v5, v133, 16, 1
	s_delay_alu instid0(VALU_DEP_1)
	v_add3_u32 v5, v133, v5, 0x7fff
; %bb.95:
	s_and_not1_saveexec_b32 s3, s3
; %bb.96:
	v_and_b32_e32 v5, 0xffff, v133
	v_or_b32_e32 v6, 0x10000, v133
	s_delay_alu instid0(VALU_DEP_2) | instskip(NEXT) | instid1(VALU_DEP_2)
	v_cmp_eq_u32_e32 vcc_lo, 0, v5
	v_cndmask_b32_e32 v5, v6, v133, vcc_lo
; %bb.97:
	s_or_b32 exec_lo, exec_lo, s3
	v_and_b32_e32 v6, 0x7f800000, v134
	s_delay_alu instid0(VALU_DEP_1) | instskip(SKIP_1) | instid1(SALU_CYCLE_1)
	v_cmp_ne_u32_e32 vcc_lo, 0x7f800000, v6
                                        ; implicit-def: $vgpr6
	s_and_saveexec_b32 s3, vcc_lo
	s_xor_b32 s3, exec_lo, s3
; %bb.98:
	v_bfe_u32 v6, v134, 16, 1
	s_delay_alu instid0(VALU_DEP_1)
	v_add3_u32 v6, v134, v6, 0x7fff
; %bb.99:
	s_and_not1_saveexec_b32 s3, s3
; %bb.100:
	v_and_b32_e32 v6, 0xffff, v134
	v_or_b32_e32 v7, 0x10000, v134
	s_delay_alu instid0(VALU_DEP_2) | instskip(NEXT) | instid1(VALU_DEP_2)
	v_cmp_eq_u32_e32 vcc_lo, 0, v6
	v_cndmask_b32_e32 v6, v7, v134, vcc_lo
; %bb.101:
	s_or_b32 exec_lo, exec_lo, s3
	v_and_b32_e32 v7, 0x7f800000, v135
	s_delay_alu instid0(VALU_DEP_1) | instskip(SKIP_1) | instid1(SALU_CYCLE_1)
	v_cmp_ne_u32_e32 vcc_lo, 0x7f800000, v7
                                        ; implicit-def: $vgpr7
	s_and_saveexec_b32 s3, vcc_lo
	s_xor_b32 s3, exec_lo, s3
; %bb.102:
	v_bfe_u32 v7, v135, 16, 1
	s_delay_alu instid0(VALU_DEP_1)
	v_add3_u32 v7, v135, v7, 0x7fff
; %bb.103:
	s_and_not1_saveexec_b32 s3, s3
; %bb.104:
	v_and_b32_e32 v7, 0xffff, v135
	v_or_b32_e32 v8, 0x10000, v135
	s_delay_alu instid0(VALU_DEP_2) | instskip(NEXT) | instid1(VALU_DEP_2)
	v_cmp_eq_u32_e32 vcc_lo, 0, v7
	v_cndmask_b32_e32 v7, v8, v135, vcc_lo
; %bb.105:
	s_or_b32 exec_lo, exec_lo, s3
	v_and_b32_e32 v8, 0x7f800000, v136
	s_delay_alu instid0(VALU_DEP_1) | instskip(SKIP_1) | instid1(SALU_CYCLE_1)
	v_cmp_ne_u32_e32 vcc_lo, 0x7f800000, v8
                                        ; implicit-def: $vgpr8
	s_and_saveexec_b32 s3, vcc_lo
	s_xor_b32 s3, exec_lo, s3
; %bb.106:
	v_bfe_u32 v8, v136, 16, 1
	s_delay_alu instid0(VALU_DEP_1)
	v_add3_u32 v8, v136, v8, 0x7fff
                                        ; implicit-def: $vgpr129_vgpr130_vgpr131_vgpr132_vgpr133_vgpr134_vgpr135_vgpr136
; %bb.107:
	s_and_not1_saveexec_b32 s3, s3
; %bb.108:
	v_and_b32_e32 v8, 0xffff, v136
	v_or_b32_e32 v9, 0x10000, v136
	s_delay_alu instid0(VALU_DEP_2) | instskip(NEXT) | instid1(VALU_DEP_2)
	v_cmp_eq_u32_e32 vcc_lo, 0, v8
	v_cndmask_b32_e32 v8, v9, v136, vcc_lo
; %bb.109:
	s_or_b32 exec_lo, exec_lo, s3
	s_delay_alu instid0(VALU_DEP_1)
	v_perm_b32 v7, v8, v7, 0x7060302
	v_perm_b32 v6, v6, v5, 0x7060302
	;; [unrolled: 1-line block ×4, first 2 shown]
	v_lshl_or_b32 v9, v138, 4, v144
	s_barrier
	buffer_gl0_inv
	v_cmp_eq_u32_e32 vcc_lo, 1, v140
	ds_store_b128 v9, v[4:7]
	s_waitcnt lgkmcnt(0)
	s_barrier
	buffer_gl0_inv
	ds_load_b128 v[1:4], v144
	ds_load_b128 v[5:8], v144 offset:16
	v_cmp_eq_u32_e64 s4, 2, v140
	v_cmp_eq_u32_e64 s3, 1, v141
	;; [unrolled: 1-line block ×5, first 2 shown]
	s_waitcnt lgkmcnt(1)
	v_lshrrev_b32_e32 v10, 16, v1
	s_waitcnt lgkmcnt(0)
	v_lshrrev_b32_e32 v14, 16, v5
	v_lshrrev_b32_e32 v15, 16, v6
	;; [unrolled: 1-line block ×4, first 2 shown]
	v_cndmask_b32_e64 v20, v1, v10, s3
	v_cndmask_b32_e32 v19, v5, v14, vcc_lo
	v_cndmask_b32_e64 v21, v5, v14, s3
	v_lshrrev_b32_e32 v16, 16, v7
	v_cmp_eq_u32_e64 s3, 1, v139
	v_lshrrev_b32_e32 v13, 16, v4
	v_cndmask_b32_e64 v19, v19, v6, s4
	v_lshrrev_b32_e32 v17, 16, v8
	s_delay_alu instid0(VALU_DEP_4) | instskip(SKIP_1) | instid1(VALU_DEP_4)
	v_cndmask_b32_e64 v22, v1, v10, s3
	v_cndmask_b32_e64 v23, v5, v14, s3
	v_cndmask_b32_e64 v19, v19, v15, s5
	v_cndmask_b32_e32 v18, v1, v10, vcc_lo
	v_cmp_eq_u32_e32 vcc_lo, 2, v141
	v_cmp_eq_u32_e64 s3, 2, v142
	v_cndmask_b32_e64 v22, v22, v2, s7
	v_cndmask_b32_e32 v20, v20, v2, vcc_lo
	v_cndmask_b32_e32 v21, v21, v6, vcc_lo
	v_cmp_eq_u32_e32 vcc_lo, 4, v140
	v_cndmask_b32_e32 v19, v19, v7, vcc_lo
	v_cndmask_b32_e64 v18, v18, v2, s4
	v_cmp_eq_u32_e64 s4, 3, v141
	s_delay_alu instid0(VALU_DEP_2) | instskip(NEXT) | instid1(VALU_DEP_2)
	v_cndmask_b32_e64 v18, v18, v11, s5
	v_cndmask_b32_e64 v21, v21, v15, s4
	v_cmp_eq_u32_e64 s5, 5, v140
	s_delay_alu instid0(VALU_DEP_3) | instskip(SKIP_1) | instid1(VALU_DEP_3)
	v_cndmask_b32_e32 v18, v18, v3, vcc_lo
	v_cmp_eq_u32_e32 vcc_lo, 4, v141
	v_cndmask_b32_e64 v19, v19, v16, s5
	s_delay_alu instid0(VALU_DEP_3) | instskip(SKIP_4) | instid1(VALU_DEP_3)
	v_cndmask_b32_e64 v18, v18, v12, s5
	v_cndmask_b32_e32 v21, v21, v7, vcc_lo
	v_cndmask_b32_e64 v20, v20, v11, s4
	v_cmp_eq_u32_e64 s4, 5, v141
	v_cmp_eq_u32_e64 s5, 6, v140
	v_cndmask_b32_e32 v20, v20, v3, vcc_lo
	s_delay_alu instid0(VALU_DEP_3) | instskip(SKIP_1) | instid1(VALU_DEP_4)
	v_cndmask_b32_e64 v21, v21, v16, s4
	v_cmp_eq_u32_e32 vcc_lo, 6, v141
	v_cndmask_b32_e64 v18, v18, v4, s5
	v_cndmask_b32_e64 v19, v19, v8, s5
	;; [unrolled: 1-line block ×3, first 2 shown]
	v_cmp_eq_u32_e64 s4, 1, v142
	v_cmp_eq_u32_e64 s5, 7, v140
	s_delay_alu instid0(VALU_DEP_3) | instskip(NEXT) | instid1(VALU_DEP_3)
	v_cndmask_b32_e32 v20, v20, v4, vcc_lo
	v_cndmask_b32_e64 v1, v1, v10, s4
	v_cndmask_b32_e64 v5, v5, v14, s4
	v_cmp_eq_u32_e64 s4, 3, v139
	v_cndmask_b32_e64 v14, v23, v6, s7
	v_cmp_eq_u32_e64 s7, 3, v142
	v_cndmask_b32_e64 v1, v1, v2, s3
	v_cndmask_b32_e64 v2, v5, v6, s3
	;; [unrolled: 1-line block ×3, first 2 shown]
	v_cmp_eq_u32_e64 s3, 4, v139
	v_cndmask_b32_e64 v6, v14, v15, s4
	v_cndmask_b32_e64 v1, v1, v11, s7
	v_cmp_eq_u32_e64 s4, 4, v142
	v_cndmask_b32_e64 v2, v2, v15, s7
	v_cndmask_b32_e64 v5, v10, v3, s3
	;; [unrolled: 3-line block ×3, first 2 shown]
	v_cndmask_b32_e64 v2, v2, v7, s4
	v_cmp_eq_u32_e64 s3, 5, v142
	v_cndmask_b32_e64 v5, v5, v12, s7
	v_cndmask_b32_e64 v3, v6, v16, s7
	v_cmp_eq_u32_e64 s7, 6, v142
	v_cmp_eq_u32_e64 s4, 6, v139
	v_cndmask_b32_e64 v1, v1, v12, s3
	v_cndmask_b32_e64 v2, v2, v16, s3
	v_cmp_eq_u32_e64 s3, 7, v142
	v_cndmask_b32_e64 v18, v18, v13, s5
	v_cndmask_b32_e64 v5, v5, v4, s4
	;; [unrolled: 1-line block ×5, first 2 shown]
	v_cmp_eq_u32_e64 s4, 7, v139
	v_cndmask_b32_e32 v4, v21, v8, vcc_lo
	v_cndmask_b32_e64 v1, v1, v13, s3
	v_cndmask_b32_e64 v2, v2, v17, s3
	v_cmp_lt_u32_e32 vcc_lo, 31, v0
	v_cmp_lt_u32_e64 s3, 7, v137
	v_cndmask_b32_e64 v20, v20, v13, s6
	v_cndmask_b32_e64 v5, v5, v13, s4
	;; [unrolled: 1-line block ×5, first 2 shown]
	s_or_b32 s3, vcc_lo, s3
	v_perm_b32 v4, v2, v1, 0x5040100
	v_perm_b32 v3, v3, v5, 0x5040100
	;; [unrolled: 1-line block ×4, first 2 shown]
	s_or_b32 s2, s2, s3
	s_delay_alu instid0(SALU_CYCLE_1)
	s_xor_b32 s2, s2, -1
	ds_store_b128 v9, v[1:4]
	s_waitcnt lgkmcnt(0)
	s_barrier
	buffer_gl0_inv
	s_and_saveexec_b32 s3, s2
	s_cbranch_execz .LBB410_2
; %bb.110:
	s_load_b64 s[0:1], s[0:1], 0x68
	v_lshlrev_b32_e32 v1, 10, v0
	v_and_b32_e32 v0, 1, v0
	v_lshlrev_b32_e32 v2, 6, v138
	s_lshl_b32 s4, s36, 6
	v_lshlrev_b32_e32 v4, 4, v137
	v_and_b32_e32 v1, 0x3800, v1
	v_lshlrev_b32_e32 v0, 4, v0
	s_mul_i32 s2, s4, s34
	s_delay_alu instid0(SALU_CYCLE_1) | instskip(NEXT) | instid1(VALU_DEP_1)
	s_mul_i32 s2, s2, s37
	v_or3_b32 v0, v1, v2, v0
	s_ashr_i32 s3, s2, 31
	s_delay_alu instid0(SALU_CYCLE_1)
	s_lshl_b64 s[2:3], s[2:3], 1
	ds_load_b128 v[0:3], v0
	s_waitcnt lgkmcnt(0)
	s_add_u32 s5, s0, s2
	s_addc_u32 s3, s1, s3
	s_lshl_b32 s0, s14, 6
	s_mul_i32 s2, s4, s15
	s_ashr_i32 s1, s0, 31
	s_delay_alu instid0(SALU_CYCLE_1) | instskip(NEXT) | instid1(SALU_CYCLE_1)
	s_lshl_b64 s[0:1], s[0:1], 1
	s_add_u32 s4, s5, s0
	s_addc_u32 s5, s3, s1
	s_ashr_i32 s3, s2, 31
	s_delay_alu instid0(SALU_CYCLE_1) | instskip(NEXT) | instid1(SALU_CYCLE_1)
	s_lshl_b64 s[0:1], s[2:3], 1
	s_add_u32 s0, s4, s0
	s_addc_u32 s1, s5, s1
	global_store_b128 v4, v[0:3], s[0:1]
	s_nop 0
	s_sendmsg sendmsg(MSG_DEALLOC_VGPRS)
	s_endpgm
	.section	.rodata,"a",@progbits
	.p2align	6, 0x0
	.amdhsa_kernel _Z39paged_attention_ll4mi_QKV_mfma16_kernelI14__hip_bfloat16S0_LN4vllm18Fp8KVCacheDataTypeE0EhLi16ELi64ELi256ELb1ELi1EL8MFMAType0EEvPKT_PKT0_S9_ifPKiSB_SB_iPKfiiiPfSE_PS4_PT2_iSD_SD_
		.amdhsa_group_segment_fixed_size 17472
		.amdhsa_private_segment_fixed_size 0
		.amdhsa_kernarg_size 400
		.amdhsa_user_sgpr_count 13
		.amdhsa_user_sgpr_dispatch_ptr 0
		.amdhsa_user_sgpr_queue_ptr 0
		.amdhsa_user_sgpr_kernarg_segment_ptr 1
		.amdhsa_user_sgpr_dispatch_id 0
		.amdhsa_user_sgpr_private_segment_size 0
		.amdhsa_wavefront_size32 1
		.amdhsa_uses_dynamic_stack 0
		.amdhsa_enable_private_segment 0
		.amdhsa_system_sgpr_workgroup_id_x 1
		.amdhsa_system_sgpr_workgroup_id_y 1
		.amdhsa_system_sgpr_workgroup_id_z 1
		.amdhsa_system_sgpr_workgroup_info 0
		.amdhsa_system_vgpr_workitem_id 0
		.amdhsa_next_free_vgpr 193
		.amdhsa_next_free_sgpr 67
		.amdhsa_reserve_vcc 1
		.amdhsa_float_round_mode_32 0
		.amdhsa_float_round_mode_16_64 0
		.amdhsa_float_denorm_mode_32 3
		.amdhsa_float_denorm_mode_16_64 3
		.amdhsa_dx10_clamp 1
		.amdhsa_ieee_mode 1
		.amdhsa_fp16_overflow 0
		.amdhsa_workgroup_processor_mode 1
		.amdhsa_memory_ordered 1
		.amdhsa_forward_progress 0
		.amdhsa_shared_vgpr_count 0
		.amdhsa_exception_fp_ieee_invalid_op 0
		.amdhsa_exception_fp_denorm_src 0
		.amdhsa_exception_fp_ieee_div_zero 0
		.amdhsa_exception_fp_ieee_overflow 0
		.amdhsa_exception_fp_ieee_underflow 0
		.amdhsa_exception_fp_ieee_inexact 0
		.amdhsa_exception_int_div_zero 0
	.end_amdhsa_kernel
	.section	.text._Z39paged_attention_ll4mi_QKV_mfma16_kernelI14__hip_bfloat16S0_LN4vllm18Fp8KVCacheDataTypeE0EhLi16ELi64ELi256ELb1ELi1EL8MFMAType0EEvPKT_PKT0_S9_ifPKiSB_SB_iPKfiiiPfSE_PS4_PT2_iSD_SD_,"axG",@progbits,_Z39paged_attention_ll4mi_QKV_mfma16_kernelI14__hip_bfloat16S0_LN4vllm18Fp8KVCacheDataTypeE0EhLi16ELi64ELi256ELb1ELi1EL8MFMAType0EEvPKT_PKT0_S9_ifPKiSB_SB_iPKfiiiPfSE_PS4_PT2_iSD_SD_,comdat
.Lfunc_end410:
	.size	_Z39paged_attention_ll4mi_QKV_mfma16_kernelI14__hip_bfloat16S0_LN4vllm18Fp8KVCacheDataTypeE0EhLi16ELi64ELi256ELb1ELi1EL8MFMAType0EEvPKT_PKT0_S9_ifPKiSB_SB_iPKfiiiPfSE_PS4_PT2_iSD_SD_, .Lfunc_end410-_Z39paged_attention_ll4mi_QKV_mfma16_kernelI14__hip_bfloat16S0_LN4vllm18Fp8KVCacheDataTypeE0EhLi16ELi64ELi256ELb1ELi1EL8MFMAType0EEvPKT_PKT0_S9_ifPKiSB_SB_iPKfiiiPfSE_PS4_PT2_iSD_SD_
                                        ; -- End function
	.section	.AMDGPU.csdata,"",@progbits
; Kernel info:
; codeLenInByte = 9680
; NumSgprs: 69
; NumVgprs: 193
; ScratchSize: 0
; MemoryBound: 1
; FloatMode: 240
; IeeeMode: 1
; LDSByteSize: 17472 bytes/workgroup (compile time only)
; SGPRBlocks: 8
; VGPRBlocks: 24
; NumSGPRsForWavesPerEU: 69
; NumVGPRsForWavesPerEU: 193
; Occupancy: 7
; WaveLimiterHint : 1
; COMPUTE_PGM_RSRC2:SCRATCH_EN: 0
; COMPUTE_PGM_RSRC2:USER_SGPR: 13
; COMPUTE_PGM_RSRC2:TRAP_HANDLER: 0
; COMPUTE_PGM_RSRC2:TGID_X_EN: 1
; COMPUTE_PGM_RSRC2:TGID_Y_EN: 1
; COMPUTE_PGM_RSRC2:TGID_Z_EN: 1
; COMPUTE_PGM_RSRC2:TIDIG_COMP_CNT: 0
	.section	.text._Z39paged_attention_ll4mi_QKV_mfma16_kernelI14__hip_bfloat16S0_LN4vllm18Fp8KVCacheDataTypeE0EhLi16ELi64ELi256ELb1ELi2EL8MFMAType0EEvPKT_PKT0_S9_ifPKiSB_SB_iPKfiiiPfSE_PS4_PT2_iSD_SD_,"axG",@progbits,_Z39paged_attention_ll4mi_QKV_mfma16_kernelI14__hip_bfloat16S0_LN4vllm18Fp8KVCacheDataTypeE0EhLi16ELi64ELi256ELb1ELi2EL8MFMAType0EEvPKT_PKT0_S9_ifPKiSB_SB_iPKfiiiPfSE_PS4_PT2_iSD_SD_,comdat
	.protected	_Z39paged_attention_ll4mi_QKV_mfma16_kernelI14__hip_bfloat16S0_LN4vllm18Fp8KVCacheDataTypeE0EhLi16ELi64ELi256ELb1ELi2EL8MFMAType0EEvPKT_PKT0_S9_ifPKiSB_SB_iPKfiiiPfSE_PS4_PT2_iSD_SD_ ; -- Begin function _Z39paged_attention_ll4mi_QKV_mfma16_kernelI14__hip_bfloat16S0_LN4vllm18Fp8KVCacheDataTypeE0EhLi16ELi64ELi256ELb1ELi2EL8MFMAType0EEvPKT_PKT0_S9_ifPKiSB_SB_iPKfiiiPfSE_PS4_PT2_iSD_SD_
	.globl	_Z39paged_attention_ll4mi_QKV_mfma16_kernelI14__hip_bfloat16S0_LN4vllm18Fp8KVCacheDataTypeE0EhLi16ELi64ELi256ELb1ELi2EL8MFMAType0EEvPKT_PKT0_S9_ifPKiSB_SB_iPKfiiiPfSE_PS4_PT2_iSD_SD_
	.p2align	8
	.type	_Z39paged_attention_ll4mi_QKV_mfma16_kernelI14__hip_bfloat16S0_LN4vllm18Fp8KVCacheDataTypeE0EhLi16ELi64ELi256ELb1ELi2EL8MFMAType0EEvPKT_PKT0_S9_ifPKiSB_SB_iPKfiiiPfSE_PS4_PT2_iSD_SD_,@function
_Z39paged_attention_ll4mi_QKV_mfma16_kernelI14__hip_bfloat16S0_LN4vllm18Fp8KVCacheDataTypeE0EhLi16ELi64ELi256ELb1ELi2EL8MFMAType0EEvPKT_PKT0_S9_ifPKiSB_SB_iPKfiiiPfSE_PS4_PT2_iSD_SD_: ; @_Z39paged_attention_ll4mi_QKV_mfma16_kernelI14__hip_bfloat16S0_LN4vllm18Fp8KVCacheDataTypeE0EhLi16ELi64ELi256ELb1ELi2EL8MFMAType0EEvPKT_PKT0_S9_ifPKiSB_SB_iPKfiiiPfSE_PS4_PT2_iSD_SD_
; %bb.0:
	s_load_b64 s[2:3], s[0:1], 0x30
	s_mov_b32 s30, s13
	s_waitcnt lgkmcnt(0)
	s_cmp_lg_u64 s[2:3], 0
	s_cselect_b32 s8, -1, 0
	s_ashr_i32 s31, s13, 31
	s_cmp_eq_u64 s[2:3], 0
	s_cbranch_scc1 .LBB411_3
; %bb.1:
	s_lshl_b64 s[4:5], s[30:31], 2
	s_delay_alu instid0(SALU_CYCLE_1) | instskip(SKIP_4) | instid1(SALU_CYCLE_1)
	s_add_u32 s4, s2, s4
	s_addc_u32 s5, s3, s5
	s_load_b64 s[4:5], s[4:5], 0x0
	s_waitcnt lgkmcnt(0)
	s_sub_i32 s4, s5, s4
	s_cmp_eq_u32 s4, 1
	s_cselect_b32 s4, -1, 0
	s_delay_alu instid0(SALU_CYCLE_1)
	s_and_not1_b32 vcc_lo, exec_lo, s4
	s_cbranch_vccz .LBB411_4
.LBB411_2:
	s_endpgm
.LBB411_3:
.LBB411_4:
	s_load_b64 s[4:5], s[0:1], 0x28
	s_lshl_b64 s[6:7], s[30:31], 2
	s_waitcnt lgkmcnt(0)
	s_add_u32 s4, s4, s6
	s_addc_u32 s5, s5, s7
	s_lshl_b32 s33, s14, 8
	s_load_b32 s28, s[4:5], 0x0
	s_waitcnt lgkmcnt(0)
	s_cmp_ge_i32 s33, s28
	s_cbranch_scc1 .LBB411_2
; %bb.5:
	s_clause 0x1
	s_load_b128 s[20:23], s[0:1], 0x8
	s_load_b64 s[4:5], s[0:1], 0x20
	s_and_not1_b32 vcc_lo, exec_lo, s8
	s_cbranch_vccnz .LBB411_7
; %bb.6:
	s_add_u32 s2, s2, s6
	s_addc_u32 s3, s3, s7
	s_load_b32 s3, s[2:3], 0x0
	s_branch .LBB411_8
.LBB411_7:
	s_mov_b32 s3, s30
.LBB411_8:
	s_load_b128 s[16:19], s[0:1], 0x48
	v_and_b32_e32 v142, 15, v0
	v_bfe_u32 v141, v0, 4, 1
	s_lshl_b32 s31, s15, 1
	v_cmp_gt_u32_e32 vcc_lo, 32, v0
	v_and_b32_e32 v143, 31, v0
	v_lshlrev_b32_e32 v1, 3, v142
	v_cmp_gt_u32_e64 s2, 8, v142
	v_and_b32_e32 v140, 1, v0
	v_or_b32_e32 v139, s31, v141
	v_lshlrev_b32_e32 v138, 6, v141
	v_lshlrev_b32_e32 v137, 1, v1
	s_and_b32 s29, vcc_lo, s2
	s_delay_alu instid0(SALU_CYCLE_1)
	s_and_saveexec_b32 s2, s29
	s_cbranch_execz .LBB411_10
; %bb.9:
	s_load_b64 s[6:7], s[0:1], 0x0
	v_lshlrev_b32_e32 v1, 6, v139
	s_waitcnt lgkmcnt(0)
	s_mul_hi_i32 s9, s3, s16
	s_mul_i32 s8, s3, s16
	v_lshlrev_b32_e32 v5, 10, v142
	s_lshl_b64 s[8:9], s[8:9], 1
	v_ashrrev_i32_e32 v2, 31, v1
	v_lshlrev_b32_e32 v6, 10, v140
	s_delay_alu instid0(VALU_DEP_3) | instskip(NEXT) | instid1(VALU_DEP_3)
	v_and_b32_e32 v5, 0x3800, v5
	v_lshlrev_b64 v[1:2], 1, v[1:2]
	s_delay_alu instid0(VALU_DEP_2) | instskip(SKIP_2) | instid1(VALU_DEP_2)
	v_or3_b32 v5, v5, v6, v138
	s_add_u32 s3, s6, s8
	s_addc_u32 s6, s7, s9
	v_add_co_u32 v1, vcc_lo, s3, v1
	s_delay_alu instid0(VALU_DEP_3) | instskip(NEXT) | instid1(VALU_DEP_2)
	v_add_co_ci_u32_e32 v2, vcc_lo, s6, v2, vcc_lo
	v_add_co_u32 v1, vcc_lo, v1, v137
	s_delay_alu instid0(VALU_DEP_2)
	v_add_co_ci_u32_e32 v2, vcc_lo, 0, v2, vcc_lo
	global_load_b128 v[1:4], v[1:2], off
	s_waitcnt vmcnt(0)
	ds_store_b128 v5, v[1:4]
.LBB411_10:
	s_or_b32 exec_lo, exec_lo, s2
	v_and_b32_e32 v1, 0xef, v0
	s_waitcnt lgkmcnt(0)
	s_add_i32 s3, s28, 15
	s_clause 0x1
	s_load_b32 s2, s[0:1], 0x38
	s_load_b32 s34, s[0:1], 0x1c
	s_ashr_i32 s6, s3, 31
	v_add_nc_u32_e32 v1, s33, v1
	s_lshr_b32 s6, s6, 28
	s_waitcnt lgkmcnt(0)
	s_add_i32 s3, s3, s6
	s_barrier
	v_ashrrev_i32_e32 v2, 31, v1
	v_cmp_gt_i32_e32 vcc_lo, s28, v1
	s_ashr_i32 s16, s3, 4
	buffer_gl0_inv
	s_add_i32 s16, s16, -1
	v_lshrrev_b32_e32 v3, 28, v2
	v_or_b32_e32 v2, 16, v1
	v_lshlrev_b32_e32 v145, 6, v140
	v_lshrrev_b32_e32 v144, 5, v0
	v_lshlrev_b32_e32 v49, 5, v142
	v_add_nc_u32_e32 v4, v1, v3
	v_add_nc_u32_e32 v3, v2, v3
	s_mul_i32 s2, s30, s2
	s_delay_alu instid0(SALU_CYCLE_1) | instskip(NEXT) | instid1(VALU_DEP_2)
	s_ashr_i32 s3, s2, 31
	v_ashrrev_i32_e32 v4, 4, v4
	s_delay_alu instid0(VALU_DEP_2)
	v_ashrrev_i32_e32 v3, 4, v3
	s_lshl_b64 s[2:3], s[2:3], 2
	v_lshl_or_b32 v49, v144, 9, v49
	s_add_u32 s35, s4, s2
	v_cndmask_b32_e32 v1, s16, v4, vcc_lo
	v_cmp_gt_i32_e32 vcc_lo, s28, v2
	s_addc_u32 s36, s5, s3
	s_mul_i32 s2, s15, s18
	s_delay_alu instid0(SALU_CYCLE_1) | instskip(SKIP_3) | instid1(SALU_CYCLE_1)
	s_ashr_i32 s3, s2, 31
	v_cndmask_b32_e32 v3, s16, v3, vcc_lo
	v_ashrrev_i32_e32 v2, 31, v1
	s_lshl_b64 s[2:3], s[2:3], 1
	s_add_u32 s24, s20, s2
	s_delay_alu instid0(VALU_DEP_2) | instskip(NEXT) | instid1(VALU_DEP_2)
	v_ashrrev_i32_e32 v4, 31, v3
	v_lshlrev_b64 v[1:2], 2, v[1:2]
	s_addc_u32 s25, s21, s3
	s_lshl_b32 s4, s14, 4
	s_delay_alu instid0(VALU_DEP_2) | instskip(SKIP_1) | instid1(VALU_DEP_2)
	v_lshlrev_b64 v[3:4], 2, v[3:4]
	s_ashr_i32 s5, s4, 31
	v_add_co_u32 v1, vcc_lo, s35, v1
	v_add_co_ci_u32_e32 v2, vcc_lo, s36, v2, vcc_lo
	s_delay_alu instid0(VALU_DEP_3) | instskip(NEXT) | instid1(VALU_DEP_4)
	v_add_co_u32 v3, vcc_lo, s35, v3
	v_add_co_ci_u32_e32 v4, vcc_lo, s36, v4, vcc_lo
	s_lshl_b64 s[4:5], s[4:5], 2
	s_clause 0x1
	global_load_b32 v5, v[1:2], off
	global_load_b32 v6, v[3:4], off
	s_add_u32 s4, s35, s4
	s_addc_u32 s5, s36, s5
	s_or_b32 s6, s33, 16
	v_lshlrev_b32_e32 v3, 4, v0
	s_ashr_i32 s7, s6, 4
	s_cmp_lt_i32 s6, s28
	s_cselect_b32 s6, s7, s16
	s_delay_alu instid0(SALU_CYCLE_1) | instskip(NEXT) | instid1(SALU_CYCLE_1)
	s_ashr_i32 s7, s6, 31
	s_lshl_b64 s[6:7], s[6:7], 2
	s_delay_alu instid0(SALU_CYCLE_1) | instskip(SKIP_2) | instid1(SALU_CYCLE_1)
	s_add_u32 s6, s35, s6
	s_addc_u32 s7, s36, s7
	s_or_b32 s8, s33, 32
	s_ashr_i32 s9, s8, 4
	s_cmp_lt_i32 s8, s28
	s_cselect_b32 s8, s9, s16
	s_delay_alu instid0(SALU_CYCLE_1) | instskip(NEXT) | instid1(SALU_CYCLE_1)
	s_ashr_i32 s9, s8, 31
	s_lshl_b64 s[8:9], s[8:9], 2
	s_delay_alu instid0(SALU_CYCLE_1) | instskip(SKIP_2) | instid1(SALU_CYCLE_1)
	s_add_u32 s8, s35, s8
	s_addc_u32 s9, s36, s9
	s_or_b32 s10, s33, 48
	;; [unrolled: 10-line block ×4, first 2 shown]
	s_ashr_i32 s13, s12, 4
	s_cmp_lt_i32 s12, s28
	s_cselect_b32 s12, s13, s16
	s_delay_alu instid0(SALU_CYCLE_1) | instskip(NEXT) | instid1(SALU_CYCLE_1)
	s_ashr_i32 s13, s12, 31
	s_lshl_b64 s[12:13], s[12:13], 2
	s_delay_alu instid0(SALU_CYCLE_1)
	s_add_u32 s20, s35, s12
	s_addc_u32 s21, s36, s13
	s_clause 0x5
	s_load_b32 s37, s[4:5], 0x0
	s_load_b32 s27, s[6:7], 0x0
	;; [unrolled: 1-line block ×6, first 2 shown]
	s_waitcnt vmcnt(1)
	v_mad_i64_i32 v[1:2], null, v5, s17, 0
	v_and_b32_e32 v5, 0xf0, v3
	s_waitcnt vmcnt(0)
	v_mad_i64_i32 v[3:4], null, v6, s17, 0
	s_delay_alu instid0(VALU_DEP_2) | instskip(NEXT) | instid1(VALU_DEP_4)
	v_add_co_u32 v5, s4, s24, v5
	v_lshlrev_b64 v[1:2], 1, v[1:2]
	v_add_co_ci_u32_e64 v6, null, s25, 0, s4
	s_delay_alu instid0(VALU_DEP_4) | instskip(SKIP_1) | instid1(VALU_DEP_3)
	v_lshlrev_b64 v[3:4], 1, v[3:4]
	s_or_b32 s4, s33, 0x60
	v_add_co_u32 v41, vcc_lo, v5, v1
	s_delay_alu instid0(VALU_DEP_3) | instskip(NEXT) | instid1(VALU_DEP_3)
	v_add_co_ci_u32_e32 v42, vcc_lo, v6, v2, vcc_lo
	v_add_co_u32 v43, vcc_lo, v5, v3
	s_delay_alu instid0(VALU_DEP_4)
	v_add_co_ci_u32_e32 v44, vcc_lo, v6, v4, vcc_lo
	s_clause 0xf
	global_load_b128 v[17:20], v[41:42], off
	global_load_b128 v[21:24], v[41:42], off offset:256
	global_load_b128 v[33:36], v[43:44], off
	global_load_b128 v[37:40], v[43:44], off offset:256
	global_load_b128 v[1:4], v[41:42], off offset:512
	;; [unrolled: 1-line block ×13, first 2 shown]
	s_ashr_i32 s5, s4, 4
	s_cmp_lt_i32 s4, s28
	ds_load_b128 v[41:44], v145
	ds_load_b128 v[45:48], v145 offset:1024
	s_cselect_b32 s4, s5, s16
	ds_load_b128 v[170:173], v145 offset:2048
	ds_load_b128 v[174:177], v145 offset:3072
	s_ashr_i32 s5, s4, 31
	ds_load_b128 v[178:181], v145 offset:4096
	ds_load_b128 v[182:185], v145 offset:5120
	s_lshl_b64 s[4:5], s[4:5], 2
	s_delay_alu instid0(SALU_CYCLE_1) | instskip(SKIP_2) | instid1(SALU_CYCLE_1)
	s_add_u32 s18, s35, s4
	s_addc_u32 s19, s36, s5
	s_or_b32 s4, s33, 0x70
	s_ashr_i32 s5, s4, 4
	s_cmp_lt_i32 s4, s28
	s_cselect_b32 s4, s5, s16
	s_delay_alu instid0(SALU_CYCLE_1) | instskip(NEXT) | instid1(SALU_CYCLE_1)
	s_ashr_i32 s5, s4, 31
	s_lshl_b64 s[6:7], s[4:5], 2
	s_mov_b32 s4, 0
	s_add_u32 s20, s35, s6
	s_addc_u32 s21, s36, s7
	s_or_b32 s5, s33, 0x80
	s_mov_b32 s11, s4
	s_ashr_i32 s6, s5, 4
	s_cmp_lt_i32 s5, s28
	s_mov_b32 s5, s4
	s_cselect_b32 s6, s6, s16
	s_mov_b32 s10, s4
	s_ashr_i32 s7, s6, 31
	s_load_b32 s46, s[20:21], 0x0
	s_lshl_b64 s[8:9], s[6:7], 2
	s_mov_b32 s6, s4
	s_add_u32 s24, s35, s8
	s_addc_u32 s25, s36, s9
	s_or_b32 s8, s33, 0x90
	s_load_b32 s47, s[24:25], 0x0
	s_ashr_i32 s9, s8, 4
	s_cmp_lt_i32 s8, s28
	s_mov_b32 s7, s4
	s_cselect_b32 s38, s9, s16
	s_mov_b32 s8, s4
	s_ashr_i32 s39, s38, 31
	s_mov_b32 s9, s4
	s_lshl_b64 s[38:39], s[38:39], 2
	v_mov_b32_e32 v136, s11
	s_add_u32 s38, s35, s38
	s_addc_u32 s39, s36, s39
	s_or_b32 s40, s33, 0xa0
	v_mov_b32_e32 v135, s10
	s_ashr_i32 s41, s40, 4
	s_cmp_lt_i32 s40, s28
	s_load_b32 s40, s[38:39], 0x0
	v_dual_mov_b32 v134, s9 :: v_dual_mov_b32 v133, s8
	v_dual_mov_b32 v132, s7 :: v_dual_mov_b32 v131, s6
	;; [unrolled: 1-line block ×3, first 2 shown]
	s_cselect_b32 s4, s41, s16
	s_waitcnt lgkmcnt(0)
	s_mul_hi_i32 s7, s27, s17
	s_ashr_i32 s5, s4, 31
	s_load_b32 s41, s[18:19], 0x0
	s_lshl_b64 s[4:5], s[4:5], 2
	s_mul_hi_i32 s19, s15, s17
	s_add_u32 s42, s35, s4
	s_addc_u32 s43, s36, s5
	s_or_b32 s4, s33, 0xb0
	s_mul_hi_i32 s5, s37, s17
	s_ashr_i32 s6, s4, 4
	s_cmp_lt_i32 s4, s28
	s_mul_i32 s4, s37, s17
	s_cselect_b32 s8, s6, s16
	s_mul_i32 s6, s27, s17
	s_ashr_i32 s9, s8, 31
	s_load_b32 s39, s[42:43], 0x0
	s_lshl_b64 s[8:9], s[8:9], 2
	s_mul_hi_i32 s25, s46, s17
	s_add_u32 s44, s35, s8
	s_addc_u32 s45, s36, s9
	s_or_b32 s8, s33, 0xc0
	s_mul_hi_i32 s9, s26, s17
	s_ashr_i32 s10, s8, 4
	s_cmp_lt_i32 s8, s28
	s_mul_i32 s8, s26, s17
	s_cselect_b32 s26, s10, s16
	s_mul_i32 s24, s46, s17
	s_ashr_i32 s27, s26, 31
	s_mul_hi_i32 s11, s13, s17
	s_lshl_b64 s[26:27], s[26:27], 2
	s_mul_i32 s10, s13, s17
	s_add_u32 s26, s35, s26
	s_addc_u32 s27, s36, s27
	s_or_b32 s37, s33, 0xd0
	s_mul_hi_i32 s13, s12, s17
	s_ashr_i32 s18, s37, 4
	s_cmp_lt_i32 s37, s28
	s_mul_i32 s12, s12, s17
	s_cselect_b32 s20, s18, s16
	s_mul_i32 s18, s15, s17
	s_ashr_i32 s21, s20, 31
	s_delay_alu instid0(SALU_CYCLE_1) | instskip(NEXT) | instid1(SALU_CYCLE_1)
	s_lshl_b64 s[20:21], s[20:21], 2
	s_add_u32 s20, s35, s20
	s_addc_u32 s21, s36, s21
	s_or_b32 s42, s33, 0xe0
	s_clause 0x2
	s_load_b32 s38, s[44:45], 0x0
	s_load_b32 s37, s[26:27], 0x0
	;; [unrolled: 1-line block ×3, first 2 shown]
	s_ashr_i32 s43, s42, 4
	s_cmp_lt_i32 s42, s28
	s_mul_hi_i32 s27, s47, s17
	s_cselect_b32 s42, s43, s16
	s_mul_i32 s26, s47, s17
	s_ashr_i32 s43, s42, 31
	s_waitcnt lgkmcnt(0)
	s_mul_hi_i32 s21, s41, s17
	s_lshl_b64 s[42:43], s[42:43], 2
	s_mul_i32 s20, s41, s17
	s_add_u32 s42, s35, s42
	s_addc_u32 s43, s36, s43
	s_or_b32 s46, s33, 0xf0
	s_mul_hi_i32 s41, s40, s17
	s_ashr_i32 s47, s46, 4
	s_cmp_lt_i32 s46, s28
	s_mul_i32 s40, s40, s17
	s_cselect_b32 s46, s47, s16
	s_mul_hi_i32 s45, s39, s17
	s_ashr_i32 s47, s46, 31
	s_mul_hi_i32 s51, s15, s17
	s_lshl_b64 s[46:47], s[46:47], 2
	s_mul_i32 s50, s15, s17
	s_add_u32 s46, s35, s46
	s_addc_u32 s47, s36, s47
	s_add_u32 s15, s22, s2
	s_addc_u32 s16, s23, s3
	v_add_co_u32 v200, s15, s15, v49
	s_delay_alu instid0(VALU_DEP_1) | instskip(SKIP_2) | instid1(VALU_DEP_2)
	v_add_co_ci_u32_e64 v201, null, s16, 0, s15
	s_lshl_b64 s[2:3], s[4:5], 1
	s_lshl_b64 s[4:5], s[6:7], 1
	v_add_co_u32 v49, vcc_lo, v200, s2
	s_delay_alu instid0(VALU_DEP_2)
	v_add_co_ci_u32_e32 v50, vcc_lo, s3, v201, vcc_lo
	v_add_co_u32 v51, vcc_lo, v200, s4
	s_lshl_b64 s[6:7], s[8:9], 1
	v_add_co_ci_u32_e32 v52, vcc_lo, s5, v201, vcc_lo
	v_add_co_u32 v53, vcc_lo, v200, s6
	s_lshl_b64 s[8:9], s[10:11], 1
	;; [unrolled: 3-line block ×7, first 2 shown]
	v_add_co_ci_u32_e32 v64, vcc_lo, s21, v201, vcc_lo
	s_clause 0x1
	s_load_b32 s15, s[42:43], 0x0
	s_load_b32 s16, s[46:47], 0x0
	v_add_co_u32 v69, vcc_lo, v200, s22
	s_lshl_b64 s[24:25], s[40:41], 1
	s_mul_i32 s44, s39, s17
	v_add_co_ci_u32_e32 v70, vcc_lo, s23, v201, vcc_lo
	v_add_co_u32 v194, vcc_lo, v200, s24
	s_lshl_b64 s[26:27], s[44:45], 1
	s_mul_hi_i32 s39, s38, s17
	s_mul_i32 s38, s38, s17
	v_add_co_ci_u32_e32 v195, vcc_lo, s25, v201, vcc_lo
	v_add_co_u32 v196, vcc_lo, v200, s26
	s_mul_hi_i32 s49, s37, s17
	s_mul_i32 s48, s37, s17
	s_lshl_b64 s[36:37], s[38:39], 1
	v_add_co_ci_u32_e32 v197, vcc_lo, s27, v201, vcc_lo
	v_add_co_u32 v198, vcc_lo, v200, s36
	s_lshl_b64 s[38:39], s[48:49], 1
	v_add_co_ci_u32_e32 v199, vcc_lo, s37, v201, vcc_lo
	s_lshl_b64 s[2:3], s[50:51], 1
	s_clause 0x11
	global_load_b128 v[121:124], v[49:50], off
	global_load_b128 v[125:128], v[49:50], off offset:16
	global_load_b128 v[113:116], v[51:52], off
	global_load_b128 v[117:120], v[51:52], off offset:16
	;; [unrolled: 2-line block ×9, first 2 shown]
	s_waitcnt lgkmcnt(0)
	s_mul_hi_i32 s5, s15, s17
	s_mul_i32 s4, s15, s17
	s_waitcnt vmcnt(32)
	v_wmma_f32_16x16x16_bf16 v[186:193], v[17:24], v[41:48], v[129:136]
	s_waitcnt vmcnt(30)
	v_wmma_f32_16x16x16_bf16 v[129:136], v[33:40], v[41:48], v[129:136]
	v_add_co_u32 v33, vcc_lo, v200, s38
	v_add_co_ci_u32_e32 v34, vcc_lo, s39, v201, vcc_lo
	s_clause 0x5
	global_load_b128 v[49:52], v[194:195], off
	global_load_b128 v[53:56], v[194:195], off offset:16
	global_load_b128 v[41:44], v[196:197], off
	global_load_b128 v[45:48], v[196:197], off offset:16
	global_load_b128 v[17:20], v[198:199], off
	global_load_b128 v[21:24], v[198:199], off offset:16
	s_waitcnt vmcnt(34)
	v_wmma_f32_16x16x16_bf16 v[186:193], v[1:8], v[170:177], v[186:193]
	s_clause 0x1
	global_load_b128 v[1:4], v[33:34], off
	global_load_b128 v[5:8], v[33:34], off offset:16
	v_add_co_u32 v33, vcc_lo, v200, s2
	v_add_co_ci_u32_e32 v34, vcc_lo, s3, v201, vcc_lo
	s_lshl_b64 s[2:3], s[4:5], 1
	s_mul_hi_i32 s5, s16, s17
	s_mul_i32 s4, s16, s17
	v_add_co_u32 v37, vcc_lo, v200, s2
	v_add_co_ci_u32_e32 v38, vcc_lo, s3, v201, vcc_lo
	s_lshl_b64 s[2:3], s[4:5], 1
	s_waitcnt vmcnt(34)
	v_wmma_f32_16x16x16_bf16 v[129:136], v[25:32], v[170:177], v[129:136]
	v_add_co_u32 v170, vcc_lo, v200, s2
	v_add_co_ci_u32_e32 v171, vcc_lo, s3, v201, vcc_lo
	s_clause 0x3
	global_load_b128 v[25:28], v[33:34], off
	global_load_b128 v[29:32], v[33:34], off offset:16
	global_load_b128 v[33:36], v[37:38], off
	global_load_b128 v[37:40], v[37:38], off offset:16
	s_waitcnt vmcnt(36)
	v_wmma_f32_16x16x16_bf16 v[186:193], v[9:16], v[178:185], v[186:193]
	s_clause 0x1
	global_load_b128 v[9:12], v[170:171], off
	global_load_b128 v[13:16], v[170:171], off offset:16
	s_waitcnt vmcnt(36)
	v_wmma_f32_16x16x16_bf16 v[129:136], v[146:153], v[178:185], v[129:136]
	ds_load_b128 v[146:149], v145 offset:6144
	ds_load_b128 v[150:153], v145 offset:7168
	v_and_b32_e32 v170, 0xe0, v0
	v_mbcnt_lo_u32_b32 v171, -1, 0
	s_waitcnt vmcnt(0) lgkmcnt(0)
	s_barrier
	buffer_gl0_inv
	v_add_nc_u32_e32 v170, s33, v170
	v_xor_b32_e32 v145, 16, v171
	s_delay_alu instid0(VALU_DEP_2) | instskip(NEXT) | instid1(VALU_DEP_2)
	v_or_b32_e32 v170, v170, v141
	v_cmp_gt_i32_e32 vcc_lo, 32, v145
	s_delay_alu instid0(VALU_DEP_2)
	v_or_b32_e32 v172, 4, v170
	v_or_b32_e32 v173, 6, v170
	;; [unrolled: 1-line block ×4, first 2 shown]
	v_wmma_f32_16x16x16_bf16 v[186:193], v[154:161], v[146:153], v[186:193]
	v_wmma_f32_16x16x16_bf16 v[129:136], v[162:169], v[146:153], v[129:136]
	v_cndmask_b32_e32 v145, v171, v145, vcc_lo
	v_or_b32_e32 v171, 2, v170
	v_cmp_gt_i32_e32 vcc_lo, s28, v170
	v_mul_f32_e32 v152, s34, v187
	v_dual_mul_f32 v158, s34, v135 :: v_dual_mul_f32 v153, s34, v186
	s_delay_alu instid0(VALU_DEP_4) | instskip(SKIP_2) | instid1(VALU_DEP_4)
	v_cmp_gt_i32_e64 s2, s28, v171
	v_dual_mul_f32 v150, s34, v189 :: v_dual_mul_f32 v151, s34, v188
	v_mul_f32_e32 v164, s34, v129
	v_cndmask_b32_e32 v153, 0xff7fffff, v153, vcc_lo
	s_delay_alu instid0(VALU_DEP_4)
	v_cndmask_b32_e64 v152, 0xff7fffff, v152, s2
	v_cmp_gt_i32_e64 s3, s28, v172
	v_cmp_gt_i32_e64 s4, s28, v173
	v_or_b32_e32 v176, 12, v170
	v_or_b32_e32 v177, 14, v170
	v_dual_mul_f32 v148, s34, v191 :: v_dual_mul_f32 v149, s34, v190
	v_mul_f32_e32 v162, s34, v131
	v_cndmask_b32_e64 v151, 0xff7fffff, v151, s3
	v_cndmask_b32_e64 v150, 0xff7fffff, v150, s4
	v_max3_f32 v152, v153, 0xff7fffff, v152
	v_cmp_gt_i32_e64 s5, s28, v174
	v_cmp_gt_i32_e64 s6, s28, v175
	v_or_b32_e32 v178, 16, v170
	v_or_b32_e32 v179, 18, v170
	v_dual_mul_f32 v146, s34, v193 :: v_dual_mul_f32 v147, s34, v192
	v_mul_f32_e32 v160, s34, v133
	v_cndmask_b32_e64 v149, 0xff7fffff, v149, s5
	v_cndmask_b32_e64 v148, 0xff7fffff, v148, s6
	v_max3_f32 v150, v152, v151, v150
	v_cmp_gt_i32_e64 s7, s28, v176
	v_cmp_gt_i32_e64 s8, s28, v177
	v_or_b32_e32 v180, 20, v170
	v_or_b32_e32 v181, 22, v170
	v_mul_f32_e32 v163, s34, v130
	v_cndmask_b32_e64 v147, 0xff7fffff, v147, s7
	v_cndmask_b32_e64 v146, 0xff7fffff, v146, s8
	v_max3_f32 v148, v150, v149, v148
	v_cmp_gt_i32_e64 s9, s28, v178
	v_cmp_gt_i32_e64 s10, s28, v179
	v_or_b32_e32 v182, 24, v170
	v_or_b32_e32 v154, 26, v170
	v_mul_f32_e32 v161, s34, v132
	v_cndmask_b32_e64 v149, 0xff7fffff, v164, s9
	v_cndmask_b32_e64 v150, 0xff7fffff, v163, s10
	v_max3_f32 v146, v148, v147, v146
	v_cmp_gt_i32_e64 s11, s28, v180
	v_cmp_gt_i32_e64 s12, s28, v181
	v_or_b32_e32 v155, 28, v170
	v_or_b32_e32 v156, 30, v170
	v_mul_f32_e32 v159, s34, v134
	v_cndmask_b32_e64 v147, 0xff7fffff, v162, s11
	v_cndmask_b32_e64 v148, 0xff7fffff, v161, s12
	v_max3_f32 v146, v146, v149, v150
	v_cmp_gt_i32_e64 s13, s28, v182
	v_cmp_gt_i32_e64 s15, s28, v154
	v_mul_f32_e32 v157, s34, v136
	v_cmp_gt_i32_e64 s16, s28, v155
	v_max3_f32 v146, v146, v147, v148
	v_cndmask_b32_e64 v149, 0xff7fffff, v160, s13
	v_cndmask_b32_e64 v150, 0xff7fffff, v159, s15
	v_cmp_gt_i32_e64 s17, s28, v156
	v_cndmask_b32_e64 v147, 0xff7fffff, v158, s16
	v_lshlrev_b32_e32 v156, 2, v145
	s_delay_alu instid0(VALU_DEP_4) | instskip(NEXT) | instid1(VALU_DEP_4)
	v_max3_f32 v146, v146, v149, v150
	v_cndmask_b32_e64 v148, 0xff7fffff, v157, s17
	s_delay_alu instid0(VALU_DEP_1) | instskip(SKIP_3) | instid1(VALU_DEP_1)
	v_max3_f32 v145, v146, v147, v148
	ds_bpermute_b32 v146, v156, v145
	s_waitcnt lgkmcnt(0)
	v_max_f32_e32 v146, v146, v146
	v_max_f32_e32 v155, v145, v146
	s_delay_alu instid0(VALU_DEP_1) | instskip(NEXT) | instid1(VALU_DEP_1)
	v_fma_f32 v152, s34, v192, -v155
	v_mul_f32_e32 v152, 0x3fb8aa3b, v152
	v_fma_f32 v149, s34, v190, -v155
	v_fma_f32 v145, s34, v186, -v155
	;; [unrolled: 1-line block ×4, first 2 shown]
	v_exp_f32_e32 v154, v152
	v_mul_f32_e32 v149, 0x3fb8aa3b, v149
	v_fma_f32 v130, s34, v130, -v155
	v_mul_f32_e32 v146, 0x3fb8aa3b, v146
	v_mul_f32_e32 v148, 0x3fb8aa3b, v148
	v_fma_f32 v147, s34, v188, -v155
	v_exp_f32_e32 v153, v149
	v_mul_f32_e32 v130, 0x3fb8aa3b, v130
	v_exp_f32_e32 v146, v146
	v_exp_f32_e32 v151, v148
	v_fma_f32 v150, s34, v191, -v155
	v_fma_f32 v129, s34, v129, -v155
	;; [unrolled: 1-line block ×4, first 2 shown]
	v_exp_f32_e32 v130, v130
	v_mul_f32_e32 v150, 0x3fb8aa3b, v150
	v_cndmask_b32_e64 v152, 0, v153, s5
	v_mul_f32_e32 v145, 0x3fb8aa3b, v145
	v_cndmask_b32_e64 v148, 0, v146, s2
	v_cndmask_b32_e64 v151, 0, v151, s4
	v_exp_f32_e32 v150, v150
	v_dual_mul_f32 v129, 0x3fb8aa3b, v129 :: v_dual_mul_f32 v132, 0x3fb8aa3b, v132
	v_exp_f32_e32 v145, v145
	v_fma_f32 v134, s34, v134, -v155
	v_mul_f32_e32 v131, 0x3fb8aa3b, v131
	s_delay_alu instid0(VALU_DEP_3) | instskip(SKIP_3) | instid1(TRANS32_DEP_3)
	v_exp_f32_e32 v129, v129
	v_fma_f32 v133, s34, v133, -v155
	v_fma_f32 v136, s34, v136, -v155
	v_mul_f32_e32 v134, 0x3fb8aa3b, v134
	v_cndmask_b32_e64 v153, 0, v150, s6
	v_cndmask_b32_e64 v150, 0, v154, s7
	s_mov_b32 s2, exec_lo
	v_cndmask_b32_e32 v145, 0, v145, vcc_lo
	s_delay_alu instid0(VALU_DEP_1) | instskip(NEXT) | instid1(VALU_DEP_1)
	v_add_f32_e32 v146, 0, v145
	v_dual_add_f32 v146, v146, v148 :: v_dual_mul_f32 v147, 0x3fb8aa3b, v147
	s_delay_alu instid0(VALU_DEP_1) | instskip(SKIP_3) | instid1(VALU_DEP_2)
	v_exp_f32_e32 v147, v147
	s_waitcnt_depctr 0xfff
	v_cndmask_b32_e64 v149, 0, v147, s3
	v_fma_f32 v147, s34, v193, -v155
	v_add_f32_e32 v146, v146, v149
	s_delay_alu instid0(VALU_DEP_1) | instskip(NEXT) | instid1(VALU_DEP_1)
	v_add_f32_e32 v146, v146, v151
	v_dual_add_f32 v146, v146, v152 :: v_dual_mul_f32 v147, 0x3fb8aa3b, v147
	s_delay_alu instid0(VALU_DEP_1) | instskip(NEXT) | instid1(VALU_DEP_2)
	v_add_f32_e32 v146, v146, v153
	v_exp_f32_e32 v147, v147
	s_delay_alu instid0(VALU_DEP_1) | instskip(SKIP_4) | instid1(VALU_DEP_2)
	v_add_f32_e32 v146, v146, v150
	s_waitcnt_depctr 0xfff
	v_cndmask_b32_e64 v154, 0, v147, s8
	v_exp_f32_e32 v147, v131
	v_cndmask_b32_e64 v131, 0, v129, s9
	v_add_f32_e32 v129, v146, v154
	v_exp_f32_e32 v146, v132
	v_cndmask_b32_e64 v132, 0, v130, s10
	v_fma_f32 v130, s34, v135, -v155
	s_delay_alu instid0(VALU_DEP_1) | instskip(NEXT) | instid1(VALU_DEP_1)
	v_dual_mul_f32 v133, 0x3fb8aa3b, v133 :: v_dual_mul_f32 v130, 0x3fb8aa3b, v130
	v_exp_f32_e32 v135, v133
	s_delay_alu instid0(TRANS32_DEP_3) | instskip(SKIP_1) | instid1(TRANS32_DEP_3)
	v_cndmask_b32_e64 v133, 0, v147, s11
	v_exp_f32_e32 v147, v134
	v_cndmask_b32_e64 v134, 0, v146, s12
	v_dual_mul_f32 v146, 0x3fb8aa3b, v136 :: v_dual_add_f32 v129, v129, v131
	v_exp_f32_e32 v130, v130
	s_delay_alu instid0(VALU_DEP_1) | instskip(NEXT) | instid1(TRANS32_DEP_3)
	v_add_f32_e32 v129, v129, v132
	v_cndmask_b32_e64 v135, 0, v135, s13
	s_waitcnt_depctr 0xfff
	v_cndmask_b32_e64 v136, 0, v147, s15
	v_exp_f32_e32 v147, v146
	v_add_f32_e32 v129, v129, v133
	v_cndmask_b32_e64 v146, 0, v130, s16
	s_delay_alu instid0(VALU_DEP_2) | instskip(SKIP_3) | instid1(VALU_DEP_1)
	v_add_f32_e32 v129, v129, v134
	s_waitcnt_depctr 0xfff
	v_cndmask_b32_e64 v147, 0, v147, s17
	v_add_f32_e32 v129, v129, v135
	v_add_f32_e32 v129, v129, v136
	s_delay_alu instid0(VALU_DEP_1) | instskip(NEXT) | instid1(VALU_DEP_1)
	v_add_f32_e32 v129, v129, v146
	v_add_f32_e32 v129, v129, v147
	ds_bpermute_b32 v130, v156, v129
	v_cmpx_gt_u32_e32 16, v143
	s_cbranch_execz .LBB411_12
; %bb.11:
	v_mul_u32_u24_e32 v143, 0x44, v144
	s_delay_alu instid0(VALU_DEP_1) | instskip(SKIP_1) | instid1(VALU_DEP_1)
	v_lshl_add_u32 v143, v142, 2, v143
	s_waitcnt lgkmcnt(0)
	v_dual_add_f32 v129, v129, v130 :: v_dual_add_nc_u32 v130, 0x4000, v143
	ds_store_2addr_b32 v130, v155, v129 offset1:136
.LBB411_12:
	s_or_b32 exec_lo, exec_lo, s2
	v_lshlrev_b32_e32 v129, 2, v142
	s_waitcnt lgkmcnt(0)
	s_barrier
	buffer_gl0_inv
	v_cmp_eq_u32_e32 vcc_lo, 1, v144
	v_add_nc_u32_e32 v143, 0x4000, v129
	v_cmp_eq_u32_e64 s2, 2, v144
	v_cmp_eq_u32_e64 s4, 7, v144
	ds_load_2addr_b32 v[155:156], v143 offset1:17
	ds_load_2addr_b32 v[157:158], v143 offset0:34 offset1:51
	ds_load_2addr_b32 v[159:160], v143 offset0:68 offset1:85
	ds_load_2addr_b32 v[161:162], v143 offset0:102 offset1:119
	ds_load_2addr_b32 v[163:164], v143 offset0:136 offset1:153
	s_waitcnt lgkmcnt(4)
	v_max3_f32 v129, v155, 0xff7fffff, v156
	s_waitcnt lgkmcnt(3)
	s_delay_alu instid0(VALU_DEP_1) | instskip(SKIP_1) | instid1(VALU_DEP_1)
	v_max3_f32 v129, v129, v157, v158
	s_waitcnt lgkmcnt(2)
	v_max3_f32 v129, v129, v159, v160
	s_waitcnt lgkmcnt(1)
	s_delay_alu instid0(VALU_DEP_1) | instskip(NEXT) | instid1(VALU_DEP_1)
	v_max3_f32 v129, v129, v161, v162
	v_sub_f32_e32 v159, v159, v129
	s_delay_alu instid0(VALU_DEP_1) | instskip(NEXT) | instid1(VALU_DEP_1)
	v_dual_sub_f32 v130, v155, v129 :: v_dual_mul_f32 v169, 0x3fb8aa3b, v159
	v_dual_sub_f32 v165, v156, v129 :: v_dual_mul_f32 v130, 0x3fb8aa3b, v130
	ds_load_2addr_b32 v[155:156], v143 offset0:170 offset1:187
	v_exp_f32_e32 v166, v130
	v_sub_f32_e32 v130, v158, v129
	s_delay_alu instid0(VALU_DEP_1) | instskip(NEXT) | instid1(VALU_DEP_1)
	v_dual_sub_f32 v157, v157, v129 :: v_dual_mul_f32 v168, 0x3fb8aa3b, v130
	v_mul_f32_e32 v167, 0x3fb8aa3b, v157
	s_waitcnt lgkmcnt(1)
	s_waitcnt_depctr 0xfff
	v_fma_f32 v130, v166, v163, 0
	v_exp_f32_e32 v168, v168
	v_mul_f32_e32 v165, 0x3fb8aa3b, v165
	v_exp_f32_e32 v167, v167
	v_sub_f32_e32 v163, v160, v129
	s_delay_alu instid0(VALU_DEP_2) | instskip(SKIP_3) | instid1(VALU_DEP_1)
	v_exp_f32_e32 v165, v165
	s_waitcnt_depctr 0xfff
	v_fmac_f32_e32 v130, v165, v164
	s_waitcnt lgkmcnt(0)
	v_fmac_f32_e32 v130, v167, v155
	ds_load_2addr_b32 v[157:158], v143 offset0:204 offset1:221
	v_sub_f32_e32 v155, v162, v129
	ds_load_2addr_b32 v[159:160], v143 offset0:238 offset1:255
	s_waitcnt lgkmcnt(0)
	v_fmac_f32_e32 v130, v168, v156
	s_barrier
	v_mul_f32_e32 v155, 0x3fb8aa3b, v155
	buffer_gl0_inv
	v_exp_f32_e32 v155, v155
	v_sub_f32_e32 v143, v161, v129
	v_mul_f32_e32 v161, 0x3fb8aa3b, v163
	v_exp_f32_e32 v163, v169
	s_delay_alu instid0(VALU_DEP_2) | instskip(NEXT) | instid1(VALU_DEP_2)
	v_mul_f32_e32 v143, 0x3fb8aa3b, v143
	v_exp_f32_e32 v161, v161
	s_waitcnt_depctr 0xfff
	v_fmac_f32_e32 v130, v163, v157
	v_exp_f32_e32 v143, v143
	s_delay_alu instid0(VALU_DEP_1) | instskip(SKIP_2) | instid1(VALU_DEP_1)
	v_fmac_f32_e32 v130, v161, v158
	s_waitcnt_depctr 0xfff
	v_fmac_f32_e32 v130, v143, v159
	v_fmac_f32_e32 v130, v155, v160
	s_delay_alu instid0(VALU_DEP_1) | instskip(NEXT) | instid1(VALU_DEP_1)
	v_add_f32_e32 v156, 0x358637bd, v130
	v_div_scale_f32 v157, null, v156, v156, 1.0
	v_div_scale_f32 v160, s3, 1.0, v156, 1.0
	s_delay_alu instid0(VALU_DEP_2) | instskip(SKIP_2) | instid1(VALU_DEP_1)
	v_rcp_f32_e32 v158, v157
	s_waitcnt_depctr 0xfff
	v_fma_f32 v159, -v157, v158, 1.0
	v_fmac_f32_e32 v158, v159, v158
	s_delay_alu instid0(VALU_DEP_1) | instskip(NEXT) | instid1(VALU_DEP_1)
	v_mul_f32_e32 v162, v160, v158
	v_fma_f32 v164, -v157, v162, v160
	v_cndmask_b32_e32 v159, v166, v165, vcc_lo
	v_cmp_eq_u32_e32 vcc_lo, 3, v144
	s_delay_alu instid0(VALU_DEP_3) | instskip(NEXT) | instid1(VALU_DEP_3)
	v_fmac_f32_e32 v162, v164, v158
	v_cndmask_b32_e64 v159, v159, v167, s2
	v_cmp_eq_u32_e64 s2, 4, v144
	s_delay_alu instid0(VALU_DEP_3) | instskip(NEXT) | instid1(VALU_DEP_3)
	v_fma_f32 v157, -v157, v162, v160
	v_cndmask_b32_e32 v159, v159, v168, vcc_lo
	v_cmp_eq_u32_e32 vcc_lo, 5, v144
	s_delay_alu instid0(VALU_DEP_2) | instskip(SKIP_1) | instid1(VALU_DEP_2)
	v_cndmask_b32_e64 v159, v159, v163, s2
	v_cmp_eq_u32_e64 s2, 6, v144
	v_cndmask_b32_e32 v159, v159, v161, vcc_lo
	s_mov_b32 vcc_lo, s3
	v_div_fmas_f32 v157, v157, v158, v162
	s_delay_alu instid0(VALU_DEP_2) | instskip(SKIP_1) | instid1(VALU_DEP_2)
	v_cndmask_b32_e64 v143, v159, v143, s2
	s_mov_b32 s2, exec_lo
	v_div_fixup_f32 v156, v157, v156, 1.0
	s_delay_alu instid0(VALU_DEP_2) | instskip(NEXT) | instid1(VALU_DEP_1)
	v_cndmask_b32_e64 v143, v143, v155, s4
	v_mul_f32_e32 v143, v143, v156
	s_delay_alu instid0(VALU_DEP_1)
	v_mul_f32_e32 v156, v143, v145
	v_mul_f32_e32 v145, v143, v154
	v_mul_f32_e32 v150, v143, v150
	v_mul_f32_e32 v153, v143, v153
	v_mul_f32_e32 v154, v143, v152
	v_and_b32_e32 v157, 0x7f800000, v156
	v_mul_f32_e32 v155, v143, v151
	v_mul_f32_e32 v152, v143, v149
	v_mul_f32_e32 v151, v143, v148
                                        ; implicit-def: $vgpr148
	s_delay_alu instid0(VALU_DEP_4)
	v_cmpx_ne_u32_e32 0x7f800000, v157
	s_xor_b32 s2, exec_lo, s2
; %bb.13:
	v_bfe_u32 v148, v156, 16, 1
	s_delay_alu instid0(VALU_DEP_1)
	v_add3_u32 v148, v156, v148, 0x7fff
                                        ; implicit-def: $vgpr156
; %bb.14:
	s_and_not1_saveexec_b32 s2, s2
; %bb.15:
	v_and_b32_e32 v148, 0xffff, v156
	v_or_b32_e32 v149, 0x10000, v156
	s_delay_alu instid0(VALU_DEP_2) | instskip(NEXT) | instid1(VALU_DEP_2)
	v_cmp_eq_u32_e32 vcc_lo, 0, v148
	v_cndmask_b32_e32 v148, v149, v156, vcc_lo
; %bb.16:
	s_or_b32 exec_lo, exec_lo, s2
	v_and_b32_e32 v149, 0x7f800000, v151
	s_delay_alu instid0(VALU_DEP_1) | instskip(SKIP_1) | instid1(SALU_CYCLE_1)
	v_cmp_ne_u32_e32 vcc_lo, 0x7f800000, v149
                                        ; implicit-def: $vgpr149
	s_and_saveexec_b32 s2, vcc_lo
	s_xor_b32 s2, exec_lo, s2
; %bb.17:
	v_bfe_u32 v149, v151, 16, 1
	s_delay_alu instid0(VALU_DEP_1)
	v_add3_u32 v149, v151, v149, 0x7fff
                                        ; implicit-def: $vgpr151
; %bb.18:
	s_and_not1_saveexec_b32 s2, s2
; %bb.19:
	v_and_b32_e32 v149, 0xffff, v151
	v_or_b32_e32 v156, 0x10000, v151
	s_delay_alu instid0(VALU_DEP_2) | instskip(NEXT) | instid1(VALU_DEP_2)
	v_cmp_eq_u32_e32 vcc_lo, 0, v149
	v_cndmask_b32_e32 v149, v156, v151, vcc_lo
; %bb.20:
	s_or_b32 exec_lo, exec_lo, s2
	v_and_b32_e32 v151, 0x7f800000, v152
	s_delay_alu instid0(VALU_DEP_1) | instskip(SKIP_1) | instid1(SALU_CYCLE_1)
	v_cmp_ne_u32_e32 vcc_lo, 0x7f800000, v151
                                        ; implicit-def: $vgpr151
	s_and_saveexec_b32 s2, vcc_lo
	s_xor_b32 s2, exec_lo, s2
; %bb.21:
	v_bfe_u32 v151, v152, 16, 1
	s_delay_alu instid0(VALU_DEP_1)
	v_add3_u32 v151, v152, v151, 0x7fff
                                        ; implicit-def: $vgpr152
; %bb.22:
	s_and_not1_saveexec_b32 s2, s2
; %bb.23:
	v_and_b32_e32 v151, 0xffff, v152
	v_or_b32_e32 v156, 0x10000, v152
	s_delay_alu instid0(VALU_DEP_2) | instskip(NEXT) | instid1(VALU_DEP_2)
	v_cmp_eq_u32_e32 vcc_lo, 0, v151
	v_cndmask_b32_e32 v151, v156, v152, vcc_lo
; %bb.24:
	s_or_b32 exec_lo, exec_lo, s2
	v_and_b32_e32 v152, 0x7f800000, v155
	s_delay_alu instid0(VALU_DEP_1) | instskip(SKIP_1) | instid1(SALU_CYCLE_1)
	v_cmp_ne_u32_e32 vcc_lo, 0x7f800000, v152
                                        ; implicit-def: $vgpr152
	s_and_saveexec_b32 s2, vcc_lo
	s_xor_b32 s2, exec_lo, s2
; %bb.25:
	v_bfe_u32 v152, v155, 16, 1
	s_delay_alu instid0(VALU_DEP_1)
	v_add3_u32 v152, v155, v152, 0x7fff
                                        ; implicit-def: $vgpr155
; %bb.26:
	s_and_not1_saveexec_b32 s2, s2
; %bb.27:
	v_and_b32_e32 v152, 0xffff, v155
	v_or_b32_e32 v156, 0x10000, v155
	s_delay_alu instid0(VALU_DEP_2) | instskip(NEXT) | instid1(VALU_DEP_2)
	v_cmp_eq_u32_e32 vcc_lo, 0, v152
	v_cndmask_b32_e32 v152, v156, v155, vcc_lo
; %bb.28:
	s_or_b32 exec_lo, exec_lo, s2
	v_and_b32_e32 v155, 0x7f800000, v154
	s_delay_alu instid0(VALU_DEP_1) | instskip(SKIP_1) | instid1(SALU_CYCLE_1)
	v_cmp_ne_u32_e32 vcc_lo, 0x7f800000, v155
                                        ; implicit-def: $vgpr155
	s_and_saveexec_b32 s2, vcc_lo
	s_xor_b32 s2, exec_lo, s2
; %bb.29:
	v_bfe_u32 v155, v154, 16, 1
	s_delay_alu instid0(VALU_DEP_1)
	v_add3_u32 v155, v154, v155, 0x7fff
                                        ; implicit-def: $vgpr154
; %bb.30:
	s_and_not1_saveexec_b32 s2, s2
; %bb.31:
	v_and_b32_e32 v155, 0xffff, v154
	v_or_b32_e32 v156, 0x10000, v154
	s_delay_alu instid0(VALU_DEP_2) | instskip(NEXT) | instid1(VALU_DEP_2)
	v_cmp_eq_u32_e32 vcc_lo, 0, v155
	v_cndmask_b32_e32 v155, v156, v154, vcc_lo
; %bb.32:
	s_or_b32 exec_lo, exec_lo, s2
	v_and_b32_e32 v154, 0x7f800000, v153
	s_delay_alu instid0(VALU_DEP_1) | instskip(SKIP_1) | instid1(SALU_CYCLE_1)
	v_cmp_ne_u32_e32 vcc_lo, 0x7f800000, v154
                                        ; implicit-def: $vgpr154
	s_and_saveexec_b32 s2, vcc_lo
	s_xor_b32 s2, exec_lo, s2
; %bb.33:
	v_bfe_u32 v154, v153, 16, 1
	s_delay_alu instid0(VALU_DEP_1)
	v_add3_u32 v154, v153, v154, 0x7fff
                                        ; implicit-def: $vgpr153
; %bb.34:
	s_and_not1_saveexec_b32 s2, s2
; %bb.35:
	v_and_b32_e32 v154, 0xffff, v153
	v_or_b32_e32 v156, 0x10000, v153
	s_delay_alu instid0(VALU_DEP_2) | instskip(NEXT) | instid1(VALU_DEP_2)
	v_cmp_eq_u32_e32 vcc_lo, 0, v154
	v_cndmask_b32_e32 v154, v156, v153, vcc_lo
; %bb.36:
	s_or_b32 exec_lo, exec_lo, s2
	v_and_b32_e32 v153, 0x7f800000, v150
	s_delay_alu instid0(VALU_DEP_1) | instskip(SKIP_1) | instid1(SALU_CYCLE_1)
	v_cmp_ne_u32_e32 vcc_lo, 0x7f800000, v153
                                        ; implicit-def: $vgpr153
	s_and_saveexec_b32 s2, vcc_lo
	s_xor_b32 s2, exec_lo, s2
; %bb.37:
	v_bfe_u32 v153, v150, 16, 1
	s_delay_alu instid0(VALU_DEP_1)
	v_add3_u32 v153, v150, v153, 0x7fff
                                        ; implicit-def: $vgpr150
; %bb.38:
	s_and_not1_saveexec_b32 s2, s2
; %bb.39:
	v_and_b32_e32 v153, 0xffff, v150
	v_or_b32_e32 v156, 0x10000, v150
	s_delay_alu instid0(VALU_DEP_2) | instskip(NEXT) | instid1(VALU_DEP_2)
	v_cmp_eq_u32_e32 vcc_lo, 0, v153
	v_cndmask_b32_e32 v153, v156, v150, vcc_lo
; %bb.40:
	s_or_b32 exec_lo, exec_lo, s2
	v_and_b32_e32 v150, 0x7f800000, v145
	s_delay_alu instid0(VALU_DEP_1) | instskip(SKIP_1) | instid1(SALU_CYCLE_1)
	v_cmp_ne_u32_e32 vcc_lo, 0x7f800000, v150
                                        ; implicit-def: $vgpr150
	s_and_saveexec_b32 s2, vcc_lo
	s_xor_b32 s2, exec_lo, s2
; %bb.41:
	v_bfe_u32 v150, v145, 16, 1
	s_delay_alu instid0(VALU_DEP_1)
	v_add3_u32 v150, v145, v150, 0x7fff
                                        ; implicit-def: $vgpr145
; %bb.42:
	s_and_not1_saveexec_b32 s2, s2
; %bb.43:
	v_and_b32_e32 v150, 0xffff, v145
	v_or_b32_e32 v156, 0x10000, v145
	s_delay_alu instid0(VALU_DEP_2) | instskip(NEXT) | instid1(VALU_DEP_2)
	v_cmp_eq_u32_e32 vcc_lo, 0, v150
	v_cndmask_b32_e32 v150, v156, v145, vcc_lo
; %bb.44:
	s_or_b32 exec_lo, exec_lo, s2
	s_load_b64 s[34:35], s[0:1], 0x94
	v_lshlrev_b32_e32 v157, 4, v141
	s_delay_alu instid0(VALU_DEP_2)
	v_perm_b32 v156, v150, v153, 0x7060302
	v_dual_mul_f32 v136, v143, v136 :: v_dual_lshlrev_b32 v145, 6, v142
	v_lshlrev_b32_e32 v142, 11, v144
	v_perm_b32 v153, v149, v148, 0x7060302
	v_mul_f32_e32 v149, v143, v131
	v_perm_b32 v155, v154, v155, 0x7060302
	v_perm_b32 v154, v152, v151, 0x7060302
	v_or3_b32 v131, v157, v142, v145
	v_mul_f32_e32 v142, v143, v147
	v_mul_f32_e32 v146, v143, v146
	v_dual_mul_f32 v135, v143, v135 :: v_dual_and_b32 v150, 0x7f800000, v149
	v_mul_f32_e32 v147, v143, v134
	v_mul_f32_e32 v148, v143, v133
	;; [unrolled: 1-line block ×3, first 2 shown]
	s_mov_b32 s2, exec_lo
	ds_store_b128 v131, v[153:156]
                                        ; implicit-def: $vgpr132
	v_cmpx_ne_u32_e32 0x7f800000, v150
	s_xor_b32 s2, exec_lo, s2
; %bb.45:
	v_bfe_u32 v132, v149, 16, 1
	s_delay_alu instid0(VALU_DEP_1)
	v_add3_u32 v132, v149, v132, 0x7fff
                                        ; implicit-def: $vgpr149
; %bb.46:
	s_and_not1_saveexec_b32 s2, s2
; %bb.47:
	v_and_b32_e32 v132, 0xffff, v149
	v_or_b32_e32 v133, 0x10000, v149
	s_delay_alu instid0(VALU_DEP_2) | instskip(NEXT) | instid1(VALU_DEP_2)
	v_cmp_eq_u32_e32 vcc_lo, 0, v132
	v_cndmask_b32_e32 v132, v133, v149, vcc_lo
; %bb.48:
	s_or_b32 exec_lo, exec_lo, s2
	v_and_b32_e32 v133, 0x7f800000, v134
	s_delay_alu instid0(VALU_DEP_1) | instskip(SKIP_1) | instid1(SALU_CYCLE_1)
	v_cmp_ne_u32_e32 vcc_lo, 0x7f800000, v133
                                        ; implicit-def: $vgpr133
	s_and_saveexec_b32 s2, vcc_lo
	s_xor_b32 s2, exec_lo, s2
; %bb.49:
	v_bfe_u32 v133, v134, 16, 1
	s_delay_alu instid0(VALU_DEP_1)
	v_add3_u32 v133, v134, v133, 0x7fff
                                        ; implicit-def: $vgpr134
; %bb.50:
	s_and_not1_saveexec_b32 s2, s2
; %bb.51:
	v_and_b32_e32 v133, 0xffff, v134
	v_or_b32_e32 v143, 0x10000, v134
	s_delay_alu instid0(VALU_DEP_2) | instskip(NEXT) | instid1(VALU_DEP_2)
	v_cmp_eq_u32_e32 vcc_lo, 0, v133
	v_cndmask_b32_e32 v133, v143, v134, vcc_lo
; %bb.52:
	s_or_b32 exec_lo, exec_lo, s2
	v_and_b32_e32 v134, 0x7f800000, v148
	s_delay_alu instid0(VALU_DEP_1) | instskip(SKIP_1) | instid1(SALU_CYCLE_1)
	v_cmp_ne_u32_e32 vcc_lo, 0x7f800000, v134
                                        ; implicit-def: $vgpr134
	s_and_saveexec_b32 s2, vcc_lo
	s_xor_b32 s2, exec_lo, s2
; %bb.53:
	v_bfe_u32 v134, v148, 16, 1
	s_delay_alu instid0(VALU_DEP_1)
	v_add3_u32 v134, v148, v134, 0x7fff
                                        ; implicit-def: $vgpr148
; %bb.54:
	s_and_not1_saveexec_b32 s2, s2
; %bb.55:
	v_and_b32_e32 v134, 0xffff, v148
	v_or_b32_e32 v143, 0x10000, v148
	s_delay_alu instid0(VALU_DEP_2) | instskip(NEXT) | instid1(VALU_DEP_2)
	v_cmp_eq_u32_e32 vcc_lo, 0, v134
	v_cndmask_b32_e32 v134, v143, v148, vcc_lo
; %bb.56:
	s_or_b32 exec_lo, exec_lo, s2
	v_and_b32_e32 v143, 0x7f800000, v147
	s_delay_alu instid0(VALU_DEP_1) | instskip(SKIP_1) | instid1(SALU_CYCLE_1)
	v_cmp_ne_u32_e32 vcc_lo, 0x7f800000, v143
                                        ; implicit-def: $vgpr143
	s_and_saveexec_b32 s2, vcc_lo
	s_xor_b32 s2, exec_lo, s2
; %bb.57:
	v_bfe_u32 v143, v147, 16, 1
	s_delay_alu instid0(VALU_DEP_1)
	v_add3_u32 v143, v147, v143, 0x7fff
                                        ; implicit-def: $vgpr147
; %bb.58:
	s_and_not1_saveexec_b32 s2, s2
; %bb.59:
	v_and_b32_e32 v143, 0xffff, v147
	v_or_b32_e32 v148, 0x10000, v147
	s_delay_alu instid0(VALU_DEP_2) | instskip(NEXT) | instid1(VALU_DEP_2)
	v_cmp_eq_u32_e32 vcc_lo, 0, v143
	v_cndmask_b32_e32 v143, v148, v147, vcc_lo
; %bb.60:
	s_or_b32 exec_lo, exec_lo, s2
	v_and_b32_e32 v147, 0x7f800000, v135
	s_delay_alu instid0(VALU_DEP_1) | instskip(SKIP_1) | instid1(SALU_CYCLE_1)
	v_cmp_ne_u32_e32 vcc_lo, 0x7f800000, v147
                                        ; implicit-def: $vgpr147
	s_and_saveexec_b32 s2, vcc_lo
	s_xor_b32 s2, exec_lo, s2
; %bb.61:
	v_bfe_u32 v147, v135, 16, 1
	s_delay_alu instid0(VALU_DEP_1)
	v_add3_u32 v147, v135, v147, 0x7fff
                                        ; implicit-def: $vgpr135
; %bb.62:
	s_and_not1_saveexec_b32 s2, s2
; %bb.63:
	v_and_b32_e32 v147, 0xffff, v135
	v_or_b32_e32 v148, 0x10000, v135
	s_delay_alu instid0(VALU_DEP_2) | instskip(NEXT) | instid1(VALU_DEP_2)
	v_cmp_eq_u32_e32 vcc_lo, 0, v147
	v_cndmask_b32_e32 v147, v148, v135, vcc_lo
; %bb.64:
	s_or_b32 exec_lo, exec_lo, s2
	v_and_b32_e32 v135, 0x7f800000, v136
	s_delay_alu instid0(VALU_DEP_1) | instskip(SKIP_1) | instid1(SALU_CYCLE_1)
	v_cmp_ne_u32_e32 vcc_lo, 0x7f800000, v135
                                        ; implicit-def: $vgpr135
	s_and_saveexec_b32 s2, vcc_lo
	s_xor_b32 s2, exec_lo, s2
; %bb.65:
	v_bfe_u32 v135, v136, 16, 1
	s_delay_alu instid0(VALU_DEP_1)
	v_add3_u32 v135, v136, v135, 0x7fff
                                        ; implicit-def: $vgpr136
; %bb.66:
	s_and_not1_saveexec_b32 s2, s2
; %bb.67:
	v_and_b32_e32 v135, 0xffff, v136
	v_or_b32_e32 v148, 0x10000, v136
	s_delay_alu instid0(VALU_DEP_2) | instskip(NEXT) | instid1(VALU_DEP_2)
	v_cmp_eq_u32_e32 vcc_lo, 0, v135
	v_cndmask_b32_e32 v135, v148, v136, vcc_lo
; %bb.68:
	s_or_b32 exec_lo, exec_lo, s2
	v_and_b32_e32 v136, 0x7f800000, v146
	s_delay_alu instid0(VALU_DEP_1) | instskip(SKIP_1) | instid1(SALU_CYCLE_1)
	v_cmp_ne_u32_e32 vcc_lo, 0x7f800000, v136
                                        ; implicit-def: $vgpr136
	s_and_saveexec_b32 s2, vcc_lo
	s_xor_b32 s2, exec_lo, s2
; %bb.69:
	v_bfe_u32 v136, v146, 16, 1
	s_delay_alu instid0(VALU_DEP_1)
	v_add3_u32 v136, v146, v136, 0x7fff
                                        ; implicit-def: $vgpr146
; %bb.70:
	s_and_not1_saveexec_b32 s2, s2
; %bb.71:
	v_and_b32_e32 v136, 0xffff, v146
	v_or_b32_e32 v148, 0x10000, v146
	s_delay_alu instid0(VALU_DEP_2) | instskip(NEXT) | instid1(VALU_DEP_2)
	v_cmp_eq_u32_e32 vcc_lo, 0, v136
	v_cndmask_b32_e32 v136, v148, v146, vcc_lo
; %bb.72:
	s_or_b32 exec_lo, exec_lo, s2
	v_and_b32_e32 v146, 0x7f800000, v142
	s_delay_alu instid0(VALU_DEP_1) | instskip(SKIP_1) | instid1(SALU_CYCLE_1)
	v_cmp_ne_u32_e32 vcc_lo, 0x7f800000, v146
                                        ; implicit-def: $vgpr146
	s_and_saveexec_b32 s2, vcc_lo
	s_xor_b32 s2, exec_lo, s2
; %bb.73:
	v_bfe_u32 v146, v142, 16, 1
	s_delay_alu instid0(VALU_DEP_1)
	v_add3_u32 v146, v142, v146, 0x7fff
                                        ; implicit-def: $vgpr142
; %bb.74:
	s_and_not1_saveexec_b32 s2, s2
; %bb.75:
	v_and_b32_e32 v146, 0xffff, v142
	v_or_b32_e32 v148, 0x10000, v142
	s_delay_alu instid0(VALU_DEP_2) | instskip(NEXT) | instid1(VALU_DEP_2)
	v_cmp_eq_u32_e32 vcc_lo, 0, v146
	v_cndmask_b32_e32 v146, v148, v142, vcc_lo
; %bb.76:
	s_or_b32 exec_lo, exec_lo, s2
	s_delay_alu instid0(VALU_DEP_1)
	v_perm_b32 v136, v146, v136, 0x7060302
	v_perm_b32 v135, v135, v147, 0x7060302
	;; [unrolled: 1-line block ×4, first 2 shown]
	v_lshl_or_b32 v147, v144, 11, v145
	ds_store_b128 v131, v[133:136] offset:1024
	s_waitcnt lgkmcnt(0)
	s_barrier
	buffer_gl0_inv
	ds_load_b128 v[132:135], v147
	ds_load_b128 v[148:151], v147 offset:16
	s_waitcnt lgkmcnt(1)
	v_lshrrev_b32_e32 v136, 16, v132
	v_lshlrev_b32_e32 v143, 2, v141
	s_waitcnt lgkmcnt(0)
	v_lshrrev_b32_e32 v156, 16, v148
	v_lshrrev_b32_e32 v160, 16, v133
	;; [unrolled: 1-line block ×4, first 2 shown]
	v_cmp_eq_u32_e32 vcc_lo, 1, v143
	v_lshrrev_b32_e32 v164, 16, v150
	v_lshrrev_b32_e32 v162, 16, v135
	v_lshrrev_b32_e32 v165, 16, v151
	v_cndmask_b32_e32 v146, v132, v136, vcc_lo
	v_or_b32_e32 v144, 1, v143
	v_cmp_eq_u32_e64 s3, 2, v143
	v_cndmask_b32_e32 v152, v148, v156, vcc_lo
	v_cmp_eq_u32_e64 s6, 3, v143
	v_cmp_eq_u32_e64 s8, 4, v143
	;; [unrolled: 1-line block ×3, first 2 shown]
	v_cndmask_b32_e64 v146, v146, v133, s3
	v_cmp_eq_u32_e64 s5, 2, v144
	v_cndmask_b32_e64 v152, v152, v149, s3
	v_cmp_eq_u32_e64 s7, 3, v144
	v_cndmask_b32_e64 v153, v132, v136, s2
	v_cndmask_b32_e64 v146, v146, v160, s6
	v_or_b32_e32 v142, 2, v143
	v_cndmask_b32_e64 v152, v152, v163, s6
	v_cndmask_b32_e64 v154, v148, v156, s2
	;; [unrolled: 1-line block ×4, first 2 shown]
	v_cmp_eq_u32_e64 s9, 5, v143
	v_cndmask_b32_e64 v152, v152, v150, s8
	v_cmp_eq_u32_e64 s10, 4, v144
	v_cndmask_b32_e64 v153, v153, v160, s7
	;; [unrolled: 2-line block ×3, first 2 shown]
	v_cndmask_b32_e64 v146, v146, v161, s9
	v_cmp_eq_u32_e64 s11, 6, v143
	v_cndmask_b32_e64 v153, v153, v134, s10
	v_cndmask_b32_e64 v152, v152, v164, s9
	v_cmp_eq_u32_e64 s12, 5, v144
	v_cndmask_b32_e64 v155, v132, v136, s4
	v_cndmask_b32_e64 v154, v154, v163, s7
	;; [unrolled: 1-line block ×3, first 2 shown]
	v_cmp_eq_u32_e64 s13, 7, v143
	v_cndmask_b32_e64 v153, v153, v161, s12
	v_cndmask_b32_e64 v152, v152, v151, s11
	v_cmp_eq_u32_e64 s15, 6, v144
	v_cmp_eq_u32_e64 s16, 2, v142
	v_cndmask_b32_e64 v154, v154, v150, s10
	v_cndmask_b32_e64 v166, v146, v162, s13
	;; [unrolled: 1-line block ×6, first 2 shown]
	v_cmp_eq_u32_e64 s17, 7, v144
	v_cmp_eq_u32_e64 s18, 3, v142
	;; [unrolled: 1-line block ×4, first 2 shown]
	v_cndmask_b32_e64 v152, v152, v149, s16
	v_cndmask_b32_e64 v168, v153, v162, s17
	;; [unrolled: 1-line block ×4, first 2 shown]
	v_or_b32_e32 v146, 3, v143
	v_cndmask_b32_e64 v158, v152, v163, s18
	v_cmp_eq_u32_e64 s23, 6, v142
	v_cndmask_b32_e64 v169, v153, v151, s15
	v_cndmask_b32_e64 v157, v154, v134, s19
	v_cmp_eq_u32_e64 s20, 1, v146
	ds_load_b128 v[152:155], v147 offset:1024
	v_cmp_eq_u32_e64 s22, 2, v146
	v_cmp_eq_u32_e64 s24, 3, v146
	v_cndmask_b32_e64 v170, v157, v161, s21
	v_cndmask_b32_e64 v132, v132, v136, s20
	;; [unrolled: 1-line block ×4, first 2 shown]
	ds_load_b128 v[156:159], v147 offset:1040
	v_cmp_eq_u32_e64 s25, 4, v146
	v_cndmask_b32_e64 v132, v132, v133, s22
	v_cndmask_b32_e64 v133, v136, v164, s21
	;; [unrolled: 1-line block ×3, first 2 shown]
	v_cmp_eq_u32_e64 s27, 5, v146
	v_cndmask_b32_e64 v149, v170, v135, s23
	v_cndmask_b32_e64 v132, v132, v160, s24
	v_cmp_eq_u32_e64 s26, 7, v142
	v_cndmask_b32_e64 v136, v136, v163, s24
	v_cmp_eq_u32_e64 s28, 6, v146
	v_cndmask_b32_e64 v133, v133, v151, s23
	v_cndmask_b32_e64 v132, v132, v134, s25
	s_waitcnt lgkmcnt(1)
	v_lshrrev_b32_e32 v160, 16, v152
	v_cndmask_b32_e64 v134, v136, v150, s25
	v_cndmask_b32_e64 v136, v149, v162, s26
	;; [unrolled: 1-line block ×4, first 2 shown]
	v_lshrrev_b32_e32 v161, 16, v153
	v_cndmask_b32_e64 v134, v134, v164, s27
	s_waitcnt lgkmcnt(0)
	v_lshrrev_b32_e32 v150, 16, v156
	v_cndmask_b32_e64 v163, v152, v160, s2
	v_cndmask_b32_e64 v132, v132, v135, s28
	;; [unrolled: 1-line block ×4, first 2 shown]
	v_cndmask_b32_e32 v149, v152, v160, vcc_lo
	v_cndmask_b32_e32 v164, v156, v150, vcc_lo
	v_cmp_eq_u32_e32 vcc_lo, 7, v146
	s_delay_alu instid0(VALU_DEP_2)
	v_cndmask_b32_e64 v151, v164, v157, s3
	v_cndmask_b32_e32 v134, v134, v165, vcc_lo
	v_cndmask_b32_e64 v149, v149, v153, s3
	v_lshrrev_b32_e32 v164, 16, v154
	v_cndmask_b32_e32 v132, v132, v162, vcc_lo
	v_lshrrev_b32_e32 v165, 16, v158
	s_delay_alu instid0(VALU_DEP_4) | instskip(SKIP_2) | instid1(VALU_DEP_3)
	v_cndmask_b32_e64 v135, v149, v161, s6
	v_cndmask_b32_e64 v149, v163, v153, s5
	v_lshrrev_b32_e32 v163, 16, v157
	v_cndmask_b32_e64 v135, v135, v154, s8
	s_delay_alu instid0(VALU_DEP_3) | instskip(NEXT) | instid1(VALU_DEP_3)
	v_cndmask_b32_e64 v149, v149, v161, s7
	v_cndmask_b32_e64 v151, v151, v163, s6
	s_delay_alu instid0(VALU_DEP_3) | instskip(NEXT) | instid1(VALU_DEP_3)
	v_cndmask_b32_e64 v162, v135, v164, s9
	v_cndmask_b32_e64 v149, v149, v154, s10
	s_delay_alu instid0(VALU_DEP_3)
	v_cndmask_b32_e64 v151, v151, v158, s8
	v_perm_b32 v135, v134, v132, 0x5040100
	v_perm_b32 v134, v133, v136, 0x5040100
	;; [unrolled: 1-line block ×3, first 2 shown]
	v_cndmask_b32_e64 v132, v149, v164, s12
	v_cndmask_b32_e64 v149, v162, v155, s11
	v_lshrrev_b32_e32 v162, 16, v155
	v_cndmask_b32_e64 v151, v151, v165, s9
	s_delay_alu instid0(VALU_DEP_4) | instskip(NEXT) | instid1(VALU_DEP_3)
	v_cndmask_b32_e64 v132, v132, v155, s15
	v_cndmask_b32_e64 v136, v149, v162, s13
	s_delay_alu instid0(VALU_DEP_3) | instskip(SKIP_1) | instid1(VALU_DEP_4)
	v_cndmask_b32_e64 v148, v151, v159, s11
	v_cndmask_b32_e64 v151, v152, v160, s20
	;; [unrolled: 1-line block ×27, first 2 shown]
	v_lshrrev_b32_e32 v149, 16, v159
	v_cndmask_b32_e64 v132, v132, v155, s23
	v_cndmask_b32_e64 v151, v151, v155, s28
	;; [unrolled: 1-line block ×6, first 2 shown]
	s_delay_alu instid0(VALU_DEP_4) | instskip(NEXT) | instid1(VALU_DEP_4)
	v_dual_cndmask_b32 v151, v151, v162 :: v_dual_cndmask_b32 v152, v152, v149
	v_cndmask_b32_e64 v153, v153, v149, s26
	s_delay_alu instid0(VALU_DEP_4)
	v_cndmask_b32_e64 v155, v150, v149, s17
	v_cndmask_b32_e64 v148, v148, v149, s13
	v_perm_b32 v132, v167, v166, 0x5040100
	v_perm_b32 v151, v152, v151, 0x5040100
	;; [unrolled: 1-line block ×5, first 2 shown]
	s_lshl_b32 s7, s35, 1
	s_mov_b32 s2, exec_lo
	ds_store_b128 v131, v[132:135]
	ds_store_b128 v131, v[148:151] offset:1024
	v_cmpx_gt_u32_e32 2, v0
	s_cbranch_execz .LBB411_78
; %bb.77:
	v_or_b32_e32 v131, s31, v0
	s_load_b128 s[8:11], s[0:1], 0x58
	s_delay_alu instid0(VALU_DEP_1) | instskip(NEXT) | instid1(VALU_DEP_1)
	v_mad_u64_u32 v[132:133], null, s7, s30, v[131:132]
	v_mad_u64_u32 v[133:134], null, v132, s34, s[14:15]
	s_delay_alu instid0(VALU_DEP_1) | instskip(NEXT) | instid1(VALU_DEP_1)
	v_ashrrev_i32_e32 v134, 31, v133
	v_lshlrev_b64 v[131:132], 2, v[133:134]
	s_waitcnt lgkmcnt(0)
	s_delay_alu instid0(VALU_DEP_1) | instskip(NEXT) | instid1(VALU_DEP_2)
	v_add_co_u32 v133, vcc_lo, s10, v131
	v_add_co_ci_u32_e32 v134, vcc_lo, s11, v132, vcc_lo
	v_add_co_u32 v131, vcc_lo, s8, v131
	v_add_co_ci_u32_e32 v132, vcc_lo, s9, v132, vcc_lo
	global_store_b32 v[133:134], v129, off
	global_store_b32 v[131:132], v130, off
.LBB411_78:
	s_or_b32 exec_lo, exec_lo, s2
	s_waitcnt lgkmcnt(0)
	s_waitcnt_vscnt null, 0x0
	s_barrier
	buffer_gl0_inv
	ds_load_b128 v[148:151], v145
	ds_load_b128 v[152:155], v145 offset:16
	ds_load_b128 v[160:163], v145 offset:1040
	;; [unrolled: 1-line block ×3, first 2 shown]
	v_mov_b32_e32 v129, 0
	ds_load_b128 v[168:171], v145 offset:2064
	ds_load_b128 v[164:167], v145 offset:2048
	;; [unrolled: 1-line block ×6, first 2 shown]
	v_mov_b32_e32 v130, v129
	v_mov_b32_e32 v131, v129
	;; [unrolled: 1-line block ×7, first 2 shown]
	s_waitcnt lgkmcnt(8)
	s_delay_alu instid0(VALU_DEP_1)
	v_wmma_f32_16x16x16_bf16 v[129:136], v[121:128], v[148:155], v[129:136]
	ds_load_b128 v[125:128], v145 offset:5136
	ds_load_b128 v[121:124], v145 offset:5120
	s_waitcnt lgkmcnt(8)
	v_wmma_f32_16x16x16_bf16 v[129:136], v[113:120], v[156:163], v[129:136]
	ds_load_b128 v[117:120], v145 offset:6160
	ds_load_b128 v[113:116], v145 offset:6144
	s_waitcnt lgkmcnt(8)
	;; [unrolled: 4-line block ×8, first 2 shown]
	v_wmma_f32_16x16x16_bf16 v[129:136], v[65:72], v[97:104], v[129:136]
	s_waitcnt lgkmcnt(6)
	s_delay_alu instid0(VALU_DEP_1)
	v_wmma_f32_16x16x16_bf16 v[129:136], v[49:56], v[89:96], v[129:136]
	ds_load_b128 v[53:56], v145 offset:13328
	ds_load_b128 v[49:52], v145 offset:13312
	s_waitcnt lgkmcnt(6)
	v_wmma_f32_16x16x16_bf16 v[129:136], v[41:48], v[81:88], v[129:136]
	ds_load_b128 v[45:48], v145 offset:14352
	ds_load_b128 v[41:44], v145 offset:14336
	s_waitcnt lgkmcnt(6)
	v_wmma_f32_16x16x16_bf16 v[129:136], v[17:24], v[73:80], v[129:136]
	ds_load_b128 v[21:24], v145 offset:15376
	ds_load_b128 v[17:20], v145 offset:15360
	s_waitcnt lgkmcnt(6)
	v_wmma_f32_16x16x16_bf16 v[129:136], v[1:8], v[57:64], v[129:136]
	s_waitcnt lgkmcnt(4)
	s_delay_alu instid0(VALU_DEP_1) | instskip(SKIP_1) | instid1(VALU_DEP_1)
	v_wmma_f32_16x16x16_bf16 v[129:136], v[25:32], v[49:56], v[129:136]
	s_waitcnt lgkmcnt(2)
	v_wmma_f32_16x16x16_bf16 v[129:136], v[33:40], v[41:48], v[129:136]
	s_waitcnt lgkmcnt(0)
	s_delay_alu instid0(VALU_DEP_1) | instskip(NEXT) | instid1(VALU_DEP_1)
	v_wmma_f32_16x16x16_bf16 v[129:136], v[9:16], v[17:24], v[129:136]
	v_and_b32_e32 v1, 0x7f800000, v129
	s_delay_alu instid0(VALU_DEP_1) | instskip(SKIP_1) | instid1(SALU_CYCLE_1)
	v_cmp_ne_u32_e32 vcc_lo, 0x7f800000, v1
                                        ; implicit-def: $vgpr1
	s_and_saveexec_b32 s2, vcc_lo
	s_xor_b32 s2, exec_lo, s2
; %bb.79:
	v_bfe_u32 v1, v129, 16, 1
	s_delay_alu instid0(VALU_DEP_1)
	v_add3_u32 v1, v129, v1, 0x7fff
; %bb.80:
	s_and_not1_saveexec_b32 s2, s2
; %bb.81:
	v_and_b32_e32 v1, 0xffff, v129
	v_or_b32_e32 v2, 0x10000, v129
	s_delay_alu instid0(VALU_DEP_2) | instskip(NEXT) | instid1(VALU_DEP_2)
	v_cmp_eq_u32_e32 vcc_lo, 0, v1
	v_cndmask_b32_e32 v1, v2, v129, vcc_lo
; %bb.82:
	s_or_b32 exec_lo, exec_lo, s2
	v_and_b32_e32 v2, 0x7f800000, v130
	s_delay_alu instid0(VALU_DEP_1) | instskip(SKIP_1) | instid1(SALU_CYCLE_1)
	v_cmp_ne_u32_e32 vcc_lo, 0x7f800000, v2
                                        ; implicit-def: $vgpr2
	s_and_saveexec_b32 s2, vcc_lo
	s_xor_b32 s2, exec_lo, s2
; %bb.83:
	v_bfe_u32 v2, v130, 16, 1
	s_delay_alu instid0(VALU_DEP_1)
	v_add3_u32 v2, v130, v2, 0x7fff
; %bb.84:
	s_and_not1_saveexec_b32 s2, s2
; %bb.85:
	v_and_b32_e32 v2, 0xffff, v130
	v_or_b32_e32 v3, 0x10000, v130
	s_delay_alu instid0(VALU_DEP_2) | instskip(NEXT) | instid1(VALU_DEP_2)
	v_cmp_eq_u32_e32 vcc_lo, 0, v2
	v_cndmask_b32_e32 v2, v3, v130, vcc_lo
; %bb.86:
	s_or_b32 exec_lo, exec_lo, s2
	v_and_b32_e32 v3, 0x7f800000, v131
	s_delay_alu instid0(VALU_DEP_1) | instskip(SKIP_1) | instid1(SALU_CYCLE_1)
	v_cmp_ne_u32_e32 vcc_lo, 0x7f800000, v3
                                        ; implicit-def: $vgpr3
	s_and_saveexec_b32 s2, vcc_lo
	s_xor_b32 s2, exec_lo, s2
; %bb.87:
	v_bfe_u32 v3, v131, 16, 1
	s_delay_alu instid0(VALU_DEP_1)
	v_add3_u32 v3, v131, v3, 0x7fff
; %bb.88:
	s_and_not1_saveexec_b32 s2, s2
; %bb.89:
	v_and_b32_e32 v3, 0xffff, v131
	v_or_b32_e32 v4, 0x10000, v131
	s_delay_alu instid0(VALU_DEP_2) | instskip(NEXT) | instid1(VALU_DEP_2)
	v_cmp_eq_u32_e32 vcc_lo, 0, v3
	v_cndmask_b32_e32 v3, v4, v131, vcc_lo
; %bb.90:
	s_or_b32 exec_lo, exec_lo, s2
	v_and_b32_e32 v4, 0x7f800000, v132
	s_delay_alu instid0(VALU_DEP_1) | instskip(SKIP_1) | instid1(SALU_CYCLE_1)
	v_cmp_ne_u32_e32 vcc_lo, 0x7f800000, v4
                                        ; implicit-def: $vgpr4
	s_and_saveexec_b32 s2, vcc_lo
	s_xor_b32 s2, exec_lo, s2
; %bb.91:
	v_bfe_u32 v4, v132, 16, 1
	s_delay_alu instid0(VALU_DEP_1)
	v_add3_u32 v4, v132, v4, 0x7fff
; %bb.92:
	s_and_not1_saveexec_b32 s2, s2
; %bb.93:
	v_and_b32_e32 v4, 0xffff, v132
	v_or_b32_e32 v5, 0x10000, v132
	s_delay_alu instid0(VALU_DEP_2) | instskip(NEXT) | instid1(VALU_DEP_2)
	v_cmp_eq_u32_e32 vcc_lo, 0, v4
	v_cndmask_b32_e32 v4, v5, v132, vcc_lo
; %bb.94:
	s_or_b32 exec_lo, exec_lo, s2
	v_and_b32_e32 v5, 0x7f800000, v133
	s_delay_alu instid0(VALU_DEP_1) | instskip(SKIP_1) | instid1(SALU_CYCLE_1)
	v_cmp_ne_u32_e32 vcc_lo, 0x7f800000, v5
                                        ; implicit-def: $vgpr5
	s_and_saveexec_b32 s2, vcc_lo
	s_xor_b32 s2, exec_lo, s2
; %bb.95:
	v_bfe_u32 v5, v133, 16, 1
	s_delay_alu instid0(VALU_DEP_1)
	v_add3_u32 v5, v133, v5, 0x7fff
; %bb.96:
	s_and_not1_saveexec_b32 s2, s2
; %bb.97:
	v_and_b32_e32 v5, 0xffff, v133
	v_or_b32_e32 v6, 0x10000, v133
	s_delay_alu instid0(VALU_DEP_2) | instskip(NEXT) | instid1(VALU_DEP_2)
	v_cmp_eq_u32_e32 vcc_lo, 0, v5
	v_cndmask_b32_e32 v5, v6, v133, vcc_lo
; %bb.98:
	s_or_b32 exec_lo, exec_lo, s2
	v_and_b32_e32 v6, 0x7f800000, v134
	s_delay_alu instid0(VALU_DEP_1) | instskip(SKIP_1) | instid1(SALU_CYCLE_1)
	v_cmp_ne_u32_e32 vcc_lo, 0x7f800000, v6
                                        ; implicit-def: $vgpr6
	s_and_saveexec_b32 s2, vcc_lo
	s_xor_b32 s2, exec_lo, s2
; %bb.99:
	v_bfe_u32 v6, v134, 16, 1
	s_delay_alu instid0(VALU_DEP_1)
	v_add3_u32 v6, v134, v6, 0x7fff
; %bb.100:
	s_and_not1_saveexec_b32 s2, s2
; %bb.101:
	v_and_b32_e32 v6, 0xffff, v134
	v_or_b32_e32 v7, 0x10000, v134
	s_delay_alu instid0(VALU_DEP_2) | instskip(NEXT) | instid1(VALU_DEP_2)
	v_cmp_eq_u32_e32 vcc_lo, 0, v6
	v_cndmask_b32_e32 v6, v7, v134, vcc_lo
; %bb.102:
	s_or_b32 exec_lo, exec_lo, s2
	v_and_b32_e32 v7, 0x7f800000, v135
	s_delay_alu instid0(VALU_DEP_1) | instskip(SKIP_1) | instid1(SALU_CYCLE_1)
	v_cmp_ne_u32_e32 vcc_lo, 0x7f800000, v7
                                        ; implicit-def: $vgpr7
	s_and_saveexec_b32 s2, vcc_lo
	s_xor_b32 s2, exec_lo, s2
; %bb.103:
	v_bfe_u32 v7, v135, 16, 1
	s_delay_alu instid0(VALU_DEP_1)
	v_add3_u32 v7, v135, v7, 0x7fff
; %bb.104:
	s_and_not1_saveexec_b32 s2, s2
; %bb.105:
	v_and_b32_e32 v7, 0xffff, v135
	v_or_b32_e32 v8, 0x10000, v135
	s_delay_alu instid0(VALU_DEP_2) | instskip(NEXT) | instid1(VALU_DEP_2)
	v_cmp_eq_u32_e32 vcc_lo, 0, v7
	v_cndmask_b32_e32 v7, v8, v135, vcc_lo
; %bb.106:
	s_or_b32 exec_lo, exec_lo, s2
	v_and_b32_e32 v8, 0x7f800000, v136
	s_delay_alu instid0(VALU_DEP_1) | instskip(SKIP_1) | instid1(SALU_CYCLE_1)
	v_cmp_ne_u32_e32 vcc_lo, 0x7f800000, v8
                                        ; implicit-def: $vgpr8
	s_and_saveexec_b32 s2, vcc_lo
	s_xor_b32 s2, exec_lo, s2
; %bb.107:
	v_bfe_u32 v8, v136, 16, 1
	s_delay_alu instid0(VALU_DEP_1)
	v_add3_u32 v8, v136, v8, 0x7fff
                                        ; implicit-def: $vgpr129_vgpr130_vgpr131_vgpr132_vgpr133_vgpr134_vgpr135_vgpr136
; %bb.108:
	s_and_not1_saveexec_b32 s2, s2
; %bb.109:
	v_and_b32_e32 v8, 0xffff, v136
	v_or_b32_e32 v9, 0x10000, v136
	s_delay_alu instid0(VALU_DEP_2) | instskip(NEXT) | instid1(VALU_DEP_2)
	v_cmp_eq_u32_e32 vcc_lo, 0, v8
	v_cndmask_b32_e32 v8, v9, v136, vcc_lo
; %bb.110:
	s_or_b32 exec_lo, exec_lo, s2
	s_delay_alu instid0(VALU_DEP_1)
	v_perm_b32 v7, v8, v7, 0x7060302
	v_perm_b32 v6, v6, v5, 0x7060302
	;; [unrolled: 1-line block ×4, first 2 shown]
	v_lshl_or_b32 v9, v141, 4, v147
	s_barrier
	buffer_gl0_inv
	v_cmp_eq_u32_e32 vcc_lo, 1, v143
	ds_store_b128 v9, v[4:7]
	s_waitcnt lgkmcnt(0)
	s_barrier
	buffer_gl0_inv
	ds_load_b128 v[1:4], v147
	ds_load_b128 v[5:8], v147 offset:16
	v_cmp_eq_u32_e64 s3, 2, v143
	v_cmp_eq_u32_e64 s2, 1, v144
	;; [unrolled: 1-line block ×5, first 2 shown]
	s_waitcnt lgkmcnt(1)
	v_lshrrev_b32_e32 v10, 16, v1
	s_waitcnt lgkmcnt(0)
	v_lshrrev_b32_e32 v14, 16, v5
	v_lshrrev_b32_e32 v15, 16, v6
	;; [unrolled: 1-line block ×4, first 2 shown]
	v_cndmask_b32_e64 v20, v1, v10, s2
	v_cndmask_b32_e32 v19, v5, v14, vcc_lo
	v_cndmask_b32_e64 v21, v5, v14, s2
	v_lshrrev_b32_e32 v16, 16, v7
	v_cmp_eq_u32_e64 s2, 1, v142
	v_lshrrev_b32_e32 v13, 16, v4
	v_cndmask_b32_e64 v19, v19, v6, s3
	v_lshrrev_b32_e32 v17, 16, v8
	s_delay_alu instid0(VALU_DEP_4) | instskip(SKIP_1) | instid1(VALU_DEP_4)
	v_cndmask_b32_e64 v22, v1, v10, s2
	v_cndmask_b32_e64 v23, v5, v14, s2
	;; [unrolled: 1-line block ×3, first 2 shown]
	v_cndmask_b32_e32 v18, v1, v10, vcc_lo
	v_cmp_eq_u32_e32 vcc_lo, 2, v144
	v_cmp_eq_u32_e64 s2, 2, v146
	v_cndmask_b32_e64 v22, v22, v2, s6
	v_cndmask_b32_e32 v20, v20, v2, vcc_lo
	v_cndmask_b32_e32 v21, v21, v6, vcc_lo
	v_cmp_eq_u32_e32 vcc_lo, 4, v143
	v_cndmask_b32_e32 v19, v19, v7, vcc_lo
	v_cndmask_b32_e64 v18, v18, v2, s3
	v_cmp_eq_u32_e64 s3, 3, v144
	s_delay_alu instid0(VALU_DEP_2) | instskip(NEXT) | instid1(VALU_DEP_2)
	v_cndmask_b32_e64 v18, v18, v11, s4
	v_cndmask_b32_e64 v21, v21, v15, s3
	v_cmp_eq_u32_e64 s4, 5, v143
	s_delay_alu instid0(VALU_DEP_3) | instskip(SKIP_1) | instid1(VALU_DEP_3)
	v_cndmask_b32_e32 v18, v18, v3, vcc_lo
	v_cmp_eq_u32_e32 vcc_lo, 4, v144
	v_cndmask_b32_e64 v19, v19, v16, s4
	s_delay_alu instid0(VALU_DEP_3) | instskip(SKIP_4) | instid1(VALU_DEP_3)
	v_cndmask_b32_e64 v18, v18, v12, s4
	v_cndmask_b32_e32 v21, v21, v7, vcc_lo
	v_cndmask_b32_e64 v20, v20, v11, s3
	v_cmp_eq_u32_e64 s3, 5, v144
	v_cmp_eq_u32_e64 s4, 6, v143
	v_cndmask_b32_e32 v20, v20, v3, vcc_lo
	s_delay_alu instid0(VALU_DEP_3) | instskip(SKIP_1) | instid1(VALU_DEP_4)
	v_cndmask_b32_e64 v21, v21, v16, s3
	v_cmp_eq_u32_e32 vcc_lo, 6, v144
	v_cndmask_b32_e64 v18, v18, v4, s4
	v_cndmask_b32_e64 v19, v19, v8, s4
	;; [unrolled: 1-line block ×3, first 2 shown]
	v_cmp_eq_u32_e64 s3, 1, v146
	v_cmp_eq_u32_e64 s4, 7, v143
	s_delay_alu instid0(VALU_DEP_3) | instskip(NEXT) | instid1(VALU_DEP_3)
	v_cndmask_b32_e32 v20, v20, v4, vcc_lo
	v_cndmask_b32_e64 v1, v1, v10, s3
	v_cndmask_b32_e64 v5, v5, v14, s3
	v_cmp_eq_u32_e64 s3, 3, v142
	v_cndmask_b32_e64 v14, v23, v6, s6
	v_cmp_eq_u32_e64 s6, 3, v146
	v_cndmask_b32_e64 v1, v1, v2, s2
	v_cndmask_b32_e64 v2, v5, v6, s2
	;; [unrolled: 1-line block ×3, first 2 shown]
	v_cmp_eq_u32_e64 s2, 4, v142
	v_cndmask_b32_e64 v6, v14, v15, s3
	v_cndmask_b32_e64 v1, v1, v11, s6
	v_cmp_eq_u32_e64 s3, 4, v146
	v_cndmask_b32_e64 v2, v2, v15, s6
	v_cndmask_b32_e64 v5, v10, v3, s2
	;; [unrolled: 3-line block ×3, first 2 shown]
	v_cndmask_b32_e64 v2, v2, v7, s3
	v_cmp_eq_u32_e64 s2, 5, v146
	v_cndmask_b32_e64 v5, v5, v12, s6
	v_cmp_eq_u32_e64 s3, 6, v142
	;; [unrolled: 2-line block ×3, first 2 shown]
	v_cndmask_b32_e64 v1, v1, v12, s2
	v_cndmask_b32_e64 v2, v2, v16, s2
	;; [unrolled: 1-line block ×4, first 2 shown]
	v_cmp_eq_u32_e64 s2, 7, v146
	v_cndmask_b32_e64 v1, v1, v4, s6
	v_cndmask_b32_e64 v2, v2, v8, s6
	v_cmp_eq_u32_e64 s3, 7, v142
	v_cndmask_b32_e32 v4, v21, v8, vcc_lo
	v_cndmask_b32_e64 v18, v18, v13, s4
	v_cndmask_b32_e64 v20, v20, v13, s5
	;; [unrolled: 1-line block ×8, first 2 shown]
	s_delay_alu instid0(VALU_DEP_4) | instskip(NEXT) | instid1(VALU_DEP_4)
	v_perm_b32 v4, v2, v1, 0x5040100
	v_perm_b32 v3, v3, v5, 0x5040100
	s_delay_alu instid0(VALU_DEP_4) | instskip(NEXT) | instid1(VALU_DEP_4)
	v_perm_b32 v2, v6, v20, 0x5040100
	v_perm_b32 v1, v7, v18, 0x5040100
	ds_store_b128 v9, v[1:4]
	s_waitcnt lgkmcnt(0)
	s_barrier
	buffer_gl0_inv
	s_and_saveexec_b32 s2, s29
	s_cbranch_execz .LBB411_2
; %bb.111:
	s_load_b64 s[0:1], s[0:1], 0x68
	v_lshlrev_b32_e32 v0, 10, v0
	s_lshl_b32 s2, s34, 6
	v_lshlrev_b32_e32 v1, 4, v140
	v_mul_lo_u32 v4, s2, v139
	s_mul_i32 s3, s2, s30
	v_and_b32_e32 v0, 0x3800, v0
	s_mul_i32 s2, s3, s7
	s_delay_alu instid0(SALU_CYCLE_1) | instskip(NEXT) | instid1(VALU_DEP_1)
	s_ashr_i32 s3, s2, 31
	v_or3_b32 v0, v0, v138, v1
	s_lshl_b64 s[2:3], s[2:3], 1
	s_delay_alu instid0(VALU_DEP_3)
	v_ashrrev_i32_e32 v5, 31, v4
	ds_load_b128 v[0:3], v0
	v_lshlrev_b64 v[4:5], 1, v[4:5]
	s_waitcnt lgkmcnt(0)
	s_add_u32 s2, s0, s2
	s_addc_u32 s3, s1, s3
	s_lshl_b32 s0, s14, 6
	s_delay_alu instid0(SALU_CYCLE_1) | instskip(NEXT) | instid1(SALU_CYCLE_1)
	s_ashr_i32 s1, s0, 31
	s_lshl_b64 s[0:1], s[0:1], 1
	s_delay_alu instid0(SALU_CYCLE_1) | instskip(SKIP_3) | instid1(VALU_DEP_2)
	s_add_u32 s0, s2, s0
	s_addc_u32 s1, s3, s1
	v_add_co_u32 v4, vcc_lo, s0, v4
	v_add_co_ci_u32_e32 v5, vcc_lo, s1, v5, vcc_lo
	v_add_co_u32 v4, vcc_lo, v4, v137
	s_delay_alu instid0(VALU_DEP_2)
	v_add_co_ci_u32_e32 v5, vcc_lo, 0, v5, vcc_lo
	global_store_b128 v[4:5], v[0:3], off
	s_nop 0
	s_sendmsg sendmsg(MSG_DEALLOC_VGPRS)
	s_endpgm
	.section	.rodata,"a",@progbits
	.p2align	6, 0x0
	.amdhsa_kernel _Z39paged_attention_ll4mi_QKV_mfma16_kernelI14__hip_bfloat16S0_LN4vllm18Fp8KVCacheDataTypeE0EhLi16ELi64ELi256ELb1ELi2EL8MFMAType0EEvPKT_PKT0_S9_ifPKiSB_SB_iPKfiiiPfSE_PS4_PT2_iSD_SD_
		.amdhsa_group_segment_fixed_size 17472
		.amdhsa_private_segment_fixed_size 0
		.amdhsa_kernarg_size 400
		.amdhsa_user_sgpr_count 13
		.amdhsa_user_sgpr_dispatch_ptr 0
		.amdhsa_user_sgpr_queue_ptr 0
		.amdhsa_user_sgpr_kernarg_segment_ptr 1
		.amdhsa_user_sgpr_dispatch_id 0
		.amdhsa_user_sgpr_private_segment_size 0
		.amdhsa_wavefront_size32 1
		.amdhsa_uses_dynamic_stack 0
		.amdhsa_enable_private_segment 0
		.amdhsa_system_sgpr_workgroup_id_x 1
		.amdhsa_system_sgpr_workgroup_id_y 1
		.amdhsa_system_sgpr_workgroup_id_z 1
		.amdhsa_system_sgpr_workgroup_info 0
		.amdhsa_system_vgpr_workitem_id 0
		.amdhsa_next_free_vgpr 202
		.amdhsa_next_free_sgpr 52
		.amdhsa_reserve_vcc 1
		.amdhsa_float_round_mode_32 0
		.amdhsa_float_round_mode_16_64 0
		.amdhsa_float_denorm_mode_32 3
		.amdhsa_float_denorm_mode_16_64 3
		.amdhsa_dx10_clamp 1
		.amdhsa_ieee_mode 1
		.amdhsa_fp16_overflow 0
		.amdhsa_workgroup_processor_mode 1
		.amdhsa_memory_ordered 1
		.amdhsa_forward_progress 0
		.amdhsa_shared_vgpr_count 0
		.amdhsa_exception_fp_ieee_invalid_op 0
		.amdhsa_exception_fp_denorm_src 0
		.amdhsa_exception_fp_ieee_div_zero 0
		.amdhsa_exception_fp_ieee_overflow 0
		.amdhsa_exception_fp_ieee_underflow 0
		.amdhsa_exception_fp_ieee_inexact 0
		.amdhsa_exception_int_div_zero 0
	.end_amdhsa_kernel
	.section	.text._Z39paged_attention_ll4mi_QKV_mfma16_kernelI14__hip_bfloat16S0_LN4vllm18Fp8KVCacheDataTypeE0EhLi16ELi64ELi256ELb1ELi2EL8MFMAType0EEvPKT_PKT0_S9_ifPKiSB_SB_iPKfiiiPfSE_PS4_PT2_iSD_SD_,"axG",@progbits,_Z39paged_attention_ll4mi_QKV_mfma16_kernelI14__hip_bfloat16S0_LN4vllm18Fp8KVCacheDataTypeE0EhLi16ELi64ELi256ELb1ELi2EL8MFMAType0EEvPKT_PKT0_S9_ifPKiSB_SB_iPKfiiiPfSE_PS4_PT2_iSD_SD_,comdat
.Lfunc_end411:
	.size	_Z39paged_attention_ll4mi_QKV_mfma16_kernelI14__hip_bfloat16S0_LN4vllm18Fp8KVCacheDataTypeE0EhLi16ELi64ELi256ELb1ELi2EL8MFMAType0EEvPKT_PKT0_S9_ifPKiSB_SB_iPKfiiiPfSE_PS4_PT2_iSD_SD_, .Lfunc_end411-_Z39paged_attention_ll4mi_QKV_mfma16_kernelI14__hip_bfloat16S0_LN4vllm18Fp8KVCacheDataTypeE0EhLi16ELi64ELi256ELb1ELi2EL8MFMAType0EEvPKT_PKT0_S9_ifPKiSB_SB_iPKfiiiPfSE_PS4_PT2_iSD_SD_
                                        ; -- End function
	.section	.AMDGPU.csdata,"",@progbits
; Kernel info:
; codeLenInByte = 9784
; NumSgprs: 54
; NumVgprs: 202
; ScratchSize: 0
; MemoryBound: 0
; FloatMode: 240
; IeeeMode: 1
; LDSByteSize: 17472 bytes/workgroup (compile time only)
; SGPRBlocks: 6
; VGPRBlocks: 25
; NumSGPRsForWavesPerEU: 54
; NumVGPRsForWavesPerEU: 202
; Occupancy: 7
; WaveLimiterHint : 1
; COMPUTE_PGM_RSRC2:SCRATCH_EN: 0
; COMPUTE_PGM_RSRC2:USER_SGPR: 13
; COMPUTE_PGM_RSRC2:TRAP_HANDLER: 0
; COMPUTE_PGM_RSRC2:TGID_X_EN: 1
; COMPUTE_PGM_RSRC2:TGID_Y_EN: 1
; COMPUTE_PGM_RSRC2:TGID_Z_EN: 1
; COMPUTE_PGM_RSRC2:TIDIG_COMP_CNT: 0
	.section	.text._Z39paged_attention_ll4mi_QKV_mfma16_kernelI14__hip_bfloat16S0_LN4vllm18Fp8KVCacheDataTypeE0EhLi16ELi64ELi256ELb1ELi3EL8MFMAType0EEvPKT_PKT0_S9_ifPKiSB_SB_iPKfiiiPfSE_PS4_PT2_iSD_SD_,"axG",@progbits,_Z39paged_attention_ll4mi_QKV_mfma16_kernelI14__hip_bfloat16S0_LN4vllm18Fp8KVCacheDataTypeE0EhLi16ELi64ELi256ELb1ELi3EL8MFMAType0EEvPKT_PKT0_S9_ifPKiSB_SB_iPKfiiiPfSE_PS4_PT2_iSD_SD_,comdat
	.protected	_Z39paged_attention_ll4mi_QKV_mfma16_kernelI14__hip_bfloat16S0_LN4vllm18Fp8KVCacheDataTypeE0EhLi16ELi64ELi256ELb1ELi3EL8MFMAType0EEvPKT_PKT0_S9_ifPKiSB_SB_iPKfiiiPfSE_PS4_PT2_iSD_SD_ ; -- Begin function _Z39paged_attention_ll4mi_QKV_mfma16_kernelI14__hip_bfloat16S0_LN4vllm18Fp8KVCacheDataTypeE0EhLi16ELi64ELi256ELb1ELi3EL8MFMAType0EEvPKT_PKT0_S9_ifPKiSB_SB_iPKfiiiPfSE_PS4_PT2_iSD_SD_
	.globl	_Z39paged_attention_ll4mi_QKV_mfma16_kernelI14__hip_bfloat16S0_LN4vllm18Fp8KVCacheDataTypeE0EhLi16ELi64ELi256ELb1ELi3EL8MFMAType0EEvPKT_PKT0_S9_ifPKiSB_SB_iPKfiiiPfSE_PS4_PT2_iSD_SD_
	.p2align	8
	.type	_Z39paged_attention_ll4mi_QKV_mfma16_kernelI14__hip_bfloat16S0_LN4vllm18Fp8KVCacheDataTypeE0EhLi16ELi64ELi256ELb1ELi3EL8MFMAType0EEvPKT_PKT0_S9_ifPKiSB_SB_iPKfiiiPfSE_PS4_PT2_iSD_SD_,@function
_Z39paged_attention_ll4mi_QKV_mfma16_kernelI14__hip_bfloat16S0_LN4vllm18Fp8KVCacheDataTypeE0EhLi16ELi64ELi256ELb1ELi3EL8MFMAType0EEvPKT_PKT0_S9_ifPKiSB_SB_iPKfiiiPfSE_PS4_PT2_iSD_SD_: ; @_Z39paged_attention_ll4mi_QKV_mfma16_kernelI14__hip_bfloat16S0_LN4vllm18Fp8KVCacheDataTypeE0EhLi16ELi64ELi256ELb1ELi3EL8MFMAType0EEvPKT_PKT0_S9_ifPKiSB_SB_iPKfiiiPfSE_PS4_PT2_iSD_SD_
; %bb.0:
	s_load_b64 s[2:3], s[0:1], 0x30
	s_mov_b32 s34, s13
	s_waitcnt lgkmcnt(0)
	s_cmp_lg_u64 s[2:3], 0
	s_cselect_b32 s8, -1, 0
	s_ashr_i32 s35, s13, 31
	s_cmp_eq_u64 s[2:3], 0
	s_cbranch_scc1 .LBB412_3
; %bb.1:
	s_lshl_b64 s[4:5], s[34:35], 2
	s_delay_alu instid0(SALU_CYCLE_1) | instskip(SKIP_4) | instid1(SALU_CYCLE_1)
	s_add_u32 s4, s2, s4
	s_addc_u32 s5, s3, s5
	s_load_b64 s[4:5], s[4:5], 0x0
	s_waitcnt lgkmcnt(0)
	s_sub_i32 s4, s5, s4
	s_cmp_eq_u32 s4, 1
	s_cselect_b32 s4, -1, 0
	s_delay_alu instid0(SALU_CYCLE_1)
	s_and_not1_b32 vcc_lo, exec_lo, s4
	s_cbranch_vccz .LBB412_4
.LBB412_2:
	s_nop 0
	s_sendmsg sendmsg(MSG_DEALLOC_VGPRS)
	s_endpgm
.LBB412_3:
.LBB412_4:
	s_load_b64 s[4:5], s[0:1], 0x28
	s_lshl_b64 s[6:7], s[34:35], 2
	s_waitcnt lgkmcnt(0)
	s_add_u32 s4, s4, s6
	s_addc_u32 s5, s5, s7
	s_lshl_b32 s33, s14, 8
	s_load_b32 s30, s[4:5], 0x0
	s_waitcnt lgkmcnt(0)
	s_cmp_ge_i32 s33, s30
	s_cbranch_scc1 .LBB412_2
; %bb.5:
	s_clause 0x1
	s_load_b128 s[20:23], s[0:1], 0x8
	s_load_b64 s[4:5], s[0:1], 0x20
	s_and_not1_b32 vcc_lo, exec_lo, s8
	s_cbranch_vccnz .LBB412_7
; %bb.6:
	s_add_u32 s2, s2, s6
	s_addc_u32 s3, s3, s7
	s_load_b32 s3, s[2:3], 0x0
	s_branch .LBB412_8
.LBB412_7:
	s_mov_b32 s3, s34
.LBB412_8:
	s_load_b128 s[16:19], s[0:1], 0x48
	v_lshrrev_b32_e32 v149, 5, v0
	v_bfe_u32 v146, v0, 4, 1
	v_and_b32_e32 v148, 15, v0
	v_and_b32_e32 v150, 31, v0
	;; [unrolled: 1-line block ×3, first 2 shown]
	s_mul_i32 s31, s15, 3
	v_lshl_or_b32 v1, v149, 1, v146
	v_lshlrev_b32_e32 v2, 3, v148
	v_cmp_gt_u32_e64 s2, 8, v148
	s_delay_alu instid0(VALU_DEP_3) | instskip(NEXT) | instid1(VALU_DEP_3)
	v_cmp_gt_u32_e32 vcc_lo, 3, v1
	v_lshlrev_b32_e32 v145, 1, v2
	s_delay_alu instid0(VALU_DEP_3) | instskip(NEXT) | instid1(SALU_CYCLE_1)
	s_and_b32 s7, s2, vcc_lo
	s_and_saveexec_b32 s6, s7
	s_cbranch_execz .LBB412_10
; %bb.9:
	s_load_b64 s[8:9], s[0:1], 0x0
	v_add_lshl_u32 v2, v1, s31, 6
	s_waitcnt lgkmcnt(0)
	s_mul_hi_i32 s11, s3, s16
	s_mul_i32 s10, s3, s16
	v_lshlrev_b32_e32 v6, 10, v148
	s_lshl_b64 s[10:11], s[10:11], 1
	v_ashrrev_i32_e32 v3, 31, v2
	v_lshlrev_b32_e32 v1, 6, v1
	v_lshlrev_b32_e32 v7, 10, v147
	v_and_b32_e32 v6, 0x3800, v6
	s_delay_alu instid0(VALU_DEP_4) | instskip(NEXT) | instid1(VALU_DEP_2)
	v_lshlrev_b64 v[2:3], 1, v[2:3]
	v_or3_b32 v1, v6, v7, v1
	s_add_u32 s3, s8, s10
	s_addc_u32 s7, s9, s11
	s_delay_alu instid0(VALU_DEP_2) | instskip(NEXT) | instid1(VALU_DEP_3)
	v_add_co_u32 v2, vcc_lo, s3, v2
	v_add_co_ci_u32_e32 v3, vcc_lo, s7, v3, vcc_lo
	s_delay_alu instid0(VALU_DEP_2) | instskip(NEXT) | instid1(VALU_DEP_2)
	v_add_co_u32 v2, vcc_lo, v2, v145
	v_add_co_ci_u32_e32 v3, vcc_lo, 0, v3, vcc_lo
	global_load_b128 v[2:5], v[2:3], off
	s_waitcnt vmcnt(0)
	ds_store_b128 v1, v[2:5]
.LBB412_10:
	s_or_b32 exec_lo, exec_lo, s6
	v_and_b32_e32 v1, 0xef, v0
	s_waitcnt lgkmcnt(0)
	s_add_i32 s3, s30, 15
	s_clause 0x1
	s_load_b32 s6, s[0:1], 0x38
	s_load_b32 s35, s[0:1], 0x1c
	s_ashr_i32 s7, s3, 31
	v_add_nc_u32_e32 v1, s33, v1
	s_lshr_b32 s7, s7, 28
	s_waitcnt lgkmcnt(0)
	s_add_i32 s3, s3, s7
	s_barrier
	v_ashrrev_i32_e32 v2, 31, v1
	v_or_b32_e32 v3, 16, v1
	s_ashr_i32 s3, s3, 4
	v_cmp_gt_i32_e32 vcc_lo, s30, v1
	s_add_i32 s3, s3, -1
	v_lshrrev_b32_e32 v2, 28, v2
	buffer_gl0_inv
	v_mul_lo_u16 v21, 0x56, v148
	v_lshlrev_b32_e32 v22, 5, v148
	v_add_nc_u32_e32 v4, v1, v2
	s_mul_i32 s6, s34, s6
	s_delay_alu instid0(VALU_DEP_3) | instskip(SKIP_1) | instid1(VALU_DEP_2)
	v_lshrrev_b16 v21, 8, v21
	s_ashr_i32 s7, s6, 31
	v_ashrrev_i32_e32 v4, 4, v4
	v_add_nc_u32_e32 v2, v3, v2
	s_lshl_b64 s[6:7], s[6:7], 2
	v_mul_lo_u16 v21, v21, 3
	s_add_u32 s16, s4, s6
	v_cndmask_b32_e32 v1, s3, v4, vcc_lo
	v_ashrrev_i32_e32 v2, 4, v2
	v_cmp_gt_i32_e32 vcc_lo, s30, v3
	s_addc_u32 s36, s5, s7
	s_mul_i32 s4, s15, s18
	v_sub_nc_u16 v21, v148, v21
	s_ashr_i32 s5, s4, 31
	v_cndmask_b32_e32 v3, s3, v2, vcc_lo
	v_ashrrev_i32_e32 v2, 31, v1
	s_lshl_b64 s[12:13], s[4:5], 1
	v_and_b32_e32 v21, 0xff, v21
	s_add_u32 s26, s20, s12
	v_ashrrev_i32_e32 v4, 31, v3
	v_lshlrev_b64 v[1:2], 2, v[1:2]
	s_addc_u32 s27, s21, s13
	s_lshl_b32 s4, s14, 4
	v_lshlrev_b32_e32 v197, 6, v21
	v_lshlrev_b64 v[3:4], 2, v[3:4]
	s_ashr_i32 s5, s4, 31
	v_add_co_u32 v1, vcc_lo, s16, v1
	v_add_co_ci_u32_e32 v2, vcc_lo, s36, v2, vcc_lo
	s_delay_alu instid0(VALU_DEP_3) | instskip(NEXT) | instid1(VALU_DEP_4)
	v_add_co_u32 v3, vcc_lo, s16, v3
	v_add_co_ci_u32_e32 v4, vcc_lo, s36, v4, vcc_lo
	s_clause 0x1
	global_load_b32 v5, v[1:2], off
	global_load_b32 v6, v[3:4], off
	s_lshl_b64 s[4:5], s[4:5], 2
	v_lshlrev_b32_e32 v3, 4, v0
	s_add_u32 s4, s16, s4
	s_addc_u32 s5, s36, s5
	s_or_b32 s6, s33, 16
	v_lshl_or_b32 v22, v149, 9, v22
	s_ashr_i32 s7, s6, 4
	s_cmp_lt_i32 s6, s30
	s_cselect_b32 s6, s7, s3
	s_delay_alu instid0(SALU_CYCLE_1) | instskip(NEXT) | instid1(SALU_CYCLE_1)
	s_ashr_i32 s7, s6, 31
	s_lshl_b64 s[6:7], s[6:7], 2
	s_delay_alu instid0(SALU_CYCLE_1) | instskip(SKIP_2) | instid1(SALU_CYCLE_1)
	s_add_u32 s6, s16, s6
	s_addc_u32 s7, s36, s7
	s_or_b32 s8, s33, 32
	s_ashr_i32 s9, s8, 4
	s_cmp_lt_i32 s8, s30
	s_cselect_b32 s8, s9, s3
	s_delay_alu instid0(SALU_CYCLE_1) | instskip(NEXT) | instid1(SALU_CYCLE_1)
	s_ashr_i32 s9, s8, 31
	s_lshl_b64 s[8:9], s[8:9], 2
	s_delay_alu instid0(SALU_CYCLE_1) | instskip(SKIP_2) | instid1(SALU_CYCLE_1)
	s_add_u32 s8, s16, s8
	s_addc_u32 s9, s36, s9
	s_or_b32 s10, s33, 48
	;; [unrolled: 10-line block ×4, first 2 shown]
	s_ashr_i32 s18, s15, 4
	s_cmp_lt_i32 s15, s30
	s_cselect_b32 s18, s18, s3
	s_delay_alu instid0(SALU_CYCLE_1) | instskip(NEXT) | instid1(SALU_CYCLE_1)
	s_ashr_i32 s19, s18, 31
	s_lshl_b64 s[18:19], s[18:19], 2
	s_delay_alu instid0(SALU_CYCLE_1)
	s_add_u32 s24, s16, s18
	s_addc_u32 s25, s36, s19
	s_clause 0x5
	s_load_b32 s37, s[4:5], 0x0
	s_load_b32 s29, s[6:7], 0x0
	;; [unrolled: 1-line block ×6, first 2 shown]
	s_waitcnt vmcnt(1)
	v_mad_i64_i32 v[1:2], null, v5, s17, 0
	v_and_b32_e32 v5, 0xf0, v3
	s_waitcnt vmcnt(0)
	v_mad_i64_i32 v[3:4], null, v6, s17, 0
	s_delay_alu instid0(VALU_DEP_2) | instskip(NEXT) | instid1(VALU_DEP_4)
	v_add_co_u32 v5, s4, s26, v5
	v_lshlrev_b64 v[1:2], 1, v[1:2]
	v_add_co_ci_u32_e64 v6, null, s27, 0, s4
	s_delay_alu instid0(VALU_DEP_4) | instskip(SKIP_1) | instid1(VALU_DEP_3)
	v_lshlrev_b64 v[3:4], 1, v[3:4]
	s_or_b32 s4, s33, 0x60
	v_add_co_u32 v19, vcc_lo, v5, v1
	s_delay_alu instid0(VALU_DEP_3) | instskip(NEXT) | instid1(VALU_DEP_3)
	v_add_co_ci_u32_e32 v20, vcc_lo, v6, v2, vcc_lo
	v_add_co_u32 v17, vcc_lo, v5, v3
	s_delay_alu instid0(VALU_DEP_4)
	v_add_co_ci_u32_e32 v18, vcc_lo, v6, v4, vcc_lo
	s_clause 0xb
	global_load_b128 v[1:4], v[19:20], off
	global_load_b128 v[5:8], v[19:20], off offset:256
	global_load_b128 v[129:132], v[17:18], off
	global_load_b128 v[133:136], v[17:18], off offset:256
	global_load_b128 v[33:36], v[19:20], off offset:512
	;; [unrolled: 1-line block ×9, first 2 shown]
	ds_load_b128 v[159:162], v197
	ds_load_b128 v[163:166], v197 offset:1024
	s_clause 0x3
	global_load_b128 v[167:170], v[19:20], off offset:1536
	global_load_b128 v[171:174], v[19:20], off offset:1792
	global_load_b128 v[175:178], v[17:18], off offset:1536
	global_load_b128 v[179:182], v[17:18], off offset:1792
	s_ashr_i32 s5, s4, 4
	s_cmp_lt_i32 s4, s30
	s_cselect_b32 s4, s5, s3
	s_delay_alu instid0(SALU_CYCLE_1) | instskip(NEXT) | instid1(SALU_CYCLE_1)
	s_ashr_i32 s5, s4, 31
	s_lshl_b64 s[4:5], s[4:5], 2
	s_delay_alu instid0(SALU_CYCLE_1) | instskip(SKIP_2) | instid1(SALU_CYCLE_1)
	s_add_u32 s20, s16, s4
	s_addc_u32 s21, s36, s5
	s_or_b32 s4, s33, 0x70
	s_ashr_i32 s5, s4, 4
	s_cmp_lt_i32 s4, s30
	s_cselect_b32 s4, s5, s3
	s_delay_alu instid0(SALU_CYCLE_1) | instskip(NEXT) | instid1(SALU_CYCLE_1)
	s_ashr_i32 s5, s4, 31
	s_lshl_b64 s[6:7], s[4:5], 2
	s_mov_b32 s4, 0
	s_add_u32 s24, s16, s6
	s_addc_u32 s25, s36, s7
	s_or_b32 s5, s33, 0x80
	s_mov_b32 s11, s4
	s_ashr_i32 s6, s5, 4
	s_cmp_lt_i32 s5, s30
	s_mov_b32 s5, s4
	s_cselect_b32 s8, s6, s3
	s_mov_b32 s6, s4
	s_ashr_i32 s9, s8, 31
	s_mov_b32 s7, s4
	s_lshl_b64 s[8:9], s[8:9], 2
	s_load_b32 s46, s[24:25], 0x0
	s_add_u32 s26, s16, s8
	s_addc_u32 s27, s36, s9
	s_or_b32 s9, s33, 0x90
	s_load_b32 s47, s[26:27], 0x0
	s_ashr_i32 s10, s9, 4
	s_cmp_lt_i32 s9, s30
	s_mov_b32 s8, s4
	s_cselect_b32 s38, s10, s3
	s_mov_b32 s9, s4
	s_ashr_i32 s39, s38, 31
	s_mov_b32 s10, s4
	s_lshl_b64 s[38:39], s[38:39], 2
	v_mov_b32_e32 v144, s11
	s_add_u32 s38, s16, s38
	s_addc_u32 s39, s36, s39
	s_or_b32 s40, s33, 0xa0
	v_mov_b32_e32 v143, s10
	s_ashr_i32 s41, s40, 4
	s_cmp_lt_i32 s40, s30
	v_mov_b32_e32 v142, s9
	s_cselect_b32 s40, s41, s3
	v_mov_b32_e32 v141, s8
	s_ashr_i32 s41, s40, 31
	v_dual_mov_b32 v140, s7 :: v_dual_mov_b32 v139, s6
	v_dual_mov_b32 v138, s5 :: v_dual_mov_b32 v137, s4
	s_lshl_b64 s[4:5], s[40:41], 2
	s_waitcnt lgkmcnt(0)
	s_mul_hi_i32 s7, s29, s17
	s_add_u32 s42, s16, s4
	s_addc_u32 s43, s36, s5
	s_or_b32 s4, s33, 0xb0
	s_mul_hi_i32 s5, s37, s17
	s_ashr_i32 s6, s4, 4
	s_cmp_lt_i32 s4, s30
	s_mul_i32 s4, s37, s17
	s_cselect_b32 s8, s6, s3
	s_mul_i32 s6, s29, s17
	s_ashr_i32 s9, s8, 31
	s_load_b32 s41, s[20:21], 0x0
	s_lshl_b64 s[8:9], s[8:9], 2
	s_load_b32 s40, s[38:39], 0x0
	s_add_u32 s44, s16, s8
	s_addc_u32 s45, s36, s9
	s_or_b32 s8, s33, 0xc0
	s_mul_hi_i32 s9, s28, s17
	s_ashr_i32 s10, s8, 4
	s_cmp_lt_i32 s8, s30
	s_mul_i32 s8, s28, s17
	s_cselect_b32 s28, s10, s3
	s_load_b32 s39, s[42:43], 0x0
	s_ashr_i32 s29, s28, 31
	s_mul_hi_i32 s21, s15, s17
	s_lshl_b64 s[28:29], s[28:29], 2
	s_mul_hi_i32 s27, s46, s17
	s_add_u32 s28, s16, s28
	s_addc_u32 s29, s36, s29
	s_or_b32 s37, s33, 0xd0
	s_mul_i32 s26, s46, s17
	s_ashr_i32 s20, s37, 4
	s_cmp_lt_i32 s37, s30
	s_mul_hi_i32 s11, s19, s17
	s_cselect_b32 s24, s20, s3
	s_mul_i32 s20, s15, s17
	s_ashr_i32 s25, s24, 31
	s_mul_i32 s10, s19, s17
	s_lshl_b64 s[24:25], s[24:25], 2
	s_mul_hi_i32 s19, s18, s17
	s_add_u32 s24, s16, s24
	s_addc_u32 s25, s36, s25
	s_or_b32 s42, s33, 0xe0
	s_clause 0x2
	s_load_b32 s38, s[44:45], 0x0
	s_load_b32 s37, s[28:29], 0x0
	;; [unrolled: 1-line block ×3, first 2 shown]
	s_ashr_i32 s43, s42, 4
	s_cmp_lt_i32 s42, s30
	s_mul_hi_i32 s29, s47, s17
	s_cselect_b32 s42, s43, s3
	s_mul_i32 s28, s47, s17
	s_ashr_i32 s43, s42, 31
	s_mul_i32 s18, s18, s17
	s_lshl_b64 s[42:43], s[42:43], 2
	s_waitcnt lgkmcnt(0)
	s_mul_hi_i32 s25, s41, s17
	s_add_u32 s42, s16, s42
	s_addc_u32 s43, s36, s43
	s_or_b32 s46, s33, 0xf0
	s_mul_i32 s24, s41, s17
	s_ashr_i32 s47, s46, 4
	s_cmp_lt_i32 s46, s30
	s_mul_hi_i32 s41, s40, s17
	s_cselect_b32 s46, s47, s3
	s_mul_i32 s40, s40, s17
	s_ashr_i32 s47, s46, 31
	s_mul_hi_i32 s51, s15, s17
	s_lshl_b64 s[46:47], s[46:47], 2
	s_mul_i32 s50, s15, s17
	s_add_u32 s46, s16, s46
	s_addc_u32 s47, s36, s47
	s_add_u32 s3, s22, s12
	s_addc_u32 s15, s23, s13
	v_add_co_u32 v195, s3, s3, v22
	s_delay_alu instid0(VALU_DEP_1) | instskip(SKIP_2) | instid1(VALU_DEP_2)
	v_add_co_ci_u32_e64 v196, null, s15, 0, s3
	s_lshl_b64 s[4:5], s[4:5], 1
	s_lshl_b64 s[6:7], s[6:7], 1
	v_add_co_u32 v17, vcc_lo, v195, s4
	s_delay_alu instid0(VALU_DEP_2)
	v_add_co_ci_u32_e32 v18, vcc_lo, s5, v196, vcc_lo
	v_add_co_u32 v19, vcc_lo, v195, s6
	s_lshl_b64 s[8:9], s[8:9], 1
	v_add_co_ci_u32_e32 v20, vcc_lo, s7, v196, vcc_lo
	v_add_co_u32 v21, vcc_lo, v195, s8
	s_lshl_b64 s[10:11], s[10:11], 1
	;; [unrolled: 3-line block ×8, first 2 shown]
	s_mul_hi_i32 s45, s39, s17
	s_mul_i32 s44, s39, s17
	v_add_co_ci_u32_e32 v50, vcc_lo, s25, v196, vcc_lo
	v_add_co_u32 v53, vcc_lo, v195, s26
	s_lshl_b64 s[28:29], s[44:45], 1
	s_mul_hi_i32 s39, s38, s17
	s_mul_i32 s38, s38, s17
	v_add_co_ci_u32_e32 v54, vcc_lo, s27, v196, vcc_lo
	v_add_co_u32 v183, vcc_lo, v195, s28
	s_mul_hi_i32 s49, s37, s17
	s_mul_i32 s48, s37, s17
	s_lshl_b64 s[36:37], s[38:39], 1
	v_add_co_ci_u32_e32 v184, vcc_lo, s29, v196, vcc_lo
	v_add_co_u32 v185, vcc_lo, v195, s36
	s_lshl_b64 s[38:39], s[48:49], 1
	s_clause 0x1
	s_load_b32 s3, s[42:43], 0x0
	s_load_b32 s15, s[46:47], 0x0
	v_add_co_ci_u32_e32 v186, vcc_lo, s37, v196, vcc_lo
	v_add_co_u32 v191, vcc_lo, v195, s38
	v_add_co_ci_u32_e32 v192, vcc_lo, s39, v196, vcc_lo
	s_clause 0x17
	global_load_b128 v[121:124], v[17:18], off
	global_load_b128 v[125:128], v[17:18], off offset:16
	global_load_b128 v[113:116], v[19:20], off
	global_load_b128 v[117:120], v[19:20], off offset:16
	;; [unrolled: 2-line block ×12, first 2 shown]
	s_lshl_b64 s[40:41], s[50:51], 1
	s_delay_alu instid0(SALU_CYCLE_1)
	v_add_co_u32 v193, vcc_lo, v195, s40
	v_add_co_ci_u32_e32 v194, vcc_lo, s41, v196, vcc_lo
	s_waitcnt lgkmcnt(0)
	s_mul_hi_i32 s5, s3, s17
	s_mul_i32 s4, s3, s17
	s_mul_hi_i32 s7, s15, s17
	s_lshl_b64 s[4:5], s[4:5], 1
	s_mul_i32 s6, s15, s17
	s_waitcnt vmcnt(38)
	v_wmma_f32_16x16x16_bf16 v[183:190], v[1:8], v[159:166], v[137:144]
	s_waitcnt vmcnt(36)
	v_wmma_f32_16x16x16_bf16 v[137:144], v[129:136], v[159:166], v[137:144]
	s_clause 0x1
	global_load_b128 v[1:4], v[191:192], off
	global_load_b128 v[5:8], v[191:192], off offset:16
	ds_load_b128 v[129:132], v197 offset:2048
	ds_load_b128 v[133:136], v197 offset:3072
	;; [unrolled: 1-line block ×4, first 2 shown]
	v_add_co_u32 v191, vcc_lo, v195, s4
	v_add_co_ci_u32_e32 v192, vcc_lo, s5, v196, vcc_lo
	s_lshl_b64 s[4:5], s[6:7], 1
	s_delay_alu instid0(SALU_CYCLE_1)
	v_add_co_u32 v195, vcc_lo, v195, s4
	v_add_co_ci_u32_e32 v196, vcc_lo, s5, v196, vcc_lo
	s_waitcnt vmcnt(36) lgkmcnt(2)
	v_wmma_f32_16x16x16_bf16 v[183:190], v[33:40], v[129:136], v[183:190]
	s_waitcnt vmcnt(34)
	v_wmma_f32_16x16x16_bf16 v[137:144], v[25:32], v[129:136], v[137:144]
	s_clause 0x3
	global_load_b128 v[25:28], v[193:194], off
	global_load_b128 v[29:32], v[193:194], off offset:16
	global_load_b128 v[33:36], v[191:192], off
	global_load_b128 v[37:40], v[191:192], off offset:16
	v_and_b32_e32 v129, 0xe0, v0
	v_mbcnt_lo_u32_b32 v191, -1, 0
	s_waitcnt vmcnt(36) lgkmcnt(0)
	v_wmma_f32_16x16x16_bf16 v[183:190], v[9:16], v[159:166], v[183:190]
	s_clause 0x1
	global_load_b128 v[9:12], v[195:196], off
	global_load_b128 v[13:16], v[195:196], off offset:16
	s_waitcnt vmcnt(36)
	v_wmma_f32_16x16x16_bf16 v[137:144], v[151:158], v[159:166], v[137:144]
	v_add_nc_u32_e32 v192, s33, v129
	ds_load_b128 v[129:132], v197 offset:6144
	ds_load_b128 v[133:136], v197 offset:7168
	v_xor_b32_e32 v151, 16, v191
	s_waitcnt vmcnt(0) lgkmcnt(0)
	s_barrier
	v_or_b32_e32 v152, v192, v146
	buffer_gl0_inv
	v_cmp_gt_i32_e32 vcc_lo, 32, v151
	v_or_b32_e32 v153, 2, v152
	v_or_b32_e32 v154, 4, v152
	;; [unrolled: 1-line block ×5, first 2 shown]
	v_cmp_gt_i32_e64 s3, s30, v153
	v_or_b32_e32 v158, 12, v152
	v_cmp_gt_i32_e64 s4, s30, v154
	v_cmp_gt_i32_e64 s5, s30, v155
	v_or_b32_e32 v159, 14, v152
	v_cmp_gt_i32_e64 s6, s30, v156
	v_wmma_f32_16x16x16_bf16 v[183:190], v[167:174], v[129:136], v[183:190]
	v_wmma_f32_16x16x16_bf16 v[137:144], v[175:182], v[129:136], v[137:144]
	v_cndmask_b32_e32 v151, v191, v151, vcc_lo
	v_cmp_gt_i32_e32 vcc_lo, s30, v152
	v_cmp_gt_i32_e64 s7, s30, v157
	v_dual_mul_f32 v135, s35, v184 :: v_dual_mul_f32 v136, s35, v183
	v_mul_f32_e32 v134, s35, v185
	v_dual_mul_f32 v168, s35, v144 :: v_dual_mul_f32 v133, s35, v186
	s_delay_alu instid0(VALU_DEP_3) | instskip(NEXT) | instid1(VALU_DEP_4)
	v_cndmask_b32_e64 v135, 0xff7fffff, v135, s3
	v_cndmask_b32_e32 v136, 0xff7fffff, v136, vcc_lo
	v_dual_mul_f32 v131, s35, v188 :: v_dual_mul_f32 v174, s35, v138
	v_mul_f32_e32 v132, s35, v187
	v_cndmask_b32_e64 v134, 0xff7fffff, v134, s4
	s_delay_alu instid0(VALU_DEP_4)
	v_max3_f32 v135, v136, 0xff7fffff, v135
	v_cmp_gt_i32_e64 s8, s30, v158
	v_lshlrev_b32_e32 v158, 2, v151
	v_cndmask_b32_e64 v133, 0xff7fffff, v133, s5
	v_or_b32_e32 v160, 16, v152
	v_or_b32_e32 v161, 18, v152
	v_dual_mul_f32 v129, s35, v190 :: v_dual_mul_f32 v172, s35, v140
	v_mul_f32_e32 v130, s35, v189
	v_cndmask_b32_e64 v132, 0xff7fffff, v132, s6
	v_cndmask_b32_e64 v131, 0xff7fffff, v131, s7
	v_max3_f32 v133, v135, v134, v133
	v_cmp_gt_i32_e64 s9, s30, v159
	v_or_b32_e32 v162, 20, v152
	v_or_b32_e32 v163, 22, v152
	v_mul_f32_e32 v175, s35, v137
	v_cndmask_b32_e64 v130, 0xff7fffff, v130, s8
	v_cndmask_b32_e64 v129, 0xff7fffff, v129, s9
	v_max3_f32 v131, v133, v132, v131
	v_cmp_gt_i32_e64 s10, s30, v160
	v_cmp_gt_i32_e64 s11, s30, v161
	v_or_b32_e32 v164, 24, v152
	v_or_b32_e32 v165, 26, v152
	v_mul_f32_e32 v173, s35, v139
	v_cndmask_b32_e64 v132, 0xff7fffff, v175, s10
	v_cndmask_b32_e64 v133, 0xff7fffff, v174, s11
	v_max3_f32 v129, v131, v130, v129
	v_cmp_gt_i32_e64 s12, s30, v162
	v_cmp_gt_i32_e64 s13, s30, v163
	v_or_b32_e32 v166, 28, v152
	v_or_b32_e32 v167, 30, v152
	v_dual_mul_f32 v170, s35, v142 :: v_dual_mul_f32 v171, s35, v141
	v_cndmask_b32_e64 v130, 0xff7fffff, v173, s12
	v_cndmask_b32_e64 v131, 0xff7fffff, v172, s13
	v_max3_f32 v129, v129, v132, v133
	v_cmp_gt_i32_e64 s15, s30, v164
	v_cmp_gt_i32_e64 s16, s30, v165
	v_mul_f32_e32 v169, s35, v143
	v_cmp_gt_i32_e64 s17, s30, v166
	v_max3_f32 v129, v129, v130, v131
	v_cndmask_b32_e64 v132, 0xff7fffff, v171, s15
	v_cndmask_b32_e64 v133, 0xff7fffff, v170, s16
	v_cmp_gt_i32_e64 s18, s30, v167
	v_cndmask_b32_e64 v130, 0xff7fffff, v169, s17
	s_delay_alu instid0(VALU_DEP_3) | instskip(NEXT) | instid1(VALU_DEP_3)
	v_max3_f32 v129, v129, v132, v133
	v_cndmask_b32_e64 v131, 0xff7fffff, v168, s18
	s_delay_alu instid0(VALU_DEP_1) | instskip(SKIP_3) | instid1(VALU_DEP_1)
	v_max3_f32 v129, v129, v130, v131
	ds_bpermute_b32 v130, v158, v129
	s_waitcnt lgkmcnt(0)
	v_max_f32_e32 v130, v130, v130
	v_max_f32_e32 v129, v129, v130
	s_delay_alu instid0(VALU_DEP_1)
	v_fma_f32 v130, s35, v183, -v129
	v_fma_f32 v132, s35, v185, -v129
	;; [unrolled: 1-line block ×5, first 2 shown]
	v_mul_f32_e32 v130, 0x3fb8aa3b, v130
	v_mul_f32_e32 v132, 0x3fb8aa3b, v132
	v_fma_f32 v135, s35, v189, -v129
	v_mul_f32_e32 v134, 0x3fb8aa3b, v134
	s_delay_alu instid0(VALU_DEP_4) | instskip(NEXT) | instid1(VALU_DEP_3)
	v_exp_f32_e32 v130, v130
	v_exp_f32_e32 v132, v132
	s_delay_alu instid0(VALU_DEP_1) | instskip(NEXT) | instid1(TRANS32_DEP_3)
	v_exp_f32_e32 v134, v134
	v_cndmask_b32_e32 v152, 0, v130, vcc_lo
	v_fma_f32 v130, s35, v188, -v129
	v_mul_f32_e32 v131, 0x3fb8aa3b, v131
	s_waitcnt_depctr 0xfff
	v_cndmask_b32_e64 v153, 0, v132, s4
	v_fma_f32 v132, s35, v190, -v129
	v_dual_mul_f32 v133, 0x3fb8aa3b, v133 :: v_dual_mul_f32 v130, 0x3fb8aa3b, v130
	v_exp_f32_e32 v131, v131
	v_cndmask_b32_e64 v155, 0, v134, s6
	s_delay_alu instid0(VALU_DEP_3) | instskip(NEXT) | instid1(VALU_DEP_3)
	v_mul_f32_e32 v132, 0x3fb8aa3b, v132
	v_exp_f32_e32 v133, v133
	v_exp_f32_e32 v130, v130
	v_fma_f32 v134, s35, v138, -v129
	s_delay_alu instid0(VALU_DEP_2) | instskip(SKIP_1) | instid1(VALU_DEP_2)
	v_exp_f32_e32 v132, v132
	v_cndmask_b32_e64 v151, 0, v131, s3
	v_dual_add_f32 v131, 0, v152 :: v_dual_mul_f32 v134, 0x3fb8aa3b, v134
	s_delay_alu instid0(TRANS32_DEP_3)
	v_cndmask_b32_e64 v154, 0, v133, s5
	s_waitcnt_depctr 0xfff
	v_cndmask_b32_e64 v156, 0, v130, s7
	v_fma_f32 v133, s35, v137, -v129
	v_add_f32_e32 v131, v131, v151
	v_exp_f32_e32 v134, v134
	v_cmp_gt_u32_e64 s3, 16, v150
	s_delay_alu instid0(VALU_DEP_2) | instskip(NEXT) | instid1(VALU_DEP_1)
	v_add_f32_e32 v131, v131, v153
	v_add_f32_e32 v131, v131, v154
	s_delay_alu instid0(VALU_DEP_1) | instskip(SKIP_1) | instid1(VALU_DEP_2)
	v_dual_mul_f32 v133, 0x3fb8aa3b, v133 :: v_dual_add_f32 v130, v131, v155
	v_fma_f32 v131, s35, v139, -v129
	v_exp_f32_e32 v133, v133
	v_fma_f32 v139, s35, v144, -v129
	s_delay_alu instid0(VALU_DEP_3) | instskip(NEXT) | instid1(VALU_DEP_1)
	v_dual_add_f32 v130, v130, v156 :: v_dual_mul_f32 v135, 0x3fb8aa3b, v135
	v_exp_f32_e32 v135, v135
	s_waitcnt_depctr 0xfff
	v_cndmask_b32_e64 v157, 0, v135, s8
	v_fma_f32 v135, s35, v140, -v129
	v_cndmask_b32_e64 v140, 0, v132, s9
	v_fma_f32 v132, s35, v141, -v129
	s_delay_alu instid0(VALU_DEP_4) | instskip(NEXT) | instid1(VALU_DEP_1)
	v_add_f32_e32 v130, v130, v157
	v_add_f32_e32 v130, v130, v140
	s_delay_alu instid0(VALU_DEP_3) | instskip(SKIP_4) | instid1(VALU_DEP_3)
	v_mul_f32_e32 v137, 0x3fb8aa3b, v132
	v_cndmask_b32_e64 v132, 0, v134, s11
	v_mul_f32_e32 v131, 0x3fb8aa3b, v131
	v_fma_f32 v134, s35, v143, -v129
	v_mul_f32_e32 v135, 0x3fb8aa3b, v135
	v_exp_f32_e32 v136, v131
	v_cndmask_b32_e64 v131, 0, v133, s10
	v_fma_f32 v133, s35, v142, -v129
	s_delay_alu instid0(VALU_DEP_2) | instskip(NEXT) | instid1(VALU_DEP_2)
	v_add_f32_e32 v130, v130, v131
	v_mul_f32_e32 v138, 0x3fb8aa3b, v133
	v_exp_f32_e32 v137, v137
	s_waitcnt_depctr 0xfff
	v_cndmask_b32_e64 v133, 0, v136, s12
	v_mul_f32_e32 v136, 0x3fb8aa3b, v134
	v_exp_f32_e32 v135, v135
	v_add_f32_e32 v130, v130, v132
	v_exp_f32_e32 v138, v138
	s_delay_alu instid0(VALU_DEP_2) | instskip(NEXT) | instid1(VALU_DEP_1)
	v_exp_f32_e32 v141, v136
	v_add_f32_e32 v130, v130, v133
	s_delay_alu instid0(TRANS32_DEP_3)
	v_cndmask_b32_e64 v134, 0, v135, s13
	v_cndmask_b32_e64 v135, 0, v137, s15
	v_mul_f32_e32 v137, 0x3fb8aa3b, v139
	s_waitcnt_depctr 0xfff
	v_cndmask_b32_e64 v136, 0, v138, s16
	v_add_f32_e32 v130, v130, v134
	v_exp_f32_e32 v138, v137
	v_cndmask_b32_e64 v137, 0, v141, s17
	s_delay_alu instid0(VALU_DEP_2) | instskip(NEXT) | instid1(VALU_DEP_1)
	v_add_f32_e32 v130, v130, v135
	v_add_f32_e32 v130, v130, v136
	s_waitcnt_depctr 0xfff
	v_cndmask_b32_e64 v138, 0, v138, s18
	v_add_f32_e32 v130, v130, v137
	s_delay_alu instid0(VALU_DEP_1)
	v_add_f32_e32 v130, v130, v138
	ds_bpermute_b32 v139, v158, v130
	s_and_saveexec_b32 s4, s3
	s_cbranch_execz .LBB412_12
; %bb.11:
	v_mul_u32_u24_e32 v141, 0x44, v149
	s_delay_alu instid0(VALU_DEP_1) | instskip(SKIP_1) | instid1(VALU_DEP_1)
	v_lshl_add_u32 v141, v148, 2, v141
	s_waitcnt lgkmcnt(0)
	v_dual_add_f32 v130, v130, v139 :: v_dual_add_nc_u32 v139, 0x4000, v141
	ds_store_2addr_b32 v139, v129, v130 offset1:136
.LBB412_12:
	s_or_b32 exec_lo, exec_lo, s4
	v_lshlrev_b32_e32 v129, 2, v148
	s_waitcnt lgkmcnt(0)
	s_barrier
	buffer_gl0_inv
	v_cmp_eq_u32_e64 s4, 1, v149
	v_add_nc_u32_e32 v139, 0x4000, v129
	ds_load_2addr_b32 v[141:142], v139 offset1:17
	ds_load_2addr_b32 v[143:144], v139 offset0:34 offset1:51
	ds_load_2addr_b32 v[158:159], v139 offset0:68 offset1:85
	;; [unrolled: 1-line block ×4, first 2 shown]
	s_waitcnt lgkmcnt(4)
	v_max3_f32 v129, v141, 0xff7fffff, v142
	s_waitcnt lgkmcnt(3)
	s_delay_alu instid0(VALU_DEP_1) | instskip(SKIP_1) | instid1(VALU_DEP_1)
	v_max3_f32 v129, v129, v143, v144
	s_waitcnt lgkmcnt(2)
	v_max3_f32 v129, v129, v158, v159
	s_waitcnt lgkmcnt(1)
	s_delay_alu instid0(VALU_DEP_1) | instskip(NEXT) | instid1(VALU_DEP_1)
	v_max3_f32 v129, v129, v160, v161
	v_sub_f32_e32 v158, v158, v129
	s_delay_alu instid0(VALU_DEP_1) | instskip(NEXT) | instid1(VALU_DEP_1)
	v_dual_sub_f32 v150, v142, v129 :: v_dual_mul_f32 v167, 0x3fb8aa3b, v158
	v_dual_sub_f32 v143, v143, v129 :: v_dual_mul_f32 v150, 0x3fb8aa3b, v150
	s_delay_alu instid0(VALU_DEP_1) | instskip(NEXT) | instid1(VALU_DEP_2)
	v_dual_sub_f32 v130, v141, v129 :: v_dual_mul_f32 v165, 0x3fb8aa3b, v143
	v_exp_f32_e32 v150, v150
	s_delay_alu instid0(VALU_DEP_1) | instskip(NEXT) | instid1(VALU_DEP_2)
	v_mul_f32_e32 v130, 0x3fb8aa3b, v130
	v_exp_f32_e32 v165, v165
	s_delay_alu instid0(VALU_DEP_1) | instskip(SKIP_1) | instid1(VALU_DEP_1)
	v_exp_f32_e32 v164, v130
	v_sub_f32_e32 v130, v144, v129
	v_mul_f32_e32 v166, 0x3fb8aa3b, v130
	s_waitcnt lgkmcnt(0)
	s_waitcnt_depctr 0xfff
	v_fma_f32 v130, v164, v162, 0
	v_sub_f32_e32 v162, v159, v129
	s_delay_alu instid0(VALU_DEP_2)
	v_fmac_f32_e32 v130, v150, v163
	ds_load_2addr_b32 v[141:142], v139 offset0:170 offset1:187
	ds_load_2addr_b32 v[143:144], v139 offset0:204 offset1:221
	;; [unrolled: 1-line block ×3, first 2 shown]
	v_sub_f32_e32 v139, v160, v129
	v_exp_f32_e32 v166, v166
	v_mul_f32_e32 v160, 0x3fb8aa3b, v162
	v_exp_f32_e32 v162, v167
	v_cndmask_b32_e64 v150, v164, v150, s4
	v_mul_f32_e32 v139, 0x3fb8aa3b, v139
	v_cmp_eq_u32_e64 s4, 2, v149
	s_waitcnt lgkmcnt(0)
	s_barrier
	buffer_gl0_inv
	v_exp_f32_e32 v139, v139
	v_cndmask_b32_e64 v150, v150, v165, s4
	v_cmp_eq_u32_e64 s4, 3, v149
	v_fmac_f32_e32 v130, v165, v141
	v_sub_f32_e32 v141, v161, v129
	v_exp_f32_e32 v160, v160
	s_delay_alu instid0(VALU_DEP_3) | instskip(SKIP_1) | instid1(VALU_DEP_3)
	v_cndmask_b32_e64 v150, v150, v166, s4
	v_cmp_eq_u32_e64 s4, 4, v149
	v_dual_fmac_f32 v130, v166, v142 :: v_dual_mul_f32 v141, 0x3fb8aa3b, v141
	s_delay_alu instid0(VALU_DEP_2) | instskip(SKIP_1) | instid1(VALU_DEP_3)
	v_cndmask_b32_e64 v150, v150, v162, s4
	v_cmp_eq_u32_e64 s4, 5, v149
	v_exp_f32_e32 v141, v141
	s_delay_alu instid0(VALU_DEP_3)
	v_fmac_f32_e32 v130, v162, v143
	s_delay_alu instid0(TRANS32_DEP_2) | instid1(VALU_DEP_2)
	v_cndmask_b32_e64 v150, v150, v160, s4
	s_delay_alu instid0(VALU_DEP_2) | instskip(NEXT) | instid1(VALU_DEP_1)
	v_fmac_f32_e32 v130, v160, v144
	v_fmac_f32_e32 v130, v139, v158
	s_waitcnt_depctr 0xfff
	v_fmac_f32_e32 v130, v141, v159
	s_delay_alu instid0(VALU_DEP_1) | instskip(NEXT) | instid1(VALU_DEP_1)
	v_add_f32_e32 v142, 0x358637bd, v130
	v_div_scale_f32 v143, null, v142, v142, 1.0
	v_div_scale_f32 v159, vcc_lo, 1.0, v142, 1.0
	s_delay_alu instid0(VALU_DEP_2) | instskip(SKIP_2) | instid1(VALU_DEP_1)
	v_rcp_f32_e32 v144, v143
	s_waitcnt_depctr 0xfff
	v_fma_f32 v158, -v143, v144, 1.0
	v_fmac_f32_e32 v144, v158, v144
	s_delay_alu instid0(VALU_DEP_1) | instskip(NEXT) | instid1(VALU_DEP_1)
	v_mul_f32_e32 v158, v159, v144
	v_fma_f32 v161, -v143, v158, v159
	s_delay_alu instid0(VALU_DEP_1) | instskip(NEXT) | instid1(VALU_DEP_1)
	v_fmac_f32_e32 v158, v161, v144
	v_fma_f32 v143, -v143, v158, v159
	s_delay_alu instid0(VALU_DEP_1) | instskip(SKIP_1) | instid1(VALU_DEP_2)
	v_div_fmas_f32 v143, v143, v144, v158
	v_cmp_eq_u32_e32 vcc_lo, 6, v149
	v_div_fixup_f32 v142, v143, v142, 1.0
	v_cndmask_b32_e32 v139, v150, v139, vcc_lo
	v_cmp_eq_u32_e32 vcc_lo, 7, v149
	s_delay_alu instid0(VALU_DEP_2) | instskip(NEXT) | instid1(VALU_DEP_1)
	v_cndmask_b32_e32 v139, v139, v141, vcc_lo
	v_mul_f32_e32 v139, v139, v142
	s_delay_alu instid0(VALU_DEP_1) | instskip(SKIP_4) | instid1(VALU_DEP_4)
	v_mul_f32_e32 v153, v139, v153
	v_mul_f32_e32 v142, v139, v152
	;; [unrolled: 1-line block ×5, first 2 shown]
	v_dual_mul_f32 v152, v139, v155 :: v_dual_and_b32 v141, 0x7f800000, v142
	v_mul_f32_e32 v154, v139, v154
	v_mul_f32_e32 v144, v139, v151
	s_delay_alu instid0(VALU_DEP_3) | instskip(SKIP_1) | instid1(SALU_CYCLE_1)
	v_cmp_ne_u32_e32 vcc_lo, 0x7f800000, v141
                                        ; implicit-def: $vgpr141
	s_and_saveexec_b32 s4, vcc_lo
	s_xor_b32 s4, exec_lo, s4
; %bb.13:
	v_bfe_u32 v141, v142, 16, 1
	s_delay_alu instid0(VALU_DEP_1)
	v_add3_u32 v141, v142, v141, 0x7fff
                                        ; implicit-def: $vgpr142
; %bb.14:
	s_and_not1_saveexec_b32 s4, s4
; %bb.15:
	v_and_b32_e32 v141, 0xffff, v142
	v_or_b32_e32 v151, 0x10000, v142
	s_delay_alu instid0(VALU_DEP_2) | instskip(NEXT) | instid1(VALU_DEP_2)
	v_cmp_eq_u32_e32 vcc_lo, 0, v141
	v_cndmask_b32_e32 v141, v151, v142, vcc_lo
; %bb.16:
	s_or_b32 exec_lo, exec_lo, s4
	v_and_b32_e32 v142, 0x7f800000, v144
	s_delay_alu instid0(VALU_DEP_1) | instskip(SKIP_1) | instid1(SALU_CYCLE_1)
	v_cmp_ne_u32_e32 vcc_lo, 0x7f800000, v142
                                        ; implicit-def: $vgpr142
	s_and_saveexec_b32 s4, vcc_lo
	s_xor_b32 s4, exec_lo, s4
; %bb.17:
	v_bfe_u32 v142, v144, 16, 1
	s_delay_alu instid0(VALU_DEP_1)
	v_add3_u32 v142, v144, v142, 0x7fff
                                        ; implicit-def: $vgpr144
; %bb.18:
	s_and_not1_saveexec_b32 s4, s4
; %bb.19:
	v_and_b32_e32 v142, 0xffff, v144
	v_or_b32_e32 v151, 0x10000, v144
	s_delay_alu instid0(VALU_DEP_2) | instskip(NEXT) | instid1(VALU_DEP_2)
	v_cmp_eq_u32_e32 vcc_lo, 0, v142
	v_cndmask_b32_e32 v142, v151, v144, vcc_lo
; %bb.20:
	s_or_b32 exec_lo, exec_lo, s4
	v_and_b32_e32 v144, 0x7f800000, v153
	s_delay_alu instid0(VALU_DEP_1) | instskip(SKIP_1) | instid1(SALU_CYCLE_1)
	v_cmp_ne_u32_e32 vcc_lo, 0x7f800000, v144
                                        ; implicit-def: $vgpr144
	s_and_saveexec_b32 s4, vcc_lo
	s_xor_b32 s4, exec_lo, s4
; %bb.21:
	v_bfe_u32 v144, v153, 16, 1
	s_delay_alu instid0(VALU_DEP_1)
	v_add3_u32 v144, v153, v144, 0x7fff
                                        ; implicit-def: $vgpr153
; %bb.22:
	s_and_not1_saveexec_b32 s4, s4
; %bb.23:
	v_and_b32_e32 v144, 0xffff, v153
	v_or_b32_e32 v151, 0x10000, v153
	s_delay_alu instid0(VALU_DEP_2) | instskip(NEXT) | instid1(VALU_DEP_2)
	v_cmp_eq_u32_e32 vcc_lo, 0, v144
	v_cndmask_b32_e32 v144, v151, v153, vcc_lo
; %bb.24:
	s_or_b32 exec_lo, exec_lo, s4
	v_and_b32_e32 v151, 0x7f800000, v154
	s_delay_alu instid0(VALU_DEP_1) | instskip(SKIP_1) | instid1(SALU_CYCLE_1)
	v_cmp_ne_u32_e32 vcc_lo, 0x7f800000, v151
                                        ; implicit-def: $vgpr151
	s_and_saveexec_b32 s4, vcc_lo
	s_xor_b32 s4, exec_lo, s4
; %bb.25:
	v_bfe_u32 v151, v154, 16, 1
	s_delay_alu instid0(VALU_DEP_1)
	v_add3_u32 v151, v154, v151, 0x7fff
                                        ; implicit-def: $vgpr154
; %bb.26:
	s_and_not1_saveexec_b32 s4, s4
; %bb.27:
	v_and_b32_e32 v151, 0xffff, v154
	v_or_b32_e32 v153, 0x10000, v154
	s_delay_alu instid0(VALU_DEP_2) | instskip(NEXT) | instid1(VALU_DEP_2)
	v_cmp_eq_u32_e32 vcc_lo, 0, v151
	v_cndmask_b32_e32 v151, v153, v154, vcc_lo
; %bb.28:
	s_or_b32 exec_lo, exec_lo, s4
	v_and_b32_e32 v153, 0x7f800000, v152
	s_delay_alu instid0(VALU_DEP_1) | instskip(SKIP_1) | instid1(SALU_CYCLE_1)
	v_cmp_ne_u32_e32 vcc_lo, 0x7f800000, v153
                                        ; implicit-def: $vgpr153
	s_and_saveexec_b32 s4, vcc_lo
	s_xor_b32 s4, exec_lo, s4
; %bb.29:
	v_bfe_u32 v153, v152, 16, 1
	s_delay_alu instid0(VALU_DEP_1)
	v_add3_u32 v153, v152, v153, 0x7fff
                                        ; implicit-def: $vgpr152
; %bb.30:
	s_and_not1_saveexec_b32 s4, s4
; %bb.31:
	v_and_b32_e32 v153, 0xffff, v152
	v_or_b32_e32 v154, 0x10000, v152
	s_delay_alu instid0(VALU_DEP_2) | instskip(NEXT) | instid1(VALU_DEP_2)
	v_cmp_eq_u32_e32 vcc_lo, 0, v153
	v_cndmask_b32_e32 v153, v154, v152, vcc_lo
; %bb.32:
	s_or_b32 exec_lo, exec_lo, s4
	v_and_b32_e32 v152, 0x7f800000, v150
	s_delay_alu instid0(VALU_DEP_1) | instskip(SKIP_1) | instid1(SALU_CYCLE_1)
	v_cmp_ne_u32_e32 vcc_lo, 0x7f800000, v152
                                        ; implicit-def: $vgpr152
	s_and_saveexec_b32 s4, vcc_lo
	s_xor_b32 s4, exec_lo, s4
; %bb.33:
	v_bfe_u32 v152, v150, 16, 1
	s_delay_alu instid0(VALU_DEP_1)
	v_add3_u32 v152, v150, v152, 0x7fff
                                        ; implicit-def: $vgpr150
; %bb.34:
	s_and_not1_saveexec_b32 s4, s4
; %bb.35:
	v_and_b32_e32 v152, 0xffff, v150
	v_or_b32_e32 v154, 0x10000, v150
	s_delay_alu instid0(VALU_DEP_2) | instskip(NEXT) | instid1(VALU_DEP_2)
	v_cmp_eq_u32_e32 vcc_lo, 0, v152
	v_cndmask_b32_e32 v152, v154, v150, vcc_lo
; %bb.36:
	s_or_b32 exec_lo, exec_lo, s4
	v_and_b32_e32 v150, 0x7f800000, v143
	s_delay_alu instid0(VALU_DEP_1) | instskip(SKIP_1) | instid1(SALU_CYCLE_1)
	v_cmp_ne_u32_e32 vcc_lo, 0x7f800000, v150
                                        ; implicit-def: $vgpr150
	s_and_saveexec_b32 s4, vcc_lo
	s_xor_b32 s4, exec_lo, s4
; %bb.37:
	v_bfe_u32 v150, v143, 16, 1
	s_delay_alu instid0(VALU_DEP_1)
	v_add3_u32 v150, v143, v150, 0x7fff
                                        ; implicit-def: $vgpr143
; %bb.38:
	s_and_not1_saveexec_b32 s4, s4
; %bb.39:
	v_and_b32_e32 v150, 0xffff, v143
	v_or_b32_e32 v154, 0x10000, v143
	s_delay_alu instid0(VALU_DEP_2) | instskip(NEXT) | instid1(VALU_DEP_2)
	v_cmp_eq_u32_e32 vcc_lo, 0, v150
	v_cndmask_b32_e32 v150, v154, v143, vcc_lo
; %bb.40:
	s_or_b32 exec_lo, exec_lo, s4
	v_and_b32_e32 v143, 0x7f800000, v140
	s_delay_alu instid0(VALU_DEP_1) | instskip(SKIP_1) | instid1(SALU_CYCLE_1)
	v_cmp_ne_u32_e32 vcc_lo, 0x7f800000, v143
                                        ; implicit-def: $vgpr143
	s_and_saveexec_b32 s4, vcc_lo
	s_xor_b32 s4, exec_lo, s4
; %bb.41:
	v_bfe_u32 v143, v140, 16, 1
	s_delay_alu instid0(VALU_DEP_1)
	v_add3_u32 v143, v140, v143, 0x7fff
                                        ; implicit-def: $vgpr140
; %bb.42:
	s_and_not1_saveexec_b32 s4, s4
; %bb.43:
	v_and_b32_e32 v143, 0xffff, v140
	v_or_b32_e32 v154, 0x10000, v140
	s_delay_alu instid0(VALU_DEP_2) | instskip(NEXT) | instid1(VALU_DEP_2)
	v_cmp_eq_u32_e32 vcc_lo, 0, v143
	v_cndmask_b32_e32 v143, v154, v140, vcc_lo
; %bb.44:
	s_or_b32 exec_lo, exec_lo, s4
	s_load_b64 s[36:37], s[0:1], 0x94
	v_dual_mul_f32 v136, v139, v136 :: v_dual_lshlrev_b32 v155, 4, v146
	s_delay_alu instid0(VALU_DEP_2)
	v_perm_b32 v154, v143, v150, 0x7060302
	v_dual_mul_f32 v143, v139, v131 :: v_dual_lshlrev_b32 v140, 6, v148
	v_dual_mul_f32 v135, v139, v135 :: v_dual_lshlrev_b32 v150, 11, v149
	v_perm_b32 v153, v152, v153, 0x7060302
	v_perm_b32 v152, v151, v144, 0x7060302
	;; [unrolled: 1-line block ×3, first 2 shown]
	s_delay_alu instid0(VALU_DEP_4)
	v_or3_b32 v131, v155, v150, v140
	v_mul_f32_e32 v138, v139, v138
	v_dual_mul_f32 v137, v139, v137 :: v_dual_and_b32 v144, 0x7f800000, v143
	v_mul_f32_e32 v141, v139, v134
	v_mul_f32_e32 v142, v139, v133
	;; [unrolled: 1-line block ×3, first 2 shown]
	s_mov_b32 s4, exec_lo
	ds_store_b128 v131, v[151:154]
                                        ; implicit-def: $vgpr132
	v_cmpx_ne_u32_e32 0x7f800000, v144
	s_xor_b32 s4, exec_lo, s4
; %bb.45:
	v_bfe_u32 v132, v143, 16, 1
	s_delay_alu instid0(VALU_DEP_1)
	v_add3_u32 v132, v143, v132, 0x7fff
                                        ; implicit-def: $vgpr143
; %bb.46:
	s_and_not1_saveexec_b32 s4, s4
; %bb.47:
	v_and_b32_e32 v132, 0xffff, v143
	v_or_b32_e32 v133, 0x10000, v143
	s_delay_alu instid0(VALU_DEP_2) | instskip(NEXT) | instid1(VALU_DEP_2)
	v_cmp_eq_u32_e32 vcc_lo, 0, v132
	v_cndmask_b32_e32 v132, v133, v143, vcc_lo
; %bb.48:
	s_or_b32 exec_lo, exec_lo, s4
	v_and_b32_e32 v133, 0x7f800000, v134
	s_delay_alu instid0(VALU_DEP_1) | instskip(SKIP_1) | instid1(SALU_CYCLE_1)
	v_cmp_ne_u32_e32 vcc_lo, 0x7f800000, v133
                                        ; implicit-def: $vgpr133
	s_and_saveexec_b32 s4, vcc_lo
	s_xor_b32 s4, exec_lo, s4
; %bb.49:
	v_bfe_u32 v133, v134, 16, 1
	s_delay_alu instid0(VALU_DEP_1)
	v_add3_u32 v133, v134, v133, 0x7fff
                                        ; implicit-def: $vgpr134
; %bb.50:
	s_and_not1_saveexec_b32 s4, s4
; %bb.51:
	v_and_b32_e32 v133, 0xffff, v134
	v_or_b32_e32 v139, 0x10000, v134
	s_delay_alu instid0(VALU_DEP_2) | instskip(NEXT) | instid1(VALU_DEP_2)
	v_cmp_eq_u32_e32 vcc_lo, 0, v133
	v_cndmask_b32_e32 v133, v139, v134, vcc_lo
; %bb.52:
	s_or_b32 exec_lo, exec_lo, s4
	v_and_b32_e32 v134, 0x7f800000, v142
	s_delay_alu instid0(VALU_DEP_1) | instskip(SKIP_1) | instid1(SALU_CYCLE_1)
	v_cmp_ne_u32_e32 vcc_lo, 0x7f800000, v134
                                        ; implicit-def: $vgpr134
	s_and_saveexec_b32 s4, vcc_lo
	s_xor_b32 s4, exec_lo, s4
; %bb.53:
	v_bfe_u32 v134, v142, 16, 1
	s_delay_alu instid0(VALU_DEP_1)
	v_add3_u32 v134, v142, v134, 0x7fff
                                        ; implicit-def: $vgpr142
; %bb.54:
	s_and_not1_saveexec_b32 s4, s4
; %bb.55:
	v_and_b32_e32 v134, 0xffff, v142
	v_or_b32_e32 v139, 0x10000, v142
	s_delay_alu instid0(VALU_DEP_2) | instskip(NEXT) | instid1(VALU_DEP_2)
	v_cmp_eq_u32_e32 vcc_lo, 0, v134
	v_cndmask_b32_e32 v134, v139, v142, vcc_lo
; %bb.56:
	s_or_b32 exec_lo, exec_lo, s4
	v_and_b32_e32 v139, 0x7f800000, v141
	s_delay_alu instid0(VALU_DEP_1) | instskip(SKIP_1) | instid1(SALU_CYCLE_1)
	v_cmp_ne_u32_e32 vcc_lo, 0x7f800000, v139
                                        ; implicit-def: $vgpr139
	s_and_saveexec_b32 s4, vcc_lo
	s_xor_b32 s4, exec_lo, s4
; %bb.57:
	v_bfe_u32 v139, v141, 16, 1
	s_delay_alu instid0(VALU_DEP_1)
	v_add3_u32 v139, v141, v139, 0x7fff
                                        ; implicit-def: $vgpr141
; %bb.58:
	s_and_not1_saveexec_b32 s4, s4
; %bb.59:
	v_and_b32_e32 v139, 0xffff, v141
	v_or_b32_e32 v142, 0x10000, v141
	s_delay_alu instid0(VALU_DEP_2) | instskip(NEXT) | instid1(VALU_DEP_2)
	v_cmp_eq_u32_e32 vcc_lo, 0, v139
	v_cndmask_b32_e32 v139, v142, v141, vcc_lo
; %bb.60:
	s_or_b32 exec_lo, exec_lo, s4
	v_and_b32_e32 v141, 0x7f800000, v135
	s_delay_alu instid0(VALU_DEP_1) | instskip(SKIP_1) | instid1(SALU_CYCLE_1)
	v_cmp_ne_u32_e32 vcc_lo, 0x7f800000, v141
                                        ; implicit-def: $vgpr141
	s_and_saveexec_b32 s4, vcc_lo
	s_xor_b32 s4, exec_lo, s4
; %bb.61:
	v_bfe_u32 v141, v135, 16, 1
	s_delay_alu instid0(VALU_DEP_1)
	v_add3_u32 v141, v135, v141, 0x7fff
                                        ; implicit-def: $vgpr135
; %bb.62:
	s_and_not1_saveexec_b32 s4, s4
; %bb.63:
	v_and_b32_e32 v141, 0xffff, v135
	v_or_b32_e32 v142, 0x10000, v135
	s_delay_alu instid0(VALU_DEP_2) | instskip(NEXT) | instid1(VALU_DEP_2)
	v_cmp_eq_u32_e32 vcc_lo, 0, v141
	v_cndmask_b32_e32 v141, v142, v135, vcc_lo
; %bb.64:
	s_or_b32 exec_lo, exec_lo, s4
	v_and_b32_e32 v135, 0x7f800000, v136
	s_delay_alu instid0(VALU_DEP_1) | instskip(SKIP_1) | instid1(SALU_CYCLE_1)
	v_cmp_ne_u32_e32 vcc_lo, 0x7f800000, v135
                                        ; implicit-def: $vgpr135
	s_and_saveexec_b32 s4, vcc_lo
	s_xor_b32 s4, exec_lo, s4
; %bb.65:
	v_bfe_u32 v135, v136, 16, 1
	s_delay_alu instid0(VALU_DEP_1)
	v_add3_u32 v135, v136, v135, 0x7fff
                                        ; implicit-def: $vgpr136
; %bb.66:
	s_and_not1_saveexec_b32 s4, s4
; %bb.67:
	v_and_b32_e32 v135, 0xffff, v136
	v_or_b32_e32 v142, 0x10000, v136
	s_delay_alu instid0(VALU_DEP_2) | instskip(NEXT) | instid1(VALU_DEP_2)
	v_cmp_eq_u32_e32 vcc_lo, 0, v135
	v_cndmask_b32_e32 v135, v142, v136, vcc_lo
; %bb.68:
	s_or_b32 exec_lo, exec_lo, s4
	v_and_b32_e32 v136, 0x7f800000, v137
	s_delay_alu instid0(VALU_DEP_1) | instskip(SKIP_1) | instid1(SALU_CYCLE_1)
	v_cmp_ne_u32_e32 vcc_lo, 0x7f800000, v136
                                        ; implicit-def: $vgpr136
	s_and_saveexec_b32 s4, vcc_lo
	s_xor_b32 s4, exec_lo, s4
; %bb.69:
	v_bfe_u32 v136, v137, 16, 1
	s_delay_alu instid0(VALU_DEP_1)
	v_add3_u32 v136, v137, v136, 0x7fff
                                        ; implicit-def: $vgpr137
; %bb.70:
	s_and_not1_saveexec_b32 s4, s4
; %bb.71:
	v_and_b32_e32 v136, 0xffff, v137
	v_or_b32_e32 v142, 0x10000, v137
	s_delay_alu instid0(VALU_DEP_2) | instskip(NEXT) | instid1(VALU_DEP_2)
	v_cmp_eq_u32_e32 vcc_lo, 0, v136
	v_cndmask_b32_e32 v136, v142, v137, vcc_lo
; %bb.72:
	s_or_b32 exec_lo, exec_lo, s4
	v_and_b32_e32 v137, 0x7f800000, v138
	s_delay_alu instid0(VALU_DEP_1) | instskip(SKIP_1) | instid1(SALU_CYCLE_1)
	v_cmp_ne_u32_e32 vcc_lo, 0x7f800000, v137
                                        ; implicit-def: $vgpr137
	s_and_saveexec_b32 s4, vcc_lo
	s_xor_b32 s4, exec_lo, s4
; %bb.73:
	v_bfe_u32 v137, v138, 16, 1
	s_delay_alu instid0(VALU_DEP_1)
	v_add3_u32 v137, v138, v137, 0x7fff
                                        ; implicit-def: $vgpr138
; %bb.74:
	s_and_not1_saveexec_b32 s4, s4
; %bb.75:
	v_and_b32_e32 v137, 0xffff, v138
	v_or_b32_e32 v142, 0x10000, v138
	s_delay_alu instid0(VALU_DEP_2) | instskip(NEXT) | instid1(VALU_DEP_2)
	v_cmp_eq_u32_e32 vcc_lo, 0, v137
	v_cndmask_b32_e32 v137, v142, v138, vcc_lo
; %bb.76:
	s_or_b32 exec_lo, exec_lo, s4
	s_delay_alu instid0(VALU_DEP_1)
	v_perm_b32 v136, v137, v136, 0x7060302
	v_perm_b32 v135, v135, v141, 0x7060302
	;; [unrolled: 1-line block ×4, first 2 shown]
	v_lshl_or_b32 v141, v149, 11, v140
	ds_store_b128 v131, v[133:136] offset:1024
	s_waitcnt lgkmcnt(0)
	s_barrier
	buffer_gl0_inv
	ds_load_b128 v[132:135], v141
	ds_load_b128 v[149:152], v141 offset:16
	s_waitcnt lgkmcnt(1)
	v_lshrrev_b32_e32 v136, 16, v132
	s_waitcnt lgkmcnt(0)
	v_lshrrev_b32_e32 v164, 16, v151
	v_lshlrev_b32_e32 v138, 2, v146
	v_lshrrev_b32_e32 v143, 16, v149
	v_lshrrev_b32_e32 v162, 16, v150
	;; [unrolled: 1-line block ×4, first 2 shown]
	v_or_b32_e32 v139, 1, v138
	v_lshrrev_b32_e32 v165, 16, v152
	v_lshrrev_b32_e32 v163, 16, v135
	s_delay_alu instid0(VALU_DEP_3)
	v_cmp_eq_u32_e64 s8, 1, v139
	v_cmp_eq_u32_e64 s7, 2, v139
	;; [unrolled: 1-line block ×4, first 2 shown]
	v_cmp_eq_u32_e32 vcc_lo, 5, v139
	v_cndmask_b32_e64 v155, v149, v143, s8
	v_cndmask_b32_e64 v154, v132, v136, s8
	v_cmp_eq_u32_e64 s5, 6, v139
	v_cmp_eq_u32_e64 s20, 7, v139
	s_delay_alu instid0(VALU_DEP_4) | instskip(NEXT) | instid1(VALU_DEP_4)
	v_cndmask_b32_e64 v155, v155, v150, s7
	v_cndmask_b32_e64 v154, v154, v133, s7
	s_delay_alu instid0(VALU_DEP_2) | instskip(NEXT) | instid1(VALU_DEP_2)
	v_cndmask_b32_e64 v155, v155, v162, s6
	v_cndmask_b32_e64 v154, v154, v144, s6
	s_delay_alu instid0(VALU_DEP_2) | instskip(NEXT) | instid1(VALU_DEP_2)
	v_cndmask_b32_e64 v155, v155, v151, s4
	v_cndmask_b32_e64 v154, v154, v134, s4
	s_delay_alu instid0(VALU_DEP_2)
	v_cndmask_b32_e32 v157, v155, v164, vcc_lo
	v_cmp_eq_u32_e64 s13, 1, v138
	v_cmp_eq_u32_e64 s12, 2, v138
	;; [unrolled: 1-line block ×3, first 2 shown]
	v_or_b32_e32 v137, 2, v138
	v_cmp_eq_u32_e64 s18, 4, v138
	v_cndmask_b32_e64 v153, v149, v143, s13
	v_cndmask_b32_e64 v142, v132, v136, s13
	v_cmp_eq_u32_e64 s15, 5, v138
	v_cmp_eq_u32_e64 s9, 1, v137
	;; [unrolled: 1-line block ×3, first 2 shown]
	v_cndmask_b32_e64 v153, v153, v150, s12
	v_cndmask_b32_e64 v142, v142, v133, s12
	v_cmp_eq_u32_e64 s11, 2, v137
	v_cndmask_b32_e64 v156, v132, v136, s9
	v_cndmask_b32_e32 v154, v154, v161, vcc_lo
	v_cndmask_b32_e64 v153, v153, v162, s17
	v_cndmask_b32_e64 v142, v142, v144, s17
	v_cmp_eq_u32_e64 s10, 7, v138
	v_cndmask_b32_e64 v156, v156, v133, s11
	v_cmp_eq_u32_e64 s19, 3, v137
	v_cndmask_b32_e64 v153, v153, v151, s18
	v_cndmask_b32_e64 v142, v142, v134, s18
	;; [unrolled: 1-line block ×3, first 2 shown]
	v_cmp_eq_u32_e64 s21, 4, v137
	v_cndmask_b32_e64 v156, v156, v144, s19
	v_cndmask_b32_e64 v153, v153, v164, s15
	;; [unrolled: 1-line block ×4, first 2 shown]
	v_cmp_eq_u32_e64 s23, 5, v137
	v_cndmask_b32_e64 v159, v156, v134, s21
	v_cndmask_b32_e64 v153, v153, v152, s16
	;; [unrolled: 1-line block ×3, first 2 shown]
	v_cmp_eq_u32_e64 s26, 6, v137
	v_cmp_eq_u32_e64 s28, 7, v137
	v_cndmask_b32_e64 v169, v159, v161, s23
	v_cndmask_b32_e64 v167, v153, v165, s10
	;; [unrolled: 1-line block ×4, first 2 shown]
	v_or_b32_e32 v142, 3, v138
	s_delay_alu instid0(VALU_DEP_3)
	v_cndmask_b32_e64 v158, v153, v150, s11
	ds_load_b128 v[153:156], v141 offset:1024
	v_cmp_eq_u32_e64 s22, 1, v142
	v_cmp_eq_u32_e64 s24, 2, v142
	v_cmp_eq_u32_e64 s25, 3, v142
	v_cndmask_b32_e64 v158, v158, v162, s19
	v_cmp_eq_u32_e64 s27, 4, v142
	v_cndmask_b32_e64 v132, v132, v136, s22
	v_cndmask_b32_e64 v136, v157, v152, s5
	;; [unrolled: 1-line block ×4, first 2 shown]
	ds_load_b128 v[157:160], v141 offset:1040
	v_cndmask_b32_e64 v132, v132, v133, s24
	v_cmp_eq_u32_e64 s29, 5, v142
	v_cndmask_b32_e64 v143, v143, v150, s24
	v_cmp_eq_u32_e64 s30, 6, v142
	v_cndmask_b32_e64 v133, v170, v164, s23
	v_cndmask_b32_e64 v132, v132, v144, s25
	;; [unrolled: 1-line block ×5, first 2 shown]
	s_waitcnt lgkmcnt(1)
	v_lshrrev_b32_e32 v149, 16, v153
	v_cndmask_b32_e64 v132, v132, v134, s27
	v_cndmask_b32_e64 v133, v133, v152, s26
	;; [unrolled: 1-line block ×3, first 2 shown]
	v_lshrrev_b32_e32 v151, 16, v154
	v_cndmask_b32_e64 v143, v153, v149, s13
	v_cndmask_b32_e64 v132, v132, v161, s29
	;; [unrolled: 1-line block ×5, first 2 shown]
	s_waitcnt lgkmcnt(0)
	v_lshrrev_b32_e32 v150, 16, v157
	v_cndmask_b32_e64 v143, v143, v154, s12
	v_cndmask_b32_e64 v132, v132, v135, s30
	;; [unrolled: 1-line block ×3, first 2 shown]
	v_lshrrev_b32_e32 v164, 16, v159
	v_cndmask_b32_e64 v162, v157, v150, s13
	v_cndmask_b32_e64 v135, v143, v151, s17
	;; [unrolled: 1-line block ×3, first 2 shown]
	v_lshrrev_b32_e32 v161, 16, v158
	v_cndmask_b32_e64 v133, v133, v165, s28
	v_cndmask_b32_e64 v152, v162, v158, s12
	v_cmp_eq_u32_e64 s12, 7, v142
	v_cndmask_b32_e64 v143, v143, v151, s6
	v_cndmask_b32_e64 v135, v135, v155, s18
	v_lshrrev_b32_e32 v162, 16, v155
	v_cndmask_b32_e64 v152, v152, v161, s17
	v_cndmask_b32_e64 v132, v132, v163, s12
	;; [unrolled: 1-line block ×6, first 2 shown]
	s_delay_alu instid0(VALU_DEP_4) | instskip(NEXT) | instid1(VALU_DEP_4)
	v_perm_b32 v135, v134, v132, 0x5040100
	v_cndmask_b32_e32 v132, v143, v162, vcc_lo
	s_delay_alu instid0(VALU_DEP_4)
	v_cndmask_b32_e64 v143, v163, v156, s16
	v_lshrrev_b32_e32 v163, 16, v156
	v_cndmask_b32_e64 v152, v152, v164, s15
	v_perm_b32 v134, v133, v144, 0x5040100
	v_cndmask_b32_e64 v132, v132, v156, s5
	v_perm_b32 v133, v136, v168, 0x5040100
	v_cndmask_b32_e64 v136, v143, v163, s10
	v_cndmask_b32_e64 v143, v152, v160, s16
	;; [unrolled: 1-line block ×13, first 2 shown]
	v_lshrrev_b32_e32 v144, 16, v160
	v_cndmask_b32_e64 v132, v132, v151, s19
	v_cndmask_b32_e64 v149, v149, v151, s25
	;; [unrolled: 1-line block ×14, first 2 shown]
	v_cndmask_b32_e32 v150, v150, v164, vcc_lo
	v_cndmask_b32_e64 v132, v132, v156, s26
	v_cndmask_b32_e64 v149, v149, v156, s30
	v_cndmask_b32_e64 v151, v151, v160, s30
	v_cndmask_b32_e64 v152, v152, v160, s26
	v_cndmask_b32_e64 v150, v150, v160, s5
	v_cndmask_b32_e64 v153, v132, v163, s28
	v_cndmask_b32_e64 v149, v149, v163, s12
	v_cndmask_b32_e64 v151, v151, v144, s12
	v_cndmask_b32_e64 v154, v152, v144, s28
	v_cndmask_b32_e64 v150, v150, v144, s20
	v_cndmask_b32_e64 v143, v143, v144, s10
	v_perm_b32 v132, v167, v166, 0x5040100
	v_perm_b32 v152, v151, v149, 0x5040100
	;; [unrolled: 1-line block ×5, first 2 shown]
	s_mul_i32 s9, s37, 3
	s_mov_b32 s4, exec_lo
	ds_store_b128 v131, v[132:135]
	ds_store_b128 v131, v[149:152] offset:1024
	v_cmpx_gt_u32_e32 3, v0
	s_cbranch_execz .LBB412_78
; %bb.77:
	s_mul_i32 s5, s9, s34
	s_load_b128 s[16:19], s[0:1], 0x58
	v_add3_u32 v133, s5, s31, v148
	s_delay_alu instid0(VALU_DEP_1) | instskip(NEXT) | instid1(VALU_DEP_1)
	v_mad_u64_u32 v[131:132], null, v133, s36, s[14:15]
	v_ashrrev_i32_e32 v132, 31, v131
	s_delay_alu instid0(VALU_DEP_1) | instskip(SKIP_1) | instid1(VALU_DEP_1)
	v_lshlrev_b64 v[131:132], 2, v[131:132]
	s_waitcnt lgkmcnt(0)
	v_add_co_u32 v133, vcc_lo, s18, v131
	s_delay_alu instid0(VALU_DEP_2)
	v_add_co_ci_u32_e32 v134, vcc_lo, s19, v132, vcc_lo
	v_add_co_u32 v131, vcc_lo, s16, v131
	v_add_co_ci_u32_e32 v132, vcc_lo, s17, v132, vcc_lo
	global_store_b32 v[133:134], v129, off
	global_store_b32 v[131:132], v130, off
.LBB412_78:
	s_or_b32 exec_lo, exec_lo, s4
	s_waitcnt lgkmcnt(0)
	s_waitcnt_vscnt null, 0x0
	s_barrier
	buffer_gl0_inv
	ds_load_b128 v[148:151], v140
	ds_load_b128 v[152:155], v140 offset:16
	ds_load_b128 v[160:163], v140 offset:1040
	;; [unrolled: 1-line block ×3, first 2 shown]
	v_mov_b32_e32 v129, 0
	ds_load_b128 v[168:171], v140 offset:2064
	ds_load_b128 v[164:167], v140 offset:2048
	;; [unrolled: 1-line block ×6, first 2 shown]
	v_mov_b32_e32 v130, v129
	v_mov_b32_e32 v131, v129
	v_mov_b32_e32 v132, v129
	v_mov_b32_e32 v133, v129
	v_mov_b32_e32 v134, v129
	v_mov_b32_e32 v135, v129
	v_mov_b32_e32 v136, v129
	s_waitcnt lgkmcnt(8)
	s_delay_alu instid0(VALU_DEP_1)
	v_wmma_f32_16x16x16_bf16 v[129:136], v[121:128], v[148:155], v[129:136]
	ds_load_b128 v[125:128], v140 offset:5136
	ds_load_b128 v[121:124], v140 offset:5120
	s_waitcnt lgkmcnt(8)
	v_wmma_f32_16x16x16_bf16 v[129:136], v[113:120], v[156:163], v[129:136]
	ds_load_b128 v[117:120], v140 offset:6160
	ds_load_b128 v[113:116], v140 offset:6144
	s_waitcnt lgkmcnt(8)
	;; [unrolled: 4-line block ×8, first 2 shown]
	v_wmma_f32_16x16x16_bf16 v[129:136], v[65:72], v[97:104], v[129:136]
	s_waitcnt lgkmcnt(6)
	s_delay_alu instid0(VALU_DEP_1)
	v_wmma_f32_16x16x16_bf16 v[129:136], v[49:56], v[89:96], v[129:136]
	ds_load_b128 v[53:56], v140 offset:13328
	ds_load_b128 v[49:52], v140 offset:13312
	s_waitcnt lgkmcnt(6)
	v_wmma_f32_16x16x16_bf16 v[129:136], v[41:48], v[81:88], v[129:136]
	ds_load_b128 v[45:48], v140 offset:14352
	ds_load_b128 v[41:44], v140 offset:14336
	s_waitcnt lgkmcnt(6)
	;; [unrolled: 4-line block ×3, first 2 shown]
	v_wmma_f32_16x16x16_bf16 v[129:136], v[1:8], v[57:64], v[129:136]
	s_waitcnt lgkmcnt(4)
	s_delay_alu instid0(VALU_DEP_1) | instskip(SKIP_1) | instid1(VALU_DEP_1)
	v_wmma_f32_16x16x16_bf16 v[129:136], v[25:32], v[49:56], v[129:136]
	s_waitcnt lgkmcnt(2)
	v_wmma_f32_16x16x16_bf16 v[129:136], v[33:40], v[41:48], v[129:136]
	s_waitcnt lgkmcnt(0)
	s_delay_alu instid0(VALU_DEP_1) | instskip(NEXT) | instid1(VALU_DEP_1)
	v_wmma_f32_16x16x16_bf16 v[129:136], v[9:16], v[17:24], v[129:136]
	v_and_b32_e32 v1, 0x7f800000, v129
	s_delay_alu instid0(VALU_DEP_1) | instskip(SKIP_1) | instid1(SALU_CYCLE_1)
	v_cmp_ne_u32_e32 vcc_lo, 0x7f800000, v1
                                        ; implicit-def: $vgpr1
	s_and_saveexec_b32 s4, vcc_lo
	s_xor_b32 s4, exec_lo, s4
; %bb.79:
	v_bfe_u32 v1, v129, 16, 1
	s_delay_alu instid0(VALU_DEP_1)
	v_add3_u32 v1, v129, v1, 0x7fff
; %bb.80:
	s_and_not1_saveexec_b32 s4, s4
; %bb.81:
	v_and_b32_e32 v1, 0xffff, v129
	v_or_b32_e32 v2, 0x10000, v129
	s_delay_alu instid0(VALU_DEP_2) | instskip(NEXT) | instid1(VALU_DEP_2)
	v_cmp_eq_u32_e32 vcc_lo, 0, v1
	v_cndmask_b32_e32 v1, v2, v129, vcc_lo
; %bb.82:
	s_or_b32 exec_lo, exec_lo, s4
	v_and_b32_e32 v2, 0x7f800000, v130
	s_delay_alu instid0(VALU_DEP_1) | instskip(SKIP_1) | instid1(SALU_CYCLE_1)
	v_cmp_ne_u32_e32 vcc_lo, 0x7f800000, v2
                                        ; implicit-def: $vgpr2
	s_and_saveexec_b32 s4, vcc_lo
	s_xor_b32 s4, exec_lo, s4
; %bb.83:
	v_bfe_u32 v2, v130, 16, 1
	s_delay_alu instid0(VALU_DEP_1)
	v_add3_u32 v2, v130, v2, 0x7fff
; %bb.84:
	s_and_not1_saveexec_b32 s4, s4
; %bb.85:
	v_and_b32_e32 v2, 0xffff, v130
	v_or_b32_e32 v3, 0x10000, v130
	s_delay_alu instid0(VALU_DEP_2) | instskip(NEXT) | instid1(VALU_DEP_2)
	v_cmp_eq_u32_e32 vcc_lo, 0, v2
	v_cndmask_b32_e32 v2, v3, v130, vcc_lo
; %bb.86:
	s_or_b32 exec_lo, exec_lo, s4
	v_and_b32_e32 v3, 0x7f800000, v131
	s_delay_alu instid0(VALU_DEP_1) | instskip(SKIP_1) | instid1(SALU_CYCLE_1)
	v_cmp_ne_u32_e32 vcc_lo, 0x7f800000, v3
                                        ; implicit-def: $vgpr3
	s_and_saveexec_b32 s4, vcc_lo
	s_xor_b32 s4, exec_lo, s4
; %bb.87:
	v_bfe_u32 v3, v131, 16, 1
	s_delay_alu instid0(VALU_DEP_1)
	v_add3_u32 v3, v131, v3, 0x7fff
; %bb.88:
	s_and_not1_saveexec_b32 s4, s4
; %bb.89:
	v_and_b32_e32 v3, 0xffff, v131
	v_or_b32_e32 v4, 0x10000, v131
	s_delay_alu instid0(VALU_DEP_2) | instskip(NEXT) | instid1(VALU_DEP_2)
	v_cmp_eq_u32_e32 vcc_lo, 0, v3
	v_cndmask_b32_e32 v3, v4, v131, vcc_lo
; %bb.90:
	s_or_b32 exec_lo, exec_lo, s4
	v_and_b32_e32 v4, 0x7f800000, v132
	s_delay_alu instid0(VALU_DEP_1) | instskip(SKIP_1) | instid1(SALU_CYCLE_1)
	v_cmp_ne_u32_e32 vcc_lo, 0x7f800000, v4
                                        ; implicit-def: $vgpr4
	s_and_saveexec_b32 s4, vcc_lo
	s_xor_b32 s4, exec_lo, s4
; %bb.91:
	v_bfe_u32 v4, v132, 16, 1
	s_delay_alu instid0(VALU_DEP_1)
	v_add3_u32 v4, v132, v4, 0x7fff
; %bb.92:
	s_and_not1_saveexec_b32 s4, s4
; %bb.93:
	v_and_b32_e32 v4, 0xffff, v132
	v_or_b32_e32 v5, 0x10000, v132
	s_delay_alu instid0(VALU_DEP_2) | instskip(NEXT) | instid1(VALU_DEP_2)
	v_cmp_eq_u32_e32 vcc_lo, 0, v4
	v_cndmask_b32_e32 v4, v5, v132, vcc_lo
; %bb.94:
	s_or_b32 exec_lo, exec_lo, s4
	v_and_b32_e32 v5, 0x7f800000, v133
	s_delay_alu instid0(VALU_DEP_1) | instskip(SKIP_1) | instid1(SALU_CYCLE_1)
	v_cmp_ne_u32_e32 vcc_lo, 0x7f800000, v5
                                        ; implicit-def: $vgpr5
	s_and_saveexec_b32 s4, vcc_lo
	s_xor_b32 s4, exec_lo, s4
; %bb.95:
	v_bfe_u32 v5, v133, 16, 1
	s_delay_alu instid0(VALU_DEP_1)
	v_add3_u32 v5, v133, v5, 0x7fff
; %bb.96:
	s_and_not1_saveexec_b32 s4, s4
; %bb.97:
	v_and_b32_e32 v5, 0xffff, v133
	v_or_b32_e32 v6, 0x10000, v133
	s_delay_alu instid0(VALU_DEP_2) | instskip(NEXT) | instid1(VALU_DEP_2)
	v_cmp_eq_u32_e32 vcc_lo, 0, v5
	v_cndmask_b32_e32 v5, v6, v133, vcc_lo
; %bb.98:
	s_or_b32 exec_lo, exec_lo, s4
	v_and_b32_e32 v6, 0x7f800000, v134
	s_delay_alu instid0(VALU_DEP_1) | instskip(SKIP_1) | instid1(SALU_CYCLE_1)
	v_cmp_ne_u32_e32 vcc_lo, 0x7f800000, v6
                                        ; implicit-def: $vgpr6
	s_and_saveexec_b32 s4, vcc_lo
	s_xor_b32 s4, exec_lo, s4
; %bb.99:
	v_bfe_u32 v6, v134, 16, 1
	s_delay_alu instid0(VALU_DEP_1)
	v_add3_u32 v6, v134, v6, 0x7fff
; %bb.100:
	s_and_not1_saveexec_b32 s4, s4
; %bb.101:
	v_and_b32_e32 v6, 0xffff, v134
	v_or_b32_e32 v7, 0x10000, v134
	s_delay_alu instid0(VALU_DEP_2) | instskip(NEXT) | instid1(VALU_DEP_2)
	v_cmp_eq_u32_e32 vcc_lo, 0, v6
	v_cndmask_b32_e32 v6, v7, v134, vcc_lo
; %bb.102:
	s_or_b32 exec_lo, exec_lo, s4
	v_and_b32_e32 v7, 0x7f800000, v135
	s_delay_alu instid0(VALU_DEP_1) | instskip(SKIP_1) | instid1(SALU_CYCLE_1)
	v_cmp_ne_u32_e32 vcc_lo, 0x7f800000, v7
                                        ; implicit-def: $vgpr7
	s_and_saveexec_b32 s4, vcc_lo
	s_xor_b32 s4, exec_lo, s4
; %bb.103:
	v_bfe_u32 v7, v135, 16, 1
	s_delay_alu instid0(VALU_DEP_1)
	v_add3_u32 v7, v135, v7, 0x7fff
; %bb.104:
	s_and_not1_saveexec_b32 s4, s4
; %bb.105:
	v_and_b32_e32 v7, 0xffff, v135
	v_or_b32_e32 v8, 0x10000, v135
	s_delay_alu instid0(VALU_DEP_2) | instskip(NEXT) | instid1(VALU_DEP_2)
	v_cmp_eq_u32_e32 vcc_lo, 0, v7
	v_cndmask_b32_e32 v7, v8, v135, vcc_lo
; %bb.106:
	s_or_b32 exec_lo, exec_lo, s4
	v_and_b32_e32 v8, 0x7f800000, v136
	s_delay_alu instid0(VALU_DEP_1) | instskip(SKIP_1) | instid1(SALU_CYCLE_1)
	v_cmp_ne_u32_e32 vcc_lo, 0x7f800000, v8
                                        ; implicit-def: $vgpr8
	s_and_saveexec_b32 s4, vcc_lo
	s_xor_b32 s4, exec_lo, s4
; %bb.107:
	v_bfe_u32 v8, v136, 16, 1
	s_delay_alu instid0(VALU_DEP_1)
	v_add3_u32 v8, v136, v8, 0x7fff
                                        ; implicit-def: $vgpr129_vgpr130_vgpr131_vgpr132_vgpr133_vgpr134_vgpr135_vgpr136
; %bb.108:
	s_and_not1_saveexec_b32 s4, s4
; %bb.109:
	v_and_b32_e32 v8, 0xffff, v136
	v_or_b32_e32 v9, 0x10000, v136
	s_delay_alu instid0(VALU_DEP_2) | instskip(NEXT) | instid1(VALU_DEP_2)
	v_cmp_eq_u32_e32 vcc_lo, 0, v8
	v_cndmask_b32_e32 v8, v9, v136, vcc_lo
; %bb.110:
	s_or_b32 exec_lo, exec_lo, s4
	s_delay_alu instid0(VALU_DEP_1)
	v_perm_b32 v7, v8, v7, 0x7060302
	v_perm_b32 v6, v6, v5, 0x7060302
	;; [unrolled: 1-line block ×4, first 2 shown]
	v_lshl_or_b32 v9, v146, 4, v141
	s_barrier
	buffer_gl0_inv
	v_cmp_eq_u32_e32 vcc_lo, 1, v138
	ds_store_b128 v9, v[4:7]
	s_waitcnt lgkmcnt(0)
	s_barrier
	buffer_gl0_inv
	ds_load_b128 v[1:4], v141
	ds_load_b128 v[5:8], v141 offset:16
	v_cmp_eq_u32_e64 s5, 2, v138
	v_cmp_eq_u32_e64 s4, 1, v139
	;; [unrolled: 1-line block ×5, first 2 shown]
	s_waitcnt lgkmcnt(1)
	v_lshrrev_b32_e32 v10, 16, v1
	s_waitcnt lgkmcnt(0)
	v_lshrrev_b32_e32 v14, 16, v5
	v_lshrrev_b32_e32 v15, 16, v6
	;; [unrolled: 1-line block ×4, first 2 shown]
	v_cndmask_b32_e64 v20, v1, v10, s4
	v_cndmask_b32_e32 v19, v5, v14, vcc_lo
	v_cndmask_b32_e64 v21, v5, v14, s4
	v_lshrrev_b32_e32 v16, 16, v7
	v_cmp_eq_u32_e64 s4, 1, v137
	v_lshrrev_b32_e32 v13, 16, v4
	v_cndmask_b32_e64 v19, v19, v6, s5
	v_lshrrev_b32_e32 v17, 16, v8
	s_delay_alu instid0(VALU_DEP_4) | instskip(SKIP_1) | instid1(VALU_DEP_4)
	v_cndmask_b32_e64 v22, v1, v10, s4
	v_cndmask_b32_e64 v23, v5, v14, s4
	;; [unrolled: 1-line block ×3, first 2 shown]
	v_cndmask_b32_e32 v18, v1, v10, vcc_lo
	v_cmp_eq_u32_e32 vcc_lo, 2, v139
	v_cmp_eq_u32_e64 s4, 2, v142
	v_cndmask_b32_e64 v22, v22, v2, s8
	v_cndmask_b32_e32 v20, v20, v2, vcc_lo
	v_cndmask_b32_e32 v21, v21, v6, vcc_lo
	v_cmp_eq_u32_e32 vcc_lo, 4, v138
	v_cndmask_b32_e32 v19, v19, v7, vcc_lo
	v_cndmask_b32_e64 v18, v18, v2, s5
	v_cmp_eq_u32_e64 s5, 3, v139
	s_delay_alu instid0(VALU_DEP_2) | instskip(NEXT) | instid1(VALU_DEP_2)
	v_cndmask_b32_e64 v18, v18, v11, s6
	v_cndmask_b32_e64 v21, v21, v15, s5
	v_cmp_eq_u32_e64 s6, 5, v138
	s_delay_alu instid0(VALU_DEP_3) | instskip(SKIP_1) | instid1(VALU_DEP_3)
	v_cndmask_b32_e32 v18, v18, v3, vcc_lo
	v_cmp_eq_u32_e32 vcc_lo, 4, v139
	v_cndmask_b32_e64 v19, v19, v16, s6
	s_delay_alu instid0(VALU_DEP_3) | instskip(SKIP_4) | instid1(VALU_DEP_3)
	v_cndmask_b32_e64 v18, v18, v12, s6
	v_cndmask_b32_e32 v21, v21, v7, vcc_lo
	v_cndmask_b32_e64 v20, v20, v11, s5
	v_cmp_eq_u32_e64 s5, 5, v139
	v_cmp_eq_u32_e64 s6, 6, v138
	v_cndmask_b32_e32 v20, v20, v3, vcc_lo
	s_delay_alu instid0(VALU_DEP_3) | instskip(SKIP_1) | instid1(VALU_DEP_4)
	v_cndmask_b32_e64 v21, v21, v16, s5
	v_cmp_eq_u32_e32 vcc_lo, 6, v139
	v_cndmask_b32_e64 v18, v18, v4, s6
	v_cndmask_b32_e64 v19, v19, v8, s6
	;; [unrolled: 1-line block ×3, first 2 shown]
	v_cmp_eq_u32_e64 s5, 1, v142
	v_cmp_eq_u32_e64 s6, 7, v138
	s_delay_alu instid0(VALU_DEP_3) | instskip(NEXT) | instid1(VALU_DEP_3)
	v_cndmask_b32_e32 v20, v20, v4, vcc_lo
	v_cndmask_b32_e64 v1, v1, v10, s5
	v_cndmask_b32_e64 v5, v5, v14, s5
	v_cmp_eq_u32_e64 s5, 3, v137
	v_cndmask_b32_e64 v14, v23, v6, s8
	v_cmp_eq_u32_e64 s8, 3, v142
	v_cndmask_b32_e64 v1, v1, v2, s4
	v_cndmask_b32_e64 v2, v5, v6, s4
	;; [unrolled: 1-line block ×3, first 2 shown]
	v_cmp_eq_u32_e64 s4, 4, v137
	v_cndmask_b32_e64 v6, v14, v15, s5
	v_cndmask_b32_e64 v1, v1, v11, s8
	v_cmp_eq_u32_e64 s5, 4, v142
	v_cndmask_b32_e64 v2, v2, v15, s8
	v_cndmask_b32_e64 v5, v10, v3, s4
	;; [unrolled: 3-line block ×3, first 2 shown]
	v_cndmask_b32_e64 v2, v2, v7, s5
	v_cmp_eq_u32_e64 s4, 5, v142
	v_cndmask_b32_e64 v5, v5, v12, s8
	v_cmp_eq_u32_e64 s5, 6, v137
	;; [unrolled: 2-line block ×3, first 2 shown]
	v_cndmask_b32_e64 v1, v1, v12, s4
	v_cndmask_b32_e64 v2, v2, v16, s4
	;; [unrolled: 1-line block ×4, first 2 shown]
	v_cmp_eq_u32_e64 s4, 7, v142
	v_cndmask_b32_e64 v1, v1, v4, s8
	v_cndmask_b32_e64 v2, v2, v8, s8
	v_cmp_eq_u32_e64 s5, 7, v137
	v_cndmask_b32_e32 v4, v21, v8, vcc_lo
	v_cndmask_b32_e64 v18, v18, v13, s6
	v_cndmask_b32_e64 v20, v20, v13, s7
	;; [unrolled: 1-line block ×8, first 2 shown]
	v_cmp_gt_u32_e32 vcc_lo, 32, v0
	v_perm_b32 v4, v2, v1, 0x5040100
	v_perm_b32 v3, v3, v5, 0x5040100
	;; [unrolled: 1-line block ×4, first 2 shown]
	s_and_b32 s2, vcc_lo, s2
	ds_store_b128 v9, v[1:4]
	s_waitcnt lgkmcnt(0)
	s_barrier
	buffer_gl0_inv
	s_and_saveexec_b32 s4, s2
	s_cbranch_execz .LBB412_2
; %bb.111:
	s_load_b64 s[4:5], s[0:1], 0x68
	v_lshlrev_b32_e32 v0, 10, v0
	v_lshlrev_b32_e32 v2, 4, v147
	v_add_nc_u32_e32 v1, s31, v146
	s_lshl_b32 s0, s36, 6
	s_delay_alu instid0(SALU_CYCLE_1) | instskip(NEXT) | instid1(VALU_DEP_2)
	s_mul_i32 s1, s0, s34
	v_and_or_b32 v0, 0x3800, v0, v2
	s_mul_i32 s6, s1, s9
	v_mul_lo_u32 v1, v1, s0
	s_ashr_i32 s7, s6, 31
	s_delay_alu instid0(VALU_DEP_2) | instskip(SKIP_1) | instid1(VALU_DEP_2)
	v_lshl_or_b32 v3, v146, 6, v0
	s_lshl_b64 s[6:7], s[6:7], 1
	v_ashrrev_i32_e32 v2, 31, v1
	ds_load_b128 v[3:6], v3
	s_waitcnt lgkmcnt(0)
	s_add_u32 s1, s4, s6
	s_addc_u32 s2, s5, s7
	s_lshl_b32 s4, s14, 6
	v_lshlrev_b64 v[7:8], 1, v[1:2]
	s_ashr_i32 s5, s4, 31
	s_delay_alu instid0(SALU_CYCLE_1) | instskip(NEXT) | instid1(SALU_CYCLE_1)
	s_lshl_b64 s[4:5], s[4:5], 1
	s_add_u32 s1, s1, s4
	s_addc_u32 s2, s2, s5
	v_add_co_u32 v1, s1, s1, v145
	s_delay_alu instid0(VALU_DEP_1) | instskip(NEXT) | instid1(VALU_DEP_2)
	v_add_co_ci_u32_e64 v2, null, s2, 0, s1
	v_add_co_u32 v7, vcc_lo, v1, v7
	s_delay_alu instid0(VALU_DEP_2)
	v_add_co_ci_u32_e32 v8, vcc_lo, v2, v8, vcc_lo
	global_store_b128 v[7:8], v[3:6], off
	s_and_b32 exec_lo, exec_lo, s3
	s_cbranch_execz .LBB412_2
; %bb.112:
	ds_load_b128 v[3:6], v0 offset:128
	s_add_i32 s1, s31, 2
	s_delay_alu instid0(SALU_CYCLE_1) | instskip(NEXT) | instid1(SALU_CYCLE_1)
	s_mul_i32 s0, s1, s0
	s_ashr_i32 s1, s0, 31
	s_delay_alu instid0(SALU_CYCLE_1) | instskip(NEXT) | instid1(SALU_CYCLE_1)
	s_lshl_b64 s[0:1], s[0:1], 1
	v_add_co_u32 v0, vcc_lo, v1, s0
	v_add_co_ci_u32_e32 v1, vcc_lo, s1, v2, vcc_lo
	s_waitcnt lgkmcnt(0)
	global_store_b128 v[0:1], v[3:6], off
	s_nop 0
	s_sendmsg sendmsg(MSG_DEALLOC_VGPRS)
	s_endpgm
	.section	.rodata,"a",@progbits
	.p2align	6, 0x0
	.amdhsa_kernel _Z39paged_attention_ll4mi_QKV_mfma16_kernelI14__hip_bfloat16S0_LN4vllm18Fp8KVCacheDataTypeE0EhLi16ELi64ELi256ELb1ELi3EL8MFMAType0EEvPKT_PKT0_S9_ifPKiSB_SB_iPKfiiiPfSE_PS4_PT2_iSD_SD_
		.amdhsa_group_segment_fixed_size 17472
		.amdhsa_private_segment_fixed_size 0
		.amdhsa_kernarg_size 400
		.amdhsa_user_sgpr_count 13
		.amdhsa_user_sgpr_dispatch_ptr 0
		.amdhsa_user_sgpr_queue_ptr 0
		.amdhsa_user_sgpr_kernarg_segment_ptr 1
		.amdhsa_user_sgpr_dispatch_id 0
		.amdhsa_user_sgpr_private_segment_size 0
		.amdhsa_wavefront_size32 1
		.amdhsa_uses_dynamic_stack 0
		.amdhsa_enable_private_segment 0
		.amdhsa_system_sgpr_workgroup_id_x 1
		.amdhsa_system_sgpr_workgroup_id_y 1
		.amdhsa_system_sgpr_workgroup_id_z 1
		.amdhsa_system_sgpr_workgroup_info 0
		.amdhsa_system_vgpr_workitem_id 0
		.amdhsa_next_free_vgpr 198
		.amdhsa_next_free_sgpr 52
		.amdhsa_reserve_vcc 1
		.amdhsa_float_round_mode_32 0
		.amdhsa_float_round_mode_16_64 0
		.amdhsa_float_denorm_mode_32 3
		.amdhsa_float_denorm_mode_16_64 3
		.amdhsa_dx10_clamp 1
		.amdhsa_ieee_mode 1
		.amdhsa_fp16_overflow 0
		.amdhsa_workgroup_processor_mode 1
		.amdhsa_memory_ordered 1
		.amdhsa_forward_progress 0
		.amdhsa_shared_vgpr_count 0
		.amdhsa_exception_fp_ieee_invalid_op 0
		.amdhsa_exception_fp_denorm_src 0
		.amdhsa_exception_fp_ieee_div_zero 0
		.amdhsa_exception_fp_ieee_overflow 0
		.amdhsa_exception_fp_ieee_underflow 0
		.amdhsa_exception_fp_ieee_inexact 0
		.amdhsa_exception_int_div_zero 0
	.end_amdhsa_kernel
	.section	.text._Z39paged_attention_ll4mi_QKV_mfma16_kernelI14__hip_bfloat16S0_LN4vllm18Fp8KVCacheDataTypeE0EhLi16ELi64ELi256ELb1ELi3EL8MFMAType0EEvPKT_PKT0_S9_ifPKiSB_SB_iPKfiiiPfSE_PS4_PT2_iSD_SD_,"axG",@progbits,_Z39paged_attention_ll4mi_QKV_mfma16_kernelI14__hip_bfloat16S0_LN4vllm18Fp8KVCacheDataTypeE0EhLi16ELi64ELi256ELb1ELi3EL8MFMAType0EEvPKT_PKT0_S9_ifPKiSB_SB_iPKfiiiPfSE_PS4_PT2_iSD_SD_,comdat
.Lfunc_end412:
	.size	_Z39paged_attention_ll4mi_QKV_mfma16_kernelI14__hip_bfloat16S0_LN4vllm18Fp8KVCacheDataTypeE0EhLi16ELi64ELi256ELb1ELi3EL8MFMAType0EEvPKT_PKT0_S9_ifPKiSB_SB_iPKfiiiPfSE_PS4_PT2_iSD_SD_, .Lfunc_end412-_Z39paged_attention_ll4mi_QKV_mfma16_kernelI14__hip_bfloat16S0_LN4vllm18Fp8KVCacheDataTypeE0EhLi16ELi64ELi256ELb1ELi3EL8MFMAType0EEvPKT_PKT0_S9_ifPKiSB_SB_iPKfiiiPfSE_PS4_PT2_iSD_SD_
                                        ; -- End function
	.section	.AMDGPU.csdata,"",@progbits
; Kernel info:
; codeLenInByte = 9960
; NumSgprs: 54
; NumVgprs: 198
; ScratchSize: 0
; MemoryBound: 0
; FloatMode: 240
; IeeeMode: 1
; LDSByteSize: 17472 bytes/workgroup (compile time only)
; SGPRBlocks: 6
; VGPRBlocks: 24
; NumSGPRsForWavesPerEU: 54
; NumVGPRsForWavesPerEU: 198
; Occupancy: 7
; WaveLimiterHint : 1
; COMPUTE_PGM_RSRC2:SCRATCH_EN: 0
; COMPUTE_PGM_RSRC2:USER_SGPR: 13
; COMPUTE_PGM_RSRC2:TRAP_HANDLER: 0
; COMPUTE_PGM_RSRC2:TGID_X_EN: 1
; COMPUTE_PGM_RSRC2:TGID_Y_EN: 1
; COMPUTE_PGM_RSRC2:TGID_Z_EN: 1
; COMPUTE_PGM_RSRC2:TIDIG_COMP_CNT: 0
	.section	.text._Z39paged_attention_ll4mi_QKV_mfma16_kernelI14__hip_bfloat16S0_LN4vllm18Fp8KVCacheDataTypeE0EhLi16ELi64ELi256ELb1ELi4EL8MFMAType0EEvPKT_PKT0_S9_ifPKiSB_SB_iPKfiiiPfSE_PS4_PT2_iSD_SD_,"axG",@progbits,_Z39paged_attention_ll4mi_QKV_mfma16_kernelI14__hip_bfloat16S0_LN4vllm18Fp8KVCacheDataTypeE0EhLi16ELi64ELi256ELb1ELi4EL8MFMAType0EEvPKT_PKT0_S9_ifPKiSB_SB_iPKfiiiPfSE_PS4_PT2_iSD_SD_,comdat
	.protected	_Z39paged_attention_ll4mi_QKV_mfma16_kernelI14__hip_bfloat16S0_LN4vllm18Fp8KVCacheDataTypeE0EhLi16ELi64ELi256ELb1ELi4EL8MFMAType0EEvPKT_PKT0_S9_ifPKiSB_SB_iPKfiiiPfSE_PS4_PT2_iSD_SD_ ; -- Begin function _Z39paged_attention_ll4mi_QKV_mfma16_kernelI14__hip_bfloat16S0_LN4vllm18Fp8KVCacheDataTypeE0EhLi16ELi64ELi256ELb1ELi4EL8MFMAType0EEvPKT_PKT0_S9_ifPKiSB_SB_iPKfiiiPfSE_PS4_PT2_iSD_SD_
	.globl	_Z39paged_attention_ll4mi_QKV_mfma16_kernelI14__hip_bfloat16S0_LN4vllm18Fp8KVCacheDataTypeE0EhLi16ELi64ELi256ELb1ELi4EL8MFMAType0EEvPKT_PKT0_S9_ifPKiSB_SB_iPKfiiiPfSE_PS4_PT2_iSD_SD_
	.p2align	8
	.type	_Z39paged_attention_ll4mi_QKV_mfma16_kernelI14__hip_bfloat16S0_LN4vllm18Fp8KVCacheDataTypeE0EhLi16ELi64ELi256ELb1ELi4EL8MFMAType0EEvPKT_PKT0_S9_ifPKiSB_SB_iPKfiiiPfSE_PS4_PT2_iSD_SD_,@function
_Z39paged_attention_ll4mi_QKV_mfma16_kernelI14__hip_bfloat16S0_LN4vllm18Fp8KVCacheDataTypeE0EhLi16ELi64ELi256ELb1ELi4EL8MFMAType0EEvPKT_PKT0_S9_ifPKiSB_SB_iPKfiiiPfSE_PS4_PT2_iSD_SD_: ; @_Z39paged_attention_ll4mi_QKV_mfma16_kernelI14__hip_bfloat16S0_LN4vllm18Fp8KVCacheDataTypeE0EhLi16ELi64ELi256ELb1ELi4EL8MFMAType0EEvPKT_PKT0_S9_ifPKiSB_SB_iPKfiiiPfSE_PS4_PT2_iSD_SD_
; %bb.0:
	s_load_b64 s[2:3], s[0:1], 0x30
	s_mov_b32 s30, s13
	s_waitcnt lgkmcnt(0)
	s_cmp_lg_u64 s[2:3], 0
	s_cselect_b32 s6, -1, 0
	s_ashr_i32 s31, s13, 31
	s_cmp_eq_u64 s[2:3], 0
	s_cbranch_scc1 .LBB413_3
; %bb.1:
	s_lshl_b64 s[4:5], s[30:31], 2
	s_delay_alu instid0(SALU_CYCLE_1) | instskip(SKIP_4) | instid1(SALU_CYCLE_1)
	s_add_u32 s4, s2, s4
	s_addc_u32 s5, s3, s5
	s_load_b64 s[4:5], s[4:5], 0x0
	s_waitcnt lgkmcnt(0)
	s_sub_i32 s4, s5, s4
	s_cmp_eq_u32 s4, 1
	s_cselect_b32 s4, -1, 0
	s_delay_alu instid0(SALU_CYCLE_1)
	s_and_not1_b32 vcc_lo, exec_lo, s4
	s_cbranch_vccz .LBB413_4
.LBB413_2:
	s_endpgm
.LBB413_3:
.LBB413_4:
	s_load_b64 s[8:9], s[0:1], 0x28
	s_lshl_b64 s[4:5], s[30:31], 2
	s_waitcnt lgkmcnt(0)
	s_add_u32 s8, s8, s4
	s_addc_u32 s9, s9, s5
	s_lshl_b32 s34, s14, 8
	s_load_b32 s33, s[8:9], 0x0
	s_waitcnt lgkmcnt(0)
	s_cmp_ge_i32 s34, s33
	s_cbranch_scc1 .LBB413_2
; %bb.5:
	s_clause 0x1
	s_load_b128 s[8:11], s[0:1], 0x8
	s_load_b64 s[12:13], s[0:1], 0x20
	s_and_not1_b32 vcc_lo, exec_lo, s6
	s_cbranch_vccnz .LBB413_7
; %bb.6:
	s_add_u32 s2, s2, s4
	s_addc_u32 s3, s3, s5
	s_load_b32 s3, s[2:3], 0x0
	s_branch .LBB413_8
.LBB413_7:
	s_mov_b32 s3, s30
.LBB413_8:
	s_load_b128 s[4:7], s[0:1], 0x48
	v_and_b32_e32 v149, 15, v0
	v_cmp_gt_u32_e32 vcc_lo, 64, v0
	v_lshrrev_b32_e32 v148, 5, v0
	v_and_b32_e32 v150, 31, v0
	v_and_b32_e32 v146, 1, v0
	v_lshlrev_b32_e32 v1, 3, v149
	v_cmp_gt_u32_e64 s2, 8, v149
	v_bfe_u32 v147, v0, 4, 1
	s_lshl_b32 s31, s15, 2
	s_delay_alu instid0(VALU_DEP_3) | instskip(NEXT) | instid1(VALU_DEP_3)
	v_lshlrev_b32_e32 v145, 1, v1
	s_and_b32 s16, vcc_lo, s2
	s_waitcnt lgkmcnt(0)
	s_and_saveexec_b32 s7, s16
	s_cbranch_execz .LBB413_10
; %bb.9:
	v_lshl_or_b32 v5, v148, 1, v147
	s_load_b64 s[16:17], s[0:1], 0x0
	s_mul_hi_i32 s19, s3, s4
	s_mul_i32 s18, s3, s4
	v_lshlrev_b32_e32 v6, 10, v149
	v_or_b32_e32 v1, s31, v5
	s_lshl_b64 s[18:19], s[18:19], 1
	v_lshlrev_b32_e32 v5, 6, v5
	v_lshlrev_b32_e32 v7, 10, v146
	v_and_b32_e32 v6, 0x3800, v6
	v_lshlrev_b32_e32 v1, 6, v1
	s_delay_alu instid0(VALU_DEP_2) | instskip(NEXT) | instid1(VALU_DEP_2)
	v_or3_b32 v5, v6, v7, v5
	v_ashrrev_i32_e32 v2, 31, v1
	s_delay_alu instid0(VALU_DEP_1) | instskip(SKIP_3) | instid1(VALU_DEP_1)
	v_lshlrev_b64 v[1:2], 1, v[1:2]
	s_waitcnt lgkmcnt(0)
	s_add_u32 s3, s16, s18
	s_addc_u32 s4, s17, s19
	v_add_co_u32 v1, vcc_lo, s3, v1
	s_delay_alu instid0(VALU_DEP_2) | instskip(NEXT) | instid1(VALU_DEP_2)
	v_add_co_ci_u32_e32 v2, vcc_lo, s4, v2, vcc_lo
	v_add_co_u32 v1, vcc_lo, v1, v145
	s_delay_alu instid0(VALU_DEP_2)
	v_add_co_ci_u32_e32 v2, vcc_lo, 0, v2, vcc_lo
	global_load_b128 v[1:4], v[1:2], off
	s_waitcnt vmcnt(0)
	ds_store_b128 v5, v[1:4]
.LBB413_10:
	s_or_b32 exec_lo, exec_lo, s7
	s_mov_b32 s40, 0
	s_add_i32 s3, s33, 15
	s_mov_b32 s41, s40
	s_mov_b32 s42, s40
	;; [unrolled: 1-line block ×7, first 2 shown]
	s_delay_alu instid0(SALU_CYCLE_1)
	v_dual_mov_b32 v136, s47 :: v_dual_and_b32 v1, 0xef, v0
	v_mov_b32_e32 v134, s45
	s_clause 0x1
	s_load_b32 s4, s[0:1], 0x38
	s_load_b32 s35, s[0:1], 0x1c
	v_add_nc_u32_e32 v1, s34, v1
	s_ashr_i32 s7, s3, 31
	s_waitcnt lgkmcnt(0)
	s_lshr_b32 s7, s7, 28
	s_barrier
	v_ashrrev_i32_e32 v2, 31, v1
	s_add_i32 s3, s3, s7
	v_cmp_gt_i32_e32 vcc_lo, s33, v1
	v_mov_b32_e32 v135, s46
	s_ashr_i32 s3, s3, 4
	v_lshrrev_b32_e32 v3, 28, v2
	v_or_b32_e32 v2, 16, v1
	s_add_i32 s3, s3, -1
	v_mov_b32_e32 v132, s43
	buffer_gl0_inv
	v_add_nc_u32_e32 v4, v1, v3
	v_add_nc_u32_e32 v3, v2, v3
	s_mul_i32 s6, s15, s6
	v_lshlrev_b32_e32 v22, 5, v149
	s_mul_i32 s16, s30, s4
	v_ashrrev_i32_e32 v4, 4, v4
	v_ashrrev_i32_e32 v3, 4, v3
	s_ashr_i32 s17, s16, 31
	v_and_b32_e32 v21, 3, v0
	s_lshl_b64 s[16:17], s[16:17], 2
	v_cndmask_b32_e32 v1, s3, v4, vcc_lo
	v_cmp_gt_i32_e32 vcc_lo, s33, v2
	s_add_u32 s4, s12, s16
	s_addc_u32 s36, s13, s17
	s_ashr_i32 s7, s6, 31
	v_ashrrev_i32_e32 v2, 31, v1
	v_cndmask_b32_e32 v3, s3, v3, vcc_lo
	s_lshl_b64 s[6:7], s[6:7], 1
	v_lshlrev_b32_e32 v197, 6, v21
	s_add_u32 s24, s8, s6
	v_lshlrev_b64 v[1:2], 2, v[1:2]
	v_ashrrev_i32_e32 v4, 31, v3
	s_addc_u32 s25, s9, s7
	s_lshl_b32 s8, s14, 4
	v_mov_b32_e32 v133, s44
	s_ashr_i32 s9, s8, 31
	v_lshlrev_b64 v[3:4], 2, v[3:4]
	v_add_co_u32 v1, vcc_lo, s4, v1
	v_add_co_ci_u32_e32 v2, vcc_lo, s36, v2, vcc_lo
	s_lshl_b64 s[8:9], s[8:9], 2
	s_delay_alu instid0(VALU_DEP_3) | instskip(NEXT) | instid1(VALU_DEP_4)
	v_add_co_u32 v3, vcc_lo, s4, v3
	v_add_co_ci_u32_e32 v4, vcc_lo, s36, v4, vcc_lo
	s_clause 0x1
	global_load_b32 v5, v[1:2], off
	global_load_b32 v6, v[3:4], off
	s_add_u32 s8, s4, s8
	s_addc_u32 s9, s36, s9
	s_or_b32 s12, s34, 16
	v_dual_mov_b32 v130, s41 :: v_dual_lshlrev_b32 v3, 4, v0
	s_ashr_i32 s13, s12, 4
	s_cmp_lt_i32 s12, s33
	v_mov_b32_e32 v131, s42
	s_cselect_b32 s12, s13, s3
	v_mov_b32_e32 v129, s40
	s_ashr_i32 s13, s12, 31
	v_lshl_or_b32 v21, v148, 9, v22
	s_lshl_b64 s[12:13], s[12:13], 2
	s_delay_alu instid0(SALU_CYCLE_1) | instskip(SKIP_2) | instid1(SALU_CYCLE_1)
	s_add_u32 s12, s4, s12
	s_addc_u32 s13, s36, s13
	s_or_b32 s15, s34, 32
	s_ashr_i32 s16, s15, 4
	s_cmp_lt_i32 s15, s33
	s_cselect_b32 s16, s16, s3
	s_delay_alu instid0(SALU_CYCLE_1) | instskip(NEXT) | instid1(SALU_CYCLE_1)
	s_ashr_i32 s17, s16, 31
	s_lshl_b64 s[16:17], s[16:17], 2
	s_delay_alu instid0(SALU_CYCLE_1) | instskip(SKIP_2) | instid1(SALU_CYCLE_1)
	s_add_u32 s16, s4, s16
	s_addc_u32 s17, s36, s17
	s_or_b32 s15, s34, 48
	s_ashr_i32 s18, s15, 4
	s_cmp_lt_i32 s15, s33
	s_cselect_b32 s18, s18, s3
	s_delay_alu instid0(SALU_CYCLE_1) | instskip(NEXT) | instid1(SALU_CYCLE_1)
	s_ashr_i32 s19, s18, 31
	;; [unrolled: 10-line block ×4, first 2 shown]
	s_lshl_b64 s[22:23], s[22:23], 2
	s_delay_alu instid0(SALU_CYCLE_1)
	s_add_u32 s22, s4, s22
	s_addc_u32 s23, s36, s23
	s_clause 0x5
	s_load_b32 s8, s[8:9], 0x0
	s_load_b32 s12, s[12:13], 0x0
	;; [unrolled: 1-line block ×6, first 2 shown]
	s_waitcnt lgkmcnt(0)
	s_mul_hi_i32 s17, s16, s5
	s_mul_i32 s16, s16, s5
	s_waitcnt vmcnt(1)
	v_mad_i64_i32 v[1:2], null, v5, s5, 0
	v_and_b32_e32 v5, 0xf0, v3
	s_waitcnt vmcnt(0)
	v_mad_i64_i32 v[3:4], null, v6, s5, 0
	s_delay_alu instid0(VALU_DEP_2) | instskip(NEXT) | instid1(VALU_DEP_4)
	v_add_co_u32 v5, s9, s24, v5
	v_lshlrev_b64 v[1:2], 1, v[1:2]
	v_add_co_ci_u32_e64 v6, null, s25, 0, s9
	s_delay_alu instid0(VALU_DEP_4) | instskip(SKIP_1) | instid1(VALU_DEP_3)
	v_lshlrev_b64 v[3:4], 1, v[3:4]
	s_or_b32 s9, s34, 0x60
	v_add_co_u32 v17, vcc_lo, v5, v1
	s_delay_alu instid0(VALU_DEP_3) | instskip(NEXT) | instid1(VALU_DEP_3)
	v_add_co_ci_u32_e32 v18, vcc_lo, v6, v2, vcc_lo
	v_add_co_u32 v19, vcc_lo, v5, v3
	s_delay_alu instid0(VALU_DEP_4)
	v_add_co_ci_u32_e32 v20, vcc_lo, v6, v4, vcc_lo
	s_clause 0xb
	global_load_b128 v[1:4], v[17:18], off
	global_load_b128 v[5:8], v[17:18], off offset:256
	global_load_b128 v[137:140], v[19:20], off
	global_load_b128 v[141:144], v[19:20], off offset:256
	global_load_b128 v[33:36], v[17:18], off offset:512
	;; [unrolled: 1-line block ×9, first 2 shown]
	ds_load_b128 v[159:162], v197
	ds_load_b128 v[163:166], v197 offset:1024
	s_clause 0x3
	global_load_b128 v[167:170], v[17:18], off offset:1536
	global_load_b128 v[171:174], v[17:18], off offset:1792
	;; [unrolled: 1-line block ×4, first 2 shown]
	s_ashr_i32 s13, s9, 4
	s_cmp_lt_i32 s9, s33
	s_cselect_b32 s22, s13, s3
	s_delay_alu instid0(SALU_CYCLE_1) | instskip(NEXT) | instid1(SALU_CYCLE_1)
	s_ashr_i32 s23, s22, 31
	s_lshl_b64 s[22:23], s[22:23], 2
	s_delay_alu instid0(SALU_CYCLE_1) | instskip(SKIP_2) | instid1(SALU_CYCLE_1)
	s_add_u32 s22, s4, s22
	s_addc_u32 s23, s36, s23
	s_or_b32 s9, s34, 0x70
	s_ashr_i32 s13, s9, 4
	s_cmp_lt_i32 s9, s33
	s_cselect_b32 s24, s13, s3
	s_delay_alu instid0(SALU_CYCLE_1) | instskip(NEXT) | instid1(SALU_CYCLE_1)
	s_ashr_i32 s25, s24, 31
	s_lshl_b64 s[24:25], s[24:25], 2
	s_delay_alu instid0(SALU_CYCLE_1)
	s_add_u32 s24, s4, s24
	s_addc_u32 s25, s36, s25
	s_or_b32 s9, s34, 0x80
	s_load_b32 s46, s[24:25], 0x0
	s_ashr_i32 s13, s9, 4
	s_cmp_lt_i32 s9, s33
	s_cselect_b32 s26, s13, s3
	s_delay_alu instid0(SALU_CYCLE_1) | instskip(NEXT) | instid1(SALU_CYCLE_1)
	s_ashr_i32 s27, s26, 31
	s_lshl_b64 s[26:27], s[26:27], 2
	s_delay_alu instid0(SALU_CYCLE_1)
	s_add_u32 s26, s4, s26
	s_addc_u32 s27, s36, s27
	s_or_b32 s9, s34, 0x90
	s_load_b32 s47, s[26:27], 0x0
	s_ashr_i32 s13, s9, 4
	s_cmp_lt_i32 s9, s33
	s_cselect_b32 s28, s13, s3
	s_delay_alu instid0(SALU_CYCLE_1) | instskip(NEXT) | instid1(SALU_CYCLE_1)
	s_ashr_i32 s29, s28, 31
	s_lshl_b64 s[28:29], s[28:29], 2
	s_delay_alu instid0(SALU_CYCLE_1) | instskip(SKIP_2) | instid1(SALU_CYCLE_1)
	s_add_u32 s28, s4, s28
	s_addc_u32 s29, s36, s29
	s_or_b32 s9, s34, 0xa0
	s_ashr_i32 s13, s9, 4
	s_cmp_lt_i32 s9, s33
	s_cselect_b32 s38, s13, s3
	s_delay_alu instid0(SALU_CYCLE_1) | instskip(NEXT) | instid1(SALU_CYCLE_1)
	s_ashr_i32 s39, s38, 31
	s_lshl_b64 s[38:39], s[38:39], 2
	s_delay_alu instid0(SALU_CYCLE_1)
	s_add_u32 s38, s4, s38
	s_addc_u32 s39, s36, s39
	s_or_b32 s9, s34, 0xb0
	s_load_b32 s39, s[38:39], 0x0
	s_ashr_i32 s13, s9, 4
	s_cmp_lt_i32 s9, s33
	s_mul_hi_i32 s9, s8, s5
	s_cselect_b32 s40, s13, s3
	s_mul_i32 s8, s8, s5
	s_ashr_i32 s41, s40, 31
	s_mul_hi_i32 s13, s12, s5
	s_lshl_b64 s[40:41], s[40:41], 2
	s_mul_i32 s12, s12, s5
	s_add_u32 s42, s4, s40
	s_addc_u32 s43, s36, s41
	s_or_b32 s19, s34, 0xc0
	s_delay_alu instid0(SALU_CYCLE_1)
	s_ashr_i32 s21, s19, 4
	s_cmp_lt_i32 s19, s33
	s_mul_hi_i32 s19, s18, s5
	s_cselect_b32 s40, s21, s3
	s_mul_i32 s18, s18, s5
	s_ashr_i32 s41, s40, 31
	s_mul_hi_i32 s21, s20, s5
	s_lshl_b64 s[40:41], s[40:41], 2
	s_mul_i32 s20, s20, s5
	s_add_u32 s44, s4, s40
	s_load_b32 s40, s[28:29], 0x0
	s_addc_u32 s45, s36, s41
	s_or_b32 s37, s34, 0xd0
	s_load_b32 s41, s[22:23], 0x0
	s_ashr_i32 s22, s37, 4
	s_cmp_lt_i32 s37, s33
	s_mul_hi_i32 s23, s15, s5
	s_cselect_b32 s24, s22, s3
	s_mul_i32 s22, s15, s5
	s_ashr_i32 s25, s24, 31
	s_waitcnt lgkmcnt(0)
	s_mul_hi_i32 s27, s46, s5
	s_lshl_b64 s[24:25], s[24:25], 2
	s_mul_i32 s26, s46, s5
	s_add_u32 s24, s4, s24
	s_addc_u32 s25, s36, s25
	s_or_b32 s48, s34, 0xe0
	s_clause 0x2
	s_load_b32 s38, s[42:43], 0x0
	s_load_b32 s37, s[44:45], 0x0
	;; [unrolled: 1-line block ×3, first 2 shown]
	s_ashr_i32 s49, s48, 4
	s_cmp_lt_i32 s48, s33
	s_mul_hi_i32 s29, s47, s5
	s_cselect_b32 s42, s49, s3
	s_mul_i32 s28, s47, s5
	s_ashr_i32 s43, s42, 31
	s_mul_hi_i32 s25, s41, s5
	s_lshl_b64 s[42:43], s[42:43], 2
	s_mul_i32 s24, s41, s5
	s_add_u32 s42, s4, s42
	s_addc_u32 s43, s36, s43
	s_or_b32 s46, s34, 0xf0
	s_mul_hi_i32 s41, s40, s5
	s_ashr_i32 s47, s46, 4
	s_cmp_lt_i32 s46, s33
	s_mul_i32 s40, s40, s5
	s_cselect_b32 s46, s47, s3
	s_mul_hi_i32 s45, s39, s5
	s_ashr_i32 s47, s46, 31
	s_mul_i32 s44, s39, s5
	s_lshl_b64 s[46:47], s[46:47], 2
	s_waitcnt lgkmcnt(0)
	s_mul_hi_i32 s39, s38, s5
	s_add_u32 s46, s4, s46
	s_addc_u32 s47, s36, s47
	s_add_u32 s3, s10, s6
	s_addc_u32 s4, s11, s7
	v_add_co_u32 v195, s3, s3, v21
	s_delay_alu instid0(VALU_DEP_1) | instskip(SKIP_2) | instid1(VALU_DEP_2)
	v_add_co_ci_u32_e64 v196, null, s4, 0, s3
	s_lshl_b64 s[6:7], s[8:9], 1
	s_lshl_b64 s[8:9], s[12:13], 1
	v_add_co_u32 v17, vcc_lo, v195, s6
	s_delay_alu instid0(VALU_DEP_2)
	v_add_co_ci_u32_e32 v18, vcc_lo, s7, v196, vcc_lo
	v_add_co_u32 v19, vcc_lo, v195, s8
	s_lshl_b64 s[10:11], s[16:17], 1
	v_add_co_ci_u32_e32 v20, vcc_lo, s9, v196, vcc_lo
	v_add_co_u32 v21, vcc_lo, v195, s10
	s_lshl_b64 s[12:13], s[18:19], 1
	;; [unrolled: 3-line block ×9, first 2 shown]
	s_mul_i32 s38, s38, s5
	v_add_co_ci_u32_e32 v54, vcc_lo, s27, v196, vcc_lo
	v_add_co_u32 v183, vcc_lo, v195, s28
	s_mul_hi_i32 s49, s37, s5
	s_mul_i32 s48, s37, s5
	s_lshl_b64 s[36:37], s[38:39], 1
	v_add_co_ci_u32_e32 v184, vcc_lo, s29, v196, vcc_lo
	v_add_co_u32 v185, vcc_lo, v195, s36
	s_lshl_b64 s[38:39], s[48:49], 1
	s_clause 0x1
	s_load_b32 s3, s[42:43], 0x0
	s_load_b32 s4, s[46:47], 0x0
	v_add_co_ci_u32_e32 v186, vcc_lo, s37, v196, vcc_lo
	v_add_co_u32 v191, vcc_lo, v195, s38
	v_add_co_ci_u32_e32 v192, vcc_lo, s39, v196, vcc_lo
	s_clause 0x17
	global_load_b128 v[121:124], v[17:18], off
	global_load_b128 v[125:128], v[17:18], off offset:16
	global_load_b128 v[113:116], v[19:20], off
	global_load_b128 v[117:120], v[19:20], off offset:16
	;; [unrolled: 2-line block ×12, first 2 shown]
	s_mul_hi_i32 s51, s15, s5
	s_mul_i32 s50, s15, s5
	s_delay_alu instid0(SALU_CYCLE_1) | instskip(NEXT) | instid1(SALU_CYCLE_1)
	s_lshl_b64 s[40:41], s[50:51], 1
	v_add_co_u32 v193, vcc_lo, v195, s40
	v_add_co_ci_u32_e32 v194, vcc_lo, s41, v196, vcc_lo
	s_waitcnt lgkmcnt(0)
	s_mul_hi_i32 s7, s3, s5
	s_mul_i32 s6, s3, s5
	s_mul_hi_i32 s9, s4, s5
	s_lshl_b64 s[6:7], s[6:7], 1
	s_mul_i32 s8, s4, s5
	s_delay_alu instid0(SALU_CYCLE_1)
	s_lshl_b64 s[4:5], s[8:9], 1
	s_waitcnt vmcnt(38)
	v_wmma_f32_16x16x16_bf16 v[183:190], v[1:8], v[159:166], v[129:136]
	s_waitcnt vmcnt(36)
	v_wmma_f32_16x16x16_bf16 v[129:136], v[137:144], v[159:166], v[129:136]
	s_clause 0x1
	global_load_b128 v[1:4], v[191:192], off
	global_load_b128 v[5:8], v[191:192], off offset:16
	ds_load_b128 v[137:140], v197 offset:2048
	ds_load_b128 v[141:144], v197 offset:3072
	;; [unrolled: 1-line block ×4, first 2 shown]
	v_add_co_u32 v191, vcc_lo, v195, s6
	v_add_co_ci_u32_e32 v192, vcc_lo, s7, v196, vcc_lo
	v_add_co_u32 v195, vcc_lo, v195, s4
	v_add_co_ci_u32_e32 v196, vcc_lo, s5, v196, vcc_lo
	s_waitcnt vmcnt(36) lgkmcnt(2)
	v_wmma_f32_16x16x16_bf16 v[183:190], v[33:40], v[137:144], v[183:190]
	s_waitcnt vmcnt(34)
	v_wmma_f32_16x16x16_bf16 v[129:136], v[25:32], v[137:144], v[129:136]
	s_clause 0x3
	global_load_b128 v[25:28], v[193:194], off
	global_load_b128 v[29:32], v[193:194], off offset:16
	global_load_b128 v[33:36], v[191:192], off
	global_load_b128 v[37:40], v[191:192], off offset:16
	v_and_b32_e32 v137, 0xe0, v0
	v_mbcnt_lo_u32_b32 v191, -1, 0
	s_waitcnt vmcnt(36) lgkmcnt(0)
	v_wmma_f32_16x16x16_bf16 v[183:190], v[9:16], v[159:166], v[183:190]
	s_clause 0x1
	global_load_b128 v[9:12], v[195:196], off
	global_load_b128 v[13:16], v[195:196], off offset:16
	s_waitcnt vmcnt(36)
	v_wmma_f32_16x16x16_bf16 v[129:136], v[151:158], v[159:166], v[129:136]
	v_add_nc_u32_e32 v192, s34, v137
	ds_load_b128 v[137:140], v197 offset:6144
	ds_load_b128 v[141:144], v197 offset:7168
	v_xor_b32_e32 v151, 16, v191
	s_waitcnt vmcnt(0) lgkmcnt(0)
	s_barrier
	v_or_b32_e32 v152, v192, v147
	buffer_gl0_inv
	v_cmp_gt_i32_e32 vcc_lo, 32, v151
	v_or_b32_e32 v153, 2, v152
	v_or_b32_e32 v154, 4, v152
	;; [unrolled: 1-line block ×5, first 2 shown]
	v_cmp_gt_i32_e64 s3, s33, v153
	v_cmp_gt_i32_e64 s4, s33, v154
	;; [unrolled: 1-line block ×3, first 2 shown]
	v_or_b32_e32 v158, 12, v152
	v_or_b32_e32 v159, 14, v152
	v_cmp_gt_i32_e64 s6, s33, v156
	v_wmma_f32_16x16x16_bf16 v[183:190], v[167:174], v[137:144], v[183:190]
	v_wmma_f32_16x16x16_bf16 v[129:136], v[175:182], v[137:144], v[129:136]
	v_cndmask_b32_e32 v151, v191, v151, vcc_lo
	v_cmp_gt_i32_e32 vcc_lo, s33, v152
	v_cmp_gt_i32_e64 s7, s33, v157
	v_dual_mul_f32 v143, s35, v184 :: v_dual_mul_f32 v144, s35, v183
	v_dual_mul_f32 v141, s35, v186 :: v_dual_mul_f32 v142, s35, v185
	;; [unrolled: 1-line block ×3, first 2 shown]
	s_delay_alu instid0(VALU_DEP_3) | instskip(NEXT) | instid1(VALU_DEP_4)
	v_cndmask_b32_e32 v144, 0xff7fffff, v144, vcc_lo
	v_cndmask_b32_e64 v143, 0xff7fffff, v143, s3
	v_mul_f32_e32 v140, s35, v187
	v_cndmask_b32_e64 v142, 0xff7fffff, v142, s4
	v_cndmask_b32_e64 v141, 0xff7fffff, v141, s5
	v_or_b32_e32 v160, 16, v152
	v_max3_f32 v143, v144, 0xff7fffff, v143
	v_or_b32_e32 v161, 18, v152
	v_mul_f32_e32 v138, s35, v189
	v_dual_mul_f32 v172, s35, v132 :: v_dual_mul_f32 v137, s35, v190
	v_lshlrev_b32_e32 v154, 2, v151
	v_cndmask_b32_e64 v140, 0xff7fffff, v140, s6
	v_cndmask_b32_e64 v139, 0xff7fffff, v139, s7
	v_max3_f32 v141, v143, v142, v141
	v_cmp_gt_i32_e64 s8, s33, v158
	v_cmp_gt_i32_e64 s9, s33, v159
	v_or_b32_e32 v162, 20, v152
	v_or_b32_e32 v163, 22, v152
	v_mul_f32_e32 v175, s35, v129
	v_cndmask_b32_e64 v138, 0xff7fffff, v138, s8
	v_cndmask_b32_e64 v137, 0xff7fffff, v137, s9
	v_max3_f32 v139, v141, v140, v139
	v_cmp_gt_i32_e64 s10, s33, v160
	v_cmp_gt_i32_e64 s11, s33, v161
	v_or_b32_e32 v164, 24, v152
	v_or_b32_e32 v165, 26, v152
	v_mul_f32_e32 v173, s35, v131
	v_cndmask_b32_e64 v140, 0xff7fffff, v175, s10
	v_cndmask_b32_e64 v141, 0xff7fffff, v174, s11
	v_max3_f32 v137, v139, v138, v137
	v_cmp_gt_i32_e64 s12, s33, v162
	v_cmp_gt_i32_e64 s13, s33, v163
	v_or_b32_e32 v166, 28, v152
	v_or_b32_e32 v167, 30, v152
	v_dual_mul_f32 v170, s35, v134 :: v_dual_mul_f32 v171, s35, v133
	v_cndmask_b32_e64 v138, 0xff7fffff, v173, s12
	v_cndmask_b32_e64 v139, 0xff7fffff, v172, s13
	v_max3_f32 v137, v137, v140, v141
	v_cmp_gt_i32_e64 s15, s33, v164
	v_cmp_gt_i32_e64 s16, s33, v165
	v_dual_mul_f32 v168, s35, v136 :: v_dual_mul_f32 v169, s35, v135
	s_delay_alu instid0(VALU_DEP_4) | instskip(NEXT) | instid1(VALU_DEP_4)
	v_max3_f32 v137, v137, v138, v139
	v_cndmask_b32_e64 v140, 0xff7fffff, v171, s15
	s_delay_alu instid0(VALU_DEP_4) | instskip(SKIP_2) | instid1(VALU_DEP_3)
	v_cndmask_b32_e64 v141, 0xff7fffff, v170, s16
	v_cmp_gt_i32_e64 s17, s33, v166
	v_cmp_gt_i32_e64 s18, s33, v167
	v_max3_f32 v137, v137, v140, v141
	s_delay_alu instid0(VALU_DEP_3) | instskip(NEXT) | instid1(VALU_DEP_3)
	v_cndmask_b32_e64 v138, 0xff7fffff, v169, s17
	v_cndmask_b32_e64 v139, 0xff7fffff, v168, s18
	s_delay_alu instid0(VALU_DEP_1) | instskip(SKIP_3) | instid1(VALU_DEP_1)
	v_max3_f32 v137, v137, v138, v139
	ds_bpermute_b32 v138, v154, v137
	s_waitcnt lgkmcnt(0)
	v_max_f32_e32 v138, v138, v138
	v_max_f32_e32 v139, v137, v138
	s_delay_alu instid0(VALU_DEP_1) | instskip(SKIP_4) | instid1(VALU_DEP_4)
	v_fma_f32 v141, s35, v186, -v139
	v_fma_f32 v130, s35, v130, -v139
	;; [unrolled: 1-line block ×5, first 2 shown]
	v_dual_mul_f32 v141, 0x3fb8aa3b, v141 :: v_dual_mul_f32 v130, 0x3fb8aa3b, v130
	v_fma_f32 v142, s35, v187, -v139
	s_delay_alu instid0(VALU_DEP_4) | instskip(NEXT) | instid1(VALU_DEP_4)
	v_mul_f32_e32 v138, 0x3fb8aa3b, v138
	v_mul_f32_e32 v140, 0x3fb8aa3b, v140
	s_delay_alu instid0(VALU_DEP_4)
	v_exp_f32_e32 v144, v141
	v_fma_f32 v151, s35, v189, -v139
	v_mul_f32_e32 v142, 0x3fb8aa3b, v142
	v_exp_f32_e32 v138, v138
	v_exp_f32_e32 v143, v140
	v_fma_f32 v132, s35, v132, -v139
	v_mul_f32_e32 v151, 0x3fb8aa3b, v151
	v_exp_f32_e32 v152, v142
	v_fma_f32 v129, s35, v129, -v139
	v_fma_f32 v134, s35, v134, -v139
	v_cndmask_b32_e64 v144, 0, v144, s5
	v_dual_mul_f32 v137, 0x3fb8aa3b, v137 :: v_dual_mul_f32 v132, 0x3fb8aa3b, v132
	s_delay_alu instid0(TRANS32_DEP_3) | instskip(NEXT) | instid1(TRANS32_DEP_2)
	v_cndmask_b32_e64 v141, 0, v138, s3
	v_cndmask_b32_e64 v142, 0, v143, s4
	v_fma_f32 v143, s35, v190, -v139
	s_delay_alu instid0(VALU_DEP_4)
	v_exp_f32_e32 v137, v137
	v_exp_f32_e32 v153, v151
	v_cndmask_b32_e64 v151, 0, v152, s6
	v_mul_f32_e32 v129, 0x3fb8aa3b, v129
	v_dual_mul_f32 v143, 0x3fb8aa3b, v143 :: v_dual_mul_f32 v134, 0x3fb8aa3b, v134
	v_fma_f32 v131, s35, v131, -v139
	v_exp_f32_e32 v130, v130
	s_delay_alu instid0(VALU_DEP_3) | instskip(NEXT) | instid1(VALU_DEP_2)
	v_exp_f32_e32 v129, v129
	v_exp_f32_e32 v155, v143
	v_cndmask_b32_e32 v140, 0, v137, vcc_lo
	v_fma_f32 v137, s35, v188, -v139
	v_cndmask_b32_e64 v143, 0, v153, s8
	v_mul_f32_e32 v131, 0x3fb8aa3b, v131
	v_fma_f32 v133, s35, v133, -v139
	s_delay_alu instid0(VALU_DEP_4) | instskip(SKIP_2) | instid1(TRANS32_DEP_1)
	v_dual_add_f32 v138, 0, v140 :: v_dual_mul_f32 v137, 0x3fb8aa3b, v137
	v_fma_f32 v136, s35, v136, -v139
	s_mov_b32 s3, exec_lo
	v_cndmask_b32_e64 v153, 0, v155, s9
	s_delay_alu instid0(VALU_DEP_3) | instskip(SKIP_1) | instid1(VALU_DEP_1)
	v_add_f32_e32 v138, v138, v141
	v_exp_f32_e32 v137, v137
	v_dual_mul_f32 v133, 0x3fb8aa3b, v133 :: v_dual_add_f32 v138, v138, v142
	s_delay_alu instid0(VALU_DEP_1)
	v_add_f32_e32 v138, v138, v144
	s_waitcnt_depctr 0xfff
	v_cndmask_b32_e64 v152, 0, v137, s7
	v_add_f32_e32 v137, v138, v151
	v_exp_f32_e32 v138, v131
	v_cndmask_b32_e64 v131, 0, v129, s10
	s_delay_alu instid0(VALU_DEP_2) | instskip(NEXT) | instid1(VALU_DEP_1)
	v_add_f32_e32 v137, v137, v152
	v_add_f32_e32 v137, v137, v143
	s_delay_alu instid0(VALU_DEP_1)
	v_add_f32_e32 v129, v137, v153
	v_exp_f32_e32 v137, v132
	v_cndmask_b32_e64 v132, 0, v130, s11
	v_fma_f32 v130, s35, v135, -v139
	v_exp_f32_e32 v135, v133
	v_add_f32_e32 v129, v129, v131
	v_cndmask_b32_e64 v133, 0, v138, s12
	v_exp_f32_e32 v138, v134
	s_delay_alu instid0(VALU_DEP_2) | instskip(NEXT) | instid1(TRANS32_DEP_3)
	v_dual_mul_f32 v130, 0x3fb8aa3b, v130 :: v_dual_add_f32 v129, v129, v132
	v_cndmask_b32_e64 v134, 0, v137, s13
	v_mul_f32_e32 v137, 0x3fb8aa3b, v136
	s_delay_alu instid0(VALU_DEP_3) | instskip(NEXT) | instid1(TRANS32_DEP_3)
	v_exp_f32_e32 v130, v130
	v_cndmask_b32_e64 v135, 0, v135, s15
	v_add_f32_e32 v129, v129, v133
	s_delay_alu instid0(TRANS32_DEP_2) | instskip(SKIP_1) | instid1(VALU_DEP_2)
	v_cndmask_b32_e64 v136, 0, v138, s16
	v_exp_f32_e32 v138, v137
	v_add_f32_e32 v129, v129, v134
	s_waitcnt_depctr 0xfff
	v_cndmask_b32_e64 v137, 0, v130, s17
	v_add_f32_e32 v129, v129, v135
	v_cndmask_b32_e64 v138, 0, v138, s18
	s_delay_alu instid0(VALU_DEP_2) | instskip(NEXT) | instid1(VALU_DEP_1)
	v_add_f32_e32 v129, v129, v136
	v_add_f32_e32 v129, v129, v137
	s_delay_alu instid0(VALU_DEP_1)
	v_add_f32_e32 v129, v129, v138
	ds_bpermute_b32 v130, v154, v129
	v_cmpx_gt_u32_e32 16, v150
	s_cbranch_execz .LBB413_12
; %bb.11:
	v_mul_u32_u24_e32 v150, 0x44, v148
	s_waitcnt lgkmcnt(0)
	v_add_f32_e32 v129, v129, v130
	s_delay_alu instid0(VALU_DEP_2) | instskip(NEXT) | instid1(VALU_DEP_1)
	v_lshl_add_u32 v150, v149, 2, v150
	v_add_nc_u32_e32 v130, 0x4000, v150
	ds_store_2addr_b32 v130, v139, v129 offset1:136
.LBB413_12:
	s_or_b32 exec_lo, exec_lo, s3
	v_lshlrev_b32_e32 v129, 2, v149
	s_waitcnt lgkmcnt(0)
	s_barrier
	buffer_gl0_inv
	v_cmp_eq_u32_e64 s3, 1, v148
	v_add_nc_u32_e32 v139, 0x4000, v129
	ds_load_2addr_b32 v[154:155], v139 offset1:17
	ds_load_2addr_b32 v[156:157], v139 offset0:34 offset1:51
	ds_load_2addr_b32 v[158:159], v139 offset0:68 offset1:85
	;; [unrolled: 1-line block ×4, first 2 shown]
	s_waitcnt lgkmcnt(4)
	v_max3_f32 v129, v154, 0xff7fffff, v155
	s_waitcnt lgkmcnt(3)
	s_delay_alu instid0(VALU_DEP_1) | instskip(SKIP_1) | instid1(VALU_DEP_1)
	v_max3_f32 v129, v129, v156, v157
	s_waitcnt lgkmcnt(2)
	v_max3_f32 v129, v129, v158, v159
	s_waitcnt lgkmcnt(1)
	s_delay_alu instid0(VALU_DEP_1) | instskip(NEXT) | instid1(VALU_DEP_1)
	v_max3_f32 v129, v129, v160, v161
	v_sub_f32_e32 v156, v156, v129
	v_sub_f32_e32 v130, v154, v129
	;; [unrolled: 1-line block ×3, first 2 shown]
	s_delay_alu instid0(VALU_DEP_3) | instskip(NEXT) | instid1(VALU_DEP_3)
	v_dual_sub_f32 v150, v155, v129 :: v_dual_mul_f32 v165, 0x3fb8aa3b, v156
	v_mul_f32_e32 v130, 0x3fb8aa3b, v130
	s_delay_alu instid0(VALU_DEP_3) | instskip(NEXT) | instid1(VALU_DEP_3)
	v_mul_f32_e32 v167, 0x3fb8aa3b, v158
	v_mul_f32_e32 v150, 0x3fb8aa3b, v150
	s_delay_alu instid0(VALU_DEP_4) | instskip(NEXT) | instid1(VALU_DEP_3)
	v_exp_f32_e32 v165, v165
	v_exp_f32_e32 v164, v130
	v_sub_f32_e32 v130, v157, v129
	s_delay_alu instid0(VALU_DEP_2) | instskip(NEXT) | instid1(VALU_DEP_1)
	v_exp_f32_e32 v150, v150
	v_mul_f32_e32 v166, 0x3fb8aa3b, v130
	s_waitcnt lgkmcnt(0)
	s_waitcnt_depctr 0xfff
	v_fma_f32 v130, v164, v162, 0
	v_sub_f32_e32 v162, v159, v129
	v_exp_f32_e32 v166, v166
	s_delay_alu instid0(VALU_DEP_2)
	v_fmac_f32_e32 v130, v150, v163
	ds_load_2addr_b32 v[154:155], v139 offset0:170 offset1:187
	ds_load_2addr_b32 v[156:157], v139 offset0:204 offset1:221
	;; [unrolled: 1-line block ×3, first 2 shown]
	v_dual_sub_f32 v139, v160, v129 :: v_dual_mul_f32 v160, 0x3fb8aa3b, v162
	v_exp_f32_e32 v162, v167
	v_cndmask_b32_e64 v150, v164, v150, s3
	v_cmp_eq_u32_e64 s3, 2, v148
	s_delay_alu instid0(VALU_DEP_3)
	v_mul_f32_e32 v139, 0x3fb8aa3b, v139
	v_exp_f32_e32 v160, v160
	s_waitcnt lgkmcnt(0)
	s_barrier
	v_cndmask_b32_e64 v150, v150, v165, s3
	v_exp_f32_e32 v139, v139
	v_cmp_eq_u32_e64 s3, 3, v148
	buffer_gl0_inv
	v_cndmask_b32_e64 v150, v150, v166, s3
	v_fmac_f32_e32 v130, v165, v154
	v_sub_f32_e32 v154, v161, v129
	v_cmp_eq_u32_e64 s3, 4, v148
	s_delay_alu instid0(VALU_DEP_2) | instskip(NEXT) | instid1(VALU_DEP_2)
	v_mul_f32_e32 v154, 0x3fb8aa3b, v154
	v_cndmask_b32_e64 v150, v150, v162, s3
	v_cmp_eq_u32_e64 s3, 5, v148
	s_delay_alu instid0(VALU_DEP_3) | instskip(SKIP_1) | instid1(VALU_DEP_2)
	v_exp_f32_e32 v154, v154
	v_fmac_f32_e32 v130, v166, v155
	v_cndmask_b32_e64 v150, v150, v160, s3
	s_mov_b32 s3, exec_lo
	s_delay_alu instid0(VALU_DEP_2) | instskip(NEXT) | instid1(VALU_DEP_1)
	v_fmac_f32_e32 v130, v162, v156
	v_fmac_f32_e32 v130, v160, v157
	s_delay_alu instid0(VALU_DEP_1) | instskip(SKIP_2) | instid1(VALU_DEP_1)
	v_fmac_f32_e32 v130, v139, v158
	s_waitcnt_depctr 0xfff
	v_fmac_f32_e32 v130, v154, v159
	v_add_f32_e32 v155, 0x358637bd, v130
	s_delay_alu instid0(VALU_DEP_1) | instskip(SKIP_1) | instid1(VALU_DEP_2)
	v_div_scale_f32 v156, null, v155, v155, 1.0
	v_div_scale_f32 v159, vcc_lo, 1.0, v155, 1.0
	v_rcp_f32_e32 v157, v156
	s_waitcnt_depctr 0xfff
	v_fma_f32 v158, -v156, v157, 1.0
	s_delay_alu instid0(VALU_DEP_1) | instskip(NEXT) | instid1(VALU_DEP_1)
	v_fmac_f32_e32 v157, v158, v157
	v_mul_f32_e32 v158, v159, v157
	s_delay_alu instid0(VALU_DEP_1) | instskip(NEXT) | instid1(VALU_DEP_1)
	v_fma_f32 v161, -v156, v158, v159
	v_fmac_f32_e32 v158, v161, v157
	s_delay_alu instid0(VALU_DEP_1) | instskip(NEXT) | instid1(VALU_DEP_1)
	v_fma_f32 v156, -v156, v158, v159
	v_div_fmas_f32 v156, v156, v157, v158
	v_cmp_eq_u32_e32 vcc_lo, 6, v148
	v_cndmask_b32_e32 v139, v150, v139, vcc_lo
	v_cmp_eq_u32_e32 vcc_lo, 7, v148
	s_delay_alu instid0(VALU_DEP_4) | instskip(NEXT) | instid1(VALU_DEP_3)
	v_div_fixup_f32 v150, v156, v155, 1.0
	v_cndmask_b32_e32 v139, v139, v154, vcc_lo
	s_delay_alu instid0(VALU_DEP_1) | instskip(NEXT) | instid1(VALU_DEP_1)
	v_mul_f32_e32 v139, v139, v150
	v_mul_f32_e32 v154, v139, v140
	v_mul_f32_e32 v140, v139, v153
	v_mul_f32_e32 v143, v139, v143
	v_mul_f32_e32 v150, v139, v152
	v_mul_f32_e32 v152, v139, v151
	v_mul_f32_e32 v151, v139, v142
	v_and_b32_e32 v155, 0x7f800000, v154
	v_mul_f32_e32 v153, v139, v144
	v_mul_f32_e32 v144, v139, v141
                                        ; implicit-def: $vgpr141
	s_delay_alu instid0(VALU_DEP_3)
	v_cmpx_ne_u32_e32 0x7f800000, v155
	s_xor_b32 s3, exec_lo, s3
; %bb.13:
	v_bfe_u32 v141, v154, 16, 1
	s_delay_alu instid0(VALU_DEP_1)
	v_add3_u32 v141, v154, v141, 0x7fff
                                        ; implicit-def: $vgpr154
; %bb.14:
	s_and_not1_saveexec_b32 s3, s3
; %bb.15:
	v_and_b32_e32 v141, 0xffff, v154
	v_or_b32_e32 v142, 0x10000, v154
	s_delay_alu instid0(VALU_DEP_2) | instskip(NEXT) | instid1(VALU_DEP_2)
	v_cmp_eq_u32_e32 vcc_lo, 0, v141
	v_cndmask_b32_e32 v141, v142, v154, vcc_lo
; %bb.16:
	s_or_b32 exec_lo, exec_lo, s3
	v_and_b32_e32 v142, 0x7f800000, v144
	s_delay_alu instid0(VALU_DEP_1) | instskip(SKIP_1) | instid1(SALU_CYCLE_1)
	v_cmp_ne_u32_e32 vcc_lo, 0x7f800000, v142
                                        ; implicit-def: $vgpr142
	s_and_saveexec_b32 s3, vcc_lo
	s_xor_b32 s3, exec_lo, s3
; %bb.17:
	v_bfe_u32 v142, v144, 16, 1
	s_delay_alu instid0(VALU_DEP_1)
	v_add3_u32 v142, v144, v142, 0x7fff
                                        ; implicit-def: $vgpr144
; %bb.18:
	s_and_not1_saveexec_b32 s3, s3
; %bb.19:
	v_and_b32_e32 v142, 0xffff, v144
	v_or_b32_e32 v154, 0x10000, v144
	s_delay_alu instid0(VALU_DEP_2) | instskip(NEXT) | instid1(VALU_DEP_2)
	v_cmp_eq_u32_e32 vcc_lo, 0, v142
	v_cndmask_b32_e32 v142, v154, v144, vcc_lo
; %bb.20:
	s_or_b32 exec_lo, exec_lo, s3
	v_and_b32_e32 v144, 0x7f800000, v151
	s_delay_alu instid0(VALU_DEP_1) | instskip(SKIP_1) | instid1(SALU_CYCLE_1)
	v_cmp_ne_u32_e32 vcc_lo, 0x7f800000, v144
                                        ; implicit-def: $vgpr144
	s_and_saveexec_b32 s3, vcc_lo
	s_xor_b32 s3, exec_lo, s3
; %bb.21:
	v_bfe_u32 v144, v151, 16, 1
	s_delay_alu instid0(VALU_DEP_1)
	v_add3_u32 v144, v151, v144, 0x7fff
                                        ; implicit-def: $vgpr151
; %bb.22:
	s_and_not1_saveexec_b32 s3, s3
; %bb.23:
	v_and_b32_e32 v144, 0xffff, v151
	v_or_b32_e32 v154, 0x10000, v151
	s_delay_alu instid0(VALU_DEP_2) | instskip(NEXT) | instid1(VALU_DEP_2)
	v_cmp_eq_u32_e32 vcc_lo, 0, v144
	v_cndmask_b32_e32 v144, v154, v151, vcc_lo
; %bb.24:
	s_or_b32 exec_lo, exec_lo, s3
	v_and_b32_e32 v151, 0x7f800000, v153
	s_delay_alu instid0(VALU_DEP_1) | instskip(SKIP_1) | instid1(SALU_CYCLE_1)
	v_cmp_ne_u32_e32 vcc_lo, 0x7f800000, v151
                                        ; implicit-def: $vgpr151
	s_and_saveexec_b32 s3, vcc_lo
	s_xor_b32 s3, exec_lo, s3
; %bb.25:
	v_bfe_u32 v151, v153, 16, 1
	s_delay_alu instid0(VALU_DEP_1)
	v_add3_u32 v151, v153, v151, 0x7fff
                                        ; implicit-def: $vgpr153
; %bb.26:
	s_and_not1_saveexec_b32 s3, s3
; %bb.27:
	v_and_b32_e32 v151, 0xffff, v153
	v_or_b32_e32 v154, 0x10000, v153
	s_delay_alu instid0(VALU_DEP_2) | instskip(NEXT) | instid1(VALU_DEP_2)
	v_cmp_eq_u32_e32 vcc_lo, 0, v151
	v_cndmask_b32_e32 v151, v154, v153, vcc_lo
; %bb.28:
	s_or_b32 exec_lo, exec_lo, s3
	v_and_b32_e32 v153, 0x7f800000, v152
	s_delay_alu instid0(VALU_DEP_1) | instskip(SKIP_1) | instid1(SALU_CYCLE_1)
	v_cmp_ne_u32_e32 vcc_lo, 0x7f800000, v153
                                        ; implicit-def: $vgpr153
	s_and_saveexec_b32 s3, vcc_lo
	s_xor_b32 s3, exec_lo, s3
; %bb.29:
	v_bfe_u32 v153, v152, 16, 1
	s_delay_alu instid0(VALU_DEP_1)
	v_add3_u32 v153, v152, v153, 0x7fff
                                        ; implicit-def: $vgpr152
; %bb.30:
	s_and_not1_saveexec_b32 s3, s3
; %bb.31:
	v_and_b32_e32 v153, 0xffff, v152
	v_or_b32_e32 v154, 0x10000, v152
	s_delay_alu instid0(VALU_DEP_2) | instskip(NEXT) | instid1(VALU_DEP_2)
	v_cmp_eq_u32_e32 vcc_lo, 0, v153
	v_cndmask_b32_e32 v153, v154, v152, vcc_lo
; %bb.32:
	s_or_b32 exec_lo, exec_lo, s3
	v_and_b32_e32 v152, 0x7f800000, v150
	s_delay_alu instid0(VALU_DEP_1) | instskip(SKIP_1) | instid1(SALU_CYCLE_1)
	v_cmp_ne_u32_e32 vcc_lo, 0x7f800000, v152
                                        ; implicit-def: $vgpr152
	s_and_saveexec_b32 s3, vcc_lo
	s_xor_b32 s3, exec_lo, s3
; %bb.33:
	v_bfe_u32 v152, v150, 16, 1
	s_delay_alu instid0(VALU_DEP_1)
	v_add3_u32 v152, v150, v152, 0x7fff
                                        ; implicit-def: $vgpr150
; %bb.34:
	s_and_not1_saveexec_b32 s3, s3
; %bb.35:
	v_and_b32_e32 v152, 0xffff, v150
	v_or_b32_e32 v154, 0x10000, v150
	s_delay_alu instid0(VALU_DEP_2) | instskip(NEXT) | instid1(VALU_DEP_2)
	v_cmp_eq_u32_e32 vcc_lo, 0, v152
	v_cndmask_b32_e32 v152, v154, v150, vcc_lo
; %bb.36:
	s_or_b32 exec_lo, exec_lo, s3
	v_and_b32_e32 v150, 0x7f800000, v143
	s_delay_alu instid0(VALU_DEP_1) | instskip(SKIP_1) | instid1(SALU_CYCLE_1)
	v_cmp_ne_u32_e32 vcc_lo, 0x7f800000, v150
                                        ; implicit-def: $vgpr150
	s_and_saveexec_b32 s3, vcc_lo
	s_xor_b32 s3, exec_lo, s3
; %bb.37:
	v_bfe_u32 v150, v143, 16, 1
	s_delay_alu instid0(VALU_DEP_1)
	v_add3_u32 v150, v143, v150, 0x7fff
                                        ; implicit-def: $vgpr143
; %bb.38:
	s_and_not1_saveexec_b32 s3, s3
; %bb.39:
	v_and_b32_e32 v150, 0xffff, v143
	v_or_b32_e32 v154, 0x10000, v143
	s_delay_alu instid0(VALU_DEP_2) | instskip(NEXT) | instid1(VALU_DEP_2)
	v_cmp_eq_u32_e32 vcc_lo, 0, v150
	v_cndmask_b32_e32 v150, v154, v143, vcc_lo
; %bb.40:
	s_or_b32 exec_lo, exec_lo, s3
	v_and_b32_e32 v143, 0x7f800000, v140
	s_delay_alu instid0(VALU_DEP_1) | instskip(SKIP_1) | instid1(SALU_CYCLE_1)
	v_cmp_ne_u32_e32 vcc_lo, 0x7f800000, v143
                                        ; implicit-def: $vgpr143
	s_and_saveexec_b32 s3, vcc_lo
	s_xor_b32 s3, exec_lo, s3
; %bb.41:
	v_bfe_u32 v143, v140, 16, 1
	s_delay_alu instid0(VALU_DEP_1)
	v_add3_u32 v143, v140, v143, 0x7fff
                                        ; implicit-def: $vgpr140
; %bb.42:
	s_and_not1_saveexec_b32 s3, s3
; %bb.43:
	v_and_b32_e32 v143, 0xffff, v140
	v_or_b32_e32 v154, 0x10000, v140
	s_delay_alu instid0(VALU_DEP_2) | instskip(NEXT) | instid1(VALU_DEP_2)
	v_cmp_eq_u32_e32 vcc_lo, 0, v143
	v_cndmask_b32_e32 v143, v154, v140, vcc_lo
; %bb.44:
	s_or_b32 exec_lo, exec_lo, s3
	s_load_b64 s[34:35], s[0:1], 0x94
	v_dual_mul_f32 v138, v139, v138 :: v_dual_lshlrev_b32 v155, 4, v147
	s_delay_alu instid0(VALU_DEP_2)
	v_perm_b32 v154, v143, v150, 0x7060302
	v_dual_mul_f32 v143, v139, v131 :: v_dual_lshlrev_b32 v140, 6, v149
	v_lshlrev_b32_e32 v149, 11, v148
	v_perm_b32 v153, v152, v153, 0x7060302
	v_perm_b32 v152, v151, v144, 0x7060302
	;; [unrolled: 1-line block ×3, first 2 shown]
	v_mul_f32_e32 v142, v139, v133
	v_or3_b32 v131, v155, v149, v140
	v_dual_mul_f32 v137, v139, v137 :: v_dual_and_b32 v144, 0x7f800000, v143
	v_mul_f32_e32 v136, v139, v136
	v_mul_f32_e32 v135, v139, v135
	;; [unrolled: 1-line block ×4, first 2 shown]
	s_mov_b32 s3, exec_lo
	ds_store_b128 v131, v[151:154]
                                        ; implicit-def: $vgpr132
	v_cmpx_ne_u32_e32 0x7f800000, v144
	s_xor_b32 s3, exec_lo, s3
; %bb.45:
	v_bfe_u32 v132, v143, 16, 1
	s_delay_alu instid0(VALU_DEP_1)
	v_add3_u32 v132, v143, v132, 0x7fff
                                        ; implicit-def: $vgpr143
; %bb.46:
	s_and_not1_saveexec_b32 s3, s3
; %bb.47:
	v_and_b32_e32 v132, 0xffff, v143
	v_or_b32_e32 v133, 0x10000, v143
	s_delay_alu instid0(VALU_DEP_2) | instskip(NEXT) | instid1(VALU_DEP_2)
	v_cmp_eq_u32_e32 vcc_lo, 0, v132
	v_cndmask_b32_e32 v132, v133, v143, vcc_lo
; %bb.48:
	s_or_b32 exec_lo, exec_lo, s3
	v_and_b32_e32 v133, 0x7f800000, v134
	s_delay_alu instid0(VALU_DEP_1) | instskip(SKIP_1) | instid1(SALU_CYCLE_1)
	v_cmp_ne_u32_e32 vcc_lo, 0x7f800000, v133
                                        ; implicit-def: $vgpr133
	s_and_saveexec_b32 s3, vcc_lo
	s_xor_b32 s3, exec_lo, s3
; %bb.49:
	v_bfe_u32 v133, v134, 16, 1
	s_delay_alu instid0(VALU_DEP_1)
	v_add3_u32 v133, v134, v133, 0x7fff
                                        ; implicit-def: $vgpr134
; %bb.50:
	s_and_not1_saveexec_b32 s3, s3
; %bb.51:
	v_and_b32_e32 v133, 0xffff, v134
	v_or_b32_e32 v139, 0x10000, v134
	s_delay_alu instid0(VALU_DEP_2) | instskip(NEXT) | instid1(VALU_DEP_2)
	v_cmp_eq_u32_e32 vcc_lo, 0, v133
	v_cndmask_b32_e32 v133, v139, v134, vcc_lo
; %bb.52:
	s_or_b32 exec_lo, exec_lo, s3
	v_and_b32_e32 v134, 0x7f800000, v142
	s_delay_alu instid0(VALU_DEP_1) | instskip(SKIP_1) | instid1(SALU_CYCLE_1)
	v_cmp_ne_u32_e32 vcc_lo, 0x7f800000, v134
                                        ; implicit-def: $vgpr134
	s_and_saveexec_b32 s3, vcc_lo
	s_xor_b32 s3, exec_lo, s3
; %bb.53:
	v_bfe_u32 v134, v142, 16, 1
	s_delay_alu instid0(VALU_DEP_1)
	v_add3_u32 v134, v142, v134, 0x7fff
                                        ; implicit-def: $vgpr142
; %bb.54:
	s_and_not1_saveexec_b32 s3, s3
; %bb.55:
	v_and_b32_e32 v134, 0xffff, v142
	v_or_b32_e32 v139, 0x10000, v142
	s_delay_alu instid0(VALU_DEP_2) | instskip(NEXT) | instid1(VALU_DEP_2)
	v_cmp_eq_u32_e32 vcc_lo, 0, v134
	v_cndmask_b32_e32 v134, v139, v142, vcc_lo
; %bb.56:
	s_or_b32 exec_lo, exec_lo, s3
	v_and_b32_e32 v139, 0x7f800000, v141
	s_delay_alu instid0(VALU_DEP_1) | instskip(SKIP_1) | instid1(SALU_CYCLE_1)
	v_cmp_ne_u32_e32 vcc_lo, 0x7f800000, v139
                                        ; implicit-def: $vgpr139
	s_and_saveexec_b32 s3, vcc_lo
	s_xor_b32 s3, exec_lo, s3
; %bb.57:
	v_bfe_u32 v139, v141, 16, 1
	s_delay_alu instid0(VALU_DEP_1)
	v_add3_u32 v139, v141, v139, 0x7fff
                                        ; implicit-def: $vgpr141
; %bb.58:
	s_and_not1_saveexec_b32 s3, s3
; %bb.59:
	v_and_b32_e32 v139, 0xffff, v141
	v_or_b32_e32 v142, 0x10000, v141
	s_delay_alu instid0(VALU_DEP_2) | instskip(NEXT) | instid1(VALU_DEP_2)
	v_cmp_eq_u32_e32 vcc_lo, 0, v139
	v_cndmask_b32_e32 v139, v142, v141, vcc_lo
; %bb.60:
	s_or_b32 exec_lo, exec_lo, s3
	v_and_b32_e32 v141, 0x7f800000, v135
	s_delay_alu instid0(VALU_DEP_1) | instskip(SKIP_1) | instid1(SALU_CYCLE_1)
	v_cmp_ne_u32_e32 vcc_lo, 0x7f800000, v141
                                        ; implicit-def: $vgpr141
	s_and_saveexec_b32 s3, vcc_lo
	s_xor_b32 s3, exec_lo, s3
; %bb.61:
	v_bfe_u32 v141, v135, 16, 1
	s_delay_alu instid0(VALU_DEP_1)
	v_add3_u32 v141, v135, v141, 0x7fff
                                        ; implicit-def: $vgpr135
; %bb.62:
	s_and_not1_saveexec_b32 s3, s3
; %bb.63:
	v_and_b32_e32 v141, 0xffff, v135
	v_or_b32_e32 v142, 0x10000, v135
	s_delay_alu instid0(VALU_DEP_2) | instskip(NEXT) | instid1(VALU_DEP_2)
	v_cmp_eq_u32_e32 vcc_lo, 0, v141
	v_cndmask_b32_e32 v141, v142, v135, vcc_lo
; %bb.64:
	s_or_b32 exec_lo, exec_lo, s3
	v_and_b32_e32 v135, 0x7f800000, v136
	s_delay_alu instid0(VALU_DEP_1) | instskip(SKIP_1) | instid1(SALU_CYCLE_1)
	v_cmp_ne_u32_e32 vcc_lo, 0x7f800000, v135
                                        ; implicit-def: $vgpr135
	s_and_saveexec_b32 s3, vcc_lo
	s_xor_b32 s3, exec_lo, s3
; %bb.65:
	v_bfe_u32 v135, v136, 16, 1
	s_delay_alu instid0(VALU_DEP_1)
	v_add3_u32 v135, v136, v135, 0x7fff
                                        ; implicit-def: $vgpr136
; %bb.66:
	s_and_not1_saveexec_b32 s3, s3
; %bb.67:
	v_and_b32_e32 v135, 0xffff, v136
	v_or_b32_e32 v142, 0x10000, v136
	s_delay_alu instid0(VALU_DEP_2) | instskip(NEXT) | instid1(VALU_DEP_2)
	v_cmp_eq_u32_e32 vcc_lo, 0, v135
	v_cndmask_b32_e32 v135, v142, v136, vcc_lo
; %bb.68:
	s_or_b32 exec_lo, exec_lo, s3
	v_and_b32_e32 v136, 0x7f800000, v137
	s_delay_alu instid0(VALU_DEP_1) | instskip(SKIP_1) | instid1(SALU_CYCLE_1)
	v_cmp_ne_u32_e32 vcc_lo, 0x7f800000, v136
                                        ; implicit-def: $vgpr136
	s_and_saveexec_b32 s3, vcc_lo
	s_xor_b32 s3, exec_lo, s3
; %bb.69:
	v_bfe_u32 v136, v137, 16, 1
	s_delay_alu instid0(VALU_DEP_1)
	v_add3_u32 v136, v137, v136, 0x7fff
                                        ; implicit-def: $vgpr137
; %bb.70:
	s_and_not1_saveexec_b32 s3, s3
; %bb.71:
	v_and_b32_e32 v136, 0xffff, v137
	v_or_b32_e32 v142, 0x10000, v137
	s_delay_alu instid0(VALU_DEP_2) | instskip(NEXT) | instid1(VALU_DEP_2)
	v_cmp_eq_u32_e32 vcc_lo, 0, v136
	v_cndmask_b32_e32 v136, v142, v137, vcc_lo
; %bb.72:
	s_or_b32 exec_lo, exec_lo, s3
	v_and_b32_e32 v137, 0x7f800000, v138
	s_delay_alu instid0(VALU_DEP_1) | instskip(SKIP_1) | instid1(SALU_CYCLE_1)
	v_cmp_ne_u32_e32 vcc_lo, 0x7f800000, v137
                                        ; implicit-def: $vgpr137
	s_and_saveexec_b32 s3, vcc_lo
	s_xor_b32 s3, exec_lo, s3
; %bb.73:
	v_bfe_u32 v137, v138, 16, 1
	s_delay_alu instid0(VALU_DEP_1)
	v_add3_u32 v137, v138, v137, 0x7fff
                                        ; implicit-def: $vgpr138
; %bb.74:
	s_and_not1_saveexec_b32 s3, s3
; %bb.75:
	v_and_b32_e32 v137, 0xffff, v138
	v_or_b32_e32 v142, 0x10000, v138
	s_delay_alu instid0(VALU_DEP_2) | instskip(NEXT) | instid1(VALU_DEP_2)
	v_cmp_eq_u32_e32 vcc_lo, 0, v137
	v_cndmask_b32_e32 v137, v142, v138, vcc_lo
; %bb.76:
	s_or_b32 exec_lo, exec_lo, s3
	s_delay_alu instid0(VALU_DEP_1)
	v_perm_b32 v136, v137, v136, 0x7060302
	v_perm_b32 v135, v135, v141, 0x7060302
	;; [unrolled: 1-line block ×4, first 2 shown]
	v_lshl_or_b32 v141, v148, 11, v140
	ds_store_b128 v131, v[133:136] offset:1024
	s_waitcnt lgkmcnt(0)
	s_barrier
	buffer_gl0_inv
	ds_load_b128 v[132:135], v141
	ds_load_b128 v[148:151], v141 offset:16
	s_waitcnt lgkmcnt(1)
	v_lshrrev_b32_e32 v160, 16, v134
	v_lshlrev_b32_e32 v138, 2, v147
	v_lshrrev_b32_e32 v136, 16, v132
	v_lshrrev_b32_e32 v144, 16, v133
	s_waitcnt lgkmcnt(0)
	v_lshrrev_b32_e32 v143, 16, v148
	v_lshrrev_b32_e32 v161, 16, v149
	v_or_b32_e32 v139, 1, v138
	v_lshrrev_b32_e32 v163, 16, v150
	v_lshrrev_b32_e32 v164, 16, v151
	;; [unrolled: 1-line block ×3, first 2 shown]
	s_delay_alu instid0(VALU_DEP_4)
	v_cmp_eq_u32_e64 s7, 1, v139
	v_cmp_eq_u32_e64 s6, 2, v139
	;; [unrolled: 1-line block ×4, first 2 shown]
	v_cmp_eq_u32_e32 vcc_lo, 5, v139
	v_cndmask_b32_e64 v153, v132, v136, s7
	v_cndmask_b32_e64 v154, v148, v143, s7
	v_cmp_eq_u32_e64 s4, 6, v139
	v_cmp_eq_u32_e64 s19, 7, v139
	s_delay_alu instid0(VALU_DEP_4) | instskip(NEXT) | instid1(VALU_DEP_4)
	v_cndmask_b32_e64 v153, v153, v133, s6
	v_cndmask_b32_e64 v154, v154, v149, s6
	s_delay_alu instid0(VALU_DEP_2) | instskip(NEXT) | instid1(VALU_DEP_2)
	v_cndmask_b32_e64 v153, v153, v144, s5
	v_cndmask_b32_e64 v154, v154, v161, s5
	s_delay_alu instid0(VALU_DEP_2) | instskip(NEXT) | instid1(VALU_DEP_2)
	v_cndmask_b32_e64 v153, v153, v134, s3
	v_cndmask_b32_e64 v154, v154, v150, s3
	s_delay_alu instid0(VALU_DEP_2)
	v_cndmask_b32_e32 v153, v153, v160, vcc_lo
	v_cmp_eq_u32_e64 s12, 1, v138
	v_cmp_eq_u32_e64 s11, 2, v138
	v_cmp_eq_u32_e64 s16, 3, v138
	v_or_b32_e32 v137, 2, v138
	v_cmp_eq_u32_e64 s17, 4, v138
	v_cndmask_b32_e64 v152, v148, v143, s12
	v_cndmask_b32_e64 v142, v132, v136, s12
	v_cmp_eq_u32_e64 s13, 5, v138
	v_cmp_eq_u32_e64 s8, 1, v137
	;; [unrolled: 1-line block ×3, first 2 shown]
	v_cndmask_b32_e64 v152, v152, v149, s11
	v_cndmask_b32_e64 v142, v142, v133, s11
	v_cmp_eq_u32_e64 s10, 2, v137
	v_cndmask_b32_e64 v155, v132, v136, s8
	v_cmp_eq_u32_e64 s9, 7, v138
	v_cndmask_b32_e64 v152, v152, v161, s16
	v_cndmask_b32_e64 v142, v142, v144, s16
	v_cmp_eq_u32_e64 s18, 3, v137
	v_cndmask_b32_e64 v155, v155, v133, s10
	v_cndmask_b32_e64 v153, v153, v135, s4
	v_cndmask_b32_e64 v152, v152, v150, s17
	v_cndmask_b32_e64 v142, v142, v134, s17
	v_cmp_eq_u32_e64 s20, 4, v137
	v_cndmask_b32_e64 v155, v155, v144, s18
	v_cndmask_b32_e64 v167, v153, v162, s19
	;; [unrolled: 1-line block ×4, first 2 shown]
	v_cndmask_b32_e32 v156, v154, v163, vcc_lo
	v_cndmask_b32_e64 v158, v155, v134, s20
	v_cmp_eq_u32_e64 s22, 5, v137
	v_cndmask_b32_e64 v152, v152, v151, s15
	v_cndmask_b32_e64 v142, v142, v135, s15
	v_cmp_eq_u32_e64 s25, 6, v137
	v_cmp_eq_u32_e64 s27, 7, v137
	v_cndmask_b32_e64 v168, v158, v160, s22
	v_cndmask_b32_e64 v166, v152, v164, s9
	;; [unrolled: 1-line block ×4, first 2 shown]
	v_or_b32_e32 v142, 3, v138
	s_delay_alu instid0(VALU_DEP_3)
	v_cndmask_b32_e64 v157, v152, v149, s10
	ds_load_b128 v[152:155], v141 offset:1024
	v_cmp_eq_u32_e64 s21, 1, v142
	v_cmp_eq_u32_e64 s23, 2, v142
	;; [unrolled: 1-line block ×3, first 2 shown]
	v_cndmask_b32_e64 v157, v157, v161, s18
	v_cmp_eq_u32_e64 s26, 4, v142
	v_cndmask_b32_e64 v132, v132, v136, s21
	v_cndmask_b32_e64 v136, v156, v151, s4
	;; [unrolled: 1-line block ×4, first 2 shown]
	ds_load_b128 v[156:159], v141 offset:1040
	v_cndmask_b32_e64 v132, v132, v133, s23
	v_cmp_eq_u32_e64 s28, 5, v142
	v_cndmask_b32_e64 v143, v143, v149, s23
	v_cmp_eq_u32_e64 s29, 6, v142
	v_cndmask_b32_e64 v133, v169, v163, s22
	v_cndmask_b32_e64 v132, v132, v144, s24
	;; [unrolled: 1-line block ×5, first 2 shown]
	s_waitcnt lgkmcnt(1)
	v_lshrrev_b32_e32 v148, 16, v152
	v_cndmask_b32_e64 v132, v132, v134, s26
	v_cndmask_b32_e64 v133, v133, v151, s25
	;; [unrolled: 1-line block ×3, first 2 shown]
	v_lshrrev_b32_e32 v150, 16, v153
	v_cndmask_b32_e64 v143, v152, v148, s12
	v_cndmask_b32_e64 v132, v132, v160, s28
	;; [unrolled: 1-line block ×5, first 2 shown]
	s_waitcnt lgkmcnt(0)
	v_lshrrev_b32_e32 v149, 16, v156
	v_cndmask_b32_e64 v143, v143, v153, s11
	v_cndmask_b32_e64 v132, v132, v135, s29
	;; [unrolled: 1-line block ×3, first 2 shown]
	v_lshrrev_b32_e32 v163, 16, v158
	v_cndmask_b32_e64 v161, v156, v149, s12
	v_cndmask_b32_e64 v135, v143, v150, s16
	;; [unrolled: 1-line block ×3, first 2 shown]
	v_lshrrev_b32_e32 v160, 16, v157
	v_cndmask_b32_e64 v133, v133, v164, s27
	v_cndmask_b32_e64 v151, v161, v157, s11
	v_cmp_eq_u32_e64 s11, 7, v142
	v_cndmask_b32_e64 v143, v143, v150, s5
	v_cndmask_b32_e64 v135, v135, v154, s17
	v_lshrrev_b32_e32 v161, 16, v154
	v_cndmask_b32_e64 v151, v151, v160, s16
	v_cndmask_b32_e64 v132, v132, v162, s11
	v_cndmask_b32_e64 v134, v134, v164, s11
	v_cndmask_b32_e64 v143, v143, v154, s3
	v_cndmask_b32_e64 v162, v135, v161, s13
	v_cndmask_b32_e64 v151, v151, v158, s17
	s_delay_alu instid0(VALU_DEP_4) | instskip(NEXT) | instid1(VALU_DEP_4)
	v_perm_b32 v135, v134, v132, 0x5040100
	v_cndmask_b32_e32 v132, v143, v161, vcc_lo
	s_delay_alu instid0(VALU_DEP_4)
	v_cndmask_b32_e64 v143, v162, v155, s15
	v_lshrrev_b32_e32 v162, 16, v155
	v_cndmask_b32_e64 v151, v151, v163, s13
	v_perm_b32 v134, v133, v144, 0x5040100
	v_cndmask_b32_e64 v132, v132, v155, s4
	v_perm_b32 v133, v136, v167, 0x5040100
	v_cndmask_b32_e64 v136, v143, v162, s9
	v_cndmask_b32_e64 v143, v151, v159, s15
	;; [unrolled: 1-line block ×13, first 2 shown]
	v_lshrrev_b32_e32 v144, 16, v159
	v_cndmask_b32_e64 v132, v132, v150, s18
	v_cndmask_b32_e64 v148, v148, v150, s24
	v_cndmask_b32_e64 v150, v151, v160, s24
	v_cndmask_b32_e64 v151, v152, v160, s18
	v_cndmask_b32_e64 v149, v149, v160, s5
	v_cndmask_b32_e64 v132, v132, v154, s20
	v_cndmask_b32_e64 v148, v148, v154, s26
	v_cndmask_b32_e64 v150, v150, v158, s26
	v_cndmask_b32_e64 v151, v151, v158, s20
	v_cndmask_b32_e64 v149, v149, v158, s3
	v_cndmask_b32_e64 v132, v132, v161, s22
	v_cndmask_b32_e64 v148, v148, v161, s28
	v_cndmask_b32_e64 v150, v150, v163, s28
	v_cndmask_b32_e64 v151, v151, v163, s22
	v_cndmask_b32_e32 v149, v149, v163, vcc_lo
	v_cndmask_b32_e64 v132, v132, v155, s25
	v_cndmask_b32_e64 v148, v148, v155, s29
	;; [unrolled: 1-line block ×11, first 2 shown]
	v_perm_b32 v132, v166, v165, 0x5040100
	v_perm_b32 v151, v150, v148, 0x5040100
	;; [unrolled: 1-line block ×5, first 2 shown]
	s_lshl_b32 s8, s35, 2
	s_mov_b32 s3, exec_lo
	ds_store_b128 v131, v[132:135]
	ds_store_b128 v131, v[148:151] offset:1024
	v_cmpx_gt_u32_e32 4, v0
	s_cbranch_execz .LBB413_78
; %bb.77:
	v_or_b32_e32 v131, s31, v0
	s_load_b128 s[4:7], s[0:1], 0x58
	s_delay_alu instid0(VALU_DEP_1) | instskip(NEXT) | instid1(VALU_DEP_1)
	v_mad_u64_u32 v[132:133], null, s8, s30, v[131:132]
	v_mad_u64_u32 v[133:134], null, v132, s34, s[14:15]
	s_delay_alu instid0(VALU_DEP_1) | instskip(NEXT) | instid1(VALU_DEP_1)
	v_ashrrev_i32_e32 v134, 31, v133
	v_lshlrev_b64 v[131:132], 2, v[133:134]
	s_waitcnt lgkmcnt(0)
	s_delay_alu instid0(VALU_DEP_1) | instskip(NEXT) | instid1(VALU_DEP_2)
	v_add_co_u32 v133, vcc_lo, s6, v131
	v_add_co_ci_u32_e32 v134, vcc_lo, s7, v132, vcc_lo
	v_add_co_u32 v131, vcc_lo, s4, v131
	v_add_co_ci_u32_e32 v132, vcc_lo, s5, v132, vcc_lo
	global_store_b32 v[133:134], v129, off
	global_store_b32 v[131:132], v130, off
.LBB413_78:
	s_or_b32 exec_lo, exec_lo, s3
	s_waitcnt lgkmcnt(0)
	s_waitcnt_vscnt null, 0x0
	s_barrier
	buffer_gl0_inv
	ds_load_b128 v[148:151], v140
	ds_load_b128 v[152:155], v140 offset:16
	ds_load_b128 v[160:163], v140 offset:1040
	;; [unrolled: 1-line block ×3, first 2 shown]
	v_mov_b32_e32 v129, 0
	ds_load_b128 v[168:171], v140 offset:2064
	ds_load_b128 v[164:167], v140 offset:2048
	;; [unrolled: 1-line block ×6, first 2 shown]
	v_mov_b32_e32 v130, v129
	v_mov_b32_e32 v131, v129
	;; [unrolled: 1-line block ×7, first 2 shown]
	s_waitcnt lgkmcnt(8)
	s_delay_alu instid0(VALU_DEP_1)
	v_wmma_f32_16x16x16_bf16 v[129:136], v[121:128], v[148:155], v[129:136]
	ds_load_b128 v[125:128], v140 offset:5136
	ds_load_b128 v[121:124], v140 offset:5120
	s_waitcnt lgkmcnt(8)
	v_wmma_f32_16x16x16_bf16 v[129:136], v[113:120], v[156:163], v[129:136]
	ds_load_b128 v[117:120], v140 offset:6160
	ds_load_b128 v[113:116], v140 offset:6144
	s_waitcnt lgkmcnt(8)
	;; [unrolled: 4-line block ×8, first 2 shown]
	v_wmma_f32_16x16x16_bf16 v[129:136], v[65:72], v[97:104], v[129:136]
	s_waitcnt lgkmcnt(6)
	s_delay_alu instid0(VALU_DEP_1)
	v_wmma_f32_16x16x16_bf16 v[129:136], v[49:56], v[89:96], v[129:136]
	ds_load_b128 v[53:56], v140 offset:13328
	ds_load_b128 v[49:52], v140 offset:13312
	s_waitcnt lgkmcnt(6)
	v_wmma_f32_16x16x16_bf16 v[129:136], v[41:48], v[81:88], v[129:136]
	ds_load_b128 v[45:48], v140 offset:14352
	ds_load_b128 v[41:44], v140 offset:14336
	s_waitcnt lgkmcnt(6)
	;; [unrolled: 4-line block ×3, first 2 shown]
	v_wmma_f32_16x16x16_bf16 v[129:136], v[1:8], v[57:64], v[129:136]
	s_waitcnt lgkmcnt(4)
	s_delay_alu instid0(VALU_DEP_1) | instskip(SKIP_1) | instid1(VALU_DEP_1)
	v_wmma_f32_16x16x16_bf16 v[129:136], v[25:32], v[49:56], v[129:136]
	s_waitcnt lgkmcnt(2)
	v_wmma_f32_16x16x16_bf16 v[129:136], v[33:40], v[41:48], v[129:136]
	s_waitcnt lgkmcnt(0)
	s_delay_alu instid0(VALU_DEP_1) | instskip(NEXT) | instid1(VALU_DEP_1)
	v_wmma_f32_16x16x16_bf16 v[129:136], v[9:16], v[17:24], v[129:136]
	v_and_b32_e32 v1, 0x7f800000, v129
	s_delay_alu instid0(VALU_DEP_1) | instskip(SKIP_1) | instid1(SALU_CYCLE_1)
	v_cmp_ne_u32_e32 vcc_lo, 0x7f800000, v1
                                        ; implicit-def: $vgpr1
	s_and_saveexec_b32 s3, vcc_lo
	s_xor_b32 s3, exec_lo, s3
; %bb.79:
	v_bfe_u32 v1, v129, 16, 1
	s_delay_alu instid0(VALU_DEP_1)
	v_add3_u32 v1, v129, v1, 0x7fff
; %bb.80:
	s_and_not1_saveexec_b32 s3, s3
; %bb.81:
	v_and_b32_e32 v1, 0xffff, v129
	v_or_b32_e32 v2, 0x10000, v129
	s_delay_alu instid0(VALU_DEP_2) | instskip(NEXT) | instid1(VALU_DEP_2)
	v_cmp_eq_u32_e32 vcc_lo, 0, v1
	v_cndmask_b32_e32 v1, v2, v129, vcc_lo
; %bb.82:
	s_or_b32 exec_lo, exec_lo, s3
	v_and_b32_e32 v2, 0x7f800000, v130
	s_delay_alu instid0(VALU_DEP_1) | instskip(SKIP_1) | instid1(SALU_CYCLE_1)
	v_cmp_ne_u32_e32 vcc_lo, 0x7f800000, v2
                                        ; implicit-def: $vgpr2
	s_and_saveexec_b32 s3, vcc_lo
	s_xor_b32 s3, exec_lo, s3
; %bb.83:
	v_bfe_u32 v2, v130, 16, 1
	s_delay_alu instid0(VALU_DEP_1)
	v_add3_u32 v2, v130, v2, 0x7fff
; %bb.84:
	s_and_not1_saveexec_b32 s3, s3
; %bb.85:
	v_and_b32_e32 v2, 0xffff, v130
	v_or_b32_e32 v3, 0x10000, v130
	s_delay_alu instid0(VALU_DEP_2) | instskip(NEXT) | instid1(VALU_DEP_2)
	v_cmp_eq_u32_e32 vcc_lo, 0, v2
	v_cndmask_b32_e32 v2, v3, v130, vcc_lo
; %bb.86:
	s_or_b32 exec_lo, exec_lo, s3
	v_and_b32_e32 v3, 0x7f800000, v131
	s_delay_alu instid0(VALU_DEP_1) | instskip(SKIP_1) | instid1(SALU_CYCLE_1)
	v_cmp_ne_u32_e32 vcc_lo, 0x7f800000, v3
                                        ; implicit-def: $vgpr3
	s_and_saveexec_b32 s3, vcc_lo
	s_xor_b32 s3, exec_lo, s3
; %bb.87:
	v_bfe_u32 v3, v131, 16, 1
	s_delay_alu instid0(VALU_DEP_1)
	v_add3_u32 v3, v131, v3, 0x7fff
; %bb.88:
	s_and_not1_saveexec_b32 s3, s3
; %bb.89:
	v_and_b32_e32 v3, 0xffff, v131
	v_or_b32_e32 v4, 0x10000, v131
	s_delay_alu instid0(VALU_DEP_2) | instskip(NEXT) | instid1(VALU_DEP_2)
	v_cmp_eq_u32_e32 vcc_lo, 0, v3
	v_cndmask_b32_e32 v3, v4, v131, vcc_lo
; %bb.90:
	s_or_b32 exec_lo, exec_lo, s3
	v_and_b32_e32 v4, 0x7f800000, v132
	s_delay_alu instid0(VALU_DEP_1) | instskip(SKIP_1) | instid1(SALU_CYCLE_1)
	v_cmp_ne_u32_e32 vcc_lo, 0x7f800000, v4
                                        ; implicit-def: $vgpr4
	s_and_saveexec_b32 s3, vcc_lo
	s_xor_b32 s3, exec_lo, s3
; %bb.91:
	v_bfe_u32 v4, v132, 16, 1
	s_delay_alu instid0(VALU_DEP_1)
	v_add3_u32 v4, v132, v4, 0x7fff
; %bb.92:
	s_and_not1_saveexec_b32 s3, s3
; %bb.93:
	v_and_b32_e32 v4, 0xffff, v132
	v_or_b32_e32 v5, 0x10000, v132
	s_delay_alu instid0(VALU_DEP_2) | instskip(NEXT) | instid1(VALU_DEP_2)
	v_cmp_eq_u32_e32 vcc_lo, 0, v4
	v_cndmask_b32_e32 v4, v5, v132, vcc_lo
; %bb.94:
	s_or_b32 exec_lo, exec_lo, s3
	v_and_b32_e32 v5, 0x7f800000, v133
	s_delay_alu instid0(VALU_DEP_1) | instskip(SKIP_1) | instid1(SALU_CYCLE_1)
	v_cmp_ne_u32_e32 vcc_lo, 0x7f800000, v5
                                        ; implicit-def: $vgpr5
	s_and_saveexec_b32 s3, vcc_lo
	s_xor_b32 s3, exec_lo, s3
; %bb.95:
	v_bfe_u32 v5, v133, 16, 1
	s_delay_alu instid0(VALU_DEP_1)
	v_add3_u32 v5, v133, v5, 0x7fff
; %bb.96:
	s_and_not1_saveexec_b32 s3, s3
; %bb.97:
	v_and_b32_e32 v5, 0xffff, v133
	v_or_b32_e32 v6, 0x10000, v133
	s_delay_alu instid0(VALU_DEP_2) | instskip(NEXT) | instid1(VALU_DEP_2)
	v_cmp_eq_u32_e32 vcc_lo, 0, v5
	v_cndmask_b32_e32 v5, v6, v133, vcc_lo
; %bb.98:
	s_or_b32 exec_lo, exec_lo, s3
	v_and_b32_e32 v6, 0x7f800000, v134
	s_delay_alu instid0(VALU_DEP_1) | instskip(SKIP_1) | instid1(SALU_CYCLE_1)
	v_cmp_ne_u32_e32 vcc_lo, 0x7f800000, v6
                                        ; implicit-def: $vgpr6
	s_and_saveexec_b32 s3, vcc_lo
	s_xor_b32 s3, exec_lo, s3
; %bb.99:
	v_bfe_u32 v6, v134, 16, 1
	s_delay_alu instid0(VALU_DEP_1)
	v_add3_u32 v6, v134, v6, 0x7fff
; %bb.100:
	s_and_not1_saveexec_b32 s3, s3
; %bb.101:
	v_and_b32_e32 v6, 0xffff, v134
	v_or_b32_e32 v7, 0x10000, v134
	s_delay_alu instid0(VALU_DEP_2) | instskip(NEXT) | instid1(VALU_DEP_2)
	v_cmp_eq_u32_e32 vcc_lo, 0, v6
	v_cndmask_b32_e32 v6, v7, v134, vcc_lo
; %bb.102:
	s_or_b32 exec_lo, exec_lo, s3
	v_and_b32_e32 v7, 0x7f800000, v135
	s_delay_alu instid0(VALU_DEP_1) | instskip(SKIP_1) | instid1(SALU_CYCLE_1)
	v_cmp_ne_u32_e32 vcc_lo, 0x7f800000, v7
                                        ; implicit-def: $vgpr7
	s_and_saveexec_b32 s3, vcc_lo
	s_xor_b32 s3, exec_lo, s3
; %bb.103:
	v_bfe_u32 v7, v135, 16, 1
	s_delay_alu instid0(VALU_DEP_1)
	v_add3_u32 v7, v135, v7, 0x7fff
; %bb.104:
	s_and_not1_saveexec_b32 s3, s3
; %bb.105:
	v_and_b32_e32 v7, 0xffff, v135
	v_or_b32_e32 v8, 0x10000, v135
	s_delay_alu instid0(VALU_DEP_2) | instskip(NEXT) | instid1(VALU_DEP_2)
	v_cmp_eq_u32_e32 vcc_lo, 0, v7
	v_cndmask_b32_e32 v7, v8, v135, vcc_lo
; %bb.106:
	s_or_b32 exec_lo, exec_lo, s3
	v_and_b32_e32 v8, 0x7f800000, v136
	s_delay_alu instid0(VALU_DEP_1) | instskip(SKIP_1) | instid1(SALU_CYCLE_1)
	v_cmp_ne_u32_e32 vcc_lo, 0x7f800000, v8
                                        ; implicit-def: $vgpr8
	s_and_saveexec_b32 s3, vcc_lo
	s_xor_b32 s3, exec_lo, s3
; %bb.107:
	v_bfe_u32 v8, v136, 16, 1
	s_delay_alu instid0(VALU_DEP_1)
	v_add3_u32 v8, v136, v8, 0x7fff
                                        ; implicit-def: $vgpr129_vgpr130_vgpr131_vgpr132_vgpr133_vgpr134_vgpr135_vgpr136
; %bb.108:
	s_and_not1_saveexec_b32 s3, s3
; %bb.109:
	v_and_b32_e32 v8, 0xffff, v136
	v_or_b32_e32 v9, 0x10000, v136
	s_delay_alu instid0(VALU_DEP_2) | instskip(NEXT) | instid1(VALU_DEP_2)
	v_cmp_eq_u32_e32 vcc_lo, 0, v8
	v_cndmask_b32_e32 v8, v9, v136, vcc_lo
; %bb.110:
	s_or_b32 exec_lo, exec_lo, s3
	s_delay_alu instid0(VALU_DEP_1)
	v_perm_b32 v7, v8, v7, 0x7060302
	v_perm_b32 v6, v6, v5, 0x7060302
	;; [unrolled: 1-line block ×4, first 2 shown]
	v_lshl_or_b32 v9, v147, 4, v141
	s_barrier
	buffer_gl0_inv
	v_cmp_eq_u32_e32 vcc_lo, 1, v138
	ds_store_b128 v9, v[4:7]
	s_waitcnt lgkmcnt(0)
	s_barrier
	buffer_gl0_inv
	ds_load_b128 v[1:4], v141
	ds_load_b128 v[5:8], v141 offset:16
	v_cmp_eq_u32_e64 s4, 2, v138
	v_cmp_eq_u32_e64 s3, 1, v139
	;; [unrolled: 1-line block ×5, first 2 shown]
	s_waitcnt lgkmcnt(1)
	v_lshrrev_b32_e32 v10, 16, v1
	s_waitcnt lgkmcnt(0)
	v_lshrrev_b32_e32 v14, 16, v5
	v_lshrrev_b32_e32 v15, 16, v6
	;; [unrolled: 1-line block ×4, first 2 shown]
	v_cndmask_b32_e64 v20, v1, v10, s3
	v_cndmask_b32_e32 v19, v5, v14, vcc_lo
	v_cndmask_b32_e64 v21, v5, v14, s3
	v_lshrrev_b32_e32 v16, 16, v7
	v_cmp_eq_u32_e64 s3, 1, v137
	v_lshrrev_b32_e32 v13, 16, v4
	v_cndmask_b32_e64 v19, v19, v6, s4
	v_lshrrev_b32_e32 v17, 16, v8
	s_delay_alu instid0(VALU_DEP_4) | instskip(SKIP_1) | instid1(VALU_DEP_4)
	v_cndmask_b32_e64 v22, v1, v10, s3
	v_cndmask_b32_e64 v23, v5, v14, s3
	;; [unrolled: 1-line block ×3, first 2 shown]
	v_cndmask_b32_e32 v18, v1, v10, vcc_lo
	v_cmp_eq_u32_e32 vcc_lo, 2, v139
	v_cmp_eq_u32_e64 s3, 2, v142
	v_cndmask_b32_e64 v22, v22, v2, s7
	v_cndmask_b32_e32 v20, v20, v2, vcc_lo
	v_cndmask_b32_e32 v21, v21, v6, vcc_lo
	v_cmp_eq_u32_e32 vcc_lo, 4, v138
	v_cndmask_b32_e32 v19, v19, v7, vcc_lo
	v_cndmask_b32_e64 v18, v18, v2, s4
	v_cmp_eq_u32_e64 s4, 3, v139
	s_delay_alu instid0(VALU_DEP_2) | instskip(NEXT) | instid1(VALU_DEP_2)
	v_cndmask_b32_e64 v18, v18, v11, s5
	v_cndmask_b32_e64 v21, v21, v15, s4
	v_cmp_eq_u32_e64 s5, 5, v138
	s_delay_alu instid0(VALU_DEP_3) | instskip(SKIP_1) | instid1(VALU_DEP_3)
	v_cndmask_b32_e32 v18, v18, v3, vcc_lo
	v_cmp_eq_u32_e32 vcc_lo, 4, v139
	v_cndmask_b32_e64 v19, v19, v16, s5
	s_delay_alu instid0(VALU_DEP_3) | instskip(SKIP_4) | instid1(VALU_DEP_3)
	v_cndmask_b32_e64 v18, v18, v12, s5
	v_cndmask_b32_e32 v21, v21, v7, vcc_lo
	v_cndmask_b32_e64 v20, v20, v11, s4
	v_cmp_eq_u32_e64 s4, 5, v139
	v_cmp_eq_u32_e64 s5, 6, v138
	v_cndmask_b32_e32 v20, v20, v3, vcc_lo
	s_delay_alu instid0(VALU_DEP_3) | instskip(SKIP_1) | instid1(VALU_DEP_4)
	v_cndmask_b32_e64 v21, v21, v16, s4
	v_cmp_eq_u32_e32 vcc_lo, 6, v139
	v_cndmask_b32_e64 v18, v18, v4, s5
	v_cndmask_b32_e64 v19, v19, v8, s5
	;; [unrolled: 1-line block ×3, first 2 shown]
	v_cmp_eq_u32_e64 s4, 1, v142
	v_cmp_eq_u32_e64 s5, 7, v138
	s_delay_alu instid0(VALU_DEP_3) | instskip(NEXT) | instid1(VALU_DEP_3)
	v_cndmask_b32_e32 v20, v20, v4, vcc_lo
	v_cndmask_b32_e64 v1, v1, v10, s4
	v_cndmask_b32_e64 v5, v5, v14, s4
	v_cmp_eq_u32_e64 s4, 3, v137
	v_cndmask_b32_e64 v14, v23, v6, s7
	v_cmp_eq_u32_e64 s7, 3, v142
	v_cndmask_b32_e64 v1, v1, v2, s3
	v_cndmask_b32_e64 v2, v5, v6, s3
	;; [unrolled: 1-line block ×3, first 2 shown]
	v_cmp_eq_u32_e64 s3, 4, v137
	v_cndmask_b32_e64 v6, v14, v15, s4
	v_cndmask_b32_e64 v1, v1, v11, s7
	v_cmp_eq_u32_e64 s4, 4, v142
	v_cndmask_b32_e64 v2, v2, v15, s7
	v_cndmask_b32_e64 v5, v10, v3, s3
	;; [unrolled: 3-line block ×3, first 2 shown]
	v_cndmask_b32_e64 v2, v2, v7, s4
	v_cmp_eq_u32_e64 s3, 5, v142
	v_cndmask_b32_e64 v5, v5, v12, s7
	v_cmp_eq_u32_e64 s4, 6, v137
	;; [unrolled: 2-line block ×3, first 2 shown]
	v_cndmask_b32_e64 v1, v1, v12, s3
	v_cndmask_b32_e64 v2, v2, v16, s3
	;; [unrolled: 1-line block ×4, first 2 shown]
	v_cmp_eq_u32_e64 s3, 7, v142
	v_cndmask_b32_e64 v1, v1, v4, s7
	v_cndmask_b32_e64 v2, v2, v8, s7
	v_cmp_eq_u32_e64 s4, 7, v137
	v_cndmask_b32_e32 v4, v21, v8, vcc_lo
	v_cndmask_b32_e64 v18, v18, v13, s5
	v_cndmask_b32_e64 v20, v20, v13, s6
	v_cndmask_b32_e64 v1, v1, v13, s3
	v_cndmask_b32_e64 v5, v5, v13, s4
	v_cndmask_b32_e64 v2, v2, v17, s3
	v_cndmask_b32_e64 v3, v3, v17, s4
	v_cndmask_b32_e64 v6, v4, v17, s6
	v_cndmask_b32_e64 v7, v19, v17, s5
	v_cmp_gt_u32_e32 vcc_lo, 32, v0
	v_perm_b32 v4, v2, v1, 0x5040100
	v_perm_b32 v3, v3, v5, 0x5040100
	;; [unrolled: 1-line block ×4, first 2 shown]
	s_and_b32 s2, vcc_lo, s2
	ds_store_b128 v9, v[1:4]
	s_waitcnt lgkmcnt(0)
	s_barrier
	buffer_gl0_inv
	s_and_saveexec_b32 s3, s2
	s_cbranch_execz .LBB413_2
; %bb.111:
	s_load_b64 s[0:1], s[0:1], 0x68
	v_lshlrev_b32_e32 v0, 10, v0
	v_or_b32_e32 v1, s31, v147
	s_lshl_b32 s4, s34, 6
	v_lshlrev_b32_e32 v2, 4, v146
	s_mul_i32 s2, s4, s30
	v_lshlrev_b32_e32 v3, 6, v147
	v_mul_lo_u32 v8, v1, s4
	v_and_b32_e32 v0, 0x3800, v0
	v_or_b32_e32 v1, 2, v1
	s_mul_i32 s2, s2, s8
	s_delay_alu instid0(SALU_CYCLE_1) | instskip(NEXT) | instid1(VALU_DEP_2)
	s_ashr_i32 s3, s2, 31
	v_or3_b32 v4, v0, v2, v3
	s_lshl_b64 s[2:3], s[2:3], 1
	v_mul_lo_u32 v10, v1, s4
	v_ashrrev_i32_e32 v9, 31, v8
	ds_load_b128 v[0:3], v4
	ds_load_b128 v[4:7], v4 offset:128
	s_waitcnt lgkmcnt(0)
	s_add_u32 s2, s0, s2
	s_addc_u32 s3, s1, s3
	s_lshl_b32 s0, s14, 6
	v_ashrrev_i32_e32 v11, 31, v10
	s_ashr_i32 s1, s0, 31
	v_lshlrev_b64 v[8:9], 1, v[8:9]
	s_lshl_b64 s[0:1], s[0:1], 1
	s_delay_alu instid0(SALU_CYCLE_1) | instskip(SKIP_2) | instid1(VALU_DEP_1)
	s_add_u32 s0, s2, s0
	s_addc_u32 s1, s3, s1
	v_add_co_u32 v12, s0, s0, v145
	v_add_co_ci_u32_e64 v13, null, s1, 0, s0
	v_lshlrev_b64 v[10:11], 1, v[10:11]
	s_delay_alu instid0(VALU_DEP_3) | instskip(NEXT) | instid1(VALU_DEP_3)
	v_add_co_u32 v8, vcc_lo, v12, v8
	v_add_co_ci_u32_e32 v9, vcc_lo, v13, v9, vcc_lo
	s_delay_alu instid0(VALU_DEP_3) | instskip(NEXT) | instid1(VALU_DEP_4)
	v_add_co_u32 v10, vcc_lo, v12, v10
	v_add_co_ci_u32_e32 v11, vcc_lo, v13, v11, vcc_lo
	s_clause 0x1
	global_store_b128 v[8:9], v[0:3], off
	global_store_b128 v[10:11], v[4:7], off
	s_nop 0
	s_sendmsg sendmsg(MSG_DEALLOC_VGPRS)
	s_endpgm
	.section	.rodata,"a",@progbits
	.p2align	6, 0x0
	.amdhsa_kernel _Z39paged_attention_ll4mi_QKV_mfma16_kernelI14__hip_bfloat16S0_LN4vllm18Fp8KVCacheDataTypeE0EhLi16ELi64ELi256ELb1ELi4EL8MFMAType0EEvPKT_PKT0_S9_ifPKiSB_SB_iPKfiiiPfSE_PS4_PT2_iSD_SD_
		.amdhsa_group_segment_fixed_size 17472
		.amdhsa_private_segment_fixed_size 0
		.amdhsa_kernarg_size 400
		.amdhsa_user_sgpr_count 13
		.amdhsa_user_sgpr_dispatch_ptr 0
		.amdhsa_user_sgpr_queue_ptr 0
		.amdhsa_user_sgpr_kernarg_segment_ptr 1
		.amdhsa_user_sgpr_dispatch_id 0
		.amdhsa_user_sgpr_private_segment_size 0
		.amdhsa_wavefront_size32 1
		.amdhsa_uses_dynamic_stack 0
		.amdhsa_enable_private_segment 0
		.amdhsa_system_sgpr_workgroup_id_x 1
		.amdhsa_system_sgpr_workgroup_id_y 1
		.amdhsa_system_sgpr_workgroup_id_z 1
		.amdhsa_system_sgpr_workgroup_info 0
		.amdhsa_system_vgpr_workitem_id 0
		.amdhsa_next_free_vgpr 198
		.amdhsa_next_free_sgpr 52
		.amdhsa_reserve_vcc 1
		.amdhsa_float_round_mode_32 0
		.amdhsa_float_round_mode_16_64 0
		.amdhsa_float_denorm_mode_32 3
		.amdhsa_float_denorm_mode_16_64 3
		.amdhsa_dx10_clamp 1
		.amdhsa_ieee_mode 1
		.amdhsa_fp16_overflow 0
		.amdhsa_workgroup_processor_mode 1
		.amdhsa_memory_ordered 1
		.amdhsa_forward_progress 0
		.amdhsa_shared_vgpr_count 0
		.amdhsa_exception_fp_ieee_invalid_op 0
		.amdhsa_exception_fp_denorm_src 0
		.amdhsa_exception_fp_ieee_div_zero 0
		.amdhsa_exception_fp_ieee_overflow 0
		.amdhsa_exception_fp_ieee_underflow 0
		.amdhsa_exception_fp_ieee_inexact 0
		.amdhsa_exception_int_div_zero 0
	.end_amdhsa_kernel
	.section	.text._Z39paged_attention_ll4mi_QKV_mfma16_kernelI14__hip_bfloat16S0_LN4vllm18Fp8KVCacheDataTypeE0EhLi16ELi64ELi256ELb1ELi4EL8MFMAType0EEvPKT_PKT0_S9_ifPKiSB_SB_iPKfiiiPfSE_PS4_PT2_iSD_SD_,"axG",@progbits,_Z39paged_attention_ll4mi_QKV_mfma16_kernelI14__hip_bfloat16S0_LN4vllm18Fp8KVCacheDataTypeE0EhLi16ELi64ELi256ELb1ELi4EL8MFMAType0EEvPKT_PKT0_S9_ifPKiSB_SB_iPKfiiiPfSE_PS4_PT2_iSD_SD_,comdat
.Lfunc_end413:
	.size	_Z39paged_attention_ll4mi_QKV_mfma16_kernelI14__hip_bfloat16S0_LN4vllm18Fp8KVCacheDataTypeE0EhLi16ELi64ELi256ELb1ELi4EL8MFMAType0EEvPKT_PKT0_S9_ifPKiSB_SB_iPKfiiiPfSE_PS4_PT2_iSD_SD_, .Lfunc_end413-_Z39paged_attention_ll4mi_QKV_mfma16_kernelI14__hip_bfloat16S0_LN4vllm18Fp8KVCacheDataTypeE0EhLi16ELi64ELi256ELb1ELi4EL8MFMAType0EEvPKT_PKT0_S9_ifPKiSB_SB_iPKfiiiPfSE_PS4_PT2_iSD_SD_
                                        ; -- End function
	.section	.AMDGPU.csdata,"",@progbits
; Kernel info:
; codeLenInByte = 9900
; NumSgprs: 54
; NumVgprs: 198
; ScratchSize: 0
; MemoryBound: 0
; FloatMode: 240
; IeeeMode: 1
; LDSByteSize: 17472 bytes/workgroup (compile time only)
; SGPRBlocks: 6
; VGPRBlocks: 24
; NumSGPRsForWavesPerEU: 54
; NumVGPRsForWavesPerEU: 198
; Occupancy: 7
; WaveLimiterHint : 1
; COMPUTE_PGM_RSRC2:SCRATCH_EN: 0
; COMPUTE_PGM_RSRC2:USER_SGPR: 13
; COMPUTE_PGM_RSRC2:TRAP_HANDLER: 0
; COMPUTE_PGM_RSRC2:TGID_X_EN: 1
; COMPUTE_PGM_RSRC2:TGID_Y_EN: 1
; COMPUTE_PGM_RSRC2:TGID_Z_EN: 1
; COMPUTE_PGM_RSRC2:TIDIG_COMP_CNT: 0
	.section	.text._Z35paged_attention_ll4mi_reduce_kernelI14__hip_bfloat16hLi64ELi64ELi256ELi9EEvPT0_PKfS4_PKT_PKiS9_iS4_,"axG",@progbits,_Z35paged_attention_ll4mi_reduce_kernelI14__hip_bfloat16hLi64ELi64ELi256ELi9EEvPT0_PKfS4_PKT_PKiS9_iS4_,comdat
	.protected	_Z35paged_attention_ll4mi_reduce_kernelI14__hip_bfloat16hLi64ELi64ELi256ELi9EEvPT0_PKfS4_PKT_PKiS9_iS4_ ; -- Begin function _Z35paged_attention_ll4mi_reduce_kernelI14__hip_bfloat16hLi64ELi64ELi256ELi9EEvPT0_PKfS4_PKT_PKiS9_iS4_
	.globl	_Z35paged_attention_ll4mi_reduce_kernelI14__hip_bfloat16hLi64ELi64ELi256ELi9EEvPT0_PKfS4_PKT_PKiS9_iS4_
	.p2align	8
	.type	_Z35paged_attention_ll4mi_reduce_kernelI14__hip_bfloat16hLi64ELi64ELi256ELi9EEvPT0_PKfS4_PKT_PKiS9_iS4_,@function
_Z35paged_attention_ll4mi_reduce_kernelI14__hip_bfloat16hLi64ELi64ELi256ELi9EEvPT0_PKfS4_PKT_PKiS9_iS4_: ; @_Z35paged_attention_ll4mi_reduce_kernelI14__hip_bfloat16hLi64ELi64ELi256ELi9EEvPT0_PKfS4_PKT_PKiS9_iS4_
; %bb.0:
	s_load_b64 s[12:13], s[0:1], 0x28
	s_mov_b32 s2, s15
	s_waitcnt lgkmcnt(0)
	s_cmp_lg_u64 s[12:13], 0
	s_cselect_b32 s15, -1, 0
	s_delay_alu instid0(SALU_CYCLE_1)
	s_and_b32 vcc_lo, exec_lo, s15
	s_cbranch_vccz .LBB414_24
; %bb.1:
	s_add_i32 s4, s2, 1
	s_mov_b32 s5, 0
	s_delay_alu instid0(SALU_CYCLE_1) | instskip(SKIP_4) | instid1(SALU_CYCLE_1)
	s_lshl_b64 s[6:7], s[4:5], 2
	s_mov_b32 s3, s5
	s_add_u32 s6, s12, s6
	s_addc_u32 s7, s13, s7
	s_lshl_b64 s[8:9], s[2:3], 2
	s_add_u32 s8, s12, s8
	s_addc_u32 s9, s13, s9
	s_clause 0x1
	s_load_b32 s4, s[6:7], 0x0
	s_load_b32 s6, s[8:9], 0x0
	s_waitcnt lgkmcnt(0)
	s_sub_i32 s4, s4, s6
	s_delay_alu instid0(SALU_CYCLE_1)
	s_cmp_eq_u32 s4, 1
	s_cselect_b32 s4, -1, 0
	s_cbranch_execnz .LBB414_3
.LBB414_2:
	s_mov_b32 s3, 0
	s_mov_b32 s4, -1
.LBB414_3:
	s_delay_alu instid0(SALU_CYCLE_1)
	s_and_not1_b32 vcc_lo, exec_lo, s4
	s_cbranch_vccz .LBB414_5
; %bb.4:
	s_endpgm
.LBB414_5:
	s_clause 0x1
	s_load_b128 s[4:7], s[0:1], 0x18
	s_load_b32 s9, s[0:1], 0x30
	s_lshl_b64 s[16:17], s[2:3], 2
	s_waitcnt lgkmcnt(0)
	s_add_u32 s6, s6, s16
	s_addc_u32 s7, s7, s17
	s_load_b32 s23, s[6:7], 0x0
	s_load_b32 s33, s[0:1], 0x40
	s_mul_i32 s7, s2, s9
	s_waitcnt lgkmcnt(0)
	s_add_i32 s22, s23, 0xff
	s_delay_alu instid0(SALU_CYCLE_1) | instskip(NEXT) | instid1(SALU_CYCLE_1)
	s_ashr_i32 s6, s22, 31
	s_lshr_b32 s6, s6, 24
	s_delay_alu instid0(SALU_CYCLE_1) | instskip(SKIP_4) | instid1(SALU_CYCLE_1)
	s_add_i32 s8, s22, s6
	s_mul_i32 s6, s14, s9
	s_mov_b32 s9, exec_lo
	v_cmpx_lt_u32_e32 31, v0
	s_xor_b32 s9, exec_lo, s9
	s_or_saveexec_b32 s24, s9
	v_mov_b32_e32 v1, s6
	s_ashr_i32 s40, s8, 8
	s_mul_i32 s18, s7, s33
	s_xor_b32 exec_lo, exec_lo, s24
	s_cbranch_execz .LBB414_9
; %bb.6:
	v_or_b32_e32 v2, 32, v0
	v_cmp_gt_i32_e32 vcc_lo, s40, v0
	s_add_i32 s20, s40, -1
	v_or_b32_e32 v4, 64, v0
	v_or_b32_e32 v6, 0x60, v0
	s_load_b128 s[8:11], s[0:1], 0x8
	v_cndmask_b32_e32 v1, s20, v0, vcc_lo
	v_cmp_gt_i32_e32 vcc_lo, s40, v2
	s_mov_b32 s19, 0
	s_delay_alu instid0(SALU_CYCLE_1)
	s_mov_b32 s7, s19
	v_cndmask_b32_e32 v3, s20, v2, vcc_lo
	v_cmp_gt_i32_e32 vcc_lo, s40, v4
	v_or_b32_e32 v2, 0x80, v0
	v_cndmask_b32_e32 v5, s20, v4, vcc_lo
	v_cmp_gt_i32_e32 vcc_lo, s40, v6
	v_or_b32_e32 v4, 0xa0, v0
	v_cndmask_b32_e32 v7, s20, v6, vcc_lo
	v_cmp_gt_i32_e32 vcc_lo, s40, v2
	v_or_b32_e32 v6, 0xe0, v0
	s_delay_alu instid0(VALU_DEP_3) | instskip(SKIP_3) | instid1(VALU_DEP_4)
	v_ashrrev_i32_e32 v8, 31, v7
	v_cndmask_b32_e32 v9, s20, v2, vcc_lo
	v_or_b32_e32 v2, 0xc0, v0
	v_cmp_gt_i32_e32 vcc_lo, s40, v4
	v_lshlrev_b64 v[7:8], 2, v[7:8]
	s_delay_alu instid0(VALU_DEP_4) | instskip(SKIP_3) | instid1(VALU_DEP_4)
	v_ashrrev_i32_e32 v10, 31, v9
	v_cndmask_b32_e32 v11, s20, v4, vcc_lo
	v_cmp_gt_i32_e32 vcc_lo, s40, v2
	v_or_b32_e32 v4, 0x100, v0
	v_lshlrev_b64 v[9:10], 2, v[9:10]
	s_delay_alu instid0(VALU_DEP_4) | instskip(SKIP_3) | instid1(VALU_DEP_4)
	v_ashrrev_i32_e32 v12, 31, v11
	v_cndmask_b32_e32 v13, s20, v2, vcc_lo
	v_cmp_gt_i32_e32 vcc_lo, s40, v6
	v_ashrrev_i32_e32 v2, 31, v1
	v_lshlrev_b64 v[11:12], 2, v[11:12]
	s_delay_alu instid0(VALU_DEP_4)
	v_ashrrev_i32_e32 v14, 31, v13
	v_cndmask_b32_e32 v15, s20, v6, vcc_lo
	v_cmp_gt_i32_e32 vcc_lo, s40, v4
	v_lshlrev_b64 v[1:2], 2, v[1:2]
	v_ashrrev_i32_e32 v6, 31, v5
	v_lshlrev_b64 v[13:14], 2, v[13:14]
	v_ashrrev_i32_e32 v16, 31, v15
	v_cndmask_b32_e32 v17, s20, v4, vcc_lo
	v_ashrrev_i32_e32 v4, 31, v3
	s_lshl_b64 s[20:21], s[18:19], 2
	v_lshlrev_b64 v[5:6], 2, v[5:6]
	s_waitcnt lgkmcnt(0)
	s_add_u32 s19, s10, s20
	s_addc_u32 s25, s11, s21
	s_lshl_b64 s[10:11], s[6:7], 2
	v_lshlrev_b64 v[3:4], 2, v[3:4]
	s_add_u32 s7, s19, s10
	s_addc_u32 s19, s25, s11
	v_add_co_u32 v18, vcc_lo, s7, v1
	v_add_co_ci_u32_e32 v19, vcc_lo, s19, v2, vcc_lo
	s_delay_alu instid0(VALU_DEP_3)
	v_add_co_u32 v20, vcc_lo, s7, v3
	v_add_co_ci_u32_e32 v21, vcc_lo, s19, v4, vcc_lo
	v_add_co_u32 v22, vcc_lo, s7, v5
	v_add_co_ci_u32_e32 v23, vcc_lo, s19, v6, vcc_lo
	;; [unrolled: 2-line block ×4, first 2 shown]
	s_clause 0x4
	global_load_b32 v28, v[18:19], off
	global_load_b32 v29, v[20:21], off
	;; [unrolled: 1-line block ×5, first 2 shown]
	v_ashrrev_i32_e32 v18, 31, v17
	v_add_co_u32 v19, vcc_lo, s7, v11
	v_lshlrev_b64 v[15:16], 2, v[15:16]
	v_add_co_ci_u32_e32 v20, vcc_lo, s19, v12, vcc_lo
	v_add_co_u32 v21, vcc_lo, s7, v13
	v_lshlrev_b64 v[17:18], 2, v[17:18]
	v_add_co_ci_u32_e32 v22, vcc_lo, s19, v14, vcc_lo
	v_add_co_u32 v23, vcc_lo, s7, v15
	v_add_co_ci_u32_e32 v24, vcc_lo, s19, v16, vcc_lo
	s_delay_alu instid0(VALU_DEP_4)
	v_add_co_u32 v25, vcc_lo, s7, v17
	v_add_co_ci_u32_e32 v26, vcc_lo, s19, v18, vcc_lo
	s_clause 0x3
	global_load_b32 v19, v[19:20], off
	global_load_b32 v20, v[21:22], off
	;; [unrolled: 1-line block ×4, first 2 shown]
	s_add_u32 s7, s8, s20
	s_addc_u32 s8, s9, s21
	s_add_u32 s7, s7, s10
	s_addc_u32 s8, s8, s11
	v_add_co_u32 v1, vcc_lo, s7, v1
	v_add_co_ci_u32_e32 v2, vcc_lo, s8, v2, vcc_lo
	v_add_co_u32 v3, vcc_lo, s7, v3
	v_add_co_ci_u32_e32 v4, vcc_lo, s8, v4, vcc_lo
	;; [unrolled: 2-line block ×6, first 2 shown]
	s_clause 0x5
	global_load_b32 v23, v[1:2], off
	global_load_b32 v3, v[3:4], off
	;; [unrolled: 1-line block ×6, first 2 shown]
	v_add_co_u32 v1, vcc_lo, s7, v13
	v_add_co_ci_u32_e32 v2, vcc_lo, s8, v14, vcc_lo
	v_mbcnt_lo_u32_b32 v9, -1, 0
	global_load_b32 v8, v[1:2], off
	v_add_co_u32 v1, vcc_lo, s7, v15
	v_add_co_ci_u32_e32 v2, vcc_lo, s8, v16, vcc_lo
	v_xor_b32_e32 v11, 16, v9
	v_xor_b32_e32 v13, 8, v9
	;; [unrolled: 1-line block ×3, first 2 shown]
	global_load_b32 v12, v[1:2], off
	v_add_co_u32 v1, vcc_lo, s7, v17
	v_add_co_ci_u32_e32 v2, vcc_lo, s8, v18, vcc_lo
	v_cmp_gt_i32_e32 vcc_lo, 32, v11
	v_xor_b32_e32 v15, 2, v9
	v_xor_b32_e32 v16, 1, v9
	global_load_b32 v1, v[1:2], off
	s_mov_b32 s7, exec_lo
	v_cndmask_b32_e32 v11, v9, v11, vcc_lo
	v_cmp_gt_i32_e32 vcc_lo, 32, v13
	s_delay_alu instid0(VALU_DEP_2) | instskip(SKIP_1) | instid1(VALU_DEP_2)
	v_dual_cndmask_b32 v13, v9, v13 :: v_dual_lshlrev_b32 v2, 2, v11
	v_cmp_gt_i32_e32 vcc_lo, 32, v14
	v_dual_cndmask_b32 v14, v9, v14 :: v_dual_lshlrev_b32 v13, 2, v13
	v_cmp_gt_i32_e32 vcc_lo, 32, v15
	s_delay_alu instid0(VALU_DEP_2) | instskip(SKIP_1) | instid1(VALU_DEP_2)
	v_dual_cndmask_b32 v15, v9, v15 :: v_dual_lshlrev_b32 v14, 2, v14
	v_cmp_gt_i32_e32 vcc_lo, 32, v16
	v_lshlrev_b32_e32 v15, 2, v15
	v_cndmask_b32_e32 v9, v9, v16, vcc_lo
	s_delay_alu instid0(VALU_DEP_1) | instskip(SKIP_3) | instid1(VALU_DEP_1)
	v_lshlrev_b32_e32 v9, 2, v9
	s_waitcnt vmcnt(15)
	v_max3_f32 v10, v28, v29, v30
	s_waitcnt vmcnt(13)
	v_max3_f32 v10, v10, v31, v27
	s_waitcnt vmcnt(11)
	s_delay_alu instid0(VALU_DEP_1) | instskip(SKIP_1) | instid1(VALU_DEP_1)
	v_max3_f32 v10, v10, v19, v20
	s_waitcnt vmcnt(9)
	v_max3_f32 v10, v10, v21, v22
	ds_bpermute_b32 v11, v2, v10
	s_waitcnt lgkmcnt(0)
	v_max_f32_e32 v11, v11, v11
	s_delay_alu instid0(VALU_DEP_1) | instskip(SKIP_3) | instid1(VALU_DEP_1)
	v_max_f32_e32 v10, v10, v11
	ds_bpermute_b32 v11, v13, v10
	s_waitcnt lgkmcnt(0)
	v_max_f32_e32 v11, v11, v11
	v_max_f32_e32 v10, v10, v11
	ds_bpermute_b32 v11, v14, v10
	s_waitcnt lgkmcnt(0)
	v_max_f32_e32 v11, v11, v11
	s_delay_alu instid0(VALU_DEP_1) | instskip(SKIP_3) | instid1(VALU_DEP_1)
	v_max_f32_e32 v10, v10, v11
	ds_bpermute_b32 v11, v15, v10
	s_waitcnt lgkmcnt(0)
	v_max_f32_e32 v11, v11, v11
	v_max_f32_e32 v10, v10, v11
	ds_bpermute_b32 v11, v9, v10
	s_waitcnt lgkmcnt(0)
	v_max_f32_e32 v11, v11, v11
	s_delay_alu instid0(VALU_DEP_1) | instskip(SKIP_1) | instid1(VALU_DEP_2)
	v_max_f32_e32 v10, v10, v11
	v_sub_nc_u32_e32 v11, s40, v0
	v_sub_f32_e32 v24, v31, v10
	v_sub_f32_e32 v16, v28, v10
	;; [unrolled: 1-line block ×5, first 2 shown]
	v_mul_f32_e32 v28, 0x3fb8aa3b, v24
	v_cmp_ngt_f32_e32 vcc_lo, 0xc2ce8ed0, v16
	v_mul_f32_e32 v26, 0x3fb8aa3b, v17
	s_delay_alu instid0(VALU_DEP_3)
	v_fma_f32 v40, 0x3fb8aa3b, v24, -v28
	v_sub_f32_e32 v25, v27, v10
	v_rndne_f32_e32 v41, v28
	v_sub_f32_e32 v19, v19, v10
	v_fma_f32 v36, 0x3fb8aa3b, v17, -v26
	v_fmac_f32_e32 v40, 0x32a5705f, v24
	v_mul_f32_e32 v29, 0x3fb8aa3b, v25
	v_sub_f32_e32 v28, v28, v41
	v_mul_f32_e32 v30, 0x3fb8aa3b, v19
	v_rndne_f32_e32 v37, v26
	v_cvt_i32_f32_e32 v41, v41
	v_fma_f32 v42, 0x3fb8aa3b, v25, -v29
	v_sub_f32_e32 v21, v21, v10
	v_sub_f32_e32 v10, v22, v10
	v_mul_f32_e32 v22, 0x3fb8aa3b, v16
	v_rndne_f32_e32 v45, v30
	v_fmac_f32_e32 v42, 0x32a5705f, v25
	v_dual_mul_f32 v27, 0x3fb8aa3b, v18 :: v_dual_mul_f32 v32, 0x3fb8aa3b, v21
	s_delay_alu instid0(VALU_DEP_4)
	v_fma_f32 v34, 0x3fb8aa3b, v16, -v22
	v_rndne_f32_e32 v35, v22
	v_fma_f32 v44, 0x3fb8aa3b, v19, -v30
	v_sub_f32_e32 v30, v30, v45
	v_fma_f32 v38, 0x3fb8aa3b, v18, -v27
	v_rndne_f32_e32 v39, v27
	v_fmac_f32_e32 v34, 0x32a5705f, v16
	v_sub_f32_e32 v22, v22, v35
	v_rndne_f32_e32 v49, v32
	v_dual_mul_f32 v31, 0x3fb8aa3b, v20 :: v_dual_sub_f32 v26, v26, v37
	v_fmac_f32_e32 v36, 0x32a5705f, v17
	v_dual_fmac_f32 v38, 0x32a5705f, v18 :: v_dual_sub_f32 v27, v27, v39
	v_add_f32_e32 v22, v22, v34
	v_rndne_f32_e32 v43, v29
	s_delay_alu instid0(VALU_DEP_4)
	v_dual_mul_f32 v33, 0x3fb8aa3b, v10 :: v_dual_add_f32 v26, v26, v36
	v_fma_f32 v48, 0x3fb8aa3b, v21, -v32
	v_dual_fmac_f32 v44, 0x32a5705f, v19 :: v_dual_add_f32 v27, v27, v38
	v_sub_f32_e32 v32, v32, v49
	v_fma_f32 v46, 0x3fb8aa3b, v20, -v31
	v_sub_f32_e32 v29, v29, v43
	v_exp_f32_e32 v22, v22
	v_rndne_f32_e32 v47, v31
	v_cvt_i32_f32_e32 v35, v35
	v_fmac_f32_e32 v46, 0x32a5705f, v20
	v_dual_add_f32 v28, v28, v40 :: v_dual_add_f32 v29, v29, v42
	v_exp_f32_e32 v26, v26
	v_exp_f32_e32 v27, v27
	v_cvt_i32_f32_e32 v37, v37
	v_cvt_i32_f32_e32 v39, v39
	v_dual_sub_f32 v31, v31, v47 :: v_dual_fmac_f32 v48, 0x32a5705f, v21
	v_exp_f32_e32 v29, v29
	v_ldexp_f32 v22, v22, v35
	v_cvt_i32_f32_e32 v43, v43
	s_delay_alu instid0(VALU_DEP_3)
	v_dual_add_f32 v30, v30, v44 :: v_dual_add_f32 v31, v31, v46
	v_exp_f32_e32 v28, v28
	v_ldexp_f32 v26, v26, v37
	v_ldexp_f32 v27, v27, v39
	v_cndmask_b32_e32 v22, 0, v22, vcc_lo
	v_cmp_ngt_f32_e32 vcc_lo, 0xc2ce8ed0, v17
	v_exp_f32_e32 v31, v31
	v_ldexp_f32 v29, v29, v43
	v_exp_f32_e32 v30, v30
	v_cvt_i32_f32_e32 v34, v47
	v_cndmask_b32_e32 v26, 0, v26, vcc_lo
	v_cmp_ngt_f32_e32 vcc_lo, 0xc2ce8ed0, v18
	v_ldexp_f32 v28, v28, v41
	v_cvt_i32_f32_e32 v45, v45
	v_fma_f32 v50, 0x3fb8aa3b, v10, -v33
	v_rndne_f32_e32 v51, v33
	v_cndmask_b32_e32 v27, 0, v27, vcc_lo
	v_cmp_ngt_f32_e32 vcc_lo, 0xc2ce8ed0, v24
	v_ldexp_f32 v31, v31, v34
	v_ldexp_f32 v30, v30, v45
	v_dual_fmac_f32 v50, 0x32a5705f, v10 :: v_dual_sub_f32 v33, v33, v51
	v_cndmask_b32_e32 v28, 0, v28, vcc_lo
	v_cmp_ngt_f32_e32 vcc_lo, 0xc2ce8ed0, v25
	s_delay_alu instid0(VALU_DEP_3) | instskip(SKIP_2) | instid1(VALU_DEP_3)
	v_dual_add_f32 v32, v32, v48 :: v_dual_add_f32 v33, v33, v50
	v_cndmask_b32_e32 v29, 0, v29, vcc_lo
	v_cmp_ngt_f32_e32 vcc_lo, 0xc2ce8ed0, v19
	v_exp_f32_e32 v32, v32
	v_cndmask_b32_e32 v30, 0, v30, vcc_lo
	v_cmp_ngt_f32_e32 vcc_lo, 0xc2ce8ed0, v20
	v_cndmask_b32_e32 v31, 0, v31, vcc_lo
	v_cmp_nlt_f32_e32 vcc_lo, 0x42b17218, v16
	v_cndmask_b32_e32 v16, 0x7f800000, v22, vcc_lo
	v_cmp_nlt_f32_e32 vcc_lo, 0x42b17218, v17
	;; [unrolled: 2-line block ×6, first 2 shown]
	v_cndmask_b32_e32 v19, 0x7f800000, v30, vcc_lo
	v_cmp_lt_i32_e32 vcc_lo, 0, v11
	v_cndmask_b32_e32 v16, 0, v16, vcc_lo
	v_cmp_lt_i32_e32 vcc_lo, 32, v11
	s_waitcnt vmcnt(8)
	s_delay_alu instid0(VALU_DEP_2) | instskip(SKIP_2) | instid1(VALU_DEP_2)
	v_dual_mul_f32 v16, v23, v16 :: v_dual_cndmask_b32 v17, 0, v17
	v_cmp_lt_i32_e32 vcc_lo, 64, v11
	s_waitcnt vmcnt(7)
	v_mul_f32_e32 v3, v3, v17
	v_cvt_i32_f32_e32 v17, v49
	s_delay_alu instid0(VALU_DEP_1) | instskip(SKIP_3) | instid1(VALU_DEP_2)
	v_ldexp_f32 v17, v32, v17
	v_cndmask_b32_e32 v18, 0, v18, vcc_lo
	v_cmp_lt_i32_e32 vcc_lo, 0x60, v11
	s_waitcnt vmcnt(6)
	v_mul_f32_e32 v4, v4, v18
	v_cndmask_b32_e32 v22, 0, v22, vcc_lo
	v_cmp_lt_i32_e32 vcc_lo, 0x80, v11
	s_waitcnt vmcnt(5)
	s_delay_alu instid0(VALU_DEP_2) | instskip(SKIP_3) | instid1(VALU_DEP_3)
	v_dual_mul_f32 v5, v5, v22 :: v_dual_cndmask_b32 v24, 0, v24
	v_cmp_lt_i32_e32 vcc_lo, 0xa0, v11
	v_cvt_i32_f32_e32 v22, v51
	s_waitcnt vmcnt(4)
	v_dual_mul_f32 v6, v6, v24 :: v_dual_cndmask_b32 v19, 0, v19
	v_cmp_nlt_f32_e32 vcc_lo, 0x42b17218, v20
	s_waitcnt vmcnt(3)
	s_delay_alu instid0(VALU_DEP_2) | instskip(SKIP_3) | instid1(VALU_DEP_2)
	v_mul_f32_e32 v7, v7, v19
	v_cndmask_b32_e32 v18, 0x7f800000, v31, vcc_lo
	v_cmp_lt_i32_e32 vcc_lo, 0xc0, v11
	v_exp_f32_e32 v19, v33
	v_cndmask_b32_e32 v18, 0, v18, vcc_lo
	v_cmp_ngt_f32_e32 vcc_lo, 0xc2ce8ed0, v21
	s_waitcnt vmcnt(2)
	s_delay_alu instid0(VALU_DEP_2)
	v_dual_mul_f32 v8, v8, v18 :: v_dual_cndmask_b32 v17, 0, v17
	v_cmp_nlt_f32_e32 vcc_lo, 0x42b17218, v21
	s_waitcnt_depctr 0xfff
	v_ldexp_f32 v18, v19, v22
	v_dual_add_f32 v20, v16, v3 :: v_dual_cndmask_b32 v17, 0x7f800000, v17
	v_cmp_ngt_f32_e32 vcc_lo, 0xc2ce8ed0, v10
	s_delay_alu instid0(VALU_DEP_3) | instskip(SKIP_1) | instid1(VALU_DEP_4)
	v_cndmask_b32_e32 v18, 0, v18, vcc_lo
	v_cmp_lt_i32_e32 vcc_lo, 0xe0, v11
	v_cndmask_b32_e32 v17, 0, v17, vcc_lo
	v_cmp_nlt_f32_e32 vcc_lo, 0x42b17218, v10
	s_waitcnt vmcnt(1)
	s_delay_alu instid0(VALU_DEP_2) | instskip(SKIP_2) | instid1(VALU_DEP_2)
	v_mul_f32_e32 v12, v12, v17
	v_cndmask_b32_e32 v10, 0x7f800000, v18, vcc_lo
	v_cmp_lt_i32_e32 vcc_lo, 0x100, v11
	v_cndmask_b32_e32 v10, 0, v10, vcc_lo
	s_waitcnt vmcnt(0)
	s_delay_alu instid0(VALU_DEP_1) | instskip(SKIP_1) | instid1(VALU_DEP_1)
	v_mul_f32_e32 v10, v1, v10
	v_add_f32_e32 v20, v20, v4
	v_add_f32_e32 v19, v20, v5
	s_delay_alu instid0(VALU_DEP_1) | instskip(NEXT) | instid1(VALU_DEP_1)
	v_add_f32_e32 v19, v19, v6
	v_add_f32_e32 v18, v19, v7
	s_delay_alu instid0(VALU_DEP_1) | instskip(NEXT) | instid1(VALU_DEP_1)
	v_add_f32_e32 v11, v18, v8
	v_add_f32_e32 v1, v11, v12
	s_delay_alu instid0(VALU_DEP_1)
	v_add_f32_e32 v1, v1, v10
	ds_bpermute_b32 v2, v2, v1
	s_waitcnt lgkmcnt(0)
	v_add_f32_e32 v1, v1, v2
	ds_bpermute_b32 v2, v13, v1
	s_waitcnt lgkmcnt(0)
	;; [unrolled: 3-line block ×4, first 2 shown]
	v_add_f32_e32 v1, v1, v2
	ds_bpermute_b32 v2, v9, v1
	v_lshlrev_b32_e32 v9, 2, v0
	ds_store_2addr_b32 v9, v16, v3 offset1:32
	ds_store_2addr_b32 v9, v4, v5 offset0:64 offset1:96
	ds_store_2addr_b32 v9, v6, v7 offset0:128 offset1:160
	;; [unrolled: 1-line block ×3, first 2 shown]
	ds_store_b32 v9, v10 offset:1024
	v_cmpx_eq_u32_e32 0, v0
	s_cbranch_execz .LBB414_8
; %bb.7:
	s_waitcnt lgkmcnt(5)
	v_dual_add_f32 v1, v1, v2 :: v_dual_mov_b32 v2, 0
	ds_store_b32 v2, v1 offset:1152
.LBB414_8:
	s_or_b32 exec_lo, exec_lo, s7
	v_mov_b32_e32 v1, s6
.LBB414_9:
	s_or_b32 exec_lo, exec_lo, s24
	s_lshl_b32 s6, s18, 6
	s_mov_b32 s7, 0
	s_waitcnt lgkmcnt(5)
	v_dual_mov_b32 v2, 0 :: v_dual_lshlrev_b32 v1, 6, v1
	s_lshl_b64 s[6:7], s[6:7], 1
	v_dual_mov_b32 v31, 0 :: v_dual_mov_b32 v32, 0
	s_add_u32 s34, s4, s6
	s_addc_u32 s35, s5, s7
	s_lshl_b32 s41, s40, 6
	v_lshlrev_b64 v[3:4], 1, v[1:2]
	s_sub_i32 s42, s41, 64
	s_cmpk_lt_i32 s22, 0x100
	v_lshlrev_b32_e32 v1, 1, v0
	s_cselect_b32 s4, s42, 0
	v_dual_mov_b32 v33, 0 :: v_dual_mov_b32 v34, 0
	s_ashr_i32 s5, s4, 31
	v_add_co_u32 v3, vcc_lo, s34, v3
	s_lshl_b64 s[4:5], s[4:5], 1
	s_cmpk_lt_i32 s22, 0x200
	v_add_co_ci_u32_e32 v4, vcc_lo, s35, v4, vcc_lo
	s_cselect_b32 s6, s42, 64
	v_add_co_u32 v1, vcc_lo, v3, v1
	s_ashr_i32 s7, s6, 31
	s_delay_alu instid0(VALU_DEP_2)
	v_add_co_ci_u32_e32 v3, vcc_lo, 0, v4, vcc_lo
	s_lshl_b64 s[6:7], s[6:7], 1
	s_cmpk_lt_i32 s22, 0x300
	v_add_co_u32 v4, vcc_lo, v1, s4
	s_cselect_b32 s8, s42, 0x80
	v_add_co_ci_u32_e32 v5, vcc_lo, s5, v3, vcc_lo
	s_ashr_i32 s9, s8, 31
	v_add_co_u32 v6, vcc_lo, v1, s6
	s_lshl_b64 s[8:9], s[8:9], 1
	s_cmpk_lt_i32 s22, 0x400
	v_add_co_ci_u32_e32 v7, vcc_lo, s7, v3, vcc_lo
	s_cselect_b32 s10, s42, 0xc0
	v_add_co_u32 v8, vcc_lo, v1, s8
	s_ashr_i32 s11, s10, 31
	v_add_co_ci_u32_e32 v9, vcc_lo, s9, v3, vcc_lo
	s_lshl_b64 s[10:11], s[10:11], 1
	s_cmpk_lt_i32 s22, 0x500
	v_add_co_u32 v11, vcc_lo, v1, s10
	s_cselect_b32 s18, s42, 0x100
	v_add_co_ci_u32_e32 v12, vcc_lo, s11, v3, vcc_lo
	s_ashr_i32 s19, s18, 31
	v_mov_b32_e32 v35, 0
	s_lshl_b64 s[18:19], s[18:19], 1
	s_cmpk_lt_i32 s22, 0x600
	v_add_co_u32 v14, vcc_lo, v1, s18
	s_cselect_b32 s20, s42, 0x140
	v_add_co_ci_u32_e32 v15, vcc_lo, s19, v3, vcc_lo
	s_ashr_i32 s21, s20, 31
	v_mov_b32_e32 v30, 0
	s_lshl_b64 s[20:21], s[20:21], 1
	s_cmpk_lt_i32 s22, 0x700
	v_add_co_u32 v16, vcc_lo, v1, s20
	s_cselect_b32 s24, s42, 0x180
	v_add_co_ci_u32_e32 v17, vcc_lo, s21, v3, vcc_lo
	s_ashr_i32 s25, s24, 31
	s_delay_alu instid0(SALU_CYCLE_1)
	s_lshl_b64 s[24:25], s[24:25], 1
	s_cmpk_lt_i32 s22, 0x800
	v_add_co_u32 v18, vcc_lo, v1, s24
	s_cselect_b32 s26, s42, 0x1c0
	v_add_co_ci_u32_e32 v19, vcc_lo, s25, v3, vcc_lo
	s_ashr_i32 s27, s26, 31
	s_delay_alu instid0(SALU_CYCLE_1)
	s_lshl_b64 s[26:27], s[26:27], 1
	s_cmpk_lt_i32 s22, 0x900
	v_add_co_u32 v20, vcc_lo, v1, s26
	s_cselect_b32 s28, s42, 0x200
	v_add_co_ci_u32_e32 v21, vcc_lo, s27, v3, vcc_lo
	s_ashr_i32 s29, s28, 31
	s_clause 0x7
	global_load_u16 v13, v[4:5], off
	global_load_u16 v4, v[6:7], off
	;; [unrolled: 1-line block ×8, first 2 shown]
	s_lshl_b64 s[28:29], s[28:29], 1
	s_cmpk_lt_i32 s22, 0xa00
	v_add_co_u32 v11, vcc_lo, v1, s28
	s_cselect_b32 s30, s42, 0x240
	v_add_co_ci_u32_e32 v12, vcc_lo, s29, v3, vcc_lo
	s_ashr_i32 s31, s30, 31
	s_delay_alu instid0(SALU_CYCLE_1)
	s_lshl_b64 s[30:31], s[30:31], 1
	s_cmpk_lt_i32 s22, 0xb00
	v_add_co_u32 v14, vcc_lo, v1, s30
	s_cselect_b32 s34, s42, 0x280
	v_add_co_ci_u32_e32 v15, vcc_lo, s31, v3, vcc_lo
	s_ashr_i32 s35, s34, 31
	s_delay_alu instid0(SALU_CYCLE_1)
	s_lshl_b64 s[4:5], s[34:35], 1
	s_cmpk_lt_i32 s22, 0xc00
	v_add_co_u32 v16, vcc_lo, v1, s4
	s_cselect_b32 s6, s42, 0x2c0
	v_add_co_ci_u32_e32 v17, vcc_lo, s5, v3, vcc_lo
	s_ashr_i32 s7, s6, 31
	s_delay_alu instid0(SALU_CYCLE_1)
	s_lshl_b64 s[6:7], s[6:7], 1
	s_cmpk_lt_i32 s22, 0xd00
	v_add_co_u32 v20, vcc_lo, v1, s6
	s_cselect_b32 s8, s42, 0x300
	v_add_co_ci_u32_e32 v21, vcc_lo, s7, v3, vcc_lo
	s_ashr_i32 s9, s8, 31
	s_delay_alu instid0(SALU_CYCLE_1)
	s_lshl_b64 s[8:9], s[8:9], 1
	s_cmpk_lt_i32 s22, 0xe00
	v_add_co_u32 v22, vcc_lo, v1, s8
	s_cselect_b32 s10, s42, 0x340
	v_add_co_ci_u32_e32 v23, vcc_lo, s9, v3, vcc_lo
	s_ashr_i32 s11, s10, 31
	s_delay_alu instid0(SALU_CYCLE_1)
	s_lshl_b64 s[10:11], s[10:11], 1
	s_cmpk_lt_i32 s22, 0xf00
	v_add_co_u32 v24, vcc_lo, v1, s10
	s_cselect_b32 s18, s42, 0x380
	v_add_co_ci_u32_e32 v25, vcc_lo, s11, v3, vcc_lo
	s_ashr_i32 s19, s18, 31
	s_delay_alu instid0(SALU_CYCLE_1)
	s_lshl_b64 s[4:5], s[18:19], 1
	s_cmpk_lt_i32 s22, 0x1000
	v_add_co_u32 v26, vcc_lo, v1, s4
	s_cselect_b32 s6, s42, 0x3c0
	v_add_co_ci_u32_e32 v27, vcc_lo, s5, v3, vcc_lo
	s_ashr_i32 s7, s6, 31
	s_delay_alu instid0(SALU_CYCLE_1)
	s_lshl_b64 s[4:5], s[6:7], 1
	s_cmpk_gt_i32 s23, 0x1000
	v_add_co_u32 v28, vcc_lo, v1, s4
	v_add_co_ci_u32_e32 v29, vcc_lo, s5, v3, vcc_lo
	s_clause 0x7
	global_load_u16 v19, v[11:12], off
	global_load_u16 v18, v[14:15], off
	;; [unrolled: 1-line block ×8, first 2 shown]
	v_dual_mov_b32 v20, 0 :: v_dual_mov_b32 v21, 0
	v_dual_mov_b32 v22, 0 :: v_dual_mov_b32 v23, 0
	;; [unrolled: 1-line block ×5, first 2 shown]
	s_cselect_b32 s6, -1, 0
	s_cmpk_lt_i32 s23, 0x1001
	s_waitcnt vmcnt(0) lgkmcnt(0)
	s_barrier
	buffer_gl0_inv
	s_cbranch_scc1 .LBB414_11
; %bb.10:
	s_cmpk_lt_i32 s22, 0x1100
	s_cselect_b32 s4, s42, 0x400
	s_delay_alu instid0(SALU_CYCLE_1) | instskip(NEXT) | instid1(SALU_CYCLE_1)
	s_ashr_i32 s5, s4, 31
	s_lshl_b64 s[4:5], s[4:5], 1
	s_cmpk_lt_i32 s22, 0x1200
	v_add_co_u32 v20, vcc_lo, v1, s4
	s_cselect_b32 s8, s42, 0x440
	v_add_co_ci_u32_e32 v21, vcc_lo, s5, v3, vcc_lo
	s_ashr_i32 s9, s8, 31
	s_delay_alu instid0(SALU_CYCLE_1)
	s_lshl_b64 s[8:9], s[8:9], 1
	s_cmpk_lt_i32 s22, 0x1300
	v_add_co_u32 v22, vcc_lo, v1, s8
	s_cselect_b32 s10, s42, 0x480
	v_add_co_ci_u32_e32 v23, vcc_lo, s9, v3, vcc_lo
	s_ashr_i32 s11, s10, 31
	s_delay_alu instid0(SALU_CYCLE_1)
	;; [unrolled: 7-line block ×14, first 2 shown]
	s_lshl_b64 s[4:5], s[18:19], 1
	s_cmpk_lt_i32 s22, 0x2000
	v_add_co_u32 v48, vcc_lo, v1, s4
	s_cselect_b32 s8, s42, 0x7c0
	v_add_co_ci_u32_e32 v49, vcc_lo, s5, v3, vcc_lo
	s_ashr_i32 s9, s8, 31
	s_delay_alu instid0(SALU_CYCLE_1) | instskip(NEXT) | instid1(SALU_CYCLE_1)
	s_lshl_b64 s[4:5], s[8:9], 1
	v_add_co_u32 v50, vcc_lo, v1, s4
	v_add_co_ci_u32_e32 v51, vcc_lo, s5, v3, vcc_lo
	s_clause 0xf
	global_load_u16 v20, v[20:21], off
	global_load_u16 v21, v[22:23], off
	;; [unrolled: 1-line block ×16, first 2 shown]
	s_waitcnt vmcnt(15)
	v_lshlrev_b32_e32 v35, 16, v20
	s_waitcnt vmcnt(14)
	v_lshlrev_b32_e32 v34, 16, v21
	;; [unrolled: 2-line block ×16, first 2 shown]
.LBB414_11:
	ds_load_b128 v[36:39], v2
	ds_load_b128 v[40:43], v2 offset:16
	v_lshlrev_b32_e32 v44, 16, v4
	v_lshlrev_b32_e32 v13, 16, v13
	;; [unrolled: 1-line block ×5, first 2 shown]
	s_load_b64 s[0:1], s[0:1], 0x0
	s_and_b32 vcc_lo, exec_lo, s6
	v_lshlrev_b32_e32 v5, 16, v5
	s_waitcnt lgkmcnt(0)
	v_fma_f32 v4, v36, v13, 0
	s_delay_alu instid0(VALU_DEP_1) | instskip(NEXT) | instid1(VALU_DEP_1)
	v_dual_fmac_f32 v4, v37, v44 :: v_dual_lshlrev_b32 v13, 16, v7
	v_dual_fmac_f32 v4, v38, v10 :: v_dual_lshlrev_b32 v9, 16, v9
	s_delay_alu instid0(VALU_DEP_1) | instskip(SKIP_4) | instid1(VALU_DEP_1)
	v_fmac_f32_e32 v4, v39, v9
	ds_load_b128 v[36:39], v2 offset:48
	v_fmac_f32_e32 v4, v40, v8
	ds_load_b128 v[7:10], v2 offset:32
	v_fmac_f32_e32 v4, v41, v13
	v_fmac_f32_e32 v4, v42, v6
	v_lshlrev_b32_e32 v6, 16, v19
	s_delay_alu instid0(VALU_DEP_2) | instskip(SKIP_1) | instid1(VALU_DEP_1)
	v_dual_fmac_f32 v4, v43, v5 :: v_dual_lshlrev_b32 v5, 16, v18
	s_waitcnt lgkmcnt(0)
	v_fmac_f32_e32 v4, v7, v6
	v_lshlrev_b32_e32 v6, 16, v17
	s_delay_alu instid0(VALU_DEP_2) | instskip(NEXT) | instid1(VALU_DEP_1)
	v_dual_fmac_f32 v4, v8, v5 :: v_dual_lshlrev_b32 v5, 16, v16
	v_fmac_f32_e32 v4, v9, v6
	v_lshlrev_b32_e32 v6, 16, v15
	s_delay_alu instid0(VALU_DEP_2) | instskip(NEXT) | instid1(VALU_DEP_1)
	v_dual_fmac_f32 v4, v10, v5 :: v_dual_lshlrev_b32 v5, 16, v14
	v_fmac_f32_e32 v4, v36, v6
	v_lshlrev_b32_e32 v6, 16, v12
	s_delay_alu instid0(VALU_DEP_2) | instskip(NEXT) | instid1(VALU_DEP_1)
	v_dual_fmac_f32 v4, v37, v5 :: v_dual_lshlrev_b32 v5, 16, v11
	v_fmac_f32_e32 v4, v38, v6
	s_delay_alu instid0(VALU_DEP_1)
	v_fmac_f32_e32 v4, v39, v5
	s_cbranch_vccz .LBB414_13
; %bb.12:
	ds_load_b128 v[5:8], v2 offset:64
	ds_load_b128 v[9:12], v2 offset:80
	s_waitcnt lgkmcnt(1)
	v_fmac_f32_e32 v4, v5, v35
	s_delay_alu instid0(VALU_DEP_1) | instskip(NEXT) | instid1(VALU_DEP_1)
	v_fmac_f32_e32 v4, v6, v34
	v_fmac_f32_e32 v4, v7, v33
	s_delay_alu instid0(VALU_DEP_1) | instskip(SKIP_3) | instid1(VALU_DEP_1)
	v_fmac_f32_e32 v4, v8, v32
	ds_load_b128 v[5:8], v2 offset:96
	s_waitcnt lgkmcnt(1)
	v_fmac_f32_e32 v4, v9, v31
	v_fmac_f32_e32 v4, v10, v30
	s_delay_alu instid0(VALU_DEP_1) | instskip(NEXT) | instid1(VALU_DEP_1)
	v_fmac_f32_e32 v4, v11, v29
	v_fmac_f32_e32 v4, v12, v28
	ds_load_b128 v[9:12], v2 offset:112
	s_waitcnt lgkmcnt(1)
	v_fmac_f32_e32 v4, v5, v27
	s_delay_alu instid0(VALU_DEP_1) | instskip(NEXT) | instid1(VALU_DEP_1)
	v_fmac_f32_e32 v4, v6, v26
	v_fmac_f32_e32 v4, v7, v25
	s_delay_alu instid0(VALU_DEP_1) | instskip(SKIP_1) | instid1(VALU_DEP_1)
	v_fmac_f32_e32 v4, v8, v24
	s_waitcnt lgkmcnt(0)
	v_fmac_f32_e32 v4, v9, v23
	s_delay_alu instid0(VALU_DEP_1) | instskip(NEXT) | instid1(VALU_DEP_1)
	v_fmac_f32_e32 v4, v10, v22
	v_fmac_f32_e32 v4, v11, v21
	s_delay_alu instid0(VALU_DEP_1)
	v_fmac_f32_e32 v4, v12, v20
.LBB414_13:
	s_movk_i32 s43, 0xfc0
	s_movk_i32 s44, 0x80
	s_mov_b32 s45, 32
	s_branch .LBB414_15
.LBB414_14:                             ;   in Loop: Header=BB414_15 Depth=1
	s_addk_i32 s43, 0x800
	s_addk_i32 s44, 0x80
	s_add_i32 s45, s45, 32
	s_cmpk_eq_i32 s43, 0x4fc0
	s_cbranch_scc1 .LBB414_17
.LBB414_15:                             ; =>This Inner Loop Header: Depth=1
	s_cmp_le_i32 s40, s45
	s_cbranch_scc1 .LBB414_14
; %bb.16:                               ;   in Loop: Header=BB414_15 Depth=1
	s_add_i32 s4, s43, 0xfffff840
	v_mov_b32_e32 v44, s44
	s_cmp_lt_i32 s4, s41
	s_cselect_b32 s4, s4, s42
	s_add_i32 s6, s43, 0xfffff880
	s_ashr_i32 s5, s4, 31
	s_delay_alu instid0(SALU_CYCLE_1)
	s_lshl_b64 s[38:39], s[4:5], 1
	s_cmp_lt_i32 s6, s41
	v_add_co_u32 v5, vcc_lo, v1, s38
	s_cselect_b32 s4, s6, s42
	s_add_i32 s6, s43, 0xfffff8c0
	s_ashr_i32 s5, s4, 31
	v_add_co_ci_u32_e32 v6, vcc_lo, s39, v3, vcc_lo
	s_lshl_b64 s[4:5], s[4:5], 1
	s_cmp_lt_i32 s6, s41
	s_cselect_b32 s6, s6, s42
	s_add_i32 s8, s43, 0xfffff900
	s_ashr_i32 s7, s6, 31
	global_load_u16 v2, v[5:6], off
	s_lshl_b64 s[6:7], s[6:7], 1
	s_cmp_lt_i32 s8, s41
	v_add_co_u32 v5, vcc_lo, v1, s4
	s_cselect_b32 s8, s8, s42
	s_add_i32 s10, s43, 0xfffff940
	s_ashr_i32 s9, s8, 31
	v_add_co_ci_u32_e32 v6, vcc_lo, s5, v3, vcc_lo
	s_lshl_b64 s[8:9], s[8:9], 1
	s_cmp_lt_i32 s10, s41
	v_add_co_u32 v7, vcc_lo, v1, s6
	s_cselect_b32 s10, s10, s42
	s_add_i32 s18, s43, 0xfffff980
	s_ashr_i32 s11, s10, 31
	v_add_co_ci_u32_e32 v8, vcc_lo, s7, v3, vcc_lo
	s_lshl_b64 s[10:11], s[10:11], 1
	s_cmp_lt_i32 s18, s41
	v_add_co_u32 v9, vcc_lo, v1, s8
	s_cselect_b32 s18, s18, s42
	s_add_i32 s20, s43, 0xfffff9c0
	s_ashr_i32 s19, s18, 31
	s_clause 0x1
	global_load_u16 v23, v[5:6], off
	global_load_u16 v24, v[7:8], off
	s_lshl_b64 s[18:19], s[18:19], 1
	s_cmp_lt_i32 s20, s41
	v_add_co_ci_u32_e32 v10, vcc_lo, s9, v3, vcc_lo
	s_cselect_b32 s20, s20, s42
	s_add_i32 s22, s43, 0xfffffa00
	s_ashr_i32 s21, s20, 31
	global_load_u16 v25, v[9:10], off
	s_lshl_b64 s[20:21], s[20:21], 1
	s_cmp_lt_i32 s22, s41
	v_add_co_u32 v11, vcc_lo, v1, s10
	s_cselect_b32 s22, s22, s42
	s_add_i32 s24, s43, 0xfffffa40
	s_ashr_i32 s23, s22, 31
	v_add_co_ci_u32_e32 v12, vcc_lo, s11, v3, vcc_lo
	s_lshl_b64 s[22:23], s[22:23], 1
	s_cmp_lt_i32 s24, s41
	v_add_co_u32 v13, vcc_lo, v1, s18
	global_load_u16 v26, v[11:12], off
	s_cselect_b32 s24, s24, s42
	s_add_i32 s26, s43, 0xfffffa80
	s_ashr_i32 s25, s24, 31
	v_add_co_ci_u32_e32 v14, vcc_lo, s19, v3, vcc_lo
	s_lshl_b64 s[24:25], s[24:25], 1
	s_cmp_lt_i32 s26, s41
	v_add_co_u32 v15, vcc_lo, v1, s20
	global_load_u16 v27, v[13:14], off
	s_cselect_b32 s26, s26, s42
	s_add_i32 s28, s43, 0xfffffac0
	s_ashr_i32 s27, s26, 31
	v_add_co_ci_u32_e32 v16, vcc_lo, s21, v3, vcc_lo
	s_lshl_b64 s[36:37], s[26:27], 1
	s_cmp_lt_i32 s28, s41
	v_add_co_u32 v17, vcc_lo, v1, s22
	s_cselect_b32 s26, s28, s42
	s_add_i32 s30, s43, 0xfffffb00
	s_ashr_i32 s27, s26, 31
	v_add_co_ci_u32_e32 v18, vcc_lo, s23, v3, vcc_lo
	s_lshl_b64 s[28:29], s[26:27], 1
	s_cmp_lt_i32 s30, s41
	v_add_co_u32 v19, vcc_lo, v1, s24
	global_load_u16 v17, v[17:18], off
	s_cselect_b32 s26, s30, s42
	s_add_i32 s30, s43, 0xfffffb40
	s_ashr_i32 s27, s26, 31
	v_add_co_ci_u32_e32 v20, vcc_lo, s25, v3, vcc_lo
	s_lshl_b64 s[26:27], s[26:27], 1
	s_cmp_lt_i32 s30, s41
	v_add_co_u32 v21, vcc_lo, v1, s36
	s_cselect_b32 s30, s30, s42
	s_add_i32 s46, s43, 0xfffffb80
	s_ashr_i32 s31, s30, 31
	v_add_co_ci_u32_e32 v22, vcc_lo, s37, v3, vcc_lo
	s_lshl_b64 s[34:35], s[30:31], 1
	s_cmp_lt_i32 s46, s41
	v_add_co_u32 v5, vcc_lo, v1, s28
	;; [unrolled: 7-line block ×3, first 2 shown]
	s_cselect_b32 s46, s46, s42
	s_add_i32 s48, s43, 0xfffffc00
	s_ashr_i32 s47, s46, 31
	global_load_u16 v28, v[15:16], off
	s_lshl_b64 s[38:39], s[46:47], 1
	s_cmp_lt_i32 s48, s41
	v_add_co_ci_u32_e32 v8, vcc_lo, s27, v3, vcc_lo
	s_cselect_b32 s46, s48, s42
	v_add_co_u32 v9, vcc_lo, v1, s34
	s_ashr_i32 s47, s46, 31
	s_add_i32 s4, s43, 0xfffffc40
	s_lshl_b64 s[46:47], s[46:47], 1
	v_add_co_ci_u32_e32 v10, vcc_lo, s35, v3, vcc_lo
	s_cmp_lt_i32 s4, s41
	v_add_co_u32 v11, vcc_lo, v1, s30
	s_cselect_b32 s4, s4, s42
	v_add_co_ci_u32_e32 v12, vcc_lo, s31, v3, vcc_lo
	v_add_co_u32 v13, vcc_lo, v1, s38
	s_ashr_i32 s5, s4, 31
	s_add_i32 s6, s43, 0xfffffc80
	v_add_co_ci_u32_e32 v14, vcc_lo, s39, v3, vcc_lo
	global_load_u16 v18, v[19:20], off
	s_lshl_b64 s[8:9], s[4:5], 1
	s_cmp_lt_i32 s6, s41
	global_load_u16 v30, v[13:14], off
	s_cselect_b32 s4, s6, s42
	global_load_u16 v19, v[21:22], off
	s_ashr_i32 s5, s4, 31
	s_add_i32 s6, s43, 0xfffffcc0
	s_lshl_b64 s[10:11], s[4:5], 1
	s_cmp_lt_i32 s6, s41
	s_clause 0x3
	global_load_u16 v20, v[5:6], off
	global_load_u16 v21, v[7:8], off
	;; [unrolled: 1-line block ×4, first 2 shown]
	s_cselect_b32 s4, s6, s42
	s_add_i32 s6, s43, 0xfffffd00
	s_ashr_i32 s5, s4, 31
	v_add_co_u32 v15, vcc_lo, v1, s46
	s_lshl_b64 s[4:5], s[4:5], 1
	s_cmp_lt_i32 s6, s41
	v_add_co_ci_u32_e32 v16, vcc_lo, s47, v3, vcc_lo
	s_cselect_b32 s6, s6, s42
	s_add_i32 s18, s43, 0xfffffd40
	s_ashr_i32 s7, s6, 31
	v_add_co_u32 v5, vcc_lo, v1, s8
	s_lshl_b64 s[6:7], s[6:7], 1
	s_cmp_lt_i32 s18, s41
	v_add_co_ci_u32_e32 v6, vcc_lo, s9, v3, vcc_lo
	s_cselect_b32 s18, s18, s42
	v_add_co_u32 v7, vcc_lo, v1, s10
	s_ashr_i32 s19, s18, 31
	s_add_i32 s20, s43, 0xfffffd80
	s_lshl_b64 s[18:19], s[18:19], 1
	v_add_co_ci_u32_e32 v8, vcc_lo, s11, v3, vcc_lo
	s_cmp_lt_i32 s20, s41
	v_add_co_u32 v9, vcc_lo, v1, s4
	s_cselect_b32 s20, s20, s42
	v_add_co_ci_u32_e32 v10, vcc_lo, s5, v3, vcc_lo
	v_add_co_u32 v11, vcc_lo, v1, s6
	s_ashr_i32 s21, s20, 31
	s_add_i32 s22, s43, 0xfffffdc0
	v_add_co_ci_u32_e32 v12, vcc_lo, s7, v3, vcc_lo
	global_load_u16 v15, v[15:16], off
	s_lshl_b64 s[20:21], s[20:21], 1
	s_cmp_lt_i32 s22, s41
	global_load_u16 v33, v[11:12], off
	s_cselect_b32 s22, s22, s42
	s_clause 0x2
	global_load_u16 v16, v[5:6], off
	global_load_u16 v31, v[7:8], off
	;; [unrolled: 1-line block ×3, first 2 shown]
	s_ashr_i32 s23, s22, 31
	s_add_i32 s24, s43, 0xfffffe00
	s_lshl_b64 s[22:23], s[22:23], 1
	s_cmp_lt_i32 s24, s41
	v_add_co_u32 v13, vcc_lo, v1, s18
	s_cselect_b32 s24, s24, s42
	s_add_i32 s26, s43, 0xfffffe40
	s_ashr_i32 s25, s24, 31
	v_add_co_ci_u32_e32 v14, vcc_lo, s19, v3, vcc_lo
	s_lshl_b64 s[24:25], s[24:25], 1
	s_cmp_lt_i32 s26, s41
	v_add_co_u32 v5, vcc_lo, v1, s20
	s_cselect_b32 s8, s26, s42
	v_add_co_ci_u32_e32 v6, vcc_lo, s21, v3, vcc_lo
	s_ashr_i32 s9, s8, 31
	v_add_co_u32 v7, vcc_lo, v1, s22
	s_add_i32 s10, s43, 0xfffffe80
	s_lshl_b64 s[8:9], s[8:9], 1
	v_add_co_ci_u32_e32 v8, vcc_lo, s23, v3, vcc_lo
	s_cmp_lt_i32 s10, s41
	v_add_co_u32 v9, vcc_lo, v1, s24
	s_cselect_b32 s4, s10, s42
	global_load_u16 v13, v[13:14], off
	v_add_co_ci_u32_e32 v10, vcc_lo, s25, v3, vcc_lo
	s_ashr_i32 s5, s4, 31
	s_add_i32 s6, s43, 0xfffffec0
	s_lshl_b64 s[4:5], s[4:5], 1
	global_load_u16 v35, v[9:10], off
	s_cmp_lt_i32 s6, s41
	s_clause 0x1
	global_load_u16 v14, v[5:6], off
	global_load_u16 v34, v[7:8], off
	s_cselect_b32 s6, s6, s42
	s_add_i32 s10, s43, 0xffffff00
	s_ashr_i32 s7, s6, 31
	v_add_co_u32 v5, vcc_lo, v1, s8
	s_lshl_b64 s[6:7], s[6:7], 1
	s_cmp_lt_i32 s10, s41
	v_add_co_ci_u32_e32 v6, vcc_lo, s9, v3, vcc_lo
	s_cselect_b32 s10, s10, s42
	v_add_co_u32 v7, vcc_lo, v1, s4
	s_ashr_i32 s11, s10, 31
	v_add_co_ci_u32_e32 v8, vcc_lo, s5, v3, vcc_lo
	s_add_i32 s18, s43, 0xffffff40
	s_lshl_b64 s[10:11], s[10:11], 1
	s_cmp_lt_i32 s18, s41
	s_clause 0x1
	global_load_u16 v36, v[5:6], off
	global_load_u16 v37, v[7:8], off
	s_cselect_b32 s18, s18, s42
	v_add_co_u32 v5, vcc_lo, v1, s6
	s_ashr_i32 s19, s18, 31
	v_add_co_ci_u32_e32 v6, vcc_lo, s7, v3, vcc_lo
	s_add_i32 s20, s43, 0xffffff80
	v_add_co_u32 v7, vcc_lo, v1, s10
	s_lshl_b64 s[8:9], s[18:19], 1
	s_cmp_lt_i32 s20, s41
	v_add_co_ci_u32_e32 v8, vcc_lo, s11, v3, vcc_lo
	s_cselect_b32 s4, s20, s42
	global_load_u16 v38, v[5:6], off
	s_ashr_i32 s5, s4, 31
	global_load_u16 v39, v[7:8], off
	s_sub_i32 s18, s43, 64
	v_add_co_u32 v5, vcc_lo, v1, s8
	s_lshl_b64 s[4:5], s[4:5], 1
	s_cmp_lt_i32 s18, s41
	v_add_co_ci_u32_e32 v6, vcc_lo, s9, v3, vcc_lo
	v_add_co_u32 v7, vcc_lo, v1, s4
	s_cselect_b32 s6, s18, s42
	v_add_co_ci_u32_e32 v8, vcc_lo, s5, v3, vcc_lo
	s_ashr_i32 s7, s6, 31
	global_load_u16 v40, v[5:6], off
	s_lshl_b64 s[6:7], s[6:7], 1
	global_load_u16 v41, v[7:8], off
	s_cmp_lt_i32 s43, s41
	v_add_co_u32 v5, vcc_lo, v1, s6
	s_cselect_b32 s4, s43, s42
	v_add_co_ci_u32_e32 v6, vcc_lo, s7, v3, vcc_lo
	s_ashr_i32 s5, s4, 31
	s_delay_alu instid0(SALU_CYCLE_1)
	s_lshl_b64 s[4:5], s[4:5], 1
	global_load_u16 v42, v[5:6], off
	v_add_co_u32 v5, vcc_lo, v1, s4
	v_add_co_ci_u32_e32 v6, vcc_lo, s5, v3, vcc_lo
	global_load_u16 v43, v[5:6], off
	ds_load_b128 v[5:8], v44
	ds_load_b128 v[9:12], v44 offset:16
	s_waitcnt vmcnt(31)
	v_lshlrev_b32_e32 v2, 16, v2
	s_waitcnt lgkmcnt(1)
	s_delay_alu instid0(VALU_DEP_1) | instskip(SKIP_2) | instid1(VALU_DEP_1)
	v_fmac_f32_e32 v4, v5, v2
	s_waitcnt vmcnt(30)
	v_lshlrev_b32_e32 v2, 16, v23
	v_fmac_f32_e32 v4, v6, v2
	s_waitcnt vmcnt(29)
	v_lshlrev_b32_e32 v2, 16, v24
	s_delay_alu instid0(VALU_DEP_1) | instskip(SKIP_2) | instid1(VALU_DEP_1)
	v_fmac_f32_e32 v4, v7, v2
	s_waitcnt vmcnt(28)
	v_lshlrev_b32_e32 v2, 16, v25
	v_fmac_f32_e32 v4, v8, v2
	ds_load_b128 v[5:8], v44 offset:32
	s_waitcnt vmcnt(27)
	v_lshlrev_b32_e32 v2, 16, v26
	s_waitcnt lgkmcnt(1)
	s_delay_alu instid0(VALU_DEP_1) | instskip(SKIP_2) | instid1(VALU_DEP_1)
	v_fmac_f32_e32 v4, v9, v2
	s_waitcnt vmcnt(26)
	v_lshlrev_b32_e32 v2, 16, v27
	v_fmac_f32_e32 v4, v10, v2
	s_waitcnt vmcnt(24)
	v_lshlrev_b32_e32 v2, 16, v28
	s_delay_alu instid0(VALU_DEP_1) | instskip(SKIP_1) | instid1(VALU_DEP_1)
	v_fmac_f32_e32 v4, v11, v2
	v_lshlrev_b32_e32 v2, 16, v17
	v_fmac_f32_e32 v4, v12, v2
	ds_load_b128 v[9:12], v44 offset:48
	s_waitcnt vmcnt(23)
	v_lshlrev_b32_e32 v2, 16, v18
	s_waitcnt lgkmcnt(1)
	s_delay_alu instid0(VALU_DEP_1) | instskip(SKIP_2) | instid1(VALU_DEP_1)
	v_fmac_f32_e32 v4, v5, v2
	s_waitcnt vmcnt(21)
	v_lshlrev_b32_e32 v2, 16, v19
	v_fmac_f32_e32 v4, v6, v2
	s_waitcnt vmcnt(20)
	v_lshlrev_b32_e32 v2, 16, v20
	s_delay_alu instid0(VALU_DEP_1) | instskip(SKIP_2) | instid1(VALU_DEP_1)
	v_fmac_f32_e32 v4, v7, v2
	s_waitcnt vmcnt(19)
	v_lshlrev_b32_e32 v2, 16, v21
	v_fmac_f32_e32 v4, v8, v2
	s_waitcnt vmcnt(18)
	v_lshlrev_b32_e32 v2, 16, v22
	ds_load_b128 v[5:8], v44 offset:64
	s_waitcnt lgkmcnt(1)
	v_fmac_f32_e32 v4, v9, v2
	s_waitcnt vmcnt(17)
	v_lshlrev_b32_e32 v2, 16, v29
	s_delay_alu instid0(VALU_DEP_1) | instskip(SKIP_1) | instid1(VALU_DEP_1)
	v_fmac_f32_e32 v4, v10, v2
	v_lshlrev_b32_e32 v2, 16, v30
	v_fmac_f32_e32 v4, v11, v2
	s_waitcnt vmcnt(16)
	v_lshlrev_b32_e32 v2, 16, v15
	s_delay_alu instid0(VALU_DEP_1) | instskip(SKIP_4) | instid1(VALU_DEP_1)
	v_fmac_f32_e32 v4, v12, v2
	ds_load_b128 v[9:12], v44 offset:80
	s_waitcnt vmcnt(14)
	v_lshlrev_b32_e32 v2, 16, v16
	s_waitcnt lgkmcnt(1)
	v_fmac_f32_e32 v4, v5, v2
	s_waitcnt vmcnt(13)
	v_lshlrev_b32_e32 v2, 16, v31
	s_delay_alu instid0(VALU_DEP_1) | instskip(SKIP_2) | instid1(VALU_DEP_1)
	v_fmac_f32_e32 v4, v6, v2
	s_waitcnt vmcnt(12)
	v_lshlrev_b32_e32 v2, 16, v32
	v_fmac_f32_e32 v4, v7, v2
	v_lshlrev_b32_e32 v2, 16, v33
	s_delay_alu instid0(VALU_DEP_1) | instskip(SKIP_4) | instid1(VALU_DEP_1)
	v_fmac_f32_e32 v4, v8, v2
	ds_load_b128 v[5:8], v44 offset:96
	s_waitcnt vmcnt(11)
	v_lshlrev_b32_e32 v2, 16, v13
	s_waitcnt lgkmcnt(1)
	v_fmac_f32_e32 v4, v9, v2
	s_waitcnt vmcnt(9)
	v_lshlrev_b32_e32 v2, 16, v14
	s_delay_alu instid0(VALU_DEP_1) | instskip(SKIP_2) | instid1(VALU_DEP_1)
	v_fmac_f32_e32 v4, v10, v2
	s_waitcnt vmcnt(8)
	v_lshlrev_b32_e32 v2, 16, v34
	v_fmac_f32_e32 v4, v11, v2
	;; [unrolled: 15-line block ×3, first 2 shown]
	s_waitcnt vmcnt(4)
	v_lshlrev_b32_e32 v2, 16, v39
	s_delay_alu instid0(VALU_DEP_1) | instskip(SKIP_3) | instid1(VALU_DEP_1)
	v_fmac_f32_e32 v4, v8, v2
	s_waitcnt vmcnt(3)
	v_lshlrev_b32_e32 v2, 16, v40
	s_waitcnt lgkmcnt(0)
	v_fmac_f32_e32 v4, v9, v2
	s_waitcnt vmcnt(2)
	v_lshlrev_b32_e32 v2, 16, v41
	s_delay_alu instid0(VALU_DEP_1) | instskip(SKIP_2) | instid1(VALU_DEP_1)
	v_fmac_f32_e32 v4, v10, v2
	s_waitcnt vmcnt(1)
	v_lshlrev_b32_e32 v2, 16, v42
	v_fmac_f32_e32 v4, v11, v2
	s_waitcnt vmcnt(0)
	v_lshlrev_b32_e32 v2, 16, v43
	s_delay_alu instid0(VALU_DEP_1)
	v_fmac_f32_e32 v4, v12, v2
	s_branch .LBB414_14
.LBB414_17:
	v_mov_b32_e32 v1, 0
	s_and_b32 vcc_lo, exec_lo, s15
	ds_load_b32 v1, v1 offset:1152
	s_cbranch_vccz .LBB414_19
; %bb.18:
	s_add_u32 s2, s12, s16
	s_addc_u32 s3, s13, s17
	s_load_b32 s2, s[2:3], 0x0
	s_mov_b32 s3, 0
.LBB414_19:
	s_waitcnt lgkmcnt(0)
	v_add_f32_e32 v1, 0x358637bd, v1
	s_delay_alu instid0(VALU_DEP_1) | instskip(NEXT) | instid1(VALU_DEP_1)
	v_div_scale_f32 v2, null, v1, v1, 1.0
	v_rcp_f32_e32 v3, v2
	s_waitcnt_depctr 0xfff
	v_fma_f32 v5, -v2, v3, 1.0
	s_delay_alu instid0(VALU_DEP_1) | instskip(SKIP_1) | instid1(VALU_DEP_1)
	v_fmac_f32_e32 v3, v5, v3
	v_div_scale_f32 v5, vcc_lo, 1.0, v1, 1.0
	v_mul_f32_e32 v6, v5, v3
	s_delay_alu instid0(VALU_DEP_1) | instskip(NEXT) | instid1(VALU_DEP_1)
	v_fma_f32 v7, -v2, v6, v5
	v_fmac_f32_e32 v6, v7, v3
	s_delay_alu instid0(VALU_DEP_1) | instskip(NEXT) | instid1(VALU_DEP_1)
	v_fma_f32 v2, -v2, v6, v5
	v_div_fmas_f32 v2, v2, v3, v6
	s_delay_alu instid0(VALU_DEP_1) | instskip(NEXT) | instid1(VALU_DEP_1)
	v_div_fixup_f32 v1, v2, v1, 1.0
	v_mul_f32_e32 v2, v4, v1
	s_delay_alu instid0(VALU_DEP_1) | instskip(NEXT) | instid1(VALU_DEP_1)
	v_and_b32_e32 v1, 0x7f800000, v2
	v_cmp_ne_u32_e32 vcc_lo, 0x7f800000, v1
                                        ; implicit-def: $vgpr1
	s_and_saveexec_b32 s4, vcc_lo
	s_delay_alu instid0(SALU_CYCLE_1)
	s_xor_b32 s4, exec_lo, s4
; %bb.20:
	v_bfe_u32 v1, v2, 16, 1
	s_delay_alu instid0(VALU_DEP_1)
	v_add3_u32 v1, v2, v1, 0x7fff
                                        ; implicit-def: $vgpr2
; %bb.21:
	s_and_not1_saveexec_b32 s4, s4
; %bb.22:
	v_and_b32_e32 v1, 0xffff, v2
	v_or_b32_e32 v3, 0x10000, v2
	s_delay_alu instid0(VALU_DEP_2) | instskip(NEXT) | instid1(VALU_DEP_2)
	v_cmp_eq_u32_e32 vcc_lo, 0, v1
	v_cndmask_b32_e32 v1, v3, v2, vcc_lo
; %bb.23:
	s_or_b32 exec_lo, exec_lo, s4
	s_mul_i32 s3, s33, s3
	s_mul_hi_u32 s4, s33, s2
	s_mul_i32 s2, s33, s2
	s_add_i32 s3, s4, s3
	s_mov_b32 s15, 0
	s_lshl_b64 s[2:3], s[2:3], 6
	v_and_b32_e32 v1, 0xffff0000, v1
	s_add_u32 s2, s0, s2
	s_addc_u32 s3, s1, s3
	s_lshl_b64 s[0:1], s[14:15], 6
	s_delay_alu instid0(SALU_CYCLE_1)
	s_add_u32 s0, s2, s0
	s_addc_u32 s1, s3, s1
	v_add_co_u32 v0, s0, s0, v0
	v_cvt_i32_f32_e32 v2, v1
	v_add_co_ci_u32_e64 v1, null, s1, 0, s0
	global_store_b8 v[0:1], v2, off
	s_nop 0
	s_sendmsg sendmsg(MSG_DEALLOC_VGPRS)
	s_endpgm
.LBB414_24:
	s_mov_b32 s4, 0
	s_branch .LBB414_2
	.section	.rodata,"a",@progbits
	.p2align	6, 0x0
	.amdhsa_kernel _Z35paged_attention_ll4mi_reduce_kernelI14__hip_bfloat16hLi64ELi64ELi256ELi9EEvPT0_PKfS4_PKT_PKiS9_iS4_
		.amdhsa_group_segment_fixed_size 1156
		.amdhsa_private_segment_fixed_size 0
		.amdhsa_kernarg_size 320
		.amdhsa_user_sgpr_count 14
		.amdhsa_user_sgpr_dispatch_ptr 0
		.amdhsa_user_sgpr_queue_ptr 0
		.amdhsa_user_sgpr_kernarg_segment_ptr 1
		.amdhsa_user_sgpr_dispatch_id 0
		.amdhsa_user_sgpr_private_segment_size 0
		.amdhsa_wavefront_size32 1
		.amdhsa_uses_dynamic_stack 0
		.amdhsa_enable_private_segment 0
		.amdhsa_system_sgpr_workgroup_id_x 1
		.amdhsa_system_sgpr_workgroup_id_y 1
		.amdhsa_system_sgpr_workgroup_id_z 0
		.amdhsa_system_sgpr_workgroup_info 0
		.amdhsa_system_vgpr_workitem_id 0
		.amdhsa_next_free_vgpr 52
		.amdhsa_next_free_sgpr 49
		.amdhsa_reserve_vcc 1
		.amdhsa_float_round_mode_32 0
		.amdhsa_float_round_mode_16_64 0
		.amdhsa_float_denorm_mode_32 3
		.amdhsa_float_denorm_mode_16_64 3
		.amdhsa_dx10_clamp 1
		.amdhsa_ieee_mode 1
		.amdhsa_fp16_overflow 0
		.amdhsa_workgroup_processor_mode 1
		.amdhsa_memory_ordered 1
		.amdhsa_forward_progress 0
		.amdhsa_shared_vgpr_count 0
		.amdhsa_exception_fp_ieee_invalid_op 0
		.amdhsa_exception_fp_denorm_src 0
		.amdhsa_exception_fp_ieee_div_zero 0
		.amdhsa_exception_fp_ieee_overflow 0
		.amdhsa_exception_fp_ieee_underflow 0
		.amdhsa_exception_fp_ieee_inexact 0
		.amdhsa_exception_int_div_zero 0
	.end_amdhsa_kernel
	.section	.text._Z35paged_attention_ll4mi_reduce_kernelI14__hip_bfloat16hLi64ELi64ELi256ELi9EEvPT0_PKfS4_PKT_PKiS9_iS4_,"axG",@progbits,_Z35paged_attention_ll4mi_reduce_kernelI14__hip_bfloat16hLi64ELi64ELi256ELi9EEvPT0_PKfS4_PKT_PKiS9_iS4_,comdat
.Lfunc_end414:
	.size	_Z35paged_attention_ll4mi_reduce_kernelI14__hip_bfloat16hLi64ELi64ELi256ELi9EEvPT0_PKfS4_PKT_PKiS9_iS4_, .Lfunc_end414-_Z35paged_attention_ll4mi_reduce_kernelI14__hip_bfloat16hLi64ELi64ELi256ELi9EEvPT0_PKfS4_PKT_PKiS9_iS4_
                                        ; -- End function
	.section	.AMDGPU.csdata,"",@progbits
; Kernel info:
; codeLenInByte = 6852
; NumSgprs: 51
; NumVgprs: 52
; ScratchSize: 0
; MemoryBound: 0
; FloatMode: 240
; IeeeMode: 1
; LDSByteSize: 1156 bytes/workgroup (compile time only)
; SGPRBlocks: 6
; VGPRBlocks: 6
; NumSGPRsForWavesPerEU: 51
; NumVGPRsForWavesPerEU: 52
; Occupancy: 16
; WaveLimiterHint : 0
; COMPUTE_PGM_RSRC2:SCRATCH_EN: 0
; COMPUTE_PGM_RSRC2:USER_SGPR: 14
; COMPUTE_PGM_RSRC2:TRAP_HANDLER: 0
; COMPUTE_PGM_RSRC2:TGID_X_EN: 1
; COMPUTE_PGM_RSRC2:TGID_Y_EN: 1
; COMPUTE_PGM_RSRC2:TGID_Z_EN: 0
; COMPUTE_PGM_RSRC2:TIDIG_COMP_CNT: 0
	.section	.text._Z35paged_attention_ll4mi_reduce_kernelI14__hip_bfloat16hLi64ELi64ELi256ELi10EEvPT0_PKfS4_PKT_PKiS9_iS4_,"axG",@progbits,_Z35paged_attention_ll4mi_reduce_kernelI14__hip_bfloat16hLi64ELi64ELi256ELi10EEvPT0_PKfS4_PKT_PKiS9_iS4_,comdat
	.protected	_Z35paged_attention_ll4mi_reduce_kernelI14__hip_bfloat16hLi64ELi64ELi256ELi10EEvPT0_PKfS4_PKT_PKiS9_iS4_ ; -- Begin function _Z35paged_attention_ll4mi_reduce_kernelI14__hip_bfloat16hLi64ELi64ELi256ELi10EEvPT0_PKfS4_PKT_PKiS9_iS4_
	.globl	_Z35paged_attention_ll4mi_reduce_kernelI14__hip_bfloat16hLi64ELi64ELi256ELi10EEvPT0_PKfS4_PKT_PKiS9_iS4_
	.p2align	8
	.type	_Z35paged_attention_ll4mi_reduce_kernelI14__hip_bfloat16hLi64ELi64ELi256ELi10EEvPT0_PKfS4_PKT_PKiS9_iS4_,@function
_Z35paged_attention_ll4mi_reduce_kernelI14__hip_bfloat16hLi64ELi64ELi256ELi10EEvPT0_PKfS4_PKT_PKiS9_iS4_: ; @_Z35paged_attention_ll4mi_reduce_kernelI14__hip_bfloat16hLi64ELi64ELi256ELi10EEvPT0_PKfS4_PKT_PKiS9_iS4_
; %bb.0:
	s_load_b64 s[12:13], s[0:1], 0x28
	s_mov_b32 s2, s15
	s_waitcnt lgkmcnt(0)
	s_cmp_lg_u64 s[12:13], 0
	s_cselect_b32 s15, -1, 0
	s_delay_alu instid0(SALU_CYCLE_1)
	s_and_b32 vcc_lo, exec_lo, s15
	s_cbranch_vccz .LBB415_24
; %bb.1:
	s_add_i32 s4, s2, 1
	s_mov_b32 s5, 0
	s_delay_alu instid0(SALU_CYCLE_1) | instskip(SKIP_4) | instid1(SALU_CYCLE_1)
	s_lshl_b64 s[6:7], s[4:5], 2
	s_mov_b32 s3, s5
	s_add_u32 s6, s12, s6
	s_addc_u32 s7, s13, s7
	s_lshl_b64 s[8:9], s[2:3], 2
	s_add_u32 s8, s12, s8
	s_addc_u32 s9, s13, s9
	s_clause 0x1
	s_load_b32 s4, s[6:7], 0x0
	s_load_b32 s6, s[8:9], 0x0
	s_waitcnt lgkmcnt(0)
	s_sub_i32 s4, s4, s6
	s_delay_alu instid0(SALU_CYCLE_1)
	s_cmp_eq_u32 s4, 1
	s_cselect_b32 s4, -1, 0
	s_cbranch_execnz .LBB415_3
.LBB415_2:
	s_mov_b32 s3, 0
	s_mov_b32 s4, -1
.LBB415_3:
	s_delay_alu instid0(SALU_CYCLE_1)
	s_and_not1_b32 vcc_lo, exec_lo, s4
	s_cbranch_vccz .LBB415_5
; %bb.4:
	s_endpgm
.LBB415_5:
	s_clause 0x1
	s_load_b128 s[4:7], s[0:1], 0x18
	s_load_b32 s9, s[0:1], 0x30
	s_lshl_b64 s[16:17], s[2:3], 2
	s_waitcnt lgkmcnt(0)
	s_add_u32 s6, s6, s16
	s_addc_u32 s7, s7, s17
	s_load_b32 s23, s[6:7], 0x0
	s_load_b32 s33, s[0:1], 0x40
	s_mul_i32 s7, s2, s9
	s_waitcnt lgkmcnt(0)
	s_add_i32 s22, s23, 0xff
	s_delay_alu instid0(SALU_CYCLE_1) | instskip(NEXT) | instid1(SALU_CYCLE_1)
	s_ashr_i32 s6, s22, 31
	s_lshr_b32 s6, s6, 24
	s_delay_alu instid0(SALU_CYCLE_1) | instskip(SKIP_4) | instid1(SALU_CYCLE_1)
	s_add_i32 s8, s22, s6
	s_mul_i32 s6, s14, s9
	s_mov_b32 s9, exec_lo
	v_cmpx_lt_u32_e32 31, v0
	s_xor_b32 s9, exec_lo, s9
	s_or_saveexec_b32 s24, s9
	v_mov_b32_e32 v1, s6
	s_ashr_i32 s40, s8, 8
	s_mul_i32 s18, s7, s33
	s_xor_b32 exec_lo, exec_lo, s24
	s_cbranch_execz .LBB415_9
; %bb.6:
	v_or_b32_e32 v2, 32, v0
	v_cmp_gt_i32_e32 vcc_lo, s40, v0
	s_add_i32 s25, s40, -1
	v_or_b32_e32 v4, 64, v0
	v_or_b32_e32 v6, 0x60, v0
	s_load_b128 s[8:11], s[0:1], 0x8
	v_cndmask_b32_e32 v1, s25, v0, vcc_lo
	v_cmp_gt_i32_e32 vcc_lo, s40, v2
	s_mov_b32 s19, 0
	v_or_b32_e32 v10, 0x120, v0
	s_lshl_b64 s[20:21], s[18:19], 2
	s_mov_b32 s7, s19
	v_cndmask_b32_e32 v3, s25, v2, vcc_lo
	v_cmp_gt_i32_e32 vcc_lo, s40, v4
	v_or_b32_e32 v2, 0x80, v0
	v_cndmask_b32_e32 v5, s25, v4, vcc_lo
	v_cmp_gt_i32_e32 vcc_lo, s40, v6
	v_or_b32_e32 v4, 0xa0, v0
	;; [unrolled: 3-line block ×3, first 2 shown]
	s_waitcnt lgkmcnt(0)
	s_add_u32 s19, s10, s20
	s_addc_u32 s26, s11, s21
	s_lshl_b64 s[10:11], s[6:7], 2
	v_cndmask_b32_e32 v9, s25, v2, vcc_lo
	v_or_b32_e32 v2, 0xc0, v0
	v_cmp_gt_i32_e32 vcc_lo, s40, v4
	s_add_u32 s7, s19, s10
	s_addc_u32 s19, s26, s11
	v_ashrrev_i32_e32 v8, 31, v7
	v_cndmask_b32_e32 v11, s25, v4, vcc_lo
	v_cmp_gt_i32_e32 vcc_lo, s40, v2
	v_or_b32_e32 v4, 0x100, v0
	s_delay_alu instid0(VALU_DEP_4) | instskip(NEXT) | instid1(VALU_DEP_4)
	v_lshlrev_b64 v[7:8], 2, v[7:8]
	v_ashrrev_i32_e32 v12, 31, v11
	v_cndmask_b32_e32 v13, s25, v2, vcc_lo
	v_cmp_gt_i32_e32 vcc_lo, s40, v6
	v_ashrrev_i32_e32 v2, 31, v1
	s_delay_alu instid0(VALU_DEP_4) | instskip(NEXT) | instid1(VALU_DEP_4)
	v_lshlrev_b64 v[11:12], 2, v[11:12]
	v_ashrrev_i32_e32 v14, 31, v13
	v_cndmask_b32_e32 v15, s25, v6, vcc_lo
	v_cmp_gt_i32_e32 vcc_lo, s40, v4
	v_lshlrev_b64 v[1:2], 2, v[1:2]
	v_ashrrev_i32_e32 v6, 31, v5
	v_lshlrev_b64 v[13:14], 2, v[13:14]
	v_ashrrev_i32_e32 v16, 31, v15
	v_cndmask_b32_e32 v17, s25, v4, vcc_lo
	v_ashrrev_i32_e32 v4, 31, v3
	v_add_co_u32 v18, vcc_lo, s7, v1
	v_add_co_ci_u32_e32 v19, vcc_lo, s19, v2, vcc_lo
	s_delay_alu instid0(VALU_DEP_3) | instskip(SKIP_2) | instid1(VALU_DEP_3)
	v_lshlrev_b64 v[3:4], 2, v[3:4]
	v_lshlrev_b64 v[5:6], 2, v[5:6]
	;; [unrolled: 1-line block ×3, first 2 shown]
	v_add_co_u32 v20, vcc_lo, s7, v3
	s_delay_alu instid0(VALU_DEP_4)
	v_add_co_ci_u32_e32 v21, vcc_lo, s19, v4, vcc_lo
	v_cmp_gt_i32_e32 vcc_lo, s40, v10
	s_clause 0x1
	global_load_b32 v34, v[18:19], off
	global_load_b32 v35, v[20:21], off
	v_ashrrev_i32_e32 v18, 31, v17
	v_cndmask_b32_e32 v22, s25, v10, vcc_lo
	v_ashrrev_i32_e32 v10, 31, v9
	v_add_co_u32 v19, vcc_lo, s7, v5
	v_add_co_ci_u32_e32 v20, vcc_lo, s19, v6, vcc_lo
	s_delay_alu instid0(VALU_DEP_3) | instskip(SKIP_3) | instid1(VALU_DEP_4)
	v_lshlrev_b64 v[9:10], 2, v[9:10]
	v_add_co_u32 v24, vcc_lo, s7, v7
	v_add_co_ci_u32_e32 v25, vcc_lo, s19, v8, vcc_lo
	v_ashrrev_i32_e32 v23, 31, v22
	v_add_co_u32 v26, vcc_lo, s7, v9
	v_add_co_ci_u32_e32 v27, vcc_lo, s19, v10, vcc_lo
	v_add_co_u32 v28, vcc_lo, s7, v11
	v_add_co_ci_u32_e32 v29, vcc_lo, s19, v12, vcc_lo
	;; [unrolled: 2-line block ×3, first 2 shown]
	v_lshlrev_b64 v[17:18], 2, v[17:18]
	v_add_co_u32 v32, vcc_lo, s7, v15
	v_add_co_ci_u32_e32 v33, vcc_lo, s19, v16, vcc_lo
	s_clause 0x5
	global_load_b32 v36, v[19:20], off
	global_load_b32 v25, v[24:25], off
	;; [unrolled: 1-line block ×6, first 2 shown]
	v_lshlrev_b64 v[19:20], 2, v[22:23]
	v_add_co_u32 v21, vcc_lo, s7, v17
	v_add_co_ci_u32_e32 v22, vcc_lo, s19, v18, vcc_lo
	s_delay_alu instid0(VALU_DEP_3) | instskip(NEXT) | instid1(VALU_DEP_4)
	v_add_co_u32 v23, vcc_lo, s7, v19
	v_add_co_ci_u32_e32 v24, vcc_lo, s19, v20, vcc_lo
	s_clause 0x1
	global_load_b32 v21, v[21:22], off
	global_load_b32 v22, v[23:24], off
	s_add_u32 s7, s8, s20
	s_addc_u32 s8, s9, s21
	s_add_u32 s7, s7, s10
	s_addc_u32 s8, s8, s11
	v_add_co_u32 v1, vcc_lo, s7, v1
	v_add_co_ci_u32_e32 v2, vcc_lo, s8, v2, vcc_lo
	v_add_co_u32 v3, vcc_lo, s7, v3
	v_add_co_ci_u32_e32 v4, vcc_lo, s8, v4, vcc_lo
	;; [unrolled: 2-line block ×4, first 2 shown]
	s_clause 0x1
	global_load_b32 v30, v[1:2], off
	global_load_b32 v31, v[3:4], off
	v_add_co_u32 v9, vcc_lo, s7, v9
	v_mbcnt_lo_u32_b32 v23, -1, 0
	s_clause 0x1
	global_load_b32 v5, v[5:6], off
	global_load_b32 v7, v[7:8], off
	v_add_co_ci_u32_e32 v10, vcc_lo, s8, v10, vcc_lo
	v_add_co_u32 v1, vcc_lo, s7, v11
	v_add_co_ci_u32_e32 v2, vcc_lo, s8, v12, vcc_lo
	v_xor_b32_e32 v24, 16, v23
	s_waitcnt vmcnt(12)
	v_dual_max_f32 v4, v34, v34 :: v_dual_max_f32 v3, v35, v35
	s_delay_alu instid0(VALU_DEP_1)
	v_max_f32_e32 v6, v4, v3
	v_add_co_u32 v3, vcc_lo, s7, v13
	v_add_co_ci_u32_e32 v4, vcc_lo, s8, v14, vcc_lo
	v_cmp_gt_i32_e32 vcc_lo, 32, v24
	s_clause 0x2
	global_load_b32 v9, v[9:10], off
	global_load_b32 v10, v[1:2], off
	;; [unrolled: 1-line block ×3, first 2 shown]
	v_xor_b32_e32 v13, 8, v23
	v_cndmask_b32_e32 v8, v23, v24, vcc_lo
	v_add_co_u32 v1, vcc_lo, s7, v15
	v_add_co_ci_u32_e32 v2, vcc_lo, s8, v16, vcc_lo
	v_xor_b32_e32 v15, 1, v23
	s_waitcnt vmcnt(13)
	v_max3_f32 v6, v6, v36, v25
	s_waitcnt vmcnt(11)
	s_delay_alu instid0(VALU_DEP_1)
	v_max3_f32 v4, v6, v26, v27
	v_lshlrev_b32_e32 v6, 2, v8
	global_load_b32 v8, v[1:2], off
	v_add_co_u32 v1, vcc_lo, s7, v17
	s_waitcnt vmcnt(10)
	v_max3_f32 v4, v4, v28, v29
	v_add_co_ci_u32_e32 v2, vcc_lo, s8, v18, vcc_lo
	global_load_b32 v12, v[1:2], off
	s_waitcnt vmcnt(9)
	v_max3_f32 v4, v4, v21, v22
	v_add_co_u32 v1, vcc_lo, s7, v19
	v_add_co_ci_u32_e32 v2, vcc_lo, s8, v20, vcc_lo
	ds_bpermute_b32 v11, v6, v4
	v_cmp_gt_i32_e32 vcc_lo, 32, v13
	s_mov_b32 s7, exec_lo
	global_load_b32 v14, v[1:2], off
	v_cndmask_b32_e32 v1, v23, v13, vcc_lo
	v_xor_b32_e32 v13, 2, v23
	s_waitcnt lgkmcnt(0)
	s_delay_alu instid0(VALU_DEP_2) | instskip(SKIP_1) | instid1(VALU_DEP_2)
	v_dual_max_f32 v2, v11, v11 :: v_dual_lshlrev_b32 v1, 2, v1
	v_xor_b32_e32 v11, 4, v23
	v_max_f32_e32 v2, v4, v2
	s_delay_alu instid0(VALU_DEP_2) | instskip(SKIP_3) | instid1(VALU_DEP_2)
	v_cmp_gt_i32_e32 vcc_lo, 32, v11
	ds_bpermute_b32 v4, v1, v2
	v_cndmask_b32_e32 v11, v23, v11, vcc_lo
	v_cmp_gt_i32_e32 vcc_lo, 32, v13
	v_lshlrev_b32_e32 v11, 2, v11
	v_cndmask_b32_e32 v13, v23, v13, vcc_lo
	v_cmp_gt_i32_e32 vcc_lo, 32, v15
	s_delay_alu instid0(VALU_DEP_2) | instskip(SKIP_2) | instid1(VALU_DEP_1)
	v_lshlrev_b32_e32 v13, 2, v13
	v_cndmask_b32_e32 v15, v23, v15, vcc_lo
	s_waitcnt lgkmcnt(0)
	v_dual_max_f32 v4, v4, v4 :: v_dual_lshlrev_b32 v15, 2, v15
	s_delay_alu instid0(VALU_DEP_1) | instskip(SKIP_3) | instid1(VALU_DEP_1)
	v_max_f32_e32 v2, v2, v4
	ds_bpermute_b32 v4, v11, v2
	s_waitcnt lgkmcnt(0)
	v_max_f32_e32 v4, v4, v4
	v_max_f32_e32 v2, v2, v4
	ds_bpermute_b32 v4, v13, v2
	s_waitcnt lgkmcnt(0)
	v_max_f32_e32 v4, v4, v4
	s_delay_alu instid0(VALU_DEP_1) | instskip(SKIP_3) | instid1(VALU_DEP_1)
	v_max_f32_e32 v2, v2, v4
	ds_bpermute_b32 v4, v15, v2
	s_waitcnt lgkmcnt(0)
	v_max_f32_e32 v4, v4, v4
	v_max_f32_e32 v2, v2, v4
	v_sub_nc_u32_e32 v4, s40, v0
	s_delay_alu instid0(VALU_DEP_2)
	v_sub_f32_e32 v20, v26, v2
	v_sub_f32_e32 v16, v34, v2
	;; [unrolled: 1-line block ×9, first 2 shown]
	v_dual_mul_f32 v29, 0x3fb8aa3b, v20 :: v_dual_sub_f32 v2, v22, v2
	s_delay_alu instid0(VALU_DEP_4)
	v_mul_f32_e32 v33, 0x3fb8aa3b, v24
	v_mul_f32_e32 v22, 0x3fb8aa3b, v16
	;; [unrolled: 1-line block ×4, first 2 shown]
	v_fma_f32 v45, 0x3fb8aa3b, v20, -v29
	v_rndne_f32_e32 v46, v29
	v_fma_f32 v37, 0x3fb8aa3b, v16, -v22
	v_rndne_f32_e32 v38, v22
	;; [unrolled: 2-line block ×3, first 2 shown]
	v_mul_f32_e32 v27, 0x3fb8aa3b, v18
	s_delay_alu instid0(VALU_DEP_4) | instskip(SKIP_1) | instid1(VALU_DEP_4)
	v_dual_fmac_f32 v37, 0x32a5705f, v16 :: v_dual_sub_f32 v22, v22, v38
	v_rndne_f32_e32 v44, v28
	v_dual_fmac_f32 v39, 0x32a5705f, v17 :: v_dual_sub_f32 v26, v26, v40
	s_delay_alu instid0(VALU_DEP_3) | instskip(SKIP_1) | instid1(VALU_DEP_4)
	v_dual_fmac_f32 v45, 0x32a5705f, v20 :: v_dual_add_f32 v22, v22, v37
	v_fma_f32 v43, 0x3fb8aa3b, v19, -v28
	v_dual_sub_f32 v28, v28, v44 :: v_dual_sub_f32 v29, v29, v46
	s_delay_alu instid0(VALU_DEP_4) | instskip(NEXT) | instid1(VALU_DEP_4)
	v_add_f32_e32 v26, v26, v39
	v_exp_f32_e32 v22, v22
	v_mul_f32_e32 v32, 0x3fb8aa3b, v23
	v_mul_f32_e32 v34, 0x3fb8aa3b, v25
	v_fma_f32 v41, 0x3fb8aa3b, v18, -v27
	v_rndne_f32_e32 v42, v27
	v_cvt_i32_f32_e32 v38, v38
	v_exp_f32_e32 v26, v26
	v_dual_mul_f32 v35, 0x3fb8aa3b, v21 :: v_dual_mul_f32 v36, 0x3fb8aa3b, v2
	v_fma_f32 v47, 0x3fb8aa3b, v23, -v32
	v_rndne_f32_e32 v48, v32
	v_rndne_f32_e32 v52, v34
	v_cvt_i32_f32_e32 v40, v40
	v_fmac_f32_e32 v41, 0x32a5705f, v18
	v_sub_f32_e32 v27, v27, v42
	v_ldexp_f32 v22, v22, v38
	v_cmp_ngt_f32_e32 vcc_lo, 0xc2ce8ed0, v16
	v_fma_f32 v49, 0x3fb8aa3b, v24, -v33
	v_fma_f32 v51, 0x3fb8aa3b, v25, -v34
	v_sub_f32_e32 v34, v34, v52
	v_rndne_f32_e32 v56, v36
	v_fmac_f32_e32 v43, 0x32a5705f, v19
	v_dual_fmac_f32 v47, 0x32a5705f, v23 :: v_dual_cndmask_b32 v22, 0, v22
	v_sub_f32_e32 v32, v32, v48
	v_ldexp_f32 v26, v26, v40
	v_cmp_ngt_f32_e32 vcc_lo, 0xc2ce8ed0, v17
	v_add_f32_e32 v27, v27, v41
	v_fma_f32 v55, 0x3fb8aa3b, v2, -v36
	v_sub_f32_e32 v36, v36, v56
	v_dual_fmac_f32 v49, 0x32a5705f, v24 :: v_dual_add_f32 v28, v28, v43
	v_cndmask_b32_e32 v26, 0, v26, vcc_lo
	v_exp_f32_e32 v27, v27
	v_rndne_f32_e32 v50, v33
	v_cvt_i32_f32_e32 v42, v42
	v_add_f32_e32 v29, v29, v45
	v_exp_f32_e32 v28, v28
	v_cvt_i32_f32_e32 v44, v44
	v_dual_sub_f32 v33, v33, v50 :: v_dual_add_f32 v32, v32, v47
	s_delay_alu instid0(VALU_DEP_3) | instskip(SKIP_1) | instid1(TRANS32_DEP_3)
	v_exp_f32_e32 v29, v29
	v_cmp_ngt_f32_e32 vcc_lo, 0xc2ce8ed0, v18
	v_ldexp_f32 v27, v27, v42
	v_rndne_f32_e32 v54, v35
	v_cvt_i32_f32_e32 v46, v46
	v_exp_f32_e32 v32, v32
	s_delay_alu instid0(TRANS32_DEP_3)
	v_ldexp_f32 v28, v28, v44
	v_cndmask_b32_e32 v27, 0, v27, vcc_lo
	v_cmp_ngt_f32_e32 vcc_lo, 0xc2ce8ed0, v19
	v_fma_f32 v53, 0x3fb8aa3b, v21, -v35
	v_cvt_i32_f32_e32 v48, v48
	v_sub_f32_e32 v35, v35, v54
	v_ldexp_f32 v29, v29, v46
	v_cndmask_b32_e32 v28, 0, v28, vcc_lo
	v_cmp_ngt_f32_e32 vcc_lo, 0xc2ce8ed0, v20
	v_ldexp_f32 v32, v32, v48
	v_add_f32_e32 v33, v33, v49
	v_cvt_i32_f32_e32 v50, v50
	v_cvt_i32_f32_e32 v52, v52
	v_cndmask_b32_e32 v29, 0, v29, vcc_lo
	v_cmp_ngt_f32_e32 vcc_lo, 0xc2ce8ed0, v23
	v_fmac_f32_e32 v55, 0x32a5705f, v2
	v_exp_f32_e32 v33, v33
	v_cvt_i32_f32_e32 v54, v54
	v_dual_cndmask_b32 v32, 0, v32 :: v_dual_fmac_f32 v51, 0x32a5705f, v25
	s_delay_alu instid0(VALU_DEP_3) | instskip(SKIP_1) | instid1(VALU_DEP_3)
	v_dual_add_f32 v36, v36, v55 :: v_dual_fmac_f32 v53, 0x32a5705f, v21
	v_cmp_ngt_f32_e32 vcc_lo, 0xc2ce8ed0, v24
	v_add_f32_e32 v34, v34, v51
	s_waitcnt_depctr 0xfff
	v_ldexp_f32 v33, v33, v50
	v_exp_f32_e32 v36, v36
	v_exp_f32_e32 v34, v34
	s_delay_alu instid0(VALU_DEP_1) | instskip(SKIP_3) | instid1(VALU_DEP_1)
	v_cndmask_b32_e32 v33, 0, v33, vcc_lo
	v_cmp_ngt_f32_e32 vcc_lo, 0xc2ce8ed0, v25
	s_waitcnt_depctr 0xfff
	v_ldexp_f32 v34, v34, v52
	v_cndmask_b32_e32 v34, 0, v34, vcc_lo
	v_cmp_nlt_f32_e32 vcc_lo, 0x42b17218, v16
	v_cndmask_b32_e32 v16, 0x7f800000, v22, vcc_lo
	v_cmp_nlt_f32_e32 vcc_lo, 0x42b17218, v17
	;; [unrolled: 2-line block ×3, first 2 shown]
	v_dual_add_f32 v35, v35, v53 :: v_dual_cndmask_b32 v18, 0x7f800000, v27
	v_cmp_nlt_f32_e32 vcc_lo, 0x42b17218, v19
	s_delay_alu instid0(VALU_DEP_2)
	v_exp_f32_e32 v35, v35
	v_cndmask_b32_e32 v19, 0x7f800000, v28, vcc_lo
	v_cmp_nlt_f32_e32 vcc_lo, 0x42b17218, v20
	v_cndmask_b32_e32 v20, 0x7f800000, v29, vcc_lo
	v_cmp_nlt_f32_e32 vcc_lo, 0x42b17218, v23
	s_waitcnt_depctr 0xfff
	v_ldexp_f32 v35, v35, v54
	v_cndmask_b32_e32 v22, 0x7f800000, v32, vcc_lo
	v_cmp_lt_i32_e32 vcc_lo, 0, v4
	v_cndmask_b32_e32 v16, 0, v16, vcc_lo
	v_cmp_lt_i32_e32 vcc_lo, 32, v4
	s_waitcnt vmcnt(9)
	s_delay_alu instid0(VALU_DEP_2) | instskip(SKIP_2) | instid1(VALU_DEP_2)
	v_dual_mul_f32 v16, v30, v16 :: v_dual_cndmask_b32 v17, 0, v17
	v_cmp_nlt_f32_e32 vcc_lo, 0x42b17218, v24
	s_waitcnt vmcnt(8)
	v_mul_f32_e32 v17, v31, v17
	v_cndmask_b32_e32 v23, 0x7f800000, v33, vcc_lo
	v_cmp_lt_i32_e32 vcc_lo, 64, v4
	v_cndmask_b32_e32 v18, 0, v18, vcc_lo
	v_cmp_lt_i32_e32 vcc_lo, 0x60, v4
	s_waitcnt vmcnt(7)
	s_delay_alu instid0(VALU_DEP_2) | instskip(SKIP_2) | instid1(VALU_DEP_3)
	v_dual_mul_f32 v5, v5, v18 :: v_dual_add_f32 v18, v16, v17
	v_cndmask_b32_e32 v19, 0, v19, vcc_lo
	v_cmp_lt_i32_e32 vcc_lo, 0x80, v4
	v_add_f32_e32 v18, v18, v5
	v_cndmask_b32_e32 v20, 0, v20, vcc_lo
	v_cmp_lt_i32_e32 vcc_lo, 0xa0, v4
	s_waitcnt vmcnt(6)
	v_dual_cndmask_b32 v22, 0, v22 :: v_dual_mul_f32 v7, v7, v19
	v_cmp_lt_i32_e32 vcc_lo, 0xc0, v4
	s_waitcnt vmcnt(4)
	s_delay_alu instid0(VALU_DEP_2) | instskip(NEXT) | instid1(VALU_DEP_3)
	v_dual_mul_f32 v9, v9, v20 :: v_dual_mul_f32 v10, v10, v22
	v_add_f32_e32 v18, v18, v7
	v_cndmask_b32_e32 v23, 0, v23, vcc_lo
	v_cmp_nlt_f32_e32 vcc_lo, 0x42b17218, v25
	v_cvt_i32_f32_e32 v22, v56
	s_waitcnt vmcnt(3)
	s_delay_alu instid0(VALU_DEP_3) | instskip(NEXT) | instid1(VALU_DEP_1)
	v_dual_add_f32 v18, v18, v9 :: v_dual_mul_f32 v3, v3, v23
	v_add_f32_e32 v18, v18, v10
	v_cndmask_b32_e32 v19, 0x7f800000, v34, vcc_lo
	v_cmp_ngt_f32_e32 vcc_lo, 0xc2ce8ed0, v21
	s_delay_alu instid0(VALU_DEP_3) | instskip(SKIP_4) | instid1(VALU_DEP_4)
	v_add_f32_e32 v18, v18, v3
	v_cndmask_b32_e32 v20, 0, v35, vcc_lo
	v_cmp_lt_i32_e32 vcc_lo, 0xe0, v4
	v_cndmask_b32_e32 v19, 0, v19, vcc_lo
	v_cmp_nlt_f32_e32 vcc_lo, 0x42b17218, v21
	v_cndmask_b32_e32 v20, 0x7f800000, v20, vcc_lo
	v_cmp_lt_i32_e32 vcc_lo, 0x100, v4
	s_delay_alu instid0(VALU_DEP_2)
	v_cndmask_b32_e32 v20, 0, v20, vcc_lo
	s_waitcnt vmcnt(2)
	v_mul_f32_e32 v8, v8, v19
	v_ldexp_f32 v19, v36, v22
	v_cmp_ngt_f32_e32 vcc_lo, 0xc2ce8ed0, v2
	s_waitcnt vmcnt(1)
	v_mul_f32_e32 v12, v12, v20
	s_delay_alu instid0(VALU_DEP_3) | instskip(SKIP_1) | instid1(VALU_DEP_2)
	v_dual_add_f32 v18, v18, v8 :: v_dual_cndmask_b32 v19, 0, v19
	v_cmp_nlt_f32_e32 vcc_lo, 0x42b17218, v2
	v_cndmask_b32_e32 v2, 0x7f800000, v19, vcc_lo
	v_cmp_lt_i32_e32 vcc_lo, 0x120, v4
	s_delay_alu instid0(VALU_DEP_2) | instskip(SKIP_2) | instid1(VALU_DEP_1)
	v_cndmask_b32_e32 v4, 0, v2, vcc_lo
	v_add_f32_e32 v2, v18, v12
	s_waitcnt vmcnt(0)
	v_fmac_f32_e32 v2, v14, v4
	v_mul_f32_e32 v4, v14, v4
	ds_bpermute_b32 v6, v6, v2
	s_waitcnt lgkmcnt(0)
	v_add_f32_e32 v2, v2, v6
	v_lshlrev_b32_e32 v6, 2, v0
	ds_bpermute_b32 v1, v1, v2
	ds_store_2addr_b32 v6, v16, v17 offset1:32
	s_waitcnt lgkmcnt(1)
	v_add_f32_e32 v1, v2, v1
	ds_bpermute_b32 v2, v11, v1
	v_add_nc_u32_e32 v11, 0x400, v6
	s_waitcnt lgkmcnt(0)
	v_add_f32_e32 v1, v1, v2
	ds_store_2addr_b32 v6, v5, v7 offset0:64 offset1:96
	ds_store_2addr_b32 v6, v9, v10 offset0:128 offset1:160
	;; [unrolled: 1-line block ×3, first 2 shown]
	ds_store_2addr_b32 v11, v12, v4 offset1:32
	ds_bpermute_b32 v2, v13, v1
	s_waitcnt lgkmcnt(0)
	v_add_f32_e32 v1, v1, v2
	ds_bpermute_b32 v2, v15, v1
	v_cmpx_eq_u32_e32 0, v0
	s_cbranch_execz .LBB415_8
; %bb.7:
	s_waitcnt lgkmcnt(0)
	v_dual_add_f32 v1, v1, v2 :: v_dual_mov_b32 v2, 0
	ds_store_b32 v2, v1 offset:1280
.LBB415_8:
	s_or_b32 exec_lo, exec_lo, s7
	v_mov_b32_e32 v1, s6
.LBB415_9:
	s_or_b32 exec_lo, exec_lo, s24
	s_lshl_b32 s6, s18, 6
	s_mov_b32 s7, 0
	s_waitcnt lgkmcnt(0)
	v_dual_mov_b32 v2, 0 :: v_dual_lshlrev_b32 v1, 6, v1
	s_lshl_b64 s[6:7], s[6:7], 1
	v_dual_mov_b32 v31, 0 :: v_dual_mov_b32 v32, 0
	s_add_u32 s34, s4, s6
	s_addc_u32 s35, s5, s7
	s_lshl_b32 s41, s40, 6
	v_lshlrev_b64 v[3:4], 1, v[1:2]
	s_sub_i32 s42, s41, 64
	s_cmpk_lt_i32 s22, 0x100
	v_lshlrev_b32_e32 v1, 1, v0
	s_cselect_b32 s4, s42, 0
	v_dual_mov_b32 v33, 0 :: v_dual_mov_b32 v34, 0
	s_ashr_i32 s5, s4, 31
	v_add_co_u32 v3, vcc_lo, s34, v3
	s_lshl_b64 s[4:5], s[4:5], 1
	s_cmpk_lt_i32 s22, 0x200
	v_add_co_ci_u32_e32 v4, vcc_lo, s35, v4, vcc_lo
	s_cselect_b32 s6, s42, 64
	v_add_co_u32 v1, vcc_lo, v3, v1
	s_ashr_i32 s7, s6, 31
	s_delay_alu instid0(VALU_DEP_2)
	v_add_co_ci_u32_e32 v3, vcc_lo, 0, v4, vcc_lo
	s_lshl_b64 s[6:7], s[6:7], 1
	s_cmpk_lt_i32 s22, 0x300
	v_add_co_u32 v4, vcc_lo, v1, s4
	s_cselect_b32 s8, s42, 0x80
	v_add_co_ci_u32_e32 v5, vcc_lo, s5, v3, vcc_lo
	s_ashr_i32 s9, s8, 31
	v_add_co_u32 v6, vcc_lo, v1, s6
	s_lshl_b64 s[8:9], s[8:9], 1
	s_cmpk_lt_i32 s22, 0x400
	v_add_co_ci_u32_e32 v7, vcc_lo, s7, v3, vcc_lo
	s_cselect_b32 s10, s42, 0xc0
	v_add_co_u32 v8, vcc_lo, v1, s8
	s_ashr_i32 s11, s10, 31
	v_add_co_ci_u32_e32 v9, vcc_lo, s9, v3, vcc_lo
	s_lshl_b64 s[10:11], s[10:11], 1
	s_cmpk_lt_i32 s22, 0x500
	v_add_co_u32 v11, vcc_lo, v1, s10
	s_cselect_b32 s18, s42, 0x100
	v_add_co_ci_u32_e32 v12, vcc_lo, s11, v3, vcc_lo
	s_ashr_i32 s19, s18, 31
	v_mov_b32_e32 v35, 0
	s_lshl_b64 s[18:19], s[18:19], 1
	s_cmpk_lt_i32 s22, 0x600
	v_add_co_u32 v14, vcc_lo, v1, s18
	s_cselect_b32 s20, s42, 0x140
	v_add_co_ci_u32_e32 v15, vcc_lo, s19, v3, vcc_lo
	s_ashr_i32 s21, s20, 31
	v_mov_b32_e32 v30, 0
	s_lshl_b64 s[20:21], s[20:21], 1
	s_cmpk_lt_i32 s22, 0x700
	v_add_co_u32 v16, vcc_lo, v1, s20
	s_cselect_b32 s24, s42, 0x180
	v_add_co_ci_u32_e32 v17, vcc_lo, s21, v3, vcc_lo
	s_ashr_i32 s25, s24, 31
	s_delay_alu instid0(SALU_CYCLE_1)
	s_lshl_b64 s[24:25], s[24:25], 1
	s_cmpk_lt_i32 s22, 0x800
	v_add_co_u32 v18, vcc_lo, v1, s24
	s_cselect_b32 s26, s42, 0x1c0
	v_add_co_ci_u32_e32 v19, vcc_lo, s25, v3, vcc_lo
	s_ashr_i32 s27, s26, 31
	s_delay_alu instid0(SALU_CYCLE_1)
	s_lshl_b64 s[26:27], s[26:27], 1
	s_cmpk_lt_i32 s22, 0x900
	v_add_co_u32 v20, vcc_lo, v1, s26
	s_cselect_b32 s28, s42, 0x200
	v_add_co_ci_u32_e32 v21, vcc_lo, s27, v3, vcc_lo
	s_ashr_i32 s29, s28, 31
	s_clause 0x7
	global_load_u16 v13, v[4:5], off
	global_load_u16 v4, v[6:7], off
	global_load_u16 v10, v[8:9], off
	global_load_u16 v9, v[11:12], off
	global_load_u16 v8, v[14:15], off
	global_load_u16 v7, v[16:17], off
	global_load_u16 v6, v[18:19], off
	global_load_u16 v5, v[20:21], off
	s_lshl_b64 s[28:29], s[28:29], 1
	s_cmpk_lt_i32 s22, 0xa00
	v_add_co_u32 v11, vcc_lo, v1, s28
	s_cselect_b32 s30, s42, 0x240
	v_add_co_ci_u32_e32 v12, vcc_lo, s29, v3, vcc_lo
	s_ashr_i32 s31, s30, 31
	s_delay_alu instid0(SALU_CYCLE_1)
	s_lshl_b64 s[30:31], s[30:31], 1
	s_cmpk_lt_i32 s22, 0xb00
	v_add_co_u32 v14, vcc_lo, v1, s30
	s_cselect_b32 s34, s42, 0x280
	v_add_co_ci_u32_e32 v15, vcc_lo, s31, v3, vcc_lo
	s_ashr_i32 s35, s34, 31
	s_delay_alu instid0(SALU_CYCLE_1)
	;; [unrolled: 7-line block ×7, first 2 shown]
	s_lshl_b64 s[4:5], s[6:7], 1
	s_cmpk_gt_i32 s23, 0x1000
	v_add_co_u32 v28, vcc_lo, v1, s4
	v_add_co_ci_u32_e32 v29, vcc_lo, s5, v3, vcc_lo
	s_clause 0x7
	global_load_u16 v19, v[11:12], off
	global_load_u16 v18, v[14:15], off
	;; [unrolled: 1-line block ×8, first 2 shown]
	v_dual_mov_b32 v20, 0 :: v_dual_mov_b32 v21, 0
	v_dual_mov_b32 v22, 0 :: v_dual_mov_b32 v23, 0
	;; [unrolled: 1-line block ×5, first 2 shown]
	s_cselect_b32 s6, -1, 0
	s_cmpk_lt_i32 s23, 0x1001
	s_waitcnt vmcnt(0)
	s_barrier
	buffer_gl0_inv
	s_cbranch_scc1 .LBB415_11
; %bb.10:
	s_cmpk_lt_i32 s22, 0x1100
	s_cselect_b32 s4, s42, 0x400
	s_delay_alu instid0(SALU_CYCLE_1) | instskip(NEXT) | instid1(SALU_CYCLE_1)
	s_ashr_i32 s5, s4, 31
	s_lshl_b64 s[4:5], s[4:5], 1
	s_cmpk_lt_i32 s22, 0x1200
	v_add_co_u32 v20, vcc_lo, v1, s4
	s_cselect_b32 s8, s42, 0x440
	v_add_co_ci_u32_e32 v21, vcc_lo, s5, v3, vcc_lo
	s_ashr_i32 s9, s8, 31
	s_delay_alu instid0(SALU_CYCLE_1)
	s_lshl_b64 s[8:9], s[8:9], 1
	s_cmpk_lt_i32 s22, 0x1300
	v_add_co_u32 v22, vcc_lo, v1, s8
	s_cselect_b32 s10, s42, 0x480
	v_add_co_ci_u32_e32 v23, vcc_lo, s9, v3, vcc_lo
	s_ashr_i32 s11, s10, 31
	s_delay_alu instid0(SALU_CYCLE_1)
	;; [unrolled: 7-line block ×14, first 2 shown]
	s_lshl_b64 s[4:5], s[18:19], 1
	s_cmpk_lt_i32 s22, 0x2000
	v_add_co_u32 v48, vcc_lo, v1, s4
	s_cselect_b32 s8, s42, 0x7c0
	v_add_co_ci_u32_e32 v49, vcc_lo, s5, v3, vcc_lo
	s_ashr_i32 s9, s8, 31
	s_delay_alu instid0(SALU_CYCLE_1) | instskip(NEXT) | instid1(SALU_CYCLE_1)
	s_lshl_b64 s[4:5], s[8:9], 1
	v_add_co_u32 v50, vcc_lo, v1, s4
	v_add_co_ci_u32_e32 v51, vcc_lo, s5, v3, vcc_lo
	s_clause 0xf
	global_load_u16 v20, v[20:21], off
	global_load_u16 v21, v[22:23], off
	;; [unrolled: 1-line block ×16, first 2 shown]
	s_waitcnt vmcnt(15)
	v_lshlrev_b32_e32 v35, 16, v20
	s_waitcnt vmcnt(14)
	v_lshlrev_b32_e32 v34, 16, v21
	;; [unrolled: 2-line block ×16, first 2 shown]
.LBB415_11:
	ds_load_b128 v[36:39], v2
	ds_load_b128 v[40:43], v2 offset:16
	v_lshlrev_b32_e32 v44, 16, v4
	v_lshlrev_b32_e32 v13, 16, v13
	;; [unrolled: 1-line block ×5, first 2 shown]
	s_load_b64 s[0:1], s[0:1], 0x0
	s_and_b32 vcc_lo, exec_lo, s6
	v_lshlrev_b32_e32 v5, 16, v5
	s_waitcnt lgkmcnt(0)
	v_fma_f32 v4, v36, v13, 0
	s_delay_alu instid0(VALU_DEP_1) | instskip(NEXT) | instid1(VALU_DEP_1)
	v_dual_fmac_f32 v4, v37, v44 :: v_dual_lshlrev_b32 v13, 16, v7
	v_dual_fmac_f32 v4, v38, v10 :: v_dual_lshlrev_b32 v9, 16, v9
	s_delay_alu instid0(VALU_DEP_1) | instskip(SKIP_4) | instid1(VALU_DEP_1)
	v_fmac_f32_e32 v4, v39, v9
	ds_load_b128 v[36:39], v2 offset:48
	v_fmac_f32_e32 v4, v40, v8
	ds_load_b128 v[7:10], v2 offset:32
	v_fmac_f32_e32 v4, v41, v13
	v_fmac_f32_e32 v4, v42, v6
	v_lshlrev_b32_e32 v6, 16, v19
	s_delay_alu instid0(VALU_DEP_2) | instskip(SKIP_1) | instid1(VALU_DEP_1)
	v_dual_fmac_f32 v4, v43, v5 :: v_dual_lshlrev_b32 v5, 16, v18
	s_waitcnt lgkmcnt(0)
	v_fmac_f32_e32 v4, v7, v6
	v_lshlrev_b32_e32 v6, 16, v17
	s_delay_alu instid0(VALU_DEP_2) | instskip(NEXT) | instid1(VALU_DEP_1)
	v_dual_fmac_f32 v4, v8, v5 :: v_dual_lshlrev_b32 v5, 16, v16
	v_fmac_f32_e32 v4, v9, v6
	v_lshlrev_b32_e32 v6, 16, v15
	s_delay_alu instid0(VALU_DEP_2) | instskip(NEXT) | instid1(VALU_DEP_1)
	v_dual_fmac_f32 v4, v10, v5 :: v_dual_lshlrev_b32 v5, 16, v14
	;; [unrolled: 4-line block ×3, first 2 shown]
	v_fmac_f32_e32 v4, v38, v6
	s_delay_alu instid0(VALU_DEP_1)
	v_fmac_f32_e32 v4, v39, v5
	s_cbranch_vccz .LBB415_13
; %bb.12:
	ds_load_b128 v[5:8], v2 offset:64
	ds_load_b128 v[9:12], v2 offset:80
	s_waitcnt lgkmcnt(1)
	v_fmac_f32_e32 v4, v5, v35
	s_delay_alu instid0(VALU_DEP_1) | instskip(NEXT) | instid1(VALU_DEP_1)
	v_fmac_f32_e32 v4, v6, v34
	v_fmac_f32_e32 v4, v7, v33
	s_delay_alu instid0(VALU_DEP_1) | instskip(SKIP_3) | instid1(VALU_DEP_1)
	v_fmac_f32_e32 v4, v8, v32
	ds_load_b128 v[5:8], v2 offset:96
	s_waitcnt lgkmcnt(1)
	v_fmac_f32_e32 v4, v9, v31
	v_fmac_f32_e32 v4, v10, v30
	s_delay_alu instid0(VALU_DEP_1) | instskip(NEXT) | instid1(VALU_DEP_1)
	v_fmac_f32_e32 v4, v11, v29
	v_fmac_f32_e32 v4, v12, v28
	ds_load_b128 v[9:12], v2 offset:112
	s_waitcnt lgkmcnt(1)
	v_fmac_f32_e32 v4, v5, v27
	s_delay_alu instid0(VALU_DEP_1) | instskip(NEXT) | instid1(VALU_DEP_1)
	v_fmac_f32_e32 v4, v6, v26
	v_fmac_f32_e32 v4, v7, v25
	s_delay_alu instid0(VALU_DEP_1) | instskip(SKIP_1) | instid1(VALU_DEP_1)
	v_fmac_f32_e32 v4, v8, v24
	s_waitcnt lgkmcnt(0)
	v_fmac_f32_e32 v4, v9, v23
	s_delay_alu instid0(VALU_DEP_1) | instskip(NEXT) | instid1(VALU_DEP_1)
	v_fmac_f32_e32 v4, v10, v22
	v_fmac_f32_e32 v4, v11, v21
	s_delay_alu instid0(VALU_DEP_1)
	v_fmac_f32_e32 v4, v12, v20
.LBB415_13:
	s_movk_i32 s43, 0xfc0
	s_movk_i32 s44, 0x80
	s_mov_b32 s45, 32
	s_branch .LBB415_15
.LBB415_14:                             ;   in Loop: Header=BB415_15 Depth=1
	s_addk_i32 s43, 0x800
	s_addk_i32 s44, 0x80
	s_add_i32 s45, s45, 32
	s_cmpk_eq_i32 s43, 0x57c0
	s_cbranch_scc1 .LBB415_17
.LBB415_15:                             ; =>This Inner Loop Header: Depth=1
	s_cmp_le_i32 s40, s45
	s_cbranch_scc1 .LBB415_14
; %bb.16:                               ;   in Loop: Header=BB415_15 Depth=1
	s_add_i32 s4, s43, 0xfffff840
	v_mov_b32_e32 v44, s44
	s_cmp_lt_i32 s4, s41
	s_cselect_b32 s4, s4, s42
	s_add_i32 s6, s43, 0xfffff880
	s_ashr_i32 s5, s4, 31
	s_delay_alu instid0(SALU_CYCLE_1)
	s_lshl_b64 s[38:39], s[4:5], 1
	s_cmp_lt_i32 s6, s41
	v_add_co_u32 v5, vcc_lo, v1, s38
	s_cselect_b32 s4, s6, s42
	s_add_i32 s6, s43, 0xfffff8c0
	s_ashr_i32 s5, s4, 31
	v_add_co_ci_u32_e32 v6, vcc_lo, s39, v3, vcc_lo
	s_lshl_b64 s[4:5], s[4:5], 1
	s_cmp_lt_i32 s6, s41
	s_cselect_b32 s6, s6, s42
	s_add_i32 s8, s43, 0xfffff900
	s_ashr_i32 s7, s6, 31
	global_load_u16 v2, v[5:6], off
	s_lshl_b64 s[6:7], s[6:7], 1
	s_cmp_lt_i32 s8, s41
	v_add_co_u32 v5, vcc_lo, v1, s4
	s_cselect_b32 s8, s8, s42
	s_add_i32 s10, s43, 0xfffff940
	s_ashr_i32 s9, s8, 31
	v_add_co_ci_u32_e32 v6, vcc_lo, s5, v3, vcc_lo
	s_lshl_b64 s[8:9], s[8:9], 1
	s_cmp_lt_i32 s10, s41
	v_add_co_u32 v7, vcc_lo, v1, s6
	s_cselect_b32 s10, s10, s42
	s_add_i32 s18, s43, 0xfffff980
	s_ashr_i32 s11, s10, 31
	v_add_co_ci_u32_e32 v8, vcc_lo, s7, v3, vcc_lo
	s_lshl_b64 s[10:11], s[10:11], 1
	s_cmp_lt_i32 s18, s41
	v_add_co_u32 v9, vcc_lo, v1, s8
	s_cselect_b32 s18, s18, s42
	s_add_i32 s20, s43, 0xfffff9c0
	s_ashr_i32 s19, s18, 31
	s_clause 0x1
	global_load_u16 v23, v[5:6], off
	global_load_u16 v24, v[7:8], off
	s_lshl_b64 s[18:19], s[18:19], 1
	s_cmp_lt_i32 s20, s41
	v_add_co_ci_u32_e32 v10, vcc_lo, s9, v3, vcc_lo
	s_cselect_b32 s20, s20, s42
	s_add_i32 s22, s43, 0xfffffa00
	s_ashr_i32 s21, s20, 31
	global_load_u16 v25, v[9:10], off
	s_lshl_b64 s[20:21], s[20:21], 1
	s_cmp_lt_i32 s22, s41
	v_add_co_u32 v11, vcc_lo, v1, s10
	s_cselect_b32 s22, s22, s42
	s_add_i32 s24, s43, 0xfffffa40
	s_ashr_i32 s23, s22, 31
	v_add_co_ci_u32_e32 v12, vcc_lo, s11, v3, vcc_lo
	s_lshl_b64 s[22:23], s[22:23], 1
	s_cmp_lt_i32 s24, s41
	v_add_co_u32 v13, vcc_lo, v1, s18
	global_load_u16 v26, v[11:12], off
	s_cselect_b32 s24, s24, s42
	s_add_i32 s26, s43, 0xfffffa80
	s_ashr_i32 s25, s24, 31
	v_add_co_ci_u32_e32 v14, vcc_lo, s19, v3, vcc_lo
	s_lshl_b64 s[24:25], s[24:25], 1
	s_cmp_lt_i32 s26, s41
	v_add_co_u32 v15, vcc_lo, v1, s20
	global_load_u16 v27, v[13:14], off
	s_cselect_b32 s26, s26, s42
	s_add_i32 s28, s43, 0xfffffac0
	s_ashr_i32 s27, s26, 31
	v_add_co_ci_u32_e32 v16, vcc_lo, s21, v3, vcc_lo
	s_lshl_b64 s[36:37], s[26:27], 1
	s_cmp_lt_i32 s28, s41
	v_add_co_u32 v17, vcc_lo, v1, s22
	s_cselect_b32 s26, s28, s42
	s_add_i32 s30, s43, 0xfffffb00
	s_ashr_i32 s27, s26, 31
	v_add_co_ci_u32_e32 v18, vcc_lo, s23, v3, vcc_lo
	s_lshl_b64 s[28:29], s[26:27], 1
	s_cmp_lt_i32 s30, s41
	v_add_co_u32 v19, vcc_lo, v1, s24
	global_load_u16 v17, v[17:18], off
	s_cselect_b32 s26, s30, s42
	s_add_i32 s30, s43, 0xfffffb40
	s_ashr_i32 s27, s26, 31
	v_add_co_ci_u32_e32 v20, vcc_lo, s25, v3, vcc_lo
	s_lshl_b64 s[26:27], s[26:27], 1
	s_cmp_lt_i32 s30, s41
	v_add_co_u32 v21, vcc_lo, v1, s36
	s_cselect_b32 s30, s30, s42
	s_add_i32 s46, s43, 0xfffffb80
	s_ashr_i32 s31, s30, 31
	v_add_co_ci_u32_e32 v22, vcc_lo, s37, v3, vcc_lo
	s_lshl_b64 s[34:35], s[30:31], 1
	s_cmp_lt_i32 s46, s41
	v_add_co_u32 v5, vcc_lo, v1, s28
	;; [unrolled: 7-line block ×3, first 2 shown]
	s_cselect_b32 s46, s46, s42
	s_add_i32 s48, s43, 0xfffffc00
	s_ashr_i32 s47, s46, 31
	global_load_u16 v28, v[15:16], off
	s_lshl_b64 s[38:39], s[46:47], 1
	s_cmp_lt_i32 s48, s41
	v_add_co_ci_u32_e32 v8, vcc_lo, s27, v3, vcc_lo
	s_cselect_b32 s46, s48, s42
	v_add_co_u32 v9, vcc_lo, v1, s34
	s_ashr_i32 s47, s46, 31
	s_add_i32 s4, s43, 0xfffffc40
	s_lshl_b64 s[46:47], s[46:47], 1
	v_add_co_ci_u32_e32 v10, vcc_lo, s35, v3, vcc_lo
	s_cmp_lt_i32 s4, s41
	v_add_co_u32 v11, vcc_lo, v1, s30
	s_cselect_b32 s4, s4, s42
	v_add_co_ci_u32_e32 v12, vcc_lo, s31, v3, vcc_lo
	v_add_co_u32 v13, vcc_lo, v1, s38
	s_ashr_i32 s5, s4, 31
	s_add_i32 s6, s43, 0xfffffc80
	v_add_co_ci_u32_e32 v14, vcc_lo, s39, v3, vcc_lo
	global_load_u16 v18, v[19:20], off
	s_lshl_b64 s[8:9], s[4:5], 1
	s_cmp_lt_i32 s6, s41
	global_load_u16 v30, v[13:14], off
	s_cselect_b32 s4, s6, s42
	global_load_u16 v19, v[21:22], off
	s_ashr_i32 s5, s4, 31
	s_add_i32 s6, s43, 0xfffffcc0
	s_lshl_b64 s[10:11], s[4:5], 1
	s_cmp_lt_i32 s6, s41
	s_clause 0x3
	global_load_u16 v20, v[5:6], off
	global_load_u16 v21, v[7:8], off
	;; [unrolled: 1-line block ×4, first 2 shown]
	s_cselect_b32 s4, s6, s42
	s_add_i32 s6, s43, 0xfffffd00
	s_ashr_i32 s5, s4, 31
	v_add_co_u32 v15, vcc_lo, v1, s46
	s_lshl_b64 s[4:5], s[4:5], 1
	s_cmp_lt_i32 s6, s41
	v_add_co_ci_u32_e32 v16, vcc_lo, s47, v3, vcc_lo
	s_cselect_b32 s6, s6, s42
	s_add_i32 s18, s43, 0xfffffd40
	s_ashr_i32 s7, s6, 31
	v_add_co_u32 v5, vcc_lo, v1, s8
	s_lshl_b64 s[6:7], s[6:7], 1
	s_cmp_lt_i32 s18, s41
	v_add_co_ci_u32_e32 v6, vcc_lo, s9, v3, vcc_lo
	s_cselect_b32 s18, s18, s42
	v_add_co_u32 v7, vcc_lo, v1, s10
	s_ashr_i32 s19, s18, 31
	s_add_i32 s20, s43, 0xfffffd80
	s_lshl_b64 s[18:19], s[18:19], 1
	v_add_co_ci_u32_e32 v8, vcc_lo, s11, v3, vcc_lo
	s_cmp_lt_i32 s20, s41
	v_add_co_u32 v9, vcc_lo, v1, s4
	s_cselect_b32 s20, s20, s42
	v_add_co_ci_u32_e32 v10, vcc_lo, s5, v3, vcc_lo
	v_add_co_u32 v11, vcc_lo, v1, s6
	s_ashr_i32 s21, s20, 31
	s_add_i32 s22, s43, 0xfffffdc0
	v_add_co_ci_u32_e32 v12, vcc_lo, s7, v3, vcc_lo
	global_load_u16 v15, v[15:16], off
	s_lshl_b64 s[20:21], s[20:21], 1
	s_cmp_lt_i32 s22, s41
	global_load_u16 v33, v[11:12], off
	s_cselect_b32 s22, s22, s42
	s_clause 0x2
	global_load_u16 v16, v[5:6], off
	global_load_u16 v31, v[7:8], off
	global_load_u16 v32, v[9:10], off
	s_ashr_i32 s23, s22, 31
	s_add_i32 s24, s43, 0xfffffe00
	s_lshl_b64 s[22:23], s[22:23], 1
	s_cmp_lt_i32 s24, s41
	v_add_co_u32 v13, vcc_lo, v1, s18
	s_cselect_b32 s24, s24, s42
	s_add_i32 s26, s43, 0xfffffe40
	s_ashr_i32 s25, s24, 31
	v_add_co_ci_u32_e32 v14, vcc_lo, s19, v3, vcc_lo
	s_lshl_b64 s[24:25], s[24:25], 1
	s_cmp_lt_i32 s26, s41
	v_add_co_u32 v5, vcc_lo, v1, s20
	s_cselect_b32 s8, s26, s42
	v_add_co_ci_u32_e32 v6, vcc_lo, s21, v3, vcc_lo
	s_ashr_i32 s9, s8, 31
	v_add_co_u32 v7, vcc_lo, v1, s22
	s_add_i32 s10, s43, 0xfffffe80
	s_lshl_b64 s[8:9], s[8:9], 1
	v_add_co_ci_u32_e32 v8, vcc_lo, s23, v3, vcc_lo
	s_cmp_lt_i32 s10, s41
	v_add_co_u32 v9, vcc_lo, v1, s24
	s_cselect_b32 s4, s10, s42
	global_load_u16 v13, v[13:14], off
	v_add_co_ci_u32_e32 v10, vcc_lo, s25, v3, vcc_lo
	s_ashr_i32 s5, s4, 31
	s_add_i32 s6, s43, 0xfffffec0
	s_lshl_b64 s[4:5], s[4:5], 1
	global_load_u16 v35, v[9:10], off
	s_cmp_lt_i32 s6, s41
	s_clause 0x1
	global_load_u16 v14, v[5:6], off
	global_load_u16 v34, v[7:8], off
	s_cselect_b32 s6, s6, s42
	s_add_i32 s10, s43, 0xffffff00
	s_ashr_i32 s7, s6, 31
	v_add_co_u32 v5, vcc_lo, v1, s8
	s_lshl_b64 s[6:7], s[6:7], 1
	s_cmp_lt_i32 s10, s41
	v_add_co_ci_u32_e32 v6, vcc_lo, s9, v3, vcc_lo
	s_cselect_b32 s10, s10, s42
	v_add_co_u32 v7, vcc_lo, v1, s4
	s_ashr_i32 s11, s10, 31
	v_add_co_ci_u32_e32 v8, vcc_lo, s5, v3, vcc_lo
	s_add_i32 s18, s43, 0xffffff40
	s_lshl_b64 s[10:11], s[10:11], 1
	s_cmp_lt_i32 s18, s41
	s_clause 0x1
	global_load_u16 v36, v[5:6], off
	global_load_u16 v37, v[7:8], off
	s_cselect_b32 s18, s18, s42
	v_add_co_u32 v5, vcc_lo, v1, s6
	s_ashr_i32 s19, s18, 31
	v_add_co_ci_u32_e32 v6, vcc_lo, s7, v3, vcc_lo
	s_add_i32 s20, s43, 0xffffff80
	v_add_co_u32 v7, vcc_lo, v1, s10
	s_lshl_b64 s[8:9], s[18:19], 1
	s_cmp_lt_i32 s20, s41
	v_add_co_ci_u32_e32 v8, vcc_lo, s11, v3, vcc_lo
	s_cselect_b32 s4, s20, s42
	global_load_u16 v38, v[5:6], off
	s_ashr_i32 s5, s4, 31
	global_load_u16 v39, v[7:8], off
	s_sub_i32 s18, s43, 64
	v_add_co_u32 v5, vcc_lo, v1, s8
	s_lshl_b64 s[4:5], s[4:5], 1
	s_cmp_lt_i32 s18, s41
	v_add_co_ci_u32_e32 v6, vcc_lo, s9, v3, vcc_lo
	v_add_co_u32 v7, vcc_lo, v1, s4
	s_cselect_b32 s6, s18, s42
	v_add_co_ci_u32_e32 v8, vcc_lo, s5, v3, vcc_lo
	s_ashr_i32 s7, s6, 31
	global_load_u16 v40, v[5:6], off
	s_lshl_b64 s[6:7], s[6:7], 1
	global_load_u16 v41, v[7:8], off
	s_cmp_lt_i32 s43, s41
	v_add_co_u32 v5, vcc_lo, v1, s6
	s_cselect_b32 s4, s43, s42
	v_add_co_ci_u32_e32 v6, vcc_lo, s7, v3, vcc_lo
	s_ashr_i32 s5, s4, 31
	s_delay_alu instid0(SALU_CYCLE_1)
	s_lshl_b64 s[4:5], s[4:5], 1
	global_load_u16 v42, v[5:6], off
	v_add_co_u32 v5, vcc_lo, v1, s4
	v_add_co_ci_u32_e32 v6, vcc_lo, s5, v3, vcc_lo
	global_load_u16 v43, v[5:6], off
	ds_load_b128 v[5:8], v44
	ds_load_b128 v[9:12], v44 offset:16
	s_waitcnt vmcnt(31)
	v_lshlrev_b32_e32 v2, 16, v2
	s_waitcnt lgkmcnt(1)
	s_delay_alu instid0(VALU_DEP_1) | instskip(SKIP_2) | instid1(VALU_DEP_1)
	v_fmac_f32_e32 v4, v5, v2
	s_waitcnt vmcnt(30)
	v_lshlrev_b32_e32 v2, 16, v23
	v_fmac_f32_e32 v4, v6, v2
	s_waitcnt vmcnt(29)
	v_lshlrev_b32_e32 v2, 16, v24
	s_delay_alu instid0(VALU_DEP_1) | instskip(SKIP_2) | instid1(VALU_DEP_1)
	v_fmac_f32_e32 v4, v7, v2
	s_waitcnt vmcnt(28)
	v_lshlrev_b32_e32 v2, 16, v25
	v_fmac_f32_e32 v4, v8, v2
	ds_load_b128 v[5:8], v44 offset:32
	s_waitcnt vmcnt(27)
	v_lshlrev_b32_e32 v2, 16, v26
	s_waitcnt lgkmcnt(1)
	s_delay_alu instid0(VALU_DEP_1) | instskip(SKIP_2) | instid1(VALU_DEP_1)
	v_fmac_f32_e32 v4, v9, v2
	s_waitcnt vmcnt(26)
	v_lshlrev_b32_e32 v2, 16, v27
	v_fmac_f32_e32 v4, v10, v2
	s_waitcnt vmcnt(24)
	v_lshlrev_b32_e32 v2, 16, v28
	s_delay_alu instid0(VALU_DEP_1) | instskip(SKIP_1) | instid1(VALU_DEP_1)
	v_fmac_f32_e32 v4, v11, v2
	v_lshlrev_b32_e32 v2, 16, v17
	v_fmac_f32_e32 v4, v12, v2
	ds_load_b128 v[9:12], v44 offset:48
	s_waitcnt vmcnt(23)
	v_lshlrev_b32_e32 v2, 16, v18
	s_waitcnt lgkmcnt(1)
	s_delay_alu instid0(VALU_DEP_1) | instskip(SKIP_2) | instid1(VALU_DEP_1)
	v_fmac_f32_e32 v4, v5, v2
	s_waitcnt vmcnt(21)
	v_lshlrev_b32_e32 v2, 16, v19
	v_fmac_f32_e32 v4, v6, v2
	s_waitcnt vmcnt(20)
	v_lshlrev_b32_e32 v2, 16, v20
	s_delay_alu instid0(VALU_DEP_1) | instskip(SKIP_2) | instid1(VALU_DEP_1)
	v_fmac_f32_e32 v4, v7, v2
	s_waitcnt vmcnt(19)
	v_lshlrev_b32_e32 v2, 16, v21
	v_fmac_f32_e32 v4, v8, v2
	s_waitcnt vmcnt(18)
	v_lshlrev_b32_e32 v2, 16, v22
	ds_load_b128 v[5:8], v44 offset:64
	s_waitcnt lgkmcnt(1)
	v_fmac_f32_e32 v4, v9, v2
	s_waitcnt vmcnt(17)
	v_lshlrev_b32_e32 v2, 16, v29
	s_delay_alu instid0(VALU_DEP_1) | instskip(SKIP_1) | instid1(VALU_DEP_1)
	v_fmac_f32_e32 v4, v10, v2
	v_lshlrev_b32_e32 v2, 16, v30
	v_fmac_f32_e32 v4, v11, v2
	s_waitcnt vmcnt(16)
	v_lshlrev_b32_e32 v2, 16, v15
	s_delay_alu instid0(VALU_DEP_1) | instskip(SKIP_4) | instid1(VALU_DEP_1)
	v_fmac_f32_e32 v4, v12, v2
	ds_load_b128 v[9:12], v44 offset:80
	s_waitcnt vmcnt(14)
	v_lshlrev_b32_e32 v2, 16, v16
	s_waitcnt lgkmcnt(1)
	v_fmac_f32_e32 v4, v5, v2
	s_waitcnt vmcnt(13)
	v_lshlrev_b32_e32 v2, 16, v31
	s_delay_alu instid0(VALU_DEP_1) | instskip(SKIP_2) | instid1(VALU_DEP_1)
	v_fmac_f32_e32 v4, v6, v2
	s_waitcnt vmcnt(12)
	v_lshlrev_b32_e32 v2, 16, v32
	v_fmac_f32_e32 v4, v7, v2
	v_lshlrev_b32_e32 v2, 16, v33
	s_delay_alu instid0(VALU_DEP_1) | instskip(SKIP_4) | instid1(VALU_DEP_1)
	v_fmac_f32_e32 v4, v8, v2
	ds_load_b128 v[5:8], v44 offset:96
	s_waitcnt vmcnt(11)
	v_lshlrev_b32_e32 v2, 16, v13
	s_waitcnt lgkmcnt(1)
	v_fmac_f32_e32 v4, v9, v2
	s_waitcnt vmcnt(9)
	v_lshlrev_b32_e32 v2, 16, v14
	s_delay_alu instid0(VALU_DEP_1) | instskip(SKIP_2) | instid1(VALU_DEP_1)
	v_fmac_f32_e32 v4, v10, v2
	s_waitcnt vmcnt(8)
	v_lshlrev_b32_e32 v2, 16, v34
	v_fmac_f32_e32 v4, v11, v2
	;; [unrolled: 15-line block ×3, first 2 shown]
	s_waitcnt vmcnt(4)
	v_lshlrev_b32_e32 v2, 16, v39
	s_delay_alu instid0(VALU_DEP_1) | instskip(SKIP_3) | instid1(VALU_DEP_1)
	v_fmac_f32_e32 v4, v8, v2
	s_waitcnt vmcnt(3)
	v_lshlrev_b32_e32 v2, 16, v40
	s_waitcnt lgkmcnt(0)
	v_fmac_f32_e32 v4, v9, v2
	s_waitcnt vmcnt(2)
	v_lshlrev_b32_e32 v2, 16, v41
	s_delay_alu instid0(VALU_DEP_1) | instskip(SKIP_2) | instid1(VALU_DEP_1)
	v_fmac_f32_e32 v4, v10, v2
	s_waitcnt vmcnt(1)
	v_lshlrev_b32_e32 v2, 16, v42
	v_fmac_f32_e32 v4, v11, v2
	s_waitcnt vmcnt(0)
	v_lshlrev_b32_e32 v2, 16, v43
	s_delay_alu instid0(VALU_DEP_1)
	v_fmac_f32_e32 v4, v12, v2
	s_branch .LBB415_14
.LBB415_17:
	v_mov_b32_e32 v1, 0
	s_and_b32 vcc_lo, exec_lo, s15
	ds_load_b32 v1, v1 offset:1280
	s_cbranch_vccz .LBB415_19
; %bb.18:
	s_add_u32 s2, s12, s16
	s_addc_u32 s3, s13, s17
	s_load_b32 s2, s[2:3], 0x0
	s_mov_b32 s3, 0
.LBB415_19:
	s_waitcnt lgkmcnt(0)
	v_add_f32_e32 v1, 0x358637bd, v1
	s_delay_alu instid0(VALU_DEP_1) | instskip(NEXT) | instid1(VALU_DEP_1)
	v_div_scale_f32 v2, null, v1, v1, 1.0
	v_rcp_f32_e32 v3, v2
	s_waitcnt_depctr 0xfff
	v_fma_f32 v5, -v2, v3, 1.0
	s_delay_alu instid0(VALU_DEP_1) | instskip(SKIP_1) | instid1(VALU_DEP_1)
	v_fmac_f32_e32 v3, v5, v3
	v_div_scale_f32 v5, vcc_lo, 1.0, v1, 1.0
	v_mul_f32_e32 v6, v5, v3
	s_delay_alu instid0(VALU_DEP_1) | instskip(NEXT) | instid1(VALU_DEP_1)
	v_fma_f32 v7, -v2, v6, v5
	v_fmac_f32_e32 v6, v7, v3
	s_delay_alu instid0(VALU_DEP_1) | instskip(NEXT) | instid1(VALU_DEP_1)
	v_fma_f32 v2, -v2, v6, v5
	v_div_fmas_f32 v2, v2, v3, v6
	s_delay_alu instid0(VALU_DEP_1) | instskip(NEXT) | instid1(VALU_DEP_1)
	v_div_fixup_f32 v1, v2, v1, 1.0
	v_mul_f32_e32 v2, v4, v1
	s_delay_alu instid0(VALU_DEP_1) | instskip(NEXT) | instid1(VALU_DEP_1)
	v_and_b32_e32 v1, 0x7f800000, v2
	v_cmp_ne_u32_e32 vcc_lo, 0x7f800000, v1
                                        ; implicit-def: $vgpr1
	s_and_saveexec_b32 s4, vcc_lo
	s_delay_alu instid0(SALU_CYCLE_1)
	s_xor_b32 s4, exec_lo, s4
; %bb.20:
	v_bfe_u32 v1, v2, 16, 1
	s_delay_alu instid0(VALU_DEP_1)
	v_add3_u32 v1, v2, v1, 0x7fff
                                        ; implicit-def: $vgpr2
; %bb.21:
	s_and_not1_saveexec_b32 s4, s4
; %bb.22:
	v_and_b32_e32 v1, 0xffff, v2
	v_or_b32_e32 v3, 0x10000, v2
	s_delay_alu instid0(VALU_DEP_2) | instskip(NEXT) | instid1(VALU_DEP_2)
	v_cmp_eq_u32_e32 vcc_lo, 0, v1
	v_cndmask_b32_e32 v1, v3, v2, vcc_lo
; %bb.23:
	s_or_b32 exec_lo, exec_lo, s4
	s_mul_i32 s3, s33, s3
	s_mul_hi_u32 s4, s33, s2
	s_mul_i32 s2, s33, s2
	s_add_i32 s3, s4, s3
	s_mov_b32 s15, 0
	s_lshl_b64 s[2:3], s[2:3], 6
	v_and_b32_e32 v1, 0xffff0000, v1
	s_add_u32 s2, s0, s2
	s_addc_u32 s3, s1, s3
	s_lshl_b64 s[0:1], s[14:15], 6
	s_delay_alu instid0(SALU_CYCLE_1)
	s_add_u32 s0, s2, s0
	s_addc_u32 s1, s3, s1
	v_add_co_u32 v0, s0, s0, v0
	v_cvt_i32_f32_e32 v2, v1
	v_add_co_ci_u32_e64 v1, null, s1, 0, s0
	global_store_b8 v[0:1], v2, off
	s_nop 0
	s_sendmsg sendmsg(MSG_DEALLOC_VGPRS)
	s_endpgm
.LBB415_24:
	s_mov_b32 s4, 0
	s_branch .LBB415_2
	.section	.rodata,"a",@progbits
	.p2align	6, 0x0
	.amdhsa_kernel _Z35paged_attention_ll4mi_reduce_kernelI14__hip_bfloat16hLi64ELi64ELi256ELi10EEvPT0_PKfS4_PKT_PKiS9_iS4_
		.amdhsa_group_segment_fixed_size 1284
		.amdhsa_private_segment_fixed_size 0
		.amdhsa_kernarg_size 320
		.amdhsa_user_sgpr_count 14
		.amdhsa_user_sgpr_dispatch_ptr 0
		.amdhsa_user_sgpr_queue_ptr 0
		.amdhsa_user_sgpr_kernarg_segment_ptr 1
		.amdhsa_user_sgpr_dispatch_id 0
		.amdhsa_user_sgpr_private_segment_size 0
		.amdhsa_wavefront_size32 1
		.amdhsa_uses_dynamic_stack 0
		.amdhsa_enable_private_segment 0
		.amdhsa_system_sgpr_workgroup_id_x 1
		.amdhsa_system_sgpr_workgroup_id_y 1
		.amdhsa_system_sgpr_workgroup_id_z 0
		.amdhsa_system_sgpr_workgroup_info 0
		.amdhsa_system_vgpr_workitem_id 0
		.amdhsa_next_free_vgpr 57
		.amdhsa_next_free_sgpr 49
		.amdhsa_reserve_vcc 1
		.amdhsa_float_round_mode_32 0
		.amdhsa_float_round_mode_16_64 0
		.amdhsa_float_denorm_mode_32 3
		.amdhsa_float_denorm_mode_16_64 3
		.amdhsa_dx10_clamp 1
		.amdhsa_ieee_mode 1
		.amdhsa_fp16_overflow 0
		.amdhsa_workgroup_processor_mode 1
		.amdhsa_memory_ordered 1
		.amdhsa_forward_progress 0
		.amdhsa_shared_vgpr_count 0
		.amdhsa_exception_fp_ieee_invalid_op 0
		.amdhsa_exception_fp_denorm_src 0
		.amdhsa_exception_fp_ieee_div_zero 0
		.amdhsa_exception_fp_ieee_overflow 0
		.amdhsa_exception_fp_ieee_underflow 0
		.amdhsa_exception_fp_ieee_inexact 0
		.amdhsa_exception_int_div_zero 0
	.end_amdhsa_kernel
	.section	.text._Z35paged_attention_ll4mi_reduce_kernelI14__hip_bfloat16hLi64ELi64ELi256ELi10EEvPT0_PKfS4_PKT_PKiS9_iS4_,"axG",@progbits,_Z35paged_attention_ll4mi_reduce_kernelI14__hip_bfloat16hLi64ELi64ELi256ELi10EEvPT0_PKfS4_PKT_PKiS9_iS4_,comdat
.Lfunc_end415:
	.size	_Z35paged_attention_ll4mi_reduce_kernelI14__hip_bfloat16hLi64ELi64ELi256ELi10EEvPT0_PKfS4_PKT_PKiS9_iS4_, .Lfunc_end415-_Z35paged_attention_ll4mi_reduce_kernelI14__hip_bfloat16hLi64ELi64ELi256ELi10EEvPT0_PKfS4_PKT_PKiS9_iS4_
                                        ; -- End function
	.section	.AMDGPU.csdata,"",@progbits
; Kernel info:
; codeLenInByte = 7076
; NumSgprs: 51
; NumVgprs: 57
; ScratchSize: 0
; MemoryBound: 0
; FloatMode: 240
; IeeeMode: 1
; LDSByteSize: 1284 bytes/workgroup (compile time only)
; SGPRBlocks: 6
; VGPRBlocks: 7
; NumSGPRsForWavesPerEU: 51
; NumVGPRsForWavesPerEU: 57
; Occupancy: 16
; WaveLimiterHint : 0
; COMPUTE_PGM_RSRC2:SCRATCH_EN: 0
; COMPUTE_PGM_RSRC2:USER_SGPR: 14
; COMPUTE_PGM_RSRC2:TRAP_HANDLER: 0
; COMPUTE_PGM_RSRC2:TGID_X_EN: 1
; COMPUTE_PGM_RSRC2:TGID_Y_EN: 1
; COMPUTE_PGM_RSRC2:TGID_Z_EN: 0
; COMPUTE_PGM_RSRC2:TIDIG_COMP_CNT: 0
	.section	.text._Z35paged_attention_ll4mi_reduce_kernelI14__hip_bfloat16hLi64ELi64ELi256ELi11EEvPT0_PKfS4_PKT_PKiS9_iS4_,"axG",@progbits,_Z35paged_attention_ll4mi_reduce_kernelI14__hip_bfloat16hLi64ELi64ELi256ELi11EEvPT0_PKfS4_PKT_PKiS9_iS4_,comdat
	.protected	_Z35paged_attention_ll4mi_reduce_kernelI14__hip_bfloat16hLi64ELi64ELi256ELi11EEvPT0_PKfS4_PKT_PKiS9_iS4_ ; -- Begin function _Z35paged_attention_ll4mi_reduce_kernelI14__hip_bfloat16hLi64ELi64ELi256ELi11EEvPT0_PKfS4_PKT_PKiS9_iS4_
	.globl	_Z35paged_attention_ll4mi_reduce_kernelI14__hip_bfloat16hLi64ELi64ELi256ELi11EEvPT0_PKfS4_PKT_PKiS9_iS4_
	.p2align	8
	.type	_Z35paged_attention_ll4mi_reduce_kernelI14__hip_bfloat16hLi64ELi64ELi256ELi11EEvPT0_PKfS4_PKT_PKiS9_iS4_,@function
_Z35paged_attention_ll4mi_reduce_kernelI14__hip_bfloat16hLi64ELi64ELi256ELi11EEvPT0_PKfS4_PKT_PKiS9_iS4_: ; @_Z35paged_attention_ll4mi_reduce_kernelI14__hip_bfloat16hLi64ELi64ELi256ELi11EEvPT0_PKfS4_PKT_PKiS9_iS4_
; %bb.0:
	s_load_b64 s[12:13], s[0:1], 0x28
	s_mov_b32 s2, s15
	s_waitcnt lgkmcnt(0)
	s_cmp_lg_u64 s[12:13], 0
	s_cselect_b32 s15, -1, 0
	s_delay_alu instid0(SALU_CYCLE_1)
	s_and_b32 vcc_lo, exec_lo, s15
	s_cbranch_vccz .LBB416_24
; %bb.1:
	s_add_i32 s4, s2, 1
	s_mov_b32 s5, 0
	s_delay_alu instid0(SALU_CYCLE_1) | instskip(SKIP_4) | instid1(SALU_CYCLE_1)
	s_lshl_b64 s[6:7], s[4:5], 2
	s_mov_b32 s3, s5
	s_add_u32 s6, s12, s6
	s_addc_u32 s7, s13, s7
	s_lshl_b64 s[8:9], s[2:3], 2
	s_add_u32 s8, s12, s8
	s_addc_u32 s9, s13, s9
	s_clause 0x1
	s_load_b32 s4, s[6:7], 0x0
	s_load_b32 s6, s[8:9], 0x0
	s_waitcnt lgkmcnt(0)
	s_sub_i32 s4, s4, s6
	s_delay_alu instid0(SALU_CYCLE_1)
	s_cmp_eq_u32 s4, 1
	s_cselect_b32 s4, -1, 0
	s_cbranch_execnz .LBB416_3
.LBB416_2:
	s_mov_b32 s3, 0
	s_mov_b32 s4, -1
.LBB416_3:
	s_delay_alu instid0(SALU_CYCLE_1)
	s_and_not1_b32 vcc_lo, exec_lo, s4
	s_cbranch_vccz .LBB416_5
; %bb.4:
	s_endpgm
.LBB416_5:
	s_clause 0x1
	s_load_b128 s[4:7], s[0:1], 0x18
	s_load_b32 s9, s[0:1], 0x30
	s_lshl_b64 s[16:17], s[2:3], 2
	s_waitcnt lgkmcnt(0)
	s_add_u32 s6, s6, s16
	s_addc_u32 s7, s7, s17
	s_load_b32 s23, s[6:7], 0x0
	s_load_b32 s33, s[0:1], 0x40
	s_mul_i32 s7, s2, s9
	s_waitcnt lgkmcnt(0)
	s_add_i32 s22, s23, 0xff
	s_delay_alu instid0(SALU_CYCLE_1) | instskip(NEXT) | instid1(SALU_CYCLE_1)
	s_ashr_i32 s6, s22, 31
	s_lshr_b32 s6, s6, 24
	s_delay_alu instid0(SALU_CYCLE_1) | instskip(SKIP_4) | instid1(SALU_CYCLE_1)
	s_add_i32 s8, s22, s6
	s_mul_i32 s6, s14, s9
	s_mov_b32 s9, exec_lo
	v_cmpx_lt_u32_e32 31, v0
	s_xor_b32 s9, exec_lo, s9
	s_or_saveexec_b32 s24, s9
	v_mov_b32_e32 v1, s6
	s_ashr_i32 s40, s8, 8
	s_mul_i32 s18, s7, s33
	s_xor_b32 exec_lo, exec_lo, s24
	s_cbranch_execz .LBB416_9
; %bb.6:
	v_or_b32_e32 v2, 32, v0
	v_cmp_gt_i32_e32 vcc_lo, s40, v0
	s_add_i32 s20, s40, -1
	v_or_b32_e32 v4, 64, v0
	v_or_b32_e32 v6, 0xa0, v0
	s_load_b128 s[8:11], s[0:1], 0x8
	v_cndmask_b32_e32 v1, s20, v0, vcc_lo
	v_cmp_gt_i32_e32 vcc_lo, s40, v2
	s_mov_b32 s19, 0
	s_delay_alu instid0(SALU_CYCLE_1)
	s_mov_b32 s7, s19
	v_cndmask_b32_e32 v3, s20, v2, vcc_lo
	v_or_b32_e32 v2, 0x60, v0
	v_cmp_gt_i32_e32 vcc_lo, s40, v4
	v_cndmask_b32_e32 v5, s20, v4, vcc_lo
	v_or_b32_e32 v4, 0x80, v0
	s_delay_alu instid0(VALU_DEP_4) | instskip(SKIP_1) | instid1(VALU_DEP_3)
	v_cmp_gt_i32_e32 vcc_lo, s40, v2
	v_cndmask_b32_e32 v7, s20, v2, vcc_lo
	v_cmp_gt_i32_e32 vcc_lo, s40, v4
	v_or_b32_e32 v2, 0xc0, v0
	s_delay_alu instid0(VALU_DEP_3) | instskip(SKIP_3) | instid1(VALU_DEP_4)
	v_ashrrev_i32_e32 v8, 31, v7
	v_cndmask_b32_e32 v9, s20, v4, vcc_lo
	v_cmp_gt_i32_e32 vcc_lo, s40, v6
	v_or_b32_e32 v4, 0xe0, v0
	v_lshlrev_b64 v[7:8], 2, v[7:8]
	s_delay_alu instid0(VALU_DEP_4) | instskip(SKIP_3) | instid1(VALU_DEP_4)
	v_ashrrev_i32_e32 v10, 31, v9
	v_cndmask_b32_e32 v11, s20, v6, vcc_lo
	v_cmp_gt_i32_e32 vcc_lo, s40, v2
	v_or_b32_e32 v6, 0x120, v0
	v_lshlrev_b64 v[9:10], 2, v[9:10]
	s_delay_alu instid0(VALU_DEP_4) | instskip(SKIP_3) | instid1(VALU_DEP_4)
	v_ashrrev_i32_e32 v12, 31, v11
	v_cndmask_b32_e32 v13, s20, v2, vcc_lo
	v_or_b32_e32 v2, 0x100, v0
	v_cmp_gt_i32_e32 vcc_lo, s40, v4
	v_lshlrev_b64 v[11:12], 2, v[11:12]
	s_delay_alu instid0(VALU_DEP_4) | instskip(SKIP_3) | instid1(VALU_DEP_4)
	v_ashrrev_i32_e32 v14, 31, v13
	v_cndmask_b32_e32 v15, s20, v4, vcc_lo
	v_cmp_gt_i32_e32 vcc_lo, s40, v2
	v_or_b32_e32 v4, 0x140, v0
	v_lshlrev_b64 v[13:14], 2, v[13:14]
	s_delay_alu instid0(VALU_DEP_4) | instskip(SKIP_3) | instid1(VALU_DEP_4)
	v_ashrrev_i32_e32 v16, 31, v15
	v_cndmask_b32_e32 v17, s20, v2, vcc_lo
	v_cmp_gt_i32_e32 vcc_lo, s40, v6
	v_ashrrev_i32_e32 v2, 31, v1
	v_lshlrev_b64 v[15:16], 2, v[15:16]
	s_delay_alu instid0(VALU_DEP_4)
	v_ashrrev_i32_e32 v18, 31, v17
	v_cndmask_b32_e32 v19, s20, v6, vcc_lo
	v_cmp_gt_i32_e32 vcc_lo, s40, v4
	v_lshlrev_b64 v[1:2], 2, v[1:2]
	v_ashrrev_i32_e32 v6, 31, v5
	v_lshlrev_b64 v[17:18], 2, v[17:18]
	v_ashrrev_i32_e32 v20, 31, v19
	v_cndmask_b32_e32 v21, s20, v4, vcc_lo
	v_ashrrev_i32_e32 v4, 31, v3
	s_lshl_b64 s[20:21], s[18:19], 2
	v_lshlrev_b64 v[5:6], 2, v[5:6]
	s_waitcnt lgkmcnt(0)
	s_add_u32 s19, s10, s20
	s_addc_u32 s25, s11, s21
	s_lshl_b64 s[10:11], s[6:7], 2
	v_lshlrev_b64 v[3:4], 2, v[3:4]
	s_add_u32 s7, s19, s10
	s_addc_u32 s19, s25, s11
	v_add_co_u32 v22, vcc_lo, s7, v1
	v_add_co_ci_u32_e32 v23, vcc_lo, s19, v2, vcc_lo
	s_delay_alu instid0(VALU_DEP_3)
	v_add_co_u32 v24, vcc_lo, s7, v3
	v_add_co_ci_u32_e32 v25, vcc_lo, s19, v4, vcc_lo
	v_add_co_u32 v26, vcc_lo, s7, v5
	v_add_co_ci_u32_e32 v27, vcc_lo, s19, v6, vcc_lo
	;; [unrolled: 2-line block ×5, first 2 shown]
	v_add_co_u32 v34, vcc_lo, s7, v13
	s_clause 0x2
	global_load_b32 v38, v[22:23], off
	global_load_b32 v39, v[24:25], off
	;; [unrolled: 1-line block ×3, first 2 shown]
	v_ashrrev_i32_e32 v22, 31, v21
	v_add_co_ci_u32_e32 v35, vcc_lo, s19, v14, vcc_lo
	v_add_co_u32 v36, vcc_lo, s7, v15
	v_lshlrev_b64 v[19:20], 2, v[19:20]
	v_add_co_ci_u32_e32 v37, vcc_lo, s19, v16, vcc_lo
	v_add_co_u32 v23, vcc_lo, s7, v17
	v_lshlrev_b64 v[21:22], 2, v[21:22]
	s_clause 0x4
	global_load_b32 v29, v[28:29], off
	global_load_b32 v30, v[30:31], off
	;; [unrolled: 1-line block ×5, first 2 shown]
	v_add_co_ci_u32_e32 v24, vcc_lo, s19, v18, vcc_lo
	v_add_co_u32 v25, vcc_lo, s7, v19
	v_add_co_ci_u32_e32 v26, vcc_lo, s19, v20, vcc_lo
	v_add_co_u32 v27, vcc_lo, s7, v21
	v_add_co_ci_u32_e32 v28, vcc_lo, s19, v22, vcc_lo
	s_clause 0x2
	global_load_b32 v23, v[23:24], off
	global_load_b32 v24, v[25:26], off
	;; [unrolled: 1-line block ×3, first 2 shown]
	s_add_u32 s7, s8, s20
	s_addc_u32 s8, s9, s21
	s_add_u32 s7, s7, s10
	s_addc_u32 s8, s8, s11
	v_add_co_u32 v1, vcc_lo, s7, v1
	v_add_co_ci_u32_e32 v2, vcc_lo, s8, v2, vcc_lo
	v_add_co_u32 v3, vcc_lo, s7, v3
	v_add_co_ci_u32_e32 v4, vcc_lo, s8, v4, vcc_lo
	;; [unrolled: 2-line block ×8, first 2 shown]
	s_clause 0x7
	global_load_b32 v34, v[1:2], off
	global_load_b32 v3, v[3:4], off
	;; [unrolled: 1-line block ×8, first 2 shown]
	v_mbcnt_lo_u32_b32 v26, -1, 0
	s_delay_alu instid0(VALU_DEP_1) | instskip(SKIP_2) | instid1(VALU_DEP_3)
	v_xor_b32_e32 v27, 16, v26
	v_xor_b32_e32 v14, 8, v26
	;; [unrolled: 1-line block ×3, first 2 shown]
	v_cmp_gt_i32_e32 vcc_lo, 32, v27
	v_cndmask_b32_e32 v1, v26, v27, vcc_lo
	s_delay_alu instid0(VALU_DEP_1)
	v_lshlrev_b32_e32 v10, 2, v1
	v_add_co_u32 v1, vcc_lo, s7, v17
	v_xor_b32_e32 v17, 1, v26
	s_waitcnt vmcnt(16)
	v_max3_f32 v28, v38, v39, v40
	s_waitcnt vmcnt(14)
	s_delay_alu instid0(VALU_DEP_1) | instskip(SKIP_1) | instid1(VALU_DEP_1)
	v_max3_f32 v28, v28, v29, v30
	s_waitcnt vmcnt(12)
	v_max3_f32 v28, v28, v31, v32
	s_waitcnt vmcnt(10)
	s_delay_alu instid0(VALU_DEP_1) | instskip(SKIP_1) | instid1(VALU_DEP_1)
	v_max3_f32 v2, v28, v33, v23
	s_waitcnt vmcnt(8)
	v_max3_f32 v11, v2, v24, v25
	v_add_co_ci_u32_e32 v2, vcc_lo, s8, v18, vcc_lo
	ds_bpermute_b32 v12, v10, v11
	global_load_b32 v13, v[1:2], off
	v_add_co_u32 v1, vcc_lo, s7, v19
	v_add_co_ci_u32_e32 v2, vcc_lo, s8, v20, vcc_lo
	v_cmp_gt_i32_e32 vcc_lo, 32, v14
	global_load_b32 v15, v[1:2], off
	s_waitcnt lgkmcnt(0)
	v_max_f32_e32 v12, v12, v12
	v_cndmask_b32_e32 v14, v26, v14, vcc_lo
	v_add_co_u32 v1, vcc_lo, s7, v21
	v_add_co_ci_u32_e32 v2, vcc_lo, s8, v22, vcc_lo
	s_delay_alu instid0(VALU_DEP_3)
	v_dual_max_f32 v11, v11, v12 :: v_dual_lshlrev_b32 v14, 2, v14
	v_xor_b32_e32 v12, 4, v26
	global_load_b32 v1, v[1:2], off
	s_mov_b32 s7, exec_lo
	ds_bpermute_b32 v2, v14, v11
	v_cmp_gt_i32_e32 vcc_lo, 32, v12
	v_cndmask_b32_e32 v12, v26, v12, vcc_lo
	v_cmp_gt_i32_e32 vcc_lo, 32, v16
	s_delay_alu instid0(VALU_DEP_2) | instskip(SKIP_2) | instid1(VALU_DEP_2)
	v_lshlrev_b32_e32 v12, 2, v12
	v_cndmask_b32_e32 v16, v26, v16, vcc_lo
	v_cmp_gt_i32_e32 vcc_lo, 32, v17
	v_dual_cndmask_b32 v17, v26, v17 :: v_dual_lshlrev_b32 v16, 2, v16
	s_waitcnt lgkmcnt(0)
	s_delay_alu instid0(VALU_DEP_1) | instskip(NEXT) | instid1(VALU_DEP_1)
	v_dual_max_f32 v2, v2, v2 :: v_dual_lshlrev_b32 v17, 2, v17
	v_max_f32_e32 v2, v11, v2
	ds_bpermute_b32 v11, v12, v2
	s_waitcnt lgkmcnt(0)
	v_max_f32_e32 v11, v11, v11
	s_delay_alu instid0(VALU_DEP_1) | instskip(SKIP_3) | instid1(VALU_DEP_1)
	v_max_f32_e32 v2, v2, v11
	ds_bpermute_b32 v11, v16, v2
	s_waitcnt lgkmcnt(0)
	v_max_f32_e32 v11, v11, v11
	v_max_f32_e32 v2, v2, v11
	ds_bpermute_b32 v11, v17, v2
	s_waitcnt lgkmcnt(0)
	v_max_f32_e32 v11, v11, v11
	s_delay_alu instid0(VALU_DEP_1) | instskip(SKIP_1) | instid1(VALU_DEP_2)
	v_max_f32_e32 v2, v2, v11
	v_sub_nc_u32_e32 v11, s40, v0
	v_sub_f32_e32 v28, v33, v2
	v_sub_f32_e32 v20, v40, v2
	;; [unrolled: 1-line block ×4, first 2 shown]
	s_delay_alu instid0(VALU_DEP_4)
	v_dual_sub_f32 v21, v29, v2 :: v_dual_mul_f32 v36, 0x3fb8aa3b, v28
	v_sub_f32_e32 v22, v30, v2
	v_mul_f32_e32 v30, 0x3fb8aa3b, v20
	v_dual_sub_f32 v24, v24, v2 :: v_dual_mul_f32 v29, 0x3fb8aa3b, v19
	v_sub_f32_e32 v26, v31, v2
	v_sub_f32_e32 v27, v32, v2
	s_delay_alu instid0(VALU_DEP_4) | instskip(NEXT) | instid1(VALU_DEP_4)
	v_fma_f32 v44, 0x3fb8aa3b, v20, -v30
	v_mul_f32_e32 v38, 0x3fb8aa3b, v24
	v_fma_f32 v42, 0x3fb8aa3b, v19, -v29
	v_sub_f32_e32 v23, v23, v2
	v_dual_sub_f32 v2, v25, v2 :: v_dual_mul_f32 v31, 0x3fb8aa3b, v21
	v_rndne_f32_e32 v43, v29
	v_rndne_f32_e32 v45, v30
	v_mul_f32_e32 v25, 0x3fb8aa3b, v18
	v_fmac_f32_e32 v42, 0x32a5705f, v19
	s_delay_alu instid0(VALU_DEP_4) | instskip(NEXT) | instid1(VALU_DEP_4)
	v_dual_fmac_f32 v44, 0x32a5705f, v20 :: v_dual_sub_f32 v29, v29, v43
	v_dual_sub_f32 v30, v30, v45 :: v_dual_mul_f32 v37, 0x3fb8aa3b, v23
	s_delay_alu instid0(VALU_DEP_4) | instskip(SKIP_2) | instid1(VALU_DEP_4)
	v_fma_f32 v40, 0x3fb8aa3b, v18, -v25
	v_rndne_f32_e32 v41, v25
	v_dual_mul_f32 v32, 0x3fb8aa3b, v22 :: v_dual_mul_f32 v35, 0x3fb8aa3b, v27
	v_add_f32_e32 v30, v30, v44
	v_fma_f32 v56, 0x3fb8aa3b, v23, -v37
	s_delay_alu instid0(VALU_DEP_4) | instskip(NEXT) | instid1(VALU_DEP_4)
	v_dual_fmac_f32 v40, 0x32a5705f, v18 :: v_dual_sub_f32 v25, v25, v41
	v_fma_f32 v48, 0x3fb8aa3b, v22, -v32
	v_rndne_f32_e32 v49, v32
	v_mul_f32_e32 v33, 0x3fb8aa3b, v26
	v_fma_f32 v54, 0x3fb8aa3b, v28, -v36
	v_dual_fmac_f32 v56, 0x32a5705f, v23 :: v_dual_add_f32 v25, v25, v40
	v_fma_f32 v46, 0x3fb8aa3b, v21, -v31
	v_rndne_f32_e32 v47, v31
	v_rndne_f32_e32 v53, v35
	v_sub_f32_e32 v32, v32, v49
	v_fma_f32 v50, 0x3fb8aa3b, v26, -v33
	v_rndne_f32_e32 v51, v33
	v_fmac_f32_e32 v48, 0x32a5705f, v22
	v_dual_fmac_f32 v54, 0x32a5705f, v28 :: v_dual_add_f32 v29, v29, v42
	v_exp_f32_e32 v25, v25
	v_fma_f32 v52, 0x3fb8aa3b, v27, -v35
	v_rndne_f32_e32 v55, v36
	v_fma_f32 v58, 0x3fb8aa3b, v24, -v38
	v_cvt_i32_f32_e32 v41, v41
	v_dual_fmac_f32 v46, 0x32a5705f, v21 :: v_dual_sub_f32 v31, v31, v47
	v_dual_fmac_f32 v50, 0x32a5705f, v26 :: v_dual_sub_f32 v35, v35, v53
	v_dual_sub_f32 v33, v33, v51 :: v_dual_add_f32 v32, v32, v48
	v_exp_f32_e32 v29, v29
	v_exp_f32_e32 v30, v30
	v_dual_mul_f32 v39, 0x3fb8aa3b, v2 :: v_dual_sub_f32 v36, v36, v55
	v_rndne_f32_e32 v57, v37
	v_cvt_i32_f32_e32 v43, v43
	v_cvt_i32_f32_e32 v45, v45
	v_fmac_f32_e32 v52, 0x32a5705f, v27
	v_dual_fmac_f32 v58, 0x32a5705f, v24 :: v_dual_add_f32 v31, v31, v46
	v_add_f32_e32 v33, v33, v50
	v_exp_f32_e32 v32, v32
	v_ldexp_f32 v25, v25, v41
	v_cmp_ngt_f32_e32 vcc_lo, 0xc2ce8ed0, v18
	v_cvt_i32_f32_e32 v49, v49
	v_sub_f32_e32 v37, v37, v57
	v_dual_add_f32 v35, v35, v52 :: v_dual_add_f32 v36, v36, v54
	v_exp_f32_e32 v31, v31
	v_ldexp_f32 v29, v29, v43
	v_ldexp_f32 v30, v30, v45
	v_cndmask_b32_e32 v25, 0, v25, vcc_lo
	v_cmp_ngt_f32_e32 vcc_lo, 0xc2ce8ed0, v19
	v_cvt_i32_f32_e32 v47, v47
	v_exp_f32_e32 v36, v36
	v_ldexp_f32 v32, v32, v49
	v_cvt_i32_f32_e32 v55, v55
	v_cndmask_b32_e32 v29, 0, v29, vcc_lo
	v_cmp_ngt_f32_e32 vcc_lo, 0xc2ce8ed0, v20
	v_exp_f32_e32 v33, v33
	v_ldexp_f32 v31, v31, v47
	v_cvt_i32_f32_e32 v51, v51
	v_exp_f32_e32 v35, v35
	v_cndmask_b32_e32 v30, 0, v30, vcc_lo
	v_cmp_ngt_f32_e32 vcc_lo, 0xc2ce8ed0, v21
	v_ldexp_f32 v36, v36, v55
	v_cvt_i32_f32_e32 v53, v53
	v_rndne_f32_e32 v59, v38
	v_add_f32_e32 v37, v37, v56
	v_cndmask_b32_e32 v31, 0, v31, vcc_lo
	v_cmp_ngt_f32_e32 vcc_lo, 0xc2ce8ed0, v22
	v_ldexp_f32 v33, v33, v51
	v_ldexp_f32 v35, v35, v53
	v_sub_f32_e32 v38, v38, v59
	v_fma_f32 v60, 0x3fb8aa3b, v2, -v39
	v_cndmask_b32_e32 v32, 0, v32, vcc_lo
	v_cmp_ngt_f32_e32 vcc_lo, 0xc2ce8ed0, v26
	v_exp_f32_e32 v37, v37
	v_rndne_f32_e32 v61, v39
	v_cvt_i32_f32_e32 v57, v57
	v_dual_fmac_f32 v60, 0x32a5705f, v2 :: v_dual_cndmask_b32 v33, 0, v33
	v_cmp_ngt_f32_e32 vcc_lo, 0xc2ce8ed0, v27
	v_cndmask_b32_e32 v35, 0, v35, vcc_lo
	v_cmp_ngt_f32_e32 vcc_lo, 0xc2ce8ed0, v28
	v_cndmask_b32_e32 v36, 0, v36, vcc_lo
	v_cmp_nlt_f32_e32 vcc_lo, 0x42b17218, v18
	v_cndmask_b32_e32 v18, 0x7f800000, v25, vcc_lo
	v_cmp_nlt_f32_e32 vcc_lo, 0x42b17218, v19
	;; [unrolled: 2-line block ×8, first 2 shown]
	v_cndmask_b32_e32 v27, 0x7f800000, v36, vcc_lo
	v_cmp_lt_i32_e32 vcc_lo, 0, v11
	v_cndmask_b32_e32 v18, 0, v18, vcc_lo
	v_cmp_lt_i32_e32 vcc_lo, 32, v11
	s_waitcnt vmcnt(10)
	s_delay_alu instid0(VALU_DEP_2) | instskip(SKIP_4) | instid1(VALU_DEP_2)
	v_dual_mul_f32 v18, v34, v18 :: v_dual_cndmask_b32 v19, 0, v19
	v_cmp_lt_i32_e32 vcc_lo, 64, v11
	v_cndmask_b32_e32 v20, 0, v20, vcc_lo
	v_cmp_lt_i32_e32 vcc_lo, 0x60, v11
	s_waitcnt vmcnt(8)
	v_dual_mul_f32 v4, v4, v20 :: v_dual_cndmask_b32 v21, 0, v21
	v_cmp_lt_i32_e32 vcc_lo, 0x80, v11
	v_ldexp_f32 v20, v37, v57
	v_cndmask_b32_e32 v22, 0, v22, vcc_lo
	v_cmp_lt_i32_e32 vcc_lo, 0xa0, v11
	v_mul_f32_e32 v3, v3, v19
	v_add_f32_e32 v19, v38, v58
	s_waitcnt vmcnt(6)
	v_dual_mul_f32 v6, v6, v22 :: v_dual_cndmask_b32 v25, 0, v25
	v_cmp_lt_i32_e32 vcc_lo, 0xc0, v11
	v_add_f32_e32 v22, v18, v3
	v_exp_f32_e32 v19, v19
	s_waitcnt vmcnt(5)
	v_dual_mul_f32 v7, v7, v25 :: v_dual_cndmask_b32 v26, 0, v26
	v_cmp_lt_i32_e32 vcc_lo, 0xe0, v11
	v_mul_f32_e32 v5, v5, v21
	v_dual_sub_f32 v21, v39, v61 :: v_dual_add_f32 v22, v22, v4
	s_waitcnt vmcnt(4)
	v_dual_mul_f32 v8, v8, v26 :: v_dual_cndmask_b32 v27, 0, v27
	v_cmp_ngt_f32_e32 vcc_lo, 0xc2ce8ed0, v23
	s_delay_alu instid0(VALU_DEP_3)
	v_dual_add_f32 v21, v21, v60 :: v_dual_add_f32 v22, v22, v5
	v_cvt_i32_f32_e32 v25, v59
	s_waitcnt vmcnt(3)
	v_dual_cndmask_b32 v20, 0, v20 :: v_dual_mul_f32 v9, v9, v27
	v_cmp_nlt_f32_e32 vcc_lo, 0x42b17218, v23
	v_exp_f32_e32 v21, v21
	v_add_f32_e32 v22, v22, v6
	v_ldexp_f32 v19, v19, v25
	v_cvt_i32_f32_e32 v23, v61
	v_cndmask_b32_e32 v20, 0x7f800000, v20, vcc_lo
	v_cmp_lt_i32_e32 vcc_lo, 0x100, v11
	s_delay_alu instid0(VALU_DEP_2) | instskip(SKIP_3) | instid1(VALU_DEP_3)
	v_cndmask_b32_e32 v20, 0, v20, vcc_lo
	v_cmp_ngt_f32_e32 vcc_lo, 0xc2ce8ed0, v24
	v_cndmask_b32_e32 v19, 0, v19, vcc_lo
	s_waitcnt vmcnt(2)
	v_mul_f32_e32 v13, v13, v20
	v_ldexp_f32 v20, v21, v23
	v_add_f32_e32 v21, v22, v7
	v_cmp_nlt_f32_e32 vcc_lo, 0x42b17218, v24
	s_delay_alu instid0(VALU_DEP_2) | instskip(SKIP_4) | instid1(VALU_DEP_4)
	v_add_f32_e32 v21, v21, v8
	v_cndmask_b32_e32 v19, 0x7f800000, v19, vcc_lo
	v_cmp_ngt_f32_e32 vcc_lo, 0xc2ce8ed0, v2
	v_cndmask_b32_e32 v20, 0, v20, vcc_lo
	v_cmp_lt_i32_e32 vcc_lo, 0x120, v11
	v_cndmask_b32_e32 v19, 0, v19, vcc_lo
	v_cmp_nlt_f32_e32 vcc_lo, 0x42b17218, v2
	s_waitcnt vmcnt(1)
	s_delay_alu instid0(VALU_DEP_2) | instskip(SKIP_1) | instid1(VALU_DEP_2)
	v_dual_mul_f32 v15, v15, v19 :: v_dual_cndmask_b32 v2, 0x7f800000, v20
	v_cmp_lt_i32_e32 vcc_lo, 0x140, v11
	v_cndmask_b32_e32 v2, 0, v2, vcc_lo
	v_add_f32_e32 v20, v21, v9
	s_waitcnt vmcnt(0)
	s_delay_alu instid0(VALU_DEP_2) | instskip(NEXT) | instid1(VALU_DEP_2)
	v_mul_f32_e32 v19, v1, v2
	v_add_f32_e32 v11, v20, v13
	s_delay_alu instid0(VALU_DEP_1) | instskip(NEXT) | instid1(VALU_DEP_1)
	v_add_f32_e32 v1, v11, v15
	v_add_f32_e32 v1, v1, v19
	ds_bpermute_b32 v2, v10, v1
	v_lshlrev_b32_e32 v10, 2, v0
	ds_store_2addr_b32 v10, v18, v3 offset1:32
	v_add_nc_u32_e32 v3, 0x400, v10
	ds_store_2addr_b32 v10, v4, v5 offset0:64 offset1:96
	ds_store_2addr_b32 v10, v6, v7 offset0:128 offset1:160
	ds_store_2addr_b32 v10, v8, v9 offset0:192 offset1:224
	ds_store_2addr_b32 v3, v13, v15 offset1:32
	ds_store_b32 v10, v19 offset:1280
	s_waitcnt lgkmcnt(6)
	v_add_f32_e32 v1, v1, v2
	ds_bpermute_b32 v2, v14, v1
	s_waitcnt lgkmcnt(0)
	v_add_f32_e32 v1, v1, v2
	ds_bpermute_b32 v2, v12, v1
	;; [unrolled: 3-line block ×4, first 2 shown]
	v_cmpx_eq_u32_e32 0, v0
	s_cbranch_execz .LBB416_8
; %bb.7:
	s_waitcnt lgkmcnt(0)
	v_dual_add_f32 v1, v1, v2 :: v_dual_mov_b32 v2, 0
	ds_store_b32 v2, v1 offset:1408
.LBB416_8:
	s_or_b32 exec_lo, exec_lo, s7
	v_mov_b32_e32 v1, s6
.LBB416_9:
	s_or_b32 exec_lo, exec_lo, s24
	s_lshl_b32 s6, s18, 6
	s_mov_b32 s7, 0
	s_waitcnt lgkmcnt(0)
	v_dual_mov_b32 v2, 0 :: v_dual_lshlrev_b32 v1, 6, v1
	s_lshl_b64 s[6:7], s[6:7], 1
	v_dual_mov_b32 v31, 0 :: v_dual_mov_b32 v32, 0
	s_add_u32 s34, s4, s6
	s_addc_u32 s35, s5, s7
	s_lshl_b32 s41, s40, 6
	v_lshlrev_b64 v[3:4], 1, v[1:2]
	s_sub_i32 s42, s41, 64
	s_cmpk_lt_i32 s22, 0x100
	v_lshlrev_b32_e32 v1, 1, v0
	s_cselect_b32 s4, s42, 0
	v_dual_mov_b32 v33, 0 :: v_dual_mov_b32 v34, 0
	s_ashr_i32 s5, s4, 31
	v_add_co_u32 v3, vcc_lo, s34, v3
	s_lshl_b64 s[4:5], s[4:5], 1
	s_cmpk_lt_i32 s22, 0x200
	v_add_co_ci_u32_e32 v4, vcc_lo, s35, v4, vcc_lo
	s_cselect_b32 s6, s42, 64
	v_add_co_u32 v1, vcc_lo, v3, v1
	s_ashr_i32 s7, s6, 31
	s_delay_alu instid0(VALU_DEP_2)
	v_add_co_ci_u32_e32 v3, vcc_lo, 0, v4, vcc_lo
	s_lshl_b64 s[6:7], s[6:7], 1
	s_cmpk_lt_i32 s22, 0x300
	v_add_co_u32 v4, vcc_lo, v1, s4
	s_cselect_b32 s8, s42, 0x80
	v_add_co_ci_u32_e32 v5, vcc_lo, s5, v3, vcc_lo
	s_ashr_i32 s9, s8, 31
	v_add_co_u32 v6, vcc_lo, v1, s6
	s_lshl_b64 s[8:9], s[8:9], 1
	s_cmpk_lt_i32 s22, 0x400
	v_add_co_ci_u32_e32 v7, vcc_lo, s7, v3, vcc_lo
	s_cselect_b32 s10, s42, 0xc0
	v_add_co_u32 v8, vcc_lo, v1, s8
	s_ashr_i32 s11, s10, 31
	v_add_co_ci_u32_e32 v9, vcc_lo, s9, v3, vcc_lo
	s_lshl_b64 s[10:11], s[10:11], 1
	s_cmpk_lt_i32 s22, 0x500
	v_add_co_u32 v11, vcc_lo, v1, s10
	s_cselect_b32 s18, s42, 0x100
	v_add_co_ci_u32_e32 v12, vcc_lo, s11, v3, vcc_lo
	s_ashr_i32 s19, s18, 31
	v_mov_b32_e32 v35, 0
	s_lshl_b64 s[18:19], s[18:19], 1
	s_cmpk_lt_i32 s22, 0x600
	v_add_co_u32 v14, vcc_lo, v1, s18
	s_cselect_b32 s20, s42, 0x140
	v_add_co_ci_u32_e32 v15, vcc_lo, s19, v3, vcc_lo
	s_ashr_i32 s21, s20, 31
	v_mov_b32_e32 v30, 0
	s_lshl_b64 s[20:21], s[20:21], 1
	s_cmpk_lt_i32 s22, 0x700
	v_add_co_u32 v16, vcc_lo, v1, s20
	s_cselect_b32 s24, s42, 0x180
	v_add_co_ci_u32_e32 v17, vcc_lo, s21, v3, vcc_lo
	s_ashr_i32 s25, s24, 31
	s_delay_alu instid0(SALU_CYCLE_1)
	s_lshl_b64 s[24:25], s[24:25], 1
	s_cmpk_lt_i32 s22, 0x800
	v_add_co_u32 v18, vcc_lo, v1, s24
	s_cselect_b32 s26, s42, 0x1c0
	v_add_co_ci_u32_e32 v19, vcc_lo, s25, v3, vcc_lo
	s_ashr_i32 s27, s26, 31
	s_delay_alu instid0(SALU_CYCLE_1)
	s_lshl_b64 s[26:27], s[26:27], 1
	s_cmpk_lt_i32 s22, 0x900
	v_add_co_u32 v20, vcc_lo, v1, s26
	s_cselect_b32 s28, s42, 0x200
	v_add_co_ci_u32_e32 v21, vcc_lo, s27, v3, vcc_lo
	s_ashr_i32 s29, s28, 31
	s_clause 0x7
	global_load_u16 v13, v[4:5], off
	global_load_u16 v4, v[6:7], off
	;; [unrolled: 1-line block ×8, first 2 shown]
	s_lshl_b64 s[28:29], s[28:29], 1
	s_cmpk_lt_i32 s22, 0xa00
	v_add_co_u32 v11, vcc_lo, v1, s28
	s_cselect_b32 s30, s42, 0x240
	v_add_co_ci_u32_e32 v12, vcc_lo, s29, v3, vcc_lo
	s_ashr_i32 s31, s30, 31
	s_delay_alu instid0(SALU_CYCLE_1)
	s_lshl_b64 s[30:31], s[30:31], 1
	s_cmpk_lt_i32 s22, 0xb00
	v_add_co_u32 v14, vcc_lo, v1, s30
	s_cselect_b32 s34, s42, 0x280
	v_add_co_ci_u32_e32 v15, vcc_lo, s31, v3, vcc_lo
	s_ashr_i32 s35, s34, 31
	s_delay_alu instid0(SALU_CYCLE_1)
	;; [unrolled: 7-line block ×7, first 2 shown]
	s_lshl_b64 s[4:5], s[6:7], 1
	s_cmpk_gt_i32 s23, 0x1000
	v_add_co_u32 v28, vcc_lo, v1, s4
	v_add_co_ci_u32_e32 v29, vcc_lo, s5, v3, vcc_lo
	s_clause 0x7
	global_load_u16 v19, v[11:12], off
	global_load_u16 v18, v[14:15], off
	;; [unrolled: 1-line block ×8, first 2 shown]
	v_dual_mov_b32 v20, 0 :: v_dual_mov_b32 v21, 0
	v_dual_mov_b32 v22, 0 :: v_dual_mov_b32 v23, 0
	;; [unrolled: 1-line block ×5, first 2 shown]
	s_cselect_b32 s6, -1, 0
	s_cmpk_lt_i32 s23, 0x1001
	s_waitcnt vmcnt(0)
	s_barrier
	buffer_gl0_inv
	s_cbranch_scc1 .LBB416_11
; %bb.10:
	s_cmpk_lt_i32 s22, 0x1100
	s_cselect_b32 s4, s42, 0x400
	s_delay_alu instid0(SALU_CYCLE_1) | instskip(NEXT) | instid1(SALU_CYCLE_1)
	s_ashr_i32 s5, s4, 31
	s_lshl_b64 s[4:5], s[4:5], 1
	s_cmpk_lt_i32 s22, 0x1200
	v_add_co_u32 v20, vcc_lo, v1, s4
	s_cselect_b32 s8, s42, 0x440
	v_add_co_ci_u32_e32 v21, vcc_lo, s5, v3, vcc_lo
	s_ashr_i32 s9, s8, 31
	s_delay_alu instid0(SALU_CYCLE_1)
	s_lshl_b64 s[8:9], s[8:9], 1
	s_cmpk_lt_i32 s22, 0x1300
	v_add_co_u32 v22, vcc_lo, v1, s8
	s_cselect_b32 s10, s42, 0x480
	v_add_co_ci_u32_e32 v23, vcc_lo, s9, v3, vcc_lo
	s_ashr_i32 s11, s10, 31
	s_delay_alu instid0(SALU_CYCLE_1)
	;; [unrolled: 7-line block ×14, first 2 shown]
	s_lshl_b64 s[4:5], s[18:19], 1
	s_cmpk_lt_i32 s22, 0x2000
	v_add_co_u32 v48, vcc_lo, v1, s4
	s_cselect_b32 s8, s42, 0x7c0
	v_add_co_ci_u32_e32 v49, vcc_lo, s5, v3, vcc_lo
	s_ashr_i32 s9, s8, 31
	s_delay_alu instid0(SALU_CYCLE_1) | instskip(NEXT) | instid1(SALU_CYCLE_1)
	s_lshl_b64 s[4:5], s[8:9], 1
	v_add_co_u32 v50, vcc_lo, v1, s4
	v_add_co_ci_u32_e32 v51, vcc_lo, s5, v3, vcc_lo
	s_clause 0xf
	global_load_u16 v20, v[20:21], off
	global_load_u16 v21, v[22:23], off
	;; [unrolled: 1-line block ×16, first 2 shown]
	s_waitcnt vmcnt(15)
	v_lshlrev_b32_e32 v35, 16, v20
	s_waitcnt vmcnt(14)
	v_lshlrev_b32_e32 v34, 16, v21
	;; [unrolled: 2-line block ×16, first 2 shown]
.LBB416_11:
	ds_load_b128 v[36:39], v2
	ds_load_b128 v[40:43], v2 offset:16
	v_lshlrev_b32_e32 v44, 16, v4
	v_lshlrev_b32_e32 v13, 16, v13
	;; [unrolled: 1-line block ×5, first 2 shown]
	s_load_b64 s[0:1], s[0:1], 0x0
	s_and_b32 vcc_lo, exec_lo, s6
	v_lshlrev_b32_e32 v5, 16, v5
	s_waitcnt lgkmcnt(0)
	v_fma_f32 v4, v36, v13, 0
	s_delay_alu instid0(VALU_DEP_1) | instskip(NEXT) | instid1(VALU_DEP_1)
	v_dual_fmac_f32 v4, v37, v44 :: v_dual_lshlrev_b32 v13, 16, v7
	v_dual_fmac_f32 v4, v38, v10 :: v_dual_lshlrev_b32 v9, 16, v9
	s_delay_alu instid0(VALU_DEP_1) | instskip(SKIP_4) | instid1(VALU_DEP_1)
	v_fmac_f32_e32 v4, v39, v9
	ds_load_b128 v[36:39], v2 offset:48
	v_fmac_f32_e32 v4, v40, v8
	ds_load_b128 v[7:10], v2 offset:32
	v_fmac_f32_e32 v4, v41, v13
	v_fmac_f32_e32 v4, v42, v6
	v_lshlrev_b32_e32 v6, 16, v19
	s_delay_alu instid0(VALU_DEP_2) | instskip(SKIP_1) | instid1(VALU_DEP_1)
	v_dual_fmac_f32 v4, v43, v5 :: v_dual_lshlrev_b32 v5, 16, v18
	s_waitcnt lgkmcnt(0)
	v_fmac_f32_e32 v4, v7, v6
	v_lshlrev_b32_e32 v6, 16, v17
	s_delay_alu instid0(VALU_DEP_2) | instskip(NEXT) | instid1(VALU_DEP_1)
	v_dual_fmac_f32 v4, v8, v5 :: v_dual_lshlrev_b32 v5, 16, v16
	v_fmac_f32_e32 v4, v9, v6
	v_lshlrev_b32_e32 v6, 16, v15
	s_delay_alu instid0(VALU_DEP_2) | instskip(NEXT) | instid1(VALU_DEP_1)
	v_dual_fmac_f32 v4, v10, v5 :: v_dual_lshlrev_b32 v5, 16, v14
	;; [unrolled: 4-line block ×3, first 2 shown]
	v_fmac_f32_e32 v4, v38, v6
	s_delay_alu instid0(VALU_DEP_1)
	v_fmac_f32_e32 v4, v39, v5
	s_cbranch_vccz .LBB416_13
; %bb.12:
	ds_load_b128 v[5:8], v2 offset:64
	ds_load_b128 v[9:12], v2 offset:80
	s_waitcnt lgkmcnt(1)
	v_fmac_f32_e32 v4, v5, v35
	s_delay_alu instid0(VALU_DEP_1) | instskip(NEXT) | instid1(VALU_DEP_1)
	v_fmac_f32_e32 v4, v6, v34
	v_fmac_f32_e32 v4, v7, v33
	s_delay_alu instid0(VALU_DEP_1) | instskip(SKIP_3) | instid1(VALU_DEP_1)
	v_fmac_f32_e32 v4, v8, v32
	ds_load_b128 v[5:8], v2 offset:96
	s_waitcnt lgkmcnt(1)
	v_fmac_f32_e32 v4, v9, v31
	v_fmac_f32_e32 v4, v10, v30
	s_delay_alu instid0(VALU_DEP_1) | instskip(NEXT) | instid1(VALU_DEP_1)
	v_fmac_f32_e32 v4, v11, v29
	v_fmac_f32_e32 v4, v12, v28
	ds_load_b128 v[9:12], v2 offset:112
	s_waitcnt lgkmcnt(1)
	v_fmac_f32_e32 v4, v5, v27
	s_delay_alu instid0(VALU_DEP_1) | instskip(NEXT) | instid1(VALU_DEP_1)
	v_fmac_f32_e32 v4, v6, v26
	v_fmac_f32_e32 v4, v7, v25
	s_delay_alu instid0(VALU_DEP_1) | instskip(SKIP_1) | instid1(VALU_DEP_1)
	v_fmac_f32_e32 v4, v8, v24
	s_waitcnt lgkmcnt(0)
	v_fmac_f32_e32 v4, v9, v23
	s_delay_alu instid0(VALU_DEP_1) | instskip(NEXT) | instid1(VALU_DEP_1)
	v_fmac_f32_e32 v4, v10, v22
	v_fmac_f32_e32 v4, v11, v21
	s_delay_alu instid0(VALU_DEP_1)
	v_fmac_f32_e32 v4, v12, v20
.LBB416_13:
	s_movk_i32 s43, 0xfc0
	s_movk_i32 s44, 0x80
	s_mov_b32 s45, 32
	s_branch .LBB416_15
.LBB416_14:                             ;   in Loop: Header=BB416_15 Depth=1
	s_addk_i32 s43, 0x800
	s_addk_i32 s44, 0x80
	s_add_i32 s45, s45, 32
	s_cmpk_eq_i32 s43, 0x5fc0
	s_cbranch_scc1 .LBB416_17
.LBB416_15:                             ; =>This Inner Loop Header: Depth=1
	s_cmp_le_i32 s40, s45
	s_cbranch_scc1 .LBB416_14
; %bb.16:                               ;   in Loop: Header=BB416_15 Depth=1
	s_add_i32 s4, s43, 0xfffff840
	v_mov_b32_e32 v44, s44
	s_cmp_lt_i32 s4, s41
	s_cselect_b32 s4, s4, s42
	s_add_i32 s6, s43, 0xfffff880
	s_ashr_i32 s5, s4, 31
	s_delay_alu instid0(SALU_CYCLE_1)
	s_lshl_b64 s[38:39], s[4:5], 1
	s_cmp_lt_i32 s6, s41
	v_add_co_u32 v5, vcc_lo, v1, s38
	s_cselect_b32 s4, s6, s42
	s_add_i32 s6, s43, 0xfffff8c0
	s_ashr_i32 s5, s4, 31
	v_add_co_ci_u32_e32 v6, vcc_lo, s39, v3, vcc_lo
	s_lshl_b64 s[4:5], s[4:5], 1
	s_cmp_lt_i32 s6, s41
	s_cselect_b32 s6, s6, s42
	s_add_i32 s8, s43, 0xfffff900
	s_ashr_i32 s7, s6, 31
	global_load_u16 v2, v[5:6], off
	s_lshl_b64 s[6:7], s[6:7], 1
	s_cmp_lt_i32 s8, s41
	v_add_co_u32 v5, vcc_lo, v1, s4
	s_cselect_b32 s8, s8, s42
	s_add_i32 s10, s43, 0xfffff940
	s_ashr_i32 s9, s8, 31
	v_add_co_ci_u32_e32 v6, vcc_lo, s5, v3, vcc_lo
	s_lshl_b64 s[8:9], s[8:9], 1
	s_cmp_lt_i32 s10, s41
	v_add_co_u32 v7, vcc_lo, v1, s6
	s_cselect_b32 s10, s10, s42
	s_add_i32 s18, s43, 0xfffff980
	s_ashr_i32 s11, s10, 31
	v_add_co_ci_u32_e32 v8, vcc_lo, s7, v3, vcc_lo
	s_lshl_b64 s[10:11], s[10:11], 1
	s_cmp_lt_i32 s18, s41
	v_add_co_u32 v9, vcc_lo, v1, s8
	s_cselect_b32 s18, s18, s42
	s_add_i32 s20, s43, 0xfffff9c0
	s_ashr_i32 s19, s18, 31
	s_clause 0x1
	global_load_u16 v23, v[5:6], off
	global_load_u16 v24, v[7:8], off
	s_lshl_b64 s[18:19], s[18:19], 1
	s_cmp_lt_i32 s20, s41
	v_add_co_ci_u32_e32 v10, vcc_lo, s9, v3, vcc_lo
	s_cselect_b32 s20, s20, s42
	s_add_i32 s22, s43, 0xfffffa00
	s_ashr_i32 s21, s20, 31
	global_load_u16 v25, v[9:10], off
	s_lshl_b64 s[20:21], s[20:21], 1
	s_cmp_lt_i32 s22, s41
	v_add_co_u32 v11, vcc_lo, v1, s10
	s_cselect_b32 s22, s22, s42
	s_add_i32 s24, s43, 0xfffffa40
	s_ashr_i32 s23, s22, 31
	v_add_co_ci_u32_e32 v12, vcc_lo, s11, v3, vcc_lo
	s_lshl_b64 s[22:23], s[22:23], 1
	s_cmp_lt_i32 s24, s41
	v_add_co_u32 v13, vcc_lo, v1, s18
	global_load_u16 v26, v[11:12], off
	s_cselect_b32 s24, s24, s42
	s_add_i32 s26, s43, 0xfffffa80
	s_ashr_i32 s25, s24, 31
	v_add_co_ci_u32_e32 v14, vcc_lo, s19, v3, vcc_lo
	s_lshl_b64 s[24:25], s[24:25], 1
	s_cmp_lt_i32 s26, s41
	v_add_co_u32 v15, vcc_lo, v1, s20
	global_load_u16 v27, v[13:14], off
	s_cselect_b32 s26, s26, s42
	s_add_i32 s28, s43, 0xfffffac0
	s_ashr_i32 s27, s26, 31
	v_add_co_ci_u32_e32 v16, vcc_lo, s21, v3, vcc_lo
	s_lshl_b64 s[36:37], s[26:27], 1
	s_cmp_lt_i32 s28, s41
	v_add_co_u32 v17, vcc_lo, v1, s22
	s_cselect_b32 s26, s28, s42
	s_add_i32 s30, s43, 0xfffffb00
	s_ashr_i32 s27, s26, 31
	v_add_co_ci_u32_e32 v18, vcc_lo, s23, v3, vcc_lo
	s_lshl_b64 s[28:29], s[26:27], 1
	s_cmp_lt_i32 s30, s41
	v_add_co_u32 v19, vcc_lo, v1, s24
	global_load_u16 v17, v[17:18], off
	s_cselect_b32 s26, s30, s42
	s_add_i32 s30, s43, 0xfffffb40
	s_ashr_i32 s27, s26, 31
	v_add_co_ci_u32_e32 v20, vcc_lo, s25, v3, vcc_lo
	s_lshl_b64 s[26:27], s[26:27], 1
	s_cmp_lt_i32 s30, s41
	v_add_co_u32 v21, vcc_lo, v1, s36
	s_cselect_b32 s30, s30, s42
	s_add_i32 s46, s43, 0xfffffb80
	s_ashr_i32 s31, s30, 31
	v_add_co_ci_u32_e32 v22, vcc_lo, s37, v3, vcc_lo
	s_lshl_b64 s[34:35], s[30:31], 1
	s_cmp_lt_i32 s46, s41
	v_add_co_u32 v5, vcc_lo, v1, s28
	s_cselect_b32 s30, s46, s42
	s_add_i32 s46, s43, 0xfffffbc0
	s_ashr_i32 s31, s30, 31
	v_add_co_ci_u32_e32 v6, vcc_lo, s29, v3, vcc_lo
	s_lshl_b64 s[30:31], s[30:31], 1
	s_cmp_lt_i32 s46, s41
	v_add_co_u32 v7, vcc_lo, v1, s26
	s_cselect_b32 s46, s46, s42
	s_add_i32 s48, s43, 0xfffffc00
	s_ashr_i32 s47, s46, 31
	global_load_u16 v28, v[15:16], off
	s_lshl_b64 s[38:39], s[46:47], 1
	s_cmp_lt_i32 s48, s41
	v_add_co_ci_u32_e32 v8, vcc_lo, s27, v3, vcc_lo
	s_cselect_b32 s46, s48, s42
	v_add_co_u32 v9, vcc_lo, v1, s34
	s_ashr_i32 s47, s46, 31
	s_add_i32 s4, s43, 0xfffffc40
	s_lshl_b64 s[46:47], s[46:47], 1
	v_add_co_ci_u32_e32 v10, vcc_lo, s35, v3, vcc_lo
	s_cmp_lt_i32 s4, s41
	v_add_co_u32 v11, vcc_lo, v1, s30
	s_cselect_b32 s4, s4, s42
	v_add_co_ci_u32_e32 v12, vcc_lo, s31, v3, vcc_lo
	v_add_co_u32 v13, vcc_lo, v1, s38
	s_ashr_i32 s5, s4, 31
	s_add_i32 s6, s43, 0xfffffc80
	v_add_co_ci_u32_e32 v14, vcc_lo, s39, v3, vcc_lo
	global_load_u16 v18, v[19:20], off
	s_lshl_b64 s[8:9], s[4:5], 1
	s_cmp_lt_i32 s6, s41
	global_load_u16 v30, v[13:14], off
	s_cselect_b32 s4, s6, s42
	global_load_u16 v19, v[21:22], off
	s_ashr_i32 s5, s4, 31
	s_add_i32 s6, s43, 0xfffffcc0
	s_lshl_b64 s[10:11], s[4:5], 1
	s_cmp_lt_i32 s6, s41
	s_clause 0x3
	global_load_u16 v20, v[5:6], off
	global_load_u16 v21, v[7:8], off
	;; [unrolled: 1-line block ×4, first 2 shown]
	s_cselect_b32 s4, s6, s42
	s_add_i32 s6, s43, 0xfffffd00
	s_ashr_i32 s5, s4, 31
	v_add_co_u32 v15, vcc_lo, v1, s46
	s_lshl_b64 s[4:5], s[4:5], 1
	s_cmp_lt_i32 s6, s41
	v_add_co_ci_u32_e32 v16, vcc_lo, s47, v3, vcc_lo
	s_cselect_b32 s6, s6, s42
	s_add_i32 s18, s43, 0xfffffd40
	s_ashr_i32 s7, s6, 31
	v_add_co_u32 v5, vcc_lo, v1, s8
	s_lshl_b64 s[6:7], s[6:7], 1
	s_cmp_lt_i32 s18, s41
	v_add_co_ci_u32_e32 v6, vcc_lo, s9, v3, vcc_lo
	s_cselect_b32 s18, s18, s42
	v_add_co_u32 v7, vcc_lo, v1, s10
	s_ashr_i32 s19, s18, 31
	s_add_i32 s20, s43, 0xfffffd80
	s_lshl_b64 s[18:19], s[18:19], 1
	v_add_co_ci_u32_e32 v8, vcc_lo, s11, v3, vcc_lo
	s_cmp_lt_i32 s20, s41
	v_add_co_u32 v9, vcc_lo, v1, s4
	s_cselect_b32 s20, s20, s42
	v_add_co_ci_u32_e32 v10, vcc_lo, s5, v3, vcc_lo
	v_add_co_u32 v11, vcc_lo, v1, s6
	s_ashr_i32 s21, s20, 31
	s_add_i32 s22, s43, 0xfffffdc0
	v_add_co_ci_u32_e32 v12, vcc_lo, s7, v3, vcc_lo
	global_load_u16 v15, v[15:16], off
	s_lshl_b64 s[20:21], s[20:21], 1
	s_cmp_lt_i32 s22, s41
	global_load_u16 v33, v[11:12], off
	s_cselect_b32 s22, s22, s42
	s_clause 0x2
	global_load_u16 v16, v[5:6], off
	global_load_u16 v31, v[7:8], off
	;; [unrolled: 1-line block ×3, first 2 shown]
	s_ashr_i32 s23, s22, 31
	s_add_i32 s24, s43, 0xfffffe00
	s_lshl_b64 s[22:23], s[22:23], 1
	s_cmp_lt_i32 s24, s41
	v_add_co_u32 v13, vcc_lo, v1, s18
	s_cselect_b32 s24, s24, s42
	s_add_i32 s26, s43, 0xfffffe40
	s_ashr_i32 s25, s24, 31
	v_add_co_ci_u32_e32 v14, vcc_lo, s19, v3, vcc_lo
	s_lshl_b64 s[24:25], s[24:25], 1
	s_cmp_lt_i32 s26, s41
	v_add_co_u32 v5, vcc_lo, v1, s20
	s_cselect_b32 s8, s26, s42
	v_add_co_ci_u32_e32 v6, vcc_lo, s21, v3, vcc_lo
	s_ashr_i32 s9, s8, 31
	v_add_co_u32 v7, vcc_lo, v1, s22
	s_add_i32 s10, s43, 0xfffffe80
	s_lshl_b64 s[8:9], s[8:9], 1
	v_add_co_ci_u32_e32 v8, vcc_lo, s23, v3, vcc_lo
	s_cmp_lt_i32 s10, s41
	v_add_co_u32 v9, vcc_lo, v1, s24
	s_cselect_b32 s4, s10, s42
	global_load_u16 v13, v[13:14], off
	v_add_co_ci_u32_e32 v10, vcc_lo, s25, v3, vcc_lo
	s_ashr_i32 s5, s4, 31
	s_add_i32 s6, s43, 0xfffffec0
	s_lshl_b64 s[4:5], s[4:5], 1
	global_load_u16 v35, v[9:10], off
	s_cmp_lt_i32 s6, s41
	s_clause 0x1
	global_load_u16 v14, v[5:6], off
	global_load_u16 v34, v[7:8], off
	s_cselect_b32 s6, s6, s42
	s_add_i32 s10, s43, 0xffffff00
	s_ashr_i32 s7, s6, 31
	v_add_co_u32 v5, vcc_lo, v1, s8
	s_lshl_b64 s[6:7], s[6:7], 1
	s_cmp_lt_i32 s10, s41
	v_add_co_ci_u32_e32 v6, vcc_lo, s9, v3, vcc_lo
	s_cselect_b32 s10, s10, s42
	v_add_co_u32 v7, vcc_lo, v1, s4
	s_ashr_i32 s11, s10, 31
	v_add_co_ci_u32_e32 v8, vcc_lo, s5, v3, vcc_lo
	s_add_i32 s18, s43, 0xffffff40
	s_lshl_b64 s[10:11], s[10:11], 1
	s_cmp_lt_i32 s18, s41
	s_clause 0x1
	global_load_u16 v36, v[5:6], off
	global_load_u16 v37, v[7:8], off
	s_cselect_b32 s18, s18, s42
	v_add_co_u32 v5, vcc_lo, v1, s6
	s_ashr_i32 s19, s18, 31
	v_add_co_ci_u32_e32 v6, vcc_lo, s7, v3, vcc_lo
	s_add_i32 s20, s43, 0xffffff80
	v_add_co_u32 v7, vcc_lo, v1, s10
	s_lshl_b64 s[8:9], s[18:19], 1
	s_cmp_lt_i32 s20, s41
	v_add_co_ci_u32_e32 v8, vcc_lo, s11, v3, vcc_lo
	s_cselect_b32 s4, s20, s42
	global_load_u16 v38, v[5:6], off
	s_ashr_i32 s5, s4, 31
	global_load_u16 v39, v[7:8], off
	s_sub_i32 s18, s43, 64
	v_add_co_u32 v5, vcc_lo, v1, s8
	s_lshl_b64 s[4:5], s[4:5], 1
	s_cmp_lt_i32 s18, s41
	v_add_co_ci_u32_e32 v6, vcc_lo, s9, v3, vcc_lo
	v_add_co_u32 v7, vcc_lo, v1, s4
	s_cselect_b32 s6, s18, s42
	v_add_co_ci_u32_e32 v8, vcc_lo, s5, v3, vcc_lo
	s_ashr_i32 s7, s6, 31
	global_load_u16 v40, v[5:6], off
	s_lshl_b64 s[6:7], s[6:7], 1
	global_load_u16 v41, v[7:8], off
	s_cmp_lt_i32 s43, s41
	v_add_co_u32 v5, vcc_lo, v1, s6
	s_cselect_b32 s4, s43, s42
	v_add_co_ci_u32_e32 v6, vcc_lo, s7, v3, vcc_lo
	s_ashr_i32 s5, s4, 31
	s_delay_alu instid0(SALU_CYCLE_1)
	s_lshl_b64 s[4:5], s[4:5], 1
	global_load_u16 v42, v[5:6], off
	v_add_co_u32 v5, vcc_lo, v1, s4
	v_add_co_ci_u32_e32 v6, vcc_lo, s5, v3, vcc_lo
	global_load_u16 v43, v[5:6], off
	ds_load_b128 v[5:8], v44
	ds_load_b128 v[9:12], v44 offset:16
	s_waitcnt vmcnt(31)
	v_lshlrev_b32_e32 v2, 16, v2
	s_waitcnt lgkmcnt(1)
	s_delay_alu instid0(VALU_DEP_1) | instskip(SKIP_2) | instid1(VALU_DEP_1)
	v_fmac_f32_e32 v4, v5, v2
	s_waitcnt vmcnt(30)
	v_lshlrev_b32_e32 v2, 16, v23
	v_fmac_f32_e32 v4, v6, v2
	s_waitcnt vmcnt(29)
	v_lshlrev_b32_e32 v2, 16, v24
	s_delay_alu instid0(VALU_DEP_1) | instskip(SKIP_2) | instid1(VALU_DEP_1)
	v_fmac_f32_e32 v4, v7, v2
	s_waitcnt vmcnt(28)
	v_lshlrev_b32_e32 v2, 16, v25
	v_fmac_f32_e32 v4, v8, v2
	ds_load_b128 v[5:8], v44 offset:32
	s_waitcnt vmcnt(27)
	v_lshlrev_b32_e32 v2, 16, v26
	s_waitcnt lgkmcnt(1)
	s_delay_alu instid0(VALU_DEP_1) | instskip(SKIP_2) | instid1(VALU_DEP_1)
	v_fmac_f32_e32 v4, v9, v2
	s_waitcnt vmcnt(26)
	v_lshlrev_b32_e32 v2, 16, v27
	v_fmac_f32_e32 v4, v10, v2
	s_waitcnt vmcnt(24)
	v_lshlrev_b32_e32 v2, 16, v28
	s_delay_alu instid0(VALU_DEP_1) | instskip(SKIP_1) | instid1(VALU_DEP_1)
	v_fmac_f32_e32 v4, v11, v2
	v_lshlrev_b32_e32 v2, 16, v17
	v_fmac_f32_e32 v4, v12, v2
	ds_load_b128 v[9:12], v44 offset:48
	s_waitcnt vmcnt(23)
	v_lshlrev_b32_e32 v2, 16, v18
	s_waitcnt lgkmcnt(1)
	s_delay_alu instid0(VALU_DEP_1) | instskip(SKIP_2) | instid1(VALU_DEP_1)
	v_fmac_f32_e32 v4, v5, v2
	s_waitcnt vmcnt(21)
	v_lshlrev_b32_e32 v2, 16, v19
	v_fmac_f32_e32 v4, v6, v2
	s_waitcnt vmcnt(20)
	v_lshlrev_b32_e32 v2, 16, v20
	s_delay_alu instid0(VALU_DEP_1) | instskip(SKIP_2) | instid1(VALU_DEP_1)
	v_fmac_f32_e32 v4, v7, v2
	s_waitcnt vmcnt(19)
	v_lshlrev_b32_e32 v2, 16, v21
	v_fmac_f32_e32 v4, v8, v2
	s_waitcnt vmcnt(18)
	v_lshlrev_b32_e32 v2, 16, v22
	ds_load_b128 v[5:8], v44 offset:64
	s_waitcnt lgkmcnt(1)
	v_fmac_f32_e32 v4, v9, v2
	s_waitcnt vmcnt(17)
	v_lshlrev_b32_e32 v2, 16, v29
	s_delay_alu instid0(VALU_DEP_1) | instskip(SKIP_1) | instid1(VALU_DEP_1)
	v_fmac_f32_e32 v4, v10, v2
	v_lshlrev_b32_e32 v2, 16, v30
	v_fmac_f32_e32 v4, v11, v2
	s_waitcnt vmcnt(16)
	v_lshlrev_b32_e32 v2, 16, v15
	s_delay_alu instid0(VALU_DEP_1) | instskip(SKIP_4) | instid1(VALU_DEP_1)
	v_fmac_f32_e32 v4, v12, v2
	ds_load_b128 v[9:12], v44 offset:80
	s_waitcnt vmcnt(14)
	v_lshlrev_b32_e32 v2, 16, v16
	s_waitcnt lgkmcnt(1)
	v_fmac_f32_e32 v4, v5, v2
	s_waitcnt vmcnt(13)
	v_lshlrev_b32_e32 v2, 16, v31
	s_delay_alu instid0(VALU_DEP_1) | instskip(SKIP_2) | instid1(VALU_DEP_1)
	v_fmac_f32_e32 v4, v6, v2
	s_waitcnt vmcnt(12)
	v_lshlrev_b32_e32 v2, 16, v32
	v_fmac_f32_e32 v4, v7, v2
	v_lshlrev_b32_e32 v2, 16, v33
	s_delay_alu instid0(VALU_DEP_1) | instskip(SKIP_4) | instid1(VALU_DEP_1)
	v_fmac_f32_e32 v4, v8, v2
	ds_load_b128 v[5:8], v44 offset:96
	s_waitcnt vmcnt(11)
	v_lshlrev_b32_e32 v2, 16, v13
	s_waitcnt lgkmcnt(1)
	v_fmac_f32_e32 v4, v9, v2
	s_waitcnt vmcnt(9)
	v_lshlrev_b32_e32 v2, 16, v14
	s_delay_alu instid0(VALU_DEP_1) | instskip(SKIP_2) | instid1(VALU_DEP_1)
	v_fmac_f32_e32 v4, v10, v2
	s_waitcnt vmcnt(8)
	v_lshlrev_b32_e32 v2, 16, v34
	v_fmac_f32_e32 v4, v11, v2
	;; [unrolled: 15-line block ×3, first 2 shown]
	s_waitcnt vmcnt(4)
	v_lshlrev_b32_e32 v2, 16, v39
	s_delay_alu instid0(VALU_DEP_1) | instskip(SKIP_3) | instid1(VALU_DEP_1)
	v_fmac_f32_e32 v4, v8, v2
	s_waitcnt vmcnt(3)
	v_lshlrev_b32_e32 v2, 16, v40
	s_waitcnt lgkmcnt(0)
	v_fmac_f32_e32 v4, v9, v2
	s_waitcnt vmcnt(2)
	v_lshlrev_b32_e32 v2, 16, v41
	s_delay_alu instid0(VALU_DEP_1) | instskip(SKIP_2) | instid1(VALU_DEP_1)
	v_fmac_f32_e32 v4, v10, v2
	s_waitcnt vmcnt(1)
	v_lshlrev_b32_e32 v2, 16, v42
	v_fmac_f32_e32 v4, v11, v2
	s_waitcnt vmcnt(0)
	v_lshlrev_b32_e32 v2, 16, v43
	s_delay_alu instid0(VALU_DEP_1)
	v_fmac_f32_e32 v4, v12, v2
	s_branch .LBB416_14
.LBB416_17:
	v_mov_b32_e32 v1, 0
	s_and_b32 vcc_lo, exec_lo, s15
	ds_load_b32 v1, v1 offset:1408
	s_cbranch_vccz .LBB416_19
; %bb.18:
	s_add_u32 s2, s12, s16
	s_addc_u32 s3, s13, s17
	s_load_b32 s2, s[2:3], 0x0
	s_mov_b32 s3, 0
.LBB416_19:
	s_waitcnt lgkmcnt(0)
	v_add_f32_e32 v1, 0x358637bd, v1
	s_delay_alu instid0(VALU_DEP_1) | instskip(NEXT) | instid1(VALU_DEP_1)
	v_div_scale_f32 v2, null, v1, v1, 1.0
	v_rcp_f32_e32 v3, v2
	s_waitcnt_depctr 0xfff
	v_fma_f32 v5, -v2, v3, 1.0
	s_delay_alu instid0(VALU_DEP_1) | instskip(SKIP_1) | instid1(VALU_DEP_1)
	v_fmac_f32_e32 v3, v5, v3
	v_div_scale_f32 v5, vcc_lo, 1.0, v1, 1.0
	v_mul_f32_e32 v6, v5, v3
	s_delay_alu instid0(VALU_DEP_1) | instskip(NEXT) | instid1(VALU_DEP_1)
	v_fma_f32 v7, -v2, v6, v5
	v_fmac_f32_e32 v6, v7, v3
	s_delay_alu instid0(VALU_DEP_1) | instskip(NEXT) | instid1(VALU_DEP_1)
	v_fma_f32 v2, -v2, v6, v5
	v_div_fmas_f32 v2, v2, v3, v6
	s_delay_alu instid0(VALU_DEP_1) | instskip(NEXT) | instid1(VALU_DEP_1)
	v_div_fixup_f32 v1, v2, v1, 1.0
	v_mul_f32_e32 v2, v4, v1
	s_delay_alu instid0(VALU_DEP_1) | instskip(NEXT) | instid1(VALU_DEP_1)
	v_and_b32_e32 v1, 0x7f800000, v2
	v_cmp_ne_u32_e32 vcc_lo, 0x7f800000, v1
                                        ; implicit-def: $vgpr1
	s_and_saveexec_b32 s4, vcc_lo
	s_delay_alu instid0(SALU_CYCLE_1)
	s_xor_b32 s4, exec_lo, s4
; %bb.20:
	v_bfe_u32 v1, v2, 16, 1
	s_delay_alu instid0(VALU_DEP_1)
	v_add3_u32 v1, v2, v1, 0x7fff
                                        ; implicit-def: $vgpr2
; %bb.21:
	s_and_not1_saveexec_b32 s4, s4
; %bb.22:
	v_and_b32_e32 v1, 0xffff, v2
	v_or_b32_e32 v3, 0x10000, v2
	s_delay_alu instid0(VALU_DEP_2) | instskip(NEXT) | instid1(VALU_DEP_2)
	v_cmp_eq_u32_e32 vcc_lo, 0, v1
	v_cndmask_b32_e32 v1, v3, v2, vcc_lo
; %bb.23:
	s_or_b32 exec_lo, exec_lo, s4
	s_mul_i32 s3, s33, s3
	s_mul_hi_u32 s4, s33, s2
	s_mul_i32 s2, s33, s2
	s_add_i32 s3, s4, s3
	s_mov_b32 s15, 0
	s_lshl_b64 s[2:3], s[2:3], 6
	v_and_b32_e32 v1, 0xffff0000, v1
	s_add_u32 s2, s0, s2
	s_addc_u32 s3, s1, s3
	s_lshl_b64 s[0:1], s[14:15], 6
	s_delay_alu instid0(SALU_CYCLE_1)
	s_add_u32 s0, s2, s0
	s_addc_u32 s1, s3, s1
	v_add_co_u32 v0, s0, s0, v0
	v_cvt_i32_f32_e32 v2, v1
	v_add_co_ci_u32_e64 v1, null, s1, 0, s0
	global_store_b8 v[0:1], v2, off
	s_nop 0
	s_sendmsg sendmsg(MSG_DEALLOC_VGPRS)
	s_endpgm
.LBB416_24:
	s_mov_b32 s4, 0
	s_branch .LBB416_2
	.section	.rodata,"a",@progbits
	.p2align	6, 0x0
	.amdhsa_kernel _Z35paged_attention_ll4mi_reduce_kernelI14__hip_bfloat16hLi64ELi64ELi256ELi11EEvPT0_PKfS4_PKT_PKiS9_iS4_
		.amdhsa_group_segment_fixed_size 1412
		.amdhsa_private_segment_fixed_size 0
		.amdhsa_kernarg_size 320
		.amdhsa_user_sgpr_count 14
		.amdhsa_user_sgpr_dispatch_ptr 0
		.amdhsa_user_sgpr_queue_ptr 0
		.amdhsa_user_sgpr_kernarg_segment_ptr 1
		.amdhsa_user_sgpr_dispatch_id 0
		.amdhsa_user_sgpr_private_segment_size 0
		.amdhsa_wavefront_size32 1
		.amdhsa_uses_dynamic_stack 0
		.amdhsa_enable_private_segment 0
		.amdhsa_system_sgpr_workgroup_id_x 1
		.amdhsa_system_sgpr_workgroup_id_y 1
		.amdhsa_system_sgpr_workgroup_id_z 0
		.amdhsa_system_sgpr_workgroup_info 0
		.amdhsa_system_vgpr_workitem_id 0
		.amdhsa_next_free_vgpr 62
		.amdhsa_next_free_sgpr 49
		.amdhsa_reserve_vcc 1
		.amdhsa_float_round_mode_32 0
		.amdhsa_float_round_mode_16_64 0
		.amdhsa_float_denorm_mode_32 3
		.amdhsa_float_denorm_mode_16_64 3
		.amdhsa_dx10_clamp 1
		.amdhsa_ieee_mode 1
		.amdhsa_fp16_overflow 0
		.amdhsa_workgroup_processor_mode 1
		.amdhsa_memory_ordered 1
		.amdhsa_forward_progress 0
		.amdhsa_shared_vgpr_count 0
		.amdhsa_exception_fp_ieee_invalid_op 0
		.amdhsa_exception_fp_denorm_src 0
		.amdhsa_exception_fp_ieee_div_zero 0
		.amdhsa_exception_fp_ieee_overflow 0
		.amdhsa_exception_fp_ieee_underflow 0
		.amdhsa_exception_fp_ieee_inexact 0
		.amdhsa_exception_int_div_zero 0
	.end_amdhsa_kernel
	.section	.text._Z35paged_attention_ll4mi_reduce_kernelI14__hip_bfloat16hLi64ELi64ELi256ELi11EEvPT0_PKfS4_PKT_PKiS9_iS4_,"axG",@progbits,_Z35paged_attention_ll4mi_reduce_kernelI14__hip_bfloat16hLi64ELi64ELi256ELi11EEvPT0_PKfS4_PKT_PKiS9_iS4_,comdat
.Lfunc_end416:
	.size	_Z35paged_attention_ll4mi_reduce_kernelI14__hip_bfloat16hLi64ELi64ELi256ELi11EEvPT0_PKfS4_PKT_PKiS9_iS4_, .Lfunc_end416-_Z35paged_attention_ll4mi_reduce_kernelI14__hip_bfloat16hLi64ELi64ELi256ELi11EEvPT0_PKfS4_PKT_PKiS9_iS4_
                                        ; -- End function
	.section	.AMDGPU.csdata,"",@progbits
; Kernel info:
; codeLenInByte = 7232
; NumSgprs: 51
; NumVgprs: 62
; ScratchSize: 0
; MemoryBound: 0
; FloatMode: 240
; IeeeMode: 1
; LDSByteSize: 1412 bytes/workgroup (compile time only)
; SGPRBlocks: 6
; VGPRBlocks: 7
; NumSGPRsForWavesPerEU: 51
; NumVGPRsForWavesPerEU: 62
; Occupancy: 16
; WaveLimiterHint : 0
; COMPUTE_PGM_RSRC2:SCRATCH_EN: 0
; COMPUTE_PGM_RSRC2:USER_SGPR: 14
; COMPUTE_PGM_RSRC2:TRAP_HANDLER: 0
; COMPUTE_PGM_RSRC2:TGID_X_EN: 1
; COMPUTE_PGM_RSRC2:TGID_Y_EN: 1
; COMPUTE_PGM_RSRC2:TGID_Z_EN: 0
; COMPUTE_PGM_RSRC2:TIDIG_COMP_CNT: 0
	.section	.text._Z35paged_attention_ll4mi_reduce_kernelI14__hip_bfloat16hLi64ELi64ELi256ELi12EEvPT0_PKfS4_PKT_PKiS9_iS4_,"axG",@progbits,_Z35paged_attention_ll4mi_reduce_kernelI14__hip_bfloat16hLi64ELi64ELi256ELi12EEvPT0_PKfS4_PKT_PKiS9_iS4_,comdat
	.protected	_Z35paged_attention_ll4mi_reduce_kernelI14__hip_bfloat16hLi64ELi64ELi256ELi12EEvPT0_PKfS4_PKT_PKiS9_iS4_ ; -- Begin function _Z35paged_attention_ll4mi_reduce_kernelI14__hip_bfloat16hLi64ELi64ELi256ELi12EEvPT0_PKfS4_PKT_PKiS9_iS4_
	.globl	_Z35paged_attention_ll4mi_reduce_kernelI14__hip_bfloat16hLi64ELi64ELi256ELi12EEvPT0_PKfS4_PKT_PKiS9_iS4_
	.p2align	8
	.type	_Z35paged_attention_ll4mi_reduce_kernelI14__hip_bfloat16hLi64ELi64ELi256ELi12EEvPT0_PKfS4_PKT_PKiS9_iS4_,@function
_Z35paged_attention_ll4mi_reduce_kernelI14__hip_bfloat16hLi64ELi64ELi256ELi12EEvPT0_PKfS4_PKT_PKiS9_iS4_: ; @_Z35paged_attention_ll4mi_reduce_kernelI14__hip_bfloat16hLi64ELi64ELi256ELi12EEvPT0_PKfS4_PKT_PKiS9_iS4_
; %bb.0:
	s_load_b64 s[12:13], s[0:1], 0x28
	s_mov_b32 s2, s15
	s_waitcnt lgkmcnt(0)
	s_cmp_lg_u64 s[12:13], 0
	s_cselect_b32 s15, -1, 0
	s_delay_alu instid0(SALU_CYCLE_1)
	s_and_b32 vcc_lo, exec_lo, s15
	s_cbranch_vccz .LBB417_24
; %bb.1:
	s_add_i32 s4, s2, 1
	s_mov_b32 s5, 0
	s_delay_alu instid0(SALU_CYCLE_1) | instskip(SKIP_4) | instid1(SALU_CYCLE_1)
	s_lshl_b64 s[6:7], s[4:5], 2
	s_mov_b32 s3, s5
	s_add_u32 s6, s12, s6
	s_addc_u32 s7, s13, s7
	s_lshl_b64 s[8:9], s[2:3], 2
	s_add_u32 s8, s12, s8
	s_addc_u32 s9, s13, s9
	s_clause 0x1
	s_load_b32 s4, s[6:7], 0x0
	s_load_b32 s6, s[8:9], 0x0
	s_waitcnt lgkmcnt(0)
	s_sub_i32 s4, s4, s6
	s_delay_alu instid0(SALU_CYCLE_1)
	s_cmp_eq_u32 s4, 1
	s_cselect_b32 s4, -1, 0
	s_cbranch_execnz .LBB417_3
.LBB417_2:
	s_mov_b32 s3, 0
	s_mov_b32 s4, -1
.LBB417_3:
	s_delay_alu instid0(SALU_CYCLE_1)
	s_and_not1_b32 vcc_lo, exec_lo, s4
	s_cbranch_vccz .LBB417_5
; %bb.4:
	s_endpgm
.LBB417_5:
	s_clause 0x1
	s_load_b128 s[4:7], s[0:1], 0x18
	s_load_b32 s9, s[0:1], 0x30
	s_lshl_b64 s[16:17], s[2:3], 2
	s_waitcnt lgkmcnt(0)
	s_add_u32 s6, s6, s16
	s_addc_u32 s7, s7, s17
	s_load_b32 s23, s[6:7], 0x0
	s_load_b32 s33, s[0:1], 0x40
	s_mul_i32 s7, s2, s9
	s_waitcnt lgkmcnt(0)
	s_add_i32 s22, s23, 0xff
	s_delay_alu instid0(SALU_CYCLE_1) | instskip(NEXT) | instid1(SALU_CYCLE_1)
	s_ashr_i32 s6, s22, 31
	s_lshr_b32 s6, s6, 24
	s_delay_alu instid0(SALU_CYCLE_1) | instskip(SKIP_4) | instid1(SALU_CYCLE_1)
	s_add_i32 s8, s22, s6
	s_mul_i32 s6, s14, s9
	s_mov_b32 s9, exec_lo
	v_cmpx_lt_u32_e32 31, v0
	s_xor_b32 s9, exec_lo, s9
	s_or_saveexec_b32 s24, s9
	v_mov_b32_e32 v1, s6
	s_ashr_i32 s40, s8, 8
	s_mul_i32 s18, s7, s33
	s_xor_b32 exec_lo, exec_lo, s24
	s_cbranch_execz .LBB417_9
; %bb.6:
	v_or_b32_e32 v2, 32, v0
	v_cmp_gt_i32_e32 vcc_lo, s40, v0
	s_add_i32 s20, s40, -1
	v_or_b32_e32 v4, 64, v0
	v_or_b32_e32 v6, 0x60, v0
	s_load_b128 s[8:11], s[0:1], 0x8
	v_cndmask_b32_e32 v1, s20, v0, vcc_lo
	v_cmp_gt_i32_e32 vcc_lo, s40, v2
	s_mov_b32 s19, 0
	s_delay_alu instid0(SALU_CYCLE_1)
	s_mov_b32 s7, s19
	v_cndmask_b32_e32 v3, s20, v2, vcc_lo
	v_cmp_gt_i32_e32 vcc_lo, s40, v4
	v_or_b32_e32 v2, 0x80, v0
	v_cndmask_b32_e32 v5, s20, v4, vcc_lo
	v_cmp_gt_i32_e32 vcc_lo, s40, v6
	v_or_b32_e32 v4, 0xa0, v0
	v_cndmask_b32_e32 v7, s20, v6, vcc_lo
	v_cmp_gt_i32_e32 vcc_lo, s40, v2
	v_or_b32_e32 v6, 0xc0, v0
	s_delay_alu instid0(VALU_DEP_3) | instskip(SKIP_3) | instid1(VALU_DEP_3)
	v_ashrrev_i32_e32 v8, 31, v7
	v_cndmask_b32_e32 v9, s20, v2, vcc_lo
	v_cmp_gt_i32_e32 vcc_lo, s40, v4
	v_or_b32_e32 v2, 0xe0, v0
	v_ashrrev_i32_e32 v10, 31, v9
	v_cndmask_b32_e32 v11, s20, v4, vcc_lo
	v_cmp_gt_i32_e32 vcc_lo, s40, v6
	v_or_b32_e32 v4, 0x100, v0
	s_delay_alu instid0(VALU_DEP_3) | instskip(SKIP_3) | instid1(VALU_DEP_3)
	v_ashrrev_i32_e32 v12, 31, v11
	v_cndmask_b32_e32 v13, s20, v6, vcc_lo
	v_cmp_gt_i32_e32 vcc_lo, s40, v2
	v_or_b32_e32 v6, 0x140, v0
	v_ashrrev_i32_e32 v14, 31, v13
	v_cndmask_b32_e32 v15, s20, v2, vcc_lo
	v_or_b32_e32 v2, 0x120, v0
	v_cmp_gt_i32_e32 vcc_lo, s40, v4
	s_delay_alu instid0(VALU_DEP_3) | instskip(SKIP_1) | instid1(VALU_DEP_4)
	v_ashrrev_i32_e32 v16, 31, v15
	v_cndmask_b32_e32 v17, s20, v4, vcc_lo
	v_cmp_gt_i32_e32 vcc_lo, s40, v2
	v_or_b32_e32 v4, 0x160, v0
	s_delay_alu instid0(VALU_DEP_3) | instskip(SKIP_3) | instid1(VALU_DEP_3)
	v_ashrrev_i32_e32 v18, 31, v17
	v_cndmask_b32_e32 v19, s20, v2, vcc_lo
	v_cmp_gt_i32_e32 vcc_lo, s40, v6
	v_ashrrev_i32_e32 v2, 31, v1
	v_ashrrev_i32_e32 v20, 31, v19
	v_cndmask_b32_e32 v21, s20, v6, vcc_lo
	v_cmp_gt_i32_e32 vcc_lo, s40, v4
	s_delay_alu instid0(VALU_DEP_4) | instskip(SKIP_1) | instid1(VALU_DEP_4)
	v_lshlrev_b64 v[25:26], 2, v[1:2]
	v_ashrrev_i32_e32 v6, 31, v5
	v_ashrrev_i32_e32 v22, 31, v21
	v_cndmask_b32_e32 v23, s20, v4, vcc_lo
	v_ashrrev_i32_e32 v4, 31, v3
	s_lshl_b64 s[20:21], s[18:19], 2
	s_waitcnt lgkmcnt(0)
	s_add_u32 s19, s10, s20
	s_addc_u32 s25, s11, s21
	s_lshl_b64 s[10:11], s[6:7], 2
	v_lshlrev_b64 v[2:3], 2, v[3:4]
	s_add_u32 s7, s19, s10
	s_addc_u32 s19, s25, s11
	v_add_co_u32 v27, vcc_lo, s7, v25
	v_lshlrev_b64 v[4:5], 2, v[5:6]
	v_add_co_ci_u32_e32 v28, vcc_lo, s19, v26, vcc_lo
	v_add_co_u32 v29, vcc_lo, s7, v2
	v_lshlrev_b64 v[6:7], 2, v[7:8]
	v_add_co_ci_u32_e32 v30, vcc_lo, s19, v3, vcc_lo
	;; [unrolled: 3-line block ×4, first 2 shown]
	s_clause 0x3
	global_load_b32 v39, v[27:28], off
	global_load_b32 v40, v[29:30], off
	;; [unrolled: 1-line block ×4, first 2 shown]
	v_add_co_u32 v27, vcc_lo, s7, v8
	v_lshlrev_b64 v[12:13], 2, v[13:14]
	v_add_co_ci_u32_e32 v28, vcc_lo, s19, v9, vcc_lo
	v_add_co_u32 v29, vcc_lo, s7, v10
	v_lshlrev_b64 v[14:15], 2, v[15:16]
	v_add_co_ci_u32_e32 v30, vcc_lo, s19, v11, vcc_lo
	;; [unrolled: 3-line block ×4, first 2 shown]
	v_ashrrev_i32_e32 v24, 31, v23
	v_add_co_u32 v35, vcc_lo, s7, v16
	v_lshlrev_b64 v[20:21], 2, v[21:22]
	v_add_co_ci_u32_e32 v36, vcc_lo, s19, v17, vcc_lo
	v_add_co_u32 v37, vcc_lo, s7, v18
	v_lshlrev_b64 v[22:23], 2, v[23:24]
	v_add_co_ci_u32_e32 v38, vcc_lo, s19, v19, vcc_lo
	s_clause 0x5
	global_load_b32 v43, v[27:28], off
	global_load_b32 v44, v[29:30], off
	;; [unrolled: 1-line block ×6, first 2 shown]
	v_add_co_u32 v27, vcc_lo, s7, v20
	v_add_co_ci_u32_e32 v28, vcc_lo, s19, v21, vcc_lo
	v_add_co_u32 v29, vcc_lo, s7, v22
	v_add_co_ci_u32_e32 v30, vcc_lo, s19, v23, vcc_lo
	s_clause 0x1
	global_load_b32 v27, v[27:28], off
	global_load_b32 v28, v[29:30], off
	v_mbcnt_lo_u32_b32 v29, -1, 0
	s_add_u32 s7, s8, s20
	s_addc_u32 s8, s9, s21
	s_add_u32 s7, s7, s10
	s_addc_u32 s8, s8, s11
	v_xor_b32_e32 v1, 16, v29
	v_xor_b32_e32 v24, 8, v29
	s_delay_alu instid0(VALU_DEP_2) | instskip(SKIP_1) | instid1(VALU_DEP_3)
	v_cmp_gt_i32_e32 vcc_lo, 32, v1
	v_cndmask_b32_e32 v1, v29, v1, vcc_lo
	v_cmp_gt_i32_e32 vcc_lo, 32, v24
	s_delay_alu instid0(VALU_DEP_2) | instskip(SKIP_2) | instid1(VALU_DEP_1)
	v_dual_cndmask_b32 v30, v29, v24 :: v_dual_lshlrev_b32 v1, 2, v1
	s_waitcnt vmcnt(10)
	v_dual_max_f32 v35, v39, v39 :: v_dual_max_f32 v24, v40, v40
	v_max_f32_e32 v35, v35, v24
	v_add_co_u32 v24, vcc_lo, s7, v25
	v_add_co_ci_u32_e32 v25, vcc_lo, s8, v26, vcc_lo
	s_waitcnt vmcnt(8)
	s_delay_alu instid0(VALU_DEP_3)
	v_max3_f32 v26, v35, v41, v42
	v_add_co_u32 v2, vcc_lo, s7, v2
	v_add_co_ci_u32_e32 v3, vcc_lo, s8, v3, vcc_lo
	v_add_co_u32 v4, vcc_lo, s7, v4
	v_add_co_ci_u32_e32 v5, vcc_lo, s8, v5, vcc_lo
	;; [unrolled: 2-line block ×3, first 2 shown]
	s_clause 0x1
	global_load_b32 v24, v[24:25], off
	global_load_b32 v25, v[2:3], off
	v_add_co_u32 v2, vcc_lo, s7, v8
	v_add_co_ci_u32_e32 v3, vcc_lo, s8, v9, vcc_lo
	global_load_b32 v35, v[4:5], off
	v_add_co_u32 v4, vcc_lo, s7, v10
	s_waitcnt vmcnt(9)
	v_max3_f32 v26, v26, v43, v44
	v_add_co_ci_u32_e32 v5, vcc_lo, s8, v11, vcc_lo
	global_load_b32 v10, v[6:7], off
	v_add_co_u32 v6, vcc_lo, s7, v12
	s_waitcnt vmcnt(8)
	v_max3_f32 v26, v26, v31, v32
	v_add_co_ci_u32_e32 v7, vcc_lo, s8, v13, vcc_lo
	s_clause 0x1
	global_load_b32 v12, v[2:3], off
	global_load_b32 v4, v[4:5], off
	s_waitcnt vmcnt(8)
	v_max3_f32 v26, v26, v33, v34
	v_add_co_u32 v2, vcc_lo, s7, v14
	v_add_co_ci_u32_e32 v3, vcc_lo, s8, v15, vcc_lo
	s_waitcnt vmcnt(6)
	s_delay_alu instid0(VALU_DEP_3)
	v_max3_f32 v26, v26, v27, v28
	v_add_co_u32 v8, vcc_lo, s7, v16
	v_add_co_ci_u32_e32 v9, vcc_lo, s8, v17, vcc_lo
	ds_bpermute_b32 v11, v1, v26
	s_clause 0x2
	global_load_b32 v6, v[6:7], off
	global_load_b32 v7, v[2:3], off
	;; [unrolled: 1-line block ×3, first 2 shown]
	v_lshlrev_b32_e32 v5, 2, v30
	v_add_co_u32 v2, vcc_lo, s7, v18
	v_add_co_ci_u32_e32 v3, vcc_lo, s8, v19, vcc_lo
	v_xor_b32_e32 v15, 4, v29
	v_xor_b32_e32 v16, 1, v29
	s_waitcnt lgkmcnt(0)
	v_max_f32_e32 v9, v11, v11
	global_load_b32 v11, v[2:3], off
	v_add_co_u32 v2, vcc_lo, s7, v20
	v_add_co_ci_u32_e32 v3, vcc_lo, s8, v21, vcc_lo
	v_max_f32_e32 v9, v26, v9
	global_load_b32 v14, v[2:3], off
	v_add_co_u32 v2, vcc_lo, s7, v22
	ds_bpermute_b32 v13, v5, v9
	v_add_co_ci_u32_e32 v3, vcc_lo, s8, v23, vcc_lo
	v_cmp_gt_i32_e32 vcc_lo, 32, v15
	s_mov_b32 s7, exec_lo
	global_load_b32 v3, v[2:3], off
	v_cndmask_b32_e32 v15, v29, v15, vcc_lo
	s_waitcnt lgkmcnt(0)
	s_delay_alu instid0(VALU_DEP_1) | instskip(SKIP_1) | instid1(VALU_DEP_2)
	v_dual_max_f32 v2, v13, v13 :: v_dual_lshlrev_b32 v13, 2, v15
	v_xor_b32_e32 v15, 2, v29
	v_max_f32_e32 v2, v9, v2
	s_delay_alu instid0(VALU_DEP_2) | instskip(SKIP_3) | instid1(VALU_DEP_2)
	v_cmp_gt_i32_e32 vcc_lo, 32, v15
	ds_bpermute_b32 v9, v13, v2
	v_cndmask_b32_e32 v15, v29, v15, vcc_lo
	v_cmp_gt_i32_e32 vcc_lo, 32, v16
	v_dual_cndmask_b32 v16, v29, v16 :: v_dual_lshlrev_b32 v15, 2, v15
	s_waitcnt lgkmcnt(0)
	s_delay_alu instid0(VALU_DEP_1) | instskip(NEXT) | instid1(VALU_DEP_1)
	v_dual_max_f32 v9, v9, v9 :: v_dual_lshlrev_b32 v16, 2, v16
	v_max_f32_e32 v2, v2, v9
	ds_bpermute_b32 v9, v15, v2
	s_waitcnt lgkmcnt(0)
	v_max_f32_e32 v9, v9, v9
	s_delay_alu instid0(VALU_DEP_1) | instskip(SKIP_3) | instid1(VALU_DEP_1)
	v_max_f32_e32 v2, v2, v9
	ds_bpermute_b32 v9, v16, v2
	s_waitcnt lgkmcnt(0)
	v_max_f32_e32 v9, v9, v9
	v_max_f32_e32 v2, v2, v9
	v_sub_nc_u32_e32 v9, s40, v0
	s_delay_alu instid0(VALU_DEP_2)
	v_sub_f32_e32 v21, v43, v2
	v_sub_f32_e32 v30, v34, v2
	;; [unrolled: 1-line block ×5, first 2 shown]
	v_mul_f32_e32 v34, 0x3fb8aa3b, v21
	v_sub_f32_e32 v18, v40, v2
	v_mul_f32_e32 v36, 0x3fb8aa3b, v22
	v_mul_f32_e32 v32, 0x3fb8aa3b, v19
	;; [unrolled: 1-line block ×3, first 2 shown]
	v_fma_f32 v51, 0x3fb8aa3b, v21, -v34
	v_rndne_f32_e32 v52, v34
	v_mul_f32_e32 v40, 0x3fb8aa3b, v30
	v_fma_f32 v53, 0x3fb8aa3b, v22, -v36
	v_rndne_f32_e32 v54, v36
	s_delay_alu instid0(VALU_DEP_4)
	v_dual_fmac_f32 v51, 0x32a5705f, v21 :: v_dual_sub_f32 v34, v34, v52
	v_sub_f32_e32 v20, v42, v2
	v_fma_f32 v47, 0x3fb8aa3b, v19, -v32
	v_rndne_f32_e32 v48, v32
	v_fma_f32 v57, 0x3fb8aa3b, v26, -v38
	v_add_f32_e32 v34, v34, v51
	v_rndne_f32_e32 v58, v38
	v_fma_f32 v61, 0x3fb8aa3b, v30, -v40
	v_rndne_f32_e32 v62, v40
	v_cvt_i32_f32_e32 v52, v52
	v_exp_f32_e32 v34, v34
	v_fmac_f32_e32 v53, 0x32a5705f, v22
	v_sub_f32_e32 v36, v36, v54
	v_sub_f32_e32 v23, v31, v2
	v_dual_sub_f32 v17, v39, v2 :: v_dual_sub_f32 v32, v32, v48
	v_fmac_f32_e32 v57, 0x32a5705f, v26
	v_sub_f32_e32 v38, v38, v58
	v_sub_f32_e32 v29, v33, v2
	v_dual_mul_f32 v33, 0x3fb8aa3b, v20 :: v_dual_sub_f32 v40, v40, v62
	v_fmac_f32_e32 v61, 0x32a5705f, v30
	v_sub_f32_e32 v27, v27, v2
	v_sub_f32_e32 v2, v28, v2
	v_dual_add_f32 v36, v36, v53 :: v_dual_mul_f32 v37, 0x3fb8aa3b, v23
	v_ldexp_f32 v34, v34, v52
	v_fmac_f32_e32 v47, 0x32a5705f, v19
	s_delay_alu instid0(VALU_DEP_4)
	v_mul_f32_e32 v42, 0x3fb8aa3b, v2
	v_mul_f32_e32 v28, 0x3fb8aa3b, v17
	v_add_f32_e32 v40, v40, v61
	v_cvt_i32_f32_e32 v48, v48
	v_add_f32_e32 v32, v32, v47
	v_fma_f32 v65, 0x3fb8aa3b, v2, -v42
	v_rndne_f32_e32 v66, v42
	v_fma_f32 v43, 0x3fb8aa3b, v17, -v28
	v_rndne_f32_e32 v44, v28
	v_exp_f32_e32 v32, v32
	v_fmac_f32_e32 v65, 0x32a5705f, v2
	v_sub_f32_e32 v42, v42, v66
	v_dual_mul_f32 v31, 0x3fb8aa3b, v18 :: v_dual_add_f32 v38, v38, v57
	v_mul_f32_e32 v39, 0x3fb8aa3b, v29
	v_exp_f32_e32 v36, v36
	v_exp_f32_e32 v40, v40
	v_sub_f32_e32 v28, v28, v44
	v_cvt_i32_f32_e32 v54, v54
	v_cvt_i32_f32_e32 v62, v62
	v_add_f32_e32 v42, v42, v65
	v_fma_f32 v45, 0x3fb8aa3b, v18, -v31
	v_rndne_f32_e32 v46, v31
	v_ldexp_f32 v32, v32, v48
	v_fmac_f32_e32 v43, 0x32a5705f, v17
	v_ldexp_f32 v36, v36, v54
	v_fmac_f32_e32 v45, 0x32a5705f, v18
	v_ldexp_f32 v40, v40, v62
	s_delay_alu instid0(VALU_DEP_4) | instskip(SKIP_3) | instid1(VALU_DEP_3)
	v_dual_sub_f32 v31, v31, v46 :: v_dual_add_f32 v28, v28, v43
	v_cvt_i32_f32_e32 v44, v44
	v_cvt_i32_f32_e32 v46, v46
	v_exp_f32_e32 v38, v38
	v_add_f32_e32 v31, v31, v45
	v_exp_f32_e32 v28, v28
	v_cmp_ngt_f32_e32 vcc_lo, 0xc2ce8ed0, v17
	v_fma_f32 v49, 0x3fb8aa3b, v20, -v33
	v_rndne_f32_e32 v50, v33
	v_exp_f32_e32 v31, v31
	v_cvt_i32_f32_e32 v58, v58
	v_fma_f32 v55, 0x3fb8aa3b, v23, -v37
	v_rndne_f32_e32 v56, v37
	v_fma_f32 v59, 0x3fb8aa3b, v29, -v39
	v_rndne_f32_e32 v60, v39
	v_ldexp_f32 v28, v28, v44
	v_mul_f32_e32 v41, 0x3fb8aa3b, v27
	v_ldexp_f32 v38, v38, v58
	v_fmac_f32_e32 v49, 0x32a5705f, v20
	v_ldexp_f32 v31, v31, v46
	v_cndmask_b32_e32 v28, 0, v28, vcc_lo
	v_cmp_ngt_f32_e32 vcc_lo, 0xc2ce8ed0, v18
	v_fmac_f32_e32 v55, 0x32a5705f, v23
	v_fmac_f32_e32 v59, 0x32a5705f, v29
	v_rndne_f32_e32 v64, v41
	v_fma_f32 v63, 0x3fb8aa3b, v27, -v41
	v_cndmask_b32_e32 v31, 0, v31, vcc_lo
	v_sub_f32_e32 v33, v33, v50
	v_cvt_i32_f32_e32 v50, v50
	v_cmp_ngt_f32_e32 vcc_lo, 0xc2ce8ed0, v19
	v_exp_f32_e32 v42, v42
	s_delay_alu instid0(VALU_DEP_3) | instskip(SKIP_1) | instid1(VALU_DEP_2)
	v_dual_add_f32 v33, v33, v49 :: v_dual_cndmask_b32 v32, 0, v32
	v_cmp_ngt_f32_e32 vcc_lo, 0xc2ce8ed0, v20
	v_exp_f32_e32 v33, v33
	s_waitcnt_depctr 0xfff
	v_ldexp_f32 v33, v33, v50
	s_delay_alu instid0(VALU_DEP_1) | instskip(SKIP_3) | instid1(VALU_DEP_3)
	v_cndmask_b32_e32 v33, 0, v33, vcc_lo
	v_sub_f32_e32 v37, v37, v56
	v_cmp_ngt_f32_e32 vcc_lo, 0xc2ce8ed0, v21
	v_cvt_i32_f32_e32 v56, v56
	v_dual_add_f32 v37, v37, v55 :: v_dual_cndmask_b32 v34, 0, v34
	v_cmp_ngt_f32_e32 vcc_lo, 0xc2ce8ed0, v22
	s_delay_alu instid0(VALU_DEP_2) | instskip(SKIP_4) | instid1(VALU_DEP_1)
	v_exp_f32_e32 v37, v37
	v_cndmask_b32_e32 v36, 0, v36, vcc_lo
	v_cmp_ngt_f32_e32 vcc_lo, 0xc2ce8ed0, v23
	s_waitcnt_depctr 0xfff
	v_ldexp_f32 v37, v37, v56
	v_cndmask_b32_e32 v37, 0, v37, vcc_lo
	v_cmp_ngt_f32_e32 vcc_lo, 0xc2ce8ed0, v26
	v_dual_cndmask_b32 v38, 0, v38 :: v_dual_sub_f32 v39, v39, v60
	v_cvt_i32_f32_e32 v60, v60
	v_cmp_ngt_f32_e32 vcc_lo, 0xc2ce8ed0, v29
	s_delay_alu instid0(VALU_DEP_3) | instskip(NEXT) | instid1(VALU_DEP_1)
	v_add_f32_e32 v39, v39, v59
	v_exp_f32_e32 v39, v39
	s_waitcnt_depctr 0xfff
	v_ldexp_f32 v39, v39, v60
	s_delay_alu instid0(VALU_DEP_1)
	v_cndmask_b32_e32 v39, 0, v39, vcc_lo
	v_cmp_ngt_f32_e32 vcc_lo, 0xc2ce8ed0, v30
	v_cndmask_b32_e32 v40, 0, v40, vcc_lo
	v_cmp_nlt_f32_e32 vcc_lo, 0x42b17218, v17
	v_cndmask_b32_e32 v17, 0x7f800000, v28, vcc_lo
	v_cmp_nlt_f32_e32 vcc_lo, 0x42b17218, v18
	;; [unrolled: 2-line block ×6, first 2 shown]
	v_cndmask_b32_e32 v22, 0x7f800000, v36, vcc_lo
	v_cmp_lt_i32_e32 vcc_lo, 0, v9
	v_cndmask_b32_e32 v17, 0, v17, vcc_lo
	v_cmp_lt_i32_e32 vcc_lo, 32, v9
	s_waitcnt vmcnt(11)
	s_delay_alu instid0(VALU_DEP_2) | instskip(SKIP_2) | instid1(VALU_DEP_2)
	v_dual_mul_f32 v17, v24, v17 :: v_dual_cndmask_b32 v18, 0, v18
	v_cmp_nlt_f32_e32 vcc_lo, 0x42b17218, v23
	s_waitcnt vmcnt(10)
	v_dual_mul_f32 v18, v25, v18 :: v_dual_cndmask_b32 v23, 0x7f800000, v37
	v_cmp_lt_i32_e32 vcc_lo, 64, v9
	v_cndmask_b32_e32 v19, 0, v19, vcc_lo
	v_cmp_nlt_f32_e32 vcc_lo, 0x42b17218, v26
	v_cndmask_b32_e32 v24, 0x7f800000, v38, vcc_lo
	v_cmp_lt_i32_e32 vcc_lo, 0x60, v9
	v_cndmask_b32_e32 v20, 0, v20, vcc_lo
	v_cmp_nlt_f32_e32 vcc_lo, 0x42b17218, v29
	v_sub_f32_e32 v41, v41, v64
	v_cvt_i32_f32_e32 v64, v64
	s_waitcnt vmcnt(8)
	v_mul_f32_e32 v10, v10, v20
	v_cndmask_b32_e32 v26, 0x7f800000, v39, vcc_lo
	v_cmp_lt_i32_e32 vcc_lo, 0x80, v9
	v_cndmask_b32_e32 v21, 0, v21, vcc_lo
	v_cmp_lt_i32_e32 vcc_lo, 0xa0, v9
	s_waitcnt vmcnt(7)
	s_delay_alu instid0(VALU_DEP_2) | instskip(SKIP_3) | instid1(VALU_DEP_2)
	v_dual_fmac_f32 v63, 0x32a5705f, v27 :: v_dual_mul_f32 v12, v12, v21
	v_cndmask_b32_e32 v22, 0, v22, vcc_lo
	v_cmp_lt_i32_e32 vcc_lo, 0xc0, v9
	s_waitcnt vmcnt(6)
	v_dual_mul_f32 v4, v4, v22 :: v_dual_cndmask_b32 v23, 0, v23
	v_cmp_lt_i32_e32 vcc_lo, 0xe0, v9
	s_waitcnt vmcnt(5)
	s_delay_alu instid0(VALU_DEP_2) | instskip(SKIP_3) | instid1(VALU_DEP_3)
	v_dual_mul_f32 v6, v6, v23 :: v_dual_cndmask_b32 v21, 0, v24
	v_cmp_lt_i32_e32 vcc_lo, 0x100, v9
	v_cvt_i32_f32_e32 v23, v66
	s_waitcnt vmcnt(4)
	v_dual_mul_f32 v7, v7, v21 :: v_dual_cndmask_b32 v24, 0, v26
	v_cmp_nlt_f32_e32 vcc_lo, 0x42b17218, v30
	s_waitcnt vmcnt(3)
	s_delay_alu instid0(VALU_DEP_2) | instskip(SKIP_1) | instid1(VALU_DEP_2)
	v_dual_add_f32 v41, v41, v63 :: v_dual_mul_f32 v8, v8, v24
	v_cndmask_b32_e32 v22, 0x7f800000, v40, vcc_lo
	v_exp_f32_e32 v41, v41
	v_cmp_ngt_f32_e32 vcc_lo, 0xc2ce8ed0, v27
	s_waitcnt_depctr 0xfff
	v_ldexp_f32 v41, v41, v64
	s_delay_alu instid0(VALU_DEP_1) | instskip(SKIP_4) | instid1(VALU_DEP_2)
	v_cndmask_b32_e32 v21, 0, v41, vcc_lo
	v_cmp_lt_i32_e32 vcc_lo, 0x120, v9
	v_cndmask_b32_e32 v22, 0, v22, vcc_lo
	v_cmp_nlt_f32_e32 vcc_lo, 0x42b17218, v27
	s_waitcnt vmcnt(2)
	v_mul_f32_e32 v11, v11, v22
	v_cndmask_b32_e32 v21, 0x7f800000, v21, vcc_lo
	v_cmp_lt_i32_e32 vcc_lo, 0x140, v9
	v_ldexp_f32 v22, v42, v23
	s_delay_alu instid0(VALU_DEP_3) | instskip(SKIP_2) | instid1(VALU_DEP_2)
	v_cndmask_b32_e32 v21, 0, v21, vcc_lo
	v_cmp_ngt_f32_e32 vcc_lo, 0xc2ce8ed0, v2
	s_waitcnt vmcnt(1)
	v_mul_f32_e32 v14, v14, v21
	v_cndmask_b32_e32 v22, 0, v22, vcc_lo
	v_cmp_nlt_f32_e32 vcc_lo, 0x42b17218, v2
	s_delay_alu instid0(VALU_DEP_2) | instskip(SKIP_1) | instid1(VALU_DEP_2)
	v_dual_mul_f32 v19, v35, v19 :: v_dual_cndmask_b32 v2, 0x7f800000, v22
	v_cmp_lt_i32_e32 vcc_lo, 0x160, v9
	v_cndmask_b32_e32 v9, 0, v2, vcc_lo
	v_add_f32_e32 v25, v17, v18
	s_delay_alu instid0(VALU_DEP_1) | instskip(NEXT) | instid1(VALU_DEP_1)
	v_add_f32_e32 v20, v25, v19
	v_add_f32_e32 v20, v20, v10
	s_delay_alu instid0(VALU_DEP_1) | instskip(NEXT) | instid1(VALU_DEP_1)
	v_add_f32_e32 v20, v20, v12
	;; [unrolled: 3-line block ×4, first 2 shown]
	v_add_f32_e32 v20, v20, v11
	s_delay_alu instid0(VALU_DEP_1) | instskip(SKIP_1) | instid1(VALU_DEP_1)
	v_add_f32_e32 v2, v20, v14
	s_waitcnt vmcnt(0)
	v_fmac_f32_e32 v2, v3, v9
	v_mul_f32_e32 v3, v3, v9
	ds_bpermute_b32 v1, v1, v2
	s_waitcnt lgkmcnt(0)
	v_add_f32_e32 v1, v2, v1
	ds_bpermute_b32 v2, v5, v1
	v_lshlrev_b32_e32 v5, 2, v0
	s_delay_alu instid0(VALU_DEP_1)
	v_add_nc_u32_e32 v9, 0x400, v5
	ds_store_2addr_b32 v5, v17, v18 offset1:32
	ds_store_2addr_b32 v5, v19, v10 offset0:64 offset1:96
	ds_store_2addr_b32 v5, v12, v4 offset0:128 offset1:160
	;; [unrolled: 1-line block ×3, first 2 shown]
	ds_store_2addr_b32 v9, v8, v11 offset1:32
	ds_store_2addr_b32 v9, v14, v3 offset0:64 offset1:96
	s_waitcnt lgkmcnt(6)
	v_add_f32_e32 v1, v1, v2
	ds_bpermute_b32 v2, v13, v1
	s_waitcnt lgkmcnt(0)
	v_add_f32_e32 v1, v1, v2
	ds_bpermute_b32 v2, v15, v1
	;; [unrolled: 3-line block ×3, first 2 shown]
	v_cmpx_eq_u32_e32 0, v0
	s_cbranch_execz .LBB417_8
; %bb.7:
	s_waitcnt lgkmcnt(0)
	v_dual_add_f32 v1, v1, v2 :: v_dual_mov_b32 v2, 0
	ds_store_b32 v2, v1 offset:1536
.LBB417_8:
	s_or_b32 exec_lo, exec_lo, s7
	v_mov_b32_e32 v1, s6
.LBB417_9:
	s_or_b32 exec_lo, exec_lo, s24
	s_lshl_b32 s6, s18, 6
	s_mov_b32 s7, 0
	s_waitcnt lgkmcnt(0)
	v_dual_mov_b32 v2, 0 :: v_dual_lshlrev_b32 v1, 6, v1
	s_lshl_b64 s[6:7], s[6:7], 1
	v_dual_mov_b32 v31, 0 :: v_dual_mov_b32 v32, 0
	s_add_u32 s34, s4, s6
	s_addc_u32 s35, s5, s7
	s_lshl_b32 s41, s40, 6
	v_lshlrev_b64 v[3:4], 1, v[1:2]
	s_sub_i32 s42, s41, 64
	s_cmpk_lt_i32 s22, 0x100
	v_lshlrev_b32_e32 v1, 1, v0
	s_cselect_b32 s4, s42, 0
	v_dual_mov_b32 v33, 0 :: v_dual_mov_b32 v34, 0
	s_ashr_i32 s5, s4, 31
	v_add_co_u32 v3, vcc_lo, s34, v3
	s_lshl_b64 s[4:5], s[4:5], 1
	s_cmpk_lt_i32 s22, 0x200
	v_add_co_ci_u32_e32 v4, vcc_lo, s35, v4, vcc_lo
	s_cselect_b32 s6, s42, 64
	v_add_co_u32 v1, vcc_lo, v3, v1
	s_ashr_i32 s7, s6, 31
	s_delay_alu instid0(VALU_DEP_2)
	v_add_co_ci_u32_e32 v3, vcc_lo, 0, v4, vcc_lo
	s_lshl_b64 s[6:7], s[6:7], 1
	s_cmpk_lt_i32 s22, 0x300
	v_add_co_u32 v4, vcc_lo, v1, s4
	s_cselect_b32 s8, s42, 0x80
	v_add_co_ci_u32_e32 v5, vcc_lo, s5, v3, vcc_lo
	s_ashr_i32 s9, s8, 31
	v_add_co_u32 v6, vcc_lo, v1, s6
	s_lshl_b64 s[8:9], s[8:9], 1
	s_cmpk_lt_i32 s22, 0x400
	v_add_co_ci_u32_e32 v7, vcc_lo, s7, v3, vcc_lo
	s_cselect_b32 s10, s42, 0xc0
	v_add_co_u32 v8, vcc_lo, v1, s8
	s_ashr_i32 s11, s10, 31
	v_add_co_ci_u32_e32 v9, vcc_lo, s9, v3, vcc_lo
	s_lshl_b64 s[10:11], s[10:11], 1
	s_cmpk_lt_i32 s22, 0x500
	v_add_co_u32 v11, vcc_lo, v1, s10
	s_cselect_b32 s18, s42, 0x100
	v_add_co_ci_u32_e32 v12, vcc_lo, s11, v3, vcc_lo
	s_ashr_i32 s19, s18, 31
	v_mov_b32_e32 v35, 0
	s_lshl_b64 s[18:19], s[18:19], 1
	s_cmpk_lt_i32 s22, 0x600
	v_add_co_u32 v14, vcc_lo, v1, s18
	s_cselect_b32 s20, s42, 0x140
	v_add_co_ci_u32_e32 v15, vcc_lo, s19, v3, vcc_lo
	s_ashr_i32 s21, s20, 31
	v_mov_b32_e32 v30, 0
	s_lshl_b64 s[20:21], s[20:21], 1
	s_cmpk_lt_i32 s22, 0x700
	v_add_co_u32 v16, vcc_lo, v1, s20
	s_cselect_b32 s24, s42, 0x180
	v_add_co_ci_u32_e32 v17, vcc_lo, s21, v3, vcc_lo
	s_ashr_i32 s25, s24, 31
	s_delay_alu instid0(SALU_CYCLE_1)
	s_lshl_b64 s[24:25], s[24:25], 1
	s_cmpk_lt_i32 s22, 0x800
	v_add_co_u32 v18, vcc_lo, v1, s24
	s_cselect_b32 s26, s42, 0x1c0
	v_add_co_ci_u32_e32 v19, vcc_lo, s25, v3, vcc_lo
	s_ashr_i32 s27, s26, 31
	s_delay_alu instid0(SALU_CYCLE_1)
	s_lshl_b64 s[26:27], s[26:27], 1
	s_cmpk_lt_i32 s22, 0x900
	v_add_co_u32 v20, vcc_lo, v1, s26
	s_cselect_b32 s28, s42, 0x200
	v_add_co_ci_u32_e32 v21, vcc_lo, s27, v3, vcc_lo
	s_ashr_i32 s29, s28, 31
	s_clause 0x7
	global_load_u16 v13, v[4:5], off
	global_load_u16 v4, v[6:7], off
	;; [unrolled: 1-line block ×8, first 2 shown]
	s_lshl_b64 s[28:29], s[28:29], 1
	s_cmpk_lt_i32 s22, 0xa00
	v_add_co_u32 v11, vcc_lo, v1, s28
	s_cselect_b32 s30, s42, 0x240
	v_add_co_ci_u32_e32 v12, vcc_lo, s29, v3, vcc_lo
	s_ashr_i32 s31, s30, 31
	s_delay_alu instid0(SALU_CYCLE_1)
	s_lshl_b64 s[30:31], s[30:31], 1
	s_cmpk_lt_i32 s22, 0xb00
	v_add_co_u32 v14, vcc_lo, v1, s30
	s_cselect_b32 s34, s42, 0x280
	v_add_co_ci_u32_e32 v15, vcc_lo, s31, v3, vcc_lo
	s_ashr_i32 s35, s34, 31
	s_delay_alu instid0(SALU_CYCLE_1)
	;; [unrolled: 7-line block ×7, first 2 shown]
	s_lshl_b64 s[4:5], s[6:7], 1
	s_cmpk_gt_i32 s23, 0x1000
	v_add_co_u32 v28, vcc_lo, v1, s4
	v_add_co_ci_u32_e32 v29, vcc_lo, s5, v3, vcc_lo
	s_clause 0x7
	global_load_u16 v19, v[11:12], off
	global_load_u16 v18, v[14:15], off
	;; [unrolled: 1-line block ×8, first 2 shown]
	v_dual_mov_b32 v20, 0 :: v_dual_mov_b32 v21, 0
	v_dual_mov_b32 v22, 0 :: v_dual_mov_b32 v23, 0
	;; [unrolled: 1-line block ×5, first 2 shown]
	s_cselect_b32 s6, -1, 0
	s_cmpk_lt_i32 s23, 0x1001
	s_waitcnt vmcnt(0)
	s_barrier
	buffer_gl0_inv
	s_cbranch_scc1 .LBB417_11
; %bb.10:
	s_cmpk_lt_i32 s22, 0x1100
	s_cselect_b32 s4, s42, 0x400
	s_delay_alu instid0(SALU_CYCLE_1) | instskip(NEXT) | instid1(SALU_CYCLE_1)
	s_ashr_i32 s5, s4, 31
	s_lshl_b64 s[4:5], s[4:5], 1
	s_cmpk_lt_i32 s22, 0x1200
	v_add_co_u32 v20, vcc_lo, v1, s4
	s_cselect_b32 s8, s42, 0x440
	v_add_co_ci_u32_e32 v21, vcc_lo, s5, v3, vcc_lo
	s_ashr_i32 s9, s8, 31
	s_delay_alu instid0(SALU_CYCLE_1)
	s_lshl_b64 s[8:9], s[8:9], 1
	s_cmpk_lt_i32 s22, 0x1300
	v_add_co_u32 v22, vcc_lo, v1, s8
	s_cselect_b32 s10, s42, 0x480
	v_add_co_ci_u32_e32 v23, vcc_lo, s9, v3, vcc_lo
	s_ashr_i32 s11, s10, 31
	s_delay_alu instid0(SALU_CYCLE_1)
	;; [unrolled: 7-line block ×14, first 2 shown]
	s_lshl_b64 s[4:5], s[18:19], 1
	s_cmpk_lt_i32 s22, 0x2000
	v_add_co_u32 v48, vcc_lo, v1, s4
	s_cselect_b32 s8, s42, 0x7c0
	v_add_co_ci_u32_e32 v49, vcc_lo, s5, v3, vcc_lo
	s_ashr_i32 s9, s8, 31
	s_delay_alu instid0(SALU_CYCLE_1) | instskip(NEXT) | instid1(SALU_CYCLE_1)
	s_lshl_b64 s[4:5], s[8:9], 1
	v_add_co_u32 v50, vcc_lo, v1, s4
	v_add_co_ci_u32_e32 v51, vcc_lo, s5, v3, vcc_lo
	s_clause 0xf
	global_load_u16 v20, v[20:21], off
	global_load_u16 v21, v[22:23], off
	;; [unrolled: 1-line block ×16, first 2 shown]
	s_waitcnt vmcnt(15)
	v_lshlrev_b32_e32 v35, 16, v20
	s_waitcnt vmcnt(14)
	v_lshlrev_b32_e32 v34, 16, v21
	;; [unrolled: 2-line block ×16, first 2 shown]
.LBB417_11:
	ds_load_b128 v[36:39], v2
	ds_load_b128 v[40:43], v2 offset:16
	v_lshlrev_b32_e32 v44, 16, v4
	v_lshlrev_b32_e32 v13, 16, v13
	;; [unrolled: 1-line block ×5, first 2 shown]
	s_load_b64 s[0:1], s[0:1], 0x0
	s_and_b32 vcc_lo, exec_lo, s6
	v_lshlrev_b32_e32 v5, 16, v5
	s_waitcnt lgkmcnt(0)
	v_fma_f32 v4, v36, v13, 0
	s_delay_alu instid0(VALU_DEP_1) | instskip(NEXT) | instid1(VALU_DEP_1)
	v_dual_fmac_f32 v4, v37, v44 :: v_dual_lshlrev_b32 v13, 16, v7
	v_dual_fmac_f32 v4, v38, v10 :: v_dual_lshlrev_b32 v9, 16, v9
	s_delay_alu instid0(VALU_DEP_1) | instskip(SKIP_4) | instid1(VALU_DEP_1)
	v_fmac_f32_e32 v4, v39, v9
	ds_load_b128 v[36:39], v2 offset:48
	v_fmac_f32_e32 v4, v40, v8
	ds_load_b128 v[7:10], v2 offset:32
	v_fmac_f32_e32 v4, v41, v13
	v_fmac_f32_e32 v4, v42, v6
	v_lshlrev_b32_e32 v6, 16, v19
	s_delay_alu instid0(VALU_DEP_2) | instskip(SKIP_1) | instid1(VALU_DEP_1)
	v_dual_fmac_f32 v4, v43, v5 :: v_dual_lshlrev_b32 v5, 16, v18
	s_waitcnt lgkmcnt(0)
	v_fmac_f32_e32 v4, v7, v6
	v_lshlrev_b32_e32 v6, 16, v17
	s_delay_alu instid0(VALU_DEP_2) | instskip(NEXT) | instid1(VALU_DEP_1)
	v_dual_fmac_f32 v4, v8, v5 :: v_dual_lshlrev_b32 v5, 16, v16
	v_fmac_f32_e32 v4, v9, v6
	v_lshlrev_b32_e32 v6, 16, v15
	s_delay_alu instid0(VALU_DEP_2) | instskip(NEXT) | instid1(VALU_DEP_1)
	v_dual_fmac_f32 v4, v10, v5 :: v_dual_lshlrev_b32 v5, 16, v14
	;; [unrolled: 4-line block ×3, first 2 shown]
	v_fmac_f32_e32 v4, v38, v6
	s_delay_alu instid0(VALU_DEP_1)
	v_fmac_f32_e32 v4, v39, v5
	s_cbranch_vccz .LBB417_13
; %bb.12:
	ds_load_b128 v[5:8], v2 offset:64
	ds_load_b128 v[9:12], v2 offset:80
	s_waitcnt lgkmcnt(1)
	v_fmac_f32_e32 v4, v5, v35
	s_delay_alu instid0(VALU_DEP_1) | instskip(NEXT) | instid1(VALU_DEP_1)
	v_fmac_f32_e32 v4, v6, v34
	v_fmac_f32_e32 v4, v7, v33
	s_delay_alu instid0(VALU_DEP_1) | instskip(SKIP_3) | instid1(VALU_DEP_1)
	v_fmac_f32_e32 v4, v8, v32
	ds_load_b128 v[5:8], v2 offset:96
	s_waitcnt lgkmcnt(1)
	v_fmac_f32_e32 v4, v9, v31
	v_fmac_f32_e32 v4, v10, v30
	s_delay_alu instid0(VALU_DEP_1) | instskip(NEXT) | instid1(VALU_DEP_1)
	v_fmac_f32_e32 v4, v11, v29
	v_fmac_f32_e32 v4, v12, v28
	ds_load_b128 v[9:12], v2 offset:112
	s_waitcnt lgkmcnt(1)
	v_fmac_f32_e32 v4, v5, v27
	s_delay_alu instid0(VALU_DEP_1) | instskip(NEXT) | instid1(VALU_DEP_1)
	v_fmac_f32_e32 v4, v6, v26
	v_fmac_f32_e32 v4, v7, v25
	s_delay_alu instid0(VALU_DEP_1) | instskip(SKIP_1) | instid1(VALU_DEP_1)
	v_fmac_f32_e32 v4, v8, v24
	s_waitcnt lgkmcnt(0)
	v_fmac_f32_e32 v4, v9, v23
	s_delay_alu instid0(VALU_DEP_1) | instskip(NEXT) | instid1(VALU_DEP_1)
	v_fmac_f32_e32 v4, v10, v22
	v_fmac_f32_e32 v4, v11, v21
	s_delay_alu instid0(VALU_DEP_1)
	v_fmac_f32_e32 v4, v12, v20
.LBB417_13:
	s_movk_i32 s43, 0xfc0
	s_movk_i32 s44, 0x80
	s_mov_b32 s45, 32
	s_branch .LBB417_15
.LBB417_14:                             ;   in Loop: Header=BB417_15 Depth=1
	s_addk_i32 s43, 0x800
	s_addk_i32 s44, 0x80
	s_add_i32 s45, s45, 32
	s_cmpk_eq_i32 s43, 0x67c0
	s_cbranch_scc1 .LBB417_17
.LBB417_15:                             ; =>This Inner Loop Header: Depth=1
	s_cmp_le_i32 s40, s45
	s_cbranch_scc1 .LBB417_14
; %bb.16:                               ;   in Loop: Header=BB417_15 Depth=1
	s_add_i32 s4, s43, 0xfffff840
	v_mov_b32_e32 v44, s44
	s_cmp_lt_i32 s4, s41
	s_cselect_b32 s4, s4, s42
	s_add_i32 s6, s43, 0xfffff880
	s_ashr_i32 s5, s4, 31
	s_delay_alu instid0(SALU_CYCLE_1)
	s_lshl_b64 s[38:39], s[4:5], 1
	s_cmp_lt_i32 s6, s41
	v_add_co_u32 v5, vcc_lo, v1, s38
	s_cselect_b32 s4, s6, s42
	s_add_i32 s6, s43, 0xfffff8c0
	s_ashr_i32 s5, s4, 31
	v_add_co_ci_u32_e32 v6, vcc_lo, s39, v3, vcc_lo
	s_lshl_b64 s[4:5], s[4:5], 1
	s_cmp_lt_i32 s6, s41
	s_cselect_b32 s6, s6, s42
	s_add_i32 s8, s43, 0xfffff900
	s_ashr_i32 s7, s6, 31
	global_load_u16 v2, v[5:6], off
	s_lshl_b64 s[6:7], s[6:7], 1
	s_cmp_lt_i32 s8, s41
	v_add_co_u32 v5, vcc_lo, v1, s4
	s_cselect_b32 s8, s8, s42
	s_add_i32 s10, s43, 0xfffff940
	s_ashr_i32 s9, s8, 31
	v_add_co_ci_u32_e32 v6, vcc_lo, s5, v3, vcc_lo
	s_lshl_b64 s[8:9], s[8:9], 1
	s_cmp_lt_i32 s10, s41
	v_add_co_u32 v7, vcc_lo, v1, s6
	s_cselect_b32 s10, s10, s42
	s_add_i32 s18, s43, 0xfffff980
	s_ashr_i32 s11, s10, 31
	v_add_co_ci_u32_e32 v8, vcc_lo, s7, v3, vcc_lo
	s_lshl_b64 s[10:11], s[10:11], 1
	s_cmp_lt_i32 s18, s41
	v_add_co_u32 v9, vcc_lo, v1, s8
	s_cselect_b32 s18, s18, s42
	s_add_i32 s20, s43, 0xfffff9c0
	s_ashr_i32 s19, s18, 31
	s_clause 0x1
	global_load_u16 v23, v[5:6], off
	global_load_u16 v24, v[7:8], off
	s_lshl_b64 s[18:19], s[18:19], 1
	s_cmp_lt_i32 s20, s41
	v_add_co_ci_u32_e32 v10, vcc_lo, s9, v3, vcc_lo
	s_cselect_b32 s20, s20, s42
	s_add_i32 s22, s43, 0xfffffa00
	s_ashr_i32 s21, s20, 31
	global_load_u16 v25, v[9:10], off
	s_lshl_b64 s[20:21], s[20:21], 1
	s_cmp_lt_i32 s22, s41
	v_add_co_u32 v11, vcc_lo, v1, s10
	s_cselect_b32 s22, s22, s42
	s_add_i32 s24, s43, 0xfffffa40
	s_ashr_i32 s23, s22, 31
	v_add_co_ci_u32_e32 v12, vcc_lo, s11, v3, vcc_lo
	s_lshl_b64 s[22:23], s[22:23], 1
	s_cmp_lt_i32 s24, s41
	v_add_co_u32 v13, vcc_lo, v1, s18
	global_load_u16 v26, v[11:12], off
	s_cselect_b32 s24, s24, s42
	s_add_i32 s26, s43, 0xfffffa80
	s_ashr_i32 s25, s24, 31
	v_add_co_ci_u32_e32 v14, vcc_lo, s19, v3, vcc_lo
	s_lshl_b64 s[24:25], s[24:25], 1
	s_cmp_lt_i32 s26, s41
	v_add_co_u32 v15, vcc_lo, v1, s20
	global_load_u16 v27, v[13:14], off
	s_cselect_b32 s26, s26, s42
	s_add_i32 s28, s43, 0xfffffac0
	s_ashr_i32 s27, s26, 31
	v_add_co_ci_u32_e32 v16, vcc_lo, s21, v3, vcc_lo
	s_lshl_b64 s[36:37], s[26:27], 1
	s_cmp_lt_i32 s28, s41
	v_add_co_u32 v17, vcc_lo, v1, s22
	s_cselect_b32 s26, s28, s42
	s_add_i32 s30, s43, 0xfffffb00
	s_ashr_i32 s27, s26, 31
	v_add_co_ci_u32_e32 v18, vcc_lo, s23, v3, vcc_lo
	s_lshl_b64 s[28:29], s[26:27], 1
	s_cmp_lt_i32 s30, s41
	v_add_co_u32 v19, vcc_lo, v1, s24
	global_load_u16 v17, v[17:18], off
	s_cselect_b32 s26, s30, s42
	s_add_i32 s30, s43, 0xfffffb40
	s_ashr_i32 s27, s26, 31
	v_add_co_ci_u32_e32 v20, vcc_lo, s25, v3, vcc_lo
	s_lshl_b64 s[26:27], s[26:27], 1
	s_cmp_lt_i32 s30, s41
	v_add_co_u32 v21, vcc_lo, v1, s36
	s_cselect_b32 s30, s30, s42
	s_add_i32 s46, s43, 0xfffffb80
	s_ashr_i32 s31, s30, 31
	v_add_co_ci_u32_e32 v22, vcc_lo, s37, v3, vcc_lo
	s_lshl_b64 s[34:35], s[30:31], 1
	s_cmp_lt_i32 s46, s41
	v_add_co_u32 v5, vcc_lo, v1, s28
	s_cselect_b32 s30, s46, s42
	s_add_i32 s46, s43, 0xfffffbc0
	s_ashr_i32 s31, s30, 31
	v_add_co_ci_u32_e32 v6, vcc_lo, s29, v3, vcc_lo
	s_lshl_b64 s[30:31], s[30:31], 1
	s_cmp_lt_i32 s46, s41
	v_add_co_u32 v7, vcc_lo, v1, s26
	s_cselect_b32 s46, s46, s42
	s_add_i32 s48, s43, 0xfffffc00
	s_ashr_i32 s47, s46, 31
	global_load_u16 v28, v[15:16], off
	s_lshl_b64 s[38:39], s[46:47], 1
	s_cmp_lt_i32 s48, s41
	v_add_co_ci_u32_e32 v8, vcc_lo, s27, v3, vcc_lo
	s_cselect_b32 s46, s48, s42
	v_add_co_u32 v9, vcc_lo, v1, s34
	s_ashr_i32 s47, s46, 31
	s_add_i32 s4, s43, 0xfffffc40
	s_lshl_b64 s[46:47], s[46:47], 1
	v_add_co_ci_u32_e32 v10, vcc_lo, s35, v3, vcc_lo
	s_cmp_lt_i32 s4, s41
	v_add_co_u32 v11, vcc_lo, v1, s30
	s_cselect_b32 s4, s4, s42
	v_add_co_ci_u32_e32 v12, vcc_lo, s31, v3, vcc_lo
	v_add_co_u32 v13, vcc_lo, v1, s38
	s_ashr_i32 s5, s4, 31
	s_add_i32 s6, s43, 0xfffffc80
	v_add_co_ci_u32_e32 v14, vcc_lo, s39, v3, vcc_lo
	global_load_u16 v18, v[19:20], off
	s_lshl_b64 s[8:9], s[4:5], 1
	s_cmp_lt_i32 s6, s41
	global_load_u16 v30, v[13:14], off
	s_cselect_b32 s4, s6, s42
	global_load_u16 v19, v[21:22], off
	s_ashr_i32 s5, s4, 31
	s_add_i32 s6, s43, 0xfffffcc0
	s_lshl_b64 s[10:11], s[4:5], 1
	s_cmp_lt_i32 s6, s41
	s_clause 0x3
	global_load_u16 v20, v[5:6], off
	global_load_u16 v21, v[7:8], off
	;; [unrolled: 1-line block ×4, first 2 shown]
	s_cselect_b32 s4, s6, s42
	s_add_i32 s6, s43, 0xfffffd00
	s_ashr_i32 s5, s4, 31
	v_add_co_u32 v15, vcc_lo, v1, s46
	s_lshl_b64 s[4:5], s[4:5], 1
	s_cmp_lt_i32 s6, s41
	v_add_co_ci_u32_e32 v16, vcc_lo, s47, v3, vcc_lo
	s_cselect_b32 s6, s6, s42
	s_add_i32 s18, s43, 0xfffffd40
	s_ashr_i32 s7, s6, 31
	v_add_co_u32 v5, vcc_lo, v1, s8
	s_lshl_b64 s[6:7], s[6:7], 1
	s_cmp_lt_i32 s18, s41
	v_add_co_ci_u32_e32 v6, vcc_lo, s9, v3, vcc_lo
	s_cselect_b32 s18, s18, s42
	v_add_co_u32 v7, vcc_lo, v1, s10
	s_ashr_i32 s19, s18, 31
	s_add_i32 s20, s43, 0xfffffd80
	s_lshl_b64 s[18:19], s[18:19], 1
	v_add_co_ci_u32_e32 v8, vcc_lo, s11, v3, vcc_lo
	s_cmp_lt_i32 s20, s41
	v_add_co_u32 v9, vcc_lo, v1, s4
	s_cselect_b32 s20, s20, s42
	v_add_co_ci_u32_e32 v10, vcc_lo, s5, v3, vcc_lo
	v_add_co_u32 v11, vcc_lo, v1, s6
	s_ashr_i32 s21, s20, 31
	s_add_i32 s22, s43, 0xfffffdc0
	v_add_co_ci_u32_e32 v12, vcc_lo, s7, v3, vcc_lo
	global_load_u16 v15, v[15:16], off
	s_lshl_b64 s[20:21], s[20:21], 1
	s_cmp_lt_i32 s22, s41
	global_load_u16 v33, v[11:12], off
	s_cselect_b32 s22, s22, s42
	s_clause 0x2
	global_load_u16 v16, v[5:6], off
	global_load_u16 v31, v[7:8], off
	;; [unrolled: 1-line block ×3, first 2 shown]
	s_ashr_i32 s23, s22, 31
	s_add_i32 s24, s43, 0xfffffe00
	s_lshl_b64 s[22:23], s[22:23], 1
	s_cmp_lt_i32 s24, s41
	v_add_co_u32 v13, vcc_lo, v1, s18
	s_cselect_b32 s24, s24, s42
	s_add_i32 s26, s43, 0xfffffe40
	s_ashr_i32 s25, s24, 31
	v_add_co_ci_u32_e32 v14, vcc_lo, s19, v3, vcc_lo
	s_lshl_b64 s[24:25], s[24:25], 1
	s_cmp_lt_i32 s26, s41
	v_add_co_u32 v5, vcc_lo, v1, s20
	s_cselect_b32 s8, s26, s42
	v_add_co_ci_u32_e32 v6, vcc_lo, s21, v3, vcc_lo
	s_ashr_i32 s9, s8, 31
	v_add_co_u32 v7, vcc_lo, v1, s22
	s_add_i32 s10, s43, 0xfffffe80
	s_lshl_b64 s[8:9], s[8:9], 1
	v_add_co_ci_u32_e32 v8, vcc_lo, s23, v3, vcc_lo
	s_cmp_lt_i32 s10, s41
	v_add_co_u32 v9, vcc_lo, v1, s24
	s_cselect_b32 s4, s10, s42
	global_load_u16 v13, v[13:14], off
	v_add_co_ci_u32_e32 v10, vcc_lo, s25, v3, vcc_lo
	s_ashr_i32 s5, s4, 31
	s_add_i32 s6, s43, 0xfffffec0
	s_lshl_b64 s[4:5], s[4:5], 1
	global_load_u16 v35, v[9:10], off
	s_cmp_lt_i32 s6, s41
	s_clause 0x1
	global_load_u16 v14, v[5:6], off
	global_load_u16 v34, v[7:8], off
	s_cselect_b32 s6, s6, s42
	s_add_i32 s10, s43, 0xffffff00
	s_ashr_i32 s7, s6, 31
	v_add_co_u32 v5, vcc_lo, v1, s8
	s_lshl_b64 s[6:7], s[6:7], 1
	s_cmp_lt_i32 s10, s41
	v_add_co_ci_u32_e32 v6, vcc_lo, s9, v3, vcc_lo
	s_cselect_b32 s10, s10, s42
	v_add_co_u32 v7, vcc_lo, v1, s4
	s_ashr_i32 s11, s10, 31
	v_add_co_ci_u32_e32 v8, vcc_lo, s5, v3, vcc_lo
	s_add_i32 s18, s43, 0xffffff40
	s_lshl_b64 s[10:11], s[10:11], 1
	s_cmp_lt_i32 s18, s41
	s_clause 0x1
	global_load_u16 v36, v[5:6], off
	global_load_u16 v37, v[7:8], off
	s_cselect_b32 s18, s18, s42
	v_add_co_u32 v5, vcc_lo, v1, s6
	s_ashr_i32 s19, s18, 31
	v_add_co_ci_u32_e32 v6, vcc_lo, s7, v3, vcc_lo
	s_add_i32 s20, s43, 0xffffff80
	v_add_co_u32 v7, vcc_lo, v1, s10
	s_lshl_b64 s[8:9], s[18:19], 1
	s_cmp_lt_i32 s20, s41
	v_add_co_ci_u32_e32 v8, vcc_lo, s11, v3, vcc_lo
	s_cselect_b32 s4, s20, s42
	global_load_u16 v38, v[5:6], off
	s_ashr_i32 s5, s4, 31
	global_load_u16 v39, v[7:8], off
	s_sub_i32 s18, s43, 64
	v_add_co_u32 v5, vcc_lo, v1, s8
	s_lshl_b64 s[4:5], s[4:5], 1
	s_cmp_lt_i32 s18, s41
	v_add_co_ci_u32_e32 v6, vcc_lo, s9, v3, vcc_lo
	v_add_co_u32 v7, vcc_lo, v1, s4
	s_cselect_b32 s6, s18, s42
	v_add_co_ci_u32_e32 v8, vcc_lo, s5, v3, vcc_lo
	s_ashr_i32 s7, s6, 31
	global_load_u16 v40, v[5:6], off
	s_lshl_b64 s[6:7], s[6:7], 1
	global_load_u16 v41, v[7:8], off
	s_cmp_lt_i32 s43, s41
	v_add_co_u32 v5, vcc_lo, v1, s6
	s_cselect_b32 s4, s43, s42
	v_add_co_ci_u32_e32 v6, vcc_lo, s7, v3, vcc_lo
	s_ashr_i32 s5, s4, 31
	s_delay_alu instid0(SALU_CYCLE_1)
	s_lshl_b64 s[4:5], s[4:5], 1
	global_load_u16 v42, v[5:6], off
	v_add_co_u32 v5, vcc_lo, v1, s4
	v_add_co_ci_u32_e32 v6, vcc_lo, s5, v3, vcc_lo
	global_load_u16 v43, v[5:6], off
	ds_load_b128 v[5:8], v44
	ds_load_b128 v[9:12], v44 offset:16
	s_waitcnt vmcnt(31)
	v_lshlrev_b32_e32 v2, 16, v2
	s_waitcnt lgkmcnt(1)
	s_delay_alu instid0(VALU_DEP_1) | instskip(SKIP_2) | instid1(VALU_DEP_1)
	v_fmac_f32_e32 v4, v5, v2
	s_waitcnt vmcnt(30)
	v_lshlrev_b32_e32 v2, 16, v23
	v_fmac_f32_e32 v4, v6, v2
	s_waitcnt vmcnt(29)
	v_lshlrev_b32_e32 v2, 16, v24
	s_delay_alu instid0(VALU_DEP_1) | instskip(SKIP_2) | instid1(VALU_DEP_1)
	v_fmac_f32_e32 v4, v7, v2
	s_waitcnt vmcnt(28)
	v_lshlrev_b32_e32 v2, 16, v25
	v_fmac_f32_e32 v4, v8, v2
	ds_load_b128 v[5:8], v44 offset:32
	s_waitcnt vmcnt(27)
	v_lshlrev_b32_e32 v2, 16, v26
	s_waitcnt lgkmcnt(1)
	s_delay_alu instid0(VALU_DEP_1) | instskip(SKIP_2) | instid1(VALU_DEP_1)
	v_fmac_f32_e32 v4, v9, v2
	s_waitcnt vmcnt(26)
	v_lshlrev_b32_e32 v2, 16, v27
	v_fmac_f32_e32 v4, v10, v2
	s_waitcnt vmcnt(24)
	v_lshlrev_b32_e32 v2, 16, v28
	s_delay_alu instid0(VALU_DEP_1) | instskip(SKIP_1) | instid1(VALU_DEP_1)
	v_fmac_f32_e32 v4, v11, v2
	v_lshlrev_b32_e32 v2, 16, v17
	v_fmac_f32_e32 v4, v12, v2
	ds_load_b128 v[9:12], v44 offset:48
	s_waitcnt vmcnt(23)
	v_lshlrev_b32_e32 v2, 16, v18
	s_waitcnt lgkmcnt(1)
	s_delay_alu instid0(VALU_DEP_1) | instskip(SKIP_2) | instid1(VALU_DEP_1)
	v_fmac_f32_e32 v4, v5, v2
	s_waitcnt vmcnt(21)
	v_lshlrev_b32_e32 v2, 16, v19
	v_fmac_f32_e32 v4, v6, v2
	s_waitcnt vmcnt(20)
	v_lshlrev_b32_e32 v2, 16, v20
	s_delay_alu instid0(VALU_DEP_1) | instskip(SKIP_2) | instid1(VALU_DEP_1)
	v_fmac_f32_e32 v4, v7, v2
	s_waitcnt vmcnt(19)
	v_lshlrev_b32_e32 v2, 16, v21
	v_fmac_f32_e32 v4, v8, v2
	s_waitcnt vmcnt(18)
	v_lshlrev_b32_e32 v2, 16, v22
	ds_load_b128 v[5:8], v44 offset:64
	s_waitcnt lgkmcnt(1)
	v_fmac_f32_e32 v4, v9, v2
	s_waitcnt vmcnt(17)
	v_lshlrev_b32_e32 v2, 16, v29
	s_delay_alu instid0(VALU_DEP_1) | instskip(SKIP_1) | instid1(VALU_DEP_1)
	v_fmac_f32_e32 v4, v10, v2
	v_lshlrev_b32_e32 v2, 16, v30
	v_fmac_f32_e32 v4, v11, v2
	s_waitcnt vmcnt(16)
	v_lshlrev_b32_e32 v2, 16, v15
	s_delay_alu instid0(VALU_DEP_1) | instskip(SKIP_4) | instid1(VALU_DEP_1)
	v_fmac_f32_e32 v4, v12, v2
	ds_load_b128 v[9:12], v44 offset:80
	s_waitcnt vmcnt(14)
	v_lshlrev_b32_e32 v2, 16, v16
	s_waitcnt lgkmcnt(1)
	v_fmac_f32_e32 v4, v5, v2
	s_waitcnt vmcnt(13)
	v_lshlrev_b32_e32 v2, 16, v31
	s_delay_alu instid0(VALU_DEP_1) | instskip(SKIP_2) | instid1(VALU_DEP_1)
	v_fmac_f32_e32 v4, v6, v2
	s_waitcnt vmcnt(12)
	v_lshlrev_b32_e32 v2, 16, v32
	v_fmac_f32_e32 v4, v7, v2
	v_lshlrev_b32_e32 v2, 16, v33
	s_delay_alu instid0(VALU_DEP_1) | instskip(SKIP_4) | instid1(VALU_DEP_1)
	v_fmac_f32_e32 v4, v8, v2
	ds_load_b128 v[5:8], v44 offset:96
	s_waitcnt vmcnt(11)
	v_lshlrev_b32_e32 v2, 16, v13
	s_waitcnt lgkmcnt(1)
	v_fmac_f32_e32 v4, v9, v2
	s_waitcnt vmcnt(9)
	v_lshlrev_b32_e32 v2, 16, v14
	s_delay_alu instid0(VALU_DEP_1) | instskip(SKIP_2) | instid1(VALU_DEP_1)
	v_fmac_f32_e32 v4, v10, v2
	s_waitcnt vmcnt(8)
	v_lshlrev_b32_e32 v2, 16, v34
	v_fmac_f32_e32 v4, v11, v2
	;; [unrolled: 15-line block ×3, first 2 shown]
	s_waitcnt vmcnt(4)
	v_lshlrev_b32_e32 v2, 16, v39
	s_delay_alu instid0(VALU_DEP_1) | instskip(SKIP_3) | instid1(VALU_DEP_1)
	v_fmac_f32_e32 v4, v8, v2
	s_waitcnt vmcnt(3)
	v_lshlrev_b32_e32 v2, 16, v40
	s_waitcnt lgkmcnt(0)
	v_fmac_f32_e32 v4, v9, v2
	s_waitcnt vmcnt(2)
	v_lshlrev_b32_e32 v2, 16, v41
	s_delay_alu instid0(VALU_DEP_1) | instskip(SKIP_2) | instid1(VALU_DEP_1)
	v_fmac_f32_e32 v4, v10, v2
	s_waitcnt vmcnt(1)
	v_lshlrev_b32_e32 v2, 16, v42
	v_fmac_f32_e32 v4, v11, v2
	s_waitcnt vmcnt(0)
	v_lshlrev_b32_e32 v2, 16, v43
	s_delay_alu instid0(VALU_DEP_1)
	v_fmac_f32_e32 v4, v12, v2
	s_branch .LBB417_14
.LBB417_17:
	v_mov_b32_e32 v1, 0
	s_and_b32 vcc_lo, exec_lo, s15
	ds_load_b32 v1, v1 offset:1536
	s_cbranch_vccz .LBB417_19
; %bb.18:
	s_add_u32 s2, s12, s16
	s_addc_u32 s3, s13, s17
	s_load_b32 s2, s[2:3], 0x0
	s_mov_b32 s3, 0
.LBB417_19:
	s_waitcnt lgkmcnt(0)
	v_add_f32_e32 v1, 0x358637bd, v1
	s_delay_alu instid0(VALU_DEP_1) | instskip(NEXT) | instid1(VALU_DEP_1)
	v_div_scale_f32 v2, null, v1, v1, 1.0
	v_rcp_f32_e32 v3, v2
	s_waitcnt_depctr 0xfff
	v_fma_f32 v5, -v2, v3, 1.0
	s_delay_alu instid0(VALU_DEP_1) | instskip(SKIP_1) | instid1(VALU_DEP_1)
	v_fmac_f32_e32 v3, v5, v3
	v_div_scale_f32 v5, vcc_lo, 1.0, v1, 1.0
	v_mul_f32_e32 v6, v5, v3
	s_delay_alu instid0(VALU_DEP_1) | instskip(NEXT) | instid1(VALU_DEP_1)
	v_fma_f32 v7, -v2, v6, v5
	v_fmac_f32_e32 v6, v7, v3
	s_delay_alu instid0(VALU_DEP_1) | instskip(NEXT) | instid1(VALU_DEP_1)
	v_fma_f32 v2, -v2, v6, v5
	v_div_fmas_f32 v2, v2, v3, v6
	s_delay_alu instid0(VALU_DEP_1) | instskip(NEXT) | instid1(VALU_DEP_1)
	v_div_fixup_f32 v1, v2, v1, 1.0
	v_mul_f32_e32 v2, v4, v1
	s_delay_alu instid0(VALU_DEP_1) | instskip(NEXT) | instid1(VALU_DEP_1)
	v_and_b32_e32 v1, 0x7f800000, v2
	v_cmp_ne_u32_e32 vcc_lo, 0x7f800000, v1
                                        ; implicit-def: $vgpr1
	s_and_saveexec_b32 s4, vcc_lo
	s_delay_alu instid0(SALU_CYCLE_1)
	s_xor_b32 s4, exec_lo, s4
; %bb.20:
	v_bfe_u32 v1, v2, 16, 1
	s_delay_alu instid0(VALU_DEP_1)
	v_add3_u32 v1, v2, v1, 0x7fff
                                        ; implicit-def: $vgpr2
; %bb.21:
	s_and_not1_saveexec_b32 s4, s4
; %bb.22:
	v_and_b32_e32 v1, 0xffff, v2
	v_or_b32_e32 v3, 0x10000, v2
	s_delay_alu instid0(VALU_DEP_2) | instskip(NEXT) | instid1(VALU_DEP_2)
	v_cmp_eq_u32_e32 vcc_lo, 0, v1
	v_cndmask_b32_e32 v1, v3, v2, vcc_lo
; %bb.23:
	s_or_b32 exec_lo, exec_lo, s4
	s_mul_i32 s3, s33, s3
	s_mul_hi_u32 s4, s33, s2
	s_mul_i32 s2, s33, s2
	s_add_i32 s3, s4, s3
	s_mov_b32 s15, 0
	s_lshl_b64 s[2:3], s[2:3], 6
	v_and_b32_e32 v1, 0xffff0000, v1
	s_add_u32 s2, s0, s2
	s_addc_u32 s3, s1, s3
	s_lshl_b64 s[0:1], s[14:15], 6
	s_delay_alu instid0(SALU_CYCLE_1)
	s_add_u32 s0, s2, s0
	s_addc_u32 s1, s3, s1
	v_add_co_u32 v0, s0, s0, v0
	v_cvt_i32_f32_e32 v2, v1
	v_add_co_ci_u32_e64 v1, null, s1, 0, s0
	global_store_b8 v[0:1], v2, off
	s_nop 0
	s_sendmsg sendmsg(MSG_DEALLOC_VGPRS)
	s_endpgm
.LBB417_24:
	s_mov_b32 s4, 0
	s_branch .LBB417_2
	.section	.rodata,"a",@progbits
	.p2align	6, 0x0
	.amdhsa_kernel _Z35paged_attention_ll4mi_reduce_kernelI14__hip_bfloat16hLi64ELi64ELi256ELi12EEvPT0_PKfS4_PKT_PKiS9_iS4_
		.amdhsa_group_segment_fixed_size 1540
		.amdhsa_private_segment_fixed_size 0
		.amdhsa_kernarg_size 320
		.amdhsa_user_sgpr_count 14
		.amdhsa_user_sgpr_dispatch_ptr 0
		.amdhsa_user_sgpr_queue_ptr 0
		.amdhsa_user_sgpr_kernarg_segment_ptr 1
		.amdhsa_user_sgpr_dispatch_id 0
		.amdhsa_user_sgpr_private_segment_size 0
		.amdhsa_wavefront_size32 1
		.amdhsa_uses_dynamic_stack 0
		.amdhsa_enable_private_segment 0
		.amdhsa_system_sgpr_workgroup_id_x 1
		.amdhsa_system_sgpr_workgroup_id_y 1
		.amdhsa_system_sgpr_workgroup_id_z 0
		.amdhsa_system_sgpr_workgroup_info 0
		.amdhsa_system_vgpr_workitem_id 0
		.amdhsa_next_free_vgpr 67
		.amdhsa_next_free_sgpr 49
		.amdhsa_reserve_vcc 1
		.amdhsa_float_round_mode_32 0
		.amdhsa_float_round_mode_16_64 0
		.amdhsa_float_denorm_mode_32 3
		.amdhsa_float_denorm_mode_16_64 3
		.amdhsa_dx10_clamp 1
		.amdhsa_ieee_mode 1
		.amdhsa_fp16_overflow 0
		.amdhsa_workgroup_processor_mode 1
		.amdhsa_memory_ordered 1
		.amdhsa_forward_progress 0
		.amdhsa_shared_vgpr_count 0
		.amdhsa_exception_fp_ieee_invalid_op 0
		.amdhsa_exception_fp_denorm_src 0
		.amdhsa_exception_fp_ieee_div_zero 0
		.amdhsa_exception_fp_ieee_overflow 0
		.amdhsa_exception_fp_ieee_underflow 0
		.amdhsa_exception_fp_ieee_inexact 0
		.amdhsa_exception_int_div_zero 0
	.end_amdhsa_kernel
	.section	.text._Z35paged_attention_ll4mi_reduce_kernelI14__hip_bfloat16hLi64ELi64ELi256ELi12EEvPT0_PKfS4_PKT_PKiS9_iS4_,"axG",@progbits,_Z35paged_attention_ll4mi_reduce_kernelI14__hip_bfloat16hLi64ELi64ELi256ELi12EEvPT0_PKfS4_PKT_PKiS9_iS4_,comdat
.Lfunc_end417:
	.size	_Z35paged_attention_ll4mi_reduce_kernelI14__hip_bfloat16hLi64ELi64ELi256ELi12EEvPT0_PKfS4_PKT_PKiS9_iS4_, .Lfunc_end417-_Z35paged_attention_ll4mi_reduce_kernelI14__hip_bfloat16hLi64ELi64ELi256ELi12EEvPT0_PKfS4_PKT_PKiS9_iS4_
                                        ; -- End function
	.section	.AMDGPU.csdata,"",@progbits
; Kernel info:
; codeLenInByte = 7484
; NumSgprs: 51
; NumVgprs: 67
; ScratchSize: 0
; MemoryBound: 0
; FloatMode: 240
; IeeeMode: 1
; LDSByteSize: 1540 bytes/workgroup (compile time only)
; SGPRBlocks: 6
; VGPRBlocks: 8
; NumSGPRsForWavesPerEU: 51
; NumVGPRsForWavesPerEU: 67
; Occupancy: 16
; WaveLimiterHint : 0
; COMPUTE_PGM_RSRC2:SCRATCH_EN: 0
; COMPUTE_PGM_RSRC2:USER_SGPR: 14
; COMPUTE_PGM_RSRC2:TRAP_HANDLER: 0
; COMPUTE_PGM_RSRC2:TGID_X_EN: 1
; COMPUTE_PGM_RSRC2:TGID_Y_EN: 1
; COMPUTE_PGM_RSRC2:TGID_Z_EN: 0
; COMPUTE_PGM_RSRC2:TIDIG_COMP_CNT: 0
	.section	.text._Z35paged_attention_ll4mi_reduce_kernelI14__hip_bfloat16hLi64ELi64ELi256ELi13EEvPT0_PKfS4_PKT_PKiS9_iS4_,"axG",@progbits,_Z35paged_attention_ll4mi_reduce_kernelI14__hip_bfloat16hLi64ELi64ELi256ELi13EEvPT0_PKfS4_PKT_PKiS9_iS4_,comdat
	.protected	_Z35paged_attention_ll4mi_reduce_kernelI14__hip_bfloat16hLi64ELi64ELi256ELi13EEvPT0_PKfS4_PKT_PKiS9_iS4_ ; -- Begin function _Z35paged_attention_ll4mi_reduce_kernelI14__hip_bfloat16hLi64ELi64ELi256ELi13EEvPT0_PKfS4_PKT_PKiS9_iS4_
	.globl	_Z35paged_attention_ll4mi_reduce_kernelI14__hip_bfloat16hLi64ELi64ELi256ELi13EEvPT0_PKfS4_PKT_PKiS9_iS4_
	.p2align	8
	.type	_Z35paged_attention_ll4mi_reduce_kernelI14__hip_bfloat16hLi64ELi64ELi256ELi13EEvPT0_PKfS4_PKT_PKiS9_iS4_,@function
_Z35paged_attention_ll4mi_reduce_kernelI14__hip_bfloat16hLi64ELi64ELi256ELi13EEvPT0_PKfS4_PKT_PKiS9_iS4_: ; @_Z35paged_attention_ll4mi_reduce_kernelI14__hip_bfloat16hLi64ELi64ELi256ELi13EEvPT0_PKfS4_PKT_PKiS9_iS4_
; %bb.0:
	s_load_b64 s[12:13], s[0:1], 0x28
	s_mov_b32 s2, s15
	s_waitcnt lgkmcnt(0)
	s_cmp_lg_u64 s[12:13], 0
	s_cselect_b32 s15, -1, 0
	s_delay_alu instid0(SALU_CYCLE_1)
	s_and_b32 vcc_lo, exec_lo, s15
	s_cbranch_vccz .LBB418_24
; %bb.1:
	s_add_i32 s4, s2, 1
	s_mov_b32 s5, 0
	s_delay_alu instid0(SALU_CYCLE_1) | instskip(SKIP_4) | instid1(SALU_CYCLE_1)
	s_lshl_b64 s[6:7], s[4:5], 2
	s_mov_b32 s3, s5
	s_add_u32 s6, s12, s6
	s_addc_u32 s7, s13, s7
	s_lshl_b64 s[8:9], s[2:3], 2
	s_add_u32 s8, s12, s8
	s_addc_u32 s9, s13, s9
	s_clause 0x1
	s_load_b32 s4, s[6:7], 0x0
	s_load_b32 s6, s[8:9], 0x0
	s_waitcnt lgkmcnt(0)
	s_sub_i32 s4, s4, s6
	s_delay_alu instid0(SALU_CYCLE_1)
	s_cmp_eq_u32 s4, 1
	s_cselect_b32 s4, -1, 0
	s_cbranch_execnz .LBB418_3
.LBB418_2:
	s_mov_b32 s3, 0
	s_mov_b32 s4, -1
.LBB418_3:
	s_delay_alu instid0(SALU_CYCLE_1)
	s_and_not1_b32 vcc_lo, exec_lo, s4
	s_cbranch_vccz .LBB418_5
; %bb.4:
	s_endpgm
.LBB418_5:
	s_clause 0x1
	s_load_b128 s[4:7], s[0:1], 0x18
	s_load_b32 s9, s[0:1], 0x30
	s_lshl_b64 s[16:17], s[2:3], 2
	s_waitcnt lgkmcnt(0)
	s_add_u32 s6, s6, s16
	s_addc_u32 s7, s7, s17
	s_load_b32 s23, s[6:7], 0x0
	s_load_b32 s33, s[0:1], 0x40
	s_mul_i32 s7, s2, s9
	s_waitcnt lgkmcnt(0)
	s_add_i32 s22, s23, 0xff
	s_delay_alu instid0(SALU_CYCLE_1) | instskip(NEXT) | instid1(SALU_CYCLE_1)
	s_ashr_i32 s6, s22, 31
	s_lshr_b32 s6, s6, 24
	s_delay_alu instid0(SALU_CYCLE_1) | instskip(SKIP_4) | instid1(SALU_CYCLE_1)
	s_add_i32 s8, s22, s6
	s_mul_i32 s6, s14, s9
	s_mov_b32 s9, exec_lo
	v_cmpx_lt_u32_e32 31, v0
	s_xor_b32 s9, exec_lo, s9
	s_or_saveexec_b32 s24, s9
	v_mov_b32_e32 v1, s6
	s_ashr_i32 s40, s8, 8
	s_mul_i32 s18, s7, s33
	s_xor_b32 exec_lo, exec_lo, s24
	s_cbranch_execz .LBB418_9
; %bb.6:
	v_or_b32_e32 v2, 32, v0
	v_cmp_gt_i32_e32 vcc_lo, s40, v0
	s_add_i32 s20, s40, -1
	v_or_b32_e32 v4, 64, v0
	v_or_b32_e32 v6, 0x60, v0
	s_load_b128 s[8:11], s[0:1], 0x8
	v_cndmask_b32_e32 v1, s20, v0, vcc_lo
	v_cmp_gt_i32_e32 vcc_lo, s40, v2
	s_mov_b32 s19, 0
	s_delay_alu instid0(SALU_CYCLE_1)
	s_mov_b32 s7, s19
	v_cndmask_b32_e32 v3, s20, v2, vcc_lo
	v_cmp_gt_i32_e32 vcc_lo, s40, v4
	v_or_b32_e32 v2, 0x80, v0
	v_cndmask_b32_e32 v5, s20, v4, vcc_lo
	v_cmp_gt_i32_e32 vcc_lo, s40, v6
	v_or_b32_e32 v4, 0xa0, v0
	;; [unrolled: 3-line block ×3, first 2 shown]
	s_delay_alu instid0(VALU_DEP_3) | instskip(SKIP_3) | instid1(VALU_DEP_3)
	v_ashrrev_i32_e32 v8, 31, v7
	v_cndmask_b32_e32 v9, s20, v2, vcc_lo
	v_or_b32_e32 v2, 0xc0, v0
	v_cmp_gt_i32_e32 vcc_lo, s40, v4
	v_ashrrev_i32_e32 v10, 31, v9
	v_cndmask_b32_e32 v11, s20, v4, vcc_lo
	s_delay_alu instid0(VALU_DEP_4) | instskip(SKIP_1) | instid1(VALU_DEP_3)
	v_cmp_gt_i32_e32 vcc_lo, s40, v2
	v_or_b32_e32 v4, 0x100, v0
	v_ashrrev_i32_e32 v12, 31, v11
	v_cndmask_b32_e32 v13, s20, v2, vcc_lo
	v_cmp_gt_i32_e32 vcc_lo, s40, v6
	v_or_b32_e32 v2, 0x120, v0
	s_delay_alu instid0(VALU_DEP_3) | instskip(SKIP_3) | instid1(VALU_DEP_3)
	v_ashrrev_i32_e32 v14, 31, v13
	v_cndmask_b32_e32 v15, s20, v6, vcc_lo
	v_cmp_gt_i32_e32 vcc_lo, s40, v4
	v_or_b32_e32 v6, 0x160, v0
	v_ashrrev_i32_e32 v16, 31, v15
	v_cndmask_b32_e32 v17, s20, v4, vcc_lo
	v_or_b32_e32 v4, 0x140, v0
	v_cmp_gt_i32_e32 vcc_lo, s40, v2
	s_delay_alu instid0(VALU_DEP_3) | instskip(SKIP_1) | instid1(VALU_DEP_4)
	v_ashrrev_i32_e32 v18, 31, v17
	v_cndmask_b32_e32 v19, s20, v2, vcc_lo
	v_cmp_gt_i32_e32 vcc_lo, s40, v4
	v_or_b32_e32 v2, 0x180, v0
	s_delay_alu instid0(VALU_DEP_3) | instskip(SKIP_3) | instid1(VALU_DEP_3)
	v_ashrrev_i32_e32 v20, 31, v19
	v_cndmask_b32_e32 v21, s20, v4, vcc_lo
	v_cmp_gt_i32_e32 vcc_lo, s40, v6
	v_ashrrev_i32_e32 v4, 31, v3
	v_ashrrev_i32_e32 v22, 31, v21
	v_cndmask_b32_e32 v23, s20, v6, vcc_lo
	v_cmp_gt_i32_e32 vcc_lo, s40, v2
	v_ashrrev_i32_e32 v6, 31, v5
	s_delay_alu instid0(VALU_DEP_3)
	v_ashrrev_i32_e32 v24, 31, v23
	v_cndmask_b32_e32 v25, s20, v2, vcc_lo
	v_ashrrev_i32_e32 v2, 31, v1
	s_lshl_b64 s[20:21], s[18:19], 2
	s_waitcnt lgkmcnt(0)
	s_add_u32 s19, s10, s20
	s_addc_u32 s25, s11, s21
	v_lshlrev_b64 v[27:28], 2, v[1:2]
	s_lshl_b64 s[10:11], s[6:7], 2
	v_lshlrev_b64 v[2:3], 2, v[3:4]
	s_add_u32 s7, s19, s10
	s_addc_u32 s19, s25, s11
	v_lshlrev_b64 v[4:5], 2, v[5:6]
	v_add_co_u32 v29, vcc_lo, s7, v27
	v_add_co_ci_u32_e32 v30, vcc_lo, s19, v28, vcc_lo
	v_add_co_u32 v31, vcc_lo, s7, v2
	v_lshlrev_b64 v[6:7], 2, v[7:8]
	v_add_co_ci_u32_e32 v32, vcc_lo, s19, v3, vcc_lo
	v_add_co_u32 v33, vcc_lo, s7, v4
	v_lshlrev_b64 v[8:9], 2, v[9:10]
	;; [unrolled: 3-line block ×6, first 2 shown]
	v_add_co_ci_u32_e32 v42, vcc_lo, s19, v13, vcc_lo
	v_add_co_u32 v43, vcc_lo, s7, v14
	v_add_co_ci_u32_e32 v44, vcc_lo, s19, v15, vcc_lo
	v_lshlrev_b64 v[18:19], 2, v[19:20]
	v_add_co_u32 v45, vcc_lo, s7, v16
	v_add_co_ci_u32_e32 v46, vcc_lo, s19, v17, vcc_lo
	s_clause 0x8
	global_load_b32 v47, v[29:30], off
	global_load_b32 v48, v[31:32], off
	;; [unrolled: 1-line block ×9, first 2 shown]
	v_lshlrev_b64 v[20:21], 2, v[21:22]
	v_ashrrev_i32_e32 v26, 31, v25
	v_add_co_u32 v29, vcc_lo, s7, v18
	v_lshlrev_b64 v[22:23], 2, v[23:24]
	v_add_co_ci_u32_e32 v30, vcc_lo, s19, v19, vcc_lo
	v_add_co_u32 v31, vcc_lo, s7, v20
	v_lshlrev_b64 v[24:25], 2, v[25:26]
	v_add_co_ci_u32_e32 v32, vcc_lo, s19, v21, vcc_lo
	v_add_co_u32 v33, vcc_lo, s7, v22
	v_add_co_ci_u32_e32 v34, vcc_lo, s19, v23, vcc_lo
	s_delay_alu instid0(VALU_DEP_4)
	v_add_co_u32 v35, vcc_lo, s7, v24
	v_add_co_ci_u32_e32 v36, vcc_lo, s19, v25, vcc_lo
	s_clause 0x3
	global_load_b32 v29, v[29:30], off
	global_load_b32 v30, v[31:32], off
	;; [unrolled: 1-line block ×4, first 2 shown]
	v_mbcnt_lo_u32_b32 v33, -1, 0
	s_add_u32 s7, s8, s20
	s_addc_u32 s8, s9, s21
	s_add_u32 s7, s7, s10
	s_addc_u32 s8, s8, s11
	v_xor_b32_e32 v1, 16, v33
	s_delay_alu instid0(VALU_DEP_1)
	v_cmp_gt_i32_e32 vcc_lo, 32, v1
	v_cndmask_b32_e32 v1, v33, v1, vcc_lo
	v_add_co_u32 v26, vcc_lo, s7, v27
	v_add_co_ci_u32_e32 v27, vcc_lo, s8, v28, vcc_lo
	v_add_co_u32 v2, vcc_lo, s7, v2
	v_add_co_ci_u32_e32 v3, vcc_lo, s8, v3, vcc_lo
	;; [unrolled: 2-line block ×10, first 2 shown]
	s_clause 0x9
	global_load_b32 v26, v[26:27], off
	global_load_b32 v27, v[2:3], off
	;; [unrolled: 1-line block ×10, first 2 shown]
	v_xor_b32_e32 v14, 4, v33
	v_lshlrev_b32_e32 v1, 2, v1
	v_xor_b32_e32 v5, 8, v33
	v_xor_b32_e32 v16, 1, v33
	s_delay_alu instid0(VALU_DEP_2) | instskip(SKIP_1) | instid1(VALU_DEP_1)
	v_cmp_gt_i32_e32 vcc_lo, 32, v5
	v_cndmask_b32_e32 v5, v33, v5, vcc_lo
	v_lshlrev_b32_e32 v6, 2, v5
	s_waitcnt vmcnt(20)
	v_max3_f32 v28, v47, v48, v49
	s_waitcnt vmcnt(18)
	s_delay_alu instid0(VALU_DEP_1) | instskip(SKIP_1) | instid1(VALU_DEP_1)
	v_max3_f32 v28, v28, v50, v37
	s_waitcnt vmcnt(16)
	v_max3_f32 v28, v28, v38, v39
	s_waitcnt vmcnt(14)
	s_delay_alu instid0(VALU_DEP_1) | instskip(SKIP_1) | instid1(VALU_DEP_1)
	v_max3_f32 v28, v28, v40, v41
	s_waitcnt vmcnt(12)
	v_max3_f32 v28, v28, v29, v30
	s_waitcnt vmcnt(10)
	s_delay_alu instid0(VALU_DEP_1) | instskip(SKIP_3) | instid1(VALU_DEP_1)
	v_max3_f32 v28, v28, v31, v32
	ds_bpermute_b32 v34, v1, v28
	s_waitcnt lgkmcnt(0)
	v_max_f32_e32 v7, v34, v34
	v_max_f32_e32 v12, v28, v7
	v_add_co_u32 v7, vcc_lo, s7, v20
	v_add_co_ci_u32_e32 v8, vcc_lo, s8, v21, vcc_lo
	ds_bpermute_b32 v13, v6, v12
	v_cmp_gt_i32_e32 vcc_lo, 32, v14
	global_load_b32 v5, v[7:8], off
	v_cndmask_b32_e32 v14, v33, v14, vcc_lo
	v_add_co_u32 v7, vcc_lo, s7, v22
	v_add_co_ci_u32_e32 v8, vcc_lo, s8, v23, vcc_lo
	s_delay_alu instid0(VALU_DEP_3)
	v_lshlrev_b32_e32 v14, 2, v14
	global_load_b32 v15, v[7:8], off
	v_add_co_u32 v7, vcc_lo, s7, v24
	v_add_co_ci_u32_e32 v8, vcc_lo, s8, v25, vcc_lo
	s_mov_b32 s7, exec_lo
	s_waitcnt lgkmcnt(0)
	v_max_f32_e32 v13, v13, v13
	global_load_b32 v7, v[7:8], off
	v_xor_b32_e32 v8, 2, v33
	v_max_f32_e32 v12, v12, v13
	s_delay_alu instid0(VALU_DEP_2) | instskip(SKIP_3) | instid1(VALU_DEP_2)
	v_cmp_gt_i32_e32 vcc_lo, 32, v8
	ds_bpermute_b32 v13, v14, v12
	v_cndmask_b32_e32 v8, v33, v8, vcc_lo
	v_cmp_gt_i32_e32 vcc_lo, 32, v16
	v_lshlrev_b32_e32 v8, 2, v8
	v_cndmask_b32_e32 v16, v33, v16, vcc_lo
	s_waitcnt lgkmcnt(0)
	s_delay_alu instid0(VALU_DEP_1) | instskip(NEXT) | instid1(VALU_DEP_1)
	v_dual_max_f32 v13, v13, v13 :: v_dual_lshlrev_b32 v16, 2, v16
	v_max_f32_e32 v12, v12, v13
	ds_bpermute_b32 v13, v8, v12
	s_waitcnt lgkmcnt(0)
	v_max_f32_e32 v13, v13, v13
	s_delay_alu instid0(VALU_DEP_1) | instskip(SKIP_3) | instid1(VALU_DEP_1)
	v_max_f32_e32 v12, v12, v13
	ds_bpermute_b32 v13, v16, v12
	s_waitcnt lgkmcnt(0)
	v_max_f32_e32 v13, v13, v13
	v_max_f32_e32 v12, v12, v13
	v_sub_nc_u32_e32 v13, s40, v0
	s_delay_alu instid0(VALU_DEP_2) | instskip(SKIP_3) | instid1(VALU_DEP_4)
	v_sub_f32_e32 v20, v50, v12
	v_sub_f32_e32 v22, v38, v12
	;; [unrolled: 1-line block ×4, first 2 shown]
	v_mul_f32_e32 v34, 0x3fb8aa3b, v20
	s_delay_alu instid0(VALU_DEP_4) | instskip(NEXT) | instid1(VALU_DEP_4)
	v_mul_f32_e32 v38, 0x3fb8aa3b, v22
	v_mul_f32_e32 v40, 0x3fb8aa3b, v24
	s_delay_alu instid0(VALU_DEP_3) | instskip(SKIP_1) | instid1(VALU_DEP_4)
	v_fma_f32 v51, 0x3fb8aa3b, v20, -v34
	v_rndne_f32_e32 v52, v34
	v_fma_f32 v55, 0x3fb8aa3b, v22, -v38
	v_rndne_f32_e32 v56, v38
	v_fma_f32 v59, 0x3fb8aa3b, v24, -v40
	v_fmac_f32_e32 v51, 0x32a5705f, v20
	v_sub_f32_e32 v34, v34, v52
	v_sub_f32_e32 v19, v49, v12
	v_cvt_i32_f32_e32 v52, v52
	v_dual_fmac_f32 v55, 0x32a5705f, v22 :: v_dual_sub_f32 v38, v38, v56
	s_delay_alu instid0(VALU_DEP_4) | instskip(NEXT) | instid1(VALU_DEP_4)
	v_add_f32_e32 v34, v34, v51
	v_dual_sub_f32 v28, v29, v12 :: v_dual_mul_f32 v33, 0x3fb8aa3b, v19
	s_delay_alu instid0(VALU_DEP_3) | instskip(NEXT) | instid1(VALU_DEP_3)
	v_dual_sub_f32 v21, v37, v12 :: v_dual_add_f32 v38, v38, v55
	v_exp_f32_e32 v34, v34
	v_rndne_f32_e32 v60, v40
	v_fmac_f32_e32 v59, 0x32a5705f, v24
	s_delay_alu instid0(VALU_DEP_3)
	v_mul_f32_e32 v37, 0x3fb8aa3b, v21
	v_fma_f32 v49, 0x3fb8aa3b, v19, -v33
	v_rndne_f32_e32 v50, v33
	v_sub_f32_e32 v40, v40, v60
	v_sub_f32_e32 v23, v39, v12
	v_mul_f32_e32 v42, 0x3fb8aa3b, v28
	v_cvt_i32_f32_e32 v60, v60
	v_ldexp_f32 v34, v34, v52
	v_dual_add_f32 v40, v40, v59 :: v_dual_sub_f32 v29, v30, v12
	v_sub_f32_e32 v30, v31, v12
	v_sub_f32_e32 v17, v47, v12
	v_mul_f32_e32 v39, 0x3fb8aa3b, v23
	v_fma_f32 v63, 0x3fb8aa3b, v28, -v42
	v_rndne_f32_e32 v64, v42
	s_delay_alu instid0(VALU_DEP_4) | instskip(SKIP_1) | instid1(VALU_DEP_4)
	v_dual_mul_f32 v44, 0x3fb8aa3b, v30 :: v_dual_mul_f32 v31, 0x3fb8aa3b, v17
	v_fmac_f32_e32 v49, 0x32a5705f, v19
	v_fmac_f32_e32 v63, 0x32a5705f, v28
	s_delay_alu instid0(VALU_DEP_4)
	v_sub_f32_e32 v42, v42, v64
	v_sub_f32_e32 v25, v41, v12
	v_fma_f32 v45, 0x3fb8aa3b, v17, -v31
	v_rndne_f32_e32 v46, v31
	v_sub_f32_e32 v12, v32, v12
	v_add_f32_e32 v42, v42, v63
	v_mul_f32_e32 v32, 0x3fb8aa3b, v18
	v_fmac_f32_e32 v45, 0x32a5705f, v17
	v_sub_f32_e32 v31, v31, v46
	v_cvt_i32_f32_e32 v46, v46
	v_cmp_ngt_f32_e32 vcc_lo, 0xc2ce8ed0, v17
	v_fma_f32 v47, 0x3fb8aa3b, v18, -v32
	v_rndne_f32_e32 v48, v32
	v_add_f32_e32 v31, v31, v45
	v_mul_f32_e32 v41, 0x3fb8aa3b, v25
	v_exp_f32_e32 v40, v40
	v_fma_f32 v53, 0x3fb8aa3b, v21, -v37
	v_sub_f32_e32 v32, v32, v48
	v_exp_f32_e32 v31, v31
	v_cvt_i32_f32_e32 v48, v48
	v_rndne_f32_e32 v54, v37
	v_fmac_f32_e32 v53, 0x32a5705f, v21
	v_fma_f32 v57, 0x3fb8aa3b, v23, -v39
	v_rndne_f32_e32 v58, v39
	v_fma_f32 v61, 0x3fb8aa3b, v25, -v41
	v_ldexp_f32 v40, v40, v60
	v_sub_f32_e32 v33, v33, v50
	v_cvt_i32_f32_e32 v50, v50
	v_ldexp_f32 v31, v31, v46
	v_fmac_f32_e32 v57, 0x32a5705f, v23
	v_sub_f32_e32 v39, v39, v58
	v_add_f32_e32 v33, v33, v49
	v_rndne_f32_e32 v62, v41
	v_cndmask_b32_e32 v31, 0, v31, vcc_lo
	v_cmp_ngt_f32_e32 vcc_lo, 0xc2ce8ed0, v18
	v_fmac_f32_e32 v47, 0x32a5705f, v18
	v_exp_f32_e32 v33, v33
	v_add_f32_e32 v39, v39, v57
	v_exp_f32_e32 v38, v38
	v_cvt_i32_f32_e32 v56, v56
	v_dual_add_f32 v32, v32, v47 :: v_dual_fmac_f32 v61, 0x32a5705f, v25
	v_sub_f32_e32 v41, v41, v62
	v_exp_f32_e32 v39, v39
	v_cvt_i32_f32_e32 v58, v58
	s_delay_alu instid0(VALU_DEP_3) | instskip(SKIP_2) | instid1(TRANS32_DEP_3)
	v_exp_f32_e32 v32, v32
	v_ldexp_f32 v33, v33, v50
	v_add_f32_e32 v41, v41, v61
	v_ldexp_f32 v38, v38, v56
	v_cvt_i32_f32_e32 v62, v62
	v_exp_f32_e32 v42, v42
	v_cvt_i32_f32_e32 v64, v64
	v_exp_f32_e32 v41, v41
	v_ldexp_f32 v39, v39, v58
	v_fma_f32 v67, 0x3fb8aa3b, v30, -v44
	v_ldexp_f32 v32, v32, v48
	s_delay_alu instid0(VALU_DEP_1) | instskip(SKIP_3) | instid1(TRANS32_DEP_1)
	v_dual_fmac_f32 v67, 0x32a5705f, v30 :: v_dual_cndmask_b32 v32, 0, v32
	v_sub_f32_e32 v37, v37, v54
	v_cmp_ngt_f32_e32 vcc_lo, 0xc2ce8ed0, v19
	v_cvt_i32_f32_e32 v54, v54
	v_ldexp_f32 v41, v41, v62
	v_ldexp_f32 v42, v42, v64
	v_add_f32_e32 v37, v37, v53
	v_cndmask_b32_e32 v33, 0, v33, vcc_lo
	v_cmp_ngt_f32_e32 vcc_lo, 0xc2ce8ed0, v20
	s_delay_alu instid0(VALU_DEP_3) | instskip(SKIP_4) | instid1(VALU_DEP_1)
	v_exp_f32_e32 v37, v37
	v_cndmask_b32_e32 v34, 0, v34, vcc_lo
	v_cmp_ngt_f32_e32 vcc_lo, 0xc2ce8ed0, v21
	s_waitcnt_depctr 0xfff
	v_ldexp_f32 v37, v37, v54
	v_cndmask_b32_e32 v37, 0, v37, vcc_lo
	v_cmp_ngt_f32_e32 vcc_lo, 0xc2ce8ed0, v22
	v_dual_mul_f32 v43, 0x3fb8aa3b, v29 :: v_dual_cndmask_b32 v38, 0, v38
	v_cmp_ngt_f32_e32 vcc_lo, 0xc2ce8ed0, v23
	s_delay_alu instid0(VALU_DEP_2)
	v_fma_f32 v65, 0x3fb8aa3b, v29, -v43
	v_rndne_f32_e32 v66, v43
	v_cndmask_b32_e32 v39, 0, v39, vcc_lo
	v_cmp_ngt_f32_e32 vcc_lo, 0xc2ce8ed0, v24
	v_cndmask_b32_e32 v40, 0, v40, vcc_lo
	v_cmp_ngt_f32_e32 vcc_lo, 0xc2ce8ed0, v25
	;; [unrolled: 2-line block ×3, first 2 shown]
	v_cndmask_b32_e32 v42, 0, v42, vcc_lo
	v_cmp_nlt_f32_e32 vcc_lo, 0x42b17218, v17
	v_cndmask_b32_e32 v17, 0x7f800000, v31, vcc_lo
	v_cmp_nlt_f32_e32 vcc_lo, 0x42b17218, v18
	;; [unrolled: 2-line block ×10, first 2 shown]
	v_cndmask_b32_e32 v28, 0x7f800000, v42, vcc_lo
	v_cmp_lt_i32_e32 vcc_lo, 0, v13
	v_cndmask_b32_e32 v17, 0, v17, vcc_lo
	v_cmp_lt_i32_e32 vcc_lo, 32, v13
	s_waitcnt vmcnt(12)
	s_delay_alu instid0(VALU_DEP_2) | instskip(SKIP_3) | instid1(VALU_DEP_3)
	v_dual_mul_f32 v17, v26, v17 :: v_dual_cndmask_b32 v18, 0, v18
	v_cmp_lt_i32_e32 vcc_lo, 64, v13
	v_cvt_i32_f32_e32 v26, v66
	s_waitcnt vmcnt(11)
	v_dual_mul_f32 v18, v27, v18 :: v_dual_cndmask_b32 v19, 0, v19
	v_cmp_lt_i32_e32 vcc_lo, 0x60, v13
	v_cndmask_b32_e32 v20, 0, v20, vcc_lo
	v_cmp_lt_i32_e32 vcc_lo, 0x80, v13
	s_waitcnt vmcnt(9)
	s_delay_alu instid0(VALU_DEP_2) | instskip(SKIP_3) | instid1(VALU_DEP_2)
	v_dual_fmac_f32 v65, 0x32a5705f, v29 :: v_dual_mul_f32 v20, v36, v20
	v_cndmask_b32_e32 v21, 0, v21, vcc_lo
	v_cmp_lt_i32_e32 vcc_lo, 0xa0, v13
	s_waitcnt vmcnt(8)
	v_dual_mul_f32 v9, v9, v21 :: v_dual_cndmask_b32 v22, 0, v22
	v_cmp_lt_i32_e32 vcc_lo, 0xc0, v13
	v_rndne_f32_e32 v21, v44
	s_waitcnt vmcnt(7)
	s_delay_alu instid0(VALU_DEP_3) | instskip(SKIP_2) | instid1(VALU_DEP_2)
	v_dual_mul_f32 v10, v10, v22 :: v_dual_cndmask_b32 v23, 0, v23
	v_cmp_lt_i32_e32 vcc_lo, 0xe0, v13
	s_waitcnt vmcnt(6)
	v_dual_mul_f32 v11, v11, v23 :: v_dual_cndmask_b32 v24, 0, v24
	v_sub_f32_e32 v43, v43, v66
	v_cmp_lt_i32_e32 vcc_lo, 0x100, v13
	v_mul_f32_e32 v23, 0x3fb8aa3b, v12
	s_waitcnt vmcnt(5)
	s_delay_alu instid0(VALU_DEP_3) | instskip(SKIP_3) | instid1(VALU_DEP_4)
	v_dual_mul_f32 v2, v2, v24 :: v_dual_add_f32 v43, v43, v65
	v_dual_add_f32 v24, v17, v18 :: v_dual_cndmask_b32 v25, 0, v25
	v_cmp_lt_i32_e32 vcc_lo, 0x120, v13
	v_fma_f32 v27, 0x3fb8aa3b, v12, -v23
	v_exp_f32_e32 v22, v43
	s_waitcnt vmcnt(4)
	v_dual_mul_f32 v3, v3, v25 :: v_dual_cndmask_b32 v28, 0, v28
	v_sub_f32_e32 v25, v44, v21
	v_cmp_ngt_f32_e32 vcc_lo, 0xc2ce8ed0, v29
	v_fmac_f32_e32 v27, 0x32a5705f, v12
	v_cvt_i32_f32_e32 v21, v21
	s_waitcnt vmcnt(3)
	v_mul_f32_e32 v4, v4, v28
	v_rndne_f32_e32 v28, v23
	v_add_f32_e32 v25, v25, v67
	v_ldexp_f32 v22, v22, v26
	s_delay_alu instid0(VALU_DEP_3) | instskip(NEXT) | instid1(VALU_DEP_3)
	v_sub_f32_e32 v23, v23, v28
	v_exp_f32_e32 v25, v25
	s_delay_alu instid0(VALU_DEP_2) | instskip(SKIP_1) | instid1(VALU_DEP_2)
	v_cndmask_b32_e32 v22, 0, v22, vcc_lo
	v_cmp_nlt_f32_e32 vcc_lo, 0x42b17218, v29
	v_dual_add_f32 v23, v23, v27 :: v_dual_cndmask_b32 v22, 0x7f800000, v22
	v_cmp_lt_i32_e32 vcc_lo, 0x140, v13
	s_delay_alu instid0(VALU_DEP_2)
	v_exp_f32_e32 v23, v23
	s_waitcnt_depctr 0xfff
	v_ldexp_f32 v21, v25, v21
	v_cvt_i32_f32_e32 v25, v28
	v_cndmask_b32_e32 v22, 0, v22, vcc_lo
	v_cmp_ngt_f32_e32 vcc_lo, 0xc2ce8ed0, v30
	s_waitcnt vmcnt(2)
	s_delay_alu instid0(VALU_DEP_2) | instskip(SKIP_3) | instid1(VALU_DEP_3)
	v_mul_f32_e32 v5, v5, v22
	v_cndmask_b32_e32 v21, 0, v21, vcc_lo
	v_cmp_nlt_f32_e32 vcc_lo, 0x42b17218, v30
	v_ldexp_f32 v22, v23, v25
	v_cndmask_b32_e32 v21, 0x7f800000, v21, vcc_lo
	v_cmp_ngt_f32_e32 vcc_lo, 0xc2ce8ed0, v12
	s_delay_alu instid0(VALU_DEP_3) | instskip(SKIP_1) | instid1(VALU_DEP_4)
	v_cndmask_b32_e32 v22, 0, v22, vcc_lo
	v_cmp_lt_i32_e32 vcc_lo, 0x160, v13
	v_cndmask_b32_e32 v21, 0, v21, vcc_lo
	v_cmp_nlt_f32_e32 vcc_lo, 0x42b17218, v12
	v_mul_f32_e32 v19, v35, v19
	s_waitcnt vmcnt(1)
	s_delay_alu instid0(VALU_DEP_3) | instskip(NEXT) | instid1(VALU_DEP_2)
	v_dual_mul_f32 v15, v15, v21 :: v_dual_cndmask_b32 v12, 0x7f800000, v22
	v_add_f32_e32 v24, v24, v19
	v_cmp_lt_i32_e32 vcc_lo, 0x180, v13
	s_delay_alu instid0(VALU_DEP_2) | instskip(NEXT) | instid1(VALU_DEP_4)
	v_add_f32_e32 v24, v24, v20
	v_cndmask_b32_e32 v12, 0, v12, vcc_lo
	s_waitcnt vmcnt(0)
	s_delay_alu instid0(VALU_DEP_1) | instskip(NEXT) | instid1(VALU_DEP_1)
	v_dual_add_f32 v24, v24, v9 :: v_dual_mul_f32 v7, v7, v12
	v_add_f32_e32 v24, v24, v10
	s_delay_alu instid0(VALU_DEP_1) | instskip(NEXT) | instid1(VALU_DEP_1)
	v_add_f32_e32 v24, v24, v11
	v_add_f32_e32 v23, v24, v2
	s_delay_alu instid0(VALU_DEP_1) | instskip(NEXT) | instid1(VALU_DEP_1)
	v_add_f32_e32 v23, v23, v3
	;; [unrolled: 3-line block ×3, first 2 shown]
	v_add_f32_e32 v12, v13, v15
	s_delay_alu instid0(VALU_DEP_1)
	v_add_f32_e32 v12, v12, v7
	ds_bpermute_b32 v1, v1, v12
	s_waitcnt lgkmcnt(0)
	v_add_f32_e32 v1, v12, v1
	ds_bpermute_b32 v6, v6, v1
	s_waitcnt lgkmcnt(0)
	;; [unrolled: 3-line block ×3, first 2 shown]
	v_add_f32_e32 v1, v1, v6
	ds_bpermute_b32 v6, v8, v1
	v_lshlrev_b32_e32 v8, 2, v0
	s_delay_alu instid0(VALU_DEP_1)
	v_add_nc_u32_e32 v12, 0x400, v8
	ds_store_2addr_b32 v8, v17, v18 offset1:32
	ds_store_2addr_b32 v8, v19, v20 offset0:64 offset1:96
	ds_store_2addr_b32 v8, v9, v10 offset0:128 offset1:160
	;; [unrolled: 1-line block ×3, first 2 shown]
	ds_store_2addr_b32 v12, v3, v4 offset1:32
	ds_store_2addr_b32 v12, v5, v15 offset0:64 offset1:96
	ds_store_b32 v8, v7 offset:1536
	s_waitcnt lgkmcnt(7)
	v_add_f32_e32 v1, v1, v6
	ds_bpermute_b32 v6, v16, v1
	v_cmpx_eq_u32_e32 0, v0
	s_cbranch_execz .LBB418_8
; %bb.7:
	s_waitcnt lgkmcnt(0)
	v_dual_add_f32 v1, v1, v6 :: v_dual_mov_b32 v2, 0
	ds_store_b32 v2, v1 offset:1664
.LBB418_8:
	s_or_b32 exec_lo, exec_lo, s7
	v_mov_b32_e32 v1, s6
.LBB418_9:
	s_or_b32 exec_lo, exec_lo, s24
	s_lshl_b32 s6, s18, 6
	s_mov_b32 s7, 0
	s_delay_alu instid0(VALU_DEP_1)
	v_dual_mov_b32 v2, 0 :: v_dual_lshlrev_b32 v1, 6, v1
	s_lshl_b64 s[6:7], s[6:7], 1
	v_dual_mov_b32 v31, 0 :: v_dual_mov_b32 v32, 0
	s_add_u32 s34, s4, s6
	s_addc_u32 s35, s5, s7
	s_lshl_b32 s41, s40, 6
	v_lshlrev_b64 v[3:4], 1, v[1:2]
	s_sub_i32 s42, s41, 64
	s_cmpk_lt_i32 s22, 0x100
	v_lshlrev_b32_e32 v1, 1, v0
	s_cselect_b32 s4, s42, 0
	v_dual_mov_b32 v33, 0 :: v_dual_mov_b32 v34, 0
	s_ashr_i32 s5, s4, 31
	v_add_co_u32 v3, vcc_lo, s34, v3
	s_lshl_b64 s[4:5], s[4:5], 1
	s_cmpk_lt_i32 s22, 0x200
	v_add_co_ci_u32_e32 v4, vcc_lo, s35, v4, vcc_lo
	s_cselect_b32 s6, s42, 64
	v_add_co_u32 v1, vcc_lo, v3, v1
	s_ashr_i32 s7, s6, 31
	s_delay_alu instid0(VALU_DEP_2)
	v_add_co_ci_u32_e32 v3, vcc_lo, 0, v4, vcc_lo
	s_lshl_b64 s[6:7], s[6:7], 1
	s_cmpk_lt_i32 s22, 0x300
	v_add_co_u32 v4, vcc_lo, v1, s4
	s_cselect_b32 s8, s42, 0x80
	v_add_co_ci_u32_e32 v5, vcc_lo, s5, v3, vcc_lo
	s_ashr_i32 s9, s8, 31
	s_waitcnt lgkmcnt(0)
	v_add_co_u32 v6, vcc_lo, v1, s6
	s_lshl_b64 s[8:9], s[8:9], 1
	s_cmpk_lt_i32 s22, 0x400
	v_add_co_ci_u32_e32 v7, vcc_lo, s7, v3, vcc_lo
	s_cselect_b32 s10, s42, 0xc0
	v_add_co_u32 v8, vcc_lo, v1, s8
	s_ashr_i32 s11, s10, 31
	v_add_co_ci_u32_e32 v9, vcc_lo, s9, v3, vcc_lo
	s_lshl_b64 s[10:11], s[10:11], 1
	s_cmpk_lt_i32 s22, 0x500
	v_add_co_u32 v11, vcc_lo, v1, s10
	s_cselect_b32 s18, s42, 0x100
	v_add_co_ci_u32_e32 v12, vcc_lo, s11, v3, vcc_lo
	s_ashr_i32 s19, s18, 31
	v_mov_b32_e32 v35, 0
	s_lshl_b64 s[18:19], s[18:19], 1
	s_cmpk_lt_i32 s22, 0x600
	v_add_co_u32 v14, vcc_lo, v1, s18
	s_cselect_b32 s20, s42, 0x140
	v_add_co_ci_u32_e32 v15, vcc_lo, s19, v3, vcc_lo
	s_ashr_i32 s21, s20, 31
	v_mov_b32_e32 v30, 0
	s_lshl_b64 s[20:21], s[20:21], 1
	s_cmpk_lt_i32 s22, 0x700
	v_add_co_u32 v16, vcc_lo, v1, s20
	s_cselect_b32 s24, s42, 0x180
	v_add_co_ci_u32_e32 v17, vcc_lo, s21, v3, vcc_lo
	s_ashr_i32 s25, s24, 31
	s_delay_alu instid0(SALU_CYCLE_1)
	s_lshl_b64 s[24:25], s[24:25], 1
	s_cmpk_lt_i32 s22, 0x800
	v_add_co_u32 v18, vcc_lo, v1, s24
	s_cselect_b32 s26, s42, 0x1c0
	v_add_co_ci_u32_e32 v19, vcc_lo, s25, v3, vcc_lo
	s_ashr_i32 s27, s26, 31
	s_delay_alu instid0(SALU_CYCLE_1)
	s_lshl_b64 s[26:27], s[26:27], 1
	s_cmpk_lt_i32 s22, 0x900
	v_add_co_u32 v20, vcc_lo, v1, s26
	s_cselect_b32 s28, s42, 0x200
	v_add_co_ci_u32_e32 v21, vcc_lo, s27, v3, vcc_lo
	s_ashr_i32 s29, s28, 31
	s_clause 0x7
	global_load_u16 v13, v[4:5], off
	global_load_u16 v4, v[6:7], off
	;; [unrolled: 1-line block ×8, first 2 shown]
	s_lshl_b64 s[28:29], s[28:29], 1
	s_cmpk_lt_i32 s22, 0xa00
	v_add_co_u32 v11, vcc_lo, v1, s28
	s_cselect_b32 s30, s42, 0x240
	v_add_co_ci_u32_e32 v12, vcc_lo, s29, v3, vcc_lo
	s_ashr_i32 s31, s30, 31
	s_delay_alu instid0(SALU_CYCLE_1)
	s_lshl_b64 s[30:31], s[30:31], 1
	s_cmpk_lt_i32 s22, 0xb00
	v_add_co_u32 v14, vcc_lo, v1, s30
	s_cselect_b32 s34, s42, 0x280
	v_add_co_ci_u32_e32 v15, vcc_lo, s31, v3, vcc_lo
	s_ashr_i32 s35, s34, 31
	s_delay_alu instid0(SALU_CYCLE_1)
	;; [unrolled: 7-line block ×7, first 2 shown]
	s_lshl_b64 s[4:5], s[6:7], 1
	s_cmpk_gt_i32 s23, 0x1000
	v_add_co_u32 v28, vcc_lo, v1, s4
	v_add_co_ci_u32_e32 v29, vcc_lo, s5, v3, vcc_lo
	s_clause 0x7
	global_load_u16 v19, v[11:12], off
	global_load_u16 v18, v[14:15], off
	;; [unrolled: 1-line block ×8, first 2 shown]
	v_dual_mov_b32 v20, 0 :: v_dual_mov_b32 v21, 0
	v_dual_mov_b32 v22, 0 :: v_dual_mov_b32 v23, 0
	;; [unrolled: 1-line block ×5, first 2 shown]
	s_cselect_b32 s6, -1, 0
	s_cmpk_lt_i32 s23, 0x1001
	s_waitcnt vmcnt(0)
	s_barrier
	buffer_gl0_inv
	s_cbranch_scc1 .LBB418_11
; %bb.10:
	s_cmpk_lt_i32 s22, 0x1100
	s_cselect_b32 s4, s42, 0x400
	s_delay_alu instid0(SALU_CYCLE_1) | instskip(NEXT) | instid1(SALU_CYCLE_1)
	s_ashr_i32 s5, s4, 31
	s_lshl_b64 s[4:5], s[4:5], 1
	s_cmpk_lt_i32 s22, 0x1200
	v_add_co_u32 v20, vcc_lo, v1, s4
	s_cselect_b32 s8, s42, 0x440
	v_add_co_ci_u32_e32 v21, vcc_lo, s5, v3, vcc_lo
	s_ashr_i32 s9, s8, 31
	s_delay_alu instid0(SALU_CYCLE_1)
	s_lshl_b64 s[8:9], s[8:9], 1
	s_cmpk_lt_i32 s22, 0x1300
	v_add_co_u32 v22, vcc_lo, v1, s8
	s_cselect_b32 s10, s42, 0x480
	v_add_co_ci_u32_e32 v23, vcc_lo, s9, v3, vcc_lo
	s_ashr_i32 s11, s10, 31
	s_delay_alu instid0(SALU_CYCLE_1)
	;; [unrolled: 7-line block ×14, first 2 shown]
	s_lshl_b64 s[4:5], s[18:19], 1
	s_cmpk_lt_i32 s22, 0x2000
	v_add_co_u32 v48, vcc_lo, v1, s4
	s_cselect_b32 s8, s42, 0x7c0
	v_add_co_ci_u32_e32 v49, vcc_lo, s5, v3, vcc_lo
	s_ashr_i32 s9, s8, 31
	s_delay_alu instid0(SALU_CYCLE_1) | instskip(NEXT) | instid1(SALU_CYCLE_1)
	s_lshl_b64 s[4:5], s[8:9], 1
	v_add_co_u32 v50, vcc_lo, v1, s4
	v_add_co_ci_u32_e32 v51, vcc_lo, s5, v3, vcc_lo
	s_clause 0xf
	global_load_u16 v20, v[20:21], off
	global_load_u16 v21, v[22:23], off
	;; [unrolled: 1-line block ×16, first 2 shown]
	s_waitcnt vmcnt(15)
	v_lshlrev_b32_e32 v35, 16, v20
	s_waitcnt vmcnt(14)
	v_lshlrev_b32_e32 v34, 16, v21
	;; [unrolled: 2-line block ×16, first 2 shown]
.LBB418_11:
	ds_load_b128 v[36:39], v2
	ds_load_b128 v[40:43], v2 offset:16
	v_lshlrev_b32_e32 v44, 16, v4
	v_lshlrev_b32_e32 v13, 16, v13
	;; [unrolled: 1-line block ×5, first 2 shown]
	s_load_b64 s[0:1], s[0:1], 0x0
	s_and_b32 vcc_lo, exec_lo, s6
	v_lshlrev_b32_e32 v5, 16, v5
	s_waitcnt lgkmcnt(0)
	v_fma_f32 v4, v36, v13, 0
	s_delay_alu instid0(VALU_DEP_1) | instskip(NEXT) | instid1(VALU_DEP_1)
	v_dual_fmac_f32 v4, v37, v44 :: v_dual_lshlrev_b32 v13, 16, v7
	v_dual_fmac_f32 v4, v38, v10 :: v_dual_lshlrev_b32 v9, 16, v9
	s_delay_alu instid0(VALU_DEP_1) | instskip(SKIP_4) | instid1(VALU_DEP_1)
	v_fmac_f32_e32 v4, v39, v9
	ds_load_b128 v[36:39], v2 offset:48
	v_fmac_f32_e32 v4, v40, v8
	ds_load_b128 v[7:10], v2 offset:32
	v_fmac_f32_e32 v4, v41, v13
	v_fmac_f32_e32 v4, v42, v6
	v_lshlrev_b32_e32 v6, 16, v19
	s_delay_alu instid0(VALU_DEP_2) | instskip(SKIP_1) | instid1(VALU_DEP_1)
	v_dual_fmac_f32 v4, v43, v5 :: v_dual_lshlrev_b32 v5, 16, v18
	s_waitcnt lgkmcnt(0)
	v_fmac_f32_e32 v4, v7, v6
	v_lshlrev_b32_e32 v6, 16, v17
	s_delay_alu instid0(VALU_DEP_2) | instskip(NEXT) | instid1(VALU_DEP_1)
	v_dual_fmac_f32 v4, v8, v5 :: v_dual_lshlrev_b32 v5, 16, v16
	v_fmac_f32_e32 v4, v9, v6
	v_lshlrev_b32_e32 v6, 16, v15
	s_delay_alu instid0(VALU_DEP_2) | instskip(NEXT) | instid1(VALU_DEP_1)
	v_dual_fmac_f32 v4, v10, v5 :: v_dual_lshlrev_b32 v5, 16, v14
	;; [unrolled: 4-line block ×3, first 2 shown]
	v_fmac_f32_e32 v4, v38, v6
	s_delay_alu instid0(VALU_DEP_1)
	v_fmac_f32_e32 v4, v39, v5
	s_cbranch_vccz .LBB418_13
; %bb.12:
	ds_load_b128 v[5:8], v2 offset:64
	ds_load_b128 v[9:12], v2 offset:80
	s_waitcnt lgkmcnt(1)
	v_fmac_f32_e32 v4, v5, v35
	s_delay_alu instid0(VALU_DEP_1) | instskip(NEXT) | instid1(VALU_DEP_1)
	v_fmac_f32_e32 v4, v6, v34
	v_fmac_f32_e32 v4, v7, v33
	s_delay_alu instid0(VALU_DEP_1) | instskip(SKIP_3) | instid1(VALU_DEP_1)
	v_fmac_f32_e32 v4, v8, v32
	ds_load_b128 v[5:8], v2 offset:96
	s_waitcnt lgkmcnt(1)
	v_fmac_f32_e32 v4, v9, v31
	v_fmac_f32_e32 v4, v10, v30
	s_delay_alu instid0(VALU_DEP_1) | instskip(NEXT) | instid1(VALU_DEP_1)
	v_fmac_f32_e32 v4, v11, v29
	v_fmac_f32_e32 v4, v12, v28
	ds_load_b128 v[9:12], v2 offset:112
	s_waitcnt lgkmcnt(1)
	v_fmac_f32_e32 v4, v5, v27
	s_delay_alu instid0(VALU_DEP_1) | instskip(NEXT) | instid1(VALU_DEP_1)
	v_fmac_f32_e32 v4, v6, v26
	v_fmac_f32_e32 v4, v7, v25
	s_delay_alu instid0(VALU_DEP_1) | instskip(SKIP_1) | instid1(VALU_DEP_1)
	v_fmac_f32_e32 v4, v8, v24
	s_waitcnt lgkmcnt(0)
	v_fmac_f32_e32 v4, v9, v23
	s_delay_alu instid0(VALU_DEP_1) | instskip(NEXT) | instid1(VALU_DEP_1)
	v_fmac_f32_e32 v4, v10, v22
	v_fmac_f32_e32 v4, v11, v21
	s_delay_alu instid0(VALU_DEP_1)
	v_fmac_f32_e32 v4, v12, v20
.LBB418_13:
	s_movk_i32 s43, 0xfc0
	s_movk_i32 s44, 0x80
	s_mov_b32 s45, 32
	s_branch .LBB418_15
.LBB418_14:                             ;   in Loop: Header=BB418_15 Depth=1
	s_addk_i32 s43, 0x800
	s_addk_i32 s44, 0x80
	s_add_i32 s45, s45, 32
	s_cmpk_eq_i32 s43, 0x6fc0
	s_cbranch_scc1 .LBB418_17
.LBB418_15:                             ; =>This Inner Loop Header: Depth=1
	s_cmp_le_i32 s40, s45
	s_cbranch_scc1 .LBB418_14
; %bb.16:                               ;   in Loop: Header=BB418_15 Depth=1
	s_add_i32 s4, s43, 0xfffff840
	v_mov_b32_e32 v44, s44
	s_cmp_lt_i32 s4, s41
	s_cselect_b32 s4, s4, s42
	s_add_i32 s6, s43, 0xfffff880
	s_ashr_i32 s5, s4, 31
	s_delay_alu instid0(SALU_CYCLE_1)
	s_lshl_b64 s[38:39], s[4:5], 1
	s_cmp_lt_i32 s6, s41
	v_add_co_u32 v5, vcc_lo, v1, s38
	s_cselect_b32 s4, s6, s42
	s_add_i32 s6, s43, 0xfffff8c0
	s_ashr_i32 s5, s4, 31
	v_add_co_ci_u32_e32 v6, vcc_lo, s39, v3, vcc_lo
	s_lshl_b64 s[4:5], s[4:5], 1
	s_cmp_lt_i32 s6, s41
	s_cselect_b32 s6, s6, s42
	s_add_i32 s8, s43, 0xfffff900
	s_ashr_i32 s7, s6, 31
	global_load_u16 v2, v[5:6], off
	s_lshl_b64 s[6:7], s[6:7], 1
	s_cmp_lt_i32 s8, s41
	v_add_co_u32 v5, vcc_lo, v1, s4
	s_cselect_b32 s8, s8, s42
	s_add_i32 s10, s43, 0xfffff940
	s_ashr_i32 s9, s8, 31
	v_add_co_ci_u32_e32 v6, vcc_lo, s5, v3, vcc_lo
	s_lshl_b64 s[8:9], s[8:9], 1
	s_cmp_lt_i32 s10, s41
	v_add_co_u32 v7, vcc_lo, v1, s6
	s_cselect_b32 s10, s10, s42
	s_add_i32 s18, s43, 0xfffff980
	s_ashr_i32 s11, s10, 31
	v_add_co_ci_u32_e32 v8, vcc_lo, s7, v3, vcc_lo
	s_lshl_b64 s[10:11], s[10:11], 1
	s_cmp_lt_i32 s18, s41
	v_add_co_u32 v9, vcc_lo, v1, s8
	s_cselect_b32 s18, s18, s42
	s_add_i32 s20, s43, 0xfffff9c0
	s_ashr_i32 s19, s18, 31
	s_clause 0x1
	global_load_u16 v23, v[5:6], off
	global_load_u16 v24, v[7:8], off
	s_lshl_b64 s[18:19], s[18:19], 1
	s_cmp_lt_i32 s20, s41
	v_add_co_ci_u32_e32 v10, vcc_lo, s9, v3, vcc_lo
	s_cselect_b32 s20, s20, s42
	s_add_i32 s22, s43, 0xfffffa00
	s_ashr_i32 s21, s20, 31
	global_load_u16 v25, v[9:10], off
	s_lshl_b64 s[20:21], s[20:21], 1
	s_cmp_lt_i32 s22, s41
	v_add_co_u32 v11, vcc_lo, v1, s10
	s_cselect_b32 s22, s22, s42
	s_add_i32 s24, s43, 0xfffffa40
	s_ashr_i32 s23, s22, 31
	v_add_co_ci_u32_e32 v12, vcc_lo, s11, v3, vcc_lo
	s_lshl_b64 s[22:23], s[22:23], 1
	s_cmp_lt_i32 s24, s41
	v_add_co_u32 v13, vcc_lo, v1, s18
	global_load_u16 v26, v[11:12], off
	s_cselect_b32 s24, s24, s42
	s_add_i32 s26, s43, 0xfffffa80
	s_ashr_i32 s25, s24, 31
	v_add_co_ci_u32_e32 v14, vcc_lo, s19, v3, vcc_lo
	s_lshl_b64 s[24:25], s[24:25], 1
	s_cmp_lt_i32 s26, s41
	v_add_co_u32 v15, vcc_lo, v1, s20
	global_load_u16 v27, v[13:14], off
	s_cselect_b32 s26, s26, s42
	s_add_i32 s28, s43, 0xfffffac0
	s_ashr_i32 s27, s26, 31
	v_add_co_ci_u32_e32 v16, vcc_lo, s21, v3, vcc_lo
	s_lshl_b64 s[36:37], s[26:27], 1
	s_cmp_lt_i32 s28, s41
	v_add_co_u32 v17, vcc_lo, v1, s22
	s_cselect_b32 s26, s28, s42
	s_add_i32 s30, s43, 0xfffffb00
	s_ashr_i32 s27, s26, 31
	v_add_co_ci_u32_e32 v18, vcc_lo, s23, v3, vcc_lo
	s_lshl_b64 s[28:29], s[26:27], 1
	s_cmp_lt_i32 s30, s41
	v_add_co_u32 v19, vcc_lo, v1, s24
	global_load_u16 v17, v[17:18], off
	s_cselect_b32 s26, s30, s42
	s_add_i32 s30, s43, 0xfffffb40
	s_ashr_i32 s27, s26, 31
	v_add_co_ci_u32_e32 v20, vcc_lo, s25, v3, vcc_lo
	s_lshl_b64 s[26:27], s[26:27], 1
	s_cmp_lt_i32 s30, s41
	v_add_co_u32 v21, vcc_lo, v1, s36
	s_cselect_b32 s30, s30, s42
	s_add_i32 s46, s43, 0xfffffb80
	s_ashr_i32 s31, s30, 31
	v_add_co_ci_u32_e32 v22, vcc_lo, s37, v3, vcc_lo
	s_lshl_b64 s[34:35], s[30:31], 1
	s_cmp_lt_i32 s46, s41
	v_add_co_u32 v5, vcc_lo, v1, s28
	;; [unrolled: 7-line block ×3, first 2 shown]
	s_cselect_b32 s46, s46, s42
	s_add_i32 s48, s43, 0xfffffc00
	s_ashr_i32 s47, s46, 31
	global_load_u16 v28, v[15:16], off
	s_lshl_b64 s[38:39], s[46:47], 1
	s_cmp_lt_i32 s48, s41
	v_add_co_ci_u32_e32 v8, vcc_lo, s27, v3, vcc_lo
	s_cselect_b32 s46, s48, s42
	v_add_co_u32 v9, vcc_lo, v1, s34
	s_ashr_i32 s47, s46, 31
	s_add_i32 s4, s43, 0xfffffc40
	s_lshl_b64 s[46:47], s[46:47], 1
	v_add_co_ci_u32_e32 v10, vcc_lo, s35, v3, vcc_lo
	s_cmp_lt_i32 s4, s41
	v_add_co_u32 v11, vcc_lo, v1, s30
	s_cselect_b32 s4, s4, s42
	v_add_co_ci_u32_e32 v12, vcc_lo, s31, v3, vcc_lo
	v_add_co_u32 v13, vcc_lo, v1, s38
	s_ashr_i32 s5, s4, 31
	s_add_i32 s6, s43, 0xfffffc80
	v_add_co_ci_u32_e32 v14, vcc_lo, s39, v3, vcc_lo
	global_load_u16 v18, v[19:20], off
	s_lshl_b64 s[8:9], s[4:5], 1
	s_cmp_lt_i32 s6, s41
	global_load_u16 v30, v[13:14], off
	s_cselect_b32 s4, s6, s42
	global_load_u16 v19, v[21:22], off
	s_ashr_i32 s5, s4, 31
	s_add_i32 s6, s43, 0xfffffcc0
	s_lshl_b64 s[10:11], s[4:5], 1
	s_cmp_lt_i32 s6, s41
	s_clause 0x3
	global_load_u16 v20, v[5:6], off
	global_load_u16 v21, v[7:8], off
	;; [unrolled: 1-line block ×4, first 2 shown]
	s_cselect_b32 s4, s6, s42
	s_add_i32 s6, s43, 0xfffffd00
	s_ashr_i32 s5, s4, 31
	v_add_co_u32 v15, vcc_lo, v1, s46
	s_lshl_b64 s[4:5], s[4:5], 1
	s_cmp_lt_i32 s6, s41
	v_add_co_ci_u32_e32 v16, vcc_lo, s47, v3, vcc_lo
	s_cselect_b32 s6, s6, s42
	s_add_i32 s18, s43, 0xfffffd40
	s_ashr_i32 s7, s6, 31
	v_add_co_u32 v5, vcc_lo, v1, s8
	s_lshl_b64 s[6:7], s[6:7], 1
	s_cmp_lt_i32 s18, s41
	v_add_co_ci_u32_e32 v6, vcc_lo, s9, v3, vcc_lo
	s_cselect_b32 s18, s18, s42
	v_add_co_u32 v7, vcc_lo, v1, s10
	s_ashr_i32 s19, s18, 31
	s_add_i32 s20, s43, 0xfffffd80
	s_lshl_b64 s[18:19], s[18:19], 1
	v_add_co_ci_u32_e32 v8, vcc_lo, s11, v3, vcc_lo
	s_cmp_lt_i32 s20, s41
	v_add_co_u32 v9, vcc_lo, v1, s4
	s_cselect_b32 s20, s20, s42
	v_add_co_ci_u32_e32 v10, vcc_lo, s5, v3, vcc_lo
	v_add_co_u32 v11, vcc_lo, v1, s6
	s_ashr_i32 s21, s20, 31
	s_add_i32 s22, s43, 0xfffffdc0
	v_add_co_ci_u32_e32 v12, vcc_lo, s7, v3, vcc_lo
	global_load_u16 v15, v[15:16], off
	s_lshl_b64 s[20:21], s[20:21], 1
	s_cmp_lt_i32 s22, s41
	global_load_u16 v33, v[11:12], off
	s_cselect_b32 s22, s22, s42
	s_clause 0x2
	global_load_u16 v16, v[5:6], off
	global_load_u16 v31, v[7:8], off
	;; [unrolled: 1-line block ×3, first 2 shown]
	s_ashr_i32 s23, s22, 31
	s_add_i32 s24, s43, 0xfffffe00
	s_lshl_b64 s[22:23], s[22:23], 1
	s_cmp_lt_i32 s24, s41
	v_add_co_u32 v13, vcc_lo, v1, s18
	s_cselect_b32 s24, s24, s42
	s_add_i32 s26, s43, 0xfffffe40
	s_ashr_i32 s25, s24, 31
	v_add_co_ci_u32_e32 v14, vcc_lo, s19, v3, vcc_lo
	s_lshl_b64 s[24:25], s[24:25], 1
	s_cmp_lt_i32 s26, s41
	v_add_co_u32 v5, vcc_lo, v1, s20
	s_cselect_b32 s8, s26, s42
	v_add_co_ci_u32_e32 v6, vcc_lo, s21, v3, vcc_lo
	s_ashr_i32 s9, s8, 31
	v_add_co_u32 v7, vcc_lo, v1, s22
	s_add_i32 s10, s43, 0xfffffe80
	s_lshl_b64 s[8:9], s[8:9], 1
	v_add_co_ci_u32_e32 v8, vcc_lo, s23, v3, vcc_lo
	s_cmp_lt_i32 s10, s41
	v_add_co_u32 v9, vcc_lo, v1, s24
	s_cselect_b32 s4, s10, s42
	global_load_u16 v13, v[13:14], off
	v_add_co_ci_u32_e32 v10, vcc_lo, s25, v3, vcc_lo
	s_ashr_i32 s5, s4, 31
	s_add_i32 s6, s43, 0xfffffec0
	s_lshl_b64 s[4:5], s[4:5], 1
	global_load_u16 v35, v[9:10], off
	s_cmp_lt_i32 s6, s41
	s_clause 0x1
	global_load_u16 v14, v[5:6], off
	global_load_u16 v34, v[7:8], off
	s_cselect_b32 s6, s6, s42
	s_add_i32 s10, s43, 0xffffff00
	s_ashr_i32 s7, s6, 31
	v_add_co_u32 v5, vcc_lo, v1, s8
	s_lshl_b64 s[6:7], s[6:7], 1
	s_cmp_lt_i32 s10, s41
	v_add_co_ci_u32_e32 v6, vcc_lo, s9, v3, vcc_lo
	s_cselect_b32 s10, s10, s42
	v_add_co_u32 v7, vcc_lo, v1, s4
	s_ashr_i32 s11, s10, 31
	v_add_co_ci_u32_e32 v8, vcc_lo, s5, v3, vcc_lo
	s_add_i32 s18, s43, 0xffffff40
	s_lshl_b64 s[10:11], s[10:11], 1
	s_cmp_lt_i32 s18, s41
	s_clause 0x1
	global_load_u16 v36, v[5:6], off
	global_load_u16 v37, v[7:8], off
	s_cselect_b32 s18, s18, s42
	v_add_co_u32 v5, vcc_lo, v1, s6
	s_ashr_i32 s19, s18, 31
	v_add_co_ci_u32_e32 v6, vcc_lo, s7, v3, vcc_lo
	s_add_i32 s20, s43, 0xffffff80
	v_add_co_u32 v7, vcc_lo, v1, s10
	s_lshl_b64 s[8:9], s[18:19], 1
	s_cmp_lt_i32 s20, s41
	v_add_co_ci_u32_e32 v8, vcc_lo, s11, v3, vcc_lo
	s_cselect_b32 s4, s20, s42
	global_load_u16 v38, v[5:6], off
	s_ashr_i32 s5, s4, 31
	global_load_u16 v39, v[7:8], off
	s_sub_i32 s18, s43, 64
	v_add_co_u32 v5, vcc_lo, v1, s8
	s_lshl_b64 s[4:5], s[4:5], 1
	s_cmp_lt_i32 s18, s41
	v_add_co_ci_u32_e32 v6, vcc_lo, s9, v3, vcc_lo
	v_add_co_u32 v7, vcc_lo, v1, s4
	s_cselect_b32 s6, s18, s42
	v_add_co_ci_u32_e32 v8, vcc_lo, s5, v3, vcc_lo
	s_ashr_i32 s7, s6, 31
	global_load_u16 v40, v[5:6], off
	s_lshl_b64 s[6:7], s[6:7], 1
	global_load_u16 v41, v[7:8], off
	s_cmp_lt_i32 s43, s41
	v_add_co_u32 v5, vcc_lo, v1, s6
	s_cselect_b32 s4, s43, s42
	v_add_co_ci_u32_e32 v6, vcc_lo, s7, v3, vcc_lo
	s_ashr_i32 s5, s4, 31
	s_delay_alu instid0(SALU_CYCLE_1)
	s_lshl_b64 s[4:5], s[4:5], 1
	global_load_u16 v42, v[5:6], off
	v_add_co_u32 v5, vcc_lo, v1, s4
	v_add_co_ci_u32_e32 v6, vcc_lo, s5, v3, vcc_lo
	global_load_u16 v43, v[5:6], off
	ds_load_b128 v[5:8], v44
	ds_load_b128 v[9:12], v44 offset:16
	s_waitcnt vmcnt(31)
	v_lshlrev_b32_e32 v2, 16, v2
	s_waitcnt lgkmcnt(1)
	s_delay_alu instid0(VALU_DEP_1) | instskip(SKIP_2) | instid1(VALU_DEP_1)
	v_fmac_f32_e32 v4, v5, v2
	s_waitcnt vmcnt(30)
	v_lshlrev_b32_e32 v2, 16, v23
	v_fmac_f32_e32 v4, v6, v2
	s_waitcnt vmcnt(29)
	v_lshlrev_b32_e32 v2, 16, v24
	s_delay_alu instid0(VALU_DEP_1) | instskip(SKIP_2) | instid1(VALU_DEP_1)
	v_fmac_f32_e32 v4, v7, v2
	s_waitcnt vmcnt(28)
	v_lshlrev_b32_e32 v2, 16, v25
	v_fmac_f32_e32 v4, v8, v2
	ds_load_b128 v[5:8], v44 offset:32
	s_waitcnt vmcnt(27)
	v_lshlrev_b32_e32 v2, 16, v26
	s_waitcnt lgkmcnt(1)
	s_delay_alu instid0(VALU_DEP_1) | instskip(SKIP_2) | instid1(VALU_DEP_1)
	v_fmac_f32_e32 v4, v9, v2
	s_waitcnt vmcnt(26)
	v_lshlrev_b32_e32 v2, 16, v27
	v_fmac_f32_e32 v4, v10, v2
	s_waitcnt vmcnt(24)
	v_lshlrev_b32_e32 v2, 16, v28
	s_delay_alu instid0(VALU_DEP_1) | instskip(SKIP_1) | instid1(VALU_DEP_1)
	v_fmac_f32_e32 v4, v11, v2
	v_lshlrev_b32_e32 v2, 16, v17
	v_fmac_f32_e32 v4, v12, v2
	ds_load_b128 v[9:12], v44 offset:48
	s_waitcnt vmcnt(23)
	v_lshlrev_b32_e32 v2, 16, v18
	s_waitcnt lgkmcnt(1)
	s_delay_alu instid0(VALU_DEP_1) | instskip(SKIP_2) | instid1(VALU_DEP_1)
	v_fmac_f32_e32 v4, v5, v2
	s_waitcnt vmcnt(21)
	v_lshlrev_b32_e32 v2, 16, v19
	v_fmac_f32_e32 v4, v6, v2
	s_waitcnt vmcnt(20)
	v_lshlrev_b32_e32 v2, 16, v20
	s_delay_alu instid0(VALU_DEP_1) | instskip(SKIP_2) | instid1(VALU_DEP_1)
	v_fmac_f32_e32 v4, v7, v2
	s_waitcnt vmcnt(19)
	v_lshlrev_b32_e32 v2, 16, v21
	v_fmac_f32_e32 v4, v8, v2
	s_waitcnt vmcnt(18)
	v_lshlrev_b32_e32 v2, 16, v22
	ds_load_b128 v[5:8], v44 offset:64
	s_waitcnt lgkmcnt(1)
	v_fmac_f32_e32 v4, v9, v2
	s_waitcnt vmcnt(17)
	v_lshlrev_b32_e32 v2, 16, v29
	s_delay_alu instid0(VALU_DEP_1) | instskip(SKIP_1) | instid1(VALU_DEP_1)
	v_fmac_f32_e32 v4, v10, v2
	v_lshlrev_b32_e32 v2, 16, v30
	v_fmac_f32_e32 v4, v11, v2
	s_waitcnt vmcnt(16)
	v_lshlrev_b32_e32 v2, 16, v15
	s_delay_alu instid0(VALU_DEP_1) | instskip(SKIP_4) | instid1(VALU_DEP_1)
	v_fmac_f32_e32 v4, v12, v2
	ds_load_b128 v[9:12], v44 offset:80
	s_waitcnt vmcnt(14)
	v_lshlrev_b32_e32 v2, 16, v16
	s_waitcnt lgkmcnt(1)
	v_fmac_f32_e32 v4, v5, v2
	s_waitcnt vmcnt(13)
	v_lshlrev_b32_e32 v2, 16, v31
	s_delay_alu instid0(VALU_DEP_1) | instskip(SKIP_2) | instid1(VALU_DEP_1)
	v_fmac_f32_e32 v4, v6, v2
	s_waitcnt vmcnt(12)
	v_lshlrev_b32_e32 v2, 16, v32
	v_fmac_f32_e32 v4, v7, v2
	v_lshlrev_b32_e32 v2, 16, v33
	s_delay_alu instid0(VALU_DEP_1) | instskip(SKIP_4) | instid1(VALU_DEP_1)
	v_fmac_f32_e32 v4, v8, v2
	ds_load_b128 v[5:8], v44 offset:96
	s_waitcnt vmcnt(11)
	v_lshlrev_b32_e32 v2, 16, v13
	s_waitcnt lgkmcnt(1)
	v_fmac_f32_e32 v4, v9, v2
	s_waitcnt vmcnt(9)
	v_lshlrev_b32_e32 v2, 16, v14
	s_delay_alu instid0(VALU_DEP_1) | instskip(SKIP_2) | instid1(VALU_DEP_1)
	v_fmac_f32_e32 v4, v10, v2
	s_waitcnt vmcnt(8)
	v_lshlrev_b32_e32 v2, 16, v34
	v_fmac_f32_e32 v4, v11, v2
	;; [unrolled: 15-line block ×3, first 2 shown]
	s_waitcnt vmcnt(4)
	v_lshlrev_b32_e32 v2, 16, v39
	s_delay_alu instid0(VALU_DEP_1) | instskip(SKIP_3) | instid1(VALU_DEP_1)
	v_fmac_f32_e32 v4, v8, v2
	s_waitcnt vmcnt(3)
	v_lshlrev_b32_e32 v2, 16, v40
	s_waitcnt lgkmcnt(0)
	v_fmac_f32_e32 v4, v9, v2
	s_waitcnt vmcnt(2)
	v_lshlrev_b32_e32 v2, 16, v41
	s_delay_alu instid0(VALU_DEP_1) | instskip(SKIP_2) | instid1(VALU_DEP_1)
	v_fmac_f32_e32 v4, v10, v2
	s_waitcnt vmcnt(1)
	v_lshlrev_b32_e32 v2, 16, v42
	v_fmac_f32_e32 v4, v11, v2
	s_waitcnt vmcnt(0)
	v_lshlrev_b32_e32 v2, 16, v43
	s_delay_alu instid0(VALU_DEP_1)
	v_fmac_f32_e32 v4, v12, v2
	s_branch .LBB418_14
.LBB418_17:
	v_mov_b32_e32 v1, 0
	s_and_b32 vcc_lo, exec_lo, s15
	ds_load_b32 v1, v1 offset:1664
	s_cbranch_vccz .LBB418_19
; %bb.18:
	s_add_u32 s2, s12, s16
	s_addc_u32 s3, s13, s17
	s_load_b32 s2, s[2:3], 0x0
	s_mov_b32 s3, 0
.LBB418_19:
	s_waitcnt lgkmcnt(0)
	v_add_f32_e32 v1, 0x358637bd, v1
	s_delay_alu instid0(VALU_DEP_1) | instskip(NEXT) | instid1(VALU_DEP_1)
	v_div_scale_f32 v2, null, v1, v1, 1.0
	v_rcp_f32_e32 v3, v2
	s_waitcnt_depctr 0xfff
	v_fma_f32 v5, -v2, v3, 1.0
	s_delay_alu instid0(VALU_DEP_1) | instskip(SKIP_1) | instid1(VALU_DEP_1)
	v_fmac_f32_e32 v3, v5, v3
	v_div_scale_f32 v5, vcc_lo, 1.0, v1, 1.0
	v_mul_f32_e32 v6, v5, v3
	s_delay_alu instid0(VALU_DEP_1) | instskip(NEXT) | instid1(VALU_DEP_1)
	v_fma_f32 v7, -v2, v6, v5
	v_fmac_f32_e32 v6, v7, v3
	s_delay_alu instid0(VALU_DEP_1) | instskip(NEXT) | instid1(VALU_DEP_1)
	v_fma_f32 v2, -v2, v6, v5
	v_div_fmas_f32 v2, v2, v3, v6
	s_delay_alu instid0(VALU_DEP_1) | instskip(NEXT) | instid1(VALU_DEP_1)
	v_div_fixup_f32 v1, v2, v1, 1.0
	v_mul_f32_e32 v2, v4, v1
	s_delay_alu instid0(VALU_DEP_1) | instskip(NEXT) | instid1(VALU_DEP_1)
	v_and_b32_e32 v1, 0x7f800000, v2
	v_cmp_ne_u32_e32 vcc_lo, 0x7f800000, v1
                                        ; implicit-def: $vgpr1
	s_and_saveexec_b32 s4, vcc_lo
	s_delay_alu instid0(SALU_CYCLE_1)
	s_xor_b32 s4, exec_lo, s4
; %bb.20:
	v_bfe_u32 v1, v2, 16, 1
	s_delay_alu instid0(VALU_DEP_1)
	v_add3_u32 v1, v2, v1, 0x7fff
                                        ; implicit-def: $vgpr2
; %bb.21:
	s_and_not1_saveexec_b32 s4, s4
; %bb.22:
	v_and_b32_e32 v1, 0xffff, v2
	v_or_b32_e32 v3, 0x10000, v2
	s_delay_alu instid0(VALU_DEP_2) | instskip(NEXT) | instid1(VALU_DEP_2)
	v_cmp_eq_u32_e32 vcc_lo, 0, v1
	v_cndmask_b32_e32 v1, v3, v2, vcc_lo
; %bb.23:
	s_or_b32 exec_lo, exec_lo, s4
	s_mul_i32 s3, s33, s3
	s_mul_hi_u32 s4, s33, s2
	s_mul_i32 s2, s33, s2
	s_add_i32 s3, s4, s3
	s_mov_b32 s15, 0
	s_lshl_b64 s[2:3], s[2:3], 6
	v_and_b32_e32 v1, 0xffff0000, v1
	s_add_u32 s2, s0, s2
	s_addc_u32 s3, s1, s3
	s_lshl_b64 s[0:1], s[14:15], 6
	s_delay_alu instid0(SALU_CYCLE_1)
	s_add_u32 s0, s2, s0
	s_addc_u32 s1, s3, s1
	v_add_co_u32 v0, s0, s0, v0
	v_cvt_i32_f32_e32 v2, v1
	v_add_co_ci_u32_e64 v1, null, s1, 0, s0
	global_store_b8 v[0:1], v2, off
	s_nop 0
	s_sendmsg sendmsg(MSG_DEALLOC_VGPRS)
	s_endpgm
.LBB418_24:
	s_mov_b32 s4, 0
	s_branch .LBB418_2
	.section	.rodata,"a",@progbits
	.p2align	6, 0x0
	.amdhsa_kernel _Z35paged_attention_ll4mi_reduce_kernelI14__hip_bfloat16hLi64ELi64ELi256ELi13EEvPT0_PKfS4_PKT_PKiS9_iS4_
		.amdhsa_group_segment_fixed_size 1668
		.amdhsa_private_segment_fixed_size 0
		.amdhsa_kernarg_size 320
		.amdhsa_user_sgpr_count 14
		.amdhsa_user_sgpr_dispatch_ptr 0
		.amdhsa_user_sgpr_queue_ptr 0
		.amdhsa_user_sgpr_kernarg_segment_ptr 1
		.amdhsa_user_sgpr_dispatch_id 0
		.amdhsa_user_sgpr_private_segment_size 0
		.amdhsa_wavefront_size32 1
		.amdhsa_uses_dynamic_stack 0
		.amdhsa_enable_private_segment 0
		.amdhsa_system_sgpr_workgroup_id_x 1
		.amdhsa_system_sgpr_workgroup_id_y 1
		.amdhsa_system_sgpr_workgroup_id_z 0
		.amdhsa_system_sgpr_workgroup_info 0
		.amdhsa_system_vgpr_workitem_id 0
		.amdhsa_next_free_vgpr 68
		.amdhsa_next_free_sgpr 49
		.amdhsa_reserve_vcc 1
		.amdhsa_float_round_mode_32 0
		.amdhsa_float_round_mode_16_64 0
		.amdhsa_float_denorm_mode_32 3
		.amdhsa_float_denorm_mode_16_64 3
		.amdhsa_dx10_clamp 1
		.amdhsa_ieee_mode 1
		.amdhsa_fp16_overflow 0
		.amdhsa_workgroup_processor_mode 1
		.amdhsa_memory_ordered 1
		.amdhsa_forward_progress 0
		.amdhsa_shared_vgpr_count 0
		.amdhsa_exception_fp_ieee_invalid_op 0
		.amdhsa_exception_fp_denorm_src 0
		.amdhsa_exception_fp_ieee_div_zero 0
		.amdhsa_exception_fp_ieee_overflow 0
		.amdhsa_exception_fp_ieee_underflow 0
		.amdhsa_exception_fp_ieee_inexact 0
		.amdhsa_exception_int_div_zero 0
	.end_amdhsa_kernel
	.section	.text._Z35paged_attention_ll4mi_reduce_kernelI14__hip_bfloat16hLi64ELi64ELi256ELi13EEvPT0_PKfS4_PKT_PKiS9_iS4_,"axG",@progbits,_Z35paged_attention_ll4mi_reduce_kernelI14__hip_bfloat16hLi64ELi64ELi256ELi13EEvPT0_PKfS4_PKT_PKiS9_iS4_,comdat
.Lfunc_end418:
	.size	_Z35paged_attention_ll4mi_reduce_kernelI14__hip_bfloat16hLi64ELi64ELi256ELi13EEvPT0_PKfS4_PKT_PKiS9_iS4_, .Lfunc_end418-_Z35paged_attention_ll4mi_reduce_kernelI14__hip_bfloat16hLi64ELi64ELi256ELi13EEvPT0_PKfS4_PKT_PKiS9_iS4_
                                        ; -- End function
	.section	.AMDGPU.csdata,"",@progbits
; Kernel info:
; codeLenInByte = 7688
; NumSgprs: 51
; NumVgprs: 68
; ScratchSize: 0
; MemoryBound: 0
; FloatMode: 240
; IeeeMode: 1
; LDSByteSize: 1668 bytes/workgroup (compile time only)
; SGPRBlocks: 6
; VGPRBlocks: 8
; NumSGPRsForWavesPerEU: 51
; NumVGPRsForWavesPerEU: 68
; Occupancy: 16
; WaveLimiterHint : 0
; COMPUTE_PGM_RSRC2:SCRATCH_EN: 0
; COMPUTE_PGM_RSRC2:USER_SGPR: 14
; COMPUTE_PGM_RSRC2:TRAP_HANDLER: 0
; COMPUTE_PGM_RSRC2:TGID_X_EN: 1
; COMPUTE_PGM_RSRC2:TGID_Y_EN: 1
; COMPUTE_PGM_RSRC2:TGID_Z_EN: 0
; COMPUTE_PGM_RSRC2:TIDIG_COMP_CNT: 0
	.section	.text._Z35paged_attention_ll4mi_reduce_kernelI14__hip_bfloat16hLi64ELi64ELi256ELi14EEvPT0_PKfS4_PKT_PKiS9_iS4_,"axG",@progbits,_Z35paged_attention_ll4mi_reduce_kernelI14__hip_bfloat16hLi64ELi64ELi256ELi14EEvPT0_PKfS4_PKT_PKiS9_iS4_,comdat
	.protected	_Z35paged_attention_ll4mi_reduce_kernelI14__hip_bfloat16hLi64ELi64ELi256ELi14EEvPT0_PKfS4_PKT_PKiS9_iS4_ ; -- Begin function _Z35paged_attention_ll4mi_reduce_kernelI14__hip_bfloat16hLi64ELi64ELi256ELi14EEvPT0_PKfS4_PKT_PKiS9_iS4_
	.globl	_Z35paged_attention_ll4mi_reduce_kernelI14__hip_bfloat16hLi64ELi64ELi256ELi14EEvPT0_PKfS4_PKT_PKiS9_iS4_
	.p2align	8
	.type	_Z35paged_attention_ll4mi_reduce_kernelI14__hip_bfloat16hLi64ELi64ELi256ELi14EEvPT0_PKfS4_PKT_PKiS9_iS4_,@function
_Z35paged_attention_ll4mi_reduce_kernelI14__hip_bfloat16hLi64ELi64ELi256ELi14EEvPT0_PKfS4_PKT_PKiS9_iS4_: ; @_Z35paged_attention_ll4mi_reduce_kernelI14__hip_bfloat16hLi64ELi64ELi256ELi14EEvPT0_PKfS4_PKT_PKiS9_iS4_
; %bb.0:
	s_load_b64 s[12:13], s[0:1], 0x28
	s_mov_b32 s2, s15
	s_waitcnt lgkmcnt(0)
	s_cmp_lg_u64 s[12:13], 0
	s_cselect_b32 s15, -1, 0
	s_delay_alu instid0(SALU_CYCLE_1)
	s_and_b32 vcc_lo, exec_lo, s15
	s_cbranch_vccz .LBB419_24
; %bb.1:
	s_add_i32 s4, s2, 1
	s_mov_b32 s5, 0
	s_delay_alu instid0(SALU_CYCLE_1) | instskip(SKIP_4) | instid1(SALU_CYCLE_1)
	s_lshl_b64 s[6:7], s[4:5], 2
	s_mov_b32 s3, s5
	s_add_u32 s6, s12, s6
	s_addc_u32 s7, s13, s7
	s_lshl_b64 s[8:9], s[2:3], 2
	s_add_u32 s8, s12, s8
	s_addc_u32 s9, s13, s9
	s_clause 0x1
	s_load_b32 s4, s[6:7], 0x0
	s_load_b32 s6, s[8:9], 0x0
	s_waitcnt lgkmcnt(0)
	s_sub_i32 s4, s4, s6
	s_delay_alu instid0(SALU_CYCLE_1)
	s_cmp_eq_u32 s4, 1
	s_cselect_b32 s4, -1, 0
	s_cbranch_execnz .LBB419_3
.LBB419_2:
	s_mov_b32 s3, 0
	s_mov_b32 s4, -1
.LBB419_3:
	s_delay_alu instid0(SALU_CYCLE_1)
	s_and_not1_b32 vcc_lo, exec_lo, s4
	s_cbranch_vccz .LBB419_5
; %bb.4:
	s_endpgm
.LBB419_5:
	s_clause 0x1
	s_load_b128 s[4:7], s[0:1], 0x18
	s_load_b32 s9, s[0:1], 0x30
	s_lshl_b64 s[16:17], s[2:3], 2
	s_waitcnt lgkmcnt(0)
	s_add_u32 s6, s6, s16
	s_addc_u32 s7, s7, s17
	s_load_b32 s23, s[6:7], 0x0
	s_load_b32 s33, s[0:1], 0x40
	s_mul_i32 s7, s2, s9
	s_waitcnt lgkmcnt(0)
	s_add_i32 s22, s23, 0xff
	s_delay_alu instid0(SALU_CYCLE_1) | instskip(NEXT) | instid1(SALU_CYCLE_1)
	s_ashr_i32 s6, s22, 31
	s_lshr_b32 s6, s6, 24
	s_delay_alu instid0(SALU_CYCLE_1) | instskip(SKIP_4) | instid1(SALU_CYCLE_1)
	s_add_i32 s8, s22, s6
	s_mul_i32 s6, s14, s9
	s_mov_b32 s9, exec_lo
	v_cmpx_lt_u32_e32 31, v0
	s_xor_b32 s9, exec_lo, s9
	s_or_saveexec_b32 s24, s9
	v_mov_b32_e32 v1, s6
	s_ashr_i32 s40, s8, 8
	s_mul_i32 s18, s7, s33
	s_xor_b32 exec_lo, exec_lo, s24
	s_cbranch_execz .LBB419_9
; %bb.6:
	v_or_b32_e32 v2, 32, v0
	v_cmp_gt_i32_e32 vcc_lo, s40, v0
	s_add_i32 s20, s40, -1
	v_or_b32_e32 v4, 64, v0
	v_or_b32_e32 v6, 0x80, v0
	s_load_b128 s[8:11], s[0:1], 0x8
	v_cndmask_b32_e32 v1, s20, v0, vcc_lo
	v_cmp_gt_i32_e32 vcc_lo, s40, v2
	s_mov_b32 s19, 0
	s_delay_alu instid0(SALU_CYCLE_1) | instskip(SKIP_4) | instid1(VALU_DEP_3)
	s_mov_b32 s7, s19
	v_cndmask_b32_e32 v3, s20, v2, vcc_lo
	v_or_b32_e32 v2, 0x60, v0
	v_cmp_gt_i32_e32 vcc_lo, s40, v4
	v_cndmask_b32_e32 v5, s20, v4, vcc_lo
	v_cmp_gt_i32_e32 vcc_lo, s40, v2
	v_or_b32_e32 v4, 0xa0, v0
	v_cndmask_b32_e32 v7, s20, v2, vcc_lo
	v_cmp_gt_i32_e32 vcc_lo, s40, v6
	v_or_b32_e32 v2, 0xc0, v0
	s_delay_alu instid0(VALU_DEP_3) | instskip(SKIP_3) | instid1(VALU_DEP_3)
	v_ashrrev_i32_e32 v8, 31, v7
	v_cndmask_b32_e32 v9, s20, v6, vcc_lo
	v_cmp_gt_i32_e32 vcc_lo, s40, v4
	v_or_b32_e32 v6, 0x100, v0
	v_ashrrev_i32_e32 v10, 31, v9
	v_cndmask_b32_e32 v11, s20, v4, vcc_lo
	v_or_b32_e32 v4, 0xe0, v0
	v_cmp_gt_i32_e32 vcc_lo, s40, v2
	s_delay_alu instid0(VALU_DEP_3) | instskip(SKIP_1) | instid1(VALU_DEP_4)
	v_ashrrev_i32_e32 v12, 31, v11
	v_cndmask_b32_e32 v13, s20, v2, vcc_lo
	v_cmp_gt_i32_e32 vcc_lo, s40, v4
	v_or_b32_e32 v2, 0x120, v0
	s_delay_alu instid0(VALU_DEP_3) | instskip(SKIP_3) | instid1(VALU_DEP_3)
	v_ashrrev_i32_e32 v14, 31, v13
	v_cndmask_b32_e32 v15, s20, v4, vcc_lo
	v_cmp_gt_i32_e32 vcc_lo, s40, v6
	v_or_b32_e32 v4, 0x140, v0
	v_ashrrev_i32_e32 v16, 31, v15
	v_cndmask_b32_e32 v17, s20, v6, vcc_lo
	v_cmp_gt_i32_e32 vcc_lo, s40, v2
	v_or_b32_e32 v6, 0x180, v0
	s_delay_alu instid0(VALU_DEP_3) | instskip(SKIP_3) | instid1(VALU_DEP_3)
	v_ashrrev_i32_e32 v18, 31, v17
	v_cndmask_b32_e32 v19, s20, v2, vcc_lo
	v_or_b32_e32 v2, 0x160, v0
	v_cmp_gt_i32_e32 vcc_lo, s40, v4
	v_ashrrev_i32_e32 v20, 31, v19
	v_cndmask_b32_e32 v21, s20, v4, vcc_lo
	s_delay_alu instid0(VALU_DEP_4) | instskip(SKIP_1) | instid1(VALU_DEP_3)
	v_cmp_gt_i32_e32 vcc_lo, s40, v2
	v_or_b32_e32 v4, 0x1a0, v0
	v_ashrrev_i32_e32 v22, 31, v21
	v_cndmask_b32_e32 v23, s20, v2, vcc_lo
	v_cmp_gt_i32_e32 vcc_lo, s40, v6
	v_ashrrev_i32_e32 v2, 31, v1
	s_delay_alu instid0(VALU_DEP_3) | instskip(SKIP_2) | instid1(VALU_DEP_4)
	v_ashrrev_i32_e32 v24, 31, v23
	v_cndmask_b32_e32 v25, s20, v6, vcc_lo
	v_cmp_gt_i32_e32 vcc_lo, s40, v4
	v_lshlrev_b64 v[29:30], 2, v[1:2]
	v_ashrrev_i32_e32 v6, 31, v5
	s_delay_alu instid0(VALU_DEP_4)
	v_ashrrev_i32_e32 v26, 31, v25
	v_cndmask_b32_e32 v27, s20, v4, vcc_lo
	v_ashrrev_i32_e32 v4, 31, v3
	s_lshl_b64 s[20:21], s[18:19], 2
	s_waitcnt lgkmcnt(0)
	s_add_u32 s19, s10, s20
	s_addc_u32 s25, s11, s21
	s_lshl_b64 s[10:11], s[6:7], 2
	v_lshlrev_b64 v[31:32], 2, v[3:4]
	s_add_u32 s7, s19, s10
	s_addc_u32 s19, s25, s11
	v_add_co_u32 v1, vcc_lo, s7, v29
	v_lshlrev_b64 v[4:5], 2, v[5:6]
	v_add_co_ci_u32_e32 v2, vcc_lo, s19, v30, vcc_lo
	v_add_co_u32 v33, vcc_lo, s7, v31
	v_lshlrev_b64 v[6:7], 2, v[7:8]
	v_add_co_ci_u32_e32 v34, vcc_lo, s19, v32, vcc_lo
	;; [unrolled: 3-line block ×6, first 2 shown]
	v_add_co_u32 v43, vcc_lo, s7, v12
	v_add_co_ci_u32_e32 v44, vcc_lo, s19, v13, vcc_lo
	s_delay_alu instid0(VALU_DEP_4)
	v_add_co_u32 v45, vcc_lo, s7, v14
	v_add_co_ci_u32_e32 v46, vcc_lo, s19, v15, vcc_lo
	s_clause 0x7
	global_load_b32 v47, v[1:2], off
	global_load_b32 v48, v[33:34], off
	;; [unrolled: 1-line block ×8, first 2 shown]
	v_lshlrev_b64 v[16:17], 2, v[17:18]
	v_lshlrev_b64 v[18:19], 2, v[19:20]
	;; [unrolled: 1-line block ×4, first 2 shown]
	v_ashrrev_i32_e32 v28, 31, v27
	v_lshlrev_b64 v[24:25], 2, v[25:26]
	v_add_co_u32 v1, vcc_lo, s7, v16
	v_add_co_ci_u32_e32 v2, vcc_lo, s19, v17, vcc_lo
	v_add_co_u32 v33, vcc_lo, s7, v18
	v_add_co_ci_u32_e32 v34, vcc_lo, s19, v19, vcc_lo
	;; [unrolled: 2-line block ×3, first 2 shown]
	v_add_co_u32 v37, vcc_lo, s7, v22
	v_lshlrev_b64 v[26:27], 2, v[27:28]
	v_add_co_ci_u32_e32 v38, vcc_lo, s19, v23, vcc_lo
	s_clause 0x3
	global_load_b32 v43, v[1:2], off
	global_load_b32 v44, v[33:34], off
	;; [unrolled: 1-line block ×4, first 2 shown]
	v_add_co_u32 v1, vcc_lo, s7, v24
	v_add_co_ci_u32_e32 v2, vcc_lo, s19, v25, vcc_lo
	v_add_co_u32 v33, vcc_lo, s7, v26
	v_add_co_ci_u32_e32 v34, vcc_lo, s19, v27, vcc_lo
	s_clause 0x1
	global_load_b32 v37, v[1:2], off
	global_load_b32 v33, v[33:34], off
	v_mbcnt_lo_u32_b32 v34, -1, 0
	s_add_u32 s7, s8, s20
	s_addc_u32 s8, s9, s21
	s_add_u32 s7, s7, s10
	s_addc_u32 s8, s8, s11
	v_xor_b32_e32 v3, 8, v34
	v_xor_b32_e32 v28, 4, v34
	s_waitcnt vmcnt(12)
	v_dual_max_f32 v2, v47, v47 :: v_dual_max_f32 v1, v48, v48
	s_delay_alu instid0(VALU_DEP_1) | instskip(SKIP_2) | instid1(VALU_DEP_2)
	v_max_f32_e32 v1, v2, v1
	v_xor_b32_e32 v2, 16, v34
	s_waitcnt vmcnt(10)
	v_max3_f32 v1, v1, v49, v50
	s_delay_alu instid0(VALU_DEP_2) | instskip(SKIP_1) | instid1(VALU_DEP_2)
	v_cmp_gt_i32_e32 vcc_lo, 32, v2
	s_waitcnt vmcnt(8)
	v_max3_f32 v1, v1, v39, v40
	v_cndmask_b32_e32 v2, v34, v2, vcc_lo
	v_cmp_gt_i32_e32 vcc_lo, 32, v3
	s_waitcnt vmcnt(6)
	s_delay_alu instid0(VALU_DEP_3) | instskip(NEXT) | instid1(VALU_DEP_3)
	v_max3_f32 v1, v1, v41, v42
	v_dual_cndmask_b32 v38, v34, v3 :: v_dual_lshlrev_b32 v3, 2, v2
	v_cmp_gt_i32_e32 vcc_lo, 32, v28
	s_waitcnt vmcnt(4)
	s_delay_alu instid0(VALU_DEP_3) | instskip(SKIP_2) | instid1(VALU_DEP_2)
	v_max3_f32 v1, v1, v43, v44
	v_cndmask_b32_e32 v28, v34, v28, vcc_lo
	s_waitcnt vmcnt(2)
	v_max3_f32 v45, v1, v35, v36
	v_lshlrev_b32_e32 v1, 2, v38
	s_delay_alu instid0(VALU_DEP_3)
	v_lshlrev_b32_e32 v2, 2, v28
	v_add_co_u32 v28, vcc_lo, s7, v29
	v_add_co_ci_u32_e32 v29, vcc_lo, s8, v30, vcc_lo
	v_add_co_u32 v30, vcc_lo, s7, v31
	s_waitcnt vmcnt(0)
	v_max3_f32 v38, v45, v37, v33
	v_add_co_ci_u32_e32 v31, vcc_lo, s8, v32, vcc_lo
	s_clause 0x1
	global_load_b32 v28, v[28:29], off
	global_load_b32 v29, v[30:31], off
	ds_bpermute_b32 v45, v3, v38
	v_add_co_u32 v4, vcc_lo, s7, v4
	v_add_co_ci_u32_e32 v5, vcc_lo, s8, v5, vcc_lo
	v_add_co_u32 v6, vcc_lo, s7, v6
	v_add_co_ci_u32_e32 v7, vcc_lo, s8, v7, vcc_lo
	;; [unrolled: 2-line block ×3, first 2 shown]
	global_load_b32 v31, v[4:5], off
	v_add_co_u32 v4, vcc_lo, s7, v10
	v_add_co_ci_u32_e32 v5, vcc_lo, s8, v11, vcc_lo
	global_load_b32 v11, v[6:7], off
	v_add_co_u32 v6, vcc_lo, s7, v12
	s_waitcnt lgkmcnt(0)
	v_max_f32_e32 v30, v45, v45
	v_add_co_ci_u32_e32 v7, vcc_lo, s8, v13, vcc_lo
	global_load_b32 v12, v[8:9], off
	v_add_co_u32 v8, vcc_lo, s7, v14
	v_max_f32_e32 v30, v38, v30
	s_clause 0x1
	global_load_b32 v13, v[4:5], off
	global_load_b32 v14, v[6:7], off
	v_add_co_ci_u32_e32 v9, vcc_lo, s8, v15, vcc_lo
	ds_bpermute_b32 v10, v1, v30
	v_add_co_u32 v15, vcc_lo, s7, v16
	v_add_co_ci_u32_e32 v16, vcc_lo, s8, v17, vcc_lo
	v_add_co_u32 v6, vcc_lo, s7, v18
	v_add_co_ci_u32_e32 v7, vcc_lo, s8, v19, vcc_lo
	global_load_b32 v4, v[8:9], off
	v_add_co_u32 v8, vcc_lo, s7, v20
	v_add_co_ci_u32_e32 v9, vcc_lo, s8, v21, vcc_lo
	v_xor_b32_e32 v18, 2, v34
	s_waitcnt lgkmcnt(0)
	v_max_f32_e32 v5, v10, v10
	s_delay_alu instid0(VALU_DEP_1)
	v_max_f32_e32 v17, v30, v5
	s_clause 0x2
	global_load_b32 v5, v[15:16], off
	global_load_b32 v6, v[6:7], off
	;; [unrolled: 1-line block ×3, first 2 shown]
	v_add_co_u32 v8, vcc_lo, s7, v22
	v_add_co_ci_u32_e32 v9, vcc_lo, s8, v23, vcc_lo
	ds_bpermute_b32 v10, v2, v17
	global_load_b32 v16, v[8:9], off
	v_add_co_u32 v8, vcc_lo, s7, v24
	v_add_co_ci_u32_e32 v9, vcc_lo, s8, v25, vcc_lo
	v_cmp_gt_i32_e32 vcc_lo, 32, v18
	global_load_b32 v15, v[8:9], off
	v_cndmask_b32_e32 v8, v34, v18, vcc_lo
	v_add_co_u32 v9, vcc_lo, s7, v26
	s_mov_b32 s7, exec_lo
	s_delay_alu instid0(VALU_DEP_2) | instskip(SKIP_3) | instid1(VALU_DEP_2)
	v_lshlrev_b32_e32 v8, 2, v8
	s_waitcnt lgkmcnt(0)
	v_max_f32_e32 v18, v10, v10
	v_add_co_ci_u32_e32 v10, vcc_lo, s8, v27, vcc_lo
	v_max_f32_e32 v17, v17, v18
	global_load_b32 v9, v[9:10], off
	v_xor_b32_e32 v18, 1, v34
	ds_bpermute_b32 v10, v8, v17
	v_cmp_gt_i32_e32 vcc_lo, 32, v18
	v_cndmask_b32_e32 v18, v34, v18, vcc_lo
	s_waitcnt lgkmcnt(0)
	v_max_f32_e32 v19, v10, v10
	s_delay_alu instid0(VALU_DEP_1) | instskip(SKIP_3) | instid1(VALU_DEP_1)
	v_dual_max_f32 v17, v17, v19 :: v_dual_lshlrev_b32 v10, 2, v18
	ds_bpermute_b32 v18, v10, v17
	s_waitcnt lgkmcnt(0)
	v_max_f32_e32 v18, v18, v18
	v_max_f32_e32 v17, v17, v18
	v_sub_nc_u32_e32 v18, s40, v0
	s_delay_alu instid0(VALU_DEP_2) | instskip(NEXT) | instid1(VALU_DEP_1)
	v_sub_f32_e32 v22, v50, v17
	v_mul_f32_e32 v38, 0x3fb8aa3b, v22
	s_delay_alu instid0(VALU_DEP_1) | instskip(SKIP_1) | instid1(VALU_DEP_2)
	v_rndne_f32_e32 v56, v38
	v_fma_f32 v55, 0x3fb8aa3b, v22, -v38
	v_sub_f32_e32 v38, v38, v56
	v_sub_f32_e32 v26, v42, v17
	;; [unrolled: 1-line block ×6, first 2 shown]
	v_mul_f32_e32 v42, 0x3fb8aa3b, v26
	v_mul_f32_e32 v46, 0x3fb8aa3b, v34
	v_sub_f32_e32 v30, v44, v17
	v_sub_f32_e32 v23, v39, v17
	;; [unrolled: 1-line block ×3, first 2 shown]
	v_rndne_f32_e32 v64, v42
	v_sub_f32_e32 v35, v37, v17
	v_fma_f32 v71, 0x3fb8aa3b, v34, -v46
	v_rndne_f32_e32 v72, v46
	v_dual_mul_f32 v37, 0x3fb8aa3b, v21 :: v_dual_mul_f32 v44, 0x3fb8aa3b, v30
	v_sub_f32_e32 v19, v47, v17
	s_delay_alu instid0(VALU_DEP_3) | instskip(NEXT) | instid1(VALU_DEP_3)
	v_dual_fmac_f32 v71, 0x32a5705f, v34 :: v_dual_sub_f32 v46, v46, v72
	v_rndne_f32_e32 v54, v37
	v_fma_f32 v53, 0x3fb8aa3b, v21, -v37
	v_mul_f32_e32 v40, 0x3fb8aa3b, v24
	v_rndne_f32_e32 v68, v44
	s_delay_alu instid0(VALU_DEP_4) | instskip(SKIP_1) | instid1(VALU_DEP_4)
	v_dual_add_f32 v46, v46, v71 :: v_dual_sub_f32 v37, v37, v54
	v_sub_f32_e32 v20, v48, v17
	v_fma_f32 v59, 0x3fb8aa3b, v24, -v40
	v_rndne_f32_e32 v60, v40
	s_delay_alu instid0(VALU_DEP_4)
	v_exp_f32_e32 v46, v46
	v_sub_f32_e32 v27, v43, v17
	v_sub_f32_e32 v17, v33, v17
	v_fma_f32 v67, 0x3fb8aa3b, v30, -v44
	v_dual_sub_f32 v44, v44, v68 :: v_dual_mul_f32 v33, 0x3fb8aa3b, v19
	v_cvt_i32_f32_e32 v72, v72
	s_delay_alu instid0(VALU_DEP_4)
	v_mul_f32_e32 v48, 0x3fb8aa3b, v17
	v_sub_f32_e32 v40, v40, v60
	v_mul_f32_e32 v36, 0x3fb8aa3b, v20
	v_rndne_f32_e32 v50, v33
	v_ldexp_f32 v46, v46, v72
	v_fmac_f32_e32 v59, 0x32a5705f, v24
	v_fma_f32 v49, 0x3fb8aa3b, v19, -v33
	v_fma_f32 v63, 0x3fb8aa3b, v26, -v42
	v_sub_f32_e32 v33, v33, v50
	v_cvt_i32_f32_e32 v60, v60
	v_add_f32_e32 v40, v40, v59
	v_fma_f32 v51, 0x3fb8aa3b, v20, -v36
	v_rndne_f32_e32 v52, v36
	v_dual_fmac_f32 v63, 0x32a5705f, v26 :: v_dual_sub_f32 v42, v42, v64
	s_delay_alu instid0(VALU_DEP_4) | instskip(SKIP_4) | instid1(VALU_DEP_4)
	v_exp_f32_e32 v40, v40
	v_fmac_f32_e32 v67, 0x32a5705f, v30
	v_fmac_f32_e32 v51, 0x32a5705f, v20
	v_sub_f32_e32 v36, v36, v52
	v_dual_add_f32 v42, v42, v63 :: v_dual_fmac_f32 v53, 0x32a5705f, v21
	v_dual_add_f32 v44, v44, v67 :: v_dual_mul_f32 v41, 0x3fb8aa3b, v25
	s_delay_alu instid0(VALU_DEP_3) | instskip(SKIP_1) | instid1(TRANS32_DEP_1)
	v_add_f32_e32 v36, v36, v51
	v_fma_f32 v75, 0x3fb8aa3b, v17, -v48
	v_ldexp_f32 v40, v40, v60
	v_fmac_f32_e32 v49, 0x32a5705f, v19
	v_rndne_f32_e32 v76, v48
	v_mul_f32_e32 v39, 0x3fb8aa3b, v23
	v_exp_f32_e32 v42, v42
	v_exp_f32_e32 v44, v44
	v_add_f32_e32 v33, v33, v49
	v_cvt_i32_f32_e32 v50, v50
	v_cvt_i32_f32_e32 v64, v64
	;; [unrolled: 1-line block ×3, first 2 shown]
	v_fmac_f32_e32 v75, 0x32a5705f, v17
	v_exp_f32_e32 v33, v33
	v_sub_f32_e32 v48, v48, v76
	v_fma_f32 v57, 0x3fb8aa3b, v23, -v39
	v_rndne_f32_e32 v58, v39
	v_fmac_f32_e32 v55, 0x32a5705f, v22
	v_add_f32_e32 v37, v37, v53
	v_exp_f32_e32 v36, v36
	v_cvt_i32_f32_e32 v52, v52
	v_dual_add_f32 v48, v48, v75 :: v_dual_mul_f32 v45, 0x3fb8aa3b, v32
	v_add_f32_e32 v38, v38, v55
	v_exp_f32_e32 v37, v37
	v_ldexp_f32 v33, v33, v50
	v_ldexp_f32 v42, v42, v64
	v_fmac_f32_e32 v57, 0x32a5705f, v23
	v_ldexp_f32 v44, v44, v68
	v_sub_f32_e32 v39, v39, v58
	v_cmp_ngt_f32_e32 vcc_lo, 0xc2ce8ed0, v19
	v_cvt_i32_f32_e32 v54, v54
	v_exp_f32_e32 v38, v38
	v_ldexp_f32 v36, v36, v52
	v_add_f32_e32 v39, v39, v57
	v_cndmask_b32_e32 v33, 0, v33, vcc_lo
	v_cmp_ngt_f32_e32 vcc_lo, 0xc2ce8ed0, v20
	v_mul_f32_e32 v43, 0x3fb8aa3b, v27
	v_cvt_i32_f32_e32 v56, v56
	v_exp_f32_e32 v39, v39
	v_ldexp_f32 v37, v37, v54
	v_cndmask_b32_e32 v36, 0, v36, vcc_lo
	v_cmp_ngt_f32_e32 vcc_lo, 0xc2ce8ed0, v21
	v_fma_f32 v61, 0x3fb8aa3b, v25, -v41
	v_rndne_f32_e32 v62, v41
	v_cvt_i32_f32_e32 v58, v58
	v_ldexp_f32 v38, v38, v56
	v_cndmask_b32_e32 v37, 0, v37, vcc_lo
	v_cmp_ngt_f32_e32 vcc_lo, 0xc2ce8ed0, v22
	v_mul_f32_e32 v47, 0x3fb8aa3b, v35
	v_fmac_f32_e32 v61, 0x32a5705f, v25
	v_sub_f32_e32 v41, v41, v62
	v_ldexp_f32 v39, v39, v58
	v_cndmask_b32_e32 v38, 0, v38, vcc_lo
	v_cmp_ngt_f32_e32 vcc_lo, 0xc2ce8ed0, v23
	v_fma_f32 v65, 0x3fb8aa3b, v27, -v43
	v_rndne_f32_e32 v66, v43
	v_add_f32_e32 v41, v41, v61
	v_cvt_i32_f32_e32 v62, v62
	v_cndmask_b32_e32 v39, 0, v39, vcc_lo
	v_cmp_ngt_f32_e32 vcc_lo, 0xc2ce8ed0, v24
	v_fmac_f32_e32 v65, 0x32a5705f, v27
	v_exp_f32_e32 v41, v41
	v_fma_f32 v69, 0x3fb8aa3b, v32, -v45
	v_rndne_f32_e32 v70, v45
	v_dual_cndmask_b32 v40, 0, v40 :: v_dual_sub_f32 v43, v43, v66
	v_cmp_ngt_f32_e32 vcc_lo, 0xc2ce8ed0, v25
	v_cvt_i32_f32_e32 v66, v66
	v_fmac_f32_e32 v69, 0x32a5705f, v32
	v_rndne_f32_e32 v74, v47
	v_add_f32_e32 v43, v43, v65
	s_delay_alu instid0(TRANS32_DEP_1) | instskip(SKIP_2) | instid1(VALU_DEP_3)
	v_ldexp_f32 v41, v41, v62
	v_fma_f32 v73, 0x3fb8aa3b, v35, -v47
	v_exp_f32_e32 v48, v48
	v_exp_f32_e32 v43, v43
	s_delay_alu instid0(VALU_DEP_2)
	v_cndmask_b32_e32 v41, 0, v41, vcc_lo
	v_cmp_ngt_f32_e32 vcc_lo, 0xc2ce8ed0, v26
	v_cndmask_b32_e32 v42, 0, v42, vcc_lo
	v_cmp_ngt_f32_e32 vcc_lo, 0xc2ce8ed0, v27
	s_waitcnt_depctr 0xfff
	v_ldexp_f32 v43, v43, v66
	s_delay_alu instid0(VALU_DEP_1) | instskip(SKIP_4) | instid1(VALU_DEP_3)
	v_cndmask_b32_e32 v43, 0, v43, vcc_lo
	v_cmp_ngt_f32_e32 vcc_lo, 0xc2ce8ed0, v30
	v_dual_cndmask_b32 v44, 0, v44 :: v_dual_sub_f32 v45, v45, v70
	v_cvt_i32_f32_e32 v70, v70
	v_cmp_ngt_f32_e32 vcc_lo, 0xc2ce8ed0, v32
	v_add_f32_e32 v45, v45, v69
	s_delay_alu instid0(VALU_DEP_1) | instskip(SKIP_2) | instid1(VALU_DEP_1)
	v_exp_f32_e32 v45, v45
	s_waitcnt_depctr 0xfff
	v_ldexp_f32 v45, v45, v70
	v_cndmask_b32_e32 v45, 0, v45, vcc_lo
	v_cmp_ngt_f32_e32 vcc_lo, 0xc2ce8ed0, v34
	v_cndmask_b32_e32 v46, 0, v46, vcc_lo
	v_cmp_nlt_f32_e32 vcc_lo, 0x42b17218, v19
	v_cndmask_b32_e32 v19, 0x7f800000, v33, vcc_lo
	v_cmp_nlt_f32_e32 vcc_lo, 0x42b17218, v20
	;; [unrolled: 2-line block ×6, first 2 shown]
	v_cndmask_b32_e32 v24, 0x7f800000, v40, vcc_lo
	v_cmp_lt_i32_e32 vcc_lo, 0, v18
	v_cndmask_b32_e32 v19, 0, v19, vcc_lo
	v_cmp_lt_i32_e32 vcc_lo, 32, v18
	s_waitcnt vmcnt(13)
	s_delay_alu instid0(VALU_DEP_2) | instskip(SKIP_2) | instid1(VALU_DEP_2)
	v_dual_mul_f32 v19, v28, v19 :: v_dual_cndmask_b32 v20, 0, v20
	v_cmp_nlt_f32_e32 vcc_lo, 0x42b17218, v25
	s_waitcnt vmcnt(12)
	v_dual_mul_f32 v20, v29, v20 :: v_dual_cndmask_b32 v25, 0x7f800000, v41
	v_cmp_lt_i32_e32 vcc_lo, 64, v18
	s_delay_alu instid0(VALU_DEP_2) | instskip(SKIP_2) | instid1(VALU_DEP_2)
	v_dual_add_f32 v28, v19, v20 :: v_dual_cndmask_b32 v21, 0, v21
	v_cmp_nlt_f32_e32 vcc_lo, 0x42b17218, v26
	s_waitcnt vmcnt(11)
	v_dual_mul_f32 v21, v31, v21 :: v_dual_cndmask_b32 v26, 0x7f800000, v42
	v_cmp_lt_i32_e32 vcc_lo, 0x60, v18
	v_cndmask_b32_e32 v22, 0, v22, vcc_lo
	v_cmp_nlt_f32_e32 vcc_lo, 0x42b17218, v27
	s_waitcnt vmcnt(10)
	s_delay_alu instid0(VALU_DEP_2) | instskip(SKIP_4) | instid1(VALU_DEP_2)
	v_mul_f32_e32 v11, v11, v22
	v_cndmask_b32_e32 v27, 0x7f800000, v43, vcc_lo
	v_cmp_lt_i32_e32 vcc_lo, 0x80, v18
	v_dual_add_f32 v22, v28, v21 :: v_dual_cndmask_b32 v23, 0, v23
	v_cmp_nlt_f32_e32 vcc_lo, 0x42b17218, v30
	v_dual_sub_f32 v47, v47, v74 :: v_dual_add_f32 v22, v22, v11
	v_cvt_i32_f32_e32 v74, v74
	s_waitcnt vmcnt(9)
	v_mul_f32_e32 v12, v12, v23
	v_cndmask_b32_e32 v28, 0x7f800000, v44, vcc_lo
	v_cmp_lt_i32_e32 vcc_lo, 0xa0, v18
	s_delay_alu instid0(VALU_DEP_3) | instskip(SKIP_3) | instid1(VALU_DEP_2)
	v_dual_fmac_f32 v73, 0x32a5705f, v35 :: v_dual_add_f32 v22, v22, v12
	v_cndmask_b32_e32 v24, 0, v24, vcc_lo
	v_cmp_nlt_f32_e32 vcc_lo, 0x42b17218, v32
	s_waitcnt vmcnt(8)
	v_mul_f32_e32 v13, v13, v24
	v_cndmask_b32_e32 v23, 0x7f800000, v45, vcc_lo
	v_cmp_lt_i32_e32 vcc_lo, 0xc0, v18
	s_delay_alu instid0(VALU_DEP_3) | instskip(SKIP_3) | instid1(VALU_DEP_2)
	v_add_f32_e32 v22, v22, v13
	v_cndmask_b32_e32 v25, 0, v25, vcc_lo
	v_cmp_lt_i32_e32 vcc_lo, 0xe0, v18
	s_waitcnt vmcnt(7)
	v_mul_f32_e32 v14, v14, v25
	v_cndmask_b32_e32 v24, 0, v26, vcc_lo
	v_cmp_lt_i32_e32 vcc_lo, 0x100, v18
	s_delay_alu instid0(VALU_DEP_3) | instskip(SKIP_1) | instid1(VALU_DEP_3)
	v_add_f32_e32 v22, v22, v14
	s_waitcnt vmcnt(6)
	v_mul_f32_e32 v4, v4, v24
	v_cndmask_b32_e32 v26, 0, v27, vcc_lo
	v_cmp_lt_i32_e32 vcc_lo, 0x120, v18
	s_waitcnt vmcnt(5)
	s_delay_alu instid0(VALU_DEP_2) | instskip(SKIP_2) | instid1(VALU_DEP_3)
	v_dual_add_f32 v22, v22, v4 :: v_dual_mul_f32 v5, v5, v26
	v_cndmask_b32_e32 v25, 0, v28, vcc_lo
	v_cmp_lt_i32_e32 vcc_lo, 0x140, v18
	v_add_f32_e32 v22, v22, v5
	s_waitcnt vmcnt(4)
	s_delay_alu instid0(VALU_DEP_3)
	v_dual_mul_f32 v6, v6, v25 :: v_dual_cndmask_b32 v23, 0, v23
	v_cmp_nlt_f32_e32 vcc_lo, 0x42b17218, v34
	v_add_f32_e32 v47, v47, v73
	v_cvt_i32_f32_e32 v25, v76
	s_waitcnt vmcnt(3)
	v_dual_add_f32 v22, v22, v6 :: v_dual_mul_f32 v7, v7, v23
	v_cndmask_b32_e32 v24, 0x7f800000, v46, vcc_lo
	v_exp_f32_e32 v47, v47
	v_cmp_ngt_f32_e32 vcc_lo, 0xc2ce8ed0, v35
	s_delay_alu instid0(VALU_DEP_3) | instskip(SKIP_2) | instid1(VALU_DEP_1)
	v_add_f32_e32 v22, v22, v7
	s_waitcnt_depctr 0xfff
	v_ldexp_f32 v47, v47, v74
	v_cndmask_b32_e32 v23, 0, v47, vcc_lo
	v_cmp_lt_i32_e32 vcc_lo, 0x160, v18
	v_cndmask_b32_e32 v24, 0, v24, vcc_lo
	v_cmp_nlt_f32_e32 vcc_lo, 0x42b17218, v35
	s_waitcnt vmcnt(2)
	s_delay_alu instid0(VALU_DEP_2) | instskip(SKIP_2) | instid1(VALU_DEP_3)
	v_dual_mul_f32 v16, v16, v24 :: v_dual_cndmask_b32 v23, 0x7f800000, v23
	v_cmp_lt_i32_e32 vcc_lo, 0x180, v18
	v_ldexp_f32 v24, v48, v25
	v_dual_add_f32 v22, v22, v16 :: v_dual_cndmask_b32 v23, 0, v23
	v_cmp_ngt_f32_e32 vcc_lo, 0xc2ce8ed0, v17
	s_waitcnt vmcnt(1)
	s_delay_alu instid0(VALU_DEP_2) | instskip(SKIP_1) | instid1(VALU_DEP_2)
	v_dual_mul_f32 v15, v15, v23 :: v_dual_cndmask_b32 v24, 0, v24
	v_cmp_nlt_f32_e32 vcc_lo, 0x42b17218, v17
	v_cndmask_b32_e32 v17, 0x7f800000, v24, vcc_lo
	v_cmp_lt_i32_e32 vcc_lo, 0x1a0, v18
	s_delay_alu instid0(VALU_DEP_2) | instskip(SKIP_1) | instid1(VALU_DEP_1)
	v_dual_add_f32 v18, v22, v15 :: v_dual_cndmask_b32 v17, 0, v17
	s_waitcnt vmcnt(0)
	v_fmac_f32_e32 v18, v9, v17
	ds_bpermute_b32 v3, v3, v18
	s_waitcnt lgkmcnt(0)
	v_add_f32_e32 v3, v18, v3
	ds_bpermute_b32 v1, v1, v3
	s_waitcnt lgkmcnt(0)
	v_add_f32_e32 v1, v3, v1
	v_lshlrev_b32_e32 v3, 2, v0
	ds_bpermute_b32 v2, v2, v1
	ds_store_2addr_b32 v3, v19, v20 offset1:32
	s_waitcnt lgkmcnt(1)
	v_add_f32_e32 v1, v1, v2
	ds_bpermute_b32 v2, v8, v1
	v_dual_mul_f32 v8, v9, v17 :: v_dual_add_nc_u32 v9, 0x400, v3
	ds_store_2addr_b32 v3, v21, v11 offset0:64 offset1:96
	ds_store_2addr_b32 v3, v12, v13 offset0:128 offset1:160
	ds_store_2addr_b32 v3, v14, v4 offset0:192 offset1:224
	ds_store_2addr_b32 v9, v5, v6 offset1:32
	ds_store_2addr_b32 v9, v7, v16 offset0:64 offset1:96
	ds_store_2addr_b32 v9, v15, v8 offset0:128 offset1:160
	s_waitcnt lgkmcnt(6)
	v_add_f32_e32 v1, v1, v2
	ds_bpermute_b32 v2, v10, v1
	v_cmpx_eq_u32_e32 0, v0
	s_cbranch_execz .LBB419_8
; %bb.7:
	s_waitcnt lgkmcnt(0)
	v_dual_add_f32 v1, v1, v2 :: v_dual_mov_b32 v2, 0
	ds_store_b32 v2, v1 offset:1792
.LBB419_8:
	s_or_b32 exec_lo, exec_lo, s7
	v_mov_b32_e32 v1, s6
.LBB419_9:
	s_or_b32 exec_lo, exec_lo, s24
	s_lshl_b32 s6, s18, 6
	s_mov_b32 s7, 0
	s_waitcnt lgkmcnt(0)
	v_dual_mov_b32 v2, 0 :: v_dual_lshlrev_b32 v1, 6, v1
	s_lshl_b64 s[6:7], s[6:7], 1
	v_dual_mov_b32 v31, 0 :: v_dual_mov_b32 v32, 0
	s_add_u32 s34, s4, s6
	s_addc_u32 s35, s5, s7
	s_lshl_b32 s41, s40, 6
	v_lshlrev_b64 v[3:4], 1, v[1:2]
	s_sub_i32 s42, s41, 64
	s_cmpk_lt_i32 s22, 0x100
	v_lshlrev_b32_e32 v1, 1, v0
	s_cselect_b32 s4, s42, 0
	v_dual_mov_b32 v33, 0 :: v_dual_mov_b32 v34, 0
	s_ashr_i32 s5, s4, 31
	v_add_co_u32 v3, vcc_lo, s34, v3
	s_lshl_b64 s[4:5], s[4:5], 1
	s_cmpk_lt_i32 s22, 0x200
	v_add_co_ci_u32_e32 v4, vcc_lo, s35, v4, vcc_lo
	s_cselect_b32 s6, s42, 64
	v_add_co_u32 v1, vcc_lo, v3, v1
	s_ashr_i32 s7, s6, 31
	s_delay_alu instid0(VALU_DEP_2)
	v_add_co_ci_u32_e32 v3, vcc_lo, 0, v4, vcc_lo
	s_lshl_b64 s[6:7], s[6:7], 1
	s_cmpk_lt_i32 s22, 0x300
	v_add_co_u32 v4, vcc_lo, v1, s4
	s_cselect_b32 s8, s42, 0x80
	v_add_co_ci_u32_e32 v5, vcc_lo, s5, v3, vcc_lo
	s_ashr_i32 s9, s8, 31
	v_add_co_u32 v6, vcc_lo, v1, s6
	s_lshl_b64 s[8:9], s[8:9], 1
	s_cmpk_lt_i32 s22, 0x400
	v_add_co_ci_u32_e32 v7, vcc_lo, s7, v3, vcc_lo
	s_cselect_b32 s10, s42, 0xc0
	v_add_co_u32 v8, vcc_lo, v1, s8
	s_ashr_i32 s11, s10, 31
	v_add_co_ci_u32_e32 v9, vcc_lo, s9, v3, vcc_lo
	s_lshl_b64 s[10:11], s[10:11], 1
	s_cmpk_lt_i32 s22, 0x500
	v_add_co_u32 v11, vcc_lo, v1, s10
	s_cselect_b32 s18, s42, 0x100
	v_add_co_ci_u32_e32 v12, vcc_lo, s11, v3, vcc_lo
	s_ashr_i32 s19, s18, 31
	v_mov_b32_e32 v35, 0
	s_lshl_b64 s[18:19], s[18:19], 1
	s_cmpk_lt_i32 s22, 0x600
	v_add_co_u32 v14, vcc_lo, v1, s18
	s_cselect_b32 s20, s42, 0x140
	v_add_co_ci_u32_e32 v15, vcc_lo, s19, v3, vcc_lo
	s_ashr_i32 s21, s20, 31
	v_mov_b32_e32 v30, 0
	s_lshl_b64 s[20:21], s[20:21], 1
	s_cmpk_lt_i32 s22, 0x700
	v_add_co_u32 v16, vcc_lo, v1, s20
	s_cselect_b32 s24, s42, 0x180
	v_add_co_ci_u32_e32 v17, vcc_lo, s21, v3, vcc_lo
	s_ashr_i32 s25, s24, 31
	s_delay_alu instid0(SALU_CYCLE_1)
	s_lshl_b64 s[24:25], s[24:25], 1
	s_cmpk_lt_i32 s22, 0x800
	v_add_co_u32 v18, vcc_lo, v1, s24
	s_cselect_b32 s26, s42, 0x1c0
	v_add_co_ci_u32_e32 v19, vcc_lo, s25, v3, vcc_lo
	s_ashr_i32 s27, s26, 31
	s_delay_alu instid0(SALU_CYCLE_1)
	s_lshl_b64 s[26:27], s[26:27], 1
	s_cmpk_lt_i32 s22, 0x900
	v_add_co_u32 v20, vcc_lo, v1, s26
	s_cselect_b32 s28, s42, 0x200
	v_add_co_ci_u32_e32 v21, vcc_lo, s27, v3, vcc_lo
	s_ashr_i32 s29, s28, 31
	s_clause 0x7
	global_load_u16 v13, v[4:5], off
	global_load_u16 v4, v[6:7], off
	;; [unrolled: 1-line block ×8, first 2 shown]
	s_lshl_b64 s[28:29], s[28:29], 1
	s_cmpk_lt_i32 s22, 0xa00
	v_add_co_u32 v11, vcc_lo, v1, s28
	s_cselect_b32 s30, s42, 0x240
	v_add_co_ci_u32_e32 v12, vcc_lo, s29, v3, vcc_lo
	s_ashr_i32 s31, s30, 31
	s_delay_alu instid0(SALU_CYCLE_1)
	s_lshl_b64 s[30:31], s[30:31], 1
	s_cmpk_lt_i32 s22, 0xb00
	v_add_co_u32 v14, vcc_lo, v1, s30
	s_cselect_b32 s34, s42, 0x280
	v_add_co_ci_u32_e32 v15, vcc_lo, s31, v3, vcc_lo
	s_ashr_i32 s35, s34, 31
	s_delay_alu instid0(SALU_CYCLE_1)
	s_lshl_b64 s[4:5], s[34:35], 1
	s_cmpk_lt_i32 s22, 0xc00
	v_add_co_u32 v16, vcc_lo, v1, s4
	s_cselect_b32 s6, s42, 0x2c0
	v_add_co_ci_u32_e32 v17, vcc_lo, s5, v3, vcc_lo
	s_ashr_i32 s7, s6, 31
	s_delay_alu instid0(SALU_CYCLE_1)
	s_lshl_b64 s[6:7], s[6:7], 1
	s_cmpk_lt_i32 s22, 0xd00
	v_add_co_u32 v20, vcc_lo, v1, s6
	s_cselect_b32 s8, s42, 0x300
	v_add_co_ci_u32_e32 v21, vcc_lo, s7, v3, vcc_lo
	s_ashr_i32 s9, s8, 31
	s_delay_alu instid0(SALU_CYCLE_1)
	s_lshl_b64 s[8:9], s[8:9], 1
	s_cmpk_lt_i32 s22, 0xe00
	v_add_co_u32 v22, vcc_lo, v1, s8
	s_cselect_b32 s10, s42, 0x340
	v_add_co_ci_u32_e32 v23, vcc_lo, s9, v3, vcc_lo
	s_ashr_i32 s11, s10, 31
	s_delay_alu instid0(SALU_CYCLE_1)
	s_lshl_b64 s[10:11], s[10:11], 1
	s_cmpk_lt_i32 s22, 0xf00
	v_add_co_u32 v24, vcc_lo, v1, s10
	s_cselect_b32 s18, s42, 0x380
	v_add_co_ci_u32_e32 v25, vcc_lo, s11, v3, vcc_lo
	s_ashr_i32 s19, s18, 31
	s_delay_alu instid0(SALU_CYCLE_1)
	s_lshl_b64 s[4:5], s[18:19], 1
	s_cmpk_lt_i32 s22, 0x1000
	v_add_co_u32 v26, vcc_lo, v1, s4
	s_cselect_b32 s6, s42, 0x3c0
	v_add_co_ci_u32_e32 v27, vcc_lo, s5, v3, vcc_lo
	s_ashr_i32 s7, s6, 31
	s_delay_alu instid0(SALU_CYCLE_1)
	s_lshl_b64 s[4:5], s[6:7], 1
	s_cmpk_gt_i32 s23, 0x1000
	v_add_co_u32 v28, vcc_lo, v1, s4
	v_add_co_ci_u32_e32 v29, vcc_lo, s5, v3, vcc_lo
	s_clause 0x7
	global_load_u16 v19, v[11:12], off
	global_load_u16 v18, v[14:15], off
	;; [unrolled: 1-line block ×8, first 2 shown]
	v_dual_mov_b32 v20, 0 :: v_dual_mov_b32 v21, 0
	v_dual_mov_b32 v22, 0 :: v_dual_mov_b32 v23, 0
	v_dual_mov_b32 v24, 0 :: v_dual_mov_b32 v25, 0
	v_dual_mov_b32 v26, 0 :: v_dual_mov_b32 v27, 0
	v_dual_mov_b32 v28, 0 :: v_dual_mov_b32 v29, 0
	s_cselect_b32 s6, -1, 0
	s_cmpk_lt_i32 s23, 0x1001
	s_waitcnt vmcnt(0)
	s_barrier
	buffer_gl0_inv
	s_cbranch_scc1 .LBB419_11
; %bb.10:
	s_cmpk_lt_i32 s22, 0x1100
	s_cselect_b32 s4, s42, 0x400
	s_delay_alu instid0(SALU_CYCLE_1) | instskip(NEXT) | instid1(SALU_CYCLE_1)
	s_ashr_i32 s5, s4, 31
	s_lshl_b64 s[4:5], s[4:5], 1
	s_cmpk_lt_i32 s22, 0x1200
	v_add_co_u32 v20, vcc_lo, v1, s4
	s_cselect_b32 s8, s42, 0x440
	v_add_co_ci_u32_e32 v21, vcc_lo, s5, v3, vcc_lo
	s_ashr_i32 s9, s8, 31
	s_delay_alu instid0(SALU_CYCLE_1)
	s_lshl_b64 s[8:9], s[8:9], 1
	s_cmpk_lt_i32 s22, 0x1300
	v_add_co_u32 v22, vcc_lo, v1, s8
	s_cselect_b32 s10, s42, 0x480
	v_add_co_ci_u32_e32 v23, vcc_lo, s9, v3, vcc_lo
	s_ashr_i32 s11, s10, 31
	s_delay_alu instid0(SALU_CYCLE_1)
	;; [unrolled: 7-line block ×14, first 2 shown]
	s_lshl_b64 s[4:5], s[18:19], 1
	s_cmpk_lt_i32 s22, 0x2000
	v_add_co_u32 v48, vcc_lo, v1, s4
	s_cselect_b32 s8, s42, 0x7c0
	v_add_co_ci_u32_e32 v49, vcc_lo, s5, v3, vcc_lo
	s_ashr_i32 s9, s8, 31
	s_delay_alu instid0(SALU_CYCLE_1) | instskip(NEXT) | instid1(SALU_CYCLE_1)
	s_lshl_b64 s[4:5], s[8:9], 1
	v_add_co_u32 v50, vcc_lo, v1, s4
	v_add_co_ci_u32_e32 v51, vcc_lo, s5, v3, vcc_lo
	s_clause 0xf
	global_load_u16 v20, v[20:21], off
	global_load_u16 v21, v[22:23], off
	;; [unrolled: 1-line block ×16, first 2 shown]
	s_waitcnt vmcnt(15)
	v_lshlrev_b32_e32 v35, 16, v20
	s_waitcnt vmcnt(14)
	v_lshlrev_b32_e32 v34, 16, v21
	;; [unrolled: 2-line block ×16, first 2 shown]
.LBB419_11:
	ds_load_b128 v[36:39], v2
	ds_load_b128 v[40:43], v2 offset:16
	v_lshlrev_b32_e32 v44, 16, v4
	v_lshlrev_b32_e32 v13, 16, v13
	v_lshlrev_b32_e32 v10, 16, v10
	v_lshlrev_b32_e32 v8, 16, v8
	v_lshlrev_b32_e32 v6, 16, v6
	s_load_b64 s[0:1], s[0:1], 0x0
	s_and_b32 vcc_lo, exec_lo, s6
	v_lshlrev_b32_e32 v5, 16, v5
	s_waitcnt lgkmcnt(0)
	v_fma_f32 v4, v36, v13, 0
	s_delay_alu instid0(VALU_DEP_1) | instskip(NEXT) | instid1(VALU_DEP_1)
	v_dual_fmac_f32 v4, v37, v44 :: v_dual_lshlrev_b32 v13, 16, v7
	v_dual_fmac_f32 v4, v38, v10 :: v_dual_lshlrev_b32 v9, 16, v9
	s_delay_alu instid0(VALU_DEP_1) | instskip(SKIP_4) | instid1(VALU_DEP_1)
	v_fmac_f32_e32 v4, v39, v9
	ds_load_b128 v[36:39], v2 offset:48
	v_fmac_f32_e32 v4, v40, v8
	ds_load_b128 v[7:10], v2 offset:32
	v_fmac_f32_e32 v4, v41, v13
	v_fmac_f32_e32 v4, v42, v6
	v_lshlrev_b32_e32 v6, 16, v19
	s_delay_alu instid0(VALU_DEP_2) | instskip(SKIP_1) | instid1(VALU_DEP_1)
	v_dual_fmac_f32 v4, v43, v5 :: v_dual_lshlrev_b32 v5, 16, v18
	s_waitcnt lgkmcnt(0)
	v_fmac_f32_e32 v4, v7, v6
	v_lshlrev_b32_e32 v6, 16, v17
	s_delay_alu instid0(VALU_DEP_2) | instskip(NEXT) | instid1(VALU_DEP_1)
	v_dual_fmac_f32 v4, v8, v5 :: v_dual_lshlrev_b32 v5, 16, v16
	v_fmac_f32_e32 v4, v9, v6
	v_lshlrev_b32_e32 v6, 16, v15
	s_delay_alu instid0(VALU_DEP_2) | instskip(NEXT) | instid1(VALU_DEP_1)
	v_dual_fmac_f32 v4, v10, v5 :: v_dual_lshlrev_b32 v5, 16, v14
	;; [unrolled: 4-line block ×3, first 2 shown]
	v_fmac_f32_e32 v4, v38, v6
	s_delay_alu instid0(VALU_DEP_1)
	v_fmac_f32_e32 v4, v39, v5
	s_cbranch_vccz .LBB419_13
; %bb.12:
	ds_load_b128 v[5:8], v2 offset:64
	ds_load_b128 v[9:12], v2 offset:80
	s_waitcnt lgkmcnt(1)
	v_fmac_f32_e32 v4, v5, v35
	s_delay_alu instid0(VALU_DEP_1) | instskip(NEXT) | instid1(VALU_DEP_1)
	v_fmac_f32_e32 v4, v6, v34
	v_fmac_f32_e32 v4, v7, v33
	s_delay_alu instid0(VALU_DEP_1) | instskip(SKIP_3) | instid1(VALU_DEP_1)
	v_fmac_f32_e32 v4, v8, v32
	ds_load_b128 v[5:8], v2 offset:96
	s_waitcnt lgkmcnt(1)
	v_fmac_f32_e32 v4, v9, v31
	v_fmac_f32_e32 v4, v10, v30
	s_delay_alu instid0(VALU_DEP_1) | instskip(NEXT) | instid1(VALU_DEP_1)
	v_fmac_f32_e32 v4, v11, v29
	v_fmac_f32_e32 v4, v12, v28
	ds_load_b128 v[9:12], v2 offset:112
	s_waitcnt lgkmcnt(1)
	v_fmac_f32_e32 v4, v5, v27
	s_delay_alu instid0(VALU_DEP_1) | instskip(NEXT) | instid1(VALU_DEP_1)
	v_fmac_f32_e32 v4, v6, v26
	v_fmac_f32_e32 v4, v7, v25
	s_delay_alu instid0(VALU_DEP_1) | instskip(SKIP_1) | instid1(VALU_DEP_1)
	v_fmac_f32_e32 v4, v8, v24
	s_waitcnt lgkmcnt(0)
	v_fmac_f32_e32 v4, v9, v23
	s_delay_alu instid0(VALU_DEP_1) | instskip(NEXT) | instid1(VALU_DEP_1)
	v_fmac_f32_e32 v4, v10, v22
	v_fmac_f32_e32 v4, v11, v21
	s_delay_alu instid0(VALU_DEP_1)
	v_fmac_f32_e32 v4, v12, v20
.LBB419_13:
	s_movk_i32 s43, 0xfc0
	s_movk_i32 s44, 0x80
	s_mov_b32 s45, 32
	s_branch .LBB419_15
.LBB419_14:                             ;   in Loop: Header=BB419_15 Depth=1
	s_addk_i32 s43, 0x800
	s_addk_i32 s44, 0x80
	s_add_i32 s45, s45, 32
	s_cmpk_eq_i32 s43, 0x77c0
	s_cbranch_scc1 .LBB419_17
.LBB419_15:                             ; =>This Inner Loop Header: Depth=1
	s_cmp_le_i32 s40, s45
	s_cbranch_scc1 .LBB419_14
; %bb.16:                               ;   in Loop: Header=BB419_15 Depth=1
	s_add_i32 s4, s43, 0xfffff840
	v_mov_b32_e32 v44, s44
	s_cmp_lt_i32 s4, s41
	s_cselect_b32 s4, s4, s42
	s_add_i32 s6, s43, 0xfffff880
	s_ashr_i32 s5, s4, 31
	s_delay_alu instid0(SALU_CYCLE_1)
	s_lshl_b64 s[38:39], s[4:5], 1
	s_cmp_lt_i32 s6, s41
	v_add_co_u32 v5, vcc_lo, v1, s38
	s_cselect_b32 s4, s6, s42
	s_add_i32 s6, s43, 0xfffff8c0
	s_ashr_i32 s5, s4, 31
	v_add_co_ci_u32_e32 v6, vcc_lo, s39, v3, vcc_lo
	s_lshl_b64 s[4:5], s[4:5], 1
	s_cmp_lt_i32 s6, s41
	s_cselect_b32 s6, s6, s42
	s_add_i32 s8, s43, 0xfffff900
	s_ashr_i32 s7, s6, 31
	global_load_u16 v2, v[5:6], off
	s_lshl_b64 s[6:7], s[6:7], 1
	s_cmp_lt_i32 s8, s41
	v_add_co_u32 v5, vcc_lo, v1, s4
	s_cselect_b32 s8, s8, s42
	s_add_i32 s10, s43, 0xfffff940
	s_ashr_i32 s9, s8, 31
	v_add_co_ci_u32_e32 v6, vcc_lo, s5, v3, vcc_lo
	s_lshl_b64 s[8:9], s[8:9], 1
	s_cmp_lt_i32 s10, s41
	v_add_co_u32 v7, vcc_lo, v1, s6
	s_cselect_b32 s10, s10, s42
	s_add_i32 s18, s43, 0xfffff980
	s_ashr_i32 s11, s10, 31
	v_add_co_ci_u32_e32 v8, vcc_lo, s7, v3, vcc_lo
	s_lshl_b64 s[10:11], s[10:11], 1
	s_cmp_lt_i32 s18, s41
	v_add_co_u32 v9, vcc_lo, v1, s8
	s_cselect_b32 s18, s18, s42
	s_add_i32 s20, s43, 0xfffff9c0
	s_ashr_i32 s19, s18, 31
	s_clause 0x1
	global_load_u16 v23, v[5:6], off
	global_load_u16 v24, v[7:8], off
	s_lshl_b64 s[18:19], s[18:19], 1
	s_cmp_lt_i32 s20, s41
	v_add_co_ci_u32_e32 v10, vcc_lo, s9, v3, vcc_lo
	s_cselect_b32 s20, s20, s42
	s_add_i32 s22, s43, 0xfffffa00
	s_ashr_i32 s21, s20, 31
	global_load_u16 v25, v[9:10], off
	s_lshl_b64 s[20:21], s[20:21], 1
	s_cmp_lt_i32 s22, s41
	v_add_co_u32 v11, vcc_lo, v1, s10
	s_cselect_b32 s22, s22, s42
	s_add_i32 s24, s43, 0xfffffa40
	s_ashr_i32 s23, s22, 31
	v_add_co_ci_u32_e32 v12, vcc_lo, s11, v3, vcc_lo
	s_lshl_b64 s[22:23], s[22:23], 1
	s_cmp_lt_i32 s24, s41
	v_add_co_u32 v13, vcc_lo, v1, s18
	global_load_u16 v26, v[11:12], off
	s_cselect_b32 s24, s24, s42
	s_add_i32 s26, s43, 0xfffffa80
	s_ashr_i32 s25, s24, 31
	v_add_co_ci_u32_e32 v14, vcc_lo, s19, v3, vcc_lo
	s_lshl_b64 s[24:25], s[24:25], 1
	s_cmp_lt_i32 s26, s41
	v_add_co_u32 v15, vcc_lo, v1, s20
	global_load_u16 v27, v[13:14], off
	s_cselect_b32 s26, s26, s42
	s_add_i32 s28, s43, 0xfffffac0
	s_ashr_i32 s27, s26, 31
	v_add_co_ci_u32_e32 v16, vcc_lo, s21, v3, vcc_lo
	s_lshl_b64 s[36:37], s[26:27], 1
	s_cmp_lt_i32 s28, s41
	v_add_co_u32 v17, vcc_lo, v1, s22
	s_cselect_b32 s26, s28, s42
	s_add_i32 s30, s43, 0xfffffb00
	s_ashr_i32 s27, s26, 31
	v_add_co_ci_u32_e32 v18, vcc_lo, s23, v3, vcc_lo
	s_lshl_b64 s[28:29], s[26:27], 1
	s_cmp_lt_i32 s30, s41
	v_add_co_u32 v19, vcc_lo, v1, s24
	global_load_u16 v17, v[17:18], off
	s_cselect_b32 s26, s30, s42
	s_add_i32 s30, s43, 0xfffffb40
	s_ashr_i32 s27, s26, 31
	v_add_co_ci_u32_e32 v20, vcc_lo, s25, v3, vcc_lo
	s_lshl_b64 s[26:27], s[26:27], 1
	s_cmp_lt_i32 s30, s41
	v_add_co_u32 v21, vcc_lo, v1, s36
	s_cselect_b32 s30, s30, s42
	s_add_i32 s46, s43, 0xfffffb80
	s_ashr_i32 s31, s30, 31
	v_add_co_ci_u32_e32 v22, vcc_lo, s37, v3, vcc_lo
	s_lshl_b64 s[34:35], s[30:31], 1
	s_cmp_lt_i32 s46, s41
	v_add_co_u32 v5, vcc_lo, v1, s28
	;; [unrolled: 7-line block ×3, first 2 shown]
	s_cselect_b32 s46, s46, s42
	s_add_i32 s48, s43, 0xfffffc00
	s_ashr_i32 s47, s46, 31
	global_load_u16 v28, v[15:16], off
	s_lshl_b64 s[38:39], s[46:47], 1
	s_cmp_lt_i32 s48, s41
	v_add_co_ci_u32_e32 v8, vcc_lo, s27, v3, vcc_lo
	s_cselect_b32 s46, s48, s42
	v_add_co_u32 v9, vcc_lo, v1, s34
	s_ashr_i32 s47, s46, 31
	s_add_i32 s4, s43, 0xfffffc40
	s_lshl_b64 s[46:47], s[46:47], 1
	v_add_co_ci_u32_e32 v10, vcc_lo, s35, v3, vcc_lo
	s_cmp_lt_i32 s4, s41
	v_add_co_u32 v11, vcc_lo, v1, s30
	s_cselect_b32 s4, s4, s42
	v_add_co_ci_u32_e32 v12, vcc_lo, s31, v3, vcc_lo
	v_add_co_u32 v13, vcc_lo, v1, s38
	s_ashr_i32 s5, s4, 31
	s_add_i32 s6, s43, 0xfffffc80
	v_add_co_ci_u32_e32 v14, vcc_lo, s39, v3, vcc_lo
	global_load_u16 v18, v[19:20], off
	s_lshl_b64 s[8:9], s[4:5], 1
	s_cmp_lt_i32 s6, s41
	global_load_u16 v30, v[13:14], off
	s_cselect_b32 s4, s6, s42
	global_load_u16 v19, v[21:22], off
	s_ashr_i32 s5, s4, 31
	s_add_i32 s6, s43, 0xfffffcc0
	s_lshl_b64 s[10:11], s[4:5], 1
	s_cmp_lt_i32 s6, s41
	s_clause 0x3
	global_load_u16 v20, v[5:6], off
	global_load_u16 v21, v[7:8], off
	;; [unrolled: 1-line block ×4, first 2 shown]
	s_cselect_b32 s4, s6, s42
	s_add_i32 s6, s43, 0xfffffd00
	s_ashr_i32 s5, s4, 31
	v_add_co_u32 v15, vcc_lo, v1, s46
	s_lshl_b64 s[4:5], s[4:5], 1
	s_cmp_lt_i32 s6, s41
	v_add_co_ci_u32_e32 v16, vcc_lo, s47, v3, vcc_lo
	s_cselect_b32 s6, s6, s42
	s_add_i32 s18, s43, 0xfffffd40
	s_ashr_i32 s7, s6, 31
	v_add_co_u32 v5, vcc_lo, v1, s8
	s_lshl_b64 s[6:7], s[6:7], 1
	s_cmp_lt_i32 s18, s41
	v_add_co_ci_u32_e32 v6, vcc_lo, s9, v3, vcc_lo
	s_cselect_b32 s18, s18, s42
	v_add_co_u32 v7, vcc_lo, v1, s10
	s_ashr_i32 s19, s18, 31
	s_add_i32 s20, s43, 0xfffffd80
	s_lshl_b64 s[18:19], s[18:19], 1
	v_add_co_ci_u32_e32 v8, vcc_lo, s11, v3, vcc_lo
	s_cmp_lt_i32 s20, s41
	v_add_co_u32 v9, vcc_lo, v1, s4
	s_cselect_b32 s20, s20, s42
	v_add_co_ci_u32_e32 v10, vcc_lo, s5, v3, vcc_lo
	v_add_co_u32 v11, vcc_lo, v1, s6
	s_ashr_i32 s21, s20, 31
	s_add_i32 s22, s43, 0xfffffdc0
	v_add_co_ci_u32_e32 v12, vcc_lo, s7, v3, vcc_lo
	global_load_u16 v15, v[15:16], off
	s_lshl_b64 s[20:21], s[20:21], 1
	s_cmp_lt_i32 s22, s41
	global_load_u16 v33, v[11:12], off
	s_cselect_b32 s22, s22, s42
	s_clause 0x2
	global_load_u16 v16, v[5:6], off
	global_load_u16 v31, v[7:8], off
	;; [unrolled: 1-line block ×3, first 2 shown]
	s_ashr_i32 s23, s22, 31
	s_add_i32 s24, s43, 0xfffffe00
	s_lshl_b64 s[22:23], s[22:23], 1
	s_cmp_lt_i32 s24, s41
	v_add_co_u32 v13, vcc_lo, v1, s18
	s_cselect_b32 s24, s24, s42
	s_add_i32 s26, s43, 0xfffffe40
	s_ashr_i32 s25, s24, 31
	v_add_co_ci_u32_e32 v14, vcc_lo, s19, v3, vcc_lo
	s_lshl_b64 s[24:25], s[24:25], 1
	s_cmp_lt_i32 s26, s41
	v_add_co_u32 v5, vcc_lo, v1, s20
	s_cselect_b32 s8, s26, s42
	v_add_co_ci_u32_e32 v6, vcc_lo, s21, v3, vcc_lo
	s_ashr_i32 s9, s8, 31
	v_add_co_u32 v7, vcc_lo, v1, s22
	s_add_i32 s10, s43, 0xfffffe80
	s_lshl_b64 s[8:9], s[8:9], 1
	v_add_co_ci_u32_e32 v8, vcc_lo, s23, v3, vcc_lo
	s_cmp_lt_i32 s10, s41
	v_add_co_u32 v9, vcc_lo, v1, s24
	s_cselect_b32 s4, s10, s42
	global_load_u16 v13, v[13:14], off
	v_add_co_ci_u32_e32 v10, vcc_lo, s25, v3, vcc_lo
	s_ashr_i32 s5, s4, 31
	s_add_i32 s6, s43, 0xfffffec0
	s_lshl_b64 s[4:5], s[4:5], 1
	global_load_u16 v35, v[9:10], off
	s_cmp_lt_i32 s6, s41
	s_clause 0x1
	global_load_u16 v14, v[5:6], off
	global_load_u16 v34, v[7:8], off
	s_cselect_b32 s6, s6, s42
	s_add_i32 s10, s43, 0xffffff00
	s_ashr_i32 s7, s6, 31
	v_add_co_u32 v5, vcc_lo, v1, s8
	s_lshl_b64 s[6:7], s[6:7], 1
	s_cmp_lt_i32 s10, s41
	v_add_co_ci_u32_e32 v6, vcc_lo, s9, v3, vcc_lo
	s_cselect_b32 s10, s10, s42
	v_add_co_u32 v7, vcc_lo, v1, s4
	s_ashr_i32 s11, s10, 31
	v_add_co_ci_u32_e32 v8, vcc_lo, s5, v3, vcc_lo
	s_add_i32 s18, s43, 0xffffff40
	s_lshl_b64 s[10:11], s[10:11], 1
	s_cmp_lt_i32 s18, s41
	s_clause 0x1
	global_load_u16 v36, v[5:6], off
	global_load_u16 v37, v[7:8], off
	s_cselect_b32 s18, s18, s42
	v_add_co_u32 v5, vcc_lo, v1, s6
	s_ashr_i32 s19, s18, 31
	v_add_co_ci_u32_e32 v6, vcc_lo, s7, v3, vcc_lo
	s_add_i32 s20, s43, 0xffffff80
	v_add_co_u32 v7, vcc_lo, v1, s10
	s_lshl_b64 s[8:9], s[18:19], 1
	s_cmp_lt_i32 s20, s41
	v_add_co_ci_u32_e32 v8, vcc_lo, s11, v3, vcc_lo
	s_cselect_b32 s4, s20, s42
	global_load_u16 v38, v[5:6], off
	s_ashr_i32 s5, s4, 31
	global_load_u16 v39, v[7:8], off
	s_sub_i32 s18, s43, 64
	v_add_co_u32 v5, vcc_lo, v1, s8
	s_lshl_b64 s[4:5], s[4:5], 1
	s_cmp_lt_i32 s18, s41
	v_add_co_ci_u32_e32 v6, vcc_lo, s9, v3, vcc_lo
	v_add_co_u32 v7, vcc_lo, v1, s4
	s_cselect_b32 s6, s18, s42
	v_add_co_ci_u32_e32 v8, vcc_lo, s5, v3, vcc_lo
	s_ashr_i32 s7, s6, 31
	global_load_u16 v40, v[5:6], off
	s_lshl_b64 s[6:7], s[6:7], 1
	global_load_u16 v41, v[7:8], off
	s_cmp_lt_i32 s43, s41
	v_add_co_u32 v5, vcc_lo, v1, s6
	s_cselect_b32 s4, s43, s42
	v_add_co_ci_u32_e32 v6, vcc_lo, s7, v3, vcc_lo
	s_ashr_i32 s5, s4, 31
	s_delay_alu instid0(SALU_CYCLE_1)
	s_lshl_b64 s[4:5], s[4:5], 1
	global_load_u16 v42, v[5:6], off
	v_add_co_u32 v5, vcc_lo, v1, s4
	v_add_co_ci_u32_e32 v6, vcc_lo, s5, v3, vcc_lo
	global_load_u16 v43, v[5:6], off
	ds_load_b128 v[5:8], v44
	ds_load_b128 v[9:12], v44 offset:16
	s_waitcnt vmcnt(31)
	v_lshlrev_b32_e32 v2, 16, v2
	s_waitcnt lgkmcnt(1)
	s_delay_alu instid0(VALU_DEP_1) | instskip(SKIP_2) | instid1(VALU_DEP_1)
	v_fmac_f32_e32 v4, v5, v2
	s_waitcnt vmcnt(30)
	v_lshlrev_b32_e32 v2, 16, v23
	v_fmac_f32_e32 v4, v6, v2
	s_waitcnt vmcnt(29)
	v_lshlrev_b32_e32 v2, 16, v24
	s_delay_alu instid0(VALU_DEP_1) | instskip(SKIP_2) | instid1(VALU_DEP_1)
	v_fmac_f32_e32 v4, v7, v2
	s_waitcnt vmcnt(28)
	v_lshlrev_b32_e32 v2, 16, v25
	v_fmac_f32_e32 v4, v8, v2
	ds_load_b128 v[5:8], v44 offset:32
	s_waitcnt vmcnt(27)
	v_lshlrev_b32_e32 v2, 16, v26
	s_waitcnt lgkmcnt(1)
	s_delay_alu instid0(VALU_DEP_1) | instskip(SKIP_2) | instid1(VALU_DEP_1)
	v_fmac_f32_e32 v4, v9, v2
	s_waitcnt vmcnt(26)
	v_lshlrev_b32_e32 v2, 16, v27
	v_fmac_f32_e32 v4, v10, v2
	s_waitcnt vmcnt(24)
	v_lshlrev_b32_e32 v2, 16, v28
	s_delay_alu instid0(VALU_DEP_1) | instskip(SKIP_1) | instid1(VALU_DEP_1)
	v_fmac_f32_e32 v4, v11, v2
	v_lshlrev_b32_e32 v2, 16, v17
	v_fmac_f32_e32 v4, v12, v2
	ds_load_b128 v[9:12], v44 offset:48
	s_waitcnt vmcnt(23)
	v_lshlrev_b32_e32 v2, 16, v18
	s_waitcnt lgkmcnt(1)
	s_delay_alu instid0(VALU_DEP_1) | instskip(SKIP_2) | instid1(VALU_DEP_1)
	v_fmac_f32_e32 v4, v5, v2
	s_waitcnt vmcnt(21)
	v_lshlrev_b32_e32 v2, 16, v19
	v_fmac_f32_e32 v4, v6, v2
	s_waitcnt vmcnt(20)
	v_lshlrev_b32_e32 v2, 16, v20
	s_delay_alu instid0(VALU_DEP_1) | instskip(SKIP_2) | instid1(VALU_DEP_1)
	v_fmac_f32_e32 v4, v7, v2
	s_waitcnt vmcnt(19)
	v_lshlrev_b32_e32 v2, 16, v21
	v_fmac_f32_e32 v4, v8, v2
	s_waitcnt vmcnt(18)
	v_lshlrev_b32_e32 v2, 16, v22
	ds_load_b128 v[5:8], v44 offset:64
	s_waitcnt lgkmcnt(1)
	v_fmac_f32_e32 v4, v9, v2
	s_waitcnt vmcnt(17)
	v_lshlrev_b32_e32 v2, 16, v29
	s_delay_alu instid0(VALU_DEP_1) | instskip(SKIP_1) | instid1(VALU_DEP_1)
	v_fmac_f32_e32 v4, v10, v2
	v_lshlrev_b32_e32 v2, 16, v30
	v_fmac_f32_e32 v4, v11, v2
	s_waitcnt vmcnt(16)
	v_lshlrev_b32_e32 v2, 16, v15
	s_delay_alu instid0(VALU_DEP_1) | instskip(SKIP_4) | instid1(VALU_DEP_1)
	v_fmac_f32_e32 v4, v12, v2
	ds_load_b128 v[9:12], v44 offset:80
	s_waitcnt vmcnt(14)
	v_lshlrev_b32_e32 v2, 16, v16
	s_waitcnt lgkmcnt(1)
	v_fmac_f32_e32 v4, v5, v2
	s_waitcnt vmcnt(13)
	v_lshlrev_b32_e32 v2, 16, v31
	s_delay_alu instid0(VALU_DEP_1) | instskip(SKIP_2) | instid1(VALU_DEP_1)
	v_fmac_f32_e32 v4, v6, v2
	s_waitcnt vmcnt(12)
	v_lshlrev_b32_e32 v2, 16, v32
	v_fmac_f32_e32 v4, v7, v2
	v_lshlrev_b32_e32 v2, 16, v33
	s_delay_alu instid0(VALU_DEP_1) | instskip(SKIP_4) | instid1(VALU_DEP_1)
	v_fmac_f32_e32 v4, v8, v2
	ds_load_b128 v[5:8], v44 offset:96
	s_waitcnt vmcnt(11)
	v_lshlrev_b32_e32 v2, 16, v13
	s_waitcnt lgkmcnt(1)
	v_fmac_f32_e32 v4, v9, v2
	s_waitcnt vmcnt(9)
	v_lshlrev_b32_e32 v2, 16, v14
	s_delay_alu instid0(VALU_DEP_1) | instskip(SKIP_2) | instid1(VALU_DEP_1)
	v_fmac_f32_e32 v4, v10, v2
	s_waitcnt vmcnt(8)
	v_lshlrev_b32_e32 v2, 16, v34
	v_fmac_f32_e32 v4, v11, v2
	;; [unrolled: 15-line block ×3, first 2 shown]
	s_waitcnt vmcnt(4)
	v_lshlrev_b32_e32 v2, 16, v39
	s_delay_alu instid0(VALU_DEP_1) | instskip(SKIP_3) | instid1(VALU_DEP_1)
	v_fmac_f32_e32 v4, v8, v2
	s_waitcnt vmcnt(3)
	v_lshlrev_b32_e32 v2, 16, v40
	s_waitcnt lgkmcnt(0)
	v_fmac_f32_e32 v4, v9, v2
	s_waitcnt vmcnt(2)
	v_lshlrev_b32_e32 v2, 16, v41
	s_delay_alu instid0(VALU_DEP_1) | instskip(SKIP_2) | instid1(VALU_DEP_1)
	v_fmac_f32_e32 v4, v10, v2
	s_waitcnt vmcnt(1)
	v_lshlrev_b32_e32 v2, 16, v42
	v_fmac_f32_e32 v4, v11, v2
	s_waitcnt vmcnt(0)
	v_lshlrev_b32_e32 v2, 16, v43
	s_delay_alu instid0(VALU_DEP_1)
	v_fmac_f32_e32 v4, v12, v2
	s_branch .LBB419_14
.LBB419_17:
	v_mov_b32_e32 v1, 0
	s_and_b32 vcc_lo, exec_lo, s15
	ds_load_b32 v1, v1 offset:1792
	s_cbranch_vccz .LBB419_19
; %bb.18:
	s_add_u32 s2, s12, s16
	s_addc_u32 s3, s13, s17
	s_load_b32 s2, s[2:3], 0x0
	s_mov_b32 s3, 0
.LBB419_19:
	s_waitcnt lgkmcnt(0)
	v_add_f32_e32 v1, 0x358637bd, v1
	s_delay_alu instid0(VALU_DEP_1) | instskip(NEXT) | instid1(VALU_DEP_1)
	v_div_scale_f32 v2, null, v1, v1, 1.0
	v_rcp_f32_e32 v3, v2
	s_waitcnt_depctr 0xfff
	v_fma_f32 v5, -v2, v3, 1.0
	s_delay_alu instid0(VALU_DEP_1) | instskip(SKIP_1) | instid1(VALU_DEP_1)
	v_fmac_f32_e32 v3, v5, v3
	v_div_scale_f32 v5, vcc_lo, 1.0, v1, 1.0
	v_mul_f32_e32 v6, v5, v3
	s_delay_alu instid0(VALU_DEP_1) | instskip(NEXT) | instid1(VALU_DEP_1)
	v_fma_f32 v7, -v2, v6, v5
	v_fmac_f32_e32 v6, v7, v3
	s_delay_alu instid0(VALU_DEP_1) | instskip(NEXT) | instid1(VALU_DEP_1)
	v_fma_f32 v2, -v2, v6, v5
	v_div_fmas_f32 v2, v2, v3, v6
	s_delay_alu instid0(VALU_DEP_1) | instskip(NEXT) | instid1(VALU_DEP_1)
	v_div_fixup_f32 v1, v2, v1, 1.0
	v_mul_f32_e32 v2, v4, v1
	s_delay_alu instid0(VALU_DEP_1) | instskip(NEXT) | instid1(VALU_DEP_1)
	v_and_b32_e32 v1, 0x7f800000, v2
	v_cmp_ne_u32_e32 vcc_lo, 0x7f800000, v1
                                        ; implicit-def: $vgpr1
	s_and_saveexec_b32 s4, vcc_lo
	s_delay_alu instid0(SALU_CYCLE_1)
	s_xor_b32 s4, exec_lo, s4
; %bb.20:
	v_bfe_u32 v1, v2, 16, 1
	s_delay_alu instid0(VALU_DEP_1)
	v_add3_u32 v1, v2, v1, 0x7fff
                                        ; implicit-def: $vgpr2
; %bb.21:
	s_and_not1_saveexec_b32 s4, s4
; %bb.22:
	v_and_b32_e32 v1, 0xffff, v2
	v_or_b32_e32 v3, 0x10000, v2
	s_delay_alu instid0(VALU_DEP_2) | instskip(NEXT) | instid1(VALU_DEP_2)
	v_cmp_eq_u32_e32 vcc_lo, 0, v1
	v_cndmask_b32_e32 v1, v3, v2, vcc_lo
; %bb.23:
	s_or_b32 exec_lo, exec_lo, s4
	s_mul_i32 s3, s33, s3
	s_mul_hi_u32 s4, s33, s2
	s_mul_i32 s2, s33, s2
	s_add_i32 s3, s4, s3
	s_mov_b32 s15, 0
	s_lshl_b64 s[2:3], s[2:3], 6
	v_and_b32_e32 v1, 0xffff0000, v1
	s_add_u32 s2, s0, s2
	s_addc_u32 s3, s1, s3
	s_lshl_b64 s[0:1], s[14:15], 6
	s_delay_alu instid0(SALU_CYCLE_1)
	s_add_u32 s0, s2, s0
	s_addc_u32 s1, s3, s1
	v_add_co_u32 v0, s0, s0, v0
	v_cvt_i32_f32_e32 v2, v1
	v_add_co_ci_u32_e64 v1, null, s1, 0, s0
	global_store_b8 v[0:1], v2, off
	s_nop 0
	s_sendmsg sendmsg(MSG_DEALLOC_VGPRS)
	s_endpgm
.LBB419_24:
	s_mov_b32 s4, 0
	s_branch .LBB419_2
	.section	.rodata,"a",@progbits
	.p2align	6, 0x0
	.amdhsa_kernel _Z35paged_attention_ll4mi_reduce_kernelI14__hip_bfloat16hLi64ELi64ELi256ELi14EEvPT0_PKfS4_PKT_PKiS9_iS4_
		.amdhsa_group_segment_fixed_size 1796
		.amdhsa_private_segment_fixed_size 0
		.amdhsa_kernarg_size 320
		.amdhsa_user_sgpr_count 14
		.amdhsa_user_sgpr_dispatch_ptr 0
		.amdhsa_user_sgpr_queue_ptr 0
		.amdhsa_user_sgpr_kernarg_segment_ptr 1
		.amdhsa_user_sgpr_dispatch_id 0
		.amdhsa_user_sgpr_private_segment_size 0
		.amdhsa_wavefront_size32 1
		.amdhsa_uses_dynamic_stack 0
		.amdhsa_enable_private_segment 0
		.amdhsa_system_sgpr_workgroup_id_x 1
		.amdhsa_system_sgpr_workgroup_id_y 1
		.amdhsa_system_sgpr_workgroup_id_z 0
		.amdhsa_system_sgpr_workgroup_info 0
		.amdhsa_system_vgpr_workitem_id 0
		.amdhsa_next_free_vgpr 77
		.amdhsa_next_free_sgpr 49
		.amdhsa_reserve_vcc 1
		.amdhsa_float_round_mode_32 0
		.amdhsa_float_round_mode_16_64 0
		.amdhsa_float_denorm_mode_32 3
		.amdhsa_float_denorm_mode_16_64 3
		.amdhsa_dx10_clamp 1
		.amdhsa_ieee_mode 1
		.amdhsa_fp16_overflow 0
		.amdhsa_workgroup_processor_mode 1
		.amdhsa_memory_ordered 1
		.amdhsa_forward_progress 0
		.amdhsa_shared_vgpr_count 0
		.amdhsa_exception_fp_ieee_invalid_op 0
		.amdhsa_exception_fp_denorm_src 0
		.amdhsa_exception_fp_ieee_div_zero 0
		.amdhsa_exception_fp_ieee_overflow 0
		.amdhsa_exception_fp_ieee_underflow 0
		.amdhsa_exception_fp_ieee_inexact 0
		.amdhsa_exception_int_div_zero 0
	.end_amdhsa_kernel
	.section	.text._Z35paged_attention_ll4mi_reduce_kernelI14__hip_bfloat16hLi64ELi64ELi256ELi14EEvPT0_PKfS4_PKT_PKiS9_iS4_,"axG",@progbits,_Z35paged_attention_ll4mi_reduce_kernelI14__hip_bfloat16hLi64ELi64ELi256ELi14EEvPT0_PKfS4_PKT_PKiS9_iS4_,comdat
.Lfunc_end419:
	.size	_Z35paged_attention_ll4mi_reduce_kernelI14__hip_bfloat16hLi64ELi64ELi256ELi14EEvPT0_PKfS4_PKT_PKiS9_iS4_, .Lfunc_end419-_Z35paged_attention_ll4mi_reduce_kernelI14__hip_bfloat16hLi64ELi64ELi256ELi14EEvPT0_PKfS4_PKT_PKiS9_iS4_
                                        ; -- End function
	.section	.AMDGPU.csdata,"",@progbits
; Kernel info:
; codeLenInByte = 7880
; NumSgprs: 51
; NumVgprs: 77
; ScratchSize: 0
; MemoryBound: 0
; FloatMode: 240
; IeeeMode: 1
; LDSByteSize: 1796 bytes/workgroup (compile time only)
; SGPRBlocks: 6
; VGPRBlocks: 9
; NumSGPRsForWavesPerEU: 51
; NumVGPRsForWavesPerEU: 77
; Occupancy: 16
; WaveLimiterHint : 0
; COMPUTE_PGM_RSRC2:SCRATCH_EN: 0
; COMPUTE_PGM_RSRC2:USER_SGPR: 14
; COMPUTE_PGM_RSRC2:TRAP_HANDLER: 0
; COMPUTE_PGM_RSRC2:TGID_X_EN: 1
; COMPUTE_PGM_RSRC2:TGID_Y_EN: 1
; COMPUTE_PGM_RSRC2:TGID_Z_EN: 0
; COMPUTE_PGM_RSRC2:TIDIG_COMP_CNT: 0
	.section	.text._Z35paged_attention_ll4mi_reduce_kernelI14__hip_bfloat16hLi64ELi64ELi256ELi15EEvPT0_PKfS4_PKT_PKiS9_iS4_,"axG",@progbits,_Z35paged_attention_ll4mi_reduce_kernelI14__hip_bfloat16hLi64ELi64ELi256ELi15EEvPT0_PKfS4_PKT_PKiS9_iS4_,comdat
	.protected	_Z35paged_attention_ll4mi_reduce_kernelI14__hip_bfloat16hLi64ELi64ELi256ELi15EEvPT0_PKfS4_PKT_PKiS9_iS4_ ; -- Begin function _Z35paged_attention_ll4mi_reduce_kernelI14__hip_bfloat16hLi64ELi64ELi256ELi15EEvPT0_PKfS4_PKT_PKiS9_iS4_
	.globl	_Z35paged_attention_ll4mi_reduce_kernelI14__hip_bfloat16hLi64ELi64ELi256ELi15EEvPT0_PKfS4_PKT_PKiS9_iS4_
	.p2align	8
	.type	_Z35paged_attention_ll4mi_reduce_kernelI14__hip_bfloat16hLi64ELi64ELi256ELi15EEvPT0_PKfS4_PKT_PKiS9_iS4_,@function
_Z35paged_attention_ll4mi_reduce_kernelI14__hip_bfloat16hLi64ELi64ELi256ELi15EEvPT0_PKfS4_PKT_PKiS9_iS4_: ; @_Z35paged_attention_ll4mi_reduce_kernelI14__hip_bfloat16hLi64ELi64ELi256ELi15EEvPT0_PKfS4_PKT_PKiS9_iS4_
; %bb.0:
	s_load_b64 s[12:13], s[0:1], 0x28
	s_mov_b32 s2, s15
	s_waitcnt lgkmcnt(0)
	s_cmp_lg_u64 s[12:13], 0
	s_cselect_b32 s15, -1, 0
	s_delay_alu instid0(SALU_CYCLE_1)
	s_and_b32 vcc_lo, exec_lo, s15
	s_cbranch_vccz .LBB420_24
; %bb.1:
	s_add_i32 s4, s2, 1
	s_mov_b32 s5, 0
	s_delay_alu instid0(SALU_CYCLE_1) | instskip(SKIP_4) | instid1(SALU_CYCLE_1)
	s_lshl_b64 s[6:7], s[4:5], 2
	s_mov_b32 s3, s5
	s_add_u32 s6, s12, s6
	s_addc_u32 s7, s13, s7
	s_lshl_b64 s[8:9], s[2:3], 2
	s_add_u32 s8, s12, s8
	s_addc_u32 s9, s13, s9
	s_clause 0x1
	s_load_b32 s4, s[6:7], 0x0
	s_load_b32 s6, s[8:9], 0x0
	s_waitcnt lgkmcnt(0)
	s_sub_i32 s4, s4, s6
	s_delay_alu instid0(SALU_CYCLE_1)
	s_cmp_eq_u32 s4, 1
	s_cselect_b32 s4, -1, 0
	s_cbranch_execnz .LBB420_3
.LBB420_2:
	s_mov_b32 s3, 0
	s_mov_b32 s4, -1
.LBB420_3:
	s_delay_alu instid0(SALU_CYCLE_1)
	s_and_not1_b32 vcc_lo, exec_lo, s4
	s_cbranch_vccz .LBB420_5
; %bb.4:
	s_endpgm
.LBB420_5:
	s_clause 0x1
	s_load_b128 s[4:7], s[0:1], 0x18
	s_load_b32 s9, s[0:1], 0x30
	s_lshl_b64 s[16:17], s[2:3], 2
	s_waitcnt lgkmcnt(0)
	s_add_u32 s6, s6, s16
	s_addc_u32 s7, s7, s17
	s_load_b32 s23, s[6:7], 0x0
	s_load_b32 s33, s[0:1], 0x40
	s_mul_i32 s7, s2, s9
	s_waitcnt lgkmcnt(0)
	s_add_i32 s22, s23, 0xff
	s_delay_alu instid0(SALU_CYCLE_1) | instskip(NEXT) | instid1(SALU_CYCLE_1)
	s_ashr_i32 s6, s22, 31
	s_lshr_b32 s6, s6, 24
	s_delay_alu instid0(SALU_CYCLE_1) | instskip(SKIP_4) | instid1(SALU_CYCLE_1)
	s_add_i32 s8, s22, s6
	s_mul_i32 s6, s14, s9
	s_mov_b32 s9, exec_lo
	v_cmpx_lt_u32_e32 31, v0
	s_xor_b32 s9, exec_lo, s9
	s_or_saveexec_b32 s24, s9
	v_mov_b32_e32 v1, s6
	s_ashr_i32 s40, s8, 8
	s_mul_i32 s18, s7, s33
	s_xor_b32 exec_lo, exec_lo, s24
	s_cbranch_execz .LBB420_9
; %bb.6:
	v_or_b32_e32 v2, 32, v0
	v_cmp_gt_i32_e32 vcc_lo, s40, v0
	s_add_i32 s20, s40, -1
	v_or_b32_e32 v4, 64, v0
	v_or_b32_e32 v6, 0xa0, v0
	s_load_b128 s[8:11], s[0:1], 0x8
	v_cndmask_b32_e32 v1, s20, v0, vcc_lo
	v_cmp_gt_i32_e32 vcc_lo, s40, v2
	s_mov_b32 s19, 0
	s_delay_alu instid0(SALU_CYCLE_1)
	s_mov_b32 s7, s19
	v_cndmask_b32_e32 v3, s20, v2, vcc_lo
	v_or_b32_e32 v2, 0x60, v0
	v_cmp_gt_i32_e32 vcc_lo, s40, v4
	v_cndmask_b32_e32 v5, s20, v4, vcc_lo
	v_or_b32_e32 v4, 0x80, v0
	s_delay_alu instid0(VALU_DEP_4) | instskip(SKIP_1) | instid1(VALU_DEP_3)
	v_cmp_gt_i32_e32 vcc_lo, s40, v2
	v_cndmask_b32_e32 v7, s20, v2, vcc_lo
	v_cmp_gt_i32_e32 vcc_lo, s40, v4
	v_or_b32_e32 v2, 0xc0, v0
	s_delay_alu instid0(VALU_DEP_3) | instskip(SKIP_3) | instid1(VALU_DEP_3)
	v_ashrrev_i32_e32 v8, 31, v7
	v_cndmask_b32_e32 v9, s20, v4, vcc_lo
	v_cmp_gt_i32_e32 vcc_lo, s40, v6
	v_or_b32_e32 v4, 0xe0, v0
	v_ashrrev_i32_e32 v10, 31, v9
	v_cndmask_b32_e32 v11, s20, v6, vcc_lo
	v_cmp_gt_i32_e32 vcc_lo, s40, v2
	v_or_b32_e32 v6, 0x120, v0
	s_delay_alu instid0(VALU_DEP_3) | instskip(SKIP_3) | instid1(VALU_DEP_3)
	v_ashrrev_i32_e32 v12, 31, v11
	v_cndmask_b32_e32 v13, s20, v2, vcc_lo
	v_or_b32_e32 v2, 0x100, v0
	v_cmp_gt_i32_e32 vcc_lo, s40, v4
	v_ashrrev_i32_e32 v14, 31, v13
	v_cndmask_b32_e32 v15, s20, v4, vcc_lo
	s_delay_alu instid0(VALU_DEP_4) | instskip(SKIP_1) | instid1(VALU_DEP_3)
	v_cmp_gt_i32_e32 vcc_lo, s40, v2
	v_or_b32_e32 v4, 0x140, v0
	v_ashrrev_i32_e32 v16, 31, v15
	v_cndmask_b32_e32 v17, s20, v2, vcc_lo
	v_cmp_gt_i32_e32 vcc_lo, s40, v6
	v_or_b32_e32 v2, 0x160, v0
	s_delay_alu instid0(VALU_DEP_3) | instskip(SKIP_3) | instid1(VALU_DEP_3)
	v_ashrrev_i32_e32 v18, 31, v17
	v_cndmask_b32_e32 v19, s20, v6, vcc_lo
	v_cmp_gt_i32_e32 vcc_lo, s40, v4
	v_or_b32_e32 v6, 0x1a0, v0
	v_ashrrev_i32_e32 v20, 31, v19
	v_cndmask_b32_e32 v21, s20, v4, vcc_lo
	v_or_b32_e32 v4, 0x180, v0
	v_cmp_gt_i32_e32 vcc_lo, s40, v2
	s_delay_alu instid0(VALU_DEP_3) | instskip(SKIP_1) | instid1(VALU_DEP_4)
	v_ashrrev_i32_e32 v22, 31, v21
	v_cndmask_b32_e32 v23, s20, v2, vcc_lo
	v_cmp_gt_i32_e32 vcc_lo, s40, v4
	v_or_b32_e32 v2, 0x1c0, v0
	s_delay_alu instid0(VALU_DEP_3) | instskip(SKIP_3) | instid1(VALU_DEP_3)
	v_ashrrev_i32_e32 v24, 31, v23
	v_cndmask_b32_e32 v25, s20, v4, vcc_lo
	v_cmp_gt_i32_e32 vcc_lo, s40, v6
	v_ashrrev_i32_e32 v4, 31, v3
	v_ashrrev_i32_e32 v26, 31, v25
	v_cndmask_b32_e32 v27, s20, v6, vcc_lo
	v_cmp_gt_i32_e32 vcc_lo, s40, v2
	v_ashrrev_i32_e32 v6, 31, v5
	v_lshlrev_b64 v[33:34], 2, v[3:4]
	s_delay_alu instid0(VALU_DEP_4)
	v_ashrrev_i32_e32 v28, 31, v27
	v_cndmask_b32_e32 v29, s20, v2, vcc_lo
	v_ashrrev_i32_e32 v2, 31, v1
	s_lshl_b64 s[20:21], s[18:19], 2
	v_lshlrev_b64 v[4:5], 2, v[5:6]
	s_waitcnt lgkmcnt(0)
	s_add_u32 s19, s10, s20
	s_addc_u32 s25, s11, s21
	v_lshlrev_b64 v[31:32], 2, v[1:2]
	s_lshl_b64 s[10:11], s[6:7], 2
	v_lshlrev_b64 v[6:7], 2, v[7:8]
	s_add_u32 s7, s19, s10
	s_addc_u32 s19, s25, s11
	v_lshlrev_b64 v[8:9], 2, v[9:10]
	v_add_co_u32 v1, vcc_lo, s7, v31
	v_add_co_ci_u32_e32 v2, vcc_lo, s19, v32, vcc_lo
	v_add_co_u32 v35, vcc_lo, s7, v33
	v_add_co_ci_u32_e32 v36, vcc_lo, s19, v34, vcc_lo
	;; [unrolled: 2-line block ×3, first 2 shown]
	v_add_co_u32 v39, vcc_lo, s7, v6
	v_lshlrev_b64 v[10:11], 2, v[11:12]
	v_add_co_ci_u32_e32 v40, vcc_lo, s19, v7, vcc_lo
	v_add_co_u32 v41, vcc_lo, s7, v8
	v_lshlrev_b64 v[12:13], 2, v[13:14]
	v_add_co_ci_u32_e32 v42, vcc_lo, s19, v9, vcc_lo
	;; [unrolled: 3-line block ×5, first 2 shown]
	s_clause 0x7
	global_load_b32 v49, v[1:2], off
	global_load_b32 v50, v[35:36], off
	;; [unrolled: 1-line block ×8, first 2 shown]
	v_add_co_u32 v1, vcc_lo, s7, v16
	v_lshlrev_b64 v[20:21], 2, v[21:22]
	v_add_co_ci_u32_e32 v2, vcc_lo, s19, v17, vcc_lo
	v_add_co_u32 v35, vcc_lo, s7, v18
	v_add_co_ci_u32_e32 v36, vcc_lo, s19, v19, vcc_lo
	v_lshlrev_b64 v[22:23], 2, v[23:24]
	v_add_co_u32 v37, vcc_lo, s7, v20
	v_add_co_ci_u32_e32 v38, vcc_lo, s19, v21, vcc_lo
	v_lshlrev_b64 v[24:25], 2, v[25:26]
	v_ashrrev_i32_e32 v30, 31, v29
	s_clause 0x2
	global_load_b32 v45, v[1:2], off
	global_load_b32 v46, v[35:36], off
	global_load_b32 v47, v[37:38], off
	v_add_co_u32 v1, vcc_lo, s7, v22
	v_lshlrev_b64 v[26:27], 2, v[27:28]
	v_add_co_ci_u32_e32 v2, vcc_lo, s19, v23, vcc_lo
	v_add_co_u32 v35, vcc_lo, s7, v24
	v_lshlrev_b64 v[28:29], 2, v[29:30]
	v_add_co_ci_u32_e32 v36, vcc_lo, s19, v25, vcc_lo
	v_add_co_u32 v37, vcc_lo, s7, v26
	v_add_co_ci_u32_e32 v38, vcc_lo, s19, v27, vcc_lo
	s_delay_alu instid0(VALU_DEP_4)
	v_add_co_u32 v39, vcc_lo, s7, v28
	v_add_co_ci_u32_e32 v40, vcc_lo, s19, v29, vcc_lo
	s_clause 0x3
	global_load_b32 v48, v[1:2], off
	global_load_b32 v35, v[35:36], off
	;; [unrolled: 1-line block ×4, first 2 shown]
	v_mbcnt_lo_u32_b32 v37, -1, 0
	s_add_u32 s7, s8, s20
	s_addc_u32 s8, s9, s21
	s_add_u32 s7, s7, s10
	s_addc_u32 s8, s8, s11
	v_xor_b32_e32 v1, 16, v37
	v_xor_b32_e32 v2, 8, v37
	s_delay_alu instid0(VALU_DEP_2) | instskip(SKIP_1) | instid1(VALU_DEP_3)
	v_cmp_gt_i32_e32 vcc_lo, 32, v1
	v_cndmask_b32_e32 v1, v37, v1, vcc_lo
	v_cmp_gt_i32_e32 vcc_lo, 32, v2
	v_cndmask_b32_e32 v38, v37, v2, vcc_lo
	s_delay_alu instid0(VALU_DEP_3) | instskip(NEXT) | instid1(VALU_DEP_2)
	v_lshlrev_b32_e32 v2, 2, v1
	v_lshlrev_b32_e32 v1, 2, v38
	s_waitcnt vmcnt(12)
	v_max3_f32 v30, v49, v50, v51
	s_waitcnt vmcnt(10)
	s_delay_alu instid0(VALU_DEP_1) | instskip(SKIP_1) | instid1(VALU_DEP_1)
	v_max3_f32 v30, v30, v52, v41
	s_waitcnt vmcnt(8)
	v_max3_f32 v30, v30, v42, v43
	s_waitcnt vmcnt(6)
	s_delay_alu instid0(VALU_DEP_1) | instskip(SKIP_3) | instid1(VALU_DEP_3)
	v_max3_f32 v38, v30, v44, v45
	v_add_co_u32 v30, vcc_lo, s7, v31
	v_add_co_ci_u32_e32 v31, vcc_lo, s8, v32, vcc_lo
	s_waitcnt vmcnt(4)
	v_max3_f32 v38, v38, v46, v47
	v_add_co_u32 v32, vcc_lo, s7, v33
	v_add_co_ci_u32_e32 v33, vcc_lo, s8, v34, vcc_lo
	v_add_co_u32 v4, vcc_lo, s7, v4
	v_add_co_ci_u32_e32 v5, vcc_lo, s8, v5, vcc_lo
	;; [unrolled: 2-line block ×3, first 2 shown]
	v_add_co_u32 v8, vcc_lo, s7, v8
	s_waitcnt vmcnt(2)
	v_max3_f32 v34, v38, v48, v35
	v_add_co_ci_u32_e32 v9, vcc_lo, s8, v9, vcc_lo
	v_add_co_u32 v10, vcc_lo, s7, v10
	s_waitcnt vmcnt(0)
	s_delay_alu instid0(VALU_DEP_3)
	v_max3_f32 v34, v34, v36, v3
	v_add_co_ci_u32_e32 v11, vcc_lo, s8, v11, vcc_lo
	v_add_co_u32 v12, vcc_lo, s7, v12
	ds_bpermute_b32 v38, v2, v34
	v_add_co_ci_u32_e32 v13, vcc_lo, s8, v13, vcc_lo
	v_add_co_u32 v14, vcc_lo, s7, v14
	v_add_co_ci_u32_e32 v15, vcc_lo, s8, v15, vcc_lo
	v_add_co_u32 v16, vcc_lo, s7, v16
	;; [unrolled: 2-line block ×4, first 2 shown]
	s_clause 0x9
	global_load_b32 v30, v[30:31], off
	global_load_b32 v31, v[32:33], off
	;; [unrolled: 1-line block ×10, first 2 shown]
	v_xor_b32_e32 v10, 4, v37
	v_add_co_ci_u32_e32 v21, vcc_lo, s8, v21, vcc_lo
	s_waitcnt lgkmcnt(0)
	v_max_f32_e32 v38, v38, v38
	v_add_co_u32 v8, vcc_lo, s7, v22
	v_add_co_ci_u32_e32 v9, vcc_lo, s8, v23, vcc_lo
	s_delay_alu instid0(VALU_DEP_3)
	v_max_f32_e32 v34, v34, v38
	v_cmp_gt_i32_e32 vcc_lo, 32, v10
	s_clause 0x1
	global_load_b32 v7, v[20:21], off
	global_load_b32 v8, v[8:9], off
	v_xor_b32_e32 v14, 2, v37
	ds_bpermute_b32 v38, v1, v34
	v_cndmask_b32_e32 v9, v37, v10, vcc_lo
	s_waitcnt lgkmcnt(0)
	s_delay_alu instid0(VALU_DEP_1) | instskip(NEXT) | instid1(VALU_DEP_1)
	v_dual_max_f32 v11, v38, v38 :: v_dual_lshlrev_b32 v10, 2, v9
	v_max_f32_e32 v13, v34, v11
	v_add_co_u32 v11, vcc_lo, s7, v24
	v_add_co_ci_u32_e32 v12, vcc_lo, s8, v25, vcc_lo
	ds_bpermute_b32 v9, v10, v13
	v_cmp_gt_i32_e32 vcc_lo, 32, v14
	s_waitcnt lgkmcnt(0)
	v_max_f32_e32 v15, v9, v9
	global_load_b32 v9, v[11:12], off
	v_max_f32_e32 v16, v13, v15
	v_cndmask_b32_e32 v14, v37, v14, vcc_lo
	v_add_co_u32 v12, vcc_lo, s7, v26
	v_add_co_ci_u32_e32 v13, vcc_lo, s8, v27, vcc_lo
	s_delay_alu instid0(VALU_DEP_3)
	v_lshlrev_b32_e32 v11, 2, v14
	v_add_co_u32 v14, vcc_lo, s7, v28
	v_add_co_ci_u32_e32 v15, vcc_lo, s8, v29, vcc_lo
	ds_bpermute_b32 v17, v11, v16
	global_load_b32 v13, v[12:13], off
	s_mov_b32 s7, exec_lo
	global_load_b32 v14, v[14:15], off
	v_xor_b32_e32 v12, 1, v37
	s_delay_alu instid0(VALU_DEP_1) | instskip(SKIP_2) | instid1(VALU_DEP_1)
	v_cmp_gt_i32_e32 vcc_lo, 32, v12
	v_cndmask_b32_e32 v12, v37, v12, vcc_lo
	s_waitcnt lgkmcnt(0)
	v_dual_max_f32 v15, v17, v17 :: v_dual_lshlrev_b32 v12, 2, v12
	s_delay_alu instid0(VALU_DEP_1) | instskip(SKIP_3) | instid1(VALU_DEP_1)
	v_max_f32_e32 v15, v16, v15
	ds_bpermute_b32 v16, v12, v15
	s_waitcnt lgkmcnt(0)
	v_max_f32_e32 v16, v16, v16
	v_max_f32_e32 v16, v15, v16
	v_sub_nc_u32_e32 v15, s40, v0
	s_delay_alu instid0(VALU_DEP_2)
	v_sub_f32_e32 v20, v52, v16
	v_sub_f32_e32 v26, v46, v16
	;; [unrolled: 1-line block ×5, first 2 shown]
	v_mul_f32_e32 v38, 0x3fb8aa3b, v20
	v_mul_f32_e32 v46, 0x3fb8aa3b, v26
	v_sub_f32_e32 v28, v48, v16
	v_mul_f32_e32 v44, 0x3fb8aa3b, v24
	v_sub_f32_e32 v22, v42, v16
	v_fma_f32 v57, 0x3fb8aa3b, v20, -v38
	v_rndne_f32_e32 v58, v38
	v_mul_f32_e32 v48, 0x3fb8aa3b, v28
	v_rndne_f32_e32 v66, v44
	v_mul_f32_e32 v42, 0x3fb8aa3b, v22
	s_delay_alu instid0(VALU_DEP_4)
	v_dual_fmac_f32 v57, 0x32a5705f, v20 :: v_dual_sub_f32 v38, v38, v58
	v_sub_f32_e32 v29, v35, v16
	v_mul_f32_e32 v35, 0x3fb8aa3b, v17
	v_fma_f32 v73, 0x3fb8aa3b, v28, -v48
	v_rndne_f32_e32 v74, v48
	v_sub_f32_e32 v27, v47, v16
	v_fma_f32 v61, 0x3fb8aa3b, v22, -v42
	v_fma_f32 v50, 0x3fb8aa3b, v17, -v35
	v_sub_f32_e32 v19, v51, v16
	v_dual_fmac_f32 v73, 0x32a5705f, v28 :: v_dual_sub_f32 v48, v48, v74
	v_rndne_f32_e32 v62, v42
	s_delay_alu instid0(VALU_DEP_4) | instskip(NEXT) | instid1(VALU_DEP_4)
	v_fmac_f32_e32 v50, 0x32a5705f, v17
	v_mul_f32_e32 v37, 0x3fb8aa3b, v19
	v_cvt_i32_f32_e32 v74, v74
	v_dual_add_f32 v48, v48, v73 :: v_dual_sub_f32 v23, v43, v16
	v_sub_f32_e32 v42, v42, v62
	s_delay_alu instid0(VALU_DEP_4) | instskip(SKIP_1) | instid1(VALU_DEP_4)
	v_fma_f32 v55, 0x3fb8aa3b, v19, -v37
	v_sub_f32_e32 v34, v36, v16
	v_exp_f32_e32 v48, v48
	v_mul_f32_e32 v36, 0x3fb8aa3b, v18
	v_rndne_f32_e32 v51, v35
	v_fmac_f32_e32 v55, 0x32a5705f, v19
	v_fma_f32 v65, 0x3fb8aa3b, v24, -v44
	v_fma_f32 v69, 0x3fb8aa3b, v26, -v46
	v_rndne_f32_e32 v70, v46
	v_dual_sub_f32 v44, v44, v66 :: v_dual_sub_f32 v25, v45, v16
	v_fma_f32 v52, 0x3fb8aa3b, v18, -v36
	s_delay_alu instid0(TRANS32_DEP_1) | instskip(NEXT) | instid1(VALU_DEP_4)
	v_ldexp_f32 v48, v48, v74
	v_sub_f32_e32 v46, v46, v70
	v_fmac_f32_e32 v61, 0x32a5705f, v22
	v_mul_f32_e32 v43, 0x3fb8aa3b, v23
	v_rndne_f32_e32 v54, v36
	v_fmac_f32_e32 v69, 0x32a5705f, v26
	s_delay_alu instid0(VALU_DEP_4) | instskip(SKIP_3) | instid1(VALU_DEP_4)
	v_dual_sub_f32 v35, v35, v51 :: v_dual_add_f32 v42, v42, v61
	v_dual_sub_f32 v21, v41, v16 :: v_dual_fmac_f32 v52, 0x32a5705f, v18
	v_rndne_f32_e32 v56, v37
	v_sub_f32_e32 v36, v36, v54
	v_exp_f32_e32 v42, v42
	v_cvt_i32_f32_e32 v62, v62
	v_dual_add_f32 v46, v46, v69 :: v_dual_add_f32 v35, v35, v50
	s_delay_alu instid0(VALU_DEP_3) | instskip(SKIP_2) | instid1(VALU_DEP_4)
	v_dual_mul_f32 v41, 0x3fb8aa3b, v21 :: v_dual_add_f32 v36, v36, v52
	v_cvt_i32_f32_e32 v51, v51
	v_cvt_i32_f32_e32 v54, v54
	v_exp_f32_e32 v35, v35
	v_fmac_f32_e32 v65, 0x32a5705f, v24
	s_delay_alu instid0(TRANS32_DEP_2)
	v_ldexp_f32 v42, v42, v62
	v_sub_f32_e32 v37, v37, v56
	v_exp_f32_e32 v36, v36
	v_add_f32_e32 v38, v38, v57
	v_cmp_ngt_f32_e32 vcc_lo, 0xc2ce8ed0, v17
	v_dual_mul_f32 v47, 0x3fb8aa3b, v27 :: v_dual_add_f32 v44, v44, v65
	v_add_f32_e32 v37, v37, v55
	s_delay_alu instid0(TRANS32_DEP_2)
	v_ldexp_f32 v35, v35, v51
	v_cvt_i32_f32_e32 v56, v56
	v_exp_f32_e32 v38, v38
	v_cvt_i32_f32_e32 v58, v58
	v_exp_f32_e32 v37, v37
	v_ldexp_f32 v36, v36, v54
	v_cndmask_b32_e32 v35, 0, v35, vcc_lo
	v_cmp_ngt_f32_e32 vcc_lo, 0xc2ce8ed0, v18
	v_mul_f32_e32 v45, 0x3fb8aa3b, v25
	v_exp_f32_e32 v44, v44
	v_fma_f32 v59, 0x3fb8aa3b, v21, -v41
	v_rndne_f32_e32 v60, v41
	v_cndmask_b32_e32 v36, 0, v36, vcc_lo
	v_cmp_ngt_f32_e32 vcc_lo, 0xc2ce8ed0, v19
	v_ldexp_f32 v37, v37, v56
	v_cvt_i32_f32_e32 v66, v66
	v_ldexp_f32 v38, v38, v58
	v_fma_f32 v63, 0x3fb8aa3b, v23, -v43
	v_rndne_f32_e32 v64, v43
	v_cndmask_b32_e32 v37, 0, v37, vcc_lo
	v_cmp_ngt_f32_e32 vcc_lo, 0xc2ce8ed0, v20
	v_mul_f32_e32 v49, 0x3fb8aa3b, v29
	v_ldexp_f32 v44, v44, v66
	v_fmac_f32_e32 v59, 0x32a5705f, v21
	v_dual_fmac_f32 v63, 0x32a5705f, v23 :: v_dual_cndmask_b32 v38, 0, v38
	v_sub_f32_e32 v41, v41, v60
	v_cvt_i32_f32_e32 v60, v60
	v_cmp_ngt_f32_e32 vcc_lo, 0xc2ce8ed0, v21
	v_fma_f32 v67, 0x3fb8aa3b, v25, -v45
	v_rndne_f32_e32 v68, v45
	v_add_f32_e32 v41, v41, v59
	v_fma_f32 v71, 0x3fb8aa3b, v27, -v47
	v_rndne_f32_e32 v72, v47
	v_fmac_f32_e32 v67, 0x32a5705f, v25
	v_sub_f32_e32 v45, v45, v68
	v_exp_f32_e32 v41, v41
	v_fmac_f32_e32 v71, 0x32a5705f, v27
	v_sub_f32_e32 v47, v47, v72
	v_cvt_i32_f32_e32 v68, v68
	v_add_f32_e32 v45, v45, v67
	v_exp_f32_e32 v46, v46
	v_fma_f32 v75, 0x3fb8aa3b, v29, -v49
	v_add_f32_e32 v47, v47, v71
	v_cvt_i32_f32_e32 v70, v70
	v_exp_f32_e32 v45, v45
	v_ldexp_f32 v41, v41, v60
	v_cvt_i32_f32_e32 v72, v72
	v_exp_f32_e32 v47, v47
	v_fmac_f32_e32 v75, 0x32a5705f, v29
	v_sub_f32_e32 v3, v3, v16
	v_cndmask_b32_e32 v41, 0, v41, vcc_lo
	v_cmp_ngt_f32_e32 vcc_lo, 0xc2ce8ed0, v22
	v_ldexp_f32 v46, v46, v70
	v_rndne_f32_e32 v76, v49
	v_ldexp_f32 v45, v45, v68
	v_dual_cndmask_b32 v42, 0, v42 :: v_dual_sub_f32 v43, v43, v64
	v_cvt_i32_f32_e32 v64, v64
	v_cmp_ngt_f32_e32 vcc_lo, 0xc2ce8ed0, v23
	v_ldexp_f32 v47, v47, v72
	s_delay_alu instid0(VALU_DEP_4) | instskip(NEXT) | instid1(VALU_DEP_1)
	v_add_f32_e32 v43, v43, v63
	v_exp_f32_e32 v43, v43
	s_waitcnt_depctr 0xfff
	v_ldexp_f32 v43, v43, v64
	s_delay_alu instid0(VALU_DEP_1)
	v_cndmask_b32_e32 v43, 0, v43, vcc_lo
	v_cmp_ngt_f32_e32 vcc_lo, 0xc2ce8ed0, v24
	v_cndmask_b32_e32 v44, 0, v44, vcc_lo
	v_cmp_ngt_f32_e32 vcc_lo, 0xc2ce8ed0, v25
	;; [unrolled: 2-line block ×5, first 2 shown]
	v_cndmask_b32_e32 v48, 0, v48, vcc_lo
	v_cmp_nlt_f32_e32 vcc_lo, 0x42b17218, v17
	v_cndmask_b32_e32 v17, 0x7f800000, v35, vcc_lo
	v_cmp_nlt_f32_e32 vcc_lo, 0x42b17218, v18
	v_cndmask_b32_e32 v18, 0x7f800000, v36, vcc_lo
	v_cmp_nlt_f32_e32 vcc_lo, 0x42b17218, v19
	v_cndmask_b32_e32 v19, 0x7f800000, v37, vcc_lo
	v_cmp_nlt_f32_e32 vcc_lo, 0x42b17218, v20
	v_cndmask_b32_e32 v20, 0x7f800000, v38, vcc_lo
	v_cmp_nlt_f32_e32 vcc_lo, 0x42b17218, v21
	v_cndmask_b32_e32 v21, 0x7f800000, v41, vcc_lo
	v_cmp_nlt_f32_e32 vcc_lo, 0x42b17218, v22
	v_cndmask_b32_e32 v22, 0x7f800000, v42, vcc_lo
	v_cmp_nlt_f32_e32 vcc_lo, 0x42b17218, v23
	v_cndmask_b32_e32 v23, 0x7f800000, v43, vcc_lo
	v_cmp_nlt_f32_e32 vcc_lo, 0x42b17218, v24
	v_cndmask_b32_e32 v24, 0x7f800000, v44, vcc_lo
	v_cmp_nlt_f32_e32 vcc_lo, 0x42b17218, v25
	v_cndmask_b32_e32 v25, 0x7f800000, v45, vcc_lo
	v_cmp_nlt_f32_e32 vcc_lo, 0x42b17218, v26
	v_cndmask_b32_e32 v26, 0x7f800000, v46, vcc_lo
	v_cmp_nlt_f32_e32 vcc_lo, 0x42b17218, v27
	v_cndmask_b32_e32 v27, 0x7f800000, v47, vcc_lo
	v_cmp_nlt_f32_e32 vcc_lo, 0x42b17218, v28
	v_cndmask_b32_e32 v28, 0x7f800000, v48, vcc_lo
	v_cmp_lt_i32_e32 vcc_lo, 0, v15
	v_cndmask_b32_e32 v17, 0, v17, vcc_lo
	v_cmp_lt_i32_e32 vcc_lo, 32, v15
	;; [unrolled: 2-line block ×3, first 2 shown]
	s_waitcnt vmcnt(13)
	s_delay_alu instid0(VALU_DEP_2) | instskip(SKIP_4) | instid1(VALU_DEP_2)
	v_dual_mul_f32 v18, v31, v18 :: v_dual_cndmask_b32 v19, 0, v19
	v_cmp_lt_i32_e32 vcc_lo, 0x60, v15
	v_cndmask_b32_e32 v20, 0, v20, vcc_lo
	v_cmp_lt_i32_e32 vcc_lo, 0x80, v15
	s_waitcnt vmcnt(11)
	v_dual_mul_f32 v20, v33, v20 :: v_dual_cndmask_b32 v21, 0, v21
	v_cmp_lt_i32_e32 vcc_lo, 0xa0, v15
	v_cndmask_b32_e32 v22, 0, v22, vcc_lo
	v_cmp_lt_i32_e32 vcc_lo, 0xc0, v15
	s_waitcnt vmcnt(9)
	s_delay_alu instid0(VALU_DEP_2) | instskip(SKIP_4) | instid1(VALU_DEP_2)
	v_dual_mul_f32 v22, v40, v22 :: v_dual_cndmask_b32 v23, 0, v23
	v_cmp_lt_i32_e32 vcc_lo, 0xe0, v15
	v_cndmask_b32_e32 v24, 0, v24, vcc_lo
	v_cmp_lt_i32_e32 vcc_lo, 0x100, v15
	s_waitcnt vmcnt(7)
	v_mul_f32_e32 v5, v5, v24
	v_cndmask_b32_e32 v25, 0, v25, vcc_lo
	v_cmp_lt_i32_e32 vcc_lo, 0x120, v15
	s_waitcnt vmcnt(6)
	s_delay_alu instid0(VALU_DEP_2) | instskip(SKIP_3) | instid1(VALU_DEP_2)
	v_mul_f32_e32 v4, v4, v25
	v_cndmask_b32_e32 v26, 0, v26, vcc_lo
	v_cmp_lt_i32_e32 vcc_lo, 0x140, v15
	s_waitcnt vmcnt(5)
	v_dual_sub_f32 v25, v49, v76 :: v_dual_mul_f32 v6, v6, v26
	v_cndmask_b32_e32 v27, 0, v27, vcc_lo
	v_cmp_lt_i32_e32 vcc_lo, 0x160, v15
	s_waitcnt vmcnt(4)
	s_delay_alu instid0(VALU_DEP_2)
	v_dual_mul_f32 v26, 0x3fb8aa3b, v34 :: v_dual_mul_f32 v7, v7, v27
	v_cndmask_b32_e32 v24, 0, v28, vcc_lo
	v_dual_mul_f32 v28, 0x3fb8aa3b, v3 :: v_dual_mul_f32 v17, v30, v17
	v_cvt_i32_f32_e32 v30, v76
	v_cmp_ngt_f32_e32 vcc_lo, 0xc2ce8ed0, v29
	s_waitcnt vmcnt(3)
	v_mul_f32_e32 v8, v8, v24
	v_add_f32_e32 v24, v25, v75
	v_fma_f32 v16, 0x3fb8aa3b, v34, -v26
	v_fma_f32 v31, 0x3fb8aa3b, v3, -v28
	s_delay_alu instid0(VALU_DEP_3) | instskip(NEXT) | instid1(VALU_DEP_1)
	v_exp_f32_e32 v24, v24
	v_dual_fmac_f32 v16, 0x32a5705f, v34 :: v_dual_fmac_f32 v31, 0x32a5705f, v3
	s_waitcnt_depctr 0xfff
	v_ldexp_f32 v24, v24, v30
	s_delay_alu instid0(VALU_DEP_1) | instskip(SKIP_3) | instid1(VALU_DEP_4)
	v_cndmask_b32_e32 v24, 0, v24, vcc_lo
	v_cmp_nlt_f32_e32 vcc_lo, 0x42b17218, v29
	v_mul_f32_e32 v19, v32, v19
	v_rndne_f32_e32 v32, v28
	v_dual_cndmask_b32 v24, 0x7f800000, v24 :: v_dual_add_f32 v27, v17, v18
	v_cmp_lt_i32_e32 vcc_lo, 0x180, v15
	s_delay_alu instid0(VALU_DEP_2) | instskip(SKIP_1) | instid1(VALU_DEP_4)
	v_add_f32_e32 v25, v27, v19
	v_rndne_f32_e32 v27, v26
	v_dual_cndmask_b32 v24, 0, v24 :: v_dual_mul_f32 v21, v39, v21
	v_cmp_ngt_f32_e32 vcc_lo, 0xc2ce8ed0, v34
	s_delay_alu instid0(VALU_DEP_3) | instskip(SKIP_3) | instid1(VALU_DEP_3)
	v_dual_add_f32 v25, v25, v20 :: v_dual_sub_f32 v26, v26, v27
	v_cvt_i32_f32_e32 v27, v27
	s_waitcnt vmcnt(2)
	v_mul_f32_e32 v9, v9, v24
	v_dual_add_f32 v25, v25, v21 :: v_dual_add_f32 v16, v26, v16
	s_delay_alu instid0(VALU_DEP_1) | instskip(NEXT) | instid1(VALU_DEP_2)
	v_dual_sub_f32 v26, v28, v32 :: v_dual_add_f32 v25, v25, v22
	v_exp_f32_e32 v16, v16
	s_delay_alu instid0(VALU_DEP_1) | instskip(NEXT) | instid1(VALU_DEP_1)
	v_add_f32_e32 v26, v26, v31
	v_exp_f32_e32 v26, v26
	s_waitcnt_depctr 0xfff
	v_ldexp_f32 v16, v16, v27
	v_cvt_i32_f32_e32 v27, v32
	s_delay_alu instid0(VALU_DEP_2) | instskip(SKIP_1) | instid1(VALU_DEP_3)
	v_dual_cndmask_b32 v16, 0, v16 :: v_dual_mul_f32 v23, v53, v23
	v_cmp_nlt_f32_e32 vcc_lo, 0x42b17218, v34
	v_ldexp_f32 v24, v26, v27
	s_delay_alu instid0(VALU_DEP_3) | instskip(SKIP_1) | instid1(VALU_DEP_2)
	v_dual_add_f32 v25, v25, v23 :: v_dual_cndmask_b32 v16, 0x7f800000, v16
	v_cmp_ngt_f32_e32 vcc_lo, 0xc2ce8ed0, v3
	v_dual_add_f32 v25, v25, v5 :: v_dual_cndmask_b32 v24, 0, v24
	v_cmp_lt_i32_e32 vcc_lo, 0x1a0, v15
	s_delay_alu instid0(VALU_DEP_2) | instskip(SKIP_2) | instid1(VALU_DEP_3)
	v_add_f32_e32 v25, v25, v4
	v_cndmask_b32_e32 v16, 0, v16, vcc_lo
	v_cmp_nlt_f32_e32 vcc_lo, 0x42b17218, v3
	v_add_f32_e32 v25, v25, v6
	s_waitcnt vmcnt(1)
	s_delay_alu instid0(VALU_DEP_3) | instskip(SKIP_1) | instid1(VALU_DEP_3)
	v_mul_f32_e32 v13, v13, v16
	v_cndmask_b32_e32 v3, 0x7f800000, v24, vcc_lo
	v_add_f32_e32 v25, v25, v7
	v_cmp_lt_i32_e32 vcc_lo, 0x1c0, v15
	s_delay_alu instid0(VALU_DEP_2) | instskip(NEXT) | instid1(VALU_DEP_1)
	v_dual_add_f32 v24, v25, v8 :: v_dual_cndmask_b32 v3, 0, v3
	v_add_f32_e32 v15, v24, v9
	s_waitcnt vmcnt(0)
	s_delay_alu instid0(VALU_DEP_1) | instskip(NEXT) | instid1(VALU_DEP_1)
	v_dual_mul_f32 v3, v14, v3 :: v_dual_add_f32 v14, v15, v13
	v_add_f32_e32 v14, v14, v3
	ds_bpermute_b32 v2, v2, v14
	s_waitcnt lgkmcnt(0)
	v_add_f32_e32 v2, v14, v2
	ds_bpermute_b32 v1, v1, v2
	s_waitcnt lgkmcnt(0)
	v_add_f32_e32 v1, v2, v1
	ds_bpermute_b32 v2, v10, v1
	v_lshlrev_b32_e32 v10, 2, v0
	ds_store_2addr_b32 v10, v17, v18 offset1:32
	s_waitcnt lgkmcnt(1)
	v_add_f32_e32 v1, v1, v2
	ds_bpermute_b32 v2, v11, v1
	v_add_nc_u32_e32 v11, 0x400, v10
	ds_store_2addr_b32 v10, v19, v20 offset0:64 offset1:96
	ds_store_2addr_b32 v10, v21, v22 offset0:128 offset1:160
	;; [unrolled: 1-line block ×3, first 2 shown]
	ds_store_2addr_b32 v11, v4, v6 offset1:32
	ds_store_2addr_b32 v11, v7, v8 offset0:64 offset1:96
	ds_store_2addr_b32 v11, v9, v13 offset0:128 offset1:160
	ds_store_b32 v10, v3 offset:1792
	s_waitcnt lgkmcnt(7)
	v_add_f32_e32 v1, v1, v2
	ds_bpermute_b32 v2, v12, v1
	v_cmpx_eq_u32_e32 0, v0
	s_cbranch_execz .LBB420_8
; %bb.7:
	s_waitcnt lgkmcnt(0)
	v_dual_add_f32 v1, v1, v2 :: v_dual_mov_b32 v2, 0
	ds_store_b32 v2, v1 offset:1920
.LBB420_8:
	s_or_b32 exec_lo, exec_lo, s7
	v_mov_b32_e32 v1, s6
.LBB420_9:
	s_or_b32 exec_lo, exec_lo, s24
	s_lshl_b32 s6, s18, 6
	s_mov_b32 s7, 0
	s_waitcnt lgkmcnt(0)
	v_dual_mov_b32 v2, 0 :: v_dual_lshlrev_b32 v1, 6, v1
	s_lshl_b64 s[6:7], s[6:7], 1
	v_dual_mov_b32 v31, 0 :: v_dual_mov_b32 v32, 0
	s_add_u32 s34, s4, s6
	s_addc_u32 s35, s5, s7
	s_lshl_b32 s41, s40, 6
	v_lshlrev_b64 v[3:4], 1, v[1:2]
	s_sub_i32 s42, s41, 64
	s_cmpk_lt_i32 s22, 0x100
	v_lshlrev_b32_e32 v1, 1, v0
	s_cselect_b32 s4, s42, 0
	v_dual_mov_b32 v33, 0 :: v_dual_mov_b32 v34, 0
	s_ashr_i32 s5, s4, 31
	v_add_co_u32 v3, vcc_lo, s34, v3
	s_lshl_b64 s[4:5], s[4:5], 1
	s_cmpk_lt_i32 s22, 0x200
	v_add_co_ci_u32_e32 v4, vcc_lo, s35, v4, vcc_lo
	s_cselect_b32 s6, s42, 64
	v_add_co_u32 v1, vcc_lo, v3, v1
	s_ashr_i32 s7, s6, 31
	s_delay_alu instid0(VALU_DEP_2)
	v_add_co_ci_u32_e32 v3, vcc_lo, 0, v4, vcc_lo
	s_lshl_b64 s[6:7], s[6:7], 1
	s_cmpk_lt_i32 s22, 0x300
	v_add_co_u32 v4, vcc_lo, v1, s4
	s_cselect_b32 s8, s42, 0x80
	v_add_co_ci_u32_e32 v5, vcc_lo, s5, v3, vcc_lo
	s_ashr_i32 s9, s8, 31
	v_add_co_u32 v6, vcc_lo, v1, s6
	s_lshl_b64 s[8:9], s[8:9], 1
	s_cmpk_lt_i32 s22, 0x400
	v_add_co_ci_u32_e32 v7, vcc_lo, s7, v3, vcc_lo
	s_cselect_b32 s10, s42, 0xc0
	v_add_co_u32 v8, vcc_lo, v1, s8
	s_ashr_i32 s11, s10, 31
	v_add_co_ci_u32_e32 v9, vcc_lo, s9, v3, vcc_lo
	s_lshl_b64 s[10:11], s[10:11], 1
	s_cmpk_lt_i32 s22, 0x500
	v_add_co_u32 v11, vcc_lo, v1, s10
	s_cselect_b32 s18, s42, 0x100
	v_add_co_ci_u32_e32 v12, vcc_lo, s11, v3, vcc_lo
	s_ashr_i32 s19, s18, 31
	v_mov_b32_e32 v35, 0
	s_lshl_b64 s[18:19], s[18:19], 1
	s_cmpk_lt_i32 s22, 0x600
	v_add_co_u32 v14, vcc_lo, v1, s18
	s_cselect_b32 s20, s42, 0x140
	v_add_co_ci_u32_e32 v15, vcc_lo, s19, v3, vcc_lo
	s_ashr_i32 s21, s20, 31
	v_mov_b32_e32 v30, 0
	s_lshl_b64 s[20:21], s[20:21], 1
	s_cmpk_lt_i32 s22, 0x700
	v_add_co_u32 v16, vcc_lo, v1, s20
	s_cselect_b32 s24, s42, 0x180
	v_add_co_ci_u32_e32 v17, vcc_lo, s21, v3, vcc_lo
	s_ashr_i32 s25, s24, 31
	s_delay_alu instid0(SALU_CYCLE_1)
	s_lshl_b64 s[24:25], s[24:25], 1
	s_cmpk_lt_i32 s22, 0x800
	v_add_co_u32 v18, vcc_lo, v1, s24
	s_cselect_b32 s26, s42, 0x1c0
	v_add_co_ci_u32_e32 v19, vcc_lo, s25, v3, vcc_lo
	s_ashr_i32 s27, s26, 31
	s_delay_alu instid0(SALU_CYCLE_1)
	s_lshl_b64 s[26:27], s[26:27], 1
	s_cmpk_lt_i32 s22, 0x900
	v_add_co_u32 v20, vcc_lo, v1, s26
	s_cselect_b32 s28, s42, 0x200
	v_add_co_ci_u32_e32 v21, vcc_lo, s27, v3, vcc_lo
	s_ashr_i32 s29, s28, 31
	s_clause 0x7
	global_load_u16 v13, v[4:5], off
	global_load_u16 v4, v[6:7], off
	;; [unrolled: 1-line block ×8, first 2 shown]
	s_lshl_b64 s[28:29], s[28:29], 1
	s_cmpk_lt_i32 s22, 0xa00
	v_add_co_u32 v11, vcc_lo, v1, s28
	s_cselect_b32 s30, s42, 0x240
	v_add_co_ci_u32_e32 v12, vcc_lo, s29, v3, vcc_lo
	s_ashr_i32 s31, s30, 31
	s_delay_alu instid0(SALU_CYCLE_1)
	s_lshl_b64 s[30:31], s[30:31], 1
	s_cmpk_lt_i32 s22, 0xb00
	v_add_co_u32 v14, vcc_lo, v1, s30
	s_cselect_b32 s34, s42, 0x280
	v_add_co_ci_u32_e32 v15, vcc_lo, s31, v3, vcc_lo
	s_ashr_i32 s35, s34, 31
	s_delay_alu instid0(SALU_CYCLE_1)
	;; [unrolled: 7-line block ×7, first 2 shown]
	s_lshl_b64 s[4:5], s[6:7], 1
	s_cmpk_gt_i32 s23, 0x1000
	v_add_co_u32 v28, vcc_lo, v1, s4
	v_add_co_ci_u32_e32 v29, vcc_lo, s5, v3, vcc_lo
	s_clause 0x7
	global_load_u16 v19, v[11:12], off
	global_load_u16 v18, v[14:15], off
	;; [unrolled: 1-line block ×8, first 2 shown]
	v_dual_mov_b32 v20, 0 :: v_dual_mov_b32 v21, 0
	v_dual_mov_b32 v22, 0 :: v_dual_mov_b32 v23, 0
	;; [unrolled: 1-line block ×5, first 2 shown]
	s_cselect_b32 s6, -1, 0
	s_cmpk_lt_i32 s23, 0x1001
	s_waitcnt vmcnt(0)
	s_barrier
	buffer_gl0_inv
	s_cbranch_scc1 .LBB420_11
; %bb.10:
	s_cmpk_lt_i32 s22, 0x1100
	s_cselect_b32 s4, s42, 0x400
	s_delay_alu instid0(SALU_CYCLE_1) | instskip(NEXT) | instid1(SALU_CYCLE_1)
	s_ashr_i32 s5, s4, 31
	s_lshl_b64 s[4:5], s[4:5], 1
	s_cmpk_lt_i32 s22, 0x1200
	v_add_co_u32 v20, vcc_lo, v1, s4
	s_cselect_b32 s8, s42, 0x440
	v_add_co_ci_u32_e32 v21, vcc_lo, s5, v3, vcc_lo
	s_ashr_i32 s9, s8, 31
	s_delay_alu instid0(SALU_CYCLE_1)
	s_lshl_b64 s[8:9], s[8:9], 1
	s_cmpk_lt_i32 s22, 0x1300
	v_add_co_u32 v22, vcc_lo, v1, s8
	s_cselect_b32 s10, s42, 0x480
	v_add_co_ci_u32_e32 v23, vcc_lo, s9, v3, vcc_lo
	s_ashr_i32 s11, s10, 31
	s_delay_alu instid0(SALU_CYCLE_1)
	;; [unrolled: 7-line block ×14, first 2 shown]
	s_lshl_b64 s[4:5], s[18:19], 1
	s_cmpk_lt_i32 s22, 0x2000
	v_add_co_u32 v48, vcc_lo, v1, s4
	s_cselect_b32 s8, s42, 0x7c0
	v_add_co_ci_u32_e32 v49, vcc_lo, s5, v3, vcc_lo
	s_ashr_i32 s9, s8, 31
	s_delay_alu instid0(SALU_CYCLE_1) | instskip(NEXT) | instid1(SALU_CYCLE_1)
	s_lshl_b64 s[4:5], s[8:9], 1
	v_add_co_u32 v50, vcc_lo, v1, s4
	v_add_co_ci_u32_e32 v51, vcc_lo, s5, v3, vcc_lo
	s_clause 0xf
	global_load_u16 v20, v[20:21], off
	global_load_u16 v21, v[22:23], off
	;; [unrolled: 1-line block ×16, first 2 shown]
	s_waitcnt vmcnt(15)
	v_lshlrev_b32_e32 v35, 16, v20
	s_waitcnt vmcnt(14)
	v_lshlrev_b32_e32 v34, 16, v21
	;; [unrolled: 2-line block ×16, first 2 shown]
.LBB420_11:
	ds_load_b128 v[36:39], v2
	ds_load_b128 v[40:43], v2 offset:16
	v_lshlrev_b32_e32 v44, 16, v4
	v_lshlrev_b32_e32 v13, 16, v13
	v_lshlrev_b32_e32 v10, 16, v10
	v_lshlrev_b32_e32 v8, 16, v8
	v_lshlrev_b32_e32 v6, 16, v6
	s_load_b64 s[0:1], s[0:1], 0x0
	s_and_b32 vcc_lo, exec_lo, s6
	v_lshlrev_b32_e32 v5, 16, v5
	s_waitcnt lgkmcnt(0)
	v_fma_f32 v4, v36, v13, 0
	s_delay_alu instid0(VALU_DEP_1) | instskip(NEXT) | instid1(VALU_DEP_1)
	v_dual_fmac_f32 v4, v37, v44 :: v_dual_lshlrev_b32 v13, 16, v7
	v_dual_fmac_f32 v4, v38, v10 :: v_dual_lshlrev_b32 v9, 16, v9
	s_delay_alu instid0(VALU_DEP_1) | instskip(SKIP_4) | instid1(VALU_DEP_1)
	v_fmac_f32_e32 v4, v39, v9
	ds_load_b128 v[36:39], v2 offset:48
	v_fmac_f32_e32 v4, v40, v8
	ds_load_b128 v[7:10], v2 offset:32
	v_fmac_f32_e32 v4, v41, v13
	v_fmac_f32_e32 v4, v42, v6
	v_lshlrev_b32_e32 v6, 16, v19
	s_delay_alu instid0(VALU_DEP_2) | instskip(SKIP_1) | instid1(VALU_DEP_1)
	v_dual_fmac_f32 v4, v43, v5 :: v_dual_lshlrev_b32 v5, 16, v18
	s_waitcnt lgkmcnt(0)
	v_fmac_f32_e32 v4, v7, v6
	v_lshlrev_b32_e32 v6, 16, v17
	s_delay_alu instid0(VALU_DEP_2) | instskip(NEXT) | instid1(VALU_DEP_1)
	v_dual_fmac_f32 v4, v8, v5 :: v_dual_lshlrev_b32 v5, 16, v16
	v_fmac_f32_e32 v4, v9, v6
	v_lshlrev_b32_e32 v6, 16, v15
	s_delay_alu instid0(VALU_DEP_2) | instskip(NEXT) | instid1(VALU_DEP_1)
	v_dual_fmac_f32 v4, v10, v5 :: v_dual_lshlrev_b32 v5, 16, v14
	;; [unrolled: 4-line block ×3, first 2 shown]
	v_fmac_f32_e32 v4, v38, v6
	s_delay_alu instid0(VALU_DEP_1)
	v_fmac_f32_e32 v4, v39, v5
	s_cbranch_vccz .LBB420_13
; %bb.12:
	ds_load_b128 v[5:8], v2 offset:64
	ds_load_b128 v[9:12], v2 offset:80
	s_waitcnt lgkmcnt(1)
	v_fmac_f32_e32 v4, v5, v35
	s_delay_alu instid0(VALU_DEP_1) | instskip(NEXT) | instid1(VALU_DEP_1)
	v_fmac_f32_e32 v4, v6, v34
	v_fmac_f32_e32 v4, v7, v33
	s_delay_alu instid0(VALU_DEP_1) | instskip(SKIP_3) | instid1(VALU_DEP_1)
	v_fmac_f32_e32 v4, v8, v32
	ds_load_b128 v[5:8], v2 offset:96
	s_waitcnt lgkmcnt(1)
	v_fmac_f32_e32 v4, v9, v31
	v_fmac_f32_e32 v4, v10, v30
	s_delay_alu instid0(VALU_DEP_1) | instskip(NEXT) | instid1(VALU_DEP_1)
	v_fmac_f32_e32 v4, v11, v29
	v_fmac_f32_e32 v4, v12, v28
	ds_load_b128 v[9:12], v2 offset:112
	s_waitcnt lgkmcnt(1)
	v_fmac_f32_e32 v4, v5, v27
	s_delay_alu instid0(VALU_DEP_1) | instskip(NEXT) | instid1(VALU_DEP_1)
	v_fmac_f32_e32 v4, v6, v26
	v_fmac_f32_e32 v4, v7, v25
	s_delay_alu instid0(VALU_DEP_1) | instskip(SKIP_1) | instid1(VALU_DEP_1)
	v_fmac_f32_e32 v4, v8, v24
	s_waitcnt lgkmcnt(0)
	v_fmac_f32_e32 v4, v9, v23
	s_delay_alu instid0(VALU_DEP_1) | instskip(NEXT) | instid1(VALU_DEP_1)
	v_fmac_f32_e32 v4, v10, v22
	v_fmac_f32_e32 v4, v11, v21
	s_delay_alu instid0(VALU_DEP_1)
	v_fmac_f32_e32 v4, v12, v20
.LBB420_13:
	s_movk_i32 s43, 0xfc0
	s_movk_i32 s44, 0x80
	s_mov_b32 s45, 32
	s_branch .LBB420_15
.LBB420_14:                             ;   in Loop: Header=BB420_15 Depth=1
	s_addk_i32 s43, 0x800
	s_addk_i32 s44, 0x80
	s_add_i32 s45, s45, 32
	s_cmpk_eq_i32 s43, 0x7fc0
	s_cbranch_scc1 .LBB420_17
.LBB420_15:                             ; =>This Inner Loop Header: Depth=1
	s_cmp_le_i32 s40, s45
	s_cbranch_scc1 .LBB420_14
; %bb.16:                               ;   in Loop: Header=BB420_15 Depth=1
	s_add_i32 s4, s43, 0xfffff840
	v_mov_b32_e32 v44, s44
	s_cmp_lt_i32 s4, s41
	s_cselect_b32 s4, s4, s42
	s_add_i32 s6, s43, 0xfffff880
	s_ashr_i32 s5, s4, 31
	s_delay_alu instid0(SALU_CYCLE_1)
	s_lshl_b64 s[38:39], s[4:5], 1
	s_cmp_lt_i32 s6, s41
	v_add_co_u32 v5, vcc_lo, v1, s38
	s_cselect_b32 s4, s6, s42
	s_add_i32 s6, s43, 0xfffff8c0
	s_ashr_i32 s5, s4, 31
	v_add_co_ci_u32_e32 v6, vcc_lo, s39, v3, vcc_lo
	s_lshl_b64 s[4:5], s[4:5], 1
	s_cmp_lt_i32 s6, s41
	s_cselect_b32 s6, s6, s42
	s_add_i32 s8, s43, 0xfffff900
	s_ashr_i32 s7, s6, 31
	global_load_u16 v2, v[5:6], off
	s_lshl_b64 s[6:7], s[6:7], 1
	s_cmp_lt_i32 s8, s41
	v_add_co_u32 v5, vcc_lo, v1, s4
	s_cselect_b32 s8, s8, s42
	s_add_i32 s10, s43, 0xfffff940
	s_ashr_i32 s9, s8, 31
	v_add_co_ci_u32_e32 v6, vcc_lo, s5, v3, vcc_lo
	s_lshl_b64 s[8:9], s[8:9], 1
	s_cmp_lt_i32 s10, s41
	v_add_co_u32 v7, vcc_lo, v1, s6
	s_cselect_b32 s10, s10, s42
	s_add_i32 s18, s43, 0xfffff980
	s_ashr_i32 s11, s10, 31
	v_add_co_ci_u32_e32 v8, vcc_lo, s7, v3, vcc_lo
	s_lshl_b64 s[10:11], s[10:11], 1
	s_cmp_lt_i32 s18, s41
	v_add_co_u32 v9, vcc_lo, v1, s8
	s_cselect_b32 s18, s18, s42
	s_add_i32 s20, s43, 0xfffff9c0
	s_ashr_i32 s19, s18, 31
	s_clause 0x1
	global_load_u16 v23, v[5:6], off
	global_load_u16 v24, v[7:8], off
	s_lshl_b64 s[18:19], s[18:19], 1
	s_cmp_lt_i32 s20, s41
	v_add_co_ci_u32_e32 v10, vcc_lo, s9, v3, vcc_lo
	s_cselect_b32 s20, s20, s42
	s_add_i32 s22, s43, 0xfffffa00
	s_ashr_i32 s21, s20, 31
	global_load_u16 v25, v[9:10], off
	s_lshl_b64 s[20:21], s[20:21], 1
	s_cmp_lt_i32 s22, s41
	v_add_co_u32 v11, vcc_lo, v1, s10
	s_cselect_b32 s22, s22, s42
	s_add_i32 s24, s43, 0xfffffa40
	s_ashr_i32 s23, s22, 31
	v_add_co_ci_u32_e32 v12, vcc_lo, s11, v3, vcc_lo
	s_lshl_b64 s[22:23], s[22:23], 1
	s_cmp_lt_i32 s24, s41
	v_add_co_u32 v13, vcc_lo, v1, s18
	global_load_u16 v26, v[11:12], off
	s_cselect_b32 s24, s24, s42
	s_add_i32 s26, s43, 0xfffffa80
	s_ashr_i32 s25, s24, 31
	v_add_co_ci_u32_e32 v14, vcc_lo, s19, v3, vcc_lo
	s_lshl_b64 s[24:25], s[24:25], 1
	s_cmp_lt_i32 s26, s41
	v_add_co_u32 v15, vcc_lo, v1, s20
	global_load_u16 v27, v[13:14], off
	s_cselect_b32 s26, s26, s42
	s_add_i32 s28, s43, 0xfffffac0
	s_ashr_i32 s27, s26, 31
	v_add_co_ci_u32_e32 v16, vcc_lo, s21, v3, vcc_lo
	s_lshl_b64 s[36:37], s[26:27], 1
	s_cmp_lt_i32 s28, s41
	v_add_co_u32 v17, vcc_lo, v1, s22
	s_cselect_b32 s26, s28, s42
	s_add_i32 s30, s43, 0xfffffb00
	s_ashr_i32 s27, s26, 31
	v_add_co_ci_u32_e32 v18, vcc_lo, s23, v3, vcc_lo
	s_lshl_b64 s[28:29], s[26:27], 1
	s_cmp_lt_i32 s30, s41
	v_add_co_u32 v19, vcc_lo, v1, s24
	global_load_u16 v17, v[17:18], off
	s_cselect_b32 s26, s30, s42
	s_add_i32 s30, s43, 0xfffffb40
	s_ashr_i32 s27, s26, 31
	v_add_co_ci_u32_e32 v20, vcc_lo, s25, v3, vcc_lo
	s_lshl_b64 s[26:27], s[26:27], 1
	s_cmp_lt_i32 s30, s41
	v_add_co_u32 v21, vcc_lo, v1, s36
	s_cselect_b32 s30, s30, s42
	s_add_i32 s46, s43, 0xfffffb80
	s_ashr_i32 s31, s30, 31
	v_add_co_ci_u32_e32 v22, vcc_lo, s37, v3, vcc_lo
	s_lshl_b64 s[34:35], s[30:31], 1
	s_cmp_lt_i32 s46, s41
	v_add_co_u32 v5, vcc_lo, v1, s28
	;; [unrolled: 7-line block ×3, first 2 shown]
	s_cselect_b32 s46, s46, s42
	s_add_i32 s48, s43, 0xfffffc00
	s_ashr_i32 s47, s46, 31
	global_load_u16 v28, v[15:16], off
	s_lshl_b64 s[38:39], s[46:47], 1
	s_cmp_lt_i32 s48, s41
	v_add_co_ci_u32_e32 v8, vcc_lo, s27, v3, vcc_lo
	s_cselect_b32 s46, s48, s42
	v_add_co_u32 v9, vcc_lo, v1, s34
	s_ashr_i32 s47, s46, 31
	s_add_i32 s4, s43, 0xfffffc40
	s_lshl_b64 s[46:47], s[46:47], 1
	v_add_co_ci_u32_e32 v10, vcc_lo, s35, v3, vcc_lo
	s_cmp_lt_i32 s4, s41
	v_add_co_u32 v11, vcc_lo, v1, s30
	s_cselect_b32 s4, s4, s42
	v_add_co_ci_u32_e32 v12, vcc_lo, s31, v3, vcc_lo
	v_add_co_u32 v13, vcc_lo, v1, s38
	s_ashr_i32 s5, s4, 31
	s_add_i32 s6, s43, 0xfffffc80
	v_add_co_ci_u32_e32 v14, vcc_lo, s39, v3, vcc_lo
	global_load_u16 v18, v[19:20], off
	s_lshl_b64 s[8:9], s[4:5], 1
	s_cmp_lt_i32 s6, s41
	global_load_u16 v30, v[13:14], off
	s_cselect_b32 s4, s6, s42
	global_load_u16 v19, v[21:22], off
	s_ashr_i32 s5, s4, 31
	s_add_i32 s6, s43, 0xfffffcc0
	s_lshl_b64 s[10:11], s[4:5], 1
	s_cmp_lt_i32 s6, s41
	s_clause 0x3
	global_load_u16 v20, v[5:6], off
	global_load_u16 v21, v[7:8], off
	global_load_u16 v22, v[9:10], off
	global_load_u16 v29, v[11:12], off
	s_cselect_b32 s4, s6, s42
	s_add_i32 s6, s43, 0xfffffd00
	s_ashr_i32 s5, s4, 31
	v_add_co_u32 v15, vcc_lo, v1, s46
	s_lshl_b64 s[4:5], s[4:5], 1
	s_cmp_lt_i32 s6, s41
	v_add_co_ci_u32_e32 v16, vcc_lo, s47, v3, vcc_lo
	s_cselect_b32 s6, s6, s42
	s_add_i32 s18, s43, 0xfffffd40
	s_ashr_i32 s7, s6, 31
	v_add_co_u32 v5, vcc_lo, v1, s8
	s_lshl_b64 s[6:7], s[6:7], 1
	s_cmp_lt_i32 s18, s41
	v_add_co_ci_u32_e32 v6, vcc_lo, s9, v3, vcc_lo
	s_cselect_b32 s18, s18, s42
	v_add_co_u32 v7, vcc_lo, v1, s10
	s_ashr_i32 s19, s18, 31
	s_add_i32 s20, s43, 0xfffffd80
	s_lshl_b64 s[18:19], s[18:19], 1
	v_add_co_ci_u32_e32 v8, vcc_lo, s11, v3, vcc_lo
	s_cmp_lt_i32 s20, s41
	v_add_co_u32 v9, vcc_lo, v1, s4
	s_cselect_b32 s20, s20, s42
	v_add_co_ci_u32_e32 v10, vcc_lo, s5, v3, vcc_lo
	v_add_co_u32 v11, vcc_lo, v1, s6
	s_ashr_i32 s21, s20, 31
	s_add_i32 s22, s43, 0xfffffdc0
	v_add_co_ci_u32_e32 v12, vcc_lo, s7, v3, vcc_lo
	global_load_u16 v15, v[15:16], off
	s_lshl_b64 s[20:21], s[20:21], 1
	s_cmp_lt_i32 s22, s41
	global_load_u16 v33, v[11:12], off
	s_cselect_b32 s22, s22, s42
	s_clause 0x2
	global_load_u16 v16, v[5:6], off
	global_load_u16 v31, v[7:8], off
	;; [unrolled: 1-line block ×3, first 2 shown]
	s_ashr_i32 s23, s22, 31
	s_add_i32 s24, s43, 0xfffffe00
	s_lshl_b64 s[22:23], s[22:23], 1
	s_cmp_lt_i32 s24, s41
	v_add_co_u32 v13, vcc_lo, v1, s18
	s_cselect_b32 s24, s24, s42
	s_add_i32 s26, s43, 0xfffffe40
	s_ashr_i32 s25, s24, 31
	v_add_co_ci_u32_e32 v14, vcc_lo, s19, v3, vcc_lo
	s_lshl_b64 s[24:25], s[24:25], 1
	s_cmp_lt_i32 s26, s41
	v_add_co_u32 v5, vcc_lo, v1, s20
	s_cselect_b32 s8, s26, s42
	v_add_co_ci_u32_e32 v6, vcc_lo, s21, v3, vcc_lo
	s_ashr_i32 s9, s8, 31
	v_add_co_u32 v7, vcc_lo, v1, s22
	s_add_i32 s10, s43, 0xfffffe80
	s_lshl_b64 s[8:9], s[8:9], 1
	v_add_co_ci_u32_e32 v8, vcc_lo, s23, v3, vcc_lo
	s_cmp_lt_i32 s10, s41
	v_add_co_u32 v9, vcc_lo, v1, s24
	s_cselect_b32 s4, s10, s42
	global_load_u16 v13, v[13:14], off
	v_add_co_ci_u32_e32 v10, vcc_lo, s25, v3, vcc_lo
	s_ashr_i32 s5, s4, 31
	s_add_i32 s6, s43, 0xfffffec0
	s_lshl_b64 s[4:5], s[4:5], 1
	global_load_u16 v35, v[9:10], off
	s_cmp_lt_i32 s6, s41
	s_clause 0x1
	global_load_u16 v14, v[5:6], off
	global_load_u16 v34, v[7:8], off
	s_cselect_b32 s6, s6, s42
	s_add_i32 s10, s43, 0xffffff00
	s_ashr_i32 s7, s6, 31
	v_add_co_u32 v5, vcc_lo, v1, s8
	s_lshl_b64 s[6:7], s[6:7], 1
	s_cmp_lt_i32 s10, s41
	v_add_co_ci_u32_e32 v6, vcc_lo, s9, v3, vcc_lo
	s_cselect_b32 s10, s10, s42
	v_add_co_u32 v7, vcc_lo, v1, s4
	s_ashr_i32 s11, s10, 31
	v_add_co_ci_u32_e32 v8, vcc_lo, s5, v3, vcc_lo
	s_add_i32 s18, s43, 0xffffff40
	s_lshl_b64 s[10:11], s[10:11], 1
	s_cmp_lt_i32 s18, s41
	s_clause 0x1
	global_load_u16 v36, v[5:6], off
	global_load_u16 v37, v[7:8], off
	s_cselect_b32 s18, s18, s42
	v_add_co_u32 v5, vcc_lo, v1, s6
	s_ashr_i32 s19, s18, 31
	v_add_co_ci_u32_e32 v6, vcc_lo, s7, v3, vcc_lo
	s_add_i32 s20, s43, 0xffffff80
	v_add_co_u32 v7, vcc_lo, v1, s10
	s_lshl_b64 s[8:9], s[18:19], 1
	s_cmp_lt_i32 s20, s41
	v_add_co_ci_u32_e32 v8, vcc_lo, s11, v3, vcc_lo
	s_cselect_b32 s4, s20, s42
	global_load_u16 v38, v[5:6], off
	s_ashr_i32 s5, s4, 31
	global_load_u16 v39, v[7:8], off
	s_sub_i32 s18, s43, 64
	v_add_co_u32 v5, vcc_lo, v1, s8
	s_lshl_b64 s[4:5], s[4:5], 1
	s_cmp_lt_i32 s18, s41
	v_add_co_ci_u32_e32 v6, vcc_lo, s9, v3, vcc_lo
	v_add_co_u32 v7, vcc_lo, v1, s4
	s_cselect_b32 s6, s18, s42
	v_add_co_ci_u32_e32 v8, vcc_lo, s5, v3, vcc_lo
	s_ashr_i32 s7, s6, 31
	global_load_u16 v40, v[5:6], off
	s_lshl_b64 s[6:7], s[6:7], 1
	global_load_u16 v41, v[7:8], off
	s_cmp_lt_i32 s43, s41
	v_add_co_u32 v5, vcc_lo, v1, s6
	s_cselect_b32 s4, s43, s42
	v_add_co_ci_u32_e32 v6, vcc_lo, s7, v3, vcc_lo
	s_ashr_i32 s5, s4, 31
	s_delay_alu instid0(SALU_CYCLE_1)
	s_lshl_b64 s[4:5], s[4:5], 1
	global_load_u16 v42, v[5:6], off
	v_add_co_u32 v5, vcc_lo, v1, s4
	v_add_co_ci_u32_e32 v6, vcc_lo, s5, v3, vcc_lo
	global_load_u16 v43, v[5:6], off
	ds_load_b128 v[5:8], v44
	ds_load_b128 v[9:12], v44 offset:16
	s_waitcnt vmcnt(31)
	v_lshlrev_b32_e32 v2, 16, v2
	s_waitcnt lgkmcnt(1)
	s_delay_alu instid0(VALU_DEP_1) | instskip(SKIP_2) | instid1(VALU_DEP_1)
	v_fmac_f32_e32 v4, v5, v2
	s_waitcnt vmcnt(30)
	v_lshlrev_b32_e32 v2, 16, v23
	v_fmac_f32_e32 v4, v6, v2
	s_waitcnt vmcnt(29)
	v_lshlrev_b32_e32 v2, 16, v24
	s_delay_alu instid0(VALU_DEP_1) | instskip(SKIP_2) | instid1(VALU_DEP_1)
	v_fmac_f32_e32 v4, v7, v2
	s_waitcnt vmcnt(28)
	v_lshlrev_b32_e32 v2, 16, v25
	v_fmac_f32_e32 v4, v8, v2
	ds_load_b128 v[5:8], v44 offset:32
	s_waitcnt vmcnt(27)
	v_lshlrev_b32_e32 v2, 16, v26
	s_waitcnt lgkmcnt(1)
	s_delay_alu instid0(VALU_DEP_1) | instskip(SKIP_2) | instid1(VALU_DEP_1)
	v_fmac_f32_e32 v4, v9, v2
	s_waitcnt vmcnt(26)
	v_lshlrev_b32_e32 v2, 16, v27
	v_fmac_f32_e32 v4, v10, v2
	s_waitcnt vmcnt(24)
	v_lshlrev_b32_e32 v2, 16, v28
	s_delay_alu instid0(VALU_DEP_1) | instskip(SKIP_1) | instid1(VALU_DEP_1)
	v_fmac_f32_e32 v4, v11, v2
	v_lshlrev_b32_e32 v2, 16, v17
	v_fmac_f32_e32 v4, v12, v2
	ds_load_b128 v[9:12], v44 offset:48
	s_waitcnt vmcnt(23)
	v_lshlrev_b32_e32 v2, 16, v18
	s_waitcnt lgkmcnt(1)
	s_delay_alu instid0(VALU_DEP_1) | instskip(SKIP_2) | instid1(VALU_DEP_1)
	v_fmac_f32_e32 v4, v5, v2
	s_waitcnt vmcnt(21)
	v_lshlrev_b32_e32 v2, 16, v19
	v_fmac_f32_e32 v4, v6, v2
	s_waitcnt vmcnt(20)
	v_lshlrev_b32_e32 v2, 16, v20
	s_delay_alu instid0(VALU_DEP_1) | instskip(SKIP_2) | instid1(VALU_DEP_1)
	v_fmac_f32_e32 v4, v7, v2
	s_waitcnt vmcnt(19)
	v_lshlrev_b32_e32 v2, 16, v21
	v_fmac_f32_e32 v4, v8, v2
	s_waitcnt vmcnt(18)
	v_lshlrev_b32_e32 v2, 16, v22
	ds_load_b128 v[5:8], v44 offset:64
	s_waitcnt lgkmcnt(1)
	v_fmac_f32_e32 v4, v9, v2
	s_waitcnt vmcnt(17)
	v_lshlrev_b32_e32 v2, 16, v29
	s_delay_alu instid0(VALU_DEP_1) | instskip(SKIP_1) | instid1(VALU_DEP_1)
	v_fmac_f32_e32 v4, v10, v2
	v_lshlrev_b32_e32 v2, 16, v30
	v_fmac_f32_e32 v4, v11, v2
	s_waitcnt vmcnt(16)
	v_lshlrev_b32_e32 v2, 16, v15
	s_delay_alu instid0(VALU_DEP_1) | instskip(SKIP_4) | instid1(VALU_DEP_1)
	v_fmac_f32_e32 v4, v12, v2
	ds_load_b128 v[9:12], v44 offset:80
	s_waitcnt vmcnt(14)
	v_lshlrev_b32_e32 v2, 16, v16
	s_waitcnt lgkmcnt(1)
	v_fmac_f32_e32 v4, v5, v2
	s_waitcnt vmcnt(13)
	v_lshlrev_b32_e32 v2, 16, v31
	s_delay_alu instid0(VALU_DEP_1) | instskip(SKIP_2) | instid1(VALU_DEP_1)
	v_fmac_f32_e32 v4, v6, v2
	s_waitcnt vmcnt(12)
	v_lshlrev_b32_e32 v2, 16, v32
	v_fmac_f32_e32 v4, v7, v2
	v_lshlrev_b32_e32 v2, 16, v33
	s_delay_alu instid0(VALU_DEP_1) | instskip(SKIP_4) | instid1(VALU_DEP_1)
	v_fmac_f32_e32 v4, v8, v2
	ds_load_b128 v[5:8], v44 offset:96
	s_waitcnt vmcnt(11)
	v_lshlrev_b32_e32 v2, 16, v13
	s_waitcnt lgkmcnt(1)
	v_fmac_f32_e32 v4, v9, v2
	s_waitcnt vmcnt(9)
	v_lshlrev_b32_e32 v2, 16, v14
	s_delay_alu instid0(VALU_DEP_1) | instskip(SKIP_2) | instid1(VALU_DEP_1)
	v_fmac_f32_e32 v4, v10, v2
	s_waitcnt vmcnt(8)
	v_lshlrev_b32_e32 v2, 16, v34
	v_fmac_f32_e32 v4, v11, v2
	;; [unrolled: 15-line block ×3, first 2 shown]
	s_waitcnt vmcnt(4)
	v_lshlrev_b32_e32 v2, 16, v39
	s_delay_alu instid0(VALU_DEP_1) | instskip(SKIP_3) | instid1(VALU_DEP_1)
	v_fmac_f32_e32 v4, v8, v2
	s_waitcnt vmcnt(3)
	v_lshlrev_b32_e32 v2, 16, v40
	s_waitcnt lgkmcnt(0)
	v_fmac_f32_e32 v4, v9, v2
	s_waitcnt vmcnt(2)
	v_lshlrev_b32_e32 v2, 16, v41
	s_delay_alu instid0(VALU_DEP_1) | instskip(SKIP_2) | instid1(VALU_DEP_1)
	v_fmac_f32_e32 v4, v10, v2
	s_waitcnt vmcnt(1)
	v_lshlrev_b32_e32 v2, 16, v42
	v_fmac_f32_e32 v4, v11, v2
	s_waitcnt vmcnt(0)
	v_lshlrev_b32_e32 v2, 16, v43
	s_delay_alu instid0(VALU_DEP_1)
	v_fmac_f32_e32 v4, v12, v2
	s_branch .LBB420_14
.LBB420_17:
	v_mov_b32_e32 v1, 0
	s_and_b32 vcc_lo, exec_lo, s15
	ds_load_b32 v1, v1 offset:1920
	s_cbranch_vccz .LBB420_19
; %bb.18:
	s_add_u32 s2, s12, s16
	s_addc_u32 s3, s13, s17
	s_load_b32 s2, s[2:3], 0x0
	s_mov_b32 s3, 0
.LBB420_19:
	s_waitcnt lgkmcnt(0)
	v_add_f32_e32 v1, 0x358637bd, v1
	s_delay_alu instid0(VALU_DEP_1) | instskip(NEXT) | instid1(VALU_DEP_1)
	v_div_scale_f32 v2, null, v1, v1, 1.0
	v_rcp_f32_e32 v3, v2
	s_waitcnt_depctr 0xfff
	v_fma_f32 v5, -v2, v3, 1.0
	s_delay_alu instid0(VALU_DEP_1) | instskip(SKIP_1) | instid1(VALU_DEP_1)
	v_fmac_f32_e32 v3, v5, v3
	v_div_scale_f32 v5, vcc_lo, 1.0, v1, 1.0
	v_mul_f32_e32 v6, v5, v3
	s_delay_alu instid0(VALU_DEP_1) | instskip(NEXT) | instid1(VALU_DEP_1)
	v_fma_f32 v7, -v2, v6, v5
	v_fmac_f32_e32 v6, v7, v3
	s_delay_alu instid0(VALU_DEP_1) | instskip(NEXT) | instid1(VALU_DEP_1)
	v_fma_f32 v2, -v2, v6, v5
	v_div_fmas_f32 v2, v2, v3, v6
	s_delay_alu instid0(VALU_DEP_1) | instskip(NEXT) | instid1(VALU_DEP_1)
	v_div_fixup_f32 v1, v2, v1, 1.0
	v_mul_f32_e32 v2, v4, v1
	s_delay_alu instid0(VALU_DEP_1) | instskip(NEXT) | instid1(VALU_DEP_1)
	v_and_b32_e32 v1, 0x7f800000, v2
	v_cmp_ne_u32_e32 vcc_lo, 0x7f800000, v1
                                        ; implicit-def: $vgpr1
	s_and_saveexec_b32 s4, vcc_lo
	s_delay_alu instid0(SALU_CYCLE_1)
	s_xor_b32 s4, exec_lo, s4
; %bb.20:
	v_bfe_u32 v1, v2, 16, 1
	s_delay_alu instid0(VALU_DEP_1)
	v_add3_u32 v1, v2, v1, 0x7fff
                                        ; implicit-def: $vgpr2
; %bb.21:
	s_and_not1_saveexec_b32 s4, s4
; %bb.22:
	v_and_b32_e32 v1, 0xffff, v2
	v_or_b32_e32 v3, 0x10000, v2
	s_delay_alu instid0(VALU_DEP_2) | instskip(NEXT) | instid1(VALU_DEP_2)
	v_cmp_eq_u32_e32 vcc_lo, 0, v1
	v_cndmask_b32_e32 v1, v3, v2, vcc_lo
; %bb.23:
	s_or_b32 exec_lo, exec_lo, s4
	s_mul_i32 s3, s33, s3
	s_mul_hi_u32 s4, s33, s2
	s_mul_i32 s2, s33, s2
	s_add_i32 s3, s4, s3
	s_mov_b32 s15, 0
	s_lshl_b64 s[2:3], s[2:3], 6
	v_and_b32_e32 v1, 0xffff0000, v1
	s_add_u32 s2, s0, s2
	s_addc_u32 s3, s1, s3
	s_lshl_b64 s[0:1], s[14:15], 6
	s_delay_alu instid0(SALU_CYCLE_1)
	s_add_u32 s0, s2, s0
	s_addc_u32 s1, s3, s1
	v_add_co_u32 v0, s0, s0, v0
	v_cvt_i32_f32_e32 v2, v1
	v_add_co_ci_u32_e64 v1, null, s1, 0, s0
	global_store_b8 v[0:1], v2, off
	s_nop 0
	s_sendmsg sendmsg(MSG_DEALLOC_VGPRS)
	s_endpgm
.LBB420_24:
	s_mov_b32 s4, 0
	s_branch .LBB420_2
	.section	.rodata,"a",@progbits
	.p2align	6, 0x0
	.amdhsa_kernel _Z35paged_attention_ll4mi_reduce_kernelI14__hip_bfloat16hLi64ELi64ELi256ELi15EEvPT0_PKfS4_PKT_PKiS9_iS4_
		.amdhsa_group_segment_fixed_size 1924
		.amdhsa_private_segment_fixed_size 0
		.amdhsa_kernarg_size 320
		.amdhsa_user_sgpr_count 14
		.amdhsa_user_sgpr_dispatch_ptr 0
		.amdhsa_user_sgpr_queue_ptr 0
		.amdhsa_user_sgpr_kernarg_segment_ptr 1
		.amdhsa_user_sgpr_dispatch_id 0
		.amdhsa_user_sgpr_private_segment_size 0
		.amdhsa_wavefront_size32 1
		.amdhsa_uses_dynamic_stack 0
		.amdhsa_enable_private_segment 0
		.amdhsa_system_sgpr_workgroup_id_x 1
		.amdhsa_system_sgpr_workgroup_id_y 1
		.amdhsa_system_sgpr_workgroup_id_z 0
		.amdhsa_system_sgpr_workgroup_info 0
		.amdhsa_system_vgpr_workitem_id 0
		.amdhsa_next_free_vgpr 77
		.amdhsa_next_free_sgpr 49
		.amdhsa_reserve_vcc 1
		.amdhsa_float_round_mode_32 0
		.amdhsa_float_round_mode_16_64 0
		.amdhsa_float_denorm_mode_32 3
		.amdhsa_float_denorm_mode_16_64 3
		.amdhsa_dx10_clamp 1
		.amdhsa_ieee_mode 1
		.amdhsa_fp16_overflow 0
		.amdhsa_workgroup_processor_mode 1
		.amdhsa_memory_ordered 1
		.amdhsa_forward_progress 0
		.amdhsa_shared_vgpr_count 0
		.amdhsa_exception_fp_ieee_invalid_op 0
		.amdhsa_exception_fp_denorm_src 0
		.amdhsa_exception_fp_ieee_div_zero 0
		.amdhsa_exception_fp_ieee_overflow 0
		.amdhsa_exception_fp_ieee_underflow 0
		.amdhsa_exception_fp_ieee_inexact 0
		.amdhsa_exception_int_div_zero 0
	.end_amdhsa_kernel
	.section	.text._Z35paged_attention_ll4mi_reduce_kernelI14__hip_bfloat16hLi64ELi64ELi256ELi15EEvPT0_PKfS4_PKT_PKiS9_iS4_,"axG",@progbits,_Z35paged_attention_ll4mi_reduce_kernelI14__hip_bfloat16hLi64ELi64ELi256ELi15EEvPT0_PKfS4_PKT_PKiS9_iS4_,comdat
.Lfunc_end420:
	.size	_Z35paged_attention_ll4mi_reduce_kernelI14__hip_bfloat16hLi64ELi64ELi256ELi15EEvPT0_PKfS4_PKT_PKiS9_iS4_, .Lfunc_end420-_Z35paged_attention_ll4mi_reduce_kernelI14__hip_bfloat16hLi64ELi64ELi256ELi15EEvPT0_PKfS4_PKT_PKiS9_iS4_
                                        ; -- End function
	.section	.AMDGPU.csdata,"",@progbits
; Kernel info:
; codeLenInByte = 8068
; NumSgprs: 51
; NumVgprs: 77
; ScratchSize: 0
; MemoryBound: 0
; FloatMode: 240
; IeeeMode: 1
; LDSByteSize: 1924 bytes/workgroup (compile time only)
; SGPRBlocks: 6
; VGPRBlocks: 9
; NumSGPRsForWavesPerEU: 51
; NumVGPRsForWavesPerEU: 77
; Occupancy: 16
; WaveLimiterHint : 0
; COMPUTE_PGM_RSRC2:SCRATCH_EN: 0
; COMPUTE_PGM_RSRC2:USER_SGPR: 14
; COMPUTE_PGM_RSRC2:TRAP_HANDLER: 0
; COMPUTE_PGM_RSRC2:TGID_X_EN: 1
; COMPUTE_PGM_RSRC2:TGID_Y_EN: 1
; COMPUTE_PGM_RSRC2:TGID_Z_EN: 0
; COMPUTE_PGM_RSRC2:TIDIG_COMP_CNT: 0
	.section	.text._Z35paged_attention_ll4mi_reduce_kernelI14__hip_bfloat16hLi64ELi64ELi256ELi16EEvPT0_PKfS4_PKT_PKiS9_iS4_,"axG",@progbits,_Z35paged_attention_ll4mi_reduce_kernelI14__hip_bfloat16hLi64ELi64ELi256ELi16EEvPT0_PKfS4_PKT_PKiS9_iS4_,comdat
	.protected	_Z35paged_attention_ll4mi_reduce_kernelI14__hip_bfloat16hLi64ELi64ELi256ELi16EEvPT0_PKfS4_PKT_PKiS9_iS4_ ; -- Begin function _Z35paged_attention_ll4mi_reduce_kernelI14__hip_bfloat16hLi64ELi64ELi256ELi16EEvPT0_PKfS4_PKT_PKiS9_iS4_
	.globl	_Z35paged_attention_ll4mi_reduce_kernelI14__hip_bfloat16hLi64ELi64ELi256ELi16EEvPT0_PKfS4_PKT_PKiS9_iS4_
	.p2align	8
	.type	_Z35paged_attention_ll4mi_reduce_kernelI14__hip_bfloat16hLi64ELi64ELi256ELi16EEvPT0_PKfS4_PKT_PKiS9_iS4_,@function
_Z35paged_attention_ll4mi_reduce_kernelI14__hip_bfloat16hLi64ELi64ELi256ELi16EEvPT0_PKfS4_PKT_PKiS9_iS4_: ; @_Z35paged_attention_ll4mi_reduce_kernelI14__hip_bfloat16hLi64ELi64ELi256ELi16EEvPT0_PKfS4_PKT_PKiS9_iS4_
; %bb.0:
	s_load_b64 s[12:13], s[0:1], 0x28
	s_mov_b32 s2, s15
	s_waitcnt lgkmcnt(0)
	s_cmp_lg_u64 s[12:13], 0
	s_cselect_b32 s15, -1, 0
	s_delay_alu instid0(SALU_CYCLE_1)
	s_and_b32 vcc_lo, exec_lo, s15
	s_cbranch_vccz .LBB421_24
; %bb.1:
	s_add_i32 s4, s2, 1
	s_mov_b32 s5, 0
	s_delay_alu instid0(SALU_CYCLE_1) | instskip(SKIP_4) | instid1(SALU_CYCLE_1)
	s_lshl_b64 s[6:7], s[4:5], 2
	s_mov_b32 s3, s5
	s_add_u32 s6, s12, s6
	s_addc_u32 s7, s13, s7
	s_lshl_b64 s[8:9], s[2:3], 2
	s_add_u32 s8, s12, s8
	s_addc_u32 s9, s13, s9
	s_clause 0x1
	s_load_b32 s4, s[6:7], 0x0
	s_load_b32 s6, s[8:9], 0x0
	s_waitcnt lgkmcnt(0)
	s_sub_i32 s4, s4, s6
	s_delay_alu instid0(SALU_CYCLE_1)
	s_cmp_eq_u32 s4, 1
	s_cselect_b32 s4, -1, 0
	s_cbranch_execnz .LBB421_3
.LBB421_2:
	s_mov_b32 s3, 0
	s_mov_b32 s4, -1
.LBB421_3:
	s_delay_alu instid0(SALU_CYCLE_1)
	s_and_not1_b32 vcc_lo, exec_lo, s4
	s_cbranch_vccz .LBB421_5
; %bb.4:
	s_endpgm
.LBB421_5:
	s_clause 0x1
	s_load_b128 s[4:7], s[0:1], 0x18
	s_load_b32 s9, s[0:1], 0x30
	s_lshl_b64 s[16:17], s[2:3], 2
	s_waitcnt lgkmcnt(0)
	s_add_u32 s6, s6, s16
	s_addc_u32 s7, s7, s17
	s_load_b32 s23, s[6:7], 0x0
	s_load_b32 s33, s[0:1], 0x40
	s_mul_i32 s7, s2, s9
	s_waitcnt lgkmcnt(0)
	s_add_i32 s22, s23, 0xff
	s_delay_alu instid0(SALU_CYCLE_1) | instskip(NEXT) | instid1(SALU_CYCLE_1)
	s_ashr_i32 s6, s22, 31
	s_lshr_b32 s6, s6, 24
	s_delay_alu instid0(SALU_CYCLE_1) | instskip(SKIP_4) | instid1(SALU_CYCLE_1)
	s_add_i32 s8, s22, s6
	s_mul_i32 s6, s14, s9
	s_mov_b32 s9, exec_lo
	v_cmpx_lt_u32_e32 31, v0
	s_xor_b32 s9, exec_lo, s9
	s_or_saveexec_b32 s24, s9
	v_mov_b32_e32 v1, s6
	s_ashr_i32 s40, s8, 8
	s_mul_i32 s18, s7, s33
	s_xor_b32 exec_lo, exec_lo, s24
	s_cbranch_execz .LBB421_9
; %bb.6:
	v_or_b32_e32 v2, 32, v0
	v_cmp_gt_i32_e32 vcc_lo, s40, v0
	s_add_i32 s20, s40, -1
	v_or_b32_e32 v4, 64, v0
	v_or_b32_e32 v6, 0x60, v0
	s_load_b128 s[8:11], s[0:1], 0x8
	v_cndmask_b32_e32 v1, s20, v0, vcc_lo
	v_cmp_gt_i32_e32 vcc_lo, s40, v2
	s_mov_b32 s19, 0
	s_delay_alu instid0(SALU_CYCLE_1)
	s_mov_b32 s7, s19
	v_cndmask_b32_e32 v3, s20, v2, vcc_lo
	v_cmp_gt_i32_e32 vcc_lo, s40, v4
	v_or_b32_e32 v2, 0x80, v0
	v_cndmask_b32_e32 v5, s20, v4, vcc_lo
	v_cmp_gt_i32_e32 vcc_lo, s40, v6
	v_or_b32_e32 v4, 0xa0, v0
	;; [unrolled: 3-line block ×3, first 2 shown]
	s_delay_alu instid0(VALU_DEP_3) | instskip(SKIP_3) | instid1(VALU_DEP_4)
	v_ashrrev_i32_e32 v8, 31, v7
	v_cndmask_b32_e32 v9, s20, v2, vcc_lo
	v_cmp_gt_i32_e32 vcc_lo, s40, v4
	v_or_b32_e32 v2, 0xe0, v0
	v_lshlrev_b64 v[7:8], 2, v[7:8]
	s_delay_alu instid0(VALU_DEP_4) | instskip(SKIP_3) | instid1(VALU_DEP_4)
	v_ashrrev_i32_e32 v10, 31, v9
	v_cndmask_b32_e32 v11, s20, v4, vcc_lo
	v_cmp_gt_i32_e32 vcc_lo, s40, v6
	v_or_b32_e32 v4, 0x100, v0
	v_lshlrev_b64 v[9:10], 2, v[9:10]
	s_delay_alu instid0(VALU_DEP_4) | instskip(SKIP_3) | instid1(VALU_DEP_4)
	;; [unrolled: 6-line block ×3, first 2 shown]
	v_ashrrev_i32_e32 v14, 31, v13
	v_cndmask_b32_e32 v15, s20, v2, vcc_lo
	v_or_b32_e32 v2, 0x120, v0
	v_cmp_gt_i32_e32 vcc_lo, s40, v4
	v_lshlrev_b64 v[13:14], 2, v[13:14]
	s_delay_alu instid0(VALU_DEP_4) | instskip(SKIP_3) | instid1(VALU_DEP_4)
	v_ashrrev_i32_e32 v16, 31, v15
	v_cndmask_b32_e32 v17, s20, v4, vcc_lo
	v_cmp_gt_i32_e32 vcc_lo, s40, v2
	v_or_b32_e32 v4, 0x160, v0
	v_lshlrev_b64 v[45:46], 2, v[15:16]
	s_delay_alu instid0(VALU_DEP_4) | instskip(SKIP_3) | instid1(VALU_DEP_4)
	v_ashrrev_i32_e32 v18, 31, v17
	v_cndmask_b32_e32 v19, s20, v2, vcc_lo
	v_cmp_gt_i32_e32 vcc_lo, s40, v6
	v_or_b32_e32 v2, 0x180, v0
	v_lshlrev_b64 v[17:18], 2, v[17:18]
	s_delay_alu instid0(VALU_DEP_4) | instskip(SKIP_3) | instid1(VALU_DEP_3)
	v_ashrrev_i32_e32 v20, 31, v19
	v_cndmask_b32_e32 v21, s20, v6, vcc_lo
	v_cmp_gt_i32_e32 vcc_lo, s40, v4
	v_or_b32_e32 v6, 0x1c0, v0
	v_ashrrev_i32_e32 v22, 31, v21
	v_cndmask_b32_e32 v23, s20, v4, vcc_lo
	v_or_b32_e32 v4, 0x1a0, v0
	v_cmp_gt_i32_e32 vcc_lo, s40, v2
	s_delay_alu instid0(VALU_DEP_3) | instskip(SKIP_1) | instid1(VALU_DEP_4)
	v_ashrrev_i32_e32 v24, 31, v23
	v_cndmask_b32_e32 v25, s20, v2, vcc_lo
	v_cmp_gt_i32_e32 vcc_lo, s40, v4
	v_or_b32_e32 v2, 0x1e0, v0
	s_delay_alu instid0(VALU_DEP_4) | instskip(NEXT) | instid1(VALU_DEP_4)
	v_lshlrev_b64 v[23:24], 2, v[23:24]
	v_ashrrev_i32_e32 v26, 31, v25
	v_cndmask_b32_e32 v27, s20, v4, vcc_lo
	v_cmp_gt_i32_e32 vcc_lo, s40, v6
	v_ashrrev_i32_e32 v4, 31, v3
	s_delay_alu instid0(VALU_DEP_4) | instskip(NEXT) | instid1(VALU_DEP_4)
	v_lshlrev_b64 v[25:26], 2, v[25:26]
	v_ashrrev_i32_e32 v28, 31, v27
	v_cndmask_b32_e32 v29, s20, v6, vcc_lo
	v_cmp_gt_i32_e32 vcc_lo, s40, v2
	v_ashrrev_i32_e32 v6, 31, v5
	v_lshlrev_b64 v[35:36], 2, v[3:4]
	v_lshlrev_b64 v[27:28], 2, v[27:28]
	v_ashrrev_i32_e32 v30, 31, v29
	v_cndmask_b32_e32 v31, s20, v2, vcc_lo
	v_ashrrev_i32_e32 v2, 31, v1
	s_lshl_b64 s[20:21], s[18:19], 2
	v_lshlrev_b64 v[5:6], 2, v[5:6]
	s_waitcnt lgkmcnt(0)
	s_add_u32 s19, s10, s20
	s_addc_u32 s25, s11, s21
	v_lshlrev_b64 v[33:34], 2, v[1:2]
	s_lshl_b64 s[10:11], s[6:7], 2
	v_ashrrev_i32_e32 v32, 31, v31
	s_add_u32 s7, s19, s10
	s_addc_u32 s19, s25, s11
	v_lshlrev_b64 v[29:30], 2, v[29:30]
	v_add_co_u32 v1, vcc_lo, s7, v33
	v_add_co_ci_u32_e32 v2, vcc_lo, s19, v34, vcc_lo
	v_add_co_u32 v3, vcc_lo, s7, v35
	v_add_co_ci_u32_e32 v4, vcc_lo, s19, v36, vcc_lo
	;; [unrolled: 2-line block ×8, first 2 shown]
	s_clause 0x7
	global_load_b32 v49, v[1:2], off
	global_load_b32 v50, v[3:4], off
	;; [unrolled: 1-line block ×8, first 2 shown]
	v_lshlrev_b64 v[37:38], 2, v[19:20]
	v_add_co_u32 v1, vcc_lo, s7, v17
	v_lshlrev_b64 v[39:40], 2, v[21:22]
	v_add_co_ci_u32_e32 v2, vcc_lo, s19, v18, vcc_lo
	s_delay_alu instid0(VALU_DEP_4) | instskip(SKIP_1) | instid1(VALU_DEP_4)
	v_add_co_u32 v3, vcc_lo, s7, v37
	v_add_co_ci_u32_e32 v4, vcc_lo, s19, v38, vcc_lo
	v_add_co_u32 v15, vcc_lo, s7, v39
	v_add_co_ci_u32_e32 v16, vcc_lo, s19, v40, vcc_lo
	;; [unrolled: 2-line block ×3, first 2 shown]
	s_clause 0x3
	global_load_b32 v47, v[1:2], off
	global_load_b32 v48, v[3:4], off
	;; [unrolled: 1-line block ×4, first 2 shown]
	v_add_co_u32 v1, vcc_lo, s7, v25
	v_add_co_ci_u32_e32 v2, vcc_lo, s19, v26, vcc_lo
	v_add_co_u32 v3, vcc_lo, s7, v27
	v_lshlrev_b64 v[31:32], 2, v[31:32]
	v_add_co_ci_u32_e32 v4, vcc_lo, s19, v28, vcc_lo
	v_add_co_u32 v15, vcc_lo, s7, v29
	v_add_co_ci_u32_e32 v16, vcc_lo, s19, v30, vcc_lo
	s_delay_alu instid0(VALU_DEP_4)
	v_add_co_u32 v19, vcc_lo, s7, v31
	v_add_co_ci_u32_e32 v20, vcc_lo, s19, v32, vcc_lo
	s_clause 0x3
	global_load_b32 v55, v[1:2], off
	global_load_b32 v56, v[3:4], off
	;; [unrolled: 1-line block ×4, first 2 shown]
	v_mbcnt_lo_u32_b32 v19, -1, 0
	s_add_u32 s7, s8, s20
	s_addc_u32 s8, s9, s21
	s_add_u32 s7, s7, s10
	s_addc_u32 s8, s8, s11
	v_xor_b32_e32 v4, 2, v19
	s_waitcnt vmcnt(14)
	v_dual_max_f32 v2, v49, v49 :: v_dual_max_f32 v1, v50, v50
	s_delay_alu instid0(VALU_DEP_1) | instskip(SKIP_1) | instid1(VALU_DEP_1)
	v_max_f32_e32 v1, v2, v1
	v_xor_b32_e32 v2, 16, v19
	v_cmp_gt_i32_e32 vcc_lo, 32, v2
	v_cndmask_b32_e32 v2, v19, v2, vcc_lo
	s_waitcnt vmcnt(12)
	v_max3_f32 v1, v1, v51, v52
	s_waitcnt vmcnt(10)
	s_delay_alu instid0(VALU_DEP_1) | instskip(SKIP_1) | instid1(VALU_DEP_1)
	v_max3_f32 v1, v1, v41, v42
	s_waitcnt vmcnt(8)
	v_max3_f32 v1, v1, v43, v44
	s_waitcnt vmcnt(6)
	s_delay_alu instid0(VALU_DEP_1) | instskip(SKIP_1) | instid1(VALU_DEP_1)
	v_max3_f32 v1, v1, v47, v48
	s_waitcnt vmcnt(4)
	v_max3_f32 v1, v1, v53, v54
	s_waitcnt vmcnt(2)
	s_delay_alu instid0(VALU_DEP_1) | instskip(SKIP_3) | instid1(VALU_DEP_3)
	v_max3_f32 v3, v1, v55, v56
	v_lshlrev_b32_e32 v1, 2, v2
	v_xor_b32_e32 v2, 8, v19
	s_waitcnt vmcnt(0)
	v_max3_f32 v15, v3, v57, v58
	v_xor_b32_e32 v3, 4, v19
	s_delay_alu instid0(VALU_DEP_3)
	v_cmp_gt_i32_e32 vcc_lo, 32, v2
	ds_bpermute_b32 v16, v1, v15
	v_cndmask_b32_e32 v2, v19, v2, vcc_lo
	v_cmp_gt_i32_e32 vcc_lo, 32, v3
	v_cndmask_b32_e32 v3, v19, v3, vcc_lo
	v_cmp_gt_i32_e32 vcc_lo, 32, v4
	s_delay_alu instid0(VALU_DEP_2) | instskip(SKIP_1) | instid1(VALU_DEP_2)
	v_dual_cndmask_b32 v20, v19, v4 :: v_dual_lshlrev_b32 v3, 2, v3
	v_lshlrev_b32_e32 v4, 2, v2
	v_lshlrev_b32_e32 v2, 2, v20
	s_waitcnt lgkmcnt(0)
	v_max_f32_e32 v16, v16, v16
	s_delay_alu instid0(VALU_DEP_1)
	v_max_f32_e32 v59, v15, v16
	v_add_co_u32 v15, vcc_lo, s7, v33
	v_add_co_ci_u32_e32 v16, vcc_lo, s8, v34, vcc_lo
	ds_bpermute_b32 v33, v4, v59
	v_add_co_u32 v21, vcc_lo, s7, v35
	v_add_co_ci_u32_e32 v22, vcc_lo, s8, v36, vcc_lo
	s_clause 0x1
	global_load_b32 v20, v[15:16], off
	global_load_b32 v21, v[21:22], off
	v_add_co_u32 v5, vcc_lo, s7, v5
	v_add_co_ci_u32_e32 v6, vcc_lo, s8, v6, vcc_lo
	v_add_co_u32 v7, vcc_lo, s7, v7
	v_add_co_ci_u32_e32 v8, vcc_lo, s8, v8, vcc_lo
	;; [unrolled: 2-line block ×3, first 2 shown]
	s_waitcnt lgkmcnt(0)
	v_max_f32_e32 v16, v33, v33
	s_clause 0x1
	global_load_b32 v22, v[5:6], off
	global_load_b32 v15, v[7:8], off
	v_add_co_u32 v5, vcc_lo, s7, v11
	v_max_f32_e32 v33, v59, v16
	v_add_co_ci_u32_e32 v6, vcc_lo, s8, v12, vcc_lo
	v_add_co_u32 v7, vcc_lo, s7, v13
	ds_bpermute_b32 v34, v3, v33
	v_add_co_ci_u32_e32 v8, vcc_lo, s8, v14, vcc_lo
	s_clause 0x1
	global_load_b32 v16, v[9:10], off
	global_load_b32 v5, v[5:6], off
	v_add_co_u32 v9, vcc_lo, s7, v45
	v_add_co_ci_u32_e32 v10, vcc_lo, s8, v46, vcc_lo
	v_add_co_u32 v11, vcc_lo, s7, v17
	v_add_co_ci_u32_e32 v12, vcc_lo, s8, v18, vcc_lo
	v_add_co_u32 v13, vcc_lo, s7, v37
	s_clause 0x2
	global_load_b32 v6, v[7:8], off
	global_load_b32 v7, v[9:10], off
	;; [unrolled: 1-line block ×3, first 2 shown]
	v_add_co_ci_u32_e32 v14, vcc_lo, s8, v38, vcc_lo
	s_waitcnt lgkmcnt(0)
	v_max_f32_e32 v10, v34, v34
	v_add_co_u32 v17, vcc_lo, s7, v39
	v_add_co_ci_u32_e32 v18, vcc_lo, s8, v40, vcc_lo
	v_add_co_u32 v11, vcc_lo, s7, v23
	s_delay_alu instid0(VALU_DEP_4)
	v_max_f32_e32 v23, v33, v10
	v_add_co_ci_u32_e32 v12, vcc_lo, s8, v24, vcc_lo
	global_load_b32 v9, v[13:14], off
	v_add_co_u32 v13, vcc_lo, s7, v25
	ds_bpermute_b32 v24, v2, v23
	v_add_co_ci_u32_e32 v14, vcc_lo, s8, v26, vcc_lo
	s_clause 0x2
	global_load_b32 v10, v[17:18], off
	global_load_b32 v11, v[11:12], off
	;; [unrolled: 1-line block ×3, first 2 shown]
	v_add_co_u32 v13, vcc_lo, s7, v27
	v_add_co_ci_u32_e32 v14, vcc_lo, s8, v28, vcc_lo
	v_xor_b32_e32 v18, 1, v19
	global_load_b32 v17, v[13:14], off
	v_add_co_u32 v13, vcc_lo, s7, v29
	v_add_co_ci_u32_e32 v14, vcc_lo, s8, v30, vcc_lo
	v_cmp_gt_i32_e32 vcc_lo, 32, v18
	s_waitcnt lgkmcnt(0)
	v_dual_max_f32 v24, v24, v24 :: v_dual_cndmask_b32 v19, v19, v18
	global_load_b32 v18, v[13:14], off
	v_lshlrev_b32_e32 v13, 2, v19
	v_max_f32_e32 v19, v23, v24
	v_add_co_u32 v23, vcc_lo, s7, v31
	v_add_co_ci_u32_e32 v24, vcc_lo, s8, v32, vcc_lo
	ds_bpermute_b32 v25, v13, v19
	s_mov_b32 s7, exec_lo
	global_load_b32 v14, v[23:24], off
	s_waitcnt lgkmcnt(0)
	v_max_f32_e32 v23, v25, v25
	s_delay_alu instid0(VALU_DEP_1) | instskip(SKIP_1) | instid1(VALU_DEP_2)
	v_max_f32_e32 v23, v19, v23
	v_sub_nc_u32_e32 v19, s40, v0
	v_sub_f32_e32 v29, v42, v23
	s_delay_alu instid0(VALU_DEP_1) | instskip(NEXT) | instid1(VALU_DEP_1)
	v_dual_sub_f32 v31, v44, v23 :: v_dual_mul_f32 v44, 0x3fb8aa3b, v29
	v_rndne_f32_e32 v66, v44
	v_fma_f32 v65, 0x3fb8aa3b, v29, -v44
	s_delay_alu instid0(VALU_DEP_2)
	v_sub_f32_e32 v44, v44, v66
	v_sub_f32_e32 v33, v48, v23
	;; [unrolled: 1-line block ×6, first 2 shown]
	v_mul_f32_e32 v48, 0x3fb8aa3b, v33
	v_sub_f32_e32 v30, v43, v23
	v_sub_f32_e32 v32, v47, v23
	;; [unrolled: 1-line block ×4, first 2 shown]
	v_rndne_f32_e32 v74, v48
	v_sub_f32_e32 v25, v50, v23
	v_mul_f32_e32 v50, 0x3fb8aa3b, v35
	v_sub_f32_e32 v38, v57, v23
	v_cmp_ngt_f32_e32 vcc_lo, 0xc2ce8ed0, v24
	v_cvt_i32_f32_e32 v66, v66
	s_delay_alu instid0(VALU_DEP_4) | instskip(SKIP_1) | instid1(VALU_DEP_2)
	v_rndne_f32_e32 v78, v50
	v_fma_f32 v77, 0x3fb8aa3b, v35, -v50
	v_sub_f32_e32 v50, v50, v78
	v_mul_f32_e32 v46, 0x3fb8aa3b, v31
	v_cvt_i32_f32_e32 v78, v78
	s_delay_alu instid0(VALU_DEP_2) | instskip(SKIP_2) | instid1(VALU_DEP_3)
	v_rndne_f32_e32 v70, v46
	v_sub_f32_e32 v27, v52, v23
	v_fma_f32 v69, 0x3fb8aa3b, v31, -v46
	v_sub_f32_e32 v46, v46, v70
	s_delay_alu instid0(VALU_DEP_3) | instskip(NEXT) | instid1(VALU_DEP_3)
	v_mul_f32_e32 v42, 0x3fb8aa3b, v27
	v_fmac_f32_e32 v69, 0x32a5705f, v31
	v_mul_f32_e32 v39, 0x3fb8aa3b, v24
	v_cvt_i32_f32_e32 v70, v70
	s_delay_alu instid0(VALU_DEP_4) | instskip(NEXT) | instid1(VALU_DEP_4)
	v_fma_f32 v61, 0x3fb8aa3b, v27, -v42
	v_add_f32_e32 v46, v46, v69
	v_rndne_f32_e32 v62, v42
	v_fma_f32 v55, 0x3fb8aa3b, v24, -v39
	s_delay_alu instid0(VALU_DEP_4) | instskip(NEXT) | instid1(VALU_DEP_4)
	v_fmac_f32_e32 v61, 0x32a5705f, v27
	v_exp_f32_e32 v46, v46
	s_delay_alu instid0(VALU_DEP_3) | instskip(SKIP_2) | instid1(VALU_DEP_3)
	v_dual_sub_f32 v42, v42, v62 :: v_dual_sub_f32 v37, v56, v23
	v_rndne_f32_e32 v56, v39
	v_cvt_i32_f32_e32 v62, v62
	v_add_f32_e32 v42, v42, v61
	s_delay_alu instid0(VALU_DEP_4)
	v_mul_f32_e32 v52, 0x3fb8aa3b, v37
	s_waitcnt_depctr 0xfff
	v_ldexp_f32 v46, v46, v70
	v_fmac_f32_e32 v55, 0x32a5705f, v24
	v_rndne_f32_e32 v82, v52
	v_fma_f32 v81, 0x3fb8aa3b, v37, -v52
	v_exp_f32_e32 v42, v42
	s_delay_alu instid0(VALU_DEP_2) | instskip(SKIP_1) | instid1(VALU_DEP_3)
	v_dual_sub_f32 v52, v52, v82 :: v_dual_fmac_f32 v65, 0x32a5705f, v29
	v_sub_f32_e32 v23, v58, v23
	v_fmac_f32_e32 v81, 0x32a5705f, v37
	v_mul_f32_e32 v45, 0x3fb8aa3b, v30
	v_cvt_i32_f32_e32 v82, v82
	v_add_f32_e32 v44, v44, v65
	v_mul_f32_e32 v54, 0x3fb8aa3b, v23
	v_add_f32_e32 v52, v52, v81
	s_delay_alu instid0(TRANS32_DEP_1)
	v_ldexp_f32 v42, v42, v62
	v_fma_f32 v67, 0x3fb8aa3b, v30, -v45
	v_rndne_f32_e32 v68, v45
	v_rndne_f32_e32 v86, v54
	v_fma_f32 v85, 0x3fb8aa3b, v23, -v54
	v_exp_f32_e32 v52, v52
	v_fmac_f32_e32 v67, 0x32a5705f, v30
	v_exp_f32_e32 v44, v44
	v_sub_f32_e32 v54, v54, v86
	v_fma_f32 v73, 0x3fb8aa3b, v33, -v48
	v_sub_f32_e32 v48, v48, v74
	v_mul_f32_e32 v40, 0x3fb8aa3b, v25
	v_cvt_i32_f32_e32 v74, v74
	v_fmac_f32_e32 v85, 0x32a5705f, v23
	v_fmac_f32_e32 v73, 0x32a5705f, v33
	v_mul_f32_e32 v41, 0x3fb8aa3b, v26
	v_fma_f32 v57, 0x3fb8aa3b, v25, -v40
	v_rndne_f32_e32 v58, v40
	v_ldexp_f32 v52, v52, v82
	v_add_f32_e32 v48, v48, v73
	v_fma_f32 v59, 0x3fb8aa3b, v26, -v41
	v_rndne_f32_e32 v60, v41
	v_sub_f32_e32 v40, v40, v58
	v_cvt_i32_f32_e32 v58, v58
	v_exp_f32_e32 v48, v48
	v_fmac_f32_e32 v59, 0x32a5705f, v26
	v_dual_mul_f32 v47, 0x3fb8aa3b, v32 :: v_dual_add_f32 v54, v54, v85
	v_ldexp_f32 v44, v44, v66
	s_delay_alu instid0(VALU_DEP_2) | instskip(SKIP_1) | instid1(VALU_DEP_4)
	v_fma_f32 v71, 0x3fb8aa3b, v32, -v47
	v_rndne_f32_e32 v72, v47
	v_exp_f32_e32 v54, v54
	s_delay_alu instid0(TRANS32_DEP_2) | instskip(SKIP_1) | instid1(VALU_DEP_1)
	v_ldexp_f32 v48, v48, v74
	v_fmac_f32_e32 v57, 0x32a5705f, v25
	v_dual_fmac_f32 v71, 0x32a5705f, v32 :: v_dual_add_f32 v40, v40, v57
	v_fmac_f32_e32 v77, 0x32a5705f, v35
	v_mul_f32_e32 v43, 0x3fb8aa3b, v28
	s_delay_alu instid0(VALU_DEP_3) | instskip(NEXT) | instid1(VALU_DEP_2)
	v_exp_f32_e32 v40, v40
	v_add_f32_e32 v50, v50, v77
	s_delay_alu instid0(VALU_DEP_2) | instskip(SKIP_1) | instid1(VALU_DEP_3)
	v_fma_f32 v63, 0x3fb8aa3b, v28, -v43
	v_rndne_f32_e32 v64, v43
	v_exp_f32_e32 v50, v50
	s_delay_alu instid0(VALU_DEP_2)
	v_fmac_f32_e32 v63, 0x32a5705f, v28
	s_waitcnt_depctr 0xfff
	v_ldexp_f32 v40, v40, v58
	v_ldexp_f32 v50, v50, v78
	v_sub_f32_e32 v39, v39, v56
	v_cvt_i32_f32_e32 v56, v56
	s_delay_alu instid0(VALU_DEP_2) | instskip(NEXT) | instid1(VALU_DEP_1)
	v_add_f32_e32 v39, v39, v55
	v_exp_f32_e32 v39, v39
	s_waitcnt_depctr 0xfff
	v_ldexp_f32 v39, v39, v56
	s_delay_alu instid0(VALU_DEP_1) | instskip(SKIP_4) | instid1(VALU_DEP_4)
	v_cndmask_b32_e32 v39, 0, v39, vcc_lo
	v_sub_f32_e32 v41, v41, v60
	v_cvt_i32_f32_e32 v60, v60
	v_cmp_ngt_f32_e32 vcc_lo, 0xc2ce8ed0, v25
	v_mul_f32_e32 v49, 0x3fb8aa3b, v34
	v_dual_add_f32 v41, v41, v59 :: v_dual_cndmask_b32 v40, 0, v40
	v_cmp_ngt_f32_e32 vcc_lo, 0xc2ce8ed0, v26
	s_delay_alu instid0(VALU_DEP_3) | instskip(NEXT) | instid1(VALU_DEP_3)
	v_fma_f32 v75, 0x3fb8aa3b, v34, -v49
	v_exp_f32_e32 v41, v41
	v_rndne_f32_e32 v76, v49
	s_delay_alu instid0(VALU_DEP_2) | instskip(SKIP_2) | instid1(VALU_DEP_1)
	v_fmac_f32_e32 v75, 0x32a5705f, v34
	s_waitcnt_depctr 0xfff
	v_ldexp_f32 v41, v41, v60
	v_cndmask_b32_e32 v41, 0, v41, vcc_lo
	v_sub_f32_e32 v43, v43, v64
	v_cvt_i32_f32_e32 v64, v64
	v_cmp_ngt_f32_e32 vcc_lo, 0xc2ce8ed0, v27
	v_mul_f32_e32 v51, 0x3fb8aa3b, v36
	s_delay_alu instid0(VALU_DEP_4) | instskip(SKIP_1) | instid1(VALU_DEP_3)
	v_dual_add_f32 v43, v43, v63 :: v_dual_cndmask_b32 v42, 0, v42
	v_cmp_ngt_f32_e32 vcc_lo, 0xc2ce8ed0, v28
	v_fma_f32 v79, 0x3fb8aa3b, v36, -v51
	s_delay_alu instid0(VALU_DEP_3) | instskip(SKIP_1) | instid1(VALU_DEP_2)
	v_exp_f32_e32 v43, v43
	v_rndne_f32_e32 v80, v51
	v_fmac_f32_e32 v79, 0x32a5705f, v36
	s_waitcnt_depctr 0xfff
	v_ldexp_f32 v43, v43, v64
	s_delay_alu instid0(VALU_DEP_1) | instskip(SKIP_4) | instid1(VALU_DEP_4)
	v_cndmask_b32_e32 v43, 0, v43, vcc_lo
	v_sub_f32_e32 v45, v45, v68
	v_cvt_i32_f32_e32 v68, v68
	v_cmp_ngt_f32_e32 vcc_lo, 0xc2ce8ed0, v29
	v_mul_f32_e32 v53, 0x3fb8aa3b, v38
	v_dual_add_f32 v45, v45, v67 :: v_dual_cndmask_b32 v44, 0, v44
	v_cmp_ngt_f32_e32 vcc_lo, 0xc2ce8ed0, v30
	s_delay_alu instid0(VALU_DEP_3) | instskip(NEXT) | instid1(VALU_DEP_3)
	v_rndne_f32_e32 v84, v53
	v_exp_f32_e32 v45, v45
	v_fma_f32 v83, 0x3fb8aa3b, v38, -v53
	s_waitcnt_depctr 0xfff
	v_ldexp_f32 v45, v45, v68
	s_delay_alu instid0(VALU_DEP_1) | instskip(SKIP_3) | instid1(VALU_DEP_3)
	v_cndmask_b32_e32 v45, 0, v45, vcc_lo
	v_sub_f32_e32 v47, v47, v72
	v_cmp_ngt_f32_e32 vcc_lo, 0xc2ce8ed0, v31
	v_cvt_i32_f32_e32 v72, v72
	v_dual_add_f32 v47, v47, v71 :: v_dual_cndmask_b32 v46, 0, v46
	v_sub_f32_e32 v49, v49, v76
	v_cmp_ngt_f32_e32 vcc_lo, 0xc2ce8ed0, v32
	v_cvt_i32_f32_e32 v76, v76
	s_delay_alu instid0(VALU_DEP_4) | instskip(NEXT) | instid1(VALU_DEP_3)
	v_exp_f32_e32 v47, v47
	v_add_f32_e32 v49, v49, v75
	s_delay_alu instid0(VALU_DEP_1) | instskip(SKIP_2) | instid1(VALU_DEP_1)
	v_exp_f32_e32 v49, v49
	s_waitcnt_depctr 0xfff
	v_ldexp_f32 v47, v47, v72
	v_cndmask_b32_e32 v47, 0, v47, vcc_lo
	v_cmp_ngt_f32_e32 vcc_lo, 0xc2ce8ed0, v33
	v_ldexp_f32 v49, v49, v76
	v_cndmask_b32_e32 v48, 0, v48, vcc_lo
	v_cmp_ngt_f32_e32 vcc_lo, 0xc2ce8ed0, v34
	s_delay_alu instid0(VALU_DEP_3) | instskip(SKIP_3) | instid1(VALU_DEP_3)
	v_cndmask_b32_e32 v49, 0, v49, vcc_lo
	v_sub_f32_e32 v51, v51, v80
	v_cvt_i32_f32_e32 v80, v80
	v_cmp_ngt_f32_e32 vcc_lo, 0xc2ce8ed0, v35
	v_dual_add_f32 v51, v51, v79 :: v_dual_cndmask_b32 v50, 0, v50
	v_cmp_ngt_f32_e32 vcc_lo, 0xc2ce8ed0, v36
	s_delay_alu instid0(VALU_DEP_2) | instskip(SKIP_2) | instid1(VALU_DEP_1)
	v_exp_f32_e32 v51, v51
	s_waitcnt_depctr 0xfff
	v_ldexp_f32 v51, v51, v80
	v_cndmask_b32_e32 v51, 0, v51, vcc_lo
	v_cmp_ngt_f32_e32 vcc_lo, 0xc2ce8ed0, v37
	v_cndmask_b32_e32 v52, 0, v52, vcc_lo
	v_cmp_nlt_f32_e32 vcc_lo, 0x42b17218, v24
	v_cndmask_b32_e32 v24, 0x7f800000, v39, vcc_lo
	v_cmp_nlt_f32_e32 vcc_lo, 0x42b17218, v25
	;; [unrolled: 2-line block ×6, first 2 shown]
	v_cndmask_b32_e32 v29, 0x7f800000, v44, vcc_lo
	v_cmp_lt_i32_e32 vcc_lo, 0, v19
	v_cndmask_b32_e32 v24, 0, v24, vcc_lo
	v_cmp_lt_i32_e32 vcc_lo, 32, v19
	s_waitcnt vmcnt(15)
	s_delay_alu instid0(VALU_DEP_2) | instskip(SKIP_2) | instid1(VALU_DEP_2)
	v_dual_mul_f32 v20, v20, v24 :: v_dual_cndmask_b32 v25, 0, v25
	v_cmp_nlt_f32_e32 vcc_lo, 0x42b17218, v30
	s_waitcnt vmcnt(14)
	v_mul_f32_e32 v21, v21, v25
	v_cndmask_b32_e32 v30, 0x7f800000, v45, vcc_lo
	v_cmp_lt_i32_e32 vcc_lo, 64, v19
	v_cndmask_b32_e32 v26, 0, v26, vcc_lo
	v_cmp_nlt_f32_e32 vcc_lo, 0x42b17218, v31
	s_waitcnt vmcnt(13)
	s_delay_alu instid0(VALU_DEP_2)
	v_mul_f32_e32 v22, v22, v26
	v_cndmask_b32_e32 v24, 0x7f800000, v46, vcc_lo
	v_cmp_lt_i32_e32 vcc_lo, 0x60, v19
	v_dual_add_f32 v26, v20, v21 :: v_dual_cndmask_b32 v25, 0, v27
	v_cmp_nlt_f32_e32 vcc_lo, 0x42b17218, v32
	s_waitcnt vmcnt(12)
	s_delay_alu instid0(VALU_DEP_2)
	v_mul_f32_e32 v15, v15, v25
	v_cndmask_b32_e32 v27, 0x7f800000, v47, vcc_lo
	v_cmp_lt_i32_e32 vcc_lo, 0x80, v19
	v_dual_add_f32 v25, v26, v22 :: v_dual_cndmask_b32 v28, 0, v28
	v_cmp_nlt_f32_e32 vcc_lo, 0x42b17218, v33
	s_waitcnt vmcnt(11)
	s_delay_alu instid0(VALU_DEP_2) | instskip(SKIP_2) | instid1(VALU_DEP_3)
	v_dual_add_f32 v25, v25, v15 :: v_dual_mul_f32 v16, v16, v28
	v_cndmask_b32_e32 v26, 0x7f800000, v48, vcc_lo
	v_cmp_lt_i32_e32 vcc_lo, 0xa0, v19
	v_add_f32_e32 v25, v25, v16
	v_cndmask_b32_e32 v29, 0, v29, vcc_lo
	v_cmp_nlt_f32_e32 vcc_lo, 0x42b17218, v34
	s_waitcnt vmcnt(10)
	s_delay_alu instid0(VALU_DEP_2) | instskip(SKIP_2) | instid1(VALU_DEP_3)
	v_mul_f32_e32 v5, v5, v29
	v_cndmask_b32_e32 v28, 0x7f800000, v49, vcc_lo
	v_cmp_lt_i32_e32 vcc_lo, 0xc0, v19
	v_dual_add_f32 v25, v25, v5 :: v_dual_cndmask_b32 v30, 0, v30
	v_cmp_nlt_f32_e32 vcc_lo, 0x42b17218, v35
	s_waitcnt vmcnt(9)
	s_delay_alu instid0(VALU_DEP_2)
	v_mul_f32_e32 v6, v6, v30
	v_cndmask_b32_e32 v29, 0x7f800000, v50, vcc_lo
	v_cmp_lt_i32_e32 vcc_lo, 0xe0, v19
	v_cndmask_b32_e32 v24, 0, v24, vcc_lo
	v_cmp_nlt_f32_e32 vcc_lo, 0x42b17218, v36
	v_sub_f32_e32 v53, v53, v84
	v_cvt_i32_f32_e32 v84, v84
	s_waitcnt vmcnt(8)
	v_dual_mul_f32 v7, v7, v24 :: v_dual_cndmask_b32 v30, 0x7f800000, v51
	v_cmp_lt_i32_e32 vcc_lo, 0x100, v19
	v_dual_add_f32 v24, v25, v6 :: v_dual_cndmask_b32 v27, 0, v27
	v_cmp_lt_i32_e32 vcc_lo, 0x120, v19
	s_delay_alu instid0(VALU_DEP_2) | instskip(SKIP_1) | instid1(VALU_DEP_3)
	v_add_f32_e32 v24, v24, v7
	s_waitcnt vmcnt(7)
	v_dual_mul_f32 v8, v8, v27 :: v_dual_cndmask_b32 v25, 0, v26
	v_cmp_lt_i32_e32 vcc_lo, 0x140, v19
	s_delay_alu instid0(VALU_DEP_2) | instskip(SKIP_1) | instid1(VALU_DEP_3)
	v_dual_fmac_f32 v83, 0x32a5705f, v38 :: v_dual_add_f32 v24, v24, v8
	s_waitcnt vmcnt(6)
	v_dual_mul_f32 v9, v9, v25 :: v_dual_cndmask_b32 v26, 0, v28
	s_delay_alu instid0(VALU_DEP_2) | instskip(SKIP_1) | instid1(VALU_DEP_3)
	v_add_f32_e32 v53, v53, v83
	v_cmp_lt_i32_e32 vcc_lo, 0x160, v19
	v_add_f32_e32 v24, v24, v9
	s_waitcnt vmcnt(5)
	v_mul_f32_e32 v10, v10, v26
	v_exp_f32_e32 v53, v53
	v_cndmask_b32_e32 v27, 0, v29, vcc_lo
	v_cmp_lt_i32_e32 vcc_lo, 0x180, v19
	s_waitcnt vmcnt(4)
	s_delay_alu instid0(VALU_DEP_2) | instskip(SKIP_3) | instid1(TRANS32_DEP_1)
	v_dual_add_f32 v24, v24, v10 :: v_dual_mul_f32 v11, v11, v27
	v_cndmask_b32_e32 v28, 0, v30, vcc_lo
	v_cmp_nlt_f32_e32 vcc_lo, 0x42b17218, v37
	v_cvt_i32_f32_e32 v27, v86
	v_ldexp_f32 v53, v53, v84
	v_add_f32_e32 v24, v24, v11
	s_waitcnt vmcnt(3)
	v_mul_f32_e32 v12, v12, v28
	v_cndmask_b32_e32 v25, 0x7f800000, v52, vcc_lo
	v_cmp_ngt_f32_e32 vcc_lo, 0xc2ce8ed0, v38
	s_delay_alu instid0(VALU_DEP_3)
	v_add_f32_e32 v24, v24, v12
	v_cndmask_b32_e32 v26, 0, v53, vcc_lo
	v_cmp_lt_i32_e32 vcc_lo, 0x1a0, v19
	v_cndmask_b32_e32 v25, 0, v25, vcc_lo
	v_cmp_nlt_f32_e32 vcc_lo, 0x42b17218, v38
	s_waitcnt vmcnt(2)
	s_delay_alu instid0(VALU_DEP_2) | instskip(SKIP_2) | instid1(VALU_DEP_3)
	v_dual_mul_f32 v17, v17, v25 :: v_dual_cndmask_b32 v26, 0x7f800000, v26
	v_cmp_lt_i32_e32 vcc_lo, 0x1c0, v19
	v_ldexp_f32 v25, v54, v27
	v_add_f32_e32 v24, v24, v17
	s_delay_alu instid0(VALU_DEP_4) | instskip(SKIP_2) | instid1(VALU_DEP_2)
	v_cndmask_b32_e32 v26, 0, v26, vcc_lo
	v_cmp_ngt_f32_e32 vcc_lo, 0xc2ce8ed0, v23
	s_waitcnt vmcnt(1)
	v_dual_mul_f32 v18, v18, v26 :: v_dual_cndmask_b32 v25, 0, v25
	v_cmp_nlt_f32_e32 vcc_lo, 0x42b17218, v23
	s_delay_alu instid0(VALU_DEP_2) | instskip(SKIP_1) | instid1(VALU_DEP_2)
	v_cndmask_b32_e32 v23, 0x7f800000, v25, vcc_lo
	v_cmp_lt_i32_e32 vcc_lo, 0x1e0, v19
	v_cndmask_b32_e32 v19, 0, v23, vcc_lo
	v_add_f32_e32 v23, v24, v18
	s_waitcnt vmcnt(0)
	s_delay_alu instid0(VALU_DEP_1)
	v_fmac_f32_e32 v23, v14, v19
	ds_bpermute_b32 v1, v1, v23
	s_waitcnt lgkmcnt(0)
	v_add_f32_e32 v1, v23, v1
	ds_bpermute_b32 v4, v4, v1
	s_waitcnt lgkmcnt(0)
	v_dual_add_f32 v1, v1, v4 :: v_dual_mul_f32 v4, v14, v19
	ds_bpermute_b32 v3, v3, v1
	s_waitcnt lgkmcnt(0)
	v_add_f32_e32 v1, v1, v3
	v_lshlrev_b32_e32 v3, 2, v0
	ds_bpermute_b32 v2, v2, v1
	ds_store_2addr_b32 v3, v20, v21 offset1:32
	s_waitcnt lgkmcnt(1)
	v_add_f32_e32 v1, v1, v2
	ds_bpermute_b32 v2, v13, v1
	v_add_nc_u32_e32 v13, 0x400, v3
	ds_store_2addr_b32 v3, v22, v15 offset0:64 offset1:96
	ds_store_2addr_b32 v3, v16, v5 offset0:128 offset1:160
	ds_store_2addr_b32 v3, v6, v7 offset0:192 offset1:224
	ds_store_2addr_b32 v13, v8, v9 offset1:32
	ds_store_2addr_b32 v13, v10, v11 offset0:64 offset1:96
	ds_store_2addr_b32 v13, v12, v17 offset0:128 offset1:160
	;; [unrolled: 1-line block ×3, first 2 shown]
	v_cmpx_eq_u32_e32 0, v0
	s_cbranch_execz .LBB421_8
; %bb.7:
	s_waitcnt lgkmcnt(7)
	v_dual_add_f32 v1, v1, v2 :: v_dual_mov_b32 v2, 0
	ds_store_b32 v2, v1 offset:2048
.LBB421_8:
	s_or_b32 exec_lo, exec_lo, s7
	v_mov_b32_e32 v1, s6
.LBB421_9:
	s_or_b32 exec_lo, exec_lo, s24
	s_lshl_b32 s6, s18, 6
	s_mov_b32 s7, 0
	s_waitcnt lgkmcnt(7)
	v_dual_mov_b32 v2, 0 :: v_dual_lshlrev_b32 v1, 6, v1
	s_lshl_b64 s[6:7], s[6:7], 1
	v_dual_mov_b32 v31, 0 :: v_dual_mov_b32 v32, 0
	s_add_u32 s34, s4, s6
	s_addc_u32 s35, s5, s7
	s_lshl_b32 s41, s40, 6
	v_lshlrev_b64 v[3:4], 1, v[1:2]
	s_sub_i32 s42, s41, 64
	s_cmpk_lt_i32 s22, 0x100
	v_lshlrev_b32_e32 v1, 1, v0
	s_cselect_b32 s4, s42, 0
	v_dual_mov_b32 v33, 0 :: v_dual_mov_b32 v34, 0
	s_ashr_i32 s5, s4, 31
	v_add_co_u32 v3, vcc_lo, s34, v3
	s_lshl_b64 s[4:5], s[4:5], 1
	s_cmpk_lt_i32 s22, 0x200
	v_add_co_ci_u32_e32 v4, vcc_lo, s35, v4, vcc_lo
	s_cselect_b32 s6, s42, 64
	v_add_co_u32 v1, vcc_lo, v3, v1
	s_ashr_i32 s7, s6, 31
	s_delay_alu instid0(VALU_DEP_2)
	v_add_co_ci_u32_e32 v3, vcc_lo, 0, v4, vcc_lo
	s_lshl_b64 s[6:7], s[6:7], 1
	s_cmpk_lt_i32 s22, 0x300
	v_add_co_u32 v4, vcc_lo, v1, s4
	s_cselect_b32 s8, s42, 0x80
	v_add_co_ci_u32_e32 v5, vcc_lo, s5, v3, vcc_lo
	s_ashr_i32 s9, s8, 31
	v_add_co_u32 v6, vcc_lo, v1, s6
	s_lshl_b64 s[8:9], s[8:9], 1
	s_cmpk_lt_i32 s22, 0x400
	v_add_co_ci_u32_e32 v7, vcc_lo, s7, v3, vcc_lo
	s_cselect_b32 s10, s42, 0xc0
	v_add_co_u32 v8, vcc_lo, v1, s8
	s_ashr_i32 s11, s10, 31
	v_add_co_ci_u32_e32 v9, vcc_lo, s9, v3, vcc_lo
	s_lshl_b64 s[10:11], s[10:11], 1
	s_cmpk_lt_i32 s22, 0x500
	v_add_co_u32 v11, vcc_lo, v1, s10
	s_cselect_b32 s18, s42, 0x100
	v_add_co_ci_u32_e32 v12, vcc_lo, s11, v3, vcc_lo
	s_ashr_i32 s19, s18, 31
	v_mov_b32_e32 v35, 0
	s_lshl_b64 s[18:19], s[18:19], 1
	s_cmpk_lt_i32 s22, 0x600
	v_add_co_u32 v14, vcc_lo, v1, s18
	s_cselect_b32 s20, s42, 0x140
	v_add_co_ci_u32_e32 v15, vcc_lo, s19, v3, vcc_lo
	s_ashr_i32 s21, s20, 31
	v_mov_b32_e32 v30, 0
	s_lshl_b64 s[20:21], s[20:21], 1
	s_cmpk_lt_i32 s22, 0x700
	v_add_co_u32 v16, vcc_lo, v1, s20
	s_cselect_b32 s24, s42, 0x180
	v_add_co_ci_u32_e32 v17, vcc_lo, s21, v3, vcc_lo
	s_ashr_i32 s25, s24, 31
	s_delay_alu instid0(SALU_CYCLE_1)
	s_lshl_b64 s[24:25], s[24:25], 1
	s_cmpk_lt_i32 s22, 0x800
	v_add_co_u32 v18, vcc_lo, v1, s24
	s_cselect_b32 s26, s42, 0x1c0
	v_add_co_ci_u32_e32 v19, vcc_lo, s25, v3, vcc_lo
	s_ashr_i32 s27, s26, 31
	s_delay_alu instid0(SALU_CYCLE_1)
	s_lshl_b64 s[26:27], s[26:27], 1
	s_cmpk_lt_i32 s22, 0x900
	v_add_co_u32 v20, vcc_lo, v1, s26
	s_cselect_b32 s28, s42, 0x200
	v_add_co_ci_u32_e32 v21, vcc_lo, s27, v3, vcc_lo
	s_ashr_i32 s29, s28, 31
	s_clause 0x7
	global_load_u16 v13, v[4:5], off
	global_load_u16 v4, v[6:7], off
	;; [unrolled: 1-line block ×8, first 2 shown]
	s_lshl_b64 s[28:29], s[28:29], 1
	s_cmpk_lt_i32 s22, 0xa00
	v_add_co_u32 v11, vcc_lo, v1, s28
	s_cselect_b32 s30, s42, 0x240
	v_add_co_ci_u32_e32 v12, vcc_lo, s29, v3, vcc_lo
	s_ashr_i32 s31, s30, 31
	s_delay_alu instid0(SALU_CYCLE_1)
	s_lshl_b64 s[30:31], s[30:31], 1
	s_cmpk_lt_i32 s22, 0xb00
	v_add_co_u32 v14, vcc_lo, v1, s30
	s_cselect_b32 s34, s42, 0x280
	v_add_co_ci_u32_e32 v15, vcc_lo, s31, v3, vcc_lo
	s_ashr_i32 s35, s34, 31
	s_delay_alu instid0(SALU_CYCLE_1)
	;; [unrolled: 7-line block ×7, first 2 shown]
	s_lshl_b64 s[4:5], s[6:7], 1
	s_cmpk_gt_i32 s23, 0x1000
	v_add_co_u32 v28, vcc_lo, v1, s4
	v_add_co_ci_u32_e32 v29, vcc_lo, s5, v3, vcc_lo
	s_clause 0x7
	global_load_u16 v19, v[11:12], off
	global_load_u16 v18, v[14:15], off
	;; [unrolled: 1-line block ×8, first 2 shown]
	v_dual_mov_b32 v20, 0 :: v_dual_mov_b32 v21, 0
	v_dual_mov_b32 v22, 0 :: v_dual_mov_b32 v23, 0
	;; [unrolled: 1-line block ×5, first 2 shown]
	s_cselect_b32 s6, -1, 0
	s_cmpk_lt_i32 s23, 0x1001
	s_waitcnt vmcnt(0) lgkmcnt(0)
	s_barrier
	buffer_gl0_inv
	s_cbranch_scc1 .LBB421_11
; %bb.10:
	s_cmpk_lt_i32 s22, 0x1100
	s_cselect_b32 s4, s42, 0x400
	s_delay_alu instid0(SALU_CYCLE_1) | instskip(NEXT) | instid1(SALU_CYCLE_1)
	s_ashr_i32 s5, s4, 31
	s_lshl_b64 s[4:5], s[4:5], 1
	s_cmpk_lt_i32 s22, 0x1200
	v_add_co_u32 v20, vcc_lo, v1, s4
	s_cselect_b32 s8, s42, 0x440
	v_add_co_ci_u32_e32 v21, vcc_lo, s5, v3, vcc_lo
	s_ashr_i32 s9, s8, 31
	s_delay_alu instid0(SALU_CYCLE_1)
	s_lshl_b64 s[8:9], s[8:9], 1
	s_cmpk_lt_i32 s22, 0x1300
	v_add_co_u32 v22, vcc_lo, v1, s8
	s_cselect_b32 s10, s42, 0x480
	v_add_co_ci_u32_e32 v23, vcc_lo, s9, v3, vcc_lo
	s_ashr_i32 s11, s10, 31
	s_delay_alu instid0(SALU_CYCLE_1)
	;; [unrolled: 7-line block ×14, first 2 shown]
	s_lshl_b64 s[4:5], s[18:19], 1
	s_cmpk_lt_i32 s22, 0x2000
	v_add_co_u32 v48, vcc_lo, v1, s4
	s_cselect_b32 s8, s42, 0x7c0
	v_add_co_ci_u32_e32 v49, vcc_lo, s5, v3, vcc_lo
	s_ashr_i32 s9, s8, 31
	s_delay_alu instid0(SALU_CYCLE_1) | instskip(NEXT) | instid1(SALU_CYCLE_1)
	s_lshl_b64 s[4:5], s[8:9], 1
	v_add_co_u32 v50, vcc_lo, v1, s4
	v_add_co_ci_u32_e32 v51, vcc_lo, s5, v3, vcc_lo
	s_clause 0xf
	global_load_u16 v20, v[20:21], off
	global_load_u16 v21, v[22:23], off
	;; [unrolled: 1-line block ×16, first 2 shown]
	s_waitcnt vmcnt(15)
	v_lshlrev_b32_e32 v35, 16, v20
	s_waitcnt vmcnt(14)
	v_lshlrev_b32_e32 v34, 16, v21
	;; [unrolled: 2-line block ×16, first 2 shown]
.LBB421_11:
	ds_load_b128 v[36:39], v2
	ds_load_b128 v[40:43], v2 offset:16
	v_lshlrev_b32_e32 v44, 16, v4
	v_lshlrev_b32_e32 v13, 16, v13
	;; [unrolled: 1-line block ×5, first 2 shown]
	s_load_b64 s[0:1], s[0:1], 0x0
	s_and_b32 vcc_lo, exec_lo, s6
	v_lshlrev_b32_e32 v5, 16, v5
	s_waitcnt lgkmcnt(0)
	v_fma_f32 v4, v36, v13, 0
	s_delay_alu instid0(VALU_DEP_1) | instskip(NEXT) | instid1(VALU_DEP_1)
	v_dual_fmac_f32 v4, v37, v44 :: v_dual_lshlrev_b32 v13, 16, v7
	v_dual_fmac_f32 v4, v38, v10 :: v_dual_lshlrev_b32 v9, 16, v9
	s_delay_alu instid0(VALU_DEP_1) | instskip(SKIP_4) | instid1(VALU_DEP_1)
	v_fmac_f32_e32 v4, v39, v9
	ds_load_b128 v[36:39], v2 offset:48
	v_fmac_f32_e32 v4, v40, v8
	ds_load_b128 v[7:10], v2 offset:32
	v_fmac_f32_e32 v4, v41, v13
	v_fmac_f32_e32 v4, v42, v6
	v_lshlrev_b32_e32 v6, 16, v19
	s_delay_alu instid0(VALU_DEP_2) | instskip(SKIP_1) | instid1(VALU_DEP_1)
	v_dual_fmac_f32 v4, v43, v5 :: v_dual_lshlrev_b32 v5, 16, v18
	s_waitcnt lgkmcnt(0)
	v_fmac_f32_e32 v4, v7, v6
	v_lshlrev_b32_e32 v6, 16, v17
	s_delay_alu instid0(VALU_DEP_2) | instskip(NEXT) | instid1(VALU_DEP_1)
	v_dual_fmac_f32 v4, v8, v5 :: v_dual_lshlrev_b32 v5, 16, v16
	v_fmac_f32_e32 v4, v9, v6
	v_lshlrev_b32_e32 v6, 16, v15
	s_delay_alu instid0(VALU_DEP_2) | instskip(NEXT) | instid1(VALU_DEP_1)
	v_dual_fmac_f32 v4, v10, v5 :: v_dual_lshlrev_b32 v5, 16, v14
	;; [unrolled: 4-line block ×3, first 2 shown]
	v_fmac_f32_e32 v4, v38, v6
	s_delay_alu instid0(VALU_DEP_1)
	v_fmac_f32_e32 v4, v39, v5
	s_cbranch_vccz .LBB421_13
; %bb.12:
	ds_load_b128 v[5:8], v2 offset:64
	ds_load_b128 v[9:12], v2 offset:80
	s_waitcnt lgkmcnt(1)
	v_fmac_f32_e32 v4, v5, v35
	s_delay_alu instid0(VALU_DEP_1) | instskip(NEXT) | instid1(VALU_DEP_1)
	v_fmac_f32_e32 v4, v6, v34
	v_fmac_f32_e32 v4, v7, v33
	s_delay_alu instid0(VALU_DEP_1) | instskip(SKIP_3) | instid1(VALU_DEP_1)
	v_fmac_f32_e32 v4, v8, v32
	ds_load_b128 v[5:8], v2 offset:96
	s_waitcnt lgkmcnt(1)
	v_fmac_f32_e32 v4, v9, v31
	v_fmac_f32_e32 v4, v10, v30
	s_delay_alu instid0(VALU_DEP_1) | instskip(NEXT) | instid1(VALU_DEP_1)
	v_fmac_f32_e32 v4, v11, v29
	v_fmac_f32_e32 v4, v12, v28
	ds_load_b128 v[9:12], v2 offset:112
	s_waitcnt lgkmcnt(1)
	v_fmac_f32_e32 v4, v5, v27
	s_delay_alu instid0(VALU_DEP_1) | instskip(NEXT) | instid1(VALU_DEP_1)
	v_fmac_f32_e32 v4, v6, v26
	v_fmac_f32_e32 v4, v7, v25
	s_delay_alu instid0(VALU_DEP_1) | instskip(SKIP_1) | instid1(VALU_DEP_1)
	v_fmac_f32_e32 v4, v8, v24
	s_waitcnt lgkmcnt(0)
	v_fmac_f32_e32 v4, v9, v23
	s_delay_alu instid0(VALU_DEP_1) | instskip(NEXT) | instid1(VALU_DEP_1)
	v_fmac_f32_e32 v4, v10, v22
	v_fmac_f32_e32 v4, v11, v21
	s_delay_alu instid0(VALU_DEP_1)
	v_fmac_f32_e32 v4, v12, v20
.LBB421_13:
	s_movk_i32 s43, 0xfc0
	s_movk_i32 s44, 0x80
	s_mov_b32 s45, 32
	s_branch .LBB421_15
.LBB421_14:                             ;   in Loop: Header=BB421_15 Depth=1
	s_addk_i32 s43, 0x800
	s_addk_i32 s44, 0x80
	s_add_i32 s45, s45, 32
	s_cmpk_eq_u32 s43, 0x87c0
	s_cbranch_scc1 .LBB421_17
.LBB421_15:                             ; =>This Inner Loop Header: Depth=1
	s_cmp_le_i32 s40, s45
	s_cbranch_scc1 .LBB421_14
; %bb.16:                               ;   in Loop: Header=BB421_15 Depth=1
	s_add_i32 s4, s43, 0xfffff840
	v_mov_b32_e32 v44, s44
	s_cmp_lt_i32 s4, s41
	s_cselect_b32 s4, s4, s42
	s_add_i32 s6, s43, 0xfffff880
	s_ashr_i32 s5, s4, 31
	s_delay_alu instid0(SALU_CYCLE_1)
	s_lshl_b64 s[38:39], s[4:5], 1
	s_cmp_lt_i32 s6, s41
	v_add_co_u32 v5, vcc_lo, v1, s38
	s_cselect_b32 s4, s6, s42
	s_add_i32 s6, s43, 0xfffff8c0
	s_ashr_i32 s5, s4, 31
	v_add_co_ci_u32_e32 v6, vcc_lo, s39, v3, vcc_lo
	s_lshl_b64 s[4:5], s[4:5], 1
	s_cmp_lt_i32 s6, s41
	s_cselect_b32 s6, s6, s42
	s_add_i32 s8, s43, 0xfffff900
	s_ashr_i32 s7, s6, 31
	global_load_u16 v2, v[5:6], off
	s_lshl_b64 s[6:7], s[6:7], 1
	s_cmp_lt_i32 s8, s41
	v_add_co_u32 v5, vcc_lo, v1, s4
	s_cselect_b32 s8, s8, s42
	s_add_i32 s10, s43, 0xfffff940
	s_ashr_i32 s9, s8, 31
	v_add_co_ci_u32_e32 v6, vcc_lo, s5, v3, vcc_lo
	s_lshl_b64 s[8:9], s[8:9], 1
	s_cmp_lt_i32 s10, s41
	v_add_co_u32 v7, vcc_lo, v1, s6
	s_cselect_b32 s10, s10, s42
	s_add_i32 s18, s43, 0xfffff980
	s_ashr_i32 s11, s10, 31
	v_add_co_ci_u32_e32 v8, vcc_lo, s7, v3, vcc_lo
	s_lshl_b64 s[10:11], s[10:11], 1
	s_cmp_lt_i32 s18, s41
	v_add_co_u32 v9, vcc_lo, v1, s8
	s_cselect_b32 s18, s18, s42
	s_add_i32 s20, s43, 0xfffff9c0
	s_ashr_i32 s19, s18, 31
	s_clause 0x1
	global_load_u16 v23, v[5:6], off
	global_load_u16 v24, v[7:8], off
	s_lshl_b64 s[18:19], s[18:19], 1
	s_cmp_lt_i32 s20, s41
	v_add_co_ci_u32_e32 v10, vcc_lo, s9, v3, vcc_lo
	s_cselect_b32 s20, s20, s42
	s_add_i32 s22, s43, 0xfffffa00
	s_ashr_i32 s21, s20, 31
	global_load_u16 v25, v[9:10], off
	s_lshl_b64 s[20:21], s[20:21], 1
	s_cmp_lt_i32 s22, s41
	v_add_co_u32 v11, vcc_lo, v1, s10
	s_cselect_b32 s22, s22, s42
	s_add_i32 s24, s43, 0xfffffa40
	s_ashr_i32 s23, s22, 31
	v_add_co_ci_u32_e32 v12, vcc_lo, s11, v3, vcc_lo
	s_lshl_b64 s[22:23], s[22:23], 1
	s_cmp_lt_i32 s24, s41
	v_add_co_u32 v13, vcc_lo, v1, s18
	global_load_u16 v26, v[11:12], off
	s_cselect_b32 s24, s24, s42
	s_add_i32 s26, s43, 0xfffffa80
	s_ashr_i32 s25, s24, 31
	v_add_co_ci_u32_e32 v14, vcc_lo, s19, v3, vcc_lo
	s_lshl_b64 s[24:25], s[24:25], 1
	s_cmp_lt_i32 s26, s41
	v_add_co_u32 v15, vcc_lo, v1, s20
	global_load_u16 v27, v[13:14], off
	s_cselect_b32 s26, s26, s42
	s_add_i32 s28, s43, 0xfffffac0
	s_ashr_i32 s27, s26, 31
	v_add_co_ci_u32_e32 v16, vcc_lo, s21, v3, vcc_lo
	s_lshl_b64 s[36:37], s[26:27], 1
	s_cmp_lt_i32 s28, s41
	v_add_co_u32 v17, vcc_lo, v1, s22
	s_cselect_b32 s26, s28, s42
	s_add_i32 s30, s43, 0xfffffb00
	s_ashr_i32 s27, s26, 31
	v_add_co_ci_u32_e32 v18, vcc_lo, s23, v3, vcc_lo
	s_lshl_b64 s[28:29], s[26:27], 1
	s_cmp_lt_i32 s30, s41
	v_add_co_u32 v19, vcc_lo, v1, s24
	global_load_u16 v17, v[17:18], off
	s_cselect_b32 s26, s30, s42
	s_add_i32 s30, s43, 0xfffffb40
	s_ashr_i32 s27, s26, 31
	v_add_co_ci_u32_e32 v20, vcc_lo, s25, v3, vcc_lo
	s_lshl_b64 s[26:27], s[26:27], 1
	s_cmp_lt_i32 s30, s41
	v_add_co_u32 v21, vcc_lo, v1, s36
	s_cselect_b32 s30, s30, s42
	s_add_i32 s46, s43, 0xfffffb80
	s_ashr_i32 s31, s30, 31
	v_add_co_ci_u32_e32 v22, vcc_lo, s37, v3, vcc_lo
	s_lshl_b64 s[34:35], s[30:31], 1
	s_cmp_lt_i32 s46, s41
	v_add_co_u32 v5, vcc_lo, v1, s28
	;; [unrolled: 7-line block ×3, first 2 shown]
	s_cselect_b32 s46, s46, s42
	s_add_i32 s48, s43, 0xfffffc00
	s_ashr_i32 s47, s46, 31
	global_load_u16 v28, v[15:16], off
	s_lshl_b64 s[38:39], s[46:47], 1
	s_cmp_lt_i32 s48, s41
	v_add_co_ci_u32_e32 v8, vcc_lo, s27, v3, vcc_lo
	s_cselect_b32 s46, s48, s42
	v_add_co_u32 v9, vcc_lo, v1, s34
	s_ashr_i32 s47, s46, 31
	s_add_i32 s4, s43, 0xfffffc40
	s_lshl_b64 s[46:47], s[46:47], 1
	v_add_co_ci_u32_e32 v10, vcc_lo, s35, v3, vcc_lo
	s_cmp_lt_i32 s4, s41
	v_add_co_u32 v11, vcc_lo, v1, s30
	s_cselect_b32 s4, s4, s42
	v_add_co_ci_u32_e32 v12, vcc_lo, s31, v3, vcc_lo
	v_add_co_u32 v13, vcc_lo, v1, s38
	s_ashr_i32 s5, s4, 31
	s_add_i32 s6, s43, 0xfffffc80
	v_add_co_ci_u32_e32 v14, vcc_lo, s39, v3, vcc_lo
	global_load_u16 v18, v[19:20], off
	s_lshl_b64 s[8:9], s[4:5], 1
	s_cmp_lt_i32 s6, s41
	global_load_u16 v30, v[13:14], off
	s_cselect_b32 s4, s6, s42
	global_load_u16 v19, v[21:22], off
	s_ashr_i32 s5, s4, 31
	s_add_i32 s6, s43, 0xfffffcc0
	s_lshl_b64 s[10:11], s[4:5], 1
	s_cmp_lt_i32 s6, s41
	s_clause 0x3
	global_load_u16 v20, v[5:6], off
	global_load_u16 v21, v[7:8], off
	global_load_u16 v22, v[9:10], off
	global_load_u16 v29, v[11:12], off
	s_cselect_b32 s4, s6, s42
	s_add_i32 s6, s43, 0xfffffd00
	s_ashr_i32 s5, s4, 31
	v_add_co_u32 v15, vcc_lo, v1, s46
	s_lshl_b64 s[4:5], s[4:5], 1
	s_cmp_lt_i32 s6, s41
	v_add_co_ci_u32_e32 v16, vcc_lo, s47, v3, vcc_lo
	s_cselect_b32 s6, s6, s42
	s_add_i32 s18, s43, 0xfffffd40
	s_ashr_i32 s7, s6, 31
	v_add_co_u32 v5, vcc_lo, v1, s8
	s_lshl_b64 s[6:7], s[6:7], 1
	s_cmp_lt_i32 s18, s41
	v_add_co_ci_u32_e32 v6, vcc_lo, s9, v3, vcc_lo
	s_cselect_b32 s18, s18, s42
	v_add_co_u32 v7, vcc_lo, v1, s10
	s_ashr_i32 s19, s18, 31
	s_add_i32 s20, s43, 0xfffffd80
	s_lshl_b64 s[18:19], s[18:19], 1
	v_add_co_ci_u32_e32 v8, vcc_lo, s11, v3, vcc_lo
	s_cmp_lt_i32 s20, s41
	v_add_co_u32 v9, vcc_lo, v1, s4
	s_cselect_b32 s20, s20, s42
	v_add_co_ci_u32_e32 v10, vcc_lo, s5, v3, vcc_lo
	v_add_co_u32 v11, vcc_lo, v1, s6
	s_ashr_i32 s21, s20, 31
	s_add_i32 s22, s43, 0xfffffdc0
	v_add_co_ci_u32_e32 v12, vcc_lo, s7, v3, vcc_lo
	global_load_u16 v15, v[15:16], off
	s_lshl_b64 s[20:21], s[20:21], 1
	s_cmp_lt_i32 s22, s41
	global_load_u16 v33, v[11:12], off
	s_cselect_b32 s22, s22, s42
	s_clause 0x2
	global_load_u16 v16, v[5:6], off
	global_load_u16 v31, v[7:8], off
	;; [unrolled: 1-line block ×3, first 2 shown]
	s_ashr_i32 s23, s22, 31
	s_add_i32 s24, s43, 0xfffffe00
	s_lshl_b64 s[22:23], s[22:23], 1
	s_cmp_lt_i32 s24, s41
	v_add_co_u32 v13, vcc_lo, v1, s18
	s_cselect_b32 s24, s24, s42
	s_add_i32 s26, s43, 0xfffffe40
	s_ashr_i32 s25, s24, 31
	v_add_co_ci_u32_e32 v14, vcc_lo, s19, v3, vcc_lo
	s_lshl_b64 s[24:25], s[24:25], 1
	s_cmp_lt_i32 s26, s41
	v_add_co_u32 v5, vcc_lo, v1, s20
	s_cselect_b32 s8, s26, s42
	v_add_co_ci_u32_e32 v6, vcc_lo, s21, v3, vcc_lo
	s_ashr_i32 s9, s8, 31
	v_add_co_u32 v7, vcc_lo, v1, s22
	s_add_i32 s10, s43, 0xfffffe80
	s_lshl_b64 s[8:9], s[8:9], 1
	v_add_co_ci_u32_e32 v8, vcc_lo, s23, v3, vcc_lo
	s_cmp_lt_i32 s10, s41
	v_add_co_u32 v9, vcc_lo, v1, s24
	s_cselect_b32 s4, s10, s42
	global_load_u16 v13, v[13:14], off
	v_add_co_ci_u32_e32 v10, vcc_lo, s25, v3, vcc_lo
	s_ashr_i32 s5, s4, 31
	s_add_i32 s6, s43, 0xfffffec0
	s_lshl_b64 s[4:5], s[4:5], 1
	global_load_u16 v35, v[9:10], off
	s_cmp_lt_i32 s6, s41
	s_clause 0x1
	global_load_u16 v14, v[5:6], off
	global_load_u16 v34, v[7:8], off
	s_cselect_b32 s6, s6, s42
	s_add_i32 s10, s43, 0xffffff00
	s_ashr_i32 s7, s6, 31
	v_add_co_u32 v5, vcc_lo, v1, s8
	s_lshl_b64 s[6:7], s[6:7], 1
	s_cmp_lt_i32 s10, s41
	v_add_co_ci_u32_e32 v6, vcc_lo, s9, v3, vcc_lo
	s_cselect_b32 s10, s10, s42
	v_add_co_u32 v7, vcc_lo, v1, s4
	s_ashr_i32 s11, s10, 31
	v_add_co_ci_u32_e32 v8, vcc_lo, s5, v3, vcc_lo
	s_add_i32 s18, s43, 0xffffff40
	s_lshl_b64 s[10:11], s[10:11], 1
	s_cmp_lt_i32 s18, s41
	s_clause 0x1
	global_load_u16 v36, v[5:6], off
	global_load_u16 v37, v[7:8], off
	s_cselect_b32 s18, s18, s42
	v_add_co_u32 v5, vcc_lo, v1, s6
	s_ashr_i32 s19, s18, 31
	v_add_co_ci_u32_e32 v6, vcc_lo, s7, v3, vcc_lo
	s_add_i32 s20, s43, 0xffffff80
	v_add_co_u32 v7, vcc_lo, v1, s10
	s_lshl_b64 s[8:9], s[18:19], 1
	s_cmp_lt_i32 s20, s41
	v_add_co_ci_u32_e32 v8, vcc_lo, s11, v3, vcc_lo
	s_cselect_b32 s4, s20, s42
	global_load_u16 v38, v[5:6], off
	s_ashr_i32 s5, s4, 31
	global_load_u16 v39, v[7:8], off
	s_sub_i32 s18, s43, 64
	v_add_co_u32 v5, vcc_lo, v1, s8
	s_lshl_b64 s[4:5], s[4:5], 1
	s_cmp_lt_i32 s18, s41
	v_add_co_ci_u32_e32 v6, vcc_lo, s9, v3, vcc_lo
	v_add_co_u32 v7, vcc_lo, v1, s4
	s_cselect_b32 s6, s18, s42
	v_add_co_ci_u32_e32 v8, vcc_lo, s5, v3, vcc_lo
	s_ashr_i32 s7, s6, 31
	global_load_u16 v40, v[5:6], off
	s_lshl_b64 s[6:7], s[6:7], 1
	global_load_u16 v41, v[7:8], off
	s_cmp_lt_i32 s43, s41
	v_add_co_u32 v5, vcc_lo, v1, s6
	s_cselect_b32 s4, s43, s42
	v_add_co_ci_u32_e32 v6, vcc_lo, s7, v3, vcc_lo
	s_ashr_i32 s5, s4, 31
	s_delay_alu instid0(SALU_CYCLE_1)
	s_lshl_b64 s[4:5], s[4:5], 1
	global_load_u16 v42, v[5:6], off
	v_add_co_u32 v5, vcc_lo, v1, s4
	v_add_co_ci_u32_e32 v6, vcc_lo, s5, v3, vcc_lo
	global_load_u16 v43, v[5:6], off
	ds_load_b128 v[5:8], v44
	ds_load_b128 v[9:12], v44 offset:16
	s_waitcnt vmcnt(31)
	v_lshlrev_b32_e32 v2, 16, v2
	s_waitcnt lgkmcnt(1)
	s_delay_alu instid0(VALU_DEP_1) | instskip(SKIP_2) | instid1(VALU_DEP_1)
	v_fmac_f32_e32 v4, v5, v2
	s_waitcnt vmcnt(30)
	v_lshlrev_b32_e32 v2, 16, v23
	v_fmac_f32_e32 v4, v6, v2
	s_waitcnt vmcnt(29)
	v_lshlrev_b32_e32 v2, 16, v24
	s_delay_alu instid0(VALU_DEP_1) | instskip(SKIP_2) | instid1(VALU_DEP_1)
	v_fmac_f32_e32 v4, v7, v2
	s_waitcnt vmcnt(28)
	v_lshlrev_b32_e32 v2, 16, v25
	v_fmac_f32_e32 v4, v8, v2
	ds_load_b128 v[5:8], v44 offset:32
	s_waitcnt vmcnt(27)
	v_lshlrev_b32_e32 v2, 16, v26
	s_waitcnt lgkmcnt(1)
	s_delay_alu instid0(VALU_DEP_1) | instskip(SKIP_2) | instid1(VALU_DEP_1)
	v_fmac_f32_e32 v4, v9, v2
	s_waitcnt vmcnt(26)
	v_lshlrev_b32_e32 v2, 16, v27
	v_fmac_f32_e32 v4, v10, v2
	s_waitcnt vmcnt(24)
	v_lshlrev_b32_e32 v2, 16, v28
	s_delay_alu instid0(VALU_DEP_1) | instskip(SKIP_1) | instid1(VALU_DEP_1)
	v_fmac_f32_e32 v4, v11, v2
	v_lshlrev_b32_e32 v2, 16, v17
	v_fmac_f32_e32 v4, v12, v2
	ds_load_b128 v[9:12], v44 offset:48
	s_waitcnt vmcnt(23)
	v_lshlrev_b32_e32 v2, 16, v18
	s_waitcnt lgkmcnt(1)
	s_delay_alu instid0(VALU_DEP_1) | instskip(SKIP_2) | instid1(VALU_DEP_1)
	v_fmac_f32_e32 v4, v5, v2
	s_waitcnt vmcnt(21)
	v_lshlrev_b32_e32 v2, 16, v19
	v_fmac_f32_e32 v4, v6, v2
	s_waitcnt vmcnt(20)
	v_lshlrev_b32_e32 v2, 16, v20
	s_delay_alu instid0(VALU_DEP_1) | instskip(SKIP_2) | instid1(VALU_DEP_1)
	v_fmac_f32_e32 v4, v7, v2
	s_waitcnt vmcnt(19)
	v_lshlrev_b32_e32 v2, 16, v21
	v_fmac_f32_e32 v4, v8, v2
	s_waitcnt vmcnt(18)
	v_lshlrev_b32_e32 v2, 16, v22
	ds_load_b128 v[5:8], v44 offset:64
	s_waitcnt lgkmcnt(1)
	v_fmac_f32_e32 v4, v9, v2
	s_waitcnt vmcnt(17)
	v_lshlrev_b32_e32 v2, 16, v29
	s_delay_alu instid0(VALU_DEP_1) | instskip(SKIP_1) | instid1(VALU_DEP_1)
	v_fmac_f32_e32 v4, v10, v2
	v_lshlrev_b32_e32 v2, 16, v30
	v_fmac_f32_e32 v4, v11, v2
	s_waitcnt vmcnt(16)
	v_lshlrev_b32_e32 v2, 16, v15
	s_delay_alu instid0(VALU_DEP_1) | instskip(SKIP_4) | instid1(VALU_DEP_1)
	v_fmac_f32_e32 v4, v12, v2
	ds_load_b128 v[9:12], v44 offset:80
	s_waitcnt vmcnt(14)
	v_lshlrev_b32_e32 v2, 16, v16
	s_waitcnt lgkmcnt(1)
	v_fmac_f32_e32 v4, v5, v2
	s_waitcnt vmcnt(13)
	v_lshlrev_b32_e32 v2, 16, v31
	s_delay_alu instid0(VALU_DEP_1) | instskip(SKIP_2) | instid1(VALU_DEP_1)
	v_fmac_f32_e32 v4, v6, v2
	s_waitcnt vmcnt(12)
	v_lshlrev_b32_e32 v2, 16, v32
	v_fmac_f32_e32 v4, v7, v2
	v_lshlrev_b32_e32 v2, 16, v33
	s_delay_alu instid0(VALU_DEP_1) | instskip(SKIP_4) | instid1(VALU_DEP_1)
	v_fmac_f32_e32 v4, v8, v2
	ds_load_b128 v[5:8], v44 offset:96
	s_waitcnt vmcnt(11)
	v_lshlrev_b32_e32 v2, 16, v13
	s_waitcnt lgkmcnt(1)
	v_fmac_f32_e32 v4, v9, v2
	s_waitcnt vmcnt(9)
	v_lshlrev_b32_e32 v2, 16, v14
	s_delay_alu instid0(VALU_DEP_1) | instskip(SKIP_2) | instid1(VALU_DEP_1)
	v_fmac_f32_e32 v4, v10, v2
	s_waitcnt vmcnt(8)
	v_lshlrev_b32_e32 v2, 16, v34
	v_fmac_f32_e32 v4, v11, v2
	;; [unrolled: 15-line block ×3, first 2 shown]
	s_waitcnt vmcnt(4)
	v_lshlrev_b32_e32 v2, 16, v39
	s_delay_alu instid0(VALU_DEP_1) | instskip(SKIP_3) | instid1(VALU_DEP_1)
	v_fmac_f32_e32 v4, v8, v2
	s_waitcnt vmcnt(3)
	v_lshlrev_b32_e32 v2, 16, v40
	s_waitcnt lgkmcnt(0)
	v_fmac_f32_e32 v4, v9, v2
	s_waitcnt vmcnt(2)
	v_lshlrev_b32_e32 v2, 16, v41
	s_delay_alu instid0(VALU_DEP_1) | instskip(SKIP_2) | instid1(VALU_DEP_1)
	v_fmac_f32_e32 v4, v10, v2
	s_waitcnt vmcnt(1)
	v_lshlrev_b32_e32 v2, 16, v42
	v_fmac_f32_e32 v4, v11, v2
	s_waitcnt vmcnt(0)
	v_lshlrev_b32_e32 v2, 16, v43
	s_delay_alu instid0(VALU_DEP_1)
	v_fmac_f32_e32 v4, v12, v2
	s_branch .LBB421_14
.LBB421_17:
	v_mov_b32_e32 v1, 0
	s_and_b32 vcc_lo, exec_lo, s15
	ds_load_b32 v1, v1 offset:2048
	s_cbranch_vccz .LBB421_19
; %bb.18:
	s_add_u32 s2, s12, s16
	s_addc_u32 s3, s13, s17
	s_load_b32 s2, s[2:3], 0x0
	s_mov_b32 s3, 0
.LBB421_19:
	s_waitcnt lgkmcnt(0)
	v_add_f32_e32 v1, 0x358637bd, v1
	s_delay_alu instid0(VALU_DEP_1) | instskip(NEXT) | instid1(VALU_DEP_1)
	v_div_scale_f32 v2, null, v1, v1, 1.0
	v_rcp_f32_e32 v3, v2
	s_waitcnt_depctr 0xfff
	v_fma_f32 v5, -v2, v3, 1.0
	s_delay_alu instid0(VALU_DEP_1) | instskip(SKIP_1) | instid1(VALU_DEP_1)
	v_fmac_f32_e32 v3, v5, v3
	v_div_scale_f32 v5, vcc_lo, 1.0, v1, 1.0
	v_mul_f32_e32 v6, v5, v3
	s_delay_alu instid0(VALU_DEP_1) | instskip(NEXT) | instid1(VALU_DEP_1)
	v_fma_f32 v7, -v2, v6, v5
	v_fmac_f32_e32 v6, v7, v3
	s_delay_alu instid0(VALU_DEP_1) | instskip(NEXT) | instid1(VALU_DEP_1)
	v_fma_f32 v2, -v2, v6, v5
	v_div_fmas_f32 v2, v2, v3, v6
	s_delay_alu instid0(VALU_DEP_1) | instskip(NEXT) | instid1(VALU_DEP_1)
	v_div_fixup_f32 v1, v2, v1, 1.0
	v_mul_f32_e32 v2, v4, v1
	s_delay_alu instid0(VALU_DEP_1) | instskip(NEXT) | instid1(VALU_DEP_1)
	v_and_b32_e32 v1, 0x7f800000, v2
	v_cmp_ne_u32_e32 vcc_lo, 0x7f800000, v1
                                        ; implicit-def: $vgpr1
	s_and_saveexec_b32 s4, vcc_lo
	s_delay_alu instid0(SALU_CYCLE_1)
	s_xor_b32 s4, exec_lo, s4
; %bb.20:
	v_bfe_u32 v1, v2, 16, 1
	s_delay_alu instid0(VALU_DEP_1)
	v_add3_u32 v1, v2, v1, 0x7fff
                                        ; implicit-def: $vgpr2
; %bb.21:
	s_and_not1_saveexec_b32 s4, s4
; %bb.22:
	v_and_b32_e32 v1, 0xffff, v2
	v_or_b32_e32 v3, 0x10000, v2
	s_delay_alu instid0(VALU_DEP_2) | instskip(NEXT) | instid1(VALU_DEP_2)
	v_cmp_eq_u32_e32 vcc_lo, 0, v1
	v_cndmask_b32_e32 v1, v3, v2, vcc_lo
; %bb.23:
	s_or_b32 exec_lo, exec_lo, s4
	s_mul_i32 s3, s33, s3
	s_mul_hi_u32 s4, s33, s2
	s_mul_i32 s2, s33, s2
	s_add_i32 s3, s4, s3
	s_mov_b32 s15, 0
	s_lshl_b64 s[2:3], s[2:3], 6
	v_and_b32_e32 v1, 0xffff0000, v1
	s_add_u32 s2, s0, s2
	s_addc_u32 s3, s1, s3
	s_lshl_b64 s[0:1], s[14:15], 6
	s_delay_alu instid0(SALU_CYCLE_1)
	s_add_u32 s0, s2, s0
	s_addc_u32 s1, s3, s1
	v_add_co_u32 v0, s0, s0, v0
	v_cvt_i32_f32_e32 v2, v1
	v_add_co_ci_u32_e64 v1, null, s1, 0, s0
	global_store_b8 v[0:1], v2, off
	s_nop 0
	s_sendmsg sendmsg(MSG_DEALLOC_VGPRS)
	s_endpgm
.LBB421_24:
	s_mov_b32 s4, 0
	s_branch .LBB421_2
	.section	.rodata,"a",@progbits
	.p2align	6, 0x0
	.amdhsa_kernel _Z35paged_attention_ll4mi_reduce_kernelI14__hip_bfloat16hLi64ELi64ELi256ELi16EEvPT0_PKfS4_PKT_PKiS9_iS4_
		.amdhsa_group_segment_fixed_size 2052
		.amdhsa_private_segment_fixed_size 0
		.amdhsa_kernarg_size 320
		.amdhsa_user_sgpr_count 14
		.amdhsa_user_sgpr_dispatch_ptr 0
		.amdhsa_user_sgpr_queue_ptr 0
		.amdhsa_user_sgpr_kernarg_segment_ptr 1
		.amdhsa_user_sgpr_dispatch_id 0
		.amdhsa_user_sgpr_private_segment_size 0
		.amdhsa_wavefront_size32 1
		.amdhsa_uses_dynamic_stack 0
		.amdhsa_enable_private_segment 0
		.amdhsa_system_sgpr_workgroup_id_x 1
		.amdhsa_system_sgpr_workgroup_id_y 1
		.amdhsa_system_sgpr_workgroup_id_z 0
		.amdhsa_system_sgpr_workgroup_info 0
		.amdhsa_system_vgpr_workitem_id 0
		.amdhsa_next_free_vgpr 87
		.amdhsa_next_free_sgpr 49
		.amdhsa_reserve_vcc 1
		.amdhsa_float_round_mode_32 0
		.amdhsa_float_round_mode_16_64 0
		.amdhsa_float_denorm_mode_32 3
		.amdhsa_float_denorm_mode_16_64 3
		.amdhsa_dx10_clamp 1
		.amdhsa_ieee_mode 1
		.amdhsa_fp16_overflow 0
		.amdhsa_workgroup_processor_mode 1
		.amdhsa_memory_ordered 1
		.amdhsa_forward_progress 0
		.amdhsa_shared_vgpr_count 0
		.amdhsa_exception_fp_ieee_invalid_op 0
		.amdhsa_exception_fp_denorm_src 0
		.amdhsa_exception_fp_ieee_div_zero 0
		.amdhsa_exception_fp_ieee_overflow 0
		.amdhsa_exception_fp_ieee_underflow 0
		.amdhsa_exception_fp_ieee_inexact 0
		.amdhsa_exception_int_div_zero 0
	.end_amdhsa_kernel
	.section	.text._Z35paged_attention_ll4mi_reduce_kernelI14__hip_bfloat16hLi64ELi64ELi256ELi16EEvPT0_PKfS4_PKT_PKiS9_iS4_,"axG",@progbits,_Z35paged_attention_ll4mi_reduce_kernelI14__hip_bfloat16hLi64ELi64ELi256ELi16EEvPT0_PKfS4_PKT_PKiS9_iS4_,comdat
.Lfunc_end421:
	.size	_Z35paged_attention_ll4mi_reduce_kernelI14__hip_bfloat16hLi64ELi64ELi256ELi16EEvPT0_PKfS4_PKT_PKiS9_iS4_, .Lfunc_end421-_Z35paged_attention_ll4mi_reduce_kernelI14__hip_bfloat16hLi64ELi64ELi256ELi16EEvPT0_PKfS4_PKT_PKiS9_iS4_
                                        ; -- End function
	.section	.AMDGPU.csdata,"",@progbits
; Kernel info:
; codeLenInByte = 8392
; NumSgprs: 51
; NumVgprs: 87
; ScratchSize: 0
; MemoryBound: 0
; FloatMode: 240
; IeeeMode: 1
; LDSByteSize: 2052 bytes/workgroup (compile time only)
; SGPRBlocks: 6
; VGPRBlocks: 10
; NumSGPRsForWavesPerEU: 51
; NumVGPRsForWavesPerEU: 87
; Occupancy: 16
; WaveLimiterHint : 0
; COMPUTE_PGM_RSRC2:SCRATCH_EN: 0
; COMPUTE_PGM_RSRC2:USER_SGPR: 14
; COMPUTE_PGM_RSRC2:TRAP_HANDLER: 0
; COMPUTE_PGM_RSRC2:TGID_X_EN: 1
; COMPUTE_PGM_RSRC2:TGID_Y_EN: 1
; COMPUTE_PGM_RSRC2:TGID_Z_EN: 0
; COMPUTE_PGM_RSRC2:TIDIG_COMP_CNT: 0
	.section	.text._Z38paged_attention_ll4mi_QKV_mfma4_kernelI14__hip_bfloat16S0_LN4vllm18Fp8KVCacheDataTypeE0EhLi16ELi64ELi256ELb0ELi1EEvPKT_PKT0_S8_ifPKiSA_SA_iPKfiiiPfSD_PS3_PT2_iSC_SC_,"axG",@progbits,_Z38paged_attention_ll4mi_QKV_mfma4_kernelI14__hip_bfloat16S0_LN4vllm18Fp8KVCacheDataTypeE0EhLi16ELi64ELi256ELb0ELi1EEvPKT_PKT0_S8_ifPKiSA_SA_iPKfiiiPfSD_PS3_PT2_iSC_SC_,comdat
	.protected	_Z38paged_attention_ll4mi_QKV_mfma4_kernelI14__hip_bfloat16S0_LN4vllm18Fp8KVCacheDataTypeE0EhLi16ELi64ELi256ELb0ELi1EEvPKT_PKT0_S8_ifPKiSA_SA_iPKfiiiPfSD_PS3_PT2_iSC_SC_ ; -- Begin function _Z38paged_attention_ll4mi_QKV_mfma4_kernelI14__hip_bfloat16S0_LN4vllm18Fp8KVCacheDataTypeE0EhLi16ELi64ELi256ELb0ELi1EEvPKT_PKT0_S8_ifPKiSA_SA_iPKfiiiPfSD_PS3_PT2_iSC_SC_
	.globl	_Z38paged_attention_ll4mi_QKV_mfma4_kernelI14__hip_bfloat16S0_LN4vllm18Fp8KVCacheDataTypeE0EhLi16ELi64ELi256ELb0ELi1EEvPKT_PKT0_S8_ifPKiSA_SA_iPKfiiiPfSD_PS3_PT2_iSC_SC_
	.p2align	8
	.type	_Z38paged_attention_ll4mi_QKV_mfma4_kernelI14__hip_bfloat16S0_LN4vllm18Fp8KVCacheDataTypeE0EhLi16ELi64ELi256ELb0ELi1EEvPKT_PKT0_S8_ifPKiSA_SA_iPKfiiiPfSD_PS3_PT2_iSC_SC_,@function
_Z38paged_attention_ll4mi_QKV_mfma4_kernelI14__hip_bfloat16S0_LN4vllm18Fp8KVCacheDataTypeE0EhLi16ELi64ELi256ELb0ELi1EEvPKT_PKT0_S8_ifPKiSA_SA_iPKfiiiPfSD_PS3_PT2_iSC_SC_: ; @_Z38paged_attention_ll4mi_QKV_mfma4_kernelI14__hip_bfloat16S0_LN4vllm18Fp8KVCacheDataTypeE0EhLi16ELi64ELi256ELb0ELi1EEvPKT_PKT0_S8_ifPKiSA_SA_iPKfiiiPfSD_PS3_PT2_iSC_SC_
; %bb.0:
	s_add_u32 s8, s0, 0x90
	s_addc_u32 s9, s1, 0
	s_getpc_b64 s[0:1]
	s_add_u32 s0, s0, __PRETTY_FUNCTION__._Z38paged_attention_ll4mi_QKV_mfma4_kernelI14__hip_bfloat16S0_LN4vllm18Fp8KVCacheDataTypeE0EhLi16ELi64ELi256ELb0ELi1EEvPKT_PKT0_S8_ifPKiSA_SA_iPKfiiiPfSD_PS3_PT2_iSC_SC_@rel32@lo+4
	s_addc_u32 s1, s1, __PRETTY_FUNCTION__._Z38paged_attention_ll4mi_QKV_mfma4_kernelI14__hip_bfloat16S0_LN4vllm18Fp8KVCacheDataTypeE0EhLi16ELi64ELi256ELb0ELi1EEvPKT_PKT0_S8_ifPKiSA_SA_iPKfiiiPfSD_PS3_PT2_iSC_SC_@rel32@hi+12
	s_delay_alu instid0(SALU_CYCLE_1) | instskip(SKIP_4) | instid1(SALU_CYCLE_1)
	v_dual_mov_b32 v0, s0 :: v_dual_mov_b32 v1, s1
	s_mov_b32 s32, 0
	s_getpc_b64 s[2:3]
	s_add_u32 s2, s2, __assert_fail@rel32@lo+4
	s_addc_u32 s3, s3, __assert_fail@rel32@hi+12
	s_swappc_b64 s[30:31], s[2:3]
	.section	.rodata,"a",@progbits
	.p2align	6, 0x0
	.amdhsa_kernel _Z38paged_attention_ll4mi_QKV_mfma4_kernelI14__hip_bfloat16S0_LN4vllm18Fp8KVCacheDataTypeE0EhLi16ELi64ELi256ELb0ELi1EEvPKT_PKT0_S8_ifPKiSA_SA_iPKfiiiPfSD_PS3_PT2_iSC_SC_
		.amdhsa_group_segment_fixed_size 0
		.amdhsa_private_segment_fixed_size 64
		.amdhsa_kernarg_size 400
		.amdhsa_user_sgpr_count 15
		.amdhsa_user_sgpr_dispatch_ptr 0
		.amdhsa_user_sgpr_queue_ptr 0
		.amdhsa_user_sgpr_kernarg_segment_ptr 1
		.amdhsa_user_sgpr_dispatch_id 0
		.amdhsa_user_sgpr_private_segment_size 0
		.amdhsa_wavefront_size32 1
		.amdhsa_uses_dynamic_stack 0
		.amdhsa_enable_private_segment 1
		.amdhsa_system_sgpr_workgroup_id_x 1
		.amdhsa_system_sgpr_workgroup_id_y 0
		.amdhsa_system_sgpr_workgroup_id_z 0
		.amdhsa_system_sgpr_workgroup_info 0
		.amdhsa_system_vgpr_workitem_id 0
		.amdhsa_next_free_vgpr 41
		.amdhsa_next_free_sgpr 34
		.amdhsa_reserve_vcc 1
		.amdhsa_float_round_mode_32 0
		.amdhsa_float_round_mode_16_64 0
		.amdhsa_float_denorm_mode_32 3
		.amdhsa_float_denorm_mode_16_64 3
		.amdhsa_dx10_clamp 1
		.amdhsa_ieee_mode 1
		.amdhsa_fp16_overflow 0
		.amdhsa_workgroup_processor_mode 1
		.amdhsa_memory_ordered 1
		.amdhsa_forward_progress 0
		.amdhsa_shared_vgpr_count 0
		.amdhsa_exception_fp_ieee_invalid_op 0
		.amdhsa_exception_fp_denorm_src 0
		.amdhsa_exception_fp_ieee_div_zero 0
		.amdhsa_exception_fp_ieee_overflow 0
		.amdhsa_exception_fp_ieee_underflow 0
		.amdhsa_exception_fp_ieee_inexact 0
		.amdhsa_exception_int_div_zero 0
	.end_amdhsa_kernel
	.section	.text._Z38paged_attention_ll4mi_QKV_mfma4_kernelI14__hip_bfloat16S0_LN4vllm18Fp8KVCacheDataTypeE0EhLi16ELi64ELi256ELb0ELi1EEvPKT_PKT0_S8_ifPKiSA_SA_iPKfiiiPfSD_PS3_PT2_iSC_SC_,"axG",@progbits,_Z38paged_attention_ll4mi_QKV_mfma4_kernelI14__hip_bfloat16S0_LN4vllm18Fp8KVCacheDataTypeE0EhLi16ELi64ELi256ELb0ELi1EEvPKT_PKT0_S8_ifPKiSA_SA_iPKfiiiPfSD_PS3_PT2_iSC_SC_,comdat
.Lfunc_end422:
	.size	_Z38paged_attention_ll4mi_QKV_mfma4_kernelI14__hip_bfloat16S0_LN4vllm18Fp8KVCacheDataTypeE0EhLi16ELi64ELi256ELb0ELi1EEvPKT_PKT0_S8_ifPKiSA_SA_iPKfiiiPfSD_PS3_PT2_iSC_SC_, .Lfunc_end422-_Z38paged_attention_ll4mi_QKV_mfma4_kernelI14__hip_bfloat16S0_LN4vllm18Fp8KVCacheDataTypeE0EhLi16ELi64ELi256ELb0ELi1EEvPKT_PKT0_S8_ifPKiSA_SA_iPKfiiiPfSD_PS3_PT2_iSC_SC_
                                        ; -- End function
	.section	.AMDGPU.csdata,"",@progbits
; Kernel info:
; codeLenInByte = 72
; NumSgprs: 36
; NumVgprs: 41
; ScratchSize: 64
; MemoryBound: 0
; FloatMode: 240
; IeeeMode: 1
; LDSByteSize: 0 bytes/workgroup (compile time only)
; SGPRBlocks: 4
; VGPRBlocks: 5
; NumSGPRsForWavesPerEU: 36
; NumVGPRsForWavesPerEU: 41
; Occupancy: 16
; WaveLimiterHint : 1
; COMPUTE_PGM_RSRC2:SCRATCH_EN: 1
; COMPUTE_PGM_RSRC2:USER_SGPR: 15
; COMPUTE_PGM_RSRC2:TRAP_HANDLER: 0
; COMPUTE_PGM_RSRC2:TGID_X_EN: 1
; COMPUTE_PGM_RSRC2:TGID_Y_EN: 0
; COMPUTE_PGM_RSRC2:TGID_Z_EN: 0
; COMPUTE_PGM_RSRC2:TIDIG_COMP_CNT: 0
	.section	.text._Z38paged_attention_ll4mi_QKV_mfma4_kernelI14__hip_bfloat16S0_LN4vllm18Fp8KVCacheDataTypeE0EhLi16ELi64ELi256ELb0ELi2EEvPKT_PKT0_S8_ifPKiSA_SA_iPKfiiiPfSD_PS3_PT2_iSC_SC_,"axG",@progbits,_Z38paged_attention_ll4mi_QKV_mfma4_kernelI14__hip_bfloat16S0_LN4vllm18Fp8KVCacheDataTypeE0EhLi16ELi64ELi256ELb0ELi2EEvPKT_PKT0_S8_ifPKiSA_SA_iPKfiiiPfSD_PS3_PT2_iSC_SC_,comdat
	.protected	_Z38paged_attention_ll4mi_QKV_mfma4_kernelI14__hip_bfloat16S0_LN4vllm18Fp8KVCacheDataTypeE0EhLi16ELi64ELi256ELb0ELi2EEvPKT_PKT0_S8_ifPKiSA_SA_iPKfiiiPfSD_PS3_PT2_iSC_SC_ ; -- Begin function _Z38paged_attention_ll4mi_QKV_mfma4_kernelI14__hip_bfloat16S0_LN4vllm18Fp8KVCacheDataTypeE0EhLi16ELi64ELi256ELb0ELi2EEvPKT_PKT0_S8_ifPKiSA_SA_iPKfiiiPfSD_PS3_PT2_iSC_SC_
	.globl	_Z38paged_attention_ll4mi_QKV_mfma4_kernelI14__hip_bfloat16S0_LN4vllm18Fp8KVCacheDataTypeE0EhLi16ELi64ELi256ELb0ELi2EEvPKT_PKT0_S8_ifPKiSA_SA_iPKfiiiPfSD_PS3_PT2_iSC_SC_
	.p2align	8
	.type	_Z38paged_attention_ll4mi_QKV_mfma4_kernelI14__hip_bfloat16S0_LN4vllm18Fp8KVCacheDataTypeE0EhLi16ELi64ELi256ELb0ELi2EEvPKT_PKT0_S8_ifPKiSA_SA_iPKfiiiPfSD_PS3_PT2_iSC_SC_,@function
_Z38paged_attention_ll4mi_QKV_mfma4_kernelI14__hip_bfloat16S0_LN4vllm18Fp8KVCacheDataTypeE0EhLi16ELi64ELi256ELb0ELi2EEvPKT_PKT0_S8_ifPKiSA_SA_iPKfiiiPfSD_PS3_PT2_iSC_SC_: ; @_Z38paged_attention_ll4mi_QKV_mfma4_kernelI14__hip_bfloat16S0_LN4vllm18Fp8KVCacheDataTypeE0EhLi16ELi64ELi256ELb0ELi2EEvPKT_PKT0_S8_ifPKiSA_SA_iPKfiiiPfSD_PS3_PT2_iSC_SC_
; %bb.0:
	s_add_u32 s8, s0, 0x90
	s_addc_u32 s9, s1, 0
	s_getpc_b64 s[0:1]
	s_add_u32 s0, s0, __PRETTY_FUNCTION__._Z38paged_attention_ll4mi_QKV_mfma4_kernelI14__hip_bfloat16S0_LN4vllm18Fp8KVCacheDataTypeE0EhLi16ELi64ELi256ELb0ELi2EEvPKT_PKT0_S8_ifPKiSA_SA_iPKfiiiPfSD_PS3_PT2_iSC_SC_@rel32@lo+4
	s_addc_u32 s1, s1, __PRETTY_FUNCTION__._Z38paged_attention_ll4mi_QKV_mfma4_kernelI14__hip_bfloat16S0_LN4vllm18Fp8KVCacheDataTypeE0EhLi16ELi64ELi256ELb0ELi2EEvPKT_PKT0_S8_ifPKiSA_SA_iPKfiiiPfSD_PS3_PT2_iSC_SC_@rel32@hi+12
	s_delay_alu instid0(SALU_CYCLE_1) | instskip(SKIP_4) | instid1(SALU_CYCLE_1)
	v_dual_mov_b32 v0, s0 :: v_dual_mov_b32 v1, s1
	s_mov_b32 s32, 0
	s_getpc_b64 s[2:3]
	s_add_u32 s2, s2, __assert_fail@rel32@lo+4
	s_addc_u32 s3, s3, __assert_fail@rel32@hi+12
	s_swappc_b64 s[30:31], s[2:3]
	.section	.rodata,"a",@progbits
	.p2align	6, 0x0
	.amdhsa_kernel _Z38paged_attention_ll4mi_QKV_mfma4_kernelI14__hip_bfloat16S0_LN4vllm18Fp8KVCacheDataTypeE0EhLi16ELi64ELi256ELb0ELi2EEvPKT_PKT0_S8_ifPKiSA_SA_iPKfiiiPfSD_PS3_PT2_iSC_SC_
		.amdhsa_group_segment_fixed_size 0
		.amdhsa_private_segment_fixed_size 64
		.amdhsa_kernarg_size 400
		.amdhsa_user_sgpr_count 15
		.amdhsa_user_sgpr_dispatch_ptr 0
		.amdhsa_user_sgpr_queue_ptr 0
		.amdhsa_user_sgpr_kernarg_segment_ptr 1
		.amdhsa_user_sgpr_dispatch_id 0
		.amdhsa_user_sgpr_private_segment_size 0
		.amdhsa_wavefront_size32 1
		.amdhsa_uses_dynamic_stack 0
		.amdhsa_enable_private_segment 1
		.amdhsa_system_sgpr_workgroup_id_x 1
		.amdhsa_system_sgpr_workgroup_id_y 0
		.amdhsa_system_sgpr_workgroup_id_z 0
		.amdhsa_system_sgpr_workgroup_info 0
		.amdhsa_system_vgpr_workitem_id 0
		.amdhsa_next_free_vgpr 41
		.amdhsa_next_free_sgpr 34
		.amdhsa_reserve_vcc 1
		.amdhsa_float_round_mode_32 0
		.amdhsa_float_round_mode_16_64 0
		.amdhsa_float_denorm_mode_32 3
		.amdhsa_float_denorm_mode_16_64 3
		.amdhsa_dx10_clamp 1
		.amdhsa_ieee_mode 1
		.amdhsa_fp16_overflow 0
		.amdhsa_workgroup_processor_mode 1
		.amdhsa_memory_ordered 1
		.amdhsa_forward_progress 0
		.amdhsa_shared_vgpr_count 0
		.amdhsa_exception_fp_ieee_invalid_op 0
		.amdhsa_exception_fp_denorm_src 0
		.amdhsa_exception_fp_ieee_div_zero 0
		.amdhsa_exception_fp_ieee_overflow 0
		.amdhsa_exception_fp_ieee_underflow 0
		.amdhsa_exception_fp_ieee_inexact 0
		.amdhsa_exception_int_div_zero 0
	.end_amdhsa_kernel
	.section	.text._Z38paged_attention_ll4mi_QKV_mfma4_kernelI14__hip_bfloat16S0_LN4vllm18Fp8KVCacheDataTypeE0EhLi16ELi64ELi256ELb0ELi2EEvPKT_PKT0_S8_ifPKiSA_SA_iPKfiiiPfSD_PS3_PT2_iSC_SC_,"axG",@progbits,_Z38paged_attention_ll4mi_QKV_mfma4_kernelI14__hip_bfloat16S0_LN4vllm18Fp8KVCacheDataTypeE0EhLi16ELi64ELi256ELb0ELi2EEvPKT_PKT0_S8_ifPKiSA_SA_iPKfiiiPfSD_PS3_PT2_iSC_SC_,comdat
.Lfunc_end423:
	.size	_Z38paged_attention_ll4mi_QKV_mfma4_kernelI14__hip_bfloat16S0_LN4vllm18Fp8KVCacheDataTypeE0EhLi16ELi64ELi256ELb0ELi2EEvPKT_PKT0_S8_ifPKiSA_SA_iPKfiiiPfSD_PS3_PT2_iSC_SC_, .Lfunc_end423-_Z38paged_attention_ll4mi_QKV_mfma4_kernelI14__hip_bfloat16S0_LN4vllm18Fp8KVCacheDataTypeE0EhLi16ELi64ELi256ELb0ELi2EEvPKT_PKT0_S8_ifPKiSA_SA_iPKfiiiPfSD_PS3_PT2_iSC_SC_
                                        ; -- End function
	.section	.AMDGPU.csdata,"",@progbits
; Kernel info:
; codeLenInByte = 72
; NumSgprs: 36
; NumVgprs: 41
; ScratchSize: 64
; MemoryBound: 0
; FloatMode: 240
; IeeeMode: 1
; LDSByteSize: 0 bytes/workgroup (compile time only)
; SGPRBlocks: 4
; VGPRBlocks: 5
; NumSGPRsForWavesPerEU: 36
; NumVGPRsForWavesPerEU: 41
; Occupancy: 16
; WaveLimiterHint : 1
; COMPUTE_PGM_RSRC2:SCRATCH_EN: 1
; COMPUTE_PGM_RSRC2:USER_SGPR: 15
; COMPUTE_PGM_RSRC2:TRAP_HANDLER: 0
; COMPUTE_PGM_RSRC2:TGID_X_EN: 1
; COMPUTE_PGM_RSRC2:TGID_Y_EN: 0
; COMPUTE_PGM_RSRC2:TGID_Z_EN: 0
; COMPUTE_PGM_RSRC2:TIDIG_COMP_CNT: 0
	.section	.text._Z38paged_attention_ll4mi_QKV_mfma4_kernelI14__hip_bfloat16S0_LN4vllm18Fp8KVCacheDataTypeE0EhLi16ELi64ELi256ELb0ELi3EEvPKT_PKT0_S8_ifPKiSA_SA_iPKfiiiPfSD_PS3_PT2_iSC_SC_,"axG",@progbits,_Z38paged_attention_ll4mi_QKV_mfma4_kernelI14__hip_bfloat16S0_LN4vllm18Fp8KVCacheDataTypeE0EhLi16ELi64ELi256ELb0ELi3EEvPKT_PKT0_S8_ifPKiSA_SA_iPKfiiiPfSD_PS3_PT2_iSC_SC_,comdat
	.protected	_Z38paged_attention_ll4mi_QKV_mfma4_kernelI14__hip_bfloat16S0_LN4vllm18Fp8KVCacheDataTypeE0EhLi16ELi64ELi256ELb0ELi3EEvPKT_PKT0_S8_ifPKiSA_SA_iPKfiiiPfSD_PS3_PT2_iSC_SC_ ; -- Begin function _Z38paged_attention_ll4mi_QKV_mfma4_kernelI14__hip_bfloat16S0_LN4vllm18Fp8KVCacheDataTypeE0EhLi16ELi64ELi256ELb0ELi3EEvPKT_PKT0_S8_ifPKiSA_SA_iPKfiiiPfSD_PS3_PT2_iSC_SC_
	.globl	_Z38paged_attention_ll4mi_QKV_mfma4_kernelI14__hip_bfloat16S0_LN4vllm18Fp8KVCacheDataTypeE0EhLi16ELi64ELi256ELb0ELi3EEvPKT_PKT0_S8_ifPKiSA_SA_iPKfiiiPfSD_PS3_PT2_iSC_SC_
	.p2align	8
	.type	_Z38paged_attention_ll4mi_QKV_mfma4_kernelI14__hip_bfloat16S0_LN4vllm18Fp8KVCacheDataTypeE0EhLi16ELi64ELi256ELb0ELi3EEvPKT_PKT0_S8_ifPKiSA_SA_iPKfiiiPfSD_PS3_PT2_iSC_SC_,@function
_Z38paged_attention_ll4mi_QKV_mfma4_kernelI14__hip_bfloat16S0_LN4vllm18Fp8KVCacheDataTypeE0EhLi16ELi64ELi256ELb0ELi3EEvPKT_PKT0_S8_ifPKiSA_SA_iPKfiiiPfSD_PS3_PT2_iSC_SC_: ; @_Z38paged_attention_ll4mi_QKV_mfma4_kernelI14__hip_bfloat16S0_LN4vllm18Fp8KVCacheDataTypeE0EhLi16ELi64ELi256ELb0ELi3EEvPKT_PKT0_S8_ifPKiSA_SA_iPKfiiiPfSD_PS3_PT2_iSC_SC_
; %bb.0:
	s_add_u32 s8, s0, 0x90
	s_addc_u32 s9, s1, 0
	s_getpc_b64 s[0:1]
	s_add_u32 s0, s0, __PRETTY_FUNCTION__._Z38paged_attention_ll4mi_QKV_mfma4_kernelI14__hip_bfloat16S0_LN4vllm18Fp8KVCacheDataTypeE0EhLi16ELi64ELi256ELb0ELi3EEvPKT_PKT0_S8_ifPKiSA_SA_iPKfiiiPfSD_PS3_PT2_iSC_SC_@rel32@lo+4
	s_addc_u32 s1, s1, __PRETTY_FUNCTION__._Z38paged_attention_ll4mi_QKV_mfma4_kernelI14__hip_bfloat16S0_LN4vllm18Fp8KVCacheDataTypeE0EhLi16ELi64ELi256ELb0ELi3EEvPKT_PKT0_S8_ifPKiSA_SA_iPKfiiiPfSD_PS3_PT2_iSC_SC_@rel32@hi+12
	s_delay_alu instid0(SALU_CYCLE_1) | instskip(SKIP_4) | instid1(SALU_CYCLE_1)
	v_dual_mov_b32 v0, s0 :: v_dual_mov_b32 v1, s1
	s_mov_b32 s32, 0
	s_getpc_b64 s[2:3]
	s_add_u32 s2, s2, __assert_fail@rel32@lo+4
	s_addc_u32 s3, s3, __assert_fail@rel32@hi+12
	s_swappc_b64 s[30:31], s[2:3]
	.section	.rodata,"a",@progbits
	.p2align	6, 0x0
	.amdhsa_kernel _Z38paged_attention_ll4mi_QKV_mfma4_kernelI14__hip_bfloat16S0_LN4vllm18Fp8KVCacheDataTypeE0EhLi16ELi64ELi256ELb0ELi3EEvPKT_PKT0_S8_ifPKiSA_SA_iPKfiiiPfSD_PS3_PT2_iSC_SC_
		.amdhsa_group_segment_fixed_size 0
		.amdhsa_private_segment_fixed_size 64
		.amdhsa_kernarg_size 400
		.amdhsa_user_sgpr_count 15
		.amdhsa_user_sgpr_dispatch_ptr 0
		.amdhsa_user_sgpr_queue_ptr 0
		.amdhsa_user_sgpr_kernarg_segment_ptr 1
		.amdhsa_user_sgpr_dispatch_id 0
		.amdhsa_user_sgpr_private_segment_size 0
		.amdhsa_wavefront_size32 1
		.amdhsa_uses_dynamic_stack 0
		.amdhsa_enable_private_segment 1
		.amdhsa_system_sgpr_workgroup_id_x 1
		.amdhsa_system_sgpr_workgroup_id_y 0
		.amdhsa_system_sgpr_workgroup_id_z 0
		.amdhsa_system_sgpr_workgroup_info 0
		.amdhsa_system_vgpr_workitem_id 0
		.amdhsa_next_free_vgpr 41
		.amdhsa_next_free_sgpr 34
		.amdhsa_reserve_vcc 1
		.amdhsa_float_round_mode_32 0
		.amdhsa_float_round_mode_16_64 0
		.amdhsa_float_denorm_mode_32 3
		.amdhsa_float_denorm_mode_16_64 3
		.amdhsa_dx10_clamp 1
		.amdhsa_ieee_mode 1
		.amdhsa_fp16_overflow 0
		.amdhsa_workgroup_processor_mode 1
		.amdhsa_memory_ordered 1
		.amdhsa_forward_progress 0
		.amdhsa_shared_vgpr_count 0
		.amdhsa_exception_fp_ieee_invalid_op 0
		.amdhsa_exception_fp_denorm_src 0
		.amdhsa_exception_fp_ieee_div_zero 0
		.amdhsa_exception_fp_ieee_overflow 0
		.amdhsa_exception_fp_ieee_underflow 0
		.amdhsa_exception_fp_ieee_inexact 0
		.amdhsa_exception_int_div_zero 0
	.end_amdhsa_kernel
	.section	.text._Z38paged_attention_ll4mi_QKV_mfma4_kernelI14__hip_bfloat16S0_LN4vllm18Fp8KVCacheDataTypeE0EhLi16ELi64ELi256ELb0ELi3EEvPKT_PKT0_S8_ifPKiSA_SA_iPKfiiiPfSD_PS3_PT2_iSC_SC_,"axG",@progbits,_Z38paged_attention_ll4mi_QKV_mfma4_kernelI14__hip_bfloat16S0_LN4vllm18Fp8KVCacheDataTypeE0EhLi16ELi64ELi256ELb0ELi3EEvPKT_PKT0_S8_ifPKiSA_SA_iPKfiiiPfSD_PS3_PT2_iSC_SC_,comdat
.Lfunc_end424:
	.size	_Z38paged_attention_ll4mi_QKV_mfma4_kernelI14__hip_bfloat16S0_LN4vllm18Fp8KVCacheDataTypeE0EhLi16ELi64ELi256ELb0ELi3EEvPKT_PKT0_S8_ifPKiSA_SA_iPKfiiiPfSD_PS3_PT2_iSC_SC_, .Lfunc_end424-_Z38paged_attention_ll4mi_QKV_mfma4_kernelI14__hip_bfloat16S0_LN4vllm18Fp8KVCacheDataTypeE0EhLi16ELi64ELi256ELb0ELi3EEvPKT_PKT0_S8_ifPKiSA_SA_iPKfiiiPfSD_PS3_PT2_iSC_SC_
                                        ; -- End function
	.section	.AMDGPU.csdata,"",@progbits
; Kernel info:
; codeLenInByte = 72
; NumSgprs: 36
; NumVgprs: 41
; ScratchSize: 64
; MemoryBound: 0
; FloatMode: 240
; IeeeMode: 1
; LDSByteSize: 0 bytes/workgroup (compile time only)
; SGPRBlocks: 4
; VGPRBlocks: 5
; NumSGPRsForWavesPerEU: 36
; NumVGPRsForWavesPerEU: 41
; Occupancy: 16
; WaveLimiterHint : 1
; COMPUTE_PGM_RSRC2:SCRATCH_EN: 1
; COMPUTE_PGM_RSRC2:USER_SGPR: 15
; COMPUTE_PGM_RSRC2:TRAP_HANDLER: 0
; COMPUTE_PGM_RSRC2:TGID_X_EN: 1
; COMPUTE_PGM_RSRC2:TGID_Y_EN: 0
; COMPUTE_PGM_RSRC2:TGID_Z_EN: 0
; COMPUTE_PGM_RSRC2:TIDIG_COMP_CNT: 0
	.section	.text._Z38paged_attention_ll4mi_QKV_mfma4_kernelI14__hip_bfloat16S0_LN4vllm18Fp8KVCacheDataTypeE0EhLi16ELi64ELi256ELb0ELi4EEvPKT_PKT0_S8_ifPKiSA_SA_iPKfiiiPfSD_PS3_PT2_iSC_SC_,"axG",@progbits,_Z38paged_attention_ll4mi_QKV_mfma4_kernelI14__hip_bfloat16S0_LN4vllm18Fp8KVCacheDataTypeE0EhLi16ELi64ELi256ELb0ELi4EEvPKT_PKT0_S8_ifPKiSA_SA_iPKfiiiPfSD_PS3_PT2_iSC_SC_,comdat
	.protected	_Z38paged_attention_ll4mi_QKV_mfma4_kernelI14__hip_bfloat16S0_LN4vllm18Fp8KVCacheDataTypeE0EhLi16ELi64ELi256ELb0ELi4EEvPKT_PKT0_S8_ifPKiSA_SA_iPKfiiiPfSD_PS3_PT2_iSC_SC_ ; -- Begin function _Z38paged_attention_ll4mi_QKV_mfma4_kernelI14__hip_bfloat16S0_LN4vllm18Fp8KVCacheDataTypeE0EhLi16ELi64ELi256ELb0ELi4EEvPKT_PKT0_S8_ifPKiSA_SA_iPKfiiiPfSD_PS3_PT2_iSC_SC_
	.globl	_Z38paged_attention_ll4mi_QKV_mfma4_kernelI14__hip_bfloat16S0_LN4vllm18Fp8KVCacheDataTypeE0EhLi16ELi64ELi256ELb0ELi4EEvPKT_PKT0_S8_ifPKiSA_SA_iPKfiiiPfSD_PS3_PT2_iSC_SC_
	.p2align	8
	.type	_Z38paged_attention_ll4mi_QKV_mfma4_kernelI14__hip_bfloat16S0_LN4vllm18Fp8KVCacheDataTypeE0EhLi16ELi64ELi256ELb0ELi4EEvPKT_PKT0_S8_ifPKiSA_SA_iPKfiiiPfSD_PS3_PT2_iSC_SC_,@function
_Z38paged_attention_ll4mi_QKV_mfma4_kernelI14__hip_bfloat16S0_LN4vllm18Fp8KVCacheDataTypeE0EhLi16ELi64ELi256ELb0ELi4EEvPKT_PKT0_S8_ifPKiSA_SA_iPKfiiiPfSD_PS3_PT2_iSC_SC_: ; @_Z38paged_attention_ll4mi_QKV_mfma4_kernelI14__hip_bfloat16S0_LN4vllm18Fp8KVCacheDataTypeE0EhLi16ELi64ELi256ELb0ELi4EEvPKT_PKT0_S8_ifPKiSA_SA_iPKfiiiPfSD_PS3_PT2_iSC_SC_
; %bb.0:
	s_add_u32 s8, s0, 0x90
	s_addc_u32 s9, s1, 0
	s_getpc_b64 s[0:1]
	s_add_u32 s0, s0, __PRETTY_FUNCTION__._Z38paged_attention_ll4mi_QKV_mfma4_kernelI14__hip_bfloat16S0_LN4vllm18Fp8KVCacheDataTypeE0EhLi16ELi64ELi256ELb0ELi4EEvPKT_PKT0_S8_ifPKiSA_SA_iPKfiiiPfSD_PS3_PT2_iSC_SC_@rel32@lo+4
	s_addc_u32 s1, s1, __PRETTY_FUNCTION__._Z38paged_attention_ll4mi_QKV_mfma4_kernelI14__hip_bfloat16S0_LN4vllm18Fp8KVCacheDataTypeE0EhLi16ELi64ELi256ELb0ELi4EEvPKT_PKT0_S8_ifPKiSA_SA_iPKfiiiPfSD_PS3_PT2_iSC_SC_@rel32@hi+12
	s_delay_alu instid0(SALU_CYCLE_1) | instskip(SKIP_4) | instid1(SALU_CYCLE_1)
	v_dual_mov_b32 v0, s0 :: v_dual_mov_b32 v1, s1
	s_mov_b32 s32, 0
	s_getpc_b64 s[2:3]
	s_add_u32 s2, s2, __assert_fail@rel32@lo+4
	s_addc_u32 s3, s3, __assert_fail@rel32@hi+12
	s_swappc_b64 s[30:31], s[2:3]
	.section	.rodata,"a",@progbits
	.p2align	6, 0x0
	.amdhsa_kernel _Z38paged_attention_ll4mi_QKV_mfma4_kernelI14__hip_bfloat16S0_LN4vllm18Fp8KVCacheDataTypeE0EhLi16ELi64ELi256ELb0ELi4EEvPKT_PKT0_S8_ifPKiSA_SA_iPKfiiiPfSD_PS3_PT2_iSC_SC_
		.amdhsa_group_segment_fixed_size 0
		.amdhsa_private_segment_fixed_size 64
		.amdhsa_kernarg_size 400
		.amdhsa_user_sgpr_count 15
		.amdhsa_user_sgpr_dispatch_ptr 0
		.amdhsa_user_sgpr_queue_ptr 0
		.amdhsa_user_sgpr_kernarg_segment_ptr 1
		.amdhsa_user_sgpr_dispatch_id 0
		.amdhsa_user_sgpr_private_segment_size 0
		.amdhsa_wavefront_size32 1
		.amdhsa_uses_dynamic_stack 0
		.amdhsa_enable_private_segment 1
		.amdhsa_system_sgpr_workgroup_id_x 1
		.amdhsa_system_sgpr_workgroup_id_y 0
		.amdhsa_system_sgpr_workgroup_id_z 0
		.amdhsa_system_sgpr_workgroup_info 0
		.amdhsa_system_vgpr_workitem_id 0
		.amdhsa_next_free_vgpr 41
		.amdhsa_next_free_sgpr 34
		.amdhsa_reserve_vcc 1
		.amdhsa_float_round_mode_32 0
		.amdhsa_float_round_mode_16_64 0
		.amdhsa_float_denorm_mode_32 3
		.amdhsa_float_denorm_mode_16_64 3
		.amdhsa_dx10_clamp 1
		.amdhsa_ieee_mode 1
		.amdhsa_fp16_overflow 0
		.amdhsa_workgroup_processor_mode 1
		.amdhsa_memory_ordered 1
		.amdhsa_forward_progress 0
		.amdhsa_shared_vgpr_count 0
		.amdhsa_exception_fp_ieee_invalid_op 0
		.amdhsa_exception_fp_denorm_src 0
		.amdhsa_exception_fp_ieee_div_zero 0
		.amdhsa_exception_fp_ieee_overflow 0
		.amdhsa_exception_fp_ieee_underflow 0
		.amdhsa_exception_fp_ieee_inexact 0
		.amdhsa_exception_int_div_zero 0
	.end_amdhsa_kernel
	.section	.text._Z38paged_attention_ll4mi_QKV_mfma4_kernelI14__hip_bfloat16S0_LN4vllm18Fp8KVCacheDataTypeE0EhLi16ELi64ELi256ELb0ELi4EEvPKT_PKT0_S8_ifPKiSA_SA_iPKfiiiPfSD_PS3_PT2_iSC_SC_,"axG",@progbits,_Z38paged_attention_ll4mi_QKV_mfma4_kernelI14__hip_bfloat16S0_LN4vllm18Fp8KVCacheDataTypeE0EhLi16ELi64ELi256ELb0ELi4EEvPKT_PKT0_S8_ifPKiSA_SA_iPKfiiiPfSD_PS3_PT2_iSC_SC_,comdat
.Lfunc_end425:
	.size	_Z38paged_attention_ll4mi_QKV_mfma4_kernelI14__hip_bfloat16S0_LN4vllm18Fp8KVCacheDataTypeE0EhLi16ELi64ELi256ELb0ELi4EEvPKT_PKT0_S8_ifPKiSA_SA_iPKfiiiPfSD_PS3_PT2_iSC_SC_, .Lfunc_end425-_Z38paged_attention_ll4mi_QKV_mfma4_kernelI14__hip_bfloat16S0_LN4vllm18Fp8KVCacheDataTypeE0EhLi16ELi64ELi256ELb0ELi4EEvPKT_PKT0_S8_ifPKiSA_SA_iPKfiiiPfSD_PS3_PT2_iSC_SC_
                                        ; -- End function
	.section	.AMDGPU.csdata,"",@progbits
; Kernel info:
; codeLenInByte = 72
; NumSgprs: 36
; NumVgprs: 41
; ScratchSize: 64
; MemoryBound: 0
; FloatMode: 240
; IeeeMode: 1
; LDSByteSize: 0 bytes/workgroup (compile time only)
; SGPRBlocks: 4
; VGPRBlocks: 5
; NumSGPRsForWavesPerEU: 36
; NumVGPRsForWavesPerEU: 41
; Occupancy: 16
; WaveLimiterHint : 1
; COMPUTE_PGM_RSRC2:SCRATCH_EN: 1
; COMPUTE_PGM_RSRC2:USER_SGPR: 15
; COMPUTE_PGM_RSRC2:TRAP_HANDLER: 0
; COMPUTE_PGM_RSRC2:TGID_X_EN: 1
; COMPUTE_PGM_RSRC2:TGID_Y_EN: 0
; COMPUTE_PGM_RSRC2:TGID_Z_EN: 0
; COMPUTE_PGM_RSRC2:TIDIG_COMP_CNT: 0
	.section	.text._Z39paged_attention_ll4mi_QKV_mfma16_kernelI14__hip_bfloat16S0_LN4vllm18Fp8KVCacheDataTypeE0EhLi16ELi64ELi256ELb0ELi5EL8MFMAType0EEvPKT_PKT0_S9_ifPKiSB_SB_iPKfiiiPfSE_PS4_PT2_iSD_SD_,"axG",@progbits,_Z39paged_attention_ll4mi_QKV_mfma16_kernelI14__hip_bfloat16S0_LN4vllm18Fp8KVCacheDataTypeE0EhLi16ELi64ELi256ELb0ELi5EL8MFMAType0EEvPKT_PKT0_S9_ifPKiSB_SB_iPKfiiiPfSE_PS4_PT2_iSD_SD_,comdat
	.protected	_Z39paged_attention_ll4mi_QKV_mfma16_kernelI14__hip_bfloat16S0_LN4vllm18Fp8KVCacheDataTypeE0EhLi16ELi64ELi256ELb0ELi5EL8MFMAType0EEvPKT_PKT0_S9_ifPKiSB_SB_iPKfiiiPfSE_PS4_PT2_iSD_SD_ ; -- Begin function _Z39paged_attention_ll4mi_QKV_mfma16_kernelI14__hip_bfloat16S0_LN4vllm18Fp8KVCacheDataTypeE0EhLi16ELi64ELi256ELb0ELi5EL8MFMAType0EEvPKT_PKT0_S9_ifPKiSB_SB_iPKfiiiPfSE_PS4_PT2_iSD_SD_
	.globl	_Z39paged_attention_ll4mi_QKV_mfma16_kernelI14__hip_bfloat16S0_LN4vllm18Fp8KVCacheDataTypeE0EhLi16ELi64ELi256ELb0ELi5EL8MFMAType0EEvPKT_PKT0_S9_ifPKiSB_SB_iPKfiiiPfSE_PS4_PT2_iSD_SD_
	.p2align	8
	.type	_Z39paged_attention_ll4mi_QKV_mfma16_kernelI14__hip_bfloat16S0_LN4vllm18Fp8KVCacheDataTypeE0EhLi16ELi64ELi256ELb0ELi5EL8MFMAType0EEvPKT_PKT0_S9_ifPKiSB_SB_iPKfiiiPfSE_PS4_PT2_iSD_SD_,@function
_Z39paged_attention_ll4mi_QKV_mfma16_kernelI14__hip_bfloat16S0_LN4vllm18Fp8KVCacheDataTypeE0EhLi16ELi64ELi256ELb0ELi5EL8MFMAType0EEvPKT_PKT0_S9_ifPKiSB_SB_iPKfiiiPfSE_PS4_PT2_iSD_SD_: ; @_Z39paged_attention_ll4mi_QKV_mfma16_kernelI14__hip_bfloat16S0_LN4vllm18Fp8KVCacheDataTypeE0EhLi16ELi64ELi256ELb0ELi5EL8MFMAType0EEvPKT_PKT0_S9_ifPKiSB_SB_iPKfiiiPfSE_PS4_PT2_iSD_SD_
; %bb.0:
	s_load_b64 s[2:3], s[0:1], 0x30
	s_mov_b32 s34, s13
	s_waitcnt lgkmcnt(0)
	s_cmp_lg_u64 s[2:3], 0
	s_cselect_b32 s8, -1, 0
	s_ashr_i32 s35, s13, 31
	s_cmp_eq_u64 s[2:3], 0
	s_cbranch_scc1 .LBB426_3
; %bb.1:
	s_lshl_b64 s[4:5], s[34:35], 2
	s_delay_alu instid0(SALU_CYCLE_1) | instskip(SKIP_4) | instid1(SALU_CYCLE_1)
	s_add_u32 s4, s2, s4
	s_addc_u32 s5, s3, s5
	s_load_b64 s[4:5], s[4:5], 0x0
	s_waitcnt lgkmcnt(0)
	s_sub_i32 s4, s5, s4
	s_cmp_eq_u32 s4, 1
	s_cselect_b32 s4, -1, 0
	s_delay_alu instid0(SALU_CYCLE_1)
	s_and_not1_b32 vcc_lo, exec_lo, s4
	s_cbranch_vccz .LBB426_4
.LBB426_2:
	s_nop 0
	s_sendmsg sendmsg(MSG_DEALLOC_VGPRS)
	s_endpgm
.LBB426_3:
.LBB426_4:
	s_load_b64 s[4:5], s[0:1], 0x28
	s_lshl_b64 s[6:7], s[34:35], 2
	s_waitcnt lgkmcnt(0)
	s_add_u32 s4, s4, s6
	s_addc_u32 s5, s5, s7
	s_lshl_b32 s33, s14, 8
	s_load_b32 s30, s[4:5], 0x0
	s_waitcnt lgkmcnt(0)
	s_cmp_ge_i32 s33, s30
	s_cbranch_scc1 .LBB426_2
; %bb.5:
	s_clause 0x1
	s_load_b128 s[20:23], s[0:1], 0x8
	s_load_b64 s[4:5], s[0:1], 0x20
	s_and_not1_b32 vcc_lo, exec_lo, s8
	s_cbranch_vccnz .LBB426_7
; %bb.6:
	s_add_u32 s2, s2, s6
	s_addc_u32 s3, s3, s7
	s_load_b32 s3, s[2:3], 0x0
	s_branch .LBB426_8
.LBB426_7:
	s_mov_b32 s3, s34
.LBB426_8:
	s_load_b128 s[16:19], s[0:1], 0x48
	v_lshrrev_b32_e32 v149, 5, v0
	v_bfe_u32 v146, v0, 4, 1
	v_and_b32_e32 v148, 15, v0
	v_and_b32_e32 v150, 31, v0
	v_and_b32_e32 v147, 1, v0
	s_mul_i32 s31, s15, 5
	v_lshl_or_b32 v1, v149, 1, v146
	v_lshlrev_b32_e32 v2, 3, v148
	v_cmp_gt_u32_e64 s2, 8, v148
	s_delay_alu instid0(VALU_DEP_3) | instskip(NEXT) | instid1(VALU_DEP_3)
	v_cmp_gt_u32_e32 vcc_lo, 5, v1
	v_lshlrev_b32_e32 v145, 1, v2
	s_delay_alu instid0(VALU_DEP_3) | instskip(NEXT) | instid1(SALU_CYCLE_1)
	s_and_b32 s7, s2, vcc_lo
	s_and_saveexec_b32 s6, s7
	s_cbranch_execz .LBB426_10
; %bb.9:
	s_load_b64 s[8:9], s[0:1], 0x0
	v_add_lshl_u32 v2, v1, s31, 6
	s_waitcnt lgkmcnt(0)
	s_mul_hi_i32 s11, s3, s16
	s_mul_i32 s10, s3, s16
	v_lshlrev_b32_e32 v6, 10, v148
	s_lshl_b64 s[10:11], s[10:11], 1
	v_ashrrev_i32_e32 v3, 31, v2
	v_lshlrev_b32_e32 v1, 6, v1
	v_lshlrev_b32_e32 v7, 10, v147
	v_and_b32_e32 v6, 0x3800, v6
	s_delay_alu instid0(VALU_DEP_4) | instskip(NEXT) | instid1(VALU_DEP_2)
	v_lshlrev_b64 v[2:3], 1, v[2:3]
	v_or3_b32 v1, v6, v7, v1
	s_add_u32 s3, s8, s10
	s_addc_u32 s7, s9, s11
	s_delay_alu instid0(VALU_DEP_2) | instskip(NEXT) | instid1(VALU_DEP_3)
	v_add_co_u32 v2, vcc_lo, s3, v2
	v_add_co_ci_u32_e32 v3, vcc_lo, s7, v3, vcc_lo
	s_delay_alu instid0(VALU_DEP_2) | instskip(NEXT) | instid1(VALU_DEP_2)
	v_add_co_u32 v2, vcc_lo, v2, v145
	v_add_co_ci_u32_e32 v3, vcc_lo, 0, v3, vcc_lo
	global_load_b128 v[2:5], v[2:3], off
	s_waitcnt vmcnt(0)
	ds_store_b128 v1, v[2:5]
.LBB426_10:
	s_or_b32 exec_lo, exec_lo, s6
	v_and_b32_e32 v1, 0xef, v0
	s_waitcnt lgkmcnt(0)
	s_add_i32 s3, s30, 15
	s_clause 0x1
	s_load_b32 s6, s[0:1], 0x38
	s_load_b32 s35, s[0:1], 0x1c
	s_ashr_i32 s7, s3, 31
	v_add_nc_u32_e32 v1, s33, v1
	s_lshr_b32 s7, s7, 28
	s_waitcnt lgkmcnt(0)
	s_add_i32 s3, s3, s7
	s_barrier
	v_ashrrev_i32_e32 v2, 31, v1
	v_or_b32_e32 v3, 16, v1
	s_ashr_i32 s3, s3, 4
	v_cmp_gt_i32_e32 vcc_lo, s30, v1
	s_add_i32 s3, s3, -1
	v_lshrrev_b32_e32 v2, 28, v2
	buffer_gl0_inv
	v_mul_lo_u16 v21, v148, 52
	v_lshlrev_b32_e32 v22, 5, v148
	v_add_nc_u32_e32 v4, v1, v2
	s_mul_i32 s6, s34, s6
	s_delay_alu instid0(VALU_DEP_3) | instskip(SKIP_1) | instid1(VALU_DEP_2)
	v_lshrrev_b16 v21, 8, v21
	s_ashr_i32 s7, s6, 31
	v_ashrrev_i32_e32 v4, 4, v4
	v_add_nc_u32_e32 v2, v3, v2
	s_lshl_b64 s[6:7], s[6:7], 2
	v_mul_lo_u16 v21, v21, 5
	s_add_u32 s16, s4, s6
	v_cndmask_b32_e32 v1, s3, v4, vcc_lo
	v_ashrrev_i32_e32 v2, 4, v2
	v_cmp_gt_i32_e32 vcc_lo, s30, v3
	s_addc_u32 s36, s5, s7
	s_mul_i32 s4, s15, s18
	v_sub_nc_u16 v21, v148, v21
	s_ashr_i32 s5, s4, 31
	v_cndmask_b32_e32 v3, s3, v2, vcc_lo
	v_ashrrev_i32_e32 v2, 31, v1
	s_lshl_b64 s[12:13], s[4:5], 1
	v_and_b32_e32 v21, 0xff, v21
	s_add_u32 s26, s20, s12
	v_ashrrev_i32_e32 v4, 31, v3
	v_lshlrev_b64 v[1:2], 2, v[1:2]
	s_addc_u32 s27, s21, s13
	s_lshl_b32 s4, s14, 4
	v_lshlrev_b32_e32 v197, 6, v21
	v_lshlrev_b64 v[3:4], 2, v[3:4]
	s_ashr_i32 s5, s4, 31
	v_add_co_u32 v1, vcc_lo, s16, v1
	v_add_co_ci_u32_e32 v2, vcc_lo, s36, v2, vcc_lo
	s_delay_alu instid0(VALU_DEP_3) | instskip(NEXT) | instid1(VALU_DEP_4)
	v_add_co_u32 v3, vcc_lo, s16, v3
	v_add_co_ci_u32_e32 v4, vcc_lo, s36, v4, vcc_lo
	s_clause 0x1
	global_load_b32 v5, v[1:2], off
	global_load_b32 v6, v[3:4], off
	s_lshl_b64 s[4:5], s[4:5], 2
	v_lshlrev_b32_e32 v3, 4, v0
	s_add_u32 s4, s16, s4
	s_addc_u32 s5, s36, s5
	s_or_b32 s6, s33, 16
	v_lshl_or_b32 v22, v149, 9, v22
	s_ashr_i32 s7, s6, 4
	s_cmp_lt_i32 s6, s30
	s_cselect_b32 s6, s7, s3
	s_delay_alu instid0(SALU_CYCLE_1) | instskip(NEXT) | instid1(SALU_CYCLE_1)
	s_ashr_i32 s7, s6, 31
	s_lshl_b64 s[6:7], s[6:7], 2
	s_delay_alu instid0(SALU_CYCLE_1) | instskip(SKIP_2) | instid1(SALU_CYCLE_1)
	s_add_u32 s6, s16, s6
	s_addc_u32 s7, s36, s7
	s_or_b32 s8, s33, 32
	s_ashr_i32 s9, s8, 4
	s_cmp_lt_i32 s8, s30
	s_cselect_b32 s8, s9, s3
	s_delay_alu instid0(SALU_CYCLE_1) | instskip(NEXT) | instid1(SALU_CYCLE_1)
	s_ashr_i32 s9, s8, 31
	s_lshl_b64 s[8:9], s[8:9], 2
	s_delay_alu instid0(SALU_CYCLE_1) | instskip(SKIP_2) | instid1(SALU_CYCLE_1)
	s_add_u32 s8, s16, s8
	s_addc_u32 s9, s36, s9
	s_or_b32 s10, s33, 48
	;; [unrolled: 10-line block ×4, first 2 shown]
	s_ashr_i32 s18, s15, 4
	s_cmp_lt_i32 s15, s30
	s_cselect_b32 s18, s18, s3
	s_delay_alu instid0(SALU_CYCLE_1) | instskip(NEXT) | instid1(SALU_CYCLE_1)
	s_ashr_i32 s19, s18, 31
	s_lshl_b64 s[18:19], s[18:19], 2
	s_delay_alu instid0(SALU_CYCLE_1)
	s_add_u32 s24, s16, s18
	s_addc_u32 s25, s36, s19
	s_clause 0x5
	s_load_b32 s37, s[4:5], 0x0
	s_load_b32 s29, s[6:7], 0x0
	;; [unrolled: 1-line block ×6, first 2 shown]
	s_waitcnt vmcnt(1)
	v_mad_i64_i32 v[1:2], null, v5, s17, 0
	v_and_b32_e32 v5, 0xf0, v3
	s_waitcnt vmcnt(0)
	v_mad_i64_i32 v[3:4], null, v6, s17, 0
	s_delay_alu instid0(VALU_DEP_2) | instskip(NEXT) | instid1(VALU_DEP_4)
	v_add_co_u32 v5, s4, s26, v5
	v_lshlrev_b64 v[1:2], 1, v[1:2]
	v_add_co_ci_u32_e64 v6, null, s27, 0, s4
	s_delay_alu instid0(VALU_DEP_4) | instskip(SKIP_1) | instid1(VALU_DEP_3)
	v_lshlrev_b64 v[3:4], 1, v[3:4]
	s_or_b32 s4, s33, 0x60
	v_add_co_u32 v19, vcc_lo, v5, v1
	s_delay_alu instid0(VALU_DEP_3) | instskip(NEXT) | instid1(VALU_DEP_3)
	v_add_co_ci_u32_e32 v20, vcc_lo, v6, v2, vcc_lo
	v_add_co_u32 v17, vcc_lo, v5, v3
	s_delay_alu instid0(VALU_DEP_4)
	v_add_co_ci_u32_e32 v18, vcc_lo, v6, v4, vcc_lo
	s_clause 0xb
	global_load_b128 v[1:4], v[19:20], off
	global_load_b128 v[5:8], v[19:20], off offset:256
	global_load_b128 v[129:132], v[17:18], off
	global_load_b128 v[133:136], v[17:18], off offset:256
	global_load_b128 v[33:36], v[19:20], off offset:512
	;; [unrolled: 1-line block ×9, first 2 shown]
	ds_load_b128 v[159:162], v197
	ds_load_b128 v[163:166], v197 offset:1024
	s_clause 0x3
	global_load_b128 v[167:170], v[19:20], off offset:1536
	global_load_b128 v[171:174], v[19:20], off offset:1792
	;; [unrolled: 1-line block ×4, first 2 shown]
	s_ashr_i32 s5, s4, 4
	s_cmp_lt_i32 s4, s30
	s_cselect_b32 s4, s5, s3
	s_delay_alu instid0(SALU_CYCLE_1) | instskip(NEXT) | instid1(SALU_CYCLE_1)
	s_ashr_i32 s5, s4, 31
	s_lshl_b64 s[4:5], s[4:5], 2
	s_delay_alu instid0(SALU_CYCLE_1) | instskip(SKIP_2) | instid1(SALU_CYCLE_1)
	s_add_u32 s20, s16, s4
	s_addc_u32 s21, s36, s5
	s_or_b32 s4, s33, 0x70
	s_ashr_i32 s5, s4, 4
	s_cmp_lt_i32 s4, s30
	s_cselect_b32 s4, s5, s3
	s_delay_alu instid0(SALU_CYCLE_1) | instskip(NEXT) | instid1(SALU_CYCLE_1)
	s_ashr_i32 s5, s4, 31
	s_lshl_b64 s[6:7], s[4:5], 2
	s_mov_b32 s4, 0
	s_add_u32 s24, s16, s6
	s_addc_u32 s25, s36, s7
	s_or_b32 s5, s33, 0x80
	s_mov_b32 s11, s4
	s_ashr_i32 s6, s5, 4
	s_cmp_lt_i32 s5, s30
	s_mov_b32 s5, s4
	s_cselect_b32 s8, s6, s3
	s_mov_b32 s6, s4
	s_ashr_i32 s9, s8, 31
	s_mov_b32 s7, s4
	s_lshl_b64 s[8:9], s[8:9], 2
	s_load_b32 s46, s[24:25], 0x0
	s_add_u32 s26, s16, s8
	s_addc_u32 s27, s36, s9
	s_or_b32 s9, s33, 0x90
	s_load_b32 s47, s[26:27], 0x0
	s_ashr_i32 s10, s9, 4
	s_cmp_lt_i32 s9, s30
	s_mov_b32 s8, s4
	s_cselect_b32 s38, s10, s3
	s_mov_b32 s9, s4
	s_ashr_i32 s39, s38, 31
	s_mov_b32 s10, s4
	s_lshl_b64 s[38:39], s[38:39], 2
	v_mov_b32_e32 v144, s11
	s_add_u32 s38, s16, s38
	s_addc_u32 s39, s36, s39
	s_or_b32 s40, s33, 0xa0
	v_mov_b32_e32 v143, s10
	s_ashr_i32 s41, s40, 4
	s_cmp_lt_i32 s40, s30
	v_mov_b32_e32 v142, s9
	s_cselect_b32 s40, s41, s3
	v_mov_b32_e32 v141, s8
	s_ashr_i32 s41, s40, 31
	v_dual_mov_b32 v140, s7 :: v_dual_mov_b32 v139, s6
	v_dual_mov_b32 v138, s5 :: v_dual_mov_b32 v137, s4
	s_lshl_b64 s[4:5], s[40:41], 2
	s_waitcnt lgkmcnt(0)
	s_mul_hi_i32 s7, s29, s17
	s_add_u32 s42, s16, s4
	s_addc_u32 s43, s36, s5
	s_or_b32 s4, s33, 0xb0
	s_mul_hi_i32 s5, s37, s17
	s_ashr_i32 s6, s4, 4
	s_cmp_lt_i32 s4, s30
	s_mul_i32 s4, s37, s17
	s_cselect_b32 s8, s6, s3
	s_mul_i32 s6, s29, s17
	s_ashr_i32 s9, s8, 31
	s_load_b32 s41, s[20:21], 0x0
	s_lshl_b64 s[8:9], s[8:9], 2
	s_load_b32 s40, s[38:39], 0x0
	s_add_u32 s44, s16, s8
	s_addc_u32 s45, s36, s9
	s_or_b32 s8, s33, 0xc0
	s_mul_hi_i32 s9, s28, s17
	s_ashr_i32 s10, s8, 4
	s_cmp_lt_i32 s8, s30
	s_mul_i32 s8, s28, s17
	s_cselect_b32 s28, s10, s3
	s_load_b32 s39, s[42:43], 0x0
	s_ashr_i32 s29, s28, 31
	s_mul_hi_i32 s21, s15, s17
	s_lshl_b64 s[28:29], s[28:29], 2
	s_mul_hi_i32 s27, s46, s17
	s_add_u32 s28, s16, s28
	s_addc_u32 s29, s36, s29
	s_or_b32 s37, s33, 0xd0
	s_mul_i32 s26, s46, s17
	s_ashr_i32 s20, s37, 4
	s_cmp_lt_i32 s37, s30
	s_mul_hi_i32 s11, s19, s17
	s_cselect_b32 s24, s20, s3
	s_mul_i32 s20, s15, s17
	s_ashr_i32 s25, s24, 31
	s_mul_i32 s10, s19, s17
	s_lshl_b64 s[24:25], s[24:25], 2
	s_mul_hi_i32 s19, s18, s17
	s_add_u32 s24, s16, s24
	s_addc_u32 s25, s36, s25
	s_or_b32 s42, s33, 0xe0
	s_clause 0x2
	s_load_b32 s38, s[44:45], 0x0
	s_load_b32 s37, s[28:29], 0x0
	;; [unrolled: 1-line block ×3, first 2 shown]
	s_ashr_i32 s43, s42, 4
	s_cmp_lt_i32 s42, s30
	s_mul_hi_i32 s29, s47, s17
	s_cselect_b32 s42, s43, s3
	s_mul_i32 s28, s47, s17
	s_ashr_i32 s43, s42, 31
	s_mul_i32 s18, s18, s17
	s_lshl_b64 s[42:43], s[42:43], 2
	s_waitcnt lgkmcnt(0)
	s_mul_hi_i32 s25, s41, s17
	s_add_u32 s42, s16, s42
	s_addc_u32 s43, s36, s43
	s_or_b32 s46, s33, 0xf0
	s_mul_i32 s24, s41, s17
	s_ashr_i32 s47, s46, 4
	s_cmp_lt_i32 s46, s30
	s_mul_hi_i32 s41, s40, s17
	s_cselect_b32 s46, s47, s3
	s_mul_i32 s40, s40, s17
	s_ashr_i32 s47, s46, 31
	s_mul_hi_i32 s51, s15, s17
	s_lshl_b64 s[46:47], s[46:47], 2
	s_mul_i32 s50, s15, s17
	s_add_u32 s46, s16, s46
	s_addc_u32 s47, s36, s47
	s_add_u32 s3, s22, s12
	s_addc_u32 s15, s23, s13
	v_add_co_u32 v195, s3, s3, v22
	s_delay_alu instid0(VALU_DEP_1) | instskip(SKIP_2) | instid1(VALU_DEP_2)
	v_add_co_ci_u32_e64 v196, null, s15, 0, s3
	s_lshl_b64 s[4:5], s[4:5], 1
	s_lshl_b64 s[6:7], s[6:7], 1
	v_add_co_u32 v17, vcc_lo, v195, s4
	s_delay_alu instid0(VALU_DEP_2)
	v_add_co_ci_u32_e32 v18, vcc_lo, s5, v196, vcc_lo
	v_add_co_u32 v19, vcc_lo, v195, s6
	s_lshl_b64 s[8:9], s[8:9], 1
	v_add_co_ci_u32_e32 v20, vcc_lo, s7, v196, vcc_lo
	v_add_co_u32 v21, vcc_lo, v195, s8
	s_lshl_b64 s[10:11], s[10:11], 1
	;; [unrolled: 3-line block ×8, first 2 shown]
	s_mul_hi_i32 s45, s39, s17
	s_mul_i32 s44, s39, s17
	v_add_co_ci_u32_e32 v50, vcc_lo, s25, v196, vcc_lo
	v_add_co_u32 v53, vcc_lo, v195, s26
	s_lshl_b64 s[28:29], s[44:45], 1
	s_mul_hi_i32 s39, s38, s17
	s_mul_i32 s38, s38, s17
	v_add_co_ci_u32_e32 v54, vcc_lo, s27, v196, vcc_lo
	v_add_co_u32 v183, vcc_lo, v195, s28
	s_mul_hi_i32 s49, s37, s17
	s_mul_i32 s48, s37, s17
	s_lshl_b64 s[36:37], s[38:39], 1
	v_add_co_ci_u32_e32 v184, vcc_lo, s29, v196, vcc_lo
	v_add_co_u32 v185, vcc_lo, v195, s36
	s_lshl_b64 s[38:39], s[48:49], 1
	s_clause 0x1
	s_load_b32 s3, s[42:43], 0x0
	s_load_b32 s15, s[46:47], 0x0
	v_add_co_ci_u32_e32 v186, vcc_lo, s37, v196, vcc_lo
	v_add_co_u32 v191, vcc_lo, v195, s38
	v_add_co_ci_u32_e32 v192, vcc_lo, s39, v196, vcc_lo
	s_clause 0x17
	global_load_b128 v[121:124], v[17:18], off
	global_load_b128 v[125:128], v[17:18], off offset:16
	global_load_b128 v[113:116], v[19:20], off
	global_load_b128 v[117:120], v[19:20], off offset:16
	;; [unrolled: 2-line block ×12, first 2 shown]
	s_lshl_b64 s[40:41], s[50:51], 1
	s_delay_alu instid0(SALU_CYCLE_1)
	v_add_co_u32 v193, vcc_lo, v195, s40
	v_add_co_ci_u32_e32 v194, vcc_lo, s41, v196, vcc_lo
	s_waitcnt lgkmcnt(0)
	s_mul_hi_i32 s5, s3, s17
	s_mul_i32 s4, s3, s17
	s_mul_hi_i32 s7, s15, s17
	s_lshl_b64 s[4:5], s[4:5], 1
	s_mul_i32 s6, s15, s17
	s_waitcnt vmcnt(38)
	v_wmma_f32_16x16x16_bf16 v[183:190], v[1:8], v[159:166], v[137:144]
	s_waitcnt vmcnt(36)
	v_wmma_f32_16x16x16_bf16 v[137:144], v[129:136], v[159:166], v[137:144]
	s_clause 0x1
	global_load_b128 v[1:4], v[191:192], off
	global_load_b128 v[5:8], v[191:192], off offset:16
	ds_load_b128 v[129:132], v197 offset:2048
	ds_load_b128 v[133:136], v197 offset:3072
	;; [unrolled: 1-line block ×4, first 2 shown]
	v_add_co_u32 v191, vcc_lo, v195, s4
	v_add_co_ci_u32_e32 v192, vcc_lo, s5, v196, vcc_lo
	s_lshl_b64 s[4:5], s[6:7], 1
	s_delay_alu instid0(SALU_CYCLE_1)
	v_add_co_u32 v195, vcc_lo, v195, s4
	v_add_co_ci_u32_e32 v196, vcc_lo, s5, v196, vcc_lo
	s_waitcnt vmcnt(36) lgkmcnt(2)
	v_wmma_f32_16x16x16_bf16 v[183:190], v[33:40], v[129:136], v[183:190]
	s_waitcnt vmcnt(34)
	v_wmma_f32_16x16x16_bf16 v[137:144], v[25:32], v[129:136], v[137:144]
	s_clause 0x3
	global_load_b128 v[25:28], v[193:194], off
	global_load_b128 v[29:32], v[193:194], off offset:16
	global_load_b128 v[33:36], v[191:192], off
	global_load_b128 v[37:40], v[191:192], off offset:16
	v_and_b32_e32 v129, 0xe0, v0
	v_mbcnt_lo_u32_b32 v191, -1, 0
	s_waitcnt vmcnt(36) lgkmcnt(0)
	v_wmma_f32_16x16x16_bf16 v[183:190], v[9:16], v[159:166], v[183:190]
	s_clause 0x1
	global_load_b128 v[9:12], v[195:196], off
	global_load_b128 v[13:16], v[195:196], off offset:16
	s_waitcnt vmcnt(36)
	v_wmma_f32_16x16x16_bf16 v[137:144], v[151:158], v[159:166], v[137:144]
	v_add_nc_u32_e32 v192, s33, v129
	ds_load_b128 v[129:132], v197 offset:6144
	ds_load_b128 v[133:136], v197 offset:7168
	v_xor_b32_e32 v151, 16, v191
	s_waitcnt vmcnt(0) lgkmcnt(0)
	s_barrier
	v_or_b32_e32 v152, v192, v146
	buffer_gl0_inv
	v_cmp_gt_i32_e32 vcc_lo, 32, v151
	v_or_b32_e32 v153, 2, v152
	v_or_b32_e32 v154, 4, v152
	;; [unrolled: 1-line block ×5, first 2 shown]
	v_cmp_gt_i32_e64 s3, s30, v153
	v_or_b32_e32 v158, 12, v152
	v_cmp_gt_i32_e64 s4, s30, v154
	v_cmp_gt_i32_e64 s5, s30, v155
	v_or_b32_e32 v159, 14, v152
	v_cmp_gt_i32_e64 s6, s30, v156
	v_wmma_f32_16x16x16_bf16 v[183:190], v[167:174], v[129:136], v[183:190]
	v_wmma_f32_16x16x16_bf16 v[137:144], v[175:182], v[129:136], v[137:144]
	v_cndmask_b32_e32 v151, v191, v151, vcc_lo
	v_cmp_gt_i32_e32 vcc_lo, s30, v152
	v_cmp_gt_i32_e64 s7, s30, v157
	v_dual_mul_f32 v135, s35, v184 :: v_dual_mul_f32 v136, s35, v183
	v_mul_f32_e32 v134, s35, v185
	v_dual_mul_f32 v168, s35, v144 :: v_dual_mul_f32 v133, s35, v186
	s_delay_alu instid0(VALU_DEP_3) | instskip(NEXT) | instid1(VALU_DEP_4)
	v_cndmask_b32_e64 v135, 0xff7fffff, v135, s3
	v_cndmask_b32_e32 v136, 0xff7fffff, v136, vcc_lo
	v_dual_mul_f32 v131, s35, v188 :: v_dual_mul_f32 v174, s35, v138
	v_mul_f32_e32 v132, s35, v187
	v_cndmask_b32_e64 v134, 0xff7fffff, v134, s4
	s_delay_alu instid0(VALU_DEP_4)
	v_max3_f32 v135, v136, 0xff7fffff, v135
	v_cmp_gt_i32_e64 s8, s30, v158
	v_lshlrev_b32_e32 v158, 2, v151
	v_cndmask_b32_e64 v133, 0xff7fffff, v133, s5
	v_or_b32_e32 v160, 16, v152
	v_or_b32_e32 v161, 18, v152
	v_dual_mul_f32 v129, s35, v190 :: v_dual_mul_f32 v172, s35, v140
	v_mul_f32_e32 v130, s35, v189
	v_cndmask_b32_e64 v132, 0xff7fffff, v132, s6
	v_cndmask_b32_e64 v131, 0xff7fffff, v131, s7
	v_max3_f32 v133, v135, v134, v133
	v_cmp_gt_i32_e64 s9, s30, v159
	v_or_b32_e32 v162, 20, v152
	v_or_b32_e32 v163, 22, v152
	v_mul_f32_e32 v175, s35, v137
	v_cndmask_b32_e64 v130, 0xff7fffff, v130, s8
	v_cndmask_b32_e64 v129, 0xff7fffff, v129, s9
	v_max3_f32 v131, v133, v132, v131
	v_cmp_gt_i32_e64 s10, s30, v160
	v_cmp_gt_i32_e64 s11, s30, v161
	v_or_b32_e32 v164, 24, v152
	v_or_b32_e32 v165, 26, v152
	v_mul_f32_e32 v173, s35, v139
	v_cndmask_b32_e64 v132, 0xff7fffff, v175, s10
	v_cndmask_b32_e64 v133, 0xff7fffff, v174, s11
	v_max3_f32 v129, v131, v130, v129
	v_cmp_gt_i32_e64 s12, s30, v162
	v_cmp_gt_i32_e64 s13, s30, v163
	v_or_b32_e32 v166, 28, v152
	v_or_b32_e32 v167, 30, v152
	v_dual_mul_f32 v170, s35, v142 :: v_dual_mul_f32 v171, s35, v141
	v_cndmask_b32_e64 v130, 0xff7fffff, v173, s12
	v_cndmask_b32_e64 v131, 0xff7fffff, v172, s13
	v_max3_f32 v129, v129, v132, v133
	v_cmp_gt_i32_e64 s15, s30, v164
	v_cmp_gt_i32_e64 s16, s30, v165
	v_mul_f32_e32 v169, s35, v143
	v_cmp_gt_i32_e64 s17, s30, v166
	v_max3_f32 v129, v129, v130, v131
	v_cndmask_b32_e64 v132, 0xff7fffff, v171, s15
	v_cndmask_b32_e64 v133, 0xff7fffff, v170, s16
	v_cmp_gt_i32_e64 s18, s30, v167
	v_cndmask_b32_e64 v130, 0xff7fffff, v169, s17
	s_delay_alu instid0(VALU_DEP_3) | instskip(NEXT) | instid1(VALU_DEP_3)
	v_max3_f32 v129, v129, v132, v133
	v_cndmask_b32_e64 v131, 0xff7fffff, v168, s18
	s_delay_alu instid0(VALU_DEP_1) | instskip(SKIP_3) | instid1(VALU_DEP_1)
	v_max3_f32 v129, v129, v130, v131
	ds_bpermute_b32 v130, v158, v129
	s_waitcnt lgkmcnt(0)
	v_max_f32_e32 v130, v130, v130
	v_max_f32_e32 v129, v129, v130
	s_delay_alu instid0(VALU_DEP_1)
	v_fma_f32 v130, s35, v183, -v129
	v_fma_f32 v132, s35, v185, -v129
	;; [unrolled: 1-line block ×5, first 2 shown]
	v_mul_f32_e32 v130, 0x3fb8aa3b, v130
	v_mul_f32_e32 v132, 0x3fb8aa3b, v132
	v_fma_f32 v135, s35, v189, -v129
	v_mul_f32_e32 v134, 0x3fb8aa3b, v134
	s_delay_alu instid0(VALU_DEP_4) | instskip(NEXT) | instid1(VALU_DEP_3)
	v_exp_f32_e32 v130, v130
	v_exp_f32_e32 v132, v132
	s_delay_alu instid0(VALU_DEP_1) | instskip(NEXT) | instid1(TRANS32_DEP_3)
	v_exp_f32_e32 v134, v134
	v_cndmask_b32_e32 v152, 0, v130, vcc_lo
	v_fma_f32 v130, s35, v188, -v129
	v_mul_f32_e32 v131, 0x3fb8aa3b, v131
	s_waitcnt_depctr 0xfff
	v_cndmask_b32_e64 v153, 0, v132, s4
	v_fma_f32 v132, s35, v190, -v129
	v_dual_mul_f32 v133, 0x3fb8aa3b, v133 :: v_dual_mul_f32 v130, 0x3fb8aa3b, v130
	v_exp_f32_e32 v131, v131
	v_cndmask_b32_e64 v155, 0, v134, s6
	s_delay_alu instid0(VALU_DEP_3) | instskip(NEXT) | instid1(VALU_DEP_3)
	v_mul_f32_e32 v132, 0x3fb8aa3b, v132
	v_exp_f32_e32 v133, v133
	v_exp_f32_e32 v130, v130
	v_fma_f32 v134, s35, v138, -v129
	s_delay_alu instid0(VALU_DEP_2) | instskip(SKIP_1) | instid1(VALU_DEP_2)
	v_exp_f32_e32 v132, v132
	v_cndmask_b32_e64 v151, 0, v131, s3
	v_dual_add_f32 v131, 0, v152 :: v_dual_mul_f32 v134, 0x3fb8aa3b, v134
	s_delay_alu instid0(TRANS32_DEP_3)
	v_cndmask_b32_e64 v154, 0, v133, s5
	s_waitcnt_depctr 0xfff
	v_cndmask_b32_e64 v156, 0, v130, s7
	v_fma_f32 v133, s35, v137, -v129
	v_add_f32_e32 v131, v131, v151
	v_exp_f32_e32 v134, v134
	v_cmp_gt_u32_e64 s3, 16, v150
	s_delay_alu instid0(VALU_DEP_2) | instskip(NEXT) | instid1(VALU_DEP_1)
	v_add_f32_e32 v131, v131, v153
	v_add_f32_e32 v131, v131, v154
	s_delay_alu instid0(VALU_DEP_1) | instskip(SKIP_1) | instid1(VALU_DEP_2)
	v_dual_mul_f32 v133, 0x3fb8aa3b, v133 :: v_dual_add_f32 v130, v131, v155
	v_fma_f32 v131, s35, v139, -v129
	v_exp_f32_e32 v133, v133
	v_fma_f32 v139, s35, v144, -v129
	s_delay_alu instid0(VALU_DEP_3) | instskip(NEXT) | instid1(VALU_DEP_1)
	v_dual_add_f32 v130, v130, v156 :: v_dual_mul_f32 v135, 0x3fb8aa3b, v135
	v_exp_f32_e32 v135, v135
	s_waitcnt_depctr 0xfff
	v_cndmask_b32_e64 v157, 0, v135, s8
	v_fma_f32 v135, s35, v140, -v129
	v_cndmask_b32_e64 v140, 0, v132, s9
	v_fma_f32 v132, s35, v141, -v129
	s_delay_alu instid0(VALU_DEP_4) | instskip(NEXT) | instid1(VALU_DEP_1)
	v_add_f32_e32 v130, v130, v157
	v_add_f32_e32 v130, v130, v140
	s_delay_alu instid0(VALU_DEP_3) | instskip(SKIP_4) | instid1(VALU_DEP_3)
	v_mul_f32_e32 v137, 0x3fb8aa3b, v132
	v_cndmask_b32_e64 v132, 0, v134, s11
	v_mul_f32_e32 v131, 0x3fb8aa3b, v131
	v_fma_f32 v134, s35, v143, -v129
	v_mul_f32_e32 v135, 0x3fb8aa3b, v135
	v_exp_f32_e32 v136, v131
	v_cndmask_b32_e64 v131, 0, v133, s10
	v_fma_f32 v133, s35, v142, -v129
	s_delay_alu instid0(VALU_DEP_2) | instskip(NEXT) | instid1(VALU_DEP_2)
	v_add_f32_e32 v130, v130, v131
	v_mul_f32_e32 v138, 0x3fb8aa3b, v133
	v_exp_f32_e32 v137, v137
	s_waitcnt_depctr 0xfff
	v_cndmask_b32_e64 v133, 0, v136, s12
	v_mul_f32_e32 v136, 0x3fb8aa3b, v134
	v_exp_f32_e32 v135, v135
	v_add_f32_e32 v130, v130, v132
	v_exp_f32_e32 v138, v138
	s_delay_alu instid0(VALU_DEP_2) | instskip(NEXT) | instid1(VALU_DEP_1)
	v_exp_f32_e32 v141, v136
	v_add_f32_e32 v130, v130, v133
	s_delay_alu instid0(TRANS32_DEP_3)
	v_cndmask_b32_e64 v134, 0, v135, s13
	v_cndmask_b32_e64 v135, 0, v137, s15
	v_mul_f32_e32 v137, 0x3fb8aa3b, v139
	s_waitcnt_depctr 0xfff
	v_cndmask_b32_e64 v136, 0, v138, s16
	v_add_f32_e32 v130, v130, v134
	v_exp_f32_e32 v138, v137
	v_cndmask_b32_e64 v137, 0, v141, s17
	s_delay_alu instid0(VALU_DEP_2) | instskip(NEXT) | instid1(VALU_DEP_1)
	v_add_f32_e32 v130, v130, v135
	v_add_f32_e32 v130, v130, v136
	s_waitcnt_depctr 0xfff
	v_cndmask_b32_e64 v138, 0, v138, s18
	v_add_f32_e32 v130, v130, v137
	s_delay_alu instid0(VALU_DEP_1)
	v_add_f32_e32 v130, v130, v138
	ds_bpermute_b32 v139, v158, v130
	s_and_saveexec_b32 s4, s3
	s_cbranch_execz .LBB426_12
; %bb.11:
	v_mul_u32_u24_e32 v141, 0x44, v149
	s_delay_alu instid0(VALU_DEP_1) | instskip(SKIP_1) | instid1(VALU_DEP_1)
	v_lshl_add_u32 v141, v148, 2, v141
	s_waitcnt lgkmcnt(0)
	v_dual_add_f32 v130, v130, v139 :: v_dual_add_nc_u32 v139, 0x4000, v141
	ds_store_2addr_b32 v139, v129, v130 offset1:136
.LBB426_12:
	s_or_b32 exec_lo, exec_lo, s4
	v_lshlrev_b32_e32 v129, 2, v148
	s_waitcnt lgkmcnt(0)
	s_barrier
	buffer_gl0_inv
	v_cmp_eq_u32_e64 s4, 1, v149
	v_add_nc_u32_e32 v139, 0x4000, v129
	ds_load_2addr_b32 v[141:142], v139 offset1:17
	ds_load_2addr_b32 v[143:144], v139 offset0:34 offset1:51
	ds_load_2addr_b32 v[158:159], v139 offset0:68 offset1:85
	;; [unrolled: 1-line block ×4, first 2 shown]
	s_waitcnt lgkmcnt(4)
	v_max3_f32 v129, v141, 0xff7fffff, v142
	s_waitcnt lgkmcnt(3)
	s_delay_alu instid0(VALU_DEP_1) | instskip(SKIP_1) | instid1(VALU_DEP_1)
	v_max3_f32 v129, v129, v143, v144
	s_waitcnt lgkmcnt(2)
	v_max3_f32 v129, v129, v158, v159
	s_waitcnt lgkmcnt(1)
	s_delay_alu instid0(VALU_DEP_1) | instskip(NEXT) | instid1(VALU_DEP_1)
	v_max3_f32 v129, v129, v160, v161
	v_sub_f32_e32 v158, v158, v129
	s_delay_alu instid0(VALU_DEP_1) | instskip(NEXT) | instid1(VALU_DEP_1)
	v_dual_sub_f32 v150, v142, v129 :: v_dual_mul_f32 v167, 0x3fb8aa3b, v158
	v_dual_sub_f32 v143, v143, v129 :: v_dual_mul_f32 v150, 0x3fb8aa3b, v150
	s_delay_alu instid0(VALU_DEP_1) | instskip(NEXT) | instid1(VALU_DEP_2)
	v_dual_sub_f32 v130, v141, v129 :: v_dual_mul_f32 v165, 0x3fb8aa3b, v143
	v_exp_f32_e32 v150, v150
	s_delay_alu instid0(VALU_DEP_1) | instskip(NEXT) | instid1(VALU_DEP_2)
	v_mul_f32_e32 v130, 0x3fb8aa3b, v130
	v_exp_f32_e32 v165, v165
	s_delay_alu instid0(VALU_DEP_1) | instskip(SKIP_1) | instid1(VALU_DEP_1)
	v_exp_f32_e32 v164, v130
	v_sub_f32_e32 v130, v144, v129
	v_mul_f32_e32 v166, 0x3fb8aa3b, v130
	s_waitcnt lgkmcnt(0)
	s_waitcnt_depctr 0xfff
	v_fma_f32 v130, v164, v162, 0
	v_sub_f32_e32 v162, v159, v129
	s_delay_alu instid0(VALU_DEP_2)
	v_fmac_f32_e32 v130, v150, v163
	ds_load_2addr_b32 v[141:142], v139 offset0:170 offset1:187
	ds_load_2addr_b32 v[143:144], v139 offset0:204 offset1:221
	;; [unrolled: 1-line block ×3, first 2 shown]
	v_sub_f32_e32 v139, v160, v129
	v_exp_f32_e32 v166, v166
	v_mul_f32_e32 v160, 0x3fb8aa3b, v162
	v_exp_f32_e32 v162, v167
	v_cndmask_b32_e64 v150, v164, v150, s4
	v_mul_f32_e32 v139, 0x3fb8aa3b, v139
	v_cmp_eq_u32_e64 s4, 2, v149
	s_waitcnt lgkmcnt(0)
	s_barrier
	buffer_gl0_inv
	v_exp_f32_e32 v139, v139
	v_cndmask_b32_e64 v150, v150, v165, s4
	v_cmp_eq_u32_e64 s4, 3, v149
	v_fmac_f32_e32 v130, v165, v141
	v_sub_f32_e32 v141, v161, v129
	v_exp_f32_e32 v160, v160
	s_delay_alu instid0(VALU_DEP_3) | instskip(SKIP_1) | instid1(VALU_DEP_3)
	v_cndmask_b32_e64 v150, v150, v166, s4
	v_cmp_eq_u32_e64 s4, 4, v149
	v_dual_fmac_f32 v130, v166, v142 :: v_dual_mul_f32 v141, 0x3fb8aa3b, v141
	s_delay_alu instid0(VALU_DEP_2) | instskip(SKIP_1) | instid1(VALU_DEP_3)
	v_cndmask_b32_e64 v150, v150, v162, s4
	v_cmp_eq_u32_e64 s4, 5, v149
	v_exp_f32_e32 v141, v141
	s_delay_alu instid0(VALU_DEP_3)
	v_fmac_f32_e32 v130, v162, v143
	s_delay_alu instid0(TRANS32_DEP_2) | instid1(VALU_DEP_2)
	v_cndmask_b32_e64 v150, v150, v160, s4
	s_delay_alu instid0(VALU_DEP_2) | instskip(NEXT) | instid1(VALU_DEP_1)
	v_fmac_f32_e32 v130, v160, v144
	v_fmac_f32_e32 v130, v139, v158
	s_waitcnt_depctr 0xfff
	v_fmac_f32_e32 v130, v141, v159
	s_delay_alu instid0(VALU_DEP_1) | instskip(NEXT) | instid1(VALU_DEP_1)
	v_add_f32_e32 v142, 0x358637bd, v130
	v_div_scale_f32 v143, null, v142, v142, 1.0
	v_div_scale_f32 v159, vcc_lo, 1.0, v142, 1.0
	s_delay_alu instid0(VALU_DEP_2) | instskip(SKIP_2) | instid1(VALU_DEP_1)
	v_rcp_f32_e32 v144, v143
	s_waitcnt_depctr 0xfff
	v_fma_f32 v158, -v143, v144, 1.0
	v_fmac_f32_e32 v144, v158, v144
	s_delay_alu instid0(VALU_DEP_1) | instskip(NEXT) | instid1(VALU_DEP_1)
	v_mul_f32_e32 v158, v159, v144
	v_fma_f32 v161, -v143, v158, v159
	s_delay_alu instid0(VALU_DEP_1) | instskip(NEXT) | instid1(VALU_DEP_1)
	v_fmac_f32_e32 v158, v161, v144
	v_fma_f32 v143, -v143, v158, v159
	s_delay_alu instid0(VALU_DEP_1) | instskip(SKIP_1) | instid1(VALU_DEP_2)
	v_div_fmas_f32 v143, v143, v144, v158
	v_cmp_eq_u32_e32 vcc_lo, 6, v149
	v_div_fixup_f32 v142, v143, v142, 1.0
	v_cndmask_b32_e32 v139, v150, v139, vcc_lo
	v_cmp_eq_u32_e32 vcc_lo, 7, v149
	s_delay_alu instid0(VALU_DEP_2) | instskip(NEXT) | instid1(VALU_DEP_1)
	v_cndmask_b32_e32 v139, v139, v141, vcc_lo
	v_mul_f32_e32 v139, v139, v142
	s_delay_alu instid0(VALU_DEP_1) | instskip(SKIP_4) | instid1(VALU_DEP_4)
	v_mul_f32_e32 v153, v139, v153
	v_mul_f32_e32 v142, v139, v152
	;; [unrolled: 1-line block ×5, first 2 shown]
	v_dual_mul_f32 v152, v139, v155 :: v_dual_and_b32 v141, 0x7f800000, v142
	v_mul_f32_e32 v154, v139, v154
	v_mul_f32_e32 v144, v139, v151
	s_delay_alu instid0(VALU_DEP_3) | instskip(SKIP_1) | instid1(SALU_CYCLE_1)
	v_cmp_ne_u32_e32 vcc_lo, 0x7f800000, v141
                                        ; implicit-def: $vgpr141
	s_and_saveexec_b32 s4, vcc_lo
	s_xor_b32 s4, exec_lo, s4
; %bb.13:
	v_bfe_u32 v141, v142, 16, 1
	s_delay_alu instid0(VALU_DEP_1)
	v_add3_u32 v141, v142, v141, 0x7fff
                                        ; implicit-def: $vgpr142
; %bb.14:
	s_and_not1_saveexec_b32 s4, s4
; %bb.15:
	v_and_b32_e32 v141, 0xffff, v142
	v_or_b32_e32 v151, 0x10000, v142
	s_delay_alu instid0(VALU_DEP_2) | instskip(NEXT) | instid1(VALU_DEP_2)
	v_cmp_eq_u32_e32 vcc_lo, 0, v141
	v_cndmask_b32_e32 v141, v151, v142, vcc_lo
; %bb.16:
	s_or_b32 exec_lo, exec_lo, s4
	v_and_b32_e32 v142, 0x7f800000, v144
	s_delay_alu instid0(VALU_DEP_1) | instskip(SKIP_1) | instid1(SALU_CYCLE_1)
	v_cmp_ne_u32_e32 vcc_lo, 0x7f800000, v142
                                        ; implicit-def: $vgpr142
	s_and_saveexec_b32 s4, vcc_lo
	s_xor_b32 s4, exec_lo, s4
; %bb.17:
	v_bfe_u32 v142, v144, 16, 1
	s_delay_alu instid0(VALU_DEP_1)
	v_add3_u32 v142, v144, v142, 0x7fff
                                        ; implicit-def: $vgpr144
; %bb.18:
	s_and_not1_saveexec_b32 s4, s4
; %bb.19:
	v_and_b32_e32 v142, 0xffff, v144
	v_or_b32_e32 v151, 0x10000, v144
	s_delay_alu instid0(VALU_DEP_2) | instskip(NEXT) | instid1(VALU_DEP_2)
	v_cmp_eq_u32_e32 vcc_lo, 0, v142
	v_cndmask_b32_e32 v142, v151, v144, vcc_lo
; %bb.20:
	s_or_b32 exec_lo, exec_lo, s4
	v_and_b32_e32 v144, 0x7f800000, v153
	s_delay_alu instid0(VALU_DEP_1) | instskip(SKIP_1) | instid1(SALU_CYCLE_1)
	v_cmp_ne_u32_e32 vcc_lo, 0x7f800000, v144
                                        ; implicit-def: $vgpr144
	s_and_saveexec_b32 s4, vcc_lo
	s_xor_b32 s4, exec_lo, s4
; %bb.21:
	v_bfe_u32 v144, v153, 16, 1
	s_delay_alu instid0(VALU_DEP_1)
	v_add3_u32 v144, v153, v144, 0x7fff
                                        ; implicit-def: $vgpr153
; %bb.22:
	s_and_not1_saveexec_b32 s4, s4
; %bb.23:
	v_and_b32_e32 v144, 0xffff, v153
	v_or_b32_e32 v151, 0x10000, v153
	s_delay_alu instid0(VALU_DEP_2) | instskip(NEXT) | instid1(VALU_DEP_2)
	v_cmp_eq_u32_e32 vcc_lo, 0, v144
	v_cndmask_b32_e32 v144, v151, v153, vcc_lo
; %bb.24:
	s_or_b32 exec_lo, exec_lo, s4
	v_and_b32_e32 v151, 0x7f800000, v154
	s_delay_alu instid0(VALU_DEP_1) | instskip(SKIP_1) | instid1(SALU_CYCLE_1)
	v_cmp_ne_u32_e32 vcc_lo, 0x7f800000, v151
                                        ; implicit-def: $vgpr151
	s_and_saveexec_b32 s4, vcc_lo
	s_xor_b32 s4, exec_lo, s4
; %bb.25:
	v_bfe_u32 v151, v154, 16, 1
	s_delay_alu instid0(VALU_DEP_1)
	v_add3_u32 v151, v154, v151, 0x7fff
                                        ; implicit-def: $vgpr154
; %bb.26:
	s_and_not1_saveexec_b32 s4, s4
; %bb.27:
	v_and_b32_e32 v151, 0xffff, v154
	v_or_b32_e32 v153, 0x10000, v154
	s_delay_alu instid0(VALU_DEP_2) | instskip(NEXT) | instid1(VALU_DEP_2)
	v_cmp_eq_u32_e32 vcc_lo, 0, v151
	v_cndmask_b32_e32 v151, v153, v154, vcc_lo
; %bb.28:
	s_or_b32 exec_lo, exec_lo, s4
	v_and_b32_e32 v153, 0x7f800000, v152
	s_delay_alu instid0(VALU_DEP_1) | instskip(SKIP_1) | instid1(SALU_CYCLE_1)
	v_cmp_ne_u32_e32 vcc_lo, 0x7f800000, v153
                                        ; implicit-def: $vgpr153
	s_and_saveexec_b32 s4, vcc_lo
	s_xor_b32 s4, exec_lo, s4
; %bb.29:
	v_bfe_u32 v153, v152, 16, 1
	s_delay_alu instid0(VALU_DEP_1)
	v_add3_u32 v153, v152, v153, 0x7fff
                                        ; implicit-def: $vgpr152
; %bb.30:
	s_and_not1_saveexec_b32 s4, s4
; %bb.31:
	v_and_b32_e32 v153, 0xffff, v152
	v_or_b32_e32 v154, 0x10000, v152
	s_delay_alu instid0(VALU_DEP_2) | instskip(NEXT) | instid1(VALU_DEP_2)
	v_cmp_eq_u32_e32 vcc_lo, 0, v153
	v_cndmask_b32_e32 v153, v154, v152, vcc_lo
; %bb.32:
	s_or_b32 exec_lo, exec_lo, s4
	v_and_b32_e32 v152, 0x7f800000, v150
	s_delay_alu instid0(VALU_DEP_1) | instskip(SKIP_1) | instid1(SALU_CYCLE_1)
	v_cmp_ne_u32_e32 vcc_lo, 0x7f800000, v152
                                        ; implicit-def: $vgpr152
	s_and_saveexec_b32 s4, vcc_lo
	s_xor_b32 s4, exec_lo, s4
; %bb.33:
	v_bfe_u32 v152, v150, 16, 1
	s_delay_alu instid0(VALU_DEP_1)
	v_add3_u32 v152, v150, v152, 0x7fff
                                        ; implicit-def: $vgpr150
; %bb.34:
	s_and_not1_saveexec_b32 s4, s4
; %bb.35:
	v_and_b32_e32 v152, 0xffff, v150
	v_or_b32_e32 v154, 0x10000, v150
	s_delay_alu instid0(VALU_DEP_2) | instskip(NEXT) | instid1(VALU_DEP_2)
	v_cmp_eq_u32_e32 vcc_lo, 0, v152
	v_cndmask_b32_e32 v152, v154, v150, vcc_lo
; %bb.36:
	s_or_b32 exec_lo, exec_lo, s4
	v_and_b32_e32 v150, 0x7f800000, v143
	s_delay_alu instid0(VALU_DEP_1) | instskip(SKIP_1) | instid1(SALU_CYCLE_1)
	v_cmp_ne_u32_e32 vcc_lo, 0x7f800000, v150
                                        ; implicit-def: $vgpr150
	s_and_saveexec_b32 s4, vcc_lo
	s_xor_b32 s4, exec_lo, s4
; %bb.37:
	v_bfe_u32 v150, v143, 16, 1
	s_delay_alu instid0(VALU_DEP_1)
	v_add3_u32 v150, v143, v150, 0x7fff
                                        ; implicit-def: $vgpr143
; %bb.38:
	s_and_not1_saveexec_b32 s4, s4
; %bb.39:
	v_and_b32_e32 v150, 0xffff, v143
	v_or_b32_e32 v154, 0x10000, v143
	s_delay_alu instid0(VALU_DEP_2) | instskip(NEXT) | instid1(VALU_DEP_2)
	v_cmp_eq_u32_e32 vcc_lo, 0, v150
	v_cndmask_b32_e32 v150, v154, v143, vcc_lo
; %bb.40:
	s_or_b32 exec_lo, exec_lo, s4
	v_and_b32_e32 v143, 0x7f800000, v140
	s_delay_alu instid0(VALU_DEP_1) | instskip(SKIP_1) | instid1(SALU_CYCLE_1)
	v_cmp_ne_u32_e32 vcc_lo, 0x7f800000, v143
                                        ; implicit-def: $vgpr143
	s_and_saveexec_b32 s4, vcc_lo
	s_xor_b32 s4, exec_lo, s4
; %bb.41:
	v_bfe_u32 v143, v140, 16, 1
	s_delay_alu instid0(VALU_DEP_1)
	v_add3_u32 v143, v140, v143, 0x7fff
                                        ; implicit-def: $vgpr140
; %bb.42:
	s_and_not1_saveexec_b32 s4, s4
; %bb.43:
	v_and_b32_e32 v143, 0xffff, v140
	v_or_b32_e32 v154, 0x10000, v140
	s_delay_alu instid0(VALU_DEP_2) | instskip(NEXT) | instid1(VALU_DEP_2)
	v_cmp_eq_u32_e32 vcc_lo, 0, v143
	v_cndmask_b32_e32 v143, v154, v140, vcc_lo
; %bb.44:
	s_or_b32 exec_lo, exec_lo, s4
	s_load_b64 s[36:37], s[0:1], 0x94
	v_dual_mul_f32 v136, v139, v136 :: v_dual_lshlrev_b32 v155, 4, v146
	s_delay_alu instid0(VALU_DEP_2)
	v_perm_b32 v154, v143, v150, 0x7060302
	v_dual_mul_f32 v143, v139, v131 :: v_dual_lshlrev_b32 v140, 6, v148
	v_dual_mul_f32 v135, v139, v135 :: v_dual_lshlrev_b32 v150, 11, v149
	v_perm_b32 v153, v152, v153, 0x7060302
	v_perm_b32 v152, v151, v144, 0x7060302
	;; [unrolled: 1-line block ×3, first 2 shown]
	s_delay_alu instid0(VALU_DEP_4)
	v_or3_b32 v131, v155, v150, v140
	v_mul_f32_e32 v138, v139, v138
	v_dual_mul_f32 v137, v139, v137 :: v_dual_and_b32 v144, 0x7f800000, v143
	v_mul_f32_e32 v141, v139, v134
	v_mul_f32_e32 v142, v139, v133
	;; [unrolled: 1-line block ×3, first 2 shown]
	s_mov_b32 s4, exec_lo
	ds_store_b128 v131, v[151:154]
                                        ; implicit-def: $vgpr132
	v_cmpx_ne_u32_e32 0x7f800000, v144
	s_xor_b32 s4, exec_lo, s4
; %bb.45:
	v_bfe_u32 v132, v143, 16, 1
	s_delay_alu instid0(VALU_DEP_1)
	v_add3_u32 v132, v143, v132, 0x7fff
                                        ; implicit-def: $vgpr143
; %bb.46:
	s_and_not1_saveexec_b32 s4, s4
; %bb.47:
	v_and_b32_e32 v132, 0xffff, v143
	v_or_b32_e32 v133, 0x10000, v143
	s_delay_alu instid0(VALU_DEP_2) | instskip(NEXT) | instid1(VALU_DEP_2)
	v_cmp_eq_u32_e32 vcc_lo, 0, v132
	v_cndmask_b32_e32 v132, v133, v143, vcc_lo
; %bb.48:
	s_or_b32 exec_lo, exec_lo, s4
	v_and_b32_e32 v133, 0x7f800000, v134
	s_delay_alu instid0(VALU_DEP_1) | instskip(SKIP_1) | instid1(SALU_CYCLE_1)
	v_cmp_ne_u32_e32 vcc_lo, 0x7f800000, v133
                                        ; implicit-def: $vgpr133
	s_and_saveexec_b32 s4, vcc_lo
	s_xor_b32 s4, exec_lo, s4
; %bb.49:
	v_bfe_u32 v133, v134, 16, 1
	s_delay_alu instid0(VALU_DEP_1)
	v_add3_u32 v133, v134, v133, 0x7fff
                                        ; implicit-def: $vgpr134
; %bb.50:
	s_and_not1_saveexec_b32 s4, s4
; %bb.51:
	v_and_b32_e32 v133, 0xffff, v134
	v_or_b32_e32 v139, 0x10000, v134
	s_delay_alu instid0(VALU_DEP_2) | instskip(NEXT) | instid1(VALU_DEP_2)
	v_cmp_eq_u32_e32 vcc_lo, 0, v133
	v_cndmask_b32_e32 v133, v139, v134, vcc_lo
; %bb.52:
	s_or_b32 exec_lo, exec_lo, s4
	v_and_b32_e32 v134, 0x7f800000, v142
	s_delay_alu instid0(VALU_DEP_1) | instskip(SKIP_1) | instid1(SALU_CYCLE_1)
	v_cmp_ne_u32_e32 vcc_lo, 0x7f800000, v134
                                        ; implicit-def: $vgpr134
	s_and_saveexec_b32 s4, vcc_lo
	s_xor_b32 s4, exec_lo, s4
; %bb.53:
	v_bfe_u32 v134, v142, 16, 1
	s_delay_alu instid0(VALU_DEP_1)
	v_add3_u32 v134, v142, v134, 0x7fff
                                        ; implicit-def: $vgpr142
; %bb.54:
	s_and_not1_saveexec_b32 s4, s4
; %bb.55:
	v_and_b32_e32 v134, 0xffff, v142
	v_or_b32_e32 v139, 0x10000, v142
	s_delay_alu instid0(VALU_DEP_2) | instskip(NEXT) | instid1(VALU_DEP_2)
	v_cmp_eq_u32_e32 vcc_lo, 0, v134
	v_cndmask_b32_e32 v134, v139, v142, vcc_lo
; %bb.56:
	s_or_b32 exec_lo, exec_lo, s4
	v_and_b32_e32 v139, 0x7f800000, v141
	s_delay_alu instid0(VALU_DEP_1) | instskip(SKIP_1) | instid1(SALU_CYCLE_1)
	v_cmp_ne_u32_e32 vcc_lo, 0x7f800000, v139
                                        ; implicit-def: $vgpr139
	s_and_saveexec_b32 s4, vcc_lo
	s_xor_b32 s4, exec_lo, s4
; %bb.57:
	v_bfe_u32 v139, v141, 16, 1
	s_delay_alu instid0(VALU_DEP_1)
	v_add3_u32 v139, v141, v139, 0x7fff
                                        ; implicit-def: $vgpr141
; %bb.58:
	s_and_not1_saveexec_b32 s4, s4
; %bb.59:
	v_and_b32_e32 v139, 0xffff, v141
	v_or_b32_e32 v142, 0x10000, v141
	s_delay_alu instid0(VALU_DEP_2) | instskip(NEXT) | instid1(VALU_DEP_2)
	v_cmp_eq_u32_e32 vcc_lo, 0, v139
	v_cndmask_b32_e32 v139, v142, v141, vcc_lo
; %bb.60:
	s_or_b32 exec_lo, exec_lo, s4
	v_and_b32_e32 v141, 0x7f800000, v135
	s_delay_alu instid0(VALU_DEP_1) | instskip(SKIP_1) | instid1(SALU_CYCLE_1)
	v_cmp_ne_u32_e32 vcc_lo, 0x7f800000, v141
                                        ; implicit-def: $vgpr141
	s_and_saveexec_b32 s4, vcc_lo
	s_xor_b32 s4, exec_lo, s4
; %bb.61:
	v_bfe_u32 v141, v135, 16, 1
	s_delay_alu instid0(VALU_DEP_1)
	v_add3_u32 v141, v135, v141, 0x7fff
                                        ; implicit-def: $vgpr135
; %bb.62:
	s_and_not1_saveexec_b32 s4, s4
; %bb.63:
	v_and_b32_e32 v141, 0xffff, v135
	v_or_b32_e32 v142, 0x10000, v135
	s_delay_alu instid0(VALU_DEP_2) | instskip(NEXT) | instid1(VALU_DEP_2)
	v_cmp_eq_u32_e32 vcc_lo, 0, v141
	v_cndmask_b32_e32 v141, v142, v135, vcc_lo
; %bb.64:
	s_or_b32 exec_lo, exec_lo, s4
	v_and_b32_e32 v135, 0x7f800000, v136
	s_delay_alu instid0(VALU_DEP_1) | instskip(SKIP_1) | instid1(SALU_CYCLE_1)
	v_cmp_ne_u32_e32 vcc_lo, 0x7f800000, v135
                                        ; implicit-def: $vgpr135
	s_and_saveexec_b32 s4, vcc_lo
	s_xor_b32 s4, exec_lo, s4
; %bb.65:
	v_bfe_u32 v135, v136, 16, 1
	s_delay_alu instid0(VALU_DEP_1)
	v_add3_u32 v135, v136, v135, 0x7fff
                                        ; implicit-def: $vgpr136
; %bb.66:
	s_and_not1_saveexec_b32 s4, s4
; %bb.67:
	v_and_b32_e32 v135, 0xffff, v136
	v_or_b32_e32 v142, 0x10000, v136
	s_delay_alu instid0(VALU_DEP_2) | instskip(NEXT) | instid1(VALU_DEP_2)
	v_cmp_eq_u32_e32 vcc_lo, 0, v135
	v_cndmask_b32_e32 v135, v142, v136, vcc_lo
; %bb.68:
	s_or_b32 exec_lo, exec_lo, s4
	v_and_b32_e32 v136, 0x7f800000, v137
	s_delay_alu instid0(VALU_DEP_1) | instskip(SKIP_1) | instid1(SALU_CYCLE_1)
	v_cmp_ne_u32_e32 vcc_lo, 0x7f800000, v136
                                        ; implicit-def: $vgpr136
	s_and_saveexec_b32 s4, vcc_lo
	s_xor_b32 s4, exec_lo, s4
; %bb.69:
	v_bfe_u32 v136, v137, 16, 1
	s_delay_alu instid0(VALU_DEP_1)
	v_add3_u32 v136, v137, v136, 0x7fff
                                        ; implicit-def: $vgpr137
; %bb.70:
	s_and_not1_saveexec_b32 s4, s4
; %bb.71:
	v_and_b32_e32 v136, 0xffff, v137
	v_or_b32_e32 v142, 0x10000, v137
	s_delay_alu instid0(VALU_DEP_2) | instskip(NEXT) | instid1(VALU_DEP_2)
	v_cmp_eq_u32_e32 vcc_lo, 0, v136
	v_cndmask_b32_e32 v136, v142, v137, vcc_lo
; %bb.72:
	s_or_b32 exec_lo, exec_lo, s4
	v_and_b32_e32 v137, 0x7f800000, v138
	s_delay_alu instid0(VALU_DEP_1) | instskip(SKIP_1) | instid1(SALU_CYCLE_1)
	v_cmp_ne_u32_e32 vcc_lo, 0x7f800000, v137
                                        ; implicit-def: $vgpr137
	s_and_saveexec_b32 s4, vcc_lo
	s_xor_b32 s4, exec_lo, s4
; %bb.73:
	v_bfe_u32 v137, v138, 16, 1
	s_delay_alu instid0(VALU_DEP_1)
	v_add3_u32 v137, v138, v137, 0x7fff
                                        ; implicit-def: $vgpr138
; %bb.74:
	s_and_not1_saveexec_b32 s4, s4
; %bb.75:
	v_and_b32_e32 v137, 0xffff, v138
	v_or_b32_e32 v142, 0x10000, v138
	s_delay_alu instid0(VALU_DEP_2) | instskip(NEXT) | instid1(VALU_DEP_2)
	v_cmp_eq_u32_e32 vcc_lo, 0, v137
	v_cndmask_b32_e32 v137, v142, v138, vcc_lo
; %bb.76:
	s_or_b32 exec_lo, exec_lo, s4
	s_delay_alu instid0(VALU_DEP_1)
	v_perm_b32 v136, v137, v136, 0x7060302
	v_perm_b32 v135, v135, v141, 0x7060302
	;; [unrolled: 1-line block ×4, first 2 shown]
	v_lshl_or_b32 v141, v149, 11, v140
	ds_store_b128 v131, v[133:136] offset:1024
	s_waitcnt lgkmcnt(0)
	s_barrier
	buffer_gl0_inv
	ds_load_b128 v[132:135], v141
	ds_load_b128 v[149:152], v141 offset:16
	s_waitcnt lgkmcnt(1)
	v_lshrrev_b32_e32 v136, 16, v132
	s_waitcnt lgkmcnt(0)
	v_lshrrev_b32_e32 v164, 16, v151
	v_lshlrev_b32_e32 v138, 2, v146
	v_lshrrev_b32_e32 v143, 16, v149
	v_lshrrev_b32_e32 v162, 16, v150
	;; [unrolled: 1-line block ×4, first 2 shown]
	v_or_b32_e32 v139, 1, v138
	v_lshrrev_b32_e32 v165, 16, v152
	v_lshrrev_b32_e32 v163, 16, v135
	s_delay_alu instid0(VALU_DEP_3)
	v_cmp_eq_u32_e64 s8, 1, v139
	v_cmp_eq_u32_e64 s7, 2, v139
	;; [unrolled: 1-line block ×4, first 2 shown]
	v_cmp_eq_u32_e32 vcc_lo, 5, v139
	v_cndmask_b32_e64 v155, v149, v143, s8
	v_cndmask_b32_e64 v154, v132, v136, s8
	v_cmp_eq_u32_e64 s5, 6, v139
	v_cmp_eq_u32_e64 s20, 7, v139
	s_delay_alu instid0(VALU_DEP_4) | instskip(NEXT) | instid1(VALU_DEP_4)
	v_cndmask_b32_e64 v155, v155, v150, s7
	v_cndmask_b32_e64 v154, v154, v133, s7
	s_delay_alu instid0(VALU_DEP_2) | instskip(NEXT) | instid1(VALU_DEP_2)
	v_cndmask_b32_e64 v155, v155, v162, s6
	v_cndmask_b32_e64 v154, v154, v144, s6
	s_delay_alu instid0(VALU_DEP_2) | instskip(NEXT) | instid1(VALU_DEP_2)
	v_cndmask_b32_e64 v155, v155, v151, s4
	v_cndmask_b32_e64 v154, v154, v134, s4
	s_delay_alu instid0(VALU_DEP_2)
	v_cndmask_b32_e32 v157, v155, v164, vcc_lo
	v_cmp_eq_u32_e64 s13, 1, v138
	v_cmp_eq_u32_e64 s12, 2, v138
	;; [unrolled: 1-line block ×3, first 2 shown]
	v_or_b32_e32 v137, 2, v138
	v_cmp_eq_u32_e64 s18, 4, v138
	v_cndmask_b32_e64 v153, v149, v143, s13
	v_cndmask_b32_e64 v142, v132, v136, s13
	v_cmp_eq_u32_e64 s15, 5, v138
	v_cmp_eq_u32_e64 s9, 1, v137
	;; [unrolled: 1-line block ×3, first 2 shown]
	v_cndmask_b32_e64 v153, v153, v150, s12
	v_cndmask_b32_e64 v142, v142, v133, s12
	v_cmp_eq_u32_e64 s11, 2, v137
	v_cndmask_b32_e64 v156, v132, v136, s9
	v_cndmask_b32_e32 v154, v154, v161, vcc_lo
	v_cndmask_b32_e64 v153, v153, v162, s17
	v_cndmask_b32_e64 v142, v142, v144, s17
	v_cmp_eq_u32_e64 s10, 7, v138
	v_cndmask_b32_e64 v156, v156, v133, s11
	v_cmp_eq_u32_e64 s19, 3, v137
	v_cndmask_b32_e64 v153, v153, v151, s18
	v_cndmask_b32_e64 v142, v142, v134, s18
	;; [unrolled: 1-line block ×3, first 2 shown]
	v_cmp_eq_u32_e64 s21, 4, v137
	v_cndmask_b32_e64 v156, v156, v144, s19
	v_cndmask_b32_e64 v153, v153, v164, s15
	v_cndmask_b32_e64 v142, v142, v161, s15
	v_cndmask_b32_e64 v168, v154, v163, s20
	v_cmp_eq_u32_e64 s23, 5, v137
	v_cndmask_b32_e64 v159, v156, v134, s21
	v_cndmask_b32_e64 v153, v153, v152, s16
	;; [unrolled: 1-line block ×3, first 2 shown]
	v_cmp_eq_u32_e64 s26, 6, v137
	v_cmp_eq_u32_e64 s28, 7, v137
	v_cndmask_b32_e64 v169, v159, v161, s23
	v_cndmask_b32_e64 v167, v153, v165, s10
	;; [unrolled: 1-line block ×4, first 2 shown]
	v_or_b32_e32 v142, 3, v138
	s_delay_alu instid0(VALU_DEP_3)
	v_cndmask_b32_e64 v158, v153, v150, s11
	ds_load_b128 v[153:156], v141 offset:1024
	v_cmp_eq_u32_e64 s22, 1, v142
	v_cmp_eq_u32_e64 s24, 2, v142
	;; [unrolled: 1-line block ×3, first 2 shown]
	v_cndmask_b32_e64 v158, v158, v162, s19
	v_cmp_eq_u32_e64 s27, 4, v142
	v_cndmask_b32_e64 v132, v132, v136, s22
	v_cndmask_b32_e64 v136, v157, v152, s5
	v_cndmask_b32_e64 v143, v149, v143, s22
	v_cndmask_b32_e64 v170, v158, v151, s21
	ds_load_b128 v[157:160], v141 offset:1040
	v_cndmask_b32_e64 v132, v132, v133, s24
	v_cmp_eq_u32_e64 s29, 5, v142
	v_cndmask_b32_e64 v143, v143, v150, s24
	v_cmp_eq_u32_e64 s30, 6, v142
	v_cndmask_b32_e64 v133, v170, v164, s23
	v_cndmask_b32_e64 v132, v132, v144, s25
	;; [unrolled: 1-line block ×5, first 2 shown]
	s_waitcnt lgkmcnt(1)
	v_lshrrev_b32_e32 v149, 16, v153
	v_cndmask_b32_e64 v132, v132, v134, s27
	v_cndmask_b32_e64 v133, v133, v152, s26
	;; [unrolled: 1-line block ×3, first 2 shown]
	v_lshrrev_b32_e32 v151, 16, v154
	v_cndmask_b32_e64 v143, v153, v149, s13
	v_cndmask_b32_e64 v132, v132, v161, s29
	;; [unrolled: 1-line block ×5, first 2 shown]
	s_waitcnt lgkmcnt(0)
	v_lshrrev_b32_e32 v150, 16, v157
	v_cndmask_b32_e64 v143, v143, v154, s12
	v_cndmask_b32_e64 v132, v132, v135, s30
	;; [unrolled: 1-line block ×3, first 2 shown]
	v_lshrrev_b32_e32 v164, 16, v159
	v_cndmask_b32_e64 v162, v157, v150, s13
	v_cndmask_b32_e64 v135, v143, v151, s17
	;; [unrolled: 1-line block ×3, first 2 shown]
	v_lshrrev_b32_e32 v161, 16, v158
	v_cndmask_b32_e64 v133, v133, v165, s28
	v_cndmask_b32_e64 v152, v162, v158, s12
	v_cmp_eq_u32_e64 s12, 7, v142
	v_cndmask_b32_e64 v143, v143, v151, s6
	v_cndmask_b32_e64 v135, v135, v155, s18
	v_lshrrev_b32_e32 v162, 16, v155
	v_cndmask_b32_e64 v152, v152, v161, s17
	v_cndmask_b32_e64 v132, v132, v163, s12
	;; [unrolled: 1-line block ×6, first 2 shown]
	s_delay_alu instid0(VALU_DEP_4) | instskip(NEXT) | instid1(VALU_DEP_4)
	v_perm_b32 v135, v134, v132, 0x5040100
	v_cndmask_b32_e32 v132, v143, v162, vcc_lo
	s_delay_alu instid0(VALU_DEP_4)
	v_cndmask_b32_e64 v143, v163, v156, s16
	v_lshrrev_b32_e32 v163, 16, v156
	v_cndmask_b32_e64 v152, v152, v164, s15
	v_perm_b32 v134, v133, v144, 0x5040100
	v_cndmask_b32_e64 v132, v132, v156, s5
	v_perm_b32 v133, v136, v168, 0x5040100
	v_cndmask_b32_e64 v136, v143, v163, s10
	v_cndmask_b32_e64 v143, v152, v160, s16
	;; [unrolled: 1-line block ×13, first 2 shown]
	v_lshrrev_b32_e32 v144, 16, v160
	v_cndmask_b32_e64 v132, v132, v151, s19
	v_cndmask_b32_e64 v149, v149, v151, s25
	;; [unrolled: 1-line block ×14, first 2 shown]
	v_cndmask_b32_e32 v150, v150, v164, vcc_lo
	v_cndmask_b32_e64 v132, v132, v156, s26
	v_cndmask_b32_e64 v149, v149, v156, s30
	;; [unrolled: 1-line block ×11, first 2 shown]
	v_perm_b32 v132, v167, v166, 0x5040100
	v_perm_b32 v152, v151, v149, 0x5040100
	;; [unrolled: 1-line block ×5, first 2 shown]
	s_mul_i32 s9, s37, 5
	s_mov_b32 s4, exec_lo
	ds_store_b128 v131, v[132:135]
	ds_store_b128 v131, v[149:152] offset:1024
	v_cmpx_gt_u32_e32 5, v0
	s_cbranch_execz .LBB426_78
; %bb.77:
	s_mul_i32 s5, s9, s34
	s_load_b128 s[16:19], s[0:1], 0x58
	v_add3_u32 v133, s5, s31, v148
	s_delay_alu instid0(VALU_DEP_1) | instskip(NEXT) | instid1(VALU_DEP_1)
	v_mad_u64_u32 v[131:132], null, v133, s36, s[14:15]
	v_ashrrev_i32_e32 v132, 31, v131
	s_delay_alu instid0(VALU_DEP_1) | instskip(SKIP_1) | instid1(VALU_DEP_1)
	v_lshlrev_b64 v[131:132], 2, v[131:132]
	s_waitcnt lgkmcnt(0)
	v_add_co_u32 v133, vcc_lo, s18, v131
	s_delay_alu instid0(VALU_DEP_2)
	v_add_co_ci_u32_e32 v134, vcc_lo, s19, v132, vcc_lo
	v_add_co_u32 v131, vcc_lo, s16, v131
	v_add_co_ci_u32_e32 v132, vcc_lo, s17, v132, vcc_lo
	global_store_b32 v[133:134], v129, off
	global_store_b32 v[131:132], v130, off
.LBB426_78:
	s_or_b32 exec_lo, exec_lo, s4
	s_waitcnt lgkmcnt(0)
	s_waitcnt_vscnt null, 0x0
	s_barrier
	buffer_gl0_inv
	ds_load_b128 v[148:151], v140
	ds_load_b128 v[152:155], v140 offset:16
	ds_load_b128 v[160:163], v140 offset:1040
	;; [unrolled: 1-line block ×3, first 2 shown]
	v_mov_b32_e32 v129, 0
	ds_load_b128 v[168:171], v140 offset:2064
	ds_load_b128 v[164:167], v140 offset:2048
	;; [unrolled: 1-line block ×6, first 2 shown]
	v_mov_b32_e32 v130, v129
	v_mov_b32_e32 v131, v129
	;; [unrolled: 1-line block ×7, first 2 shown]
	s_waitcnt lgkmcnt(8)
	s_delay_alu instid0(VALU_DEP_1)
	v_wmma_f32_16x16x16_bf16 v[129:136], v[121:128], v[148:155], v[129:136]
	ds_load_b128 v[125:128], v140 offset:5136
	ds_load_b128 v[121:124], v140 offset:5120
	s_waitcnt lgkmcnt(8)
	v_wmma_f32_16x16x16_bf16 v[129:136], v[113:120], v[156:163], v[129:136]
	ds_load_b128 v[117:120], v140 offset:6160
	ds_load_b128 v[113:116], v140 offset:6144
	s_waitcnt lgkmcnt(8)
	v_wmma_f32_16x16x16_bf16 v[129:136], v[105:112], v[164:171], v[129:136]
	ds_load_b128 v[109:112], v140 offset:7184
	ds_load_b128 v[105:108], v140 offset:7168
	s_waitcnt lgkmcnt(8)
	v_wmma_f32_16x16x16_bf16 v[129:136], v[97:104], v[172:179], v[129:136]
	ds_load_b128 v[101:104], v140 offset:8208
	ds_load_b128 v[97:100], v140 offset:8192
	s_waitcnt lgkmcnt(8)
	v_wmma_f32_16x16x16_bf16 v[129:136], v[89:96], v[180:187], v[129:136]
	ds_load_b128 v[93:96], v140 offset:9232
	ds_load_b128 v[89:92], v140 offset:9216
	s_waitcnt lgkmcnt(8)
	v_wmma_f32_16x16x16_bf16 v[129:136], v[81:88], v[121:128], v[129:136]
	ds_load_b128 v[85:88], v140 offset:10256
	ds_load_b128 v[81:84], v140 offset:10240
	s_waitcnt lgkmcnt(8)
	v_wmma_f32_16x16x16_bf16 v[129:136], v[73:80], v[113:120], v[129:136]
	ds_load_b128 v[77:80], v140 offset:11280
	ds_load_b128 v[73:76], v140 offset:11264
	s_waitcnt lgkmcnt(8)
	v_wmma_f32_16x16x16_bf16 v[129:136], v[57:64], v[105:112], v[129:136]
	ds_load_b128 v[61:64], v140 offset:12304
	ds_load_b128 v[57:60], v140 offset:12288
	s_waitcnt lgkmcnt(8)
	v_wmma_f32_16x16x16_bf16 v[129:136], v[65:72], v[97:104], v[129:136]
	s_waitcnt lgkmcnt(6)
	s_delay_alu instid0(VALU_DEP_1)
	v_wmma_f32_16x16x16_bf16 v[129:136], v[49:56], v[89:96], v[129:136]
	ds_load_b128 v[53:56], v140 offset:13328
	ds_load_b128 v[49:52], v140 offset:13312
	s_waitcnt lgkmcnt(6)
	v_wmma_f32_16x16x16_bf16 v[129:136], v[41:48], v[81:88], v[129:136]
	ds_load_b128 v[45:48], v140 offset:14352
	ds_load_b128 v[41:44], v140 offset:14336
	s_waitcnt lgkmcnt(6)
	;; [unrolled: 4-line block ×3, first 2 shown]
	v_wmma_f32_16x16x16_bf16 v[129:136], v[1:8], v[57:64], v[129:136]
	s_waitcnt lgkmcnt(4)
	s_delay_alu instid0(VALU_DEP_1) | instskip(SKIP_1) | instid1(VALU_DEP_1)
	v_wmma_f32_16x16x16_bf16 v[129:136], v[25:32], v[49:56], v[129:136]
	s_waitcnt lgkmcnt(2)
	v_wmma_f32_16x16x16_bf16 v[129:136], v[33:40], v[41:48], v[129:136]
	s_waitcnt lgkmcnt(0)
	s_delay_alu instid0(VALU_DEP_1) | instskip(NEXT) | instid1(VALU_DEP_1)
	v_wmma_f32_16x16x16_bf16 v[129:136], v[9:16], v[17:24], v[129:136]
	v_and_b32_e32 v1, 0x7f800000, v129
	s_delay_alu instid0(VALU_DEP_1) | instskip(SKIP_1) | instid1(SALU_CYCLE_1)
	v_cmp_ne_u32_e32 vcc_lo, 0x7f800000, v1
                                        ; implicit-def: $vgpr1
	s_and_saveexec_b32 s4, vcc_lo
	s_xor_b32 s4, exec_lo, s4
; %bb.79:
	v_bfe_u32 v1, v129, 16, 1
	s_delay_alu instid0(VALU_DEP_1)
	v_add3_u32 v1, v129, v1, 0x7fff
; %bb.80:
	s_and_not1_saveexec_b32 s4, s4
; %bb.81:
	v_and_b32_e32 v1, 0xffff, v129
	v_or_b32_e32 v2, 0x10000, v129
	s_delay_alu instid0(VALU_DEP_2) | instskip(NEXT) | instid1(VALU_DEP_2)
	v_cmp_eq_u32_e32 vcc_lo, 0, v1
	v_cndmask_b32_e32 v1, v2, v129, vcc_lo
; %bb.82:
	s_or_b32 exec_lo, exec_lo, s4
	v_and_b32_e32 v2, 0x7f800000, v130
	s_delay_alu instid0(VALU_DEP_1) | instskip(SKIP_1) | instid1(SALU_CYCLE_1)
	v_cmp_ne_u32_e32 vcc_lo, 0x7f800000, v2
                                        ; implicit-def: $vgpr2
	s_and_saveexec_b32 s4, vcc_lo
	s_xor_b32 s4, exec_lo, s4
; %bb.83:
	v_bfe_u32 v2, v130, 16, 1
	s_delay_alu instid0(VALU_DEP_1)
	v_add3_u32 v2, v130, v2, 0x7fff
; %bb.84:
	s_and_not1_saveexec_b32 s4, s4
; %bb.85:
	v_and_b32_e32 v2, 0xffff, v130
	v_or_b32_e32 v3, 0x10000, v130
	s_delay_alu instid0(VALU_DEP_2) | instskip(NEXT) | instid1(VALU_DEP_2)
	v_cmp_eq_u32_e32 vcc_lo, 0, v2
	v_cndmask_b32_e32 v2, v3, v130, vcc_lo
; %bb.86:
	s_or_b32 exec_lo, exec_lo, s4
	v_and_b32_e32 v3, 0x7f800000, v131
	s_delay_alu instid0(VALU_DEP_1) | instskip(SKIP_1) | instid1(SALU_CYCLE_1)
	v_cmp_ne_u32_e32 vcc_lo, 0x7f800000, v3
                                        ; implicit-def: $vgpr3
	s_and_saveexec_b32 s4, vcc_lo
	s_xor_b32 s4, exec_lo, s4
; %bb.87:
	v_bfe_u32 v3, v131, 16, 1
	s_delay_alu instid0(VALU_DEP_1)
	v_add3_u32 v3, v131, v3, 0x7fff
; %bb.88:
	s_and_not1_saveexec_b32 s4, s4
; %bb.89:
	v_and_b32_e32 v3, 0xffff, v131
	v_or_b32_e32 v4, 0x10000, v131
	s_delay_alu instid0(VALU_DEP_2) | instskip(NEXT) | instid1(VALU_DEP_2)
	v_cmp_eq_u32_e32 vcc_lo, 0, v3
	v_cndmask_b32_e32 v3, v4, v131, vcc_lo
; %bb.90:
	s_or_b32 exec_lo, exec_lo, s4
	v_and_b32_e32 v4, 0x7f800000, v132
	s_delay_alu instid0(VALU_DEP_1) | instskip(SKIP_1) | instid1(SALU_CYCLE_1)
	v_cmp_ne_u32_e32 vcc_lo, 0x7f800000, v4
                                        ; implicit-def: $vgpr4
	s_and_saveexec_b32 s4, vcc_lo
	s_xor_b32 s4, exec_lo, s4
; %bb.91:
	v_bfe_u32 v4, v132, 16, 1
	s_delay_alu instid0(VALU_DEP_1)
	v_add3_u32 v4, v132, v4, 0x7fff
; %bb.92:
	s_and_not1_saveexec_b32 s4, s4
; %bb.93:
	v_and_b32_e32 v4, 0xffff, v132
	v_or_b32_e32 v5, 0x10000, v132
	s_delay_alu instid0(VALU_DEP_2) | instskip(NEXT) | instid1(VALU_DEP_2)
	v_cmp_eq_u32_e32 vcc_lo, 0, v4
	v_cndmask_b32_e32 v4, v5, v132, vcc_lo
; %bb.94:
	s_or_b32 exec_lo, exec_lo, s4
	v_and_b32_e32 v5, 0x7f800000, v133
	s_delay_alu instid0(VALU_DEP_1) | instskip(SKIP_1) | instid1(SALU_CYCLE_1)
	v_cmp_ne_u32_e32 vcc_lo, 0x7f800000, v5
                                        ; implicit-def: $vgpr5
	s_and_saveexec_b32 s4, vcc_lo
	s_xor_b32 s4, exec_lo, s4
; %bb.95:
	v_bfe_u32 v5, v133, 16, 1
	s_delay_alu instid0(VALU_DEP_1)
	v_add3_u32 v5, v133, v5, 0x7fff
; %bb.96:
	s_and_not1_saveexec_b32 s4, s4
; %bb.97:
	v_and_b32_e32 v5, 0xffff, v133
	v_or_b32_e32 v6, 0x10000, v133
	s_delay_alu instid0(VALU_DEP_2) | instskip(NEXT) | instid1(VALU_DEP_2)
	v_cmp_eq_u32_e32 vcc_lo, 0, v5
	v_cndmask_b32_e32 v5, v6, v133, vcc_lo
; %bb.98:
	s_or_b32 exec_lo, exec_lo, s4
	v_and_b32_e32 v6, 0x7f800000, v134
	s_delay_alu instid0(VALU_DEP_1) | instskip(SKIP_1) | instid1(SALU_CYCLE_1)
	v_cmp_ne_u32_e32 vcc_lo, 0x7f800000, v6
                                        ; implicit-def: $vgpr6
	s_and_saveexec_b32 s4, vcc_lo
	s_xor_b32 s4, exec_lo, s4
; %bb.99:
	v_bfe_u32 v6, v134, 16, 1
	s_delay_alu instid0(VALU_DEP_1)
	v_add3_u32 v6, v134, v6, 0x7fff
; %bb.100:
	s_and_not1_saveexec_b32 s4, s4
; %bb.101:
	v_and_b32_e32 v6, 0xffff, v134
	v_or_b32_e32 v7, 0x10000, v134
	s_delay_alu instid0(VALU_DEP_2) | instskip(NEXT) | instid1(VALU_DEP_2)
	v_cmp_eq_u32_e32 vcc_lo, 0, v6
	v_cndmask_b32_e32 v6, v7, v134, vcc_lo
; %bb.102:
	s_or_b32 exec_lo, exec_lo, s4
	v_and_b32_e32 v7, 0x7f800000, v135
	s_delay_alu instid0(VALU_DEP_1) | instskip(SKIP_1) | instid1(SALU_CYCLE_1)
	v_cmp_ne_u32_e32 vcc_lo, 0x7f800000, v7
                                        ; implicit-def: $vgpr7
	s_and_saveexec_b32 s4, vcc_lo
	s_xor_b32 s4, exec_lo, s4
; %bb.103:
	v_bfe_u32 v7, v135, 16, 1
	s_delay_alu instid0(VALU_DEP_1)
	v_add3_u32 v7, v135, v7, 0x7fff
; %bb.104:
	s_and_not1_saveexec_b32 s4, s4
; %bb.105:
	v_and_b32_e32 v7, 0xffff, v135
	v_or_b32_e32 v8, 0x10000, v135
	s_delay_alu instid0(VALU_DEP_2) | instskip(NEXT) | instid1(VALU_DEP_2)
	v_cmp_eq_u32_e32 vcc_lo, 0, v7
	v_cndmask_b32_e32 v7, v8, v135, vcc_lo
; %bb.106:
	s_or_b32 exec_lo, exec_lo, s4
	v_and_b32_e32 v8, 0x7f800000, v136
	s_delay_alu instid0(VALU_DEP_1) | instskip(SKIP_1) | instid1(SALU_CYCLE_1)
	v_cmp_ne_u32_e32 vcc_lo, 0x7f800000, v8
                                        ; implicit-def: $vgpr8
	s_and_saveexec_b32 s4, vcc_lo
	s_xor_b32 s4, exec_lo, s4
; %bb.107:
	v_bfe_u32 v8, v136, 16, 1
	s_delay_alu instid0(VALU_DEP_1)
	v_add3_u32 v8, v136, v8, 0x7fff
                                        ; implicit-def: $vgpr129_vgpr130_vgpr131_vgpr132_vgpr133_vgpr134_vgpr135_vgpr136
; %bb.108:
	s_and_not1_saveexec_b32 s4, s4
; %bb.109:
	v_and_b32_e32 v8, 0xffff, v136
	v_or_b32_e32 v9, 0x10000, v136
	s_delay_alu instid0(VALU_DEP_2) | instskip(NEXT) | instid1(VALU_DEP_2)
	v_cmp_eq_u32_e32 vcc_lo, 0, v8
	v_cndmask_b32_e32 v8, v9, v136, vcc_lo
; %bb.110:
	s_or_b32 exec_lo, exec_lo, s4
	s_delay_alu instid0(VALU_DEP_1)
	v_perm_b32 v7, v8, v7, 0x7060302
	v_perm_b32 v6, v6, v5, 0x7060302
	;; [unrolled: 1-line block ×4, first 2 shown]
	v_lshl_or_b32 v9, v146, 4, v141
	s_barrier
	buffer_gl0_inv
	v_cmp_eq_u32_e32 vcc_lo, 1, v138
	ds_store_b128 v9, v[4:7]
	s_waitcnt lgkmcnt(0)
	s_barrier
	buffer_gl0_inv
	ds_load_b128 v[1:4], v141
	ds_load_b128 v[5:8], v141 offset:16
	v_cmp_eq_u32_e64 s5, 2, v138
	v_cmp_eq_u32_e64 s4, 1, v139
	;; [unrolled: 1-line block ×5, first 2 shown]
	s_waitcnt lgkmcnt(1)
	v_lshrrev_b32_e32 v10, 16, v1
	s_waitcnt lgkmcnt(0)
	v_lshrrev_b32_e32 v14, 16, v5
	v_lshrrev_b32_e32 v15, 16, v6
	;; [unrolled: 1-line block ×4, first 2 shown]
	v_cndmask_b32_e64 v20, v1, v10, s4
	v_cndmask_b32_e32 v19, v5, v14, vcc_lo
	v_cndmask_b32_e64 v21, v5, v14, s4
	v_lshrrev_b32_e32 v16, 16, v7
	v_cmp_eq_u32_e64 s4, 1, v137
	v_lshrrev_b32_e32 v13, 16, v4
	v_cndmask_b32_e64 v19, v19, v6, s5
	v_lshrrev_b32_e32 v17, 16, v8
	s_delay_alu instid0(VALU_DEP_4) | instskip(SKIP_1) | instid1(VALU_DEP_4)
	v_cndmask_b32_e64 v22, v1, v10, s4
	v_cndmask_b32_e64 v23, v5, v14, s4
	;; [unrolled: 1-line block ×3, first 2 shown]
	v_cndmask_b32_e32 v18, v1, v10, vcc_lo
	v_cmp_eq_u32_e32 vcc_lo, 2, v139
	v_cmp_eq_u32_e64 s4, 2, v142
	v_cndmask_b32_e64 v22, v22, v2, s8
	v_cndmask_b32_e32 v20, v20, v2, vcc_lo
	v_cndmask_b32_e32 v21, v21, v6, vcc_lo
	v_cmp_eq_u32_e32 vcc_lo, 4, v138
	v_cndmask_b32_e32 v19, v19, v7, vcc_lo
	v_cndmask_b32_e64 v18, v18, v2, s5
	v_cmp_eq_u32_e64 s5, 3, v139
	s_delay_alu instid0(VALU_DEP_2) | instskip(NEXT) | instid1(VALU_DEP_2)
	v_cndmask_b32_e64 v18, v18, v11, s6
	v_cndmask_b32_e64 v21, v21, v15, s5
	v_cmp_eq_u32_e64 s6, 5, v138
	s_delay_alu instid0(VALU_DEP_3) | instskip(SKIP_1) | instid1(VALU_DEP_3)
	v_cndmask_b32_e32 v18, v18, v3, vcc_lo
	v_cmp_eq_u32_e32 vcc_lo, 4, v139
	v_cndmask_b32_e64 v19, v19, v16, s6
	s_delay_alu instid0(VALU_DEP_3) | instskip(SKIP_4) | instid1(VALU_DEP_3)
	v_cndmask_b32_e64 v18, v18, v12, s6
	v_cndmask_b32_e32 v21, v21, v7, vcc_lo
	v_cndmask_b32_e64 v20, v20, v11, s5
	v_cmp_eq_u32_e64 s5, 5, v139
	v_cmp_eq_u32_e64 s6, 6, v138
	v_cndmask_b32_e32 v20, v20, v3, vcc_lo
	s_delay_alu instid0(VALU_DEP_3) | instskip(SKIP_1) | instid1(VALU_DEP_4)
	v_cndmask_b32_e64 v21, v21, v16, s5
	v_cmp_eq_u32_e32 vcc_lo, 6, v139
	v_cndmask_b32_e64 v18, v18, v4, s6
	v_cndmask_b32_e64 v19, v19, v8, s6
	;; [unrolled: 1-line block ×3, first 2 shown]
	v_cmp_eq_u32_e64 s5, 1, v142
	v_cmp_eq_u32_e64 s6, 7, v138
	s_delay_alu instid0(VALU_DEP_3) | instskip(NEXT) | instid1(VALU_DEP_3)
	v_cndmask_b32_e32 v20, v20, v4, vcc_lo
	v_cndmask_b32_e64 v1, v1, v10, s5
	v_cndmask_b32_e64 v5, v5, v14, s5
	v_cmp_eq_u32_e64 s5, 3, v137
	v_cndmask_b32_e64 v14, v23, v6, s8
	v_cmp_eq_u32_e64 s8, 3, v142
	v_cndmask_b32_e64 v1, v1, v2, s4
	v_cndmask_b32_e64 v2, v5, v6, s4
	v_cndmask_b32_e64 v10, v22, v11, s5
	v_cmp_eq_u32_e64 s4, 4, v137
	v_cndmask_b32_e64 v6, v14, v15, s5
	v_cndmask_b32_e64 v1, v1, v11, s8
	v_cmp_eq_u32_e64 s5, 4, v142
	v_cndmask_b32_e64 v2, v2, v15, s8
	v_cndmask_b32_e64 v5, v10, v3, s4
	;; [unrolled: 3-line block ×3, first 2 shown]
	v_cndmask_b32_e64 v2, v2, v7, s5
	v_cmp_eq_u32_e64 s4, 5, v142
	v_cndmask_b32_e64 v5, v5, v12, s8
	v_cmp_eq_u32_e64 s5, 6, v137
	v_cndmask_b32_e64 v3, v6, v16, s8
	v_cmp_eq_u32_e64 s8, 6, v142
	v_cndmask_b32_e64 v1, v1, v12, s4
	v_cndmask_b32_e64 v2, v2, v16, s4
	;; [unrolled: 1-line block ×4, first 2 shown]
	v_cmp_eq_u32_e64 s4, 7, v142
	v_cndmask_b32_e64 v1, v1, v4, s8
	v_cndmask_b32_e64 v2, v2, v8, s8
	v_cmp_eq_u32_e64 s5, 7, v137
	v_cndmask_b32_e32 v4, v21, v8, vcc_lo
	v_cndmask_b32_e64 v18, v18, v13, s6
	v_cndmask_b32_e64 v20, v20, v13, s7
	;; [unrolled: 1-line block ×8, first 2 shown]
	v_cmp_gt_u32_e32 vcc_lo, 32, v0
	v_perm_b32 v4, v2, v1, 0x5040100
	v_perm_b32 v3, v3, v5, 0x5040100
	;; [unrolled: 1-line block ×4, first 2 shown]
	s_and_b32 s2, vcc_lo, s2
	ds_store_b128 v9, v[1:4]
	s_waitcnt lgkmcnt(0)
	s_barrier
	buffer_gl0_inv
	s_and_saveexec_b32 s4, s2
	s_cbranch_execz .LBB426_2
; %bb.111:
	s_load_b64 s[4:5], s[0:1], 0x68
	v_lshlrev_b32_e32 v0, 10, v0
	v_add_nc_u32_e32 v2, s31, v146
	v_lshlrev_b32_e32 v3, 4, v147
	s_lshl_b32 s0, s36, 6
	s_delay_alu instid0(SALU_CYCLE_1) | instskip(NEXT) | instid1(VALU_DEP_2)
	s_mul_i32 s1, s0, s34
	v_mul_lo_u32 v1, v2, s0
	s_delay_alu instid0(VALU_DEP_2) | instskip(SKIP_2) | instid1(SALU_CYCLE_1)
	v_and_or_b32 v0, 0x3800, v0, v3
	v_add_nc_u32_e32 v2, 2, v2
	s_mul_i32 s6, s1, s9
	s_ashr_i32 s7, s6, 31
	s_delay_alu instid0(VALU_DEP_2)
	v_lshl_or_b32 v7, v146, 6, v0
	s_lshl_b64 s[6:7], s[6:7], 1
	v_mul_lo_u32 v11, v2, s0
	v_ashrrev_i32_e32 v2, 31, v1
	ds_load_b128 v[3:6], v7
	ds_load_b128 v[7:10], v7 offset:128
	s_waitcnt lgkmcnt(0)
	s_add_u32 s1, s4, s6
	s_addc_u32 s2, s5, s7
	s_lshl_b32 s4, s14, 6
	v_ashrrev_i32_e32 v12, 31, v11
	s_ashr_i32 s5, s4, 31
	v_lshlrev_b64 v[13:14], 1, v[1:2]
	s_lshl_b64 s[4:5], s[4:5], 1
	s_delay_alu instid0(SALU_CYCLE_1) | instskip(SKIP_2) | instid1(VALU_DEP_1)
	s_add_u32 s1, s1, s4
	s_addc_u32 s2, s2, s5
	v_add_co_u32 v1, s1, s1, v145
	v_add_co_ci_u32_e64 v2, null, s2, 0, s1
	v_lshlrev_b64 v[11:12], 1, v[11:12]
	s_delay_alu instid0(VALU_DEP_3) | instskip(NEXT) | instid1(VALU_DEP_3)
	v_add_co_u32 v13, vcc_lo, v1, v13
	v_add_co_ci_u32_e32 v14, vcc_lo, v2, v14, vcc_lo
	s_delay_alu instid0(VALU_DEP_3) | instskip(NEXT) | instid1(VALU_DEP_4)
	v_add_co_u32 v11, vcc_lo, v1, v11
	v_add_co_ci_u32_e32 v12, vcc_lo, v2, v12, vcc_lo
	s_clause 0x1
	global_store_b128 v[13:14], v[3:6], off
	global_store_b128 v[11:12], v[7:10], off
	s_and_b32 exec_lo, exec_lo, s3
	s_cbranch_execz .LBB426_2
; %bb.112:
	ds_load_b128 v[3:6], v0 offset:256
	s_add_i32 s1, s31, 4
	s_delay_alu instid0(SALU_CYCLE_1) | instskip(NEXT) | instid1(SALU_CYCLE_1)
	s_mul_i32 s0, s1, s0
	s_ashr_i32 s1, s0, 31
	s_delay_alu instid0(SALU_CYCLE_1) | instskip(NEXT) | instid1(SALU_CYCLE_1)
	s_lshl_b64 s[0:1], s[0:1], 1
	v_add_co_u32 v0, vcc_lo, v1, s0
	v_add_co_ci_u32_e32 v1, vcc_lo, s1, v2, vcc_lo
	s_waitcnt lgkmcnt(0)
	global_store_b128 v[0:1], v[3:6], off
	s_nop 0
	s_sendmsg sendmsg(MSG_DEALLOC_VGPRS)
	s_endpgm
	.section	.rodata,"a",@progbits
	.p2align	6, 0x0
	.amdhsa_kernel _Z39paged_attention_ll4mi_QKV_mfma16_kernelI14__hip_bfloat16S0_LN4vllm18Fp8KVCacheDataTypeE0EhLi16ELi64ELi256ELb0ELi5EL8MFMAType0EEvPKT_PKT0_S9_ifPKiSB_SB_iPKfiiiPfSE_PS4_PT2_iSD_SD_
		.amdhsa_group_segment_fixed_size 17472
		.amdhsa_private_segment_fixed_size 0
		.amdhsa_kernarg_size 400
		.amdhsa_user_sgpr_count 13
		.amdhsa_user_sgpr_dispatch_ptr 0
		.amdhsa_user_sgpr_queue_ptr 0
		.amdhsa_user_sgpr_kernarg_segment_ptr 1
		.amdhsa_user_sgpr_dispatch_id 0
		.amdhsa_user_sgpr_private_segment_size 0
		.amdhsa_wavefront_size32 1
		.amdhsa_uses_dynamic_stack 0
		.amdhsa_enable_private_segment 0
		.amdhsa_system_sgpr_workgroup_id_x 1
		.amdhsa_system_sgpr_workgroup_id_y 1
		.amdhsa_system_sgpr_workgroup_id_z 1
		.amdhsa_system_sgpr_workgroup_info 0
		.amdhsa_system_vgpr_workitem_id 0
		.amdhsa_next_free_vgpr 198
		.amdhsa_next_free_sgpr 52
		.amdhsa_reserve_vcc 1
		.amdhsa_float_round_mode_32 0
		.amdhsa_float_round_mode_16_64 0
		.amdhsa_float_denorm_mode_32 3
		.amdhsa_float_denorm_mode_16_64 3
		.amdhsa_dx10_clamp 1
		.amdhsa_ieee_mode 1
		.amdhsa_fp16_overflow 0
		.amdhsa_workgroup_processor_mode 1
		.amdhsa_memory_ordered 1
		.amdhsa_forward_progress 0
		.amdhsa_shared_vgpr_count 0
		.amdhsa_exception_fp_ieee_invalid_op 0
		.amdhsa_exception_fp_denorm_src 0
		.amdhsa_exception_fp_ieee_div_zero 0
		.amdhsa_exception_fp_ieee_overflow 0
		.amdhsa_exception_fp_ieee_underflow 0
		.amdhsa_exception_fp_ieee_inexact 0
		.amdhsa_exception_int_div_zero 0
	.end_amdhsa_kernel
	.section	.text._Z39paged_attention_ll4mi_QKV_mfma16_kernelI14__hip_bfloat16S0_LN4vllm18Fp8KVCacheDataTypeE0EhLi16ELi64ELi256ELb0ELi5EL8MFMAType0EEvPKT_PKT0_S9_ifPKiSB_SB_iPKfiiiPfSE_PS4_PT2_iSD_SD_,"axG",@progbits,_Z39paged_attention_ll4mi_QKV_mfma16_kernelI14__hip_bfloat16S0_LN4vllm18Fp8KVCacheDataTypeE0EhLi16ELi64ELi256ELb0ELi5EL8MFMAType0EEvPKT_PKT0_S9_ifPKiSB_SB_iPKfiiiPfSE_PS4_PT2_iSD_SD_,comdat
.Lfunc_end426:
	.size	_Z39paged_attention_ll4mi_QKV_mfma16_kernelI14__hip_bfloat16S0_LN4vllm18Fp8KVCacheDataTypeE0EhLi16ELi64ELi256ELb0ELi5EL8MFMAType0EEvPKT_PKT0_S9_ifPKiSB_SB_iPKfiiiPfSE_PS4_PT2_iSD_SD_, .Lfunc_end426-_Z39paged_attention_ll4mi_QKV_mfma16_kernelI14__hip_bfloat16S0_LN4vllm18Fp8KVCacheDataTypeE0EhLi16ELi64ELi256ELb0ELi5EL8MFMAType0EEvPKT_PKT0_S9_ifPKiSB_SB_iPKfiiiPfSE_PS4_PT2_iSD_SD_
                                        ; -- End function
	.section	.AMDGPU.csdata,"",@progbits
; Kernel info:
; codeLenInByte = 10016
; NumSgprs: 54
; NumVgprs: 198
; ScratchSize: 0
; MemoryBound: 0
; FloatMode: 240
; IeeeMode: 1
; LDSByteSize: 17472 bytes/workgroup (compile time only)
; SGPRBlocks: 6
; VGPRBlocks: 24
; NumSGPRsForWavesPerEU: 54
; NumVGPRsForWavesPerEU: 198
; Occupancy: 7
; WaveLimiterHint : 1
; COMPUTE_PGM_RSRC2:SCRATCH_EN: 0
; COMPUTE_PGM_RSRC2:USER_SGPR: 13
; COMPUTE_PGM_RSRC2:TRAP_HANDLER: 0
; COMPUTE_PGM_RSRC2:TGID_X_EN: 1
; COMPUTE_PGM_RSRC2:TGID_Y_EN: 1
; COMPUTE_PGM_RSRC2:TGID_Z_EN: 1
; COMPUTE_PGM_RSRC2:TIDIG_COMP_CNT: 0
	.section	.text._Z39paged_attention_ll4mi_QKV_mfma16_kernelI14__hip_bfloat16S0_LN4vllm18Fp8KVCacheDataTypeE0EhLi16ELi64ELi256ELb0ELi6EL8MFMAType0EEvPKT_PKT0_S9_ifPKiSB_SB_iPKfiiiPfSE_PS4_PT2_iSD_SD_,"axG",@progbits,_Z39paged_attention_ll4mi_QKV_mfma16_kernelI14__hip_bfloat16S0_LN4vllm18Fp8KVCacheDataTypeE0EhLi16ELi64ELi256ELb0ELi6EL8MFMAType0EEvPKT_PKT0_S9_ifPKiSB_SB_iPKfiiiPfSE_PS4_PT2_iSD_SD_,comdat
	.protected	_Z39paged_attention_ll4mi_QKV_mfma16_kernelI14__hip_bfloat16S0_LN4vllm18Fp8KVCacheDataTypeE0EhLi16ELi64ELi256ELb0ELi6EL8MFMAType0EEvPKT_PKT0_S9_ifPKiSB_SB_iPKfiiiPfSE_PS4_PT2_iSD_SD_ ; -- Begin function _Z39paged_attention_ll4mi_QKV_mfma16_kernelI14__hip_bfloat16S0_LN4vllm18Fp8KVCacheDataTypeE0EhLi16ELi64ELi256ELb0ELi6EL8MFMAType0EEvPKT_PKT0_S9_ifPKiSB_SB_iPKfiiiPfSE_PS4_PT2_iSD_SD_
	.globl	_Z39paged_attention_ll4mi_QKV_mfma16_kernelI14__hip_bfloat16S0_LN4vllm18Fp8KVCacheDataTypeE0EhLi16ELi64ELi256ELb0ELi6EL8MFMAType0EEvPKT_PKT0_S9_ifPKiSB_SB_iPKfiiiPfSE_PS4_PT2_iSD_SD_
	.p2align	8
	.type	_Z39paged_attention_ll4mi_QKV_mfma16_kernelI14__hip_bfloat16S0_LN4vllm18Fp8KVCacheDataTypeE0EhLi16ELi64ELi256ELb0ELi6EL8MFMAType0EEvPKT_PKT0_S9_ifPKiSB_SB_iPKfiiiPfSE_PS4_PT2_iSD_SD_,@function
_Z39paged_attention_ll4mi_QKV_mfma16_kernelI14__hip_bfloat16S0_LN4vllm18Fp8KVCacheDataTypeE0EhLi16ELi64ELi256ELb0ELi6EL8MFMAType0EEvPKT_PKT0_S9_ifPKiSB_SB_iPKfiiiPfSE_PS4_PT2_iSD_SD_: ; @_Z39paged_attention_ll4mi_QKV_mfma16_kernelI14__hip_bfloat16S0_LN4vllm18Fp8KVCacheDataTypeE0EhLi16ELi64ELi256ELb0ELi6EL8MFMAType0EEvPKT_PKT0_S9_ifPKiSB_SB_iPKfiiiPfSE_PS4_PT2_iSD_SD_
; %bb.0:
	s_load_b64 s[2:3], s[0:1], 0x30
	s_mov_b32 s30, s13
	s_waitcnt lgkmcnt(0)
	s_cmp_lg_u64 s[2:3], 0
	s_cselect_b32 s8, -1, 0
	s_ashr_i32 s31, s13, 31
	s_cmp_eq_u64 s[2:3], 0
	s_cbranch_scc1 .LBB427_3
; %bb.1:
	s_lshl_b64 s[4:5], s[30:31], 2
	s_delay_alu instid0(SALU_CYCLE_1) | instskip(SKIP_4) | instid1(SALU_CYCLE_1)
	s_add_u32 s4, s2, s4
	s_addc_u32 s5, s3, s5
	s_load_b64 s[4:5], s[4:5], 0x0
	s_waitcnt lgkmcnt(0)
	s_sub_i32 s4, s5, s4
	s_cmp_eq_u32 s4, 1
	s_cselect_b32 s4, -1, 0
	s_delay_alu instid0(SALU_CYCLE_1)
	s_and_not1_b32 vcc_lo, exec_lo, s4
	s_cbranch_vccz .LBB427_4
.LBB427_2:
	s_endpgm
.LBB427_3:
.LBB427_4:
	s_load_b64 s[4:5], s[0:1], 0x28
	s_lshl_b64 s[6:7], s[30:31], 2
	s_waitcnt lgkmcnt(0)
	s_add_u32 s4, s4, s6
	s_addc_u32 s5, s5, s7
	s_lshl_b32 s34, s14, 8
	s_load_b32 s33, s[4:5], 0x0
	s_waitcnt lgkmcnt(0)
	s_cmp_ge_i32 s34, s33
	s_cbranch_scc1 .LBB427_2
; %bb.5:
	s_clause 0x1
	s_load_b128 s[20:23], s[0:1], 0x8
	s_load_b64 s[4:5], s[0:1], 0x20
	s_and_not1_b32 vcc_lo, exec_lo, s8
	s_cbranch_vccnz .LBB427_7
; %bb.6:
	s_add_u32 s2, s2, s6
	s_addc_u32 s3, s3, s7
	s_load_b32 s3, s[2:3], 0x0
	s_branch .LBB427_8
.LBB427_7:
	s_mov_b32 s3, s30
.LBB427_8:
	s_load_b128 s[16:19], s[0:1], 0x48
	v_and_b32_e32 v148, 15, v0
	v_cmp_gt_u32_e32 vcc_lo, 0x60, v0
	v_lshrrev_b32_e32 v149, 5, v0
	v_and_b32_e32 v150, 31, v0
	v_and_b32_e32 v147, 1, v0
	v_lshlrev_b32_e32 v1, 3, v148
	v_cmp_gt_u32_e64 s2, 8, v148
	v_bfe_u32 v146, v0, 4, 1
	s_mul_i32 s31, s15, 6
	s_delay_alu instid0(VALU_DEP_3) | instskip(NEXT) | instid1(VALU_DEP_3)
	v_lshlrev_b32_e32 v145, 1, v1
	s_and_b32 s7, vcc_lo, s2
	s_delay_alu instid0(SALU_CYCLE_1)
	s_and_saveexec_b32 s6, s7
	s_cbranch_execz .LBB427_10
; %bb.9:
	s_load_b64 s[8:9], s[0:1], 0x0
	v_lshl_or_b32 v5, v149, 1, v146
	s_waitcnt lgkmcnt(0)
	s_mul_hi_i32 s11, s3, s16
	s_mul_i32 s10, s3, s16
	v_lshlrev_b32_e32 v6, 10, v148
	s_lshl_b64 s[10:11], s[10:11], 1
	v_add_lshl_u32 v1, v5, s31, 6
	v_lshlrev_b32_e32 v5, 6, v5
	v_lshlrev_b32_e32 v7, 10, v147
	v_and_b32_e32 v6, 0x3800, v6
	s_delay_alu instid0(VALU_DEP_4) | instskip(NEXT) | instid1(VALU_DEP_2)
	v_ashrrev_i32_e32 v2, 31, v1
	v_or3_b32 v5, v6, v7, v5
	s_delay_alu instid0(VALU_DEP_2) | instskip(SKIP_2) | instid1(VALU_DEP_1)
	v_lshlrev_b64 v[1:2], 1, v[1:2]
	s_add_u32 s3, s8, s10
	s_addc_u32 s7, s9, s11
	v_add_co_u32 v1, vcc_lo, s3, v1
	s_delay_alu instid0(VALU_DEP_2) | instskip(NEXT) | instid1(VALU_DEP_2)
	v_add_co_ci_u32_e32 v2, vcc_lo, s7, v2, vcc_lo
	v_add_co_u32 v1, vcc_lo, v1, v145
	s_delay_alu instid0(VALU_DEP_2)
	v_add_co_ci_u32_e32 v2, vcc_lo, 0, v2, vcc_lo
	global_load_b128 v[1:4], v[1:2], off
	s_waitcnt vmcnt(0)
	ds_store_b128 v5, v[1:4]
.LBB427_10:
	s_or_b32 exec_lo, exec_lo, s6
	v_and_b32_e32 v1, 0xef, v0
	s_waitcnt lgkmcnt(0)
	s_add_i32 s3, s33, 15
	s_clause 0x1
	s_load_b32 s6, s[0:1], 0x38
	s_load_b32 s35, s[0:1], 0x1c
	s_ashr_i32 s7, s3, 31
	v_add_nc_u32_e32 v1, s34, v1
	s_lshr_b32 s7, s7, 28
	s_waitcnt lgkmcnt(0)
	s_add_i32 s3, s3, s7
	s_barrier
	v_ashrrev_i32_e32 v2, 31, v1
	v_or_b32_e32 v3, 16, v1
	s_ashr_i32 s3, s3, 4
	v_cmp_gt_i32_e32 vcc_lo, s33, v1
	s_add_i32 s3, s3, -1
	v_lshrrev_b32_e32 v2, 28, v2
	buffer_gl0_inv
	v_mul_lo_u16 v21, v148, 43
	v_lshlrev_b32_e32 v22, 5, v148
	v_add_nc_u32_e32 v4, v1, v2
	s_mul_i32 s6, s30, s6
	s_delay_alu instid0(VALU_DEP_3) | instskip(SKIP_1) | instid1(VALU_DEP_2)
	v_lshrrev_b16 v21, 8, v21
	s_ashr_i32 s7, s6, 31
	v_ashrrev_i32_e32 v4, 4, v4
	v_add_nc_u32_e32 v2, v3, v2
	s_lshl_b64 s[6:7], s[6:7], 2
	v_mul_lo_u16 v21, v21, 6
	s_add_u32 s16, s4, s6
	v_cndmask_b32_e32 v1, s3, v4, vcc_lo
	v_ashrrev_i32_e32 v2, 4, v2
	v_cmp_gt_i32_e32 vcc_lo, s33, v3
	s_addc_u32 s36, s5, s7
	s_mul_i32 s4, s15, s18
	v_sub_nc_u16 v21, v148, v21
	s_ashr_i32 s5, s4, 31
	v_cndmask_b32_e32 v3, s3, v2, vcc_lo
	v_ashrrev_i32_e32 v2, 31, v1
	s_lshl_b64 s[12:13], s[4:5], 1
	v_and_b32_e32 v21, 0xff, v21
	s_add_u32 s26, s20, s12
	v_ashrrev_i32_e32 v4, 31, v3
	v_lshlrev_b64 v[1:2], 2, v[1:2]
	s_addc_u32 s27, s21, s13
	s_lshl_b32 s4, s14, 4
	v_lshlrev_b32_e32 v197, 6, v21
	v_lshlrev_b64 v[3:4], 2, v[3:4]
	s_ashr_i32 s5, s4, 31
	v_add_co_u32 v1, vcc_lo, s16, v1
	v_add_co_ci_u32_e32 v2, vcc_lo, s36, v2, vcc_lo
	s_delay_alu instid0(VALU_DEP_3) | instskip(NEXT) | instid1(VALU_DEP_4)
	v_add_co_u32 v3, vcc_lo, s16, v3
	v_add_co_ci_u32_e32 v4, vcc_lo, s36, v4, vcc_lo
	s_clause 0x1
	global_load_b32 v5, v[1:2], off
	global_load_b32 v6, v[3:4], off
	s_lshl_b64 s[4:5], s[4:5], 2
	v_lshlrev_b32_e32 v3, 4, v0
	s_add_u32 s4, s16, s4
	s_addc_u32 s5, s36, s5
	s_or_b32 s6, s34, 16
	v_lshl_or_b32 v22, v149, 9, v22
	s_ashr_i32 s7, s6, 4
	s_cmp_lt_i32 s6, s33
	s_cselect_b32 s6, s7, s3
	s_delay_alu instid0(SALU_CYCLE_1) | instskip(NEXT) | instid1(SALU_CYCLE_1)
	s_ashr_i32 s7, s6, 31
	s_lshl_b64 s[6:7], s[6:7], 2
	s_delay_alu instid0(SALU_CYCLE_1) | instskip(SKIP_2) | instid1(SALU_CYCLE_1)
	s_add_u32 s6, s16, s6
	s_addc_u32 s7, s36, s7
	s_or_b32 s8, s34, 32
	s_ashr_i32 s9, s8, 4
	s_cmp_lt_i32 s8, s33
	s_cselect_b32 s8, s9, s3
	s_delay_alu instid0(SALU_CYCLE_1) | instskip(NEXT) | instid1(SALU_CYCLE_1)
	s_ashr_i32 s9, s8, 31
	s_lshl_b64 s[8:9], s[8:9], 2
	s_delay_alu instid0(SALU_CYCLE_1) | instskip(SKIP_2) | instid1(SALU_CYCLE_1)
	s_add_u32 s8, s16, s8
	s_addc_u32 s9, s36, s9
	s_or_b32 s10, s34, 48
	;; [unrolled: 10-line block ×4, first 2 shown]
	s_ashr_i32 s18, s15, 4
	s_cmp_lt_i32 s15, s33
	s_cselect_b32 s18, s18, s3
	s_delay_alu instid0(SALU_CYCLE_1) | instskip(NEXT) | instid1(SALU_CYCLE_1)
	s_ashr_i32 s19, s18, 31
	s_lshl_b64 s[18:19], s[18:19], 2
	s_delay_alu instid0(SALU_CYCLE_1)
	s_add_u32 s24, s16, s18
	s_addc_u32 s25, s36, s19
	s_clause 0x5
	s_load_b32 s37, s[4:5], 0x0
	s_load_b32 s29, s[6:7], 0x0
	;; [unrolled: 1-line block ×6, first 2 shown]
	s_waitcnt vmcnt(1)
	v_mad_i64_i32 v[1:2], null, v5, s17, 0
	v_and_b32_e32 v5, 0xf0, v3
	s_waitcnt vmcnt(0)
	v_mad_i64_i32 v[3:4], null, v6, s17, 0
	s_delay_alu instid0(VALU_DEP_2) | instskip(NEXT) | instid1(VALU_DEP_4)
	v_add_co_u32 v5, s4, s26, v5
	v_lshlrev_b64 v[1:2], 1, v[1:2]
	v_add_co_ci_u32_e64 v6, null, s27, 0, s4
	s_delay_alu instid0(VALU_DEP_4) | instskip(SKIP_1) | instid1(VALU_DEP_3)
	v_lshlrev_b64 v[3:4], 1, v[3:4]
	s_or_b32 s4, s34, 0x60
	v_add_co_u32 v19, vcc_lo, v5, v1
	s_delay_alu instid0(VALU_DEP_3) | instskip(NEXT) | instid1(VALU_DEP_3)
	v_add_co_ci_u32_e32 v20, vcc_lo, v6, v2, vcc_lo
	v_add_co_u32 v17, vcc_lo, v5, v3
	s_delay_alu instid0(VALU_DEP_4)
	v_add_co_ci_u32_e32 v18, vcc_lo, v6, v4, vcc_lo
	s_clause 0xb
	global_load_b128 v[1:4], v[19:20], off
	global_load_b128 v[5:8], v[19:20], off offset:256
	global_load_b128 v[129:132], v[17:18], off
	global_load_b128 v[133:136], v[17:18], off offset:256
	global_load_b128 v[33:36], v[19:20], off offset:512
	global_load_b128 v[37:40], v[19:20], off offset:768
	global_load_b128 v[25:28], v[17:18], off offset:512
	global_load_b128 v[29:32], v[17:18], off offset:768
	global_load_b128 v[9:12], v[19:20], off offset:1024
	global_load_b128 v[13:16], v[19:20], off offset:1280
	global_load_b128 v[151:154], v[17:18], off offset:1024
	global_load_b128 v[155:158], v[17:18], off offset:1280
	ds_load_b128 v[159:162], v197
	ds_load_b128 v[163:166], v197 offset:1024
	s_clause 0x3
	global_load_b128 v[167:170], v[19:20], off offset:1536
	global_load_b128 v[171:174], v[19:20], off offset:1792
	;; [unrolled: 1-line block ×4, first 2 shown]
	s_ashr_i32 s5, s4, 4
	s_cmp_lt_i32 s4, s33
	s_cselect_b32 s4, s5, s3
	s_delay_alu instid0(SALU_CYCLE_1) | instskip(NEXT) | instid1(SALU_CYCLE_1)
	s_ashr_i32 s5, s4, 31
	s_lshl_b64 s[4:5], s[4:5], 2
	s_delay_alu instid0(SALU_CYCLE_1) | instskip(SKIP_2) | instid1(SALU_CYCLE_1)
	s_add_u32 s20, s16, s4
	s_addc_u32 s21, s36, s5
	s_or_b32 s4, s34, 0x70
	s_ashr_i32 s5, s4, 4
	s_cmp_lt_i32 s4, s33
	s_cselect_b32 s4, s5, s3
	s_delay_alu instid0(SALU_CYCLE_1) | instskip(NEXT) | instid1(SALU_CYCLE_1)
	s_ashr_i32 s5, s4, 31
	s_lshl_b64 s[6:7], s[4:5], 2
	s_mov_b32 s4, 0
	s_add_u32 s24, s16, s6
	s_addc_u32 s25, s36, s7
	s_or_b32 s5, s34, 0x80
	s_mov_b32 s11, s4
	s_ashr_i32 s6, s5, 4
	s_cmp_lt_i32 s5, s33
	s_mov_b32 s5, s4
	s_cselect_b32 s8, s6, s3
	s_mov_b32 s6, s4
	s_ashr_i32 s9, s8, 31
	s_mov_b32 s7, s4
	s_lshl_b64 s[8:9], s[8:9], 2
	s_load_b32 s46, s[24:25], 0x0
	s_add_u32 s26, s16, s8
	s_addc_u32 s27, s36, s9
	s_or_b32 s9, s34, 0x90
	s_load_b32 s47, s[26:27], 0x0
	s_ashr_i32 s10, s9, 4
	s_cmp_lt_i32 s9, s33
	s_mov_b32 s8, s4
	s_cselect_b32 s38, s10, s3
	s_mov_b32 s9, s4
	s_ashr_i32 s39, s38, 31
	s_mov_b32 s10, s4
	s_lshl_b64 s[38:39], s[38:39], 2
	v_mov_b32_e32 v144, s11
	s_add_u32 s38, s16, s38
	s_addc_u32 s39, s36, s39
	s_or_b32 s40, s34, 0xa0
	v_mov_b32_e32 v143, s10
	s_ashr_i32 s41, s40, 4
	s_cmp_lt_i32 s40, s33
	v_mov_b32_e32 v142, s9
	s_cselect_b32 s40, s41, s3
	v_mov_b32_e32 v141, s8
	s_ashr_i32 s41, s40, 31
	v_dual_mov_b32 v140, s7 :: v_dual_mov_b32 v139, s6
	v_dual_mov_b32 v138, s5 :: v_dual_mov_b32 v137, s4
	s_lshl_b64 s[4:5], s[40:41], 2
	s_waitcnt lgkmcnt(0)
	s_mul_hi_i32 s7, s29, s17
	s_add_u32 s42, s16, s4
	s_addc_u32 s43, s36, s5
	s_or_b32 s4, s34, 0xb0
	s_mul_hi_i32 s5, s37, s17
	s_ashr_i32 s6, s4, 4
	s_cmp_lt_i32 s4, s33
	s_mul_i32 s4, s37, s17
	s_cselect_b32 s8, s6, s3
	s_mul_i32 s6, s29, s17
	s_ashr_i32 s9, s8, 31
	s_load_b32 s41, s[20:21], 0x0
	s_lshl_b64 s[8:9], s[8:9], 2
	s_load_b32 s40, s[38:39], 0x0
	s_add_u32 s44, s16, s8
	s_addc_u32 s45, s36, s9
	s_or_b32 s8, s34, 0xc0
	s_mul_hi_i32 s9, s28, s17
	s_ashr_i32 s10, s8, 4
	s_cmp_lt_i32 s8, s33
	s_mul_i32 s8, s28, s17
	s_cselect_b32 s28, s10, s3
	s_load_b32 s39, s[42:43], 0x0
	s_ashr_i32 s29, s28, 31
	s_mul_hi_i32 s21, s15, s17
	s_lshl_b64 s[28:29], s[28:29], 2
	s_mul_hi_i32 s27, s46, s17
	s_add_u32 s28, s16, s28
	s_addc_u32 s29, s36, s29
	s_or_b32 s37, s34, 0xd0
	s_mul_i32 s26, s46, s17
	s_ashr_i32 s20, s37, 4
	s_cmp_lt_i32 s37, s33
	s_mul_hi_i32 s11, s19, s17
	s_cselect_b32 s24, s20, s3
	s_mul_i32 s20, s15, s17
	s_ashr_i32 s25, s24, 31
	s_mul_i32 s10, s19, s17
	s_lshl_b64 s[24:25], s[24:25], 2
	s_mul_hi_i32 s19, s18, s17
	s_add_u32 s24, s16, s24
	s_addc_u32 s25, s36, s25
	s_or_b32 s42, s34, 0xe0
	s_clause 0x2
	s_load_b32 s38, s[44:45], 0x0
	s_load_b32 s37, s[28:29], 0x0
	s_load_b32 s15, s[24:25], 0x0
	s_ashr_i32 s43, s42, 4
	s_cmp_lt_i32 s42, s33
	s_mul_hi_i32 s29, s47, s17
	s_cselect_b32 s42, s43, s3
	s_mul_i32 s28, s47, s17
	s_ashr_i32 s43, s42, 31
	s_mul_i32 s18, s18, s17
	s_lshl_b64 s[42:43], s[42:43], 2
	s_waitcnt lgkmcnt(0)
	s_mul_hi_i32 s25, s41, s17
	s_add_u32 s42, s16, s42
	s_addc_u32 s43, s36, s43
	s_or_b32 s46, s34, 0xf0
	s_mul_i32 s24, s41, s17
	s_ashr_i32 s47, s46, 4
	s_cmp_lt_i32 s46, s33
	s_mul_hi_i32 s41, s40, s17
	s_cselect_b32 s46, s47, s3
	s_mul_i32 s40, s40, s17
	s_ashr_i32 s47, s46, 31
	s_mul_hi_i32 s51, s15, s17
	s_lshl_b64 s[46:47], s[46:47], 2
	s_mul_i32 s50, s15, s17
	s_add_u32 s46, s16, s46
	s_addc_u32 s47, s36, s47
	s_add_u32 s3, s22, s12
	s_addc_u32 s15, s23, s13
	v_add_co_u32 v195, s3, s3, v22
	s_delay_alu instid0(VALU_DEP_1) | instskip(SKIP_2) | instid1(VALU_DEP_2)
	v_add_co_ci_u32_e64 v196, null, s15, 0, s3
	s_lshl_b64 s[4:5], s[4:5], 1
	s_lshl_b64 s[6:7], s[6:7], 1
	v_add_co_u32 v17, vcc_lo, v195, s4
	s_delay_alu instid0(VALU_DEP_2)
	v_add_co_ci_u32_e32 v18, vcc_lo, s5, v196, vcc_lo
	v_add_co_u32 v19, vcc_lo, v195, s6
	s_lshl_b64 s[8:9], s[8:9], 1
	v_add_co_ci_u32_e32 v20, vcc_lo, s7, v196, vcc_lo
	v_add_co_u32 v21, vcc_lo, v195, s8
	s_lshl_b64 s[10:11], s[10:11], 1
	;; [unrolled: 3-line block ×8, first 2 shown]
	s_mul_hi_i32 s45, s39, s17
	s_mul_i32 s44, s39, s17
	v_add_co_ci_u32_e32 v50, vcc_lo, s25, v196, vcc_lo
	v_add_co_u32 v53, vcc_lo, v195, s26
	s_lshl_b64 s[28:29], s[44:45], 1
	s_mul_hi_i32 s39, s38, s17
	s_mul_i32 s38, s38, s17
	v_add_co_ci_u32_e32 v54, vcc_lo, s27, v196, vcc_lo
	v_add_co_u32 v183, vcc_lo, v195, s28
	s_mul_hi_i32 s49, s37, s17
	s_mul_i32 s48, s37, s17
	s_lshl_b64 s[36:37], s[38:39], 1
	v_add_co_ci_u32_e32 v184, vcc_lo, s29, v196, vcc_lo
	v_add_co_u32 v185, vcc_lo, v195, s36
	s_lshl_b64 s[38:39], s[48:49], 1
	s_clause 0x1
	s_load_b32 s3, s[42:43], 0x0
	s_load_b32 s15, s[46:47], 0x0
	v_add_co_ci_u32_e32 v186, vcc_lo, s37, v196, vcc_lo
	v_add_co_u32 v191, vcc_lo, v195, s38
	v_add_co_ci_u32_e32 v192, vcc_lo, s39, v196, vcc_lo
	s_clause 0x17
	global_load_b128 v[121:124], v[17:18], off
	global_load_b128 v[125:128], v[17:18], off offset:16
	global_load_b128 v[113:116], v[19:20], off
	global_load_b128 v[117:120], v[19:20], off offset:16
	global_load_b128 v[105:108], v[21:22], off
	global_load_b128 v[109:112], v[21:22], off offset:16
	global_load_b128 v[97:100], v[23:24], off
	global_load_b128 v[101:104], v[23:24], off offset:16
	global_load_b128 v[89:92], v[41:42], off
	global_load_b128 v[93:96], v[41:42], off offset:16
	global_load_b128 v[81:84], v[43:44], off
	global_load_b128 v[85:88], v[43:44], off offset:16
	global_load_b128 v[73:76], v[45:46], off
	global_load_b128 v[77:80], v[45:46], off offset:16
	global_load_b128 v[57:60], v[47:48], off
	global_load_b128 v[61:64], v[47:48], off offset:16
	global_load_b128 v[65:68], v[49:50], off
	global_load_b128 v[69:72], v[49:50], off offset:16
	global_load_b128 v[49:52], v[53:54], off
	global_load_b128 v[53:56], v[53:54], off offset:16
	global_load_b128 v[41:44], v[183:184], off
	global_load_b128 v[45:48], v[183:184], off offset:16
	global_load_b128 v[17:20], v[185:186], off
	global_load_b128 v[21:24], v[185:186], off offset:16
	s_lshl_b64 s[40:41], s[50:51], 1
	s_delay_alu instid0(SALU_CYCLE_1)
	v_add_co_u32 v193, vcc_lo, v195, s40
	v_add_co_ci_u32_e32 v194, vcc_lo, s41, v196, vcc_lo
	s_waitcnt lgkmcnt(0)
	s_mul_hi_i32 s5, s3, s17
	s_mul_i32 s4, s3, s17
	s_mul_hi_i32 s7, s15, s17
	s_lshl_b64 s[4:5], s[4:5], 1
	s_mul_i32 s6, s15, s17
	s_waitcnt vmcnt(38)
	v_wmma_f32_16x16x16_bf16 v[183:190], v[1:8], v[159:166], v[137:144]
	s_waitcnt vmcnt(36)
	v_wmma_f32_16x16x16_bf16 v[137:144], v[129:136], v[159:166], v[137:144]
	s_clause 0x1
	global_load_b128 v[1:4], v[191:192], off
	global_load_b128 v[5:8], v[191:192], off offset:16
	ds_load_b128 v[129:132], v197 offset:2048
	ds_load_b128 v[133:136], v197 offset:3072
	;; [unrolled: 1-line block ×4, first 2 shown]
	v_add_co_u32 v191, vcc_lo, v195, s4
	v_add_co_ci_u32_e32 v192, vcc_lo, s5, v196, vcc_lo
	s_lshl_b64 s[4:5], s[6:7], 1
	s_delay_alu instid0(SALU_CYCLE_1)
	v_add_co_u32 v195, vcc_lo, v195, s4
	v_add_co_ci_u32_e32 v196, vcc_lo, s5, v196, vcc_lo
	s_waitcnt vmcnt(36) lgkmcnt(2)
	v_wmma_f32_16x16x16_bf16 v[183:190], v[33:40], v[129:136], v[183:190]
	s_waitcnt vmcnt(34)
	v_wmma_f32_16x16x16_bf16 v[137:144], v[25:32], v[129:136], v[137:144]
	s_clause 0x3
	global_load_b128 v[25:28], v[193:194], off
	global_load_b128 v[29:32], v[193:194], off offset:16
	global_load_b128 v[33:36], v[191:192], off
	global_load_b128 v[37:40], v[191:192], off offset:16
	v_and_b32_e32 v129, 0xe0, v0
	v_mbcnt_lo_u32_b32 v191, -1, 0
	s_waitcnt vmcnt(36) lgkmcnt(0)
	v_wmma_f32_16x16x16_bf16 v[183:190], v[9:16], v[159:166], v[183:190]
	s_clause 0x1
	global_load_b128 v[9:12], v[195:196], off
	global_load_b128 v[13:16], v[195:196], off offset:16
	s_waitcnt vmcnt(36)
	v_wmma_f32_16x16x16_bf16 v[137:144], v[151:158], v[159:166], v[137:144]
	v_add_nc_u32_e32 v192, s34, v129
	ds_load_b128 v[129:132], v197 offset:6144
	ds_load_b128 v[133:136], v197 offset:7168
	v_xor_b32_e32 v151, 16, v191
	s_waitcnt vmcnt(0) lgkmcnt(0)
	s_barrier
	v_or_b32_e32 v152, v192, v146
	buffer_gl0_inv
	v_cmp_gt_i32_e32 vcc_lo, 32, v151
	v_or_b32_e32 v153, 2, v152
	v_or_b32_e32 v154, 4, v152
	;; [unrolled: 1-line block ×5, first 2 shown]
	v_cmp_gt_i32_e64 s3, s33, v153
	v_or_b32_e32 v158, 12, v152
	v_cmp_gt_i32_e64 s4, s33, v154
	v_cmp_gt_i32_e64 s5, s33, v155
	v_or_b32_e32 v159, 14, v152
	v_cmp_gt_i32_e64 s6, s33, v156
	v_wmma_f32_16x16x16_bf16 v[183:190], v[167:174], v[129:136], v[183:190]
	v_wmma_f32_16x16x16_bf16 v[137:144], v[175:182], v[129:136], v[137:144]
	v_cndmask_b32_e32 v151, v191, v151, vcc_lo
	v_cmp_gt_i32_e32 vcc_lo, s33, v152
	v_cmp_gt_i32_e64 s7, s33, v157
	v_dual_mul_f32 v135, s35, v184 :: v_dual_mul_f32 v136, s35, v183
	v_mul_f32_e32 v134, s35, v185
	v_dual_mul_f32 v168, s35, v144 :: v_dual_mul_f32 v133, s35, v186
	s_delay_alu instid0(VALU_DEP_3) | instskip(NEXT) | instid1(VALU_DEP_4)
	v_cndmask_b32_e64 v135, 0xff7fffff, v135, s3
	v_cndmask_b32_e32 v136, 0xff7fffff, v136, vcc_lo
	v_dual_mul_f32 v131, s35, v188 :: v_dual_mul_f32 v174, s35, v138
	v_mul_f32_e32 v132, s35, v187
	v_cndmask_b32_e64 v134, 0xff7fffff, v134, s4
	s_delay_alu instid0(VALU_DEP_4)
	v_max3_f32 v135, v136, 0xff7fffff, v135
	v_cmp_gt_i32_e64 s8, s33, v158
	v_lshlrev_b32_e32 v158, 2, v151
	v_cndmask_b32_e64 v133, 0xff7fffff, v133, s5
	v_or_b32_e32 v160, 16, v152
	v_or_b32_e32 v161, 18, v152
	v_dual_mul_f32 v129, s35, v190 :: v_dual_mul_f32 v172, s35, v140
	v_mul_f32_e32 v130, s35, v189
	v_cndmask_b32_e64 v132, 0xff7fffff, v132, s6
	v_cndmask_b32_e64 v131, 0xff7fffff, v131, s7
	v_max3_f32 v133, v135, v134, v133
	v_cmp_gt_i32_e64 s9, s33, v159
	v_or_b32_e32 v162, 20, v152
	v_or_b32_e32 v163, 22, v152
	v_mul_f32_e32 v175, s35, v137
	v_cndmask_b32_e64 v130, 0xff7fffff, v130, s8
	v_cndmask_b32_e64 v129, 0xff7fffff, v129, s9
	v_max3_f32 v131, v133, v132, v131
	v_cmp_gt_i32_e64 s10, s33, v160
	v_cmp_gt_i32_e64 s11, s33, v161
	v_or_b32_e32 v164, 24, v152
	v_or_b32_e32 v165, 26, v152
	v_mul_f32_e32 v173, s35, v139
	v_cndmask_b32_e64 v132, 0xff7fffff, v175, s10
	v_cndmask_b32_e64 v133, 0xff7fffff, v174, s11
	v_max3_f32 v129, v131, v130, v129
	v_cmp_gt_i32_e64 s12, s33, v162
	v_cmp_gt_i32_e64 s13, s33, v163
	v_or_b32_e32 v166, 28, v152
	v_or_b32_e32 v167, 30, v152
	v_dual_mul_f32 v170, s35, v142 :: v_dual_mul_f32 v171, s35, v141
	v_cndmask_b32_e64 v130, 0xff7fffff, v173, s12
	v_cndmask_b32_e64 v131, 0xff7fffff, v172, s13
	v_max3_f32 v129, v129, v132, v133
	v_cmp_gt_i32_e64 s15, s33, v164
	v_cmp_gt_i32_e64 s16, s33, v165
	v_mul_f32_e32 v169, s35, v143
	v_cmp_gt_i32_e64 s17, s33, v166
	v_max3_f32 v129, v129, v130, v131
	v_cndmask_b32_e64 v132, 0xff7fffff, v171, s15
	v_cndmask_b32_e64 v133, 0xff7fffff, v170, s16
	v_cmp_gt_i32_e64 s18, s33, v167
	v_cndmask_b32_e64 v130, 0xff7fffff, v169, s17
	s_delay_alu instid0(VALU_DEP_3) | instskip(NEXT) | instid1(VALU_DEP_3)
	v_max3_f32 v129, v129, v132, v133
	v_cndmask_b32_e64 v131, 0xff7fffff, v168, s18
	s_delay_alu instid0(VALU_DEP_1) | instskip(SKIP_3) | instid1(VALU_DEP_1)
	v_max3_f32 v129, v129, v130, v131
	ds_bpermute_b32 v130, v158, v129
	s_waitcnt lgkmcnt(0)
	v_max_f32_e32 v130, v130, v130
	v_max_f32_e32 v129, v129, v130
	s_delay_alu instid0(VALU_DEP_1)
	v_fma_f32 v130, s35, v183, -v129
	v_fma_f32 v132, s35, v185, -v129
	;; [unrolled: 1-line block ×5, first 2 shown]
	v_mul_f32_e32 v130, 0x3fb8aa3b, v130
	v_mul_f32_e32 v132, 0x3fb8aa3b, v132
	v_fma_f32 v135, s35, v189, -v129
	v_mul_f32_e32 v134, 0x3fb8aa3b, v134
	s_delay_alu instid0(VALU_DEP_4) | instskip(NEXT) | instid1(VALU_DEP_3)
	v_exp_f32_e32 v130, v130
	v_exp_f32_e32 v132, v132
	s_delay_alu instid0(VALU_DEP_1) | instskip(NEXT) | instid1(TRANS32_DEP_3)
	v_exp_f32_e32 v134, v134
	v_cndmask_b32_e32 v152, 0, v130, vcc_lo
	v_fma_f32 v130, s35, v188, -v129
	v_mul_f32_e32 v131, 0x3fb8aa3b, v131
	s_waitcnt_depctr 0xfff
	v_cndmask_b32_e64 v153, 0, v132, s4
	v_fma_f32 v132, s35, v190, -v129
	v_dual_mul_f32 v133, 0x3fb8aa3b, v133 :: v_dual_mul_f32 v130, 0x3fb8aa3b, v130
	v_exp_f32_e32 v131, v131
	v_cndmask_b32_e64 v155, 0, v134, s6
	s_delay_alu instid0(VALU_DEP_3) | instskip(NEXT) | instid1(VALU_DEP_3)
	v_mul_f32_e32 v132, 0x3fb8aa3b, v132
	v_exp_f32_e32 v133, v133
	v_exp_f32_e32 v130, v130
	v_fma_f32 v134, s35, v138, -v129
	s_delay_alu instid0(VALU_DEP_2) | instskip(SKIP_1) | instid1(VALU_DEP_2)
	v_exp_f32_e32 v132, v132
	v_cndmask_b32_e64 v151, 0, v131, s3
	v_dual_add_f32 v131, 0, v152 :: v_dual_mul_f32 v134, 0x3fb8aa3b, v134
	s_delay_alu instid0(TRANS32_DEP_3)
	v_cndmask_b32_e64 v154, 0, v133, s5
	s_waitcnt_depctr 0xfff
	v_cndmask_b32_e64 v156, 0, v130, s7
	v_fma_f32 v133, s35, v137, -v129
	v_add_f32_e32 v131, v131, v151
	v_exp_f32_e32 v134, v134
	s_mov_b32 s3, exec_lo
	s_delay_alu instid0(VALU_DEP_1) | instskip(NEXT) | instid1(VALU_DEP_1)
	v_add_f32_e32 v131, v131, v153
	v_add_f32_e32 v131, v131, v154
	s_delay_alu instid0(VALU_DEP_1) | instskip(SKIP_1) | instid1(VALU_DEP_2)
	v_dual_mul_f32 v133, 0x3fb8aa3b, v133 :: v_dual_add_f32 v130, v131, v155
	v_fma_f32 v131, s35, v139, -v129
	v_exp_f32_e32 v133, v133
	v_fma_f32 v139, s35, v144, -v129
	s_delay_alu instid0(VALU_DEP_3) | instskip(NEXT) | instid1(VALU_DEP_1)
	v_dual_add_f32 v130, v130, v156 :: v_dual_mul_f32 v135, 0x3fb8aa3b, v135
	v_exp_f32_e32 v135, v135
	s_waitcnt_depctr 0xfff
	v_cndmask_b32_e64 v157, 0, v135, s8
	v_fma_f32 v135, s35, v140, -v129
	v_cndmask_b32_e64 v140, 0, v132, s9
	v_fma_f32 v132, s35, v141, -v129
	s_delay_alu instid0(VALU_DEP_4) | instskip(NEXT) | instid1(VALU_DEP_1)
	v_add_f32_e32 v130, v130, v157
	v_add_f32_e32 v130, v130, v140
	s_delay_alu instid0(VALU_DEP_3) | instskip(SKIP_4) | instid1(VALU_DEP_3)
	v_mul_f32_e32 v137, 0x3fb8aa3b, v132
	v_cndmask_b32_e64 v132, 0, v134, s11
	v_mul_f32_e32 v131, 0x3fb8aa3b, v131
	v_fma_f32 v134, s35, v143, -v129
	v_mul_f32_e32 v135, 0x3fb8aa3b, v135
	v_exp_f32_e32 v136, v131
	v_cndmask_b32_e64 v131, 0, v133, s10
	v_fma_f32 v133, s35, v142, -v129
	s_delay_alu instid0(VALU_DEP_2) | instskip(NEXT) | instid1(VALU_DEP_2)
	v_add_f32_e32 v130, v130, v131
	v_mul_f32_e32 v138, 0x3fb8aa3b, v133
	v_exp_f32_e32 v137, v137
	s_waitcnt_depctr 0xfff
	v_cndmask_b32_e64 v133, 0, v136, s12
	v_mul_f32_e32 v136, 0x3fb8aa3b, v134
	v_exp_f32_e32 v135, v135
	v_add_f32_e32 v130, v130, v132
	v_exp_f32_e32 v138, v138
	s_delay_alu instid0(VALU_DEP_2) | instskip(NEXT) | instid1(VALU_DEP_1)
	v_exp_f32_e32 v141, v136
	v_add_f32_e32 v130, v130, v133
	s_delay_alu instid0(TRANS32_DEP_3)
	v_cndmask_b32_e64 v134, 0, v135, s13
	v_cndmask_b32_e64 v135, 0, v137, s15
	v_mul_f32_e32 v137, 0x3fb8aa3b, v139
	s_waitcnt_depctr 0xfff
	v_cndmask_b32_e64 v136, 0, v138, s16
	v_add_f32_e32 v130, v130, v134
	v_exp_f32_e32 v138, v137
	v_cndmask_b32_e64 v137, 0, v141, s17
	s_delay_alu instid0(VALU_DEP_2) | instskip(NEXT) | instid1(VALU_DEP_1)
	v_add_f32_e32 v130, v130, v135
	v_add_f32_e32 v130, v130, v136
	s_waitcnt_depctr 0xfff
	v_cndmask_b32_e64 v138, 0, v138, s18
	v_add_f32_e32 v130, v130, v137
	s_delay_alu instid0(VALU_DEP_1)
	v_add_f32_e32 v130, v130, v138
	ds_bpermute_b32 v139, v158, v130
	v_cmpx_gt_u32_e32 16, v150
	s_cbranch_execz .LBB427_12
; %bb.11:
	v_mul_u32_u24_e32 v141, 0x44, v149
	s_delay_alu instid0(VALU_DEP_1) | instskip(SKIP_1) | instid1(VALU_DEP_1)
	v_lshl_add_u32 v141, v148, 2, v141
	s_waitcnt lgkmcnt(0)
	v_dual_add_f32 v130, v130, v139 :: v_dual_add_nc_u32 v139, 0x4000, v141
	ds_store_2addr_b32 v139, v129, v130 offset1:136
.LBB427_12:
	s_or_b32 exec_lo, exec_lo, s3
	v_lshlrev_b32_e32 v129, 2, v148
	s_waitcnt lgkmcnt(0)
	s_barrier
	buffer_gl0_inv
	v_cmp_eq_u32_e64 s3, 1, v149
	v_add_nc_u32_e32 v139, 0x4000, v129
	ds_load_2addr_b32 v[141:142], v139 offset1:17
	ds_load_2addr_b32 v[143:144], v139 offset0:34 offset1:51
	ds_load_2addr_b32 v[158:159], v139 offset0:68 offset1:85
	;; [unrolled: 1-line block ×4, first 2 shown]
	s_waitcnt lgkmcnt(4)
	v_max3_f32 v129, v141, 0xff7fffff, v142
	s_waitcnt lgkmcnt(3)
	s_delay_alu instid0(VALU_DEP_1) | instskip(SKIP_1) | instid1(VALU_DEP_1)
	v_max3_f32 v129, v129, v143, v144
	s_waitcnt lgkmcnt(2)
	v_max3_f32 v129, v129, v158, v159
	s_waitcnt lgkmcnt(1)
	s_delay_alu instid0(VALU_DEP_1) | instskip(NEXT) | instid1(VALU_DEP_1)
	v_max3_f32 v129, v129, v160, v161
	v_sub_f32_e32 v158, v158, v129
	s_delay_alu instid0(VALU_DEP_1) | instskip(NEXT) | instid1(VALU_DEP_1)
	v_dual_sub_f32 v150, v142, v129 :: v_dual_mul_f32 v167, 0x3fb8aa3b, v158
	v_dual_sub_f32 v143, v143, v129 :: v_dual_mul_f32 v150, 0x3fb8aa3b, v150
	s_delay_alu instid0(VALU_DEP_1) | instskip(NEXT) | instid1(VALU_DEP_2)
	v_dual_sub_f32 v130, v141, v129 :: v_dual_mul_f32 v165, 0x3fb8aa3b, v143
	v_exp_f32_e32 v150, v150
	s_delay_alu instid0(VALU_DEP_1) | instskip(NEXT) | instid1(VALU_DEP_2)
	v_mul_f32_e32 v130, 0x3fb8aa3b, v130
	v_exp_f32_e32 v165, v165
	s_delay_alu instid0(VALU_DEP_1) | instskip(SKIP_1) | instid1(VALU_DEP_1)
	v_exp_f32_e32 v164, v130
	v_sub_f32_e32 v130, v144, v129
	v_mul_f32_e32 v166, 0x3fb8aa3b, v130
	s_waitcnt lgkmcnt(0)
	s_waitcnt_depctr 0xfff
	v_fma_f32 v130, v164, v162, 0
	v_sub_f32_e32 v162, v159, v129
	s_delay_alu instid0(VALU_DEP_2)
	v_fmac_f32_e32 v130, v150, v163
	ds_load_2addr_b32 v[141:142], v139 offset0:170 offset1:187
	ds_load_2addr_b32 v[143:144], v139 offset0:204 offset1:221
	;; [unrolled: 1-line block ×3, first 2 shown]
	v_sub_f32_e32 v139, v160, v129
	v_exp_f32_e32 v166, v166
	v_mul_f32_e32 v160, 0x3fb8aa3b, v162
	v_exp_f32_e32 v162, v167
	v_cndmask_b32_e64 v150, v164, v150, s3
	v_mul_f32_e32 v139, 0x3fb8aa3b, v139
	v_cmp_eq_u32_e64 s3, 2, v149
	s_waitcnt lgkmcnt(0)
	s_barrier
	buffer_gl0_inv
	v_exp_f32_e32 v139, v139
	v_cndmask_b32_e64 v150, v150, v165, s3
	v_cmp_eq_u32_e64 s3, 3, v149
	v_fmac_f32_e32 v130, v165, v141
	v_sub_f32_e32 v141, v161, v129
	v_exp_f32_e32 v160, v160
	s_delay_alu instid0(VALU_DEP_3) | instskip(SKIP_1) | instid1(VALU_DEP_3)
	v_cndmask_b32_e64 v150, v150, v166, s3
	v_cmp_eq_u32_e64 s3, 4, v149
	v_dual_fmac_f32 v130, v166, v142 :: v_dual_mul_f32 v141, 0x3fb8aa3b, v141
	s_delay_alu instid0(VALU_DEP_2) | instskip(SKIP_1) | instid1(VALU_DEP_3)
	v_cndmask_b32_e64 v150, v150, v162, s3
	v_cmp_eq_u32_e64 s3, 5, v149
	v_exp_f32_e32 v141, v141
	s_delay_alu instid0(VALU_DEP_3)
	v_fmac_f32_e32 v130, v162, v143
	s_delay_alu instid0(TRANS32_DEP_2) | instid1(VALU_DEP_2)
	v_cndmask_b32_e64 v150, v150, v160, s3
	s_delay_alu instid0(VALU_DEP_2) | instskip(NEXT) | instid1(VALU_DEP_1)
	v_fmac_f32_e32 v130, v160, v144
	v_fmac_f32_e32 v130, v139, v158
	s_waitcnt_depctr 0xfff
	v_fmac_f32_e32 v130, v141, v159
	s_delay_alu instid0(VALU_DEP_1) | instskip(NEXT) | instid1(VALU_DEP_1)
	v_add_f32_e32 v142, 0x358637bd, v130
	v_div_scale_f32 v143, null, v142, v142, 1.0
	v_div_scale_f32 v159, vcc_lo, 1.0, v142, 1.0
	s_delay_alu instid0(VALU_DEP_2) | instskip(SKIP_2) | instid1(VALU_DEP_1)
	v_rcp_f32_e32 v144, v143
	s_waitcnt_depctr 0xfff
	v_fma_f32 v158, -v143, v144, 1.0
	v_fmac_f32_e32 v144, v158, v144
	s_delay_alu instid0(VALU_DEP_1) | instskip(NEXT) | instid1(VALU_DEP_1)
	v_mul_f32_e32 v158, v159, v144
	v_fma_f32 v161, -v143, v158, v159
	s_delay_alu instid0(VALU_DEP_1) | instskip(NEXT) | instid1(VALU_DEP_1)
	v_fmac_f32_e32 v158, v161, v144
	v_fma_f32 v143, -v143, v158, v159
	s_delay_alu instid0(VALU_DEP_1) | instskip(SKIP_1) | instid1(VALU_DEP_2)
	v_div_fmas_f32 v143, v143, v144, v158
	v_cmp_eq_u32_e32 vcc_lo, 6, v149
	v_div_fixup_f32 v142, v143, v142, 1.0
	v_cndmask_b32_e32 v139, v150, v139, vcc_lo
	v_cmp_eq_u32_e32 vcc_lo, 7, v149
	s_delay_alu instid0(VALU_DEP_2) | instskip(NEXT) | instid1(VALU_DEP_1)
	v_cndmask_b32_e32 v139, v139, v141, vcc_lo
	v_mul_f32_e32 v139, v139, v142
	s_delay_alu instid0(VALU_DEP_1) | instskip(SKIP_4) | instid1(VALU_DEP_4)
	v_mul_f32_e32 v153, v139, v153
	v_mul_f32_e32 v142, v139, v152
	;; [unrolled: 1-line block ×5, first 2 shown]
	v_dual_mul_f32 v152, v139, v155 :: v_dual_and_b32 v141, 0x7f800000, v142
	v_mul_f32_e32 v154, v139, v154
	v_mul_f32_e32 v144, v139, v151
	s_delay_alu instid0(VALU_DEP_3) | instskip(SKIP_1) | instid1(SALU_CYCLE_1)
	v_cmp_ne_u32_e32 vcc_lo, 0x7f800000, v141
                                        ; implicit-def: $vgpr141
	s_and_saveexec_b32 s3, vcc_lo
	s_xor_b32 s3, exec_lo, s3
; %bb.13:
	v_bfe_u32 v141, v142, 16, 1
	s_delay_alu instid0(VALU_DEP_1)
	v_add3_u32 v141, v142, v141, 0x7fff
                                        ; implicit-def: $vgpr142
; %bb.14:
	s_and_not1_saveexec_b32 s3, s3
; %bb.15:
	v_and_b32_e32 v141, 0xffff, v142
	v_or_b32_e32 v151, 0x10000, v142
	s_delay_alu instid0(VALU_DEP_2) | instskip(NEXT) | instid1(VALU_DEP_2)
	v_cmp_eq_u32_e32 vcc_lo, 0, v141
	v_cndmask_b32_e32 v141, v151, v142, vcc_lo
; %bb.16:
	s_or_b32 exec_lo, exec_lo, s3
	v_and_b32_e32 v142, 0x7f800000, v144
	s_delay_alu instid0(VALU_DEP_1) | instskip(SKIP_1) | instid1(SALU_CYCLE_1)
	v_cmp_ne_u32_e32 vcc_lo, 0x7f800000, v142
                                        ; implicit-def: $vgpr142
	s_and_saveexec_b32 s3, vcc_lo
	s_xor_b32 s3, exec_lo, s3
; %bb.17:
	v_bfe_u32 v142, v144, 16, 1
	s_delay_alu instid0(VALU_DEP_1)
	v_add3_u32 v142, v144, v142, 0x7fff
                                        ; implicit-def: $vgpr144
; %bb.18:
	s_and_not1_saveexec_b32 s3, s3
; %bb.19:
	v_and_b32_e32 v142, 0xffff, v144
	v_or_b32_e32 v151, 0x10000, v144
	s_delay_alu instid0(VALU_DEP_2) | instskip(NEXT) | instid1(VALU_DEP_2)
	v_cmp_eq_u32_e32 vcc_lo, 0, v142
	v_cndmask_b32_e32 v142, v151, v144, vcc_lo
; %bb.20:
	s_or_b32 exec_lo, exec_lo, s3
	v_and_b32_e32 v144, 0x7f800000, v153
	s_delay_alu instid0(VALU_DEP_1) | instskip(SKIP_1) | instid1(SALU_CYCLE_1)
	v_cmp_ne_u32_e32 vcc_lo, 0x7f800000, v144
                                        ; implicit-def: $vgpr144
	s_and_saveexec_b32 s3, vcc_lo
	s_xor_b32 s3, exec_lo, s3
; %bb.21:
	v_bfe_u32 v144, v153, 16, 1
	s_delay_alu instid0(VALU_DEP_1)
	v_add3_u32 v144, v153, v144, 0x7fff
                                        ; implicit-def: $vgpr153
; %bb.22:
	s_and_not1_saveexec_b32 s3, s3
; %bb.23:
	v_and_b32_e32 v144, 0xffff, v153
	v_or_b32_e32 v151, 0x10000, v153
	s_delay_alu instid0(VALU_DEP_2) | instskip(NEXT) | instid1(VALU_DEP_2)
	v_cmp_eq_u32_e32 vcc_lo, 0, v144
	v_cndmask_b32_e32 v144, v151, v153, vcc_lo
; %bb.24:
	s_or_b32 exec_lo, exec_lo, s3
	v_and_b32_e32 v151, 0x7f800000, v154
	s_delay_alu instid0(VALU_DEP_1) | instskip(SKIP_1) | instid1(SALU_CYCLE_1)
	v_cmp_ne_u32_e32 vcc_lo, 0x7f800000, v151
                                        ; implicit-def: $vgpr151
	s_and_saveexec_b32 s3, vcc_lo
	s_xor_b32 s3, exec_lo, s3
; %bb.25:
	v_bfe_u32 v151, v154, 16, 1
	s_delay_alu instid0(VALU_DEP_1)
	v_add3_u32 v151, v154, v151, 0x7fff
                                        ; implicit-def: $vgpr154
; %bb.26:
	s_and_not1_saveexec_b32 s3, s3
; %bb.27:
	v_and_b32_e32 v151, 0xffff, v154
	v_or_b32_e32 v153, 0x10000, v154
	s_delay_alu instid0(VALU_DEP_2) | instskip(NEXT) | instid1(VALU_DEP_2)
	v_cmp_eq_u32_e32 vcc_lo, 0, v151
	v_cndmask_b32_e32 v151, v153, v154, vcc_lo
; %bb.28:
	s_or_b32 exec_lo, exec_lo, s3
	v_and_b32_e32 v153, 0x7f800000, v152
	s_delay_alu instid0(VALU_DEP_1) | instskip(SKIP_1) | instid1(SALU_CYCLE_1)
	v_cmp_ne_u32_e32 vcc_lo, 0x7f800000, v153
                                        ; implicit-def: $vgpr153
	s_and_saveexec_b32 s3, vcc_lo
	s_xor_b32 s3, exec_lo, s3
; %bb.29:
	v_bfe_u32 v153, v152, 16, 1
	s_delay_alu instid0(VALU_DEP_1)
	v_add3_u32 v153, v152, v153, 0x7fff
                                        ; implicit-def: $vgpr152
; %bb.30:
	s_and_not1_saveexec_b32 s3, s3
; %bb.31:
	v_and_b32_e32 v153, 0xffff, v152
	v_or_b32_e32 v154, 0x10000, v152
	s_delay_alu instid0(VALU_DEP_2) | instskip(NEXT) | instid1(VALU_DEP_2)
	v_cmp_eq_u32_e32 vcc_lo, 0, v153
	v_cndmask_b32_e32 v153, v154, v152, vcc_lo
; %bb.32:
	s_or_b32 exec_lo, exec_lo, s3
	v_and_b32_e32 v152, 0x7f800000, v150
	s_delay_alu instid0(VALU_DEP_1) | instskip(SKIP_1) | instid1(SALU_CYCLE_1)
	v_cmp_ne_u32_e32 vcc_lo, 0x7f800000, v152
                                        ; implicit-def: $vgpr152
	s_and_saveexec_b32 s3, vcc_lo
	s_xor_b32 s3, exec_lo, s3
; %bb.33:
	v_bfe_u32 v152, v150, 16, 1
	s_delay_alu instid0(VALU_DEP_1)
	v_add3_u32 v152, v150, v152, 0x7fff
                                        ; implicit-def: $vgpr150
; %bb.34:
	s_and_not1_saveexec_b32 s3, s3
; %bb.35:
	v_and_b32_e32 v152, 0xffff, v150
	v_or_b32_e32 v154, 0x10000, v150
	s_delay_alu instid0(VALU_DEP_2) | instskip(NEXT) | instid1(VALU_DEP_2)
	v_cmp_eq_u32_e32 vcc_lo, 0, v152
	v_cndmask_b32_e32 v152, v154, v150, vcc_lo
; %bb.36:
	s_or_b32 exec_lo, exec_lo, s3
	v_and_b32_e32 v150, 0x7f800000, v143
	s_delay_alu instid0(VALU_DEP_1) | instskip(SKIP_1) | instid1(SALU_CYCLE_1)
	v_cmp_ne_u32_e32 vcc_lo, 0x7f800000, v150
                                        ; implicit-def: $vgpr150
	s_and_saveexec_b32 s3, vcc_lo
	s_xor_b32 s3, exec_lo, s3
; %bb.37:
	v_bfe_u32 v150, v143, 16, 1
	s_delay_alu instid0(VALU_DEP_1)
	v_add3_u32 v150, v143, v150, 0x7fff
                                        ; implicit-def: $vgpr143
; %bb.38:
	s_and_not1_saveexec_b32 s3, s3
; %bb.39:
	v_and_b32_e32 v150, 0xffff, v143
	v_or_b32_e32 v154, 0x10000, v143
	s_delay_alu instid0(VALU_DEP_2) | instskip(NEXT) | instid1(VALU_DEP_2)
	v_cmp_eq_u32_e32 vcc_lo, 0, v150
	v_cndmask_b32_e32 v150, v154, v143, vcc_lo
; %bb.40:
	s_or_b32 exec_lo, exec_lo, s3
	v_and_b32_e32 v143, 0x7f800000, v140
	s_delay_alu instid0(VALU_DEP_1) | instskip(SKIP_1) | instid1(SALU_CYCLE_1)
	v_cmp_ne_u32_e32 vcc_lo, 0x7f800000, v143
                                        ; implicit-def: $vgpr143
	s_and_saveexec_b32 s3, vcc_lo
	s_xor_b32 s3, exec_lo, s3
; %bb.41:
	v_bfe_u32 v143, v140, 16, 1
	s_delay_alu instid0(VALU_DEP_1)
	v_add3_u32 v143, v140, v143, 0x7fff
                                        ; implicit-def: $vgpr140
; %bb.42:
	s_and_not1_saveexec_b32 s3, s3
; %bb.43:
	v_and_b32_e32 v143, 0xffff, v140
	v_or_b32_e32 v154, 0x10000, v140
	s_delay_alu instid0(VALU_DEP_2) | instskip(NEXT) | instid1(VALU_DEP_2)
	v_cmp_eq_u32_e32 vcc_lo, 0, v143
	v_cndmask_b32_e32 v143, v154, v140, vcc_lo
; %bb.44:
	s_or_b32 exec_lo, exec_lo, s3
	s_load_b64 s[34:35], s[0:1], 0x94
	v_dual_mul_f32 v136, v139, v136 :: v_dual_lshlrev_b32 v155, 4, v146
	s_delay_alu instid0(VALU_DEP_2)
	v_perm_b32 v154, v143, v150, 0x7060302
	v_dual_mul_f32 v143, v139, v131 :: v_dual_lshlrev_b32 v140, 6, v148
	v_dual_mul_f32 v135, v139, v135 :: v_dual_lshlrev_b32 v150, 11, v149
	v_perm_b32 v153, v152, v153, 0x7060302
	v_perm_b32 v152, v151, v144, 0x7060302
	;; [unrolled: 1-line block ×3, first 2 shown]
	s_delay_alu instid0(VALU_DEP_4)
	v_or3_b32 v131, v155, v150, v140
	v_mul_f32_e32 v138, v139, v138
	v_dual_mul_f32 v137, v139, v137 :: v_dual_and_b32 v144, 0x7f800000, v143
	v_mul_f32_e32 v141, v139, v134
	v_mul_f32_e32 v142, v139, v133
	v_mul_f32_e32 v134, v139, v132
	s_mov_b32 s3, exec_lo
	ds_store_b128 v131, v[151:154]
                                        ; implicit-def: $vgpr132
	v_cmpx_ne_u32_e32 0x7f800000, v144
	s_xor_b32 s3, exec_lo, s3
; %bb.45:
	v_bfe_u32 v132, v143, 16, 1
	s_delay_alu instid0(VALU_DEP_1)
	v_add3_u32 v132, v143, v132, 0x7fff
                                        ; implicit-def: $vgpr143
; %bb.46:
	s_and_not1_saveexec_b32 s3, s3
; %bb.47:
	v_and_b32_e32 v132, 0xffff, v143
	v_or_b32_e32 v133, 0x10000, v143
	s_delay_alu instid0(VALU_DEP_2) | instskip(NEXT) | instid1(VALU_DEP_2)
	v_cmp_eq_u32_e32 vcc_lo, 0, v132
	v_cndmask_b32_e32 v132, v133, v143, vcc_lo
; %bb.48:
	s_or_b32 exec_lo, exec_lo, s3
	v_and_b32_e32 v133, 0x7f800000, v134
	s_delay_alu instid0(VALU_DEP_1) | instskip(SKIP_1) | instid1(SALU_CYCLE_1)
	v_cmp_ne_u32_e32 vcc_lo, 0x7f800000, v133
                                        ; implicit-def: $vgpr133
	s_and_saveexec_b32 s3, vcc_lo
	s_xor_b32 s3, exec_lo, s3
; %bb.49:
	v_bfe_u32 v133, v134, 16, 1
	s_delay_alu instid0(VALU_DEP_1)
	v_add3_u32 v133, v134, v133, 0x7fff
                                        ; implicit-def: $vgpr134
; %bb.50:
	s_and_not1_saveexec_b32 s3, s3
; %bb.51:
	v_and_b32_e32 v133, 0xffff, v134
	v_or_b32_e32 v139, 0x10000, v134
	s_delay_alu instid0(VALU_DEP_2) | instskip(NEXT) | instid1(VALU_DEP_2)
	v_cmp_eq_u32_e32 vcc_lo, 0, v133
	v_cndmask_b32_e32 v133, v139, v134, vcc_lo
; %bb.52:
	s_or_b32 exec_lo, exec_lo, s3
	v_and_b32_e32 v134, 0x7f800000, v142
	s_delay_alu instid0(VALU_DEP_1) | instskip(SKIP_1) | instid1(SALU_CYCLE_1)
	v_cmp_ne_u32_e32 vcc_lo, 0x7f800000, v134
                                        ; implicit-def: $vgpr134
	s_and_saveexec_b32 s3, vcc_lo
	s_xor_b32 s3, exec_lo, s3
; %bb.53:
	v_bfe_u32 v134, v142, 16, 1
	s_delay_alu instid0(VALU_DEP_1)
	v_add3_u32 v134, v142, v134, 0x7fff
                                        ; implicit-def: $vgpr142
; %bb.54:
	s_and_not1_saveexec_b32 s3, s3
; %bb.55:
	v_and_b32_e32 v134, 0xffff, v142
	v_or_b32_e32 v139, 0x10000, v142
	s_delay_alu instid0(VALU_DEP_2) | instskip(NEXT) | instid1(VALU_DEP_2)
	v_cmp_eq_u32_e32 vcc_lo, 0, v134
	v_cndmask_b32_e32 v134, v139, v142, vcc_lo
; %bb.56:
	s_or_b32 exec_lo, exec_lo, s3
	v_and_b32_e32 v139, 0x7f800000, v141
	s_delay_alu instid0(VALU_DEP_1) | instskip(SKIP_1) | instid1(SALU_CYCLE_1)
	v_cmp_ne_u32_e32 vcc_lo, 0x7f800000, v139
                                        ; implicit-def: $vgpr139
	s_and_saveexec_b32 s3, vcc_lo
	s_xor_b32 s3, exec_lo, s3
; %bb.57:
	v_bfe_u32 v139, v141, 16, 1
	s_delay_alu instid0(VALU_DEP_1)
	v_add3_u32 v139, v141, v139, 0x7fff
                                        ; implicit-def: $vgpr141
; %bb.58:
	s_and_not1_saveexec_b32 s3, s3
; %bb.59:
	v_and_b32_e32 v139, 0xffff, v141
	v_or_b32_e32 v142, 0x10000, v141
	s_delay_alu instid0(VALU_DEP_2) | instskip(NEXT) | instid1(VALU_DEP_2)
	v_cmp_eq_u32_e32 vcc_lo, 0, v139
	v_cndmask_b32_e32 v139, v142, v141, vcc_lo
; %bb.60:
	s_or_b32 exec_lo, exec_lo, s3
	v_and_b32_e32 v141, 0x7f800000, v135
	s_delay_alu instid0(VALU_DEP_1) | instskip(SKIP_1) | instid1(SALU_CYCLE_1)
	v_cmp_ne_u32_e32 vcc_lo, 0x7f800000, v141
                                        ; implicit-def: $vgpr141
	s_and_saveexec_b32 s3, vcc_lo
	s_xor_b32 s3, exec_lo, s3
; %bb.61:
	v_bfe_u32 v141, v135, 16, 1
	s_delay_alu instid0(VALU_DEP_1)
	v_add3_u32 v141, v135, v141, 0x7fff
                                        ; implicit-def: $vgpr135
; %bb.62:
	s_and_not1_saveexec_b32 s3, s3
; %bb.63:
	v_and_b32_e32 v141, 0xffff, v135
	v_or_b32_e32 v142, 0x10000, v135
	s_delay_alu instid0(VALU_DEP_2) | instskip(NEXT) | instid1(VALU_DEP_2)
	v_cmp_eq_u32_e32 vcc_lo, 0, v141
	v_cndmask_b32_e32 v141, v142, v135, vcc_lo
; %bb.64:
	s_or_b32 exec_lo, exec_lo, s3
	v_and_b32_e32 v135, 0x7f800000, v136
	s_delay_alu instid0(VALU_DEP_1) | instskip(SKIP_1) | instid1(SALU_CYCLE_1)
	v_cmp_ne_u32_e32 vcc_lo, 0x7f800000, v135
                                        ; implicit-def: $vgpr135
	s_and_saveexec_b32 s3, vcc_lo
	s_xor_b32 s3, exec_lo, s3
; %bb.65:
	v_bfe_u32 v135, v136, 16, 1
	s_delay_alu instid0(VALU_DEP_1)
	v_add3_u32 v135, v136, v135, 0x7fff
                                        ; implicit-def: $vgpr136
; %bb.66:
	s_and_not1_saveexec_b32 s3, s3
; %bb.67:
	v_and_b32_e32 v135, 0xffff, v136
	v_or_b32_e32 v142, 0x10000, v136
	s_delay_alu instid0(VALU_DEP_2) | instskip(NEXT) | instid1(VALU_DEP_2)
	v_cmp_eq_u32_e32 vcc_lo, 0, v135
	v_cndmask_b32_e32 v135, v142, v136, vcc_lo
; %bb.68:
	s_or_b32 exec_lo, exec_lo, s3
	v_and_b32_e32 v136, 0x7f800000, v137
	s_delay_alu instid0(VALU_DEP_1) | instskip(SKIP_1) | instid1(SALU_CYCLE_1)
	v_cmp_ne_u32_e32 vcc_lo, 0x7f800000, v136
                                        ; implicit-def: $vgpr136
	s_and_saveexec_b32 s3, vcc_lo
	s_xor_b32 s3, exec_lo, s3
; %bb.69:
	v_bfe_u32 v136, v137, 16, 1
	s_delay_alu instid0(VALU_DEP_1)
	v_add3_u32 v136, v137, v136, 0x7fff
                                        ; implicit-def: $vgpr137
; %bb.70:
	s_and_not1_saveexec_b32 s3, s3
; %bb.71:
	v_and_b32_e32 v136, 0xffff, v137
	v_or_b32_e32 v142, 0x10000, v137
	s_delay_alu instid0(VALU_DEP_2) | instskip(NEXT) | instid1(VALU_DEP_2)
	v_cmp_eq_u32_e32 vcc_lo, 0, v136
	v_cndmask_b32_e32 v136, v142, v137, vcc_lo
; %bb.72:
	s_or_b32 exec_lo, exec_lo, s3
	v_and_b32_e32 v137, 0x7f800000, v138
	s_delay_alu instid0(VALU_DEP_1) | instskip(SKIP_1) | instid1(SALU_CYCLE_1)
	v_cmp_ne_u32_e32 vcc_lo, 0x7f800000, v137
                                        ; implicit-def: $vgpr137
	s_and_saveexec_b32 s3, vcc_lo
	s_xor_b32 s3, exec_lo, s3
; %bb.73:
	v_bfe_u32 v137, v138, 16, 1
	s_delay_alu instid0(VALU_DEP_1)
	v_add3_u32 v137, v138, v137, 0x7fff
                                        ; implicit-def: $vgpr138
; %bb.74:
	s_and_not1_saveexec_b32 s3, s3
; %bb.75:
	v_and_b32_e32 v137, 0xffff, v138
	v_or_b32_e32 v142, 0x10000, v138
	s_delay_alu instid0(VALU_DEP_2) | instskip(NEXT) | instid1(VALU_DEP_2)
	v_cmp_eq_u32_e32 vcc_lo, 0, v137
	v_cndmask_b32_e32 v137, v142, v138, vcc_lo
; %bb.76:
	s_or_b32 exec_lo, exec_lo, s3
	s_delay_alu instid0(VALU_DEP_1)
	v_perm_b32 v136, v137, v136, 0x7060302
	v_perm_b32 v135, v135, v141, 0x7060302
	v_perm_b32 v134, v139, v134, 0x7060302
	v_perm_b32 v133, v133, v132, 0x7060302
	v_lshl_or_b32 v141, v149, 11, v140
	ds_store_b128 v131, v[133:136] offset:1024
	s_waitcnt lgkmcnt(0)
	s_barrier
	buffer_gl0_inv
	ds_load_b128 v[132:135], v141
	ds_load_b128 v[149:152], v141 offset:16
	s_waitcnt lgkmcnt(1)
	v_lshrrev_b32_e32 v136, 16, v132
	s_waitcnt lgkmcnt(0)
	v_lshrrev_b32_e32 v164, 16, v151
	v_lshlrev_b32_e32 v138, 2, v146
	v_lshrrev_b32_e32 v143, 16, v149
	v_lshrrev_b32_e32 v162, 16, v150
	;; [unrolled: 1-line block ×4, first 2 shown]
	v_or_b32_e32 v139, 1, v138
	v_lshrrev_b32_e32 v165, 16, v152
	v_lshrrev_b32_e32 v163, 16, v135
	s_delay_alu instid0(VALU_DEP_3)
	v_cmp_eq_u32_e64 s7, 1, v139
	v_cmp_eq_u32_e64 s6, 2, v139
	;; [unrolled: 1-line block ×4, first 2 shown]
	v_cmp_eq_u32_e32 vcc_lo, 5, v139
	v_cndmask_b32_e64 v155, v149, v143, s7
	v_cndmask_b32_e64 v154, v132, v136, s7
	v_cmp_eq_u32_e64 s4, 6, v139
	v_cmp_eq_u32_e64 s19, 7, v139
	s_delay_alu instid0(VALU_DEP_4) | instskip(NEXT) | instid1(VALU_DEP_4)
	v_cndmask_b32_e64 v155, v155, v150, s6
	v_cndmask_b32_e64 v154, v154, v133, s6
	s_delay_alu instid0(VALU_DEP_2) | instskip(NEXT) | instid1(VALU_DEP_2)
	v_cndmask_b32_e64 v155, v155, v162, s5
	v_cndmask_b32_e64 v154, v154, v144, s5
	s_delay_alu instid0(VALU_DEP_2) | instskip(NEXT) | instid1(VALU_DEP_2)
	v_cndmask_b32_e64 v155, v155, v151, s3
	v_cndmask_b32_e64 v154, v154, v134, s3
	s_delay_alu instid0(VALU_DEP_2)
	v_cndmask_b32_e32 v157, v155, v164, vcc_lo
	v_cmp_eq_u32_e64 s12, 1, v138
	v_cmp_eq_u32_e64 s11, 2, v138
	;; [unrolled: 1-line block ×3, first 2 shown]
	v_or_b32_e32 v137, 2, v138
	v_cmp_eq_u32_e64 s17, 4, v138
	v_cndmask_b32_e64 v153, v149, v143, s12
	v_cndmask_b32_e64 v142, v132, v136, s12
	v_cmp_eq_u32_e64 s13, 5, v138
	v_cmp_eq_u32_e64 s8, 1, v137
	;; [unrolled: 1-line block ×3, first 2 shown]
	v_cndmask_b32_e64 v153, v153, v150, s11
	v_cndmask_b32_e64 v142, v142, v133, s11
	v_cmp_eq_u32_e64 s10, 2, v137
	v_cndmask_b32_e64 v156, v132, v136, s8
	v_cndmask_b32_e32 v154, v154, v161, vcc_lo
	v_cndmask_b32_e64 v153, v153, v162, s16
	v_cndmask_b32_e64 v142, v142, v144, s16
	v_cmp_eq_u32_e64 s9, 7, v138
	v_cndmask_b32_e64 v156, v156, v133, s10
	v_cmp_eq_u32_e64 s18, 3, v137
	v_cndmask_b32_e64 v153, v153, v151, s17
	v_cndmask_b32_e64 v142, v142, v134, s17
	;; [unrolled: 1-line block ×3, first 2 shown]
	v_cmp_eq_u32_e64 s20, 4, v137
	v_cndmask_b32_e64 v156, v156, v144, s18
	v_cndmask_b32_e64 v153, v153, v164, s13
	;; [unrolled: 1-line block ×4, first 2 shown]
	v_cmp_eq_u32_e64 s22, 5, v137
	v_cndmask_b32_e64 v159, v156, v134, s20
	v_cndmask_b32_e64 v153, v153, v152, s15
	v_cndmask_b32_e64 v142, v142, v135, s15
	v_cmp_eq_u32_e64 s25, 6, v137
	v_cmp_eq_u32_e64 s27, 7, v137
	v_cndmask_b32_e64 v169, v159, v161, s22
	v_cndmask_b32_e64 v167, v153, v165, s9
	;; [unrolled: 1-line block ×4, first 2 shown]
	v_or_b32_e32 v142, 3, v138
	s_delay_alu instid0(VALU_DEP_3)
	v_cndmask_b32_e64 v158, v153, v150, s10
	ds_load_b128 v[153:156], v141 offset:1024
	v_cmp_eq_u32_e64 s21, 1, v142
	v_cmp_eq_u32_e64 s23, 2, v142
	;; [unrolled: 1-line block ×3, first 2 shown]
	v_cndmask_b32_e64 v158, v158, v162, s18
	v_cmp_eq_u32_e64 s26, 4, v142
	v_cndmask_b32_e64 v132, v132, v136, s21
	v_cndmask_b32_e64 v136, v157, v152, s4
	;; [unrolled: 1-line block ×4, first 2 shown]
	ds_load_b128 v[157:160], v141 offset:1040
	v_cndmask_b32_e64 v132, v132, v133, s23
	v_cmp_eq_u32_e64 s28, 5, v142
	v_cndmask_b32_e64 v143, v143, v150, s23
	v_cmp_eq_u32_e64 s29, 6, v142
	v_cndmask_b32_e64 v133, v170, v164, s22
	v_cndmask_b32_e64 v132, v132, v144, s24
	;; [unrolled: 1-line block ×5, first 2 shown]
	s_waitcnt lgkmcnt(1)
	v_lshrrev_b32_e32 v149, 16, v153
	v_cndmask_b32_e64 v132, v132, v134, s26
	v_cndmask_b32_e64 v133, v133, v152, s25
	;; [unrolled: 1-line block ×3, first 2 shown]
	v_lshrrev_b32_e32 v151, 16, v154
	v_cndmask_b32_e64 v143, v153, v149, s12
	v_cndmask_b32_e64 v132, v132, v161, s28
	v_cndmask_b32_e64 v161, v153, v149, s7
	v_cndmask_b32_e64 v134, v134, v164, s28
	v_cndmask_b32_e64 v144, v144, v163, s27
	s_waitcnt lgkmcnt(0)
	v_lshrrev_b32_e32 v150, 16, v157
	v_cndmask_b32_e64 v143, v143, v154, s11
	v_cndmask_b32_e64 v132, v132, v135, s29
	;; [unrolled: 1-line block ×3, first 2 shown]
	v_lshrrev_b32_e32 v164, 16, v159
	v_cndmask_b32_e64 v162, v157, v150, s12
	v_cndmask_b32_e64 v135, v143, v151, s16
	;; [unrolled: 1-line block ×3, first 2 shown]
	v_lshrrev_b32_e32 v161, 16, v158
	v_cndmask_b32_e64 v133, v133, v165, s27
	v_cndmask_b32_e64 v152, v162, v158, s11
	v_cmp_eq_u32_e64 s11, 7, v142
	v_cndmask_b32_e64 v143, v143, v151, s5
	v_cndmask_b32_e64 v135, v135, v155, s17
	v_lshrrev_b32_e32 v162, 16, v155
	v_cndmask_b32_e64 v152, v152, v161, s16
	v_cndmask_b32_e64 v132, v132, v163, s11
	;; [unrolled: 1-line block ×6, first 2 shown]
	s_delay_alu instid0(VALU_DEP_4) | instskip(NEXT) | instid1(VALU_DEP_4)
	v_perm_b32 v135, v134, v132, 0x5040100
	v_cndmask_b32_e32 v132, v143, v162, vcc_lo
	s_delay_alu instid0(VALU_DEP_4)
	v_cndmask_b32_e64 v143, v163, v156, s15
	v_lshrrev_b32_e32 v163, 16, v156
	v_cndmask_b32_e64 v152, v152, v164, s13
	v_perm_b32 v134, v133, v144, 0x5040100
	v_cndmask_b32_e64 v132, v132, v156, s4
	v_perm_b32 v133, v136, v168, 0x5040100
	v_cndmask_b32_e64 v136, v143, v163, s9
	v_cndmask_b32_e64 v143, v152, v160, s15
	;; [unrolled: 1-line block ×13, first 2 shown]
	v_lshrrev_b32_e32 v144, 16, v160
	v_cndmask_b32_e64 v132, v132, v151, s18
	v_cndmask_b32_e64 v149, v149, v151, s24
	v_cndmask_b32_e64 v151, v152, v161, s24
	v_cndmask_b32_e64 v152, v153, v161, s18
	v_cndmask_b32_e64 v150, v150, v161, s5
	v_cndmask_b32_e64 v132, v132, v155, s20
	v_cndmask_b32_e64 v149, v149, v155, s26
	v_cndmask_b32_e64 v151, v151, v159, s26
	v_cndmask_b32_e64 v152, v152, v159, s20
	v_cndmask_b32_e64 v150, v150, v159, s3
	v_cndmask_b32_e64 v132, v132, v162, s22
	v_cndmask_b32_e64 v149, v149, v162, s28
	v_cndmask_b32_e64 v151, v151, v164, s28
	v_cndmask_b32_e64 v152, v152, v164, s22
	v_cndmask_b32_e32 v150, v150, v164, vcc_lo
	v_cndmask_b32_e64 v132, v132, v156, s25
	v_cndmask_b32_e64 v149, v149, v156, s29
	;; [unrolled: 1-line block ×11, first 2 shown]
	v_perm_b32 v132, v167, v166, 0x5040100
	v_perm_b32 v152, v151, v149, 0x5040100
	;; [unrolled: 1-line block ×5, first 2 shown]
	s_mul_i32 s8, s35, 6
	s_mov_b32 s3, exec_lo
	ds_store_b128 v131, v[132:135]
	ds_store_b128 v131, v[149:152] offset:1024
	v_cmpx_gt_u32_e32 6, v0
	s_cbranch_execz .LBB427_78
; %bb.77:
	s_mul_i32 s4, s8, s30
	s_delay_alu instid0(SALU_CYCLE_1) | instskip(SKIP_1) | instid1(VALU_DEP_1)
	v_add3_u32 v133, s4, s31, v148
	s_load_b128 s[4:7], s[0:1], 0x58
	v_mad_u64_u32 v[131:132], null, v133, s34, s[14:15]
	s_delay_alu instid0(VALU_DEP_1) | instskip(NEXT) | instid1(VALU_DEP_1)
	v_ashrrev_i32_e32 v132, 31, v131
	v_lshlrev_b64 v[131:132], 2, v[131:132]
	s_waitcnt lgkmcnt(0)
	s_delay_alu instid0(VALU_DEP_1) | instskip(NEXT) | instid1(VALU_DEP_2)
	v_add_co_u32 v133, vcc_lo, s6, v131
	v_add_co_ci_u32_e32 v134, vcc_lo, s7, v132, vcc_lo
	v_add_co_u32 v131, vcc_lo, s4, v131
	v_add_co_ci_u32_e32 v132, vcc_lo, s5, v132, vcc_lo
	global_store_b32 v[133:134], v129, off
	global_store_b32 v[131:132], v130, off
.LBB427_78:
	s_or_b32 exec_lo, exec_lo, s3
	s_waitcnt lgkmcnt(0)
	s_waitcnt_vscnt null, 0x0
	s_barrier
	buffer_gl0_inv
	ds_load_b128 v[148:151], v140
	ds_load_b128 v[152:155], v140 offset:16
	ds_load_b128 v[160:163], v140 offset:1040
	;; [unrolled: 1-line block ×3, first 2 shown]
	v_mov_b32_e32 v129, 0
	ds_load_b128 v[168:171], v140 offset:2064
	ds_load_b128 v[164:167], v140 offset:2048
	;; [unrolled: 1-line block ×6, first 2 shown]
	v_mov_b32_e32 v130, v129
	v_mov_b32_e32 v131, v129
	;; [unrolled: 1-line block ×7, first 2 shown]
	s_waitcnt lgkmcnt(8)
	s_delay_alu instid0(VALU_DEP_1)
	v_wmma_f32_16x16x16_bf16 v[129:136], v[121:128], v[148:155], v[129:136]
	ds_load_b128 v[125:128], v140 offset:5136
	ds_load_b128 v[121:124], v140 offset:5120
	s_waitcnt lgkmcnt(8)
	v_wmma_f32_16x16x16_bf16 v[129:136], v[113:120], v[156:163], v[129:136]
	ds_load_b128 v[117:120], v140 offset:6160
	ds_load_b128 v[113:116], v140 offset:6144
	s_waitcnt lgkmcnt(8)
	;; [unrolled: 4-line block ×8, first 2 shown]
	v_wmma_f32_16x16x16_bf16 v[129:136], v[65:72], v[97:104], v[129:136]
	s_waitcnt lgkmcnt(6)
	s_delay_alu instid0(VALU_DEP_1)
	v_wmma_f32_16x16x16_bf16 v[129:136], v[49:56], v[89:96], v[129:136]
	ds_load_b128 v[53:56], v140 offset:13328
	ds_load_b128 v[49:52], v140 offset:13312
	s_waitcnt lgkmcnt(6)
	v_wmma_f32_16x16x16_bf16 v[129:136], v[41:48], v[81:88], v[129:136]
	ds_load_b128 v[45:48], v140 offset:14352
	ds_load_b128 v[41:44], v140 offset:14336
	s_waitcnt lgkmcnt(6)
	;; [unrolled: 4-line block ×3, first 2 shown]
	v_wmma_f32_16x16x16_bf16 v[129:136], v[1:8], v[57:64], v[129:136]
	s_waitcnt lgkmcnt(4)
	s_delay_alu instid0(VALU_DEP_1) | instskip(SKIP_1) | instid1(VALU_DEP_1)
	v_wmma_f32_16x16x16_bf16 v[129:136], v[25:32], v[49:56], v[129:136]
	s_waitcnt lgkmcnt(2)
	v_wmma_f32_16x16x16_bf16 v[129:136], v[33:40], v[41:48], v[129:136]
	s_waitcnt lgkmcnt(0)
	s_delay_alu instid0(VALU_DEP_1) | instskip(NEXT) | instid1(VALU_DEP_1)
	v_wmma_f32_16x16x16_bf16 v[129:136], v[9:16], v[17:24], v[129:136]
	v_and_b32_e32 v1, 0x7f800000, v129
	s_delay_alu instid0(VALU_DEP_1) | instskip(SKIP_1) | instid1(SALU_CYCLE_1)
	v_cmp_ne_u32_e32 vcc_lo, 0x7f800000, v1
                                        ; implicit-def: $vgpr1
	s_and_saveexec_b32 s3, vcc_lo
	s_xor_b32 s3, exec_lo, s3
; %bb.79:
	v_bfe_u32 v1, v129, 16, 1
	s_delay_alu instid0(VALU_DEP_1)
	v_add3_u32 v1, v129, v1, 0x7fff
; %bb.80:
	s_and_not1_saveexec_b32 s3, s3
; %bb.81:
	v_and_b32_e32 v1, 0xffff, v129
	v_or_b32_e32 v2, 0x10000, v129
	s_delay_alu instid0(VALU_DEP_2) | instskip(NEXT) | instid1(VALU_DEP_2)
	v_cmp_eq_u32_e32 vcc_lo, 0, v1
	v_cndmask_b32_e32 v1, v2, v129, vcc_lo
; %bb.82:
	s_or_b32 exec_lo, exec_lo, s3
	v_and_b32_e32 v2, 0x7f800000, v130
	s_delay_alu instid0(VALU_DEP_1) | instskip(SKIP_1) | instid1(SALU_CYCLE_1)
	v_cmp_ne_u32_e32 vcc_lo, 0x7f800000, v2
                                        ; implicit-def: $vgpr2
	s_and_saveexec_b32 s3, vcc_lo
	s_xor_b32 s3, exec_lo, s3
; %bb.83:
	v_bfe_u32 v2, v130, 16, 1
	s_delay_alu instid0(VALU_DEP_1)
	v_add3_u32 v2, v130, v2, 0x7fff
; %bb.84:
	s_and_not1_saveexec_b32 s3, s3
; %bb.85:
	v_and_b32_e32 v2, 0xffff, v130
	v_or_b32_e32 v3, 0x10000, v130
	s_delay_alu instid0(VALU_DEP_2) | instskip(NEXT) | instid1(VALU_DEP_2)
	v_cmp_eq_u32_e32 vcc_lo, 0, v2
	v_cndmask_b32_e32 v2, v3, v130, vcc_lo
; %bb.86:
	s_or_b32 exec_lo, exec_lo, s3
	v_and_b32_e32 v3, 0x7f800000, v131
	s_delay_alu instid0(VALU_DEP_1) | instskip(SKIP_1) | instid1(SALU_CYCLE_1)
	v_cmp_ne_u32_e32 vcc_lo, 0x7f800000, v3
                                        ; implicit-def: $vgpr3
	s_and_saveexec_b32 s3, vcc_lo
	s_xor_b32 s3, exec_lo, s3
; %bb.87:
	v_bfe_u32 v3, v131, 16, 1
	s_delay_alu instid0(VALU_DEP_1)
	v_add3_u32 v3, v131, v3, 0x7fff
; %bb.88:
	s_and_not1_saveexec_b32 s3, s3
; %bb.89:
	v_and_b32_e32 v3, 0xffff, v131
	v_or_b32_e32 v4, 0x10000, v131
	s_delay_alu instid0(VALU_DEP_2) | instskip(NEXT) | instid1(VALU_DEP_2)
	v_cmp_eq_u32_e32 vcc_lo, 0, v3
	v_cndmask_b32_e32 v3, v4, v131, vcc_lo
; %bb.90:
	s_or_b32 exec_lo, exec_lo, s3
	v_and_b32_e32 v4, 0x7f800000, v132
	s_delay_alu instid0(VALU_DEP_1) | instskip(SKIP_1) | instid1(SALU_CYCLE_1)
	v_cmp_ne_u32_e32 vcc_lo, 0x7f800000, v4
                                        ; implicit-def: $vgpr4
	s_and_saveexec_b32 s3, vcc_lo
	s_xor_b32 s3, exec_lo, s3
; %bb.91:
	v_bfe_u32 v4, v132, 16, 1
	s_delay_alu instid0(VALU_DEP_1)
	v_add3_u32 v4, v132, v4, 0x7fff
; %bb.92:
	s_and_not1_saveexec_b32 s3, s3
; %bb.93:
	v_and_b32_e32 v4, 0xffff, v132
	v_or_b32_e32 v5, 0x10000, v132
	s_delay_alu instid0(VALU_DEP_2) | instskip(NEXT) | instid1(VALU_DEP_2)
	v_cmp_eq_u32_e32 vcc_lo, 0, v4
	v_cndmask_b32_e32 v4, v5, v132, vcc_lo
; %bb.94:
	s_or_b32 exec_lo, exec_lo, s3
	v_and_b32_e32 v5, 0x7f800000, v133
	s_delay_alu instid0(VALU_DEP_1) | instskip(SKIP_1) | instid1(SALU_CYCLE_1)
	v_cmp_ne_u32_e32 vcc_lo, 0x7f800000, v5
                                        ; implicit-def: $vgpr5
	s_and_saveexec_b32 s3, vcc_lo
	s_xor_b32 s3, exec_lo, s3
; %bb.95:
	v_bfe_u32 v5, v133, 16, 1
	s_delay_alu instid0(VALU_DEP_1)
	v_add3_u32 v5, v133, v5, 0x7fff
; %bb.96:
	s_and_not1_saveexec_b32 s3, s3
; %bb.97:
	v_and_b32_e32 v5, 0xffff, v133
	v_or_b32_e32 v6, 0x10000, v133
	s_delay_alu instid0(VALU_DEP_2) | instskip(NEXT) | instid1(VALU_DEP_2)
	v_cmp_eq_u32_e32 vcc_lo, 0, v5
	v_cndmask_b32_e32 v5, v6, v133, vcc_lo
; %bb.98:
	s_or_b32 exec_lo, exec_lo, s3
	v_and_b32_e32 v6, 0x7f800000, v134
	s_delay_alu instid0(VALU_DEP_1) | instskip(SKIP_1) | instid1(SALU_CYCLE_1)
	v_cmp_ne_u32_e32 vcc_lo, 0x7f800000, v6
                                        ; implicit-def: $vgpr6
	s_and_saveexec_b32 s3, vcc_lo
	s_xor_b32 s3, exec_lo, s3
; %bb.99:
	v_bfe_u32 v6, v134, 16, 1
	s_delay_alu instid0(VALU_DEP_1)
	v_add3_u32 v6, v134, v6, 0x7fff
; %bb.100:
	s_and_not1_saveexec_b32 s3, s3
; %bb.101:
	v_and_b32_e32 v6, 0xffff, v134
	v_or_b32_e32 v7, 0x10000, v134
	s_delay_alu instid0(VALU_DEP_2) | instskip(NEXT) | instid1(VALU_DEP_2)
	v_cmp_eq_u32_e32 vcc_lo, 0, v6
	v_cndmask_b32_e32 v6, v7, v134, vcc_lo
; %bb.102:
	s_or_b32 exec_lo, exec_lo, s3
	v_and_b32_e32 v7, 0x7f800000, v135
	s_delay_alu instid0(VALU_DEP_1) | instskip(SKIP_1) | instid1(SALU_CYCLE_1)
	v_cmp_ne_u32_e32 vcc_lo, 0x7f800000, v7
                                        ; implicit-def: $vgpr7
	s_and_saveexec_b32 s3, vcc_lo
	s_xor_b32 s3, exec_lo, s3
; %bb.103:
	v_bfe_u32 v7, v135, 16, 1
	s_delay_alu instid0(VALU_DEP_1)
	v_add3_u32 v7, v135, v7, 0x7fff
; %bb.104:
	s_and_not1_saveexec_b32 s3, s3
; %bb.105:
	v_and_b32_e32 v7, 0xffff, v135
	v_or_b32_e32 v8, 0x10000, v135
	s_delay_alu instid0(VALU_DEP_2) | instskip(NEXT) | instid1(VALU_DEP_2)
	v_cmp_eq_u32_e32 vcc_lo, 0, v7
	v_cndmask_b32_e32 v7, v8, v135, vcc_lo
; %bb.106:
	s_or_b32 exec_lo, exec_lo, s3
	v_and_b32_e32 v8, 0x7f800000, v136
	s_delay_alu instid0(VALU_DEP_1) | instskip(SKIP_1) | instid1(SALU_CYCLE_1)
	v_cmp_ne_u32_e32 vcc_lo, 0x7f800000, v8
                                        ; implicit-def: $vgpr8
	s_and_saveexec_b32 s3, vcc_lo
	s_xor_b32 s3, exec_lo, s3
; %bb.107:
	v_bfe_u32 v8, v136, 16, 1
	s_delay_alu instid0(VALU_DEP_1)
	v_add3_u32 v8, v136, v8, 0x7fff
                                        ; implicit-def: $vgpr129_vgpr130_vgpr131_vgpr132_vgpr133_vgpr134_vgpr135_vgpr136
; %bb.108:
	s_and_not1_saveexec_b32 s3, s3
; %bb.109:
	v_and_b32_e32 v8, 0xffff, v136
	v_or_b32_e32 v9, 0x10000, v136
	s_delay_alu instid0(VALU_DEP_2) | instskip(NEXT) | instid1(VALU_DEP_2)
	v_cmp_eq_u32_e32 vcc_lo, 0, v8
	v_cndmask_b32_e32 v8, v9, v136, vcc_lo
; %bb.110:
	s_or_b32 exec_lo, exec_lo, s3
	s_delay_alu instid0(VALU_DEP_1)
	v_perm_b32 v7, v8, v7, 0x7060302
	v_perm_b32 v6, v6, v5, 0x7060302
	v_perm_b32 v5, v4, v3, 0x7060302
	v_perm_b32 v4, v2, v1, 0x7060302
	v_lshl_or_b32 v9, v146, 4, v141
	s_barrier
	buffer_gl0_inv
	v_cmp_eq_u32_e32 vcc_lo, 1, v138
	ds_store_b128 v9, v[4:7]
	s_waitcnt lgkmcnt(0)
	s_barrier
	buffer_gl0_inv
	ds_load_b128 v[1:4], v141
	ds_load_b128 v[5:8], v141 offset:16
	v_cmp_eq_u32_e64 s4, 2, v138
	v_cmp_eq_u32_e64 s3, 1, v139
	;; [unrolled: 1-line block ×5, first 2 shown]
	s_waitcnt lgkmcnt(1)
	v_lshrrev_b32_e32 v10, 16, v1
	s_waitcnt lgkmcnt(0)
	v_lshrrev_b32_e32 v14, 16, v5
	v_lshrrev_b32_e32 v15, 16, v6
	v_lshrrev_b32_e32 v11, 16, v2
	v_lshrrev_b32_e32 v12, 16, v3
	v_cndmask_b32_e64 v20, v1, v10, s3
	v_cndmask_b32_e32 v19, v5, v14, vcc_lo
	v_cndmask_b32_e64 v21, v5, v14, s3
	v_lshrrev_b32_e32 v16, 16, v7
	v_cmp_eq_u32_e64 s3, 1, v137
	v_lshrrev_b32_e32 v13, 16, v4
	v_cndmask_b32_e64 v19, v19, v6, s4
	v_lshrrev_b32_e32 v17, 16, v8
	s_delay_alu instid0(VALU_DEP_4) | instskip(SKIP_1) | instid1(VALU_DEP_4)
	v_cndmask_b32_e64 v22, v1, v10, s3
	v_cndmask_b32_e64 v23, v5, v14, s3
	;; [unrolled: 1-line block ×3, first 2 shown]
	v_cndmask_b32_e32 v18, v1, v10, vcc_lo
	v_cmp_eq_u32_e32 vcc_lo, 2, v139
	v_cmp_eq_u32_e64 s3, 2, v142
	v_cndmask_b32_e64 v22, v22, v2, s7
	v_cndmask_b32_e32 v20, v20, v2, vcc_lo
	v_cndmask_b32_e32 v21, v21, v6, vcc_lo
	v_cmp_eq_u32_e32 vcc_lo, 4, v138
	v_cndmask_b32_e32 v19, v19, v7, vcc_lo
	v_cndmask_b32_e64 v18, v18, v2, s4
	v_cmp_eq_u32_e64 s4, 3, v139
	s_delay_alu instid0(VALU_DEP_2) | instskip(NEXT) | instid1(VALU_DEP_2)
	v_cndmask_b32_e64 v18, v18, v11, s5
	v_cndmask_b32_e64 v21, v21, v15, s4
	v_cmp_eq_u32_e64 s5, 5, v138
	s_delay_alu instid0(VALU_DEP_3) | instskip(SKIP_1) | instid1(VALU_DEP_3)
	v_cndmask_b32_e32 v18, v18, v3, vcc_lo
	v_cmp_eq_u32_e32 vcc_lo, 4, v139
	v_cndmask_b32_e64 v19, v19, v16, s5
	s_delay_alu instid0(VALU_DEP_3) | instskip(SKIP_4) | instid1(VALU_DEP_3)
	v_cndmask_b32_e64 v18, v18, v12, s5
	v_cndmask_b32_e32 v21, v21, v7, vcc_lo
	v_cndmask_b32_e64 v20, v20, v11, s4
	v_cmp_eq_u32_e64 s4, 5, v139
	v_cmp_eq_u32_e64 s5, 6, v138
	v_cndmask_b32_e32 v20, v20, v3, vcc_lo
	s_delay_alu instid0(VALU_DEP_3) | instskip(SKIP_1) | instid1(VALU_DEP_4)
	v_cndmask_b32_e64 v21, v21, v16, s4
	v_cmp_eq_u32_e32 vcc_lo, 6, v139
	v_cndmask_b32_e64 v18, v18, v4, s5
	v_cndmask_b32_e64 v19, v19, v8, s5
	v_cndmask_b32_e64 v20, v20, v12, s4
	v_cmp_eq_u32_e64 s4, 1, v142
	v_cmp_eq_u32_e64 s5, 7, v138
	s_delay_alu instid0(VALU_DEP_3) | instskip(NEXT) | instid1(VALU_DEP_3)
	v_cndmask_b32_e32 v20, v20, v4, vcc_lo
	v_cndmask_b32_e64 v1, v1, v10, s4
	v_cndmask_b32_e64 v5, v5, v14, s4
	v_cmp_eq_u32_e64 s4, 3, v137
	v_cndmask_b32_e64 v14, v23, v6, s7
	v_cmp_eq_u32_e64 s7, 3, v142
	v_cndmask_b32_e64 v1, v1, v2, s3
	v_cndmask_b32_e64 v2, v5, v6, s3
	;; [unrolled: 1-line block ×3, first 2 shown]
	v_cmp_eq_u32_e64 s3, 4, v137
	v_cndmask_b32_e64 v6, v14, v15, s4
	v_cndmask_b32_e64 v1, v1, v11, s7
	v_cmp_eq_u32_e64 s4, 4, v142
	v_cndmask_b32_e64 v2, v2, v15, s7
	v_cndmask_b32_e64 v5, v10, v3, s3
	;; [unrolled: 3-line block ×3, first 2 shown]
	v_cndmask_b32_e64 v2, v2, v7, s4
	v_cmp_eq_u32_e64 s3, 5, v142
	v_cndmask_b32_e64 v5, v5, v12, s7
	v_cmp_eq_u32_e64 s4, 6, v137
	;; [unrolled: 2-line block ×3, first 2 shown]
	v_cndmask_b32_e64 v1, v1, v12, s3
	v_cndmask_b32_e64 v2, v2, v16, s3
	;; [unrolled: 1-line block ×4, first 2 shown]
	v_cmp_eq_u32_e64 s3, 7, v142
	v_cndmask_b32_e64 v1, v1, v4, s7
	v_cndmask_b32_e64 v2, v2, v8, s7
	v_cmp_eq_u32_e64 s4, 7, v137
	v_cndmask_b32_e32 v4, v21, v8, vcc_lo
	v_cndmask_b32_e64 v18, v18, v13, s5
	v_cndmask_b32_e64 v20, v20, v13, s6
	;; [unrolled: 1-line block ×8, first 2 shown]
	v_cmp_gt_u32_e32 vcc_lo, 32, v0
	v_perm_b32 v4, v2, v1, 0x5040100
	v_perm_b32 v3, v3, v5, 0x5040100
	;; [unrolled: 1-line block ×4, first 2 shown]
	s_and_b32 s2, vcc_lo, s2
	ds_store_b128 v9, v[1:4]
	s_waitcnt lgkmcnt(0)
	s_barrier
	buffer_gl0_inv
	s_and_saveexec_b32 s3, s2
	s_cbranch_execz .LBB427_2
; %bb.111:
	s_load_b64 s[0:1], s[0:1], 0x68
	s_lshl_b32 s4, s34, 6
	v_or_b32_e32 v3, s31, v146
	s_mul_i32 s2, s4, s30
	v_lshlrev_b32_e32 v0, 10, v0
	s_mul_i32 s2, s2, s8
	v_lshlrev_b32_e32 v1, 4, v147
	s_ashr_i32 s3, s2, 31
	v_mul_lo_u32 v12, v3, s4
	s_lshl_b64 s[2:3], s[2:3], 1
	v_lshlrev_b32_e32 v2, 6, v146
	v_and_b32_e32 v0, 0x3800, v0
	s_delay_alu instid0(VALU_DEP_1) | instskip(NEXT) | instid1(VALU_DEP_4)
	v_or3_b32 v8, v0, v1, v2
	v_ashrrev_i32_e32 v13, 31, v12
	ds_load_b128 v[0:3], v8
	ds_load_b128 v[4:7], v8 offset:128
	ds_load_b128 v[8:11], v8 offset:256
	s_waitcnt lgkmcnt(0)
	s_add_u32 s2, s0, s2
	s_addc_u32 s3, s1, s3
	s_lshl_b32 s0, s14, 6
	s_delay_alu instid0(SALU_CYCLE_1) | instskip(NEXT) | instid1(SALU_CYCLE_1)
	s_ashr_i32 s1, s0, 31
	s_lshl_b64 s[0:1], s[0:1], 1
	s_delay_alu instid0(SALU_CYCLE_1)
	s_add_u32 s0, s2, s0
	s_addc_u32 s1, s3, s1
	s_lshl_b32 s2, s34, 7
	v_add_co_u32 v18, s0, s0, v145
	v_add_nc_u32_e32 v14, s2, v12
	v_lshlrev_b64 v[12:13], 1, v[12:13]
	v_add_co_ci_u32_e64 v19, null, s1, 0, s0
	s_delay_alu instid0(VALU_DEP_3) | instskip(SKIP_1) | instid1(VALU_DEP_4)
	v_add_nc_u32_e32 v16, s2, v14
	v_ashrrev_i32_e32 v15, 31, v14
	v_add_co_u32 v12, vcc_lo, v18, v12
	s_delay_alu instid0(VALU_DEP_4) | instskip(NEXT) | instid1(VALU_DEP_4)
	v_add_co_ci_u32_e32 v13, vcc_lo, v19, v13, vcc_lo
	v_ashrrev_i32_e32 v17, 31, v16
	s_delay_alu instid0(VALU_DEP_4) | instskip(NEXT) | instid1(VALU_DEP_2)
	v_lshlrev_b64 v[14:15], 1, v[14:15]
	v_lshlrev_b64 v[16:17], 1, v[16:17]
	s_delay_alu instid0(VALU_DEP_2) | instskip(NEXT) | instid1(VALU_DEP_3)
	v_add_co_u32 v14, vcc_lo, v18, v14
	v_add_co_ci_u32_e32 v15, vcc_lo, v19, v15, vcc_lo
	s_delay_alu instid0(VALU_DEP_3) | instskip(NEXT) | instid1(VALU_DEP_4)
	v_add_co_u32 v16, vcc_lo, v18, v16
	v_add_co_ci_u32_e32 v17, vcc_lo, v19, v17, vcc_lo
	s_clause 0x2
	global_store_b128 v[12:13], v[0:3], off
	global_store_b128 v[14:15], v[4:7], off
	;; [unrolled: 1-line block ×3, first 2 shown]
	s_nop 0
	s_sendmsg sendmsg(MSG_DEALLOC_VGPRS)
	s_endpgm
	.section	.rodata,"a",@progbits
	.p2align	6, 0x0
	.amdhsa_kernel _Z39paged_attention_ll4mi_QKV_mfma16_kernelI14__hip_bfloat16S0_LN4vllm18Fp8KVCacheDataTypeE0EhLi16ELi64ELi256ELb0ELi6EL8MFMAType0EEvPKT_PKT0_S9_ifPKiSB_SB_iPKfiiiPfSE_PS4_PT2_iSD_SD_
		.amdhsa_group_segment_fixed_size 17472
		.amdhsa_private_segment_fixed_size 0
		.amdhsa_kernarg_size 400
		.amdhsa_user_sgpr_count 13
		.amdhsa_user_sgpr_dispatch_ptr 0
		.amdhsa_user_sgpr_queue_ptr 0
		.amdhsa_user_sgpr_kernarg_segment_ptr 1
		.amdhsa_user_sgpr_dispatch_id 0
		.amdhsa_user_sgpr_private_segment_size 0
		.amdhsa_wavefront_size32 1
		.amdhsa_uses_dynamic_stack 0
		.amdhsa_enable_private_segment 0
		.amdhsa_system_sgpr_workgroup_id_x 1
		.amdhsa_system_sgpr_workgroup_id_y 1
		.amdhsa_system_sgpr_workgroup_id_z 1
		.amdhsa_system_sgpr_workgroup_info 0
		.amdhsa_system_vgpr_workitem_id 0
		.amdhsa_next_free_vgpr 198
		.amdhsa_next_free_sgpr 52
		.amdhsa_reserve_vcc 1
		.amdhsa_float_round_mode_32 0
		.amdhsa_float_round_mode_16_64 0
		.amdhsa_float_denorm_mode_32 3
		.amdhsa_float_denorm_mode_16_64 3
		.amdhsa_dx10_clamp 1
		.amdhsa_ieee_mode 1
		.amdhsa_fp16_overflow 0
		.amdhsa_workgroup_processor_mode 1
		.amdhsa_memory_ordered 1
		.amdhsa_forward_progress 0
		.amdhsa_shared_vgpr_count 0
		.amdhsa_exception_fp_ieee_invalid_op 0
		.amdhsa_exception_fp_denorm_src 0
		.amdhsa_exception_fp_ieee_div_zero 0
		.amdhsa_exception_fp_ieee_overflow 0
		.amdhsa_exception_fp_ieee_underflow 0
		.amdhsa_exception_fp_ieee_inexact 0
		.amdhsa_exception_int_div_zero 0
	.end_amdhsa_kernel
	.section	.text._Z39paged_attention_ll4mi_QKV_mfma16_kernelI14__hip_bfloat16S0_LN4vllm18Fp8KVCacheDataTypeE0EhLi16ELi64ELi256ELb0ELi6EL8MFMAType0EEvPKT_PKT0_S9_ifPKiSB_SB_iPKfiiiPfSE_PS4_PT2_iSD_SD_,"axG",@progbits,_Z39paged_attention_ll4mi_QKV_mfma16_kernelI14__hip_bfloat16S0_LN4vllm18Fp8KVCacheDataTypeE0EhLi16ELi64ELi256ELb0ELi6EL8MFMAType0EEvPKT_PKT0_S9_ifPKiSB_SB_iPKfiiiPfSE_PS4_PT2_iSD_SD_,comdat
.Lfunc_end427:
	.size	_Z39paged_attention_ll4mi_QKV_mfma16_kernelI14__hip_bfloat16S0_LN4vllm18Fp8KVCacheDataTypeE0EhLi16ELi64ELi256ELb0ELi6EL8MFMAType0EEvPKT_PKT0_S9_ifPKiSB_SB_iPKfiiiPfSE_PS4_PT2_iSD_SD_, .Lfunc_end427-_Z39paged_attention_ll4mi_QKV_mfma16_kernelI14__hip_bfloat16S0_LN4vllm18Fp8KVCacheDataTypeE0EhLi16ELi64ELi256ELb0ELi6EL8MFMAType0EEvPKT_PKT0_S9_ifPKiSB_SB_iPKfiiiPfSE_PS4_PT2_iSD_SD_
                                        ; -- End function
	.section	.AMDGPU.csdata,"",@progbits
; Kernel info:
; codeLenInByte = 9996
; NumSgprs: 54
; NumVgprs: 198
; ScratchSize: 0
; MemoryBound: 0
; FloatMode: 240
; IeeeMode: 1
; LDSByteSize: 17472 bytes/workgroup (compile time only)
; SGPRBlocks: 6
; VGPRBlocks: 24
; NumSGPRsForWavesPerEU: 54
; NumVGPRsForWavesPerEU: 198
; Occupancy: 7
; WaveLimiterHint : 1
; COMPUTE_PGM_RSRC2:SCRATCH_EN: 0
; COMPUTE_PGM_RSRC2:USER_SGPR: 13
; COMPUTE_PGM_RSRC2:TRAP_HANDLER: 0
; COMPUTE_PGM_RSRC2:TGID_X_EN: 1
; COMPUTE_PGM_RSRC2:TGID_Y_EN: 1
; COMPUTE_PGM_RSRC2:TGID_Z_EN: 1
; COMPUTE_PGM_RSRC2:TIDIG_COMP_CNT: 0
	.section	.text._Z39paged_attention_ll4mi_QKV_mfma16_kernelI14__hip_bfloat16S0_LN4vllm18Fp8KVCacheDataTypeE0EhLi16ELi64ELi256ELb0ELi7EL8MFMAType0EEvPKT_PKT0_S9_ifPKiSB_SB_iPKfiiiPfSE_PS4_PT2_iSD_SD_,"axG",@progbits,_Z39paged_attention_ll4mi_QKV_mfma16_kernelI14__hip_bfloat16S0_LN4vllm18Fp8KVCacheDataTypeE0EhLi16ELi64ELi256ELb0ELi7EL8MFMAType0EEvPKT_PKT0_S9_ifPKiSB_SB_iPKfiiiPfSE_PS4_PT2_iSD_SD_,comdat
	.protected	_Z39paged_attention_ll4mi_QKV_mfma16_kernelI14__hip_bfloat16S0_LN4vllm18Fp8KVCacheDataTypeE0EhLi16ELi64ELi256ELb0ELi7EL8MFMAType0EEvPKT_PKT0_S9_ifPKiSB_SB_iPKfiiiPfSE_PS4_PT2_iSD_SD_ ; -- Begin function _Z39paged_attention_ll4mi_QKV_mfma16_kernelI14__hip_bfloat16S0_LN4vllm18Fp8KVCacheDataTypeE0EhLi16ELi64ELi256ELb0ELi7EL8MFMAType0EEvPKT_PKT0_S9_ifPKiSB_SB_iPKfiiiPfSE_PS4_PT2_iSD_SD_
	.globl	_Z39paged_attention_ll4mi_QKV_mfma16_kernelI14__hip_bfloat16S0_LN4vllm18Fp8KVCacheDataTypeE0EhLi16ELi64ELi256ELb0ELi7EL8MFMAType0EEvPKT_PKT0_S9_ifPKiSB_SB_iPKfiiiPfSE_PS4_PT2_iSD_SD_
	.p2align	8
	.type	_Z39paged_attention_ll4mi_QKV_mfma16_kernelI14__hip_bfloat16S0_LN4vllm18Fp8KVCacheDataTypeE0EhLi16ELi64ELi256ELb0ELi7EL8MFMAType0EEvPKT_PKT0_S9_ifPKiSB_SB_iPKfiiiPfSE_PS4_PT2_iSD_SD_,@function
_Z39paged_attention_ll4mi_QKV_mfma16_kernelI14__hip_bfloat16S0_LN4vllm18Fp8KVCacheDataTypeE0EhLi16ELi64ELi256ELb0ELi7EL8MFMAType0EEvPKT_PKT0_S9_ifPKiSB_SB_iPKfiiiPfSE_PS4_PT2_iSD_SD_: ; @_Z39paged_attention_ll4mi_QKV_mfma16_kernelI14__hip_bfloat16S0_LN4vllm18Fp8KVCacheDataTypeE0EhLi16ELi64ELi256ELb0ELi7EL8MFMAType0EEvPKT_PKT0_S9_ifPKiSB_SB_iPKfiiiPfSE_PS4_PT2_iSD_SD_
; %bb.0:
	s_load_b64 s[2:3], s[0:1], 0x30
	s_mov_b32 s34, s13
	s_waitcnt lgkmcnt(0)
	s_cmp_lg_u64 s[2:3], 0
	s_cselect_b32 s8, -1, 0
	s_ashr_i32 s35, s13, 31
	s_cmp_eq_u64 s[2:3], 0
	s_cbranch_scc1 .LBB428_3
; %bb.1:
	s_lshl_b64 s[4:5], s[34:35], 2
	s_delay_alu instid0(SALU_CYCLE_1) | instskip(SKIP_4) | instid1(SALU_CYCLE_1)
	s_add_u32 s4, s2, s4
	s_addc_u32 s5, s3, s5
	s_load_b64 s[4:5], s[4:5], 0x0
	s_waitcnt lgkmcnt(0)
	s_sub_i32 s4, s5, s4
	s_cmp_eq_u32 s4, 1
	s_cselect_b32 s4, -1, 0
	s_delay_alu instid0(SALU_CYCLE_1)
	s_and_not1_b32 vcc_lo, exec_lo, s4
	s_cbranch_vccz .LBB428_4
.LBB428_2:
	s_nop 0
	s_sendmsg sendmsg(MSG_DEALLOC_VGPRS)
	s_endpgm
.LBB428_3:
.LBB428_4:
	s_load_b64 s[4:5], s[0:1], 0x28
	s_lshl_b64 s[6:7], s[34:35], 2
	s_waitcnt lgkmcnt(0)
	s_add_u32 s4, s4, s6
	s_addc_u32 s5, s5, s7
	s_lshl_b32 s33, s14, 8
	s_load_b32 s30, s[4:5], 0x0
	s_waitcnt lgkmcnt(0)
	s_cmp_ge_i32 s33, s30
	s_cbranch_scc1 .LBB428_2
; %bb.5:
	s_clause 0x1
	s_load_b128 s[20:23], s[0:1], 0x8
	s_load_b64 s[4:5], s[0:1], 0x20
	s_and_not1_b32 vcc_lo, exec_lo, s8
	s_cbranch_vccnz .LBB428_7
; %bb.6:
	s_add_u32 s2, s2, s6
	s_addc_u32 s3, s3, s7
	s_load_b32 s3, s[2:3], 0x0
	s_branch .LBB428_8
.LBB428_7:
	s_mov_b32 s3, s34
.LBB428_8:
	s_load_b128 s[16:19], s[0:1], 0x48
	v_lshrrev_b32_e32 v149, 5, v0
	v_bfe_u32 v146, v0, 4, 1
	v_and_b32_e32 v148, 15, v0
	v_and_b32_e32 v150, 31, v0
	;; [unrolled: 1-line block ×3, first 2 shown]
	s_mul_i32 s31, s15, 7
	v_lshl_or_b32 v1, v149, 1, v146
	v_lshlrev_b32_e32 v2, 3, v148
	v_cmp_gt_u32_e64 s2, 8, v148
	s_delay_alu instid0(VALU_DEP_3) | instskip(NEXT) | instid1(VALU_DEP_3)
	v_cmp_gt_u32_e32 vcc_lo, 7, v1
	v_lshlrev_b32_e32 v145, 1, v2
	s_delay_alu instid0(VALU_DEP_3) | instskip(NEXT) | instid1(SALU_CYCLE_1)
	s_and_b32 s7, s2, vcc_lo
	s_and_saveexec_b32 s6, s7
	s_cbranch_execz .LBB428_10
; %bb.9:
	s_load_b64 s[8:9], s[0:1], 0x0
	v_add_lshl_u32 v2, v1, s31, 6
	s_waitcnt lgkmcnt(0)
	s_mul_hi_i32 s11, s3, s16
	s_mul_i32 s10, s3, s16
	v_lshlrev_b32_e32 v6, 10, v148
	s_lshl_b64 s[10:11], s[10:11], 1
	v_ashrrev_i32_e32 v3, 31, v2
	v_lshlrev_b32_e32 v1, 6, v1
	v_lshlrev_b32_e32 v7, 10, v147
	v_and_b32_e32 v6, 0x3800, v6
	s_delay_alu instid0(VALU_DEP_4) | instskip(NEXT) | instid1(VALU_DEP_2)
	v_lshlrev_b64 v[2:3], 1, v[2:3]
	v_or3_b32 v1, v6, v7, v1
	s_add_u32 s3, s8, s10
	s_addc_u32 s7, s9, s11
	s_delay_alu instid0(VALU_DEP_2) | instskip(NEXT) | instid1(VALU_DEP_3)
	v_add_co_u32 v2, vcc_lo, s3, v2
	v_add_co_ci_u32_e32 v3, vcc_lo, s7, v3, vcc_lo
	s_delay_alu instid0(VALU_DEP_2) | instskip(NEXT) | instid1(VALU_DEP_2)
	v_add_co_u32 v2, vcc_lo, v2, v145
	v_add_co_ci_u32_e32 v3, vcc_lo, 0, v3, vcc_lo
	global_load_b128 v[2:5], v[2:3], off
	s_waitcnt vmcnt(0)
	ds_store_b128 v1, v[2:5]
.LBB428_10:
	s_or_b32 exec_lo, exec_lo, s6
	v_and_b32_e32 v1, 0xef, v0
	s_waitcnt lgkmcnt(0)
	s_add_i32 s3, s30, 15
	s_clause 0x1
	s_load_b32 s6, s[0:1], 0x38
	s_load_b32 s35, s[0:1], 0x1c
	s_ashr_i32 s7, s3, 31
	v_add_nc_u32_e32 v1, s33, v1
	s_lshr_b32 s7, s7, 28
	s_waitcnt lgkmcnt(0)
	s_add_i32 s3, s3, s7
	s_barrier
	v_ashrrev_i32_e32 v2, 31, v1
	v_or_b32_e32 v3, 16, v1
	s_ashr_i32 s3, s3, 4
	v_cmp_gt_i32_e32 vcc_lo, s30, v1
	s_add_i32 s3, s3, -1
	v_lshrrev_b32_e32 v2, 28, v2
	buffer_gl0_inv
	v_mul_lo_u16 v21, v148, 37
	v_lshlrev_b32_e32 v22, 5, v148
	v_add_nc_u32_e32 v4, v1, v2
	s_mul_i32 s6, s34, s6
	s_delay_alu instid0(VALU_DEP_3) | instskip(SKIP_1) | instid1(VALU_DEP_2)
	v_lshrrev_b16 v21, 8, v21
	s_ashr_i32 s7, s6, 31
	v_ashrrev_i32_e32 v4, 4, v4
	v_add_nc_u32_e32 v2, v3, v2
	s_lshl_b64 s[6:7], s[6:7], 2
	v_mul_lo_u16 v21, v21, 7
	s_add_u32 s16, s4, s6
	v_cndmask_b32_e32 v1, s3, v4, vcc_lo
	v_ashrrev_i32_e32 v2, 4, v2
	v_cmp_gt_i32_e32 vcc_lo, s30, v3
	s_addc_u32 s36, s5, s7
	s_mul_i32 s4, s15, s18
	v_sub_nc_u16 v21, v148, v21
	s_ashr_i32 s5, s4, 31
	v_cndmask_b32_e32 v3, s3, v2, vcc_lo
	v_ashrrev_i32_e32 v2, 31, v1
	s_lshl_b64 s[12:13], s[4:5], 1
	v_and_b32_e32 v21, 0xff, v21
	s_add_u32 s26, s20, s12
	v_ashrrev_i32_e32 v4, 31, v3
	v_lshlrev_b64 v[1:2], 2, v[1:2]
	s_addc_u32 s27, s21, s13
	s_lshl_b32 s4, s14, 4
	v_lshlrev_b32_e32 v197, 6, v21
	v_lshlrev_b64 v[3:4], 2, v[3:4]
	s_ashr_i32 s5, s4, 31
	v_add_co_u32 v1, vcc_lo, s16, v1
	v_add_co_ci_u32_e32 v2, vcc_lo, s36, v2, vcc_lo
	s_delay_alu instid0(VALU_DEP_3) | instskip(NEXT) | instid1(VALU_DEP_4)
	v_add_co_u32 v3, vcc_lo, s16, v3
	v_add_co_ci_u32_e32 v4, vcc_lo, s36, v4, vcc_lo
	s_clause 0x1
	global_load_b32 v5, v[1:2], off
	global_load_b32 v6, v[3:4], off
	s_lshl_b64 s[4:5], s[4:5], 2
	v_lshlrev_b32_e32 v3, 4, v0
	s_add_u32 s4, s16, s4
	s_addc_u32 s5, s36, s5
	s_or_b32 s6, s33, 16
	v_lshl_or_b32 v22, v149, 9, v22
	s_ashr_i32 s7, s6, 4
	s_cmp_lt_i32 s6, s30
	s_cselect_b32 s6, s7, s3
	s_delay_alu instid0(SALU_CYCLE_1) | instskip(NEXT) | instid1(SALU_CYCLE_1)
	s_ashr_i32 s7, s6, 31
	s_lshl_b64 s[6:7], s[6:7], 2
	s_delay_alu instid0(SALU_CYCLE_1) | instskip(SKIP_2) | instid1(SALU_CYCLE_1)
	s_add_u32 s6, s16, s6
	s_addc_u32 s7, s36, s7
	s_or_b32 s8, s33, 32
	s_ashr_i32 s9, s8, 4
	s_cmp_lt_i32 s8, s30
	s_cselect_b32 s8, s9, s3
	s_delay_alu instid0(SALU_CYCLE_1) | instskip(NEXT) | instid1(SALU_CYCLE_1)
	s_ashr_i32 s9, s8, 31
	s_lshl_b64 s[8:9], s[8:9], 2
	s_delay_alu instid0(SALU_CYCLE_1) | instskip(SKIP_2) | instid1(SALU_CYCLE_1)
	s_add_u32 s8, s16, s8
	s_addc_u32 s9, s36, s9
	s_or_b32 s10, s33, 48
	;; [unrolled: 10-line block ×4, first 2 shown]
	s_ashr_i32 s18, s15, 4
	s_cmp_lt_i32 s15, s30
	s_cselect_b32 s18, s18, s3
	s_delay_alu instid0(SALU_CYCLE_1) | instskip(NEXT) | instid1(SALU_CYCLE_1)
	s_ashr_i32 s19, s18, 31
	s_lshl_b64 s[18:19], s[18:19], 2
	s_delay_alu instid0(SALU_CYCLE_1)
	s_add_u32 s24, s16, s18
	s_addc_u32 s25, s36, s19
	s_clause 0x5
	s_load_b32 s37, s[4:5], 0x0
	s_load_b32 s29, s[6:7], 0x0
	;; [unrolled: 1-line block ×6, first 2 shown]
	s_waitcnt vmcnt(1)
	v_mad_i64_i32 v[1:2], null, v5, s17, 0
	v_and_b32_e32 v5, 0xf0, v3
	s_waitcnt vmcnt(0)
	v_mad_i64_i32 v[3:4], null, v6, s17, 0
	s_delay_alu instid0(VALU_DEP_2) | instskip(NEXT) | instid1(VALU_DEP_4)
	v_add_co_u32 v5, s4, s26, v5
	v_lshlrev_b64 v[1:2], 1, v[1:2]
	v_add_co_ci_u32_e64 v6, null, s27, 0, s4
	s_delay_alu instid0(VALU_DEP_4) | instskip(SKIP_1) | instid1(VALU_DEP_3)
	v_lshlrev_b64 v[3:4], 1, v[3:4]
	s_or_b32 s4, s33, 0x60
	v_add_co_u32 v19, vcc_lo, v5, v1
	s_delay_alu instid0(VALU_DEP_3) | instskip(NEXT) | instid1(VALU_DEP_3)
	v_add_co_ci_u32_e32 v20, vcc_lo, v6, v2, vcc_lo
	v_add_co_u32 v17, vcc_lo, v5, v3
	s_delay_alu instid0(VALU_DEP_4)
	v_add_co_ci_u32_e32 v18, vcc_lo, v6, v4, vcc_lo
	s_clause 0xb
	global_load_b128 v[1:4], v[19:20], off
	global_load_b128 v[5:8], v[19:20], off offset:256
	global_load_b128 v[129:132], v[17:18], off
	global_load_b128 v[133:136], v[17:18], off offset:256
	global_load_b128 v[33:36], v[19:20], off offset:512
	;; [unrolled: 1-line block ×9, first 2 shown]
	ds_load_b128 v[159:162], v197
	ds_load_b128 v[163:166], v197 offset:1024
	s_clause 0x3
	global_load_b128 v[167:170], v[19:20], off offset:1536
	global_load_b128 v[171:174], v[19:20], off offset:1792
	global_load_b128 v[175:178], v[17:18], off offset:1536
	global_load_b128 v[179:182], v[17:18], off offset:1792
	s_ashr_i32 s5, s4, 4
	s_cmp_lt_i32 s4, s30
	s_cselect_b32 s4, s5, s3
	s_delay_alu instid0(SALU_CYCLE_1) | instskip(NEXT) | instid1(SALU_CYCLE_1)
	s_ashr_i32 s5, s4, 31
	s_lshl_b64 s[4:5], s[4:5], 2
	s_delay_alu instid0(SALU_CYCLE_1) | instskip(SKIP_2) | instid1(SALU_CYCLE_1)
	s_add_u32 s20, s16, s4
	s_addc_u32 s21, s36, s5
	s_or_b32 s4, s33, 0x70
	s_ashr_i32 s5, s4, 4
	s_cmp_lt_i32 s4, s30
	s_cselect_b32 s4, s5, s3
	s_delay_alu instid0(SALU_CYCLE_1) | instskip(NEXT) | instid1(SALU_CYCLE_1)
	s_ashr_i32 s5, s4, 31
	s_lshl_b64 s[6:7], s[4:5], 2
	s_mov_b32 s4, 0
	s_add_u32 s24, s16, s6
	s_addc_u32 s25, s36, s7
	s_or_b32 s5, s33, 0x80
	s_mov_b32 s11, s4
	s_ashr_i32 s6, s5, 4
	s_cmp_lt_i32 s5, s30
	s_mov_b32 s5, s4
	s_cselect_b32 s8, s6, s3
	s_mov_b32 s6, s4
	s_ashr_i32 s9, s8, 31
	s_mov_b32 s7, s4
	s_lshl_b64 s[8:9], s[8:9], 2
	s_load_b32 s46, s[24:25], 0x0
	s_add_u32 s26, s16, s8
	s_addc_u32 s27, s36, s9
	s_or_b32 s9, s33, 0x90
	s_load_b32 s47, s[26:27], 0x0
	s_ashr_i32 s10, s9, 4
	s_cmp_lt_i32 s9, s30
	s_mov_b32 s8, s4
	s_cselect_b32 s38, s10, s3
	s_mov_b32 s9, s4
	s_ashr_i32 s39, s38, 31
	s_mov_b32 s10, s4
	s_lshl_b64 s[38:39], s[38:39], 2
	v_mov_b32_e32 v144, s11
	s_add_u32 s38, s16, s38
	s_addc_u32 s39, s36, s39
	s_or_b32 s40, s33, 0xa0
	v_mov_b32_e32 v143, s10
	s_ashr_i32 s41, s40, 4
	s_cmp_lt_i32 s40, s30
	v_mov_b32_e32 v142, s9
	s_cselect_b32 s40, s41, s3
	v_mov_b32_e32 v141, s8
	s_ashr_i32 s41, s40, 31
	v_dual_mov_b32 v140, s7 :: v_dual_mov_b32 v139, s6
	v_dual_mov_b32 v138, s5 :: v_dual_mov_b32 v137, s4
	s_lshl_b64 s[4:5], s[40:41], 2
	s_waitcnt lgkmcnt(0)
	s_mul_hi_i32 s7, s29, s17
	s_add_u32 s42, s16, s4
	s_addc_u32 s43, s36, s5
	s_or_b32 s4, s33, 0xb0
	s_mul_hi_i32 s5, s37, s17
	s_ashr_i32 s6, s4, 4
	s_cmp_lt_i32 s4, s30
	s_mul_i32 s4, s37, s17
	s_cselect_b32 s8, s6, s3
	s_mul_i32 s6, s29, s17
	s_ashr_i32 s9, s8, 31
	s_load_b32 s41, s[20:21], 0x0
	s_lshl_b64 s[8:9], s[8:9], 2
	s_load_b32 s40, s[38:39], 0x0
	s_add_u32 s44, s16, s8
	s_addc_u32 s45, s36, s9
	s_or_b32 s8, s33, 0xc0
	s_mul_hi_i32 s9, s28, s17
	s_ashr_i32 s10, s8, 4
	s_cmp_lt_i32 s8, s30
	s_mul_i32 s8, s28, s17
	s_cselect_b32 s28, s10, s3
	s_load_b32 s39, s[42:43], 0x0
	s_ashr_i32 s29, s28, 31
	s_mul_hi_i32 s21, s15, s17
	s_lshl_b64 s[28:29], s[28:29], 2
	s_mul_hi_i32 s27, s46, s17
	s_add_u32 s28, s16, s28
	s_addc_u32 s29, s36, s29
	s_or_b32 s37, s33, 0xd0
	s_mul_i32 s26, s46, s17
	s_ashr_i32 s20, s37, 4
	s_cmp_lt_i32 s37, s30
	s_mul_hi_i32 s11, s19, s17
	s_cselect_b32 s24, s20, s3
	s_mul_i32 s20, s15, s17
	s_ashr_i32 s25, s24, 31
	s_mul_i32 s10, s19, s17
	s_lshl_b64 s[24:25], s[24:25], 2
	s_mul_hi_i32 s19, s18, s17
	s_add_u32 s24, s16, s24
	s_addc_u32 s25, s36, s25
	s_or_b32 s42, s33, 0xe0
	s_clause 0x2
	s_load_b32 s38, s[44:45], 0x0
	s_load_b32 s37, s[28:29], 0x0
	;; [unrolled: 1-line block ×3, first 2 shown]
	s_ashr_i32 s43, s42, 4
	s_cmp_lt_i32 s42, s30
	s_mul_hi_i32 s29, s47, s17
	s_cselect_b32 s42, s43, s3
	s_mul_i32 s28, s47, s17
	s_ashr_i32 s43, s42, 31
	s_mul_i32 s18, s18, s17
	s_lshl_b64 s[42:43], s[42:43], 2
	s_waitcnt lgkmcnt(0)
	s_mul_hi_i32 s25, s41, s17
	s_add_u32 s42, s16, s42
	s_addc_u32 s43, s36, s43
	s_or_b32 s46, s33, 0xf0
	s_mul_i32 s24, s41, s17
	s_ashr_i32 s47, s46, 4
	s_cmp_lt_i32 s46, s30
	s_mul_hi_i32 s41, s40, s17
	s_cselect_b32 s46, s47, s3
	s_mul_i32 s40, s40, s17
	s_ashr_i32 s47, s46, 31
	s_mul_hi_i32 s51, s15, s17
	s_lshl_b64 s[46:47], s[46:47], 2
	s_mul_i32 s50, s15, s17
	s_add_u32 s46, s16, s46
	s_addc_u32 s47, s36, s47
	s_add_u32 s3, s22, s12
	s_addc_u32 s15, s23, s13
	v_add_co_u32 v195, s3, s3, v22
	s_delay_alu instid0(VALU_DEP_1) | instskip(SKIP_2) | instid1(VALU_DEP_2)
	v_add_co_ci_u32_e64 v196, null, s15, 0, s3
	s_lshl_b64 s[4:5], s[4:5], 1
	s_lshl_b64 s[6:7], s[6:7], 1
	v_add_co_u32 v17, vcc_lo, v195, s4
	s_delay_alu instid0(VALU_DEP_2)
	v_add_co_ci_u32_e32 v18, vcc_lo, s5, v196, vcc_lo
	v_add_co_u32 v19, vcc_lo, v195, s6
	s_lshl_b64 s[8:9], s[8:9], 1
	v_add_co_ci_u32_e32 v20, vcc_lo, s7, v196, vcc_lo
	v_add_co_u32 v21, vcc_lo, v195, s8
	s_lshl_b64 s[10:11], s[10:11], 1
	;; [unrolled: 3-line block ×8, first 2 shown]
	s_mul_hi_i32 s45, s39, s17
	s_mul_i32 s44, s39, s17
	v_add_co_ci_u32_e32 v50, vcc_lo, s25, v196, vcc_lo
	v_add_co_u32 v53, vcc_lo, v195, s26
	s_lshl_b64 s[28:29], s[44:45], 1
	s_mul_hi_i32 s39, s38, s17
	s_mul_i32 s38, s38, s17
	v_add_co_ci_u32_e32 v54, vcc_lo, s27, v196, vcc_lo
	v_add_co_u32 v183, vcc_lo, v195, s28
	s_mul_hi_i32 s49, s37, s17
	s_mul_i32 s48, s37, s17
	s_lshl_b64 s[36:37], s[38:39], 1
	v_add_co_ci_u32_e32 v184, vcc_lo, s29, v196, vcc_lo
	v_add_co_u32 v185, vcc_lo, v195, s36
	s_lshl_b64 s[38:39], s[48:49], 1
	s_clause 0x1
	s_load_b32 s3, s[42:43], 0x0
	s_load_b32 s15, s[46:47], 0x0
	v_add_co_ci_u32_e32 v186, vcc_lo, s37, v196, vcc_lo
	v_add_co_u32 v191, vcc_lo, v195, s38
	v_add_co_ci_u32_e32 v192, vcc_lo, s39, v196, vcc_lo
	s_clause 0x17
	global_load_b128 v[121:124], v[17:18], off
	global_load_b128 v[125:128], v[17:18], off offset:16
	global_load_b128 v[113:116], v[19:20], off
	global_load_b128 v[117:120], v[19:20], off offset:16
	;; [unrolled: 2-line block ×12, first 2 shown]
	s_lshl_b64 s[40:41], s[50:51], 1
	s_delay_alu instid0(SALU_CYCLE_1)
	v_add_co_u32 v193, vcc_lo, v195, s40
	v_add_co_ci_u32_e32 v194, vcc_lo, s41, v196, vcc_lo
	s_waitcnt lgkmcnt(0)
	s_mul_hi_i32 s5, s3, s17
	s_mul_i32 s4, s3, s17
	s_mul_hi_i32 s7, s15, s17
	s_lshl_b64 s[4:5], s[4:5], 1
	s_mul_i32 s6, s15, s17
	s_waitcnt vmcnt(38)
	v_wmma_f32_16x16x16_bf16 v[183:190], v[1:8], v[159:166], v[137:144]
	s_waitcnt vmcnt(36)
	v_wmma_f32_16x16x16_bf16 v[137:144], v[129:136], v[159:166], v[137:144]
	s_clause 0x1
	global_load_b128 v[1:4], v[191:192], off
	global_load_b128 v[5:8], v[191:192], off offset:16
	ds_load_b128 v[129:132], v197 offset:2048
	ds_load_b128 v[133:136], v197 offset:3072
	;; [unrolled: 1-line block ×4, first 2 shown]
	v_add_co_u32 v191, vcc_lo, v195, s4
	v_add_co_ci_u32_e32 v192, vcc_lo, s5, v196, vcc_lo
	s_lshl_b64 s[4:5], s[6:7], 1
	s_delay_alu instid0(SALU_CYCLE_1)
	v_add_co_u32 v195, vcc_lo, v195, s4
	v_add_co_ci_u32_e32 v196, vcc_lo, s5, v196, vcc_lo
	s_waitcnt vmcnt(36) lgkmcnt(2)
	v_wmma_f32_16x16x16_bf16 v[183:190], v[33:40], v[129:136], v[183:190]
	s_waitcnt vmcnt(34)
	v_wmma_f32_16x16x16_bf16 v[137:144], v[25:32], v[129:136], v[137:144]
	s_clause 0x3
	global_load_b128 v[25:28], v[193:194], off
	global_load_b128 v[29:32], v[193:194], off offset:16
	global_load_b128 v[33:36], v[191:192], off
	global_load_b128 v[37:40], v[191:192], off offset:16
	v_and_b32_e32 v129, 0xe0, v0
	v_mbcnt_lo_u32_b32 v191, -1, 0
	s_waitcnt vmcnt(36) lgkmcnt(0)
	v_wmma_f32_16x16x16_bf16 v[183:190], v[9:16], v[159:166], v[183:190]
	s_clause 0x1
	global_load_b128 v[9:12], v[195:196], off
	global_load_b128 v[13:16], v[195:196], off offset:16
	s_waitcnt vmcnt(36)
	v_wmma_f32_16x16x16_bf16 v[137:144], v[151:158], v[159:166], v[137:144]
	v_add_nc_u32_e32 v192, s33, v129
	ds_load_b128 v[129:132], v197 offset:6144
	ds_load_b128 v[133:136], v197 offset:7168
	v_xor_b32_e32 v151, 16, v191
	s_waitcnt vmcnt(0) lgkmcnt(0)
	s_barrier
	v_or_b32_e32 v152, v192, v146
	buffer_gl0_inv
	v_cmp_gt_i32_e32 vcc_lo, 32, v151
	v_or_b32_e32 v153, 2, v152
	v_or_b32_e32 v154, 4, v152
	;; [unrolled: 1-line block ×5, first 2 shown]
	v_cmp_gt_i32_e64 s3, s30, v153
	v_or_b32_e32 v158, 12, v152
	v_cmp_gt_i32_e64 s4, s30, v154
	v_cmp_gt_i32_e64 s5, s30, v155
	v_or_b32_e32 v159, 14, v152
	v_cmp_gt_i32_e64 s6, s30, v156
	v_wmma_f32_16x16x16_bf16 v[183:190], v[167:174], v[129:136], v[183:190]
	v_wmma_f32_16x16x16_bf16 v[137:144], v[175:182], v[129:136], v[137:144]
	v_cndmask_b32_e32 v151, v191, v151, vcc_lo
	v_cmp_gt_i32_e32 vcc_lo, s30, v152
	v_cmp_gt_i32_e64 s7, s30, v157
	v_dual_mul_f32 v135, s35, v184 :: v_dual_mul_f32 v136, s35, v183
	v_mul_f32_e32 v134, s35, v185
	v_dual_mul_f32 v168, s35, v144 :: v_dual_mul_f32 v133, s35, v186
	s_delay_alu instid0(VALU_DEP_3) | instskip(NEXT) | instid1(VALU_DEP_4)
	v_cndmask_b32_e64 v135, 0xff7fffff, v135, s3
	v_cndmask_b32_e32 v136, 0xff7fffff, v136, vcc_lo
	v_dual_mul_f32 v131, s35, v188 :: v_dual_mul_f32 v174, s35, v138
	v_mul_f32_e32 v132, s35, v187
	v_cndmask_b32_e64 v134, 0xff7fffff, v134, s4
	s_delay_alu instid0(VALU_DEP_4)
	v_max3_f32 v135, v136, 0xff7fffff, v135
	v_cmp_gt_i32_e64 s8, s30, v158
	v_lshlrev_b32_e32 v158, 2, v151
	v_cndmask_b32_e64 v133, 0xff7fffff, v133, s5
	v_or_b32_e32 v160, 16, v152
	v_or_b32_e32 v161, 18, v152
	v_dual_mul_f32 v129, s35, v190 :: v_dual_mul_f32 v172, s35, v140
	v_mul_f32_e32 v130, s35, v189
	v_cndmask_b32_e64 v132, 0xff7fffff, v132, s6
	v_cndmask_b32_e64 v131, 0xff7fffff, v131, s7
	v_max3_f32 v133, v135, v134, v133
	v_cmp_gt_i32_e64 s9, s30, v159
	v_or_b32_e32 v162, 20, v152
	v_or_b32_e32 v163, 22, v152
	v_mul_f32_e32 v175, s35, v137
	v_cndmask_b32_e64 v130, 0xff7fffff, v130, s8
	v_cndmask_b32_e64 v129, 0xff7fffff, v129, s9
	v_max3_f32 v131, v133, v132, v131
	v_cmp_gt_i32_e64 s10, s30, v160
	v_cmp_gt_i32_e64 s11, s30, v161
	v_or_b32_e32 v164, 24, v152
	v_or_b32_e32 v165, 26, v152
	v_mul_f32_e32 v173, s35, v139
	v_cndmask_b32_e64 v132, 0xff7fffff, v175, s10
	v_cndmask_b32_e64 v133, 0xff7fffff, v174, s11
	v_max3_f32 v129, v131, v130, v129
	v_cmp_gt_i32_e64 s12, s30, v162
	v_cmp_gt_i32_e64 s13, s30, v163
	v_or_b32_e32 v166, 28, v152
	v_or_b32_e32 v167, 30, v152
	v_dual_mul_f32 v170, s35, v142 :: v_dual_mul_f32 v171, s35, v141
	v_cndmask_b32_e64 v130, 0xff7fffff, v173, s12
	v_cndmask_b32_e64 v131, 0xff7fffff, v172, s13
	v_max3_f32 v129, v129, v132, v133
	v_cmp_gt_i32_e64 s15, s30, v164
	v_cmp_gt_i32_e64 s16, s30, v165
	v_mul_f32_e32 v169, s35, v143
	v_cmp_gt_i32_e64 s17, s30, v166
	v_max3_f32 v129, v129, v130, v131
	v_cndmask_b32_e64 v132, 0xff7fffff, v171, s15
	v_cndmask_b32_e64 v133, 0xff7fffff, v170, s16
	v_cmp_gt_i32_e64 s18, s30, v167
	v_cndmask_b32_e64 v130, 0xff7fffff, v169, s17
	s_delay_alu instid0(VALU_DEP_3) | instskip(NEXT) | instid1(VALU_DEP_3)
	v_max3_f32 v129, v129, v132, v133
	v_cndmask_b32_e64 v131, 0xff7fffff, v168, s18
	s_delay_alu instid0(VALU_DEP_1) | instskip(SKIP_3) | instid1(VALU_DEP_1)
	v_max3_f32 v129, v129, v130, v131
	ds_bpermute_b32 v130, v158, v129
	s_waitcnt lgkmcnt(0)
	v_max_f32_e32 v130, v130, v130
	v_max_f32_e32 v129, v129, v130
	s_delay_alu instid0(VALU_DEP_1)
	v_fma_f32 v130, s35, v183, -v129
	v_fma_f32 v132, s35, v185, -v129
	;; [unrolled: 1-line block ×5, first 2 shown]
	v_mul_f32_e32 v130, 0x3fb8aa3b, v130
	v_mul_f32_e32 v132, 0x3fb8aa3b, v132
	v_fma_f32 v135, s35, v189, -v129
	v_mul_f32_e32 v134, 0x3fb8aa3b, v134
	s_delay_alu instid0(VALU_DEP_4) | instskip(NEXT) | instid1(VALU_DEP_3)
	v_exp_f32_e32 v130, v130
	v_exp_f32_e32 v132, v132
	s_delay_alu instid0(VALU_DEP_1) | instskip(NEXT) | instid1(TRANS32_DEP_3)
	v_exp_f32_e32 v134, v134
	v_cndmask_b32_e32 v152, 0, v130, vcc_lo
	v_fma_f32 v130, s35, v188, -v129
	v_mul_f32_e32 v131, 0x3fb8aa3b, v131
	s_waitcnt_depctr 0xfff
	v_cndmask_b32_e64 v153, 0, v132, s4
	v_fma_f32 v132, s35, v190, -v129
	v_dual_mul_f32 v133, 0x3fb8aa3b, v133 :: v_dual_mul_f32 v130, 0x3fb8aa3b, v130
	v_exp_f32_e32 v131, v131
	v_cndmask_b32_e64 v155, 0, v134, s6
	s_delay_alu instid0(VALU_DEP_3) | instskip(NEXT) | instid1(VALU_DEP_3)
	v_mul_f32_e32 v132, 0x3fb8aa3b, v132
	v_exp_f32_e32 v133, v133
	v_exp_f32_e32 v130, v130
	v_fma_f32 v134, s35, v138, -v129
	s_delay_alu instid0(VALU_DEP_2) | instskip(SKIP_1) | instid1(VALU_DEP_2)
	v_exp_f32_e32 v132, v132
	v_cndmask_b32_e64 v151, 0, v131, s3
	v_dual_add_f32 v131, 0, v152 :: v_dual_mul_f32 v134, 0x3fb8aa3b, v134
	s_delay_alu instid0(TRANS32_DEP_3)
	v_cndmask_b32_e64 v154, 0, v133, s5
	s_waitcnt_depctr 0xfff
	v_cndmask_b32_e64 v156, 0, v130, s7
	v_fma_f32 v133, s35, v137, -v129
	v_add_f32_e32 v131, v131, v151
	v_exp_f32_e32 v134, v134
	v_cmp_gt_u32_e64 s3, 16, v150
	s_delay_alu instid0(VALU_DEP_2) | instskip(NEXT) | instid1(VALU_DEP_1)
	v_add_f32_e32 v131, v131, v153
	v_add_f32_e32 v131, v131, v154
	s_delay_alu instid0(VALU_DEP_1) | instskip(SKIP_1) | instid1(VALU_DEP_2)
	v_dual_mul_f32 v133, 0x3fb8aa3b, v133 :: v_dual_add_f32 v130, v131, v155
	v_fma_f32 v131, s35, v139, -v129
	v_exp_f32_e32 v133, v133
	v_fma_f32 v139, s35, v144, -v129
	s_delay_alu instid0(VALU_DEP_3) | instskip(NEXT) | instid1(VALU_DEP_1)
	v_dual_add_f32 v130, v130, v156 :: v_dual_mul_f32 v135, 0x3fb8aa3b, v135
	v_exp_f32_e32 v135, v135
	s_waitcnt_depctr 0xfff
	v_cndmask_b32_e64 v157, 0, v135, s8
	v_fma_f32 v135, s35, v140, -v129
	v_cndmask_b32_e64 v140, 0, v132, s9
	v_fma_f32 v132, s35, v141, -v129
	s_delay_alu instid0(VALU_DEP_4) | instskip(NEXT) | instid1(VALU_DEP_1)
	v_add_f32_e32 v130, v130, v157
	v_add_f32_e32 v130, v130, v140
	s_delay_alu instid0(VALU_DEP_3) | instskip(SKIP_4) | instid1(VALU_DEP_3)
	v_mul_f32_e32 v137, 0x3fb8aa3b, v132
	v_cndmask_b32_e64 v132, 0, v134, s11
	v_mul_f32_e32 v131, 0x3fb8aa3b, v131
	v_fma_f32 v134, s35, v143, -v129
	v_mul_f32_e32 v135, 0x3fb8aa3b, v135
	v_exp_f32_e32 v136, v131
	v_cndmask_b32_e64 v131, 0, v133, s10
	v_fma_f32 v133, s35, v142, -v129
	s_delay_alu instid0(VALU_DEP_2) | instskip(NEXT) | instid1(VALU_DEP_2)
	v_add_f32_e32 v130, v130, v131
	v_mul_f32_e32 v138, 0x3fb8aa3b, v133
	v_exp_f32_e32 v137, v137
	s_waitcnt_depctr 0xfff
	v_cndmask_b32_e64 v133, 0, v136, s12
	v_mul_f32_e32 v136, 0x3fb8aa3b, v134
	v_exp_f32_e32 v135, v135
	v_add_f32_e32 v130, v130, v132
	v_exp_f32_e32 v138, v138
	s_delay_alu instid0(VALU_DEP_2) | instskip(NEXT) | instid1(VALU_DEP_1)
	v_exp_f32_e32 v141, v136
	v_add_f32_e32 v130, v130, v133
	s_delay_alu instid0(TRANS32_DEP_3)
	v_cndmask_b32_e64 v134, 0, v135, s13
	v_cndmask_b32_e64 v135, 0, v137, s15
	v_mul_f32_e32 v137, 0x3fb8aa3b, v139
	s_waitcnt_depctr 0xfff
	v_cndmask_b32_e64 v136, 0, v138, s16
	v_add_f32_e32 v130, v130, v134
	v_exp_f32_e32 v138, v137
	v_cndmask_b32_e64 v137, 0, v141, s17
	s_delay_alu instid0(VALU_DEP_2) | instskip(NEXT) | instid1(VALU_DEP_1)
	v_add_f32_e32 v130, v130, v135
	v_add_f32_e32 v130, v130, v136
	s_waitcnt_depctr 0xfff
	v_cndmask_b32_e64 v138, 0, v138, s18
	v_add_f32_e32 v130, v130, v137
	s_delay_alu instid0(VALU_DEP_1)
	v_add_f32_e32 v130, v130, v138
	ds_bpermute_b32 v139, v158, v130
	s_and_saveexec_b32 s4, s3
	s_cbranch_execz .LBB428_12
; %bb.11:
	v_mul_u32_u24_e32 v141, 0x44, v149
	s_delay_alu instid0(VALU_DEP_1) | instskip(SKIP_1) | instid1(VALU_DEP_1)
	v_lshl_add_u32 v141, v148, 2, v141
	s_waitcnt lgkmcnt(0)
	v_dual_add_f32 v130, v130, v139 :: v_dual_add_nc_u32 v139, 0x4000, v141
	ds_store_2addr_b32 v139, v129, v130 offset1:136
.LBB428_12:
	s_or_b32 exec_lo, exec_lo, s4
	v_lshlrev_b32_e32 v129, 2, v148
	s_waitcnt lgkmcnt(0)
	s_barrier
	buffer_gl0_inv
	v_cmp_eq_u32_e64 s4, 1, v149
	v_add_nc_u32_e32 v139, 0x4000, v129
	ds_load_2addr_b32 v[141:142], v139 offset1:17
	ds_load_2addr_b32 v[143:144], v139 offset0:34 offset1:51
	ds_load_2addr_b32 v[158:159], v139 offset0:68 offset1:85
	;; [unrolled: 1-line block ×4, first 2 shown]
	s_waitcnt lgkmcnt(4)
	v_max3_f32 v129, v141, 0xff7fffff, v142
	s_waitcnt lgkmcnt(3)
	s_delay_alu instid0(VALU_DEP_1) | instskip(SKIP_1) | instid1(VALU_DEP_1)
	v_max3_f32 v129, v129, v143, v144
	s_waitcnt lgkmcnt(2)
	v_max3_f32 v129, v129, v158, v159
	s_waitcnt lgkmcnt(1)
	s_delay_alu instid0(VALU_DEP_1) | instskip(NEXT) | instid1(VALU_DEP_1)
	v_max3_f32 v129, v129, v160, v161
	v_sub_f32_e32 v158, v158, v129
	s_delay_alu instid0(VALU_DEP_1) | instskip(NEXT) | instid1(VALU_DEP_1)
	v_dual_sub_f32 v150, v142, v129 :: v_dual_mul_f32 v167, 0x3fb8aa3b, v158
	v_dual_sub_f32 v143, v143, v129 :: v_dual_mul_f32 v150, 0x3fb8aa3b, v150
	s_delay_alu instid0(VALU_DEP_1) | instskip(NEXT) | instid1(VALU_DEP_2)
	v_dual_sub_f32 v130, v141, v129 :: v_dual_mul_f32 v165, 0x3fb8aa3b, v143
	v_exp_f32_e32 v150, v150
	s_delay_alu instid0(VALU_DEP_1) | instskip(NEXT) | instid1(VALU_DEP_2)
	v_mul_f32_e32 v130, 0x3fb8aa3b, v130
	v_exp_f32_e32 v165, v165
	s_delay_alu instid0(VALU_DEP_1) | instskip(SKIP_1) | instid1(VALU_DEP_1)
	v_exp_f32_e32 v164, v130
	v_sub_f32_e32 v130, v144, v129
	v_mul_f32_e32 v166, 0x3fb8aa3b, v130
	s_waitcnt lgkmcnt(0)
	s_waitcnt_depctr 0xfff
	v_fma_f32 v130, v164, v162, 0
	v_sub_f32_e32 v162, v159, v129
	s_delay_alu instid0(VALU_DEP_2)
	v_fmac_f32_e32 v130, v150, v163
	ds_load_2addr_b32 v[141:142], v139 offset0:170 offset1:187
	ds_load_2addr_b32 v[143:144], v139 offset0:204 offset1:221
	;; [unrolled: 1-line block ×3, first 2 shown]
	v_sub_f32_e32 v139, v160, v129
	v_exp_f32_e32 v166, v166
	v_mul_f32_e32 v160, 0x3fb8aa3b, v162
	v_exp_f32_e32 v162, v167
	v_cndmask_b32_e64 v150, v164, v150, s4
	v_mul_f32_e32 v139, 0x3fb8aa3b, v139
	v_cmp_eq_u32_e64 s4, 2, v149
	s_waitcnt lgkmcnt(0)
	s_barrier
	buffer_gl0_inv
	v_exp_f32_e32 v139, v139
	v_cndmask_b32_e64 v150, v150, v165, s4
	v_cmp_eq_u32_e64 s4, 3, v149
	v_fmac_f32_e32 v130, v165, v141
	v_sub_f32_e32 v141, v161, v129
	v_exp_f32_e32 v160, v160
	s_delay_alu instid0(VALU_DEP_3) | instskip(SKIP_1) | instid1(VALU_DEP_3)
	v_cndmask_b32_e64 v150, v150, v166, s4
	v_cmp_eq_u32_e64 s4, 4, v149
	v_dual_fmac_f32 v130, v166, v142 :: v_dual_mul_f32 v141, 0x3fb8aa3b, v141
	s_delay_alu instid0(VALU_DEP_2) | instskip(SKIP_1) | instid1(VALU_DEP_3)
	v_cndmask_b32_e64 v150, v150, v162, s4
	v_cmp_eq_u32_e64 s4, 5, v149
	v_exp_f32_e32 v141, v141
	s_delay_alu instid0(VALU_DEP_3)
	v_fmac_f32_e32 v130, v162, v143
	s_delay_alu instid0(TRANS32_DEP_2) | instid1(VALU_DEP_2)
	v_cndmask_b32_e64 v150, v150, v160, s4
	s_delay_alu instid0(VALU_DEP_2) | instskip(NEXT) | instid1(VALU_DEP_1)
	v_fmac_f32_e32 v130, v160, v144
	v_fmac_f32_e32 v130, v139, v158
	s_waitcnt_depctr 0xfff
	v_fmac_f32_e32 v130, v141, v159
	s_delay_alu instid0(VALU_DEP_1) | instskip(NEXT) | instid1(VALU_DEP_1)
	v_add_f32_e32 v142, 0x358637bd, v130
	v_div_scale_f32 v143, null, v142, v142, 1.0
	v_div_scale_f32 v159, vcc_lo, 1.0, v142, 1.0
	s_delay_alu instid0(VALU_DEP_2) | instskip(SKIP_2) | instid1(VALU_DEP_1)
	v_rcp_f32_e32 v144, v143
	s_waitcnt_depctr 0xfff
	v_fma_f32 v158, -v143, v144, 1.0
	v_fmac_f32_e32 v144, v158, v144
	s_delay_alu instid0(VALU_DEP_1) | instskip(NEXT) | instid1(VALU_DEP_1)
	v_mul_f32_e32 v158, v159, v144
	v_fma_f32 v161, -v143, v158, v159
	s_delay_alu instid0(VALU_DEP_1) | instskip(NEXT) | instid1(VALU_DEP_1)
	v_fmac_f32_e32 v158, v161, v144
	v_fma_f32 v143, -v143, v158, v159
	s_delay_alu instid0(VALU_DEP_1) | instskip(SKIP_1) | instid1(VALU_DEP_2)
	v_div_fmas_f32 v143, v143, v144, v158
	v_cmp_eq_u32_e32 vcc_lo, 6, v149
	v_div_fixup_f32 v142, v143, v142, 1.0
	v_cndmask_b32_e32 v139, v150, v139, vcc_lo
	v_cmp_eq_u32_e32 vcc_lo, 7, v149
	s_delay_alu instid0(VALU_DEP_2) | instskip(NEXT) | instid1(VALU_DEP_1)
	v_cndmask_b32_e32 v139, v139, v141, vcc_lo
	v_mul_f32_e32 v139, v139, v142
	s_delay_alu instid0(VALU_DEP_1) | instskip(SKIP_4) | instid1(VALU_DEP_4)
	v_mul_f32_e32 v153, v139, v153
	v_mul_f32_e32 v142, v139, v152
	;; [unrolled: 1-line block ×5, first 2 shown]
	v_dual_mul_f32 v152, v139, v155 :: v_dual_and_b32 v141, 0x7f800000, v142
	v_mul_f32_e32 v154, v139, v154
	v_mul_f32_e32 v144, v139, v151
	s_delay_alu instid0(VALU_DEP_3) | instskip(SKIP_1) | instid1(SALU_CYCLE_1)
	v_cmp_ne_u32_e32 vcc_lo, 0x7f800000, v141
                                        ; implicit-def: $vgpr141
	s_and_saveexec_b32 s4, vcc_lo
	s_xor_b32 s4, exec_lo, s4
; %bb.13:
	v_bfe_u32 v141, v142, 16, 1
	s_delay_alu instid0(VALU_DEP_1)
	v_add3_u32 v141, v142, v141, 0x7fff
                                        ; implicit-def: $vgpr142
; %bb.14:
	s_and_not1_saveexec_b32 s4, s4
; %bb.15:
	v_and_b32_e32 v141, 0xffff, v142
	v_or_b32_e32 v151, 0x10000, v142
	s_delay_alu instid0(VALU_DEP_2) | instskip(NEXT) | instid1(VALU_DEP_2)
	v_cmp_eq_u32_e32 vcc_lo, 0, v141
	v_cndmask_b32_e32 v141, v151, v142, vcc_lo
; %bb.16:
	s_or_b32 exec_lo, exec_lo, s4
	v_and_b32_e32 v142, 0x7f800000, v144
	s_delay_alu instid0(VALU_DEP_1) | instskip(SKIP_1) | instid1(SALU_CYCLE_1)
	v_cmp_ne_u32_e32 vcc_lo, 0x7f800000, v142
                                        ; implicit-def: $vgpr142
	s_and_saveexec_b32 s4, vcc_lo
	s_xor_b32 s4, exec_lo, s4
; %bb.17:
	v_bfe_u32 v142, v144, 16, 1
	s_delay_alu instid0(VALU_DEP_1)
	v_add3_u32 v142, v144, v142, 0x7fff
                                        ; implicit-def: $vgpr144
; %bb.18:
	s_and_not1_saveexec_b32 s4, s4
; %bb.19:
	v_and_b32_e32 v142, 0xffff, v144
	v_or_b32_e32 v151, 0x10000, v144
	s_delay_alu instid0(VALU_DEP_2) | instskip(NEXT) | instid1(VALU_DEP_2)
	v_cmp_eq_u32_e32 vcc_lo, 0, v142
	v_cndmask_b32_e32 v142, v151, v144, vcc_lo
; %bb.20:
	s_or_b32 exec_lo, exec_lo, s4
	v_and_b32_e32 v144, 0x7f800000, v153
	s_delay_alu instid0(VALU_DEP_1) | instskip(SKIP_1) | instid1(SALU_CYCLE_1)
	v_cmp_ne_u32_e32 vcc_lo, 0x7f800000, v144
                                        ; implicit-def: $vgpr144
	s_and_saveexec_b32 s4, vcc_lo
	s_xor_b32 s4, exec_lo, s4
; %bb.21:
	v_bfe_u32 v144, v153, 16, 1
	s_delay_alu instid0(VALU_DEP_1)
	v_add3_u32 v144, v153, v144, 0x7fff
                                        ; implicit-def: $vgpr153
; %bb.22:
	s_and_not1_saveexec_b32 s4, s4
; %bb.23:
	v_and_b32_e32 v144, 0xffff, v153
	v_or_b32_e32 v151, 0x10000, v153
	s_delay_alu instid0(VALU_DEP_2) | instskip(NEXT) | instid1(VALU_DEP_2)
	v_cmp_eq_u32_e32 vcc_lo, 0, v144
	v_cndmask_b32_e32 v144, v151, v153, vcc_lo
; %bb.24:
	s_or_b32 exec_lo, exec_lo, s4
	v_and_b32_e32 v151, 0x7f800000, v154
	s_delay_alu instid0(VALU_DEP_1) | instskip(SKIP_1) | instid1(SALU_CYCLE_1)
	v_cmp_ne_u32_e32 vcc_lo, 0x7f800000, v151
                                        ; implicit-def: $vgpr151
	s_and_saveexec_b32 s4, vcc_lo
	s_xor_b32 s4, exec_lo, s4
; %bb.25:
	v_bfe_u32 v151, v154, 16, 1
	s_delay_alu instid0(VALU_DEP_1)
	v_add3_u32 v151, v154, v151, 0x7fff
                                        ; implicit-def: $vgpr154
; %bb.26:
	s_and_not1_saveexec_b32 s4, s4
; %bb.27:
	v_and_b32_e32 v151, 0xffff, v154
	v_or_b32_e32 v153, 0x10000, v154
	s_delay_alu instid0(VALU_DEP_2) | instskip(NEXT) | instid1(VALU_DEP_2)
	v_cmp_eq_u32_e32 vcc_lo, 0, v151
	v_cndmask_b32_e32 v151, v153, v154, vcc_lo
; %bb.28:
	s_or_b32 exec_lo, exec_lo, s4
	v_and_b32_e32 v153, 0x7f800000, v152
	s_delay_alu instid0(VALU_DEP_1) | instskip(SKIP_1) | instid1(SALU_CYCLE_1)
	v_cmp_ne_u32_e32 vcc_lo, 0x7f800000, v153
                                        ; implicit-def: $vgpr153
	s_and_saveexec_b32 s4, vcc_lo
	s_xor_b32 s4, exec_lo, s4
; %bb.29:
	v_bfe_u32 v153, v152, 16, 1
	s_delay_alu instid0(VALU_DEP_1)
	v_add3_u32 v153, v152, v153, 0x7fff
                                        ; implicit-def: $vgpr152
; %bb.30:
	s_and_not1_saveexec_b32 s4, s4
; %bb.31:
	v_and_b32_e32 v153, 0xffff, v152
	v_or_b32_e32 v154, 0x10000, v152
	s_delay_alu instid0(VALU_DEP_2) | instskip(NEXT) | instid1(VALU_DEP_2)
	v_cmp_eq_u32_e32 vcc_lo, 0, v153
	v_cndmask_b32_e32 v153, v154, v152, vcc_lo
; %bb.32:
	s_or_b32 exec_lo, exec_lo, s4
	v_and_b32_e32 v152, 0x7f800000, v150
	s_delay_alu instid0(VALU_DEP_1) | instskip(SKIP_1) | instid1(SALU_CYCLE_1)
	v_cmp_ne_u32_e32 vcc_lo, 0x7f800000, v152
                                        ; implicit-def: $vgpr152
	s_and_saveexec_b32 s4, vcc_lo
	s_xor_b32 s4, exec_lo, s4
; %bb.33:
	v_bfe_u32 v152, v150, 16, 1
	s_delay_alu instid0(VALU_DEP_1)
	v_add3_u32 v152, v150, v152, 0x7fff
                                        ; implicit-def: $vgpr150
; %bb.34:
	s_and_not1_saveexec_b32 s4, s4
; %bb.35:
	v_and_b32_e32 v152, 0xffff, v150
	v_or_b32_e32 v154, 0x10000, v150
	s_delay_alu instid0(VALU_DEP_2) | instskip(NEXT) | instid1(VALU_DEP_2)
	v_cmp_eq_u32_e32 vcc_lo, 0, v152
	v_cndmask_b32_e32 v152, v154, v150, vcc_lo
; %bb.36:
	s_or_b32 exec_lo, exec_lo, s4
	v_and_b32_e32 v150, 0x7f800000, v143
	s_delay_alu instid0(VALU_DEP_1) | instskip(SKIP_1) | instid1(SALU_CYCLE_1)
	v_cmp_ne_u32_e32 vcc_lo, 0x7f800000, v150
                                        ; implicit-def: $vgpr150
	s_and_saveexec_b32 s4, vcc_lo
	s_xor_b32 s4, exec_lo, s4
; %bb.37:
	v_bfe_u32 v150, v143, 16, 1
	s_delay_alu instid0(VALU_DEP_1)
	v_add3_u32 v150, v143, v150, 0x7fff
                                        ; implicit-def: $vgpr143
; %bb.38:
	s_and_not1_saveexec_b32 s4, s4
; %bb.39:
	v_and_b32_e32 v150, 0xffff, v143
	v_or_b32_e32 v154, 0x10000, v143
	s_delay_alu instid0(VALU_DEP_2) | instskip(NEXT) | instid1(VALU_DEP_2)
	v_cmp_eq_u32_e32 vcc_lo, 0, v150
	v_cndmask_b32_e32 v150, v154, v143, vcc_lo
; %bb.40:
	s_or_b32 exec_lo, exec_lo, s4
	v_and_b32_e32 v143, 0x7f800000, v140
	s_delay_alu instid0(VALU_DEP_1) | instskip(SKIP_1) | instid1(SALU_CYCLE_1)
	v_cmp_ne_u32_e32 vcc_lo, 0x7f800000, v143
                                        ; implicit-def: $vgpr143
	s_and_saveexec_b32 s4, vcc_lo
	s_xor_b32 s4, exec_lo, s4
; %bb.41:
	v_bfe_u32 v143, v140, 16, 1
	s_delay_alu instid0(VALU_DEP_1)
	v_add3_u32 v143, v140, v143, 0x7fff
                                        ; implicit-def: $vgpr140
; %bb.42:
	s_and_not1_saveexec_b32 s4, s4
; %bb.43:
	v_and_b32_e32 v143, 0xffff, v140
	v_or_b32_e32 v154, 0x10000, v140
	s_delay_alu instid0(VALU_DEP_2) | instskip(NEXT) | instid1(VALU_DEP_2)
	v_cmp_eq_u32_e32 vcc_lo, 0, v143
	v_cndmask_b32_e32 v143, v154, v140, vcc_lo
; %bb.44:
	s_or_b32 exec_lo, exec_lo, s4
	s_load_b64 s[36:37], s[0:1], 0x94
	v_dual_mul_f32 v136, v139, v136 :: v_dual_lshlrev_b32 v155, 4, v146
	s_delay_alu instid0(VALU_DEP_2)
	v_perm_b32 v154, v143, v150, 0x7060302
	v_dual_mul_f32 v143, v139, v131 :: v_dual_lshlrev_b32 v140, 6, v148
	v_dual_mul_f32 v135, v139, v135 :: v_dual_lshlrev_b32 v150, 11, v149
	v_perm_b32 v153, v152, v153, 0x7060302
	v_perm_b32 v152, v151, v144, 0x7060302
	;; [unrolled: 1-line block ×3, first 2 shown]
	s_delay_alu instid0(VALU_DEP_4)
	v_or3_b32 v131, v155, v150, v140
	v_mul_f32_e32 v138, v139, v138
	v_dual_mul_f32 v137, v139, v137 :: v_dual_and_b32 v144, 0x7f800000, v143
	v_mul_f32_e32 v141, v139, v134
	v_mul_f32_e32 v142, v139, v133
	;; [unrolled: 1-line block ×3, first 2 shown]
	s_mov_b32 s4, exec_lo
	ds_store_b128 v131, v[151:154]
                                        ; implicit-def: $vgpr132
	v_cmpx_ne_u32_e32 0x7f800000, v144
	s_xor_b32 s4, exec_lo, s4
; %bb.45:
	v_bfe_u32 v132, v143, 16, 1
	s_delay_alu instid0(VALU_DEP_1)
	v_add3_u32 v132, v143, v132, 0x7fff
                                        ; implicit-def: $vgpr143
; %bb.46:
	s_and_not1_saveexec_b32 s4, s4
; %bb.47:
	v_and_b32_e32 v132, 0xffff, v143
	v_or_b32_e32 v133, 0x10000, v143
	s_delay_alu instid0(VALU_DEP_2) | instskip(NEXT) | instid1(VALU_DEP_2)
	v_cmp_eq_u32_e32 vcc_lo, 0, v132
	v_cndmask_b32_e32 v132, v133, v143, vcc_lo
; %bb.48:
	s_or_b32 exec_lo, exec_lo, s4
	v_and_b32_e32 v133, 0x7f800000, v134
	s_delay_alu instid0(VALU_DEP_1) | instskip(SKIP_1) | instid1(SALU_CYCLE_1)
	v_cmp_ne_u32_e32 vcc_lo, 0x7f800000, v133
                                        ; implicit-def: $vgpr133
	s_and_saveexec_b32 s4, vcc_lo
	s_xor_b32 s4, exec_lo, s4
; %bb.49:
	v_bfe_u32 v133, v134, 16, 1
	s_delay_alu instid0(VALU_DEP_1)
	v_add3_u32 v133, v134, v133, 0x7fff
                                        ; implicit-def: $vgpr134
; %bb.50:
	s_and_not1_saveexec_b32 s4, s4
; %bb.51:
	v_and_b32_e32 v133, 0xffff, v134
	v_or_b32_e32 v139, 0x10000, v134
	s_delay_alu instid0(VALU_DEP_2) | instskip(NEXT) | instid1(VALU_DEP_2)
	v_cmp_eq_u32_e32 vcc_lo, 0, v133
	v_cndmask_b32_e32 v133, v139, v134, vcc_lo
; %bb.52:
	s_or_b32 exec_lo, exec_lo, s4
	v_and_b32_e32 v134, 0x7f800000, v142
	s_delay_alu instid0(VALU_DEP_1) | instskip(SKIP_1) | instid1(SALU_CYCLE_1)
	v_cmp_ne_u32_e32 vcc_lo, 0x7f800000, v134
                                        ; implicit-def: $vgpr134
	s_and_saveexec_b32 s4, vcc_lo
	s_xor_b32 s4, exec_lo, s4
; %bb.53:
	v_bfe_u32 v134, v142, 16, 1
	s_delay_alu instid0(VALU_DEP_1)
	v_add3_u32 v134, v142, v134, 0x7fff
                                        ; implicit-def: $vgpr142
; %bb.54:
	s_and_not1_saveexec_b32 s4, s4
; %bb.55:
	v_and_b32_e32 v134, 0xffff, v142
	v_or_b32_e32 v139, 0x10000, v142
	s_delay_alu instid0(VALU_DEP_2) | instskip(NEXT) | instid1(VALU_DEP_2)
	v_cmp_eq_u32_e32 vcc_lo, 0, v134
	v_cndmask_b32_e32 v134, v139, v142, vcc_lo
; %bb.56:
	s_or_b32 exec_lo, exec_lo, s4
	v_and_b32_e32 v139, 0x7f800000, v141
	s_delay_alu instid0(VALU_DEP_1) | instskip(SKIP_1) | instid1(SALU_CYCLE_1)
	v_cmp_ne_u32_e32 vcc_lo, 0x7f800000, v139
                                        ; implicit-def: $vgpr139
	s_and_saveexec_b32 s4, vcc_lo
	s_xor_b32 s4, exec_lo, s4
; %bb.57:
	v_bfe_u32 v139, v141, 16, 1
	s_delay_alu instid0(VALU_DEP_1)
	v_add3_u32 v139, v141, v139, 0x7fff
                                        ; implicit-def: $vgpr141
; %bb.58:
	s_and_not1_saveexec_b32 s4, s4
; %bb.59:
	v_and_b32_e32 v139, 0xffff, v141
	v_or_b32_e32 v142, 0x10000, v141
	s_delay_alu instid0(VALU_DEP_2) | instskip(NEXT) | instid1(VALU_DEP_2)
	v_cmp_eq_u32_e32 vcc_lo, 0, v139
	v_cndmask_b32_e32 v139, v142, v141, vcc_lo
; %bb.60:
	s_or_b32 exec_lo, exec_lo, s4
	v_and_b32_e32 v141, 0x7f800000, v135
	s_delay_alu instid0(VALU_DEP_1) | instskip(SKIP_1) | instid1(SALU_CYCLE_1)
	v_cmp_ne_u32_e32 vcc_lo, 0x7f800000, v141
                                        ; implicit-def: $vgpr141
	s_and_saveexec_b32 s4, vcc_lo
	s_xor_b32 s4, exec_lo, s4
; %bb.61:
	v_bfe_u32 v141, v135, 16, 1
	s_delay_alu instid0(VALU_DEP_1)
	v_add3_u32 v141, v135, v141, 0x7fff
                                        ; implicit-def: $vgpr135
; %bb.62:
	s_and_not1_saveexec_b32 s4, s4
; %bb.63:
	v_and_b32_e32 v141, 0xffff, v135
	v_or_b32_e32 v142, 0x10000, v135
	s_delay_alu instid0(VALU_DEP_2) | instskip(NEXT) | instid1(VALU_DEP_2)
	v_cmp_eq_u32_e32 vcc_lo, 0, v141
	v_cndmask_b32_e32 v141, v142, v135, vcc_lo
; %bb.64:
	s_or_b32 exec_lo, exec_lo, s4
	v_and_b32_e32 v135, 0x7f800000, v136
	s_delay_alu instid0(VALU_DEP_1) | instskip(SKIP_1) | instid1(SALU_CYCLE_1)
	v_cmp_ne_u32_e32 vcc_lo, 0x7f800000, v135
                                        ; implicit-def: $vgpr135
	s_and_saveexec_b32 s4, vcc_lo
	s_xor_b32 s4, exec_lo, s4
; %bb.65:
	v_bfe_u32 v135, v136, 16, 1
	s_delay_alu instid0(VALU_DEP_1)
	v_add3_u32 v135, v136, v135, 0x7fff
                                        ; implicit-def: $vgpr136
; %bb.66:
	s_and_not1_saveexec_b32 s4, s4
; %bb.67:
	v_and_b32_e32 v135, 0xffff, v136
	v_or_b32_e32 v142, 0x10000, v136
	s_delay_alu instid0(VALU_DEP_2) | instskip(NEXT) | instid1(VALU_DEP_2)
	v_cmp_eq_u32_e32 vcc_lo, 0, v135
	v_cndmask_b32_e32 v135, v142, v136, vcc_lo
; %bb.68:
	s_or_b32 exec_lo, exec_lo, s4
	v_and_b32_e32 v136, 0x7f800000, v137
	s_delay_alu instid0(VALU_DEP_1) | instskip(SKIP_1) | instid1(SALU_CYCLE_1)
	v_cmp_ne_u32_e32 vcc_lo, 0x7f800000, v136
                                        ; implicit-def: $vgpr136
	s_and_saveexec_b32 s4, vcc_lo
	s_xor_b32 s4, exec_lo, s4
; %bb.69:
	v_bfe_u32 v136, v137, 16, 1
	s_delay_alu instid0(VALU_DEP_1)
	v_add3_u32 v136, v137, v136, 0x7fff
                                        ; implicit-def: $vgpr137
; %bb.70:
	s_and_not1_saveexec_b32 s4, s4
; %bb.71:
	v_and_b32_e32 v136, 0xffff, v137
	v_or_b32_e32 v142, 0x10000, v137
	s_delay_alu instid0(VALU_DEP_2) | instskip(NEXT) | instid1(VALU_DEP_2)
	v_cmp_eq_u32_e32 vcc_lo, 0, v136
	v_cndmask_b32_e32 v136, v142, v137, vcc_lo
; %bb.72:
	s_or_b32 exec_lo, exec_lo, s4
	v_and_b32_e32 v137, 0x7f800000, v138
	s_delay_alu instid0(VALU_DEP_1) | instskip(SKIP_1) | instid1(SALU_CYCLE_1)
	v_cmp_ne_u32_e32 vcc_lo, 0x7f800000, v137
                                        ; implicit-def: $vgpr137
	s_and_saveexec_b32 s4, vcc_lo
	s_xor_b32 s4, exec_lo, s4
; %bb.73:
	v_bfe_u32 v137, v138, 16, 1
	s_delay_alu instid0(VALU_DEP_1)
	v_add3_u32 v137, v138, v137, 0x7fff
                                        ; implicit-def: $vgpr138
; %bb.74:
	s_and_not1_saveexec_b32 s4, s4
; %bb.75:
	v_and_b32_e32 v137, 0xffff, v138
	v_or_b32_e32 v142, 0x10000, v138
	s_delay_alu instid0(VALU_DEP_2) | instskip(NEXT) | instid1(VALU_DEP_2)
	v_cmp_eq_u32_e32 vcc_lo, 0, v137
	v_cndmask_b32_e32 v137, v142, v138, vcc_lo
; %bb.76:
	s_or_b32 exec_lo, exec_lo, s4
	s_delay_alu instid0(VALU_DEP_1)
	v_perm_b32 v136, v137, v136, 0x7060302
	v_perm_b32 v135, v135, v141, 0x7060302
	;; [unrolled: 1-line block ×4, first 2 shown]
	v_lshl_or_b32 v141, v149, 11, v140
	ds_store_b128 v131, v[133:136] offset:1024
	s_waitcnt lgkmcnt(0)
	s_barrier
	buffer_gl0_inv
	ds_load_b128 v[132:135], v141
	ds_load_b128 v[149:152], v141 offset:16
	s_waitcnt lgkmcnt(1)
	v_lshrrev_b32_e32 v136, 16, v132
	s_waitcnt lgkmcnt(0)
	v_lshrrev_b32_e32 v164, 16, v151
	v_lshlrev_b32_e32 v138, 2, v146
	v_lshrrev_b32_e32 v143, 16, v149
	v_lshrrev_b32_e32 v162, 16, v150
	;; [unrolled: 1-line block ×4, first 2 shown]
	v_or_b32_e32 v139, 1, v138
	v_lshrrev_b32_e32 v165, 16, v152
	v_lshrrev_b32_e32 v163, 16, v135
	s_delay_alu instid0(VALU_DEP_3)
	v_cmp_eq_u32_e64 s8, 1, v139
	v_cmp_eq_u32_e64 s7, 2, v139
	;; [unrolled: 1-line block ×4, first 2 shown]
	v_cmp_eq_u32_e32 vcc_lo, 5, v139
	v_cndmask_b32_e64 v155, v149, v143, s8
	v_cndmask_b32_e64 v154, v132, v136, s8
	v_cmp_eq_u32_e64 s5, 6, v139
	v_cmp_eq_u32_e64 s20, 7, v139
	s_delay_alu instid0(VALU_DEP_4) | instskip(NEXT) | instid1(VALU_DEP_4)
	v_cndmask_b32_e64 v155, v155, v150, s7
	v_cndmask_b32_e64 v154, v154, v133, s7
	s_delay_alu instid0(VALU_DEP_2) | instskip(NEXT) | instid1(VALU_DEP_2)
	v_cndmask_b32_e64 v155, v155, v162, s6
	v_cndmask_b32_e64 v154, v154, v144, s6
	s_delay_alu instid0(VALU_DEP_2) | instskip(NEXT) | instid1(VALU_DEP_2)
	v_cndmask_b32_e64 v155, v155, v151, s4
	v_cndmask_b32_e64 v154, v154, v134, s4
	s_delay_alu instid0(VALU_DEP_2)
	v_cndmask_b32_e32 v157, v155, v164, vcc_lo
	v_cmp_eq_u32_e64 s13, 1, v138
	v_cmp_eq_u32_e64 s12, 2, v138
	;; [unrolled: 1-line block ×3, first 2 shown]
	v_or_b32_e32 v137, 2, v138
	v_cmp_eq_u32_e64 s18, 4, v138
	v_cndmask_b32_e64 v153, v149, v143, s13
	v_cndmask_b32_e64 v142, v132, v136, s13
	v_cmp_eq_u32_e64 s15, 5, v138
	v_cmp_eq_u32_e64 s9, 1, v137
	;; [unrolled: 1-line block ×3, first 2 shown]
	v_cndmask_b32_e64 v153, v153, v150, s12
	v_cndmask_b32_e64 v142, v142, v133, s12
	v_cmp_eq_u32_e64 s11, 2, v137
	v_cndmask_b32_e64 v156, v132, v136, s9
	v_cndmask_b32_e32 v154, v154, v161, vcc_lo
	v_cndmask_b32_e64 v153, v153, v162, s17
	v_cndmask_b32_e64 v142, v142, v144, s17
	v_cmp_eq_u32_e64 s10, 7, v138
	v_cndmask_b32_e64 v156, v156, v133, s11
	v_cmp_eq_u32_e64 s19, 3, v137
	v_cndmask_b32_e64 v153, v153, v151, s18
	v_cndmask_b32_e64 v142, v142, v134, s18
	;; [unrolled: 1-line block ×3, first 2 shown]
	v_cmp_eq_u32_e64 s21, 4, v137
	v_cndmask_b32_e64 v156, v156, v144, s19
	v_cndmask_b32_e64 v153, v153, v164, s15
	;; [unrolled: 1-line block ×4, first 2 shown]
	v_cmp_eq_u32_e64 s23, 5, v137
	v_cndmask_b32_e64 v159, v156, v134, s21
	v_cndmask_b32_e64 v153, v153, v152, s16
	v_cndmask_b32_e64 v142, v142, v135, s16
	v_cmp_eq_u32_e64 s26, 6, v137
	v_cmp_eq_u32_e64 s28, 7, v137
	v_cndmask_b32_e64 v169, v159, v161, s23
	v_cndmask_b32_e64 v167, v153, v165, s10
	;; [unrolled: 1-line block ×4, first 2 shown]
	v_or_b32_e32 v142, 3, v138
	s_delay_alu instid0(VALU_DEP_3)
	v_cndmask_b32_e64 v158, v153, v150, s11
	ds_load_b128 v[153:156], v141 offset:1024
	v_cmp_eq_u32_e64 s22, 1, v142
	v_cmp_eq_u32_e64 s24, 2, v142
	;; [unrolled: 1-line block ×3, first 2 shown]
	v_cndmask_b32_e64 v158, v158, v162, s19
	v_cmp_eq_u32_e64 s27, 4, v142
	v_cndmask_b32_e64 v132, v132, v136, s22
	v_cndmask_b32_e64 v136, v157, v152, s5
	;; [unrolled: 1-line block ×4, first 2 shown]
	ds_load_b128 v[157:160], v141 offset:1040
	v_cndmask_b32_e64 v132, v132, v133, s24
	v_cmp_eq_u32_e64 s29, 5, v142
	v_cndmask_b32_e64 v143, v143, v150, s24
	v_cmp_eq_u32_e64 s30, 6, v142
	v_cndmask_b32_e64 v133, v170, v164, s23
	v_cndmask_b32_e64 v132, v132, v144, s25
	v_cndmask_b32_e64 v144, v169, v135, s26
	v_cndmask_b32_e64 v143, v143, v162, s25
	v_cndmask_b32_e64 v136, v136, v165, s20
	s_waitcnt lgkmcnt(1)
	v_lshrrev_b32_e32 v149, 16, v153
	v_cndmask_b32_e64 v132, v132, v134, s27
	v_cndmask_b32_e64 v133, v133, v152, s26
	;; [unrolled: 1-line block ×3, first 2 shown]
	v_lshrrev_b32_e32 v151, 16, v154
	v_cndmask_b32_e64 v143, v153, v149, s13
	v_cndmask_b32_e64 v132, v132, v161, s29
	;; [unrolled: 1-line block ×5, first 2 shown]
	s_waitcnt lgkmcnt(0)
	v_lshrrev_b32_e32 v150, 16, v157
	v_cndmask_b32_e64 v143, v143, v154, s12
	v_cndmask_b32_e64 v132, v132, v135, s30
	;; [unrolled: 1-line block ×3, first 2 shown]
	v_lshrrev_b32_e32 v164, 16, v159
	v_cndmask_b32_e64 v162, v157, v150, s13
	v_cndmask_b32_e64 v135, v143, v151, s17
	;; [unrolled: 1-line block ×3, first 2 shown]
	v_lshrrev_b32_e32 v161, 16, v158
	v_cndmask_b32_e64 v133, v133, v165, s28
	v_cndmask_b32_e64 v152, v162, v158, s12
	v_cmp_eq_u32_e64 s12, 7, v142
	v_cndmask_b32_e64 v143, v143, v151, s6
	v_cndmask_b32_e64 v135, v135, v155, s18
	v_lshrrev_b32_e32 v162, 16, v155
	v_cndmask_b32_e64 v152, v152, v161, s17
	v_cndmask_b32_e64 v132, v132, v163, s12
	;; [unrolled: 1-line block ×6, first 2 shown]
	s_delay_alu instid0(VALU_DEP_4) | instskip(NEXT) | instid1(VALU_DEP_4)
	v_perm_b32 v135, v134, v132, 0x5040100
	v_cndmask_b32_e32 v132, v143, v162, vcc_lo
	s_delay_alu instid0(VALU_DEP_4)
	v_cndmask_b32_e64 v143, v163, v156, s16
	v_lshrrev_b32_e32 v163, 16, v156
	v_cndmask_b32_e64 v152, v152, v164, s15
	v_perm_b32 v134, v133, v144, 0x5040100
	v_cndmask_b32_e64 v132, v132, v156, s5
	v_perm_b32 v133, v136, v168, 0x5040100
	v_cndmask_b32_e64 v136, v143, v163, s10
	v_cndmask_b32_e64 v143, v152, v160, s16
	v_cndmask_b32_e64 v152, v157, v150, s22
	v_cndmask_b32_e64 v165, v132, v163, s20
	v_cndmask_b32_e64 v132, v153, v149, s9
	v_cndmask_b32_e64 v149, v153, v149, s22
	v_cndmask_b32_e64 v153, v157, v150, s9
	v_cndmask_b32_e64 v150, v157, v150, s8
	v_cndmask_b32_e64 v152, v152, v158, s24
	v_cndmask_b32_e64 v132, v132, v154, s11
	v_cndmask_b32_e64 v149, v149, v154, s24
	v_cndmask_b32_e64 v153, v153, v158, s11
	v_cndmask_b32_e64 v150, v150, v158, s7
	v_lshrrev_b32_e32 v144, 16, v160
	v_cndmask_b32_e64 v132, v132, v151, s19
	v_cndmask_b32_e64 v149, v149, v151, s25
	v_cndmask_b32_e64 v151, v152, v161, s25
	v_cndmask_b32_e64 v152, v153, v161, s19
	v_cndmask_b32_e64 v150, v150, v161, s6
	v_cndmask_b32_e64 v132, v132, v155, s21
	v_cndmask_b32_e64 v149, v149, v155, s27
	v_cndmask_b32_e64 v151, v151, v159, s27
	v_cndmask_b32_e64 v152, v152, v159, s21
	v_cndmask_b32_e64 v150, v150, v159, s4
	v_cndmask_b32_e64 v132, v132, v162, s23
	v_cndmask_b32_e64 v149, v149, v162, s29
	v_cndmask_b32_e64 v151, v151, v164, s29
	v_cndmask_b32_e64 v152, v152, v164, s23
	v_cndmask_b32_e32 v150, v150, v164, vcc_lo
	v_cndmask_b32_e64 v132, v132, v156, s26
	v_cndmask_b32_e64 v149, v149, v156, s30
	;; [unrolled: 1-line block ×11, first 2 shown]
	v_perm_b32 v132, v167, v166, 0x5040100
	v_perm_b32 v152, v151, v149, 0x5040100
	;; [unrolled: 1-line block ×5, first 2 shown]
	s_mul_i32 s9, s37, 7
	s_mov_b32 s4, exec_lo
	ds_store_b128 v131, v[132:135]
	ds_store_b128 v131, v[149:152] offset:1024
	v_cmpx_gt_u32_e32 7, v0
	s_cbranch_execz .LBB428_78
; %bb.77:
	s_mul_i32 s5, s9, s34
	s_load_b128 s[16:19], s[0:1], 0x58
	v_add3_u32 v133, s5, s31, v148
	s_delay_alu instid0(VALU_DEP_1) | instskip(NEXT) | instid1(VALU_DEP_1)
	v_mad_u64_u32 v[131:132], null, v133, s36, s[14:15]
	v_ashrrev_i32_e32 v132, 31, v131
	s_delay_alu instid0(VALU_DEP_1) | instskip(SKIP_1) | instid1(VALU_DEP_1)
	v_lshlrev_b64 v[131:132], 2, v[131:132]
	s_waitcnt lgkmcnt(0)
	v_add_co_u32 v133, vcc_lo, s18, v131
	s_delay_alu instid0(VALU_DEP_2)
	v_add_co_ci_u32_e32 v134, vcc_lo, s19, v132, vcc_lo
	v_add_co_u32 v131, vcc_lo, s16, v131
	v_add_co_ci_u32_e32 v132, vcc_lo, s17, v132, vcc_lo
	global_store_b32 v[133:134], v129, off
	global_store_b32 v[131:132], v130, off
.LBB428_78:
	s_or_b32 exec_lo, exec_lo, s4
	s_waitcnt lgkmcnt(0)
	s_waitcnt_vscnt null, 0x0
	s_barrier
	buffer_gl0_inv
	ds_load_b128 v[148:151], v140
	ds_load_b128 v[152:155], v140 offset:16
	ds_load_b128 v[160:163], v140 offset:1040
	;; [unrolled: 1-line block ×3, first 2 shown]
	v_mov_b32_e32 v129, 0
	ds_load_b128 v[168:171], v140 offset:2064
	ds_load_b128 v[164:167], v140 offset:2048
	ds_load_b128 v[176:179], v140 offset:3088
	ds_load_b128 v[172:175], v140 offset:3072
	ds_load_b128 v[184:187], v140 offset:4112
	ds_load_b128 v[180:183], v140 offset:4096
	v_mov_b32_e32 v130, v129
	v_mov_b32_e32 v131, v129
	;; [unrolled: 1-line block ×7, first 2 shown]
	s_waitcnt lgkmcnt(8)
	s_delay_alu instid0(VALU_DEP_1)
	v_wmma_f32_16x16x16_bf16 v[129:136], v[121:128], v[148:155], v[129:136]
	ds_load_b128 v[125:128], v140 offset:5136
	ds_load_b128 v[121:124], v140 offset:5120
	s_waitcnt lgkmcnt(8)
	v_wmma_f32_16x16x16_bf16 v[129:136], v[113:120], v[156:163], v[129:136]
	ds_load_b128 v[117:120], v140 offset:6160
	ds_load_b128 v[113:116], v140 offset:6144
	s_waitcnt lgkmcnt(8)
	;; [unrolled: 4-line block ×8, first 2 shown]
	v_wmma_f32_16x16x16_bf16 v[129:136], v[65:72], v[97:104], v[129:136]
	s_waitcnt lgkmcnt(6)
	s_delay_alu instid0(VALU_DEP_1)
	v_wmma_f32_16x16x16_bf16 v[129:136], v[49:56], v[89:96], v[129:136]
	ds_load_b128 v[53:56], v140 offset:13328
	ds_load_b128 v[49:52], v140 offset:13312
	s_waitcnt lgkmcnt(6)
	v_wmma_f32_16x16x16_bf16 v[129:136], v[41:48], v[81:88], v[129:136]
	ds_load_b128 v[45:48], v140 offset:14352
	ds_load_b128 v[41:44], v140 offset:14336
	s_waitcnt lgkmcnt(6)
	;; [unrolled: 4-line block ×3, first 2 shown]
	v_wmma_f32_16x16x16_bf16 v[129:136], v[1:8], v[57:64], v[129:136]
	s_waitcnt lgkmcnt(4)
	s_delay_alu instid0(VALU_DEP_1) | instskip(SKIP_1) | instid1(VALU_DEP_1)
	v_wmma_f32_16x16x16_bf16 v[129:136], v[25:32], v[49:56], v[129:136]
	s_waitcnt lgkmcnt(2)
	v_wmma_f32_16x16x16_bf16 v[129:136], v[33:40], v[41:48], v[129:136]
	s_waitcnt lgkmcnt(0)
	s_delay_alu instid0(VALU_DEP_1) | instskip(NEXT) | instid1(VALU_DEP_1)
	v_wmma_f32_16x16x16_bf16 v[129:136], v[9:16], v[17:24], v[129:136]
	v_and_b32_e32 v1, 0x7f800000, v129
	s_delay_alu instid0(VALU_DEP_1) | instskip(SKIP_1) | instid1(SALU_CYCLE_1)
	v_cmp_ne_u32_e32 vcc_lo, 0x7f800000, v1
                                        ; implicit-def: $vgpr1
	s_and_saveexec_b32 s4, vcc_lo
	s_xor_b32 s4, exec_lo, s4
; %bb.79:
	v_bfe_u32 v1, v129, 16, 1
	s_delay_alu instid0(VALU_DEP_1)
	v_add3_u32 v1, v129, v1, 0x7fff
; %bb.80:
	s_and_not1_saveexec_b32 s4, s4
; %bb.81:
	v_and_b32_e32 v1, 0xffff, v129
	v_or_b32_e32 v2, 0x10000, v129
	s_delay_alu instid0(VALU_DEP_2) | instskip(NEXT) | instid1(VALU_DEP_2)
	v_cmp_eq_u32_e32 vcc_lo, 0, v1
	v_cndmask_b32_e32 v1, v2, v129, vcc_lo
; %bb.82:
	s_or_b32 exec_lo, exec_lo, s4
	v_and_b32_e32 v2, 0x7f800000, v130
	s_delay_alu instid0(VALU_DEP_1) | instskip(SKIP_1) | instid1(SALU_CYCLE_1)
	v_cmp_ne_u32_e32 vcc_lo, 0x7f800000, v2
                                        ; implicit-def: $vgpr2
	s_and_saveexec_b32 s4, vcc_lo
	s_xor_b32 s4, exec_lo, s4
; %bb.83:
	v_bfe_u32 v2, v130, 16, 1
	s_delay_alu instid0(VALU_DEP_1)
	v_add3_u32 v2, v130, v2, 0x7fff
; %bb.84:
	s_and_not1_saveexec_b32 s4, s4
; %bb.85:
	v_and_b32_e32 v2, 0xffff, v130
	v_or_b32_e32 v3, 0x10000, v130
	s_delay_alu instid0(VALU_DEP_2) | instskip(NEXT) | instid1(VALU_DEP_2)
	v_cmp_eq_u32_e32 vcc_lo, 0, v2
	v_cndmask_b32_e32 v2, v3, v130, vcc_lo
; %bb.86:
	s_or_b32 exec_lo, exec_lo, s4
	v_and_b32_e32 v3, 0x7f800000, v131
	s_delay_alu instid0(VALU_DEP_1) | instskip(SKIP_1) | instid1(SALU_CYCLE_1)
	v_cmp_ne_u32_e32 vcc_lo, 0x7f800000, v3
                                        ; implicit-def: $vgpr3
	s_and_saveexec_b32 s4, vcc_lo
	s_xor_b32 s4, exec_lo, s4
; %bb.87:
	v_bfe_u32 v3, v131, 16, 1
	s_delay_alu instid0(VALU_DEP_1)
	v_add3_u32 v3, v131, v3, 0x7fff
; %bb.88:
	s_and_not1_saveexec_b32 s4, s4
; %bb.89:
	v_and_b32_e32 v3, 0xffff, v131
	v_or_b32_e32 v4, 0x10000, v131
	s_delay_alu instid0(VALU_DEP_2) | instskip(NEXT) | instid1(VALU_DEP_2)
	v_cmp_eq_u32_e32 vcc_lo, 0, v3
	v_cndmask_b32_e32 v3, v4, v131, vcc_lo
; %bb.90:
	s_or_b32 exec_lo, exec_lo, s4
	v_and_b32_e32 v4, 0x7f800000, v132
	s_delay_alu instid0(VALU_DEP_1) | instskip(SKIP_1) | instid1(SALU_CYCLE_1)
	v_cmp_ne_u32_e32 vcc_lo, 0x7f800000, v4
                                        ; implicit-def: $vgpr4
	s_and_saveexec_b32 s4, vcc_lo
	s_xor_b32 s4, exec_lo, s4
; %bb.91:
	v_bfe_u32 v4, v132, 16, 1
	s_delay_alu instid0(VALU_DEP_1)
	v_add3_u32 v4, v132, v4, 0x7fff
; %bb.92:
	s_and_not1_saveexec_b32 s4, s4
; %bb.93:
	v_and_b32_e32 v4, 0xffff, v132
	v_or_b32_e32 v5, 0x10000, v132
	s_delay_alu instid0(VALU_DEP_2) | instskip(NEXT) | instid1(VALU_DEP_2)
	v_cmp_eq_u32_e32 vcc_lo, 0, v4
	v_cndmask_b32_e32 v4, v5, v132, vcc_lo
; %bb.94:
	s_or_b32 exec_lo, exec_lo, s4
	v_and_b32_e32 v5, 0x7f800000, v133
	s_delay_alu instid0(VALU_DEP_1) | instskip(SKIP_1) | instid1(SALU_CYCLE_1)
	v_cmp_ne_u32_e32 vcc_lo, 0x7f800000, v5
                                        ; implicit-def: $vgpr5
	s_and_saveexec_b32 s4, vcc_lo
	s_xor_b32 s4, exec_lo, s4
; %bb.95:
	v_bfe_u32 v5, v133, 16, 1
	s_delay_alu instid0(VALU_DEP_1)
	v_add3_u32 v5, v133, v5, 0x7fff
; %bb.96:
	s_and_not1_saveexec_b32 s4, s4
; %bb.97:
	v_and_b32_e32 v5, 0xffff, v133
	v_or_b32_e32 v6, 0x10000, v133
	s_delay_alu instid0(VALU_DEP_2) | instskip(NEXT) | instid1(VALU_DEP_2)
	v_cmp_eq_u32_e32 vcc_lo, 0, v5
	v_cndmask_b32_e32 v5, v6, v133, vcc_lo
; %bb.98:
	s_or_b32 exec_lo, exec_lo, s4
	v_and_b32_e32 v6, 0x7f800000, v134
	s_delay_alu instid0(VALU_DEP_1) | instskip(SKIP_1) | instid1(SALU_CYCLE_1)
	v_cmp_ne_u32_e32 vcc_lo, 0x7f800000, v6
                                        ; implicit-def: $vgpr6
	s_and_saveexec_b32 s4, vcc_lo
	s_xor_b32 s4, exec_lo, s4
; %bb.99:
	v_bfe_u32 v6, v134, 16, 1
	s_delay_alu instid0(VALU_DEP_1)
	v_add3_u32 v6, v134, v6, 0x7fff
; %bb.100:
	s_and_not1_saveexec_b32 s4, s4
; %bb.101:
	v_and_b32_e32 v6, 0xffff, v134
	v_or_b32_e32 v7, 0x10000, v134
	s_delay_alu instid0(VALU_DEP_2) | instskip(NEXT) | instid1(VALU_DEP_2)
	v_cmp_eq_u32_e32 vcc_lo, 0, v6
	v_cndmask_b32_e32 v6, v7, v134, vcc_lo
; %bb.102:
	s_or_b32 exec_lo, exec_lo, s4
	v_and_b32_e32 v7, 0x7f800000, v135
	s_delay_alu instid0(VALU_DEP_1) | instskip(SKIP_1) | instid1(SALU_CYCLE_1)
	v_cmp_ne_u32_e32 vcc_lo, 0x7f800000, v7
                                        ; implicit-def: $vgpr7
	s_and_saveexec_b32 s4, vcc_lo
	s_xor_b32 s4, exec_lo, s4
; %bb.103:
	v_bfe_u32 v7, v135, 16, 1
	s_delay_alu instid0(VALU_DEP_1)
	v_add3_u32 v7, v135, v7, 0x7fff
; %bb.104:
	s_and_not1_saveexec_b32 s4, s4
; %bb.105:
	v_and_b32_e32 v7, 0xffff, v135
	v_or_b32_e32 v8, 0x10000, v135
	s_delay_alu instid0(VALU_DEP_2) | instskip(NEXT) | instid1(VALU_DEP_2)
	v_cmp_eq_u32_e32 vcc_lo, 0, v7
	v_cndmask_b32_e32 v7, v8, v135, vcc_lo
; %bb.106:
	s_or_b32 exec_lo, exec_lo, s4
	v_and_b32_e32 v8, 0x7f800000, v136
	s_delay_alu instid0(VALU_DEP_1) | instskip(SKIP_1) | instid1(SALU_CYCLE_1)
	v_cmp_ne_u32_e32 vcc_lo, 0x7f800000, v8
                                        ; implicit-def: $vgpr8
	s_and_saveexec_b32 s4, vcc_lo
	s_xor_b32 s4, exec_lo, s4
; %bb.107:
	v_bfe_u32 v8, v136, 16, 1
	s_delay_alu instid0(VALU_DEP_1)
	v_add3_u32 v8, v136, v8, 0x7fff
                                        ; implicit-def: $vgpr129_vgpr130_vgpr131_vgpr132_vgpr133_vgpr134_vgpr135_vgpr136
; %bb.108:
	s_and_not1_saveexec_b32 s4, s4
; %bb.109:
	v_and_b32_e32 v8, 0xffff, v136
	v_or_b32_e32 v9, 0x10000, v136
	s_delay_alu instid0(VALU_DEP_2) | instskip(NEXT) | instid1(VALU_DEP_2)
	v_cmp_eq_u32_e32 vcc_lo, 0, v8
	v_cndmask_b32_e32 v8, v9, v136, vcc_lo
; %bb.110:
	s_or_b32 exec_lo, exec_lo, s4
	s_delay_alu instid0(VALU_DEP_1)
	v_perm_b32 v7, v8, v7, 0x7060302
	v_perm_b32 v6, v6, v5, 0x7060302
	;; [unrolled: 1-line block ×4, first 2 shown]
	v_lshl_or_b32 v9, v146, 4, v141
	s_barrier
	buffer_gl0_inv
	v_cmp_eq_u32_e32 vcc_lo, 1, v138
	ds_store_b128 v9, v[4:7]
	s_waitcnt lgkmcnt(0)
	s_barrier
	buffer_gl0_inv
	ds_load_b128 v[1:4], v141
	ds_load_b128 v[5:8], v141 offset:16
	v_cmp_eq_u32_e64 s5, 2, v138
	v_cmp_eq_u32_e64 s4, 1, v139
	;; [unrolled: 1-line block ×5, first 2 shown]
	s_waitcnt lgkmcnt(1)
	v_lshrrev_b32_e32 v10, 16, v1
	s_waitcnt lgkmcnt(0)
	v_lshrrev_b32_e32 v14, 16, v5
	v_lshrrev_b32_e32 v15, 16, v6
	;; [unrolled: 1-line block ×4, first 2 shown]
	v_cndmask_b32_e64 v20, v1, v10, s4
	v_cndmask_b32_e32 v19, v5, v14, vcc_lo
	v_cndmask_b32_e64 v21, v5, v14, s4
	v_lshrrev_b32_e32 v16, 16, v7
	v_cmp_eq_u32_e64 s4, 1, v137
	v_lshrrev_b32_e32 v13, 16, v4
	v_cndmask_b32_e64 v19, v19, v6, s5
	v_lshrrev_b32_e32 v17, 16, v8
	s_delay_alu instid0(VALU_DEP_4) | instskip(SKIP_1) | instid1(VALU_DEP_4)
	v_cndmask_b32_e64 v22, v1, v10, s4
	v_cndmask_b32_e64 v23, v5, v14, s4
	;; [unrolled: 1-line block ×3, first 2 shown]
	v_cndmask_b32_e32 v18, v1, v10, vcc_lo
	v_cmp_eq_u32_e32 vcc_lo, 2, v139
	v_cmp_eq_u32_e64 s4, 2, v142
	v_cndmask_b32_e64 v22, v22, v2, s8
	v_cndmask_b32_e32 v20, v20, v2, vcc_lo
	v_cndmask_b32_e32 v21, v21, v6, vcc_lo
	v_cmp_eq_u32_e32 vcc_lo, 4, v138
	v_cndmask_b32_e32 v19, v19, v7, vcc_lo
	v_cndmask_b32_e64 v18, v18, v2, s5
	v_cmp_eq_u32_e64 s5, 3, v139
	s_delay_alu instid0(VALU_DEP_2) | instskip(NEXT) | instid1(VALU_DEP_2)
	v_cndmask_b32_e64 v18, v18, v11, s6
	v_cndmask_b32_e64 v21, v21, v15, s5
	v_cmp_eq_u32_e64 s6, 5, v138
	s_delay_alu instid0(VALU_DEP_3) | instskip(SKIP_1) | instid1(VALU_DEP_3)
	v_cndmask_b32_e32 v18, v18, v3, vcc_lo
	v_cmp_eq_u32_e32 vcc_lo, 4, v139
	v_cndmask_b32_e64 v19, v19, v16, s6
	s_delay_alu instid0(VALU_DEP_3) | instskip(SKIP_4) | instid1(VALU_DEP_3)
	v_cndmask_b32_e64 v18, v18, v12, s6
	v_cndmask_b32_e32 v21, v21, v7, vcc_lo
	v_cndmask_b32_e64 v20, v20, v11, s5
	v_cmp_eq_u32_e64 s5, 5, v139
	v_cmp_eq_u32_e64 s6, 6, v138
	v_cndmask_b32_e32 v20, v20, v3, vcc_lo
	s_delay_alu instid0(VALU_DEP_3) | instskip(SKIP_1) | instid1(VALU_DEP_4)
	v_cndmask_b32_e64 v21, v21, v16, s5
	v_cmp_eq_u32_e32 vcc_lo, 6, v139
	v_cndmask_b32_e64 v18, v18, v4, s6
	v_cndmask_b32_e64 v19, v19, v8, s6
	;; [unrolled: 1-line block ×3, first 2 shown]
	v_cmp_eq_u32_e64 s5, 1, v142
	v_cmp_eq_u32_e64 s6, 7, v138
	s_delay_alu instid0(VALU_DEP_3) | instskip(NEXT) | instid1(VALU_DEP_3)
	v_cndmask_b32_e32 v20, v20, v4, vcc_lo
	v_cndmask_b32_e64 v1, v1, v10, s5
	v_cndmask_b32_e64 v5, v5, v14, s5
	v_cmp_eq_u32_e64 s5, 3, v137
	v_cndmask_b32_e64 v14, v23, v6, s8
	v_cmp_eq_u32_e64 s8, 3, v142
	v_cndmask_b32_e64 v1, v1, v2, s4
	v_cndmask_b32_e64 v2, v5, v6, s4
	;; [unrolled: 1-line block ×3, first 2 shown]
	v_cmp_eq_u32_e64 s4, 4, v137
	v_cndmask_b32_e64 v6, v14, v15, s5
	v_cndmask_b32_e64 v1, v1, v11, s8
	v_cmp_eq_u32_e64 s5, 4, v142
	v_cndmask_b32_e64 v2, v2, v15, s8
	v_cndmask_b32_e64 v5, v10, v3, s4
	;; [unrolled: 3-line block ×3, first 2 shown]
	v_cndmask_b32_e64 v2, v2, v7, s5
	v_cmp_eq_u32_e64 s4, 5, v142
	v_cndmask_b32_e64 v5, v5, v12, s8
	v_cmp_eq_u32_e64 s5, 6, v137
	;; [unrolled: 2-line block ×3, first 2 shown]
	v_cndmask_b32_e64 v1, v1, v12, s4
	v_cndmask_b32_e64 v2, v2, v16, s4
	;; [unrolled: 1-line block ×4, first 2 shown]
	v_cmp_eq_u32_e64 s4, 7, v142
	v_cndmask_b32_e64 v1, v1, v4, s8
	v_cndmask_b32_e64 v2, v2, v8, s8
	v_cmp_eq_u32_e64 s5, 7, v137
	v_cndmask_b32_e32 v4, v21, v8, vcc_lo
	v_cndmask_b32_e64 v18, v18, v13, s6
	v_cndmask_b32_e64 v20, v20, v13, s7
	;; [unrolled: 1-line block ×8, first 2 shown]
	v_cmp_gt_u32_e32 vcc_lo, 32, v0
	v_perm_b32 v4, v2, v1, 0x5040100
	v_perm_b32 v3, v3, v5, 0x5040100
	;; [unrolled: 1-line block ×4, first 2 shown]
	s_and_b32 s2, vcc_lo, s2
	ds_store_b128 v9, v[1:4]
	s_waitcnt lgkmcnt(0)
	s_barrier
	buffer_gl0_inv
	s_and_saveexec_b32 s4, s2
	s_cbranch_execz .LBB428_2
; %bb.111:
	s_load_b64 s[4:5], s[0:1], 0x68
	v_lshlrev_b32_e32 v0, 10, v0
	v_add_nc_u32_e32 v2, s31, v146
	v_lshlrev_b32_e32 v3, 4, v147
	s_lshl_b32 s0, s36, 6
	s_delay_alu instid0(SALU_CYCLE_1) | instskip(NEXT) | instid1(VALU_DEP_2)
	s_mul_i32 s1, s0, s34
	v_mul_lo_u32 v1, v2, s0
	s_delay_alu instid0(VALU_DEP_2)
	v_and_or_b32 v0, 0x3800, v0, v3
	v_add_nc_u32_e32 v3, 2, v2
	s_mul_i32 s6, s1, s9
	v_add_nc_u32_e32 v4, 4, v2
	s_ashr_i32 s7, s6, 31
	v_lshl_or_b32 v11, v146, 6, v0
	s_lshl_b64 s[6:7], s[6:7], 1
	v_mul_lo_u32 v15, v3, s0
	v_mul_lo_u32 v17, v4, s0
	v_ashrrev_i32_e32 v2, 31, v1
	ds_load_b128 v[3:6], v11
	ds_load_b128 v[7:10], v11 offset:128
	ds_load_b128 v[11:14], v11 offset:256
	s_waitcnt lgkmcnt(0)
	s_add_u32 s1, s4, s6
	s_addc_u32 s2, s5, s7
	s_lshl_b32 s4, s14, 6
	v_ashrrev_i32_e32 v16, 31, v15
	s_ashr_i32 s5, s4, 31
	v_lshlrev_b64 v[19:20], 1, v[1:2]
	s_lshl_b64 s[4:5], s[4:5], 1
	v_ashrrev_i32_e32 v18, 31, v17
	s_add_u32 s1, s1, s4
	s_addc_u32 s2, s2, s5
	v_add_co_u32 v1, s1, s1, v145
	s_delay_alu instid0(VALU_DEP_1) | instskip(SKIP_1) | instid1(VALU_DEP_3)
	v_add_co_ci_u32_e64 v2, null, s2, 0, s1
	v_lshlrev_b64 v[15:16], 1, v[15:16]
	v_add_co_u32 v19, vcc_lo, v1, v19
	v_lshlrev_b64 v[17:18], 1, v[17:18]
	s_delay_alu instid0(VALU_DEP_4) | instskip(NEXT) | instid1(VALU_DEP_4)
	v_add_co_ci_u32_e32 v20, vcc_lo, v2, v20, vcc_lo
	v_add_co_u32 v15, vcc_lo, v1, v15
	v_add_co_ci_u32_e32 v16, vcc_lo, v2, v16, vcc_lo
	s_delay_alu instid0(VALU_DEP_4)
	v_add_co_u32 v17, vcc_lo, v1, v17
	v_add_co_ci_u32_e32 v18, vcc_lo, v2, v18, vcc_lo
	s_clause 0x2
	global_store_b128 v[19:20], v[3:6], off
	global_store_b128 v[15:16], v[7:10], off
	;; [unrolled: 1-line block ×3, first 2 shown]
	s_and_b32 exec_lo, exec_lo, s3
	s_cbranch_execz .LBB428_2
; %bb.112:
	ds_load_b128 v[3:6], v0 offset:384
	s_add_i32 s1, s31, 6
	s_delay_alu instid0(SALU_CYCLE_1) | instskip(NEXT) | instid1(SALU_CYCLE_1)
	s_mul_i32 s0, s1, s0
	s_ashr_i32 s1, s0, 31
	s_delay_alu instid0(SALU_CYCLE_1) | instskip(NEXT) | instid1(SALU_CYCLE_1)
	s_lshl_b64 s[0:1], s[0:1], 1
	v_add_co_u32 v0, vcc_lo, v1, s0
	v_add_co_ci_u32_e32 v1, vcc_lo, s1, v2, vcc_lo
	s_waitcnt lgkmcnt(0)
	global_store_b128 v[0:1], v[3:6], off
	s_nop 0
	s_sendmsg sendmsg(MSG_DEALLOC_VGPRS)
	s_endpgm
	.section	.rodata,"a",@progbits
	.p2align	6, 0x0
	.amdhsa_kernel _Z39paged_attention_ll4mi_QKV_mfma16_kernelI14__hip_bfloat16S0_LN4vllm18Fp8KVCacheDataTypeE0EhLi16ELi64ELi256ELb0ELi7EL8MFMAType0EEvPKT_PKT0_S9_ifPKiSB_SB_iPKfiiiPfSE_PS4_PT2_iSD_SD_
		.amdhsa_group_segment_fixed_size 17472
		.amdhsa_private_segment_fixed_size 0
		.amdhsa_kernarg_size 400
		.amdhsa_user_sgpr_count 13
		.amdhsa_user_sgpr_dispatch_ptr 0
		.amdhsa_user_sgpr_queue_ptr 0
		.amdhsa_user_sgpr_kernarg_segment_ptr 1
		.amdhsa_user_sgpr_dispatch_id 0
		.amdhsa_user_sgpr_private_segment_size 0
		.amdhsa_wavefront_size32 1
		.amdhsa_uses_dynamic_stack 0
		.amdhsa_enable_private_segment 0
		.amdhsa_system_sgpr_workgroup_id_x 1
		.amdhsa_system_sgpr_workgroup_id_y 1
		.amdhsa_system_sgpr_workgroup_id_z 1
		.amdhsa_system_sgpr_workgroup_info 0
		.amdhsa_system_vgpr_workitem_id 0
		.amdhsa_next_free_vgpr 198
		.amdhsa_next_free_sgpr 52
		.amdhsa_reserve_vcc 1
		.amdhsa_float_round_mode_32 0
		.amdhsa_float_round_mode_16_64 0
		.amdhsa_float_denorm_mode_32 3
		.amdhsa_float_denorm_mode_16_64 3
		.amdhsa_dx10_clamp 1
		.amdhsa_ieee_mode 1
		.amdhsa_fp16_overflow 0
		.amdhsa_workgroup_processor_mode 1
		.amdhsa_memory_ordered 1
		.amdhsa_forward_progress 0
		.amdhsa_shared_vgpr_count 0
		.amdhsa_exception_fp_ieee_invalid_op 0
		.amdhsa_exception_fp_denorm_src 0
		.amdhsa_exception_fp_ieee_div_zero 0
		.amdhsa_exception_fp_ieee_overflow 0
		.amdhsa_exception_fp_ieee_underflow 0
		.amdhsa_exception_fp_ieee_inexact 0
		.amdhsa_exception_int_div_zero 0
	.end_amdhsa_kernel
	.section	.text._Z39paged_attention_ll4mi_QKV_mfma16_kernelI14__hip_bfloat16S0_LN4vllm18Fp8KVCacheDataTypeE0EhLi16ELi64ELi256ELb0ELi7EL8MFMAType0EEvPKT_PKT0_S9_ifPKiSB_SB_iPKfiiiPfSE_PS4_PT2_iSD_SD_,"axG",@progbits,_Z39paged_attention_ll4mi_QKV_mfma16_kernelI14__hip_bfloat16S0_LN4vllm18Fp8KVCacheDataTypeE0EhLi16ELi64ELi256ELb0ELi7EL8MFMAType0EEvPKT_PKT0_S9_ifPKiSB_SB_iPKfiiiPfSE_PS4_PT2_iSD_SD_,comdat
.Lfunc_end428:
	.size	_Z39paged_attention_ll4mi_QKV_mfma16_kernelI14__hip_bfloat16S0_LN4vllm18Fp8KVCacheDataTypeE0EhLi16ELi64ELi256ELb0ELi7EL8MFMAType0EEvPKT_PKT0_S9_ifPKiSB_SB_iPKfiiiPfSE_PS4_PT2_iSD_SD_, .Lfunc_end428-_Z39paged_attention_ll4mi_QKV_mfma16_kernelI14__hip_bfloat16S0_LN4vllm18Fp8KVCacheDataTypeE0EhLi16ELi64ELi256ELb0ELi7EL8MFMAType0EEvPKT_PKT0_S9_ifPKiSB_SB_iPKfiiiPfSE_PS4_PT2_iSD_SD_
                                        ; -- End function
	.section	.AMDGPU.csdata,"",@progbits
; Kernel info:
; codeLenInByte = 10064
; NumSgprs: 54
; NumVgprs: 198
; ScratchSize: 0
; MemoryBound: 0
; FloatMode: 240
; IeeeMode: 1
; LDSByteSize: 17472 bytes/workgroup (compile time only)
; SGPRBlocks: 6
; VGPRBlocks: 24
; NumSGPRsForWavesPerEU: 54
; NumVGPRsForWavesPerEU: 198
; Occupancy: 7
; WaveLimiterHint : 1
; COMPUTE_PGM_RSRC2:SCRATCH_EN: 0
; COMPUTE_PGM_RSRC2:USER_SGPR: 13
; COMPUTE_PGM_RSRC2:TRAP_HANDLER: 0
; COMPUTE_PGM_RSRC2:TGID_X_EN: 1
; COMPUTE_PGM_RSRC2:TGID_Y_EN: 1
; COMPUTE_PGM_RSRC2:TGID_Z_EN: 1
; COMPUTE_PGM_RSRC2:TIDIG_COMP_CNT: 0
	.section	.text._Z39paged_attention_ll4mi_QKV_mfma16_kernelI14__hip_bfloat16S0_LN4vllm18Fp8KVCacheDataTypeE0EhLi16ELi64ELi256ELb0ELi8EL8MFMAType0EEvPKT_PKT0_S9_ifPKiSB_SB_iPKfiiiPfSE_PS4_PT2_iSD_SD_,"axG",@progbits,_Z39paged_attention_ll4mi_QKV_mfma16_kernelI14__hip_bfloat16S0_LN4vllm18Fp8KVCacheDataTypeE0EhLi16ELi64ELi256ELb0ELi8EL8MFMAType0EEvPKT_PKT0_S9_ifPKiSB_SB_iPKfiiiPfSE_PS4_PT2_iSD_SD_,comdat
	.protected	_Z39paged_attention_ll4mi_QKV_mfma16_kernelI14__hip_bfloat16S0_LN4vllm18Fp8KVCacheDataTypeE0EhLi16ELi64ELi256ELb0ELi8EL8MFMAType0EEvPKT_PKT0_S9_ifPKiSB_SB_iPKfiiiPfSE_PS4_PT2_iSD_SD_ ; -- Begin function _Z39paged_attention_ll4mi_QKV_mfma16_kernelI14__hip_bfloat16S0_LN4vllm18Fp8KVCacheDataTypeE0EhLi16ELi64ELi256ELb0ELi8EL8MFMAType0EEvPKT_PKT0_S9_ifPKiSB_SB_iPKfiiiPfSE_PS4_PT2_iSD_SD_
	.globl	_Z39paged_attention_ll4mi_QKV_mfma16_kernelI14__hip_bfloat16S0_LN4vllm18Fp8KVCacheDataTypeE0EhLi16ELi64ELi256ELb0ELi8EL8MFMAType0EEvPKT_PKT0_S9_ifPKiSB_SB_iPKfiiiPfSE_PS4_PT2_iSD_SD_
	.p2align	8
	.type	_Z39paged_attention_ll4mi_QKV_mfma16_kernelI14__hip_bfloat16S0_LN4vllm18Fp8KVCacheDataTypeE0EhLi16ELi64ELi256ELb0ELi8EL8MFMAType0EEvPKT_PKT0_S9_ifPKiSB_SB_iPKfiiiPfSE_PS4_PT2_iSD_SD_,@function
_Z39paged_attention_ll4mi_QKV_mfma16_kernelI14__hip_bfloat16S0_LN4vllm18Fp8KVCacheDataTypeE0EhLi16ELi64ELi256ELb0ELi8EL8MFMAType0EEvPKT_PKT0_S9_ifPKiSB_SB_iPKfiiiPfSE_PS4_PT2_iSD_SD_: ; @_Z39paged_attention_ll4mi_QKV_mfma16_kernelI14__hip_bfloat16S0_LN4vllm18Fp8KVCacheDataTypeE0EhLi16ELi64ELi256ELb0ELi8EL8MFMAType0EEvPKT_PKT0_S9_ifPKiSB_SB_iPKfiiiPfSE_PS4_PT2_iSD_SD_
; %bb.0:
	s_load_b64 s[2:3], s[0:1], 0x30
	s_mov_b32 s30, s13
	s_waitcnt lgkmcnt(0)
	s_cmp_lg_u64 s[2:3], 0
	s_cselect_b32 s6, -1, 0
	s_ashr_i32 s31, s13, 31
	s_cmp_eq_u64 s[2:3], 0
	s_cbranch_scc1 .LBB429_3
; %bb.1:
	s_lshl_b64 s[4:5], s[30:31], 2
	s_delay_alu instid0(SALU_CYCLE_1) | instskip(SKIP_4) | instid1(SALU_CYCLE_1)
	s_add_u32 s4, s2, s4
	s_addc_u32 s5, s3, s5
	s_load_b64 s[4:5], s[4:5], 0x0
	s_waitcnt lgkmcnt(0)
	s_sub_i32 s4, s5, s4
	s_cmp_eq_u32 s4, 1
	s_cselect_b32 s4, -1, 0
	s_delay_alu instid0(SALU_CYCLE_1)
	s_and_not1_b32 vcc_lo, exec_lo, s4
	s_cbranch_vccz .LBB429_4
.LBB429_2:
	s_endpgm
.LBB429_3:
.LBB429_4:
	s_load_b64 s[8:9], s[0:1], 0x28
	s_lshl_b64 s[4:5], s[30:31], 2
	s_waitcnt lgkmcnt(0)
	s_add_u32 s8, s8, s4
	s_addc_u32 s9, s9, s5
	s_lshl_b32 s34, s14, 8
	s_load_b32 s33, s[8:9], 0x0
	s_waitcnt lgkmcnt(0)
	s_cmp_ge_i32 s34, s33
	s_cbranch_scc1 .LBB429_2
; %bb.5:
	s_clause 0x1
	s_load_b128 s[8:11], s[0:1], 0x8
	s_load_b64 s[12:13], s[0:1], 0x20
	s_and_not1_b32 vcc_lo, exec_lo, s6
	s_cbranch_vccnz .LBB429_7
; %bb.6:
	s_add_u32 s2, s2, s4
	s_addc_u32 s3, s3, s5
	s_load_b32 s3, s[2:3], 0x0
	s_branch .LBB429_8
.LBB429_7:
	s_mov_b32 s3, s30
.LBB429_8:
	s_load_b128 s[4:7], s[0:1], 0x48
	v_and_b32_e32 v149, 15, v0
	v_cmp_gt_u32_e32 vcc_lo, 0x80, v0
	v_lshrrev_b32_e32 v148, 5, v0
	v_and_b32_e32 v150, 31, v0
	v_and_b32_e32 v146, 1, v0
	v_lshlrev_b32_e32 v1, 3, v149
	v_cmp_gt_u32_e64 s2, 8, v149
	v_bfe_u32 v147, v0, 4, 1
	s_lshl_b32 s31, s15, 3
	s_delay_alu instid0(VALU_DEP_3) | instskip(NEXT) | instid1(VALU_DEP_3)
	v_lshlrev_b32_e32 v145, 1, v1
	s_and_b32 s16, vcc_lo, s2
	s_waitcnt lgkmcnt(0)
	s_and_saveexec_b32 s7, s16
	s_cbranch_execz .LBB429_10
; %bb.9:
	v_lshl_or_b32 v5, v148, 1, v147
	s_load_b64 s[16:17], s[0:1], 0x0
	s_mul_hi_i32 s19, s3, s4
	s_mul_i32 s18, s3, s4
	v_lshlrev_b32_e32 v6, 10, v149
	v_or_b32_e32 v1, s31, v5
	s_lshl_b64 s[18:19], s[18:19], 1
	v_lshlrev_b32_e32 v5, 6, v5
	v_lshlrev_b32_e32 v7, 10, v146
	v_and_b32_e32 v6, 0x3800, v6
	v_lshlrev_b32_e32 v1, 6, v1
	s_delay_alu instid0(VALU_DEP_2) | instskip(NEXT) | instid1(VALU_DEP_2)
	v_or3_b32 v5, v6, v7, v5
	v_ashrrev_i32_e32 v2, 31, v1
	s_delay_alu instid0(VALU_DEP_1) | instskip(SKIP_3) | instid1(VALU_DEP_1)
	v_lshlrev_b64 v[1:2], 1, v[1:2]
	s_waitcnt lgkmcnt(0)
	s_add_u32 s3, s16, s18
	s_addc_u32 s4, s17, s19
	v_add_co_u32 v1, vcc_lo, s3, v1
	s_delay_alu instid0(VALU_DEP_2) | instskip(NEXT) | instid1(VALU_DEP_2)
	v_add_co_ci_u32_e32 v2, vcc_lo, s4, v2, vcc_lo
	v_add_co_u32 v1, vcc_lo, v1, v145
	s_delay_alu instid0(VALU_DEP_2)
	v_add_co_ci_u32_e32 v2, vcc_lo, 0, v2, vcc_lo
	global_load_b128 v[1:4], v[1:2], off
	s_waitcnt vmcnt(0)
	ds_store_b128 v5, v[1:4]
.LBB429_10:
	s_or_b32 exec_lo, exec_lo, s7
	s_mov_b32 s40, 0
	s_add_i32 s3, s33, 15
	s_mov_b32 s41, s40
	s_mov_b32 s42, s40
	;; [unrolled: 1-line block ×7, first 2 shown]
	s_delay_alu instid0(SALU_CYCLE_1)
	v_dual_mov_b32 v136, s47 :: v_dual_and_b32 v1, 0xef, v0
	v_mov_b32_e32 v134, s45
	s_clause 0x1
	s_load_b32 s4, s[0:1], 0x38
	s_load_b32 s35, s[0:1], 0x1c
	v_add_nc_u32_e32 v1, s34, v1
	s_ashr_i32 s7, s3, 31
	s_waitcnt lgkmcnt(0)
	s_lshr_b32 s7, s7, 28
	s_barrier
	v_ashrrev_i32_e32 v2, 31, v1
	s_add_i32 s3, s3, s7
	v_cmp_gt_i32_e32 vcc_lo, s33, v1
	v_mov_b32_e32 v135, s46
	s_ashr_i32 s3, s3, 4
	v_lshrrev_b32_e32 v3, 28, v2
	v_or_b32_e32 v2, 16, v1
	s_add_i32 s3, s3, -1
	v_mov_b32_e32 v132, s43
	buffer_gl0_inv
	v_add_nc_u32_e32 v4, v1, v3
	v_add_nc_u32_e32 v3, v2, v3
	s_mul_i32 s6, s15, s6
	v_lshlrev_b32_e32 v22, 5, v149
	s_mul_i32 s16, s30, s4
	v_ashrrev_i32_e32 v4, 4, v4
	v_ashrrev_i32_e32 v3, 4, v3
	s_ashr_i32 s17, s16, 31
	v_and_b32_e32 v21, 7, v0
	s_lshl_b64 s[16:17], s[16:17], 2
	v_cndmask_b32_e32 v1, s3, v4, vcc_lo
	v_cmp_gt_i32_e32 vcc_lo, s33, v2
	s_add_u32 s4, s12, s16
	s_addc_u32 s36, s13, s17
	s_ashr_i32 s7, s6, 31
	v_ashrrev_i32_e32 v2, 31, v1
	v_cndmask_b32_e32 v3, s3, v3, vcc_lo
	s_lshl_b64 s[6:7], s[6:7], 1
	v_lshlrev_b32_e32 v197, 6, v21
	s_add_u32 s24, s8, s6
	v_lshlrev_b64 v[1:2], 2, v[1:2]
	v_ashrrev_i32_e32 v4, 31, v3
	s_addc_u32 s25, s9, s7
	s_lshl_b32 s8, s14, 4
	v_mov_b32_e32 v133, s44
	s_ashr_i32 s9, s8, 31
	v_lshlrev_b64 v[3:4], 2, v[3:4]
	v_add_co_u32 v1, vcc_lo, s4, v1
	v_add_co_ci_u32_e32 v2, vcc_lo, s36, v2, vcc_lo
	s_lshl_b64 s[8:9], s[8:9], 2
	s_delay_alu instid0(VALU_DEP_3) | instskip(NEXT) | instid1(VALU_DEP_4)
	v_add_co_u32 v3, vcc_lo, s4, v3
	v_add_co_ci_u32_e32 v4, vcc_lo, s36, v4, vcc_lo
	s_clause 0x1
	global_load_b32 v5, v[1:2], off
	global_load_b32 v6, v[3:4], off
	s_add_u32 s8, s4, s8
	s_addc_u32 s9, s36, s9
	s_or_b32 s12, s34, 16
	v_dual_mov_b32 v130, s41 :: v_dual_lshlrev_b32 v3, 4, v0
	s_ashr_i32 s13, s12, 4
	s_cmp_lt_i32 s12, s33
	v_mov_b32_e32 v131, s42
	s_cselect_b32 s12, s13, s3
	v_mov_b32_e32 v129, s40
	s_ashr_i32 s13, s12, 31
	v_lshl_or_b32 v21, v148, 9, v22
	s_lshl_b64 s[12:13], s[12:13], 2
	s_delay_alu instid0(SALU_CYCLE_1) | instskip(SKIP_2) | instid1(SALU_CYCLE_1)
	s_add_u32 s12, s4, s12
	s_addc_u32 s13, s36, s13
	s_or_b32 s15, s34, 32
	s_ashr_i32 s16, s15, 4
	s_cmp_lt_i32 s15, s33
	s_cselect_b32 s16, s16, s3
	s_delay_alu instid0(SALU_CYCLE_1) | instskip(NEXT) | instid1(SALU_CYCLE_1)
	s_ashr_i32 s17, s16, 31
	s_lshl_b64 s[16:17], s[16:17], 2
	s_delay_alu instid0(SALU_CYCLE_1) | instskip(SKIP_2) | instid1(SALU_CYCLE_1)
	s_add_u32 s16, s4, s16
	s_addc_u32 s17, s36, s17
	s_or_b32 s15, s34, 48
	s_ashr_i32 s18, s15, 4
	s_cmp_lt_i32 s15, s33
	s_cselect_b32 s18, s18, s3
	s_delay_alu instid0(SALU_CYCLE_1) | instskip(NEXT) | instid1(SALU_CYCLE_1)
	s_ashr_i32 s19, s18, 31
	s_lshl_b64 s[18:19], s[18:19], 2
	s_delay_alu instid0(SALU_CYCLE_1) | instskip(SKIP_2) | instid1(SALU_CYCLE_1)
	s_add_u32 s18, s4, s18
	s_addc_u32 s19, s36, s19
	s_or_b32 s15, s34, 64
	s_ashr_i32 s20, s15, 4
	s_cmp_lt_i32 s15, s33
	s_cselect_b32 s20, s20, s3
	s_delay_alu instid0(SALU_CYCLE_1) | instskip(NEXT) | instid1(SALU_CYCLE_1)
	s_ashr_i32 s21, s20, 31
	s_lshl_b64 s[20:21], s[20:21], 2
	s_delay_alu instid0(SALU_CYCLE_1) | instskip(SKIP_2) | instid1(SALU_CYCLE_1)
	s_add_u32 s20, s4, s20
	s_addc_u32 s21, s36, s21
	s_or_b32 s15, s34, 0x50
	s_ashr_i32 s22, s15, 4
	s_cmp_lt_i32 s15, s33
	s_cselect_b32 s22, s22, s3
	s_delay_alu instid0(SALU_CYCLE_1) | instskip(NEXT) | instid1(SALU_CYCLE_1)
	s_ashr_i32 s23, s22, 31
	s_lshl_b64 s[22:23], s[22:23], 2
	s_delay_alu instid0(SALU_CYCLE_1)
	s_add_u32 s22, s4, s22
	s_addc_u32 s23, s36, s23
	s_clause 0x5
	s_load_b32 s8, s[8:9], 0x0
	s_load_b32 s12, s[12:13], 0x0
	;; [unrolled: 1-line block ×6, first 2 shown]
	s_waitcnt lgkmcnt(0)
	s_mul_hi_i32 s17, s16, s5
	s_mul_i32 s16, s16, s5
	s_waitcnt vmcnt(1)
	v_mad_i64_i32 v[1:2], null, v5, s5, 0
	v_and_b32_e32 v5, 0xf0, v3
	s_waitcnt vmcnt(0)
	v_mad_i64_i32 v[3:4], null, v6, s5, 0
	s_delay_alu instid0(VALU_DEP_2) | instskip(NEXT) | instid1(VALU_DEP_4)
	v_add_co_u32 v5, s9, s24, v5
	v_lshlrev_b64 v[1:2], 1, v[1:2]
	v_add_co_ci_u32_e64 v6, null, s25, 0, s9
	s_delay_alu instid0(VALU_DEP_4) | instskip(SKIP_1) | instid1(VALU_DEP_3)
	v_lshlrev_b64 v[3:4], 1, v[3:4]
	s_or_b32 s9, s34, 0x60
	v_add_co_u32 v17, vcc_lo, v5, v1
	s_delay_alu instid0(VALU_DEP_3) | instskip(NEXT) | instid1(VALU_DEP_3)
	v_add_co_ci_u32_e32 v18, vcc_lo, v6, v2, vcc_lo
	v_add_co_u32 v19, vcc_lo, v5, v3
	s_delay_alu instid0(VALU_DEP_4)
	v_add_co_ci_u32_e32 v20, vcc_lo, v6, v4, vcc_lo
	s_clause 0xb
	global_load_b128 v[1:4], v[17:18], off
	global_load_b128 v[5:8], v[17:18], off offset:256
	global_load_b128 v[137:140], v[19:20], off
	global_load_b128 v[141:144], v[19:20], off offset:256
	global_load_b128 v[33:36], v[17:18], off offset:512
	;; [unrolled: 1-line block ×9, first 2 shown]
	ds_load_b128 v[159:162], v197
	ds_load_b128 v[163:166], v197 offset:1024
	s_clause 0x3
	global_load_b128 v[167:170], v[17:18], off offset:1536
	global_load_b128 v[171:174], v[17:18], off offset:1792
	global_load_b128 v[175:178], v[19:20], off offset:1536
	global_load_b128 v[179:182], v[19:20], off offset:1792
	s_ashr_i32 s13, s9, 4
	s_cmp_lt_i32 s9, s33
	s_cselect_b32 s22, s13, s3
	s_delay_alu instid0(SALU_CYCLE_1) | instskip(NEXT) | instid1(SALU_CYCLE_1)
	s_ashr_i32 s23, s22, 31
	s_lshl_b64 s[22:23], s[22:23], 2
	s_delay_alu instid0(SALU_CYCLE_1) | instskip(SKIP_2) | instid1(SALU_CYCLE_1)
	s_add_u32 s22, s4, s22
	s_addc_u32 s23, s36, s23
	s_or_b32 s9, s34, 0x70
	s_ashr_i32 s13, s9, 4
	s_cmp_lt_i32 s9, s33
	s_cselect_b32 s24, s13, s3
	s_delay_alu instid0(SALU_CYCLE_1) | instskip(NEXT) | instid1(SALU_CYCLE_1)
	s_ashr_i32 s25, s24, 31
	s_lshl_b64 s[24:25], s[24:25], 2
	s_delay_alu instid0(SALU_CYCLE_1)
	s_add_u32 s24, s4, s24
	s_addc_u32 s25, s36, s25
	s_or_b32 s9, s34, 0x80
	s_load_b32 s46, s[24:25], 0x0
	s_ashr_i32 s13, s9, 4
	s_cmp_lt_i32 s9, s33
	s_cselect_b32 s26, s13, s3
	s_delay_alu instid0(SALU_CYCLE_1) | instskip(NEXT) | instid1(SALU_CYCLE_1)
	s_ashr_i32 s27, s26, 31
	s_lshl_b64 s[26:27], s[26:27], 2
	s_delay_alu instid0(SALU_CYCLE_1)
	s_add_u32 s26, s4, s26
	s_addc_u32 s27, s36, s27
	s_or_b32 s9, s34, 0x90
	s_load_b32 s47, s[26:27], 0x0
	s_ashr_i32 s13, s9, 4
	s_cmp_lt_i32 s9, s33
	s_cselect_b32 s28, s13, s3
	s_delay_alu instid0(SALU_CYCLE_1) | instskip(NEXT) | instid1(SALU_CYCLE_1)
	s_ashr_i32 s29, s28, 31
	s_lshl_b64 s[28:29], s[28:29], 2
	s_delay_alu instid0(SALU_CYCLE_1) | instskip(SKIP_2) | instid1(SALU_CYCLE_1)
	s_add_u32 s28, s4, s28
	s_addc_u32 s29, s36, s29
	s_or_b32 s9, s34, 0xa0
	s_ashr_i32 s13, s9, 4
	s_cmp_lt_i32 s9, s33
	s_cselect_b32 s38, s13, s3
	s_delay_alu instid0(SALU_CYCLE_1) | instskip(NEXT) | instid1(SALU_CYCLE_1)
	s_ashr_i32 s39, s38, 31
	s_lshl_b64 s[38:39], s[38:39], 2
	s_delay_alu instid0(SALU_CYCLE_1)
	s_add_u32 s38, s4, s38
	s_addc_u32 s39, s36, s39
	s_or_b32 s9, s34, 0xb0
	s_load_b32 s39, s[38:39], 0x0
	s_ashr_i32 s13, s9, 4
	s_cmp_lt_i32 s9, s33
	s_mul_hi_i32 s9, s8, s5
	s_cselect_b32 s40, s13, s3
	s_mul_i32 s8, s8, s5
	s_ashr_i32 s41, s40, 31
	s_mul_hi_i32 s13, s12, s5
	s_lshl_b64 s[40:41], s[40:41], 2
	s_mul_i32 s12, s12, s5
	s_add_u32 s42, s4, s40
	s_addc_u32 s43, s36, s41
	s_or_b32 s19, s34, 0xc0
	s_delay_alu instid0(SALU_CYCLE_1)
	s_ashr_i32 s21, s19, 4
	s_cmp_lt_i32 s19, s33
	s_mul_hi_i32 s19, s18, s5
	s_cselect_b32 s40, s21, s3
	s_mul_i32 s18, s18, s5
	s_ashr_i32 s41, s40, 31
	s_mul_hi_i32 s21, s20, s5
	s_lshl_b64 s[40:41], s[40:41], 2
	s_mul_i32 s20, s20, s5
	s_add_u32 s44, s4, s40
	s_load_b32 s40, s[28:29], 0x0
	s_addc_u32 s45, s36, s41
	s_or_b32 s37, s34, 0xd0
	s_load_b32 s41, s[22:23], 0x0
	s_ashr_i32 s22, s37, 4
	s_cmp_lt_i32 s37, s33
	s_mul_hi_i32 s23, s15, s5
	s_cselect_b32 s24, s22, s3
	s_mul_i32 s22, s15, s5
	s_ashr_i32 s25, s24, 31
	s_waitcnt lgkmcnt(0)
	s_mul_hi_i32 s27, s46, s5
	s_lshl_b64 s[24:25], s[24:25], 2
	s_mul_i32 s26, s46, s5
	s_add_u32 s24, s4, s24
	s_addc_u32 s25, s36, s25
	s_or_b32 s48, s34, 0xe0
	s_clause 0x2
	s_load_b32 s38, s[42:43], 0x0
	s_load_b32 s37, s[44:45], 0x0
	;; [unrolled: 1-line block ×3, first 2 shown]
	s_ashr_i32 s49, s48, 4
	s_cmp_lt_i32 s48, s33
	s_mul_hi_i32 s29, s47, s5
	s_cselect_b32 s42, s49, s3
	s_mul_i32 s28, s47, s5
	s_ashr_i32 s43, s42, 31
	s_mul_hi_i32 s25, s41, s5
	s_lshl_b64 s[42:43], s[42:43], 2
	s_mul_i32 s24, s41, s5
	s_add_u32 s42, s4, s42
	s_addc_u32 s43, s36, s43
	s_or_b32 s46, s34, 0xf0
	s_mul_hi_i32 s41, s40, s5
	s_ashr_i32 s47, s46, 4
	s_cmp_lt_i32 s46, s33
	s_mul_i32 s40, s40, s5
	s_cselect_b32 s46, s47, s3
	s_mul_hi_i32 s45, s39, s5
	s_ashr_i32 s47, s46, 31
	s_mul_i32 s44, s39, s5
	s_lshl_b64 s[46:47], s[46:47], 2
	s_waitcnt lgkmcnt(0)
	s_mul_hi_i32 s39, s38, s5
	s_add_u32 s46, s4, s46
	s_addc_u32 s47, s36, s47
	s_add_u32 s3, s10, s6
	s_addc_u32 s4, s11, s7
	v_add_co_u32 v195, s3, s3, v21
	s_delay_alu instid0(VALU_DEP_1) | instskip(SKIP_2) | instid1(VALU_DEP_2)
	v_add_co_ci_u32_e64 v196, null, s4, 0, s3
	s_lshl_b64 s[6:7], s[8:9], 1
	s_lshl_b64 s[8:9], s[12:13], 1
	v_add_co_u32 v17, vcc_lo, v195, s6
	s_delay_alu instid0(VALU_DEP_2)
	v_add_co_ci_u32_e32 v18, vcc_lo, s7, v196, vcc_lo
	v_add_co_u32 v19, vcc_lo, v195, s8
	s_lshl_b64 s[10:11], s[16:17], 1
	v_add_co_ci_u32_e32 v20, vcc_lo, s9, v196, vcc_lo
	v_add_co_u32 v21, vcc_lo, v195, s10
	s_lshl_b64 s[12:13], s[18:19], 1
	;; [unrolled: 3-line block ×9, first 2 shown]
	s_mul_i32 s38, s38, s5
	v_add_co_ci_u32_e32 v54, vcc_lo, s27, v196, vcc_lo
	v_add_co_u32 v183, vcc_lo, v195, s28
	s_mul_hi_i32 s49, s37, s5
	s_mul_i32 s48, s37, s5
	s_lshl_b64 s[36:37], s[38:39], 1
	v_add_co_ci_u32_e32 v184, vcc_lo, s29, v196, vcc_lo
	v_add_co_u32 v185, vcc_lo, v195, s36
	s_lshl_b64 s[38:39], s[48:49], 1
	s_clause 0x1
	s_load_b32 s3, s[42:43], 0x0
	s_load_b32 s4, s[46:47], 0x0
	v_add_co_ci_u32_e32 v186, vcc_lo, s37, v196, vcc_lo
	v_add_co_u32 v191, vcc_lo, v195, s38
	v_add_co_ci_u32_e32 v192, vcc_lo, s39, v196, vcc_lo
	s_clause 0x17
	global_load_b128 v[121:124], v[17:18], off
	global_load_b128 v[125:128], v[17:18], off offset:16
	global_load_b128 v[113:116], v[19:20], off
	global_load_b128 v[117:120], v[19:20], off offset:16
	;; [unrolled: 2-line block ×12, first 2 shown]
	s_mul_hi_i32 s51, s15, s5
	s_mul_i32 s50, s15, s5
	s_delay_alu instid0(SALU_CYCLE_1) | instskip(NEXT) | instid1(SALU_CYCLE_1)
	s_lshl_b64 s[40:41], s[50:51], 1
	v_add_co_u32 v193, vcc_lo, v195, s40
	v_add_co_ci_u32_e32 v194, vcc_lo, s41, v196, vcc_lo
	s_waitcnt lgkmcnt(0)
	s_mul_hi_i32 s7, s3, s5
	s_mul_i32 s6, s3, s5
	s_mul_hi_i32 s9, s4, s5
	s_lshl_b64 s[6:7], s[6:7], 1
	s_mul_i32 s8, s4, s5
	s_delay_alu instid0(SALU_CYCLE_1)
	s_lshl_b64 s[4:5], s[8:9], 1
	s_waitcnt vmcnt(38)
	v_wmma_f32_16x16x16_bf16 v[183:190], v[1:8], v[159:166], v[129:136]
	s_waitcnt vmcnt(36)
	v_wmma_f32_16x16x16_bf16 v[129:136], v[137:144], v[159:166], v[129:136]
	s_clause 0x1
	global_load_b128 v[1:4], v[191:192], off
	global_load_b128 v[5:8], v[191:192], off offset:16
	ds_load_b128 v[137:140], v197 offset:2048
	ds_load_b128 v[141:144], v197 offset:3072
	;; [unrolled: 1-line block ×4, first 2 shown]
	v_add_co_u32 v191, vcc_lo, v195, s6
	v_add_co_ci_u32_e32 v192, vcc_lo, s7, v196, vcc_lo
	v_add_co_u32 v195, vcc_lo, v195, s4
	v_add_co_ci_u32_e32 v196, vcc_lo, s5, v196, vcc_lo
	s_waitcnt vmcnt(36) lgkmcnt(2)
	v_wmma_f32_16x16x16_bf16 v[183:190], v[33:40], v[137:144], v[183:190]
	s_waitcnt vmcnt(34)
	v_wmma_f32_16x16x16_bf16 v[129:136], v[25:32], v[137:144], v[129:136]
	s_clause 0x3
	global_load_b128 v[25:28], v[193:194], off
	global_load_b128 v[29:32], v[193:194], off offset:16
	global_load_b128 v[33:36], v[191:192], off
	global_load_b128 v[37:40], v[191:192], off offset:16
	v_and_b32_e32 v137, 0xe0, v0
	v_mbcnt_lo_u32_b32 v191, -1, 0
	s_waitcnt vmcnt(36) lgkmcnt(0)
	v_wmma_f32_16x16x16_bf16 v[183:190], v[9:16], v[159:166], v[183:190]
	s_clause 0x1
	global_load_b128 v[9:12], v[195:196], off
	global_load_b128 v[13:16], v[195:196], off offset:16
	s_waitcnt vmcnt(36)
	v_wmma_f32_16x16x16_bf16 v[129:136], v[151:158], v[159:166], v[129:136]
	v_add_nc_u32_e32 v192, s34, v137
	ds_load_b128 v[137:140], v197 offset:6144
	ds_load_b128 v[141:144], v197 offset:7168
	v_xor_b32_e32 v151, 16, v191
	s_waitcnt vmcnt(0) lgkmcnt(0)
	s_barrier
	v_or_b32_e32 v152, v192, v147
	buffer_gl0_inv
	v_cmp_gt_i32_e32 vcc_lo, 32, v151
	v_or_b32_e32 v153, 2, v152
	v_or_b32_e32 v154, 4, v152
	;; [unrolled: 1-line block ×5, first 2 shown]
	v_cmp_gt_i32_e64 s3, s33, v153
	v_cmp_gt_i32_e64 s4, s33, v154
	;; [unrolled: 1-line block ×3, first 2 shown]
	v_or_b32_e32 v158, 12, v152
	v_or_b32_e32 v159, 14, v152
	v_cmp_gt_i32_e64 s6, s33, v156
	v_wmma_f32_16x16x16_bf16 v[183:190], v[167:174], v[137:144], v[183:190]
	v_wmma_f32_16x16x16_bf16 v[129:136], v[175:182], v[137:144], v[129:136]
	v_cndmask_b32_e32 v151, v191, v151, vcc_lo
	v_cmp_gt_i32_e32 vcc_lo, s33, v152
	v_cmp_gt_i32_e64 s7, s33, v157
	v_dual_mul_f32 v143, s35, v184 :: v_dual_mul_f32 v144, s35, v183
	v_dual_mul_f32 v141, s35, v186 :: v_dual_mul_f32 v142, s35, v185
	;; [unrolled: 1-line block ×3, first 2 shown]
	s_delay_alu instid0(VALU_DEP_3) | instskip(NEXT) | instid1(VALU_DEP_4)
	v_cndmask_b32_e32 v144, 0xff7fffff, v144, vcc_lo
	v_cndmask_b32_e64 v143, 0xff7fffff, v143, s3
	v_mul_f32_e32 v140, s35, v187
	v_cndmask_b32_e64 v142, 0xff7fffff, v142, s4
	v_cndmask_b32_e64 v141, 0xff7fffff, v141, s5
	v_or_b32_e32 v160, 16, v152
	v_max3_f32 v143, v144, 0xff7fffff, v143
	v_or_b32_e32 v161, 18, v152
	v_mul_f32_e32 v138, s35, v189
	v_dual_mul_f32 v172, s35, v132 :: v_dual_mul_f32 v137, s35, v190
	v_lshlrev_b32_e32 v154, 2, v151
	v_cndmask_b32_e64 v140, 0xff7fffff, v140, s6
	v_cndmask_b32_e64 v139, 0xff7fffff, v139, s7
	v_max3_f32 v141, v143, v142, v141
	v_cmp_gt_i32_e64 s8, s33, v158
	v_cmp_gt_i32_e64 s9, s33, v159
	v_or_b32_e32 v162, 20, v152
	v_or_b32_e32 v163, 22, v152
	v_mul_f32_e32 v175, s35, v129
	v_cndmask_b32_e64 v138, 0xff7fffff, v138, s8
	v_cndmask_b32_e64 v137, 0xff7fffff, v137, s9
	v_max3_f32 v139, v141, v140, v139
	v_cmp_gt_i32_e64 s10, s33, v160
	v_cmp_gt_i32_e64 s11, s33, v161
	v_or_b32_e32 v164, 24, v152
	v_or_b32_e32 v165, 26, v152
	v_mul_f32_e32 v173, s35, v131
	v_cndmask_b32_e64 v140, 0xff7fffff, v175, s10
	v_cndmask_b32_e64 v141, 0xff7fffff, v174, s11
	v_max3_f32 v137, v139, v138, v137
	v_cmp_gt_i32_e64 s12, s33, v162
	v_cmp_gt_i32_e64 s13, s33, v163
	v_or_b32_e32 v166, 28, v152
	v_or_b32_e32 v167, 30, v152
	v_dual_mul_f32 v170, s35, v134 :: v_dual_mul_f32 v171, s35, v133
	v_cndmask_b32_e64 v138, 0xff7fffff, v173, s12
	v_cndmask_b32_e64 v139, 0xff7fffff, v172, s13
	v_max3_f32 v137, v137, v140, v141
	v_cmp_gt_i32_e64 s15, s33, v164
	v_cmp_gt_i32_e64 s16, s33, v165
	v_dual_mul_f32 v168, s35, v136 :: v_dual_mul_f32 v169, s35, v135
	s_delay_alu instid0(VALU_DEP_4) | instskip(NEXT) | instid1(VALU_DEP_4)
	v_max3_f32 v137, v137, v138, v139
	v_cndmask_b32_e64 v140, 0xff7fffff, v171, s15
	s_delay_alu instid0(VALU_DEP_4) | instskip(SKIP_2) | instid1(VALU_DEP_3)
	v_cndmask_b32_e64 v141, 0xff7fffff, v170, s16
	v_cmp_gt_i32_e64 s17, s33, v166
	v_cmp_gt_i32_e64 s18, s33, v167
	v_max3_f32 v137, v137, v140, v141
	s_delay_alu instid0(VALU_DEP_3) | instskip(NEXT) | instid1(VALU_DEP_3)
	v_cndmask_b32_e64 v138, 0xff7fffff, v169, s17
	v_cndmask_b32_e64 v139, 0xff7fffff, v168, s18
	s_delay_alu instid0(VALU_DEP_1) | instskip(SKIP_3) | instid1(VALU_DEP_1)
	v_max3_f32 v137, v137, v138, v139
	ds_bpermute_b32 v138, v154, v137
	s_waitcnt lgkmcnt(0)
	v_max_f32_e32 v138, v138, v138
	v_max_f32_e32 v139, v137, v138
	s_delay_alu instid0(VALU_DEP_1) | instskip(SKIP_4) | instid1(VALU_DEP_4)
	v_fma_f32 v141, s35, v186, -v139
	v_fma_f32 v130, s35, v130, -v139
	;; [unrolled: 1-line block ×5, first 2 shown]
	v_dual_mul_f32 v141, 0x3fb8aa3b, v141 :: v_dual_mul_f32 v130, 0x3fb8aa3b, v130
	v_fma_f32 v142, s35, v187, -v139
	s_delay_alu instid0(VALU_DEP_4) | instskip(NEXT) | instid1(VALU_DEP_4)
	v_mul_f32_e32 v138, 0x3fb8aa3b, v138
	v_mul_f32_e32 v140, 0x3fb8aa3b, v140
	s_delay_alu instid0(VALU_DEP_4)
	v_exp_f32_e32 v144, v141
	v_fma_f32 v151, s35, v189, -v139
	v_mul_f32_e32 v142, 0x3fb8aa3b, v142
	v_exp_f32_e32 v138, v138
	v_exp_f32_e32 v143, v140
	v_fma_f32 v132, s35, v132, -v139
	v_mul_f32_e32 v151, 0x3fb8aa3b, v151
	v_exp_f32_e32 v152, v142
	v_fma_f32 v129, s35, v129, -v139
	v_fma_f32 v134, s35, v134, -v139
	v_cndmask_b32_e64 v144, 0, v144, s5
	v_dual_mul_f32 v137, 0x3fb8aa3b, v137 :: v_dual_mul_f32 v132, 0x3fb8aa3b, v132
	s_delay_alu instid0(TRANS32_DEP_3) | instskip(NEXT) | instid1(TRANS32_DEP_2)
	v_cndmask_b32_e64 v141, 0, v138, s3
	v_cndmask_b32_e64 v142, 0, v143, s4
	v_fma_f32 v143, s35, v190, -v139
	s_delay_alu instid0(VALU_DEP_4)
	v_exp_f32_e32 v137, v137
	v_exp_f32_e32 v153, v151
	v_cndmask_b32_e64 v151, 0, v152, s6
	v_mul_f32_e32 v129, 0x3fb8aa3b, v129
	v_dual_mul_f32 v143, 0x3fb8aa3b, v143 :: v_dual_mul_f32 v134, 0x3fb8aa3b, v134
	v_fma_f32 v131, s35, v131, -v139
	v_exp_f32_e32 v130, v130
	s_delay_alu instid0(VALU_DEP_3) | instskip(NEXT) | instid1(VALU_DEP_2)
	v_exp_f32_e32 v129, v129
	v_exp_f32_e32 v155, v143
	v_cndmask_b32_e32 v140, 0, v137, vcc_lo
	v_fma_f32 v137, s35, v188, -v139
	v_cndmask_b32_e64 v143, 0, v153, s8
	v_mul_f32_e32 v131, 0x3fb8aa3b, v131
	v_fma_f32 v133, s35, v133, -v139
	s_delay_alu instid0(VALU_DEP_4) | instskip(SKIP_2) | instid1(TRANS32_DEP_1)
	v_dual_add_f32 v138, 0, v140 :: v_dual_mul_f32 v137, 0x3fb8aa3b, v137
	v_fma_f32 v136, s35, v136, -v139
	s_mov_b32 s3, exec_lo
	v_cndmask_b32_e64 v153, 0, v155, s9
	s_delay_alu instid0(VALU_DEP_3) | instskip(SKIP_1) | instid1(VALU_DEP_1)
	v_add_f32_e32 v138, v138, v141
	v_exp_f32_e32 v137, v137
	v_dual_mul_f32 v133, 0x3fb8aa3b, v133 :: v_dual_add_f32 v138, v138, v142
	s_delay_alu instid0(VALU_DEP_1)
	v_add_f32_e32 v138, v138, v144
	s_waitcnt_depctr 0xfff
	v_cndmask_b32_e64 v152, 0, v137, s7
	v_add_f32_e32 v137, v138, v151
	v_exp_f32_e32 v138, v131
	v_cndmask_b32_e64 v131, 0, v129, s10
	s_delay_alu instid0(VALU_DEP_2) | instskip(NEXT) | instid1(VALU_DEP_1)
	v_add_f32_e32 v137, v137, v152
	v_add_f32_e32 v137, v137, v143
	s_delay_alu instid0(VALU_DEP_1)
	v_add_f32_e32 v129, v137, v153
	v_exp_f32_e32 v137, v132
	v_cndmask_b32_e64 v132, 0, v130, s11
	v_fma_f32 v130, s35, v135, -v139
	v_exp_f32_e32 v135, v133
	v_add_f32_e32 v129, v129, v131
	v_cndmask_b32_e64 v133, 0, v138, s12
	v_exp_f32_e32 v138, v134
	s_delay_alu instid0(VALU_DEP_2) | instskip(NEXT) | instid1(TRANS32_DEP_3)
	v_dual_mul_f32 v130, 0x3fb8aa3b, v130 :: v_dual_add_f32 v129, v129, v132
	v_cndmask_b32_e64 v134, 0, v137, s13
	v_mul_f32_e32 v137, 0x3fb8aa3b, v136
	s_delay_alu instid0(VALU_DEP_3) | instskip(NEXT) | instid1(TRANS32_DEP_3)
	v_exp_f32_e32 v130, v130
	v_cndmask_b32_e64 v135, 0, v135, s15
	v_add_f32_e32 v129, v129, v133
	s_delay_alu instid0(TRANS32_DEP_2) | instskip(SKIP_1) | instid1(VALU_DEP_2)
	v_cndmask_b32_e64 v136, 0, v138, s16
	v_exp_f32_e32 v138, v137
	v_add_f32_e32 v129, v129, v134
	s_waitcnt_depctr 0xfff
	v_cndmask_b32_e64 v137, 0, v130, s17
	v_add_f32_e32 v129, v129, v135
	v_cndmask_b32_e64 v138, 0, v138, s18
	s_delay_alu instid0(VALU_DEP_2) | instskip(NEXT) | instid1(VALU_DEP_1)
	v_add_f32_e32 v129, v129, v136
	v_add_f32_e32 v129, v129, v137
	s_delay_alu instid0(VALU_DEP_1)
	v_add_f32_e32 v129, v129, v138
	ds_bpermute_b32 v130, v154, v129
	v_cmpx_gt_u32_e32 16, v150
	s_cbranch_execz .LBB429_12
; %bb.11:
	v_mul_u32_u24_e32 v150, 0x44, v148
	s_waitcnt lgkmcnt(0)
	v_add_f32_e32 v129, v129, v130
	s_delay_alu instid0(VALU_DEP_2) | instskip(NEXT) | instid1(VALU_DEP_1)
	v_lshl_add_u32 v150, v149, 2, v150
	v_add_nc_u32_e32 v130, 0x4000, v150
	ds_store_2addr_b32 v130, v139, v129 offset1:136
.LBB429_12:
	s_or_b32 exec_lo, exec_lo, s3
	v_lshlrev_b32_e32 v129, 2, v149
	s_waitcnt lgkmcnt(0)
	s_barrier
	buffer_gl0_inv
	v_cmp_eq_u32_e64 s3, 1, v148
	v_add_nc_u32_e32 v139, 0x4000, v129
	ds_load_2addr_b32 v[154:155], v139 offset1:17
	ds_load_2addr_b32 v[156:157], v139 offset0:34 offset1:51
	ds_load_2addr_b32 v[158:159], v139 offset0:68 offset1:85
	;; [unrolled: 1-line block ×4, first 2 shown]
	s_waitcnt lgkmcnt(4)
	v_max3_f32 v129, v154, 0xff7fffff, v155
	s_waitcnt lgkmcnt(3)
	s_delay_alu instid0(VALU_DEP_1) | instskip(SKIP_1) | instid1(VALU_DEP_1)
	v_max3_f32 v129, v129, v156, v157
	s_waitcnt lgkmcnt(2)
	v_max3_f32 v129, v129, v158, v159
	s_waitcnt lgkmcnt(1)
	s_delay_alu instid0(VALU_DEP_1) | instskip(NEXT) | instid1(VALU_DEP_1)
	v_max3_f32 v129, v129, v160, v161
	v_sub_f32_e32 v156, v156, v129
	v_sub_f32_e32 v130, v154, v129
	;; [unrolled: 1-line block ×3, first 2 shown]
	s_delay_alu instid0(VALU_DEP_3) | instskip(NEXT) | instid1(VALU_DEP_3)
	v_dual_sub_f32 v150, v155, v129 :: v_dual_mul_f32 v165, 0x3fb8aa3b, v156
	v_mul_f32_e32 v130, 0x3fb8aa3b, v130
	s_delay_alu instid0(VALU_DEP_3) | instskip(NEXT) | instid1(VALU_DEP_3)
	v_mul_f32_e32 v167, 0x3fb8aa3b, v158
	v_mul_f32_e32 v150, 0x3fb8aa3b, v150
	s_delay_alu instid0(VALU_DEP_4) | instskip(NEXT) | instid1(VALU_DEP_3)
	v_exp_f32_e32 v165, v165
	v_exp_f32_e32 v164, v130
	v_sub_f32_e32 v130, v157, v129
	s_delay_alu instid0(VALU_DEP_2) | instskip(NEXT) | instid1(VALU_DEP_1)
	v_exp_f32_e32 v150, v150
	v_mul_f32_e32 v166, 0x3fb8aa3b, v130
	s_waitcnt lgkmcnt(0)
	s_waitcnt_depctr 0xfff
	v_fma_f32 v130, v164, v162, 0
	v_sub_f32_e32 v162, v159, v129
	v_exp_f32_e32 v166, v166
	s_delay_alu instid0(VALU_DEP_2)
	v_fmac_f32_e32 v130, v150, v163
	ds_load_2addr_b32 v[154:155], v139 offset0:170 offset1:187
	ds_load_2addr_b32 v[156:157], v139 offset0:204 offset1:221
	;; [unrolled: 1-line block ×3, first 2 shown]
	v_dual_sub_f32 v139, v160, v129 :: v_dual_mul_f32 v160, 0x3fb8aa3b, v162
	v_exp_f32_e32 v162, v167
	v_cndmask_b32_e64 v150, v164, v150, s3
	v_cmp_eq_u32_e64 s3, 2, v148
	s_delay_alu instid0(VALU_DEP_3)
	v_mul_f32_e32 v139, 0x3fb8aa3b, v139
	v_exp_f32_e32 v160, v160
	s_waitcnt lgkmcnt(0)
	s_barrier
	v_cndmask_b32_e64 v150, v150, v165, s3
	v_exp_f32_e32 v139, v139
	v_cmp_eq_u32_e64 s3, 3, v148
	buffer_gl0_inv
	v_cndmask_b32_e64 v150, v150, v166, s3
	v_fmac_f32_e32 v130, v165, v154
	v_sub_f32_e32 v154, v161, v129
	v_cmp_eq_u32_e64 s3, 4, v148
	s_delay_alu instid0(VALU_DEP_2) | instskip(NEXT) | instid1(VALU_DEP_2)
	v_mul_f32_e32 v154, 0x3fb8aa3b, v154
	v_cndmask_b32_e64 v150, v150, v162, s3
	v_cmp_eq_u32_e64 s3, 5, v148
	s_delay_alu instid0(VALU_DEP_3) | instskip(SKIP_1) | instid1(VALU_DEP_2)
	v_exp_f32_e32 v154, v154
	v_fmac_f32_e32 v130, v166, v155
	v_cndmask_b32_e64 v150, v150, v160, s3
	s_mov_b32 s3, exec_lo
	s_delay_alu instid0(VALU_DEP_2) | instskip(NEXT) | instid1(VALU_DEP_1)
	v_fmac_f32_e32 v130, v162, v156
	v_fmac_f32_e32 v130, v160, v157
	s_delay_alu instid0(VALU_DEP_1) | instskip(SKIP_2) | instid1(VALU_DEP_1)
	v_fmac_f32_e32 v130, v139, v158
	s_waitcnt_depctr 0xfff
	v_fmac_f32_e32 v130, v154, v159
	v_add_f32_e32 v155, 0x358637bd, v130
	s_delay_alu instid0(VALU_DEP_1) | instskip(SKIP_1) | instid1(VALU_DEP_2)
	v_div_scale_f32 v156, null, v155, v155, 1.0
	v_div_scale_f32 v159, vcc_lo, 1.0, v155, 1.0
	v_rcp_f32_e32 v157, v156
	s_waitcnt_depctr 0xfff
	v_fma_f32 v158, -v156, v157, 1.0
	s_delay_alu instid0(VALU_DEP_1) | instskip(NEXT) | instid1(VALU_DEP_1)
	v_fmac_f32_e32 v157, v158, v157
	v_mul_f32_e32 v158, v159, v157
	s_delay_alu instid0(VALU_DEP_1) | instskip(NEXT) | instid1(VALU_DEP_1)
	v_fma_f32 v161, -v156, v158, v159
	v_fmac_f32_e32 v158, v161, v157
	s_delay_alu instid0(VALU_DEP_1) | instskip(NEXT) | instid1(VALU_DEP_1)
	v_fma_f32 v156, -v156, v158, v159
	v_div_fmas_f32 v156, v156, v157, v158
	v_cmp_eq_u32_e32 vcc_lo, 6, v148
	v_cndmask_b32_e32 v139, v150, v139, vcc_lo
	v_cmp_eq_u32_e32 vcc_lo, 7, v148
	s_delay_alu instid0(VALU_DEP_4) | instskip(NEXT) | instid1(VALU_DEP_3)
	v_div_fixup_f32 v150, v156, v155, 1.0
	v_cndmask_b32_e32 v139, v139, v154, vcc_lo
	s_delay_alu instid0(VALU_DEP_1) | instskip(NEXT) | instid1(VALU_DEP_1)
	v_mul_f32_e32 v139, v139, v150
	v_mul_f32_e32 v154, v139, v140
	;; [unrolled: 1-line block ×7, first 2 shown]
	v_and_b32_e32 v155, 0x7f800000, v154
	v_mul_f32_e32 v153, v139, v144
	v_mul_f32_e32 v144, v139, v141
                                        ; implicit-def: $vgpr141
	s_delay_alu instid0(VALU_DEP_3)
	v_cmpx_ne_u32_e32 0x7f800000, v155
	s_xor_b32 s3, exec_lo, s3
; %bb.13:
	v_bfe_u32 v141, v154, 16, 1
	s_delay_alu instid0(VALU_DEP_1)
	v_add3_u32 v141, v154, v141, 0x7fff
                                        ; implicit-def: $vgpr154
; %bb.14:
	s_and_not1_saveexec_b32 s3, s3
; %bb.15:
	v_and_b32_e32 v141, 0xffff, v154
	v_or_b32_e32 v142, 0x10000, v154
	s_delay_alu instid0(VALU_DEP_2) | instskip(NEXT) | instid1(VALU_DEP_2)
	v_cmp_eq_u32_e32 vcc_lo, 0, v141
	v_cndmask_b32_e32 v141, v142, v154, vcc_lo
; %bb.16:
	s_or_b32 exec_lo, exec_lo, s3
	v_and_b32_e32 v142, 0x7f800000, v144
	s_delay_alu instid0(VALU_DEP_1) | instskip(SKIP_1) | instid1(SALU_CYCLE_1)
	v_cmp_ne_u32_e32 vcc_lo, 0x7f800000, v142
                                        ; implicit-def: $vgpr142
	s_and_saveexec_b32 s3, vcc_lo
	s_xor_b32 s3, exec_lo, s3
; %bb.17:
	v_bfe_u32 v142, v144, 16, 1
	s_delay_alu instid0(VALU_DEP_1)
	v_add3_u32 v142, v144, v142, 0x7fff
                                        ; implicit-def: $vgpr144
; %bb.18:
	s_and_not1_saveexec_b32 s3, s3
; %bb.19:
	v_and_b32_e32 v142, 0xffff, v144
	v_or_b32_e32 v154, 0x10000, v144
	s_delay_alu instid0(VALU_DEP_2) | instskip(NEXT) | instid1(VALU_DEP_2)
	v_cmp_eq_u32_e32 vcc_lo, 0, v142
	v_cndmask_b32_e32 v142, v154, v144, vcc_lo
; %bb.20:
	s_or_b32 exec_lo, exec_lo, s3
	v_and_b32_e32 v144, 0x7f800000, v151
	s_delay_alu instid0(VALU_DEP_1) | instskip(SKIP_1) | instid1(SALU_CYCLE_1)
	v_cmp_ne_u32_e32 vcc_lo, 0x7f800000, v144
                                        ; implicit-def: $vgpr144
	s_and_saveexec_b32 s3, vcc_lo
	s_xor_b32 s3, exec_lo, s3
; %bb.21:
	v_bfe_u32 v144, v151, 16, 1
	s_delay_alu instid0(VALU_DEP_1)
	v_add3_u32 v144, v151, v144, 0x7fff
                                        ; implicit-def: $vgpr151
; %bb.22:
	s_and_not1_saveexec_b32 s3, s3
; %bb.23:
	v_and_b32_e32 v144, 0xffff, v151
	v_or_b32_e32 v154, 0x10000, v151
	s_delay_alu instid0(VALU_DEP_2) | instskip(NEXT) | instid1(VALU_DEP_2)
	v_cmp_eq_u32_e32 vcc_lo, 0, v144
	v_cndmask_b32_e32 v144, v154, v151, vcc_lo
; %bb.24:
	s_or_b32 exec_lo, exec_lo, s3
	v_and_b32_e32 v151, 0x7f800000, v153
	s_delay_alu instid0(VALU_DEP_1) | instskip(SKIP_1) | instid1(SALU_CYCLE_1)
	v_cmp_ne_u32_e32 vcc_lo, 0x7f800000, v151
                                        ; implicit-def: $vgpr151
	s_and_saveexec_b32 s3, vcc_lo
	s_xor_b32 s3, exec_lo, s3
; %bb.25:
	v_bfe_u32 v151, v153, 16, 1
	s_delay_alu instid0(VALU_DEP_1)
	v_add3_u32 v151, v153, v151, 0x7fff
                                        ; implicit-def: $vgpr153
; %bb.26:
	s_and_not1_saveexec_b32 s3, s3
; %bb.27:
	v_and_b32_e32 v151, 0xffff, v153
	v_or_b32_e32 v154, 0x10000, v153
	s_delay_alu instid0(VALU_DEP_2) | instskip(NEXT) | instid1(VALU_DEP_2)
	v_cmp_eq_u32_e32 vcc_lo, 0, v151
	v_cndmask_b32_e32 v151, v154, v153, vcc_lo
; %bb.28:
	s_or_b32 exec_lo, exec_lo, s3
	v_and_b32_e32 v153, 0x7f800000, v152
	s_delay_alu instid0(VALU_DEP_1) | instskip(SKIP_1) | instid1(SALU_CYCLE_1)
	v_cmp_ne_u32_e32 vcc_lo, 0x7f800000, v153
                                        ; implicit-def: $vgpr153
	s_and_saveexec_b32 s3, vcc_lo
	s_xor_b32 s3, exec_lo, s3
; %bb.29:
	v_bfe_u32 v153, v152, 16, 1
	s_delay_alu instid0(VALU_DEP_1)
	v_add3_u32 v153, v152, v153, 0x7fff
                                        ; implicit-def: $vgpr152
; %bb.30:
	s_and_not1_saveexec_b32 s3, s3
; %bb.31:
	v_and_b32_e32 v153, 0xffff, v152
	v_or_b32_e32 v154, 0x10000, v152
	s_delay_alu instid0(VALU_DEP_2) | instskip(NEXT) | instid1(VALU_DEP_2)
	v_cmp_eq_u32_e32 vcc_lo, 0, v153
	v_cndmask_b32_e32 v153, v154, v152, vcc_lo
; %bb.32:
	s_or_b32 exec_lo, exec_lo, s3
	v_and_b32_e32 v152, 0x7f800000, v150
	s_delay_alu instid0(VALU_DEP_1) | instskip(SKIP_1) | instid1(SALU_CYCLE_1)
	v_cmp_ne_u32_e32 vcc_lo, 0x7f800000, v152
                                        ; implicit-def: $vgpr152
	s_and_saveexec_b32 s3, vcc_lo
	s_xor_b32 s3, exec_lo, s3
; %bb.33:
	v_bfe_u32 v152, v150, 16, 1
	s_delay_alu instid0(VALU_DEP_1)
	v_add3_u32 v152, v150, v152, 0x7fff
                                        ; implicit-def: $vgpr150
; %bb.34:
	s_and_not1_saveexec_b32 s3, s3
; %bb.35:
	v_and_b32_e32 v152, 0xffff, v150
	v_or_b32_e32 v154, 0x10000, v150
	s_delay_alu instid0(VALU_DEP_2) | instskip(NEXT) | instid1(VALU_DEP_2)
	v_cmp_eq_u32_e32 vcc_lo, 0, v152
	v_cndmask_b32_e32 v152, v154, v150, vcc_lo
; %bb.36:
	s_or_b32 exec_lo, exec_lo, s3
	v_and_b32_e32 v150, 0x7f800000, v143
	s_delay_alu instid0(VALU_DEP_1) | instskip(SKIP_1) | instid1(SALU_CYCLE_1)
	v_cmp_ne_u32_e32 vcc_lo, 0x7f800000, v150
                                        ; implicit-def: $vgpr150
	s_and_saveexec_b32 s3, vcc_lo
	s_xor_b32 s3, exec_lo, s3
; %bb.37:
	v_bfe_u32 v150, v143, 16, 1
	s_delay_alu instid0(VALU_DEP_1)
	v_add3_u32 v150, v143, v150, 0x7fff
                                        ; implicit-def: $vgpr143
; %bb.38:
	s_and_not1_saveexec_b32 s3, s3
; %bb.39:
	v_and_b32_e32 v150, 0xffff, v143
	v_or_b32_e32 v154, 0x10000, v143
	s_delay_alu instid0(VALU_DEP_2) | instskip(NEXT) | instid1(VALU_DEP_2)
	v_cmp_eq_u32_e32 vcc_lo, 0, v150
	v_cndmask_b32_e32 v150, v154, v143, vcc_lo
; %bb.40:
	s_or_b32 exec_lo, exec_lo, s3
	v_and_b32_e32 v143, 0x7f800000, v140
	s_delay_alu instid0(VALU_DEP_1) | instskip(SKIP_1) | instid1(SALU_CYCLE_1)
	v_cmp_ne_u32_e32 vcc_lo, 0x7f800000, v143
                                        ; implicit-def: $vgpr143
	s_and_saveexec_b32 s3, vcc_lo
	s_xor_b32 s3, exec_lo, s3
; %bb.41:
	v_bfe_u32 v143, v140, 16, 1
	s_delay_alu instid0(VALU_DEP_1)
	v_add3_u32 v143, v140, v143, 0x7fff
                                        ; implicit-def: $vgpr140
; %bb.42:
	s_and_not1_saveexec_b32 s3, s3
; %bb.43:
	v_and_b32_e32 v143, 0xffff, v140
	v_or_b32_e32 v154, 0x10000, v140
	s_delay_alu instid0(VALU_DEP_2) | instskip(NEXT) | instid1(VALU_DEP_2)
	v_cmp_eq_u32_e32 vcc_lo, 0, v143
	v_cndmask_b32_e32 v143, v154, v140, vcc_lo
; %bb.44:
	s_or_b32 exec_lo, exec_lo, s3
	s_load_b64 s[34:35], s[0:1], 0x94
	v_dual_mul_f32 v138, v139, v138 :: v_dual_lshlrev_b32 v155, 4, v147
	s_delay_alu instid0(VALU_DEP_2)
	v_perm_b32 v154, v143, v150, 0x7060302
	v_dual_mul_f32 v143, v139, v131 :: v_dual_lshlrev_b32 v140, 6, v149
	v_lshlrev_b32_e32 v149, 11, v148
	v_perm_b32 v153, v152, v153, 0x7060302
	v_perm_b32 v152, v151, v144, 0x7060302
	;; [unrolled: 1-line block ×3, first 2 shown]
	v_mul_f32_e32 v142, v139, v133
	v_or3_b32 v131, v155, v149, v140
	v_dual_mul_f32 v137, v139, v137 :: v_dual_and_b32 v144, 0x7f800000, v143
	v_mul_f32_e32 v136, v139, v136
	v_mul_f32_e32 v135, v139, v135
	;; [unrolled: 1-line block ×4, first 2 shown]
	s_mov_b32 s3, exec_lo
	ds_store_b128 v131, v[151:154]
                                        ; implicit-def: $vgpr132
	v_cmpx_ne_u32_e32 0x7f800000, v144
	s_xor_b32 s3, exec_lo, s3
; %bb.45:
	v_bfe_u32 v132, v143, 16, 1
	s_delay_alu instid0(VALU_DEP_1)
	v_add3_u32 v132, v143, v132, 0x7fff
                                        ; implicit-def: $vgpr143
; %bb.46:
	s_and_not1_saveexec_b32 s3, s3
; %bb.47:
	v_and_b32_e32 v132, 0xffff, v143
	v_or_b32_e32 v133, 0x10000, v143
	s_delay_alu instid0(VALU_DEP_2) | instskip(NEXT) | instid1(VALU_DEP_2)
	v_cmp_eq_u32_e32 vcc_lo, 0, v132
	v_cndmask_b32_e32 v132, v133, v143, vcc_lo
; %bb.48:
	s_or_b32 exec_lo, exec_lo, s3
	v_and_b32_e32 v133, 0x7f800000, v134
	s_delay_alu instid0(VALU_DEP_1) | instskip(SKIP_1) | instid1(SALU_CYCLE_1)
	v_cmp_ne_u32_e32 vcc_lo, 0x7f800000, v133
                                        ; implicit-def: $vgpr133
	s_and_saveexec_b32 s3, vcc_lo
	s_xor_b32 s3, exec_lo, s3
; %bb.49:
	v_bfe_u32 v133, v134, 16, 1
	s_delay_alu instid0(VALU_DEP_1)
	v_add3_u32 v133, v134, v133, 0x7fff
                                        ; implicit-def: $vgpr134
; %bb.50:
	s_and_not1_saveexec_b32 s3, s3
; %bb.51:
	v_and_b32_e32 v133, 0xffff, v134
	v_or_b32_e32 v139, 0x10000, v134
	s_delay_alu instid0(VALU_DEP_2) | instskip(NEXT) | instid1(VALU_DEP_2)
	v_cmp_eq_u32_e32 vcc_lo, 0, v133
	v_cndmask_b32_e32 v133, v139, v134, vcc_lo
; %bb.52:
	s_or_b32 exec_lo, exec_lo, s3
	v_and_b32_e32 v134, 0x7f800000, v142
	s_delay_alu instid0(VALU_DEP_1) | instskip(SKIP_1) | instid1(SALU_CYCLE_1)
	v_cmp_ne_u32_e32 vcc_lo, 0x7f800000, v134
                                        ; implicit-def: $vgpr134
	s_and_saveexec_b32 s3, vcc_lo
	s_xor_b32 s3, exec_lo, s3
; %bb.53:
	v_bfe_u32 v134, v142, 16, 1
	s_delay_alu instid0(VALU_DEP_1)
	v_add3_u32 v134, v142, v134, 0x7fff
                                        ; implicit-def: $vgpr142
; %bb.54:
	s_and_not1_saveexec_b32 s3, s3
; %bb.55:
	v_and_b32_e32 v134, 0xffff, v142
	v_or_b32_e32 v139, 0x10000, v142
	s_delay_alu instid0(VALU_DEP_2) | instskip(NEXT) | instid1(VALU_DEP_2)
	v_cmp_eq_u32_e32 vcc_lo, 0, v134
	v_cndmask_b32_e32 v134, v139, v142, vcc_lo
; %bb.56:
	s_or_b32 exec_lo, exec_lo, s3
	v_and_b32_e32 v139, 0x7f800000, v141
	s_delay_alu instid0(VALU_DEP_1) | instskip(SKIP_1) | instid1(SALU_CYCLE_1)
	v_cmp_ne_u32_e32 vcc_lo, 0x7f800000, v139
                                        ; implicit-def: $vgpr139
	s_and_saveexec_b32 s3, vcc_lo
	s_xor_b32 s3, exec_lo, s3
; %bb.57:
	v_bfe_u32 v139, v141, 16, 1
	s_delay_alu instid0(VALU_DEP_1)
	v_add3_u32 v139, v141, v139, 0x7fff
                                        ; implicit-def: $vgpr141
; %bb.58:
	s_and_not1_saveexec_b32 s3, s3
; %bb.59:
	v_and_b32_e32 v139, 0xffff, v141
	v_or_b32_e32 v142, 0x10000, v141
	s_delay_alu instid0(VALU_DEP_2) | instskip(NEXT) | instid1(VALU_DEP_2)
	v_cmp_eq_u32_e32 vcc_lo, 0, v139
	v_cndmask_b32_e32 v139, v142, v141, vcc_lo
; %bb.60:
	s_or_b32 exec_lo, exec_lo, s3
	v_and_b32_e32 v141, 0x7f800000, v135
	s_delay_alu instid0(VALU_DEP_1) | instskip(SKIP_1) | instid1(SALU_CYCLE_1)
	v_cmp_ne_u32_e32 vcc_lo, 0x7f800000, v141
                                        ; implicit-def: $vgpr141
	s_and_saveexec_b32 s3, vcc_lo
	s_xor_b32 s3, exec_lo, s3
; %bb.61:
	v_bfe_u32 v141, v135, 16, 1
	s_delay_alu instid0(VALU_DEP_1)
	v_add3_u32 v141, v135, v141, 0x7fff
                                        ; implicit-def: $vgpr135
; %bb.62:
	s_and_not1_saveexec_b32 s3, s3
; %bb.63:
	v_and_b32_e32 v141, 0xffff, v135
	v_or_b32_e32 v142, 0x10000, v135
	s_delay_alu instid0(VALU_DEP_2) | instskip(NEXT) | instid1(VALU_DEP_2)
	v_cmp_eq_u32_e32 vcc_lo, 0, v141
	v_cndmask_b32_e32 v141, v142, v135, vcc_lo
; %bb.64:
	s_or_b32 exec_lo, exec_lo, s3
	v_and_b32_e32 v135, 0x7f800000, v136
	s_delay_alu instid0(VALU_DEP_1) | instskip(SKIP_1) | instid1(SALU_CYCLE_1)
	v_cmp_ne_u32_e32 vcc_lo, 0x7f800000, v135
                                        ; implicit-def: $vgpr135
	s_and_saveexec_b32 s3, vcc_lo
	s_xor_b32 s3, exec_lo, s3
; %bb.65:
	v_bfe_u32 v135, v136, 16, 1
	s_delay_alu instid0(VALU_DEP_1)
	v_add3_u32 v135, v136, v135, 0x7fff
                                        ; implicit-def: $vgpr136
; %bb.66:
	s_and_not1_saveexec_b32 s3, s3
; %bb.67:
	v_and_b32_e32 v135, 0xffff, v136
	v_or_b32_e32 v142, 0x10000, v136
	s_delay_alu instid0(VALU_DEP_2) | instskip(NEXT) | instid1(VALU_DEP_2)
	v_cmp_eq_u32_e32 vcc_lo, 0, v135
	v_cndmask_b32_e32 v135, v142, v136, vcc_lo
; %bb.68:
	s_or_b32 exec_lo, exec_lo, s3
	v_and_b32_e32 v136, 0x7f800000, v137
	s_delay_alu instid0(VALU_DEP_1) | instskip(SKIP_1) | instid1(SALU_CYCLE_1)
	v_cmp_ne_u32_e32 vcc_lo, 0x7f800000, v136
                                        ; implicit-def: $vgpr136
	s_and_saveexec_b32 s3, vcc_lo
	s_xor_b32 s3, exec_lo, s3
; %bb.69:
	v_bfe_u32 v136, v137, 16, 1
	s_delay_alu instid0(VALU_DEP_1)
	v_add3_u32 v136, v137, v136, 0x7fff
                                        ; implicit-def: $vgpr137
; %bb.70:
	s_and_not1_saveexec_b32 s3, s3
; %bb.71:
	v_and_b32_e32 v136, 0xffff, v137
	v_or_b32_e32 v142, 0x10000, v137
	s_delay_alu instid0(VALU_DEP_2) | instskip(NEXT) | instid1(VALU_DEP_2)
	v_cmp_eq_u32_e32 vcc_lo, 0, v136
	v_cndmask_b32_e32 v136, v142, v137, vcc_lo
; %bb.72:
	s_or_b32 exec_lo, exec_lo, s3
	v_and_b32_e32 v137, 0x7f800000, v138
	s_delay_alu instid0(VALU_DEP_1) | instskip(SKIP_1) | instid1(SALU_CYCLE_1)
	v_cmp_ne_u32_e32 vcc_lo, 0x7f800000, v137
                                        ; implicit-def: $vgpr137
	s_and_saveexec_b32 s3, vcc_lo
	s_xor_b32 s3, exec_lo, s3
; %bb.73:
	v_bfe_u32 v137, v138, 16, 1
	s_delay_alu instid0(VALU_DEP_1)
	v_add3_u32 v137, v138, v137, 0x7fff
                                        ; implicit-def: $vgpr138
; %bb.74:
	s_and_not1_saveexec_b32 s3, s3
; %bb.75:
	v_and_b32_e32 v137, 0xffff, v138
	v_or_b32_e32 v142, 0x10000, v138
	s_delay_alu instid0(VALU_DEP_2) | instskip(NEXT) | instid1(VALU_DEP_2)
	v_cmp_eq_u32_e32 vcc_lo, 0, v137
	v_cndmask_b32_e32 v137, v142, v138, vcc_lo
; %bb.76:
	s_or_b32 exec_lo, exec_lo, s3
	s_delay_alu instid0(VALU_DEP_1)
	v_perm_b32 v136, v137, v136, 0x7060302
	v_perm_b32 v135, v135, v141, 0x7060302
	;; [unrolled: 1-line block ×4, first 2 shown]
	v_lshl_or_b32 v141, v148, 11, v140
	ds_store_b128 v131, v[133:136] offset:1024
	s_waitcnt lgkmcnt(0)
	s_barrier
	buffer_gl0_inv
	ds_load_b128 v[132:135], v141
	ds_load_b128 v[148:151], v141 offset:16
	s_waitcnt lgkmcnt(1)
	v_lshrrev_b32_e32 v160, 16, v134
	v_lshlrev_b32_e32 v138, 2, v147
	v_lshrrev_b32_e32 v136, 16, v132
	v_lshrrev_b32_e32 v144, 16, v133
	s_waitcnt lgkmcnt(0)
	v_lshrrev_b32_e32 v143, 16, v148
	v_lshrrev_b32_e32 v161, 16, v149
	v_or_b32_e32 v139, 1, v138
	v_lshrrev_b32_e32 v163, 16, v150
	v_lshrrev_b32_e32 v164, 16, v151
	;; [unrolled: 1-line block ×3, first 2 shown]
	s_delay_alu instid0(VALU_DEP_4)
	v_cmp_eq_u32_e64 s7, 1, v139
	v_cmp_eq_u32_e64 s6, 2, v139
	;; [unrolled: 1-line block ×4, first 2 shown]
	v_cmp_eq_u32_e32 vcc_lo, 5, v139
	v_cndmask_b32_e64 v153, v132, v136, s7
	v_cndmask_b32_e64 v154, v148, v143, s7
	v_cmp_eq_u32_e64 s4, 6, v139
	v_cmp_eq_u32_e64 s19, 7, v139
	s_delay_alu instid0(VALU_DEP_4) | instskip(NEXT) | instid1(VALU_DEP_4)
	v_cndmask_b32_e64 v153, v153, v133, s6
	v_cndmask_b32_e64 v154, v154, v149, s6
	s_delay_alu instid0(VALU_DEP_2) | instskip(NEXT) | instid1(VALU_DEP_2)
	v_cndmask_b32_e64 v153, v153, v144, s5
	v_cndmask_b32_e64 v154, v154, v161, s5
	s_delay_alu instid0(VALU_DEP_2) | instskip(NEXT) | instid1(VALU_DEP_2)
	v_cndmask_b32_e64 v153, v153, v134, s3
	v_cndmask_b32_e64 v154, v154, v150, s3
	s_delay_alu instid0(VALU_DEP_2)
	v_cndmask_b32_e32 v153, v153, v160, vcc_lo
	v_cmp_eq_u32_e64 s12, 1, v138
	v_cmp_eq_u32_e64 s11, 2, v138
	;; [unrolled: 1-line block ×3, first 2 shown]
	v_or_b32_e32 v137, 2, v138
	v_cmp_eq_u32_e64 s17, 4, v138
	v_cndmask_b32_e64 v152, v148, v143, s12
	v_cndmask_b32_e64 v142, v132, v136, s12
	v_cmp_eq_u32_e64 s13, 5, v138
	v_cmp_eq_u32_e64 s8, 1, v137
	v_cmp_eq_u32_e64 s15, 6, v138
	v_cndmask_b32_e64 v152, v152, v149, s11
	v_cndmask_b32_e64 v142, v142, v133, s11
	v_cmp_eq_u32_e64 s10, 2, v137
	v_cndmask_b32_e64 v155, v132, v136, s8
	v_cmp_eq_u32_e64 s9, 7, v138
	v_cndmask_b32_e64 v152, v152, v161, s16
	v_cndmask_b32_e64 v142, v142, v144, s16
	v_cmp_eq_u32_e64 s18, 3, v137
	v_cndmask_b32_e64 v155, v155, v133, s10
	v_cndmask_b32_e64 v153, v153, v135, s4
	;; [unrolled: 1-line block ×4, first 2 shown]
	v_cmp_eq_u32_e64 s20, 4, v137
	v_cndmask_b32_e64 v155, v155, v144, s18
	v_cndmask_b32_e64 v167, v153, v162, s19
	;; [unrolled: 1-line block ×4, first 2 shown]
	v_cndmask_b32_e32 v156, v154, v163, vcc_lo
	v_cndmask_b32_e64 v158, v155, v134, s20
	v_cmp_eq_u32_e64 s22, 5, v137
	v_cndmask_b32_e64 v152, v152, v151, s15
	v_cndmask_b32_e64 v142, v142, v135, s15
	v_cmp_eq_u32_e64 s25, 6, v137
	v_cmp_eq_u32_e64 s27, 7, v137
	v_cndmask_b32_e64 v168, v158, v160, s22
	v_cndmask_b32_e64 v166, v152, v164, s9
	;; [unrolled: 1-line block ×4, first 2 shown]
	v_or_b32_e32 v142, 3, v138
	s_delay_alu instid0(VALU_DEP_3)
	v_cndmask_b32_e64 v157, v152, v149, s10
	ds_load_b128 v[152:155], v141 offset:1024
	v_cmp_eq_u32_e64 s21, 1, v142
	v_cmp_eq_u32_e64 s23, 2, v142
	;; [unrolled: 1-line block ×3, first 2 shown]
	v_cndmask_b32_e64 v157, v157, v161, s18
	v_cmp_eq_u32_e64 s26, 4, v142
	v_cndmask_b32_e64 v132, v132, v136, s21
	v_cndmask_b32_e64 v136, v156, v151, s4
	;; [unrolled: 1-line block ×4, first 2 shown]
	ds_load_b128 v[156:159], v141 offset:1040
	v_cndmask_b32_e64 v132, v132, v133, s23
	v_cmp_eq_u32_e64 s28, 5, v142
	v_cndmask_b32_e64 v143, v143, v149, s23
	v_cmp_eq_u32_e64 s29, 6, v142
	v_cndmask_b32_e64 v133, v169, v163, s22
	v_cndmask_b32_e64 v132, v132, v144, s24
	;; [unrolled: 1-line block ×5, first 2 shown]
	s_waitcnt lgkmcnt(1)
	v_lshrrev_b32_e32 v148, 16, v152
	v_cndmask_b32_e64 v132, v132, v134, s26
	v_cndmask_b32_e64 v133, v133, v151, s25
	;; [unrolled: 1-line block ×3, first 2 shown]
	v_lshrrev_b32_e32 v150, 16, v153
	v_cndmask_b32_e64 v143, v152, v148, s12
	v_cndmask_b32_e64 v132, v132, v160, s28
	v_cndmask_b32_e64 v160, v152, v148, s7
	v_cndmask_b32_e64 v134, v134, v163, s28
	v_cndmask_b32_e64 v144, v144, v162, s27
	s_waitcnt lgkmcnt(0)
	v_lshrrev_b32_e32 v149, 16, v156
	v_cndmask_b32_e64 v143, v143, v153, s11
	v_cndmask_b32_e64 v132, v132, v135, s29
	;; [unrolled: 1-line block ×3, first 2 shown]
	v_lshrrev_b32_e32 v163, 16, v158
	v_cndmask_b32_e64 v161, v156, v149, s12
	v_cndmask_b32_e64 v135, v143, v150, s16
	;; [unrolled: 1-line block ×3, first 2 shown]
	v_lshrrev_b32_e32 v160, 16, v157
	v_cndmask_b32_e64 v133, v133, v164, s27
	v_cndmask_b32_e64 v151, v161, v157, s11
	v_cmp_eq_u32_e64 s11, 7, v142
	v_cndmask_b32_e64 v143, v143, v150, s5
	v_cndmask_b32_e64 v135, v135, v154, s17
	v_lshrrev_b32_e32 v161, 16, v154
	v_cndmask_b32_e64 v151, v151, v160, s16
	v_cndmask_b32_e64 v132, v132, v162, s11
	;; [unrolled: 1-line block ×6, first 2 shown]
	s_delay_alu instid0(VALU_DEP_4) | instskip(NEXT) | instid1(VALU_DEP_4)
	v_perm_b32 v135, v134, v132, 0x5040100
	v_cndmask_b32_e32 v132, v143, v161, vcc_lo
	s_delay_alu instid0(VALU_DEP_4)
	v_cndmask_b32_e64 v143, v162, v155, s15
	v_lshrrev_b32_e32 v162, 16, v155
	v_cndmask_b32_e64 v151, v151, v163, s13
	v_perm_b32 v134, v133, v144, 0x5040100
	v_cndmask_b32_e64 v132, v132, v155, s4
	v_perm_b32 v133, v136, v167, 0x5040100
	v_cndmask_b32_e64 v136, v143, v162, s9
	v_cndmask_b32_e64 v143, v151, v159, s15
	;; [unrolled: 1-line block ×13, first 2 shown]
	v_lshrrev_b32_e32 v144, 16, v159
	v_cndmask_b32_e64 v132, v132, v150, s18
	v_cndmask_b32_e64 v148, v148, v150, s24
	;; [unrolled: 1-line block ×14, first 2 shown]
	v_cndmask_b32_e32 v149, v149, v163, vcc_lo
	v_cndmask_b32_e64 v132, v132, v155, s25
	v_cndmask_b32_e64 v148, v148, v155, s29
	;; [unrolled: 1-line block ×11, first 2 shown]
	v_perm_b32 v132, v166, v165, 0x5040100
	v_perm_b32 v151, v150, v148, 0x5040100
	v_perm_b32 v150, v153, v152, 0x5040100
	v_perm_b32 v149, v149, v164, 0x5040100
	v_perm_b32 v148, v143, v136, 0x5040100
	s_lshl_b32 s8, s35, 3
	s_mov_b32 s3, exec_lo
	ds_store_b128 v131, v[132:135]
	ds_store_b128 v131, v[148:151] offset:1024
	v_cmpx_gt_u32_e32 8, v0
	s_cbranch_execz .LBB429_78
; %bb.77:
	v_or_b32_e32 v131, s31, v0
	s_load_b128 s[4:7], s[0:1], 0x58
	s_delay_alu instid0(VALU_DEP_1) | instskip(NEXT) | instid1(VALU_DEP_1)
	v_mad_u64_u32 v[132:133], null, s8, s30, v[131:132]
	v_mad_u64_u32 v[133:134], null, v132, s34, s[14:15]
	s_delay_alu instid0(VALU_DEP_1) | instskip(NEXT) | instid1(VALU_DEP_1)
	v_ashrrev_i32_e32 v134, 31, v133
	v_lshlrev_b64 v[131:132], 2, v[133:134]
	s_waitcnt lgkmcnt(0)
	s_delay_alu instid0(VALU_DEP_1) | instskip(NEXT) | instid1(VALU_DEP_2)
	v_add_co_u32 v133, vcc_lo, s6, v131
	v_add_co_ci_u32_e32 v134, vcc_lo, s7, v132, vcc_lo
	v_add_co_u32 v131, vcc_lo, s4, v131
	v_add_co_ci_u32_e32 v132, vcc_lo, s5, v132, vcc_lo
	global_store_b32 v[133:134], v129, off
	global_store_b32 v[131:132], v130, off
.LBB429_78:
	s_or_b32 exec_lo, exec_lo, s3
	s_waitcnt lgkmcnt(0)
	s_waitcnt_vscnt null, 0x0
	s_barrier
	buffer_gl0_inv
	ds_load_b128 v[148:151], v140
	ds_load_b128 v[152:155], v140 offset:16
	ds_load_b128 v[160:163], v140 offset:1040
	;; [unrolled: 1-line block ×3, first 2 shown]
	v_mov_b32_e32 v129, 0
	ds_load_b128 v[168:171], v140 offset:2064
	ds_load_b128 v[164:167], v140 offset:2048
	;; [unrolled: 1-line block ×6, first 2 shown]
	v_mov_b32_e32 v130, v129
	v_mov_b32_e32 v131, v129
	;; [unrolled: 1-line block ×7, first 2 shown]
	s_waitcnt lgkmcnt(8)
	s_delay_alu instid0(VALU_DEP_1)
	v_wmma_f32_16x16x16_bf16 v[129:136], v[121:128], v[148:155], v[129:136]
	ds_load_b128 v[125:128], v140 offset:5136
	ds_load_b128 v[121:124], v140 offset:5120
	s_waitcnt lgkmcnt(8)
	v_wmma_f32_16x16x16_bf16 v[129:136], v[113:120], v[156:163], v[129:136]
	ds_load_b128 v[117:120], v140 offset:6160
	ds_load_b128 v[113:116], v140 offset:6144
	s_waitcnt lgkmcnt(8)
	;; [unrolled: 4-line block ×8, first 2 shown]
	v_wmma_f32_16x16x16_bf16 v[129:136], v[65:72], v[97:104], v[129:136]
	s_waitcnt lgkmcnt(6)
	s_delay_alu instid0(VALU_DEP_1)
	v_wmma_f32_16x16x16_bf16 v[129:136], v[49:56], v[89:96], v[129:136]
	ds_load_b128 v[53:56], v140 offset:13328
	ds_load_b128 v[49:52], v140 offset:13312
	s_waitcnt lgkmcnt(6)
	v_wmma_f32_16x16x16_bf16 v[129:136], v[41:48], v[81:88], v[129:136]
	ds_load_b128 v[45:48], v140 offset:14352
	ds_load_b128 v[41:44], v140 offset:14336
	s_waitcnt lgkmcnt(6)
	;; [unrolled: 4-line block ×3, first 2 shown]
	v_wmma_f32_16x16x16_bf16 v[129:136], v[1:8], v[57:64], v[129:136]
	s_waitcnt lgkmcnt(4)
	s_delay_alu instid0(VALU_DEP_1) | instskip(SKIP_1) | instid1(VALU_DEP_1)
	v_wmma_f32_16x16x16_bf16 v[129:136], v[25:32], v[49:56], v[129:136]
	s_waitcnt lgkmcnt(2)
	v_wmma_f32_16x16x16_bf16 v[129:136], v[33:40], v[41:48], v[129:136]
	s_waitcnt lgkmcnt(0)
	s_delay_alu instid0(VALU_DEP_1) | instskip(NEXT) | instid1(VALU_DEP_1)
	v_wmma_f32_16x16x16_bf16 v[129:136], v[9:16], v[17:24], v[129:136]
	v_and_b32_e32 v1, 0x7f800000, v129
	s_delay_alu instid0(VALU_DEP_1) | instskip(SKIP_1) | instid1(SALU_CYCLE_1)
	v_cmp_ne_u32_e32 vcc_lo, 0x7f800000, v1
                                        ; implicit-def: $vgpr1
	s_and_saveexec_b32 s3, vcc_lo
	s_xor_b32 s3, exec_lo, s3
; %bb.79:
	v_bfe_u32 v1, v129, 16, 1
	s_delay_alu instid0(VALU_DEP_1)
	v_add3_u32 v1, v129, v1, 0x7fff
; %bb.80:
	s_and_not1_saveexec_b32 s3, s3
; %bb.81:
	v_and_b32_e32 v1, 0xffff, v129
	v_or_b32_e32 v2, 0x10000, v129
	s_delay_alu instid0(VALU_DEP_2) | instskip(NEXT) | instid1(VALU_DEP_2)
	v_cmp_eq_u32_e32 vcc_lo, 0, v1
	v_cndmask_b32_e32 v1, v2, v129, vcc_lo
; %bb.82:
	s_or_b32 exec_lo, exec_lo, s3
	v_and_b32_e32 v2, 0x7f800000, v130
	s_delay_alu instid0(VALU_DEP_1) | instskip(SKIP_1) | instid1(SALU_CYCLE_1)
	v_cmp_ne_u32_e32 vcc_lo, 0x7f800000, v2
                                        ; implicit-def: $vgpr2
	s_and_saveexec_b32 s3, vcc_lo
	s_xor_b32 s3, exec_lo, s3
; %bb.83:
	v_bfe_u32 v2, v130, 16, 1
	s_delay_alu instid0(VALU_DEP_1)
	v_add3_u32 v2, v130, v2, 0x7fff
; %bb.84:
	s_and_not1_saveexec_b32 s3, s3
; %bb.85:
	v_and_b32_e32 v2, 0xffff, v130
	v_or_b32_e32 v3, 0x10000, v130
	s_delay_alu instid0(VALU_DEP_2) | instskip(NEXT) | instid1(VALU_DEP_2)
	v_cmp_eq_u32_e32 vcc_lo, 0, v2
	v_cndmask_b32_e32 v2, v3, v130, vcc_lo
; %bb.86:
	s_or_b32 exec_lo, exec_lo, s3
	v_and_b32_e32 v3, 0x7f800000, v131
	s_delay_alu instid0(VALU_DEP_1) | instskip(SKIP_1) | instid1(SALU_CYCLE_1)
	v_cmp_ne_u32_e32 vcc_lo, 0x7f800000, v3
                                        ; implicit-def: $vgpr3
	s_and_saveexec_b32 s3, vcc_lo
	s_xor_b32 s3, exec_lo, s3
; %bb.87:
	v_bfe_u32 v3, v131, 16, 1
	s_delay_alu instid0(VALU_DEP_1)
	v_add3_u32 v3, v131, v3, 0x7fff
; %bb.88:
	s_and_not1_saveexec_b32 s3, s3
; %bb.89:
	v_and_b32_e32 v3, 0xffff, v131
	v_or_b32_e32 v4, 0x10000, v131
	s_delay_alu instid0(VALU_DEP_2) | instskip(NEXT) | instid1(VALU_DEP_2)
	v_cmp_eq_u32_e32 vcc_lo, 0, v3
	v_cndmask_b32_e32 v3, v4, v131, vcc_lo
; %bb.90:
	s_or_b32 exec_lo, exec_lo, s3
	v_and_b32_e32 v4, 0x7f800000, v132
	s_delay_alu instid0(VALU_DEP_1) | instskip(SKIP_1) | instid1(SALU_CYCLE_1)
	v_cmp_ne_u32_e32 vcc_lo, 0x7f800000, v4
                                        ; implicit-def: $vgpr4
	s_and_saveexec_b32 s3, vcc_lo
	s_xor_b32 s3, exec_lo, s3
; %bb.91:
	v_bfe_u32 v4, v132, 16, 1
	s_delay_alu instid0(VALU_DEP_1)
	v_add3_u32 v4, v132, v4, 0x7fff
; %bb.92:
	s_and_not1_saveexec_b32 s3, s3
; %bb.93:
	v_and_b32_e32 v4, 0xffff, v132
	v_or_b32_e32 v5, 0x10000, v132
	s_delay_alu instid0(VALU_DEP_2) | instskip(NEXT) | instid1(VALU_DEP_2)
	v_cmp_eq_u32_e32 vcc_lo, 0, v4
	v_cndmask_b32_e32 v4, v5, v132, vcc_lo
; %bb.94:
	s_or_b32 exec_lo, exec_lo, s3
	v_and_b32_e32 v5, 0x7f800000, v133
	s_delay_alu instid0(VALU_DEP_1) | instskip(SKIP_1) | instid1(SALU_CYCLE_1)
	v_cmp_ne_u32_e32 vcc_lo, 0x7f800000, v5
                                        ; implicit-def: $vgpr5
	s_and_saveexec_b32 s3, vcc_lo
	s_xor_b32 s3, exec_lo, s3
; %bb.95:
	v_bfe_u32 v5, v133, 16, 1
	s_delay_alu instid0(VALU_DEP_1)
	v_add3_u32 v5, v133, v5, 0x7fff
; %bb.96:
	s_and_not1_saveexec_b32 s3, s3
; %bb.97:
	v_and_b32_e32 v5, 0xffff, v133
	v_or_b32_e32 v6, 0x10000, v133
	s_delay_alu instid0(VALU_DEP_2) | instskip(NEXT) | instid1(VALU_DEP_2)
	v_cmp_eq_u32_e32 vcc_lo, 0, v5
	v_cndmask_b32_e32 v5, v6, v133, vcc_lo
; %bb.98:
	s_or_b32 exec_lo, exec_lo, s3
	v_and_b32_e32 v6, 0x7f800000, v134
	s_delay_alu instid0(VALU_DEP_1) | instskip(SKIP_1) | instid1(SALU_CYCLE_1)
	v_cmp_ne_u32_e32 vcc_lo, 0x7f800000, v6
                                        ; implicit-def: $vgpr6
	s_and_saveexec_b32 s3, vcc_lo
	s_xor_b32 s3, exec_lo, s3
; %bb.99:
	v_bfe_u32 v6, v134, 16, 1
	s_delay_alu instid0(VALU_DEP_1)
	v_add3_u32 v6, v134, v6, 0x7fff
; %bb.100:
	s_and_not1_saveexec_b32 s3, s3
; %bb.101:
	v_and_b32_e32 v6, 0xffff, v134
	v_or_b32_e32 v7, 0x10000, v134
	s_delay_alu instid0(VALU_DEP_2) | instskip(NEXT) | instid1(VALU_DEP_2)
	v_cmp_eq_u32_e32 vcc_lo, 0, v6
	v_cndmask_b32_e32 v6, v7, v134, vcc_lo
; %bb.102:
	s_or_b32 exec_lo, exec_lo, s3
	v_and_b32_e32 v7, 0x7f800000, v135
	s_delay_alu instid0(VALU_DEP_1) | instskip(SKIP_1) | instid1(SALU_CYCLE_1)
	v_cmp_ne_u32_e32 vcc_lo, 0x7f800000, v7
                                        ; implicit-def: $vgpr7
	s_and_saveexec_b32 s3, vcc_lo
	s_xor_b32 s3, exec_lo, s3
; %bb.103:
	v_bfe_u32 v7, v135, 16, 1
	s_delay_alu instid0(VALU_DEP_1)
	v_add3_u32 v7, v135, v7, 0x7fff
; %bb.104:
	s_and_not1_saveexec_b32 s3, s3
; %bb.105:
	v_and_b32_e32 v7, 0xffff, v135
	v_or_b32_e32 v8, 0x10000, v135
	s_delay_alu instid0(VALU_DEP_2) | instskip(NEXT) | instid1(VALU_DEP_2)
	v_cmp_eq_u32_e32 vcc_lo, 0, v7
	v_cndmask_b32_e32 v7, v8, v135, vcc_lo
; %bb.106:
	s_or_b32 exec_lo, exec_lo, s3
	v_and_b32_e32 v8, 0x7f800000, v136
	s_delay_alu instid0(VALU_DEP_1) | instskip(SKIP_1) | instid1(SALU_CYCLE_1)
	v_cmp_ne_u32_e32 vcc_lo, 0x7f800000, v8
                                        ; implicit-def: $vgpr8
	s_and_saveexec_b32 s3, vcc_lo
	s_xor_b32 s3, exec_lo, s3
; %bb.107:
	v_bfe_u32 v8, v136, 16, 1
	s_delay_alu instid0(VALU_DEP_1)
	v_add3_u32 v8, v136, v8, 0x7fff
                                        ; implicit-def: $vgpr129_vgpr130_vgpr131_vgpr132_vgpr133_vgpr134_vgpr135_vgpr136
; %bb.108:
	s_and_not1_saveexec_b32 s3, s3
; %bb.109:
	v_and_b32_e32 v8, 0xffff, v136
	v_or_b32_e32 v9, 0x10000, v136
	s_delay_alu instid0(VALU_DEP_2) | instskip(NEXT) | instid1(VALU_DEP_2)
	v_cmp_eq_u32_e32 vcc_lo, 0, v8
	v_cndmask_b32_e32 v8, v9, v136, vcc_lo
; %bb.110:
	s_or_b32 exec_lo, exec_lo, s3
	s_delay_alu instid0(VALU_DEP_1)
	v_perm_b32 v7, v8, v7, 0x7060302
	v_perm_b32 v6, v6, v5, 0x7060302
	v_perm_b32 v5, v4, v3, 0x7060302
	v_perm_b32 v4, v2, v1, 0x7060302
	v_lshl_or_b32 v9, v147, 4, v141
	s_barrier
	buffer_gl0_inv
	v_cmp_eq_u32_e32 vcc_lo, 1, v138
	ds_store_b128 v9, v[4:7]
	s_waitcnt lgkmcnt(0)
	s_barrier
	buffer_gl0_inv
	ds_load_b128 v[1:4], v141
	ds_load_b128 v[5:8], v141 offset:16
	v_cmp_eq_u32_e64 s4, 2, v138
	v_cmp_eq_u32_e64 s3, 1, v139
	;; [unrolled: 1-line block ×5, first 2 shown]
	s_waitcnt lgkmcnt(1)
	v_lshrrev_b32_e32 v10, 16, v1
	s_waitcnt lgkmcnt(0)
	v_lshrrev_b32_e32 v14, 16, v5
	v_lshrrev_b32_e32 v15, 16, v6
	;; [unrolled: 1-line block ×4, first 2 shown]
	v_cndmask_b32_e64 v20, v1, v10, s3
	v_cndmask_b32_e32 v19, v5, v14, vcc_lo
	v_cndmask_b32_e64 v21, v5, v14, s3
	v_lshrrev_b32_e32 v16, 16, v7
	v_cmp_eq_u32_e64 s3, 1, v137
	v_lshrrev_b32_e32 v13, 16, v4
	v_cndmask_b32_e64 v19, v19, v6, s4
	v_lshrrev_b32_e32 v17, 16, v8
	s_delay_alu instid0(VALU_DEP_4) | instskip(SKIP_1) | instid1(VALU_DEP_4)
	v_cndmask_b32_e64 v22, v1, v10, s3
	v_cndmask_b32_e64 v23, v5, v14, s3
	;; [unrolled: 1-line block ×3, first 2 shown]
	v_cndmask_b32_e32 v18, v1, v10, vcc_lo
	v_cmp_eq_u32_e32 vcc_lo, 2, v139
	v_cmp_eq_u32_e64 s3, 2, v142
	v_cndmask_b32_e64 v22, v22, v2, s7
	v_cndmask_b32_e32 v20, v20, v2, vcc_lo
	v_cndmask_b32_e32 v21, v21, v6, vcc_lo
	v_cmp_eq_u32_e32 vcc_lo, 4, v138
	v_cndmask_b32_e32 v19, v19, v7, vcc_lo
	v_cndmask_b32_e64 v18, v18, v2, s4
	v_cmp_eq_u32_e64 s4, 3, v139
	s_delay_alu instid0(VALU_DEP_2) | instskip(NEXT) | instid1(VALU_DEP_2)
	v_cndmask_b32_e64 v18, v18, v11, s5
	v_cndmask_b32_e64 v21, v21, v15, s4
	v_cmp_eq_u32_e64 s5, 5, v138
	s_delay_alu instid0(VALU_DEP_3) | instskip(SKIP_1) | instid1(VALU_DEP_3)
	v_cndmask_b32_e32 v18, v18, v3, vcc_lo
	v_cmp_eq_u32_e32 vcc_lo, 4, v139
	v_cndmask_b32_e64 v19, v19, v16, s5
	s_delay_alu instid0(VALU_DEP_3) | instskip(SKIP_4) | instid1(VALU_DEP_3)
	v_cndmask_b32_e64 v18, v18, v12, s5
	v_cndmask_b32_e32 v21, v21, v7, vcc_lo
	v_cndmask_b32_e64 v20, v20, v11, s4
	v_cmp_eq_u32_e64 s4, 5, v139
	v_cmp_eq_u32_e64 s5, 6, v138
	v_cndmask_b32_e32 v20, v20, v3, vcc_lo
	s_delay_alu instid0(VALU_DEP_3) | instskip(SKIP_1) | instid1(VALU_DEP_4)
	v_cndmask_b32_e64 v21, v21, v16, s4
	v_cmp_eq_u32_e32 vcc_lo, 6, v139
	v_cndmask_b32_e64 v18, v18, v4, s5
	v_cndmask_b32_e64 v19, v19, v8, s5
	;; [unrolled: 1-line block ×3, first 2 shown]
	v_cmp_eq_u32_e64 s4, 1, v142
	v_cmp_eq_u32_e64 s5, 7, v138
	s_delay_alu instid0(VALU_DEP_3) | instskip(NEXT) | instid1(VALU_DEP_3)
	v_cndmask_b32_e32 v20, v20, v4, vcc_lo
	v_cndmask_b32_e64 v1, v1, v10, s4
	v_cndmask_b32_e64 v5, v5, v14, s4
	v_cmp_eq_u32_e64 s4, 3, v137
	v_cndmask_b32_e64 v14, v23, v6, s7
	v_cmp_eq_u32_e64 s7, 3, v142
	v_cndmask_b32_e64 v1, v1, v2, s3
	v_cndmask_b32_e64 v2, v5, v6, s3
	;; [unrolled: 1-line block ×3, first 2 shown]
	v_cmp_eq_u32_e64 s3, 4, v137
	v_cndmask_b32_e64 v6, v14, v15, s4
	v_cndmask_b32_e64 v1, v1, v11, s7
	v_cmp_eq_u32_e64 s4, 4, v142
	v_cndmask_b32_e64 v2, v2, v15, s7
	v_cndmask_b32_e64 v5, v10, v3, s3
	;; [unrolled: 3-line block ×3, first 2 shown]
	v_cndmask_b32_e64 v2, v2, v7, s4
	v_cmp_eq_u32_e64 s3, 5, v142
	v_cndmask_b32_e64 v5, v5, v12, s7
	v_cmp_eq_u32_e64 s4, 6, v137
	;; [unrolled: 2-line block ×3, first 2 shown]
	v_cndmask_b32_e64 v1, v1, v12, s3
	v_cndmask_b32_e64 v2, v2, v16, s3
	;; [unrolled: 1-line block ×4, first 2 shown]
	v_cmp_eq_u32_e64 s3, 7, v142
	v_cndmask_b32_e64 v1, v1, v4, s7
	v_cndmask_b32_e64 v2, v2, v8, s7
	v_cmp_eq_u32_e64 s4, 7, v137
	v_cndmask_b32_e32 v4, v21, v8, vcc_lo
	v_cndmask_b32_e64 v18, v18, v13, s5
	v_cndmask_b32_e64 v20, v20, v13, s6
	v_cndmask_b32_e64 v1, v1, v13, s3
	v_cndmask_b32_e64 v5, v5, v13, s4
	v_cndmask_b32_e64 v2, v2, v17, s3
	v_cndmask_b32_e64 v3, v3, v17, s4
	v_cndmask_b32_e64 v6, v4, v17, s6
	v_cndmask_b32_e64 v7, v19, v17, s5
	v_cmp_gt_u32_e32 vcc_lo, 32, v0
	v_perm_b32 v4, v2, v1, 0x5040100
	v_perm_b32 v3, v3, v5, 0x5040100
	;; [unrolled: 1-line block ×4, first 2 shown]
	s_and_b32 s2, vcc_lo, s2
	ds_store_b128 v9, v[1:4]
	s_waitcnt lgkmcnt(0)
	s_barrier
	buffer_gl0_inv
	s_and_saveexec_b32 s3, s2
	s_cbranch_execz .LBB429_2
; %bb.111:
	s_load_b64 s[0:1], s[0:1], 0x68
	s_lshl_b32 s4, s34, 6
	v_or_b32_e32 v2, s31, v147
	s_mul_i32 s2, s4, s30
	v_lshlrev_b32_e32 v1, 10, v0
	s_mul_i32 s2, s2, s8
	v_lshlrev_b32_e32 v3, 4, v146
	v_mul_lo_u32 v0, v2, s4
	s_ashr_i32 s3, s2, 31
	v_lshlrev_b32_e32 v4, 6, v147
	v_and_b32_e32 v1, 0x3800, v1
	v_or_b32_e32 v5, 2, v2
	s_lshl_b64 s[2:3], s[2:3], 1
	v_or_b32_e32 v6, 4, v2
	v_or_b32_e32 v7, 6, v2
	v_or3_b32 v12, v1, v3, v4
	v_ashrrev_i32_e32 v1, 31, v0
	v_mul_lo_u32 v2, v5, s4
	v_mul_lo_u32 v16, v6, s4
	;; [unrolled: 1-line block ×3, first 2 shown]
	s_waitcnt lgkmcnt(0)
	s_add_u32 s2, s0, s2
	s_addc_u32 s3, s1, s3
	s_lshl_b32 s0, s14, 6
	v_lshlrev_b64 v[0:1], 1, v[0:1]
	s_ashr_i32 s1, s0, 31
	v_ashrrev_i32_e32 v3, 31, v2
	s_lshl_b64 s[0:1], s[0:1], 1
	v_ashrrev_i32_e32 v17, 31, v16
	s_add_u32 s0, s2, s0
	s_addc_u32 s1, s3, s1
	v_add_co_u32 v24, s0, s0, v145
	s_delay_alu instid0(VALU_DEP_1) | instskip(SKIP_1) | instid1(VALU_DEP_3)
	v_add_co_ci_u32_e64 v25, null, s1, 0, s0
	v_lshlrev_b64 v[22:23], 1, v[2:3]
	v_add_co_u32 v18, vcc_lo, v24, v0
	s_delay_alu instid0(VALU_DEP_3)
	v_add_co_ci_u32_e32 v19, vcc_lo, v25, v1, vcc_lo
	ds_load_b128 v[0:3], v12
	ds_load_b128 v[4:7], v12 offset:128
	ds_load_b128 v[8:11], v12 offset:256
	;; [unrolled: 1-line block ×3, first 2 shown]
	v_ashrrev_i32_e32 v21, 31, v20
	v_lshlrev_b64 v[16:17], 1, v[16:17]
	v_add_co_u32 v22, vcc_lo, v24, v22
	v_add_co_ci_u32_e32 v23, vcc_lo, v25, v23, vcc_lo
	s_delay_alu instid0(VALU_DEP_4) | instskip(NEXT) | instid1(VALU_DEP_4)
	v_lshlrev_b64 v[20:21], 1, v[20:21]
	v_add_co_u32 v16, vcc_lo, v24, v16
	v_add_co_ci_u32_e32 v17, vcc_lo, v25, v17, vcc_lo
	s_delay_alu instid0(VALU_DEP_3) | instskip(NEXT) | instid1(VALU_DEP_4)
	v_add_co_u32 v20, vcc_lo, v24, v20
	v_add_co_ci_u32_e32 v21, vcc_lo, v25, v21, vcc_lo
	s_waitcnt lgkmcnt(3)
	global_store_b128 v[18:19], v[0:3], off
	s_waitcnt lgkmcnt(2)
	global_store_b128 v[22:23], v[4:7], off
	;; [unrolled: 2-line block ×4, first 2 shown]
	s_nop 0
	s_sendmsg sendmsg(MSG_DEALLOC_VGPRS)
	s_endpgm
	.section	.rodata,"a",@progbits
	.p2align	6, 0x0
	.amdhsa_kernel _Z39paged_attention_ll4mi_QKV_mfma16_kernelI14__hip_bfloat16S0_LN4vllm18Fp8KVCacheDataTypeE0EhLi16ELi64ELi256ELb0ELi8EL8MFMAType0EEvPKT_PKT0_S9_ifPKiSB_SB_iPKfiiiPfSE_PS4_PT2_iSD_SD_
		.amdhsa_group_segment_fixed_size 17472
		.amdhsa_private_segment_fixed_size 0
		.amdhsa_kernarg_size 400
		.amdhsa_user_sgpr_count 13
		.amdhsa_user_sgpr_dispatch_ptr 0
		.amdhsa_user_sgpr_queue_ptr 0
		.amdhsa_user_sgpr_kernarg_segment_ptr 1
		.amdhsa_user_sgpr_dispatch_id 0
		.amdhsa_user_sgpr_private_segment_size 0
		.amdhsa_wavefront_size32 1
		.amdhsa_uses_dynamic_stack 0
		.amdhsa_enable_private_segment 0
		.amdhsa_system_sgpr_workgroup_id_x 1
		.amdhsa_system_sgpr_workgroup_id_y 1
		.amdhsa_system_sgpr_workgroup_id_z 1
		.amdhsa_system_sgpr_workgroup_info 0
		.amdhsa_system_vgpr_workitem_id 0
		.amdhsa_next_free_vgpr 198
		.amdhsa_next_free_sgpr 52
		.amdhsa_reserve_vcc 1
		.amdhsa_float_round_mode_32 0
		.amdhsa_float_round_mode_16_64 0
		.amdhsa_float_denorm_mode_32 3
		.amdhsa_float_denorm_mode_16_64 3
		.amdhsa_dx10_clamp 1
		.amdhsa_ieee_mode 1
		.amdhsa_fp16_overflow 0
		.amdhsa_workgroup_processor_mode 1
		.amdhsa_memory_ordered 1
		.amdhsa_forward_progress 0
		.amdhsa_shared_vgpr_count 0
		.amdhsa_exception_fp_ieee_invalid_op 0
		.amdhsa_exception_fp_denorm_src 0
		.amdhsa_exception_fp_ieee_div_zero 0
		.amdhsa_exception_fp_ieee_overflow 0
		.amdhsa_exception_fp_ieee_underflow 0
		.amdhsa_exception_fp_ieee_inexact 0
		.amdhsa_exception_int_div_zero 0
	.end_amdhsa_kernel
	.section	.text._Z39paged_attention_ll4mi_QKV_mfma16_kernelI14__hip_bfloat16S0_LN4vllm18Fp8KVCacheDataTypeE0EhLi16ELi64ELi256ELb0ELi8EL8MFMAType0EEvPKT_PKT0_S9_ifPKiSB_SB_iPKfiiiPfSE_PS4_PT2_iSD_SD_,"axG",@progbits,_Z39paged_attention_ll4mi_QKV_mfma16_kernelI14__hip_bfloat16S0_LN4vllm18Fp8KVCacheDataTypeE0EhLi16ELi64ELi256ELb0ELi8EL8MFMAType0EEvPKT_PKT0_S9_ifPKiSB_SB_iPKfiiiPfSE_PS4_PT2_iSD_SD_,comdat
.Lfunc_end429:
	.size	_Z39paged_attention_ll4mi_QKV_mfma16_kernelI14__hip_bfloat16S0_LN4vllm18Fp8KVCacheDataTypeE0EhLi16ELi64ELi256ELb0ELi8EL8MFMAType0EEvPKT_PKT0_S9_ifPKiSB_SB_iPKfiiiPfSE_PS4_PT2_iSD_SD_, .Lfunc_end429-_Z39paged_attention_ll4mi_QKV_mfma16_kernelI14__hip_bfloat16S0_LN4vllm18Fp8KVCacheDataTypeE0EhLi16ELi64ELi256ELb0ELi8EL8MFMAType0EEvPKT_PKT0_S9_ifPKiSB_SB_iPKfiiiPfSE_PS4_PT2_iSD_SD_
                                        ; -- End function
	.section	.AMDGPU.csdata,"",@progbits
; Kernel info:
; codeLenInByte = 10020
; NumSgprs: 54
; NumVgprs: 198
; ScratchSize: 0
; MemoryBound: 0
; FloatMode: 240
; IeeeMode: 1
; LDSByteSize: 17472 bytes/workgroup (compile time only)
; SGPRBlocks: 6
; VGPRBlocks: 24
; NumSGPRsForWavesPerEU: 54
; NumVGPRsForWavesPerEU: 198
; Occupancy: 7
; WaveLimiterHint : 1
; COMPUTE_PGM_RSRC2:SCRATCH_EN: 0
; COMPUTE_PGM_RSRC2:USER_SGPR: 13
; COMPUTE_PGM_RSRC2:TRAP_HANDLER: 0
; COMPUTE_PGM_RSRC2:TGID_X_EN: 1
; COMPUTE_PGM_RSRC2:TGID_Y_EN: 1
; COMPUTE_PGM_RSRC2:TGID_Z_EN: 1
; COMPUTE_PGM_RSRC2:TIDIG_COMP_CNT: 0
	.section	.text._Z39paged_attention_ll4mi_QKV_mfma16_kernelI14__hip_bfloat16S0_LN4vllm18Fp8KVCacheDataTypeE0EhLi16ELi64ELi256ELb0ELi9EL8MFMAType0EEvPKT_PKT0_S9_ifPKiSB_SB_iPKfiiiPfSE_PS4_PT2_iSD_SD_,"axG",@progbits,_Z39paged_attention_ll4mi_QKV_mfma16_kernelI14__hip_bfloat16S0_LN4vllm18Fp8KVCacheDataTypeE0EhLi16ELi64ELi256ELb0ELi9EL8MFMAType0EEvPKT_PKT0_S9_ifPKiSB_SB_iPKfiiiPfSE_PS4_PT2_iSD_SD_,comdat
	.protected	_Z39paged_attention_ll4mi_QKV_mfma16_kernelI14__hip_bfloat16S0_LN4vllm18Fp8KVCacheDataTypeE0EhLi16ELi64ELi256ELb0ELi9EL8MFMAType0EEvPKT_PKT0_S9_ifPKiSB_SB_iPKfiiiPfSE_PS4_PT2_iSD_SD_ ; -- Begin function _Z39paged_attention_ll4mi_QKV_mfma16_kernelI14__hip_bfloat16S0_LN4vllm18Fp8KVCacheDataTypeE0EhLi16ELi64ELi256ELb0ELi9EL8MFMAType0EEvPKT_PKT0_S9_ifPKiSB_SB_iPKfiiiPfSE_PS4_PT2_iSD_SD_
	.globl	_Z39paged_attention_ll4mi_QKV_mfma16_kernelI14__hip_bfloat16S0_LN4vllm18Fp8KVCacheDataTypeE0EhLi16ELi64ELi256ELb0ELi9EL8MFMAType0EEvPKT_PKT0_S9_ifPKiSB_SB_iPKfiiiPfSE_PS4_PT2_iSD_SD_
	.p2align	8
	.type	_Z39paged_attention_ll4mi_QKV_mfma16_kernelI14__hip_bfloat16S0_LN4vllm18Fp8KVCacheDataTypeE0EhLi16ELi64ELi256ELb0ELi9EL8MFMAType0EEvPKT_PKT0_S9_ifPKiSB_SB_iPKfiiiPfSE_PS4_PT2_iSD_SD_,@function
_Z39paged_attention_ll4mi_QKV_mfma16_kernelI14__hip_bfloat16S0_LN4vllm18Fp8KVCacheDataTypeE0EhLi16ELi64ELi256ELb0ELi9EL8MFMAType0EEvPKT_PKT0_S9_ifPKiSB_SB_iPKfiiiPfSE_PS4_PT2_iSD_SD_: ; @_Z39paged_attention_ll4mi_QKV_mfma16_kernelI14__hip_bfloat16S0_LN4vllm18Fp8KVCacheDataTypeE0EhLi16ELi64ELi256ELb0ELi9EL8MFMAType0EEvPKT_PKT0_S9_ifPKiSB_SB_iPKfiiiPfSE_PS4_PT2_iSD_SD_
; %bb.0:
	s_load_b64 s[2:3], s[0:1], 0x30
	s_mov_b32 s34, s13
	s_waitcnt lgkmcnt(0)
	s_cmp_lg_u64 s[2:3], 0
	s_cselect_b32 s6, -1, 0
	s_ashr_i32 s35, s13, 31
	s_cmp_eq_u64 s[2:3], 0
	s_cbranch_scc1 .LBB430_3
; %bb.1:
	s_lshl_b64 s[4:5], s[34:35], 2
	s_delay_alu instid0(SALU_CYCLE_1) | instskip(SKIP_4) | instid1(SALU_CYCLE_1)
	s_add_u32 s4, s2, s4
	s_addc_u32 s5, s3, s5
	s_load_b64 s[4:5], s[4:5], 0x0
	s_waitcnt lgkmcnt(0)
	s_sub_i32 s4, s5, s4
	s_cmp_eq_u32 s4, 1
	s_cselect_b32 s4, -1, 0
	s_delay_alu instid0(SALU_CYCLE_1)
	s_and_not1_b32 vcc_lo, exec_lo, s4
	s_cbranch_vccz .LBB430_4
.LBB430_2:
	s_nop 0
	s_sendmsg sendmsg(MSG_DEALLOC_VGPRS)
	s_endpgm
.LBB430_3:
.LBB430_4:
	s_load_b64 s[8:9], s[0:1], 0x28
	s_lshl_b64 s[4:5], s[34:35], 2
	s_waitcnt lgkmcnt(0)
	s_add_u32 s8, s8, s4
	s_addc_u32 s9, s9, s5
	s_lshl_b32 s33, s14, 8
	s_load_b32 s30, s[8:9], 0x0
	s_waitcnt lgkmcnt(0)
	s_cmp_ge_i32 s33, s30
	s_cbranch_scc1 .LBB430_2
; %bb.5:
	s_clause 0x1
	s_load_b128 s[8:11], s[0:1], 0x8
	s_load_b64 s[12:13], s[0:1], 0x20
	s_and_not1_b32 vcc_lo, exec_lo, s6
	s_cbranch_vccnz .LBB430_7
; %bb.6:
	s_add_u32 s2, s2, s4
	s_addc_u32 s3, s3, s5
	s_load_b32 s3, s[2:3], 0x0
	s_branch .LBB430_8
.LBB430_7:
	s_mov_b32 s3, s34
.LBB430_8:
	s_load_b128 s[4:7], s[0:1], 0x48
	v_lshrrev_b32_e32 v149, 5, v0
	v_bfe_u32 v146, v0, 4, 1
	v_and_b32_e32 v148, 15, v0
	v_and_b32_e32 v150, 31, v0
	;; [unrolled: 1-line block ×3, first 2 shown]
	s_mul_i32 s31, s15, 9
	v_lshl_or_b32 v1, v149, 1, v146
	v_lshlrev_b32_e32 v2, 3, v148
	v_cmp_gt_u32_e64 s2, 8, v148
	s_delay_alu instid0(VALU_DEP_3) | instskip(NEXT) | instid1(VALU_DEP_3)
	v_cmp_gt_u32_e32 vcc_lo, 9, v1
	v_lshlrev_b32_e32 v145, 1, v2
	s_delay_alu instid0(VALU_DEP_3)
	s_and_b32 s16, s2, vcc_lo
	s_waitcnt lgkmcnt(0)
	s_and_saveexec_b32 s7, s16
	s_cbranch_execz .LBB430_10
; %bb.9:
	s_load_b64 s[16:17], s[0:1], 0x0
	v_add_lshl_u32 v2, v1, s31, 6
	s_mul_hi_i32 s19, s3, s4
	s_mul_i32 s18, s3, s4
	v_lshlrev_b32_e32 v6, 10, v148
	s_lshl_b64 s[18:19], s[18:19], 1
	v_ashrrev_i32_e32 v3, 31, v2
	v_lshlrev_b32_e32 v1, 6, v1
	v_lshlrev_b32_e32 v7, 10, v147
	v_and_b32_e32 v6, 0x3800, v6
	s_delay_alu instid0(VALU_DEP_4) | instskip(NEXT) | instid1(VALU_DEP_2)
	v_lshlrev_b64 v[2:3], 1, v[2:3]
	v_or3_b32 v1, v6, v7, v1
	s_waitcnt lgkmcnt(0)
	s_add_u32 s3, s16, s18
	s_addc_u32 s4, s17, s19
	s_delay_alu instid0(VALU_DEP_2) | instskip(SKIP_1) | instid1(VALU_DEP_2)
	v_add_co_u32 v2, vcc_lo, s3, v2
	v_add_co_ci_u32_e32 v3, vcc_lo, s4, v3, vcc_lo
	v_add_co_u32 v2, vcc_lo, v2, v145
	s_delay_alu instid0(VALU_DEP_2)
	v_add_co_ci_u32_e32 v3, vcc_lo, 0, v3, vcc_lo
	global_load_b128 v[2:5], v[2:3], off
	s_waitcnt vmcnt(0)
	ds_store_b128 v1, v[2:5]
.LBB430_10:
	s_or_b32 exec_lo, exec_lo, s7
	s_mov_b32 s40, 0
	s_add_i32 s3, s30, 15
	s_mov_b32 s41, s40
	s_mov_b32 s42, s40
	;; [unrolled: 1-line block ×7, first 2 shown]
	s_delay_alu instid0(SALU_CYCLE_1)
	v_dual_mov_b32 v144, s47 :: v_dual_and_b32 v1, 0xef, v0
	v_mov_b32_e32 v142, s45
	s_ashr_i32 s7, s3, 31
	s_clause 0x1
	s_load_b32 s4, s[0:1], 0x38
	s_load_b32 s35, s[0:1], 0x1c
	v_add_nc_u32_e32 v1, s33, v1
	s_lshr_b32 s7, s7, 28
	s_waitcnt lgkmcnt(0)
	s_add_i32 s3, s3, s7
	s_barrier
	v_ashrrev_i32_e32 v2, 31, v1
	v_or_b32_e32 v3, 16, v1
	s_ashr_i32 s3, s3, 4
	v_cmp_gt_i32_e32 vcc_lo, s30, v1
	s_add_i32 s3, s3, -1
	v_lshrrev_b32_e32 v2, 28, v2
	v_mov_b32_e32 v143, s46
	buffer_gl0_inv
	s_mul_i32 s6, s15, s6
	v_add_nc_u32_e32 v21, -9, v148
	v_dual_mov_b32 v141, s44 :: v_dual_add_nc_u32 v4, v1, v2
	v_mov_b32_e32 v139, s42
	s_mul_i32 s16, s34, s4
	v_mov_b32_e32 v137, s40
	s_delay_alu instid0(VALU_DEP_3)
	v_ashrrev_i32_e32 v4, 4, v4
	v_add_nc_u32_e32 v2, v3, v2
	v_lshlrev_b32_e32 v22, 5, v148
	s_ashr_i32 s17, s16, 31
	v_mov_b32_e32 v140, s43
	v_cndmask_b32_e32 v1, s3, v4, vcc_lo
	v_ashrrev_i32_e32 v2, 4, v2
	v_cmp_gt_i32_e32 vcc_lo, s30, v3
	s_lshl_b64 s[16:17], s[16:17], 2
	v_lshl_or_b32 v22, v149, 9, v22
	s_add_u32 s4, s12, s16
	s_addc_u32 s36, s13, s17
	v_cndmask_b32_e32 v3, s3, v2, vcc_lo
	v_ashrrev_i32_e32 v2, 31, v1
	s_ashr_i32 s7, s6, 31
	v_mov_b32_e32 v138, s41
	s_lshl_b64 s[6:7], s[6:7], 1
	v_ashrrev_i32_e32 v4, 31, v3
	v_lshlrev_b64 v[1:2], 2, v[1:2]
	s_add_u32 s24, s8, s6
	s_addc_u32 s25, s9, s7
	s_lshl_b32 s8, s14, 4
	v_lshlrev_b64 v[3:4], 2, v[3:4]
	s_ashr_i32 s9, s8, 31
	v_add_co_u32 v1, vcc_lo, s4, v1
	v_add_co_ci_u32_e32 v2, vcc_lo, s36, v2, vcc_lo
	s_delay_alu instid0(VALU_DEP_3) | instskip(NEXT) | instid1(VALU_DEP_4)
	v_add_co_u32 v3, vcc_lo, s4, v3
	v_add_co_ci_u32_e32 v4, vcc_lo, s36, v4, vcc_lo
	s_clause 0x1
	global_load_b32 v5, v[1:2], off
	global_load_b32 v6, v[3:4], off
	s_lshl_b64 s[8:9], s[8:9], 2
	v_lshlrev_b32_e32 v3, 4, v0
	s_add_u32 s8, s4, s8
	s_addc_u32 s9, s36, s9
	s_or_b32 s12, s33, 16
	s_delay_alu instid0(SALU_CYCLE_1) | instskip(SKIP_2) | instid1(SALU_CYCLE_1)
	s_ashr_i32 s13, s12, 4
	s_cmp_lt_i32 s12, s30
	s_cselect_b32 s12, s13, s3
	s_ashr_i32 s13, s12, 31
	s_delay_alu instid0(SALU_CYCLE_1) | instskip(NEXT) | instid1(SALU_CYCLE_1)
	s_lshl_b64 s[12:13], s[12:13], 2
	s_add_u32 s12, s4, s12
	s_addc_u32 s13, s36, s13
	s_or_b32 s15, s33, 32
	s_delay_alu instid0(SALU_CYCLE_1) | instskip(SKIP_2) | instid1(SALU_CYCLE_1)
	s_ashr_i32 s16, s15, 4
	s_cmp_lt_i32 s15, s30
	s_cselect_b32 s16, s16, s3
	s_ashr_i32 s17, s16, 31
	s_delay_alu instid0(SALU_CYCLE_1) | instskip(NEXT) | instid1(SALU_CYCLE_1)
	s_lshl_b64 s[16:17], s[16:17], 2
	;; [unrolled: 10-line block ×5, first 2 shown]
	s_add_u32 s22, s4, s22
	s_addc_u32 s23, s36, s23
	s_clause 0x5
	s_load_b32 s8, s[8:9], 0x0
	s_load_b32 s12, s[12:13], 0x0
	;; [unrolled: 1-line block ×6, first 2 shown]
	s_waitcnt lgkmcnt(0)
	s_mul_hi_i32 s17, s16, s5
	s_mul_i32 s16, s16, s5
	s_waitcnt vmcnt(1)
	v_mad_i64_i32 v[1:2], null, v5, s5, 0
	v_and_b32_e32 v5, 0xf0, v3
	s_waitcnt vmcnt(0)
	v_mad_i64_i32 v[3:4], null, v6, s5, 0
	s_delay_alu instid0(VALU_DEP_2) | instskip(NEXT) | instid1(VALU_DEP_4)
	v_add_co_u32 v5, s9, s24, v5
	v_lshlrev_b64 v[1:2], 1, v[1:2]
	v_add_co_ci_u32_e64 v6, null, s25, 0, s9
	s_delay_alu instid0(VALU_DEP_4) | instskip(SKIP_1) | instid1(VALU_DEP_3)
	v_lshlrev_b64 v[3:4], 1, v[3:4]
	s_or_b32 s9, s33, 0x60
	v_add_co_u32 v19, vcc_lo, v5, v1
	s_delay_alu instid0(VALU_DEP_3) | instskip(NEXT) | instid1(VALU_DEP_3)
	v_add_co_ci_u32_e32 v20, vcc_lo, v6, v2, vcc_lo
	v_add_co_u32 v17, vcc_lo, v5, v3
	s_delay_alu instid0(VALU_DEP_4)
	v_add_co_ci_u32_e32 v18, vcc_lo, v6, v4, vcc_lo
	s_clause 0x9
	global_load_b128 v[1:4], v[19:20], off
	global_load_b128 v[5:8], v[19:20], off offset:256
	global_load_b128 v[129:132], v[17:18], off
	global_load_b128 v[133:136], v[17:18], off offset:256
	global_load_b128 v[33:36], v[19:20], off offset:512
	;; [unrolled: 1-line block ×7, first 2 shown]
	v_cmp_gt_u32_e32 vcc_lo, 9, v148
	s_clause 0x1
	global_load_b128 v[151:154], v[17:18], off offset:1024
	global_load_b128 v[155:158], v[17:18], off offset:1280
	s_ashr_i32 s13, s9, 4
	s_cmp_lt_i32 s9, s30
	v_cndmask_b32_e32 v21, v21, v148, vcc_lo
	s_cselect_b32 s22, s13, s3
	s_delay_alu instid0(SALU_CYCLE_1) | instskip(NEXT) | instid1(VALU_DEP_1)
	s_ashr_i32 s23, s22, 31
	v_lshlrev_b32_e32 v197, 6, v21
	ds_load_b128 v[159:162], v197
	ds_load_b128 v[163:166], v197 offset:1024
	s_clause 0x3
	global_load_b128 v[167:170], v[19:20], off offset:1536
	global_load_b128 v[171:174], v[19:20], off offset:1792
	global_load_b128 v[175:178], v[17:18], off offset:1536
	global_load_b128 v[179:182], v[17:18], off offset:1792
	s_lshl_b64 s[22:23], s[22:23], 2
	s_delay_alu instid0(SALU_CYCLE_1) | instskip(SKIP_2) | instid1(SALU_CYCLE_1)
	s_add_u32 s22, s4, s22
	s_addc_u32 s23, s36, s23
	s_or_b32 s9, s33, 0x70
	s_ashr_i32 s13, s9, 4
	s_cmp_lt_i32 s9, s30
	s_cselect_b32 s24, s13, s3
	s_delay_alu instid0(SALU_CYCLE_1) | instskip(NEXT) | instid1(SALU_CYCLE_1)
	s_ashr_i32 s25, s24, 31
	s_lshl_b64 s[24:25], s[24:25], 2
	s_delay_alu instid0(SALU_CYCLE_1)
	s_add_u32 s24, s4, s24
	s_addc_u32 s25, s36, s25
	s_or_b32 s9, s33, 0x80
	s_load_b32 s46, s[24:25], 0x0
	s_ashr_i32 s13, s9, 4
	s_cmp_lt_i32 s9, s30
	s_cselect_b32 s26, s13, s3
	s_delay_alu instid0(SALU_CYCLE_1) | instskip(NEXT) | instid1(SALU_CYCLE_1)
	s_ashr_i32 s27, s26, 31
	s_lshl_b64 s[26:27], s[26:27], 2
	s_delay_alu instid0(SALU_CYCLE_1)
	s_add_u32 s26, s4, s26
	s_addc_u32 s27, s36, s27
	s_or_b32 s9, s33, 0x90
	s_load_b32 s47, s[26:27], 0x0
	s_ashr_i32 s13, s9, 4
	s_cmp_lt_i32 s9, s30
	s_cselect_b32 s28, s13, s3
	s_delay_alu instid0(SALU_CYCLE_1) | instskip(NEXT) | instid1(SALU_CYCLE_1)
	s_ashr_i32 s29, s28, 31
	s_lshl_b64 s[28:29], s[28:29], 2
	s_delay_alu instid0(SALU_CYCLE_1) | instskip(SKIP_2) | instid1(SALU_CYCLE_1)
	s_add_u32 s28, s4, s28
	s_addc_u32 s29, s36, s29
	s_or_b32 s9, s33, 0xa0
	s_ashr_i32 s13, s9, 4
	s_cmp_lt_i32 s9, s30
	s_cselect_b32 s38, s13, s3
	s_delay_alu instid0(SALU_CYCLE_1) | instskip(NEXT) | instid1(SALU_CYCLE_1)
	s_ashr_i32 s39, s38, 31
	s_lshl_b64 s[38:39], s[38:39], 2
	s_delay_alu instid0(SALU_CYCLE_1)
	s_add_u32 s38, s4, s38
	s_addc_u32 s39, s36, s39
	s_or_b32 s9, s33, 0xb0
	s_load_b32 s39, s[38:39], 0x0
	s_ashr_i32 s13, s9, 4
	s_cmp_lt_i32 s9, s30
	s_mul_hi_i32 s9, s8, s5
	s_cselect_b32 s40, s13, s3
	s_mul_i32 s8, s8, s5
	s_ashr_i32 s41, s40, 31
	s_mul_hi_i32 s13, s12, s5
	s_lshl_b64 s[40:41], s[40:41], 2
	s_mul_i32 s12, s12, s5
	s_add_u32 s42, s4, s40
	s_addc_u32 s43, s36, s41
	s_or_b32 s19, s33, 0xc0
	s_delay_alu instid0(SALU_CYCLE_1)
	s_ashr_i32 s21, s19, 4
	s_cmp_lt_i32 s19, s30
	s_mul_hi_i32 s19, s18, s5
	s_cselect_b32 s40, s21, s3
	s_mul_i32 s18, s18, s5
	s_ashr_i32 s41, s40, 31
	s_mul_hi_i32 s21, s20, s5
	s_lshl_b64 s[40:41], s[40:41], 2
	s_mul_i32 s20, s20, s5
	s_add_u32 s44, s4, s40
	s_load_b32 s40, s[28:29], 0x0
	s_addc_u32 s45, s36, s41
	s_or_b32 s37, s33, 0xd0
	s_load_b32 s41, s[22:23], 0x0
	s_ashr_i32 s22, s37, 4
	s_cmp_lt_i32 s37, s30
	s_mul_hi_i32 s23, s15, s5
	s_cselect_b32 s24, s22, s3
	s_mul_i32 s22, s15, s5
	s_ashr_i32 s25, s24, 31
	s_waitcnt lgkmcnt(0)
	s_mul_hi_i32 s27, s46, s5
	s_lshl_b64 s[24:25], s[24:25], 2
	s_mul_i32 s26, s46, s5
	s_add_u32 s24, s4, s24
	s_addc_u32 s25, s36, s25
	s_or_b32 s48, s33, 0xe0
	s_clause 0x2
	s_load_b32 s38, s[42:43], 0x0
	s_load_b32 s37, s[44:45], 0x0
	;; [unrolled: 1-line block ×3, first 2 shown]
	s_ashr_i32 s49, s48, 4
	s_cmp_lt_i32 s48, s30
	s_mul_hi_i32 s29, s47, s5
	s_cselect_b32 s42, s49, s3
	s_mul_i32 s28, s47, s5
	s_ashr_i32 s43, s42, 31
	s_mul_hi_i32 s25, s41, s5
	s_lshl_b64 s[42:43], s[42:43], 2
	s_mul_i32 s24, s41, s5
	s_add_u32 s42, s4, s42
	s_addc_u32 s43, s36, s43
	s_or_b32 s46, s33, 0xf0
	s_mul_hi_i32 s41, s40, s5
	s_ashr_i32 s47, s46, 4
	s_cmp_lt_i32 s46, s30
	s_mul_i32 s40, s40, s5
	s_cselect_b32 s46, s47, s3
	s_mul_hi_i32 s45, s39, s5
	s_ashr_i32 s47, s46, 31
	s_mul_i32 s44, s39, s5
	s_lshl_b64 s[46:47], s[46:47], 2
	s_waitcnt lgkmcnt(0)
	s_mul_hi_i32 s39, s38, s5
	s_add_u32 s46, s4, s46
	s_addc_u32 s47, s36, s47
	s_add_u32 s3, s10, s6
	s_addc_u32 s4, s11, s7
	v_add_co_u32 v195, s3, s3, v22
	s_delay_alu instid0(VALU_DEP_1) | instskip(SKIP_2) | instid1(VALU_DEP_2)
	v_add_co_ci_u32_e64 v196, null, s4, 0, s3
	s_lshl_b64 s[6:7], s[8:9], 1
	s_lshl_b64 s[8:9], s[12:13], 1
	v_add_co_u32 v17, vcc_lo, v195, s6
	s_delay_alu instid0(VALU_DEP_2)
	v_add_co_ci_u32_e32 v18, vcc_lo, s7, v196, vcc_lo
	v_add_co_u32 v19, vcc_lo, v195, s8
	s_lshl_b64 s[10:11], s[16:17], 1
	v_add_co_ci_u32_e32 v20, vcc_lo, s9, v196, vcc_lo
	v_add_co_u32 v21, vcc_lo, v195, s10
	s_lshl_b64 s[12:13], s[18:19], 1
	;; [unrolled: 3-line block ×9, first 2 shown]
	s_mul_i32 s38, s38, s5
	v_add_co_ci_u32_e32 v54, vcc_lo, s27, v196, vcc_lo
	v_add_co_u32 v183, vcc_lo, v195, s28
	s_mul_hi_i32 s49, s37, s5
	s_mul_i32 s48, s37, s5
	s_lshl_b64 s[36:37], s[38:39], 1
	v_add_co_ci_u32_e32 v184, vcc_lo, s29, v196, vcc_lo
	v_add_co_u32 v185, vcc_lo, v195, s36
	s_lshl_b64 s[38:39], s[48:49], 1
	s_clause 0x1
	s_load_b32 s3, s[42:43], 0x0
	s_load_b32 s4, s[46:47], 0x0
	v_add_co_ci_u32_e32 v186, vcc_lo, s37, v196, vcc_lo
	v_add_co_u32 v191, vcc_lo, v195, s38
	v_add_co_ci_u32_e32 v192, vcc_lo, s39, v196, vcc_lo
	s_clause 0x17
	global_load_b128 v[121:124], v[17:18], off
	global_load_b128 v[125:128], v[17:18], off offset:16
	global_load_b128 v[113:116], v[19:20], off
	global_load_b128 v[117:120], v[19:20], off offset:16
	;; [unrolled: 2-line block ×12, first 2 shown]
	s_mul_hi_i32 s51, s15, s5
	s_mul_i32 s50, s15, s5
	s_delay_alu instid0(SALU_CYCLE_1) | instskip(NEXT) | instid1(SALU_CYCLE_1)
	s_lshl_b64 s[40:41], s[50:51], 1
	v_add_co_u32 v193, vcc_lo, v195, s40
	v_add_co_ci_u32_e32 v194, vcc_lo, s41, v196, vcc_lo
	s_waitcnt lgkmcnt(0)
	s_mul_hi_i32 s7, s3, s5
	s_mul_i32 s6, s3, s5
	s_mul_hi_i32 s9, s4, s5
	s_lshl_b64 s[6:7], s[6:7], 1
	s_mul_i32 s8, s4, s5
	s_delay_alu instid0(SALU_CYCLE_1)
	s_lshl_b64 s[4:5], s[8:9], 1
	s_waitcnt vmcnt(38)
	v_wmma_f32_16x16x16_bf16 v[183:190], v[1:8], v[159:166], v[137:144]
	s_waitcnt vmcnt(36)
	v_wmma_f32_16x16x16_bf16 v[137:144], v[129:136], v[159:166], v[137:144]
	s_clause 0x1
	global_load_b128 v[1:4], v[191:192], off
	global_load_b128 v[5:8], v[191:192], off offset:16
	ds_load_b128 v[129:132], v197 offset:2048
	ds_load_b128 v[133:136], v197 offset:3072
	;; [unrolled: 1-line block ×4, first 2 shown]
	v_add_co_u32 v191, vcc_lo, v195, s6
	v_add_co_ci_u32_e32 v192, vcc_lo, s7, v196, vcc_lo
	v_add_co_u32 v195, vcc_lo, v195, s4
	v_add_co_ci_u32_e32 v196, vcc_lo, s5, v196, vcc_lo
	s_waitcnt vmcnt(36) lgkmcnt(2)
	v_wmma_f32_16x16x16_bf16 v[183:190], v[33:40], v[129:136], v[183:190]
	s_waitcnt vmcnt(34)
	v_wmma_f32_16x16x16_bf16 v[137:144], v[25:32], v[129:136], v[137:144]
	s_clause 0x3
	global_load_b128 v[25:28], v[193:194], off
	global_load_b128 v[29:32], v[193:194], off offset:16
	global_load_b128 v[33:36], v[191:192], off
	global_load_b128 v[37:40], v[191:192], off offset:16
	v_and_b32_e32 v129, 0xe0, v0
	v_mbcnt_lo_u32_b32 v191, -1, 0
	s_waitcnt vmcnt(36) lgkmcnt(0)
	v_wmma_f32_16x16x16_bf16 v[183:190], v[9:16], v[159:166], v[183:190]
	s_clause 0x1
	global_load_b128 v[9:12], v[195:196], off
	global_load_b128 v[13:16], v[195:196], off offset:16
	s_waitcnt vmcnt(36)
	v_wmma_f32_16x16x16_bf16 v[137:144], v[151:158], v[159:166], v[137:144]
	v_add_nc_u32_e32 v192, s33, v129
	ds_load_b128 v[129:132], v197 offset:6144
	ds_load_b128 v[133:136], v197 offset:7168
	v_xor_b32_e32 v151, 16, v191
	s_waitcnt vmcnt(0) lgkmcnt(0)
	s_barrier
	v_or_b32_e32 v152, v192, v146
	buffer_gl0_inv
	v_cmp_gt_i32_e32 vcc_lo, 32, v151
	v_or_b32_e32 v153, 2, v152
	v_or_b32_e32 v154, 4, v152
	;; [unrolled: 1-line block ×5, first 2 shown]
	v_cmp_gt_i32_e64 s3, s30, v153
	v_cmp_gt_i32_e64 s4, s30, v154
	;; [unrolled: 1-line block ×3, first 2 shown]
	v_or_b32_e32 v158, 12, v152
	v_or_b32_e32 v159, 14, v152
	v_cmp_gt_i32_e64 s6, s30, v156
	v_wmma_f32_16x16x16_bf16 v[183:190], v[167:174], v[129:136], v[183:190]
	v_wmma_f32_16x16x16_bf16 v[137:144], v[175:182], v[129:136], v[137:144]
	v_cndmask_b32_e32 v151, v191, v151, vcc_lo
	v_cmp_gt_i32_e32 vcc_lo, s30, v152
	v_cmp_gt_i32_e64 s7, s30, v157
	v_dual_mul_f32 v135, s35, v184 :: v_dual_mul_f32 v136, s35, v183
	v_dual_mul_f32 v133, s35, v186 :: v_dual_mul_f32 v134, s35, v185
	;; [unrolled: 1-line block ×3, first 2 shown]
	s_delay_alu instid0(VALU_DEP_3) | instskip(NEXT) | instid1(VALU_DEP_4)
	v_cndmask_b32_e32 v136, 0xff7fffff, v136, vcc_lo
	v_cndmask_b32_e64 v135, 0xff7fffff, v135, s3
	v_mul_f32_e32 v132, s35, v187
	v_cndmask_b32_e64 v134, 0xff7fffff, v134, s4
	v_cndmask_b32_e64 v133, 0xff7fffff, v133, s5
	v_or_b32_e32 v160, 16, v152
	v_max3_f32 v135, v136, 0xff7fffff, v135
	v_or_b32_e32 v161, 18, v152
	v_mul_f32_e32 v130, s35, v189
	v_dual_mul_f32 v172, s35, v140 :: v_dual_mul_f32 v129, s35, v190
	v_cndmask_b32_e64 v132, 0xff7fffff, v132, s6
	v_cndmask_b32_e64 v131, 0xff7fffff, v131, s7
	v_max3_f32 v133, v135, v134, v133
	v_cmp_gt_i32_e64 s8, s30, v158
	v_lshlrev_b32_e32 v158, 2, v151
	v_cmp_gt_i32_e64 s9, s30, v159
	v_or_b32_e32 v162, 20, v152
	v_or_b32_e32 v163, 22, v152
	v_mul_f32_e32 v175, s35, v137
	v_cndmask_b32_e64 v130, 0xff7fffff, v130, s8
	v_cndmask_b32_e64 v129, 0xff7fffff, v129, s9
	v_max3_f32 v131, v133, v132, v131
	v_cmp_gt_i32_e64 s10, s30, v160
	v_cmp_gt_i32_e64 s11, s30, v161
	v_or_b32_e32 v164, 24, v152
	v_or_b32_e32 v165, 26, v152
	v_mul_f32_e32 v173, s35, v139
	v_cndmask_b32_e64 v132, 0xff7fffff, v175, s10
	v_cndmask_b32_e64 v133, 0xff7fffff, v174, s11
	v_max3_f32 v129, v131, v130, v129
	v_cmp_gt_i32_e64 s12, s30, v162
	v_cmp_gt_i32_e64 s13, s30, v163
	v_or_b32_e32 v166, 28, v152
	v_or_b32_e32 v167, 30, v152
	v_dual_mul_f32 v170, s35, v142 :: v_dual_mul_f32 v171, s35, v141
	v_cndmask_b32_e64 v130, 0xff7fffff, v173, s12
	v_cndmask_b32_e64 v131, 0xff7fffff, v172, s13
	v_max3_f32 v129, v129, v132, v133
	v_cmp_gt_i32_e64 s15, s30, v164
	v_cmp_gt_i32_e64 s16, s30, v165
	v_dual_mul_f32 v168, s35, v144 :: v_dual_mul_f32 v169, s35, v143
	s_delay_alu instid0(VALU_DEP_4) | instskip(NEXT) | instid1(VALU_DEP_4)
	v_max3_f32 v129, v129, v130, v131
	v_cndmask_b32_e64 v132, 0xff7fffff, v171, s15
	s_delay_alu instid0(VALU_DEP_4) | instskip(SKIP_2) | instid1(VALU_DEP_3)
	v_cndmask_b32_e64 v133, 0xff7fffff, v170, s16
	v_cmp_gt_i32_e64 s17, s30, v166
	v_cmp_gt_i32_e64 s18, s30, v167
	v_max3_f32 v129, v129, v132, v133
	s_delay_alu instid0(VALU_DEP_3) | instskip(NEXT) | instid1(VALU_DEP_3)
	v_cndmask_b32_e64 v130, 0xff7fffff, v169, s17
	v_cndmask_b32_e64 v131, 0xff7fffff, v168, s18
	s_delay_alu instid0(VALU_DEP_1) | instskip(SKIP_3) | instid1(VALU_DEP_1)
	v_max3_f32 v129, v129, v130, v131
	ds_bpermute_b32 v130, v158, v129
	s_waitcnt lgkmcnt(0)
	v_max_f32_e32 v130, v130, v130
	v_max_f32_e32 v129, v129, v130
	s_delay_alu instid0(VALU_DEP_1)
	v_fma_f32 v130, s35, v183, -v129
	v_fma_f32 v132, s35, v185, -v129
	v_fma_f32 v134, s35, v187, -v129
	v_fma_f32 v131, s35, v184, -v129
	v_fma_f32 v133, s35, v186, -v129
	v_mul_f32_e32 v130, 0x3fb8aa3b, v130
	v_mul_f32_e32 v132, 0x3fb8aa3b, v132
	;; [unrolled: 1-line block ×3, first 2 shown]
	v_fma_f32 v135, s35, v189, -v129
	s_delay_alu instid0(VALU_DEP_4) | instskip(NEXT) | instid1(VALU_DEP_3)
	v_exp_f32_e32 v130, v130
	v_exp_f32_e32 v132, v132
	s_delay_alu instid0(VALU_DEP_2) | instskip(NEXT) | instid1(TRANS32_DEP_3)
	v_exp_f32_e32 v134, v134
	v_cndmask_b32_e32 v152, 0, v130, vcc_lo
	v_fma_f32 v130, s35, v188, -v129
	s_waitcnt_depctr 0xfff
	v_cndmask_b32_e64 v153, 0, v132, s4
	v_fma_f32 v132, s35, v190, -v129
	v_mul_f32_e32 v131, 0x3fb8aa3b, v131
	v_cndmask_b32_e64 v155, 0, v134, s6
	v_dual_mul_f32 v130, 0x3fb8aa3b, v130 :: v_dual_mul_f32 v133, 0x3fb8aa3b, v133
	s_delay_alu instid0(VALU_DEP_4) | instskip(NEXT) | instid1(VALU_DEP_4)
	v_mul_f32_e32 v132, 0x3fb8aa3b, v132
	v_exp_f32_e32 v131, v131
	v_fma_f32 v134, s35, v138, -v129
	s_delay_alu instid0(VALU_DEP_3) | instskip(SKIP_2) | instid1(VALU_DEP_1)
	v_exp_f32_e32 v130, v130
	v_exp_f32_e32 v133, v133
	;; [unrolled: 1-line block ×3, first 2 shown]
	v_mul_f32_e32 v134, 0x3fb8aa3b, v134
	v_cndmask_b32_e64 v151, 0, v131, s3
	v_add_f32_e32 v131, 0, v152
	s_delay_alu instid0(TRANS32_DEP_3)
	v_cndmask_b32_e64 v156, 0, v130, s7
	s_waitcnt_depctr 0xfff
	v_cndmask_b32_e64 v154, 0, v133, s5
	v_fma_f32 v133, s35, v137, -v129
	v_exp_f32_e32 v134, v134
	v_add_f32_e32 v131, v131, v151
	v_cmp_gt_u32_e64 s3, 16, v150
	s_delay_alu instid0(VALU_DEP_2) | instskip(NEXT) | instid1(VALU_DEP_1)
	v_add_f32_e32 v131, v131, v153
	v_add_f32_e32 v131, v131, v154
	s_delay_alu instid0(VALU_DEP_1) | instskip(SKIP_2) | instid1(VALU_DEP_3)
	v_add_f32_e32 v130, v131, v155
	v_fma_f32 v131, s35, v139, -v129
	v_fma_f32 v139, s35, v144, -v129
	v_dual_add_f32 v130, v130, v156 :: v_dual_mul_f32 v135, 0x3fb8aa3b, v135
	s_delay_alu instid0(VALU_DEP_1)
	v_exp_f32_e32 v135, v135
	s_waitcnt_depctr 0xfff
	v_cndmask_b32_e64 v157, 0, v135, s8
	v_fma_f32 v135, s35, v140, -v129
	v_cndmask_b32_e64 v140, 0, v132, s9
	v_fma_f32 v132, s35, v141, -v129
	s_delay_alu instid0(VALU_DEP_1) | instskip(SKIP_1) | instid1(VALU_DEP_2)
	v_dual_add_f32 v130, v130, v157 :: v_dual_mul_f32 v137, 0x3fb8aa3b, v132
	v_cndmask_b32_e64 v132, 0, v134, s11
	v_dual_add_f32 v130, v130, v140 :: v_dual_mul_f32 v133, 0x3fb8aa3b, v133
	v_mul_f32_e32 v131, 0x3fb8aa3b, v131
	v_fma_f32 v134, s35, v143, -v129
	v_mul_f32_e32 v135, 0x3fb8aa3b, v135
	s_delay_alu instid0(VALU_DEP_4) | instskip(NEXT) | instid1(VALU_DEP_3)
	v_exp_f32_e32 v133, v133
	v_exp_f32_e32 v136, v131
	s_waitcnt_depctr 0xfff
	v_cndmask_b32_e64 v131, 0, v133, s10
	v_fma_f32 v133, s35, v142, -v129
	s_delay_alu instid0(VALU_DEP_2) | instskip(NEXT) | instid1(VALU_DEP_2)
	v_add_f32_e32 v130, v130, v131
	v_mul_f32_e32 v138, 0x3fb8aa3b, v133
	v_cndmask_b32_e64 v133, 0, v136, s12
	v_mul_f32_e32 v136, 0x3fb8aa3b, v134
	v_exp_f32_e32 v135, v135
	v_add_f32_e32 v130, v130, v132
	v_exp_f32_e32 v138, v138
	s_delay_alu instid0(VALU_DEP_2) | instskip(NEXT) | instid1(VALU_DEP_1)
	v_exp_f32_e32 v141, v136
	v_add_f32_e32 v130, v130, v133
	v_exp_f32_e32 v137, v137
	v_cndmask_b32_e64 v134, 0, v135, s13
	s_delay_alu instid0(TRANS32_DEP_3) | instskip(NEXT) | instid1(VALU_DEP_2)
	v_cndmask_b32_e64 v136, 0, v138, s16
	v_add_f32_e32 v130, v130, v134
	s_waitcnt_depctr 0xfff
	v_cndmask_b32_e64 v135, 0, v137, s15
	v_mul_f32_e32 v137, 0x3fb8aa3b, v139
	s_delay_alu instid0(VALU_DEP_2) | instskip(NEXT) | instid1(VALU_DEP_2)
	v_add_f32_e32 v130, v130, v135
	v_exp_f32_e32 v138, v137
	v_cndmask_b32_e64 v137, 0, v141, s17
	s_delay_alu instid0(VALU_DEP_2) | instskip(NEXT) | instid1(VALU_DEP_1)
	v_add_f32_e32 v130, v130, v136
	v_add_f32_e32 v130, v130, v137
	s_waitcnt_depctr 0xfff
	v_cndmask_b32_e64 v138, 0, v138, s18
	s_delay_alu instid0(VALU_DEP_1)
	v_add_f32_e32 v130, v130, v138
	ds_bpermute_b32 v139, v158, v130
	s_and_saveexec_b32 s4, s3
	s_cbranch_execz .LBB430_12
; %bb.11:
	v_mul_u32_u24_e32 v141, 0x44, v149
	s_delay_alu instid0(VALU_DEP_1) | instskip(SKIP_1) | instid1(VALU_DEP_1)
	v_lshl_add_u32 v141, v148, 2, v141
	s_waitcnt lgkmcnt(0)
	v_dual_add_f32 v130, v130, v139 :: v_dual_add_nc_u32 v139, 0x4000, v141
	ds_store_2addr_b32 v139, v129, v130 offset1:136
.LBB430_12:
	s_or_b32 exec_lo, exec_lo, s4
	v_lshlrev_b32_e32 v129, 2, v148
	s_waitcnt lgkmcnt(0)
	s_barrier
	buffer_gl0_inv
	v_cmp_eq_u32_e64 s4, 1, v149
	v_add_nc_u32_e32 v139, 0x4000, v129
	ds_load_2addr_b32 v[141:142], v139 offset1:17
	ds_load_2addr_b32 v[143:144], v139 offset0:34 offset1:51
	ds_load_2addr_b32 v[158:159], v139 offset0:68 offset1:85
	;; [unrolled: 1-line block ×4, first 2 shown]
	s_waitcnt lgkmcnt(4)
	v_max3_f32 v129, v141, 0xff7fffff, v142
	s_waitcnt lgkmcnt(3)
	s_delay_alu instid0(VALU_DEP_1) | instskip(SKIP_1) | instid1(VALU_DEP_1)
	v_max3_f32 v129, v129, v143, v144
	s_waitcnt lgkmcnt(2)
	v_max3_f32 v129, v129, v158, v159
	s_waitcnt lgkmcnt(1)
	s_delay_alu instid0(VALU_DEP_1) | instskip(NEXT) | instid1(VALU_DEP_1)
	v_max3_f32 v129, v129, v160, v161
	v_sub_f32_e32 v158, v158, v129
	s_delay_alu instid0(VALU_DEP_1) | instskip(NEXT) | instid1(VALU_DEP_1)
	v_dual_sub_f32 v150, v142, v129 :: v_dual_mul_f32 v167, 0x3fb8aa3b, v158
	v_dual_sub_f32 v143, v143, v129 :: v_dual_mul_f32 v150, 0x3fb8aa3b, v150
	s_delay_alu instid0(VALU_DEP_1) | instskip(NEXT) | instid1(VALU_DEP_2)
	v_dual_sub_f32 v130, v141, v129 :: v_dual_mul_f32 v165, 0x3fb8aa3b, v143
	v_exp_f32_e32 v150, v150
	s_delay_alu instid0(VALU_DEP_1) | instskip(NEXT) | instid1(VALU_DEP_2)
	v_mul_f32_e32 v130, 0x3fb8aa3b, v130
	v_exp_f32_e32 v165, v165
	s_delay_alu instid0(VALU_DEP_1) | instskip(SKIP_1) | instid1(VALU_DEP_1)
	v_exp_f32_e32 v164, v130
	v_sub_f32_e32 v130, v144, v129
	v_mul_f32_e32 v166, 0x3fb8aa3b, v130
	s_waitcnt lgkmcnt(0)
	s_waitcnt_depctr 0xfff
	v_fma_f32 v130, v164, v162, 0
	v_sub_f32_e32 v162, v159, v129
	s_delay_alu instid0(VALU_DEP_2)
	v_fmac_f32_e32 v130, v150, v163
	ds_load_2addr_b32 v[141:142], v139 offset0:170 offset1:187
	ds_load_2addr_b32 v[143:144], v139 offset0:204 offset1:221
	;; [unrolled: 1-line block ×3, first 2 shown]
	v_sub_f32_e32 v139, v160, v129
	v_exp_f32_e32 v166, v166
	v_mul_f32_e32 v160, 0x3fb8aa3b, v162
	v_exp_f32_e32 v162, v167
	v_cndmask_b32_e64 v150, v164, v150, s4
	v_mul_f32_e32 v139, 0x3fb8aa3b, v139
	v_cmp_eq_u32_e64 s4, 2, v149
	s_waitcnt lgkmcnt(0)
	s_barrier
	buffer_gl0_inv
	v_exp_f32_e32 v139, v139
	v_cndmask_b32_e64 v150, v150, v165, s4
	v_cmp_eq_u32_e64 s4, 3, v149
	v_fmac_f32_e32 v130, v165, v141
	v_sub_f32_e32 v141, v161, v129
	v_exp_f32_e32 v160, v160
	s_delay_alu instid0(VALU_DEP_3) | instskip(SKIP_1) | instid1(VALU_DEP_3)
	v_cndmask_b32_e64 v150, v150, v166, s4
	v_cmp_eq_u32_e64 s4, 4, v149
	v_dual_fmac_f32 v130, v166, v142 :: v_dual_mul_f32 v141, 0x3fb8aa3b, v141
	s_delay_alu instid0(VALU_DEP_2) | instskip(SKIP_1) | instid1(VALU_DEP_3)
	v_cndmask_b32_e64 v150, v150, v162, s4
	v_cmp_eq_u32_e64 s4, 5, v149
	v_exp_f32_e32 v141, v141
	s_delay_alu instid0(VALU_DEP_3)
	v_fmac_f32_e32 v130, v162, v143
	s_delay_alu instid0(TRANS32_DEP_2) | instid1(VALU_DEP_2)
	v_cndmask_b32_e64 v150, v150, v160, s4
	s_delay_alu instid0(VALU_DEP_2) | instskip(NEXT) | instid1(VALU_DEP_1)
	v_fmac_f32_e32 v130, v160, v144
	v_fmac_f32_e32 v130, v139, v158
	s_waitcnt_depctr 0xfff
	v_fmac_f32_e32 v130, v141, v159
	s_delay_alu instid0(VALU_DEP_1) | instskip(NEXT) | instid1(VALU_DEP_1)
	v_add_f32_e32 v142, 0x358637bd, v130
	v_div_scale_f32 v143, null, v142, v142, 1.0
	v_div_scale_f32 v159, vcc_lo, 1.0, v142, 1.0
	s_delay_alu instid0(VALU_DEP_2) | instskip(SKIP_2) | instid1(VALU_DEP_1)
	v_rcp_f32_e32 v144, v143
	s_waitcnt_depctr 0xfff
	v_fma_f32 v158, -v143, v144, 1.0
	v_fmac_f32_e32 v144, v158, v144
	s_delay_alu instid0(VALU_DEP_1) | instskip(NEXT) | instid1(VALU_DEP_1)
	v_mul_f32_e32 v158, v159, v144
	v_fma_f32 v161, -v143, v158, v159
	s_delay_alu instid0(VALU_DEP_1) | instskip(NEXT) | instid1(VALU_DEP_1)
	v_fmac_f32_e32 v158, v161, v144
	v_fma_f32 v143, -v143, v158, v159
	s_delay_alu instid0(VALU_DEP_1) | instskip(SKIP_1) | instid1(VALU_DEP_2)
	v_div_fmas_f32 v143, v143, v144, v158
	v_cmp_eq_u32_e32 vcc_lo, 6, v149
	v_div_fixup_f32 v142, v143, v142, 1.0
	v_cndmask_b32_e32 v139, v150, v139, vcc_lo
	v_cmp_eq_u32_e32 vcc_lo, 7, v149
	s_delay_alu instid0(VALU_DEP_2) | instskip(NEXT) | instid1(VALU_DEP_1)
	v_cndmask_b32_e32 v139, v139, v141, vcc_lo
	v_mul_f32_e32 v139, v139, v142
	s_delay_alu instid0(VALU_DEP_1) | instskip(SKIP_4) | instid1(VALU_DEP_4)
	v_mul_f32_e32 v153, v139, v153
	v_mul_f32_e32 v142, v139, v152
	;; [unrolled: 1-line block ×5, first 2 shown]
	v_dual_mul_f32 v152, v139, v155 :: v_dual_and_b32 v141, 0x7f800000, v142
	v_mul_f32_e32 v154, v139, v154
	v_mul_f32_e32 v144, v139, v151
	s_delay_alu instid0(VALU_DEP_3) | instskip(SKIP_1) | instid1(SALU_CYCLE_1)
	v_cmp_ne_u32_e32 vcc_lo, 0x7f800000, v141
                                        ; implicit-def: $vgpr141
	s_and_saveexec_b32 s4, vcc_lo
	s_xor_b32 s4, exec_lo, s4
; %bb.13:
	v_bfe_u32 v141, v142, 16, 1
	s_delay_alu instid0(VALU_DEP_1)
	v_add3_u32 v141, v142, v141, 0x7fff
                                        ; implicit-def: $vgpr142
; %bb.14:
	s_and_not1_saveexec_b32 s4, s4
; %bb.15:
	v_and_b32_e32 v141, 0xffff, v142
	v_or_b32_e32 v151, 0x10000, v142
	s_delay_alu instid0(VALU_DEP_2) | instskip(NEXT) | instid1(VALU_DEP_2)
	v_cmp_eq_u32_e32 vcc_lo, 0, v141
	v_cndmask_b32_e32 v141, v151, v142, vcc_lo
; %bb.16:
	s_or_b32 exec_lo, exec_lo, s4
	v_and_b32_e32 v142, 0x7f800000, v144
	s_delay_alu instid0(VALU_DEP_1) | instskip(SKIP_1) | instid1(SALU_CYCLE_1)
	v_cmp_ne_u32_e32 vcc_lo, 0x7f800000, v142
                                        ; implicit-def: $vgpr142
	s_and_saveexec_b32 s4, vcc_lo
	s_xor_b32 s4, exec_lo, s4
; %bb.17:
	v_bfe_u32 v142, v144, 16, 1
	s_delay_alu instid0(VALU_DEP_1)
	v_add3_u32 v142, v144, v142, 0x7fff
                                        ; implicit-def: $vgpr144
; %bb.18:
	s_and_not1_saveexec_b32 s4, s4
; %bb.19:
	v_and_b32_e32 v142, 0xffff, v144
	v_or_b32_e32 v151, 0x10000, v144
	s_delay_alu instid0(VALU_DEP_2) | instskip(NEXT) | instid1(VALU_DEP_2)
	v_cmp_eq_u32_e32 vcc_lo, 0, v142
	v_cndmask_b32_e32 v142, v151, v144, vcc_lo
; %bb.20:
	s_or_b32 exec_lo, exec_lo, s4
	v_and_b32_e32 v144, 0x7f800000, v153
	s_delay_alu instid0(VALU_DEP_1) | instskip(SKIP_1) | instid1(SALU_CYCLE_1)
	v_cmp_ne_u32_e32 vcc_lo, 0x7f800000, v144
                                        ; implicit-def: $vgpr144
	s_and_saveexec_b32 s4, vcc_lo
	s_xor_b32 s4, exec_lo, s4
; %bb.21:
	v_bfe_u32 v144, v153, 16, 1
	s_delay_alu instid0(VALU_DEP_1)
	v_add3_u32 v144, v153, v144, 0x7fff
                                        ; implicit-def: $vgpr153
; %bb.22:
	s_and_not1_saveexec_b32 s4, s4
; %bb.23:
	v_and_b32_e32 v144, 0xffff, v153
	v_or_b32_e32 v151, 0x10000, v153
	s_delay_alu instid0(VALU_DEP_2) | instskip(NEXT) | instid1(VALU_DEP_2)
	v_cmp_eq_u32_e32 vcc_lo, 0, v144
	v_cndmask_b32_e32 v144, v151, v153, vcc_lo
; %bb.24:
	s_or_b32 exec_lo, exec_lo, s4
	v_and_b32_e32 v151, 0x7f800000, v154
	s_delay_alu instid0(VALU_DEP_1) | instskip(SKIP_1) | instid1(SALU_CYCLE_1)
	v_cmp_ne_u32_e32 vcc_lo, 0x7f800000, v151
                                        ; implicit-def: $vgpr151
	s_and_saveexec_b32 s4, vcc_lo
	s_xor_b32 s4, exec_lo, s4
; %bb.25:
	v_bfe_u32 v151, v154, 16, 1
	s_delay_alu instid0(VALU_DEP_1)
	v_add3_u32 v151, v154, v151, 0x7fff
                                        ; implicit-def: $vgpr154
; %bb.26:
	s_and_not1_saveexec_b32 s4, s4
; %bb.27:
	v_and_b32_e32 v151, 0xffff, v154
	v_or_b32_e32 v153, 0x10000, v154
	s_delay_alu instid0(VALU_DEP_2) | instskip(NEXT) | instid1(VALU_DEP_2)
	v_cmp_eq_u32_e32 vcc_lo, 0, v151
	v_cndmask_b32_e32 v151, v153, v154, vcc_lo
; %bb.28:
	s_or_b32 exec_lo, exec_lo, s4
	v_and_b32_e32 v153, 0x7f800000, v152
	s_delay_alu instid0(VALU_DEP_1) | instskip(SKIP_1) | instid1(SALU_CYCLE_1)
	v_cmp_ne_u32_e32 vcc_lo, 0x7f800000, v153
                                        ; implicit-def: $vgpr153
	s_and_saveexec_b32 s4, vcc_lo
	s_xor_b32 s4, exec_lo, s4
; %bb.29:
	v_bfe_u32 v153, v152, 16, 1
	s_delay_alu instid0(VALU_DEP_1)
	v_add3_u32 v153, v152, v153, 0x7fff
                                        ; implicit-def: $vgpr152
; %bb.30:
	s_and_not1_saveexec_b32 s4, s4
; %bb.31:
	v_and_b32_e32 v153, 0xffff, v152
	v_or_b32_e32 v154, 0x10000, v152
	s_delay_alu instid0(VALU_DEP_2) | instskip(NEXT) | instid1(VALU_DEP_2)
	v_cmp_eq_u32_e32 vcc_lo, 0, v153
	v_cndmask_b32_e32 v153, v154, v152, vcc_lo
; %bb.32:
	s_or_b32 exec_lo, exec_lo, s4
	v_and_b32_e32 v152, 0x7f800000, v150
	s_delay_alu instid0(VALU_DEP_1) | instskip(SKIP_1) | instid1(SALU_CYCLE_1)
	v_cmp_ne_u32_e32 vcc_lo, 0x7f800000, v152
                                        ; implicit-def: $vgpr152
	s_and_saveexec_b32 s4, vcc_lo
	s_xor_b32 s4, exec_lo, s4
; %bb.33:
	v_bfe_u32 v152, v150, 16, 1
	s_delay_alu instid0(VALU_DEP_1)
	v_add3_u32 v152, v150, v152, 0x7fff
                                        ; implicit-def: $vgpr150
; %bb.34:
	s_and_not1_saveexec_b32 s4, s4
; %bb.35:
	v_and_b32_e32 v152, 0xffff, v150
	v_or_b32_e32 v154, 0x10000, v150
	s_delay_alu instid0(VALU_DEP_2) | instskip(NEXT) | instid1(VALU_DEP_2)
	v_cmp_eq_u32_e32 vcc_lo, 0, v152
	v_cndmask_b32_e32 v152, v154, v150, vcc_lo
; %bb.36:
	s_or_b32 exec_lo, exec_lo, s4
	v_and_b32_e32 v150, 0x7f800000, v143
	s_delay_alu instid0(VALU_DEP_1) | instskip(SKIP_1) | instid1(SALU_CYCLE_1)
	v_cmp_ne_u32_e32 vcc_lo, 0x7f800000, v150
                                        ; implicit-def: $vgpr150
	s_and_saveexec_b32 s4, vcc_lo
	s_xor_b32 s4, exec_lo, s4
; %bb.37:
	v_bfe_u32 v150, v143, 16, 1
	s_delay_alu instid0(VALU_DEP_1)
	v_add3_u32 v150, v143, v150, 0x7fff
                                        ; implicit-def: $vgpr143
; %bb.38:
	s_and_not1_saveexec_b32 s4, s4
; %bb.39:
	v_and_b32_e32 v150, 0xffff, v143
	v_or_b32_e32 v154, 0x10000, v143
	s_delay_alu instid0(VALU_DEP_2) | instskip(NEXT) | instid1(VALU_DEP_2)
	v_cmp_eq_u32_e32 vcc_lo, 0, v150
	v_cndmask_b32_e32 v150, v154, v143, vcc_lo
; %bb.40:
	s_or_b32 exec_lo, exec_lo, s4
	v_and_b32_e32 v143, 0x7f800000, v140
	s_delay_alu instid0(VALU_DEP_1) | instskip(SKIP_1) | instid1(SALU_CYCLE_1)
	v_cmp_ne_u32_e32 vcc_lo, 0x7f800000, v143
                                        ; implicit-def: $vgpr143
	s_and_saveexec_b32 s4, vcc_lo
	s_xor_b32 s4, exec_lo, s4
; %bb.41:
	v_bfe_u32 v143, v140, 16, 1
	s_delay_alu instid0(VALU_DEP_1)
	v_add3_u32 v143, v140, v143, 0x7fff
                                        ; implicit-def: $vgpr140
; %bb.42:
	s_and_not1_saveexec_b32 s4, s4
; %bb.43:
	v_and_b32_e32 v143, 0xffff, v140
	v_or_b32_e32 v154, 0x10000, v140
	s_delay_alu instid0(VALU_DEP_2) | instskip(NEXT) | instid1(VALU_DEP_2)
	v_cmp_eq_u32_e32 vcc_lo, 0, v143
	v_cndmask_b32_e32 v143, v154, v140, vcc_lo
; %bb.44:
	s_or_b32 exec_lo, exec_lo, s4
	s_load_b64 s[36:37], s[0:1], 0x94
	v_dual_mul_f32 v136, v139, v136 :: v_dual_lshlrev_b32 v155, 4, v146
	s_delay_alu instid0(VALU_DEP_2)
	v_perm_b32 v154, v143, v150, 0x7060302
	v_dual_mul_f32 v143, v139, v131 :: v_dual_lshlrev_b32 v140, 6, v148
	v_dual_mul_f32 v135, v139, v135 :: v_dual_lshlrev_b32 v150, 11, v149
	v_perm_b32 v153, v152, v153, 0x7060302
	v_perm_b32 v152, v151, v144, 0x7060302
	;; [unrolled: 1-line block ×3, first 2 shown]
	s_delay_alu instid0(VALU_DEP_4)
	v_or3_b32 v131, v155, v150, v140
	v_mul_f32_e32 v138, v139, v138
	v_dual_mul_f32 v137, v139, v137 :: v_dual_and_b32 v144, 0x7f800000, v143
	v_mul_f32_e32 v141, v139, v134
	v_mul_f32_e32 v142, v139, v133
	;; [unrolled: 1-line block ×3, first 2 shown]
	s_mov_b32 s4, exec_lo
	ds_store_b128 v131, v[151:154]
                                        ; implicit-def: $vgpr132
	v_cmpx_ne_u32_e32 0x7f800000, v144
	s_xor_b32 s4, exec_lo, s4
; %bb.45:
	v_bfe_u32 v132, v143, 16, 1
	s_delay_alu instid0(VALU_DEP_1)
	v_add3_u32 v132, v143, v132, 0x7fff
                                        ; implicit-def: $vgpr143
; %bb.46:
	s_and_not1_saveexec_b32 s4, s4
; %bb.47:
	v_and_b32_e32 v132, 0xffff, v143
	v_or_b32_e32 v133, 0x10000, v143
	s_delay_alu instid0(VALU_DEP_2) | instskip(NEXT) | instid1(VALU_DEP_2)
	v_cmp_eq_u32_e32 vcc_lo, 0, v132
	v_cndmask_b32_e32 v132, v133, v143, vcc_lo
; %bb.48:
	s_or_b32 exec_lo, exec_lo, s4
	v_and_b32_e32 v133, 0x7f800000, v134
	s_delay_alu instid0(VALU_DEP_1) | instskip(SKIP_1) | instid1(SALU_CYCLE_1)
	v_cmp_ne_u32_e32 vcc_lo, 0x7f800000, v133
                                        ; implicit-def: $vgpr133
	s_and_saveexec_b32 s4, vcc_lo
	s_xor_b32 s4, exec_lo, s4
; %bb.49:
	v_bfe_u32 v133, v134, 16, 1
	s_delay_alu instid0(VALU_DEP_1)
	v_add3_u32 v133, v134, v133, 0x7fff
                                        ; implicit-def: $vgpr134
; %bb.50:
	s_and_not1_saveexec_b32 s4, s4
; %bb.51:
	v_and_b32_e32 v133, 0xffff, v134
	v_or_b32_e32 v139, 0x10000, v134
	s_delay_alu instid0(VALU_DEP_2) | instskip(NEXT) | instid1(VALU_DEP_2)
	v_cmp_eq_u32_e32 vcc_lo, 0, v133
	v_cndmask_b32_e32 v133, v139, v134, vcc_lo
; %bb.52:
	s_or_b32 exec_lo, exec_lo, s4
	v_and_b32_e32 v134, 0x7f800000, v142
	s_delay_alu instid0(VALU_DEP_1) | instskip(SKIP_1) | instid1(SALU_CYCLE_1)
	v_cmp_ne_u32_e32 vcc_lo, 0x7f800000, v134
                                        ; implicit-def: $vgpr134
	s_and_saveexec_b32 s4, vcc_lo
	s_xor_b32 s4, exec_lo, s4
; %bb.53:
	v_bfe_u32 v134, v142, 16, 1
	s_delay_alu instid0(VALU_DEP_1)
	v_add3_u32 v134, v142, v134, 0x7fff
                                        ; implicit-def: $vgpr142
; %bb.54:
	s_and_not1_saveexec_b32 s4, s4
; %bb.55:
	v_and_b32_e32 v134, 0xffff, v142
	v_or_b32_e32 v139, 0x10000, v142
	s_delay_alu instid0(VALU_DEP_2) | instskip(NEXT) | instid1(VALU_DEP_2)
	v_cmp_eq_u32_e32 vcc_lo, 0, v134
	v_cndmask_b32_e32 v134, v139, v142, vcc_lo
; %bb.56:
	s_or_b32 exec_lo, exec_lo, s4
	v_and_b32_e32 v139, 0x7f800000, v141
	s_delay_alu instid0(VALU_DEP_1) | instskip(SKIP_1) | instid1(SALU_CYCLE_1)
	v_cmp_ne_u32_e32 vcc_lo, 0x7f800000, v139
                                        ; implicit-def: $vgpr139
	s_and_saveexec_b32 s4, vcc_lo
	s_xor_b32 s4, exec_lo, s4
; %bb.57:
	v_bfe_u32 v139, v141, 16, 1
	s_delay_alu instid0(VALU_DEP_1)
	v_add3_u32 v139, v141, v139, 0x7fff
                                        ; implicit-def: $vgpr141
; %bb.58:
	s_and_not1_saveexec_b32 s4, s4
; %bb.59:
	v_and_b32_e32 v139, 0xffff, v141
	v_or_b32_e32 v142, 0x10000, v141
	s_delay_alu instid0(VALU_DEP_2) | instskip(NEXT) | instid1(VALU_DEP_2)
	v_cmp_eq_u32_e32 vcc_lo, 0, v139
	v_cndmask_b32_e32 v139, v142, v141, vcc_lo
; %bb.60:
	s_or_b32 exec_lo, exec_lo, s4
	v_and_b32_e32 v141, 0x7f800000, v135
	s_delay_alu instid0(VALU_DEP_1) | instskip(SKIP_1) | instid1(SALU_CYCLE_1)
	v_cmp_ne_u32_e32 vcc_lo, 0x7f800000, v141
                                        ; implicit-def: $vgpr141
	s_and_saveexec_b32 s4, vcc_lo
	s_xor_b32 s4, exec_lo, s4
; %bb.61:
	v_bfe_u32 v141, v135, 16, 1
	s_delay_alu instid0(VALU_DEP_1)
	v_add3_u32 v141, v135, v141, 0x7fff
                                        ; implicit-def: $vgpr135
; %bb.62:
	s_and_not1_saveexec_b32 s4, s4
; %bb.63:
	v_and_b32_e32 v141, 0xffff, v135
	v_or_b32_e32 v142, 0x10000, v135
	s_delay_alu instid0(VALU_DEP_2) | instskip(NEXT) | instid1(VALU_DEP_2)
	v_cmp_eq_u32_e32 vcc_lo, 0, v141
	v_cndmask_b32_e32 v141, v142, v135, vcc_lo
; %bb.64:
	s_or_b32 exec_lo, exec_lo, s4
	v_and_b32_e32 v135, 0x7f800000, v136
	s_delay_alu instid0(VALU_DEP_1) | instskip(SKIP_1) | instid1(SALU_CYCLE_1)
	v_cmp_ne_u32_e32 vcc_lo, 0x7f800000, v135
                                        ; implicit-def: $vgpr135
	s_and_saveexec_b32 s4, vcc_lo
	s_xor_b32 s4, exec_lo, s4
; %bb.65:
	v_bfe_u32 v135, v136, 16, 1
	s_delay_alu instid0(VALU_DEP_1)
	v_add3_u32 v135, v136, v135, 0x7fff
                                        ; implicit-def: $vgpr136
; %bb.66:
	s_and_not1_saveexec_b32 s4, s4
; %bb.67:
	v_and_b32_e32 v135, 0xffff, v136
	v_or_b32_e32 v142, 0x10000, v136
	s_delay_alu instid0(VALU_DEP_2) | instskip(NEXT) | instid1(VALU_DEP_2)
	v_cmp_eq_u32_e32 vcc_lo, 0, v135
	v_cndmask_b32_e32 v135, v142, v136, vcc_lo
; %bb.68:
	s_or_b32 exec_lo, exec_lo, s4
	v_and_b32_e32 v136, 0x7f800000, v137
	s_delay_alu instid0(VALU_DEP_1) | instskip(SKIP_1) | instid1(SALU_CYCLE_1)
	v_cmp_ne_u32_e32 vcc_lo, 0x7f800000, v136
                                        ; implicit-def: $vgpr136
	s_and_saveexec_b32 s4, vcc_lo
	s_xor_b32 s4, exec_lo, s4
; %bb.69:
	v_bfe_u32 v136, v137, 16, 1
	s_delay_alu instid0(VALU_DEP_1)
	v_add3_u32 v136, v137, v136, 0x7fff
                                        ; implicit-def: $vgpr137
; %bb.70:
	s_and_not1_saveexec_b32 s4, s4
; %bb.71:
	v_and_b32_e32 v136, 0xffff, v137
	v_or_b32_e32 v142, 0x10000, v137
	s_delay_alu instid0(VALU_DEP_2) | instskip(NEXT) | instid1(VALU_DEP_2)
	v_cmp_eq_u32_e32 vcc_lo, 0, v136
	v_cndmask_b32_e32 v136, v142, v137, vcc_lo
; %bb.72:
	s_or_b32 exec_lo, exec_lo, s4
	v_and_b32_e32 v137, 0x7f800000, v138
	s_delay_alu instid0(VALU_DEP_1) | instskip(SKIP_1) | instid1(SALU_CYCLE_1)
	v_cmp_ne_u32_e32 vcc_lo, 0x7f800000, v137
                                        ; implicit-def: $vgpr137
	s_and_saveexec_b32 s4, vcc_lo
	s_xor_b32 s4, exec_lo, s4
; %bb.73:
	v_bfe_u32 v137, v138, 16, 1
	s_delay_alu instid0(VALU_DEP_1)
	v_add3_u32 v137, v138, v137, 0x7fff
                                        ; implicit-def: $vgpr138
; %bb.74:
	s_and_not1_saveexec_b32 s4, s4
; %bb.75:
	v_and_b32_e32 v137, 0xffff, v138
	v_or_b32_e32 v142, 0x10000, v138
	s_delay_alu instid0(VALU_DEP_2) | instskip(NEXT) | instid1(VALU_DEP_2)
	v_cmp_eq_u32_e32 vcc_lo, 0, v137
	v_cndmask_b32_e32 v137, v142, v138, vcc_lo
; %bb.76:
	s_or_b32 exec_lo, exec_lo, s4
	s_delay_alu instid0(VALU_DEP_1)
	v_perm_b32 v136, v137, v136, 0x7060302
	v_perm_b32 v135, v135, v141, 0x7060302
	;; [unrolled: 1-line block ×4, first 2 shown]
	v_lshl_or_b32 v141, v149, 11, v140
	ds_store_b128 v131, v[133:136] offset:1024
	s_waitcnt lgkmcnt(0)
	s_barrier
	buffer_gl0_inv
	ds_load_b128 v[132:135], v141
	ds_load_b128 v[149:152], v141 offset:16
	s_waitcnt lgkmcnt(1)
	v_lshrrev_b32_e32 v136, 16, v132
	s_waitcnt lgkmcnt(0)
	v_lshrrev_b32_e32 v164, 16, v151
	v_lshlrev_b32_e32 v138, 2, v146
	v_lshrrev_b32_e32 v143, 16, v149
	v_lshrrev_b32_e32 v162, 16, v150
	;; [unrolled: 1-line block ×4, first 2 shown]
	v_or_b32_e32 v139, 1, v138
	v_lshrrev_b32_e32 v165, 16, v152
	v_lshrrev_b32_e32 v163, 16, v135
	s_delay_alu instid0(VALU_DEP_3)
	v_cmp_eq_u32_e64 s8, 1, v139
	v_cmp_eq_u32_e64 s7, 2, v139
	;; [unrolled: 1-line block ×4, first 2 shown]
	v_cmp_eq_u32_e32 vcc_lo, 5, v139
	v_cndmask_b32_e64 v155, v149, v143, s8
	v_cndmask_b32_e64 v154, v132, v136, s8
	v_cmp_eq_u32_e64 s5, 6, v139
	v_cmp_eq_u32_e64 s20, 7, v139
	s_delay_alu instid0(VALU_DEP_4) | instskip(NEXT) | instid1(VALU_DEP_4)
	v_cndmask_b32_e64 v155, v155, v150, s7
	v_cndmask_b32_e64 v154, v154, v133, s7
	s_delay_alu instid0(VALU_DEP_2) | instskip(NEXT) | instid1(VALU_DEP_2)
	v_cndmask_b32_e64 v155, v155, v162, s6
	v_cndmask_b32_e64 v154, v154, v144, s6
	s_delay_alu instid0(VALU_DEP_2) | instskip(NEXT) | instid1(VALU_DEP_2)
	v_cndmask_b32_e64 v155, v155, v151, s4
	v_cndmask_b32_e64 v154, v154, v134, s4
	s_delay_alu instid0(VALU_DEP_2)
	v_cndmask_b32_e32 v157, v155, v164, vcc_lo
	v_cmp_eq_u32_e64 s13, 1, v138
	v_cmp_eq_u32_e64 s12, 2, v138
	;; [unrolled: 1-line block ×3, first 2 shown]
	v_or_b32_e32 v137, 2, v138
	v_cmp_eq_u32_e64 s18, 4, v138
	v_cndmask_b32_e64 v153, v149, v143, s13
	v_cndmask_b32_e64 v142, v132, v136, s13
	v_cmp_eq_u32_e64 s15, 5, v138
	v_cmp_eq_u32_e64 s9, 1, v137
	;; [unrolled: 1-line block ×3, first 2 shown]
	v_cndmask_b32_e64 v153, v153, v150, s12
	v_cndmask_b32_e64 v142, v142, v133, s12
	v_cmp_eq_u32_e64 s11, 2, v137
	v_cndmask_b32_e64 v156, v132, v136, s9
	v_cndmask_b32_e32 v154, v154, v161, vcc_lo
	v_cndmask_b32_e64 v153, v153, v162, s17
	v_cndmask_b32_e64 v142, v142, v144, s17
	v_cmp_eq_u32_e64 s10, 7, v138
	v_cndmask_b32_e64 v156, v156, v133, s11
	v_cmp_eq_u32_e64 s19, 3, v137
	v_cndmask_b32_e64 v153, v153, v151, s18
	v_cndmask_b32_e64 v142, v142, v134, s18
	;; [unrolled: 1-line block ×3, first 2 shown]
	v_cmp_eq_u32_e64 s21, 4, v137
	v_cndmask_b32_e64 v156, v156, v144, s19
	v_cndmask_b32_e64 v153, v153, v164, s15
	;; [unrolled: 1-line block ×4, first 2 shown]
	v_cmp_eq_u32_e64 s23, 5, v137
	v_cndmask_b32_e64 v159, v156, v134, s21
	v_cndmask_b32_e64 v153, v153, v152, s16
	;; [unrolled: 1-line block ×3, first 2 shown]
	v_cmp_eq_u32_e64 s26, 6, v137
	v_cmp_eq_u32_e64 s28, 7, v137
	v_cndmask_b32_e64 v169, v159, v161, s23
	v_cndmask_b32_e64 v167, v153, v165, s10
	;; [unrolled: 1-line block ×4, first 2 shown]
	v_or_b32_e32 v142, 3, v138
	s_delay_alu instid0(VALU_DEP_3)
	v_cndmask_b32_e64 v158, v153, v150, s11
	ds_load_b128 v[153:156], v141 offset:1024
	v_cmp_eq_u32_e64 s22, 1, v142
	v_cmp_eq_u32_e64 s24, 2, v142
	;; [unrolled: 1-line block ×3, first 2 shown]
	v_cndmask_b32_e64 v158, v158, v162, s19
	v_cmp_eq_u32_e64 s27, 4, v142
	v_cndmask_b32_e64 v132, v132, v136, s22
	v_cndmask_b32_e64 v136, v157, v152, s5
	;; [unrolled: 1-line block ×4, first 2 shown]
	ds_load_b128 v[157:160], v141 offset:1040
	v_cndmask_b32_e64 v132, v132, v133, s24
	v_cmp_eq_u32_e64 s29, 5, v142
	v_cndmask_b32_e64 v143, v143, v150, s24
	v_cmp_eq_u32_e64 s30, 6, v142
	v_cndmask_b32_e64 v133, v170, v164, s23
	v_cndmask_b32_e64 v132, v132, v144, s25
	;; [unrolled: 1-line block ×5, first 2 shown]
	s_waitcnt lgkmcnt(1)
	v_lshrrev_b32_e32 v149, 16, v153
	v_cndmask_b32_e64 v132, v132, v134, s27
	v_cndmask_b32_e64 v133, v133, v152, s26
	;; [unrolled: 1-line block ×3, first 2 shown]
	v_lshrrev_b32_e32 v151, 16, v154
	v_cndmask_b32_e64 v143, v153, v149, s13
	v_cndmask_b32_e64 v132, v132, v161, s29
	;; [unrolled: 1-line block ×5, first 2 shown]
	s_waitcnt lgkmcnt(0)
	v_lshrrev_b32_e32 v150, 16, v157
	v_cndmask_b32_e64 v143, v143, v154, s12
	v_cndmask_b32_e64 v132, v132, v135, s30
	;; [unrolled: 1-line block ×3, first 2 shown]
	v_lshrrev_b32_e32 v164, 16, v159
	v_cndmask_b32_e64 v162, v157, v150, s13
	v_cndmask_b32_e64 v135, v143, v151, s17
	;; [unrolled: 1-line block ×3, first 2 shown]
	v_lshrrev_b32_e32 v161, 16, v158
	v_cndmask_b32_e64 v133, v133, v165, s28
	v_cndmask_b32_e64 v152, v162, v158, s12
	v_cmp_eq_u32_e64 s12, 7, v142
	v_cndmask_b32_e64 v143, v143, v151, s6
	v_cndmask_b32_e64 v135, v135, v155, s18
	v_lshrrev_b32_e32 v162, 16, v155
	v_cndmask_b32_e64 v152, v152, v161, s17
	v_cndmask_b32_e64 v132, v132, v163, s12
	;; [unrolled: 1-line block ×6, first 2 shown]
	s_delay_alu instid0(VALU_DEP_4) | instskip(NEXT) | instid1(VALU_DEP_4)
	v_perm_b32 v135, v134, v132, 0x5040100
	v_cndmask_b32_e32 v132, v143, v162, vcc_lo
	s_delay_alu instid0(VALU_DEP_4)
	v_cndmask_b32_e64 v143, v163, v156, s16
	v_lshrrev_b32_e32 v163, 16, v156
	v_cndmask_b32_e64 v152, v152, v164, s15
	v_perm_b32 v134, v133, v144, 0x5040100
	v_cndmask_b32_e64 v132, v132, v156, s5
	v_perm_b32 v133, v136, v168, 0x5040100
	v_cndmask_b32_e64 v136, v143, v163, s10
	v_cndmask_b32_e64 v143, v152, v160, s16
	;; [unrolled: 1-line block ×13, first 2 shown]
	v_lshrrev_b32_e32 v144, 16, v160
	v_cndmask_b32_e64 v132, v132, v151, s19
	v_cndmask_b32_e64 v149, v149, v151, s25
	;; [unrolled: 1-line block ×14, first 2 shown]
	v_cndmask_b32_e32 v150, v150, v164, vcc_lo
	v_cndmask_b32_e64 v132, v132, v156, s26
	v_cndmask_b32_e64 v149, v149, v156, s30
	;; [unrolled: 1-line block ×11, first 2 shown]
	v_perm_b32 v132, v167, v166, 0x5040100
	v_perm_b32 v152, v151, v149, 0x5040100
	;; [unrolled: 1-line block ×5, first 2 shown]
	s_mul_i32 s9, s37, 9
	s_mov_b32 s4, exec_lo
	ds_store_b128 v131, v[132:135]
	ds_store_b128 v131, v[149:152] offset:1024
	v_cmpx_gt_u32_e32 9, v0
	s_cbranch_execz .LBB430_78
; %bb.77:
	s_mul_i32 s5, s9, s34
	s_load_b128 s[16:19], s[0:1], 0x58
	v_add3_u32 v133, s5, s31, v148
	s_delay_alu instid0(VALU_DEP_1) | instskip(NEXT) | instid1(VALU_DEP_1)
	v_mad_u64_u32 v[131:132], null, v133, s36, s[14:15]
	v_ashrrev_i32_e32 v132, 31, v131
	s_delay_alu instid0(VALU_DEP_1) | instskip(SKIP_1) | instid1(VALU_DEP_1)
	v_lshlrev_b64 v[131:132], 2, v[131:132]
	s_waitcnt lgkmcnt(0)
	v_add_co_u32 v133, vcc_lo, s18, v131
	s_delay_alu instid0(VALU_DEP_2)
	v_add_co_ci_u32_e32 v134, vcc_lo, s19, v132, vcc_lo
	v_add_co_u32 v131, vcc_lo, s16, v131
	v_add_co_ci_u32_e32 v132, vcc_lo, s17, v132, vcc_lo
	global_store_b32 v[133:134], v129, off
	global_store_b32 v[131:132], v130, off
.LBB430_78:
	s_or_b32 exec_lo, exec_lo, s4
	s_waitcnt lgkmcnt(0)
	s_waitcnt_vscnt null, 0x0
	s_barrier
	buffer_gl0_inv
	ds_load_b128 v[148:151], v140
	ds_load_b128 v[152:155], v140 offset:16
	ds_load_b128 v[160:163], v140 offset:1040
	;; [unrolled: 1-line block ×3, first 2 shown]
	v_mov_b32_e32 v129, 0
	ds_load_b128 v[168:171], v140 offset:2064
	ds_load_b128 v[164:167], v140 offset:2048
	;; [unrolled: 1-line block ×6, first 2 shown]
	v_mov_b32_e32 v130, v129
	v_mov_b32_e32 v131, v129
	;; [unrolled: 1-line block ×7, first 2 shown]
	s_waitcnt lgkmcnt(8)
	s_delay_alu instid0(VALU_DEP_1)
	v_wmma_f32_16x16x16_bf16 v[129:136], v[121:128], v[148:155], v[129:136]
	ds_load_b128 v[125:128], v140 offset:5136
	ds_load_b128 v[121:124], v140 offset:5120
	s_waitcnt lgkmcnt(8)
	v_wmma_f32_16x16x16_bf16 v[129:136], v[113:120], v[156:163], v[129:136]
	ds_load_b128 v[117:120], v140 offset:6160
	ds_load_b128 v[113:116], v140 offset:6144
	s_waitcnt lgkmcnt(8)
	;; [unrolled: 4-line block ×8, first 2 shown]
	v_wmma_f32_16x16x16_bf16 v[129:136], v[65:72], v[97:104], v[129:136]
	s_waitcnt lgkmcnt(6)
	s_delay_alu instid0(VALU_DEP_1)
	v_wmma_f32_16x16x16_bf16 v[129:136], v[49:56], v[89:96], v[129:136]
	ds_load_b128 v[53:56], v140 offset:13328
	ds_load_b128 v[49:52], v140 offset:13312
	s_waitcnt lgkmcnt(6)
	v_wmma_f32_16x16x16_bf16 v[129:136], v[41:48], v[81:88], v[129:136]
	ds_load_b128 v[45:48], v140 offset:14352
	ds_load_b128 v[41:44], v140 offset:14336
	s_waitcnt lgkmcnt(6)
	;; [unrolled: 4-line block ×3, first 2 shown]
	v_wmma_f32_16x16x16_bf16 v[129:136], v[1:8], v[57:64], v[129:136]
	s_waitcnt lgkmcnt(4)
	s_delay_alu instid0(VALU_DEP_1) | instskip(SKIP_1) | instid1(VALU_DEP_1)
	v_wmma_f32_16x16x16_bf16 v[129:136], v[25:32], v[49:56], v[129:136]
	s_waitcnt lgkmcnt(2)
	v_wmma_f32_16x16x16_bf16 v[129:136], v[33:40], v[41:48], v[129:136]
	s_waitcnt lgkmcnt(0)
	s_delay_alu instid0(VALU_DEP_1) | instskip(NEXT) | instid1(VALU_DEP_1)
	v_wmma_f32_16x16x16_bf16 v[129:136], v[9:16], v[17:24], v[129:136]
	v_and_b32_e32 v1, 0x7f800000, v129
	s_delay_alu instid0(VALU_DEP_1) | instskip(SKIP_1) | instid1(SALU_CYCLE_1)
	v_cmp_ne_u32_e32 vcc_lo, 0x7f800000, v1
                                        ; implicit-def: $vgpr1
	s_and_saveexec_b32 s4, vcc_lo
	s_xor_b32 s4, exec_lo, s4
; %bb.79:
	v_bfe_u32 v1, v129, 16, 1
	s_delay_alu instid0(VALU_DEP_1)
	v_add3_u32 v1, v129, v1, 0x7fff
; %bb.80:
	s_and_not1_saveexec_b32 s4, s4
; %bb.81:
	v_and_b32_e32 v1, 0xffff, v129
	v_or_b32_e32 v2, 0x10000, v129
	s_delay_alu instid0(VALU_DEP_2) | instskip(NEXT) | instid1(VALU_DEP_2)
	v_cmp_eq_u32_e32 vcc_lo, 0, v1
	v_cndmask_b32_e32 v1, v2, v129, vcc_lo
; %bb.82:
	s_or_b32 exec_lo, exec_lo, s4
	v_and_b32_e32 v2, 0x7f800000, v130
	s_delay_alu instid0(VALU_DEP_1) | instskip(SKIP_1) | instid1(SALU_CYCLE_1)
	v_cmp_ne_u32_e32 vcc_lo, 0x7f800000, v2
                                        ; implicit-def: $vgpr2
	s_and_saveexec_b32 s4, vcc_lo
	s_xor_b32 s4, exec_lo, s4
; %bb.83:
	v_bfe_u32 v2, v130, 16, 1
	s_delay_alu instid0(VALU_DEP_1)
	v_add3_u32 v2, v130, v2, 0x7fff
; %bb.84:
	s_and_not1_saveexec_b32 s4, s4
; %bb.85:
	v_and_b32_e32 v2, 0xffff, v130
	v_or_b32_e32 v3, 0x10000, v130
	s_delay_alu instid0(VALU_DEP_2) | instskip(NEXT) | instid1(VALU_DEP_2)
	v_cmp_eq_u32_e32 vcc_lo, 0, v2
	v_cndmask_b32_e32 v2, v3, v130, vcc_lo
; %bb.86:
	s_or_b32 exec_lo, exec_lo, s4
	v_and_b32_e32 v3, 0x7f800000, v131
	s_delay_alu instid0(VALU_DEP_1) | instskip(SKIP_1) | instid1(SALU_CYCLE_1)
	v_cmp_ne_u32_e32 vcc_lo, 0x7f800000, v3
                                        ; implicit-def: $vgpr3
	s_and_saveexec_b32 s4, vcc_lo
	s_xor_b32 s4, exec_lo, s4
; %bb.87:
	v_bfe_u32 v3, v131, 16, 1
	s_delay_alu instid0(VALU_DEP_1)
	v_add3_u32 v3, v131, v3, 0x7fff
; %bb.88:
	s_and_not1_saveexec_b32 s4, s4
; %bb.89:
	v_and_b32_e32 v3, 0xffff, v131
	v_or_b32_e32 v4, 0x10000, v131
	s_delay_alu instid0(VALU_DEP_2) | instskip(NEXT) | instid1(VALU_DEP_2)
	v_cmp_eq_u32_e32 vcc_lo, 0, v3
	v_cndmask_b32_e32 v3, v4, v131, vcc_lo
; %bb.90:
	s_or_b32 exec_lo, exec_lo, s4
	v_and_b32_e32 v4, 0x7f800000, v132
	s_delay_alu instid0(VALU_DEP_1) | instskip(SKIP_1) | instid1(SALU_CYCLE_1)
	v_cmp_ne_u32_e32 vcc_lo, 0x7f800000, v4
                                        ; implicit-def: $vgpr4
	s_and_saveexec_b32 s4, vcc_lo
	s_xor_b32 s4, exec_lo, s4
; %bb.91:
	v_bfe_u32 v4, v132, 16, 1
	s_delay_alu instid0(VALU_DEP_1)
	v_add3_u32 v4, v132, v4, 0x7fff
; %bb.92:
	s_and_not1_saveexec_b32 s4, s4
; %bb.93:
	v_and_b32_e32 v4, 0xffff, v132
	v_or_b32_e32 v5, 0x10000, v132
	s_delay_alu instid0(VALU_DEP_2) | instskip(NEXT) | instid1(VALU_DEP_2)
	v_cmp_eq_u32_e32 vcc_lo, 0, v4
	v_cndmask_b32_e32 v4, v5, v132, vcc_lo
; %bb.94:
	s_or_b32 exec_lo, exec_lo, s4
	v_and_b32_e32 v5, 0x7f800000, v133
	s_delay_alu instid0(VALU_DEP_1) | instskip(SKIP_1) | instid1(SALU_CYCLE_1)
	v_cmp_ne_u32_e32 vcc_lo, 0x7f800000, v5
                                        ; implicit-def: $vgpr5
	s_and_saveexec_b32 s4, vcc_lo
	s_xor_b32 s4, exec_lo, s4
; %bb.95:
	v_bfe_u32 v5, v133, 16, 1
	s_delay_alu instid0(VALU_DEP_1)
	v_add3_u32 v5, v133, v5, 0x7fff
; %bb.96:
	s_and_not1_saveexec_b32 s4, s4
; %bb.97:
	v_and_b32_e32 v5, 0xffff, v133
	v_or_b32_e32 v6, 0x10000, v133
	s_delay_alu instid0(VALU_DEP_2) | instskip(NEXT) | instid1(VALU_DEP_2)
	v_cmp_eq_u32_e32 vcc_lo, 0, v5
	v_cndmask_b32_e32 v5, v6, v133, vcc_lo
; %bb.98:
	s_or_b32 exec_lo, exec_lo, s4
	v_and_b32_e32 v6, 0x7f800000, v134
	s_delay_alu instid0(VALU_DEP_1) | instskip(SKIP_1) | instid1(SALU_CYCLE_1)
	v_cmp_ne_u32_e32 vcc_lo, 0x7f800000, v6
                                        ; implicit-def: $vgpr6
	s_and_saveexec_b32 s4, vcc_lo
	s_xor_b32 s4, exec_lo, s4
; %bb.99:
	v_bfe_u32 v6, v134, 16, 1
	s_delay_alu instid0(VALU_DEP_1)
	v_add3_u32 v6, v134, v6, 0x7fff
; %bb.100:
	s_and_not1_saveexec_b32 s4, s4
; %bb.101:
	v_and_b32_e32 v6, 0xffff, v134
	v_or_b32_e32 v7, 0x10000, v134
	s_delay_alu instid0(VALU_DEP_2) | instskip(NEXT) | instid1(VALU_DEP_2)
	v_cmp_eq_u32_e32 vcc_lo, 0, v6
	v_cndmask_b32_e32 v6, v7, v134, vcc_lo
; %bb.102:
	s_or_b32 exec_lo, exec_lo, s4
	v_and_b32_e32 v7, 0x7f800000, v135
	s_delay_alu instid0(VALU_DEP_1) | instskip(SKIP_1) | instid1(SALU_CYCLE_1)
	v_cmp_ne_u32_e32 vcc_lo, 0x7f800000, v7
                                        ; implicit-def: $vgpr7
	s_and_saveexec_b32 s4, vcc_lo
	s_xor_b32 s4, exec_lo, s4
; %bb.103:
	v_bfe_u32 v7, v135, 16, 1
	s_delay_alu instid0(VALU_DEP_1)
	v_add3_u32 v7, v135, v7, 0x7fff
; %bb.104:
	s_and_not1_saveexec_b32 s4, s4
; %bb.105:
	v_and_b32_e32 v7, 0xffff, v135
	v_or_b32_e32 v8, 0x10000, v135
	s_delay_alu instid0(VALU_DEP_2) | instskip(NEXT) | instid1(VALU_DEP_2)
	v_cmp_eq_u32_e32 vcc_lo, 0, v7
	v_cndmask_b32_e32 v7, v8, v135, vcc_lo
; %bb.106:
	s_or_b32 exec_lo, exec_lo, s4
	v_and_b32_e32 v8, 0x7f800000, v136
	s_delay_alu instid0(VALU_DEP_1) | instskip(SKIP_1) | instid1(SALU_CYCLE_1)
	v_cmp_ne_u32_e32 vcc_lo, 0x7f800000, v8
                                        ; implicit-def: $vgpr8
	s_and_saveexec_b32 s4, vcc_lo
	s_xor_b32 s4, exec_lo, s4
; %bb.107:
	v_bfe_u32 v8, v136, 16, 1
	s_delay_alu instid0(VALU_DEP_1)
	v_add3_u32 v8, v136, v8, 0x7fff
                                        ; implicit-def: $vgpr129_vgpr130_vgpr131_vgpr132_vgpr133_vgpr134_vgpr135_vgpr136
; %bb.108:
	s_and_not1_saveexec_b32 s4, s4
; %bb.109:
	v_and_b32_e32 v8, 0xffff, v136
	v_or_b32_e32 v9, 0x10000, v136
	s_delay_alu instid0(VALU_DEP_2) | instskip(NEXT) | instid1(VALU_DEP_2)
	v_cmp_eq_u32_e32 vcc_lo, 0, v8
	v_cndmask_b32_e32 v8, v9, v136, vcc_lo
; %bb.110:
	s_or_b32 exec_lo, exec_lo, s4
	s_delay_alu instid0(VALU_DEP_1)
	v_perm_b32 v7, v8, v7, 0x7060302
	v_perm_b32 v6, v6, v5, 0x7060302
	;; [unrolled: 1-line block ×4, first 2 shown]
	v_lshl_or_b32 v9, v146, 4, v141
	s_barrier
	buffer_gl0_inv
	v_cmp_eq_u32_e32 vcc_lo, 1, v138
	ds_store_b128 v9, v[4:7]
	s_waitcnt lgkmcnt(0)
	s_barrier
	buffer_gl0_inv
	ds_load_b128 v[1:4], v141
	ds_load_b128 v[5:8], v141 offset:16
	v_cmp_eq_u32_e64 s5, 2, v138
	v_cmp_eq_u32_e64 s4, 1, v139
	;; [unrolled: 1-line block ×5, first 2 shown]
	s_waitcnt lgkmcnt(1)
	v_lshrrev_b32_e32 v10, 16, v1
	s_waitcnt lgkmcnt(0)
	v_lshrrev_b32_e32 v14, 16, v5
	v_lshrrev_b32_e32 v15, 16, v6
	;; [unrolled: 1-line block ×4, first 2 shown]
	v_cndmask_b32_e64 v20, v1, v10, s4
	v_cndmask_b32_e32 v19, v5, v14, vcc_lo
	v_cndmask_b32_e64 v21, v5, v14, s4
	v_lshrrev_b32_e32 v16, 16, v7
	v_cmp_eq_u32_e64 s4, 1, v137
	v_lshrrev_b32_e32 v13, 16, v4
	v_cndmask_b32_e64 v19, v19, v6, s5
	v_lshrrev_b32_e32 v17, 16, v8
	s_delay_alu instid0(VALU_DEP_4) | instskip(SKIP_1) | instid1(VALU_DEP_4)
	v_cndmask_b32_e64 v22, v1, v10, s4
	v_cndmask_b32_e64 v23, v5, v14, s4
	;; [unrolled: 1-line block ×3, first 2 shown]
	v_cndmask_b32_e32 v18, v1, v10, vcc_lo
	v_cmp_eq_u32_e32 vcc_lo, 2, v139
	v_cmp_eq_u32_e64 s4, 2, v142
	v_cndmask_b32_e64 v22, v22, v2, s8
	v_cndmask_b32_e32 v20, v20, v2, vcc_lo
	v_cndmask_b32_e32 v21, v21, v6, vcc_lo
	v_cmp_eq_u32_e32 vcc_lo, 4, v138
	v_cndmask_b32_e32 v19, v19, v7, vcc_lo
	v_cndmask_b32_e64 v18, v18, v2, s5
	v_cmp_eq_u32_e64 s5, 3, v139
	s_delay_alu instid0(VALU_DEP_2) | instskip(NEXT) | instid1(VALU_DEP_2)
	v_cndmask_b32_e64 v18, v18, v11, s6
	v_cndmask_b32_e64 v21, v21, v15, s5
	v_cmp_eq_u32_e64 s6, 5, v138
	s_delay_alu instid0(VALU_DEP_3) | instskip(SKIP_1) | instid1(VALU_DEP_3)
	v_cndmask_b32_e32 v18, v18, v3, vcc_lo
	v_cmp_eq_u32_e32 vcc_lo, 4, v139
	v_cndmask_b32_e64 v19, v19, v16, s6
	s_delay_alu instid0(VALU_DEP_3) | instskip(SKIP_4) | instid1(VALU_DEP_3)
	v_cndmask_b32_e64 v18, v18, v12, s6
	v_cndmask_b32_e32 v21, v21, v7, vcc_lo
	v_cndmask_b32_e64 v20, v20, v11, s5
	v_cmp_eq_u32_e64 s5, 5, v139
	v_cmp_eq_u32_e64 s6, 6, v138
	v_cndmask_b32_e32 v20, v20, v3, vcc_lo
	s_delay_alu instid0(VALU_DEP_3) | instskip(SKIP_1) | instid1(VALU_DEP_4)
	v_cndmask_b32_e64 v21, v21, v16, s5
	v_cmp_eq_u32_e32 vcc_lo, 6, v139
	v_cndmask_b32_e64 v18, v18, v4, s6
	v_cndmask_b32_e64 v19, v19, v8, s6
	v_cndmask_b32_e64 v20, v20, v12, s5
	v_cmp_eq_u32_e64 s5, 1, v142
	v_cmp_eq_u32_e64 s6, 7, v138
	s_delay_alu instid0(VALU_DEP_3) | instskip(NEXT) | instid1(VALU_DEP_3)
	v_cndmask_b32_e32 v20, v20, v4, vcc_lo
	v_cndmask_b32_e64 v1, v1, v10, s5
	v_cndmask_b32_e64 v5, v5, v14, s5
	v_cmp_eq_u32_e64 s5, 3, v137
	v_cndmask_b32_e64 v14, v23, v6, s8
	v_cmp_eq_u32_e64 s8, 3, v142
	v_cndmask_b32_e64 v1, v1, v2, s4
	v_cndmask_b32_e64 v2, v5, v6, s4
	;; [unrolled: 1-line block ×3, first 2 shown]
	v_cmp_eq_u32_e64 s4, 4, v137
	v_cndmask_b32_e64 v6, v14, v15, s5
	v_cndmask_b32_e64 v1, v1, v11, s8
	v_cmp_eq_u32_e64 s5, 4, v142
	v_cndmask_b32_e64 v2, v2, v15, s8
	v_cndmask_b32_e64 v5, v10, v3, s4
	;; [unrolled: 3-line block ×3, first 2 shown]
	v_cndmask_b32_e64 v2, v2, v7, s5
	v_cmp_eq_u32_e64 s4, 5, v142
	v_cndmask_b32_e64 v5, v5, v12, s8
	v_cmp_eq_u32_e64 s5, 6, v137
	;; [unrolled: 2-line block ×3, first 2 shown]
	v_cndmask_b32_e64 v1, v1, v12, s4
	v_cndmask_b32_e64 v2, v2, v16, s4
	;; [unrolled: 1-line block ×4, first 2 shown]
	v_cmp_eq_u32_e64 s4, 7, v142
	v_cndmask_b32_e64 v1, v1, v4, s8
	v_cndmask_b32_e64 v2, v2, v8, s8
	v_cmp_eq_u32_e64 s5, 7, v137
	v_cndmask_b32_e32 v4, v21, v8, vcc_lo
	v_cndmask_b32_e64 v18, v18, v13, s6
	v_cndmask_b32_e64 v20, v20, v13, s7
	;; [unrolled: 1-line block ×8, first 2 shown]
	v_cmp_gt_u32_e32 vcc_lo, 32, v0
	v_perm_b32 v4, v2, v1, 0x5040100
	v_perm_b32 v3, v3, v5, 0x5040100
	;; [unrolled: 1-line block ×4, first 2 shown]
	s_and_b32 s2, vcc_lo, s2
	ds_store_b128 v9, v[1:4]
	s_waitcnt lgkmcnt(0)
	s_barrier
	buffer_gl0_inv
	s_and_saveexec_b32 s4, s2
	s_cbranch_execz .LBB430_2
; %bb.111:
	s_load_b64 s[4:5], s[0:1], 0x68
	v_lshlrev_b32_e32 v0, 10, v0
	v_lshlrev_b32_e32 v1, 4, v147
	s_lshl_b32 s0, s36, 6
	v_add_nc_u32_e32 v2, s31, v146
	s_mul_i32 s1, s0, s34
	s_delay_alu instid0(SALU_CYCLE_1) | instskip(SKIP_1) | instid1(VALU_DEP_2)
	s_mul_i32 s6, s1, s9
	v_and_or_b32 v0, 0x3800, v0, v1
	v_mul_lo_u32 v1, v2, s0
	s_ashr_i32 s7, s6, 31
	v_add_nc_u32_e32 v3, 2, v2
	s_lshl_b64 s[6:7], s[6:7], 1
	v_add_nc_u32_e32 v4, 4, v2
	v_add_nc_u32_e32 v5, 6, v2
	v_lshl_or_b32 v15, v146, 6, v0
	v_mul_lo_u32 v3, v3, s0
	v_ashrrev_i32_e32 v2, 31, v1
	v_mul_lo_u32 v19, v4, s0
	v_mul_lo_u32 v21, v5, s0
	s_waitcnt lgkmcnt(0)
	s_add_u32 s1, s4, s6
	s_addc_u32 s2, s5, s7
	s_lshl_b32 s4, s14, 6
	v_lshlrev_b64 v[5:6], 1, v[1:2]
	s_ashr_i32 s5, s4, 31
	v_ashrrev_i32_e32 v4, 31, v3
	s_lshl_b64 s[4:5], s[4:5], 1
	v_ashrrev_i32_e32 v20, 31, v19
	s_add_u32 s1, s1, s4
	s_addc_u32 s2, s2, s5
	v_add_co_u32 v1, s1, s1, v145
	s_delay_alu instid0(VALU_DEP_1) | instskip(SKIP_1) | instid1(VALU_DEP_3)
	v_add_co_ci_u32_e64 v2, null, s2, 0, s1
	v_lshlrev_b64 v[25:26], 1, v[3:4]
	v_add_co_u32 v23, vcc_lo, v1, v5
	s_delay_alu instid0(VALU_DEP_3)
	v_add_co_ci_u32_e32 v24, vcc_lo, v2, v6, vcc_lo
	ds_load_b128 v[3:6], v15
	ds_load_b128 v[7:10], v15 offset:128
	ds_load_b128 v[11:14], v15 offset:256
	;; [unrolled: 1-line block ×3, first 2 shown]
	v_ashrrev_i32_e32 v22, 31, v21
	v_lshlrev_b64 v[19:20], 1, v[19:20]
	v_add_co_u32 v25, vcc_lo, v1, v25
	v_add_co_ci_u32_e32 v26, vcc_lo, v2, v26, vcc_lo
	s_delay_alu instid0(VALU_DEP_4) | instskip(NEXT) | instid1(VALU_DEP_4)
	v_lshlrev_b64 v[21:22], 1, v[21:22]
	v_add_co_u32 v19, vcc_lo, v1, v19
	v_add_co_ci_u32_e32 v20, vcc_lo, v2, v20, vcc_lo
	s_delay_alu instid0(VALU_DEP_3) | instskip(NEXT) | instid1(VALU_DEP_4)
	v_add_co_u32 v21, vcc_lo, v1, v21
	v_add_co_ci_u32_e32 v22, vcc_lo, v2, v22, vcc_lo
	s_waitcnt lgkmcnt(3)
	global_store_b128 v[23:24], v[3:6], off
	s_waitcnt lgkmcnt(2)
	global_store_b128 v[25:26], v[7:10], off
	;; [unrolled: 2-line block ×4, first 2 shown]
	s_and_b32 exec_lo, exec_lo, s3
	s_cbranch_execz .LBB430_2
; %bb.112:
	ds_load_b128 v[3:6], v0 offset:512
	s_add_i32 s1, s31, 8
	s_delay_alu instid0(SALU_CYCLE_1) | instskip(NEXT) | instid1(SALU_CYCLE_1)
	s_mul_i32 s0, s1, s0
	s_ashr_i32 s1, s0, 31
	s_delay_alu instid0(SALU_CYCLE_1) | instskip(NEXT) | instid1(SALU_CYCLE_1)
	s_lshl_b64 s[0:1], s[0:1], 1
	v_add_co_u32 v0, vcc_lo, v1, s0
	v_add_co_ci_u32_e32 v1, vcc_lo, s1, v2, vcc_lo
	s_waitcnt lgkmcnt(0)
	global_store_b128 v[0:1], v[3:6], off
	s_nop 0
	s_sendmsg sendmsg(MSG_DEALLOC_VGPRS)
	s_endpgm
	.section	.rodata,"a",@progbits
	.p2align	6, 0x0
	.amdhsa_kernel _Z39paged_attention_ll4mi_QKV_mfma16_kernelI14__hip_bfloat16S0_LN4vllm18Fp8KVCacheDataTypeE0EhLi16ELi64ELi256ELb0ELi9EL8MFMAType0EEvPKT_PKT0_S9_ifPKiSB_SB_iPKfiiiPfSE_PS4_PT2_iSD_SD_
		.amdhsa_group_segment_fixed_size 17472
		.amdhsa_private_segment_fixed_size 0
		.amdhsa_kernarg_size 400
		.amdhsa_user_sgpr_count 13
		.amdhsa_user_sgpr_dispatch_ptr 0
		.amdhsa_user_sgpr_queue_ptr 0
		.amdhsa_user_sgpr_kernarg_segment_ptr 1
		.amdhsa_user_sgpr_dispatch_id 0
		.amdhsa_user_sgpr_private_segment_size 0
		.amdhsa_wavefront_size32 1
		.amdhsa_uses_dynamic_stack 0
		.amdhsa_enable_private_segment 0
		.amdhsa_system_sgpr_workgroup_id_x 1
		.amdhsa_system_sgpr_workgroup_id_y 1
		.amdhsa_system_sgpr_workgroup_id_z 1
		.amdhsa_system_sgpr_workgroup_info 0
		.amdhsa_system_vgpr_workitem_id 0
		.amdhsa_next_free_vgpr 198
		.amdhsa_next_free_sgpr 52
		.amdhsa_reserve_vcc 1
		.amdhsa_float_round_mode_32 0
		.amdhsa_float_round_mode_16_64 0
		.amdhsa_float_denorm_mode_32 3
		.amdhsa_float_denorm_mode_16_64 3
		.amdhsa_dx10_clamp 1
		.amdhsa_ieee_mode 1
		.amdhsa_fp16_overflow 0
		.amdhsa_workgroup_processor_mode 1
		.amdhsa_memory_ordered 1
		.amdhsa_forward_progress 0
		.amdhsa_shared_vgpr_count 0
		.amdhsa_exception_fp_ieee_invalid_op 0
		.amdhsa_exception_fp_denorm_src 0
		.amdhsa_exception_fp_ieee_div_zero 0
		.amdhsa_exception_fp_ieee_overflow 0
		.amdhsa_exception_fp_ieee_underflow 0
		.amdhsa_exception_fp_ieee_inexact 0
		.amdhsa_exception_int_div_zero 0
	.end_amdhsa_kernel
	.section	.text._Z39paged_attention_ll4mi_QKV_mfma16_kernelI14__hip_bfloat16S0_LN4vllm18Fp8KVCacheDataTypeE0EhLi16ELi64ELi256ELb0ELi9EL8MFMAType0EEvPKT_PKT0_S9_ifPKiSB_SB_iPKfiiiPfSE_PS4_PT2_iSD_SD_,"axG",@progbits,_Z39paged_attention_ll4mi_QKV_mfma16_kernelI14__hip_bfloat16S0_LN4vllm18Fp8KVCacheDataTypeE0EhLi16ELi64ELi256ELb0ELi9EL8MFMAType0EEvPKT_PKT0_S9_ifPKiSB_SB_iPKfiiiPfSE_PS4_PT2_iSD_SD_,comdat
.Lfunc_end430:
	.size	_Z39paged_attention_ll4mi_QKV_mfma16_kernelI14__hip_bfloat16S0_LN4vllm18Fp8KVCacheDataTypeE0EhLi16ELi64ELi256ELb0ELi9EL8MFMAType0EEvPKT_PKT0_S9_ifPKiSB_SB_iPKfiiiPfSE_PS4_PT2_iSD_SD_, .Lfunc_end430-_Z39paged_attention_ll4mi_QKV_mfma16_kernelI14__hip_bfloat16S0_LN4vllm18Fp8KVCacheDataTypeE0EhLi16ELi64ELi256ELb0ELi9EL8MFMAType0EEvPKT_PKT0_S9_ifPKiSB_SB_iPKfiiiPfSE_PS4_PT2_iSD_SD_
                                        ; -- End function
	.section	.AMDGPU.csdata,"",@progbits
; Kernel info:
; codeLenInByte = 10152
; NumSgprs: 54
; NumVgprs: 198
; ScratchSize: 0
; MemoryBound: 0
; FloatMode: 240
; IeeeMode: 1
; LDSByteSize: 17472 bytes/workgroup (compile time only)
; SGPRBlocks: 6
; VGPRBlocks: 24
; NumSGPRsForWavesPerEU: 54
; NumVGPRsForWavesPerEU: 198
; Occupancy: 7
; WaveLimiterHint : 1
; COMPUTE_PGM_RSRC2:SCRATCH_EN: 0
; COMPUTE_PGM_RSRC2:USER_SGPR: 13
; COMPUTE_PGM_RSRC2:TRAP_HANDLER: 0
; COMPUTE_PGM_RSRC2:TGID_X_EN: 1
; COMPUTE_PGM_RSRC2:TGID_Y_EN: 1
; COMPUTE_PGM_RSRC2:TGID_Z_EN: 1
; COMPUTE_PGM_RSRC2:TIDIG_COMP_CNT: 0
	.section	.text._Z39paged_attention_ll4mi_QKV_mfma16_kernelI14__hip_bfloat16S0_LN4vllm18Fp8KVCacheDataTypeE0EhLi16ELi64ELi256ELb0ELi10EL8MFMAType0EEvPKT_PKT0_S9_ifPKiSB_SB_iPKfiiiPfSE_PS4_PT2_iSD_SD_,"axG",@progbits,_Z39paged_attention_ll4mi_QKV_mfma16_kernelI14__hip_bfloat16S0_LN4vllm18Fp8KVCacheDataTypeE0EhLi16ELi64ELi256ELb0ELi10EL8MFMAType0EEvPKT_PKT0_S9_ifPKiSB_SB_iPKfiiiPfSE_PS4_PT2_iSD_SD_,comdat
	.protected	_Z39paged_attention_ll4mi_QKV_mfma16_kernelI14__hip_bfloat16S0_LN4vllm18Fp8KVCacheDataTypeE0EhLi16ELi64ELi256ELb0ELi10EL8MFMAType0EEvPKT_PKT0_S9_ifPKiSB_SB_iPKfiiiPfSE_PS4_PT2_iSD_SD_ ; -- Begin function _Z39paged_attention_ll4mi_QKV_mfma16_kernelI14__hip_bfloat16S0_LN4vllm18Fp8KVCacheDataTypeE0EhLi16ELi64ELi256ELb0ELi10EL8MFMAType0EEvPKT_PKT0_S9_ifPKiSB_SB_iPKfiiiPfSE_PS4_PT2_iSD_SD_
	.globl	_Z39paged_attention_ll4mi_QKV_mfma16_kernelI14__hip_bfloat16S0_LN4vllm18Fp8KVCacheDataTypeE0EhLi16ELi64ELi256ELb0ELi10EL8MFMAType0EEvPKT_PKT0_S9_ifPKiSB_SB_iPKfiiiPfSE_PS4_PT2_iSD_SD_
	.p2align	8
	.type	_Z39paged_attention_ll4mi_QKV_mfma16_kernelI14__hip_bfloat16S0_LN4vllm18Fp8KVCacheDataTypeE0EhLi16ELi64ELi256ELb0ELi10EL8MFMAType0EEvPKT_PKT0_S9_ifPKiSB_SB_iPKfiiiPfSE_PS4_PT2_iSD_SD_,@function
_Z39paged_attention_ll4mi_QKV_mfma16_kernelI14__hip_bfloat16S0_LN4vllm18Fp8KVCacheDataTypeE0EhLi16ELi64ELi256ELb0ELi10EL8MFMAType0EEvPKT_PKT0_S9_ifPKiSB_SB_iPKfiiiPfSE_PS4_PT2_iSD_SD_: ; @_Z39paged_attention_ll4mi_QKV_mfma16_kernelI14__hip_bfloat16S0_LN4vllm18Fp8KVCacheDataTypeE0EhLi16ELi64ELi256ELb0ELi10EL8MFMAType0EEvPKT_PKT0_S9_ifPKiSB_SB_iPKfiiiPfSE_PS4_PT2_iSD_SD_
; %bb.0:
	s_load_b64 s[2:3], s[0:1], 0x30
	s_mov_b32 s30, s13
	s_waitcnt lgkmcnt(0)
	s_cmp_lg_u64 s[2:3], 0
	s_cselect_b32 s6, -1, 0
	s_ashr_i32 s31, s13, 31
	s_cmp_eq_u64 s[2:3], 0
	s_cbranch_scc1 .LBB431_3
; %bb.1:
	s_lshl_b64 s[4:5], s[30:31], 2
	s_delay_alu instid0(SALU_CYCLE_1) | instskip(SKIP_4) | instid1(SALU_CYCLE_1)
	s_add_u32 s4, s2, s4
	s_addc_u32 s5, s3, s5
	s_load_b64 s[4:5], s[4:5], 0x0
	s_waitcnt lgkmcnt(0)
	s_sub_i32 s4, s5, s4
	s_cmp_eq_u32 s4, 1
	s_cselect_b32 s4, -1, 0
	s_delay_alu instid0(SALU_CYCLE_1)
	s_and_not1_b32 vcc_lo, exec_lo, s4
	s_cbranch_vccz .LBB431_4
.LBB431_2:
	s_endpgm
.LBB431_3:
.LBB431_4:
	s_load_b64 s[8:9], s[0:1], 0x28
	s_lshl_b64 s[4:5], s[30:31], 2
	s_waitcnt lgkmcnt(0)
	s_add_u32 s8, s8, s4
	s_addc_u32 s9, s9, s5
	s_lshl_b32 s34, s14, 8
	s_load_b32 s33, s[8:9], 0x0
	s_waitcnt lgkmcnt(0)
	s_cmp_ge_i32 s34, s33
	s_cbranch_scc1 .LBB431_2
; %bb.5:
	s_clause 0x1
	s_load_b128 s[8:11], s[0:1], 0x8
	s_load_b64 s[12:13], s[0:1], 0x20
	s_and_not1_b32 vcc_lo, exec_lo, s6
	s_cbranch_vccnz .LBB431_7
; %bb.6:
	s_add_u32 s2, s2, s4
	s_addc_u32 s3, s3, s5
	s_load_b32 s3, s[2:3], 0x0
	s_branch .LBB431_8
.LBB431_7:
	s_mov_b32 s3, s30
.LBB431_8:
	s_load_b128 s[4:7], s[0:1], 0x48
	v_and_b32_e32 v148, 15, v0
	v_cmp_gt_u32_e32 vcc_lo, 0xa0, v0
	v_lshrrev_b32_e32 v149, 5, v0
	v_and_b32_e32 v150, 31, v0
	v_and_b32_e32 v147, 1, v0
	v_lshlrev_b32_e32 v1, 3, v148
	v_cmp_gt_u32_e64 s2, 8, v148
	v_bfe_u32 v146, v0, 4, 1
	s_mul_i32 s31, s15, 10
	s_delay_alu instid0(VALU_DEP_3) | instskip(NEXT) | instid1(VALU_DEP_3)
	v_lshlrev_b32_e32 v145, 1, v1
	s_and_b32 s16, vcc_lo, s2
	s_waitcnt lgkmcnt(0)
	s_and_saveexec_b32 s7, s16
	s_cbranch_execz .LBB431_10
; %bb.9:
	s_load_b64 s[16:17], s[0:1], 0x0
	v_lshl_or_b32 v5, v149, 1, v146
	s_mul_hi_i32 s19, s3, s4
	s_mul_i32 s18, s3, s4
	v_lshlrev_b32_e32 v6, 10, v148
	s_lshl_b64 s[18:19], s[18:19], 1
	v_add_lshl_u32 v1, v5, s31, 6
	v_lshlrev_b32_e32 v5, 6, v5
	v_lshlrev_b32_e32 v7, 10, v147
	v_and_b32_e32 v6, 0x3800, v6
	s_delay_alu instid0(VALU_DEP_4) | instskip(NEXT) | instid1(VALU_DEP_2)
	v_ashrrev_i32_e32 v2, 31, v1
	v_or3_b32 v5, v6, v7, v5
	s_delay_alu instid0(VALU_DEP_2) | instskip(SKIP_3) | instid1(VALU_DEP_1)
	v_lshlrev_b64 v[1:2], 1, v[1:2]
	s_waitcnt lgkmcnt(0)
	s_add_u32 s3, s16, s18
	s_addc_u32 s4, s17, s19
	v_add_co_u32 v1, vcc_lo, s3, v1
	s_delay_alu instid0(VALU_DEP_2) | instskip(NEXT) | instid1(VALU_DEP_2)
	v_add_co_ci_u32_e32 v2, vcc_lo, s4, v2, vcc_lo
	v_add_co_u32 v1, vcc_lo, v1, v145
	s_delay_alu instid0(VALU_DEP_2)
	v_add_co_ci_u32_e32 v2, vcc_lo, 0, v2, vcc_lo
	global_load_b128 v[1:4], v[1:2], off
	s_waitcnt vmcnt(0)
	ds_store_b128 v5, v[1:4]
.LBB431_10:
	s_or_b32 exec_lo, exec_lo, s7
	s_mov_b32 s40, 0
	s_add_i32 s3, s33, 15
	s_mov_b32 s41, s40
	s_mov_b32 s42, s40
	;; [unrolled: 1-line block ×7, first 2 shown]
	s_delay_alu instid0(SALU_CYCLE_1)
	v_dual_mov_b32 v144, s47 :: v_dual_and_b32 v1, 0xef, v0
	v_mov_b32_e32 v142, s45
	s_ashr_i32 s7, s3, 31
	s_clause 0x1
	s_load_b32 s4, s[0:1], 0x38
	s_load_b32 s35, s[0:1], 0x1c
	v_add_nc_u32_e32 v1, s34, v1
	s_lshr_b32 s7, s7, 28
	s_waitcnt lgkmcnt(0)
	s_add_i32 s3, s3, s7
	s_barrier
	v_ashrrev_i32_e32 v2, 31, v1
	v_or_b32_e32 v3, 16, v1
	s_ashr_i32 s3, s3, 4
	v_cmp_gt_i32_e32 vcc_lo, s33, v1
	s_add_i32 s3, s3, -1
	v_lshrrev_b32_e32 v2, 28, v2
	v_mov_b32_e32 v143, s46
	buffer_gl0_inv
	s_mul_i32 s6, s15, s6
	v_add_nc_u32_e32 v21, -10, v148
	v_dual_mov_b32 v141, s44 :: v_dual_add_nc_u32 v4, v1, v2
	v_mov_b32_e32 v139, s42
	s_mul_i32 s16, s30, s4
	v_mov_b32_e32 v137, s40
	s_delay_alu instid0(VALU_DEP_3)
	v_ashrrev_i32_e32 v4, 4, v4
	v_add_nc_u32_e32 v2, v3, v2
	v_lshlrev_b32_e32 v22, 5, v148
	s_ashr_i32 s17, s16, 31
	v_mov_b32_e32 v140, s43
	v_cndmask_b32_e32 v1, s3, v4, vcc_lo
	v_ashrrev_i32_e32 v2, 4, v2
	v_cmp_gt_i32_e32 vcc_lo, s33, v3
	s_lshl_b64 s[16:17], s[16:17], 2
	v_lshl_or_b32 v22, v149, 9, v22
	s_add_u32 s4, s12, s16
	s_addc_u32 s36, s13, s17
	v_cndmask_b32_e32 v3, s3, v2, vcc_lo
	v_ashrrev_i32_e32 v2, 31, v1
	s_ashr_i32 s7, s6, 31
	v_mov_b32_e32 v138, s41
	s_lshl_b64 s[6:7], s[6:7], 1
	v_ashrrev_i32_e32 v4, 31, v3
	v_lshlrev_b64 v[1:2], 2, v[1:2]
	s_add_u32 s24, s8, s6
	s_addc_u32 s25, s9, s7
	s_lshl_b32 s8, s14, 4
	v_lshlrev_b64 v[3:4], 2, v[3:4]
	s_ashr_i32 s9, s8, 31
	v_add_co_u32 v1, vcc_lo, s4, v1
	v_add_co_ci_u32_e32 v2, vcc_lo, s36, v2, vcc_lo
	s_delay_alu instid0(VALU_DEP_3) | instskip(NEXT) | instid1(VALU_DEP_4)
	v_add_co_u32 v3, vcc_lo, s4, v3
	v_add_co_ci_u32_e32 v4, vcc_lo, s36, v4, vcc_lo
	s_clause 0x1
	global_load_b32 v5, v[1:2], off
	global_load_b32 v6, v[3:4], off
	s_lshl_b64 s[8:9], s[8:9], 2
	v_lshlrev_b32_e32 v3, 4, v0
	s_add_u32 s8, s4, s8
	s_addc_u32 s9, s36, s9
	s_or_b32 s12, s34, 16
	s_delay_alu instid0(SALU_CYCLE_1) | instskip(SKIP_2) | instid1(SALU_CYCLE_1)
	s_ashr_i32 s13, s12, 4
	s_cmp_lt_i32 s12, s33
	s_cselect_b32 s12, s13, s3
	s_ashr_i32 s13, s12, 31
	s_delay_alu instid0(SALU_CYCLE_1) | instskip(NEXT) | instid1(SALU_CYCLE_1)
	s_lshl_b64 s[12:13], s[12:13], 2
	s_add_u32 s12, s4, s12
	s_addc_u32 s13, s36, s13
	s_or_b32 s15, s34, 32
	s_delay_alu instid0(SALU_CYCLE_1) | instskip(SKIP_2) | instid1(SALU_CYCLE_1)
	s_ashr_i32 s16, s15, 4
	s_cmp_lt_i32 s15, s33
	s_cselect_b32 s16, s16, s3
	s_ashr_i32 s17, s16, 31
	s_delay_alu instid0(SALU_CYCLE_1) | instskip(NEXT) | instid1(SALU_CYCLE_1)
	s_lshl_b64 s[16:17], s[16:17], 2
	;; [unrolled: 10-line block ×5, first 2 shown]
	s_add_u32 s22, s4, s22
	s_addc_u32 s23, s36, s23
	s_clause 0x5
	s_load_b32 s8, s[8:9], 0x0
	s_load_b32 s12, s[12:13], 0x0
	;; [unrolled: 1-line block ×6, first 2 shown]
	s_waitcnt lgkmcnt(0)
	s_mul_hi_i32 s17, s16, s5
	s_mul_i32 s16, s16, s5
	s_waitcnt vmcnt(1)
	v_mad_i64_i32 v[1:2], null, v5, s5, 0
	v_and_b32_e32 v5, 0xf0, v3
	s_waitcnt vmcnt(0)
	v_mad_i64_i32 v[3:4], null, v6, s5, 0
	s_delay_alu instid0(VALU_DEP_2) | instskip(NEXT) | instid1(VALU_DEP_4)
	v_add_co_u32 v5, s9, s24, v5
	v_lshlrev_b64 v[1:2], 1, v[1:2]
	v_add_co_ci_u32_e64 v6, null, s25, 0, s9
	s_delay_alu instid0(VALU_DEP_4) | instskip(SKIP_1) | instid1(VALU_DEP_3)
	v_lshlrev_b64 v[3:4], 1, v[3:4]
	s_or_b32 s9, s34, 0x60
	v_add_co_u32 v19, vcc_lo, v5, v1
	s_delay_alu instid0(VALU_DEP_3) | instskip(NEXT) | instid1(VALU_DEP_3)
	v_add_co_ci_u32_e32 v20, vcc_lo, v6, v2, vcc_lo
	v_add_co_u32 v17, vcc_lo, v5, v3
	s_delay_alu instid0(VALU_DEP_4)
	v_add_co_ci_u32_e32 v18, vcc_lo, v6, v4, vcc_lo
	s_clause 0x9
	global_load_b128 v[1:4], v[19:20], off
	global_load_b128 v[5:8], v[19:20], off offset:256
	global_load_b128 v[129:132], v[17:18], off
	global_load_b128 v[133:136], v[17:18], off offset:256
	global_load_b128 v[33:36], v[19:20], off offset:512
	;; [unrolled: 1-line block ×7, first 2 shown]
	v_cmp_gt_u32_e32 vcc_lo, 10, v148
	s_clause 0x1
	global_load_b128 v[151:154], v[17:18], off offset:1024
	global_load_b128 v[155:158], v[17:18], off offset:1280
	s_ashr_i32 s13, s9, 4
	s_cmp_lt_i32 s9, s33
	v_cndmask_b32_e32 v21, v21, v148, vcc_lo
	s_cselect_b32 s22, s13, s3
	s_delay_alu instid0(SALU_CYCLE_1) | instskip(NEXT) | instid1(VALU_DEP_1)
	s_ashr_i32 s23, s22, 31
	v_lshlrev_b32_e32 v197, 6, v21
	ds_load_b128 v[159:162], v197
	ds_load_b128 v[163:166], v197 offset:1024
	s_clause 0x3
	global_load_b128 v[167:170], v[19:20], off offset:1536
	global_load_b128 v[171:174], v[19:20], off offset:1792
	;; [unrolled: 1-line block ×4, first 2 shown]
	s_lshl_b64 s[22:23], s[22:23], 2
	s_delay_alu instid0(SALU_CYCLE_1) | instskip(SKIP_2) | instid1(SALU_CYCLE_1)
	s_add_u32 s22, s4, s22
	s_addc_u32 s23, s36, s23
	s_or_b32 s9, s34, 0x70
	s_ashr_i32 s13, s9, 4
	s_cmp_lt_i32 s9, s33
	s_cselect_b32 s24, s13, s3
	s_delay_alu instid0(SALU_CYCLE_1) | instskip(NEXT) | instid1(SALU_CYCLE_1)
	s_ashr_i32 s25, s24, 31
	s_lshl_b64 s[24:25], s[24:25], 2
	s_delay_alu instid0(SALU_CYCLE_1)
	s_add_u32 s24, s4, s24
	s_addc_u32 s25, s36, s25
	s_or_b32 s9, s34, 0x80
	s_load_b32 s46, s[24:25], 0x0
	s_ashr_i32 s13, s9, 4
	s_cmp_lt_i32 s9, s33
	s_cselect_b32 s26, s13, s3
	s_delay_alu instid0(SALU_CYCLE_1) | instskip(NEXT) | instid1(SALU_CYCLE_1)
	s_ashr_i32 s27, s26, 31
	s_lshl_b64 s[26:27], s[26:27], 2
	s_delay_alu instid0(SALU_CYCLE_1)
	s_add_u32 s26, s4, s26
	s_addc_u32 s27, s36, s27
	s_or_b32 s9, s34, 0x90
	s_load_b32 s47, s[26:27], 0x0
	s_ashr_i32 s13, s9, 4
	s_cmp_lt_i32 s9, s33
	s_cselect_b32 s28, s13, s3
	s_delay_alu instid0(SALU_CYCLE_1) | instskip(NEXT) | instid1(SALU_CYCLE_1)
	s_ashr_i32 s29, s28, 31
	s_lshl_b64 s[28:29], s[28:29], 2
	s_delay_alu instid0(SALU_CYCLE_1) | instskip(SKIP_2) | instid1(SALU_CYCLE_1)
	s_add_u32 s28, s4, s28
	s_addc_u32 s29, s36, s29
	s_or_b32 s9, s34, 0xa0
	s_ashr_i32 s13, s9, 4
	s_cmp_lt_i32 s9, s33
	s_cselect_b32 s38, s13, s3
	s_delay_alu instid0(SALU_CYCLE_1) | instskip(NEXT) | instid1(SALU_CYCLE_1)
	s_ashr_i32 s39, s38, 31
	s_lshl_b64 s[38:39], s[38:39], 2
	s_delay_alu instid0(SALU_CYCLE_1)
	s_add_u32 s38, s4, s38
	s_addc_u32 s39, s36, s39
	s_or_b32 s9, s34, 0xb0
	s_load_b32 s39, s[38:39], 0x0
	s_ashr_i32 s13, s9, 4
	s_cmp_lt_i32 s9, s33
	s_mul_hi_i32 s9, s8, s5
	s_cselect_b32 s40, s13, s3
	s_mul_i32 s8, s8, s5
	s_ashr_i32 s41, s40, 31
	s_mul_hi_i32 s13, s12, s5
	s_lshl_b64 s[40:41], s[40:41], 2
	s_mul_i32 s12, s12, s5
	s_add_u32 s42, s4, s40
	s_addc_u32 s43, s36, s41
	s_or_b32 s19, s34, 0xc0
	s_delay_alu instid0(SALU_CYCLE_1)
	s_ashr_i32 s21, s19, 4
	s_cmp_lt_i32 s19, s33
	s_mul_hi_i32 s19, s18, s5
	s_cselect_b32 s40, s21, s3
	s_mul_i32 s18, s18, s5
	s_ashr_i32 s41, s40, 31
	s_mul_hi_i32 s21, s20, s5
	s_lshl_b64 s[40:41], s[40:41], 2
	s_mul_i32 s20, s20, s5
	s_add_u32 s44, s4, s40
	s_load_b32 s40, s[28:29], 0x0
	s_addc_u32 s45, s36, s41
	s_or_b32 s37, s34, 0xd0
	s_load_b32 s41, s[22:23], 0x0
	s_ashr_i32 s22, s37, 4
	s_cmp_lt_i32 s37, s33
	s_mul_hi_i32 s23, s15, s5
	s_cselect_b32 s24, s22, s3
	s_mul_i32 s22, s15, s5
	s_ashr_i32 s25, s24, 31
	s_waitcnt lgkmcnt(0)
	s_mul_hi_i32 s27, s46, s5
	s_lshl_b64 s[24:25], s[24:25], 2
	s_mul_i32 s26, s46, s5
	s_add_u32 s24, s4, s24
	s_addc_u32 s25, s36, s25
	s_or_b32 s48, s34, 0xe0
	s_clause 0x2
	s_load_b32 s38, s[42:43], 0x0
	s_load_b32 s37, s[44:45], 0x0
	;; [unrolled: 1-line block ×3, first 2 shown]
	s_ashr_i32 s49, s48, 4
	s_cmp_lt_i32 s48, s33
	s_mul_hi_i32 s29, s47, s5
	s_cselect_b32 s42, s49, s3
	s_mul_i32 s28, s47, s5
	s_ashr_i32 s43, s42, 31
	s_mul_hi_i32 s25, s41, s5
	s_lshl_b64 s[42:43], s[42:43], 2
	s_mul_i32 s24, s41, s5
	s_add_u32 s42, s4, s42
	s_addc_u32 s43, s36, s43
	s_or_b32 s46, s34, 0xf0
	s_mul_hi_i32 s41, s40, s5
	s_ashr_i32 s47, s46, 4
	s_cmp_lt_i32 s46, s33
	s_mul_i32 s40, s40, s5
	s_cselect_b32 s46, s47, s3
	s_mul_hi_i32 s45, s39, s5
	s_ashr_i32 s47, s46, 31
	s_mul_i32 s44, s39, s5
	s_lshl_b64 s[46:47], s[46:47], 2
	s_waitcnt lgkmcnt(0)
	s_mul_hi_i32 s39, s38, s5
	s_add_u32 s46, s4, s46
	s_addc_u32 s47, s36, s47
	s_add_u32 s3, s10, s6
	s_addc_u32 s4, s11, s7
	v_add_co_u32 v195, s3, s3, v22
	s_delay_alu instid0(VALU_DEP_1) | instskip(SKIP_2) | instid1(VALU_DEP_2)
	v_add_co_ci_u32_e64 v196, null, s4, 0, s3
	s_lshl_b64 s[6:7], s[8:9], 1
	s_lshl_b64 s[8:9], s[12:13], 1
	v_add_co_u32 v17, vcc_lo, v195, s6
	s_delay_alu instid0(VALU_DEP_2)
	v_add_co_ci_u32_e32 v18, vcc_lo, s7, v196, vcc_lo
	v_add_co_u32 v19, vcc_lo, v195, s8
	s_lshl_b64 s[10:11], s[16:17], 1
	v_add_co_ci_u32_e32 v20, vcc_lo, s9, v196, vcc_lo
	v_add_co_u32 v21, vcc_lo, v195, s10
	s_lshl_b64 s[12:13], s[18:19], 1
	;; [unrolled: 3-line block ×9, first 2 shown]
	s_mul_i32 s38, s38, s5
	v_add_co_ci_u32_e32 v54, vcc_lo, s27, v196, vcc_lo
	v_add_co_u32 v183, vcc_lo, v195, s28
	s_mul_hi_i32 s49, s37, s5
	s_mul_i32 s48, s37, s5
	s_lshl_b64 s[36:37], s[38:39], 1
	v_add_co_ci_u32_e32 v184, vcc_lo, s29, v196, vcc_lo
	v_add_co_u32 v185, vcc_lo, v195, s36
	s_lshl_b64 s[38:39], s[48:49], 1
	s_clause 0x1
	s_load_b32 s3, s[42:43], 0x0
	s_load_b32 s4, s[46:47], 0x0
	v_add_co_ci_u32_e32 v186, vcc_lo, s37, v196, vcc_lo
	v_add_co_u32 v191, vcc_lo, v195, s38
	v_add_co_ci_u32_e32 v192, vcc_lo, s39, v196, vcc_lo
	s_clause 0x17
	global_load_b128 v[121:124], v[17:18], off
	global_load_b128 v[125:128], v[17:18], off offset:16
	global_load_b128 v[113:116], v[19:20], off
	global_load_b128 v[117:120], v[19:20], off offset:16
	;; [unrolled: 2-line block ×12, first 2 shown]
	s_mul_hi_i32 s51, s15, s5
	s_mul_i32 s50, s15, s5
	s_delay_alu instid0(SALU_CYCLE_1) | instskip(NEXT) | instid1(SALU_CYCLE_1)
	s_lshl_b64 s[40:41], s[50:51], 1
	v_add_co_u32 v193, vcc_lo, v195, s40
	v_add_co_ci_u32_e32 v194, vcc_lo, s41, v196, vcc_lo
	s_waitcnt lgkmcnt(0)
	s_mul_hi_i32 s7, s3, s5
	s_mul_i32 s6, s3, s5
	s_mul_hi_i32 s9, s4, s5
	s_lshl_b64 s[6:7], s[6:7], 1
	s_mul_i32 s8, s4, s5
	s_delay_alu instid0(SALU_CYCLE_1)
	s_lshl_b64 s[4:5], s[8:9], 1
	s_waitcnt vmcnt(38)
	v_wmma_f32_16x16x16_bf16 v[183:190], v[1:8], v[159:166], v[137:144]
	s_waitcnt vmcnt(36)
	v_wmma_f32_16x16x16_bf16 v[137:144], v[129:136], v[159:166], v[137:144]
	s_clause 0x1
	global_load_b128 v[1:4], v[191:192], off
	global_load_b128 v[5:8], v[191:192], off offset:16
	ds_load_b128 v[129:132], v197 offset:2048
	ds_load_b128 v[133:136], v197 offset:3072
	;; [unrolled: 1-line block ×4, first 2 shown]
	v_add_co_u32 v191, vcc_lo, v195, s6
	v_add_co_ci_u32_e32 v192, vcc_lo, s7, v196, vcc_lo
	v_add_co_u32 v195, vcc_lo, v195, s4
	v_add_co_ci_u32_e32 v196, vcc_lo, s5, v196, vcc_lo
	s_waitcnt vmcnt(36) lgkmcnt(2)
	v_wmma_f32_16x16x16_bf16 v[183:190], v[33:40], v[129:136], v[183:190]
	s_waitcnt vmcnt(34)
	v_wmma_f32_16x16x16_bf16 v[137:144], v[25:32], v[129:136], v[137:144]
	s_clause 0x3
	global_load_b128 v[25:28], v[193:194], off
	global_load_b128 v[29:32], v[193:194], off offset:16
	global_load_b128 v[33:36], v[191:192], off
	global_load_b128 v[37:40], v[191:192], off offset:16
	v_and_b32_e32 v129, 0xe0, v0
	v_mbcnt_lo_u32_b32 v191, -1, 0
	s_waitcnt vmcnt(36) lgkmcnt(0)
	v_wmma_f32_16x16x16_bf16 v[183:190], v[9:16], v[159:166], v[183:190]
	s_clause 0x1
	global_load_b128 v[9:12], v[195:196], off
	global_load_b128 v[13:16], v[195:196], off offset:16
	s_waitcnt vmcnt(36)
	v_wmma_f32_16x16x16_bf16 v[137:144], v[151:158], v[159:166], v[137:144]
	v_add_nc_u32_e32 v192, s34, v129
	ds_load_b128 v[129:132], v197 offset:6144
	ds_load_b128 v[133:136], v197 offset:7168
	v_xor_b32_e32 v151, 16, v191
	s_waitcnt vmcnt(0) lgkmcnt(0)
	s_barrier
	v_or_b32_e32 v152, v192, v146
	buffer_gl0_inv
	v_cmp_gt_i32_e32 vcc_lo, 32, v151
	v_or_b32_e32 v153, 2, v152
	v_or_b32_e32 v154, 4, v152
	;; [unrolled: 1-line block ×5, first 2 shown]
	v_cmp_gt_i32_e64 s3, s33, v153
	v_cmp_gt_i32_e64 s4, s33, v154
	;; [unrolled: 1-line block ×3, first 2 shown]
	v_or_b32_e32 v158, 12, v152
	v_or_b32_e32 v159, 14, v152
	v_cmp_gt_i32_e64 s6, s33, v156
	v_wmma_f32_16x16x16_bf16 v[183:190], v[167:174], v[129:136], v[183:190]
	v_wmma_f32_16x16x16_bf16 v[137:144], v[175:182], v[129:136], v[137:144]
	v_cndmask_b32_e32 v151, v191, v151, vcc_lo
	v_cmp_gt_i32_e32 vcc_lo, s33, v152
	v_cmp_gt_i32_e64 s7, s33, v157
	v_dual_mul_f32 v135, s35, v184 :: v_dual_mul_f32 v136, s35, v183
	v_dual_mul_f32 v133, s35, v186 :: v_dual_mul_f32 v134, s35, v185
	;; [unrolled: 1-line block ×3, first 2 shown]
	s_delay_alu instid0(VALU_DEP_3) | instskip(NEXT) | instid1(VALU_DEP_4)
	v_cndmask_b32_e32 v136, 0xff7fffff, v136, vcc_lo
	v_cndmask_b32_e64 v135, 0xff7fffff, v135, s3
	v_mul_f32_e32 v132, s35, v187
	v_cndmask_b32_e64 v134, 0xff7fffff, v134, s4
	v_cndmask_b32_e64 v133, 0xff7fffff, v133, s5
	v_or_b32_e32 v160, 16, v152
	v_max3_f32 v135, v136, 0xff7fffff, v135
	v_or_b32_e32 v161, 18, v152
	v_mul_f32_e32 v130, s35, v189
	v_dual_mul_f32 v172, s35, v140 :: v_dual_mul_f32 v129, s35, v190
	v_cndmask_b32_e64 v132, 0xff7fffff, v132, s6
	v_cndmask_b32_e64 v131, 0xff7fffff, v131, s7
	v_max3_f32 v133, v135, v134, v133
	v_cmp_gt_i32_e64 s8, s33, v158
	v_lshlrev_b32_e32 v158, 2, v151
	v_cmp_gt_i32_e64 s9, s33, v159
	v_or_b32_e32 v162, 20, v152
	v_or_b32_e32 v163, 22, v152
	v_mul_f32_e32 v175, s35, v137
	v_cndmask_b32_e64 v130, 0xff7fffff, v130, s8
	v_cndmask_b32_e64 v129, 0xff7fffff, v129, s9
	v_max3_f32 v131, v133, v132, v131
	v_cmp_gt_i32_e64 s10, s33, v160
	v_cmp_gt_i32_e64 s11, s33, v161
	v_or_b32_e32 v164, 24, v152
	v_or_b32_e32 v165, 26, v152
	v_mul_f32_e32 v173, s35, v139
	v_cndmask_b32_e64 v132, 0xff7fffff, v175, s10
	v_cndmask_b32_e64 v133, 0xff7fffff, v174, s11
	v_max3_f32 v129, v131, v130, v129
	v_cmp_gt_i32_e64 s12, s33, v162
	v_cmp_gt_i32_e64 s13, s33, v163
	v_or_b32_e32 v166, 28, v152
	v_or_b32_e32 v167, 30, v152
	v_dual_mul_f32 v170, s35, v142 :: v_dual_mul_f32 v171, s35, v141
	v_cndmask_b32_e64 v130, 0xff7fffff, v173, s12
	v_cndmask_b32_e64 v131, 0xff7fffff, v172, s13
	v_max3_f32 v129, v129, v132, v133
	v_cmp_gt_i32_e64 s15, s33, v164
	v_cmp_gt_i32_e64 s16, s33, v165
	v_dual_mul_f32 v168, s35, v144 :: v_dual_mul_f32 v169, s35, v143
	s_delay_alu instid0(VALU_DEP_4) | instskip(NEXT) | instid1(VALU_DEP_4)
	v_max3_f32 v129, v129, v130, v131
	v_cndmask_b32_e64 v132, 0xff7fffff, v171, s15
	s_delay_alu instid0(VALU_DEP_4) | instskip(SKIP_2) | instid1(VALU_DEP_3)
	v_cndmask_b32_e64 v133, 0xff7fffff, v170, s16
	v_cmp_gt_i32_e64 s17, s33, v166
	v_cmp_gt_i32_e64 s18, s33, v167
	v_max3_f32 v129, v129, v132, v133
	s_delay_alu instid0(VALU_DEP_3) | instskip(NEXT) | instid1(VALU_DEP_3)
	v_cndmask_b32_e64 v130, 0xff7fffff, v169, s17
	v_cndmask_b32_e64 v131, 0xff7fffff, v168, s18
	s_delay_alu instid0(VALU_DEP_1) | instskip(SKIP_3) | instid1(VALU_DEP_1)
	v_max3_f32 v129, v129, v130, v131
	ds_bpermute_b32 v130, v158, v129
	s_waitcnt lgkmcnt(0)
	v_max_f32_e32 v130, v130, v130
	v_max_f32_e32 v129, v129, v130
	s_delay_alu instid0(VALU_DEP_1)
	v_fma_f32 v130, s35, v183, -v129
	v_fma_f32 v132, s35, v185, -v129
	;; [unrolled: 1-line block ×5, first 2 shown]
	v_mul_f32_e32 v130, 0x3fb8aa3b, v130
	v_mul_f32_e32 v132, 0x3fb8aa3b, v132
	;; [unrolled: 1-line block ×3, first 2 shown]
	v_fma_f32 v135, s35, v189, -v129
	s_delay_alu instid0(VALU_DEP_4) | instskip(NEXT) | instid1(VALU_DEP_3)
	v_exp_f32_e32 v130, v130
	v_exp_f32_e32 v132, v132
	s_delay_alu instid0(VALU_DEP_2) | instskip(NEXT) | instid1(TRANS32_DEP_3)
	v_exp_f32_e32 v134, v134
	v_cndmask_b32_e32 v152, 0, v130, vcc_lo
	v_fma_f32 v130, s35, v188, -v129
	s_waitcnt_depctr 0xfff
	v_cndmask_b32_e64 v153, 0, v132, s4
	v_fma_f32 v132, s35, v190, -v129
	v_mul_f32_e32 v131, 0x3fb8aa3b, v131
	v_cndmask_b32_e64 v155, 0, v134, s6
	v_dual_mul_f32 v130, 0x3fb8aa3b, v130 :: v_dual_mul_f32 v133, 0x3fb8aa3b, v133
	s_delay_alu instid0(VALU_DEP_4) | instskip(NEXT) | instid1(VALU_DEP_4)
	v_mul_f32_e32 v132, 0x3fb8aa3b, v132
	v_exp_f32_e32 v131, v131
	v_fma_f32 v134, s35, v138, -v129
	s_delay_alu instid0(VALU_DEP_3) | instskip(SKIP_2) | instid1(VALU_DEP_1)
	v_exp_f32_e32 v130, v130
	v_exp_f32_e32 v133, v133
	v_exp_f32_e32 v132, v132
	v_mul_f32_e32 v134, 0x3fb8aa3b, v134
	v_cndmask_b32_e64 v151, 0, v131, s3
	v_add_f32_e32 v131, 0, v152
	s_delay_alu instid0(TRANS32_DEP_3)
	v_cndmask_b32_e64 v156, 0, v130, s7
	s_waitcnt_depctr 0xfff
	v_cndmask_b32_e64 v154, 0, v133, s5
	v_fma_f32 v133, s35, v137, -v129
	v_exp_f32_e32 v134, v134
	v_add_f32_e32 v131, v131, v151
	s_mov_b32 s3, exec_lo
	s_delay_alu instid0(VALU_DEP_1) | instskip(NEXT) | instid1(VALU_DEP_1)
	v_add_f32_e32 v131, v131, v153
	v_add_f32_e32 v131, v131, v154
	s_delay_alu instid0(VALU_DEP_1) | instskip(SKIP_2) | instid1(VALU_DEP_3)
	v_add_f32_e32 v130, v131, v155
	v_fma_f32 v131, s35, v139, -v129
	v_fma_f32 v139, s35, v144, -v129
	v_dual_add_f32 v130, v130, v156 :: v_dual_mul_f32 v135, 0x3fb8aa3b, v135
	s_delay_alu instid0(VALU_DEP_1)
	v_exp_f32_e32 v135, v135
	s_waitcnt_depctr 0xfff
	v_cndmask_b32_e64 v157, 0, v135, s8
	v_fma_f32 v135, s35, v140, -v129
	v_cndmask_b32_e64 v140, 0, v132, s9
	v_fma_f32 v132, s35, v141, -v129
	s_delay_alu instid0(VALU_DEP_1) | instskip(SKIP_1) | instid1(VALU_DEP_2)
	v_dual_add_f32 v130, v130, v157 :: v_dual_mul_f32 v137, 0x3fb8aa3b, v132
	v_cndmask_b32_e64 v132, 0, v134, s11
	v_dual_add_f32 v130, v130, v140 :: v_dual_mul_f32 v133, 0x3fb8aa3b, v133
	v_mul_f32_e32 v131, 0x3fb8aa3b, v131
	v_fma_f32 v134, s35, v143, -v129
	v_mul_f32_e32 v135, 0x3fb8aa3b, v135
	s_delay_alu instid0(VALU_DEP_4) | instskip(NEXT) | instid1(VALU_DEP_3)
	v_exp_f32_e32 v133, v133
	v_exp_f32_e32 v136, v131
	s_waitcnt_depctr 0xfff
	v_cndmask_b32_e64 v131, 0, v133, s10
	v_fma_f32 v133, s35, v142, -v129
	s_delay_alu instid0(VALU_DEP_2) | instskip(NEXT) | instid1(VALU_DEP_2)
	v_add_f32_e32 v130, v130, v131
	v_mul_f32_e32 v138, 0x3fb8aa3b, v133
	v_cndmask_b32_e64 v133, 0, v136, s12
	v_mul_f32_e32 v136, 0x3fb8aa3b, v134
	v_exp_f32_e32 v135, v135
	v_add_f32_e32 v130, v130, v132
	v_exp_f32_e32 v138, v138
	s_delay_alu instid0(VALU_DEP_2) | instskip(NEXT) | instid1(VALU_DEP_1)
	v_exp_f32_e32 v141, v136
	v_add_f32_e32 v130, v130, v133
	v_exp_f32_e32 v137, v137
	v_cndmask_b32_e64 v134, 0, v135, s13
	s_delay_alu instid0(TRANS32_DEP_3) | instskip(NEXT) | instid1(VALU_DEP_2)
	v_cndmask_b32_e64 v136, 0, v138, s16
	v_add_f32_e32 v130, v130, v134
	s_waitcnt_depctr 0xfff
	v_cndmask_b32_e64 v135, 0, v137, s15
	v_mul_f32_e32 v137, 0x3fb8aa3b, v139
	s_delay_alu instid0(VALU_DEP_2) | instskip(NEXT) | instid1(VALU_DEP_2)
	v_add_f32_e32 v130, v130, v135
	v_exp_f32_e32 v138, v137
	v_cndmask_b32_e64 v137, 0, v141, s17
	s_delay_alu instid0(VALU_DEP_2) | instskip(NEXT) | instid1(VALU_DEP_1)
	v_add_f32_e32 v130, v130, v136
	v_add_f32_e32 v130, v130, v137
	s_waitcnt_depctr 0xfff
	v_cndmask_b32_e64 v138, 0, v138, s18
	s_delay_alu instid0(VALU_DEP_1)
	v_add_f32_e32 v130, v130, v138
	ds_bpermute_b32 v139, v158, v130
	v_cmpx_gt_u32_e32 16, v150
	s_cbranch_execz .LBB431_12
; %bb.11:
	v_mul_u32_u24_e32 v141, 0x44, v149
	s_delay_alu instid0(VALU_DEP_1) | instskip(SKIP_1) | instid1(VALU_DEP_1)
	v_lshl_add_u32 v141, v148, 2, v141
	s_waitcnt lgkmcnt(0)
	v_dual_add_f32 v130, v130, v139 :: v_dual_add_nc_u32 v139, 0x4000, v141
	ds_store_2addr_b32 v139, v129, v130 offset1:136
.LBB431_12:
	s_or_b32 exec_lo, exec_lo, s3
	v_lshlrev_b32_e32 v129, 2, v148
	s_waitcnt lgkmcnt(0)
	s_barrier
	buffer_gl0_inv
	v_cmp_eq_u32_e64 s3, 1, v149
	v_add_nc_u32_e32 v139, 0x4000, v129
	ds_load_2addr_b32 v[141:142], v139 offset1:17
	ds_load_2addr_b32 v[143:144], v139 offset0:34 offset1:51
	ds_load_2addr_b32 v[158:159], v139 offset0:68 offset1:85
	;; [unrolled: 1-line block ×4, first 2 shown]
	s_waitcnt lgkmcnt(4)
	v_max3_f32 v129, v141, 0xff7fffff, v142
	s_waitcnt lgkmcnt(3)
	s_delay_alu instid0(VALU_DEP_1) | instskip(SKIP_1) | instid1(VALU_DEP_1)
	v_max3_f32 v129, v129, v143, v144
	s_waitcnt lgkmcnt(2)
	v_max3_f32 v129, v129, v158, v159
	s_waitcnt lgkmcnt(1)
	s_delay_alu instid0(VALU_DEP_1) | instskip(NEXT) | instid1(VALU_DEP_1)
	v_max3_f32 v129, v129, v160, v161
	v_sub_f32_e32 v158, v158, v129
	s_delay_alu instid0(VALU_DEP_1) | instskip(NEXT) | instid1(VALU_DEP_1)
	v_dual_sub_f32 v150, v142, v129 :: v_dual_mul_f32 v167, 0x3fb8aa3b, v158
	v_dual_sub_f32 v143, v143, v129 :: v_dual_mul_f32 v150, 0x3fb8aa3b, v150
	s_delay_alu instid0(VALU_DEP_1) | instskip(NEXT) | instid1(VALU_DEP_2)
	v_dual_sub_f32 v130, v141, v129 :: v_dual_mul_f32 v165, 0x3fb8aa3b, v143
	v_exp_f32_e32 v150, v150
	s_delay_alu instid0(VALU_DEP_1) | instskip(NEXT) | instid1(VALU_DEP_2)
	v_mul_f32_e32 v130, 0x3fb8aa3b, v130
	v_exp_f32_e32 v165, v165
	s_delay_alu instid0(VALU_DEP_1) | instskip(SKIP_1) | instid1(VALU_DEP_1)
	v_exp_f32_e32 v164, v130
	v_sub_f32_e32 v130, v144, v129
	v_mul_f32_e32 v166, 0x3fb8aa3b, v130
	s_waitcnt lgkmcnt(0)
	s_waitcnt_depctr 0xfff
	v_fma_f32 v130, v164, v162, 0
	v_sub_f32_e32 v162, v159, v129
	s_delay_alu instid0(VALU_DEP_2)
	v_fmac_f32_e32 v130, v150, v163
	ds_load_2addr_b32 v[141:142], v139 offset0:170 offset1:187
	ds_load_2addr_b32 v[143:144], v139 offset0:204 offset1:221
	;; [unrolled: 1-line block ×3, first 2 shown]
	v_sub_f32_e32 v139, v160, v129
	v_exp_f32_e32 v166, v166
	v_mul_f32_e32 v160, 0x3fb8aa3b, v162
	v_exp_f32_e32 v162, v167
	v_cndmask_b32_e64 v150, v164, v150, s3
	v_mul_f32_e32 v139, 0x3fb8aa3b, v139
	v_cmp_eq_u32_e64 s3, 2, v149
	s_waitcnt lgkmcnt(0)
	s_barrier
	buffer_gl0_inv
	v_exp_f32_e32 v139, v139
	v_cndmask_b32_e64 v150, v150, v165, s3
	v_cmp_eq_u32_e64 s3, 3, v149
	v_fmac_f32_e32 v130, v165, v141
	v_sub_f32_e32 v141, v161, v129
	v_exp_f32_e32 v160, v160
	s_delay_alu instid0(VALU_DEP_3) | instskip(SKIP_1) | instid1(VALU_DEP_3)
	v_cndmask_b32_e64 v150, v150, v166, s3
	v_cmp_eq_u32_e64 s3, 4, v149
	v_dual_fmac_f32 v130, v166, v142 :: v_dual_mul_f32 v141, 0x3fb8aa3b, v141
	s_delay_alu instid0(VALU_DEP_2) | instskip(SKIP_1) | instid1(VALU_DEP_3)
	v_cndmask_b32_e64 v150, v150, v162, s3
	v_cmp_eq_u32_e64 s3, 5, v149
	v_exp_f32_e32 v141, v141
	s_delay_alu instid0(VALU_DEP_3)
	v_fmac_f32_e32 v130, v162, v143
	s_delay_alu instid0(TRANS32_DEP_2) | instid1(VALU_DEP_2)
	v_cndmask_b32_e64 v150, v150, v160, s3
	s_delay_alu instid0(VALU_DEP_2) | instskip(NEXT) | instid1(VALU_DEP_1)
	v_fmac_f32_e32 v130, v160, v144
	v_fmac_f32_e32 v130, v139, v158
	s_waitcnt_depctr 0xfff
	v_fmac_f32_e32 v130, v141, v159
	s_delay_alu instid0(VALU_DEP_1) | instskip(NEXT) | instid1(VALU_DEP_1)
	v_add_f32_e32 v142, 0x358637bd, v130
	v_div_scale_f32 v143, null, v142, v142, 1.0
	v_div_scale_f32 v159, vcc_lo, 1.0, v142, 1.0
	s_delay_alu instid0(VALU_DEP_2) | instskip(SKIP_2) | instid1(VALU_DEP_1)
	v_rcp_f32_e32 v144, v143
	s_waitcnt_depctr 0xfff
	v_fma_f32 v158, -v143, v144, 1.0
	v_fmac_f32_e32 v144, v158, v144
	s_delay_alu instid0(VALU_DEP_1) | instskip(NEXT) | instid1(VALU_DEP_1)
	v_mul_f32_e32 v158, v159, v144
	v_fma_f32 v161, -v143, v158, v159
	s_delay_alu instid0(VALU_DEP_1) | instskip(NEXT) | instid1(VALU_DEP_1)
	v_fmac_f32_e32 v158, v161, v144
	v_fma_f32 v143, -v143, v158, v159
	s_delay_alu instid0(VALU_DEP_1) | instskip(SKIP_1) | instid1(VALU_DEP_2)
	v_div_fmas_f32 v143, v143, v144, v158
	v_cmp_eq_u32_e32 vcc_lo, 6, v149
	v_div_fixup_f32 v142, v143, v142, 1.0
	v_cndmask_b32_e32 v139, v150, v139, vcc_lo
	v_cmp_eq_u32_e32 vcc_lo, 7, v149
	s_delay_alu instid0(VALU_DEP_2) | instskip(NEXT) | instid1(VALU_DEP_1)
	v_cndmask_b32_e32 v139, v139, v141, vcc_lo
	v_mul_f32_e32 v139, v139, v142
	s_delay_alu instid0(VALU_DEP_1) | instskip(SKIP_4) | instid1(VALU_DEP_4)
	v_mul_f32_e32 v153, v139, v153
	v_mul_f32_e32 v142, v139, v152
	;; [unrolled: 1-line block ×5, first 2 shown]
	v_dual_mul_f32 v152, v139, v155 :: v_dual_and_b32 v141, 0x7f800000, v142
	v_mul_f32_e32 v154, v139, v154
	v_mul_f32_e32 v144, v139, v151
	s_delay_alu instid0(VALU_DEP_3) | instskip(SKIP_1) | instid1(SALU_CYCLE_1)
	v_cmp_ne_u32_e32 vcc_lo, 0x7f800000, v141
                                        ; implicit-def: $vgpr141
	s_and_saveexec_b32 s3, vcc_lo
	s_xor_b32 s3, exec_lo, s3
; %bb.13:
	v_bfe_u32 v141, v142, 16, 1
	s_delay_alu instid0(VALU_DEP_1)
	v_add3_u32 v141, v142, v141, 0x7fff
                                        ; implicit-def: $vgpr142
; %bb.14:
	s_and_not1_saveexec_b32 s3, s3
; %bb.15:
	v_and_b32_e32 v141, 0xffff, v142
	v_or_b32_e32 v151, 0x10000, v142
	s_delay_alu instid0(VALU_DEP_2) | instskip(NEXT) | instid1(VALU_DEP_2)
	v_cmp_eq_u32_e32 vcc_lo, 0, v141
	v_cndmask_b32_e32 v141, v151, v142, vcc_lo
; %bb.16:
	s_or_b32 exec_lo, exec_lo, s3
	v_and_b32_e32 v142, 0x7f800000, v144
	s_delay_alu instid0(VALU_DEP_1) | instskip(SKIP_1) | instid1(SALU_CYCLE_1)
	v_cmp_ne_u32_e32 vcc_lo, 0x7f800000, v142
                                        ; implicit-def: $vgpr142
	s_and_saveexec_b32 s3, vcc_lo
	s_xor_b32 s3, exec_lo, s3
; %bb.17:
	v_bfe_u32 v142, v144, 16, 1
	s_delay_alu instid0(VALU_DEP_1)
	v_add3_u32 v142, v144, v142, 0x7fff
                                        ; implicit-def: $vgpr144
; %bb.18:
	s_and_not1_saveexec_b32 s3, s3
; %bb.19:
	v_and_b32_e32 v142, 0xffff, v144
	v_or_b32_e32 v151, 0x10000, v144
	s_delay_alu instid0(VALU_DEP_2) | instskip(NEXT) | instid1(VALU_DEP_2)
	v_cmp_eq_u32_e32 vcc_lo, 0, v142
	v_cndmask_b32_e32 v142, v151, v144, vcc_lo
; %bb.20:
	s_or_b32 exec_lo, exec_lo, s3
	v_and_b32_e32 v144, 0x7f800000, v153
	s_delay_alu instid0(VALU_DEP_1) | instskip(SKIP_1) | instid1(SALU_CYCLE_1)
	v_cmp_ne_u32_e32 vcc_lo, 0x7f800000, v144
                                        ; implicit-def: $vgpr144
	s_and_saveexec_b32 s3, vcc_lo
	s_xor_b32 s3, exec_lo, s3
; %bb.21:
	v_bfe_u32 v144, v153, 16, 1
	s_delay_alu instid0(VALU_DEP_1)
	v_add3_u32 v144, v153, v144, 0x7fff
                                        ; implicit-def: $vgpr153
; %bb.22:
	s_and_not1_saveexec_b32 s3, s3
; %bb.23:
	v_and_b32_e32 v144, 0xffff, v153
	v_or_b32_e32 v151, 0x10000, v153
	s_delay_alu instid0(VALU_DEP_2) | instskip(NEXT) | instid1(VALU_DEP_2)
	v_cmp_eq_u32_e32 vcc_lo, 0, v144
	v_cndmask_b32_e32 v144, v151, v153, vcc_lo
; %bb.24:
	s_or_b32 exec_lo, exec_lo, s3
	v_and_b32_e32 v151, 0x7f800000, v154
	s_delay_alu instid0(VALU_DEP_1) | instskip(SKIP_1) | instid1(SALU_CYCLE_1)
	v_cmp_ne_u32_e32 vcc_lo, 0x7f800000, v151
                                        ; implicit-def: $vgpr151
	s_and_saveexec_b32 s3, vcc_lo
	s_xor_b32 s3, exec_lo, s3
; %bb.25:
	v_bfe_u32 v151, v154, 16, 1
	s_delay_alu instid0(VALU_DEP_1)
	v_add3_u32 v151, v154, v151, 0x7fff
                                        ; implicit-def: $vgpr154
; %bb.26:
	s_and_not1_saveexec_b32 s3, s3
; %bb.27:
	v_and_b32_e32 v151, 0xffff, v154
	v_or_b32_e32 v153, 0x10000, v154
	s_delay_alu instid0(VALU_DEP_2) | instskip(NEXT) | instid1(VALU_DEP_2)
	v_cmp_eq_u32_e32 vcc_lo, 0, v151
	v_cndmask_b32_e32 v151, v153, v154, vcc_lo
; %bb.28:
	s_or_b32 exec_lo, exec_lo, s3
	v_and_b32_e32 v153, 0x7f800000, v152
	s_delay_alu instid0(VALU_DEP_1) | instskip(SKIP_1) | instid1(SALU_CYCLE_1)
	v_cmp_ne_u32_e32 vcc_lo, 0x7f800000, v153
                                        ; implicit-def: $vgpr153
	s_and_saveexec_b32 s3, vcc_lo
	s_xor_b32 s3, exec_lo, s3
; %bb.29:
	v_bfe_u32 v153, v152, 16, 1
	s_delay_alu instid0(VALU_DEP_1)
	v_add3_u32 v153, v152, v153, 0x7fff
                                        ; implicit-def: $vgpr152
; %bb.30:
	s_and_not1_saveexec_b32 s3, s3
; %bb.31:
	v_and_b32_e32 v153, 0xffff, v152
	v_or_b32_e32 v154, 0x10000, v152
	s_delay_alu instid0(VALU_DEP_2) | instskip(NEXT) | instid1(VALU_DEP_2)
	v_cmp_eq_u32_e32 vcc_lo, 0, v153
	v_cndmask_b32_e32 v153, v154, v152, vcc_lo
; %bb.32:
	s_or_b32 exec_lo, exec_lo, s3
	v_and_b32_e32 v152, 0x7f800000, v150
	s_delay_alu instid0(VALU_DEP_1) | instskip(SKIP_1) | instid1(SALU_CYCLE_1)
	v_cmp_ne_u32_e32 vcc_lo, 0x7f800000, v152
                                        ; implicit-def: $vgpr152
	s_and_saveexec_b32 s3, vcc_lo
	s_xor_b32 s3, exec_lo, s3
; %bb.33:
	v_bfe_u32 v152, v150, 16, 1
	s_delay_alu instid0(VALU_DEP_1)
	v_add3_u32 v152, v150, v152, 0x7fff
                                        ; implicit-def: $vgpr150
; %bb.34:
	s_and_not1_saveexec_b32 s3, s3
; %bb.35:
	v_and_b32_e32 v152, 0xffff, v150
	v_or_b32_e32 v154, 0x10000, v150
	s_delay_alu instid0(VALU_DEP_2) | instskip(NEXT) | instid1(VALU_DEP_2)
	v_cmp_eq_u32_e32 vcc_lo, 0, v152
	v_cndmask_b32_e32 v152, v154, v150, vcc_lo
; %bb.36:
	s_or_b32 exec_lo, exec_lo, s3
	v_and_b32_e32 v150, 0x7f800000, v143
	s_delay_alu instid0(VALU_DEP_1) | instskip(SKIP_1) | instid1(SALU_CYCLE_1)
	v_cmp_ne_u32_e32 vcc_lo, 0x7f800000, v150
                                        ; implicit-def: $vgpr150
	s_and_saveexec_b32 s3, vcc_lo
	s_xor_b32 s3, exec_lo, s3
; %bb.37:
	v_bfe_u32 v150, v143, 16, 1
	s_delay_alu instid0(VALU_DEP_1)
	v_add3_u32 v150, v143, v150, 0x7fff
                                        ; implicit-def: $vgpr143
; %bb.38:
	s_and_not1_saveexec_b32 s3, s3
; %bb.39:
	v_and_b32_e32 v150, 0xffff, v143
	v_or_b32_e32 v154, 0x10000, v143
	s_delay_alu instid0(VALU_DEP_2) | instskip(NEXT) | instid1(VALU_DEP_2)
	v_cmp_eq_u32_e32 vcc_lo, 0, v150
	v_cndmask_b32_e32 v150, v154, v143, vcc_lo
; %bb.40:
	s_or_b32 exec_lo, exec_lo, s3
	v_and_b32_e32 v143, 0x7f800000, v140
	s_delay_alu instid0(VALU_DEP_1) | instskip(SKIP_1) | instid1(SALU_CYCLE_1)
	v_cmp_ne_u32_e32 vcc_lo, 0x7f800000, v143
                                        ; implicit-def: $vgpr143
	s_and_saveexec_b32 s3, vcc_lo
	s_xor_b32 s3, exec_lo, s3
; %bb.41:
	v_bfe_u32 v143, v140, 16, 1
	s_delay_alu instid0(VALU_DEP_1)
	v_add3_u32 v143, v140, v143, 0x7fff
                                        ; implicit-def: $vgpr140
; %bb.42:
	s_and_not1_saveexec_b32 s3, s3
; %bb.43:
	v_and_b32_e32 v143, 0xffff, v140
	v_or_b32_e32 v154, 0x10000, v140
	s_delay_alu instid0(VALU_DEP_2) | instskip(NEXT) | instid1(VALU_DEP_2)
	v_cmp_eq_u32_e32 vcc_lo, 0, v143
	v_cndmask_b32_e32 v143, v154, v140, vcc_lo
; %bb.44:
	s_or_b32 exec_lo, exec_lo, s3
	s_load_b64 s[34:35], s[0:1], 0x94
	v_dual_mul_f32 v136, v139, v136 :: v_dual_lshlrev_b32 v155, 4, v146
	s_delay_alu instid0(VALU_DEP_2)
	v_perm_b32 v154, v143, v150, 0x7060302
	v_dual_mul_f32 v143, v139, v131 :: v_dual_lshlrev_b32 v140, 6, v148
	v_dual_mul_f32 v135, v139, v135 :: v_dual_lshlrev_b32 v150, 11, v149
	v_perm_b32 v153, v152, v153, 0x7060302
	v_perm_b32 v152, v151, v144, 0x7060302
	;; [unrolled: 1-line block ×3, first 2 shown]
	s_delay_alu instid0(VALU_DEP_4)
	v_or3_b32 v131, v155, v150, v140
	v_mul_f32_e32 v138, v139, v138
	v_dual_mul_f32 v137, v139, v137 :: v_dual_and_b32 v144, 0x7f800000, v143
	v_mul_f32_e32 v141, v139, v134
	v_mul_f32_e32 v142, v139, v133
	;; [unrolled: 1-line block ×3, first 2 shown]
	s_mov_b32 s3, exec_lo
	ds_store_b128 v131, v[151:154]
                                        ; implicit-def: $vgpr132
	v_cmpx_ne_u32_e32 0x7f800000, v144
	s_xor_b32 s3, exec_lo, s3
; %bb.45:
	v_bfe_u32 v132, v143, 16, 1
	s_delay_alu instid0(VALU_DEP_1)
	v_add3_u32 v132, v143, v132, 0x7fff
                                        ; implicit-def: $vgpr143
; %bb.46:
	s_and_not1_saveexec_b32 s3, s3
; %bb.47:
	v_and_b32_e32 v132, 0xffff, v143
	v_or_b32_e32 v133, 0x10000, v143
	s_delay_alu instid0(VALU_DEP_2) | instskip(NEXT) | instid1(VALU_DEP_2)
	v_cmp_eq_u32_e32 vcc_lo, 0, v132
	v_cndmask_b32_e32 v132, v133, v143, vcc_lo
; %bb.48:
	s_or_b32 exec_lo, exec_lo, s3
	v_and_b32_e32 v133, 0x7f800000, v134
	s_delay_alu instid0(VALU_DEP_1) | instskip(SKIP_1) | instid1(SALU_CYCLE_1)
	v_cmp_ne_u32_e32 vcc_lo, 0x7f800000, v133
                                        ; implicit-def: $vgpr133
	s_and_saveexec_b32 s3, vcc_lo
	s_xor_b32 s3, exec_lo, s3
; %bb.49:
	v_bfe_u32 v133, v134, 16, 1
	s_delay_alu instid0(VALU_DEP_1)
	v_add3_u32 v133, v134, v133, 0x7fff
                                        ; implicit-def: $vgpr134
; %bb.50:
	s_and_not1_saveexec_b32 s3, s3
; %bb.51:
	v_and_b32_e32 v133, 0xffff, v134
	v_or_b32_e32 v139, 0x10000, v134
	s_delay_alu instid0(VALU_DEP_2) | instskip(NEXT) | instid1(VALU_DEP_2)
	v_cmp_eq_u32_e32 vcc_lo, 0, v133
	v_cndmask_b32_e32 v133, v139, v134, vcc_lo
; %bb.52:
	s_or_b32 exec_lo, exec_lo, s3
	v_and_b32_e32 v134, 0x7f800000, v142
	s_delay_alu instid0(VALU_DEP_1) | instskip(SKIP_1) | instid1(SALU_CYCLE_1)
	v_cmp_ne_u32_e32 vcc_lo, 0x7f800000, v134
                                        ; implicit-def: $vgpr134
	s_and_saveexec_b32 s3, vcc_lo
	s_xor_b32 s3, exec_lo, s3
; %bb.53:
	v_bfe_u32 v134, v142, 16, 1
	s_delay_alu instid0(VALU_DEP_1)
	v_add3_u32 v134, v142, v134, 0x7fff
                                        ; implicit-def: $vgpr142
; %bb.54:
	s_and_not1_saveexec_b32 s3, s3
; %bb.55:
	v_and_b32_e32 v134, 0xffff, v142
	v_or_b32_e32 v139, 0x10000, v142
	s_delay_alu instid0(VALU_DEP_2) | instskip(NEXT) | instid1(VALU_DEP_2)
	v_cmp_eq_u32_e32 vcc_lo, 0, v134
	v_cndmask_b32_e32 v134, v139, v142, vcc_lo
; %bb.56:
	s_or_b32 exec_lo, exec_lo, s3
	v_and_b32_e32 v139, 0x7f800000, v141
	s_delay_alu instid0(VALU_DEP_1) | instskip(SKIP_1) | instid1(SALU_CYCLE_1)
	v_cmp_ne_u32_e32 vcc_lo, 0x7f800000, v139
                                        ; implicit-def: $vgpr139
	s_and_saveexec_b32 s3, vcc_lo
	s_xor_b32 s3, exec_lo, s3
; %bb.57:
	v_bfe_u32 v139, v141, 16, 1
	s_delay_alu instid0(VALU_DEP_1)
	v_add3_u32 v139, v141, v139, 0x7fff
                                        ; implicit-def: $vgpr141
; %bb.58:
	s_and_not1_saveexec_b32 s3, s3
; %bb.59:
	v_and_b32_e32 v139, 0xffff, v141
	v_or_b32_e32 v142, 0x10000, v141
	s_delay_alu instid0(VALU_DEP_2) | instskip(NEXT) | instid1(VALU_DEP_2)
	v_cmp_eq_u32_e32 vcc_lo, 0, v139
	v_cndmask_b32_e32 v139, v142, v141, vcc_lo
; %bb.60:
	s_or_b32 exec_lo, exec_lo, s3
	v_and_b32_e32 v141, 0x7f800000, v135
	s_delay_alu instid0(VALU_DEP_1) | instskip(SKIP_1) | instid1(SALU_CYCLE_1)
	v_cmp_ne_u32_e32 vcc_lo, 0x7f800000, v141
                                        ; implicit-def: $vgpr141
	s_and_saveexec_b32 s3, vcc_lo
	s_xor_b32 s3, exec_lo, s3
; %bb.61:
	v_bfe_u32 v141, v135, 16, 1
	s_delay_alu instid0(VALU_DEP_1)
	v_add3_u32 v141, v135, v141, 0x7fff
                                        ; implicit-def: $vgpr135
; %bb.62:
	s_and_not1_saveexec_b32 s3, s3
; %bb.63:
	v_and_b32_e32 v141, 0xffff, v135
	v_or_b32_e32 v142, 0x10000, v135
	s_delay_alu instid0(VALU_DEP_2) | instskip(NEXT) | instid1(VALU_DEP_2)
	v_cmp_eq_u32_e32 vcc_lo, 0, v141
	v_cndmask_b32_e32 v141, v142, v135, vcc_lo
; %bb.64:
	s_or_b32 exec_lo, exec_lo, s3
	v_and_b32_e32 v135, 0x7f800000, v136
	s_delay_alu instid0(VALU_DEP_1) | instskip(SKIP_1) | instid1(SALU_CYCLE_1)
	v_cmp_ne_u32_e32 vcc_lo, 0x7f800000, v135
                                        ; implicit-def: $vgpr135
	s_and_saveexec_b32 s3, vcc_lo
	s_xor_b32 s3, exec_lo, s3
; %bb.65:
	v_bfe_u32 v135, v136, 16, 1
	s_delay_alu instid0(VALU_DEP_1)
	v_add3_u32 v135, v136, v135, 0x7fff
                                        ; implicit-def: $vgpr136
; %bb.66:
	s_and_not1_saveexec_b32 s3, s3
; %bb.67:
	v_and_b32_e32 v135, 0xffff, v136
	v_or_b32_e32 v142, 0x10000, v136
	s_delay_alu instid0(VALU_DEP_2) | instskip(NEXT) | instid1(VALU_DEP_2)
	v_cmp_eq_u32_e32 vcc_lo, 0, v135
	v_cndmask_b32_e32 v135, v142, v136, vcc_lo
; %bb.68:
	s_or_b32 exec_lo, exec_lo, s3
	v_and_b32_e32 v136, 0x7f800000, v137
	s_delay_alu instid0(VALU_DEP_1) | instskip(SKIP_1) | instid1(SALU_CYCLE_1)
	v_cmp_ne_u32_e32 vcc_lo, 0x7f800000, v136
                                        ; implicit-def: $vgpr136
	s_and_saveexec_b32 s3, vcc_lo
	s_xor_b32 s3, exec_lo, s3
; %bb.69:
	v_bfe_u32 v136, v137, 16, 1
	s_delay_alu instid0(VALU_DEP_1)
	v_add3_u32 v136, v137, v136, 0x7fff
                                        ; implicit-def: $vgpr137
; %bb.70:
	s_and_not1_saveexec_b32 s3, s3
; %bb.71:
	v_and_b32_e32 v136, 0xffff, v137
	v_or_b32_e32 v142, 0x10000, v137
	s_delay_alu instid0(VALU_DEP_2) | instskip(NEXT) | instid1(VALU_DEP_2)
	v_cmp_eq_u32_e32 vcc_lo, 0, v136
	v_cndmask_b32_e32 v136, v142, v137, vcc_lo
; %bb.72:
	s_or_b32 exec_lo, exec_lo, s3
	v_and_b32_e32 v137, 0x7f800000, v138
	s_delay_alu instid0(VALU_DEP_1) | instskip(SKIP_1) | instid1(SALU_CYCLE_1)
	v_cmp_ne_u32_e32 vcc_lo, 0x7f800000, v137
                                        ; implicit-def: $vgpr137
	s_and_saveexec_b32 s3, vcc_lo
	s_xor_b32 s3, exec_lo, s3
; %bb.73:
	v_bfe_u32 v137, v138, 16, 1
	s_delay_alu instid0(VALU_DEP_1)
	v_add3_u32 v137, v138, v137, 0x7fff
                                        ; implicit-def: $vgpr138
; %bb.74:
	s_and_not1_saveexec_b32 s3, s3
; %bb.75:
	v_and_b32_e32 v137, 0xffff, v138
	v_or_b32_e32 v142, 0x10000, v138
	s_delay_alu instid0(VALU_DEP_2) | instskip(NEXT) | instid1(VALU_DEP_2)
	v_cmp_eq_u32_e32 vcc_lo, 0, v137
	v_cndmask_b32_e32 v137, v142, v138, vcc_lo
; %bb.76:
	s_or_b32 exec_lo, exec_lo, s3
	s_delay_alu instid0(VALU_DEP_1)
	v_perm_b32 v136, v137, v136, 0x7060302
	v_perm_b32 v135, v135, v141, 0x7060302
	;; [unrolled: 1-line block ×4, first 2 shown]
	v_lshl_or_b32 v141, v149, 11, v140
	ds_store_b128 v131, v[133:136] offset:1024
	s_waitcnt lgkmcnt(0)
	s_barrier
	buffer_gl0_inv
	ds_load_b128 v[132:135], v141
	ds_load_b128 v[149:152], v141 offset:16
	s_waitcnt lgkmcnt(1)
	v_lshrrev_b32_e32 v136, 16, v132
	s_waitcnt lgkmcnt(0)
	v_lshrrev_b32_e32 v164, 16, v151
	v_lshlrev_b32_e32 v138, 2, v146
	v_lshrrev_b32_e32 v143, 16, v149
	v_lshrrev_b32_e32 v162, 16, v150
	;; [unrolled: 1-line block ×4, first 2 shown]
	v_or_b32_e32 v139, 1, v138
	v_lshrrev_b32_e32 v165, 16, v152
	v_lshrrev_b32_e32 v163, 16, v135
	s_delay_alu instid0(VALU_DEP_3)
	v_cmp_eq_u32_e64 s7, 1, v139
	v_cmp_eq_u32_e64 s6, 2, v139
	;; [unrolled: 1-line block ×4, first 2 shown]
	v_cmp_eq_u32_e32 vcc_lo, 5, v139
	v_cndmask_b32_e64 v155, v149, v143, s7
	v_cndmask_b32_e64 v154, v132, v136, s7
	v_cmp_eq_u32_e64 s4, 6, v139
	v_cmp_eq_u32_e64 s19, 7, v139
	s_delay_alu instid0(VALU_DEP_4) | instskip(NEXT) | instid1(VALU_DEP_4)
	v_cndmask_b32_e64 v155, v155, v150, s6
	v_cndmask_b32_e64 v154, v154, v133, s6
	s_delay_alu instid0(VALU_DEP_2) | instskip(NEXT) | instid1(VALU_DEP_2)
	v_cndmask_b32_e64 v155, v155, v162, s5
	v_cndmask_b32_e64 v154, v154, v144, s5
	s_delay_alu instid0(VALU_DEP_2) | instskip(NEXT) | instid1(VALU_DEP_2)
	v_cndmask_b32_e64 v155, v155, v151, s3
	v_cndmask_b32_e64 v154, v154, v134, s3
	s_delay_alu instid0(VALU_DEP_2)
	v_cndmask_b32_e32 v157, v155, v164, vcc_lo
	v_cmp_eq_u32_e64 s12, 1, v138
	v_cmp_eq_u32_e64 s11, 2, v138
	;; [unrolled: 1-line block ×3, first 2 shown]
	v_or_b32_e32 v137, 2, v138
	v_cmp_eq_u32_e64 s17, 4, v138
	v_cndmask_b32_e64 v153, v149, v143, s12
	v_cndmask_b32_e64 v142, v132, v136, s12
	v_cmp_eq_u32_e64 s13, 5, v138
	v_cmp_eq_u32_e64 s8, 1, v137
	v_cmp_eq_u32_e64 s15, 6, v138
	v_cndmask_b32_e64 v153, v153, v150, s11
	v_cndmask_b32_e64 v142, v142, v133, s11
	v_cmp_eq_u32_e64 s10, 2, v137
	v_cndmask_b32_e64 v156, v132, v136, s8
	v_cndmask_b32_e32 v154, v154, v161, vcc_lo
	v_cndmask_b32_e64 v153, v153, v162, s16
	v_cndmask_b32_e64 v142, v142, v144, s16
	v_cmp_eq_u32_e64 s9, 7, v138
	v_cndmask_b32_e64 v156, v156, v133, s10
	v_cmp_eq_u32_e64 s18, 3, v137
	v_cndmask_b32_e64 v153, v153, v151, s17
	v_cndmask_b32_e64 v142, v142, v134, s17
	;; [unrolled: 1-line block ×3, first 2 shown]
	v_cmp_eq_u32_e64 s20, 4, v137
	v_cndmask_b32_e64 v156, v156, v144, s18
	v_cndmask_b32_e64 v153, v153, v164, s13
	;; [unrolled: 1-line block ×4, first 2 shown]
	v_cmp_eq_u32_e64 s22, 5, v137
	v_cndmask_b32_e64 v159, v156, v134, s20
	v_cndmask_b32_e64 v153, v153, v152, s15
	;; [unrolled: 1-line block ×3, first 2 shown]
	v_cmp_eq_u32_e64 s25, 6, v137
	v_cmp_eq_u32_e64 s27, 7, v137
	v_cndmask_b32_e64 v169, v159, v161, s22
	v_cndmask_b32_e64 v167, v153, v165, s9
	v_cndmask_b32_e64 v153, v149, v143, s8
	v_cndmask_b32_e64 v166, v142, v163, s9
	v_or_b32_e32 v142, 3, v138
	s_delay_alu instid0(VALU_DEP_3)
	v_cndmask_b32_e64 v158, v153, v150, s10
	ds_load_b128 v[153:156], v141 offset:1024
	v_cmp_eq_u32_e64 s21, 1, v142
	v_cmp_eq_u32_e64 s23, 2, v142
	;; [unrolled: 1-line block ×3, first 2 shown]
	v_cndmask_b32_e64 v158, v158, v162, s18
	v_cmp_eq_u32_e64 s26, 4, v142
	v_cndmask_b32_e64 v132, v132, v136, s21
	v_cndmask_b32_e64 v136, v157, v152, s4
	;; [unrolled: 1-line block ×4, first 2 shown]
	ds_load_b128 v[157:160], v141 offset:1040
	v_cndmask_b32_e64 v132, v132, v133, s23
	v_cmp_eq_u32_e64 s28, 5, v142
	v_cndmask_b32_e64 v143, v143, v150, s23
	v_cmp_eq_u32_e64 s29, 6, v142
	v_cndmask_b32_e64 v133, v170, v164, s22
	v_cndmask_b32_e64 v132, v132, v144, s24
	;; [unrolled: 1-line block ×5, first 2 shown]
	s_waitcnt lgkmcnt(1)
	v_lshrrev_b32_e32 v149, 16, v153
	v_cndmask_b32_e64 v132, v132, v134, s26
	v_cndmask_b32_e64 v133, v133, v152, s25
	;; [unrolled: 1-line block ×3, first 2 shown]
	v_lshrrev_b32_e32 v151, 16, v154
	v_cndmask_b32_e64 v143, v153, v149, s12
	v_cndmask_b32_e64 v132, v132, v161, s28
	v_cndmask_b32_e64 v161, v153, v149, s7
	v_cndmask_b32_e64 v134, v134, v164, s28
	v_cndmask_b32_e64 v144, v144, v163, s27
	s_waitcnt lgkmcnt(0)
	v_lshrrev_b32_e32 v150, 16, v157
	v_cndmask_b32_e64 v143, v143, v154, s11
	v_cndmask_b32_e64 v132, v132, v135, s29
	;; [unrolled: 1-line block ×3, first 2 shown]
	v_lshrrev_b32_e32 v164, 16, v159
	v_cndmask_b32_e64 v162, v157, v150, s12
	v_cndmask_b32_e64 v135, v143, v151, s16
	v_cndmask_b32_e64 v143, v161, v154, s6
	v_lshrrev_b32_e32 v161, 16, v158
	v_cndmask_b32_e64 v133, v133, v165, s27
	v_cndmask_b32_e64 v152, v162, v158, s11
	v_cmp_eq_u32_e64 s11, 7, v142
	v_cndmask_b32_e64 v143, v143, v151, s5
	v_cndmask_b32_e64 v135, v135, v155, s17
	v_lshrrev_b32_e32 v162, 16, v155
	v_cndmask_b32_e64 v152, v152, v161, s16
	v_cndmask_b32_e64 v132, v132, v163, s11
	;; [unrolled: 1-line block ×6, first 2 shown]
	s_delay_alu instid0(VALU_DEP_4) | instskip(NEXT) | instid1(VALU_DEP_4)
	v_perm_b32 v135, v134, v132, 0x5040100
	v_cndmask_b32_e32 v132, v143, v162, vcc_lo
	s_delay_alu instid0(VALU_DEP_4)
	v_cndmask_b32_e64 v143, v163, v156, s15
	v_lshrrev_b32_e32 v163, 16, v156
	v_cndmask_b32_e64 v152, v152, v164, s13
	v_perm_b32 v134, v133, v144, 0x5040100
	v_cndmask_b32_e64 v132, v132, v156, s4
	v_perm_b32 v133, v136, v168, 0x5040100
	v_cndmask_b32_e64 v136, v143, v163, s9
	v_cndmask_b32_e64 v143, v152, v160, s15
	;; [unrolled: 1-line block ×13, first 2 shown]
	v_lshrrev_b32_e32 v144, 16, v160
	v_cndmask_b32_e64 v132, v132, v151, s18
	v_cndmask_b32_e64 v149, v149, v151, s24
	;; [unrolled: 1-line block ×14, first 2 shown]
	v_cndmask_b32_e32 v150, v150, v164, vcc_lo
	v_cndmask_b32_e64 v132, v132, v156, s25
	v_cndmask_b32_e64 v149, v149, v156, s29
	;; [unrolled: 1-line block ×11, first 2 shown]
	v_perm_b32 v132, v167, v166, 0x5040100
	v_perm_b32 v152, v151, v149, 0x5040100
	;; [unrolled: 1-line block ×5, first 2 shown]
	s_mul_i32 s8, s35, 10
	s_mov_b32 s3, exec_lo
	ds_store_b128 v131, v[132:135]
	ds_store_b128 v131, v[149:152] offset:1024
	v_cmpx_gt_u32_e32 10, v0
	s_cbranch_execz .LBB431_78
; %bb.77:
	s_mul_i32 s4, s8, s30
	s_delay_alu instid0(SALU_CYCLE_1) | instskip(SKIP_1) | instid1(VALU_DEP_1)
	v_add3_u32 v133, s4, s31, v148
	s_load_b128 s[4:7], s[0:1], 0x58
	v_mad_u64_u32 v[131:132], null, v133, s34, s[14:15]
	s_delay_alu instid0(VALU_DEP_1) | instskip(NEXT) | instid1(VALU_DEP_1)
	v_ashrrev_i32_e32 v132, 31, v131
	v_lshlrev_b64 v[131:132], 2, v[131:132]
	s_waitcnt lgkmcnt(0)
	s_delay_alu instid0(VALU_DEP_1) | instskip(NEXT) | instid1(VALU_DEP_2)
	v_add_co_u32 v133, vcc_lo, s6, v131
	v_add_co_ci_u32_e32 v134, vcc_lo, s7, v132, vcc_lo
	v_add_co_u32 v131, vcc_lo, s4, v131
	v_add_co_ci_u32_e32 v132, vcc_lo, s5, v132, vcc_lo
	global_store_b32 v[133:134], v129, off
	global_store_b32 v[131:132], v130, off
.LBB431_78:
	s_or_b32 exec_lo, exec_lo, s3
	s_waitcnt lgkmcnt(0)
	s_waitcnt_vscnt null, 0x0
	s_barrier
	buffer_gl0_inv
	ds_load_b128 v[148:151], v140
	ds_load_b128 v[152:155], v140 offset:16
	ds_load_b128 v[160:163], v140 offset:1040
	;; [unrolled: 1-line block ×3, first 2 shown]
	v_mov_b32_e32 v129, 0
	ds_load_b128 v[168:171], v140 offset:2064
	ds_load_b128 v[164:167], v140 offset:2048
	;; [unrolled: 1-line block ×6, first 2 shown]
	v_mov_b32_e32 v130, v129
	v_mov_b32_e32 v131, v129
	;; [unrolled: 1-line block ×7, first 2 shown]
	s_waitcnt lgkmcnt(8)
	s_delay_alu instid0(VALU_DEP_1)
	v_wmma_f32_16x16x16_bf16 v[129:136], v[121:128], v[148:155], v[129:136]
	ds_load_b128 v[125:128], v140 offset:5136
	ds_load_b128 v[121:124], v140 offset:5120
	s_waitcnt lgkmcnt(8)
	v_wmma_f32_16x16x16_bf16 v[129:136], v[113:120], v[156:163], v[129:136]
	ds_load_b128 v[117:120], v140 offset:6160
	ds_load_b128 v[113:116], v140 offset:6144
	s_waitcnt lgkmcnt(8)
	;; [unrolled: 4-line block ×8, first 2 shown]
	v_wmma_f32_16x16x16_bf16 v[129:136], v[65:72], v[97:104], v[129:136]
	s_waitcnt lgkmcnt(6)
	s_delay_alu instid0(VALU_DEP_1)
	v_wmma_f32_16x16x16_bf16 v[129:136], v[49:56], v[89:96], v[129:136]
	ds_load_b128 v[53:56], v140 offset:13328
	ds_load_b128 v[49:52], v140 offset:13312
	s_waitcnt lgkmcnt(6)
	v_wmma_f32_16x16x16_bf16 v[129:136], v[41:48], v[81:88], v[129:136]
	ds_load_b128 v[45:48], v140 offset:14352
	ds_load_b128 v[41:44], v140 offset:14336
	s_waitcnt lgkmcnt(6)
	;; [unrolled: 4-line block ×3, first 2 shown]
	v_wmma_f32_16x16x16_bf16 v[129:136], v[1:8], v[57:64], v[129:136]
	s_waitcnt lgkmcnt(4)
	s_delay_alu instid0(VALU_DEP_1) | instskip(SKIP_1) | instid1(VALU_DEP_1)
	v_wmma_f32_16x16x16_bf16 v[129:136], v[25:32], v[49:56], v[129:136]
	s_waitcnt lgkmcnt(2)
	v_wmma_f32_16x16x16_bf16 v[129:136], v[33:40], v[41:48], v[129:136]
	s_waitcnt lgkmcnt(0)
	s_delay_alu instid0(VALU_DEP_1) | instskip(NEXT) | instid1(VALU_DEP_1)
	v_wmma_f32_16x16x16_bf16 v[129:136], v[9:16], v[17:24], v[129:136]
	v_and_b32_e32 v1, 0x7f800000, v129
	s_delay_alu instid0(VALU_DEP_1) | instskip(SKIP_1) | instid1(SALU_CYCLE_1)
	v_cmp_ne_u32_e32 vcc_lo, 0x7f800000, v1
                                        ; implicit-def: $vgpr1
	s_and_saveexec_b32 s3, vcc_lo
	s_xor_b32 s3, exec_lo, s3
; %bb.79:
	v_bfe_u32 v1, v129, 16, 1
	s_delay_alu instid0(VALU_DEP_1)
	v_add3_u32 v1, v129, v1, 0x7fff
; %bb.80:
	s_and_not1_saveexec_b32 s3, s3
; %bb.81:
	v_and_b32_e32 v1, 0xffff, v129
	v_or_b32_e32 v2, 0x10000, v129
	s_delay_alu instid0(VALU_DEP_2) | instskip(NEXT) | instid1(VALU_DEP_2)
	v_cmp_eq_u32_e32 vcc_lo, 0, v1
	v_cndmask_b32_e32 v1, v2, v129, vcc_lo
; %bb.82:
	s_or_b32 exec_lo, exec_lo, s3
	v_and_b32_e32 v2, 0x7f800000, v130
	s_delay_alu instid0(VALU_DEP_1) | instskip(SKIP_1) | instid1(SALU_CYCLE_1)
	v_cmp_ne_u32_e32 vcc_lo, 0x7f800000, v2
                                        ; implicit-def: $vgpr2
	s_and_saveexec_b32 s3, vcc_lo
	s_xor_b32 s3, exec_lo, s3
; %bb.83:
	v_bfe_u32 v2, v130, 16, 1
	s_delay_alu instid0(VALU_DEP_1)
	v_add3_u32 v2, v130, v2, 0x7fff
; %bb.84:
	s_and_not1_saveexec_b32 s3, s3
; %bb.85:
	v_and_b32_e32 v2, 0xffff, v130
	v_or_b32_e32 v3, 0x10000, v130
	s_delay_alu instid0(VALU_DEP_2) | instskip(NEXT) | instid1(VALU_DEP_2)
	v_cmp_eq_u32_e32 vcc_lo, 0, v2
	v_cndmask_b32_e32 v2, v3, v130, vcc_lo
; %bb.86:
	s_or_b32 exec_lo, exec_lo, s3
	v_and_b32_e32 v3, 0x7f800000, v131
	s_delay_alu instid0(VALU_DEP_1) | instskip(SKIP_1) | instid1(SALU_CYCLE_1)
	v_cmp_ne_u32_e32 vcc_lo, 0x7f800000, v3
                                        ; implicit-def: $vgpr3
	s_and_saveexec_b32 s3, vcc_lo
	s_xor_b32 s3, exec_lo, s3
; %bb.87:
	v_bfe_u32 v3, v131, 16, 1
	s_delay_alu instid0(VALU_DEP_1)
	v_add3_u32 v3, v131, v3, 0x7fff
; %bb.88:
	s_and_not1_saveexec_b32 s3, s3
; %bb.89:
	v_and_b32_e32 v3, 0xffff, v131
	v_or_b32_e32 v4, 0x10000, v131
	s_delay_alu instid0(VALU_DEP_2) | instskip(NEXT) | instid1(VALU_DEP_2)
	v_cmp_eq_u32_e32 vcc_lo, 0, v3
	v_cndmask_b32_e32 v3, v4, v131, vcc_lo
; %bb.90:
	s_or_b32 exec_lo, exec_lo, s3
	v_and_b32_e32 v4, 0x7f800000, v132
	s_delay_alu instid0(VALU_DEP_1) | instskip(SKIP_1) | instid1(SALU_CYCLE_1)
	v_cmp_ne_u32_e32 vcc_lo, 0x7f800000, v4
                                        ; implicit-def: $vgpr4
	s_and_saveexec_b32 s3, vcc_lo
	s_xor_b32 s3, exec_lo, s3
; %bb.91:
	v_bfe_u32 v4, v132, 16, 1
	s_delay_alu instid0(VALU_DEP_1)
	v_add3_u32 v4, v132, v4, 0x7fff
; %bb.92:
	s_and_not1_saveexec_b32 s3, s3
; %bb.93:
	v_and_b32_e32 v4, 0xffff, v132
	v_or_b32_e32 v5, 0x10000, v132
	s_delay_alu instid0(VALU_DEP_2) | instskip(NEXT) | instid1(VALU_DEP_2)
	v_cmp_eq_u32_e32 vcc_lo, 0, v4
	v_cndmask_b32_e32 v4, v5, v132, vcc_lo
; %bb.94:
	s_or_b32 exec_lo, exec_lo, s3
	v_and_b32_e32 v5, 0x7f800000, v133
	s_delay_alu instid0(VALU_DEP_1) | instskip(SKIP_1) | instid1(SALU_CYCLE_1)
	v_cmp_ne_u32_e32 vcc_lo, 0x7f800000, v5
                                        ; implicit-def: $vgpr5
	s_and_saveexec_b32 s3, vcc_lo
	s_xor_b32 s3, exec_lo, s3
; %bb.95:
	v_bfe_u32 v5, v133, 16, 1
	s_delay_alu instid0(VALU_DEP_1)
	v_add3_u32 v5, v133, v5, 0x7fff
; %bb.96:
	s_and_not1_saveexec_b32 s3, s3
; %bb.97:
	v_and_b32_e32 v5, 0xffff, v133
	v_or_b32_e32 v6, 0x10000, v133
	s_delay_alu instid0(VALU_DEP_2) | instskip(NEXT) | instid1(VALU_DEP_2)
	v_cmp_eq_u32_e32 vcc_lo, 0, v5
	v_cndmask_b32_e32 v5, v6, v133, vcc_lo
; %bb.98:
	s_or_b32 exec_lo, exec_lo, s3
	v_and_b32_e32 v6, 0x7f800000, v134
	s_delay_alu instid0(VALU_DEP_1) | instskip(SKIP_1) | instid1(SALU_CYCLE_1)
	v_cmp_ne_u32_e32 vcc_lo, 0x7f800000, v6
                                        ; implicit-def: $vgpr6
	s_and_saveexec_b32 s3, vcc_lo
	s_xor_b32 s3, exec_lo, s3
; %bb.99:
	v_bfe_u32 v6, v134, 16, 1
	s_delay_alu instid0(VALU_DEP_1)
	v_add3_u32 v6, v134, v6, 0x7fff
; %bb.100:
	s_and_not1_saveexec_b32 s3, s3
; %bb.101:
	v_and_b32_e32 v6, 0xffff, v134
	v_or_b32_e32 v7, 0x10000, v134
	s_delay_alu instid0(VALU_DEP_2) | instskip(NEXT) | instid1(VALU_DEP_2)
	v_cmp_eq_u32_e32 vcc_lo, 0, v6
	v_cndmask_b32_e32 v6, v7, v134, vcc_lo
; %bb.102:
	s_or_b32 exec_lo, exec_lo, s3
	v_and_b32_e32 v7, 0x7f800000, v135
	s_delay_alu instid0(VALU_DEP_1) | instskip(SKIP_1) | instid1(SALU_CYCLE_1)
	v_cmp_ne_u32_e32 vcc_lo, 0x7f800000, v7
                                        ; implicit-def: $vgpr7
	s_and_saveexec_b32 s3, vcc_lo
	s_xor_b32 s3, exec_lo, s3
; %bb.103:
	v_bfe_u32 v7, v135, 16, 1
	s_delay_alu instid0(VALU_DEP_1)
	v_add3_u32 v7, v135, v7, 0x7fff
; %bb.104:
	s_and_not1_saveexec_b32 s3, s3
; %bb.105:
	v_and_b32_e32 v7, 0xffff, v135
	v_or_b32_e32 v8, 0x10000, v135
	s_delay_alu instid0(VALU_DEP_2) | instskip(NEXT) | instid1(VALU_DEP_2)
	v_cmp_eq_u32_e32 vcc_lo, 0, v7
	v_cndmask_b32_e32 v7, v8, v135, vcc_lo
; %bb.106:
	s_or_b32 exec_lo, exec_lo, s3
	v_and_b32_e32 v8, 0x7f800000, v136
	s_delay_alu instid0(VALU_DEP_1) | instskip(SKIP_1) | instid1(SALU_CYCLE_1)
	v_cmp_ne_u32_e32 vcc_lo, 0x7f800000, v8
                                        ; implicit-def: $vgpr8
	s_and_saveexec_b32 s3, vcc_lo
	s_xor_b32 s3, exec_lo, s3
; %bb.107:
	v_bfe_u32 v8, v136, 16, 1
	s_delay_alu instid0(VALU_DEP_1)
	v_add3_u32 v8, v136, v8, 0x7fff
                                        ; implicit-def: $vgpr129_vgpr130_vgpr131_vgpr132_vgpr133_vgpr134_vgpr135_vgpr136
; %bb.108:
	s_and_not1_saveexec_b32 s3, s3
; %bb.109:
	v_and_b32_e32 v8, 0xffff, v136
	v_or_b32_e32 v9, 0x10000, v136
	s_delay_alu instid0(VALU_DEP_2) | instskip(NEXT) | instid1(VALU_DEP_2)
	v_cmp_eq_u32_e32 vcc_lo, 0, v8
	v_cndmask_b32_e32 v8, v9, v136, vcc_lo
; %bb.110:
	s_or_b32 exec_lo, exec_lo, s3
	s_delay_alu instid0(VALU_DEP_1)
	v_perm_b32 v7, v8, v7, 0x7060302
	v_perm_b32 v6, v6, v5, 0x7060302
	;; [unrolled: 1-line block ×4, first 2 shown]
	v_lshl_or_b32 v9, v146, 4, v141
	s_barrier
	buffer_gl0_inv
	v_cmp_eq_u32_e32 vcc_lo, 1, v138
	ds_store_b128 v9, v[4:7]
	s_waitcnt lgkmcnt(0)
	s_barrier
	buffer_gl0_inv
	ds_load_b128 v[1:4], v141
	ds_load_b128 v[5:8], v141 offset:16
	v_cmp_eq_u32_e64 s4, 2, v138
	v_cmp_eq_u32_e64 s3, 1, v139
	;; [unrolled: 1-line block ×5, first 2 shown]
	s_waitcnt lgkmcnt(1)
	v_lshrrev_b32_e32 v10, 16, v1
	s_waitcnt lgkmcnt(0)
	v_lshrrev_b32_e32 v14, 16, v5
	v_lshrrev_b32_e32 v15, 16, v6
	;; [unrolled: 1-line block ×4, first 2 shown]
	v_cndmask_b32_e64 v20, v1, v10, s3
	v_cndmask_b32_e32 v19, v5, v14, vcc_lo
	v_cndmask_b32_e64 v21, v5, v14, s3
	v_lshrrev_b32_e32 v16, 16, v7
	v_cmp_eq_u32_e64 s3, 1, v137
	v_lshrrev_b32_e32 v13, 16, v4
	v_cndmask_b32_e64 v19, v19, v6, s4
	v_lshrrev_b32_e32 v17, 16, v8
	s_delay_alu instid0(VALU_DEP_4) | instskip(SKIP_1) | instid1(VALU_DEP_4)
	v_cndmask_b32_e64 v22, v1, v10, s3
	v_cndmask_b32_e64 v23, v5, v14, s3
	;; [unrolled: 1-line block ×3, first 2 shown]
	v_cndmask_b32_e32 v18, v1, v10, vcc_lo
	v_cmp_eq_u32_e32 vcc_lo, 2, v139
	v_cmp_eq_u32_e64 s3, 2, v142
	v_cndmask_b32_e64 v22, v22, v2, s7
	v_cndmask_b32_e32 v20, v20, v2, vcc_lo
	v_cndmask_b32_e32 v21, v21, v6, vcc_lo
	v_cmp_eq_u32_e32 vcc_lo, 4, v138
	v_cndmask_b32_e32 v19, v19, v7, vcc_lo
	v_cndmask_b32_e64 v18, v18, v2, s4
	v_cmp_eq_u32_e64 s4, 3, v139
	s_delay_alu instid0(VALU_DEP_2) | instskip(NEXT) | instid1(VALU_DEP_2)
	v_cndmask_b32_e64 v18, v18, v11, s5
	v_cndmask_b32_e64 v21, v21, v15, s4
	v_cmp_eq_u32_e64 s5, 5, v138
	s_delay_alu instid0(VALU_DEP_3) | instskip(SKIP_1) | instid1(VALU_DEP_3)
	v_cndmask_b32_e32 v18, v18, v3, vcc_lo
	v_cmp_eq_u32_e32 vcc_lo, 4, v139
	v_cndmask_b32_e64 v19, v19, v16, s5
	s_delay_alu instid0(VALU_DEP_3) | instskip(SKIP_4) | instid1(VALU_DEP_3)
	v_cndmask_b32_e64 v18, v18, v12, s5
	v_cndmask_b32_e32 v21, v21, v7, vcc_lo
	v_cndmask_b32_e64 v20, v20, v11, s4
	v_cmp_eq_u32_e64 s4, 5, v139
	v_cmp_eq_u32_e64 s5, 6, v138
	v_cndmask_b32_e32 v20, v20, v3, vcc_lo
	s_delay_alu instid0(VALU_DEP_3) | instskip(SKIP_1) | instid1(VALU_DEP_4)
	v_cndmask_b32_e64 v21, v21, v16, s4
	v_cmp_eq_u32_e32 vcc_lo, 6, v139
	v_cndmask_b32_e64 v18, v18, v4, s5
	v_cndmask_b32_e64 v19, v19, v8, s5
	;; [unrolled: 1-line block ×3, first 2 shown]
	v_cmp_eq_u32_e64 s4, 1, v142
	v_cmp_eq_u32_e64 s5, 7, v138
	s_delay_alu instid0(VALU_DEP_3) | instskip(NEXT) | instid1(VALU_DEP_3)
	v_cndmask_b32_e32 v20, v20, v4, vcc_lo
	v_cndmask_b32_e64 v1, v1, v10, s4
	v_cndmask_b32_e64 v5, v5, v14, s4
	v_cmp_eq_u32_e64 s4, 3, v137
	v_cndmask_b32_e64 v14, v23, v6, s7
	v_cmp_eq_u32_e64 s7, 3, v142
	v_cndmask_b32_e64 v1, v1, v2, s3
	v_cndmask_b32_e64 v2, v5, v6, s3
	;; [unrolled: 1-line block ×3, first 2 shown]
	v_cmp_eq_u32_e64 s3, 4, v137
	v_cndmask_b32_e64 v6, v14, v15, s4
	v_cndmask_b32_e64 v1, v1, v11, s7
	v_cmp_eq_u32_e64 s4, 4, v142
	v_cndmask_b32_e64 v2, v2, v15, s7
	v_cndmask_b32_e64 v5, v10, v3, s3
	;; [unrolled: 3-line block ×3, first 2 shown]
	v_cndmask_b32_e64 v2, v2, v7, s4
	v_cmp_eq_u32_e64 s3, 5, v142
	v_cndmask_b32_e64 v5, v5, v12, s7
	v_cmp_eq_u32_e64 s4, 6, v137
	;; [unrolled: 2-line block ×3, first 2 shown]
	v_cndmask_b32_e64 v1, v1, v12, s3
	v_cndmask_b32_e64 v2, v2, v16, s3
	;; [unrolled: 1-line block ×4, first 2 shown]
	v_cmp_eq_u32_e64 s3, 7, v142
	v_cndmask_b32_e64 v1, v1, v4, s7
	v_cndmask_b32_e64 v2, v2, v8, s7
	v_cmp_eq_u32_e64 s4, 7, v137
	v_cndmask_b32_e32 v4, v21, v8, vcc_lo
	v_cndmask_b32_e64 v18, v18, v13, s5
	v_cndmask_b32_e64 v20, v20, v13, s6
	;; [unrolled: 1-line block ×8, first 2 shown]
	v_cmp_gt_u32_e32 vcc_lo, 32, v0
	v_perm_b32 v4, v2, v1, 0x5040100
	v_perm_b32 v3, v3, v5, 0x5040100
	;; [unrolled: 1-line block ×4, first 2 shown]
	s_and_b32 s2, vcc_lo, s2
	ds_store_b128 v9, v[1:4]
	s_waitcnt lgkmcnt(0)
	s_barrier
	buffer_gl0_inv
	s_and_saveexec_b32 s3, s2
	s_cbranch_execz .LBB431_2
; %bb.111:
	s_load_b64 s[0:1], s[0:1], 0x68
	s_lshl_b32 s4, s34, 6
	v_or_b32_e32 v2, s31, v146
	s_mul_i32 s2, s4, s30
	v_lshlrev_b32_e32 v0, 10, v0
	s_mul_i32 s2, s2, s8
	v_lshlrev_b32_e32 v1, 4, v147
	s_ashr_i32 s3, s2, 31
	v_mul_lo_u32 v20, v2, s4
	s_lshl_b64 s[2:3], s[2:3], 1
	v_lshlrev_b32_e32 v3, 6, v146
	v_and_b32_e32 v0, 0x3800, v0
	s_delay_alu instid0(VALU_DEP_1) | instskip(NEXT) | instid1(VALU_DEP_4)
	v_or3_b32 v16, v0, v1, v3
	v_ashrrev_i32_e32 v21, 31, v20
	ds_load_b128 v[0:3], v16
	ds_load_b128 v[4:7], v16 offset:128
	s_waitcnt lgkmcnt(0)
	s_add_u32 s2, s0, s2
	s_addc_u32 s3, s1, s3
	s_lshl_b32 s0, s14, 6
	ds_load_b128 v[8:11], v16 offset:256
	ds_load_b128 v[12:15], v16 offset:384
	ds_load_b128 v[16:19], v16 offset:512
	s_ashr_i32 s1, s0, 31
	s_delay_alu instid0(SALU_CYCLE_1) | instskip(NEXT) | instid1(SALU_CYCLE_1)
	s_lshl_b64 s[0:1], s[0:1], 1
	s_add_u32 s0, s2, s0
	s_addc_u32 s1, s3, s1
	s_lshl_b32 s2, s34, 7
	v_add_co_u32 v30, s0, s0, v145
	v_add_nc_u32_e32 v22, s2, v20
	v_lshlrev_b64 v[20:21], 1, v[20:21]
	v_add_co_ci_u32_e64 v31, null, s1, 0, s0
	s_delay_alu instid0(VALU_DEP_3) | instskip(SKIP_1) | instid1(VALU_DEP_4)
	v_add_nc_u32_e32 v24, s2, v22
	v_ashrrev_i32_e32 v23, 31, v22
	v_add_co_u32 v20, vcc_lo, v30, v20
	s_delay_alu instid0(VALU_DEP_4) | instskip(NEXT) | instid1(VALU_DEP_4)
	v_add_co_ci_u32_e32 v21, vcc_lo, v31, v21, vcc_lo
	v_add_nc_u32_e32 v26, s2, v24
	v_ashrrev_i32_e32 v25, 31, v24
	v_lshlrev_b64 v[22:23], 1, v[22:23]
	s_delay_alu instid0(VALU_DEP_3) | instskip(SKIP_1) | instid1(VALU_DEP_4)
	v_add_nc_u32_e32 v28, s2, v26
	v_ashrrev_i32_e32 v27, 31, v26
	v_lshlrev_b64 v[24:25], 1, v[24:25]
	s_delay_alu instid0(VALU_DEP_4) | instskip(NEXT) | instid1(VALU_DEP_4)
	v_add_co_u32 v22, vcc_lo, v30, v22
	v_ashrrev_i32_e32 v29, 31, v28
	s_delay_alu instid0(VALU_DEP_4) | instskip(SKIP_2) | instid1(VALU_DEP_4)
	v_lshlrev_b64 v[26:27], 1, v[26:27]
	v_add_co_ci_u32_e32 v23, vcc_lo, v31, v23, vcc_lo
	v_add_co_u32 v24, vcc_lo, v30, v24
	v_lshlrev_b64 v[28:29], 1, v[28:29]
	v_add_co_ci_u32_e32 v25, vcc_lo, v31, v25, vcc_lo
	v_add_co_u32 v26, vcc_lo, v30, v26
	v_add_co_ci_u32_e32 v27, vcc_lo, v31, v27, vcc_lo
	s_delay_alu instid0(VALU_DEP_4)
	v_add_co_u32 v28, vcc_lo, v30, v28
	v_add_co_ci_u32_e32 v29, vcc_lo, v31, v29, vcc_lo
	s_clause 0x1
	global_store_b128 v[20:21], v[0:3], off
	global_store_b128 v[22:23], v[4:7], off
	s_waitcnt lgkmcnt(2)
	global_store_b128 v[24:25], v[8:11], off
	s_waitcnt lgkmcnt(1)
	;; [unrolled: 2-line block ×3, first 2 shown]
	global_store_b128 v[28:29], v[16:19], off
	s_nop 0
	s_sendmsg sendmsg(MSG_DEALLOC_VGPRS)
	s_endpgm
	.section	.rodata,"a",@progbits
	.p2align	6, 0x0
	.amdhsa_kernel _Z39paged_attention_ll4mi_QKV_mfma16_kernelI14__hip_bfloat16S0_LN4vllm18Fp8KVCacheDataTypeE0EhLi16ELi64ELi256ELb0ELi10EL8MFMAType0EEvPKT_PKT0_S9_ifPKiSB_SB_iPKfiiiPfSE_PS4_PT2_iSD_SD_
		.amdhsa_group_segment_fixed_size 17472
		.amdhsa_private_segment_fixed_size 0
		.amdhsa_kernarg_size 400
		.amdhsa_user_sgpr_count 13
		.amdhsa_user_sgpr_dispatch_ptr 0
		.amdhsa_user_sgpr_queue_ptr 0
		.amdhsa_user_sgpr_kernarg_segment_ptr 1
		.amdhsa_user_sgpr_dispatch_id 0
		.amdhsa_user_sgpr_private_segment_size 0
		.amdhsa_wavefront_size32 1
		.amdhsa_uses_dynamic_stack 0
		.amdhsa_enable_private_segment 0
		.amdhsa_system_sgpr_workgroup_id_x 1
		.amdhsa_system_sgpr_workgroup_id_y 1
		.amdhsa_system_sgpr_workgroup_id_z 1
		.amdhsa_system_sgpr_workgroup_info 0
		.amdhsa_system_vgpr_workitem_id 0
		.amdhsa_next_free_vgpr 198
		.amdhsa_next_free_sgpr 52
		.amdhsa_reserve_vcc 1
		.amdhsa_float_round_mode_32 0
		.amdhsa_float_round_mode_16_64 0
		.amdhsa_float_denorm_mode_32 3
		.amdhsa_float_denorm_mode_16_64 3
		.amdhsa_dx10_clamp 1
		.amdhsa_ieee_mode 1
		.amdhsa_fp16_overflow 0
		.amdhsa_workgroup_processor_mode 1
		.amdhsa_memory_ordered 1
		.amdhsa_forward_progress 0
		.amdhsa_shared_vgpr_count 0
		.amdhsa_exception_fp_ieee_invalid_op 0
		.amdhsa_exception_fp_denorm_src 0
		.amdhsa_exception_fp_ieee_div_zero 0
		.amdhsa_exception_fp_ieee_overflow 0
		.amdhsa_exception_fp_ieee_underflow 0
		.amdhsa_exception_fp_ieee_inexact 0
		.amdhsa_exception_int_div_zero 0
	.end_amdhsa_kernel
	.section	.text._Z39paged_attention_ll4mi_QKV_mfma16_kernelI14__hip_bfloat16S0_LN4vllm18Fp8KVCacheDataTypeE0EhLi16ELi64ELi256ELb0ELi10EL8MFMAType0EEvPKT_PKT0_S9_ifPKiSB_SB_iPKfiiiPfSE_PS4_PT2_iSD_SD_,"axG",@progbits,_Z39paged_attention_ll4mi_QKV_mfma16_kernelI14__hip_bfloat16S0_LN4vllm18Fp8KVCacheDataTypeE0EhLi16ELi64ELi256ELb0ELi10EL8MFMAType0EEvPKT_PKT0_S9_ifPKiSB_SB_iPKfiiiPfSE_PS4_PT2_iSD_SD_,comdat
.Lfunc_end431:
	.size	_Z39paged_attention_ll4mi_QKV_mfma16_kernelI14__hip_bfloat16S0_LN4vllm18Fp8KVCacheDataTypeE0EhLi16ELi64ELi256ELb0ELi10EL8MFMAType0EEvPKT_PKT0_S9_ifPKiSB_SB_iPKfiiiPfSE_PS4_PT2_iSD_SD_, .Lfunc_end431-_Z39paged_attention_ll4mi_QKV_mfma16_kernelI14__hip_bfloat16S0_LN4vllm18Fp8KVCacheDataTypeE0EhLi16ELi64ELi256ELb0ELi10EL8MFMAType0EEvPKT_PKT0_S9_ifPKiSB_SB_iPKfiiiPfSE_PS4_PT2_iSD_SD_
                                        ; -- End function
	.section	.AMDGPU.csdata,"",@progbits
; Kernel info:
; codeLenInByte = 10116
; NumSgprs: 54
; NumVgprs: 198
; ScratchSize: 0
; MemoryBound: 0
; FloatMode: 240
; IeeeMode: 1
; LDSByteSize: 17472 bytes/workgroup (compile time only)
; SGPRBlocks: 6
; VGPRBlocks: 24
; NumSGPRsForWavesPerEU: 54
; NumVGPRsForWavesPerEU: 198
; Occupancy: 7
; WaveLimiterHint : 1
; COMPUTE_PGM_RSRC2:SCRATCH_EN: 0
; COMPUTE_PGM_RSRC2:USER_SGPR: 13
; COMPUTE_PGM_RSRC2:TRAP_HANDLER: 0
; COMPUTE_PGM_RSRC2:TGID_X_EN: 1
; COMPUTE_PGM_RSRC2:TGID_Y_EN: 1
; COMPUTE_PGM_RSRC2:TGID_Z_EN: 1
; COMPUTE_PGM_RSRC2:TIDIG_COMP_CNT: 0
	.section	.text._Z39paged_attention_ll4mi_QKV_mfma16_kernelI14__hip_bfloat16S0_LN4vllm18Fp8KVCacheDataTypeE0EhLi16ELi64ELi256ELb0ELi11EL8MFMAType0EEvPKT_PKT0_S9_ifPKiSB_SB_iPKfiiiPfSE_PS4_PT2_iSD_SD_,"axG",@progbits,_Z39paged_attention_ll4mi_QKV_mfma16_kernelI14__hip_bfloat16S0_LN4vllm18Fp8KVCacheDataTypeE0EhLi16ELi64ELi256ELb0ELi11EL8MFMAType0EEvPKT_PKT0_S9_ifPKiSB_SB_iPKfiiiPfSE_PS4_PT2_iSD_SD_,comdat
	.protected	_Z39paged_attention_ll4mi_QKV_mfma16_kernelI14__hip_bfloat16S0_LN4vllm18Fp8KVCacheDataTypeE0EhLi16ELi64ELi256ELb0ELi11EL8MFMAType0EEvPKT_PKT0_S9_ifPKiSB_SB_iPKfiiiPfSE_PS4_PT2_iSD_SD_ ; -- Begin function _Z39paged_attention_ll4mi_QKV_mfma16_kernelI14__hip_bfloat16S0_LN4vllm18Fp8KVCacheDataTypeE0EhLi16ELi64ELi256ELb0ELi11EL8MFMAType0EEvPKT_PKT0_S9_ifPKiSB_SB_iPKfiiiPfSE_PS4_PT2_iSD_SD_
	.globl	_Z39paged_attention_ll4mi_QKV_mfma16_kernelI14__hip_bfloat16S0_LN4vllm18Fp8KVCacheDataTypeE0EhLi16ELi64ELi256ELb0ELi11EL8MFMAType0EEvPKT_PKT0_S9_ifPKiSB_SB_iPKfiiiPfSE_PS4_PT2_iSD_SD_
	.p2align	8
	.type	_Z39paged_attention_ll4mi_QKV_mfma16_kernelI14__hip_bfloat16S0_LN4vllm18Fp8KVCacheDataTypeE0EhLi16ELi64ELi256ELb0ELi11EL8MFMAType0EEvPKT_PKT0_S9_ifPKiSB_SB_iPKfiiiPfSE_PS4_PT2_iSD_SD_,@function
_Z39paged_attention_ll4mi_QKV_mfma16_kernelI14__hip_bfloat16S0_LN4vllm18Fp8KVCacheDataTypeE0EhLi16ELi64ELi256ELb0ELi11EL8MFMAType0EEvPKT_PKT0_S9_ifPKiSB_SB_iPKfiiiPfSE_PS4_PT2_iSD_SD_: ; @_Z39paged_attention_ll4mi_QKV_mfma16_kernelI14__hip_bfloat16S0_LN4vllm18Fp8KVCacheDataTypeE0EhLi16ELi64ELi256ELb0ELi11EL8MFMAType0EEvPKT_PKT0_S9_ifPKiSB_SB_iPKfiiiPfSE_PS4_PT2_iSD_SD_
; %bb.0:
	s_load_b64 s[2:3], s[0:1], 0x30
	s_mov_b32 s34, s13
	s_waitcnt lgkmcnt(0)
	s_cmp_lg_u64 s[2:3], 0
	s_cselect_b32 s6, -1, 0
	s_ashr_i32 s35, s13, 31
	s_cmp_eq_u64 s[2:3], 0
	s_cbranch_scc1 .LBB432_3
; %bb.1:
	s_lshl_b64 s[4:5], s[34:35], 2
	s_delay_alu instid0(SALU_CYCLE_1) | instskip(SKIP_4) | instid1(SALU_CYCLE_1)
	s_add_u32 s4, s2, s4
	s_addc_u32 s5, s3, s5
	s_load_b64 s[4:5], s[4:5], 0x0
	s_waitcnt lgkmcnt(0)
	s_sub_i32 s4, s5, s4
	s_cmp_eq_u32 s4, 1
	s_cselect_b32 s4, -1, 0
	s_delay_alu instid0(SALU_CYCLE_1)
	s_and_not1_b32 vcc_lo, exec_lo, s4
	s_cbranch_vccz .LBB432_4
.LBB432_2:
	s_nop 0
	s_sendmsg sendmsg(MSG_DEALLOC_VGPRS)
	s_endpgm
.LBB432_3:
.LBB432_4:
	s_load_b64 s[8:9], s[0:1], 0x28
	s_lshl_b64 s[4:5], s[34:35], 2
	s_waitcnt lgkmcnt(0)
	s_add_u32 s8, s8, s4
	s_addc_u32 s9, s9, s5
	s_lshl_b32 s33, s14, 8
	s_load_b32 s30, s[8:9], 0x0
	s_waitcnt lgkmcnt(0)
	s_cmp_ge_i32 s33, s30
	s_cbranch_scc1 .LBB432_2
; %bb.5:
	s_clause 0x1
	s_load_b128 s[8:11], s[0:1], 0x8
	s_load_b64 s[12:13], s[0:1], 0x20
	s_and_not1_b32 vcc_lo, exec_lo, s6
	s_cbranch_vccnz .LBB432_7
; %bb.6:
	s_add_u32 s2, s2, s4
	s_addc_u32 s3, s3, s5
	s_load_b32 s3, s[2:3], 0x0
	s_branch .LBB432_8
.LBB432_7:
	s_mov_b32 s3, s34
.LBB432_8:
	s_load_b128 s[4:7], s[0:1], 0x48
	v_lshrrev_b32_e32 v149, 5, v0
	v_bfe_u32 v146, v0, 4, 1
	v_and_b32_e32 v148, 15, v0
	v_and_b32_e32 v150, 31, v0
	;; [unrolled: 1-line block ×3, first 2 shown]
	s_mul_i32 s31, s15, 11
	v_lshl_or_b32 v1, v149, 1, v146
	v_lshlrev_b32_e32 v2, 3, v148
	v_cmp_gt_u32_e64 s2, 8, v148
	s_delay_alu instid0(VALU_DEP_3) | instskip(NEXT) | instid1(VALU_DEP_3)
	v_cmp_gt_u32_e32 vcc_lo, 11, v1
	v_lshlrev_b32_e32 v145, 1, v2
	s_delay_alu instid0(VALU_DEP_3)
	s_and_b32 s16, s2, vcc_lo
	s_waitcnt lgkmcnt(0)
	s_and_saveexec_b32 s7, s16
	s_cbranch_execz .LBB432_10
; %bb.9:
	s_load_b64 s[16:17], s[0:1], 0x0
	v_add_lshl_u32 v2, v1, s31, 6
	s_mul_hi_i32 s19, s3, s4
	s_mul_i32 s18, s3, s4
	v_lshlrev_b32_e32 v6, 10, v148
	s_lshl_b64 s[18:19], s[18:19], 1
	v_ashrrev_i32_e32 v3, 31, v2
	v_lshlrev_b32_e32 v1, 6, v1
	v_lshlrev_b32_e32 v7, 10, v147
	v_and_b32_e32 v6, 0x3800, v6
	s_delay_alu instid0(VALU_DEP_4) | instskip(NEXT) | instid1(VALU_DEP_2)
	v_lshlrev_b64 v[2:3], 1, v[2:3]
	v_or3_b32 v1, v6, v7, v1
	s_waitcnt lgkmcnt(0)
	s_add_u32 s3, s16, s18
	s_addc_u32 s4, s17, s19
	s_delay_alu instid0(VALU_DEP_2) | instskip(SKIP_1) | instid1(VALU_DEP_2)
	v_add_co_u32 v2, vcc_lo, s3, v2
	v_add_co_ci_u32_e32 v3, vcc_lo, s4, v3, vcc_lo
	v_add_co_u32 v2, vcc_lo, v2, v145
	s_delay_alu instid0(VALU_DEP_2)
	v_add_co_ci_u32_e32 v3, vcc_lo, 0, v3, vcc_lo
	global_load_b128 v[2:5], v[2:3], off
	s_waitcnt vmcnt(0)
	ds_store_b128 v1, v[2:5]
.LBB432_10:
	s_or_b32 exec_lo, exec_lo, s7
	s_mov_b32 s40, 0
	s_add_i32 s3, s30, 15
	s_mov_b32 s41, s40
	s_mov_b32 s42, s40
	;; [unrolled: 1-line block ×7, first 2 shown]
	s_delay_alu instid0(SALU_CYCLE_1)
	v_dual_mov_b32 v144, s47 :: v_dual_and_b32 v1, 0xef, v0
	v_mov_b32_e32 v142, s45
	s_ashr_i32 s7, s3, 31
	s_clause 0x1
	s_load_b32 s4, s[0:1], 0x38
	s_load_b32 s35, s[0:1], 0x1c
	v_add_nc_u32_e32 v1, s33, v1
	s_lshr_b32 s7, s7, 28
	s_waitcnt lgkmcnt(0)
	s_add_i32 s3, s3, s7
	s_barrier
	v_ashrrev_i32_e32 v2, 31, v1
	v_or_b32_e32 v3, 16, v1
	s_ashr_i32 s3, s3, 4
	v_cmp_gt_i32_e32 vcc_lo, s30, v1
	s_add_i32 s3, s3, -1
	v_lshrrev_b32_e32 v2, 28, v2
	v_mov_b32_e32 v143, s46
	buffer_gl0_inv
	s_mul_i32 s6, s15, s6
	v_add_nc_u32_e32 v21, -11, v148
	v_dual_mov_b32 v141, s44 :: v_dual_add_nc_u32 v4, v1, v2
	v_mov_b32_e32 v139, s42
	s_mul_i32 s16, s34, s4
	v_mov_b32_e32 v137, s40
	s_delay_alu instid0(VALU_DEP_3)
	v_ashrrev_i32_e32 v4, 4, v4
	v_add_nc_u32_e32 v2, v3, v2
	v_lshlrev_b32_e32 v22, 5, v148
	s_ashr_i32 s17, s16, 31
	v_mov_b32_e32 v140, s43
	v_cndmask_b32_e32 v1, s3, v4, vcc_lo
	v_ashrrev_i32_e32 v2, 4, v2
	v_cmp_gt_i32_e32 vcc_lo, s30, v3
	s_lshl_b64 s[16:17], s[16:17], 2
	v_lshl_or_b32 v22, v149, 9, v22
	s_add_u32 s4, s12, s16
	s_addc_u32 s36, s13, s17
	v_cndmask_b32_e32 v3, s3, v2, vcc_lo
	v_ashrrev_i32_e32 v2, 31, v1
	s_ashr_i32 s7, s6, 31
	v_mov_b32_e32 v138, s41
	s_lshl_b64 s[6:7], s[6:7], 1
	v_ashrrev_i32_e32 v4, 31, v3
	v_lshlrev_b64 v[1:2], 2, v[1:2]
	s_add_u32 s24, s8, s6
	s_addc_u32 s25, s9, s7
	s_lshl_b32 s8, s14, 4
	v_lshlrev_b64 v[3:4], 2, v[3:4]
	s_ashr_i32 s9, s8, 31
	v_add_co_u32 v1, vcc_lo, s4, v1
	v_add_co_ci_u32_e32 v2, vcc_lo, s36, v2, vcc_lo
	s_delay_alu instid0(VALU_DEP_3) | instskip(NEXT) | instid1(VALU_DEP_4)
	v_add_co_u32 v3, vcc_lo, s4, v3
	v_add_co_ci_u32_e32 v4, vcc_lo, s36, v4, vcc_lo
	s_clause 0x1
	global_load_b32 v5, v[1:2], off
	global_load_b32 v6, v[3:4], off
	s_lshl_b64 s[8:9], s[8:9], 2
	v_lshlrev_b32_e32 v3, 4, v0
	s_add_u32 s8, s4, s8
	s_addc_u32 s9, s36, s9
	s_or_b32 s12, s33, 16
	s_delay_alu instid0(SALU_CYCLE_1) | instskip(SKIP_2) | instid1(SALU_CYCLE_1)
	s_ashr_i32 s13, s12, 4
	s_cmp_lt_i32 s12, s30
	s_cselect_b32 s12, s13, s3
	s_ashr_i32 s13, s12, 31
	s_delay_alu instid0(SALU_CYCLE_1) | instskip(NEXT) | instid1(SALU_CYCLE_1)
	s_lshl_b64 s[12:13], s[12:13], 2
	s_add_u32 s12, s4, s12
	s_addc_u32 s13, s36, s13
	s_or_b32 s15, s33, 32
	s_delay_alu instid0(SALU_CYCLE_1) | instskip(SKIP_2) | instid1(SALU_CYCLE_1)
	s_ashr_i32 s16, s15, 4
	s_cmp_lt_i32 s15, s30
	s_cselect_b32 s16, s16, s3
	s_ashr_i32 s17, s16, 31
	s_delay_alu instid0(SALU_CYCLE_1) | instskip(NEXT) | instid1(SALU_CYCLE_1)
	s_lshl_b64 s[16:17], s[16:17], 2
	;; [unrolled: 10-line block ×5, first 2 shown]
	s_add_u32 s22, s4, s22
	s_addc_u32 s23, s36, s23
	s_clause 0x5
	s_load_b32 s8, s[8:9], 0x0
	s_load_b32 s12, s[12:13], 0x0
	;; [unrolled: 1-line block ×6, first 2 shown]
	s_waitcnt lgkmcnt(0)
	s_mul_hi_i32 s17, s16, s5
	s_mul_i32 s16, s16, s5
	s_waitcnt vmcnt(1)
	v_mad_i64_i32 v[1:2], null, v5, s5, 0
	v_and_b32_e32 v5, 0xf0, v3
	s_waitcnt vmcnt(0)
	v_mad_i64_i32 v[3:4], null, v6, s5, 0
	s_delay_alu instid0(VALU_DEP_2) | instskip(NEXT) | instid1(VALU_DEP_4)
	v_add_co_u32 v5, s9, s24, v5
	v_lshlrev_b64 v[1:2], 1, v[1:2]
	v_add_co_ci_u32_e64 v6, null, s25, 0, s9
	s_delay_alu instid0(VALU_DEP_4) | instskip(SKIP_1) | instid1(VALU_DEP_3)
	v_lshlrev_b64 v[3:4], 1, v[3:4]
	s_or_b32 s9, s33, 0x60
	v_add_co_u32 v19, vcc_lo, v5, v1
	s_delay_alu instid0(VALU_DEP_3) | instskip(NEXT) | instid1(VALU_DEP_3)
	v_add_co_ci_u32_e32 v20, vcc_lo, v6, v2, vcc_lo
	v_add_co_u32 v17, vcc_lo, v5, v3
	s_delay_alu instid0(VALU_DEP_4)
	v_add_co_ci_u32_e32 v18, vcc_lo, v6, v4, vcc_lo
	s_clause 0x9
	global_load_b128 v[1:4], v[19:20], off
	global_load_b128 v[5:8], v[19:20], off offset:256
	global_load_b128 v[129:132], v[17:18], off
	global_load_b128 v[133:136], v[17:18], off offset:256
	global_load_b128 v[33:36], v[19:20], off offset:512
	;; [unrolled: 1-line block ×7, first 2 shown]
	v_cmp_gt_u32_e32 vcc_lo, 11, v148
	s_clause 0x1
	global_load_b128 v[151:154], v[17:18], off offset:1024
	global_load_b128 v[155:158], v[17:18], off offset:1280
	s_ashr_i32 s13, s9, 4
	s_cmp_lt_i32 s9, s30
	v_cndmask_b32_e32 v21, v21, v148, vcc_lo
	s_cselect_b32 s22, s13, s3
	s_delay_alu instid0(SALU_CYCLE_1) | instskip(NEXT) | instid1(VALU_DEP_1)
	s_ashr_i32 s23, s22, 31
	v_lshlrev_b32_e32 v197, 6, v21
	ds_load_b128 v[159:162], v197
	ds_load_b128 v[163:166], v197 offset:1024
	s_clause 0x3
	global_load_b128 v[167:170], v[19:20], off offset:1536
	global_load_b128 v[171:174], v[19:20], off offset:1792
	;; [unrolled: 1-line block ×4, first 2 shown]
	s_lshl_b64 s[22:23], s[22:23], 2
	s_delay_alu instid0(SALU_CYCLE_1) | instskip(SKIP_2) | instid1(SALU_CYCLE_1)
	s_add_u32 s22, s4, s22
	s_addc_u32 s23, s36, s23
	s_or_b32 s9, s33, 0x70
	s_ashr_i32 s13, s9, 4
	s_cmp_lt_i32 s9, s30
	s_cselect_b32 s24, s13, s3
	s_delay_alu instid0(SALU_CYCLE_1) | instskip(NEXT) | instid1(SALU_CYCLE_1)
	s_ashr_i32 s25, s24, 31
	s_lshl_b64 s[24:25], s[24:25], 2
	s_delay_alu instid0(SALU_CYCLE_1)
	s_add_u32 s24, s4, s24
	s_addc_u32 s25, s36, s25
	s_or_b32 s9, s33, 0x80
	s_load_b32 s46, s[24:25], 0x0
	s_ashr_i32 s13, s9, 4
	s_cmp_lt_i32 s9, s30
	s_cselect_b32 s26, s13, s3
	s_delay_alu instid0(SALU_CYCLE_1) | instskip(NEXT) | instid1(SALU_CYCLE_1)
	s_ashr_i32 s27, s26, 31
	s_lshl_b64 s[26:27], s[26:27], 2
	s_delay_alu instid0(SALU_CYCLE_1)
	s_add_u32 s26, s4, s26
	s_addc_u32 s27, s36, s27
	s_or_b32 s9, s33, 0x90
	s_load_b32 s47, s[26:27], 0x0
	s_ashr_i32 s13, s9, 4
	s_cmp_lt_i32 s9, s30
	s_cselect_b32 s28, s13, s3
	s_delay_alu instid0(SALU_CYCLE_1) | instskip(NEXT) | instid1(SALU_CYCLE_1)
	s_ashr_i32 s29, s28, 31
	s_lshl_b64 s[28:29], s[28:29], 2
	s_delay_alu instid0(SALU_CYCLE_1) | instskip(SKIP_2) | instid1(SALU_CYCLE_1)
	s_add_u32 s28, s4, s28
	s_addc_u32 s29, s36, s29
	s_or_b32 s9, s33, 0xa0
	s_ashr_i32 s13, s9, 4
	s_cmp_lt_i32 s9, s30
	s_cselect_b32 s38, s13, s3
	s_delay_alu instid0(SALU_CYCLE_1) | instskip(NEXT) | instid1(SALU_CYCLE_1)
	s_ashr_i32 s39, s38, 31
	s_lshl_b64 s[38:39], s[38:39], 2
	s_delay_alu instid0(SALU_CYCLE_1)
	s_add_u32 s38, s4, s38
	s_addc_u32 s39, s36, s39
	s_or_b32 s9, s33, 0xb0
	s_load_b32 s39, s[38:39], 0x0
	s_ashr_i32 s13, s9, 4
	s_cmp_lt_i32 s9, s30
	s_mul_hi_i32 s9, s8, s5
	s_cselect_b32 s40, s13, s3
	s_mul_i32 s8, s8, s5
	s_ashr_i32 s41, s40, 31
	s_mul_hi_i32 s13, s12, s5
	s_lshl_b64 s[40:41], s[40:41], 2
	s_mul_i32 s12, s12, s5
	s_add_u32 s42, s4, s40
	s_addc_u32 s43, s36, s41
	s_or_b32 s19, s33, 0xc0
	s_delay_alu instid0(SALU_CYCLE_1)
	s_ashr_i32 s21, s19, 4
	s_cmp_lt_i32 s19, s30
	s_mul_hi_i32 s19, s18, s5
	s_cselect_b32 s40, s21, s3
	s_mul_i32 s18, s18, s5
	s_ashr_i32 s41, s40, 31
	s_mul_hi_i32 s21, s20, s5
	s_lshl_b64 s[40:41], s[40:41], 2
	s_mul_i32 s20, s20, s5
	s_add_u32 s44, s4, s40
	s_load_b32 s40, s[28:29], 0x0
	s_addc_u32 s45, s36, s41
	s_or_b32 s37, s33, 0xd0
	s_load_b32 s41, s[22:23], 0x0
	s_ashr_i32 s22, s37, 4
	s_cmp_lt_i32 s37, s30
	s_mul_hi_i32 s23, s15, s5
	s_cselect_b32 s24, s22, s3
	s_mul_i32 s22, s15, s5
	s_ashr_i32 s25, s24, 31
	s_waitcnt lgkmcnt(0)
	s_mul_hi_i32 s27, s46, s5
	s_lshl_b64 s[24:25], s[24:25], 2
	s_mul_i32 s26, s46, s5
	s_add_u32 s24, s4, s24
	s_addc_u32 s25, s36, s25
	s_or_b32 s48, s33, 0xe0
	s_clause 0x2
	s_load_b32 s38, s[42:43], 0x0
	s_load_b32 s37, s[44:45], 0x0
	;; [unrolled: 1-line block ×3, first 2 shown]
	s_ashr_i32 s49, s48, 4
	s_cmp_lt_i32 s48, s30
	s_mul_hi_i32 s29, s47, s5
	s_cselect_b32 s42, s49, s3
	s_mul_i32 s28, s47, s5
	s_ashr_i32 s43, s42, 31
	s_mul_hi_i32 s25, s41, s5
	s_lshl_b64 s[42:43], s[42:43], 2
	s_mul_i32 s24, s41, s5
	s_add_u32 s42, s4, s42
	s_addc_u32 s43, s36, s43
	s_or_b32 s46, s33, 0xf0
	s_mul_hi_i32 s41, s40, s5
	s_ashr_i32 s47, s46, 4
	s_cmp_lt_i32 s46, s30
	s_mul_i32 s40, s40, s5
	s_cselect_b32 s46, s47, s3
	s_mul_hi_i32 s45, s39, s5
	s_ashr_i32 s47, s46, 31
	s_mul_i32 s44, s39, s5
	s_lshl_b64 s[46:47], s[46:47], 2
	s_waitcnt lgkmcnt(0)
	s_mul_hi_i32 s39, s38, s5
	s_add_u32 s46, s4, s46
	s_addc_u32 s47, s36, s47
	s_add_u32 s3, s10, s6
	s_addc_u32 s4, s11, s7
	v_add_co_u32 v195, s3, s3, v22
	s_delay_alu instid0(VALU_DEP_1) | instskip(SKIP_2) | instid1(VALU_DEP_2)
	v_add_co_ci_u32_e64 v196, null, s4, 0, s3
	s_lshl_b64 s[6:7], s[8:9], 1
	s_lshl_b64 s[8:9], s[12:13], 1
	v_add_co_u32 v17, vcc_lo, v195, s6
	s_delay_alu instid0(VALU_DEP_2)
	v_add_co_ci_u32_e32 v18, vcc_lo, s7, v196, vcc_lo
	v_add_co_u32 v19, vcc_lo, v195, s8
	s_lshl_b64 s[10:11], s[16:17], 1
	v_add_co_ci_u32_e32 v20, vcc_lo, s9, v196, vcc_lo
	v_add_co_u32 v21, vcc_lo, v195, s10
	s_lshl_b64 s[12:13], s[18:19], 1
	;; [unrolled: 3-line block ×9, first 2 shown]
	s_mul_i32 s38, s38, s5
	v_add_co_ci_u32_e32 v54, vcc_lo, s27, v196, vcc_lo
	v_add_co_u32 v183, vcc_lo, v195, s28
	s_mul_hi_i32 s49, s37, s5
	s_mul_i32 s48, s37, s5
	s_lshl_b64 s[36:37], s[38:39], 1
	v_add_co_ci_u32_e32 v184, vcc_lo, s29, v196, vcc_lo
	v_add_co_u32 v185, vcc_lo, v195, s36
	s_lshl_b64 s[38:39], s[48:49], 1
	s_clause 0x1
	s_load_b32 s3, s[42:43], 0x0
	s_load_b32 s4, s[46:47], 0x0
	v_add_co_ci_u32_e32 v186, vcc_lo, s37, v196, vcc_lo
	v_add_co_u32 v191, vcc_lo, v195, s38
	v_add_co_ci_u32_e32 v192, vcc_lo, s39, v196, vcc_lo
	s_clause 0x17
	global_load_b128 v[121:124], v[17:18], off
	global_load_b128 v[125:128], v[17:18], off offset:16
	global_load_b128 v[113:116], v[19:20], off
	global_load_b128 v[117:120], v[19:20], off offset:16
	;; [unrolled: 2-line block ×12, first 2 shown]
	s_mul_hi_i32 s51, s15, s5
	s_mul_i32 s50, s15, s5
	s_delay_alu instid0(SALU_CYCLE_1) | instskip(NEXT) | instid1(SALU_CYCLE_1)
	s_lshl_b64 s[40:41], s[50:51], 1
	v_add_co_u32 v193, vcc_lo, v195, s40
	v_add_co_ci_u32_e32 v194, vcc_lo, s41, v196, vcc_lo
	s_waitcnt lgkmcnt(0)
	s_mul_hi_i32 s7, s3, s5
	s_mul_i32 s6, s3, s5
	s_mul_hi_i32 s9, s4, s5
	s_lshl_b64 s[6:7], s[6:7], 1
	s_mul_i32 s8, s4, s5
	s_delay_alu instid0(SALU_CYCLE_1)
	s_lshl_b64 s[4:5], s[8:9], 1
	s_waitcnt vmcnt(38)
	v_wmma_f32_16x16x16_bf16 v[183:190], v[1:8], v[159:166], v[137:144]
	s_waitcnt vmcnt(36)
	v_wmma_f32_16x16x16_bf16 v[137:144], v[129:136], v[159:166], v[137:144]
	s_clause 0x1
	global_load_b128 v[1:4], v[191:192], off
	global_load_b128 v[5:8], v[191:192], off offset:16
	ds_load_b128 v[129:132], v197 offset:2048
	ds_load_b128 v[133:136], v197 offset:3072
	;; [unrolled: 1-line block ×4, first 2 shown]
	v_add_co_u32 v191, vcc_lo, v195, s6
	v_add_co_ci_u32_e32 v192, vcc_lo, s7, v196, vcc_lo
	v_add_co_u32 v195, vcc_lo, v195, s4
	v_add_co_ci_u32_e32 v196, vcc_lo, s5, v196, vcc_lo
	s_waitcnt vmcnt(36) lgkmcnt(2)
	v_wmma_f32_16x16x16_bf16 v[183:190], v[33:40], v[129:136], v[183:190]
	s_waitcnt vmcnt(34)
	v_wmma_f32_16x16x16_bf16 v[137:144], v[25:32], v[129:136], v[137:144]
	s_clause 0x3
	global_load_b128 v[25:28], v[193:194], off
	global_load_b128 v[29:32], v[193:194], off offset:16
	global_load_b128 v[33:36], v[191:192], off
	global_load_b128 v[37:40], v[191:192], off offset:16
	v_and_b32_e32 v129, 0xe0, v0
	v_mbcnt_lo_u32_b32 v191, -1, 0
	s_waitcnt vmcnt(36) lgkmcnt(0)
	v_wmma_f32_16x16x16_bf16 v[183:190], v[9:16], v[159:166], v[183:190]
	s_clause 0x1
	global_load_b128 v[9:12], v[195:196], off
	global_load_b128 v[13:16], v[195:196], off offset:16
	s_waitcnt vmcnt(36)
	v_wmma_f32_16x16x16_bf16 v[137:144], v[151:158], v[159:166], v[137:144]
	v_add_nc_u32_e32 v192, s33, v129
	ds_load_b128 v[129:132], v197 offset:6144
	ds_load_b128 v[133:136], v197 offset:7168
	v_xor_b32_e32 v151, 16, v191
	s_waitcnt vmcnt(0) lgkmcnt(0)
	s_barrier
	v_or_b32_e32 v152, v192, v146
	buffer_gl0_inv
	v_cmp_gt_i32_e32 vcc_lo, 32, v151
	v_or_b32_e32 v153, 2, v152
	v_or_b32_e32 v154, 4, v152
	;; [unrolled: 1-line block ×5, first 2 shown]
	v_cmp_gt_i32_e64 s3, s30, v153
	v_cmp_gt_i32_e64 s4, s30, v154
	;; [unrolled: 1-line block ×3, first 2 shown]
	v_or_b32_e32 v158, 12, v152
	v_or_b32_e32 v159, 14, v152
	v_cmp_gt_i32_e64 s6, s30, v156
	v_wmma_f32_16x16x16_bf16 v[183:190], v[167:174], v[129:136], v[183:190]
	v_wmma_f32_16x16x16_bf16 v[137:144], v[175:182], v[129:136], v[137:144]
	v_cndmask_b32_e32 v151, v191, v151, vcc_lo
	v_cmp_gt_i32_e32 vcc_lo, s30, v152
	v_cmp_gt_i32_e64 s7, s30, v157
	v_dual_mul_f32 v135, s35, v184 :: v_dual_mul_f32 v136, s35, v183
	v_dual_mul_f32 v133, s35, v186 :: v_dual_mul_f32 v134, s35, v185
	;; [unrolled: 1-line block ×3, first 2 shown]
	s_delay_alu instid0(VALU_DEP_3) | instskip(NEXT) | instid1(VALU_DEP_4)
	v_cndmask_b32_e32 v136, 0xff7fffff, v136, vcc_lo
	v_cndmask_b32_e64 v135, 0xff7fffff, v135, s3
	v_mul_f32_e32 v132, s35, v187
	v_cndmask_b32_e64 v134, 0xff7fffff, v134, s4
	v_cndmask_b32_e64 v133, 0xff7fffff, v133, s5
	v_or_b32_e32 v160, 16, v152
	v_max3_f32 v135, v136, 0xff7fffff, v135
	v_or_b32_e32 v161, 18, v152
	v_mul_f32_e32 v130, s35, v189
	v_dual_mul_f32 v172, s35, v140 :: v_dual_mul_f32 v129, s35, v190
	v_cndmask_b32_e64 v132, 0xff7fffff, v132, s6
	v_cndmask_b32_e64 v131, 0xff7fffff, v131, s7
	v_max3_f32 v133, v135, v134, v133
	v_cmp_gt_i32_e64 s8, s30, v158
	v_lshlrev_b32_e32 v158, 2, v151
	v_cmp_gt_i32_e64 s9, s30, v159
	v_or_b32_e32 v162, 20, v152
	v_or_b32_e32 v163, 22, v152
	v_mul_f32_e32 v175, s35, v137
	v_cndmask_b32_e64 v130, 0xff7fffff, v130, s8
	v_cndmask_b32_e64 v129, 0xff7fffff, v129, s9
	v_max3_f32 v131, v133, v132, v131
	v_cmp_gt_i32_e64 s10, s30, v160
	v_cmp_gt_i32_e64 s11, s30, v161
	v_or_b32_e32 v164, 24, v152
	v_or_b32_e32 v165, 26, v152
	v_mul_f32_e32 v173, s35, v139
	v_cndmask_b32_e64 v132, 0xff7fffff, v175, s10
	v_cndmask_b32_e64 v133, 0xff7fffff, v174, s11
	v_max3_f32 v129, v131, v130, v129
	v_cmp_gt_i32_e64 s12, s30, v162
	v_cmp_gt_i32_e64 s13, s30, v163
	v_or_b32_e32 v166, 28, v152
	v_or_b32_e32 v167, 30, v152
	v_dual_mul_f32 v170, s35, v142 :: v_dual_mul_f32 v171, s35, v141
	v_cndmask_b32_e64 v130, 0xff7fffff, v173, s12
	v_cndmask_b32_e64 v131, 0xff7fffff, v172, s13
	v_max3_f32 v129, v129, v132, v133
	v_cmp_gt_i32_e64 s15, s30, v164
	v_cmp_gt_i32_e64 s16, s30, v165
	v_dual_mul_f32 v168, s35, v144 :: v_dual_mul_f32 v169, s35, v143
	s_delay_alu instid0(VALU_DEP_4) | instskip(NEXT) | instid1(VALU_DEP_4)
	v_max3_f32 v129, v129, v130, v131
	v_cndmask_b32_e64 v132, 0xff7fffff, v171, s15
	s_delay_alu instid0(VALU_DEP_4) | instskip(SKIP_2) | instid1(VALU_DEP_3)
	v_cndmask_b32_e64 v133, 0xff7fffff, v170, s16
	v_cmp_gt_i32_e64 s17, s30, v166
	v_cmp_gt_i32_e64 s18, s30, v167
	v_max3_f32 v129, v129, v132, v133
	s_delay_alu instid0(VALU_DEP_3) | instskip(NEXT) | instid1(VALU_DEP_3)
	v_cndmask_b32_e64 v130, 0xff7fffff, v169, s17
	v_cndmask_b32_e64 v131, 0xff7fffff, v168, s18
	s_delay_alu instid0(VALU_DEP_1) | instskip(SKIP_3) | instid1(VALU_DEP_1)
	v_max3_f32 v129, v129, v130, v131
	ds_bpermute_b32 v130, v158, v129
	s_waitcnt lgkmcnt(0)
	v_max_f32_e32 v130, v130, v130
	v_max_f32_e32 v129, v129, v130
	s_delay_alu instid0(VALU_DEP_1)
	v_fma_f32 v130, s35, v183, -v129
	v_fma_f32 v132, s35, v185, -v129
	;; [unrolled: 1-line block ×5, first 2 shown]
	v_mul_f32_e32 v130, 0x3fb8aa3b, v130
	v_mul_f32_e32 v132, 0x3fb8aa3b, v132
	;; [unrolled: 1-line block ×3, first 2 shown]
	v_fma_f32 v135, s35, v189, -v129
	s_delay_alu instid0(VALU_DEP_4) | instskip(NEXT) | instid1(VALU_DEP_3)
	v_exp_f32_e32 v130, v130
	v_exp_f32_e32 v132, v132
	s_delay_alu instid0(VALU_DEP_2) | instskip(NEXT) | instid1(TRANS32_DEP_3)
	v_exp_f32_e32 v134, v134
	v_cndmask_b32_e32 v152, 0, v130, vcc_lo
	v_fma_f32 v130, s35, v188, -v129
	s_waitcnt_depctr 0xfff
	v_cndmask_b32_e64 v153, 0, v132, s4
	v_fma_f32 v132, s35, v190, -v129
	v_mul_f32_e32 v131, 0x3fb8aa3b, v131
	v_cndmask_b32_e64 v155, 0, v134, s6
	v_dual_mul_f32 v130, 0x3fb8aa3b, v130 :: v_dual_mul_f32 v133, 0x3fb8aa3b, v133
	s_delay_alu instid0(VALU_DEP_4) | instskip(NEXT) | instid1(VALU_DEP_4)
	v_mul_f32_e32 v132, 0x3fb8aa3b, v132
	v_exp_f32_e32 v131, v131
	v_fma_f32 v134, s35, v138, -v129
	s_delay_alu instid0(VALU_DEP_3) | instskip(SKIP_2) | instid1(VALU_DEP_1)
	v_exp_f32_e32 v130, v130
	v_exp_f32_e32 v133, v133
	;; [unrolled: 1-line block ×3, first 2 shown]
	v_mul_f32_e32 v134, 0x3fb8aa3b, v134
	v_cndmask_b32_e64 v151, 0, v131, s3
	v_add_f32_e32 v131, 0, v152
	s_delay_alu instid0(TRANS32_DEP_3)
	v_cndmask_b32_e64 v156, 0, v130, s7
	s_waitcnt_depctr 0xfff
	v_cndmask_b32_e64 v154, 0, v133, s5
	v_fma_f32 v133, s35, v137, -v129
	v_exp_f32_e32 v134, v134
	v_add_f32_e32 v131, v131, v151
	v_cmp_gt_u32_e64 s3, 16, v150
	s_delay_alu instid0(VALU_DEP_2) | instskip(NEXT) | instid1(VALU_DEP_1)
	v_add_f32_e32 v131, v131, v153
	v_add_f32_e32 v131, v131, v154
	s_delay_alu instid0(VALU_DEP_1) | instskip(SKIP_2) | instid1(VALU_DEP_3)
	v_add_f32_e32 v130, v131, v155
	v_fma_f32 v131, s35, v139, -v129
	v_fma_f32 v139, s35, v144, -v129
	v_dual_add_f32 v130, v130, v156 :: v_dual_mul_f32 v135, 0x3fb8aa3b, v135
	s_delay_alu instid0(VALU_DEP_1)
	v_exp_f32_e32 v135, v135
	s_waitcnt_depctr 0xfff
	v_cndmask_b32_e64 v157, 0, v135, s8
	v_fma_f32 v135, s35, v140, -v129
	v_cndmask_b32_e64 v140, 0, v132, s9
	v_fma_f32 v132, s35, v141, -v129
	s_delay_alu instid0(VALU_DEP_1) | instskip(SKIP_1) | instid1(VALU_DEP_2)
	v_dual_add_f32 v130, v130, v157 :: v_dual_mul_f32 v137, 0x3fb8aa3b, v132
	v_cndmask_b32_e64 v132, 0, v134, s11
	v_dual_add_f32 v130, v130, v140 :: v_dual_mul_f32 v133, 0x3fb8aa3b, v133
	v_mul_f32_e32 v131, 0x3fb8aa3b, v131
	v_fma_f32 v134, s35, v143, -v129
	v_mul_f32_e32 v135, 0x3fb8aa3b, v135
	s_delay_alu instid0(VALU_DEP_4) | instskip(NEXT) | instid1(VALU_DEP_3)
	v_exp_f32_e32 v133, v133
	v_exp_f32_e32 v136, v131
	s_waitcnt_depctr 0xfff
	v_cndmask_b32_e64 v131, 0, v133, s10
	v_fma_f32 v133, s35, v142, -v129
	s_delay_alu instid0(VALU_DEP_2) | instskip(NEXT) | instid1(VALU_DEP_2)
	v_add_f32_e32 v130, v130, v131
	v_mul_f32_e32 v138, 0x3fb8aa3b, v133
	v_cndmask_b32_e64 v133, 0, v136, s12
	v_mul_f32_e32 v136, 0x3fb8aa3b, v134
	v_exp_f32_e32 v135, v135
	v_add_f32_e32 v130, v130, v132
	v_exp_f32_e32 v138, v138
	s_delay_alu instid0(VALU_DEP_2) | instskip(NEXT) | instid1(VALU_DEP_1)
	v_exp_f32_e32 v141, v136
	v_add_f32_e32 v130, v130, v133
	v_exp_f32_e32 v137, v137
	v_cndmask_b32_e64 v134, 0, v135, s13
	s_delay_alu instid0(TRANS32_DEP_3) | instskip(NEXT) | instid1(VALU_DEP_2)
	v_cndmask_b32_e64 v136, 0, v138, s16
	v_add_f32_e32 v130, v130, v134
	s_waitcnt_depctr 0xfff
	v_cndmask_b32_e64 v135, 0, v137, s15
	v_mul_f32_e32 v137, 0x3fb8aa3b, v139
	s_delay_alu instid0(VALU_DEP_2) | instskip(NEXT) | instid1(VALU_DEP_2)
	v_add_f32_e32 v130, v130, v135
	v_exp_f32_e32 v138, v137
	v_cndmask_b32_e64 v137, 0, v141, s17
	s_delay_alu instid0(VALU_DEP_2) | instskip(NEXT) | instid1(VALU_DEP_1)
	v_add_f32_e32 v130, v130, v136
	v_add_f32_e32 v130, v130, v137
	s_waitcnt_depctr 0xfff
	v_cndmask_b32_e64 v138, 0, v138, s18
	s_delay_alu instid0(VALU_DEP_1)
	v_add_f32_e32 v130, v130, v138
	ds_bpermute_b32 v139, v158, v130
	s_and_saveexec_b32 s4, s3
	s_cbranch_execz .LBB432_12
; %bb.11:
	v_mul_u32_u24_e32 v141, 0x44, v149
	s_delay_alu instid0(VALU_DEP_1) | instskip(SKIP_1) | instid1(VALU_DEP_1)
	v_lshl_add_u32 v141, v148, 2, v141
	s_waitcnt lgkmcnt(0)
	v_dual_add_f32 v130, v130, v139 :: v_dual_add_nc_u32 v139, 0x4000, v141
	ds_store_2addr_b32 v139, v129, v130 offset1:136
.LBB432_12:
	s_or_b32 exec_lo, exec_lo, s4
	v_lshlrev_b32_e32 v129, 2, v148
	s_waitcnt lgkmcnt(0)
	s_barrier
	buffer_gl0_inv
	v_cmp_eq_u32_e64 s4, 1, v149
	v_add_nc_u32_e32 v139, 0x4000, v129
	ds_load_2addr_b32 v[141:142], v139 offset1:17
	ds_load_2addr_b32 v[143:144], v139 offset0:34 offset1:51
	ds_load_2addr_b32 v[158:159], v139 offset0:68 offset1:85
	;; [unrolled: 1-line block ×4, first 2 shown]
	s_waitcnt lgkmcnt(4)
	v_max3_f32 v129, v141, 0xff7fffff, v142
	s_waitcnt lgkmcnt(3)
	s_delay_alu instid0(VALU_DEP_1) | instskip(SKIP_1) | instid1(VALU_DEP_1)
	v_max3_f32 v129, v129, v143, v144
	s_waitcnt lgkmcnt(2)
	v_max3_f32 v129, v129, v158, v159
	s_waitcnt lgkmcnt(1)
	s_delay_alu instid0(VALU_DEP_1) | instskip(NEXT) | instid1(VALU_DEP_1)
	v_max3_f32 v129, v129, v160, v161
	v_sub_f32_e32 v158, v158, v129
	s_delay_alu instid0(VALU_DEP_1) | instskip(NEXT) | instid1(VALU_DEP_1)
	v_dual_sub_f32 v150, v142, v129 :: v_dual_mul_f32 v167, 0x3fb8aa3b, v158
	v_dual_sub_f32 v143, v143, v129 :: v_dual_mul_f32 v150, 0x3fb8aa3b, v150
	s_delay_alu instid0(VALU_DEP_1) | instskip(NEXT) | instid1(VALU_DEP_2)
	v_dual_sub_f32 v130, v141, v129 :: v_dual_mul_f32 v165, 0x3fb8aa3b, v143
	v_exp_f32_e32 v150, v150
	s_delay_alu instid0(VALU_DEP_1) | instskip(NEXT) | instid1(VALU_DEP_2)
	v_mul_f32_e32 v130, 0x3fb8aa3b, v130
	v_exp_f32_e32 v165, v165
	s_delay_alu instid0(VALU_DEP_1) | instskip(SKIP_1) | instid1(VALU_DEP_1)
	v_exp_f32_e32 v164, v130
	v_sub_f32_e32 v130, v144, v129
	v_mul_f32_e32 v166, 0x3fb8aa3b, v130
	s_waitcnt lgkmcnt(0)
	s_waitcnt_depctr 0xfff
	v_fma_f32 v130, v164, v162, 0
	v_sub_f32_e32 v162, v159, v129
	s_delay_alu instid0(VALU_DEP_2)
	v_fmac_f32_e32 v130, v150, v163
	ds_load_2addr_b32 v[141:142], v139 offset0:170 offset1:187
	ds_load_2addr_b32 v[143:144], v139 offset0:204 offset1:221
	;; [unrolled: 1-line block ×3, first 2 shown]
	v_sub_f32_e32 v139, v160, v129
	v_exp_f32_e32 v166, v166
	v_mul_f32_e32 v160, 0x3fb8aa3b, v162
	v_exp_f32_e32 v162, v167
	v_cndmask_b32_e64 v150, v164, v150, s4
	v_mul_f32_e32 v139, 0x3fb8aa3b, v139
	v_cmp_eq_u32_e64 s4, 2, v149
	s_waitcnt lgkmcnt(0)
	s_barrier
	buffer_gl0_inv
	v_exp_f32_e32 v139, v139
	v_cndmask_b32_e64 v150, v150, v165, s4
	v_cmp_eq_u32_e64 s4, 3, v149
	v_fmac_f32_e32 v130, v165, v141
	v_sub_f32_e32 v141, v161, v129
	v_exp_f32_e32 v160, v160
	s_delay_alu instid0(VALU_DEP_3) | instskip(SKIP_1) | instid1(VALU_DEP_3)
	v_cndmask_b32_e64 v150, v150, v166, s4
	v_cmp_eq_u32_e64 s4, 4, v149
	v_dual_fmac_f32 v130, v166, v142 :: v_dual_mul_f32 v141, 0x3fb8aa3b, v141
	s_delay_alu instid0(VALU_DEP_2) | instskip(SKIP_1) | instid1(VALU_DEP_3)
	v_cndmask_b32_e64 v150, v150, v162, s4
	v_cmp_eq_u32_e64 s4, 5, v149
	v_exp_f32_e32 v141, v141
	s_delay_alu instid0(VALU_DEP_3)
	v_fmac_f32_e32 v130, v162, v143
	s_delay_alu instid0(TRANS32_DEP_2) | instid1(VALU_DEP_2)
	v_cndmask_b32_e64 v150, v150, v160, s4
	s_delay_alu instid0(VALU_DEP_2) | instskip(NEXT) | instid1(VALU_DEP_1)
	v_fmac_f32_e32 v130, v160, v144
	v_fmac_f32_e32 v130, v139, v158
	s_waitcnt_depctr 0xfff
	v_fmac_f32_e32 v130, v141, v159
	s_delay_alu instid0(VALU_DEP_1) | instskip(NEXT) | instid1(VALU_DEP_1)
	v_add_f32_e32 v142, 0x358637bd, v130
	v_div_scale_f32 v143, null, v142, v142, 1.0
	v_div_scale_f32 v159, vcc_lo, 1.0, v142, 1.0
	s_delay_alu instid0(VALU_DEP_2) | instskip(SKIP_2) | instid1(VALU_DEP_1)
	v_rcp_f32_e32 v144, v143
	s_waitcnt_depctr 0xfff
	v_fma_f32 v158, -v143, v144, 1.0
	v_fmac_f32_e32 v144, v158, v144
	s_delay_alu instid0(VALU_DEP_1) | instskip(NEXT) | instid1(VALU_DEP_1)
	v_mul_f32_e32 v158, v159, v144
	v_fma_f32 v161, -v143, v158, v159
	s_delay_alu instid0(VALU_DEP_1) | instskip(NEXT) | instid1(VALU_DEP_1)
	v_fmac_f32_e32 v158, v161, v144
	v_fma_f32 v143, -v143, v158, v159
	s_delay_alu instid0(VALU_DEP_1) | instskip(SKIP_1) | instid1(VALU_DEP_2)
	v_div_fmas_f32 v143, v143, v144, v158
	v_cmp_eq_u32_e32 vcc_lo, 6, v149
	v_div_fixup_f32 v142, v143, v142, 1.0
	v_cndmask_b32_e32 v139, v150, v139, vcc_lo
	v_cmp_eq_u32_e32 vcc_lo, 7, v149
	s_delay_alu instid0(VALU_DEP_2) | instskip(NEXT) | instid1(VALU_DEP_1)
	v_cndmask_b32_e32 v139, v139, v141, vcc_lo
	v_mul_f32_e32 v139, v139, v142
	s_delay_alu instid0(VALU_DEP_1) | instskip(SKIP_4) | instid1(VALU_DEP_4)
	v_mul_f32_e32 v153, v139, v153
	v_mul_f32_e32 v142, v139, v152
	;; [unrolled: 1-line block ×5, first 2 shown]
	v_dual_mul_f32 v152, v139, v155 :: v_dual_and_b32 v141, 0x7f800000, v142
	v_mul_f32_e32 v154, v139, v154
	v_mul_f32_e32 v144, v139, v151
	s_delay_alu instid0(VALU_DEP_3) | instskip(SKIP_1) | instid1(SALU_CYCLE_1)
	v_cmp_ne_u32_e32 vcc_lo, 0x7f800000, v141
                                        ; implicit-def: $vgpr141
	s_and_saveexec_b32 s4, vcc_lo
	s_xor_b32 s4, exec_lo, s4
; %bb.13:
	v_bfe_u32 v141, v142, 16, 1
	s_delay_alu instid0(VALU_DEP_1)
	v_add3_u32 v141, v142, v141, 0x7fff
                                        ; implicit-def: $vgpr142
; %bb.14:
	s_and_not1_saveexec_b32 s4, s4
; %bb.15:
	v_and_b32_e32 v141, 0xffff, v142
	v_or_b32_e32 v151, 0x10000, v142
	s_delay_alu instid0(VALU_DEP_2) | instskip(NEXT) | instid1(VALU_DEP_2)
	v_cmp_eq_u32_e32 vcc_lo, 0, v141
	v_cndmask_b32_e32 v141, v151, v142, vcc_lo
; %bb.16:
	s_or_b32 exec_lo, exec_lo, s4
	v_and_b32_e32 v142, 0x7f800000, v144
	s_delay_alu instid0(VALU_DEP_1) | instskip(SKIP_1) | instid1(SALU_CYCLE_1)
	v_cmp_ne_u32_e32 vcc_lo, 0x7f800000, v142
                                        ; implicit-def: $vgpr142
	s_and_saveexec_b32 s4, vcc_lo
	s_xor_b32 s4, exec_lo, s4
; %bb.17:
	v_bfe_u32 v142, v144, 16, 1
	s_delay_alu instid0(VALU_DEP_1)
	v_add3_u32 v142, v144, v142, 0x7fff
                                        ; implicit-def: $vgpr144
; %bb.18:
	s_and_not1_saveexec_b32 s4, s4
; %bb.19:
	v_and_b32_e32 v142, 0xffff, v144
	v_or_b32_e32 v151, 0x10000, v144
	s_delay_alu instid0(VALU_DEP_2) | instskip(NEXT) | instid1(VALU_DEP_2)
	v_cmp_eq_u32_e32 vcc_lo, 0, v142
	v_cndmask_b32_e32 v142, v151, v144, vcc_lo
; %bb.20:
	s_or_b32 exec_lo, exec_lo, s4
	v_and_b32_e32 v144, 0x7f800000, v153
	s_delay_alu instid0(VALU_DEP_1) | instskip(SKIP_1) | instid1(SALU_CYCLE_1)
	v_cmp_ne_u32_e32 vcc_lo, 0x7f800000, v144
                                        ; implicit-def: $vgpr144
	s_and_saveexec_b32 s4, vcc_lo
	s_xor_b32 s4, exec_lo, s4
; %bb.21:
	v_bfe_u32 v144, v153, 16, 1
	s_delay_alu instid0(VALU_DEP_1)
	v_add3_u32 v144, v153, v144, 0x7fff
                                        ; implicit-def: $vgpr153
; %bb.22:
	s_and_not1_saveexec_b32 s4, s4
; %bb.23:
	v_and_b32_e32 v144, 0xffff, v153
	v_or_b32_e32 v151, 0x10000, v153
	s_delay_alu instid0(VALU_DEP_2) | instskip(NEXT) | instid1(VALU_DEP_2)
	v_cmp_eq_u32_e32 vcc_lo, 0, v144
	v_cndmask_b32_e32 v144, v151, v153, vcc_lo
; %bb.24:
	s_or_b32 exec_lo, exec_lo, s4
	v_and_b32_e32 v151, 0x7f800000, v154
	s_delay_alu instid0(VALU_DEP_1) | instskip(SKIP_1) | instid1(SALU_CYCLE_1)
	v_cmp_ne_u32_e32 vcc_lo, 0x7f800000, v151
                                        ; implicit-def: $vgpr151
	s_and_saveexec_b32 s4, vcc_lo
	s_xor_b32 s4, exec_lo, s4
; %bb.25:
	v_bfe_u32 v151, v154, 16, 1
	s_delay_alu instid0(VALU_DEP_1)
	v_add3_u32 v151, v154, v151, 0x7fff
                                        ; implicit-def: $vgpr154
; %bb.26:
	s_and_not1_saveexec_b32 s4, s4
; %bb.27:
	v_and_b32_e32 v151, 0xffff, v154
	v_or_b32_e32 v153, 0x10000, v154
	s_delay_alu instid0(VALU_DEP_2) | instskip(NEXT) | instid1(VALU_DEP_2)
	v_cmp_eq_u32_e32 vcc_lo, 0, v151
	v_cndmask_b32_e32 v151, v153, v154, vcc_lo
; %bb.28:
	s_or_b32 exec_lo, exec_lo, s4
	v_and_b32_e32 v153, 0x7f800000, v152
	s_delay_alu instid0(VALU_DEP_1) | instskip(SKIP_1) | instid1(SALU_CYCLE_1)
	v_cmp_ne_u32_e32 vcc_lo, 0x7f800000, v153
                                        ; implicit-def: $vgpr153
	s_and_saveexec_b32 s4, vcc_lo
	s_xor_b32 s4, exec_lo, s4
; %bb.29:
	v_bfe_u32 v153, v152, 16, 1
	s_delay_alu instid0(VALU_DEP_1)
	v_add3_u32 v153, v152, v153, 0x7fff
                                        ; implicit-def: $vgpr152
; %bb.30:
	s_and_not1_saveexec_b32 s4, s4
; %bb.31:
	v_and_b32_e32 v153, 0xffff, v152
	v_or_b32_e32 v154, 0x10000, v152
	s_delay_alu instid0(VALU_DEP_2) | instskip(NEXT) | instid1(VALU_DEP_2)
	v_cmp_eq_u32_e32 vcc_lo, 0, v153
	v_cndmask_b32_e32 v153, v154, v152, vcc_lo
; %bb.32:
	s_or_b32 exec_lo, exec_lo, s4
	v_and_b32_e32 v152, 0x7f800000, v150
	s_delay_alu instid0(VALU_DEP_1) | instskip(SKIP_1) | instid1(SALU_CYCLE_1)
	v_cmp_ne_u32_e32 vcc_lo, 0x7f800000, v152
                                        ; implicit-def: $vgpr152
	s_and_saveexec_b32 s4, vcc_lo
	s_xor_b32 s4, exec_lo, s4
; %bb.33:
	v_bfe_u32 v152, v150, 16, 1
	s_delay_alu instid0(VALU_DEP_1)
	v_add3_u32 v152, v150, v152, 0x7fff
                                        ; implicit-def: $vgpr150
; %bb.34:
	s_and_not1_saveexec_b32 s4, s4
; %bb.35:
	v_and_b32_e32 v152, 0xffff, v150
	v_or_b32_e32 v154, 0x10000, v150
	s_delay_alu instid0(VALU_DEP_2) | instskip(NEXT) | instid1(VALU_DEP_2)
	v_cmp_eq_u32_e32 vcc_lo, 0, v152
	v_cndmask_b32_e32 v152, v154, v150, vcc_lo
; %bb.36:
	s_or_b32 exec_lo, exec_lo, s4
	v_and_b32_e32 v150, 0x7f800000, v143
	s_delay_alu instid0(VALU_DEP_1) | instskip(SKIP_1) | instid1(SALU_CYCLE_1)
	v_cmp_ne_u32_e32 vcc_lo, 0x7f800000, v150
                                        ; implicit-def: $vgpr150
	s_and_saveexec_b32 s4, vcc_lo
	s_xor_b32 s4, exec_lo, s4
; %bb.37:
	v_bfe_u32 v150, v143, 16, 1
	s_delay_alu instid0(VALU_DEP_1)
	v_add3_u32 v150, v143, v150, 0x7fff
                                        ; implicit-def: $vgpr143
; %bb.38:
	s_and_not1_saveexec_b32 s4, s4
; %bb.39:
	v_and_b32_e32 v150, 0xffff, v143
	v_or_b32_e32 v154, 0x10000, v143
	s_delay_alu instid0(VALU_DEP_2) | instskip(NEXT) | instid1(VALU_DEP_2)
	v_cmp_eq_u32_e32 vcc_lo, 0, v150
	v_cndmask_b32_e32 v150, v154, v143, vcc_lo
; %bb.40:
	s_or_b32 exec_lo, exec_lo, s4
	v_and_b32_e32 v143, 0x7f800000, v140
	s_delay_alu instid0(VALU_DEP_1) | instskip(SKIP_1) | instid1(SALU_CYCLE_1)
	v_cmp_ne_u32_e32 vcc_lo, 0x7f800000, v143
                                        ; implicit-def: $vgpr143
	s_and_saveexec_b32 s4, vcc_lo
	s_xor_b32 s4, exec_lo, s4
; %bb.41:
	v_bfe_u32 v143, v140, 16, 1
	s_delay_alu instid0(VALU_DEP_1)
	v_add3_u32 v143, v140, v143, 0x7fff
                                        ; implicit-def: $vgpr140
; %bb.42:
	s_and_not1_saveexec_b32 s4, s4
; %bb.43:
	v_and_b32_e32 v143, 0xffff, v140
	v_or_b32_e32 v154, 0x10000, v140
	s_delay_alu instid0(VALU_DEP_2) | instskip(NEXT) | instid1(VALU_DEP_2)
	v_cmp_eq_u32_e32 vcc_lo, 0, v143
	v_cndmask_b32_e32 v143, v154, v140, vcc_lo
; %bb.44:
	s_or_b32 exec_lo, exec_lo, s4
	s_load_b64 s[36:37], s[0:1], 0x94
	v_dual_mul_f32 v136, v139, v136 :: v_dual_lshlrev_b32 v155, 4, v146
	s_delay_alu instid0(VALU_DEP_2)
	v_perm_b32 v154, v143, v150, 0x7060302
	v_dual_mul_f32 v143, v139, v131 :: v_dual_lshlrev_b32 v140, 6, v148
	v_dual_mul_f32 v135, v139, v135 :: v_dual_lshlrev_b32 v150, 11, v149
	v_perm_b32 v153, v152, v153, 0x7060302
	v_perm_b32 v152, v151, v144, 0x7060302
	;; [unrolled: 1-line block ×3, first 2 shown]
	s_delay_alu instid0(VALU_DEP_4)
	v_or3_b32 v131, v155, v150, v140
	v_mul_f32_e32 v138, v139, v138
	v_dual_mul_f32 v137, v139, v137 :: v_dual_and_b32 v144, 0x7f800000, v143
	v_mul_f32_e32 v141, v139, v134
	v_mul_f32_e32 v142, v139, v133
	;; [unrolled: 1-line block ×3, first 2 shown]
	s_mov_b32 s4, exec_lo
	ds_store_b128 v131, v[151:154]
                                        ; implicit-def: $vgpr132
	v_cmpx_ne_u32_e32 0x7f800000, v144
	s_xor_b32 s4, exec_lo, s4
; %bb.45:
	v_bfe_u32 v132, v143, 16, 1
	s_delay_alu instid0(VALU_DEP_1)
	v_add3_u32 v132, v143, v132, 0x7fff
                                        ; implicit-def: $vgpr143
; %bb.46:
	s_and_not1_saveexec_b32 s4, s4
; %bb.47:
	v_and_b32_e32 v132, 0xffff, v143
	v_or_b32_e32 v133, 0x10000, v143
	s_delay_alu instid0(VALU_DEP_2) | instskip(NEXT) | instid1(VALU_DEP_2)
	v_cmp_eq_u32_e32 vcc_lo, 0, v132
	v_cndmask_b32_e32 v132, v133, v143, vcc_lo
; %bb.48:
	s_or_b32 exec_lo, exec_lo, s4
	v_and_b32_e32 v133, 0x7f800000, v134
	s_delay_alu instid0(VALU_DEP_1) | instskip(SKIP_1) | instid1(SALU_CYCLE_1)
	v_cmp_ne_u32_e32 vcc_lo, 0x7f800000, v133
                                        ; implicit-def: $vgpr133
	s_and_saveexec_b32 s4, vcc_lo
	s_xor_b32 s4, exec_lo, s4
; %bb.49:
	v_bfe_u32 v133, v134, 16, 1
	s_delay_alu instid0(VALU_DEP_1)
	v_add3_u32 v133, v134, v133, 0x7fff
                                        ; implicit-def: $vgpr134
; %bb.50:
	s_and_not1_saveexec_b32 s4, s4
; %bb.51:
	v_and_b32_e32 v133, 0xffff, v134
	v_or_b32_e32 v139, 0x10000, v134
	s_delay_alu instid0(VALU_DEP_2) | instskip(NEXT) | instid1(VALU_DEP_2)
	v_cmp_eq_u32_e32 vcc_lo, 0, v133
	v_cndmask_b32_e32 v133, v139, v134, vcc_lo
; %bb.52:
	s_or_b32 exec_lo, exec_lo, s4
	v_and_b32_e32 v134, 0x7f800000, v142
	s_delay_alu instid0(VALU_DEP_1) | instskip(SKIP_1) | instid1(SALU_CYCLE_1)
	v_cmp_ne_u32_e32 vcc_lo, 0x7f800000, v134
                                        ; implicit-def: $vgpr134
	s_and_saveexec_b32 s4, vcc_lo
	s_xor_b32 s4, exec_lo, s4
; %bb.53:
	v_bfe_u32 v134, v142, 16, 1
	s_delay_alu instid0(VALU_DEP_1)
	v_add3_u32 v134, v142, v134, 0x7fff
                                        ; implicit-def: $vgpr142
; %bb.54:
	s_and_not1_saveexec_b32 s4, s4
; %bb.55:
	v_and_b32_e32 v134, 0xffff, v142
	v_or_b32_e32 v139, 0x10000, v142
	s_delay_alu instid0(VALU_DEP_2) | instskip(NEXT) | instid1(VALU_DEP_2)
	v_cmp_eq_u32_e32 vcc_lo, 0, v134
	v_cndmask_b32_e32 v134, v139, v142, vcc_lo
; %bb.56:
	s_or_b32 exec_lo, exec_lo, s4
	v_and_b32_e32 v139, 0x7f800000, v141
	s_delay_alu instid0(VALU_DEP_1) | instskip(SKIP_1) | instid1(SALU_CYCLE_1)
	v_cmp_ne_u32_e32 vcc_lo, 0x7f800000, v139
                                        ; implicit-def: $vgpr139
	s_and_saveexec_b32 s4, vcc_lo
	s_xor_b32 s4, exec_lo, s4
; %bb.57:
	v_bfe_u32 v139, v141, 16, 1
	s_delay_alu instid0(VALU_DEP_1)
	v_add3_u32 v139, v141, v139, 0x7fff
                                        ; implicit-def: $vgpr141
; %bb.58:
	s_and_not1_saveexec_b32 s4, s4
; %bb.59:
	v_and_b32_e32 v139, 0xffff, v141
	v_or_b32_e32 v142, 0x10000, v141
	s_delay_alu instid0(VALU_DEP_2) | instskip(NEXT) | instid1(VALU_DEP_2)
	v_cmp_eq_u32_e32 vcc_lo, 0, v139
	v_cndmask_b32_e32 v139, v142, v141, vcc_lo
; %bb.60:
	s_or_b32 exec_lo, exec_lo, s4
	v_and_b32_e32 v141, 0x7f800000, v135
	s_delay_alu instid0(VALU_DEP_1) | instskip(SKIP_1) | instid1(SALU_CYCLE_1)
	v_cmp_ne_u32_e32 vcc_lo, 0x7f800000, v141
                                        ; implicit-def: $vgpr141
	s_and_saveexec_b32 s4, vcc_lo
	s_xor_b32 s4, exec_lo, s4
; %bb.61:
	v_bfe_u32 v141, v135, 16, 1
	s_delay_alu instid0(VALU_DEP_1)
	v_add3_u32 v141, v135, v141, 0x7fff
                                        ; implicit-def: $vgpr135
; %bb.62:
	s_and_not1_saveexec_b32 s4, s4
; %bb.63:
	v_and_b32_e32 v141, 0xffff, v135
	v_or_b32_e32 v142, 0x10000, v135
	s_delay_alu instid0(VALU_DEP_2) | instskip(NEXT) | instid1(VALU_DEP_2)
	v_cmp_eq_u32_e32 vcc_lo, 0, v141
	v_cndmask_b32_e32 v141, v142, v135, vcc_lo
; %bb.64:
	s_or_b32 exec_lo, exec_lo, s4
	v_and_b32_e32 v135, 0x7f800000, v136
	s_delay_alu instid0(VALU_DEP_1) | instskip(SKIP_1) | instid1(SALU_CYCLE_1)
	v_cmp_ne_u32_e32 vcc_lo, 0x7f800000, v135
                                        ; implicit-def: $vgpr135
	s_and_saveexec_b32 s4, vcc_lo
	s_xor_b32 s4, exec_lo, s4
; %bb.65:
	v_bfe_u32 v135, v136, 16, 1
	s_delay_alu instid0(VALU_DEP_1)
	v_add3_u32 v135, v136, v135, 0x7fff
                                        ; implicit-def: $vgpr136
; %bb.66:
	s_and_not1_saveexec_b32 s4, s4
; %bb.67:
	v_and_b32_e32 v135, 0xffff, v136
	v_or_b32_e32 v142, 0x10000, v136
	s_delay_alu instid0(VALU_DEP_2) | instskip(NEXT) | instid1(VALU_DEP_2)
	v_cmp_eq_u32_e32 vcc_lo, 0, v135
	v_cndmask_b32_e32 v135, v142, v136, vcc_lo
; %bb.68:
	s_or_b32 exec_lo, exec_lo, s4
	v_and_b32_e32 v136, 0x7f800000, v137
	s_delay_alu instid0(VALU_DEP_1) | instskip(SKIP_1) | instid1(SALU_CYCLE_1)
	v_cmp_ne_u32_e32 vcc_lo, 0x7f800000, v136
                                        ; implicit-def: $vgpr136
	s_and_saveexec_b32 s4, vcc_lo
	s_xor_b32 s4, exec_lo, s4
; %bb.69:
	v_bfe_u32 v136, v137, 16, 1
	s_delay_alu instid0(VALU_DEP_1)
	v_add3_u32 v136, v137, v136, 0x7fff
                                        ; implicit-def: $vgpr137
; %bb.70:
	s_and_not1_saveexec_b32 s4, s4
; %bb.71:
	v_and_b32_e32 v136, 0xffff, v137
	v_or_b32_e32 v142, 0x10000, v137
	s_delay_alu instid0(VALU_DEP_2) | instskip(NEXT) | instid1(VALU_DEP_2)
	v_cmp_eq_u32_e32 vcc_lo, 0, v136
	v_cndmask_b32_e32 v136, v142, v137, vcc_lo
; %bb.72:
	s_or_b32 exec_lo, exec_lo, s4
	v_and_b32_e32 v137, 0x7f800000, v138
	s_delay_alu instid0(VALU_DEP_1) | instskip(SKIP_1) | instid1(SALU_CYCLE_1)
	v_cmp_ne_u32_e32 vcc_lo, 0x7f800000, v137
                                        ; implicit-def: $vgpr137
	s_and_saveexec_b32 s4, vcc_lo
	s_xor_b32 s4, exec_lo, s4
; %bb.73:
	v_bfe_u32 v137, v138, 16, 1
	s_delay_alu instid0(VALU_DEP_1)
	v_add3_u32 v137, v138, v137, 0x7fff
                                        ; implicit-def: $vgpr138
; %bb.74:
	s_and_not1_saveexec_b32 s4, s4
; %bb.75:
	v_and_b32_e32 v137, 0xffff, v138
	v_or_b32_e32 v142, 0x10000, v138
	s_delay_alu instid0(VALU_DEP_2) | instskip(NEXT) | instid1(VALU_DEP_2)
	v_cmp_eq_u32_e32 vcc_lo, 0, v137
	v_cndmask_b32_e32 v137, v142, v138, vcc_lo
; %bb.76:
	s_or_b32 exec_lo, exec_lo, s4
	s_delay_alu instid0(VALU_DEP_1)
	v_perm_b32 v136, v137, v136, 0x7060302
	v_perm_b32 v135, v135, v141, 0x7060302
	;; [unrolled: 1-line block ×4, first 2 shown]
	v_lshl_or_b32 v141, v149, 11, v140
	ds_store_b128 v131, v[133:136] offset:1024
	s_waitcnt lgkmcnt(0)
	s_barrier
	buffer_gl0_inv
	ds_load_b128 v[132:135], v141
	ds_load_b128 v[149:152], v141 offset:16
	s_waitcnt lgkmcnt(1)
	v_lshrrev_b32_e32 v136, 16, v132
	s_waitcnt lgkmcnt(0)
	v_lshrrev_b32_e32 v164, 16, v151
	v_lshlrev_b32_e32 v138, 2, v146
	v_lshrrev_b32_e32 v143, 16, v149
	v_lshrrev_b32_e32 v162, 16, v150
	;; [unrolled: 1-line block ×4, first 2 shown]
	v_or_b32_e32 v139, 1, v138
	v_lshrrev_b32_e32 v165, 16, v152
	v_lshrrev_b32_e32 v163, 16, v135
	s_delay_alu instid0(VALU_DEP_3)
	v_cmp_eq_u32_e64 s8, 1, v139
	v_cmp_eq_u32_e64 s7, 2, v139
	;; [unrolled: 1-line block ×4, first 2 shown]
	v_cmp_eq_u32_e32 vcc_lo, 5, v139
	v_cndmask_b32_e64 v155, v149, v143, s8
	v_cndmask_b32_e64 v154, v132, v136, s8
	v_cmp_eq_u32_e64 s5, 6, v139
	v_cmp_eq_u32_e64 s20, 7, v139
	s_delay_alu instid0(VALU_DEP_4) | instskip(NEXT) | instid1(VALU_DEP_4)
	v_cndmask_b32_e64 v155, v155, v150, s7
	v_cndmask_b32_e64 v154, v154, v133, s7
	s_delay_alu instid0(VALU_DEP_2) | instskip(NEXT) | instid1(VALU_DEP_2)
	v_cndmask_b32_e64 v155, v155, v162, s6
	v_cndmask_b32_e64 v154, v154, v144, s6
	s_delay_alu instid0(VALU_DEP_2) | instskip(NEXT) | instid1(VALU_DEP_2)
	v_cndmask_b32_e64 v155, v155, v151, s4
	v_cndmask_b32_e64 v154, v154, v134, s4
	s_delay_alu instid0(VALU_DEP_2)
	v_cndmask_b32_e32 v157, v155, v164, vcc_lo
	v_cmp_eq_u32_e64 s13, 1, v138
	v_cmp_eq_u32_e64 s12, 2, v138
	;; [unrolled: 1-line block ×3, first 2 shown]
	v_or_b32_e32 v137, 2, v138
	v_cmp_eq_u32_e64 s18, 4, v138
	v_cndmask_b32_e64 v153, v149, v143, s13
	v_cndmask_b32_e64 v142, v132, v136, s13
	v_cmp_eq_u32_e64 s15, 5, v138
	v_cmp_eq_u32_e64 s9, 1, v137
	;; [unrolled: 1-line block ×3, first 2 shown]
	v_cndmask_b32_e64 v153, v153, v150, s12
	v_cndmask_b32_e64 v142, v142, v133, s12
	v_cmp_eq_u32_e64 s11, 2, v137
	v_cndmask_b32_e64 v156, v132, v136, s9
	v_cndmask_b32_e32 v154, v154, v161, vcc_lo
	v_cndmask_b32_e64 v153, v153, v162, s17
	v_cndmask_b32_e64 v142, v142, v144, s17
	v_cmp_eq_u32_e64 s10, 7, v138
	v_cndmask_b32_e64 v156, v156, v133, s11
	v_cmp_eq_u32_e64 s19, 3, v137
	v_cndmask_b32_e64 v153, v153, v151, s18
	v_cndmask_b32_e64 v142, v142, v134, s18
	;; [unrolled: 1-line block ×3, first 2 shown]
	v_cmp_eq_u32_e64 s21, 4, v137
	v_cndmask_b32_e64 v156, v156, v144, s19
	v_cndmask_b32_e64 v153, v153, v164, s15
	;; [unrolled: 1-line block ×4, first 2 shown]
	v_cmp_eq_u32_e64 s23, 5, v137
	v_cndmask_b32_e64 v159, v156, v134, s21
	v_cndmask_b32_e64 v153, v153, v152, s16
	;; [unrolled: 1-line block ×3, first 2 shown]
	v_cmp_eq_u32_e64 s26, 6, v137
	v_cmp_eq_u32_e64 s28, 7, v137
	v_cndmask_b32_e64 v169, v159, v161, s23
	v_cndmask_b32_e64 v167, v153, v165, s10
	;; [unrolled: 1-line block ×4, first 2 shown]
	v_or_b32_e32 v142, 3, v138
	s_delay_alu instid0(VALU_DEP_3)
	v_cndmask_b32_e64 v158, v153, v150, s11
	ds_load_b128 v[153:156], v141 offset:1024
	v_cmp_eq_u32_e64 s22, 1, v142
	v_cmp_eq_u32_e64 s24, 2, v142
	;; [unrolled: 1-line block ×3, first 2 shown]
	v_cndmask_b32_e64 v158, v158, v162, s19
	v_cmp_eq_u32_e64 s27, 4, v142
	v_cndmask_b32_e64 v132, v132, v136, s22
	v_cndmask_b32_e64 v136, v157, v152, s5
	;; [unrolled: 1-line block ×4, first 2 shown]
	ds_load_b128 v[157:160], v141 offset:1040
	v_cndmask_b32_e64 v132, v132, v133, s24
	v_cmp_eq_u32_e64 s29, 5, v142
	v_cndmask_b32_e64 v143, v143, v150, s24
	v_cmp_eq_u32_e64 s30, 6, v142
	v_cndmask_b32_e64 v133, v170, v164, s23
	v_cndmask_b32_e64 v132, v132, v144, s25
	;; [unrolled: 1-line block ×5, first 2 shown]
	s_waitcnt lgkmcnt(1)
	v_lshrrev_b32_e32 v149, 16, v153
	v_cndmask_b32_e64 v132, v132, v134, s27
	v_cndmask_b32_e64 v133, v133, v152, s26
	;; [unrolled: 1-line block ×3, first 2 shown]
	v_lshrrev_b32_e32 v151, 16, v154
	v_cndmask_b32_e64 v143, v153, v149, s13
	v_cndmask_b32_e64 v132, v132, v161, s29
	;; [unrolled: 1-line block ×5, first 2 shown]
	s_waitcnt lgkmcnt(0)
	v_lshrrev_b32_e32 v150, 16, v157
	v_cndmask_b32_e64 v143, v143, v154, s12
	v_cndmask_b32_e64 v132, v132, v135, s30
	;; [unrolled: 1-line block ×3, first 2 shown]
	v_lshrrev_b32_e32 v164, 16, v159
	v_cndmask_b32_e64 v162, v157, v150, s13
	v_cndmask_b32_e64 v135, v143, v151, s17
	v_cndmask_b32_e64 v143, v161, v154, s7
	v_lshrrev_b32_e32 v161, 16, v158
	v_cndmask_b32_e64 v133, v133, v165, s28
	v_cndmask_b32_e64 v152, v162, v158, s12
	v_cmp_eq_u32_e64 s12, 7, v142
	v_cndmask_b32_e64 v143, v143, v151, s6
	v_cndmask_b32_e64 v135, v135, v155, s18
	v_lshrrev_b32_e32 v162, 16, v155
	v_cndmask_b32_e64 v152, v152, v161, s17
	v_cndmask_b32_e64 v132, v132, v163, s12
	;; [unrolled: 1-line block ×6, first 2 shown]
	s_delay_alu instid0(VALU_DEP_4) | instskip(NEXT) | instid1(VALU_DEP_4)
	v_perm_b32 v135, v134, v132, 0x5040100
	v_cndmask_b32_e32 v132, v143, v162, vcc_lo
	s_delay_alu instid0(VALU_DEP_4)
	v_cndmask_b32_e64 v143, v163, v156, s16
	v_lshrrev_b32_e32 v163, 16, v156
	v_cndmask_b32_e64 v152, v152, v164, s15
	v_perm_b32 v134, v133, v144, 0x5040100
	v_cndmask_b32_e64 v132, v132, v156, s5
	v_perm_b32 v133, v136, v168, 0x5040100
	v_cndmask_b32_e64 v136, v143, v163, s10
	v_cndmask_b32_e64 v143, v152, v160, s16
	;; [unrolled: 1-line block ×13, first 2 shown]
	v_lshrrev_b32_e32 v144, 16, v160
	v_cndmask_b32_e64 v132, v132, v151, s19
	v_cndmask_b32_e64 v149, v149, v151, s25
	;; [unrolled: 1-line block ×14, first 2 shown]
	v_cndmask_b32_e32 v150, v150, v164, vcc_lo
	v_cndmask_b32_e64 v132, v132, v156, s26
	v_cndmask_b32_e64 v149, v149, v156, s30
	;; [unrolled: 1-line block ×11, first 2 shown]
	v_perm_b32 v132, v167, v166, 0x5040100
	v_perm_b32 v152, v151, v149, 0x5040100
	;; [unrolled: 1-line block ×5, first 2 shown]
	s_mul_i32 s9, s37, 11
	s_mov_b32 s4, exec_lo
	ds_store_b128 v131, v[132:135]
	ds_store_b128 v131, v[149:152] offset:1024
	v_cmpx_gt_u32_e32 11, v0
	s_cbranch_execz .LBB432_78
; %bb.77:
	s_mul_i32 s5, s9, s34
	s_load_b128 s[16:19], s[0:1], 0x58
	v_add3_u32 v133, s5, s31, v148
	s_delay_alu instid0(VALU_DEP_1) | instskip(NEXT) | instid1(VALU_DEP_1)
	v_mad_u64_u32 v[131:132], null, v133, s36, s[14:15]
	v_ashrrev_i32_e32 v132, 31, v131
	s_delay_alu instid0(VALU_DEP_1) | instskip(SKIP_1) | instid1(VALU_DEP_1)
	v_lshlrev_b64 v[131:132], 2, v[131:132]
	s_waitcnt lgkmcnt(0)
	v_add_co_u32 v133, vcc_lo, s18, v131
	s_delay_alu instid0(VALU_DEP_2)
	v_add_co_ci_u32_e32 v134, vcc_lo, s19, v132, vcc_lo
	v_add_co_u32 v131, vcc_lo, s16, v131
	v_add_co_ci_u32_e32 v132, vcc_lo, s17, v132, vcc_lo
	global_store_b32 v[133:134], v129, off
	global_store_b32 v[131:132], v130, off
.LBB432_78:
	s_or_b32 exec_lo, exec_lo, s4
	s_waitcnt lgkmcnt(0)
	s_waitcnt_vscnt null, 0x0
	s_barrier
	buffer_gl0_inv
	ds_load_b128 v[148:151], v140
	ds_load_b128 v[152:155], v140 offset:16
	ds_load_b128 v[160:163], v140 offset:1040
	;; [unrolled: 1-line block ×3, first 2 shown]
	v_mov_b32_e32 v129, 0
	ds_load_b128 v[168:171], v140 offset:2064
	ds_load_b128 v[164:167], v140 offset:2048
	;; [unrolled: 1-line block ×6, first 2 shown]
	v_mov_b32_e32 v130, v129
	v_mov_b32_e32 v131, v129
	;; [unrolled: 1-line block ×7, first 2 shown]
	s_waitcnt lgkmcnt(8)
	s_delay_alu instid0(VALU_DEP_1)
	v_wmma_f32_16x16x16_bf16 v[129:136], v[121:128], v[148:155], v[129:136]
	ds_load_b128 v[125:128], v140 offset:5136
	ds_load_b128 v[121:124], v140 offset:5120
	s_waitcnt lgkmcnt(8)
	v_wmma_f32_16x16x16_bf16 v[129:136], v[113:120], v[156:163], v[129:136]
	ds_load_b128 v[117:120], v140 offset:6160
	ds_load_b128 v[113:116], v140 offset:6144
	s_waitcnt lgkmcnt(8)
	;; [unrolled: 4-line block ×8, first 2 shown]
	v_wmma_f32_16x16x16_bf16 v[129:136], v[65:72], v[97:104], v[129:136]
	s_waitcnt lgkmcnt(6)
	s_delay_alu instid0(VALU_DEP_1)
	v_wmma_f32_16x16x16_bf16 v[129:136], v[49:56], v[89:96], v[129:136]
	ds_load_b128 v[53:56], v140 offset:13328
	ds_load_b128 v[49:52], v140 offset:13312
	s_waitcnt lgkmcnt(6)
	v_wmma_f32_16x16x16_bf16 v[129:136], v[41:48], v[81:88], v[129:136]
	ds_load_b128 v[45:48], v140 offset:14352
	ds_load_b128 v[41:44], v140 offset:14336
	s_waitcnt lgkmcnt(6)
	;; [unrolled: 4-line block ×3, first 2 shown]
	v_wmma_f32_16x16x16_bf16 v[129:136], v[1:8], v[57:64], v[129:136]
	s_waitcnt lgkmcnt(4)
	s_delay_alu instid0(VALU_DEP_1) | instskip(SKIP_1) | instid1(VALU_DEP_1)
	v_wmma_f32_16x16x16_bf16 v[129:136], v[25:32], v[49:56], v[129:136]
	s_waitcnt lgkmcnt(2)
	v_wmma_f32_16x16x16_bf16 v[129:136], v[33:40], v[41:48], v[129:136]
	s_waitcnt lgkmcnt(0)
	s_delay_alu instid0(VALU_DEP_1) | instskip(NEXT) | instid1(VALU_DEP_1)
	v_wmma_f32_16x16x16_bf16 v[129:136], v[9:16], v[17:24], v[129:136]
	v_and_b32_e32 v1, 0x7f800000, v129
	s_delay_alu instid0(VALU_DEP_1) | instskip(SKIP_1) | instid1(SALU_CYCLE_1)
	v_cmp_ne_u32_e32 vcc_lo, 0x7f800000, v1
                                        ; implicit-def: $vgpr1
	s_and_saveexec_b32 s4, vcc_lo
	s_xor_b32 s4, exec_lo, s4
; %bb.79:
	v_bfe_u32 v1, v129, 16, 1
	s_delay_alu instid0(VALU_DEP_1)
	v_add3_u32 v1, v129, v1, 0x7fff
; %bb.80:
	s_and_not1_saveexec_b32 s4, s4
; %bb.81:
	v_and_b32_e32 v1, 0xffff, v129
	v_or_b32_e32 v2, 0x10000, v129
	s_delay_alu instid0(VALU_DEP_2) | instskip(NEXT) | instid1(VALU_DEP_2)
	v_cmp_eq_u32_e32 vcc_lo, 0, v1
	v_cndmask_b32_e32 v1, v2, v129, vcc_lo
; %bb.82:
	s_or_b32 exec_lo, exec_lo, s4
	v_and_b32_e32 v2, 0x7f800000, v130
	s_delay_alu instid0(VALU_DEP_1) | instskip(SKIP_1) | instid1(SALU_CYCLE_1)
	v_cmp_ne_u32_e32 vcc_lo, 0x7f800000, v2
                                        ; implicit-def: $vgpr2
	s_and_saveexec_b32 s4, vcc_lo
	s_xor_b32 s4, exec_lo, s4
; %bb.83:
	v_bfe_u32 v2, v130, 16, 1
	s_delay_alu instid0(VALU_DEP_1)
	v_add3_u32 v2, v130, v2, 0x7fff
; %bb.84:
	s_and_not1_saveexec_b32 s4, s4
; %bb.85:
	v_and_b32_e32 v2, 0xffff, v130
	v_or_b32_e32 v3, 0x10000, v130
	s_delay_alu instid0(VALU_DEP_2) | instskip(NEXT) | instid1(VALU_DEP_2)
	v_cmp_eq_u32_e32 vcc_lo, 0, v2
	v_cndmask_b32_e32 v2, v3, v130, vcc_lo
; %bb.86:
	s_or_b32 exec_lo, exec_lo, s4
	v_and_b32_e32 v3, 0x7f800000, v131
	s_delay_alu instid0(VALU_DEP_1) | instskip(SKIP_1) | instid1(SALU_CYCLE_1)
	v_cmp_ne_u32_e32 vcc_lo, 0x7f800000, v3
                                        ; implicit-def: $vgpr3
	s_and_saveexec_b32 s4, vcc_lo
	s_xor_b32 s4, exec_lo, s4
; %bb.87:
	v_bfe_u32 v3, v131, 16, 1
	s_delay_alu instid0(VALU_DEP_1)
	v_add3_u32 v3, v131, v3, 0x7fff
; %bb.88:
	s_and_not1_saveexec_b32 s4, s4
; %bb.89:
	v_and_b32_e32 v3, 0xffff, v131
	v_or_b32_e32 v4, 0x10000, v131
	s_delay_alu instid0(VALU_DEP_2) | instskip(NEXT) | instid1(VALU_DEP_2)
	v_cmp_eq_u32_e32 vcc_lo, 0, v3
	v_cndmask_b32_e32 v3, v4, v131, vcc_lo
; %bb.90:
	s_or_b32 exec_lo, exec_lo, s4
	v_and_b32_e32 v4, 0x7f800000, v132
	s_delay_alu instid0(VALU_DEP_1) | instskip(SKIP_1) | instid1(SALU_CYCLE_1)
	v_cmp_ne_u32_e32 vcc_lo, 0x7f800000, v4
                                        ; implicit-def: $vgpr4
	s_and_saveexec_b32 s4, vcc_lo
	s_xor_b32 s4, exec_lo, s4
; %bb.91:
	v_bfe_u32 v4, v132, 16, 1
	s_delay_alu instid0(VALU_DEP_1)
	v_add3_u32 v4, v132, v4, 0x7fff
; %bb.92:
	s_and_not1_saveexec_b32 s4, s4
; %bb.93:
	v_and_b32_e32 v4, 0xffff, v132
	v_or_b32_e32 v5, 0x10000, v132
	s_delay_alu instid0(VALU_DEP_2) | instskip(NEXT) | instid1(VALU_DEP_2)
	v_cmp_eq_u32_e32 vcc_lo, 0, v4
	v_cndmask_b32_e32 v4, v5, v132, vcc_lo
; %bb.94:
	s_or_b32 exec_lo, exec_lo, s4
	v_and_b32_e32 v5, 0x7f800000, v133
	s_delay_alu instid0(VALU_DEP_1) | instskip(SKIP_1) | instid1(SALU_CYCLE_1)
	v_cmp_ne_u32_e32 vcc_lo, 0x7f800000, v5
                                        ; implicit-def: $vgpr5
	s_and_saveexec_b32 s4, vcc_lo
	s_xor_b32 s4, exec_lo, s4
; %bb.95:
	v_bfe_u32 v5, v133, 16, 1
	s_delay_alu instid0(VALU_DEP_1)
	v_add3_u32 v5, v133, v5, 0x7fff
; %bb.96:
	s_and_not1_saveexec_b32 s4, s4
; %bb.97:
	v_and_b32_e32 v5, 0xffff, v133
	v_or_b32_e32 v6, 0x10000, v133
	s_delay_alu instid0(VALU_DEP_2) | instskip(NEXT) | instid1(VALU_DEP_2)
	v_cmp_eq_u32_e32 vcc_lo, 0, v5
	v_cndmask_b32_e32 v5, v6, v133, vcc_lo
; %bb.98:
	s_or_b32 exec_lo, exec_lo, s4
	v_and_b32_e32 v6, 0x7f800000, v134
	s_delay_alu instid0(VALU_DEP_1) | instskip(SKIP_1) | instid1(SALU_CYCLE_1)
	v_cmp_ne_u32_e32 vcc_lo, 0x7f800000, v6
                                        ; implicit-def: $vgpr6
	s_and_saveexec_b32 s4, vcc_lo
	s_xor_b32 s4, exec_lo, s4
; %bb.99:
	v_bfe_u32 v6, v134, 16, 1
	s_delay_alu instid0(VALU_DEP_1)
	v_add3_u32 v6, v134, v6, 0x7fff
; %bb.100:
	s_and_not1_saveexec_b32 s4, s4
; %bb.101:
	v_and_b32_e32 v6, 0xffff, v134
	v_or_b32_e32 v7, 0x10000, v134
	s_delay_alu instid0(VALU_DEP_2) | instskip(NEXT) | instid1(VALU_DEP_2)
	v_cmp_eq_u32_e32 vcc_lo, 0, v6
	v_cndmask_b32_e32 v6, v7, v134, vcc_lo
; %bb.102:
	s_or_b32 exec_lo, exec_lo, s4
	v_and_b32_e32 v7, 0x7f800000, v135
	s_delay_alu instid0(VALU_DEP_1) | instskip(SKIP_1) | instid1(SALU_CYCLE_1)
	v_cmp_ne_u32_e32 vcc_lo, 0x7f800000, v7
                                        ; implicit-def: $vgpr7
	s_and_saveexec_b32 s4, vcc_lo
	s_xor_b32 s4, exec_lo, s4
; %bb.103:
	v_bfe_u32 v7, v135, 16, 1
	s_delay_alu instid0(VALU_DEP_1)
	v_add3_u32 v7, v135, v7, 0x7fff
; %bb.104:
	s_and_not1_saveexec_b32 s4, s4
; %bb.105:
	v_and_b32_e32 v7, 0xffff, v135
	v_or_b32_e32 v8, 0x10000, v135
	s_delay_alu instid0(VALU_DEP_2) | instskip(NEXT) | instid1(VALU_DEP_2)
	v_cmp_eq_u32_e32 vcc_lo, 0, v7
	v_cndmask_b32_e32 v7, v8, v135, vcc_lo
; %bb.106:
	s_or_b32 exec_lo, exec_lo, s4
	v_and_b32_e32 v8, 0x7f800000, v136
	s_delay_alu instid0(VALU_DEP_1) | instskip(SKIP_1) | instid1(SALU_CYCLE_1)
	v_cmp_ne_u32_e32 vcc_lo, 0x7f800000, v8
                                        ; implicit-def: $vgpr8
	s_and_saveexec_b32 s4, vcc_lo
	s_xor_b32 s4, exec_lo, s4
; %bb.107:
	v_bfe_u32 v8, v136, 16, 1
	s_delay_alu instid0(VALU_DEP_1)
	v_add3_u32 v8, v136, v8, 0x7fff
                                        ; implicit-def: $vgpr129_vgpr130_vgpr131_vgpr132_vgpr133_vgpr134_vgpr135_vgpr136
; %bb.108:
	s_and_not1_saveexec_b32 s4, s4
; %bb.109:
	v_and_b32_e32 v8, 0xffff, v136
	v_or_b32_e32 v9, 0x10000, v136
	s_delay_alu instid0(VALU_DEP_2) | instskip(NEXT) | instid1(VALU_DEP_2)
	v_cmp_eq_u32_e32 vcc_lo, 0, v8
	v_cndmask_b32_e32 v8, v9, v136, vcc_lo
; %bb.110:
	s_or_b32 exec_lo, exec_lo, s4
	s_delay_alu instid0(VALU_DEP_1)
	v_perm_b32 v7, v8, v7, 0x7060302
	v_perm_b32 v6, v6, v5, 0x7060302
	;; [unrolled: 1-line block ×4, first 2 shown]
	v_lshl_or_b32 v9, v146, 4, v141
	s_barrier
	buffer_gl0_inv
	v_cmp_eq_u32_e32 vcc_lo, 1, v138
	ds_store_b128 v9, v[4:7]
	s_waitcnt lgkmcnt(0)
	s_barrier
	buffer_gl0_inv
	ds_load_b128 v[1:4], v141
	ds_load_b128 v[5:8], v141 offset:16
	v_cmp_eq_u32_e64 s5, 2, v138
	v_cmp_eq_u32_e64 s4, 1, v139
	;; [unrolled: 1-line block ×5, first 2 shown]
	s_waitcnt lgkmcnt(1)
	v_lshrrev_b32_e32 v10, 16, v1
	s_waitcnt lgkmcnt(0)
	v_lshrrev_b32_e32 v14, 16, v5
	v_lshrrev_b32_e32 v15, 16, v6
	;; [unrolled: 1-line block ×4, first 2 shown]
	v_cndmask_b32_e64 v20, v1, v10, s4
	v_cndmask_b32_e32 v19, v5, v14, vcc_lo
	v_cndmask_b32_e64 v21, v5, v14, s4
	v_lshrrev_b32_e32 v16, 16, v7
	v_cmp_eq_u32_e64 s4, 1, v137
	v_lshrrev_b32_e32 v13, 16, v4
	v_cndmask_b32_e64 v19, v19, v6, s5
	v_lshrrev_b32_e32 v17, 16, v8
	s_delay_alu instid0(VALU_DEP_4) | instskip(SKIP_1) | instid1(VALU_DEP_4)
	v_cndmask_b32_e64 v22, v1, v10, s4
	v_cndmask_b32_e64 v23, v5, v14, s4
	;; [unrolled: 1-line block ×3, first 2 shown]
	v_cndmask_b32_e32 v18, v1, v10, vcc_lo
	v_cmp_eq_u32_e32 vcc_lo, 2, v139
	v_cmp_eq_u32_e64 s4, 2, v142
	v_cndmask_b32_e64 v22, v22, v2, s8
	v_cndmask_b32_e32 v20, v20, v2, vcc_lo
	v_cndmask_b32_e32 v21, v21, v6, vcc_lo
	v_cmp_eq_u32_e32 vcc_lo, 4, v138
	v_cndmask_b32_e32 v19, v19, v7, vcc_lo
	v_cndmask_b32_e64 v18, v18, v2, s5
	v_cmp_eq_u32_e64 s5, 3, v139
	s_delay_alu instid0(VALU_DEP_2) | instskip(NEXT) | instid1(VALU_DEP_2)
	v_cndmask_b32_e64 v18, v18, v11, s6
	v_cndmask_b32_e64 v21, v21, v15, s5
	v_cmp_eq_u32_e64 s6, 5, v138
	s_delay_alu instid0(VALU_DEP_3) | instskip(SKIP_1) | instid1(VALU_DEP_3)
	v_cndmask_b32_e32 v18, v18, v3, vcc_lo
	v_cmp_eq_u32_e32 vcc_lo, 4, v139
	v_cndmask_b32_e64 v19, v19, v16, s6
	s_delay_alu instid0(VALU_DEP_3) | instskip(SKIP_4) | instid1(VALU_DEP_3)
	v_cndmask_b32_e64 v18, v18, v12, s6
	v_cndmask_b32_e32 v21, v21, v7, vcc_lo
	v_cndmask_b32_e64 v20, v20, v11, s5
	v_cmp_eq_u32_e64 s5, 5, v139
	v_cmp_eq_u32_e64 s6, 6, v138
	v_cndmask_b32_e32 v20, v20, v3, vcc_lo
	s_delay_alu instid0(VALU_DEP_3) | instskip(SKIP_1) | instid1(VALU_DEP_4)
	v_cndmask_b32_e64 v21, v21, v16, s5
	v_cmp_eq_u32_e32 vcc_lo, 6, v139
	v_cndmask_b32_e64 v18, v18, v4, s6
	v_cndmask_b32_e64 v19, v19, v8, s6
	;; [unrolled: 1-line block ×3, first 2 shown]
	v_cmp_eq_u32_e64 s5, 1, v142
	v_cmp_eq_u32_e64 s6, 7, v138
	s_delay_alu instid0(VALU_DEP_3) | instskip(NEXT) | instid1(VALU_DEP_3)
	v_cndmask_b32_e32 v20, v20, v4, vcc_lo
	v_cndmask_b32_e64 v1, v1, v10, s5
	v_cndmask_b32_e64 v5, v5, v14, s5
	v_cmp_eq_u32_e64 s5, 3, v137
	v_cndmask_b32_e64 v14, v23, v6, s8
	v_cmp_eq_u32_e64 s8, 3, v142
	v_cndmask_b32_e64 v1, v1, v2, s4
	v_cndmask_b32_e64 v2, v5, v6, s4
	;; [unrolled: 1-line block ×3, first 2 shown]
	v_cmp_eq_u32_e64 s4, 4, v137
	v_cndmask_b32_e64 v6, v14, v15, s5
	v_cndmask_b32_e64 v1, v1, v11, s8
	v_cmp_eq_u32_e64 s5, 4, v142
	v_cndmask_b32_e64 v2, v2, v15, s8
	v_cndmask_b32_e64 v5, v10, v3, s4
	;; [unrolled: 3-line block ×3, first 2 shown]
	v_cndmask_b32_e64 v2, v2, v7, s5
	v_cmp_eq_u32_e64 s4, 5, v142
	v_cndmask_b32_e64 v5, v5, v12, s8
	v_cmp_eq_u32_e64 s5, 6, v137
	;; [unrolled: 2-line block ×3, first 2 shown]
	v_cndmask_b32_e64 v1, v1, v12, s4
	v_cndmask_b32_e64 v2, v2, v16, s4
	;; [unrolled: 1-line block ×4, first 2 shown]
	v_cmp_eq_u32_e64 s4, 7, v142
	v_cndmask_b32_e64 v1, v1, v4, s8
	v_cndmask_b32_e64 v2, v2, v8, s8
	v_cmp_eq_u32_e64 s5, 7, v137
	v_cndmask_b32_e32 v4, v21, v8, vcc_lo
	v_cndmask_b32_e64 v18, v18, v13, s6
	v_cndmask_b32_e64 v20, v20, v13, s7
	;; [unrolled: 1-line block ×8, first 2 shown]
	v_cmp_gt_u32_e32 vcc_lo, 32, v0
	v_perm_b32 v4, v2, v1, 0x5040100
	v_perm_b32 v3, v3, v5, 0x5040100
	;; [unrolled: 1-line block ×4, first 2 shown]
	s_and_b32 s2, vcc_lo, s2
	ds_store_b128 v9, v[1:4]
	s_waitcnt lgkmcnt(0)
	s_barrier
	buffer_gl0_inv
	s_and_saveexec_b32 s4, s2
	s_cbranch_execz .LBB432_2
; %bb.111:
	s_load_b64 s[4:5], s[0:1], 0x68
	v_lshlrev_b32_e32 v0, 10, v0
	v_lshlrev_b32_e32 v1, 4, v147
	s_lshl_b32 s0, s36, 6
	v_add_nc_u32_e32 v7, s31, v146
	s_mul_i32 s1, s0, s34
	s_delay_alu instid0(SALU_CYCLE_1) | instskip(SKIP_1) | instid1(VALU_DEP_2)
	s_mul_i32 s6, s1, s9
	v_and_or_b32 v0, 0x3800, v0, v1
	v_mul_lo_u32 v1, v7, s0
	v_add_nc_u32_e32 v2, 2, v7
	s_ashr_i32 s7, s6, 31
	v_add_nc_u32_e32 v4, 4, v7
	s_lshl_b64 s[6:7], s[6:7], 1
	v_add_nc_u32_e32 v8, 6, v7
	v_mul_lo_u32 v3, v2, s0
	v_lshl_or_b32 v19, v146, 6, v0
	v_ashrrev_i32_e32 v2, 31, v1
	v_mul_lo_u32 v11, v4, s0
	v_mul_lo_u32 v25, v8, s0
	s_waitcnt lgkmcnt(0)
	s_add_u32 s1, s4, s6
	s_addc_u32 s2, s5, s7
	s_lshl_b32 s4, s14, 6
	v_lshlrev_b64 v[5:6], 1, v[1:2]
	s_ashr_i32 s5, s4, 31
	v_ashrrev_i32_e32 v4, 31, v3
	s_lshl_b64 s[4:5], s[4:5], 1
	v_ashrrev_i32_e32 v12, 31, v11
	s_add_u32 s1, s1, s4
	s_addc_u32 s2, s2, s5
	v_add_co_u32 v1, s1, s1, v145
	s_delay_alu instid0(VALU_DEP_1) | instskip(SKIP_1) | instid1(VALU_DEP_3)
	v_add_co_ci_u32_e64 v2, null, s2, 0, s1
	v_lshlrev_b64 v[3:4], 1, v[3:4]
	v_add_co_u32 v23, vcc_lo, v1, v5
	v_add_nc_u32_e32 v5, 8, v7
	s_delay_alu instid0(VALU_DEP_4) | instskip(NEXT) | instid1(VALU_DEP_4)
	v_add_co_ci_u32_e32 v24, vcc_lo, v2, v6, vcc_lo
	v_add_co_u32 v27, vcc_lo, v1, v3
	s_delay_alu instid0(VALU_DEP_3)
	v_mul_lo_u32 v29, v5, s0
	v_add_co_ci_u32_e32 v28, vcc_lo, v2, v4, vcc_lo
	ds_load_b128 v[3:6], v19
	ds_load_b128 v[7:10], v19 offset:128
	v_lshlrev_b64 v[31:32], 1, v[11:12]
	ds_load_b128 v[11:14], v19 offset:256
	ds_load_b128 v[15:18], v19 offset:384
	;; [unrolled: 1-line block ×3, first 2 shown]
	v_ashrrev_i32_e32 v26, 31, v25
	v_ashrrev_i32_e32 v30, 31, v29
	v_add_co_u32 v31, vcc_lo, v1, v31
	s_delay_alu instid0(VALU_DEP_3) | instskip(NEXT) | instid1(VALU_DEP_3)
	v_lshlrev_b64 v[25:26], 1, v[25:26]
	v_lshlrev_b64 v[29:30], 1, v[29:30]
	v_add_co_ci_u32_e32 v32, vcc_lo, v2, v32, vcc_lo
	s_delay_alu instid0(VALU_DEP_3) | instskip(NEXT) | instid1(VALU_DEP_4)
	v_add_co_u32 v25, vcc_lo, v1, v25
	v_add_co_ci_u32_e32 v26, vcc_lo, v2, v26, vcc_lo
	s_delay_alu instid0(VALU_DEP_4)
	v_add_co_u32 v29, vcc_lo, v1, v29
	v_add_co_ci_u32_e32 v30, vcc_lo, v2, v30, vcc_lo
	s_waitcnt lgkmcnt(4)
	global_store_b128 v[23:24], v[3:6], off
	s_waitcnt lgkmcnt(3)
	global_store_b128 v[27:28], v[7:10], off
	s_waitcnt lgkmcnt(2)
	global_store_b128 v[31:32], v[11:14], off
	s_waitcnt lgkmcnt(1)
	global_store_b128 v[25:26], v[15:18], off
	s_waitcnt lgkmcnt(0)
	global_store_b128 v[29:30], v[19:22], off
	s_and_b32 exec_lo, exec_lo, s3
	s_cbranch_execz .LBB432_2
; %bb.112:
	ds_load_b128 v[3:6], v0 offset:640
	s_add_i32 s1, s31, 10
	s_delay_alu instid0(SALU_CYCLE_1) | instskip(NEXT) | instid1(SALU_CYCLE_1)
	s_mul_i32 s0, s1, s0
	s_ashr_i32 s1, s0, 31
	s_delay_alu instid0(SALU_CYCLE_1) | instskip(NEXT) | instid1(SALU_CYCLE_1)
	s_lshl_b64 s[0:1], s[0:1], 1
	v_add_co_u32 v0, vcc_lo, v1, s0
	v_add_co_ci_u32_e32 v1, vcc_lo, s1, v2, vcc_lo
	s_waitcnt lgkmcnt(0)
	global_store_b128 v[0:1], v[3:6], off
	s_nop 0
	s_sendmsg sendmsg(MSG_DEALLOC_VGPRS)
	s_endpgm
	.section	.rodata,"a",@progbits
	.p2align	6, 0x0
	.amdhsa_kernel _Z39paged_attention_ll4mi_QKV_mfma16_kernelI14__hip_bfloat16S0_LN4vllm18Fp8KVCacheDataTypeE0EhLi16ELi64ELi256ELb0ELi11EL8MFMAType0EEvPKT_PKT0_S9_ifPKiSB_SB_iPKfiiiPfSE_PS4_PT2_iSD_SD_
		.amdhsa_group_segment_fixed_size 17472
		.amdhsa_private_segment_fixed_size 0
		.amdhsa_kernarg_size 400
		.amdhsa_user_sgpr_count 13
		.amdhsa_user_sgpr_dispatch_ptr 0
		.amdhsa_user_sgpr_queue_ptr 0
		.amdhsa_user_sgpr_kernarg_segment_ptr 1
		.amdhsa_user_sgpr_dispatch_id 0
		.amdhsa_user_sgpr_private_segment_size 0
		.amdhsa_wavefront_size32 1
		.amdhsa_uses_dynamic_stack 0
		.amdhsa_enable_private_segment 0
		.amdhsa_system_sgpr_workgroup_id_x 1
		.amdhsa_system_sgpr_workgroup_id_y 1
		.amdhsa_system_sgpr_workgroup_id_z 1
		.amdhsa_system_sgpr_workgroup_info 0
		.amdhsa_system_vgpr_workitem_id 0
		.amdhsa_next_free_vgpr 198
		.amdhsa_next_free_sgpr 52
		.amdhsa_reserve_vcc 1
		.amdhsa_float_round_mode_32 0
		.amdhsa_float_round_mode_16_64 0
		.amdhsa_float_denorm_mode_32 3
		.amdhsa_float_denorm_mode_16_64 3
		.amdhsa_dx10_clamp 1
		.amdhsa_ieee_mode 1
		.amdhsa_fp16_overflow 0
		.amdhsa_workgroup_processor_mode 1
		.amdhsa_memory_ordered 1
		.amdhsa_forward_progress 0
		.amdhsa_shared_vgpr_count 0
		.amdhsa_exception_fp_ieee_invalid_op 0
		.amdhsa_exception_fp_denorm_src 0
		.amdhsa_exception_fp_ieee_div_zero 0
		.amdhsa_exception_fp_ieee_overflow 0
		.amdhsa_exception_fp_ieee_underflow 0
		.amdhsa_exception_fp_ieee_inexact 0
		.amdhsa_exception_int_div_zero 0
	.end_amdhsa_kernel
	.section	.text._Z39paged_attention_ll4mi_QKV_mfma16_kernelI14__hip_bfloat16S0_LN4vllm18Fp8KVCacheDataTypeE0EhLi16ELi64ELi256ELb0ELi11EL8MFMAType0EEvPKT_PKT0_S9_ifPKiSB_SB_iPKfiiiPfSE_PS4_PT2_iSD_SD_,"axG",@progbits,_Z39paged_attention_ll4mi_QKV_mfma16_kernelI14__hip_bfloat16S0_LN4vllm18Fp8KVCacheDataTypeE0EhLi16ELi64ELi256ELb0ELi11EL8MFMAType0EEvPKT_PKT0_S9_ifPKiSB_SB_iPKfiiiPfSE_PS4_PT2_iSD_SD_,comdat
.Lfunc_end432:
	.size	_Z39paged_attention_ll4mi_QKV_mfma16_kernelI14__hip_bfloat16S0_LN4vllm18Fp8KVCacheDataTypeE0EhLi16ELi64ELi256ELb0ELi11EL8MFMAType0EEvPKT_PKT0_S9_ifPKiSB_SB_iPKfiiiPfSE_PS4_PT2_iSD_SD_, .Lfunc_end432-_Z39paged_attention_ll4mi_QKV_mfma16_kernelI14__hip_bfloat16S0_LN4vllm18Fp8KVCacheDataTypeE0EhLi16ELi64ELi256ELb0ELi11EL8MFMAType0EEvPKT_PKT0_S9_ifPKiSB_SB_iPKfiiiPfSE_PS4_PT2_iSD_SD_
                                        ; -- End function
	.section	.AMDGPU.csdata,"",@progbits
; Kernel info:
; codeLenInByte = 10216
; NumSgprs: 54
; NumVgprs: 198
; ScratchSize: 0
; MemoryBound: 0
; FloatMode: 240
; IeeeMode: 1
; LDSByteSize: 17472 bytes/workgroup (compile time only)
; SGPRBlocks: 6
; VGPRBlocks: 24
; NumSGPRsForWavesPerEU: 54
; NumVGPRsForWavesPerEU: 198
; Occupancy: 7
; WaveLimiterHint : 1
; COMPUTE_PGM_RSRC2:SCRATCH_EN: 0
; COMPUTE_PGM_RSRC2:USER_SGPR: 13
; COMPUTE_PGM_RSRC2:TRAP_HANDLER: 0
; COMPUTE_PGM_RSRC2:TGID_X_EN: 1
; COMPUTE_PGM_RSRC2:TGID_Y_EN: 1
; COMPUTE_PGM_RSRC2:TGID_Z_EN: 1
; COMPUTE_PGM_RSRC2:TIDIG_COMP_CNT: 0
	.section	.text._Z39paged_attention_ll4mi_QKV_mfma16_kernelI14__hip_bfloat16S0_LN4vllm18Fp8KVCacheDataTypeE0EhLi16ELi64ELi256ELb0ELi12EL8MFMAType0EEvPKT_PKT0_S9_ifPKiSB_SB_iPKfiiiPfSE_PS4_PT2_iSD_SD_,"axG",@progbits,_Z39paged_attention_ll4mi_QKV_mfma16_kernelI14__hip_bfloat16S0_LN4vllm18Fp8KVCacheDataTypeE0EhLi16ELi64ELi256ELb0ELi12EL8MFMAType0EEvPKT_PKT0_S9_ifPKiSB_SB_iPKfiiiPfSE_PS4_PT2_iSD_SD_,comdat
	.protected	_Z39paged_attention_ll4mi_QKV_mfma16_kernelI14__hip_bfloat16S0_LN4vllm18Fp8KVCacheDataTypeE0EhLi16ELi64ELi256ELb0ELi12EL8MFMAType0EEvPKT_PKT0_S9_ifPKiSB_SB_iPKfiiiPfSE_PS4_PT2_iSD_SD_ ; -- Begin function _Z39paged_attention_ll4mi_QKV_mfma16_kernelI14__hip_bfloat16S0_LN4vllm18Fp8KVCacheDataTypeE0EhLi16ELi64ELi256ELb0ELi12EL8MFMAType0EEvPKT_PKT0_S9_ifPKiSB_SB_iPKfiiiPfSE_PS4_PT2_iSD_SD_
	.globl	_Z39paged_attention_ll4mi_QKV_mfma16_kernelI14__hip_bfloat16S0_LN4vllm18Fp8KVCacheDataTypeE0EhLi16ELi64ELi256ELb0ELi12EL8MFMAType0EEvPKT_PKT0_S9_ifPKiSB_SB_iPKfiiiPfSE_PS4_PT2_iSD_SD_
	.p2align	8
	.type	_Z39paged_attention_ll4mi_QKV_mfma16_kernelI14__hip_bfloat16S0_LN4vllm18Fp8KVCacheDataTypeE0EhLi16ELi64ELi256ELb0ELi12EL8MFMAType0EEvPKT_PKT0_S9_ifPKiSB_SB_iPKfiiiPfSE_PS4_PT2_iSD_SD_,@function
_Z39paged_attention_ll4mi_QKV_mfma16_kernelI14__hip_bfloat16S0_LN4vllm18Fp8KVCacheDataTypeE0EhLi16ELi64ELi256ELb0ELi12EL8MFMAType0EEvPKT_PKT0_S9_ifPKiSB_SB_iPKfiiiPfSE_PS4_PT2_iSD_SD_: ; @_Z39paged_attention_ll4mi_QKV_mfma16_kernelI14__hip_bfloat16S0_LN4vllm18Fp8KVCacheDataTypeE0EhLi16ELi64ELi256ELb0ELi12EL8MFMAType0EEvPKT_PKT0_S9_ifPKiSB_SB_iPKfiiiPfSE_PS4_PT2_iSD_SD_
; %bb.0:
	s_load_b64 s[2:3], s[0:1], 0x30
	s_mov_b32 s30, s13
	s_waitcnt lgkmcnt(0)
	s_cmp_lg_u64 s[2:3], 0
	s_cselect_b32 s6, -1, 0
	s_ashr_i32 s31, s13, 31
	s_cmp_eq_u64 s[2:3], 0
	s_cbranch_scc1 .LBB433_3
; %bb.1:
	s_lshl_b64 s[4:5], s[30:31], 2
	s_delay_alu instid0(SALU_CYCLE_1) | instskip(SKIP_4) | instid1(SALU_CYCLE_1)
	s_add_u32 s4, s2, s4
	s_addc_u32 s5, s3, s5
	s_load_b64 s[4:5], s[4:5], 0x0
	s_waitcnt lgkmcnt(0)
	s_sub_i32 s4, s5, s4
	s_cmp_eq_u32 s4, 1
	s_cselect_b32 s4, -1, 0
	s_delay_alu instid0(SALU_CYCLE_1)
	s_and_not1_b32 vcc_lo, exec_lo, s4
	s_cbranch_vccz .LBB433_4
.LBB433_2:
	s_endpgm
.LBB433_3:
.LBB433_4:
	s_load_b64 s[8:9], s[0:1], 0x28
	s_lshl_b64 s[4:5], s[30:31], 2
	s_waitcnt lgkmcnt(0)
	s_add_u32 s8, s8, s4
	s_addc_u32 s9, s9, s5
	s_lshl_b32 s34, s14, 8
	s_load_b32 s33, s[8:9], 0x0
	s_waitcnt lgkmcnt(0)
	s_cmp_ge_i32 s34, s33
	s_cbranch_scc1 .LBB433_2
; %bb.5:
	s_clause 0x1
	s_load_b128 s[8:11], s[0:1], 0x8
	s_load_b64 s[12:13], s[0:1], 0x20
	s_and_not1_b32 vcc_lo, exec_lo, s6
	s_cbranch_vccnz .LBB433_7
; %bb.6:
	s_add_u32 s2, s2, s4
	s_addc_u32 s3, s3, s5
	s_load_b32 s3, s[2:3], 0x0
	s_branch .LBB433_8
.LBB433_7:
	s_mov_b32 s3, s30
.LBB433_8:
	s_load_b128 s[4:7], s[0:1], 0x48
	v_and_b32_e32 v148, 15, v0
	v_cmp_gt_u32_e32 vcc_lo, 0xc0, v0
	v_lshrrev_b32_e32 v149, 5, v0
	v_and_b32_e32 v150, 31, v0
	v_and_b32_e32 v147, 1, v0
	v_lshlrev_b32_e32 v1, 3, v148
	v_cmp_gt_u32_e64 s2, 8, v148
	v_bfe_u32 v146, v0, 4, 1
	s_mul_i32 s31, s15, 12
	s_delay_alu instid0(VALU_DEP_3) | instskip(NEXT) | instid1(VALU_DEP_3)
	v_lshlrev_b32_e32 v145, 1, v1
	s_and_b32 s16, vcc_lo, s2
	s_waitcnt lgkmcnt(0)
	s_and_saveexec_b32 s7, s16
	s_cbranch_execz .LBB433_10
; %bb.9:
	s_load_b64 s[16:17], s[0:1], 0x0
	v_lshl_or_b32 v5, v149, 1, v146
	s_mul_hi_i32 s19, s3, s4
	s_mul_i32 s18, s3, s4
	v_lshlrev_b32_e32 v6, 10, v148
	s_lshl_b64 s[18:19], s[18:19], 1
	v_add_lshl_u32 v1, v5, s31, 6
	v_lshlrev_b32_e32 v5, 6, v5
	v_lshlrev_b32_e32 v7, 10, v147
	v_and_b32_e32 v6, 0x3800, v6
	s_delay_alu instid0(VALU_DEP_4) | instskip(NEXT) | instid1(VALU_DEP_2)
	v_ashrrev_i32_e32 v2, 31, v1
	v_or3_b32 v5, v6, v7, v5
	s_delay_alu instid0(VALU_DEP_2) | instskip(SKIP_3) | instid1(VALU_DEP_1)
	v_lshlrev_b64 v[1:2], 1, v[1:2]
	s_waitcnt lgkmcnt(0)
	s_add_u32 s3, s16, s18
	s_addc_u32 s4, s17, s19
	v_add_co_u32 v1, vcc_lo, s3, v1
	s_delay_alu instid0(VALU_DEP_2) | instskip(NEXT) | instid1(VALU_DEP_2)
	v_add_co_ci_u32_e32 v2, vcc_lo, s4, v2, vcc_lo
	v_add_co_u32 v1, vcc_lo, v1, v145
	s_delay_alu instid0(VALU_DEP_2)
	v_add_co_ci_u32_e32 v2, vcc_lo, 0, v2, vcc_lo
	global_load_b128 v[1:4], v[1:2], off
	s_waitcnt vmcnt(0)
	ds_store_b128 v5, v[1:4]
.LBB433_10:
	s_or_b32 exec_lo, exec_lo, s7
	s_mov_b32 s40, 0
	s_add_i32 s3, s33, 15
	s_mov_b32 s41, s40
	s_mov_b32 s42, s40
	;; [unrolled: 1-line block ×7, first 2 shown]
	s_delay_alu instid0(SALU_CYCLE_1)
	v_dual_mov_b32 v144, s47 :: v_dual_and_b32 v1, 0xef, v0
	v_mov_b32_e32 v142, s45
	s_ashr_i32 s7, s3, 31
	s_clause 0x1
	s_load_b32 s4, s[0:1], 0x38
	s_load_b32 s35, s[0:1], 0x1c
	v_add_nc_u32_e32 v1, s34, v1
	s_lshr_b32 s7, s7, 28
	s_waitcnt lgkmcnt(0)
	s_add_i32 s3, s3, s7
	s_barrier
	v_ashrrev_i32_e32 v2, 31, v1
	v_or_b32_e32 v3, 16, v1
	s_ashr_i32 s3, s3, 4
	v_cmp_gt_i32_e32 vcc_lo, s33, v1
	s_add_i32 s3, s3, -1
	v_lshrrev_b32_e32 v2, 28, v2
	v_mov_b32_e32 v143, s46
	buffer_gl0_inv
	s_mul_i32 s6, s15, s6
	v_add_nc_u32_e32 v21, -12, v148
	v_dual_mov_b32 v141, s44 :: v_dual_add_nc_u32 v4, v1, v2
	v_mov_b32_e32 v139, s42
	s_mul_i32 s16, s30, s4
	v_mov_b32_e32 v137, s40
	s_delay_alu instid0(VALU_DEP_3)
	v_ashrrev_i32_e32 v4, 4, v4
	v_add_nc_u32_e32 v2, v3, v2
	v_lshlrev_b32_e32 v22, 5, v148
	s_ashr_i32 s17, s16, 31
	v_mov_b32_e32 v140, s43
	v_cndmask_b32_e32 v1, s3, v4, vcc_lo
	v_ashrrev_i32_e32 v2, 4, v2
	v_cmp_gt_i32_e32 vcc_lo, s33, v3
	s_lshl_b64 s[16:17], s[16:17], 2
	v_lshl_or_b32 v22, v149, 9, v22
	s_add_u32 s4, s12, s16
	s_addc_u32 s36, s13, s17
	v_cndmask_b32_e32 v3, s3, v2, vcc_lo
	v_ashrrev_i32_e32 v2, 31, v1
	s_ashr_i32 s7, s6, 31
	v_mov_b32_e32 v138, s41
	s_lshl_b64 s[6:7], s[6:7], 1
	v_ashrrev_i32_e32 v4, 31, v3
	v_lshlrev_b64 v[1:2], 2, v[1:2]
	s_add_u32 s24, s8, s6
	s_addc_u32 s25, s9, s7
	s_lshl_b32 s8, s14, 4
	v_lshlrev_b64 v[3:4], 2, v[3:4]
	s_ashr_i32 s9, s8, 31
	v_add_co_u32 v1, vcc_lo, s4, v1
	v_add_co_ci_u32_e32 v2, vcc_lo, s36, v2, vcc_lo
	s_delay_alu instid0(VALU_DEP_3) | instskip(NEXT) | instid1(VALU_DEP_4)
	v_add_co_u32 v3, vcc_lo, s4, v3
	v_add_co_ci_u32_e32 v4, vcc_lo, s36, v4, vcc_lo
	s_clause 0x1
	global_load_b32 v5, v[1:2], off
	global_load_b32 v6, v[3:4], off
	s_lshl_b64 s[8:9], s[8:9], 2
	v_lshlrev_b32_e32 v3, 4, v0
	s_add_u32 s8, s4, s8
	s_addc_u32 s9, s36, s9
	s_or_b32 s12, s34, 16
	s_delay_alu instid0(SALU_CYCLE_1) | instskip(SKIP_2) | instid1(SALU_CYCLE_1)
	s_ashr_i32 s13, s12, 4
	s_cmp_lt_i32 s12, s33
	s_cselect_b32 s12, s13, s3
	s_ashr_i32 s13, s12, 31
	s_delay_alu instid0(SALU_CYCLE_1) | instskip(NEXT) | instid1(SALU_CYCLE_1)
	s_lshl_b64 s[12:13], s[12:13], 2
	s_add_u32 s12, s4, s12
	s_addc_u32 s13, s36, s13
	s_or_b32 s15, s34, 32
	s_delay_alu instid0(SALU_CYCLE_1) | instskip(SKIP_2) | instid1(SALU_CYCLE_1)
	s_ashr_i32 s16, s15, 4
	s_cmp_lt_i32 s15, s33
	s_cselect_b32 s16, s16, s3
	s_ashr_i32 s17, s16, 31
	s_delay_alu instid0(SALU_CYCLE_1) | instskip(NEXT) | instid1(SALU_CYCLE_1)
	s_lshl_b64 s[16:17], s[16:17], 2
	;; [unrolled: 10-line block ×5, first 2 shown]
	s_add_u32 s22, s4, s22
	s_addc_u32 s23, s36, s23
	s_clause 0x5
	s_load_b32 s8, s[8:9], 0x0
	s_load_b32 s12, s[12:13], 0x0
	;; [unrolled: 1-line block ×6, first 2 shown]
	s_waitcnt lgkmcnt(0)
	s_mul_hi_i32 s17, s16, s5
	s_mul_i32 s16, s16, s5
	s_waitcnt vmcnt(1)
	v_mad_i64_i32 v[1:2], null, v5, s5, 0
	v_and_b32_e32 v5, 0xf0, v3
	s_waitcnt vmcnt(0)
	v_mad_i64_i32 v[3:4], null, v6, s5, 0
	s_delay_alu instid0(VALU_DEP_2) | instskip(NEXT) | instid1(VALU_DEP_4)
	v_add_co_u32 v5, s9, s24, v5
	v_lshlrev_b64 v[1:2], 1, v[1:2]
	v_add_co_ci_u32_e64 v6, null, s25, 0, s9
	s_delay_alu instid0(VALU_DEP_4) | instskip(SKIP_1) | instid1(VALU_DEP_3)
	v_lshlrev_b64 v[3:4], 1, v[3:4]
	s_or_b32 s9, s34, 0x60
	v_add_co_u32 v19, vcc_lo, v5, v1
	s_delay_alu instid0(VALU_DEP_3) | instskip(NEXT) | instid1(VALU_DEP_3)
	v_add_co_ci_u32_e32 v20, vcc_lo, v6, v2, vcc_lo
	v_add_co_u32 v17, vcc_lo, v5, v3
	s_delay_alu instid0(VALU_DEP_4)
	v_add_co_ci_u32_e32 v18, vcc_lo, v6, v4, vcc_lo
	s_clause 0x9
	global_load_b128 v[1:4], v[19:20], off
	global_load_b128 v[5:8], v[19:20], off offset:256
	global_load_b128 v[129:132], v[17:18], off
	global_load_b128 v[133:136], v[17:18], off offset:256
	global_load_b128 v[33:36], v[19:20], off offset:512
	;; [unrolled: 1-line block ×7, first 2 shown]
	v_cmp_gt_u32_e32 vcc_lo, 12, v148
	s_clause 0x1
	global_load_b128 v[151:154], v[17:18], off offset:1024
	global_load_b128 v[155:158], v[17:18], off offset:1280
	s_ashr_i32 s13, s9, 4
	s_cmp_lt_i32 s9, s33
	v_cndmask_b32_e32 v21, v21, v148, vcc_lo
	s_cselect_b32 s22, s13, s3
	s_delay_alu instid0(SALU_CYCLE_1) | instskip(NEXT) | instid1(VALU_DEP_1)
	s_ashr_i32 s23, s22, 31
	v_lshlrev_b32_e32 v197, 6, v21
	ds_load_b128 v[159:162], v197
	ds_load_b128 v[163:166], v197 offset:1024
	s_clause 0x3
	global_load_b128 v[167:170], v[19:20], off offset:1536
	global_load_b128 v[171:174], v[19:20], off offset:1792
	;; [unrolled: 1-line block ×4, first 2 shown]
	s_lshl_b64 s[22:23], s[22:23], 2
	s_delay_alu instid0(SALU_CYCLE_1) | instskip(SKIP_2) | instid1(SALU_CYCLE_1)
	s_add_u32 s22, s4, s22
	s_addc_u32 s23, s36, s23
	s_or_b32 s9, s34, 0x70
	s_ashr_i32 s13, s9, 4
	s_cmp_lt_i32 s9, s33
	s_cselect_b32 s24, s13, s3
	s_delay_alu instid0(SALU_CYCLE_1) | instskip(NEXT) | instid1(SALU_CYCLE_1)
	s_ashr_i32 s25, s24, 31
	s_lshl_b64 s[24:25], s[24:25], 2
	s_delay_alu instid0(SALU_CYCLE_1)
	s_add_u32 s24, s4, s24
	s_addc_u32 s25, s36, s25
	s_or_b32 s9, s34, 0x80
	s_load_b32 s46, s[24:25], 0x0
	s_ashr_i32 s13, s9, 4
	s_cmp_lt_i32 s9, s33
	s_cselect_b32 s26, s13, s3
	s_delay_alu instid0(SALU_CYCLE_1) | instskip(NEXT) | instid1(SALU_CYCLE_1)
	s_ashr_i32 s27, s26, 31
	s_lshl_b64 s[26:27], s[26:27], 2
	s_delay_alu instid0(SALU_CYCLE_1)
	s_add_u32 s26, s4, s26
	s_addc_u32 s27, s36, s27
	s_or_b32 s9, s34, 0x90
	s_load_b32 s47, s[26:27], 0x0
	s_ashr_i32 s13, s9, 4
	s_cmp_lt_i32 s9, s33
	s_cselect_b32 s28, s13, s3
	s_delay_alu instid0(SALU_CYCLE_1) | instskip(NEXT) | instid1(SALU_CYCLE_1)
	s_ashr_i32 s29, s28, 31
	s_lshl_b64 s[28:29], s[28:29], 2
	s_delay_alu instid0(SALU_CYCLE_1) | instskip(SKIP_2) | instid1(SALU_CYCLE_1)
	s_add_u32 s28, s4, s28
	s_addc_u32 s29, s36, s29
	s_or_b32 s9, s34, 0xa0
	s_ashr_i32 s13, s9, 4
	s_cmp_lt_i32 s9, s33
	s_cselect_b32 s38, s13, s3
	s_delay_alu instid0(SALU_CYCLE_1) | instskip(NEXT) | instid1(SALU_CYCLE_1)
	s_ashr_i32 s39, s38, 31
	s_lshl_b64 s[38:39], s[38:39], 2
	s_delay_alu instid0(SALU_CYCLE_1)
	s_add_u32 s38, s4, s38
	s_addc_u32 s39, s36, s39
	s_or_b32 s9, s34, 0xb0
	s_load_b32 s39, s[38:39], 0x0
	s_ashr_i32 s13, s9, 4
	s_cmp_lt_i32 s9, s33
	s_mul_hi_i32 s9, s8, s5
	s_cselect_b32 s40, s13, s3
	s_mul_i32 s8, s8, s5
	s_ashr_i32 s41, s40, 31
	s_mul_hi_i32 s13, s12, s5
	s_lshl_b64 s[40:41], s[40:41], 2
	s_mul_i32 s12, s12, s5
	s_add_u32 s42, s4, s40
	s_addc_u32 s43, s36, s41
	s_or_b32 s19, s34, 0xc0
	s_delay_alu instid0(SALU_CYCLE_1)
	s_ashr_i32 s21, s19, 4
	s_cmp_lt_i32 s19, s33
	s_mul_hi_i32 s19, s18, s5
	s_cselect_b32 s40, s21, s3
	s_mul_i32 s18, s18, s5
	s_ashr_i32 s41, s40, 31
	s_mul_hi_i32 s21, s20, s5
	s_lshl_b64 s[40:41], s[40:41], 2
	s_mul_i32 s20, s20, s5
	s_add_u32 s44, s4, s40
	s_load_b32 s40, s[28:29], 0x0
	s_addc_u32 s45, s36, s41
	s_or_b32 s37, s34, 0xd0
	s_load_b32 s41, s[22:23], 0x0
	s_ashr_i32 s22, s37, 4
	s_cmp_lt_i32 s37, s33
	s_mul_hi_i32 s23, s15, s5
	s_cselect_b32 s24, s22, s3
	s_mul_i32 s22, s15, s5
	s_ashr_i32 s25, s24, 31
	s_waitcnt lgkmcnt(0)
	s_mul_hi_i32 s27, s46, s5
	s_lshl_b64 s[24:25], s[24:25], 2
	s_mul_i32 s26, s46, s5
	s_add_u32 s24, s4, s24
	s_addc_u32 s25, s36, s25
	s_or_b32 s48, s34, 0xe0
	s_clause 0x2
	s_load_b32 s38, s[42:43], 0x0
	s_load_b32 s37, s[44:45], 0x0
	;; [unrolled: 1-line block ×3, first 2 shown]
	s_ashr_i32 s49, s48, 4
	s_cmp_lt_i32 s48, s33
	s_mul_hi_i32 s29, s47, s5
	s_cselect_b32 s42, s49, s3
	s_mul_i32 s28, s47, s5
	s_ashr_i32 s43, s42, 31
	s_mul_hi_i32 s25, s41, s5
	s_lshl_b64 s[42:43], s[42:43], 2
	s_mul_i32 s24, s41, s5
	s_add_u32 s42, s4, s42
	s_addc_u32 s43, s36, s43
	s_or_b32 s46, s34, 0xf0
	s_mul_hi_i32 s41, s40, s5
	s_ashr_i32 s47, s46, 4
	s_cmp_lt_i32 s46, s33
	s_mul_i32 s40, s40, s5
	s_cselect_b32 s46, s47, s3
	s_mul_hi_i32 s45, s39, s5
	s_ashr_i32 s47, s46, 31
	s_mul_i32 s44, s39, s5
	s_lshl_b64 s[46:47], s[46:47], 2
	s_waitcnt lgkmcnt(0)
	s_mul_hi_i32 s39, s38, s5
	s_add_u32 s46, s4, s46
	s_addc_u32 s47, s36, s47
	s_add_u32 s3, s10, s6
	s_addc_u32 s4, s11, s7
	v_add_co_u32 v195, s3, s3, v22
	s_delay_alu instid0(VALU_DEP_1) | instskip(SKIP_2) | instid1(VALU_DEP_2)
	v_add_co_ci_u32_e64 v196, null, s4, 0, s3
	s_lshl_b64 s[6:7], s[8:9], 1
	s_lshl_b64 s[8:9], s[12:13], 1
	v_add_co_u32 v17, vcc_lo, v195, s6
	s_delay_alu instid0(VALU_DEP_2)
	v_add_co_ci_u32_e32 v18, vcc_lo, s7, v196, vcc_lo
	v_add_co_u32 v19, vcc_lo, v195, s8
	s_lshl_b64 s[10:11], s[16:17], 1
	v_add_co_ci_u32_e32 v20, vcc_lo, s9, v196, vcc_lo
	v_add_co_u32 v21, vcc_lo, v195, s10
	s_lshl_b64 s[12:13], s[18:19], 1
	;; [unrolled: 3-line block ×9, first 2 shown]
	s_mul_i32 s38, s38, s5
	v_add_co_ci_u32_e32 v54, vcc_lo, s27, v196, vcc_lo
	v_add_co_u32 v183, vcc_lo, v195, s28
	s_mul_hi_i32 s49, s37, s5
	s_mul_i32 s48, s37, s5
	s_lshl_b64 s[36:37], s[38:39], 1
	v_add_co_ci_u32_e32 v184, vcc_lo, s29, v196, vcc_lo
	v_add_co_u32 v185, vcc_lo, v195, s36
	s_lshl_b64 s[38:39], s[48:49], 1
	s_clause 0x1
	s_load_b32 s3, s[42:43], 0x0
	s_load_b32 s4, s[46:47], 0x0
	v_add_co_ci_u32_e32 v186, vcc_lo, s37, v196, vcc_lo
	v_add_co_u32 v191, vcc_lo, v195, s38
	v_add_co_ci_u32_e32 v192, vcc_lo, s39, v196, vcc_lo
	s_clause 0x17
	global_load_b128 v[121:124], v[17:18], off
	global_load_b128 v[125:128], v[17:18], off offset:16
	global_load_b128 v[113:116], v[19:20], off
	global_load_b128 v[117:120], v[19:20], off offset:16
	;; [unrolled: 2-line block ×12, first 2 shown]
	s_mul_hi_i32 s51, s15, s5
	s_mul_i32 s50, s15, s5
	s_delay_alu instid0(SALU_CYCLE_1) | instskip(NEXT) | instid1(SALU_CYCLE_1)
	s_lshl_b64 s[40:41], s[50:51], 1
	v_add_co_u32 v193, vcc_lo, v195, s40
	v_add_co_ci_u32_e32 v194, vcc_lo, s41, v196, vcc_lo
	s_waitcnt lgkmcnt(0)
	s_mul_hi_i32 s7, s3, s5
	s_mul_i32 s6, s3, s5
	s_mul_hi_i32 s9, s4, s5
	s_lshl_b64 s[6:7], s[6:7], 1
	s_mul_i32 s8, s4, s5
	s_delay_alu instid0(SALU_CYCLE_1)
	s_lshl_b64 s[4:5], s[8:9], 1
	s_waitcnt vmcnt(38)
	v_wmma_f32_16x16x16_bf16 v[183:190], v[1:8], v[159:166], v[137:144]
	s_waitcnt vmcnt(36)
	v_wmma_f32_16x16x16_bf16 v[137:144], v[129:136], v[159:166], v[137:144]
	s_clause 0x1
	global_load_b128 v[1:4], v[191:192], off
	global_load_b128 v[5:8], v[191:192], off offset:16
	ds_load_b128 v[129:132], v197 offset:2048
	ds_load_b128 v[133:136], v197 offset:3072
	ds_load_b128 v[159:162], v197 offset:4096
	ds_load_b128 v[163:166], v197 offset:5120
	v_add_co_u32 v191, vcc_lo, v195, s6
	v_add_co_ci_u32_e32 v192, vcc_lo, s7, v196, vcc_lo
	v_add_co_u32 v195, vcc_lo, v195, s4
	v_add_co_ci_u32_e32 v196, vcc_lo, s5, v196, vcc_lo
	s_waitcnt vmcnt(36) lgkmcnt(2)
	v_wmma_f32_16x16x16_bf16 v[183:190], v[33:40], v[129:136], v[183:190]
	s_waitcnt vmcnt(34)
	v_wmma_f32_16x16x16_bf16 v[137:144], v[25:32], v[129:136], v[137:144]
	s_clause 0x3
	global_load_b128 v[25:28], v[193:194], off
	global_load_b128 v[29:32], v[193:194], off offset:16
	global_load_b128 v[33:36], v[191:192], off
	global_load_b128 v[37:40], v[191:192], off offset:16
	v_and_b32_e32 v129, 0xe0, v0
	v_mbcnt_lo_u32_b32 v191, -1, 0
	s_waitcnt vmcnt(36) lgkmcnt(0)
	v_wmma_f32_16x16x16_bf16 v[183:190], v[9:16], v[159:166], v[183:190]
	s_clause 0x1
	global_load_b128 v[9:12], v[195:196], off
	global_load_b128 v[13:16], v[195:196], off offset:16
	s_waitcnt vmcnt(36)
	v_wmma_f32_16x16x16_bf16 v[137:144], v[151:158], v[159:166], v[137:144]
	v_add_nc_u32_e32 v192, s34, v129
	ds_load_b128 v[129:132], v197 offset:6144
	ds_load_b128 v[133:136], v197 offset:7168
	v_xor_b32_e32 v151, 16, v191
	s_waitcnt vmcnt(0) lgkmcnt(0)
	s_barrier
	v_or_b32_e32 v152, v192, v146
	buffer_gl0_inv
	v_cmp_gt_i32_e32 vcc_lo, 32, v151
	v_or_b32_e32 v153, 2, v152
	v_or_b32_e32 v154, 4, v152
	;; [unrolled: 1-line block ×5, first 2 shown]
	v_cmp_gt_i32_e64 s3, s33, v153
	v_cmp_gt_i32_e64 s4, s33, v154
	;; [unrolled: 1-line block ×3, first 2 shown]
	v_or_b32_e32 v158, 12, v152
	v_or_b32_e32 v159, 14, v152
	v_cmp_gt_i32_e64 s6, s33, v156
	v_wmma_f32_16x16x16_bf16 v[183:190], v[167:174], v[129:136], v[183:190]
	v_wmma_f32_16x16x16_bf16 v[137:144], v[175:182], v[129:136], v[137:144]
	v_cndmask_b32_e32 v151, v191, v151, vcc_lo
	v_cmp_gt_i32_e32 vcc_lo, s33, v152
	v_cmp_gt_i32_e64 s7, s33, v157
	v_dual_mul_f32 v135, s35, v184 :: v_dual_mul_f32 v136, s35, v183
	v_dual_mul_f32 v133, s35, v186 :: v_dual_mul_f32 v134, s35, v185
	v_dual_mul_f32 v131, s35, v188 :: v_dual_mul_f32 v174, s35, v138
	s_delay_alu instid0(VALU_DEP_3) | instskip(NEXT) | instid1(VALU_DEP_4)
	v_cndmask_b32_e32 v136, 0xff7fffff, v136, vcc_lo
	v_cndmask_b32_e64 v135, 0xff7fffff, v135, s3
	v_mul_f32_e32 v132, s35, v187
	v_cndmask_b32_e64 v134, 0xff7fffff, v134, s4
	v_cndmask_b32_e64 v133, 0xff7fffff, v133, s5
	v_or_b32_e32 v160, 16, v152
	v_max3_f32 v135, v136, 0xff7fffff, v135
	v_or_b32_e32 v161, 18, v152
	v_mul_f32_e32 v130, s35, v189
	v_dual_mul_f32 v172, s35, v140 :: v_dual_mul_f32 v129, s35, v190
	v_cndmask_b32_e64 v132, 0xff7fffff, v132, s6
	v_cndmask_b32_e64 v131, 0xff7fffff, v131, s7
	v_max3_f32 v133, v135, v134, v133
	v_cmp_gt_i32_e64 s8, s33, v158
	v_lshlrev_b32_e32 v158, 2, v151
	v_cmp_gt_i32_e64 s9, s33, v159
	v_or_b32_e32 v162, 20, v152
	v_or_b32_e32 v163, 22, v152
	v_mul_f32_e32 v175, s35, v137
	v_cndmask_b32_e64 v130, 0xff7fffff, v130, s8
	v_cndmask_b32_e64 v129, 0xff7fffff, v129, s9
	v_max3_f32 v131, v133, v132, v131
	v_cmp_gt_i32_e64 s10, s33, v160
	v_cmp_gt_i32_e64 s11, s33, v161
	v_or_b32_e32 v164, 24, v152
	v_or_b32_e32 v165, 26, v152
	v_mul_f32_e32 v173, s35, v139
	v_cndmask_b32_e64 v132, 0xff7fffff, v175, s10
	v_cndmask_b32_e64 v133, 0xff7fffff, v174, s11
	v_max3_f32 v129, v131, v130, v129
	v_cmp_gt_i32_e64 s12, s33, v162
	v_cmp_gt_i32_e64 s13, s33, v163
	v_or_b32_e32 v166, 28, v152
	v_or_b32_e32 v167, 30, v152
	v_dual_mul_f32 v170, s35, v142 :: v_dual_mul_f32 v171, s35, v141
	v_cndmask_b32_e64 v130, 0xff7fffff, v173, s12
	v_cndmask_b32_e64 v131, 0xff7fffff, v172, s13
	v_max3_f32 v129, v129, v132, v133
	v_cmp_gt_i32_e64 s15, s33, v164
	v_cmp_gt_i32_e64 s16, s33, v165
	v_dual_mul_f32 v168, s35, v144 :: v_dual_mul_f32 v169, s35, v143
	s_delay_alu instid0(VALU_DEP_4) | instskip(NEXT) | instid1(VALU_DEP_4)
	v_max3_f32 v129, v129, v130, v131
	v_cndmask_b32_e64 v132, 0xff7fffff, v171, s15
	s_delay_alu instid0(VALU_DEP_4) | instskip(SKIP_2) | instid1(VALU_DEP_3)
	v_cndmask_b32_e64 v133, 0xff7fffff, v170, s16
	v_cmp_gt_i32_e64 s17, s33, v166
	v_cmp_gt_i32_e64 s18, s33, v167
	v_max3_f32 v129, v129, v132, v133
	s_delay_alu instid0(VALU_DEP_3) | instskip(NEXT) | instid1(VALU_DEP_3)
	v_cndmask_b32_e64 v130, 0xff7fffff, v169, s17
	v_cndmask_b32_e64 v131, 0xff7fffff, v168, s18
	s_delay_alu instid0(VALU_DEP_1) | instskip(SKIP_3) | instid1(VALU_DEP_1)
	v_max3_f32 v129, v129, v130, v131
	ds_bpermute_b32 v130, v158, v129
	s_waitcnt lgkmcnt(0)
	v_max_f32_e32 v130, v130, v130
	v_max_f32_e32 v129, v129, v130
	s_delay_alu instid0(VALU_DEP_1)
	v_fma_f32 v130, s35, v183, -v129
	v_fma_f32 v132, s35, v185, -v129
	;; [unrolled: 1-line block ×5, first 2 shown]
	v_mul_f32_e32 v130, 0x3fb8aa3b, v130
	v_mul_f32_e32 v132, 0x3fb8aa3b, v132
	;; [unrolled: 1-line block ×3, first 2 shown]
	v_fma_f32 v135, s35, v189, -v129
	s_delay_alu instid0(VALU_DEP_4) | instskip(NEXT) | instid1(VALU_DEP_3)
	v_exp_f32_e32 v130, v130
	v_exp_f32_e32 v132, v132
	s_delay_alu instid0(VALU_DEP_2) | instskip(NEXT) | instid1(TRANS32_DEP_3)
	v_exp_f32_e32 v134, v134
	v_cndmask_b32_e32 v152, 0, v130, vcc_lo
	v_fma_f32 v130, s35, v188, -v129
	s_waitcnt_depctr 0xfff
	v_cndmask_b32_e64 v153, 0, v132, s4
	v_fma_f32 v132, s35, v190, -v129
	v_mul_f32_e32 v131, 0x3fb8aa3b, v131
	v_cndmask_b32_e64 v155, 0, v134, s6
	v_dual_mul_f32 v130, 0x3fb8aa3b, v130 :: v_dual_mul_f32 v133, 0x3fb8aa3b, v133
	s_delay_alu instid0(VALU_DEP_4) | instskip(NEXT) | instid1(VALU_DEP_4)
	v_mul_f32_e32 v132, 0x3fb8aa3b, v132
	v_exp_f32_e32 v131, v131
	v_fma_f32 v134, s35, v138, -v129
	s_delay_alu instid0(VALU_DEP_3) | instskip(SKIP_2) | instid1(VALU_DEP_1)
	v_exp_f32_e32 v130, v130
	v_exp_f32_e32 v133, v133
	;; [unrolled: 1-line block ×3, first 2 shown]
	v_mul_f32_e32 v134, 0x3fb8aa3b, v134
	v_cndmask_b32_e64 v151, 0, v131, s3
	v_add_f32_e32 v131, 0, v152
	s_delay_alu instid0(TRANS32_DEP_3)
	v_cndmask_b32_e64 v156, 0, v130, s7
	s_waitcnt_depctr 0xfff
	v_cndmask_b32_e64 v154, 0, v133, s5
	v_fma_f32 v133, s35, v137, -v129
	v_exp_f32_e32 v134, v134
	v_add_f32_e32 v131, v131, v151
	s_mov_b32 s3, exec_lo
	s_delay_alu instid0(VALU_DEP_1) | instskip(NEXT) | instid1(VALU_DEP_1)
	v_add_f32_e32 v131, v131, v153
	v_add_f32_e32 v131, v131, v154
	s_delay_alu instid0(VALU_DEP_1) | instskip(SKIP_2) | instid1(VALU_DEP_3)
	v_add_f32_e32 v130, v131, v155
	v_fma_f32 v131, s35, v139, -v129
	v_fma_f32 v139, s35, v144, -v129
	v_dual_add_f32 v130, v130, v156 :: v_dual_mul_f32 v135, 0x3fb8aa3b, v135
	s_delay_alu instid0(VALU_DEP_1)
	v_exp_f32_e32 v135, v135
	s_waitcnt_depctr 0xfff
	v_cndmask_b32_e64 v157, 0, v135, s8
	v_fma_f32 v135, s35, v140, -v129
	v_cndmask_b32_e64 v140, 0, v132, s9
	v_fma_f32 v132, s35, v141, -v129
	s_delay_alu instid0(VALU_DEP_1) | instskip(SKIP_1) | instid1(VALU_DEP_2)
	v_dual_add_f32 v130, v130, v157 :: v_dual_mul_f32 v137, 0x3fb8aa3b, v132
	v_cndmask_b32_e64 v132, 0, v134, s11
	v_dual_add_f32 v130, v130, v140 :: v_dual_mul_f32 v133, 0x3fb8aa3b, v133
	v_mul_f32_e32 v131, 0x3fb8aa3b, v131
	v_fma_f32 v134, s35, v143, -v129
	v_mul_f32_e32 v135, 0x3fb8aa3b, v135
	s_delay_alu instid0(VALU_DEP_4) | instskip(NEXT) | instid1(VALU_DEP_3)
	v_exp_f32_e32 v133, v133
	v_exp_f32_e32 v136, v131
	s_waitcnt_depctr 0xfff
	v_cndmask_b32_e64 v131, 0, v133, s10
	v_fma_f32 v133, s35, v142, -v129
	s_delay_alu instid0(VALU_DEP_2) | instskip(NEXT) | instid1(VALU_DEP_2)
	v_add_f32_e32 v130, v130, v131
	v_mul_f32_e32 v138, 0x3fb8aa3b, v133
	v_cndmask_b32_e64 v133, 0, v136, s12
	v_mul_f32_e32 v136, 0x3fb8aa3b, v134
	v_exp_f32_e32 v135, v135
	v_add_f32_e32 v130, v130, v132
	v_exp_f32_e32 v138, v138
	s_delay_alu instid0(VALU_DEP_2) | instskip(NEXT) | instid1(VALU_DEP_1)
	v_exp_f32_e32 v141, v136
	v_add_f32_e32 v130, v130, v133
	v_exp_f32_e32 v137, v137
	v_cndmask_b32_e64 v134, 0, v135, s13
	s_delay_alu instid0(TRANS32_DEP_3) | instskip(NEXT) | instid1(VALU_DEP_2)
	v_cndmask_b32_e64 v136, 0, v138, s16
	v_add_f32_e32 v130, v130, v134
	s_waitcnt_depctr 0xfff
	v_cndmask_b32_e64 v135, 0, v137, s15
	v_mul_f32_e32 v137, 0x3fb8aa3b, v139
	s_delay_alu instid0(VALU_DEP_2) | instskip(NEXT) | instid1(VALU_DEP_2)
	v_add_f32_e32 v130, v130, v135
	v_exp_f32_e32 v138, v137
	v_cndmask_b32_e64 v137, 0, v141, s17
	s_delay_alu instid0(VALU_DEP_2) | instskip(NEXT) | instid1(VALU_DEP_1)
	v_add_f32_e32 v130, v130, v136
	v_add_f32_e32 v130, v130, v137
	s_waitcnt_depctr 0xfff
	v_cndmask_b32_e64 v138, 0, v138, s18
	s_delay_alu instid0(VALU_DEP_1)
	v_add_f32_e32 v130, v130, v138
	ds_bpermute_b32 v139, v158, v130
	v_cmpx_gt_u32_e32 16, v150
	s_cbranch_execz .LBB433_12
; %bb.11:
	v_mul_u32_u24_e32 v141, 0x44, v149
	s_delay_alu instid0(VALU_DEP_1) | instskip(SKIP_1) | instid1(VALU_DEP_1)
	v_lshl_add_u32 v141, v148, 2, v141
	s_waitcnt lgkmcnt(0)
	v_dual_add_f32 v130, v130, v139 :: v_dual_add_nc_u32 v139, 0x4000, v141
	ds_store_2addr_b32 v139, v129, v130 offset1:136
.LBB433_12:
	s_or_b32 exec_lo, exec_lo, s3
	v_lshlrev_b32_e32 v129, 2, v148
	s_waitcnt lgkmcnt(0)
	s_barrier
	buffer_gl0_inv
	v_cmp_eq_u32_e64 s3, 1, v149
	v_add_nc_u32_e32 v139, 0x4000, v129
	ds_load_2addr_b32 v[141:142], v139 offset1:17
	ds_load_2addr_b32 v[143:144], v139 offset0:34 offset1:51
	ds_load_2addr_b32 v[158:159], v139 offset0:68 offset1:85
	;; [unrolled: 1-line block ×4, first 2 shown]
	s_waitcnt lgkmcnt(4)
	v_max3_f32 v129, v141, 0xff7fffff, v142
	s_waitcnt lgkmcnt(3)
	s_delay_alu instid0(VALU_DEP_1) | instskip(SKIP_1) | instid1(VALU_DEP_1)
	v_max3_f32 v129, v129, v143, v144
	s_waitcnt lgkmcnt(2)
	v_max3_f32 v129, v129, v158, v159
	s_waitcnt lgkmcnt(1)
	s_delay_alu instid0(VALU_DEP_1) | instskip(NEXT) | instid1(VALU_DEP_1)
	v_max3_f32 v129, v129, v160, v161
	v_sub_f32_e32 v158, v158, v129
	s_delay_alu instid0(VALU_DEP_1) | instskip(NEXT) | instid1(VALU_DEP_1)
	v_dual_sub_f32 v150, v142, v129 :: v_dual_mul_f32 v167, 0x3fb8aa3b, v158
	v_dual_sub_f32 v143, v143, v129 :: v_dual_mul_f32 v150, 0x3fb8aa3b, v150
	s_delay_alu instid0(VALU_DEP_1) | instskip(NEXT) | instid1(VALU_DEP_2)
	v_dual_sub_f32 v130, v141, v129 :: v_dual_mul_f32 v165, 0x3fb8aa3b, v143
	v_exp_f32_e32 v150, v150
	s_delay_alu instid0(VALU_DEP_1) | instskip(NEXT) | instid1(VALU_DEP_2)
	v_mul_f32_e32 v130, 0x3fb8aa3b, v130
	v_exp_f32_e32 v165, v165
	s_delay_alu instid0(VALU_DEP_1) | instskip(SKIP_1) | instid1(VALU_DEP_1)
	v_exp_f32_e32 v164, v130
	v_sub_f32_e32 v130, v144, v129
	v_mul_f32_e32 v166, 0x3fb8aa3b, v130
	s_waitcnt lgkmcnt(0)
	s_waitcnt_depctr 0xfff
	v_fma_f32 v130, v164, v162, 0
	v_sub_f32_e32 v162, v159, v129
	s_delay_alu instid0(VALU_DEP_2)
	v_fmac_f32_e32 v130, v150, v163
	ds_load_2addr_b32 v[141:142], v139 offset0:170 offset1:187
	ds_load_2addr_b32 v[143:144], v139 offset0:204 offset1:221
	;; [unrolled: 1-line block ×3, first 2 shown]
	v_sub_f32_e32 v139, v160, v129
	v_exp_f32_e32 v166, v166
	v_mul_f32_e32 v160, 0x3fb8aa3b, v162
	v_exp_f32_e32 v162, v167
	v_cndmask_b32_e64 v150, v164, v150, s3
	v_mul_f32_e32 v139, 0x3fb8aa3b, v139
	v_cmp_eq_u32_e64 s3, 2, v149
	s_waitcnt lgkmcnt(0)
	s_barrier
	buffer_gl0_inv
	v_exp_f32_e32 v139, v139
	v_cndmask_b32_e64 v150, v150, v165, s3
	v_cmp_eq_u32_e64 s3, 3, v149
	v_fmac_f32_e32 v130, v165, v141
	v_sub_f32_e32 v141, v161, v129
	v_exp_f32_e32 v160, v160
	s_delay_alu instid0(VALU_DEP_3) | instskip(SKIP_1) | instid1(VALU_DEP_3)
	v_cndmask_b32_e64 v150, v150, v166, s3
	v_cmp_eq_u32_e64 s3, 4, v149
	v_dual_fmac_f32 v130, v166, v142 :: v_dual_mul_f32 v141, 0x3fb8aa3b, v141
	s_delay_alu instid0(VALU_DEP_2) | instskip(SKIP_1) | instid1(VALU_DEP_3)
	v_cndmask_b32_e64 v150, v150, v162, s3
	v_cmp_eq_u32_e64 s3, 5, v149
	v_exp_f32_e32 v141, v141
	s_delay_alu instid0(VALU_DEP_3)
	v_fmac_f32_e32 v130, v162, v143
	s_delay_alu instid0(TRANS32_DEP_2) | instid1(VALU_DEP_2)
	v_cndmask_b32_e64 v150, v150, v160, s3
	s_delay_alu instid0(VALU_DEP_2) | instskip(NEXT) | instid1(VALU_DEP_1)
	v_fmac_f32_e32 v130, v160, v144
	v_fmac_f32_e32 v130, v139, v158
	s_waitcnt_depctr 0xfff
	v_fmac_f32_e32 v130, v141, v159
	s_delay_alu instid0(VALU_DEP_1) | instskip(NEXT) | instid1(VALU_DEP_1)
	v_add_f32_e32 v142, 0x358637bd, v130
	v_div_scale_f32 v143, null, v142, v142, 1.0
	v_div_scale_f32 v159, vcc_lo, 1.0, v142, 1.0
	s_delay_alu instid0(VALU_DEP_2) | instskip(SKIP_2) | instid1(VALU_DEP_1)
	v_rcp_f32_e32 v144, v143
	s_waitcnt_depctr 0xfff
	v_fma_f32 v158, -v143, v144, 1.0
	v_fmac_f32_e32 v144, v158, v144
	s_delay_alu instid0(VALU_DEP_1) | instskip(NEXT) | instid1(VALU_DEP_1)
	v_mul_f32_e32 v158, v159, v144
	v_fma_f32 v161, -v143, v158, v159
	s_delay_alu instid0(VALU_DEP_1) | instskip(NEXT) | instid1(VALU_DEP_1)
	v_fmac_f32_e32 v158, v161, v144
	v_fma_f32 v143, -v143, v158, v159
	s_delay_alu instid0(VALU_DEP_1) | instskip(SKIP_1) | instid1(VALU_DEP_2)
	v_div_fmas_f32 v143, v143, v144, v158
	v_cmp_eq_u32_e32 vcc_lo, 6, v149
	v_div_fixup_f32 v142, v143, v142, 1.0
	v_cndmask_b32_e32 v139, v150, v139, vcc_lo
	v_cmp_eq_u32_e32 vcc_lo, 7, v149
	s_delay_alu instid0(VALU_DEP_2) | instskip(NEXT) | instid1(VALU_DEP_1)
	v_cndmask_b32_e32 v139, v139, v141, vcc_lo
	v_mul_f32_e32 v139, v139, v142
	s_delay_alu instid0(VALU_DEP_1) | instskip(SKIP_4) | instid1(VALU_DEP_4)
	v_mul_f32_e32 v153, v139, v153
	v_mul_f32_e32 v142, v139, v152
	;; [unrolled: 1-line block ×5, first 2 shown]
	v_dual_mul_f32 v152, v139, v155 :: v_dual_and_b32 v141, 0x7f800000, v142
	v_mul_f32_e32 v154, v139, v154
	v_mul_f32_e32 v144, v139, v151
	s_delay_alu instid0(VALU_DEP_3) | instskip(SKIP_1) | instid1(SALU_CYCLE_1)
	v_cmp_ne_u32_e32 vcc_lo, 0x7f800000, v141
                                        ; implicit-def: $vgpr141
	s_and_saveexec_b32 s3, vcc_lo
	s_xor_b32 s3, exec_lo, s3
; %bb.13:
	v_bfe_u32 v141, v142, 16, 1
	s_delay_alu instid0(VALU_DEP_1)
	v_add3_u32 v141, v142, v141, 0x7fff
                                        ; implicit-def: $vgpr142
; %bb.14:
	s_and_not1_saveexec_b32 s3, s3
; %bb.15:
	v_and_b32_e32 v141, 0xffff, v142
	v_or_b32_e32 v151, 0x10000, v142
	s_delay_alu instid0(VALU_DEP_2) | instskip(NEXT) | instid1(VALU_DEP_2)
	v_cmp_eq_u32_e32 vcc_lo, 0, v141
	v_cndmask_b32_e32 v141, v151, v142, vcc_lo
; %bb.16:
	s_or_b32 exec_lo, exec_lo, s3
	v_and_b32_e32 v142, 0x7f800000, v144
	s_delay_alu instid0(VALU_DEP_1) | instskip(SKIP_1) | instid1(SALU_CYCLE_1)
	v_cmp_ne_u32_e32 vcc_lo, 0x7f800000, v142
                                        ; implicit-def: $vgpr142
	s_and_saveexec_b32 s3, vcc_lo
	s_xor_b32 s3, exec_lo, s3
; %bb.17:
	v_bfe_u32 v142, v144, 16, 1
	s_delay_alu instid0(VALU_DEP_1)
	v_add3_u32 v142, v144, v142, 0x7fff
                                        ; implicit-def: $vgpr144
; %bb.18:
	s_and_not1_saveexec_b32 s3, s3
; %bb.19:
	v_and_b32_e32 v142, 0xffff, v144
	v_or_b32_e32 v151, 0x10000, v144
	s_delay_alu instid0(VALU_DEP_2) | instskip(NEXT) | instid1(VALU_DEP_2)
	v_cmp_eq_u32_e32 vcc_lo, 0, v142
	v_cndmask_b32_e32 v142, v151, v144, vcc_lo
; %bb.20:
	s_or_b32 exec_lo, exec_lo, s3
	v_and_b32_e32 v144, 0x7f800000, v153
	s_delay_alu instid0(VALU_DEP_1) | instskip(SKIP_1) | instid1(SALU_CYCLE_1)
	v_cmp_ne_u32_e32 vcc_lo, 0x7f800000, v144
                                        ; implicit-def: $vgpr144
	s_and_saveexec_b32 s3, vcc_lo
	s_xor_b32 s3, exec_lo, s3
; %bb.21:
	v_bfe_u32 v144, v153, 16, 1
	s_delay_alu instid0(VALU_DEP_1)
	v_add3_u32 v144, v153, v144, 0x7fff
                                        ; implicit-def: $vgpr153
; %bb.22:
	s_and_not1_saveexec_b32 s3, s3
; %bb.23:
	v_and_b32_e32 v144, 0xffff, v153
	v_or_b32_e32 v151, 0x10000, v153
	s_delay_alu instid0(VALU_DEP_2) | instskip(NEXT) | instid1(VALU_DEP_2)
	v_cmp_eq_u32_e32 vcc_lo, 0, v144
	v_cndmask_b32_e32 v144, v151, v153, vcc_lo
; %bb.24:
	s_or_b32 exec_lo, exec_lo, s3
	v_and_b32_e32 v151, 0x7f800000, v154
	s_delay_alu instid0(VALU_DEP_1) | instskip(SKIP_1) | instid1(SALU_CYCLE_1)
	v_cmp_ne_u32_e32 vcc_lo, 0x7f800000, v151
                                        ; implicit-def: $vgpr151
	s_and_saveexec_b32 s3, vcc_lo
	s_xor_b32 s3, exec_lo, s3
; %bb.25:
	v_bfe_u32 v151, v154, 16, 1
	s_delay_alu instid0(VALU_DEP_1)
	v_add3_u32 v151, v154, v151, 0x7fff
                                        ; implicit-def: $vgpr154
; %bb.26:
	s_and_not1_saveexec_b32 s3, s3
; %bb.27:
	v_and_b32_e32 v151, 0xffff, v154
	v_or_b32_e32 v153, 0x10000, v154
	s_delay_alu instid0(VALU_DEP_2) | instskip(NEXT) | instid1(VALU_DEP_2)
	v_cmp_eq_u32_e32 vcc_lo, 0, v151
	v_cndmask_b32_e32 v151, v153, v154, vcc_lo
; %bb.28:
	s_or_b32 exec_lo, exec_lo, s3
	v_and_b32_e32 v153, 0x7f800000, v152
	s_delay_alu instid0(VALU_DEP_1) | instskip(SKIP_1) | instid1(SALU_CYCLE_1)
	v_cmp_ne_u32_e32 vcc_lo, 0x7f800000, v153
                                        ; implicit-def: $vgpr153
	s_and_saveexec_b32 s3, vcc_lo
	s_xor_b32 s3, exec_lo, s3
; %bb.29:
	v_bfe_u32 v153, v152, 16, 1
	s_delay_alu instid0(VALU_DEP_1)
	v_add3_u32 v153, v152, v153, 0x7fff
                                        ; implicit-def: $vgpr152
; %bb.30:
	s_and_not1_saveexec_b32 s3, s3
; %bb.31:
	v_and_b32_e32 v153, 0xffff, v152
	v_or_b32_e32 v154, 0x10000, v152
	s_delay_alu instid0(VALU_DEP_2) | instskip(NEXT) | instid1(VALU_DEP_2)
	v_cmp_eq_u32_e32 vcc_lo, 0, v153
	v_cndmask_b32_e32 v153, v154, v152, vcc_lo
; %bb.32:
	s_or_b32 exec_lo, exec_lo, s3
	v_and_b32_e32 v152, 0x7f800000, v150
	s_delay_alu instid0(VALU_DEP_1) | instskip(SKIP_1) | instid1(SALU_CYCLE_1)
	v_cmp_ne_u32_e32 vcc_lo, 0x7f800000, v152
                                        ; implicit-def: $vgpr152
	s_and_saveexec_b32 s3, vcc_lo
	s_xor_b32 s3, exec_lo, s3
; %bb.33:
	v_bfe_u32 v152, v150, 16, 1
	s_delay_alu instid0(VALU_DEP_1)
	v_add3_u32 v152, v150, v152, 0x7fff
                                        ; implicit-def: $vgpr150
; %bb.34:
	s_and_not1_saveexec_b32 s3, s3
; %bb.35:
	v_and_b32_e32 v152, 0xffff, v150
	v_or_b32_e32 v154, 0x10000, v150
	s_delay_alu instid0(VALU_DEP_2) | instskip(NEXT) | instid1(VALU_DEP_2)
	v_cmp_eq_u32_e32 vcc_lo, 0, v152
	v_cndmask_b32_e32 v152, v154, v150, vcc_lo
; %bb.36:
	s_or_b32 exec_lo, exec_lo, s3
	v_and_b32_e32 v150, 0x7f800000, v143
	s_delay_alu instid0(VALU_DEP_1) | instskip(SKIP_1) | instid1(SALU_CYCLE_1)
	v_cmp_ne_u32_e32 vcc_lo, 0x7f800000, v150
                                        ; implicit-def: $vgpr150
	s_and_saveexec_b32 s3, vcc_lo
	s_xor_b32 s3, exec_lo, s3
; %bb.37:
	v_bfe_u32 v150, v143, 16, 1
	s_delay_alu instid0(VALU_DEP_1)
	v_add3_u32 v150, v143, v150, 0x7fff
                                        ; implicit-def: $vgpr143
; %bb.38:
	s_and_not1_saveexec_b32 s3, s3
; %bb.39:
	v_and_b32_e32 v150, 0xffff, v143
	v_or_b32_e32 v154, 0x10000, v143
	s_delay_alu instid0(VALU_DEP_2) | instskip(NEXT) | instid1(VALU_DEP_2)
	v_cmp_eq_u32_e32 vcc_lo, 0, v150
	v_cndmask_b32_e32 v150, v154, v143, vcc_lo
; %bb.40:
	s_or_b32 exec_lo, exec_lo, s3
	v_and_b32_e32 v143, 0x7f800000, v140
	s_delay_alu instid0(VALU_DEP_1) | instskip(SKIP_1) | instid1(SALU_CYCLE_1)
	v_cmp_ne_u32_e32 vcc_lo, 0x7f800000, v143
                                        ; implicit-def: $vgpr143
	s_and_saveexec_b32 s3, vcc_lo
	s_xor_b32 s3, exec_lo, s3
; %bb.41:
	v_bfe_u32 v143, v140, 16, 1
	s_delay_alu instid0(VALU_DEP_1)
	v_add3_u32 v143, v140, v143, 0x7fff
                                        ; implicit-def: $vgpr140
; %bb.42:
	s_and_not1_saveexec_b32 s3, s3
; %bb.43:
	v_and_b32_e32 v143, 0xffff, v140
	v_or_b32_e32 v154, 0x10000, v140
	s_delay_alu instid0(VALU_DEP_2) | instskip(NEXT) | instid1(VALU_DEP_2)
	v_cmp_eq_u32_e32 vcc_lo, 0, v143
	v_cndmask_b32_e32 v143, v154, v140, vcc_lo
; %bb.44:
	s_or_b32 exec_lo, exec_lo, s3
	s_load_b64 s[34:35], s[0:1], 0x94
	v_dual_mul_f32 v136, v139, v136 :: v_dual_lshlrev_b32 v155, 4, v146
	s_delay_alu instid0(VALU_DEP_2)
	v_perm_b32 v154, v143, v150, 0x7060302
	v_dual_mul_f32 v143, v139, v131 :: v_dual_lshlrev_b32 v140, 6, v148
	v_dual_mul_f32 v135, v139, v135 :: v_dual_lshlrev_b32 v150, 11, v149
	v_perm_b32 v153, v152, v153, 0x7060302
	v_perm_b32 v152, v151, v144, 0x7060302
	;; [unrolled: 1-line block ×3, first 2 shown]
	s_delay_alu instid0(VALU_DEP_4)
	v_or3_b32 v131, v155, v150, v140
	v_mul_f32_e32 v138, v139, v138
	v_dual_mul_f32 v137, v139, v137 :: v_dual_and_b32 v144, 0x7f800000, v143
	v_mul_f32_e32 v141, v139, v134
	v_mul_f32_e32 v142, v139, v133
	;; [unrolled: 1-line block ×3, first 2 shown]
	s_mov_b32 s3, exec_lo
	ds_store_b128 v131, v[151:154]
                                        ; implicit-def: $vgpr132
	v_cmpx_ne_u32_e32 0x7f800000, v144
	s_xor_b32 s3, exec_lo, s3
; %bb.45:
	v_bfe_u32 v132, v143, 16, 1
	s_delay_alu instid0(VALU_DEP_1)
	v_add3_u32 v132, v143, v132, 0x7fff
                                        ; implicit-def: $vgpr143
; %bb.46:
	s_and_not1_saveexec_b32 s3, s3
; %bb.47:
	v_and_b32_e32 v132, 0xffff, v143
	v_or_b32_e32 v133, 0x10000, v143
	s_delay_alu instid0(VALU_DEP_2) | instskip(NEXT) | instid1(VALU_DEP_2)
	v_cmp_eq_u32_e32 vcc_lo, 0, v132
	v_cndmask_b32_e32 v132, v133, v143, vcc_lo
; %bb.48:
	s_or_b32 exec_lo, exec_lo, s3
	v_and_b32_e32 v133, 0x7f800000, v134
	s_delay_alu instid0(VALU_DEP_1) | instskip(SKIP_1) | instid1(SALU_CYCLE_1)
	v_cmp_ne_u32_e32 vcc_lo, 0x7f800000, v133
                                        ; implicit-def: $vgpr133
	s_and_saveexec_b32 s3, vcc_lo
	s_xor_b32 s3, exec_lo, s3
; %bb.49:
	v_bfe_u32 v133, v134, 16, 1
	s_delay_alu instid0(VALU_DEP_1)
	v_add3_u32 v133, v134, v133, 0x7fff
                                        ; implicit-def: $vgpr134
; %bb.50:
	s_and_not1_saveexec_b32 s3, s3
; %bb.51:
	v_and_b32_e32 v133, 0xffff, v134
	v_or_b32_e32 v139, 0x10000, v134
	s_delay_alu instid0(VALU_DEP_2) | instskip(NEXT) | instid1(VALU_DEP_2)
	v_cmp_eq_u32_e32 vcc_lo, 0, v133
	v_cndmask_b32_e32 v133, v139, v134, vcc_lo
; %bb.52:
	s_or_b32 exec_lo, exec_lo, s3
	v_and_b32_e32 v134, 0x7f800000, v142
	s_delay_alu instid0(VALU_DEP_1) | instskip(SKIP_1) | instid1(SALU_CYCLE_1)
	v_cmp_ne_u32_e32 vcc_lo, 0x7f800000, v134
                                        ; implicit-def: $vgpr134
	s_and_saveexec_b32 s3, vcc_lo
	s_xor_b32 s3, exec_lo, s3
; %bb.53:
	v_bfe_u32 v134, v142, 16, 1
	s_delay_alu instid0(VALU_DEP_1)
	v_add3_u32 v134, v142, v134, 0x7fff
                                        ; implicit-def: $vgpr142
; %bb.54:
	s_and_not1_saveexec_b32 s3, s3
; %bb.55:
	v_and_b32_e32 v134, 0xffff, v142
	v_or_b32_e32 v139, 0x10000, v142
	s_delay_alu instid0(VALU_DEP_2) | instskip(NEXT) | instid1(VALU_DEP_2)
	v_cmp_eq_u32_e32 vcc_lo, 0, v134
	v_cndmask_b32_e32 v134, v139, v142, vcc_lo
; %bb.56:
	s_or_b32 exec_lo, exec_lo, s3
	v_and_b32_e32 v139, 0x7f800000, v141
	s_delay_alu instid0(VALU_DEP_1) | instskip(SKIP_1) | instid1(SALU_CYCLE_1)
	v_cmp_ne_u32_e32 vcc_lo, 0x7f800000, v139
                                        ; implicit-def: $vgpr139
	s_and_saveexec_b32 s3, vcc_lo
	s_xor_b32 s3, exec_lo, s3
; %bb.57:
	v_bfe_u32 v139, v141, 16, 1
	s_delay_alu instid0(VALU_DEP_1)
	v_add3_u32 v139, v141, v139, 0x7fff
                                        ; implicit-def: $vgpr141
; %bb.58:
	s_and_not1_saveexec_b32 s3, s3
; %bb.59:
	v_and_b32_e32 v139, 0xffff, v141
	v_or_b32_e32 v142, 0x10000, v141
	s_delay_alu instid0(VALU_DEP_2) | instskip(NEXT) | instid1(VALU_DEP_2)
	v_cmp_eq_u32_e32 vcc_lo, 0, v139
	v_cndmask_b32_e32 v139, v142, v141, vcc_lo
; %bb.60:
	s_or_b32 exec_lo, exec_lo, s3
	v_and_b32_e32 v141, 0x7f800000, v135
	s_delay_alu instid0(VALU_DEP_1) | instskip(SKIP_1) | instid1(SALU_CYCLE_1)
	v_cmp_ne_u32_e32 vcc_lo, 0x7f800000, v141
                                        ; implicit-def: $vgpr141
	s_and_saveexec_b32 s3, vcc_lo
	s_xor_b32 s3, exec_lo, s3
; %bb.61:
	v_bfe_u32 v141, v135, 16, 1
	s_delay_alu instid0(VALU_DEP_1)
	v_add3_u32 v141, v135, v141, 0x7fff
                                        ; implicit-def: $vgpr135
; %bb.62:
	s_and_not1_saveexec_b32 s3, s3
; %bb.63:
	v_and_b32_e32 v141, 0xffff, v135
	v_or_b32_e32 v142, 0x10000, v135
	s_delay_alu instid0(VALU_DEP_2) | instskip(NEXT) | instid1(VALU_DEP_2)
	v_cmp_eq_u32_e32 vcc_lo, 0, v141
	v_cndmask_b32_e32 v141, v142, v135, vcc_lo
; %bb.64:
	s_or_b32 exec_lo, exec_lo, s3
	v_and_b32_e32 v135, 0x7f800000, v136
	s_delay_alu instid0(VALU_DEP_1) | instskip(SKIP_1) | instid1(SALU_CYCLE_1)
	v_cmp_ne_u32_e32 vcc_lo, 0x7f800000, v135
                                        ; implicit-def: $vgpr135
	s_and_saveexec_b32 s3, vcc_lo
	s_xor_b32 s3, exec_lo, s3
; %bb.65:
	v_bfe_u32 v135, v136, 16, 1
	s_delay_alu instid0(VALU_DEP_1)
	v_add3_u32 v135, v136, v135, 0x7fff
                                        ; implicit-def: $vgpr136
; %bb.66:
	s_and_not1_saveexec_b32 s3, s3
; %bb.67:
	v_and_b32_e32 v135, 0xffff, v136
	v_or_b32_e32 v142, 0x10000, v136
	s_delay_alu instid0(VALU_DEP_2) | instskip(NEXT) | instid1(VALU_DEP_2)
	v_cmp_eq_u32_e32 vcc_lo, 0, v135
	v_cndmask_b32_e32 v135, v142, v136, vcc_lo
; %bb.68:
	s_or_b32 exec_lo, exec_lo, s3
	v_and_b32_e32 v136, 0x7f800000, v137
	s_delay_alu instid0(VALU_DEP_1) | instskip(SKIP_1) | instid1(SALU_CYCLE_1)
	v_cmp_ne_u32_e32 vcc_lo, 0x7f800000, v136
                                        ; implicit-def: $vgpr136
	s_and_saveexec_b32 s3, vcc_lo
	s_xor_b32 s3, exec_lo, s3
; %bb.69:
	v_bfe_u32 v136, v137, 16, 1
	s_delay_alu instid0(VALU_DEP_1)
	v_add3_u32 v136, v137, v136, 0x7fff
                                        ; implicit-def: $vgpr137
; %bb.70:
	s_and_not1_saveexec_b32 s3, s3
; %bb.71:
	v_and_b32_e32 v136, 0xffff, v137
	v_or_b32_e32 v142, 0x10000, v137
	s_delay_alu instid0(VALU_DEP_2) | instskip(NEXT) | instid1(VALU_DEP_2)
	v_cmp_eq_u32_e32 vcc_lo, 0, v136
	v_cndmask_b32_e32 v136, v142, v137, vcc_lo
; %bb.72:
	s_or_b32 exec_lo, exec_lo, s3
	v_and_b32_e32 v137, 0x7f800000, v138
	s_delay_alu instid0(VALU_DEP_1) | instskip(SKIP_1) | instid1(SALU_CYCLE_1)
	v_cmp_ne_u32_e32 vcc_lo, 0x7f800000, v137
                                        ; implicit-def: $vgpr137
	s_and_saveexec_b32 s3, vcc_lo
	s_xor_b32 s3, exec_lo, s3
; %bb.73:
	v_bfe_u32 v137, v138, 16, 1
	s_delay_alu instid0(VALU_DEP_1)
	v_add3_u32 v137, v138, v137, 0x7fff
                                        ; implicit-def: $vgpr138
; %bb.74:
	s_and_not1_saveexec_b32 s3, s3
; %bb.75:
	v_and_b32_e32 v137, 0xffff, v138
	v_or_b32_e32 v142, 0x10000, v138
	s_delay_alu instid0(VALU_DEP_2) | instskip(NEXT) | instid1(VALU_DEP_2)
	v_cmp_eq_u32_e32 vcc_lo, 0, v137
	v_cndmask_b32_e32 v137, v142, v138, vcc_lo
; %bb.76:
	s_or_b32 exec_lo, exec_lo, s3
	s_delay_alu instid0(VALU_DEP_1)
	v_perm_b32 v136, v137, v136, 0x7060302
	v_perm_b32 v135, v135, v141, 0x7060302
	;; [unrolled: 1-line block ×4, first 2 shown]
	v_lshl_or_b32 v141, v149, 11, v140
	ds_store_b128 v131, v[133:136] offset:1024
	s_waitcnt lgkmcnt(0)
	s_barrier
	buffer_gl0_inv
	ds_load_b128 v[132:135], v141
	ds_load_b128 v[149:152], v141 offset:16
	s_waitcnt lgkmcnt(1)
	v_lshrrev_b32_e32 v136, 16, v132
	s_waitcnt lgkmcnt(0)
	v_lshrrev_b32_e32 v164, 16, v151
	v_lshlrev_b32_e32 v138, 2, v146
	v_lshrrev_b32_e32 v143, 16, v149
	v_lshrrev_b32_e32 v162, 16, v150
	;; [unrolled: 1-line block ×4, first 2 shown]
	v_or_b32_e32 v139, 1, v138
	v_lshrrev_b32_e32 v165, 16, v152
	v_lshrrev_b32_e32 v163, 16, v135
	s_delay_alu instid0(VALU_DEP_3)
	v_cmp_eq_u32_e64 s7, 1, v139
	v_cmp_eq_u32_e64 s6, 2, v139
	;; [unrolled: 1-line block ×4, first 2 shown]
	v_cmp_eq_u32_e32 vcc_lo, 5, v139
	v_cndmask_b32_e64 v155, v149, v143, s7
	v_cndmask_b32_e64 v154, v132, v136, s7
	v_cmp_eq_u32_e64 s4, 6, v139
	v_cmp_eq_u32_e64 s19, 7, v139
	s_delay_alu instid0(VALU_DEP_4) | instskip(NEXT) | instid1(VALU_DEP_4)
	v_cndmask_b32_e64 v155, v155, v150, s6
	v_cndmask_b32_e64 v154, v154, v133, s6
	s_delay_alu instid0(VALU_DEP_2) | instskip(NEXT) | instid1(VALU_DEP_2)
	v_cndmask_b32_e64 v155, v155, v162, s5
	v_cndmask_b32_e64 v154, v154, v144, s5
	s_delay_alu instid0(VALU_DEP_2) | instskip(NEXT) | instid1(VALU_DEP_2)
	v_cndmask_b32_e64 v155, v155, v151, s3
	v_cndmask_b32_e64 v154, v154, v134, s3
	s_delay_alu instid0(VALU_DEP_2)
	v_cndmask_b32_e32 v157, v155, v164, vcc_lo
	v_cmp_eq_u32_e64 s12, 1, v138
	v_cmp_eq_u32_e64 s11, 2, v138
	;; [unrolled: 1-line block ×3, first 2 shown]
	v_or_b32_e32 v137, 2, v138
	v_cmp_eq_u32_e64 s17, 4, v138
	v_cndmask_b32_e64 v153, v149, v143, s12
	v_cndmask_b32_e64 v142, v132, v136, s12
	v_cmp_eq_u32_e64 s13, 5, v138
	v_cmp_eq_u32_e64 s8, 1, v137
	;; [unrolled: 1-line block ×3, first 2 shown]
	v_cndmask_b32_e64 v153, v153, v150, s11
	v_cndmask_b32_e64 v142, v142, v133, s11
	v_cmp_eq_u32_e64 s10, 2, v137
	v_cndmask_b32_e64 v156, v132, v136, s8
	v_cndmask_b32_e32 v154, v154, v161, vcc_lo
	v_cndmask_b32_e64 v153, v153, v162, s16
	v_cndmask_b32_e64 v142, v142, v144, s16
	v_cmp_eq_u32_e64 s9, 7, v138
	v_cndmask_b32_e64 v156, v156, v133, s10
	v_cmp_eq_u32_e64 s18, 3, v137
	v_cndmask_b32_e64 v153, v153, v151, s17
	v_cndmask_b32_e64 v142, v142, v134, s17
	;; [unrolled: 1-line block ×3, first 2 shown]
	v_cmp_eq_u32_e64 s20, 4, v137
	v_cndmask_b32_e64 v156, v156, v144, s18
	v_cndmask_b32_e64 v153, v153, v164, s13
	;; [unrolled: 1-line block ×4, first 2 shown]
	v_cmp_eq_u32_e64 s22, 5, v137
	v_cndmask_b32_e64 v159, v156, v134, s20
	v_cndmask_b32_e64 v153, v153, v152, s15
	;; [unrolled: 1-line block ×3, first 2 shown]
	v_cmp_eq_u32_e64 s25, 6, v137
	v_cmp_eq_u32_e64 s27, 7, v137
	v_cndmask_b32_e64 v169, v159, v161, s22
	v_cndmask_b32_e64 v167, v153, v165, s9
	;; [unrolled: 1-line block ×4, first 2 shown]
	v_or_b32_e32 v142, 3, v138
	s_delay_alu instid0(VALU_DEP_3)
	v_cndmask_b32_e64 v158, v153, v150, s10
	ds_load_b128 v[153:156], v141 offset:1024
	v_cmp_eq_u32_e64 s21, 1, v142
	v_cmp_eq_u32_e64 s23, 2, v142
	;; [unrolled: 1-line block ×3, first 2 shown]
	v_cndmask_b32_e64 v158, v158, v162, s18
	v_cmp_eq_u32_e64 s26, 4, v142
	v_cndmask_b32_e64 v132, v132, v136, s21
	v_cndmask_b32_e64 v136, v157, v152, s4
	;; [unrolled: 1-line block ×4, first 2 shown]
	ds_load_b128 v[157:160], v141 offset:1040
	v_cndmask_b32_e64 v132, v132, v133, s23
	v_cmp_eq_u32_e64 s28, 5, v142
	v_cndmask_b32_e64 v143, v143, v150, s23
	v_cmp_eq_u32_e64 s29, 6, v142
	v_cndmask_b32_e64 v133, v170, v164, s22
	v_cndmask_b32_e64 v132, v132, v144, s24
	;; [unrolled: 1-line block ×5, first 2 shown]
	s_waitcnt lgkmcnt(1)
	v_lshrrev_b32_e32 v149, 16, v153
	v_cndmask_b32_e64 v132, v132, v134, s26
	v_cndmask_b32_e64 v133, v133, v152, s25
	;; [unrolled: 1-line block ×3, first 2 shown]
	v_lshrrev_b32_e32 v151, 16, v154
	v_cndmask_b32_e64 v143, v153, v149, s12
	v_cndmask_b32_e64 v132, v132, v161, s28
	v_cndmask_b32_e64 v161, v153, v149, s7
	v_cndmask_b32_e64 v134, v134, v164, s28
	v_cndmask_b32_e64 v144, v144, v163, s27
	s_waitcnt lgkmcnt(0)
	v_lshrrev_b32_e32 v150, 16, v157
	v_cndmask_b32_e64 v143, v143, v154, s11
	v_cndmask_b32_e64 v132, v132, v135, s29
	;; [unrolled: 1-line block ×3, first 2 shown]
	v_lshrrev_b32_e32 v164, 16, v159
	v_cndmask_b32_e64 v162, v157, v150, s12
	v_cndmask_b32_e64 v135, v143, v151, s16
	;; [unrolled: 1-line block ×3, first 2 shown]
	v_lshrrev_b32_e32 v161, 16, v158
	v_cndmask_b32_e64 v133, v133, v165, s27
	v_cndmask_b32_e64 v152, v162, v158, s11
	v_cmp_eq_u32_e64 s11, 7, v142
	v_cndmask_b32_e64 v143, v143, v151, s5
	v_cndmask_b32_e64 v135, v135, v155, s17
	v_lshrrev_b32_e32 v162, 16, v155
	v_cndmask_b32_e64 v152, v152, v161, s16
	v_cndmask_b32_e64 v132, v132, v163, s11
	;; [unrolled: 1-line block ×6, first 2 shown]
	s_delay_alu instid0(VALU_DEP_4) | instskip(NEXT) | instid1(VALU_DEP_4)
	v_perm_b32 v135, v134, v132, 0x5040100
	v_cndmask_b32_e32 v132, v143, v162, vcc_lo
	s_delay_alu instid0(VALU_DEP_4)
	v_cndmask_b32_e64 v143, v163, v156, s15
	v_lshrrev_b32_e32 v163, 16, v156
	v_cndmask_b32_e64 v152, v152, v164, s13
	v_perm_b32 v134, v133, v144, 0x5040100
	v_cndmask_b32_e64 v132, v132, v156, s4
	v_perm_b32 v133, v136, v168, 0x5040100
	v_cndmask_b32_e64 v136, v143, v163, s9
	v_cndmask_b32_e64 v143, v152, v160, s15
	;; [unrolled: 1-line block ×13, first 2 shown]
	v_lshrrev_b32_e32 v144, 16, v160
	v_cndmask_b32_e64 v132, v132, v151, s18
	v_cndmask_b32_e64 v149, v149, v151, s24
	;; [unrolled: 1-line block ×14, first 2 shown]
	v_cndmask_b32_e32 v150, v150, v164, vcc_lo
	v_cndmask_b32_e64 v132, v132, v156, s25
	v_cndmask_b32_e64 v149, v149, v156, s29
	;; [unrolled: 1-line block ×11, first 2 shown]
	v_perm_b32 v132, v167, v166, 0x5040100
	v_perm_b32 v152, v151, v149, 0x5040100
	;; [unrolled: 1-line block ×5, first 2 shown]
	s_mul_i32 s8, s35, 12
	s_mov_b32 s3, exec_lo
	ds_store_b128 v131, v[132:135]
	ds_store_b128 v131, v[149:152] offset:1024
	v_cmpx_gt_u32_e32 12, v0
	s_cbranch_execz .LBB433_78
; %bb.77:
	s_mul_i32 s4, s8, s30
	s_delay_alu instid0(SALU_CYCLE_1) | instskip(SKIP_1) | instid1(VALU_DEP_1)
	v_add3_u32 v133, s4, s31, v148
	s_load_b128 s[4:7], s[0:1], 0x58
	v_mad_u64_u32 v[131:132], null, v133, s34, s[14:15]
	s_delay_alu instid0(VALU_DEP_1) | instskip(NEXT) | instid1(VALU_DEP_1)
	v_ashrrev_i32_e32 v132, 31, v131
	v_lshlrev_b64 v[131:132], 2, v[131:132]
	s_waitcnt lgkmcnt(0)
	s_delay_alu instid0(VALU_DEP_1) | instskip(NEXT) | instid1(VALU_DEP_2)
	v_add_co_u32 v133, vcc_lo, s6, v131
	v_add_co_ci_u32_e32 v134, vcc_lo, s7, v132, vcc_lo
	v_add_co_u32 v131, vcc_lo, s4, v131
	v_add_co_ci_u32_e32 v132, vcc_lo, s5, v132, vcc_lo
	global_store_b32 v[133:134], v129, off
	global_store_b32 v[131:132], v130, off
.LBB433_78:
	s_or_b32 exec_lo, exec_lo, s3
	s_waitcnt lgkmcnt(0)
	s_waitcnt_vscnt null, 0x0
	s_barrier
	buffer_gl0_inv
	ds_load_b128 v[148:151], v140
	ds_load_b128 v[152:155], v140 offset:16
	ds_load_b128 v[160:163], v140 offset:1040
	;; [unrolled: 1-line block ×3, first 2 shown]
	v_mov_b32_e32 v129, 0
	ds_load_b128 v[168:171], v140 offset:2064
	ds_load_b128 v[164:167], v140 offset:2048
	;; [unrolled: 1-line block ×6, first 2 shown]
	v_mov_b32_e32 v130, v129
	v_mov_b32_e32 v131, v129
	;; [unrolled: 1-line block ×7, first 2 shown]
	s_waitcnt lgkmcnt(8)
	s_delay_alu instid0(VALU_DEP_1)
	v_wmma_f32_16x16x16_bf16 v[129:136], v[121:128], v[148:155], v[129:136]
	ds_load_b128 v[125:128], v140 offset:5136
	ds_load_b128 v[121:124], v140 offset:5120
	s_waitcnt lgkmcnt(8)
	v_wmma_f32_16x16x16_bf16 v[129:136], v[113:120], v[156:163], v[129:136]
	ds_load_b128 v[117:120], v140 offset:6160
	ds_load_b128 v[113:116], v140 offset:6144
	s_waitcnt lgkmcnt(8)
	;; [unrolled: 4-line block ×8, first 2 shown]
	v_wmma_f32_16x16x16_bf16 v[129:136], v[65:72], v[97:104], v[129:136]
	s_waitcnt lgkmcnt(6)
	s_delay_alu instid0(VALU_DEP_1)
	v_wmma_f32_16x16x16_bf16 v[129:136], v[49:56], v[89:96], v[129:136]
	ds_load_b128 v[53:56], v140 offset:13328
	ds_load_b128 v[49:52], v140 offset:13312
	s_waitcnt lgkmcnt(6)
	v_wmma_f32_16x16x16_bf16 v[129:136], v[41:48], v[81:88], v[129:136]
	ds_load_b128 v[45:48], v140 offset:14352
	ds_load_b128 v[41:44], v140 offset:14336
	s_waitcnt lgkmcnt(6)
	;; [unrolled: 4-line block ×3, first 2 shown]
	v_wmma_f32_16x16x16_bf16 v[129:136], v[1:8], v[57:64], v[129:136]
	s_waitcnt lgkmcnt(4)
	s_delay_alu instid0(VALU_DEP_1) | instskip(SKIP_1) | instid1(VALU_DEP_1)
	v_wmma_f32_16x16x16_bf16 v[129:136], v[25:32], v[49:56], v[129:136]
	s_waitcnt lgkmcnt(2)
	v_wmma_f32_16x16x16_bf16 v[129:136], v[33:40], v[41:48], v[129:136]
	s_waitcnt lgkmcnt(0)
	s_delay_alu instid0(VALU_DEP_1) | instskip(NEXT) | instid1(VALU_DEP_1)
	v_wmma_f32_16x16x16_bf16 v[129:136], v[9:16], v[17:24], v[129:136]
	v_and_b32_e32 v1, 0x7f800000, v129
	s_delay_alu instid0(VALU_DEP_1) | instskip(SKIP_1) | instid1(SALU_CYCLE_1)
	v_cmp_ne_u32_e32 vcc_lo, 0x7f800000, v1
                                        ; implicit-def: $vgpr1
	s_and_saveexec_b32 s3, vcc_lo
	s_xor_b32 s3, exec_lo, s3
; %bb.79:
	v_bfe_u32 v1, v129, 16, 1
	s_delay_alu instid0(VALU_DEP_1)
	v_add3_u32 v1, v129, v1, 0x7fff
; %bb.80:
	s_and_not1_saveexec_b32 s3, s3
; %bb.81:
	v_and_b32_e32 v1, 0xffff, v129
	v_or_b32_e32 v2, 0x10000, v129
	s_delay_alu instid0(VALU_DEP_2) | instskip(NEXT) | instid1(VALU_DEP_2)
	v_cmp_eq_u32_e32 vcc_lo, 0, v1
	v_cndmask_b32_e32 v1, v2, v129, vcc_lo
; %bb.82:
	s_or_b32 exec_lo, exec_lo, s3
	v_and_b32_e32 v2, 0x7f800000, v130
	s_delay_alu instid0(VALU_DEP_1) | instskip(SKIP_1) | instid1(SALU_CYCLE_1)
	v_cmp_ne_u32_e32 vcc_lo, 0x7f800000, v2
                                        ; implicit-def: $vgpr2
	s_and_saveexec_b32 s3, vcc_lo
	s_xor_b32 s3, exec_lo, s3
; %bb.83:
	v_bfe_u32 v2, v130, 16, 1
	s_delay_alu instid0(VALU_DEP_1)
	v_add3_u32 v2, v130, v2, 0x7fff
; %bb.84:
	s_and_not1_saveexec_b32 s3, s3
; %bb.85:
	v_and_b32_e32 v2, 0xffff, v130
	v_or_b32_e32 v3, 0x10000, v130
	s_delay_alu instid0(VALU_DEP_2) | instskip(NEXT) | instid1(VALU_DEP_2)
	v_cmp_eq_u32_e32 vcc_lo, 0, v2
	v_cndmask_b32_e32 v2, v3, v130, vcc_lo
; %bb.86:
	s_or_b32 exec_lo, exec_lo, s3
	v_and_b32_e32 v3, 0x7f800000, v131
	s_delay_alu instid0(VALU_DEP_1) | instskip(SKIP_1) | instid1(SALU_CYCLE_1)
	v_cmp_ne_u32_e32 vcc_lo, 0x7f800000, v3
                                        ; implicit-def: $vgpr3
	s_and_saveexec_b32 s3, vcc_lo
	s_xor_b32 s3, exec_lo, s3
; %bb.87:
	v_bfe_u32 v3, v131, 16, 1
	s_delay_alu instid0(VALU_DEP_1)
	v_add3_u32 v3, v131, v3, 0x7fff
; %bb.88:
	s_and_not1_saveexec_b32 s3, s3
; %bb.89:
	v_and_b32_e32 v3, 0xffff, v131
	v_or_b32_e32 v4, 0x10000, v131
	s_delay_alu instid0(VALU_DEP_2) | instskip(NEXT) | instid1(VALU_DEP_2)
	v_cmp_eq_u32_e32 vcc_lo, 0, v3
	v_cndmask_b32_e32 v3, v4, v131, vcc_lo
; %bb.90:
	s_or_b32 exec_lo, exec_lo, s3
	v_and_b32_e32 v4, 0x7f800000, v132
	s_delay_alu instid0(VALU_DEP_1) | instskip(SKIP_1) | instid1(SALU_CYCLE_1)
	v_cmp_ne_u32_e32 vcc_lo, 0x7f800000, v4
                                        ; implicit-def: $vgpr4
	s_and_saveexec_b32 s3, vcc_lo
	s_xor_b32 s3, exec_lo, s3
; %bb.91:
	v_bfe_u32 v4, v132, 16, 1
	s_delay_alu instid0(VALU_DEP_1)
	v_add3_u32 v4, v132, v4, 0x7fff
; %bb.92:
	s_and_not1_saveexec_b32 s3, s3
; %bb.93:
	v_and_b32_e32 v4, 0xffff, v132
	v_or_b32_e32 v5, 0x10000, v132
	s_delay_alu instid0(VALU_DEP_2) | instskip(NEXT) | instid1(VALU_DEP_2)
	v_cmp_eq_u32_e32 vcc_lo, 0, v4
	v_cndmask_b32_e32 v4, v5, v132, vcc_lo
; %bb.94:
	s_or_b32 exec_lo, exec_lo, s3
	v_and_b32_e32 v5, 0x7f800000, v133
	s_delay_alu instid0(VALU_DEP_1) | instskip(SKIP_1) | instid1(SALU_CYCLE_1)
	v_cmp_ne_u32_e32 vcc_lo, 0x7f800000, v5
                                        ; implicit-def: $vgpr5
	s_and_saveexec_b32 s3, vcc_lo
	s_xor_b32 s3, exec_lo, s3
; %bb.95:
	v_bfe_u32 v5, v133, 16, 1
	s_delay_alu instid0(VALU_DEP_1)
	v_add3_u32 v5, v133, v5, 0x7fff
; %bb.96:
	s_and_not1_saveexec_b32 s3, s3
; %bb.97:
	v_and_b32_e32 v5, 0xffff, v133
	v_or_b32_e32 v6, 0x10000, v133
	s_delay_alu instid0(VALU_DEP_2) | instskip(NEXT) | instid1(VALU_DEP_2)
	v_cmp_eq_u32_e32 vcc_lo, 0, v5
	v_cndmask_b32_e32 v5, v6, v133, vcc_lo
; %bb.98:
	s_or_b32 exec_lo, exec_lo, s3
	v_and_b32_e32 v6, 0x7f800000, v134
	s_delay_alu instid0(VALU_DEP_1) | instskip(SKIP_1) | instid1(SALU_CYCLE_1)
	v_cmp_ne_u32_e32 vcc_lo, 0x7f800000, v6
                                        ; implicit-def: $vgpr6
	s_and_saveexec_b32 s3, vcc_lo
	s_xor_b32 s3, exec_lo, s3
; %bb.99:
	v_bfe_u32 v6, v134, 16, 1
	s_delay_alu instid0(VALU_DEP_1)
	v_add3_u32 v6, v134, v6, 0x7fff
; %bb.100:
	s_and_not1_saveexec_b32 s3, s3
; %bb.101:
	v_and_b32_e32 v6, 0xffff, v134
	v_or_b32_e32 v7, 0x10000, v134
	s_delay_alu instid0(VALU_DEP_2) | instskip(NEXT) | instid1(VALU_DEP_2)
	v_cmp_eq_u32_e32 vcc_lo, 0, v6
	v_cndmask_b32_e32 v6, v7, v134, vcc_lo
; %bb.102:
	s_or_b32 exec_lo, exec_lo, s3
	v_and_b32_e32 v7, 0x7f800000, v135
	s_delay_alu instid0(VALU_DEP_1) | instskip(SKIP_1) | instid1(SALU_CYCLE_1)
	v_cmp_ne_u32_e32 vcc_lo, 0x7f800000, v7
                                        ; implicit-def: $vgpr7
	s_and_saveexec_b32 s3, vcc_lo
	s_xor_b32 s3, exec_lo, s3
; %bb.103:
	v_bfe_u32 v7, v135, 16, 1
	s_delay_alu instid0(VALU_DEP_1)
	v_add3_u32 v7, v135, v7, 0x7fff
; %bb.104:
	s_and_not1_saveexec_b32 s3, s3
; %bb.105:
	v_and_b32_e32 v7, 0xffff, v135
	v_or_b32_e32 v8, 0x10000, v135
	s_delay_alu instid0(VALU_DEP_2) | instskip(NEXT) | instid1(VALU_DEP_2)
	v_cmp_eq_u32_e32 vcc_lo, 0, v7
	v_cndmask_b32_e32 v7, v8, v135, vcc_lo
; %bb.106:
	s_or_b32 exec_lo, exec_lo, s3
	v_and_b32_e32 v8, 0x7f800000, v136
	s_delay_alu instid0(VALU_DEP_1) | instskip(SKIP_1) | instid1(SALU_CYCLE_1)
	v_cmp_ne_u32_e32 vcc_lo, 0x7f800000, v8
                                        ; implicit-def: $vgpr8
	s_and_saveexec_b32 s3, vcc_lo
	s_xor_b32 s3, exec_lo, s3
; %bb.107:
	v_bfe_u32 v8, v136, 16, 1
	s_delay_alu instid0(VALU_DEP_1)
	v_add3_u32 v8, v136, v8, 0x7fff
                                        ; implicit-def: $vgpr129_vgpr130_vgpr131_vgpr132_vgpr133_vgpr134_vgpr135_vgpr136
; %bb.108:
	s_and_not1_saveexec_b32 s3, s3
; %bb.109:
	v_and_b32_e32 v8, 0xffff, v136
	v_or_b32_e32 v9, 0x10000, v136
	s_delay_alu instid0(VALU_DEP_2) | instskip(NEXT) | instid1(VALU_DEP_2)
	v_cmp_eq_u32_e32 vcc_lo, 0, v8
	v_cndmask_b32_e32 v8, v9, v136, vcc_lo
; %bb.110:
	s_or_b32 exec_lo, exec_lo, s3
	s_delay_alu instid0(VALU_DEP_1)
	v_perm_b32 v7, v8, v7, 0x7060302
	v_perm_b32 v6, v6, v5, 0x7060302
	;; [unrolled: 1-line block ×4, first 2 shown]
	v_lshl_or_b32 v9, v146, 4, v141
	s_barrier
	buffer_gl0_inv
	v_cmp_eq_u32_e32 vcc_lo, 1, v138
	ds_store_b128 v9, v[4:7]
	s_waitcnt lgkmcnt(0)
	s_barrier
	buffer_gl0_inv
	ds_load_b128 v[1:4], v141
	ds_load_b128 v[5:8], v141 offset:16
	v_cmp_eq_u32_e64 s4, 2, v138
	v_cmp_eq_u32_e64 s3, 1, v139
	;; [unrolled: 1-line block ×5, first 2 shown]
	s_waitcnt lgkmcnt(1)
	v_lshrrev_b32_e32 v10, 16, v1
	s_waitcnt lgkmcnt(0)
	v_lshrrev_b32_e32 v14, 16, v5
	v_lshrrev_b32_e32 v15, 16, v6
	;; [unrolled: 1-line block ×4, first 2 shown]
	v_cndmask_b32_e64 v20, v1, v10, s3
	v_cndmask_b32_e32 v19, v5, v14, vcc_lo
	v_cndmask_b32_e64 v21, v5, v14, s3
	v_lshrrev_b32_e32 v16, 16, v7
	v_cmp_eq_u32_e64 s3, 1, v137
	v_lshrrev_b32_e32 v13, 16, v4
	v_cndmask_b32_e64 v19, v19, v6, s4
	v_lshrrev_b32_e32 v17, 16, v8
	s_delay_alu instid0(VALU_DEP_4) | instskip(SKIP_1) | instid1(VALU_DEP_4)
	v_cndmask_b32_e64 v22, v1, v10, s3
	v_cndmask_b32_e64 v23, v5, v14, s3
	;; [unrolled: 1-line block ×3, first 2 shown]
	v_cndmask_b32_e32 v18, v1, v10, vcc_lo
	v_cmp_eq_u32_e32 vcc_lo, 2, v139
	v_cmp_eq_u32_e64 s3, 2, v142
	v_cndmask_b32_e64 v22, v22, v2, s7
	v_cndmask_b32_e32 v20, v20, v2, vcc_lo
	v_cndmask_b32_e32 v21, v21, v6, vcc_lo
	v_cmp_eq_u32_e32 vcc_lo, 4, v138
	v_cndmask_b32_e32 v19, v19, v7, vcc_lo
	v_cndmask_b32_e64 v18, v18, v2, s4
	v_cmp_eq_u32_e64 s4, 3, v139
	s_delay_alu instid0(VALU_DEP_2) | instskip(NEXT) | instid1(VALU_DEP_2)
	v_cndmask_b32_e64 v18, v18, v11, s5
	v_cndmask_b32_e64 v21, v21, v15, s4
	v_cmp_eq_u32_e64 s5, 5, v138
	s_delay_alu instid0(VALU_DEP_3) | instskip(SKIP_1) | instid1(VALU_DEP_3)
	v_cndmask_b32_e32 v18, v18, v3, vcc_lo
	v_cmp_eq_u32_e32 vcc_lo, 4, v139
	v_cndmask_b32_e64 v19, v19, v16, s5
	s_delay_alu instid0(VALU_DEP_3) | instskip(SKIP_4) | instid1(VALU_DEP_3)
	v_cndmask_b32_e64 v18, v18, v12, s5
	v_cndmask_b32_e32 v21, v21, v7, vcc_lo
	v_cndmask_b32_e64 v20, v20, v11, s4
	v_cmp_eq_u32_e64 s4, 5, v139
	v_cmp_eq_u32_e64 s5, 6, v138
	v_cndmask_b32_e32 v20, v20, v3, vcc_lo
	s_delay_alu instid0(VALU_DEP_3) | instskip(SKIP_1) | instid1(VALU_DEP_4)
	v_cndmask_b32_e64 v21, v21, v16, s4
	v_cmp_eq_u32_e32 vcc_lo, 6, v139
	v_cndmask_b32_e64 v18, v18, v4, s5
	v_cndmask_b32_e64 v19, v19, v8, s5
	;; [unrolled: 1-line block ×3, first 2 shown]
	v_cmp_eq_u32_e64 s4, 1, v142
	v_cmp_eq_u32_e64 s5, 7, v138
	s_delay_alu instid0(VALU_DEP_3) | instskip(NEXT) | instid1(VALU_DEP_3)
	v_cndmask_b32_e32 v20, v20, v4, vcc_lo
	v_cndmask_b32_e64 v1, v1, v10, s4
	v_cndmask_b32_e64 v5, v5, v14, s4
	v_cmp_eq_u32_e64 s4, 3, v137
	v_cndmask_b32_e64 v14, v23, v6, s7
	v_cmp_eq_u32_e64 s7, 3, v142
	v_cndmask_b32_e64 v1, v1, v2, s3
	v_cndmask_b32_e64 v2, v5, v6, s3
	;; [unrolled: 1-line block ×3, first 2 shown]
	v_cmp_eq_u32_e64 s3, 4, v137
	v_cndmask_b32_e64 v6, v14, v15, s4
	v_cndmask_b32_e64 v1, v1, v11, s7
	v_cmp_eq_u32_e64 s4, 4, v142
	v_cndmask_b32_e64 v2, v2, v15, s7
	v_cndmask_b32_e64 v5, v10, v3, s3
	;; [unrolled: 3-line block ×3, first 2 shown]
	v_cndmask_b32_e64 v2, v2, v7, s4
	v_cmp_eq_u32_e64 s3, 5, v142
	v_cndmask_b32_e64 v5, v5, v12, s7
	v_cmp_eq_u32_e64 s4, 6, v137
	;; [unrolled: 2-line block ×3, first 2 shown]
	v_cndmask_b32_e64 v1, v1, v12, s3
	v_cndmask_b32_e64 v2, v2, v16, s3
	;; [unrolled: 1-line block ×4, first 2 shown]
	v_cmp_eq_u32_e64 s3, 7, v142
	v_cndmask_b32_e64 v1, v1, v4, s7
	v_cndmask_b32_e64 v2, v2, v8, s7
	v_cmp_eq_u32_e64 s4, 7, v137
	v_cndmask_b32_e32 v4, v21, v8, vcc_lo
	v_cndmask_b32_e64 v18, v18, v13, s5
	v_cndmask_b32_e64 v20, v20, v13, s6
	;; [unrolled: 1-line block ×8, first 2 shown]
	v_cmp_gt_u32_e32 vcc_lo, 32, v0
	v_perm_b32 v4, v2, v1, 0x5040100
	v_perm_b32 v3, v3, v5, 0x5040100
	;; [unrolled: 1-line block ×4, first 2 shown]
	s_and_b32 s2, vcc_lo, s2
	ds_store_b128 v9, v[1:4]
	s_waitcnt lgkmcnt(0)
	s_barrier
	buffer_gl0_inv
	s_and_saveexec_b32 s3, s2
	s_cbranch_execz .LBB433_2
; %bb.111:
	s_load_b64 s[0:1], s[0:1], 0x68
	v_lshlrev_b32_e32 v0, 10, v0
	s_lshl_b32 s4, s34, 6
	v_or_b32_e32 v3, s31, v146
	s_mul_i32 s2, s4, s30
	v_lshlrev_b32_e32 v1, 4, v147
	s_mul_i32 s2, s2, s8
	v_lshlrev_b32_e32 v2, 6, v146
	v_and_b32_e32 v0, 0x3800, v0
	s_ashr_i32 s3, s2, 31
	v_mul_lo_u32 v4, v3, s4
	s_lshl_b64 s[2:3], s[2:3], 1
	s_delay_alu instid0(VALU_DEP_2) | instskip(NEXT) | instid1(VALU_DEP_2)
	v_or3_b32 v16, v0, v1, v2
	v_ashrrev_i32_e32 v5, 31, v4
	ds_load_b128 v[0:3], v16
	s_waitcnt lgkmcnt(0)
	s_add_u32 s2, s0, s2
	s_addc_u32 s3, s1, s3
	s_lshl_b32 s0, s14, 6
	v_lshlrev_b64 v[5:6], 1, v[4:5]
	s_ashr_i32 s1, s0, 31
	s_delay_alu instid0(SALU_CYCLE_1) | instskip(NEXT) | instid1(SALU_CYCLE_1)
	s_lshl_b64 s[0:1], s[0:1], 1
	s_add_u32 s0, s2, s0
	s_addc_u32 s1, s3, s1
	s_lshl_b32 s2, s34, 7
	v_add_co_u32 v30, s0, s0, v145
	v_add_nc_u32_e32 v8, s2, v4
	v_add_co_ci_u32_e64 v31, null, s1, 0, s0
	s_delay_alu instid0(VALU_DEP_3) | instskip(NEXT) | instid1(VALU_DEP_3)
	v_add_co_u32 v12, vcc_lo, v30, v5
	v_add_nc_u32_e32 v10, s2, v8
	v_ashrrev_i32_e32 v9, 31, v8
	s_delay_alu instid0(VALU_DEP_4)
	v_add_co_ci_u32_e32 v13, vcc_lo, v31, v6, vcc_lo
	ds_load_b128 v[4:7], v16 offset:128
	v_ashrrev_i32_e32 v11, 31, v10
	v_lshlrev_b64 v[8:9], 1, v[8:9]
	v_add_nc_u32_e32 v14, s2, v10
	global_store_b128 v[12:13], v[0:3], off
	v_lshlrev_b64 v[0:1], 1, v[10:11]
	v_ashrrev_i32_e32 v15, 31, v14
	v_add_co_u32 v22, vcc_lo, v30, v8
	v_add_nc_u32_e32 v20, s2, v14
	v_add_co_ci_u32_e32 v23, vcc_lo, v31, v9, vcc_lo
	v_add_co_u32 v26, vcc_lo, v30, v0
	v_lshlrev_b64 v[24:25], 1, v[14:15]
	v_add_co_ci_u32_e32 v27, vcc_lo, v31, v1, vcc_lo
	ds_load_b128 v[0:3], v16 offset:256
	ds_load_b128 v[8:11], v16 offset:384
	;; [unrolled: 1-line block ×4, first 2 shown]
	v_add_nc_u32_e32 v28, s2, v20
	v_ashrrev_i32_e32 v21, 31, v20
	v_add_co_u32 v24, vcc_lo, v30, v24
	v_add_co_ci_u32_e32 v25, vcc_lo, v31, v25, vcc_lo
	s_delay_alu instid0(VALU_DEP_4) | instskip(NEXT) | instid1(VALU_DEP_4)
	v_ashrrev_i32_e32 v29, 31, v28
	v_lshlrev_b64 v[20:21], 1, v[20:21]
	s_delay_alu instid0(VALU_DEP_2) | instskip(NEXT) | instid1(VALU_DEP_2)
	v_lshlrev_b64 v[28:29], 1, v[28:29]
	v_add_co_u32 v20, vcc_lo, v30, v20
	s_delay_alu instid0(VALU_DEP_3) | instskip(NEXT) | instid1(VALU_DEP_3)
	v_add_co_ci_u32_e32 v21, vcc_lo, v31, v21, vcc_lo
	v_add_co_u32 v28, vcc_lo, v30, v28
	s_delay_alu instid0(VALU_DEP_4)
	v_add_co_ci_u32_e32 v29, vcc_lo, v31, v29, vcc_lo
	s_waitcnt lgkmcnt(4)
	global_store_b128 v[22:23], v[4:7], off
	s_waitcnt lgkmcnt(3)
	global_store_b128 v[26:27], v[0:3], off
	;; [unrolled: 2-line block ×5, first 2 shown]
	s_nop 0
	s_sendmsg sendmsg(MSG_DEALLOC_VGPRS)
	s_endpgm
	.section	.rodata,"a",@progbits
	.p2align	6, 0x0
	.amdhsa_kernel _Z39paged_attention_ll4mi_QKV_mfma16_kernelI14__hip_bfloat16S0_LN4vllm18Fp8KVCacheDataTypeE0EhLi16ELi64ELi256ELb0ELi12EL8MFMAType0EEvPKT_PKT0_S9_ifPKiSB_SB_iPKfiiiPfSE_PS4_PT2_iSD_SD_
		.amdhsa_group_segment_fixed_size 17472
		.amdhsa_private_segment_fixed_size 0
		.amdhsa_kernarg_size 400
		.amdhsa_user_sgpr_count 13
		.amdhsa_user_sgpr_dispatch_ptr 0
		.amdhsa_user_sgpr_queue_ptr 0
		.amdhsa_user_sgpr_kernarg_segment_ptr 1
		.amdhsa_user_sgpr_dispatch_id 0
		.amdhsa_user_sgpr_private_segment_size 0
		.amdhsa_wavefront_size32 1
		.amdhsa_uses_dynamic_stack 0
		.amdhsa_enable_private_segment 0
		.amdhsa_system_sgpr_workgroup_id_x 1
		.amdhsa_system_sgpr_workgroup_id_y 1
		.amdhsa_system_sgpr_workgroup_id_z 1
		.amdhsa_system_sgpr_workgroup_info 0
		.amdhsa_system_vgpr_workitem_id 0
		.amdhsa_next_free_vgpr 198
		.amdhsa_next_free_sgpr 52
		.amdhsa_reserve_vcc 1
		.amdhsa_float_round_mode_32 0
		.amdhsa_float_round_mode_16_64 0
		.amdhsa_float_denorm_mode_32 3
		.amdhsa_float_denorm_mode_16_64 3
		.amdhsa_dx10_clamp 1
		.amdhsa_ieee_mode 1
		.amdhsa_fp16_overflow 0
		.amdhsa_workgroup_processor_mode 1
		.amdhsa_memory_ordered 1
		.amdhsa_forward_progress 0
		.amdhsa_shared_vgpr_count 0
		.amdhsa_exception_fp_ieee_invalid_op 0
		.amdhsa_exception_fp_denorm_src 0
		.amdhsa_exception_fp_ieee_div_zero 0
		.amdhsa_exception_fp_ieee_overflow 0
		.amdhsa_exception_fp_ieee_underflow 0
		.amdhsa_exception_fp_ieee_inexact 0
		.amdhsa_exception_int_div_zero 0
	.end_amdhsa_kernel
	.section	.text._Z39paged_attention_ll4mi_QKV_mfma16_kernelI14__hip_bfloat16S0_LN4vllm18Fp8KVCacheDataTypeE0EhLi16ELi64ELi256ELb0ELi12EL8MFMAType0EEvPKT_PKT0_S9_ifPKiSB_SB_iPKfiiiPfSE_PS4_PT2_iSD_SD_,"axG",@progbits,_Z39paged_attention_ll4mi_QKV_mfma16_kernelI14__hip_bfloat16S0_LN4vllm18Fp8KVCacheDataTypeE0EhLi16ELi64ELi256ELb0ELi12EL8MFMAType0EEvPKT_PKT0_S9_ifPKiSB_SB_iPKfiiiPfSE_PS4_PT2_iSD_SD_,comdat
.Lfunc_end433:
	.size	_Z39paged_attention_ll4mi_QKV_mfma16_kernelI14__hip_bfloat16S0_LN4vllm18Fp8KVCacheDataTypeE0EhLi16ELi64ELi256ELb0ELi12EL8MFMAType0EEvPKT_PKT0_S9_ifPKiSB_SB_iPKfiiiPfSE_PS4_PT2_iSD_SD_, .Lfunc_end433-_Z39paged_attention_ll4mi_QKV_mfma16_kernelI14__hip_bfloat16S0_LN4vllm18Fp8KVCacheDataTypeE0EhLi16ELi64ELi256ELb0ELi12EL8MFMAType0EEvPKT_PKT0_S9_ifPKiSB_SB_iPKfiiiPfSE_PS4_PT2_iSD_SD_
                                        ; -- End function
	.section	.AMDGPU.csdata,"",@progbits
; Kernel info:
; codeLenInByte = 10164
; NumSgprs: 54
; NumVgprs: 198
; ScratchSize: 0
; MemoryBound: 0
; FloatMode: 240
; IeeeMode: 1
; LDSByteSize: 17472 bytes/workgroup (compile time only)
; SGPRBlocks: 6
; VGPRBlocks: 24
; NumSGPRsForWavesPerEU: 54
; NumVGPRsForWavesPerEU: 198
; Occupancy: 7
; WaveLimiterHint : 1
; COMPUTE_PGM_RSRC2:SCRATCH_EN: 0
; COMPUTE_PGM_RSRC2:USER_SGPR: 13
; COMPUTE_PGM_RSRC2:TRAP_HANDLER: 0
; COMPUTE_PGM_RSRC2:TGID_X_EN: 1
; COMPUTE_PGM_RSRC2:TGID_Y_EN: 1
; COMPUTE_PGM_RSRC2:TGID_Z_EN: 1
; COMPUTE_PGM_RSRC2:TIDIG_COMP_CNT: 0
	.section	.text._Z39paged_attention_ll4mi_QKV_mfma16_kernelI14__hip_bfloat16S0_LN4vllm18Fp8KVCacheDataTypeE0EhLi16ELi64ELi256ELb0ELi13EL8MFMAType0EEvPKT_PKT0_S9_ifPKiSB_SB_iPKfiiiPfSE_PS4_PT2_iSD_SD_,"axG",@progbits,_Z39paged_attention_ll4mi_QKV_mfma16_kernelI14__hip_bfloat16S0_LN4vllm18Fp8KVCacheDataTypeE0EhLi16ELi64ELi256ELb0ELi13EL8MFMAType0EEvPKT_PKT0_S9_ifPKiSB_SB_iPKfiiiPfSE_PS4_PT2_iSD_SD_,comdat
	.protected	_Z39paged_attention_ll4mi_QKV_mfma16_kernelI14__hip_bfloat16S0_LN4vllm18Fp8KVCacheDataTypeE0EhLi16ELi64ELi256ELb0ELi13EL8MFMAType0EEvPKT_PKT0_S9_ifPKiSB_SB_iPKfiiiPfSE_PS4_PT2_iSD_SD_ ; -- Begin function _Z39paged_attention_ll4mi_QKV_mfma16_kernelI14__hip_bfloat16S0_LN4vllm18Fp8KVCacheDataTypeE0EhLi16ELi64ELi256ELb0ELi13EL8MFMAType0EEvPKT_PKT0_S9_ifPKiSB_SB_iPKfiiiPfSE_PS4_PT2_iSD_SD_
	.globl	_Z39paged_attention_ll4mi_QKV_mfma16_kernelI14__hip_bfloat16S0_LN4vllm18Fp8KVCacheDataTypeE0EhLi16ELi64ELi256ELb0ELi13EL8MFMAType0EEvPKT_PKT0_S9_ifPKiSB_SB_iPKfiiiPfSE_PS4_PT2_iSD_SD_
	.p2align	8
	.type	_Z39paged_attention_ll4mi_QKV_mfma16_kernelI14__hip_bfloat16S0_LN4vllm18Fp8KVCacheDataTypeE0EhLi16ELi64ELi256ELb0ELi13EL8MFMAType0EEvPKT_PKT0_S9_ifPKiSB_SB_iPKfiiiPfSE_PS4_PT2_iSD_SD_,@function
_Z39paged_attention_ll4mi_QKV_mfma16_kernelI14__hip_bfloat16S0_LN4vllm18Fp8KVCacheDataTypeE0EhLi16ELi64ELi256ELb0ELi13EL8MFMAType0EEvPKT_PKT0_S9_ifPKiSB_SB_iPKfiiiPfSE_PS4_PT2_iSD_SD_: ; @_Z39paged_attention_ll4mi_QKV_mfma16_kernelI14__hip_bfloat16S0_LN4vllm18Fp8KVCacheDataTypeE0EhLi16ELi64ELi256ELb0ELi13EL8MFMAType0EEvPKT_PKT0_S9_ifPKiSB_SB_iPKfiiiPfSE_PS4_PT2_iSD_SD_
; %bb.0:
	s_load_b64 s[2:3], s[0:1], 0x30
	s_mov_b32 s34, s13
	s_waitcnt lgkmcnt(0)
	s_cmp_lg_u64 s[2:3], 0
	s_cselect_b32 s6, -1, 0
	s_ashr_i32 s35, s13, 31
	s_cmp_eq_u64 s[2:3], 0
	s_cbranch_scc1 .LBB434_3
; %bb.1:
	s_lshl_b64 s[4:5], s[34:35], 2
	s_delay_alu instid0(SALU_CYCLE_1) | instskip(SKIP_4) | instid1(SALU_CYCLE_1)
	s_add_u32 s4, s2, s4
	s_addc_u32 s5, s3, s5
	s_load_b64 s[4:5], s[4:5], 0x0
	s_waitcnt lgkmcnt(0)
	s_sub_i32 s4, s5, s4
	s_cmp_eq_u32 s4, 1
	s_cselect_b32 s4, -1, 0
	s_delay_alu instid0(SALU_CYCLE_1)
	s_and_not1_b32 vcc_lo, exec_lo, s4
	s_cbranch_vccz .LBB434_4
.LBB434_2:
	s_nop 0
	s_sendmsg sendmsg(MSG_DEALLOC_VGPRS)
	s_endpgm
.LBB434_3:
.LBB434_4:
	s_load_b64 s[8:9], s[0:1], 0x28
	s_lshl_b64 s[4:5], s[34:35], 2
	s_waitcnt lgkmcnt(0)
	s_add_u32 s8, s8, s4
	s_addc_u32 s9, s9, s5
	s_lshl_b32 s33, s14, 8
	s_load_b32 s30, s[8:9], 0x0
	s_waitcnt lgkmcnt(0)
	s_cmp_ge_i32 s33, s30
	s_cbranch_scc1 .LBB434_2
; %bb.5:
	s_clause 0x1
	s_load_b128 s[8:11], s[0:1], 0x8
	s_load_b64 s[12:13], s[0:1], 0x20
	s_and_not1_b32 vcc_lo, exec_lo, s6
	s_cbranch_vccnz .LBB434_7
; %bb.6:
	s_add_u32 s2, s2, s4
	s_addc_u32 s3, s3, s5
	s_load_b32 s3, s[2:3], 0x0
	s_branch .LBB434_8
.LBB434_7:
	s_mov_b32 s3, s34
.LBB434_8:
	s_load_b128 s[4:7], s[0:1], 0x48
	v_lshrrev_b32_e32 v149, 5, v0
	v_bfe_u32 v146, v0, 4, 1
	v_and_b32_e32 v148, 15, v0
	v_and_b32_e32 v150, 31, v0
	;; [unrolled: 1-line block ×3, first 2 shown]
	s_mul_i32 s31, s15, 13
	v_lshl_or_b32 v1, v149, 1, v146
	v_lshlrev_b32_e32 v2, 3, v148
	v_cmp_gt_u32_e64 s2, 8, v148
	s_delay_alu instid0(VALU_DEP_3) | instskip(NEXT) | instid1(VALU_DEP_3)
	v_cmp_gt_u32_e32 vcc_lo, 13, v1
	v_lshlrev_b32_e32 v145, 1, v2
	s_delay_alu instid0(VALU_DEP_3)
	s_and_b32 s16, s2, vcc_lo
	s_waitcnt lgkmcnt(0)
	s_and_saveexec_b32 s7, s16
	s_cbranch_execz .LBB434_10
; %bb.9:
	s_load_b64 s[16:17], s[0:1], 0x0
	v_add_lshl_u32 v2, v1, s31, 6
	s_mul_hi_i32 s19, s3, s4
	s_mul_i32 s18, s3, s4
	v_lshlrev_b32_e32 v6, 10, v148
	s_lshl_b64 s[18:19], s[18:19], 1
	v_ashrrev_i32_e32 v3, 31, v2
	v_lshlrev_b32_e32 v1, 6, v1
	v_lshlrev_b32_e32 v7, 10, v147
	v_and_b32_e32 v6, 0x3800, v6
	s_delay_alu instid0(VALU_DEP_4) | instskip(NEXT) | instid1(VALU_DEP_2)
	v_lshlrev_b64 v[2:3], 1, v[2:3]
	v_or3_b32 v1, v6, v7, v1
	s_waitcnt lgkmcnt(0)
	s_add_u32 s3, s16, s18
	s_addc_u32 s4, s17, s19
	s_delay_alu instid0(VALU_DEP_2) | instskip(SKIP_1) | instid1(VALU_DEP_2)
	v_add_co_u32 v2, vcc_lo, s3, v2
	v_add_co_ci_u32_e32 v3, vcc_lo, s4, v3, vcc_lo
	v_add_co_u32 v2, vcc_lo, v2, v145
	s_delay_alu instid0(VALU_DEP_2)
	v_add_co_ci_u32_e32 v3, vcc_lo, 0, v3, vcc_lo
	global_load_b128 v[2:5], v[2:3], off
	s_waitcnt vmcnt(0)
	ds_store_b128 v1, v[2:5]
.LBB434_10:
	s_or_b32 exec_lo, exec_lo, s7
	s_mov_b32 s40, 0
	s_add_i32 s3, s30, 15
	s_mov_b32 s41, s40
	s_mov_b32 s42, s40
	;; [unrolled: 1-line block ×7, first 2 shown]
	s_delay_alu instid0(SALU_CYCLE_1)
	v_dual_mov_b32 v144, s47 :: v_dual_and_b32 v1, 0xef, v0
	v_mov_b32_e32 v142, s45
	s_ashr_i32 s7, s3, 31
	s_clause 0x1
	s_load_b32 s4, s[0:1], 0x38
	s_load_b32 s35, s[0:1], 0x1c
	v_add_nc_u32_e32 v1, s33, v1
	s_lshr_b32 s7, s7, 28
	s_waitcnt lgkmcnt(0)
	s_add_i32 s3, s3, s7
	s_barrier
	v_ashrrev_i32_e32 v2, 31, v1
	v_or_b32_e32 v3, 16, v1
	s_ashr_i32 s3, s3, 4
	v_cmp_gt_i32_e32 vcc_lo, s30, v1
	s_add_i32 s3, s3, -1
	v_lshrrev_b32_e32 v2, 28, v2
	v_mov_b32_e32 v143, s46
	buffer_gl0_inv
	s_mul_i32 s6, s15, s6
	v_add_nc_u32_e32 v21, -13, v148
	v_dual_mov_b32 v141, s44 :: v_dual_add_nc_u32 v4, v1, v2
	v_mov_b32_e32 v139, s42
	s_mul_i32 s16, s34, s4
	v_mov_b32_e32 v137, s40
	s_delay_alu instid0(VALU_DEP_3)
	v_ashrrev_i32_e32 v4, 4, v4
	v_add_nc_u32_e32 v2, v3, v2
	v_lshlrev_b32_e32 v22, 5, v148
	s_ashr_i32 s17, s16, 31
	v_mov_b32_e32 v140, s43
	v_cndmask_b32_e32 v1, s3, v4, vcc_lo
	v_ashrrev_i32_e32 v2, 4, v2
	v_cmp_gt_i32_e32 vcc_lo, s30, v3
	s_lshl_b64 s[16:17], s[16:17], 2
	v_lshl_or_b32 v22, v149, 9, v22
	s_add_u32 s4, s12, s16
	s_addc_u32 s36, s13, s17
	v_cndmask_b32_e32 v3, s3, v2, vcc_lo
	v_ashrrev_i32_e32 v2, 31, v1
	s_ashr_i32 s7, s6, 31
	v_mov_b32_e32 v138, s41
	s_lshl_b64 s[6:7], s[6:7], 1
	v_ashrrev_i32_e32 v4, 31, v3
	v_lshlrev_b64 v[1:2], 2, v[1:2]
	s_add_u32 s24, s8, s6
	s_addc_u32 s25, s9, s7
	s_lshl_b32 s8, s14, 4
	v_lshlrev_b64 v[3:4], 2, v[3:4]
	s_ashr_i32 s9, s8, 31
	v_add_co_u32 v1, vcc_lo, s4, v1
	v_add_co_ci_u32_e32 v2, vcc_lo, s36, v2, vcc_lo
	s_delay_alu instid0(VALU_DEP_3) | instskip(NEXT) | instid1(VALU_DEP_4)
	v_add_co_u32 v3, vcc_lo, s4, v3
	v_add_co_ci_u32_e32 v4, vcc_lo, s36, v4, vcc_lo
	s_clause 0x1
	global_load_b32 v5, v[1:2], off
	global_load_b32 v6, v[3:4], off
	s_lshl_b64 s[8:9], s[8:9], 2
	v_lshlrev_b32_e32 v3, 4, v0
	s_add_u32 s8, s4, s8
	s_addc_u32 s9, s36, s9
	s_or_b32 s12, s33, 16
	s_delay_alu instid0(SALU_CYCLE_1) | instskip(SKIP_2) | instid1(SALU_CYCLE_1)
	s_ashr_i32 s13, s12, 4
	s_cmp_lt_i32 s12, s30
	s_cselect_b32 s12, s13, s3
	s_ashr_i32 s13, s12, 31
	s_delay_alu instid0(SALU_CYCLE_1) | instskip(NEXT) | instid1(SALU_CYCLE_1)
	s_lshl_b64 s[12:13], s[12:13], 2
	s_add_u32 s12, s4, s12
	s_addc_u32 s13, s36, s13
	s_or_b32 s15, s33, 32
	s_delay_alu instid0(SALU_CYCLE_1) | instskip(SKIP_2) | instid1(SALU_CYCLE_1)
	s_ashr_i32 s16, s15, 4
	s_cmp_lt_i32 s15, s30
	s_cselect_b32 s16, s16, s3
	s_ashr_i32 s17, s16, 31
	s_delay_alu instid0(SALU_CYCLE_1) | instskip(NEXT) | instid1(SALU_CYCLE_1)
	s_lshl_b64 s[16:17], s[16:17], 2
	;; [unrolled: 10-line block ×5, first 2 shown]
	s_add_u32 s22, s4, s22
	s_addc_u32 s23, s36, s23
	s_clause 0x5
	s_load_b32 s8, s[8:9], 0x0
	s_load_b32 s12, s[12:13], 0x0
	;; [unrolled: 1-line block ×6, first 2 shown]
	s_waitcnt lgkmcnt(0)
	s_mul_hi_i32 s17, s16, s5
	s_mul_i32 s16, s16, s5
	s_waitcnt vmcnt(1)
	v_mad_i64_i32 v[1:2], null, v5, s5, 0
	v_and_b32_e32 v5, 0xf0, v3
	s_waitcnt vmcnt(0)
	v_mad_i64_i32 v[3:4], null, v6, s5, 0
	s_delay_alu instid0(VALU_DEP_2) | instskip(NEXT) | instid1(VALU_DEP_4)
	v_add_co_u32 v5, s9, s24, v5
	v_lshlrev_b64 v[1:2], 1, v[1:2]
	v_add_co_ci_u32_e64 v6, null, s25, 0, s9
	s_delay_alu instid0(VALU_DEP_4) | instskip(SKIP_1) | instid1(VALU_DEP_3)
	v_lshlrev_b64 v[3:4], 1, v[3:4]
	s_or_b32 s9, s33, 0x60
	v_add_co_u32 v19, vcc_lo, v5, v1
	s_delay_alu instid0(VALU_DEP_3) | instskip(NEXT) | instid1(VALU_DEP_3)
	v_add_co_ci_u32_e32 v20, vcc_lo, v6, v2, vcc_lo
	v_add_co_u32 v17, vcc_lo, v5, v3
	s_delay_alu instid0(VALU_DEP_4)
	v_add_co_ci_u32_e32 v18, vcc_lo, v6, v4, vcc_lo
	s_clause 0x9
	global_load_b128 v[1:4], v[19:20], off
	global_load_b128 v[5:8], v[19:20], off offset:256
	global_load_b128 v[129:132], v[17:18], off
	global_load_b128 v[133:136], v[17:18], off offset:256
	global_load_b128 v[33:36], v[19:20], off offset:512
	;; [unrolled: 1-line block ×7, first 2 shown]
	v_cmp_gt_u32_e32 vcc_lo, 13, v148
	s_clause 0x1
	global_load_b128 v[151:154], v[17:18], off offset:1024
	global_load_b128 v[155:158], v[17:18], off offset:1280
	s_ashr_i32 s13, s9, 4
	s_cmp_lt_i32 s9, s30
	v_cndmask_b32_e32 v21, v21, v148, vcc_lo
	s_cselect_b32 s22, s13, s3
	s_delay_alu instid0(SALU_CYCLE_1) | instskip(NEXT) | instid1(VALU_DEP_1)
	s_ashr_i32 s23, s22, 31
	v_lshlrev_b32_e32 v197, 6, v21
	ds_load_b128 v[159:162], v197
	ds_load_b128 v[163:166], v197 offset:1024
	s_clause 0x3
	global_load_b128 v[167:170], v[19:20], off offset:1536
	global_load_b128 v[171:174], v[19:20], off offset:1792
	;; [unrolled: 1-line block ×4, first 2 shown]
	s_lshl_b64 s[22:23], s[22:23], 2
	s_delay_alu instid0(SALU_CYCLE_1) | instskip(SKIP_2) | instid1(SALU_CYCLE_1)
	s_add_u32 s22, s4, s22
	s_addc_u32 s23, s36, s23
	s_or_b32 s9, s33, 0x70
	s_ashr_i32 s13, s9, 4
	s_cmp_lt_i32 s9, s30
	s_cselect_b32 s24, s13, s3
	s_delay_alu instid0(SALU_CYCLE_1) | instskip(NEXT) | instid1(SALU_CYCLE_1)
	s_ashr_i32 s25, s24, 31
	s_lshl_b64 s[24:25], s[24:25], 2
	s_delay_alu instid0(SALU_CYCLE_1)
	s_add_u32 s24, s4, s24
	s_addc_u32 s25, s36, s25
	s_or_b32 s9, s33, 0x80
	s_load_b32 s46, s[24:25], 0x0
	s_ashr_i32 s13, s9, 4
	s_cmp_lt_i32 s9, s30
	s_cselect_b32 s26, s13, s3
	s_delay_alu instid0(SALU_CYCLE_1) | instskip(NEXT) | instid1(SALU_CYCLE_1)
	s_ashr_i32 s27, s26, 31
	s_lshl_b64 s[26:27], s[26:27], 2
	s_delay_alu instid0(SALU_CYCLE_1)
	s_add_u32 s26, s4, s26
	s_addc_u32 s27, s36, s27
	s_or_b32 s9, s33, 0x90
	s_load_b32 s47, s[26:27], 0x0
	s_ashr_i32 s13, s9, 4
	s_cmp_lt_i32 s9, s30
	s_cselect_b32 s28, s13, s3
	s_delay_alu instid0(SALU_CYCLE_1) | instskip(NEXT) | instid1(SALU_CYCLE_1)
	s_ashr_i32 s29, s28, 31
	s_lshl_b64 s[28:29], s[28:29], 2
	s_delay_alu instid0(SALU_CYCLE_1) | instskip(SKIP_2) | instid1(SALU_CYCLE_1)
	s_add_u32 s28, s4, s28
	s_addc_u32 s29, s36, s29
	s_or_b32 s9, s33, 0xa0
	s_ashr_i32 s13, s9, 4
	s_cmp_lt_i32 s9, s30
	s_cselect_b32 s38, s13, s3
	s_delay_alu instid0(SALU_CYCLE_1) | instskip(NEXT) | instid1(SALU_CYCLE_1)
	s_ashr_i32 s39, s38, 31
	s_lshl_b64 s[38:39], s[38:39], 2
	s_delay_alu instid0(SALU_CYCLE_1)
	s_add_u32 s38, s4, s38
	s_addc_u32 s39, s36, s39
	s_or_b32 s9, s33, 0xb0
	s_load_b32 s39, s[38:39], 0x0
	s_ashr_i32 s13, s9, 4
	s_cmp_lt_i32 s9, s30
	s_mul_hi_i32 s9, s8, s5
	s_cselect_b32 s40, s13, s3
	s_mul_i32 s8, s8, s5
	s_ashr_i32 s41, s40, 31
	s_mul_hi_i32 s13, s12, s5
	s_lshl_b64 s[40:41], s[40:41], 2
	s_mul_i32 s12, s12, s5
	s_add_u32 s42, s4, s40
	s_addc_u32 s43, s36, s41
	s_or_b32 s19, s33, 0xc0
	s_delay_alu instid0(SALU_CYCLE_1)
	s_ashr_i32 s21, s19, 4
	s_cmp_lt_i32 s19, s30
	s_mul_hi_i32 s19, s18, s5
	s_cselect_b32 s40, s21, s3
	s_mul_i32 s18, s18, s5
	s_ashr_i32 s41, s40, 31
	s_mul_hi_i32 s21, s20, s5
	s_lshl_b64 s[40:41], s[40:41], 2
	s_mul_i32 s20, s20, s5
	s_add_u32 s44, s4, s40
	s_load_b32 s40, s[28:29], 0x0
	s_addc_u32 s45, s36, s41
	s_or_b32 s37, s33, 0xd0
	s_load_b32 s41, s[22:23], 0x0
	s_ashr_i32 s22, s37, 4
	s_cmp_lt_i32 s37, s30
	s_mul_hi_i32 s23, s15, s5
	s_cselect_b32 s24, s22, s3
	s_mul_i32 s22, s15, s5
	s_ashr_i32 s25, s24, 31
	s_waitcnt lgkmcnt(0)
	s_mul_hi_i32 s27, s46, s5
	s_lshl_b64 s[24:25], s[24:25], 2
	s_mul_i32 s26, s46, s5
	s_add_u32 s24, s4, s24
	s_addc_u32 s25, s36, s25
	s_or_b32 s48, s33, 0xe0
	s_clause 0x2
	s_load_b32 s38, s[42:43], 0x0
	s_load_b32 s37, s[44:45], 0x0
	s_load_b32 s15, s[24:25], 0x0
	s_ashr_i32 s49, s48, 4
	s_cmp_lt_i32 s48, s30
	s_mul_hi_i32 s29, s47, s5
	s_cselect_b32 s42, s49, s3
	s_mul_i32 s28, s47, s5
	s_ashr_i32 s43, s42, 31
	s_mul_hi_i32 s25, s41, s5
	s_lshl_b64 s[42:43], s[42:43], 2
	s_mul_i32 s24, s41, s5
	s_add_u32 s42, s4, s42
	s_addc_u32 s43, s36, s43
	s_or_b32 s46, s33, 0xf0
	s_mul_hi_i32 s41, s40, s5
	s_ashr_i32 s47, s46, 4
	s_cmp_lt_i32 s46, s30
	s_mul_i32 s40, s40, s5
	s_cselect_b32 s46, s47, s3
	s_mul_hi_i32 s45, s39, s5
	s_ashr_i32 s47, s46, 31
	s_mul_i32 s44, s39, s5
	s_lshl_b64 s[46:47], s[46:47], 2
	s_waitcnt lgkmcnt(0)
	s_mul_hi_i32 s39, s38, s5
	s_add_u32 s46, s4, s46
	s_addc_u32 s47, s36, s47
	s_add_u32 s3, s10, s6
	s_addc_u32 s4, s11, s7
	v_add_co_u32 v195, s3, s3, v22
	s_delay_alu instid0(VALU_DEP_1) | instskip(SKIP_2) | instid1(VALU_DEP_2)
	v_add_co_ci_u32_e64 v196, null, s4, 0, s3
	s_lshl_b64 s[6:7], s[8:9], 1
	s_lshl_b64 s[8:9], s[12:13], 1
	v_add_co_u32 v17, vcc_lo, v195, s6
	s_delay_alu instid0(VALU_DEP_2)
	v_add_co_ci_u32_e32 v18, vcc_lo, s7, v196, vcc_lo
	v_add_co_u32 v19, vcc_lo, v195, s8
	s_lshl_b64 s[10:11], s[16:17], 1
	v_add_co_ci_u32_e32 v20, vcc_lo, s9, v196, vcc_lo
	v_add_co_u32 v21, vcc_lo, v195, s10
	s_lshl_b64 s[12:13], s[18:19], 1
	;; [unrolled: 3-line block ×9, first 2 shown]
	s_mul_i32 s38, s38, s5
	v_add_co_ci_u32_e32 v54, vcc_lo, s27, v196, vcc_lo
	v_add_co_u32 v183, vcc_lo, v195, s28
	s_mul_hi_i32 s49, s37, s5
	s_mul_i32 s48, s37, s5
	s_lshl_b64 s[36:37], s[38:39], 1
	v_add_co_ci_u32_e32 v184, vcc_lo, s29, v196, vcc_lo
	v_add_co_u32 v185, vcc_lo, v195, s36
	s_lshl_b64 s[38:39], s[48:49], 1
	s_clause 0x1
	s_load_b32 s3, s[42:43], 0x0
	s_load_b32 s4, s[46:47], 0x0
	v_add_co_ci_u32_e32 v186, vcc_lo, s37, v196, vcc_lo
	v_add_co_u32 v191, vcc_lo, v195, s38
	v_add_co_ci_u32_e32 v192, vcc_lo, s39, v196, vcc_lo
	s_clause 0x17
	global_load_b128 v[121:124], v[17:18], off
	global_load_b128 v[125:128], v[17:18], off offset:16
	global_load_b128 v[113:116], v[19:20], off
	global_load_b128 v[117:120], v[19:20], off offset:16
	;; [unrolled: 2-line block ×12, first 2 shown]
	s_mul_hi_i32 s51, s15, s5
	s_mul_i32 s50, s15, s5
	s_delay_alu instid0(SALU_CYCLE_1) | instskip(NEXT) | instid1(SALU_CYCLE_1)
	s_lshl_b64 s[40:41], s[50:51], 1
	v_add_co_u32 v193, vcc_lo, v195, s40
	v_add_co_ci_u32_e32 v194, vcc_lo, s41, v196, vcc_lo
	s_waitcnt lgkmcnt(0)
	s_mul_hi_i32 s7, s3, s5
	s_mul_i32 s6, s3, s5
	s_mul_hi_i32 s9, s4, s5
	s_lshl_b64 s[6:7], s[6:7], 1
	s_mul_i32 s8, s4, s5
	s_delay_alu instid0(SALU_CYCLE_1)
	s_lshl_b64 s[4:5], s[8:9], 1
	s_waitcnt vmcnt(38)
	v_wmma_f32_16x16x16_bf16 v[183:190], v[1:8], v[159:166], v[137:144]
	s_waitcnt vmcnt(36)
	v_wmma_f32_16x16x16_bf16 v[137:144], v[129:136], v[159:166], v[137:144]
	s_clause 0x1
	global_load_b128 v[1:4], v[191:192], off
	global_load_b128 v[5:8], v[191:192], off offset:16
	ds_load_b128 v[129:132], v197 offset:2048
	ds_load_b128 v[133:136], v197 offset:3072
	;; [unrolled: 1-line block ×4, first 2 shown]
	v_add_co_u32 v191, vcc_lo, v195, s6
	v_add_co_ci_u32_e32 v192, vcc_lo, s7, v196, vcc_lo
	v_add_co_u32 v195, vcc_lo, v195, s4
	v_add_co_ci_u32_e32 v196, vcc_lo, s5, v196, vcc_lo
	s_waitcnt vmcnt(36) lgkmcnt(2)
	v_wmma_f32_16x16x16_bf16 v[183:190], v[33:40], v[129:136], v[183:190]
	s_waitcnt vmcnt(34)
	v_wmma_f32_16x16x16_bf16 v[137:144], v[25:32], v[129:136], v[137:144]
	s_clause 0x3
	global_load_b128 v[25:28], v[193:194], off
	global_load_b128 v[29:32], v[193:194], off offset:16
	global_load_b128 v[33:36], v[191:192], off
	global_load_b128 v[37:40], v[191:192], off offset:16
	v_and_b32_e32 v129, 0xe0, v0
	v_mbcnt_lo_u32_b32 v191, -1, 0
	s_waitcnt vmcnt(36) lgkmcnt(0)
	v_wmma_f32_16x16x16_bf16 v[183:190], v[9:16], v[159:166], v[183:190]
	s_clause 0x1
	global_load_b128 v[9:12], v[195:196], off
	global_load_b128 v[13:16], v[195:196], off offset:16
	s_waitcnt vmcnt(36)
	v_wmma_f32_16x16x16_bf16 v[137:144], v[151:158], v[159:166], v[137:144]
	v_add_nc_u32_e32 v192, s33, v129
	ds_load_b128 v[129:132], v197 offset:6144
	ds_load_b128 v[133:136], v197 offset:7168
	v_xor_b32_e32 v151, 16, v191
	s_waitcnt vmcnt(0) lgkmcnt(0)
	s_barrier
	v_or_b32_e32 v152, v192, v146
	buffer_gl0_inv
	v_cmp_gt_i32_e32 vcc_lo, 32, v151
	v_or_b32_e32 v153, 2, v152
	v_or_b32_e32 v154, 4, v152
	;; [unrolled: 1-line block ×5, first 2 shown]
	v_cmp_gt_i32_e64 s3, s30, v153
	v_cmp_gt_i32_e64 s4, s30, v154
	;; [unrolled: 1-line block ×3, first 2 shown]
	v_or_b32_e32 v158, 12, v152
	v_or_b32_e32 v159, 14, v152
	v_cmp_gt_i32_e64 s6, s30, v156
	v_wmma_f32_16x16x16_bf16 v[183:190], v[167:174], v[129:136], v[183:190]
	v_wmma_f32_16x16x16_bf16 v[137:144], v[175:182], v[129:136], v[137:144]
	v_cndmask_b32_e32 v151, v191, v151, vcc_lo
	v_cmp_gt_i32_e32 vcc_lo, s30, v152
	v_cmp_gt_i32_e64 s7, s30, v157
	v_dual_mul_f32 v135, s35, v184 :: v_dual_mul_f32 v136, s35, v183
	v_dual_mul_f32 v133, s35, v186 :: v_dual_mul_f32 v134, s35, v185
	;; [unrolled: 1-line block ×3, first 2 shown]
	s_delay_alu instid0(VALU_DEP_3) | instskip(NEXT) | instid1(VALU_DEP_4)
	v_cndmask_b32_e32 v136, 0xff7fffff, v136, vcc_lo
	v_cndmask_b32_e64 v135, 0xff7fffff, v135, s3
	v_mul_f32_e32 v132, s35, v187
	v_cndmask_b32_e64 v134, 0xff7fffff, v134, s4
	v_cndmask_b32_e64 v133, 0xff7fffff, v133, s5
	v_or_b32_e32 v160, 16, v152
	v_max3_f32 v135, v136, 0xff7fffff, v135
	v_or_b32_e32 v161, 18, v152
	v_mul_f32_e32 v130, s35, v189
	v_dual_mul_f32 v172, s35, v140 :: v_dual_mul_f32 v129, s35, v190
	v_cndmask_b32_e64 v132, 0xff7fffff, v132, s6
	v_cndmask_b32_e64 v131, 0xff7fffff, v131, s7
	v_max3_f32 v133, v135, v134, v133
	v_cmp_gt_i32_e64 s8, s30, v158
	v_lshlrev_b32_e32 v158, 2, v151
	v_cmp_gt_i32_e64 s9, s30, v159
	v_or_b32_e32 v162, 20, v152
	v_or_b32_e32 v163, 22, v152
	v_mul_f32_e32 v175, s35, v137
	v_cndmask_b32_e64 v130, 0xff7fffff, v130, s8
	v_cndmask_b32_e64 v129, 0xff7fffff, v129, s9
	v_max3_f32 v131, v133, v132, v131
	v_cmp_gt_i32_e64 s10, s30, v160
	v_cmp_gt_i32_e64 s11, s30, v161
	v_or_b32_e32 v164, 24, v152
	v_or_b32_e32 v165, 26, v152
	v_mul_f32_e32 v173, s35, v139
	v_cndmask_b32_e64 v132, 0xff7fffff, v175, s10
	v_cndmask_b32_e64 v133, 0xff7fffff, v174, s11
	v_max3_f32 v129, v131, v130, v129
	v_cmp_gt_i32_e64 s12, s30, v162
	v_cmp_gt_i32_e64 s13, s30, v163
	v_or_b32_e32 v166, 28, v152
	v_or_b32_e32 v167, 30, v152
	v_dual_mul_f32 v170, s35, v142 :: v_dual_mul_f32 v171, s35, v141
	v_cndmask_b32_e64 v130, 0xff7fffff, v173, s12
	v_cndmask_b32_e64 v131, 0xff7fffff, v172, s13
	v_max3_f32 v129, v129, v132, v133
	v_cmp_gt_i32_e64 s15, s30, v164
	v_cmp_gt_i32_e64 s16, s30, v165
	v_dual_mul_f32 v168, s35, v144 :: v_dual_mul_f32 v169, s35, v143
	s_delay_alu instid0(VALU_DEP_4) | instskip(NEXT) | instid1(VALU_DEP_4)
	v_max3_f32 v129, v129, v130, v131
	v_cndmask_b32_e64 v132, 0xff7fffff, v171, s15
	s_delay_alu instid0(VALU_DEP_4) | instskip(SKIP_2) | instid1(VALU_DEP_3)
	v_cndmask_b32_e64 v133, 0xff7fffff, v170, s16
	v_cmp_gt_i32_e64 s17, s30, v166
	v_cmp_gt_i32_e64 s18, s30, v167
	v_max3_f32 v129, v129, v132, v133
	s_delay_alu instid0(VALU_DEP_3) | instskip(NEXT) | instid1(VALU_DEP_3)
	v_cndmask_b32_e64 v130, 0xff7fffff, v169, s17
	v_cndmask_b32_e64 v131, 0xff7fffff, v168, s18
	s_delay_alu instid0(VALU_DEP_1) | instskip(SKIP_3) | instid1(VALU_DEP_1)
	v_max3_f32 v129, v129, v130, v131
	ds_bpermute_b32 v130, v158, v129
	s_waitcnt lgkmcnt(0)
	v_max_f32_e32 v130, v130, v130
	v_max_f32_e32 v129, v129, v130
	s_delay_alu instid0(VALU_DEP_1)
	v_fma_f32 v130, s35, v183, -v129
	v_fma_f32 v132, s35, v185, -v129
	;; [unrolled: 1-line block ×5, first 2 shown]
	v_mul_f32_e32 v130, 0x3fb8aa3b, v130
	v_mul_f32_e32 v132, 0x3fb8aa3b, v132
	;; [unrolled: 1-line block ×3, first 2 shown]
	v_fma_f32 v135, s35, v189, -v129
	s_delay_alu instid0(VALU_DEP_4) | instskip(NEXT) | instid1(VALU_DEP_3)
	v_exp_f32_e32 v130, v130
	v_exp_f32_e32 v132, v132
	s_delay_alu instid0(VALU_DEP_2) | instskip(NEXT) | instid1(TRANS32_DEP_3)
	v_exp_f32_e32 v134, v134
	v_cndmask_b32_e32 v152, 0, v130, vcc_lo
	v_fma_f32 v130, s35, v188, -v129
	s_waitcnt_depctr 0xfff
	v_cndmask_b32_e64 v153, 0, v132, s4
	v_fma_f32 v132, s35, v190, -v129
	v_mul_f32_e32 v131, 0x3fb8aa3b, v131
	v_cndmask_b32_e64 v155, 0, v134, s6
	v_dual_mul_f32 v130, 0x3fb8aa3b, v130 :: v_dual_mul_f32 v133, 0x3fb8aa3b, v133
	s_delay_alu instid0(VALU_DEP_4) | instskip(NEXT) | instid1(VALU_DEP_4)
	v_mul_f32_e32 v132, 0x3fb8aa3b, v132
	v_exp_f32_e32 v131, v131
	v_fma_f32 v134, s35, v138, -v129
	s_delay_alu instid0(VALU_DEP_3) | instskip(SKIP_2) | instid1(VALU_DEP_1)
	v_exp_f32_e32 v130, v130
	v_exp_f32_e32 v133, v133
	;; [unrolled: 1-line block ×3, first 2 shown]
	v_mul_f32_e32 v134, 0x3fb8aa3b, v134
	v_cndmask_b32_e64 v151, 0, v131, s3
	v_add_f32_e32 v131, 0, v152
	s_delay_alu instid0(TRANS32_DEP_3)
	v_cndmask_b32_e64 v156, 0, v130, s7
	s_waitcnt_depctr 0xfff
	v_cndmask_b32_e64 v154, 0, v133, s5
	v_fma_f32 v133, s35, v137, -v129
	v_exp_f32_e32 v134, v134
	v_add_f32_e32 v131, v131, v151
	v_cmp_gt_u32_e64 s3, 16, v150
	s_delay_alu instid0(VALU_DEP_2) | instskip(NEXT) | instid1(VALU_DEP_1)
	v_add_f32_e32 v131, v131, v153
	v_add_f32_e32 v131, v131, v154
	s_delay_alu instid0(VALU_DEP_1) | instskip(SKIP_2) | instid1(VALU_DEP_3)
	v_add_f32_e32 v130, v131, v155
	v_fma_f32 v131, s35, v139, -v129
	v_fma_f32 v139, s35, v144, -v129
	v_dual_add_f32 v130, v130, v156 :: v_dual_mul_f32 v135, 0x3fb8aa3b, v135
	s_delay_alu instid0(VALU_DEP_1)
	v_exp_f32_e32 v135, v135
	s_waitcnt_depctr 0xfff
	v_cndmask_b32_e64 v157, 0, v135, s8
	v_fma_f32 v135, s35, v140, -v129
	v_cndmask_b32_e64 v140, 0, v132, s9
	v_fma_f32 v132, s35, v141, -v129
	s_delay_alu instid0(VALU_DEP_1) | instskip(SKIP_1) | instid1(VALU_DEP_2)
	v_dual_add_f32 v130, v130, v157 :: v_dual_mul_f32 v137, 0x3fb8aa3b, v132
	v_cndmask_b32_e64 v132, 0, v134, s11
	v_dual_add_f32 v130, v130, v140 :: v_dual_mul_f32 v133, 0x3fb8aa3b, v133
	v_mul_f32_e32 v131, 0x3fb8aa3b, v131
	v_fma_f32 v134, s35, v143, -v129
	v_mul_f32_e32 v135, 0x3fb8aa3b, v135
	s_delay_alu instid0(VALU_DEP_4) | instskip(NEXT) | instid1(VALU_DEP_3)
	v_exp_f32_e32 v133, v133
	v_exp_f32_e32 v136, v131
	s_waitcnt_depctr 0xfff
	v_cndmask_b32_e64 v131, 0, v133, s10
	v_fma_f32 v133, s35, v142, -v129
	s_delay_alu instid0(VALU_DEP_2) | instskip(NEXT) | instid1(VALU_DEP_2)
	v_add_f32_e32 v130, v130, v131
	v_mul_f32_e32 v138, 0x3fb8aa3b, v133
	v_cndmask_b32_e64 v133, 0, v136, s12
	v_mul_f32_e32 v136, 0x3fb8aa3b, v134
	v_exp_f32_e32 v135, v135
	v_add_f32_e32 v130, v130, v132
	v_exp_f32_e32 v138, v138
	s_delay_alu instid0(VALU_DEP_2) | instskip(NEXT) | instid1(VALU_DEP_1)
	v_exp_f32_e32 v141, v136
	v_add_f32_e32 v130, v130, v133
	v_exp_f32_e32 v137, v137
	v_cndmask_b32_e64 v134, 0, v135, s13
	s_delay_alu instid0(TRANS32_DEP_3) | instskip(NEXT) | instid1(VALU_DEP_2)
	v_cndmask_b32_e64 v136, 0, v138, s16
	v_add_f32_e32 v130, v130, v134
	s_waitcnt_depctr 0xfff
	v_cndmask_b32_e64 v135, 0, v137, s15
	v_mul_f32_e32 v137, 0x3fb8aa3b, v139
	s_delay_alu instid0(VALU_DEP_2) | instskip(NEXT) | instid1(VALU_DEP_2)
	v_add_f32_e32 v130, v130, v135
	v_exp_f32_e32 v138, v137
	v_cndmask_b32_e64 v137, 0, v141, s17
	s_delay_alu instid0(VALU_DEP_2) | instskip(NEXT) | instid1(VALU_DEP_1)
	v_add_f32_e32 v130, v130, v136
	v_add_f32_e32 v130, v130, v137
	s_waitcnt_depctr 0xfff
	v_cndmask_b32_e64 v138, 0, v138, s18
	s_delay_alu instid0(VALU_DEP_1)
	v_add_f32_e32 v130, v130, v138
	ds_bpermute_b32 v139, v158, v130
	s_and_saveexec_b32 s4, s3
	s_cbranch_execz .LBB434_12
; %bb.11:
	v_mul_u32_u24_e32 v141, 0x44, v149
	s_delay_alu instid0(VALU_DEP_1) | instskip(SKIP_1) | instid1(VALU_DEP_1)
	v_lshl_add_u32 v141, v148, 2, v141
	s_waitcnt lgkmcnt(0)
	v_dual_add_f32 v130, v130, v139 :: v_dual_add_nc_u32 v139, 0x4000, v141
	ds_store_2addr_b32 v139, v129, v130 offset1:136
.LBB434_12:
	s_or_b32 exec_lo, exec_lo, s4
	v_lshlrev_b32_e32 v129, 2, v148
	s_waitcnt lgkmcnt(0)
	s_barrier
	buffer_gl0_inv
	v_cmp_eq_u32_e64 s4, 1, v149
	v_add_nc_u32_e32 v139, 0x4000, v129
	ds_load_2addr_b32 v[141:142], v139 offset1:17
	ds_load_2addr_b32 v[143:144], v139 offset0:34 offset1:51
	ds_load_2addr_b32 v[158:159], v139 offset0:68 offset1:85
	;; [unrolled: 1-line block ×4, first 2 shown]
	s_waitcnt lgkmcnt(4)
	v_max3_f32 v129, v141, 0xff7fffff, v142
	s_waitcnt lgkmcnt(3)
	s_delay_alu instid0(VALU_DEP_1) | instskip(SKIP_1) | instid1(VALU_DEP_1)
	v_max3_f32 v129, v129, v143, v144
	s_waitcnt lgkmcnt(2)
	v_max3_f32 v129, v129, v158, v159
	s_waitcnt lgkmcnt(1)
	s_delay_alu instid0(VALU_DEP_1) | instskip(NEXT) | instid1(VALU_DEP_1)
	v_max3_f32 v129, v129, v160, v161
	v_sub_f32_e32 v158, v158, v129
	s_delay_alu instid0(VALU_DEP_1) | instskip(NEXT) | instid1(VALU_DEP_1)
	v_dual_sub_f32 v150, v142, v129 :: v_dual_mul_f32 v167, 0x3fb8aa3b, v158
	v_dual_sub_f32 v143, v143, v129 :: v_dual_mul_f32 v150, 0x3fb8aa3b, v150
	s_delay_alu instid0(VALU_DEP_1) | instskip(NEXT) | instid1(VALU_DEP_2)
	v_dual_sub_f32 v130, v141, v129 :: v_dual_mul_f32 v165, 0x3fb8aa3b, v143
	v_exp_f32_e32 v150, v150
	s_delay_alu instid0(VALU_DEP_1) | instskip(NEXT) | instid1(VALU_DEP_2)
	v_mul_f32_e32 v130, 0x3fb8aa3b, v130
	v_exp_f32_e32 v165, v165
	s_delay_alu instid0(VALU_DEP_1) | instskip(SKIP_1) | instid1(VALU_DEP_1)
	v_exp_f32_e32 v164, v130
	v_sub_f32_e32 v130, v144, v129
	v_mul_f32_e32 v166, 0x3fb8aa3b, v130
	s_waitcnt lgkmcnt(0)
	s_waitcnt_depctr 0xfff
	v_fma_f32 v130, v164, v162, 0
	v_sub_f32_e32 v162, v159, v129
	s_delay_alu instid0(VALU_DEP_2)
	v_fmac_f32_e32 v130, v150, v163
	ds_load_2addr_b32 v[141:142], v139 offset0:170 offset1:187
	ds_load_2addr_b32 v[143:144], v139 offset0:204 offset1:221
	;; [unrolled: 1-line block ×3, first 2 shown]
	v_sub_f32_e32 v139, v160, v129
	v_exp_f32_e32 v166, v166
	v_mul_f32_e32 v160, 0x3fb8aa3b, v162
	v_exp_f32_e32 v162, v167
	v_cndmask_b32_e64 v150, v164, v150, s4
	v_mul_f32_e32 v139, 0x3fb8aa3b, v139
	v_cmp_eq_u32_e64 s4, 2, v149
	s_waitcnt lgkmcnt(0)
	s_barrier
	buffer_gl0_inv
	v_exp_f32_e32 v139, v139
	v_cndmask_b32_e64 v150, v150, v165, s4
	v_cmp_eq_u32_e64 s4, 3, v149
	v_fmac_f32_e32 v130, v165, v141
	v_sub_f32_e32 v141, v161, v129
	v_exp_f32_e32 v160, v160
	s_delay_alu instid0(VALU_DEP_3) | instskip(SKIP_1) | instid1(VALU_DEP_3)
	v_cndmask_b32_e64 v150, v150, v166, s4
	v_cmp_eq_u32_e64 s4, 4, v149
	v_dual_fmac_f32 v130, v166, v142 :: v_dual_mul_f32 v141, 0x3fb8aa3b, v141
	s_delay_alu instid0(VALU_DEP_2) | instskip(SKIP_1) | instid1(VALU_DEP_3)
	v_cndmask_b32_e64 v150, v150, v162, s4
	v_cmp_eq_u32_e64 s4, 5, v149
	v_exp_f32_e32 v141, v141
	s_delay_alu instid0(VALU_DEP_3)
	v_fmac_f32_e32 v130, v162, v143
	s_delay_alu instid0(TRANS32_DEP_2) | instid1(VALU_DEP_2)
	v_cndmask_b32_e64 v150, v150, v160, s4
	s_delay_alu instid0(VALU_DEP_2) | instskip(NEXT) | instid1(VALU_DEP_1)
	v_fmac_f32_e32 v130, v160, v144
	v_fmac_f32_e32 v130, v139, v158
	s_waitcnt_depctr 0xfff
	v_fmac_f32_e32 v130, v141, v159
	s_delay_alu instid0(VALU_DEP_1) | instskip(NEXT) | instid1(VALU_DEP_1)
	v_add_f32_e32 v142, 0x358637bd, v130
	v_div_scale_f32 v143, null, v142, v142, 1.0
	v_div_scale_f32 v159, vcc_lo, 1.0, v142, 1.0
	s_delay_alu instid0(VALU_DEP_2) | instskip(SKIP_2) | instid1(VALU_DEP_1)
	v_rcp_f32_e32 v144, v143
	s_waitcnt_depctr 0xfff
	v_fma_f32 v158, -v143, v144, 1.0
	v_fmac_f32_e32 v144, v158, v144
	s_delay_alu instid0(VALU_DEP_1) | instskip(NEXT) | instid1(VALU_DEP_1)
	v_mul_f32_e32 v158, v159, v144
	v_fma_f32 v161, -v143, v158, v159
	s_delay_alu instid0(VALU_DEP_1) | instskip(NEXT) | instid1(VALU_DEP_1)
	v_fmac_f32_e32 v158, v161, v144
	v_fma_f32 v143, -v143, v158, v159
	s_delay_alu instid0(VALU_DEP_1) | instskip(SKIP_1) | instid1(VALU_DEP_2)
	v_div_fmas_f32 v143, v143, v144, v158
	v_cmp_eq_u32_e32 vcc_lo, 6, v149
	v_div_fixup_f32 v142, v143, v142, 1.0
	v_cndmask_b32_e32 v139, v150, v139, vcc_lo
	v_cmp_eq_u32_e32 vcc_lo, 7, v149
	s_delay_alu instid0(VALU_DEP_2) | instskip(NEXT) | instid1(VALU_DEP_1)
	v_cndmask_b32_e32 v139, v139, v141, vcc_lo
	v_mul_f32_e32 v139, v139, v142
	s_delay_alu instid0(VALU_DEP_1) | instskip(SKIP_4) | instid1(VALU_DEP_4)
	v_mul_f32_e32 v153, v139, v153
	v_mul_f32_e32 v142, v139, v152
	v_mul_f32_e32 v140, v139, v140
	v_mul_f32_e32 v143, v139, v157
	v_mul_f32_e32 v150, v139, v156
	v_dual_mul_f32 v152, v139, v155 :: v_dual_and_b32 v141, 0x7f800000, v142
	v_mul_f32_e32 v154, v139, v154
	v_mul_f32_e32 v144, v139, v151
	s_delay_alu instid0(VALU_DEP_3) | instskip(SKIP_1) | instid1(SALU_CYCLE_1)
	v_cmp_ne_u32_e32 vcc_lo, 0x7f800000, v141
                                        ; implicit-def: $vgpr141
	s_and_saveexec_b32 s4, vcc_lo
	s_xor_b32 s4, exec_lo, s4
; %bb.13:
	v_bfe_u32 v141, v142, 16, 1
	s_delay_alu instid0(VALU_DEP_1)
	v_add3_u32 v141, v142, v141, 0x7fff
                                        ; implicit-def: $vgpr142
; %bb.14:
	s_and_not1_saveexec_b32 s4, s4
; %bb.15:
	v_and_b32_e32 v141, 0xffff, v142
	v_or_b32_e32 v151, 0x10000, v142
	s_delay_alu instid0(VALU_DEP_2) | instskip(NEXT) | instid1(VALU_DEP_2)
	v_cmp_eq_u32_e32 vcc_lo, 0, v141
	v_cndmask_b32_e32 v141, v151, v142, vcc_lo
; %bb.16:
	s_or_b32 exec_lo, exec_lo, s4
	v_and_b32_e32 v142, 0x7f800000, v144
	s_delay_alu instid0(VALU_DEP_1) | instskip(SKIP_1) | instid1(SALU_CYCLE_1)
	v_cmp_ne_u32_e32 vcc_lo, 0x7f800000, v142
                                        ; implicit-def: $vgpr142
	s_and_saveexec_b32 s4, vcc_lo
	s_xor_b32 s4, exec_lo, s4
; %bb.17:
	v_bfe_u32 v142, v144, 16, 1
	s_delay_alu instid0(VALU_DEP_1)
	v_add3_u32 v142, v144, v142, 0x7fff
                                        ; implicit-def: $vgpr144
; %bb.18:
	s_and_not1_saveexec_b32 s4, s4
; %bb.19:
	v_and_b32_e32 v142, 0xffff, v144
	v_or_b32_e32 v151, 0x10000, v144
	s_delay_alu instid0(VALU_DEP_2) | instskip(NEXT) | instid1(VALU_DEP_2)
	v_cmp_eq_u32_e32 vcc_lo, 0, v142
	v_cndmask_b32_e32 v142, v151, v144, vcc_lo
; %bb.20:
	s_or_b32 exec_lo, exec_lo, s4
	v_and_b32_e32 v144, 0x7f800000, v153
	s_delay_alu instid0(VALU_DEP_1) | instskip(SKIP_1) | instid1(SALU_CYCLE_1)
	v_cmp_ne_u32_e32 vcc_lo, 0x7f800000, v144
                                        ; implicit-def: $vgpr144
	s_and_saveexec_b32 s4, vcc_lo
	s_xor_b32 s4, exec_lo, s4
; %bb.21:
	v_bfe_u32 v144, v153, 16, 1
	s_delay_alu instid0(VALU_DEP_1)
	v_add3_u32 v144, v153, v144, 0x7fff
                                        ; implicit-def: $vgpr153
; %bb.22:
	s_and_not1_saveexec_b32 s4, s4
; %bb.23:
	v_and_b32_e32 v144, 0xffff, v153
	v_or_b32_e32 v151, 0x10000, v153
	s_delay_alu instid0(VALU_DEP_2) | instskip(NEXT) | instid1(VALU_DEP_2)
	v_cmp_eq_u32_e32 vcc_lo, 0, v144
	v_cndmask_b32_e32 v144, v151, v153, vcc_lo
; %bb.24:
	s_or_b32 exec_lo, exec_lo, s4
	v_and_b32_e32 v151, 0x7f800000, v154
	s_delay_alu instid0(VALU_DEP_1) | instskip(SKIP_1) | instid1(SALU_CYCLE_1)
	v_cmp_ne_u32_e32 vcc_lo, 0x7f800000, v151
                                        ; implicit-def: $vgpr151
	s_and_saveexec_b32 s4, vcc_lo
	s_xor_b32 s4, exec_lo, s4
; %bb.25:
	v_bfe_u32 v151, v154, 16, 1
	s_delay_alu instid0(VALU_DEP_1)
	v_add3_u32 v151, v154, v151, 0x7fff
                                        ; implicit-def: $vgpr154
; %bb.26:
	s_and_not1_saveexec_b32 s4, s4
; %bb.27:
	v_and_b32_e32 v151, 0xffff, v154
	v_or_b32_e32 v153, 0x10000, v154
	s_delay_alu instid0(VALU_DEP_2) | instskip(NEXT) | instid1(VALU_DEP_2)
	v_cmp_eq_u32_e32 vcc_lo, 0, v151
	v_cndmask_b32_e32 v151, v153, v154, vcc_lo
; %bb.28:
	s_or_b32 exec_lo, exec_lo, s4
	v_and_b32_e32 v153, 0x7f800000, v152
	s_delay_alu instid0(VALU_DEP_1) | instskip(SKIP_1) | instid1(SALU_CYCLE_1)
	v_cmp_ne_u32_e32 vcc_lo, 0x7f800000, v153
                                        ; implicit-def: $vgpr153
	s_and_saveexec_b32 s4, vcc_lo
	s_xor_b32 s4, exec_lo, s4
; %bb.29:
	v_bfe_u32 v153, v152, 16, 1
	s_delay_alu instid0(VALU_DEP_1)
	v_add3_u32 v153, v152, v153, 0x7fff
                                        ; implicit-def: $vgpr152
; %bb.30:
	s_and_not1_saveexec_b32 s4, s4
; %bb.31:
	v_and_b32_e32 v153, 0xffff, v152
	v_or_b32_e32 v154, 0x10000, v152
	s_delay_alu instid0(VALU_DEP_2) | instskip(NEXT) | instid1(VALU_DEP_2)
	v_cmp_eq_u32_e32 vcc_lo, 0, v153
	v_cndmask_b32_e32 v153, v154, v152, vcc_lo
; %bb.32:
	s_or_b32 exec_lo, exec_lo, s4
	v_and_b32_e32 v152, 0x7f800000, v150
	s_delay_alu instid0(VALU_DEP_1) | instskip(SKIP_1) | instid1(SALU_CYCLE_1)
	v_cmp_ne_u32_e32 vcc_lo, 0x7f800000, v152
                                        ; implicit-def: $vgpr152
	s_and_saveexec_b32 s4, vcc_lo
	s_xor_b32 s4, exec_lo, s4
; %bb.33:
	v_bfe_u32 v152, v150, 16, 1
	s_delay_alu instid0(VALU_DEP_1)
	v_add3_u32 v152, v150, v152, 0x7fff
                                        ; implicit-def: $vgpr150
; %bb.34:
	s_and_not1_saveexec_b32 s4, s4
; %bb.35:
	v_and_b32_e32 v152, 0xffff, v150
	v_or_b32_e32 v154, 0x10000, v150
	s_delay_alu instid0(VALU_DEP_2) | instskip(NEXT) | instid1(VALU_DEP_2)
	v_cmp_eq_u32_e32 vcc_lo, 0, v152
	v_cndmask_b32_e32 v152, v154, v150, vcc_lo
; %bb.36:
	s_or_b32 exec_lo, exec_lo, s4
	v_and_b32_e32 v150, 0x7f800000, v143
	s_delay_alu instid0(VALU_DEP_1) | instskip(SKIP_1) | instid1(SALU_CYCLE_1)
	v_cmp_ne_u32_e32 vcc_lo, 0x7f800000, v150
                                        ; implicit-def: $vgpr150
	s_and_saveexec_b32 s4, vcc_lo
	s_xor_b32 s4, exec_lo, s4
; %bb.37:
	v_bfe_u32 v150, v143, 16, 1
	s_delay_alu instid0(VALU_DEP_1)
	v_add3_u32 v150, v143, v150, 0x7fff
                                        ; implicit-def: $vgpr143
; %bb.38:
	s_and_not1_saveexec_b32 s4, s4
; %bb.39:
	v_and_b32_e32 v150, 0xffff, v143
	v_or_b32_e32 v154, 0x10000, v143
	s_delay_alu instid0(VALU_DEP_2) | instskip(NEXT) | instid1(VALU_DEP_2)
	v_cmp_eq_u32_e32 vcc_lo, 0, v150
	v_cndmask_b32_e32 v150, v154, v143, vcc_lo
; %bb.40:
	s_or_b32 exec_lo, exec_lo, s4
	v_and_b32_e32 v143, 0x7f800000, v140
	s_delay_alu instid0(VALU_DEP_1) | instskip(SKIP_1) | instid1(SALU_CYCLE_1)
	v_cmp_ne_u32_e32 vcc_lo, 0x7f800000, v143
                                        ; implicit-def: $vgpr143
	s_and_saveexec_b32 s4, vcc_lo
	s_xor_b32 s4, exec_lo, s4
; %bb.41:
	v_bfe_u32 v143, v140, 16, 1
	s_delay_alu instid0(VALU_DEP_1)
	v_add3_u32 v143, v140, v143, 0x7fff
                                        ; implicit-def: $vgpr140
; %bb.42:
	s_and_not1_saveexec_b32 s4, s4
; %bb.43:
	v_and_b32_e32 v143, 0xffff, v140
	v_or_b32_e32 v154, 0x10000, v140
	s_delay_alu instid0(VALU_DEP_2) | instskip(NEXT) | instid1(VALU_DEP_2)
	v_cmp_eq_u32_e32 vcc_lo, 0, v143
	v_cndmask_b32_e32 v143, v154, v140, vcc_lo
; %bb.44:
	s_or_b32 exec_lo, exec_lo, s4
	s_load_b64 s[36:37], s[0:1], 0x94
	v_dual_mul_f32 v136, v139, v136 :: v_dual_lshlrev_b32 v155, 4, v146
	s_delay_alu instid0(VALU_DEP_2)
	v_perm_b32 v154, v143, v150, 0x7060302
	v_dual_mul_f32 v143, v139, v131 :: v_dual_lshlrev_b32 v140, 6, v148
	v_dual_mul_f32 v135, v139, v135 :: v_dual_lshlrev_b32 v150, 11, v149
	v_perm_b32 v153, v152, v153, 0x7060302
	v_perm_b32 v152, v151, v144, 0x7060302
	;; [unrolled: 1-line block ×3, first 2 shown]
	s_delay_alu instid0(VALU_DEP_4)
	v_or3_b32 v131, v155, v150, v140
	v_mul_f32_e32 v138, v139, v138
	v_dual_mul_f32 v137, v139, v137 :: v_dual_and_b32 v144, 0x7f800000, v143
	v_mul_f32_e32 v141, v139, v134
	v_mul_f32_e32 v142, v139, v133
	;; [unrolled: 1-line block ×3, first 2 shown]
	s_mov_b32 s4, exec_lo
	ds_store_b128 v131, v[151:154]
                                        ; implicit-def: $vgpr132
	v_cmpx_ne_u32_e32 0x7f800000, v144
	s_xor_b32 s4, exec_lo, s4
; %bb.45:
	v_bfe_u32 v132, v143, 16, 1
	s_delay_alu instid0(VALU_DEP_1)
	v_add3_u32 v132, v143, v132, 0x7fff
                                        ; implicit-def: $vgpr143
; %bb.46:
	s_and_not1_saveexec_b32 s4, s4
; %bb.47:
	v_and_b32_e32 v132, 0xffff, v143
	v_or_b32_e32 v133, 0x10000, v143
	s_delay_alu instid0(VALU_DEP_2) | instskip(NEXT) | instid1(VALU_DEP_2)
	v_cmp_eq_u32_e32 vcc_lo, 0, v132
	v_cndmask_b32_e32 v132, v133, v143, vcc_lo
; %bb.48:
	s_or_b32 exec_lo, exec_lo, s4
	v_and_b32_e32 v133, 0x7f800000, v134
	s_delay_alu instid0(VALU_DEP_1) | instskip(SKIP_1) | instid1(SALU_CYCLE_1)
	v_cmp_ne_u32_e32 vcc_lo, 0x7f800000, v133
                                        ; implicit-def: $vgpr133
	s_and_saveexec_b32 s4, vcc_lo
	s_xor_b32 s4, exec_lo, s4
; %bb.49:
	v_bfe_u32 v133, v134, 16, 1
	s_delay_alu instid0(VALU_DEP_1)
	v_add3_u32 v133, v134, v133, 0x7fff
                                        ; implicit-def: $vgpr134
; %bb.50:
	s_and_not1_saveexec_b32 s4, s4
; %bb.51:
	v_and_b32_e32 v133, 0xffff, v134
	v_or_b32_e32 v139, 0x10000, v134
	s_delay_alu instid0(VALU_DEP_2) | instskip(NEXT) | instid1(VALU_DEP_2)
	v_cmp_eq_u32_e32 vcc_lo, 0, v133
	v_cndmask_b32_e32 v133, v139, v134, vcc_lo
; %bb.52:
	s_or_b32 exec_lo, exec_lo, s4
	v_and_b32_e32 v134, 0x7f800000, v142
	s_delay_alu instid0(VALU_DEP_1) | instskip(SKIP_1) | instid1(SALU_CYCLE_1)
	v_cmp_ne_u32_e32 vcc_lo, 0x7f800000, v134
                                        ; implicit-def: $vgpr134
	s_and_saveexec_b32 s4, vcc_lo
	s_xor_b32 s4, exec_lo, s4
; %bb.53:
	v_bfe_u32 v134, v142, 16, 1
	s_delay_alu instid0(VALU_DEP_1)
	v_add3_u32 v134, v142, v134, 0x7fff
                                        ; implicit-def: $vgpr142
; %bb.54:
	s_and_not1_saveexec_b32 s4, s4
; %bb.55:
	v_and_b32_e32 v134, 0xffff, v142
	v_or_b32_e32 v139, 0x10000, v142
	s_delay_alu instid0(VALU_DEP_2) | instskip(NEXT) | instid1(VALU_DEP_2)
	v_cmp_eq_u32_e32 vcc_lo, 0, v134
	v_cndmask_b32_e32 v134, v139, v142, vcc_lo
; %bb.56:
	s_or_b32 exec_lo, exec_lo, s4
	v_and_b32_e32 v139, 0x7f800000, v141
	s_delay_alu instid0(VALU_DEP_1) | instskip(SKIP_1) | instid1(SALU_CYCLE_1)
	v_cmp_ne_u32_e32 vcc_lo, 0x7f800000, v139
                                        ; implicit-def: $vgpr139
	s_and_saveexec_b32 s4, vcc_lo
	s_xor_b32 s4, exec_lo, s4
; %bb.57:
	v_bfe_u32 v139, v141, 16, 1
	s_delay_alu instid0(VALU_DEP_1)
	v_add3_u32 v139, v141, v139, 0x7fff
                                        ; implicit-def: $vgpr141
; %bb.58:
	s_and_not1_saveexec_b32 s4, s4
; %bb.59:
	v_and_b32_e32 v139, 0xffff, v141
	v_or_b32_e32 v142, 0x10000, v141
	s_delay_alu instid0(VALU_DEP_2) | instskip(NEXT) | instid1(VALU_DEP_2)
	v_cmp_eq_u32_e32 vcc_lo, 0, v139
	v_cndmask_b32_e32 v139, v142, v141, vcc_lo
; %bb.60:
	s_or_b32 exec_lo, exec_lo, s4
	v_and_b32_e32 v141, 0x7f800000, v135
	s_delay_alu instid0(VALU_DEP_1) | instskip(SKIP_1) | instid1(SALU_CYCLE_1)
	v_cmp_ne_u32_e32 vcc_lo, 0x7f800000, v141
                                        ; implicit-def: $vgpr141
	s_and_saveexec_b32 s4, vcc_lo
	s_xor_b32 s4, exec_lo, s4
; %bb.61:
	v_bfe_u32 v141, v135, 16, 1
	s_delay_alu instid0(VALU_DEP_1)
	v_add3_u32 v141, v135, v141, 0x7fff
                                        ; implicit-def: $vgpr135
; %bb.62:
	s_and_not1_saveexec_b32 s4, s4
; %bb.63:
	v_and_b32_e32 v141, 0xffff, v135
	v_or_b32_e32 v142, 0x10000, v135
	s_delay_alu instid0(VALU_DEP_2) | instskip(NEXT) | instid1(VALU_DEP_2)
	v_cmp_eq_u32_e32 vcc_lo, 0, v141
	v_cndmask_b32_e32 v141, v142, v135, vcc_lo
; %bb.64:
	s_or_b32 exec_lo, exec_lo, s4
	v_and_b32_e32 v135, 0x7f800000, v136
	s_delay_alu instid0(VALU_DEP_1) | instskip(SKIP_1) | instid1(SALU_CYCLE_1)
	v_cmp_ne_u32_e32 vcc_lo, 0x7f800000, v135
                                        ; implicit-def: $vgpr135
	s_and_saveexec_b32 s4, vcc_lo
	s_xor_b32 s4, exec_lo, s4
; %bb.65:
	v_bfe_u32 v135, v136, 16, 1
	s_delay_alu instid0(VALU_DEP_1)
	v_add3_u32 v135, v136, v135, 0x7fff
                                        ; implicit-def: $vgpr136
; %bb.66:
	s_and_not1_saveexec_b32 s4, s4
; %bb.67:
	v_and_b32_e32 v135, 0xffff, v136
	v_or_b32_e32 v142, 0x10000, v136
	s_delay_alu instid0(VALU_DEP_2) | instskip(NEXT) | instid1(VALU_DEP_2)
	v_cmp_eq_u32_e32 vcc_lo, 0, v135
	v_cndmask_b32_e32 v135, v142, v136, vcc_lo
; %bb.68:
	s_or_b32 exec_lo, exec_lo, s4
	v_and_b32_e32 v136, 0x7f800000, v137
	s_delay_alu instid0(VALU_DEP_1) | instskip(SKIP_1) | instid1(SALU_CYCLE_1)
	v_cmp_ne_u32_e32 vcc_lo, 0x7f800000, v136
                                        ; implicit-def: $vgpr136
	s_and_saveexec_b32 s4, vcc_lo
	s_xor_b32 s4, exec_lo, s4
; %bb.69:
	v_bfe_u32 v136, v137, 16, 1
	s_delay_alu instid0(VALU_DEP_1)
	v_add3_u32 v136, v137, v136, 0x7fff
                                        ; implicit-def: $vgpr137
; %bb.70:
	s_and_not1_saveexec_b32 s4, s4
; %bb.71:
	v_and_b32_e32 v136, 0xffff, v137
	v_or_b32_e32 v142, 0x10000, v137
	s_delay_alu instid0(VALU_DEP_2) | instskip(NEXT) | instid1(VALU_DEP_2)
	v_cmp_eq_u32_e32 vcc_lo, 0, v136
	v_cndmask_b32_e32 v136, v142, v137, vcc_lo
; %bb.72:
	s_or_b32 exec_lo, exec_lo, s4
	v_and_b32_e32 v137, 0x7f800000, v138
	s_delay_alu instid0(VALU_DEP_1) | instskip(SKIP_1) | instid1(SALU_CYCLE_1)
	v_cmp_ne_u32_e32 vcc_lo, 0x7f800000, v137
                                        ; implicit-def: $vgpr137
	s_and_saveexec_b32 s4, vcc_lo
	s_xor_b32 s4, exec_lo, s4
; %bb.73:
	v_bfe_u32 v137, v138, 16, 1
	s_delay_alu instid0(VALU_DEP_1)
	v_add3_u32 v137, v138, v137, 0x7fff
                                        ; implicit-def: $vgpr138
; %bb.74:
	s_and_not1_saveexec_b32 s4, s4
; %bb.75:
	v_and_b32_e32 v137, 0xffff, v138
	v_or_b32_e32 v142, 0x10000, v138
	s_delay_alu instid0(VALU_DEP_2) | instskip(NEXT) | instid1(VALU_DEP_2)
	v_cmp_eq_u32_e32 vcc_lo, 0, v137
	v_cndmask_b32_e32 v137, v142, v138, vcc_lo
; %bb.76:
	s_or_b32 exec_lo, exec_lo, s4
	s_delay_alu instid0(VALU_DEP_1)
	v_perm_b32 v136, v137, v136, 0x7060302
	v_perm_b32 v135, v135, v141, 0x7060302
	;; [unrolled: 1-line block ×4, first 2 shown]
	v_lshl_or_b32 v141, v149, 11, v140
	ds_store_b128 v131, v[133:136] offset:1024
	s_waitcnt lgkmcnt(0)
	s_barrier
	buffer_gl0_inv
	ds_load_b128 v[132:135], v141
	ds_load_b128 v[149:152], v141 offset:16
	s_waitcnt lgkmcnt(1)
	v_lshrrev_b32_e32 v136, 16, v132
	s_waitcnt lgkmcnt(0)
	v_lshrrev_b32_e32 v164, 16, v151
	v_lshlrev_b32_e32 v138, 2, v146
	v_lshrrev_b32_e32 v143, 16, v149
	v_lshrrev_b32_e32 v162, 16, v150
	;; [unrolled: 1-line block ×4, first 2 shown]
	v_or_b32_e32 v139, 1, v138
	v_lshrrev_b32_e32 v165, 16, v152
	v_lshrrev_b32_e32 v163, 16, v135
	s_delay_alu instid0(VALU_DEP_3)
	v_cmp_eq_u32_e64 s8, 1, v139
	v_cmp_eq_u32_e64 s7, 2, v139
	;; [unrolled: 1-line block ×4, first 2 shown]
	v_cmp_eq_u32_e32 vcc_lo, 5, v139
	v_cndmask_b32_e64 v155, v149, v143, s8
	v_cndmask_b32_e64 v154, v132, v136, s8
	v_cmp_eq_u32_e64 s5, 6, v139
	v_cmp_eq_u32_e64 s20, 7, v139
	s_delay_alu instid0(VALU_DEP_4) | instskip(NEXT) | instid1(VALU_DEP_4)
	v_cndmask_b32_e64 v155, v155, v150, s7
	v_cndmask_b32_e64 v154, v154, v133, s7
	s_delay_alu instid0(VALU_DEP_2) | instskip(NEXT) | instid1(VALU_DEP_2)
	v_cndmask_b32_e64 v155, v155, v162, s6
	v_cndmask_b32_e64 v154, v154, v144, s6
	s_delay_alu instid0(VALU_DEP_2) | instskip(NEXT) | instid1(VALU_DEP_2)
	v_cndmask_b32_e64 v155, v155, v151, s4
	v_cndmask_b32_e64 v154, v154, v134, s4
	s_delay_alu instid0(VALU_DEP_2)
	v_cndmask_b32_e32 v157, v155, v164, vcc_lo
	v_cmp_eq_u32_e64 s13, 1, v138
	v_cmp_eq_u32_e64 s12, 2, v138
	;; [unrolled: 1-line block ×3, first 2 shown]
	v_or_b32_e32 v137, 2, v138
	v_cmp_eq_u32_e64 s18, 4, v138
	v_cndmask_b32_e64 v153, v149, v143, s13
	v_cndmask_b32_e64 v142, v132, v136, s13
	v_cmp_eq_u32_e64 s15, 5, v138
	v_cmp_eq_u32_e64 s9, 1, v137
	;; [unrolled: 1-line block ×3, first 2 shown]
	v_cndmask_b32_e64 v153, v153, v150, s12
	v_cndmask_b32_e64 v142, v142, v133, s12
	v_cmp_eq_u32_e64 s11, 2, v137
	v_cndmask_b32_e64 v156, v132, v136, s9
	v_cndmask_b32_e32 v154, v154, v161, vcc_lo
	v_cndmask_b32_e64 v153, v153, v162, s17
	v_cndmask_b32_e64 v142, v142, v144, s17
	v_cmp_eq_u32_e64 s10, 7, v138
	v_cndmask_b32_e64 v156, v156, v133, s11
	v_cmp_eq_u32_e64 s19, 3, v137
	v_cndmask_b32_e64 v153, v153, v151, s18
	v_cndmask_b32_e64 v142, v142, v134, s18
	;; [unrolled: 1-line block ×3, first 2 shown]
	v_cmp_eq_u32_e64 s21, 4, v137
	v_cndmask_b32_e64 v156, v156, v144, s19
	v_cndmask_b32_e64 v153, v153, v164, s15
	;; [unrolled: 1-line block ×4, first 2 shown]
	v_cmp_eq_u32_e64 s23, 5, v137
	v_cndmask_b32_e64 v159, v156, v134, s21
	v_cndmask_b32_e64 v153, v153, v152, s16
	;; [unrolled: 1-line block ×3, first 2 shown]
	v_cmp_eq_u32_e64 s26, 6, v137
	v_cmp_eq_u32_e64 s28, 7, v137
	v_cndmask_b32_e64 v169, v159, v161, s23
	v_cndmask_b32_e64 v167, v153, v165, s10
	;; [unrolled: 1-line block ×4, first 2 shown]
	v_or_b32_e32 v142, 3, v138
	s_delay_alu instid0(VALU_DEP_3)
	v_cndmask_b32_e64 v158, v153, v150, s11
	ds_load_b128 v[153:156], v141 offset:1024
	v_cmp_eq_u32_e64 s22, 1, v142
	v_cmp_eq_u32_e64 s24, 2, v142
	;; [unrolled: 1-line block ×3, first 2 shown]
	v_cndmask_b32_e64 v158, v158, v162, s19
	v_cmp_eq_u32_e64 s27, 4, v142
	v_cndmask_b32_e64 v132, v132, v136, s22
	v_cndmask_b32_e64 v136, v157, v152, s5
	;; [unrolled: 1-line block ×4, first 2 shown]
	ds_load_b128 v[157:160], v141 offset:1040
	v_cndmask_b32_e64 v132, v132, v133, s24
	v_cmp_eq_u32_e64 s29, 5, v142
	v_cndmask_b32_e64 v143, v143, v150, s24
	v_cmp_eq_u32_e64 s30, 6, v142
	v_cndmask_b32_e64 v133, v170, v164, s23
	v_cndmask_b32_e64 v132, v132, v144, s25
	;; [unrolled: 1-line block ×5, first 2 shown]
	s_waitcnt lgkmcnt(1)
	v_lshrrev_b32_e32 v149, 16, v153
	v_cndmask_b32_e64 v132, v132, v134, s27
	v_cndmask_b32_e64 v133, v133, v152, s26
	;; [unrolled: 1-line block ×3, first 2 shown]
	v_lshrrev_b32_e32 v151, 16, v154
	v_cndmask_b32_e64 v143, v153, v149, s13
	v_cndmask_b32_e64 v132, v132, v161, s29
	v_cndmask_b32_e64 v161, v153, v149, s8
	v_cndmask_b32_e64 v134, v134, v164, s29
	v_cndmask_b32_e64 v144, v144, v163, s28
	s_waitcnt lgkmcnt(0)
	v_lshrrev_b32_e32 v150, 16, v157
	v_cndmask_b32_e64 v143, v143, v154, s12
	v_cndmask_b32_e64 v132, v132, v135, s30
	;; [unrolled: 1-line block ×3, first 2 shown]
	v_lshrrev_b32_e32 v164, 16, v159
	v_cndmask_b32_e64 v162, v157, v150, s13
	v_cndmask_b32_e64 v135, v143, v151, s17
	;; [unrolled: 1-line block ×3, first 2 shown]
	v_lshrrev_b32_e32 v161, 16, v158
	v_cndmask_b32_e64 v133, v133, v165, s28
	v_cndmask_b32_e64 v152, v162, v158, s12
	v_cmp_eq_u32_e64 s12, 7, v142
	v_cndmask_b32_e64 v143, v143, v151, s6
	v_cndmask_b32_e64 v135, v135, v155, s18
	v_lshrrev_b32_e32 v162, 16, v155
	v_cndmask_b32_e64 v152, v152, v161, s17
	v_cndmask_b32_e64 v132, v132, v163, s12
	;; [unrolled: 1-line block ×6, first 2 shown]
	s_delay_alu instid0(VALU_DEP_4) | instskip(NEXT) | instid1(VALU_DEP_4)
	v_perm_b32 v135, v134, v132, 0x5040100
	v_cndmask_b32_e32 v132, v143, v162, vcc_lo
	s_delay_alu instid0(VALU_DEP_4)
	v_cndmask_b32_e64 v143, v163, v156, s16
	v_lshrrev_b32_e32 v163, 16, v156
	v_cndmask_b32_e64 v152, v152, v164, s15
	v_perm_b32 v134, v133, v144, 0x5040100
	v_cndmask_b32_e64 v132, v132, v156, s5
	v_perm_b32 v133, v136, v168, 0x5040100
	v_cndmask_b32_e64 v136, v143, v163, s10
	v_cndmask_b32_e64 v143, v152, v160, s16
	;; [unrolled: 1-line block ×13, first 2 shown]
	v_lshrrev_b32_e32 v144, 16, v160
	v_cndmask_b32_e64 v132, v132, v151, s19
	v_cndmask_b32_e64 v149, v149, v151, s25
	;; [unrolled: 1-line block ×14, first 2 shown]
	v_cndmask_b32_e32 v150, v150, v164, vcc_lo
	v_cndmask_b32_e64 v132, v132, v156, s26
	v_cndmask_b32_e64 v149, v149, v156, s30
	;; [unrolled: 1-line block ×11, first 2 shown]
	v_perm_b32 v132, v167, v166, 0x5040100
	v_perm_b32 v152, v151, v149, 0x5040100
	;; [unrolled: 1-line block ×5, first 2 shown]
	s_mul_i32 s9, s37, 13
	s_mov_b32 s4, exec_lo
	ds_store_b128 v131, v[132:135]
	ds_store_b128 v131, v[149:152] offset:1024
	v_cmpx_gt_u32_e32 13, v0
	s_cbranch_execz .LBB434_78
; %bb.77:
	s_mul_i32 s5, s9, s34
	s_load_b128 s[16:19], s[0:1], 0x58
	v_add3_u32 v133, s5, s31, v148
	s_delay_alu instid0(VALU_DEP_1) | instskip(NEXT) | instid1(VALU_DEP_1)
	v_mad_u64_u32 v[131:132], null, v133, s36, s[14:15]
	v_ashrrev_i32_e32 v132, 31, v131
	s_delay_alu instid0(VALU_DEP_1) | instskip(SKIP_1) | instid1(VALU_DEP_1)
	v_lshlrev_b64 v[131:132], 2, v[131:132]
	s_waitcnt lgkmcnt(0)
	v_add_co_u32 v133, vcc_lo, s18, v131
	s_delay_alu instid0(VALU_DEP_2)
	v_add_co_ci_u32_e32 v134, vcc_lo, s19, v132, vcc_lo
	v_add_co_u32 v131, vcc_lo, s16, v131
	v_add_co_ci_u32_e32 v132, vcc_lo, s17, v132, vcc_lo
	global_store_b32 v[133:134], v129, off
	global_store_b32 v[131:132], v130, off
.LBB434_78:
	s_or_b32 exec_lo, exec_lo, s4
	s_waitcnt lgkmcnt(0)
	s_waitcnt_vscnt null, 0x0
	s_barrier
	buffer_gl0_inv
	ds_load_b128 v[148:151], v140
	ds_load_b128 v[152:155], v140 offset:16
	ds_load_b128 v[160:163], v140 offset:1040
	;; [unrolled: 1-line block ×3, first 2 shown]
	v_mov_b32_e32 v129, 0
	ds_load_b128 v[168:171], v140 offset:2064
	ds_load_b128 v[164:167], v140 offset:2048
	;; [unrolled: 1-line block ×6, first 2 shown]
	v_mov_b32_e32 v130, v129
	v_mov_b32_e32 v131, v129
	;; [unrolled: 1-line block ×7, first 2 shown]
	s_waitcnt lgkmcnt(8)
	s_delay_alu instid0(VALU_DEP_1)
	v_wmma_f32_16x16x16_bf16 v[129:136], v[121:128], v[148:155], v[129:136]
	ds_load_b128 v[125:128], v140 offset:5136
	ds_load_b128 v[121:124], v140 offset:5120
	s_waitcnt lgkmcnt(8)
	v_wmma_f32_16x16x16_bf16 v[129:136], v[113:120], v[156:163], v[129:136]
	ds_load_b128 v[117:120], v140 offset:6160
	ds_load_b128 v[113:116], v140 offset:6144
	s_waitcnt lgkmcnt(8)
	;; [unrolled: 4-line block ×8, first 2 shown]
	v_wmma_f32_16x16x16_bf16 v[129:136], v[65:72], v[97:104], v[129:136]
	s_waitcnt lgkmcnt(6)
	s_delay_alu instid0(VALU_DEP_1)
	v_wmma_f32_16x16x16_bf16 v[129:136], v[49:56], v[89:96], v[129:136]
	ds_load_b128 v[53:56], v140 offset:13328
	ds_load_b128 v[49:52], v140 offset:13312
	s_waitcnt lgkmcnt(6)
	v_wmma_f32_16x16x16_bf16 v[129:136], v[41:48], v[81:88], v[129:136]
	ds_load_b128 v[45:48], v140 offset:14352
	ds_load_b128 v[41:44], v140 offset:14336
	s_waitcnt lgkmcnt(6)
	v_wmma_f32_16x16x16_bf16 v[129:136], v[17:24], v[73:80], v[129:136]
	ds_load_b128 v[21:24], v140 offset:15376
	ds_load_b128 v[17:20], v140 offset:15360
	s_waitcnt lgkmcnt(6)
	v_wmma_f32_16x16x16_bf16 v[129:136], v[1:8], v[57:64], v[129:136]
	s_waitcnt lgkmcnt(4)
	s_delay_alu instid0(VALU_DEP_1) | instskip(SKIP_1) | instid1(VALU_DEP_1)
	v_wmma_f32_16x16x16_bf16 v[129:136], v[25:32], v[49:56], v[129:136]
	s_waitcnt lgkmcnt(2)
	v_wmma_f32_16x16x16_bf16 v[129:136], v[33:40], v[41:48], v[129:136]
	s_waitcnt lgkmcnt(0)
	s_delay_alu instid0(VALU_DEP_1) | instskip(NEXT) | instid1(VALU_DEP_1)
	v_wmma_f32_16x16x16_bf16 v[129:136], v[9:16], v[17:24], v[129:136]
	v_and_b32_e32 v1, 0x7f800000, v129
	s_delay_alu instid0(VALU_DEP_1) | instskip(SKIP_1) | instid1(SALU_CYCLE_1)
	v_cmp_ne_u32_e32 vcc_lo, 0x7f800000, v1
                                        ; implicit-def: $vgpr1
	s_and_saveexec_b32 s4, vcc_lo
	s_xor_b32 s4, exec_lo, s4
; %bb.79:
	v_bfe_u32 v1, v129, 16, 1
	s_delay_alu instid0(VALU_DEP_1)
	v_add3_u32 v1, v129, v1, 0x7fff
; %bb.80:
	s_and_not1_saveexec_b32 s4, s4
; %bb.81:
	v_and_b32_e32 v1, 0xffff, v129
	v_or_b32_e32 v2, 0x10000, v129
	s_delay_alu instid0(VALU_DEP_2) | instskip(NEXT) | instid1(VALU_DEP_2)
	v_cmp_eq_u32_e32 vcc_lo, 0, v1
	v_cndmask_b32_e32 v1, v2, v129, vcc_lo
; %bb.82:
	s_or_b32 exec_lo, exec_lo, s4
	v_and_b32_e32 v2, 0x7f800000, v130
	s_delay_alu instid0(VALU_DEP_1) | instskip(SKIP_1) | instid1(SALU_CYCLE_1)
	v_cmp_ne_u32_e32 vcc_lo, 0x7f800000, v2
                                        ; implicit-def: $vgpr2
	s_and_saveexec_b32 s4, vcc_lo
	s_xor_b32 s4, exec_lo, s4
; %bb.83:
	v_bfe_u32 v2, v130, 16, 1
	s_delay_alu instid0(VALU_DEP_1)
	v_add3_u32 v2, v130, v2, 0x7fff
; %bb.84:
	s_and_not1_saveexec_b32 s4, s4
; %bb.85:
	v_and_b32_e32 v2, 0xffff, v130
	v_or_b32_e32 v3, 0x10000, v130
	s_delay_alu instid0(VALU_DEP_2) | instskip(NEXT) | instid1(VALU_DEP_2)
	v_cmp_eq_u32_e32 vcc_lo, 0, v2
	v_cndmask_b32_e32 v2, v3, v130, vcc_lo
; %bb.86:
	s_or_b32 exec_lo, exec_lo, s4
	v_and_b32_e32 v3, 0x7f800000, v131
	s_delay_alu instid0(VALU_DEP_1) | instskip(SKIP_1) | instid1(SALU_CYCLE_1)
	v_cmp_ne_u32_e32 vcc_lo, 0x7f800000, v3
                                        ; implicit-def: $vgpr3
	s_and_saveexec_b32 s4, vcc_lo
	s_xor_b32 s4, exec_lo, s4
; %bb.87:
	v_bfe_u32 v3, v131, 16, 1
	s_delay_alu instid0(VALU_DEP_1)
	v_add3_u32 v3, v131, v3, 0x7fff
; %bb.88:
	s_and_not1_saveexec_b32 s4, s4
; %bb.89:
	v_and_b32_e32 v3, 0xffff, v131
	v_or_b32_e32 v4, 0x10000, v131
	s_delay_alu instid0(VALU_DEP_2) | instskip(NEXT) | instid1(VALU_DEP_2)
	v_cmp_eq_u32_e32 vcc_lo, 0, v3
	v_cndmask_b32_e32 v3, v4, v131, vcc_lo
; %bb.90:
	s_or_b32 exec_lo, exec_lo, s4
	v_and_b32_e32 v4, 0x7f800000, v132
	s_delay_alu instid0(VALU_DEP_1) | instskip(SKIP_1) | instid1(SALU_CYCLE_1)
	v_cmp_ne_u32_e32 vcc_lo, 0x7f800000, v4
                                        ; implicit-def: $vgpr4
	s_and_saveexec_b32 s4, vcc_lo
	s_xor_b32 s4, exec_lo, s4
; %bb.91:
	v_bfe_u32 v4, v132, 16, 1
	s_delay_alu instid0(VALU_DEP_1)
	v_add3_u32 v4, v132, v4, 0x7fff
; %bb.92:
	s_and_not1_saveexec_b32 s4, s4
; %bb.93:
	v_and_b32_e32 v4, 0xffff, v132
	v_or_b32_e32 v5, 0x10000, v132
	s_delay_alu instid0(VALU_DEP_2) | instskip(NEXT) | instid1(VALU_DEP_2)
	v_cmp_eq_u32_e32 vcc_lo, 0, v4
	v_cndmask_b32_e32 v4, v5, v132, vcc_lo
; %bb.94:
	s_or_b32 exec_lo, exec_lo, s4
	v_and_b32_e32 v5, 0x7f800000, v133
	s_delay_alu instid0(VALU_DEP_1) | instskip(SKIP_1) | instid1(SALU_CYCLE_1)
	v_cmp_ne_u32_e32 vcc_lo, 0x7f800000, v5
                                        ; implicit-def: $vgpr5
	s_and_saveexec_b32 s4, vcc_lo
	s_xor_b32 s4, exec_lo, s4
; %bb.95:
	v_bfe_u32 v5, v133, 16, 1
	s_delay_alu instid0(VALU_DEP_1)
	v_add3_u32 v5, v133, v5, 0x7fff
; %bb.96:
	s_and_not1_saveexec_b32 s4, s4
; %bb.97:
	v_and_b32_e32 v5, 0xffff, v133
	v_or_b32_e32 v6, 0x10000, v133
	s_delay_alu instid0(VALU_DEP_2) | instskip(NEXT) | instid1(VALU_DEP_2)
	v_cmp_eq_u32_e32 vcc_lo, 0, v5
	v_cndmask_b32_e32 v5, v6, v133, vcc_lo
; %bb.98:
	s_or_b32 exec_lo, exec_lo, s4
	v_and_b32_e32 v6, 0x7f800000, v134
	s_delay_alu instid0(VALU_DEP_1) | instskip(SKIP_1) | instid1(SALU_CYCLE_1)
	v_cmp_ne_u32_e32 vcc_lo, 0x7f800000, v6
                                        ; implicit-def: $vgpr6
	s_and_saveexec_b32 s4, vcc_lo
	s_xor_b32 s4, exec_lo, s4
; %bb.99:
	v_bfe_u32 v6, v134, 16, 1
	s_delay_alu instid0(VALU_DEP_1)
	v_add3_u32 v6, v134, v6, 0x7fff
; %bb.100:
	s_and_not1_saveexec_b32 s4, s4
; %bb.101:
	v_and_b32_e32 v6, 0xffff, v134
	v_or_b32_e32 v7, 0x10000, v134
	s_delay_alu instid0(VALU_DEP_2) | instskip(NEXT) | instid1(VALU_DEP_2)
	v_cmp_eq_u32_e32 vcc_lo, 0, v6
	v_cndmask_b32_e32 v6, v7, v134, vcc_lo
; %bb.102:
	s_or_b32 exec_lo, exec_lo, s4
	v_and_b32_e32 v7, 0x7f800000, v135
	s_delay_alu instid0(VALU_DEP_1) | instskip(SKIP_1) | instid1(SALU_CYCLE_1)
	v_cmp_ne_u32_e32 vcc_lo, 0x7f800000, v7
                                        ; implicit-def: $vgpr7
	s_and_saveexec_b32 s4, vcc_lo
	s_xor_b32 s4, exec_lo, s4
; %bb.103:
	v_bfe_u32 v7, v135, 16, 1
	s_delay_alu instid0(VALU_DEP_1)
	v_add3_u32 v7, v135, v7, 0x7fff
; %bb.104:
	s_and_not1_saveexec_b32 s4, s4
; %bb.105:
	v_and_b32_e32 v7, 0xffff, v135
	v_or_b32_e32 v8, 0x10000, v135
	s_delay_alu instid0(VALU_DEP_2) | instskip(NEXT) | instid1(VALU_DEP_2)
	v_cmp_eq_u32_e32 vcc_lo, 0, v7
	v_cndmask_b32_e32 v7, v8, v135, vcc_lo
; %bb.106:
	s_or_b32 exec_lo, exec_lo, s4
	v_and_b32_e32 v8, 0x7f800000, v136
	s_delay_alu instid0(VALU_DEP_1) | instskip(SKIP_1) | instid1(SALU_CYCLE_1)
	v_cmp_ne_u32_e32 vcc_lo, 0x7f800000, v8
                                        ; implicit-def: $vgpr8
	s_and_saveexec_b32 s4, vcc_lo
	s_xor_b32 s4, exec_lo, s4
; %bb.107:
	v_bfe_u32 v8, v136, 16, 1
	s_delay_alu instid0(VALU_DEP_1)
	v_add3_u32 v8, v136, v8, 0x7fff
                                        ; implicit-def: $vgpr129_vgpr130_vgpr131_vgpr132_vgpr133_vgpr134_vgpr135_vgpr136
; %bb.108:
	s_and_not1_saveexec_b32 s4, s4
; %bb.109:
	v_and_b32_e32 v8, 0xffff, v136
	v_or_b32_e32 v9, 0x10000, v136
	s_delay_alu instid0(VALU_DEP_2) | instskip(NEXT) | instid1(VALU_DEP_2)
	v_cmp_eq_u32_e32 vcc_lo, 0, v8
	v_cndmask_b32_e32 v8, v9, v136, vcc_lo
; %bb.110:
	s_or_b32 exec_lo, exec_lo, s4
	s_delay_alu instid0(VALU_DEP_1)
	v_perm_b32 v7, v8, v7, 0x7060302
	v_perm_b32 v6, v6, v5, 0x7060302
	;; [unrolled: 1-line block ×4, first 2 shown]
	v_lshl_or_b32 v9, v146, 4, v141
	s_barrier
	buffer_gl0_inv
	v_cmp_eq_u32_e32 vcc_lo, 1, v138
	ds_store_b128 v9, v[4:7]
	s_waitcnt lgkmcnt(0)
	s_barrier
	buffer_gl0_inv
	ds_load_b128 v[1:4], v141
	ds_load_b128 v[5:8], v141 offset:16
	v_cmp_eq_u32_e64 s5, 2, v138
	v_cmp_eq_u32_e64 s4, 1, v139
	;; [unrolled: 1-line block ×5, first 2 shown]
	s_waitcnt lgkmcnt(1)
	v_lshrrev_b32_e32 v10, 16, v1
	s_waitcnt lgkmcnt(0)
	v_lshrrev_b32_e32 v14, 16, v5
	v_lshrrev_b32_e32 v15, 16, v6
	;; [unrolled: 1-line block ×4, first 2 shown]
	v_cndmask_b32_e64 v20, v1, v10, s4
	v_cndmask_b32_e32 v19, v5, v14, vcc_lo
	v_cndmask_b32_e64 v21, v5, v14, s4
	v_lshrrev_b32_e32 v16, 16, v7
	v_cmp_eq_u32_e64 s4, 1, v137
	v_lshrrev_b32_e32 v13, 16, v4
	v_cndmask_b32_e64 v19, v19, v6, s5
	v_lshrrev_b32_e32 v17, 16, v8
	s_delay_alu instid0(VALU_DEP_4) | instskip(SKIP_1) | instid1(VALU_DEP_4)
	v_cndmask_b32_e64 v22, v1, v10, s4
	v_cndmask_b32_e64 v23, v5, v14, s4
	v_cndmask_b32_e64 v19, v19, v15, s6
	v_cndmask_b32_e32 v18, v1, v10, vcc_lo
	v_cmp_eq_u32_e32 vcc_lo, 2, v139
	v_cmp_eq_u32_e64 s4, 2, v142
	v_cndmask_b32_e64 v22, v22, v2, s8
	v_cndmask_b32_e32 v20, v20, v2, vcc_lo
	v_cndmask_b32_e32 v21, v21, v6, vcc_lo
	v_cmp_eq_u32_e32 vcc_lo, 4, v138
	v_cndmask_b32_e32 v19, v19, v7, vcc_lo
	v_cndmask_b32_e64 v18, v18, v2, s5
	v_cmp_eq_u32_e64 s5, 3, v139
	s_delay_alu instid0(VALU_DEP_2) | instskip(NEXT) | instid1(VALU_DEP_2)
	v_cndmask_b32_e64 v18, v18, v11, s6
	v_cndmask_b32_e64 v21, v21, v15, s5
	v_cmp_eq_u32_e64 s6, 5, v138
	s_delay_alu instid0(VALU_DEP_3) | instskip(SKIP_1) | instid1(VALU_DEP_3)
	v_cndmask_b32_e32 v18, v18, v3, vcc_lo
	v_cmp_eq_u32_e32 vcc_lo, 4, v139
	v_cndmask_b32_e64 v19, v19, v16, s6
	s_delay_alu instid0(VALU_DEP_3) | instskip(SKIP_4) | instid1(VALU_DEP_3)
	v_cndmask_b32_e64 v18, v18, v12, s6
	v_cndmask_b32_e32 v21, v21, v7, vcc_lo
	v_cndmask_b32_e64 v20, v20, v11, s5
	v_cmp_eq_u32_e64 s5, 5, v139
	v_cmp_eq_u32_e64 s6, 6, v138
	v_cndmask_b32_e32 v20, v20, v3, vcc_lo
	s_delay_alu instid0(VALU_DEP_3) | instskip(SKIP_1) | instid1(VALU_DEP_4)
	v_cndmask_b32_e64 v21, v21, v16, s5
	v_cmp_eq_u32_e32 vcc_lo, 6, v139
	v_cndmask_b32_e64 v18, v18, v4, s6
	v_cndmask_b32_e64 v19, v19, v8, s6
	v_cndmask_b32_e64 v20, v20, v12, s5
	v_cmp_eq_u32_e64 s5, 1, v142
	v_cmp_eq_u32_e64 s6, 7, v138
	s_delay_alu instid0(VALU_DEP_3) | instskip(NEXT) | instid1(VALU_DEP_3)
	v_cndmask_b32_e32 v20, v20, v4, vcc_lo
	v_cndmask_b32_e64 v1, v1, v10, s5
	v_cndmask_b32_e64 v5, v5, v14, s5
	v_cmp_eq_u32_e64 s5, 3, v137
	v_cndmask_b32_e64 v14, v23, v6, s8
	v_cmp_eq_u32_e64 s8, 3, v142
	v_cndmask_b32_e64 v1, v1, v2, s4
	v_cndmask_b32_e64 v2, v5, v6, s4
	;; [unrolled: 1-line block ×3, first 2 shown]
	v_cmp_eq_u32_e64 s4, 4, v137
	v_cndmask_b32_e64 v6, v14, v15, s5
	v_cndmask_b32_e64 v1, v1, v11, s8
	v_cmp_eq_u32_e64 s5, 4, v142
	v_cndmask_b32_e64 v2, v2, v15, s8
	v_cndmask_b32_e64 v5, v10, v3, s4
	;; [unrolled: 3-line block ×3, first 2 shown]
	v_cndmask_b32_e64 v2, v2, v7, s5
	v_cmp_eq_u32_e64 s4, 5, v142
	v_cndmask_b32_e64 v5, v5, v12, s8
	v_cmp_eq_u32_e64 s5, 6, v137
	;; [unrolled: 2-line block ×3, first 2 shown]
	v_cndmask_b32_e64 v1, v1, v12, s4
	v_cndmask_b32_e64 v2, v2, v16, s4
	;; [unrolled: 1-line block ×4, first 2 shown]
	v_cmp_eq_u32_e64 s4, 7, v142
	v_cndmask_b32_e64 v1, v1, v4, s8
	v_cndmask_b32_e64 v2, v2, v8, s8
	v_cmp_eq_u32_e64 s5, 7, v137
	v_cndmask_b32_e32 v4, v21, v8, vcc_lo
	v_cndmask_b32_e64 v18, v18, v13, s6
	v_cndmask_b32_e64 v20, v20, v13, s7
	;; [unrolled: 1-line block ×8, first 2 shown]
	v_cmp_gt_u32_e32 vcc_lo, 32, v0
	v_perm_b32 v4, v2, v1, 0x5040100
	v_perm_b32 v3, v3, v5, 0x5040100
	;; [unrolled: 1-line block ×4, first 2 shown]
	s_and_b32 s2, vcc_lo, s2
	ds_store_b128 v9, v[1:4]
	s_waitcnt lgkmcnt(0)
	s_barrier
	buffer_gl0_inv
	s_and_saveexec_b32 s4, s2
	s_cbranch_execz .LBB434_2
; %bb.111:
	s_load_b64 s[4:5], s[0:1], 0x68
	v_lshlrev_b32_e32 v0, 10, v0
	v_lshlrev_b32_e32 v1, 4, v147
	s_lshl_b32 s0, s36, 6
	v_add_nc_u32_e32 v18, s31, v146
	s_mul_i32 s1, s0, s34
	s_delay_alu instid0(VALU_DEP_2) | instskip(SKIP_1) | instid1(VALU_DEP_2)
	v_and_or_b32 v0, 0x3800, v0, v1
	s_mul_i32 s6, s1, s9
	v_mul_lo_u32 v1, v18, s0
	s_ashr_i32 s7, s6, 31
	v_add_nc_u32_e32 v2, 2, v18
	v_lshl_or_b32 v19, v146, 6, v0
	s_lshl_b64 s[6:7], s[6:7], 1
	v_add_nc_u32_e32 v8, 4, v18
	v_add_nc_u32_e32 v15, 6, v18
	v_mul_lo_u32 v7, v2, s0
	ds_load_b128 v[3:6], v19
	v_ashrrev_i32_e32 v2, 31, v1
	v_mul_lo_u32 v11, v8, s0
	s_waitcnt lgkmcnt(0)
	s_add_u32 s1, s4, s6
	s_addc_u32 s2, s5, s7
	s_lshl_b32 s4, s14, 6
	v_lshlrev_b64 v[9:10], 1, v[1:2]
	s_ashr_i32 s5, s4, 31
	v_ashrrev_i32_e32 v8, 31, v7
	s_lshl_b64 s[4:5], s[4:5], 1
	v_ashrrev_i32_e32 v12, 31, v11
	s_add_u32 s1, s1, s4
	s_addc_u32 s2, s2, s5
	v_add_co_u32 v1, s1, s1, v145
	s_delay_alu instid0(VALU_DEP_1) | instskip(SKIP_1) | instid1(VALU_DEP_3)
	v_add_co_ci_u32_e64 v2, null, s2, 0, s1
	v_mul_lo_u32 v15, v15, s0
	v_add_co_u32 v13, vcc_lo, v1, v9
	s_delay_alu instid0(VALU_DEP_3)
	v_add_co_ci_u32_e32 v14, vcc_lo, v2, v10, vcc_lo
	v_lshlrev_b64 v[16:17], 1, v[7:8]
	ds_load_b128 v[7:10], v19 offset:128
	global_store_b128 v[13:14], v[3:6], off
	v_add_nc_u32_e32 v5, 8, v18
	v_lshlrev_b64 v[3:4], 1, v[11:12]
	v_add_co_u32 v23, vcc_lo, v1, v16
	v_ashrrev_i32_e32 v16, 31, v15
	s_delay_alu instid0(VALU_DEP_4) | instskip(SKIP_3) | instid1(VALU_DEP_3)
	v_mul_lo_u32 v25, v5, s0
	v_add_nc_u32_e32 v5, 10, v18
	v_add_co_ci_u32_e32 v24, vcc_lo, v2, v17, vcc_lo
	v_add_co_u32 v27, vcc_lo, v1, v3
	v_mul_lo_u32 v29, v5, s0
	v_add_co_ci_u32_e32 v28, vcc_lo, v2, v4, vcc_lo
	v_lshlrev_b64 v[31:32], 1, v[15:16]
	ds_load_b128 v[3:6], v19 offset:256
	ds_load_b128 v[11:14], v19 offset:384
	;; [unrolled: 1-line block ×4, first 2 shown]
	v_ashrrev_i32_e32 v26, 31, v25
	v_ashrrev_i32_e32 v30, 31, v29
	v_add_co_u32 v31, vcc_lo, v1, v31
	s_delay_alu instid0(VALU_DEP_3) | instskip(SKIP_1) | instid1(VALU_DEP_4)
	v_lshlrev_b64 v[25:26], 1, v[25:26]
	v_add_co_ci_u32_e32 v32, vcc_lo, v2, v32, vcc_lo
	v_lshlrev_b64 v[29:30], 1, v[29:30]
	s_delay_alu instid0(VALU_DEP_3) | instskip(NEXT) | instid1(VALU_DEP_4)
	v_add_co_u32 v25, vcc_lo, v1, v25
	v_add_co_ci_u32_e32 v26, vcc_lo, v2, v26, vcc_lo
	s_delay_alu instid0(VALU_DEP_3) | instskip(NEXT) | instid1(VALU_DEP_4)
	v_add_co_u32 v29, vcc_lo, v1, v29
	v_add_co_ci_u32_e32 v30, vcc_lo, v2, v30, vcc_lo
	s_waitcnt lgkmcnt(4)
	global_store_b128 v[23:24], v[7:10], off
	s_waitcnt lgkmcnt(3)
	global_store_b128 v[27:28], v[3:6], off
	;; [unrolled: 2-line block ×5, first 2 shown]
	s_and_b32 exec_lo, exec_lo, s3
	s_cbranch_execz .LBB434_2
; %bb.112:
	ds_load_b128 v[3:6], v0 offset:768
	s_add_i32 s1, s31, 12
	s_delay_alu instid0(SALU_CYCLE_1) | instskip(NEXT) | instid1(SALU_CYCLE_1)
	s_mul_i32 s0, s1, s0
	s_ashr_i32 s1, s0, 31
	s_delay_alu instid0(SALU_CYCLE_1) | instskip(NEXT) | instid1(SALU_CYCLE_1)
	s_lshl_b64 s[0:1], s[0:1], 1
	v_add_co_u32 v0, vcc_lo, v1, s0
	v_add_co_ci_u32_e32 v1, vcc_lo, s1, v2, vcc_lo
	s_waitcnt lgkmcnt(0)
	global_store_b128 v[0:1], v[3:6], off
	s_nop 0
	s_sendmsg sendmsg(MSG_DEALLOC_VGPRS)
	s_endpgm
	.section	.rodata,"a",@progbits
	.p2align	6, 0x0
	.amdhsa_kernel _Z39paged_attention_ll4mi_QKV_mfma16_kernelI14__hip_bfloat16S0_LN4vllm18Fp8KVCacheDataTypeE0EhLi16ELi64ELi256ELb0ELi13EL8MFMAType0EEvPKT_PKT0_S9_ifPKiSB_SB_iPKfiiiPfSE_PS4_PT2_iSD_SD_
		.amdhsa_group_segment_fixed_size 17472
		.amdhsa_private_segment_fixed_size 0
		.amdhsa_kernarg_size 400
		.amdhsa_user_sgpr_count 13
		.amdhsa_user_sgpr_dispatch_ptr 0
		.amdhsa_user_sgpr_queue_ptr 0
		.amdhsa_user_sgpr_kernarg_segment_ptr 1
		.amdhsa_user_sgpr_dispatch_id 0
		.amdhsa_user_sgpr_private_segment_size 0
		.amdhsa_wavefront_size32 1
		.amdhsa_uses_dynamic_stack 0
		.amdhsa_enable_private_segment 0
		.amdhsa_system_sgpr_workgroup_id_x 1
		.amdhsa_system_sgpr_workgroup_id_y 1
		.amdhsa_system_sgpr_workgroup_id_z 1
		.amdhsa_system_sgpr_workgroup_info 0
		.amdhsa_system_vgpr_workitem_id 0
		.amdhsa_next_free_vgpr 198
		.amdhsa_next_free_sgpr 52
		.amdhsa_reserve_vcc 1
		.amdhsa_float_round_mode_32 0
		.amdhsa_float_round_mode_16_64 0
		.amdhsa_float_denorm_mode_32 3
		.amdhsa_float_denorm_mode_16_64 3
		.amdhsa_dx10_clamp 1
		.amdhsa_ieee_mode 1
		.amdhsa_fp16_overflow 0
		.amdhsa_workgroup_processor_mode 1
		.amdhsa_memory_ordered 1
		.amdhsa_forward_progress 0
		.amdhsa_shared_vgpr_count 0
		.amdhsa_exception_fp_ieee_invalid_op 0
		.amdhsa_exception_fp_denorm_src 0
		.amdhsa_exception_fp_ieee_div_zero 0
		.amdhsa_exception_fp_ieee_overflow 0
		.amdhsa_exception_fp_ieee_underflow 0
		.amdhsa_exception_fp_ieee_inexact 0
		.amdhsa_exception_int_div_zero 0
	.end_amdhsa_kernel
	.section	.text._Z39paged_attention_ll4mi_QKV_mfma16_kernelI14__hip_bfloat16S0_LN4vllm18Fp8KVCacheDataTypeE0EhLi16ELi64ELi256ELb0ELi13EL8MFMAType0EEvPKT_PKT0_S9_ifPKiSB_SB_iPKfiiiPfSE_PS4_PT2_iSD_SD_,"axG",@progbits,_Z39paged_attention_ll4mi_QKV_mfma16_kernelI14__hip_bfloat16S0_LN4vllm18Fp8KVCacheDataTypeE0EhLi16ELi64ELi256ELb0ELi13EL8MFMAType0EEvPKT_PKT0_S9_ifPKiSB_SB_iPKfiiiPfSE_PS4_PT2_iSD_SD_,comdat
.Lfunc_end434:
	.size	_Z39paged_attention_ll4mi_QKV_mfma16_kernelI14__hip_bfloat16S0_LN4vllm18Fp8KVCacheDataTypeE0EhLi16ELi64ELi256ELb0ELi13EL8MFMAType0EEvPKT_PKT0_S9_ifPKiSB_SB_iPKfiiiPfSE_PS4_PT2_iSD_SD_, .Lfunc_end434-_Z39paged_attention_ll4mi_QKV_mfma16_kernelI14__hip_bfloat16S0_LN4vllm18Fp8KVCacheDataTypeE0EhLi16ELi64ELi256ELb0ELi13EL8MFMAType0EEvPKT_PKT0_S9_ifPKiSB_SB_iPKfiiiPfSE_PS4_PT2_iSD_SD_
                                        ; -- End function
	.section	.AMDGPU.csdata,"",@progbits
; Kernel info:
; codeLenInByte = 10268
; NumSgprs: 54
; NumVgprs: 198
; ScratchSize: 0
; MemoryBound: 0
; FloatMode: 240
; IeeeMode: 1
; LDSByteSize: 17472 bytes/workgroup (compile time only)
; SGPRBlocks: 6
; VGPRBlocks: 24
; NumSGPRsForWavesPerEU: 54
; NumVGPRsForWavesPerEU: 198
; Occupancy: 7
; WaveLimiterHint : 1
; COMPUTE_PGM_RSRC2:SCRATCH_EN: 0
; COMPUTE_PGM_RSRC2:USER_SGPR: 13
; COMPUTE_PGM_RSRC2:TRAP_HANDLER: 0
; COMPUTE_PGM_RSRC2:TGID_X_EN: 1
; COMPUTE_PGM_RSRC2:TGID_Y_EN: 1
; COMPUTE_PGM_RSRC2:TGID_Z_EN: 1
; COMPUTE_PGM_RSRC2:TIDIG_COMP_CNT: 0
	.section	.text._Z39paged_attention_ll4mi_QKV_mfma16_kernelI14__hip_bfloat16S0_LN4vllm18Fp8KVCacheDataTypeE0EhLi16ELi64ELi256ELb0ELi14EL8MFMAType0EEvPKT_PKT0_S9_ifPKiSB_SB_iPKfiiiPfSE_PS4_PT2_iSD_SD_,"axG",@progbits,_Z39paged_attention_ll4mi_QKV_mfma16_kernelI14__hip_bfloat16S0_LN4vllm18Fp8KVCacheDataTypeE0EhLi16ELi64ELi256ELb0ELi14EL8MFMAType0EEvPKT_PKT0_S9_ifPKiSB_SB_iPKfiiiPfSE_PS4_PT2_iSD_SD_,comdat
	.protected	_Z39paged_attention_ll4mi_QKV_mfma16_kernelI14__hip_bfloat16S0_LN4vllm18Fp8KVCacheDataTypeE0EhLi16ELi64ELi256ELb0ELi14EL8MFMAType0EEvPKT_PKT0_S9_ifPKiSB_SB_iPKfiiiPfSE_PS4_PT2_iSD_SD_ ; -- Begin function _Z39paged_attention_ll4mi_QKV_mfma16_kernelI14__hip_bfloat16S0_LN4vllm18Fp8KVCacheDataTypeE0EhLi16ELi64ELi256ELb0ELi14EL8MFMAType0EEvPKT_PKT0_S9_ifPKiSB_SB_iPKfiiiPfSE_PS4_PT2_iSD_SD_
	.globl	_Z39paged_attention_ll4mi_QKV_mfma16_kernelI14__hip_bfloat16S0_LN4vllm18Fp8KVCacheDataTypeE0EhLi16ELi64ELi256ELb0ELi14EL8MFMAType0EEvPKT_PKT0_S9_ifPKiSB_SB_iPKfiiiPfSE_PS4_PT2_iSD_SD_
	.p2align	8
	.type	_Z39paged_attention_ll4mi_QKV_mfma16_kernelI14__hip_bfloat16S0_LN4vllm18Fp8KVCacheDataTypeE0EhLi16ELi64ELi256ELb0ELi14EL8MFMAType0EEvPKT_PKT0_S9_ifPKiSB_SB_iPKfiiiPfSE_PS4_PT2_iSD_SD_,@function
_Z39paged_attention_ll4mi_QKV_mfma16_kernelI14__hip_bfloat16S0_LN4vllm18Fp8KVCacheDataTypeE0EhLi16ELi64ELi256ELb0ELi14EL8MFMAType0EEvPKT_PKT0_S9_ifPKiSB_SB_iPKfiiiPfSE_PS4_PT2_iSD_SD_: ; @_Z39paged_attention_ll4mi_QKV_mfma16_kernelI14__hip_bfloat16S0_LN4vllm18Fp8KVCacheDataTypeE0EhLi16ELi64ELi256ELb0ELi14EL8MFMAType0EEvPKT_PKT0_S9_ifPKiSB_SB_iPKfiiiPfSE_PS4_PT2_iSD_SD_
; %bb.0:
	s_load_b64 s[2:3], s[0:1], 0x30
	s_mov_b32 s30, s13
	s_waitcnt lgkmcnt(0)
	s_cmp_lg_u64 s[2:3], 0
	s_cselect_b32 s6, -1, 0
	s_ashr_i32 s31, s13, 31
	s_cmp_eq_u64 s[2:3], 0
	s_cbranch_scc1 .LBB435_3
; %bb.1:
	s_lshl_b64 s[4:5], s[30:31], 2
	s_delay_alu instid0(SALU_CYCLE_1) | instskip(SKIP_4) | instid1(SALU_CYCLE_1)
	s_add_u32 s4, s2, s4
	s_addc_u32 s5, s3, s5
	s_load_b64 s[4:5], s[4:5], 0x0
	s_waitcnt lgkmcnt(0)
	s_sub_i32 s4, s5, s4
	s_cmp_eq_u32 s4, 1
	s_cselect_b32 s4, -1, 0
	s_delay_alu instid0(SALU_CYCLE_1)
	s_and_not1_b32 vcc_lo, exec_lo, s4
	s_cbranch_vccz .LBB435_4
.LBB435_2:
	s_endpgm
.LBB435_3:
.LBB435_4:
	s_load_b64 s[8:9], s[0:1], 0x28
	s_lshl_b64 s[4:5], s[30:31], 2
	s_waitcnt lgkmcnt(0)
	s_add_u32 s8, s8, s4
	s_addc_u32 s9, s9, s5
	s_lshl_b32 s34, s14, 8
	s_load_b32 s33, s[8:9], 0x0
	s_waitcnt lgkmcnt(0)
	s_cmp_ge_i32 s34, s33
	s_cbranch_scc1 .LBB435_2
; %bb.5:
	s_clause 0x1
	s_load_b128 s[8:11], s[0:1], 0x8
	s_load_b64 s[12:13], s[0:1], 0x20
	s_and_not1_b32 vcc_lo, exec_lo, s6
	s_cbranch_vccnz .LBB435_7
; %bb.6:
	s_add_u32 s2, s2, s4
	s_addc_u32 s3, s3, s5
	s_load_b32 s3, s[2:3], 0x0
	s_branch .LBB435_8
.LBB435_7:
	s_mov_b32 s3, s30
.LBB435_8:
	s_load_b128 s[4:7], s[0:1], 0x48
	v_and_b32_e32 v148, 15, v0
	v_cmp_gt_u32_e32 vcc_lo, 0xe0, v0
	v_lshrrev_b32_e32 v149, 5, v0
	v_and_b32_e32 v150, 31, v0
	v_and_b32_e32 v147, 1, v0
	v_lshlrev_b32_e32 v1, 3, v148
	v_cmp_gt_u32_e64 s2, 8, v148
	v_bfe_u32 v146, v0, 4, 1
	s_mul_i32 s31, s15, 14
	s_delay_alu instid0(VALU_DEP_3) | instskip(NEXT) | instid1(VALU_DEP_3)
	v_lshlrev_b32_e32 v145, 1, v1
	s_and_b32 s16, vcc_lo, s2
	s_waitcnt lgkmcnt(0)
	s_and_saveexec_b32 s7, s16
	s_cbranch_execz .LBB435_10
; %bb.9:
	s_load_b64 s[16:17], s[0:1], 0x0
	v_lshl_or_b32 v5, v149, 1, v146
	s_mul_hi_i32 s19, s3, s4
	s_mul_i32 s18, s3, s4
	v_lshlrev_b32_e32 v6, 10, v148
	s_lshl_b64 s[18:19], s[18:19], 1
	v_add_lshl_u32 v1, v5, s31, 6
	v_lshlrev_b32_e32 v5, 6, v5
	v_lshlrev_b32_e32 v7, 10, v147
	v_and_b32_e32 v6, 0x3800, v6
	s_delay_alu instid0(VALU_DEP_4) | instskip(NEXT) | instid1(VALU_DEP_2)
	v_ashrrev_i32_e32 v2, 31, v1
	v_or3_b32 v5, v6, v7, v5
	s_delay_alu instid0(VALU_DEP_2) | instskip(SKIP_3) | instid1(VALU_DEP_1)
	v_lshlrev_b64 v[1:2], 1, v[1:2]
	s_waitcnt lgkmcnt(0)
	s_add_u32 s3, s16, s18
	s_addc_u32 s4, s17, s19
	v_add_co_u32 v1, vcc_lo, s3, v1
	s_delay_alu instid0(VALU_DEP_2) | instskip(NEXT) | instid1(VALU_DEP_2)
	v_add_co_ci_u32_e32 v2, vcc_lo, s4, v2, vcc_lo
	v_add_co_u32 v1, vcc_lo, v1, v145
	s_delay_alu instid0(VALU_DEP_2)
	v_add_co_ci_u32_e32 v2, vcc_lo, 0, v2, vcc_lo
	global_load_b128 v[1:4], v[1:2], off
	s_waitcnt vmcnt(0)
	ds_store_b128 v5, v[1:4]
.LBB435_10:
	s_or_b32 exec_lo, exec_lo, s7
	s_mov_b32 s40, 0
	s_add_i32 s3, s33, 15
	s_mov_b32 s41, s40
	s_mov_b32 s42, s40
	;; [unrolled: 1-line block ×7, first 2 shown]
	s_delay_alu instid0(SALU_CYCLE_1)
	v_dual_mov_b32 v144, s47 :: v_dual_and_b32 v1, 0xef, v0
	v_mov_b32_e32 v142, s45
	s_ashr_i32 s7, s3, 31
	s_clause 0x1
	s_load_b32 s4, s[0:1], 0x38
	s_load_b32 s35, s[0:1], 0x1c
	v_add_nc_u32_e32 v1, s34, v1
	s_lshr_b32 s7, s7, 28
	s_waitcnt lgkmcnt(0)
	s_add_i32 s3, s3, s7
	s_barrier
	v_ashrrev_i32_e32 v2, 31, v1
	v_or_b32_e32 v3, 16, v1
	s_ashr_i32 s3, s3, 4
	v_cmp_gt_i32_e32 vcc_lo, s33, v1
	s_add_i32 s3, s3, -1
	v_lshrrev_b32_e32 v2, 28, v2
	v_mov_b32_e32 v143, s46
	buffer_gl0_inv
	s_mul_i32 s6, s15, s6
	v_add_nc_u32_e32 v21, -14, v148
	v_dual_mov_b32 v141, s44 :: v_dual_add_nc_u32 v4, v1, v2
	v_mov_b32_e32 v139, s42
	s_mul_i32 s16, s30, s4
	v_mov_b32_e32 v137, s40
	s_delay_alu instid0(VALU_DEP_3)
	v_ashrrev_i32_e32 v4, 4, v4
	v_add_nc_u32_e32 v2, v3, v2
	v_lshlrev_b32_e32 v22, 5, v148
	s_ashr_i32 s17, s16, 31
	v_mov_b32_e32 v140, s43
	v_cndmask_b32_e32 v1, s3, v4, vcc_lo
	v_ashrrev_i32_e32 v2, 4, v2
	v_cmp_gt_i32_e32 vcc_lo, s33, v3
	s_lshl_b64 s[16:17], s[16:17], 2
	v_lshl_or_b32 v22, v149, 9, v22
	s_add_u32 s4, s12, s16
	s_addc_u32 s36, s13, s17
	v_cndmask_b32_e32 v3, s3, v2, vcc_lo
	v_ashrrev_i32_e32 v2, 31, v1
	s_ashr_i32 s7, s6, 31
	v_mov_b32_e32 v138, s41
	s_lshl_b64 s[6:7], s[6:7], 1
	v_ashrrev_i32_e32 v4, 31, v3
	v_lshlrev_b64 v[1:2], 2, v[1:2]
	s_add_u32 s24, s8, s6
	s_addc_u32 s25, s9, s7
	s_lshl_b32 s8, s14, 4
	v_lshlrev_b64 v[3:4], 2, v[3:4]
	s_ashr_i32 s9, s8, 31
	v_add_co_u32 v1, vcc_lo, s4, v1
	v_add_co_ci_u32_e32 v2, vcc_lo, s36, v2, vcc_lo
	s_delay_alu instid0(VALU_DEP_3) | instskip(NEXT) | instid1(VALU_DEP_4)
	v_add_co_u32 v3, vcc_lo, s4, v3
	v_add_co_ci_u32_e32 v4, vcc_lo, s36, v4, vcc_lo
	s_clause 0x1
	global_load_b32 v5, v[1:2], off
	global_load_b32 v6, v[3:4], off
	s_lshl_b64 s[8:9], s[8:9], 2
	v_lshlrev_b32_e32 v3, 4, v0
	s_add_u32 s8, s4, s8
	s_addc_u32 s9, s36, s9
	s_or_b32 s12, s34, 16
	s_delay_alu instid0(SALU_CYCLE_1) | instskip(SKIP_2) | instid1(SALU_CYCLE_1)
	s_ashr_i32 s13, s12, 4
	s_cmp_lt_i32 s12, s33
	s_cselect_b32 s12, s13, s3
	s_ashr_i32 s13, s12, 31
	s_delay_alu instid0(SALU_CYCLE_1) | instskip(NEXT) | instid1(SALU_CYCLE_1)
	s_lshl_b64 s[12:13], s[12:13], 2
	s_add_u32 s12, s4, s12
	s_addc_u32 s13, s36, s13
	s_or_b32 s15, s34, 32
	s_delay_alu instid0(SALU_CYCLE_1) | instskip(SKIP_2) | instid1(SALU_CYCLE_1)
	s_ashr_i32 s16, s15, 4
	s_cmp_lt_i32 s15, s33
	s_cselect_b32 s16, s16, s3
	s_ashr_i32 s17, s16, 31
	s_delay_alu instid0(SALU_CYCLE_1) | instskip(NEXT) | instid1(SALU_CYCLE_1)
	s_lshl_b64 s[16:17], s[16:17], 2
	;; [unrolled: 10-line block ×5, first 2 shown]
	s_add_u32 s22, s4, s22
	s_addc_u32 s23, s36, s23
	s_clause 0x5
	s_load_b32 s8, s[8:9], 0x0
	s_load_b32 s12, s[12:13], 0x0
	;; [unrolled: 1-line block ×6, first 2 shown]
	s_waitcnt lgkmcnt(0)
	s_mul_hi_i32 s17, s16, s5
	s_mul_i32 s16, s16, s5
	s_waitcnt vmcnt(1)
	v_mad_i64_i32 v[1:2], null, v5, s5, 0
	v_and_b32_e32 v5, 0xf0, v3
	s_waitcnt vmcnt(0)
	v_mad_i64_i32 v[3:4], null, v6, s5, 0
	s_delay_alu instid0(VALU_DEP_2) | instskip(NEXT) | instid1(VALU_DEP_4)
	v_add_co_u32 v5, s9, s24, v5
	v_lshlrev_b64 v[1:2], 1, v[1:2]
	v_add_co_ci_u32_e64 v6, null, s25, 0, s9
	s_delay_alu instid0(VALU_DEP_4) | instskip(SKIP_1) | instid1(VALU_DEP_3)
	v_lshlrev_b64 v[3:4], 1, v[3:4]
	s_or_b32 s9, s34, 0x60
	v_add_co_u32 v19, vcc_lo, v5, v1
	s_delay_alu instid0(VALU_DEP_3) | instskip(NEXT) | instid1(VALU_DEP_3)
	v_add_co_ci_u32_e32 v20, vcc_lo, v6, v2, vcc_lo
	v_add_co_u32 v17, vcc_lo, v5, v3
	s_delay_alu instid0(VALU_DEP_4)
	v_add_co_ci_u32_e32 v18, vcc_lo, v6, v4, vcc_lo
	s_clause 0x9
	global_load_b128 v[1:4], v[19:20], off
	global_load_b128 v[5:8], v[19:20], off offset:256
	global_load_b128 v[129:132], v[17:18], off
	global_load_b128 v[133:136], v[17:18], off offset:256
	global_load_b128 v[33:36], v[19:20], off offset:512
	;; [unrolled: 1-line block ×7, first 2 shown]
	v_cmp_gt_u32_e32 vcc_lo, 14, v148
	s_clause 0x1
	global_load_b128 v[151:154], v[17:18], off offset:1024
	global_load_b128 v[155:158], v[17:18], off offset:1280
	s_ashr_i32 s13, s9, 4
	s_cmp_lt_i32 s9, s33
	v_cndmask_b32_e32 v21, v21, v148, vcc_lo
	s_cselect_b32 s22, s13, s3
	s_delay_alu instid0(SALU_CYCLE_1) | instskip(NEXT) | instid1(VALU_DEP_1)
	s_ashr_i32 s23, s22, 31
	v_lshlrev_b32_e32 v197, 6, v21
	ds_load_b128 v[159:162], v197
	ds_load_b128 v[163:166], v197 offset:1024
	s_clause 0x3
	global_load_b128 v[167:170], v[19:20], off offset:1536
	global_load_b128 v[171:174], v[19:20], off offset:1792
	global_load_b128 v[175:178], v[17:18], off offset:1536
	global_load_b128 v[179:182], v[17:18], off offset:1792
	s_lshl_b64 s[22:23], s[22:23], 2
	s_delay_alu instid0(SALU_CYCLE_1) | instskip(SKIP_2) | instid1(SALU_CYCLE_1)
	s_add_u32 s22, s4, s22
	s_addc_u32 s23, s36, s23
	s_or_b32 s9, s34, 0x70
	s_ashr_i32 s13, s9, 4
	s_cmp_lt_i32 s9, s33
	s_cselect_b32 s24, s13, s3
	s_delay_alu instid0(SALU_CYCLE_1) | instskip(NEXT) | instid1(SALU_CYCLE_1)
	s_ashr_i32 s25, s24, 31
	s_lshl_b64 s[24:25], s[24:25], 2
	s_delay_alu instid0(SALU_CYCLE_1)
	s_add_u32 s24, s4, s24
	s_addc_u32 s25, s36, s25
	s_or_b32 s9, s34, 0x80
	s_load_b32 s46, s[24:25], 0x0
	s_ashr_i32 s13, s9, 4
	s_cmp_lt_i32 s9, s33
	s_cselect_b32 s26, s13, s3
	s_delay_alu instid0(SALU_CYCLE_1) | instskip(NEXT) | instid1(SALU_CYCLE_1)
	s_ashr_i32 s27, s26, 31
	s_lshl_b64 s[26:27], s[26:27], 2
	s_delay_alu instid0(SALU_CYCLE_1)
	s_add_u32 s26, s4, s26
	s_addc_u32 s27, s36, s27
	s_or_b32 s9, s34, 0x90
	s_load_b32 s47, s[26:27], 0x0
	s_ashr_i32 s13, s9, 4
	s_cmp_lt_i32 s9, s33
	s_cselect_b32 s28, s13, s3
	s_delay_alu instid0(SALU_CYCLE_1) | instskip(NEXT) | instid1(SALU_CYCLE_1)
	s_ashr_i32 s29, s28, 31
	s_lshl_b64 s[28:29], s[28:29], 2
	s_delay_alu instid0(SALU_CYCLE_1) | instskip(SKIP_2) | instid1(SALU_CYCLE_1)
	s_add_u32 s28, s4, s28
	s_addc_u32 s29, s36, s29
	s_or_b32 s9, s34, 0xa0
	s_ashr_i32 s13, s9, 4
	s_cmp_lt_i32 s9, s33
	s_cselect_b32 s38, s13, s3
	s_delay_alu instid0(SALU_CYCLE_1) | instskip(NEXT) | instid1(SALU_CYCLE_1)
	s_ashr_i32 s39, s38, 31
	s_lshl_b64 s[38:39], s[38:39], 2
	s_delay_alu instid0(SALU_CYCLE_1)
	s_add_u32 s38, s4, s38
	s_addc_u32 s39, s36, s39
	s_or_b32 s9, s34, 0xb0
	s_load_b32 s39, s[38:39], 0x0
	s_ashr_i32 s13, s9, 4
	s_cmp_lt_i32 s9, s33
	s_mul_hi_i32 s9, s8, s5
	s_cselect_b32 s40, s13, s3
	s_mul_i32 s8, s8, s5
	s_ashr_i32 s41, s40, 31
	s_mul_hi_i32 s13, s12, s5
	s_lshl_b64 s[40:41], s[40:41], 2
	s_mul_i32 s12, s12, s5
	s_add_u32 s42, s4, s40
	s_addc_u32 s43, s36, s41
	s_or_b32 s19, s34, 0xc0
	s_delay_alu instid0(SALU_CYCLE_1)
	s_ashr_i32 s21, s19, 4
	s_cmp_lt_i32 s19, s33
	s_mul_hi_i32 s19, s18, s5
	s_cselect_b32 s40, s21, s3
	s_mul_i32 s18, s18, s5
	s_ashr_i32 s41, s40, 31
	s_mul_hi_i32 s21, s20, s5
	s_lshl_b64 s[40:41], s[40:41], 2
	s_mul_i32 s20, s20, s5
	s_add_u32 s44, s4, s40
	s_load_b32 s40, s[28:29], 0x0
	s_addc_u32 s45, s36, s41
	s_or_b32 s37, s34, 0xd0
	s_load_b32 s41, s[22:23], 0x0
	s_ashr_i32 s22, s37, 4
	s_cmp_lt_i32 s37, s33
	s_mul_hi_i32 s23, s15, s5
	s_cselect_b32 s24, s22, s3
	s_mul_i32 s22, s15, s5
	s_ashr_i32 s25, s24, 31
	s_waitcnt lgkmcnt(0)
	s_mul_hi_i32 s27, s46, s5
	s_lshl_b64 s[24:25], s[24:25], 2
	s_mul_i32 s26, s46, s5
	s_add_u32 s24, s4, s24
	s_addc_u32 s25, s36, s25
	s_or_b32 s48, s34, 0xe0
	s_clause 0x2
	s_load_b32 s38, s[42:43], 0x0
	s_load_b32 s37, s[44:45], 0x0
	;; [unrolled: 1-line block ×3, first 2 shown]
	s_ashr_i32 s49, s48, 4
	s_cmp_lt_i32 s48, s33
	s_mul_hi_i32 s29, s47, s5
	s_cselect_b32 s42, s49, s3
	s_mul_i32 s28, s47, s5
	s_ashr_i32 s43, s42, 31
	s_mul_hi_i32 s25, s41, s5
	s_lshl_b64 s[42:43], s[42:43], 2
	s_mul_i32 s24, s41, s5
	s_add_u32 s42, s4, s42
	s_addc_u32 s43, s36, s43
	s_or_b32 s46, s34, 0xf0
	s_mul_hi_i32 s41, s40, s5
	s_ashr_i32 s47, s46, 4
	s_cmp_lt_i32 s46, s33
	s_mul_i32 s40, s40, s5
	s_cselect_b32 s46, s47, s3
	s_mul_hi_i32 s45, s39, s5
	s_ashr_i32 s47, s46, 31
	s_mul_i32 s44, s39, s5
	s_lshl_b64 s[46:47], s[46:47], 2
	s_waitcnt lgkmcnt(0)
	s_mul_hi_i32 s39, s38, s5
	s_add_u32 s46, s4, s46
	s_addc_u32 s47, s36, s47
	s_add_u32 s3, s10, s6
	s_addc_u32 s4, s11, s7
	v_add_co_u32 v195, s3, s3, v22
	s_delay_alu instid0(VALU_DEP_1) | instskip(SKIP_2) | instid1(VALU_DEP_2)
	v_add_co_ci_u32_e64 v196, null, s4, 0, s3
	s_lshl_b64 s[6:7], s[8:9], 1
	s_lshl_b64 s[8:9], s[12:13], 1
	v_add_co_u32 v17, vcc_lo, v195, s6
	s_delay_alu instid0(VALU_DEP_2)
	v_add_co_ci_u32_e32 v18, vcc_lo, s7, v196, vcc_lo
	v_add_co_u32 v19, vcc_lo, v195, s8
	s_lshl_b64 s[10:11], s[16:17], 1
	v_add_co_ci_u32_e32 v20, vcc_lo, s9, v196, vcc_lo
	v_add_co_u32 v21, vcc_lo, v195, s10
	s_lshl_b64 s[12:13], s[18:19], 1
	;; [unrolled: 3-line block ×9, first 2 shown]
	s_mul_i32 s38, s38, s5
	v_add_co_ci_u32_e32 v54, vcc_lo, s27, v196, vcc_lo
	v_add_co_u32 v183, vcc_lo, v195, s28
	s_mul_hi_i32 s49, s37, s5
	s_mul_i32 s48, s37, s5
	s_lshl_b64 s[36:37], s[38:39], 1
	v_add_co_ci_u32_e32 v184, vcc_lo, s29, v196, vcc_lo
	v_add_co_u32 v185, vcc_lo, v195, s36
	s_lshl_b64 s[38:39], s[48:49], 1
	s_clause 0x1
	s_load_b32 s3, s[42:43], 0x0
	s_load_b32 s4, s[46:47], 0x0
	v_add_co_ci_u32_e32 v186, vcc_lo, s37, v196, vcc_lo
	v_add_co_u32 v191, vcc_lo, v195, s38
	v_add_co_ci_u32_e32 v192, vcc_lo, s39, v196, vcc_lo
	s_clause 0x17
	global_load_b128 v[121:124], v[17:18], off
	global_load_b128 v[125:128], v[17:18], off offset:16
	global_load_b128 v[113:116], v[19:20], off
	global_load_b128 v[117:120], v[19:20], off offset:16
	;; [unrolled: 2-line block ×12, first 2 shown]
	s_mul_hi_i32 s51, s15, s5
	s_mul_i32 s50, s15, s5
	s_delay_alu instid0(SALU_CYCLE_1) | instskip(NEXT) | instid1(SALU_CYCLE_1)
	s_lshl_b64 s[40:41], s[50:51], 1
	v_add_co_u32 v193, vcc_lo, v195, s40
	v_add_co_ci_u32_e32 v194, vcc_lo, s41, v196, vcc_lo
	s_waitcnt lgkmcnt(0)
	s_mul_hi_i32 s7, s3, s5
	s_mul_i32 s6, s3, s5
	s_mul_hi_i32 s9, s4, s5
	s_lshl_b64 s[6:7], s[6:7], 1
	s_mul_i32 s8, s4, s5
	s_delay_alu instid0(SALU_CYCLE_1)
	s_lshl_b64 s[4:5], s[8:9], 1
	s_waitcnt vmcnt(38)
	v_wmma_f32_16x16x16_bf16 v[183:190], v[1:8], v[159:166], v[137:144]
	s_waitcnt vmcnt(36)
	v_wmma_f32_16x16x16_bf16 v[137:144], v[129:136], v[159:166], v[137:144]
	s_clause 0x1
	global_load_b128 v[1:4], v[191:192], off
	global_load_b128 v[5:8], v[191:192], off offset:16
	ds_load_b128 v[129:132], v197 offset:2048
	ds_load_b128 v[133:136], v197 offset:3072
	;; [unrolled: 1-line block ×4, first 2 shown]
	v_add_co_u32 v191, vcc_lo, v195, s6
	v_add_co_ci_u32_e32 v192, vcc_lo, s7, v196, vcc_lo
	v_add_co_u32 v195, vcc_lo, v195, s4
	v_add_co_ci_u32_e32 v196, vcc_lo, s5, v196, vcc_lo
	s_waitcnt vmcnt(36) lgkmcnt(2)
	v_wmma_f32_16x16x16_bf16 v[183:190], v[33:40], v[129:136], v[183:190]
	s_waitcnt vmcnt(34)
	v_wmma_f32_16x16x16_bf16 v[137:144], v[25:32], v[129:136], v[137:144]
	s_clause 0x3
	global_load_b128 v[25:28], v[193:194], off
	global_load_b128 v[29:32], v[193:194], off offset:16
	global_load_b128 v[33:36], v[191:192], off
	global_load_b128 v[37:40], v[191:192], off offset:16
	v_and_b32_e32 v129, 0xe0, v0
	v_mbcnt_lo_u32_b32 v191, -1, 0
	s_waitcnt vmcnt(36) lgkmcnt(0)
	v_wmma_f32_16x16x16_bf16 v[183:190], v[9:16], v[159:166], v[183:190]
	s_clause 0x1
	global_load_b128 v[9:12], v[195:196], off
	global_load_b128 v[13:16], v[195:196], off offset:16
	s_waitcnt vmcnt(36)
	v_wmma_f32_16x16x16_bf16 v[137:144], v[151:158], v[159:166], v[137:144]
	v_add_nc_u32_e32 v192, s34, v129
	ds_load_b128 v[129:132], v197 offset:6144
	ds_load_b128 v[133:136], v197 offset:7168
	v_xor_b32_e32 v151, 16, v191
	s_waitcnt vmcnt(0) lgkmcnt(0)
	s_barrier
	v_or_b32_e32 v152, v192, v146
	buffer_gl0_inv
	v_cmp_gt_i32_e32 vcc_lo, 32, v151
	v_or_b32_e32 v153, 2, v152
	v_or_b32_e32 v154, 4, v152
	;; [unrolled: 1-line block ×5, first 2 shown]
	v_cmp_gt_i32_e64 s3, s33, v153
	v_cmp_gt_i32_e64 s4, s33, v154
	;; [unrolled: 1-line block ×3, first 2 shown]
	v_or_b32_e32 v158, 12, v152
	v_or_b32_e32 v159, 14, v152
	v_cmp_gt_i32_e64 s6, s33, v156
	v_wmma_f32_16x16x16_bf16 v[183:190], v[167:174], v[129:136], v[183:190]
	v_wmma_f32_16x16x16_bf16 v[137:144], v[175:182], v[129:136], v[137:144]
	v_cndmask_b32_e32 v151, v191, v151, vcc_lo
	v_cmp_gt_i32_e32 vcc_lo, s33, v152
	v_cmp_gt_i32_e64 s7, s33, v157
	v_dual_mul_f32 v135, s35, v184 :: v_dual_mul_f32 v136, s35, v183
	v_dual_mul_f32 v133, s35, v186 :: v_dual_mul_f32 v134, s35, v185
	;; [unrolled: 1-line block ×3, first 2 shown]
	s_delay_alu instid0(VALU_DEP_3) | instskip(NEXT) | instid1(VALU_DEP_4)
	v_cndmask_b32_e32 v136, 0xff7fffff, v136, vcc_lo
	v_cndmask_b32_e64 v135, 0xff7fffff, v135, s3
	v_mul_f32_e32 v132, s35, v187
	v_cndmask_b32_e64 v134, 0xff7fffff, v134, s4
	v_cndmask_b32_e64 v133, 0xff7fffff, v133, s5
	v_or_b32_e32 v160, 16, v152
	v_max3_f32 v135, v136, 0xff7fffff, v135
	v_or_b32_e32 v161, 18, v152
	v_mul_f32_e32 v130, s35, v189
	v_dual_mul_f32 v172, s35, v140 :: v_dual_mul_f32 v129, s35, v190
	v_cndmask_b32_e64 v132, 0xff7fffff, v132, s6
	v_cndmask_b32_e64 v131, 0xff7fffff, v131, s7
	v_max3_f32 v133, v135, v134, v133
	v_cmp_gt_i32_e64 s8, s33, v158
	v_lshlrev_b32_e32 v158, 2, v151
	v_cmp_gt_i32_e64 s9, s33, v159
	v_or_b32_e32 v162, 20, v152
	v_or_b32_e32 v163, 22, v152
	v_mul_f32_e32 v175, s35, v137
	v_cndmask_b32_e64 v130, 0xff7fffff, v130, s8
	v_cndmask_b32_e64 v129, 0xff7fffff, v129, s9
	v_max3_f32 v131, v133, v132, v131
	v_cmp_gt_i32_e64 s10, s33, v160
	v_cmp_gt_i32_e64 s11, s33, v161
	v_or_b32_e32 v164, 24, v152
	v_or_b32_e32 v165, 26, v152
	v_mul_f32_e32 v173, s35, v139
	v_cndmask_b32_e64 v132, 0xff7fffff, v175, s10
	v_cndmask_b32_e64 v133, 0xff7fffff, v174, s11
	v_max3_f32 v129, v131, v130, v129
	v_cmp_gt_i32_e64 s12, s33, v162
	v_cmp_gt_i32_e64 s13, s33, v163
	v_or_b32_e32 v166, 28, v152
	v_or_b32_e32 v167, 30, v152
	v_dual_mul_f32 v170, s35, v142 :: v_dual_mul_f32 v171, s35, v141
	v_cndmask_b32_e64 v130, 0xff7fffff, v173, s12
	v_cndmask_b32_e64 v131, 0xff7fffff, v172, s13
	v_max3_f32 v129, v129, v132, v133
	v_cmp_gt_i32_e64 s15, s33, v164
	v_cmp_gt_i32_e64 s16, s33, v165
	v_dual_mul_f32 v168, s35, v144 :: v_dual_mul_f32 v169, s35, v143
	s_delay_alu instid0(VALU_DEP_4) | instskip(NEXT) | instid1(VALU_DEP_4)
	v_max3_f32 v129, v129, v130, v131
	v_cndmask_b32_e64 v132, 0xff7fffff, v171, s15
	s_delay_alu instid0(VALU_DEP_4) | instskip(SKIP_2) | instid1(VALU_DEP_3)
	v_cndmask_b32_e64 v133, 0xff7fffff, v170, s16
	v_cmp_gt_i32_e64 s17, s33, v166
	v_cmp_gt_i32_e64 s18, s33, v167
	v_max3_f32 v129, v129, v132, v133
	s_delay_alu instid0(VALU_DEP_3) | instskip(NEXT) | instid1(VALU_DEP_3)
	v_cndmask_b32_e64 v130, 0xff7fffff, v169, s17
	v_cndmask_b32_e64 v131, 0xff7fffff, v168, s18
	s_delay_alu instid0(VALU_DEP_1) | instskip(SKIP_3) | instid1(VALU_DEP_1)
	v_max3_f32 v129, v129, v130, v131
	ds_bpermute_b32 v130, v158, v129
	s_waitcnt lgkmcnt(0)
	v_max_f32_e32 v130, v130, v130
	v_max_f32_e32 v129, v129, v130
	s_delay_alu instid0(VALU_DEP_1)
	v_fma_f32 v130, s35, v183, -v129
	v_fma_f32 v132, s35, v185, -v129
	;; [unrolled: 1-line block ×5, first 2 shown]
	v_mul_f32_e32 v130, 0x3fb8aa3b, v130
	v_mul_f32_e32 v132, 0x3fb8aa3b, v132
	;; [unrolled: 1-line block ×3, first 2 shown]
	v_fma_f32 v135, s35, v189, -v129
	s_delay_alu instid0(VALU_DEP_4) | instskip(NEXT) | instid1(VALU_DEP_3)
	v_exp_f32_e32 v130, v130
	v_exp_f32_e32 v132, v132
	s_delay_alu instid0(VALU_DEP_2) | instskip(NEXT) | instid1(TRANS32_DEP_3)
	v_exp_f32_e32 v134, v134
	v_cndmask_b32_e32 v152, 0, v130, vcc_lo
	v_fma_f32 v130, s35, v188, -v129
	s_waitcnt_depctr 0xfff
	v_cndmask_b32_e64 v153, 0, v132, s4
	v_fma_f32 v132, s35, v190, -v129
	v_mul_f32_e32 v131, 0x3fb8aa3b, v131
	v_cndmask_b32_e64 v155, 0, v134, s6
	v_dual_mul_f32 v130, 0x3fb8aa3b, v130 :: v_dual_mul_f32 v133, 0x3fb8aa3b, v133
	s_delay_alu instid0(VALU_DEP_4) | instskip(NEXT) | instid1(VALU_DEP_4)
	v_mul_f32_e32 v132, 0x3fb8aa3b, v132
	v_exp_f32_e32 v131, v131
	v_fma_f32 v134, s35, v138, -v129
	s_delay_alu instid0(VALU_DEP_3) | instskip(SKIP_2) | instid1(VALU_DEP_1)
	v_exp_f32_e32 v130, v130
	v_exp_f32_e32 v133, v133
	;; [unrolled: 1-line block ×3, first 2 shown]
	v_mul_f32_e32 v134, 0x3fb8aa3b, v134
	v_cndmask_b32_e64 v151, 0, v131, s3
	v_add_f32_e32 v131, 0, v152
	s_delay_alu instid0(TRANS32_DEP_3)
	v_cndmask_b32_e64 v156, 0, v130, s7
	s_waitcnt_depctr 0xfff
	v_cndmask_b32_e64 v154, 0, v133, s5
	v_fma_f32 v133, s35, v137, -v129
	v_exp_f32_e32 v134, v134
	v_add_f32_e32 v131, v131, v151
	s_mov_b32 s3, exec_lo
	s_delay_alu instid0(VALU_DEP_1) | instskip(NEXT) | instid1(VALU_DEP_1)
	v_add_f32_e32 v131, v131, v153
	v_add_f32_e32 v131, v131, v154
	s_delay_alu instid0(VALU_DEP_1) | instskip(SKIP_2) | instid1(VALU_DEP_3)
	v_add_f32_e32 v130, v131, v155
	v_fma_f32 v131, s35, v139, -v129
	v_fma_f32 v139, s35, v144, -v129
	v_dual_add_f32 v130, v130, v156 :: v_dual_mul_f32 v135, 0x3fb8aa3b, v135
	s_delay_alu instid0(VALU_DEP_1)
	v_exp_f32_e32 v135, v135
	s_waitcnt_depctr 0xfff
	v_cndmask_b32_e64 v157, 0, v135, s8
	v_fma_f32 v135, s35, v140, -v129
	v_cndmask_b32_e64 v140, 0, v132, s9
	v_fma_f32 v132, s35, v141, -v129
	s_delay_alu instid0(VALU_DEP_1) | instskip(SKIP_1) | instid1(VALU_DEP_2)
	v_dual_add_f32 v130, v130, v157 :: v_dual_mul_f32 v137, 0x3fb8aa3b, v132
	v_cndmask_b32_e64 v132, 0, v134, s11
	v_dual_add_f32 v130, v130, v140 :: v_dual_mul_f32 v133, 0x3fb8aa3b, v133
	v_mul_f32_e32 v131, 0x3fb8aa3b, v131
	v_fma_f32 v134, s35, v143, -v129
	v_mul_f32_e32 v135, 0x3fb8aa3b, v135
	s_delay_alu instid0(VALU_DEP_4) | instskip(NEXT) | instid1(VALU_DEP_3)
	v_exp_f32_e32 v133, v133
	v_exp_f32_e32 v136, v131
	s_waitcnt_depctr 0xfff
	v_cndmask_b32_e64 v131, 0, v133, s10
	v_fma_f32 v133, s35, v142, -v129
	s_delay_alu instid0(VALU_DEP_2) | instskip(NEXT) | instid1(VALU_DEP_2)
	v_add_f32_e32 v130, v130, v131
	v_mul_f32_e32 v138, 0x3fb8aa3b, v133
	v_cndmask_b32_e64 v133, 0, v136, s12
	v_mul_f32_e32 v136, 0x3fb8aa3b, v134
	v_exp_f32_e32 v135, v135
	v_add_f32_e32 v130, v130, v132
	v_exp_f32_e32 v138, v138
	s_delay_alu instid0(VALU_DEP_2) | instskip(NEXT) | instid1(VALU_DEP_1)
	v_exp_f32_e32 v141, v136
	v_add_f32_e32 v130, v130, v133
	v_exp_f32_e32 v137, v137
	v_cndmask_b32_e64 v134, 0, v135, s13
	s_delay_alu instid0(TRANS32_DEP_3) | instskip(NEXT) | instid1(VALU_DEP_2)
	v_cndmask_b32_e64 v136, 0, v138, s16
	v_add_f32_e32 v130, v130, v134
	s_waitcnt_depctr 0xfff
	v_cndmask_b32_e64 v135, 0, v137, s15
	v_mul_f32_e32 v137, 0x3fb8aa3b, v139
	s_delay_alu instid0(VALU_DEP_2) | instskip(NEXT) | instid1(VALU_DEP_2)
	v_add_f32_e32 v130, v130, v135
	v_exp_f32_e32 v138, v137
	v_cndmask_b32_e64 v137, 0, v141, s17
	s_delay_alu instid0(VALU_DEP_2) | instskip(NEXT) | instid1(VALU_DEP_1)
	v_add_f32_e32 v130, v130, v136
	v_add_f32_e32 v130, v130, v137
	s_waitcnt_depctr 0xfff
	v_cndmask_b32_e64 v138, 0, v138, s18
	s_delay_alu instid0(VALU_DEP_1)
	v_add_f32_e32 v130, v130, v138
	ds_bpermute_b32 v139, v158, v130
	v_cmpx_gt_u32_e32 16, v150
	s_cbranch_execz .LBB435_12
; %bb.11:
	v_mul_u32_u24_e32 v141, 0x44, v149
	s_delay_alu instid0(VALU_DEP_1) | instskip(SKIP_1) | instid1(VALU_DEP_1)
	v_lshl_add_u32 v141, v148, 2, v141
	s_waitcnt lgkmcnt(0)
	v_dual_add_f32 v130, v130, v139 :: v_dual_add_nc_u32 v139, 0x4000, v141
	ds_store_2addr_b32 v139, v129, v130 offset1:136
.LBB435_12:
	s_or_b32 exec_lo, exec_lo, s3
	v_lshlrev_b32_e32 v129, 2, v148
	s_waitcnt lgkmcnt(0)
	s_barrier
	buffer_gl0_inv
	v_cmp_eq_u32_e64 s3, 1, v149
	v_add_nc_u32_e32 v139, 0x4000, v129
	ds_load_2addr_b32 v[141:142], v139 offset1:17
	ds_load_2addr_b32 v[143:144], v139 offset0:34 offset1:51
	ds_load_2addr_b32 v[158:159], v139 offset0:68 offset1:85
	;; [unrolled: 1-line block ×4, first 2 shown]
	s_waitcnt lgkmcnt(4)
	v_max3_f32 v129, v141, 0xff7fffff, v142
	s_waitcnt lgkmcnt(3)
	s_delay_alu instid0(VALU_DEP_1) | instskip(SKIP_1) | instid1(VALU_DEP_1)
	v_max3_f32 v129, v129, v143, v144
	s_waitcnt lgkmcnt(2)
	v_max3_f32 v129, v129, v158, v159
	s_waitcnt lgkmcnt(1)
	s_delay_alu instid0(VALU_DEP_1) | instskip(NEXT) | instid1(VALU_DEP_1)
	v_max3_f32 v129, v129, v160, v161
	v_sub_f32_e32 v158, v158, v129
	s_delay_alu instid0(VALU_DEP_1) | instskip(NEXT) | instid1(VALU_DEP_1)
	v_dual_sub_f32 v150, v142, v129 :: v_dual_mul_f32 v167, 0x3fb8aa3b, v158
	v_dual_sub_f32 v143, v143, v129 :: v_dual_mul_f32 v150, 0x3fb8aa3b, v150
	s_delay_alu instid0(VALU_DEP_1) | instskip(NEXT) | instid1(VALU_DEP_2)
	v_dual_sub_f32 v130, v141, v129 :: v_dual_mul_f32 v165, 0x3fb8aa3b, v143
	v_exp_f32_e32 v150, v150
	s_delay_alu instid0(VALU_DEP_1) | instskip(NEXT) | instid1(VALU_DEP_2)
	v_mul_f32_e32 v130, 0x3fb8aa3b, v130
	v_exp_f32_e32 v165, v165
	s_delay_alu instid0(VALU_DEP_1) | instskip(SKIP_1) | instid1(VALU_DEP_1)
	v_exp_f32_e32 v164, v130
	v_sub_f32_e32 v130, v144, v129
	v_mul_f32_e32 v166, 0x3fb8aa3b, v130
	s_waitcnt lgkmcnt(0)
	s_waitcnt_depctr 0xfff
	v_fma_f32 v130, v164, v162, 0
	v_sub_f32_e32 v162, v159, v129
	s_delay_alu instid0(VALU_DEP_2)
	v_fmac_f32_e32 v130, v150, v163
	ds_load_2addr_b32 v[141:142], v139 offset0:170 offset1:187
	ds_load_2addr_b32 v[143:144], v139 offset0:204 offset1:221
	;; [unrolled: 1-line block ×3, first 2 shown]
	v_sub_f32_e32 v139, v160, v129
	v_exp_f32_e32 v166, v166
	v_mul_f32_e32 v160, 0x3fb8aa3b, v162
	v_exp_f32_e32 v162, v167
	v_cndmask_b32_e64 v150, v164, v150, s3
	v_mul_f32_e32 v139, 0x3fb8aa3b, v139
	v_cmp_eq_u32_e64 s3, 2, v149
	s_waitcnt lgkmcnt(0)
	s_barrier
	buffer_gl0_inv
	v_exp_f32_e32 v139, v139
	v_cndmask_b32_e64 v150, v150, v165, s3
	v_cmp_eq_u32_e64 s3, 3, v149
	v_fmac_f32_e32 v130, v165, v141
	v_sub_f32_e32 v141, v161, v129
	v_exp_f32_e32 v160, v160
	s_delay_alu instid0(VALU_DEP_3) | instskip(SKIP_1) | instid1(VALU_DEP_3)
	v_cndmask_b32_e64 v150, v150, v166, s3
	v_cmp_eq_u32_e64 s3, 4, v149
	v_dual_fmac_f32 v130, v166, v142 :: v_dual_mul_f32 v141, 0x3fb8aa3b, v141
	s_delay_alu instid0(VALU_DEP_2) | instskip(SKIP_1) | instid1(VALU_DEP_3)
	v_cndmask_b32_e64 v150, v150, v162, s3
	v_cmp_eq_u32_e64 s3, 5, v149
	v_exp_f32_e32 v141, v141
	s_delay_alu instid0(VALU_DEP_3)
	v_fmac_f32_e32 v130, v162, v143
	s_delay_alu instid0(TRANS32_DEP_2) | instid1(VALU_DEP_2)
	v_cndmask_b32_e64 v150, v150, v160, s3
	s_delay_alu instid0(VALU_DEP_2) | instskip(NEXT) | instid1(VALU_DEP_1)
	v_fmac_f32_e32 v130, v160, v144
	v_fmac_f32_e32 v130, v139, v158
	s_waitcnt_depctr 0xfff
	v_fmac_f32_e32 v130, v141, v159
	s_delay_alu instid0(VALU_DEP_1) | instskip(NEXT) | instid1(VALU_DEP_1)
	v_add_f32_e32 v142, 0x358637bd, v130
	v_div_scale_f32 v143, null, v142, v142, 1.0
	v_div_scale_f32 v159, vcc_lo, 1.0, v142, 1.0
	s_delay_alu instid0(VALU_DEP_2) | instskip(SKIP_2) | instid1(VALU_DEP_1)
	v_rcp_f32_e32 v144, v143
	s_waitcnt_depctr 0xfff
	v_fma_f32 v158, -v143, v144, 1.0
	v_fmac_f32_e32 v144, v158, v144
	s_delay_alu instid0(VALU_DEP_1) | instskip(NEXT) | instid1(VALU_DEP_1)
	v_mul_f32_e32 v158, v159, v144
	v_fma_f32 v161, -v143, v158, v159
	s_delay_alu instid0(VALU_DEP_1) | instskip(NEXT) | instid1(VALU_DEP_1)
	v_fmac_f32_e32 v158, v161, v144
	v_fma_f32 v143, -v143, v158, v159
	s_delay_alu instid0(VALU_DEP_1) | instskip(SKIP_1) | instid1(VALU_DEP_2)
	v_div_fmas_f32 v143, v143, v144, v158
	v_cmp_eq_u32_e32 vcc_lo, 6, v149
	v_div_fixup_f32 v142, v143, v142, 1.0
	v_cndmask_b32_e32 v139, v150, v139, vcc_lo
	v_cmp_eq_u32_e32 vcc_lo, 7, v149
	s_delay_alu instid0(VALU_DEP_2) | instskip(NEXT) | instid1(VALU_DEP_1)
	v_cndmask_b32_e32 v139, v139, v141, vcc_lo
	v_mul_f32_e32 v139, v139, v142
	s_delay_alu instid0(VALU_DEP_1) | instskip(SKIP_4) | instid1(VALU_DEP_4)
	v_mul_f32_e32 v153, v139, v153
	v_mul_f32_e32 v142, v139, v152
	;; [unrolled: 1-line block ×5, first 2 shown]
	v_dual_mul_f32 v152, v139, v155 :: v_dual_and_b32 v141, 0x7f800000, v142
	v_mul_f32_e32 v154, v139, v154
	v_mul_f32_e32 v144, v139, v151
	s_delay_alu instid0(VALU_DEP_3) | instskip(SKIP_1) | instid1(SALU_CYCLE_1)
	v_cmp_ne_u32_e32 vcc_lo, 0x7f800000, v141
                                        ; implicit-def: $vgpr141
	s_and_saveexec_b32 s3, vcc_lo
	s_xor_b32 s3, exec_lo, s3
; %bb.13:
	v_bfe_u32 v141, v142, 16, 1
	s_delay_alu instid0(VALU_DEP_1)
	v_add3_u32 v141, v142, v141, 0x7fff
                                        ; implicit-def: $vgpr142
; %bb.14:
	s_and_not1_saveexec_b32 s3, s3
; %bb.15:
	v_and_b32_e32 v141, 0xffff, v142
	v_or_b32_e32 v151, 0x10000, v142
	s_delay_alu instid0(VALU_DEP_2) | instskip(NEXT) | instid1(VALU_DEP_2)
	v_cmp_eq_u32_e32 vcc_lo, 0, v141
	v_cndmask_b32_e32 v141, v151, v142, vcc_lo
; %bb.16:
	s_or_b32 exec_lo, exec_lo, s3
	v_and_b32_e32 v142, 0x7f800000, v144
	s_delay_alu instid0(VALU_DEP_1) | instskip(SKIP_1) | instid1(SALU_CYCLE_1)
	v_cmp_ne_u32_e32 vcc_lo, 0x7f800000, v142
                                        ; implicit-def: $vgpr142
	s_and_saveexec_b32 s3, vcc_lo
	s_xor_b32 s3, exec_lo, s3
; %bb.17:
	v_bfe_u32 v142, v144, 16, 1
	s_delay_alu instid0(VALU_DEP_1)
	v_add3_u32 v142, v144, v142, 0x7fff
                                        ; implicit-def: $vgpr144
; %bb.18:
	s_and_not1_saveexec_b32 s3, s3
; %bb.19:
	v_and_b32_e32 v142, 0xffff, v144
	v_or_b32_e32 v151, 0x10000, v144
	s_delay_alu instid0(VALU_DEP_2) | instskip(NEXT) | instid1(VALU_DEP_2)
	v_cmp_eq_u32_e32 vcc_lo, 0, v142
	v_cndmask_b32_e32 v142, v151, v144, vcc_lo
; %bb.20:
	s_or_b32 exec_lo, exec_lo, s3
	v_and_b32_e32 v144, 0x7f800000, v153
	s_delay_alu instid0(VALU_DEP_1) | instskip(SKIP_1) | instid1(SALU_CYCLE_1)
	v_cmp_ne_u32_e32 vcc_lo, 0x7f800000, v144
                                        ; implicit-def: $vgpr144
	s_and_saveexec_b32 s3, vcc_lo
	s_xor_b32 s3, exec_lo, s3
; %bb.21:
	v_bfe_u32 v144, v153, 16, 1
	s_delay_alu instid0(VALU_DEP_1)
	v_add3_u32 v144, v153, v144, 0x7fff
                                        ; implicit-def: $vgpr153
; %bb.22:
	s_and_not1_saveexec_b32 s3, s3
; %bb.23:
	v_and_b32_e32 v144, 0xffff, v153
	v_or_b32_e32 v151, 0x10000, v153
	s_delay_alu instid0(VALU_DEP_2) | instskip(NEXT) | instid1(VALU_DEP_2)
	v_cmp_eq_u32_e32 vcc_lo, 0, v144
	v_cndmask_b32_e32 v144, v151, v153, vcc_lo
; %bb.24:
	s_or_b32 exec_lo, exec_lo, s3
	v_and_b32_e32 v151, 0x7f800000, v154
	s_delay_alu instid0(VALU_DEP_1) | instskip(SKIP_1) | instid1(SALU_CYCLE_1)
	v_cmp_ne_u32_e32 vcc_lo, 0x7f800000, v151
                                        ; implicit-def: $vgpr151
	s_and_saveexec_b32 s3, vcc_lo
	s_xor_b32 s3, exec_lo, s3
; %bb.25:
	v_bfe_u32 v151, v154, 16, 1
	s_delay_alu instid0(VALU_DEP_1)
	v_add3_u32 v151, v154, v151, 0x7fff
                                        ; implicit-def: $vgpr154
; %bb.26:
	s_and_not1_saveexec_b32 s3, s3
; %bb.27:
	v_and_b32_e32 v151, 0xffff, v154
	v_or_b32_e32 v153, 0x10000, v154
	s_delay_alu instid0(VALU_DEP_2) | instskip(NEXT) | instid1(VALU_DEP_2)
	v_cmp_eq_u32_e32 vcc_lo, 0, v151
	v_cndmask_b32_e32 v151, v153, v154, vcc_lo
; %bb.28:
	s_or_b32 exec_lo, exec_lo, s3
	v_and_b32_e32 v153, 0x7f800000, v152
	s_delay_alu instid0(VALU_DEP_1) | instskip(SKIP_1) | instid1(SALU_CYCLE_1)
	v_cmp_ne_u32_e32 vcc_lo, 0x7f800000, v153
                                        ; implicit-def: $vgpr153
	s_and_saveexec_b32 s3, vcc_lo
	s_xor_b32 s3, exec_lo, s3
; %bb.29:
	v_bfe_u32 v153, v152, 16, 1
	s_delay_alu instid0(VALU_DEP_1)
	v_add3_u32 v153, v152, v153, 0x7fff
                                        ; implicit-def: $vgpr152
; %bb.30:
	s_and_not1_saveexec_b32 s3, s3
; %bb.31:
	v_and_b32_e32 v153, 0xffff, v152
	v_or_b32_e32 v154, 0x10000, v152
	s_delay_alu instid0(VALU_DEP_2) | instskip(NEXT) | instid1(VALU_DEP_2)
	v_cmp_eq_u32_e32 vcc_lo, 0, v153
	v_cndmask_b32_e32 v153, v154, v152, vcc_lo
; %bb.32:
	s_or_b32 exec_lo, exec_lo, s3
	v_and_b32_e32 v152, 0x7f800000, v150
	s_delay_alu instid0(VALU_DEP_1) | instskip(SKIP_1) | instid1(SALU_CYCLE_1)
	v_cmp_ne_u32_e32 vcc_lo, 0x7f800000, v152
                                        ; implicit-def: $vgpr152
	s_and_saveexec_b32 s3, vcc_lo
	s_xor_b32 s3, exec_lo, s3
; %bb.33:
	v_bfe_u32 v152, v150, 16, 1
	s_delay_alu instid0(VALU_DEP_1)
	v_add3_u32 v152, v150, v152, 0x7fff
                                        ; implicit-def: $vgpr150
; %bb.34:
	s_and_not1_saveexec_b32 s3, s3
; %bb.35:
	v_and_b32_e32 v152, 0xffff, v150
	v_or_b32_e32 v154, 0x10000, v150
	s_delay_alu instid0(VALU_DEP_2) | instskip(NEXT) | instid1(VALU_DEP_2)
	v_cmp_eq_u32_e32 vcc_lo, 0, v152
	v_cndmask_b32_e32 v152, v154, v150, vcc_lo
; %bb.36:
	s_or_b32 exec_lo, exec_lo, s3
	v_and_b32_e32 v150, 0x7f800000, v143
	s_delay_alu instid0(VALU_DEP_1) | instskip(SKIP_1) | instid1(SALU_CYCLE_1)
	v_cmp_ne_u32_e32 vcc_lo, 0x7f800000, v150
                                        ; implicit-def: $vgpr150
	s_and_saveexec_b32 s3, vcc_lo
	s_xor_b32 s3, exec_lo, s3
; %bb.37:
	v_bfe_u32 v150, v143, 16, 1
	s_delay_alu instid0(VALU_DEP_1)
	v_add3_u32 v150, v143, v150, 0x7fff
                                        ; implicit-def: $vgpr143
; %bb.38:
	s_and_not1_saveexec_b32 s3, s3
; %bb.39:
	v_and_b32_e32 v150, 0xffff, v143
	v_or_b32_e32 v154, 0x10000, v143
	s_delay_alu instid0(VALU_DEP_2) | instskip(NEXT) | instid1(VALU_DEP_2)
	v_cmp_eq_u32_e32 vcc_lo, 0, v150
	v_cndmask_b32_e32 v150, v154, v143, vcc_lo
; %bb.40:
	s_or_b32 exec_lo, exec_lo, s3
	v_and_b32_e32 v143, 0x7f800000, v140
	s_delay_alu instid0(VALU_DEP_1) | instskip(SKIP_1) | instid1(SALU_CYCLE_1)
	v_cmp_ne_u32_e32 vcc_lo, 0x7f800000, v143
                                        ; implicit-def: $vgpr143
	s_and_saveexec_b32 s3, vcc_lo
	s_xor_b32 s3, exec_lo, s3
; %bb.41:
	v_bfe_u32 v143, v140, 16, 1
	s_delay_alu instid0(VALU_DEP_1)
	v_add3_u32 v143, v140, v143, 0x7fff
                                        ; implicit-def: $vgpr140
; %bb.42:
	s_and_not1_saveexec_b32 s3, s3
; %bb.43:
	v_and_b32_e32 v143, 0xffff, v140
	v_or_b32_e32 v154, 0x10000, v140
	s_delay_alu instid0(VALU_DEP_2) | instskip(NEXT) | instid1(VALU_DEP_2)
	v_cmp_eq_u32_e32 vcc_lo, 0, v143
	v_cndmask_b32_e32 v143, v154, v140, vcc_lo
; %bb.44:
	s_or_b32 exec_lo, exec_lo, s3
	s_load_b64 s[34:35], s[0:1], 0x94
	v_dual_mul_f32 v136, v139, v136 :: v_dual_lshlrev_b32 v155, 4, v146
	s_delay_alu instid0(VALU_DEP_2)
	v_perm_b32 v154, v143, v150, 0x7060302
	v_dual_mul_f32 v143, v139, v131 :: v_dual_lshlrev_b32 v140, 6, v148
	v_dual_mul_f32 v135, v139, v135 :: v_dual_lshlrev_b32 v150, 11, v149
	v_perm_b32 v153, v152, v153, 0x7060302
	v_perm_b32 v152, v151, v144, 0x7060302
	;; [unrolled: 1-line block ×3, first 2 shown]
	s_delay_alu instid0(VALU_DEP_4)
	v_or3_b32 v131, v155, v150, v140
	v_mul_f32_e32 v138, v139, v138
	v_dual_mul_f32 v137, v139, v137 :: v_dual_and_b32 v144, 0x7f800000, v143
	v_mul_f32_e32 v141, v139, v134
	v_mul_f32_e32 v142, v139, v133
	;; [unrolled: 1-line block ×3, first 2 shown]
	s_mov_b32 s3, exec_lo
	ds_store_b128 v131, v[151:154]
                                        ; implicit-def: $vgpr132
	v_cmpx_ne_u32_e32 0x7f800000, v144
	s_xor_b32 s3, exec_lo, s3
; %bb.45:
	v_bfe_u32 v132, v143, 16, 1
	s_delay_alu instid0(VALU_DEP_1)
	v_add3_u32 v132, v143, v132, 0x7fff
                                        ; implicit-def: $vgpr143
; %bb.46:
	s_and_not1_saveexec_b32 s3, s3
; %bb.47:
	v_and_b32_e32 v132, 0xffff, v143
	v_or_b32_e32 v133, 0x10000, v143
	s_delay_alu instid0(VALU_DEP_2) | instskip(NEXT) | instid1(VALU_DEP_2)
	v_cmp_eq_u32_e32 vcc_lo, 0, v132
	v_cndmask_b32_e32 v132, v133, v143, vcc_lo
; %bb.48:
	s_or_b32 exec_lo, exec_lo, s3
	v_and_b32_e32 v133, 0x7f800000, v134
	s_delay_alu instid0(VALU_DEP_1) | instskip(SKIP_1) | instid1(SALU_CYCLE_1)
	v_cmp_ne_u32_e32 vcc_lo, 0x7f800000, v133
                                        ; implicit-def: $vgpr133
	s_and_saveexec_b32 s3, vcc_lo
	s_xor_b32 s3, exec_lo, s3
; %bb.49:
	v_bfe_u32 v133, v134, 16, 1
	s_delay_alu instid0(VALU_DEP_1)
	v_add3_u32 v133, v134, v133, 0x7fff
                                        ; implicit-def: $vgpr134
; %bb.50:
	s_and_not1_saveexec_b32 s3, s3
; %bb.51:
	v_and_b32_e32 v133, 0xffff, v134
	v_or_b32_e32 v139, 0x10000, v134
	s_delay_alu instid0(VALU_DEP_2) | instskip(NEXT) | instid1(VALU_DEP_2)
	v_cmp_eq_u32_e32 vcc_lo, 0, v133
	v_cndmask_b32_e32 v133, v139, v134, vcc_lo
; %bb.52:
	s_or_b32 exec_lo, exec_lo, s3
	v_and_b32_e32 v134, 0x7f800000, v142
	s_delay_alu instid0(VALU_DEP_1) | instskip(SKIP_1) | instid1(SALU_CYCLE_1)
	v_cmp_ne_u32_e32 vcc_lo, 0x7f800000, v134
                                        ; implicit-def: $vgpr134
	s_and_saveexec_b32 s3, vcc_lo
	s_xor_b32 s3, exec_lo, s3
; %bb.53:
	v_bfe_u32 v134, v142, 16, 1
	s_delay_alu instid0(VALU_DEP_1)
	v_add3_u32 v134, v142, v134, 0x7fff
                                        ; implicit-def: $vgpr142
; %bb.54:
	s_and_not1_saveexec_b32 s3, s3
; %bb.55:
	v_and_b32_e32 v134, 0xffff, v142
	v_or_b32_e32 v139, 0x10000, v142
	s_delay_alu instid0(VALU_DEP_2) | instskip(NEXT) | instid1(VALU_DEP_2)
	v_cmp_eq_u32_e32 vcc_lo, 0, v134
	v_cndmask_b32_e32 v134, v139, v142, vcc_lo
; %bb.56:
	s_or_b32 exec_lo, exec_lo, s3
	v_and_b32_e32 v139, 0x7f800000, v141
	s_delay_alu instid0(VALU_DEP_1) | instskip(SKIP_1) | instid1(SALU_CYCLE_1)
	v_cmp_ne_u32_e32 vcc_lo, 0x7f800000, v139
                                        ; implicit-def: $vgpr139
	s_and_saveexec_b32 s3, vcc_lo
	s_xor_b32 s3, exec_lo, s3
; %bb.57:
	v_bfe_u32 v139, v141, 16, 1
	s_delay_alu instid0(VALU_DEP_1)
	v_add3_u32 v139, v141, v139, 0x7fff
                                        ; implicit-def: $vgpr141
; %bb.58:
	s_and_not1_saveexec_b32 s3, s3
; %bb.59:
	v_and_b32_e32 v139, 0xffff, v141
	v_or_b32_e32 v142, 0x10000, v141
	s_delay_alu instid0(VALU_DEP_2) | instskip(NEXT) | instid1(VALU_DEP_2)
	v_cmp_eq_u32_e32 vcc_lo, 0, v139
	v_cndmask_b32_e32 v139, v142, v141, vcc_lo
; %bb.60:
	s_or_b32 exec_lo, exec_lo, s3
	v_and_b32_e32 v141, 0x7f800000, v135
	s_delay_alu instid0(VALU_DEP_1) | instskip(SKIP_1) | instid1(SALU_CYCLE_1)
	v_cmp_ne_u32_e32 vcc_lo, 0x7f800000, v141
                                        ; implicit-def: $vgpr141
	s_and_saveexec_b32 s3, vcc_lo
	s_xor_b32 s3, exec_lo, s3
; %bb.61:
	v_bfe_u32 v141, v135, 16, 1
	s_delay_alu instid0(VALU_DEP_1)
	v_add3_u32 v141, v135, v141, 0x7fff
                                        ; implicit-def: $vgpr135
; %bb.62:
	s_and_not1_saveexec_b32 s3, s3
; %bb.63:
	v_and_b32_e32 v141, 0xffff, v135
	v_or_b32_e32 v142, 0x10000, v135
	s_delay_alu instid0(VALU_DEP_2) | instskip(NEXT) | instid1(VALU_DEP_2)
	v_cmp_eq_u32_e32 vcc_lo, 0, v141
	v_cndmask_b32_e32 v141, v142, v135, vcc_lo
; %bb.64:
	s_or_b32 exec_lo, exec_lo, s3
	v_and_b32_e32 v135, 0x7f800000, v136
	s_delay_alu instid0(VALU_DEP_1) | instskip(SKIP_1) | instid1(SALU_CYCLE_1)
	v_cmp_ne_u32_e32 vcc_lo, 0x7f800000, v135
                                        ; implicit-def: $vgpr135
	s_and_saveexec_b32 s3, vcc_lo
	s_xor_b32 s3, exec_lo, s3
; %bb.65:
	v_bfe_u32 v135, v136, 16, 1
	s_delay_alu instid0(VALU_DEP_1)
	v_add3_u32 v135, v136, v135, 0x7fff
                                        ; implicit-def: $vgpr136
; %bb.66:
	s_and_not1_saveexec_b32 s3, s3
; %bb.67:
	v_and_b32_e32 v135, 0xffff, v136
	v_or_b32_e32 v142, 0x10000, v136
	s_delay_alu instid0(VALU_DEP_2) | instskip(NEXT) | instid1(VALU_DEP_2)
	v_cmp_eq_u32_e32 vcc_lo, 0, v135
	v_cndmask_b32_e32 v135, v142, v136, vcc_lo
; %bb.68:
	s_or_b32 exec_lo, exec_lo, s3
	v_and_b32_e32 v136, 0x7f800000, v137
	s_delay_alu instid0(VALU_DEP_1) | instskip(SKIP_1) | instid1(SALU_CYCLE_1)
	v_cmp_ne_u32_e32 vcc_lo, 0x7f800000, v136
                                        ; implicit-def: $vgpr136
	s_and_saveexec_b32 s3, vcc_lo
	s_xor_b32 s3, exec_lo, s3
; %bb.69:
	v_bfe_u32 v136, v137, 16, 1
	s_delay_alu instid0(VALU_DEP_1)
	v_add3_u32 v136, v137, v136, 0x7fff
                                        ; implicit-def: $vgpr137
; %bb.70:
	s_and_not1_saveexec_b32 s3, s3
; %bb.71:
	v_and_b32_e32 v136, 0xffff, v137
	v_or_b32_e32 v142, 0x10000, v137
	s_delay_alu instid0(VALU_DEP_2) | instskip(NEXT) | instid1(VALU_DEP_2)
	v_cmp_eq_u32_e32 vcc_lo, 0, v136
	v_cndmask_b32_e32 v136, v142, v137, vcc_lo
; %bb.72:
	s_or_b32 exec_lo, exec_lo, s3
	v_and_b32_e32 v137, 0x7f800000, v138
	s_delay_alu instid0(VALU_DEP_1) | instskip(SKIP_1) | instid1(SALU_CYCLE_1)
	v_cmp_ne_u32_e32 vcc_lo, 0x7f800000, v137
                                        ; implicit-def: $vgpr137
	s_and_saveexec_b32 s3, vcc_lo
	s_xor_b32 s3, exec_lo, s3
; %bb.73:
	v_bfe_u32 v137, v138, 16, 1
	s_delay_alu instid0(VALU_DEP_1)
	v_add3_u32 v137, v138, v137, 0x7fff
                                        ; implicit-def: $vgpr138
; %bb.74:
	s_and_not1_saveexec_b32 s3, s3
; %bb.75:
	v_and_b32_e32 v137, 0xffff, v138
	v_or_b32_e32 v142, 0x10000, v138
	s_delay_alu instid0(VALU_DEP_2) | instskip(NEXT) | instid1(VALU_DEP_2)
	v_cmp_eq_u32_e32 vcc_lo, 0, v137
	v_cndmask_b32_e32 v137, v142, v138, vcc_lo
; %bb.76:
	s_or_b32 exec_lo, exec_lo, s3
	s_delay_alu instid0(VALU_DEP_1)
	v_perm_b32 v136, v137, v136, 0x7060302
	v_perm_b32 v135, v135, v141, 0x7060302
	;; [unrolled: 1-line block ×4, first 2 shown]
	v_lshl_or_b32 v141, v149, 11, v140
	ds_store_b128 v131, v[133:136] offset:1024
	s_waitcnt lgkmcnt(0)
	s_barrier
	buffer_gl0_inv
	ds_load_b128 v[132:135], v141
	ds_load_b128 v[149:152], v141 offset:16
	s_waitcnt lgkmcnt(1)
	v_lshrrev_b32_e32 v136, 16, v132
	s_waitcnt lgkmcnt(0)
	v_lshrrev_b32_e32 v164, 16, v151
	v_lshlrev_b32_e32 v138, 2, v146
	v_lshrrev_b32_e32 v143, 16, v149
	v_lshrrev_b32_e32 v162, 16, v150
	;; [unrolled: 1-line block ×4, first 2 shown]
	v_or_b32_e32 v139, 1, v138
	v_lshrrev_b32_e32 v165, 16, v152
	v_lshrrev_b32_e32 v163, 16, v135
	s_delay_alu instid0(VALU_DEP_3)
	v_cmp_eq_u32_e64 s7, 1, v139
	v_cmp_eq_u32_e64 s6, 2, v139
	;; [unrolled: 1-line block ×4, first 2 shown]
	v_cmp_eq_u32_e32 vcc_lo, 5, v139
	v_cndmask_b32_e64 v155, v149, v143, s7
	v_cndmask_b32_e64 v154, v132, v136, s7
	v_cmp_eq_u32_e64 s4, 6, v139
	v_cmp_eq_u32_e64 s19, 7, v139
	s_delay_alu instid0(VALU_DEP_4) | instskip(NEXT) | instid1(VALU_DEP_4)
	v_cndmask_b32_e64 v155, v155, v150, s6
	v_cndmask_b32_e64 v154, v154, v133, s6
	s_delay_alu instid0(VALU_DEP_2) | instskip(NEXT) | instid1(VALU_DEP_2)
	v_cndmask_b32_e64 v155, v155, v162, s5
	v_cndmask_b32_e64 v154, v154, v144, s5
	s_delay_alu instid0(VALU_DEP_2) | instskip(NEXT) | instid1(VALU_DEP_2)
	v_cndmask_b32_e64 v155, v155, v151, s3
	v_cndmask_b32_e64 v154, v154, v134, s3
	s_delay_alu instid0(VALU_DEP_2)
	v_cndmask_b32_e32 v157, v155, v164, vcc_lo
	v_cmp_eq_u32_e64 s12, 1, v138
	v_cmp_eq_u32_e64 s11, 2, v138
	;; [unrolled: 1-line block ×3, first 2 shown]
	v_or_b32_e32 v137, 2, v138
	v_cmp_eq_u32_e64 s17, 4, v138
	v_cndmask_b32_e64 v153, v149, v143, s12
	v_cndmask_b32_e64 v142, v132, v136, s12
	v_cmp_eq_u32_e64 s13, 5, v138
	v_cmp_eq_u32_e64 s8, 1, v137
	;; [unrolled: 1-line block ×3, first 2 shown]
	v_cndmask_b32_e64 v153, v153, v150, s11
	v_cndmask_b32_e64 v142, v142, v133, s11
	v_cmp_eq_u32_e64 s10, 2, v137
	v_cndmask_b32_e64 v156, v132, v136, s8
	v_cndmask_b32_e32 v154, v154, v161, vcc_lo
	v_cndmask_b32_e64 v153, v153, v162, s16
	v_cndmask_b32_e64 v142, v142, v144, s16
	v_cmp_eq_u32_e64 s9, 7, v138
	v_cndmask_b32_e64 v156, v156, v133, s10
	v_cmp_eq_u32_e64 s18, 3, v137
	v_cndmask_b32_e64 v153, v153, v151, s17
	v_cndmask_b32_e64 v142, v142, v134, s17
	;; [unrolled: 1-line block ×3, first 2 shown]
	v_cmp_eq_u32_e64 s20, 4, v137
	v_cndmask_b32_e64 v156, v156, v144, s18
	v_cndmask_b32_e64 v153, v153, v164, s13
	;; [unrolled: 1-line block ×4, first 2 shown]
	v_cmp_eq_u32_e64 s22, 5, v137
	v_cndmask_b32_e64 v159, v156, v134, s20
	v_cndmask_b32_e64 v153, v153, v152, s15
	;; [unrolled: 1-line block ×3, first 2 shown]
	v_cmp_eq_u32_e64 s25, 6, v137
	v_cmp_eq_u32_e64 s27, 7, v137
	v_cndmask_b32_e64 v169, v159, v161, s22
	v_cndmask_b32_e64 v167, v153, v165, s9
	;; [unrolled: 1-line block ×4, first 2 shown]
	v_or_b32_e32 v142, 3, v138
	s_delay_alu instid0(VALU_DEP_3)
	v_cndmask_b32_e64 v158, v153, v150, s10
	ds_load_b128 v[153:156], v141 offset:1024
	v_cmp_eq_u32_e64 s21, 1, v142
	v_cmp_eq_u32_e64 s23, 2, v142
	;; [unrolled: 1-line block ×3, first 2 shown]
	v_cndmask_b32_e64 v158, v158, v162, s18
	v_cmp_eq_u32_e64 s26, 4, v142
	v_cndmask_b32_e64 v132, v132, v136, s21
	v_cndmask_b32_e64 v136, v157, v152, s4
	;; [unrolled: 1-line block ×4, first 2 shown]
	ds_load_b128 v[157:160], v141 offset:1040
	v_cndmask_b32_e64 v132, v132, v133, s23
	v_cmp_eq_u32_e64 s28, 5, v142
	v_cndmask_b32_e64 v143, v143, v150, s23
	v_cmp_eq_u32_e64 s29, 6, v142
	v_cndmask_b32_e64 v133, v170, v164, s22
	v_cndmask_b32_e64 v132, v132, v144, s24
	;; [unrolled: 1-line block ×5, first 2 shown]
	s_waitcnt lgkmcnt(1)
	v_lshrrev_b32_e32 v149, 16, v153
	v_cndmask_b32_e64 v132, v132, v134, s26
	v_cndmask_b32_e64 v133, v133, v152, s25
	;; [unrolled: 1-line block ×3, first 2 shown]
	v_lshrrev_b32_e32 v151, 16, v154
	v_cndmask_b32_e64 v143, v153, v149, s12
	v_cndmask_b32_e64 v132, v132, v161, s28
	;; [unrolled: 1-line block ×5, first 2 shown]
	s_waitcnt lgkmcnt(0)
	v_lshrrev_b32_e32 v150, 16, v157
	v_cndmask_b32_e64 v143, v143, v154, s11
	v_cndmask_b32_e64 v132, v132, v135, s29
	;; [unrolled: 1-line block ×3, first 2 shown]
	v_lshrrev_b32_e32 v164, 16, v159
	v_cndmask_b32_e64 v162, v157, v150, s12
	v_cndmask_b32_e64 v135, v143, v151, s16
	;; [unrolled: 1-line block ×3, first 2 shown]
	v_lshrrev_b32_e32 v161, 16, v158
	v_cndmask_b32_e64 v133, v133, v165, s27
	v_cndmask_b32_e64 v152, v162, v158, s11
	v_cmp_eq_u32_e64 s11, 7, v142
	v_cndmask_b32_e64 v143, v143, v151, s5
	v_cndmask_b32_e64 v135, v135, v155, s17
	v_lshrrev_b32_e32 v162, 16, v155
	v_cndmask_b32_e64 v152, v152, v161, s16
	v_cndmask_b32_e64 v132, v132, v163, s11
	;; [unrolled: 1-line block ×6, first 2 shown]
	s_delay_alu instid0(VALU_DEP_4) | instskip(NEXT) | instid1(VALU_DEP_4)
	v_perm_b32 v135, v134, v132, 0x5040100
	v_cndmask_b32_e32 v132, v143, v162, vcc_lo
	s_delay_alu instid0(VALU_DEP_4)
	v_cndmask_b32_e64 v143, v163, v156, s15
	v_lshrrev_b32_e32 v163, 16, v156
	v_cndmask_b32_e64 v152, v152, v164, s13
	v_perm_b32 v134, v133, v144, 0x5040100
	v_cndmask_b32_e64 v132, v132, v156, s4
	v_perm_b32 v133, v136, v168, 0x5040100
	v_cndmask_b32_e64 v136, v143, v163, s9
	v_cndmask_b32_e64 v143, v152, v160, s15
	;; [unrolled: 1-line block ×13, first 2 shown]
	v_lshrrev_b32_e32 v144, 16, v160
	v_cndmask_b32_e64 v132, v132, v151, s18
	v_cndmask_b32_e64 v149, v149, v151, s24
	;; [unrolled: 1-line block ×14, first 2 shown]
	v_cndmask_b32_e32 v150, v150, v164, vcc_lo
	v_cndmask_b32_e64 v132, v132, v156, s25
	v_cndmask_b32_e64 v149, v149, v156, s29
	;; [unrolled: 1-line block ×11, first 2 shown]
	v_perm_b32 v132, v167, v166, 0x5040100
	v_perm_b32 v152, v151, v149, 0x5040100
	;; [unrolled: 1-line block ×5, first 2 shown]
	s_mul_i32 s8, s35, 14
	s_mov_b32 s3, exec_lo
	ds_store_b128 v131, v[132:135]
	ds_store_b128 v131, v[149:152] offset:1024
	v_cmpx_gt_u32_e32 14, v0
	s_cbranch_execz .LBB435_78
; %bb.77:
	s_mul_i32 s4, s8, s30
	s_delay_alu instid0(SALU_CYCLE_1) | instskip(SKIP_1) | instid1(VALU_DEP_1)
	v_add3_u32 v133, s4, s31, v148
	s_load_b128 s[4:7], s[0:1], 0x58
	v_mad_u64_u32 v[131:132], null, v133, s34, s[14:15]
	s_delay_alu instid0(VALU_DEP_1) | instskip(NEXT) | instid1(VALU_DEP_1)
	v_ashrrev_i32_e32 v132, 31, v131
	v_lshlrev_b64 v[131:132], 2, v[131:132]
	s_waitcnt lgkmcnt(0)
	s_delay_alu instid0(VALU_DEP_1) | instskip(NEXT) | instid1(VALU_DEP_2)
	v_add_co_u32 v133, vcc_lo, s6, v131
	v_add_co_ci_u32_e32 v134, vcc_lo, s7, v132, vcc_lo
	v_add_co_u32 v131, vcc_lo, s4, v131
	v_add_co_ci_u32_e32 v132, vcc_lo, s5, v132, vcc_lo
	global_store_b32 v[133:134], v129, off
	global_store_b32 v[131:132], v130, off
.LBB435_78:
	s_or_b32 exec_lo, exec_lo, s3
	s_waitcnt lgkmcnt(0)
	s_waitcnt_vscnt null, 0x0
	s_barrier
	buffer_gl0_inv
	ds_load_b128 v[148:151], v140
	ds_load_b128 v[152:155], v140 offset:16
	ds_load_b128 v[160:163], v140 offset:1040
	;; [unrolled: 1-line block ×3, first 2 shown]
	v_mov_b32_e32 v129, 0
	ds_load_b128 v[168:171], v140 offset:2064
	ds_load_b128 v[164:167], v140 offset:2048
	;; [unrolled: 1-line block ×6, first 2 shown]
	v_mov_b32_e32 v130, v129
	v_mov_b32_e32 v131, v129
	;; [unrolled: 1-line block ×7, first 2 shown]
	s_waitcnt lgkmcnt(8)
	s_delay_alu instid0(VALU_DEP_1)
	v_wmma_f32_16x16x16_bf16 v[129:136], v[121:128], v[148:155], v[129:136]
	ds_load_b128 v[125:128], v140 offset:5136
	ds_load_b128 v[121:124], v140 offset:5120
	s_waitcnt lgkmcnt(8)
	v_wmma_f32_16x16x16_bf16 v[129:136], v[113:120], v[156:163], v[129:136]
	ds_load_b128 v[117:120], v140 offset:6160
	ds_load_b128 v[113:116], v140 offset:6144
	s_waitcnt lgkmcnt(8)
	;; [unrolled: 4-line block ×8, first 2 shown]
	v_wmma_f32_16x16x16_bf16 v[129:136], v[65:72], v[97:104], v[129:136]
	s_waitcnt lgkmcnt(6)
	s_delay_alu instid0(VALU_DEP_1)
	v_wmma_f32_16x16x16_bf16 v[129:136], v[49:56], v[89:96], v[129:136]
	ds_load_b128 v[53:56], v140 offset:13328
	ds_load_b128 v[49:52], v140 offset:13312
	s_waitcnt lgkmcnt(6)
	v_wmma_f32_16x16x16_bf16 v[129:136], v[41:48], v[81:88], v[129:136]
	ds_load_b128 v[45:48], v140 offset:14352
	ds_load_b128 v[41:44], v140 offset:14336
	s_waitcnt lgkmcnt(6)
	;; [unrolled: 4-line block ×3, first 2 shown]
	v_wmma_f32_16x16x16_bf16 v[129:136], v[1:8], v[57:64], v[129:136]
	s_waitcnt lgkmcnt(4)
	s_delay_alu instid0(VALU_DEP_1) | instskip(SKIP_1) | instid1(VALU_DEP_1)
	v_wmma_f32_16x16x16_bf16 v[129:136], v[25:32], v[49:56], v[129:136]
	s_waitcnt lgkmcnt(2)
	v_wmma_f32_16x16x16_bf16 v[129:136], v[33:40], v[41:48], v[129:136]
	s_waitcnt lgkmcnt(0)
	s_delay_alu instid0(VALU_DEP_1) | instskip(NEXT) | instid1(VALU_DEP_1)
	v_wmma_f32_16x16x16_bf16 v[129:136], v[9:16], v[17:24], v[129:136]
	v_and_b32_e32 v1, 0x7f800000, v129
	s_delay_alu instid0(VALU_DEP_1) | instskip(SKIP_1) | instid1(SALU_CYCLE_1)
	v_cmp_ne_u32_e32 vcc_lo, 0x7f800000, v1
                                        ; implicit-def: $vgpr1
	s_and_saveexec_b32 s3, vcc_lo
	s_xor_b32 s3, exec_lo, s3
; %bb.79:
	v_bfe_u32 v1, v129, 16, 1
	s_delay_alu instid0(VALU_DEP_1)
	v_add3_u32 v1, v129, v1, 0x7fff
; %bb.80:
	s_and_not1_saveexec_b32 s3, s3
; %bb.81:
	v_and_b32_e32 v1, 0xffff, v129
	v_or_b32_e32 v2, 0x10000, v129
	s_delay_alu instid0(VALU_DEP_2) | instskip(NEXT) | instid1(VALU_DEP_2)
	v_cmp_eq_u32_e32 vcc_lo, 0, v1
	v_cndmask_b32_e32 v1, v2, v129, vcc_lo
; %bb.82:
	s_or_b32 exec_lo, exec_lo, s3
	v_and_b32_e32 v2, 0x7f800000, v130
	s_delay_alu instid0(VALU_DEP_1) | instskip(SKIP_1) | instid1(SALU_CYCLE_1)
	v_cmp_ne_u32_e32 vcc_lo, 0x7f800000, v2
                                        ; implicit-def: $vgpr2
	s_and_saveexec_b32 s3, vcc_lo
	s_xor_b32 s3, exec_lo, s3
; %bb.83:
	v_bfe_u32 v2, v130, 16, 1
	s_delay_alu instid0(VALU_DEP_1)
	v_add3_u32 v2, v130, v2, 0x7fff
; %bb.84:
	s_and_not1_saveexec_b32 s3, s3
; %bb.85:
	v_and_b32_e32 v2, 0xffff, v130
	v_or_b32_e32 v3, 0x10000, v130
	s_delay_alu instid0(VALU_DEP_2) | instskip(NEXT) | instid1(VALU_DEP_2)
	v_cmp_eq_u32_e32 vcc_lo, 0, v2
	v_cndmask_b32_e32 v2, v3, v130, vcc_lo
; %bb.86:
	s_or_b32 exec_lo, exec_lo, s3
	v_and_b32_e32 v3, 0x7f800000, v131
	s_delay_alu instid0(VALU_DEP_1) | instskip(SKIP_1) | instid1(SALU_CYCLE_1)
	v_cmp_ne_u32_e32 vcc_lo, 0x7f800000, v3
                                        ; implicit-def: $vgpr3
	s_and_saveexec_b32 s3, vcc_lo
	s_xor_b32 s3, exec_lo, s3
; %bb.87:
	v_bfe_u32 v3, v131, 16, 1
	s_delay_alu instid0(VALU_DEP_1)
	v_add3_u32 v3, v131, v3, 0x7fff
; %bb.88:
	s_and_not1_saveexec_b32 s3, s3
; %bb.89:
	v_and_b32_e32 v3, 0xffff, v131
	v_or_b32_e32 v4, 0x10000, v131
	s_delay_alu instid0(VALU_DEP_2) | instskip(NEXT) | instid1(VALU_DEP_2)
	v_cmp_eq_u32_e32 vcc_lo, 0, v3
	v_cndmask_b32_e32 v3, v4, v131, vcc_lo
; %bb.90:
	s_or_b32 exec_lo, exec_lo, s3
	v_and_b32_e32 v4, 0x7f800000, v132
	s_delay_alu instid0(VALU_DEP_1) | instskip(SKIP_1) | instid1(SALU_CYCLE_1)
	v_cmp_ne_u32_e32 vcc_lo, 0x7f800000, v4
                                        ; implicit-def: $vgpr4
	s_and_saveexec_b32 s3, vcc_lo
	s_xor_b32 s3, exec_lo, s3
; %bb.91:
	v_bfe_u32 v4, v132, 16, 1
	s_delay_alu instid0(VALU_DEP_1)
	v_add3_u32 v4, v132, v4, 0x7fff
; %bb.92:
	s_and_not1_saveexec_b32 s3, s3
; %bb.93:
	v_and_b32_e32 v4, 0xffff, v132
	v_or_b32_e32 v5, 0x10000, v132
	s_delay_alu instid0(VALU_DEP_2) | instskip(NEXT) | instid1(VALU_DEP_2)
	v_cmp_eq_u32_e32 vcc_lo, 0, v4
	v_cndmask_b32_e32 v4, v5, v132, vcc_lo
; %bb.94:
	s_or_b32 exec_lo, exec_lo, s3
	v_and_b32_e32 v5, 0x7f800000, v133
	s_delay_alu instid0(VALU_DEP_1) | instskip(SKIP_1) | instid1(SALU_CYCLE_1)
	v_cmp_ne_u32_e32 vcc_lo, 0x7f800000, v5
                                        ; implicit-def: $vgpr5
	s_and_saveexec_b32 s3, vcc_lo
	s_xor_b32 s3, exec_lo, s3
; %bb.95:
	v_bfe_u32 v5, v133, 16, 1
	s_delay_alu instid0(VALU_DEP_1)
	v_add3_u32 v5, v133, v5, 0x7fff
; %bb.96:
	s_and_not1_saveexec_b32 s3, s3
; %bb.97:
	v_and_b32_e32 v5, 0xffff, v133
	v_or_b32_e32 v6, 0x10000, v133
	s_delay_alu instid0(VALU_DEP_2) | instskip(NEXT) | instid1(VALU_DEP_2)
	v_cmp_eq_u32_e32 vcc_lo, 0, v5
	v_cndmask_b32_e32 v5, v6, v133, vcc_lo
; %bb.98:
	s_or_b32 exec_lo, exec_lo, s3
	v_and_b32_e32 v6, 0x7f800000, v134
	s_delay_alu instid0(VALU_DEP_1) | instskip(SKIP_1) | instid1(SALU_CYCLE_1)
	v_cmp_ne_u32_e32 vcc_lo, 0x7f800000, v6
                                        ; implicit-def: $vgpr6
	s_and_saveexec_b32 s3, vcc_lo
	s_xor_b32 s3, exec_lo, s3
; %bb.99:
	v_bfe_u32 v6, v134, 16, 1
	s_delay_alu instid0(VALU_DEP_1)
	v_add3_u32 v6, v134, v6, 0x7fff
; %bb.100:
	s_and_not1_saveexec_b32 s3, s3
; %bb.101:
	v_and_b32_e32 v6, 0xffff, v134
	v_or_b32_e32 v7, 0x10000, v134
	s_delay_alu instid0(VALU_DEP_2) | instskip(NEXT) | instid1(VALU_DEP_2)
	v_cmp_eq_u32_e32 vcc_lo, 0, v6
	v_cndmask_b32_e32 v6, v7, v134, vcc_lo
; %bb.102:
	s_or_b32 exec_lo, exec_lo, s3
	v_and_b32_e32 v7, 0x7f800000, v135
	s_delay_alu instid0(VALU_DEP_1) | instskip(SKIP_1) | instid1(SALU_CYCLE_1)
	v_cmp_ne_u32_e32 vcc_lo, 0x7f800000, v7
                                        ; implicit-def: $vgpr7
	s_and_saveexec_b32 s3, vcc_lo
	s_xor_b32 s3, exec_lo, s3
; %bb.103:
	v_bfe_u32 v7, v135, 16, 1
	s_delay_alu instid0(VALU_DEP_1)
	v_add3_u32 v7, v135, v7, 0x7fff
; %bb.104:
	s_and_not1_saveexec_b32 s3, s3
; %bb.105:
	v_and_b32_e32 v7, 0xffff, v135
	v_or_b32_e32 v8, 0x10000, v135
	s_delay_alu instid0(VALU_DEP_2) | instskip(NEXT) | instid1(VALU_DEP_2)
	v_cmp_eq_u32_e32 vcc_lo, 0, v7
	v_cndmask_b32_e32 v7, v8, v135, vcc_lo
; %bb.106:
	s_or_b32 exec_lo, exec_lo, s3
	v_and_b32_e32 v8, 0x7f800000, v136
	s_delay_alu instid0(VALU_DEP_1) | instskip(SKIP_1) | instid1(SALU_CYCLE_1)
	v_cmp_ne_u32_e32 vcc_lo, 0x7f800000, v8
                                        ; implicit-def: $vgpr8
	s_and_saveexec_b32 s3, vcc_lo
	s_xor_b32 s3, exec_lo, s3
; %bb.107:
	v_bfe_u32 v8, v136, 16, 1
	s_delay_alu instid0(VALU_DEP_1)
	v_add3_u32 v8, v136, v8, 0x7fff
                                        ; implicit-def: $vgpr129_vgpr130_vgpr131_vgpr132_vgpr133_vgpr134_vgpr135_vgpr136
; %bb.108:
	s_and_not1_saveexec_b32 s3, s3
; %bb.109:
	v_and_b32_e32 v8, 0xffff, v136
	v_or_b32_e32 v9, 0x10000, v136
	s_delay_alu instid0(VALU_DEP_2) | instskip(NEXT) | instid1(VALU_DEP_2)
	v_cmp_eq_u32_e32 vcc_lo, 0, v8
	v_cndmask_b32_e32 v8, v9, v136, vcc_lo
; %bb.110:
	s_or_b32 exec_lo, exec_lo, s3
	s_delay_alu instid0(VALU_DEP_1)
	v_perm_b32 v7, v8, v7, 0x7060302
	v_perm_b32 v6, v6, v5, 0x7060302
	;; [unrolled: 1-line block ×4, first 2 shown]
	v_lshl_or_b32 v9, v146, 4, v141
	s_barrier
	buffer_gl0_inv
	v_cmp_eq_u32_e32 vcc_lo, 1, v138
	ds_store_b128 v9, v[4:7]
	s_waitcnt lgkmcnt(0)
	s_barrier
	buffer_gl0_inv
	ds_load_b128 v[1:4], v141
	ds_load_b128 v[5:8], v141 offset:16
	v_cmp_eq_u32_e64 s4, 2, v138
	v_cmp_eq_u32_e64 s3, 1, v139
	v_cmp_eq_u32_e64 s5, 3, v138
	v_cmp_eq_u32_e64 s7, 2, v137
	v_cmp_eq_u32_e64 s6, 7, v139
	s_waitcnt lgkmcnt(1)
	v_lshrrev_b32_e32 v10, 16, v1
	s_waitcnt lgkmcnt(0)
	v_lshrrev_b32_e32 v14, 16, v5
	v_lshrrev_b32_e32 v15, 16, v6
	;; [unrolled: 1-line block ×4, first 2 shown]
	v_cndmask_b32_e64 v20, v1, v10, s3
	v_cndmask_b32_e32 v19, v5, v14, vcc_lo
	v_cndmask_b32_e64 v21, v5, v14, s3
	v_lshrrev_b32_e32 v16, 16, v7
	v_cmp_eq_u32_e64 s3, 1, v137
	v_lshrrev_b32_e32 v13, 16, v4
	v_cndmask_b32_e64 v19, v19, v6, s4
	v_lshrrev_b32_e32 v17, 16, v8
	s_delay_alu instid0(VALU_DEP_4) | instskip(SKIP_1) | instid1(VALU_DEP_4)
	v_cndmask_b32_e64 v22, v1, v10, s3
	v_cndmask_b32_e64 v23, v5, v14, s3
	;; [unrolled: 1-line block ×3, first 2 shown]
	v_cndmask_b32_e32 v18, v1, v10, vcc_lo
	v_cmp_eq_u32_e32 vcc_lo, 2, v139
	v_cmp_eq_u32_e64 s3, 2, v142
	v_cndmask_b32_e64 v22, v22, v2, s7
	v_cndmask_b32_e32 v20, v20, v2, vcc_lo
	v_cndmask_b32_e32 v21, v21, v6, vcc_lo
	v_cmp_eq_u32_e32 vcc_lo, 4, v138
	v_cndmask_b32_e32 v19, v19, v7, vcc_lo
	v_cndmask_b32_e64 v18, v18, v2, s4
	v_cmp_eq_u32_e64 s4, 3, v139
	s_delay_alu instid0(VALU_DEP_2) | instskip(NEXT) | instid1(VALU_DEP_2)
	v_cndmask_b32_e64 v18, v18, v11, s5
	v_cndmask_b32_e64 v21, v21, v15, s4
	v_cmp_eq_u32_e64 s5, 5, v138
	s_delay_alu instid0(VALU_DEP_3) | instskip(SKIP_1) | instid1(VALU_DEP_3)
	v_cndmask_b32_e32 v18, v18, v3, vcc_lo
	v_cmp_eq_u32_e32 vcc_lo, 4, v139
	v_cndmask_b32_e64 v19, v19, v16, s5
	s_delay_alu instid0(VALU_DEP_3) | instskip(SKIP_4) | instid1(VALU_DEP_3)
	v_cndmask_b32_e64 v18, v18, v12, s5
	v_cndmask_b32_e32 v21, v21, v7, vcc_lo
	v_cndmask_b32_e64 v20, v20, v11, s4
	v_cmp_eq_u32_e64 s4, 5, v139
	v_cmp_eq_u32_e64 s5, 6, v138
	v_cndmask_b32_e32 v20, v20, v3, vcc_lo
	s_delay_alu instid0(VALU_DEP_3) | instskip(SKIP_1) | instid1(VALU_DEP_4)
	v_cndmask_b32_e64 v21, v21, v16, s4
	v_cmp_eq_u32_e32 vcc_lo, 6, v139
	v_cndmask_b32_e64 v18, v18, v4, s5
	v_cndmask_b32_e64 v19, v19, v8, s5
	;; [unrolled: 1-line block ×3, first 2 shown]
	v_cmp_eq_u32_e64 s4, 1, v142
	v_cmp_eq_u32_e64 s5, 7, v138
	s_delay_alu instid0(VALU_DEP_3) | instskip(NEXT) | instid1(VALU_DEP_3)
	v_cndmask_b32_e32 v20, v20, v4, vcc_lo
	v_cndmask_b32_e64 v1, v1, v10, s4
	v_cndmask_b32_e64 v5, v5, v14, s4
	v_cmp_eq_u32_e64 s4, 3, v137
	v_cndmask_b32_e64 v14, v23, v6, s7
	v_cmp_eq_u32_e64 s7, 3, v142
	v_cndmask_b32_e64 v1, v1, v2, s3
	v_cndmask_b32_e64 v2, v5, v6, s3
	v_cndmask_b32_e64 v10, v22, v11, s4
	v_cmp_eq_u32_e64 s3, 4, v137
	v_cndmask_b32_e64 v6, v14, v15, s4
	v_cndmask_b32_e64 v1, v1, v11, s7
	v_cmp_eq_u32_e64 s4, 4, v142
	v_cndmask_b32_e64 v2, v2, v15, s7
	v_cndmask_b32_e64 v5, v10, v3, s3
	v_cmp_eq_u32_e64 s7, 5, v137
	v_cndmask_b32_e64 v6, v6, v7, s3
	v_cndmask_b32_e64 v1, v1, v3, s4
	v_cndmask_b32_e64 v2, v2, v7, s4
	v_cmp_eq_u32_e64 s3, 5, v142
	v_cndmask_b32_e64 v5, v5, v12, s7
	v_cmp_eq_u32_e64 s4, 6, v137
	;; [unrolled: 2-line block ×3, first 2 shown]
	v_cndmask_b32_e64 v1, v1, v12, s3
	v_cndmask_b32_e64 v2, v2, v16, s3
	;; [unrolled: 1-line block ×4, first 2 shown]
	v_cmp_eq_u32_e64 s3, 7, v142
	v_cndmask_b32_e64 v1, v1, v4, s7
	v_cndmask_b32_e64 v2, v2, v8, s7
	v_cmp_eq_u32_e64 s4, 7, v137
	v_cndmask_b32_e32 v4, v21, v8, vcc_lo
	v_cndmask_b32_e64 v18, v18, v13, s5
	v_cndmask_b32_e64 v20, v20, v13, s6
	;; [unrolled: 1-line block ×8, first 2 shown]
	v_cmp_gt_u32_e32 vcc_lo, 32, v0
	v_perm_b32 v4, v2, v1, 0x5040100
	v_perm_b32 v3, v3, v5, 0x5040100
	;; [unrolled: 1-line block ×4, first 2 shown]
	s_and_b32 s2, vcc_lo, s2
	ds_store_b128 v9, v[1:4]
	s_waitcnt lgkmcnt(0)
	s_barrier
	buffer_gl0_inv
	s_and_saveexec_b32 s3, s2
	s_cbranch_execz .LBB435_2
; %bb.111:
	s_load_b64 s[0:1], s[0:1], 0x68
	v_lshlrev_b32_e32 v0, 10, v0
	s_lshl_b32 s4, s34, 6
	v_or_b32_e32 v3, s31, v146
	s_mul_i32 s2, s4, s30
	v_lshlrev_b32_e32 v1, 4, v147
	v_lshlrev_b32_e32 v2, 6, v146
	v_and_b32_e32 v0, 0x3800, v0
	s_mul_i32 s2, s2, s8
	v_mul_lo_u32 v8, v3, s4
	s_ashr_i32 s3, s2, 31
	s_delay_alu instid0(SALU_CYCLE_1)
	s_lshl_b64 s[2:3], s[2:3], 1
	v_or3_b32 v16, v0, v1, v2
	ds_load_b128 v[0:3], v16
	ds_load_b128 v[4:7], v16 offset:128
	v_ashrrev_i32_e32 v9, 31, v8
	s_waitcnt lgkmcnt(0)
	s_add_u32 s2, s0, s2
	s_addc_u32 s3, s1, s3
	s_lshl_b32 s0, s14, 6
	s_delay_alu instid0(SALU_CYCLE_1) | instskip(SKIP_2) | instid1(SALU_CYCLE_1)
	s_ashr_i32 s1, s0, 31
	v_lshlrev_b64 v[9:10], 1, v[8:9]
	s_lshl_b64 s[0:1], s[0:1], 1
	s_add_u32 s0, s2, s0
	s_addc_u32 s1, s3, s1
	s_lshl_b32 s2, s34, 7
	v_add_co_u32 v30, s0, s0, v145
	v_add_nc_u32_e32 v11, s2, v8
	v_add_co_ci_u32_e64 v31, null, s1, 0, s0
	s_delay_alu instid0(VALU_DEP_3) | instskip(NEXT) | instid1(VALU_DEP_3)
	v_add_co_u32 v9, vcc_lo, v30, v9
	v_add_nc_u32_e32 v8, s2, v11
	s_delay_alu instid0(VALU_DEP_3) | instskip(SKIP_1) | instid1(VALU_DEP_3)
	v_add_co_ci_u32_e32 v10, vcc_lo, v31, v10, vcc_lo
	v_ashrrev_i32_e32 v12, 31, v11
	v_add_nc_u32_e32 v13, s2, v8
	global_store_b128 v[9:10], v[0:3], off
	v_ashrrev_i32_e32 v9, 31, v8
	v_lshlrev_b64 v[11:12], 1, v[11:12]
	v_ashrrev_i32_e32 v14, 31, v13
	v_add_nc_u32_e32 v10, s2, v13
	s_delay_alu instid0(VALU_DEP_4) | instskip(NEXT) | instid1(VALU_DEP_4)
	v_lshlrev_b64 v[2:3], 1, v[8:9]
	v_add_co_u32 v0, vcc_lo, v30, v11
	s_delay_alu instid0(VALU_DEP_4)
	v_lshlrev_b64 v[8:9], 1, v[13:14]
	v_add_co_ci_u32_e32 v1, vcc_lo, v31, v12, vcc_lo
	v_ashrrev_i32_e32 v11, 31, v10
	v_add_co_u32 v22, vcc_lo, v30, v2
	v_add_nc_u32_e32 v20, s2, v10
	v_add_co_ci_u32_e32 v23, vcc_lo, v31, v3, vcc_lo
	v_add_co_u32 v24, vcc_lo, v30, v8
	global_store_b128 v[0:1], v[4:7], off
	v_add_co_ci_u32_e32 v25, vcc_lo, v31, v9, vcc_lo
	ds_load_b128 v[0:3], v16 offset:256
	ds_load_b128 v[4:7], v16 offset:384
	v_lshlrev_b64 v[26:27], 1, v[10:11]
	ds_load_b128 v[8:11], v16 offset:512
	ds_load_b128 v[12:15], v16 offset:640
	;; [unrolled: 1-line block ×3, first 2 shown]
	v_add_nc_u32_e32 v28, s2, v20
	v_ashrrev_i32_e32 v21, 31, v20
	v_add_co_u32 v26, vcc_lo, v30, v26
	s_delay_alu instid0(VALU_DEP_3) | instskip(NEXT) | instid1(VALU_DEP_3)
	v_ashrrev_i32_e32 v29, 31, v28
	v_lshlrev_b64 v[20:21], 1, v[20:21]
	v_add_co_ci_u32_e32 v27, vcc_lo, v31, v27, vcc_lo
	s_delay_alu instid0(VALU_DEP_3) | instskip(NEXT) | instid1(VALU_DEP_3)
	v_lshlrev_b64 v[28:29], 1, v[28:29]
	v_add_co_u32 v20, vcc_lo, v30, v20
	s_delay_alu instid0(VALU_DEP_4) | instskip(NEXT) | instid1(VALU_DEP_3)
	v_add_co_ci_u32_e32 v21, vcc_lo, v31, v21, vcc_lo
	v_add_co_u32 v28, vcc_lo, v30, v28
	s_delay_alu instid0(VALU_DEP_4)
	v_add_co_ci_u32_e32 v29, vcc_lo, v31, v29, vcc_lo
	s_waitcnt lgkmcnt(4)
	global_store_b128 v[22:23], v[0:3], off
	s_waitcnt lgkmcnt(3)
	global_store_b128 v[24:25], v[4:7], off
	;; [unrolled: 2-line block ×5, first 2 shown]
	s_nop 0
	s_sendmsg sendmsg(MSG_DEALLOC_VGPRS)
	s_endpgm
	.section	.rodata,"a",@progbits
	.p2align	6, 0x0
	.amdhsa_kernel _Z39paged_attention_ll4mi_QKV_mfma16_kernelI14__hip_bfloat16S0_LN4vllm18Fp8KVCacheDataTypeE0EhLi16ELi64ELi256ELb0ELi14EL8MFMAType0EEvPKT_PKT0_S9_ifPKiSB_SB_iPKfiiiPfSE_PS4_PT2_iSD_SD_
		.amdhsa_group_segment_fixed_size 17472
		.amdhsa_private_segment_fixed_size 0
		.amdhsa_kernarg_size 400
		.amdhsa_user_sgpr_count 13
		.amdhsa_user_sgpr_dispatch_ptr 0
		.amdhsa_user_sgpr_queue_ptr 0
		.amdhsa_user_sgpr_kernarg_segment_ptr 1
		.amdhsa_user_sgpr_dispatch_id 0
		.amdhsa_user_sgpr_private_segment_size 0
		.amdhsa_wavefront_size32 1
		.amdhsa_uses_dynamic_stack 0
		.amdhsa_enable_private_segment 0
		.amdhsa_system_sgpr_workgroup_id_x 1
		.amdhsa_system_sgpr_workgroup_id_y 1
		.amdhsa_system_sgpr_workgroup_id_z 1
		.amdhsa_system_sgpr_workgroup_info 0
		.amdhsa_system_vgpr_workitem_id 0
		.amdhsa_next_free_vgpr 198
		.amdhsa_next_free_sgpr 52
		.amdhsa_reserve_vcc 1
		.amdhsa_float_round_mode_32 0
		.amdhsa_float_round_mode_16_64 0
		.amdhsa_float_denorm_mode_32 3
		.amdhsa_float_denorm_mode_16_64 3
		.amdhsa_dx10_clamp 1
		.amdhsa_ieee_mode 1
		.amdhsa_fp16_overflow 0
		.amdhsa_workgroup_processor_mode 1
		.amdhsa_memory_ordered 1
		.amdhsa_forward_progress 0
		.amdhsa_shared_vgpr_count 0
		.amdhsa_exception_fp_ieee_invalid_op 0
		.amdhsa_exception_fp_denorm_src 0
		.amdhsa_exception_fp_ieee_div_zero 0
		.amdhsa_exception_fp_ieee_overflow 0
		.amdhsa_exception_fp_ieee_underflow 0
		.amdhsa_exception_fp_ieee_inexact 0
		.amdhsa_exception_int_div_zero 0
	.end_amdhsa_kernel
	.section	.text._Z39paged_attention_ll4mi_QKV_mfma16_kernelI14__hip_bfloat16S0_LN4vllm18Fp8KVCacheDataTypeE0EhLi16ELi64ELi256ELb0ELi14EL8MFMAType0EEvPKT_PKT0_S9_ifPKiSB_SB_iPKfiiiPfSE_PS4_PT2_iSD_SD_,"axG",@progbits,_Z39paged_attention_ll4mi_QKV_mfma16_kernelI14__hip_bfloat16S0_LN4vllm18Fp8KVCacheDataTypeE0EhLi16ELi64ELi256ELb0ELi14EL8MFMAType0EEvPKT_PKT0_S9_ifPKiSB_SB_iPKfiiiPfSE_PS4_PT2_iSD_SD_,comdat
.Lfunc_end435:
	.size	_Z39paged_attention_ll4mi_QKV_mfma16_kernelI14__hip_bfloat16S0_LN4vllm18Fp8KVCacheDataTypeE0EhLi16ELi64ELi256ELb0ELi14EL8MFMAType0EEvPKT_PKT0_S9_ifPKiSB_SB_iPKfiiiPfSE_PS4_PT2_iSD_SD_, .Lfunc_end435-_Z39paged_attention_ll4mi_QKV_mfma16_kernelI14__hip_bfloat16S0_LN4vllm18Fp8KVCacheDataTypeE0EhLi16ELi64ELi256ELb0ELi14EL8MFMAType0EEvPKT_PKT0_S9_ifPKiSB_SB_iPKfiiiPfSE_PS4_PT2_iSD_SD_
                                        ; -- End function
	.section	.AMDGPU.csdata,"",@progbits
; Kernel info:
; codeLenInByte = 10216
; NumSgprs: 54
; NumVgprs: 198
; ScratchSize: 0
; MemoryBound: 0
; FloatMode: 240
; IeeeMode: 1
; LDSByteSize: 17472 bytes/workgroup (compile time only)
; SGPRBlocks: 6
; VGPRBlocks: 24
; NumSGPRsForWavesPerEU: 54
; NumVGPRsForWavesPerEU: 198
; Occupancy: 7
; WaveLimiterHint : 1
; COMPUTE_PGM_RSRC2:SCRATCH_EN: 0
; COMPUTE_PGM_RSRC2:USER_SGPR: 13
; COMPUTE_PGM_RSRC2:TRAP_HANDLER: 0
; COMPUTE_PGM_RSRC2:TGID_X_EN: 1
; COMPUTE_PGM_RSRC2:TGID_Y_EN: 1
; COMPUTE_PGM_RSRC2:TGID_Z_EN: 1
; COMPUTE_PGM_RSRC2:TIDIG_COMP_CNT: 0
	.section	.text._Z39paged_attention_ll4mi_QKV_mfma16_kernelI14__hip_bfloat16S0_LN4vllm18Fp8KVCacheDataTypeE0EhLi16ELi64ELi256ELb0ELi15EL8MFMAType0EEvPKT_PKT0_S9_ifPKiSB_SB_iPKfiiiPfSE_PS4_PT2_iSD_SD_,"axG",@progbits,_Z39paged_attention_ll4mi_QKV_mfma16_kernelI14__hip_bfloat16S0_LN4vllm18Fp8KVCacheDataTypeE0EhLi16ELi64ELi256ELb0ELi15EL8MFMAType0EEvPKT_PKT0_S9_ifPKiSB_SB_iPKfiiiPfSE_PS4_PT2_iSD_SD_,comdat
	.protected	_Z39paged_attention_ll4mi_QKV_mfma16_kernelI14__hip_bfloat16S0_LN4vllm18Fp8KVCacheDataTypeE0EhLi16ELi64ELi256ELb0ELi15EL8MFMAType0EEvPKT_PKT0_S9_ifPKiSB_SB_iPKfiiiPfSE_PS4_PT2_iSD_SD_ ; -- Begin function _Z39paged_attention_ll4mi_QKV_mfma16_kernelI14__hip_bfloat16S0_LN4vllm18Fp8KVCacheDataTypeE0EhLi16ELi64ELi256ELb0ELi15EL8MFMAType0EEvPKT_PKT0_S9_ifPKiSB_SB_iPKfiiiPfSE_PS4_PT2_iSD_SD_
	.globl	_Z39paged_attention_ll4mi_QKV_mfma16_kernelI14__hip_bfloat16S0_LN4vllm18Fp8KVCacheDataTypeE0EhLi16ELi64ELi256ELb0ELi15EL8MFMAType0EEvPKT_PKT0_S9_ifPKiSB_SB_iPKfiiiPfSE_PS4_PT2_iSD_SD_
	.p2align	8
	.type	_Z39paged_attention_ll4mi_QKV_mfma16_kernelI14__hip_bfloat16S0_LN4vllm18Fp8KVCacheDataTypeE0EhLi16ELi64ELi256ELb0ELi15EL8MFMAType0EEvPKT_PKT0_S9_ifPKiSB_SB_iPKfiiiPfSE_PS4_PT2_iSD_SD_,@function
_Z39paged_attention_ll4mi_QKV_mfma16_kernelI14__hip_bfloat16S0_LN4vllm18Fp8KVCacheDataTypeE0EhLi16ELi64ELi256ELb0ELi15EL8MFMAType0EEvPKT_PKT0_S9_ifPKiSB_SB_iPKfiiiPfSE_PS4_PT2_iSD_SD_: ; @_Z39paged_attention_ll4mi_QKV_mfma16_kernelI14__hip_bfloat16S0_LN4vllm18Fp8KVCacheDataTypeE0EhLi16ELi64ELi256ELb0ELi15EL8MFMAType0EEvPKT_PKT0_S9_ifPKiSB_SB_iPKfiiiPfSE_PS4_PT2_iSD_SD_
; %bb.0:
	s_load_b64 s[2:3], s[0:1], 0x30
	s_mov_b32 s34, s13
	s_waitcnt lgkmcnt(0)
	s_cmp_lg_u64 s[2:3], 0
	s_cselect_b32 s6, -1, 0
	s_ashr_i32 s35, s13, 31
	s_cmp_eq_u64 s[2:3], 0
	s_cbranch_scc1 .LBB436_3
; %bb.1:
	s_lshl_b64 s[4:5], s[34:35], 2
	s_delay_alu instid0(SALU_CYCLE_1) | instskip(SKIP_4) | instid1(SALU_CYCLE_1)
	s_add_u32 s4, s2, s4
	s_addc_u32 s5, s3, s5
	s_load_b64 s[4:5], s[4:5], 0x0
	s_waitcnt lgkmcnt(0)
	s_sub_i32 s4, s5, s4
	s_cmp_eq_u32 s4, 1
	s_cselect_b32 s4, -1, 0
	s_delay_alu instid0(SALU_CYCLE_1)
	s_and_not1_b32 vcc_lo, exec_lo, s4
	s_cbranch_vccz .LBB436_4
.LBB436_2:
	s_nop 0
	s_sendmsg sendmsg(MSG_DEALLOC_VGPRS)
	s_endpgm
.LBB436_3:
.LBB436_4:
	s_load_b64 s[8:9], s[0:1], 0x28
	s_lshl_b64 s[4:5], s[34:35], 2
	s_waitcnt lgkmcnt(0)
	s_add_u32 s8, s8, s4
	s_addc_u32 s9, s9, s5
	s_lshl_b32 s33, s14, 8
	s_load_b32 s30, s[8:9], 0x0
	s_waitcnt lgkmcnt(0)
	s_cmp_ge_i32 s33, s30
	s_cbranch_scc1 .LBB436_2
; %bb.5:
	s_clause 0x1
	s_load_b128 s[8:11], s[0:1], 0x8
	s_load_b64 s[12:13], s[0:1], 0x20
	s_and_not1_b32 vcc_lo, exec_lo, s6
	s_cbranch_vccnz .LBB436_7
; %bb.6:
	s_add_u32 s2, s2, s4
	s_addc_u32 s3, s3, s5
	s_load_b32 s3, s[2:3], 0x0
	s_branch .LBB436_8
.LBB436_7:
	s_mov_b32 s3, s34
.LBB436_8:
	s_load_b128 s[4:7], s[0:1], 0x48
	v_lshrrev_b32_e32 v149, 5, v0
	v_bfe_u32 v146, v0, 4, 1
	v_and_b32_e32 v148, 15, v0
	v_and_b32_e32 v150, 31, v0
	;; [unrolled: 1-line block ×3, first 2 shown]
	s_mul_i32 s31, s15, 15
	v_lshl_or_b32 v1, v149, 1, v146
	v_lshlrev_b32_e32 v2, 3, v148
	v_cmp_gt_u32_e64 s2, 8, v148
	s_delay_alu instid0(VALU_DEP_3) | instskip(NEXT) | instid1(VALU_DEP_3)
	v_cmp_gt_u32_e32 vcc_lo, 15, v1
	v_lshlrev_b32_e32 v145, 1, v2
	s_delay_alu instid0(VALU_DEP_3)
	s_and_b32 s16, s2, vcc_lo
	s_waitcnt lgkmcnt(0)
	s_and_saveexec_b32 s7, s16
	s_cbranch_execz .LBB436_10
; %bb.9:
	s_load_b64 s[16:17], s[0:1], 0x0
	v_add_lshl_u32 v2, v1, s31, 6
	s_mul_hi_i32 s19, s3, s4
	s_mul_i32 s18, s3, s4
	v_lshlrev_b32_e32 v6, 10, v148
	s_lshl_b64 s[18:19], s[18:19], 1
	v_ashrrev_i32_e32 v3, 31, v2
	v_lshlrev_b32_e32 v1, 6, v1
	v_lshlrev_b32_e32 v7, 10, v147
	v_and_b32_e32 v6, 0x3800, v6
	s_delay_alu instid0(VALU_DEP_4) | instskip(NEXT) | instid1(VALU_DEP_2)
	v_lshlrev_b64 v[2:3], 1, v[2:3]
	v_or3_b32 v1, v6, v7, v1
	s_waitcnt lgkmcnt(0)
	s_add_u32 s3, s16, s18
	s_addc_u32 s4, s17, s19
	s_delay_alu instid0(VALU_DEP_2) | instskip(SKIP_1) | instid1(VALU_DEP_2)
	v_add_co_u32 v2, vcc_lo, s3, v2
	v_add_co_ci_u32_e32 v3, vcc_lo, s4, v3, vcc_lo
	v_add_co_u32 v2, vcc_lo, v2, v145
	s_delay_alu instid0(VALU_DEP_2)
	v_add_co_ci_u32_e32 v3, vcc_lo, 0, v3, vcc_lo
	global_load_b128 v[2:5], v[2:3], off
	s_waitcnt vmcnt(0)
	ds_store_b128 v1, v[2:5]
.LBB436_10:
	s_or_b32 exec_lo, exec_lo, s7
	s_mov_b32 s40, 0
	s_add_i32 s3, s30, 15
	s_mov_b32 s41, s40
	s_mov_b32 s42, s40
	s_mov_b32 s43, s40
	s_mov_b32 s44, s40
	s_mov_b32 s45, s40
	s_mov_b32 s46, s40
	s_mov_b32 s47, s40
	s_delay_alu instid0(SALU_CYCLE_1)
	v_dual_mov_b32 v136, s47 :: v_dual_and_b32 v1, 0xef, v0
	v_mov_b32_e32 v134, s45
	s_clause 0x1
	s_load_b32 s4, s[0:1], 0x38
	s_load_b32 s35, s[0:1], 0x1c
	v_add_nc_u32_e32 v1, s33, v1
	s_ashr_i32 s7, s3, 31
	s_waitcnt lgkmcnt(0)
	s_lshr_b32 s7, s7, 28
	s_barrier
	v_ashrrev_i32_e32 v2, 31, v1
	s_add_i32 s3, s3, s7
	v_cmp_gt_i32_e32 vcc_lo, s30, v1
	s_ashr_i32 s3, s3, 4
	v_mov_b32_e32 v132, s43
	v_lshrrev_b32_e32 v3, 28, v2
	v_or_b32_e32 v2, 16, v1
	s_add_i32 s3, s3, -1
	buffer_gl0_inv
	s_mul_i32 s6, s15, s6
	v_add_nc_u32_e32 v4, v1, v3
	v_add_nc_u32_e32 v3, v2, v3
	v_mov_b32_e32 v135, s46
	s_mul_i32 s16, s34, s4
	v_mov_b32_e32 v133, s44
	v_ashrrev_i32_e32 v4, 4, v4
	v_ashrrev_i32_e32 v3, 4, v3
	s_ashr_i32 s17, s16, 31
	v_lshlrev_b32_e32 v22, 5, v148
	s_lshl_b64 s[16:17], s[16:17], 2
	v_cndmask_b32_e32 v1, s3, v4, vcc_lo
	v_cmp_gt_i32_e32 vcc_lo, s30, v2
	s_add_u32 s4, s12, s16
	s_addc_u32 s36, s13, s17
	s_ashr_i32 s7, s6, 31
	v_ashrrev_i32_e32 v2, 31, v1
	v_cndmask_b32_e32 v3, s3, v3, vcc_lo
	s_lshl_b64 s[6:7], s[6:7], 1
	v_mov_b32_e32 v131, s42
	s_add_u32 s24, s8, s6
	v_lshlrev_b64 v[1:2], 2, v[1:2]
	v_ashrrev_i32_e32 v4, 31, v3
	s_addc_u32 s25, s9, s7
	s_lshl_b32 s8, s14, 4
	v_mov_b32_e32 v129, s40
	s_ashr_i32 s9, s8, 31
	v_lshlrev_b64 v[3:4], 2, v[3:4]
	v_add_co_u32 v1, vcc_lo, s4, v1
	v_add_co_ci_u32_e32 v2, vcc_lo, s36, v2, vcc_lo
	s_lshl_b64 s[8:9], s[8:9], 2
	s_delay_alu instid0(VALU_DEP_3) | instskip(NEXT) | instid1(VALU_DEP_4)
	v_add_co_u32 v3, vcc_lo, s4, v3
	v_add_co_ci_u32_e32 v4, vcc_lo, s36, v4, vcc_lo
	s_clause 0x1
	global_load_b32 v5, v[1:2], off
	global_load_b32 v6, v[3:4], off
	s_add_u32 s8, s4, s8
	s_addc_u32 s9, s36, s9
	s_or_b32 s12, s33, 16
	v_dual_mov_b32 v130, s41 :: v_dual_lshlrev_b32 v3, 4, v0
	s_ashr_i32 s13, s12, 4
	s_cmp_lt_i32 s12, s30
	s_cselect_b32 s12, s13, s3
	s_delay_alu instid0(SALU_CYCLE_1) | instskip(NEXT) | instid1(SALU_CYCLE_1)
	s_ashr_i32 s13, s12, 31
	s_lshl_b64 s[12:13], s[12:13], 2
	s_delay_alu instid0(SALU_CYCLE_1) | instskip(SKIP_2) | instid1(SALU_CYCLE_1)
	s_add_u32 s12, s4, s12
	s_addc_u32 s13, s36, s13
	s_or_b32 s15, s33, 32
	s_ashr_i32 s16, s15, 4
	s_cmp_lt_i32 s15, s30
	s_cselect_b32 s16, s16, s3
	s_delay_alu instid0(SALU_CYCLE_1) | instskip(NEXT) | instid1(SALU_CYCLE_1)
	s_ashr_i32 s17, s16, 31
	s_lshl_b64 s[16:17], s[16:17], 2
	s_delay_alu instid0(SALU_CYCLE_1) | instskip(SKIP_2) | instid1(SALU_CYCLE_1)
	s_add_u32 s16, s4, s16
	s_addc_u32 s17, s36, s17
	s_or_b32 s15, s33, 48
	;; [unrolled: 10-line block ×4, first 2 shown]
	s_ashr_i32 s22, s15, 4
	s_cmp_lt_i32 s15, s30
	s_cselect_b32 s22, s22, s3
	s_delay_alu instid0(SALU_CYCLE_1) | instskip(NEXT) | instid1(SALU_CYCLE_1)
	s_ashr_i32 s23, s22, 31
	s_lshl_b64 s[22:23], s[22:23], 2
	s_delay_alu instid0(SALU_CYCLE_1)
	s_add_u32 s22, s4, s22
	s_addc_u32 s23, s36, s23
	s_clause 0x5
	s_load_b32 s8, s[8:9], 0x0
	s_load_b32 s12, s[12:13], 0x0
	;; [unrolled: 1-line block ×6, first 2 shown]
	s_waitcnt lgkmcnt(0)
	s_mul_hi_i32 s17, s16, s5
	s_mul_i32 s16, s16, s5
	s_waitcnt vmcnt(1)
	v_mad_i64_i32 v[1:2], null, v5, s5, 0
	v_and_b32_e32 v5, 0xf0, v3
	s_waitcnt vmcnt(0)
	v_mad_i64_i32 v[3:4], null, v6, s5, 0
	s_delay_alu instid0(VALU_DEP_2) | instskip(NEXT) | instid1(VALU_DEP_4)
	v_add_co_u32 v5, s9, s24, v5
	v_lshlrev_b64 v[1:2], 1, v[1:2]
	v_add_co_ci_u32_e64 v6, null, s25, 0, s9
	s_delay_alu instid0(VALU_DEP_4) | instskip(SKIP_1) | instid1(VALU_DEP_3)
	v_lshlrev_b64 v[3:4], 1, v[3:4]
	s_or_b32 s9, s33, 0x60
	v_add_co_u32 v17, vcc_lo, v5, v1
	s_delay_alu instid0(VALU_DEP_3) | instskip(NEXT) | instid1(VALU_DEP_3)
	v_add_co_ci_u32_e32 v18, vcc_lo, v6, v2, vcc_lo
	v_add_co_u32 v19, vcc_lo, v5, v3
	s_delay_alu instid0(VALU_DEP_4)
	v_add_co_ci_u32_e32 v20, vcc_lo, v6, v4, vcc_lo
	s_clause 0x9
	global_load_b128 v[1:4], v[17:18], off
	global_load_b128 v[5:8], v[17:18], off offset:256
	global_load_b128 v[137:140], v[19:20], off
	global_load_b128 v[141:144], v[19:20], off offset:256
	global_load_b128 v[33:36], v[17:18], off offset:512
	;; [unrolled: 1-line block ×7, first 2 shown]
	v_cmp_ne_u32_e32 vcc_lo, 15, v148
	s_clause 0x1
	global_load_b128 v[151:154], v[19:20], off offset:1024
	global_load_b128 v[155:158], v[19:20], off offset:1280
	s_ashr_i32 s13, s9, 4
	s_cmp_lt_i32 s9, s30
	v_cndmask_b32_e32 v21, 0, v148, vcc_lo
	s_cselect_b32 s22, s13, s3
	s_delay_alu instid0(SALU_CYCLE_1) | instskip(NEXT) | instid1(VALU_DEP_1)
	s_ashr_i32 s23, s22, 31
	v_lshlrev_b32_e32 v197, 6, v21
	ds_load_b128 v[159:162], v197
	ds_load_b128 v[163:166], v197 offset:1024
	s_clause 0x3
	global_load_b128 v[167:170], v[17:18], off offset:1536
	global_load_b128 v[171:174], v[17:18], off offset:1792
	;; [unrolled: 1-line block ×4, first 2 shown]
	s_lshl_b64 s[22:23], s[22:23], 2
	v_lshl_or_b32 v21, v149, 9, v22
	s_add_u32 s22, s4, s22
	s_addc_u32 s23, s36, s23
	s_or_b32 s9, s33, 0x70
	s_delay_alu instid0(SALU_CYCLE_1) | instskip(SKIP_2) | instid1(SALU_CYCLE_1)
	s_ashr_i32 s13, s9, 4
	s_cmp_lt_i32 s9, s30
	s_cselect_b32 s24, s13, s3
	s_ashr_i32 s25, s24, 31
	s_delay_alu instid0(SALU_CYCLE_1) | instskip(NEXT) | instid1(SALU_CYCLE_1)
	s_lshl_b64 s[24:25], s[24:25], 2
	s_add_u32 s24, s4, s24
	s_addc_u32 s25, s36, s25
	s_or_b32 s9, s33, 0x80
	s_load_b32 s46, s[24:25], 0x0
	s_ashr_i32 s13, s9, 4
	s_cmp_lt_i32 s9, s30
	s_cselect_b32 s26, s13, s3
	s_delay_alu instid0(SALU_CYCLE_1) | instskip(NEXT) | instid1(SALU_CYCLE_1)
	s_ashr_i32 s27, s26, 31
	s_lshl_b64 s[26:27], s[26:27], 2
	s_delay_alu instid0(SALU_CYCLE_1)
	s_add_u32 s26, s4, s26
	s_addc_u32 s27, s36, s27
	s_or_b32 s9, s33, 0x90
	s_load_b32 s47, s[26:27], 0x0
	s_ashr_i32 s13, s9, 4
	s_cmp_lt_i32 s9, s30
	s_cselect_b32 s28, s13, s3
	s_delay_alu instid0(SALU_CYCLE_1) | instskip(NEXT) | instid1(SALU_CYCLE_1)
	s_ashr_i32 s29, s28, 31
	s_lshl_b64 s[28:29], s[28:29], 2
	s_delay_alu instid0(SALU_CYCLE_1) | instskip(SKIP_2) | instid1(SALU_CYCLE_1)
	s_add_u32 s28, s4, s28
	s_addc_u32 s29, s36, s29
	s_or_b32 s9, s33, 0xa0
	s_ashr_i32 s13, s9, 4
	s_cmp_lt_i32 s9, s30
	s_cselect_b32 s38, s13, s3
	s_delay_alu instid0(SALU_CYCLE_1) | instskip(NEXT) | instid1(SALU_CYCLE_1)
	s_ashr_i32 s39, s38, 31
	s_lshl_b64 s[38:39], s[38:39], 2
	s_delay_alu instid0(SALU_CYCLE_1)
	s_add_u32 s38, s4, s38
	s_addc_u32 s39, s36, s39
	s_or_b32 s9, s33, 0xb0
	s_load_b32 s39, s[38:39], 0x0
	s_ashr_i32 s13, s9, 4
	s_cmp_lt_i32 s9, s30
	s_mul_hi_i32 s9, s8, s5
	s_cselect_b32 s40, s13, s3
	s_mul_i32 s8, s8, s5
	s_ashr_i32 s41, s40, 31
	s_mul_hi_i32 s13, s12, s5
	s_lshl_b64 s[40:41], s[40:41], 2
	s_mul_i32 s12, s12, s5
	s_add_u32 s42, s4, s40
	s_addc_u32 s43, s36, s41
	s_or_b32 s19, s33, 0xc0
	s_delay_alu instid0(SALU_CYCLE_1)
	s_ashr_i32 s21, s19, 4
	s_cmp_lt_i32 s19, s30
	s_mul_hi_i32 s19, s18, s5
	s_cselect_b32 s40, s21, s3
	s_mul_i32 s18, s18, s5
	s_ashr_i32 s41, s40, 31
	s_mul_hi_i32 s21, s20, s5
	s_lshl_b64 s[40:41], s[40:41], 2
	s_mul_i32 s20, s20, s5
	s_add_u32 s44, s4, s40
	s_load_b32 s40, s[28:29], 0x0
	s_addc_u32 s45, s36, s41
	s_or_b32 s37, s33, 0xd0
	s_load_b32 s41, s[22:23], 0x0
	s_ashr_i32 s22, s37, 4
	s_cmp_lt_i32 s37, s30
	s_mul_hi_i32 s23, s15, s5
	s_cselect_b32 s24, s22, s3
	s_mul_i32 s22, s15, s5
	s_ashr_i32 s25, s24, 31
	s_waitcnt lgkmcnt(0)
	s_mul_hi_i32 s27, s46, s5
	s_lshl_b64 s[24:25], s[24:25], 2
	s_mul_i32 s26, s46, s5
	s_add_u32 s24, s4, s24
	s_addc_u32 s25, s36, s25
	s_or_b32 s48, s33, 0xe0
	s_clause 0x2
	s_load_b32 s38, s[42:43], 0x0
	s_load_b32 s37, s[44:45], 0x0
	;; [unrolled: 1-line block ×3, first 2 shown]
	s_ashr_i32 s49, s48, 4
	s_cmp_lt_i32 s48, s30
	s_mul_hi_i32 s29, s47, s5
	s_cselect_b32 s42, s49, s3
	s_mul_i32 s28, s47, s5
	s_ashr_i32 s43, s42, 31
	s_mul_hi_i32 s25, s41, s5
	s_lshl_b64 s[42:43], s[42:43], 2
	s_mul_i32 s24, s41, s5
	s_add_u32 s42, s4, s42
	s_addc_u32 s43, s36, s43
	s_or_b32 s46, s33, 0xf0
	s_mul_hi_i32 s41, s40, s5
	s_ashr_i32 s47, s46, 4
	s_cmp_lt_i32 s46, s30
	s_mul_i32 s40, s40, s5
	s_cselect_b32 s46, s47, s3
	s_mul_hi_i32 s45, s39, s5
	s_ashr_i32 s47, s46, 31
	s_mul_i32 s44, s39, s5
	s_lshl_b64 s[46:47], s[46:47], 2
	s_waitcnt lgkmcnt(0)
	s_mul_hi_i32 s39, s38, s5
	s_add_u32 s46, s4, s46
	s_addc_u32 s47, s36, s47
	s_add_u32 s3, s10, s6
	s_addc_u32 s4, s11, s7
	v_add_co_u32 v195, s3, s3, v21
	s_delay_alu instid0(VALU_DEP_1) | instskip(SKIP_2) | instid1(VALU_DEP_2)
	v_add_co_ci_u32_e64 v196, null, s4, 0, s3
	s_lshl_b64 s[6:7], s[8:9], 1
	s_lshl_b64 s[8:9], s[12:13], 1
	v_add_co_u32 v17, vcc_lo, v195, s6
	s_delay_alu instid0(VALU_DEP_2)
	v_add_co_ci_u32_e32 v18, vcc_lo, s7, v196, vcc_lo
	v_add_co_u32 v19, vcc_lo, v195, s8
	s_lshl_b64 s[10:11], s[16:17], 1
	v_add_co_ci_u32_e32 v20, vcc_lo, s9, v196, vcc_lo
	v_add_co_u32 v21, vcc_lo, v195, s10
	s_lshl_b64 s[12:13], s[18:19], 1
	;; [unrolled: 3-line block ×9, first 2 shown]
	s_mul_i32 s38, s38, s5
	v_add_co_ci_u32_e32 v54, vcc_lo, s27, v196, vcc_lo
	v_add_co_u32 v183, vcc_lo, v195, s28
	s_mul_hi_i32 s49, s37, s5
	s_mul_i32 s48, s37, s5
	s_lshl_b64 s[36:37], s[38:39], 1
	v_add_co_ci_u32_e32 v184, vcc_lo, s29, v196, vcc_lo
	v_add_co_u32 v185, vcc_lo, v195, s36
	s_lshl_b64 s[38:39], s[48:49], 1
	s_clause 0x1
	s_load_b32 s3, s[42:43], 0x0
	s_load_b32 s4, s[46:47], 0x0
	v_add_co_ci_u32_e32 v186, vcc_lo, s37, v196, vcc_lo
	v_add_co_u32 v191, vcc_lo, v195, s38
	v_add_co_ci_u32_e32 v192, vcc_lo, s39, v196, vcc_lo
	s_clause 0x17
	global_load_b128 v[121:124], v[17:18], off
	global_load_b128 v[125:128], v[17:18], off offset:16
	global_load_b128 v[113:116], v[19:20], off
	global_load_b128 v[117:120], v[19:20], off offset:16
	;; [unrolled: 2-line block ×12, first 2 shown]
	s_mul_hi_i32 s51, s15, s5
	s_mul_i32 s50, s15, s5
	s_delay_alu instid0(SALU_CYCLE_1) | instskip(NEXT) | instid1(SALU_CYCLE_1)
	s_lshl_b64 s[40:41], s[50:51], 1
	v_add_co_u32 v193, vcc_lo, v195, s40
	v_add_co_ci_u32_e32 v194, vcc_lo, s41, v196, vcc_lo
	s_waitcnt lgkmcnt(0)
	s_mul_hi_i32 s7, s3, s5
	s_mul_i32 s6, s3, s5
	s_mul_hi_i32 s9, s4, s5
	s_lshl_b64 s[6:7], s[6:7], 1
	s_mul_i32 s8, s4, s5
	s_delay_alu instid0(SALU_CYCLE_1)
	s_lshl_b64 s[4:5], s[8:9], 1
	s_waitcnt vmcnt(38)
	v_wmma_f32_16x16x16_bf16 v[183:190], v[1:8], v[159:166], v[129:136]
	s_waitcnt vmcnt(36)
	v_wmma_f32_16x16x16_bf16 v[129:136], v[137:144], v[159:166], v[129:136]
	s_clause 0x1
	global_load_b128 v[1:4], v[191:192], off
	global_load_b128 v[5:8], v[191:192], off offset:16
	ds_load_b128 v[137:140], v197 offset:2048
	ds_load_b128 v[141:144], v197 offset:3072
	;; [unrolled: 1-line block ×4, first 2 shown]
	v_add_co_u32 v191, vcc_lo, v195, s6
	v_add_co_ci_u32_e32 v192, vcc_lo, s7, v196, vcc_lo
	v_add_co_u32 v195, vcc_lo, v195, s4
	v_add_co_ci_u32_e32 v196, vcc_lo, s5, v196, vcc_lo
	s_waitcnt vmcnt(36) lgkmcnt(2)
	v_wmma_f32_16x16x16_bf16 v[183:190], v[33:40], v[137:144], v[183:190]
	s_waitcnt vmcnt(34)
	v_wmma_f32_16x16x16_bf16 v[129:136], v[25:32], v[137:144], v[129:136]
	s_clause 0x3
	global_load_b128 v[25:28], v[193:194], off
	global_load_b128 v[29:32], v[193:194], off offset:16
	global_load_b128 v[33:36], v[191:192], off
	global_load_b128 v[37:40], v[191:192], off offset:16
	v_and_b32_e32 v137, 0xe0, v0
	v_mbcnt_lo_u32_b32 v191, -1, 0
	s_waitcnt vmcnt(36) lgkmcnt(0)
	v_wmma_f32_16x16x16_bf16 v[183:190], v[9:16], v[159:166], v[183:190]
	s_clause 0x1
	global_load_b128 v[9:12], v[195:196], off
	global_load_b128 v[13:16], v[195:196], off offset:16
	s_waitcnt vmcnt(36)
	v_wmma_f32_16x16x16_bf16 v[129:136], v[151:158], v[159:166], v[129:136]
	v_add_nc_u32_e32 v192, s33, v137
	ds_load_b128 v[137:140], v197 offset:6144
	ds_load_b128 v[141:144], v197 offset:7168
	v_xor_b32_e32 v151, 16, v191
	s_waitcnt vmcnt(0) lgkmcnt(0)
	s_barrier
	v_or_b32_e32 v152, v192, v146
	buffer_gl0_inv
	v_cmp_gt_i32_e32 vcc_lo, 32, v151
	v_or_b32_e32 v153, 2, v152
	v_or_b32_e32 v154, 4, v152
	;; [unrolled: 1-line block ×5, first 2 shown]
	v_cmp_gt_i32_e64 s3, s30, v153
	v_cmp_gt_i32_e64 s4, s30, v154
	;; [unrolled: 1-line block ×3, first 2 shown]
	v_or_b32_e32 v158, 12, v152
	v_or_b32_e32 v159, 14, v152
	v_cmp_gt_i32_e64 s6, s30, v156
	v_wmma_f32_16x16x16_bf16 v[183:190], v[167:174], v[137:144], v[183:190]
	v_wmma_f32_16x16x16_bf16 v[129:136], v[175:182], v[137:144], v[129:136]
	v_cndmask_b32_e32 v151, v191, v151, vcc_lo
	v_cmp_gt_i32_e32 vcc_lo, s30, v152
	v_cmp_gt_i32_e64 s7, s30, v157
	v_dual_mul_f32 v143, s35, v184 :: v_dual_mul_f32 v144, s35, v183
	v_dual_mul_f32 v141, s35, v186 :: v_dual_mul_f32 v142, s35, v185
	;; [unrolled: 1-line block ×3, first 2 shown]
	s_delay_alu instid0(VALU_DEP_3) | instskip(NEXT) | instid1(VALU_DEP_4)
	v_cndmask_b32_e32 v144, 0xff7fffff, v144, vcc_lo
	v_cndmask_b32_e64 v143, 0xff7fffff, v143, s3
	v_mul_f32_e32 v140, s35, v187
	v_cndmask_b32_e64 v142, 0xff7fffff, v142, s4
	v_cndmask_b32_e64 v141, 0xff7fffff, v141, s5
	v_or_b32_e32 v160, 16, v152
	v_max3_f32 v143, v144, 0xff7fffff, v143
	v_or_b32_e32 v161, 18, v152
	v_dual_mul_f32 v137, s35, v190 :: v_dual_mul_f32 v138, s35, v189
	v_cndmask_b32_e64 v140, 0xff7fffff, v140, s6
	v_cndmask_b32_e64 v139, 0xff7fffff, v139, s7
	v_max3_f32 v141, v143, v142, v141
	v_cmp_gt_i32_e64 s8, s30, v158
	v_cmp_gt_i32_e64 s9, s30, v159
	v_or_b32_e32 v162, 20, v152
	v_or_b32_e32 v163, 22, v152
	v_mul_f32_e32 v175, s35, v129
	v_cndmask_b32_e64 v138, 0xff7fffff, v138, s8
	v_cndmask_b32_e64 v137, 0xff7fffff, v137, s9
	v_max3_f32 v139, v141, v140, v139
	v_cmp_gt_i32_e64 s10, s30, v160
	v_cmp_gt_i32_e64 s11, s30, v161
	v_or_b32_e32 v164, 24, v152
	v_or_b32_e32 v165, 26, v152
	v_dual_mul_f32 v172, s35, v132 :: v_dual_mul_f32 v173, s35, v131
	v_cndmask_b32_e64 v140, 0xff7fffff, v175, s10
	v_cndmask_b32_e64 v141, 0xff7fffff, v174, s11
	v_max3_f32 v137, v139, v138, v137
	v_cmp_gt_i32_e64 s12, s30, v162
	v_cmp_gt_i32_e64 s13, s30, v163
	v_or_b32_e32 v166, 28, v152
	v_or_b32_e32 v167, 30, v152
	v_dual_mul_f32 v170, s35, v134 :: v_dual_mul_f32 v171, s35, v133
	v_cndmask_b32_e64 v138, 0xff7fffff, v173, s12
	v_cndmask_b32_e64 v139, 0xff7fffff, v172, s13
	v_max3_f32 v137, v137, v140, v141
	v_cmp_gt_i32_e64 s15, s30, v164
	v_cmp_gt_i32_e64 s16, s30, v165
	v_dual_mul_f32 v168, s35, v136 :: v_dual_mul_f32 v169, s35, v135
	s_delay_alu instid0(VALU_DEP_4) | instskip(NEXT) | instid1(VALU_DEP_4)
	v_max3_f32 v137, v137, v138, v139
	v_cndmask_b32_e64 v140, 0xff7fffff, v171, s15
	s_delay_alu instid0(VALU_DEP_4) | instskip(SKIP_3) | instid1(VALU_DEP_4)
	v_cndmask_b32_e64 v141, 0xff7fffff, v170, s16
	v_cmp_gt_i32_e64 s17, s30, v166
	v_cmp_gt_i32_e64 s18, s30, v167
	v_lshlrev_b32_e32 v154, 2, v151
	v_max3_f32 v137, v137, v140, v141
	s_delay_alu instid0(VALU_DEP_4) | instskip(NEXT) | instid1(VALU_DEP_4)
	v_cndmask_b32_e64 v138, 0xff7fffff, v169, s17
	v_cndmask_b32_e64 v139, 0xff7fffff, v168, s18
	s_delay_alu instid0(VALU_DEP_1) | instskip(SKIP_3) | instid1(VALU_DEP_1)
	v_max3_f32 v137, v137, v138, v139
	ds_bpermute_b32 v138, v154, v137
	s_waitcnt lgkmcnt(0)
	v_max_f32_e32 v138, v138, v138
	v_max_f32_e32 v139, v137, v138
	s_delay_alu instid0(VALU_DEP_1) | instskip(SKIP_4) | instid1(VALU_DEP_4)
	v_fma_f32 v141, s35, v186, -v139
	v_fma_f32 v130, s35, v130, -v139
	;; [unrolled: 1-line block ×5, first 2 shown]
	v_dual_mul_f32 v141, 0x3fb8aa3b, v141 :: v_dual_mul_f32 v130, 0x3fb8aa3b, v130
	v_fma_f32 v142, s35, v187, -v139
	s_delay_alu instid0(VALU_DEP_4) | instskip(NEXT) | instid1(VALU_DEP_4)
	v_mul_f32_e32 v138, 0x3fb8aa3b, v138
	v_mul_f32_e32 v140, 0x3fb8aa3b, v140
	s_delay_alu instid0(VALU_DEP_4)
	v_exp_f32_e32 v144, v141
	v_fma_f32 v151, s35, v189, -v139
	v_mul_f32_e32 v142, 0x3fb8aa3b, v142
	v_exp_f32_e32 v138, v138
	v_exp_f32_e32 v143, v140
	v_fma_f32 v132, s35, v132, -v139
	v_mul_f32_e32 v151, 0x3fb8aa3b, v151
	v_exp_f32_e32 v152, v142
	v_fma_f32 v129, s35, v129, -v139
	v_fma_f32 v134, s35, v134, -v139
	v_cndmask_b32_e64 v144, 0, v144, s5
	v_dual_mul_f32 v137, 0x3fb8aa3b, v137 :: v_dual_mul_f32 v132, 0x3fb8aa3b, v132
	s_delay_alu instid0(TRANS32_DEP_3) | instskip(NEXT) | instid1(TRANS32_DEP_2)
	v_cndmask_b32_e64 v141, 0, v138, s3
	v_cndmask_b32_e64 v142, 0, v143, s4
	v_fma_f32 v143, s35, v190, -v139
	s_delay_alu instid0(VALU_DEP_4)
	v_exp_f32_e32 v137, v137
	v_exp_f32_e32 v153, v151
	v_cndmask_b32_e64 v151, 0, v152, s6
	v_mul_f32_e32 v129, 0x3fb8aa3b, v129
	v_dual_mul_f32 v143, 0x3fb8aa3b, v143 :: v_dual_mul_f32 v134, 0x3fb8aa3b, v134
	v_fma_f32 v131, s35, v131, -v139
	v_exp_f32_e32 v130, v130
	s_delay_alu instid0(VALU_DEP_3) | instskip(NEXT) | instid1(VALU_DEP_2)
	v_exp_f32_e32 v129, v129
	v_exp_f32_e32 v155, v143
	v_cndmask_b32_e32 v140, 0, v137, vcc_lo
	v_fma_f32 v137, s35, v188, -v139
	v_cndmask_b32_e64 v143, 0, v153, s8
	v_mul_f32_e32 v131, 0x3fb8aa3b, v131
	v_fma_f32 v133, s35, v133, -v139
	s_delay_alu instid0(VALU_DEP_4) | instskip(SKIP_2) | instid1(TRANS32_DEP_1)
	v_dual_add_f32 v138, 0, v140 :: v_dual_mul_f32 v137, 0x3fb8aa3b, v137
	v_fma_f32 v136, s35, v136, -v139
	v_cmp_gt_u32_e64 s3, 16, v150
	v_cndmask_b32_e64 v153, 0, v155, s9
	s_delay_alu instid0(VALU_DEP_4) | instskip(SKIP_1) | instid1(VALU_DEP_1)
	v_add_f32_e32 v138, v138, v141
	v_exp_f32_e32 v137, v137
	v_dual_mul_f32 v133, 0x3fb8aa3b, v133 :: v_dual_add_f32 v138, v138, v142
	s_delay_alu instid0(VALU_DEP_1)
	v_add_f32_e32 v138, v138, v144
	s_waitcnt_depctr 0xfff
	v_cndmask_b32_e64 v152, 0, v137, s7
	v_add_f32_e32 v137, v138, v151
	v_exp_f32_e32 v138, v131
	v_cndmask_b32_e64 v131, 0, v129, s10
	s_delay_alu instid0(VALU_DEP_2) | instskip(NEXT) | instid1(VALU_DEP_1)
	v_add_f32_e32 v137, v137, v152
	v_add_f32_e32 v137, v137, v143
	s_delay_alu instid0(VALU_DEP_1)
	v_add_f32_e32 v129, v137, v153
	v_exp_f32_e32 v137, v132
	v_cndmask_b32_e64 v132, 0, v130, s11
	v_fma_f32 v130, s35, v135, -v139
	v_exp_f32_e32 v135, v133
	v_add_f32_e32 v129, v129, v131
	v_cndmask_b32_e64 v133, 0, v138, s12
	v_exp_f32_e32 v138, v134
	s_delay_alu instid0(VALU_DEP_2) | instskip(NEXT) | instid1(TRANS32_DEP_3)
	v_dual_mul_f32 v130, 0x3fb8aa3b, v130 :: v_dual_add_f32 v129, v129, v132
	v_cndmask_b32_e64 v134, 0, v137, s13
	v_mul_f32_e32 v137, 0x3fb8aa3b, v136
	s_delay_alu instid0(VALU_DEP_3) | instskip(NEXT) | instid1(TRANS32_DEP_3)
	v_exp_f32_e32 v130, v130
	v_cndmask_b32_e64 v135, 0, v135, s15
	v_add_f32_e32 v129, v129, v133
	s_delay_alu instid0(TRANS32_DEP_2) | instskip(SKIP_1) | instid1(VALU_DEP_2)
	v_cndmask_b32_e64 v136, 0, v138, s16
	v_exp_f32_e32 v138, v137
	v_add_f32_e32 v129, v129, v134
	s_waitcnt_depctr 0xfff
	v_cndmask_b32_e64 v137, 0, v130, s17
	v_add_f32_e32 v129, v129, v135
	v_cndmask_b32_e64 v138, 0, v138, s18
	s_delay_alu instid0(VALU_DEP_2) | instskip(NEXT) | instid1(VALU_DEP_1)
	v_add_f32_e32 v129, v129, v136
	v_add_f32_e32 v129, v129, v137
	s_delay_alu instid0(VALU_DEP_1)
	v_add_f32_e32 v129, v129, v138
	ds_bpermute_b32 v130, v154, v129
	s_and_saveexec_b32 s4, s3
	s_cbranch_execz .LBB436_12
; %bb.11:
	v_mul_u32_u24_e32 v150, 0x44, v149
	s_waitcnt lgkmcnt(0)
	v_add_f32_e32 v129, v129, v130
	s_delay_alu instid0(VALU_DEP_2) | instskip(NEXT) | instid1(VALU_DEP_1)
	v_lshl_add_u32 v150, v148, 2, v150
	v_add_nc_u32_e32 v130, 0x4000, v150
	ds_store_2addr_b32 v130, v139, v129 offset1:136
.LBB436_12:
	s_or_b32 exec_lo, exec_lo, s4
	v_lshlrev_b32_e32 v129, 2, v148
	s_waitcnt lgkmcnt(0)
	s_barrier
	buffer_gl0_inv
	v_cmp_eq_u32_e64 s4, 1, v149
	v_add_nc_u32_e32 v139, 0x4000, v129
	ds_load_2addr_b32 v[154:155], v139 offset1:17
	ds_load_2addr_b32 v[156:157], v139 offset0:34 offset1:51
	ds_load_2addr_b32 v[158:159], v139 offset0:68 offset1:85
	;; [unrolled: 1-line block ×4, first 2 shown]
	s_waitcnt lgkmcnt(4)
	v_max3_f32 v129, v154, 0xff7fffff, v155
	s_waitcnt lgkmcnt(3)
	s_delay_alu instid0(VALU_DEP_1) | instskip(SKIP_1) | instid1(VALU_DEP_1)
	v_max3_f32 v129, v129, v156, v157
	s_waitcnt lgkmcnt(2)
	v_max3_f32 v129, v129, v158, v159
	s_waitcnt lgkmcnt(1)
	s_delay_alu instid0(VALU_DEP_1) | instskip(NEXT) | instid1(VALU_DEP_1)
	v_max3_f32 v129, v129, v160, v161
	v_sub_f32_e32 v156, v156, v129
	v_sub_f32_e32 v130, v154, v129
	;; [unrolled: 1-line block ×3, first 2 shown]
	s_delay_alu instid0(VALU_DEP_3) | instskip(NEXT) | instid1(VALU_DEP_3)
	v_dual_sub_f32 v150, v155, v129 :: v_dual_mul_f32 v165, 0x3fb8aa3b, v156
	v_mul_f32_e32 v130, 0x3fb8aa3b, v130
	s_delay_alu instid0(VALU_DEP_3) | instskip(NEXT) | instid1(VALU_DEP_3)
	v_mul_f32_e32 v167, 0x3fb8aa3b, v158
	v_mul_f32_e32 v150, 0x3fb8aa3b, v150
	s_delay_alu instid0(VALU_DEP_4) | instskip(NEXT) | instid1(VALU_DEP_3)
	v_exp_f32_e32 v165, v165
	v_exp_f32_e32 v164, v130
	v_sub_f32_e32 v130, v157, v129
	s_delay_alu instid0(VALU_DEP_2) | instskip(NEXT) | instid1(VALU_DEP_1)
	v_exp_f32_e32 v150, v150
	v_mul_f32_e32 v166, 0x3fb8aa3b, v130
	s_waitcnt lgkmcnt(0)
	s_waitcnt_depctr 0xfff
	v_fma_f32 v130, v164, v162, 0
	v_sub_f32_e32 v162, v159, v129
	v_exp_f32_e32 v166, v166
	s_delay_alu instid0(VALU_DEP_2)
	v_fmac_f32_e32 v130, v150, v163
	ds_load_2addr_b32 v[154:155], v139 offset0:170 offset1:187
	ds_load_2addr_b32 v[156:157], v139 offset0:204 offset1:221
	;; [unrolled: 1-line block ×3, first 2 shown]
	v_dual_sub_f32 v139, v160, v129 :: v_dual_mul_f32 v160, 0x3fb8aa3b, v162
	v_exp_f32_e32 v162, v167
	v_cndmask_b32_e64 v150, v164, v150, s4
	v_cmp_eq_u32_e64 s4, 2, v149
	s_delay_alu instid0(VALU_DEP_3)
	v_mul_f32_e32 v139, 0x3fb8aa3b, v139
	v_exp_f32_e32 v160, v160
	s_waitcnt lgkmcnt(0)
	s_barrier
	v_cndmask_b32_e64 v150, v150, v165, s4
	v_exp_f32_e32 v139, v139
	v_cmp_eq_u32_e64 s4, 3, v149
	buffer_gl0_inv
	v_cndmask_b32_e64 v150, v150, v166, s4
	v_fmac_f32_e32 v130, v165, v154
	v_sub_f32_e32 v154, v161, v129
	v_cmp_eq_u32_e64 s4, 4, v149
	s_delay_alu instid0(VALU_DEP_2) | instskip(NEXT) | instid1(VALU_DEP_2)
	v_mul_f32_e32 v154, 0x3fb8aa3b, v154
	v_cndmask_b32_e64 v150, v150, v162, s4
	v_cmp_eq_u32_e64 s4, 5, v149
	s_delay_alu instid0(VALU_DEP_3) | instskip(SKIP_1) | instid1(VALU_DEP_2)
	v_exp_f32_e32 v154, v154
	v_fmac_f32_e32 v130, v166, v155
	v_cndmask_b32_e64 v150, v150, v160, s4
	s_mov_b32 s4, exec_lo
	s_delay_alu instid0(VALU_DEP_2) | instskip(NEXT) | instid1(VALU_DEP_1)
	v_fmac_f32_e32 v130, v162, v156
	v_fmac_f32_e32 v130, v160, v157
	s_delay_alu instid0(VALU_DEP_1) | instskip(SKIP_2) | instid1(VALU_DEP_1)
	v_fmac_f32_e32 v130, v139, v158
	s_waitcnt_depctr 0xfff
	v_fmac_f32_e32 v130, v154, v159
	v_add_f32_e32 v155, 0x358637bd, v130
	s_delay_alu instid0(VALU_DEP_1) | instskip(SKIP_1) | instid1(VALU_DEP_2)
	v_div_scale_f32 v156, null, v155, v155, 1.0
	v_div_scale_f32 v159, vcc_lo, 1.0, v155, 1.0
	v_rcp_f32_e32 v157, v156
	s_waitcnt_depctr 0xfff
	v_fma_f32 v158, -v156, v157, 1.0
	s_delay_alu instid0(VALU_DEP_1) | instskip(NEXT) | instid1(VALU_DEP_1)
	v_fmac_f32_e32 v157, v158, v157
	v_mul_f32_e32 v158, v159, v157
	s_delay_alu instid0(VALU_DEP_1) | instskip(NEXT) | instid1(VALU_DEP_1)
	v_fma_f32 v161, -v156, v158, v159
	v_fmac_f32_e32 v158, v161, v157
	s_delay_alu instid0(VALU_DEP_1) | instskip(NEXT) | instid1(VALU_DEP_1)
	v_fma_f32 v156, -v156, v158, v159
	v_div_fmas_f32 v156, v156, v157, v158
	v_cmp_eq_u32_e32 vcc_lo, 6, v149
	v_cndmask_b32_e32 v139, v150, v139, vcc_lo
	v_cmp_eq_u32_e32 vcc_lo, 7, v149
	s_delay_alu instid0(VALU_DEP_4) | instskip(NEXT) | instid1(VALU_DEP_3)
	v_div_fixup_f32 v150, v156, v155, 1.0
	v_cndmask_b32_e32 v139, v139, v154, vcc_lo
	s_delay_alu instid0(VALU_DEP_1) | instskip(NEXT) | instid1(VALU_DEP_1)
	v_mul_f32_e32 v139, v139, v150
	v_mul_f32_e32 v154, v139, v140
	;; [unrolled: 1-line block ×7, first 2 shown]
	v_and_b32_e32 v155, 0x7f800000, v154
	v_mul_f32_e32 v153, v139, v144
	v_mul_f32_e32 v144, v139, v141
                                        ; implicit-def: $vgpr141
	s_delay_alu instid0(VALU_DEP_3)
	v_cmpx_ne_u32_e32 0x7f800000, v155
	s_xor_b32 s4, exec_lo, s4
; %bb.13:
	v_bfe_u32 v141, v154, 16, 1
	s_delay_alu instid0(VALU_DEP_1)
	v_add3_u32 v141, v154, v141, 0x7fff
                                        ; implicit-def: $vgpr154
; %bb.14:
	s_and_not1_saveexec_b32 s4, s4
; %bb.15:
	v_and_b32_e32 v141, 0xffff, v154
	v_or_b32_e32 v142, 0x10000, v154
	s_delay_alu instid0(VALU_DEP_2) | instskip(NEXT) | instid1(VALU_DEP_2)
	v_cmp_eq_u32_e32 vcc_lo, 0, v141
	v_cndmask_b32_e32 v141, v142, v154, vcc_lo
; %bb.16:
	s_or_b32 exec_lo, exec_lo, s4
	v_and_b32_e32 v142, 0x7f800000, v144
	s_delay_alu instid0(VALU_DEP_1) | instskip(SKIP_1) | instid1(SALU_CYCLE_1)
	v_cmp_ne_u32_e32 vcc_lo, 0x7f800000, v142
                                        ; implicit-def: $vgpr142
	s_and_saveexec_b32 s4, vcc_lo
	s_xor_b32 s4, exec_lo, s4
; %bb.17:
	v_bfe_u32 v142, v144, 16, 1
	s_delay_alu instid0(VALU_DEP_1)
	v_add3_u32 v142, v144, v142, 0x7fff
                                        ; implicit-def: $vgpr144
; %bb.18:
	s_and_not1_saveexec_b32 s4, s4
; %bb.19:
	v_and_b32_e32 v142, 0xffff, v144
	v_or_b32_e32 v154, 0x10000, v144
	s_delay_alu instid0(VALU_DEP_2) | instskip(NEXT) | instid1(VALU_DEP_2)
	v_cmp_eq_u32_e32 vcc_lo, 0, v142
	v_cndmask_b32_e32 v142, v154, v144, vcc_lo
; %bb.20:
	s_or_b32 exec_lo, exec_lo, s4
	v_and_b32_e32 v144, 0x7f800000, v151
	s_delay_alu instid0(VALU_DEP_1) | instskip(SKIP_1) | instid1(SALU_CYCLE_1)
	v_cmp_ne_u32_e32 vcc_lo, 0x7f800000, v144
                                        ; implicit-def: $vgpr144
	s_and_saveexec_b32 s4, vcc_lo
	s_xor_b32 s4, exec_lo, s4
; %bb.21:
	v_bfe_u32 v144, v151, 16, 1
	s_delay_alu instid0(VALU_DEP_1)
	v_add3_u32 v144, v151, v144, 0x7fff
                                        ; implicit-def: $vgpr151
; %bb.22:
	s_and_not1_saveexec_b32 s4, s4
; %bb.23:
	v_and_b32_e32 v144, 0xffff, v151
	v_or_b32_e32 v154, 0x10000, v151
	s_delay_alu instid0(VALU_DEP_2) | instskip(NEXT) | instid1(VALU_DEP_2)
	v_cmp_eq_u32_e32 vcc_lo, 0, v144
	v_cndmask_b32_e32 v144, v154, v151, vcc_lo
; %bb.24:
	s_or_b32 exec_lo, exec_lo, s4
	v_and_b32_e32 v151, 0x7f800000, v153
	s_delay_alu instid0(VALU_DEP_1) | instskip(SKIP_1) | instid1(SALU_CYCLE_1)
	v_cmp_ne_u32_e32 vcc_lo, 0x7f800000, v151
                                        ; implicit-def: $vgpr151
	s_and_saveexec_b32 s4, vcc_lo
	s_xor_b32 s4, exec_lo, s4
; %bb.25:
	v_bfe_u32 v151, v153, 16, 1
	s_delay_alu instid0(VALU_DEP_1)
	v_add3_u32 v151, v153, v151, 0x7fff
                                        ; implicit-def: $vgpr153
; %bb.26:
	s_and_not1_saveexec_b32 s4, s4
; %bb.27:
	v_and_b32_e32 v151, 0xffff, v153
	v_or_b32_e32 v154, 0x10000, v153
	s_delay_alu instid0(VALU_DEP_2) | instskip(NEXT) | instid1(VALU_DEP_2)
	v_cmp_eq_u32_e32 vcc_lo, 0, v151
	v_cndmask_b32_e32 v151, v154, v153, vcc_lo
; %bb.28:
	s_or_b32 exec_lo, exec_lo, s4
	v_and_b32_e32 v153, 0x7f800000, v152
	s_delay_alu instid0(VALU_DEP_1) | instskip(SKIP_1) | instid1(SALU_CYCLE_1)
	v_cmp_ne_u32_e32 vcc_lo, 0x7f800000, v153
                                        ; implicit-def: $vgpr153
	s_and_saveexec_b32 s4, vcc_lo
	s_xor_b32 s4, exec_lo, s4
; %bb.29:
	v_bfe_u32 v153, v152, 16, 1
	s_delay_alu instid0(VALU_DEP_1)
	v_add3_u32 v153, v152, v153, 0x7fff
                                        ; implicit-def: $vgpr152
; %bb.30:
	s_and_not1_saveexec_b32 s4, s4
; %bb.31:
	v_and_b32_e32 v153, 0xffff, v152
	v_or_b32_e32 v154, 0x10000, v152
	s_delay_alu instid0(VALU_DEP_2) | instskip(NEXT) | instid1(VALU_DEP_2)
	v_cmp_eq_u32_e32 vcc_lo, 0, v153
	v_cndmask_b32_e32 v153, v154, v152, vcc_lo
; %bb.32:
	s_or_b32 exec_lo, exec_lo, s4
	v_and_b32_e32 v152, 0x7f800000, v150
	s_delay_alu instid0(VALU_DEP_1) | instskip(SKIP_1) | instid1(SALU_CYCLE_1)
	v_cmp_ne_u32_e32 vcc_lo, 0x7f800000, v152
                                        ; implicit-def: $vgpr152
	s_and_saveexec_b32 s4, vcc_lo
	s_xor_b32 s4, exec_lo, s4
; %bb.33:
	v_bfe_u32 v152, v150, 16, 1
	s_delay_alu instid0(VALU_DEP_1)
	v_add3_u32 v152, v150, v152, 0x7fff
                                        ; implicit-def: $vgpr150
; %bb.34:
	s_and_not1_saveexec_b32 s4, s4
; %bb.35:
	v_and_b32_e32 v152, 0xffff, v150
	v_or_b32_e32 v154, 0x10000, v150
	s_delay_alu instid0(VALU_DEP_2) | instskip(NEXT) | instid1(VALU_DEP_2)
	v_cmp_eq_u32_e32 vcc_lo, 0, v152
	v_cndmask_b32_e32 v152, v154, v150, vcc_lo
; %bb.36:
	s_or_b32 exec_lo, exec_lo, s4
	v_and_b32_e32 v150, 0x7f800000, v143
	s_delay_alu instid0(VALU_DEP_1) | instskip(SKIP_1) | instid1(SALU_CYCLE_1)
	v_cmp_ne_u32_e32 vcc_lo, 0x7f800000, v150
                                        ; implicit-def: $vgpr150
	s_and_saveexec_b32 s4, vcc_lo
	s_xor_b32 s4, exec_lo, s4
; %bb.37:
	v_bfe_u32 v150, v143, 16, 1
	s_delay_alu instid0(VALU_DEP_1)
	v_add3_u32 v150, v143, v150, 0x7fff
                                        ; implicit-def: $vgpr143
; %bb.38:
	s_and_not1_saveexec_b32 s4, s4
; %bb.39:
	v_and_b32_e32 v150, 0xffff, v143
	v_or_b32_e32 v154, 0x10000, v143
	s_delay_alu instid0(VALU_DEP_2) | instskip(NEXT) | instid1(VALU_DEP_2)
	v_cmp_eq_u32_e32 vcc_lo, 0, v150
	v_cndmask_b32_e32 v150, v154, v143, vcc_lo
; %bb.40:
	s_or_b32 exec_lo, exec_lo, s4
	v_and_b32_e32 v143, 0x7f800000, v140
	s_delay_alu instid0(VALU_DEP_1) | instskip(SKIP_1) | instid1(SALU_CYCLE_1)
	v_cmp_ne_u32_e32 vcc_lo, 0x7f800000, v143
                                        ; implicit-def: $vgpr143
	s_and_saveexec_b32 s4, vcc_lo
	s_xor_b32 s4, exec_lo, s4
; %bb.41:
	v_bfe_u32 v143, v140, 16, 1
	s_delay_alu instid0(VALU_DEP_1)
	v_add3_u32 v143, v140, v143, 0x7fff
                                        ; implicit-def: $vgpr140
; %bb.42:
	s_and_not1_saveexec_b32 s4, s4
; %bb.43:
	v_and_b32_e32 v143, 0xffff, v140
	v_or_b32_e32 v154, 0x10000, v140
	s_delay_alu instid0(VALU_DEP_2) | instskip(NEXT) | instid1(VALU_DEP_2)
	v_cmp_eq_u32_e32 vcc_lo, 0, v143
	v_cndmask_b32_e32 v143, v154, v140, vcc_lo
; %bb.44:
	s_or_b32 exec_lo, exec_lo, s4
	s_load_b64 s[36:37], s[0:1], 0x94
	v_dual_mul_f32 v136, v139, v136 :: v_dual_lshlrev_b32 v155, 4, v146
	s_delay_alu instid0(VALU_DEP_2)
	v_perm_b32 v154, v143, v150, 0x7060302
	v_dual_mul_f32 v143, v139, v131 :: v_dual_lshlrev_b32 v140, 6, v148
	v_dual_mul_f32 v135, v139, v135 :: v_dual_lshlrev_b32 v150, 11, v149
	v_perm_b32 v153, v152, v153, 0x7060302
	v_perm_b32 v152, v151, v144, 0x7060302
	;; [unrolled: 1-line block ×3, first 2 shown]
	s_delay_alu instid0(VALU_DEP_4)
	v_or3_b32 v131, v155, v150, v140
	v_mul_f32_e32 v138, v139, v138
	v_dual_mul_f32 v137, v139, v137 :: v_dual_and_b32 v144, 0x7f800000, v143
	v_mul_f32_e32 v141, v139, v134
	v_mul_f32_e32 v142, v139, v133
	;; [unrolled: 1-line block ×3, first 2 shown]
	s_mov_b32 s4, exec_lo
	ds_store_b128 v131, v[151:154]
                                        ; implicit-def: $vgpr132
	v_cmpx_ne_u32_e32 0x7f800000, v144
	s_xor_b32 s4, exec_lo, s4
; %bb.45:
	v_bfe_u32 v132, v143, 16, 1
	s_delay_alu instid0(VALU_DEP_1)
	v_add3_u32 v132, v143, v132, 0x7fff
                                        ; implicit-def: $vgpr143
; %bb.46:
	s_and_not1_saveexec_b32 s4, s4
; %bb.47:
	v_and_b32_e32 v132, 0xffff, v143
	v_or_b32_e32 v133, 0x10000, v143
	s_delay_alu instid0(VALU_DEP_2) | instskip(NEXT) | instid1(VALU_DEP_2)
	v_cmp_eq_u32_e32 vcc_lo, 0, v132
	v_cndmask_b32_e32 v132, v133, v143, vcc_lo
; %bb.48:
	s_or_b32 exec_lo, exec_lo, s4
	v_and_b32_e32 v133, 0x7f800000, v134
	s_delay_alu instid0(VALU_DEP_1) | instskip(SKIP_1) | instid1(SALU_CYCLE_1)
	v_cmp_ne_u32_e32 vcc_lo, 0x7f800000, v133
                                        ; implicit-def: $vgpr133
	s_and_saveexec_b32 s4, vcc_lo
	s_xor_b32 s4, exec_lo, s4
; %bb.49:
	v_bfe_u32 v133, v134, 16, 1
	s_delay_alu instid0(VALU_DEP_1)
	v_add3_u32 v133, v134, v133, 0x7fff
                                        ; implicit-def: $vgpr134
; %bb.50:
	s_and_not1_saveexec_b32 s4, s4
; %bb.51:
	v_and_b32_e32 v133, 0xffff, v134
	v_or_b32_e32 v139, 0x10000, v134
	s_delay_alu instid0(VALU_DEP_2) | instskip(NEXT) | instid1(VALU_DEP_2)
	v_cmp_eq_u32_e32 vcc_lo, 0, v133
	v_cndmask_b32_e32 v133, v139, v134, vcc_lo
; %bb.52:
	s_or_b32 exec_lo, exec_lo, s4
	v_and_b32_e32 v134, 0x7f800000, v142
	s_delay_alu instid0(VALU_DEP_1) | instskip(SKIP_1) | instid1(SALU_CYCLE_1)
	v_cmp_ne_u32_e32 vcc_lo, 0x7f800000, v134
                                        ; implicit-def: $vgpr134
	s_and_saveexec_b32 s4, vcc_lo
	s_xor_b32 s4, exec_lo, s4
; %bb.53:
	v_bfe_u32 v134, v142, 16, 1
	s_delay_alu instid0(VALU_DEP_1)
	v_add3_u32 v134, v142, v134, 0x7fff
                                        ; implicit-def: $vgpr142
; %bb.54:
	s_and_not1_saveexec_b32 s4, s4
; %bb.55:
	v_and_b32_e32 v134, 0xffff, v142
	v_or_b32_e32 v139, 0x10000, v142
	s_delay_alu instid0(VALU_DEP_2) | instskip(NEXT) | instid1(VALU_DEP_2)
	v_cmp_eq_u32_e32 vcc_lo, 0, v134
	v_cndmask_b32_e32 v134, v139, v142, vcc_lo
; %bb.56:
	s_or_b32 exec_lo, exec_lo, s4
	v_and_b32_e32 v139, 0x7f800000, v141
	s_delay_alu instid0(VALU_DEP_1) | instskip(SKIP_1) | instid1(SALU_CYCLE_1)
	v_cmp_ne_u32_e32 vcc_lo, 0x7f800000, v139
                                        ; implicit-def: $vgpr139
	s_and_saveexec_b32 s4, vcc_lo
	s_xor_b32 s4, exec_lo, s4
; %bb.57:
	v_bfe_u32 v139, v141, 16, 1
	s_delay_alu instid0(VALU_DEP_1)
	v_add3_u32 v139, v141, v139, 0x7fff
                                        ; implicit-def: $vgpr141
; %bb.58:
	s_and_not1_saveexec_b32 s4, s4
; %bb.59:
	v_and_b32_e32 v139, 0xffff, v141
	v_or_b32_e32 v142, 0x10000, v141
	s_delay_alu instid0(VALU_DEP_2) | instskip(NEXT) | instid1(VALU_DEP_2)
	v_cmp_eq_u32_e32 vcc_lo, 0, v139
	v_cndmask_b32_e32 v139, v142, v141, vcc_lo
; %bb.60:
	s_or_b32 exec_lo, exec_lo, s4
	v_and_b32_e32 v141, 0x7f800000, v135
	s_delay_alu instid0(VALU_DEP_1) | instskip(SKIP_1) | instid1(SALU_CYCLE_1)
	v_cmp_ne_u32_e32 vcc_lo, 0x7f800000, v141
                                        ; implicit-def: $vgpr141
	s_and_saveexec_b32 s4, vcc_lo
	s_xor_b32 s4, exec_lo, s4
; %bb.61:
	v_bfe_u32 v141, v135, 16, 1
	s_delay_alu instid0(VALU_DEP_1)
	v_add3_u32 v141, v135, v141, 0x7fff
                                        ; implicit-def: $vgpr135
; %bb.62:
	s_and_not1_saveexec_b32 s4, s4
; %bb.63:
	v_and_b32_e32 v141, 0xffff, v135
	v_or_b32_e32 v142, 0x10000, v135
	s_delay_alu instid0(VALU_DEP_2) | instskip(NEXT) | instid1(VALU_DEP_2)
	v_cmp_eq_u32_e32 vcc_lo, 0, v141
	v_cndmask_b32_e32 v141, v142, v135, vcc_lo
; %bb.64:
	s_or_b32 exec_lo, exec_lo, s4
	v_and_b32_e32 v135, 0x7f800000, v136
	s_delay_alu instid0(VALU_DEP_1) | instskip(SKIP_1) | instid1(SALU_CYCLE_1)
	v_cmp_ne_u32_e32 vcc_lo, 0x7f800000, v135
                                        ; implicit-def: $vgpr135
	s_and_saveexec_b32 s4, vcc_lo
	s_xor_b32 s4, exec_lo, s4
; %bb.65:
	v_bfe_u32 v135, v136, 16, 1
	s_delay_alu instid0(VALU_DEP_1)
	v_add3_u32 v135, v136, v135, 0x7fff
                                        ; implicit-def: $vgpr136
; %bb.66:
	s_and_not1_saveexec_b32 s4, s4
; %bb.67:
	v_and_b32_e32 v135, 0xffff, v136
	v_or_b32_e32 v142, 0x10000, v136
	s_delay_alu instid0(VALU_DEP_2) | instskip(NEXT) | instid1(VALU_DEP_2)
	v_cmp_eq_u32_e32 vcc_lo, 0, v135
	v_cndmask_b32_e32 v135, v142, v136, vcc_lo
; %bb.68:
	s_or_b32 exec_lo, exec_lo, s4
	v_and_b32_e32 v136, 0x7f800000, v137
	s_delay_alu instid0(VALU_DEP_1) | instskip(SKIP_1) | instid1(SALU_CYCLE_1)
	v_cmp_ne_u32_e32 vcc_lo, 0x7f800000, v136
                                        ; implicit-def: $vgpr136
	s_and_saveexec_b32 s4, vcc_lo
	s_xor_b32 s4, exec_lo, s4
; %bb.69:
	v_bfe_u32 v136, v137, 16, 1
	s_delay_alu instid0(VALU_DEP_1)
	v_add3_u32 v136, v137, v136, 0x7fff
                                        ; implicit-def: $vgpr137
; %bb.70:
	s_and_not1_saveexec_b32 s4, s4
; %bb.71:
	v_and_b32_e32 v136, 0xffff, v137
	v_or_b32_e32 v142, 0x10000, v137
	s_delay_alu instid0(VALU_DEP_2) | instskip(NEXT) | instid1(VALU_DEP_2)
	v_cmp_eq_u32_e32 vcc_lo, 0, v136
	v_cndmask_b32_e32 v136, v142, v137, vcc_lo
; %bb.72:
	s_or_b32 exec_lo, exec_lo, s4
	v_and_b32_e32 v137, 0x7f800000, v138
	s_delay_alu instid0(VALU_DEP_1) | instskip(SKIP_1) | instid1(SALU_CYCLE_1)
	v_cmp_ne_u32_e32 vcc_lo, 0x7f800000, v137
                                        ; implicit-def: $vgpr137
	s_and_saveexec_b32 s4, vcc_lo
	s_xor_b32 s4, exec_lo, s4
; %bb.73:
	v_bfe_u32 v137, v138, 16, 1
	s_delay_alu instid0(VALU_DEP_1)
	v_add3_u32 v137, v138, v137, 0x7fff
                                        ; implicit-def: $vgpr138
; %bb.74:
	s_and_not1_saveexec_b32 s4, s4
; %bb.75:
	v_and_b32_e32 v137, 0xffff, v138
	v_or_b32_e32 v142, 0x10000, v138
	s_delay_alu instid0(VALU_DEP_2) | instskip(NEXT) | instid1(VALU_DEP_2)
	v_cmp_eq_u32_e32 vcc_lo, 0, v137
	v_cndmask_b32_e32 v137, v142, v138, vcc_lo
; %bb.76:
	s_or_b32 exec_lo, exec_lo, s4
	s_delay_alu instid0(VALU_DEP_1)
	v_perm_b32 v136, v137, v136, 0x7060302
	v_perm_b32 v135, v135, v141, 0x7060302
	;; [unrolled: 1-line block ×4, first 2 shown]
	v_lshl_or_b32 v141, v149, 11, v140
	ds_store_b128 v131, v[133:136] offset:1024
	s_waitcnt lgkmcnt(0)
	s_barrier
	buffer_gl0_inv
	ds_load_b128 v[132:135], v141
	ds_load_b128 v[149:152], v141 offset:16
	s_waitcnt lgkmcnt(1)
	v_lshrrev_b32_e32 v136, 16, v132
	s_waitcnt lgkmcnt(0)
	v_lshrrev_b32_e32 v164, 16, v151
	v_lshlrev_b32_e32 v138, 2, v146
	v_lshrrev_b32_e32 v143, 16, v149
	v_lshrrev_b32_e32 v162, 16, v150
	;; [unrolled: 1-line block ×4, first 2 shown]
	v_or_b32_e32 v139, 1, v138
	v_lshrrev_b32_e32 v165, 16, v152
	v_lshrrev_b32_e32 v163, 16, v135
	s_delay_alu instid0(VALU_DEP_3)
	v_cmp_eq_u32_e64 s8, 1, v139
	v_cmp_eq_u32_e64 s7, 2, v139
	;; [unrolled: 1-line block ×4, first 2 shown]
	v_cmp_eq_u32_e32 vcc_lo, 5, v139
	v_cndmask_b32_e64 v155, v149, v143, s8
	v_cndmask_b32_e64 v154, v132, v136, s8
	v_cmp_eq_u32_e64 s5, 6, v139
	v_cmp_eq_u32_e64 s20, 7, v139
	s_delay_alu instid0(VALU_DEP_4) | instskip(NEXT) | instid1(VALU_DEP_4)
	v_cndmask_b32_e64 v155, v155, v150, s7
	v_cndmask_b32_e64 v154, v154, v133, s7
	s_delay_alu instid0(VALU_DEP_2) | instskip(NEXT) | instid1(VALU_DEP_2)
	v_cndmask_b32_e64 v155, v155, v162, s6
	v_cndmask_b32_e64 v154, v154, v144, s6
	s_delay_alu instid0(VALU_DEP_2) | instskip(NEXT) | instid1(VALU_DEP_2)
	v_cndmask_b32_e64 v155, v155, v151, s4
	v_cndmask_b32_e64 v154, v154, v134, s4
	s_delay_alu instid0(VALU_DEP_2)
	v_cndmask_b32_e32 v157, v155, v164, vcc_lo
	v_cmp_eq_u32_e64 s13, 1, v138
	v_cmp_eq_u32_e64 s12, 2, v138
	;; [unrolled: 1-line block ×3, first 2 shown]
	v_or_b32_e32 v137, 2, v138
	v_cmp_eq_u32_e64 s18, 4, v138
	v_cndmask_b32_e64 v153, v149, v143, s13
	v_cndmask_b32_e64 v142, v132, v136, s13
	v_cmp_eq_u32_e64 s15, 5, v138
	v_cmp_eq_u32_e64 s9, 1, v137
	;; [unrolled: 1-line block ×3, first 2 shown]
	v_cndmask_b32_e64 v153, v153, v150, s12
	v_cndmask_b32_e64 v142, v142, v133, s12
	v_cmp_eq_u32_e64 s11, 2, v137
	v_cndmask_b32_e64 v156, v132, v136, s9
	v_cndmask_b32_e32 v154, v154, v161, vcc_lo
	v_cndmask_b32_e64 v153, v153, v162, s17
	v_cndmask_b32_e64 v142, v142, v144, s17
	v_cmp_eq_u32_e64 s10, 7, v138
	v_cndmask_b32_e64 v156, v156, v133, s11
	v_cmp_eq_u32_e64 s19, 3, v137
	v_cndmask_b32_e64 v153, v153, v151, s18
	v_cndmask_b32_e64 v142, v142, v134, s18
	;; [unrolled: 1-line block ×3, first 2 shown]
	v_cmp_eq_u32_e64 s21, 4, v137
	v_cndmask_b32_e64 v156, v156, v144, s19
	v_cndmask_b32_e64 v153, v153, v164, s15
	;; [unrolled: 1-line block ×4, first 2 shown]
	v_cmp_eq_u32_e64 s23, 5, v137
	v_cndmask_b32_e64 v159, v156, v134, s21
	v_cndmask_b32_e64 v153, v153, v152, s16
	;; [unrolled: 1-line block ×3, first 2 shown]
	v_cmp_eq_u32_e64 s26, 6, v137
	v_cmp_eq_u32_e64 s28, 7, v137
	v_cndmask_b32_e64 v169, v159, v161, s23
	v_cndmask_b32_e64 v167, v153, v165, s10
	;; [unrolled: 1-line block ×4, first 2 shown]
	v_or_b32_e32 v142, 3, v138
	s_delay_alu instid0(VALU_DEP_3)
	v_cndmask_b32_e64 v158, v153, v150, s11
	ds_load_b128 v[153:156], v141 offset:1024
	v_cmp_eq_u32_e64 s22, 1, v142
	v_cmp_eq_u32_e64 s24, 2, v142
	;; [unrolled: 1-line block ×3, first 2 shown]
	v_cndmask_b32_e64 v158, v158, v162, s19
	v_cmp_eq_u32_e64 s27, 4, v142
	v_cndmask_b32_e64 v132, v132, v136, s22
	v_cndmask_b32_e64 v136, v157, v152, s5
	;; [unrolled: 1-line block ×4, first 2 shown]
	ds_load_b128 v[157:160], v141 offset:1040
	v_cndmask_b32_e64 v132, v132, v133, s24
	v_cmp_eq_u32_e64 s29, 5, v142
	v_cndmask_b32_e64 v143, v143, v150, s24
	v_cmp_eq_u32_e64 s30, 6, v142
	v_cndmask_b32_e64 v133, v170, v164, s23
	v_cndmask_b32_e64 v132, v132, v144, s25
	;; [unrolled: 1-line block ×5, first 2 shown]
	s_waitcnt lgkmcnt(1)
	v_lshrrev_b32_e32 v149, 16, v153
	v_cndmask_b32_e64 v132, v132, v134, s27
	v_cndmask_b32_e64 v133, v133, v152, s26
	;; [unrolled: 1-line block ×3, first 2 shown]
	v_lshrrev_b32_e32 v151, 16, v154
	v_cndmask_b32_e64 v143, v153, v149, s13
	v_cndmask_b32_e64 v132, v132, v161, s29
	v_cndmask_b32_e64 v161, v153, v149, s8
	v_cndmask_b32_e64 v134, v134, v164, s29
	v_cndmask_b32_e64 v144, v144, v163, s28
	s_waitcnt lgkmcnt(0)
	v_lshrrev_b32_e32 v150, 16, v157
	v_cndmask_b32_e64 v143, v143, v154, s12
	v_cndmask_b32_e64 v132, v132, v135, s30
	;; [unrolled: 1-line block ×3, first 2 shown]
	v_lshrrev_b32_e32 v164, 16, v159
	v_cndmask_b32_e64 v162, v157, v150, s13
	v_cndmask_b32_e64 v135, v143, v151, s17
	;; [unrolled: 1-line block ×3, first 2 shown]
	v_lshrrev_b32_e32 v161, 16, v158
	v_cndmask_b32_e64 v133, v133, v165, s28
	v_cndmask_b32_e64 v152, v162, v158, s12
	v_cmp_eq_u32_e64 s12, 7, v142
	v_cndmask_b32_e64 v143, v143, v151, s6
	v_cndmask_b32_e64 v135, v135, v155, s18
	v_lshrrev_b32_e32 v162, 16, v155
	v_cndmask_b32_e64 v152, v152, v161, s17
	v_cndmask_b32_e64 v132, v132, v163, s12
	;; [unrolled: 1-line block ×6, first 2 shown]
	s_delay_alu instid0(VALU_DEP_4) | instskip(NEXT) | instid1(VALU_DEP_4)
	v_perm_b32 v135, v134, v132, 0x5040100
	v_cndmask_b32_e32 v132, v143, v162, vcc_lo
	s_delay_alu instid0(VALU_DEP_4)
	v_cndmask_b32_e64 v143, v163, v156, s16
	v_lshrrev_b32_e32 v163, 16, v156
	v_cndmask_b32_e64 v152, v152, v164, s15
	v_perm_b32 v134, v133, v144, 0x5040100
	v_cndmask_b32_e64 v132, v132, v156, s5
	v_perm_b32 v133, v136, v168, 0x5040100
	v_cndmask_b32_e64 v136, v143, v163, s10
	v_cndmask_b32_e64 v143, v152, v160, s16
	;; [unrolled: 1-line block ×13, first 2 shown]
	v_lshrrev_b32_e32 v144, 16, v160
	v_cndmask_b32_e64 v132, v132, v151, s19
	v_cndmask_b32_e64 v149, v149, v151, s25
	;; [unrolled: 1-line block ×14, first 2 shown]
	v_cndmask_b32_e32 v150, v150, v164, vcc_lo
	v_cndmask_b32_e64 v132, v132, v156, s26
	v_cndmask_b32_e64 v149, v149, v156, s30
	;; [unrolled: 1-line block ×11, first 2 shown]
	v_perm_b32 v132, v167, v166, 0x5040100
	v_perm_b32 v152, v151, v149, 0x5040100
	;; [unrolled: 1-line block ×5, first 2 shown]
	s_mul_i32 s9, s37, 15
	s_mov_b32 s4, exec_lo
	ds_store_b128 v131, v[132:135]
	ds_store_b128 v131, v[149:152] offset:1024
	v_cmpx_gt_u32_e32 15, v0
	s_cbranch_execz .LBB436_78
; %bb.77:
	s_mul_i32 s5, s9, s34
	s_load_b128 s[16:19], s[0:1], 0x58
	v_add3_u32 v133, s5, s31, v148
	s_delay_alu instid0(VALU_DEP_1) | instskip(NEXT) | instid1(VALU_DEP_1)
	v_mad_u64_u32 v[131:132], null, v133, s36, s[14:15]
	v_ashrrev_i32_e32 v132, 31, v131
	s_delay_alu instid0(VALU_DEP_1) | instskip(SKIP_1) | instid1(VALU_DEP_1)
	v_lshlrev_b64 v[131:132], 2, v[131:132]
	s_waitcnt lgkmcnt(0)
	v_add_co_u32 v133, vcc_lo, s18, v131
	s_delay_alu instid0(VALU_DEP_2)
	v_add_co_ci_u32_e32 v134, vcc_lo, s19, v132, vcc_lo
	v_add_co_u32 v131, vcc_lo, s16, v131
	v_add_co_ci_u32_e32 v132, vcc_lo, s17, v132, vcc_lo
	global_store_b32 v[133:134], v129, off
	global_store_b32 v[131:132], v130, off
.LBB436_78:
	s_or_b32 exec_lo, exec_lo, s4
	s_waitcnt lgkmcnt(0)
	s_waitcnt_vscnt null, 0x0
	s_barrier
	buffer_gl0_inv
	ds_load_b128 v[148:151], v140
	ds_load_b128 v[152:155], v140 offset:16
	ds_load_b128 v[160:163], v140 offset:1040
	;; [unrolled: 1-line block ×3, first 2 shown]
	v_mov_b32_e32 v129, 0
	ds_load_b128 v[168:171], v140 offset:2064
	ds_load_b128 v[164:167], v140 offset:2048
	ds_load_b128 v[176:179], v140 offset:3088
	ds_load_b128 v[172:175], v140 offset:3072
	ds_load_b128 v[184:187], v140 offset:4112
	ds_load_b128 v[180:183], v140 offset:4096
	v_mov_b32_e32 v130, v129
	v_mov_b32_e32 v131, v129
	;; [unrolled: 1-line block ×7, first 2 shown]
	s_waitcnt lgkmcnt(8)
	s_delay_alu instid0(VALU_DEP_1)
	v_wmma_f32_16x16x16_bf16 v[129:136], v[121:128], v[148:155], v[129:136]
	ds_load_b128 v[125:128], v140 offset:5136
	ds_load_b128 v[121:124], v140 offset:5120
	s_waitcnt lgkmcnt(8)
	v_wmma_f32_16x16x16_bf16 v[129:136], v[113:120], v[156:163], v[129:136]
	ds_load_b128 v[117:120], v140 offset:6160
	ds_load_b128 v[113:116], v140 offset:6144
	s_waitcnt lgkmcnt(8)
	;; [unrolled: 4-line block ×8, first 2 shown]
	v_wmma_f32_16x16x16_bf16 v[129:136], v[65:72], v[97:104], v[129:136]
	s_waitcnt lgkmcnt(6)
	s_delay_alu instid0(VALU_DEP_1)
	v_wmma_f32_16x16x16_bf16 v[129:136], v[49:56], v[89:96], v[129:136]
	ds_load_b128 v[53:56], v140 offset:13328
	ds_load_b128 v[49:52], v140 offset:13312
	s_waitcnt lgkmcnt(6)
	v_wmma_f32_16x16x16_bf16 v[129:136], v[41:48], v[81:88], v[129:136]
	ds_load_b128 v[45:48], v140 offset:14352
	ds_load_b128 v[41:44], v140 offset:14336
	s_waitcnt lgkmcnt(6)
	;; [unrolled: 4-line block ×3, first 2 shown]
	v_wmma_f32_16x16x16_bf16 v[129:136], v[1:8], v[57:64], v[129:136]
	s_waitcnt lgkmcnt(4)
	s_delay_alu instid0(VALU_DEP_1) | instskip(SKIP_1) | instid1(VALU_DEP_1)
	v_wmma_f32_16x16x16_bf16 v[129:136], v[25:32], v[49:56], v[129:136]
	s_waitcnt lgkmcnt(2)
	v_wmma_f32_16x16x16_bf16 v[129:136], v[33:40], v[41:48], v[129:136]
	s_waitcnt lgkmcnt(0)
	s_delay_alu instid0(VALU_DEP_1) | instskip(NEXT) | instid1(VALU_DEP_1)
	v_wmma_f32_16x16x16_bf16 v[129:136], v[9:16], v[17:24], v[129:136]
	v_and_b32_e32 v1, 0x7f800000, v129
	s_delay_alu instid0(VALU_DEP_1) | instskip(SKIP_1) | instid1(SALU_CYCLE_1)
	v_cmp_ne_u32_e32 vcc_lo, 0x7f800000, v1
                                        ; implicit-def: $vgpr1
	s_and_saveexec_b32 s4, vcc_lo
	s_xor_b32 s4, exec_lo, s4
; %bb.79:
	v_bfe_u32 v1, v129, 16, 1
	s_delay_alu instid0(VALU_DEP_1)
	v_add3_u32 v1, v129, v1, 0x7fff
; %bb.80:
	s_and_not1_saveexec_b32 s4, s4
; %bb.81:
	v_and_b32_e32 v1, 0xffff, v129
	v_or_b32_e32 v2, 0x10000, v129
	s_delay_alu instid0(VALU_DEP_2) | instskip(NEXT) | instid1(VALU_DEP_2)
	v_cmp_eq_u32_e32 vcc_lo, 0, v1
	v_cndmask_b32_e32 v1, v2, v129, vcc_lo
; %bb.82:
	s_or_b32 exec_lo, exec_lo, s4
	v_and_b32_e32 v2, 0x7f800000, v130
	s_delay_alu instid0(VALU_DEP_1) | instskip(SKIP_1) | instid1(SALU_CYCLE_1)
	v_cmp_ne_u32_e32 vcc_lo, 0x7f800000, v2
                                        ; implicit-def: $vgpr2
	s_and_saveexec_b32 s4, vcc_lo
	s_xor_b32 s4, exec_lo, s4
; %bb.83:
	v_bfe_u32 v2, v130, 16, 1
	s_delay_alu instid0(VALU_DEP_1)
	v_add3_u32 v2, v130, v2, 0x7fff
; %bb.84:
	s_and_not1_saveexec_b32 s4, s4
; %bb.85:
	v_and_b32_e32 v2, 0xffff, v130
	v_or_b32_e32 v3, 0x10000, v130
	s_delay_alu instid0(VALU_DEP_2) | instskip(NEXT) | instid1(VALU_DEP_2)
	v_cmp_eq_u32_e32 vcc_lo, 0, v2
	v_cndmask_b32_e32 v2, v3, v130, vcc_lo
; %bb.86:
	s_or_b32 exec_lo, exec_lo, s4
	v_and_b32_e32 v3, 0x7f800000, v131
	s_delay_alu instid0(VALU_DEP_1) | instskip(SKIP_1) | instid1(SALU_CYCLE_1)
	v_cmp_ne_u32_e32 vcc_lo, 0x7f800000, v3
                                        ; implicit-def: $vgpr3
	s_and_saveexec_b32 s4, vcc_lo
	s_xor_b32 s4, exec_lo, s4
; %bb.87:
	v_bfe_u32 v3, v131, 16, 1
	s_delay_alu instid0(VALU_DEP_1)
	v_add3_u32 v3, v131, v3, 0x7fff
; %bb.88:
	s_and_not1_saveexec_b32 s4, s4
; %bb.89:
	v_and_b32_e32 v3, 0xffff, v131
	v_or_b32_e32 v4, 0x10000, v131
	s_delay_alu instid0(VALU_DEP_2) | instskip(NEXT) | instid1(VALU_DEP_2)
	v_cmp_eq_u32_e32 vcc_lo, 0, v3
	v_cndmask_b32_e32 v3, v4, v131, vcc_lo
; %bb.90:
	s_or_b32 exec_lo, exec_lo, s4
	v_and_b32_e32 v4, 0x7f800000, v132
	s_delay_alu instid0(VALU_DEP_1) | instskip(SKIP_1) | instid1(SALU_CYCLE_1)
	v_cmp_ne_u32_e32 vcc_lo, 0x7f800000, v4
                                        ; implicit-def: $vgpr4
	s_and_saveexec_b32 s4, vcc_lo
	s_xor_b32 s4, exec_lo, s4
; %bb.91:
	v_bfe_u32 v4, v132, 16, 1
	s_delay_alu instid0(VALU_DEP_1)
	v_add3_u32 v4, v132, v4, 0x7fff
; %bb.92:
	s_and_not1_saveexec_b32 s4, s4
; %bb.93:
	v_and_b32_e32 v4, 0xffff, v132
	v_or_b32_e32 v5, 0x10000, v132
	s_delay_alu instid0(VALU_DEP_2) | instskip(NEXT) | instid1(VALU_DEP_2)
	v_cmp_eq_u32_e32 vcc_lo, 0, v4
	v_cndmask_b32_e32 v4, v5, v132, vcc_lo
; %bb.94:
	s_or_b32 exec_lo, exec_lo, s4
	v_and_b32_e32 v5, 0x7f800000, v133
	s_delay_alu instid0(VALU_DEP_1) | instskip(SKIP_1) | instid1(SALU_CYCLE_1)
	v_cmp_ne_u32_e32 vcc_lo, 0x7f800000, v5
                                        ; implicit-def: $vgpr5
	s_and_saveexec_b32 s4, vcc_lo
	s_xor_b32 s4, exec_lo, s4
; %bb.95:
	v_bfe_u32 v5, v133, 16, 1
	s_delay_alu instid0(VALU_DEP_1)
	v_add3_u32 v5, v133, v5, 0x7fff
; %bb.96:
	s_and_not1_saveexec_b32 s4, s4
; %bb.97:
	v_and_b32_e32 v5, 0xffff, v133
	v_or_b32_e32 v6, 0x10000, v133
	s_delay_alu instid0(VALU_DEP_2) | instskip(NEXT) | instid1(VALU_DEP_2)
	v_cmp_eq_u32_e32 vcc_lo, 0, v5
	v_cndmask_b32_e32 v5, v6, v133, vcc_lo
; %bb.98:
	s_or_b32 exec_lo, exec_lo, s4
	v_and_b32_e32 v6, 0x7f800000, v134
	s_delay_alu instid0(VALU_DEP_1) | instskip(SKIP_1) | instid1(SALU_CYCLE_1)
	v_cmp_ne_u32_e32 vcc_lo, 0x7f800000, v6
                                        ; implicit-def: $vgpr6
	s_and_saveexec_b32 s4, vcc_lo
	s_xor_b32 s4, exec_lo, s4
; %bb.99:
	v_bfe_u32 v6, v134, 16, 1
	s_delay_alu instid0(VALU_DEP_1)
	v_add3_u32 v6, v134, v6, 0x7fff
; %bb.100:
	s_and_not1_saveexec_b32 s4, s4
; %bb.101:
	v_and_b32_e32 v6, 0xffff, v134
	v_or_b32_e32 v7, 0x10000, v134
	s_delay_alu instid0(VALU_DEP_2) | instskip(NEXT) | instid1(VALU_DEP_2)
	v_cmp_eq_u32_e32 vcc_lo, 0, v6
	v_cndmask_b32_e32 v6, v7, v134, vcc_lo
; %bb.102:
	s_or_b32 exec_lo, exec_lo, s4
	v_and_b32_e32 v7, 0x7f800000, v135
	s_delay_alu instid0(VALU_DEP_1) | instskip(SKIP_1) | instid1(SALU_CYCLE_1)
	v_cmp_ne_u32_e32 vcc_lo, 0x7f800000, v7
                                        ; implicit-def: $vgpr7
	s_and_saveexec_b32 s4, vcc_lo
	s_xor_b32 s4, exec_lo, s4
; %bb.103:
	v_bfe_u32 v7, v135, 16, 1
	s_delay_alu instid0(VALU_DEP_1)
	v_add3_u32 v7, v135, v7, 0x7fff
; %bb.104:
	s_and_not1_saveexec_b32 s4, s4
; %bb.105:
	v_and_b32_e32 v7, 0xffff, v135
	v_or_b32_e32 v8, 0x10000, v135
	s_delay_alu instid0(VALU_DEP_2) | instskip(NEXT) | instid1(VALU_DEP_2)
	v_cmp_eq_u32_e32 vcc_lo, 0, v7
	v_cndmask_b32_e32 v7, v8, v135, vcc_lo
; %bb.106:
	s_or_b32 exec_lo, exec_lo, s4
	v_and_b32_e32 v8, 0x7f800000, v136
	s_delay_alu instid0(VALU_DEP_1) | instskip(SKIP_1) | instid1(SALU_CYCLE_1)
	v_cmp_ne_u32_e32 vcc_lo, 0x7f800000, v8
                                        ; implicit-def: $vgpr8
	s_and_saveexec_b32 s4, vcc_lo
	s_xor_b32 s4, exec_lo, s4
; %bb.107:
	v_bfe_u32 v8, v136, 16, 1
	s_delay_alu instid0(VALU_DEP_1)
	v_add3_u32 v8, v136, v8, 0x7fff
                                        ; implicit-def: $vgpr129_vgpr130_vgpr131_vgpr132_vgpr133_vgpr134_vgpr135_vgpr136
; %bb.108:
	s_and_not1_saveexec_b32 s4, s4
; %bb.109:
	v_and_b32_e32 v8, 0xffff, v136
	v_or_b32_e32 v9, 0x10000, v136
	s_delay_alu instid0(VALU_DEP_2) | instskip(NEXT) | instid1(VALU_DEP_2)
	v_cmp_eq_u32_e32 vcc_lo, 0, v8
	v_cndmask_b32_e32 v8, v9, v136, vcc_lo
; %bb.110:
	s_or_b32 exec_lo, exec_lo, s4
	s_delay_alu instid0(VALU_DEP_1)
	v_perm_b32 v7, v8, v7, 0x7060302
	v_perm_b32 v6, v6, v5, 0x7060302
	;; [unrolled: 1-line block ×4, first 2 shown]
	v_lshl_or_b32 v9, v146, 4, v141
	s_barrier
	buffer_gl0_inv
	v_cmp_eq_u32_e32 vcc_lo, 1, v138
	ds_store_b128 v9, v[4:7]
	s_waitcnt lgkmcnt(0)
	s_barrier
	buffer_gl0_inv
	ds_load_b128 v[1:4], v141
	ds_load_b128 v[5:8], v141 offset:16
	v_cmp_eq_u32_e64 s5, 2, v138
	v_cmp_eq_u32_e64 s4, 1, v139
	;; [unrolled: 1-line block ×5, first 2 shown]
	s_waitcnt lgkmcnt(1)
	v_lshrrev_b32_e32 v10, 16, v1
	s_waitcnt lgkmcnt(0)
	v_lshrrev_b32_e32 v14, 16, v5
	v_lshrrev_b32_e32 v15, 16, v6
	;; [unrolled: 1-line block ×4, first 2 shown]
	v_cndmask_b32_e64 v20, v1, v10, s4
	v_cndmask_b32_e32 v19, v5, v14, vcc_lo
	v_cndmask_b32_e64 v21, v5, v14, s4
	v_lshrrev_b32_e32 v16, 16, v7
	v_cmp_eq_u32_e64 s4, 1, v137
	v_lshrrev_b32_e32 v13, 16, v4
	v_cndmask_b32_e64 v19, v19, v6, s5
	v_lshrrev_b32_e32 v17, 16, v8
	s_delay_alu instid0(VALU_DEP_4) | instskip(SKIP_1) | instid1(VALU_DEP_4)
	v_cndmask_b32_e64 v22, v1, v10, s4
	v_cndmask_b32_e64 v23, v5, v14, s4
	;; [unrolled: 1-line block ×3, first 2 shown]
	v_cndmask_b32_e32 v18, v1, v10, vcc_lo
	v_cmp_eq_u32_e32 vcc_lo, 2, v139
	v_cmp_eq_u32_e64 s4, 2, v142
	v_cndmask_b32_e64 v22, v22, v2, s8
	v_cndmask_b32_e32 v20, v20, v2, vcc_lo
	v_cndmask_b32_e32 v21, v21, v6, vcc_lo
	v_cmp_eq_u32_e32 vcc_lo, 4, v138
	v_cndmask_b32_e32 v19, v19, v7, vcc_lo
	v_cndmask_b32_e64 v18, v18, v2, s5
	v_cmp_eq_u32_e64 s5, 3, v139
	s_delay_alu instid0(VALU_DEP_2) | instskip(NEXT) | instid1(VALU_DEP_2)
	v_cndmask_b32_e64 v18, v18, v11, s6
	v_cndmask_b32_e64 v21, v21, v15, s5
	v_cmp_eq_u32_e64 s6, 5, v138
	s_delay_alu instid0(VALU_DEP_3) | instskip(SKIP_1) | instid1(VALU_DEP_3)
	v_cndmask_b32_e32 v18, v18, v3, vcc_lo
	v_cmp_eq_u32_e32 vcc_lo, 4, v139
	v_cndmask_b32_e64 v19, v19, v16, s6
	s_delay_alu instid0(VALU_DEP_3) | instskip(SKIP_4) | instid1(VALU_DEP_3)
	v_cndmask_b32_e64 v18, v18, v12, s6
	v_cndmask_b32_e32 v21, v21, v7, vcc_lo
	v_cndmask_b32_e64 v20, v20, v11, s5
	v_cmp_eq_u32_e64 s5, 5, v139
	v_cmp_eq_u32_e64 s6, 6, v138
	v_cndmask_b32_e32 v20, v20, v3, vcc_lo
	s_delay_alu instid0(VALU_DEP_3) | instskip(SKIP_1) | instid1(VALU_DEP_4)
	v_cndmask_b32_e64 v21, v21, v16, s5
	v_cmp_eq_u32_e32 vcc_lo, 6, v139
	v_cndmask_b32_e64 v18, v18, v4, s6
	v_cndmask_b32_e64 v19, v19, v8, s6
	v_cndmask_b32_e64 v20, v20, v12, s5
	v_cmp_eq_u32_e64 s5, 1, v142
	v_cmp_eq_u32_e64 s6, 7, v138
	s_delay_alu instid0(VALU_DEP_3) | instskip(NEXT) | instid1(VALU_DEP_3)
	v_cndmask_b32_e32 v20, v20, v4, vcc_lo
	v_cndmask_b32_e64 v1, v1, v10, s5
	v_cndmask_b32_e64 v5, v5, v14, s5
	v_cmp_eq_u32_e64 s5, 3, v137
	v_cndmask_b32_e64 v14, v23, v6, s8
	v_cmp_eq_u32_e64 s8, 3, v142
	v_cndmask_b32_e64 v1, v1, v2, s4
	v_cndmask_b32_e64 v2, v5, v6, s4
	;; [unrolled: 1-line block ×3, first 2 shown]
	v_cmp_eq_u32_e64 s4, 4, v137
	v_cndmask_b32_e64 v6, v14, v15, s5
	v_cndmask_b32_e64 v1, v1, v11, s8
	v_cmp_eq_u32_e64 s5, 4, v142
	v_cndmask_b32_e64 v2, v2, v15, s8
	v_cndmask_b32_e64 v5, v10, v3, s4
	;; [unrolled: 3-line block ×3, first 2 shown]
	v_cndmask_b32_e64 v2, v2, v7, s5
	v_cmp_eq_u32_e64 s4, 5, v142
	v_cndmask_b32_e64 v5, v5, v12, s8
	v_cmp_eq_u32_e64 s5, 6, v137
	;; [unrolled: 2-line block ×3, first 2 shown]
	v_cndmask_b32_e64 v1, v1, v12, s4
	v_cndmask_b32_e64 v2, v2, v16, s4
	;; [unrolled: 1-line block ×4, first 2 shown]
	v_cmp_eq_u32_e64 s4, 7, v142
	v_cndmask_b32_e64 v1, v1, v4, s8
	v_cndmask_b32_e64 v2, v2, v8, s8
	v_cmp_eq_u32_e64 s5, 7, v137
	v_cndmask_b32_e32 v4, v21, v8, vcc_lo
	v_cndmask_b32_e64 v18, v18, v13, s6
	v_cndmask_b32_e64 v20, v20, v13, s7
	;; [unrolled: 1-line block ×8, first 2 shown]
	v_cmp_gt_u32_e32 vcc_lo, 32, v0
	v_perm_b32 v4, v2, v1, 0x5040100
	v_perm_b32 v3, v3, v5, 0x5040100
	;; [unrolled: 1-line block ×4, first 2 shown]
	s_and_b32 s2, vcc_lo, s2
	ds_store_b128 v9, v[1:4]
	s_waitcnt lgkmcnt(0)
	s_barrier
	buffer_gl0_inv
	s_and_saveexec_b32 s4, s2
	s_cbranch_execz .LBB436_2
; %bb.111:
	s_load_b64 s[4:5], s[0:1], 0x68
	v_add_nc_u32_e32 v20, s31, v146
	v_lshlrev_b32_e32 v0, 10, v0
	v_lshlrev_b32_e32 v1, 4, v147
	s_lshl_b32 s0, s36, 6
	s_delay_alu instid0(SALU_CYCLE_1)
	s_mul_i32 s1, s0, s34
	v_add_nc_u32_e32 v2, 2, v20
	s_mul_i32 s6, s1, s9
	v_and_or_b32 v0, 0x3800, v0, v1
	v_mul_lo_u32 v1, v20, s0
	s_ashr_i32 s7, s6, 31
	v_mul_lo_u32 v11, v2, s0
	s_lshl_b64 s[6:7], s[6:7], 1
	v_add_nc_u32_e32 v3, 4, v20
	v_lshl_or_b32 v21, v146, 6, v0
	v_add_nc_u32_e32 v16, 6, v20
	v_ashrrev_i32_e32 v2, 31, v1
	s_delay_alu instid0(VALU_DEP_4)
	v_mul_lo_u32 v13, v3, s0
	s_waitcnt lgkmcnt(0)
	s_add_u32 s1, s4, s6
	s_addc_u32 s2, s5, s7
	s_lshl_b32 s4, s14, 6
	ds_load_b128 v[3:6], v21
	ds_load_b128 v[7:10], v21 offset:128
	s_ashr_i32 s5, s4, 31
	v_ashrrev_i32_e32 v12, 31, v11
	s_lshl_b64 s[4:5], s[4:5], 1
	v_lshlrev_b64 v[14:15], 1, v[1:2]
	s_add_u32 s1, s1, s4
	s_addc_u32 s2, s2, s5
	v_add_co_u32 v1, s1, s1, v145
	s_delay_alu instid0(VALU_DEP_1) | instskip(SKIP_1) | instid1(VALU_DEP_3)
	v_add_co_ci_u32_e64 v2, null, s2, 0, s1
	v_lshlrev_b64 v[11:12], 1, v[11:12]
	v_add_co_u32 v18, vcc_lo, v1, v14
	v_mul_lo_u32 v16, v16, s0
	s_delay_alu instid0(VALU_DEP_4) | instskip(NEXT) | instid1(VALU_DEP_4)
	v_add_co_ci_u32_e32 v19, vcc_lo, v2, v15, vcc_lo
	v_add_co_u32 v11, vcc_lo, v1, v11
	v_ashrrev_i32_e32 v14, 31, v13
	v_add_co_ci_u32_e32 v12, vcc_lo, v2, v12, vcc_lo
	v_add_nc_u32_e32 v15, 8, v20
	v_ashrrev_i32_e32 v17, 31, v16
	s_waitcnt lgkmcnt(1)
	global_store_b128 v[18:19], v[3:6], off
	v_lshlrev_b64 v[3:4], 1, v[13:14]
	s_waitcnt lgkmcnt(0)
	global_store_b128 v[11:12], v[7:10], off
	v_mul_lo_u32 v11, v15, s0
	v_add_nc_u32_e32 v7, 10, v20
	v_lshlrev_b64 v[5:6], 1, v[16:17]
	v_add_co_u32 v23, vcc_lo, v1, v3
	v_add_nc_u32_e32 v3, 12, v20
	s_delay_alu instid0(VALU_DEP_4)
	v_mul_lo_u32 v25, v7, s0
	v_ashrrev_i32_e32 v12, 31, v11
	v_add_co_ci_u32_e32 v24, vcc_lo, v2, v4, vcc_lo
	v_add_co_u32 v27, vcc_lo, v1, v5
	v_mul_lo_u32 v29, v3, s0
	v_add_co_ci_u32_e32 v28, vcc_lo, v2, v6, vcc_lo
	ds_load_b128 v[3:6], v21 offset:256
	ds_load_b128 v[7:10], v21 offset:384
	v_lshlrev_b64 v[31:32], 1, v[11:12]
	ds_load_b128 v[11:14], v21 offset:512
	ds_load_b128 v[15:18], v21 offset:640
	;; [unrolled: 1-line block ×3, first 2 shown]
	v_ashrrev_i32_e32 v26, 31, v25
	v_ashrrev_i32_e32 v30, 31, v29
	v_add_co_u32 v31, vcc_lo, v1, v31
	s_delay_alu instid0(VALU_DEP_3) | instskip(NEXT) | instid1(VALU_DEP_3)
	v_lshlrev_b64 v[25:26], 1, v[25:26]
	v_lshlrev_b64 v[29:30], 1, v[29:30]
	v_add_co_ci_u32_e32 v32, vcc_lo, v2, v32, vcc_lo
	s_delay_alu instid0(VALU_DEP_3) | instskip(NEXT) | instid1(VALU_DEP_4)
	v_add_co_u32 v25, vcc_lo, v1, v25
	v_add_co_ci_u32_e32 v26, vcc_lo, v2, v26, vcc_lo
	s_delay_alu instid0(VALU_DEP_4)
	v_add_co_u32 v29, vcc_lo, v1, v29
	v_add_co_ci_u32_e32 v30, vcc_lo, v2, v30, vcc_lo
	s_waitcnt lgkmcnt(4)
	global_store_b128 v[23:24], v[3:6], off
	s_waitcnt lgkmcnt(3)
	global_store_b128 v[27:28], v[7:10], off
	;; [unrolled: 2-line block ×5, first 2 shown]
	s_and_b32 exec_lo, exec_lo, s3
	s_cbranch_execz .LBB436_2
; %bb.112:
	ds_load_b128 v[3:6], v0 offset:896
	s_add_i32 s1, s31, 14
	s_delay_alu instid0(SALU_CYCLE_1) | instskip(NEXT) | instid1(SALU_CYCLE_1)
	s_mul_i32 s0, s1, s0
	s_ashr_i32 s1, s0, 31
	s_delay_alu instid0(SALU_CYCLE_1) | instskip(NEXT) | instid1(SALU_CYCLE_1)
	s_lshl_b64 s[0:1], s[0:1], 1
	v_add_co_u32 v0, vcc_lo, v1, s0
	v_add_co_ci_u32_e32 v1, vcc_lo, s1, v2, vcc_lo
	s_waitcnt lgkmcnt(0)
	global_store_b128 v[0:1], v[3:6], off
	s_nop 0
	s_sendmsg sendmsg(MSG_DEALLOC_VGPRS)
	s_endpgm
	.section	.rodata,"a",@progbits
	.p2align	6, 0x0
	.amdhsa_kernel _Z39paged_attention_ll4mi_QKV_mfma16_kernelI14__hip_bfloat16S0_LN4vllm18Fp8KVCacheDataTypeE0EhLi16ELi64ELi256ELb0ELi15EL8MFMAType0EEvPKT_PKT0_S9_ifPKiSB_SB_iPKfiiiPfSE_PS4_PT2_iSD_SD_
		.amdhsa_group_segment_fixed_size 17472
		.amdhsa_private_segment_fixed_size 0
		.amdhsa_kernarg_size 400
		.amdhsa_user_sgpr_count 13
		.amdhsa_user_sgpr_dispatch_ptr 0
		.amdhsa_user_sgpr_queue_ptr 0
		.amdhsa_user_sgpr_kernarg_segment_ptr 1
		.amdhsa_user_sgpr_dispatch_id 0
		.amdhsa_user_sgpr_private_segment_size 0
		.amdhsa_wavefront_size32 1
		.amdhsa_uses_dynamic_stack 0
		.amdhsa_enable_private_segment 0
		.amdhsa_system_sgpr_workgroup_id_x 1
		.amdhsa_system_sgpr_workgroup_id_y 1
		.amdhsa_system_sgpr_workgroup_id_z 1
		.amdhsa_system_sgpr_workgroup_info 0
		.amdhsa_system_vgpr_workitem_id 0
		.amdhsa_next_free_vgpr 198
		.amdhsa_next_free_sgpr 52
		.amdhsa_reserve_vcc 1
		.amdhsa_float_round_mode_32 0
		.amdhsa_float_round_mode_16_64 0
		.amdhsa_float_denorm_mode_32 3
		.amdhsa_float_denorm_mode_16_64 3
		.amdhsa_dx10_clamp 1
		.amdhsa_ieee_mode 1
		.amdhsa_fp16_overflow 0
		.amdhsa_workgroup_processor_mode 1
		.amdhsa_memory_ordered 1
		.amdhsa_forward_progress 0
		.amdhsa_shared_vgpr_count 0
		.amdhsa_exception_fp_ieee_invalid_op 0
		.amdhsa_exception_fp_denorm_src 0
		.amdhsa_exception_fp_ieee_div_zero 0
		.amdhsa_exception_fp_ieee_overflow 0
		.amdhsa_exception_fp_ieee_underflow 0
		.amdhsa_exception_fp_ieee_inexact 0
		.amdhsa_exception_int_div_zero 0
	.end_amdhsa_kernel
	.section	.text._Z39paged_attention_ll4mi_QKV_mfma16_kernelI14__hip_bfloat16S0_LN4vllm18Fp8KVCacheDataTypeE0EhLi16ELi64ELi256ELb0ELi15EL8MFMAType0EEvPKT_PKT0_S9_ifPKiSB_SB_iPKfiiiPfSE_PS4_PT2_iSD_SD_,"axG",@progbits,_Z39paged_attention_ll4mi_QKV_mfma16_kernelI14__hip_bfloat16S0_LN4vllm18Fp8KVCacheDataTypeE0EhLi16ELi64ELi256ELb0ELi15EL8MFMAType0EEvPKT_PKT0_S9_ifPKiSB_SB_iPKfiiiPfSE_PS4_PT2_iSD_SD_,comdat
.Lfunc_end436:
	.size	_Z39paged_attention_ll4mi_QKV_mfma16_kernelI14__hip_bfloat16S0_LN4vllm18Fp8KVCacheDataTypeE0EhLi16ELi64ELi256ELb0ELi15EL8MFMAType0EEvPKT_PKT0_S9_ifPKiSB_SB_iPKfiiiPfSE_PS4_PT2_iSD_SD_, .Lfunc_end436-_Z39paged_attention_ll4mi_QKV_mfma16_kernelI14__hip_bfloat16S0_LN4vllm18Fp8KVCacheDataTypeE0EhLi16ELi64ELi256ELb0ELi15EL8MFMAType0EEvPKT_PKT0_S9_ifPKiSB_SB_iPKfiiiPfSE_PS4_PT2_iSD_SD_
                                        ; -- End function
	.section	.AMDGPU.csdata,"",@progbits
; Kernel info:
; codeLenInByte = 10288
; NumSgprs: 54
; NumVgprs: 198
; ScratchSize: 0
; MemoryBound: 0
; FloatMode: 240
; IeeeMode: 1
; LDSByteSize: 17472 bytes/workgroup (compile time only)
; SGPRBlocks: 6
; VGPRBlocks: 24
; NumSGPRsForWavesPerEU: 54
; NumVGPRsForWavesPerEU: 198
; Occupancy: 7
; WaveLimiterHint : 1
; COMPUTE_PGM_RSRC2:SCRATCH_EN: 0
; COMPUTE_PGM_RSRC2:USER_SGPR: 13
; COMPUTE_PGM_RSRC2:TRAP_HANDLER: 0
; COMPUTE_PGM_RSRC2:TGID_X_EN: 1
; COMPUTE_PGM_RSRC2:TGID_Y_EN: 1
; COMPUTE_PGM_RSRC2:TGID_Z_EN: 1
; COMPUTE_PGM_RSRC2:TIDIG_COMP_CNT: 0
	.section	.text._Z39paged_attention_ll4mi_QKV_mfma16_kernelI14__hip_bfloat16S0_LN4vllm18Fp8KVCacheDataTypeE0EhLi16ELi64ELi256ELb0ELi16EL8MFMAType0EEvPKT_PKT0_S9_ifPKiSB_SB_iPKfiiiPfSE_PS4_PT2_iSD_SD_,"axG",@progbits,_Z39paged_attention_ll4mi_QKV_mfma16_kernelI14__hip_bfloat16S0_LN4vllm18Fp8KVCacheDataTypeE0EhLi16ELi64ELi256ELb0ELi16EL8MFMAType0EEvPKT_PKT0_S9_ifPKiSB_SB_iPKfiiiPfSE_PS4_PT2_iSD_SD_,comdat
	.protected	_Z39paged_attention_ll4mi_QKV_mfma16_kernelI14__hip_bfloat16S0_LN4vllm18Fp8KVCacheDataTypeE0EhLi16ELi64ELi256ELb0ELi16EL8MFMAType0EEvPKT_PKT0_S9_ifPKiSB_SB_iPKfiiiPfSE_PS4_PT2_iSD_SD_ ; -- Begin function _Z39paged_attention_ll4mi_QKV_mfma16_kernelI14__hip_bfloat16S0_LN4vllm18Fp8KVCacheDataTypeE0EhLi16ELi64ELi256ELb0ELi16EL8MFMAType0EEvPKT_PKT0_S9_ifPKiSB_SB_iPKfiiiPfSE_PS4_PT2_iSD_SD_
	.globl	_Z39paged_attention_ll4mi_QKV_mfma16_kernelI14__hip_bfloat16S0_LN4vllm18Fp8KVCacheDataTypeE0EhLi16ELi64ELi256ELb0ELi16EL8MFMAType0EEvPKT_PKT0_S9_ifPKiSB_SB_iPKfiiiPfSE_PS4_PT2_iSD_SD_
	.p2align	8
	.type	_Z39paged_attention_ll4mi_QKV_mfma16_kernelI14__hip_bfloat16S0_LN4vllm18Fp8KVCacheDataTypeE0EhLi16ELi64ELi256ELb0ELi16EL8MFMAType0EEvPKT_PKT0_S9_ifPKiSB_SB_iPKfiiiPfSE_PS4_PT2_iSD_SD_,@function
_Z39paged_attention_ll4mi_QKV_mfma16_kernelI14__hip_bfloat16S0_LN4vllm18Fp8KVCacheDataTypeE0EhLi16ELi64ELi256ELb0ELi16EL8MFMAType0EEvPKT_PKT0_S9_ifPKiSB_SB_iPKfiiiPfSE_PS4_PT2_iSD_SD_: ; @_Z39paged_attention_ll4mi_QKV_mfma16_kernelI14__hip_bfloat16S0_LN4vllm18Fp8KVCacheDataTypeE0EhLi16ELi64ELi256ELb0ELi16EL8MFMAType0EEvPKT_PKT0_S9_ifPKiSB_SB_iPKfiiiPfSE_PS4_PT2_iSD_SD_
; %bb.0:
	s_load_b64 s[2:3], s[0:1], 0x30
	s_mov_b32 s30, s13
	s_waitcnt lgkmcnt(0)
	s_cmp_lg_u64 s[2:3], 0
	s_cselect_b32 s6, -1, 0
	s_ashr_i32 s31, s13, 31
	s_cmp_eq_u64 s[2:3], 0
	s_cbranch_scc1 .LBB437_3
; %bb.1:
	s_lshl_b64 s[4:5], s[30:31], 2
	s_delay_alu instid0(SALU_CYCLE_1) | instskip(SKIP_4) | instid1(SALU_CYCLE_1)
	s_add_u32 s4, s2, s4
	s_addc_u32 s5, s3, s5
	s_load_b64 s[4:5], s[4:5], 0x0
	s_waitcnt lgkmcnt(0)
	s_sub_i32 s4, s5, s4
	s_cmp_eq_u32 s4, 1
	s_cselect_b32 s4, -1, 0
	s_delay_alu instid0(SALU_CYCLE_1)
	s_and_not1_b32 vcc_lo, exec_lo, s4
	s_cbranch_vccz .LBB437_4
.LBB437_2:
	s_endpgm
.LBB437_3:
.LBB437_4:
	s_load_b64 s[8:9], s[0:1], 0x28
	s_lshl_b64 s[4:5], s[30:31], 2
	s_waitcnt lgkmcnt(0)
	s_add_u32 s8, s8, s4
	s_addc_u32 s9, s9, s5
	s_lshl_b32 s34, s14, 8
	s_load_b32 s33, s[8:9], 0x0
	s_waitcnt lgkmcnt(0)
	s_cmp_ge_i32 s34, s33
	s_cbranch_scc1 .LBB437_2
; %bb.5:
	s_clause 0x1
	s_load_b128 s[8:11], s[0:1], 0x8
	s_load_b64 s[12:13], s[0:1], 0x20
	s_and_not1_b32 vcc_lo, exec_lo, s6
	s_cbranch_vccnz .LBB437_7
; %bb.6:
	s_add_u32 s2, s2, s4
	s_addc_u32 s3, s3, s5
	s_load_b32 s3, s[2:3], 0x0
	s_branch .LBB437_8
.LBB437_7:
	s_mov_b32 s3, s30
.LBB437_8:
	s_load_b128 s[4:7], s[0:1], 0x48
	v_and_b32_e32 v150, 15, v0
	v_cmp_gt_u32_e32 vcc_lo, 0x100, v0
	v_lshrrev_b32_e32 v148, 5, v0
	v_and_b32_e32 v151, 31, v0
	v_and_b32_e32 v147, 1, v0
	v_lshlrev_b32_e32 v1, 3, v150
	v_cmp_gt_u32_e64 s2, 8, v150
	v_bfe_u32 v146, v0, 4, 1
	s_lshl_b32 s31, s15, 4
	s_delay_alu instid0(VALU_DEP_3) | instskip(NEXT) | instid1(VALU_DEP_3)
	v_lshlrev_b32_e32 v145, 1, v1
	s_and_b32 s16, vcc_lo, s2
	s_waitcnt lgkmcnt(0)
	s_and_saveexec_b32 s7, s16
	s_cbranch_execz .LBB437_10
; %bb.9:
	v_lshl_or_b32 v5, v148, 1, v146
	s_load_b64 s[16:17], s[0:1], 0x0
	s_mul_hi_i32 s19, s3, s4
	s_mul_i32 s18, s3, s4
	v_lshlrev_b32_e32 v6, 10, v150
	v_or_b32_e32 v1, s31, v5
	s_lshl_b64 s[18:19], s[18:19], 1
	v_lshlrev_b32_e32 v5, 6, v5
	v_lshlrev_b32_e32 v7, 10, v147
	v_and_b32_e32 v6, 0x3800, v6
	v_lshlrev_b32_e32 v1, 6, v1
	s_delay_alu instid0(VALU_DEP_2) | instskip(NEXT) | instid1(VALU_DEP_2)
	v_or3_b32 v5, v6, v7, v5
	v_ashrrev_i32_e32 v2, 31, v1
	s_delay_alu instid0(VALU_DEP_1) | instskip(SKIP_3) | instid1(VALU_DEP_1)
	v_lshlrev_b64 v[1:2], 1, v[1:2]
	s_waitcnt lgkmcnt(0)
	s_add_u32 s3, s16, s18
	s_addc_u32 s4, s17, s19
	v_add_co_u32 v1, vcc_lo, s3, v1
	s_delay_alu instid0(VALU_DEP_2) | instskip(NEXT) | instid1(VALU_DEP_2)
	v_add_co_ci_u32_e32 v2, vcc_lo, s4, v2, vcc_lo
	v_add_co_u32 v1, vcc_lo, v1, v145
	s_delay_alu instid0(VALU_DEP_2)
	v_add_co_ci_u32_e32 v2, vcc_lo, 0, v2, vcc_lo
	global_load_b128 v[1:4], v[1:2], off
	s_waitcnt vmcnt(0)
	ds_store_b128 v5, v[1:4]
.LBB437_10:
	s_or_b32 exec_lo, exec_lo, s7
	s_mov_b32 s40, 0
	s_add_i32 s3, s33, 15
	s_mov_b32 s41, s40
	s_mov_b32 s42, s40
	;; [unrolled: 1-line block ×7, first 2 shown]
	s_delay_alu instid0(SALU_CYCLE_1)
	v_dual_mov_b32 v136, s47 :: v_dual_and_b32 v1, 0xef, v0
	v_mov_b32_e32 v134, s45
	s_clause 0x1
	s_load_b32 s4, s[0:1], 0x38
	s_load_b32 s35, s[0:1], 0x1c
	v_add_nc_u32_e32 v1, s34, v1
	s_ashr_i32 s7, s3, 31
	s_waitcnt lgkmcnt(0)
	s_lshr_b32 s7, s7, 28
	s_barrier
	v_ashrrev_i32_e32 v2, 31, v1
	s_add_i32 s3, s3, s7
	v_cmp_gt_i32_e32 vcc_lo, s33, v1
	v_mov_b32_e32 v135, s46
	s_ashr_i32 s3, s3, 4
	v_lshrrev_b32_e32 v3, 28, v2
	v_or_b32_e32 v2, 16, v1
	s_add_i32 s3, s3, -1
	v_mov_b32_e32 v132, s43
	buffer_gl0_inv
	v_add_nc_u32_e32 v4, v1, v3
	v_add_nc_u32_e32 v3, v2, v3
	s_mul_i32 s6, s15, s6
	s_mul_i32 s16, s30, s4
	v_lshlrev_b32_e32 v149, 6, v150
	v_ashrrev_i32_e32 v4, 4, v4
	v_ashrrev_i32_e32 v3, 4, v3
	s_ashr_i32 s17, s16, 31
	v_mov_b32_e32 v133, s44
	s_lshl_b64 s[16:17], s[16:17], 2
	v_cndmask_b32_e32 v1, s3, v4, vcc_lo
	v_cmp_gt_i32_e32 vcc_lo, s33, v2
	s_add_u32 s4, s12, s16
	s_addc_u32 s36, s13, s17
	s_ashr_i32 s7, s6, 31
	v_ashrrev_i32_e32 v2, 31, v1
	v_cndmask_b32_e32 v3, s3, v3, vcc_lo
	s_lshl_b64 s[6:7], s[6:7], 1
	v_mov_b32_e32 v131, s42
	s_add_u32 s24, s8, s6
	v_lshlrev_b64 v[1:2], 2, v[1:2]
	v_ashrrev_i32_e32 v4, 31, v3
	s_addc_u32 s25, s9, s7
	s_lshl_b32 s8, s14, 4
	v_mov_b32_e32 v129, s40
	s_ashr_i32 s9, s8, 31
	v_lshlrev_b64 v[3:4], 2, v[3:4]
	v_add_co_u32 v1, vcc_lo, s4, v1
	v_add_co_ci_u32_e32 v2, vcc_lo, s36, v2, vcc_lo
	s_lshl_b64 s[8:9], s[8:9], 2
	s_delay_alu instid0(VALU_DEP_3) | instskip(NEXT) | instid1(VALU_DEP_4)
	v_add_co_u32 v3, vcc_lo, s4, v3
	v_add_co_ci_u32_e32 v4, vcc_lo, s36, v4, vcc_lo
	s_clause 0x1
	global_load_b32 v5, v[1:2], off
	global_load_b32 v6, v[3:4], off
	s_add_u32 s8, s4, s8
	s_addc_u32 s9, s36, s9
	s_or_b32 s12, s34, 16
	v_dual_mov_b32 v130, s41 :: v_dual_lshlrev_b32 v3, 4, v0
	s_ashr_i32 s13, s12, 4
	s_cmp_lt_i32 s12, s33
	v_lshlrev_b32_e32 v21, 5, v150
	s_cselect_b32 s12, s13, s3
	s_delay_alu instid0(SALU_CYCLE_1) | instskip(NEXT) | instid1(SALU_CYCLE_1)
	s_ashr_i32 s13, s12, 31
	s_lshl_b64 s[12:13], s[12:13], 2
	s_delay_alu instid0(VALU_DEP_1) | instskip(SKIP_3) | instid1(SALU_CYCLE_1)
	v_lshl_or_b32 v21, v148, 9, v21
	s_add_u32 s12, s4, s12
	s_addc_u32 s13, s36, s13
	s_or_b32 s15, s34, 32
	s_ashr_i32 s16, s15, 4
	s_cmp_lt_i32 s15, s33
	s_cselect_b32 s16, s16, s3
	s_delay_alu instid0(SALU_CYCLE_1) | instskip(NEXT) | instid1(SALU_CYCLE_1)
	s_ashr_i32 s17, s16, 31
	s_lshl_b64 s[16:17], s[16:17], 2
	s_delay_alu instid0(SALU_CYCLE_1) | instskip(SKIP_2) | instid1(SALU_CYCLE_1)
	s_add_u32 s16, s4, s16
	s_addc_u32 s17, s36, s17
	s_or_b32 s15, s34, 48
	s_ashr_i32 s18, s15, 4
	s_cmp_lt_i32 s15, s33
	s_cselect_b32 s18, s18, s3
	s_delay_alu instid0(SALU_CYCLE_1) | instskip(NEXT) | instid1(SALU_CYCLE_1)
	s_ashr_i32 s19, s18, 31
	s_lshl_b64 s[18:19], s[18:19], 2
	s_delay_alu instid0(SALU_CYCLE_1) | instskip(SKIP_2) | instid1(SALU_CYCLE_1)
	;; [unrolled: 10-line block ×3, first 2 shown]
	s_add_u32 s20, s4, s20
	s_addc_u32 s21, s36, s21
	s_or_b32 s15, s34, 0x50
	s_ashr_i32 s22, s15, 4
	s_cmp_lt_i32 s15, s33
	s_cselect_b32 s22, s22, s3
	s_delay_alu instid0(SALU_CYCLE_1) | instskip(NEXT) | instid1(SALU_CYCLE_1)
	s_ashr_i32 s23, s22, 31
	s_lshl_b64 s[22:23], s[22:23], 2
	s_delay_alu instid0(SALU_CYCLE_1)
	s_add_u32 s22, s4, s22
	s_addc_u32 s23, s36, s23
	s_clause 0x5
	s_load_b32 s37, s[8:9], 0x0
	s_load_b32 s12, s[12:13], 0x0
	;; [unrolled: 1-line block ×6, first 2 shown]
	s_waitcnt lgkmcnt(0)
	s_mul_hi_i32 s17, s16, s5
	s_mul_i32 s16, s16, s5
	s_waitcnt vmcnt(1)
	v_mad_i64_i32 v[1:2], null, v5, s5, 0
	v_and_b32_e32 v5, 0xf0, v3
	s_waitcnt vmcnt(0)
	v_mad_i64_i32 v[3:4], null, v6, s5, 0
	s_delay_alu instid0(VALU_DEP_2) | instskip(NEXT) | instid1(VALU_DEP_4)
	v_add_co_u32 v5, s8, s24, v5
	v_lshlrev_b64 v[1:2], 1, v[1:2]
	v_add_co_ci_u32_e64 v6, null, s25, 0, s8
	s_delay_alu instid0(VALU_DEP_4) | instskip(SKIP_1) | instid1(VALU_DEP_3)
	v_lshlrev_b64 v[3:4], 1, v[3:4]
	s_or_b32 s8, s34, 0x60
	v_add_co_u32 v17, vcc_lo, v5, v1
	s_delay_alu instid0(VALU_DEP_3) | instskip(NEXT) | instid1(VALU_DEP_3)
	v_add_co_ci_u32_e32 v18, vcc_lo, v6, v2, vcc_lo
	v_add_co_u32 v19, vcc_lo, v5, v3
	s_delay_alu instid0(VALU_DEP_4)
	v_add_co_ci_u32_e32 v20, vcc_lo, v6, v4, vcc_lo
	s_clause 0x9
	global_load_b128 v[1:4], v[17:18], off
	global_load_b128 v[5:8], v[17:18], off offset:256
	global_load_b128 v[137:140], v[19:20], off
	global_load_b128 v[141:144], v[19:20], off offset:256
	global_load_b128 v[33:36], v[17:18], off offset:512
	;; [unrolled: 1-line block ×7, first 2 shown]
	ds_load_b128 v[152:155], v149
	ds_load_b128 v[156:159], v149 offset:1024
	s_clause 0x5
	global_load_b128 v[160:163], v[19:20], off offset:1024
	global_load_b128 v[164:167], v[19:20], off offset:1280
	;; [unrolled: 1-line block ×6, first 2 shown]
	s_ashr_i32 s9, s8, 4
	s_cmp_lt_i32 s8, s33
	s_cselect_b32 s8, s9, s3
	s_delay_alu instid0(SALU_CYCLE_1) | instskip(NEXT) | instid1(SALU_CYCLE_1)
	s_ashr_i32 s9, s8, 31
	s_lshl_b64 s[8:9], s[8:9], 2
	s_delay_alu instid0(SALU_CYCLE_1) | instskip(SKIP_2) | instid1(SALU_CYCLE_1)
	s_add_u32 s22, s4, s8
	s_addc_u32 s23, s36, s9
	s_or_b32 s8, s34, 0x70
	s_ashr_i32 s9, s8, 4
	s_cmp_lt_i32 s8, s33
	s_cselect_b32 s8, s9, s3
	s_delay_alu instid0(SALU_CYCLE_1) | instskip(NEXT) | instid1(SALU_CYCLE_1)
	s_ashr_i32 s9, s8, 31
	s_lshl_b64 s[8:9], s[8:9], 2
	s_delay_alu instid0(SALU_CYCLE_1)
	s_add_u32 s24, s4, s8
	s_addc_u32 s25, s36, s9
	s_or_b32 s8, s34, 0x80
	s_load_b32 s46, s[24:25], 0x0
	s_ashr_i32 s9, s8, 4
	s_cmp_lt_i32 s8, s33
	s_cselect_b32 s8, s9, s3
	s_delay_alu instid0(SALU_CYCLE_1) | instskip(NEXT) | instid1(SALU_CYCLE_1)
	s_ashr_i32 s9, s8, 31
	s_lshl_b64 s[8:9], s[8:9], 2
	s_delay_alu instid0(SALU_CYCLE_1)
	s_add_u32 s26, s4, s8
	s_addc_u32 s27, s36, s9
	s_or_b32 s8, s34, 0x90
	s_load_b32 s47, s[26:27], 0x0
	s_ashr_i32 s9, s8, 4
	s_cmp_lt_i32 s8, s33
	s_cselect_b32 s8, s9, s3
	s_delay_alu instid0(SALU_CYCLE_1) | instskip(NEXT) | instid1(SALU_CYCLE_1)
	s_ashr_i32 s9, s8, 31
	s_lshl_b64 s[8:9], s[8:9], 2
	s_delay_alu instid0(SALU_CYCLE_1) | instskip(SKIP_2) | instid1(SALU_CYCLE_1)
	s_add_u32 s28, s4, s8
	s_addc_u32 s29, s36, s9
	s_or_b32 s8, s34, 0xa0
	s_ashr_i32 s9, s8, 4
	s_cmp_lt_i32 s8, s33
	s_cselect_b32 s8, s9, s3
	s_delay_alu instid0(SALU_CYCLE_1) | instskip(NEXT) | instid1(SALU_CYCLE_1)
	s_ashr_i32 s9, s8, 31
	s_lshl_b64 s[8:9], s[8:9], 2
	s_delay_alu instid0(SALU_CYCLE_1)
	s_add_u32 s38, s4, s8
	s_addc_u32 s39, s36, s9
	s_or_b32 s8, s34, 0xb0
	s_mul_hi_i32 s9, s37, s5
	s_ashr_i32 s13, s8, 4
	s_cmp_lt_i32 s8, s33
	s_mul_i32 s8, s37, s5
	s_cselect_b32 s40, s13, s3
	s_load_b32 s39, s[38:39], 0x0
	s_ashr_i32 s41, s40, 31
	s_mul_hi_i32 s13, s12, s5
	s_lshl_b64 s[40:41], s[40:41], 2
	s_mul_i32 s12, s12, s5
	s_add_u32 s42, s4, s40
	s_addc_u32 s43, s36, s41
	s_or_b32 s19, s34, 0xc0
	s_delay_alu instid0(SALU_CYCLE_1)
	s_ashr_i32 s21, s19, 4
	s_cmp_lt_i32 s19, s33
	s_mul_hi_i32 s19, s18, s5
	s_cselect_b32 s40, s21, s3
	s_mul_i32 s18, s18, s5
	s_ashr_i32 s41, s40, 31
	s_mul_hi_i32 s21, s20, s5
	s_lshl_b64 s[40:41], s[40:41], 2
	s_mul_i32 s20, s20, s5
	s_add_u32 s44, s4, s40
	s_load_b32 s40, s[28:29], 0x0
	s_addc_u32 s45, s36, s41
	s_or_b32 s37, s34, 0xd0
	s_load_b32 s41, s[22:23], 0x0
	s_ashr_i32 s22, s37, 4
	s_cmp_lt_i32 s37, s33
	s_mul_hi_i32 s23, s15, s5
	s_cselect_b32 s24, s22, s3
	s_mul_i32 s22, s15, s5
	s_ashr_i32 s25, s24, 31
	s_waitcnt lgkmcnt(0)
	s_mul_hi_i32 s27, s46, s5
	s_lshl_b64 s[24:25], s[24:25], 2
	s_mul_i32 s26, s46, s5
	s_add_u32 s24, s4, s24
	s_addc_u32 s25, s36, s25
	s_or_b32 s48, s34, 0xe0
	s_clause 0x2
	s_load_b32 s38, s[42:43], 0x0
	s_load_b32 s37, s[44:45], 0x0
	;; [unrolled: 1-line block ×3, first 2 shown]
	s_ashr_i32 s49, s48, 4
	s_cmp_lt_i32 s48, s33
	s_mul_hi_i32 s29, s47, s5
	s_cselect_b32 s42, s49, s3
	s_mul_i32 s28, s47, s5
	s_ashr_i32 s43, s42, 31
	s_mul_hi_i32 s25, s41, s5
	s_lshl_b64 s[42:43], s[42:43], 2
	s_mul_i32 s24, s41, s5
	s_add_u32 s42, s4, s42
	s_addc_u32 s43, s36, s43
	s_or_b32 s46, s34, 0xf0
	s_mul_hi_i32 s41, s40, s5
	s_ashr_i32 s47, s46, 4
	s_cmp_lt_i32 s46, s33
	s_mul_i32 s40, s40, s5
	s_cselect_b32 s46, s47, s3
	s_mul_hi_i32 s45, s39, s5
	s_ashr_i32 s47, s46, 31
	s_mul_i32 s44, s39, s5
	s_lshl_b64 s[46:47], s[46:47], 2
	s_waitcnt lgkmcnt(0)
	s_mul_hi_i32 s39, s38, s5
	s_add_u32 s46, s4, s46
	s_addc_u32 s47, s36, s47
	s_add_u32 s3, s10, s6
	s_addc_u32 s4, s11, s7
	v_add_co_u32 v196, s3, s3, v21
	s_delay_alu instid0(VALU_DEP_1) | instskip(SKIP_2) | instid1(VALU_DEP_2)
	v_add_co_ci_u32_e64 v197, null, s4, 0, s3
	s_lshl_b64 s[6:7], s[8:9], 1
	s_lshl_b64 s[8:9], s[12:13], 1
	v_add_co_u32 v17, vcc_lo, v196, s6
	s_delay_alu instid0(VALU_DEP_2)
	v_add_co_ci_u32_e32 v18, vcc_lo, s7, v197, vcc_lo
	v_add_co_u32 v19, vcc_lo, v196, s8
	s_lshl_b64 s[10:11], s[16:17], 1
	v_add_co_ci_u32_e32 v20, vcc_lo, s9, v197, vcc_lo
	v_add_co_u32 v21, vcc_lo, v196, s10
	s_lshl_b64 s[12:13], s[18:19], 1
	;; [unrolled: 3-line block ×9, first 2 shown]
	s_mul_i32 s38, s38, s5
	v_add_co_ci_u32_e32 v54, vcc_lo, s27, v197, vcc_lo
	v_add_co_u32 v184, vcc_lo, v196, s28
	s_mul_hi_i32 s49, s37, s5
	s_mul_i32 s48, s37, s5
	s_lshl_b64 s[36:37], s[38:39], 1
	v_add_co_ci_u32_e32 v185, vcc_lo, s29, v197, vcc_lo
	v_add_co_u32 v186, vcc_lo, v196, s36
	s_lshl_b64 s[38:39], s[48:49], 1
	s_clause 0x1
	s_load_b32 s3, s[42:43], 0x0
	s_load_b32 s4, s[46:47], 0x0
	v_add_co_ci_u32_e32 v187, vcc_lo, s37, v197, vcc_lo
	v_add_co_u32 v192, vcc_lo, v196, s38
	v_add_co_ci_u32_e32 v193, vcc_lo, s39, v197, vcc_lo
	s_clause 0x17
	global_load_b128 v[121:124], v[17:18], off
	global_load_b128 v[125:128], v[17:18], off offset:16
	global_load_b128 v[113:116], v[19:20], off
	global_load_b128 v[117:120], v[19:20], off offset:16
	;; [unrolled: 2-line block ×12, first 2 shown]
	s_mul_hi_i32 s51, s15, s5
	s_mul_i32 s50, s15, s5
	s_delay_alu instid0(SALU_CYCLE_1) | instskip(NEXT) | instid1(SALU_CYCLE_1)
	s_lshl_b64 s[40:41], s[50:51], 1
	v_add_co_u32 v194, vcc_lo, v196, s40
	v_add_co_ci_u32_e32 v195, vcc_lo, s41, v197, vcc_lo
	s_waitcnt lgkmcnt(0)
	s_mul_hi_i32 s7, s3, s5
	s_mul_i32 s6, s3, s5
	s_mul_hi_i32 s9, s4, s5
	s_lshl_b64 s[6:7], s[6:7], 1
	s_mul_i32 s8, s4, s5
	s_delay_alu instid0(SALU_CYCLE_1)
	s_lshl_b64 s[4:5], s[8:9], 1
	s_waitcnt vmcnt(38)
	v_wmma_f32_16x16x16_bf16 v[184:191], v[1:8], v[152:159], v[129:136]
	s_waitcnt vmcnt(36)
	v_wmma_f32_16x16x16_bf16 v[129:136], v[137:144], v[152:159], v[129:136]
	s_clause 0x1
	global_load_b128 v[1:4], v[192:193], off
	global_load_b128 v[5:8], v[192:193], off offset:16
	ds_load_b128 v[137:140], v149 offset:2048
	ds_load_b128 v[141:144], v149 offset:3072
	;; [unrolled: 1-line block ×4, first 2 shown]
	v_add_co_u32 v192, vcc_lo, v196, s6
	v_add_co_ci_u32_e32 v193, vcc_lo, s7, v197, vcc_lo
	v_add_co_u32 v196, vcc_lo, v196, s4
	v_add_co_ci_u32_e32 v197, vcc_lo, s5, v197, vcc_lo
	s_waitcnt vmcnt(36) lgkmcnt(2)
	v_wmma_f32_16x16x16_bf16 v[184:191], v[33:40], v[137:144], v[184:191]
	s_waitcnt vmcnt(34)
	v_wmma_f32_16x16x16_bf16 v[129:136], v[25:32], v[137:144], v[129:136]
	s_clause 0x3
	global_load_b128 v[25:28], v[194:195], off
	global_load_b128 v[29:32], v[194:195], off offset:16
	global_load_b128 v[33:36], v[192:193], off
	global_load_b128 v[37:40], v[192:193], off offset:16
	v_and_b32_e32 v137, 0xe0, v0
	v_mbcnt_lo_u32_b32 v192, -1, 0
	s_waitcnt vmcnt(36) lgkmcnt(0)
	v_wmma_f32_16x16x16_bf16 v[184:191], v[9:16], v[152:159], v[184:191]
	s_clause 0x1
	global_load_b128 v[9:12], v[196:197], off
	global_load_b128 v[13:16], v[196:197], off offset:16
	s_waitcnt vmcnt(36)
	v_wmma_f32_16x16x16_bf16 v[129:136], v[160:167], v[152:159], v[129:136]
	v_add_nc_u32_e32 v193, s34, v137
	ds_load_b128 v[137:140], v149 offset:6144
	ds_load_b128 v[141:144], v149 offset:7168
	v_xor_b32_e32 v152, 16, v192
	s_waitcnt vmcnt(0) lgkmcnt(0)
	s_barrier
	buffer_gl0_inv
	v_cmp_gt_i32_e32 vcc_lo, 32, v152
	v_cndmask_b32_e32 v152, v192, v152, vcc_lo
	v_wmma_f32_16x16x16_bf16 v[129:136], v[176:183], v[137:144], v[129:136]
	v_wmma_f32_16x16x16_bf16 v[184:191], v[168:175], v[137:144], v[184:191]
	s_delay_alu instid0(VALU_DEP_2) | instskip(SKIP_1) | instid1(VALU_DEP_3)
	v_mul_f32_e32 v174, s35, v131
	v_or_b32_e32 v153, v193, v146
	v_dual_mul_f32 v143, s35, v185 :: v_dual_mul_f32 v144, s35, v184
	s_delay_alu instid0(VALU_DEP_4) | instskip(NEXT) | instid1(VALU_DEP_3)
	v_dual_mul_f32 v141, s35, v187 :: v_dual_mul_f32 v142, s35, v186
	v_or_b32_e32 v154, 2, v153
	v_or_b32_e32 v155, 4, v153
	;; [unrolled: 1-line block ×3, first 2 shown]
	v_cmp_gt_i32_e32 vcc_lo, s33, v153
	v_or_b32_e32 v157, 8, v153
	v_cmp_gt_i32_e64 s3, s33, v154
	v_or_b32_e32 v158, 10, v153
	v_cmp_gt_i32_e64 s4, s33, v155
	v_cndmask_b32_e32 v144, 0xff7fffff, v144, vcc_lo
	v_cmp_gt_i32_e64 s5, s33, v156
	v_cndmask_b32_e64 v143, 0xff7fffff, v143, s3
	v_or_b32_e32 v159, 12, v153
	v_or_b32_e32 v160, 14, v153
	v_dual_mul_f32 v139, s35, v189 :: v_dual_mul_f32 v140, s35, v188
	v_cndmask_b32_e64 v142, 0xff7fffff, v142, s4
	v_cndmask_b32_e64 v141, 0xff7fffff, v141, s5
	v_max3_f32 v143, v144, 0xff7fffff, v143
	v_cmp_gt_i32_e64 s6, s33, v157
	v_cmp_gt_i32_e64 s7, s33, v158
	v_or_b32_e32 v161, 16, v153
	v_or_b32_e32 v162, 18, v153
	v_dual_mul_f32 v137, s35, v191 :: v_dual_mul_f32 v176, s35, v129
	v_mul_f32_e32 v138, s35, v190
	v_cndmask_b32_e64 v140, 0xff7fffff, v140, s6
	v_cndmask_b32_e64 v139, 0xff7fffff, v139, s7
	v_max3_f32 v141, v143, v142, v141
	v_cmp_gt_i32_e64 s8, s33, v159
	v_cmp_gt_i32_e64 s9, s33, v160
	v_or_b32_e32 v163, 20, v153
	v_or_b32_e32 v164, 22, v153
	v_mul_f32_e32 v175, s35, v130
	v_cndmask_b32_e64 v138, 0xff7fffff, v138, s8
	v_cndmask_b32_e64 v137, 0xff7fffff, v137, s9
	v_max3_f32 v139, v141, v140, v139
	v_cmp_gt_i32_e64 s10, s33, v161
	v_cmp_gt_i32_e64 s11, s33, v162
	v_or_b32_e32 v165, 24, v153
	v_or_b32_e32 v166, 26, v153
	;; [unrolled: 8-line block ×3, first 2 shown]
	v_dual_mul_f32 v171, s35, v134 :: v_dual_mul_f32 v172, s35, v133
	v_cndmask_b32_e64 v138, 0xff7fffff, v174, s12
	v_cndmask_b32_e64 v139, 0xff7fffff, v173, s13
	v_max3_f32 v137, v137, v140, v141
	v_cmp_gt_i32_e64 s15, s33, v165
	v_cmp_gt_i32_e64 s16, s33, v166
	v_dual_mul_f32 v169, s35, v136 :: v_dual_mul_f32 v170, s35, v135
	s_delay_alu instid0(VALU_DEP_4) | instskip(NEXT) | instid1(VALU_DEP_4)
	v_max3_f32 v137, v137, v138, v139
	v_cndmask_b32_e64 v140, 0xff7fffff, v172, s15
	s_delay_alu instid0(VALU_DEP_4) | instskip(SKIP_3) | instid1(VALU_DEP_4)
	v_cndmask_b32_e64 v141, 0xff7fffff, v171, s16
	v_cmp_gt_i32_e64 s17, s33, v167
	v_cmp_gt_i32_e64 s18, s33, v168
	v_lshlrev_b32_e32 v155, 2, v152
	v_max3_f32 v137, v137, v140, v141
	s_delay_alu instid0(VALU_DEP_4) | instskip(NEXT) | instid1(VALU_DEP_4)
	v_cndmask_b32_e64 v138, 0xff7fffff, v170, s17
	v_cndmask_b32_e64 v139, 0xff7fffff, v169, s18
	s_delay_alu instid0(VALU_DEP_1) | instskip(SKIP_3) | instid1(VALU_DEP_1)
	v_max3_f32 v137, v137, v138, v139
	ds_bpermute_b32 v138, v155, v137
	s_waitcnt lgkmcnt(0)
	v_max_f32_e32 v138, v138, v138
	v_max_f32_e32 v139, v137, v138
	s_delay_alu instid0(VALU_DEP_1) | instskip(SKIP_4) | instid1(VALU_DEP_4)
	v_fma_f32 v140, s35, v186, -v139
	v_fma_f32 v141, s35, v187, -v139
	v_fma_f32 v132, s35, v132, -v139
	v_fma_f32 v142, s35, v188, -v139
	v_fma_f32 v137, s35, v184, -v139
	v_dual_mul_f32 v140, 0x3fb8aa3b, v140 :: v_dual_mul_f32 v143, 0x3fb8aa3b, v141
	s_delay_alu instid0(VALU_DEP_4) | instskip(NEXT) | instid1(VALU_DEP_4)
	v_mul_f32_e32 v132, 0x3fb8aa3b, v132
	v_mul_f32_e32 v142, 0x3fb8aa3b, v142
	v_fma_f32 v138, s35, v185, -v139
	s_delay_alu instid0(VALU_DEP_4)
	v_exp_f32_e32 v144, v140
	v_exp_f32_e32 v143, v143
	v_fma_f32 v152, s35, v190, -v139
	v_exp_f32_e32 v153, v142
	v_mul_f32_e32 v138, 0x3fb8aa3b, v138
	v_fma_f32 v154, s35, v191, -v139
	v_fma_f32 v129, s35, v129, -v139
	v_mul_f32_e32 v152, 0x3fb8aa3b, v152
	v_fma_f32 v130, s35, v130, -v139
	v_exp_f32_e32 v138, v138
	v_cndmask_b32_e64 v142, 0, v144, s4
	v_cndmask_b32_e64 v144, 0, v143, s5
	v_mul_f32_e32 v137, 0x3fb8aa3b, v137
	v_mul_f32_e32 v143, 0x3fb8aa3b, v154
	v_exp_f32_e32 v154, v152
	v_cndmask_b32_e64 v152, 0, v153, s6
	v_mul_f32_e32 v129, 0x3fb8aa3b, v129
	v_exp_f32_e32 v137, v137
	v_exp_f32_e32 v156, v143
	v_cndmask_b32_e64 v140, 0, v138, s3
	v_fma_f32 v131, s35, v131, -v139
	v_mul_f32_e32 v130, 0x3fb8aa3b, v130
	v_exp_f32_e32 v129, v129
	v_fma_f32 v133, s35, v133, -v139
	v_cndmask_b32_e64 v143, 0, v154, s8
	v_mul_f32_e32 v131, 0x3fb8aa3b, v131
	v_exp_f32_e32 v130, v130
	v_cndmask_b32_e32 v141, 0, v137, vcc_lo
	v_fma_f32 v137, s35, v189, -v139
	v_cndmask_b32_e64 v154, 0, v156, s9
	v_fma_f32 v134, s35, v134, -v139
	v_mul_f32_e32 v133, 0x3fb8aa3b, v133
	v_add_f32_e32 v138, 0, v141
	v_mul_f32_e32 v137, 0x3fb8aa3b, v137
	v_fma_f32 v136, s35, v136, -v139
	v_mul_f32_e32 v134, 0x3fb8aa3b, v134
	s_mov_b32 s3, exec_lo
	v_add_f32_e32 v138, v138, v140
	v_exp_f32_e32 v137, v137
	s_delay_alu instid0(VALU_DEP_1) | instskip(NEXT) | instid1(VALU_DEP_1)
	v_add_f32_e32 v138, v138, v142
	v_add_f32_e32 v138, v138, v144
	s_waitcnt_depctr 0xfff
	v_cndmask_b32_e64 v153, 0, v137, s7
	v_add_f32_e32 v137, v138, v152
	v_exp_f32_e32 v138, v131
	v_cndmask_b32_e64 v131, 0, v129, s10
	s_delay_alu instid0(VALU_DEP_2) | instskip(NEXT) | instid1(VALU_DEP_1)
	v_add_f32_e32 v137, v137, v153
	v_add_f32_e32 v137, v137, v143
	s_delay_alu instid0(VALU_DEP_1)
	v_add_f32_e32 v129, v137, v154
	v_exp_f32_e32 v137, v132
	v_cndmask_b32_e64 v132, 0, v130, s11
	v_fma_f32 v130, s35, v135, -v139
	v_exp_f32_e32 v135, v133
	v_add_f32_e32 v129, v129, v131
	v_cndmask_b32_e64 v133, 0, v138, s12
	v_exp_f32_e32 v138, v134
	s_delay_alu instid0(VALU_DEP_2) | instskip(NEXT) | instid1(TRANS32_DEP_3)
	v_dual_mul_f32 v130, 0x3fb8aa3b, v130 :: v_dual_add_f32 v129, v129, v132
	v_cndmask_b32_e64 v134, 0, v137, s13
	v_mul_f32_e32 v137, 0x3fb8aa3b, v136
	s_delay_alu instid0(VALU_DEP_3) | instskip(NEXT) | instid1(TRANS32_DEP_3)
	v_exp_f32_e32 v130, v130
	v_cndmask_b32_e64 v135, 0, v135, s15
	v_add_f32_e32 v129, v129, v133
	s_delay_alu instid0(TRANS32_DEP_2) | instskip(SKIP_1) | instid1(VALU_DEP_2)
	v_cndmask_b32_e64 v136, 0, v138, s16
	v_exp_f32_e32 v138, v137
	v_add_f32_e32 v129, v129, v134
	s_waitcnt_depctr 0xfff
	v_cndmask_b32_e64 v137, 0, v130, s17
	v_add_f32_e32 v129, v129, v135
	v_cndmask_b32_e64 v138, 0, v138, s18
	s_delay_alu instid0(VALU_DEP_2) | instskip(NEXT) | instid1(VALU_DEP_1)
	v_add_f32_e32 v129, v129, v136
	v_add_f32_e32 v129, v129, v137
	s_delay_alu instid0(VALU_DEP_1)
	v_add_f32_e32 v129, v129, v138
	ds_bpermute_b32 v130, v155, v129
	v_cmpx_gt_u32_e32 16, v151
	s_cbranch_execz .LBB437_12
; %bb.11:
	v_mul_u32_u24_e32 v151, 0x44, v148
	s_delay_alu instid0(VALU_DEP_1) | instskip(SKIP_1) | instid1(VALU_DEP_1)
	v_lshl_add_u32 v151, v150, 2, v151
	s_waitcnt lgkmcnt(0)
	v_dual_add_f32 v129, v129, v130 :: v_dual_add_nc_u32 v130, 0x4000, v151
	ds_store_2addr_b32 v130, v139, v129 offset1:136
.LBB437_12:
	s_or_b32 exec_lo, exec_lo, s3
	v_lshlrev_b32_e32 v129, 2, v150
	s_waitcnt lgkmcnt(0)
	s_barrier
	buffer_gl0_inv
	v_cmp_eq_u32_e64 s3, 1, v148
	v_add_nc_u32_e32 v139, 0x4000, v129
	ds_load_2addr_b32 v[150:151], v139 offset1:17
	ds_load_2addr_b32 v[155:156], v139 offset0:34 offset1:51
	ds_load_2addr_b32 v[157:158], v139 offset0:68 offset1:85
	;; [unrolled: 1-line block ×4, first 2 shown]
	s_waitcnt lgkmcnt(4)
	v_max3_f32 v129, v150, 0xff7fffff, v151
	s_waitcnt lgkmcnt(3)
	s_delay_alu instid0(VALU_DEP_1) | instskip(SKIP_1) | instid1(VALU_DEP_1)
	v_max3_f32 v129, v129, v155, v156
	s_waitcnt lgkmcnt(2)
	v_max3_f32 v129, v129, v157, v158
	s_waitcnt lgkmcnt(1)
	s_delay_alu instid0(VALU_DEP_1) | instskip(NEXT) | instid1(VALU_DEP_1)
	v_max3_f32 v129, v129, v159, v160
	v_sub_f32_e32 v163, v151, v129
	s_delay_alu instid0(VALU_DEP_1) | instskip(NEXT) | instid1(VALU_DEP_1)
	v_dual_sub_f32 v130, v150, v129 :: v_dual_mul_f32 v163, 0x3fb8aa3b, v163
	v_mul_f32_e32 v130, 0x3fb8aa3b, v130
	s_delay_alu instid0(VALU_DEP_2) | instskip(NEXT) | instid1(VALU_DEP_1)
	v_exp_f32_e32 v163, v163
	v_exp_f32_e32 v164, v130
	v_sub_f32_e32 v130, v156, v129
	s_delay_alu instid0(VALU_DEP_1) | instskip(NEXT) | instid1(VALU_DEP_1)
	v_dual_sub_f32 v155, v155, v129 :: v_dual_mul_f32 v166, 0x3fb8aa3b, v130
	v_mul_f32_e32 v165, 0x3fb8aa3b, v155
	s_waitcnt lgkmcnt(0)
	s_waitcnt_depctr 0xfff
	v_fma_f32 v130, v164, v161, 0
	v_exp_f32_e32 v166, v166
	v_exp_f32_e32 v165, v165
	s_delay_alu instid0(VALU_DEP_1)
	v_fmac_f32_e32 v130, v163, v162
	ds_load_2addr_b32 v[150:151], v139 offset0:170 offset1:187
	ds_load_2addr_b32 v[155:156], v139 offset0:204 offset1:221
	s_waitcnt lgkmcnt(1)
	v_dual_sub_f32 v161, v158, v129 :: v_dual_fmac_f32 v130, v165, v150
	v_sub_f32_e32 v150, v160, v129
	s_delay_alu instid0(VALU_DEP_2) | instskip(NEXT) | instid1(VALU_DEP_1)
	v_dual_sub_f32 v157, v157, v129 :: v_dual_fmac_f32 v130, v166, v151
	v_dual_mul_f32 v150, 0x3fb8aa3b, v150 :: v_dual_mul_f32 v167, 0x3fb8aa3b, v157
	ds_load_2addr_b32 v[157:158], v139 offset0:238 offset1:255
	s_waitcnt lgkmcnt(0)
	s_barrier
	v_exp_f32_e32 v150, v150
	v_sub_f32_e32 v139, v159, v129
	v_mul_f32_e32 v159, 0x3fb8aa3b, v161
	v_exp_f32_e32 v161, v167
	buffer_gl0_inv
	v_mul_f32_e32 v139, 0x3fb8aa3b, v139
	v_exp_f32_e32 v159, v159
	s_delay_alu instid0(VALU_DEP_1) | instskip(SKIP_3) | instid1(VALU_DEP_1)
	v_exp_f32_e32 v139, v139
	v_fmac_f32_e32 v130, v161, v155
	s_waitcnt_depctr 0xfff
	v_fmac_f32_e32 v130, v159, v156
	v_fmac_f32_e32 v130, v139, v157
	s_delay_alu instid0(VALU_DEP_1) | instskip(NEXT) | instid1(VALU_DEP_1)
	v_fmac_f32_e32 v130, v150, v158
	v_add_f32_e32 v151, 0x358637bd, v130
	s_delay_alu instid0(VALU_DEP_1) | instskip(SKIP_1) | instid1(VALU_DEP_2)
	v_div_scale_f32 v155, null, v151, v151, 1.0
	v_div_scale_f32 v158, vcc_lo, 1.0, v151, 1.0
	v_rcp_f32_e32 v156, v155
	s_waitcnt_depctr 0xfff
	v_fma_f32 v157, -v155, v156, 1.0
	s_delay_alu instid0(VALU_DEP_1) | instskip(SKIP_2) | instid1(VALU_DEP_3)
	v_fmac_f32_e32 v156, v157, v156
	v_cndmask_b32_e64 v157, v164, v163, s3
	v_cmp_eq_u32_e64 s3, 2, v148
	v_mul_f32_e32 v160, v158, v156
	s_delay_alu instid0(VALU_DEP_2) | instskip(SKIP_1) | instid1(VALU_DEP_3)
	v_cndmask_b32_e64 v157, v157, v165, s3
	v_cmp_eq_u32_e64 s3, 3, v148
	v_fma_f32 v162, -v155, v160, v158
	s_delay_alu instid0(VALU_DEP_2) | instskip(SKIP_1) | instid1(VALU_DEP_3)
	v_cndmask_b32_e64 v157, v157, v166, s3
	v_cmp_eq_u32_e64 s3, 4, v148
	v_fmac_f32_e32 v160, v162, v156
	s_delay_alu instid0(VALU_DEP_2) | instskip(NEXT) | instid1(VALU_DEP_2)
	v_cndmask_b32_e64 v157, v157, v161, s3
	v_fma_f32 v155, -v155, v160, v158
	v_cmp_eq_u32_e64 s3, 5, v148
	s_delay_alu instid0(VALU_DEP_2) | instskip(NEXT) | instid1(VALU_DEP_2)
	v_div_fmas_f32 v155, v155, v156, v160
	v_cndmask_b32_e64 v157, v157, v159, s3
	v_cmp_eq_u32_e32 vcc_lo, 6, v148
	s_mov_b32 s3, exec_lo
	s_delay_alu instid0(VALU_DEP_3) | instskip(NEXT) | instid1(VALU_DEP_3)
	v_div_fixup_f32 v151, v155, v151, 1.0
	v_cndmask_b32_e32 v139, v157, v139, vcc_lo
	v_cmp_eq_u32_e32 vcc_lo, 7, v148
	s_delay_alu instid0(VALU_DEP_2) | instskip(NEXT) | instid1(VALU_DEP_1)
	v_cndmask_b32_e32 v139, v139, v150, vcc_lo
	v_mul_f32_e32 v139, v139, v151
	s_delay_alu instid0(VALU_DEP_1)
	v_mul_f32_e32 v155, v139, v141
	v_mul_f32_e32 v141, v139, v154
	;; [unrolled: 1-line block ×5, first 2 shown]
	v_dual_mul_f32 v153, v139, v144 :: v_dual_and_b32 v154, 0x7f800000, v155
	v_mul_f32_e32 v151, v139, v142
	v_mul_f32_e32 v144, v139, v140
                                        ; implicit-def: $vgpr140
	s_delay_alu instid0(VALU_DEP_3)
	v_cmpx_ne_u32_e32 0x7f800000, v154
	s_xor_b32 s3, exec_lo, s3
; %bb.13:
	v_bfe_u32 v140, v155, 16, 1
	s_delay_alu instid0(VALU_DEP_1)
	v_add3_u32 v140, v155, v140, 0x7fff
                                        ; implicit-def: $vgpr155
; %bb.14:
	s_and_not1_saveexec_b32 s3, s3
; %bb.15:
	v_and_b32_e32 v140, 0xffff, v155
	v_or_b32_e32 v142, 0x10000, v155
	s_delay_alu instid0(VALU_DEP_2) | instskip(NEXT) | instid1(VALU_DEP_2)
	v_cmp_eq_u32_e32 vcc_lo, 0, v140
	v_cndmask_b32_e32 v140, v142, v155, vcc_lo
; %bb.16:
	s_or_b32 exec_lo, exec_lo, s3
	v_and_b32_e32 v142, 0x7f800000, v144
	s_delay_alu instid0(VALU_DEP_1) | instskip(SKIP_1) | instid1(SALU_CYCLE_1)
	v_cmp_ne_u32_e32 vcc_lo, 0x7f800000, v142
                                        ; implicit-def: $vgpr142
	s_and_saveexec_b32 s3, vcc_lo
	s_xor_b32 s3, exec_lo, s3
; %bb.17:
	v_bfe_u32 v142, v144, 16, 1
	s_delay_alu instid0(VALU_DEP_1)
	v_add3_u32 v142, v144, v142, 0x7fff
                                        ; implicit-def: $vgpr144
; %bb.18:
	s_and_not1_saveexec_b32 s3, s3
; %bb.19:
	v_and_b32_e32 v142, 0xffff, v144
	v_or_b32_e32 v154, 0x10000, v144
	s_delay_alu instid0(VALU_DEP_2) | instskip(NEXT) | instid1(VALU_DEP_2)
	v_cmp_eq_u32_e32 vcc_lo, 0, v142
	v_cndmask_b32_e32 v142, v154, v144, vcc_lo
; %bb.20:
	s_or_b32 exec_lo, exec_lo, s3
	v_and_b32_e32 v144, 0x7f800000, v151
	s_delay_alu instid0(VALU_DEP_1) | instskip(SKIP_1) | instid1(SALU_CYCLE_1)
	v_cmp_ne_u32_e32 vcc_lo, 0x7f800000, v144
                                        ; implicit-def: $vgpr144
	s_and_saveexec_b32 s3, vcc_lo
	s_xor_b32 s3, exec_lo, s3
; %bb.21:
	v_bfe_u32 v144, v151, 16, 1
	s_delay_alu instid0(VALU_DEP_1)
	v_add3_u32 v144, v151, v144, 0x7fff
                                        ; implicit-def: $vgpr151
; %bb.22:
	s_and_not1_saveexec_b32 s3, s3
; %bb.23:
	v_and_b32_e32 v144, 0xffff, v151
	v_or_b32_e32 v154, 0x10000, v151
	s_delay_alu instid0(VALU_DEP_2) | instskip(NEXT) | instid1(VALU_DEP_2)
	v_cmp_eq_u32_e32 vcc_lo, 0, v144
	v_cndmask_b32_e32 v144, v154, v151, vcc_lo
; %bb.24:
	s_or_b32 exec_lo, exec_lo, s3
	v_and_b32_e32 v151, 0x7f800000, v153
	s_delay_alu instid0(VALU_DEP_1) | instskip(SKIP_1) | instid1(SALU_CYCLE_1)
	v_cmp_ne_u32_e32 vcc_lo, 0x7f800000, v151
                                        ; implicit-def: $vgpr151
	s_and_saveexec_b32 s3, vcc_lo
	s_xor_b32 s3, exec_lo, s3
; %bb.25:
	v_bfe_u32 v151, v153, 16, 1
	s_delay_alu instid0(VALU_DEP_1)
	v_add3_u32 v151, v153, v151, 0x7fff
                                        ; implicit-def: $vgpr153
; %bb.26:
	s_and_not1_saveexec_b32 s3, s3
; %bb.27:
	v_and_b32_e32 v151, 0xffff, v153
	v_or_b32_e32 v154, 0x10000, v153
	s_delay_alu instid0(VALU_DEP_2) | instskip(NEXT) | instid1(VALU_DEP_2)
	v_cmp_eq_u32_e32 vcc_lo, 0, v151
	v_cndmask_b32_e32 v151, v154, v153, vcc_lo
; %bb.28:
	s_or_b32 exec_lo, exec_lo, s3
	v_and_b32_e32 v153, 0x7f800000, v152
	s_delay_alu instid0(VALU_DEP_1) | instskip(SKIP_1) | instid1(SALU_CYCLE_1)
	v_cmp_ne_u32_e32 vcc_lo, 0x7f800000, v153
                                        ; implicit-def: $vgpr153
	s_and_saveexec_b32 s3, vcc_lo
	s_xor_b32 s3, exec_lo, s3
; %bb.29:
	v_bfe_u32 v153, v152, 16, 1
	s_delay_alu instid0(VALU_DEP_1)
	v_add3_u32 v153, v152, v153, 0x7fff
                                        ; implicit-def: $vgpr152
; %bb.30:
	s_and_not1_saveexec_b32 s3, s3
; %bb.31:
	v_and_b32_e32 v153, 0xffff, v152
	v_or_b32_e32 v154, 0x10000, v152
	s_delay_alu instid0(VALU_DEP_2) | instskip(NEXT) | instid1(VALU_DEP_2)
	v_cmp_eq_u32_e32 vcc_lo, 0, v153
	v_cndmask_b32_e32 v153, v154, v152, vcc_lo
; %bb.32:
	s_or_b32 exec_lo, exec_lo, s3
	v_and_b32_e32 v152, 0x7f800000, v150
	s_delay_alu instid0(VALU_DEP_1) | instskip(SKIP_1) | instid1(SALU_CYCLE_1)
	v_cmp_ne_u32_e32 vcc_lo, 0x7f800000, v152
                                        ; implicit-def: $vgpr152
	s_and_saveexec_b32 s3, vcc_lo
	s_xor_b32 s3, exec_lo, s3
; %bb.33:
	v_bfe_u32 v152, v150, 16, 1
	s_delay_alu instid0(VALU_DEP_1)
	v_add3_u32 v152, v150, v152, 0x7fff
                                        ; implicit-def: $vgpr150
; %bb.34:
	s_and_not1_saveexec_b32 s3, s3
; %bb.35:
	v_and_b32_e32 v152, 0xffff, v150
	v_or_b32_e32 v154, 0x10000, v150
	s_delay_alu instid0(VALU_DEP_2) | instskip(NEXT) | instid1(VALU_DEP_2)
	v_cmp_eq_u32_e32 vcc_lo, 0, v152
	v_cndmask_b32_e32 v152, v154, v150, vcc_lo
; %bb.36:
	s_or_b32 exec_lo, exec_lo, s3
	v_and_b32_e32 v150, 0x7f800000, v143
	s_delay_alu instid0(VALU_DEP_1) | instskip(SKIP_1) | instid1(SALU_CYCLE_1)
	v_cmp_ne_u32_e32 vcc_lo, 0x7f800000, v150
                                        ; implicit-def: $vgpr150
	s_and_saveexec_b32 s3, vcc_lo
	s_xor_b32 s3, exec_lo, s3
; %bb.37:
	v_bfe_u32 v150, v143, 16, 1
	s_delay_alu instid0(VALU_DEP_1)
	v_add3_u32 v150, v143, v150, 0x7fff
                                        ; implicit-def: $vgpr143
; %bb.38:
	s_and_not1_saveexec_b32 s3, s3
; %bb.39:
	v_and_b32_e32 v150, 0xffff, v143
	v_or_b32_e32 v154, 0x10000, v143
	s_delay_alu instid0(VALU_DEP_2) | instskip(NEXT) | instid1(VALU_DEP_2)
	v_cmp_eq_u32_e32 vcc_lo, 0, v150
	v_cndmask_b32_e32 v150, v154, v143, vcc_lo
; %bb.40:
	s_or_b32 exec_lo, exec_lo, s3
	v_and_b32_e32 v143, 0x7f800000, v141
	s_delay_alu instid0(VALU_DEP_1) | instskip(SKIP_1) | instid1(SALU_CYCLE_1)
	v_cmp_ne_u32_e32 vcc_lo, 0x7f800000, v143
                                        ; implicit-def: $vgpr143
	s_and_saveexec_b32 s3, vcc_lo
	s_xor_b32 s3, exec_lo, s3
; %bb.41:
	v_bfe_u32 v143, v141, 16, 1
	s_delay_alu instid0(VALU_DEP_1)
	v_add3_u32 v143, v141, v143, 0x7fff
                                        ; implicit-def: $vgpr141
; %bb.42:
	s_and_not1_saveexec_b32 s3, s3
; %bb.43:
	v_and_b32_e32 v143, 0xffff, v141
	v_or_b32_e32 v154, 0x10000, v141
	s_delay_alu instid0(VALU_DEP_2) | instskip(NEXT) | instid1(VALU_DEP_2)
	v_cmp_eq_u32_e32 vcc_lo, 0, v143
	v_cndmask_b32_e32 v143, v154, v141, vcc_lo
; %bb.44:
	s_or_b32 exec_lo, exec_lo, s3
	s_load_b64 s[34:35], s[0:1], 0x94
	v_lshlrev_b32_e32 v141, 4, v146
	s_delay_alu instid0(VALU_DEP_2)
	v_perm_b32 v154, v143, v150, 0x7060302
	v_dual_mul_f32 v138, v139, v138 :: v_dual_lshlrev_b32 v143, 11, v148
	v_perm_b32 v153, v152, v153, 0x7060302
	v_perm_b32 v152, v151, v144, 0x7060302
	;; [unrolled: 1-line block ×3, first 2 shown]
	v_mul_f32_e32 v142, v139, v131
	v_or3_b32 v131, v141, v143, v149
	v_mul_f32_e32 v137, v139, v137
	v_mul_f32_e32 v136, v139, v136
	;; [unrolled: 1-line block ×3, first 2 shown]
	v_and_b32_e32 v143, 0x7f800000, v142
	v_mul_f32_e32 v140, v139, v134
	v_mul_f32_e32 v141, v139, v133
	;; [unrolled: 1-line block ×3, first 2 shown]
	s_mov_b32 s3, exec_lo
	ds_store_b128 v131, v[151:154]
                                        ; implicit-def: $vgpr132
	v_cmpx_ne_u32_e32 0x7f800000, v143
	s_xor_b32 s3, exec_lo, s3
; %bb.45:
	v_bfe_u32 v132, v142, 16, 1
	s_delay_alu instid0(VALU_DEP_1)
	v_add3_u32 v132, v142, v132, 0x7fff
                                        ; implicit-def: $vgpr142
; %bb.46:
	s_and_not1_saveexec_b32 s3, s3
; %bb.47:
	v_and_b32_e32 v132, 0xffff, v142
	v_or_b32_e32 v133, 0x10000, v142
	s_delay_alu instid0(VALU_DEP_2) | instskip(NEXT) | instid1(VALU_DEP_2)
	v_cmp_eq_u32_e32 vcc_lo, 0, v132
	v_cndmask_b32_e32 v132, v133, v142, vcc_lo
; %bb.48:
	s_or_b32 exec_lo, exec_lo, s3
	v_and_b32_e32 v133, 0x7f800000, v134
	s_delay_alu instid0(VALU_DEP_1) | instskip(SKIP_1) | instid1(SALU_CYCLE_1)
	v_cmp_ne_u32_e32 vcc_lo, 0x7f800000, v133
                                        ; implicit-def: $vgpr133
	s_and_saveexec_b32 s3, vcc_lo
	s_xor_b32 s3, exec_lo, s3
; %bb.49:
	v_bfe_u32 v133, v134, 16, 1
	s_delay_alu instid0(VALU_DEP_1)
	v_add3_u32 v133, v134, v133, 0x7fff
                                        ; implicit-def: $vgpr134
; %bb.50:
	s_and_not1_saveexec_b32 s3, s3
; %bb.51:
	v_and_b32_e32 v133, 0xffff, v134
	v_or_b32_e32 v139, 0x10000, v134
	s_delay_alu instid0(VALU_DEP_2) | instskip(NEXT) | instid1(VALU_DEP_2)
	v_cmp_eq_u32_e32 vcc_lo, 0, v133
	v_cndmask_b32_e32 v133, v139, v134, vcc_lo
; %bb.52:
	s_or_b32 exec_lo, exec_lo, s3
	v_and_b32_e32 v134, 0x7f800000, v141
	s_delay_alu instid0(VALU_DEP_1) | instskip(SKIP_1) | instid1(SALU_CYCLE_1)
	v_cmp_ne_u32_e32 vcc_lo, 0x7f800000, v134
                                        ; implicit-def: $vgpr134
	s_and_saveexec_b32 s3, vcc_lo
	s_xor_b32 s3, exec_lo, s3
; %bb.53:
	v_bfe_u32 v134, v141, 16, 1
	s_delay_alu instid0(VALU_DEP_1)
	v_add3_u32 v134, v141, v134, 0x7fff
                                        ; implicit-def: $vgpr141
; %bb.54:
	s_and_not1_saveexec_b32 s3, s3
; %bb.55:
	v_and_b32_e32 v134, 0xffff, v141
	v_or_b32_e32 v139, 0x10000, v141
	s_delay_alu instid0(VALU_DEP_2) | instskip(NEXT) | instid1(VALU_DEP_2)
	v_cmp_eq_u32_e32 vcc_lo, 0, v134
	v_cndmask_b32_e32 v134, v139, v141, vcc_lo
; %bb.56:
	s_or_b32 exec_lo, exec_lo, s3
	v_and_b32_e32 v139, 0x7f800000, v140
	s_delay_alu instid0(VALU_DEP_1) | instskip(SKIP_1) | instid1(SALU_CYCLE_1)
	v_cmp_ne_u32_e32 vcc_lo, 0x7f800000, v139
                                        ; implicit-def: $vgpr139
	s_and_saveexec_b32 s3, vcc_lo
	s_xor_b32 s3, exec_lo, s3
; %bb.57:
	v_bfe_u32 v139, v140, 16, 1
	s_delay_alu instid0(VALU_DEP_1)
	v_add3_u32 v139, v140, v139, 0x7fff
                                        ; implicit-def: $vgpr140
; %bb.58:
	s_and_not1_saveexec_b32 s3, s3
; %bb.59:
	v_and_b32_e32 v139, 0xffff, v140
	v_or_b32_e32 v141, 0x10000, v140
	s_delay_alu instid0(VALU_DEP_2) | instskip(NEXT) | instid1(VALU_DEP_2)
	v_cmp_eq_u32_e32 vcc_lo, 0, v139
	v_cndmask_b32_e32 v139, v141, v140, vcc_lo
; %bb.60:
	s_or_b32 exec_lo, exec_lo, s3
	v_and_b32_e32 v140, 0x7f800000, v135
	s_delay_alu instid0(VALU_DEP_1) | instskip(SKIP_1) | instid1(SALU_CYCLE_1)
	v_cmp_ne_u32_e32 vcc_lo, 0x7f800000, v140
                                        ; implicit-def: $vgpr140
	s_and_saveexec_b32 s3, vcc_lo
	s_xor_b32 s3, exec_lo, s3
; %bb.61:
	v_bfe_u32 v140, v135, 16, 1
	s_delay_alu instid0(VALU_DEP_1)
	v_add3_u32 v140, v135, v140, 0x7fff
                                        ; implicit-def: $vgpr135
; %bb.62:
	s_and_not1_saveexec_b32 s3, s3
; %bb.63:
	v_and_b32_e32 v140, 0xffff, v135
	v_or_b32_e32 v141, 0x10000, v135
	s_delay_alu instid0(VALU_DEP_2) | instskip(NEXT) | instid1(VALU_DEP_2)
	v_cmp_eq_u32_e32 vcc_lo, 0, v140
	v_cndmask_b32_e32 v140, v141, v135, vcc_lo
; %bb.64:
	s_or_b32 exec_lo, exec_lo, s3
	v_and_b32_e32 v135, 0x7f800000, v136
	s_delay_alu instid0(VALU_DEP_1) | instskip(SKIP_1) | instid1(SALU_CYCLE_1)
	v_cmp_ne_u32_e32 vcc_lo, 0x7f800000, v135
                                        ; implicit-def: $vgpr135
	s_and_saveexec_b32 s3, vcc_lo
	s_xor_b32 s3, exec_lo, s3
; %bb.65:
	v_bfe_u32 v135, v136, 16, 1
	s_delay_alu instid0(VALU_DEP_1)
	v_add3_u32 v135, v136, v135, 0x7fff
                                        ; implicit-def: $vgpr136
; %bb.66:
	s_and_not1_saveexec_b32 s3, s3
; %bb.67:
	v_and_b32_e32 v135, 0xffff, v136
	v_or_b32_e32 v141, 0x10000, v136
	s_delay_alu instid0(VALU_DEP_2) | instskip(NEXT) | instid1(VALU_DEP_2)
	v_cmp_eq_u32_e32 vcc_lo, 0, v135
	v_cndmask_b32_e32 v135, v141, v136, vcc_lo
; %bb.68:
	s_or_b32 exec_lo, exec_lo, s3
	v_and_b32_e32 v136, 0x7f800000, v137
	s_delay_alu instid0(VALU_DEP_1) | instskip(SKIP_1) | instid1(SALU_CYCLE_1)
	v_cmp_ne_u32_e32 vcc_lo, 0x7f800000, v136
                                        ; implicit-def: $vgpr136
	s_and_saveexec_b32 s3, vcc_lo
	s_xor_b32 s3, exec_lo, s3
; %bb.69:
	v_bfe_u32 v136, v137, 16, 1
	s_delay_alu instid0(VALU_DEP_1)
	v_add3_u32 v136, v137, v136, 0x7fff
                                        ; implicit-def: $vgpr137
; %bb.70:
	s_and_not1_saveexec_b32 s3, s3
; %bb.71:
	v_and_b32_e32 v136, 0xffff, v137
	v_or_b32_e32 v141, 0x10000, v137
	s_delay_alu instid0(VALU_DEP_2) | instskip(NEXT) | instid1(VALU_DEP_2)
	v_cmp_eq_u32_e32 vcc_lo, 0, v136
	v_cndmask_b32_e32 v136, v141, v137, vcc_lo
; %bb.72:
	s_or_b32 exec_lo, exec_lo, s3
	v_and_b32_e32 v137, 0x7f800000, v138
	s_delay_alu instid0(VALU_DEP_1) | instskip(SKIP_1) | instid1(SALU_CYCLE_1)
	v_cmp_ne_u32_e32 vcc_lo, 0x7f800000, v137
                                        ; implicit-def: $vgpr137
	s_and_saveexec_b32 s3, vcc_lo
	s_xor_b32 s3, exec_lo, s3
; %bb.73:
	v_bfe_u32 v137, v138, 16, 1
	s_delay_alu instid0(VALU_DEP_1)
	v_add3_u32 v137, v138, v137, 0x7fff
                                        ; implicit-def: $vgpr138
; %bb.74:
	s_and_not1_saveexec_b32 s3, s3
; %bb.75:
	v_and_b32_e32 v137, 0xffff, v138
	v_or_b32_e32 v141, 0x10000, v138
	s_delay_alu instid0(VALU_DEP_2) | instskip(NEXT) | instid1(VALU_DEP_2)
	v_cmp_eq_u32_e32 vcc_lo, 0, v137
	v_cndmask_b32_e32 v137, v141, v138, vcc_lo
; %bb.76:
	s_or_b32 exec_lo, exec_lo, s3
	s_delay_alu instid0(VALU_DEP_1)
	v_perm_b32 v136, v137, v136, 0x7060302
	v_perm_b32 v135, v135, v140, 0x7060302
	;; [unrolled: 1-line block ×4, first 2 shown]
	v_lshl_or_b32 v140, v148, 11, v149
	v_lshlrev_b32_e32 v138, 2, v146
	ds_store_b128 v131, v[133:136] offset:1024
	s_waitcnt lgkmcnt(0)
	s_barrier
	buffer_gl0_inv
	ds_load_b128 v[132:135], v140
	ds_load_b128 v[150:153], v140 offset:16
	v_or_b32_e32 v139, 1, v138
	v_cmp_eq_u32_e64 s12, 1, v138
	v_cmp_eq_u32_e64 s11, 2, v138
	v_or_b32_e32 v137, 2, v138
	v_cmp_eq_u32_e64 s16, 3, v138
	v_cmp_eq_u32_e64 s7, 1, v139
	;; [unrolled: 1-line block ×8, first 2 shown]
	v_cmp_eq_u32_e32 vcc_lo, 5, v139
	v_cmp_eq_u32_e64 s10, 2, v137
	v_cmp_eq_u32_e64 s15, 6, v138
	;; [unrolled: 1-line block ×5, first 2 shown]
	s_waitcnt lgkmcnt(1)
	v_lshrrev_b32_e32 v136, 16, v132
	s_waitcnt lgkmcnt(0)
	v_lshrrev_b32_e32 v142, 16, v150
	v_lshrrev_b32_e32 v143, 16, v133
	;; [unrolled: 1-line block ×4, first 2 shown]
	v_cndmask_b32_e64 v141, v132, v136, s12
	v_cndmask_b32_e64 v154, v132, v136, s7
	;; [unrolled: 1-line block ×4, first 2 shown]
	v_lshrrev_b32_e32 v163, 16, v135
	v_cndmask_b32_e64 v141, v141, v133, s11
	v_cndmask_b32_e64 v154, v154, v133, s6
	;; [unrolled: 1-line block ×4, first 2 shown]
	v_lshrrev_b32_e32 v164, 16, v152
	v_cndmask_b32_e64 v141, v141, v143, s16
	v_cndmask_b32_e64 v154, v154, v143, s5
	;; [unrolled: 1-line block ×3, first 2 shown]
	v_cmp_eq_u32_e64 s19, 7, v139
	v_cndmask_b32_e64 v157, v150, v142, s8
	v_cndmask_b32_e64 v141, v141, v134, s17
	v_cndmask_b32_e64 v154, v154, v134, s3
	v_cndmask_b32_e64 v155, v155, v152, s3
	v_cndmask_b32_e64 v156, v156, v143, s18
	v_cmp_eq_u32_e64 s20, 4, v137
	v_cndmask_b32_e64 v141, v141, v148, s13
	v_cndmask_b32_e32 v154, v154, v148, vcc_lo
	v_cndmask_b32_e32 v158, v155, v164, vcc_lo
	v_cndmask_b32_e64 v159, v157, v151, s10
	v_cndmask_b32_e64 v160, v156, v134, s20
	;; [unrolled: 1-line block ×4, first 2 shown]
	v_cmp_eq_u32_e64 s22, 5, v137
	v_cndmask_b32_e64 v159, v159, v162, s18
	v_cndmask_b32_e64 v144, v150, v142, s12
	;; [unrolled: 1-line block ×3, first 2 shown]
	v_or_b32_e32 v141, 3, v138
	v_cndmask_b32_e64 v167, v154, v163, s19
	ds_load_b128 v[154:157], v140 offset:1024
	v_cndmask_b32_e64 v168, v160, v148, s22
	v_cndmask_b32_e64 v169, v159, v152, s20
	v_cmp_eq_u32_e64 s21, 1, v141
	v_cmp_eq_u32_e64 s23, 2, v141
	;; [unrolled: 1-line block ×3, first 2 shown]
	v_cndmask_b32_e64 v144, v144, v151, s11
	v_cmp_eq_u32_e64 s26, 4, v141
	v_cndmask_b32_e64 v132, v132, v136, s21
	v_cndmask_b32_e64 v136, v158, v153, s4
	ds_load_b128 v[158:161], v140 offset:1040
	v_cndmask_b32_e64 v142, v150, v142, s21
	v_cndmask_b32_e64 v144, v144, v162, s16
	;; [unrolled: 1-line block ×3, first 2 shown]
	v_cmp_eq_u32_e64 s28, 5, v141
	v_cmp_eq_u32_e64 s25, 6, v137
	v_cndmask_b32_e64 v142, v142, v151, s23
	v_cndmask_b32_e64 v144, v144, v152, s17
	;; [unrolled: 1-line block ×3, first 2 shown]
	v_cmp_eq_u32_e64 s29, 6, v141
	s_waitcnt lgkmcnt(1)
	v_lshrrev_b32_e32 v150, 16, v154
	v_cndmask_b32_e64 v142, v142, v162, s24
	v_lshrrev_b32_e32 v151, 16, v155
	v_cndmask_b32_e64 v132, v132, v134, s26
	v_cndmask_b32_e64 v144, v144, v164, s13
	;; [unrolled: 1-line block ×7, first 2 shown]
	s_waitcnt lgkmcnt(0)
	v_lshrrev_b32_e32 v148, 16, v158
	v_cndmask_b32_e64 v143, v168, v135, s25
	v_cndmask_b32_e64 v142, v142, v155, s11
	;; [unrolled: 1-line block ×5, first 2 shown]
	v_lshrrev_b32_e32 v165, 16, v153
	v_cndmask_b32_e64 v135, v142, v151, s16
	v_cndmask_b32_e64 v142, v152, v155, s6
	;; [unrolled: 1-line block ×6, first 2 shown]
	v_lshrrev_b32_e32 v153, 16, v159
	v_cmp_eq_u32_e64 s11, 7, v141
	v_cndmask_b32_e64 v142, v142, v151, s5
	v_cmp_eq_u32_e64 s27, 7, v137
	v_cndmask_b32_e64 v135, v135, v156, s17
	v_lshrrev_b32_e32 v162, 16, v156
	v_cndmask_b32_e64 v152, v152, v153, s16
	v_cndmask_b32_e64 v132, v132, v163, s11
	;; [unrolled: 1-line block ×7, first 2 shown]
	v_lshrrev_b32_e32 v164, 16, v160
	v_perm_b32 v135, v134, v132, 0x5040100
	v_cndmask_b32_e32 v132, v142, v162, vcc_lo
	v_cndmask_b32_e64 v136, v136, v165, s19
	v_cndmask_b32_e64 v133, v133, v165, s27
	;; [unrolled: 1-line block ×3, first 2 shown]
	v_lshrrev_b32_e32 v163, 16, v157
	v_cndmask_b32_e64 v152, v152, v164, s13
	v_cndmask_b32_e64 v132, v132, v157, s4
	;; [unrolled: 1-line block ×3, first 2 shown]
	v_perm_b32 v134, v133, v143, 0x5040100
	v_perm_b32 v133, v136, v167, 0x5040100
	v_cndmask_b32_e64 v136, v142, v163, s9
	v_cndmask_b32_e64 v142, v152, v161, s15
	;; [unrolled: 1-line block ×27, first 2 shown]
	v_cndmask_b32_e32 v148, v148, v164, vcc_lo
	v_lshrrev_b32_e32 v143, 16, v161
	v_cndmask_b32_e64 v132, v132, v157, s25
	v_cndmask_b32_e64 v150, v150, v157, s29
	;; [unrolled: 1-line block ×11, first 2 shown]
	v_perm_b32 v132, v144, v166, 0x5040100
	v_perm_b32 v153, v151, v150, 0x5040100
	;; [unrolled: 1-line block ×5, first 2 shown]
	s_lshl_b32 s8, s35, 4
	s_mov_b32 s3, exec_lo
	ds_store_b128 v131, v[132:135]
	ds_store_b128 v131, v[150:153] offset:1024
	v_cmpx_gt_u32_e32 16, v0
	s_cbranch_execz .LBB437_78
; %bb.77:
	v_or_b32_e32 v131, s31, v0
	s_load_b128 s[4:7], s[0:1], 0x58
	s_delay_alu instid0(VALU_DEP_1) | instskip(NEXT) | instid1(VALU_DEP_1)
	v_mad_u64_u32 v[132:133], null, s8, s30, v[131:132]
	v_mad_u64_u32 v[133:134], null, v132, s34, s[14:15]
	s_delay_alu instid0(VALU_DEP_1) | instskip(NEXT) | instid1(VALU_DEP_1)
	v_ashrrev_i32_e32 v134, 31, v133
	v_lshlrev_b64 v[131:132], 2, v[133:134]
	s_waitcnt lgkmcnt(0)
	s_delay_alu instid0(VALU_DEP_1) | instskip(NEXT) | instid1(VALU_DEP_2)
	v_add_co_u32 v133, vcc_lo, s6, v131
	v_add_co_ci_u32_e32 v134, vcc_lo, s7, v132, vcc_lo
	v_add_co_u32 v131, vcc_lo, s4, v131
	v_add_co_ci_u32_e32 v132, vcc_lo, s5, v132, vcc_lo
	global_store_b32 v[133:134], v129, off
	global_store_b32 v[131:132], v130, off
.LBB437_78:
	s_or_b32 exec_lo, exec_lo, s3
	s_waitcnt lgkmcnt(0)
	s_waitcnt_vscnt null, 0x0
	s_barrier
	buffer_gl0_inv
	ds_load_b128 v[150:153], v149
	ds_load_b128 v[154:157], v149 offset:16
	ds_load_b128 v[162:165], v149 offset:1040
	;; [unrolled: 1-line block ×3, first 2 shown]
	v_mov_b32_e32 v129, 0
	ds_load_b128 v[170:173], v149 offset:2064
	ds_load_b128 v[166:169], v149 offset:2048
	;; [unrolled: 1-line block ×6, first 2 shown]
	v_mov_b32_e32 v130, v129
	v_mov_b32_e32 v131, v129
	;; [unrolled: 1-line block ×7, first 2 shown]
	s_waitcnt lgkmcnt(8)
	s_delay_alu instid0(VALU_DEP_1)
	v_wmma_f32_16x16x16_bf16 v[129:136], v[121:128], v[150:157], v[129:136]
	ds_load_b128 v[125:128], v149 offset:5136
	ds_load_b128 v[121:124], v149 offset:5120
	s_waitcnt lgkmcnt(8)
	v_wmma_f32_16x16x16_bf16 v[129:136], v[113:120], v[158:165], v[129:136]
	ds_load_b128 v[117:120], v149 offset:6160
	ds_load_b128 v[113:116], v149 offset:6144
	s_waitcnt lgkmcnt(8)
	;; [unrolled: 4-line block ×8, first 2 shown]
	v_wmma_f32_16x16x16_bf16 v[129:136], v[65:72], v[97:104], v[129:136]
	s_waitcnt lgkmcnt(6)
	s_delay_alu instid0(VALU_DEP_1)
	v_wmma_f32_16x16x16_bf16 v[129:136], v[49:56], v[89:96], v[129:136]
	ds_load_b128 v[53:56], v149 offset:13328
	ds_load_b128 v[49:52], v149 offset:13312
	s_waitcnt lgkmcnt(6)
	v_wmma_f32_16x16x16_bf16 v[129:136], v[41:48], v[81:88], v[129:136]
	ds_load_b128 v[45:48], v149 offset:14352
	ds_load_b128 v[41:44], v149 offset:14336
	s_waitcnt lgkmcnt(6)
	;; [unrolled: 4-line block ×3, first 2 shown]
	v_wmma_f32_16x16x16_bf16 v[129:136], v[1:8], v[57:64], v[129:136]
	s_waitcnt lgkmcnt(4)
	s_delay_alu instid0(VALU_DEP_1) | instskip(SKIP_1) | instid1(VALU_DEP_1)
	v_wmma_f32_16x16x16_bf16 v[129:136], v[25:32], v[49:56], v[129:136]
	s_waitcnt lgkmcnt(2)
	v_wmma_f32_16x16x16_bf16 v[129:136], v[33:40], v[41:48], v[129:136]
	s_waitcnt lgkmcnt(0)
	s_delay_alu instid0(VALU_DEP_1) | instskip(NEXT) | instid1(VALU_DEP_1)
	v_wmma_f32_16x16x16_bf16 v[129:136], v[9:16], v[17:24], v[129:136]
	v_and_b32_e32 v1, 0x7f800000, v129
	s_delay_alu instid0(VALU_DEP_1) | instskip(SKIP_1) | instid1(SALU_CYCLE_1)
	v_cmp_ne_u32_e32 vcc_lo, 0x7f800000, v1
                                        ; implicit-def: $vgpr1
	s_and_saveexec_b32 s3, vcc_lo
	s_xor_b32 s3, exec_lo, s3
; %bb.79:
	v_bfe_u32 v1, v129, 16, 1
	s_delay_alu instid0(VALU_DEP_1)
	v_add3_u32 v1, v129, v1, 0x7fff
; %bb.80:
	s_and_not1_saveexec_b32 s3, s3
; %bb.81:
	v_and_b32_e32 v1, 0xffff, v129
	v_or_b32_e32 v2, 0x10000, v129
	s_delay_alu instid0(VALU_DEP_2) | instskip(NEXT) | instid1(VALU_DEP_2)
	v_cmp_eq_u32_e32 vcc_lo, 0, v1
	v_cndmask_b32_e32 v1, v2, v129, vcc_lo
; %bb.82:
	s_or_b32 exec_lo, exec_lo, s3
	v_and_b32_e32 v2, 0x7f800000, v130
	s_delay_alu instid0(VALU_DEP_1) | instskip(SKIP_1) | instid1(SALU_CYCLE_1)
	v_cmp_ne_u32_e32 vcc_lo, 0x7f800000, v2
                                        ; implicit-def: $vgpr2
	s_and_saveexec_b32 s3, vcc_lo
	s_xor_b32 s3, exec_lo, s3
; %bb.83:
	v_bfe_u32 v2, v130, 16, 1
	s_delay_alu instid0(VALU_DEP_1)
	v_add3_u32 v2, v130, v2, 0x7fff
; %bb.84:
	s_and_not1_saveexec_b32 s3, s3
; %bb.85:
	v_and_b32_e32 v2, 0xffff, v130
	v_or_b32_e32 v3, 0x10000, v130
	s_delay_alu instid0(VALU_DEP_2) | instskip(NEXT) | instid1(VALU_DEP_2)
	v_cmp_eq_u32_e32 vcc_lo, 0, v2
	v_cndmask_b32_e32 v2, v3, v130, vcc_lo
; %bb.86:
	s_or_b32 exec_lo, exec_lo, s3
	v_and_b32_e32 v3, 0x7f800000, v131
	s_delay_alu instid0(VALU_DEP_1) | instskip(SKIP_1) | instid1(SALU_CYCLE_1)
	v_cmp_ne_u32_e32 vcc_lo, 0x7f800000, v3
                                        ; implicit-def: $vgpr3
	s_and_saveexec_b32 s3, vcc_lo
	s_xor_b32 s3, exec_lo, s3
; %bb.87:
	v_bfe_u32 v3, v131, 16, 1
	s_delay_alu instid0(VALU_DEP_1)
	v_add3_u32 v3, v131, v3, 0x7fff
; %bb.88:
	s_and_not1_saveexec_b32 s3, s3
; %bb.89:
	v_and_b32_e32 v3, 0xffff, v131
	v_or_b32_e32 v4, 0x10000, v131
	s_delay_alu instid0(VALU_DEP_2) | instskip(NEXT) | instid1(VALU_DEP_2)
	v_cmp_eq_u32_e32 vcc_lo, 0, v3
	v_cndmask_b32_e32 v3, v4, v131, vcc_lo
; %bb.90:
	s_or_b32 exec_lo, exec_lo, s3
	v_and_b32_e32 v4, 0x7f800000, v132
	s_delay_alu instid0(VALU_DEP_1) | instskip(SKIP_1) | instid1(SALU_CYCLE_1)
	v_cmp_ne_u32_e32 vcc_lo, 0x7f800000, v4
                                        ; implicit-def: $vgpr4
	s_and_saveexec_b32 s3, vcc_lo
	s_xor_b32 s3, exec_lo, s3
; %bb.91:
	v_bfe_u32 v4, v132, 16, 1
	s_delay_alu instid0(VALU_DEP_1)
	v_add3_u32 v4, v132, v4, 0x7fff
; %bb.92:
	s_and_not1_saveexec_b32 s3, s3
; %bb.93:
	v_and_b32_e32 v4, 0xffff, v132
	v_or_b32_e32 v5, 0x10000, v132
	s_delay_alu instid0(VALU_DEP_2) | instskip(NEXT) | instid1(VALU_DEP_2)
	v_cmp_eq_u32_e32 vcc_lo, 0, v4
	v_cndmask_b32_e32 v4, v5, v132, vcc_lo
; %bb.94:
	s_or_b32 exec_lo, exec_lo, s3
	v_and_b32_e32 v5, 0x7f800000, v133
	s_delay_alu instid0(VALU_DEP_1) | instskip(SKIP_1) | instid1(SALU_CYCLE_1)
	v_cmp_ne_u32_e32 vcc_lo, 0x7f800000, v5
                                        ; implicit-def: $vgpr5
	s_and_saveexec_b32 s3, vcc_lo
	s_xor_b32 s3, exec_lo, s3
; %bb.95:
	v_bfe_u32 v5, v133, 16, 1
	s_delay_alu instid0(VALU_DEP_1)
	v_add3_u32 v5, v133, v5, 0x7fff
; %bb.96:
	s_and_not1_saveexec_b32 s3, s3
; %bb.97:
	v_and_b32_e32 v5, 0xffff, v133
	v_or_b32_e32 v6, 0x10000, v133
	s_delay_alu instid0(VALU_DEP_2) | instskip(NEXT) | instid1(VALU_DEP_2)
	v_cmp_eq_u32_e32 vcc_lo, 0, v5
	v_cndmask_b32_e32 v5, v6, v133, vcc_lo
; %bb.98:
	s_or_b32 exec_lo, exec_lo, s3
	v_and_b32_e32 v6, 0x7f800000, v134
	s_delay_alu instid0(VALU_DEP_1) | instskip(SKIP_1) | instid1(SALU_CYCLE_1)
	v_cmp_ne_u32_e32 vcc_lo, 0x7f800000, v6
                                        ; implicit-def: $vgpr6
	s_and_saveexec_b32 s3, vcc_lo
	s_xor_b32 s3, exec_lo, s3
; %bb.99:
	v_bfe_u32 v6, v134, 16, 1
	s_delay_alu instid0(VALU_DEP_1)
	v_add3_u32 v6, v134, v6, 0x7fff
; %bb.100:
	s_and_not1_saveexec_b32 s3, s3
; %bb.101:
	v_and_b32_e32 v6, 0xffff, v134
	v_or_b32_e32 v7, 0x10000, v134
	s_delay_alu instid0(VALU_DEP_2) | instskip(NEXT) | instid1(VALU_DEP_2)
	v_cmp_eq_u32_e32 vcc_lo, 0, v6
	v_cndmask_b32_e32 v6, v7, v134, vcc_lo
; %bb.102:
	s_or_b32 exec_lo, exec_lo, s3
	v_and_b32_e32 v7, 0x7f800000, v135
	s_delay_alu instid0(VALU_DEP_1) | instskip(SKIP_1) | instid1(SALU_CYCLE_1)
	v_cmp_ne_u32_e32 vcc_lo, 0x7f800000, v7
                                        ; implicit-def: $vgpr7
	s_and_saveexec_b32 s3, vcc_lo
	s_xor_b32 s3, exec_lo, s3
; %bb.103:
	v_bfe_u32 v7, v135, 16, 1
	s_delay_alu instid0(VALU_DEP_1)
	v_add3_u32 v7, v135, v7, 0x7fff
; %bb.104:
	s_and_not1_saveexec_b32 s3, s3
; %bb.105:
	v_and_b32_e32 v7, 0xffff, v135
	v_or_b32_e32 v8, 0x10000, v135
	s_delay_alu instid0(VALU_DEP_2) | instskip(NEXT) | instid1(VALU_DEP_2)
	v_cmp_eq_u32_e32 vcc_lo, 0, v7
	v_cndmask_b32_e32 v7, v8, v135, vcc_lo
; %bb.106:
	s_or_b32 exec_lo, exec_lo, s3
	v_and_b32_e32 v8, 0x7f800000, v136
	s_delay_alu instid0(VALU_DEP_1) | instskip(SKIP_1) | instid1(SALU_CYCLE_1)
	v_cmp_ne_u32_e32 vcc_lo, 0x7f800000, v8
                                        ; implicit-def: $vgpr8
	s_and_saveexec_b32 s3, vcc_lo
	s_xor_b32 s3, exec_lo, s3
; %bb.107:
	v_bfe_u32 v8, v136, 16, 1
	s_delay_alu instid0(VALU_DEP_1)
	v_add3_u32 v8, v136, v8, 0x7fff
                                        ; implicit-def: $vgpr129_vgpr130_vgpr131_vgpr132_vgpr133_vgpr134_vgpr135_vgpr136
; %bb.108:
	s_and_not1_saveexec_b32 s3, s3
; %bb.109:
	v_and_b32_e32 v8, 0xffff, v136
	v_or_b32_e32 v9, 0x10000, v136
	s_delay_alu instid0(VALU_DEP_2) | instskip(NEXT) | instid1(VALU_DEP_2)
	v_cmp_eq_u32_e32 vcc_lo, 0, v8
	v_cndmask_b32_e32 v8, v9, v136, vcc_lo
; %bb.110:
	s_or_b32 exec_lo, exec_lo, s3
	s_delay_alu instid0(VALU_DEP_1)
	v_perm_b32 v7, v8, v7, 0x7060302
	v_perm_b32 v6, v6, v5, 0x7060302
	v_perm_b32 v5, v4, v3, 0x7060302
	v_perm_b32 v4, v2, v1, 0x7060302
	v_lshl_or_b32 v9, v146, 4, v140
	s_barrier
	buffer_gl0_inv
	v_cmp_eq_u32_e32 vcc_lo, 1, v138
	ds_store_b128 v9, v[4:7]
	s_waitcnt lgkmcnt(0)
	s_barrier
	buffer_gl0_inv
	ds_load_b128 v[1:4], v140
	ds_load_b128 v[5:8], v140 offset:16
	v_cmp_eq_u32_e64 s4, 2, v138
	v_cmp_eq_u32_e64 s3, 1, v139
	;; [unrolled: 1-line block ×5, first 2 shown]
	s_waitcnt lgkmcnt(1)
	v_lshrrev_b32_e32 v10, 16, v1
	s_waitcnt lgkmcnt(0)
	v_lshrrev_b32_e32 v14, 16, v5
	v_lshrrev_b32_e32 v15, 16, v6
	;; [unrolled: 1-line block ×4, first 2 shown]
	v_cndmask_b32_e64 v20, v1, v10, s3
	v_cndmask_b32_e32 v19, v5, v14, vcc_lo
	v_cndmask_b32_e64 v21, v5, v14, s3
	v_lshrrev_b32_e32 v16, 16, v7
	v_cmp_eq_u32_e64 s3, 1, v137
	v_lshrrev_b32_e32 v13, 16, v4
	v_cndmask_b32_e64 v19, v19, v6, s4
	v_lshrrev_b32_e32 v17, 16, v8
	s_delay_alu instid0(VALU_DEP_4) | instskip(SKIP_1) | instid1(VALU_DEP_4)
	v_cndmask_b32_e64 v22, v1, v10, s3
	v_cndmask_b32_e64 v23, v5, v14, s3
	;; [unrolled: 1-line block ×3, first 2 shown]
	v_cndmask_b32_e32 v18, v1, v10, vcc_lo
	v_cmp_eq_u32_e32 vcc_lo, 2, v139
	v_cmp_eq_u32_e64 s3, 2, v141
	v_cndmask_b32_e64 v22, v22, v2, s7
	v_cndmask_b32_e32 v20, v20, v2, vcc_lo
	v_cndmask_b32_e32 v21, v21, v6, vcc_lo
	v_cmp_eq_u32_e32 vcc_lo, 4, v138
	v_cndmask_b32_e32 v19, v19, v7, vcc_lo
	v_cndmask_b32_e64 v18, v18, v2, s4
	v_cmp_eq_u32_e64 s4, 3, v139
	s_delay_alu instid0(VALU_DEP_2) | instskip(NEXT) | instid1(VALU_DEP_2)
	v_cndmask_b32_e64 v18, v18, v11, s5
	v_cndmask_b32_e64 v21, v21, v15, s4
	v_cmp_eq_u32_e64 s5, 5, v138
	s_delay_alu instid0(VALU_DEP_3) | instskip(SKIP_1) | instid1(VALU_DEP_3)
	v_cndmask_b32_e32 v18, v18, v3, vcc_lo
	v_cmp_eq_u32_e32 vcc_lo, 4, v139
	v_cndmask_b32_e64 v19, v19, v16, s5
	s_delay_alu instid0(VALU_DEP_3) | instskip(SKIP_4) | instid1(VALU_DEP_3)
	v_cndmask_b32_e64 v18, v18, v12, s5
	v_cndmask_b32_e32 v21, v21, v7, vcc_lo
	v_cndmask_b32_e64 v20, v20, v11, s4
	v_cmp_eq_u32_e64 s4, 5, v139
	v_cmp_eq_u32_e64 s5, 6, v138
	v_cndmask_b32_e32 v20, v20, v3, vcc_lo
	s_delay_alu instid0(VALU_DEP_3) | instskip(SKIP_1) | instid1(VALU_DEP_4)
	v_cndmask_b32_e64 v21, v21, v16, s4
	v_cmp_eq_u32_e32 vcc_lo, 6, v139
	v_cndmask_b32_e64 v18, v18, v4, s5
	v_cndmask_b32_e64 v19, v19, v8, s5
	;; [unrolled: 1-line block ×3, first 2 shown]
	v_cmp_eq_u32_e64 s4, 1, v141
	v_cmp_eq_u32_e64 s5, 7, v138
	s_delay_alu instid0(VALU_DEP_3) | instskip(NEXT) | instid1(VALU_DEP_3)
	v_cndmask_b32_e32 v20, v20, v4, vcc_lo
	v_cndmask_b32_e64 v1, v1, v10, s4
	v_cndmask_b32_e64 v5, v5, v14, s4
	v_cmp_eq_u32_e64 s4, 3, v137
	v_cndmask_b32_e64 v14, v23, v6, s7
	v_cmp_eq_u32_e64 s7, 3, v141
	v_cndmask_b32_e64 v1, v1, v2, s3
	v_cndmask_b32_e64 v2, v5, v6, s3
	;; [unrolled: 1-line block ×3, first 2 shown]
	v_cmp_eq_u32_e64 s3, 4, v137
	v_cndmask_b32_e64 v6, v14, v15, s4
	v_cndmask_b32_e64 v1, v1, v11, s7
	v_cmp_eq_u32_e64 s4, 4, v141
	v_cndmask_b32_e64 v2, v2, v15, s7
	v_cndmask_b32_e64 v5, v10, v3, s3
	;; [unrolled: 3-line block ×3, first 2 shown]
	v_cndmask_b32_e64 v2, v2, v7, s4
	v_cmp_eq_u32_e64 s3, 5, v141
	v_cndmask_b32_e64 v5, v5, v12, s7
	v_cmp_eq_u32_e64 s4, 6, v137
	v_cndmask_b32_e64 v3, v6, v16, s7
	v_cmp_eq_u32_e64 s7, 6, v141
	v_cndmask_b32_e64 v1, v1, v12, s3
	v_cndmask_b32_e64 v2, v2, v16, s3
	;; [unrolled: 1-line block ×4, first 2 shown]
	v_cmp_eq_u32_e64 s3, 7, v141
	v_cndmask_b32_e64 v1, v1, v4, s7
	v_cndmask_b32_e64 v2, v2, v8, s7
	v_cmp_eq_u32_e64 s4, 7, v137
	v_cndmask_b32_e32 v4, v21, v8, vcc_lo
	v_cndmask_b32_e64 v18, v18, v13, s5
	v_cndmask_b32_e64 v20, v20, v13, s6
	;; [unrolled: 1-line block ×8, first 2 shown]
	v_cmp_gt_u32_e32 vcc_lo, 32, v0
	v_perm_b32 v4, v2, v1, 0x5040100
	v_perm_b32 v3, v3, v5, 0x5040100
	v_perm_b32 v2, v6, v20, 0x5040100
	v_perm_b32 v1, v7, v18, 0x5040100
	s_and_b32 s2, vcc_lo, s2
	ds_store_b128 v9, v[1:4]
	s_waitcnt lgkmcnt(0)
	s_barrier
	buffer_gl0_inv
	s_and_saveexec_b32 s3, s2
	s_cbranch_execz .LBB437_2
; %bb.111:
	s_load_b64 s[0:1], s[0:1], 0x68
	v_lshlrev_b32_e32 v0, 10, v0
	s_lshl_b32 s4, s34, 6
	v_or_b32_e32 v23, s31, v146
	s_mul_i32 s2, s4, s30
	v_lshlrev_b32_e32 v1, 4, v147
	v_lshlrev_b32_e32 v2, 6, v146
	s_mul_i32 s2, s2, s8
	v_and_b32_e32 v0, 0x3800, v0
	v_mul_lo_u32 v8, v23, s4
	s_ashr_i32 s3, s2, 31
	v_or_b32_e32 v3, 2, v23
	s_lshl_b64 s[2:3], s[2:3], 1
	v_or3_b32 v27, v0, v1, v2
	v_or_b32_e32 v11, 4, v23
	v_or_b32_e32 v18, 6, v23
	v_mul_lo_u32 v10, v3, s4
	v_ashrrev_i32_e32 v9, 31, v8
	ds_load_b128 v[0:3], v27
	ds_load_b128 v[4:7], v27 offset:128
	v_mul_lo_u32 v12, v11, s4
	s_waitcnt lgkmcnt(0)
	s_add_u32 s2, s0, s2
	s_addc_u32 s3, s1, s3
	s_lshl_b32 s0, s14, 6
	v_lshlrev_b64 v[8:9], 1, v[8:9]
	s_ashr_i32 s1, s0, 31
	v_ashrrev_i32_e32 v11, 31, v10
	s_lshl_b64 s[0:1], s[0:1], 1
	v_ashrrev_i32_e32 v13, 31, v12
	s_add_u32 s0, s2, s0
	s_addc_u32 s1, s3, s1
	v_add_co_u32 v30, s0, s0, v145
	s_delay_alu instid0(VALU_DEP_1) | instskip(SKIP_1) | instid1(VALU_DEP_3)
	v_add_co_ci_u32_e64 v31, null, s1, 0, s0
	v_lshlrev_b64 v[16:17], 1, v[10:11]
	v_add_co_u32 v14, vcc_lo, v30, v8
	s_delay_alu instid0(VALU_DEP_3)
	v_add_co_ci_u32_e32 v15, vcc_lo, v31, v9, vcc_lo
	ds_load_b128 v[8:11], v27 offset:256
	v_mul_lo_u32 v18, v18, s4
	v_or_b32_e32 v19, 8, v23
	v_add_co_u32 v16, vcc_lo, v30, v16
	global_store_b128 v[14:15], v[0:3], off
	v_lshlrev_b64 v[0:1], 1, v[12:13]
	v_add_co_ci_u32_e32 v17, vcc_lo, v31, v17, vcc_lo
	v_mul_lo_u32 v12, v19, s4
	v_ashrrev_i32_e32 v19, 31, v18
	v_or_b32_e32 v14, 10, v23
	global_store_b128 v[16:17], v[4:7], off
	v_add_co_u32 v4, vcc_lo, v30, v0
	v_add_co_ci_u32_e32 v5, vcc_lo, v31, v1, vcc_lo
	ds_load_b128 v[0:3], v27 offset:384
	v_ashrrev_i32_e32 v13, 31, v12
	v_lshlrev_b64 v[6:7], 1, v[18:19]
	v_mul_lo_u32 v14, v14, s4
	s_waitcnt lgkmcnt(1)
	global_store_b128 v[4:5], v[8:11], off
	v_or_b32_e32 v8, 12, v23
	v_lshlrev_b64 v[4:5], 1, v[12:13]
	v_add_co_u32 v20, vcc_lo, v30, v6
	v_or_b32_e32 v6, 14, v23
	v_ashrrev_i32_e32 v15, 31, v14
	v_mul_lo_u32 v22, v8, s4
	v_add_co_ci_u32_e32 v21, vcc_lo, v31, v7, vcc_lo
	v_add_co_u32 v24, vcc_lo, v30, v4
	v_mul_lo_u32 v26, v6, s4
	v_add_co_ci_u32_e32 v25, vcc_lo, v31, v5, vcc_lo
	v_lshlrev_b64 v[28:29], 1, v[14:15]
	ds_load_b128 v[4:7], v27 offset:512
	ds_load_b128 v[8:11], v27 offset:640
	;; [unrolled: 1-line block ×4, first 2 shown]
	v_ashrrev_i32_e32 v23, 31, v22
	v_ashrrev_i32_e32 v27, 31, v26
	v_add_co_u32 v28, vcc_lo, v30, v28
	s_delay_alu instid0(VALU_DEP_3) | instskip(SKIP_1) | instid1(VALU_DEP_4)
	v_lshlrev_b64 v[22:23], 1, v[22:23]
	v_add_co_ci_u32_e32 v29, vcc_lo, v31, v29, vcc_lo
	v_lshlrev_b64 v[26:27], 1, v[26:27]
	s_delay_alu instid0(VALU_DEP_3) | instskip(NEXT) | instid1(VALU_DEP_4)
	v_add_co_u32 v22, vcc_lo, v30, v22
	v_add_co_ci_u32_e32 v23, vcc_lo, v31, v23, vcc_lo
	s_delay_alu instid0(VALU_DEP_3) | instskip(NEXT) | instid1(VALU_DEP_4)
	v_add_co_u32 v26, vcc_lo, v30, v26
	v_add_co_ci_u32_e32 v27, vcc_lo, v31, v27, vcc_lo
	s_waitcnt lgkmcnt(4)
	global_store_b128 v[20:21], v[0:3], off
	s_waitcnt lgkmcnt(3)
	global_store_b128 v[24:25], v[4:7], off
	;; [unrolled: 2-line block ×5, first 2 shown]
	s_nop 0
	s_sendmsg sendmsg(MSG_DEALLOC_VGPRS)
	s_endpgm
	.section	.rodata,"a",@progbits
	.p2align	6, 0x0
	.amdhsa_kernel _Z39paged_attention_ll4mi_QKV_mfma16_kernelI14__hip_bfloat16S0_LN4vllm18Fp8KVCacheDataTypeE0EhLi16ELi64ELi256ELb0ELi16EL8MFMAType0EEvPKT_PKT0_S9_ifPKiSB_SB_iPKfiiiPfSE_PS4_PT2_iSD_SD_
		.amdhsa_group_segment_fixed_size 17472
		.amdhsa_private_segment_fixed_size 0
		.amdhsa_kernarg_size 400
		.amdhsa_user_sgpr_count 13
		.amdhsa_user_sgpr_dispatch_ptr 0
		.amdhsa_user_sgpr_queue_ptr 0
		.amdhsa_user_sgpr_kernarg_segment_ptr 1
		.amdhsa_user_sgpr_dispatch_id 0
		.amdhsa_user_sgpr_private_segment_size 0
		.amdhsa_wavefront_size32 1
		.amdhsa_uses_dynamic_stack 0
		.amdhsa_enable_private_segment 0
		.amdhsa_system_sgpr_workgroup_id_x 1
		.amdhsa_system_sgpr_workgroup_id_y 1
		.amdhsa_system_sgpr_workgroup_id_z 1
		.amdhsa_system_sgpr_workgroup_info 0
		.amdhsa_system_vgpr_workitem_id 0
		.amdhsa_next_free_vgpr 198
		.amdhsa_next_free_sgpr 52
		.amdhsa_reserve_vcc 1
		.amdhsa_float_round_mode_32 0
		.amdhsa_float_round_mode_16_64 0
		.amdhsa_float_denorm_mode_32 3
		.amdhsa_float_denorm_mode_16_64 3
		.amdhsa_dx10_clamp 1
		.amdhsa_ieee_mode 1
		.amdhsa_fp16_overflow 0
		.amdhsa_workgroup_processor_mode 1
		.amdhsa_memory_ordered 1
		.amdhsa_forward_progress 0
		.amdhsa_shared_vgpr_count 0
		.amdhsa_exception_fp_ieee_invalid_op 0
		.amdhsa_exception_fp_denorm_src 0
		.amdhsa_exception_fp_ieee_div_zero 0
		.amdhsa_exception_fp_ieee_overflow 0
		.amdhsa_exception_fp_ieee_underflow 0
		.amdhsa_exception_fp_ieee_inexact 0
		.amdhsa_exception_int_div_zero 0
	.end_amdhsa_kernel
	.section	.text._Z39paged_attention_ll4mi_QKV_mfma16_kernelI14__hip_bfloat16S0_LN4vllm18Fp8KVCacheDataTypeE0EhLi16ELi64ELi256ELb0ELi16EL8MFMAType0EEvPKT_PKT0_S9_ifPKiSB_SB_iPKfiiiPfSE_PS4_PT2_iSD_SD_,"axG",@progbits,_Z39paged_attention_ll4mi_QKV_mfma16_kernelI14__hip_bfloat16S0_LN4vllm18Fp8KVCacheDataTypeE0EhLi16ELi64ELi256ELb0ELi16EL8MFMAType0EEvPKT_PKT0_S9_ifPKiSB_SB_iPKfiiiPfSE_PS4_PT2_iSD_SD_,comdat
.Lfunc_end437:
	.size	_Z39paged_attention_ll4mi_QKV_mfma16_kernelI14__hip_bfloat16S0_LN4vllm18Fp8KVCacheDataTypeE0EhLi16ELi64ELi256ELb0ELi16EL8MFMAType0EEvPKT_PKT0_S9_ifPKiSB_SB_iPKfiiiPfSE_PS4_PT2_iSD_SD_, .Lfunc_end437-_Z39paged_attention_ll4mi_QKV_mfma16_kernelI14__hip_bfloat16S0_LN4vllm18Fp8KVCacheDataTypeE0EhLi16ELi64ELi256ELb0ELi16EL8MFMAType0EEvPKT_PKT0_S9_ifPKiSB_SB_iPKfiiiPfSE_PS4_PT2_iSD_SD_
                                        ; -- End function
	.section	.AMDGPU.csdata,"",@progbits
; Kernel info:
; codeLenInByte = 10196
; NumSgprs: 54
; NumVgprs: 198
; ScratchSize: 0
; MemoryBound: 0
; FloatMode: 240
; IeeeMode: 1
; LDSByteSize: 17472 bytes/workgroup (compile time only)
; SGPRBlocks: 6
; VGPRBlocks: 24
; NumSGPRsForWavesPerEU: 54
; NumVGPRsForWavesPerEU: 198
; Occupancy: 7
; WaveLimiterHint : 1
; COMPUTE_PGM_RSRC2:SCRATCH_EN: 0
; COMPUTE_PGM_RSRC2:USER_SGPR: 13
; COMPUTE_PGM_RSRC2:TRAP_HANDLER: 0
; COMPUTE_PGM_RSRC2:TGID_X_EN: 1
; COMPUTE_PGM_RSRC2:TGID_Y_EN: 1
; COMPUTE_PGM_RSRC2:TGID_Z_EN: 1
; COMPUTE_PGM_RSRC2:TIDIG_COMP_CNT: 0
	.section	.text._Z39paged_attention_ll4mi_QKV_mfma16_kernelI14__hip_bfloat16S0_LN4vllm18Fp8KVCacheDataTypeE0EhLi16ELi64ELi256ELb0ELi1EL8MFMAType0EEvPKT_PKT0_S9_ifPKiSB_SB_iPKfiiiPfSE_PS4_PT2_iSD_SD_,"axG",@progbits,_Z39paged_attention_ll4mi_QKV_mfma16_kernelI14__hip_bfloat16S0_LN4vllm18Fp8KVCacheDataTypeE0EhLi16ELi64ELi256ELb0ELi1EL8MFMAType0EEvPKT_PKT0_S9_ifPKiSB_SB_iPKfiiiPfSE_PS4_PT2_iSD_SD_,comdat
	.protected	_Z39paged_attention_ll4mi_QKV_mfma16_kernelI14__hip_bfloat16S0_LN4vllm18Fp8KVCacheDataTypeE0EhLi16ELi64ELi256ELb0ELi1EL8MFMAType0EEvPKT_PKT0_S9_ifPKiSB_SB_iPKfiiiPfSE_PS4_PT2_iSD_SD_ ; -- Begin function _Z39paged_attention_ll4mi_QKV_mfma16_kernelI14__hip_bfloat16S0_LN4vllm18Fp8KVCacheDataTypeE0EhLi16ELi64ELi256ELb0ELi1EL8MFMAType0EEvPKT_PKT0_S9_ifPKiSB_SB_iPKfiiiPfSE_PS4_PT2_iSD_SD_
	.globl	_Z39paged_attention_ll4mi_QKV_mfma16_kernelI14__hip_bfloat16S0_LN4vllm18Fp8KVCacheDataTypeE0EhLi16ELi64ELi256ELb0ELi1EL8MFMAType0EEvPKT_PKT0_S9_ifPKiSB_SB_iPKfiiiPfSE_PS4_PT2_iSD_SD_
	.p2align	8
	.type	_Z39paged_attention_ll4mi_QKV_mfma16_kernelI14__hip_bfloat16S0_LN4vllm18Fp8KVCacheDataTypeE0EhLi16ELi64ELi256ELb0ELi1EL8MFMAType0EEvPKT_PKT0_S9_ifPKiSB_SB_iPKfiiiPfSE_PS4_PT2_iSD_SD_,@function
_Z39paged_attention_ll4mi_QKV_mfma16_kernelI14__hip_bfloat16S0_LN4vllm18Fp8KVCacheDataTypeE0EhLi16ELi64ELi256ELb0ELi1EL8MFMAType0EEvPKT_PKT0_S9_ifPKiSB_SB_iPKfiiiPfSE_PS4_PT2_iSD_SD_: ; @_Z39paged_attention_ll4mi_QKV_mfma16_kernelI14__hip_bfloat16S0_LN4vllm18Fp8KVCacheDataTypeE0EhLi16ELi64ELi256ELb0ELi1EL8MFMAType0EEvPKT_PKT0_S9_ifPKiSB_SB_iPKfiiiPfSE_PS4_PT2_iSD_SD_
; %bb.0:
	s_load_b64 s[4:5], s[0:1], 0x30
	s_mov_b32 s34, s13
	s_waitcnt lgkmcnt(0)
	s_cmp_lg_u64 s[4:5], 0
	s_cselect_b32 s6, -1, 0
	s_ashr_i32 s35, s13, 31
	s_cmp_eq_u64 s[4:5], 0
	s_cbranch_scc1 .LBB438_3
; %bb.1:
	s_lshl_b64 s[2:3], s[34:35], 2
	s_delay_alu instid0(SALU_CYCLE_1) | instskip(SKIP_4) | instid1(SALU_CYCLE_1)
	s_add_u32 s2, s4, s2
	s_addc_u32 s3, s5, s3
	s_load_b64 s[2:3], s[2:3], 0x0
	s_waitcnt lgkmcnt(0)
	s_sub_i32 s2, s3, s2
	s_cmp_eq_u32 s2, 1
	s_cselect_b32 s2, -1, 0
	s_delay_alu instid0(SALU_CYCLE_1)
	s_and_not1_b32 vcc_lo, exec_lo, s2
	s_cbranch_vccz .LBB438_4
.LBB438_2:
	s_endpgm
.LBB438_3:
.LBB438_4:
	s_load_b64 s[2:3], s[0:1], 0x28
	s_lshl_b64 s[8:9], s[34:35], 2
	s_waitcnt lgkmcnt(0)
	s_add_u32 s2, s2, s8
	s_addc_u32 s3, s3, s9
	s_lshl_b32 s60, s14, 8
	s_load_b32 s33, s[2:3], 0x0
	s_waitcnt lgkmcnt(0)
	s_cmp_ge_i32 s60, s33
	s_cbranch_scc1 .LBB438_2
; %bb.5:
	s_clause 0x1
	s_load_b128 s[56:59], s[0:1], 0x8
	s_load_b64 s[2:3], s[0:1], 0x20
	s_and_not1_b32 vcc_lo, exec_lo, s6
	s_mov_b64 s[6:7], s[34:35]
	s_cbranch_vccnz .LBB438_7
; %bb.6:
	s_add_u32 s4, s4, s8
	s_addc_u32 s5, s5, s9
	s_load_b32 s6, s[4:5], 0x0
.LBB438_7:
	s_load_b128 s[52:55], s[0:1], 0x48
	v_and_b32_e32 v137, 15, v0
	s_mov_b32 s12, exec_lo
                                        ; implicit-def: $sgpr4
                                        ; implicit-def: $sgpr16
                                        ; implicit-def: $sgpr24
                                        ; implicit-def: $sgpr36
	s_delay_alu instid0(VALU_DEP_1)
	v_cmpx_eq_u32_e32 0, v137
	s_cbranch_execz .LBB438_9
; %bb.8:
	s_load_b64 s[4:5], s[0:1], 0x0
	s_waitcnt lgkmcnt(0)
	s_mul_hi_i32 s7, s6, s52
	s_mul_i32 s6, s6, s52
	s_delay_alu instid0(SALU_CYCLE_1) | instskip(NEXT) | instid1(SALU_CYCLE_1)
	s_lshl_b64 s[6:7], s[6:7], 1
	s_add_u32 s6, s4, s6
	s_addc_u32 s7, s5, s7
	s_lshl_b32 s4, s15, 6
	s_delay_alu instid0(SALU_CYCLE_1) | instskip(NEXT) | instid1(SALU_CYCLE_1)
	s_ashr_i32 s5, s4, 31
	s_lshl_b64 s[4:5], s[4:5], 1
	s_delay_alu instid0(SALU_CYCLE_1)
	s_add_u32 s36, s6, s4
	s_addc_u32 s37, s7, s5
	s_clause 0x3
	s_load_b256 s[4:11], s[36:37], 0x0
	s_load_b256 s[16:23], s[36:37], 0x20
	;; [unrolled: 1-line block ×4, first 2 shown]
.LBB438_9:
	s_or_b32 exec_lo, exec_lo, s12
	v_and_b32_e32 v1, 0xef, v0
	s_add_i32 s13, s33, 15
	s_load_b32 s12, s[0:1], 0x38
	s_waitcnt lgkmcnt(0)
	s_load_b32 s52, s[0:1], 0x1c
	s_ashr_i32 s35, s13, 31
	v_add_nc_u32_e32 v1, s60, v1
	s_lshr_b32 s35, s35, 28
	v_mov_b32_e32 v155, s23
	s_add_i32 s13, s13, s35
	v_dual_mov_b32 v154, s22 :: v_dual_lshlrev_b32 v65, 5, v137
	v_ashrrev_i32_e32 v2, 31, v1
	v_or_b32_e32 v3, 16, v1
	s_ashr_i32 s35, s13, 4
	v_cmp_gt_i32_e32 vcc_lo, s33, v1
	s_add_i32 s35, s35, -1
	v_lshrrev_b32_e32 v2, 28, v2
	v_mov_b32_e32 v153, s21
	v_mov_b32_e32 v151, s19
	v_mov_b32_e32 v149, s17
	s_delay_alu instid0(VALU_DEP_4)
	v_dual_mov_b32 v163, s31 :: v_dual_add_nc_u32 v4, v1, v2
	s_mul_i32 s12, s34, s12
	v_mov_b32_e32 v162, s30
	s_ashr_i32 s13, s12, 31
	v_mov_b32_e32 v161, s29
	v_ashrrev_i32_e32 v4, 4, v4
	v_add_nc_u32_e32 v2, v3, v2
	s_lshl_b64 s[12:13], s[12:13], 2
	v_mov_b32_e32 v160, s28
	s_add_u32 s61, s2, s12
	v_cndmask_b32_e32 v1, s35, v4, vcc_lo
	v_ashrrev_i32_e32 v2, 4, v2
	v_cmp_gt_i32_e32 vcc_lo, s33, v3
	s_addc_u32 s62, s3, s13
	s_mul_i32 s2, s15, s54
	v_mov_b32_e32 v159, s27
	s_ashr_i32 s3, s2, 31
	v_cndmask_b32_e32 v3, s35, v2, vcc_lo
	v_ashrrev_i32_e32 v2, 31, v1
	s_lshl_b64 s[2:3], s[2:3], 1
	v_mov_b32_e32 v158, s26
	s_add_u32 s56, s56, s2
	v_ashrrev_i32_e32 v4, 31, v3
	v_lshlrev_b64 v[1:2], 2, v[1:2]
	s_addc_u32 s57, s57, s3
	s_lshl_b32 s12, s14, 4
	v_mov_b32_e32 v157, s25
	v_lshlrev_b64 v[3:4], 2, v[3:4]
	s_ashr_i32 s13, s12, 31
	v_add_co_u32 v1, vcc_lo, s61, v1
	v_add_co_ci_u32_e32 v2, vcc_lo, s62, v2, vcc_lo
	s_delay_alu instid0(VALU_DEP_3) | instskip(NEXT) | instid1(VALU_DEP_4)
	v_add_co_u32 v3, vcc_lo, s61, v3
	v_add_co_ci_u32_e32 v4, vcc_lo, s62, v4, vcc_lo
	s_clause 0x1
	global_load_b32 v5, v[1:2], off
	global_load_b32 v6, v[3:4], off
	s_lshl_b64 s[12:13], s[12:13], 2
	v_lshlrev_b32_e32 v3, 4, v0
	s_add_u32 s12, s61, s12
	s_addc_u32 s13, s62, s13
	s_or_b32 s44, s60, 16
	v_mov_b32_e32 v156, s24
	s_ashr_i32 s45, s44, 4
	s_cmp_lt_i32 s44, s33
	v_lshrrev_b32_e32 v139, 5, v0
	s_cselect_b32 s44, s45, s35
	v_mov_b32_e32 v152, s20
	s_ashr_i32 s45, s44, 31
	v_mov_b32_e32 v150, s18
	s_lshl_b64 s[44:45], s[44:45], 2
	v_mov_b32_e32 v148, s16
	s_add_u32 s44, s61, s44
	s_addc_u32 s45, s62, s45
	s_or_b32 s46, s60, 32
	v_lshl_or_b32 v65, v139, 9, v65
	s_ashr_i32 s47, s46, 4
	s_cmp_lt_i32 s46, s33
	s_cselect_b32 s46, s47, s35
	s_delay_alu instid0(SALU_CYCLE_1) | instskip(NEXT) | instid1(SALU_CYCLE_1)
	s_ashr_i32 s47, s46, 31
	s_lshl_b64 s[46:47], s[46:47], 2
	s_delay_alu instid0(SALU_CYCLE_1) | instskip(SKIP_2) | instid1(SALU_CYCLE_1)
	s_add_u32 s46, s61, s46
	s_addc_u32 s47, s62, s47
	s_or_b32 s48, s60, 48
	s_ashr_i32 s49, s48, 4
	s_cmp_lt_i32 s48, s33
	s_cselect_b32 s48, s49, s35
	s_delay_alu instid0(SALU_CYCLE_1) | instskip(NEXT) | instid1(SALU_CYCLE_1)
	s_ashr_i32 s49, s48, 31
	s_lshl_b64 s[48:49], s[48:49], 2
	s_delay_alu instid0(SALU_CYCLE_1) | instskip(SKIP_2) | instid1(SALU_CYCLE_1)
	s_add_u32 s48, s61, s48
	s_addc_u32 s49, s62, s49
	s_or_b32 s50, s60, 64
	;; [unrolled: 10-line block ×3, first 2 shown]
	s_ashr_i32 s55, s54, 4
	s_cmp_lt_i32 s54, s33
	s_cselect_b32 s54, s55, s35
	s_delay_alu instid0(SALU_CYCLE_1) | instskip(NEXT) | instid1(SALU_CYCLE_1)
	s_ashr_i32 s55, s54, 31
	s_lshl_b64 s[54:55], s[54:55], 2
	s_delay_alu instid0(SALU_CYCLE_1)
	s_add_u32 s54, s61, s54
	s_addc_u32 s55, s62, s55
	s_clause 0x5
	s_load_b32 s66, s[12:13], 0x0
	s_load_b32 s65, s[44:45], 0x0
	;; [unrolled: 1-line block ×6, first 2 shown]
	s_waitcnt vmcnt(1)
	v_mad_i64_i32 v[1:2], null, v5, s53, 0
	v_and_b32_e32 v5, 0xf0, v3
	s_waitcnt vmcnt(0)
	v_mad_i64_i32 v[3:4], null, v6, s53, 0
	s_delay_alu instid0(VALU_DEP_2) | instskip(NEXT) | instid1(VALU_DEP_4)
	v_add_co_u32 v5, s44, s56, v5
	v_lshlrev_b64 v[1:2], 1, v[1:2]
	v_add_co_ci_u32_e64 v6, null, s57, 0, s44
	s_delay_alu instid0(VALU_DEP_4) | instskip(SKIP_1) | instid1(VALU_DEP_3)
	v_lshlrev_b64 v[3:4], 1, v[3:4]
	s_or_b32 s44, s60, 0x60
	v_add_co_u32 v13, vcc_lo, v5, v1
	s_delay_alu instid0(VALU_DEP_3) | instskip(NEXT) | instid1(VALU_DEP_3)
	v_add_co_ci_u32_e32 v14, vcc_lo, v6, v2, vcc_lo
	v_add_co_u32 v57, vcc_lo, v5, v3
	s_delay_alu instid0(VALU_DEP_4)
	v_add_co_ci_u32_e32 v58, vcc_lo, v6, v4, vcc_lo
	s_clause 0xf
	global_load_b128 v[41:44], v[13:14], off
	global_load_b128 v[45:48], v[13:14], off offset:256
	global_load_b128 v[49:52], v[57:58], off
	global_load_b128 v[53:56], v[57:58], off offset:256
	global_load_b128 v[33:36], v[13:14], off offset:512
	;; [unrolled: 1-line block ×13, first 2 shown]
	s_ashr_i32 s45, s44, 4
	s_cmp_lt_i32 s44, s33
	v_mov_b32_e32 v64, s11
	v_mov_b32_e32 v58, s5
	s_cselect_b32 s44, s45, s35
	v_mov_b32_e32 v63, s10
	s_ashr_i32 s45, s44, 31
	v_mov_b32_e32 v62, s9
	s_lshl_b64 s[44:45], s[44:45], 2
	v_mov_b32_e32 v61, s8
	s_add_u32 s54, s61, s44
	s_addc_u32 s55, s62, s45
	s_or_b32 s44, s60, 0x70
	v_mov_b32_e32 v60, s7
	s_ashr_i32 s45, s44, 4
	s_cmp_lt_i32 s44, s33
	v_mov_b32_e32 v59, s6
	s_cselect_b32 s44, s45, s35
	v_mov_b32_e32 v57, s4
	s_ashr_i32 s45, s44, 31
	s_load_b32 s29, s[54:55], 0x0
	s_lshl_b64 s[44:45], s[44:45], 2
	s_waitcnt lgkmcnt(0)
	s_mul_hi_i32 s7, s65, s53
	s_add_u32 s56, s61, s44
	s_addc_u32 s57, s62, s45
	s_or_b32 s44, s60, 0x80
	s_load_b32 s30, s[56:57], 0x0
	s_ashr_i32 s45, s44, 4
	s_cmp_lt_i32 s44, s33
	s_mov_b32 s44, 0
	s_cselect_b32 s46, s45, s35
	s_mov_b32 s45, s44
	s_ashr_i32 s47, s46, 31
	s_mov_b32 s48, s44
	s_lshl_b64 s[4:5], s[46:47], 2
	s_mov_b32 s46, s44
	s_add_u32 s16, s61, s4
	s_addc_u32 s17, s62, s5
	s_or_b32 s4, s60, 0x90
	s_load_b32 s31, s[16:17], 0x0
	s_ashr_i32 s5, s4, 4
	s_cmp_lt_i32 s4, s33
	s_mov_b32 s47, s44
	s_cselect_b32 s4, s5, s35
	s_mov_b32 s49, s44
	s_ashr_i32 s5, s4, 31
	s_mov_b32 s50, s44
	s_lshl_b64 s[4:5], s[4:5], 2
	s_mov_b32 s51, s44
	s_add_u32 s18, s61, s4
	s_addc_u32 s19, s62, s5
	s_or_b32 s4, s60, 0xa0
	s_load_b32 s28, s[18:19], 0x0
	s_ashr_i32 s5, s4, 4
	s_cmp_lt_i32 s4, s33
	v_dual_mov_b32 v171, s43 :: v_dual_mov_b32 v136, s51
	s_cselect_b32 s4, s5, s35
	v_mov_b32_e32 v170, s42
	s_ashr_i32 s5, s4, 31
	v_dual_mov_b32 v169, s41 :: v_dual_mov_b32 v134, s49
	s_lshl_b64 s[4:5], s[4:5], 2
	v_mov_b32_e32 v168, s40
	s_add_u32 s20, s61, s4
	s_addc_u32 s21, s62, s5
	s_or_b32 s4, s60, 0xb0
	v_dual_mov_b32 v167, s39 :: v_dual_mov_b32 v132, s47
	s_ashr_i32 s6, s4, 4
	s_cmp_lt_i32 s4, s33
	v_mov_b32_e32 v166, s38
	s_cselect_b32 s8, s6, s35
	v_dual_mov_b32 v165, s37 :: v_dual_mov_b32 v130, s45
	s_ashr_i32 s9, s8, 31
	v_mov_b32_e32 v164, s36
	s_lshl_b64 s[8:9], s[8:9], 2
	s_mul_hi_i32 s5, s66, s53
	s_add_u32 s22, s61, s8
	s_addc_u32 s23, s62, s9
	s_or_b32 s8, s60, 0xc0
	s_mul_i32 s4, s66, s53
	s_ashr_i32 s10, s8, 4
	s_cmp_lt_i32 s8, s33
	s_mul_i32 s6, s65, s53
	s_cselect_b32 s24, s10, s35
	s_mul_hi_i32 s9, s64, s53
	s_ashr_i32 s25, s24, 31
	s_mul_i32 s8, s64, s53
	s_lshl_b64 s[24:25], s[24:25], 2
	s_mul_hi_i32 s11, s13, s53
	s_add_u32 s24, s61, s24
	s_addc_u32 s25, s62, s25
	s_or_b32 s26, s60, 0xd0
	s_mul_i32 s10, s13, s53
	s_ashr_i32 s27, s26, 4
	s_cmp_lt_i32 s26, s33
	s_mul_hi_i32 s13, s12, s53
	s_cselect_b32 s26, s27, s35
	s_mul_i32 s12, s12, s53
	s_ashr_i32 s27, s26, 31
	s_mul_hi_i32 s17, s63, s53
	s_lshl_b64 s[18:19], s[26:27], 2
	s_load_b32 s27, s[20:21], 0x0
	s_add_u32 s18, s61, s18
	s_addc_u32 s19, s62, s19
	s_or_b32 s36, s60, 0xe0
	s_waitcnt lgkmcnt(0)
	s_mul_hi_i32 s21, s30, s53
	s_ashr_i32 s37, s36, 4
	s_cmp_lt_i32 s36, s33
	s_mul_i32 s20, s30, s53
	s_cselect_b32 s30, s37, s35
	s_clause 0x2
	s_load_b32 s26, s[22:23], 0x0
	s_load_b32 s25, s[24:25], 0x0
	;; [unrolled: 1-line block ×3, first 2 shown]
	s_mul_hi_i32 s23, s31, s53
	s_mul_i32 s22, s31, s53
	s_ashr_i32 s31, s30, 31
	s_mul_i32 s16, s63, s53
	s_lshl_b64 s[30:31], s[30:31], 2
	s_mul_hi_i32 s19, s29, s53
	s_add_u32 s30, s61, s30
	s_addc_u32 s31, s62, s31
	s_or_b32 s38, s60, 0xf0
	s_mul_i32 s18, s29, s53
	s_ashr_i32 s39, s38, 4
	s_cmp_lt_i32 s38, s33
	s_mul_hi_i32 s29, s28, s53
	s_cselect_b32 s38, s39, s35
	s_mul_i32 s28, s28, s53
	s_ashr_i32 s39, s38, 31
	s_mul_hi_i32 s37, s27, s53
	s_lshl_b64 s[38:39], s[38:39], 2
	s_mul_i32 s36, s27, s53
	s_add_u32 s38, s61, s38
	s_addc_u32 s39, s62, s39
	s_add_u32 s35, s58, s2
	s_addc_u32 s42, s59, s3
	v_add_co_u32 v138, s35, s35, v65
	s_delay_alu instid0(VALU_DEP_1) | instskip(SKIP_2) | instid1(VALU_DEP_2)
	v_add_co_ci_u32_e64 v192, null, s42, 0, s35
	s_lshl_b64 s[2:3], s[4:5], 1
	s_lshl_b64 s[4:5], s[6:7], 1
	v_add_co_u32 v65, vcc_lo, v138, s2
	s_delay_alu instid0(VALU_DEP_2)
	v_add_co_ci_u32_e32 v66, vcc_lo, s3, v192, vcc_lo
	v_add_co_u32 v67, vcc_lo, v138, s4
	s_lshl_b64 s[6:7], s[8:9], 1
	v_add_co_ci_u32_e32 v68, vcc_lo, s5, v192, vcc_lo
	v_add_co_u32 v69, vcc_lo, v138, s6
	s_lshl_b64 s[8:9], s[10:11], 1
	;; [unrolled: 3-line block ×6, first 2 shown]
	s_clause 0x1
	s_load_b32 s30, s[30:31], 0x0
	s_load_b32 s31, s[38:39], 0x0
	v_add_co_ci_u32_e32 v78, vcc_lo, s17, v192, vcc_lo
	v_add_co_u32 v180, vcc_lo, v138, s18
	s_lshl_b64 s[20:21], s[22:23], 1
	v_add_co_ci_u32_e32 v181, vcc_lo, s19, v192, vcc_lo
	v_add_co_u32 v182, vcc_lo, v138, s20
	s_lshl_b64 s[22:23], s[28:29], 1
	v_add_co_ci_u32_e32 v183, vcc_lo, s21, v192, vcc_lo
	v_add_co_u32 v184, vcc_lo, v138, s22
	s_lshl_b64 s[28:29], s[36:37], 1
	v_mov_b32_e32 v135, s50
	v_mov_b32_e32 v133, s48
	;; [unrolled: 1-line block ×4, first 2 shown]
	s_waitcnt lgkmcnt(0)
	s_mul_hi_i32 s27, s26, s53
	s_mul_i32 s26, s26, s53
	v_add_co_ci_u32_e32 v185, vcc_lo, s23, v192, vcc_lo
	v_add_co_u32 v186, vcc_lo, v138, s28
	s_lshl_b64 s[26:27], s[26:27], 1
	s_mul_hi_i32 s41, s25, s53
	s_mul_i32 s40, s25, s53
	v_add_co_ci_u32_e32 v187, vcc_lo, s29, v192, vcc_lo
	v_add_co_u32 v188, vcc_lo, v138, s26
	s_lshl_b64 s[36:37], s[40:41], 1
	;; [unrolled: 5-line block ×3, first 2 shown]
	v_add_co_ci_u32_e32 v191, vcc_lo, s37, v192, vcc_lo
	s_mul_hi_i32 s3, s30, s53
	s_mul_i32 s2, s30, s53
	s_mul_hi_i32 s5, s31, s53
	s_lshl_b64 s[2:3], s[2:3], 1
	s_mul_i32 s4, s31, s53
	s_clause 0xf
	global_load_b128 v[121:124], v[65:66], off
	global_load_b128 v[125:128], v[65:66], off offset:16
	global_load_b128 v[113:116], v[67:68], off
	global_load_b128 v[117:120], v[67:68], off offset:16
	;; [unrolled: 2-line block ×8, first 2 shown]
	s_waitcnt vmcnt(30)
	v_wmma_f32_16x16x16_bf16 v[172:179], v[41:48], v[57:64], v[129:136]
	s_waitcnt vmcnt(28)
	v_wmma_f32_16x16x16_bf16 v[129:136], v[49:56], v[57:64], v[129:136]
	s_clause 0x5
	global_load_b128 v[57:60], v[182:183], off
	global_load_b128 v[61:64], v[182:183], off offset:16
	global_load_b128 v[49:52], v[184:185], off
	global_load_b128 v[53:56], v[184:185], off offset:16
	;; [unrolled: 2-line block ×3, first 2 shown]
	s_waitcnt vmcnt(32)
	v_wmma_f32_16x16x16_bf16 v[172:179], v[33:40], v[148:155], v[172:179]
	s_waitcnt vmcnt(30)
	v_wmma_f32_16x16x16_bf16 v[129:136], v[25:32], v[148:155], v[129:136]
	v_add_co_u32 v29, vcc_lo, v138, s24
	v_add_co_ci_u32_e32 v30, vcc_lo, s25, v192, vcc_lo
	v_add_co_u32 v37, vcc_lo, v138, s2
	v_add_co_ci_u32_e32 v38, vcc_lo, s3, v192, vcc_lo
	s_lshl_b64 s[2:3], s[4:5], 1
	s_waitcnt vmcnt(28)
	v_wmma_f32_16x16x16_bf16 v[172:179], v[17:24], v[156:163], v[172:179]
	v_add_co_u32 v148, vcc_lo, v138, s2
	v_add_co_ci_u32_e32 v149, vcc_lo, s3, v192, vcc_lo
	s_clause 0x1
	global_load_b128 v[17:20], v[188:189], off
	global_load_b128 v[21:24], v[188:189], off offset:16
	s_waitcnt vmcnt(28)
	v_wmma_f32_16x16x16_bf16 v[129:136], v[1:8], v[156:163], v[129:136]
	s_clause 0x3
	global_load_b128 v[1:4], v[190:191], off
	global_load_b128 v[5:8], v[190:191], off offset:16
	global_load_b128 v[25:28], v[29:30], off
	global_load_b128 v[29:32], v[29:30], off offset:16
	s_waitcnt vmcnt(30)
	v_wmma_f32_16x16x16_bf16 v[172:179], v[9:16], v[164:171], v[172:179]
	s_clause 0x3
	global_load_b128 v[33:36], v[37:38], off
	global_load_b128 v[37:40], v[37:38], off offset:16
	global_load_b128 v[9:12], v[148:149], off
	global_load_b128 v[13:16], v[148:149], off offset:16
	v_and_b32_e32 v148, 0xe0, v0
	s_waitcnt vmcnt(32)
	v_wmma_f32_16x16x16_bf16 v[129:136], v[140:147], v[164:171], v[129:136]
	v_mbcnt_lo_u32_b32 v140, -1, 0
	v_bfe_u32 v138, v0, 4, 1
	v_mul_f32_e32 v154, s52, v172
	v_add_nc_u32_e32 v141, s60, v148
	v_mul_f32_e32 v155, s52, v173
	v_xor_b32_e32 v142, 16, v140
	v_mul_f32_e32 v153, s52, v175
	s_waitcnt vmcnt(0)
	v_or_b32_e32 v141, v141, v138
	s_barrier
	v_cmp_gt_i32_e32 vcc_lo, 32, v142
	buffer_gl0_inv
	v_or_b32_e32 v143, 4, v141
	v_or_b32_e32 v144, 6, v141
	v_cndmask_b32_e32 v140, v140, v142, vcc_lo
	v_or_b32_e32 v142, 2, v141
	v_cmp_gt_i32_e64 s2, s33, v141
	v_cmp_gt_i32_e64 s3, s33, v143
	v_cmp_gt_i32_e64 s4, s33, v144
	v_or_b32_e32 v145, 8, v141
	v_cmp_gt_i32_e32 vcc_lo, s33, v142
	v_mul_f32_e32 v142, s52, v174
	v_cndmask_b32_e64 v154, 0xff7fffff, v154, s2
	v_or_b32_e32 v146, 10, v141
	v_cndmask_b32_e64 v143, 0xff7fffff, v153, s4
	v_cndmask_b32_e32 v155, 0xff7fffff, v155, vcc_lo
	v_cndmask_b32_e64 v142, 0xff7fffff, v142, s3
	v_or_b32_e32 v147, 12, v141
	v_or_b32_e32 v148, 14, v141
	;; [unrolled: 1-line block ×3, first 2 shown]
	v_max3_f32 v144, v154, 0xff7fffff, v155
	v_cmp_gt_i32_e64 s5, s33, v146
	v_cmp_gt_i32_e64 s6, s33, v145
	v_dual_mul_f32 v146, s52, v178 :: v_dual_mul_f32 v145, s52, v179
	s_delay_alu instid0(VALU_DEP_4)
	v_max3_f32 v142, v144, v142, v143
	v_dual_mul_f32 v143, s52, v177 :: v_dual_mul_f32 v144, s52, v176
	v_cmp_gt_i32_e64 s7, s33, v147
	v_cmp_gt_i32_e64 s8, s33, v148
	;; [unrolled: 1-line block ×3, first 2 shown]
	v_mul_f32_e32 v150, s52, v131
	v_cndmask_b32_e64 v144, 0xff7fffff, v144, s6
	v_cndmask_b32_e64 v143, 0xff7fffff, v143, s5
	v_or_b32_e32 v149, 16, v141
	v_cndmask_b32_e64 v146, 0xff7fffff, v146, s7
	v_mul_f32_e32 v148, s52, v133
	v_cndmask_b32_e64 v145, 0xff7fffff, v145, s8
	v_max3_f32 v142, v142, v144, v143
	v_or_b32_e32 v151, 20, v141
	v_or_b32_e32 v152, 22, v141
	v_mul_f32_e32 v143, s52, v136
	v_cmp_gt_i32_e64 s10, s33, v149
	v_max3_f32 v142, v142, v146, v145
	v_dual_mul_f32 v146, s52, v129 :: v_dual_mul_f32 v145, s52, v130
	v_or_b32_e32 v153, 24, v141
	v_or_b32_e32 v154, 26, v141
	v_mul_f32_e32 v149, s52, v132
	s_delay_alu instid0(VALU_DEP_4)
	v_cndmask_b32_e64 v146, 0xff7fffff, v146, s10
	v_cndmask_b32_e64 v145, 0xff7fffff, v145, s9
	v_cmp_gt_i32_e64 s11, s33, v151
	v_cmp_gt_i32_e64 s12, s33, v152
	v_or_b32_e32 v155, 28, v141
	v_or_b32_e32 v141, 30, v141
	v_mul_f32_e32 v147, s52, v134
	v_cndmask_b32_e64 v150, 0xff7fffff, v150, s11
	v_cndmask_b32_e64 v149, 0xff7fffff, v149, s12
	v_max3_f32 v142, v142, v146, v145
	v_cmp_gt_i32_e64 s13, s33, v153
	v_cmp_gt_i32_e64 s16, s33, v154
	v_mul_f32_e32 v144, s52, v135
	v_cmp_gt_i32_e64 s17, s33, v155
	v_max3_f32 v142, v142, v150, v149
	v_cndmask_b32_e64 v145, 0xff7fffff, v148, s13
	v_cndmask_b32_e64 v146, 0xff7fffff, v147, s16
	v_cmp_gt_i32_e64 s18, s33, v141
	v_cndmask_b32_e64 v144, 0xff7fffff, v144, s17
	v_lshlrev_b32_e32 v151, 2, v140
	s_delay_alu instid0(VALU_DEP_4) | instskip(NEXT) | instid1(VALU_DEP_4)
	v_max3_f32 v142, v142, v145, v146
	v_cndmask_b32_e64 v141, 0xff7fffff, v143, s18
	s_delay_alu instid0(VALU_DEP_1) | instskip(SKIP_3) | instid1(VALU_DEP_1)
	v_max3_f32 v140, v142, v144, v141
	ds_bpermute_b32 v141, v151, v140
	s_waitcnt lgkmcnt(0)
	v_max_f32_e32 v141, v141, v141
	v_max_f32_e32 v142, v140, v141
	s_delay_alu instid0(VALU_DEP_1) | instskip(SKIP_4) | instid1(VALU_DEP_4)
	v_fma_f32 v140, s52, v172, -v142
	v_fma_f32 v143, s52, v174, -v142
	;; [unrolled: 1-line block ×5, first 2 shown]
	v_dual_mul_f32 v140, 0x3fb8aa3b, v140 :: v_dual_mul_f32 v143, 0x3fb8aa3b, v143
	s_delay_alu instid0(VALU_DEP_4) | instskip(SKIP_2) | instid1(VALU_DEP_4)
	v_mul_f32_e32 v130, 0x3fb8aa3b, v130
	v_fma_f32 v148, s52, v178, -v142
	v_mul_f32_e32 v141, 0x3fb8aa3b, v141
	v_exp_f32_e32 v140, v140
	v_exp_f32_e32 v146, v143
	v_mul_f32_e32 v145, 0x3fb8aa3b, v145
	v_fma_f32 v144, s52, v175, -v142
	v_mul_f32_e32 v148, 0x3fb8aa3b, v148
	v_exp_f32_e32 v141, v141
	v_fma_f32 v134, s52, v134, -v142
	v_exp_f32_e32 v149, v145
	v_mul_f32_e32 v144, 0x3fb8aa3b, v144
	v_exp_f32_e32 v150, v148
	v_cndmask_b32_e64 v143, 0, v140, s2
	v_fma_f32 v140, s52, v177, -v142
	v_cndmask_b32_e64 v145, 0, v146, s3
	v_exp_f32_e32 v147, v144
	v_fma_f32 v146, s52, v179, -v142
	v_cndmask_b32_e32 v144, 0, v141, vcc_lo
	v_mul_f32_e32 v140, 0x3fb8aa3b, v140
	v_cndmask_b32_e64 v148, 0, v149, s6
	v_fma_f32 v132, s52, v132, -v142
	v_mul_f32_e32 v134, 0x3fb8aa3b, v134
	v_fma_f32 v129, s52, v129, -v142
	v_exp_f32_e32 v140, v140
	v_mul_f32_e32 v146, 0x3fb8aa3b, v146
	v_cndmask_b32_e64 v147, 0, v147, s4
	v_mul_f32_e32 v132, 0x3fb8aa3b, v132
	v_fma_f32 v136, s52, v136, -v142
	v_mul_f32_e32 v129, 0x3fb8aa3b, v129
	v_exp_f32_e32 v152, v146
	v_fma_f32 v131, s52, v131, -v142
	v_cndmask_b32_e64 v146, 0, v150, s7
	v_exp_f32_e32 v130, v130
	v_cndmask_b32_e64 v149, 0, v140, s5
	v_add_f32_e32 v141, 0, v143
	v_exp_f32_e32 v129, v129
	v_mul_f32_e32 v131, 0x3fb8aa3b, v131
	v_fma_f32 v133, s52, v133, -v142
	s_mov_b32 s3, exec_lo
	v_add_f32_e32 v141, v141, v144
	v_cndmask_b32_e64 v150, 0, v152, s8
	s_delay_alu instid0(VALU_DEP_3) | instskip(NEXT) | instid1(VALU_DEP_3)
	v_mul_f32_e32 v133, 0x3fb8aa3b, v133
	v_add_f32_e32 v141, v141, v145
	s_delay_alu instid0(VALU_DEP_1) | instskip(NEXT) | instid1(VALU_DEP_1)
	v_add_f32_e32 v141, v141, v147
	v_add_f32_e32 v140, v141, v148
	v_exp_f32_e32 v141, v131
	v_cndmask_b32_e64 v131, 0, v129, s10
	s_delay_alu instid0(VALU_DEP_2) | instskip(NEXT) | instid1(VALU_DEP_1)
	v_add_f32_e32 v140, v140, v149
	v_add_f32_e32 v140, v140, v146
	s_delay_alu instid0(VALU_DEP_1)
	v_add_f32_e32 v129, v140, v150
	v_exp_f32_e32 v140, v132
	v_cndmask_b32_e64 v132, 0, v130, s9
	v_fma_f32 v130, s52, v135, -v142
	v_exp_f32_e32 v135, v133
	v_add_f32_e32 v129, v129, v131
	v_cndmask_b32_e64 v133, 0, v141, s11
	v_exp_f32_e32 v141, v134
	s_delay_alu instid0(VALU_DEP_2) | instskip(NEXT) | instid1(TRANS32_DEP_3)
	v_dual_mul_f32 v130, 0x3fb8aa3b, v130 :: v_dual_add_f32 v129, v129, v132
	v_cndmask_b32_e64 v134, 0, v140, s12
	v_mul_f32_e32 v140, 0x3fb8aa3b, v136
	s_delay_alu instid0(VALU_DEP_3) | instskip(NEXT) | instid1(TRANS32_DEP_3)
	v_exp_f32_e32 v130, v130
	v_cndmask_b32_e64 v135, 0, v135, s13
	v_add_f32_e32 v129, v129, v133
	s_delay_alu instid0(TRANS32_DEP_2) | instskip(SKIP_1) | instid1(VALU_DEP_2)
	v_cndmask_b32_e64 v136, 0, v141, s16
	v_exp_f32_e32 v141, v140
	v_add_f32_e32 v129, v129, v134
	s_waitcnt_depctr 0xfff
	v_cndmask_b32_e64 v140, 0, v130, s17
	v_add_f32_e32 v129, v129, v135
	v_cndmask_b32_e64 v141, 0, v141, s18
	s_delay_alu instid0(VALU_DEP_2) | instskip(NEXT) | instid1(VALU_DEP_1)
	v_add_f32_e32 v129, v129, v136
	v_add_f32_e32 v129, v129, v140
	s_delay_alu instid0(VALU_DEP_1) | instskip(SKIP_2) | instid1(VALU_DEP_1)
	v_add_f32_e32 v129, v129, v141
	ds_bpermute_b32 v130, v151, v129
	v_and_b32_e32 v151, 31, v0
	v_cmp_lt_u32_e64 s2, 15, v151
	v_cmpx_gt_u32_e32 16, v151
	s_cbranch_execz .LBB438_11
; %bb.10:
	v_mul_u32_u24_e32 v151, 0x44, v139
	s_delay_alu instid0(VALU_DEP_1) | instskip(SKIP_1) | instid1(VALU_DEP_1)
	v_lshl_add_u32 v151, v137, 2, v151
	s_waitcnt lgkmcnt(0)
	v_dual_add_f32 v129, v129, v130 :: v_dual_add_nc_u32 v130, 0x4000, v151
	ds_store_2addr_b32 v130, v142, v129 offset1:136
.LBB438_11:
	s_or_b32 exec_lo, exec_lo, s3
	v_lshlrev_b32_e32 v129, 2, v137
	s_waitcnt lgkmcnt(0)
	s_barrier
	buffer_gl0_inv
	v_cmp_eq_u32_e64 s3, 1, v139
	v_add_nc_u32_e32 v142, 0x4000, v129
	ds_load_2addr_b32 v[151:152], v142 offset1:17
	ds_load_2addr_b32 v[153:154], v142 offset0:34 offset1:51
	ds_load_2addr_b32 v[155:156], v142 offset0:68 offset1:85
	;; [unrolled: 1-line block ×4, first 2 shown]
	s_waitcnt lgkmcnt(4)
	v_max3_f32 v129, v151, 0xff7fffff, v152
	s_waitcnt lgkmcnt(3)
	s_delay_alu instid0(VALU_DEP_1) | instskip(SKIP_1) | instid1(VALU_DEP_1)
	v_max3_f32 v129, v129, v153, v154
	s_waitcnt lgkmcnt(2)
	v_max3_f32 v129, v129, v155, v156
	s_waitcnt lgkmcnt(1)
	s_delay_alu instid0(VALU_DEP_1) | instskip(NEXT) | instid1(VALU_DEP_1)
	v_max3_f32 v129, v129, v157, v158
	v_sub_f32_e32 v155, v155, v129
	s_delay_alu instid0(VALU_DEP_1) | instskip(NEXT) | instid1(VALU_DEP_1)
	v_dual_sub_f32 v130, v151, v129 :: v_dual_mul_f32 v165, 0x3fb8aa3b, v155
	v_mul_f32_e32 v130, 0x3fb8aa3b, v130
	s_delay_alu instid0(VALU_DEP_1)
	v_exp_f32_e32 v162, v130
	v_sub_f32_e32 v130, v154, v129
	v_sub_f32_e32 v161, v152, v129
	ds_load_2addr_b32 v[151:152], v142 offset0:170 offset1:187
	v_dual_mul_f32 v164, 0x3fb8aa3b, v130 :: v_dual_mul_f32 v161, 0x3fb8aa3b, v161
	s_waitcnt lgkmcnt(1)
	v_fma_f32 v130, v162, v159, 0
	s_delay_alu instid0(VALU_DEP_2) | instskip(NEXT) | instid1(VALU_DEP_2)
	v_exp_f32_e32 v164, v164
	v_exp_f32_e32 v161, v161
	s_waitcnt_depctr 0xfff
	v_fmac_f32_e32 v130, v161, v160
	v_sub_f32_e32 v153, v153, v129
	s_delay_alu instid0(VALU_DEP_1)
	v_mul_f32_e32 v163, 0x3fb8aa3b, v153
	ds_load_2addr_b32 v[153:154], v142 offset0:204 offset1:221
	v_sub_f32_e32 v159, v156, v129
	ds_load_2addr_b32 v[155:156], v142 offset0:238 offset1:255
	s_waitcnt lgkmcnt(0)
	v_exp_f32_e32 v163, v163
	s_barrier
	buffer_gl0_inv
	v_dual_fmac_f32 v130, v163, v151 :: v_dual_sub_f32 v151, v158, v129
	v_dual_sub_f32 v142, v157, v129 :: v_dual_mul_f32 v157, 0x3fb8aa3b, v159
	v_exp_f32_e32 v159, v165
	s_delay_alu instid0(VALU_DEP_2) | instskip(NEXT) | instid1(VALU_DEP_2)
	v_dual_fmac_f32 v130, v164, v152 :: v_dual_mul_f32 v151, 0x3fb8aa3b, v151
	v_mul_f32_e32 v142, 0x3fb8aa3b, v142
	s_delay_alu instid0(VALU_DEP_3) | instskip(NEXT) | instid1(VALU_DEP_2)
	v_exp_f32_e32 v157, v157
	v_exp_f32_e32 v151, v151
	s_delay_alu instid0(VALU_DEP_1)
	v_exp_f32_e32 v142, v142
	v_fmac_f32_e32 v130, v159, v153
	s_delay_alu instid0(TRANS32_DEP_3) | instid1(VALU_DEP_1)
	v_fmac_f32_e32 v130, v157, v154
	s_waitcnt_depctr 0xfff
	v_fmac_f32_e32 v130, v142, v155
	s_delay_alu instid0(VALU_DEP_1) | instskip(NEXT) | instid1(VALU_DEP_1)
	v_fmac_f32_e32 v130, v151, v156
	v_add_f32_e32 v152, 0x358637bd, v130
	s_delay_alu instid0(VALU_DEP_1) | instskip(SKIP_1) | instid1(VALU_DEP_2)
	v_div_scale_f32 v153, null, v152, v152, 1.0
	v_div_scale_f32 v156, vcc_lo, 1.0, v152, 1.0
	v_rcp_f32_e32 v154, v153
	s_waitcnt_depctr 0xfff
	v_fma_f32 v155, -v153, v154, 1.0
	s_delay_alu instid0(VALU_DEP_1) | instskip(SKIP_2) | instid1(VALU_DEP_3)
	v_fmac_f32_e32 v154, v155, v154
	v_cndmask_b32_e64 v155, v162, v161, s3
	v_cmp_eq_u32_e64 s3, 2, v139
	v_mul_f32_e32 v158, v156, v154
	s_delay_alu instid0(VALU_DEP_2) | instskip(SKIP_1) | instid1(VALU_DEP_3)
	v_cndmask_b32_e64 v155, v155, v163, s3
	v_cmp_eq_u32_e64 s3, 3, v139
	v_fma_f32 v160, -v153, v158, v156
	s_delay_alu instid0(VALU_DEP_2) | instskip(SKIP_1) | instid1(VALU_DEP_3)
	v_cndmask_b32_e64 v155, v155, v164, s3
	v_cmp_eq_u32_e64 s3, 4, v139
	v_fmac_f32_e32 v158, v160, v154
	s_delay_alu instid0(VALU_DEP_2) | instskip(NEXT) | instid1(VALU_DEP_2)
	v_cndmask_b32_e64 v155, v155, v159, s3
	v_fma_f32 v153, -v153, v158, v156
	v_cmp_eq_u32_e64 s3, 5, v139
	s_delay_alu instid0(VALU_DEP_2) | instskip(NEXT) | instid1(VALU_DEP_2)
	v_div_fmas_f32 v153, v153, v154, v158
	v_cndmask_b32_e64 v155, v155, v157, s3
	v_cmp_eq_u32_e32 vcc_lo, 6, v139
	s_mov_b32 s3, exec_lo
	s_delay_alu instid0(VALU_DEP_3) | instskip(NEXT) | instid1(VALU_DEP_3)
	v_div_fixup_f32 v152, v153, v152, 1.0
	v_cndmask_b32_e32 v142, v155, v142, vcc_lo
	v_cmp_eq_u32_e32 vcc_lo, 7, v139
	s_delay_alu instid0(VALU_DEP_2) | instskip(NEXT) | instid1(VALU_DEP_1)
	v_cndmask_b32_e32 v142, v142, v151, vcc_lo
	v_mul_f32_e32 v142, v142, v152
	s_delay_alu instid0(VALU_DEP_1)
	v_mul_f32_e32 v152, v142, v143
	v_mul_f32_e32 v143, v142, v150
	;; [unrolled: 1-line block ×5, first 2 shown]
	v_and_b32_e32 v153, 0x7f800000, v152
	v_mul_f32_e32 v151, v142, v147
	v_mul_f32_e32 v147, v142, v144
	;; [unrolled: 1-line block ×3, first 2 shown]
                                        ; implicit-def: $vgpr144
	s_delay_alu instid0(VALU_DEP_4)
	v_cmpx_ne_u32_e32 0x7f800000, v153
	s_xor_b32 s3, exec_lo, s3
; %bb.12:
	v_bfe_u32 v144, v152, 16, 1
	s_delay_alu instid0(VALU_DEP_1)
	v_add3_u32 v144, v152, v144, 0x7fff
                                        ; implicit-def: $vgpr152
; %bb.13:
	s_and_not1_saveexec_b32 s3, s3
; %bb.14:
	v_and_b32_e32 v144, 0xffff, v152
	v_or_b32_e32 v145, 0x10000, v152
	s_delay_alu instid0(VALU_DEP_2) | instskip(NEXT) | instid1(VALU_DEP_2)
	v_cmp_eq_u32_e32 vcc_lo, 0, v144
	v_cndmask_b32_e32 v144, v145, v152, vcc_lo
; %bb.15:
	s_or_b32 exec_lo, exec_lo, s3
	v_and_b32_e32 v145, 0x7f800000, v147
	s_delay_alu instid0(VALU_DEP_1) | instskip(SKIP_1) | instid1(SALU_CYCLE_1)
	v_cmp_ne_u32_e32 vcc_lo, 0x7f800000, v145
                                        ; implicit-def: $vgpr145
	s_and_saveexec_b32 s3, vcc_lo
	s_xor_b32 s3, exec_lo, s3
; %bb.16:
	v_bfe_u32 v145, v147, 16, 1
	s_delay_alu instid0(VALU_DEP_1)
	v_add3_u32 v145, v147, v145, 0x7fff
                                        ; implicit-def: $vgpr147
; %bb.17:
	s_and_not1_saveexec_b32 s3, s3
; %bb.18:
	v_and_b32_e32 v145, 0xffff, v147
	v_or_b32_e32 v152, 0x10000, v147
	s_delay_alu instid0(VALU_DEP_2) | instskip(NEXT) | instid1(VALU_DEP_2)
	v_cmp_eq_u32_e32 vcc_lo, 0, v145
	v_cndmask_b32_e32 v145, v152, v147, vcc_lo
; %bb.19:
	s_or_b32 exec_lo, exec_lo, s3
	v_and_b32_e32 v147, 0x7f800000, v148
	s_delay_alu instid0(VALU_DEP_1) | instskip(SKIP_1) | instid1(SALU_CYCLE_1)
	v_cmp_ne_u32_e32 vcc_lo, 0x7f800000, v147
                                        ; implicit-def: $vgpr147
	s_and_saveexec_b32 s3, vcc_lo
	s_xor_b32 s3, exec_lo, s3
; %bb.20:
	v_bfe_u32 v147, v148, 16, 1
	s_delay_alu instid0(VALU_DEP_1)
	v_add3_u32 v147, v148, v147, 0x7fff
                                        ; implicit-def: $vgpr148
; %bb.21:
	s_and_not1_saveexec_b32 s3, s3
; %bb.22:
	v_and_b32_e32 v147, 0xffff, v148
	v_or_b32_e32 v152, 0x10000, v148
	s_delay_alu instid0(VALU_DEP_2) | instskip(NEXT) | instid1(VALU_DEP_2)
	v_cmp_eq_u32_e32 vcc_lo, 0, v147
	v_cndmask_b32_e32 v147, v152, v148, vcc_lo
; %bb.23:
	s_or_b32 exec_lo, exec_lo, s3
	v_and_b32_e32 v148, 0x7f800000, v151
	s_delay_alu instid0(VALU_DEP_1) | instskip(SKIP_1) | instid1(SALU_CYCLE_1)
	v_cmp_ne_u32_e32 vcc_lo, 0x7f800000, v148
                                        ; implicit-def: $vgpr148
	s_and_saveexec_b32 s3, vcc_lo
	s_xor_b32 s3, exec_lo, s3
; %bb.24:
	v_bfe_u32 v148, v151, 16, 1
	s_delay_alu instid0(VALU_DEP_1)
	v_add3_u32 v148, v151, v148, 0x7fff
                                        ; implicit-def: $vgpr151
; %bb.25:
	s_and_not1_saveexec_b32 s3, s3
; %bb.26:
	v_and_b32_e32 v148, 0xffff, v151
	v_or_b32_e32 v152, 0x10000, v151
	s_delay_alu instid0(VALU_DEP_2) | instskip(NEXT) | instid1(VALU_DEP_2)
	v_cmp_eq_u32_e32 vcc_lo, 0, v148
	v_cndmask_b32_e32 v148, v152, v151, vcc_lo
; %bb.27:
	s_or_b32 exec_lo, exec_lo, s3
	v_and_b32_e32 v151, 0x7f800000, v150
	s_delay_alu instid0(VALU_DEP_1) | instskip(SKIP_1) | instid1(SALU_CYCLE_1)
	v_cmp_ne_u32_e32 vcc_lo, 0x7f800000, v151
                                        ; implicit-def: $vgpr151
	s_and_saveexec_b32 s3, vcc_lo
	s_xor_b32 s3, exec_lo, s3
; %bb.28:
	v_bfe_u32 v151, v150, 16, 1
	s_delay_alu instid0(VALU_DEP_1)
	v_add3_u32 v151, v150, v151, 0x7fff
                                        ; implicit-def: $vgpr150
; %bb.29:
	s_and_not1_saveexec_b32 s3, s3
; %bb.30:
	v_and_b32_e32 v151, 0xffff, v150
	v_or_b32_e32 v152, 0x10000, v150
	s_delay_alu instid0(VALU_DEP_2) | instskip(NEXT) | instid1(VALU_DEP_2)
	v_cmp_eq_u32_e32 vcc_lo, 0, v151
	v_cndmask_b32_e32 v151, v152, v150, vcc_lo
; %bb.31:
	s_or_b32 exec_lo, exec_lo, s3
	v_and_b32_e32 v150, 0x7f800000, v149
	s_delay_alu instid0(VALU_DEP_1) | instskip(SKIP_1) | instid1(SALU_CYCLE_1)
	v_cmp_ne_u32_e32 vcc_lo, 0x7f800000, v150
                                        ; implicit-def: $vgpr150
	s_and_saveexec_b32 s3, vcc_lo
	s_xor_b32 s3, exec_lo, s3
; %bb.32:
	v_bfe_u32 v150, v149, 16, 1
	s_delay_alu instid0(VALU_DEP_1)
	v_add3_u32 v150, v149, v150, 0x7fff
                                        ; implicit-def: $vgpr149
; %bb.33:
	s_and_not1_saveexec_b32 s3, s3
; %bb.34:
	v_and_b32_e32 v150, 0xffff, v149
	v_or_b32_e32 v152, 0x10000, v149
	s_delay_alu instid0(VALU_DEP_2) | instskip(NEXT) | instid1(VALU_DEP_2)
	v_cmp_eq_u32_e32 vcc_lo, 0, v150
	v_cndmask_b32_e32 v150, v152, v149, vcc_lo
; %bb.35:
	s_or_b32 exec_lo, exec_lo, s3
	v_and_b32_e32 v149, 0x7f800000, v146
	s_delay_alu instid0(VALU_DEP_1) | instskip(SKIP_1) | instid1(SALU_CYCLE_1)
	v_cmp_ne_u32_e32 vcc_lo, 0x7f800000, v149
                                        ; implicit-def: $vgpr149
	s_and_saveexec_b32 s3, vcc_lo
	s_xor_b32 s3, exec_lo, s3
; %bb.36:
	v_bfe_u32 v149, v146, 16, 1
	s_delay_alu instid0(VALU_DEP_1)
	v_add3_u32 v149, v146, v149, 0x7fff
                                        ; implicit-def: $vgpr146
; %bb.37:
	s_and_not1_saveexec_b32 s3, s3
; %bb.38:
	v_and_b32_e32 v149, 0xffff, v146
	v_or_b32_e32 v152, 0x10000, v146
	s_delay_alu instid0(VALU_DEP_2) | instskip(NEXT) | instid1(VALU_DEP_2)
	v_cmp_eq_u32_e32 vcc_lo, 0, v149
	v_cndmask_b32_e32 v149, v152, v146, vcc_lo
; %bb.39:
	s_or_b32 exec_lo, exec_lo, s3
	v_and_b32_e32 v146, 0x7f800000, v143
	s_delay_alu instid0(VALU_DEP_1) | instskip(SKIP_1) | instid1(SALU_CYCLE_1)
	v_cmp_ne_u32_e32 vcc_lo, 0x7f800000, v146
                                        ; implicit-def: $vgpr146
	s_and_saveexec_b32 s3, vcc_lo
	s_xor_b32 s3, exec_lo, s3
; %bb.40:
	v_bfe_u32 v146, v143, 16, 1
	s_delay_alu instid0(VALU_DEP_1)
	v_add3_u32 v146, v143, v146, 0x7fff
                                        ; implicit-def: $vgpr143
; %bb.41:
	s_and_not1_saveexec_b32 s3, s3
; %bb.42:
	v_and_b32_e32 v146, 0xffff, v143
	v_or_b32_e32 v152, 0x10000, v143
	s_delay_alu instid0(VALU_DEP_2) | instskip(NEXT) | instid1(VALU_DEP_2)
	v_cmp_eq_u32_e32 vcc_lo, 0, v146
	v_cndmask_b32_e32 v146, v152, v143, vcc_lo
; %bb.43:
	s_or_b32 exec_lo, exec_lo, s3
	s_load_b64 s[36:37], s[0:1], 0x94
	v_lshlrev_b32_e32 v153, 4, v138
	s_delay_alu instid0(VALU_DEP_2)
	v_perm_b32 v152, v146, v149, 0x7060302
	v_dual_mul_f32 v146, v142, v131 :: v_dual_lshlrev_b32 v143, 6, v137
	v_mul_f32_e32 v140, v142, v140
	v_dual_mul_f32 v141, v142, v141 :: v_dual_lshlrev_b32 v154, 11, v139
	v_perm_b32 v151, v150, v151, 0x7060302
	v_perm_b32 v150, v148, v147, 0x7060302
	;; [unrolled: 1-line block ×3, first 2 shown]
	s_delay_alu instid0(VALU_DEP_4)
	v_or3_b32 v131, v153, v154, v143
	v_dual_mul_f32 v136, v142, v136 :: v_dual_and_b32 v147, 0x7f800000, v146
	v_mul_f32_e32 v135, v142, v135
	v_mul_f32_e32 v144, v142, v134
	;; [unrolled: 1-line block ×4, first 2 shown]
	s_mov_b32 s3, exec_lo
	ds_store_b128 v131, v[149:152]
                                        ; implicit-def: $vgpr132
	v_cmpx_ne_u32_e32 0x7f800000, v147
	s_xor_b32 s3, exec_lo, s3
; %bb.44:
	v_bfe_u32 v132, v146, 16, 1
	s_delay_alu instid0(VALU_DEP_1)
	v_add3_u32 v132, v146, v132, 0x7fff
                                        ; implicit-def: $vgpr146
; %bb.45:
	s_and_not1_saveexec_b32 s3, s3
; %bb.46:
	v_and_b32_e32 v132, 0xffff, v146
	v_or_b32_e32 v133, 0x10000, v146
	s_delay_alu instid0(VALU_DEP_2) | instskip(NEXT) | instid1(VALU_DEP_2)
	v_cmp_eq_u32_e32 vcc_lo, 0, v132
	v_cndmask_b32_e32 v132, v133, v146, vcc_lo
; %bb.47:
	s_or_b32 exec_lo, exec_lo, s3
	v_and_b32_e32 v133, 0x7f800000, v134
	s_delay_alu instid0(VALU_DEP_1) | instskip(SKIP_1) | instid1(SALU_CYCLE_1)
	v_cmp_ne_u32_e32 vcc_lo, 0x7f800000, v133
                                        ; implicit-def: $vgpr133
	s_and_saveexec_b32 s3, vcc_lo
	s_xor_b32 s3, exec_lo, s3
; %bb.48:
	v_bfe_u32 v133, v134, 16, 1
	s_delay_alu instid0(VALU_DEP_1)
	v_add3_u32 v133, v134, v133, 0x7fff
                                        ; implicit-def: $vgpr134
; %bb.49:
	s_and_not1_saveexec_b32 s3, s3
; %bb.50:
	v_and_b32_e32 v133, 0xffff, v134
	v_or_b32_e32 v142, 0x10000, v134
	s_delay_alu instid0(VALU_DEP_2) | instskip(NEXT) | instid1(VALU_DEP_2)
	v_cmp_eq_u32_e32 vcc_lo, 0, v133
	v_cndmask_b32_e32 v133, v142, v134, vcc_lo
; %bb.51:
	s_or_b32 exec_lo, exec_lo, s3
	v_and_b32_e32 v134, 0x7f800000, v145
	s_delay_alu instid0(VALU_DEP_1) | instskip(SKIP_1) | instid1(SALU_CYCLE_1)
	v_cmp_ne_u32_e32 vcc_lo, 0x7f800000, v134
                                        ; implicit-def: $vgpr134
	s_and_saveexec_b32 s3, vcc_lo
	s_xor_b32 s3, exec_lo, s3
; %bb.52:
	v_bfe_u32 v134, v145, 16, 1
	s_delay_alu instid0(VALU_DEP_1)
	v_add3_u32 v134, v145, v134, 0x7fff
                                        ; implicit-def: $vgpr145
; %bb.53:
	s_and_not1_saveexec_b32 s3, s3
; %bb.54:
	v_and_b32_e32 v134, 0xffff, v145
	v_or_b32_e32 v142, 0x10000, v145
	s_delay_alu instid0(VALU_DEP_2) | instskip(NEXT) | instid1(VALU_DEP_2)
	v_cmp_eq_u32_e32 vcc_lo, 0, v134
	v_cndmask_b32_e32 v134, v142, v145, vcc_lo
; %bb.55:
	s_or_b32 exec_lo, exec_lo, s3
	v_and_b32_e32 v142, 0x7f800000, v144
	s_delay_alu instid0(VALU_DEP_1) | instskip(SKIP_1) | instid1(SALU_CYCLE_1)
	v_cmp_ne_u32_e32 vcc_lo, 0x7f800000, v142
                                        ; implicit-def: $vgpr142
	s_and_saveexec_b32 s3, vcc_lo
	s_xor_b32 s3, exec_lo, s3
; %bb.56:
	v_bfe_u32 v142, v144, 16, 1
	s_delay_alu instid0(VALU_DEP_1)
	v_add3_u32 v142, v144, v142, 0x7fff
                                        ; implicit-def: $vgpr144
; %bb.57:
	s_and_not1_saveexec_b32 s3, s3
; %bb.58:
	v_and_b32_e32 v142, 0xffff, v144
	v_or_b32_e32 v145, 0x10000, v144
	s_delay_alu instid0(VALU_DEP_2) | instskip(NEXT) | instid1(VALU_DEP_2)
	v_cmp_eq_u32_e32 vcc_lo, 0, v142
	v_cndmask_b32_e32 v142, v145, v144, vcc_lo
; %bb.59:
	s_or_b32 exec_lo, exec_lo, s3
	v_and_b32_e32 v144, 0x7f800000, v135
	s_delay_alu instid0(VALU_DEP_1) | instskip(SKIP_1) | instid1(SALU_CYCLE_1)
	v_cmp_ne_u32_e32 vcc_lo, 0x7f800000, v144
                                        ; implicit-def: $vgpr144
	s_and_saveexec_b32 s3, vcc_lo
	s_xor_b32 s3, exec_lo, s3
; %bb.60:
	v_bfe_u32 v144, v135, 16, 1
	s_delay_alu instid0(VALU_DEP_1)
	v_add3_u32 v144, v135, v144, 0x7fff
                                        ; implicit-def: $vgpr135
; %bb.61:
	s_and_not1_saveexec_b32 s3, s3
; %bb.62:
	v_and_b32_e32 v144, 0xffff, v135
	v_or_b32_e32 v145, 0x10000, v135
	s_delay_alu instid0(VALU_DEP_2) | instskip(NEXT) | instid1(VALU_DEP_2)
	v_cmp_eq_u32_e32 vcc_lo, 0, v144
	v_cndmask_b32_e32 v144, v145, v135, vcc_lo
; %bb.63:
	s_or_b32 exec_lo, exec_lo, s3
	v_and_b32_e32 v135, 0x7f800000, v136
	s_delay_alu instid0(VALU_DEP_1) | instskip(SKIP_1) | instid1(SALU_CYCLE_1)
	v_cmp_ne_u32_e32 vcc_lo, 0x7f800000, v135
                                        ; implicit-def: $vgpr135
	s_and_saveexec_b32 s3, vcc_lo
	s_xor_b32 s3, exec_lo, s3
; %bb.64:
	v_bfe_u32 v135, v136, 16, 1
	s_delay_alu instid0(VALU_DEP_1)
	v_add3_u32 v135, v136, v135, 0x7fff
                                        ; implicit-def: $vgpr136
; %bb.65:
	s_and_not1_saveexec_b32 s3, s3
; %bb.66:
	v_and_b32_e32 v135, 0xffff, v136
	v_or_b32_e32 v145, 0x10000, v136
	s_delay_alu instid0(VALU_DEP_2) | instskip(NEXT) | instid1(VALU_DEP_2)
	v_cmp_eq_u32_e32 vcc_lo, 0, v135
	v_cndmask_b32_e32 v135, v145, v136, vcc_lo
; %bb.67:
	s_or_b32 exec_lo, exec_lo, s3
	v_and_b32_e32 v136, 0x7f800000, v140
	s_delay_alu instid0(VALU_DEP_1) | instskip(SKIP_1) | instid1(SALU_CYCLE_1)
	v_cmp_ne_u32_e32 vcc_lo, 0x7f800000, v136
                                        ; implicit-def: $vgpr136
	s_and_saveexec_b32 s3, vcc_lo
	s_xor_b32 s3, exec_lo, s3
; %bb.68:
	v_bfe_u32 v136, v140, 16, 1
	s_delay_alu instid0(VALU_DEP_1)
	v_add3_u32 v136, v140, v136, 0x7fff
                                        ; implicit-def: $vgpr140
; %bb.69:
	s_and_not1_saveexec_b32 s3, s3
; %bb.70:
	v_and_b32_e32 v136, 0xffff, v140
	v_or_b32_e32 v145, 0x10000, v140
	s_delay_alu instid0(VALU_DEP_2) | instskip(NEXT) | instid1(VALU_DEP_2)
	v_cmp_eq_u32_e32 vcc_lo, 0, v136
	v_cndmask_b32_e32 v136, v145, v140, vcc_lo
; %bb.71:
	s_or_b32 exec_lo, exec_lo, s3
	v_and_b32_e32 v140, 0x7f800000, v141
	s_delay_alu instid0(VALU_DEP_1) | instskip(SKIP_1) | instid1(SALU_CYCLE_1)
	v_cmp_ne_u32_e32 vcc_lo, 0x7f800000, v140
                                        ; implicit-def: $vgpr140
	s_and_saveexec_b32 s3, vcc_lo
	s_xor_b32 s3, exec_lo, s3
; %bb.72:
	v_bfe_u32 v140, v141, 16, 1
	s_delay_alu instid0(VALU_DEP_1)
	v_add3_u32 v140, v141, v140, 0x7fff
                                        ; implicit-def: $vgpr141
; %bb.73:
	s_and_not1_saveexec_b32 s3, s3
; %bb.74:
	v_and_b32_e32 v140, 0xffff, v141
	v_or_b32_e32 v145, 0x10000, v141
	s_delay_alu instid0(VALU_DEP_2) | instskip(NEXT) | instid1(VALU_DEP_2)
	v_cmp_eq_u32_e32 vcc_lo, 0, v140
	v_cndmask_b32_e32 v140, v145, v141, vcc_lo
; %bb.75:
	s_or_b32 exec_lo, exec_lo, s3
	s_delay_alu instid0(VALU_DEP_1)
	v_perm_b32 v136, v140, v136, 0x7060302
	v_perm_b32 v135, v135, v144, 0x7060302
	;; [unrolled: 1-line block ×4, first 2 shown]
	v_lshl_or_b32 v144, v139, 11, v143
	ds_store_b128 v131, v[133:136] offset:1024
	s_waitcnt lgkmcnt(0)
	s_barrier
	buffer_gl0_inv
	ds_load_b128 v[132:135], v144
	ds_load_b128 v[145:148], v144 offset:16
	s_waitcnt lgkmcnt(1)
	v_lshrrev_b32_e32 v136, 16, v132
	s_waitcnt lgkmcnt(0)
	v_lshrrev_b32_e32 v153, 16, v145
	v_lshlrev_b32_e32 v140, 2, v138
	v_lshrrev_b32_e32 v157, 16, v133
	v_lshrrev_b32_e32 v160, 16, v146
	;; [unrolled: 1-line block ×4, first 2 shown]
	v_cmp_eq_u32_e32 vcc_lo, 1, v140
	v_lshrrev_b32_e32 v159, 16, v135
	v_lshrrev_b32_e32 v162, 16, v148
	v_cndmask_b32_e32 v149, v145, v153, vcc_lo
	v_or_b32_e32 v141, 1, v140
	v_cndmask_b32_e32 v142, v132, v136, vcc_lo
	v_cmp_eq_u32_e64 s4, 2, v140
	v_cmp_eq_u32_e64 s7, 3, v140
	;; [unrolled: 1-line block ×5, first 2 shown]
	v_cndmask_b32_e64 v142, v142, v133, s4
	v_cndmask_b32_e64 v149, v149, v146, s4
	v_cmp_eq_u32_e64 s8, 3, v141
	v_cndmask_b32_e64 v150, v132, v136, s3
	v_or_b32_e32 v139, 2, v140
	v_cndmask_b32_e64 v142, v142, v157, s7
	v_cndmask_b32_e64 v149, v149, v160, s7
	;; [unrolled: 1-line block ×4, first 2 shown]
	v_cmp_eq_u32_e64 s10, 5, v140
	v_cndmask_b32_e64 v142, v142, v134, s9
	v_cndmask_b32_e64 v149, v149, v147, s9
	v_cmp_eq_u32_e64 s11, 4, v141
	v_cndmask_b32_e64 v150, v150, v157, s8
	v_cmp_eq_u32_e64 s5, 1, v139
	v_cndmask_b32_e64 v151, v151, v146, s6
	v_cndmask_b32_e64 v142, v142, v158, s10
	v_cmp_eq_u32_e64 s12, 6, v140
	v_cndmask_b32_e64 v150, v150, v134, s11
	;; [unrolled: 3-line block ×3, first 2 shown]
	v_cndmask_b32_e64 v151, v151, v160, s8
	v_cndmask_b32_e64 v142, v142, v135, s12
	v_cmp_eq_u32_e64 s16, 7, v140
	v_cndmask_b32_e64 v150, v150, v158, s13
	v_cndmask_b32_e64 v149, v149, v148, s12
	v_cmp_eq_u32_e64 s17, 6, v141
	v_cmp_eq_u32_e64 s18, 2, v139
	v_cndmask_b32_e64 v151, v151, v147, s11
	v_cndmask_b32_e64 v163, v142, v159, s16
	;; [unrolled: 1-line block ×6, first 2 shown]
	v_cmp_eq_u32_e64 s19, 7, v141
	v_cmp_eq_u32_e64 s20, 3, v139
	;; [unrolled: 1-line block ×4, first 2 shown]
	v_cndmask_b32_e64 v149, v149, v146, s18
	v_cndmask_b32_e64 v165, v150, v159, s19
	;; [unrolled: 1-line block ×4, first 2 shown]
	v_or_b32_e32 v142, 3, v140
	v_cndmask_b32_e64 v155, v149, v160, s20
	v_cmp_eq_u32_e64 s25, 6, v139
	v_cndmask_b32_e64 v166, v150, v148, s17
	v_cndmask_b32_e64 v154, v151, v134, s21
	ds_load_b128 v[149:152], v144 offset:1024
	v_cmp_eq_u32_e64 s22, 1, v142
	v_cmp_eq_u32_e64 s24, 2, v142
	;; [unrolled: 1-line block ×3, first 2 shown]
	v_cndmask_b32_e64 v167, v154, v158, s23
	v_cmp_eq_u32_e64 s27, 4, v142
	v_cndmask_b32_e64 v132, v132, v136, s22
	v_cndmask_b32_e64 v136, v155, v147, s21
	;; [unrolled: 1-line block ×3, first 2 shown]
	ds_load_b128 v[153:156], v144 offset:1040
	v_cmp_eq_u32_e64 s28, 7, v139
	v_cndmask_b32_e64 v132, v132, v133, s24
	v_cndmask_b32_e64 v133, v136, v161, s23
	;; [unrolled: 1-line block ×4, first 2 shown]
	v_cmp_eq_u32_e64 s29, 5, v142
	v_cndmask_b32_e64 v132, v132, v157, s26
	v_cmp_eq_u32_e64 s30, 6, v142
	v_cndmask_b32_e64 v136, v136, v160, s26
	v_cndmask_b32_e64 v133, v133, v148, s25
	s_waitcnt lgkmcnt(1)
	v_lshrrev_b32_e32 v157, 16, v149
	v_cndmask_b32_e64 v132, v132, v134, s27
	v_cndmask_b32_e64 v145, v166, v162, s19
	;; [unrolled: 1-line block ×4, first 2 shown]
	v_cndmask_b32_e32 v146, v149, v157, vcc_lo
	v_cndmask_b32_e64 v132, v132, v158, s29
	v_lshrrev_b32_e32 v158, 16, v150
	v_cndmask_b32_e64 v160, v149, v157, s3
	s_waitcnt lgkmcnt(0)
	v_lshrrev_b32_e32 v147, 16, v153
	v_cndmask_b32_e64 v146, v146, v150, s4
	v_cndmask_b32_e64 v134, v134, v161, s29
	;; [unrolled: 1-line block ×4, first 2 shown]
	v_cndmask_b32_e32 v161, v153, v147, vcc_lo
	v_cndmask_b32_e64 v135, v146, v158, s7
	v_cndmask_b32_e64 v146, v160, v150, s6
	;; [unrolled: 1-line block ×3, first 2 shown]
	v_lshrrev_b32_e32 v160, 16, v154
	v_cndmask_b32_e64 v148, v161, v154, s4
	v_cmp_eq_u32_e32 vcc_lo, 7, v142
	v_cndmask_b32_e64 v146, v146, v158, s8
	v_cndmask_b32_e64 v135, v135, v151, s9
	v_lshrrev_b32_e32 v161, 16, v151
	v_cndmask_b32_e64 v148, v148, v160, s7
	v_cndmask_b32_e32 v132, v132, v159, vcc_lo
	v_cndmask_b32_e32 v134, v134, v162, vcc_lo
	v_cndmask_b32_e64 v146, v146, v151, s11
	v_cndmask_b32_e64 v159, v135, v161, s10
	;; [unrolled: 1-line block ×3, first 2 shown]
	v_lshrrev_b32_e32 v162, 16, v155
	v_perm_b32 v135, v134, v132, 0x5040100
	v_cndmask_b32_e64 v132, v146, v161, s13
	v_cndmask_b32_e64 v146, v159, v152, s12
	v_lshrrev_b32_e32 v159, 16, v152
	v_cndmask_b32_e64 v148, v148, v162, s10
	v_perm_b32 v134, v133, v136, 0x5040100
	v_cndmask_b32_e64 v132, v132, v152, s17
	v_perm_b32 v133, v145, v165, 0x5040100
	v_cndmask_b32_e64 v136, v146, v159, s16
	v_cndmask_b32_e64 v145, v148, v156, s12
	;; [unrolled: 1-line block ×28, first 2 shown]
	v_lshrrev_b32_e32 v146, 16, v156
	v_cndmask_b32_e64 v132, v132, v152, s25
	v_cndmask_b32_e64 v148, v148, v152, s30
	;; [unrolled: 1-line block ×6, first 2 shown]
	s_delay_alu instid0(VALU_DEP_4) | instskip(NEXT) | instid1(VALU_DEP_4)
	v_dual_cndmask_b32 v148, v148, v159 :: v_dual_cndmask_b32 v149, v149, v146
	v_cndmask_b32_e64 v150, v150, v146, s28
	s_delay_alu instid0(VALU_DEP_4)
	v_cndmask_b32_e64 v152, v147, v146, s19
	v_cndmask_b32_e64 v145, v145, v146, s16
	v_perm_b32 v132, v164, v163, 0x5040100
	v_perm_b32 v148, v149, v148, 0x5040100
	;; [unrolled: 1-line block ×5, first 2 shown]
	s_mov_b32 s3, exec_lo
	ds_store_b128 v131, v[132:135]
	ds_store_b128 v131, v[145:148] offset:1024
	v_cmpx_eq_u32_e32 0, v0
	s_cbranch_execz .LBB438_77
; %bb.76:
	s_load_b128 s[4:7], s[0:1], 0x58
	s_mul_i32 s8, s37, s34
	v_mov_b32_e32 v131, 0
	s_add_i32 s8, s8, s15
	s_delay_alu instid0(SALU_CYCLE_1) | instskip(NEXT) | instid1(SALU_CYCLE_1)
	s_mul_i32 s8, s8, s36
	s_add_i32 s8, s8, s14
	s_delay_alu instid0(SALU_CYCLE_1) | instskip(NEXT) | instid1(SALU_CYCLE_1)
	s_ashr_i32 s9, s8, 31
	s_lshl_b64 s[8:9], s[8:9], 2
	s_waitcnt lgkmcnt(0)
	s_add_u32 s6, s6, s8
	s_addc_u32 s7, s7, s9
	s_add_u32 s4, s4, s8
	s_addc_u32 s5, s5, s9
	s_clause 0x1
	global_store_b32 v131, v129, s[6:7]
	global_store_b32 v131, v130, s[4:5]
.LBB438_77:
	s_or_b32 exec_lo, exec_lo, s3
	s_waitcnt lgkmcnt(0)
	s_waitcnt_vscnt null, 0x0
	s_barrier
	buffer_gl0_inv
	ds_load_b128 v[145:148], v143
	ds_load_b128 v[149:152], v143 offset:16
	ds_load_b128 v[157:160], v143 offset:1040
	;; [unrolled: 1-line block ×3, first 2 shown]
	v_mov_b32_e32 v129, 0
	ds_load_b128 v[165:168], v143 offset:2064
	ds_load_b128 v[161:164], v143 offset:2048
	v_mov_b32_e32 v130, v129
	v_mov_b32_e32 v131, v129
	;; [unrolled: 1-line block ×7, first 2 shown]
	s_waitcnt lgkmcnt(4)
	s_delay_alu instid0(VALU_DEP_1)
	v_wmma_f32_16x16x16_bf16 v[129:136], v[121:128], v[145:152], v[129:136]
	ds_load_b128 v[125:128], v143 offset:3088
	ds_load_b128 v[121:124], v143 offset:3072
	;; [unrolled: 1-line block ×4, first 2 shown]
	s_waitcnt lgkmcnt(6)
	v_wmma_f32_16x16x16_bf16 v[129:136], v[113:120], v[153:160], v[129:136]
	ds_load_b128 v[117:120], v143 offset:5136
	ds_load_b128 v[113:116], v143 offset:5120
	;; [unrolled: 1-line block ×4, first 2 shown]
	s_waitcnt lgkmcnt(8)
	v_wmma_f32_16x16x16_bf16 v[129:136], v[105:112], v[161:168], v[129:136]
	ds_load_b128 v[109:112], v143 offset:7184
	ds_load_b128 v[105:108], v143 offset:7168
	s_waitcnt lgkmcnt(8)
	v_wmma_f32_16x16x16_bf16 v[129:136], v[97:104], v[121:128], v[129:136]
	ds_load_b128 v[101:104], v143 offset:8208
	ds_load_b128 v[97:100], v143 offset:8192
	;; [unrolled: 4-line block ×5, first 2 shown]
	s_waitcnt lgkmcnt(8)
	v_wmma_f32_16x16x16_bf16 v[129:136], v[65:72], v[105:112], v[129:136]
	s_waitcnt lgkmcnt(6)
	s_delay_alu instid0(VALU_DEP_1)
	v_wmma_f32_16x16x16_bf16 v[129:136], v[57:64], v[97:104], v[129:136]
	ds_load_b128 v[61:64], v143 offset:12304
	ds_load_b128 v[57:60], v143 offset:12288
	s_waitcnt lgkmcnt(6)
	v_wmma_f32_16x16x16_bf16 v[129:136], v[49:56], v[89:96], v[129:136]
	ds_load_b128 v[53:56], v143 offset:13328
	ds_load_b128 v[49:52], v143 offset:13312
	s_waitcnt lgkmcnt(6)
	;; [unrolled: 4-line block ×4, first 2 shown]
	v_wmma_f32_16x16x16_bf16 v[129:136], v[1:8], v[57:64], v[129:136]
	s_waitcnt lgkmcnt(4)
	s_delay_alu instid0(VALU_DEP_1) | instskip(SKIP_1) | instid1(VALU_DEP_1)
	v_wmma_f32_16x16x16_bf16 v[129:136], v[25:32], v[49:56], v[129:136]
	s_waitcnt lgkmcnt(2)
	v_wmma_f32_16x16x16_bf16 v[129:136], v[33:40], v[41:48], v[129:136]
	s_waitcnt lgkmcnt(0)
	s_delay_alu instid0(VALU_DEP_1) | instskip(NEXT) | instid1(VALU_DEP_1)
	v_wmma_f32_16x16x16_bf16 v[129:136], v[9:16], v[17:24], v[129:136]
	v_and_b32_e32 v1, 0x7f800000, v129
	s_delay_alu instid0(VALU_DEP_1) | instskip(SKIP_1) | instid1(SALU_CYCLE_1)
	v_cmp_ne_u32_e32 vcc_lo, 0x7f800000, v1
                                        ; implicit-def: $vgpr1
	s_and_saveexec_b32 s3, vcc_lo
	s_xor_b32 s3, exec_lo, s3
; %bb.78:
	v_bfe_u32 v1, v129, 16, 1
	s_delay_alu instid0(VALU_DEP_1)
	v_add3_u32 v1, v129, v1, 0x7fff
; %bb.79:
	s_and_not1_saveexec_b32 s3, s3
; %bb.80:
	v_and_b32_e32 v1, 0xffff, v129
	v_or_b32_e32 v2, 0x10000, v129
	s_delay_alu instid0(VALU_DEP_2) | instskip(NEXT) | instid1(VALU_DEP_2)
	v_cmp_eq_u32_e32 vcc_lo, 0, v1
	v_cndmask_b32_e32 v1, v2, v129, vcc_lo
; %bb.81:
	s_or_b32 exec_lo, exec_lo, s3
	v_and_b32_e32 v2, 0x7f800000, v130
	s_delay_alu instid0(VALU_DEP_1) | instskip(SKIP_1) | instid1(SALU_CYCLE_1)
	v_cmp_ne_u32_e32 vcc_lo, 0x7f800000, v2
                                        ; implicit-def: $vgpr2
	s_and_saveexec_b32 s3, vcc_lo
	s_xor_b32 s3, exec_lo, s3
; %bb.82:
	v_bfe_u32 v2, v130, 16, 1
	s_delay_alu instid0(VALU_DEP_1)
	v_add3_u32 v2, v130, v2, 0x7fff
; %bb.83:
	s_and_not1_saveexec_b32 s3, s3
; %bb.84:
	v_and_b32_e32 v2, 0xffff, v130
	v_or_b32_e32 v3, 0x10000, v130
	s_delay_alu instid0(VALU_DEP_2) | instskip(NEXT) | instid1(VALU_DEP_2)
	v_cmp_eq_u32_e32 vcc_lo, 0, v2
	v_cndmask_b32_e32 v2, v3, v130, vcc_lo
; %bb.85:
	s_or_b32 exec_lo, exec_lo, s3
	v_and_b32_e32 v3, 0x7f800000, v131
	s_delay_alu instid0(VALU_DEP_1) | instskip(SKIP_1) | instid1(SALU_CYCLE_1)
	v_cmp_ne_u32_e32 vcc_lo, 0x7f800000, v3
                                        ; implicit-def: $vgpr3
	s_and_saveexec_b32 s3, vcc_lo
	s_xor_b32 s3, exec_lo, s3
; %bb.86:
	v_bfe_u32 v3, v131, 16, 1
	s_delay_alu instid0(VALU_DEP_1)
	v_add3_u32 v3, v131, v3, 0x7fff
; %bb.87:
	s_and_not1_saveexec_b32 s3, s3
; %bb.88:
	v_and_b32_e32 v3, 0xffff, v131
	v_or_b32_e32 v4, 0x10000, v131
	s_delay_alu instid0(VALU_DEP_2) | instskip(NEXT) | instid1(VALU_DEP_2)
	v_cmp_eq_u32_e32 vcc_lo, 0, v3
	v_cndmask_b32_e32 v3, v4, v131, vcc_lo
; %bb.89:
	s_or_b32 exec_lo, exec_lo, s3
	v_and_b32_e32 v4, 0x7f800000, v132
	s_delay_alu instid0(VALU_DEP_1) | instskip(SKIP_1) | instid1(SALU_CYCLE_1)
	v_cmp_ne_u32_e32 vcc_lo, 0x7f800000, v4
                                        ; implicit-def: $vgpr4
	s_and_saveexec_b32 s3, vcc_lo
	s_xor_b32 s3, exec_lo, s3
; %bb.90:
	v_bfe_u32 v4, v132, 16, 1
	s_delay_alu instid0(VALU_DEP_1)
	v_add3_u32 v4, v132, v4, 0x7fff
; %bb.91:
	s_and_not1_saveexec_b32 s3, s3
; %bb.92:
	v_and_b32_e32 v4, 0xffff, v132
	v_or_b32_e32 v5, 0x10000, v132
	s_delay_alu instid0(VALU_DEP_2) | instskip(NEXT) | instid1(VALU_DEP_2)
	v_cmp_eq_u32_e32 vcc_lo, 0, v4
	v_cndmask_b32_e32 v4, v5, v132, vcc_lo
; %bb.93:
	s_or_b32 exec_lo, exec_lo, s3
	v_and_b32_e32 v5, 0x7f800000, v133
	s_delay_alu instid0(VALU_DEP_1) | instskip(SKIP_1) | instid1(SALU_CYCLE_1)
	v_cmp_ne_u32_e32 vcc_lo, 0x7f800000, v5
                                        ; implicit-def: $vgpr5
	s_and_saveexec_b32 s3, vcc_lo
	s_xor_b32 s3, exec_lo, s3
; %bb.94:
	v_bfe_u32 v5, v133, 16, 1
	s_delay_alu instid0(VALU_DEP_1)
	v_add3_u32 v5, v133, v5, 0x7fff
; %bb.95:
	s_and_not1_saveexec_b32 s3, s3
; %bb.96:
	v_and_b32_e32 v5, 0xffff, v133
	v_or_b32_e32 v6, 0x10000, v133
	s_delay_alu instid0(VALU_DEP_2) | instskip(NEXT) | instid1(VALU_DEP_2)
	v_cmp_eq_u32_e32 vcc_lo, 0, v5
	v_cndmask_b32_e32 v5, v6, v133, vcc_lo
; %bb.97:
	s_or_b32 exec_lo, exec_lo, s3
	v_and_b32_e32 v6, 0x7f800000, v134
	s_delay_alu instid0(VALU_DEP_1) | instskip(SKIP_1) | instid1(SALU_CYCLE_1)
	v_cmp_ne_u32_e32 vcc_lo, 0x7f800000, v6
                                        ; implicit-def: $vgpr6
	s_and_saveexec_b32 s3, vcc_lo
	s_xor_b32 s3, exec_lo, s3
; %bb.98:
	v_bfe_u32 v6, v134, 16, 1
	s_delay_alu instid0(VALU_DEP_1)
	v_add3_u32 v6, v134, v6, 0x7fff
; %bb.99:
	s_and_not1_saveexec_b32 s3, s3
; %bb.100:
	v_and_b32_e32 v6, 0xffff, v134
	v_or_b32_e32 v7, 0x10000, v134
	s_delay_alu instid0(VALU_DEP_2) | instskip(NEXT) | instid1(VALU_DEP_2)
	v_cmp_eq_u32_e32 vcc_lo, 0, v6
	v_cndmask_b32_e32 v6, v7, v134, vcc_lo
; %bb.101:
	s_or_b32 exec_lo, exec_lo, s3
	v_and_b32_e32 v7, 0x7f800000, v135
	s_delay_alu instid0(VALU_DEP_1) | instskip(SKIP_1) | instid1(SALU_CYCLE_1)
	v_cmp_ne_u32_e32 vcc_lo, 0x7f800000, v7
                                        ; implicit-def: $vgpr7
	s_and_saveexec_b32 s3, vcc_lo
	s_xor_b32 s3, exec_lo, s3
; %bb.102:
	v_bfe_u32 v7, v135, 16, 1
	s_delay_alu instid0(VALU_DEP_1)
	v_add3_u32 v7, v135, v7, 0x7fff
; %bb.103:
	s_and_not1_saveexec_b32 s3, s3
; %bb.104:
	v_and_b32_e32 v7, 0xffff, v135
	v_or_b32_e32 v8, 0x10000, v135
	s_delay_alu instid0(VALU_DEP_2) | instskip(NEXT) | instid1(VALU_DEP_2)
	v_cmp_eq_u32_e32 vcc_lo, 0, v7
	v_cndmask_b32_e32 v7, v8, v135, vcc_lo
; %bb.105:
	s_or_b32 exec_lo, exec_lo, s3
	v_and_b32_e32 v8, 0x7f800000, v136
	s_delay_alu instid0(VALU_DEP_1) | instskip(SKIP_1) | instid1(SALU_CYCLE_1)
	v_cmp_ne_u32_e32 vcc_lo, 0x7f800000, v8
                                        ; implicit-def: $vgpr8
	s_and_saveexec_b32 s3, vcc_lo
	s_xor_b32 s3, exec_lo, s3
; %bb.106:
	v_bfe_u32 v8, v136, 16, 1
	s_delay_alu instid0(VALU_DEP_1)
	v_add3_u32 v8, v136, v8, 0x7fff
                                        ; implicit-def: $vgpr129_vgpr130_vgpr131_vgpr132_vgpr133_vgpr134_vgpr135_vgpr136
; %bb.107:
	s_and_not1_saveexec_b32 s3, s3
; %bb.108:
	v_and_b32_e32 v8, 0xffff, v136
	v_or_b32_e32 v9, 0x10000, v136
	s_delay_alu instid0(VALU_DEP_2) | instskip(NEXT) | instid1(VALU_DEP_2)
	v_cmp_eq_u32_e32 vcc_lo, 0, v8
	v_cndmask_b32_e32 v8, v9, v136, vcc_lo
; %bb.109:
	s_or_b32 exec_lo, exec_lo, s3
	s_delay_alu instid0(VALU_DEP_1)
	v_perm_b32 v7, v8, v7, 0x7060302
	v_perm_b32 v6, v6, v5, 0x7060302
	;; [unrolled: 1-line block ×4, first 2 shown]
	v_lshl_or_b32 v9, v138, 4, v144
	s_barrier
	buffer_gl0_inv
	v_cmp_eq_u32_e32 vcc_lo, 1, v140
	ds_store_b128 v9, v[4:7]
	s_waitcnt lgkmcnt(0)
	s_barrier
	buffer_gl0_inv
	ds_load_b128 v[1:4], v144
	ds_load_b128 v[5:8], v144 offset:16
	v_cmp_eq_u32_e64 s4, 2, v140
	v_cmp_eq_u32_e64 s3, 1, v141
	;; [unrolled: 1-line block ×5, first 2 shown]
	s_waitcnt lgkmcnt(1)
	v_lshrrev_b32_e32 v10, 16, v1
	s_waitcnt lgkmcnt(0)
	v_lshrrev_b32_e32 v14, 16, v5
	v_lshrrev_b32_e32 v15, 16, v6
	;; [unrolled: 1-line block ×4, first 2 shown]
	v_cndmask_b32_e64 v20, v1, v10, s3
	v_cndmask_b32_e32 v19, v5, v14, vcc_lo
	v_cndmask_b32_e64 v21, v5, v14, s3
	v_lshrrev_b32_e32 v16, 16, v7
	v_cmp_eq_u32_e64 s3, 1, v139
	v_lshrrev_b32_e32 v13, 16, v4
	v_cndmask_b32_e64 v19, v19, v6, s4
	v_lshrrev_b32_e32 v17, 16, v8
	s_delay_alu instid0(VALU_DEP_4) | instskip(SKIP_1) | instid1(VALU_DEP_4)
	v_cndmask_b32_e64 v22, v1, v10, s3
	v_cndmask_b32_e64 v23, v5, v14, s3
	;; [unrolled: 1-line block ×3, first 2 shown]
	v_cndmask_b32_e32 v18, v1, v10, vcc_lo
	v_cmp_eq_u32_e32 vcc_lo, 2, v141
	v_cmp_eq_u32_e64 s3, 2, v142
	v_cndmask_b32_e64 v22, v22, v2, s7
	v_cndmask_b32_e32 v20, v20, v2, vcc_lo
	v_cndmask_b32_e32 v21, v21, v6, vcc_lo
	v_cmp_eq_u32_e32 vcc_lo, 4, v140
	v_cndmask_b32_e32 v19, v19, v7, vcc_lo
	v_cndmask_b32_e64 v18, v18, v2, s4
	v_cmp_eq_u32_e64 s4, 3, v141
	s_delay_alu instid0(VALU_DEP_2) | instskip(NEXT) | instid1(VALU_DEP_2)
	v_cndmask_b32_e64 v18, v18, v11, s5
	v_cndmask_b32_e64 v21, v21, v15, s4
	v_cmp_eq_u32_e64 s5, 5, v140
	s_delay_alu instid0(VALU_DEP_3) | instskip(SKIP_1) | instid1(VALU_DEP_3)
	v_cndmask_b32_e32 v18, v18, v3, vcc_lo
	v_cmp_eq_u32_e32 vcc_lo, 4, v141
	v_cndmask_b32_e64 v19, v19, v16, s5
	s_delay_alu instid0(VALU_DEP_3) | instskip(SKIP_4) | instid1(VALU_DEP_3)
	v_cndmask_b32_e64 v18, v18, v12, s5
	v_cndmask_b32_e32 v21, v21, v7, vcc_lo
	v_cndmask_b32_e64 v20, v20, v11, s4
	v_cmp_eq_u32_e64 s4, 5, v141
	v_cmp_eq_u32_e64 s5, 6, v140
	v_cndmask_b32_e32 v20, v20, v3, vcc_lo
	s_delay_alu instid0(VALU_DEP_3) | instskip(SKIP_1) | instid1(VALU_DEP_4)
	v_cndmask_b32_e64 v21, v21, v16, s4
	v_cmp_eq_u32_e32 vcc_lo, 6, v141
	v_cndmask_b32_e64 v18, v18, v4, s5
	v_cndmask_b32_e64 v19, v19, v8, s5
	v_cndmask_b32_e64 v20, v20, v12, s4
	v_cmp_eq_u32_e64 s4, 1, v142
	v_cmp_eq_u32_e64 s5, 7, v140
	s_delay_alu instid0(VALU_DEP_3) | instskip(NEXT) | instid1(VALU_DEP_3)
	v_cndmask_b32_e32 v20, v20, v4, vcc_lo
	v_cndmask_b32_e64 v1, v1, v10, s4
	v_cndmask_b32_e64 v5, v5, v14, s4
	v_cmp_eq_u32_e64 s4, 3, v139
	v_cndmask_b32_e64 v14, v23, v6, s7
	v_cmp_eq_u32_e64 s7, 3, v142
	v_cndmask_b32_e64 v1, v1, v2, s3
	v_cndmask_b32_e64 v2, v5, v6, s3
	;; [unrolled: 1-line block ×3, first 2 shown]
	v_cmp_eq_u32_e64 s3, 4, v139
	v_cndmask_b32_e64 v6, v14, v15, s4
	v_cndmask_b32_e64 v1, v1, v11, s7
	v_cmp_eq_u32_e64 s4, 4, v142
	v_cndmask_b32_e64 v2, v2, v15, s7
	v_cndmask_b32_e64 v5, v10, v3, s3
	;; [unrolled: 3-line block ×3, first 2 shown]
	v_cndmask_b32_e64 v2, v2, v7, s4
	v_cmp_eq_u32_e64 s3, 5, v142
	v_cndmask_b32_e64 v5, v5, v12, s7
	v_cndmask_b32_e64 v3, v6, v16, s7
	v_cmp_eq_u32_e64 s7, 6, v142
	v_cmp_eq_u32_e64 s4, 6, v139
	v_cndmask_b32_e64 v1, v1, v12, s3
	v_cndmask_b32_e64 v2, v2, v16, s3
	v_cmp_eq_u32_e64 s3, 7, v142
	v_cndmask_b32_e64 v18, v18, v13, s5
	v_cndmask_b32_e64 v5, v5, v4, s4
	;; [unrolled: 1-line block ×5, first 2 shown]
	v_cmp_eq_u32_e64 s4, 7, v139
	v_cndmask_b32_e32 v4, v21, v8, vcc_lo
	v_cndmask_b32_e64 v1, v1, v13, s3
	v_cndmask_b32_e64 v2, v2, v17, s3
	v_cmp_lt_u32_e32 vcc_lo, 31, v0
	v_cmp_lt_u32_e64 s3, 7, v137
	v_cndmask_b32_e64 v20, v20, v13, s6
	v_cndmask_b32_e64 v5, v5, v13, s4
	;; [unrolled: 1-line block ×5, first 2 shown]
	s_or_b32 s3, vcc_lo, s3
	v_perm_b32 v4, v2, v1, 0x5040100
	v_perm_b32 v3, v3, v5, 0x5040100
	;; [unrolled: 1-line block ×4, first 2 shown]
	s_or_b32 s2, s2, s3
	s_delay_alu instid0(SALU_CYCLE_1)
	s_xor_b32 s2, s2, -1
	ds_store_b128 v9, v[1:4]
	s_waitcnt lgkmcnt(0)
	s_barrier
	buffer_gl0_inv
	s_and_saveexec_b32 s3, s2
	s_cbranch_execz .LBB438_2
; %bb.110:
	s_load_b64 s[0:1], s[0:1], 0x68
	v_lshlrev_b32_e32 v1, 10, v0
	v_and_b32_e32 v0, 1, v0
	v_lshlrev_b32_e32 v2, 6, v138
	s_lshl_b32 s4, s36, 6
	v_lshlrev_b32_e32 v4, 4, v137
	v_and_b32_e32 v1, 0x3800, v1
	v_lshlrev_b32_e32 v0, 4, v0
	s_mul_i32 s2, s4, s34
	s_delay_alu instid0(SALU_CYCLE_1) | instskip(NEXT) | instid1(VALU_DEP_1)
	s_mul_i32 s2, s2, s37
	v_or3_b32 v0, v1, v2, v0
	s_ashr_i32 s3, s2, 31
	s_delay_alu instid0(SALU_CYCLE_1)
	s_lshl_b64 s[2:3], s[2:3], 1
	ds_load_b128 v[0:3], v0
	s_waitcnt lgkmcnt(0)
	s_add_u32 s5, s0, s2
	s_addc_u32 s3, s1, s3
	s_lshl_b32 s0, s14, 6
	s_mul_i32 s2, s4, s15
	s_ashr_i32 s1, s0, 31
	s_delay_alu instid0(SALU_CYCLE_1) | instskip(NEXT) | instid1(SALU_CYCLE_1)
	s_lshl_b64 s[0:1], s[0:1], 1
	s_add_u32 s4, s5, s0
	s_addc_u32 s5, s3, s1
	s_ashr_i32 s3, s2, 31
	s_delay_alu instid0(SALU_CYCLE_1) | instskip(NEXT) | instid1(SALU_CYCLE_1)
	s_lshl_b64 s[0:1], s[2:3], 1
	s_add_u32 s0, s4, s0
	s_addc_u32 s1, s5, s1
	global_store_b128 v4, v[0:3], s[0:1]
	s_nop 0
	s_sendmsg sendmsg(MSG_DEALLOC_VGPRS)
	s_endpgm
	.section	.rodata,"a",@progbits
	.p2align	6, 0x0
	.amdhsa_kernel _Z39paged_attention_ll4mi_QKV_mfma16_kernelI14__hip_bfloat16S0_LN4vllm18Fp8KVCacheDataTypeE0EhLi16ELi64ELi256ELb0ELi1EL8MFMAType0EEvPKT_PKT0_S9_ifPKiSB_SB_iPKfiiiPfSE_PS4_PT2_iSD_SD_
		.amdhsa_group_segment_fixed_size 17472
		.amdhsa_private_segment_fixed_size 0
		.amdhsa_kernarg_size 400
		.amdhsa_user_sgpr_count 13
		.amdhsa_user_sgpr_dispatch_ptr 0
		.amdhsa_user_sgpr_queue_ptr 0
		.amdhsa_user_sgpr_kernarg_segment_ptr 1
		.amdhsa_user_sgpr_dispatch_id 0
		.amdhsa_user_sgpr_private_segment_size 0
		.amdhsa_wavefront_size32 1
		.amdhsa_uses_dynamic_stack 0
		.amdhsa_enable_private_segment 0
		.amdhsa_system_sgpr_workgroup_id_x 1
		.amdhsa_system_sgpr_workgroup_id_y 1
		.amdhsa_system_sgpr_workgroup_id_z 1
		.amdhsa_system_sgpr_workgroup_info 0
		.amdhsa_system_vgpr_workitem_id 0
		.amdhsa_next_free_vgpr 193
		.amdhsa_next_free_sgpr 67
		.amdhsa_reserve_vcc 1
		.amdhsa_float_round_mode_32 0
		.amdhsa_float_round_mode_16_64 0
		.amdhsa_float_denorm_mode_32 3
		.amdhsa_float_denorm_mode_16_64 3
		.amdhsa_dx10_clamp 1
		.amdhsa_ieee_mode 1
		.amdhsa_fp16_overflow 0
		.amdhsa_workgroup_processor_mode 1
		.amdhsa_memory_ordered 1
		.amdhsa_forward_progress 0
		.amdhsa_shared_vgpr_count 0
		.amdhsa_exception_fp_ieee_invalid_op 0
		.amdhsa_exception_fp_denorm_src 0
		.amdhsa_exception_fp_ieee_div_zero 0
		.amdhsa_exception_fp_ieee_overflow 0
		.amdhsa_exception_fp_ieee_underflow 0
		.amdhsa_exception_fp_ieee_inexact 0
		.amdhsa_exception_int_div_zero 0
	.end_amdhsa_kernel
	.section	.text._Z39paged_attention_ll4mi_QKV_mfma16_kernelI14__hip_bfloat16S0_LN4vllm18Fp8KVCacheDataTypeE0EhLi16ELi64ELi256ELb0ELi1EL8MFMAType0EEvPKT_PKT0_S9_ifPKiSB_SB_iPKfiiiPfSE_PS4_PT2_iSD_SD_,"axG",@progbits,_Z39paged_attention_ll4mi_QKV_mfma16_kernelI14__hip_bfloat16S0_LN4vllm18Fp8KVCacheDataTypeE0EhLi16ELi64ELi256ELb0ELi1EL8MFMAType0EEvPKT_PKT0_S9_ifPKiSB_SB_iPKfiiiPfSE_PS4_PT2_iSD_SD_,comdat
.Lfunc_end438:
	.size	_Z39paged_attention_ll4mi_QKV_mfma16_kernelI14__hip_bfloat16S0_LN4vllm18Fp8KVCacheDataTypeE0EhLi16ELi64ELi256ELb0ELi1EL8MFMAType0EEvPKT_PKT0_S9_ifPKiSB_SB_iPKfiiiPfSE_PS4_PT2_iSD_SD_, .Lfunc_end438-_Z39paged_attention_ll4mi_QKV_mfma16_kernelI14__hip_bfloat16S0_LN4vllm18Fp8KVCacheDataTypeE0EhLi16ELi64ELi256ELb0ELi1EL8MFMAType0EEvPKT_PKT0_S9_ifPKiSB_SB_iPKfiiiPfSE_PS4_PT2_iSD_SD_
                                        ; -- End function
	.section	.AMDGPU.csdata,"",@progbits
; Kernel info:
; codeLenInByte = 9680
; NumSgprs: 69
; NumVgprs: 193
; ScratchSize: 0
; MemoryBound: 1
; FloatMode: 240
; IeeeMode: 1
; LDSByteSize: 17472 bytes/workgroup (compile time only)
; SGPRBlocks: 8
; VGPRBlocks: 24
; NumSGPRsForWavesPerEU: 69
; NumVGPRsForWavesPerEU: 193
; Occupancy: 7
; WaveLimiterHint : 1
; COMPUTE_PGM_RSRC2:SCRATCH_EN: 0
; COMPUTE_PGM_RSRC2:USER_SGPR: 13
; COMPUTE_PGM_RSRC2:TRAP_HANDLER: 0
; COMPUTE_PGM_RSRC2:TGID_X_EN: 1
; COMPUTE_PGM_RSRC2:TGID_Y_EN: 1
; COMPUTE_PGM_RSRC2:TGID_Z_EN: 1
; COMPUTE_PGM_RSRC2:TIDIG_COMP_CNT: 0
	.section	.text._Z39paged_attention_ll4mi_QKV_mfma16_kernelI14__hip_bfloat16S0_LN4vllm18Fp8KVCacheDataTypeE0EhLi16ELi64ELi256ELb0ELi2EL8MFMAType0EEvPKT_PKT0_S9_ifPKiSB_SB_iPKfiiiPfSE_PS4_PT2_iSD_SD_,"axG",@progbits,_Z39paged_attention_ll4mi_QKV_mfma16_kernelI14__hip_bfloat16S0_LN4vllm18Fp8KVCacheDataTypeE0EhLi16ELi64ELi256ELb0ELi2EL8MFMAType0EEvPKT_PKT0_S9_ifPKiSB_SB_iPKfiiiPfSE_PS4_PT2_iSD_SD_,comdat
	.protected	_Z39paged_attention_ll4mi_QKV_mfma16_kernelI14__hip_bfloat16S0_LN4vllm18Fp8KVCacheDataTypeE0EhLi16ELi64ELi256ELb0ELi2EL8MFMAType0EEvPKT_PKT0_S9_ifPKiSB_SB_iPKfiiiPfSE_PS4_PT2_iSD_SD_ ; -- Begin function _Z39paged_attention_ll4mi_QKV_mfma16_kernelI14__hip_bfloat16S0_LN4vllm18Fp8KVCacheDataTypeE0EhLi16ELi64ELi256ELb0ELi2EL8MFMAType0EEvPKT_PKT0_S9_ifPKiSB_SB_iPKfiiiPfSE_PS4_PT2_iSD_SD_
	.globl	_Z39paged_attention_ll4mi_QKV_mfma16_kernelI14__hip_bfloat16S0_LN4vllm18Fp8KVCacheDataTypeE0EhLi16ELi64ELi256ELb0ELi2EL8MFMAType0EEvPKT_PKT0_S9_ifPKiSB_SB_iPKfiiiPfSE_PS4_PT2_iSD_SD_
	.p2align	8
	.type	_Z39paged_attention_ll4mi_QKV_mfma16_kernelI14__hip_bfloat16S0_LN4vllm18Fp8KVCacheDataTypeE0EhLi16ELi64ELi256ELb0ELi2EL8MFMAType0EEvPKT_PKT0_S9_ifPKiSB_SB_iPKfiiiPfSE_PS4_PT2_iSD_SD_,@function
_Z39paged_attention_ll4mi_QKV_mfma16_kernelI14__hip_bfloat16S0_LN4vllm18Fp8KVCacheDataTypeE0EhLi16ELi64ELi256ELb0ELi2EL8MFMAType0EEvPKT_PKT0_S9_ifPKiSB_SB_iPKfiiiPfSE_PS4_PT2_iSD_SD_: ; @_Z39paged_attention_ll4mi_QKV_mfma16_kernelI14__hip_bfloat16S0_LN4vllm18Fp8KVCacheDataTypeE0EhLi16ELi64ELi256ELb0ELi2EL8MFMAType0EEvPKT_PKT0_S9_ifPKiSB_SB_iPKfiiiPfSE_PS4_PT2_iSD_SD_
; %bb.0:
	s_load_b64 s[2:3], s[0:1], 0x30
	s_mov_b32 s30, s13
	s_waitcnt lgkmcnt(0)
	s_cmp_lg_u64 s[2:3], 0
	s_cselect_b32 s8, -1, 0
	s_ashr_i32 s31, s13, 31
	s_cmp_eq_u64 s[2:3], 0
	s_cbranch_scc1 .LBB439_3
; %bb.1:
	s_lshl_b64 s[4:5], s[30:31], 2
	s_delay_alu instid0(SALU_CYCLE_1) | instskip(SKIP_4) | instid1(SALU_CYCLE_1)
	s_add_u32 s4, s2, s4
	s_addc_u32 s5, s3, s5
	s_load_b64 s[4:5], s[4:5], 0x0
	s_waitcnt lgkmcnt(0)
	s_sub_i32 s4, s5, s4
	s_cmp_eq_u32 s4, 1
	s_cselect_b32 s4, -1, 0
	s_delay_alu instid0(SALU_CYCLE_1)
	s_and_not1_b32 vcc_lo, exec_lo, s4
	s_cbranch_vccz .LBB439_4
.LBB439_2:
	s_endpgm
.LBB439_3:
.LBB439_4:
	s_load_b64 s[4:5], s[0:1], 0x28
	s_lshl_b64 s[6:7], s[30:31], 2
	s_waitcnt lgkmcnt(0)
	s_add_u32 s4, s4, s6
	s_addc_u32 s5, s5, s7
	s_lshl_b32 s33, s14, 8
	s_load_b32 s28, s[4:5], 0x0
	s_waitcnt lgkmcnt(0)
	s_cmp_ge_i32 s33, s28
	s_cbranch_scc1 .LBB439_2
; %bb.5:
	s_clause 0x1
	s_load_b128 s[20:23], s[0:1], 0x8
	s_load_b64 s[4:5], s[0:1], 0x20
	s_and_not1_b32 vcc_lo, exec_lo, s8
	s_cbranch_vccnz .LBB439_7
; %bb.6:
	s_add_u32 s2, s2, s6
	s_addc_u32 s3, s3, s7
	s_load_b32 s3, s[2:3], 0x0
	s_branch .LBB439_8
.LBB439_7:
	s_mov_b32 s3, s30
.LBB439_8:
	s_load_b128 s[16:19], s[0:1], 0x48
	v_and_b32_e32 v142, 15, v0
	v_bfe_u32 v141, v0, 4, 1
	s_lshl_b32 s31, s15, 1
	v_cmp_gt_u32_e32 vcc_lo, 32, v0
	v_and_b32_e32 v143, 31, v0
	v_lshlrev_b32_e32 v1, 3, v142
	v_cmp_gt_u32_e64 s2, 8, v142
	v_and_b32_e32 v140, 1, v0
	v_or_b32_e32 v139, s31, v141
	v_lshlrev_b32_e32 v138, 6, v141
	v_lshlrev_b32_e32 v137, 1, v1
	s_and_b32 s29, vcc_lo, s2
	s_delay_alu instid0(SALU_CYCLE_1)
	s_and_saveexec_b32 s2, s29
	s_cbranch_execz .LBB439_10
; %bb.9:
	s_load_b64 s[6:7], s[0:1], 0x0
	v_lshlrev_b32_e32 v1, 6, v139
	s_waitcnt lgkmcnt(0)
	s_mul_hi_i32 s9, s3, s16
	s_mul_i32 s8, s3, s16
	v_lshlrev_b32_e32 v5, 10, v142
	s_lshl_b64 s[8:9], s[8:9], 1
	v_ashrrev_i32_e32 v2, 31, v1
	v_lshlrev_b32_e32 v6, 10, v140
	s_delay_alu instid0(VALU_DEP_3) | instskip(NEXT) | instid1(VALU_DEP_3)
	v_and_b32_e32 v5, 0x3800, v5
	v_lshlrev_b64 v[1:2], 1, v[1:2]
	s_delay_alu instid0(VALU_DEP_2) | instskip(SKIP_2) | instid1(VALU_DEP_2)
	v_or3_b32 v5, v5, v6, v138
	s_add_u32 s3, s6, s8
	s_addc_u32 s6, s7, s9
	v_add_co_u32 v1, vcc_lo, s3, v1
	s_delay_alu instid0(VALU_DEP_3) | instskip(NEXT) | instid1(VALU_DEP_2)
	v_add_co_ci_u32_e32 v2, vcc_lo, s6, v2, vcc_lo
	v_add_co_u32 v1, vcc_lo, v1, v137
	s_delay_alu instid0(VALU_DEP_2)
	v_add_co_ci_u32_e32 v2, vcc_lo, 0, v2, vcc_lo
	global_load_b128 v[1:4], v[1:2], off
	s_waitcnt vmcnt(0)
	ds_store_b128 v5, v[1:4]
.LBB439_10:
	s_or_b32 exec_lo, exec_lo, s2
	v_and_b32_e32 v1, 0xef, v0
	s_waitcnt lgkmcnt(0)
	s_add_i32 s3, s28, 15
	s_clause 0x1
	s_load_b32 s2, s[0:1], 0x38
	s_load_b32 s34, s[0:1], 0x1c
	s_ashr_i32 s6, s3, 31
	v_add_nc_u32_e32 v1, s33, v1
	s_lshr_b32 s6, s6, 28
	s_waitcnt lgkmcnt(0)
	s_add_i32 s3, s3, s6
	s_barrier
	v_ashrrev_i32_e32 v2, 31, v1
	v_cmp_gt_i32_e32 vcc_lo, s28, v1
	s_ashr_i32 s16, s3, 4
	buffer_gl0_inv
	s_add_i32 s16, s16, -1
	v_lshrrev_b32_e32 v3, 28, v2
	v_or_b32_e32 v2, 16, v1
	v_lshlrev_b32_e32 v145, 6, v140
	v_lshrrev_b32_e32 v144, 5, v0
	v_lshlrev_b32_e32 v49, 5, v142
	v_add_nc_u32_e32 v4, v1, v3
	v_add_nc_u32_e32 v3, v2, v3
	s_mul_i32 s2, s30, s2
	s_delay_alu instid0(SALU_CYCLE_1) | instskip(NEXT) | instid1(VALU_DEP_2)
	s_ashr_i32 s3, s2, 31
	v_ashrrev_i32_e32 v4, 4, v4
	s_delay_alu instid0(VALU_DEP_2)
	v_ashrrev_i32_e32 v3, 4, v3
	s_lshl_b64 s[2:3], s[2:3], 2
	v_lshl_or_b32 v49, v144, 9, v49
	s_add_u32 s35, s4, s2
	v_cndmask_b32_e32 v1, s16, v4, vcc_lo
	v_cmp_gt_i32_e32 vcc_lo, s28, v2
	s_addc_u32 s36, s5, s3
	s_mul_i32 s2, s15, s18
	s_delay_alu instid0(SALU_CYCLE_1) | instskip(SKIP_3) | instid1(SALU_CYCLE_1)
	s_ashr_i32 s3, s2, 31
	v_cndmask_b32_e32 v3, s16, v3, vcc_lo
	v_ashrrev_i32_e32 v2, 31, v1
	s_lshl_b64 s[2:3], s[2:3], 1
	s_add_u32 s24, s20, s2
	s_delay_alu instid0(VALU_DEP_2) | instskip(NEXT) | instid1(VALU_DEP_2)
	v_ashrrev_i32_e32 v4, 31, v3
	v_lshlrev_b64 v[1:2], 2, v[1:2]
	s_addc_u32 s25, s21, s3
	s_lshl_b32 s4, s14, 4
	s_delay_alu instid0(VALU_DEP_2) | instskip(SKIP_1) | instid1(VALU_DEP_2)
	v_lshlrev_b64 v[3:4], 2, v[3:4]
	s_ashr_i32 s5, s4, 31
	v_add_co_u32 v1, vcc_lo, s35, v1
	v_add_co_ci_u32_e32 v2, vcc_lo, s36, v2, vcc_lo
	s_delay_alu instid0(VALU_DEP_3) | instskip(NEXT) | instid1(VALU_DEP_4)
	v_add_co_u32 v3, vcc_lo, s35, v3
	v_add_co_ci_u32_e32 v4, vcc_lo, s36, v4, vcc_lo
	s_lshl_b64 s[4:5], s[4:5], 2
	s_clause 0x1
	global_load_b32 v5, v[1:2], off
	global_load_b32 v6, v[3:4], off
	s_add_u32 s4, s35, s4
	s_addc_u32 s5, s36, s5
	s_or_b32 s6, s33, 16
	v_lshlrev_b32_e32 v3, 4, v0
	s_ashr_i32 s7, s6, 4
	s_cmp_lt_i32 s6, s28
	s_cselect_b32 s6, s7, s16
	s_delay_alu instid0(SALU_CYCLE_1) | instskip(NEXT) | instid1(SALU_CYCLE_1)
	s_ashr_i32 s7, s6, 31
	s_lshl_b64 s[6:7], s[6:7], 2
	s_delay_alu instid0(SALU_CYCLE_1) | instskip(SKIP_2) | instid1(SALU_CYCLE_1)
	s_add_u32 s6, s35, s6
	s_addc_u32 s7, s36, s7
	s_or_b32 s8, s33, 32
	s_ashr_i32 s9, s8, 4
	s_cmp_lt_i32 s8, s28
	s_cselect_b32 s8, s9, s16
	s_delay_alu instid0(SALU_CYCLE_1) | instskip(NEXT) | instid1(SALU_CYCLE_1)
	s_ashr_i32 s9, s8, 31
	s_lshl_b64 s[8:9], s[8:9], 2
	s_delay_alu instid0(SALU_CYCLE_1) | instskip(SKIP_2) | instid1(SALU_CYCLE_1)
	s_add_u32 s8, s35, s8
	s_addc_u32 s9, s36, s9
	s_or_b32 s10, s33, 48
	;; [unrolled: 10-line block ×4, first 2 shown]
	s_ashr_i32 s13, s12, 4
	s_cmp_lt_i32 s12, s28
	s_cselect_b32 s12, s13, s16
	s_delay_alu instid0(SALU_CYCLE_1) | instskip(NEXT) | instid1(SALU_CYCLE_1)
	s_ashr_i32 s13, s12, 31
	s_lshl_b64 s[12:13], s[12:13], 2
	s_delay_alu instid0(SALU_CYCLE_1)
	s_add_u32 s20, s35, s12
	s_addc_u32 s21, s36, s13
	s_clause 0x5
	s_load_b32 s37, s[4:5], 0x0
	s_load_b32 s27, s[6:7], 0x0
	;; [unrolled: 1-line block ×6, first 2 shown]
	s_waitcnt vmcnt(1)
	v_mad_i64_i32 v[1:2], null, v5, s17, 0
	v_and_b32_e32 v5, 0xf0, v3
	s_waitcnt vmcnt(0)
	v_mad_i64_i32 v[3:4], null, v6, s17, 0
	s_delay_alu instid0(VALU_DEP_2) | instskip(NEXT) | instid1(VALU_DEP_4)
	v_add_co_u32 v5, s4, s24, v5
	v_lshlrev_b64 v[1:2], 1, v[1:2]
	v_add_co_ci_u32_e64 v6, null, s25, 0, s4
	s_delay_alu instid0(VALU_DEP_4) | instskip(SKIP_1) | instid1(VALU_DEP_3)
	v_lshlrev_b64 v[3:4], 1, v[3:4]
	s_or_b32 s4, s33, 0x60
	v_add_co_u32 v41, vcc_lo, v5, v1
	s_delay_alu instid0(VALU_DEP_3) | instskip(NEXT) | instid1(VALU_DEP_3)
	v_add_co_ci_u32_e32 v42, vcc_lo, v6, v2, vcc_lo
	v_add_co_u32 v43, vcc_lo, v5, v3
	s_delay_alu instid0(VALU_DEP_4)
	v_add_co_ci_u32_e32 v44, vcc_lo, v6, v4, vcc_lo
	s_clause 0xf
	global_load_b128 v[17:20], v[41:42], off
	global_load_b128 v[21:24], v[41:42], off offset:256
	global_load_b128 v[33:36], v[43:44], off
	global_load_b128 v[37:40], v[43:44], off offset:256
	global_load_b128 v[1:4], v[41:42], off offset:512
	;; [unrolled: 1-line block ×13, first 2 shown]
	s_ashr_i32 s5, s4, 4
	s_cmp_lt_i32 s4, s28
	ds_load_b128 v[41:44], v145
	ds_load_b128 v[45:48], v145 offset:1024
	s_cselect_b32 s4, s5, s16
	ds_load_b128 v[170:173], v145 offset:2048
	ds_load_b128 v[174:177], v145 offset:3072
	s_ashr_i32 s5, s4, 31
	ds_load_b128 v[178:181], v145 offset:4096
	ds_load_b128 v[182:185], v145 offset:5120
	s_lshl_b64 s[4:5], s[4:5], 2
	s_delay_alu instid0(SALU_CYCLE_1) | instskip(SKIP_2) | instid1(SALU_CYCLE_1)
	s_add_u32 s18, s35, s4
	s_addc_u32 s19, s36, s5
	s_or_b32 s4, s33, 0x70
	s_ashr_i32 s5, s4, 4
	s_cmp_lt_i32 s4, s28
	s_cselect_b32 s4, s5, s16
	s_delay_alu instid0(SALU_CYCLE_1) | instskip(NEXT) | instid1(SALU_CYCLE_1)
	s_ashr_i32 s5, s4, 31
	s_lshl_b64 s[6:7], s[4:5], 2
	s_mov_b32 s4, 0
	s_add_u32 s20, s35, s6
	s_addc_u32 s21, s36, s7
	s_or_b32 s5, s33, 0x80
	s_mov_b32 s11, s4
	s_ashr_i32 s6, s5, 4
	s_cmp_lt_i32 s5, s28
	s_mov_b32 s5, s4
	s_cselect_b32 s6, s6, s16
	s_mov_b32 s10, s4
	s_ashr_i32 s7, s6, 31
	s_load_b32 s46, s[20:21], 0x0
	s_lshl_b64 s[8:9], s[6:7], 2
	s_mov_b32 s6, s4
	s_add_u32 s24, s35, s8
	s_addc_u32 s25, s36, s9
	s_or_b32 s8, s33, 0x90
	s_load_b32 s47, s[24:25], 0x0
	s_ashr_i32 s9, s8, 4
	s_cmp_lt_i32 s8, s28
	s_mov_b32 s7, s4
	s_cselect_b32 s38, s9, s16
	s_mov_b32 s8, s4
	s_ashr_i32 s39, s38, 31
	s_mov_b32 s9, s4
	s_lshl_b64 s[38:39], s[38:39], 2
	v_mov_b32_e32 v136, s11
	s_add_u32 s38, s35, s38
	s_addc_u32 s39, s36, s39
	s_or_b32 s40, s33, 0xa0
	v_mov_b32_e32 v135, s10
	s_ashr_i32 s41, s40, 4
	s_cmp_lt_i32 s40, s28
	s_load_b32 s40, s[38:39], 0x0
	v_dual_mov_b32 v134, s9 :: v_dual_mov_b32 v133, s8
	v_dual_mov_b32 v132, s7 :: v_dual_mov_b32 v131, s6
	v_dual_mov_b32 v130, s5 :: v_dual_mov_b32 v129, s4
	s_cselect_b32 s4, s41, s16
	s_waitcnt lgkmcnt(0)
	s_mul_hi_i32 s7, s27, s17
	s_ashr_i32 s5, s4, 31
	s_load_b32 s41, s[18:19], 0x0
	s_lshl_b64 s[4:5], s[4:5], 2
	s_mul_hi_i32 s19, s15, s17
	s_add_u32 s42, s35, s4
	s_addc_u32 s43, s36, s5
	s_or_b32 s4, s33, 0xb0
	s_mul_hi_i32 s5, s37, s17
	s_ashr_i32 s6, s4, 4
	s_cmp_lt_i32 s4, s28
	s_mul_i32 s4, s37, s17
	s_cselect_b32 s8, s6, s16
	s_mul_i32 s6, s27, s17
	s_ashr_i32 s9, s8, 31
	s_load_b32 s39, s[42:43], 0x0
	s_lshl_b64 s[8:9], s[8:9], 2
	s_mul_hi_i32 s25, s46, s17
	s_add_u32 s44, s35, s8
	s_addc_u32 s45, s36, s9
	s_or_b32 s8, s33, 0xc0
	s_mul_hi_i32 s9, s26, s17
	s_ashr_i32 s10, s8, 4
	s_cmp_lt_i32 s8, s28
	s_mul_i32 s8, s26, s17
	s_cselect_b32 s26, s10, s16
	s_mul_i32 s24, s46, s17
	s_ashr_i32 s27, s26, 31
	s_mul_hi_i32 s11, s13, s17
	s_lshl_b64 s[26:27], s[26:27], 2
	s_mul_i32 s10, s13, s17
	s_add_u32 s26, s35, s26
	s_addc_u32 s27, s36, s27
	s_or_b32 s37, s33, 0xd0
	s_mul_hi_i32 s13, s12, s17
	s_ashr_i32 s18, s37, 4
	s_cmp_lt_i32 s37, s28
	s_mul_i32 s12, s12, s17
	s_cselect_b32 s20, s18, s16
	s_mul_i32 s18, s15, s17
	s_ashr_i32 s21, s20, 31
	s_delay_alu instid0(SALU_CYCLE_1) | instskip(NEXT) | instid1(SALU_CYCLE_1)
	s_lshl_b64 s[20:21], s[20:21], 2
	s_add_u32 s20, s35, s20
	s_addc_u32 s21, s36, s21
	s_or_b32 s42, s33, 0xe0
	s_clause 0x2
	s_load_b32 s38, s[44:45], 0x0
	s_load_b32 s37, s[26:27], 0x0
	;; [unrolled: 1-line block ×3, first 2 shown]
	s_ashr_i32 s43, s42, 4
	s_cmp_lt_i32 s42, s28
	s_mul_hi_i32 s27, s47, s17
	s_cselect_b32 s42, s43, s16
	s_mul_i32 s26, s47, s17
	s_ashr_i32 s43, s42, 31
	s_waitcnt lgkmcnt(0)
	s_mul_hi_i32 s21, s41, s17
	s_lshl_b64 s[42:43], s[42:43], 2
	s_mul_i32 s20, s41, s17
	s_add_u32 s42, s35, s42
	s_addc_u32 s43, s36, s43
	s_or_b32 s46, s33, 0xf0
	s_mul_hi_i32 s41, s40, s17
	s_ashr_i32 s47, s46, 4
	s_cmp_lt_i32 s46, s28
	s_mul_i32 s40, s40, s17
	s_cselect_b32 s46, s47, s16
	s_mul_hi_i32 s45, s39, s17
	s_ashr_i32 s47, s46, 31
	s_mul_hi_i32 s51, s15, s17
	s_lshl_b64 s[46:47], s[46:47], 2
	s_mul_i32 s50, s15, s17
	s_add_u32 s46, s35, s46
	s_addc_u32 s47, s36, s47
	s_add_u32 s15, s22, s2
	s_addc_u32 s16, s23, s3
	v_add_co_u32 v200, s15, s15, v49
	s_delay_alu instid0(VALU_DEP_1) | instskip(SKIP_2) | instid1(VALU_DEP_2)
	v_add_co_ci_u32_e64 v201, null, s16, 0, s15
	s_lshl_b64 s[2:3], s[4:5], 1
	s_lshl_b64 s[4:5], s[6:7], 1
	v_add_co_u32 v49, vcc_lo, v200, s2
	s_delay_alu instid0(VALU_DEP_2)
	v_add_co_ci_u32_e32 v50, vcc_lo, s3, v201, vcc_lo
	v_add_co_u32 v51, vcc_lo, v200, s4
	s_lshl_b64 s[6:7], s[8:9], 1
	v_add_co_ci_u32_e32 v52, vcc_lo, s5, v201, vcc_lo
	v_add_co_u32 v53, vcc_lo, v200, s6
	s_lshl_b64 s[8:9], s[10:11], 1
	;; [unrolled: 3-line block ×7, first 2 shown]
	v_add_co_ci_u32_e32 v64, vcc_lo, s21, v201, vcc_lo
	s_clause 0x1
	s_load_b32 s15, s[42:43], 0x0
	s_load_b32 s16, s[46:47], 0x0
	v_add_co_u32 v69, vcc_lo, v200, s22
	s_lshl_b64 s[24:25], s[40:41], 1
	s_mul_i32 s44, s39, s17
	v_add_co_ci_u32_e32 v70, vcc_lo, s23, v201, vcc_lo
	v_add_co_u32 v194, vcc_lo, v200, s24
	s_lshl_b64 s[26:27], s[44:45], 1
	s_mul_hi_i32 s39, s38, s17
	s_mul_i32 s38, s38, s17
	v_add_co_ci_u32_e32 v195, vcc_lo, s25, v201, vcc_lo
	v_add_co_u32 v196, vcc_lo, v200, s26
	s_mul_hi_i32 s49, s37, s17
	s_mul_i32 s48, s37, s17
	s_lshl_b64 s[36:37], s[38:39], 1
	v_add_co_ci_u32_e32 v197, vcc_lo, s27, v201, vcc_lo
	v_add_co_u32 v198, vcc_lo, v200, s36
	s_lshl_b64 s[38:39], s[48:49], 1
	v_add_co_ci_u32_e32 v199, vcc_lo, s37, v201, vcc_lo
	s_lshl_b64 s[2:3], s[50:51], 1
	s_clause 0x11
	global_load_b128 v[121:124], v[49:50], off
	global_load_b128 v[125:128], v[49:50], off offset:16
	global_load_b128 v[113:116], v[51:52], off
	global_load_b128 v[117:120], v[51:52], off offset:16
	;; [unrolled: 2-line block ×9, first 2 shown]
	s_waitcnt lgkmcnt(0)
	s_mul_hi_i32 s5, s15, s17
	s_mul_i32 s4, s15, s17
	s_waitcnt vmcnt(32)
	v_wmma_f32_16x16x16_bf16 v[186:193], v[17:24], v[41:48], v[129:136]
	s_waitcnt vmcnt(30)
	v_wmma_f32_16x16x16_bf16 v[129:136], v[33:40], v[41:48], v[129:136]
	v_add_co_u32 v33, vcc_lo, v200, s38
	v_add_co_ci_u32_e32 v34, vcc_lo, s39, v201, vcc_lo
	s_clause 0x5
	global_load_b128 v[49:52], v[194:195], off
	global_load_b128 v[53:56], v[194:195], off offset:16
	global_load_b128 v[41:44], v[196:197], off
	global_load_b128 v[45:48], v[196:197], off offset:16
	global_load_b128 v[17:20], v[198:199], off
	global_load_b128 v[21:24], v[198:199], off offset:16
	s_waitcnt vmcnt(34)
	v_wmma_f32_16x16x16_bf16 v[186:193], v[1:8], v[170:177], v[186:193]
	s_clause 0x1
	global_load_b128 v[1:4], v[33:34], off
	global_load_b128 v[5:8], v[33:34], off offset:16
	v_add_co_u32 v33, vcc_lo, v200, s2
	v_add_co_ci_u32_e32 v34, vcc_lo, s3, v201, vcc_lo
	s_lshl_b64 s[2:3], s[4:5], 1
	s_mul_hi_i32 s5, s16, s17
	s_mul_i32 s4, s16, s17
	v_add_co_u32 v37, vcc_lo, v200, s2
	v_add_co_ci_u32_e32 v38, vcc_lo, s3, v201, vcc_lo
	s_lshl_b64 s[2:3], s[4:5], 1
	s_waitcnt vmcnt(34)
	v_wmma_f32_16x16x16_bf16 v[129:136], v[25:32], v[170:177], v[129:136]
	v_add_co_u32 v170, vcc_lo, v200, s2
	v_add_co_ci_u32_e32 v171, vcc_lo, s3, v201, vcc_lo
	s_clause 0x3
	global_load_b128 v[25:28], v[33:34], off
	global_load_b128 v[29:32], v[33:34], off offset:16
	global_load_b128 v[33:36], v[37:38], off
	global_load_b128 v[37:40], v[37:38], off offset:16
	s_waitcnt vmcnt(36)
	v_wmma_f32_16x16x16_bf16 v[186:193], v[9:16], v[178:185], v[186:193]
	s_clause 0x1
	global_load_b128 v[9:12], v[170:171], off
	global_load_b128 v[13:16], v[170:171], off offset:16
	s_waitcnt vmcnt(36)
	v_wmma_f32_16x16x16_bf16 v[129:136], v[146:153], v[178:185], v[129:136]
	ds_load_b128 v[146:149], v145 offset:6144
	ds_load_b128 v[150:153], v145 offset:7168
	v_and_b32_e32 v170, 0xe0, v0
	v_mbcnt_lo_u32_b32 v171, -1, 0
	s_waitcnt vmcnt(0) lgkmcnt(0)
	s_barrier
	buffer_gl0_inv
	v_add_nc_u32_e32 v170, s33, v170
	v_xor_b32_e32 v145, 16, v171
	s_delay_alu instid0(VALU_DEP_2) | instskip(NEXT) | instid1(VALU_DEP_2)
	v_or_b32_e32 v170, v170, v141
	v_cmp_gt_i32_e32 vcc_lo, 32, v145
	s_delay_alu instid0(VALU_DEP_2)
	v_or_b32_e32 v172, 4, v170
	v_or_b32_e32 v173, 6, v170
	;; [unrolled: 1-line block ×4, first 2 shown]
	v_wmma_f32_16x16x16_bf16 v[186:193], v[154:161], v[146:153], v[186:193]
	v_wmma_f32_16x16x16_bf16 v[129:136], v[162:169], v[146:153], v[129:136]
	v_cndmask_b32_e32 v145, v171, v145, vcc_lo
	v_or_b32_e32 v171, 2, v170
	v_cmp_gt_i32_e32 vcc_lo, s28, v170
	v_mul_f32_e32 v152, s34, v187
	v_dual_mul_f32 v158, s34, v135 :: v_dual_mul_f32 v153, s34, v186
	s_delay_alu instid0(VALU_DEP_4) | instskip(SKIP_2) | instid1(VALU_DEP_4)
	v_cmp_gt_i32_e64 s2, s28, v171
	v_dual_mul_f32 v150, s34, v189 :: v_dual_mul_f32 v151, s34, v188
	v_mul_f32_e32 v164, s34, v129
	v_cndmask_b32_e32 v153, 0xff7fffff, v153, vcc_lo
	s_delay_alu instid0(VALU_DEP_4)
	v_cndmask_b32_e64 v152, 0xff7fffff, v152, s2
	v_cmp_gt_i32_e64 s3, s28, v172
	v_cmp_gt_i32_e64 s4, s28, v173
	v_or_b32_e32 v176, 12, v170
	v_or_b32_e32 v177, 14, v170
	v_dual_mul_f32 v148, s34, v191 :: v_dual_mul_f32 v149, s34, v190
	v_mul_f32_e32 v162, s34, v131
	v_cndmask_b32_e64 v151, 0xff7fffff, v151, s3
	v_cndmask_b32_e64 v150, 0xff7fffff, v150, s4
	v_max3_f32 v152, v153, 0xff7fffff, v152
	v_cmp_gt_i32_e64 s5, s28, v174
	v_cmp_gt_i32_e64 s6, s28, v175
	v_or_b32_e32 v178, 16, v170
	v_or_b32_e32 v179, 18, v170
	v_dual_mul_f32 v146, s34, v193 :: v_dual_mul_f32 v147, s34, v192
	v_mul_f32_e32 v160, s34, v133
	v_cndmask_b32_e64 v149, 0xff7fffff, v149, s5
	v_cndmask_b32_e64 v148, 0xff7fffff, v148, s6
	v_max3_f32 v150, v152, v151, v150
	v_cmp_gt_i32_e64 s7, s28, v176
	v_cmp_gt_i32_e64 s8, s28, v177
	v_or_b32_e32 v180, 20, v170
	v_or_b32_e32 v181, 22, v170
	v_mul_f32_e32 v163, s34, v130
	v_cndmask_b32_e64 v147, 0xff7fffff, v147, s7
	v_cndmask_b32_e64 v146, 0xff7fffff, v146, s8
	v_max3_f32 v148, v150, v149, v148
	v_cmp_gt_i32_e64 s9, s28, v178
	v_cmp_gt_i32_e64 s10, s28, v179
	v_or_b32_e32 v182, 24, v170
	v_or_b32_e32 v154, 26, v170
	;; [unrolled: 8-line block ×3, first 2 shown]
	v_mul_f32_e32 v159, s34, v134
	v_cndmask_b32_e64 v147, 0xff7fffff, v162, s11
	v_cndmask_b32_e64 v148, 0xff7fffff, v161, s12
	v_max3_f32 v146, v146, v149, v150
	v_cmp_gt_i32_e64 s13, s28, v182
	v_cmp_gt_i32_e64 s15, s28, v154
	v_mul_f32_e32 v157, s34, v136
	v_cmp_gt_i32_e64 s16, s28, v155
	v_max3_f32 v146, v146, v147, v148
	v_cndmask_b32_e64 v149, 0xff7fffff, v160, s13
	v_cndmask_b32_e64 v150, 0xff7fffff, v159, s15
	v_cmp_gt_i32_e64 s17, s28, v156
	v_cndmask_b32_e64 v147, 0xff7fffff, v158, s16
	v_lshlrev_b32_e32 v156, 2, v145
	s_delay_alu instid0(VALU_DEP_4) | instskip(NEXT) | instid1(VALU_DEP_4)
	v_max3_f32 v146, v146, v149, v150
	v_cndmask_b32_e64 v148, 0xff7fffff, v157, s17
	s_delay_alu instid0(VALU_DEP_1) | instskip(SKIP_3) | instid1(VALU_DEP_1)
	v_max3_f32 v145, v146, v147, v148
	ds_bpermute_b32 v146, v156, v145
	s_waitcnt lgkmcnt(0)
	v_max_f32_e32 v146, v146, v146
	v_max_f32_e32 v155, v145, v146
	s_delay_alu instid0(VALU_DEP_1) | instskip(NEXT) | instid1(VALU_DEP_1)
	v_fma_f32 v152, s34, v192, -v155
	v_mul_f32_e32 v152, 0x3fb8aa3b, v152
	v_fma_f32 v149, s34, v190, -v155
	v_fma_f32 v145, s34, v186, -v155
	;; [unrolled: 1-line block ×4, first 2 shown]
	v_exp_f32_e32 v154, v152
	v_mul_f32_e32 v149, 0x3fb8aa3b, v149
	v_fma_f32 v130, s34, v130, -v155
	v_mul_f32_e32 v146, 0x3fb8aa3b, v146
	v_mul_f32_e32 v148, 0x3fb8aa3b, v148
	v_fma_f32 v147, s34, v188, -v155
	v_exp_f32_e32 v153, v149
	v_mul_f32_e32 v130, 0x3fb8aa3b, v130
	v_exp_f32_e32 v146, v146
	v_exp_f32_e32 v151, v148
	v_fma_f32 v150, s34, v191, -v155
	v_fma_f32 v129, s34, v129, -v155
	v_fma_f32 v132, s34, v132, -v155
	v_fma_f32 v131, s34, v131, -v155
	v_exp_f32_e32 v130, v130
	v_mul_f32_e32 v150, 0x3fb8aa3b, v150
	v_cndmask_b32_e64 v152, 0, v153, s5
	v_mul_f32_e32 v145, 0x3fb8aa3b, v145
	v_cndmask_b32_e64 v148, 0, v146, s2
	v_cndmask_b32_e64 v151, 0, v151, s4
	v_exp_f32_e32 v150, v150
	v_dual_mul_f32 v129, 0x3fb8aa3b, v129 :: v_dual_mul_f32 v132, 0x3fb8aa3b, v132
	v_exp_f32_e32 v145, v145
	v_fma_f32 v134, s34, v134, -v155
	v_mul_f32_e32 v131, 0x3fb8aa3b, v131
	s_delay_alu instid0(VALU_DEP_3) | instskip(SKIP_3) | instid1(TRANS32_DEP_3)
	v_exp_f32_e32 v129, v129
	v_fma_f32 v133, s34, v133, -v155
	v_fma_f32 v136, s34, v136, -v155
	v_mul_f32_e32 v134, 0x3fb8aa3b, v134
	v_cndmask_b32_e64 v153, 0, v150, s6
	v_cndmask_b32_e64 v150, 0, v154, s7
	s_mov_b32 s2, exec_lo
	v_cndmask_b32_e32 v145, 0, v145, vcc_lo
	s_delay_alu instid0(VALU_DEP_1) | instskip(NEXT) | instid1(VALU_DEP_1)
	v_add_f32_e32 v146, 0, v145
	v_dual_add_f32 v146, v146, v148 :: v_dual_mul_f32 v147, 0x3fb8aa3b, v147
	s_delay_alu instid0(VALU_DEP_1) | instskip(SKIP_3) | instid1(VALU_DEP_2)
	v_exp_f32_e32 v147, v147
	s_waitcnt_depctr 0xfff
	v_cndmask_b32_e64 v149, 0, v147, s3
	v_fma_f32 v147, s34, v193, -v155
	v_add_f32_e32 v146, v146, v149
	s_delay_alu instid0(VALU_DEP_1) | instskip(NEXT) | instid1(VALU_DEP_1)
	v_add_f32_e32 v146, v146, v151
	v_dual_add_f32 v146, v146, v152 :: v_dual_mul_f32 v147, 0x3fb8aa3b, v147
	s_delay_alu instid0(VALU_DEP_1) | instskip(NEXT) | instid1(VALU_DEP_2)
	v_add_f32_e32 v146, v146, v153
	v_exp_f32_e32 v147, v147
	s_delay_alu instid0(VALU_DEP_1) | instskip(SKIP_4) | instid1(VALU_DEP_2)
	v_add_f32_e32 v146, v146, v150
	s_waitcnt_depctr 0xfff
	v_cndmask_b32_e64 v154, 0, v147, s8
	v_exp_f32_e32 v147, v131
	v_cndmask_b32_e64 v131, 0, v129, s9
	v_add_f32_e32 v129, v146, v154
	v_exp_f32_e32 v146, v132
	v_cndmask_b32_e64 v132, 0, v130, s10
	v_fma_f32 v130, s34, v135, -v155
	s_delay_alu instid0(VALU_DEP_1) | instskip(NEXT) | instid1(VALU_DEP_1)
	v_dual_mul_f32 v133, 0x3fb8aa3b, v133 :: v_dual_mul_f32 v130, 0x3fb8aa3b, v130
	v_exp_f32_e32 v135, v133
	s_delay_alu instid0(TRANS32_DEP_3) | instskip(SKIP_1) | instid1(TRANS32_DEP_3)
	v_cndmask_b32_e64 v133, 0, v147, s11
	v_exp_f32_e32 v147, v134
	v_cndmask_b32_e64 v134, 0, v146, s12
	v_dual_mul_f32 v146, 0x3fb8aa3b, v136 :: v_dual_add_f32 v129, v129, v131
	v_exp_f32_e32 v130, v130
	s_delay_alu instid0(VALU_DEP_1) | instskip(NEXT) | instid1(TRANS32_DEP_3)
	v_add_f32_e32 v129, v129, v132
	v_cndmask_b32_e64 v135, 0, v135, s13
	s_waitcnt_depctr 0xfff
	v_cndmask_b32_e64 v136, 0, v147, s15
	v_exp_f32_e32 v147, v146
	v_add_f32_e32 v129, v129, v133
	v_cndmask_b32_e64 v146, 0, v130, s16
	s_delay_alu instid0(VALU_DEP_2) | instskip(SKIP_3) | instid1(VALU_DEP_1)
	v_add_f32_e32 v129, v129, v134
	s_waitcnt_depctr 0xfff
	v_cndmask_b32_e64 v147, 0, v147, s17
	v_add_f32_e32 v129, v129, v135
	v_add_f32_e32 v129, v129, v136
	s_delay_alu instid0(VALU_DEP_1) | instskip(NEXT) | instid1(VALU_DEP_1)
	v_add_f32_e32 v129, v129, v146
	v_add_f32_e32 v129, v129, v147
	ds_bpermute_b32 v130, v156, v129
	v_cmpx_gt_u32_e32 16, v143
	s_cbranch_execz .LBB439_12
; %bb.11:
	v_mul_u32_u24_e32 v143, 0x44, v144
	s_delay_alu instid0(VALU_DEP_1) | instskip(SKIP_1) | instid1(VALU_DEP_1)
	v_lshl_add_u32 v143, v142, 2, v143
	s_waitcnt lgkmcnt(0)
	v_dual_add_f32 v129, v129, v130 :: v_dual_add_nc_u32 v130, 0x4000, v143
	ds_store_2addr_b32 v130, v155, v129 offset1:136
.LBB439_12:
	s_or_b32 exec_lo, exec_lo, s2
	v_lshlrev_b32_e32 v129, 2, v142
	s_waitcnt lgkmcnt(0)
	s_barrier
	buffer_gl0_inv
	v_cmp_eq_u32_e32 vcc_lo, 1, v144
	v_add_nc_u32_e32 v143, 0x4000, v129
	v_cmp_eq_u32_e64 s2, 2, v144
	v_cmp_eq_u32_e64 s4, 7, v144
	ds_load_2addr_b32 v[155:156], v143 offset1:17
	ds_load_2addr_b32 v[157:158], v143 offset0:34 offset1:51
	ds_load_2addr_b32 v[159:160], v143 offset0:68 offset1:85
	;; [unrolled: 1-line block ×4, first 2 shown]
	s_waitcnt lgkmcnt(4)
	v_max3_f32 v129, v155, 0xff7fffff, v156
	s_waitcnt lgkmcnt(3)
	s_delay_alu instid0(VALU_DEP_1) | instskip(SKIP_1) | instid1(VALU_DEP_1)
	v_max3_f32 v129, v129, v157, v158
	s_waitcnt lgkmcnt(2)
	v_max3_f32 v129, v129, v159, v160
	s_waitcnt lgkmcnt(1)
	s_delay_alu instid0(VALU_DEP_1) | instskip(NEXT) | instid1(VALU_DEP_1)
	v_max3_f32 v129, v129, v161, v162
	v_sub_f32_e32 v159, v159, v129
	s_delay_alu instid0(VALU_DEP_1) | instskip(NEXT) | instid1(VALU_DEP_1)
	v_dual_sub_f32 v130, v155, v129 :: v_dual_mul_f32 v169, 0x3fb8aa3b, v159
	v_dual_sub_f32 v165, v156, v129 :: v_dual_mul_f32 v130, 0x3fb8aa3b, v130
	ds_load_2addr_b32 v[155:156], v143 offset0:170 offset1:187
	v_exp_f32_e32 v166, v130
	v_sub_f32_e32 v130, v158, v129
	s_delay_alu instid0(VALU_DEP_1) | instskip(NEXT) | instid1(VALU_DEP_1)
	v_dual_sub_f32 v157, v157, v129 :: v_dual_mul_f32 v168, 0x3fb8aa3b, v130
	v_mul_f32_e32 v167, 0x3fb8aa3b, v157
	s_waitcnt lgkmcnt(1)
	s_waitcnt_depctr 0xfff
	v_fma_f32 v130, v166, v163, 0
	v_exp_f32_e32 v168, v168
	v_mul_f32_e32 v165, 0x3fb8aa3b, v165
	v_exp_f32_e32 v167, v167
	v_sub_f32_e32 v163, v160, v129
	s_delay_alu instid0(VALU_DEP_2) | instskip(SKIP_3) | instid1(VALU_DEP_1)
	v_exp_f32_e32 v165, v165
	s_waitcnt_depctr 0xfff
	v_fmac_f32_e32 v130, v165, v164
	s_waitcnt lgkmcnt(0)
	v_fmac_f32_e32 v130, v167, v155
	ds_load_2addr_b32 v[157:158], v143 offset0:204 offset1:221
	v_sub_f32_e32 v155, v162, v129
	ds_load_2addr_b32 v[159:160], v143 offset0:238 offset1:255
	s_waitcnt lgkmcnt(0)
	v_fmac_f32_e32 v130, v168, v156
	s_barrier
	v_mul_f32_e32 v155, 0x3fb8aa3b, v155
	buffer_gl0_inv
	v_exp_f32_e32 v155, v155
	v_sub_f32_e32 v143, v161, v129
	v_mul_f32_e32 v161, 0x3fb8aa3b, v163
	v_exp_f32_e32 v163, v169
	s_delay_alu instid0(VALU_DEP_2) | instskip(NEXT) | instid1(VALU_DEP_2)
	v_mul_f32_e32 v143, 0x3fb8aa3b, v143
	v_exp_f32_e32 v161, v161
	s_waitcnt_depctr 0xfff
	v_fmac_f32_e32 v130, v163, v157
	v_exp_f32_e32 v143, v143
	s_delay_alu instid0(VALU_DEP_1) | instskip(SKIP_2) | instid1(VALU_DEP_1)
	v_fmac_f32_e32 v130, v161, v158
	s_waitcnt_depctr 0xfff
	v_fmac_f32_e32 v130, v143, v159
	v_fmac_f32_e32 v130, v155, v160
	s_delay_alu instid0(VALU_DEP_1) | instskip(NEXT) | instid1(VALU_DEP_1)
	v_add_f32_e32 v156, 0x358637bd, v130
	v_div_scale_f32 v157, null, v156, v156, 1.0
	v_div_scale_f32 v160, s3, 1.0, v156, 1.0
	s_delay_alu instid0(VALU_DEP_2) | instskip(SKIP_2) | instid1(VALU_DEP_1)
	v_rcp_f32_e32 v158, v157
	s_waitcnt_depctr 0xfff
	v_fma_f32 v159, -v157, v158, 1.0
	v_fmac_f32_e32 v158, v159, v158
	s_delay_alu instid0(VALU_DEP_1) | instskip(NEXT) | instid1(VALU_DEP_1)
	v_mul_f32_e32 v162, v160, v158
	v_fma_f32 v164, -v157, v162, v160
	v_cndmask_b32_e32 v159, v166, v165, vcc_lo
	v_cmp_eq_u32_e32 vcc_lo, 3, v144
	s_delay_alu instid0(VALU_DEP_3) | instskip(NEXT) | instid1(VALU_DEP_3)
	v_fmac_f32_e32 v162, v164, v158
	v_cndmask_b32_e64 v159, v159, v167, s2
	v_cmp_eq_u32_e64 s2, 4, v144
	s_delay_alu instid0(VALU_DEP_3) | instskip(NEXT) | instid1(VALU_DEP_3)
	v_fma_f32 v157, -v157, v162, v160
	v_cndmask_b32_e32 v159, v159, v168, vcc_lo
	v_cmp_eq_u32_e32 vcc_lo, 5, v144
	s_delay_alu instid0(VALU_DEP_2) | instskip(SKIP_1) | instid1(VALU_DEP_2)
	v_cndmask_b32_e64 v159, v159, v163, s2
	v_cmp_eq_u32_e64 s2, 6, v144
	v_cndmask_b32_e32 v159, v159, v161, vcc_lo
	s_mov_b32 vcc_lo, s3
	v_div_fmas_f32 v157, v157, v158, v162
	s_delay_alu instid0(VALU_DEP_2) | instskip(SKIP_1) | instid1(VALU_DEP_2)
	v_cndmask_b32_e64 v143, v159, v143, s2
	s_mov_b32 s2, exec_lo
	v_div_fixup_f32 v156, v157, v156, 1.0
	s_delay_alu instid0(VALU_DEP_2) | instskip(NEXT) | instid1(VALU_DEP_1)
	v_cndmask_b32_e64 v143, v143, v155, s4
	v_mul_f32_e32 v143, v143, v156
	s_delay_alu instid0(VALU_DEP_1)
	v_mul_f32_e32 v156, v143, v145
	v_mul_f32_e32 v145, v143, v154
	;; [unrolled: 1-line block ×5, first 2 shown]
	v_and_b32_e32 v157, 0x7f800000, v156
	v_mul_f32_e32 v155, v143, v151
	v_mul_f32_e32 v152, v143, v149
	;; [unrolled: 1-line block ×3, first 2 shown]
                                        ; implicit-def: $vgpr148
	s_delay_alu instid0(VALU_DEP_4)
	v_cmpx_ne_u32_e32 0x7f800000, v157
	s_xor_b32 s2, exec_lo, s2
; %bb.13:
	v_bfe_u32 v148, v156, 16, 1
	s_delay_alu instid0(VALU_DEP_1)
	v_add3_u32 v148, v156, v148, 0x7fff
                                        ; implicit-def: $vgpr156
; %bb.14:
	s_and_not1_saveexec_b32 s2, s2
; %bb.15:
	v_and_b32_e32 v148, 0xffff, v156
	v_or_b32_e32 v149, 0x10000, v156
	s_delay_alu instid0(VALU_DEP_2) | instskip(NEXT) | instid1(VALU_DEP_2)
	v_cmp_eq_u32_e32 vcc_lo, 0, v148
	v_cndmask_b32_e32 v148, v149, v156, vcc_lo
; %bb.16:
	s_or_b32 exec_lo, exec_lo, s2
	v_and_b32_e32 v149, 0x7f800000, v151
	s_delay_alu instid0(VALU_DEP_1) | instskip(SKIP_1) | instid1(SALU_CYCLE_1)
	v_cmp_ne_u32_e32 vcc_lo, 0x7f800000, v149
                                        ; implicit-def: $vgpr149
	s_and_saveexec_b32 s2, vcc_lo
	s_xor_b32 s2, exec_lo, s2
; %bb.17:
	v_bfe_u32 v149, v151, 16, 1
	s_delay_alu instid0(VALU_DEP_1)
	v_add3_u32 v149, v151, v149, 0x7fff
                                        ; implicit-def: $vgpr151
; %bb.18:
	s_and_not1_saveexec_b32 s2, s2
; %bb.19:
	v_and_b32_e32 v149, 0xffff, v151
	v_or_b32_e32 v156, 0x10000, v151
	s_delay_alu instid0(VALU_DEP_2) | instskip(NEXT) | instid1(VALU_DEP_2)
	v_cmp_eq_u32_e32 vcc_lo, 0, v149
	v_cndmask_b32_e32 v149, v156, v151, vcc_lo
; %bb.20:
	s_or_b32 exec_lo, exec_lo, s2
	v_and_b32_e32 v151, 0x7f800000, v152
	s_delay_alu instid0(VALU_DEP_1) | instskip(SKIP_1) | instid1(SALU_CYCLE_1)
	v_cmp_ne_u32_e32 vcc_lo, 0x7f800000, v151
                                        ; implicit-def: $vgpr151
	s_and_saveexec_b32 s2, vcc_lo
	s_xor_b32 s2, exec_lo, s2
; %bb.21:
	v_bfe_u32 v151, v152, 16, 1
	s_delay_alu instid0(VALU_DEP_1)
	v_add3_u32 v151, v152, v151, 0x7fff
                                        ; implicit-def: $vgpr152
; %bb.22:
	s_and_not1_saveexec_b32 s2, s2
; %bb.23:
	v_and_b32_e32 v151, 0xffff, v152
	v_or_b32_e32 v156, 0x10000, v152
	s_delay_alu instid0(VALU_DEP_2) | instskip(NEXT) | instid1(VALU_DEP_2)
	v_cmp_eq_u32_e32 vcc_lo, 0, v151
	v_cndmask_b32_e32 v151, v156, v152, vcc_lo
; %bb.24:
	s_or_b32 exec_lo, exec_lo, s2
	v_and_b32_e32 v152, 0x7f800000, v155
	s_delay_alu instid0(VALU_DEP_1) | instskip(SKIP_1) | instid1(SALU_CYCLE_1)
	v_cmp_ne_u32_e32 vcc_lo, 0x7f800000, v152
                                        ; implicit-def: $vgpr152
	s_and_saveexec_b32 s2, vcc_lo
	s_xor_b32 s2, exec_lo, s2
; %bb.25:
	v_bfe_u32 v152, v155, 16, 1
	s_delay_alu instid0(VALU_DEP_1)
	v_add3_u32 v152, v155, v152, 0x7fff
                                        ; implicit-def: $vgpr155
; %bb.26:
	s_and_not1_saveexec_b32 s2, s2
; %bb.27:
	v_and_b32_e32 v152, 0xffff, v155
	v_or_b32_e32 v156, 0x10000, v155
	s_delay_alu instid0(VALU_DEP_2) | instskip(NEXT) | instid1(VALU_DEP_2)
	v_cmp_eq_u32_e32 vcc_lo, 0, v152
	v_cndmask_b32_e32 v152, v156, v155, vcc_lo
; %bb.28:
	s_or_b32 exec_lo, exec_lo, s2
	v_and_b32_e32 v155, 0x7f800000, v154
	s_delay_alu instid0(VALU_DEP_1) | instskip(SKIP_1) | instid1(SALU_CYCLE_1)
	v_cmp_ne_u32_e32 vcc_lo, 0x7f800000, v155
                                        ; implicit-def: $vgpr155
	s_and_saveexec_b32 s2, vcc_lo
	s_xor_b32 s2, exec_lo, s2
; %bb.29:
	v_bfe_u32 v155, v154, 16, 1
	s_delay_alu instid0(VALU_DEP_1)
	v_add3_u32 v155, v154, v155, 0x7fff
                                        ; implicit-def: $vgpr154
; %bb.30:
	s_and_not1_saveexec_b32 s2, s2
; %bb.31:
	v_and_b32_e32 v155, 0xffff, v154
	v_or_b32_e32 v156, 0x10000, v154
	s_delay_alu instid0(VALU_DEP_2) | instskip(NEXT) | instid1(VALU_DEP_2)
	v_cmp_eq_u32_e32 vcc_lo, 0, v155
	v_cndmask_b32_e32 v155, v156, v154, vcc_lo
; %bb.32:
	s_or_b32 exec_lo, exec_lo, s2
	v_and_b32_e32 v154, 0x7f800000, v153
	s_delay_alu instid0(VALU_DEP_1) | instskip(SKIP_1) | instid1(SALU_CYCLE_1)
	v_cmp_ne_u32_e32 vcc_lo, 0x7f800000, v154
                                        ; implicit-def: $vgpr154
	s_and_saveexec_b32 s2, vcc_lo
	s_xor_b32 s2, exec_lo, s2
; %bb.33:
	v_bfe_u32 v154, v153, 16, 1
	s_delay_alu instid0(VALU_DEP_1)
	v_add3_u32 v154, v153, v154, 0x7fff
                                        ; implicit-def: $vgpr153
; %bb.34:
	s_and_not1_saveexec_b32 s2, s2
; %bb.35:
	v_and_b32_e32 v154, 0xffff, v153
	v_or_b32_e32 v156, 0x10000, v153
	s_delay_alu instid0(VALU_DEP_2) | instskip(NEXT) | instid1(VALU_DEP_2)
	v_cmp_eq_u32_e32 vcc_lo, 0, v154
	v_cndmask_b32_e32 v154, v156, v153, vcc_lo
; %bb.36:
	s_or_b32 exec_lo, exec_lo, s2
	v_and_b32_e32 v153, 0x7f800000, v150
	s_delay_alu instid0(VALU_DEP_1) | instskip(SKIP_1) | instid1(SALU_CYCLE_1)
	v_cmp_ne_u32_e32 vcc_lo, 0x7f800000, v153
                                        ; implicit-def: $vgpr153
	s_and_saveexec_b32 s2, vcc_lo
	s_xor_b32 s2, exec_lo, s2
; %bb.37:
	v_bfe_u32 v153, v150, 16, 1
	s_delay_alu instid0(VALU_DEP_1)
	v_add3_u32 v153, v150, v153, 0x7fff
                                        ; implicit-def: $vgpr150
; %bb.38:
	s_and_not1_saveexec_b32 s2, s2
; %bb.39:
	v_and_b32_e32 v153, 0xffff, v150
	v_or_b32_e32 v156, 0x10000, v150
	s_delay_alu instid0(VALU_DEP_2) | instskip(NEXT) | instid1(VALU_DEP_2)
	v_cmp_eq_u32_e32 vcc_lo, 0, v153
	v_cndmask_b32_e32 v153, v156, v150, vcc_lo
; %bb.40:
	s_or_b32 exec_lo, exec_lo, s2
	v_and_b32_e32 v150, 0x7f800000, v145
	s_delay_alu instid0(VALU_DEP_1) | instskip(SKIP_1) | instid1(SALU_CYCLE_1)
	v_cmp_ne_u32_e32 vcc_lo, 0x7f800000, v150
                                        ; implicit-def: $vgpr150
	s_and_saveexec_b32 s2, vcc_lo
	s_xor_b32 s2, exec_lo, s2
; %bb.41:
	v_bfe_u32 v150, v145, 16, 1
	s_delay_alu instid0(VALU_DEP_1)
	v_add3_u32 v150, v145, v150, 0x7fff
                                        ; implicit-def: $vgpr145
; %bb.42:
	s_and_not1_saveexec_b32 s2, s2
; %bb.43:
	v_and_b32_e32 v150, 0xffff, v145
	v_or_b32_e32 v156, 0x10000, v145
	s_delay_alu instid0(VALU_DEP_2) | instskip(NEXT) | instid1(VALU_DEP_2)
	v_cmp_eq_u32_e32 vcc_lo, 0, v150
	v_cndmask_b32_e32 v150, v156, v145, vcc_lo
; %bb.44:
	s_or_b32 exec_lo, exec_lo, s2
	s_load_b64 s[34:35], s[0:1], 0x94
	v_lshlrev_b32_e32 v157, 4, v141
	s_delay_alu instid0(VALU_DEP_2)
	v_perm_b32 v156, v150, v153, 0x7060302
	v_dual_mul_f32 v136, v143, v136 :: v_dual_lshlrev_b32 v145, 6, v142
	v_lshlrev_b32_e32 v142, 11, v144
	v_perm_b32 v153, v149, v148, 0x7060302
	v_mul_f32_e32 v149, v143, v131
	v_perm_b32 v155, v154, v155, 0x7060302
	v_perm_b32 v154, v152, v151, 0x7060302
	v_or3_b32 v131, v157, v142, v145
	v_mul_f32_e32 v142, v143, v147
	v_mul_f32_e32 v146, v143, v146
	v_dual_mul_f32 v135, v143, v135 :: v_dual_and_b32 v150, 0x7f800000, v149
	v_mul_f32_e32 v147, v143, v134
	v_mul_f32_e32 v148, v143, v133
	;; [unrolled: 1-line block ×3, first 2 shown]
	s_mov_b32 s2, exec_lo
	ds_store_b128 v131, v[153:156]
                                        ; implicit-def: $vgpr132
	v_cmpx_ne_u32_e32 0x7f800000, v150
	s_xor_b32 s2, exec_lo, s2
; %bb.45:
	v_bfe_u32 v132, v149, 16, 1
	s_delay_alu instid0(VALU_DEP_1)
	v_add3_u32 v132, v149, v132, 0x7fff
                                        ; implicit-def: $vgpr149
; %bb.46:
	s_and_not1_saveexec_b32 s2, s2
; %bb.47:
	v_and_b32_e32 v132, 0xffff, v149
	v_or_b32_e32 v133, 0x10000, v149
	s_delay_alu instid0(VALU_DEP_2) | instskip(NEXT) | instid1(VALU_DEP_2)
	v_cmp_eq_u32_e32 vcc_lo, 0, v132
	v_cndmask_b32_e32 v132, v133, v149, vcc_lo
; %bb.48:
	s_or_b32 exec_lo, exec_lo, s2
	v_and_b32_e32 v133, 0x7f800000, v134
	s_delay_alu instid0(VALU_DEP_1) | instskip(SKIP_1) | instid1(SALU_CYCLE_1)
	v_cmp_ne_u32_e32 vcc_lo, 0x7f800000, v133
                                        ; implicit-def: $vgpr133
	s_and_saveexec_b32 s2, vcc_lo
	s_xor_b32 s2, exec_lo, s2
; %bb.49:
	v_bfe_u32 v133, v134, 16, 1
	s_delay_alu instid0(VALU_DEP_1)
	v_add3_u32 v133, v134, v133, 0x7fff
                                        ; implicit-def: $vgpr134
; %bb.50:
	s_and_not1_saveexec_b32 s2, s2
; %bb.51:
	v_and_b32_e32 v133, 0xffff, v134
	v_or_b32_e32 v143, 0x10000, v134
	s_delay_alu instid0(VALU_DEP_2) | instskip(NEXT) | instid1(VALU_DEP_2)
	v_cmp_eq_u32_e32 vcc_lo, 0, v133
	v_cndmask_b32_e32 v133, v143, v134, vcc_lo
; %bb.52:
	s_or_b32 exec_lo, exec_lo, s2
	v_and_b32_e32 v134, 0x7f800000, v148
	s_delay_alu instid0(VALU_DEP_1) | instskip(SKIP_1) | instid1(SALU_CYCLE_1)
	v_cmp_ne_u32_e32 vcc_lo, 0x7f800000, v134
                                        ; implicit-def: $vgpr134
	s_and_saveexec_b32 s2, vcc_lo
	s_xor_b32 s2, exec_lo, s2
; %bb.53:
	v_bfe_u32 v134, v148, 16, 1
	s_delay_alu instid0(VALU_DEP_1)
	v_add3_u32 v134, v148, v134, 0x7fff
                                        ; implicit-def: $vgpr148
; %bb.54:
	s_and_not1_saveexec_b32 s2, s2
; %bb.55:
	v_and_b32_e32 v134, 0xffff, v148
	v_or_b32_e32 v143, 0x10000, v148
	s_delay_alu instid0(VALU_DEP_2) | instskip(NEXT) | instid1(VALU_DEP_2)
	v_cmp_eq_u32_e32 vcc_lo, 0, v134
	v_cndmask_b32_e32 v134, v143, v148, vcc_lo
; %bb.56:
	s_or_b32 exec_lo, exec_lo, s2
	v_and_b32_e32 v143, 0x7f800000, v147
	s_delay_alu instid0(VALU_DEP_1) | instskip(SKIP_1) | instid1(SALU_CYCLE_1)
	v_cmp_ne_u32_e32 vcc_lo, 0x7f800000, v143
                                        ; implicit-def: $vgpr143
	s_and_saveexec_b32 s2, vcc_lo
	s_xor_b32 s2, exec_lo, s2
; %bb.57:
	v_bfe_u32 v143, v147, 16, 1
	s_delay_alu instid0(VALU_DEP_1)
	v_add3_u32 v143, v147, v143, 0x7fff
                                        ; implicit-def: $vgpr147
; %bb.58:
	s_and_not1_saveexec_b32 s2, s2
; %bb.59:
	v_and_b32_e32 v143, 0xffff, v147
	v_or_b32_e32 v148, 0x10000, v147
	s_delay_alu instid0(VALU_DEP_2) | instskip(NEXT) | instid1(VALU_DEP_2)
	v_cmp_eq_u32_e32 vcc_lo, 0, v143
	v_cndmask_b32_e32 v143, v148, v147, vcc_lo
; %bb.60:
	s_or_b32 exec_lo, exec_lo, s2
	v_and_b32_e32 v147, 0x7f800000, v135
	s_delay_alu instid0(VALU_DEP_1) | instskip(SKIP_1) | instid1(SALU_CYCLE_1)
	v_cmp_ne_u32_e32 vcc_lo, 0x7f800000, v147
                                        ; implicit-def: $vgpr147
	s_and_saveexec_b32 s2, vcc_lo
	s_xor_b32 s2, exec_lo, s2
; %bb.61:
	v_bfe_u32 v147, v135, 16, 1
	s_delay_alu instid0(VALU_DEP_1)
	v_add3_u32 v147, v135, v147, 0x7fff
                                        ; implicit-def: $vgpr135
; %bb.62:
	s_and_not1_saveexec_b32 s2, s2
; %bb.63:
	v_and_b32_e32 v147, 0xffff, v135
	v_or_b32_e32 v148, 0x10000, v135
	s_delay_alu instid0(VALU_DEP_2) | instskip(NEXT) | instid1(VALU_DEP_2)
	v_cmp_eq_u32_e32 vcc_lo, 0, v147
	v_cndmask_b32_e32 v147, v148, v135, vcc_lo
; %bb.64:
	s_or_b32 exec_lo, exec_lo, s2
	v_and_b32_e32 v135, 0x7f800000, v136
	s_delay_alu instid0(VALU_DEP_1) | instskip(SKIP_1) | instid1(SALU_CYCLE_1)
	v_cmp_ne_u32_e32 vcc_lo, 0x7f800000, v135
                                        ; implicit-def: $vgpr135
	s_and_saveexec_b32 s2, vcc_lo
	s_xor_b32 s2, exec_lo, s2
; %bb.65:
	v_bfe_u32 v135, v136, 16, 1
	s_delay_alu instid0(VALU_DEP_1)
	v_add3_u32 v135, v136, v135, 0x7fff
                                        ; implicit-def: $vgpr136
; %bb.66:
	s_and_not1_saveexec_b32 s2, s2
; %bb.67:
	v_and_b32_e32 v135, 0xffff, v136
	v_or_b32_e32 v148, 0x10000, v136
	s_delay_alu instid0(VALU_DEP_2) | instskip(NEXT) | instid1(VALU_DEP_2)
	v_cmp_eq_u32_e32 vcc_lo, 0, v135
	v_cndmask_b32_e32 v135, v148, v136, vcc_lo
; %bb.68:
	s_or_b32 exec_lo, exec_lo, s2
	v_and_b32_e32 v136, 0x7f800000, v146
	s_delay_alu instid0(VALU_DEP_1) | instskip(SKIP_1) | instid1(SALU_CYCLE_1)
	v_cmp_ne_u32_e32 vcc_lo, 0x7f800000, v136
                                        ; implicit-def: $vgpr136
	s_and_saveexec_b32 s2, vcc_lo
	s_xor_b32 s2, exec_lo, s2
; %bb.69:
	v_bfe_u32 v136, v146, 16, 1
	s_delay_alu instid0(VALU_DEP_1)
	v_add3_u32 v136, v146, v136, 0x7fff
                                        ; implicit-def: $vgpr146
; %bb.70:
	s_and_not1_saveexec_b32 s2, s2
; %bb.71:
	v_and_b32_e32 v136, 0xffff, v146
	v_or_b32_e32 v148, 0x10000, v146
	s_delay_alu instid0(VALU_DEP_2) | instskip(NEXT) | instid1(VALU_DEP_2)
	v_cmp_eq_u32_e32 vcc_lo, 0, v136
	v_cndmask_b32_e32 v136, v148, v146, vcc_lo
; %bb.72:
	s_or_b32 exec_lo, exec_lo, s2
	v_and_b32_e32 v146, 0x7f800000, v142
	s_delay_alu instid0(VALU_DEP_1) | instskip(SKIP_1) | instid1(SALU_CYCLE_1)
	v_cmp_ne_u32_e32 vcc_lo, 0x7f800000, v146
                                        ; implicit-def: $vgpr146
	s_and_saveexec_b32 s2, vcc_lo
	s_xor_b32 s2, exec_lo, s2
; %bb.73:
	v_bfe_u32 v146, v142, 16, 1
	s_delay_alu instid0(VALU_DEP_1)
	v_add3_u32 v146, v142, v146, 0x7fff
                                        ; implicit-def: $vgpr142
; %bb.74:
	s_and_not1_saveexec_b32 s2, s2
; %bb.75:
	v_and_b32_e32 v146, 0xffff, v142
	v_or_b32_e32 v148, 0x10000, v142
	s_delay_alu instid0(VALU_DEP_2) | instskip(NEXT) | instid1(VALU_DEP_2)
	v_cmp_eq_u32_e32 vcc_lo, 0, v146
	v_cndmask_b32_e32 v146, v148, v142, vcc_lo
; %bb.76:
	s_or_b32 exec_lo, exec_lo, s2
	s_delay_alu instid0(VALU_DEP_1)
	v_perm_b32 v136, v146, v136, 0x7060302
	v_perm_b32 v135, v135, v147, 0x7060302
	;; [unrolled: 1-line block ×4, first 2 shown]
	v_lshl_or_b32 v147, v144, 11, v145
	ds_store_b128 v131, v[133:136] offset:1024
	s_waitcnt lgkmcnt(0)
	s_barrier
	buffer_gl0_inv
	ds_load_b128 v[132:135], v147
	ds_load_b128 v[148:151], v147 offset:16
	s_waitcnt lgkmcnt(1)
	v_lshrrev_b32_e32 v136, 16, v132
	v_lshlrev_b32_e32 v143, 2, v141
	s_waitcnt lgkmcnt(0)
	v_lshrrev_b32_e32 v156, 16, v148
	v_lshrrev_b32_e32 v160, 16, v133
	;; [unrolled: 1-line block ×4, first 2 shown]
	v_cmp_eq_u32_e32 vcc_lo, 1, v143
	v_lshrrev_b32_e32 v164, 16, v150
	v_lshrrev_b32_e32 v162, 16, v135
	;; [unrolled: 1-line block ×3, first 2 shown]
	v_cndmask_b32_e32 v146, v132, v136, vcc_lo
	v_or_b32_e32 v144, 1, v143
	v_cmp_eq_u32_e64 s3, 2, v143
	v_cndmask_b32_e32 v152, v148, v156, vcc_lo
	v_cmp_eq_u32_e64 s6, 3, v143
	v_cmp_eq_u32_e64 s8, 4, v143
	;; [unrolled: 1-line block ×3, first 2 shown]
	v_cndmask_b32_e64 v146, v146, v133, s3
	v_cmp_eq_u32_e64 s5, 2, v144
	v_cndmask_b32_e64 v152, v152, v149, s3
	v_cmp_eq_u32_e64 s7, 3, v144
	v_cndmask_b32_e64 v153, v132, v136, s2
	v_cndmask_b32_e64 v146, v146, v160, s6
	v_or_b32_e32 v142, 2, v143
	v_cndmask_b32_e64 v152, v152, v163, s6
	v_cndmask_b32_e64 v154, v148, v156, s2
	v_cndmask_b32_e64 v153, v153, v133, s5
	v_cndmask_b32_e64 v146, v146, v134, s8
	v_cmp_eq_u32_e64 s9, 5, v143
	v_cndmask_b32_e64 v152, v152, v150, s8
	v_cmp_eq_u32_e64 s10, 4, v144
	v_cndmask_b32_e64 v153, v153, v160, s7
	;; [unrolled: 2-line block ×3, first 2 shown]
	v_cndmask_b32_e64 v146, v146, v161, s9
	v_cmp_eq_u32_e64 s11, 6, v143
	v_cndmask_b32_e64 v153, v153, v134, s10
	v_cndmask_b32_e64 v152, v152, v164, s9
	v_cmp_eq_u32_e64 s12, 5, v144
	v_cndmask_b32_e64 v155, v132, v136, s4
	v_cndmask_b32_e64 v154, v154, v163, s7
	;; [unrolled: 1-line block ×3, first 2 shown]
	v_cmp_eq_u32_e64 s13, 7, v143
	v_cndmask_b32_e64 v153, v153, v161, s12
	v_cndmask_b32_e64 v152, v152, v151, s11
	v_cmp_eq_u32_e64 s15, 6, v144
	v_cmp_eq_u32_e64 s16, 2, v142
	v_cndmask_b32_e64 v154, v154, v150, s10
	v_cndmask_b32_e64 v166, v146, v162, s13
	v_cndmask_b32_e64 v167, v152, v165, s13
	v_cndmask_b32_e64 v153, v153, v135, s15
	v_cndmask_b32_e64 v146, v155, v133, s16
	v_cndmask_b32_e64 v152, v148, v156, s4
	v_cmp_eq_u32_e64 s17, 7, v144
	v_cmp_eq_u32_e64 s18, 3, v142
	;; [unrolled: 1-line block ×4, first 2 shown]
	v_cndmask_b32_e64 v152, v152, v149, s16
	v_cndmask_b32_e64 v168, v153, v162, s17
	;; [unrolled: 1-line block ×4, first 2 shown]
	v_or_b32_e32 v146, 3, v143
	v_cndmask_b32_e64 v158, v152, v163, s18
	v_cmp_eq_u32_e64 s23, 6, v142
	v_cndmask_b32_e64 v169, v153, v151, s15
	v_cndmask_b32_e64 v157, v154, v134, s19
	v_cmp_eq_u32_e64 s20, 1, v146
	ds_load_b128 v[152:155], v147 offset:1024
	v_cmp_eq_u32_e64 s22, 2, v146
	v_cmp_eq_u32_e64 s24, 3, v146
	v_cndmask_b32_e64 v170, v157, v161, s21
	v_cndmask_b32_e64 v132, v132, v136, s20
	;; [unrolled: 1-line block ×4, first 2 shown]
	ds_load_b128 v[156:159], v147 offset:1040
	v_cmp_eq_u32_e64 s25, 4, v146
	v_cndmask_b32_e64 v132, v132, v133, s22
	v_cndmask_b32_e64 v133, v136, v164, s21
	;; [unrolled: 1-line block ×3, first 2 shown]
	v_cmp_eq_u32_e64 s27, 5, v146
	v_cndmask_b32_e64 v149, v170, v135, s23
	v_cndmask_b32_e64 v132, v132, v160, s24
	v_cmp_eq_u32_e64 s26, 7, v142
	v_cndmask_b32_e64 v136, v136, v163, s24
	v_cmp_eq_u32_e64 s28, 6, v146
	v_cndmask_b32_e64 v133, v133, v151, s23
	v_cndmask_b32_e64 v132, v132, v134, s25
	s_waitcnt lgkmcnt(1)
	v_lshrrev_b32_e32 v160, 16, v152
	v_cndmask_b32_e64 v134, v136, v150, s25
	v_cndmask_b32_e64 v136, v149, v162, s26
	;; [unrolled: 1-line block ×4, first 2 shown]
	v_lshrrev_b32_e32 v161, 16, v153
	v_cndmask_b32_e64 v134, v134, v164, s27
	s_waitcnt lgkmcnt(0)
	v_lshrrev_b32_e32 v150, 16, v156
	v_cndmask_b32_e64 v163, v152, v160, s2
	v_cndmask_b32_e64 v132, v132, v135, s28
	;; [unrolled: 1-line block ×4, first 2 shown]
	v_cndmask_b32_e32 v149, v152, v160, vcc_lo
	v_cndmask_b32_e32 v164, v156, v150, vcc_lo
	v_cmp_eq_u32_e32 vcc_lo, 7, v146
	s_delay_alu instid0(VALU_DEP_2)
	v_cndmask_b32_e64 v151, v164, v157, s3
	v_cndmask_b32_e32 v134, v134, v165, vcc_lo
	v_cndmask_b32_e64 v149, v149, v153, s3
	v_lshrrev_b32_e32 v164, 16, v154
	v_cndmask_b32_e32 v132, v132, v162, vcc_lo
	v_lshrrev_b32_e32 v165, 16, v158
	s_delay_alu instid0(VALU_DEP_4) | instskip(SKIP_2) | instid1(VALU_DEP_3)
	v_cndmask_b32_e64 v135, v149, v161, s6
	v_cndmask_b32_e64 v149, v163, v153, s5
	v_lshrrev_b32_e32 v163, 16, v157
	v_cndmask_b32_e64 v135, v135, v154, s8
	s_delay_alu instid0(VALU_DEP_3) | instskip(NEXT) | instid1(VALU_DEP_3)
	v_cndmask_b32_e64 v149, v149, v161, s7
	v_cndmask_b32_e64 v151, v151, v163, s6
	s_delay_alu instid0(VALU_DEP_3) | instskip(NEXT) | instid1(VALU_DEP_3)
	v_cndmask_b32_e64 v162, v135, v164, s9
	v_cndmask_b32_e64 v149, v149, v154, s10
	s_delay_alu instid0(VALU_DEP_3)
	v_cndmask_b32_e64 v151, v151, v158, s8
	v_perm_b32 v135, v134, v132, 0x5040100
	v_perm_b32 v134, v133, v136, 0x5040100
	;; [unrolled: 1-line block ×3, first 2 shown]
	v_cndmask_b32_e64 v132, v149, v164, s12
	v_cndmask_b32_e64 v149, v162, v155, s11
	v_lshrrev_b32_e32 v162, 16, v155
	v_cndmask_b32_e64 v151, v151, v165, s9
	s_delay_alu instid0(VALU_DEP_4) | instskip(NEXT) | instid1(VALU_DEP_3)
	v_cndmask_b32_e64 v132, v132, v155, s15
	v_cndmask_b32_e64 v136, v149, v162, s13
	s_delay_alu instid0(VALU_DEP_3) | instskip(SKIP_1) | instid1(VALU_DEP_4)
	v_cndmask_b32_e64 v148, v151, v159, s11
	v_cndmask_b32_e64 v151, v152, v160, s20
	;; [unrolled: 1-line block ×27, first 2 shown]
	v_lshrrev_b32_e32 v149, 16, v159
	v_cndmask_b32_e64 v132, v132, v155, s23
	v_cndmask_b32_e64 v151, v151, v155, s28
	;; [unrolled: 1-line block ×6, first 2 shown]
	s_delay_alu instid0(VALU_DEP_4) | instskip(NEXT) | instid1(VALU_DEP_4)
	v_dual_cndmask_b32 v151, v151, v162 :: v_dual_cndmask_b32 v152, v152, v149
	v_cndmask_b32_e64 v153, v153, v149, s26
	s_delay_alu instid0(VALU_DEP_4)
	v_cndmask_b32_e64 v155, v150, v149, s17
	v_cndmask_b32_e64 v148, v148, v149, s13
	v_perm_b32 v132, v167, v166, 0x5040100
	v_perm_b32 v151, v152, v151, 0x5040100
	v_perm_b32 v150, v153, v154, 0x5040100
	v_perm_b32 v149, v155, v168, 0x5040100
	v_perm_b32 v148, v148, v136, 0x5040100
	s_lshl_b32 s7, s35, 1
	s_mov_b32 s2, exec_lo
	ds_store_b128 v131, v[132:135]
	ds_store_b128 v131, v[148:151] offset:1024
	v_cmpx_gt_u32_e32 2, v0
	s_cbranch_execz .LBB439_78
; %bb.77:
	v_or_b32_e32 v131, s31, v0
	s_load_b128 s[8:11], s[0:1], 0x58
	s_delay_alu instid0(VALU_DEP_1) | instskip(NEXT) | instid1(VALU_DEP_1)
	v_mad_u64_u32 v[132:133], null, s7, s30, v[131:132]
	v_mad_u64_u32 v[133:134], null, v132, s34, s[14:15]
	s_delay_alu instid0(VALU_DEP_1) | instskip(NEXT) | instid1(VALU_DEP_1)
	v_ashrrev_i32_e32 v134, 31, v133
	v_lshlrev_b64 v[131:132], 2, v[133:134]
	s_waitcnt lgkmcnt(0)
	s_delay_alu instid0(VALU_DEP_1) | instskip(NEXT) | instid1(VALU_DEP_2)
	v_add_co_u32 v133, vcc_lo, s10, v131
	v_add_co_ci_u32_e32 v134, vcc_lo, s11, v132, vcc_lo
	v_add_co_u32 v131, vcc_lo, s8, v131
	v_add_co_ci_u32_e32 v132, vcc_lo, s9, v132, vcc_lo
	global_store_b32 v[133:134], v129, off
	global_store_b32 v[131:132], v130, off
.LBB439_78:
	s_or_b32 exec_lo, exec_lo, s2
	s_waitcnt lgkmcnt(0)
	s_waitcnt_vscnt null, 0x0
	s_barrier
	buffer_gl0_inv
	ds_load_b128 v[148:151], v145
	ds_load_b128 v[152:155], v145 offset:16
	ds_load_b128 v[160:163], v145 offset:1040
	;; [unrolled: 1-line block ×3, first 2 shown]
	v_mov_b32_e32 v129, 0
	ds_load_b128 v[168:171], v145 offset:2064
	ds_load_b128 v[164:167], v145 offset:2048
	ds_load_b128 v[176:179], v145 offset:3088
	ds_load_b128 v[172:175], v145 offset:3072
	ds_load_b128 v[184:187], v145 offset:4112
	ds_load_b128 v[180:183], v145 offset:4096
	v_mov_b32_e32 v130, v129
	v_mov_b32_e32 v131, v129
	v_mov_b32_e32 v132, v129
	v_mov_b32_e32 v133, v129
	v_mov_b32_e32 v134, v129
	v_mov_b32_e32 v135, v129
	v_mov_b32_e32 v136, v129
	s_waitcnt lgkmcnt(8)
	s_delay_alu instid0(VALU_DEP_1)
	v_wmma_f32_16x16x16_bf16 v[129:136], v[121:128], v[148:155], v[129:136]
	ds_load_b128 v[125:128], v145 offset:5136
	ds_load_b128 v[121:124], v145 offset:5120
	s_waitcnt lgkmcnt(8)
	v_wmma_f32_16x16x16_bf16 v[129:136], v[113:120], v[156:163], v[129:136]
	ds_load_b128 v[117:120], v145 offset:6160
	ds_load_b128 v[113:116], v145 offset:6144
	s_waitcnt lgkmcnt(8)
	;; [unrolled: 4-line block ×8, first 2 shown]
	v_wmma_f32_16x16x16_bf16 v[129:136], v[65:72], v[97:104], v[129:136]
	s_waitcnt lgkmcnt(6)
	s_delay_alu instid0(VALU_DEP_1)
	v_wmma_f32_16x16x16_bf16 v[129:136], v[49:56], v[89:96], v[129:136]
	ds_load_b128 v[53:56], v145 offset:13328
	ds_load_b128 v[49:52], v145 offset:13312
	s_waitcnt lgkmcnt(6)
	v_wmma_f32_16x16x16_bf16 v[129:136], v[41:48], v[81:88], v[129:136]
	ds_load_b128 v[45:48], v145 offset:14352
	ds_load_b128 v[41:44], v145 offset:14336
	s_waitcnt lgkmcnt(6)
	;; [unrolled: 4-line block ×3, first 2 shown]
	v_wmma_f32_16x16x16_bf16 v[129:136], v[1:8], v[57:64], v[129:136]
	s_waitcnt lgkmcnt(4)
	s_delay_alu instid0(VALU_DEP_1) | instskip(SKIP_1) | instid1(VALU_DEP_1)
	v_wmma_f32_16x16x16_bf16 v[129:136], v[25:32], v[49:56], v[129:136]
	s_waitcnt lgkmcnt(2)
	v_wmma_f32_16x16x16_bf16 v[129:136], v[33:40], v[41:48], v[129:136]
	s_waitcnt lgkmcnt(0)
	s_delay_alu instid0(VALU_DEP_1) | instskip(NEXT) | instid1(VALU_DEP_1)
	v_wmma_f32_16x16x16_bf16 v[129:136], v[9:16], v[17:24], v[129:136]
	v_and_b32_e32 v1, 0x7f800000, v129
	s_delay_alu instid0(VALU_DEP_1) | instskip(SKIP_1) | instid1(SALU_CYCLE_1)
	v_cmp_ne_u32_e32 vcc_lo, 0x7f800000, v1
                                        ; implicit-def: $vgpr1
	s_and_saveexec_b32 s2, vcc_lo
	s_xor_b32 s2, exec_lo, s2
; %bb.79:
	v_bfe_u32 v1, v129, 16, 1
	s_delay_alu instid0(VALU_DEP_1)
	v_add3_u32 v1, v129, v1, 0x7fff
; %bb.80:
	s_and_not1_saveexec_b32 s2, s2
; %bb.81:
	v_and_b32_e32 v1, 0xffff, v129
	v_or_b32_e32 v2, 0x10000, v129
	s_delay_alu instid0(VALU_DEP_2) | instskip(NEXT) | instid1(VALU_DEP_2)
	v_cmp_eq_u32_e32 vcc_lo, 0, v1
	v_cndmask_b32_e32 v1, v2, v129, vcc_lo
; %bb.82:
	s_or_b32 exec_lo, exec_lo, s2
	v_and_b32_e32 v2, 0x7f800000, v130
	s_delay_alu instid0(VALU_DEP_1) | instskip(SKIP_1) | instid1(SALU_CYCLE_1)
	v_cmp_ne_u32_e32 vcc_lo, 0x7f800000, v2
                                        ; implicit-def: $vgpr2
	s_and_saveexec_b32 s2, vcc_lo
	s_xor_b32 s2, exec_lo, s2
; %bb.83:
	v_bfe_u32 v2, v130, 16, 1
	s_delay_alu instid0(VALU_DEP_1)
	v_add3_u32 v2, v130, v2, 0x7fff
; %bb.84:
	s_and_not1_saveexec_b32 s2, s2
; %bb.85:
	v_and_b32_e32 v2, 0xffff, v130
	v_or_b32_e32 v3, 0x10000, v130
	s_delay_alu instid0(VALU_DEP_2) | instskip(NEXT) | instid1(VALU_DEP_2)
	v_cmp_eq_u32_e32 vcc_lo, 0, v2
	v_cndmask_b32_e32 v2, v3, v130, vcc_lo
; %bb.86:
	s_or_b32 exec_lo, exec_lo, s2
	v_and_b32_e32 v3, 0x7f800000, v131
	s_delay_alu instid0(VALU_DEP_1) | instskip(SKIP_1) | instid1(SALU_CYCLE_1)
	v_cmp_ne_u32_e32 vcc_lo, 0x7f800000, v3
                                        ; implicit-def: $vgpr3
	s_and_saveexec_b32 s2, vcc_lo
	s_xor_b32 s2, exec_lo, s2
; %bb.87:
	v_bfe_u32 v3, v131, 16, 1
	s_delay_alu instid0(VALU_DEP_1)
	v_add3_u32 v3, v131, v3, 0x7fff
; %bb.88:
	s_and_not1_saveexec_b32 s2, s2
; %bb.89:
	v_and_b32_e32 v3, 0xffff, v131
	v_or_b32_e32 v4, 0x10000, v131
	s_delay_alu instid0(VALU_DEP_2) | instskip(NEXT) | instid1(VALU_DEP_2)
	v_cmp_eq_u32_e32 vcc_lo, 0, v3
	v_cndmask_b32_e32 v3, v4, v131, vcc_lo
; %bb.90:
	s_or_b32 exec_lo, exec_lo, s2
	v_and_b32_e32 v4, 0x7f800000, v132
	s_delay_alu instid0(VALU_DEP_1) | instskip(SKIP_1) | instid1(SALU_CYCLE_1)
	v_cmp_ne_u32_e32 vcc_lo, 0x7f800000, v4
                                        ; implicit-def: $vgpr4
	s_and_saveexec_b32 s2, vcc_lo
	s_xor_b32 s2, exec_lo, s2
; %bb.91:
	v_bfe_u32 v4, v132, 16, 1
	s_delay_alu instid0(VALU_DEP_1)
	v_add3_u32 v4, v132, v4, 0x7fff
; %bb.92:
	s_and_not1_saveexec_b32 s2, s2
; %bb.93:
	v_and_b32_e32 v4, 0xffff, v132
	v_or_b32_e32 v5, 0x10000, v132
	s_delay_alu instid0(VALU_DEP_2) | instskip(NEXT) | instid1(VALU_DEP_2)
	v_cmp_eq_u32_e32 vcc_lo, 0, v4
	v_cndmask_b32_e32 v4, v5, v132, vcc_lo
; %bb.94:
	s_or_b32 exec_lo, exec_lo, s2
	v_and_b32_e32 v5, 0x7f800000, v133
	s_delay_alu instid0(VALU_DEP_1) | instskip(SKIP_1) | instid1(SALU_CYCLE_1)
	v_cmp_ne_u32_e32 vcc_lo, 0x7f800000, v5
                                        ; implicit-def: $vgpr5
	s_and_saveexec_b32 s2, vcc_lo
	s_xor_b32 s2, exec_lo, s2
; %bb.95:
	v_bfe_u32 v5, v133, 16, 1
	s_delay_alu instid0(VALU_DEP_1)
	v_add3_u32 v5, v133, v5, 0x7fff
; %bb.96:
	s_and_not1_saveexec_b32 s2, s2
; %bb.97:
	v_and_b32_e32 v5, 0xffff, v133
	v_or_b32_e32 v6, 0x10000, v133
	s_delay_alu instid0(VALU_DEP_2) | instskip(NEXT) | instid1(VALU_DEP_2)
	v_cmp_eq_u32_e32 vcc_lo, 0, v5
	v_cndmask_b32_e32 v5, v6, v133, vcc_lo
; %bb.98:
	s_or_b32 exec_lo, exec_lo, s2
	v_and_b32_e32 v6, 0x7f800000, v134
	s_delay_alu instid0(VALU_DEP_1) | instskip(SKIP_1) | instid1(SALU_CYCLE_1)
	v_cmp_ne_u32_e32 vcc_lo, 0x7f800000, v6
                                        ; implicit-def: $vgpr6
	s_and_saveexec_b32 s2, vcc_lo
	s_xor_b32 s2, exec_lo, s2
; %bb.99:
	v_bfe_u32 v6, v134, 16, 1
	s_delay_alu instid0(VALU_DEP_1)
	v_add3_u32 v6, v134, v6, 0x7fff
; %bb.100:
	s_and_not1_saveexec_b32 s2, s2
; %bb.101:
	v_and_b32_e32 v6, 0xffff, v134
	v_or_b32_e32 v7, 0x10000, v134
	s_delay_alu instid0(VALU_DEP_2) | instskip(NEXT) | instid1(VALU_DEP_2)
	v_cmp_eq_u32_e32 vcc_lo, 0, v6
	v_cndmask_b32_e32 v6, v7, v134, vcc_lo
; %bb.102:
	s_or_b32 exec_lo, exec_lo, s2
	v_and_b32_e32 v7, 0x7f800000, v135
	s_delay_alu instid0(VALU_DEP_1) | instskip(SKIP_1) | instid1(SALU_CYCLE_1)
	v_cmp_ne_u32_e32 vcc_lo, 0x7f800000, v7
                                        ; implicit-def: $vgpr7
	s_and_saveexec_b32 s2, vcc_lo
	s_xor_b32 s2, exec_lo, s2
; %bb.103:
	v_bfe_u32 v7, v135, 16, 1
	s_delay_alu instid0(VALU_DEP_1)
	v_add3_u32 v7, v135, v7, 0x7fff
; %bb.104:
	s_and_not1_saveexec_b32 s2, s2
; %bb.105:
	v_and_b32_e32 v7, 0xffff, v135
	v_or_b32_e32 v8, 0x10000, v135
	s_delay_alu instid0(VALU_DEP_2) | instskip(NEXT) | instid1(VALU_DEP_2)
	v_cmp_eq_u32_e32 vcc_lo, 0, v7
	v_cndmask_b32_e32 v7, v8, v135, vcc_lo
; %bb.106:
	s_or_b32 exec_lo, exec_lo, s2
	v_and_b32_e32 v8, 0x7f800000, v136
	s_delay_alu instid0(VALU_DEP_1) | instskip(SKIP_1) | instid1(SALU_CYCLE_1)
	v_cmp_ne_u32_e32 vcc_lo, 0x7f800000, v8
                                        ; implicit-def: $vgpr8
	s_and_saveexec_b32 s2, vcc_lo
	s_xor_b32 s2, exec_lo, s2
; %bb.107:
	v_bfe_u32 v8, v136, 16, 1
	s_delay_alu instid0(VALU_DEP_1)
	v_add3_u32 v8, v136, v8, 0x7fff
                                        ; implicit-def: $vgpr129_vgpr130_vgpr131_vgpr132_vgpr133_vgpr134_vgpr135_vgpr136
; %bb.108:
	s_and_not1_saveexec_b32 s2, s2
; %bb.109:
	v_and_b32_e32 v8, 0xffff, v136
	v_or_b32_e32 v9, 0x10000, v136
	s_delay_alu instid0(VALU_DEP_2) | instskip(NEXT) | instid1(VALU_DEP_2)
	v_cmp_eq_u32_e32 vcc_lo, 0, v8
	v_cndmask_b32_e32 v8, v9, v136, vcc_lo
; %bb.110:
	s_or_b32 exec_lo, exec_lo, s2
	s_delay_alu instid0(VALU_DEP_1)
	v_perm_b32 v7, v8, v7, 0x7060302
	v_perm_b32 v6, v6, v5, 0x7060302
	;; [unrolled: 1-line block ×4, first 2 shown]
	v_lshl_or_b32 v9, v141, 4, v147
	s_barrier
	buffer_gl0_inv
	v_cmp_eq_u32_e32 vcc_lo, 1, v143
	ds_store_b128 v9, v[4:7]
	s_waitcnt lgkmcnt(0)
	s_barrier
	buffer_gl0_inv
	ds_load_b128 v[1:4], v147
	ds_load_b128 v[5:8], v147 offset:16
	v_cmp_eq_u32_e64 s3, 2, v143
	v_cmp_eq_u32_e64 s2, 1, v144
	;; [unrolled: 1-line block ×5, first 2 shown]
	s_waitcnt lgkmcnt(1)
	v_lshrrev_b32_e32 v10, 16, v1
	s_waitcnt lgkmcnt(0)
	v_lshrrev_b32_e32 v14, 16, v5
	v_lshrrev_b32_e32 v15, 16, v6
	;; [unrolled: 1-line block ×4, first 2 shown]
	v_cndmask_b32_e64 v20, v1, v10, s2
	v_cndmask_b32_e32 v19, v5, v14, vcc_lo
	v_cndmask_b32_e64 v21, v5, v14, s2
	v_lshrrev_b32_e32 v16, 16, v7
	v_cmp_eq_u32_e64 s2, 1, v142
	v_lshrrev_b32_e32 v13, 16, v4
	v_cndmask_b32_e64 v19, v19, v6, s3
	v_lshrrev_b32_e32 v17, 16, v8
	s_delay_alu instid0(VALU_DEP_4) | instskip(SKIP_1) | instid1(VALU_DEP_4)
	v_cndmask_b32_e64 v22, v1, v10, s2
	v_cndmask_b32_e64 v23, v5, v14, s2
	;; [unrolled: 1-line block ×3, first 2 shown]
	v_cndmask_b32_e32 v18, v1, v10, vcc_lo
	v_cmp_eq_u32_e32 vcc_lo, 2, v144
	v_cmp_eq_u32_e64 s2, 2, v146
	v_cndmask_b32_e64 v22, v22, v2, s6
	v_cndmask_b32_e32 v20, v20, v2, vcc_lo
	v_cndmask_b32_e32 v21, v21, v6, vcc_lo
	v_cmp_eq_u32_e32 vcc_lo, 4, v143
	v_cndmask_b32_e32 v19, v19, v7, vcc_lo
	v_cndmask_b32_e64 v18, v18, v2, s3
	v_cmp_eq_u32_e64 s3, 3, v144
	s_delay_alu instid0(VALU_DEP_2) | instskip(NEXT) | instid1(VALU_DEP_2)
	v_cndmask_b32_e64 v18, v18, v11, s4
	v_cndmask_b32_e64 v21, v21, v15, s3
	v_cmp_eq_u32_e64 s4, 5, v143
	s_delay_alu instid0(VALU_DEP_3) | instskip(SKIP_1) | instid1(VALU_DEP_3)
	v_cndmask_b32_e32 v18, v18, v3, vcc_lo
	v_cmp_eq_u32_e32 vcc_lo, 4, v144
	v_cndmask_b32_e64 v19, v19, v16, s4
	s_delay_alu instid0(VALU_DEP_3) | instskip(SKIP_4) | instid1(VALU_DEP_3)
	v_cndmask_b32_e64 v18, v18, v12, s4
	v_cndmask_b32_e32 v21, v21, v7, vcc_lo
	v_cndmask_b32_e64 v20, v20, v11, s3
	v_cmp_eq_u32_e64 s3, 5, v144
	v_cmp_eq_u32_e64 s4, 6, v143
	v_cndmask_b32_e32 v20, v20, v3, vcc_lo
	s_delay_alu instid0(VALU_DEP_3) | instskip(SKIP_1) | instid1(VALU_DEP_4)
	v_cndmask_b32_e64 v21, v21, v16, s3
	v_cmp_eq_u32_e32 vcc_lo, 6, v144
	v_cndmask_b32_e64 v18, v18, v4, s4
	v_cndmask_b32_e64 v19, v19, v8, s4
	;; [unrolled: 1-line block ×3, first 2 shown]
	v_cmp_eq_u32_e64 s3, 1, v146
	v_cmp_eq_u32_e64 s4, 7, v143
	s_delay_alu instid0(VALU_DEP_3) | instskip(NEXT) | instid1(VALU_DEP_3)
	v_cndmask_b32_e32 v20, v20, v4, vcc_lo
	v_cndmask_b32_e64 v1, v1, v10, s3
	v_cndmask_b32_e64 v5, v5, v14, s3
	v_cmp_eq_u32_e64 s3, 3, v142
	v_cndmask_b32_e64 v14, v23, v6, s6
	v_cmp_eq_u32_e64 s6, 3, v146
	v_cndmask_b32_e64 v1, v1, v2, s2
	v_cndmask_b32_e64 v2, v5, v6, s2
	;; [unrolled: 1-line block ×3, first 2 shown]
	v_cmp_eq_u32_e64 s2, 4, v142
	v_cndmask_b32_e64 v6, v14, v15, s3
	v_cndmask_b32_e64 v1, v1, v11, s6
	v_cmp_eq_u32_e64 s3, 4, v146
	v_cndmask_b32_e64 v2, v2, v15, s6
	v_cndmask_b32_e64 v5, v10, v3, s2
	;; [unrolled: 3-line block ×3, first 2 shown]
	v_cndmask_b32_e64 v2, v2, v7, s3
	v_cmp_eq_u32_e64 s2, 5, v146
	v_cndmask_b32_e64 v5, v5, v12, s6
	v_cmp_eq_u32_e64 s3, 6, v142
	;; [unrolled: 2-line block ×3, first 2 shown]
	v_cndmask_b32_e64 v1, v1, v12, s2
	v_cndmask_b32_e64 v2, v2, v16, s2
	v_cndmask_b32_e64 v5, v5, v4, s3
	v_cndmask_b32_e64 v3, v3, v8, s3
	v_cmp_eq_u32_e64 s2, 7, v146
	v_cndmask_b32_e64 v1, v1, v4, s6
	v_cndmask_b32_e64 v2, v2, v8, s6
	v_cmp_eq_u32_e64 s3, 7, v142
	v_cndmask_b32_e32 v4, v21, v8, vcc_lo
	v_cndmask_b32_e64 v18, v18, v13, s4
	v_cndmask_b32_e64 v20, v20, v13, s5
	;; [unrolled: 1-line block ×8, first 2 shown]
	s_delay_alu instid0(VALU_DEP_4) | instskip(NEXT) | instid1(VALU_DEP_4)
	v_perm_b32 v4, v2, v1, 0x5040100
	v_perm_b32 v3, v3, v5, 0x5040100
	s_delay_alu instid0(VALU_DEP_4) | instskip(NEXT) | instid1(VALU_DEP_4)
	v_perm_b32 v2, v6, v20, 0x5040100
	v_perm_b32 v1, v7, v18, 0x5040100
	ds_store_b128 v9, v[1:4]
	s_waitcnt lgkmcnt(0)
	s_barrier
	buffer_gl0_inv
	s_and_saveexec_b32 s2, s29
	s_cbranch_execz .LBB439_2
; %bb.111:
	s_load_b64 s[0:1], s[0:1], 0x68
	v_lshlrev_b32_e32 v0, 10, v0
	s_lshl_b32 s2, s34, 6
	v_lshlrev_b32_e32 v1, 4, v140
	v_mul_lo_u32 v4, s2, v139
	s_mul_i32 s3, s2, s30
	v_and_b32_e32 v0, 0x3800, v0
	s_mul_i32 s2, s3, s7
	s_delay_alu instid0(SALU_CYCLE_1) | instskip(NEXT) | instid1(VALU_DEP_1)
	s_ashr_i32 s3, s2, 31
	v_or3_b32 v0, v0, v138, v1
	s_lshl_b64 s[2:3], s[2:3], 1
	s_delay_alu instid0(VALU_DEP_3)
	v_ashrrev_i32_e32 v5, 31, v4
	ds_load_b128 v[0:3], v0
	v_lshlrev_b64 v[4:5], 1, v[4:5]
	s_waitcnt lgkmcnt(0)
	s_add_u32 s2, s0, s2
	s_addc_u32 s3, s1, s3
	s_lshl_b32 s0, s14, 6
	s_delay_alu instid0(SALU_CYCLE_1) | instskip(NEXT) | instid1(SALU_CYCLE_1)
	s_ashr_i32 s1, s0, 31
	s_lshl_b64 s[0:1], s[0:1], 1
	s_delay_alu instid0(SALU_CYCLE_1) | instskip(SKIP_3) | instid1(VALU_DEP_2)
	s_add_u32 s0, s2, s0
	s_addc_u32 s1, s3, s1
	v_add_co_u32 v4, vcc_lo, s0, v4
	v_add_co_ci_u32_e32 v5, vcc_lo, s1, v5, vcc_lo
	v_add_co_u32 v4, vcc_lo, v4, v137
	s_delay_alu instid0(VALU_DEP_2)
	v_add_co_ci_u32_e32 v5, vcc_lo, 0, v5, vcc_lo
	global_store_b128 v[4:5], v[0:3], off
	s_nop 0
	s_sendmsg sendmsg(MSG_DEALLOC_VGPRS)
	s_endpgm
	.section	.rodata,"a",@progbits
	.p2align	6, 0x0
	.amdhsa_kernel _Z39paged_attention_ll4mi_QKV_mfma16_kernelI14__hip_bfloat16S0_LN4vllm18Fp8KVCacheDataTypeE0EhLi16ELi64ELi256ELb0ELi2EL8MFMAType0EEvPKT_PKT0_S9_ifPKiSB_SB_iPKfiiiPfSE_PS4_PT2_iSD_SD_
		.amdhsa_group_segment_fixed_size 17472
		.amdhsa_private_segment_fixed_size 0
		.amdhsa_kernarg_size 400
		.amdhsa_user_sgpr_count 13
		.amdhsa_user_sgpr_dispatch_ptr 0
		.amdhsa_user_sgpr_queue_ptr 0
		.amdhsa_user_sgpr_kernarg_segment_ptr 1
		.amdhsa_user_sgpr_dispatch_id 0
		.amdhsa_user_sgpr_private_segment_size 0
		.amdhsa_wavefront_size32 1
		.amdhsa_uses_dynamic_stack 0
		.amdhsa_enable_private_segment 0
		.amdhsa_system_sgpr_workgroup_id_x 1
		.amdhsa_system_sgpr_workgroup_id_y 1
		.amdhsa_system_sgpr_workgroup_id_z 1
		.amdhsa_system_sgpr_workgroup_info 0
		.amdhsa_system_vgpr_workitem_id 0
		.amdhsa_next_free_vgpr 202
		.amdhsa_next_free_sgpr 52
		.amdhsa_reserve_vcc 1
		.amdhsa_float_round_mode_32 0
		.amdhsa_float_round_mode_16_64 0
		.amdhsa_float_denorm_mode_32 3
		.amdhsa_float_denorm_mode_16_64 3
		.amdhsa_dx10_clamp 1
		.amdhsa_ieee_mode 1
		.amdhsa_fp16_overflow 0
		.amdhsa_workgroup_processor_mode 1
		.amdhsa_memory_ordered 1
		.amdhsa_forward_progress 0
		.amdhsa_shared_vgpr_count 0
		.amdhsa_exception_fp_ieee_invalid_op 0
		.amdhsa_exception_fp_denorm_src 0
		.amdhsa_exception_fp_ieee_div_zero 0
		.amdhsa_exception_fp_ieee_overflow 0
		.amdhsa_exception_fp_ieee_underflow 0
		.amdhsa_exception_fp_ieee_inexact 0
		.amdhsa_exception_int_div_zero 0
	.end_amdhsa_kernel
	.section	.text._Z39paged_attention_ll4mi_QKV_mfma16_kernelI14__hip_bfloat16S0_LN4vllm18Fp8KVCacheDataTypeE0EhLi16ELi64ELi256ELb0ELi2EL8MFMAType0EEvPKT_PKT0_S9_ifPKiSB_SB_iPKfiiiPfSE_PS4_PT2_iSD_SD_,"axG",@progbits,_Z39paged_attention_ll4mi_QKV_mfma16_kernelI14__hip_bfloat16S0_LN4vllm18Fp8KVCacheDataTypeE0EhLi16ELi64ELi256ELb0ELi2EL8MFMAType0EEvPKT_PKT0_S9_ifPKiSB_SB_iPKfiiiPfSE_PS4_PT2_iSD_SD_,comdat
.Lfunc_end439:
	.size	_Z39paged_attention_ll4mi_QKV_mfma16_kernelI14__hip_bfloat16S0_LN4vllm18Fp8KVCacheDataTypeE0EhLi16ELi64ELi256ELb0ELi2EL8MFMAType0EEvPKT_PKT0_S9_ifPKiSB_SB_iPKfiiiPfSE_PS4_PT2_iSD_SD_, .Lfunc_end439-_Z39paged_attention_ll4mi_QKV_mfma16_kernelI14__hip_bfloat16S0_LN4vllm18Fp8KVCacheDataTypeE0EhLi16ELi64ELi256ELb0ELi2EL8MFMAType0EEvPKT_PKT0_S9_ifPKiSB_SB_iPKfiiiPfSE_PS4_PT2_iSD_SD_
                                        ; -- End function
	.section	.AMDGPU.csdata,"",@progbits
; Kernel info:
; codeLenInByte = 9784
; NumSgprs: 54
; NumVgprs: 202
; ScratchSize: 0
; MemoryBound: 0
; FloatMode: 240
; IeeeMode: 1
; LDSByteSize: 17472 bytes/workgroup (compile time only)
; SGPRBlocks: 6
; VGPRBlocks: 25
; NumSGPRsForWavesPerEU: 54
; NumVGPRsForWavesPerEU: 202
; Occupancy: 7
; WaveLimiterHint : 1
; COMPUTE_PGM_RSRC2:SCRATCH_EN: 0
; COMPUTE_PGM_RSRC2:USER_SGPR: 13
; COMPUTE_PGM_RSRC2:TRAP_HANDLER: 0
; COMPUTE_PGM_RSRC2:TGID_X_EN: 1
; COMPUTE_PGM_RSRC2:TGID_Y_EN: 1
; COMPUTE_PGM_RSRC2:TGID_Z_EN: 1
; COMPUTE_PGM_RSRC2:TIDIG_COMP_CNT: 0
	.section	.text._Z39paged_attention_ll4mi_QKV_mfma16_kernelI14__hip_bfloat16S0_LN4vllm18Fp8KVCacheDataTypeE0EhLi16ELi64ELi256ELb0ELi3EL8MFMAType0EEvPKT_PKT0_S9_ifPKiSB_SB_iPKfiiiPfSE_PS4_PT2_iSD_SD_,"axG",@progbits,_Z39paged_attention_ll4mi_QKV_mfma16_kernelI14__hip_bfloat16S0_LN4vllm18Fp8KVCacheDataTypeE0EhLi16ELi64ELi256ELb0ELi3EL8MFMAType0EEvPKT_PKT0_S9_ifPKiSB_SB_iPKfiiiPfSE_PS4_PT2_iSD_SD_,comdat
	.protected	_Z39paged_attention_ll4mi_QKV_mfma16_kernelI14__hip_bfloat16S0_LN4vllm18Fp8KVCacheDataTypeE0EhLi16ELi64ELi256ELb0ELi3EL8MFMAType0EEvPKT_PKT0_S9_ifPKiSB_SB_iPKfiiiPfSE_PS4_PT2_iSD_SD_ ; -- Begin function _Z39paged_attention_ll4mi_QKV_mfma16_kernelI14__hip_bfloat16S0_LN4vllm18Fp8KVCacheDataTypeE0EhLi16ELi64ELi256ELb0ELi3EL8MFMAType0EEvPKT_PKT0_S9_ifPKiSB_SB_iPKfiiiPfSE_PS4_PT2_iSD_SD_
	.globl	_Z39paged_attention_ll4mi_QKV_mfma16_kernelI14__hip_bfloat16S0_LN4vllm18Fp8KVCacheDataTypeE0EhLi16ELi64ELi256ELb0ELi3EL8MFMAType0EEvPKT_PKT0_S9_ifPKiSB_SB_iPKfiiiPfSE_PS4_PT2_iSD_SD_
	.p2align	8
	.type	_Z39paged_attention_ll4mi_QKV_mfma16_kernelI14__hip_bfloat16S0_LN4vllm18Fp8KVCacheDataTypeE0EhLi16ELi64ELi256ELb0ELi3EL8MFMAType0EEvPKT_PKT0_S9_ifPKiSB_SB_iPKfiiiPfSE_PS4_PT2_iSD_SD_,@function
_Z39paged_attention_ll4mi_QKV_mfma16_kernelI14__hip_bfloat16S0_LN4vllm18Fp8KVCacheDataTypeE0EhLi16ELi64ELi256ELb0ELi3EL8MFMAType0EEvPKT_PKT0_S9_ifPKiSB_SB_iPKfiiiPfSE_PS4_PT2_iSD_SD_: ; @_Z39paged_attention_ll4mi_QKV_mfma16_kernelI14__hip_bfloat16S0_LN4vllm18Fp8KVCacheDataTypeE0EhLi16ELi64ELi256ELb0ELi3EL8MFMAType0EEvPKT_PKT0_S9_ifPKiSB_SB_iPKfiiiPfSE_PS4_PT2_iSD_SD_
; %bb.0:
	s_load_b64 s[2:3], s[0:1], 0x30
	s_mov_b32 s34, s13
	s_waitcnt lgkmcnt(0)
	s_cmp_lg_u64 s[2:3], 0
	s_cselect_b32 s8, -1, 0
	s_ashr_i32 s35, s13, 31
	s_cmp_eq_u64 s[2:3], 0
	s_cbranch_scc1 .LBB440_3
; %bb.1:
	s_lshl_b64 s[4:5], s[34:35], 2
	s_delay_alu instid0(SALU_CYCLE_1) | instskip(SKIP_4) | instid1(SALU_CYCLE_1)
	s_add_u32 s4, s2, s4
	s_addc_u32 s5, s3, s5
	s_load_b64 s[4:5], s[4:5], 0x0
	s_waitcnt lgkmcnt(0)
	s_sub_i32 s4, s5, s4
	s_cmp_eq_u32 s4, 1
	s_cselect_b32 s4, -1, 0
	s_delay_alu instid0(SALU_CYCLE_1)
	s_and_not1_b32 vcc_lo, exec_lo, s4
	s_cbranch_vccz .LBB440_4
.LBB440_2:
	s_nop 0
	s_sendmsg sendmsg(MSG_DEALLOC_VGPRS)
	s_endpgm
.LBB440_3:
.LBB440_4:
	s_load_b64 s[4:5], s[0:1], 0x28
	s_lshl_b64 s[6:7], s[34:35], 2
	s_waitcnt lgkmcnt(0)
	s_add_u32 s4, s4, s6
	s_addc_u32 s5, s5, s7
	s_lshl_b32 s33, s14, 8
	s_load_b32 s30, s[4:5], 0x0
	s_waitcnt lgkmcnt(0)
	s_cmp_ge_i32 s33, s30
	s_cbranch_scc1 .LBB440_2
; %bb.5:
	s_clause 0x1
	s_load_b128 s[20:23], s[0:1], 0x8
	s_load_b64 s[4:5], s[0:1], 0x20
	s_and_not1_b32 vcc_lo, exec_lo, s8
	s_cbranch_vccnz .LBB440_7
; %bb.6:
	s_add_u32 s2, s2, s6
	s_addc_u32 s3, s3, s7
	s_load_b32 s3, s[2:3], 0x0
	s_branch .LBB440_8
.LBB440_7:
	s_mov_b32 s3, s34
.LBB440_8:
	s_load_b128 s[16:19], s[0:1], 0x48
	v_lshrrev_b32_e32 v149, 5, v0
	v_bfe_u32 v146, v0, 4, 1
	v_and_b32_e32 v148, 15, v0
	v_and_b32_e32 v150, 31, v0
	;; [unrolled: 1-line block ×3, first 2 shown]
	s_mul_i32 s31, s15, 3
	v_lshl_or_b32 v1, v149, 1, v146
	v_lshlrev_b32_e32 v2, 3, v148
	v_cmp_gt_u32_e64 s2, 8, v148
	s_delay_alu instid0(VALU_DEP_3) | instskip(NEXT) | instid1(VALU_DEP_3)
	v_cmp_gt_u32_e32 vcc_lo, 3, v1
	v_lshlrev_b32_e32 v145, 1, v2
	s_delay_alu instid0(VALU_DEP_3) | instskip(NEXT) | instid1(SALU_CYCLE_1)
	s_and_b32 s7, s2, vcc_lo
	s_and_saveexec_b32 s6, s7
	s_cbranch_execz .LBB440_10
; %bb.9:
	s_load_b64 s[8:9], s[0:1], 0x0
	v_add_lshl_u32 v2, v1, s31, 6
	s_waitcnt lgkmcnt(0)
	s_mul_hi_i32 s11, s3, s16
	s_mul_i32 s10, s3, s16
	v_lshlrev_b32_e32 v6, 10, v148
	s_lshl_b64 s[10:11], s[10:11], 1
	v_ashrrev_i32_e32 v3, 31, v2
	v_lshlrev_b32_e32 v1, 6, v1
	v_lshlrev_b32_e32 v7, 10, v147
	v_and_b32_e32 v6, 0x3800, v6
	s_delay_alu instid0(VALU_DEP_4) | instskip(NEXT) | instid1(VALU_DEP_2)
	v_lshlrev_b64 v[2:3], 1, v[2:3]
	v_or3_b32 v1, v6, v7, v1
	s_add_u32 s3, s8, s10
	s_addc_u32 s7, s9, s11
	s_delay_alu instid0(VALU_DEP_2) | instskip(NEXT) | instid1(VALU_DEP_3)
	v_add_co_u32 v2, vcc_lo, s3, v2
	v_add_co_ci_u32_e32 v3, vcc_lo, s7, v3, vcc_lo
	s_delay_alu instid0(VALU_DEP_2) | instskip(NEXT) | instid1(VALU_DEP_2)
	v_add_co_u32 v2, vcc_lo, v2, v145
	v_add_co_ci_u32_e32 v3, vcc_lo, 0, v3, vcc_lo
	global_load_b128 v[2:5], v[2:3], off
	s_waitcnt vmcnt(0)
	ds_store_b128 v1, v[2:5]
.LBB440_10:
	s_or_b32 exec_lo, exec_lo, s6
	v_and_b32_e32 v1, 0xef, v0
	s_waitcnt lgkmcnt(0)
	s_add_i32 s3, s30, 15
	s_clause 0x1
	s_load_b32 s6, s[0:1], 0x38
	s_load_b32 s35, s[0:1], 0x1c
	s_ashr_i32 s7, s3, 31
	v_add_nc_u32_e32 v1, s33, v1
	s_lshr_b32 s7, s7, 28
	s_waitcnt lgkmcnt(0)
	s_add_i32 s3, s3, s7
	s_barrier
	v_ashrrev_i32_e32 v2, 31, v1
	v_or_b32_e32 v3, 16, v1
	s_ashr_i32 s3, s3, 4
	v_cmp_gt_i32_e32 vcc_lo, s30, v1
	s_add_i32 s3, s3, -1
	v_lshrrev_b32_e32 v2, 28, v2
	buffer_gl0_inv
	v_mul_lo_u16 v21, 0x56, v148
	v_lshlrev_b32_e32 v22, 5, v148
	v_add_nc_u32_e32 v4, v1, v2
	s_mul_i32 s6, s34, s6
	s_delay_alu instid0(VALU_DEP_3) | instskip(SKIP_1) | instid1(VALU_DEP_2)
	v_lshrrev_b16 v21, 8, v21
	s_ashr_i32 s7, s6, 31
	v_ashrrev_i32_e32 v4, 4, v4
	v_add_nc_u32_e32 v2, v3, v2
	s_lshl_b64 s[6:7], s[6:7], 2
	v_mul_lo_u16 v21, v21, 3
	s_add_u32 s16, s4, s6
	v_cndmask_b32_e32 v1, s3, v4, vcc_lo
	v_ashrrev_i32_e32 v2, 4, v2
	v_cmp_gt_i32_e32 vcc_lo, s30, v3
	s_addc_u32 s36, s5, s7
	s_mul_i32 s4, s15, s18
	v_sub_nc_u16 v21, v148, v21
	s_ashr_i32 s5, s4, 31
	v_cndmask_b32_e32 v3, s3, v2, vcc_lo
	v_ashrrev_i32_e32 v2, 31, v1
	s_lshl_b64 s[12:13], s[4:5], 1
	v_and_b32_e32 v21, 0xff, v21
	s_add_u32 s26, s20, s12
	v_ashrrev_i32_e32 v4, 31, v3
	v_lshlrev_b64 v[1:2], 2, v[1:2]
	s_addc_u32 s27, s21, s13
	s_lshl_b32 s4, s14, 4
	v_lshlrev_b32_e32 v197, 6, v21
	v_lshlrev_b64 v[3:4], 2, v[3:4]
	s_ashr_i32 s5, s4, 31
	v_add_co_u32 v1, vcc_lo, s16, v1
	v_add_co_ci_u32_e32 v2, vcc_lo, s36, v2, vcc_lo
	s_delay_alu instid0(VALU_DEP_3) | instskip(NEXT) | instid1(VALU_DEP_4)
	v_add_co_u32 v3, vcc_lo, s16, v3
	v_add_co_ci_u32_e32 v4, vcc_lo, s36, v4, vcc_lo
	s_clause 0x1
	global_load_b32 v5, v[1:2], off
	global_load_b32 v6, v[3:4], off
	s_lshl_b64 s[4:5], s[4:5], 2
	v_lshlrev_b32_e32 v3, 4, v0
	s_add_u32 s4, s16, s4
	s_addc_u32 s5, s36, s5
	s_or_b32 s6, s33, 16
	v_lshl_or_b32 v22, v149, 9, v22
	s_ashr_i32 s7, s6, 4
	s_cmp_lt_i32 s6, s30
	s_cselect_b32 s6, s7, s3
	s_delay_alu instid0(SALU_CYCLE_1) | instskip(NEXT) | instid1(SALU_CYCLE_1)
	s_ashr_i32 s7, s6, 31
	s_lshl_b64 s[6:7], s[6:7], 2
	s_delay_alu instid0(SALU_CYCLE_1) | instskip(SKIP_2) | instid1(SALU_CYCLE_1)
	s_add_u32 s6, s16, s6
	s_addc_u32 s7, s36, s7
	s_or_b32 s8, s33, 32
	s_ashr_i32 s9, s8, 4
	s_cmp_lt_i32 s8, s30
	s_cselect_b32 s8, s9, s3
	s_delay_alu instid0(SALU_CYCLE_1) | instskip(NEXT) | instid1(SALU_CYCLE_1)
	s_ashr_i32 s9, s8, 31
	s_lshl_b64 s[8:9], s[8:9], 2
	s_delay_alu instid0(SALU_CYCLE_1) | instskip(SKIP_2) | instid1(SALU_CYCLE_1)
	s_add_u32 s8, s16, s8
	s_addc_u32 s9, s36, s9
	s_or_b32 s10, s33, 48
	;; [unrolled: 10-line block ×4, first 2 shown]
	s_ashr_i32 s18, s15, 4
	s_cmp_lt_i32 s15, s30
	s_cselect_b32 s18, s18, s3
	s_delay_alu instid0(SALU_CYCLE_1) | instskip(NEXT) | instid1(SALU_CYCLE_1)
	s_ashr_i32 s19, s18, 31
	s_lshl_b64 s[18:19], s[18:19], 2
	s_delay_alu instid0(SALU_CYCLE_1)
	s_add_u32 s24, s16, s18
	s_addc_u32 s25, s36, s19
	s_clause 0x5
	s_load_b32 s37, s[4:5], 0x0
	s_load_b32 s29, s[6:7], 0x0
	;; [unrolled: 1-line block ×6, first 2 shown]
	s_waitcnt vmcnt(1)
	v_mad_i64_i32 v[1:2], null, v5, s17, 0
	v_and_b32_e32 v5, 0xf0, v3
	s_waitcnt vmcnt(0)
	v_mad_i64_i32 v[3:4], null, v6, s17, 0
	s_delay_alu instid0(VALU_DEP_2) | instskip(NEXT) | instid1(VALU_DEP_4)
	v_add_co_u32 v5, s4, s26, v5
	v_lshlrev_b64 v[1:2], 1, v[1:2]
	v_add_co_ci_u32_e64 v6, null, s27, 0, s4
	s_delay_alu instid0(VALU_DEP_4) | instskip(SKIP_1) | instid1(VALU_DEP_3)
	v_lshlrev_b64 v[3:4], 1, v[3:4]
	s_or_b32 s4, s33, 0x60
	v_add_co_u32 v19, vcc_lo, v5, v1
	s_delay_alu instid0(VALU_DEP_3) | instskip(NEXT) | instid1(VALU_DEP_3)
	v_add_co_ci_u32_e32 v20, vcc_lo, v6, v2, vcc_lo
	v_add_co_u32 v17, vcc_lo, v5, v3
	s_delay_alu instid0(VALU_DEP_4)
	v_add_co_ci_u32_e32 v18, vcc_lo, v6, v4, vcc_lo
	s_clause 0xb
	global_load_b128 v[1:4], v[19:20], off
	global_load_b128 v[5:8], v[19:20], off offset:256
	global_load_b128 v[129:132], v[17:18], off
	global_load_b128 v[133:136], v[17:18], off offset:256
	global_load_b128 v[33:36], v[19:20], off offset:512
	;; [unrolled: 1-line block ×9, first 2 shown]
	ds_load_b128 v[159:162], v197
	ds_load_b128 v[163:166], v197 offset:1024
	s_clause 0x3
	global_load_b128 v[167:170], v[19:20], off offset:1536
	global_load_b128 v[171:174], v[19:20], off offset:1792
	global_load_b128 v[175:178], v[17:18], off offset:1536
	global_load_b128 v[179:182], v[17:18], off offset:1792
	s_ashr_i32 s5, s4, 4
	s_cmp_lt_i32 s4, s30
	s_cselect_b32 s4, s5, s3
	s_delay_alu instid0(SALU_CYCLE_1) | instskip(NEXT) | instid1(SALU_CYCLE_1)
	s_ashr_i32 s5, s4, 31
	s_lshl_b64 s[4:5], s[4:5], 2
	s_delay_alu instid0(SALU_CYCLE_1) | instskip(SKIP_2) | instid1(SALU_CYCLE_1)
	s_add_u32 s20, s16, s4
	s_addc_u32 s21, s36, s5
	s_or_b32 s4, s33, 0x70
	s_ashr_i32 s5, s4, 4
	s_cmp_lt_i32 s4, s30
	s_cselect_b32 s4, s5, s3
	s_delay_alu instid0(SALU_CYCLE_1) | instskip(NEXT) | instid1(SALU_CYCLE_1)
	s_ashr_i32 s5, s4, 31
	s_lshl_b64 s[6:7], s[4:5], 2
	s_mov_b32 s4, 0
	s_add_u32 s24, s16, s6
	s_addc_u32 s25, s36, s7
	s_or_b32 s5, s33, 0x80
	s_mov_b32 s11, s4
	s_ashr_i32 s6, s5, 4
	s_cmp_lt_i32 s5, s30
	s_mov_b32 s5, s4
	s_cselect_b32 s8, s6, s3
	s_mov_b32 s6, s4
	s_ashr_i32 s9, s8, 31
	s_mov_b32 s7, s4
	s_lshl_b64 s[8:9], s[8:9], 2
	s_load_b32 s46, s[24:25], 0x0
	s_add_u32 s26, s16, s8
	s_addc_u32 s27, s36, s9
	s_or_b32 s9, s33, 0x90
	s_load_b32 s47, s[26:27], 0x0
	s_ashr_i32 s10, s9, 4
	s_cmp_lt_i32 s9, s30
	s_mov_b32 s8, s4
	s_cselect_b32 s38, s10, s3
	s_mov_b32 s9, s4
	s_ashr_i32 s39, s38, 31
	s_mov_b32 s10, s4
	s_lshl_b64 s[38:39], s[38:39], 2
	v_mov_b32_e32 v144, s11
	s_add_u32 s38, s16, s38
	s_addc_u32 s39, s36, s39
	s_or_b32 s40, s33, 0xa0
	v_mov_b32_e32 v143, s10
	s_ashr_i32 s41, s40, 4
	s_cmp_lt_i32 s40, s30
	v_mov_b32_e32 v142, s9
	s_cselect_b32 s40, s41, s3
	v_mov_b32_e32 v141, s8
	s_ashr_i32 s41, s40, 31
	v_dual_mov_b32 v140, s7 :: v_dual_mov_b32 v139, s6
	v_dual_mov_b32 v138, s5 :: v_dual_mov_b32 v137, s4
	s_lshl_b64 s[4:5], s[40:41], 2
	s_waitcnt lgkmcnt(0)
	s_mul_hi_i32 s7, s29, s17
	s_add_u32 s42, s16, s4
	s_addc_u32 s43, s36, s5
	s_or_b32 s4, s33, 0xb0
	s_mul_hi_i32 s5, s37, s17
	s_ashr_i32 s6, s4, 4
	s_cmp_lt_i32 s4, s30
	s_mul_i32 s4, s37, s17
	s_cselect_b32 s8, s6, s3
	s_mul_i32 s6, s29, s17
	s_ashr_i32 s9, s8, 31
	s_load_b32 s41, s[20:21], 0x0
	s_lshl_b64 s[8:9], s[8:9], 2
	s_load_b32 s40, s[38:39], 0x0
	s_add_u32 s44, s16, s8
	s_addc_u32 s45, s36, s9
	s_or_b32 s8, s33, 0xc0
	s_mul_hi_i32 s9, s28, s17
	s_ashr_i32 s10, s8, 4
	s_cmp_lt_i32 s8, s30
	s_mul_i32 s8, s28, s17
	s_cselect_b32 s28, s10, s3
	s_load_b32 s39, s[42:43], 0x0
	s_ashr_i32 s29, s28, 31
	s_mul_hi_i32 s21, s15, s17
	s_lshl_b64 s[28:29], s[28:29], 2
	s_mul_hi_i32 s27, s46, s17
	s_add_u32 s28, s16, s28
	s_addc_u32 s29, s36, s29
	s_or_b32 s37, s33, 0xd0
	s_mul_i32 s26, s46, s17
	s_ashr_i32 s20, s37, 4
	s_cmp_lt_i32 s37, s30
	s_mul_hi_i32 s11, s19, s17
	s_cselect_b32 s24, s20, s3
	s_mul_i32 s20, s15, s17
	s_ashr_i32 s25, s24, 31
	s_mul_i32 s10, s19, s17
	s_lshl_b64 s[24:25], s[24:25], 2
	s_mul_hi_i32 s19, s18, s17
	s_add_u32 s24, s16, s24
	s_addc_u32 s25, s36, s25
	s_or_b32 s42, s33, 0xe0
	s_clause 0x2
	s_load_b32 s38, s[44:45], 0x0
	s_load_b32 s37, s[28:29], 0x0
	;; [unrolled: 1-line block ×3, first 2 shown]
	s_ashr_i32 s43, s42, 4
	s_cmp_lt_i32 s42, s30
	s_mul_hi_i32 s29, s47, s17
	s_cselect_b32 s42, s43, s3
	s_mul_i32 s28, s47, s17
	s_ashr_i32 s43, s42, 31
	s_mul_i32 s18, s18, s17
	s_lshl_b64 s[42:43], s[42:43], 2
	s_waitcnt lgkmcnt(0)
	s_mul_hi_i32 s25, s41, s17
	s_add_u32 s42, s16, s42
	s_addc_u32 s43, s36, s43
	s_or_b32 s46, s33, 0xf0
	s_mul_i32 s24, s41, s17
	s_ashr_i32 s47, s46, 4
	s_cmp_lt_i32 s46, s30
	s_mul_hi_i32 s41, s40, s17
	s_cselect_b32 s46, s47, s3
	s_mul_i32 s40, s40, s17
	s_ashr_i32 s47, s46, 31
	s_mul_hi_i32 s51, s15, s17
	s_lshl_b64 s[46:47], s[46:47], 2
	s_mul_i32 s50, s15, s17
	s_add_u32 s46, s16, s46
	s_addc_u32 s47, s36, s47
	s_add_u32 s3, s22, s12
	s_addc_u32 s15, s23, s13
	v_add_co_u32 v195, s3, s3, v22
	s_delay_alu instid0(VALU_DEP_1) | instskip(SKIP_2) | instid1(VALU_DEP_2)
	v_add_co_ci_u32_e64 v196, null, s15, 0, s3
	s_lshl_b64 s[4:5], s[4:5], 1
	s_lshl_b64 s[6:7], s[6:7], 1
	v_add_co_u32 v17, vcc_lo, v195, s4
	s_delay_alu instid0(VALU_DEP_2)
	v_add_co_ci_u32_e32 v18, vcc_lo, s5, v196, vcc_lo
	v_add_co_u32 v19, vcc_lo, v195, s6
	s_lshl_b64 s[8:9], s[8:9], 1
	v_add_co_ci_u32_e32 v20, vcc_lo, s7, v196, vcc_lo
	v_add_co_u32 v21, vcc_lo, v195, s8
	s_lshl_b64 s[10:11], s[10:11], 1
	;; [unrolled: 3-line block ×8, first 2 shown]
	s_mul_hi_i32 s45, s39, s17
	s_mul_i32 s44, s39, s17
	v_add_co_ci_u32_e32 v50, vcc_lo, s25, v196, vcc_lo
	v_add_co_u32 v53, vcc_lo, v195, s26
	s_lshl_b64 s[28:29], s[44:45], 1
	s_mul_hi_i32 s39, s38, s17
	s_mul_i32 s38, s38, s17
	v_add_co_ci_u32_e32 v54, vcc_lo, s27, v196, vcc_lo
	v_add_co_u32 v183, vcc_lo, v195, s28
	s_mul_hi_i32 s49, s37, s17
	s_mul_i32 s48, s37, s17
	s_lshl_b64 s[36:37], s[38:39], 1
	v_add_co_ci_u32_e32 v184, vcc_lo, s29, v196, vcc_lo
	v_add_co_u32 v185, vcc_lo, v195, s36
	s_lshl_b64 s[38:39], s[48:49], 1
	s_clause 0x1
	s_load_b32 s3, s[42:43], 0x0
	s_load_b32 s15, s[46:47], 0x0
	v_add_co_ci_u32_e32 v186, vcc_lo, s37, v196, vcc_lo
	v_add_co_u32 v191, vcc_lo, v195, s38
	v_add_co_ci_u32_e32 v192, vcc_lo, s39, v196, vcc_lo
	s_clause 0x17
	global_load_b128 v[121:124], v[17:18], off
	global_load_b128 v[125:128], v[17:18], off offset:16
	global_load_b128 v[113:116], v[19:20], off
	global_load_b128 v[117:120], v[19:20], off offset:16
	;; [unrolled: 2-line block ×12, first 2 shown]
	s_lshl_b64 s[40:41], s[50:51], 1
	s_delay_alu instid0(SALU_CYCLE_1)
	v_add_co_u32 v193, vcc_lo, v195, s40
	v_add_co_ci_u32_e32 v194, vcc_lo, s41, v196, vcc_lo
	s_waitcnt lgkmcnt(0)
	s_mul_hi_i32 s5, s3, s17
	s_mul_i32 s4, s3, s17
	s_mul_hi_i32 s7, s15, s17
	s_lshl_b64 s[4:5], s[4:5], 1
	s_mul_i32 s6, s15, s17
	s_waitcnt vmcnt(38)
	v_wmma_f32_16x16x16_bf16 v[183:190], v[1:8], v[159:166], v[137:144]
	s_waitcnt vmcnt(36)
	v_wmma_f32_16x16x16_bf16 v[137:144], v[129:136], v[159:166], v[137:144]
	s_clause 0x1
	global_load_b128 v[1:4], v[191:192], off
	global_load_b128 v[5:8], v[191:192], off offset:16
	ds_load_b128 v[129:132], v197 offset:2048
	ds_load_b128 v[133:136], v197 offset:3072
	;; [unrolled: 1-line block ×4, first 2 shown]
	v_add_co_u32 v191, vcc_lo, v195, s4
	v_add_co_ci_u32_e32 v192, vcc_lo, s5, v196, vcc_lo
	s_lshl_b64 s[4:5], s[6:7], 1
	s_delay_alu instid0(SALU_CYCLE_1)
	v_add_co_u32 v195, vcc_lo, v195, s4
	v_add_co_ci_u32_e32 v196, vcc_lo, s5, v196, vcc_lo
	s_waitcnt vmcnt(36) lgkmcnt(2)
	v_wmma_f32_16x16x16_bf16 v[183:190], v[33:40], v[129:136], v[183:190]
	s_waitcnt vmcnt(34)
	v_wmma_f32_16x16x16_bf16 v[137:144], v[25:32], v[129:136], v[137:144]
	s_clause 0x3
	global_load_b128 v[25:28], v[193:194], off
	global_load_b128 v[29:32], v[193:194], off offset:16
	global_load_b128 v[33:36], v[191:192], off
	global_load_b128 v[37:40], v[191:192], off offset:16
	v_and_b32_e32 v129, 0xe0, v0
	v_mbcnt_lo_u32_b32 v191, -1, 0
	s_waitcnt vmcnt(36) lgkmcnt(0)
	v_wmma_f32_16x16x16_bf16 v[183:190], v[9:16], v[159:166], v[183:190]
	s_clause 0x1
	global_load_b128 v[9:12], v[195:196], off
	global_load_b128 v[13:16], v[195:196], off offset:16
	s_waitcnt vmcnt(36)
	v_wmma_f32_16x16x16_bf16 v[137:144], v[151:158], v[159:166], v[137:144]
	v_add_nc_u32_e32 v192, s33, v129
	ds_load_b128 v[129:132], v197 offset:6144
	ds_load_b128 v[133:136], v197 offset:7168
	v_xor_b32_e32 v151, 16, v191
	s_waitcnt vmcnt(0) lgkmcnt(0)
	s_barrier
	v_or_b32_e32 v152, v192, v146
	buffer_gl0_inv
	v_cmp_gt_i32_e32 vcc_lo, 32, v151
	v_or_b32_e32 v153, 2, v152
	v_or_b32_e32 v154, 4, v152
	;; [unrolled: 1-line block ×5, first 2 shown]
	v_cmp_gt_i32_e64 s3, s30, v153
	v_or_b32_e32 v158, 12, v152
	v_cmp_gt_i32_e64 s4, s30, v154
	v_cmp_gt_i32_e64 s5, s30, v155
	v_or_b32_e32 v159, 14, v152
	v_cmp_gt_i32_e64 s6, s30, v156
	v_wmma_f32_16x16x16_bf16 v[183:190], v[167:174], v[129:136], v[183:190]
	v_wmma_f32_16x16x16_bf16 v[137:144], v[175:182], v[129:136], v[137:144]
	v_cndmask_b32_e32 v151, v191, v151, vcc_lo
	v_cmp_gt_i32_e32 vcc_lo, s30, v152
	v_cmp_gt_i32_e64 s7, s30, v157
	v_dual_mul_f32 v135, s35, v184 :: v_dual_mul_f32 v136, s35, v183
	v_mul_f32_e32 v134, s35, v185
	v_dual_mul_f32 v168, s35, v144 :: v_dual_mul_f32 v133, s35, v186
	s_delay_alu instid0(VALU_DEP_3) | instskip(NEXT) | instid1(VALU_DEP_4)
	v_cndmask_b32_e64 v135, 0xff7fffff, v135, s3
	v_cndmask_b32_e32 v136, 0xff7fffff, v136, vcc_lo
	v_dual_mul_f32 v131, s35, v188 :: v_dual_mul_f32 v174, s35, v138
	v_mul_f32_e32 v132, s35, v187
	v_cndmask_b32_e64 v134, 0xff7fffff, v134, s4
	s_delay_alu instid0(VALU_DEP_4)
	v_max3_f32 v135, v136, 0xff7fffff, v135
	v_cmp_gt_i32_e64 s8, s30, v158
	v_lshlrev_b32_e32 v158, 2, v151
	v_cndmask_b32_e64 v133, 0xff7fffff, v133, s5
	v_or_b32_e32 v160, 16, v152
	v_or_b32_e32 v161, 18, v152
	v_dual_mul_f32 v129, s35, v190 :: v_dual_mul_f32 v172, s35, v140
	v_mul_f32_e32 v130, s35, v189
	v_cndmask_b32_e64 v132, 0xff7fffff, v132, s6
	v_cndmask_b32_e64 v131, 0xff7fffff, v131, s7
	v_max3_f32 v133, v135, v134, v133
	v_cmp_gt_i32_e64 s9, s30, v159
	v_or_b32_e32 v162, 20, v152
	v_or_b32_e32 v163, 22, v152
	v_mul_f32_e32 v175, s35, v137
	v_cndmask_b32_e64 v130, 0xff7fffff, v130, s8
	v_cndmask_b32_e64 v129, 0xff7fffff, v129, s9
	v_max3_f32 v131, v133, v132, v131
	v_cmp_gt_i32_e64 s10, s30, v160
	v_cmp_gt_i32_e64 s11, s30, v161
	v_or_b32_e32 v164, 24, v152
	v_or_b32_e32 v165, 26, v152
	v_mul_f32_e32 v173, s35, v139
	v_cndmask_b32_e64 v132, 0xff7fffff, v175, s10
	v_cndmask_b32_e64 v133, 0xff7fffff, v174, s11
	v_max3_f32 v129, v131, v130, v129
	v_cmp_gt_i32_e64 s12, s30, v162
	v_cmp_gt_i32_e64 s13, s30, v163
	v_or_b32_e32 v166, 28, v152
	v_or_b32_e32 v167, 30, v152
	v_dual_mul_f32 v170, s35, v142 :: v_dual_mul_f32 v171, s35, v141
	v_cndmask_b32_e64 v130, 0xff7fffff, v173, s12
	v_cndmask_b32_e64 v131, 0xff7fffff, v172, s13
	v_max3_f32 v129, v129, v132, v133
	v_cmp_gt_i32_e64 s15, s30, v164
	v_cmp_gt_i32_e64 s16, s30, v165
	v_mul_f32_e32 v169, s35, v143
	v_cmp_gt_i32_e64 s17, s30, v166
	v_max3_f32 v129, v129, v130, v131
	v_cndmask_b32_e64 v132, 0xff7fffff, v171, s15
	v_cndmask_b32_e64 v133, 0xff7fffff, v170, s16
	v_cmp_gt_i32_e64 s18, s30, v167
	v_cndmask_b32_e64 v130, 0xff7fffff, v169, s17
	s_delay_alu instid0(VALU_DEP_3) | instskip(NEXT) | instid1(VALU_DEP_3)
	v_max3_f32 v129, v129, v132, v133
	v_cndmask_b32_e64 v131, 0xff7fffff, v168, s18
	s_delay_alu instid0(VALU_DEP_1) | instskip(SKIP_3) | instid1(VALU_DEP_1)
	v_max3_f32 v129, v129, v130, v131
	ds_bpermute_b32 v130, v158, v129
	s_waitcnt lgkmcnt(0)
	v_max_f32_e32 v130, v130, v130
	v_max_f32_e32 v129, v129, v130
	s_delay_alu instid0(VALU_DEP_1)
	v_fma_f32 v130, s35, v183, -v129
	v_fma_f32 v132, s35, v185, -v129
	;; [unrolled: 1-line block ×5, first 2 shown]
	v_mul_f32_e32 v130, 0x3fb8aa3b, v130
	v_mul_f32_e32 v132, 0x3fb8aa3b, v132
	v_fma_f32 v135, s35, v189, -v129
	v_mul_f32_e32 v134, 0x3fb8aa3b, v134
	s_delay_alu instid0(VALU_DEP_4) | instskip(NEXT) | instid1(VALU_DEP_3)
	v_exp_f32_e32 v130, v130
	v_exp_f32_e32 v132, v132
	s_delay_alu instid0(VALU_DEP_1) | instskip(NEXT) | instid1(TRANS32_DEP_3)
	v_exp_f32_e32 v134, v134
	v_cndmask_b32_e32 v152, 0, v130, vcc_lo
	v_fma_f32 v130, s35, v188, -v129
	v_mul_f32_e32 v131, 0x3fb8aa3b, v131
	s_waitcnt_depctr 0xfff
	v_cndmask_b32_e64 v153, 0, v132, s4
	v_fma_f32 v132, s35, v190, -v129
	v_dual_mul_f32 v133, 0x3fb8aa3b, v133 :: v_dual_mul_f32 v130, 0x3fb8aa3b, v130
	v_exp_f32_e32 v131, v131
	v_cndmask_b32_e64 v155, 0, v134, s6
	s_delay_alu instid0(VALU_DEP_3) | instskip(NEXT) | instid1(VALU_DEP_3)
	v_mul_f32_e32 v132, 0x3fb8aa3b, v132
	v_exp_f32_e32 v133, v133
	v_exp_f32_e32 v130, v130
	v_fma_f32 v134, s35, v138, -v129
	s_delay_alu instid0(VALU_DEP_2) | instskip(SKIP_1) | instid1(VALU_DEP_2)
	v_exp_f32_e32 v132, v132
	v_cndmask_b32_e64 v151, 0, v131, s3
	v_dual_add_f32 v131, 0, v152 :: v_dual_mul_f32 v134, 0x3fb8aa3b, v134
	s_delay_alu instid0(TRANS32_DEP_3)
	v_cndmask_b32_e64 v154, 0, v133, s5
	s_waitcnt_depctr 0xfff
	v_cndmask_b32_e64 v156, 0, v130, s7
	v_fma_f32 v133, s35, v137, -v129
	v_add_f32_e32 v131, v131, v151
	v_exp_f32_e32 v134, v134
	v_cmp_gt_u32_e64 s3, 16, v150
	s_delay_alu instid0(VALU_DEP_2) | instskip(NEXT) | instid1(VALU_DEP_1)
	v_add_f32_e32 v131, v131, v153
	v_add_f32_e32 v131, v131, v154
	s_delay_alu instid0(VALU_DEP_1) | instskip(SKIP_1) | instid1(VALU_DEP_2)
	v_dual_mul_f32 v133, 0x3fb8aa3b, v133 :: v_dual_add_f32 v130, v131, v155
	v_fma_f32 v131, s35, v139, -v129
	v_exp_f32_e32 v133, v133
	v_fma_f32 v139, s35, v144, -v129
	s_delay_alu instid0(VALU_DEP_3) | instskip(NEXT) | instid1(VALU_DEP_1)
	v_dual_add_f32 v130, v130, v156 :: v_dual_mul_f32 v135, 0x3fb8aa3b, v135
	v_exp_f32_e32 v135, v135
	s_waitcnt_depctr 0xfff
	v_cndmask_b32_e64 v157, 0, v135, s8
	v_fma_f32 v135, s35, v140, -v129
	v_cndmask_b32_e64 v140, 0, v132, s9
	v_fma_f32 v132, s35, v141, -v129
	s_delay_alu instid0(VALU_DEP_4) | instskip(NEXT) | instid1(VALU_DEP_1)
	v_add_f32_e32 v130, v130, v157
	v_add_f32_e32 v130, v130, v140
	s_delay_alu instid0(VALU_DEP_3) | instskip(SKIP_4) | instid1(VALU_DEP_3)
	v_mul_f32_e32 v137, 0x3fb8aa3b, v132
	v_cndmask_b32_e64 v132, 0, v134, s11
	v_mul_f32_e32 v131, 0x3fb8aa3b, v131
	v_fma_f32 v134, s35, v143, -v129
	v_mul_f32_e32 v135, 0x3fb8aa3b, v135
	v_exp_f32_e32 v136, v131
	v_cndmask_b32_e64 v131, 0, v133, s10
	v_fma_f32 v133, s35, v142, -v129
	s_delay_alu instid0(VALU_DEP_2) | instskip(NEXT) | instid1(VALU_DEP_2)
	v_add_f32_e32 v130, v130, v131
	v_mul_f32_e32 v138, 0x3fb8aa3b, v133
	v_exp_f32_e32 v137, v137
	s_waitcnt_depctr 0xfff
	v_cndmask_b32_e64 v133, 0, v136, s12
	v_mul_f32_e32 v136, 0x3fb8aa3b, v134
	v_exp_f32_e32 v135, v135
	v_add_f32_e32 v130, v130, v132
	v_exp_f32_e32 v138, v138
	s_delay_alu instid0(VALU_DEP_2) | instskip(NEXT) | instid1(VALU_DEP_1)
	v_exp_f32_e32 v141, v136
	v_add_f32_e32 v130, v130, v133
	s_delay_alu instid0(TRANS32_DEP_3)
	v_cndmask_b32_e64 v134, 0, v135, s13
	v_cndmask_b32_e64 v135, 0, v137, s15
	v_mul_f32_e32 v137, 0x3fb8aa3b, v139
	s_waitcnt_depctr 0xfff
	v_cndmask_b32_e64 v136, 0, v138, s16
	v_add_f32_e32 v130, v130, v134
	v_exp_f32_e32 v138, v137
	v_cndmask_b32_e64 v137, 0, v141, s17
	s_delay_alu instid0(VALU_DEP_2) | instskip(NEXT) | instid1(VALU_DEP_1)
	v_add_f32_e32 v130, v130, v135
	v_add_f32_e32 v130, v130, v136
	s_waitcnt_depctr 0xfff
	v_cndmask_b32_e64 v138, 0, v138, s18
	v_add_f32_e32 v130, v130, v137
	s_delay_alu instid0(VALU_DEP_1)
	v_add_f32_e32 v130, v130, v138
	ds_bpermute_b32 v139, v158, v130
	s_and_saveexec_b32 s4, s3
	s_cbranch_execz .LBB440_12
; %bb.11:
	v_mul_u32_u24_e32 v141, 0x44, v149
	s_delay_alu instid0(VALU_DEP_1) | instskip(SKIP_1) | instid1(VALU_DEP_1)
	v_lshl_add_u32 v141, v148, 2, v141
	s_waitcnt lgkmcnt(0)
	v_dual_add_f32 v130, v130, v139 :: v_dual_add_nc_u32 v139, 0x4000, v141
	ds_store_2addr_b32 v139, v129, v130 offset1:136
.LBB440_12:
	s_or_b32 exec_lo, exec_lo, s4
	v_lshlrev_b32_e32 v129, 2, v148
	s_waitcnt lgkmcnt(0)
	s_barrier
	buffer_gl0_inv
	v_cmp_eq_u32_e64 s4, 1, v149
	v_add_nc_u32_e32 v139, 0x4000, v129
	ds_load_2addr_b32 v[141:142], v139 offset1:17
	ds_load_2addr_b32 v[143:144], v139 offset0:34 offset1:51
	ds_load_2addr_b32 v[158:159], v139 offset0:68 offset1:85
	ds_load_2addr_b32 v[160:161], v139 offset0:102 offset1:119
	ds_load_2addr_b32 v[162:163], v139 offset0:136 offset1:153
	s_waitcnt lgkmcnt(4)
	v_max3_f32 v129, v141, 0xff7fffff, v142
	s_waitcnt lgkmcnt(3)
	s_delay_alu instid0(VALU_DEP_1) | instskip(SKIP_1) | instid1(VALU_DEP_1)
	v_max3_f32 v129, v129, v143, v144
	s_waitcnt lgkmcnt(2)
	v_max3_f32 v129, v129, v158, v159
	s_waitcnt lgkmcnt(1)
	s_delay_alu instid0(VALU_DEP_1) | instskip(NEXT) | instid1(VALU_DEP_1)
	v_max3_f32 v129, v129, v160, v161
	v_sub_f32_e32 v158, v158, v129
	s_delay_alu instid0(VALU_DEP_1) | instskip(NEXT) | instid1(VALU_DEP_1)
	v_dual_sub_f32 v150, v142, v129 :: v_dual_mul_f32 v167, 0x3fb8aa3b, v158
	v_dual_sub_f32 v143, v143, v129 :: v_dual_mul_f32 v150, 0x3fb8aa3b, v150
	s_delay_alu instid0(VALU_DEP_1) | instskip(NEXT) | instid1(VALU_DEP_2)
	v_dual_sub_f32 v130, v141, v129 :: v_dual_mul_f32 v165, 0x3fb8aa3b, v143
	v_exp_f32_e32 v150, v150
	s_delay_alu instid0(VALU_DEP_1) | instskip(NEXT) | instid1(VALU_DEP_2)
	v_mul_f32_e32 v130, 0x3fb8aa3b, v130
	v_exp_f32_e32 v165, v165
	s_delay_alu instid0(VALU_DEP_1) | instskip(SKIP_1) | instid1(VALU_DEP_1)
	v_exp_f32_e32 v164, v130
	v_sub_f32_e32 v130, v144, v129
	v_mul_f32_e32 v166, 0x3fb8aa3b, v130
	s_waitcnt lgkmcnt(0)
	s_waitcnt_depctr 0xfff
	v_fma_f32 v130, v164, v162, 0
	v_sub_f32_e32 v162, v159, v129
	s_delay_alu instid0(VALU_DEP_2)
	v_fmac_f32_e32 v130, v150, v163
	ds_load_2addr_b32 v[141:142], v139 offset0:170 offset1:187
	ds_load_2addr_b32 v[143:144], v139 offset0:204 offset1:221
	;; [unrolled: 1-line block ×3, first 2 shown]
	v_sub_f32_e32 v139, v160, v129
	v_exp_f32_e32 v166, v166
	v_mul_f32_e32 v160, 0x3fb8aa3b, v162
	v_exp_f32_e32 v162, v167
	v_cndmask_b32_e64 v150, v164, v150, s4
	v_mul_f32_e32 v139, 0x3fb8aa3b, v139
	v_cmp_eq_u32_e64 s4, 2, v149
	s_waitcnt lgkmcnt(0)
	s_barrier
	buffer_gl0_inv
	v_exp_f32_e32 v139, v139
	v_cndmask_b32_e64 v150, v150, v165, s4
	v_cmp_eq_u32_e64 s4, 3, v149
	v_fmac_f32_e32 v130, v165, v141
	v_sub_f32_e32 v141, v161, v129
	v_exp_f32_e32 v160, v160
	s_delay_alu instid0(VALU_DEP_3) | instskip(SKIP_1) | instid1(VALU_DEP_3)
	v_cndmask_b32_e64 v150, v150, v166, s4
	v_cmp_eq_u32_e64 s4, 4, v149
	v_dual_fmac_f32 v130, v166, v142 :: v_dual_mul_f32 v141, 0x3fb8aa3b, v141
	s_delay_alu instid0(VALU_DEP_2) | instskip(SKIP_1) | instid1(VALU_DEP_3)
	v_cndmask_b32_e64 v150, v150, v162, s4
	v_cmp_eq_u32_e64 s4, 5, v149
	v_exp_f32_e32 v141, v141
	s_delay_alu instid0(VALU_DEP_3)
	v_fmac_f32_e32 v130, v162, v143
	s_delay_alu instid0(TRANS32_DEP_2) | instid1(VALU_DEP_2)
	v_cndmask_b32_e64 v150, v150, v160, s4
	s_delay_alu instid0(VALU_DEP_2) | instskip(NEXT) | instid1(VALU_DEP_1)
	v_fmac_f32_e32 v130, v160, v144
	v_fmac_f32_e32 v130, v139, v158
	s_waitcnt_depctr 0xfff
	v_fmac_f32_e32 v130, v141, v159
	s_delay_alu instid0(VALU_DEP_1) | instskip(NEXT) | instid1(VALU_DEP_1)
	v_add_f32_e32 v142, 0x358637bd, v130
	v_div_scale_f32 v143, null, v142, v142, 1.0
	v_div_scale_f32 v159, vcc_lo, 1.0, v142, 1.0
	s_delay_alu instid0(VALU_DEP_2) | instskip(SKIP_2) | instid1(VALU_DEP_1)
	v_rcp_f32_e32 v144, v143
	s_waitcnt_depctr 0xfff
	v_fma_f32 v158, -v143, v144, 1.0
	v_fmac_f32_e32 v144, v158, v144
	s_delay_alu instid0(VALU_DEP_1) | instskip(NEXT) | instid1(VALU_DEP_1)
	v_mul_f32_e32 v158, v159, v144
	v_fma_f32 v161, -v143, v158, v159
	s_delay_alu instid0(VALU_DEP_1) | instskip(NEXT) | instid1(VALU_DEP_1)
	v_fmac_f32_e32 v158, v161, v144
	v_fma_f32 v143, -v143, v158, v159
	s_delay_alu instid0(VALU_DEP_1) | instskip(SKIP_1) | instid1(VALU_DEP_2)
	v_div_fmas_f32 v143, v143, v144, v158
	v_cmp_eq_u32_e32 vcc_lo, 6, v149
	v_div_fixup_f32 v142, v143, v142, 1.0
	v_cndmask_b32_e32 v139, v150, v139, vcc_lo
	v_cmp_eq_u32_e32 vcc_lo, 7, v149
	s_delay_alu instid0(VALU_DEP_2) | instskip(NEXT) | instid1(VALU_DEP_1)
	v_cndmask_b32_e32 v139, v139, v141, vcc_lo
	v_mul_f32_e32 v139, v139, v142
	s_delay_alu instid0(VALU_DEP_1) | instskip(SKIP_4) | instid1(VALU_DEP_4)
	v_mul_f32_e32 v153, v139, v153
	v_mul_f32_e32 v142, v139, v152
	;; [unrolled: 1-line block ×5, first 2 shown]
	v_dual_mul_f32 v152, v139, v155 :: v_dual_and_b32 v141, 0x7f800000, v142
	v_mul_f32_e32 v154, v139, v154
	v_mul_f32_e32 v144, v139, v151
	s_delay_alu instid0(VALU_DEP_3) | instskip(SKIP_1) | instid1(SALU_CYCLE_1)
	v_cmp_ne_u32_e32 vcc_lo, 0x7f800000, v141
                                        ; implicit-def: $vgpr141
	s_and_saveexec_b32 s4, vcc_lo
	s_xor_b32 s4, exec_lo, s4
; %bb.13:
	v_bfe_u32 v141, v142, 16, 1
	s_delay_alu instid0(VALU_DEP_1)
	v_add3_u32 v141, v142, v141, 0x7fff
                                        ; implicit-def: $vgpr142
; %bb.14:
	s_and_not1_saveexec_b32 s4, s4
; %bb.15:
	v_and_b32_e32 v141, 0xffff, v142
	v_or_b32_e32 v151, 0x10000, v142
	s_delay_alu instid0(VALU_DEP_2) | instskip(NEXT) | instid1(VALU_DEP_2)
	v_cmp_eq_u32_e32 vcc_lo, 0, v141
	v_cndmask_b32_e32 v141, v151, v142, vcc_lo
; %bb.16:
	s_or_b32 exec_lo, exec_lo, s4
	v_and_b32_e32 v142, 0x7f800000, v144
	s_delay_alu instid0(VALU_DEP_1) | instskip(SKIP_1) | instid1(SALU_CYCLE_1)
	v_cmp_ne_u32_e32 vcc_lo, 0x7f800000, v142
                                        ; implicit-def: $vgpr142
	s_and_saveexec_b32 s4, vcc_lo
	s_xor_b32 s4, exec_lo, s4
; %bb.17:
	v_bfe_u32 v142, v144, 16, 1
	s_delay_alu instid0(VALU_DEP_1)
	v_add3_u32 v142, v144, v142, 0x7fff
                                        ; implicit-def: $vgpr144
; %bb.18:
	s_and_not1_saveexec_b32 s4, s4
; %bb.19:
	v_and_b32_e32 v142, 0xffff, v144
	v_or_b32_e32 v151, 0x10000, v144
	s_delay_alu instid0(VALU_DEP_2) | instskip(NEXT) | instid1(VALU_DEP_2)
	v_cmp_eq_u32_e32 vcc_lo, 0, v142
	v_cndmask_b32_e32 v142, v151, v144, vcc_lo
; %bb.20:
	s_or_b32 exec_lo, exec_lo, s4
	v_and_b32_e32 v144, 0x7f800000, v153
	s_delay_alu instid0(VALU_DEP_1) | instskip(SKIP_1) | instid1(SALU_CYCLE_1)
	v_cmp_ne_u32_e32 vcc_lo, 0x7f800000, v144
                                        ; implicit-def: $vgpr144
	s_and_saveexec_b32 s4, vcc_lo
	s_xor_b32 s4, exec_lo, s4
; %bb.21:
	v_bfe_u32 v144, v153, 16, 1
	s_delay_alu instid0(VALU_DEP_1)
	v_add3_u32 v144, v153, v144, 0x7fff
                                        ; implicit-def: $vgpr153
; %bb.22:
	s_and_not1_saveexec_b32 s4, s4
; %bb.23:
	v_and_b32_e32 v144, 0xffff, v153
	v_or_b32_e32 v151, 0x10000, v153
	s_delay_alu instid0(VALU_DEP_2) | instskip(NEXT) | instid1(VALU_DEP_2)
	v_cmp_eq_u32_e32 vcc_lo, 0, v144
	v_cndmask_b32_e32 v144, v151, v153, vcc_lo
; %bb.24:
	s_or_b32 exec_lo, exec_lo, s4
	v_and_b32_e32 v151, 0x7f800000, v154
	s_delay_alu instid0(VALU_DEP_1) | instskip(SKIP_1) | instid1(SALU_CYCLE_1)
	v_cmp_ne_u32_e32 vcc_lo, 0x7f800000, v151
                                        ; implicit-def: $vgpr151
	s_and_saveexec_b32 s4, vcc_lo
	s_xor_b32 s4, exec_lo, s4
; %bb.25:
	v_bfe_u32 v151, v154, 16, 1
	s_delay_alu instid0(VALU_DEP_1)
	v_add3_u32 v151, v154, v151, 0x7fff
                                        ; implicit-def: $vgpr154
; %bb.26:
	s_and_not1_saveexec_b32 s4, s4
; %bb.27:
	v_and_b32_e32 v151, 0xffff, v154
	v_or_b32_e32 v153, 0x10000, v154
	s_delay_alu instid0(VALU_DEP_2) | instskip(NEXT) | instid1(VALU_DEP_2)
	v_cmp_eq_u32_e32 vcc_lo, 0, v151
	v_cndmask_b32_e32 v151, v153, v154, vcc_lo
; %bb.28:
	s_or_b32 exec_lo, exec_lo, s4
	v_and_b32_e32 v153, 0x7f800000, v152
	s_delay_alu instid0(VALU_DEP_1) | instskip(SKIP_1) | instid1(SALU_CYCLE_1)
	v_cmp_ne_u32_e32 vcc_lo, 0x7f800000, v153
                                        ; implicit-def: $vgpr153
	s_and_saveexec_b32 s4, vcc_lo
	s_xor_b32 s4, exec_lo, s4
; %bb.29:
	v_bfe_u32 v153, v152, 16, 1
	s_delay_alu instid0(VALU_DEP_1)
	v_add3_u32 v153, v152, v153, 0x7fff
                                        ; implicit-def: $vgpr152
; %bb.30:
	s_and_not1_saveexec_b32 s4, s4
; %bb.31:
	v_and_b32_e32 v153, 0xffff, v152
	v_or_b32_e32 v154, 0x10000, v152
	s_delay_alu instid0(VALU_DEP_2) | instskip(NEXT) | instid1(VALU_DEP_2)
	v_cmp_eq_u32_e32 vcc_lo, 0, v153
	v_cndmask_b32_e32 v153, v154, v152, vcc_lo
; %bb.32:
	s_or_b32 exec_lo, exec_lo, s4
	v_and_b32_e32 v152, 0x7f800000, v150
	s_delay_alu instid0(VALU_DEP_1) | instskip(SKIP_1) | instid1(SALU_CYCLE_1)
	v_cmp_ne_u32_e32 vcc_lo, 0x7f800000, v152
                                        ; implicit-def: $vgpr152
	s_and_saveexec_b32 s4, vcc_lo
	s_xor_b32 s4, exec_lo, s4
; %bb.33:
	v_bfe_u32 v152, v150, 16, 1
	s_delay_alu instid0(VALU_DEP_1)
	v_add3_u32 v152, v150, v152, 0x7fff
                                        ; implicit-def: $vgpr150
; %bb.34:
	s_and_not1_saveexec_b32 s4, s4
; %bb.35:
	v_and_b32_e32 v152, 0xffff, v150
	v_or_b32_e32 v154, 0x10000, v150
	s_delay_alu instid0(VALU_DEP_2) | instskip(NEXT) | instid1(VALU_DEP_2)
	v_cmp_eq_u32_e32 vcc_lo, 0, v152
	v_cndmask_b32_e32 v152, v154, v150, vcc_lo
; %bb.36:
	s_or_b32 exec_lo, exec_lo, s4
	v_and_b32_e32 v150, 0x7f800000, v143
	s_delay_alu instid0(VALU_DEP_1) | instskip(SKIP_1) | instid1(SALU_CYCLE_1)
	v_cmp_ne_u32_e32 vcc_lo, 0x7f800000, v150
                                        ; implicit-def: $vgpr150
	s_and_saveexec_b32 s4, vcc_lo
	s_xor_b32 s4, exec_lo, s4
; %bb.37:
	v_bfe_u32 v150, v143, 16, 1
	s_delay_alu instid0(VALU_DEP_1)
	v_add3_u32 v150, v143, v150, 0x7fff
                                        ; implicit-def: $vgpr143
; %bb.38:
	s_and_not1_saveexec_b32 s4, s4
; %bb.39:
	v_and_b32_e32 v150, 0xffff, v143
	v_or_b32_e32 v154, 0x10000, v143
	s_delay_alu instid0(VALU_DEP_2) | instskip(NEXT) | instid1(VALU_DEP_2)
	v_cmp_eq_u32_e32 vcc_lo, 0, v150
	v_cndmask_b32_e32 v150, v154, v143, vcc_lo
; %bb.40:
	s_or_b32 exec_lo, exec_lo, s4
	v_and_b32_e32 v143, 0x7f800000, v140
	s_delay_alu instid0(VALU_DEP_1) | instskip(SKIP_1) | instid1(SALU_CYCLE_1)
	v_cmp_ne_u32_e32 vcc_lo, 0x7f800000, v143
                                        ; implicit-def: $vgpr143
	s_and_saveexec_b32 s4, vcc_lo
	s_xor_b32 s4, exec_lo, s4
; %bb.41:
	v_bfe_u32 v143, v140, 16, 1
	s_delay_alu instid0(VALU_DEP_1)
	v_add3_u32 v143, v140, v143, 0x7fff
                                        ; implicit-def: $vgpr140
; %bb.42:
	s_and_not1_saveexec_b32 s4, s4
; %bb.43:
	v_and_b32_e32 v143, 0xffff, v140
	v_or_b32_e32 v154, 0x10000, v140
	s_delay_alu instid0(VALU_DEP_2) | instskip(NEXT) | instid1(VALU_DEP_2)
	v_cmp_eq_u32_e32 vcc_lo, 0, v143
	v_cndmask_b32_e32 v143, v154, v140, vcc_lo
; %bb.44:
	s_or_b32 exec_lo, exec_lo, s4
	s_load_b64 s[36:37], s[0:1], 0x94
	v_dual_mul_f32 v136, v139, v136 :: v_dual_lshlrev_b32 v155, 4, v146
	s_delay_alu instid0(VALU_DEP_2)
	v_perm_b32 v154, v143, v150, 0x7060302
	v_dual_mul_f32 v143, v139, v131 :: v_dual_lshlrev_b32 v140, 6, v148
	v_dual_mul_f32 v135, v139, v135 :: v_dual_lshlrev_b32 v150, 11, v149
	v_perm_b32 v153, v152, v153, 0x7060302
	v_perm_b32 v152, v151, v144, 0x7060302
	;; [unrolled: 1-line block ×3, first 2 shown]
	s_delay_alu instid0(VALU_DEP_4)
	v_or3_b32 v131, v155, v150, v140
	v_mul_f32_e32 v138, v139, v138
	v_dual_mul_f32 v137, v139, v137 :: v_dual_and_b32 v144, 0x7f800000, v143
	v_mul_f32_e32 v141, v139, v134
	v_mul_f32_e32 v142, v139, v133
	;; [unrolled: 1-line block ×3, first 2 shown]
	s_mov_b32 s4, exec_lo
	ds_store_b128 v131, v[151:154]
                                        ; implicit-def: $vgpr132
	v_cmpx_ne_u32_e32 0x7f800000, v144
	s_xor_b32 s4, exec_lo, s4
; %bb.45:
	v_bfe_u32 v132, v143, 16, 1
	s_delay_alu instid0(VALU_DEP_1)
	v_add3_u32 v132, v143, v132, 0x7fff
                                        ; implicit-def: $vgpr143
; %bb.46:
	s_and_not1_saveexec_b32 s4, s4
; %bb.47:
	v_and_b32_e32 v132, 0xffff, v143
	v_or_b32_e32 v133, 0x10000, v143
	s_delay_alu instid0(VALU_DEP_2) | instskip(NEXT) | instid1(VALU_DEP_2)
	v_cmp_eq_u32_e32 vcc_lo, 0, v132
	v_cndmask_b32_e32 v132, v133, v143, vcc_lo
; %bb.48:
	s_or_b32 exec_lo, exec_lo, s4
	v_and_b32_e32 v133, 0x7f800000, v134
	s_delay_alu instid0(VALU_DEP_1) | instskip(SKIP_1) | instid1(SALU_CYCLE_1)
	v_cmp_ne_u32_e32 vcc_lo, 0x7f800000, v133
                                        ; implicit-def: $vgpr133
	s_and_saveexec_b32 s4, vcc_lo
	s_xor_b32 s4, exec_lo, s4
; %bb.49:
	v_bfe_u32 v133, v134, 16, 1
	s_delay_alu instid0(VALU_DEP_1)
	v_add3_u32 v133, v134, v133, 0x7fff
                                        ; implicit-def: $vgpr134
; %bb.50:
	s_and_not1_saveexec_b32 s4, s4
; %bb.51:
	v_and_b32_e32 v133, 0xffff, v134
	v_or_b32_e32 v139, 0x10000, v134
	s_delay_alu instid0(VALU_DEP_2) | instskip(NEXT) | instid1(VALU_DEP_2)
	v_cmp_eq_u32_e32 vcc_lo, 0, v133
	v_cndmask_b32_e32 v133, v139, v134, vcc_lo
; %bb.52:
	s_or_b32 exec_lo, exec_lo, s4
	v_and_b32_e32 v134, 0x7f800000, v142
	s_delay_alu instid0(VALU_DEP_1) | instskip(SKIP_1) | instid1(SALU_CYCLE_1)
	v_cmp_ne_u32_e32 vcc_lo, 0x7f800000, v134
                                        ; implicit-def: $vgpr134
	s_and_saveexec_b32 s4, vcc_lo
	s_xor_b32 s4, exec_lo, s4
; %bb.53:
	v_bfe_u32 v134, v142, 16, 1
	s_delay_alu instid0(VALU_DEP_1)
	v_add3_u32 v134, v142, v134, 0x7fff
                                        ; implicit-def: $vgpr142
; %bb.54:
	s_and_not1_saveexec_b32 s4, s4
; %bb.55:
	v_and_b32_e32 v134, 0xffff, v142
	v_or_b32_e32 v139, 0x10000, v142
	s_delay_alu instid0(VALU_DEP_2) | instskip(NEXT) | instid1(VALU_DEP_2)
	v_cmp_eq_u32_e32 vcc_lo, 0, v134
	v_cndmask_b32_e32 v134, v139, v142, vcc_lo
; %bb.56:
	s_or_b32 exec_lo, exec_lo, s4
	v_and_b32_e32 v139, 0x7f800000, v141
	s_delay_alu instid0(VALU_DEP_1) | instskip(SKIP_1) | instid1(SALU_CYCLE_1)
	v_cmp_ne_u32_e32 vcc_lo, 0x7f800000, v139
                                        ; implicit-def: $vgpr139
	s_and_saveexec_b32 s4, vcc_lo
	s_xor_b32 s4, exec_lo, s4
; %bb.57:
	v_bfe_u32 v139, v141, 16, 1
	s_delay_alu instid0(VALU_DEP_1)
	v_add3_u32 v139, v141, v139, 0x7fff
                                        ; implicit-def: $vgpr141
; %bb.58:
	s_and_not1_saveexec_b32 s4, s4
; %bb.59:
	v_and_b32_e32 v139, 0xffff, v141
	v_or_b32_e32 v142, 0x10000, v141
	s_delay_alu instid0(VALU_DEP_2) | instskip(NEXT) | instid1(VALU_DEP_2)
	v_cmp_eq_u32_e32 vcc_lo, 0, v139
	v_cndmask_b32_e32 v139, v142, v141, vcc_lo
; %bb.60:
	s_or_b32 exec_lo, exec_lo, s4
	v_and_b32_e32 v141, 0x7f800000, v135
	s_delay_alu instid0(VALU_DEP_1) | instskip(SKIP_1) | instid1(SALU_CYCLE_1)
	v_cmp_ne_u32_e32 vcc_lo, 0x7f800000, v141
                                        ; implicit-def: $vgpr141
	s_and_saveexec_b32 s4, vcc_lo
	s_xor_b32 s4, exec_lo, s4
; %bb.61:
	v_bfe_u32 v141, v135, 16, 1
	s_delay_alu instid0(VALU_DEP_1)
	v_add3_u32 v141, v135, v141, 0x7fff
                                        ; implicit-def: $vgpr135
; %bb.62:
	s_and_not1_saveexec_b32 s4, s4
; %bb.63:
	v_and_b32_e32 v141, 0xffff, v135
	v_or_b32_e32 v142, 0x10000, v135
	s_delay_alu instid0(VALU_DEP_2) | instskip(NEXT) | instid1(VALU_DEP_2)
	v_cmp_eq_u32_e32 vcc_lo, 0, v141
	v_cndmask_b32_e32 v141, v142, v135, vcc_lo
; %bb.64:
	s_or_b32 exec_lo, exec_lo, s4
	v_and_b32_e32 v135, 0x7f800000, v136
	s_delay_alu instid0(VALU_DEP_1) | instskip(SKIP_1) | instid1(SALU_CYCLE_1)
	v_cmp_ne_u32_e32 vcc_lo, 0x7f800000, v135
                                        ; implicit-def: $vgpr135
	s_and_saveexec_b32 s4, vcc_lo
	s_xor_b32 s4, exec_lo, s4
; %bb.65:
	v_bfe_u32 v135, v136, 16, 1
	s_delay_alu instid0(VALU_DEP_1)
	v_add3_u32 v135, v136, v135, 0x7fff
                                        ; implicit-def: $vgpr136
; %bb.66:
	s_and_not1_saveexec_b32 s4, s4
; %bb.67:
	v_and_b32_e32 v135, 0xffff, v136
	v_or_b32_e32 v142, 0x10000, v136
	s_delay_alu instid0(VALU_DEP_2) | instskip(NEXT) | instid1(VALU_DEP_2)
	v_cmp_eq_u32_e32 vcc_lo, 0, v135
	v_cndmask_b32_e32 v135, v142, v136, vcc_lo
; %bb.68:
	s_or_b32 exec_lo, exec_lo, s4
	v_and_b32_e32 v136, 0x7f800000, v137
	s_delay_alu instid0(VALU_DEP_1) | instskip(SKIP_1) | instid1(SALU_CYCLE_1)
	v_cmp_ne_u32_e32 vcc_lo, 0x7f800000, v136
                                        ; implicit-def: $vgpr136
	s_and_saveexec_b32 s4, vcc_lo
	s_xor_b32 s4, exec_lo, s4
; %bb.69:
	v_bfe_u32 v136, v137, 16, 1
	s_delay_alu instid0(VALU_DEP_1)
	v_add3_u32 v136, v137, v136, 0x7fff
                                        ; implicit-def: $vgpr137
; %bb.70:
	s_and_not1_saveexec_b32 s4, s4
; %bb.71:
	v_and_b32_e32 v136, 0xffff, v137
	v_or_b32_e32 v142, 0x10000, v137
	s_delay_alu instid0(VALU_DEP_2) | instskip(NEXT) | instid1(VALU_DEP_2)
	v_cmp_eq_u32_e32 vcc_lo, 0, v136
	v_cndmask_b32_e32 v136, v142, v137, vcc_lo
; %bb.72:
	s_or_b32 exec_lo, exec_lo, s4
	v_and_b32_e32 v137, 0x7f800000, v138
	s_delay_alu instid0(VALU_DEP_1) | instskip(SKIP_1) | instid1(SALU_CYCLE_1)
	v_cmp_ne_u32_e32 vcc_lo, 0x7f800000, v137
                                        ; implicit-def: $vgpr137
	s_and_saveexec_b32 s4, vcc_lo
	s_xor_b32 s4, exec_lo, s4
; %bb.73:
	v_bfe_u32 v137, v138, 16, 1
	s_delay_alu instid0(VALU_DEP_1)
	v_add3_u32 v137, v138, v137, 0x7fff
                                        ; implicit-def: $vgpr138
; %bb.74:
	s_and_not1_saveexec_b32 s4, s4
; %bb.75:
	v_and_b32_e32 v137, 0xffff, v138
	v_or_b32_e32 v142, 0x10000, v138
	s_delay_alu instid0(VALU_DEP_2) | instskip(NEXT) | instid1(VALU_DEP_2)
	v_cmp_eq_u32_e32 vcc_lo, 0, v137
	v_cndmask_b32_e32 v137, v142, v138, vcc_lo
; %bb.76:
	s_or_b32 exec_lo, exec_lo, s4
	s_delay_alu instid0(VALU_DEP_1)
	v_perm_b32 v136, v137, v136, 0x7060302
	v_perm_b32 v135, v135, v141, 0x7060302
	;; [unrolled: 1-line block ×4, first 2 shown]
	v_lshl_or_b32 v141, v149, 11, v140
	ds_store_b128 v131, v[133:136] offset:1024
	s_waitcnt lgkmcnt(0)
	s_barrier
	buffer_gl0_inv
	ds_load_b128 v[132:135], v141
	ds_load_b128 v[149:152], v141 offset:16
	s_waitcnt lgkmcnt(1)
	v_lshrrev_b32_e32 v136, 16, v132
	s_waitcnt lgkmcnt(0)
	v_lshrrev_b32_e32 v164, 16, v151
	v_lshlrev_b32_e32 v138, 2, v146
	v_lshrrev_b32_e32 v143, 16, v149
	v_lshrrev_b32_e32 v162, 16, v150
	v_lshrrev_b32_e32 v144, 16, v133
	v_lshrrev_b32_e32 v161, 16, v134
	v_or_b32_e32 v139, 1, v138
	v_lshrrev_b32_e32 v165, 16, v152
	v_lshrrev_b32_e32 v163, 16, v135
	s_delay_alu instid0(VALU_DEP_3)
	v_cmp_eq_u32_e64 s8, 1, v139
	v_cmp_eq_u32_e64 s7, 2, v139
	;; [unrolled: 1-line block ×4, first 2 shown]
	v_cmp_eq_u32_e32 vcc_lo, 5, v139
	v_cndmask_b32_e64 v155, v149, v143, s8
	v_cndmask_b32_e64 v154, v132, v136, s8
	v_cmp_eq_u32_e64 s5, 6, v139
	v_cmp_eq_u32_e64 s20, 7, v139
	s_delay_alu instid0(VALU_DEP_4) | instskip(NEXT) | instid1(VALU_DEP_4)
	v_cndmask_b32_e64 v155, v155, v150, s7
	v_cndmask_b32_e64 v154, v154, v133, s7
	s_delay_alu instid0(VALU_DEP_2) | instskip(NEXT) | instid1(VALU_DEP_2)
	v_cndmask_b32_e64 v155, v155, v162, s6
	v_cndmask_b32_e64 v154, v154, v144, s6
	s_delay_alu instid0(VALU_DEP_2) | instskip(NEXT) | instid1(VALU_DEP_2)
	v_cndmask_b32_e64 v155, v155, v151, s4
	v_cndmask_b32_e64 v154, v154, v134, s4
	s_delay_alu instid0(VALU_DEP_2)
	v_cndmask_b32_e32 v157, v155, v164, vcc_lo
	v_cmp_eq_u32_e64 s13, 1, v138
	v_cmp_eq_u32_e64 s12, 2, v138
	;; [unrolled: 1-line block ×3, first 2 shown]
	v_or_b32_e32 v137, 2, v138
	v_cmp_eq_u32_e64 s18, 4, v138
	v_cndmask_b32_e64 v153, v149, v143, s13
	v_cndmask_b32_e64 v142, v132, v136, s13
	v_cmp_eq_u32_e64 s15, 5, v138
	v_cmp_eq_u32_e64 s9, 1, v137
	;; [unrolled: 1-line block ×3, first 2 shown]
	v_cndmask_b32_e64 v153, v153, v150, s12
	v_cndmask_b32_e64 v142, v142, v133, s12
	v_cmp_eq_u32_e64 s11, 2, v137
	v_cndmask_b32_e64 v156, v132, v136, s9
	v_cndmask_b32_e32 v154, v154, v161, vcc_lo
	v_cndmask_b32_e64 v153, v153, v162, s17
	v_cndmask_b32_e64 v142, v142, v144, s17
	v_cmp_eq_u32_e64 s10, 7, v138
	v_cndmask_b32_e64 v156, v156, v133, s11
	v_cmp_eq_u32_e64 s19, 3, v137
	v_cndmask_b32_e64 v153, v153, v151, s18
	v_cndmask_b32_e64 v142, v142, v134, s18
	;; [unrolled: 1-line block ×3, first 2 shown]
	v_cmp_eq_u32_e64 s21, 4, v137
	v_cndmask_b32_e64 v156, v156, v144, s19
	v_cndmask_b32_e64 v153, v153, v164, s15
	;; [unrolled: 1-line block ×4, first 2 shown]
	v_cmp_eq_u32_e64 s23, 5, v137
	v_cndmask_b32_e64 v159, v156, v134, s21
	v_cndmask_b32_e64 v153, v153, v152, s16
	;; [unrolled: 1-line block ×3, first 2 shown]
	v_cmp_eq_u32_e64 s26, 6, v137
	v_cmp_eq_u32_e64 s28, 7, v137
	v_cndmask_b32_e64 v169, v159, v161, s23
	v_cndmask_b32_e64 v167, v153, v165, s10
	;; [unrolled: 1-line block ×4, first 2 shown]
	v_or_b32_e32 v142, 3, v138
	s_delay_alu instid0(VALU_DEP_3)
	v_cndmask_b32_e64 v158, v153, v150, s11
	ds_load_b128 v[153:156], v141 offset:1024
	v_cmp_eq_u32_e64 s22, 1, v142
	v_cmp_eq_u32_e64 s24, 2, v142
	;; [unrolled: 1-line block ×3, first 2 shown]
	v_cndmask_b32_e64 v158, v158, v162, s19
	v_cmp_eq_u32_e64 s27, 4, v142
	v_cndmask_b32_e64 v132, v132, v136, s22
	v_cndmask_b32_e64 v136, v157, v152, s5
	;; [unrolled: 1-line block ×4, first 2 shown]
	ds_load_b128 v[157:160], v141 offset:1040
	v_cndmask_b32_e64 v132, v132, v133, s24
	v_cmp_eq_u32_e64 s29, 5, v142
	v_cndmask_b32_e64 v143, v143, v150, s24
	v_cmp_eq_u32_e64 s30, 6, v142
	v_cndmask_b32_e64 v133, v170, v164, s23
	v_cndmask_b32_e64 v132, v132, v144, s25
	;; [unrolled: 1-line block ×5, first 2 shown]
	s_waitcnt lgkmcnt(1)
	v_lshrrev_b32_e32 v149, 16, v153
	v_cndmask_b32_e64 v132, v132, v134, s27
	v_cndmask_b32_e64 v133, v133, v152, s26
	;; [unrolled: 1-line block ×3, first 2 shown]
	v_lshrrev_b32_e32 v151, 16, v154
	v_cndmask_b32_e64 v143, v153, v149, s13
	v_cndmask_b32_e64 v132, v132, v161, s29
	;; [unrolled: 1-line block ×5, first 2 shown]
	s_waitcnt lgkmcnt(0)
	v_lshrrev_b32_e32 v150, 16, v157
	v_cndmask_b32_e64 v143, v143, v154, s12
	v_cndmask_b32_e64 v132, v132, v135, s30
	v_cndmask_b32_e64 v134, v134, v152, s30
	v_lshrrev_b32_e32 v164, 16, v159
	v_cndmask_b32_e64 v162, v157, v150, s13
	v_cndmask_b32_e64 v135, v143, v151, s17
	;; [unrolled: 1-line block ×3, first 2 shown]
	v_lshrrev_b32_e32 v161, 16, v158
	v_cndmask_b32_e64 v133, v133, v165, s28
	v_cndmask_b32_e64 v152, v162, v158, s12
	v_cmp_eq_u32_e64 s12, 7, v142
	v_cndmask_b32_e64 v143, v143, v151, s6
	v_cndmask_b32_e64 v135, v135, v155, s18
	v_lshrrev_b32_e32 v162, 16, v155
	v_cndmask_b32_e64 v152, v152, v161, s17
	v_cndmask_b32_e64 v132, v132, v163, s12
	;; [unrolled: 1-line block ×6, first 2 shown]
	s_delay_alu instid0(VALU_DEP_4) | instskip(NEXT) | instid1(VALU_DEP_4)
	v_perm_b32 v135, v134, v132, 0x5040100
	v_cndmask_b32_e32 v132, v143, v162, vcc_lo
	s_delay_alu instid0(VALU_DEP_4)
	v_cndmask_b32_e64 v143, v163, v156, s16
	v_lshrrev_b32_e32 v163, 16, v156
	v_cndmask_b32_e64 v152, v152, v164, s15
	v_perm_b32 v134, v133, v144, 0x5040100
	v_cndmask_b32_e64 v132, v132, v156, s5
	v_perm_b32 v133, v136, v168, 0x5040100
	v_cndmask_b32_e64 v136, v143, v163, s10
	v_cndmask_b32_e64 v143, v152, v160, s16
	;; [unrolled: 1-line block ×13, first 2 shown]
	v_lshrrev_b32_e32 v144, 16, v160
	v_cndmask_b32_e64 v132, v132, v151, s19
	v_cndmask_b32_e64 v149, v149, v151, s25
	;; [unrolled: 1-line block ×14, first 2 shown]
	v_cndmask_b32_e32 v150, v150, v164, vcc_lo
	v_cndmask_b32_e64 v132, v132, v156, s26
	v_cndmask_b32_e64 v149, v149, v156, s30
	;; [unrolled: 1-line block ×11, first 2 shown]
	v_perm_b32 v132, v167, v166, 0x5040100
	v_perm_b32 v152, v151, v149, 0x5040100
	;; [unrolled: 1-line block ×5, first 2 shown]
	s_mul_i32 s9, s37, 3
	s_mov_b32 s4, exec_lo
	ds_store_b128 v131, v[132:135]
	ds_store_b128 v131, v[149:152] offset:1024
	v_cmpx_gt_u32_e32 3, v0
	s_cbranch_execz .LBB440_78
; %bb.77:
	s_mul_i32 s5, s9, s34
	s_load_b128 s[16:19], s[0:1], 0x58
	v_add3_u32 v133, s5, s31, v148
	s_delay_alu instid0(VALU_DEP_1) | instskip(NEXT) | instid1(VALU_DEP_1)
	v_mad_u64_u32 v[131:132], null, v133, s36, s[14:15]
	v_ashrrev_i32_e32 v132, 31, v131
	s_delay_alu instid0(VALU_DEP_1) | instskip(SKIP_1) | instid1(VALU_DEP_1)
	v_lshlrev_b64 v[131:132], 2, v[131:132]
	s_waitcnt lgkmcnt(0)
	v_add_co_u32 v133, vcc_lo, s18, v131
	s_delay_alu instid0(VALU_DEP_2)
	v_add_co_ci_u32_e32 v134, vcc_lo, s19, v132, vcc_lo
	v_add_co_u32 v131, vcc_lo, s16, v131
	v_add_co_ci_u32_e32 v132, vcc_lo, s17, v132, vcc_lo
	global_store_b32 v[133:134], v129, off
	global_store_b32 v[131:132], v130, off
.LBB440_78:
	s_or_b32 exec_lo, exec_lo, s4
	s_waitcnt lgkmcnt(0)
	s_waitcnt_vscnt null, 0x0
	s_barrier
	buffer_gl0_inv
	ds_load_b128 v[148:151], v140
	ds_load_b128 v[152:155], v140 offset:16
	ds_load_b128 v[160:163], v140 offset:1040
	;; [unrolled: 1-line block ×3, first 2 shown]
	v_mov_b32_e32 v129, 0
	ds_load_b128 v[168:171], v140 offset:2064
	ds_load_b128 v[164:167], v140 offset:2048
	;; [unrolled: 1-line block ×6, first 2 shown]
	v_mov_b32_e32 v130, v129
	v_mov_b32_e32 v131, v129
	v_mov_b32_e32 v132, v129
	v_mov_b32_e32 v133, v129
	v_mov_b32_e32 v134, v129
	v_mov_b32_e32 v135, v129
	v_mov_b32_e32 v136, v129
	s_waitcnt lgkmcnt(8)
	s_delay_alu instid0(VALU_DEP_1)
	v_wmma_f32_16x16x16_bf16 v[129:136], v[121:128], v[148:155], v[129:136]
	ds_load_b128 v[125:128], v140 offset:5136
	ds_load_b128 v[121:124], v140 offset:5120
	s_waitcnt lgkmcnt(8)
	v_wmma_f32_16x16x16_bf16 v[129:136], v[113:120], v[156:163], v[129:136]
	ds_load_b128 v[117:120], v140 offset:6160
	ds_load_b128 v[113:116], v140 offset:6144
	s_waitcnt lgkmcnt(8)
	;; [unrolled: 4-line block ×8, first 2 shown]
	v_wmma_f32_16x16x16_bf16 v[129:136], v[65:72], v[97:104], v[129:136]
	s_waitcnt lgkmcnt(6)
	s_delay_alu instid0(VALU_DEP_1)
	v_wmma_f32_16x16x16_bf16 v[129:136], v[49:56], v[89:96], v[129:136]
	ds_load_b128 v[53:56], v140 offset:13328
	ds_load_b128 v[49:52], v140 offset:13312
	s_waitcnt lgkmcnt(6)
	v_wmma_f32_16x16x16_bf16 v[129:136], v[41:48], v[81:88], v[129:136]
	ds_load_b128 v[45:48], v140 offset:14352
	ds_load_b128 v[41:44], v140 offset:14336
	s_waitcnt lgkmcnt(6)
	v_wmma_f32_16x16x16_bf16 v[129:136], v[17:24], v[73:80], v[129:136]
	ds_load_b128 v[21:24], v140 offset:15376
	ds_load_b128 v[17:20], v140 offset:15360
	s_waitcnt lgkmcnt(6)
	v_wmma_f32_16x16x16_bf16 v[129:136], v[1:8], v[57:64], v[129:136]
	s_waitcnt lgkmcnt(4)
	s_delay_alu instid0(VALU_DEP_1) | instskip(SKIP_1) | instid1(VALU_DEP_1)
	v_wmma_f32_16x16x16_bf16 v[129:136], v[25:32], v[49:56], v[129:136]
	s_waitcnt lgkmcnt(2)
	v_wmma_f32_16x16x16_bf16 v[129:136], v[33:40], v[41:48], v[129:136]
	s_waitcnt lgkmcnt(0)
	s_delay_alu instid0(VALU_DEP_1) | instskip(NEXT) | instid1(VALU_DEP_1)
	v_wmma_f32_16x16x16_bf16 v[129:136], v[9:16], v[17:24], v[129:136]
	v_and_b32_e32 v1, 0x7f800000, v129
	s_delay_alu instid0(VALU_DEP_1) | instskip(SKIP_1) | instid1(SALU_CYCLE_1)
	v_cmp_ne_u32_e32 vcc_lo, 0x7f800000, v1
                                        ; implicit-def: $vgpr1
	s_and_saveexec_b32 s4, vcc_lo
	s_xor_b32 s4, exec_lo, s4
; %bb.79:
	v_bfe_u32 v1, v129, 16, 1
	s_delay_alu instid0(VALU_DEP_1)
	v_add3_u32 v1, v129, v1, 0x7fff
; %bb.80:
	s_and_not1_saveexec_b32 s4, s4
; %bb.81:
	v_and_b32_e32 v1, 0xffff, v129
	v_or_b32_e32 v2, 0x10000, v129
	s_delay_alu instid0(VALU_DEP_2) | instskip(NEXT) | instid1(VALU_DEP_2)
	v_cmp_eq_u32_e32 vcc_lo, 0, v1
	v_cndmask_b32_e32 v1, v2, v129, vcc_lo
; %bb.82:
	s_or_b32 exec_lo, exec_lo, s4
	v_and_b32_e32 v2, 0x7f800000, v130
	s_delay_alu instid0(VALU_DEP_1) | instskip(SKIP_1) | instid1(SALU_CYCLE_1)
	v_cmp_ne_u32_e32 vcc_lo, 0x7f800000, v2
                                        ; implicit-def: $vgpr2
	s_and_saveexec_b32 s4, vcc_lo
	s_xor_b32 s4, exec_lo, s4
; %bb.83:
	v_bfe_u32 v2, v130, 16, 1
	s_delay_alu instid0(VALU_DEP_1)
	v_add3_u32 v2, v130, v2, 0x7fff
; %bb.84:
	s_and_not1_saveexec_b32 s4, s4
; %bb.85:
	v_and_b32_e32 v2, 0xffff, v130
	v_or_b32_e32 v3, 0x10000, v130
	s_delay_alu instid0(VALU_DEP_2) | instskip(NEXT) | instid1(VALU_DEP_2)
	v_cmp_eq_u32_e32 vcc_lo, 0, v2
	v_cndmask_b32_e32 v2, v3, v130, vcc_lo
; %bb.86:
	s_or_b32 exec_lo, exec_lo, s4
	v_and_b32_e32 v3, 0x7f800000, v131
	s_delay_alu instid0(VALU_DEP_1) | instskip(SKIP_1) | instid1(SALU_CYCLE_1)
	v_cmp_ne_u32_e32 vcc_lo, 0x7f800000, v3
                                        ; implicit-def: $vgpr3
	s_and_saveexec_b32 s4, vcc_lo
	s_xor_b32 s4, exec_lo, s4
; %bb.87:
	v_bfe_u32 v3, v131, 16, 1
	s_delay_alu instid0(VALU_DEP_1)
	v_add3_u32 v3, v131, v3, 0x7fff
; %bb.88:
	s_and_not1_saveexec_b32 s4, s4
; %bb.89:
	v_and_b32_e32 v3, 0xffff, v131
	v_or_b32_e32 v4, 0x10000, v131
	s_delay_alu instid0(VALU_DEP_2) | instskip(NEXT) | instid1(VALU_DEP_2)
	v_cmp_eq_u32_e32 vcc_lo, 0, v3
	v_cndmask_b32_e32 v3, v4, v131, vcc_lo
; %bb.90:
	s_or_b32 exec_lo, exec_lo, s4
	v_and_b32_e32 v4, 0x7f800000, v132
	s_delay_alu instid0(VALU_DEP_1) | instskip(SKIP_1) | instid1(SALU_CYCLE_1)
	v_cmp_ne_u32_e32 vcc_lo, 0x7f800000, v4
                                        ; implicit-def: $vgpr4
	s_and_saveexec_b32 s4, vcc_lo
	s_xor_b32 s4, exec_lo, s4
; %bb.91:
	v_bfe_u32 v4, v132, 16, 1
	s_delay_alu instid0(VALU_DEP_1)
	v_add3_u32 v4, v132, v4, 0x7fff
; %bb.92:
	s_and_not1_saveexec_b32 s4, s4
; %bb.93:
	v_and_b32_e32 v4, 0xffff, v132
	v_or_b32_e32 v5, 0x10000, v132
	s_delay_alu instid0(VALU_DEP_2) | instskip(NEXT) | instid1(VALU_DEP_2)
	v_cmp_eq_u32_e32 vcc_lo, 0, v4
	v_cndmask_b32_e32 v4, v5, v132, vcc_lo
; %bb.94:
	s_or_b32 exec_lo, exec_lo, s4
	v_and_b32_e32 v5, 0x7f800000, v133
	s_delay_alu instid0(VALU_DEP_1) | instskip(SKIP_1) | instid1(SALU_CYCLE_1)
	v_cmp_ne_u32_e32 vcc_lo, 0x7f800000, v5
                                        ; implicit-def: $vgpr5
	s_and_saveexec_b32 s4, vcc_lo
	s_xor_b32 s4, exec_lo, s4
; %bb.95:
	v_bfe_u32 v5, v133, 16, 1
	s_delay_alu instid0(VALU_DEP_1)
	v_add3_u32 v5, v133, v5, 0x7fff
; %bb.96:
	s_and_not1_saveexec_b32 s4, s4
; %bb.97:
	v_and_b32_e32 v5, 0xffff, v133
	v_or_b32_e32 v6, 0x10000, v133
	s_delay_alu instid0(VALU_DEP_2) | instskip(NEXT) | instid1(VALU_DEP_2)
	v_cmp_eq_u32_e32 vcc_lo, 0, v5
	v_cndmask_b32_e32 v5, v6, v133, vcc_lo
; %bb.98:
	s_or_b32 exec_lo, exec_lo, s4
	v_and_b32_e32 v6, 0x7f800000, v134
	s_delay_alu instid0(VALU_DEP_1) | instskip(SKIP_1) | instid1(SALU_CYCLE_1)
	v_cmp_ne_u32_e32 vcc_lo, 0x7f800000, v6
                                        ; implicit-def: $vgpr6
	s_and_saveexec_b32 s4, vcc_lo
	s_xor_b32 s4, exec_lo, s4
; %bb.99:
	v_bfe_u32 v6, v134, 16, 1
	s_delay_alu instid0(VALU_DEP_1)
	v_add3_u32 v6, v134, v6, 0x7fff
; %bb.100:
	s_and_not1_saveexec_b32 s4, s4
; %bb.101:
	v_and_b32_e32 v6, 0xffff, v134
	v_or_b32_e32 v7, 0x10000, v134
	s_delay_alu instid0(VALU_DEP_2) | instskip(NEXT) | instid1(VALU_DEP_2)
	v_cmp_eq_u32_e32 vcc_lo, 0, v6
	v_cndmask_b32_e32 v6, v7, v134, vcc_lo
; %bb.102:
	s_or_b32 exec_lo, exec_lo, s4
	v_and_b32_e32 v7, 0x7f800000, v135
	s_delay_alu instid0(VALU_DEP_1) | instskip(SKIP_1) | instid1(SALU_CYCLE_1)
	v_cmp_ne_u32_e32 vcc_lo, 0x7f800000, v7
                                        ; implicit-def: $vgpr7
	s_and_saveexec_b32 s4, vcc_lo
	s_xor_b32 s4, exec_lo, s4
; %bb.103:
	v_bfe_u32 v7, v135, 16, 1
	s_delay_alu instid0(VALU_DEP_1)
	v_add3_u32 v7, v135, v7, 0x7fff
; %bb.104:
	s_and_not1_saveexec_b32 s4, s4
; %bb.105:
	v_and_b32_e32 v7, 0xffff, v135
	v_or_b32_e32 v8, 0x10000, v135
	s_delay_alu instid0(VALU_DEP_2) | instskip(NEXT) | instid1(VALU_DEP_2)
	v_cmp_eq_u32_e32 vcc_lo, 0, v7
	v_cndmask_b32_e32 v7, v8, v135, vcc_lo
; %bb.106:
	s_or_b32 exec_lo, exec_lo, s4
	v_and_b32_e32 v8, 0x7f800000, v136
	s_delay_alu instid0(VALU_DEP_1) | instskip(SKIP_1) | instid1(SALU_CYCLE_1)
	v_cmp_ne_u32_e32 vcc_lo, 0x7f800000, v8
                                        ; implicit-def: $vgpr8
	s_and_saveexec_b32 s4, vcc_lo
	s_xor_b32 s4, exec_lo, s4
; %bb.107:
	v_bfe_u32 v8, v136, 16, 1
	s_delay_alu instid0(VALU_DEP_1)
	v_add3_u32 v8, v136, v8, 0x7fff
                                        ; implicit-def: $vgpr129_vgpr130_vgpr131_vgpr132_vgpr133_vgpr134_vgpr135_vgpr136
; %bb.108:
	s_and_not1_saveexec_b32 s4, s4
; %bb.109:
	v_and_b32_e32 v8, 0xffff, v136
	v_or_b32_e32 v9, 0x10000, v136
	s_delay_alu instid0(VALU_DEP_2) | instskip(NEXT) | instid1(VALU_DEP_2)
	v_cmp_eq_u32_e32 vcc_lo, 0, v8
	v_cndmask_b32_e32 v8, v9, v136, vcc_lo
; %bb.110:
	s_or_b32 exec_lo, exec_lo, s4
	s_delay_alu instid0(VALU_DEP_1)
	v_perm_b32 v7, v8, v7, 0x7060302
	v_perm_b32 v6, v6, v5, 0x7060302
	;; [unrolled: 1-line block ×4, first 2 shown]
	v_lshl_or_b32 v9, v146, 4, v141
	s_barrier
	buffer_gl0_inv
	v_cmp_eq_u32_e32 vcc_lo, 1, v138
	ds_store_b128 v9, v[4:7]
	s_waitcnt lgkmcnt(0)
	s_barrier
	buffer_gl0_inv
	ds_load_b128 v[1:4], v141
	ds_load_b128 v[5:8], v141 offset:16
	v_cmp_eq_u32_e64 s5, 2, v138
	v_cmp_eq_u32_e64 s4, 1, v139
	;; [unrolled: 1-line block ×5, first 2 shown]
	s_waitcnt lgkmcnt(1)
	v_lshrrev_b32_e32 v10, 16, v1
	s_waitcnt lgkmcnt(0)
	v_lshrrev_b32_e32 v14, 16, v5
	v_lshrrev_b32_e32 v15, 16, v6
	;; [unrolled: 1-line block ×4, first 2 shown]
	v_cndmask_b32_e64 v20, v1, v10, s4
	v_cndmask_b32_e32 v19, v5, v14, vcc_lo
	v_cndmask_b32_e64 v21, v5, v14, s4
	v_lshrrev_b32_e32 v16, 16, v7
	v_cmp_eq_u32_e64 s4, 1, v137
	v_lshrrev_b32_e32 v13, 16, v4
	v_cndmask_b32_e64 v19, v19, v6, s5
	v_lshrrev_b32_e32 v17, 16, v8
	s_delay_alu instid0(VALU_DEP_4) | instskip(SKIP_1) | instid1(VALU_DEP_4)
	v_cndmask_b32_e64 v22, v1, v10, s4
	v_cndmask_b32_e64 v23, v5, v14, s4
	;; [unrolled: 1-line block ×3, first 2 shown]
	v_cndmask_b32_e32 v18, v1, v10, vcc_lo
	v_cmp_eq_u32_e32 vcc_lo, 2, v139
	v_cmp_eq_u32_e64 s4, 2, v142
	v_cndmask_b32_e64 v22, v22, v2, s8
	v_cndmask_b32_e32 v20, v20, v2, vcc_lo
	v_cndmask_b32_e32 v21, v21, v6, vcc_lo
	v_cmp_eq_u32_e32 vcc_lo, 4, v138
	v_cndmask_b32_e32 v19, v19, v7, vcc_lo
	v_cndmask_b32_e64 v18, v18, v2, s5
	v_cmp_eq_u32_e64 s5, 3, v139
	s_delay_alu instid0(VALU_DEP_2) | instskip(NEXT) | instid1(VALU_DEP_2)
	v_cndmask_b32_e64 v18, v18, v11, s6
	v_cndmask_b32_e64 v21, v21, v15, s5
	v_cmp_eq_u32_e64 s6, 5, v138
	s_delay_alu instid0(VALU_DEP_3) | instskip(SKIP_1) | instid1(VALU_DEP_3)
	v_cndmask_b32_e32 v18, v18, v3, vcc_lo
	v_cmp_eq_u32_e32 vcc_lo, 4, v139
	v_cndmask_b32_e64 v19, v19, v16, s6
	s_delay_alu instid0(VALU_DEP_3) | instskip(SKIP_4) | instid1(VALU_DEP_3)
	v_cndmask_b32_e64 v18, v18, v12, s6
	v_cndmask_b32_e32 v21, v21, v7, vcc_lo
	v_cndmask_b32_e64 v20, v20, v11, s5
	v_cmp_eq_u32_e64 s5, 5, v139
	v_cmp_eq_u32_e64 s6, 6, v138
	v_cndmask_b32_e32 v20, v20, v3, vcc_lo
	s_delay_alu instid0(VALU_DEP_3) | instskip(SKIP_1) | instid1(VALU_DEP_4)
	v_cndmask_b32_e64 v21, v21, v16, s5
	v_cmp_eq_u32_e32 vcc_lo, 6, v139
	v_cndmask_b32_e64 v18, v18, v4, s6
	v_cndmask_b32_e64 v19, v19, v8, s6
	;; [unrolled: 1-line block ×3, first 2 shown]
	v_cmp_eq_u32_e64 s5, 1, v142
	v_cmp_eq_u32_e64 s6, 7, v138
	s_delay_alu instid0(VALU_DEP_3) | instskip(NEXT) | instid1(VALU_DEP_3)
	v_cndmask_b32_e32 v20, v20, v4, vcc_lo
	v_cndmask_b32_e64 v1, v1, v10, s5
	v_cndmask_b32_e64 v5, v5, v14, s5
	v_cmp_eq_u32_e64 s5, 3, v137
	v_cndmask_b32_e64 v14, v23, v6, s8
	v_cmp_eq_u32_e64 s8, 3, v142
	v_cndmask_b32_e64 v1, v1, v2, s4
	v_cndmask_b32_e64 v2, v5, v6, s4
	;; [unrolled: 1-line block ×3, first 2 shown]
	v_cmp_eq_u32_e64 s4, 4, v137
	v_cndmask_b32_e64 v6, v14, v15, s5
	v_cndmask_b32_e64 v1, v1, v11, s8
	v_cmp_eq_u32_e64 s5, 4, v142
	v_cndmask_b32_e64 v2, v2, v15, s8
	v_cndmask_b32_e64 v5, v10, v3, s4
	;; [unrolled: 3-line block ×3, first 2 shown]
	v_cndmask_b32_e64 v2, v2, v7, s5
	v_cmp_eq_u32_e64 s4, 5, v142
	v_cndmask_b32_e64 v5, v5, v12, s8
	v_cmp_eq_u32_e64 s5, 6, v137
	;; [unrolled: 2-line block ×3, first 2 shown]
	v_cndmask_b32_e64 v1, v1, v12, s4
	v_cndmask_b32_e64 v2, v2, v16, s4
	;; [unrolled: 1-line block ×4, first 2 shown]
	v_cmp_eq_u32_e64 s4, 7, v142
	v_cndmask_b32_e64 v1, v1, v4, s8
	v_cndmask_b32_e64 v2, v2, v8, s8
	v_cmp_eq_u32_e64 s5, 7, v137
	v_cndmask_b32_e32 v4, v21, v8, vcc_lo
	v_cndmask_b32_e64 v18, v18, v13, s6
	v_cndmask_b32_e64 v20, v20, v13, s7
	v_cndmask_b32_e64 v1, v1, v13, s4
	v_cndmask_b32_e64 v5, v5, v13, s5
	v_cndmask_b32_e64 v2, v2, v17, s4
	v_cndmask_b32_e64 v3, v3, v17, s5
	v_cndmask_b32_e64 v6, v4, v17, s7
	v_cndmask_b32_e64 v7, v19, v17, s6
	v_cmp_gt_u32_e32 vcc_lo, 32, v0
	v_perm_b32 v4, v2, v1, 0x5040100
	v_perm_b32 v3, v3, v5, 0x5040100
	;; [unrolled: 1-line block ×4, first 2 shown]
	s_and_b32 s2, vcc_lo, s2
	ds_store_b128 v9, v[1:4]
	s_waitcnt lgkmcnt(0)
	s_barrier
	buffer_gl0_inv
	s_and_saveexec_b32 s4, s2
	s_cbranch_execz .LBB440_2
; %bb.111:
	s_load_b64 s[4:5], s[0:1], 0x68
	v_lshlrev_b32_e32 v0, 10, v0
	v_lshlrev_b32_e32 v2, 4, v147
	v_add_nc_u32_e32 v1, s31, v146
	s_lshl_b32 s0, s36, 6
	s_delay_alu instid0(SALU_CYCLE_1) | instskip(NEXT) | instid1(VALU_DEP_2)
	s_mul_i32 s1, s0, s34
	v_and_or_b32 v0, 0x3800, v0, v2
	s_mul_i32 s6, s1, s9
	v_mul_lo_u32 v1, v1, s0
	s_ashr_i32 s7, s6, 31
	s_delay_alu instid0(VALU_DEP_2) | instskip(SKIP_1) | instid1(VALU_DEP_2)
	v_lshl_or_b32 v3, v146, 6, v0
	s_lshl_b64 s[6:7], s[6:7], 1
	v_ashrrev_i32_e32 v2, 31, v1
	ds_load_b128 v[3:6], v3
	s_waitcnt lgkmcnt(0)
	s_add_u32 s1, s4, s6
	s_addc_u32 s2, s5, s7
	s_lshl_b32 s4, s14, 6
	v_lshlrev_b64 v[7:8], 1, v[1:2]
	s_ashr_i32 s5, s4, 31
	s_delay_alu instid0(SALU_CYCLE_1) | instskip(NEXT) | instid1(SALU_CYCLE_1)
	s_lshl_b64 s[4:5], s[4:5], 1
	s_add_u32 s1, s1, s4
	s_addc_u32 s2, s2, s5
	v_add_co_u32 v1, s1, s1, v145
	s_delay_alu instid0(VALU_DEP_1) | instskip(NEXT) | instid1(VALU_DEP_2)
	v_add_co_ci_u32_e64 v2, null, s2, 0, s1
	v_add_co_u32 v7, vcc_lo, v1, v7
	s_delay_alu instid0(VALU_DEP_2)
	v_add_co_ci_u32_e32 v8, vcc_lo, v2, v8, vcc_lo
	global_store_b128 v[7:8], v[3:6], off
	s_and_b32 exec_lo, exec_lo, s3
	s_cbranch_execz .LBB440_2
; %bb.112:
	ds_load_b128 v[3:6], v0 offset:128
	s_add_i32 s1, s31, 2
	s_delay_alu instid0(SALU_CYCLE_1) | instskip(NEXT) | instid1(SALU_CYCLE_1)
	s_mul_i32 s0, s1, s0
	s_ashr_i32 s1, s0, 31
	s_delay_alu instid0(SALU_CYCLE_1) | instskip(NEXT) | instid1(SALU_CYCLE_1)
	s_lshl_b64 s[0:1], s[0:1], 1
	v_add_co_u32 v0, vcc_lo, v1, s0
	v_add_co_ci_u32_e32 v1, vcc_lo, s1, v2, vcc_lo
	s_waitcnt lgkmcnt(0)
	global_store_b128 v[0:1], v[3:6], off
	s_nop 0
	s_sendmsg sendmsg(MSG_DEALLOC_VGPRS)
	s_endpgm
	.section	.rodata,"a",@progbits
	.p2align	6, 0x0
	.amdhsa_kernel _Z39paged_attention_ll4mi_QKV_mfma16_kernelI14__hip_bfloat16S0_LN4vllm18Fp8KVCacheDataTypeE0EhLi16ELi64ELi256ELb0ELi3EL8MFMAType0EEvPKT_PKT0_S9_ifPKiSB_SB_iPKfiiiPfSE_PS4_PT2_iSD_SD_
		.amdhsa_group_segment_fixed_size 17472
		.amdhsa_private_segment_fixed_size 0
		.amdhsa_kernarg_size 400
		.amdhsa_user_sgpr_count 13
		.amdhsa_user_sgpr_dispatch_ptr 0
		.amdhsa_user_sgpr_queue_ptr 0
		.amdhsa_user_sgpr_kernarg_segment_ptr 1
		.amdhsa_user_sgpr_dispatch_id 0
		.amdhsa_user_sgpr_private_segment_size 0
		.amdhsa_wavefront_size32 1
		.amdhsa_uses_dynamic_stack 0
		.amdhsa_enable_private_segment 0
		.amdhsa_system_sgpr_workgroup_id_x 1
		.amdhsa_system_sgpr_workgroup_id_y 1
		.amdhsa_system_sgpr_workgroup_id_z 1
		.amdhsa_system_sgpr_workgroup_info 0
		.amdhsa_system_vgpr_workitem_id 0
		.amdhsa_next_free_vgpr 198
		.amdhsa_next_free_sgpr 52
		.amdhsa_reserve_vcc 1
		.amdhsa_float_round_mode_32 0
		.amdhsa_float_round_mode_16_64 0
		.amdhsa_float_denorm_mode_32 3
		.amdhsa_float_denorm_mode_16_64 3
		.amdhsa_dx10_clamp 1
		.amdhsa_ieee_mode 1
		.amdhsa_fp16_overflow 0
		.amdhsa_workgroup_processor_mode 1
		.amdhsa_memory_ordered 1
		.amdhsa_forward_progress 0
		.amdhsa_shared_vgpr_count 0
		.amdhsa_exception_fp_ieee_invalid_op 0
		.amdhsa_exception_fp_denorm_src 0
		.amdhsa_exception_fp_ieee_div_zero 0
		.amdhsa_exception_fp_ieee_overflow 0
		.amdhsa_exception_fp_ieee_underflow 0
		.amdhsa_exception_fp_ieee_inexact 0
		.amdhsa_exception_int_div_zero 0
	.end_amdhsa_kernel
	.section	.text._Z39paged_attention_ll4mi_QKV_mfma16_kernelI14__hip_bfloat16S0_LN4vllm18Fp8KVCacheDataTypeE0EhLi16ELi64ELi256ELb0ELi3EL8MFMAType0EEvPKT_PKT0_S9_ifPKiSB_SB_iPKfiiiPfSE_PS4_PT2_iSD_SD_,"axG",@progbits,_Z39paged_attention_ll4mi_QKV_mfma16_kernelI14__hip_bfloat16S0_LN4vllm18Fp8KVCacheDataTypeE0EhLi16ELi64ELi256ELb0ELi3EL8MFMAType0EEvPKT_PKT0_S9_ifPKiSB_SB_iPKfiiiPfSE_PS4_PT2_iSD_SD_,comdat
.Lfunc_end440:
	.size	_Z39paged_attention_ll4mi_QKV_mfma16_kernelI14__hip_bfloat16S0_LN4vllm18Fp8KVCacheDataTypeE0EhLi16ELi64ELi256ELb0ELi3EL8MFMAType0EEvPKT_PKT0_S9_ifPKiSB_SB_iPKfiiiPfSE_PS4_PT2_iSD_SD_, .Lfunc_end440-_Z39paged_attention_ll4mi_QKV_mfma16_kernelI14__hip_bfloat16S0_LN4vllm18Fp8KVCacheDataTypeE0EhLi16ELi64ELi256ELb0ELi3EL8MFMAType0EEvPKT_PKT0_S9_ifPKiSB_SB_iPKfiiiPfSE_PS4_PT2_iSD_SD_
                                        ; -- End function
	.section	.AMDGPU.csdata,"",@progbits
; Kernel info:
; codeLenInByte = 9960
; NumSgprs: 54
; NumVgprs: 198
; ScratchSize: 0
; MemoryBound: 0
; FloatMode: 240
; IeeeMode: 1
; LDSByteSize: 17472 bytes/workgroup (compile time only)
; SGPRBlocks: 6
; VGPRBlocks: 24
; NumSGPRsForWavesPerEU: 54
; NumVGPRsForWavesPerEU: 198
; Occupancy: 7
; WaveLimiterHint : 1
; COMPUTE_PGM_RSRC2:SCRATCH_EN: 0
; COMPUTE_PGM_RSRC2:USER_SGPR: 13
; COMPUTE_PGM_RSRC2:TRAP_HANDLER: 0
; COMPUTE_PGM_RSRC2:TGID_X_EN: 1
; COMPUTE_PGM_RSRC2:TGID_Y_EN: 1
; COMPUTE_PGM_RSRC2:TGID_Z_EN: 1
; COMPUTE_PGM_RSRC2:TIDIG_COMP_CNT: 0
	.section	.text._Z39paged_attention_ll4mi_QKV_mfma16_kernelI14__hip_bfloat16S0_LN4vllm18Fp8KVCacheDataTypeE0EhLi16ELi64ELi256ELb0ELi4EL8MFMAType0EEvPKT_PKT0_S9_ifPKiSB_SB_iPKfiiiPfSE_PS4_PT2_iSD_SD_,"axG",@progbits,_Z39paged_attention_ll4mi_QKV_mfma16_kernelI14__hip_bfloat16S0_LN4vllm18Fp8KVCacheDataTypeE0EhLi16ELi64ELi256ELb0ELi4EL8MFMAType0EEvPKT_PKT0_S9_ifPKiSB_SB_iPKfiiiPfSE_PS4_PT2_iSD_SD_,comdat
	.protected	_Z39paged_attention_ll4mi_QKV_mfma16_kernelI14__hip_bfloat16S0_LN4vllm18Fp8KVCacheDataTypeE0EhLi16ELi64ELi256ELb0ELi4EL8MFMAType0EEvPKT_PKT0_S9_ifPKiSB_SB_iPKfiiiPfSE_PS4_PT2_iSD_SD_ ; -- Begin function _Z39paged_attention_ll4mi_QKV_mfma16_kernelI14__hip_bfloat16S0_LN4vllm18Fp8KVCacheDataTypeE0EhLi16ELi64ELi256ELb0ELi4EL8MFMAType0EEvPKT_PKT0_S9_ifPKiSB_SB_iPKfiiiPfSE_PS4_PT2_iSD_SD_
	.globl	_Z39paged_attention_ll4mi_QKV_mfma16_kernelI14__hip_bfloat16S0_LN4vllm18Fp8KVCacheDataTypeE0EhLi16ELi64ELi256ELb0ELi4EL8MFMAType0EEvPKT_PKT0_S9_ifPKiSB_SB_iPKfiiiPfSE_PS4_PT2_iSD_SD_
	.p2align	8
	.type	_Z39paged_attention_ll4mi_QKV_mfma16_kernelI14__hip_bfloat16S0_LN4vllm18Fp8KVCacheDataTypeE0EhLi16ELi64ELi256ELb0ELi4EL8MFMAType0EEvPKT_PKT0_S9_ifPKiSB_SB_iPKfiiiPfSE_PS4_PT2_iSD_SD_,@function
_Z39paged_attention_ll4mi_QKV_mfma16_kernelI14__hip_bfloat16S0_LN4vllm18Fp8KVCacheDataTypeE0EhLi16ELi64ELi256ELb0ELi4EL8MFMAType0EEvPKT_PKT0_S9_ifPKiSB_SB_iPKfiiiPfSE_PS4_PT2_iSD_SD_: ; @_Z39paged_attention_ll4mi_QKV_mfma16_kernelI14__hip_bfloat16S0_LN4vllm18Fp8KVCacheDataTypeE0EhLi16ELi64ELi256ELb0ELi4EL8MFMAType0EEvPKT_PKT0_S9_ifPKiSB_SB_iPKfiiiPfSE_PS4_PT2_iSD_SD_
; %bb.0:
	s_load_b64 s[2:3], s[0:1], 0x30
	s_mov_b32 s30, s13
	s_waitcnt lgkmcnt(0)
	s_cmp_lg_u64 s[2:3], 0
	s_cselect_b32 s6, -1, 0
	s_ashr_i32 s31, s13, 31
	s_cmp_eq_u64 s[2:3], 0
	s_cbranch_scc1 .LBB441_3
; %bb.1:
	s_lshl_b64 s[4:5], s[30:31], 2
	s_delay_alu instid0(SALU_CYCLE_1) | instskip(SKIP_4) | instid1(SALU_CYCLE_1)
	s_add_u32 s4, s2, s4
	s_addc_u32 s5, s3, s5
	s_load_b64 s[4:5], s[4:5], 0x0
	s_waitcnt lgkmcnt(0)
	s_sub_i32 s4, s5, s4
	s_cmp_eq_u32 s4, 1
	s_cselect_b32 s4, -1, 0
	s_delay_alu instid0(SALU_CYCLE_1)
	s_and_not1_b32 vcc_lo, exec_lo, s4
	s_cbranch_vccz .LBB441_4
.LBB441_2:
	s_endpgm
.LBB441_3:
.LBB441_4:
	s_load_b64 s[8:9], s[0:1], 0x28
	s_lshl_b64 s[4:5], s[30:31], 2
	s_waitcnt lgkmcnt(0)
	s_add_u32 s8, s8, s4
	s_addc_u32 s9, s9, s5
	s_lshl_b32 s34, s14, 8
	s_load_b32 s33, s[8:9], 0x0
	s_waitcnt lgkmcnt(0)
	s_cmp_ge_i32 s34, s33
	s_cbranch_scc1 .LBB441_2
; %bb.5:
	s_clause 0x1
	s_load_b128 s[8:11], s[0:1], 0x8
	s_load_b64 s[12:13], s[0:1], 0x20
	s_and_not1_b32 vcc_lo, exec_lo, s6
	s_cbranch_vccnz .LBB441_7
; %bb.6:
	s_add_u32 s2, s2, s4
	s_addc_u32 s3, s3, s5
	s_load_b32 s3, s[2:3], 0x0
	s_branch .LBB441_8
.LBB441_7:
	s_mov_b32 s3, s30
.LBB441_8:
	s_load_b128 s[4:7], s[0:1], 0x48
	v_and_b32_e32 v149, 15, v0
	v_cmp_gt_u32_e32 vcc_lo, 64, v0
	v_lshrrev_b32_e32 v148, 5, v0
	v_and_b32_e32 v150, 31, v0
	v_and_b32_e32 v146, 1, v0
	v_lshlrev_b32_e32 v1, 3, v149
	v_cmp_gt_u32_e64 s2, 8, v149
	v_bfe_u32 v147, v0, 4, 1
	s_lshl_b32 s31, s15, 2
	s_delay_alu instid0(VALU_DEP_3) | instskip(NEXT) | instid1(VALU_DEP_3)
	v_lshlrev_b32_e32 v145, 1, v1
	s_and_b32 s16, vcc_lo, s2
	s_waitcnt lgkmcnt(0)
	s_and_saveexec_b32 s7, s16
	s_cbranch_execz .LBB441_10
; %bb.9:
	v_lshl_or_b32 v5, v148, 1, v147
	s_load_b64 s[16:17], s[0:1], 0x0
	s_mul_hi_i32 s19, s3, s4
	s_mul_i32 s18, s3, s4
	v_lshlrev_b32_e32 v6, 10, v149
	v_or_b32_e32 v1, s31, v5
	s_lshl_b64 s[18:19], s[18:19], 1
	v_lshlrev_b32_e32 v5, 6, v5
	v_lshlrev_b32_e32 v7, 10, v146
	v_and_b32_e32 v6, 0x3800, v6
	v_lshlrev_b32_e32 v1, 6, v1
	s_delay_alu instid0(VALU_DEP_2) | instskip(NEXT) | instid1(VALU_DEP_2)
	v_or3_b32 v5, v6, v7, v5
	v_ashrrev_i32_e32 v2, 31, v1
	s_delay_alu instid0(VALU_DEP_1) | instskip(SKIP_3) | instid1(VALU_DEP_1)
	v_lshlrev_b64 v[1:2], 1, v[1:2]
	s_waitcnt lgkmcnt(0)
	s_add_u32 s3, s16, s18
	s_addc_u32 s4, s17, s19
	v_add_co_u32 v1, vcc_lo, s3, v1
	s_delay_alu instid0(VALU_DEP_2) | instskip(NEXT) | instid1(VALU_DEP_2)
	v_add_co_ci_u32_e32 v2, vcc_lo, s4, v2, vcc_lo
	v_add_co_u32 v1, vcc_lo, v1, v145
	s_delay_alu instid0(VALU_DEP_2)
	v_add_co_ci_u32_e32 v2, vcc_lo, 0, v2, vcc_lo
	global_load_b128 v[1:4], v[1:2], off
	s_waitcnt vmcnt(0)
	ds_store_b128 v5, v[1:4]
.LBB441_10:
	s_or_b32 exec_lo, exec_lo, s7
	s_mov_b32 s40, 0
	s_add_i32 s3, s33, 15
	s_mov_b32 s41, s40
	s_mov_b32 s42, s40
	;; [unrolled: 1-line block ×7, first 2 shown]
	s_delay_alu instid0(SALU_CYCLE_1)
	v_dual_mov_b32 v136, s47 :: v_dual_and_b32 v1, 0xef, v0
	v_mov_b32_e32 v134, s45
	s_clause 0x1
	s_load_b32 s4, s[0:1], 0x38
	s_load_b32 s35, s[0:1], 0x1c
	v_add_nc_u32_e32 v1, s34, v1
	s_ashr_i32 s7, s3, 31
	s_waitcnt lgkmcnt(0)
	s_lshr_b32 s7, s7, 28
	s_barrier
	v_ashrrev_i32_e32 v2, 31, v1
	s_add_i32 s3, s3, s7
	v_cmp_gt_i32_e32 vcc_lo, s33, v1
	v_mov_b32_e32 v135, s46
	s_ashr_i32 s3, s3, 4
	v_lshrrev_b32_e32 v3, 28, v2
	v_or_b32_e32 v2, 16, v1
	s_add_i32 s3, s3, -1
	v_mov_b32_e32 v132, s43
	buffer_gl0_inv
	v_add_nc_u32_e32 v4, v1, v3
	v_add_nc_u32_e32 v3, v2, v3
	s_mul_i32 s6, s15, s6
	v_lshlrev_b32_e32 v22, 5, v149
	s_mul_i32 s16, s30, s4
	v_ashrrev_i32_e32 v4, 4, v4
	v_ashrrev_i32_e32 v3, 4, v3
	s_ashr_i32 s17, s16, 31
	v_and_b32_e32 v21, 3, v0
	s_lshl_b64 s[16:17], s[16:17], 2
	v_cndmask_b32_e32 v1, s3, v4, vcc_lo
	v_cmp_gt_i32_e32 vcc_lo, s33, v2
	s_add_u32 s4, s12, s16
	s_addc_u32 s36, s13, s17
	s_ashr_i32 s7, s6, 31
	v_ashrrev_i32_e32 v2, 31, v1
	v_cndmask_b32_e32 v3, s3, v3, vcc_lo
	s_lshl_b64 s[6:7], s[6:7], 1
	v_lshlrev_b32_e32 v197, 6, v21
	s_add_u32 s24, s8, s6
	v_lshlrev_b64 v[1:2], 2, v[1:2]
	v_ashrrev_i32_e32 v4, 31, v3
	s_addc_u32 s25, s9, s7
	s_lshl_b32 s8, s14, 4
	v_mov_b32_e32 v133, s44
	s_ashr_i32 s9, s8, 31
	v_lshlrev_b64 v[3:4], 2, v[3:4]
	v_add_co_u32 v1, vcc_lo, s4, v1
	v_add_co_ci_u32_e32 v2, vcc_lo, s36, v2, vcc_lo
	s_lshl_b64 s[8:9], s[8:9], 2
	s_delay_alu instid0(VALU_DEP_3) | instskip(NEXT) | instid1(VALU_DEP_4)
	v_add_co_u32 v3, vcc_lo, s4, v3
	v_add_co_ci_u32_e32 v4, vcc_lo, s36, v4, vcc_lo
	s_clause 0x1
	global_load_b32 v5, v[1:2], off
	global_load_b32 v6, v[3:4], off
	s_add_u32 s8, s4, s8
	s_addc_u32 s9, s36, s9
	s_or_b32 s12, s34, 16
	v_dual_mov_b32 v130, s41 :: v_dual_lshlrev_b32 v3, 4, v0
	s_ashr_i32 s13, s12, 4
	s_cmp_lt_i32 s12, s33
	v_mov_b32_e32 v131, s42
	s_cselect_b32 s12, s13, s3
	v_mov_b32_e32 v129, s40
	s_ashr_i32 s13, s12, 31
	v_lshl_or_b32 v21, v148, 9, v22
	s_lshl_b64 s[12:13], s[12:13], 2
	s_delay_alu instid0(SALU_CYCLE_1) | instskip(SKIP_2) | instid1(SALU_CYCLE_1)
	s_add_u32 s12, s4, s12
	s_addc_u32 s13, s36, s13
	s_or_b32 s15, s34, 32
	s_ashr_i32 s16, s15, 4
	s_cmp_lt_i32 s15, s33
	s_cselect_b32 s16, s16, s3
	s_delay_alu instid0(SALU_CYCLE_1) | instskip(NEXT) | instid1(SALU_CYCLE_1)
	s_ashr_i32 s17, s16, 31
	s_lshl_b64 s[16:17], s[16:17], 2
	s_delay_alu instid0(SALU_CYCLE_1) | instskip(SKIP_2) | instid1(SALU_CYCLE_1)
	s_add_u32 s16, s4, s16
	s_addc_u32 s17, s36, s17
	s_or_b32 s15, s34, 48
	s_ashr_i32 s18, s15, 4
	s_cmp_lt_i32 s15, s33
	s_cselect_b32 s18, s18, s3
	s_delay_alu instid0(SALU_CYCLE_1) | instskip(NEXT) | instid1(SALU_CYCLE_1)
	s_ashr_i32 s19, s18, 31
	;; [unrolled: 10-line block ×4, first 2 shown]
	s_lshl_b64 s[22:23], s[22:23], 2
	s_delay_alu instid0(SALU_CYCLE_1)
	s_add_u32 s22, s4, s22
	s_addc_u32 s23, s36, s23
	s_clause 0x5
	s_load_b32 s8, s[8:9], 0x0
	s_load_b32 s12, s[12:13], 0x0
	;; [unrolled: 1-line block ×6, first 2 shown]
	s_waitcnt lgkmcnt(0)
	s_mul_hi_i32 s17, s16, s5
	s_mul_i32 s16, s16, s5
	s_waitcnt vmcnt(1)
	v_mad_i64_i32 v[1:2], null, v5, s5, 0
	v_and_b32_e32 v5, 0xf0, v3
	s_waitcnt vmcnt(0)
	v_mad_i64_i32 v[3:4], null, v6, s5, 0
	s_delay_alu instid0(VALU_DEP_2) | instskip(NEXT) | instid1(VALU_DEP_4)
	v_add_co_u32 v5, s9, s24, v5
	v_lshlrev_b64 v[1:2], 1, v[1:2]
	v_add_co_ci_u32_e64 v6, null, s25, 0, s9
	s_delay_alu instid0(VALU_DEP_4) | instskip(SKIP_1) | instid1(VALU_DEP_3)
	v_lshlrev_b64 v[3:4], 1, v[3:4]
	s_or_b32 s9, s34, 0x60
	v_add_co_u32 v17, vcc_lo, v5, v1
	s_delay_alu instid0(VALU_DEP_3) | instskip(NEXT) | instid1(VALU_DEP_3)
	v_add_co_ci_u32_e32 v18, vcc_lo, v6, v2, vcc_lo
	v_add_co_u32 v19, vcc_lo, v5, v3
	s_delay_alu instid0(VALU_DEP_4)
	v_add_co_ci_u32_e32 v20, vcc_lo, v6, v4, vcc_lo
	s_clause 0xb
	global_load_b128 v[1:4], v[17:18], off
	global_load_b128 v[5:8], v[17:18], off offset:256
	global_load_b128 v[137:140], v[19:20], off
	global_load_b128 v[141:144], v[19:20], off offset:256
	global_load_b128 v[33:36], v[17:18], off offset:512
	;; [unrolled: 1-line block ×9, first 2 shown]
	ds_load_b128 v[159:162], v197
	ds_load_b128 v[163:166], v197 offset:1024
	s_clause 0x3
	global_load_b128 v[167:170], v[17:18], off offset:1536
	global_load_b128 v[171:174], v[17:18], off offset:1792
	;; [unrolled: 1-line block ×4, first 2 shown]
	s_ashr_i32 s13, s9, 4
	s_cmp_lt_i32 s9, s33
	s_cselect_b32 s22, s13, s3
	s_delay_alu instid0(SALU_CYCLE_1) | instskip(NEXT) | instid1(SALU_CYCLE_1)
	s_ashr_i32 s23, s22, 31
	s_lshl_b64 s[22:23], s[22:23], 2
	s_delay_alu instid0(SALU_CYCLE_1) | instskip(SKIP_2) | instid1(SALU_CYCLE_1)
	s_add_u32 s22, s4, s22
	s_addc_u32 s23, s36, s23
	s_or_b32 s9, s34, 0x70
	s_ashr_i32 s13, s9, 4
	s_cmp_lt_i32 s9, s33
	s_cselect_b32 s24, s13, s3
	s_delay_alu instid0(SALU_CYCLE_1) | instskip(NEXT) | instid1(SALU_CYCLE_1)
	s_ashr_i32 s25, s24, 31
	s_lshl_b64 s[24:25], s[24:25], 2
	s_delay_alu instid0(SALU_CYCLE_1)
	s_add_u32 s24, s4, s24
	s_addc_u32 s25, s36, s25
	s_or_b32 s9, s34, 0x80
	s_load_b32 s46, s[24:25], 0x0
	s_ashr_i32 s13, s9, 4
	s_cmp_lt_i32 s9, s33
	s_cselect_b32 s26, s13, s3
	s_delay_alu instid0(SALU_CYCLE_1) | instskip(NEXT) | instid1(SALU_CYCLE_1)
	s_ashr_i32 s27, s26, 31
	s_lshl_b64 s[26:27], s[26:27], 2
	s_delay_alu instid0(SALU_CYCLE_1)
	s_add_u32 s26, s4, s26
	s_addc_u32 s27, s36, s27
	s_or_b32 s9, s34, 0x90
	s_load_b32 s47, s[26:27], 0x0
	s_ashr_i32 s13, s9, 4
	s_cmp_lt_i32 s9, s33
	s_cselect_b32 s28, s13, s3
	s_delay_alu instid0(SALU_CYCLE_1) | instskip(NEXT) | instid1(SALU_CYCLE_1)
	s_ashr_i32 s29, s28, 31
	s_lshl_b64 s[28:29], s[28:29], 2
	s_delay_alu instid0(SALU_CYCLE_1) | instskip(SKIP_2) | instid1(SALU_CYCLE_1)
	s_add_u32 s28, s4, s28
	s_addc_u32 s29, s36, s29
	s_or_b32 s9, s34, 0xa0
	s_ashr_i32 s13, s9, 4
	s_cmp_lt_i32 s9, s33
	s_cselect_b32 s38, s13, s3
	s_delay_alu instid0(SALU_CYCLE_1) | instskip(NEXT) | instid1(SALU_CYCLE_1)
	s_ashr_i32 s39, s38, 31
	s_lshl_b64 s[38:39], s[38:39], 2
	s_delay_alu instid0(SALU_CYCLE_1)
	s_add_u32 s38, s4, s38
	s_addc_u32 s39, s36, s39
	s_or_b32 s9, s34, 0xb0
	s_load_b32 s39, s[38:39], 0x0
	s_ashr_i32 s13, s9, 4
	s_cmp_lt_i32 s9, s33
	s_mul_hi_i32 s9, s8, s5
	s_cselect_b32 s40, s13, s3
	s_mul_i32 s8, s8, s5
	s_ashr_i32 s41, s40, 31
	s_mul_hi_i32 s13, s12, s5
	s_lshl_b64 s[40:41], s[40:41], 2
	s_mul_i32 s12, s12, s5
	s_add_u32 s42, s4, s40
	s_addc_u32 s43, s36, s41
	s_or_b32 s19, s34, 0xc0
	s_delay_alu instid0(SALU_CYCLE_1)
	s_ashr_i32 s21, s19, 4
	s_cmp_lt_i32 s19, s33
	s_mul_hi_i32 s19, s18, s5
	s_cselect_b32 s40, s21, s3
	s_mul_i32 s18, s18, s5
	s_ashr_i32 s41, s40, 31
	s_mul_hi_i32 s21, s20, s5
	s_lshl_b64 s[40:41], s[40:41], 2
	s_mul_i32 s20, s20, s5
	s_add_u32 s44, s4, s40
	s_load_b32 s40, s[28:29], 0x0
	s_addc_u32 s45, s36, s41
	s_or_b32 s37, s34, 0xd0
	s_load_b32 s41, s[22:23], 0x0
	s_ashr_i32 s22, s37, 4
	s_cmp_lt_i32 s37, s33
	s_mul_hi_i32 s23, s15, s5
	s_cselect_b32 s24, s22, s3
	s_mul_i32 s22, s15, s5
	s_ashr_i32 s25, s24, 31
	s_waitcnt lgkmcnt(0)
	s_mul_hi_i32 s27, s46, s5
	s_lshl_b64 s[24:25], s[24:25], 2
	s_mul_i32 s26, s46, s5
	s_add_u32 s24, s4, s24
	s_addc_u32 s25, s36, s25
	s_or_b32 s48, s34, 0xe0
	s_clause 0x2
	s_load_b32 s38, s[42:43], 0x0
	s_load_b32 s37, s[44:45], 0x0
	;; [unrolled: 1-line block ×3, first 2 shown]
	s_ashr_i32 s49, s48, 4
	s_cmp_lt_i32 s48, s33
	s_mul_hi_i32 s29, s47, s5
	s_cselect_b32 s42, s49, s3
	s_mul_i32 s28, s47, s5
	s_ashr_i32 s43, s42, 31
	s_mul_hi_i32 s25, s41, s5
	s_lshl_b64 s[42:43], s[42:43], 2
	s_mul_i32 s24, s41, s5
	s_add_u32 s42, s4, s42
	s_addc_u32 s43, s36, s43
	s_or_b32 s46, s34, 0xf0
	s_mul_hi_i32 s41, s40, s5
	s_ashr_i32 s47, s46, 4
	s_cmp_lt_i32 s46, s33
	s_mul_i32 s40, s40, s5
	s_cselect_b32 s46, s47, s3
	s_mul_hi_i32 s45, s39, s5
	s_ashr_i32 s47, s46, 31
	s_mul_i32 s44, s39, s5
	s_lshl_b64 s[46:47], s[46:47], 2
	s_waitcnt lgkmcnt(0)
	s_mul_hi_i32 s39, s38, s5
	s_add_u32 s46, s4, s46
	s_addc_u32 s47, s36, s47
	s_add_u32 s3, s10, s6
	s_addc_u32 s4, s11, s7
	v_add_co_u32 v195, s3, s3, v21
	s_delay_alu instid0(VALU_DEP_1) | instskip(SKIP_2) | instid1(VALU_DEP_2)
	v_add_co_ci_u32_e64 v196, null, s4, 0, s3
	s_lshl_b64 s[6:7], s[8:9], 1
	s_lshl_b64 s[8:9], s[12:13], 1
	v_add_co_u32 v17, vcc_lo, v195, s6
	s_delay_alu instid0(VALU_DEP_2)
	v_add_co_ci_u32_e32 v18, vcc_lo, s7, v196, vcc_lo
	v_add_co_u32 v19, vcc_lo, v195, s8
	s_lshl_b64 s[10:11], s[16:17], 1
	v_add_co_ci_u32_e32 v20, vcc_lo, s9, v196, vcc_lo
	v_add_co_u32 v21, vcc_lo, v195, s10
	s_lshl_b64 s[12:13], s[18:19], 1
	;; [unrolled: 3-line block ×9, first 2 shown]
	s_mul_i32 s38, s38, s5
	v_add_co_ci_u32_e32 v54, vcc_lo, s27, v196, vcc_lo
	v_add_co_u32 v183, vcc_lo, v195, s28
	s_mul_hi_i32 s49, s37, s5
	s_mul_i32 s48, s37, s5
	s_lshl_b64 s[36:37], s[38:39], 1
	v_add_co_ci_u32_e32 v184, vcc_lo, s29, v196, vcc_lo
	v_add_co_u32 v185, vcc_lo, v195, s36
	s_lshl_b64 s[38:39], s[48:49], 1
	s_clause 0x1
	s_load_b32 s3, s[42:43], 0x0
	s_load_b32 s4, s[46:47], 0x0
	v_add_co_ci_u32_e32 v186, vcc_lo, s37, v196, vcc_lo
	v_add_co_u32 v191, vcc_lo, v195, s38
	v_add_co_ci_u32_e32 v192, vcc_lo, s39, v196, vcc_lo
	s_clause 0x17
	global_load_b128 v[121:124], v[17:18], off
	global_load_b128 v[125:128], v[17:18], off offset:16
	global_load_b128 v[113:116], v[19:20], off
	global_load_b128 v[117:120], v[19:20], off offset:16
	;; [unrolled: 2-line block ×12, first 2 shown]
	s_mul_hi_i32 s51, s15, s5
	s_mul_i32 s50, s15, s5
	s_delay_alu instid0(SALU_CYCLE_1) | instskip(NEXT) | instid1(SALU_CYCLE_1)
	s_lshl_b64 s[40:41], s[50:51], 1
	v_add_co_u32 v193, vcc_lo, v195, s40
	v_add_co_ci_u32_e32 v194, vcc_lo, s41, v196, vcc_lo
	s_waitcnt lgkmcnt(0)
	s_mul_hi_i32 s7, s3, s5
	s_mul_i32 s6, s3, s5
	s_mul_hi_i32 s9, s4, s5
	s_lshl_b64 s[6:7], s[6:7], 1
	s_mul_i32 s8, s4, s5
	s_delay_alu instid0(SALU_CYCLE_1)
	s_lshl_b64 s[4:5], s[8:9], 1
	s_waitcnt vmcnt(38)
	v_wmma_f32_16x16x16_bf16 v[183:190], v[1:8], v[159:166], v[129:136]
	s_waitcnt vmcnt(36)
	v_wmma_f32_16x16x16_bf16 v[129:136], v[137:144], v[159:166], v[129:136]
	s_clause 0x1
	global_load_b128 v[1:4], v[191:192], off
	global_load_b128 v[5:8], v[191:192], off offset:16
	ds_load_b128 v[137:140], v197 offset:2048
	ds_load_b128 v[141:144], v197 offset:3072
	;; [unrolled: 1-line block ×4, first 2 shown]
	v_add_co_u32 v191, vcc_lo, v195, s6
	v_add_co_ci_u32_e32 v192, vcc_lo, s7, v196, vcc_lo
	v_add_co_u32 v195, vcc_lo, v195, s4
	v_add_co_ci_u32_e32 v196, vcc_lo, s5, v196, vcc_lo
	s_waitcnt vmcnt(36) lgkmcnt(2)
	v_wmma_f32_16x16x16_bf16 v[183:190], v[33:40], v[137:144], v[183:190]
	s_waitcnt vmcnt(34)
	v_wmma_f32_16x16x16_bf16 v[129:136], v[25:32], v[137:144], v[129:136]
	s_clause 0x3
	global_load_b128 v[25:28], v[193:194], off
	global_load_b128 v[29:32], v[193:194], off offset:16
	global_load_b128 v[33:36], v[191:192], off
	global_load_b128 v[37:40], v[191:192], off offset:16
	v_and_b32_e32 v137, 0xe0, v0
	v_mbcnt_lo_u32_b32 v191, -1, 0
	s_waitcnt vmcnt(36) lgkmcnt(0)
	v_wmma_f32_16x16x16_bf16 v[183:190], v[9:16], v[159:166], v[183:190]
	s_clause 0x1
	global_load_b128 v[9:12], v[195:196], off
	global_load_b128 v[13:16], v[195:196], off offset:16
	s_waitcnt vmcnt(36)
	v_wmma_f32_16x16x16_bf16 v[129:136], v[151:158], v[159:166], v[129:136]
	v_add_nc_u32_e32 v192, s34, v137
	ds_load_b128 v[137:140], v197 offset:6144
	ds_load_b128 v[141:144], v197 offset:7168
	v_xor_b32_e32 v151, 16, v191
	s_waitcnt vmcnt(0) lgkmcnt(0)
	s_barrier
	v_or_b32_e32 v152, v192, v147
	buffer_gl0_inv
	v_cmp_gt_i32_e32 vcc_lo, 32, v151
	v_or_b32_e32 v153, 2, v152
	v_or_b32_e32 v154, 4, v152
	;; [unrolled: 1-line block ×5, first 2 shown]
	v_cmp_gt_i32_e64 s3, s33, v153
	v_cmp_gt_i32_e64 s4, s33, v154
	;; [unrolled: 1-line block ×3, first 2 shown]
	v_or_b32_e32 v158, 12, v152
	v_or_b32_e32 v159, 14, v152
	v_cmp_gt_i32_e64 s6, s33, v156
	v_wmma_f32_16x16x16_bf16 v[183:190], v[167:174], v[137:144], v[183:190]
	v_wmma_f32_16x16x16_bf16 v[129:136], v[175:182], v[137:144], v[129:136]
	v_cndmask_b32_e32 v151, v191, v151, vcc_lo
	v_cmp_gt_i32_e32 vcc_lo, s33, v152
	v_cmp_gt_i32_e64 s7, s33, v157
	v_dual_mul_f32 v143, s35, v184 :: v_dual_mul_f32 v144, s35, v183
	v_dual_mul_f32 v141, s35, v186 :: v_dual_mul_f32 v142, s35, v185
	;; [unrolled: 1-line block ×3, first 2 shown]
	s_delay_alu instid0(VALU_DEP_3) | instskip(NEXT) | instid1(VALU_DEP_4)
	v_cndmask_b32_e32 v144, 0xff7fffff, v144, vcc_lo
	v_cndmask_b32_e64 v143, 0xff7fffff, v143, s3
	v_mul_f32_e32 v140, s35, v187
	v_cndmask_b32_e64 v142, 0xff7fffff, v142, s4
	v_cndmask_b32_e64 v141, 0xff7fffff, v141, s5
	v_or_b32_e32 v160, 16, v152
	v_max3_f32 v143, v144, 0xff7fffff, v143
	v_or_b32_e32 v161, 18, v152
	v_mul_f32_e32 v138, s35, v189
	v_dual_mul_f32 v172, s35, v132 :: v_dual_mul_f32 v137, s35, v190
	v_lshlrev_b32_e32 v154, 2, v151
	v_cndmask_b32_e64 v140, 0xff7fffff, v140, s6
	v_cndmask_b32_e64 v139, 0xff7fffff, v139, s7
	v_max3_f32 v141, v143, v142, v141
	v_cmp_gt_i32_e64 s8, s33, v158
	v_cmp_gt_i32_e64 s9, s33, v159
	v_or_b32_e32 v162, 20, v152
	v_or_b32_e32 v163, 22, v152
	v_mul_f32_e32 v175, s35, v129
	v_cndmask_b32_e64 v138, 0xff7fffff, v138, s8
	v_cndmask_b32_e64 v137, 0xff7fffff, v137, s9
	v_max3_f32 v139, v141, v140, v139
	v_cmp_gt_i32_e64 s10, s33, v160
	v_cmp_gt_i32_e64 s11, s33, v161
	v_or_b32_e32 v164, 24, v152
	v_or_b32_e32 v165, 26, v152
	v_mul_f32_e32 v173, s35, v131
	v_cndmask_b32_e64 v140, 0xff7fffff, v175, s10
	v_cndmask_b32_e64 v141, 0xff7fffff, v174, s11
	v_max3_f32 v137, v139, v138, v137
	v_cmp_gt_i32_e64 s12, s33, v162
	v_cmp_gt_i32_e64 s13, s33, v163
	v_or_b32_e32 v166, 28, v152
	v_or_b32_e32 v167, 30, v152
	v_dual_mul_f32 v170, s35, v134 :: v_dual_mul_f32 v171, s35, v133
	v_cndmask_b32_e64 v138, 0xff7fffff, v173, s12
	v_cndmask_b32_e64 v139, 0xff7fffff, v172, s13
	v_max3_f32 v137, v137, v140, v141
	v_cmp_gt_i32_e64 s15, s33, v164
	v_cmp_gt_i32_e64 s16, s33, v165
	v_dual_mul_f32 v168, s35, v136 :: v_dual_mul_f32 v169, s35, v135
	s_delay_alu instid0(VALU_DEP_4) | instskip(NEXT) | instid1(VALU_DEP_4)
	v_max3_f32 v137, v137, v138, v139
	v_cndmask_b32_e64 v140, 0xff7fffff, v171, s15
	s_delay_alu instid0(VALU_DEP_4) | instskip(SKIP_2) | instid1(VALU_DEP_3)
	v_cndmask_b32_e64 v141, 0xff7fffff, v170, s16
	v_cmp_gt_i32_e64 s17, s33, v166
	v_cmp_gt_i32_e64 s18, s33, v167
	v_max3_f32 v137, v137, v140, v141
	s_delay_alu instid0(VALU_DEP_3) | instskip(NEXT) | instid1(VALU_DEP_3)
	v_cndmask_b32_e64 v138, 0xff7fffff, v169, s17
	v_cndmask_b32_e64 v139, 0xff7fffff, v168, s18
	s_delay_alu instid0(VALU_DEP_1) | instskip(SKIP_3) | instid1(VALU_DEP_1)
	v_max3_f32 v137, v137, v138, v139
	ds_bpermute_b32 v138, v154, v137
	s_waitcnt lgkmcnt(0)
	v_max_f32_e32 v138, v138, v138
	v_max_f32_e32 v139, v137, v138
	s_delay_alu instid0(VALU_DEP_1) | instskip(SKIP_4) | instid1(VALU_DEP_4)
	v_fma_f32 v141, s35, v186, -v139
	v_fma_f32 v130, s35, v130, -v139
	;; [unrolled: 1-line block ×5, first 2 shown]
	v_dual_mul_f32 v141, 0x3fb8aa3b, v141 :: v_dual_mul_f32 v130, 0x3fb8aa3b, v130
	v_fma_f32 v142, s35, v187, -v139
	s_delay_alu instid0(VALU_DEP_4) | instskip(NEXT) | instid1(VALU_DEP_4)
	v_mul_f32_e32 v138, 0x3fb8aa3b, v138
	v_mul_f32_e32 v140, 0x3fb8aa3b, v140
	s_delay_alu instid0(VALU_DEP_4)
	v_exp_f32_e32 v144, v141
	v_fma_f32 v151, s35, v189, -v139
	v_mul_f32_e32 v142, 0x3fb8aa3b, v142
	v_exp_f32_e32 v138, v138
	v_exp_f32_e32 v143, v140
	v_fma_f32 v132, s35, v132, -v139
	v_mul_f32_e32 v151, 0x3fb8aa3b, v151
	v_exp_f32_e32 v152, v142
	v_fma_f32 v129, s35, v129, -v139
	v_fma_f32 v134, s35, v134, -v139
	v_cndmask_b32_e64 v144, 0, v144, s5
	v_dual_mul_f32 v137, 0x3fb8aa3b, v137 :: v_dual_mul_f32 v132, 0x3fb8aa3b, v132
	s_delay_alu instid0(TRANS32_DEP_3) | instskip(NEXT) | instid1(TRANS32_DEP_2)
	v_cndmask_b32_e64 v141, 0, v138, s3
	v_cndmask_b32_e64 v142, 0, v143, s4
	v_fma_f32 v143, s35, v190, -v139
	s_delay_alu instid0(VALU_DEP_4)
	v_exp_f32_e32 v137, v137
	v_exp_f32_e32 v153, v151
	v_cndmask_b32_e64 v151, 0, v152, s6
	v_mul_f32_e32 v129, 0x3fb8aa3b, v129
	v_dual_mul_f32 v143, 0x3fb8aa3b, v143 :: v_dual_mul_f32 v134, 0x3fb8aa3b, v134
	v_fma_f32 v131, s35, v131, -v139
	v_exp_f32_e32 v130, v130
	s_delay_alu instid0(VALU_DEP_3) | instskip(NEXT) | instid1(VALU_DEP_2)
	v_exp_f32_e32 v129, v129
	v_exp_f32_e32 v155, v143
	v_cndmask_b32_e32 v140, 0, v137, vcc_lo
	v_fma_f32 v137, s35, v188, -v139
	v_cndmask_b32_e64 v143, 0, v153, s8
	v_mul_f32_e32 v131, 0x3fb8aa3b, v131
	v_fma_f32 v133, s35, v133, -v139
	s_delay_alu instid0(VALU_DEP_4) | instskip(SKIP_2) | instid1(TRANS32_DEP_1)
	v_dual_add_f32 v138, 0, v140 :: v_dual_mul_f32 v137, 0x3fb8aa3b, v137
	v_fma_f32 v136, s35, v136, -v139
	s_mov_b32 s3, exec_lo
	v_cndmask_b32_e64 v153, 0, v155, s9
	s_delay_alu instid0(VALU_DEP_3) | instskip(SKIP_1) | instid1(VALU_DEP_1)
	v_add_f32_e32 v138, v138, v141
	v_exp_f32_e32 v137, v137
	v_dual_mul_f32 v133, 0x3fb8aa3b, v133 :: v_dual_add_f32 v138, v138, v142
	s_delay_alu instid0(VALU_DEP_1)
	v_add_f32_e32 v138, v138, v144
	s_waitcnt_depctr 0xfff
	v_cndmask_b32_e64 v152, 0, v137, s7
	v_add_f32_e32 v137, v138, v151
	v_exp_f32_e32 v138, v131
	v_cndmask_b32_e64 v131, 0, v129, s10
	s_delay_alu instid0(VALU_DEP_2) | instskip(NEXT) | instid1(VALU_DEP_1)
	v_add_f32_e32 v137, v137, v152
	v_add_f32_e32 v137, v137, v143
	s_delay_alu instid0(VALU_DEP_1)
	v_add_f32_e32 v129, v137, v153
	v_exp_f32_e32 v137, v132
	v_cndmask_b32_e64 v132, 0, v130, s11
	v_fma_f32 v130, s35, v135, -v139
	v_exp_f32_e32 v135, v133
	v_add_f32_e32 v129, v129, v131
	v_cndmask_b32_e64 v133, 0, v138, s12
	v_exp_f32_e32 v138, v134
	s_delay_alu instid0(VALU_DEP_2) | instskip(NEXT) | instid1(TRANS32_DEP_3)
	v_dual_mul_f32 v130, 0x3fb8aa3b, v130 :: v_dual_add_f32 v129, v129, v132
	v_cndmask_b32_e64 v134, 0, v137, s13
	v_mul_f32_e32 v137, 0x3fb8aa3b, v136
	s_delay_alu instid0(VALU_DEP_3) | instskip(NEXT) | instid1(TRANS32_DEP_3)
	v_exp_f32_e32 v130, v130
	v_cndmask_b32_e64 v135, 0, v135, s15
	v_add_f32_e32 v129, v129, v133
	s_delay_alu instid0(TRANS32_DEP_2) | instskip(SKIP_1) | instid1(VALU_DEP_2)
	v_cndmask_b32_e64 v136, 0, v138, s16
	v_exp_f32_e32 v138, v137
	v_add_f32_e32 v129, v129, v134
	s_waitcnt_depctr 0xfff
	v_cndmask_b32_e64 v137, 0, v130, s17
	v_add_f32_e32 v129, v129, v135
	v_cndmask_b32_e64 v138, 0, v138, s18
	s_delay_alu instid0(VALU_DEP_2) | instskip(NEXT) | instid1(VALU_DEP_1)
	v_add_f32_e32 v129, v129, v136
	v_add_f32_e32 v129, v129, v137
	s_delay_alu instid0(VALU_DEP_1)
	v_add_f32_e32 v129, v129, v138
	ds_bpermute_b32 v130, v154, v129
	v_cmpx_gt_u32_e32 16, v150
	s_cbranch_execz .LBB441_12
; %bb.11:
	v_mul_u32_u24_e32 v150, 0x44, v148
	s_waitcnt lgkmcnt(0)
	v_add_f32_e32 v129, v129, v130
	s_delay_alu instid0(VALU_DEP_2) | instskip(NEXT) | instid1(VALU_DEP_1)
	v_lshl_add_u32 v150, v149, 2, v150
	v_add_nc_u32_e32 v130, 0x4000, v150
	ds_store_2addr_b32 v130, v139, v129 offset1:136
.LBB441_12:
	s_or_b32 exec_lo, exec_lo, s3
	v_lshlrev_b32_e32 v129, 2, v149
	s_waitcnt lgkmcnt(0)
	s_barrier
	buffer_gl0_inv
	v_cmp_eq_u32_e64 s3, 1, v148
	v_add_nc_u32_e32 v139, 0x4000, v129
	ds_load_2addr_b32 v[154:155], v139 offset1:17
	ds_load_2addr_b32 v[156:157], v139 offset0:34 offset1:51
	ds_load_2addr_b32 v[158:159], v139 offset0:68 offset1:85
	;; [unrolled: 1-line block ×4, first 2 shown]
	s_waitcnt lgkmcnt(4)
	v_max3_f32 v129, v154, 0xff7fffff, v155
	s_waitcnt lgkmcnt(3)
	s_delay_alu instid0(VALU_DEP_1) | instskip(SKIP_1) | instid1(VALU_DEP_1)
	v_max3_f32 v129, v129, v156, v157
	s_waitcnt lgkmcnt(2)
	v_max3_f32 v129, v129, v158, v159
	s_waitcnt lgkmcnt(1)
	s_delay_alu instid0(VALU_DEP_1) | instskip(NEXT) | instid1(VALU_DEP_1)
	v_max3_f32 v129, v129, v160, v161
	v_sub_f32_e32 v156, v156, v129
	v_sub_f32_e32 v130, v154, v129
	;; [unrolled: 1-line block ×3, first 2 shown]
	s_delay_alu instid0(VALU_DEP_3) | instskip(NEXT) | instid1(VALU_DEP_3)
	v_dual_sub_f32 v150, v155, v129 :: v_dual_mul_f32 v165, 0x3fb8aa3b, v156
	v_mul_f32_e32 v130, 0x3fb8aa3b, v130
	s_delay_alu instid0(VALU_DEP_3) | instskip(NEXT) | instid1(VALU_DEP_3)
	v_mul_f32_e32 v167, 0x3fb8aa3b, v158
	v_mul_f32_e32 v150, 0x3fb8aa3b, v150
	s_delay_alu instid0(VALU_DEP_4) | instskip(NEXT) | instid1(VALU_DEP_3)
	v_exp_f32_e32 v165, v165
	v_exp_f32_e32 v164, v130
	v_sub_f32_e32 v130, v157, v129
	s_delay_alu instid0(VALU_DEP_2) | instskip(NEXT) | instid1(VALU_DEP_1)
	v_exp_f32_e32 v150, v150
	v_mul_f32_e32 v166, 0x3fb8aa3b, v130
	s_waitcnt lgkmcnt(0)
	s_waitcnt_depctr 0xfff
	v_fma_f32 v130, v164, v162, 0
	v_sub_f32_e32 v162, v159, v129
	v_exp_f32_e32 v166, v166
	s_delay_alu instid0(VALU_DEP_2)
	v_fmac_f32_e32 v130, v150, v163
	ds_load_2addr_b32 v[154:155], v139 offset0:170 offset1:187
	ds_load_2addr_b32 v[156:157], v139 offset0:204 offset1:221
	;; [unrolled: 1-line block ×3, first 2 shown]
	v_dual_sub_f32 v139, v160, v129 :: v_dual_mul_f32 v160, 0x3fb8aa3b, v162
	v_exp_f32_e32 v162, v167
	v_cndmask_b32_e64 v150, v164, v150, s3
	v_cmp_eq_u32_e64 s3, 2, v148
	s_delay_alu instid0(VALU_DEP_3)
	v_mul_f32_e32 v139, 0x3fb8aa3b, v139
	v_exp_f32_e32 v160, v160
	s_waitcnt lgkmcnt(0)
	s_barrier
	v_cndmask_b32_e64 v150, v150, v165, s3
	v_exp_f32_e32 v139, v139
	v_cmp_eq_u32_e64 s3, 3, v148
	buffer_gl0_inv
	v_cndmask_b32_e64 v150, v150, v166, s3
	v_fmac_f32_e32 v130, v165, v154
	v_sub_f32_e32 v154, v161, v129
	v_cmp_eq_u32_e64 s3, 4, v148
	s_delay_alu instid0(VALU_DEP_2) | instskip(NEXT) | instid1(VALU_DEP_2)
	v_mul_f32_e32 v154, 0x3fb8aa3b, v154
	v_cndmask_b32_e64 v150, v150, v162, s3
	v_cmp_eq_u32_e64 s3, 5, v148
	s_delay_alu instid0(VALU_DEP_3) | instskip(SKIP_1) | instid1(VALU_DEP_2)
	v_exp_f32_e32 v154, v154
	v_fmac_f32_e32 v130, v166, v155
	v_cndmask_b32_e64 v150, v150, v160, s3
	s_mov_b32 s3, exec_lo
	s_delay_alu instid0(VALU_DEP_2) | instskip(NEXT) | instid1(VALU_DEP_1)
	v_fmac_f32_e32 v130, v162, v156
	v_fmac_f32_e32 v130, v160, v157
	s_delay_alu instid0(VALU_DEP_1) | instskip(SKIP_2) | instid1(VALU_DEP_1)
	v_fmac_f32_e32 v130, v139, v158
	s_waitcnt_depctr 0xfff
	v_fmac_f32_e32 v130, v154, v159
	v_add_f32_e32 v155, 0x358637bd, v130
	s_delay_alu instid0(VALU_DEP_1) | instskip(SKIP_1) | instid1(VALU_DEP_2)
	v_div_scale_f32 v156, null, v155, v155, 1.0
	v_div_scale_f32 v159, vcc_lo, 1.0, v155, 1.0
	v_rcp_f32_e32 v157, v156
	s_waitcnt_depctr 0xfff
	v_fma_f32 v158, -v156, v157, 1.0
	s_delay_alu instid0(VALU_DEP_1) | instskip(NEXT) | instid1(VALU_DEP_1)
	v_fmac_f32_e32 v157, v158, v157
	v_mul_f32_e32 v158, v159, v157
	s_delay_alu instid0(VALU_DEP_1) | instskip(NEXT) | instid1(VALU_DEP_1)
	v_fma_f32 v161, -v156, v158, v159
	v_fmac_f32_e32 v158, v161, v157
	s_delay_alu instid0(VALU_DEP_1) | instskip(NEXT) | instid1(VALU_DEP_1)
	v_fma_f32 v156, -v156, v158, v159
	v_div_fmas_f32 v156, v156, v157, v158
	v_cmp_eq_u32_e32 vcc_lo, 6, v148
	v_cndmask_b32_e32 v139, v150, v139, vcc_lo
	v_cmp_eq_u32_e32 vcc_lo, 7, v148
	s_delay_alu instid0(VALU_DEP_4) | instskip(NEXT) | instid1(VALU_DEP_3)
	v_div_fixup_f32 v150, v156, v155, 1.0
	v_cndmask_b32_e32 v139, v139, v154, vcc_lo
	s_delay_alu instid0(VALU_DEP_1) | instskip(NEXT) | instid1(VALU_DEP_1)
	v_mul_f32_e32 v139, v139, v150
	v_mul_f32_e32 v154, v139, v140
	;; [unrolled: 1-line block ×7, first 2 shown]
	v_and_b32_e32 v155, 0x7f800000, v154
	v_mul_f32_e32 v153, v139, v144
	v_mul_f32_e32 v144, v139, v141
                                        ; implicit-def: $vgpr141
	s_delay_alu instid0(VALU_DEP_3)
	v_cmpx_ne_u32_e32 0x7f800000, v155
	s_xor_b32 s3, exec_lo, s3
; %bb.13:
	v_bfe_u32 v141, v154, 16, 1
	s_delay_alu instid0(VALU_DEP_1)
	v_add3_u32 v141, v154, v141, 0x7fff
                                        ; implicit-def: $vgpr154
; %bb.14:
	s_and_not1_saveexec_b32 s3, s3
; %bb.15:
	v_and_b32_e32 v141, 0xffff, v154
	v_or_b32_e32 v142, 0x10000, v154
	s_delay_alu instid0(VALU_DEP_2) | instskip(NEXT) | instid1(VALU_DEP_2)
	v_cmp_eq_u32_e32 vcc_lo, 0, v141
	v_cndmask_b32_e32 v141, v142, v154, vcc_lo
; %bb.16:
	s_or_b32 exec_lo, exec_lo, s3
	v_and_b32_e32 v142, 0x7f800000, v144
	s_delay_alu instid0(VALU_DEP_1) | instskip(SKIP_1) | instid1(SALU_CYCLE_1)
	v_cmp_ne_u32_e32 vcc_lo, 0x7f800000, v142
                                        ; implicit-def: $vgpr142
	s_and_saveexec_b32 s3, vcc_lo
	s_xor_b32 s3, exec_lo, s3
; %bb.17:
	v_bfe_u32 v142, v144, 16, 1
	s_delay_alu instid0(VALU_DEP_1)
	v_add3_u32 v142, v144, v142, 0x7fff
                                        ; implicit-def: $vgpr144
; %bb.18:
	s_and_not1_saveexec_b32 s3, s3
; %bb.19:
	v_and_b32_e32 v142, 0xffff, v144
	v_or_b32_e32 v154, 0x10000, v144
	s_delay_alu instid0(VALU_DEP_2) | instskip(NEXT) | instid1(VALU_DEP_2)
	v_cmp_eq_u32_e32 vcc_lo, 0, v142
	v_cndmask_b32_e32 v142, v154, v144, vcc_lo
; %bb.20:
	s_or_b32 exec_lo, exec_lo, s3
	v_and_b32_e32 v144, 0x7f800000, v151
	s_delay_alu instid0(VALU_DEP_1) | instskip(SKIP_1) | instid1(SALU_CYCLE_1)
	v_cmp_ne_u32_e32 vcc_lo, 0x7f800000, v144
                                        ; implicit-def: $vgpr144
	s_and_saveexec_b32 s3, vcc_lo
	s_xor_b32 s3, exec_lo, s3
; %bb.21:
	v_bfe_u32 v144, v151, 16, 1
	s_delay_alu instid0(VALU_DEP_1)
	v_add3_u32 v144, v151, v144, 0x7fff
                                        ; implicit-def: $vgpr151
; %bb.22:
	s_and_not1_saveexec_b32 s3, s3
; %bb.23:
	v_and_b32_e32 v144, 0xffff, v151
	v_or_b32_e32 v154, 0x10000, v151
	s_delay_alu instid0(VALU_DEP_2) | instskip(NEXT) | instid1(VALU_DEP_2)
	v_cmp_eq_u32_e32 vcc_lo, 0, v144
	v_cndmask_b32_e32 v144, v154, v151, vcc_lo
; %bb.24:
	s_or_b32 exec_lo, exec_lo, s3
	v_and_b32_e32 v151, 0x7f800000, v153
	s_delay_alu instid0(VALU_DEP_1) | instskip(SKIP_1) | instid1(SALU_CYCLE_1)
	v_cmp_ne_u32_e32 vcc_lo, 0x7f800000, v151
                                        ; implicit-def: $vgpr151
	s_and_saveexec_b32 s3, vcc_lo
	s_xor_b32 s3, exec_lo, s3
; %bb.25:
	v_bfe_u32 v151, v153, 16, 1
	s_delay_alu instid0(VALU_DEP_1)
	v_add3_u32 v151, v153, v151, 0x7fff
                                        ; implicit-def: $vgpr153
; %bb.26:
	s_and_not1_saveexec_b32 s3, s3
; %bb.27:
	v_and_b32_e32 v151, 0xffff, v153
	v_or_b32_e32 v154, 0x10000, v153
	s_delay_alu instid0(VALU_DEP_2) | instskip(NEXT) | instid1(VALU_DEP_2)
	v_cmp_eq_u32_e32 vcc_lo, 0, v151
	v_cndmask_b32_e32 v151, v154, v153, vcc_lo
; %bb.28:
	s_or_b32 exec_lo, exec_lo, s3
	v_and_b32_e32 v153, 0x7f800000, v152
	s_delay_alu instid0(VALU_DEP_1) | instskip(SKIP_1) | instid1(SALU_CYCLE_1)
	v_cmp_ne_u32_e32 vcc_lo, 0x7f800000, v153
                                        ; implicit-def: $vgpr153
	s_and_saveexec_b32 s3, vcc_lo
	s_xor_b32 s3, exec_lo, s3
; %bb.29:
	v_bfe_u32 v153, v152, 16, 1
	s_delay_alu instid0(VALU_DEP_1)
	v_add3_u32 v153, v152, v153, 0x7fff
                                        ; implicit-def: $vgpr152
; %bb.30:
	s_and_not1_saveexec_b32 s3, s3
; %bb.31:
	v_and_b32_e32 v153, 0xffff, v152
	v_or_b32_e32 v154, 0x10000, v152
	s_delay_alu instid0(VALU_DEP_2) | instskip(NEXT) | instid1(VALU_DEP_2)
	v_cmp_eq_u32_e32 vcc_lo, 0, v153
	v_cndmask_b32_e32 v153, v154, v152, vcc_lo
; %bb.32:
	s_or_b32 exec_lo, exec_lo, s3
	v_and_b32_e32 v152, 0x7f800000, v150
	s_delay_alu instid0(VALU_DEP_1) | instskip(SKIP_1) | instid1(SALU_CYCLE_1)
	v_cmp_ne_u32_e32 vcc_lo, 0x7f800000, v152
                                        ; implicit-def: $vgpr152
	s_and_saveexec_b32 s3, vcc_lo
	s_xor_b32 s3, exec_lo, s3
; %bb.33:
	v_bfe_u32 v152, v150, 16, 1
	s_delay_alu instid0(VALU_DEP_1)
	v_add3_u32 v152, v150, v152, 0x7fff
                                        ; implicit-def: $vgpr150
; %bb.34:
	s_and_not1_saveexec_b32 s3, s3
; %bb.35:
	v_and_b32_e32 v152, 0xffff, v150
	v_or_b32_e32 v154, 0x10000, v150
	s_delay_alu instid0(VALU_DEP_2) | instskip(NEXT) | instid1(VALU_DEP_2)
	v_cmp_eq_u32_e32 vcc_lo, 0, v152
	v_cndmask_b32_e32 v152, v154, v150, vcc_lo
; %bb.36:
	s_or_b32 exec_lo, exec_lo, s3
	v_and_b32_e32 v150, 0x7f800000, v143
	s_delay_alu instid0(VALU_DEP_1) | instskip(SKIP_1) | instid1(SALU_CYCLE_1)
	v_cmp_ne_u32_e32 vcc_lo, 0x7f800000, v150
                                        ; implicit-def: $vgpr150
	s_and_saveexec_b32 s3, vcc_lo
	s_xor_b32 s3, exec_lo, s3
; %bb.37:
	v_bfe_u32 v150, v143, 16, 1
	s_delay_alu instid0(VALU_DEP_1)
	v_add3_u32 v150, v143, v150, 0x7fff
                                        ; implicit-def: $vgpr143
; %bb.38:
	s_and_not1_saveexec_b32 s3, s3
; %bb.39:
	v_and_b32_e32 v150, 0xffff, v143
	v_or_b32_e32 v154, 0x10000, v143
	s_delay_alu instid0(VALU_DEP_2) | instskip(NEXT) | instid1(VALU_DEP_2)
	v_cmp_eq_u32_e32 vcc_lo, 0, v150
	v_cndmask_b32_e32 v150, v154, v143, vcc_lo
; %bb.40:
	s_or_b32 exec_lo, exec_lo, s3
	v_and_b32_e32 v143, 0x7f800000, v140
	s_delay_alu instid0(VALU_DEP_1) | instskip(SKIP_1) | instid1(SALU_CYCLE_1)
	v_cmp_ne_u32_e32 vcc_lo, 0x7f800000, v143
                                        ; implicit-def: $vgpr143
	s_and_saveexec_b32 s3, vcc_lo
	s_xor_b32 s3, exec_lo, s3
; %bb.41:
	v_bfe_u32 v143, v140, 16, 1
	s_delay_alu instid0(VALU_DEP_1)
	v_add3_u32 v143, v140, v143, 0x7fff
                                        ; implicit-def: $vgpr140
; %bb.42:
	s_and_not1_saveexec_b32 s3, s3
; %bb.43:
	v_and_b32_e32 v143, 0xffff, v140
	v_or_b32_e32 v154, 0x10000, v140
	s_delay_alu instid0(VALU_DEP_2) | instskip(NEXT) | instid1(VALU_DEP_2)
	v_cmp_eq_u32_e32 vcc_lo, 0, v143
	v_cndmask_b32_e32 v143, v154, v140, vcc_lo
; %bb.44:
	s_or_b32 exec_lo, exec_lo, s3
	s_load_b64 s[34:35], s[0:1], 0x94
	v_dual_mul_f32 v138, v139, v138 :: v_dual_lshlrev_b32 v155, 4, v147
	s_delay_alu instid0(VALU_DEP_2)
	v_perm_b32 v154, v143, v150, 0x7060302
	v_dual_mul_f32 v143, v139, v131 :: v_dual_lshlrev_b32 v140, 6, v149
	v_lshlrev_b32_e32 v149, 11, v148
	v_perm_b32 v153, v152, v153, 0x7060302
	v_perm_b32 v152, v151, v144, 0x7060302
	;; [unrolled: 1-line block ×3, first 2 shown]
	v_mul_f32_e32 v142, v139, v133
	v_or3_b32 v131, v155, v149, v140
	v_dual_mul_f32 v137, v139, v137 :: v_dual_and_b32 v144, 0x7f800000, v143
	v_mul_f32_e32 v136, v139, v136
	v_mul_f32_e32 v135, v139, v135
	;; [unrolled: 1-line block ×4, first 2 shown]
	s_mov_b32 s3, exec_lo
	ds_store_b128 v131, v[151:154]
                                        ; implicit-def: $vgpr132
	v_cmpx_ne_u32_e32 0x7f800000, v144
	s_xor_b32 s3, exec_lo, s3
; %bb.45:
	v_bfe_u32 v132, v143, 16, 1
	s_delay_alu instid0(VALU_DEP_1)
	v_add3_u32 v132, v143, v132, 0x7fff
                                        ; implicit-def: $vgpr143
; %bb.46:
	s_and_not1_saveexec_b32 s3, s3
; %bb.47:
	v_and_b32_e32 v132, 0xffff, v143
	v_or_b32_e32 v133, 0x10000, v143
	s_delay_alu instid0(VALU_DEP_2) | instskip(NEXT) | instid1(VALU_DEP_2)
	v_cmp_eq_u32_e32 vcc_lo, 0, v132
	v_cndmask_b32_e32 v132, v133, v143, vcc_lo
; %bb.48:
	s_or_b32 exec_lo, exec_lo, s3
	v_and_b32_e32 v133, 0x7f800000, v134
	s_delay_alu instid0(VALU_DEP_1) | instskip(SKIP_1) | instid1(SALU_CYCLE_1)
	v_cmp_ne_u32_e32 vcc_lo, 0x7f800000, v133
                                        ; implicit-def: $vgpr133
	s_and_saveexec_b32 s3, vcc_lo
	s_xor_b32 s3, exec_lo, s3
; %bb.49:
	v_bfe_u32 v133, v134, 16, 1
	s_delay_alu instid0(VALU_DEP_1)
	v_add3_u32 v133, v134, v133, 0x7fff
                                        ; implicit-def: $vgpr134
; %bb.50:
	s_and_not1_saveexec_b32 s3, s3
; %bb.51:
	v_and_b32_e32 v133, 0xffff, v134
	v_or_b32_e32 v139, 0x10000, v134
	s_delay_alu instid0(VALU_DEP_2) | instskip(NEXT) | instid1(VALU_DEP_2)
	v_cmp_eq_u32_e32 vcc_lo, 0, v133
	v_cndmask_b32_e32 v133, v139, v134, vcc_lo
; %bb.52:
	s_or_b32 exec_lo, exec_lo, s3
	v_and_b32_e32 v134, 0x7f800000, v142
	s_delay_alu instid0(VALU_DEP_1) | instskip(SKIP_1) | instid1(SALU_CYCLE_1)
	v_cmp_ne_u32_e32 vcc_lo, 0x7f800000, v134
                                        ; implicit-def: $vgpr134
	s_and_saveexec_b32 s3, vcc_lo
	s_xor_b32 s3, exec_lo, s3
; %bb.53:
	v_bfe_u32 v134, v142, 16, 1
	s_delay_alu instid0(VALU_DEP_1)
	v_add3_u32 v134, v142, v134, 0x7fff
                                        ; implicit-def: $vgpr142
; %bb.54:
	s_and_not1_saveexec_b32 s3, s3
; %bb.55:
	v_and_b32_e32 v134, 0xffff, v142
	v_or_b32_e32 v139, 0x10000, v142
	s_delay_alu instid0(VALU_DEP_2) | instskip(NEXT) | instid1(VALU_DEP_2)
	v_cmp_eq_u32_e32 vcc_lo, 0, v134
	v_cndmask_b32_e32 v134, v139, v142, vcc_lo
; %bb.56:
	s_or_b32 exec_lo, exec_lo, s3
	v_and_b32_e32 v139, 0x7f800000, v141
	s_delay_alu instid0(VALU_DEP_1) | instskip(SKIP_1) | instid1(SALU_CYCLE_1)
	v_cmp_ne_u32_e32 vcc_lo, 0x7f800000, v139
                                        ; implicit-def: $vgpr139
	s_and_saveexec_b32 s3, vcc_lo
	s_xor_b32 s3, exec_lo, s3
; %bb.57:
	v_bfe_u32 v139, v141, 16, 1
	s_delay_alu instid0(VALU_DEP_1)
	v_add3_u32 v139, v141, v139, 0x7fff
                                        ; implicit-def: $vgpr141
; %bb.58:
	s_and_not1_saveexec_b32 s3, s3
; %bb.59:
	v_and_b32_e32 v139, 0xffff, v141
	v_or_b32_e32 v142, 0x10000, v141
	s_delay_alu instid0(VALU_DEP_2) | instskip(NEXT) | instid1(VALU_DEP_2)
	v_cmp_eq_u32_e32 vcc_lo, 0, v139
	v_cndmask_b32_e32 v139, v142, v141, vcc_lo
; %bb.60:
	s_or_b32 exec_lo, exec_lo, s3
	v_and_b32_e32 v141, 0x7f800000, v135
	s_delay_alu instid0(VALU_DEP_1) | instskip(SKIP_1) | instid1(SALU_CYCLE_1)
	v_cmp_ne_u32_e32 vcc_lo, 0x7f800000, v141
                                        ; implicit-def: $vgpr141
	s_and_saveexec_b32 s3, vcc_lo
	s_xor_b32 s3, exec_lo, s3
; %bb.61:
	v_bfe_u32 v141, v135, 16, 1
	s_delay_alu instid0(VALU_DEP_1)
	v_add3_u32 v141, v135, v141, 0x7fff
                                        ; implicit-def: $vgpr135
; %bb.62:
	s_and_not1_saveexec_b32 s3, s3
; %bb.63:
	v_and_b32_e32 v141, 0xffff, v135
	v_or_b32_e32 v142, 0x10000, v135
	s_delay_alu instid0(VALU_DEP_2) | instskip(NEXT) | instid1(VALU_DEP_2)
	v_cmp_eq_u32_e32 vcc_lo, 0, v141
	v_cndmask_b32_e32 v141, v142, v135, vcc_lo
; %bb.64:
	s_or_b32 exec_lo, exec_lo, s3
	v_and_b32_e32 v135, 0x7f800000, v136
	s_delay_alu instid0(VALU_DEP_1) | instskip(SKIP_1) | instid1(SALU_CYCLE_1)
	v_cmp_ne_u32_e32 vcc_lo, 0x7f800000, v135
                                        ; implicit-def: $vgpr135
	s_and_saveexec_b32 s3, vcc_lo
	s_xor_b32 s3, exec_lo, s3
; %bb.65:
	v_bfe_u32 v135, v136, 16, 1
	s_delay_alu instid0(VALU_DEP_1)
	v_add3_u32 v135, v136, v135, 0x7fff
                                        ; implicit-def: $vgpr136
; %bb.66:
	s_and_not1_saveexec_b32 s3, s3
; %bb.67:
	v_and_b32_e32 v135, 0xffff, v136
	v_or_b32_e32 v142, 0x10000, v136
	s_delay_alu instid0(VALU_DEP_2) | instskip(NEXT) | instid1(VALU_DEP_2)
	v_cmp_eq_u32_e32 vcc_lo, 0, v135
	v_cndmask_b32_e32 v135, v142, v136, vcc_lo
; %bb.68:
	s_or_b32 exec_lo, exec_lo, s3
	v_and_b32_e32 v136, 0x7f800000, v137
	s_delay_alu instid0(VALU_DEP_1) | instskip(SKIP_1) | instid1(SALU_CYCLE_1)
	v_cmp_ne_u32_e32 vcc_lo, 0x7f800000, v136
                                        ; implicit-def: $vgpr136
	s_and_saveexec_b32 s3, vcc_lo
	s_xor_b32 s3, exec_lo, s3
; %bb.69:
	v_bfe_u32 v136, v137, 16, 1
	s_delay_alu instid0(VALU_DEP_1)
	v_add3_u32 v136, v137, v136, 0x7fff
                                        ; implicit-def: $vgpr137
; %bb.70:
	s_and_not1_saveexec_b32 s3, s3
; %bb.71:
	v_and_b32_e32 v136, 0xffff, v137
	v_or_b32_e32 v142, 0x10000, v137
	s_delay_alu instid0(VALU_DEP_2) | instskip(NEXT) | instid1(VALU_DEP_2)
	v_cmp_eq_u32_e32 vcc_lo, 0, v136
	v_cndmask_b32_e32 v136, v142, v137, vcc_lo
; %bb.72:
	s_or_b32 exec_lo, exec_lo, s3
	v_and_b32_e32 v137, 0x7f800000, v138
	s_delay_alu instid0(VALU_DEP_1) | instskip(SKIP_1) | instid1(SALU_CYCLE_1)
	v_cmp_ne_u32_e32 vcc_lo, 0x7f800000, v137
                                        ; implicit-def: $vgpr137
	s_and_saveexec_b32 s3, vcc_lo
	s_xor_b32 s3, exec_lo, s3
; %bb.73:
	v_bfe_u32 v137, v138, 16, 1
	s_delay_alu instid0(VALU_DEP_1)
	v_add3_u32 v137, v138, v137, 0x7fff
                                        ; implicit-def: $vgpr138
; %bb.74:
	s_and_not1_saveexec_b32 s3, s3
; %bb.75:
	v_and_b32_e32 v137, 0xffff, v138
	v_or_b32_e32 v142, 0x10000, v138
	s_delay_alu instid0(VALU_DEP_2) | instskip(NEXT) | instid1(VALU_DEP_2)
	v_cmp_eq_u32_e32 vcc_lo, 0, v137
	v_cndmask_b32_e32 v137, v142, v138, vcc_lo
; %bb.76:
	s_or_b32 exec_lo, exec_lo, s3
	s_delay_alu instid0(VALU_DEP_1)
	v_perm_b32 v136, v137, v136, 0x7060302
	v_perm_b32 v135, v135, v141, 0x7060302
	;; [unrolled: 1-line block ×4, first 2 shown]
	v_lshl_or_b32 v141, v148, 11, v140
	ds_store_b128 v131, v[133:136] offset:1024
	s_waitcnt lgkmcnt(0)
	s_barrier
	buffer_gl0_inv
	ds_load_b128 v[132:135], v141
	ds_load_b128 v[148:151], v141 offset:16
	s_waitcnt lgkmcnt(1)
	v_lshrrev_b32_e32 v160, 16, v134
	v_lshlrev_b32_e32 v138, 2, v147
	v_lshrrev_b32_e32 v136, 16, v132
	v_lshrrev_b32_e32 v144, 16, v133
	s_waitcnt lgkmcnt(0)
	v_lshrrev_b32_e32 v143, 16, v148
	v_lshrrev_b32_e32 v161, 16, v149
	v_or_b32_e32 v139, 1, v138
	v_lshrrev_b32_e32 v163, 16, v150
	v_lshrrev_b32_e32 v164, 16, v151
	;; [unrolled: 1-line block ×3, first 2 shown]
	s_delay_alu instid0(VALU_DEP_4)
	v_cmp_eq_u32_e64 s7, 1, v139
	v_cmp_eq_u32_e64 s6, 2, v139
	;; [unrolled: 1-line block ×4, first 2 shown]
	v_cmp_eq_u32_e32 vcc_lo, 5, v139
	v_cndmask_b32_e64 v153, v132, v136, s7
	v_cndmask_b32_e64 v154, v148, v143, s7
	v_cmp_eq_u32_e64 s4, 6, v139
	v_cmp_eq_u32_e64 s19, 7, v139
	s_delay_alu instid0(VALU_DEP_4) | instskip(NEXT) | instid1(VALU_DEP_4)
	v_cndmask_b32_e64 v153, v153, v133, s6
	v_cndmask_b32_e64 v154, v154, v149, s6
	s_delay_alu instid0(VALU_DEP_2) | instskip(NEXT) | instid1(VALU_DEP_2)
	v_cndmask_b32_e64 v153, v153, v144, s5
	v_cndmask_b32_e64 v154, v154, v161, s5
	s_delay_alu instid0(VALU_DEP_2) | instskip(NEXT) | instid1(VALU_DEP_2)
	v_cndmask_b32_e64 v153, v153, v134, s3
	v_cndmask_b32_e64 v154, v154, v150, s3
	s_delay_alu instid0(VALU_DEP_2)
	v_cndmask_b32_e32 v153, v153, v160, vcc_lo
	v_cmp_eq_u32_e64 s12, 1, v138
	v_cmp_eq_u32_e64 s11, 2, v138
	;; [unrolled: 1-line block ×3, first 2 shown]
	v_or_b32_e32 v137, 2, v138
	v_cmp_eq_u32_e64 s17, 4, v138
	v_cndmask_b32_e64 v152, v148, v143, s12
	v_cndmask_b32_e64 v142, v132, v136, s12
	v_cmp_eq_u32_e64 s13, 5, v138
	v_cmp_eq_u32_e64 s8, 1, v137
	;; [unrolled: 1-line block ×3, first 2 shown]
	v_cndmask_b32_e64 v152, v152, v149, s11
	v_cndmask_b32_e64 v142, v142, v133, s11
	v_cmp_eq_u32_e64 s10, 2, v137
	v_cndmask_b32_e64 v155, v132, v136, s8
	v_cmp_eq_u32_e64 s9, 7, v138
	v_cndmask_b32_e64 v152, v152, v161, s16
	v_cndmask_b32_e64 v142, v142, v144, s16
	v_cmp_eq_u32_e64 s18, 3, v137
	v_cndmask_b32_e64 v155, v155, v133, s10
	v_cndmask_b32_e64 v153, v153, v135, s4
	;; [unrolled: 1-line block ×4, first 2 shown]
	v_cmp_eq_u32_e64 s20, 4, v137
	v_cndmask_b32_e64 v155, v155, v144, s18
	v_cndmask_b32_e64 v167, v153, v162, s19
	;; [unrolled: 1-line block ×4, first 2 shown]
	v_cndmask_b32_e32 v156, v154, v163, vcc_lo
	v_cndmask_b32_e64 v158, v155, v134, s20
	v_cmp_eq_u32_e64 s22, 5, v137
	v_cndmask_b32_e64 v152, v152, v151, s15
	v_cndmask_b32_e64 v142, v142, v135, s15
	v_cmp_eq_u32_e64 s25, 6, v137
	v_cmp_eq_u32_e64 s27, 7, v137
	v_cndmask_b32_e64 v168, v158, v160, s22
	v_cndmask_b32_e64 v166, v152, v164, s9
	;; [unrolled: 1-line block ×4, first 2 shown]
	v_or_b32_e32 v142, 3, v138
	s_delay_alu instid0(VALU_DEP_3)
	v_cndmask_b32_e64 v157, v152, v149, s10
	ds_load_b128 v[152:155], v141 offset:1024
	v_cmp_eq_u32_e64 s21, 1, v142
	v_cmp_eq_u32_e64 s23, 2, v142
	;; [unrolled: 1-line block ×3, first 2 shown]
	v_cndmask_b32_e64 v157, v157, v161, s18
	v_cmp_eq_u32_e64 s26, 4, v142
	v_cndmask_b32_e64 v132, v132, v136, s21
	v_cndmask_b32_e64 v136, v156, v151, s4
	;; [unrolled: 1-line block ×4, first 2 shown]
	ds_load_b128 v[156:159], v141 offset:1040
	v_cndmask_b32_e64 v132, v132, v133, s23
	v_cmp_eq_u32_e64 s28, 5, v142
	v_cndmask_b32_e64 v143, v143, v149, s23
	v_cmp_eq_u32_e64 s29, 6, v142
	v_cndmask_b32_e64 v133, v169, v163, s22
	v_cndmask_b32_e64 v132, v132, v144, s24
	;; [unrolled: 1-line block ×5, first 2 shown]
	s_waitcnt lgkmcnt(1)
	v_lshrrev_b32_e32 v148, 16, v152
	v_cndmask_b32_e64 v132, v132, v134, s26
	v_cndmask_b32_e64 v133, v133, v151, s25
	;; [unrolled: 1-line block ×3, first 2 shown]
	v_lshrrev_b32_e32 v150, 16, v153
	v_cndmask_b32_e64 v143, v152, v148, s12
	v_cndmask_b32_e64 v132, v132, v160, s28
	;; [unrolled: 1-line block ×5, first 2 shown]
	s_waitcnt lgkmcnt(0)
	v_lshrrev_b32_e32 v149, 16, v156
	v_cndmask_b32_e64 v143, v143, v153, s11
	v_cndmask_b32_e64 v132, v132, v135, s29
	;; [unrolled: 1-line block ×3, first 2 shown]
	v_lshrrev_b32_e32 v163, 16, v158
	v_cndmask_b32_e64 v161, v156, v149, s12
	v_cndmask_b32_e64 v135, v143, v150, s16
	v_cndmask_b32_e64 v143, v160, v153, s6
	v_lshrrev_b32_e32 v160, 16, v157
	v_cndmask_b32_e64 v133, v133, v164, s27
	v_cndmask_b32_e64 v151, v161, v157, s11
	v_cmp_eq_u32_e64 s11, 7, v142
	v_cndmask_b32_e64 v143, v143, v150, s5
	v_cndmask_b32_e64 v135, v135, v154, s17
	v_lshrrev_b32_e32 v161, 16, v154
	v_cndmask_b32_e64 v151, v151, v160, s16
	v_cndmask_b32_e64 v132, v132, v162, s11
	;; [unrolled: 1-line block ×6, first 2 shown]
	s_delay_alu instid0(VALU_DEP_4) | instskip(NEXT) | instid1(VALU_DEP_4)
	v_perm_b32 v135, v134, v132, 0x5040100
	v_cndmask_b32_e32 v132, v143, v161, vcc_lo
	s_delay_alu instid0(VALU_DEP_4)
	v_cndmask_b32_e64 v143, v162, v155, s15
	v_lshrrev_b32_e32 v162, 16, v155
	v_cndmask_b32_e64 v151, v151, v163, s13
	v_perm_b32 v134, v133, v144, 0x5040100
	v_cndmask_b32_e64 v132, v132, v155, s4
	v_perm_b32 v133, v136, v167, 0x5040100
	v_cndmask_b32_e64 v136, v143, v162, s9
	v_cndmask_b32_e64 v143, v151, v159, s15
	;; [unrolled: 1-line block ×13, first 2 shown]
	v_lshrrev_b32_e32 v144, 16, v159
	v_cndmask_b32_e64 v132, v132, v150, s18
	v_cndmask_b32_e64 v148, v148, v150, s24
	;; [unrolled: 1-line block ×14, first 2 shown]
	v_cndmask_b32_e32 v149, v149, v163, vcc_lo
	v_cndmask_b32_e64 v132, v132, v155, s25
	v_cndmask_b32_e64 v148, v148, v155, s29
	;; [unrolled: 1-line block ×11, first 2 shown]
	v_perm_b32 v132, v166, v165, 0x5040100
	v_perm_b32 v151, v150, v148, 0x5040100
	;; [unrolled: 1-line block ×5, first 2 shown]
	s_lshl_b32 s8, s35, 2
	s_mov_b32 s3, exec_lo
	ds_store_b128 v131, v[132:135]
	ds_store_b128 v131, v[148:151] offset:1024
	v_cmpx_gt_u32_e32 4, v0
	s_cbranch_execz .LBB441_78
; %bb.77:
	v_or_b32_e32 v131, s31, v0
	s_load_b128 s[4:7], s[0:1], 0x58
	s_delay_alu instid0(VALU_DEP_1) | instskip(NEXT) | instid1(VALU_DEP_1)
	v_mad_u64_u32 v[132:133], null, s8, s30, v[131:132]
	v_mad_u64_u32 v[133:134], null, v132, s34, s[14:15]
	s_delay_alu instid0(VALU_DEP_1) | instskip(NEXT) | instid1(VALU_DEP_1)
	v_ashrrev_i32_e32 v134, 31, v133
	v_lshlrev_b64 v[131:132], 2, v[133:134]
	s_waitcnt lgkmcnt(0)
	s_delay_alu instid0(VALU_DEP_1) | instskip(NEXT) | instid1(VALU_DEP_2)
	v_add_co_u32 v133, vcc_lo, s6, v131
	v_add_co_ci_u32_e32 v134, vcc_lo, s7, v132, vcc_lo
	v_add_co_u32 v131, vcc_lo, s4, v131
	v_add_co_ci_u32_e32 v132, vcc_lo, s5, v132, vcc_lo
	global_store_b32 v[133:134], v129, off
	global_store_b32 v[131:132], v130, off
.LBB441_78:
	s_or_b32 exec_lo, exec_lo, s3
	s_waitcnt lgkmcnt(0)
	s_waitcnt_vscnt null, 0x0
	s_barrier
	buffer_gl0_inv
	ds_load_b128 v[148:151], v140
	ds_load_b128 v[152:155], v140 offset:16
	ds_load_b128 v[160:163], v140 offset:1040
	;; [unrolled: 1-line block ×3, first 2 shown]
	v_mov_b32_e32 v129, 0
	ds_load_b128 v[168:171], v140 offset:2064
	ds_load_b128 v[164:167], v140 offset:2048
	;; [unrolled: 1-line block ×6, first 2 shown]
	v_mov_b32_e32 v130, v129
	v_mov_b32_e32 v131, v129
	;; [unrolled: 1-line block ×7, first 2 shown]
	s_waitcnt lgkmcnt(8)
	s_delay_alu instid0(VALU_DEP_1)
	v_wmma_f32_16x16x16_bf16 v[129:136], v[121:128], v[148:155], v[129:136]
	ds_load_b128 v[125:128], v140 offset:5136
	ds_load_b128 v[121:124], v140 offset:5120
	s_waitcnt lgkmcnt(8)
	v_wmma_f32_16x16x16_bf16 v[129:136], v[113:120], v[156:163], v[129:136]
	ds_load_b128 v[117:120], v140 offset:6160
	ds_load_b128 v[113:116], v140 offset:6144
	s_waitcnt lgkmcnt(8)
	;; [unrolled: 4-line block ×8, first 2 shown]
	v_wmma_f32_16x16x16_bf16 v[129:136], v[65:72], v[97:104], v[129:136]
	s_waitcnt lgkmcnt(6)
	s_delay_alu instid0(VALU_DEP_1)
	v_wmma_f32_16x16x16_bf16 v[129:136], v[49:56], v[89:96], v[129:136]
	ds_load_b128 v[53:56], v140 offset:13328
	ds_load_b128 v[49:52], v140 offset:13312
	s_waitcnt lgkmcnt(6)
	v_wmma_f32_16x16x16_bf16 v[129:136], v[41:48], v[81:88], v[129:136]
	ds_load_b128 v[45:48], v140 offset:14352
	ds_load_b128 v[41:44], v140 offset:14336
	s_waitcnt lgkmcnt(6)
	v_wmma_f32_16x16x16_bf16 v[129:136], v[17:24], v[73:80], v[129:136]
	ds_load_b128 v[21:24], v140 offset:15376
	ds_load_b128 v[17:20], v140 offset:15360
	s_waitcnt lgkmcnt(6)
	v_wmma_f32_16x16x16_bf16 v[129:136], v[1:8], v[57:64], v[129:136]
	s_waitcnt lgkmcnt(4)
	s_delay_alu instid0(VALU_DEP_1) | instskip(SKIP_1) | instid1(VALU_DEP_1)
	v_wmma_f32_16x16x16_bf16 v[129:136], v[25:32], v[49:56], v[129:136]
	s_waitcnt lgkmcnt(2)
	v_wmma_f32_16x16x16_bf16 v[129:136], v[33:40], v[41:48], v[129:136]
	s_waitcnt lgkmcnt(0)
	s_delay_alu instid0(VALU_DEP_1) | instskip(NEXT) | instid1(VALU_DEP_1)
	v_wmma_f32_16x16x16_bf16 v[129:136], v[9:16], v[17:24], v[129:136]
	v_and_b32_e32 v1, 0x7f800000, v129
	s_delay_alu instid0(VALU_DEP_1) | instskip(SKIP_1) | instid1(SALU_CYCLE_1)
	v_cmp_ne_u32_e32 vcc_lo, 0x7f800000, v1
                                        ; implicit-def: $vgpr1
	s_and_saveexec_b32 s3, vcc_lo
	s_xor_b32 s3, exec_lo, s3
; %bb.79:
	v_bfe_u32 v1, v129, 16, 1
	s_delay_alu instid0(VALU_DEP_1)
	v_add3_u32 v1, v129, v1, 0x7fff
; %bb.80:
	s_and_not1_saveexec_b32 s3, s3
; %bb.81:
	v_and_b32_e32 v1, 0xffff, v129
	v_or_b32_e32 v2, 0x10000, v129
	s_delay_alu instid0(VALU_DEP_2) | instskip(NEXT) | instid1(VALU_DEP_2)
	v_cmp_eq_u32_e32 vcc_lo, 0, v1
	v_cndmask_b32_e32 v1, v2, v129, vcc_lo
; %bb.82:
	s_or_b32 exec_lo, exec_lo, s3
	v_and_b32_e32 v2, 0x7f800000, v130
	s_delay_alu instid0(VALU_DEP_1) | instskip(SKIP_1) | instid1(SALU_CYCLE_1)
	v_cmp_ne_u32_e32 vcc_lo, 0x7f800000, v2
                                        ; implicit-def: $vgpr2
	s_and_saveexec_b32 s3, vcc_lo
	s_xor_b32 s3, exec_lo, s3
; %bb.83:
	v_bfe_u32 v2, v130, 16, 1
	s_delay_alu instid0(VALU_DEP_1)
	v_add3_u32 v2, v130, v2, 0x7fff
; %bb.84:
	s_and_not1_saveexec_b32 s3, s3
; %bb.85:
	v_and_b32_e32 v2, 0xffff, v130
	v_or_b32_e32 v3, 0x10000, v130
	s_delay_alu instid0(VALU_DEP_2) | instskip(NEXT) | instid1(VALU_DEP_2)
	v_cmp_eq_u32_e32 vcc_lo, 0, v2
	v_cndmask_b32_e32 v2, v3, v130, vcc_lo
; %bb.86:
	s_or_b32 exec_lo, exec_lo, s3
	v_and_b32_e32 v3, 0x7f800000, v131
	s_delay_alu instid0(VALU_DEP_1) | instskip(SKIP_1) | instid1(SALU_CYCLE_1)
	v_cmp_ne_u32_e32 vcc_lo, 0x7f800000, v3
                                        ; implicit-def: $vgpr3
	s_and_saveexec_b32 s3, vcc_lo
	s_xor_b32 s3, exec_lo, s3
; %bb.87:
	v_bfe_u32 v3, v131, 16, 1
	s_delay_alu instid0(VALU_DEP_1)
	v_add3_u32 v3, v131, v3, 0x7fff
; %bb.88:
	s_and_not1_saveexec_b32 s3, s3
; %bb.89:
	v_and_b32_e32 v3, 0xffff, v131
	v_or_b32_e32 v4, 0x10000, v131
	s_delay_alu instid0(VALU_DEP_2) | instskip(NEXT) | instid1(VALU_DEP_2)
	v_cmp_eq_u32_e32 vcc_lo, 0, v3
	v_cndmask_b32_e32 v3, v4, v131, vcc_lo
; %bb.90:
	s_or_b32 exec_lo, exec_lo, s3
	v_and_b32_e32 v4, 0x7f800000, v132
	s_delay_alu instid0(VALU_DEP_1) | instskip(SKIP_1) | instid1(SALU_CYCLE_1)
	v_cmp_ne_u32_e32 vcc_lo, 0x7f800000, v4
                                        ; implicit-def: $vgpr4
	s_and_saveexec_b32 s3, vcc_lo
	s_xor_b32 s3, exec_lo, s3
; %bb.91:
	v_bfe_u32 v4, v132, 16, 1
	s_delay_alu instid0(VALU_DEP_1)
	v_add3_u32 v4, v132, v4, 0x7fff
; %bb.92:
	s_and_not1_saveexec_b32 s3, s3
; %bb.93:
	v_and_b32_e32 v4, 0xffff, v132
	v_or_b32_e32 v5, 0x10000, v132
	s_delay_alu instid0(VALU_DEP_2) | instskip(NEXT) | instid1(VALU_DEP_2)
	v_cmp_eq_u32_e32 vcc_lo, 0, v4
	v_cndmask_b32_e32 v4, v5, v132, vcc_lo
; %bb.94:
	s_or_b32 exec_lo, exec_lo, s3
	v_and_b32_e32 v5, 0x7f800000, v133
	s_delay_alu instid0(VALU_DEP_1) | instskip(SKIP_1) | instid1(SALU_CYCLE_1)
	v_cmp_ne_u32_e32 vcc_lo, 0x7f800000, v5
                                        ; implicit-def: $vgpr5
	s_and_saveexec_b32 s3, vcc_lo
	s_xor_b32 s3, exec_lo, s3
; %bb.95:
	v_bfe_u32 v5, v133, 16, 1
	s_delay_alu instid0(VALU_DEP_1)
	v_add3_u32 v5, v133, v5, 0x7fff
; %bb.96:
	s_and_not1_saveexec_b32 s3, s3
; %bb.97:
	v_and_b32_e32 v5, 0xffff, v133
	v_or_b32_e32 v6, 0x10000, v133
	s_delay_alu instid0(VALU_DEP_2) | instskip(NEXT) | instid1(VALU_DEP_2)
	v_cmp_eq_u32_e32 vcc_lo, 0, v5
	v_cndmask_b32_e32 v5, v6, v133, vcc_lo
; %bb.98:
	s_or_b32 exec_lo, exec_lo, s3
	v_and_b32_e32 v6, 0x7f800000, v134
	s_delay_alu instid0(VALU_DEP_1) | instskip(SKIP_1) | instid1(SALU_CYCLE_1)
	v_cmp_ne_u32_e32 vcc_lo, 0x7f800000, v6
                                        ; implicit-def: $vgpr6
	s_and_saveexec_b32 s3, vcc_lo
	s_xor_b32 s3, exec_lo, s3
; %bb.99:
	v_bfe_u32 v6, v134, 16, 1
	s_delay_alu instid0(VALU_DEP_1)
	v_add3_u32 v6, v134, v6, 0x7fff
; %bb.100:
	s_and_not1_saveexec_b32 s3, s3
; %bb.101:
	v_and_b32_e32 v6, 0xffff, v134
	v_or_b32_e32 v7, 0x10000, v134
	s_delay_alu instid0(VALU_DEP_2) | instskip(NEXT) | instid1(VALU_DEP_2)
	v_cmp_eq_u32_e32 vcc_lo, 0, v6
	v_cndmask_b32_e32 v6, v7, v134, vcc_lo
; %bb.102:
	s_or_b32 exec_lo, exec_lo, s3
	v_and_b32_e32 v7, 0x7f800000, v135
	s_delay_alu instid0(VALU_DEP_1) | instskip(SKIP_1) | instid1(SALU_CYCLE_1)
	v_cmp_ne_u32_e32 vcc_lo, 0x7f800000, v7
                                        ; implicit-def: $vgpr7
	s_and_saveexec_b32 s3, vcc_lo
	s_xor_b32 s3, exec_lo, s3
; %bb.103:
	v_bfe_u32 v7, v135, 16, 1
	s_delay_alu instid0(VALU_DEP_1)
	v_add3_u32 v7, v135, v7, 0x7fff
; %bb.104:
	s_and_not1_saveexec_b32 s3, s3
; %bb.105:
	v_and_b32_e32 v7, 0xffff, v135
	v_or_b32_e32 v8, 0x10000, v135
	s_delay_alu instid0(VALU_DEP_2) | instskip(NEXT) | instid1(VALU_DEP_2)
	v_cmp_eq_u32_e32 vcc_lo, 0, v7
	v_cndmask_b32_e32 v7, v8, v135, vcc_lo
; %bb.106:
	s_or_b32 exec_lo, exec_lo, s3
	v_and_b32_e32 v8, 0x7f800000, v136
	s_delay_alu instid0(VALU_DEP_1) | instskip(SKIP_1) | instid1(SALU_CYCLE_1)
	v_cmp_ne_u32_e32 vcc_lo, 0x7f800000, v8
                                        ; implicit-def: $vgpr8
	s_and_saveexec_b32 s3, vcc_lo
	s_xor_b32 s3, exec_lo, s3
; %bb.107:
	v_bfe_u32 v8, v136, 16, 1
	s_delay_alu instid0(VALU_DEP_1)
	v_add3_u32 v8, v136, v8, 0x7fff
                                        ; implicit-def: $vgpr129_vgpr130_vgpr131_vgpr132_vgpr133_vgpr134_vgpr135_vgpr136
; %bb.108:
	s_and_not1_saveexec_b32 s3, s3
; %bb.109:
	v_and_b32_e32 v8, 0xffff, v136
	v_or_b32_e32 v9, 0x10000, v136
	s_delay_alu instid0(VALU_DEP_2) | instskip(NEXT) | instid1(VALU_DEP_2)
	v_cmp_eq_u32_e32 vcc_lo, 0, v8
	v_cndmask_b32_e32 v8, v9, v136, vcc_lo
; %bb.110:
	s_or_b32 exec_lo, exec_lo, s3
	s_delay_alu instid0(VALU_DEP_1)
	v_perm_b32 v7, v8, v7, 0x7060302
	v_perm_b32 v6, v6, v5, 0x7060302
	;; [unrolled: 1-line block ×4, first 2 shown]
	v_lshl_or_b32 v9, v147, 4, v141
	s_barrier
	buffer_gl0_inv
	v_cmp_eq_u32_e32 vcc_lo, 1, v138
	ds_store_b128 v9, v[4:7]
	s_waitcnt lgkmcnt(0)
	s_barrier
	buffer_gl0_inv
	ds_load_b128 v[1:4], v141
	ds_load_b128 v[5:8], v141 offset:16
	v_cmp_eq_u32_e64 s4, 2, v138
	v_cmp_eq_u32_e64 s3, 1, v139
	;; [unrolled: 1-line block ×5, first 2 shown]
	s_waitcnt lgkmcnt(1)
	v_lshrrev_b32_e32 v10, 16, v1
	s_waitcnt lgkmcnt(0)
	v_lshrrev_b32_e32 v14, 16, v5
	v_lshrrev_b32_e32 v15, 16, v6
	;; [unrolled: 1-line block ×4, first 2 shown]
	v_cndmask_b32_e64 v20, v1, v10, s3
	v_cndmask_b32_e32 v19, v5, v14, vcc_lo
	v_cndmask_b32_e64 v21, v5, v14, s3
	v_lshrrev_b32_e32 v16, 16, v7
	v_cmp_eq_u32_e64 s3, 1, v137
	v_lshrrev_b32_e32 v13, 16, v4
	v_cndmask_b32_e64 v19, v19, v6, s4
	v_lshrrev_b32_e32 v17, 16, v8
	s_delay_alu instid0(VALU_DEP_4) | instskip(SKIP_1) | instid1(VALU_DEP_4)
	v_cndmask_b32_e64 v22, v1, v10, s3
	v_cndmask_b32_e64 v23, v5, v14, s3
	;; [unrolled: 1-line block ×3, first 2 shown]
	v_cndmask_b32_e32 v18, v1, v10, vcc_lo
	v_cmp_eq_u32_e32 vcc_lo, 2, v139
	v_cmp_eq_u32_e64 s3, 2, v142
	v_cndmask_b32_e64 v22, v22, v2, s7
	v_cndmask_b32_e32 v20, v20, v2, vcc_lo
	v_cndmask_b32_e32 v21, v21, v6, vcc_lo
	v_cmp_eq_u32_e32 vcc_lo, 4, v138
	v_cndmask_b32_e32 v19, v19, v7, vcc_lo
	v_cndmask_b32_e64 v18, v18, v2, s4
	v_cmp_eq_u32_e64 s4, 3, v139
	s_delay_alu instid0(VALU_DEP_2) | instskip(NEXT) | instid1(VALU_DEP_2)
	v_cndmask_b32_e64 v18, v18, v11, s5
	v_cndmask_b32_e64 v21, v21, v15, s4
	v_cmp_eq_u32_e64 s5, 5, v138
	s_delay_alu instid0(VALU_DEP_3) | instskip(SKIP_1) | instid1(VALU_DEP_3)
	v_cndmask_b32_e32 v18, v18, v3, vcc_lo
	v_cmp_eq_u32_e32 vcc_lo, 4, v139
	v_cndmask_b32_e64 v19, v19, v16, s5
	s_delay_alu instid0(VALU_DEP_3) | instskip(SKIP_4) | instid1(VALU_DEP_3)
	v_cndmask_b32_e64 v18, v18, v12, s5
	v_cndmask_b32_e32 v21, v21, v7, vcc_lo
	v_cndmask_b32_e64 v20, v20, v11, s4
	v_cmp_eq_u32_e64 s4, 5, v139
	v_cmp_eq_u32_e64 s5, 6, v138
	v_cndmask_b32_e32 v20, v20, v3, vcc_lo
	s_delay_alu instid0(VALU_DEP_3) | instskip(SKIP_1) | instid1(VALU_DEP_4)
	v_cndmask_b32_e64 v21, v21, v16, s4
	v_cmp_eq_u32_e32 vcc_lo, 6, v139
	v_cndmask_b32_e64 v18, v18, v4, s5
	v_cndmask_b32_e64 v19, v19, v8, s5
	;; [unrolled: 1-line block ×3, first 2 shown]
	v_cmp_eq_u32_e64 s4, 1, v142
	v_cmp_eq_u32_e64 s5, 7, v138
	s_delay_alu instid0(VALU_DEP_3) | instskip(NEXT) | instid1(VALU_DEP_3)
	v_cndmask_b32_e32 v20, v20, v4, vcc_lo
	v_cndmask_b32_e64 v1, v1, v10, s4
	v_cndmask_b32_e64 v5, v5, v14, s4
	v_cmp_eq_u32_e64 s4, 3, v137
	v_cndmask_b32_e64 v14, v23, v6, s7
	v_cmp_eq_u32_e64 s7, 3, v142
	v_cndmask_b32_e64 v1, v1, v2, s3
	v_cndmask_b32_e64 v2, v5, v6, s3
	;; [unrolled: 1-line block ×3, first 2 shown]
	v_cmp_eq_u32_e64 s3, 4, v137
	v_cndmask_b32_e64 v6, v14, v15, s4
	v_cndmask_b32_e64 v1, v1, v11, s7
	v_cmp_eq_u32_e64 s4, 4, v142
	v_cndmask_b32_e64 v2, v2, v15, s7
	v_cndmask_b32_e64 v5, v10, v3, s3
	;; [unrolled: 3-line block ×3, first 2 shown]
	v_cndmask_b32_e64 v2, v2, v7, s4
	v_cmp_eq_u32_e64 s3, 5, v142
	v_cndmask_b32_e64 v5, v5, v12, s7
	v_cmp_eq_u32_e64 s4, 6, v137
	v_cndmask_b32_e64 v3, v6, v16, s7
	v_cmp_eq_u32_e64 s7, 6, v142
	v_cndmask_b32_e64 v1, v1, v12, s3
	v_cndmask_b32_e64 v2, v2, v16, s3
	;; [unrolled: 1-line block ×4, first 2 shown]
	v_cmp_eq_u32_e64 s3, 7, v142
	v_cndmask_b32_e64 v1, v1, v4, s7
	v_cndmask_b32_e64 v2, v2, v8, s7
	v_cmp_eq_u32_e64 s4, 7, v137
	v_cndmask_b32_e32 v4, v21, v8, vcc_lo
	v_cndmask_b32_e64 v18, v18, v13, s5
	v_cndmask_b32_e64 v20, v20, v13, s6
	;; [unrolled: 1-line block ×8, first 2 shown]
	v_cmp_gt_u32_e32 vcc_lo, 32, v0
	v_perm_b32 v4, v2, v1, 0x5040100
	v_perm_b32 v3, v3, v5, 0x5040100
	;; [unrolled: 1-line block ×4, first 2 shown]
	s_and_b32 s2, vcc_lo, s2
	ds_store_b128 v9, v[1:4]
	s_waitcnt lgkmcnt(0)
	s_barrier
	buffer_gl0_inv
	s_and_saveexec_b32 s3, s2
	s_cbranch_execz .LBB441_2
; %bb.111:
	s_load_b64 s[0:1], s[0:1], 0x68
	v_lshlrev_b32_e32 v0, 10, v0
	v_or_b32_e32 v1, s31, v147
	s_lshl_b32 s4, s34, 6
	v_lshlrev_b32_e32 v2, 4, v146
	s_mul_i32 s2, s4, s30
	v_lshlrev_b32_e32 v3, 6, v147
	v_mul_lo_u32 v8, v1, s4
	v_and_b32_e32 v0, 0x3800, v0
	v_or_b32_e32 v1, 2, v1
	s_mul_i32 s2, s2, s8
	s_delay_alu instid0(SALU_CYCLE_1) | instskip(NEXT) | instid1(VALU_DEP_2)
	s_ashr_i32 s3, s2, 31
	v_or3_b32 v4, v0, v2, v3
	s_lshl_b64 s[2:3], s[2:3], 1
	v_mul_lo_u32 v10, v1, s4
	v_ashrrev_i32_e32 v9, 31, v8
	ds_load_b128 v[0:3], v4
	ds_load_b128 v[4:7], v4 offset:128
	s_waitcnt lgkmcnt(0)
	s_add_u32 s2, s0, s2
	s_addc_u32 s3, s1, s3
	s_lshl_b32 s0, s14, 6
	v_ashrrev_i32_e32 v11, 31, v10
	s_ashr_i32 s1, s0, 31
	v_lshlrev_b64 v[8:9], 1, v[8:9]
	s_lshl_b64 s[0:1], s[0:1], 1
	s_delay_alu instid0(SALU_CYCLE_1) | instskip(SKIP_2) | instid1(VALU_DEP_1)
	s_add_u32 s0, s2, s0
	s_addc_u32 s1, s3, s1
	v_add_co_u32 v12, s0, s0, v145
	v_add_co_ci_u32_e64 v13, null, s1, 0, s0
	v_lshlrev_b64 v[10:11], 1, v[10:11]
	s_delay_alu instid0(VALU_DEP_3) | instskip(NEXT) | instid1(VALU_DEP_3)
	v_add_co_u32 v8, vcc_lo, v12, v8
	v_add_co_ci_u32_e32 v9, vcc_lo, v13, v9, vcc_lo
	s_delay_alu instid0(VALU_DEP_3) | instskip(NEXT) | instid1(VALU_DEP_4)
	v_add_co_u32 v10, vcc_lo, v12, v10
	v_add_co_ci_u32_e32 v11, vcc_lo, v13, v11, vcc_lo
	s_clause 0x1
	global_store_b128 v[8:9], v[0:3], off
	global_store_b128 v[10:11], v[4:7], off
	s_nop 0
	s_sendmsg sendmsg(MSG_DEALLOC_VGPRS)
	s_endpgm
	.section	.rodata,"a",@progbits
	.p2align	6, 0x0
	.amdhsa_kernel _Z39paged_attention_ll4mi_QKV_mfma16_kernelI14__hip_bfloat16S0_LN4vllm18Fp8KVCacheDataTypeE0EhLi16ELi64ELi256ELb0ELi4EL8MFMAType0EEvPKT_PKT0_S9_ifPKiSB_SB_iPKfiiiPfSE_PS4_PT2_iSD_SD_
		.amdhsa_group_segment_fixed_size 17472
		.amdhsa_private_segment_fixed_size 0
		.amdhsa_kernarg_size 400
		.amdhsa_user_sgpr_count 13
		.amdhsa_user_sgpr_dispatch_ptr 0
		.amdhsa_user_sgpr_queue_ptr 0
		.amdhsa_user_sgpr_kernarg_segment_ptr 1
		.amdhsa_user_sgpr_dispatch_id 0
		.amdhsa_user_sgpr_private_segment_size 0
		.amdhsa_wavefront_size32 1
		.amdhsa_uses_dynamic_stack 0
		.amdhsa_enable_private_segment 0
		.amdhsa_system_sgpr_workgroup_id_x 1
		.amdhsa_system_sgpr_workgroup_id_y 1
		.amdhsa_system_sgpr_workgroup_id_z 1
		.amdhsa_system_sgpr_workgroup_info 0
		.amdhsa_system_vgpr_workitem_id 0
		.amdhsa_next_free_vgpr 198
		.amdhsa_next_free_sgpr 52
		.amdhsa_reserve_vcc 1
		.amdhsa_float_round_mode_32 0
		.amdhsa_float_round_mode_16_64 0
		.amdhsa_float_denorm_mode_32 3
		.amdhsa_float_denorm_mode_16_64 3
		.amdhsa_dx10_clamp 1
		.amdhsa_ieee_mode 1
		.amdhsa_fp16_overflow 0
		.amdhsa_workgroup_processor_mode 1
		.amdhsa_memory_ordered 1
		.amdhsa_forward_progress 0
		.amdhsa_shared_vgpr_count 0
		.amdhsa_exception_fp_ieee_invalid_op 0
		.amdhsa_exception_fp_denorm_src 0
		.amdhsa_exception_fp_ieee_div_zero 0
		.amdhsa_exception_fp_ieee_overflow 0
		.amdhsa_exception_fp_ieee_underflow 0
		.amdhsa_exception_fp_ieee_inexact 0
		.amdhsa_exception_int_div_zero 0
	.end_amdhsa_kernel
	.section	.text._Z39paged_attention_ll4mi_QKV_mfma16_kernelI14__hip_bfloat16S0_LN4vllm18Fp8KVCacheDataTypeE0EhLi16ELi64ELi256ELb0ELi4EL8MFMAType0EEvPKT_PKT0_S9_ifPKiSB_SB_iPKfiiiPfSE_PS4_PT2_iSD_SD_,"axG",@progbits,_Z39paged_attention_ll4mi_QKV_mfma16_kernelI14__hip_bfloat16S0_LN4vllm18Fp8KVCacheDataTypeE0EhLi16ELi64ELi256ELb0ELi4EL8MFMAType0EEvPKT_PKT0_S9_ifPKiSB_SB_iPKfiiiPfSE_PS4_PT2_iSD_SD_,comdat
.Lfunc_end441:
	.size	_Z39paged_attention_ll4mi_QKV_mfma16_kernelI14__hip_bfloat16S0_LN4vllm18Fp8KVCacheDataTypeE0EhLi16ELi64ELi256ELb0ELi4EL8MFMAType0EEvPKT_PKT0_S9_ifPKiSB_SB_iPKfiiiPfSE_PS4_PT2_iSD_SD_, .Lfunc_end441-_Z39paged_attention_ll4mi_QKV_mfma16_kernelI14__hip_bfloat16S0_LN4vllm18Fp8KVCacheDataTypeE0EhLi16ELi64ELi256ELb0ELi4EL8MFMAType0EEvPKT_PKT0_S9_ifPKiSB_SB_iPKfiiiPfSE_PS4_PT2_iSD_SD_
                                        ; -- End function
	.section	.AMDGPU.csdata,"",@progbits
; Kernel info:
; codeLenInByte = 9900
; NumSgprs: 54
; NumVgprs: 198
; ScratchSize: 0
; MemoryBound: 0
; FloatMode: 240
; IeeeMode: 1
; LDSByteSize: 17472 bytes/workgroup (compile time only)
; SGPRBlocks: 6
; VGPRBlocks: 24
; NumSGPRsForWavesPerEU: 54
; NumVGPRsForWavesPerEU: 198
; Occupancy: 7
; WaveLimiterHint : 1
; COMPUTE_PGM_RSRC2:SCRATCH_EN: 0
; COMPUTE_PGM_RSRC2:USER_SGPR: 13
; COMPUTE_PGM_RSRC2:TRAP_HANDLER: 0
; COMPUTE_PGM_RSRC2:TGID_X_EN: 1
; COMPUTE_PGM_RSRC2:TGID_Y_EN: 1
; COMPUTE_PGM_RSRC2:TGID_Z_EN: 1
; COMPUTE_PGM_RSRC2:TIDIG_COMP_CNT: 0
	.section	.text._Z38paged_attention_ll4mi_QKV_mfma4_kernelI14__hip_bfloat16S0_LN4vllm18Fp8KVCacheDataTypeE0ES0_Li16ELi64ELi256ELb1ELi1EEvPKT_PKT0_S8_ifPKiSA_SA_iPKfiiiPfSD_PS3_PT2_iSC_SC_,"axG",@progbits,_Z38paged_attention_ll4mi_QKV_mfma4_kernelI14__hip_bfloat16S0_LN4vllm18Fp8KVCacheDataTypeE0ES0_Li16ELi64ELi256ELb1ELi1EEvPKT_PKT0_S8_ifPKiSA_SA_iPKfiiiPfSD_PS3_PT2_iSC_SC_,comdat
	.protected	_Z38paged_attention_ll4mi_QKV_mfma4_kernelI14__hip_bfloat16S0_LN4vllm18Fp8KVCacheDataTypeE0ES0_Li16ELi64ELi256ELb1ELi1EEvPKT_PKT0_S8_ifPKiSA_SA_iPKfiiiPfSD_PS3_PT2_iSC_SC_ ; -- Begin function _Z38paged_attention_ll4mi_QKV_mfma4_kernelI14__hip_bfloat16S0_LN4vllm18Fp8KVCacheDataTypeE0ES0_Li16ELi64ELi256ELb1ELi1EEvPKT_PKT0_S8_ifPKiSA_SA_iPKfiiiPfSD_PS3_PT2_iSC_SC_
	.globl	_Z38paged_attention_ll4mi_QKV_mfma4_kernelI14__hip_bfloat16S0_LN4vllm18Fp8KVCacheDataTypeE0ES0_Li16ELi64ELi256ELb1ELi1EEvPKT_PKT0_S8_ifPKiSA_SA_iPKfiiiPfSD_PS3_PT2_iSC_SC_
	.p2align	8
	.type	_Z38paged_attention_ll4mi_QKV_mfma4_kernelI14__hip_bfloat16S0_LN4vllm18Fp8KVCacheDataTypeE0ES0_Li16ELi64ELi256ELb1ELi1EEvPKT_PKT0_S8_ifPKiSA_SA_iPKfiiiPfSD_PS3_PT2_iSC_SC_,@function
_Z38paged_attention_ll4mi_QKV_mfma4_kernelI14__hip_bfloat16S0_LN4vllm18Fp8KVCacheDataTypeE0ES0_Li16ELi64ELi256ELb1ELi1EEvPKT_PKT0_S8_ifPKiSA_SA_iPKfiiiPfSD_PS3_PT2_iSC_SC_: ; @_Z38paged_attention_ll4mi_QKV_mfma4_kernelI14__hip_bfloat16S0_LN4vllm18Fp8KVCacheDataTypeE0ES0_Li16ELi64ELi256ELb1ELi1EEvPKT_PKT0_S8_ifPKiSA_SA_iPKfiiiPfSD_PS3_PT2_iSC_SC_
; %bb.0:
	s_add_u32 s8, s0, 0x90
	s_addc_u32 s9, s1, 0
	s_getpc_b64 s[0:1]
	s_add_u32 s0, s0, __PRETTY_FUNCTION__._Z38paged_attention_ll4mi_QKV_mfma4_kernelI14__hip_bfloat16S0_LN4vllm18Fp8KVCacheDataTypeE0ES0_Li16ELi64ELi256ELb1ELi1EEvPKT_PKT0_S8_ifPKiSA_SA_iPKfiiiPfSD_PS3_PT2_iSC_SC_@rel32@lo+4
	s_addc_u32 s1, s1, __PRETTY_FUNCTION__._Z38paged_attention_ll4mi_QKV_mfma4_kernelI14__hip_bfloat16S0_LN4vllm18Fp8KVCacheDataTypeE0ES0_Li16ELi64ELi256ELb1ELi1EEvPKT_PKT0_S8_ifPKiSA_SA_iPKfiiiPfSD_PS3_PT2_iSC_SC_@rel32@hi+12
	s_delay_alu instid0(SALU_CYCLE_1) | instskip(SKIP_4) | instid1(SALU_CYCLE_1)
	v_dual_mov_b32 v0, s0 :: v_dual_mov_b32 v1, s1
	s_mov_b32 s32, 0
	s_getpc_b64 s[2:3]
	s_add_u32 s2, s2, __assert_fail@rel32@lo+4
	s_addc_u32 s3, s3, __assert_fail@rel32@hi+12
	s_swappc_b64 s[30:31], s[2:3]
	.section	.rodata,"a",@progbits
	.p2align	6, 0x0
	.amdhsa_kernel _Z38paged_attention_ll4mi_QKV_mfma4_kernelI14__hip_bfloat16S0_LN4vllm18Fp8KVCacheDataTypeE0ES0_Li16ELi64ELi256ELb1ELi1EEvPKT_PKT0_S8_ifPKiSA_SA_iPKfiiiPfSD_PS3_PT2_iSC_SC_
		.amdhsa_group_segment_fixed_size 0
		.amdhsa_private_segment_fixed_size 64
		.amdhsa_kernarg_size 400
		.amdhsa_user_sgpr_count 15
		.amdhsa_user_sgpr_dispatch_ptr 0
		.amdhsa_user_sgpr_queue_ptr 0
		.amdhsa_user_sgpr_kernarg_segment_ptr 1
		.amdhsa_user_sgpr_dispatch_id 0
		.amdhsa_user_sgpr_private_segment_size 0
		.amdhsa_wavefront_size32 1
		.amdhsa_uses_dynamic_stack 0
		.amdhsa_enable_private_segment 1
		.amdhsa_system_sgpr_workgroup_id_x 1
		.amdhsa_system_sgpr_workgroup_id_y 0
		.amdhsa_system_sgpr_workgroup_id_z 0
		.amdhsa_system_sgpr_workgroup_info 0
		.amdhsa_system_vgpr_workitem_id 0
		.amdhsa_next_free_vgpr 41
		.amdhsa_next_free_sgpr 34
		.amdhsa_reserve_vcc 1
		.amdhsa_float_round_mode_32 0
		.amdhsa_float_round_mode_16_64 0
		.amdhsa_float_denorm_mode_32 3
		.amdhsa_float_denorm_mode_16_64 3
		.amdhsa_dx10_clamp 1
		.amdhsa_ieee_mode 1
		.amdhsa_fp16_overflow 0
		.amdhsa_workgroup_processor_mode 1
		.amdhsa_memory_ordered 1
		.amdhsa_forward_progress 0
		.amdhsa_shared_vgpr_count 0
		.amdhsa_exception_fp_ieee_invalid_op 0
		.amdhsa_exception_fp_denorm_src 0
		.amdhsa_exception_fp_ieee_div_zero 0
		.amdhsa_exception_fp_ieee_overflow 0
		.amdhsa_exception_fp_ieee_underflow 0
		.amdhsa_exception_fp_ieee_inexact 0
		.amdhsa_exception_int_div_zero 0
	.end_amdhsa_kernel
	.section	.text._Z38paged_attention_ll4mi_QKV_mfma4_kernelI14__hip_bfloat16S0_LN4vllm18Fp8KVCacheDataTypeE0ES0_Li16ELi64ELi256ELb1ELi1EEvPKT_PKT0_S8_ifPKiSA_SA_iPKfiiiPfSD_PS3_PT2_iSC_SC_,"axG",@progbits,_Z38paged_attention_ll4mi_QKV_mfma4_kernelI14__hip_bfloat16S0_LN4vllm18Fp8KVCacheDataTypeE0ES0_Li16ELi64ELi256ELb1ELi1EEvPKT_PKT0_S8_ifPKiSA_SA_iPKfiiiPfSD_PS3_PT2_iSC_SC_,comdat
.Lfunc_end442:
	.size	_Z38paged_attention_ll4mi_QKV_mfma4_kernelI14__hip_bfloat16S0_LN4vllm18Fp8KVCacheDataTypeE0ES0_Li16ELi64ELi256ELb1ELi1EEvPKT_PKT0_S8_ifPKiSA_SA_iPKfiiiPfSD_PS3_PT2_iSC_SC_, .Lfunc_end442-_Z38paged_attention_ll4mi_QKV_mfma4_kernelI14__hip_bfloat16S0_LN4vllm18Fp8KVCacheDataTypeE0ES0_Li16ELi64ELi256ELb1ELi1EEvPKT_PKT0_S8_ifPKiSA_SA_iPKfiiiPfSD_PS3_PT2_iSC_SC_
                                        ; -- End function
	.section	.AMDGPU.csdata,"",@progbits
; Kernel info:
; codeLenInByte = 72
; NumSgprs: 36
; NumVgprs: 41
; ScratchSize: 64
; MemoryBound: 0
; FloatMode: 240
; IeeeMode: 1
; LDSByteSize: 0 bytes/workgroup (compile time only)
; SGPRBlocks: 4
; VGPRBlocks: 5
; NumSGPRsForWavesPerEU: 36
; NumVGPRsForWavesPerEU: 41
; Occupancy: 16
; WaveLimiterHint : 1
; COMPUTE_PGM_RSRC2:SCRATCH_EN: 1
; COMPUTE_PGM_RSRC2:USER_SGPR: 15
; COMPUTE_PGM_RSRC2:TRAP_HANDLER: 0
; COMPUTE_PGM_RSRC2:TGID_X_EN: 1
; COMPUTE_PGM_RSRC2:TGID_Y_EN: 0
; COMPUTE_PGM_RSRC2:TGID_Z_EN: 0
; COMPUTE_PGM_RSRC2:TIDIG_COMP_CNT: 0
	.section	.text._Z38paged_attention_ll4mi_QKV_mfma4_kernelI14__hip_bfloat16S0_LN4vllm18Fp8KVCacheDataTypeE0ES0_Li16ELi64ELi256ELb1ELi2EEvPKT_PKT0_S8_ifPKiSA_SA_iPKfiiiPfSD_PS3_PT2_iSC_SC_,"axG",@progbits,_Z38paged_attention_ll4mi_QKV_mfma4_kernelI14__hip_bfloat16S0_LN4vllm18Fp8KVCacheDataTypeE0ES0_Li16ELi64ELi256ELb1ELi2EEvPKT_PKT0_S8_ifPKiSA_SA_iPKfiiiPfSD_PS3_PT2_iSC_SC_,comdat
	.protected	_Z38paged_attention_ll4mi_QKV_mfma4_kernelI14__hip_bfloat16S0_LN4vllm18Fp8KVCacheDataTypeE0ES0_Li16ELi64ELi256ELb1ELi2EEvPKT_PKT0_S8_ifPKiSA_SA_iPKfiiiPfSD_PS3_PT2_iSC_SC_ ; -- Begin function _Z38paged_attention_ll4mi_QKV_mfma4_kernelI14__hip_bfloat16S0_LN4vllm18Fp8KVCacheDataTypeE0ES0_Li16ELi64ELi256ELb1ELi2EEvPKT_PKT0_S8_ifPKiSA_SA_iPKfiiiPfSD_PS3_PT2_iSC_SC_
	.globl	_Z38paged_attention_ll4mi_QKV_mfma4_kernelI14__hip_bfloat16S0_LN4vllm18Fp8KVCacheDataTypeE0ES0_Li16ELi64ELi256ELb1ELi2EEvPKT_PKT0_S8_ifPKiSA_SA_iPKfiiiPfSD_PS3_PT2_iSC_SC_
	.p2align	8
	.type	_Z38paged_attention_ll4mi_QKV_mfma4_kernelI14__hip_bfloat16S0_LN4vllm18Fp8KVCacheDataTypeE0ES0_Li16ELi64ELi256ELb1ELi2EEvPKT_PKT0_S8_ifPKiSA_SA_iPKfiiiPfSD_PS3_PT2_iSC_SC_,@function
_Z38paged_attention_ll4mi_QKV_mfma4_kernelI14__hip_bfloat16S0_LN4vllm18Fp8KVCacheDataTypeE0ES0_Li16ELi64ELi256ELb1ELi2EEvPKT_PKT0_S8_ifPKiSA_SA_iPKfiiiPfSD_PS3_PT2_iSC_SC_: ; @_Z38paged_attention_ll4mi_QKV_mfma4_kernelI14__hip_bfloat16S0_LN4vllm18Fp8KVCacheDataTypeE0ES0_Li16ELi64ELi256ELb1ELi2EEvPKT_PKT0_S8_ifPKiSA_SA_iPKfiiiPfSD_PS3_PT2_iSC_SC_
; %bb.0:
	s_add_u32 s8, s0, 0x90
	s_addc_u32 s9, s1, 0
	s_getpc_b64 s[0:1]
	s_add_u32 s0, s0, __PRETTY_FUNCTION__._Z38paged_attention_ll4mi_QKV_mfma4_kernelI14__hip_bfloat16S0_LN4vllm18Fp8KVCacheDataTypeE0ES0_Li16ELi64ELi256ELb1ELi2EEvPKT_PKT0_S8_ifPKiSA_SA_iPKfiiiPfSD_PS3_PT2_iSC_SC_@rel32@lo+4
	s_addc_u32 s1, s1, __PRETTY_FUNCTION__._Z38paged_attention_ll4mi_QKV_mfma4_kernelI14__hip_bfloat16S0_LN4vllm18Fp8KVCacheDataTypeE0ES0_Li16ELi64ELi256ELb1ELi2EEvPKT_PKT0_S8_ifPKiSA_SA_iPKfiiiPfSD_PS3_PT2_iSC_SC_@rel32@hi+12
	s_delay_alu instid0(SALU_CYCLE_1) | instskip(SKIP_4) | instid1(SALU_CYCLE_1)
	v_dual_mov_b32 v0, s0 :: v_dual_mov_b32 v1, s1
	s_mov_b32 s32, 0
	s_getpc_b64 s[2:3]
	s_add_u32 s2, s2, __assert_fail@rel32@lo+4
	s_addc_u32 s3, s3, __assert_fail@rel32@hi+12
	s_swappc_b64 s[30:31], s[2:3]
	.section	.rodata,"a",@progbits
	.p2align	6, 0x0
	.amdhsa_kernel _Z38paged_attention_ll4mi_QKV_mfma4_kernelI14__hip_bfloat16S0_LN4vllm18Fp8KVCacheDataTypeE0ES0_Li16ELi64ELi256ELb1ELi2EEvPKT_PKT0_S8_ifPKiSA_SA_iPKfiiiPfSD_PS3_PT2_iSC_SC_
		.amdhsa_group_segment_fixed_size 0
		.amdhsa_private_segment_fixed_size 64
		.amdhsa_kernarg_size 400
		.amdhsa_user_sgpr_count 15
		.amdhsa_user_sgpr_dispatch_ptr 0
		.amdhsa_user_sgpr_queue_ptr 0
		.amdhsa_user_sgpr_kernarg_segment_ptr 1
		.amdhsa_user_sgpr_dispatch_id 0
		.amdhsa_user_sgpr_private_segment_size 0
		.amdhsa_wavefront_size32 1
		.amdhsa_uses_dynamic_stack 0
		.amdhsa_enable_private_segment 1
		.amdhsa_system_sgpr_workgroup_id_x 1
		.amdhsa_system_sgpr_workgroup_id_y 0
		.amdhsa_system_sgpr_workgroup_id_z 0
		.amdhsa_system_sgpr_workgroup_info 0
		.amdhsa_system_vgpr_workitem_id 0
		.amdhsa_next_free_vgpr 41
		.amdhsa_next_free_sgpr 34
		.amdhsa_reserve_vcc 1
		.amdhsa_float_round_mode_32 0
		.amdhsa_float_round_mode_16_64 0
		.amdhsa_float_denorm_mode_32 3
		.amdhsa_float_denorm_mode_16_64 3
		.amdhsa_dx10_clamp 1
		.amdhsa_ieee_mode 1
		.amdhsa_fp16_overflow 0
		.amdhsa_workgroup_processor_mode 1
		.amdhsa_memory_ordered 1
		.amdhsa_forward_progress 0
		.amdhsa_shared_vgpr_count 0
		.amdhsa_exception_fp_ieee_invalid_op 0
		.amdhsa_exception_fp_denorm_src 0
		.amdhsa_exception_fp_ieee_div_zero 0
		.amdhsa_exception_fp_ieee_overflow 0
		.amdhsa_exception_fp_ieee_underflow 0
		.amdhsa_exception_fp_ieee_inexact 0
		.amdhsa_exception_int_div_zero 0
	.end_amdhsa_kernel
	.section	.text._Z38paged_attention_ll4mi_QKV_mfma4_kernelI14__hip_bfloat16S0_LN4vllm18Fp8KVCacheDataTypeE0ES0_Li16ELi64ELi256ELb1ELi2EEvPKT_PKT0_S8_ifPKiSA_SA_iPKfiiiPfSD_PS3_PT2_iSC_SC_,"axG",@progbits,_Z38paged_attention_ll4mi_QKV_mfma4_kernelI14__hip_bfloat16S0_LN4vllm18Fp8KVCacheDataTypeE0ES0_Li16ELi64ELi256ELb1ELi2EEvPKT_PKT0_S8_ifPKiSA_SA_iPKfiiiPfSD_PS3_PT2_iSC_SC_,comdat
.Lfunc_end443:
	.size	_Z38paged_attention_ll4mi_QKV_mfma4_kernelI14__hip_bfloat16S0_LN4vllm18Fp8KVCacheDataTypeE0ES0_Li16ELi64ELi256ELb1ELi2EEvPKT_PKT0_S8_ifPKiSA_SA_iPKfiiiPfSD_PS3_PT2_iSC_SC_, .Lfunc_end443-_Z38paged_attention_ll4mi_QKV_mfma4_kernelI14__hip_bfloat16S0_LN4vllm18Fp8KVCacheDataTypeE0ES0_Li16ELi64ELi256ELb1ELi2EEvPKT_PKT0_S8_ifPKiSA_SA_iPKfiiiPfSD_PS3_PT2_iSC_SC_
                                        ; -- End function
	.section	.AMDGPU.csdata,"",@progbits
; Kernel info:
; codeLenInByte = 72
; NumSgprs: 36
; NumVgprs: 41
; ScratchSize: 64
; MemoryBound: 0
; FloatMode: 240
; IeeeMode: 1
; LDSByteSize: 0 bytes/workgroup (compile time only)
; SGPRBlocks: 4
; VGPRBlocks: 5
; NumSGPRsForWavesPerEU: 36
; NumVGPRsForWavesPerEU: 41
; Occupancy: 16
; WaveLimiterHint : 1
; COMPUTE_PGM_RSRC2:SCRATCH_EN: 1
; COMPUTE_PGM_RSRC2:USER_SGPR: 15
; COMPUTE_PGM_RSRC2:TRAP_HANDLER: 0
; COMPUTE_PGM_RSRC2:TGID_X_EN: 1
; COMPUTE_PGM_RSRC2:TGID_Y_EN: 0
; COMPUTE_PGM_RSRC2:TGID_Z_EN: 0
; COMPUTE_PGM_RSRC2:TIDIG_COMP_CNT: 0
	.section	.text._Z38paged_attention_ll4mi_QKV_mfma4_kernelI14__hip_bfloat16S0_LN4vllm18Fp8KVCacheDataTypeE0ES0_Li16ELi64ELi256ELb1ELi3EEvPKT_PKT0_S8_ifPKiSA_SA_iPKfiiiPfSD_PS3_PT2_iSC_SC_,"axG",@progbits,_Z38paged_attention_ll4mi_QKV_mfma4_kernelI14__hip_bfloat16S0_LN4vllm18Fp8KVCacheDataTypeE0ES0_Li16ELi64ELi256ELb1ELi3EEvPKT_PKT0_S8_ifPKiSA_SA_iPKfiiiPfSD_PS3_PT2_iSC_SC_,comdat
	.protected	_Z38paged_attention_ll4mi_QKV_mfma4_kernelI14__hip_bfloat16S0_LN4vllm18Fp8KVCacheDataTypeE0ES0_Li16ELi64ELi256ELb1ELi3EEvPKT_PKT0_S8_ifPKiSA_SA_iPKfiiiPfSD_PS3_PT2_iSC_SC_ ; -- Begin function _Z38paged_attention_ll4mi_QKV_mfma4_kernelI14__hip_bfloat16S0_LN4vllm18Fp8KVCacheDataTypeE0ES0_Li16ELi64ELi256ELb1ELi3EEvPKT_PKT0_S8_ifPKiSA_SA_iPKfiiiPfSD_PS3_PT2_iSC_SC_
	.globl	_Z38paged_attention_ll4mi_QKV_mfma4_kernelI14__hip_bfloat16S0_LN4vllm18Fp8KVCacheDataTypeE0ES0_Li16ELi64ELi256ELb1ELi3EEvPKT_PKT0_S8_ifPKiSA_SA_iPKfiiiPfSD_PS3_PT2_iSC_SC_
	.p2align	8
	.type	_Z38paged_attention_ll4mi_QKV_mfma4_kernelI14__hip_bfloat16S0_LN4vllm18Fp8KVCacheDataTypeE0ES0_Li16ELi64ELi256ELb1ELi3EEvPKT_PKT0_S8_ifPKiSA_SA_iPKfiiiPfSD_PS3_PT2_iSC_SC_,@function
_Z38paged_attention_ll4mi_QKV_mfma4_kernelI14__hip_bfloat16S0_LN4vllm18Fp8KVCacheDataTypeE0ES0_Li16ELi64ELi256ELb1ELi3EEvPKT_PKT0_S8_ifPKiSA_SA_iPKfiiiPfSD_PS3_PT2_iSC_SC_: ; @_Z38paged_attention_ll4mi_QKV_mfma4_kernelI14__hip_bfloat16S0_LN4vllm18Fp8KVCacheDataTypeE0ES0_Li16ELi64ELi256ELb1ELi3EEvPKT_PKT0_S8_ifPKiSA_SA_iPKfiiiPfSD_PS3_PT2_iSC_SC_
; %bb.0:
	s_add_u32 s8, s0, 0x90
	s_addc_u32 s9, s1, 0
	s_getpc_b64 s[0:1]
	s_add_u32 s0, s0, __PRETTY_FUNCTION__._Z38paged_attention_ll4mi_QKV_mfma4_kernelI14__hip_bfloat16S0_LN4vllm18Fp8KVCacheDataTypeE0ES0_Li16ELi64ELi256ELb1ELi3EEvPKT_PKT0_S8_ifPKiSA_SA_iPKfiiiPfSD_PS3_PT2_iSC_SC_@rel32@lo+4
	s_addc_u32 s1, s1, __PRETTY_FUNCTION__._Z38paged_attention_ll4mi_QKV_mfma4_kernelI14__hip_bfloat16S0_LN4vllm18Fp8KVCacheDataTypeE0ES0_Li16ELi64ELi256ELb1ELi3EEvPKT_PKT0_S8_ifPKiSA_SA_iPKfiiiPfSD_PS3_PT2_iSC_SC_@rel32@hi+12
	s_delay_alu instid0(SALU_CYCLE_1) | instskip(SKIP_4) | instid1(SALU_CYCLE_1)
	v_dual_mov_b32 v0, s0 :: v_dual_mov_b32 v1, s1
	s_mov_b32 s32, 0
	s_getpc_b64 s[2:3]
	s_add_u32 s2, s2, __assert_fail@rel32@lo+4
	s_addc_u32 s3, s3, __assert_fail@rel32@hi+12
	s_swappc_b64 s[30:31], s[2:3]
	.section	.rodata,"a",@progbits
	.p2align	6, 0x0
	.amdhsa_kernel _Z38paged_attention_ll4mi_QKV_mfma4_kernelI14__hip_bfloat16S0_LN4vllm18Fp8KVCacheDataTypeE0ES0_Li16ELi64ELi256ELb1ELi3EEvPKT_PKT0_S8_ifPKiSA_SA_iPKfiiiPfSD_PS3_PT2_iSC_SC_
		.amdhsa_group_segment_fixed_size 0
		.amdhsa_private_segment_fixed_size 64
		.amdhsa_kernarg_size 400
		.amdhsa_user_sgpr_count 15
		.amdhsa_user_sgpr_dispatch_ptr 0
		.amdhsa_user_sgpr_queue_ptr 0
		.amdhsa_user_sgpr_kernarg_segment_ptr 1
		.amdhsa_user_sgpr_dispatch_id 0
		.amdhsa_user_sgpr_private_segment_size 0
		.amdhsa_wavefront_size32 1
		.amdhsa_uses_dynamic_stack 0
		.amdhsa_enable_private_segment 1
		.amdhsa_system_sgpr_workgroup_id_x 1
		.amdhsa_system_sgpr_workgroup_id_y 0
		.amdhsa_system_sgpr_workgroup_id_z 0
		.amdhsa_system_sgpr_workgroup_info 0
		.amdhsa_system_vgpr_workitem_id 0
		.amdhsa_next_free_vgpr 41
		.amdhsa_next_free_sgpr 34
		.amdhsa_reserve_vcc 1
		.amdhsa_float_round_mode_32 0
		.amdhsa_float_round_mode_16_64 0
		.amdhsa_float_denorm_mode_32 3
		.amdhsa_float_denorm_mode_16_64 3
		.amdhsa_dx10_clamp 1
		.amdhsa_ieee_mode 1
		.amdhsa_fp16_overflow 0
		.amdhsa_workgroup_processor_mode 1
		.amdhsa_memory_ordered 1
		.amdhsa_forward_progress 0
		.amdhsa_shared_vgpr_count 0
		.amdhsa_exception_fp_ieee_invalid_op 0
		.amdhsa_exception_fp_denorm_src 0
		.amdhsa_exception_fp_ieee_div_zero 0
		.amdhsa_exception_fp_ieee_overflow 0
		.amdhsa_exception_fp_ieee_underflow 0
		.amdhsa_exception_fp_ieee_inexact 0
		.amdhsa_exception_int_div_zero 0
	.end_amdhsa_kernel
	.section	.text._Z38paged_attention_ll4mi_QKV_mfma4_kernelI14__hip_bfloat16S0_LN4vllm18Fp8KVCacheDataTypeE0ES0_Li16ELi64ELi256ELb1ELi3EEvPKT_PKT0_S8_ifPKiSA_SA_iPKfiiiPfSD_PS3_PT2_iSC_SC_,"axG",@progbits,_Z38paged_attention_ll4mi_QKV_mfma4_kernelI14__hip_bfloat16S0_LN4vllm18Fp8KVCacheDataTypeE0ES0_Li16ELi64ELi256ELb1ELi3EEvPKT_PKT0_S8_ifPKiSA_SA_iPKfiiiPfSD_PS3_PT2_iSC_SC_,comdat
.Lfunc_end444:
	.size	_Z38paged_attention_ll4mi_QKV_mfma4_kernelI14__hip_bfloat16S0_LN4vllm18Fp8KVCacheDataTypeE0ES0_Li16ELi64ELi256ELb1ELi3EEvPKT_PKT0_S8_ifPKiSA_SA_iPKfiiiPfSD_PS3_PT2_iSC_SC_, .Lfunc_end444-_Z38paged_attention_ll4mi_QKV_mfma4_kernelI14__hip_bfloat16S0_LN4vllm18Fp8KVCacheDataTypeE0ES0_Li16ELi64ELi256ELb1ELi3EEvPKT_PKT0_S8_ifPKiSA_SA_iPKfiiiPfSD_PS3_PT2_iSC_SC_
                                        ; -- End function
	.section	.AMDGPU.csdata,"",@progbits
; Kernel info:
; codeLenInByte = 72
; NumSgprs: 36
; NumVgprs: 41
; ScratchSize: 64
; MemoryBound: 0
; FloatMode: 240
; IeeeMode: 1
; LDSByteSize: 0 bytes/workgroup (compile time only)
; SGPRBlocks: 4
; VGPRBlocks: 5
; NumSGPRsForWavesPerEU: 36
; NumVGPRsForWavesPerEU: 41
; Occupancy: 16
; WaveLimiterHint : 1
; COMPUTE_PGM_RSRC2:SCRATCH_EN: 1
; COMPUTE_PGM_RSRC2:USER_SGPR: 15
; COMPUTE_PGM_RSRC2:TRAP_HANDLER: 0
; COMPUTE_PGM_RSRC2:TGID_X_EN: 1
; COMPUTE_PGM_RSRC2:TGID_Y_EN: 0
; COMPUTE_PGM_RSRC2:TGID_Z_EN: 0
; COMPUTE_PGM_RSRC2:TIDIG_COMP_CNT: 0
	.section	.text._Z38paged_attention_ll4mi_QKV_mfma4_kernelI14__hip_bfloat16S0_LN4vllm18Fp8KVCacheDataTypeE0ES0_Li16ELi64ELi256ELb1ELi4EEvPKT_PKT0_S8_ifPKiSA_SA_iPKfiiiPfSD_PS3_PT2_iSC_SC_,"axG",@progbits,_Z38paged_attention_ll4mi_QKV_mfma4_kernelI14__hip_bfloat16S0_LN4vllm18Fp8KVCacheDataTypeE0ES0_Li16ELi64ELi256ELb1ELi4EEvPKT_PKT0_S8_ifPKiSA_SA_iPKfiiiPfSD_PS3_PT2_iSC_SC_,comdat
	.protected	_Z38paged_attention_ll4mi_QKV_mfma4_kernelI14__hip_bfloat16S0_LN4vllm18Fp8KVCacheDataTypeE0ES0_Li16ELi64ELi256ELb1ELi4EEvPKT_PKT0_S8_ifPKiSA_SA_iPKfiiiPfSD_PS3_PT2_iSC_SC_ ; -- Begin function _Z38paged_attention_ll4mi_QKV_mfma4_kernelI14__hip_bfloat16S0_LN4vllm18Fp8KVCacheDataTypeE0ES0_Li16ELi64ELi256ELb1ELi4EEvPKT_PKT0_S8_ifPKiSA_SA_iPKfiiiPfSD_PS3_PT2_iSC_SC_
	.globl	_Z38paged_attention_ll4mi_QKV_mfma4_kernelI14__hip_bfloat16S0_LN4vllm18Fp8KVCacheDataTypeE0ES0_Li16ELi64ELi256ELb1ELi4EEvPKT_PKT0_S8_ifPKiSA_SA_iPKfiiiPfSD_PS3_PT2_iSC_SC_
	.p2align	8
	.type	_Z38paged_attention_ll4mi_QKV_mfma4_kernelI14__hip_bfloat16S0_LN4vllm18Fp8KVCacheDataTypeE0ES0_Li16ELi64ELi256ELb1ELi4EEvPKT_PKT0_S8_ifPKiSA_SA_iPKfiiiPfSD_PS3_PT2_iSC_SC_,@function
_Z38paged_attention_ll4mi_QKV_mfma4_kernelI14__hip_bfloat16S0_LN4vllm18Fp8KVCacheDataTypeE0ES0_Li16ELi64ELi256ELb1ELi4EEvPKT_PKT0_S8_ifPKiSA_SA_iPKfiiiPfSD_PS3_PT2_iSC_SC_: ; @_Z38paged_attention_ll4mi_QKV_mfma4_kernelI14__hip_bfloat16S0_LN4vllm18Fp8KVCacheDataTypeE0ES0_Li16ELi64ELi256ELb1ELi4EEvPKT_PKT0_S8_ifPKiSA_SA_iPKfiiiPfSD_PS3_PT2_iSC_SC_
; %bb.0:
	s_add_u32 s8, s0, 0x90
	s_addc_u32 s9, s1, 0
	s_getpc_b64 s[0:1]
	s_add_u32 s0, s0, __PRETTY_FUNCTION__._Z38paged_attention_ll4mi_QKV_mfma4_kernelI14__hip_bfloat16S0_LN4vllm18Fp8KVCacheDataTypeE0ES0_Li16ELi64ELi256ELb1ELi4EEvPKT_PKT0_S8_ifPKiSA_SA_iPKfiiiPfSD_PS3_PT2_iSC_SC_@rel32@lo+4
	s_addc_u32 s1, s1, __PRETTY_FUNCTION__._Z38paged_attention_ll4mi_QKV_mfma4_kernelI14__hip_bfloat16S0_LN4vllm18Fp8KVCacheDataTypeE0ES0_Li16ELi64ELi256ELb1ELi4EEvPKT_PKT0_S8_ifPKiSA_SA_iPKfiiiPfSD_PS3_PT2_iSC_SC_@rel32@hi+12
	s_delay_alu instid0(SALU_CYCLE_1) | instskip(SKIP_4) | instid1(SALU_CYCLE_1)
	v_dual_mov_b32 v0, s0 :: v_dual_mov_b32 v1, s1
	s_mov_b32 s32, 0
	s_getpc_b64 s[2:3]
	s_add_u32 s2, s2, __assert_fail@rel32@lo+4
	s_addc_u32 s3, s3, __assert_fail@rel32@hi+12
	s_swappc_b64 s[30:31], s[2:3]
	.section	.rodata,"a",@progbits
	.p2align	6, 0x0
	.amdhsa_kernel _Z38paged_attention_ll4mi_QKV_mfma4_kernelI14__hip_bfloat16S0_LN4vllm18Fp8KVCacheDataTypeE0ES0_Li16ELi64ELi256ELb1ELi4EEvPKT_PKT0_S8_ifPKiSA_SA_iPKfiiiPfSD_PS3_PT2_iSC_SC_
		.amdhsa_group_segment_fixed_size 0
		.amdhsa_private_segment_fixed_size 64
		.amdhsa_kernarg_size 400
		.amdhsa_user_sgpr_count 15
		.amdhsa_user_sgpr_dispatch_ptr 0
		.amdhsa_user_sgpr_queue_ptr 0
		.amdhsa_user_sgpr_kernarg_segment_ptr 1
		.amdhsa_user_sgpr_dispatch_id 0
		.amdhsa_user_sgpr_private_segment_size 0
		.amdhsa_wavefront_size32 1
		.amdhsa_uses_dynamic_stack 0
		.amdhsa_enable_private_segment 1
		.amdhsa_system_sgpr_workgroup_id_x 1
		.amdhsa_system_sgpr_workgroup_id_y 0
		.amdhsa_system_sgpr_workgroup_id_z 0
		.amdhsa_system_sgpr_workgroup_info 0
		.amdhsa_system_vgpr_workitem_id 0
		.amdhsa_next_free_vgpr 41
		.amdhsa_next_free_sgpr 34
		.amdhsa_reserve_vcc 1
		.amdhsa_float_round_mode_32 0
		.amdhsa_float_round_mode_16_64 0
		.amdhsa_float_denorm_mode_32 3
		.amdhsa_float_denorm_mode_16_64 3
		.amdhsa_dx10_clamp 1
		.amdhsa_ieee_mode 1
		.amdhsa_fp16_overflow 0
		.amdhsa_workgroup_processor_mode 1
		.amdhsa_memory_ordered 1
		.amdhsa_forward_progress 0
		.amdhsa_shared_vgpr_count 0
		.amdhsa_exception_fp_ieee_invalid_op 0
		.amdhsa_exception_fp_denorm_src 0
		.amdhsa_exception_fp_ieee_div_zero 0
		.amdhsa_exception_fp_ieee_overflow 0
		.amdhsa_exception_fp_ieee_underflow 0
		.amdhsa_exception_fp_ieee_inexact 0
		.amdhsa_exception_int_div_zero 0
	.end_amdhsa_kernel
	.section	.text._Z38paged_attention_ll4mi_QKV_mfma4_kernelI14__hip_bfloat16S0_LN4vllm18Fp8KVCacheDataTypeE0ES0_Li16ELi64ELi256ELb1ELi4EEvPKT_PKT0_S8_ifPKiSA_SA_iPKfiiiPfSD_PS3_PT2_iSC_SC_,"axG",@progbits,_Z38paged_attention_ll4mi_QKV_mfma4_kernelI14__hip_bfloat16S0_LN4vllm18Fp8KVCacheDataTypeE0ES0_Li16ELi64ELi256ELb1ELi4EEvPKT_PKT0_S8_ifPKiSA_SA_iPKfiiiPfSD_PS3_PT2_iSC_SC_,comdat
.Lfunc_end445:
	.size	_Z38paged_attention_ll4mi_QKV_mfma4_kernelI14__hip_bfloat16S0_LN4vllm18Fp8KVCacheDataTypeE0ES0_Li16ELi64ELi256ELb1ELi4EEvPKT_PKT0_S8_ifPKiSA_SA_iPKfiiiPfSD_PS3_PT2_iSC_SC_, .Lfunc_end445-_Z38paged_attention_ll4mi_QKV_mfma4_kernelI14__hip_bfloat16S0_LN4vllm18Fp8KVCacheDataTypeE0ES0_Li16ELi64ELi256ELb1ELi4EEvPKT_PKT0_S8_ifPKiSA_SA_iPKfiiiPfSD_PS3_PT2_iSC_SC_
                                        ; -- End function
	.section	.AMDGPU.csdata,"",@progbits
; Kernel info:
; codeLenInByte = 72
; NumSgprs: 36
; NumVgprs: 41
; ScratchSize: 64
; MemoryBound: 0
; FloatMode: 240
; IeeeMode: 1
; LDSByteSize: 0 bytes/workgroup (compile time only)
; SGPRBlocks: 4
; VGPRBlocks: 5
; NumSGPRsForWavesPerEU: 36
; NumVGPRsForWavesPerEU: 41
; Occupancy: 16
; WaveLimiterHint : 1
; COMPUTE_PGM_RSRC2:SCRATCH_EN: 1
; COMPUTE_PGM_RSRC2:USER_SGPR: 15
; COMPUTE_PGM_RSRC2:TRAP_HANDLER: 0
; COMPUTE_PGM_RSRC2:TGID_X_EN: 1
; COMPUTE_PGM_RSRC2:TGID_Y_EN: 0
; COMPUTE_PGM_RSRC2:TGID_Z_EN: 0
; COMPUTE_PGM_RSRC2:TIDIG_COMP_CNT: 0
	.section	.text._Z39paged_attention_ll4mi_QKV_mfma16_kernelI14__hip_bfloat16S0_LN4vllm18Fp8KVCacheDataTypeE0ES0_Li16ELi64ELi256ELb1ELi5EL8MFMAType0EEvPKT_PKT0_S9_ifPKiSB_SB_iPKfiiiPfSE_PS4_PT2_iSD_SD_,"axG",@progbits,_Z39paged_attention_ll4mi_QKV_mfma16_kernelI14__hip_bfloat16S0_LN4vllm18Fp8KVCacheDataTypeE0ES0_Li16ELi64ELi256ELb1ELi5EL8MFMAType0EEvPKT_PKT0_S9_ifPKiSB_SB_iPKfiiiPfSE_PS4_PT2_iSD_SD_,comdat
	.protected	_Z39paged_attention_ll4mi_QKV_mfma16_kernelI14__hip_bfloat16S0_LN4vllm18Fp8KVCacheDataTypeE0ES0_Li16ELi64ELi256ELb1ELi5EL8MFMAType0EEvPKT_PKT0_S9_ifPKiSB_SB_iPKfiiiPfSE_PS4_PT2_iSD_SD_ ; -- Begin function _Z39paged_attention_ll4mi_QKV_mfma16_kernelI14__hip_bfloat16S0_LN4vllm18Fp8KVCacheDataTypeE0ES0_Li16ELi64ELi256ELb1ELi5EL8MFMAType0EEvPKT_PKT0_S9_ifPKiSB_SB_iPKfiiiPfSE_PS4_PT2_iSD_SD_
	.globl	_Z39paged_attention_ll4mi_QKV_mfma16_kernelI14__hip_bfloat16S0_LN4vllm18Fp8KVCacheDataTypeE0ES0_Li16ELi64ELi256ELb1ELi5EL8MFMAType0EEvPKT_PKT0_S9_ifPKiSB_SB_iPKfiiiPfSE_PS4_PT2_iSD_SD_
	.p2align	8
	.type	_Z39paged_attention_ll4mi_QKV_mfma16_kernelI14__hip_bfloat16S0_LN4vllm18Fp8KVCacheDataTypeE0ES0_Li16ELi64ELi256ELb1ELi5EL8MFMAType0EEvPKT_PKT0_S9_ifPKiSB_SB_iPKfiiiPfSE_PS4_PT2_iSD_SD_,@function
_Z39paged_attention_ll4mi_QKV_mfma16_kernelI14__hip_bfloat16S0_LN4vllm18Fp8KVCacheDataTypeE0ES0_Li16ELi64ELi256ELb1ELi5EL8MFMAType0EEvPKT_PKT0_S9_ifPKiSB_SB_iPKfiiiPfSE_PS4_PT2_iSD_SD_: ; @_Z39paged_attention_ll4mi_QKV_mfma16_kernelI14__hip_bfloat16S0_LN4vllm18Fp8KVCacheDataTypeE0ES0_Li16ELi64ELi256ELb1ELi5EL8MFMAType0EEvPKT_PKT0_S9_ifPKiSB_SB_iPKfiiiPfSE_PS4_PT2_iSD_SD_
; %bb.0:
	s_load_b64 s[2:3], s[0:1], 0x30
	s_mov_b32 s34, s13
	s_waitcnt lgkmcnt(0)
	s_cmp_lg_u64 s[2:3], 0
	s_cselect_b32 s8, -1, 0
	s_ashr_i32 s35, s13, 31
	s_cmp_eq_u64 s[2:3], 0
	s_cbranch_scc1 .LBB446_3
; %bb.1:
	s_lshl_b64 s[4:5], s[34:35], 2
	s_delay_alu instid0(SALU_CYCLE_1) | instskip(SKIP_4) | instid1(SALU_CYCLE_1)
	s_add_u32 s4, s2, s4
	s_addc_u32 s5, s3, s5
	s_load_b64 s[4:5], s[4:5], 0x0
	s_waitcnt lgkmcnt(0)
	s_sub_i32 s4, s5, s4
	s_cmp_eq_u32 s4, 1
	s_cselect_b32 s4, -1, 0
	s_delay_alu instid0(SALU_CYCLE_1)
	s_and_not1_b32 vcc_lo, exec_lo, s4
	s_cbranch_vccz .LBB446_4
.LBB446_2:
	s_nop 0
	s_sendmsg sendmsg(MSG_DEALLOC_VGPRS)
	s_endpgm
.LBB446_3:
.LBB446_4:
	s_load_b64 s[4:5], s[0:1], 0x28
	s_lshl_b64 s[6:7], s[34:35], 2
	s_waitcnt lgkmcnt(0)
	s_add_u32 s4, s4, s6
	s_addc_u32 s5, s5, s7
	s_lshl_b32 s33, s14, 8
	s_load_b32 s30, s[4:5], 0x0
	s_waitcnt lgkmcnt(0)
	s_cmp_ge_i32 s33, s30
	s_cbranch_scc1 .LBB446_2
; %bb.5:
	s_clause 0x1
	s_load_b128 s[20:23], s[0:1], 0x8
	s_load_b64 s[4:5], s[0:1], 0x20
	s_and_not1_b32 vcc_lo, exec_lo, s8
	s_cbranch_vccnz .LBB446_7
; %bb.6:
	s_add_u32 s2, s2, s6
	s_addc_u32 s3, s3, s7
	s_load_b32 s3, s[2:3], 0x0
	s_branch .LBB446_8
.LBB446_7:
	s_mov_b32 s3, s34
.LBB446_8:
	s_load_b128 s[16:19], s[0:1], 0x48
	v_lshrrev_b32_e32 v149, 5, v0
	v_bfe_u32 v146, v0, 4, 1
	v_and_b32_e32 v148, 15, v0
	v_and_b32_e32 v150, 31, v0
	;; [unrolled: 1-line block ×3, first 2 shown]
	s_mul_i32 s31, s15, 5
	v_lshl_or_b32 v1, v149, 1, v146
	v_lshlrev_b32_e32 v2, 3, v148
	v_cmp_gt_u32_e64 s2, 8, v148
	s_delay_alu instid0(VALU_DEP_3) | instskip(NEXT) | instid1(VALU_DEP_3)
	v_cmp_gt_u32_e32 vcc_lo, 5, v1
	v_lshlrev_b32_e32 v145, 1, v2
	s_delay_alu instid0(VALU_DEP_3) | instskip(NEXT) | instid1(SALU_CYCLE_1)
	s_and_b32 s7, s2, vcc_lo
	s_and_saveexec_b32 s6, s7
	s_cbranch_execz .LBB446_10
; %bb.9:
	s_load_b64 s[8:9], s[0:1], 0x0
	v_add_lshl_u32 v2, v1, s31, 6
	s_waitcnt lgkmcnt(0)
	s_mul_hi_i32 s11, s3, s16
	s_mul_i32 s10, s3, s16
	v_lshlrev_b32_e32 v6, 10, v148
	s_lshl_b64 s[10:11], s[10:11], 1
	v_ashrrev_i32_e32 v3, 31, v2
	v_lshlrev_b32_e32 v1, 6, v1
	v_lshlrev_b32_e32 v7, 10, v147
	v_and_b32_e32 v6, 0x3800, v6
	s_delay_alu instid0(VALU_DEP_4) | instskip(NEXT) | instid1(VALU_DEP_2)
	v_lshlrev_b64 v[2:3], 1, v[2:3]
	v_or3_b32 v1, v6, v7, v1
	s_add_u32 s3, s8, s10
	s_addc_u32 s7, s9, s11
	s_delay_alu instid0(VALU_DEP_2) | instskip(NEXT) | instid1(VALU_DEP_3)
	v_add_co_u32 v2, vcc_lo, s3, v2
	v_add_co_ci_u32_e32 v3, vcc_lo, s7, v3, vcc_lo
	s_delay_alu instid0(VALU_DEP_2) | instskip(NEXT) | instid1(VALU_DEP_2)
	v_add_co_u32 v2, vcc_lo, v2, v145
	v_add_co_ci_u32_e32 v3, vcc_lo, 0, v3, vcc_lo
	global_load_b128 v[2:5], v[2:3], off
	s_waitcnt vmcnt(0)
	ds_store_b128 v1, v[2:5]
.LBB446_10:
	s_or_b32 exec_lo, exec_lo, s6
	v_and_b32_e32 v1, 0xef, v0
	s_waitcnt lgkmcnt(0)
	s_add_i32 s3, s30, 15
	s_clause 0x1
	s_load_b32 s6, s[0:1], 0x38
	s_load_b32 s35, s[0:1], 0x1c
	s_ashr_i32 s7, s3, 31
	v_add_nc_u32_e32 v1, s33, v1
	s_lshr_b32 s7, s7, 28
	s_waitcnt lgkmcnt(0)
	s_add_i32 s3, s3, s7
	s_barrier
	v_ashrrev_i32_e32 v2, 31, v1
	v_or_b32_e32 v3, 16, v1
	s_ashr_i32 s3, s3, 4
	v_cmp_gt_i32_e32 vcc_lo, s30, v1
	s_add_i32 s3, s3, -1
	v_lshrrev_b32_e32 v2, 28, v2
	buffer_gl0_inv
	v_mul_lo_u16 v21, v148, 52
	v_lshlrev_b32_e32 v22, 5, v148
	v_add_nc_u32_e32 v4, v1, v2
	s_mul_i32 s6, s34, s6
	s_delay_alu instid0(VALU_DEP_3) | instskip(SKIP_1) | instid1(VALU_DEP_2)
	v_lshrrev_b16 v21, 8, v21
	s_ashr_i32 s7, s6, 31
	v_ashrrev_i32_e32 v4, 4, v4
	v_add_nc_u32_e32 v2, v3, v2
	s_lshl_b64 s[6:7], s[6:7], 2
	v_mul_lo_u16 v21, v21, 5
	s_add_u32 s16, s4, s6
	v_cndmask_b32_e32 v1, s3, v4, vcc_lo
	v_ashrrev_i32_e32 v2, 4, v2
	v_cmp_gt_i32_e32 vcc_lo, s30, v3
	s_addc_u32 s36, s5, s7
	s_mul_i32 s4, s15, s18
	v_sub_nc_u16 v21, v148, v21
	s_ashr_i32 s5, s4, 31
	v_cndmask_b32_e32 v3, s3, v2, vcc_lo
	v_ashrrev_i32_e32 v2, 31, v1
	s_lshl_b64 s[12:13], s[4:5], 1
	v_and_b32_e32 v21, 0xff, v21
	s_add_u32 s26, s20, s12
	v_ashrrev_i32_e32 v4, 31, v3
	v_lshlrev_b64 v[1:2], 2, v[1:2]
	s_addc_u32 s27, s21, s13
	s_lshl_b32 s4, s14, 4
	v_lshlrev_b32_e32 v197, 6, v21
	v_lshlrev_b64 v[3:4], 2, v[3:4]
	s_ashr_i32 s5, s4, 31
	v_add_co_u32 v1, vcc_lo, s16, v1
	v_add_co_ci_u32_e32 v2, vcc_lo, s36, v2, vcc_lo
	s_delay_alu instid0(VALU_DEP_3) | instskip(NEXT) | instid1(VALU_DEP_4)
	v_add_co_u32 v3, vcc_lo, s16, v3
	v_add_co_ci_u32_e32 v4, vcc_lo, s36, v4, vcc_lo
	s_clause 0x1
	global_load_b32 v5, v[1:2], off
	global_load_b32 v6, v[3:4], off
	s_lshl_b64 s[4:5], s[4:5], 2
	v_lshlrev_b32_e32 v3, 4, v0
	s_add_u32 s4, s16, s4
	s_addc_u32 s5, s36, s5
	s_or_b32 s6, s33, 16
	v_lshl_or_b32 v22, v149, 9, v22
	s_ashr_i32 s7, s6, 4
	s_cmp_lt_i32 s6, s30
	s_cselect_b32 s6, s7, s3
	s_delay_alu instid0(SALU_CYCLE_1) | instskip(NEXT) | instid1(SALU_CYCLE_1)
	s_ashr_i32 s7, s6, 31
	s_lshl_b64 s[6:7], s[6:7], 2
	s_delay_alu instid0(SALU_CYCLE_1) | instskip(SKIP_2) | instid1(SALU_CYCLE_1)
	s_add_u32 s6, s16, s6
	s_addc_u32 s7, s36, s7
	s_or_b32 s8, s33, 32
	s_ashr_i32 s9, s8, 4
	s_cmp_lt_i32 s8, s30
	s_cselect_b32 s8, s9, s3
	s_delay_alu instid0(SALU_CYCLE_1) | instskip(NEXT) | instid1(SALU_CYCLE_1)
	s_ashr_i32 s9, s8, 31
	s_lshl_b64 s[8:9], s[8:9], 2
	s_delay_alu instid0(SALU_CYCLE_1) | instskip(SKIP_2) | instid1(SALU_CYCLE_1)
	s_add_u32 s8, s16, s8
	s_addc_u32 s9, s36, s9
	s_or_b32 s10, s33, 48
	;; [unrolled: 10-line block ×4, first 2 shown]
	s_ashr_i32 s18, s15, 4
	s_cmp_lt_i32 s15, s30
	s_cselect_b32 s18, s18, s3
	s_delay_alu instid0(SALU_CYCLE_1) | instskip(NEXT) | instid1(SALU_CYCLE_1)
	s_ashr_i32 s19, s18, 31
	s_lshl_b64 s[18:19], s[18:19], 2
	s_delay_alu instid0(SALU_CYCLE_1)
	s_add_u32 s24, s16, s18
	s_addc_u32 s25, s36, s19
	s_clause 0x5
	s_load_b32 s37, s[4:5], 0x0
	s_load_b32 s29, s[6:7], 0x0
	;; [unrolled: 1-line block ×6, first 2 shown]
	s_waitcnt vmcnt(1)
	v_mad_i64_i32 v[1:2], null, v5, s17, 0
	v_and_b32_e32 v5, 0xf0, v3
	s_waitcnt vmcnt(0)
	v_mad_i64_i32 v[3:4], null, v6, s17, 0
	s_delay_alu instid0(VALU_DEP_2) | instskip(NEXT) | instid1(VALU_DEP_4)
	v_add_co_u32 v5, s4, s26, v5
	v_lshlrev_b64 v[1:2], 1, v[1:2]
	v_add_co_ci_u32_e64 v6, null, s27, 0, s4
	s_delay_alu instid0(VALU_DEP_4) | instskip(SKIP_1) | instid1(VALU_DEP_3)
	v_lshlrev_b64 v[3:4], 1, v[3:4]
	s_or_b32 s4, s33, 0x60
	v_add_co_u32 v19, vcc_lo, v5, v1
	s_delay_alu instid0(VALU_DEP_3) | instskip(NEXT) | instid1(VALU_DEP_3)
	v_add_co_ci_u32_e32 v20, vcc_lo, v6, v2, vcc_lo
	v_add_co_u32 v17, vcc_lo, v5, v3
	s_delay_alu instid0(VALU_DEP_4)
	v_add_co_ci_u32_e32 v18, vcc_lo, v6, v4, vcc_lo
	s_clause 0xb
	global_load_b128 v[1:4], v[19:20], off
	global_load_b128 v[5:8], v[19:20], off offset:256
	global_load_b128 v[129:132], v[17:18], off
	global_load_b128 v[133:136], v[17:18], off offset:256
	global_load_b128 v[33:36], v[19:20], off offset:512
	;; [unrolled: 1-line block ×9, first 2 shown]
	ds_load_b128 v[159:162], v197
	ds_load_b128 v[163:166], v197 offset:1024
	s_clause 0x3
	global_load_b128 v[167:170], v[19:20], off offset:1536
	global_load_b128 v[171:174], v[19:20], off offset:1792
	;; [unrolled: 1-line block ×4, first 2 shown]
	s_ashr_i32 s5, s4, 4
	s_cmp_lt_i32 s4, s30
	s_cselect_b32 s4, s5, s3
	s_delay_alu instid0(SALU_CYCLE_1) | instskip(NEXT) | instid1(SALU_CYCLE_1)
	s_ashr_i32 s5, s4, 31
	s_lshl_b64 s[4:5], s[4:5], 2
	s_delay_alu instid0(SALU_CYCLE_1) | instskip(SKIP_2) | instid1(SALU_CYCLE_1)
	s_add_u32 s20, s16, s4
	s_addc_u32 s21, s36, s5
	s_or_b32 s4, s33, 0x70
	s_ashr_i32 s5, s4, 4
	s_cmp_lt_i32 s4, s30
	s_cselect_b32 s4, s5, s3
	s_delay_alu instid0(SALU_CYCLE_1) | instskip(NEXT) | instid1(SALU_CYCLE_1)
	s_ashr_i32 s5, s4, 31
	s_lshl_b64 s[6:7], s[4:5], 2
	s_mov_b32 s4, 0
	s_add_u32 s24, s16, s6
	s_addc_u32 s25, s36, s7
	s_or_b32 s5, s33, 0x80
	s_mov_b32 s11, s4
	s_ashr_i32 s6, s5, 4
	s_cmp_lt_i32 s5, s30
	s_mov_b32 s5, s4
	s_cselect_b32 s8, s6, s3
	s_mov_b32 s6, s4
	s_ashr_i32 s9, s8, 31
	s_mov_b32 s7, s4
	s_lshl_b64 s[8:9], s[8:9], 2
	s_load_b32 s46, s[24:25], 0x0
	s_add_u32 s26, s16, s8
	s_addc_u32 s27, s36, s9
	s_or_b32 s9, s33, 0x90
	s_load_b32 s47, s[26:27], 0x0
	s_ashr_i32 s10, s9, 4
	s_cmp_lt_i32 s9, s30
	s_mov_b32 s8, s4
	s_cselect_b32 s38, s10, s3
	s_mov_b32 s9, s4
	s_ashr_i32 s39, s38, 31
	s_mov_b32 s10, s4
	s_lshl_b64 s[38:39], s[38:39], 2
	v_mov_b32_e32 v144, s11
	s_add_u32 s38, s16, s38
	s_addc_u32 s39, s36, s39
	s_or_b32 s40, s33, 0xa0
	v_mov_b32_e32 v143, s10
	s_ashr_i32 s41, s40, 4
	s_cmp_lt_i32 s40, s30
	v_mov_b32_e32 v142, s9
	s_cselect_b32 s40, s41, s3
	v_mov_b32_e32 v141, s8
	s_ashr_i32 s41, s40, 31
	v_dual_mov_b32 v140, s7 :: v_dual_mov_b32 v139, s6
	v_dual_mov_b32 v138, s5 :: v_dual_mov_b32 v137, s4
	s_lshl_b64 s[4:5], s[40:41], 2
	s_waitcnt lgkmcnt(0)
	s_mul_hi_i32 s7, s29, s17
	s_add_u32 s42, s16, s4
	s_addc_u32 s43, s36, s5
	s_or_b32 s4, s33, 0xb0
	s_mul_hi_i32 s5, s37, s17
	s_ashr_i32 s6, s4, 4
	s_cmp_lt_i32 s4, s30
	s_mul_i32 s4, s37, s17
	s_cselect_b32 s8, s6, s3
	s_mul_i32 s6, s29, s17
	s_ashr_i32 s9, s8, 31
	s_load_b32 s41, s[20:21], 0x0
	s_lshl_b64 s[8:9], s[8:9], 2
	s_load_b32 s40, s[38:39], 0x0
	s_add_u32 s44, s16, s8
	s_addc_u32 s45, s36, s9
	s_or_b32 s8, s33, 0xc0
	s_mul_hi_i32 s9, s28, s17
	s_ashr_i32 s10, s8, 4
	s_cmp_lt_i32 s8, s30
	s_mul_i32 s8, s28, s17
	s_cselect_b32 s28, s10, s3
	s_load_b32 s39, s[42:43], 0x0
	s_ashr_i32 s29, s28, 31
	s_mul_hi_i32 s21, s15, s17
	s_lshl_b64 s[28:29], s[28:29], 2
	s_mul_hi_i32 s27, s46, s17
	s_add_u32 s28, s16, s28
	s_addc_u32 s29, s36, s29
	s_or_b32 s37, s33, 0xd0
	s_mul_i32 s26, s46, s17
	s_ashr_i32 s20, s37, 4
	s_cmp_lt_i32 s37, s30
	s_mul_hi_i32 s11, s19, s17
	s_cselect_b32 s24, s20, s3
	s_mul_i32 s20, s15, s17
	s_ashr_i32 s25, s24, 31
	s_mul_i32 s10, s19, s17
	s_lshl_b64 s[24:25], s[24:25], 2
	s_mul_hi_i32 s19, s18, s17
	s_add_u32 s24, s16, s24
	s_addc_u32 s25, s36, s25
	s_or_b32 s42, s33, 0xe0
	s_clause 0x2
	s_load_b32 s38, s[44:45], 0x0
	s_load_b32 s37, s[28:29], 0x0
	s_load_b32 s15, s[24:25], 0x0
	s_ashr_i32 s43, s42, 4
	s_cmp_lt_i32 s42, s30
	s_mul_hi_i32 s29, s47, s17
	s_cselect_b32 s42, s43, s3
	s_mul_i32 s28, s47, s17
	s_ashr_i32 s43, s42, 31
	s_mul_i32 s18, s18, s17
	s_lshl_b64 s[42:43], s[42:43], 2
	s_waitcnt lgkmcnt(0)
	s_mul_hi_i32 s25, s41, s17
	s_add_u32 s42, s16, s42
	s_addc_u32 s43, s36, s43
	s_or_b32 s46, s33, 0xf0
	s_mul_i32 s24, s41, s17
	s_ashr_i32 s47, s46, 4
	s_cmp_lt_i32 s46, s30
	s_mul_hi_i32 s41, s40, s17
	s_cselect_b32 s46, s47, s3
	s_mul_i32 s40, s40, s17
	s_ashr_i32 s47, s46, 31
	s_mul_hi_i32 s51, s15, s17
	s_lshl_b64 s[46:47], s[46:47], 2
	s_mul_i32 s50, s15, s17
	s_add_u32 s46, s16, s46
	s_addc_u32 s47, s36, s47
	s_add_u32 s3, s22, s12
	s_addc_u32 s15, s23, s13
	v_add_co_u32 v195, s3, s3, v22
	s_delay_alu instid0(VALU_DEP_1) | instskip(SKIP_2) | instid1(VALU_DEP_2)
	v_add_co_ci_u32_e64 v196, null, s15, 0, s3
	s_lshl_b64 s[4:5], s[4:5], 1
	s_lshl_b64 s[6:7], s[6:7], 1
	v_add_co_u32 v17, vcc_lo, v195, s4
	s_delay_alu instid0(VALU_DEP_2)
	v_add_co_ci_u32_e32 v18, vcc_lo, s5, v196, vcc_lo
	v_add_co_u32 v19, vcc_lo, v195, s6
	s_lshl_b64 s[8:9], s[8:9], 1
	v_add_co_ci_u32_e32 v20, vcc_lo, s7, v196, vcc_lo
	v_add_co_u32 v21, vcc_lo, v195, s8
	s_lshl_b64 s[10:11], s[10:11], 1
	;; [unrolled: 3-line block ×8, first 2 shown]
	s_mul_hi_i32 s45, s39, s17
	s_mul_i32 s44, s39, s17
	v_add_co_ci_u32_e32 v50, vcc_lo, s25, v196, vcc_lo
	v_add_co_u32 v53, vcc_lo, v195, s26
	s_lshl_b64 s[28:29], s[44:45], 1
	s_mul_hi_i32 s39, s38, s17
	s_mul_i32 s38, s38, s17
	v_add_co_ci_u32_e32 v54, vcc_lo, s27, v196, vcc_lo
	v_add_co_u32 v183, vcc_lo, v195, s28
	s_mul_hi_i32 s49, s37, s17
	s_mul_i32 s48, s37, s17
	s_lshl_b64 s[36:37], s[38:39], 1
	v_add_co_ci_u32_e32 v184, vcc_lo, s29, v196, vcc_lo
	v_add_co_u32 v185, vcc_lo, v195, s36
	s_lshl_b64 s[38:39], s[48:49], 1
	s_clause 0x1
	s_load_b32 s3, s[42:43], 0x0
	s_load_b32 s15, s[46:47], 0x0
	v_add_co_ci_u32_e32 v186, vcc_lo, s37, v196, vcc_lo
	v_add_co_u32 v191, vcc_lo, v195, s38
	v_add_co_ci_u32_e32 v192, vcc_lo, s39, v196, vcc_lo
	s_clause 0x17
	global_load_b128 v[121:124], v[17:18], off
	global_load_b128 v[125:128], v[17:18], off offset:16
	global_load_b128 v[113:116], v[19:20], off
	global_load_b128 v[117:120], v[19:20], off offset:16
	;; [unrolled: 2-line block ×12, first 2 shown]
	s_lshl_b64 s[40:41], s[50:51], 1
	s_delay_alu instid0(SALU_CYCLE_1)
	v_add_co_u32 v193, vcc_lo, v195, s40
	v_add_co_ci_u32_e32 v194, vcc_lo, s41, v196, vcc_lo
	s_waitcnt lgkmcnt(0)
	s_mul_hi_i32 s5, s3, s17
	s_mul_i32 s4, s3, s17
	s_mul_hi_i32 s7, s15, s17
	s_lshl_b64 s[4:5], s[4:5], 1
	s_mul_i32 s6, s15, s17
	s_waitcnt vmcnt(38)
	v_wmma_f32_16x16x16_bf16 v[183:190], v[1:8], v[159:166], v[137:144]
	s_waitcnt vmcnt(36)
	v_wmma_f32_16x16x16_bf16 v[137:144], v[129:136], v[159:166], v[137:144]
	s_clause 0x1
	global_load_b128 v[1:4], v[191:192], off
	global_load_b128 v[5:8], v[191:192], off offset:16
	ds_load_b128 v[129:132], v197 offset:2048
	ds_load_b128 v[133:136], v197 offset:3072
	;; [unrolled: 1-line block ×4, first 2 shown]
	v_add_co_u32 v191, vcc_lo, v195, s4
	v_add_co_ci_u32_e32 v192, vcc_lo, s5, v196, vcc_lo
	s_lshl_b64 s[4:5], s[6:7], 1
	s_delay_alu instid0(SALU_CYCLE_1)
	v_add_co_u32 v195, vcc_lo, v195, s4
	v_add_co_ci_u32_e32 v196, vcc_lo, s5, v196, vcc_lo
	s_waitcnt vmcnt(36) lgkmcnt(2)
	v_wmma_f32_16x16x16_bf16 v[183:190], v[33:40], v[129:136], v[183:190]
	s_waitcnt vmcnt(34)
	v_wmma_f32_16x16x16_bf16 v[137:144], v[25:32], v[129:136], v[137:144]
	s_clause 0x3
	global_load_b128 v[25:28], v[193:194], off
	global_load_b128 v[29:32], v[193:194], off offset:16
	global_load_b128 v[33:36], v[191:192], off
	global_load_b128 v[37:40], v[191:192], off offset:16
	v_and_b32_e32 v129, 0xe0, v0
	v_mbcnt_lo_u32_b32 v191, -1, 0
	s_waitcnt vmcnt(36) lgkmcnt(0)
	v_wmma_f32_16x16x16_bf16 v[183:190], v[9:16], v[159:166], v[183:190]
	s_clause 0x1
	global_load_b128 v[9:12], v[195:196], off
	global_load_b128 v[13:16], v[195:196], off offset:16
	s_waitcnt vmcnt(36)
	v_wmma_f32_16x16x16_bf16 v[137:144], v[151:158], v[159:166], v[137:144]
	v_add_nc_u32_e32 v192, s33, v129
	ds_load_b128 v[129:132], v197 offset:6144
	ds_load_b128 v[133:136], v197 offset:7168
	v_xor_b32_e32 v151, 16, v191
	s_waitcnt vmcnt(0) lgkmcnt(0)
	s_barrier
	v_or_b32_e32 v152, v192, v146
	buffer_gl0_inv
	v_cmp_gt_i32_e32 vcc_lo, 32, v151
	v_or_b32_e32 v153, 2, v152
	v_or_b32_e32 v154, 4, v152
	;; [unrolled: 1-line block ×5, first 2 shown]
	v_cmp_gt_i32_e64 s3, s30, v153
	v_or_b32_e32 v158, 12, v152
	v_cmp_gt_i32_e64 s4, s30, v154
	v_cmp_gt_i32_e64 s5, s30, v155
	v_or_b32_e32 v159, 14, v152
	v_cmp_gt_i32_e64 s6, s30, v156
	v_wmma_f32_16x16x16_bf16 v[183:190], v[167:174], v[129:136], v[183:190]
	v_wmma_f32_16x16x16_bf16 v[137:144], v[175:182], v[129:136], v[137:144]
	v_cndmask_b32_e32 v151, v191, v151, vcc_lo
	v_cmp_gt_i32_e32 vcc_lo, s30, v152
	v_cmp_gt_i32_e64 s7, s30, v157
	v_dual_mul_f32 v135, s35, v184 :: v_dual_mul_f32 v136, s35, v183
	v_mul_f32_e32 v134, s35, v185
	v_dual_mul_f32 v168, s35, v144 :: v_dual_mul_f32 v133, s35, v186
	s_delay_alu instid0(VALU_DEP_3) | instskip(NEXT) | instid1(VALU_DEP_4)
	v_cndmask_b32_e64 v135, 0xff7fffff, v135, s3
	v_cndmask_b32_e32 v136, 0xff7fffff, v136, vcc_lo
	v_dual_mul_f32 v131, s35, v188 :: v_dual_mul_f32 v174, s35, v138
	v_mul_f32_e32 v132, s35, v187
	v_cndmask_b32_e64 v134, 0xff7fffff, v134, s4
	s_delay_alu instid0(VALU_DEP_4)
	v_max3_f32 v135, v136, 0xff7fffff, v135
	v_cmp_gt_i32_e64 s8, s30, v158
	v_lshlrev_b32_e32 v158, 2, v151
	v_cndmask_b32_e64 v133, 0xff7fffff, v133, s5
	v_or_b32_e32 v160, 16, v152
	v_or_b32_e32 v161, 18, v152
	v_dual_mul_f32 v129, s35, v190 :: v_dual_mul_f32 v172, s35, v140
	v_mul_f32_e32 v130, s35, v189
	v_cndmask_b32_e64 v132, 0xff7fffff, v132, s6
	v_cndmask_b32_e64 v131, 0xff7fffff, v131, s7
	v_max3_f32 v133, v135, v134, v133
	v_cmp_gt_i32_e64 s9, s30, v159
	v_or_b32_e32 v162, 20, v152
	v_or_b32_e32 v163, 22, v152
	v_mul_f32_e32 v175, s35, v137
	v_cndmask_b32_e64 v130, 0xff7fffff, v130, s8
	v_cndmask_b32_e64 v129, 0xff7fffff, v129, s9
	v_max3_f32 v131, v133, v132, v131
	v_cmp_gt_i32_e64 s10, s30, v160
	v_cmp_gt_i32_e64 s11, s30, v161
	v_or_b32_e32 v164, 24, v152
	v_or_b32_e32 v165, 26, v152
	v_mul_f32_e32 v173, s35, v139
	v_cndmask_b32_e64 v132, 0xff7fffff, v175, s10
	v_cndmask_b32_e64 v133, 0xff7fffff, v174, s11
	v_max3_f32 v129, v131, v130, v129
	v_cmp_gt_i32_e64 s12, s30, v162
	v_cmp_gt_i32_e64 s13, s30, v163
	v_or_b32_e32 v166, 28, v152
	v_or_b32_e32 v167, 30, v152
	v_dual_mul_f32 v170, s35, v142 :: v_dual_mul_f32 v171, s35, v141
	v_cndmask_b32_e64 v130, 0xff7fffff, v173, s12
	v_cndmask_b32_e64 v131, 0xff7fffff, v172, s13
	v_max3_f32 v129, v129, v132, v133
	v_cmp_gt_i32_e64 s15, s30, v164
	v_cmp_gt_i32_e64 s16, s30, v165
	v_mul_f32_e32 v169, s35, v143
	v_cmp_gt_i32_e64 s17, s30, v166
	v_max3_f32 v129, v129, v130, v131
	v_cndmask_b32_e64 v132, 0xff7fffff, v171, s15
	v_cndmask_b32_e64 v133, 0xff7fffff, v170, s16
	v_cmp_gt_i32_e64 s18, s30, v167
	v_cndmask_b32_e64 v130, 0xff7fffff, v169, s17
	s_delay_alu instid0(VALU_DEP_3) | instskip(NEXT) | instid1(VALU_DEP_3)
	v_max3_f32 v129, v129, v132, v133
	v_cndmask_b32_e64 v131, 0xff7fffff, v168, s18
	s_delay_alu instid0(VALU_DEP_1) | instskip(SKIP_3) | instid1(VALU_DEP_1)
	v_max3_f32 v129, v129, v130, v131
	ds_bpermute_b32 v130, v158, v129
	s_waitcnt lgkmcnt(0)
	v_max_f32_e32 v130, v130, v130
	v_max_f32_e32 v129, v129, v130
	s_delay_alu instid0(VALU_DEP_1)
	v_fma_f32 v130, s35, v183, -v129
	v_fma_f32 v132, s35, v185, -v129
	;; [unrolled: 1-line block ×5, first 2 shown]
	v_mul_f32_e32 v130, 0x3fb8aa3b, v130
	v_mul_f32_e32 v132, 0x3fb8aa3b, v132
	v_fma_f32 v135, s35, v189, -v129
	v_mul_f32_e32 v134, 0x3fb8aa3b, v134
	s_delay_alu instid0(VALU_DEP_4) | instskip(NEXT) | instid1(VALU_DEP_3)
	v_exp_f32_e32 v130, v130
	v_exp_f32_e32 v132, v132
	s_delay_alu instid0(VALU_DEP_1) | instskip(NEXT) | instid1(TRANS32_DEP_3)
	v_exp_f32_e32 v134, v134
	v_cndmask_b32_e32 v152, 0, v130, vcc_lo
	v_fma_f32 v130, s35, v188, -v129
	v_mul_f32_e32 v131, 0x3fb8aa3b, v131
	s_waitcnt_depctr 0xfff
	v_cndmask_b32_e64 v153, 0, v132, s4
	v_fma_f32 v132, s35, v190, -v129
	v_dual_mul_f32 v133, 0x3fb8aa3b, v133 :: v_dual_mul_f32 v130, 0x3fb8aa3b, v130
	v_exp_f32_e32 v131, v131
	v_cndmask_b32_e64 v155, 0, v134, s6
	s_delay_alu instid0(VALU_DEP_3) | instskip(NEXT) | instid1(VALU_DEP_3)
	v_mul_f32_e32 v132, 0x3fb8aa3b, v132
	v_exp_f32_e32 v133, v133
	v_exp_f32_e32 v130, v130
	v_fma_f32 v134, s35, v138, -v129
	s_delay_alu instid0(VALU_DEP_2) | instskip(SKIP_1) | instid1(VALU_DEP_2)
	v_exp_f32_e32 v132, v132
	v_cndmask_b32_e64 v151, 0, v131, s3
	v_dual_add_f32 v131, 0, v152 :: v_dual_mul_f32 v134, 0x3fb8aa3b, v134
	s_delay_alu instid0(TRANS32_DEP_3)
	v_cndmask_b32_e64 v154, 0, v133, s5
	s_waitcnt_depctr 0xfff
	v_cndmask_b32_e64 v156, 0, v130, s7
	v_fma_f32 v133, s35, v137, -v129
	v_add_f32_e32 v131, v131, v151
	v_exp_f32_e32 v134, v134
	v_cmp_gt_u32_e64 s3, 16, v150
	s_delay_alu instid0(VALU_DEP_2) | instskip(NEXT) | instid1(VALU_DEP_1)
	v_add_f32_e32 v131, v131, v153
	v_add_f32_e32 v131, v131, v154
	s_delay_alu instid0(VALU_DEP_1) | instskip(SKIP_1) | instid1(VALU_DEP_2)
	v_dual_mul_f32 v133, 0x3fb8aa3b, v133 :: v_dual_add_f32 v130, v131, v155
	v_fma_f32 v131, s35, v139, -v129
	v_exp_f32_e32 v133, v133
	v_fma_f32 v139, s35, v144, -v129
	s_delay_alu instid0(VALU_DEP_3) | instskip(NEXT) | instid1(VALU_DEP_1)
	v_dual_add_f32 v130, v130, v156 :: v_dual_mul_f32 v135, 0x3fb8aa3b, v135
	v_exp_f32_e32 v135, v135
	s_waitcnt_depctr 0xfff
	v_cndmask_b32_e64 v157, 0, v135, s8
	v_fma_f32 v135, s35, v140, -v129
	v_cndmask_b32_e64 v140, 0, v132, s9
	v_fma_f32 v132, s35, v141, -v129
	s_delay_alu instid0(VALU_DEP_4) | instskip(NEXT) | instid1(VALU_DEP_1)
	v_add_f32_e32 v130, v130, v157
	v_add_f32_e32 v130, v130, v140
	s_delay_alu instid0(VALU_DEP_3) | instskip(SKIP_4) | instid1(VALU_DEP_3)
	v_mul_f32_e32 v137, 0x3fb8aa3b, v132
	v_cndmask_b32_e64 v132, 0, v134, s11
	v_mul_f32_e32 v131, 0x3fb8aa3b, v131
	v_fma_f32 v134, s35, v143, -v129
	v_mul_f32_e32 v135, 0x3fb8aa3b, v135
	v_exp_f32_e32 v136, v131
	v_cndmask_b32_e64 v131, 0, v133, s10
	v_fma_f32 v133, s35, v142, -v129
	s_delay_alu instid0(VALU_DEP_2) | instskip(NEXT) | instid1(VALU_DEP_2)
	v_add_f32_e32 v130, v130, v131
	v_mul_f32_e32 v138, 0x3fb8aa3b, v133
	v_exp_f32_e32 v137, v137
	s_waitcnt_depctr 0xfff
	v_cndmask_b32_e64 v133, 0, v136, s12
	v_mul_f32_e32 v136, 0x3fb8aa3b, v134
	v_exp_f32_e32 v135, v135
	v_add_f32_e32 v130, v130, v132
	v_exp_f32_e32 v138, v138
	s_delay_alu instid0(VALU_DEP_2) | instskip(NEXT) | instid1(VALU_DEP_1)
	v_exp_f32_e32 v141, v136
	v_add_f32_e32 v130, v130, v133
	s_delay_alu instid0(TRANS32_DEP_3)
	v_cndmask_b32_e64 v134, 0, v135, s13
	v_cndmask_b32_e64 v135, 0, v137, s15
	v_mul_f32_e32 v137, 0x3fb8aa3b, v139
	s_waitcnt_depctr 0xfff
	v_cndmask_b32_e64 v136, 0, v138, s16
	v_add_f32_e32 v130, v130, v134
	v_exp_f32_e32 v138, v137
	v_cndmask_b32_e64 v137, 0, v141, s17
	s_delay_alu instid0(VALU_DEP_2) | instskip(NEXT) | instid1(VALU_DEP_1)
	v_add_f32_e32 v130, v130, v135
	v_add_f32_e32 v130, v130, v136
	s_waitcnt_depctr 0xfff
	v_cndmask_b32_e64 v138, 0, v138, s18
	v_add_f32_e32 v130, v130, v137
	s_delay_alu instid0(VALU_DEP_1)
	v_add_f32_e32 v130, v130, v138
	ds_bpermute_b32 v139, v158, v130
	s_and_saveexec_b32 s4, s3
	s_cbranch_execz .LBB446_12
; %bb.11:
	v_mul_u32_u24_e32 v141, 0x44, v149
	s_delay_alu instid0(VALU_DEP_1) | instskip(SKIP_1) | instid1(VALU_DEP_1)
	v_lshl_add_u32 v141, v148, 2, v141
	s_waitcnt lgkmcnt(0)
	v_dual_add_f32 v130, v130, v139 :: v_dual_add_nc_u32 v139, 0x4000, v141
	ds_store_2addr_b32 v139, v129, v130 offset1:136
.LBB446_12:
	s_or_b32 exec_lo, exec_lo, s4
	v_lshlrev_b32_e32 v129, 2, v148
	s_waitcnt lgkmcnt(0)
	s_barrier
	buffer_gl0_inv
	v_cmp_eq_u32_e64 s4, 1, v149
	v_add_nc_u32_e32 v139, 0x4000, v129
	ds_load_2addr_b32 v[141:142], v139 offset1:17
	ds_load_2addr_b32 v[143:144], v139 offset0:34 offset1:51
	ds_load_2addr_b32 v[158:159], v139 offset0:68 offset1:85
	;; [unrolled: 1-line block ×4, first 2 shown]
	s_waitcnt lgkmcnt(4)
	v_max3_f32 v129, v141, 0xff7fffff, v142
	s_waitcnt lgkmcnt(3)
	s_delay_alu instid0(VALU_DEP_1) | instskip(SKIP_1) | instid1(VALU_DEP_1)
	v_max3_f32 v129, v129, v143, v144
	s_waitcnt lgkmcnt(2)
	v_max3_f32 v129, v129, v158, v159
	s_waitcnt lgkmcnt(1)
	s_delay_alu instid0(VALU_DEP_1) | instskip(NEXT) | instid1(VALU_DEP_1)
	v_max3_f32 v129, v129, v160, v161
	v_sub_f32_e32 v158, v158, v129
	s_delay_alu instid0(VALU_DEP_1) | instskip(NEXT) | instid1(VALU_DEP_1)
	v_dual_sub_f32 v150, v142, v129 :: v_dual_mul_f32 v167, 0x3fb8aa3b, v158
	v_dual_sub_f32 v143, v143, v129 :: v_dual_mul_f32 v150, 0x3fb8aa3b, v150
	s_delay_alu instid0(VALU_DEP_1) | instskip(NEXT) | instid1(VALU_DEP_2)
	v_dual_sub_f32 v130, v141, v129 :: v_dual_mul_f32 v165, 0x3fb8aa3b, v143
	v_exp_f32_e32 v150, v150
	s_delay_alu instid0(VALU_DEP_1) | instskip(NEXT) | instid1(VALU_DEP_2)
	v_mul_f32_e32 v130, 0x3fb8aa3b, v130
	v_exp_f32_e32 v165, v165
	s_delay_alu instid0(VALU_DEP_1) | instskip(SKIP_1) | instid1(VALU_DEP_1)
	v_exp_f32_e32 v164, v130
	v_sub_f32_e32 v130, v144, v129
	v_mul_f32_e32 v166, 0x3fb8aa3b, v130
	s_waitcnt lgkmcnt(0)
	s_waitcnt_depctr 0xfff
	v_fma_f32 v130, v164, v162, 0
	v_sub_f32_e32 v162, v159, v129
	s_delay_alu instid0(VALU_DEP_2)
	v_fmac_f32_e32 v130, v150, v163
	ds_load_2addr_b32 v[141:142], v139 offset0:170 offset1:187
	ds_load_2addr_b32 v[143:144], v139 offset0:204 offset1:221
	;; [unrolled: 1-line block ×3, first 2 shown]
	v_sub_f32_e32 v139, v160, v129
	v_exp_f32_e32 v166, v166
	v_mul_f32_e32 v160, 0x3fb8aa3b, v162
	v_exp_f32_e32 v162, v167
	v_cndmask_b32_e64 v150, v164, v150, s4
	v_mul_f32_e32 v139, 0x3fb8aa3b, v139
	v_cmp_eq_u32_e64 s4, 2, v149
	s_waitcnt lgkmcnt(0)
	s_barrier
	buffer_gl0_inv
	v_exp_f32_e32 v139, v139
	v_cndmask_b32_e64 v150, v150, v165, s4
	v_cmp_eq_u32_e64 s4, 3, v149
	v_fmac_f32_e32 v130, v165, v141
	v_sub_f32_e32 v141, v161, v129
	v_exp_f32_e32 v160, v160
	s_delay_alu instid0(VALU_DEP_3) | instskip(SKIP_1) | instid1(VALU_DEP_3)
	v_cndmask_b32_e64 v150, v150, v166, s4
	v_cmp_eq_u32_e64 s4, 4, v149
	v_dual_fmac_f32 v130, v166, v142 :: v_dual_mul_f32 v141, 0x3fb8aa3b, v141
	s_delay_alu instid0(VALU_DEP_2) | instskip(SKIP_1) | instid1(VALU_DEP_3)
	v_cndmask_b32_e64 v150, v150, v162, s4
	v_cmp_eq_u32_e64 s4, 5, v149
	v_exp_f32_e32 v141, v141
	s_delay_alu instid0(VALU_DEP_3)
	v_fmac_f32_e32 v130, v162, v143
	s_delay_alu instid0(TRANS32_DEP_2) | instid1(VALU_DEP_2)
	v_cndmask_b32_e64 v150, v150, v160, s4
	s_delay_alu instid0(VALU_DEP_2) | instskip(NEXT) | instid1(VALU_DEP_1)
	v_fmac_f32_e32 v130, v160, v144
	v_fmac_f32_e32 v130, v139, v158
	s_waitcnt_depctr 0xfff
	v_fmac_f32_e32 v130, v141, v159
	s_delay_alu instid0(VALU_DEP_1) | instskip(NEXT) | instid1(VALU_DEP_1)
	v_add_f32_e32 v142, 0x358637bd, v130
	v_div_scale_f32 v143, null, v142, v142, 1.0
	v_div_scale_f32 v159, vcc_lo, 1.0, v142, 1.0
	s_delay_alu instid0(VALU_DEP_2) | instskip(SKIP_2) | instid1(VALU_DEP_1)
	v_rcp_f32_e32 v144, v143
	s_waitcnt_depctr 0xfff
	v_fma_f32 v158, -v143, v144, 1.0
	v_fmac_f32_e32 v144, v158, v144
	s_delay_alu instid0(VALU_DEP_1) | instskip(NEXT) | instid1(VALU_DEP_1)
	v_mul_f32_e32 v158, v159, v144
	v_fma_f32 v161, -v143, v158, v159
	s_delay_alu instid0(VALU_DEP_1) | instskip(NEXT) | instid1(VALU_DEP_1)
	v_fmac_f32_e32 v158, v161, v144
	v_fma_f32 v143, -v143, v158, v159
	s_delay_alu instid0(VALU_DEP_1) | instskip(SKIP_1) | instid1(VALU_DEP_2)
	v_div_fmas_f32 v143, v143, v144, v158
	v_cmp_eq_u32_e32 vcc_lo, 6, v149
	v_div_fixup_f32 v142, v143, v142, 1.0
	v_cndmask_b32_e32 v139, v150, v139, vcc_lo
	v_cmp_eq_u32_e32 vcc_lo, 7, v149
	s_delay_alu instid0(VALU_DEP_2) | instskip(NEXT) | instid1(VALU_DEP_1)
	v_cndmask_b32_e32 v139, v139, v141, vcc_lo
	v_mul_f32_e32 v139, v139, v142
	s_delay_alu instid0(VALU_DEP_1) | instskip(SKIP_4) | instid1(VALU_DEP_4)
	v_mul_f32_e32 v153, v139, v153
	v_mul_f32_e32 v142, v139, v152
	;; [unrolled: 1-line block ×5, first 2 shown]
	v_dual_mul_f32 v152, v139, v155 :: v_dual_and_b32 v141, 0x7f800000, v142
	v_mul_f32_e32 v154, v139, v154
	v_mul_f32_e32 v144, v139, v151
	s_delay_alu instid0(VALU_DEP_3) | instskip(SKIP_1) | instid1(SALU_CYCLE_1)
	v_cmp_ne_u32_e32 vcc_lo, 0x7f800000, v141
                                        ; implicit-def: $vgpr141
	s_and_saveexec_b32 s4, vcc_lo
	s_xor_b32 s4, exec_lo, s4
; %bb.13:
	v_bfe_u32 v141, v142, 16, 1
	s_delay_alu instid0(VALU_DEP_1)
	v_add3_u32 v141, v142, v141, 0x7fff
                                        ; implicit-def: $vgpr142
; %bb.14:
	s_and_not1_saveexec_b32 s4, s4
; %bb.15:
	v_and_b32_e32 v141, 0xffff, v142
	v_or_b32_e32 v151, 0x10000, v142
	s_delay_alu instid0(VALU_DEP_2) | instskip(NEXT) | instid1(VALU_DEP_2)
	v_cmp_eq_u32_e32 vcc_lo, 0, v141
	v_cndmask_b32_e32 v141, v151, v142, vcc_lo
; %bb.16:
	s_or_b32 exec_lo, exec_lo, s4
	v_and_b32_e32 v142, 0x7f800000, v144
	s_delay_alu instid0(VALU_DEP_1) | instskip(SKIP_1) | instid1(SALU_CYCLE_1)
	v_cmp_ne_u32_e32 vcc_lo, 0x7f800000, v142
                                        ; implicit-def: $vgpr142
	s_and_saveexec_b32 s4, vcc_lo
	s_xor_b32 s4, exec_lo, s4
; %bb.17:
	v_bfe_u32 v142, v144, 16, 1
	s_delay_alu instid0(VALU_DEP_1)
	v_add3_u32 v142, v144, v142, 0x7fff
                                        ; implicit-def: $vgpr144
; %bb.18:
	s_and_not1_saveexec_b32 s4, s4
; %bb.19:
	v_and_b32_e32 v142, 0xffff, v144
	v_or_b32_e32 v151, 0x10000, v144
	s_delay_alu instid0(VALU_DEP_2) | instskip(NEXT) | instid1(VALU_DEP_2)
	v_cmp_eq_u32_e32 vcc_lo, 0, v142
	v_cndmask_b32_e32 v142, v151, v144, vcc_lo
; %bb.20:
	s_or_b32 exec_lo, exec_lo, s4
	v_and_b32_e32 v144, 0x7f800000, v153
	s_delay_alu instid0(VALU_DEP_1) | instskip(SKIP_1) | instid1(SALU_CYCLE_1)
	v_cmp_ne_u32_e32 vcc_lo, 0x7f800000, v144
                                        ; implicit-def: $vgpr144
	s_and_saveexec_b32 s4, vcc_lo
	s_xor_b32 s4, exec_lo, s4
; %bb.21:
	v_bfe_u32 v144, v153, 16, 1
	s_delay_alu instid0(VALU_DEP_1)
	v_add3_u32 v144, v153, v144, 0x7fff
                                        ; implicit-def: $vgpr153
; %bb.22:
	s_and_not1_saveexec_b32 s4, s4
; %bb.23:
	v_and_b32_e32 v144, 0xffff, v153
	v_or_b32_e32 v151, 0x10000, v153
	s_delay_alu instid0(VALU_DEP_2) | instskip(NEXT) | instid1(VALU_DEP_2)
	v_cmp_eq_u32_e32 vcc_lo, 0, v144
	v_cndmask_b32_e32 v144, v151, v153, vcc_lo
; %bb.24:
	s_or_b32 exec_lo, exec_lo, s4
	v_and_b32_e32 v151, 0x7f800000, v154
	s_delay_alu instid0(VALU_DEP_1) | instskip(SKIP_1) | instid1(SALU_CYCLE_1)
	v_cmp_ne_u32_e32 vcc_lo, 0x7f800000, v151
                                        ; implicit-def: $vgpr151
	s_and_saveexec_b32 s4, vcc_lo
	s_xor_b32 s4, exec_lo, s4
; %bb.25:
	v_bfe_u32 v151, v154, 16, 1
	s_delay_alu instid0(VALU_DEP_1)
	v_add3_u32 v151, v154, v151, 0x7fff
                                        ; implicit-def: $vgpr154
; %bb.26:
	s_and_not1_saveexec_b32 s4, s4
; %bb.27:
	v_and_b32_e32 v151, 0xffff, v154
	v_or_b32_e32 v153, 0x10000, v154
	s_delay_alu instid0(VALU_DEP_2) | instskip(NEXT) | instid1(VALU_DEP_2)
	v_cmp_eq_u32_e32 vcc_lo, 0, v151
	v_cndmask_b32_e32 v151, v153, v154, vcc_lo
; %bb.28:
	s_or_b32 exec_lo, exec_lo, s4
	v_and_b32_e32 v153, 0x7f800000, v152
	s_delay_alu instid0(VALU_DEP_1) | instskip(SKIP_1) | instid1(SALU_CYCLE_1)
	v_cmp_ne_u32_e32 vcc_lo, 0x7f800000, v153
                                        ; implicit-def: $vgpr153
	s_and_saveexec_b32 s4, vcc_lo
	s_xor_b32 s4, exec_lo, s4
; %bb.29:
	v_bfe_u32 v153, v152, 16, 1
	s_delay_alu instid0(VALU_DEP_1)
	v_add3_u32 v153, v152, v153, 0x7fff
                                        ; implicit-def: $vgpr152
; %bb.30:
	s_and_not1_saveexec_b32 s4, s4
; %bb.31:
	v_and_b32_e32 v153, 0xffff, v152
	v_or_b32_e32 v154, 0x10000, v152
	s_delay_alu instid0(VALU_DEP_2) | instskip(NEXT) | instid1(VALU_DEP_2)
	v_cmp_eq_u32_e32 vcc_lo, 0, v153
	v_cndmask_b32_e32 v153, v154, v152, vcc_lo
; %bb.32:
	s_or_b32 exec_lo, exec_lo, s4
	v_and_b32_e32 v152, 0x7f800000, v150
	s_delay_alu instid0(VALU_DEP_1) | instskip(SKIP_1) | instid1(SALU_CYCLE_1)
	v_cmp_ne_u32_e32 vcc_lo, 0x7f800000, v152
                                        ; implicit-def: $vgpr152
	s_and_saveexec_b32 s4, vcc_lo
	s_xor_b32 s4, exec_lo, s4
; %bb.33:
	v_bfe_u32 v152, v150, 16, 1
	s_delay_alu instid0(VALU_DEP_1)
	v_add3_u32 v152, v150, v152, 0x7fff
                                        ; implicit-def: $vgpr150
; %bb.34:
	s_and_not1_saveexec_b32 s4, s4
; %bb.35:
	v_and_b32_e32 v152, 0xffff, v150
	v_or_b32_e32 v154, 0x10000, v150
	s_delay_alu instid0(VALU_DEP_2) | instskip(NEXT) | instid1(VALU_DEP_2)
	v_cmp_eq_u32_e32 vcc_lo, 0, v152
	v_cndmask_b32_e32 v152, v154, v150, vcc_lo
; %bb.36:
	s_or_b32 exec_lo, exec_lo, s4
	v_and_b32_e32 v150, 0x7f800000, v143
	s_delay_alu instid0(VALU_DEP_1) | instskip(SKIP_1) | instid1(SALU_CYCLE_1)
	v_cmp_ne_u32_e32 vcc_lo, 0x7f800000, v150
                                        ; implicit-def: $vgpr150
	s_and_saveexec_b32 s4, vcc_lo
	s_xor_b32 s4, exec_lo, s4
; %bb.37:
	v_bfe_u32 v150, v143, 16, 1
	s_delay_alu instid0(VALU_DEP_1)
	v_add3_u32 v150, v143, v150, 0x7fff
                                        ; implicit-def: $vgpr143
; %bb.38:
	s_and_not1_saveexec_b32 s4, s4
; %bb.39:
	v_and_b32_e32 v150, 0xffff, v143
	v_or_b32_e32 v154, 0x10000, v143
	s_delay_alu instid0(VALU_DEP_2) | instskip(NEXT) | instid1(VALU_DEP_2)
	v_cmp_eq_u32_e32 vcc_lo, 0, v150
	v_cndmask_b32_e32 v150, v154, v143, vcc_lo
; %bb.40:
	s_or_b32 exec_lo, exec_lo, s4
	v_and_b32_e32 v143, 0x7f800000, v140
	s_delay_alu instid0(VALU_DEP_1) | instskip(SKIP_1) | instid1(SALU_CYCLE_1)
	v_cmp_ne_u32_e32 vcc_lo, 0x7f800000, v143
                                        ; implicit-def: $vgpr143
	s_and_saveexec_b32 s4, vcc_lo
	s_xor_b32 s4, exec_lo, s4
; %bb.41:
	v_bfe_u32 v143, v140, 16, 1
	s_delay_alu instid0(VALU_DEP_1)
	v_add3_u32 v143, v140, v143, 0x7fff
                                        ; implicit-def: $vgpr140
; %bb.42:
	s_and_not1_saveexec_b32 s4, s4
; %bb.43:
	v_and_b32_e32 v143, 0xffff, v140
	v_or_b32_e32 v154, 0x10000, v140
	s_delay_alu instid0(VALU_DEP_2) | instskip(NEXT) | instid1(VALU_DEP_2)
	v_cmp_eq_u32_e32 vcc_lo, 0, v143
	v_cndmask_b32_e32 v143, v154, v140, vcc_lo
; %bb.44:
	s_or_b32 exec_lo, exec_lo, s4
	s_load_b64 s[36:37], s[0:1], 0x94
	v_dual_mul_f32 v136, v139, v136 :: v_dual_lshlrev_b32 v155, 4, v146
	s_delay_alu instid0(VALU_DEP_2)
	v_perm_b32 v154, v143, v150, 0x7060302
	v_dual_mul_f32 v143, v139, v131 :: v_dual_lshlrev_b32 v140, 6, v148
	v_dual_mul_f32 v135, v139, v135 :: v_dual_lshlrev_b32 v150, 11, v149
	v_perm_b32 v153, v152, v153, 0x7060302
	v_perm_b32 v152, v151, v144, 0x7060302
	;; [unrolled: 1-line block ×3, first 2 shown]
	s_delay_alu instid0(VALU_DEP_4)
	v_or3_b32 v131, v155, v150, v140
	v_mul_f32_e32 v138, v139, v138
	v_dual_mul_f32 v137, v139, v137 :: v_dual_and_b32 v144, 0x7f800000, v143
	v_mul_f32_e32 v141, v139, v134
	v_mul_f32_e32 v142, v139, v133
	;; [unrolled: 1-line block ×3, first 2 shown]
	s_mov_b32 s4, exec_lo
	ds_store_b128 v131, v[151:154]
                                        ; implicit-def: $vgpr132
	v_cmpx_ne_u32_e32 0x7f800000, v144
	s_xor_b32 s4, exec_lo, s4
; %bb.45:
	v_bfe_u32 v132, v143, 16, 1
	s_delay_alu instid0(VALU_DEP_1)
	v_add3_u32 v132, v143, v132, 0x7fff
                                        ; implicit-def: $vgpr143
; %bb.46:
	s_and_not1_saveexec_b32 s4, s4
; %bb.47:
	v_and_b32_e32 v132, 0xffff, v143
	v_or_b32_e32 v133, 0x10000, v143
	s_delay_alu instid0(VALU_DEP_2) | instskip(NEXT) | instid1(VALU_DEP_2)
	v_cmp_eq_u32_e32 vcc_lo, 0, v132
	v_cndmask_b32_e32 v132, v133, v143, vcc_lo
; %bb.48:
	s_or_b32 exec_lo, exec_lo, s4
	v_and_b32_e32 v133, 0x7f800000, v134
	s_delay_alu instid0(VALU_DEP_1) | instskip(SKIP_1) | instid1(SALU_CYCLE_1)
	v_cmp_ne_u32_e32 vcc_lo, 0x7f800000, v133
                                        ; implicit-def: $vgpr133
	s_and_saveexec_b32 s4, vcc_lo
	s_xor_b32 s4, exec_lo, s4
; %bb.49:
	v_bfe_u32 v133, v134, 16, 1
	s_delay_alu instid0(VALU_DEP_1)
	v_add3_u32 v133, v134, v133, 0x7fff
                                        ; implicit-def: $vgpr134
; %bb.50:
	s_and_not1_saveexec_b32 s4, s4
; %bb.51:
	v_and_b32_e32 v133, 0xffff, v134
	v_or_b32_e32 v139, 0x10000, v134
	s_delay_alu instid0(VALU_DEP_2) | instskip(NEXT) | instid1(VALU_DEP_2)
	v_cmp_eq_u32_e32 vcc_lo, 0, v133
	v_cndmask_b32_e32 v133, v139, v134, vcc_lo
; %bb.52:
	s_or_b32 exec_lo, exec_lo, s4
	v_and_b32_e32 v134, 0x7f800000, v142
	s_delay_alu instid0(VALU_DEP_1) | instskip(SKIP_1) | instid1(SALU_CYCLE_1)
	v_cmp_ne_u32_e32 vcc_lo, 0x7f800000, v134
                                        ; implicit-def: $vgpr134
	s_and_saveexec_b32 s4, vcc_lo
	s_xor_b32 s4, exec_lo, s4
; %bb.53:
	v_bfe_u32 v134, v142, 16, 1
	s_delay_alu instid0(VALU_DEP_1)
	v_add3_u32 v134, v142, v134, 0x7fff
                                        ; implicit-def: $vgpr142
; %bb.54:
	s_and_not1_saveexec_b32 s4, s4
; %bb.55:
	v_and_b32_e32 v134, 0xffff, v142
	v_or_b32_e32 v139, 0x10000, v142
	s_delay_alu instid0(VALU_DEP_2) | instskip(NEXT) | instid1(VALU_DEP_2)
	v_cmp_eq_u32_e32 vcc_lo, 0, v134
	v_cndmask_b32_e32 v134, v139, v142, vcc_lo
; %bb.56:
	s_or_b32 exec_lo, exec_lo, s4
	v_and_b32_e32 v139, 0x7f800000, v141
	s_delay_alu instid0(VALU_DEP_1) | instskip(SKIP_1) | instid1(SALU_CYCLE_1)
	v_cmp_ne_u32_e32 vcc_lo, 0x7f800000, v139
                                        ; implicit-def: $vgpr139
	s_and_saveexec_b32 s4, vcc_lo
	s_xor_b32 s4, exec_lo, s4
; %bb.57:
	v_bfe_u32 v139, v141, 16, 1
	s_delay_alu instid0(VALU_DEP_1)
	v_add3_u32 v139, v141, v139, 0x7fff
                                        ; implicit-def: $vgpr141
; %bb.58:
	s_and_not1_saveexec_b32 s4, s4
; %bb.59:
	v_and_b32_e32 v139, 0xffff, v141
	v_or_b32_e32 v142, 0x10000, v141
	s_delay_alu instid0(VALU_DEP_2) | instskip(NEXT) | instid1(VALU_DEP_2)
	v_cmp_eq_u32_e32 vcc_lo, 0, v139
	v_cndmask_b32_e32 v139, v142, v141, vcc_lo
; %bb.60:
	s_or_b32 exec_lo, exec_lo, s4
	v_and_b32_e32 v141, 0x7f800000, v135
	s_delay_alu instid0(VALU_DEP_1) | instskip(SKIP_1) | instid1(SALU_CYCLE_1)
	v_cmp_ne_u32_e32 vcc_lo, 0x7f800000, v141
                                        ; implicit-def: $vgpr141
	s_and_saveexec_b32 s4, vcc_lo
	s_xor_b32 s4, exec_lo, s4
; %bb.61:
	v_bfe_u32 v141, v135, 16, 1
	s_delay_alu instid0(VALU_DEP_1)
	v_add3_u32 v141, v135, v141, 0x7fff
                                        ; implicit-def: $vgpr135
; %bb.62:
	s_and_not1_saveexec_b32 s4, s4
; %bb.63:
	v_and_b32_e32 v141, 0xffff, v135
	v_or_b32_e32 v142, 0x10000, v135
	s_delay_alu instid0(VALU_DEP_2) | instskip(NEXT) | instid1(VALU_DEP_2)
	v_cmp_eq_u32_e32 vcc_lo, 0, v141
	v_cndmask_b32_e32 v141, v142, v135, vcc_lo
; %bb.64:
	s_or_b32 exec_lo, exec_lo, s4
	v_and_b32_e32 v135, 0x7f800000, v136
	s_delay_alu instid0(VALU_DEP_1) | instskip(SKIP_1) | instid1(SALU_CYCLE_1)
	v_cmp_ne_u32_e32 vcc_lo, 0x7f800000, v135
                                        ; implicit-def: $vgpr135
	s_and_saveexec_b32 s4, vcc_lo
	s_xor_b32 s4, exec_lo, s4
; %bb.65:
	v_bfe_u32 v135, v136, 16, 1
	s_delay_alu instid0(VALU_DEP_1)
	v_add3_u32 v135, v136, v135, 0x7fff
                                        ; implicit-def: $vgpr136
; %bb.66:
	s_and_not1_saveexec_b32 s4, s4
; %bb.67:
	v_and_b32_e32 v135, 0xffff, v136
	v_or_b32_e32 v142, 0x10000, v136
	s_delay_alu instid0(VALU_DEP_2) | instskip(NEXT) | instid1(VALU_DEP_2)
	v_cmp_eq_u32_e32 vcc_lo, 0, v135
	v_cndmask_b32_e32 v135, v142, v136, vcc_lo
; %bb.68:
	s_or_b32 exec_lo, exec_lo, s4
	v_and_b32_e32 v136, 0x7f800000, v137
	s_delay_alu instid0(VALU_DEP_1) | instskip(SKIP_1) | instid1(SALU_CYCLE_1)
	v_cmp_ne_u32_e32 vcc_lo, 0x7f800000, v136
                                        ; implicit-def: $vgpr136
	s_and_saveexec_b32 s4, vcc_lo
	s_xor_b32 s4, exec_lo, s4
; %bb.69:
	v_bfe_u32 v136, v137, 16, 1
	s_delay_alu instid0(VALU_DEP_1)
	v_add3_u32 v136, v137, v136, 0x7fff
                                        ; implicit-def: $vgpr137
; %bb.70:
	s_and_not1_saveexec_b32 s4, s4
; %bb.71:
	v_and_b32_e32 v136, 0xffff, v137
	v_or_b32_e32 v142, 0x10000, v137
	s_delay_alu instid0(VALU_DEP_2) | instskip(NEXT) | instid1(VALU_DEP_2)
	v_cmp_eq_u32_e32 vcc_lo, 0, v136
	v_cndmask_b32_e32 v136, v142, v137, vcc_lo
; %bb.72:
	s_or_b32 exec_lo, exec_lo, s4
	v_and_b32_e32 v137, 0x7f800000, v138
	s_delay_alu instid0(VALU_DEP_1) | instskip(SKIP_1) | instid1(SALU_CYCLE_1)
	v_cmp_ne_u32_e32 vcc_lo, 0x7f800000, v137
                                        ; implicit-def: $vgpr137
	s_and_saveexec_b32 s4, vcc_lo
	s_xor_b32 s4, exec_lo, s4
; %bb.73:
	v_bfe_u32 v137, v138, 16, 1
	s_delay_alu instid0(VALU_DEP_1)
	v_add3_u32 v137, v138, v137, 0x7fff
                                        ; implicit-def: $vgpr138
; %bb.74:
	s_and_not1_saveexec_b32 s4, s4
; %bb.75:
	v_and_b32_e32 v137, 0xffff, v138
	v_or_b32_e32 v142, 0x10000, v138
	s_delay_alu instid0(VALU_DEP_2) | instskip(NEXT) | instid1(VALU_DEP_2)
	v_cmp_eq_u32_e32 vcc_lo, 0, v137
	v_cndmask_b32_e32 v137, v142, v138, vcc_lo
; %bb.76:
	s_or_b32 exec_lo, exec_lo, s4
	s_delay_alu instid0(VALU_DEP_1)
	v_perm_b32 v136, v137, v136, 0x7060302
	v_perm_b32 v135, v135, v141, 0x7060302
	;; [unrolled: 1-line block ×4, first 2 shown]
	v_lshl_or_b32 v141, v149, 11, v140
	ds_store_b128 v131, v[133:136] offset:1024
	s_waitcnt lgkmcnt(0)
	s_barrier
	buffer_gl0_inv
	ds_load_b128 v[132:135], v141
	ds_load_b128 v[149:152], v141 offset:16
	s_waitcnt lgkmcnt(1)
	v_lshrrev_b32_e32 v136, 16, v132
	s_waitcnt lgkmcnt(0)
	v_lshrrev_b32_e32 v164, 16, v151
	v_lshlrev_b32_e32 v138, 2, v146
	v_lshrrev_b32_e32 v143, 16, v149
	v_lshrrev_b32_e32 v162, 16, v150
	;; [unrolled: 1-line block ×4, first 2 shown]
	v_or_b32_e32 v139, 1, v138
	v_lshrrev_b32_e32 v165, 16, v152
	v_lshrrev_b32_e32 v163, 16, v135
	s_delay_alu instid0(VALU_DEP_3)
	v_cmp_eq_u32_e64 s8, 1, v139
	v_cmp_eq_u32_e64 s7, 2, v139
	;; [unrolled: 1-line block ×4, first 2 shown]
	v_cmp_eq_u32_e32 vcc_lo, 5, v139
	v_cndmask_b32_e64 v155, v149, v143, s8
	v_cndmask_b32_e64 v154, v132, v136, s8
	v_cmp_eq_u32_e64 s5, 6, v139
	v_cmp_eq_u32_e64 s20, 7, v139
	s_delay_alu instid0(VALU_DEP_4) | instskip(NEXT) | instid1(VALU_DEP_4)
	v_cndmask_b32_e64 v155, v155, v150, s7
	v_cndmask_b32_e64 v154, v154, v133, s7
	s_delay_alu instid0(VALU_DEP_2) | instskip(NEXT) | instid1(VALU_DEP_2)
	v_cndmask_b32_e64 v155, v155, v162, s6
	v_cndmask_b32_e64 v154, v154, v144, s6
	s_delay_alu instid0(VALU_DEP_2) | instskip(NEXT) | instid1(VALU_DEP_2)
	v_cndmask_b32_e64 v155, v155, v151, s4
	v_cndmask_b32_e64 v154, v154, v134, s4
	s_delay_alu instid0(VALU_DEP_2)
	v_cndmask_b32_e32 v157, v155, v164, vcc_lo
	v_cmp_eq_u32_e64 s13, 1, v138
	v_cmp_eq_u32_e64 s12, 2, v138
	;; [unrolled: 1-line block ×3, first 2 shown]
	v_or_b32_e32 v137, 2, v138
	v_cmp_eq_u32_e64 s18, 4, v138
	v_cndmask_b32_e64 v153, v149, v143, s13
	v_cndmask_b32_e64 v142, v132, v136, s13
	v_cmp_eq_u32_e64 s15, 5, v138
	v_cmp_eq_u32_e64 s9, 1, v137
	;; [unrolled: 1-line block ×3, first 2 shown]
	v_cndmask_b32_e64 v153, v153, v150, s12
	v_cndmask_b32_e64 v142, v142, v133, s12
	v_cmp_eq_u32_e64 s11, 2, v137
	v_cndmask_b32_e64 v156, v132, v136, s9
	v_cndmask_b32_e32 v154, v154, v161, vcc_lo
	v_cndmask_b32_e64 v153, v153, v162, s17
	v_cndmask_b32_e64 v142, v142, v144, s17
	v_cmp_eq_u32_e64 s10, 7, v138
	v_cndmask_b32_e64 v156, v156, v133, s11
	v_cmp_eq_u32_e64 s19, 3, v137
	v_cndmask_b32_e64 v153, v153, v151, s18
	v_cndmask_b32_e64 v142, v142, v134, s18
	;; [unrolled: 1-line block ×3, first 2 shown]
	v_cmp_eq_u32_e64 s21, 4, v137
	v_cndmask_b32_e64 v156, v156, v144, s19
	v_cndmask_b32_e64 v153, v153, v164, s15
	;; [unrolled: 1-line block ×4, first 2 shown]
	v_cmp_eq_u32_e64 s23, 5, v137
	v_cndmask_b32_e64 v159, v156, v134, s21
	v_cndmask_b32_e64 v153, v153, v152, s16
	;; [unrolled: 1-line block ×3, first 2 shown]
	v_cmp_eq_u32_e64 s26, 6, v137
	v_cmp_eq_u32_e64 s28, 7, v137
	v_cndmask_b32_e64 v169, v159, v161, s23
	v_cndmask_b32_e64 v167, v153, v165, s10
	;; [unrolled: 1-line block ×4, first 2 shown]
	v_or_b32_e32 v142, 3, v138
	s_delay_alu instid0(VALU_DEP_3)
	v_cndmask_b32_e64 v158, v153, v150, s11
	ds_load_b128 v[153:156], v141 offset:1024
	v_cmp_eq_u32_e64 s22, 1, v142
	v_cmp_eq_u32_e64 s24, 2, v142
	;; [unrolled: 1-line block ×3, first 2 shown]
	v_cndmask_b32_e64 v158, v158, v162, s19
	v_cmp_eq_u32_e64 s27, 4, v142
	v_cndmask_b32_e64 v132, v132, v136, s22
	v_cndmask_b32_e64 v136, v157, v152, s5
	;; [unrolled: 1-line block ×4, first 2 shown]
	ds_load_b128 v[157:160], v141 offset:1040
	v_cndmask_b32_e64 v132, v132, v133, s24
	v_cmp_eq_u32_e64 s29, 5, v142
	v_cndmask_b32_e64 v143, v143, v150, s24
	v_cmp_eq_u32_e64 s30, 6, v142
	v_cndmask_b32_e64 v133, v170, v164, s23
	v_cndmask_b32_e64 v132, v132, v144, s25
	;; [unrolled: 1-line block ×5, first 2 shown]
	s_waitcnt lgkmcnt(1)
	v_lshrrev_b32_e32 v149, 16, v153
	v_cndmask_b32_e64 v132, v132, v134, s27
	v_cndmask_b32_e64 v133, v133, v152, s26
	;; [unrolled: 1-line block ×3, first 2 shown]
	v_lshrrev_b32_e32 v151, 16, v154
	v_cndmask_b32_e64 v143, v153, v149, s13
	v_cndmask_b32_e64 v132, v132, v161, s29
	;; [unrolled: 1-line block ×5, first 2 shown]
	s_waitcnt lgkmcnt(0)
	v_lshrrev_b32_e32 v150, 16, v157
	v_cndmask_b32_e64 v143, v143, v154, s12
	v_cndmask_b32_e64 v132, v132, v135, s30
	;; [unrolled: 1-line block ×3, first 2 shown]
	v_lshrrev_b32_e32 v164, 16, v159
	v_cndmask_b32_e64 v162, v157, v150, s13
	v_cndmask_b32_e64 v135, v143, v151, s17
	;; [unrolled: 1-line block ×3, first 2 shown]
	v_lshrrev_b32_e32 v161, 16, v158
	v_cndmask_b32_e64 v133, v133, v165, s28
	v_cndmask_b32_e64 v152, v162, v158, s12
	v_cmp_eq_u32_e64 s12, 7, v142
	v_cndmask_b32_e64 v143, v143, v151, s6
	v_cndmask_b32_e64 v135, v135, v155, s18
	v_lshrrev_b32_e32 v162, 16, v155
	v_cndmask_b32_e64 v152, v152, v161, s17
	v_cndmask_b32_e64 v132, v132, v163, s12
	;; [unrolled: 1-line block ×6, first 2 shown]
	s_delay_alu instid0(VALU_DEP_4) | instskip(NEXT) | instid1(VALU_DEP_4)
	v_perm_b32 v135, v134, v132, 0x5040100
	v_cndmask_b32_e32 v132, v143, v162, vcc_lo
	s_delay_alu instid0(VALU_DEP_4)
	v_cndmask_b32_e64 v143, v163, v156, s16
	v_lshrrev_b32_e32 v163, 16, v156
	v_cndmask_b32_e64 v152, v152, v164, s15
	v_perm_b32 v134, v133, v144, 0x5040100
	v_cndmask_b32_e64 v132, v132, v156, s5
	v_perm_b32 v133, v136, v168, 0x5040100
	v_cndmask_b32_e64 v136, v143, v163, s10
	v_cndmask_b32_e64 v143, v152, v160, s16
	;; [unrolled: 1-line block ×13, first 2 shown]
	v_lshrrev_b32_e32 v144, 16, v160
	v_cndmask_b32_e64 v132, v132, v151, s19
	v_cndmask_b32_e64 v149, v149, v151, s25
	;; [unrolled: 1-line block ×14, first 2 shown]
	v_cndmask_b32_e32 v150, v150, v164, vcc_lo
	v_cndmask_b32_e64 v132, v132, v156, s26
	v_cndmask_b32_e64 v149, v149, v156, s30
	;; [unrolled: 1-line block ×11, first 2 shown]
	v_perm_b32 v132, v167, v166, 0x5040100
	v_perm_b32 v152, v151, v149, 0x5040100
	v_perm_b32 v151, v154, v153, 0x5040100
	v_perm_b32 v150, v150, v165, 0x5040100
	v_perm_b32 v149, v143, v136, 0x5040100
	s_mul_i32 s9, s37, 5
	s_mov_b32 s4, exec_lo
	ds_store_b128 v131, v[132:135]
	ds_store_b128 v131, v[149:152] offset:1024
	v_cmpx_gt_u32_e32 5, v0
	s_cbranch_execz .LBB446_78
; %bb.77:
	s_mul_i32 s5, s9, s34
	s_load_b128 s[16:19], s[0:1], 0x58
	v_add3_u32 v133, s5, s31, v148
	s_delay_alu instid0(VALU_DEP_1) | instskip(NEXT) | instid1(VALU_DEP_1)
	v_mad_u64_u32 v[131:132], null, v133, s36, s[14:15]
	v_ashrrev_i32_e32 v132, 31, v131
	s_delay_alu instid0(VALU_DEP_1) | instskip(SKIP_1) | instid1(VALU_DEP_1)
	v_lshlrev_b64 v[131:132], 2, v[131:132]
	s_waitcnt lgkmcnt(0)
	v_add_co_u32 v133, vcc_lo, s18, v131
	s_delay_alu instid0(VALU_DEP_2)
	v_add_co_ci_u32_e32 v134, vcc_lo, s19, v132, vcc_lo
	v_add_co_u32 v131, vcc_lo, s16, v131
	v_add_co_ci_u32_e32 v132, vcc_lo, s17, v132, vcc_lo
	global_store_b32 v[133:134], v129, off
	global_store_b32 v[131:132], v130, off
.LBB446_78:
	s_or_b32 exec_lo, exec_lo, s4
	s_waitcnt lgkmcnt(0)
	s_waitcnt_vscnt null, 0x0
	s_barrier
	buffer_gl0_inv
	ds_load_b128 v[148:151], v140
	ds_load_b128 v[152:155], v140 offset:16
	ds_load_b128 v[160:163], v140 offset:1040
	;; [unrolled: 1-line block ×3, first 2 shown]
	v_mov_b32_e32 v129, 0
	ds_load_b128 v[168:171], v140 offset:2064
	ds_load_b128 v[164:167], v140 offset:2048
	;; [unrolled: 1-line block ×6, first 2 shown]
	v_mov_b32_e32 v130, v129
	v_mov_b32_e32 v131, v129
	;; [unrolled: 1-line block ×7, first 2 shown]
	s_waitcnt lgkmcnt(8)
	s_delay_alu instid0(VALU_DEP_1)
	v_wmma_f32_16x16x16_bf16 v[129:136], v[121:128], v[148:155], v[129:136]
	ds_load_b128 v[125:128], v140 offset:5136
	ds_load_b128 v[121:124], v140 offset:5120
	s_waitcnt lgkmcnt(8)
	v_wmma_f32_16x16x16_bf16 v[129:136], v[113:120], v[156:163], v[129:136]
	ds_load_b128 v[117:120], v140 offset:6160
	ds_load_b128 v[113:116], v140 offset:6144
	s_waitcnt lgkmcnt(8)
	;; [unrolled: 4-line block ×8, first 2 shown]
	v_wmma_f32_16x16x16_bf16 v[129:136], v[65:72], v[97:104], v[129:136]
	s_waitcnt lgkmcnt(6)
	s_delay_alu instid0(VALU_DEP_1)
	v_wmma_f32_16x16x16_bf16 v[129:136], v[49:56], v[89:96], v[129:136]
	ds_load_b128 v[53:56], v140 offset:13328
	ds_load_b128 v[49:52], v140 offset:13312
	s_waitcnt lgkmcnt(6)
	v_wmma_f32_16x16x16_bf16 v[129:136], v[41:48], v[81:88], v[129:136]
	ds_load_b128 v[45:48], v140 offset:14352
	ds_load_b128 v[41:44], v140 offset:14336
	s_waitcnt lgkmcnt(6)
	;; [unrolled: 4-line block ×3, first 2 shown]
	v_wmma_f32_16x16x16_bf16 v[129:136], v[1:8], v[57:64], v[129:136]
	s_waitcnt lgkmcnt(4)
	s_delay_alu instid0(VALU_DEP_1) | instskip(SKIP_1) | instid1(VALU_DEP_1)
	v_wmma_f32_16x16x16_bf16 v[129:136], v[25:32], v[49:56], v[129:136]
	s_waitcnt lgkmcnt(2)
	v_wmma_f32_16x16x16_bf16 v[129:136], v[33:40], v[41:48], v[129:136]
	s_waitcnt lgkmcnt(0)
	s_delay_alu instid0(VALU_DEP_1) | instskip(NEXT) | instid1(VALU_DEP_1)
	v_wmma_f32_16x16x16_bf16 v[129:136], v[9:16], v[17:24], v[129:136]
	v_and_b32_e32 v1, 0x7f800000, v129
	s_delay_alu instid0(VALU_DEP_1) | instskip(SKIP_1) | instid1(SALU_CYCLE_1)
	v_cmp_ne_u32_e32 vcc_lo, 0x7f800000, v1
                                        ; implicit-def: $vgpr1
	s_and_saveexec_b32 s4, vcc_lo
	s_xor_b32 s4, exec_lo, s4
; %bb.79:
	v_bfe_u32 v1, v129, 16, 1
	s_delay_alu instid0(VALU_DEP_1)
	v_add3_u32 v1, v129, v1, 0x7fff
; %bb.80:
	s_and_not1_saveexec_b32 s4, s4
; %bb.81:
	v_and_b32_e32 v1, 0xffff, v129
	v_or_b32_e32 v2, 0x10000, v129
	s_delay_alu instid0(VALU_DEP_2) | instskip(NEXT) | instid1(VALU_DEP_2)
	v_cmp_eq_u32_e32 vcc_lo, 0, v1
	v_cndmask_b32_e32 v1, v2, v129, vcc_lo
; %bb.82:
	s_or_b32 exec_lo, exec_lo, s4
	v_and_b32_e32 v2, 0x7f800000, v130
	s_delay_alu instid0(VALU_DEP_1) | instskip(SKIP_1) | instid1(SALU_CYCLE_1)
	v_cmp_ne_u32_e32 vcc_lo, 0x7f800000, v2
                                        ; implicit-def: $vgpr2
	s_and_saveexec_b32 s4, vcc_lo
	s_xor_b32 s4, exec_lo, s4
; %bb.83:
	v_bfe_u32 v2, v130, 16, 1
	s_delay_alu instid0(VALU_DEP_1)
	v_add3_u32 v2, v130, v2, 0x7fff
; %bb.84:
	s_and_not1_saveexec_b32 s4, s4
; %bb.85:
	v_and_b32_e32 v2, 0xffff, v130
	v_or_b32_e32 v3, 0x10000, v130
	s_delay_alu instid0(VALU_DEP_2) | instskip(NEXT) | instid1(VALU_DEP_2)
	v_cmp_eq_u32_e32 vcc_lo, 0, v2
	v_cndmask_b32_e32 v2, v3, v130, vcc_lo
; %bb.86:
	s_or_b32 exec_lo, exec_lo, s4
	v_and_b32_e32 v3, 0x7f800000, v131
	s_delay_alu instid0(VALU_DEP_1) | instskip(SKIP_1) | instid1(SALU_CYCLE_1)
	v_cmp_ne_u32_e32 vcc_lo, 0x7f800000, v3
                                        ; implicit-def: $vgpr3
	s_and_saveexec_b32 s4, vcc_lo
	s_xor_b32 s4, exec_lo, s4
; %bb.87:
	v_bfe_u32 v3, v131, 16, 1
	s_delay_alu instid0(VALU_DEP_1)
	v_add3_u32 v3, v131, v3, 0x7fff
; %bb.88:
	s_and_not1_saveexec_b32 s4, s4
; %bb.89:
	v_and_b32_e32 v3, 0xffff, v131
	v_or_b32_e32 v4, 0x10000, v131
	s_delay_alu instid0(VALU_DEP_2) | instskip(NEXT) | instid1(VALU_DEP_2)
	v_cmp_eq_u32_e32 vcc_lo, 0, v3
	v_cndmask_b32_e32 v3, v4, v131, vcc_lo
; %bb.90:
	s_or_b32 exec_lo, exec_lo, s4
	v_and_b32_e32 v4, 0x7f800000, v132
	s_delay_alu instid0(VALU_DEP_1) | instskip(SKIP_1) | instid1(SALU_CYCLE_1)
	v_cmp_ne_u32_e32 vcc_lo, 0x7f800000, v4
                                        ; implicit-def: $vgpr4
	s_and_saveexec_b32 s4, vcc_lo
	s_xor_b32 s4, exec_lo, s4
; %bb.91:
	v_bfe_u32 v4, v132, 16, 1
	s_delay_alu instid0(VALU_DEP_1)
	v_add3_u32 v4, v132, v4, 0x7fff
; %bb.92:
	s_and_not1_saveexec_b32 s4, s4
; %bb.93:
	v_and_b32_e32 v4, 0xffff, v132
	v_or_b32_e32 v5, 0x10000, v132
	s_delay_alu instid0(VALU_DEP_2) | instskip(NEXT) | instid1(VALU_DEP_2)
	v_cmp_eq_u32_e32 vcc_lo, 0, v4
	v_cndmask_b32_e32 v4, v5, v132, vcc_lo
; %bb.94:
	s_or_b32 exec_lo, exec_lo, s4
	v_and_b32_e32 v5, 0x7f800000, v133
	s_delay_alu instid0(VALU_DEP_1) | instskip(SKIP_1) | instid1(SALU_CYCLE_1)
	v_cmp_ne_u32_e32 vcc_lo, 0x7f800000, v5
                                        ; implicit-def: $vgpr5
	s_and_saveexec_b32 s4, vcc_lo
	s_xor_b32 s4, exec_lo, s4
; %bb.95:
	v_bfe_u32 v5, v133, 16, 1
	s_delay_alu instid0(VALU_DEP_1)
	v_add3_u32 v5, v133, v5, 0x7fff
; %bb.96:
	s_and_not1_saveexec_b32 s4, s4
; %bb.97:
	v_and_b32_e32 v5, 0xffff, v133
	v_or_b32_e32 v6, 0x10000, v133
	s_delay_alu instid0(VALU_DEP_2) | instskip(NEXT) | instid1(VALU_DEP_2)
	v_cmp_eq_u32_e32 vcc_lo, 0, v5
	v_cndmask_b32_e32 v5, v6, v133, vcc_lo
; %bb.98:
	s_or_b32 exec_lo, exec_lo, s4
	v_and_b32_e32 v6, 0x7f800000, v134
	s_delay_alu instid0(VALU_DEP_1) | instskip(SKIP_1) | instid1(SALU_CYCLE_1)
	v_cmp_ne_u32_e32 vcc_lo, 0x7f800000, v6
                                        ; implicit-def: $vgpr6
	s_and_saveexec_b32 s4, vcc_lo
	s_xor_b32 s4, exec_lo, s4
; %bb.99:
	v_bfe_u32 v6, v134, 16, 1
	s_delay_alu instid0(VALU_DEP_1)
	v_add3_u32 v6, v134, v6, 0x7fff
; %bb.100:
	s_and_not1_saveexec_b32 s4, s4
; %bb.101:
	v_and_b32_e32 v6, 0xffff, v134
	v_or_b32_e32 v7, 0x10000, v134
	s_delay_alu instid0(VALU_DEP_2) | instskip(NEXT) | instid1(VALU_DEP_2)
	v_cmp_eq_u32_e32 vcc_lo, 0, v6
	v_cndmask_b32_e32 v6, v7, v134, vcc_lo
; %bb.102:
	s_or_b32 exec_lo, exec_lo, s4
	v_and_b32_e32 v7, 0x7f800000, v135
	s_delay_alu instid0(VALU_DEP_1) | instskip(SKIP_1) | instid1(SALU_CYCLE_1)
	v_cmp_ne_u32_e32 vcc_lo, 0x7f800000, v7
                                        ; implicit-def: $vgpr7
	s_and_saveexec_b32 s4, vcc_lo
	s_xor_b32 s4, exec_lo, s4
; %bb.103:
	v_bfe_u32 v7, v135, 16, 1
	s_delay_alu instid0(VALU_DEP_1)
	v_add3_u32 v7, v135, v7, 0x7fff
; %bb.104:
	s_and_not1_saveexec_b32 s4, s4
; %bb.105:
	v_and_b32_e32 v7, 0xffff, v135
	v_or_b32_e32 v8, 0x10000, v135
	s_delay_alu instid0(VALU_DEP_2) | instskip(NEXT) | instid1(VALU_DEP_2)
	v_cmp_eq_u32_e32 vcc_lo, 0, v7
	v_cndmask_b32_e32 v7, v8, v135, vcc_lo
; %bb.106:
	s_or_b32 exec_lo, exec_lo, s4
	v_and_b32_e32 v8, 0x7f800000, v136
	s_delay_alu instid0(VALU_DEP_1) | instskip(SKIP_1) | instid1(SALU_CYCLE_1)
	v_cmp_ne_u32_e32 vcc_lo, 0x7f800000, v8
                                        ; implicit-def: $vgpr8
	s_and_saveexec_b32 s4, vcc_lo
	s_xor_b32 s4, exec_lo, s4
; %bb.107:
	v_bfe_u32 v8, v136, 16, 1
	s_delay_alu instid0(VALU_DEP_1)
	v_add3_u32 v8, v136, v8, 0x7fff
                                        ; implicit-def: $vgpr129_vgpr130_vgpr131_vgpr132_vgpr133_vgpr134_vgpr135_vgpr136
; %bb.108:
	s_and_not1_saveexec_b32 s4, s4
; %bb.109:
	v_and_b32_e32 v8, 0xffff, v136
	v_or_b32_e32 v9, 0x10000, v136
	s_delay_alu instid0(VALU_DEP_2) | instskip(NEXT) | instid1(VALU_DEP_2)
	v_cmp_eq_u32_e32 vcc_lo, 0, v8
	v_cndmask_b32_e32 v8, v9, v136, vcc_lo
; %bb.110:
	s_or_b32 exec_lo, exec_lo, s4
	s_delay_alu instid0(VALU_DEP_1)
	v_perm_b32 v7, v8, v7, 0x7060302
	v_perm_b32 v6, v6, v5, 0x7060302
	;; [unrolled: 1-line block ×4, first 2 shown]
	v_lshl_or_b32 v9, v146, 4, v141
	s_barrier
	buffer_gl0_inv
	v_cmp_eq_u32_e32 vcc_lo, 1, v138
	ds_store_b128 v9, v[4:7]
	s_waitcnt lgkmcnt(0)
	s_barrier
	buffer_gl0_inv
	ds_load_b128 v[1:4], v141
	ds_load_b128 v[5:8], v141 offset:16
	v_cmp_eq_u32_e64 s5, 2, v138
	v_cmp_eq_u32_e64 s4, 1, v139
	;; [unrolled: 1-line block ×5, first 2 shown]
	s_waitcnt lgkmcnt(1)
	v_lshrrev_b32_e32 v10, 16, v1
	s_waitcnt lgkmcnt(0)
	v_lshrrev_b32_e32 v14, 16, v5
	v_lshrrev_b32_e32 v15, 16, v6
	;; [unrolled: 1-line block ×4, first 2 shown]
	v_cndmask_b32_e64 v20, v1, v10, s4
	v_cndmask_b32_e32 v19, v5, v14, vcc_lo
	v_cndmask_b32_e64 v21, v5, v14, s4
	v_lshrrev_b32_e32 v16, 16, v7
	v_cmp_eq_u32_e64 s4, 1, v137
	v_lshrrev_b32_e32 v13, 16, v4
	v_cndmask_b32_e64 v19, v19, v6, s5
	v_lshrrev_b32_e32 v17, 16, v8
	s_delay_alu instid0(VALU_DEP_4) | instskip(SKIP_1) | instid1(VALU_DEP_4)
	v_cndmask_b32_e64 v22, v1, v10, s4
	v_cndmask_b32_e64 v23, v5, v14, s4
	;; [unrolled: 1-line block ×3, first 2 shown]
	v_cndmask_b32_e32 v18, v1, v10, vcc_lo
	v_cmp_eq_u32_e32 vcc_lo, 2, v139
	v_cmp_eq_u32_e64 s4, 2, v142
	v_cndmask_b32_e64 v22, v22, v2, s8
	v_cndmask_b32_e32 v20, v20, v2, vcc_lo
	v_cndmask_b32_e32 v21, v21, v6, vcc_lo
	v_cmp_eq_u32_e32 vcc_lo, 4, v138
	v_cndmask_b32_e32 v19, v19, v7, vcc_lo
	v_cndmask_b32_e64 v18, v18, v2, s5
	v_cmp_eq_u32_e64 s5, 3, v139
	s_delay_alu instid0(VALU_DEP_2) | instskip(NEXT) | instid1(VALU_DEP_2)
	v_cndmask_b32_e64 v18, v18, v11, s6
	v_cndmask_b32_e64 v21, v21, v15, s5
	v_cmp_eq_u32_e64 s6, 5, v138
	s_delay_alu instid0(VALU_DEP_3) | instskip(SKIP_1) | instid1(VALU_DEP_3)
	v_cndmask_b32_e32 v18, v18, v3, vcc_lo
	v_cmp_eq_u32_e32 vcc_lo, 4, v139
	v_cndmask_b32_e64 v19, v19, v16, s6
	s_delay_alu instid0(VALU_DEP_3) | instskip(SKIP_4) | instid1(VALU_DEP_3)
	v_cndmask_b32_e64 v18, v18, v12, s6
	v_cndmask_b32_e32 v21, v21, v7, vcc_lo
	v_cndmask_b32_e64 v20, v20, v11, s5
	v_cmp_eq_u32_e64 s5, 5, v139
	v_cmp_eq_u32_e64 s6, 6, v138
	v_cndmask_b32_e32 v20, v20, v3, vcc_lo
	s_delay_alu instid0(VALU_DEP_3) | instskip(SKIP_1) | instid1(VALU_DEP_4)
	v_cndmask_b32_e64 v21, v21, v16, s5
	v_cmp_eq_u32_e32 vcc_lo, 6, v139
	v_cndmask_b32_e64 v18, v18, v4, s6
	v_cndmask_b32_e64 v19, v19, v8, s6
	;; [unrolled: 1-line block ×3, first 2 shown]
	v_cmp_eq_u32_e64 s5, 1, v142
	v_cmp_eq_u32_e64 s6, 7, v138
	s_delay_alu instid0(VALU_DEP_3) | instskip(NEXT) | instid1(VALU_DEP_3)
	v_cndmask_b32_e32 v20, v20, v4, vcc_lo
	v_cndmask_b32_e64 v1, v1, v10, s5
	v_cndmask_b32_e64 v5, v5, v14, s5
	v_cmp_eq_u32_e64 s5, 3, v137
	v_cndmask_b32_e64 v14, v23, v6, s8
	v_cmp_eq_u32_e64 s8, 3, v142
	v_cndmask_b32_e64 v1, v1, v2, s4
	v_cndmask_b32_e64 v2, v5, v6, s4
	;; [unrolled: 1-line block ×3, first 2 shown]
	v_cmp_eq_u32_e64 s4, 4, v137
	v_cndmask_b32_e64 v6, v14, v15, s5
	v_cndmask_b32_e64 v1, v1, v11, s8
	v_cmp_eq_u32_e64 s5, 4, v142
	v_cndmask_b32_e64 v2, v2, v15, s8
	v_cndmask_b32_e64 v5, v10, v3, s4
	;; [unrolled: 3-line block ×3, first 2 shown]
	v_cndmask_b32_e64 v2, v2, v7, s5
	v_cmp_eq_u32_e64 s4, 5, v142
	v_cndmask_b32_e64 v5, v5, v12, s8
	v_cmp_eq_u32_e64 s5, 6, v137
	v_cndmask_b32_e64 v3, v6, v16, s8
	v_cmp_eq_u32_e64 s8, 6, v142
	v_cndmask_b32_e64 v1, v1, v12, s4
	v_cndmask_b32_e64 v2, v2, v16, s4
	;; [unrolled: 1-line block ×4, first 2 shown]
	v_cmp_eq_u32_e64 s4, 7, v142
	v_cndmask_b32_e64 v1, v1, v4, s8
	v_cndmask_b32_e64 v2, v2, v8, s8
	v_cmp_eq_u32_e64 s5, 7, v137
	v_cndmask_b32_e32 v4, v21, v8, vcc_lo
	v_cndmask_b32_e64 v18, v18, v13, s6
	v_cndmask_b32_e64 v20, v20, v13, s7
	;; [unrolled: 1-line block ×8, first 2 shown]
	v_cmp_gt_u32_e32 vcc_lo, 32, v0
	v_perm_b32 v4, v2, v1, 0x5040100
	v_perm_b32 v3, v3, v5, 0x5040100
	v_perm_b32 v2, v6, v20, 0x5040100
	v_perm_b32 v1, v7, v18, 0x5040100
	s_and_b32 s2, vcc_lo, s2
	ds_store_b128 v9, v[1:4]
	s_waitcnt lgkmcnt(0)
	s_barrier
	buffer_gl0_inv
	s_and_saveexec_b32 s4, s2
	s_cbranch_execz .LBB446_2
; %bb.111:
	s_load_b64 s[4:5], s[0:1], 0x68
	v_lshlrev_b32_e32 v0, 10, v0
	v_add_nc_u32_e32 v2, s31, v146
	v_lshlrev_b32_e32 v3, 4, v147
	s_lshl_b32 s0, s36, 6
	s_delay_alu instid0(SALU_CYCLE_1) | instskip(NEXT) | instid1(VALU_DEP_2)
	s_mul_i32 s1, s0, s34
	v_mul_lo_u32 v1, v2, s0
	s_delay_alu instid0(VALU_DEP_2) | instskip(SKIP_2) | instid1(SALU_CYCLE_1)
	v_and_or_b32 v0, 0x3800, v0, v3
	v_add_nc_u32_e32 v2, 2, v2
	s_mul_i32 s6, s1, s9
	s_ashr_i32 s7, s6, 31
	s_delay_alu instid0(VALU_DEP_2)
	v_lshl_or_b32 v7, v146, 6, v0
	s_lshl_b64 s[6:7], s[6:7], 1
	v_mul_lo_u32 v11, v2, s0
	v_ashrrev_i32_e32 v2, 31, v1
	ds_load_b128 v[3:6], v7
	ds_load_b128 v[7:10], v7 offset:128
	s_waitcnt lgkmcnt(0)
	s_add_u32 s1, s4, s6
	s_addc_u32 s2, s5, s7
	s_lshl_b32 s4, s14, 6
	v_ashrrev_i32_e32 v12, 31, v11
	s_ashr_i32 s5, s4, 31
	v_lshlrev_b64 v[13:14], 1, v[1:2]
	s_lshl_b64 s[4:5], s[4:5], 1
	s_delay_alu instid0(SALU_CYCLE_1) | instskip(SKIP_2) | instid1(VALU_DEP_1)
	s_add_u32 s1, s1, s4
	s_addc_u32 s2, s2, s5
	v_add_co_u32 v1, s1, s1, v145
	v_add_co_ci_u32_e64 v2, null, s2, 0, s1
	v_lshlrev_b64 v[11:12], 1, v[11:12]
	s_delay_alu instid0(VALU_DEP_3) | instskip(NEXT) | instid1(VALU_DEP_3)
	v_add_co_u32 v13, vcc_lo, v1, v13
	v_add_co_ci_u32_e32 v14, vcc_lo, v2, v14, vcc_lo
	s_delay_alu instid0(VALU_DEP_3) | instskip(NEXT) | instid1(VALU_DEP_4)
	v_add_co_u32 v11, vcc_lo, v1, v11
	v_add_co_ci_u32_e32 v12, vcc_lo, v2, v12, vcc_lo
	s_clause 0x1
	global_store_b128 v[13:14], v[3:6], off
	global_store_b128 v[11:12], v[7:10], off
	s_and_b32 exec_lo, exec_lo, s3
	s_cbranch_execz .LBB446_2
; %bb.112:
	ds_load_b128 v[3:6], v0 offset:256
	s_add_i32 s1, s31, 4
	s_delay_alu instid0(SALU_CYCLE_1) | instskip(NEXT) | instid1(SALU_CYCLE_1)
	s_mul_i32 s0, s1, s0
	s_ashr_i32 s1, s0, 31
	s_delay_alu instid0(SALU_CYCLE_1) | instskip(NEXT) | instid1(SALU_CYCLE_1)
	s_lshl_b64 s[0:1], s[0:1], 1
	v_add_co_u32 v0, vcc_lo, v1, s0
	v_add_co_ci_u32_e32 v1, vcc_lo, s1, v2, vcc_lo
	s_waitcnt lgkmcnt(0)
	global_store_b128 v[0:1], v[3:6], off
	s_nop 0
	s_sendmsg sendmsg(MSG_DEALLOC_VGPRS)
	s_endpgm
	.section	.rodata,"a",@progbits
	.p2align	6, 0x0
	.amdhsa_kernel _Z39paged_attention_ll4mi_QKV_mfma16_kernelI14__hip_bfloat16S0_LN4vllm18Fp8KVCacheDataTypeE0ES0_Li16ELi64ELi256ELb1ELi5EL8MFMAType0EEvPKT_PKT0_S9_ifPKiSB_SB_iPKfiiiPfSE_PS4_PT2_iSD_SD_
		.amdhsa_group_segment_fixed_size 17472
		.amdhsa_private_segment_fixed_size 0
		.amdhsa_kernarg_size 400
		.amdhsa_user_sgpr_count 13
		.amdhsa_user_sgpr_dispatch_ptr 0
		.amdhsa_user_sgpr_queue_ptr 0
		.amdhsa_user_sgpr_kernarg_segment_ptr 1
		.amdhsa_user_sgpr_dispatch_id 0
		.amdhsa_user_sgpr_private_segment_size 0
		.amdhsa_wavefront_size32 1
		.amdhsa_uses_dynamic_stack 0
		.amdhsa_enable_private_segment 0
		.amdhsa_system_sgpr_workgroup_id_x 1
		.amdhsa_system_sgpr_workgroup_id_y 1
		.amdhsa_system_sgpr_workgroup_id_z 1
		.amdhsa_system_sgpr_workgroup_info 0
		.amdhsa_system_vgpr_workitem_id 0
		.amdhsa_next_free_vgpr 198
		.amdhsa_next_free_sgpr 52
		.amdhsa_reserve_vcc 1
		.amdhsa_float_round_mode_32 0
		.amdhsa_float_round_mode_16_64 0
		.amdhsa_float_denorm_mode_32 3
		.amdhsa_float_denorm_mode_16_64 3
		.amdhsa_dx10_clamp 1
		.amdhsa_ieee_mode 1
		.amdhsa_fp16_overflow 0
		.amdhsa_workgroup_processor_mode 1
		.amdhsa_memory_ordered 1
		.amdhsa_forward_progress 0
		.amdhsa_shared_vgpr_count 0
		.amdhsa_exception_fp_ieee_invalid_op 0
		.amdhsa_exception_fp_denorm_src 0
		.amdhsa_exception_fp_ieee_div_zero 0
		.amdhsa_exception_fp_ieee_overflow 0
		.amdhsa_exception_fp_ieee_underflow 0
		.amdhsa_exception_fp_ieee_inexact 0
		.amdhsa_exception_int_div_zero 0
	.end_amdhsa_kernel
	.section	.text._Z39paged_attention_ll4mi_QKV_mfma16_kernelI14__hip_bfloat16S0_LN4vllm18Fp8KVCacheDataTypeE0ES0_Li16ELi64ELi256ELb1ELi5EL8MFMAType0EEvPKT_PKT0_S9_ifPKiSB_SB_iPKfiiiPfSE_PS4_PT2_iSD_SD_,"axG",@progbits,_Z39paged_attention_ll4mi_QKV_mfma16_kernelI14__hip_bfloat16S0_LN4vllm18Fp8KVCacheDataTypeE0ES0_Li16ELi64ELi256ELb1ELi5EL8MFMAType0EEvPKT_PKT0_S9_ifPKiSB_SB_iPKfiiiPfSE_PS4_PT2_iSD_SD_,comdat
.Lfunc_end446:
	.size	_Z39paged_attention_ll4mi_QKV_mfma16_kernelI14__hip_bfloat16S0_LN4vllm18Fp8KVCacheDataTypeE0ES0_Li16ELi64ELi256ELb1ELi5EL8MFMAType0EEvPKT_PKT0_S9_ifPKiSB_SB_iPKfiiiPfSE_PS4_PT2_iSD_SD_, .Lfunc_end446-_Z39paged_attention_ll4mi_QKV_mfma16_kernelI14__hip_bfloat16S0_LN4vllm18Fp8KVCacheDataTypeE0ES0_Li16ELi64ELi256ELb1ELi5EL8MFMAType0EEvPKT_PKT0_S9_ifPKiSB_SB_iPKfiiiPfSE_PS4_PT2_iSD_SD_
                                        ; -- End function
	.section	.AMDGPU.csdata,"",@progbits
; Kernel info:
; codeLenInByte = 10016
; NumSgprs: 54
; NumVgprs: 198
; ScratchSize: 0
; MemoryBound: 0
; FloatMode: 240
; IeeeMode: 1
; LDSByteSize: 17472 bytes/workgroup (compile time only)
; SGPRBlocks: 6
; VGPRBlocks: 24
; NumSGPRsForWavesPerEU: 54
; NumVGPRsForWavesPerEU: 198
; Occupancy: 7
; WaveLimiterHint : 1
; COMPUTE_PGM_RSRC2:SCRATCH_EN: 0
; COMPUTE_PGM_RSRC2:USER_SGPR: 13
; COMPUTE_PGM_RSRC2:TRAP_HANDLER: 0
; COMPUTE_PGM_RSRC2:TGID_X_EN: 1
; COMPUTE_PGM_RSRC2:TGID_Y_EN: 1
; COMPUTE_PGM_RSRC2:TGID_Z_EN: 1
; COMPUTE_PGM_RSRC2:TIDIG_COMP_CNT: 0
	.section	.text._Z39paged_attention_ll4mi_QKV_mfma16_kernelI14__hip_bfloat16S0_LN4vllm18Fp8KVCacheDataTypeE0ES0_Li16ELi64ELi256ELb1ELi6EL8MFMAType0EEvPKT_PKT0_S9_ifPKiSB_SB_iPKfiiiPfSE_PS4_PT2_iSD_SD_,"axG",@progbits,_Z39paged_attention_ll4mi_QKV_mfma16_kernelI14__hip_bfloat16S0_LN4vllm18Fp8KVCacheDataTypeE0ES0_Li16ELi64ELi256ELb1ELi6EL8MFMAType0EEvPKT_PKT0_S9_ifPKiSB_SB_iPKfiiiPfSE_PS4_PT2_iSD_SD_,comdat
	.protected	_Z39paged_attention_ll4mi_QKV_mfma16_kernelI14__hip_bfloat16S0_LN4vllm18Fp8KVCacheDataTypeE0ES0_Li16ELi64ELi256ELb1ELi6EL8MFMAType0EEvPKT_PKT0_S9_ifPKiSB_SB_iPKfiiiPfSE_PS4_PT2_iSD_SD_ ; -- Begin function _Z39paged_attention_ll4mi_QKV_mfma16_kernelI14__hip_bfloat16S0_LN4vllm18Fp8KVCacheDataTypeE0ES0_Li16ELi64ELi256ELb1ELi6EL8MFMAType0EEvPKT_PKT0_S9_ifPKiSB_SB_iPKfiiiPfSE_PS4_PT2_iSD_SD_
	.globl	_Z39paged_attention_ll4mi_QKV_mfma16_kernelI14__hip_bfloat16S0_LN4vllm18Fp8KVCacheDataTypeE0ES0_Li16ELi64ELi256ELb1ELi6EL8MFMAType0EEvPKT_PKT0_S9_ifPKiSB_SB_iPKfiiiPfSE_PS4_PT2_iSD_SD_
	.p2align	8
	.type	_Z39paged_attention_ll4mi_QKV_mfma16_kernelI14__hip_bfloat16S0_LN4vllm18Fp8KVCacheDataTypeE0ES0_Li16ELi64ELi256ELb1ELi6EL8MFMAType0EEvPKT_PKT0_S9_ifPKiSB_SB_iPKfiiiPfSE_PS4_PT2_iSD_SD_,@function
_Z39paged_attention_ll4mi_QKV_mfma16_kernelI14__hip_bfloat16S0_LN4vllm18Fp8KVCacheDataTypeE0ES0_Li16ELi64ELi256ELb1ELi6EL8MFMAType0EEvPKT_PKT0_S9_ifPKiSB_SB_iPKfiiiPfSE_PS4_PT2_iSD_SD_: ; @_Z39paged_attention_ll4mi_QKV_mfma16_kernelI14__hip_bfloat16S0_LN4vllm18Fp8KVCacheDataTypeE0ES0_Li16ELi64ELi256ELb1ELi6EL8MFMAType0EEvPKT_PKT0_S9_ifPKiSB_SB_iPKfiiiPfSE_PS4_PT2_iSD_SD_
; %bb.0:
	s_load_b64 s[2:3], s[0:1], 0x30
	s_mov_b32 s30, s13
	s_waitcnt lgkmcnt(0)
	s_cmp_lg_u64 s[2:3], 0
	s_cselect_b32 s8, -1, 0
	s_ashr_i32 s31, s13, 31
	s_cmp_eq_u64 s[2:3], 0
	s_cbranch_scc1 .LBB447_3
; %bb.1:
	s_lshl_b64 s[4:5], s[30:31], 2
	s_delay_alu instid0(SALU_CYCLE_1) | instskip(SKIP_4) | instid1(SALU_CYCLE_1)
	s_add_u32 s4, s2, s4
	s_addc_u32 s5, s3, s5
	s_load_b64 s[4:5], s[4:5], 0x0
	s_waitcnt lgkmcnt(0)
	s_sub_i32 s4, s5, s4
	s_cmp_eq_u32 s4, 1
	s_cselect_b32 s4, -1, 0
	s_delay_alu instid0(SALU_CYCLE_1)
	s_and_not1_b32 vcc_lo, exec_lo, s4
	s_cbranch_vccz .LBB447_4
.LBB447_2:
	s_endpgm
.LBB447_3:
.LBB447_4:
	s_load_b64 s[4:5], s[0:1], 0x28
	s_lshl_b64 s[6:7], s[30:31], 2
	s_waitcnt lgkmcnt(0)
	s_add_u32 s4, s4, s6
	s_addc_u32 s5, s5, s7
	s_lshl_b32 s34, s14, 8
	s_load_b32 s33, s[4:5], 0x0
	s_waitcnt lgkmcnt(0)
	s_cmp_ge_i32 s34, s33
	s_cbranch_scc1 .LBB447_2
; %bb.5:
	s_clause 0x1
	s_load_b128 s[20:23], s[0:1], 0x8
	s_load_b64 s[4:5], s[0:1], 0x20
	s_and_not1_b32 vcc_lo, exec_lo, s8
	s_cbranch_vccnz .LBB447_7
; %bb.6:
	s_add_u32 s2, s2, s6
	s_addc_u32 s3, s3, s7
	s_load_b32 s3, s[2:3], 0x0
	s_branch .LBB447_8
.LBB447_7:
	s_mov_b32 s3, s30
.LBB447_8:
	s_load_b128 s[16:19], s[0:1], 0x48
	v_and_b32_e32 v148, 15, v0
	v_cmp_gt_u32_e32 vcc_lo, 0x60, v0
	v_lshrrev_b32_e32 v149, 5, v0
	v_and_b32_e32 v150, 31, v0
	v_and_b32_e32 v147, 1, v0
	v_lshlrev_b32_e32 v1, 3, v148
	v_cmp_gt_u32_e64 s2, 8, v148
	v_bfe_u32 v146, v0, 4, 1
	s_mul_i32 s31, s15, 6
	s_delay_alu instid0(VALU_DEP_3) | instskip(NEXT) | instid1(VALU_DEP_3)
	v_lshlrev_b32_e32 v145, 1, v1
	s_and_b32 s7, vcc_lo, s2
	s_delay_alu instid0(SALU_CYCLE_1)
	s_and_saveexec_b32 s6, s7
	s_cbranch_execz .LBB447_10
; %bb.9:
	s_load_b64 s[8:9], s[0:1], 0x0
	v_lshl_or_b32 v5, v149, 1, v146
	s_waitcnt lgkmcnt(0)
	s_mul_hi_i32 s11, s3, s16
	s_mul_i32 s10, s3, s16
	v_lshlrev_b32_e32 v6, 10, v148
	s_lshl_b64 s[10:11], s[10:11], 1
	v_add_lshl_u32 v1, v5, s31, 6
	v_lshlrev_b32_e32 v5, 6, v5
	v_lshlrev_b32_e32 v7, 10, v147
	v_and_b32_e32 v6, 0x3800, v6
	s_delay_alu instid0(VALU_DEP_4) | instskip(NEXT) | instid1(VALU_DEP_2)
	v_ashrrev_i32_e32 v2, 31, v1
	v_or3_b32 v5, v6, v7, v5
	s_delay_alu instid0(VALU_DEP_2) | instskip(SKIP_2) | instid1(VALU_DEP_1)
	v_lshlrev_b64 v[1:2], 1, v[1:2]
	s_add_u32 s3, s8, s10
	s_addc_u32 s7, s9, s11
	v_add_co_u32 v1, vcc_lo, s3, v1
	s_delay_alu instid0(VALU_DEP_2) | instskip(NEXT) | instid1(VALU_DEP_2)
	v_add_co_ci_u32_e32 v2, vcc_lo, s7, v2, vcc_lo
	v_add_co_u32 v1, vcc_lo, v1, v145
	s_delay_alu instid0(VALU_DEP_2)
	v_add_co_ci_u32_e32 v2, vcc_lo, 0, v2, vcc_lo
	global_load_b128 v[1:4], v[1:2], off
	s_waitcnt vmcnt(0)
	ds_store_b128 v5, v[1:4]
.LBB447_10:
	s_or_b32 exec_lo, exec_lo, s6
	v_and_b32_e32 v1, 0xef, v0
	s_waitcnt lgkmcnt(0)
	s_add_i32 s3, s33, 15
	s_clause 0x1
	s_load_b32 s6, s[0:1], 0x38
	s_load_b32 s35, s[0:1], 0x1c
	s_ashr_i32 s7, s3, 31
	v_add_nc_u32_e32 v1, s34, v1
	s_lshr_b32 s7, s7, 28
	s_waitcnt lgkmcnt(0)
	s_add_i32 s3, s3, s7
	s_barrier
	v_ashrrev_i32_e32 v2, 31, v1
	v_or_b32_e32 v3, 16, v1
	s_ashr_i32 s3, s3, 4
	v_cmp_gt_i32_e32 vcc_lo, s33, v1
	s_add_i32 s3, s3, -1
	v_lshrrev_b32_e32 v2, 28, v2
	buffer_gl0_inv
	v_mul_lo_u16 v21, v148, 43
	v_lshlrev_b32_e32 v22, 5, v148
	v_add_nc_u32_e32 v4, v1, v2
	s_mul_i32 s6, s30, s6
	s_delay_alu instid0(VALU_DEP_3) | instskip(SKIP_1) | instid1(VALU_DEP_2)
	v_lshrrev_b16 v21, 8, v21
	s_ashr_i32 s7, s6, 31
	v_ashrrev_i32_e32 v4, 4, v4
	v_add_nc_u32_e32 v2, v3, v2
	s_lshl_b64 s[6:7], s[6:7], 2
	v_mul_lo_u16 v21, v21, 6
	s_add_u32 s16, s4, s6
	v_cndmask_b32_e32 v1, s3, v4, vcc_lo
	v_ashrrev_i32_e32 v2, 4, v2
	v_cmp_gt_i32_e32 vcc_lo, s33, v3
	s_addc_u32 s36, s5, s7
	s_mul_i32 s4, s15, s18
	v_sub_nc_u16 v21, v148, v21
	s_ashr_i32 s5, s4, 31
	v_cndmask_b32_e32 v3, s3, v2, vcc_lo
	v_ashrrev_i32_e32 v2, 31, v1
	s_lshl_b64 s[12:13], s[4:5], 1
	v_and_b32_e32 v21, 0xff, v21
	s_add_u32 s26, s20, s12
	v_ashrrev_i32_e32 v4, 31, v3
	v_lshlrev_b64 v[1:2], 2, v[1:2]
	s_addc_u32 s27, s21, s13
	s_lshl_b32 s4, s14, 4
	v_lshlrev_b32_e32 v197, 6, v21
	v_lshlrev_b64 v[3:4], 2, v[3:4]
	s_ashr_i32 s5, s4, 31
	v_add_co_u32 v1, vcc_lo, s16, v1
	v_add_co_ci_u32_e32 v2, vcc_lo, s36, v2, vcc_lo
	s_delay_alu instid0(VALU_DEP_3) | instskip(NEXT) | instid1(VALU_DEP_4)
	v_add_co_u32 v3, vcc_lo, s16, v3
	v_add_co_ci_u32_e32 v4, vcc_lo, s36, v4, vcc_lo
	s_clause 0x1
	global_load_b32 v5, v[1:2], off
	global_load_b32 v6, v[3:4], off
	s_lshl_b64 s[4:5], s[4:5], 2
	v_lshlrev_b32_e32 v3, 4, v0
	s_add_u32 s4, s16, s4
	s_addc_u32 s5, s36, s5
	s_or_b32 s6, s34, 16
	v_lshl_or_b32 v22, v149, 9, v22
	s_ashr_i32 s7, s6, 4
	s_cmp_lt_i32 s6, s33
	s_cselect_b32 s6, s7, s3
	s_delay_alu instid0(SALU_CYCLE_1) | instskip(NEXT) | instid1(SALU_CYCLE_1)
	s_ashr_i32 s7, s6, 31
	s_lshl_b64 s[6:7], s[6:7], 2
	s_delay_alu instid0(SALU_CYCLE_1) | instskip(SKIP_2) | instid1(SALU_CYCLE_1)
	s_add_u32 s6, s16, s6
	s_addc_u32 s7, s36, s7
	s_or_b32 s8, s34, 32
	s_ashr_i32 s9, s8, 4
	s_cmp_lt_i32 s8, s33
	s_cselect_b32 s8, s9, s3
	s_delay_alu instid0(SALU_CYCLE_1) | instskip(NEXT) | instid1(SALU_CYCLE_1)
	s_ashr_i32 s9, s8, 31
	s_lshl_b64 s[8:9], s[8:9], 2
	s_delay_alu instid0(SALU_CYCLE_1) | instskip(SKIP_2) | instid1(SALU_CYCLE_1)
	s_add_u32 s8, s16, s8
	s_addc_u32 s9, s36, s9
	s_or_b32 s10, s34, 48
	;; [unrolled: 10-line block ×4, first 2 shown]
	s_ashr_i32 s18, s15, 4
	s_cmp_lt_i32 s15, s33
	s_cselect_b32 s18, s18, s3
	s_delay_alu instid0(SALU_CYCLE_1) | instskip(NEXT) | instid1(SALU_CYCLE_1)
	s_ashr_i32 s19, s18, 31
	s_lshl_b64 s[18:19], s[18:19], 2
	s_delay_alu instid0(SALU_CYCLE_1)
	s_add_u32 s24, s16, s18
	s_addc_u32 s25, s36, s19
	s_clause 0x5
	s_load_b32 s37, s[4:5], 0x0
	s_load_b32 s29, s[6:7], 0x0
	s_load_b32 s28, s[8:9], 0x0
	s_load_b32 s19, s[10:11], 0x0
	s_load_b32 s18, s[20:21], 0x0
	s_load_b32 s15, s[24:25], 0x0
	s_waitcnt vmcnt(1)
	v_mad_i64_i32 v[1:2], null, v5, s17, 0
	v_and_b32_e32 v5, 0xf0, v3
	s_waitcnt vmcnt(0)
	v_mad_i64_i32 v[3:4], null, v6, s17, 0
	s_delay_alu instid0(VALU_DEP_2) | instskip(NEXT) | instid1(VALU_DEP_4)
	v_add_co_u32 v5, s4, s26, v5
	v_lshlrev_b64 v[1:2], 1, v[1:2]
	v_add_co_ci_u32_e64 v6, null, s27, 0, s4
	s_delay_alu instid0(VALU_DEP_4) | instskip(SKIP_1) | instid1(VALU_DEP_3)
	v_lshlrev_b64 v[3:4], 1, v[3:4]
	s_or_b32 s4, s34, 0x60
	v_add_co_u32 v19, vcc_lo, v5, v1
	s_delay_alu instid0(VALU_DEP_3) | instskip(NEXT) | instid1(VALU_DEP_3)
	v_add_co_ci_u32_e32 v20, vcc_lo, v6, v2, vcc_lo
	v_add_co_u32 v17, vcc_lo, v5, v3
	s_delay_alu instid0(VALU_DEP_4)
	v_add_co_ci_u32_e32 v18, vcc_lo, v6, v4, vcc_lo
	s_clause 0xb
	global_load_b128 v[1:4], v[19:20], off
	global_load_b128 v[5:8], v[19:20], off offset:256
	global_load_b128 v[129:132], v[17:18], off
	global_load_b128 v[133:136], v[17:18], off offset:256
	global_load_b128 v[33:36], v[19:20], off offset:512
	;; [unrolled: 1-line block ×9, first 2 shown]
	ds_load_b128 v[159:162], v197
	ds_load_b128 v[163:166], v197 offset:1024
	s_clause 0x3
	global_load_b128 v[167:170], v[19:20], off offset:1536
	global_load_b128 v[171:174], v[19:20], off offset:1792
	;; [unrolled: 1-line block ×4, first 2 shown]
	s_ashr_i32 s5, s4, 4
	s_cmp_lt_i32 s4, s33
	s_cselect_b32 s4, s5, s3
	s_delay_alu instid0(SALU_CYCLE_1) | instskip(NEXT) | instid1(SALU_CYCLE_1)
	s_ashr_i32 s5, s4, 31
	s_lshl_b64 s[4:5], s[4:5], 2
	s_delay_alu instid0(SALU_CYCLE_1) | instskip(SKIP_2) | instid1(SALU_CYCLE_1)
	s_add_u32 s20, s16, s4
	s_addc_u32 s21, s36, s5
	s_or_b32 s4, s34, 0x70
	s_ashr_i32 s5, s4, 4
	s_cmp_lt_i32 s4, s33
	s_cselect_b32 s4, s5, s3
	s_delay_alu instid0(SALU_CYCLE_1) | instskip(NEXT) | instid1(SALU_CYCLE_1)
	s_ashr_i32 s5, s4, 31
	s_lshl_b64 s[6:7], s[4:5], 2
	s_mov_b32 s4, 0
	s_add_u32 s24, s16, s6
	s_addc_u32 s25, s36, s7
	s_or_b32 s5, s34, 0x80
	s_mov_b32 s11, s4
	s_ashr_i32 s6, s5, 4
	s_cmp_lt_i32 s5, s33
	s_mov_b32 s5, s4
	s_cselect_b32 s8, s6, s3
	s_mov_b32 s6, s4
	s_ashr_i32 s9, s8, 31
	s_mov_b32 s7, s4
	s_lshl_b64 s[8:9], s[8:9], 2
	s_load_b32 s46, s[24:25], 0x0
	s_add_u32 s26, s16, s8
	s_addc_u32 s27, s36, s9
	s_or_b32 s9, s34, 0x90
	s_load_b32 s47, s[26:27], 0x0
	s_ashr_i32 s10, s9, 4
	s_cmp_lt_i32 s9, s33
	s_mov_b32 s8, s4
	s_cselect_b32 s38, s10, s3
	s_mov_b32 s9, s4
	s_ashr_i32 s39, s38, 31
	s_mov_b32 s10, s4
	s_lshl_b64 s[38:39], s[38:39], 2
	v_mov_b32_e32 v144, s11
	s_add_u32 s38, s16, s38
	s_addc_u32 s39, s36, s39
	s_or_b32 s40, s34, 0xa0
	v_mov_b32_e32 v143, s10
	s_ashr_i32 s41, s40, 4
	s_cmp_lt_i32 s40, s33
	v_mov_b32_e32 v142, s9
	s_cselect_b32 s40, s41, s3
	v_mov_b32_e32 v141, s8
	s_ashr_i32 s41, s40, 31
	v_dual_mov_b32 v140, s7 :: v_dual_mov_b32 v139, s6
	v_dual_mov_b32 v138, s5 :: v_dual_mov_b32 v137, s4
	s_lshl_b64 s[4:5], s[40:41], 2
	s_waitcnt lgkmcnt(0)
	s_mul_hi_i32 s7, s29, s17
	s_add_u32 s42, s16, s4
	s_addc_u32 s43, s36, s5
	s_or_b32 s4, s34, 0xb0
	s_mul_hi_i32 s5, s37, s17
	s_ashr_i32 s6, s4, 4
	s_cmp_lt_i32 s4, s33
	s_mul_i32 s4, s37, s17
	s_cselect_b32 s8, s6, s3
	s_mul_i32 s6, s29, s17
	s_ashr_i32 s9, s8, 31
	s_load_b32 s41, s[20:21], 0x0
	s_lshl_b64 s[8:9], s[8:9], 2
	s_load_b32 s40, s[38:39], 0x0
	s_add_u32 s44, s16, s8
	s_addc_u32 s45, s36, s9
	s_or_b32 s8, s34, 0xc0
	s_mul_hi_i32 s9, s28, s17
	s_ashr_i32 s10, s8, 4
	s_cmp_lt_i32 s8, s33
	s_mul_i32 s8, s28, s17
	s_cselect_b32 s28, s10, s3
	s_load_b32 s39, s[42:43], 0x0
	s_ashr_i32 s29, s28, 31
	s_mul_hi_i32 s21, s15, s17
	s_lshl_b64 s[28:29], s[28:29], 2
	s_mul_hi_i32 s27, s46, s17
	s_add_u32 s28, s16, s28
	s_addc_u32 s29, s36, s29
	s_or_b32 s37, s34, 0xd0
	s_mul_i32 s26, s46, s17
	s_ashr_i32 s20, s37, 4
	s_cmp_lt_i32 s37, s33
	s_mul_hi_i32 s11, s19, s17
	s_cselect_b32 s24, s20, s3
	s_mul_i32 s20, s15, s17
	s_ashr_i32 s25, s24, 31
	s_mul_i32 s10, s19, s17
	s_lshl_b64 s[24:25], s[24:25], 2
	s_mul_hi_i32 s19, s18, s17
	s_add_u32 s24, s16, s24
	s_addc_u32 s25, s36, s25
	s_or_b32 s42, s34, 0xe0
	s_clause 0x2
	s_load_b32 s38, s[44:45], 0x0
	s_load_b32 s37, s[28:29], 0x0
	;; [unrolled: 1-line block ×3, first 2 shown]
	s_ashr_i32 s43, s42, 4
	s_cmp_lt_i32 s42, s33
	s_mul_hi_i32 s29, s47, s17
	s_cselect_b32 s42, s43, s3
	s_mul_i32 s28, s47, s17
	s_ashr_i32 s43, s42, 31
	s_mul_i32 s18, s18, s17
	s_lshl_b64 s[42:43], s[42:43], 2
	s_waitcnt lgkmcnt(0)
	s_mul_hi_i32 s25, s41, s17
	s_add_u32 s42, s16, s42
	s_addc_u32 s43, s36, s43
	s_or_b32 s46, s34, 0xf0
	s_mul_i32 s24, s41, s17
	s_ashr_i32 s47, s46, 4
	s_cmp_lt_i32 s46, s33
	s_mul_hi_i32 s41, s40, s17
	s_cselect_b32 s46, s47, s3
	s_mul_i32 s40, s40, s17
	s_ashr_i32 s47, s46, 31
	s_mul_hi_i32 s51, s15, s17
	s_lshl_b64 s[46:47], s[46:47], 2
	s_mul_i32 s50, s15, s17
	s_add_u32 s46, s16, s46
	s_addc_u32 s47, s36, s47
	s_add_u32 s3, s22, s12
	s_addc_u32 s15, s23, s13
	v_add_co_u32 v195, s3, s3, v22
	s_delay_alu instid0(VALU_DEP_1) | instskip(SKIP_2) | instid1(VALU_DEP_2)
	v_add_co_ci_u32_e64 v196, null, s15, 0, s3
	s_lshl_b64 s[4:5], s[4:5], 1
	s_lshl_b64 s[6:7], s[6:7], 1
	v_add_co_u32 v17, vcc_lo, v195, s4
	s_delay_alu instid0(VALU_DEP_2)
	v_add_co_ci_u32_e32 v18, vcc_lo, s5, v196, vcc_lo
	v_add_co_u32 v19, vcc_lo, v195, s6
	s_lshl_b64 s[8:9], s[8:9], 1
	v_add_co_ci_u32_e32 v20, vcc_lo, s7, v196, vcc_lo
	v_add_co_u32 v21, vcc_lo, v195, s8
	s_lshl_b64 s[10:11], s[10:11], 1
	;; [unrolled: 3-line block ×8, first 2 shown]
	s_mul_hi_i32 s45, s39, s17
	s_mul_i32 s44, s39, s17
	v_add_co_ci_u32_e32 v50, vcc_lo, s25, v196, vcc_lo
	v_add_co_u32 v53, vcc_lo, v195, s26
	s_lshl_b64 s[28:29], s[44:45], 1
	s_mul_hi_i32 s39, s38, s17
	s_mul_i32 s38, s38, s17
	v_add_co_ci_u32_e32 v54, vcc_lo, s27, v196, vcc_lo
	v_add_co_u32 v183, vcc_lo, v195, s28
	s_mul_hi_i32 s49, s37, s17
	s_mul_i32 s48, s37, s17
	s_lshl_b64 s[36:37], s[38:39], 1
	v_add_co_ci_u32_e32 v184, vcc_lo, s29, v196, vcc_lo
	v_add_co_u32 v185, vcc_lo, v195, s36
	s_lshl_b64 s[38:39], s[48:49], 1
	s_clause 0x1
	s_load_b32 s3, s[42:43], 0x0
	s_load_b32 s15, s[46:47], 0x0
	v_add_co_ci_u32_e32 v186, vcc_lo, s37, v196, vcc_lo
	v_add_co_u32 v191, vcc_lo, v195, s38
	v_add_co_ci_u32_e32 v192, vcc_lo, s39, v196, vcc_lo
	s_clause 0x17
	global_load_b128 v[121:124], v[17:18], off
	global_load_b128 v[125:128], v[17:18], off offset:16
	global_load_b128 v[113:116], v[19:20], off
	global_load_b128 v[117:120], v[19:20], off offset:16
	;; [unrolled: 2-line block ×12, first 2 shown]
	s_lshl_b64 s[40:41], s[50:51], 1
	s_delay_alu instid0(SALU_CYCLE_1)
	v_add_co_u32 v193, vcc_lo, v195, s40
	v_add_co_ci_u32_e32 v194, vcc_lo, s41, v196, vcc_lo
	s_waitcnt lgkmcnt(0)
	s_mul_hi_i32 s5, s3, s17
	s_mul_i32 s4, s3, s17
	s_mul_hi_i32 s7, s15, s17
	s_lshl_b64 s[4:5], s[4:5], 1
	s_mul_i32 s6, s15, s17
	s_waitcnt vmcnt(38)
	v_wmma_f32_16x16x16_bf16 v[183:190], v[1:8], v[159:166], v[137:144]
	s_waitcnt vmcnt(36)
	v_wmma_f32_16x16x16_bf16 v[137:144], v[129:136], v[159:166], v[137:144]
	s_clause 0x1
	global_load_b128 v[1:4], v[191:192], off
	global_load_b128 v[5:8], v[191:192], off offset:16
	ds_load_b128 v[129:132], v197 offset:2048
	ds_load_b128 v[133:136], v197 offset:3072
	;; [unrolled: 1-line block ×4, first 2 shown]
	v_add_co_u32 v191, vcc_lo, v195, s4
	v_add_co_ci_u32_e32 v192, vcc_lo, s5, v196, vcc_lo
	s_lshl_b64 s[4:5], s[6:7], 1
	s_delay_alu instid0(SALU_CYCLE_1)
	v_add_co_u32 v195, vcc_lo, v195, s4
	v_add_co_ci_u32_e32 v196, vcc_lo, s5, v196, vcc_lo
	s_waitcnt vmcnt(36) lgkmcnt(2)
	v_wmma_f32_16x16x16_bf16 v[183:190], v[33:40], v[129:136], v[183:190]
	s_waitcnt vmcnt(34)
	v_wmma_f32_16x16x16_bf16 v[137:144], v[25:32], v[129:136], v[137:144]
	s_clause 0x3
	global_load_b128 v[25:28], v[193:194], off
	global_load_b128 v[29:32], v[193:194], off offset:16
	global_load_b128 v[33:36], v[191:192], off
	global_load_b128 v[37:40], v[191:192], off offset:16
	v_and_b32_e32 v129, 0xe0, v0
	v_mbcnt_lo_u32_b32 v191, -1, 0
	s_waitcnt vmcnt(36) lgkmcnt(0)
	v_wmma_f32_16x16x16_bf16 v[183:190], v[9:16], v[159:166], v[183:190]
	s_clause 0x1
	global_load_b128 v[9:12], v[195:196], off
	global_load_b128 v[13:16], v[195:196], off offset:16
	s_waitcnt vmcnt(36)
	v_wmma_f32_16x16x16_bf16 v[137:144], v[151:158], v[159:166], v[137:144]
	v_add_nc_u32_e32 v192, s34, v129
	ds_load_b128 v[129:132], v197 offset:6144
	ds_load_b128 v[133:136], v197 offset:7168
	v_xor_b32_e32 v151, 16, v191
	s_waitcnt vmcnt(0) lgkmcnt(0)
	s_barrier
	v_or_b32_e32 v152, v192, v146
	buffer_gl0_inv
	v_cmp_gt_i32_e32 vcc_lo, 32, v151
	v_or_b32_e32 v153, 2, v152
	v_or_b32_e32 v154, 4, v152
	;; [unrolled: 1-line block ×5, first 2 shown]
	v_cmp_gt_i32_e64 s3, s33, v153
	v_or_b32_e32 v158, 12, v152
	v_cmp_gt_i32_e64 s4, s33, v154
	v_cmp_gt_i32_e64 s5, s33, v155
	v_or_b32_e32 v159, 14, v152
	v_cmp_gt_i32_e64 s6, s33, v156
	v_wmma_f32_16x16x16_bf16 v[183:190], v[167:174], v[129:136], v[183:190]
	v_wmma_f32_16x16x16_bf16 v[137:144], v[175:182], v[129:136], v[137:144]
	v_cndmask_b32_e32 v151, v191, v151, vcc_lo
	v_cmp_gt_i32_e32 vcc_lo, s33, v152
	v_cmp_gt_i32_e64 s7, s33, v157
	v_dual_mul_f32 v135, s35, v184 :: v_dual_mul_f32 v136, s35, v183
	v_mul_f32_e32 v134, s35, v185
	v_dual_mul_f32 v168, s35, v144 :: v_dual_mul_f32 v133, s35, v186
	s_delay_alu instid0(VALU_DEP_3) | instskip(NEXT) | instid1(VALU_DEP_4)
	v_cndmask_b32_e64 v135, 0xff7fffff, v135, s3
	v_cndmask_b32_e32 v136, 0xff7fffff, v136, vcc_lo
	v_dual_mul_f32 v131, s35, v188 :: v_dual_mul_f32 v174, s35, v138
	v_mul_f32_e32 v132, s35, v187
	v_cndmask_b32_e64 v134, 0xff7fffff, v134, s4
	s_delay_alu instid0(VALU_DEP_4)
	v_max3_f32 v135, v136, 0xff7fffff, v135
	v_cmp_gt_i32_e64 s8, s33, v158
	v_lshlrev_b32_e32 v158, 2, v151
	v_cndmask_b32_e64 v133, 0xff7fffff, v133, s5
	v_or_b32_e32 v160, 16, v152
	v_or_b32_e32 v161, 18, v152
	v_dual_mul_f32 v129, s35, v190 :: v_dual_mul_f32 v172, s35, v140
	v_mul_f32_e32 v130, s35, v189
	v_cndmask_b32_e64 v132, 0xff7fffff, v132, s6
	v_cndmask_b32_e64 v131, 0xff7fffff, v131, s7
	v_max3_f32 v133, v135, v134, v133
	v_cmp_gt_i32_e64 s9, s33, v159
	v_or_b32_e32 v162, 20, v152
	v_or_b32_e32 v163, 22, v152
	v_mul_f32_e32 v175, s35, v137
	v_cndmask_b32_e64 v130, 0xff7fffff, v130, s8
	v_cndmask_b32_e64 v129, 0xff7fffff, v129, s9
	v_max3_f32 v131, v133, v132, v131
	v_cmp_gt_i32_e64 s10, s33, v160
	v_cmp_gt_i32_e64 s11, s33, v161
	v_or_b32_e32 v164, 24, v152
	v_or_b32_e32 v165, 26, v152
	v_mul_f32_e32 v173, s35, v139
	v_cndmask_b32_e64 v132, 0xff7fffff, v175, s10
	v_cndmask_b32_e64 v133, 0xff7fffff, v174, s11
	v_max3_f32 v129, v131, v130, v129
	v_cmp_gt_i32_e64 s12, s33, v162
	v_cmp_gt_i32_e64 s13, s33, v163
	v_or_b32_e32 v166, 28, v152
	v_or_b32_e32 v167, 30, v152
	v_dual_mul_f32 v170, s35, v142 :: v_dual_mul_f32 v171, s35, v141
	v_cndmask_b32_e64 v130, 0xff7fffff, v173, s12
	v_cndmask_b32_e64 v131, 0xff7fffff, v172, s13
	v_max3_f32 v129, v129, v132, v133
	v_cmp_gt_i32_e64 s15, s33, v164
	v_cmp_gt_i32_e64 s16, s33, v165
	v_mul_f32_e32 v169, s35, v143
	v_cmp_gt_i32_e64 s17, s33, v166
	v_max3_f32 v129, v129, v130, v131
	v_cndmask_b32_e64 v132, 0xff7fffff, v171, s15
	v_cndmask_b32_e64 v133, 0xff7fffff, v170, s16
	v_cmp_gt_i32_e64 s18, s33, v167
	v_cndmask_b32_e64 v130, 0xff7fffff, v169, s17
	s_delay_alu instid0(VALU_DEP_3) | instskip(NEXT) | instid1(VALU_DEP_3)
	v_max3_f32 v129, v129, v132, v133
	v_cndmask_b32_e64 v131, 0xff7fffff, v168, s18
	s_delay_alu instid0(VALU_DEP_1) | instskip(SKIP_3) | instid1(VALU_DEP_1)
	v_max3_f32 v129, v129, v130, v131
	ds_bpermute_b32 v130, v158, v129
	s_waitcnt lgkmcnt(0)
	v_max_f32_e32 v130, v130, v130
	v_max_f32_e32 v129, v129, v130
	s_delay_alu instid0(VALU_DEP_1)
	v_fma_f32 v130, s35, v183, -v129
	v_fma_f32 v132, s35, v185, -v129
	;; [unrolled: 1-line block ×5, first 2 shown]
	v_mul_f32_e32 v130, 0x3fb8aa3b, v130
	v_mul_f32_e32 v132, 0x3fb8aa3b, v132
	v_fma_f32 v135, s35, v189, -v129
	v_mul_f32_e32 v134, 0x3fb8aa3b, v134
	s_delay_alu instid0(VALU_DEP_4) | instskip(NEXT) | instid1(VALU_DEP_3)
	v_exp_f32_e32 v130, v130
	v_exp_f32_e32 v132, v132
	s_delay_alu instid0(VALU_DEP_1) | instskip(NEXT) | instid1(TRANS32_DEP_3)
	v_exp_f32_e32 v134, v134
	v_cndmask_b32_e32 v152, 0, v130, vcc_lo
	v_fma_f32 v130, s35, v188, -v129
	v_mul_f32_e32 v131, 0x3fb8aa3b, v131
	s_waitcnt_depctr 0xfff
	v_cndmask_b32_e64 v153, 0, v132, s4
	v_fma_f32 v132, s35, v190, -v129
	v_dual_mul_f32 v133, 0x3fb8aa3b, v133 :: v_dual_mul_f32 v130, 0x3fb8aa3b, v130
	v_exp_f32_e32 v131, v131
	v_cndmask_b32_e64 v155, 0, v134, s6
	s_delay_alu instid0(VALU_DEP_3) | instskip(NEXT) | instid1(VALU_DEP_3)
	v_mul_f32_e32 v132, 0x3fb8aa3b, v132
	v_exp_f32_e32 v133, v133
	v_exp_f32_e32 v130, v130
	v_fma_f32 v134, s35, v138, -v129
	s_delay_alu instid0(VALU_DEP_2) | instskip(SKIP_1) | instid1(VALU_DEP_2)
	v_exp_f32_e32 v132, v132
	v_cndmask_b32_e64 v151, 0, v131, s3
	v_dual_add_f32 v131, 0, v152 :: v_dual_mul_f32 v134, 0x3fb8aa3b, v134
	s_delay_alu instid0(TRANS32_DEP_3)
	v_cndmask_b32_e64 v154, 0, v133, s5
	s_waitcnt_depctr 0xfff
	v_cndmask_b32_e64 v156, 0, v130, s7
	v_fma_f32 v133, s35, v137, -v129
	v_add_f32_e32 v131, v131, v151
	v_exp_f32_e32 v134, v134
	s_mov_b32 s3, exec_lo
	s_delay_alu instid0(VALU_DEP_1) | instskip(NEXT) | instid1(VALU_DEP_1)
	v_add_f32_e32 v131, v131, v153
	v_add_f32_e32 v131, v131, v154
	s_delay_alu instid0(VALU_DEP_1) | instskip(SKIP_1) | instid1(VALU_DEP_2)
	v_dual_mul_f32 v133, 0x3fb8aa3b, v133 :: v_dual_add_f32 v130, v131, v155
	v_fma_f32 v131, s35, v139, -v129
	v_exp_f32_e32 v133, v133
	v_fma_f32 v139, s35, v144, -v129
	s_delay_alu instid0(VALU_DEP_3) | instskip(NEXT) | instid1(VALU_DEP_1)
	v_dual_add_f32 v130, v130, v156 :: v_dual_mul_f32 v135, 0x3fb8aa3b, v135
	v_exp_f32_e32 v135, v135
	s_waitcnt_depctr 0xfff
	v_cndmask_b32_e64 v157, 0, v135, s8
	v_fma_f32 v135, s35, v140, -v129
	v_cndmask_b32_e64 v140, 0, v132, s9
	v_fma_f32 v132, s35, v141, -v129
	s_delay_alu instid0(VALU_DEP_4) | instskip(NEXT) | instid1(VALU_DEP_1)
	v_add_f32_e32 v130, v130, v157
	v_add_f32_e32 v130, v130, v140
	s_delay_alu instid0(VALU_DEP_3) | instskip(SKIP_4) | instid1(VALU_DEP_3)
	v_mul_f32_e32 v137, 0x3fb8aa3b, v132
	v_cndmask_b32_e64 v132, 0, v134, s11
	v_mul_f32_e32 v131, 0x3fb8aa3b, v131
	v_fma_f32 v134, s35, v143, -v129
	v_mul_f32_e32 v135, 0x3fb8aa3b, v135
	v_exp_f32_e32 v136, v131
	v_cndmask_b32_e64 v131, 0, v133, s10
	v_fma_f32 v133, s35, v142, -v129
	s_delay_alu instid0(VALU_DEP_2) | instskip(NEXT) | instid1(VALU_DEP_2)
	v_add_f32_e32 v130, v130, v131
	v_mul_f32_e32 v138, 0x3fb8aa3b, v133
	v_exp_f32_e32 v137, v137
	s_waitcnt_depctr 0xfff
	v_cndmask_b32_e64 v133, 0, v136, s12
	v_mul_f32_e32 v136, 0x3fb8aa3b, v134
	v_exp_f32_e32 v135, v135
	v_add_f32_e32 v130, v130, v132
	v_exp_f32_e32 v138, v138
	s_delay_alu instid0(VALU_DEP_2) | instskip(NEXT) | instid1(VALU_DEP_1)
	v_exp_f32_e32 v141, v136
	v_add_f32_e32 v130, v130, v133
	s_delay_alu instid0(TRANS32_DEP_3)
	v_cndmask_b32_e64 v134, 0, v135, s13
	v_cndmask_b32_e64 v135, 0, v137, s15
	v_mul_f32_e32 v137, 0x3fb8aa3b, v139
	s_waitcnt_depctr 0xfff
	v_cndmask_b32_e64 v136, 0, v138, s16
	v_add_f32_e32 v130, v130, v134
	v_exp_f32_e32 v138, v137
	v_cndmask_b32_e64 v137, 0, v141, s17
	s_delay_alu instid0(VALU_DEP_2) | instskip(NEXT) | instid1(VALU_DEP_1)
	v_add_f32_e32 v130, v130, v135
	v_add_f32_e32 v130, v130, v136
	s_waitcnt_depctr 0xfff
	v_cndmask_b32_e64 v138, 0, v138, s18
	v_add_f32_e32 v130, v130, v137
	s_delay_alu instid0(VALU_DEP_1)
	v_add_f32_e32 v130, v130, v138
	ds_bpermute_b32 v139, v158, v130
	v_cmpx_gt_u32_e32 16, v150
	s_cbranch_execz .LBB447_12
; %bb.11:
	v_mul_u32_u24_e32 v141, 0x44, v149
	s_delay_alu instid0(VALU_DEP_1) | instskip(SKIP_1) | instid1(VALU_DEP_1)
	v_lshl_add_u32 v141, v148, 2, v141
	s_waitcnt lgkmcnt(0)
	v_dual_add_f32 v130, v130, v139 :: v_dual_add_nc_u32 v139, 0x4000, v141
	ds_store_2addr_b32 v139, v129, v130 offset1:136
.LBB447_12:
	s_or_b32 exec_lo, exec_lo, s3
	v_lshlrev_b32_e32 v129, 2, v148
	s_waitcnt lgkmcnt(0)
	s_barrier
	buffer_gl0_inv
	v_cmp_eq_u32_e64 s3, 1, v149
	v_add_nc_u32_e32 v139, 0x4000, v129
	ds_load_2addr_b32 v[141:142], v139 offset1:17
	ds_load_2addr_b32 v[143:144], v139 offset0:34 offset1:51
	ds_load_2addr_b32 v[158:159], v139 offset0:68 offset1:85
	;; [unrolled: 1-line block ×4, first 2 shown]
	s_waitcnt lgkmcnt(4)
	v_max3_f32 v129, v141, 0xff7fffff, v142
	s_waitcnt lgkmcnt(3)
	s_delay_alu instid0(VALU_DEP_1) | instskip(SKIP_1) | instid1(VALU_DEP_1)
	v_max3_f32 v129, v129, v143, v144
	s_waitcnt lgkmcnt(2)
	v_max3_f32 v129, v129, v158, v159
	s_waitcnt lgkmcnt(1)
	s_delay_alu instid0(VALU_DEP_1) | instskip(NEXT) | instid1(VALU_DEP_1)
	v_max3_f32 v129, v129, v160, v161
	v_sub_f32_e32 v158, v158, v129
	s_delay_alu instid0(VALU_DEP_1) | instskip(NEXT) | instid1(VALU_DEP_1)
	v_dual_sub_f32 v150, v142, v129 :: v_dual_mul_f32 v167, 0x3fb8aa3b, v158
	v_dual_sub_f32 v143, v143, v129 :: v_dual_mul_f32 v150, 0x3fb8aa3b, v150
	s_delay_alu instid0(VALU_DEP_1) | instskip(NEXT) | instid1(VALU_DEP_2)
	v_dual_sub_f32 v130, v141, v129 :: v_dual_mul_f32 v165, 0x3fb8aa3b, v143
	v_exp_f32_e32 v150, v150
	s_delay_alu instid0(VALU_DEP_1) | instskip(NEXT) | instid1(VALU_DEP_2)
	v_mul_f32_e32 v130, 0x3fb8aa3b, v130
	v_exp_f32_e32 v165, v165
	s_delay_alu instid0(VALU_DEP_1) | instskip(SKIP_1) | instid1(VALU_DEP_1)
	v_exp_f32_e32 v164, v130
	v_sub_f32_e32 v130, v144, v129
	v_mul_f32_e32 v166, 0x3fb8aa3b, v130
	s_waitcnt lgkmcnt(0)
	s_waitcnt_depctr 0xfff
	v_fma_f32 v130, v164, v162, 0
	v_sub_f32_e32 v162, v159, v129
	s_delay_alu instid0(VALU_DEP_2)
	v_fmac_f32_e32 v130, v150, v163
	ds_load_2addr_b32 v[141:142], v139 offset0:170 offset1:187
	ds_load_2addr_b32 v[143:144], v139 offset0:204 offset1:221
	;; [unrolled: 1-line block ×3, first 2 shown]
	v_sub_f32_e32 v139, v160, v129
	v_exp_f32_e32 v166, v166
	v_mul_f32_e32 v160, 0x3fb8aa3b, v162
	v_exp_f32_e32 v162, v167
	v_cndmask_b32_e64 v150, v164, v150, s3
	v_mul_f32_e32 v139, 0x3fb8aa3b, v139
	v_cmp_eq_u32_e64 s3, 2, v149
	s_waitcnt lgkmcnt(0)
	s_barrier
	buffer_gl0_inv
	v_exp_f32_e32 v139, v139
	v_cndmask_b32_e64 v150, v150, v165, s3
	v_cmp_eq_u32_e64 s3, 3, v149
	v_fmac_f32_e32 v130, v165, v141
	v_sub_f32_e32 v141, v161, v129
	v_exp_f32_e32 v160, v160
	s_delay_alu instid0(VALU_DEP_3) | instskip(SKIP_1) | instid1(VALU_DEP_3)
	v_cndmask_b32_e64 v150, v150, v166, s3
	v_cmp_eq_u32_e64 s3, 4, v149
	v_dual_fmac_f32 v130, v166, v142 :: v_dual_mul_f32 v141, 0x3fb8aa3b, v141
	s_delay_alu instid0(VALU_DEP_2) | instskip(SKIP_1) | instid1(VALU_DEP_3)
	v_cndmask_b32_e64 v150, v150, v162, s3
	v_cmp_eq_u32_e64 s3, 5, v149
	v_exp_f32_e32 v141, v141
	s_delay_alu instid0(VALU_DEP_3)
	v_fmac_f32_e32 v130, v162, v143
	s_delay_alu instid0(TRANS32_DEP_2) | instid1(VALU_DEP_2)
	v_cndmask_b32_e64 v150, v150, v160, s3
	s_delay_alu instid0(VALU_DEP_2) | instskip(NEXT) | instid1(VALU_DEP_1)
	v_fmac_f32_e32 v130, v160, v144
	v_fmac_f32_e32 v130, v139, v158
	s_waitcnt_depctr 0xfff
	v_fmac_f32_e32 v130, v141, v159
	s_delay_alu instid0(VALU_DEP_1) | instskip(NEXT) | instid1(VALU_DEP_1)
	v_add_f32_e32 v142, 0x358637bd, v130
	v_div_scale_f32 v143, null, v142, v142, 1.0
	v_div_scale_f32 v159, vcc_lo, 1.0, v142, 1.0
	s_delay_alu instid0(VALU_DEP_2) | instskip(SKIP_2) | instid1(VALU_DEP_1)
	v_rcp_f32_e32 v144, v143
	s_waitcnt_depctr 0xfff
	v_fma_f32 v158, -v143, v144, 1.0
	v_fmac_f32_e32 v144, v158, v144
	s_delay_alu instid0(VALU_DEP_1) | instskip(NEXT) | instid1(VALU_DEP_1)
	v_mul_f32_e32 v158, v159, v144
	v_fma_f32 v161, -v143, v158, v159
	s_delay_alu instid0(VALU_DEP_1) | instskip(NEXT) | instid1(VALU_DEP_1)
	v_fmac_f32_e32 v158, v161, v144
	v_fma_f32 v143, -v143, v158, v159
	s_delay_alu instid0(VALU_DEP_1) | instskip(SKIP_1) | instid1(VALU_DEP_2)
	v_div_fmas_f32 v143, v143, v144, v158
	v_cmp_eq_u32_e32 vcc_lo, 6, v149
	v_div_fixup_f32 v142, v143, v142, 1.0
	v_cndmask_b32_e32 v139, v150, v139, vcc_lo
	v_cmp_eq_u32_e32 vcc_lo, 7, v149
	s_delay_alu instid0(VALU_DEP_2) | instskip(NEXT) | instid1(VALU_DEP_1)
	v_cndmask_b32_e32 v139, v139, v141, vcc_lo
	v_mul_f32_e32 v139, v139, v142
	s_delay_alu instid0(VALU_DEP_1) | instskip(SKIP_4) | instid1(VALU_DEP_4)
	v_mul_f32_e32 v153, v139, v153
	v_mul_f32_e32 v142, v139, v152
	;; [unrolled: 1-line block ×5, first 2 shown]
	v_dual_mul_f32 v152, v139, v155 :: v_dual_and_b32 v141, 0x7f800000, v142
	v_mul_f32_e32 v154, v139, v154
	v_mul_f32_e32 v144, v139, v151
	s_delay_alu instid0(VALU_DEP_3) | instskip(SKIP_1) | instid1(SALU_CYCLE_1)
	v_cmp_ne_u32_e32 vcc_lo, 0x7f800000, v141
                                        ; implicit-def: $vgpr141
	s_and_saveexec_b32 s3, vcc_lo
	s_xor_b32 s3, exec_lo, s3
; %bb.13:
	v_bfe_u32 v141, v142, 16, 1
	s_delay_alu instid0(VALU_DEP_1)
	v_add3_u32 v141, v142, v141, 0x7fff
                                        ; implicit-def: $vgpr142
; %bb.14:
	s_and_not1_saveexec_b32 s3, s3
; %bb.15:
	v_and_b32_e32 v141, 0xffff, v142
	v_or_b32_e32 v151, 0x10000, v142
	s_delay_alu instid0(VALU_DEP_2) | instskip(NEXT) | instid1(VALU_DEP_2)
	v_cmp_eq_u32_e32 vcc_lo, 0, v141
	v_cndmask_b32_e32 v141, v151, v142, vcc_lo
; %bb.16:
	s_or_b32 exec_lo, exec_lo, s3
	v_and_b32_e32 v142, 0x7f800000, v144
	s_delay_alu instid0(VALU_DEP_1) | instskip(SKIP_1) | instid1(SALU_CYCLE_1)
	v_cmp_ne_u32_e32 vcc_lo, 0x7f800000, v142
                                        ; implicit-def: $vgpr142
	s_and_saveexec_b32 s3, vcc_lo
	s_xor_b32 s3, exec_lo, s3
; %bb.17:
	v_bfe_u32 v142, v144, 16, 1
	s_delay_alu instid0(VALU_DEP_1)
	v_add3_u32 v142, v144, v142, 0x7fff
                                        ; implicit-def: $vgpr144
; %bb.18:
	s_and_not1_saveexec_b32 s3, s3
; %bb.19:
	v_and_b32_e32 v142, 0xffff, v144
	v_or_b32_e32 v151, 0x10000, v144
	s_delay_alu instid0(VALU_DEP_2) | instskip(NEXT) | instid1(VALU_DEP_2)
	v_cmp_eq_u32_e32 vcc_lo, 0, v142
	v_cndmask_b32_e32 v142, v151, v144, vcc_lo
; %bb.20:
	s_or_b32 exec_lo, exec_lo, s3
	v_and_b32_e32 v144, 0x7f800000, v153
	s_delay_alu instid0(VALU_DEP_1) | instskip(SKIP_1) | instid1(SALU_CYCLE_1)
	v_cmp_ne_u32_e32 vcc_lo, 0x7f800000, v144
                                        ; implicit-def: $vgpr144
	s_and_saveexec_b32 s3, vcc_lo
	s_xor_b32 s3, exec_lo, s3
; %bb.21:
	v_bfe_u32 v144, v153, 16, 1
	s_delay_alu instid0(VALU_DEP_1)
	v_add3_u32 v144, v153, v144, 0x7fff
                                        ; implicit-def: $vgpr153
; %bb.22:
	s_and_not1_saveexec_b32 s3, s3
; %bb.23:
	v_and_b32_e32 v144, 0xffff, v153
	v_or_b32_e32 v151, 0x10000, v153
	s_delay_alu instid0(VALU_DEP_2) | instskip(NEXT) | instid1(VALU_DEP_2)
	v_cmp_eq_u32_e32 vcc_lo, 0, v144
	v_cndmask_b32_e32 v144, v151, v153, vcc_lo
; %bb.24:
	s_or_b32 exec_lo, exec_lo, s3
	v_and_b32_e32 v151, 0x7f800000, v154
	s_delay_alu instid0(VALU_DEP_1) | instskip(SKIP_1) | instid1(SALU_CYCLE_1)
	v_cmp_ne_u32_e32 vcc_lo, 0x7f800000, v151
                                        ; implicit-def: $vgpr151
	s_and_saveexec_b32 s3, vcc_lo
	s_xor_b32 s3, exec_lo, s3
; %bb.25:
	v_bfe_u32 v151, v154, 16, 1
	s_delay_alu instid0(VALU_DEP_1)
	v_add3_u32 v151, v154, v151, 0x7fff
                                        ; implicit-def: $vgpr154
; %bb.26:
	s_and_not1_saveexec_b32 s3, s3
; %bb.27:
	v_and_b32_e32 v151, 0xffff, v154
	v_or_b32_e32 v153, 0x10000, v154
	s_delay_alu instid0(VALU_DEP_2) | instskip(NEXT) | instid1(VALU_DEP_2)
	v_cmp_eq_u32_e32 vcc_lo, 0, v151
	v_cndmask_b32_e32 v151, v153, v154, vcc_lo
; %bb.28:
	s_or_b32 exec_lo, exec_lo, s3
	v_and_b32_e32 v153, 0x7f800000, v152
	s_delay_alu instid0(VALU_DEP_1) | instskip(SKIP_1) | instid1(SALU_CYCLE_1)
	v_cmp_ne_u32_e32 vcc_lo, 0x7f800000, v153
                                        ; implicit-def: $vgpr153
	s_and_saveexec_b32 s3, vcc_lo
	s_xor_b32 s3, exec_lo, s3
; %bb.29:
	v_bfe_u32 v153, v152, 16, 1
	s_delay_alu instid0(VALU_DEP_1)
	v_add3_u32 v153, v152, v153, 0x7fff
                                        ; implicit-def: $vgpr152
; %bb.30:
	s_and_not1_saveexec_b32 s3, s3
; %bb.31:
	v_and_b32_e32 v153, 0xffff, v152
	v_or_b32_e32 v154, 0x10000, v152
	s_delay_alu instid0(VALU_DEP_2) | instskip(NEXT) | instid1(VALU_DEP_2)
	v_cmp_eq_u32_e32 vcc_lo, 0, v153
	v_cndmask_b32_e32 v153, v154, v152, vcc_lo
; %bb.32:
	s_or_b32 exec_lo, exec_lo, s3
	v_and_b32_e32 v152, 0x7f800000, v150
	s_delay_alu instid0(VALU_DEP_1) | instskip(SKIP_1) | instid1(SALU_CYCLE_1)
	v_cmp_ne_u32_e32 vcc_lo, 0x7f800000, v152
                                        ; implicit-def: $vgpr152
	s_and_saveexec_b32 s3, vcc_lo
	s_xor_b32 s3, exec_lo, s3
; %bb.33:
	v_bfe_u32 v152, v150, 16, 1
	s_delay_alu instid0(VALU_DEP_1)
	v_add3_u32 v152, v150, v152, 0x7fff
                                        ; implicit-def: $vgpr150
; %bb.34:
	s_and_not1_saveexec_b32 s3, s3
; %bb.35:
	v_and_b32_e32 v152, 0xffff, v150
	v_or_b32_e32 v154, 0x10000, v150
	s_delay_alu instid0(VALU_DEP_2) | instskip(NEXT) | instid1(VALU_DEP_2)
	v_cmp_eq_u32_e32 vcc_lo, 0, v152
	v_cndmask_b32_e32 v152, v154, v150, vcc_lo
; %bb.36:
	s_or_b32 exec_lo, exec_lo, s3
	v_and_b32_e32 v150, 0x7f800000, v143
	s_delay_alu instid0(VALU_DEP_1) | instskip(SKIP_1) | instid1(SALU_CYCLE_1)
	v_cmp_ne_u32_e32 vcc_lo, 0x7f800000, v150
                                        ; implicit-def: $vgpr150
	s_and_saveexec_b32 s3, vcc_lo
	s_xor_b32 s3, exec_lo, s3
; %bb.37:
	v_bfe_u32 v150, v143, 16, 1
	s_delay_alu instid0(VALU_DEP_1)
	v_add3_u32 v150, v143, v150, 0x7fff
                                        ; implicit-def: $vgpr143
; %bb.38:
	s_and_not1_saveexec_b32 s3, s3
; %bb.39:
	v_and_b32_e32 v150, 0xffff, v143
	v_or_b32_e32 v154, 0x10000, v143
	s_delay_alu instid0(VALU_DEP_2) | instskip(NEXT) | instid1(VALU_DEP_2)
	v_cmp_eq_u32_e32 vcc_lo, 0, v150
	v_cndmask_b32_e32 v150, v154, v143, vcc_lo
; %bb.40:
	s_or_b32 exec_lo, exec_lo, s3
	v_and_b32_e32 v143, 0x7f800000, v140
	s_delay_alu instid0(VALU_DEP_1) | instskip(SKIP_1) | instid1(SALU_CYCLE_1)
	v_cmp_ne_u32_e32 vcc_lo, 0x7f800000, v143
                                        ; implicit-def: $vgpr143
	s_and_saveexec_b32 s3, vcc_lo
	s_xor_b32 s3, exec_lo, s3
; %bb.41:
	v_bfe_u32 v143, v140, 16, 1
	s_delay_alu instid0(VALU_DEP_1)
	v_add3_u32 v143, v140, v143, 0x7fff
                                        ; implicit-def: $vgpr140
; %bb.42:
	s_and_not1_saveexec_b32 s3, s3
; %bb.43:
	v_and_b32_e32 v143, 0xffff, v140
	v_or_b32_e32 v154, 0x10000, v140
	s_delay_alu instid0(VALU_DEP_2) | instskip(NEXT) | instid1(VALU_DEP_2)
	v_cmp_eq_u32_e32 vcc_lo, 0, v143
	v_cndmask_b32_e32 v143, v154, v140, vcc_lo
; %bb.44:
	s_or_b32 exec_lo, exec_lo, s3
	s_load_b64 s[34:35], s[0:1], 0x94
	v_dual_mul_f32 v136, v139, v136 :: v_dual_lshlrev_b32 v155, 4, v146
	s_delay_alu instid0(VALU_DEP_2)
	v_perm_b32 v154, v143, v150, 0x7060302
	v_dual_mul_f32 v143, v139, v131 :: v_dual_lshlrev_b32 v140, 6, v148
	v_dual_mul_f32 v135, v139, v135 :: v_dual_lshlrev_b32 v150, 11, v149
	v_perm_b32 v153, v152, v153, 0x7060302
	v_perm_b32 v152, v151, v144, 0x7060302
	;; [unrolled: 1-line block ×3, first 2 shown]
	s_delay_alu instid0(VALU_DEP_4)
	v_or3_b32 v131, v155, v150, v140
	v_mul_f32_e32 v138, v139, v138
	v_dual_mul_f32 v137, v139, v137 :: v_dual_and_b32 v144, 0x7f800000, v143
	v_mul_f32_e32 v141, v139, v134
	v_mul_f32_e32 v142, v139, v133
	;; [unrolled: 1-line block ×3, first 2 shown]
	s_mov_b32 s3, exec_lo
	ds_store_b128 v131, v[151:154]
                                        ; implicit-def: $vgpr132
	v_cmpx_ne_u32_e32 0x7f800000, v144
	s_xor_b32 s3, exec_lo, s3
; %bb.45:
	v_bfe_u32 v132, v143, 16, 1
	s_delay_alu instid0(VALU_DEP_1)
	v_add3_u32 v132, v143, v132, 0x7fff
                                        ; implicit-def: $vgpr143
; %bb.46:
	s_and_not1_saveexec_b32 s3, s3
; %bb.47:
	v_and_b32_e32 v132, 0xffff, v143
	v_or_b32_e32 v133, 0x10000, v143
	s_delay_alu instid0(VALU_DEP_2) | instskip(NEXT) | instid1(VALU_DEP_2)
	v_cmp_eq_u32_e32 vcc_lo, 0, v132
	v_cndmask_b32_e32 v132, v133, v143, vcc_lo
; %bb.48:
	s_or_b32 exec_lo, exec_lo, s3
	v_and_b32_e32 v133, 0x7f800000, v134
	s_delay_alu instid0(VALU_DEP_1) | instskip(SKIP_1) | instid1(SALU_CYCLE_1)
	v_cmp_ne_u32_e32 vcc_lo, 0x7f800000, v133
                                        ; implicit-def: $vgpr133
	s_and_saveexec_b32 s3, vcc_lo
	s_xor_b32 s3, exec_lo, s3
; %bb.49:
	v_bfe_u32 v133, v134, 16, 1
	s_delay_alu instid0(VALU_DEP_1)
	v_add3_u32 v133, v134, v133, 0x7fff
                                        ; implicit-def: $vgpr134
; %bb.50:
	s_and_not1_saveexec_b32 s3, s3
; %bb.51:
	v_and_b32_e32 v133, 0xffff, v134
	v_or_b32_e32 v139, 0x10000, v134
	s_delay_alu instid0(VALU_DEP_2) | instskip(NEXT) | instid1(VALU_DEP_2)
	v_cmp_eq_u32_e32 vcc_lo, 0, v133
	v_cndmask_b32_e32 v133, v139, v134, vcc_lo
; %bb.52:
	s_or_b32 exec_lo, exec_lo, s3
	v_and_b32_e32 v134, 0x7f800000, v142
	s_delay_alu instid0(VALU_DEP_1) | instskip(SKIP_1) | instid1(SALU_CYCLE_1)
	v_cmp_ne_u32_e32 vcc_lo, 0x7f800000, v134
                                        ; implicit-def: $vgpr134
	s_and_saveexec_b32 s3, vcc_lo
	s_xor_b32 s3, exec_lo, s3
; %bb.53:
	v_bfe_u32 v134, v142, 16, 1
	s_delay_alu instid0(VALU_DEP_1)
	v_add3_u32 v134, v142, v134, 0x7fff
                                        ; implicit-def: $vgpr142
; %bb.54:
	s_and_not1_saveexec_b32 s3, s3
; %bb.55:
	v_and_b32_e32 v134, 0xffff, v142
	v_or_b32_e32 v139, 0x10000, v142
	s_delay_alu instid0(VALU_DEP_2) | instskip(NEXT) | instid1(VALU_DEP_2)
	v_cmp_eq_u32_e32 vcc_lo, 0, v134
	v_cndmask_b32_e32 v134, v139, v142, vcc_lo
; %bb.56:
	s_or_b32 exec_lo, exec_lo, s3
	v_and_b32_e32 v139, 0x7f800000, v141
	s_delay_alu instid0(VALU_DEP_1) | instskip(SKIP_1) | instid1(SALU_CYCLE_1)
	v_cmp_ne_u32_e32 vcc_lo, 0x7f800000, v139
                                        ; implicit-def: $vgpr139
	s_and_saveexec_b32 s3, vcc_lo
	s_xor_b32 s3, exec_lo, s3
; %bb.57:
	v_bfe_u32 v139, v141, 16, 1
	s_delay_alu instid0(VALU_DEP_1)
	v_add3_u32 v139, v141, v139, 0x7fff
                                        ; implicit-def: $vgpr141
; %bb.58:
	s_and_not1_saveexec_b32 s3, s3
; %bb.59:
	v_and_b32_e32 v139, 0xffff, v141
	v_or_b32_e32 v142, 0x10000, v141
	s_delay_alu instid0(VALU_DEP_2) | instskip(NEXT) | instid1(VALU_DEP_2)
	v_cmp_eq_u32_e32 vcc_lo, 0, v139
	v_cndmask_b32_e32 v139, v142, v141, vcc_lo
; %bb.60:
	s_or_b32 exec_lo, exec_lo, s3
	v_and_b32_e32 v141, 0x7f800000, v135
	s_delay_alu instid0(VALU_DEP_1) | instskip(SKIP_1) | instid1(SALU_CYCLE_1)
	v_cmp_ne_u32_e32 vcc_lo, 0x7f800000, v141
                                        ; implicit-def: $vgpr141
	s_and_saveexec_b32 s3, vcc_lo
	s_xor_b32 s3, exec_lo, s3
; %bb.61:
	v_bfe_u32 v141, v135, 16, 1
	s_delay_alu instid0(VALU_DEP_1)
	v_add3_u32 v141, v135, v141, 0x7fff
                                        ; implicit-def: $vgpr135
; %bb.62:
	s_and_not1_saveexec_b32 s3, s3
; %bb.63:
	v_and_b32_e32 v141, 0xffff, v135
	v_or_b32_e32 v142, 0x10000, v135
	s_delay_alu instid0(VALU_DEP_2) | instskip(NEXT) | instid1(VALU_DEP_2)
	v_cmp_eq_u32_e32 vcc_lo, 0, v141
	v_cndmask_b32_e32 v141, v142, v135, vcc_lo
; %bb.64:
	s_or_b32 exec_lo, exec_lo, s3
	v_and_b32_e32 v135, 0x7f800000, v136
	s_delay_alu instid0(VALU_DEP_1) | instskip(SKIP_1) | instid1(SALU_CYCLE_1)
	v_cmp_ne_u32_e32 vcc_lo, 0x7f800000, v135
                                        ; implicit-def: $vgpr135
	s_and_saveexec_b32 s3, vcc_lo
	s_xor_b32 s3, exec_lo, s3
; %bb.65:
	v_bfe_u32 v135, v136, 16, 1
	s_delay_alu instid0(VALU_DEP_1)
	v_add3_u32 v135, v136, v135, 0x7fff
                                        ; implicit-def: $vgpr136
; %bb.66:
	s_and_not1_saveexec_b32 s3, s3
; %bb.67:
	v_and_b32_e32 v135, 0xffff, v136
	v_or_b32_e32 v142, 0x10000, v136
	s_delay_alu instid0(VALU_DEP_2) | instskip(NEXT) | instid1(VALU_DEP_2)
	v_cmp_eq_u32_e32 vcc_lo, 0, v135
	v_cndmask_b32_e32 v135, v142, v136, vcc_lo
; %bb.68:
	s_or_b32 exec_lo, exec_lo, s3
	v_and_b32_e32 v136, 0x7f800000, v137
	s_delay_alu instid0(VALU_DEP_1) | instskip(SKIP_1) | instid1(SALU_CYCLE_1)
	v_cmp_ne_u32_e32 vcc_lo, 0x7f800000, v136
                                        ; implicit-def: $vgpr136
	s_and_saveexec_b32 s3, vcc_lo
	s_xor_b32 s3, exec_lo, s3
; %bb.69:
	v_bfe_u32 v136, v137, 16, 1
	s_delay_alu instid0(VALU_DEP_1)
	v_add3_u32 v136, v137, v136, 0x7fff
                                        ; implicit-def: $vgpr137
; %bb.70:
	s_and_not1_saveexec_b32 s3, s3
; %bb.71:
	v_and_b32_e32 v136, 0xffff, v137
	v_or_b32_e32 v142, 0x10000, v137
	s_delay_alu instid0(VALU_DEP_2) | instskip(NEXT) | instid1(VALU_DEP_2)
	v_cmp_eq_u32_e32 vcc_lo, 0, v136
	v_cndmask_b32_e32 v136, v142, v137, vcc_lo
; %bb.72:
	s_or_b32 exec_lo, exec_lo, s3
	v_and_b32_e32 v137, 0x7f800000, v138
	s_delay_alu instid0(VALU_DEP_1) | instskip(SKIP_1) | instid1(SALU_CYCLE_1)
	v_cmp_ne_u32_e32 vcc_lo, 0x7f800000, v137
                                        ; implicit-def: $vgpr137
	s_and_saveexec_b32 s3, vcc_lo
	s_xor_b32 s3, exec_lo, s3
; %bb.73:
	v_bfe_u32 v137, v138, 16, 1
	s_delay_alu instid0(VALU_DEP_1)
	v_add3_u32 v137, v138, v137, 0x7fff
                                        ; implicit-def: $vgpr138
; %bb.74:
	s_and_not1_saveexec_b32 s3, s3
; %bb.75:
	v_and_b32_e32 v137, 0xffff, v138
	v_or_b32_e32 v142, 0x10000, v138
	s_delay_alu instid0(VALU_DEP_2) | instskip(NEXT) | instid1(VALU_DEP_2)
	v_cmp_eq_u32_e32 vcc_lo, 0, v137
	v_cndmask_b32_e32 v137, v142, v138, vcc_lo
; %bb.76:
	s_or_b32 exec_lo, exec_lo, s3
	s_delay_alu instid0(VALU_DEP_1)
	v_perm_b32 v136, v137, v136, 0x7060302
	v_perm_b32 v135, v135, v141, 0x7060302
	;; [unrolled: 1-line block ×4, first 2 shown]
	v_lshl_or_b32 v141, v149, 11, v140
	ds_store_b128 v131, v[133:136] offset:1024
	s_waitcnt lgkmcnt(0)
	s_barrier
	buffer_gl0_inv
	ds_load_b128 v[132:135], v141
	ds_load_b128 v[149:152], v141 offset:16
	s_waitcnt lgkmcnt(1)
	v_lshrrev_b32_e32 v136, 16, v132
	s_waitcnt lgkmcnt(0)
	v_lshrrev_b32_e32 v164, 16, v151
	v_lshlrev_b32_e32 v138, 2, v146
	v_lshrrev_b32_e32 v143, 16, v149
	v_lshrrev_b32_e32 v162, 16, v150
	;; [unrolled: 1-line block ×4, first 2 shown]
	v_or_b32_e32 v139, 1, v138
	v_lshrrev_b32_e32 v165, 16, v152
	v_lshrrev_b32_e32 v163, 16, v135
	s_delay_alu instid0(VALU_DEP_3)
	v_cmp_eq_u32_e64 s7, 1, v139
	v_cmp_eq_u32_e64 s6, 2, v139
	;; [unrolled: 1-line block ×4, first 2 shown]
	v_cmp_eq_u32_e32 vcc_lo, 5, v139
	v_cndmask_b32_e64 v155, v149, v143, s7
	v_cndmask_b32_e64 v154, v132, v136, s7
	v_cmp_eq_u32_e64 s4, 6, v139
	v_cmp_eq_u32_e64 s19, 7, v139
	s_delay_alu instid0(VALU_DEP_4) | instskip(NEXT) | instid1(VALU_DEP_4)
	v_cndmask_b32_e64 v155, v155, v150, s6
	v_cndmask_b32_e64 v154, v154, v133, s6
	s_delay_alu instid0(VALU_DEP_2) | instskip(NEXT) | instid1(VALU_DEP_2)
	v_cndmask_b32_e64 v155, v155, v162, s5
	v_cndmask_b32_e64 v154, v154, v144, s5
	s_delay_alu instid0(VALU_DEP_2) | instskip(NEXT) | instid1(VALU_DEP_2)
	v_cndmask_b32_e64 v155, v155, v151, s3
	v_cndmask_b32_e64 v154, v154, v134, s3
	s_delay_alu instid0(VALU_DEP_2)
	v_cndmask_b32_e32 v157, v155, v164, vcc_lo
	v_cmp_eq_u32_e64 s12, 1, v138
	v_cmp_eq_u32_e64 s11, 2, v138
	;; [unrolled: 1-line block ×3, first 2 shown]
	v_or_b32_e32 v137, 2, v138
	v_cmp_eq_u32_e64 s17, 4, v138
	v_cndmask_b32_e64 v153, v149, v143, s12
	v_cndmask_b32_e64 v142, v132, v136, s12
	v_cmp_eq_u32_e64 s13, 5, v138
	v_cmp_eq_u32_e64 s8, 1, v137
	;; [unrolled: 1-line block ×3, first 2 shown]
	v_cndmask_b32_e64 v153, v153, v150, s11
	v_cndmask_b32_e64 v142, v142, v133, s11
	v_cmp_eq_u32_e64 s10, 2, v137
	v_cndmask_b32_e64 v156, v132, v136, s8
	v_cndmask_b32_e32 v154, v154, v161, vcc_lo
	v_cndmask_b32_e64 v153, v153, v162, s16
	v_cndmask_b32_e64 v142, v142, v144, s16
	v_cmp_eq_u32_e64 s9, 7, v138
	v_cndmask_b32_e64 v156, v156, v133, s10
	v_cmp_eq_u32_e64 s18, 3, v137
	v_cndmask_b32_e64 v153, v153, v151, s17
	v_cndmask_b32_e64 v142, v142, v134, s17
	;; [unrolled: 1-line block ×3, first 2 shown]
	v_cmp_eq_u32_e64 s20, 4, v137
	v_cndmask_b32_e64 v156, v156, v144, s18
	v_cndmask_b32_e64 v153, v153, v164, s13
	;; [unrolled: 1-line block ×4, first 2 shown]
	v_cmp_eq_u32_e64 s22, 5, v137
	v_cndmask_b32_e64 v159, v156, v134, s20
	v_cndmask_b32_e64 v153, v153, v152, s15
	;; [unrolled: 1-line block ×3, first 2 shown]
	v_cmp_eq_u32_e64 s25, 6, v137
	v_cmp_eq_u32_e64 s27, 7, v137
	v_cndmask_b32_e64 v169, v159, v161, s22
	v_cndmask_b32_e64 v167, v153, v165, s9
	;; [unrolled: 1-line block ×4, first 2 shown]
	v_or_b32_e32 v142, 3, v138
	s_delay_alu instid0(VALU_DEP_3)
	v_cndmask_b32_e64 v158, v153, v150, s10
	ds_load_b128 v[153:156], v141 offset:1024
	v_cmp_eq_u32_e64 s21, 1, v142
	v_cmp_eq_u32_e64 s23, 2, v142
	;; [unrolled: 1-line block ×3, first 2 shown]
	v_cndmask_b32_e64 v158, v158, v162, s18
	v_cmp_eq_u32_e64 s26, 4, v142
	v_cndmask_b32_e64 v132, v132, v136, s21
	v_cndmask_b32_e64 v136, v157, v152, s4
	;; [unrolled: 1-line block ×4, first 2 shown]
	ds_load_b128 v[157:160], v141 offset:1040
	v_cndmask_b32_e64 v132, v132, v133, s23
	v_cmp_eq_u32_e64 s28, 5, v142
	v_cndmask_b32_e64 v143, v143, v150, s23
	v_cmp_eq_u32_e64 s29, 6, v142
	v_cndmask_b32_e64 v133, v170, v164, s22
	v_cndmask_b32_e64 v132, v132, v144, s24
	v_cndmask_b32_e64 v144, v169, v135, s25
	v_cndmask_b32_e64 v143, v143, v162, s24
	v_cndmask_b32_e64 v136, v136, v165, s19
	s_waitcnt lgkmcnt(1)
	v_lshrrev_b32_e32 v149, 16, v153
	v_cndmask_b32_e64 v132, v132, v134, s26
	v_cndmask_b32_e64 v133, v133, v152, s25
	;; [unrolled: 1-line block ×3, first 2 shown]
	v_lshrrev_b32_e32 v151, 16, v154
	v_cndmask_b32_e64 v143, v153, v149, s12
	v_cndmask_b32_e64 v132, v132, v161, s28
	;; [unrolled: 1-line block ×5, first 2 shown]
	s_waitcnt lgkmcnt(0)
	v_lshrrev_b32_e32 v150, 16, v157
	v_cndmask_b32_e64 v143, v143, v154, s11
	v_cndmask_b32_e64 v132, v132, v135, s29
	;; [unrolled: 1-line block ×3, first 2 shown]
	v_lshrrev_b32_e32 v164, 16, v159
	v_cndmask_b32_e64 v162, v157, v150, s12
	v_cndmask_b32_e64 v135, v143, v151, s16
	v_cndmask_b32_e64 v143, v161, v154, s6
	v_lshrrev_b32_e32 v161, 16, v158
	v_cndmask_b32_e64 v133, v133, v165, s27
	v_cndmask_b32_e64 v152, v162, v158, s11
	v_cmp_eq_u32_e64 s11, 7, v142
	v_cndmask_b32_e64 v143, v143, v151, s5
	v_cndmask_b32_e64 v135, v135, v155, s17
	v_lshrrev_b32_e32 v162, 16, v155
	v_cndmask_b32_e64 v152, v152, v161, s16
	v_cndmask_b32_e64 v132, v132, v163, s11
	;; [unrolled: 1-line block ×6, first 2 shown]
	s_delay_alu instid0(VALU_DEP_4) | instskip(NEXT) | instid1(VALU_DEP_4)
	v_perm_b32 v135, v134, v132, 0x5040100
	v_cndmask_b32_e32 v132, v143, v162, vcc_lo
	s_delay_alu instid0(VALU_DEP_4)
	v_cndmask_b32_e64 v143, v163, v156, s15
	v_lshrrev_b32_e32 v163, 16, v156
	v_cndmask_b32_e64 v152, v152, v164, s13
	v_perm_b32 v134, v133, v144, 0x5040100
	v_cndmask_b32_e64 v132, v132, v156, s4
	v_perm_b32 v133, v136, v168, 0x5040100
	v_cndmask_b32_e64 v136, v143, v163, s9
	v_cndmask_b32_e64 v143, v152, v160, s15
	;; [unrolled: 1-line block ×13, first 2 shown]
	v_lshrrev_b32_e32 v144, 16, v160
	v_cndmask_b32_e64 v132, v132, v151, s18
	v_cndmask_b32_e64 v149, v149, v151, s24
	;; [unrolled: 1-line block ×14, first 2 shown]
	v_cndmask_b32_e32 v150, v150, v164, vcc_lo
	v_cndmask_b32_e64 v132, v132, v156, s25
	v_cndmask_b32_e64 v149, v149, v156, s29
	;; [unrolled: 1-line block ×11, first 2 shown]
	v_perm_b32 v132, v167, v166, 0x5040100
	v_perm_b32 v152, v151, v149, 0x5040100
	;; [unrolled: 1-line block ×5, first 2 shown]
	s_mul_i32 s8, s35, 6
	s_mov_b32 s3, exec_lo
	ds_store_b128 v131, v[132:135]
	ds_store_b128 v131, v[149:152] offset:1024
	v_cmpx_gt_u32_e32 6, v0
	s_cbranch_execz .LBB447_78
; %bb.77:
	s_mul_i32 s4, s8, s30
	s_delay_alu instid0(SALU_CYCLE_1) | instskip(SKIP_1) | instid1(VALU_DEP_1)
	v_add3_u32 v133, s4, s31, v148
	s_load_b128 s[4:7], s[0:1], 0x58
	v_mad_u64_u32 v[131:132], null, v133, s34, s[14:15]
	s_delay_alu instid0(VALU_DEP_1) | instskip(NEXT) | instid1(VALU_DEP_1)
	v_ashrrev_i32_e32 v132, 31, v131
	v_lshlrev_b64 v[131:132], 2, v[131:132]
	s_waitcnt lgkmcnt(0)
	s_delay_alu instid0(VALU_DEP_1) | instskip(NEXT) | instid1(VALU_DEP_2)
	v_add_co_u32 v133, vcc_lo, s6, v131
	v_add_co_ci_u32_e32 v134, vcc_lo, s7, v132, vcc_lo
	v_add_co_u32 v131, vcc_lo, s4, v131
	v_add_co_ci_u32_e32 v132, vcc_lo, s5, v132, vcc_lo
	global_store_b32 v[133:134], v129, off
	global_store_b32 v[131:132], v130, off
.LBB447_78:
	s_or_b32 exec_lo, exec_lo, s3
	s_waitcnt lgkmcnt(0)
	s_waitcnt_vscnt null, 0x0
	s_barrier
	buffer_gl0_inv
	ds_load_b128 v[148:151], v140
	ds_load_b128 v[152:155], v140 offset:16
	ds_load_b128 v[160:163], v140 offset:1040
	;; [unrolled: 1-line block ×3, first 2 shown]
	v_mov_b32_e32 v129, 0
	ds_load_b128 v[168:171], v140 offset:2064
	ds_load_b128 v[164:167], v140 offset:2048
	;; [unrolled: 1-line block ×6, first 2 shown]
	v_mov_b32_e32 v130, v129
	v_mov_b32_e32 v131, v129
	v_mov_b32_e32 v132, v129
	v_mov_b32_e32 v133, v129
	v_mov_b32_e32 v134, v129
	v_mov_b32_e32 v135, v129
	v_mov_b32_e32 v136, v129
	s_waitcnt lgkmcnt(8)
	s_delay_alu instid0(VALU_DEP_1)
	v_wmma_f32_16x16x16_bf16 v[129:136], v[121:128], v[148:155], v[129:136]
	ds_load_b128 v[125:128], v140 offset:5136
	ds_load_b128 v[121:124], v140 offset:5120
	s_waitcnt lgkmcnt(8)
	v_wmma_f32_16x16x16_bf16 v[129:136], v[113:120], v[156:163], v[129:136]
	ds_load_b128 v[117:120], v140 offset:6160
	ds_load_b128 v[113:116], v140 offset:6144
	s_waitcnt lgkmcnt(8)
	v_wmma_f32_16x16x16_bf16 v[129:136], v[105:112], v[164:171], v[129:136]
	ds_load_b128 v[109:112], v140 offset:7184
	ds_load_b128 v[105:108], v140 offset:7168
	s_waitcnt lgkmcnt(8)
	v_wmma_f32_16x16x16_bf16 v[129:136], v[97:104], v[172:179], v[129:136]
	ds_load_b128 v[101:104], v140 offset:8208
	ds_load_b128 v[97:100], v140 offset:8192
	s_waitcnt lgkmcnt(8)
	v_wmma_f32_16x16x16_bf16 v[129:136], v[89:96], v[180:187], v[129:136]
	ds_load_b128 v[93:96], v140 offset:9232
	ds_load_b128 v[89:92], v140 offset:9216
	s_waitcnt lgkmcnt(8)
	v_wmma_f32_16x16x16_bf16 v[129:136], v[81:88], v[121:128], v[129:136]
	ds_load_b128 v[85:88], v140 offset:10256
	ds_load_b128 v[81:84], v140 offset:10240
	s_waitcnt lgkmcnt(8)
	v_wmma_f32_16x16x16_bf16 v[129:136], v[73:80], v[113:120], v[129:136]
	ds_load_b128 v[77:80], v140 offset:11280
	ds_load_b128 v[73:76], v140 offset:11264
	s_waitcnt lgkmcnt(8)
	v_wmma_f32_16x16x16_bf16 v[129:136], v[57:64], v[105:112], v[129:136]
	ds_load_b128 v[61:64], v140 offset:12304
	ds_load_b128 v[57:60], v140 offset:12288
	s_waitcnt lgkmcnt(8)
	v_wmma_f32_16x16x16_bf16 v[129:136], v[65:72], v[97:104], v[129:136]
	s_waitcnt lgkmcnt(6)
	s_delay_alu instid0(VALU_DEP_1)
	v_wmma_f32_16x16x16_bf16 v[129:136], v[49:56], v[89:96], v[129:136]
	ds_load_b128 v[53:56], v140 offset:13328
	ds_load_b128 v[49:52], v140 offset:13312
	s_waitcnt lgkmcnt(6)
	v_wmma_f32_16x16x16_bf16 v[129:136], v[41:48], v[81:88], v[129:136]
	ds_load_b128 v[45:48], v140 offset:14352
	ds_load_b128 v[41:44], v140 offset:14336
	s_waitcnt lgkmcnt(6)
	;; [unrolled: 4-line block ×3, first 2 shown]
	v_wmma_f32_16x16x16_bf16 v[129:136], v[1:8], v[57:64], v[129:136]
	s_waitcnt lgkmcnt(4)
	s_delay_alu instid0(VALU_DEP_1) | instskip(SKIP_1) | instid1(VALU_DEP_1)
	v_wmma_f32_16x16x16_bf16 v[129:136], v[25:32], v[49:56], v[129:136]
	s_waitcnt lgkmcnt(2)
	v_wmma_f32_16x16x16_bf16 v[129:136], v[33:40], v[41:48], v[129:136]
	s_waitcnt lgkmcnt(0)
	s_delay_alu instid0(VALU_DEP_1) | instskip(NEXT) | instid1(VALU_DEP_1)
	v_wmma_f32_16x16x16_bf16 v[129:136], v[9:16], v[17:24], v[129:136]
	v_and_b32_e32 v1, 0x7f800000, v129
	s_delay_alu instid0(VALU_DEP_1) | instskip(SKIP_1) | instid1(SALU_CYCLE_1)
	v_cmp_ne_u32_e32 vcc_lo, 0x7f800000, v1
                                        ; implicit-def: $vgpr1
	s_and_saveexec_b32 s3, vcc_lo
	s_xor_b32 s3, exec_lo, s3
; %bb.79:
	v_bfe_u32 v1, v129, 16, 1
	s_delay_alu instid0(VALU_DEP_1)
	v_add3_u32 v1, v129, v1, 0x7fff
; %bb.80:
	s_and_not1_saveexec_b32 s3, s3
; %bb.81:
	v_and_b32_e32 v1, 0xffff, v129
	v_or_b32_e32 v2, 0x10000, v129
	s_delay_alu instid0(VALU_DEP_2) | instskip(NEXT) | instid1(VALU_DEP_2)
	v_cmp_eq_u32_e32 vcc_lo, 0, v1
	v_cndmask_b32_e32 v1, v2, v129, vcc_lo
; %bb.82:
	s_or_b32 exec_lo, exec_lo, s3
	v_and_b32_e32 v2, 0x7f800000, v130
	s_delay_alu instid0(VALU_DEP_1) | instskip(SKIP_1) | instid1(SALU_CYCLE_1)
	v_cmp_ne_u32_e32 vcc_lo, 0x7f800000, v2
                                        ; implicit-def: $vgpr2
	s_and_saveexec_b32 s3, vcc_lo
	s_xor_b32 s3, exec_lo, s3
; %bb.83:
	v_bfe_u32 v2, v130, 16, 1
	s_delay_alu instid0(VALU_DEP_1)
	v_add3_u32 v2, v130, v2, 0x7fff
; %bb.84:
	s_and_not1_saveexec_b32 s3, s3
; %bb.85:
	v_and_b32_e32 v2, 0xffff, v130
	v_or_b32_e32 v3, 0x10000, v130
	s_delay_alu instid0(VALU_DEP_2) | instskip(NEXT) | instid1(VALU_DEP_2)
	v_cmp_eq_u32_e32 vcc_lo, 0, v2
	v_cndmask_b32_e32 v2, v3, v130, vcc_lo
; %bb.86:
	s_or_b32 exec_lo, exec_lo, s3
	v_and_b32_e32 v3, 0x7f800000, v131
	s_delay_alu instid0(VALU_DEP_1) | instskip(SKIP_1) | instid1(SALU_CYCLE_1)
	v_cmp_ne_u32_e32 vcc_lo, 0x7f800000, v3
                                        ; implicit-def: $vgpr3
	s_and_saveexec_b32 s3, vcc_lo
	s_xor_b32 s3, exec_lo, s3
; %bb.87:
	v_bfe_u32 v3, v131, 16, 1
	s_delay_alu instid0(VALU_DEP_1)
	v_add3_u32 v3, v131, v3, 0x7fff
; %bb.88:
	s_and_not1_saveexec_b32 s3, s3
; %bb.89:
	v_and_b32_e32 v3, 0xffff, v131
	v_or_b32_e32 v4, 0x10000, v131
	s_delay_alu instid0(VALU_DEP_2) | instskip(NEXT) | instid1(VALU_DEP_2)
	v_cmp_eq_u32_e32 vcc_lo, 0, v3
	v_cndmask_b32_e32 v3, v4, v131, vcc_lo
; %bb.90:
	s_or_b32 exec_lo, exec_lo, s3
	v_and_b32_e32 v4, 0x7f800000, v132
	s_delay_alu instid0(VALU_DEP_1) | instskip(SKIP_1) | instid1(SALU_CYCLE_1)
	v_cmp_ne_u32_e32 vcc_lo, 0x7f800000, v4
                                        ; implicit-def: $vgpr4
	s_and_saveexec_b32 s3, vcc_lo
	s_xor_b32 s3, exec_lo, s3
; %bb.91:
	v_bfe_u32 v4, v132, 16, 1
	s_delay_alu instid0(VALU_DEP_1)
	v_add3_u32 v4, v132, v4, 0x7fff
; %bb.92:
	s_and_not1_saveexec_b32 s3, s3
; %bb.93:
	v_and_b32_e32 v4, 0xffff, v132
	v_or_b32_e32 v5, 0x10000, v132
	s_delay_alu instid0(VALU_DEP_2) | instskip(NEXT) | instid1(VALU_DEP_2)
	v_cmp_eq_u32_e32 vcc_lo, 0, v4
	v_cndmask_b32_e32 v4, v5, v132, vcc_lo
; %bb.94:
	s_or_b32 exec_lo, exec_lo, s3
	v_and_b32_e32 v5, 0x7f800000, v133
	s_delay_alu instid0(VALU_DEP_1) | instskip(SKIP_1) | instid1(SALU_CYCLE_1)
	v_cmp_ne_u32_e32 vcc_lo, 0x7f800000, v5
                                        ; implicit-def: $vgpr5
	s_and_saveexec_b32 s3, vcc_lo
	s_xor_b32 s3, exec_lo, s3
; %bb.95:
	v_bfe_u32 v5, v133, 16, 1
	s_delay_alu instid0(VALU_DEP_1)
	v_add3_u32 v5, v133, v5, 0x7fff
; %bb.96:
	s_and_not1_saveexec_b32 s3, s3
; %bb.97:
	v_and_b32_e32 v5, 0xffff, v133
	v_or_b32_e32 v6, 0x10000, v133
	s_delay_alu instid0(VALU_DEP_2) | instskip(NEXT) | instid1(VALU_DEP_2)
	v_cmp_eq_u32_e32 vcc_lo, 0, v5
	v_cndmask_b32_e32 v5, v6, v133, vcc_lo
; %bb.98:
	s_or_b32 exec_lo, exec_lo, s3
	v_and_b32_e32 v6, 0x7f800000, v134
	s_delay_alu instid0(VALU_DEP_1) | instskip(SKIP_1) | instid1(SALU_CYCLE_1)
	v_cmp_ne_u32_e32 vcc_lo, 0x7f800000, v6
                                        ; implicit-def: $vgpr6
	s_and_saveexec_b32 s3, vcc_lo
	s_xor_b32 s3, exec_lo, s3
; %bb.99:
	v_bfe_u32 v6, v134, 16, 1
	s_delay_alu instid0(VALU_DEP_1)
	v_add3_u32 v6, v134, v6, 0x7fff
; %bb.100:
	s_and_not1_saveexec_b32 s3, s3
; %bb.101:
	v_and_b32_e32 v6, 0xffff, v134
	v_or_b32_e32 v7, 0x10000, v134
	s_delay_alu instid0(VALU_DEP_2) | instskip(NEXT) | instid1(VALU_DEP_2)
	v_cmp_eq_u32_e32 vcc_lo, 0, v6
	v_cndmask_b32_e32 v6, v7, v134, vcc_lo
; %bb.102:
	s_or_b32 exec_lo, exec_lo, s3
	v_and_b32_e32 v7, 0x7f800000, v135
	s_delay_alu instid0(VALU_DEP_1) | instskip(SKIP_1) | instid1(SALU_CYCLE_1)
	v_cmp_ne_u32_e32 vcc_lo, 0x7f800000, v7
                                        ; implicit-def: $vgpr7
	s_and_saveexec_b32 s3, vcc_lo
	s_xor_b32 s3, exec_lo, s3
; %bb.103:
	v_bfe_u32 v7, v135, 16, 1
	s_delay_alu instid0(VALU_DEP_1)
	v_add3_u32 v7, v135, v7, 0x7fff
; %bb.104:
	s_and_not1_saveexec_b32 s3, s3
; %bb.105:
	v_and_b32_e32 v7, 0xffff, v135
	v_or_b32_e32 v8, 0x10000, v135
	s_delay_alu instid0(VALU_DEP_2) | instskip(NEXT) | instid1(VALU_DEP_2)
	v_cmp_eq_u32_e32 vcc_lo, 0, v7
	v_cndmask_b32_e32 v7, v8, v135, vcc_lo
; %bb.106:
	s_or_b32 exec_lo, exec_lo, s3
	v_and_b32_e32 v8, 0x7f800000, v136
	s_delay_alu instid0(VALU_DEP_1) | instskip(SKIP_1) | instid1(SALU_CYCLE_1)
	v_cmp_ne_u32_e32 vcc_lo, 0x7f800000, v8
                                        ; implicit-def: $vgpr8
	s_and_saveexec_b32 s3, vcc_lo
	s_xor_b32 s3, exec_lo, s3
; %bb.107:
	v_bfe_u32 v8, v136, 16, 1
	s_delay_alu instid0(VALU_DEP_1)
	v_add3_u32 v8, v136, v8, 0x7fff
                                        ; implicit-def: $vgpr129_vgpr130_vgpr131_vgpr132_vgpr133_vgpr134_vgpr135_vgpr136
; %bb.108:
	s_and_not1_saveexec_b32 s3, s3
; %bb.109:
	v_and_b32_e32 v8, 0xffff, v136
	v_or_b32_e32 v9, 0x10000, v136
	s_delay_alu instid0(VALU_DEP_2) | instskip(NEXT) | instid1(VALU_DEP_2)
	v_cmp_eq_u32_e32 vcc_lo, 0, v8
	v_cndmask_b32_e32 v8, v9, v136, vcc_lo
; %bb.110:
	s_or_b32 exec_lo, exec_lo, s3
	s_delay_alu instid0(VALU_DEP_1)
	v_perm_b32 v7, v8, v7, 0x7060302
	v_perm_b32 v6, v6, v5, 0x7060302
	;; [unrolled: 1-line block ×4, first 2 shown]
	v_lshl_or_b32 v9, v146, 4, v141
	s_barrier
	buffer_gl0_inv
	v_cmp_eq_u32_e32 vcc_lo, 1, v138
	ds_store_b128 v9, v[4:7]
	s_waitcnt lgkmcnt(0)
	s_barrier
	buffer_gl0_inv
	ds_load_b128 v[1:4], v141
	ds_load_b128 v[5:8], v141 offset:16
	v_cmp_eq_u32_e64 s4, 2, v138
	v_cmp_eq_u32_e64 s3, 1, v139
	;; [unrolled: 1-line block ×5, first 2 shown]
	s_waitcnt lgkmcnt(1)
	v_lshrrev_b32_e32 v10, 16, v1
	s_waitcnt lgkmcnt(0)
	v_lshrrev_b32_e32 v14, 16, v5
	v_lshrrev_b32_e32 v15, 16, v6
	;; [unrolled: 1-line block ×4, first 2 shown]
	v_cndmask_b32_e64 v20, v1, v10, s3
	v_cndmask_b32_e32 v19, v5, v14, vcc_lo
	v_cndmask_b32_e64 v21, v5, v14, s3
	v_lshrrev_b32_e32 v16, 16, v7
	v_cmp_eq_u32_e64 s3, 1, v137
	v_lshrrev_b32_e32 v13, 16, v4
	v_cndmask_b32_e64 v19, v19, v6, s4
	v_lshrrev_b32_e32 v17, 16, v8
	s_delay_alu instid0(VALU_DEP_4) | instskip(SKIP_1) | instid1(VALU_DEP_4)
	v_cndmask_b32_e64 v22, v1, v10, s3
	v_cndmask_b32_e64 v23, v5, v14, s3
	;; [unrolled: 1-line block ×3, first 2 shown]
	v_cndmask_b32_e32 v18, v1, v10, vcc_lo
	v_cmp_eq_u32_e32 vcc_lo, 2, v139
	v_cmp_eq_u32_e64 s3, 2, v142
	v_cndmask_b32_e64 v22, v22, v2, s7
	v_cndmask_b32_e32 v20, v20, v2, vcc_lo
	v_cndmask_b32_e32 v21, v21, v6, vcc_lo
	v_cmp_eq_u32_e32 vcc_lo, 4, v138
	v_cndmask_b32_e32 v19, v19, v7, vcc_lo
	v_cndmask_b32_e64 v18, v18, v2, s4
	v_cmp_eq_u32_e64 s4, 3, v139
	s_delay_alu instid0(VALU_DEP_2) | instskip(NEXT) | instid1(VALU_DEP_2)
	v_cndmask_b32_e64 v18, v18, v11, s5
	v_cndmask_b32_e64 v21, v21, v15, s4
	v_cmp_eq_u32_e64 s5, 5, v138
	s_delay_alu instid0(VALU_DEP_3) | instskip(SKIP_1) | instid1(VALU_DEP_3)
	v_cndmask_b32_e32 v18, v18, v3, vcc_lo
	v_cmp_eq_u32_e32 vcc_lo, 4, v139
	v_cndmask_b32_e64 v19, v19, v16, s5
	s_delay_alu instid0(VALU_DEP_3) | instskip(SKIP_4) | instid1(VALU_DEP_3)
	v_cndmask_b32_e64 v18, v18, v12, s5
	v_cndmask_b32_e32 v21, v21, v7, vcc_lo
	v_cndmask_b32_e64 v20, v20, v11, s4
	v_cmp_eq_u32_e64 s4, 5, v139
	v_cmp_eq_u32_e64 s5, 6, v138
	v_cndmask_b32_e32 v20, v20, v3, vcc_lo
	s_delay_alu instid0(VALU_DEP_3) | instskip(SKIP_1) | instid1(VALU_DEP_4)
	v_cndmask_b32_e64 v21, v21, v16, s4
	v_cmp_eq_u32_e32 vcc_lo, 6, v139
	v_cndmask_b32_e64 v18, v18, v4, s5
	v_cndmask_b32_e64 v19, v19, v8, s5
	;; [unrolled: 1-line block ×3, first 2 shown]
	v_cmp_eq_u32_e64 s4, 1, v142
	v_cmp_eq_u32_e64 s5, 7, v138
	s_delay_alu instid0(VALU_DEP_3) | instskip(NEXT) | instid1(VALU_DEP_3)
	v_cndmask_b32_e32 v20, v20, v4, vcc_lo
	v_cndmask_b32_e64 v1, v1, v10, s4
	v_cndmask_b32_e64 v5, v5, v14, s4
	v_cmp_eq_u32_e64 s4, 3, v137
	v_cndmask_b32_e64 v14, v23, v6, s7
	v_cmp_eq_u32_e64 s7, 3, v142
	v_cndmask_b32_e64 v1, v1, v2, s3
	v_cndmask_b32_e64 v2, v5, v6, s3
	;; [unrolled: 1-line block ×3, first 2 shown]
	v_cmp_eq_u32_e64 s3, 4, v137
	v_cndmask_b32_e64 v6, v14, v15, s4
	v_cndmask_b32_e64 v1, v1, v11, s7
	v_cmp_eq_u32_e64 s4, 4, v142
	v_cndmask_b32_e64 v2, v2, v15, s7
	v_cndmask_b32_e64 v5, v10, v3, s3
	;; [unrolled: 3-line block ×3, first 2 shown]
	v_cndmask_b32_e64 v2, v2, v7, s4
	v_cmp_eq_u32_e64 s3, 5, v142
	v_cndmask_b32_e64 v5, v5, v12, s7
	v_cmp_eq_u32_e64 s4, 6, v137
	;; [unrolled: 2-line block ×3, first 2 shown]
	v_cndmask_b32_e64 v1, v1, v12, s3
	v_cndmask_b32_e64 v2, v2, v16, s3
	;; [unrolled: 1-line block ×4, first 2 shown]
	v_cmp_eq_u32_e64 s3, 7, v142
	v_cndmask_b32_e64 v1, v1, v4, s7
	v_cndmask_b32_e64 v2, v2, v8, s7
	v_cmp_eq_u32_e64 s4, 7, v137
	v_cndmask_b32_e32 v4, v21, v8, vcc_lo
	v_cndmask_b32_e64 v18, v18, v13, s5
	v_cndmask_b32_e64 v20, v20, v13, s6
	;; [unrolled: 1-line block ×8, first 2 shown]
	v_cmp_gt_u32_e32 vcc_lo, 32, v0
	v_perm_b32 v4, v2, v1, 0x5040100
	v_perm_b32 v3, v3, v5, 0x5040100
	;; [unrolled: 1-line block ×4, first 2 shown]
	s_and_b32 s2, vcc_lo, s2
	ds_store_b128 v9, v[1:4]
	s_waitcnt lgkmcnt(0)
	s_barrier
	buffer_gl0_inv
	s_and_saveexec_b32 s3, s2
	s_cbranch_execz .LBB447_2
; %bb.111:
	s_load_b64 s[0:1], s[0:1], 0x68
	s_lshl_b32 s4, s34, 6
	v_or_b32_e32 v3, s31, v146
	s_mul_i32 s2, s4, s30
	v_lshlrev_b32_e32 v0, 10, v0
	s_mul_i32 s2, s2, s8
	v_lshlrev_b32_e32 v1, 4, v147
	s_ashr_i32 s3, s2, 31
	v_mul_lo_u32 v12, v3, s4
	s_lshl_b64 s[2:3], s[2:3], 1
	v_lshlrev_b32_e32 v2, 6, v146
	v_and_b32_e32 v0, 0x3800, v0
	s_delay_alu instid0(VALU_DEP_1) | instskip(NEXT) | instid1(VALU_DEP_4)
	v_or3_b32 v8, v0, v1, v2
	v_ashrrev_i32_e32 v13, 31, v12
	ds_load_b128 v[0:3], v8
	ds_load_b128 v[4:7], v8 offset:128
	ds_load_b128 v[8:11], v8 offset:256
	s_waitcnt lgkmcnt(0)
	s_add_u32 s2, s0, s2
	s_addc_u32 s3, s1, s3
	s_lshl_b32 s0, s14, 6
	s_delay_alu instid0(SALU_CYCLE_1) | instskip(NEXT) | instid1(SALU_CYCLE_1)
	s_ashr_i32 s1, s0, 31
	s_lshl_b64 s[0:1], s[0:1], 1
	s_delay_alu instid0(SALU_CYCLE_1)
	s_add_u32 s0, s2, s0
	s_addc_u32 s1, s3, s1
	s_lshl_b32 s2, s34, 7
	v_add_co_u32 v18, s0, s0, v145
	v_add_nc_u32_e32 v14, s2, v12
	v_lshlrev_b64 v[12:13], 1, v[12:13]
	v_add_co_ci_u32_e64 v19, null, s1, 0, s0
	s_delay_alu instid0(VALU_DEP_3) | instskip(SKIP_1) | instid1(VALU_DEP_4)
	v_add_nc_u32_e32 v16, s2, v14
	v_ashrrev_i32_e32 v15, 31, v14
	v_add_co_u32 v12, vcc_lo, v18, v12
	s_delay_alu instid0(VALU_DEP_4) | instskip(NEXT) | instid1(VALU_DEP_4)
	v_add_co_ci_u32_e32 v13, vcc_lo, v19, v13, vcc_lo
	v_ashrrev_i32_e32 v17, 31, v16
	s_delay_alu instid0(VALU_DEP_4) | instskip(NEXT) | instid1(VALU_DEP_2)
	v_lshlrev_b64 v[14:15], 1, v[14:15]
	v_lshlrev_b64 v[16:17], 1, v[16:17]
	s_delay_alu instid0(VALU_DEP_2) | instskip(NEXT) | instid1(VALU_DEP_3)
	v_add_co_u32 v14, vcc_lo, v18, v14
	v_add_co_ci_u32_e32 v15, vcc_lo, v19, v15, vcc_lo
	s_delay_alu instid0(VALU_DEP_3) | instskip(NEXT) | instid1(VALU_DEP_4)
	v_add_co_u32 v16, vcc_lo, v18, v16
	v_add_co_ci_u32_e32 v17, vcc_lo, v19, v17, vcc_lo
	s_clause 0x2
	global_store_b128 v[12:13], v[0:3], off
	global_store_b128 v[14:15], v[4:7], off
	;; [unrolled: 1-line block ×3, first 2 shown]
	s_nop 0
	s_sendmsg sendmsg(MSG_DEALLOC_VGPRS)
	s_endpgm
	.section	.rodata,"a",@progbits
	.p2align	6, 0x0
	.amdhsa_kernel _Z39paged_attention_ll4mi_QKV_mfma16_kernelI14__hip_bfloat16S0_LN4vllm18Fp8KVCacheDataTypeE0ES0_Li16ELi64ELi256ELb1ELi6EL8MFMAType0EEvPKT_PKT0_S9_ifPKiSB_SB_iPKfiiiPfSE_PS4_PT2_iSD_SD_
		.amdhsa_group_segment_fixed_size 17472
		.amdhsa_private_segment_fixed_size 0
		.amdhsa_kernarg_size 400
		.amdhsa_user_sgpr_count 13
		.amdhsa_user_sgpr_dispatch_ptr 0
		.amdhsa_user_sgpr_queue_ptr 0
		.amdhsa_user_sgpr_kernarg_segment_ptr 1
		.amdhsa_user_sgpr_dispatch_id 0
		.amdhsa_user_sgpr_private_segment_size 0
		.amdhsa_wavefront_size32 1
		.amdhsa_uses_dynamic_stack 0
		.amdhsa_enable_private_segment 0
		.amdhsa_system_sgpr_workgroup_id_x 1
		.amdhsa_system_sgpr_workgroup_id_y 1
		.amdhsa_system_sgpr_workgroup_id_z 1
		.amdhsa_system_sgpr_workgroup_info 0
		.amdhsa_system_vgpr_workitem_id 0
		.amdhsa_next_free_vgpr 198
		.amdhsa_next_free_sgpr 52
		.amdhsa_reserve_vcc 1
		.amdhsa_float_round_mode_32 0
		.amdhsa_float_round_mode_16_64 0
		.amdhsa_float_denorm_mode_32 3
		.amdhsa_float_denorm_mode_16_64 3
		.amdhsa_dx10_clamp 1
		.amdhsa_ieee_mode 1
		.amdhsa_fp16_overflow 0
		.amdhsa_workgroup_processor_mode 1
		.amdhsa_memory_ordered 1
		.amdhsa_forward_progress 0
		.amdhsa_shared_vgpr_count 0
		.amdhsa_exception_fp_ieee_invalid_op 0
		.amdhsa_exception_fp_denorm_src 0
		.amdhsa_exception_fp_ieee_div_zero 0
		.amdhsa_exception_fp_ieee_overflow 0
		.amdhsa_exception_fp_ieee_underflow 0
		.amdhsa_exception_fp_ieee_inexact 0
		.amdhsa_exception_int_div_zero 0
	.end_amdhsa_kernel
	.section	.text._Z39paged_attention_ll4mi_QKV_mfma16_kernelI14__hip_bfloat16S0_LN4vllm18Fp8KVCacheDataTypeE0ES0_Li16ELi64ELi256ELb1ELi6EL8MFMAType0EEvPKT_PKT0_S9_ifPKiSB_SB_iPKfiiiPfSE_PS4_PT2_iSD_SD_,"axG",@progbits,_Z39paged_attention_ll4mi_QKV_mfma16_kernelI14__hip_bfloat16S0_LN4vllm18Fp8KVCacheDataTypeE0ES0_Li16ELi64ELi256ELb1ELi6EL8MFMAType0EEvPKT_PKT0_S9_ifPKiSB_SB_iPKfiiiPfSE_PS4_PT2_iSD_SD_,comdat
.Lfunc_end447:
	.size	_Z39paged_attention_ll4mi_QKV_mfma16_kernelI14__hip_bfloat16S0_LN4vllm18Fp8KVCacheDataTypeE0ES0_Li16ELi64ELi256ELb1ELi6EL8MFMAType0EEvPKT_PKT0_S9_ifPKiSB_SB_iPKfiiiPfSE_PS4_PT2_iSD_SD_, .Lfunc_end447-_Z39paged_attention_ll4mi_QKV_mfma16_kernelI14__hip_bfloat16S0_LN4vllm18Fp8KVCacheDataTypeE0ES0_Li16ELi64ELi256ELb1ELi6EL8MFMAType0EEvPKT_PKT0_S9_ifPKiSB_SB_iPKfiiiPfSE_PS4_PT2_iSD_SD_
                                        ; -- End function
	.section	.AMDGPU.csdata,"",@progbits
; Kernel info:
; codeLenInByte = 9996
; NumSgprs: 54
; NumVgprs: 198
; ScratchSize: 0
; MemoryBound: 0
; FloatMode: 240
; IeeeMode: 1
; LDSByteSize: 17472 bytes/workgroup (compile time only)
; SGPRBlocks: 6
; VGPRBlocks: 24
; NumSGPRsForWavesPerEU: 54
; NumVGPRsForWavesPerEU: 198
; Occupancy: 7
; WaveLimiterHint : 1
; COMPUTE_PGM_RSRC2:SCRATCH_EN: 0
; COMPUTE_PGM_RSRC2:USER_SGPR: 13
; COMPUTE_PGM_RSRC2:TRAP_HANDLER: 0
; COMPUTE_PGM_RSRC2:TGID_X_EN: 1
; COMPUTE_PGM_RSRC2:TGID_Y_EN: 1
; COMPUTE_PGM_RSRC2:TGID_Z_EN: 1
; COMPUTE_PGM_RSRC2:TIDIG_COMP_CNT: 0
	.section	.text._Z39paged_attention_ll4mi_QKV_mfma16_kernelI14__hip_bfloat16S0_LN4vllm18Fp8KVCacheDataTypeE0ES0_Li16ELi64ELi256ELb1ELi7EL8MFMAType0EEvPKT_PKT0_S9_ifPKiSB_SB_iPKfiiiPfSE_PS4_PT2_iSD_SD_,"axG",@progbits,_Z39paged_attention_ll4mi_QKV_mfma16_kernelI14__hip_bfloat16S0_LN4vllm18Fp8KVCacheDataTypeE0ES0_Li16ELi64ELi256ELb1ELi7EL8MFMAType0EEvPKT_PKT0_S9_ifPKiSB_SB_iPKfiiiPfSE_PS4_PT2_iSD_SD_,comdat
	.protected	_Z39paged_attention_ll4mi_QKV_mfma16_kernelI14__hip_bfloat16S0_LN4vllm18Fp8KVCacheDataTypeE0ES0_Li16ELi64ELi256ELb1ELi7EL8MFMAType0EEvPKT_PKT0_S9_ifPKiSB_SB_iPKfiiiPfSE_PS4_PT2_iSD_SD_ ; -- Begin function _Z39paged_attention_ll4mi_QKV_mfma16_kernelI14__hip_bfloat16S0_LN4vllm18Fp8KVCacheDataTypeE0ES0_Li16ELi64ELi256ELb1ELi7EL8MFMAType0EEvPKT_PKT0_S9_ifPKiSB_SB_iPKfiiiPfSE_PS4_PT2_iSD_SD_
	.globl	_Z39paged_attention_ll4mi_QKV_mfma16_kernelI14__hip_bfloat16S0_LN4vllm18Fp8KVCacheDataTypeE0ES0_Li16ELi64ELi256ELb1ELi7EL8MFMAType0EEvPKT_PKT0_S9_ifPKiSB_SB_iPKfiiiPfSE_PS4_PT2_iSD_SD_
	.p2align	8
	.type	_Z39paged_attention_ll4mi_QKV_mfma16_kernelI14__hip_bfloat16S0_LN4vllm18Fp8KVCacheDataTypeE0ES0_Li16ELi64ELi256ELb1ELi7EL8MFMAType0EEvPKT_PKT0_S9_ifPKiSB_SB_iPKfiiiPfSE_PS4_PT2_iSD_SD_,@function
_Z39paged_attention_ll4mi_QKV_mfma16_kernelI14__hip_bfloat16S0_LN4vllm18Fp8KVCacheDataTypeE0ES0_Li16ELi64ELi256ELb1ELi7EL8MFMAType0EEvPKT_PKT0_S9_ifPKiSB_SB_iPKfiiiPfSE_PS4_PT2_iSD_SD_: ; @_Z39paged_attention_ll4mi_QKV_mfma16_kernelI14__hip_bfloat16S0_LN4vllm18Fp8KVCacheDataTypeE0ES0_Li16ELi64ELi256ELb1ELi7EL8MFMAType0EEvPKT_PKT0_S9_ifPKiSB_SB_iPKfiiiPfSE_PS4_PT2_iSD_SD_
; %bb.0:
	s_load_b64 s[2:3], s[0:1], 0x30
	s_mov_b32 s34, s13
	s_waitcnt lgkmcnt(0)
	s_cmp_lg_u64 s[2:3], 0
	s_cselect_b32 s8, -1, 0
	s_ashr_i32 s35, s13, 31
	s_cmp_eq_u64 s[2:3], 0
	s_cbranch_scc1 .LBB448_3
; %bb.1:
	s_lshl_b64 s[4:5], s[34:35], 2
	s_delay_alu instid0(SALU_CYCLE_1) | instskip(SKIP_4) | instid1(SALU_CYCLE_1)
	s_add_u32 s4, s2, s4
	s_addc_u32 s5, s3, s5
	s_load_b64 s[4:5], s[4:5], 0x0
	s_waitcnt lgkmcnt(0)
	s_sub_i32 s4, s5, s4
	s_cmp_eq_u32 s4, 1
	s_cselect_b32 s4, -1, 0
	s_delay_alu instid0(SALU_CYCLE_1)
	s_and_not1_b32 vcc_lo, exec_lo, s4
	s_cbranch_vccz .LBB448_4
.LBB448_2:
	s_nop 0
	s_sendmsg sendmsg(MSG_DEALLOC_VGPRS)
	s_endpgm
.LBB448_3:
.LBB448_4:
	s_load_b64 s[4:5], s[0:1], 0x28
	s_lshl_b64 s[6:7], s[34:35], 2
	s_waitcnt lgkmcnt(0)
	s_add_u32 s4, s4, s6
	s_addc_u32 s5, s5, s7
	s_lshl_b32 s33, s14, 8
	s_load_b32 s30, s[4:5], 0x0
	s_waitcnt lgkmcnt(0)
	s_cmp_ge_i32 s33, s30
	s_cbranch_scc1 .LBB448_2
; %bb.5:
	s_clause 0x1
	s_load_b128 s[20:23], s[0:1], 0x8
	s_load_b64 s[4:5], s[0:1], 0x20
	s_and_not1_b32 vcc_lo, exec_lo, s8
	s_cbranch_vccnz .LBB448_7
; %bb.6:
	s_add_u32 s2, s2, s6
	s_addc_u32 s3, s3, s7
	s_load_b32 s3, s[2:3], 0x0
	s_branch .LBB448_8
.LBB448_7:
	s_mov_b32 s3, s34
.LBB448_8:
	s_load_b128 s[16:19], s[0:1], 0x48
	v_lshrrev_b32_e32 v149, 5, v0
	v_bfe_u32 v146, v0, 4, 1
	v_and_b32_e32 v148, 15, v0
	v_and_b32_e32 v150, 31, v0
	;; [unrolled: 1-line block ×3, first 2 shown]
	s_mul_i32 s31, s15, 7
	v_lshl_or_b32 v1, v149, 1, v146
	v_lshlrev_b32_e32 v2, 3, v148
	v_cmp_gt_u32_e64 s2, 8, v148
	s_delay_alu instid0(VALU_DEP_3) | instskip(NEXT) | instid1(VALU_DEP_3)
	v_cmp_gt_u32_e32 vcc_lo, 7, v1
	v_lshlrev_b32_e32 v145, 1, v2
	s_delay_alu instid0(VALU_DEP_3) | instskip(NEXT) | instid1(SALU_CYCLE_1)
	s_and_b32 s7, s2, vcc_lo
	s_and_saveexec_b32 s6, s7
	s_cbranch_execz .LBB448_10
; %bb.9:
	s_load_b64 s[8:9], s[0:1], 0x0
	v_add_lshl_u32 v2, v1, s31, 6
	s_waitcnt lgkmcnt(0)
	s_mul_hi_i32 s11, s3, s16
	s_mul_i32 s10, s3, s16
	v_lshlrev_b32_e32 v6, 10, v148
	s_lshl_b64 s[10:11], s[10:11], 1
	v_ashrrev_i32_e32 v3, 31, v2
	v_lshlrev_b32_e32 v1, 6, v1
	v_lshlrev_b32_e32 v7, 10, v147
	v_and_b32_e32 v6, 0x3800, v6
	s_delay_alu instid0(VALU_DEP_4) | instskip(NEXT) | instid1(VALU_DEP_2)
	v_lshlrev_b64 v[2:3], 1, v[2:3]
	v_or3_b32 v1, v6, v7, v1
	s_add_u32 s3, s8, s10
	s_addc_u32 s7, s9, s11
	s_delay_alu instid0(VALU_DEP_2) | instskip(NEXT) | instid1(VALU_DEP_3)
	v_add_co_u32 v2, vcc_lo, s3, v2
	v_add_co_ci_u32_e32 v3, vcc_lo, s7, v3, vcc_lo
	s_delay_alu instid0(VALU_DEP_2) | instskip(NEXT) | instid1(VALU_DEP_2)
	v_add_co_u32 v2, vcc_lo, v2, v145
	v_add_co_ci_u32_e32 v3, vcc_lo, 0, v3, vcc_lo
	global_load_b128 v[2:5], v[2:3], off
	s_waitcnt vmcnt(0)
	ds_store_b128 v1, v[2:5]
.LBB448_10:
	s_or_b32 exec_lo, exec_lo, s6
	v_and_b32_e32 v1, 0xef, v0
	s_waitcnt lgkmcnt(0)
	s_add_i32 s3, s30, 15
	s_clause 0x1
	s_load_b32 s6, s[0:1], 0x38
	s_load_b32 s35, s[0:1], 0x1c
	s_ashr_i32 s7, s3, 31
	v_add_nc_u32_e32 v1, s33, v1
	s_lshr_b32 s7, s7, 28
	s_waitcnt lgkmcnt(0)
	s_add_i32 s3, s3, s7
	s_barrier
	v_ashrrev_i32_e32 v2, 31, v1
	v_or_b32_e32 v3, 16, v1
	s_ashr_i32 s3, s3, 4
	v_cmp_gt_i32_e32 vcc_lo, s30, v1
	s_add_i32 s3, s3, -1
	v_lshrrev_b32_e32 v2, 28, v2
	buffer_gl0_inv
	v_mul_lo_u16 v21, v148, 37
	v_lshlrev_b32_e32 v22, 5, v148
	v_add_nc_u32_e32 v4, v1, v2
	s_mul_i32 s6, s34, s6
	s_delay_alu instid0(VALU_DEP_3) | instskip(SKIP_1) | instid1(VALU_DEP_2)
	v_lshrrev_b16 v21, 8, v21
	s_ashr_i32 s7, s6, 31
	v_ashrrev_i32_e32 v4, 4, v4
	v_add_nc_u32_e32 v2, v3, v2
	s_lshl_b64 s[6:7], s[6:7], 2
	v_mul_lo_u16 v21, v21, 7
	s_add_u32 s16, s4, s6
	v_cndmask_b32_e32 v1, s3, v4, vcc_lo
	v_ashrrev_i32_e32 v2, 4, v2
	v_cmp_gt_i32_e32 vcc_lo, s30, v3
	s_addc_u32 s36, s5, s7
	s_mul_i32 s4, s15, s18
	v_sub_nc_u16 v21, v148, v21
	s_ashr_i32 s5, s4, 31
	v_cndmask_b32_e32 v3, s3, v2, vcc_lo
	v_ashrrev_i32_e32 v2, 31, v1
	s_lshl_b64 s[12:13], s[4:5], 1
	v_and_b32_e32 v21, 0xff, v21
	s_add_u32 s26, s20, s12
	v_ashrrev_i32_e32 v4, 31, v3
	v_lshlrev_b64 v[1:2], 2, v[1:2]
	s_addc_u32 s27, s21, s13
	s_lshl_b32 s4, s14, 4
	v_lshlrev_b32_e32 v197, 6, v21
	v_lshlrev_b64 v[3:4], 2, v[3:4]
	s_ashr_i32 s5, s4, 31
	v_add_co_u32 v1, vcc_lo, s16, v1
	v_add_co_ci_u32_e32 v2, vcc_lo, s36, v2, vcc_lo
	s_delay_alu instid0(VALU_DEP_3) | instskip(NEXT) | instid1(VALU_DEP_4)
	v_add_co_u32 v3, vcc_lo, s16, v3
	v_add_co_ci_u32_e32 v4, vcc_lo, s36, v4, vcc_lo
	s_clause 0x1
	global_load_b32 v5, v[1:2], off
	global_load_b32 v6, v[3:4], off
	s_lshl_b64 s[4:5], s[4:5], 2
	v_lshlrev_b32_e32 v3, 4, v0
	s_add_u32 s4, s16, s4
	s_addc_u32 s5, s36, s5
	s_or_b32 s6, s33, 16
	v_lshl_or_b32 v22, v149, 9, v22
	s_ashr_i32 s7, s6, 4
	s_cmp_lt_i32 s6, s30
	s_cselect_b32 s6, s7, s3
	s_delay_alu instid0(SALU_CYCLE_1) | instskip(NEXT) | instid1(SALU_CYCLE_1)
	s_ashr_i32 s7, s6, 31
	s_lshl_b64 s[6:7], s[6:7], 2
	s_delay_alu instid0(SALU_CYCLE_1) | instskip(SKIP_2) | instid1(SALU_CYCLE_1)
	s_add_u32 s6, s16, s6
	s_addc_u32 s7, s36, s7
	s_or_b32 s8, s33, 32
	s_ashr_i32 s9, s8, 4
	s_cmp_lt_i32 s8, s30
	s_cselect_b32 s8, s9, s3
	s_delay_alu instid0(SALU_CYCLE_1) | instskip(NEXT) | instid1(SALU_CYCLE_1)
	s_ashr_i32 s9, s8, 31
	s_lshl_b64 s[8:9], s[8:9], 2
	s_delay_alu instid0(SALU_CYCLE_1) | instskip(SKIP_2) | instid1(SALU_CYCLE_1)
	s_add_u32 s8, s16, s8
	s_addc_u32 s9, s36, s9
	s_or_b32 s10, s33, 48
	;; [unrolled: 10-line block ×4, first 2 shown]
	s_ashr_i32 s18, s15, 4
	s_cmp_lt_i32 s15, s30
	s_cselect_b32 s18, s18, s3
	s_delay_alu instid0(SALU_CYCLE_1) | instskip(NEXT) | instid1(SALU_CYCLE_1)
	s_ashr_i32 s19, s18, 31
	s_lshl_b64 s[18:19], s[18:19], 2
	s_delay_alu instid0(SALU_CYCLE_1)
	s_add_u32 s24, s16, s18
	s_addc_u32 s25, s36, s19
	s_clause 0x5
	s_load_b32 s37, s[4:5], 0x0
	s_load_b32 s29, s[6:7], 0x0
	;; [unrolled: 1-line block ×6, first 2 shown]
	s_waitcnt vmcnt(1)
	v_mad_i64_i32 v[1:2], null, v5, s17, 0
	v_and_b32_e32 v5, 0xf0, v3
	s_waitcnt vmcnt(0)
	v_mad_i64_i32 v[3:4], null, v6, s17, 0
	s_delay_alu instid0(VALU_DEP_2) | instskip(NEXT) | instid1(VALU_DEP_4)
	v_add_co_u32 v5, s4, s26, v5
	v_lshlrev_b64 v[1:2], 1, v[1:2]
	v_add_co_ci_u32_e64 v6, null, s27, 0, s4
	s_delay_alu instid0(VALU_DEP_4) | instskip(SKIP_1) | instid1(VALU_DEP_3)
	v_lshlrev_b64 v[3:4], 1, v[3:4]
	s_or_b32 s4, s33, 0x60
	v_add_co_u32 v19, vcc_lo, v5, v1
	s_delay_alu instid0(VALU_DEP_3) | instskip(NEXT) | instid1(VALU_DEP_3)
	v_add_co_ci_u32_e32 v20, vcc_lo, v6, v2, vcc_lo
	v_add_co_u32 v17, vcc_lo, v5, v3
	s_delay_alu instid0(VALU_DEP_4)
	v_add_co_ci_u32_e32 v18, vcc_lo, v6, v4, vcc_lo
	s_clause 0xb
	global_load_b128 v[1:4], v[19:20], off
	global_load_b128 v[5:8], v[19:20], off offset:256
	global_load_b128 v[129:132], v[17:18], off
	global_load_b128 v[133:136], v[17:18], off offset:256
	global_load_b128 v[33:36], v[19:20], off offset:512
	global_load_b128 v[37:40], v[19:20], off offset:768
	global_load_b128 v[25:28], v[17:18], off offset:512
	global_load_b128 v[29:32], v[17:18], off offset:768
	global_load_b128 v[9:12], v[19:20], off offset:1024
	global_load_b128 v[13:16], v[19:20], off offset:1280
	global_load_b128 v[151:154], v[17:18], off offset:1024
	global_load_b128 v[155:158], v[17:18], off offset:1280
	ds_load_b128 v[159:162], v197
	ds_load_b128 v[163:166], v197 offset:1024
	s_clause 0x3
	global_load_b128 v[167:170], v[19:20], off offset:1536
	global_load_b128 v[171:174], v[19:20], off offset:1792
	;; [unrolled: 1-line block ×4, first 2 shown]
	s_ashr_i32 s5, s4, 4
	s_cmp_lt_i32 s4, s30
	s_cselect_b32 s4, s5, s3
	s_delay_alu instid0(SALU_CYCLE_1) | instskip(NEXT) | instid1(SALU_CYCLE_1)
	s_ashr_i32 s5, s4, 31
	s_lshl_b64 s[4:5], s[4:5], 2
	s_delay_alu instid0(SALU_CYCLE_1) | instskip(SKIP_2) | instid1(SALU_CYCLE_1)
	s_add_u32 s20, s16, s4
	s_addc_u32 s21, s36, s5
	s_or_b32 s4, s33, 0x70
	s_ashr_i32 s5, s4, 4
	s_cmp_lt_i32 s4, s30
	s_cselect_b32 s4, s5, s3
	s_delay_alu instid0(SALU_CYCLE_1) | instskip(NEXT) | instid1(SALU_CYCLE_1)
	s_ashr_i32 s5, s4, 31
	s_lshl_b64 s[6:7], s[4:5], 2
	s_mov_b32 s4, 0
	s_add_u32 s24, s16, s6
	s_addc_u32 s25, s36, s7
	s_or_b32 s5, s33, 0x80
	s_mov_b32 s11, s4
	s_ashr_i32 s6, s5, 4
	s_cmp_lt_i32 s5, s30
	s_mov_b32 s5, s4
	s_cselect_b32 s8, s6, s3
	s_mov_b32 s6, s4
	s_ashr_i32 s9, s8, 31
	s_mov_b32 s7, s4
	s_lshl_b64 s[8:9], s[8:9], 2
	s_load_b32 s46, s[24:25], 0x0
	s_add_u32 s26, s16, s8
	s_addc_u32 s27, s36, s9
	s_or_b32 s9, s33, 0x90
	s_load_b32 s47, s[26:27], 0x0
	s_ashr_i32 s10, s9, 4
	s_cmp_lt_i32 s9, s30
	s_mov_b32 s8, s4
	s_cselect_b32 s38, s10, s3
	s_mov_b32 s9, s4
	s_ashr_i32 s39, s38, 31
	s_mov_b32 s10, s4
	s_lshl_b64 s[38:39], s[38:39], 2
	v_mov_b32_e32 v144, s11
	s_add_u32 s38, s16, s38
	s_addc_u32 s39, s36, s39
	s_or_b32 s40, s33, 0xa0
	v_mov_b32_e32 v143, s10
	s_ashr_i32 s41, s40, 4
	s_cmp_lt_i32 s40, s30
	v_mov_b32_e32 v142, s9
	s_cselect_b32 s40, s41, s3
	v_mov_b32_e32 v141, s8
	s_ashr_i32 s41, s40, 31
	v_dual_mov_b32 v140, s7 :: v_dual_mov_b32 v139, s6
	v_dual_mov_b32 v138, s5 :: v_dual_mov_b32 v137, s4
	s_lshl_b64 s[4:5], s[40:41], 2
	s_waitcnt lgkmcnt(0)
	s_mul_hi_i32 s7, s29, s17
	s_add_u32 s42, s16, s4
	s_addc_u32 s43, s36, s5
	s_or_b32 s4, s33, 0xb0
	s_mul_hi_i32 s5, s37, s17
	s_ashr_i32 s6, s4, 4
	s_cmp_lt_i32 s4, s30
	s_mul_i32 s4, s37, s17
	s_cselect_b32 s8, s6, s3
	s_mul_i32 s6, s29, s17
	s_ashr_i32 s9, s8, 31
	s_load_b32 s41, s[20:21], 0x0
	s_lshl_b64 s[8:9], s[8:9], 2
	s_load_b32 s40, s[38:39], 0x0
	s_add_u32 s44, s16, s8
	s_addc_u32 s45, s36, s9
	s_or_b32 s8, s33, 0xc0
	s_mul_hi_i32 s9, s28, s17
	s_ashr_i32 s10, s8, 4
	s_cmp_lt_i32 s8, s30
	s_mul_i32 s8, s28, s17
	s_cselect_b32 s28, s10, s3
	s_load_b32 s39, s[42:43], 0x0
	s_ashr_i32 s29, s28, 31
	s_mul_hi_i32 s21, s15, s17
	s_lshl_b64 s[28:29], s[28:29], 2
	s_mul_hi_i32 s27, s46, s17
	s_add_u32 s28, s16, s28
	s_addc_u32 s29, s36, s29
	s_or_b32 s37, s33, 0xd0
	s_mul_i32 s26, s46, s17
	s_ashr_i32 s20, s37, 4
	s_cmp_lt_i32 s37, s30
	s_mul_hi_i32 s11, s19, s17
	s_cselect_b32 s24, s20, s3
	s_mul_i32 s20, s15, s17
	s_ashr_i32 s25, s24, 31
	s_mul_i32 s10, s19, s17
	s_lshl_b64 s[24:25], s[24:25], 2
	s_mul_hi_i32 s19, s18, s17
	s_add_u32 s24, s16, s24
	s_addc_u32 s25, s36, s25
	s_or_b32 s42, s33, 0xe0
	s_clause 0x2
	s_load_b32 s38, s[44:45], 0x0
	s_load_b32 s37, s[28:29], 0x0
	s_load_b32 s15, s[24:25], 0x0
	s_ashr_i32 s43, s42, 4
	s_cmp_lt_i32 s42, s30
	s_mul_hi_i32 s29, s47, s17
	s_cselect_b32 s42, s43, s3
	s_mul_i32 s28, s47, s17
	s_ashr_i32 s43, s42, 31
	s_mul_i32 s18, s18, s17
	s_lshl_b64 s[42:43], s[42:43], 2
	s_waitcnt lgkmcnt(0)
	s_mul_hi_i32 s25, s41, s17
	s_add_u32 s42, s16, s42
	s_addc_u32 s43, s36, s43
	s_or_b32 s46, s33, 0xf0
	s_mul_i32 s24, s41, s17
	s_ashr_i32 s47, s46, 4
	s_cmp_lt_i32 s46, s30
	s_mul_hi_i32 s41, s40, s17
	s_cselect_b32 s46, s47, s3
	s_mul_i32 s40, s40, s17
	s_ashr_i32 s47, s46, 31
	s_mul_hi_i32 s51, s15, s17
	s_lshl_b64 s[46:47], s[46:47], 2
	s_mul_i32 s50, s15, s17
	s_add_u32 s46, s16, s46
	s_addc_u32 s47, s36, s47
	s_add_u32 s3, s22, s12
	s_addc_u32 s15, s23, s13
	v_add_co_u32 v195, s3, s3, v22
	s_delay_alu instid0(VALU_DEP_1) | instskip(SKIP_2) | instid1(VALU_DEP_2)
	v_add_co_ci_u32_e64 v196, null, s15, 0, s3
	s_lshl_b64 s[4:5], s[4:5], 1
	s_lshl_b64 s[6:7], s[6:7], 1
	v_add_co_u32 v17, vcc_lo, v195, s4
	s_delay_alu instid0(VALU_DEP_2)
	v_add_co_ci_u32_e32 v18, vcc_lo, s5, v196, vcc_lo
	v_add_co_u32 v19, vcc_lo, v195, s6
	s_lshl_b64 s[8:9], s[8:9], 1
	v_add_co_ci_u32_e32 v20, vcc_lo, s7, v196, vcc_lo
	v_add_co_u32 v21, vcc_lo, v195, s8
	s_lshl_b64 s[10:11], s[10:11], 1
	;; [unrolled: 3-line block ×8, first 2 shown]
	s_mul_hi_i32 s45, s39, s17
	s_mul_i32 s44, s39, s17
	v_add_co_ci_u32_e32 v50, vcc_lo, s25, v196, vcc_lo
	v_add_co_u32 v53, vcc_lo, v195, s26
	s_lshl_b64 s[28:29], s[44:45], 1
	s_mul_hi_i32 s39, s38, s17
	s_mul_i32 s38, s38, s17
	v_add_co_ci_u32_e32 v54, vcc_lo, s27, v196, vcc_lo
	v_add_co_u32 v183, vcc_lo, v195, s28
	s_mul_hi_i32 s49, s37, s17
	s_mul_i32 s48, s37, s17
	s_lshl_b64 s[36:37], s[38:39], 1
	v_add_co_ci_u32_e32 v184, vcc_lo, s29, v196, vcc_lo
	v_add_co_u32 v185, vcc_lo, v195, s36
	s_lshl_b64 s[38:39], s[48:49], 1
	s_clause 0x1
	s_load_b32 s3, s[42:43], 0x0
	s_load_b32 s15, s[46:47], 0x0
	v_add_co_ci_u32_e32 v186, vcc_lo, s37, v196, vcc_lo
	v_add_co_u32 v191, vcc_lo, v195, s38
	v_add_co_ci_u32_e32 v192, vcc_lo, s39, v196, vcc_lo
	s_clause 0x17
	global_load_b128 v[121:124], v[17:18], off
	global_load_b128 v[125:128], v[17:18], off offset:16
	global_load_b128 v[113:116], v[19:20], off
	global_load_b128 v[117:120], v[19:20], off offset:16
	;; [unrolled: 2-line block ×12, first 2 shown]
	s_lshl_b64 s[40:41], s[50:51], 1
	s_delay_alu instid0(SALU_CYCLE_1)
	v_add_co_u32 v193, vcc_lo, v195, s40
	v_add_co_ci_u32_e32 v194, vcc_lo, s41, v196, vcc_lo
	s_waitcnt lgkmcnt(0)
	s_mul_hi_i32 s5, s3, s17
	s_mul_i32 s4, s3, s17
	s_mul_hi_i32 s7, s15, s17
	s_lshl_b64 s[4:5], s[4:5], 1
	s_mul_i32 s6, s15, s17
	s_waitcnt vmcnt(38)
	v_wmma_f32_16x16x16_bf16 v[183:190], v[1:8], v[159:166], v[137:144]
	s_waitcnt vmcnt(36)
	v_wmma_f32_16x16x16_bf16 v[137:144], v[129:136], v[159:166], v[137:144]
	s_clause 0x1
	global_load_b128 v[1:4], v[191:192], off
	global_load_b128 v[5:8], v[191:192], off offset:16
	ds_load_b128 v[129:132], v197 offset:2048
	ds_load_b128 v[133:136], v197 offset:3072
	;; [unrolled: 1-line block ×4, first 2 shown]
	v_add_co_u32 v191, vcc_lo, v195, s4
	v_add_co_ci_u32_e32 v192, vcc_lo, s5, v196, vcc_lo
	s_lshl_b64 s[4:5], s[6:7], 1
	s_delay_alu instid0(SALU_CYCLE_1)
	v_add_co_u32 v195, vcc_lo, v195, s4
	v_add_co_ci_u32_e32 v196, vcc_lo, s5, v196, vcc_lo
	s_waitcnt vmcnt(36) lgkmcnt(2)
	v_wmma_f32_16x16x16_bf16 v[183:190], v[33:40], v[129:136], v[183:190]
	s_waitcnt vmcnt(34)
	v_wmma_f32_16x16x16_bf16 v[137:144], v[25:32], v[129:136], v[137:144]
	s_clause 0x3
	global_load_b128 v[25:28], v[193:194], off
	global_load_b128 v[29:32], v[193:194], off offset:16
	global_load_b128 v[33:36], v[191:192], off
	global_load_b128 v[37:40], v[191:192], off offset:16
	v_and_b32_e32 v129, 0xe0, v0
	v_mbcnt_lo_u32_b32 v191, -1, 0
	s_waitcnt vmcnt(36) lgkmcnt(0)
	v_wmma_f32_16x16x16_bf16 v[183:190], v[9:16], v[159:166], v[183:190]
	s_clause 0x1
	global_load_b128 v[9:12], v[195:196], off
	global_load_b128 v[13:16], v[195:196], off offset:16
	s_waitcnt vmcnt(36)
	v_wmma_f32_16x16x16_bf16 v[137:144], v[151:158], v[159:166], v[137:144]
	v_add_nc_u32_e32 v192, s33, v129
	ds_load_b128 v[129:132], v197 offset:6144
	ds_load_b128 v[133:136], v197 offset:7168
	v_xor_b32_e32 v151, 16, v191
	s_waitcnt vmcnt(0) lgkmcnt(0)
	s_barrier
	v_or_b32_e32 v152, v192, v146
	buffer_gl0_inv
	v_cmp_gt_i32_e32 vcc_lo, 32, v151
	v_or_b32_e32 v153, 2, v152
	v_or_b32_e32 v154, 4, v152
	;; [unrolled: 1-line block ×5, first 2 shown]
	v_cmp_gt_i32_e64 s3, s30, v153
	v_or_b32_e32 v158, 12, v152
	v_cmp_gt_i32_e64 s4, s30, v154
	v_cmp_gt_i32_e64 s5, s30, v155
	v_or_b32_e32 v159, 14, v152
	v_cmp_gt_i32_e64 s6, s30, v156
	v_wmma_f32_16x16x16_bf16 v[183:190], v[167:174], v[129:136], v[183:190]
	v_wmma_f32_16x16x16_bf16 v[137:144], v[175:182], v[129:136], v[137:144]
	v_cndmask_b32_e32 v151, v191, v151, vcc_lo
	v_cmp_gt_i32_e32 vcc_lo, s30, v152
	v_cmp_gt_i32_e64 s7, s30, v157
	v_dual_mul_f32 v135, s35, v184 :: v_dual_mul_f32 v136, s35, v183
	v_mul_f32_e32 v134, s35, v185
	v_dual_mul_f32 v168, s35, v144 :: v_dual_mul_f32 v133, s35, v186
	s_delay_alu instid0(VALU_DEP_3) | instskip(NEXT) | instid1(VALU_DEP_4)
	v_cndmask_b32_e64 v135, 0xff7fffff, v135, s3
	v_cndmask_b32_e32 v136, 0xff7fffff, v136, vcc_lo
	v_dual_mul_f32 v131, s35, v188 :: v_dual_mul_f32 v174, s35, v138
	v_mul_f32_e32 v132, s35, v187
	v_cndmask_b32_e64 v134, 0xff7fffff, v134, s4
	s_delay_alu instid0(VALU_DEP_4)
	v_max3_f32 v135, v136, 0xff7fffff, v135
	v_cmp_gt_i32_e64 s8, s30, v158
	v_lshlrev_b32_e32 v158, 2, v151
	v_cndmask_b32_e64 v133, 0xff7fffff, v133, s5
	v_or_b32_e32 v160, 16, v152
	v_or_b32_e32 v161, 18, v152
	v_dual_mul_f32 v129, s35, v190 :: v_dual_mul_f32 v172, s35, v140
	v_mul_f32_e32 v130, s35, v189
	v_cndmask_b32_e64 v132, 0xff7fffff, v132, s6
	v_cndmask_b32_e64 v131, 0xff7fffff, v131, s7
	v_max3_f32 v133, v135, v134, v133
	v_cmp_gt_i32_e64 s9, s30, v159
	v_or_b32_e32 v162, 20, v152
	v_or_b32_e32 v163, 22, v152
	v_mul_f32_e32 v175, s35, v137
	v_cndmask_b32_e64 v130, 0xff7fffff, v130, s8
	v_cndmask_b32_e64 v129, 0xff7fffff, v129, s9
	v_max3_f32 v131, v133, v132, v131
	v_cmp_gt_i32_e64 s10, s30, v160
	v_cmp_gt_i32_e64 s11, s30, v161
	v_or_b32_e32 v164, 24, v152
	v_or_b32_e32 v165, 26, v152
	v_mul_f32_e32 v173, s35, v139
	v_cndmask_b32_e64 v132, 0xff7fffff, v175, s10
	v_cndmask_b32_e64 v133, 0xff7fffff, v174, s11
	v_max3_f32 v129, v131, v130, v129
	v_cmp_gt_i32_e64 s12, s30, v162
	v_cmp_gt_i32_e64 s13, s30, v163
	v_or_b32_e32 v166, 28, v152
	v_or_b32_e32 v167, 30, v152
	v_dual_mul_f32 v170, s35, v142 :: v_dual_mul_f32 v171, s35, v141
	v_cndmask_b32_e64 v130, 0xff7fffff, v173, s12
	v_cndmask_b32_e64 v131, 0xff7fffff, v172, s13
	v_max3_f32 v129, v129, v132, v133
	v_cmp_gt_i32_e64 s15, s30, v164
	v_cmp_gt_i32_e64 s16, s30, v165
	v_mul_f32_e32 v169, s35, v143
	v_cmp_gt_i32_e64 s17, s30, v166
	v_max3_f32 v129, v129, v130, v131
	v_cndmask_b32_e64 v132, 0xff7fffff, v171, s15
	v_cndmask_b32_e64 v133, 0xff7fffff, v170, s16
	v_cmp_gt_i32_e64 s18, s30, v167
	v_cndmask_b32_e64 v130, 0xff7fffff, v169, s17
	s_delay_alu instid0(VALU_DEP_3) | instskip(NEXT) | instid1(VALU_DEP_3)
	v_max3_f32 v129, v129, v132, v133
	v_cndmask_b32_e64 v131, 0xff7fffff, v168, s18
	s_delay_alu instid0(VALU_DEP_1) | instskip(SKIP_3) | instid1(VALU_DEP_1)
	v_max3_f32 v129, v129, v130, v131
	ds_bpermute_b32 v130, v158, v129
	s_waitcnt lgkmcnt(0)
	v_max_f32_e32 v130, v130, v130
	v_max_f32_e32 v129, v129, v130
	s_delay_alu instid0(VALU_DEP_1)
	v_fma_f32 v130, s35, v183, -v129
	v_fma_f32 v132, s35, v185, -v129
	v_fma_f32 v131, s35, v184, -v129
	v_fma_f32 v134, s35, v187, -v129
	v_fma_f32 v133, s35, v186, -v129
	v_mul_f32_e32 v130, 0x3fb8aa3b, v130
	v_mul_f32_e32 v132, 0x3fb8aa3b, v132
	v_fma_f32 v135, s35, v189, -v129
	v_mul_f32_e32 v134, 0x3fb8aa3b, v134
	s_delay_alu instid0(VALU_DEP_4) | instskip(NEXT) | instid1(VALU_DEP_3)
	v_exp_f32_e32 v130, v130
	v_exp_f32_e32 v132, v132
	s_delay_alu instid0(VALU_DEP_1) | instskip(NEXT) | instid1(TRANS32_DEP_3)
	v_exp_f32_e32 v134, v134
	v_cndmask_b32_e32 v152, 0, v130, vcc_lo
	v_fma_f32 v130, s35, v188, -v129
	v_mul_f32_e32 v131, 0x3fb8aa3b, v131
	s_waitcnt_depctr 0xfff
	v_cndmask_b32_e64 v153, 0, v132, s4
	v_fma_f32 v132, s35, v190, -v129
	v_dual_mul_f32 v133, 0x3fb8aa3b, v133 :: v_dual_mul_f32 v130, 0x3fb8aa3b, v130
	v_exp_f32_e32 v131, v131
	v_cndmask_b32_e64 v155, 0, v134, s6
	s_delay_alu instid0(VALU_DEP_3) | instskip(NEXT) | instid1(VALU_DEP_3)
	v_mul_f32_e32 v132, 0x3fb8aa3b, v132
	v_exp_f32_e32 v133, v133
	v_exp_f32_e32 v130, v130
	v_fma_f32 v134, s35, v138, -v129
	s_delay_alu instid0(VALU_DEP_2) | instskip(SKIP_1) | instid1(VALU_DEP_2)
	v_exp_f32_e32 v132, v132
	v_cndmask_b32_e64 v151, 0, v131, s3
	v_dual_add_f32 v131, 0, v152 :: v_dual_mul_f32 v134, 0x3fb8aa3b, v134
	s_delay_alu instid0(TRANS32_DEP_3)
	v_cndmask_b32_e64 v154, 0, v133, s5
	s_waitcnt_depctr 0xfff
	v_cndmask_b32_e64 v156, 0, v130, s7
	v_fma_f32 v133, s35, v137, -v129
	v_add_f32_e32 v131, v131, v151
	v_exp_f32_e32 v134, v134
	v_cmp_gt_u32_e64 s3, 16, v150
	s_delay_alu instid0(VALU_DEP_2) | instskip(NEXT) | instid1(VALU_DEP_1)
	v_add_f32_e32 v131, v131, v153
	v_add_f32_e32 v131, v131, v154
	s_delay_alu instid0(VALU_DEP_1) | instskip(SKIP_1) | instid1(VALU_DEP_2)
	v_dual_mul_f32 v133, 0x3fb8aa3b, v133 :: v_dual_add_f32 v130, v131, v155
	v_fma_f32 v131, s35, v139, -v129
	v_exp_f32_e32 v133, v133
	v_fma_f32 v139, s35, v144, -v129
	s_delay_alu instid0(VALU_DEP_3) | instskip(NEXT) | instid1(VALU_DEP_1)
	v_dual_add_f32 v130, v130, v156 :: v_dual_mul_f32 v135, 0x3fb8aa3b, v135
	v_exp_f32_e32 v135, v135
	s_waitcnt_depctr 0xfff
	v_cndmask_b32_e64 v157, 0, v135, s8
	v_fma_f32 v135, s35, v140, -v129
	v_cndmask_b32_e64 v140, 0, v132, s9
	v_fma_f32 v132, s35, v141, -v129
	s_delay_alu instid0(VALU_DEP_4) | instskip(NEXT) | instid1(VALU_DEP_1)
	v_add_f32_e32 v130, v130, v157
	v_add_f32_e32 v130, v130, v140
	s_delay_alu instid0(VALU_DEP_3) | instskip(SKIP_4) | instid1(VALU_DEP_3)
	v_mul_f32_e32 v137, 0x3fb8aa3b, v132
	v_cndmask_b32_e64 v132, 0, v134, s11
	v_mul_f32_e32 v131, 0x3fb8aa3b, v131
	v_fma_f32 v134, s35, v143, -v129
	v_mul_f32_e32 v135, 0x3fb8aa3b, v135
	v_exp_f32_e32 v136, v131
	v_cndmask_b32_e64 v131, 0, v133, s10
	v_fma_f32 v133, s35, v142, -v129
	s_delay_alu instid0(VALU_DEP_2) | instskip(NEXT) | instid1(VALU_DEP_2)
	v_add_f32_e32 v130, v130, v131
	v_mul_f32_e32 v138, 0x3fb8aa3b, v133
	v_exp_f32_e32 v137, v137
	s_waitcnt_depctr 0xfff
	v_cndmask_b32_e64 v133, 0, v136, s12
	v_mul_f32_e32 v136, 0x3fb8aa3b, v134
	v_exp_f32_e32 v135, v135
	v_add_f32_e32 v130, v130, v132
	v_exp_f32_e32 v138, v138
	s_delay_alu instid0(VALU_DEP_2) | instskip(NEXT) | instid1(VALU_DEP_1)
	v_exp_f32_e32 v141, v136
	v_add_f32_e32 v130, v130, v133
	s_delay_alu instid0(TRANS32_DEP_3)
	v_cndmask_b32_e64 v134, 0, v135, s13
	v_cndmask_b32_e64 v135, 0, v137, s15
	v_mul_f32_e32 v137, 0x3fb8aa3b, v139
	s_waitcnt_depctr 0xfff
	v_cndmask_b32_e64 v136, 0, v138, s16
	v_add_f32_e32 v130, v130, v134
	v_exp_f32_e32 v138, v137
	v_cndmask_b32_e64 v137, 0, v141, s17
	s_delay_alu instid0(VALU_DEP_2) | instskip(NEXT) | instid1(VALU_DEP_1)
	v_add_f32_e32 v130, v130, v135
	v_add_f32_e32 v130, v130, v136
	s_waitcnt_depctr 0xfff
	v_cndmask_b32_e64 v138, 0, v138, s18
	v_add_f32_e32 v130, v130, v137
	s_delay_alu instid0(VALU_DEP_1)
	v_add_f32_e32 v130, v130, v138
	ds_bpermute_b32 v139, v158, v130
	s_and_saveexec_b32 s4, s3
	s_cbranch_execz .LBB448_12
; %bb.11:
	v_mul_u32_u24_e32 v141, 0x44, v149
	s_delay_alu instid0(VALU_DEP_1) | instskip(SKIP_1) | instid1(VALU_DEP_1)
	v_lshl_add_u32 v141, v148, 2, v141
	s_waitcnt lgkmcnt(0)
	v_dual_add_f32 v130, v130, v139 :: v_dual_add_nc_u32 v139, 0x4000, v141
	ds_store_2addr_b32 v139, v129, v130 offset1:136
.LBB448_12:
	s_or_b32 exec_lo, exec_lo, s4
	v_lshlrev_b32_e32 v129, 2, v148
	s_waitcnt lgkmcnt(0)
	s_barrier
	buffer_gl0_inv
	v_cmp_eq_u32_e64 s4, 1, v149
	v_add_nc_u32_e32 v139, 0x4000, v129
	ds_load_2addr_b32 v[141:142], v139 offset1:17
	ds_load_2addr_b32 v[143:144], v139 offset0:34 offset1:51
	ds_load_2addr_b32 v[158:159], v139 offset0:68 offset1:85
	;; [unrolled: 1-line block ×4, first 2 shown]
	s_waitcnt lgkmcnt(4)
	v_max3_f32 v129, v141, 0xff7fffff, v142
	s_waitcnt lgkmcnt(3)
	s_delay_alu instid0(VALU_DEP_1) | instskip(SKIP_1) | instid1(VALU_DEP_1)
	v_max3_f32 v129, v129, v143, v144
	s_waitcnt lgkmcnt(2)
	v_max3_f32 v129, v129, v158, v159
	s_waitcnt lgkmcnt(1)
	s_delay_alu instid0(VALU_DEP_1) | instskip(NEXT) | instid1(VALU_DEP_1)
	v_max3_f32 v129, v129, v160, v161
	v_sub_f32_e32 v158, v158, v129
	s_delay_alu instid0(VALU_DEP_1) | instskip(NEXT) | instid1(VALU_DEP_1)
	v_dual_sub_f32 v150, v142, v129 :: v_dual_mul_f32 v167, 0x3fb8aa3b, v158
	v_dual_sub_f32 v143, v143, v129 :: v_dual_mul_f32 v150, 0x3fb8aa3b, v150
	s_delay_alu instid0(VALU_DEP_1) | instskip(NEXT) | instid1(VALU_DEP_2)
	v_dual_sub_f32 v130, v141, v129 :: v_dual_mul_f32 v165, 0x3fb8aa3b, v143
	v_exp_f32_e32 v150, v150
	s_delay_alu instid0(VALU_DEP_1) | instskip(NEXT) | instid1(VALU_DEP_2)
	v_mul_f32_e32 v130, 0x3fb8aa3b, v130
	v_exp_f32_e32 v165, v165
	s_delay_alu instid0(VALU_DEP_1) | instskip(SKIP_1) | instid1(VALU_DEP_1)
	v_exp_f32_e32 v164, v130
	v_sub_f32_e32 v130, v144, v129
	v_mul_f32_e32 v166, 0x3fb8aa3b, v130
	s_waitcnt lgkmcnt(0)
	s_waitcnt_depctr 0xfff
	v_fma_f32 v130, v164, v162, 0
	v_sub_f32_e32 v162, v159, v129
	s_delay_alu instid0(VALU_DEP_2)
	v_fmac_f32_e32 v130, v150, v163
	ds_load_2addr_b32 v[141:142], v139 offset0:170 offset1:187
	ds_load_2addr_b32 v[143:144], v139 offset0:204 offset1:221
	;; [unrolled: 1-line block ×3, first 2 shown]
	v_sub_f32_e32 v139, v160, v129
	v_exp_f32_e32 v166, v166
	v_mul_f32_e32 v160, 0x3fb8aa3b, v162
	v_exp_f32_e32 v162, v167
	v_cndmask_b32_e64 v150, v164, v150, s4
	v_mul_f32_e32 v139, 0x3fb8aa3b, v139
	v_cmp_eq_u32_e64 s4, 2, v149
	s_waitcnt lgkmcnt(0)
	s_barrier
	buffer_gl0_inv
	v_exp_f32_e32 v139, v139
	v_cndmask_b32_e64 v150, v150, v165, s4
	v_cmp_eq_u32_e64 s4, 3, v149
	v_fmac_f32_e32 v130, v165, v141
	v_sub_f32_e32 v141, v161, v129
	v_exp_f32_e32 v160, v160
	s_delay_alu instid0(VALU_DEP_3) | instskip(SKIP_1) | instid1(VALU_DEP_3)
	v_cndmask_b32_e64 v150, v150, v166, s4
	v_cmp_eq_u32_e64 s4, 4, v149
	v_dual_fmac_f32 v130, v166, v142 :: v_dual_mul_f32 v141, 0x3fb8aa3b, v141
	s_delay_alu instid0(VALU_DEP_2) | instskip(SKIP_1) | instid1(VALU_DEP_3)
	v_cndmask_b32_e64 v150, v150, v162, s4
	v_cmp_eq_u32_e64 s4, 5, v149
	v_exp_f32_e32 v141, v141
	s_delay_alu instid0(VALU_DEP_3)
	v_fmac_f32_e32 v130, v162, v143
	s_delay_alu instid0(TRANS32_DEP_2) | instid1(VALU_DEP_2)
	v_cndmask_b32_e64 v150, v150, v160, s4
	s_delay_alu instid0(VALU_DEP_2) | instskip(NEXT) | instid1(VALU_DEP_1)
	v_fmac_f32_e32 v130, v160, v144
	v_fmac_f32_e32 v130, v139, v158
	s_waitcnt_depctr 0xfff
	v_fmac_f32_e32 v130, v141, v159
	s_delay_alu instid0(VALU_DEP_1) | instskip(NEXT) | instid1(VALU_DEP_1)
	v_add_f32_e32 v142, 0x358637bd, v130
	v_div_scale_f32 v143, null, v142, v142, 1.0
	v_div_scale_f32 v159, vcc_lo, 1.0, v142, 1.0
	s_delay_alu instid0(VALU_DEP_2) | instskip(SKIP_2) | instid1(VALU_DEP_1)
	v_rcp_f32_e32 v144, v143
	s_waitcnt_depctr 0xfff
	v_fma_f32 v158, -v143, v144, 1.0
	v_fmac_f32_e32 v144, v158, v144
	s_delay_alu instid0(VALU_DEP_1) | instskip(NEXT) | instid1(VALU_DEP_1)
	v_mul_f32_e32 v158, v159, v144
	v_fma_f32 v161, -v143, v158, v159
	s_delay_alu instid0(VALU_DEP_1) | instskip(NEXT) | instid1(VALU_DEP_1)
	v_fmac_f32_e32 v158, v161, v144
	v_fma_f32 v143, -v143, v158, v159
	s_delay_alu instid0(VALU_DEP_1) | instskip(SKIP_1) | instid1(VALU_DEP_2)
	v_div_fmas_f32 v143, v143, v144, v158
	v_cmp_eq_u32_e32 vcc_lo, 6, v149
	v_div_fixup_f32 v142, v143, v142, 1.0
	v_cndmask_b32_e32 v139, v150, v139, vcc_lo
	v_cmp_eq_u32_e32 vcc_lo, 7, v149
	s_delay_alu instid0(VALU_DEP_2) | instskip(NEXT) | instid1(VALU_DEP_1)
	v_cndmask_b32_e32 v139, v139, v141, vcc_lo
	v_mul_f32_e32 v139, v139, v142
	s_delay_alu instid0(VALU_DEP_1) | instskip(SKIP_4) | instid1(VALU_DEP_4)
	v_mul_f32_e32 v153, v139, v153
	v_mul_f32_e32 v142, v139, v152
	;; [unrolled: 1-line block ×5, first 2 shown]
	v_dual_mul_f32 v152, v139, v155 :: v_dual_and_b32 v141, 0x7f800000, v142
	v_mul_f32_e32 v154, v139, v154
	v_mul_f32_e32 v144, v139, v151
	s_delay_alu instid0(VALU_DEP_3) | instskip(SKIP_1) | instid1(SALU_CYCLE_1)
	v_cmp_ne_u32_e32 vcc_lo, 0x7f800000, v141
                                        ; implicit-def: $vgpr141
	s_and_saveexec_b32 s4, vcc_lo
	s_xor_b32 s4, exec_lo, s4
; %bb.13:
	v_bfe_u32 v141, v142, 16, 1
	s_delay_alu instid0(VALU_DEP_1)
	v_add3_u32 v141, v142, v141, 0x7fff
                                        ; implicit-def: $vgpr142
; %bb.14:
	s_and_not1_saveexec_b32 s4, s4
; %bb.15:
	v_and_b32_e32 v141, 0xffff, v142
	v_or_b32_e32 v151, 0x10000, v142
	s_delay_alu instid0(VALU_DEP_2) | instskip(NEXT) | instid1(VALU_DEP_2)
	v_cmp_eq_u32_e32 vcc_lo, 0, v141
	v_cndmask_b32_e32 v141, v151, v142, vcc_lo
; %bb.16:
	s_or_b32 exec_lo, exec_lo, s4
	v_and_b32_e32 v142, 0x7f800000, v144
	s_delay_alu instid0(VALU_DEP_1) | instskip(SKIP_1) | instid1(SALU_CYCLE_1)
	v_cmp_ne_u32_e32 vcc_lo, 0x7f800000, v142
                                        ; implicit-def: $vgpr142
	s_and_saveexec_b32 s4, vcc_lo
	s_xor_b32 s4, exec_lo, s4
; %bb.17:
	v_bfe_u32 v142, v144, 16, 1
	s_delay_alu instid0(VALU_DEP_1)
	v_add3_u32 v142, v144, v142, 0x7fff
                                        ; implicit-def: $vgpr144
; %bb.18:
	s_and_not1_saveexec_b32 s4, s4
; %bb.19:
	v_and_b32_e32 v142, 0xffff, v144
	v_or_b32_e32 v151, 0x10000, v144
	s_delay_alu instid0(VALU_DEP_2) | instskip(NEXT) | instid1(VALU_DEP_2)
	v_cmp_eq_u32_e32 vcc_lo, 0, v142
	v_cndmask_b32_e32 v142, v151, v144, vcc_lo
; %bb.20:
	s_or_b32 exec_lo, exec_lo, s4
	v_and_b32_e32 v144, 0x7f800000, v153
	s_delay_alu instid0(VALU_DEP_1) | instskip(SKIP_1) | instid1(SALU_CYCLE_1)
	v_cmp_ne_u32_e32 vcc_lo, 0x7f800000, v144
                                        ; implicit-def: $vgpr144
	s_and_saveexec_b32 s4, vcc_lo
	s_xor_b32 s4, exec_lo, s4
; %bb.21:
	v_bfe_u32 v144, v153, 16, 1
	s_delay_alu instid0(VALU_DEP_1)
	v_add3_u32 v144, v153, v144, 0x7fff
                                        ; implicit-def: $vgpr153
; %bb.22:
	s_and_not1_saveexec_b32 s4, s4
; %bb.23:
	v_and_b32_e32 v144, 0xffff, v153
	v_or_b32_e32 v151, 0x10000, v153
	s_delay_alu instid0(VALU_DEP_2) | instskip(NEXT) | instid1(VALU_DEP_2)
	v_cmp_eq_u32_e32 vcc_lo, 0, v144
	v_cndmask_b32_e32 v144, v151, v153, vcc_lo
; %bb.24:
	s_or_b32 exec_lo, exec_lo, s4
	v_and_b32_e32 v151, 0x7f800000, v154
	s_delay_alu instid0(VALU_DEP_1) | instskip(SKIP_1) | instid1(SALU_CYCLE_1)
	v_cmp_ne_u32_e32 vcc_lo, 0x7f800000, v151
                                        ; implicit-def: $vgpr151
	s_and_saveexec_b32 s4, vcc_lo
	s_xor_b32 s4, exec_lo, s4
; %bb.25:
	v_bfe_u32 v151, v154, 16, 1
	s_delay_alu instid0(VALU_DEP_1)
	v_add3_u32 v151, v154, v151, 0x7fff
                                        ; implicit-def: $vgpr154
; %bb.26:
	s_and_not1_saveexec_b32 s4, s4
; %bb.27:
	v_and_b32_e32 v151, 0xffff, v154
	v_or_b32_e32 v153, 0x10000, v154
	s_delay_alu instid0(VALU_DEP_2) | instskip(NEXT) | instid1(VALU_DEP_2)
	v_cmp_eq_u32_e32 vcc_lo, 0, v151
	v_cndmask_b32_e32 v151, v153, v154, vcc_lo
; %bb.28:
	s_or_b32 exec_lo, exec_lo, s4
	v_and_b32_e32 v153, 0x7f800000, v152
	s_delay_alu instid0(VALU_DEP_1) | instskip(SKIP_1) | instid1(SALU_CYCLE_1)
	v_cmp_ne_u32_e32 vcc_lo, 0x7f800000, v153
                                        ; implicit-def: $vgpr153
	s_and_saveexec_b32 s4, vcc_lo
	s_xor_b32 s4, exec_lo, s4
; %bb.29:
	v_bfe_u32 v153, v152, 16, 1
	s_delay_alu instid0(VALU_DEP_1)
	v_add3_u32 v153, v152, v153, 0x7fff
                                        ; implicit-def: $vgpr152
; %bb.30:
	s_and_not1_saveexec_b32 s4, s4
; %bb.31:
	v_and_b32_e32 v153, 0xffff, v152
	v_or_b32_e32 v154, 0x10000, v152
	s_delay_alu instid0(VALU_DEP_2) | instskip(NEXT) | instid1(VALU_DEP_2)
	v_cmp_eq_u32_e32 vcc_lo, 0, v153
	v_cndmask_b32_e32 v153, v154, v152, vcc_lo
; %bb.32:
	s_or_b32 exec_lo, exec_lo, s4
	v_and_b32_e32 v152, 0x7f800000, v150
	s_delay_alu instid0(VALU_DEP_1) | instskip(SKIP_1) | instid1(SALU_CYCLE_1)
	v_cmp_ne_u32_e32 vcc_lo, 0x7f800000, v152
                                        ; implicit-def: $vgpr152
	s_and_saveexec_b32 s4, vcc_lo
	s_xor_b32 s4, exec_lo, s4
; %bb.33:
	v_bfe_u32 v152, v150, 16, 1
	s_delay_alu instid0(VALU_DEP_1)
	v_add3_u32 v152, v150, v152, 0x7fff
                                        ; implicit-def: $vgpr150
; %bb.34:
	s_and_not1_saveexec_b32 s4, s4
; %bb.35:
	v_and_b32_e32 v152, 0xffff, v150
	v_or_b32_e32 v154, 0x10000, v150
	s_delay_alu instid0(VALU_DEP_2) | instskip(NEXT) | instid1(VALU_DEP_2)
	v_cmp_eq_u32_e32 vcc_lo, 0, v152
	v_cndmask_b32_e32 v152, v154, v150, vcc_lo
; %bb.36:
	s_or_b32 exec_lo, exec_lo, s4
	v_and_b32_e32 v150, 0x7f800000, v143
	s_delay_alu instid0(VALU_DEP_1) | instskip(SKIP_1) | instid1(SALU_CYCLE_1)
	v_cmp_ne_u32_e32 vcc_lo, 0x7f800000, v150
                                        ; implicit-def: $vgpr150
	s_and_saveexec_b32 s4, vcc_lo
	s_xor_b32 s4, exec_lo, s4
; %bb.37:
	v_bfe_u32 v150, v143, 16, 1
	s_delay_alu instid0(VALU_DEP_1)
	v_add3_u32 v150, v143, v150, 0x7fff
                                        ; implicit-def: $vgpr143
; %bb.38:
	s_and_not1_saveexec_b32 s4, s4
; %bb.39:
	v_and_b32_e32 v150, 0xffff, v143
	v_or_b32_e32 v154, 0x10000, v143
	s_delay_alu instid0(VALU_DEP_2) | instskip(NEXT) | instid1(VALU_DEP_2)
	v_cmp_eq_u32_e32 vcc_lo, 0, v150
	v_cndmask_b32_e32 v150, v154, v143, vcc_lo
; %bb.40:
	s_or_b32 exec_lo, exec_lo, s4
	v_and_b32_e32 v143, 0x7f800000, v140
	s_delay_alu instid0(VALU_DEP_1) | instskip(SKIP_1) | instid1(SALU_CYCLE_1)
	v_cmp_ne_u32_e32 vcc_lo, 0x7f800000, v143
                                        ; implicit-def: $vgpr143
	s_and_saveexec_b32 s4, vcc_lo
	s_xor_b32 s4, exec_lo, s4
; %bb.41:
	v_bfe_u32 v143, v140, 16, 1
	s_delay_alu instid0(VALU_DEP_1)
	v_add3_u32 v143, v140, v143, 0x7fff
                                        ; implicit-def: $vgpr140
; %bb.42:
	s_and_not1_saveexec_b32 s4, s4
; %bb.43:
	v_and_b32_e32 v143, 0xffff, v140
	v_or_b32_e32 v154, 0x10000, v140
	s_delay_alu instid0(VALU_DEP_2) | instskip(NEXT) | instid1(VALU_DEP_2)
	v_cmp_eq_u32_e32 vcc_lo, 0, v143
	v_cndmask_b32_e32 v143, v154, v140, vcc_lo
; %bb.44:
	s_or_b32 exec_lo, exec_lo, s4
	s_load_b64 s[36:37], s[0:1], 0x94
	v_dual_mul_f32 v136, v139, v136 :: v_dual_lshlrev_b32 v155, 4, v146
	s_delay_alu instid0(VALU_DEP_2)
	v_perm_b32 v154, v143, v150, 0x7060302
	v_dual_mul_f32 v143, v139, v131 :: v_dual_lshlrev_b32 v140, 6, v148
	v_dual_mul_f32 v135, v139, v135 :: v_dual_lshlrev_b32 v150, 11, v149
	v_perm_b32 v153, v152, v153, 0x7060302
	v_perm_b32 v152, v151, v144, 0x7060302
	;; [unrolled: 1-line block ×3, first 2 shown]
	s_delay_alu instid0(VALU_DEP_4)
	v_or3_b32 v131, v155, v150, v140
	v_mul_f32_e32 v138, v139, v138
	v_dual_mul_f32 v137, v139, v137 :: v_dual_and_b32 v144, 0x7f800000, v143
	v_mul_f32_e32 v141, v139, v134
	v_mul_f32_e32 v142, v139, v133
	;; [unrolled: 1-line block ×3, first 2 shown]
	s_mov_b32 s4, exec_lo
	ds_store_b128 v131, v[151:154]
                                        ; implicit-def: $vgpr132
	v_cmpx_ne_u32_e32 0x7f800000, v144
	s_xor_b32 s4, exec_lo, s4
; %bb.45:
	v_bfe_u32 v132, v143, 16, 1
	s_delay_alu instid0(VALU_DEP_1)
	v_add3_u32 v132, v143, v132, 0x7fff
                                        ; implicit-def: $vgpr143
; %bb.46:
	s_and_not1_saveexec_b32 s4, s4
; %bb.47:
	v_and_b32_e32 v132, 0xffff, v143
	v_or_b32_e32 v133, 0x10000, v143
	s_delay_alu instid0(VALU_DEP_2) | instskip(NEXT) | instid1(VALU_DEP_2)
	v_cmp_eq_u32_e32 vcc_lo, 0, v132
	v_cndmask_b32_e32 v132, v133, v143, vcc_lo
; %bb.48:
	s_or_b32 exec_lo, exec_lo, s4
	v_and_b32_e32 v133, 0x7f800000, v134
	s_delay_alu instid0(VALU_DEP_1) | instskip(SKIP_1) | instid1(SALU_CYCLE_1)
	v_cmp_ne_u32_e32 vcc_lo, 0x7f800000, v133
                                        ; implicit-def: $vgpr133
	s_and_saveexec_b32 s4, vcc_lo
	s_xor_b32 s4, exec_lo, s4
; %bb.49:
	v_bfe_u32 v133, v134, 16, 1
	s_delay_alu instid0(VALU_DEP_1)
	v_add3_u32 v133, v134, v133, 0x7fff
                                        ; implicit-def: $vgpr134
; %bb.50:
	s_and_not1_saveexec_b32 s4, s4
; %bb.51:
	v_and_b32_e32 v133, 0xffff, v134
	v_or_b32_e32 v139, 0x10000, v134
	s_delay_alu instid0(VALU_DEP_2) | instskip(NEXT) | instid1(VALU_DEP_2)
	v_cmp_eq_u32_e32 vcc_lo, 0, v133
	v_cndmask_b32_e32 v133, v139, v134, vcc_lo
; %bb.52:
	s_or_b32 exec_lo, exec_lo, s4
	v_and_b32_e32 v134, 0x7f800000, v142
	s_delay_alu instid0(VALU_DEP_1) | instskip(SKIP_1) | instid1(SALU_CYCLE_1)
	v_cmp_ne_u32_e32 vcc_lo, 0x7f800000, v134
                                        ; implicit-def: $vgpr134
	s_and_saveexec_b32 s4, vcc_lo
	s_xor_b32 s4, exec_lo, s4
; %bb.53:
	v_bfe_u32 v134, v142, 16, 1
	s_delay_alu instid0(VALU_DEP_1)
	v_add3_u32 v134, v142, v134, 0x7fff
                                        ; implicit-def: $vgpr142
; %bb.54:
	s_and_not1_saveexec_b32 s4, s4
; %bb.55:
	v_and_b32_e32 v134, 0xffff, v142
	v_or_b32_e32 v139, 0x10000, v142
	s_delay_alu instid0(VALU_DEP_2) | instskip(NEXT) | instid1(VALU_DEP_2)
	v_cmp_eq_u32_e32 vcc_lo, 0, v134
	v_cndmask_b32_e32 v134, v139, v142, vcc_lo
; %bb.56:
	s_or_b32 exec_lo, exec_lo, s4
	v_and_b32_e32 v139, 0x7f800000, v141
	s_delay_alu instid0(VALU_DEP_1) | instskip(SKIP_1) | instid1(SALU_CYCLE_1)
	v_cmp_ne_u32_e32 vcc_lo, 0x7f800000, v139
                                        ; implicit-def: $vgpr139
	s_and_saveexec_b32 s4, vcc_lo
	s_xor_b32 s4, exec_lo, s4
; %bb.57:
	v_bfe_u32 v139, v141, 16, 1
	s_delay_alu instid0(VALU_DEP_1)
	v_add3_u32 v139, v141, v139, 0x7fff
                                        ; implicit-def: $vgpr141
; %bb.58:
	s_and_not1_saveexec_b32 s4, s4
; %bb.59:
	v_and_b32_e32 v139, 0xffff, v141
	v_or_b32_e32 v142, 0x10000, v141
	s_delay_alu instid0(VALU_DEP_2) | instskip(NEXT) | instid1(VALU_DEP_2)
	v_cmp_eq_u32_e32 vcc_lo, 0, v139
	v_cndmask_b32_e32 v139, v142, v141, vcc_lo
; %bb.60:
	s_or_b32 exec_lo, exec_lo, s4
	v_and_b32_e32 v141, 0x7f800000, v135
	s_delay_alu instid0(VALU_DEP_1) | instskip(SKIP_1) | instid1(SALU_CYCLE_1)
	v_cmp_ne_u32_e32 vcc_lo, 0x7f800000, v141
                                        ; implicit-def: $vgpr141
	s_and_saveexec_b32 s4, vcc_lo
	s_xor_b32 s4, exec_lo, s4
; %bb.61:
	v_bfe_u32 v141, v135, 16, 1
	s_delay_alu instid0(VALU_DEP_1)
	v_add3_u32 v141, v135, v141, 0x7fff
                                        ; implicit-def: $vgpr135
; %bb.62:
	s_and_not1_saveexec_b32 s4, s4
; %bb.63:
	v_and_b32_e32 v141, 0xffff, v135
	v_or_b32_e32 v142, 0x10000, v135
	s_delay_alu instid0(VALU_DEP_2) | instskip(NEXT) | instid1(VALU_DEP_2)
	v_cmp_eq_u32_e32 vcc_lo, 0, v141
	v_cndmask_b32_e32 v141, v142, v135, vcc_lo
; %bb.64:
	s_or_b32 exec_lo, exec_lo, s4
	v_and_b32_e32 v135, 0x7f800000, v136
	s_delay_alu instid0(VALU_DEP_1) | instskip(SKIP_1) | instid1(SALU_CYCLE_1)
	v_cmp_ne_u32_e32 vcc_lo, 0x7f800000, v135
                                        ; implicit-def: $vgpr135
	s_and_saveexec_b32 s4, vcc_lo
	s_xor_b32 s4, exec_lo, s4
; %bb.65:
	v_bfe_u32 v135, v136, 16, 1
	s_delay_alu instid0(VALU_DEP_1)
	v_add3_u32 v135, v136, v135, 0x7fff
                                        ; implicit-def: $vgpr136
; %bb.66:
	s_and_not1_saveexec_b32 s4, s4
; %bb.67:
	v_and_b32_e32 v135, 0xffff, v136
	v_or_b32_e32 v142, 0x10000, v136
	s_delay_alu instid0(VALU_DEP_2) | instskip(NEXT) | instid1(VALU_DEP_2)
	v_cmp_eq_u32_e32 vcc_lo, 0, v135
	v_cndmask_b32_e32 v135, v142, v136, vcc_lo
; %bb.68:
	s_or_b32 exec_lo, exec_lo, s4
	v_and_b32_e32 v136, 0x7f800000, v137
	s_delay_alu instid0(VALU_DEP_1) | instskip(SKIP_1) | instid1(SALU_CYCLE_1)
	v_cmp_ne_u32_e32 vcc_lo, 0x7f800000, v136
                                        ; implicit-def: $vgpr136
	s_and_saveexec_b32 s4, vcc_lo
	s_xor_b32 s4, exec_lo, s4
; %bb.69:
	v_bfe_u32 v136, v137, 16, 1
	s_delay_alu instid0(VALU_DEP_1)
	v_add3_u32 v136, v137, v136, 0x7fff
                                        ; implicit-def: $vgpr137
; %bb.70:
	s_and_not1_saveexec_b32 s4, s4
; %bb.71:
	v_and_b32_e32 v136, 0xffff, v137
	v_or_b32_e32 v142, 0x10000, v137
	s_delay_alu instid0(VALU_DEP_2) | instskip(NEXT) | instid1(VALU_DEP_2)
	v_cmp_eq_u32_e32 vcc_lo, 0, v136
	v_cndmask_b32_e32 v136, v142, v137, vcc_lo
; %bb.72:
	s_or_b32 exec_lo, exec_lo, s4
	v_and_b32_e32 v137, 0x7f800000, v138
	s_delay_alu instid0(VALU_DEP_1) | instskip(SKIP_1) | instid1(SALU_CYCLE_1)
	v_cmp_ne_u32_e32 vcc_lo, 0x7f800000, v137
                                        ; implicit-def: $vgpr137
	s_and_saveexec_b32 s4, vcc_lo
	s_xor_b32 s4, exec_lo, s4
; %bb.73:
	v_bfe_u32 v137, v138, 16, 1
	s_delay_alu instid0(VALU_DEP_1)
	v_add3_u32 v137, v138, v137, 0x7fff
                                        ; implicit-def: $vgpr138
; %bb.74:
	s_and_not1_saveexec_b32 s4, s4
; %bb.75:
	v_and_b32_e32 v137, 0xffff, v138
	v_or_b32_e32 v142, 0x10000, v138
	s_delay_alu instid0(VALU_DEP_2) | instskip(NEXT) | instid1(VALU_DEP_2)
	v_cmp_eq_u32_e32 vcc_lo, 0, v137
	v_cndmask_b32_e32 v137, v142, v138, vcc_lo
; %bb.76:
	s_or_b32 exec_lo, exec_lo, s4
	s_delay_alu instid0(VALU_DEP_1)
	v_perm_b32 v136, v137, v136, 0x7060302
	v_perm_b32 v135, v135, v141, 0x7060302
	;; [unrolled: 1-line block ×4, first 2 shown]
	v_lshl_or_b32 v141, v149, 11, v140
	ds_store_b128 v131, v[133:136] offset:1024
	s_waitcnt lgkmcnt(0)
	s_barrier
	buffer_gl0_inv
	ds_load_b128 v[132:135], v141
	ds_load_b128 v[149:152], v141 offset:16
	s_waitcnt lgkmcnt(1)
	v_lshrrev_b32_e32 v136, 16, v132
	s_waitcnt lgkmcnt(0)
	v_lshrrev_b32_e32 v164, 16, v151
	v_lshlrev_b32_e32 v138, 2, v146
	v_lshrrev_b32_e32 v143, 16, v149
	v_lshrrev_b32_e32 v162, 16, v150
	;; [unrolled: 1-line block ×4, first 2 shown]
	v_or_b32_e32 v139, 1, v138
	v_lshrrev_b32_e32 v165, 16, v152
	v_lshrrev_b32_e32 v163, 16, v135
	s_delay_alu instid0(VALU_DEP_3)
	v_cmp_eq_u32_e64 s8, 1, v139
	v_cmp_eq_u32_e64 s7, 2, v139
	;; [unrolled: 1-line block ×4, first 2 shown]
	v_cmp_eq_u32_e32 vcc_lo, 5, v139
	v_cndmask_b32_e64 v155, v149, v143, s8
	v_cndmask_b32_e64 v154, v132, v136, s8
	v_cmp_eq_u32_e64 s5, 6, v139
	v_cmp_eq_u32_e64 s20, 7, v139
	s_delay_alu instid0(VALU_DEP_4) | instskip(NEXT) | instid1(VALU_DEP_4)
	v_cndmask_b32_e64 v155, v155, v150, s7
	v_cndmask_b32_e64 v154, v154, v133, s7
	s_delay_alu instid0(VALU_DEP_2) | instskip(NEXT) | instid1(VALU_DEP_2)
	v_cndmask_b32_e64 v155, v155, v162, s6
	v_cndmask_b32_e64 v154, v154, v144, s6
	s_delay_alu instid0(VALU_DEP_2) | instskip(NEXT) | instid1(VALU_DEP_2)
	v_cndmask_b32_e64 v155, v155, v151, s4
	v_cndmask_b32_e64 v154, v154, v134, s4
	s_delay_alu instid0(VALU_DEP_2)
	v_cndmask_b32_e32 v157, v155, v164, vcc_lo
	v_cmp_eq_u32_e64 s13, 1, v138
	v_cmp_eq_u32_e64 s12, 2, v138
	;; [unrolled: 1-line block ×3, first 2 shown]
	v_or_b32_e32 v137, 2, v138
	v_cmp_eq_u32_e64 s18, 4, v138
	v_cndmask_b32_e64 v153, v149, v143, s13
	v_cndmask_b32_e64 v142, v132, v136, s13
	v_cmp_eq_u32_e64 s15, 5, v138
	v_cmp_eq_u32_e64 s9, 1, v137
	;; [unrolled: 1-line block ×3, first 2 shown]
	v_cndmask_b32_e64 v153, v153, v150, s12
	v_cndmask_b32_e64 v142, v142, v133, s12
	v_cmp_eq_u32_e64 s11, 2, v137
	v_cndmask_b32_e64 v156, v132, v136, s9
	v_cndmask_b32_e32 v154, v154, v161, vcc_lo
	v_cndmask_b32_e64 v153, v153, v162, s17
	v_cndmask_b32_e64 v142, v142, v144, s17
	v_cmp_eq_u32_e64 s10, 7, v138
	v_cndmask_b32_e64 v156, v156, v133, s11
	v_cmp_eq_u32_e64 s19, 3, v137
	v_cndmask_b32_e64 v153, v153, v151, s18
	v_cndmask_b32_e64 v142, v142, v134, s18
	;; [unrolled: 1-line block ×3, first 2 shown]
	v_cmp_eq_u32_e64 s21, 4, v137
	v_cndmask_b32_e64 v156, v156, v144, s19
	v_cndmask_b32_e64 v153, v153, v164, s15
	;; [unrolled: 1-line block ×4, first 2 shown]
	v_cmp_eq_u32_e64 s23, 5, v137
	v_cndmask_b32_e64 v159, v156, v134, s21
	v_cndmask_b32_e64 v153, v153, v152, s16
	;; [unrolled: 1-line block ×3, first 2 shown]
	v_cmp_eq_u32_e64 s26, 6, v137
	v_cmp_eq_u32_e64 s28, 7, v137
	v_cndmask_b32_e64 v169, v159, v161, s23
	v_cndmask_b32_e64 v167, v153, v165, s10
	;; [unrolled: 1-line block ×4, first 2 shown]
	v_or_b32_e32 v142, 3, v138
	s_delay_alu instid0(VALU_DEP_3)
	v_cndmask_b32_e64 v158, v153, v150, s11
	ds_load_b128 v[153:156], v141 offset:1024
	v_cmp_eq_u32_e64 s22, 1, v142
	v_cmp_eq_u32_e64 s24, 2, v142
	;; [unrolled: 1-line block ×3, first 2 shown]
	v_cndmask_b32_e64 v158, v158, v162, s19
	v_cmp_eq_u32_e64 s27, 4, v142
	v_cndmask_b32_e64 v132, v132, v136, s22
	v_cndmask_b32_e64 v136, v157, v152, s5
	;; [unrolled: 1-line block ×4, first 2 shown]
	ds_load_b128 v[157:160], v141 offset:1040
	v_cndmask_b32_e64 v132, v132, v133, s24
	v_cmp_eq_u32_e64 s29, 5, v142
	v_cndmask_b32_e64 v143, v143, v150, s24
	v_cmp_eq_u32_e64 s30, 6, v142
	v_cndmask_b32_e64 v133, v170, v164, s23
	v_cndmask_b32_e64 v132, v132, v144, s25
	v_cndmask_b32_e64 v144, v169, v135, s26
	v_cndmask_b32_e64 v143, v143, v162, s25
	v_cndmask_b32_e64 v136, v136, v165, s20
	s_waitcnt lgkmcnt(1)
	v_lshrrev_b32_e32 v149, 16, v153
	v_cndmask_b32_e64 v132, v132, v134, s27
	v_cndmask_b32_e64 v133, v133, v152, s26
	;; [unrolled: 1-line block ×3, first 2 shown]
	v_lshrrev_b32_e32 v151, 16, v154
	v_cndmask_b32_e64 v143, v153, v149, s13
	v_cndmask_b32_e64 v132, v132, v161, s29
	;; [unrolled: 1-line block ×5, first 2 shown]
	s_waitcnt lgkmcnt(0)
	v_lshrrev_b32_e32 v150, 16, v157
	v_cndmask_b32_e64 v143, v143, v154, s12
	v_cndmask_b32_e64 v132, v132, v135, s30
	;; [unrolled: 1-line block ×3, first 2 shown]
	v_lshrrev_b32_e32 v164, 16, v159
	v_cndmask_b32_e64 v162, v157, v150, s13
	v_cndmask_b32_e64 v135, v143, v151, s17
	;; [unrolled: 1-line block ×3, first 2 shown]
	v_lshrrev_b32_e32 v161, 16, v158
	v_cndmask_b32_e64 v133, v133, v165, s28
	v_cndmask_b32_e64 v152, v162, v158, s12
	v_cmp_eq_u32_e64 s12, 7, v142
	v_cndmask_b32_e64 v143, v143, v151, s6
	v_cndmask_b32_e64 v135, v135, v155, s18
	v_lshrrev_b32_e32 v162, 16, v155
	v_cndmask_b32_e64 v152, v152, v161, s17
	v_cndmask_b32_e64 v132, v132, v163, s12
	;; [unrolled: 1-line block ×6, first 2 shown]
	s_delay_alu instid0(VALU_DEP_4) | instskip(NEXT) | instid1(VALU_DEP_4)
	v_perm_b32 v135, v134, v132, 0x5040100
	v_cndmask_b32_e32 v132, v143, v162, vcc_lo
	s_delay_alu instid0(VALU_DEP_4)
	v_cndmask_b32_e64 v143, v163, v156, s16
	v_lshrrev_b32_e32 v163, 16, v156
	v_cndmask_b32_e64 v152, v152, v164, s15
	v_perm_b32 v134, v133, v144, 0x5040100
	v_cndmask_b32_e64 v132, v132, v156, s5
	v_perm_b32 v133, v136, v168, 0x5040100
	v_cndmask_b32_e64 v136, v143, v163, s10
	v_cndmask_b32_e64 v143, v152, v160, s16
	;; [unrolled: 1-line block ×13, first 2 shown]
	v_lshrrev_b32_e32 v144, 16, v160
	v_cndmask_b32_e64 v132, v132, v151, s19
	v_cndmask_b32_e64 v149, v149, v151, s25
	;; [unrolled: 1-line block ×14, first 2 shown]
	v_cndmask_b32_e32 v150, v150, v164, vcc_lo
	v_cndmask_b32_e64 v132, v132, v156, s26
	v_cndmask_b32_e64 v149, v149, v156, s30
	;; [unrolled: 1-line block ×11, first 2 shown]
	v_perm_b32 v132, v167, v166, 0x5040100
	v_perm_b32 v152, v151, v149, 0x5040100
	;; [unrolled: 1-line block ×5, first 2 shown]
	s_mul_i32 s9, s37, 7
	s_mov_b32 s4, exec_lo
	ds_store_b128 v131, v[132:135]
	ds_store_b128 v131, v[149:152] offset:1024
	v_cmpx_gt_u32_e32 7, v0
	s_cbranch_execz .LBB448_78
; %bb.77:
	s_mul_i32 s5, s9, s34
	s_load_b128 s[16:19], s[0:1], 0x58
	v_add3_u32 v133, s5, s31, v148
	s_delay_alu instid0(VALU_DEP_1) | instskip(NEXT) | instid1(VALU_DEP_1)
	v_mad_u64_u32 v[131:132], null, v133, s36, s[14:15]
	v_ashrrev_i32_e32 v132, 31, v131
	s_delay_alu instid0(VALU_DEP_1) | instskip(SKIP_1) | instid1(VALU_DEP_1)
	v_lshlrev_b64 v[131:132], 2, v[131:132]
	s_waitcnt lgkmcnt(0)
	v_add_co_u32 v133, vcc_lo, s18, v131
	s_delay_alu instid0(VALU_DEP_2)
	v_add_co_ci_u32_e32 v134, vcc_lo, s19, v132, vcc_lo
	v_add_co_u32 v131, vcc_lo, s16, v131
	v_add_co_ci_u32_e32 v132, vcc_lo, s17, v132, vcc_lo
	global_store_b32 v[133:134], v129, off
	global_store_b32 v[131:132], v130, off
.LBB448_78:
	s_or_b32 exec_lo, exec_lo, s4
	s_waitcnt lgkmcnt(0)
	s_waitcnt_vscnt null, 0x0
	s_barrier
	buffer_gl0_inv
	ds_load_b128 v[148:151], v140
	ds_load_b128 v[152:155], v140 offset:16
	ds_load_b128 v[160:163], v140 offset:1040
	;; [unrolled: 1-line block ×3, first 2 shown]
	v_mov_b32_e32 v129, 0
	ds_load_b128 v[168:171], v140 offset:2064
	ds_load_b128 v[164:167], v140 offset:2048
	ds_load_b128 v[176:179], v140 offset:3088
	ds_load_b128 v[172:175], v140 offset:3072
	ds_load_b128 v[184:187], v140 offset:4112
	ds_load_b128 v[180:183], v140 offset:4096
	v_mov_b32_e32 v130, v129
	v_mov_b32_e32 v131, v129
	;; [unrolled: 1-line block ×7, first 2 shown]
	s_waitcnt lgkmcnt(8)
	s_delay_alu instid0(VALU_DEP_1)
	v_wmma_f32_16x16x16_bf16 v[129:136], v[121:128], v[148:155], v[129:136]
	ds_load_b128 v[125:128], v140 offset:5136
	ds_load_b128 v[121:124], v140 offset:5120
	s_waitcnt lgkmcnt(8)
	v_wmma_f32_16x16x16_bf16 v[129:136], v[113:120], v[156:163], v[129:136]
	ds_load_b128 v[117:120], v140 offset:6160
	ds_load_b128 v[113:116], v140 offset:6144
	s_waitcnt lgkmcnt(8)
	;; [unrolled: 4-line block ×8, first 2 shown]
	v_wmma_f32_16x16x16_bf16 v[129:136], v[65:72], v[97:104], v[129:136]
	s_waitcnt lgkmcnt(6)
	s_delay_alu instid0(VALU_DEP_1)
	v_wmma_f32_16x16x16_bf16 v[129:136], v[49:56], v[89:96], v[129:136]
	ds_load_b128 v[53:56], v140 offset:13328
	ds_load_b128 v[49:52], v140 offset:13312
	s_waitcnt lgkmcnt(6)
	v_wmma_f32_16x16x16_bf16 v[129:136], v[41:48], v[81:88], v[129:136]
	ds_load_b128 v[45:48], v140 offset:14352
	ds_load_b128 v[41:44], v140 offset:14336
	s_waitcnt lgkmcnt(6)
	;; [unrolled: 4-line block ×3, first 2 shown]
	v_wmma_f32_16x16x16_bf16 v[129:136], v[1:8], v[57:64], v[129:136]
	s_waitcnt lgkmcnt(4)
	s_delay_alu instid0(VALU_DEP_1) | instskip(SKIP_1) | instid1(VALU_DEP_1)
	v_wmma_f32_16x16x16_bf16 v[129:136], v[25:32], v[49:56], v[129:136]
	s_waitcnt lgkmcnt(2)
	v_wmma_f32_16x16x16_bf16 v[129:136], v[33:40], v[41:48], v[129:136]
	s_waitcnt lgkmcnt(0)
	s_delay_alu instid0(VALU_DEP_1) | instskip(NEXT) | instid1(VALU_DEP_1)
	v_wmma_f32_16x16x16_bf16 v[129:136], v[9:16], v[17:24], v[129:136]
	v_and_b32_e32 v1, 0x7f800000, v129
	s_delay_alu instid0(VALU_DEP_1) | instskip(SKIP_1) | instid1(SALU_CYCLE_1)
	v_cmp_ne_u32_e32 vcc_lo, 0x7f800000, v1
                                        ; implicit-def: $vgpr1
	s_and_saveexec_b32 s4, vcc_lo
	s_xor_b32 s4, exec_lo, s4
; %bb.79:
	v_bfe_u32 v1, v129, 16, 1
	s_delay_alu instid0(VALU_DEP_1)
	v_add3_u32 v1, v129, v1, 0x7fff
; %bb.80:
	s_and_not1_saveexec_b32 s4, s4
; %bb.81:
	v_and_b32_e32 v1, 0xffff, v129
	v_or_b32_e32 v2, 0x10000, v129
	s_delay_alu instid0(VALU_DEP_2) | instskip(NEXT) | instid1(VALU_DEP_2)
	v_cmp_eq_u32_e32 vcc_lo, 0, v1
	v_cndmask_b32_e32 v1, v2, v129, vcc_lo
; %bb.82:
	s_or_b32 exec_lo, exec_lo, s4
	v_and_b32_e32 v2, 0x7f800000, v130
	s_delay_alu instid0(VALU_DEP_1) | instskip(SKIP_1) | instid1(SALU_CYCLE_1)
	v_cmp_ne_u32_e32 vcc_lo, 0x7f800000, v2
                                        ; implicit-def: $vgpr2
	s_and_saveexec_b32 s4, vcc_lo
	s_xor_b32 s4, exec_lo, s4
; %bb.83:
	v_bfe_u32 v2, v130, 16, 1
	s_delay_alu instid0(VALU_DEP_1)
	v_add3_u32 v2, v130, v2, 0x7fff
; %bb.84:
	s_and_not1_saveexec_b32 s4, s4
; %bb.85:
	v_and_b32_e32 v2, 0xffff, v130
	v_or_b32_e32 v3, 0x10000, v130
	s_delay_alu instid0(VALU_DEP_2) | instskip(NEXT) | instid1(VALU_DEP_2)
	v_cmp_eq_u32_e32 vcc_lo, 0, v2
	v_cndmask_b32_e32 v2, v3, v130, vcc_lo
; %bb.86:
	s_or_b32 exec_lo, exec_lo, s4
	v_and_b32_e32 v3, 0x7f800000, v131
	s_delay_alu instid0(VALU_DEP_1) | instskip(SKIP_1) | instid1(SALU_CYCLE_1)
	v_cmp_ne_u32_e32 vcc_lo, 0x7f800000, v3
                                        ; implicit-def: $vgpr3
	s_and_saveexec_b32 s4, vcc_lo
	s_xor_b32 s4, exec_lo, s4
; %bb.87:
	v_bfe_u32 v3, v131, 16, 1
	s_delay_alu instid0(VALU_DEP_1)
	v_add3_u32 v3, v131, v3, 0x7fff
; %bb.88:
	s_and_not1_saveexec_b32 s4, s4
; %bb.89:
	v_and_b32_e32 v3, 0xffff, v131
	v_or_b32_e32 v4, 0x10000, v131
	s_delay_alu instid0(VALU_DEP_2) | instskip(NEXT) | instid1(VALU_DEP_2)
	v_cmp_eq_u32_e32 vcc_lo, 0, v3
	v_cndmask_b32_e32 v3, v4, v131, vcc_lo
; %bb.90:
	s_or_b32 exec_lo, exec_lo, s4
	v_and_b32_e32 v4, 0x7f800000, v132
	s_delay_alu instid0(VALU_DEP_1) | instskip(SKIP_1) | instid1(SALU_CYCLE_1)
	v_cmp_ne_u32_e32 vcc_lo, 0x7f800000, v4
                                        ; implicit-def: $vgpr4
	s_and_saveexec_b32 s4, vcc_lo
	s_xor_b32 s4, exec_lo, s4
; %bb.91:
	v_bfe_u32 v4, v132, 16, 1
	s_delay_alu instid0(VALU_DEP_1)
	v_add3_u32 v4, v132, v4, 0x7fff
; %bb.92:
	s_and_not1_saveexec_b32 s4, s4
; %bb.93:
	v_and_b32_e32 v4, 0xffff, v132
	v_or_b32_e32 v5, 0x10000, v132
	s_delay_alu instid0(VALU_DEP_2) | instskip(NEXT) | instid1(VALU_DEP_2)
	v_cmp_eq_u32_e32 vcc_lo, 0, v4
	v_cndmask_b32_e32 v4, v5, v132, vcc_lo
; %bb.94:
	s_or_b32 exec_lo, exec_lo, s4
	v_and_b32_e32 v5, 0x7f800000, v133
	s_delay_alu instid0(VALU_DEP_1) | instskip(SKIP_1) | instid1(SALU_CYCLE_1)
	v_cmp_ne_u32_e32 vcc_lo, 0x7f800000, v5
                                        ; implicit-def: $vgpr5
	s_and_saveexec_b32 s4, vcc_lo
	s_xor_b32 s4, exec_lo, s4
; %bb.95:
	v_bfe_u32 v5, v133, 16, 1
	s_delay_alu instid0(VALU_DEP_1)
	v_add3_u32 v5, v133, v5, 0x7fff
; %bb.96:
	s_and_not1_saveexec_b32 s4, s4
; %bb.97:
	v_and_b32_e32 v5, 0xffff, v133
	v_or_b32_e32 v6, 0x10000, v133
	s_delay_alu instid0(VALU_DEP_2) | instskip(NEXT) | instid1(VALU_DEP_2)
	v_cmp_eq_u32_e32 vcc_lo, 0, v5
	v_cndmask_b32_e32 v5, v6, v133, vcc_lo
; %bb.98:
	s_or_b32 exec_lo, exec_lo, s4
	v_and_b32_e32 v6, 0x7f800000, v134
	s_delay_alu instid0(VALU_DEP_1) | instskip(SKIP_1) | instid1(SALU_CYCLE_1)
	v_cmp_ne_u32_e32 vcc_lo, 0x7f800000, v6
                                        ; implicit-def: $vgpr6
	s_and_saveexec_b32 s4, vcc_lo
	s_xor_b32 s4, exec_lo, s4
; %bb.99:
	v_bfe_u32 v6, v134, 16, 1
	s_delay_alu instid0(VALU_DEP_1)
	v_add3_u32 v6, v134, v6, 0x7fff
; %bb.100:
	s_and_not1_saveexec_b32 s4, s4
; %bb.101:
	v_and_b32_e32 v6, 0xffff, v134
	v_or_b32_e32 v7, 0x10000, v134
	s_delay_alu instid0(VALU_DEP_2) | instskip(NEXT) | instid1(VALU_DEP_2)
	v_cmp_eq_u32_e32 vcc_lo, 0, v6
	v_cndmask_b32_e32 v6, v7, v134, vcc_lo
; %bb.102:
	s_or_b32 exec_lo, exec_lo, s4
	v_and_b32_e32 v7, 0x7f800000, v135
	s_delay_alu instid0(VALU_DEP_1) | instskip(SKIP_1) | instid1(SALU_CYCLE_1)
	v_cmp_ne_u32_e32 vcc_lo, 0x7f800000, v7
                                        ; implicit-def: $vgpr7
	s_and_saveexec_b32 s4, vcc_lo
	s_xor_b32 s4, exec_lo, s4
; %bb.103:
	v_bfe_u32 v7, v135, 16, 1
	s_delay_alu instid0(VALU_DEP_1)
	v_add3_u32 v7, v135, v7, 0x7fff
; %bb.104:
	s_and_not1_saveexec_b32 s4, s4
; %bb.105:
	v_and_b32_e32 v7, 0xffff, v135
	v_or_b32_e32 v8, 0x10000, v135
	s_delay_alu instid0(VALU_DEP_2) | instskip(NEXT) | instid1(VALU_DEP_2)
	v_cmp_eq_u32_e32 vcc_lo, 0, v7
	v_cndmask_b32_e32 v7, v8, v135, vcc_lo
; %bb.106:
	s_or_b32 exec_lo, exec_lo, s4
	v_and_b32_e32 v8, 0x7f800000, v136
	s_delay_alu instid0(VALU_DEP_1) | instskip(SKIP_1) | instid1(SALU_CYCLE_1)
	v_cmp_ne_u32_e32 vcc_lo, 0x7f800000, v8
                                        ; implicit-def: $vgpr8
	s_and_saveexec_b32 s4, vcc_lo
	s_xor_b32 s4, exec_lo, s4
; %bb.107:
	v_bfe_u32 v8, v136, 16, 1
	s_delay_alu instid0(VALU_DEP_1)
	v_add3_u32 v8, v136, v8, 0x7fff
                                        ; implicit-def: $vgpr129_vgpr130_vgpr131_vgpr132_vgpr133_vgpr134_vgpr135_vgpr136
; %bb.108:
	s_and_not1_saveexec_b32 s4, s4
; %bb.109:
	v_and_b32_e32 v8, 0xffff, v136
	v_or_b32_e32 v9, 0x10000, v136
	s_delay_alu instid0(VALU_DEP_2) | instskip(NEXT) | instid1(VALU_DEP_2)
	v_cmp_eq_u32_e32 vcc_lo, 0, v8
	v_cndmask_b32_e32 v8, v9, v136, vcc_lo
; %bb.110:
	s_or_b32 exec_lo, exec_lo, s4
	s_delay_alu instid0(VALU_DEP_1)
	v_perm_b32 v7, v8, v7, 0x7060302
	v_perm_b32 v6, v6, v5, 0x7060302
	;; [unrolled: 1-line block ×4, first 2 shown]
	v_lshl_or_b32 v9, v146, 4, v141
	s_barrier
	buffer_gl0_inv
	v_cmp_eq_u32_e32 vcc_lo, 1, v138
	ds_store_b128 v9, v[4:7]
	s_waitcnt lgkmcnt(0)
	s_barrier
	buffer_gl0_inv
	ds_load_b128 v[1:4], v141
	ds_load_b128 v[5:8], v141 offset:16
	v_cmp_eq_u32_e64 s5, 2, v138
	v_cmp_eq_u32_e64 s4, 1, v139
	;; [unrolled: 1-line block ×5, first 2 shown]
	s_waitcnt lgkmcnt(1)
	v_lshrrev_b32_e32 v10, 16, v1
	s_waitcnt lgkmcnt(0)
	v_lshrrev_b32_e32 v14, 16, v5
	v_lshrrev_b32_e32 v15, 16, v6
	;; [unrolled: 1-line block ×4, first 2 shown]
	v_cndmask_b32_e64 v20, v1, v10, s4
	v_cndmask_b32_e32 v19, v5, v14, vcc_lo
	v_cndmask_b32_e64 v21, v5, v14, s4
	v_lshrrev_b32_e32 v16, 16, v7
	v_cmp_eq_u32_e64 s4, 1, v137
	v_lshrrev_b32_e32 v13, 16, v4
	v_cndmask_b32_e64 v19, v19, v6, s5
	v_lshrrev_b32_e32 v17, 16, v8
	s_delay_alu instid0(VALU_DEP_4) | instskip(SKIP_1) | instid1(VALU_DEP_4)
	v_cndmask_b32_e64 v22, v1, v10, s4
	v_cndmask_b32_e64 v23, v5, v14, s4
	v_cndmask_b32_e64 v19, v19, v15, s6
	v_cndmask_b32_e32 v18, v1, v10, vcc_lo
	v_cmp_eq_u32_e32 vcc_lo, 2, v139
	v_cmp_eq_u32_e64 s4, 2, v142
	v_cndmask_b32_e64 v22, v22, v2, s8
	v_cndmask_b32_e32 v20, v20, v2, vcc_lo
	v_cndmask_b32_e32 v21, v21, v6, vcc_lo
	v_cmp_eq_u32_e32 vcc_lo, 4, v138
	v_cndmask_b32_e32 v19, v19, v7, vcc_lo
	v_cndmask_b32_e64 v18, v18, v2, s5
	v_cmp_eq_u32_e64 s5, 3, v139
	s_delay_alu instid0(VALU_DEP_2) | instskip(NEXT) | instid1(VALU_DEP_2)
	v_cndmask_b32_e64 v18, v18, v11, s6
	v_cndmask_b32_e64 v21, v21, v15, s5
	v_cmp_eq_u32_e64 s6, 5, v138
	s_delay_alu instid0(VALU_DEP_3) | instskip(SKIP_1) | instid1(VALU_DEP_3)
	v_cndmask_b32_e32 v18, v18, v3, vcc_lo
	v_cmp_eq_u32_e32 vcc_lo, 4, v139
	v_cndmask_b32_e64 v19, v19, v16, s6
	s_delay_alu instid0(VALU_DEP_3) | instskip(SKIP_4) | instid1(VALU_DEP_3)
	v_cndmask_b32_e64 v18, v18, v12, s6
	v_cndmask_b32_e32 v21, v21, v7, vcc_lo
	v_cndmask_b32_e64 v20, v20, v11, s5
	v_cmp_eq_u32_e64 s5, 5, v139
	v_cmp_eq_u32_e64 s6, 6, v138
	v_cndmask_b32_e32 v20, v20, v3, vcc_lo
	s_delay_alu instid0(VALU_DEP_3) | instskip(SKIP_1) | instid1(VALU_DEP_4)
	v_cndmask_b32_e64 v21, v21, v16, s5
	v_cmp_eq_u32_e32 vcc_lo, 6, v139
	v_cndmask_b32_e64 v18, v18, v4, s6
	v_cndmask_b32_e64 v19, v19, v8, s6
	;; [unrolled: 1-line block ×3, first 2 shown]
	v_cmp_eq_u32_e64 s5, 1, v142
	v_cmp_eq_u32_e64 s6, 7, v138
	s_delay_alu instid0(VALU_DEP_3) | instskip(NEXT) | instid1(VALU_DEP_3)
	v_cndmask_b32_e32 v20, v20, v4, vcc_lo
	v_cndmask_b32_e64 v1, v1, v10, s5
	v_cndmask_b32_e64 v5, v5, v14, s5
	v_cmp_eq_u32_e64 s5, 3, v137
	v_cndmask_b32_e64 v14, v23, v6, s8
	v_cmp_eq_u32_e64 s8, 3, v142
	v_cndmask_b32_e64 v1, v1, v2, s4
	v_cndmask_b32_e64 v2, v5, v6, s4
	;; [unrolled: 1-line block ×3, first 2 shown]
	v_cmp_eq_u32_e64 s4, 4, v137
	v_cndmask_b32_e64 v6, v14, v15, s5
	v_cndmask_b32_e64 v1, v1, v11, s8
	v_cmp_eq_u32_e64 s5, 4, v142
	v_cndmask_b32_e64 v2, v2, v15, s8
	v_cndmask_b32_e64 v5, v10, v3, s4
	;; [unrolled: 3-line block ×3, first 2 shown]
	v_cndmask_b32_e64 v2, v2, v7, s5
	v_cmp_eq_u32_e64 s4, 5, v142
	v_cndmask_b32_e64 v5, v5, v12, s8
	v_cmp_eq_u32_e64 s5, 6, v137
	;; [unrolled: 2-line block ×3, first 2 shown]
	v_cndmask_b32_e64 v1, v1, v12, s4
	v_cndmask_b32_e64 v2, v2, v16, s4
	;; [unrolled: 1-line block ×4, first 2 shown]
	v_cmp_eq_u32_e64 s4, 7, v142
	v_cndmask_b32_e64 v1, v1, v4, s8
	v_cndmask_b32_e64 v2, v2, v8, s8
	v_cmp_eq_u32_e64 s5, 7, v137
	v_cndmask_b32_e32 v4, v21, v8, vcc_lo
	v_cndmask_b32_e64 v18, v18, v13, s6
	v_cndmask_b32_e64 v20, v20, v13, s7
	;; [unrolled: 1-line block ×8, first 2 shown]
	v_cmp_gt_u32_e32 vcc_lo, 32, v0
	v_perm_b32 v4, v2, v1, 0x5040100
	v_perm_b32 v3, v3, v5, 0x5040100
	;; [unrolled: 1-line block ×4, first 2 shown]
	s_and_b32 s2, vcc_lo, s2
	ds_store_b128 v9, v[1:4]
	s_waitcnt lgkmcnt(0)
	s_barrier
	buffer_gl0_inv
	s_and_saveexec_b32 s4, s2
	s_cbranch_execz .LBB448_2
; %bb.111:
	s_load_b64 s[4:5], s[0:1], 0x68
	v_lshlrev_b32_e32 v0, 10, v0
	v_add_nc_u32_e32 v2, s31, v146
	v_lshlrev_b32_e32 v3, 4, v147
	s_lshl_b32 s0, s36, 6
	s_delay_alu instid0(SALU_CYCLE_1) | instskip(NEXT) | instid1(VALU_DEP_2)
	s_mul_i32 s1, s0, s34
	v_mul_lo_u32 v1, v2, s0
	s_delay_alu instid0(VALU_DEP_2)
	v_and_or_b32 v0, 0x3800, v0, v3
	v_add_nc_u32_e32 v3, 2, v2
	s_mul_i32 s6, s1, s9
	v_add_nc_u32_e32 v4, 4, v2
	s_ashr_i32 s7, s6, 31
	v_lshl_or_b32 v11, v146, 6, v0
	s_lshl_b64 s[6:7], s[6:7], 1
	v_mul_lo_u32 v15, v3, s0
	v_mul_lo_u32 v17, v4, s0
	v_ashrrev_i32_e32 v2, 31, v1
	ds_load_b128 v[3:6], v11
	ds_load_b128 v[7:10], v11 offset:128
	ds_load_b128 v[11:14], v11 offset:256
	s_waitcnt lgkmcnt(0)
	s_add_u32 s1, s4, s6
	s_addc_u32 s2, s5, s7
	s_lshl_b32 s4, s14, 6
	v_ashrrev_i32_e32 v16, 31, v15
	s_ashr_i32 s5, s4, 31
	v_lshlrev_b64 v[19:20], 1, v[1:2]
	s_lshl_b64 s[4:5], s[4:5], 1
	v_ashrrev_i32_e32 v18, 31, v17
	s_add_u32 s1, s1, s4
	s_addc_u32 s2, s2, s5
	v_add_co_u32 v1, s1, s1, v145
	s_delay_alu instid0(VALU_DEP_1) | instskip(SKIP_1) | instid1(VALU_DEP_3)
	v_add_co_ci_u32_e64 v2, null, s2, 0, s1
	v_lshlrev_b64 v[15:16], 1, v[15:16]
	v_add_co_u32 v19, vcc_lo, v1, v19
	v_lshlrev_b64 v[17:18], 1, v[17:18]
	s_delay_alu instid0(VALU_DEP_4) | instskip(NEXT) | instid1(VALU_DEP_4)
	v_add_co_ci_u32_e32 v20, vcc_lo, v2, v20, vcc_lo
	v_add_co_u32 v15, vcc_lo, v1, v15
	v_add_co_ci_u32_e32 v16, vcc_lo, v2, v16, vcc_lo
	s_delay_alu instid0(VALU_DEP_4)
	v_add_co_u32 v17, vcc_lo, v1, v17
	v_add_co_ci_u32_e32 v18, vcc_lo, v2, v18, vcc_lo
	s_clause 0x2
	global_store_b128 v[19:20], v[3:6], off
	global_store_b128 v[15:16], v[7:10], off
	;; [unrolled: 1-line block ×3, first 2 shown]
	s_and_b32 exec_lo, exec_lo, s3
	s_cbranch_execz .LBB448_2
; %bb.112:
	ds_load_b128 v[3:6], v0 offset:384
	s_add_i32 s1, s31, 6
	s_delay_alu instid0(SALU_CYCLE_1) | instskip(NEXT) | instid1(SALU_CYCLE_1)
	s_mul_i32 s0, s1, s0
	s_ashr_i32 s1, s0, 31
	s_delay_alu instid0(SALU_CYCLE_1) | instskip(NEXT) | instid1(SALU_CYCLE_1)
	s_lshl_b64 s[0:1], s[0:1], 1
	v_add_co_u32 v0, vcc_lo, v1, s0
	v_add_co_ci_u32_e32 v1, vcc_lo, s1, v2, vcc_lo
	s_waitcnt lgkmcnt(0)
	global_store_b128 v[0:1], v[3:6], off
	s_nop 0
	s_sendmsg sendmsg(MSG_DEALLOC_VGPRS)
	s_endpgm
	.section	.rodata,"a",@progbits
	.p2align	6, 0x0
	.amdhsa_kernel _Z39paged_attention_ll4mi_QKV_mfma16_kernelI14__hip_bfloat16S0_LN4vllm18Fp8KVCacheDataTypeE0ES0_Li16ELi64ELi256ELb1ELi7EL8MFMAType0EEvPKT_PKT0_S9_ifPKiSB_SB_iPKfiiiPfSE_PS4_PT2_iSD_SD_
		.amdhsa_group_segment_fixed_size 17472
		.amdhsa_private_segment_fixed_size 0
		.amdhsa_kernarg_size 400
		.amdhsa_user_sgpr_count 13
		.amdhsa_user_sgpr_dispatch_ptr 0
		.amdhsa_user_sgpr_queue_ptr 0
		.amdhsa_user_sgpr_kernarg_segment_ptr 1
		.amdhsa_user_sgpr_dispatch_id 0
		.amdhsa_user_sgpr_private_segment_size 0
		.amdhsa_wavefront_size32 1
		.amdhsa_uses_dynamic_stack 0
		.amdhsa_enable_private_segment 0
		.amdhsa_system_sgpr_workgroup_id_x 1
		.amdhsa_system_sgpr_workgroup_id_y 1
		.amdhsa_system_sgpr_workgroup_id_z 1
		.amdhsa_system_sgpr_workgroup_info 0
		.amdhsa_system_vgpr_workitem_id 0
		.amdhsa_next_free_vgpr 198
		.amdhsa_next_free_sgpr 52
		.amdhsa_reserve_vcc 1
		.amdhsa_float_round_mode_32 0
		.amdhsa_float_round_mode_16_64 0
		.amdhsa_float_denorm_mode_32 3
		.amdhsa_float_denorm_mode_16_64 3
		.amdhsa_dx10_clamp 1
		.amdhsa_ieee_mode 1
		.amdhsa_fp16_overflow 0
		.amdhsa_workgroup_processor_mode 1
		.amdhsa_memory_ordered 1
		.amdhsa_forward_progress 0
		.amdhsa_shared_vgpr_count 0
		.amdhsa_exception_fp_ieee_invalid_op 0
		.amdhsa_exception_fp_denorm_src 0
		.amdhsa_exception_fp_ieee_div_zero 0
		.amdhsa_exception_fp_ieee_overflow 0
		.amdhsa_exception_fp_ieee_underflow 0
		.amdhsa_exception_fp_ieee_inexact 0
		.amdhsa_exception_int_div_zero 0
	.end_amdhsa_kernel
	.section	.text._Z39paged_attention_ll4mi_QKV_mfma16_kernelI14__hip_bfloat16S0_LN4vllm18Fp8KVCacheDataTypeE0ES0_Li16ELi64ELi256ELb1ELi7EL8MFMAType0EEvPKT_PKT0_S9_ifPKiSB_SB_iPKfiiiPfSE_PS4_PT2_iSD_SD_,"axG",@progbits,_Z39paged_attention_ll4mi_QKV_mfma16_kernelI14__hip_bfloat16S0_LN4vllm18Fp8KVCacheDataTypeE0ES0_Li16ELi64ELi256ELb1ELi7EL8MFMAType0EEvPKT_PKT0_S9_ifPKiSB_SB_iPKfiiiPfSE_PS4_PT2_iSD_SD_,comdat
.Lfunc_end448:
	.size	_Z39paged_attention_ll4mi_QKV_mfma16_kernelI14__hip_bfloat16S0_LN4vllm18Fp8KVCacheDataTypeE0ES0_Li16ELi64ELi256ELb1ELi7EL8MFMAType0EEvPKT_PKT0_S9_ifPKiSB_SB_iPKfiiiPfSE_PS4_PT2_iSD_SD_, .Lfunc_end448-_Z39paged_attention_ll4mi_QKV_mfma16_kernelI14__hip_bfloat16S0_LN4vllm18Fp8KVCacheDataTypeE0ES0_Li16ELi64ELi256ELb1ELi7EL8MFMAType0EEvPKT_PKT0_S9_ifPKiSB_SB_iPKfiiiPfSE_PS4_PT2_iSD_SD_
                                        ; -- End function
	.section	.AMDGPU.csdata,"",@progbits
; Kernel info:
; codeLenInByte = 10064
; NumSgprs: 54
; NumVgprs: 198
; ScratchSize: 0
; MemoryBound: 0
; FloatMode: 240
; IeeeMode: 1
; LDSByteSize: 17472 bytes/workgroup (compile time only)
; SGPRBlocks: 6
; VGPRBlocks: 24
; NumSGPRsForWavesPerEU: 54
; NumVGPRsForWavesPerEU: 198
; Occupancy: 7
; WaveLimiterHint : 1
; COMPUTE_PGM_RSRC2:SCRATCH_EN: 0
; COMPUTE_PGM_RSRC2:USER_SGPR: 13
; COMPUTE_PGM_RSRC2:TRAP_HANDLER: 0
; COMPUTE_PGM_RSRC2:TGID_X_EN: 1
; COMPUTE_PGM_RSRC2:TGID_Y_EN: 1
; COMPUTE_PGM_RSRC2:TGID_Z_EN: 1
; COMPUTE_PGM_RSRC2:TIDIG_COMP_CNT: 0
	.section	.text._Z39paged_attention_ll4mi_QKV_mfma16_kernelI14__hip_bfloat16S0_LN4vllm18Fp8KVCacheDataTypeE0ES0_Li16ELi64ELi256ELb1ELi8EL8MFMAType0EEvPKT_PKT0_S9_ifPKiSB_SB_iPKfiiiPfSE_PS4_PT2_iSD_SD_,"axG",@progbits,_Z39paged_attention_ll4mi_QKV_mfma16_kernelI14__hip_bfloat16S0_LN4vllm18Fp8KVCacheDataTypeE0ES0_Li16ELi64ELi256ELb1ELi8EL8MFMAType0EEvPKT_PKT0_S9_ifPKiSB_SB_iPKfiiiPfSE_PS4_PT2_iSD_SD_,comdat
	.protected	_Z39paged_attention_ll4mi_QKV_mfma16_kernelI14__hip_bfloat16S0_LN4vllm18Fp8KVCacheDataTypeE0ES0_Li16ELi64ELi256ELb1ELi8EL8MFMAType0EEvPKT_PKT0_S9_ifPKiSB_SB_iPKfiiiPfSE_PS4_PT2_iSD_SD_ ; -- Begin function _Z39paged_attention_ll4mi_QKV_mfma16_kernelI14__hip_bfloat16S0_LN4vllm18Fp8KVCacheDataTypeE0ES0_Li16ELi64ELi256ELb1ELi8EL8MFMAType0EEvPKT_PKT0_S9_ifPKiSB_SB_iPKfiiiPfSE_PS4_PT2_iSD_SD_
	.globl	_Z39paged_attention_ll4mi_QKV_mfma16_kernelI14__hip_bfloat16S0_LN4vllm18Fp8KVCacheDataTypeE0ES0_Li16ELi64ELi256ELb1ELi8EL8MFMAType0EEvPKT_PKT0_S9_ifPKiSB_SB_iPKfiiiPfSE_PS4_PT2_iSD_SD_
	.p2align	8
	.type	_Z39paged_attention_ll4mi_QKV_mfma16_kernelI14__hip_bfloat16S0_LN4vllm18Fp8KVCacheDataTypeE0ES0_Li16ELi64ELi256ELb1ELi8EL8MFMAType0EEvPKT_PKT0_S9_ifPKiSB_SB_iPKfiiiPfSE_PS4_PT2_iSD_SD_,@function
_Z39paged_attention_ll4mi_QKV_mfma16_kernelI14__hip_bfloat16S0_LN4vllm18Fp8KVCacheDataTypeE0ES0_Li16ELi64ELi256ELb1ELi8EL8MFMAType0EEvPKT_PKT0_S9_ifPKiSB_SB_iPKfiiiPfSE_PS4_PT2_iSD_SD_: ; @_Z39paged_attention_ll4mi_QKV_mfma16_kernelI14__hip_bfloat16S0_LN4vllm18Fp8KVCacheDataTypeE0ES0_Li16ELi64ELi256ELb1ELi8EL8MFMAType0EEvPKT_PKT0_S9_ifPKiSB_SB_iPKfiiiPfSE_PS4_PT2_iSD_SD_
; %bb.0:
	s_load_b64 s[2:3], s[0:1], 0x30
	s_mov_b32 s30, s13
	s_waitcnt lgkmcnt(0)
	s_cmp_lg_u64 s[2:3], 0
	s_cselect_b32 s6, -1, 0
	s_ashr_i32 s31, s13, 31
	s_cmp_eq_u64 s[2:3], 0
	s_cbranch_scc1 .LBB449_3
; %bb.1:
	s_lshl_b64 s[4:5], s[30:31], 2
	s_delay_alu instid0(SALU_CYCLE_1) | instskip(SKIP_4) | instid1(SALU_CYCLE_1)
	s_add_u32 s4, s2, s4
	s_addc_u32 s5, s3, s5
	s_load_b64 s[4:5], s[4:5], 0x0
	s_waitcnt lgkmcnt(0)
	s_sub_i32 s4, s5, s4
	s_cmp_eq_u32 s4, 1
	s_cselect_b32 s4, -1, 0
	s_delay_alu instid0(SALU_CYCLE_1)
	s_and_not1_b32 vcc_lo, exec_lo, s4
	s_cbranch_vccz .LBB449_4
.LBB449_2:
	s_endpgm
.LBB449_3:
.LBB449_4:
	s_load_b64 s[8:9], s[0:1], 0x28
	s_lshl_b64 s[4:5], s[30:31], 2
	s_waitcnt lgkmcnt(0)
	s_add_u32 s8, s8, s4
	s_addc_u32 s9, s9, s5
	s_lshl_b32 s34, s14, 8
	s_load_b32 s33, s[8:9], 0x0
	s_waitcnt lgkmcnt(0)
	s_cmp_ge_i32 s34, s33
	s_cbranch_scc1 .LBB449_2
; %bb.5:
	s_clause 0x1
	s_load_b128 s[8:11], s[0:1], 0x8
	s_load_b64 s[12:13], s[0:1], 0x20
	s_and_not1_b32 vcc_lo, exec_lo, s6
	s_cbranch_vccnz .LBB449_7
; %bb.6:
	s_add_u32 s2, s2, s4
	s_addc_u32 s3, s3, s5
	s_load_b32 s3, s[2:3], 0x0
	s_branch .LBB449_8
.LBB449_7:
	s_mov_b32 s3, s30
.LBB449_8:
	s_load_b128 s[4:7], s[0:1], 0x48
	v_and_b32_e32 v149, 15, v0
	v_cmp_gt_u32_e32 vcc_lo, 0x80, v0
	v_lshrrev_b32_e32 v148, 5, v0
	v_and_b32_e32 v150, 31, v0
	v_and_b32_e32 v146, 1, v0
	v_lshlrev_b32_e32 v1, 3, v149
	v_cmp_gt_u32_e64 s2, 8, v149
	v_bfe_u32 v147, v0, 4, 1
	s_lshl_b32 s31, s15, 3
	s_delay_alu instid0(VALU_DEP_3) | instskip(NEXT) | instid1(VALU_DEP_3)
	v_lshlrev_b32_e32 v145, 1, v1
	s_and_b32 s16, vcc_lo, s2
	s_waitcnt lgkmcnt(0)
	s_and_saveexec_b32 s7, s16
	s_cbranch_execz .LBB449_10
; %bb.9:
	v_lshl_or_b32 v5, v148, 1, v147
	s_load_b64 s[16:17], s[0:1], 0x0
	s_mul_hi_i32 s19, s3, s4
	s_mul_i32 s18, s3, s4
	v_lshlrev_b32_e32 v6, 10, v149
	v_or_b32_e32 v1, s31, v5
	s_lshl_b64 s[18:19], s[18:19], 1
	v_lshlrev_b32_e32 v5, 6, v5
	v_lshlrev_b32_e32 v7, 10, v146
	v_and_b32_e32 v6, 0x3800, v6
	v_lshlrev_b32_e32 v1, 6, v1
	s_delay_alu instid0(VALU_DEP_2) | instskip(NEXT) | instid1(VALU_DEP_2)
	v_or3_b32 v5, v6, v7, v5
	v_ashrrev_i32_e32 v2, 31, v1
	s_delay_alu instid0(VALU_DEP_1) | instskip(SKIP_3) | instid1(VALU_DEP_1)
	v_lshlrev_b64 v[1:2], 1, v[1:2]
	s_waitcnt lgkmcnt(0)
	s_add_u32 s3, s16, s18
	s_addc_u32 s4, s17, s19
	v_add_co_u32 v1, vcc_lo, s3, v1
	s_delay_alu instid0(VALU_DEP_2) | instskip(NEXT) | instid1(VALU_DEP_2)
	v_add_co_ci_u32_e32 v2, vcc_lo, s4, v2, vcc_lo
	v_add_co_u32 v1, vcc_lo, v1, v145
	s_delay_alu instid0(VALU_DEP_2)
	v_add_co_ci_u32_e32 v2, vcc_lo, 0, v2, vcc_lo
	global_load_b128 v[1:4], v[1:2], off
	s_waitcnt vmcnt(0)
	ds_store_b128 v5, v[1:4]
.LBB449_10:
	s_or_b32 exec_lo, exec_lo, s7
	s_mov_b32 s40, 0
	s_add_i32 s3, s33, 15
	s_mov_b32 s41, s40
	s_mov_b32 s42, s40
	;; [unrolled: 1-line block ×7, first 2 shown]
	s_delay_alu instid0(SALU_CYCLE_1)
	v_dual_mov_b32 v136, s47 :: v_dual_and_b32 v1, 0xef, v0
	v_mov_b32_e32 v134, s45
	s_clause 0x1
	s_load_b32 s4, s[0:1], 0x38
	s_load_b32 s35, s[0:1], 0x1c
	v_add_nc_u32_e32 v1, s34, v1
	s_ashr_i32 s7, s3, 31
	s_waitcnt lgkmcnt(0)
	s_lshr_b32 s7, s7, 28
	s_barrier
	v_ashrrev_i32_e32 v2, 31, v1
	s_add_i32 s3, s3, s7
	v_cmp_gt_i32_e32 vcc_lo, s33, v1
	v_mov_b32_e32 v135, s46
	s_ashr_i32 s3, s3, 4
	v_lshrrev_b32_e32 v3, 28, v2
	v_or_b32_e32 v2, 16, v1
	s_add_i32 s3, s3, -1
	v_mov_b32_e32 v132, s43
	buffer_gl0_inv
	v_add_nc_u32_e32 v4, v1, v3
	v_add_nc_u32_e32 v3, v2, v3
	s_mul_i32 s6, s15, s6
	v_lshlrev_b32_e32 v22, 5, v149
	s_mul_i32 s16, s30, s4
	v_ashrrev_i32_e32 v4, 4, v4
	v_ashrrev_i32_e32 v3, 4, v3
	s_ashr_i32 s17, s16, 31
	v_and_b32_e32 v21, 7, v0
	s_lshl_b64 s[16:17], s[16:17], 2
	v_cndmask_b32_e32 v1, s3, v4, vcc_lo
	v_cmp_gt_i32_e32 vcc_lo, s33, v2
	s_add_u32 s4, s12, s16
	s_addc_u32 s36, s13, s17
	s_ashr_i32 s7, s6, 31
	v_ashrrev_i32_e32 v2, 31, v1
	v_cndmask_b32_e32 v3, s3, v3, vcc_lo
	s_lshl_b64 s[6:7], s[6:7], 1
	v_lshlrev_b32_e32 v197, 6, v21
	s_add_u32 s24, s8, s6
	v_lshlrev_b64 v[1:2], 2, v[1:2]
	v_ashrrev_i32_e32 v4, 31, v3
	s_addc_u32 s25, s9, s7
	s_lshl_b32 s8, s14, 4
	v_mov_b32_e32 v133, s44
	s_ashr_i32 s9, s8, 31
	v_lshlrev_b64 v[3:4], 2, v[3:4]
	v_add_co_u32 v1, vcc_lo, s4, v1
	v_add_co_ci_u32_e32 v2, vcc_lo, s36, v2, vcc_lo
	s_lshl_b64 s[8:9], s[8:9], 2
	s_delay_alu instid0(VALU_DEP_3) | instskip(NEXT) | instid1(VALU_DEP_4)
	v_add_co_u32 v3, vcc_lo, s4, v3
	v_add_co_ci_u32_e32 v4, vcc_lo, s36, v4, vcc_lo
	s_clause 0x1
	global_load_b32 v5, v[1:2], off
	global_load_b32 v6, v[3:4], off
	s_add_u32 s8, s4, s8
	s_addc_u32 s9, s36, s9
	s_or_b32 s12, s34, 16
	v_dual_mov_b32 v130, s41 :: v_dual_lshlrev_b32 v3, 4, v0
	s_ashr_i32 s13, s12, 4
	s_cmp_lt_i32 s12, s33
	v_mov_b32_e32 v131, s42
	s_cselect_b32 s12, s13, s3
	v_mov_b32_e32 v129, s40
	s_ashr_i32 s13, s12, 31
	v_lshl_or_b32 v21, v148, 9, v22
	s_lshl_b64 s[12:13], s[12:13], 2
	s_delay_alu instid0(SALU_CYCLE_1) | instskip(SKIP_2) | instid1(SALU_CYCLE_1)
	s_add_u32 s12, s4, s12
	s_addc_u32 s13, s36, s13
	s_or_b32 s15, s34, 32
	s_ashr_i32 s16, s15, 4
	s_cmp_lt_i32 s15, s33
	s_cselect_b32 s16, s16, s3
	s_delay_alu instid0(SALU_CYCLE_1) | instskip(NEXT) | instid1(SALU_CYCLE_1)
	s_ashr_i32 s17, s16, 31
	s_lshl_b64 s[16:17], s[16:17], 2
	s_delay_alu instid0(SALU_CYCLE_1) | instskip(SKIP_2) | instid1(SALU_CYCLE_1)
	s_add_u32 s16, s4, s16
	s_addc_u32 s17, s36, s17
	s_or_b32 s15, s34, 48
	s_ashr_i32 s18, s15, 4
	s_cmp_lt_i32 s15, s33
	s_cselect_b32 s18, s18, s3
	s_delay_alu instid0(SALU_CYCLE_1) | instskip(NEXT) | instid1(SALU_CYCLE_1)
	s_ashr_i32 s19, s18, 31
	;; [unrolled: 10-line block ×4, first 2 shown]
	s_lshl_b64 s[22:23], s[22:23], 2
	s_delay_alu instid0(SALU_CYCLE_1)
	s_add_u32 s22, s4, s22
	s_addc_u32 s23, s36, s23
	s_clause 0x5
	s_load_b32 s8, s[8:9], 0x0
	s_load_b32 s12, s[12:13], 0x0
	;; [unrolled: 1-line block ×6, first 2 shown]
	s_waitcnt lgkmcnt(0)
	s_mul_hi_i32 s17, s16, s5
	s_mul_i32 s16, s16, s5
	s_waitcnt vmcnt(1)
	v_mad_i64_i32 v[1:2], null, v5, s5, 0
	v_and_b32_e32 v5, 0xf0, v3
	s_waitcnt vmcnt(0)
	v_mad_i64_i32 v[3:4], null, v6, s5, 0
	s_delay_alu instid0(VALU_DEP_2) | instskip(NEXT) | instid1(VALU_DEP_4)
	v_add_co_u32 v5, s9, s24, v5
	v_lshlrev_b64 v[1:2], 1, v[1:2]
	v_add_co_ci_u32_e64 v6, null, s25, 0, s9
	s_delay_alu instid0(VALU_DEP_4) | instskip(SKIP_1) | instid1(VALU_DEP_3)
	v_lshlrev_b64 v[3:4], 1, v[3:4]
	s_or_b32 s9, s34, 0x60
	v_add_co_u32 v17, vcc_lo, v5, v1
	s_delay_alu instid0(VALU_DEP_3) | instskip(NEXT) | instid1(VALU_DEP_3)
	v_add_co_ci_u32_e32 v18, vcc_lo, v6, v2, vcc_lo
	v_add_co_u32 v19, vcc_lo, v5, v3
	s_delay_alu instid0(VALU_DEP_4)
	v_add_co_ci_u32_e32 v20, vcc_lo, v6, v4, vcc_lo
	s_clause 0xb
	global_load_b128 v[1:4], v[17:18], off
	global_load_b128 v[5:8], v[17:18], off offset:256
	global_load_b128 v[137:140], v[19:20], off
	global_load_b128 v[141:144], v[19:20], off offset:256
	global_load_b128 v[33:36], v[17:18], off offset:512
	;; [unrolled: 1-line block ×9, first 2 shown]
	ds_load_b128 v[159:162], v197
	ds_load_b128 v[163:166], v197 offset:1024
	s_clause 0x3
	global_load_b128 v[167:170], v[17:18], off offset:1536
	global_load_b128 v[171:174], v[17:18], off offset:1792
	;; [unrolled: 1-line block ×4, first 2 shown]
	s_ashr_i32 s13, s9, 4
	s_cmp_lt_i32 s9, s33
	s_cselect_b32 s22, s13, s3
	s_delay_alu instid0(SALU_CYCLE_1) | instskip(NEXT) | instid1(SALU_CYCLE_1)
	s_ashr_i32 s23, s22, 31
	s_lshl_b64 s[22:23], s[22:23], 2
	s_delay_alu instid0(SALU_CYCLE_1) | instskip(SKIP_2) | instid1(SALU_CYCLE_1)
	s_add_u32 s22, s4, s22
	s_addc_u32 s23, s36, s23
	s_or_b32 s9, s34, 0x70
	s_ashr_i32 s13, s9, 4
	s_cmp_lt_i32 s9, s33
	s_cselect_b32 s24, s13, s3
	s_delay_alu instid0(SALU_CYCLE_1) | instskip(NEXT) | instid1(SALU_CYCLE_1)
	s_ashr_i32 s25, s24, 31
	s_lshl_b64 s[24:25], s[24:25], 2
	s_delay_alu instid0(SALU_CYCLE_1)
	s_add_u32 s24, s4, s24
	s_addc_u32 s25, s36, s25
	s_or_b32 s9, s34, 0x80
	s_load_b32 s46, s[24:25], 0x0
	s_ashr_i32 s13, s9, 4
	s_cmp_lt_i32 s9, s33
	s_cselect_b32 s26, s13, s3
	s_delay_alu instid0(SALU_CYCLE_1) | instskip(NEXT) | instid1(SALU_CYCLE_1)
	s_ashr_i32 s27, s26, 31
	s_lshl_b64 s[26:27], s[26:27], 2
	s_delay_alu instid0(SALU_CYCLE_1)
	s_add_u32 s26, s4, s26
	s_addc_u32 s27, s36, s27
	s_or_b32 s9, s34, 0x90
	s_load_b32 s47, s[26:27], 0x0
	s_ashr_i32 s13, s9, 4
	s_cmp_lt_i32 s9, s33
	s_cselect_b32 s28, s13, s3
	s_delay_alu instid0(SALU_CYCLE_1) | instskip(NEXT) | instid1(SALU_CYCLE_1)
	s_ashr_i32 s29, s28, 31
	s_lshl_b64 s[28:29], s[28:29], 2
	s_delay_alu instid0(SALU_CYCLE_1) | instskip(SKIP_2) | instid1(SALU_CYCLE_1)
	s_add_u32 s28, s4, s28
	s_addc_u32 s29, s36, s29
	s_or_b32 s9, s34, 0xa0
	s_ashr_i32 s13, s9, 4
	s_cmp_lt_i32 s9, s33
	s_cselect_b32 s38, s13, s3
	s_delay_alu instid0(SALU_CYCLE_1) | instskip(NEXT) | instid1(SALU_CYCLE_1)
	s_ashr_i32 s39, s38, 31
	s_lshl_b64 s[38:39], s[38:39], 2
	s_delay_alu instid0(SALU_CYCLE_1)
	s_add_u32 s38, s4, s38
	s_addc_u32 s39, s36, s39
	s_or_b32 s9, s34, 0xb0
	s_load_b32 s39, s[38:39], 0x0
	s_ashr_i32 s13, s9, 4
	s_cmp_lt_i32 s9, s33
	s_mul_hi_i32 s9, s8, s5
	s_cselect_b32 s40, s13, s3
	s_mul_i32 s8, s8, s5
	s_ashr_i32 s41, s40, 31
	s_mul_hi_i32 s13, s12, s5
	s_lshl_b64 s[40:41], s[40:41], 2
	s_mul_i32 s12, s12, s5
	s_add_u32 s42, s4, s40
	s_addc_u32 s43, s36, s41
	s_or_b32 s19, s34, 0xc0
	s_delay_alu instid0(SALU_CYCLE_1)
	s_ashr_i32 s21, s19, 4
	s_cmp_lt_i32 s19, s33
	s_mul_hi_i32 s19, s18, s5
	s_cselect_b32 s40, s21, s3
	s_mul_i32 s18, s18, s5
	s_ashr_i32 s41, s40, 31
	s_mul_hi_i32 s21, s20, s5
	s_lshl_b64 s[40:41], s[40:41], 2
	s_mul_i32 s20, s20, s5
	s_add_u32 s44, s4, s40
	s_load_b32 s40, s[28:29], 0x0
	s_addc_u32 s45, s36, s41
	s_or_b32 s37, s34, 0xd0
	s_load_b32 s41, s[22:23], 0x0
	s_ashr_i32 s22, s37, 4
	s_cmp_lt_i32 s37, s33
	s_mul_hi_i32 s23, s15, s5
	s_cselect_b32 s24, s22, s3
	s_mul_i32 s22, s15, s5
	s_ashr_i32 s25, s24, 31
	s_waitcnt lgkmcnt(0)
	s_mul_hi_i32 s27, s46, s5
	s_lshl_b64 s[24:25], s[24:25], 2
	s_mul_i32 s26, s46, s5
	s_add_u32 s24, s4, s24
	s_addc_u32 s25, s36, s25
	s_or_b32 s48, s34, 0xe0
	s_clause 0x2
	s_load_b32 s38, s[42:43], 0x0
	s_load_b32 s37, s[44:45], 0x0
	;; [unrolled: 1-line block ×3, first 2 shown]
	s_ashr_i32 s49, s48, 4
	s_cmp_lt_i32 s48, s33
	s_mul_hi_i32 s29, s47, s5
	s_cselect_b32 s42, s49, s3
	s_mul_i32 s28, s47, s5
	s_ashr_i32 s43, s42, 31
	s_mul_hi_i32 s25, s41, s5
	s_lshl_b64 s[42:43], s[42:43], 2
	s_mul_i32 s24, s41, s5
	s_add_u32 s42, s4, s42
	s_addc_u32 s43, s36, s43
	s_or_b32 s46, s34, 0xf0
	s_mul_hi_i32 s41, s40, s5
	s_ashr_i32 s47, s46, 4
	s_cmp_lt_i32 s46, s33
	s_mul_i32 s40, s40, s5
	s_cselect_b32 s46, s47, s3
	s_mul_hi_i32 s45, s39, s5
	s_ashr_i32 s47, s46, 31
	s_mul_i32 s44, s39, s5
	s_lshl_b64 s[46:47], s[46:47], 2
	s_waitcnt lgkmcnt(0)
	s_mul_hi_i32 s39, s38, s5
	s_add_u32 s46, s4, s46
	s_addc_u32 s47, s36, s47
	s_add_u32 s3, s10, s6
	s_addc_u32 s4, s11, s7
	v_add_co_u32 v195, s3, s3, v21
	s_delay_alu instid0(VALU_DEP_1) | instskip(SKIP_2) | instid1(VALU_DEP_2)
	v_add_co_ci_u32_e64 v196, null, s4, 0, s3
	s_lshl_b64 s[6:7], s[8:9], 1
	s_lshl_b64 s[8:9], s[12:13], 1
	v_add_co_u32 v17, vcc_lo, v195, s6
	s_delay_alu instid0(VALU_DEP_2)
	v_add_co_ci_u32_e32 v18, vcc_lo, s7, v196, vcc_lo
	v_add_co_u32 v19, vcc_lo, v195, s8
	s_lshl_b64 s[10:11], s[16:17], 1
	v_add_co_ci_u32_e32 v20, vcc_lo, s9, v196, vcc_lo
	v_add_co_u32 v21, vcc_lo, v195, s10
	s_lshl_b64 s[12:13], s[18:19], 1
	;; [unrolled: 3-line block ×9, first 2 shown]
	s_mul_i32 s38, s38, s5
	v_add_co_ci_u32_e32 v54, vcc_lo, s27, v196, vcc_lo
	v_add_co_u32 v183, vcc_lo, v195, s28
	s_mul_hi_i32 s49, s37, s5
	s_mul_i32 s48, s37, s5
	s_lshl_b64 s[36:37], s[38:39], 1
	v_add_co_ci_u32_e32 v184, vcc_lo, s29, v196, vcc_lo
	v_add_co_u32 v185, vcc_lo, v195, s36
	s_lshl_b64 s[38:39], s[48:49], 1
	s_clause 0x1
	s_load_b32 s3, s[42:43], 0x0
	s_load_b32 s4, s[46:47], 0x0
	v_add_co_ci_u32_e32 v186, vcc_lo, s37, v196, vcc_lo
	v_add_co_u32 v191, vcc_lo, v195, s38
	v_add_co_ci_u32_e32 v192, vcc_lo, s39, v196, vcc_lo
	s_clause 0x17
	global_load_b128 v[121:124], v[17:18], off
	global_load_b128 v[125:128], v[17:18], off offset:16
	global_load_b128 v[113:116], v[19:20], off
	global_load_b128 v[117:120], v[19:20], off offset:16
	global_load_b128 v[105:108], v[21:22], off
	global_load_b128 v[109:112], v[21:22], off offset:16
	global_load_b128 v[97:100], v[23:24], off
	global_load_b128 v[101:104], v[23:24], off offset:16
	global_load_b128 v[89:92], v[41:42], off
	global_load_b128 v[93:96], v[41:42], off offset:16
	global_load_b128 v[81:84], v[43:44], off
	global_load_b128 v[85:88], v[43:44], off offset:16
	global_load_b128 v[73:76], v[45:46], off
	global_load_b128 v[77:80], v[45:46], off offset:16
	global_load_b128 v[57:60], v[47:48], off
	global_load_b128 v[61:64], v[47:48], off offset:16
	global_load_b128 v[65:68], v[49:50], off
	global_load_b128 v[69:72], v[49:50], off offset:16
	global_load_b128 v[49:52], v[53:54], off
	global_load_b128 v[53:56], v[53:54], off offset:16
	global_load_b128 v[41:44], v[183:184], off
	global_load_b128 v[45:48], v[183:184], off offset:16
	global_load_b128 v[17:20], v[185:186], off
	global_load_b128 v[21:24], v[185:186], off offset:16
	s_mul_hi_i32 s51, s15, s5
	s_mul_i32 s50, s15, s5
	s_delay_alu instid0(SALU_CYCLE_1) | instskip(NEXT) | instid1(SALU_CYCLE_1)
	s_lshl_b64 s[40:41], s[50:51], 1
	v_add_co_u32 v193, vcc_lo, v195, s40
	v_add_co_ci_u32_e32 v194, vcc_lo, s41, v196, vcc_lo
	s_waitcnt lgkmcnt(0)
	s_mul_hi_i32 s7, s3, s5
	s_mul_i32 s6, s3, s5
	s_mul_hi_i32 s9, s4, s5
	s_lshl_b64 s[6:7], s[6:7], 1
	s_mul_i32 s8, s4, s5
	s_delay_alu instid0(SALU_CYCLE_1)
	s_lshl_b64 s[4:5], s[8:9], 1
	s_waitcnt vmcnt(38)
	v_wmma_f32_16x16x16_bf16 v[183:190], v[1:8], v[159:166], v[129:136]
	s_waitcnt vmcnt(36)
	v_wmma_f32_16x16x16_bf16 v[129:136], v[137:144], v[159:166], v[129:136]
	s_clause 0x1
	global_load_b128 v[1:4], v[191:192], off
	global_load_b128 v[5:8], v[191:192], off offset:16
	ds_load_b128 v[137:140], v197 offset:2048
	ds_load_b128 v[141:144], v197 offset:3072
	;; [unrolled: 1-line block ×4, first 2 shown]
	v_add_co_u32 v191, vcc_lo, v195, s6
	v_add_co_ci_u32_e32 v192, vcc_lo, s7, v196, vcc_lo
	v_add_co_u32 v195, vcc_lo, v195, s4
	v_add_co_ci_u32_e32 v196, vcc_lo, s5, v196, vcc_lo
	s_waitcnt vmcnt(36) lgkmcnt(2)
	v_wmma_f32_16x16x16_bf16 v[183:190], v[33:40], v[137:144], v[183:190]
	s_waitcnt vmcnt(34)
	v_wmma_f32_16x16x16_bf16 v[129:136], v[25:32], v[137:144], v[129:136]
	s_clause 0x3
	global_load_b128 v[25:28], v[193:194], off
	global_load_b128 v[29:32], v[193:194], off offset:16
	global_load_b128 v[33:36], v[191:192], off
	global_load_b128 v[37:40], v[191:192], off offset:16
	v_and_b32_e32 v137, 0xe0, v0
	v_mbcnt_lo_u32_b32 v191, -1, 0
	s_waitcnt vmcnt(36) lgkmcnt(0)
	v_wmma_f32_16x16x16_bf16 v[183:190], v[9:16], v[159:166], v[183:190]
	s_clause 0x1
	global_load_b128 v[9:12], v[195:196], off
	global_load_b128 v[13:16], v[195:196], off offset:16
	s_waitcnt vmcnt(36)
	v_wmma_f32_16x16x16_bf16 v[129:136], v[151:158], v[159:166], v[129:136]
	v_add_nc_u32_e32 v192, s34, v137
	ds_load_b128 v[137:140], v197 offset:6144
	ds_load_b128 v[141:144], v197 offset:7168
	v_xor_b32_e32 v151, 16, v191
	s_waitcnt vmcnt(0) lgkmcnt(0)
	s_barrier
	v_or_b32_e32 v152, v192, v147
	buffer_gl0_inv
	v_cmp_gt_i32_e32 vcc_lo, 32, v151
	v_or_b32_e32 v153, 2, v152
	v_or_b32_e32 v154, 4, v152
	;; [unrolled: 1-line block ×5, first 2 shown]
	v_cmp_gt_i32_e64 s3, s33, v153
	v_cmp_gt_i32_e64 s4, s33, v154
	;; [unrolled: 1-line block ×3, first 2 shown]
	v_or_b32_e32 v158, 12, v152
	v_or_b32_e32 v159, 14, v152
	v_cmp_gt_i32_e64 s6, s33, v156
	v_wmma_f32_16x16x16_bf16 v[183:190], v[167:174], v[137:144], v[183:190]
	v_wmma_f32_16x16x16_bf16 v[129:136], v[175:182], v[137:144], v[129:136]
	v_cndmask_b32_e32 v151, v191, v151, vcc_lo
	v_cmp_gt_i32_e32 vcc_lo, s33, v152
	v_cmp_gt_i32_e64 s7, s33, v157
	v_dual_mul_f32 v143, s35, v184 :: v_dual_mul_f32 v144, s35, v183
	v_dual_mul_f32 v141, s35, v186 :: v_dual_mul_f32 v142, s35, v185
	;; [unrolled: 1-line block ×3, first 2 shown]
	s_delay_alu instid0(VALU_DEP_3) | instskip(NEXT) | instid1(VALU_DEP_4)
	v_cndmask_b32_e32 v144, 0xff7fffff, v144, vcc_lo
	v_cndmask_b32_e64 v143, 0xff7fffff, v143, s3
	v_mul_f32_e32 v140, s35, v187
	v_cndmask_b32_e64 v142, 0xff7fffff, v142, s4
	v_cndmask_b32_e64 v141, 0xff7fffff, v141, s5
	v_or_b32_e32 v160, 16, v152
	v_max3_f32 v143, v144, 0xff7fffff, v143
	v_or_b32_e32 v161, 18, v152
	v_mul_f32_e32 v138, s35, v189
	v_dual_mul_f32 v172, s35, v132 :: v_dual_mul_f32 v137, s35, v190
	v_lshlrev_b32_e32 v154, 2, v151
	v_cndmask_b32_e64 v140, 0xff7fffff, v140, s6
	v_cndmask_b32_e64 v139, 0xff7fffff, v139, s7
	v_max3_f32 v141, v143, v142, v141
	v_cmp_gt_i32_e64 s8, s33, v158
	v_cmp_gt_i32_e64 s9, s33, v159
	v_or_b32_e32 v162, 20, v152
	v_or_b32_e32 v163, 22, v152
	v_mul_f32_e32 v175, s35, v129
	v_cndmask_b32_e64 v138, 0xff7fffff, v138, s8
	v_cndmask_b32_e64 v137, 0xff7fffff, v137, s9
	v_max3_f32 v139, v141, v140, v139
	v_cmp_gt_i32_e64 s10, s33, v160
	v_cmp_gt_i32_e64 s11, s33, v161
	v_or_b32_e32 v164, 24, v152
	v_or_b32_e32 v165, 26, v152
	v_mul_f32_e32 v173, s35, v131
	v_cndmask_b32_e64 v140, 0xff7fffff, v175, s10
	v_cndmask_b32_e64 v141, 0xff7fffff, v174, s11
	v_max3_f32 v137, v139, v138, v137
	v_cmp_gt_i32_e64 s12, s33, v162
	v_cmp_gt_i32_e64 s13, s33, v163
	v_or_b32_e32 v166, 28, v152
	v_or_b32_e32 v167, 30, v152
	v_dual_mul_f32 v170, s35, v134 :: v_dual_mul_f32 v171, s35, v133
	v_cndmask_b32_e64 v138, 0xff7fffff, v173, s12
	v_cndmask_b32_e64 v139, 0xff7fffff, v172, s13
	v_max3_f32 v137, v137, v140, v141
	v_cmp_gt_i32_e64 s15, s33, v164
	v_cmp_gt_i32_e64 s16, s33, v165
	v_dual_mul_f32 v168, s35, v136 :: v_dual_mul_f32 v169, s35, v135
	s_delay_alu instid0(VALU_DEP_4) | instskip(NEXT) | instid1(VALU_DEP_4)
	v_max3_f32 v137, v137, v138, v139
	v_cndmask_b32_e64 v140, 0xff7fffff, v171, s15
	s_delay_alu instid0(VALU_DEP_4) | instskip(SKIP_2) | instid1(VALU_DEP_3)
	v_cndmask_b32_e64 v141, 0xff7fffff, v170, s16
	v_cmp_gt_i32_e64 s17, s33, v166
	v_cmp_gt_i32_e64 s18, s33, v167
	v_max3_f32 v137, v137, v140, v141
	s_delay_alu instid0(VALU_DEP_3) | instskip(NEXT) | instid1(VALU_DEP_3)
	v_cndmask_b32_e64 v138, 0xff7fffff, v169, s17
	v_cndmask_b32_e64 v139, 0xff7fffff, v168, s18
	s_delay_alu instid0(VALU_DEP_1) | instskip(SKIP_3) | instid1(VALU_DEP_1)
	v_max3_f32 v137, v137, v138, v139
	ds_bpermute_b32 v138, v154, v137
	s_waitcnt lgkmcnt(0)
	v_max_f32_e32 v138, v138, v138
	v_max_f32_e32 v139, v137, v138
	s_delay_alu instid0(VALU_DEP_1) | instskip(SKIP_4) | instid1(VALU_DEP_4)
	v_fma_f32 v141, s35, v186, -v139
	v_fma_f32 v130, s35, v130, -v139
	;; [unrolled: 1-line block ×5, first 2 shown]
	v_dual_mul_f32 v141, 0x3fb8aa3b, v141 :: v_dual_mul_f32 v130, 0x3fb8aa3b, v130
	v_fma_f32 v142, s35, v187, -v139
	s_delay_alu instid0(VALU_DEP_4) | instskip(NEXT) | instid1(VALU_DEP_4)
	v_mul_f32_e32 v138, 0x3fb8aa3b, v138
	v_mul_f32_e32 v140, 0x3fb8aa3b, v140
	s_delay_alu instid0(VALU_DEP_4)
	v_exp_f32_e32 v144, v141
	v_fma_f32 v151, s35, v189, -v139
	v_mul_f32_e32 v142, 0x3fb8aa3b, v142
	v_exp_f32_e32 v138, v138
	v_exp_f32_e32 v143, v140
	v_fma_f32 v132, s35, v132, -v139
	v_mul_f32_e32 v151, 0x3fb8aa3b, v151
	v_exp_f32_e32 v152, v142
	v_fma_f32 v129, s35, v129, -v139
	v_fma_f32 v134, s35, v134, -v139
	v_cndmask_b32_e64 v144, 0, v144, s5
	v_dual_mul_f32 v137, 0x3fb8aa3b, v137 :: v_dual_mul_f32 v132, 0x3fb8aa3b, v132
	s_delay_alu instid0(TRANS32_DEP_3) | instskip(NEXT) | instid1(TRANS32_DEP_2)
	v_cndmask_b32_e64 v141, 0, v138, s3
	v_cndmask_b32_e64 v142, 0, v143, s4
	v_fma_f32 v143, s35, v190, -v139
	s_delay_alu instid0(VALU_DEP_4)
	v_exp_f32_e32 v137, v137
	v_exp_f32_e32 v153, v151
	v_cndmask_b32_e64 v151, 0, v152, s6
	v_mul_f32_e32 v129, 0x3fb8aa3b, v129
	v_dual_mul_f32 v143, 0x3fb8aa3b, v143 :: v_dual_mul_f32 v134, 0x3fb8aa3b, v134
	v_fma_f32 v131, s35, v131, -v139
	v_exp_f32_e32 v130, v130
	s_delay_alu instid0(VALU_DEP_3) | instskip(NEXT) | instid1(VALU_DEP_2)
	v_exp_f32_e32 v129, v129
	v_exp_f32_e32 v155, v143
	v_cndmask_b32_e32 v140, 0, v137, vcc_lo
	v_fma_f32 v137, s35, v188, -v139
	v_cndmask_b32_e64 v143, 0, v153, s8
	v_mul_f32_e32 v131, 0x3fb8aa3b, v131
	v_fma_f32 v133, s35, v133, -v139
	s_delay_alu instid0(VALU_DEP_4) | instskip(SKIP_2) | instid1(TRANS32_DEP_1)
	v_dual_add_f32 v138, 0, v140 :: v_dual_mul_f32 v137, 0x3fb8aa3b, v137
	v_fma_f32 v136, s35, v136, -v139
	s_mov_b32 s3, exec_lo
	v_cndmask_b32_e64 v153, 0, v155, s9
	s_delay_alu instid0(VALU_DEP_3) | instskip(SKIP_1) | instid1(VALU_DEP_1)
	v_add_f32_e32 v138, v138, v141
	v_exp_f32_e32 v137, v137
	v_dual_mul_f32 v133, 0x3fb8aa3b, v133 :: v_dual_add_f32 v138, v138, v142
	s_delay_alu instid0(VALU_DEP_1)
	v_add_f32_e32 v138, v138, v144
	s_waitcnt_depctr 0xfff
	v_cndmask_b32_e64 v152, 0, v137, s7
	v_add_f32_e32 v137, v138, v151
	v_exp_f32_e32 v138, v131
	v_cndmask_b32_e64 v131, 0, v129, s10
	s_delay_alu instid0(VALU_DEP_2) | instskip(NEXT) | instid1(VALU_DEP_1)
	v_add_f32_e32 v137, v137, v152
	v_add_f32_e32 v137, v137, v143
	s_delay_alu instid0(VALU_DEP_1)
	v_add_f32_e32 v129, v137, v153
	v_exp_f32_e32 v137, v132
	v_cndmask_b32_e64 v132, 0, v130, s11
	v_fma_f32 v130, s35, v135, -v139
	v_exp_f32_e32 v135, v133
	v_add_f32_e32 v129, v129, v131
	v_cndmask_b32_e64 v133, 0, v138, s12
	v_exp_f32_e32 v138, v134
	s_delay_alu instid0(VALU_DEP_2) | instskip(NEXT) | instid1(TRANS32_DEP_3)
	v_dual_mul_f32 v130, 0x3fb8aa3b, v130 :: v_dual_add_f32 v129, v129, v132
	v_cndmask_b32_e64 v134, 0, v137, s13
	v_mul_f32_e32 v137, 0x3fb8aa3b, v136
	s_delay_alu instid0(VALU_DEP_3) | instskip(NEXT) | instid1(TRANS32_DEP_3)
	v_exp_f32_e32 v130, v130
	v_cndmask_b32_e64 v135, 0, v135, s15
	v_add_f32_e32 v129, v129, v133
	s_delay_alu instid0(TRANS32_DEP_2) | instskip(SKIP_1) | instid1(VALU_DEP_2)
	v_cndmask_b32_e64 v136, 0, v138, s16
	v_exp_f32_e32 v138, v137
	v_add_f32_e32 v129, v129, v134
	s_waitcnt_depctr 0xfff
	v_cndmask_b32_e64 v137, 0, v130, s17
	v_add_f32_e32 v129, v129, v135
	v_cndmask_b32_e64 v138, 0, v138, s18
	s_delay_alu instid0(VALU_DEP_2) | instskip(NEXT) | instid1(VALU_DEP_1)
	v_add_f32_e32 v129, v129, v136
	v_add_f32_e32 v129, v129, v137
	s_delay_alu instid0(VALU_DEP_1)
	v_add_f32_e32 v129, v129, v138
	ds_bpermute_b32 v130, v154, v129
	v_cmpx_gt_u32_e32 16, v150
	s_cbranch_execz .LBB449_12
; %bb.11:
	v_mul_u32_u24_e32 v150, 0x44, v148
	s_waitcnt lgkmcnt(0)
	v_add_f32_e32 v129, v129, v130
	s_delay_alu instid0(VALU_DEP_2) | instskip(NEXT) | instid1(VALU_DEP_1)
	v_lshl_add_u32 v150, v149, 2, v150
	v_add_nc_u32_e32 v130, 0x4000, v150
	ds_store_2addr_b32 v130, v139, v129 offset1:136
.LBB449_12:
	s_or_b32 exec_lo, exec_lo, s3
	v_lshlrev_b32_e32 v129, 2, v149
	s_waitcnt lgkmcnt(0)
	s_barrier
	buffer_gl0_inv
	v_cmp_eq_u32_e64 s3, 1, v148
	v_add_nc_u32_e32 v139, 0x4000, v129
	ds_load_2addr_b32 v[154:155], v139 offset1:17
	ds_load_2addr_b32 v[156:157], v139 offset0:34 offset1:51
	ds_load_2addr_b32 v[158:159], v139 offset0:68 offset1:85
	;; [unrolled: 1-line block ×4, first 2 shown]
	s_waitcnt lgkmcnt(4)
	v_max3_f32 v129, v154, 0xff7fffff, v155
	s_waitcnt lgkmcnt(3)
	s_delay_alu instid0(VALU_DEP_1) | instskip(SKIP_1) | instid1(VALU_DEP_1)
	v_max3_f32 v129, v129, v156, v157
	s_waitcnt lgkmcnt(2)
	v_max3_f32 v129, v129, v158, v159
	s_waitcnt lgkmcnt(1)
	s_delay_alu instid0(VALU_DEP_1) | instskip(NEXT) | instid1(VALU_DEP_1)
	v_max3_f32 v129, v129, v160, v161
	v_sub_f32_e32 v156, v156, v129
	v_sub_f32_e32 v130, v154, v129
	v_sub_f32_e32 v158, v158, v129
	s_delay_alu instid0(VALU_DEP_3) | instskip(NEXT) | instid1(VALU_DEP_3)
	v_dual_sub_f32 v150, v155, v129 :: v_dual_mul_f32 v165, 0x3fb8aa3b, v156
	v_mul_f32_e32 v130, 0x3fb8aa3b, v130
	s_delay_alu instid0(VALU_DEP_3) | instskip(NEXT) | instid1(VALU_DEP_3)
	v_mul_f32_e32 v167, 0x3fb8aa3b, v158
	v_mul_f32_e32 v150, 0x3fb8aa3b, v150
	s_delay_alu instid0(VALU_DEP_4) | instskip(NEXT) | instid1(VALU_DEP_3)
	v_exp_f32_e32 v165, v165
	v_exp_f32_e32 v164, v130
	v_sub_f32_e32 v130, v157, v129
	s_delay_alu instid0(VALU_DEP_2) | instskip(NEXT) | instid1(VALU_DEP_1)
	v_exp_f32_e32 v150, v150
	v_mul_f32_e32 v166, 0x3fb8aa3b, v130
	s_waitcnt lgkmcnt(0)
	s_waitcnt_depctr 0xfff
	v_fma_f32 v130, v164, v162, 0
	v_sub_f32_e32 v162, v159, v129
	v_exp_f32_e32 v166, v166
	s_delay_alu instid0(VALU_DEP_2)
	v_fmac_f32_e32 v130, v150, v163
	ds_load_2addr_b32 v[154:155], v139 offset0:170 offset1:187
	ds_load_2addr_b32 v[156:157], v139 offset0:204 offset1:221
	;; [unrolled: 1-line block ×3, first 2 shown]
	v_dual_sub_f32 v139, v160, v129 :: v_dual_mul_f32 v160, 0x3fb8aa3b, v162
	v_exp_f32_e32 v162, v167
	v_cndmask_b32_e64 v150, v164, v150, s3
	v_cmp_eq_u32_e64 s3, 2, v148
	s_delay_alu instid0(VALU_DEP_3)
	v_mul_f32_e32 v139, 0x3fb8aa3b, v139
	v_exp_f32_e32 v160, v160
	s_waitcnt lgkmcnt(0)
	s_barrier
	v_cndmask_b32_e64 v150, v150, v165, s3
	v_exp_f32_e32 v139, v139
	v_cmp_eq_u32_e64 s3, 3, v148
	buffer_gl0_inv
	v_cndmask_b32_e64 v150, v150, v166, s3
	v_fmac_f32_e32 v130, v165, v154
	v_sub_f32_e32 v154, v161, v129
	v_cmp_eq_u32_e64 s3, 4, v148
	s_delay_alu instid0(VALU_DEP_2) | instskip(NEXT) | instid1(VALU_DEP_2)
	v_mul_f32_e32 v154, 0x3fb8aa3b, v154
	v_cndmask_b32_e64 v150, v150, v162, s3
	v_cmp_eq_u32_e64 s3, 5, v148
	s_delay_alu instid0(VALU_DEP_3) | instskip(SKIP_1) | instid1(VALU_DEP_2)
	v_exp_f32_e32 v154, v154
	v_fmac_f32_e32 v130, v166, v155
	v_cndmask_b32_e64 v150, v150, v160, s3
	s_mov_b32 s3, exec_lo
	s_delay_alu instid0(VALU_DEP_2) | instskip(NEXT) | instid1(VALU_DEP_1)
	v_fmac_f32_e32 v130, v162, v156
	v_fmac_f32_e32 v130, v160, v157
	s_delay_alu instid0(VALU_DEP_1) | instskip(SKIP_2) | instid1(VALU_DEP_1)
	v_fmac_f32_e32 v130, v139, v158
	s_waitcnt_depctr 0xfff
	v_fmac_f32_e32 v130, v154, v159
	v_add_f32_e32 v155, 0x358637bd, v130
	s_delay_alu instid0(VALU_DEP_1) | instskip(SKIP_1) | instid1(VALU_DEP_2)
	v_div_scale_f32 v156, null, v155, v155, 1.0
	v_div_scale_f32 v159, vcc_lo, 1.0, v155, 1.0
	v_rcp_f32_e32 v157, v156
	s_waitcnt_depctr 0xfff
	v_fma_f32 v158, -v156, v157, 1.0
	s_delay_alu instid0(VALU_DEP_1) | instskip(NEXT) | instid1(VALU_DEP_1)
	v_fmac_f32_e32 v157, v158, v157
	v_mul_f32_e32 v158, v159, v157
	s_delay_alu instid0(VALU_DEP_1) | instskip(NEXT) | instid1(VALU_DEP_1)
	v_fma_f32 v161, -v156, v158, v159
	v_fmac_f32_e32 v158, v161, v157
	s_delay_alu instid0(VALU_DEP_1) | instskip(NEXT) | instid1(VALU_DEP_1)
	v_fma_f32 v156, -v156, v158, v159
	v_div_fmas_f32 v156, v156, v157, v158
	v_cmp_eq_u32_e32 vcc_lo, 6, v148
	v_cndmask_b32_e32 v139, v150, v139, vcc_lo
	v_cmp_eq_u32_e32 vcc_lo, 7, v148
	s_delay_alu instid0(VALU_DEP_4) | instskip(NEXT) | instid1(VALU_DEP_3)
	v_div_fixup_f32 v150, v156, v155, 1.0
	v_cndmask_b32_e32 v139, v139, v154, vcc_lo
	s_delay_alu instid0(VALU_DEP_1) | instskip(NEXT) | instid1(VALU_DEP_1)
	v_mul_f32_e32 v139, v139, v150
	v_mul_f32_e32 v154, v139, v140
	;; [unrolled: 1-line block ×7, first 2 shown]
	v_and_b32_e32 v155, 0x7f800000, v154
	v_mul_f32_e32 v153, v139, v144
	v_mul_f32_e32 v144, v139, v141
                                        ; implicit-def: $vgpr141
	s_delay_alu instid0(VALU_DEP_3)
	v_cmpx_ne_u32_e32 0x7f800000, v155
	s_xor_b32 s3, exec_lo, s3
; %bb.13:
	v_bfe_u32 v141, v154, 16, 1
	s_delay_alu instid0(VALU_DEP_1)
	v_add3_u32 v141, v154, v141, 0x7fff
                                        ; implicit-def: $vgpr154
; %bb.14:
	s_and_not1_saveexec_b32 s3, s3
; %bb.15:
	v_and_b32_e32 v141, 0xffff, v154
	v_or_b32_e32 v142, 0x10000, v154
	s_delay_alu instid0(VALU_DEP_2) | instskip(NEXT) | instid1(VALU_DEP_2)
	v_cmp_eq_u32_e32 vcc_lo, 0, v141
	v_cndmask_b32_e32 v141, v142, v154, vcc_lo
; %bb.16:
	s_or_b32 exec_lo, exec_lo, s3
	v_and_b32_e32 v142, 0x7f800000, v144
	s_delay_alu instid0(VALU_DEP_1) | instskip(SKIP_1) | instid1(SALU_CYCLE_1)
	v_cmp_ne_u32_e32 vcc_lo, 0x7f800000, v142
                                        ; implicit-def: $vgpr142
	s_and_saveexec_b32 s3, vcc_lo
	s_xor_b32 s3, exec_lo, s3
; %bb.17:
	v_bfe_u32 v142, v144, 16, 1
	s_delay_alu instid0(VALU_DEP_1)
	v_add3_u32 v142, v144, v142, 0x7fff
                                        ; implicit-def: $vgpr144
; %bb.18:
	s_and_not1_saveexec_b32 s3, s3
; %bb.19:
	v_and_b32_e32 v142, 0xffff, v144
	v_or_b32_e32 v154, 0x10000, v144
	s_delay_alu instid0(VALU_DEP_2) | instskip(NEXT) | instid1(VALU_DEP_2)
	v_cmp_eq_u32_e32 vcc_lo, 0, v142
	v_cndmask_b32_e32 v142, v154, v144, vcc_lo
; %bb.20:
	s_or_b32 exec_lo, exec_lo, s3
	v_and_b32_e32 v144, 0x7f800000, v151
	s_delay_alu instid0(VALU_DEP_1) | instskip(SKIP_1) | instid1(SALU_CYCLE_1)
	v_cmp_ne_u32_e32 vcc_lo, 0x7f800000, v144
                                        ; implicit-def: $vgpr144
	s_and_saveexec_b32 s3, vcc_lo
	s_xor_b32 s3, exec_lo, s3
; %bb.21:
	v_bfe_u32 v144, v151, 16, 1
	s_delay_alu instid0(VALU_DEP_1)
	v_add3_u32 v144, v151, v144, 0x7fff
                                        ; implicit-def: $vgpr151
; %bb.22:
	s_and_not1_saveexec_b32 s3, s3
; %bb.23:
	v_and_b32_e32 v144, 0xffff, v151
	v_or_b32_e32 v154, 0x10000, v151
	s_delay_alu instid0(VALU_DEP_2) | instskip(NEXT) | instid1(VALU_DEP_2)
	v_cmp_eq_u32_e32 vcc_lo, 0, v144
	v_cndmask_b32_e32 v144, v154, v151, vcc_lo
; %bb.24:
	s_or_b32 exec_lo, exec_lo, s3
	v_and_b32_e32 v151, 0x7f800000, v153
	s_delay_alu instid0(VALU_DEP_1) | instskip(SKIP_1) | instid1(SALU_CYCLE_1)
	v_cmp_ne_u32_e32 vcc_lo, 0x7f800000, v151
                                        ; implicit-def: $vgpr151
	s_and_saveexec_b32 s3, vcc_lo
	s_xor_b32 s3, exec_lo, s3
; %bb.25:
	v_bfe_u32 v151, v153, 16, 1
	s_delay_alu instid0(VALU_DEP_1)
	v_add3_u32 v151, v153, v151, 0x7fff
                                        ; implicit-def: $vgpr153
; %bb.26:
	s_and_not1_saveexec_b32 s3, s3
; %bb.27:
	v_and_b32_e32 v151, 0xffff, v153
	v_or_b32_e32 v154, 0x10000, v153
	s_delay_alu instid0(VALU_DEP_2) | instskip(NEXT) | instid1(VALU_DEP_2)
	v_cmp_eq_u32_e32 vcc_lo, 0, v151
	v_cndmask_b32_e32 v151, v154, v153, vcc_lo
; %bb.28:
	s_or_b32 exec_lo, exec_lo, s3
	v_and_b32_e32 v153, 0x7f800000, v152
	s_delay_alu instid0(VALU_DEP_1) | instskip(SKIP_1) | instid1(SALU_CYCLE_1)
	v_cmp_ne_u32_e32 vcc_lo, 0x7f800000, v153
                                        ; implicit-def: $vgpr153
	s_and_saveexec_b32 s3, vcc_lo
	s_xor_b32 s3, exec_lo, s3
; %bb.29:
	v_bfe_u32 v153, v152, 16, 1
	s_delay_alu instid0(VALU_DEP_1)
	v_add3_u32 v153, v152, v153, 0x7fff
                                        ; implicit-def: $vgpr152
; %bb.30:
	s_and_not1_saveexec_b32 s3, s3
; %bb.31:
	v_and_b32_e32 v153, 0xffff, v152
	v_or_b32_e32 v154, 0x10000, v152
	s_delay_alu instid0(VALU_DEP_2) | instskip(NEXT) | instid1(VALU_DEP_2)
	v_cmp_eq_u32_e32 vcc_lo, 0, v153
	v_cndmask_b32_e32 v153, v154, v152, vcc_lo
; %bb.32:
	s_or_b32 exec_lo, exec_lo, s3
	v_and_b32_e32 v152, 0x7f800000, v150
	s_delay_alu instid0(VALU_DEP_1) | instskip(SKIP_1) | instid1(SALU_CYCLE_1)
	v_cmp_ne_u32_e32 vcc_lo, 0x7f800000, v152
                                        ; implicit-def: $vgpr152
	s_and_saveexec_b32 s3, vcc_lo
	s_xor_b32 s3, exec_lo, s3
; %bb.33:
	v_bfe_u32 v152, v150, 16, 1
	s_delay_alu instid0(VALU_DEP_1)
	v_add3_u32 v152, v150, v152, 0x7fff
                                        ; implicit-def: $vgpr150
; %bb.34:
	s_and_not1_saveexec_b32 s3, s3
; %bb.35:
	v_and_b32_e32 v152, 0xffff, v150
	v_or_b32_e32 v154, 0x10000, v150
	s_delay_alu instid0(VALU_DEP_2) | instskip(NEXT) | instid1(VALU_DEP_2)
	v_cmp_eq_u32_e32 vcc_lo, 0, v152
	v_cndmask_b32_e32 v152, v154, v150, vcc_lo
; %bb.36:
	s_or_b32 exec_lo, exec_lo, s3
	v_and_b32_e32 v150, 0x7f800000, v143
	s_delay_alu instid0(VALU_DEP_1) | instskip(SKIP_1) | instid1(SALU_CYCLE_1)
	v_cmp_ne_u32_e32 vcc_lo, 0x7f800000, v150
                                        ; implicit-def: $vgpr150
	s_and_saveexec_b32 s3, vcc_lo
	s_xor_b32 s3, exec_lo, s3
; %bb.37:
	v_bfe_u32 v150, v143, 16, 1
	s_delay_alu instid0(VALU_DEP_1)
	v_add3_u32 v150, v143, v150, 0x7fff
                                        ; implicit-def: $vgpr143
; %bb.38:
	s_and_not1_saveexec_b32 s3, s3
; %bb.39:
	v_and_b32_e32 v150, 0xffff, v143
	v_or_b32_e32 v154, 0x10000, v143
	s_delay_alu instid0(VALU_DEP_2) | instskip(NEXT) | instid1(VALU_DEP_2)
	v_cmp_eq_u32_e32 vcc_lo, 0, v150
	v_cndmask_b32_e32 v150, v154, v143, vcc_lo
; %bb.40:
	s_or_b32 exec_lo, exec_lo, s3
	v_and_b32_e32 v143, 0x7f800000, v140
	s_delay_alu instid0(VALU_DEP_1) | instskip(SKIP_1) | instid1(SALU_CYCLE_1)
	v_cmp_ne_u32_e32 vcc_lo, 0x7f800000, v143
                                        ; implicit-def: $vgpr143
	s_and_saveexec_b32 s3, vcc_lo
	s_xor_b32 s3, exec_lo, s3
; %bb.41:
	v_bfe_u32 v143, v140, 16, 1
	s_delay_alu instid0(VALU_DEP_1)
	v_add3_u32 v143, v140, v143, 0x7fff
                                        ; implicit-def: $vgpr140
; %bb.42:
	s_and_not1_saveexec_b32 s3, s3
; %bb.43:
	v_and_b32_e32 v143, 0xffff, v140
	v_or_b32_e32 v154, 0x10000, v140
	s_delay_alu instid0(VALU_DEP_2) | instskip(NEXT) | instid1(VALU_DEP_2)
	v_cmp_eq_u32_e32 vcc_lo, 0, v143
	v_cndmask_b32_e32 v143, v154, v140, vcc_lo
; %bb.44:
	s_or_b32 exec_lo, exec_lo, s3
	s_load_b64 s[34:35], s[0:1], 0x94
	v_dual_mul_f32 v138, v139, v138 :: v_dual_lshlrev_b32 v155, 4, v147
	s_delay_alu instid0(VALU_DEP_2)
	v_perm_b32 v154, v143, v150, 0x7060302
	v_dual_mul_f32 v143, v139, v131 :: v_dual_lshlrev_b32 v140, 6, v149
	v_lshlrev_b32_e32 v149, 11, v148
	v_perm_b32 v153, v152, v153, 0x7060302
	v_perm_b32 v152, v151, v144, 0x7060302
	v_perm_b32 v151, v142, v141, 0x7060302
	v_mul_f32_e32 v142, v139, v133
	v_or3_b32 v131, v155, v149, v140
	v_dual_mul_f32 v137, v139, v137 :: v_dual_and_b32 v144, 0x7f800000, v143
	v_mul_f32_e32 v136, v139, v136
	v_mul_f32_e32 v135, v139, v135
	;; [unrolled: 1-line block ×4, first 2 shown]
	s_mov_b32 s3, exec_lo
	ds_store_b128 v131, v[151:154]
                                        ; implicit-def: $vgpr132
	v_cmpx_ne_u32_e32 0x7f800000, v144
	s_xor_b32 s3, exec_lo, s3
; %bb.45:
	v_bfe_u32 v132, v143, 16, 1
	s_delay_alu instid0(VALU_DEP_1)
	v_add3_u32 v132, v143, v132, 0x7fff
                                        ; implicit-def: $vgpr143
; %bb.46:
	s_and_not1_saveexec_b32 s3, s3
; %bb.47:
	v_and_b32_e32 v132, 0xffff, v143
	v_or_b32_e32 v133, 0x10000, v143
	s_delay_alu instid0(VALU_DEP_2) | instskip(NEXT) | instid1(VALU_DEP_2)
	v_cmp_eq_u32_e32 vcc_lo, 0, v132
	v_cndmask_b32_e32 v132, v133, v143, vcc_lo
; %bb.48:
	s_or_b32 exec_lo, exec_lo, s3
	v_and_b32_e32 v133, 0x7f800000, v134
	s_delay_alu instid0(VALU_DEP_1) | instskip(SKIP_1) | instid1(SALU_CYCLE_1)
	v_cmp_ne_u32_e32 vcc_lo, 0x7f800000, v133
                                        ; implicit-def: $vgpr133
	s_and_saveexec_b32 s3, vcc_lo
	s_xor_b32 s3, exec_lo, s3
; %bb.49:
	v_bfe_u32 v133, v134, 16, 1
	s_delay_alu instid0(VALU_DEP_1)
	v_add3_u32 v133, v134, v133, 0x7fff
                                        ; implicit-def: $vgpr134
; %bb.50:
	s_and_not1_saveexec_b32 s3, s3
; %bb.51:
	v_and_b32_e32 v133, 0xffff, v134
	v_or_b32_e32 v139, 0x10000, v134
	s_delay_alu instid0(VALU_DEP_2) | instskip(NEXT) | instid1(VALU_DEP_2)
	v_cmp_eq_u32_e32 vcc_lo, 0, v133
	v_cndmask_b32_e32 v133, v139, v134, vcc_lo
; %bb.52:
	s_or_b32 exec_lo, exec_lo, s3
	v_and_b32_e32 v134, 0x7f800000, v142
	s_delay_alu instid0(VALU_DEP_1) | instskip(SKIP_1) | instid1(SALU_CYCLE_1)
	v_cmp_ne_u32_e32 vcc_lo, 0x7f800000, v134
                                        ; implicit-def: $vgpr134
	s_and_saveexec_b32 s3, vcc_lo
	s_xor_b32 s3, exec_lo, s3
; %bb.53:
	v_bfe_u32 v134, v142, 16, 1
	s_delay_alu instid0(VALU_DEP_1)
	v_add3_u32 v134, v142, v134, 0x7fff
                                        ; implicit-def: $vgpr142
; %bb.54:
	s_and_not1_saveexec_b32 s3, s3
; %bb.55:
	v_and_b32_e32 v134, 0xffff, v142
	v_or_b32_e32 v139, 0x10000, v142
	s_delay_alu instid0(VALU_DEP_2) | instskip(NEXT) | instid1(VALU_DEP_2)
	v_cmp_eq_u32_e32 vcc_lo, 0, v134
	v_cndmask_b32_e32 v134, v139, v142, vcc_lo
; %bb.56:
	s_or_b32 exec_lo, exec_lo, s3
	v_and_b32_e32 v139, 0x7f800000, v141
	s_delay_alu instid0(VALU_DEP_1) | instskip(SKIP_1) | instid1(SALU_CYCLE_1)
	v_cmp_ne_u32_e32 vcc_lo, 0x7f800000, v139
                                        ; implicit-def: $vgpr139
	s_and_saveexec_b32 s3, vcc_lo
	s_xor_b32 s3, exec_lo, s3
; %bb.57:
	v_bfe_u32 v139, v141, 16, 1
	s_delay_alu instid0(VALU_DEP_1)
	v_add3_u32 v139, v141, v139, 0x7fff
                                        ; implicit-def: $vgpr141
; %bb.58:
	s_and_not1_saveexec_b32 s3, s3
; %bb.59:
	v_and_b32_e32 v139, 0xffff, v141
	v_or_b32_e32 v142, 0x10000, v141
	s_delay_alu instid0(VALU_DEP_2) | instskip(NEXT) | instid1(VALU_DEP_2)
	v_cmp_eq_u32_e32 vcc_lo, 0, v139
	v_cndmask_b32_e32 v139, v142, v141, vcc_lo
; %bb.60:
	s_or_b32 exec_lo, exec_lo, s3
	v_and_b32_e32 v141, 0x7f800000, v135
	s_delay_alu instid0(VALU_DEP_1) | instskip(SKIP_1) | instid1(SALU_CYCLE_1)
	v_cmp_ne_u32_e32 vcc_lo, 0x7f800000, v141
                                        ; implicit-def: $vgpr141
	s_and_saveexec_b32 s3, vcc_lo
	s_xor_b32 s3, exec_lo, s3
; %bb.61:
	v_bfe_u32 v141, v135, 16, 1
	s_delay_alu instid0(VALU_DEP_1)
	v_add3_u32 v141, v135, v141, 0x7fff
                                        ; implicit-def: $vgpr135
; %bb.62:
	s_and_not1_saveexec_b32 s3, s3
; %bb.63:
	v_and_b32_e32 v141, 0xffff, v135
	v_or_b32_e32 v142, 0x10000, v135
	s_delay_alu instid0(VALU_DEP_2) | instskip(NEXT) | instid1(VALU_DEP_2)
	v_cmp_eq_u32_e32 vcc_lo, 0, v141
	v_cndmask_b32_e32 v141, v142, v135, vcc_lo
; %bb.64:
	s_or_b32 exec_lo, exec_lo, s3
	v_and_b32_e32 v135, 0x7f800000, v136
	s_delay_alu instid0(VALU_DEP_1) | instskip(SKIP_1) | instid1(SALU_CYCLE_1)
	v_cmp_ne_u32_e32 vcc_lo, 0x7f800000, v135
                                        ; implicit-def: $vgpr135
	s_and_saveexec_b32 s3, vcc_lo
	s_xor_b32 s3, exec_lo, s3
; %bb.65:
	v_bfe_u32 v135, v136, 16, 1
	s_delay_alu instid0(VALU_DEP_1)
	v_add3_u32 v135, v136, v135, 0x7fff
                                        ; implicit-def: $vgpr136
; %bb.66:
	s_and_not1_saveexec_b32 s3, s3
; %bb.67:
	v_and_b32_e32 v135, 0xffff, v136
	v_or_b32_e32 v142, 0x10000, v136
	s_delay_alu instid0(VALU_DEP_2) | instskip(NEXT) | instid1(VALU_DEP_2)
	v_cmp_eq_u32_e32 vcc_lo, 0, v135
	v_cndmask_b32_e32 v135, v142, v136, vcc_lo
; %bb.68:
	s_or_b32 exec_lo, exec_lo, s3
	v_and_b32_e32 v136, 0x7f800000, v137
	s_delay_alu instid0(VALU_DEP_1) | instskip(SKIP_1) | instid1(SALU_CYCLE_1)
	v_cmp_ne_u32_e32 vcc_lo, 0x7f800000, v136
                                        ; implicit-def: $vgpr136
	s_and_saveexec_b32 s3, vcc_lo
	s_xor_b32 s3, exec_lo, s3
; %bb.69:
	v_bfe_u32 v136, v137, 16, 1
	s_delay_alu instid0(VALU_DEP_1)
	v_add3_u32 v136, v137, v136, 0x7fff
                                        ; implicit-def: $vgpr137
; %bb.70:
	s_and_not1_saveexec_b32 s3, s3
; %bb.71:
	v_and_b32_e32 v136, 0xffff, v137
	v_or_b32_e32 v142, 0x10000, v137
	s_delay_alu instid0(VALU_DEP_2) | instskip(NEXT) | instid1(VALU_DEP_2)
	v_cmp_eq_u32_e32 vcc_lo, 0, v136
	v_cndmask_b32_e32 v136, v142, v137, vcc_lo
; %bb.72:
	s_or_b32 exec_lo, exec_lo, s3
	v_and_b32_e32 v137, 0x7f800000, v138
	s_delay_alu instid0(VALU_DEP_1) | instskip(SKIP_1) | instid1(SALU_CYCLE_1)
	v_cmp_ne_u32_e32 vcc_lo, 0x7f800000, v137
                                        ; implicit-def: $vgpr137
	s_and_saveexec_b32 s3, vcc_lo
	s_xor_b32 s3, exec_lo, s3
; %bb.73:
	v_bfe_u32 v137, v138, 16, 1
	s_delay_alu instid0(VALU_DEP_1)
	v_add3_u32 v137, v138, v137, 0x7fff
                                        ; implicit-def: $vgpr138
; %bb.74:
	s_and_not1_saveexec_b32 s3, s3
; %bb.75:
	v_and_b32_e32 v137, 0xffff, v138
	v_or_b32_e32 v142, 0x10000, v138
	s_delay_alu instid0(VALU_DEP_2) | instskip(NEXT) | instid1(VALU_DEP_2)
	v_cmp_eq_u32_e32 vcc_lo, 0, v137
	v_cndmask_b32_e32 v137, v142, v138, vcc_lo
; %bb.76:
	s_or_b32 exec_lo, exec_lo, s3
	s_delay_alu instid0(VALU_DEP_1)
	v_perm_b32 v136, v137, v136, 0x7060302
	v_perm_b32 v135, v135, v141, 0x7060302
	;; [unrolled: 1-line block ×4, first 2 shown]
	v_lshl_or_b32 v141, v148, 11, v140
	ds_store_b128 v131, v[133:136] offset:1024
	s_waitcnt lgkmcnt(0)
	s_barrier
	buffer_gl0_inv
	ds_load_b128 v[132:135], v141
	ds_load_b128 v[148:151], v141 offset:16
	s_waitcnt lgkmcnt(1)
	v_lshrrev_b32_e32 v160, 16, v134
	v_lshlrev_b32_e32 v138, 2, v147
	v_lshrrev_b32_e32 v136, 16, v132
	v_lshrrev_b32_e32 v144, 16, v133
	s_waitcnt lgkmcnt(0)
	v_lshrrev_b32_e32 v143, 16, v148
	v_lshrrev_b32_e32 v161, 16, v149
	v_or_b32_e32 v139, 1, v138
	v_lshrrev_b32_e32 v163, 16, v150
	v_lshrrev_b32_e32 v164, 16, v151
	;; [unrolled: 1-line block ×3, first 2 shown]
	s_delay_alu instid0(VALU_DEP_4)
	v_cmp_eq_u32_e64 s7, 1, v139
	v_cmp_eq_u32_e64 s6, 2, v139
	;; [unrolled: 1-line block ×4, first 2 shown]
	v_cmp_eq_u32_e32 vcc_lo, 5, v139
	v_cndmask_b32_e64 v153, v132, v136, s7
	v_cndmask_b32_e64 v154, v148, v143, s7
	v_cmp_eq_u32_e64 s4, 6, v139
	v_cmp_eq_u32_e64 s19, 7, v139
	s_delay_alu instid0(VALU_DEP_4) | instskip(NEXT) | instid1(VALU_DEP_4)
	v_cndmask_b32_e64 v153, v153, v133, s6
	v_cndmask_b32_e64 v154, v154, v149, s6
	s_delay_alu instid0(VALU_DEP_2) | instskip(NEXT) | instid1(VALU_DEP_2)
	v_cndmask_b32_e64 v153, v153, v144, s5
	v_cndmask_b32_e64 v154, v154, v161, s5
	s_delay_alu instid0(VALU_DEP_2) | instskip(NEXT) | instid1(VALU_DEP_2)
	v_cndmask_b32_e64 v153, v153, v134, s3
	v_cndmask_b32_e64 v154, v154, v150, s3
	s_delay_alu instid0(VALU_DEP_2)
	v_cndmask_b32_e32 v153, v153, v160, vcc_lo
	v_cmp_eq_u32_e64 s12, 1, v138
	v_cmp_eq_u32_e64 s11, 2, v138
	;; [unrolled: 1-line block ×3, first 2 shown]
	v_or_b32_e32 v137, 2, v138
	v_cmp_eq_u32_e64 s17, 4, v138
	v_cndmask_b32_e64 v152, v148, v143, s12
	v_cndmask_b32_e64 v142, v132, v136, s12
	v_cmp_eq_u32_e64 s13, 5, v138
	v_cmp_eq_u32_e64 s8, 1, v137
	;; [unrolled: 1-line block ×3, first 2 shown]
	v_cndmask_b32_e64 v152, v152, v149, s11
	v_cndmask_b32_e64 v142, v142, v133, s11
	v_cmp_eq_u32_e64 s10, 2, v137
	v_cndmask_b32_e64 v155, v132, v136, s8
	v_cmp_eq_u32_e64 s9, 7, v138
	v_cndmask_b32_e64 v152, v152, v161, s16
	v_cndmask_b32_e64 v142, v142, v144, s16
	v_cmp_eq_u32_e64 s18, 3, v137
	v_cndmask_b32_e64 v155, v155, v133, s10
	v_cndmask_b32_e64 v153, v153, v135, s4
	;; [unrolled: 1-line block ×4, first 2 shown]
	v_cmp_eq_u32_e64 s20, 4, v137
	v_cndmask_b32_e64 v155, v155, v144, s18
	v_cndmask_b32_e64 v167, v153, v162, s19
	v_cndmask_b32_e64 v152, v152, v163, s13
	v_cndmask_b32_e64 v142, v142, v160, s13
	v_cndmask_b32_e32 v156, v154, v163, vcc_lo
	v_cndmask_b32_e64 v158, v155, v134, s20
	v_cmp_eq_u32_e64 s22, 5, v137
	v_cndmask_b32_e64 v152, v152, v151, s15
	v_cndmask_b32_e64 v142, v142, v135, s15
	v_cmp_eq_u32_e64 s25, 6, v137
	v_cmp_eq_u32_e64 s27, 7, v137
	v_cndmask_b32_e64 v168, v158, v160, s22
	v_cndmask_b32_e64 v166, v152, v164, s9
	;; [unrolled: 1-line block ×4, first 2 shown]
	v_or_b32_e32 v142, 3, v138
	s_delay_alu instid0(VALU_DEP_3)
	v_cndmask_b32_e64 v157, v152, v149, s10
	ds_load_b128 v[152:155], v141 offset:1024
	v_cmp_eq_u32_e64 s21, 1, v142
	v_cmp_eq_u32_e64 s23, 2, v142
	v_cmp_eq_u32_e64 s24, 3, v142
	v_cndmask_b32_e64 v157, v157, v161, s18
	v_cmp_eq_u32_e64 s26, 4, v142
	v_cndmask_b32_e64 v132, v132, v136, s21
	v_cndmask_b32_e64 v136, v156, v151, s4
	;; [unrolled: 1-line block ×4, first 2 shown]
	ds_load_b128 v[156:159], v141 offset:1040
	v_cndmask_b32_e64 v132, v132, v133, s23
	v_cmp_eq_u32_e64 s28, 5, v142
	v_cndmask_b32_e64 v143, v143, v149, s23
	v_cmp_eq_u32_e64 s29, 6, v142
	v_cndmask_b32_e64 v133, v169, v163, s22
	v_cndmask_b32_e64 v132, v132, v144, s24
	;; [unrolled: 1-line block ×5, first 2 shown]
	s_waitcnt lgkmcnt(1)
	v_lshrrev_b32_e32 v148, 16, v152
	v_cndmask_b32_e64 v132, v132, v134, s26
	v_cndmask_b32_e64 v133, v133, v151, s25
	v_cndmask_b32_e64 v134, v143, v150, s26
	v_lshrrev_b32_e32 v150, 16, v153
	v_cndmask_b32_e64 v143, v152, v148, s12
	v_cndmask_b32_e64 v132, v132, v160, s28
	;; [unrolled: 1-line block ×5, first 2 shown]
	s_waitcnt lgkmcnt(0)
	v_lshrrev_b32_e32 v149, 16, v156
	v_cndmask_b32_e64 v143, v143, v153, s11
	v_cndmask_b32_e64 v132, v132, v135, s29
	;; [unrolled: 1-line block ×3, first 2 shown]
	v_lshrrev_b32_e32 v163, 16, v158
	v_cndmask_b32_e64 v161, v156, v149, s12
	v_cndmask_b32_e64 v135, v143, v150, s16
	;; [unrolled: 1-line block ×3, first 2 shown]
	v_lshrrev_b32_e32 v160, 16, v157
	v_cndmask_b32_e64 v133, v133, v164, s27
	v_cndmask_b32_e64 v151, v161, v157, s11
	v_cmp_eq_u32_e64 s11, 7, v142
	v_cndmask_b32_e64 v143, v143, v150, s5
	v_cndmask_b32_e64 v135, v135, v154, s17
	v_lshrrev_b32_e32 v161, 16, v154
	v_cndmask_b32_e64 v151, v151, v160, s16
	v_cndmask_b32_e64 v132, v132, v162, s11
	;; [unrolled: 1-line block ×6, first 2 shown]
	s_delay_alu instid0(VALU_DEP_4) | instskip(NEXT) | instid1(VALU_DEP_4)
	v_perm_b32 v135, v134, v132, 0x5040100
	v_cndmask_b32_e32 v132, v143, v161, vcc_lo
	s_delay_alu instid0(VALU_DEP_4)
	v_cndmask_b32_e64 v143, v162, v155, s15
	v_lshrrev_b32_e32 v162, 16, v155
	v_cndmask_b32_e64 v151, v151, v163, s13
	v_perm_b32 v134, v133, v144, 0x5040100
	v_cndmask_b32_e64 v132, v132, v155, s4
	v_perm_b32 v133, v136, v167, 0x5040100
	v_cndmask_b32_e64 v136, v143, v162, s9
	v_cndmask_b32_e64 v143, v151, v159, s15
	v_cndmask_b32_e64 v151, v156, v149, s21
	v_cndmask_b32_e64 v164, v132, v162, s19
	v_cndmask_b32_e64 v132, v152, v148, s8
	v_cndmask_b32_e64 v148, v152, v148, s21
	v_cndmask_b32_e64 v152, v156, v149, s8
	v_cndmask_b32_e64 v149, v156, v149, s7
	v_cndmask_b32_e64 v151, v151, v157, s23
	v_cndmask_b32_e64 v132, v132, v153, s10
	v_cndmask_b32_e64 v148, v148, v153, s23
	v_cndmask_b32_e64 v152, v152, v157, s10
	v_cndmask_b32_e64 v149, v149, v157, s6
	v_lshrrev_b32_e32 v144, 16, v159
	v_cndmask_b32_e64 v132, v132, v150, s18
	v_cndmask_b32_e64 v148, v148, v150, s24
	;; [unrolled: 1-line block ×14, first 2 shown]
	v_cndmask_b32_e32 v149, v149, v163, vcc_lo
	v_cndmask_b32_e64 v132, v132, v155, s25
	v_cndmask_b32_e64 v148, v148, v155, s29
	;; [unrolled: 1-line block ×11, first 2 shown]
	v_perm_b32 v132, v166, v165, 0x5040100
	v_perm_b32 v151, v150, v148, 0x5040100
	;; [unrolled: 1-line block ×5, first 2 shown]
	s_lshl_b32 s8, s35, 3
	s_mov_b32 s3, exec_lo
	ds_store_b128 v131, v[132:135]
	ds_store_b128 v131, v[148:151] offset:1024
	v_cmpx_gt_u32_e32 8, v0
	s_cbranch_execz .LBB449_78
; %bb.77:
	v_or_b32_e32 v131, s31, v0
	s_load_b128 s[4:7], s[0:1], 0x58
	s_delay_alu instid0(VALU_DEP_1) | instskip(NEXT) | instid1(VALU_DEP_1)
	v_mad_u64_u32 v[132:133], null, s8, s30, v[131:132]
	v_mad_u64_u32 v[133:134], null, v132, s34, s[14:15]
	s_delay_alu instid0(VALU_DEP_1) | instskip(NEXT) | instid1(VALU_DEP_1)
	v_ashrrev_i32_e32 v134, 31, v133
	v_lshlrev_b64 v[131:132], 2, v[133:134]
	s_waitcnt lgkmcnt(0)
	s_delay_alu instid0(VALU_DEP_1) | instskip(NEXT) | instid1(VALU_DEP_2)
	v_add_co_u32 v133, vcc_lo, s6, v131
	v_add_co_ci_u32_e32 v134, vcc_lo, s7, v132, vcc_lo
	v_add_co_u32 v131, vcc_lo, s4, v131
	v_add_co_ci_u32_e32 v132, vcc_lo, s5, v132, vcc_lo
	global_store_b32 v[133:134], v129, off
	global_store_b32 v[131:132], v130, off
.LBB449_78:
	s_or_b32 exec_lo, exec_lo, s3
	s_waitcnt lgkmcnt(0)
	s_waitcnt_vscnt null, 0x0
	s_barrier
	buffer_gl0_inv
	ds_load_b128 v[148:151], v140
	ds_load_b128 v[152:155], v140 offset:16
	ds_load_b128 v[160:163], v140 offset:1040
	;; [unrolled: 1-line block ×3, first 2 shown]
	v_mov_b32_e32 v129, 0
	ds_load_b128 v[168:171], v140 offset:2064
	ds_load_b128 v[164:167], v140 offset:2048
	;; [unrolled: 1-line block ×6, first 2 shown]
	v_mov_b32_e32 v130, v129
	v_mov_b32_e32 v131, v129
	;; [unrolled: 1-line block ×7, first 2 shown]
	s_waitcnt lgkmcnt(8)
	s_delay_alu instid0(VALU_DEP_1)
	v_wmma_f32_16x16x16_bf16 v[129:136], v[121:128], v[148:155], v[129:136]
	ds_load_b128 v[125:128], v140 offset:5136
	ds_load_b128 v[121:124], v140 offset:5120
	s_waitcnt lgkmcnt(8)
	v_wmma_f32_16x16x16_bf16 v[129:136], v[113:120], v[156:163], v[129:136]
	ds_load_b128 v[117:120], v140 offset:6160
	ds_load_b128 v[113:116], v140 offset:6144
	s_waitcnt lgkmcnt(8)
	;; [unrolled: 4-line block ×8, first 2 shown]
	v_wmma_f32_16x16x16_bf16 v[129:136], v[65:72], v[97:104], v[129:136]
	s_waitcnt lgkmcnt(6)
	s_delay_alu instid0(VALU_DEP_1)
	v_wmma_f32_16x16x16_bf16 v[129:136], v[49:56], v[89:96], v[129:136]
	ds_load_b128 v[53:56], v140 offset:13328
	ds_load_b128 v[49:52], v140 offset:13312
	s_waitcnt lgkmcnt(6)
	v_wmma_f32_16x16x16_bf16 v[129:136], v[41:48], v[81:88], v[129:136]
	ds_load_b128 v[45:48], v140 offset:14352
	ds_load_b128 v[41:44], v140 offset:14336
	s_waitcnt lgkmcnt(6)
	;; [unrolled: 4-line block ×3, first 2 shown]
	v_wmma_f32_16x16x16_bf16 v[129:136], v[1:8], v[57:64], v[129:136]
	s_waitcnt lgkmcnt(4)
	s_delay_alu instid0(VALU_DEP_1) | instskip(SKIP_1) | instid1(VALU_DEP_1)
	v_wmma_f32_16x16x16_bf16 v[129:136], v[25:32], v[49:56], v[129:136]
	s_waitcnt lgkmcnt(2)
	v_wmma_f32_16x16x16_bf16 v[129:136], v[33:40], v[41:48], v[129:136]
	s_waitcnt lgkmcnt(0)
	s_delay_alu instid0(VALU_DEP_1) | instskip(NEXT) | instid1(VALU_DEP_1)
	v_wmma_f32_16x16x16_bf16 v[129:136], v[9:16], v[17:24], v[129:136]
	v_and_b32_e32 v1, 0x7f800000, v129
	s_delay_alu instid0(VALU_DEP_1) | instskip(SKIP_1) | instid1(SALU_CYCLE_1)
	v_cmp_ne_u32_e32 vcc_lo, 0x7f800000, v1
                                        ; implicit-def: $vgpr1
	s_and_saveexec_b32 s3, vcc_lo
	s_xor_b32 s3, exec_lo, s3
; %bb.79:
	v_bfe_u32 v1, v129, 16, 1
	s_delay_alu instid0(VALU_DEP_1)
	v_add3_u32 v1, v129, v1, 0x7fff
; %bb.80:
	s_and_not1_saveexec_b32 s3, s3
; %bb.81:
	v_and_b32_e32 v1, 0xffff, v129
	v_or_b32_e32 v2, 0x10000, v129
	s_delay_alu instid0(VALU_DEP_2) | instskip(NEXT) | instid1(VALU_DEP_2)
	v_cmp_eq_u32_e32 vcc_lo, 0, v1
	v_cndmask_b32_e32 v1, v2, v129, vcc_lo
; %bb.82:
	s_or_b32 exec_lo, exec_lo, s3
	v_and_b32_e32 v2, 0x7f800000, v130
	s_delay_alu instid0(VALU_DEP_1) | instskip(SKIP_1) | instid1(SALU_CYCLE_1)
	v_cmp_ne_u32_e32 vcc_lo, 0x7f800000, v2
                                        ; implicit-def: $vgpr2
	s_and_saveexec_b32 s3, vcc_lo
	s_xor_b32 s3, exec_lo, s3
; %bb.83:
	v_bfe_u32 v2, v130, 16, 1
	s_delay_alu instid0(VALU_DEP_1)
	v_add3_u32 v2, v130, v2, 0x7fff
; %bb.84:
	s_and_not1_saveexec_b32 s3, s3
; %bb.85:
	v_and_b32_e32 v2, 0xffff, v130
	v_or_b32_e32 v3, 0x10000, v130
	s_delay_alu instid0(VALU_DEP_2) | instskip(NEXT) | instid1(VALU_DEP_2)
	v_cmp_eq_u32_e32 vcc_lo, 0, v2
	v_cndmask_b32_e32 v2, v3, v130, vcc_lo
; %bb.86:
	s_or_b32 exec_lo, exec_lo, s3
	v_and_b32_e32 v3, 0x7f800000, v131
	s_delay_alu instid0(VALU_DEP_1) | instskip(SKIP_1) | instid1(SALU_CYCLE_1)
	v_cmp_ne_u32_e32 vcc_lo, 0x7f800000, v3
                                        ; implicit-def: $vgpr3
	s_and_saveexec_b32 s3, vcc_lo
	s_xor_b32 s3, exec_lo, s3
; %bb.87:
	v_bfe_u32 v3, v131, 16, 1
	s_delay_alu instid0(VALU_DEP_1)
	v_add3_u32 v3, v131, v3, 0x7fff
; %bb.88:
	s_and_not1_saveexec_b32 s3, s3
; %bb.89:
	v_and_b32_e32 v3, 0xffff, v131
	v_or_b32_e32 v4, 0x10000, v131
	s_delay_alu instid0(VALU_DEP_2) | instskip(NEXT) | instid1(VALU_DEP_2)
	v_cmp_eq_u32_e32 vcc_lo, 0, v3
	v_cndmask_b32_e32 v3, v4, v131, vcc_lo
; %bb.90:
	s_or_b32 exec_lo, exec_lo, s3
	v_and_b32_e32 v4, 0x7f800000, v132
	s_delay_alu instid0(VALU_DEP_1) | instskip(SKIP_1) | instid1(SALU_CYCLE_1)
	v_cmp_ne_u32_e32 vcc_lo, 0x7f800000, v4
                                        ; implicit-def: $vgpr4
	s_and_saveexec_b32 s3, vcc_lo
	s_xor_b32 s3, exec_lo, s3
; %bb.91:
	v_bfe_u32 v4, v132, 16, 1
	s_delay_alu instid0(VALU_DEP_1)
	v_add3_u32 v4, v132, v4, 0x7fff
; %bb.92:
	s_and_not1_saveexec_b32 s3, s3
; %bb.93:
	v_and_b32_e32 v4, 0xffff, v132
	v_or_b32_e32 v5, 0x10000, v132
	s_delay_alu instid0(VALU_DEP_2) | instskip(NEXT) | instid1(VALU_DEP_2)
	v_cmp_eq_u32_e32 vcc_lo, 0, v4
	v_cndmask_b32_e32 v4, v5, v132, vcc_lo
; %bb.94:
	s_or_b32 exec_lo, exec_lo, s3
	v_and_b32_e32 v5, 0x7f800000, v133
	s_delay_alu instid0(VALU_DEP_1) | instskip(SKIP_1) | instid1(SALU_CYCLE_1)
	v_cmp_ne_u32_e32 vcc_lo, 0x7f800000, v5
                                        ; implicit-def: $vgpr5
	s_and_saveexec_b32 s3, vcc_lo
	s_xor_b32 s3, exec_lo, s3
; %bb.95:
	v_bfe_u32 v5, v133, 16, 1
	s_delay_alu instid0(VALU_DEP_1)
	v_add3_u32 v5, v133, v5, 0x7fff
; %bb.96:
	s_and_not1_saveexec_b32 s3, s3
; %bb.97:
	v_and_b32_e32 v5, 0xffff, v133
	v_or_b32_e32 v6, 0x10000, v133
	s_delay_alu instid0(VALU_DEP_2) | instskip(NEXT) | instid1(VALU_DEP_2)
	v_cmp_eq_u32_e32 vcc_lo, 0, v5
	v_cndmask_b32_e32 v5, v6, v133, vcc_lo
; %bb.98:
	s_or_b32 exec_lo, exec_lo, s3
	v_and_b32_e32 v6, 0x7f800000, v134
	s_delay_alu instid0(VALU_DEP_1) | instskip(SKIP_1) | instid1(SALU_CYCLE_1)
	v_cmp_ne_u32_e32 vcc_lo, 0x7f800000, v6
                                        ; implicit-def: $vgpr6
	s_and_saveexec_b32 s3, vcc_lo
	s_xor_b32 s3, exec_lo, s3
; %bb.99:
	v_bfe_u32 v6, v134, 16, 1
	s_delay_alu instid0(VALU_DEP_1)
	v_add3_u32 v6, v134, v6, 0x7fff
; %bb.100:
	s_and_not1_saveexec_b32 s3, s3
; %bb.101:
	v_and_b32_e32 v6, 0xffff, v134
	v_or_b32_e32 v7, 0x10000, v134
	s_delay_alu instid0(VALU_DEP_2) | instskip(NEXT) | instid1(VALU_DEP_2)
	v_cmp_eq_u32_e32 vcc_lo, 0, v6
	v_cndmask_b32_e32 v6, v7, v134, vcc_lo
; %bb.102:
	s_or_b32 exec_lo, exec_lo, s3
	v_and_b32_e32 v7, 0x7f800000, v135
	s_delay_alu instid0(VALU_DEP_1) | instskip(SKIP_1) | instid1(SALU_CYCLE_1)
	v_cmp_ne_u32_e32 vcc_lo, 0x7f800000, v7
                                        ; implicit-def: $vgpr7
	s_and_saveexec_b32 s3, vcc_lo
	s_xor_b32 s3, exec_lo, s3
; %bb.103:
	v_bfe_u32 v7, v135, 16, 1
	s_delay_alu instid0(VALU_DEP_1)
	v_add3_u32 v7, v135, v7, 0x7fff
; %bb.104:
	s_and_not1_saveexec_b32 s3, s3
; %bb.105:
	v_and_b32_e32 v7, 0xffff, v135
	v_or_b32_e32 v8, 0x10000, v135
	s_delay_alu instid0(VALU_DEP_2) | instskip(NEXT) | instid1(VALU_DEP_2)
	v_cmp_eq_u32_e32 vcc_lo, 0, v7
	v_cndmask_b32_e32 v7, v8, v135, vcc_lo
; %bb.106:
	s_or_b32 exec_lo, exec_lo, s3
	v_and_b32_e32 v8, 0x7f800000, v136
	s_delay_alu instid0(VALU_DEP_1) | instskip(SKIP_1) | instid1(SALU_CYCLE_1)
	v_cmp_ne_u32_e32 vcc_lo, 0x7f800000, v8
                                        ; implicit-def: $vgpr8
	s_and_saveexec_b32 s3, vcc_lo
	s_xor_b32 s3, exec_lo, s3
; %bb.107:
	v_bfe_u32 v8, v136, 16, 1
	s_delay_alu instid0(VALU_DEP_1)
	v_add3_u32 v8, v136, v8, 0x7fff
                                        ; implicit-def: $vgpr129_vgpr130_vgpr131_vgpr132_vgpr133_vgpr134_vgpr135_vgpr136
; %bb.108:
	s_and_not1_saveexec_b32 s3, s3
; %bb.109:
	v_and_b32_e32 v8, 0xffff, v136
	v_or_b32_e32 v9, 0x10000, v136
	s_delay_alu instid0(VALU_DEP_2) | instskip(NEXT) | instid1(VALU_DEP_2)
	v_cmp_eq_u32_e32 vcc_lo, 0, v8
	v_cndmask_b32_e32 v8, v9, v136, vcc_lo
; %bb.110:
	s_or_b32 exec_lo, exec_lo, s3
	s_delay_alu instid0(VALU_DEP_1)
	v_perm_b32 v7, v8, v7, 0x7060302
	v_perm_b32 v6, v6, v5, 0x7060302
	;; [unrolled: 1-line block ×4, first 2 shown]
	v_lshl_or_b32 v9, v147, 4, v141
	s_barrier
	buffer_gl0_inv
	v_cmp_eq_u32_e32 vcc_lo, 1, v138
	ds_store_b128 v9, v[4:7]
	s_waitcnt lgkmcnt(0)
	s_barrier
	buffer_gl0_inv
	ds_load_b128 v[1:4], v141
	ds_load_b128 v[5:8], v141 offset:16
	v_cmp_eq_u32_e64 s4, 2, v138
	v_cmp_eq_u32_e64 s3, 1, v139
	;; [unrolled: 1-line block ×5, first 2 shown]
	s_waitcnt lgkmcnt(1)
	v_lshrrev_b32_e32 v10, 16, v1
	s_waitcnt lgkmcnt(0)
	v_lshrrev_b32_e32 v14, 16, v5
	v_lshrrev_b32_e32 v15, 16, v6
	;; [unrolled: 1-line block ×4, first 2 shown]
	v_cndmask_b32_e64 v20, v1, v10, s3
	v_cndmask_b32_e32 v19, v5, v14, vcc_lo
	v_cndmask_b32_e64 v21, v5, v14, s3
	v_lshrrev_b32_e32 v16, 16, v7
	v_cmp_eq_u32_e64 s3, 1, v137
	v_lshrrev_b32_e32 v13, 16, v4
	v_cndmask_b32_e64 v19, v19, v6, s4
	v_lshrrev_b32_e32 v17, 16, v8
	s_delay_alu instid0(VALU_DEP_4) | instskip(SKIP_1) | instid1(VALU_DEP_4)
	v_cndmask_b32_e64 v22, v1, v10, s3
	v_cndmask_b32_e64 v23, v5, v14, s3
	v_cndmask_b32_e64 v19, v19, v15, s5
	v_cndmask_b32_e32 v18, v1, v10, vcc_lo
	v_cmp_eq_u32_e32 vcc_lo, 2, v139
	v_cmp_eq_u32_e64 s3, 2, v142
	v_cndmask_b32_e64 v22, v22, v2, s7
	v_cndmask_b32_e32 v20, v20, v2, vcc_lo
	v_cndmask_b32_e32 v21, v21, v6, vcc_lo
	v_cmp_eq_u32_e32 vcc_lo, 4, v138
	v_cndmask_b32_e32 v19, v19, v7, vcc_lo
	v_cndmask_b32_e64 v18, v18, v2, s4
	v_cmp_eq_u32_e64 s4, 3, v139
	s_delay_alu instid0(VALU_DEP_2) | instskip(NEXT) | instid1(VALU_DEP_2)
	v_cndmask_b32_e64 v18, v18, v11, s5
	v_cndmask_b32_e64 v21, v21, v15, s4
	v_cmp_eq_u32_e64 s5, 5, v138
	s_delay_alu instid0(VALU_DEP_3) | instskip(SKIP_1) | instid1(VALU_DEP_3)
	v_cndmask_b32_e32 v18, v18, v3, vcc_lo
	v_cmp_eq_u32_e32 vcc_lo, 4, v139
	v_cndmask_b32_e64 v19, v19, v16, s5
	s_delay_alu instid0(VALU_DEP_3) | instskip(SKIP_4) | instid1(VALU_DEP_3)
	v_cndmask_b32_e64 v18, v18, v12, s5
	v_cndmask_b32_e32 v21, v21, v7, vcc_lo
	v_cndmask_b32_e64 v20, v20, v11, s4
	v_cmp_eq_u32_e64 s4, 5, v139
	v_cmp_eq_u32_e64 s5, 6, v138
	v_cndmask_b32_e32 v20, v20, v3, vcc_lo
	s_delay_alu instid0(VALU_DEP_3) | instskip(SKIP_1) | instid1(VALU_DEP_4)
	v_cndmask_b32_e64 v21, v21, v16, s4
	v_cmp_eq_u32_e32 vcc_lo, 6, v139
	v_cndmask_b32_e64 v18, v18, v4, s5
	v_cndmask_b32_e64 v19, v19, v8, s5
	;; [unrolled: 1-line block ×3, first 2 shown]
	v_cmp_eq_u32_e64 s4, 1, v142
	v_cmp_eq_u32_e64 s5, 7, v138
	s_delay_alu instid0(VALU_DEP_3) | instskip(NEXT) | instid1(VALU_DEP_3)
	v_cndmask_b32_e32 v20, v20, v4, vcc_lo
	v_cndmask_b32_e64 v1, v1, v10, s4
	v_cndmask_b32_e64 v5, v5, v14, s4
	v_cmp_eq_u32_e64 s4, 3, v137
	v_cndmask_b32_e64 v14, v23, v6, s7
	v_cmp_eq_u32_e64 s7, 3, v142
	v_cndmask_b32_e64 v1, v1, v2, s3
	v_cndmask_b32_e64 v2, v5, v6, s3
	;; [unrolled: 1-line block ×3, first 2 shown]
	v_cmp_eq_u32_e64 s3, 4, v137
	v_cndmask_b32_e64 v6, v14, v15, s4
	v_cndmask_b32_e64 v1, v1, v11, s7
	v_cmp_eq_u32_e64 s4, 4, v142
	v_cndmask_b32_e64 v2, v2, v15, s7
	v_cndmask_b32_e64 v5, v10, v3, s3
	;; [unrolled: 3-line block ×3, first 2 shown]
	v_cndmask_b32_e64 v2, v2, v7, s4
	v_cmp_eq_u32_e64 s3, 5, v142
	v_cndmask_b32_e64 v5, v5, v12, s7
	v_cmp_eq_u32_e64 s4, 6, v137
	;; [unrolled: 2-line block ×3, first 2 shown]
	v_cndmask_b32_e64 v1, v1, v12, s3
	v_cndmask_b32_e64 v2, v2, v16, s3
	;; [unrolled: 1-line block ×4, first 2 shown]
	v_cmp_eq_u32_e64 s3, 7, v142
	v_cndmask_b32_e64 v1, v1, v4, s7
	v_cndmask_b32_e64 v2, v2, v8, s7
	v_cmp_eq_u32_e64 s4, 7, v137
	v_cndmask_b32_e32 v4, v21, v8, vcc_lo
	v_cndmask_b32_e64 v18, v18, v13, s5
	v_cndmask_b32_e64 v20, v20, v13, s6
	;; [unrolled: 1-line block ×8, first 2 shown]
	v_cmp_gt_u32_e32 vcc_lo, 32, v0
	v_perm_b32 v4, v2, v1, 0x5040100
	v_perm_b32 v3, v3, v5, 0x5040100
	;; [unrolled: 1-line block ×4, first 2 shown]
	s_and_b32 s2, vcc_lo, s2
	ds_store_b128 v9, v[1:4]
	s_waitcnt lgkmcnt(0)
	s_barrier
	buffer_gl0_inv
	s_and_saveexec_b32 s3, s2
	s_cbranch_execz .LBB449_2
; %bb.111:
	s_load_b64 s[0:1], s[0:1], 0x68
	s_lshl_b32 s4, s34, 6
	v_or_b32_e32 v2, s31, v147
	s_mul_i32 s2, s4, s30
	v_lshlrev_b32_e32 v1, 10, v0
	s_mul_i32 s2, s2, s8
	v_lshlrev_b32_e32 v3, 4, v146
	v_mul_lo_u32 v0, v2, s4
	s_ashr_i32 s3, s2, 31
	v_lshlrev_b32_e32 v4, 6, v147
	v_and_b32_e32 v1, 0x3800, v1
	v_or_b32_e32 v5, 2, v2
	s_lshl_b64 s[2:3], s[2:3], 1
	v_or_b32_e32 v6, 4, v2
	v_or_b32_e32 v7, 6, v2
	v_or3_b32 v12, v1, v3, v4
	v_ashrrev_i32_e32 v1, 31, v0
	v_mul_lo_u32 v2, v5, s4
	v_mul_lo_u32 v16, v6, s4
	;; [unrolled: 1-line block ×3, first 2 shown]
	s_waitcnt lgkmcnt(0)
	s_add_u32 s2, s0, s2
	s_addc_u32 s3, s1, s3
	s_lshl_b32 s0, s14, 6
	v_lshlrev_b64 v[0:1], 1, v[0:1]
	s_ashr_i32 s1, s0, 31
	v_ashrrev_i32_e32 v3, 31, v2
	s_lshl_b64 s[0:1], s[0:1], 1
	v_ashrrev_i32_e32 v17, 31, v16
	s_add_u32 s0, s2, s0
	s_addc_u32 s1, s3, s1
	v_add_co_u32 v24, s0, s0, v145
	s_delay_alu instid0(VALU_DEP_1) | instskip(SKIP_1) | instid1(VALU_DEP_3)
	v_add_co_ci_u32_e64 v25, null, s1, 0, s0
	v_lshlrev_b64 v[22:23], 1, v[2:3]
	v_add_co_u32 v18, vcc_lo, v24, v0
	s_delay_alu instid0(VALU_DEP_3)
	v_add_co_ci_u32_e32 v19, vcc_lo, v25, v1, vcc_lo
	ds_load_b128 v[0:3], v12
	ds_load_b128 v[4:7], v12 offset:128
	ds_load_b128 v[8:11], v12 offset:256
	;; [unrolled: 1-line block ×3, first 2 shown]
	v_ashrrev_i32_e32 v21, 31, v20
	v_lshlrev_b64 v[16:17], 1, v[16:17]
	v_add_co_u32 v22, vcc_lo, v24, v22
	v_add_co_ci_u32_e32 v23, vcc_lo, v25, v23, vcc_lo
	s_delay_alu instid0(VALU_DEP_4) | instskip(NEXT) | instid1(VALU_DEP_4)
	v_lshlrev_b64 v[20:21], 1, v[20:21]
	v_add_co_u32 v16, vcc_lo, v24, v16
	v_add_co_ci_u32_e32 v17, vcc_lo, v25, v17, vcc_lo
	s_delay_alu instid0(VALU_DEP_3) | instskip(NEXT) | instid1(VALU_DEP_4)
	v_add_co_u32 v20, vcc_lo, v24, v20
	v_add_co_ci_u32_e32 v21, vcc_lo, v25, v21, vcc_lo
	s_waitcnt lgkmcnt(3)
	global_store_b128 v[18:19], v[0:3], off
	s_waitcnt lgkmcnt(2)
	global_store_b128 v[22:23], v[4:7], off
	;; [unrolled: 2-line block ×4, first 2 shown]
	s_nop 0
	s_sendmsg sendmsg(MSG_DEALLOC_VGPRS)
	s_endpgm
	.section	.rodata,"a",@progbits
	.p2align	6, 0x0
	.amdhsa_kernel _Z39paged_attention_ll4mi_QKV_mfma16_kernelI14__hip_bfloat16S0_LN4vllm18Fp8KVCacheDataTypeE0ES0_Li16ELi64ELi256ELb1ELi8EL8MFMAType0EEvPKT_PKT0_S9_ifPKiSB_SB_iPKfiiiPfSE_PS4_PT2_iSD_SD_
		.amdhsa_group_segment_fixed_size 17472
		.amdhsa_private_segment_fixed_size 0
		.amdhsa_kernarg_size 400
		.amdhsa_user_sgpr_count 13
		.amdhsa_user_sgpr_dispatch_ptr 0
		.amdhsa_user_sgpr_queue_ptr 0
		.amdhsa_user_sgpr_kernarg_segment_ptr 1
		.amdhsa_user_sgpr_dispatch_id 0
		.amdhsa_user_sgpr_private_segment_size 0
		.amdhsa_wavefront_size32 1
		.amdhsa_uses_dynamic_stack 0
		.amdhsa_enable_private_segment 0
		.amdhsa_system_sgpr_workgroup_id_x 1
		.amdhsa_system_sgpr_workgroup_id_y 1
		.amdhsa_system_sgpr_workgroup_id_z 1
		.amdhsa_system_sgpr_workgroup_info 0
		.amdhsa_system_vgpr_workitem_id 0
		.amdhsa_next_free_vgpr 198
		.amdhsa_next_free_sgpr 52
		.amdhsa_reserve_vcc 1
		.amdhsa_float_round_mode_32 0
		.amdhsa_float_round_mode_16_64 0
		.amdhsa_float_denorm_mode_32 3
		.amdhsa_float_denorm_mode_16_64 3
		.amdhsa_dx10_clamp 1
		.amdhsa_ieee_mode 1
		.amdhsa_fp16_overflow 0
		.amdhsa_workgroup_processor_mode 1
		.amdhsa_memory_ordered 1
		.amdhsa_forward_progress 0
		.amdhsa_shared_vgpr_count 0
		.amdhsa_exception_fp_ieee_invalid_op 0
		.amdhsa_exception_fp_denorm_src 0
		.amdhsa_exception_fp_ieee_div_zero 0
		.amdhsa_exception_fp_ieee_overflow 0
		.amdhsa_exception_fp_ieee_underflow 0
		.amdhsa_exception_fp_ieee_inexact 0
		.amdhsa_exception_int_div_zero 0
	.end_amdhsa_kernel
	.section	.text._Z39paged_attention_ll4mi_QKV_mfma16_kernelI14__hip_bfloat16S0_LN4vllm18Fp8KVCacheDataTypeE0ES0_Li16ELi64ELi256ELb1ELi8EL8MFMAType0EEvPKT_PKT0_S9_ifPKiSB_SB_iPKfiiiPfSE_PS4_PT2_iSD_SD_,"axG",@progbits,_Z39paged_attention_ll4mi_QKV_mfma16_kernelI14__hip_bfloat16S0_LN4vllm18Fp8KVCacheDataTypeE0ES0_Li16ELi64ELi256ELb1ELi8EL8MFMAType0EEvPKT_PKT0_S9_ifPKiSB_SB_iPKfiiiPfSE_PS4_PT2_iSD_SD_,comdat
.Lfunc_end449:
	.size	_Z39paged_attention_ll4mi_QKV_mfma16_kernelI14__hip_bfloat16S0_LN4vllm18Fp8KVCacheDataTypeE0ES0_Li16ELi64ELi256ELb1ELi8EL8MFMAType0EEvPKT_PKT0_S9_ifPKiSB_SB_iPKfiiiPfSE_PS4_PT2_iSD_SD_, .Lfunc_end449-_Z39paged_attention_ll4mi_QKV_mfma16_kernelI14__hip_bfloat16S0_LN4vllm18Fp8KVCacheDataTypeE0ES0_Li16ELi64ELi256ELb1ELi8EL8MFMAType0EEvPKT_PKT0_S9_ifPKiSB_SB_iPKfiiiPfSE_PS4_PT2_iSD_SD_
                                        ; -- End function
	.section	.AMDGPU.csdata,"",@progbits
; Kernel info:
; codeLenInByte = 10020
; NumSgprs: 54
; NumVgprs: 198
; ScratchSize: 0
; MemoryBound: 0
; FloatMode: 240
; IeeeMode: 1
; LDSByteSize: 17472 bytes/workgroup (compile time only)
; SGPRBlocks: 6
; VGPRBlocks: 24
; NumSGPRsForWavesPerEU: 54
; NumVGPRsForWavesPerEU: 198
; Occupancy: 7
; WaveLimiterHint : 1
; COMPUTE_PGM_RSRC2:SCRATCH_EN: 0
; COMPUTE_PGM_RSRC2:USER_SGPR: 13
; COMPUTE_PGM_RSRC2:TRAP_HANDLER: 0
; COMPUTE_PGM_RSRC2:TGID_X_EN: 1
; COMPUTE_PGM_RSRC2:TGID_Y_EN: 1
; COMPUTE_PGM_RSRC2:TGID_Z_EN: 1
; COMPUTE_PGM_RSRC2:TIDIG_COMP_CNT: 0
	.section	.text._Z39paged_attention_ll4mi_QKV_mfma16_kernelI14__hip_bfloat16S0_LN4vllm18Fp8KVCacheDataTypeE0ES0_Li16ELi64ELi256ELb1ELi9EL8MFMAType0EEvPKT_PKT0_S9_ifPKiSB_SB_iPKfiiiPfSE_PS4_PT2_iSD_SD_,"axG",@progbits,_Z39paged_attention_ll4mi_QKV_mfma16_kernelI14__hip_bfloat16S0_LN4vllm18Fp8KVCacheDataTypeE0ES0_Li16ELi64ELi256ELb1ELi9EL8MFMAType0EEvPKT_PKT0_S9_ifPKiSB_SB_iPKfiiiPfSE_PS4_PT2_iSD_SD_,comdat
	.protected	_Z39paged_attention_ll4mi_QKV_mfma16_kernelI14__hip_bfloat16S0_LN4vllm18Fp8KVCacheDataTypeE0ES0_Li16ELi64ELi256ELb1ELi9EL8MFMAType0EEvPKT_PKT0_S9_ifPKiSB_SB_iPKfiiiPfSE_PS4_PT2_iSD_SD_ ; -- Begin function _Z39paged_attention_ll4mi_QKV_mfma16_kernelI14__hip_bfloat16S0_LN4vllm18Fp8KVCacheDataTypeE0ES0_Li16ELi64ELi256ELb1ELi9EL8MFMAType0EEvPKT_PKT0_S9_ifPKiSB_SB_iPKfiiiPfSE_PS4_PT2_iSD_SD_
	.globl	_Z39paged_attention_ll4mi_QKV_mfma16_kernelI14__hip_bfloat16S0_LN4vllm18Fp8KVCacheDataTypeE0ES0_Li16ELi64ELi256ELb1ELi9EL8MFMAType0EEvPKT_PKT0_S9_ifPKiSB_SB_iPKfiiiPfSE_PS4_PT2_iSD_SD_
	.p2align	8
	.type	_Z39paged_attention_ll4mi_QKV_mfma16_kernelI14__hip_bfloat16S0_LN4vllm18Fp8KVCacheDataTypeE0ES0_Li16ELi64ELi256ELb1ELi9EL8MFMAType0EEvPKT_PKT0_S9_ifPKiSB_SB_iPKfiiiPfSE_PS4_PT2_iSD_SD_,@function
_Z39paged_attention_ll4mi_QKV_mfma16_kernelI14__hip_bfloat16S0_LN4vllm18Fp8KVCacheDataTypeE0ES0_Li16ELi64ELi256ELb1ELi9EL8MFMAType0EEvPKT_PKT0_S9_ifPKiSB_SB_iPKfiiiPfSE_PS4_PT2_iSD_SD_: ; @_Z39paged_attention_ll4mi_QKV_mfma16_kernelI14__hip_bfloat16S0_LN4vllm18Fp8KVCacheDataTypeE0ES0_Li16ELi64ELi256ELb1ELi9EL8MFMAType0EEvPKT_PKT0_S9_ifPKiSB_SB_iPKfiiiPfSE_PS4_PT2_iSD_SD_
; %bb.0:
	s_load_b64 s[2:3], s[0:1], 0x30
	s_mov_b32 s34, s13
	s_waitcnt lgkmcnt(0)
	s_cmp_lg_u64 s[2:3], 0
	s_cselect_b32 s6, -1, 0
	s_ashr_i32 s35, s13, 31
	s_cmp_eq_u64 s[2:3], 0
	s_cbranch_scc1 .LBB450_3
; %bb.1:
	s_lshl_b64 s[4:5], s[34:35], 2
	s_delay_alu instid0(SALU_CYCLE_1) | instskip(SKIP_4) | instid1(SALU_CYCLE_1)
	s_add_u32 s4, s2, s4
	s_addc_u32 s5, s3, s5
	s_load_b64 s[4:5], s[4:5], 0x0
	s_waitcnt lgkmcnt(0)
	s_sub_i32 s4, s5, s4
	s_cmp_eq_u32 s4, 1
	s_cselect_b32 s4, -1, 0
	s_delay_alu instid0(SALU_CYCLE_1)
	s_and_not1_b32 vcc_lo, exec_lo, s4
	s_cbranch_vccz .LBB450_4
.LBB450_2:
	s_nop 0
	s_sendmsg sendmsg(MSG_DEALLOC_VGPRS)
	s_endpgm
.LBB450_3:
.LBB450_4:
	s_load_b64 s[8:9], s[0:1], 0x28
	s_lshl_b64 s[4:5], s[34:35], 2
	s_waitcnt lgkmcnt(0)
	s_add_u32 s8, s8, s4
	s_addc_u32 s9, s9, s5
	s_lshl_b32 s33, s14, 8
	s_load_b32 s30, s[8:9], 0x0
	s_waitcnt lgkmcnt(0)
	s_cmp_ge_i32 s33, s30
	s_cbranch_scc1 .LBB450_2
; %bb.5:
	s_clause 0x1
	s_load_b128 s[8:11], s[0:1], 0x8
	s_load_b64 s[12:13], s[0:1], 0x20
	s_and_not1_b32 vcc_lo, exec_lo, s6
	s_cbranch_vccnz .LBB450_7
; %bb.6:
	s_add_u32 s2, s2, s4
	s_addc_u32 s3, s3, s5
	s_load_b32 s3, s[2:3], 0x0
	s_branch .LBB450_8
.LBB450_7:
	s_mov_b32 s3, s34
.LBB450_8:
	s_load_b128 s[4:7], s[0:1], 0x48
	v_lshrrev_b32_e32 v149, 5, v0
	v_bfe_u32 v146, v0, 4, 1
	v_and_b32_e32 v148, 15, v0
	v_and_b32_e32 v150, 31, v0
	v_and_b32_e32 v147, 1, v0
	s_mul_i32 s31, s15, 9
	v_lshl_or_b32 v1, v149, 1, v146
	v_lshlrev_b32_e32 v2, 3, v148
	v_cmp_gt_u32_e64 s2, 8, v148
	s_delay_alu instid0(VALU_DEP_3) | instskip(NEXT) | instid1(VALU_DEP_3)
	v_cmp_gt_u32_e32 vcc_lo, 9, v1
	v_lshlrev_b32_e32 v145, 1, v2
	s_delay_alu instid0(VALU_DEP_3)
	s_and_b32 s16, s2, vcc_lo
	s_waitcnt lgkmcnt(0)
	s_and_saveexec_b32 s7, s16
	s_cbranch_execz .LBB450_10
; %bb.9:
	s_load_b64 s[16:17], s[0:1], 0x0
	v_add_lshl_u32 v2, v1, s31, 6
	s_mul_hi_i32 s19, s3, s4
	s_mul_i32 s18, s3, s4
	v_lshlrev_b32_e32 v6, 10, v148
	s_lshl_b64 s[18:19], s[18:19], 1
	v_ashrrev_i32_e32 v3, 31, v2
	v_lshlrev_b32_e32 v1, 6, v1
	v_lshlrev_b32_e32 v7, 10, v147
	v_and_b32_e32 v6, 0x3800, v6
	s_delay_alu instid0(VALU_DEP_4) | instskip(NEXT) | instid1(VALU_DEP_2)
	v_lshlrev_b64 v[2:3], 1, v[2:3]
	v_or3_b32 v1, v6, v7, v1
	s_waitcnt lgkmcnt(0)
	s_add_u32 s3, s16, s18
	s_addc_u32 s4, s17, s19
	s_delay_alu instid0(VALU_DEP_2) | instskip(SKIP_1) | instid1(VALU_DEP_2)
	v_add_co_u32 v2, vcc_lo, s3, v2
	v_add_co_ci_u32_e32 v3, vcc_lo, s4, v3, vcc_lo
	v_add_co_u32 v2, vcc_lo, v2, v145
	s_delay_alu instid0(VALU_DEP_2)
	v_add_co_ci_u32_e32 v3, vcc_lo, 0, v3, vcc_lo
	global_load_b128 v[2:5], v[2:3], off
	s_waitcnt vmcnt(0)
	ds_store_b128 v1, v[2:5]
.LBB450_10:
	s_or_b32 exec_lo, exec_lo, s7
	s_mov_b32 s40, 0
	s_add_i32 s3, s30, 15
	s_mov_b32 s41, s40
	s_mov_b32 s42, s40
	;; [unrolled: 1-line block ×7, first 2 shown]
	s_delay_alu instid0(SALU_CYCLE_1)
	v_dual_mov_b32 v144, s47 :: v_dual_and_b32 v1, 0xef, v0
	v_mov_b32_e32 v142, s45
	s_ashr_i32 s7, s3, 31
	s_clause 0x1
	s_load_b32 s4, s[0:1], 0x38
	s_load_b32 s35, s[0:1], 0x1c
	v_add_nc_u32_e32 v1, s33, v1
	s_lshr_b32 s7, s7, 28
	s_waitcnt lgkmcnt(0)
	s_add_i32 s3, s3, s7
	s_barrier
	v_ashrrev_i32_e32 v2, 31, v1
	v_or_b32_e32 v3, 16, v1
	s_ashr_i32 s3, s3, 4
	v_cmp_gt_i32_e32 vcc_lo, s30, v1
	s_add_i32 s3, s3, -1
	v_lshrrev_b32_e32 v2, 28, v2
	v_mov_b32_e32 v143, s46
	buffer_gl0_inv
	s_mul_i32 s6, s15, s6
	v_add_nc_u32_e32 v21, -9, v148
	v_dual_mov_b32 v141, s44 :: v_dual_add_nc_u32 v4, v1, v2
	v_mov_b32_e32 v139, s42
	s_mul_i32 s16, s34, s4
	v_mov_b32_e32 v137, s40
	s_delay_alu instid0(VALU_DEP_3)
	v_ashrrev_i32_e32 v4, 4, v4
	v_add_nc_u32_e32 v2, v3, v2
	v_lshlrev_b32_e32 v22, 5, v148
	s_ashr_i32 s17, s16, 31
	v_mov_b32_e32 v140, s43
	v_cndmask_b32_e32 v1, s3, v4, vcc_lo
	v_ashrrev_i32_e32 v2, 4, v2
	v_cmp_gt_i32_e32 vcc_lo, s30, v3
	s_lshl_b64 s[16:17], s[16:17], 2
	v_lshl_or_b32 v22, v149, 9, v22
	s_add_u32 s4, s12, s16
	s_addc_u32 s36, s13, s17
	v_cndmask_b32_e32 v3, s3, v2, vcc_lo
	v_ashrrev_i32_e32 v2, 31, v1
	s_ashr_i32 s7, s6, 31
	v_mov_b32_e32 v138, s41
	s_lshl_b64 s[6:7], s[6:7], 1
	v_ashrrev_i32_e32 v4, 31, v3
	v_lshlrev_b64 v[1:2], 2, v[1:2]
	s_add_u32 s24, s8, s6
	s_addc_u32 s25, s9, s7
	s_lshl_b32 s8, s14, 4
	v_lshlrev_b64 v[3:4], 2, v[3:4]
	s_ashr_i32 s9, s8, 31
	v_add_co_u32 v1, vcc_lo, s4, v1
	v_add_co_ci_u32_e32 v2, vcc_lo, s36, v2, vcc_lo
	s_delay_alu instid0(VALU_DEP_3) | instskip(NEXT) | instid1(VALU_DEP_4)
	v_add_co_u32 v3, vcc_lo, s4, v3
	v_add_co_ci_u32_e32 v4, vcc_lo, s36, v4, vcc_lo
	s_clause 0x1
	global_load_b32 v5, v[1:2], off
	global_load_b32 v6, v[3:4], off
	s_lshl_b64 s[8:9], s[8:9], 2
	v_lshlrev_b32_e32 v3, 4, v0
	s_add_u32 s8, s4, s8
	s_addc_u32 s9, s36, s9
	s_or_b32 s12, s33, 16
	s_delay_alu instid0(SALU_CYCLE_1) | instskip(SKIP_2) | instid1(SALU_CYCLE_1)
	s_ashr_i32 s13, s12, 4
	s_cmp_lt_i32 s12, s30
	s_cselect_b32 s12, s13, s3
	s_ashr_i32 s13, s12, 31
	s_delay_alu instid0(SALU_CYCLE_1) | instskip(NEXT) | instid1(SALU_CYCLE_1)
	s_lshl_b64 s[12:13], s[12:13], 2
	s_add_u32 s12, s4, s12
	s_addc_u32 s13, s36, s13
	s_or_b32 s15, s33, 32
	s_delay_alu instid0(SALU_CYCLE_1) | instskip(SKIP_2) | instid1(SALU_CYCLE_1)
	s_ashr_i32 s16, s15, 4
	s_cmp_lt_i32 s15, s30
	s_cselect_b32 s16, s16, s3
	s_ashr_i32 s17, s16, 31
	s_delay_alu instid0(SALU_CYCLE_1) | instskip(NEXT) | instid1(SALU_CYCLE_1)
	s_lshl_b64 s[16:17], s[16:17], 2
	;; [unrolled: 10-line block ×5, first 2 shown]
	s_add_u32 s22, s4, s22
	s_addc_u32 s23, s36, s23
	s_clause 0x5
	s_load_b32 s8, s[8:9], 0x0
	s_load_b32 s12, s[12:13], 0x0
	;; [unrolled: 1-line block ×6, first 2 shown]
	s_waitcnt lgkmcnt(0)
	s_mul_hi_i32 s17, s16, s5
	s_mul_i32 s16, s16, s5
	s_waitcnt vmcnt(1)
	v_mad_i64_i32 v[1:2], null, v5, s5, 0
	v_and_b32_e32 v5, 0xf0, v3
	s_waitcnt vmcnt(0)
	v_mad_i64_i32 v[3:4], null, v6, s5, 0
	s_delay_alu instid0(VALU_DEP_2) | instskip(NEXT) | instid1(VALU_DEP_4)
	v_add_co_u32 v5, s9, s24, v5
	v_lshlrev_b64 v[1:2], 1, v[1:2]
	v_add_co_ci_u32_e64 v6, null, s25, 0, s9
	s_delay_alu instid0(VALU_DEP_4) | instskip(SKIP_1) | instid1(VALU_DEP_3)
	v_lshlrev_b64 v[3:4], 1, v[3:4]
	s_or_b32 s9, s33, 0x60
	v_add_co_u32 v19, vcc_lo, v5, v1
	s_delay_alu instid0(VALU_DEP_3) | instskip(NEXT) | instid1(VALU_DEP_3)
	v_add_co_ci_u32_e32 v20, vcc_lo, v6, v2, vcc_lo
	v_add_co_u32 v17, vcc_lo, v5, v3
	s_delay_alu instid0(VALU_DEP_4)
	v_add_co_ci_u32_e32 v18, vcc_lo, v6, v4, vcc_lo
	s_clause 0x9
	global_load_b128 v[1:4], v[19:20], off
	global_load_b128 v[5:8], v[19:20], off offset:256
	global_load_b128 v[129:132], v[17:18], off
	global_load_b128 v[133:136], v[17:18], off offset:256
	global_load_b128 v[33:36], v[19:20], off offset:512
	;; [unrolled: 1-line block ×7, first 2 shown]
	v_cmp_gt_u32_e32 vcc_lo, 9, v148
	s_clause 0x1
	global_load_b128 v[151:154], v[17:18], off offset:1024
	global_load_b128 v[155:158], v[17:18], off offset:1280
	s_ashr_i32 s13, s9, 4
	s_cmp_lt_i32 s9, s30
	v_cndmask_b32_e32 v21, v21, v148, vcc_lo
	s_cselect_b32 s22, s13, s3
	s_delay_alu instid0(SALU_CYCLE_1) | instskip(NEXT) | instid1(VALU_DEP_1)
	s_ashr_i32 s23, s22, 31
	v_lshlrev_b32_e32 v197, 6, v21
	ds_load_b128 v[159:162], v197
	ds_load_b128 v[163:166], v197 offset:1024
	s_clause 0x3
	global_load_b128 v[167:170], v[19:20], off offset:1536
	global_load_b128 v[171:174], v[19:20], off offset:1792
	;; [unrolled: 1-line block ×4, first 2 shown]
	s_lshl_b64 s[22:23], s[22:23], 2
	s_delay_alu instid0(SALU_CYCLE_1) | instskip(SKIP_2) | instid1(SALU_CYCLE_1)
	s_add_u32 s22, s4, s22
	s_addc_u32 s23, s36, s23
	s_or_b32 s9, s33, 0x70
	s_ashr_i32 s13, s9, 4
	s_cmp_lt_i32 s9, s30
	s_cselect_b32 s24, s13, s3
	s_delay_alu instid0(SALU_CYCLE_1) | instskip(NEXT) | instid1(SALU_CYCLE_1)
	s_ashr_i32 s25, s24, 31
	s_lshl_b64 s[24:25], s[24:25], 2
	s_delay_alu instid0(SALU_CYCLE_1)
	s_add_u32 s24, s4, s24
	s_addc_u32 s25, s36, s25
	s_or_b32 s9, s33, 0x80
	s_load_b32 s46, s[24:25], 0x0
	s_ashr_i32 s13, s9, 4
	s_cmp_lt_i32 s9, s30
	s_cselect_b32 s26, s13, s3
	s_delay_alu instid0(SALU_CYCLE_1) | instskip(NEXT) | instid1(SALU_CYCLE_1)
	s_ashr_i32 s27, s26, 31
	s_lshl_b64 s[26:27], s[26:27], 2
	s_delay_alu instid0(SALU_CYCLE_1)
	s_add_u32 s26, s4, s26
	s_addc_u32 s27, s36, s27
	s_or_b32 s9, s33, 0x90
	s_load_b32 s47, s[26:27], 0x0
	s_ashr_i32 s13, s9, 4
	s_cmp_lt_i32 s9, s30
	s_cselect_b32 s28, s13, s3
	s_delay_alu instid0(SALU_CYCLE_1) | instskip(NEXT) | instid1(SALU_CYCLE_1)
	s_ashr_i32 s29, s28, 31
	s_lshl_b64 s[28:29], s[28:29], 2
	s_delay_alu instid0(SALU_CYCLE_1) | instskip(SKIP_2) | instid1(SALU_CYCLE_1)
	s_add_u32 s28, s4, s28
	s_addc_u32 s29, s36, s29
	s_or_b32 s9, s33, 0xa0
	s_ashr_i32 s13, s9, 4
	s_cmp_lt_i32 s9, s30
	s_cselect_b32 s38, s13, s3
	s_delay_alu instid0(SALU_CYCLE_1) | instskip(NEXT) | instid1(SALU_CYCLE_1)
	s_ashr_i32 s39, s38, 31
	s_lshl_b64 s[38:39], s[38:39], 2
	s_delay_alu instid0(SALU_CYCLE_1)
	s_add_u32 s38, s4, s38
	s_addc_u32 s39, s36, s39
	s_or_b32 s9, s33, 0xb0
	s_load_b32 s39, s[38:39], 0x0
	s_ashr_i32 s13, s9, 4
	s_cmp_lt_i32 s9, s30
	s_mul_hi_i32 s9, s8, s5
	s_cselect_b32 s40, s13, s3
	s_mul_i32 s8, s8, s5
	s_ashr_i32 s41, s40, 31
	s_mul_hi_i32 s13, s12, s5
	s_lshl_b64 s[40:41], s[40:41], 2
	s_mul_i32 s12, s12, s5
	s_add_u32 s42, s4, s40
	s_addc_u32 s43, s36, s41
	s_or_b32 s19, s33, 0xc0
	s_delay_alu instid0(SALU_CYCLE_1)
	s_ashr_i32 s21, s19, 4
	s_cmp_lt_i32 s19, s30
	s_mul_hi_i32 s19, s18, s5
	s_cselect_b32 s40, s21, s3
	s_mul_i32 s18, s18, s5
	s_ashr_i32 s41, s40, 31
	s_mul_hi_i32 s21, s20, s5
	s_lshl_b64 s[40:41], s[40:41], 2
	s_mul_i32 s20, s20, s5
	s_add_u32 s44, s4, s40
	s_load_b32 s40, s[28:29], 0x0
	s_addc_u32 s45, s36, s41
	s_or_b32 s37, s33, 0xd0
	s_load_b32 s41, s[22:23], 0x0
	s_ashr_i32 s22, s37, 4
	s_cmp_lt_i32 s37, s30
	s_mul_hi_i32 s23, s15, s5
	s_cselect_b32 s24, s22, s3
	s_mul_i32 s22, s15, s5
	s_ashr_i32 s25, s24, 31
	s_waitcnt lgkmcnt(0)
	s_mul_hi_i32 s27, s46, s5
	s_lshl_b64 s[24:25], s[24:25], 2
	s_mul_i32 s26, s46, s5
	s_add_u32 s24, s4, s24
	s_addc_u32 s25, s36, s25
	s_or_b32 s48, s33, 0xe0
	s_clause 0x2
	s_load_b32 s38, s[42:43], 0x0
	s_load_b32 s37, s[44:45], 0x0
	;; [unrolled: 1-line block ×3, first 2 shown]
	s_ashr_i32 s49, s48, 4
	s_cmp_lt_i32 s48, s30
	s_mul_hi_i32 s29, s47, s5
	s_cselect_b32 s42, s49, s3
	s_mul_i32 s28, s47, s5
	s_ashr_i32 s43, s42, 31
	s_mul_hi_i32 s25, s41, s5
	s_lshl_b64 s[42:43], s[42:43], 2
	s_mul_i32 s24, s41, s5
	s_add_u32 s42, s4, s42
	s_addc_u32 s43, s36, s43
	s_or_b32 s46, s33, 0xf0
	s_mul_hi_i32 s41, s40, s5
	s_ashr_i32 s47, s46, 4
	s_cmp_lt_i32 s46, s30
	s_mul_i32 s40, s40, s5
	s_cselect_b32 s46, s47, s3
	s_mul_hi_i32 s45, s39, s5
	s_ashr_i32 s47, s46, 31
	s_mul_i32 s44, s39, s5
	s_lshl_b64 s[46:47], s[46:47], 2
	s_waitcnt lgkmcnt(0)
	s_mul_hi_i32 s39, s38, s5
	s_add_u32 s46, s4, s46
	s_addc_u32 s47, s36, s47
	s_add_u32 s3, s10, s6
	s_addc_u32 s4, s11, s7
	v_add_co_u32 v195, s3, s3, v22
	s_delay_alu instid0(VALU_DEP_1) | instskip(SKIP_2) | instid1(VALU_DEP_2)
	v_add_co_ci_u32_e64 v196, null, s4, 0, s3
	s_lshl_b64 s[6:7], s[8:9], 1
	s_lshl_b64 s[8:9], s[12:13], 1
	v_add_co_u32 v17, vcc_lo, v195, s6
	s_delay_alu instid0(VALU_DEP_2)
	v_add_co_ci_u32_e32 v18, vcc_lo, s7, v196, vcc_lo
	v_add_co_u32 v19, vcc_lo, v195, s8
	s_lshl_b64 s[10:11], s[16:17], 1
	v_add_co_ci_u32_e32 v20, vcc_lo, s9, v196, vcc_lo
	v_add_co_u32 v21, vcc_lo, v195, s10
	s_lshl_b64 s[12:13], s[18:19], 1
	;; [unrolled: 3-line block ×9, first 2 shown]
	s_mul_i32 s38, s38, s5
	v_add_co_ci_u32_e32 v54, vcc_lo, s27, v196, vcc_lo
	v_add_co_u32 v183, vcc_lo, v195, s28
	s_mul_hi_i32 s49, s37, s5
	s_mul_i32 s48, s37, s5
	s_lshl_b64 s[36:37], s[38:39], 1
	v_add_co_ci_u32_e32 v184, vcc_lo, s29, v196, vcc_lo
	v_add_co_u32 v185, vcc_lo, v195, s36
	s_lshl_b64 s[38:39], s[48:49], 1
	s_clause 0x1
	s_load_b32 s3, s[42:43], 0x0
	s_load_b32 s4, s[46:47], 0x0
	v_add_co_ci_u32_e32 v186, vcc_lo, s37, v196, vcc_lo
	v_add_co_u32 v191, vcc_lo, v195, s38
	v_add_co_ci_u32_e32 v192, vcc_lo, s39, v196, vcc_lo
	s_clause 0x17
	global_load_b128 v[121:124], v[17:18], off
	global_load_b128 v[125:128], v[17:18], off offset:16
	global_load_b128 v[113:116], v[19:20], off
	global_load_b128 v[117:120], v[19:20], off offset:16
	;; [unrolled: 2-line block ×12, first 2 shown]
	s_mul_hi_i32 s51, s15, s5
	s_mul_i32 s50, s15, s5
	s_delay_alu instid0(SALU_CYCLE_1) | instskip(NEXT) | instid1(SALU_CYCLE_1)
	s_lshl_b64 s[40:41], s[50:51], 1
	v_add_co_u32 v193, vcc_lo, v195, s40
	v_add_co_ci_u32_e32 v194, vcc_lo, s41, v196, vcc_lo
	s_waitcnt lgkmcnt(0)
	s_mul_hi_i32 s7, s3, s5
	s_mul_i32 s6, s3, s5
	s_mul_hi_i32 s9, s4, s5
	s_lshl_b64 s[6:7], s[6:7], 1
	s_mul_i32 s8, s4, s5
	s_delay_alu instid0(SALU_CYCLE_1)
	s_lshl_b64 s[4:5], s[8:9], 1
	s_waitcnt vmcnt(38)
	v_wmma_f32_16x16x16_bf16 v[183:190], v[1:8], v[159:166], v[137:144]
	s_waitcnt vmcnt(36)
	v_wmma_f32_16x16x16_bf16 v[137:144], v[129:136], v[159:166], v[137:144]
	s_clause 0x1
	global_load_b128 v[1:4], v[191:192], off
	global_load_b128 v[5:8], v[191:192], off offset:16
	ds_load_b128 v[129:132], v197 offset:2048
	ds_load_b128 v[133:136], v197 offset:3072
	;; [unrolled: 1-line block ×4, first 2 shown]
	v_add_co_u32 v191, vcc_lo, v195, s6
	v_add_co_ci_u32_e32 v192, vcc_lo, s7, v196, vcc_lo
	v_add_co_u32 v195, vcc_lo, v195, s4
	v_add_co_ci_u32_e32 v196, vcc_lo, s5, v196, vcc_lo
	s_waitcnt vmcnt(36) lgkmcnt(2)
	v_wmma_f32_16x16x16_bf16 v[183:190], v[33:40], v[129:136], v[183:190]
	s_waitcnt vmcnt(34)
	v_wmma_f32_16x16x16_bf16 v[137:144], v[25:32], v[129:136], v[137:144]
	s_clause 0x3
	global_load_b128 v[25:28], v[193:194], off
	global_load_b128 v[29:32], v[193:194], off offset:16
	global_load_b128 v[33:36], v[191:192], off
	global_load_b128 v[37:40], v[191:192], off offset:16
	v_and_b32_e32 v129, 0xe0, v0
	v_mbcnt_lo_u32_b32 v191, -1, 0
	s_waitcnt vmcnt(36) lgkmcnt(0)
	v_wmma_f32_16x16x16_bf16 v[183:190], v[9:16], v[159:166], v[183:190]
	s_clause 0x1
	global_load_b128 v[9:12], v[195:196], off
	global_load_b128 v[13:16], v[195:196], off offset:16
	s_waitcnt vmcnt(36)
	v_wmma_f32_16x16x16_bf16 v[137:144], v[151:158], v[159:166], v[137:144]
	v_add_nc_u32_e32 v192, s33, v129
	ds_load_b128 v[129:132], v197 offset:6144
	ds_load_b128 v[133:136], v197 offset:7168
	v_xor_b32_e32 v151, 16, v191
	s_waitcnt vmcnt(0) lgkmcnt(0)
	s_barrier
	v_or_b32_e32 v152, v192, v146
	buffer_gl0_inv
	v_cmp_gt_i32_e32 vcc_lo, 32, v151
	v_or_b32_e32 v153, 2, v152
	v_or_b32_e32 v154, 4, v152
	;; [unrolled: 1-line block ×5, first 2 shown]
	v_cmp_gt_i32_e64 s3, s30, v153
	v_cmp_gt_i32_e64 s4, s30, v154
	;; [unrolled: 1-line block ×3, first 2 shown]
	v_or_b32_e32 v158, 12, v152
	v_or_b32_e32 v159, 14, v152
	v_cmp_gt_i32_e64 s6, s30, v156
	v_wmma_f32_16x16x16_bf16 v[183:190], v[167:174], v[129:136], v[183:190]
	v_wmma_f32_16x16x16_bf16 v[137:144], v[175:182], v[129:136], v[137:144]
	v_cndmask_b32_e32 v151, v191, v151, vcc_lo
	v_cmp_gt_i32_e32 vcc_lo, s30, v152
	v_cmp_gt_i32_e64 s7, s30, v157
	v_dual_mul_f32 v135, s35, v184 :: v_dual_mul_f32 v136, s35, v183
	v_dual_mul_f32 v133, s35, v186 :: v_dual_mul_f32 v134, s35, v185
	;; [unrolled: 1-line block ×3, first 2 shown]
	s_delay_alu instid0(VALU_DEP_3) | instskip(NEXT) | instid1(VALU_DEP_4)
	v_cndmask_b32_e32 v136, 0xff7fffff, v136, vcc_lo
	v_cndmask_b32_e64 v135, 0xff7fffff, v135, s3
	v_mul_f32_e32 v132, s35, v187
	v_cndmask_b32_e64 v134, 0xff7fffff, v134, s4
	v_cndmask_b32_e64 v133, 0xff7fffff, v133, s5
	v_or_b32_e32 v160, 16, v152
	v_max3_f32 v135, v136, 0xff7fffff, v135
	v_or_b32_e32 v161, 18, v152
	v_mul_f32_e32 v130, s35, v189
	v_dual_mul_f32 v172, s35, v140 :: v_dual_mul_f32 v129, s35, v190
	v_cndmask_b32_e64 v132, 0xff7fffff, v132, s6
	v_cndmask_b32_e64 v131, 0xff7fffff, v131, s7
	v_max3_f32 v133, v135, v134, v133
	v_cmp_gt_i32_e64 s8, s30, v158
	v_lshlrev_b32_e32 v158, 2, v151
	v_cmp_gt_i32_e64 s9, s30, v159
	v_or_b32_e32 v162, 20, v152
	v_or_b32_e32 v163, 22, v152
	v_mul_f32_e32 v175, s35, v137
	v_cndmask_b32_e64 v130, 0xff7fffff, v130, s8
	v_cndmask_b32_e64 v129, 0xff7fffff, v129, s9
	v_max3_f32 v131, v133, v132, v131
	v_cmp_gt_i32_e64 s10, s30, v160
	v_cmp_gt_i32_e64 s11, s30, v161
	v_or_b32_e32 v164, 24, v152
	v_or_b32_e32 v165, 26, v152
	v_mul_f32_e32 v173, s35, v139
	v_cndmask_b32_e64 v132, 0xff7fffff, v175, s10
	v_cndmask_b32_e64 v133, 0xff7fffff, v174, s11
	v_max3_f32 v129, v131, v130, v129
	v_cmp_gt_i32_e64 s12, s30, v162
	v_cmp_gt_i32_e64 s13, s30, v163
	v_or_b32_e32 v166, 28, v152
	v_or_b32_e32 v167, 30, v152
	v_dual_mul_f32 v170, s35, v142 :: v_dual_mul_f32 v171, s35, v141
	v_cndmask_b32_e64 v130, 0xff7fffff, v173, s12
	v_cndmask_b32_e64 v131, 0xff7fffff, v172, s13
	v_max3_f32 v129, v129, v132, v133
	v_cmp_gt_i32_e64 s15, s30, v164
	v_cmp_gt_i32_e64 s16, s30, v165
	v_dual_mul_f32 v168, s35, v144 :: v_dual_mul_f32 v169, s35, v143
	s_delay_alu instid0(VALU_DEP_4) | instskip(NEXT) | instid1(VALU_DEP_4)
	v_max3_f32 v129, v129, v130, v131
	v_cndmask_b32_e64 v132, 0xff7fffff, v171, s15
	s_delay_alu instid0(VALU_DEP_4) | instskip(SKIP_2) | instid1(VALU_DEP_3)
	v_cndmask_b32_e64 v133, 0xff7fffff, v170, s16
	v_cmp_gt_i32_e64 s17, s30, v166
	v_cmp_gt_i32_e64 s18, s30, v167
	v_max3_f32 v129, v129, v132, v133
	s_delay_alu instid0(VALU_DEP_3) | instskip(NEXT) | instid1(VALU_DEP_3)
	v_cndmask_b32_e64 v130, 0xff7fffff, v169, s17
	v_cndmask_b32_e64 v131, 0xff7fffff, v168, s18
	s_delay_alu instid0(VALU_DEP_1) | instskip(SKIP_3) | instid1(VALU_DEP_1)
	v_max3_f32 v129, v129, v130, v131
	ds_bpermute_b32 v130, v158, v129
	s_waitcnt lgkmcnt(0)
	v_max_f32_e32 v130, v130, v130
	v_max_f32_e32 v129, v129, v130
	s_delay_alu instid0(VALU_DEP_1)
	v_fma_f32 v130, s35, v183, -v129
	v_fma_f32 v132, s35, v185, -v129
	;; [unrolled: 1-line block ×5, first 2 shown]
	v_mul_f32_e32 v130, 0x3fb8aa3b, v130
	v_mul_f32_e32 v132, 0x3fb8aa3b, v132
	v_mul_f32_e32 v134, 0x3fb8aa3b, v134
	v_fma_f32 v135, s35, v189, -v129
	s_delay_alu instid0(VALU_DEP_4) | instskip(NEXT) | instid1(VALU_DEP_3)
	v_exp_f32_e32 v130, v130
	v_exp_f32_e32 v132, v132
	s_delay_alu instid0(VALU_DEP_2) | instskip(NEXT) | instid1(TRANS32_DEP_3)
	v_exp_f32_e32 v134, v134
	v_cndmask_b32_e32 v152, 0, v130, vcc_lo
	v_fma_f32 v130, s35, v188, -v129
	s_waitcnt_depctr 0xfff
	v_cndmask_b32_e64 v153, 0, v132, s4
	v_fma_f32 v132, s35, v190, -v129
	v_mul_f32_e32 v131, 0x3fb8aa3b, v131
	v_cndmask_b32_e64 v155, 0, v134, s6
	v_dual_mul_f32 v130, 0x3fb8aa3b, v130 :: v_dual_mul_f32 v133, 0x3fb8aa3b, v133
	s_delay_alu instid0(VALU_DEP_4) | instskip(NEXT) | instid1(VALU_DEP_4)
	v_mul_f32_e32 v132, 0x3fb8aa3b, v132
	v_exp_f32_e32 v131, v131
	v_fma_f32 v134, s35, v138, -v129
	s_delay_alu instid0(VALU_DEP_3) | instskip(SKIP_2) | instid1(VALU_DEP_1)
	v_exp_f32_e32 v130, v130
	v_exp_f32_e32 v133, v133
	;; [unrolled: 1-line block ×3, first 2 shown]
	v_mul_f32_e32 v134, 0x3fb8aa3b, v134
	v_cndmask_b32_e64 v151, 0, v131, s3
	v_add_f32_e32 v131, 0, v152
	s_delay_alu instid0(TRANS32_DEP_3)
	v_cndmask_b32_e64 v156, 0, v130, s7
	s_waitcnt_depctr 0xfff
	v_cndmask_b32_e64 v154, 0, v133, s5
	v_fma_f32 v133, s35, v137, -v129
	v_exp_f32_e32 v134, v134
	v_add_f32_e32 v131, v131, v151
	v_cmp_gt_u32_e64 s3, 16, v150
	s_delay_alu instid0(VALU_DEP_2) | instskip(NEXT) | instid1(VALU_DEP_1)
	v_add_f32_e32 v131, v131, v153
	v_add_f32_e32 v131, v131, v154
	s_delay_alu instid0(VALU_DEP_1) | instskip(SKIP_2) | instid1(VALU_DEP_3)
	v_add_f32_e32 v130, v131, v155
	v_fma_f32 v131, s35, v139, -v129
	v_fma_f32 v139, s35, v144, -v129
	v_dual_add_f32 v130, v130, v156 :: v_dual_mul_f32 v135, 0x3fb8aa3b, v135
	s_delay_alu instid0(VALU_DEP_1)
	v_exp_f32_e32 v135, v135
	s_waitcnt_depctr 0xfff
	v_cndmask_b32_e64 v157, 0, v135, s8
	v_fma_f32 v135, s35, v140, -v129
	v_cndmask_b32_e64 v140, 0, v132, s9
	v_fma_f32 v132, s35, v141, -v129
	s_delay_alu instid0(VALU_DEP_1) | instskip(SKIP_1) | instid1(VALU_DEP_2)
	v_dual_add_f32 v130, v130, v157 :: v_dual_mul_f32 v137, 0x3fb8aa3b, v132
	v_cndmask_b32_e64 v132, 0, v134, s11
	v_dual_add_f32 v130, v130, v140 :: v_dual_mul_f32 v133, 0x3fb8aa3b, v133
	v_mul_f32_e32 v131, 0x3fb8aa3b, v131
	v_fma_f32 v134, s35, v143, -v129
	v_mul_f32_e32 v135, 0x3fb8aa3b, v135
	s_delay_alu instid0(VALU_DEP_4) | instskip(NEXT) | instid1(VALU_DEP_3)
	v_exp_f32_e32 v133, v133
	v_exp_f32_e32 v136, v131
	s_waitcnt_depctr 0xfff
	v_cndmask_b32_e64 v131, 0, v133, s10
	v_fma_f32 v133, s35, v142, -v129
	s_delay_alu instid0(VALU_DEP_2) | instskip(NEXT) | instid1(VALU_DEP_2)
	v_add_f32_e32 v130, v130, v131
	v_mul_f32_e32 v138, 0x3fb8aa3b, v133
	v_cndmask_b32_e64 v133, 0, v136, s12
	v_mul_f32_e32 v136, 0x3fb8aa3b, v134
	v_exp_f32_e32 v135, v135
	v_add_f32_e32 v130, v130, v132
	v_exp_f32_e32 v138, v138
	s_delay_alu instid0(VALU_DEP_2) | instskip(NEXT) | instid1(VALU_DEP_1)
	v_exp_f32_e32 v141, v136
	v_add_f32_e32 v130, v130, v133
	v_exp_f32_e32 v137, v137
	v_cndmask_b32_e64 v134, 0, v135, s13
	s_delay_alu instid0(TRANS32_DEP_3) | instskip(NEXT) | instid1(VALU_DEP_2)
	v_cndmask_b32_e64 v136, 0, v138, s16
	v_add_f32_e32 v130, v130, v134
	s_waitcnt_depctr 0xfff
	v_cndmask_b32_e64 v135, 0, v137, s15
	v_mul_f32_e32 v137, 0x3fb8aa3b, v139
	s_delay_alu instid0(VALU_DEP_2) | instskip(NEXT) | instid1(VALU_DEP_2)
	v_add_f32_e32 v130, v130, v135
	v_exp_f32_e32 v138, v137
	v_cndmask_b32_e64 v137, 0, v141, s17
	s_delay_alu instid0(VALU_DEP_2) | instskip(NEXT) | instid1(VALU_DEP_1)
	v_add_f32_e32 v130, v130, v136
	v_add_f32_e32 v130, v130, v137
	s_waitcnt_depctr 0xfff
	v_cndmask_b32_e64 v138, 0, v138, s18
	s_delay_alu instid0(VALU_DEP_1)
	v_add_f32_e32 v130, v130, v138
	ds_bpermute_b32 v139, v158, v130
	s_and_saveexec_b32 s4, s3
	s_cbranch_execz .LBB450_12
; %bb.11:
	v_mul_u32_u24_e32 v141, 0x44, v149
	s_delay_alu instid0(VALU_DEP_1) | instskip(SKIP_1) | instid1(VALU_DEP_1)
	v_lshl_add_u32 v141, v148, 2, v141
	s_waitcnt lgkmcnt(0)
	v_dual_add_f32 v130, v130, v139 :: v_dual_add_nc_u32 v139, 0x4000, v141
	ds_store_2addr_b32 v139, v129, v130 offset1:136
.LBB450_12:
	s_or_b32 exec_lo, exec_lo, s4
	v_lshlrev_b32_e32 v129, 2, v148
	s_waitcnt lgkmcnt(0)
	s_barrier
	buffer_gl0_inv
	v_cmp_eq_u32_e64 s4, 1, v149
	v_add_nc_u32_e32 v139, 0x4000, v129
	ds_load_2addr_b32 v[141:142], v139 offset1:17
	ds_load_2addr_b32 v[143:144], v139 offset0:34 offset1:51
	ds_load_2addr_b32 v[158:159], v139 offset0:68 offset1:85
	;; [unrolled: 1-line block ×4, first 2 shown]
	s_waitcnt lgkmcnt(4)
	v_max3_f32 v129, v141, 0xff7fffff, v142
	s_waitcnt lgkmcnt(3)
	s_delay_alu instid0(VALU_DEP_1) | instskip(SKIP_1) | instid1(VALU_DEP_1)
	v_max3_f32 v129, v129, v143, v144
	s_waitcnt lgkmcnt(2)
	v_max3_f32 v129, v129, v158, v159
	s_waitcnt lgkmcnt(1)
	s_delay_alu instid0(VALU_DEP_1) | instskip(NEXT) | instid1(VALU_DEP_1)
	v_max3_f32 v129, v129, v160, v161
	v_sub_f32_e32 v158, v158, v129
	s_delay_alu instid0(VALU_DEP_1) | instskip(NEXT) | instid1(VALU_DEP_1)
	v_dual_sub_f32 v150, v142, v129 :: v_dual_mul_f32 v167, 0x3fb8aa3b, v158
	v_dual_sub_f32 v143, v143, v129 :: v_dual_mul_f32 v150, 0x3fb8aa3b, v150
	s_delay_alu instid0(VALU_DEP_1) | instskip(NEXT) | instid1(VALU_DEP_2)
	v_dual_sub_f32 v130, v141, v129 :: v_dual_mul_f32 v165, 0x3fb8aa3b, v143
	v_exp_f32_e32 v150, v150
	s_delay_alu instid0(VALU_DEP_1) | instskip(NEXT) | instid1(VALU_DEP_2)
	v_mul_f32_e32 v130, 0x3fb8aa3b, v130
	v_exp_f32_e32 v165, v165
	s_delay_alu instid0(VALU_DEP_1) | instskip(SKIP_1) | instid1(VALU_DEP_1)
	v_exp_f32_e32 v164, v130
	v_sub_f32_e32 v130, v144, v129
	v_mul_f32_e32 v166, 0x3fb8aa3b, v130
	s_waitcnt lgkmcnt(0)
	s_waitcnt_depctr 0xfff
	v_fma_f32 v130, v164, v162, 0
	v_sub_f32_e32 v162, v159, v129
	s_delay_alu instid0(VALU_DEP_2)
	v_fmac_f32_e32 v130, v150, v163
	ds_load_2addr_b32 v[141:142], v139 offset0:170 offset1:187
	ds_load_2addr_b32 v[143:144], v139 offset0:204 offset1:221
	;; [unrolled: 1-line block ×3, first 2 shown]
	v_sub_f32_e32 v139, v160, v129
	v_exp_f32_e32 v166, v166
	v_mul_f32_e32 v160, 0x3fb8aa3b, v162
	v_exp_f32_e32 v162, v167
	v_cndmask_b32_e64 v150, v164, v150, s4
	v_mul_f32_e32 v139, 0x3fb8aa3b, v139
	v_cmp_eq_u32_e64 s4, 2, v149
	s_waitcnt lgkmcnt(0)
	s_barrier
	buffer_gl0_inv
	v_exp_f32_e32 v139, v139
	v_cndmask_b32_e64 v150, v150, v165, s4
	v_cmp_eq_u32_e64 s4, 3, v149
	v_fmac_f32_e32 v130, v165, v141
	v_sub_f32_e32 v141, v161, v129
	v_exp_f32_e32 v160, v160
	s_delay_alu instid0(VALU_DEP_3) | instskip(SKIP_1) | instid1(VALU_DEP_3)
	v_cndmask_b32_e64 v150, v150, v166, s4
	v_cmp_eq_u32_e64 s4, 4, v149
	v_dual_fmac_f32 v130, v166, v142 :: v_dual_mul_f32 v141, 0x3fb8aa3b, v141
	s_delay_alu instid0(VALU_DEP_2) | instskip(SKIP_1) | instid1(VALU_DEP_3)
	v_cndmask_b32_e64 v150, v150, v162, s4
	v_cmp_eq_u32_e64 s4, 5, v149
	v_exp_f32_e32 v141, v141
	s_delay_alu instid0(VALU_DEP_3)
	v_fmac_f32_e32 v130, v162, v143
	s_delay_alu instid0(TRANS32_DEP_2) | instid1(VALU_DEP_2)
	v_cndmask_b32_e64 v150, v150, v160, s4
	s_delay_alu instid0(VALU_DEP_2) | instskip(NEXT) | instid1(VALU_DEP_1)
	v_fmac_f32_e32 v130, v160, v144
	v_fmac_f32_e32 v130, v139, v158
	s_waitcnt_depctr 0xfff
	v_fmac_f32_e32 v130, v141, v159
	s_delay_alu instid0(VALU_DEP_1) | instskip(NEXT) | instid1(VALU_DEP_1)
	v_add_f32_e32 v142, 0x358637bd, v130
	v_div_scale_f32 v143, null, v142, v142, 1.0
	v_div_scale_f32 v159, vcc_lo, 1.0, v142, 1.0
	s_delay_alu instid0(VALU_DEP_2) | instskip(SKIP_2) | instid1(VALU_DEP_1)
	v_rcp_f32_e32 v144, v143
	s_waitcnt_depctr 0xfff
	v_fma_f32 v158, -v143, v144, 1.0
	v_fmac_f32_e32 v144, v158, v144
	s_delay_alu instid0(VALU_DEP_1) | instskip(NEXT) | instid1(VALU_DEP_1)
	v_mul_f32_e32 v158, v159, v144
	v_fma_f32 v161, -v143, v158, v159
	s_delay_alu instid0(VALU_DEP_1) | instskip(NEXT) | instid1(VALU_DEP_1)
	v_fmac_f32_e32 v158, v161, v144
	v_fma_f32 v143, -v143, v158, v159
	s_delay_alu instid0(VALU_DEP_1) | instskip(SKIP_1) | instid1(VALU_DEP_2)
	v_div_fmas_f32 v143, v143, v144, v158
	v_cmp_eq_u32_e32 vcc_lo, 6, v149
	v_div_fixup_f32 v142, v143, v142, 1.0
	v_cndmask_b32_e32 v139, v150, v139, vcc_lo
	v_cmp_eq_u32_e32 vcc_lo, 7, v149
	s_delay_alu instid0(VALU_DEP_2) | instskip(NEXT) | instid1(VALU_DEP_1)
	v_cndmask_b32_e32 v139, v139, v141, vcc_lo
	v_mul_f32_e32 v139, v139, v142
	s_delay_alu instid0(VALU_DEP_1) | instskip(SKIP_4) | instid1(VALU_DEP_4)
	v_mul_f32_e32 v153, v139, v153
	v_mul_f32_e32 v142, v139, v152
	;; [unrolled: 1-line block ×5, first 2 shown]
	v_dual_mul_f32 v152, v139, v155 :: v_dual_and_b32 v141, 0x7f800000, v142
	v_mul_f32_e32 v154, v139, v154
	v_mul_f32_e32 v144, v139, v151
	s_delay_alu instid0(VALU_DEP_3) | instskip(SKIP_1) | instid1(SALU_CYCLE_1)
	v_cmp_ne_u32_e32 vcc_lo, 0x7f800000, v141
                                        ; implicit-def: $vgpr141
	s_and_saveexec_b32 s4, vcc_lo
	s_xor_b32 s4, exec_lo, s4
; %bb.13:
	v_bfe_u32 v141, v142, 16, 1
	s_delay_alu instid0(VALU_DEP_1)
	v_add3_u32 v141, v142, v141, 0x7fff
                                        ; implicit-def: $vgpr142
; %bb.14:
	s_and_not1_saveexec_b32 s4, s4
; %bb.15:
	v_and_b32_e32 v141, 0xffff, v142
	v_or_b32_e32 v151, 0x10000, v142
	s_delay_alu instid0(VALU_DEP_2) | instskip(NEXT) | instid1(VALU_DEP_2)
	v_cmp_eq_u32_e32 vcc_lo, 0, v141
	v_cndmask_b32_e32 v141, v151, v142, vcc_lo
; %bb.16:
	s_or_b32 exec_lo, exec_lo, s4
	v_and_b32_e32 v142, 0x7f800000, v144
	s_delay_alu instid0(VALU_DEP_1) | instskip(SKIP_1) | instid1(SALU_CYCLE_1)
	v_cmp_ne_u32_e32 vcc_lo, 0x7f800000, v142
                                        ; implicit-def: $vgpr142
	s_and_saveexec_b32 s4, vcc_lo
	s_xor_b32 s4, exec_lo, s4
; %bb.17:
	v_bfe_u32 v142, v144, 16, 1
	s_delay_alu instid0(VALU_DEP_1)
	v_add3_u32 v142, v144, v142, 0x7fff
                                        ; implicit-def: $vgpr144
; %bb.18:
	s_and_not1_saveexec_b32 s4, s4
; %bb.19:
	v_and_b32_e32 v142, 0xffff, v144
	v_or_b32_e32 v151, 0x10000, v144
	s_delay_alu instid0(VALU_DEP_2) | instskip(NEXT) | instid1(VALU_DEP_2)
	v_cmp_eq_u32_e32 vcc_lo, 0, v142
	v_cndmask_b32_e32 v142, v151, v144, vcc_lo
; %bb.20:
	s_or_b32 exec_lo, exec_lo, s4
	v_and_b32_e32 v144, 0x7f800000, v153
	s_delay_alu instid0(VALU_DEP_1) | instskip(SKIP_1) | instid1(SALU_CYCLE_1)
	v_cmp_ne_u32_e32 vcc_lo, 0x7f800000, v144
                                        ; implicit-def: $vgpr144
	s_and_saveexec_b32 s4, vcc_lo
	s_xor_b32 s4, exec_lo, s4
; %bb.21:
	v_bfe_u32 v144, v153, 16, 1
	s_delay_alu instid0(VALU_DEP_1)
	v_add3_u32 v144, v153, v144, 0x7fff
                                        ; implicit-def: $vgpr153
; %bb.22:
	s_and_not1_saveexec_b32 s4, s4
; %bb.23:
	v_and_b32_e32 v144, 0xffff, v153
	v_or_b32_e32 v151, 0x10000, v153
	s_delay_alu instid0(VALU_DEP_2) | instskip(NEXT) | instid1(VALU_DEP_2)
	v_cmp_eq_u32_e32 vcc_lo, 0, v144
	v_cndmask_b32_e32 v144, v151, v153, vcc_lo
; %bb.24:
	s_or_b32 exec_lo, exec_lo, s4
	v_and_b32_e32 v151, 0x7f800000, v154
	s_delay_alu instid0(VALU_DEP_1) | instskip(SKIP_1) | instid1(SALU_CYCLE_1)
	v_cmp_ne_u32_e32 vcc_lo, 0x7f800000, v151
                                        ; implicit-def: $vgpr151
	s_and_saveexec_b32 s4, vcc_lo
	s_xor_b32 s4, exec_lo, s4
; %bb.25:
	v_bfe_u32 v151, v154, 16, 1
	s_delay_alu instid0(VALU_DEP_1)
	v_add3_u32 v151, v154, v151, 0x7fff
                                        ; implicit-def: $vgpr154
; %bb.26:
	s_and_not1_saveexec_b32 s4, s4
; %bb.27:
	v_and_b32_e32 v151, 0xffff, v154
	v_or_b32_e32 v153, 0x10000, v154
	s_delay_alu instid0(VALU_DEP_2) | instskip(NEXT) | instid1(VALU_DEP_2)
	v_cmp_eq_u32_e32 vcc_lo, 0, v151
	v_cndmask_b32_e32 v151, v153, v154, vcc_lo
; %bb.28:
	s_or_b32 exec_lo, exec_lo, s4
	v_and_b32_e32 v153, 0x7f800000, v152
	s_delay_alu instid0(VALU_DEP_1) | instskip(SKIP_1) | instid1(SALU_CYCLE_1)
	v_cmp_ne_u32_e32 vcc_lo, 0x7f800000, v153
                                        ; implicit-def: $vgpr153
	s_and_saveexec_b32 s4, vcc_lo
	s_xor_b32 s4, exec_lo, s4
; %bb.29:
	v_bfe_u32 v153, v152, 16, 1
	s_delay_alu instid0(VALU_DEP_1)
	v_add3_u32 v153, v152, v153, 0x7fff
                                        ; implicit-def: $vgpr152
; %bb.30:
	s_and_not1_saveexec_b32 s4, s4
; %bb.31:
	v_and_b32_e32 v153, 0xffff, v152
	v_or_b32_e32 v154, 0x10000, v152
	s_delay_alu instid0(VALU_DEP_2) | instskip(NEXT) | instid1(VALU_DEP_2)
	v_cmp_eq_u32_e32 vcc_lo, 0, v153
	v_cndmask_b32_e32 v153, v154, v152, vcc_lo
; %bb.32:
	s_or_b32 exec_lo, exec_lo, s4
	v_and_b32_e32 v152, 0x7f800000, v150
	s_delay_alu instid0(VALU_DEP_1) | instskip(SKIP_1) | instid1(SALU_CYCLE_1)
	v_cmp_ne_u32_e32 vcc_lo, 0x7f800000, v152
                                        ; implicit-def: $vgpr152
	s_and_saveexec_b32 s4, vcc_lo
	s_xor_b32 s4, exec_lo, s4
; %bb.33:
	v_bfe_u32 v152, v150, 16, 1
	s_delay_alu instid0(VALU_DEP_1)
	v_add3_u32 v152, v150, v152, 0x7fff
                                        ; implicit-def: $vgpr150
; %bb.34:
	s_and_not1_saveexec_b32 s4, s4
; %bb.35:
	v_and_b32_e32 v152, 0xffff, v150
	v_or_b32_e32 v154, 0x10000, v150
	s_delay_alu instid0(VALU_DEP_2) | instskip(NEXT) | instid1(VALU_DEP_2)
	v_cmp_eq_u32_e32 vcc_lo, 0, v152
	v_cndmask_b32_e32 v152, v154, v150, vcc_lo
; %bb.36:
	s_or_b32 exec_lo, exec_lo, s4
	v_and_b32_e32 v150, 0x7f800000, v143
	s_delay_alu instid0(VALU_DEP_1) | instskip(SKIP_1) | instid1(SALU_CYCLE_1)
	v_cmp_ne_u32_e32 vcc_lo, 0x7f800000, v150
                                        ; implicit-def: $vgpr150
	s_and_saveexec_b32 s4, vcc_lo
	s_xor_b32 s4, exec_lo, s4
; %bb.37:
	v_bfe_u32 v150, v143, 16, 1
	s_delay_alu instid0(VALU_DEP_1)
	v_add3_u32 v150, v143, v150, 0x7fff
                                        ; implicit-def: $vgpr143
; %bb.38:
	s_and_not1_saveexec_b32 s4, s4
; %bb.39:
	v_and_b32_e32 v150, 0xffff, v143
	v_or_b32_e32 v154, 0x10000, v143
	s_delay_alu instid0(VALU_DEP_2) | instskip(NEXT) | instid1(VALU_DEP_2)
	v_cmp_eq_u32_e32 vcc_lo, 0, v150
	v_cndmask_b32_e32 v150, v154, v143, vcc_lo
; %bb.40:
	s_or_b32 exec_lo, exec_lo, s4
	v_and_b32_e32 v143, 0x7f800000, v140
	s_delay_alu instid0(VALU_DEP_1) | instskip(SKIP_1) | instid1(SALU_CYCLE_1)
	v_cmp_ne_u32_e32 vcc_lo, 0x7f800000, v143
                                        ; implicit-def: $vgpr143
	s_and_saveexec_b32 s4, vcc_lo
	s_xor_b32 s4, exec_lo, s4
; %bb.41:
	v_bfe_u32 v143, v140, 16, 1
	s_delay_alu instid0(VALU_DEP_1)
	v_add3_u32 v143, v140, v143, 0x7fff
                                        ; implicit-def: $vgpr140
; %bb.42:
	s_and_not1_saveexec_b32 s4, s4
; %bb.43:
	v_and_b32_e32 v143, 0xffff, v140
	v_or_b32_e32 v154, 0x10000, v140
	s_delay_alu instid0(VALU_DEP_2) | instskip(NEXT) | instid1(VALU_DEP_2)
	v_cmp_eq_u32_e32 vcc_lo, 0, v143
	v_cndmask_b32_e32 v143, v154, v140, vcc_lo
; %bb.44:
	s_or_b32 exec_lo, exec_lo, s4
	s_load_b64 s[36:37], s[0:1], 0x94
	v_dual_mul_f32 v136, v139, v136 :: v_dual_lshlrev_b32 v155, 4, v146
	s_delay_alu instid0(VALU_DEP_2)
	v_perm_b32 v154, v143, v150, 0x7060302
	v_dual_mul_f32 v143, v139, v131 :: v_dual_lshlrev_b32 v140, 6, v148
	v_dual_mul_f32 v135, v139, v135 :: v_dual_lshlrev_b32 v150, 11, v149
	v_perm_b32 v153, v152, v153, 0x7060302
	v_perm_b32 v152, v151, v144, 0x7060302
	;; [unrolled: 1-line block ×3, first 2 shown]
	s_delay_alu instid0(VALU_DEP_4)
	v_or3_b32 v131, v155, v150, v140
	v_mul_f32_e32 v138, v139, v138
	v_dual_mul_f32 v137, v139, v137 :: v_dual_and_b32 v144, 0x7f800000, v143
	v_mul_f32_e32 v141, v139, v134
	v_mul_f32_e32 v142, v139, v133
	;; [unrolled: 1-line block ×3, first 2 shown]
	s_mov_b32 s4, exec_lo
	ds_store_b128 v131, v[151:154]
                                        ; implicit-def: $vgpr132
	v_cmpx_ne_u32_e32 0x7f800000, v144
	s_xor_b32 s4, exec_lo, s4
; %bb.45:
	v_bfe_u32 v132, v143, 16, 1
	s_delay_alu instid0(VALU_DEP_1)
	v_add3_u32 v132, v143, v132, 0x7fff
                                        ; implicit-def: $vgpr143
; %bb.46:
	s_and_not1_saveexec_b32 s4, s4
; %bb.47:
	v_and_b32_e32 v132, 0xffff, v143
	v_or_b32_e32 v133, 0x10000, v143
	s_delay_alu instid0(VALU_DEP_2) | instskip(NEXT) | instid1(VALU_DEP_2)
	v_cmp_eq_u32_e32 vcc_lo, 0, v132
	v_cndmask_b32_e32 v132, v133, v143, vcc_lo
; %bb.48:
	s_or_b32 exec_lo, exec_lo, s4
	v_and_b32_e32 v133, 0x7f800000, v134
	s_delay_alu instid0(VALU_DEP_1) | instskip(SKIP_1) | instid1(SALU_CYCLE_1)
	v_cmp_ne_u32_e32 vcc_lo, 0x7f800000, v133
                                        ; implicit-def: $vgpr133
	s_and_saveexec_b32 s4, vcc_lo
	s_xor_b32 s4, exec_lo, s4
; %bb.49:
	v_bfe_u32 v133, v134, 16, 1
	s_delay_alu instid0(VALU_DEP_1)
	v_add3_u32 v133, v134, v133, 0x7fff
                                        ; implicit-def: $vgpr134
; %bb.50:
	s_and_not1_saveexec_b32 s4, s4
; %bb.51:
	v_and_b32_e32 v133, 0xffff, v134
	v_or_b32_e32 v139, 0x10000, v134
	s_delay_alu instid0(VALU_DEP_2) | instskip(NEXT) | instid1(VALU_DEP_2)
	v_cmp_eq_u32_e32 vcc_lo, 0, v133
	v_cndmask_b32_e32 v133, v139, v134, vcc_lo
; %bb.52:
	s_or_b32 exec_lo, exec_lo, s4
	v_and_b32_e32 v134, 0x7f800000, v142
	s_delay_alu instid0(VALU_DEP_1) | instskip(SKIP_1) | instid1(SALU_CYCLE_1)
	v_cmp_ne_u32_e32 vcc_lo, 0x7f800000, v134
                                        ; implicit-def: $vgpr134
	s_and_saveexec_b32 s4, vcc_lo
	s_xor_b32 s4, exec_lo, s4
; %bb.53:
	v_bfe_u32 v134, v142, 16, 1
	s_delay_alu instid0(VALU_DEP_1)
	v_add3_u32 v134, v142, v134, 0x7fff
                                        ; implicit-def: $vgpr142
; %bb.54:
	s_and_not1_saveexec_b32 s4, s4
; %bb.55:
	v_and_b32_e32 v134, 0xffff, v142
	v_or_b32_e32 v139, 0x10000, v142
	s_delay_alu instid0(VALU_DEP_2) | instskip(NEXT) | instid1(VALU_DEP_2)
	v_cmp_eq_u32_e32 vcc_lo, 0, v134
	v_cndmask_b32_e32 v134, v139, v142, vcc_lo
; %bb.56:
	s_or_b32 exec_lo, exec_lo, s4
	v_and_b32_e32 v139, 0x7f800000, v141
	s_delay_alu instid0(VALU_DEP_1) | instskip(SKIP_1) | instid1(SALU_CYCLE_1)
	v_cmp_ne_u32_e32 vcc_lo, 0x7f800000, v139
                                        ; implicit-def: $vgpr139
	s_and_saveexec_b32 s4, vcc_lo
	s_xor_b32 s4, exec_lo, s4
; %bb.57:
	v_bfe_u32 v139, v141, 16, 1
	s_delay_alu instid0(VALU_DEP_1)
	v_add3_u32 v139, v141, v139, 0x7fff
                                        ; implicit-def: $vgpr141
; %bb.58:
	s_and_not1_saveexec_b32 s4, s4
; %bb.59:
	v_and_b32_e32 v139, 0xffff, v141
	v_or_b32_e32 v142, 0x10000, v141
	s_delay_alu instid0(VALU_DEP_2) | instskip(NEXT) | instid1(VALU_DEP_2)
	v_cmp_eq_u32_e32 vcc_lo, 0, v139
	v_cndmask_b32_e32 v139, v142, v141, vcc_lo
; %bb.60:
	s_or_b32 exec_lo, exec_lo, s4
	v_and_b32_e32 v141, 0x7f800000, v135
	s_delay_alu instid0(VALU_DEP_1) | instskip(SKIP_1) | instid1(SALU_CYCLE_1)
	v_cmp_ne_u32_e32 vcc_lo, 0x7f800000, v141
                                        ; implicit-def: $vgpr141
	s_and_saveexec_b32 s4, vcc_lo
	s_xor_b32 s4, exec_lo, s4
; %bb.61:
	v_bfe_u32 v141, v135, 16, 1
	s_delay_alu instid0(VALU_DEP_1)
	v_add3_u32 v141, v135, v141, 0x7fff
                                        ; implicit-def: $vgpr135
; %bb.62:
	s_and_not1_saveexec_b32 s4, s4
; %bb.63:
	v_and_b32_e32 v141, 0xffff, v135
	v_or_b32_e32 v142, 0x10000, v135
	s_delay_alu instid0(VALU_DEP_2) | instskip(NEXT) | instid1(VALU_DEP_2)
	v_cmp_eq_u32_e32 vcc_lo, 0, v141
	v_cndmask_b32_e32 v141, v142, v135, vcc_lo
; %bb.64:
	s_or_b32 exec_lo, exec_lo, s4
	v_and_b32_e32 v135, 0x7f800000, v136
	s_delay_alu instid0(VALU_DEP_1) | instskip(SKIP_1) | instid1(SALU_CYCLE_1)
	v_cmp_ne_u32_e32 vcc_lo, 0x7f800000, v135
                                        ; implicit-def: $vgpr135
	s_and_saveexec_b32 s4, vcc_lo
	s_xor_b32 s4, exec_lo, s4
; %bb.65:
	v_bfe_u32 v135, v136, 16, 1
	s_delay_alu instid0(VALU_DEP_1)
	v_add3_u32 v135, v136, v135, 0x7fff
                                        ; implicit-def: $vgpr136
; %bb.66:
	s_and_not1_saveexec_b32 s4, s4
; %bb.67:
	v_and_b32_e32 v135, 0xffff, v136
	v_or_b32_e32 v142, 0x10000, v136
	s_delay_alu instid0(VALU_DEP_2) | instskip(NEXT) | instid1(VALU_DEP_2)
	v_cmp_eq_u32_e32 vcc_lo, 0, v135
	v_cndmask_b32_e32 v135, v142, v136, vcc_lo
; %bb.68:
	s_or_b32 exec_lo, exec_lo, s4
	v_and_b32_e32 v136, 0x7f800000, v137
	s_delay_alu instid0(VALU_DEP_1) | instskip(SKIP_1) | instid1(SALU_CYCLE_1)
	v_cmp_ne_u32_e32 vcc_lo, 0x7f800000, v136
                                        ; implicit-def: $vgpr136
	s_and_saveexec_b32 s4, vcc_lo
	s_xor_b32 s4, exec_lo, s4
; %bb.69:
	v_bfe_u32 v136, v137, 16, 1
	s_delay_alu instid0(VALU_DEP_1)
	v_add3_u32 v136, v137, v136, 0x7fff
                                        ; implicit-def: $vgpr137
; %bb.70:
	s_and_not1_saveexec_b32 s4, s4
; %bb.71:
	v_and_b32_e32 v136, 0xffff, v137
	v_or_b32_e32 v142, 0x10000, v137
	s_delay_alu instid0(VALU_DEP_2) | instskip(NEXT) | instid1(VALU_DEP_2)
	v_cmp_eq_u32_e32 vcc_lo, 0, v136
	v_cndmask_b32_e32 v136, v142, v137, vcc_lo
; %bb.72:
	s_or_b32 exec_lo, exec_lo, s4
	v_and_b32_e32 v137, 0x7f800000, v138
	s_delay_alu instid0(VALU_DEP_1) | instskip(SKIP_1) | instid1(SALU_CYCLE_1)
	v_cmp_ne_u32_e32 vcc_lo, 0x7f800000, v137
                                        ; implicit-def: $vgpr137
	s_and_saveexec_b32 s4, vcc_lo
	s_xor_b32 s4, exec_lo, s4
; %bb.73:
	v_bfe_u32 v137, v138, 16, 1
	s_delay_alu instid0(VALU_DEP_1)
	v_add3_u32 v137, v138, v137, 0x7fff
                                        ; implicit-def: $vgpr138
; %bb.74:
	s_and_not1_saveexec_b32 s4, s4
; %bb.75:
	v_and_b32_e32 v137, 0xffff, v138
	v_or_b32_e32 v142, 0x10000, v138
	s_delay_alu instid0(VALU_DEP_2) | instskip(NEXT) | instid1(VALU_DEP_2)
	v_cmp_eq_u32_e32 vcc_lo, 0, v137
	v_cndmask_b32_e32 v137, v142, v138, vcc_lo
; %bb.76:
	s_or_b32 exec_lo, exec_lo, s4
	s_delay_alu instid0(VALU_DEP_1)
	v_perm_b32 v136, v137, v136, 0x7060302
	v_perm_b32 v135, v135, v141, 0x7060302
	;; [unrolled: 1-line block ×4, first 2 shown]
	v_lshl_or_b32 v141, v149, 11, v140
	ds_store_b128 v131, v[133:136] offset:1024
	s_waitcnt lgkmcnt(0)
	s_barrier
	buffer_gl0_inv
	ds_load_b128 v[132:135], v141
	ds_load_b128 v[149:152], v141 offset:16
	s_waitcnt lgkmcnt(1)
	v_lshrrev_b32_e32 v136, 16, v132
	s_waitcnt lgkmcnt(0)
	v_lshrrev_b32_e32 v164, 16, v151
	v_lshlrev_b32_e32 v138, 2, v146
	v_lshrrev_b32_e32 v143, 16, v149
	v_lshrrev_b32_e32 v162, 16, v150
	;; [unrolled: 1-line block ×4, first 2 shown]
	v_or_b32_e32 v139, 1, v138
	v_lshrrev_b32_e32 v165, 16, v152
	v_lshrrev_b32_e32 v163, 16, v135
	s_delay_alu instid0(VALU_DEP_3)
	v_cmp_eq_u32_e64 s8, 1, v139
	v_cmp_eq_u32_e64 s7, 2, v139
	;; [unrolled: 1-line block ×4, first 2 shown]
	v_cmp_eq_u32_e32 vcc_lo, 5, v139
	v_cndmask_b32_e64 v155, v149, v143, s8
	v_cndmask_b32_e64 v154, v132, v136, s8
	v_cmp_eq_u32_e64 s5, 6, v139
	v_cmp_eq_u32_e64 s20, 7, v139
	s_delay_alu instid0(VALU_DEP_4) | instskip(NEXT) | instid1(VALU_DEP_4)
	v_cndmask_b32_e64 v155, v155, v150, s7
	v_cndmask_b32_e64 v154, v154, v133, s7
	s_delay_alu instid0(VALU_DEP_2) | instskip(NEXT) | instid1(VALU_DEP_2)
	v_cndmask_b32_e64 v155, v155, v162, s6
	v_cndmask_b32_e64 v154, v154, v144, s6
	s_delay_alu instid0(VALU_DEP_2) | instskip(NEXT) | instid1(VALU_DEP_2)
	v_cndmask_b32_e64 v155, v155, v151, s4
	v_cndmask_b32_e64 v154, v154, v134, s4
	s_delay_alu instid0(VALU_DEP_2)
	v_cndmask_b32_e32 v157, v155, v164, vcc_lo
	v_cmp_eq_u32_e64 s13, 1, v138
	v_cmp_eq_u32_e64 s12, 2, v138
	;; [unrolled: 1-line block ×3, first 2 shown]
	v_or_b32_e32 v137, 2, v138
	v_cmp_eq_u32_e64 s18, 4, v138
	v_cndmask_b32_e64 v153, v149, v143, s13
	v_cndmask_b32_e64 v142, v132, v136, s13
	v_cmp_eq_u32_e64 s15, 5, v138
	v_cmp_eq_u32_e64 s9, 1, v137
	;; [unrolled: 1-line block ×3, first 2 shown]
	v_cndmask_b32_e64 v153, v153, v150, s12
	v_cndmask_b32_e64 v142, v142, v133, s12
	v_cmp_eq_u32_e64 s11, 2, v137
	v_cndmask_b32_e64 v156, v132, v136, s9
	v_cndmask_b32_e32 v154, v154, v161, vcc_lo
	v_cndmask_b32_e64 v153, v153, v162, s17
	v_cndmask_b32_e64 v142, v142, v144, s17
	v_cmp_eq_u32_e64 s10, 7, v138
	v_cndmask_b32_e64 v156, v156, v133, s11
	v_cmp_eq_u32_e64 s19, 3, v137
	v_cndmask_b32_e64 v153, v153, v151, s18
	v_cndmask_b32_e64 v142, v142, v134, s18
	;; [unrolled: 1-line block ×3, first 2 shown]
	v_cmp_eq_u32_e64 s21, 4, v137
	v_cndmask_b32_e64 v156, v156, v144, s19
	v_cndmask_b32_e64 v153, v153, v164, s15
	;; [unrolled: 1-line block ×4, first 2 shown]
	v_cmp_eq_u32_e64 s23, 5, v137
	v_cndmask_b32_e64 v159, v156, v134, s21
	v_cndmask_b32_e64 v153, v153, v152, s16
	;; [unrolled: 1-line block ×3, first 2 shown]
	v_cmp_eq_u32_e64 s26, 6, v137
	v_cmp_eq_u32_e64 s28, 7, v137
	v_cndmask_b32_e64 v169, v159, v161, s23
	v_cndmask_b32_e64 v167, v153, v165, s10
	v_cndmask_b32_e64 v153, v149, v143, s9
	v_cndmask_b32_e64 v166, v142, v163, s10
	v_or_b32_e32 v142, 3, v138
	s_delay_alu instid0(VALU_DEP_3)
	v_cndmask_b32_e64 v158, v153, v150, s11
	ds_load_b128 v[153:156], v141 offset:1024
	v_cmp_eq_u32_e64 s22, 1, v142
	v_cmp_eq_u32_e64 s24, 2, v142
	;; [unrolled: 1-line block ×3, first 2 shown]
	v_cndmask_b32_e64 v158, v158, v162, s19
	v_cmp_eq_u32_e64 s27, 4, v142
	v_cndmask_b32_e64 v132, v132, v136, s22
	v_cndmask_b32_e64 v136, v157, v152, s5
	;; [unrolled: 1-line block ×4, first 2 shown]
	ds_load_b128 v[157:160], v141 offset:1040
	v_cndmask_b32_e64 v132, v132, v133, s24
	v_cmp_eq_u32_e64 s29, 5, v142
	v_cndmask_b32_e64 v143, v143, v150, s24
	v_cmp_eq_u32_e64 s30, 6, v142
	v_cndmask_b32_e64 v133, v170, v164, s23
	v_cndmask_b32_e64 v132, v132, v144, s25
	v_cndmask_b32_e64 v144, v169, v135, s26
	v_cndmask_b32_e64 v143, v143, v162, s25
	v_cndmask_b32_e64 v136, v136, v165, s20
	s_waitcnt lgkmcnt(1)
	v_lshrrev_b32_e32 v149, 16, v153
	v_cndmask_b32_e64 v132, v132, v134, s27
	v_cndmask_b32_e64 v133, v133, v152, s26
	;; [unrolled: 1-line block ×3, first 2 shown]
	v_lshrrev_b32_e32 v151, 16, v154
	v_cndmask_b32_e64 v143, v153, v149, s13
	v_cndmask_b32_e64 v132, v132, v161, s29
	;; [unrolled: 1-line block ×5, first 2 shown]
	s_waitcnt lgkmcnt(0)
	v_lshrrev_b32_e32 v150, 16, v157
	v_cndmask_b32_e64 v143, v143, v154, s12
	v_cndmask_b32_e64 v132, v132, v135, s30
	;; [unrolled: 1-line block ×3, first 2 shown]
	v_lshrrev_b32_e32 v164, 16, v159
	v_cndmask_b32_e64 v162, v157, v150, s13
	v_cndmask_b32_e64 v135, v143, v151, s17
	;; [unrolled: 1-line block ×3, first 2 shown]
	v_lshrrev_b32_e32 v161, 16, v158
	v_cndmask_b32_e64 v133, v133, v165, s28
	v_cndmask_b32_e64 v152, v162, v158, s12
	v_cmp_eq_u32_e64 s12, 7, v142
	v_cndmask_b32_e64 v143, v143, v151, s6
	v_cndmask_b32_e64 v135, v135, v155, s18
	v_lshrrev_b32_e32 v162, 16, v155
	v_cndmask_b32_e64 v152, v152, v161, s17
	v_cndmask_b32_e64 v132, v132, v163, s12
	v_cndmask_b32_e64 v134, v134, v165, s12
	v_cndmask_b32_e64 v143, v143, v155, s4
	v_cndmask_b32_e64 v163, v135, v162, s15
	v_cndmask_b32_e64 v152, v152, v159, s18
	s_delay_alu instid0(VALU_DEP_4) | instskip(NEXT) | instid1(VALU_DEP_4)
	v_perm_b32 v135, v134, v132, 0x5040100
	v_cndmask_b32_e32 v132, v143, v162, vcc_lo
	s_delay_alu instid0(VALU_DEP_4)
	v_cndmask_b32_e64 v143, v163, v156, s16
	v_lshrrev_b32_e32 v163, 16, v156
	v_cndmask_b32_e64 v152, v152, v164, s15
	v_perm_b32 v134, v133, v144, 0x5040100
	v_cndmask_b32_e64 v132, v132, v156, s5
	v_perm_b32 v133, v136, v168, 0x5040100
	v_cndmask_b32_e64 v136, v143, v163, s10
	v_cndmask_b32_e64 v143, v152, v160, s16
	;; [unrolled: 1-line block ×13, first 2 shown]
	v_lshrrev_b32_e32 v144, 16, v160
	v_cndmask_b32_e64 v132, v132, v151, s19
	v_cndmask_b32_e64 v149, v149, v151, s25
	;; [unrolled: 1-line block ×14, first 2 shown]
	v_cndmask_b32_e32 v150, v150, v164, vcc_lo
	v_cndmask_b32_e64 v132, v132, v156, s26
	v_cndmask_b32_e64 v149, v149, v156, s30
	v_cndmask_b32_e64 v151, v151, v160, s30
	v_cndmask_b32_e64 v152, v152, v160, s26
	v_cndmask_b32_e64 v150, v150, v160, s5
	v_cndmask_b32_e64 v153, v132, v163, s28
	v_cndmask_b32_e64 v149, v149, v163, s12
	v_cndmask_b32_e64 v151, v151, v144, s12
	v_cndmask_b32_e64 v154, v152, v144, s28
	v_cndmask_b32_e64 v150, v150, v144, s20
	v_cndmask_b32_e64 v143, v143, v144, s10
	v_perm_b32 v132, v167, v166, 0x5040100
	v_perm_b32 v152, v151, v149, 0x5040100
	;; [unrolled: 1-line block ×5, first 2 shown]
	s_mul_i32 s9, s37, 9
	s_mov_b32 s4, exec_lo
	ds_store_b128 v131, v[132:135]
	ds_store_b128 v131, v[149:152] offset:1024
	v_cmpx_gt_u32_e32 9, v0
	s_cbranch_execz .LBB450_78
; %bb.77:
	s_mul_i32 s5, s9, s34
	s_load_b128 s[16:19], s[0:1], 0x58
	v_add3_u32 v133, s5, s31, v148
	s_delay_alu instid0(VALU_DEP_1) | instskip(NEXT) | instid1(VALU_DEP_1)
	v_mad_u64_u32 v[131:132], null, v133, s36, s[14:15]
	v_ashrrev_i32_e32 v132, 31, v131
	s_delay_alu instid0(VALU_DEP_1) | instskip(SKIP_1) | instid1(VALU_DEP_1)
	v_lshlrev_b64 v[131:132], 2, v[131:132]
	s_waitcnt lgkmcnt(0)
	v_add_co_u32 v133, vcc_lo, s18, v131
	s_delay_alu instid0(VALU_DEP_2)
	v_add_co_ci_u32_e32 v134, vcc_lo, s19, v132, vcc_lo
	v_add_co_u32 v131, vcc_lo, s16, v131
	v_add_co_ci_u32_e32 v132, vcc_lo, s17, v132, vcc_lo
	global_store_b32 v[133:134], v129, off
	global_store_b32 v[131:132], v130, off
.LBB450_78:
	s_or_b32 exec_lo, exec_lo, s4
	s_waitcnt lgkmcnt(0)
	s_waitcnt_vscnt null, 0x0
	s_barrier
	buffer_gl0_inv
	ds_load_b128 v[148:151], v140
	ds_load_b128 v[152:155], v140 offset:16
	ds_load_b128 v[160:163], v140 offset:1040
	;; [unrolled: 1-line block ×3, first 2 shown]
	v_mov_b32_e32 v129, 0
	ds_load_b128 v[168:171], v140 offset:2064
	ds_load_b128 v[164:167], v140 offset:2048
	;; [unrolled: 1-line block ×6, first 2 shown]
	v_mov_b32_e32 v130, v129
	v_mov_b32_e32 v131, v129
	;; [unrolled: 1-line block ×7, first 2 shown]
	s_waitcnt lgkmcnt(8)
	s_delay_alu instid0(VALU_DEP_1)
	v_wmma_f32_16x16x16_bf16 v[129:136], v[121:128], v[148:155], v[129:136]
	ds_load_b128 v[125:128], v140 offset:5136
	ds_load_b128 v[121:124], v140 offset:5120
	s_waitcnt lgkmcnt(8)
	v_wmma_f32_16x16x16_bf16 v[129:136], v[113:120], v[156:163], v[129:136]
	ds_load_b128 v[117:120], v140 offset:6160
	ds_load_b128 v[113:116], v140 offset:6144
	s_waitcnt lgkmcnt(8)
	;; [unrolled: 4-line block ×8, first 2 shown]
	v_wmma_f32_16x16x16_bf16 v[129:136], v[65:72], v[97:104], v[129:136]
	s_waitcnt lgkmcnt(6)
	s_delay_alu instid0(VALU_DEP_1)
	v_wmma_f32_16x16x16_bf16 v[129:136], v[49:56], v[89:96], v[129:136]
	ds_load_b128 v[53:56], v140 offset:13328
	ds_load_b128 v[49:52], v140 offset:13312
	s_waitcnt lgkmcnt(6)
	v_wmma_f32_16x16x16_bf16 v[129:136], v[41:48], v[81:88], v[129:136]
	ds_load_b128 v[45:48], v140 offset:14352
	ds_load_b128 v[41:44], v140 offset:14336
	s_waitcnt lgkmcnt(6)
	;; [unrolled: 4-line block ×3, first 2 shown]
	v_wmma_f32_16x16x16_bf16 v[129:136], v[1:8], v[57:64], v[129:136]
	s_waitcnt lgkmcnt(4)
	s_delay_alu instid0(VALU_DEP_1) | instskip(SKIP_1) | instid1(VALU_DEP_1)
	v_wmma_f32_16x16x16_bf16 v[129:136], v[25:32], v[49:56], v[129:136]
	s_waitcnt lgkmcnt(2)
	v_wmma_f32_16x16x16_bf16 v[129:136], v[33:40], v[41:48], v[129:136]
	s_waitcnt lgkmcnt(0)
	s_delay_alu instid0(VALU_DEP_1) | instskip(NEXT) | instid1(VALU_DEP_1)
	v_wmma_f32_16x16x16_bf16 v[129:136], v[9:16], v[17:24], v[129:136]
	v_and_b32_e32 v1, 0x7f800000, v129
	s_delay_alu instid0(VALU_DEP_1) | instskip(SKIP_1) | instid1(SALU_CYCLE_1)
	v_cmp_ne_u32_e32 vcc_lo, 0x7f800000, v1
                                        ; implicit-def: $vgpr1
	s_and_saveexec_b32 s4, vcc_lo
	s_xor_b32 s4, exec_lo, s4
; %bb.79:
	v_bfe_u32 v1, v129, 16, 1
	s_delay_alu instid0(VALU_DEP_1)
	v_add3_u32 v1, v129, v1, 0x7fff
; %bb.80:
	s_and_not1_saveexec_b32 s4, s4
; %bb.81:
	v_and_b32_e32 v1, 0xffff, v129
	v_or_b32_e32 v2, 0x10000, v129
	s_delay_alu instid0(VALU_DEP_2) | instskip(NEXT) | instid1(VALU_DEP_2)
	v_cmp_eq_u32_e32 vcc_lo, 0, v1
	v_cndmask_b32_e32 v1, v2, v129, vcc_lo
; %bb.82:
	s_or_b32 exec_lo, exec_lo, s4
	v_and_b32_e32 v2, 0x7f800000, v130
	s_delay_alu instid0(VALU_DEP_1) | instskip(SKIP_1) | instid1(SALU_CYCLE_1)
	v_cmp_ne_u32_e32 vcc_lo, 0x7f800000, v2
                                        ; implicit-def: $vgpr2
	s_and_saveexec_b32 s4, vcc_lo
	s_xor_b32 s4, exec_lo, s4
; %bb.83:
	v_bfe_u32 v2, v130, 16, 1
	s_delay_alu instid0(VALU_DEP_1)
	v_add3_u32 v2, v130, v2, 0x7fff
; %bb.84:
	s_and_not1_saveexec_b32 s4, s4
; %bb.85:
	v_and_b32_e32 v2, 0xffff, v130
	v_or_b32_e32 v3, 0x10000, v130
	s_delay_alu instid0(VALU_DEP_2) | instskip(NEXT) | instid1(VALU_DEP_2)
	v_cmp_eq_u32_e32 vcc_lo, 0, v2
	v_cndmask_b32_e32 v2, v3, v130, vcc_lo
; %bb.86:
	s_or_b32 exec_lo, exec_lo, s4
	v_and_b32_e32 v3, 0x7f800000, v131
	s_delay_alu instid0(VALU_DEP_1) | instskip(SKIP_1) | instid1(SALU_CYCLE_1)
	v_cmp_ne_u32_e32 vcc_lo, 0x7f800000, v3
                                        ; implicit-def: $vgpr3
	s_and_saveexec_b32 s4, vcc_lo
	s_xor_b32 s4, exec_lo, s4
; %bb.87:
	v_bfe_u32 v3, v131, 16, 1
	s_delay_alu instid0(VALU_DEP_1)
	v_add3_u32 v3, v131, v3, 0x7fff
; %bb.88:
	s_and_not1_saveexec_b32 s4, s4
; %bb.89:
	v_and_b32_e32 v3, 0xffff, v131
	v_or_b32_e32 v4, 0x10000, v131
	s_delay_alu instid0(VALU_DEP_2) | instskip(NEXT) | instid1(VALU_DEP_2)
	v_cmp_eq_u32_e32 vcc_lo, 0, v3
	v_cndmask_b32_e32 v3, v4, v131, vcc_lo
; %bb.90:
	s_or_b32 exec_lo, exec_lo, s4
	v_and_b32_e32 v4, 0x7f800000, v132
	s_delay_alu instid0(VALU_DEP_1) | instskip(SKIP_1) | instid1(SALU_CYCLE_1)
	v_cmp_ne_u32_e32 vcc_lo, 0x7f800000, v4
                                        ; implicit-def: $vgpr4
	s_and_saveexec_b32 s4, vcc_lo
	s_xor_b32 s4, exec_lo, s4
; %bb.91:
	v_bfe_u32 v4, v132, 16, 1
	s_delay_alu instid0(VALU_DEP_1)
	v_add3_u32 v4, v132, v4, 0x7fff
; %bb.92:
	s_and_not1_saveexec_b32 s4, s4
; %bb.93:
	v_and_b32_e32 v4, 0xffff, v132
	v_or_b32_e32 v5, 0x10000, v132
	s_delay_alu instid0(VALU_DEP_2) | instskip(NEXT) | instid1(VALU_DEP_2)
	v_cmp_eq_u32_e32 vcc_lo, 0, v4
	v_cndmask_b32_e32 v4, v5, v132, vcc_lo
; %bb.94:
	s_or_b32 exec_lo, exec_lo, s4
	v_and_b32_e32 v5, 0x7f800000, v133
	s_delay_alu instid0(VALU_DEP_1) | instskip(SKIP_1) | instid1(SALU_CYCLE_1)
	v_cmp_ne_u32_e32 vcc_lo, 0x7f800000, v5
                                        ; implicit-def: $vgpr5
	s_and_saveexec_b32 s4, vcc_lo
	s_xor_b32 s4, exec_lo, s4
; %bb.95:
	v_bfe_u32 v5, v133, 16, 1
	s_delay_alu instid0(VALU_DEP_1)
	v_add3_u32 v5, v133, v5, 0x7fff
; %bb.96:
	s_and_not1_saveexec_b32 s4, s4
; %bb.97:
	v_and_b32_e32 v5, 0xffff, v133
	v_or_b32_e32 v6, 0x10000, v133
	s_delay_alu instid0(VALU_DEP_2) | instskip(NEXT) | instid1(VALU_DEP_2)
	v_cmp_eq_u32_e32 vcc_lo, 0, v5
	v_cndmask_b32_e32 v5, v6, v133, vcc_lo
; %bb.98:
	s_or_b32 exec_lo, exec_lo, s4
	v_and_b32_e32 v6, 0x7f800000, v134
	s_delay_alu instid0(VALU_DEP_1) | instskip(SKIP_1) | instid1(SALU_CYCLE_1)
	v_cmp_ne_u32_e32 vcc_lo, 0x7f800000, v6
                                        ; implicit-def: $vgpr6
	s_and_saveexec_b32 s4, vcc_lo
	s_xor_b32 s4, exec_lo, s4
; %bb.99:
	v_bfe_u32 v6, v134, 16, 1
	s_delay_alu instid0(VALU_DEP_1)
	v_add3_u32 v6, v134, v6, 0x7fff
; %bb.100:
	s_and_not1_saveexec_b32 s4, s4
; %bb.101:
	v_and_b32_e32 v6, 0xffff, v134
	v_or_b32_e32 v7, 0x10000, v134
	s_delay_alu instid0(VALU_DEP_2) | instskip(NEXT) | instid1(VALU_DEP_2)
	v_cmp_eq_u32_e32 vcc_lo, 0, v6
	v_cndmask_b32_e32 v6, v7, v134, vcc_lo
; %bb.102:
	s_or_b32 exec_lo, exec_lo, s4
	v_and_b32_e32 v7, 0x7f800000, v135
	s_delay_alu instid0(VALU_DEP_1) | instskip(SKIP_1) | instid1(SALU_CYCLE_1)
	v_cmp_ne_u32_e32 vcc_lo, 0x7f800000, v7
                                        ; implicit-def: $vgpr7
	s_and_saveexec_b32 s4, vcc_lo
	s_xor_b32 s4, exec_lo, s4
; %bb.103:
	v_bfe_u32 v7, v135, 16, 1
	s_delay_alu instid0(VALU_DEP_1)
	v_add3_u32 v7, v135, v7, 0x7fff
; %bb.104:
	s_and_not1_saveexec_b32 s4, s4
; %bb.105:
	v_and_b32_e32 v7, 0xffff, v135
	v_or_b32_e32 v8, 0x10000, v135
	s_delay_alu instid0(VALU_DEP_2) | instskip(NEXT) | instid1(VALU_DEP_2)
	v_cmp_eq_u32_e32 vcc_lo, 0, v7
	v_cndmask_b32_e32 v7, v8, v135, vcc_lo
; %bb.106:
	s_or_b32 exec_lo, exec_lo, s4
	v_and_b32_e32 v8, 0x7f800000, v136
	s_delay_alu instid0(VALU_DEP_1) | instskip(SKIP_1) | instid1(SALU_CYCLE_1)
	v_cmp_ne_u32_e32 vcc_lo, 0x7f800000, v8
                                        ; implicit-def: $vgpr8
	s_and_saveexec_b32 s4, vcc_lo
	s_xor_b32 s4, exec_lo, s4
; %bb.107:
	v_bfe_u32 v8, v136, 16, 1
	s_delay_alu instid0(VALU_DEP_1)
	v_add3_u32 v8, v136, v8, 0x7fff
                                        ; implicit-def: $vgpr129_vgpr130_vgpr131_vgpr132_vgpr133_vgpr134_vgpr135_vgpr136
; %bb.108:
	s_and_not1_saveexec_b32 s4, s4
; %bb.109:
	v_and_b32_e32 v8, 0xffff, v136
	v_or_b32_e32 v9, 0x10000, v136
	s_delay_alu instid0(VALU_DEP_2) | instskip(NEXT) | instid1(VALU_DEP_2)
	v_cmp_eq_u32_e32 vcc_lo, 0, v8
	v_cndmask_b32_e32 v8, v9, v136, vcc_lo
; %bb.110:
	s_or_b32 exec_lo, exec_lo, s4
	s_delay_alu instid0(VALU_DEP_1)
	v_perm_b32 v7, v8, v7, 0x7060302
	v_perm_b32 v6, v6, v5, 0x7060302
	;; [unrolled: 1-line block ×4, first 2 shown]
	v_lshl_or_b32 v9, v146, 4, v141
	s_barrier
	buffer_gl0_inv
	v_cmp_eq_u32_e32 vcc_lo, 1, v138
	ds_store_b128 v9, v[4:7]
	s_waitcnt lgkmcnt(0)
	s_barrier
	buffer_gl0_inv
	ds_load_b128 v[1:4], v141
	ds_load_b128 v[5:8], v141 offset:16
	v_cmp_eq_u32_e64 s5, 2, v138
	v_cmp_eq_u32_e64 s4, 1, v139
	;; [unrolled: 1-line block ×5, first 2 shown]
	s_waitcnt lgkmcnt(1)
	v_lshrrev_b32_e32 v10, 16, v1
	s_waitcnt lgkmcnt(0)
	v_lshrrev_b32_e32 v14, 16, v5
	v_lshrrev_b32_e32 v15, 16, v6
	;; [unrolled: 1-line block ×4, first 2 shown]
	v_cndmask_b32_e64 v20, v1, v10, s4
	v_cndmask_b32_e32 v19, v5, v14, vcc_lo
	v_cndmask_b32_e64 v21, v5, v14, s4
	v_lshrrev_b32_e32 v16, 16, v7
	v_cmp_eq_u32_e64 s4, 1, v137
	v_lshrrev_b32_e32 v13, 16, v4
	v_cndmask_b32_e64 v19, v19, v6, s5
	v_lshrrev_b32_e32 v17, 16, v8
	s_delay_alu instid0(VALU_DEP_4) | instskip(SKIP_1) | instid1(VALU_DEP_4)
	v_cndmask_b32_e64 v22, v1, v10, s4
	v_cndmask_b32_e64 v23, v5, v14, s4
	;; [unrolled: 1-line block ×3, first 2 shown]
	v_cndmask_b32_e32 v18, v1, v10, vcc_lo
	v_cmp_eq_u32_e32 vcc_lo, 2, v139
	v_cmp_eq_u32_e64 s4, 2, v142
	v_cndmask_b32_e64 v22, v22, v2, s8
	v_cndmask_b32_e32 v20, v20, v2, vcc_lo
	v_cndmask_b32_e32 v21, v21, v6, vcc_lo
	v_cmp_eq_u32_e32 vcc_lo, 4, v138
	v_cndmask_b32_e32 v19, v19, v7, vcc_lo
	v_cndmask_b32_e64 v18, v18, v2, s5
	v_cmp_eq_u32_e64 s5, 3, v139
	s_delay_alu instid0(VALU_DEP_2) | instskip(NEXT) | instid1(VALU_DEP_2)
	v_cndmask_b32_e64 v18, v18, v11, s6
	v_cndmask_b32_e64 v21, v21, v15, s5
	v_cmp_eq_u32_e64 s6, 5, v138
	s_delay_alu instid0(VALU_DEP_3) | instskip(SKIP_1) | instid1(VALU_DEP_3)
	v_cndmask_b32_e32 v18, v18, v3, vcc_lo
	v_cmp_eq_u32_e32 vcc_lo, 4, v139
	v_cndmask_b32_e64 v19, v19, v16, s6
	s_delay_alu instid0(VALU_DEP_3) | instskip(SKIP_4) | instid1(VALU_DEP_3)
	v_cndmask_b32_e64 v18, v18, v12, s6
	v_cndmask_b32_e32 v21, v21, v7, vcc_lo
	v_cndmask_b32_e64 v20, v20, v11, s5
	v_cmp_eq_u32_e64 s5, 5, v139
	v_cmp_eq_u32_e64 s6, 6, v138
	v_cndmask_b32_e32 v20, v20, v3, vcc_lo
	s_delay_alu instid0(VALU_DEP_3) | instskip(SKIP_1) | instid1(VALU_DEP_4)
	v_cndmask_b32_e64 v21, v21, v16, s5
	v_cmp_eq_u32_e32 vcc_lo, 6, v139
	v_cndmask_b32_e64 v18, v18, v4, s6
	v_cndmask_b32_e64 v19, v19, v8, s6
	v_cndmask_b32_e64 v20, v20, v12, s5
	v_cmp_eq_u32_e64 s5, 1, v142
	v_cmp_eq_u32_e64 s6, 7, v138
	s_delay_alu instid0(VALU_DEP_3) | instskip(NEXT) | instid1(VALU_DEP_3)
	v_cndmask_b32_e32 v20, v20, v4, vcc_lo
	v_cndmask_b32_e64 v1, v1, v10, s5
	v_cndmask_b32_e64 v5, v5, v14, s5
	v_cmp_eq_u32_e64 s5, 3, v137
	v_cndmask_b32_e64 v14, v23, v6, s8
	v_cmp_eq_u32_e64 s8, 3, v142
	v_cndmask_b32_e64 v1, v1, v2, s4
	v_cndmask_b32_e64 v2, v5, v6, s4
	;; [unrolled: 1-line block ×3, first 2 shown]
	v_cmp_eq_u32_e64 s4, 4, v137
	v_cndmask_b32_e64 v6, v14, v15, s5
	v_cndmask_b32_e64 v1, v1, v11, s8
	v_cmp_eq_u32_e64 s5, 4, v142
	v_cndmask_b32_e64 v2, v2, v15, s8
	v_cndmask_b32_e64 v5, v10, v3, s4
	v_cmp_eq_u32_e64 s8, 5, v137
	v_cndmask_b32_e64 v6, v6, v7, s4
	v_cndmask_b32_e64 v1, v1, v3, s5
	v_cndmask_b32_e64 v2, v2, v7, s5
	v_cmp_eq_u32_e64 s4, 5, v142
	v_cndmask_b32_e64 v5, v5, v12, s8
	v_cmp_eq_u32_e64 s5, 6, v137
	;; [unrolled: 2-line block ×3, first 2 shown]
	v_cndmask_b32_e64 v1, v1, v12, s4
	v_cndmask_b32_e64 v2, v2, v16, s4
	;; [unrolled: 1-line block ×4, first 2 shown]
	v_cmp_eq_u32_e64 s4, 7, v142
	v_cndmask_b32_e64 v1, v1, v4, s8
	v_cndmask_b32_e64 v2, v2, v8, s8
	v_cmp_eq_u32_e64 s5, 7, v137
	v_cndmask_b32_e32 v4, v21, v8, vcc_lo
	v_cndmask_b32_e64 v18, v18, v13, s6
	v_cndmask_b32_e64 v20, v20, v13, s7
	;; [unrolled: 1-line block ×8, first 2 shown]
	v_cmp_gt_u32_e32 vcc_lo, 32, v0
	v_perm_b32 v4, v2, v1, 0x5040100
	v_perm_b32 v3, v3, v5, 0x5040100
	;; [unrolled: 1-line block ×4, first 2 shown]
	s_and_b32 s2, vcc_lo, s2
	ds_store_b128 v9, v[1:4]
	s_waitcnt lgkmcnt(0)
	s_barrier
	buffer_gl0_inv
	s_and_saveexec_b32 s4, s2
	s_cbranch_execz .LBB450_2
; %bb.111:
	s_load_b64 s[4:5], s[0:1], 0x68
	v_lshlrev_b32_e32 v0, 10, v0
	v_lshlrev_b32_e32 v1, 4, v147
	s_lshl_b32 s0, s36, 6
	v_add_nc_u32_e32 v2, s31, v146
	s_mul_i32 s1, s0, s34
	s_delay_alu instid0(SALU_CYCLE_1) | instskip(SKIP_1) | instid1(VALU_DEP_2)
	s_mul_i32 s6, s1, s9
	v_and_or_b32 v0, 0x3800, v0, v1
	v_mul_lo_u32 v1, v2, s0
	s_ashr_i32 s7, s6, 31
	v_add_nc_u32_e32 v3, 2, v2
	s_lshl_b64 s[6:7], s[6:7], 1
	v_add_nc_u32_e32 v4, 4, v2
	v_add_nc_u32_e32 v5, 6, v2
	v_lshl_or_b32 v15, v146, 6, v0
	v_mul_lo_u32 v3, v3, s0
	v_ashrrev_i32_e32 v2, 31, v1
	v_mul_lo_u32 v19, v4, s0
	v_mul_lo_u32 v21, v5, s0
	s_waitcnt lgkmcnt(0)
	s_add_u32 s1, s4, s6
	s_addc_u32 s2, s5, s7
	s_lshl_b32 s4, s14, 6
	v_lshlrev_b64 v[5:6], 1, v[1:2]
	s_ashr_i32 s5, s4, 31
	v_ashrrev_i32_e32 v4, 31, v3
	s_lshl_b64 s[4:5], s[4:5], 1
	v_ashrrev_i32_e32 v20, 31, v19
	s_add_u32 s1, s1, s4
	s_addc_u32 s2, s2, s5
	v_add_co_u32 v1, s1, s1, v145
	s_delay_alu instid0(VALU_DEP_1) | instskip(SKIP_1) | instid1(VALU_DEP_3)
	v_add_co_ci_u32_e64 v2, null, s2, 0, s1
	v_lshlrev_b64 v[25:26], 1, v[3:4]
	v_add_co_u32 v23, vcc_lo, v1, v5
	s_delay_alu instid0(VALU_DEP_3)
	v_add_co_ci_u32_e32 v24, vcc_lo, v2, v6, vcc_lo
	ds_load_b128 v[3:6], v15
	ds_load_b128 v[7:10], v15 offset:128
	ds_load_b128 v[11:14], v15 offset:256
	;; [unrolled: 1-line block ×3, first 2 shown]
	v_ashrrev_i32_e32 v22, 31, v21
	v_lshlrev_b64 v[19:20], 1, v[19:20]
	v_add_co_u32 v25, vcc_lo, v1, v25
	v_add_co_ci_u32_e32 v26, vcc_lo, v2, v26, vcc_lo
	s_delay_alu instid0(VALU_DEP_4) | instskip(NEXT) | instid1(VALU_DEP_4)
	v_lshlrev_b64 v[21:22], 1, v[21:22]
	v_add_co_u32 v19, vcc_lo, v1, v19
	v_add_co_ci_u32_e32 v20, vcc_lo, v2, v20, vcc_lo
	s_delay_alu instid0(VALU_DEP_3) | instskip(NEXT) | instid1(VALU_DEP_4)
	v_add_co_u32 v21, vcc_lo, v1, v21
	v_add_co_ci_u32_e32 v22, vcc_lo, v2, v22, vcc_lo
	s_waitcnt lgkmcnt(3)
	global_store_b128 v[23:24], v[3:6], off
	s_waitcnt lgkmcnt(2)
	global_store_b128 v[25:26], v[7:10], off
	;; [unrolled: 2-line block ×4, first 2 shown]
	s_and_b32 exec_lo, exec_lo, s3
	s_cbranch_execz .LBB450_2
; %bb.112:
	ds_load_b128 v[3:6], v0 offset:512
	s_add_i32 s1, s31, 8
	s_delay_alu instid0(SALU_CYCLE_1) | instskip(NEXT) | instid1(SALU_CYCLE_1)
	s_mul_i32 s0, s1, s0
	s_ashr_i32 s1, s0, 31
	s_delay_alu instid0(SALU_CYCLE_1) | instskip(NEXT) | instid1(SALU_CYCLE_1)
	s_lshl_b64 s[0:1], s[0:1], 1
	v_add_co_u32 v0, vcc_lo, v1, s0
	v_add_co_ci_u32_e32 v1, vcc_lo, s1, v2, vcc_lo
	s_waitcnt lgkmcnt(0)
	global_store_b128 v[0:1], v[3:6], off
	s_nop 0
	s_sendmsg sendmsg(MSG_DEALLOC_VGPRS)
	s_endpgm
	.section	.rodata,"a",@progbits
	.p2align	6, 0x0
	.amdhsa_kernel _Z39paged_attention_ll4mi_QKV_mfma16_kernelI14__hip_bfloat16S0_LN4vllm18Fp8KVCacheDataTypeE0ES0_Li16ELi64ELi256ELb1ELi9EL8MFMAType0EEvPKT_PKT0_S9_ifPKiSB_SB_iPKfiiiPfSE_PS4_PT2_iSD_SD_
		.amdhsa_group_segment_fixed_size 17472
		.amdhsa_private_segment_fixed_size 0
		.amdhsa_kernarg_size 400
		.amdhsa_user_sgpr_count 13
		.amdhsa_user_sgpr_dispatch_ptr 0
		.amdhsa_user_sgpr_queue_ptr 0
		.amdhsa_user_sgpr_kernarg_segment_ptr 1
		.amdhsa_user_sgpr_dispatch_id 0
		.amdhsa_user_sgpr_private_segment_size 0
		.amdhsa_wavefront_size32 1
		.amdhsa_uses_dynamic_stack 0
		.amdhsa_enable_private_segment 0
		.amdhsa_system_sgpr_workgroup_id_x 1
		.amdhsa_system_sgpr_workgroup_id_y 1
		.amdhsa_system_sgpr_workgroup_id_z 1
		.amdhsa_system_sgpr_workgroup_info 0
		.amdhsa_system_vgpr_workitem_id 0
		.amdhsa_next_free_vgpr 198
		.amdhsa_next_free_sgpr 52
		.amdhsa_reserve_vcc 1
		.amdhsa_float_round_mode_32 0
		.amdhsa_float_round_mode_16_64 0
		.amdhsa_float_denorm_mode_32 3
		.amdhsa_float_denorm_mode_16_64 3
		.amdhsa_dx10_clamp 1
		.amdhsa_ieee_mode 1
		.amdhsa_fp16_overflow 0
		.amdhsa_workgroup_processor_mode 1
		.amdhsa_memory_ordered 1
		.amdhsa_forward_progress 0
		.amdhsa_shared_vgpr_count 0
		.amdhsa_exception_fp_ieee_invalid_op 0
		.amdhsa_exception_fp_denorm_src 0
		.amdhsa_exception_fp_ieee_div_zero 0
		.amdhsa_exception_fp_ieee_overflow 0
		.amdhsa_exception_fp_ieee_underflow 0
		.amdhsa_exception_fp_ieee_inexact 0
		.amdhsa_exception_int_div_zero 0
	.end_amdhsa_kernel
	.section	.text._Z39paged_attention_ll4mi_QKV_mfma16_kernelI14__hip_bfloat16S0_LN4vllm18Fp8KVCacheDataTypeE0ES0_Li16ELi64ELi256ELb1ELi9EL8MFMAType0EEvPKT_PKT0_S9_ifPKiSB_SB_iPKfiiiPfSE_PS4_PT2_iSD_SD_,"axG",@progbits,_Z39paged_attention_ll4mi_QKV_mfma16_kernelI14__hip_bfloat16S0_LN4vllm18Fp8KVCacheDataTypeE0ES0_Li16ELi64ELi256ELb1ELi9EL8MFMAType0EEvPKT_PKT0_S9_ifPKiSB_SB_iPKfiiiPfSE_PS4_PT2_iSD_SD_,comdat
.Lfunc_end450:
	.size	_Z39paged_attention_ll4mi_QKV_mfma16_kernelI14__hip_bfloat16S0_LN4vllm18Fp8KVCacheDataTypeE0ES0_Li16ELi64ELi256ELb1ELi9EL8MFMAType0EEvPKT_PKT0_S9_ifPKiSB_SB_iPKfiiiPfSE_PS4_PT2_iSD_SD_, .Lfunc_end450-_Z39paged_attention_ll4mi_QKV_mfma16_kernelI14__hip_bfloat16S0_LN4vllm18Fp8KVCacheDataTypeE0ES0_Li16ELi64ELi256ELb1ELi9EL8MFMAType0EEvPKT_PKT0_S9_ifPKiSB_SB_iPKfiiiPfSE_PS4_PT2_iSD_SD_
                                        ; -- End function
	.section	.AMDGPU.csdata,"",@progbits
; Kernel info:
; codeLenInByte = 10152
; NumSgprs: 54
; NumVgprs: 198
; ScratchSize: 0
; MemoryBound: 0
; FloatMode: 240
; IeeeMode: 1
; LDSByteSize: 17472 bytes/workgroup (compile time only)
; SGPRBlocks: 6
; VGPRBlocks: 24
; NumSGPRsForWavesPerEU: 54
; NumVGPRsForWavesPerEU: 198
; Occupancy: 7
; WaveLimiterHint : 1
; COMPUTE_PGM_RSRC2:SCRATCH_EN: 0
; COMPUTE_PGM_RSRC2:USER_SGPR: 13
; COMPUTE_PGM_RSRC2:TRAP_HANDLER: 0
; COMPUTE_PGM_RSRC2:TGID_X_EN: 1
; COMPUTE_PGM_RSRC2:TGID_Y_EN: 1
; COMPUTE_PGM_RSRC2:TGID_Z_EN: 1
; COMPUTE_PGM_RSRC2:TIDIG_COMP_CNT: 0
	.section	.text._Z39paged_attention_ll4mi_QKV_mfma16_kernelI14__hip_bfloat16S0_LN4vllm18Fp8KVCacheDataTypeE0ES0_Li16ELi64ELi256ELb1ELi10EL8MFMAType0EEvPKT_PKT0_S9_ifPKiSB_SB_iPKfiiiPfSE_PS4_PT2_iSD_SD_,"axG",@progbits,_Z39paged_attention_ll4mi_QKV_mfma16_kernelI14__hip_bfloat16S0_LN4vllm18Fp8KVCacheDataTypeE0ES0_Li16ELi64ELi256ELb1ELi10EL8MFMAType0EEvPKT_PKT0_S9_ifPKiSB_SB_iPKfiiiPfSE_PS4_PT2_iSD_SD_,comdat
	.protected	_Z39paged_attention_ll4mi_QKV_mfma16_kernelI14__hip_bfloat16S0_LN4vllm18Fp8KVCacheDataTypeE0ES0_Li16ELi64ELi256ELb1ELi10EL8MFMAType0EEvPKT_PKT0_S9_ifPKiSB_SB_iPKfiiiPfSE_PS4_PT2_iSD_SD_ ; -- Begin function _Z39paged_attention_ll4mi_QKV_mfma16_kernelI14__hip_bfloat16S0_LN4vllm18Fp8KVCacheDataTypeE0ES0_Li16ELi64ELi256ELb1ELi10EL8MFMAType0EEvPKT_PKT0_S9_ifPKiSB_SB_iPKfiiiPfSE_PS4_PT2_iSD_SD_
	.globl	_Z39paged_attention_ll4mi_QKV_mfma16_kernelI14__hip_bfloat16S0_LN4vllm18Fp8KVCacheDataTypeE0ES0_Li16ELi64ELi256ELb1ELi10EL8MFMAType0EEvPKT_PKT0_S9_ifPKiSB_SB_iPKfiiiPfSE_PS4_PT2_iSD_SD_
	.p2align	8
	.type	_Z39paged_attention_ll4mi_QKV_mfma16_kernelI14__hip_bfloat16S0_LN4vllm18Fp8KVCacheDataTypeE0ES0_Li16ELi64ELi256ELb1ELi10EL8MFMAType0EEvPKT_PKT0_S9_ifPKiSB_SB_iPKfiiiPfSE_PS4_PT2_iSD_SD_,@function
_Z39paged_attention_ll4mi_QKV_mfma16_kernelI14__hip_bfloat16S0_LN4vllm18Fp8KVCacheDataTypeE0ES0_Li16ELi64ELi256ELb1ELi10EL8MFMAType0EEvPKT_PKT0_S9_ifPKiSB_SB_iPKfiiiPfSE_PS4_PT2_iSD_SD_: ; @_Z39paged_attention_ll4mi_QKV_mfma16_kernelI14__hip_bfloat16S0_LN4vllm18Fp8KVCacheDataTypeE0ES0_Li16ELi64ELi256ELb1ELi10EL8MFMAType0EEvPKT_PKT0_S9_ifPKiSB_SB_iPKfiiiPfSE_PS4_PT2_iSD_SD_
; %bb.0:
	s_load_b64 s[2:3], s[0:1], 0x30
	s_mov_b32 s30, s13
	s_waitcnt lgkmcnt(0)
	s_cmp_lg_u64 s[2:3], 0
	s_cselect_b32 s6, -1, 0
	s_ashr_i32 s31, s13, 31
	s_cmp_eq_u64 s[2:3], 0
	s_cbranch_scc1 .LBB451_3
; %bb.1:
	s_lshl_b64 s[4:5], s[30:31], 2
	s_delay_alu instid0(SALU_CYCLE_1) | instskip(SKIP_4) | instid1(SALU_CYCLE_1)
	s_add_u32 s4, s2, s4
	s_addc_u32 s5, s3, s5
	s_load_b64 s[4:5], s[4:5], 0x0
	s_waitcnt lgkmcnt(0)
	s_sub_i32 s4, s5, s4
	s_cmp_eq_u32 s4, 1
	s_cselect_b32 s4, -1, 0
	s_delay_alu instid0(SALU_CYCLE_1)
	s_and_not1_b32 vcc_lo, exec_lo, s4
	s_cbranch_vccz .LBB451_4
.LBB451_2:
	s_endpgm
.LBB451_3:
.LBB451_4:
	s_load_b64 s[8:9], s[0:1], 0x28
	s_lshl_b64 s[4:5], s[30:31], 2
	s_waitcnt lgkmcnt(0)
	s_add_u32 s8, s8, s4
	s_addc_u32 s9, s9, s5
	s_lshl_b32 s34, s14, 8
	s_load_b32 s33, s[8:9], 0x0
	s_waitcnt lgkmcnt(0)
	s_cmp_ge_i32 s34, s33
	s_cbranch_scc1 .LBB451_2
; %bb.5:
	s_clause 0x1
	s_load_b128 s[8:11], s[0:1], 0x8
	s_load_b64 s[12:13], s[0:1], 0x20
	s_and_not1_b32 vcc_lo, exec_lo, s6
	s_cbranch_vccnz .LBB451_7
; %bb.6:
	s_add_u32 s2, s2, s4
	s_addc_u32 s3, s3, s5
	s_load_b32 s3, s[2:3], 0x0
	s_branch .LBB451_8
.LBB451_7:
	s_mov_b32 s3, s30
.LBB451_8:
	s_load_b128 s[4:7], s[0:1], 0x48
	v_and_b32_e32 v148, 15, v0
	v_cmp_gt_u32_e32 vcc_lo, 0xa0, v0
	v_lshrrev_b32_e32 v149, 5, v0
	v_and_b32_e32 v150, 31, v0
	v_and_b32_e32 v147, 1, v0
	v_lshlrev_b32_e32 v1, 3, v148
	v_cmp_gt_u32_e64 s2, 8, v148
	v_bfe_u32 v146, v0, 4, 1
	s_mul_i32 s31, s15, 10
	s_delay_alu instid0(VALU_DEP_3) | instskip(NEXT) | instid1(VALU_DEP_3)
	v_lshlrev_b32_e32 v145, 1, v1
	s_and_b32 s16, vcc_lo, s2
	s_waitcnt lgkmcnt(0)
	s_and_saveexec_b32 s7, s16
	s_cbranch_execz .LBB451_10
; %bb.9:
	s_load_b64 s[16:17], s[0:1], 0x0
	v_lshl_or_b32 v5, v149, 1, v146
	s_mul_hi_i32 s19, s3, s4
	s_mul_i32 s18, s3, s4
	v_lshlrev_b32_e32 v6, 10, v148
	s_lshl_b64 s[18:19], s[18:19], 1
	v_add_lshl_u32 v1, v5, s31, 6
	v_lshlrev_b32_e32 v5, 6, v5
	v_lshlrev_b32_e32 v7, 10, v147
	v_and_b32_e32 v6, 0x3800, v6
	s_delay_alu instid0(VALU_DEP_4) | instskip(NEXT) | instid1(VALU_DEP_2)
	v_ashrrev_i32_e32 v2, 31, v1
	v_or3_b32 v5, v6, v7, v5
	s_delay_alu instid0(VALU_DEP_2) | instskip(SKIP_3) | instid1(VALU_DEP_1)
	v_lshlrev_b64 v[1:2], 1, v[1:2]
	s_waitcnt lgkmcnt(0)
	s_add_u32 s3, s16, s18
	s_addc_u32 s4, s17, s19
	v_add_co_u32 v1, vcc_lo, s3, v1
	s_delay_alu instid0(VALU_DEP_2) | instskip(NEXT) | instid1(VALU_DEP_2)
	v_add_co_ci_u32_e32 v2, vcc_lo, s4, v2, vcc_lo
	v_add_co_u32 v1, vcc_lo, v1, v145
	s_delay_alu instid0(VALU_DEP_2)
	v_add_co_ci_u32_e32 v2, vcc_lo, 0, v2, vcc_lo
	global_load_b128 v[1:4], v[1:2], off
	s_waitcnt vmcnt(0)
	ds_store_b128 v5, v[1:4]
.LBB451_10:
	s_or_b32 exec_lo, exec_lo, s7
	s_mov_b32 s40, 0
	s_add_i32 s3, s33, 15
	s_mov_b32 s41, s40
	s_mov_b32 s42, s40
	;; [unrolled: 1-line block ×7, first 2 shown]
	s_delay_alu instid0(SALU_CYCLE_1)
	v_dual_mov_b32 v144, s47 :: v_dual_and_b32 v1, 0xef, v0
	v_mov_b32_e32 v142, s45
	s_ashr_i32 s7, s3, 31
	s_clause 0x1
	s_load_b32 s4, s[0:1], 0x38
	s_load_b32 s35, s[0:1], 0x1c
	v_add_nc_u32_e32 v1, s34, v1
	s_lshr_b32 s7, s7, 28
	s_waitcnt lgkmcnt(0)
	s_add_i32 s3, s3, s7
	s_barrier
	v_ashrrev_i32_e32 v2, 31, v1
	v_or_b32_e32 v3, 16, v1
	s_ashr_i32 s3, s3, 4
	v_cmp_gt_i32_e32 vcc_lo, s33, v1
	s_add_i32 s3, s3, -1
	v_lshrrev_b32_e32 v2, 28, v2
	v_mov_b32_e32 v143, s46
	buffer_gl0_inv
	s_mul_i32 s6, s15, s6
	v_add_nc_u32_e32 v21, -10, v148
	v_dual_mov_b32 v141, s44 :: v_dual_add_nc_u32 v4, v1, v2
	v_mov_b32_e32 v139, s42
	s_mul_i32 s16, s30, s4
	v_mov_b32_e32 v137, s40
	s_delay_alu instid0(VALU_DEP_3)
	v_ashrrev_i32_e32 v4, 4, v4
	v_add_nc_u32_e32 v2, v3, v2
	v_lshlrev_b32_e32 v22, 5, v148
	s_ashr_i32 s17, s16, 31
	v_mov_b32_e32 v140, s43
	v_cndmask_b32_e32 v1, s3, v4, vcc_lo
	v_ashrrev_i32_e32 v2, 4, v2
	v_cmp_gt_i32_e32 vcc_lo, s33, v3
	s_lshl_b64 s[16:17], s[16:17], 2
	v_lshl_or_b32 v22, v149, 9, v22
	s_add_u32 s4, s12, s16
	s_addc_u32 s36, s13, s17
	v_cndmask_b32_e32 v3, s3, v2, vcc_lo
	v_ashrrev_i32_e32 v2, 31, v1
	s_ashr_i32 s7, s6, 31
	v_mov_b32_e32 v138, s41
	s_lshl_b64 s[6:7], s[6:7], 1
	v_ashrrev_i32_e32 v4, 31, v3
	v_lshlrev_b64 v[1:2], 2, v[1:2]
	s_add_u32 s24, s8, s6
	s_addc_u32 s25, s9, s7
	s_lshl_b32 s8, s14, 4
	v_lshlrev_b64 v[3:4], 2, v[3:4]
	s_ashr_i32 s9, s8, 31
	v_add_co_u32 v1, vcc_lo, s4, v1
	v_add_co_ci_u32_e32 v2, vcc_lo, s36, v2, vcc_lo
	s_delay_alu instid0(VALU_DEP_3) | instskip(NEXT) | instid1(VALU_DEP_4)
	v_add_co_u32 v3, vcc_lo, s4, v3
	v_add_co_ci_u32_e32 v4, vcc_lo, s36, v4, vcc_lo
	s_clause 0x1
	global_load_b32 v5, v[1:2], off
	global_load_b32 v6, v[3:4], off
	s_lshl_b64 s[8:9], s[8:9], 2
	v_lshlrev_b32_e32 v3, 4, v0
	s_add_u32 s8, s4, s8
	s_addc_u32 s9, s36, s9
	s_or_b32 s12, s34, 16
	s_delay_alu instid0(SALU_CYCLE_1) | instskip(SKIP_2) | instid1(SALU_CYCLE_1)
	s_ashr_i32 s13, s12, 4
	s_cmp_lt_i32 s12, s33
	s_cselect_b32 s12, s13, s3
	s_ashr_i32 s13, s12, 31
	s_delay_alu instid0(SALU_CYCLE_1) | instskip(NEXT) | instid1(SALU_CYCLE_1)
	s_lshl_b64 s[12:13], s[12:13], 2
	s_add_u32 s12, s4, s12
	s_addc_u32 s13, s36, s13
	s_or_b32 s15, s34, 32
	s_delay_alu instid0(SALU_CYCLE_1) | instskip(SKIP_2) | instid1(SALU_CYCLE_1)
	s_ashr_i32 s16, s15, 4
	s_cmp_lt_i32 s15, s33
	s_cselect_b32 s16, s16, s3
	s_ashr_i32 s17, s16, 31
	s_delay_alu instid0(SALU_CYCLE_1) | instskip(NEXT) | instid1(SALU_CYCLE_1)
	s_lshl_b64 s[16:17], s[16:17], 2
	;; [unrolled: 10-line block ×5, first 2 shown]
	s_add_u32 s22, s4, s22
	s_addc_u32 s23, s36, s23
	s_clause 0x5
	s_load_b32 s8, s[8:9], 0x0
	s_load_b32 s12, s[12:13], 0x0
	;; [unrolled: 1-line block ×6, first 2 shown]
	s_waitcnt lgkmcnt(0)
	s_mul_hi_i32 s17, s16, s5
	s_mul_i32 s16, s16, s5
	s_waitcnt vmcnt(1)
	v_mad_i64_i32 v[1:2], null, v5, s5, 0
	v_and_b32_e32 v5, 0xf0, v3
	s_waitcnt vmcnt(0)
	v_mad_i64_i32 v[3:4], null, v6, s5, 0
	s_delay_alu instid0(VALU_DEP_2) | instskip(NEXT) | instid1(VALU_DEP_4)
	v_add_co_u32 v5, s9, s24, v5
	v_lshlrev_b64 v[1:2], 1, v[1:2]
	v_add_co_ci_u32_e64 v6, null, s25, 0, s9
	s_delay_alu instid0(VALU_DEP_4) | instskip(SKIP_1) | instid1(VALU_DEP_3)
	v_lshlrev_b64 v[3:4], 1, v[3:4]
	s_or_b32 s9, s34, 0x60
	v_add_co_u32 v19, vcc_lo, v5, v1
	s_delay_alu instid0(VALU_DEP_3) | instskip(NEXT) | instid1(VALU_DEP_3)
	v_add_co_ci_u32_e32 v20, vcc_lo, v6, v2, vcc_lo
	v_add_co_u32 v17, vcc_lo, v5, v3
	s_delay_alu instid0(VALU_DEP_4)
	v_add_co_ci_u32_e32 v18, vcc_lo, v6, v4, vcc_lo
	s_clause 0x9
	global_load_b128 v[1:4], v[19:20], off
	global_load_b128 v[5:8], v[19:20], off offset:256
	global_load_b128 v[129:132], v[17:18], off
	global_load_b128 v[133:136], v[17:18], off offset:256
	global_load_b128 v[33:36], v[19:20], off offset:512
	;; [unrolled: 1-line block ×7, first 2 shown]
	v_cmp_gt_u32_e32 vcc_lo, 10, v148
	s_clause 0x1
	global_load_b128 v[151:154], v[17:18], off offset:1024
	global_load_b128 v[155:158], v[17:18], off offset:1280
	s_ashr_i32 s13, s9, 4
	s_cmp_lt_i32 s9, s33
	v_cndmask_b32_e32 v21, v21, v148, vcc_lo
	s_cselect_b32 s22, s13, s3
	s_delay_alu instid0(SALU_CYCLE_1) | instskip(NEXT) | instid1(VALU_DEP_1)
	s_ashr_i32 s23, s22, 31
	v_lshlrev_b32_e32 v197, 6, v21
	ds_load_b128 v[159:162], v197
	ds_load_b128 v[163:166], v197 offset:1024
	s_clause 0x3
	global_load_b128 v[167:170], v[19:20], off offset:1536
	global_load_b128 v[171:174], v[19:20], off offset:1792
	;; [unrolled: 1-line block ×4, first 2 shown]
	s_lshl_b64 s[22:23], s[22:23], 2
	s_delay_alu instid0(SALU_CYCLE_1) | instskip(SKIP_2) | instid1(SALU_CYCLE_1)
	s_add_u32 s22, s4, s22
	s_addc_u32 s23, s36, s23
	s_or_b32 s9, s34, 0x70
	s_ashr_i32 s13, s9, 4
	s_cmp_lt_i32 s9, s33
	s_cselect_b32 s24, s13, s3
	s_delay_alu instid0(SALU_CYCLE_1) | instskip(NEXT) | instid1(SALU_CYCLE_1)
	s_ashr_i32 s25, s24, 31
	s_lshl_b64 s[24:25], s[24:25], 2
	s_delay_alu instid0(SALU_CYCLE_1)
	s_add_u32 s24, s4, s24
	s_addc_u32 s25, s36, s25
	s_or_b32 s9, s34, 0x80
	s_load_b32 s46, s[24:25], 0x0
	s_ashr_i32 s13, s9, 4
	s_cmp_lt_i32 s9, s33
	s_cselect_b32 s26, s13, s3
	s_delay_alu instid0(SALU_CYCLE_1) | instskip(NEXT) | instid1(SALU_CYCLE_1)
	s_ashr_i32 s27, s26, 31
	s_lshl_b64 s[26:27], s[26:27], 2
	s_delay_alu instid0(SALU_CYCLE_1)
	s_add_u32 s26, s4, s26
	s_addc_u32 s27, s36, s27
	s_or_b32 s9, s34, 0x90
	s_load_b32 s47, s[26:27], 0x0
	s_ashr_i32 s13, s9, 4
	s_cmp_lt_i32 s9, s33
	s_cselect_b32 s28, s13, s3
	s_delay_alu instid0(SALU_CYCLE_1) | instskip(NEXT) | instid1(SALU_CYCLE_1)
	s_ashr_i32 s29, s28, 31
	s_lshl_b64 s[28:29], s[28:29], 2
	s_delay_alu instid0(SALU_CYCLE_1) | instskip(SKIP_2) | instid1(SALU_CYCLE_1)
	s_add_u32 s28, s4, s28
	s_addc_u32 s29, s36, s29
	s_or_b32 s9, s34, 0xa0
	s_ashr_i32 s13, s9, 4
	s_cmp_lt_i32 s9, s33
	s_cselect_b32 s38, s13, s3
	s_delay_alu instid0(SALU_CYCLE_1) | instskip(NEXT) | instid1(SALU_CYCLE_1)
	s_ashr_i32 s39, s38, 31
	s_lshl_b64 s[38:39], s[38:39], 2
	s_delay_alu instid0(SALU_CYCLE_1)
	s_add_u32 s38, s4, s38
	s_addc_u32 s39, s36, s39
	s_or_b32 s9, s34, 0xb0
	s_load_b32 s39, s[38:39], 0x0
	s_ashr_i32 s13, s9, 4
	s_cmp_lt_i32 s9, s33
	s_mul_hi_i32 s9, s8, s5
	s_cselect_b32 s40, s13, s3
	s_mul_i32 s8, s8, s5
	s_ashr_i32 s41, s40, 31
	s_mul_hi_i32 s13, s12, s5
	s_lshl_b64 s[40:41], s[40:41], 2
	s_mul_i32 s12, s12, s5
	s_add_u32 s42, s4, s40
	s_addc_u32 s43, s36, s41
	s_or_b32 s19, s34, 0xc0
	s_delay_alu instid0(SALU_CYCLE_1)
	s_ashr_i32 s21, s19, 4
	s_cmp_lt_i32 s19, s33
	s_mul_hi_i32 s19, s18, s5
	s_cselect_b32 s40, s21, s3
	s_mul_i32 s18, s18, s5
	s_ashr_i32 s41, s40, 31
	s_mul_hi_i32 s21, s20, s5
	s_lshl_b64 s[40:41], s[40:41], 2
	s_mul_i32 s20, s20, s5
	s_add_u32 s44, s4, s40
	s_load_b32 s40, s[28:29], 0x0
	s_addc_u32 s45, s36, s41
	s_or_b32 s37, s34, 0xd0
	s_load_b32 s41, s[22:23], 0x0
	s_ashr_i32 s22, s37, 4
	s_cmp_lt_i32 s37, s33
	s_mul_hi_i32 s23, s15, s5
	s_cselect_b32 s24, s22, s3
	s_mul_i32 s22, s15, s5
	s_ashr_i32 s25, s24, 31
	s_waitcnt lgkmcnt(0)
	s_mul_hi_i32 s27, s46, s5
	s_lshl_b64 s[24:25], s[24:25], 2
	s_mul_i32 s26, s46, s5
	s_add_u32 s24, s4, s24
	s_addc_u32 s25, s36, s25
	s_or_b32 s48, s34, 0xe0
	s_clause 0x2
	s_load_b32 s38, s[42:43], 0x0
	s_load_b32 s37, s[44:45], 0x0
	;; [unrolled: 1-line block ×3, first 2 shown]
	s_ashr_i32 s49, s48, 4
	s_cmp_lt_i32 s48, s33
	s_mul_hi_i32 s29, s47, s5
	s_cselect_b32 s42, s49, s3
	s_mul_i32 s28, s47, s5
	s_ashr_i32 s43, s42, 31
	s_mul_hi_i32 s25, s41, s5
	s_lshl_b64 s[42:43], s[42:43], 2
	s_mul_i32 s24, s41, s5
	s_add_u32 s42, s4, s42
	s_addc_u32 s43, s36, s43
	s_or_b32 s46, s34, 0xf0
	s_mul_hi_i32 s41, s40, s5
	s_ashr_i32 s47, s46, 4
	s_cmp_lt_i32 s46, s33
	s_mul_i32 s40, s40, s5
	s_cselect_b32 s46, s47, s3
	s_mul_hi_i32 s45, s39, s5
	s_ashr_i32 s47, s46, 31
	s_mul_i32 s44, s39, s5
	s_lshl_b64 s[46:47], s[46:47], 2
	s_waitcnt lgkmcnt(0)
	s_mul_hi_i32 s39, s38, s5
	s_add_u32 s46, s4, s46
	s_addc_u32 s47, s36, s47
	s_add_u32 s3, s10, s6
	s_addc_u32 s4, s11, s7
	v_add_co_u32 v195, s3, s3, v22
	s_delay_alu instid0(VALU_DEP_1) | instskip(SKIP_2) | instid1(VALU_DEP_2)
	v_add_co_ci_u32_e64 v196, null, s4, 0, s3
	s_lshl_b64 s[6:7], s[8:9], 1
	s_lshl_b64 s[8:9], s[12:13], 1
	v_add_co_u32 v17, vcc_lo, v195, s6
	s_delay_alu instid0(VALU_DEP_2)
	v_add_co_ci_u32_e32 v18, vcc_lo, s7, v196, vcc_lo
	v_add_co_u32 v19, vcc_lo, v195, s8
	s_lshl_b64 s[10:11], s[16:17], 1
	v_add_co_ci_u32_e32 v20, vcc_lo, s9, v196, vcc_lo
	v_add_co_u32 v21, vcc_lo, v195, s10
	s_lshl_b64 s[12:13], s[18:19], 1
	;; [unrolled: 3-line block ×9, first 2 shown]
	s_mul_i32 s38, s38, s5
	v_add_co_ci_u32_e32 v54, vcc_lo, s27, v196, vcc_lo
	v_add_co_u32 v183, vcc_lo, v195, s28
	s_mul_hi_i32 s49, s37, s5
	s_mul_i32 s48, s37, s5
	s_lshl_b64 s[36:37], s[38:39], 1
	v_add_co_ci_u32_e32 v184, vcc_lo, s29, v196, vcc_lo
	v_add_co_u32 v185, vcc_lo, v195, s36
	s_lshl_b64 s[38:39], s[48:49], 1
	s_clause 0x1
	s_load_b32 s3, s[42:43], 0x0
	s_load_b32 s4, s[46:47], 0x0
	v_add_co_ci_u32_e32 v186, vcc_lo, s37, v196, vcc_lo
	v_add_co_u32 v191, vcc_lo, v195, s38
	v_add_co_ci_u32_e32 v192, vcc_lo, s39, v196, vcc_lo
	s_clause 0x17
	global_load_b128 v[121:124], v[17:18], off
	global_load_b128 v[125:128], v[17:18], off offset:16
	global_load_b128 v[113:116], v[19:20], off
	global_load_b128 v[117:120], v[19:20], off offset:16
	;; [unrolled: 2-line block ×12, first 2 shown]
	s_mul_hi_i32 s51, s15, s5
	s_mul_i32 s50, s15, s5
	s_delay_alu instid0(SALU_CYCLE_1) | instskip(NEXT) | instid1(SALU_CYCLE_1)
	s_lshl_b64 s[40:41], s[50:51], 1
	v_add_co_u32 v193, vcc_lo, v195, s40
	v_add_co_ci_u32_e32 v194, vcc_lo, s41, v196, vcc_lo
	s_waitcnt lgkmcnt(0)
	s_mul_hi_i32 s7, s3, s5
	s_mul_i32 s6, s3, s5
	s_mul_hi_i32 s9, s4, s5
	s_lshl_b64 s[6:7], s[6:7], 1
	s_mul_i32 s8, s4, s5
	s_delay_alu instid0(SALU_CYCLE_1)
	s_lshl_b64 s[4:5], s[8:9], 1
	s_waitcnt vmcnt(38)
	v_wmma_f32_16x16x16_bf16 v[183:190], v[1:8], v[159:166], v[137:144]
	s_waitcnt vmcnt(36)
	v_wmma_f32_16x16x16_bf16 v[137:144], v[129:136], v[159:166], v[137:144]
	s_clause 0x1
	global_load_b128 v[1:4], v[191:192], off
	global_load_b128 v[5:8], v[191:192], off offset:16
	ds_load_b128 v[129:132], v197 offset:2048
	ds_load_b128 v[133:136], v197 offset:3072
	;; [unrolled: 1-line block ×4, first 2 shown]
	v_add_co_u32 v191, vcc_lo, v195, s6
	v_add_co_ci_u32_e32 v192, vcc_lo, s7, v196, vcc_lo
	v_add_co_u32 v195, vcc_lo, v195, s4
	v_add_co_ci_u32_e32 v196, vcc_lo, s5, v196, vcc_lo
	s_waitcnt vmcnt(36) lgkmcnt(2)
	v_wmma_f32_16x16x16_bf16 v[183:190], v[33:40], v[129:136], v[183:190]
	s_waitcnt vmcnt(34)
	v_wmma_f32_16x16x16_bf16 v[137:144], v[25:32], v[129:136], v[137:144]
	s_clause 0x3
	global_load_b128 v[25:28], v[193:194], off
	global_load_b128 v[29:32], v[193:194], off offset:16
	global_load_b128 v[33:36], v[191:192], off
	global_load_b128 v[37:40], v[191:192], off offset:16
	v_and_b32_e32 v129, 0xe0, v0
	v_mbcnt_lo_u32_b32 v191, -1, 0
	s_waitcnt vmcnt(36) lgkmcnt(0)
	v_wmma_f32_16x16x16_bf16 v[183:190], v[9:16], v[159:166], v[183:190]
	s_clause 0x1
	global_load_b128 v[9:12], v[195:196], off
	global_load_b128 v[13:16], v[195:196], off offset:16
	s_waitcnt vmcnt(36)
	v_wmma_f32_16x16x16_bf16 v[137:144], v[151:158], v[159:166], v[137:144]
	v_add_nc_u32_e32 v192, s34, v129
	ds_load_b128 v[129:132], v197 offset:6144
	ds_load_b128 v[133:136], v197 offset:7168
	v_xor_b32_e32 v151, 16, v191
	s_waitcnt vmcnt(0) lgkmcnt(0)
	s_barrier
	v_or_b32_e32 v152, v192, v146
	buffer_gl0_inv
	v_cmp_gt_i32_e32 vcc_lo, 32, v151
	v_or_b32_e32 v153, 2, v152
	v_or_b32_e32 v154, 4, v152
	;; [unrolled: 1-line block ×5, first 2 shown]
	v_cmp_gt_i32_e64 s3, s33, v153
	v_cmp_gt_i32_e64 s4, s33, v154
	;; [unrolled: 1-line block ×3, first 2 shown]
	v_or_b32_e32 v158, 12, v152
	v_or_b32_e32 v159, 14, v152
	v_cmp_gt_i32_e64 s6, s33, v156
	v_wmma_f32_16x16x16_bf16 v[183:190], v[167:174], v[129:136], v[183:190]
	v_wmma_f32_16x16x16_bf16 v[137:144], v[175:182], v[129:136], v[137:144]
	v_cndmask_b32_e32 v151, v191, v151, vcc_lo
	v_cmp_gt_i32_e32 vcc_lo, s33, v152
	v_cmp_gt_i32_e64 s7, s33, v157
	v_dual_mul_f32 v135, s35, v184 :: v_dual_mul_f32 v136, s35, v183
	v_dual_mul_f32 v133, s35, v186 :: v_dual_mul_f32 v134, s35, v185
	;; [unrolled: 1-line block ×3, first 2 shown]
	s_delay_alu instid0(VALU_DEP_3) | instskip(NEXT) | instid1(VALU_DEP_4)
	v_cndmask_b32_e32 v136, 0xff7fffff, v136, vcc_lo
	v_cndmask_b32_e64 v135, 0xff7fffff, v135, s3
	v_mul_f32_e32 v132, s35, v187
	v_cndmask_b32_e64 v134, 0xff7fffff, v134, s4
	v_cndmask_b32_e64 v133, 0xff7fffff, v133, s5
	v_or_b32_e32 v160, 16, v152
	v_max3_f32 v135, v136, 0xff7fffff, v135
	v_or_b32_e32 v161, 18, v152
	v_mul_f32_e32 v130, s35, v189
	v_dual_mul_f32 v172, s35, v140 :: v_dual_mul_f32 v129, s35, v190
	v_cndmask_b32_e64 v132, 0xff7fffff, v132, s6
	v_cndmask_b32_e64 v131, 0xff7fffff, v131, s7
	v_max3_f32 v133, v135, v134, v133
	v_cmp_gt_i32_e64 s8, s33, v158
	v_lshlrev_b32_e32 v158, 2, v151
	v_cmp_gt_i32_e64 s9, s33, v159
	v_or_b32_e32 v162, 20, v152
	v_or_b32_e32 v163, 22, v152
	v_mul_f32_e32 v175, s35, v137
	v_cndmask_b32_e64 v130, 0xff7fffff, v130, s8
	v_cndmask_b32_e64 v129, 0xff7fffff, v129, s9
	v_max3_f32 v131, v133, v132, v131
	v_cmp_gt_i32_e64 s10, s33, v160
	v_cmp_gt_i32_e64 s11, s33, v161
	v_or_b32_e32 v164, 24, v152
	v_or_b32_e32 v165, 26, v152
	v_mul_f32_e32 v173, s35, v139
	v_cndmask_b32_e64 v132, 0xff7fffff, v175, s10
	v_cndmask_b32_e64 v133, 0xff7fffff, v174, s11
	v_max3_f32 v129, v131, v130, v129
	v_cmp_gt_i32_e64 s12, s33, v162
	v_cmp_gt_i32_e64 s13, s33, v163
	v_or_b32_e32 v166, 28, v152
	v_or_b32_e32 v167, 30, v152
	v_dual_mul_f32 v170, s35, v142 :: v_dual_mul_f32 v171, s35, v141
	v_cndmask_b32_e64 v130, 0xff7fffff, v173, s12
	v_cndmask_b32_e64 v131, 0xff7fffff, v172, s13
	v_max3_f32 v129, v129, v132, v133
	v_cmp_gt_i32_e64 s15, s33, v164
	v_cmp_gt_i32_e64 s16, s33, v165
	v_dual_mul_f32 v168, s35, v144 :: v_dual_mul_f32 v169, s35, v143
	s_delay_alu instid0(VALU_DEP_4) | instskip(NEXT) | instid1(VALU_DEP_4)
	v_max3_f32 v129, v129, v130, v131
	v_cndmask_b32_e64 v132, 0xff7fffff, v171, s15
	s_delay_alu instid0(VALU_DEP_4) | instskip(SKIP_2) | instid1(VALU_DEP_3)
	v_cndmask_b32_e64 v133, 0xff7fffff, v170, s16
	v_cmp_gt_i32_e64 s17, s33, v166
	v_cmp_gt_i32_e64 s18, s33, v167
	v_max3_f32 v129, v129, v132, v133
	s_delay_alu instid0(VALU_DEP_3) | instskip(NEXT) | instid1(VALU_DEP_3)
	v_cndmask_b32_e64 v130, 0xff7fffff, v169, s17
	v_cndmask_b32_e64 v131, 0xff7fffff, v168, s18
	s_delay_alu instid0(VALU_DEP_1) | instskip(SKIP_3) | instid1(VALU_DEP_1)
	v_max3_f32 v129, v129, v130, v131
	ds_bpermute_b32 v130, v158, v129
	s_waitcnt lgkmcnt(0)
	v_max_f32_e32 v130, v130, v130
	v_max_f32_e32 v129, v129, v130
	s_delay_alu instid0(VALU_DEP_1)
	v_fma_f32 v130, s35, v183, -v129
	v_fma_f32 v132, s35, v185, -v129
	;; [unrolled: 1-line block ×5, first 2 shown]
	v_mul_f32_e32 v130, 0x3fb8aa3b, v130
	v_mul_f32_e32 v132, 0x3fb8aa3b, v132
	;; [unrolled: 1-line block ×3, first 2 shown]
	v_fma_f32 v135, s35, v189, -v129
	s_delay_alu instid0(VALU_DEP_4) | instskip(NEXT) | instid1(VALU_DEP_3)
	v_exp_f32_e32 v130, v130
	v_exp_f32_e32 v132, v132
	s_delay_alu instid0(VALU_DEP_2) | instskip(NEXT) | instid1(TRANS32_DEP_3)
	v_exp_f32_e32 v134, v134
	v_cndmask_b32_e32 v152, 0, v130, vcc_lo
	v_fma_f32 v130, s35, v188, -v129
	s_waitcnt_depctr 0xfff
	v_cndmask_b32_e64 v153, 0, v132, s4
	v_fma_f32 v132, s35, v190, -v129
	v_mul_f32_e32 v131, 0x3fb8aa3b, v131
	v_cndmask_b32_e64 v155, 0, v134, s6
	v_dual_mul_f32 v130, 0x3fb8aa3b, v130 :: v_dual_mul_f32 v133, 0x3fb8aa3b, v133
	s_delay_alu instid0(VALU_DEP_4) | instskip(NEXT) | instid1(VALU_DEP_4)
	v_mul_f32_e32 v132, 0x3fb8aa3b, v132
	v_exp_f32_e32 v131, v131
	v_fma_f32 v134, s35, v138, -v129
	s_delay_alu instid0(VALU_DEP_3) | instskip(SKIP_2) | instid1(VALU_DEP_1)
	v_exp_f32_e32 v130, v130
	v_exp_f32_e32 v133, v133
	;; [unrolled: 1-line block ×3, first 2 shown]
	v_mul_f32_e32 v134, 0x3fb8aa3b, v134
	v_cndmask_b32_e64 v151, 0, v131, s3
	v_add_f32_e32 v131, 0, v152
	s_delay_alu instid0(TRANS32_DEP_3)
	v_cndmask_b32_e64 v156, 0, v130, s7
	s_waitcnt_depctr 0xfff
	v_cndmask_b32_e64 v154, 0, v133, s5
	v_fma_f32 v133, s35, v137, -v129
	v_exp_f32_e32 v134, v134
	v_add_f32_e32 v131, v131, v151
	s_mov_b32 s3, exec_lo
	s_delay_alu instid0(VALU_DEP_1) | instskip(NEXT) | instid1(VALU_DEP_1)
	v_add_f32_e32 v131, v131, v153
	v_add_f32_e32 v131, v131, v154
	s_delay_alu instid0(VALU_DEP_1) | instskip(SKIP_2) | instid1(VALU_DEP_3)
	v_add_f32_e32 v130, v131, v155
	v_fma_f32 v131, s35, v139, -v129
	v_fma_f32 v139, s35, v144, -v129
	v_dual_add_f32 v130, v130, v156 :: v_dual_mul_f32 v135, 0x3fb8aa3b, v135
	s_delay_alu instid0(VALU_DEP_1)
	v_exp_f32_e32 v135, v135
	s_waitcnt_depctr 0xfff
	v_cndmask_b32_e64 v157, 0, v135, s8
	v_fma_f32 v135, s35, v140, -v129
	v_cndmask_b32_e64 v140, 0, v132, s9
	v_fma_f32 v132, s35, v141, -v129
	s_delay_alu instid0(VALU_DEP_1) | instskip(SKIP_1) | instid1(VALU_DEP_2)
	v_dual_add_f32 v130, v130, v157 :: v_dual_mul_f32 v137, 0x3fb8aa3b, v132
	v_cndmask_b32_e64 v132, 0, v134, s11
	v_dual_add_f32 v130, v130, v140 :: v_dual_mul_f32 v133, 0x3fb8aa3b, v133
	v_mul_f32_e32 v131, 0x3fb8aa3b, v131
	v_fma_f32 v134, s35, v143, -v129
	v_mul_f32_e32 v135, 0x3fb8aa3b, v135
	s_delay_alu instid0(VALU_DEP_4) | instskip(NEXT) | instid1(VALU_DEP_3)
	v_exp_f32_e32 v133, v133
	v_exp_f32_e32 v136, v131
	s_waitcnt_depctr 0xfff
	v_cndmask_b32_e64 v131, 0, v133, s10
	v_fma_f32 v133, s35, v142, -v129
	s_delay_alu instid0(VALU_DEP_2) | instskip(NEXT) | instid1(VALU_DEP_2)
	v_add_f32_e32 v130, v130, v131
	v_mul_f32_e32 v138, 0x3fb8aa3b, v133
	v_cndmask_b32_e64 v133, 0, v136, s12
	v_mul_f32_e32 v136, 0x3fb8aa3b, v134
	v_exp_f32_e32 v135, v135
	v_add_f32_e32 v130, v130, v132
	v_exp_f32_e32 v138, v138
	s_delay_alu instid0(VALU_DEP_2) | instskip(NEXT) | instid1(VALU_DEP_1)
	v_exp_f32_e32 v141, v136
	v_add_f32_e32 v130, v130, v133
	v_exp_f32_e32 v137, v137
	v_cndmask_b32_e64 v134, 0, v135, s13
	s_delay_alu instid0(TRANS32_DEP_3) | instskip(NEXT) | instid1(VALU_DEP_2)
	v_cndmask_b32_e64 v136, 0, v138, s16
	v_add_f32_e32 v130, v130, v134
	s_waitcnt_depctr 0xfff
	v_cndmask_b32_e64 v135, 0, v137, s15
	v_mul_f32_e32 v137, 0x3fb8aa3b, v139
	s_delay_alu instid0(VALU_DEP_2) | instskip(NEXT) | instid1(VALU_DEP_2)
	v_add_f32_e32 v130, v130, v135
	v_exp_f32_e32 v138, v137
	v_cndmask_b32_e64 v137, 0, v141, s17
	s_delay_alu instid0(VALU_DEP_2) | instskip(NEXT) | instid1(VALU_DEP_1)
	v_add_f32_e32 v130, v130, v136
	v_add_f32_e32 v130, v130, v137
	s_waitcnt_depctr 0xfff
	v_cndmask_b32_e64 v138, 0, v138, s18
	s_delay_alu instid0(VALU_DEP_1)
	v_add_f32_e32 v130, v130, v138
	ds_bpermute_b32 v139, v158, v130
	v_cmpx_gt_u32_e32 16, v150
	s_cbranch_execz .LBB451_12
; %bb.11:
	v_mul_u32_u24_e32 v141, 0x44, v149
	s_delay_alu instid0(VALU_DEP_1) | instskip(SKIP_1) | instid1(VALU_DEP_1)
	v_lshl_add_u32 v141, v148, 2, v141
	s_waitcnt lgkmcnt(0)
	v_dual_add_f32 v130, v130, v139 :: v_dual_add_nc_u32 v139, 0x4000, v141
	ds_store_2addr_b32 v139, v129, v130 offset1:136
.LBB451_12:
	s_or_b32 exec_lo, exec_lo, s3
	v_lshlrev_b32_e32 v129, 2, v148
	s_waitcnt lgkmcnt(0)
	s_barrier
	buffer_gl0_inv
	v_cmp_eq_u32_e64 s3, 1, v149
	v_add_nc_u32_e32 v139, 0x4000, v129
	ds_load_2addr_b32 v[141:142], v139 offset1:17
	ds_load_2addr_b32 v[143:144], v139 offset0:34 offset1:51
	ds_load_2addr_b32 v[158:159], v139 offset0:68 offset1:85
	;; [unrolled: 1-line block ×4, first 2 shown]
	s_waitcnt lgkmcnt(4)
	v_max3_f32 v129, v141, 0xff7fffff, v142
	s_waitcnt lgkmcnt(3)
	s_delay_alu instid0(VALU_DEP_1) | instskip(SKIP_1) | instid1(VALU_DEP_1)
	v_max3_f32 v129, v129, v143, v144
	s_waitcnt lgkmcnt(2)
	v_max3_f32 v129, v129, v158, v159
	s_waitcnt lgkmcnt(1)
	s_delay_alu instid0(VALU_DEP_1) | instskip(NEXT) | instid1(VALU_DEP_1)
	v_max3_f32 v129, v129, v160, v161
	v_sub_f32_e32 v158, v158, v129
	s_delay_alu instid0(VALU_DEP_1) | instskip(NEXT) | instid1(VALU_DEP_1)
	v_dual_sub_f32 v150, v142, v129 :: v_dual_mul_f32 v167, 0x3fb8aa3b, v158
	v_dual_sub_f32 v143, v143, v129 :: v_dual_mul_f32 v150, 0x3fb8aa3b, v150
	s_delay_alu instid0(VALU_DEP_1) | instskip(NEXT) | instid1(VALU_DEP_2)
	v_dual_sub_f32 v130, v141, v129 :: v_dual_mul_f32 v165, 0x3fb8aa3b, v143
	v_exp_f32_e32 v150, v150
	s_delay_alu instid0(VALU_DEP_1) | instskip(NEXT) | instid1(VALU_DEP_2)
	v_mul_f32_e32 v130, 0x3fb8aa3b, v130
	v_exp_f32_e32 v165, v165
	s_delay_alu instid0(VALU_DEP_1) | instskip(SKIP_1) | instid1(VALU_DEP_1)
	v_exp_f32_e32 v164, v130
	v_sub_f32_e32 v130, v144, v129
	v_mul_f32_e32 v166, 0x3fb8aa3b, v130
	s_waitcnt lgkmcnt(0)
	s_waitcnt_depctr 0xfff
	v_fma_f32 v130, v164, v162, 0
	v_sub_f32_e32 v162, v159, v129
	s_delay_alu instid0(VALU_DEP_2)
	v_fmac_f32_e32 v130, v150, v163
	ds_load_2addr_b32 v[141:142], v139 offset0:170 offset1:187
	ds_load_2addr_b32 v[143:144], v139 offset0:204 offset1:221
	;; [unrolled: 1-line block ×3, first 2 shown]
	v_sub_f32_e32 v139, v160, v129
	v_exp_f32_e32 v166, v166
	v_mul_f32_e32 v160, 0x3fb8aa3b, v162
	v_exp_f32_e32 v162, v167
	v_cndmask_b32_e64 v150, v164, v150, s3
	v_mul_f32_e32 v139, 0x3fb8aa3b, v139
	v_cmp_eq_u32_e64 s3, 2, v149
	s_waitcnt lgkmcnt(0)
	s_barrier
	buffer_gl0_inv
	v_exp_f32_e32 v139, v139
	v_cndmask_b32_e64 v150, v150, v165, s3
	v_cmp_eq_u32_e64 s3, 3, v149
	v_fmac_f32_e32 v130, v165, v141
	v_sub_f32_e32 v141, v161, v129
	v_exp_f32_e32 v160, v160
	s_delay_alu instid0(VALU_DEP_3) | instskip(SKIP_1) | instid1(VALU_DEP_3)
	v_cndmask_b32_e64 v150, v150, v166, s3
	v_cmp_eq_u32_e64 s3, 4, v149
	v_dual_fmac_f32 v130, v166, v142 :: v_dual_mul_f32 v141, 0x3fb8aa3b, v141
	s_delay_alu instid0(VALU_DEP_2) | instskip(SKIP_1) | instid1(VALU_DEP_3)
	v_cndmask_b32_e64 v150, v150, v162, s3
	v_cmp_eq_u32_e64 s3, 5, v149
	v_exp_f32_e32 v141, v141
	s_delay_alu instid0(VALU_DEP_3)
	v_fmac_f32_e32 v130, v162, v143
	s_delay_alu instid0(TRANS32_DEP_2) | instid1(VALU_DEP_2)
	v_cndmask_b32_e64 v150, v150, v160, s3
	s_delay_alu instid0(VALU_DEP_2) | instskip(NEXT) | instid1(VALU_DEP_1)
	v_fmac_f32_e32 v130, v160, v144
	v_fmac_f32_e32 v130, v139, v158
	s_waitcnt_depctr 0xfff
	v_fmac_f32_e32 v130, v141, v159
	s_delay_alu instid0(VALU_DEP_1) | instskip(NEXT) | instid1(VALU_DEP_1)
	v_add_f32_e32 v142, 0x358637bd, v130
	v_div_scale_f32 v143, null, v142, v142, 1.0
	v_div_scale_f32 v159, vcc_lo, 1.0, v142, 1.0
	s_delay_alu instid0(VALU_DEP_2) | instskip(SKIP_2) | instid1(VALU_DEP_1)
	v_rcp_f32_e32 v144, v143
	s_waitcnt_depctr 0xfff
	v_fma_f32 v158, -v143, v144, 1.0
	v_fmac_f32_e32 v144, v158, v144
	s_delay_alu instid0(VALU_DEP_1) | instskip(NEXT) | instid1(VALU_DEP_1)
	v_mul_f32_e32 v158, v159, v144
	v_fma_f32 v161, -v143, v158, v159
	s_delay_alu instid0(VALU_DEP_1) | instskip(NEXT) | instid1(VALU_DEP_1)
	v_fmac_f32_e32 v158, v161, v144
	v_fma_f32 v143, -v143, v158, v159
	s_delay_alu instid0(VALU_DEP_1) | instskip(SKIP_1) | instid1(VALU_DEP_2)
	v_div_fmas_f32 v143, v143, v144, v158
	v_cmp_eq_u32_e32 vcc_lo, 6, v149
	v_div_fixup_f32 v142, v143, v142, 1.0
	v_cndmask_b32_e32 v139, v150, v139, vcc_lo
	v_cmp_eq_u32_e32 vcc_lo, 7, v149
	s_delay_alu instid0(VALU_DEP_2) | instskip(NEXT) | instid1(VALU_DEP_1)
	v_cndmask_b32_e32 v139, v139, v141, vcc_lo
	v_mul_f32_e32 v139, v139, v142
	s_delay_alu instid0(VALU_DEP_1) | instskip(SKIP_4) | instid1(VALU_DEP_4)
	v_mul_f32_e32 v153, v139, v153
	v_mul_f32_e32 v142, v139, v152
	;; [unrolled: 1-line block ×5, first 2 shown]
	v_dual_mul_f32 v152, v139, v155 :: v_dual_and_b32 v141, 0x7f800000, v142
	v_mul_f32_e32 v154, v139, v154
	v_mul_f32_e32 v144, v139, v151
	s_delay_alu instid0(VALU_DEP_3) | instskip(SKIP_1) | instid1(SALU_CYCLE_1)
	v_cmp_ne_u32_e32 vcc_lo, 0x7f800000, v141
                                        ; implicit-def: $vgpr141
	s_and_saveexec_b32 s3, vcc_lo
	s_xor_b32 s3, exec_lo, s3
; %bb.13:
	v_bfe_u32 v141, v142, 16, 1
	s_delay_alu instid0(VALU_DEP_1)
	v_add3_u32 v141, v142, v141, 0x7fff
                                        ; implicit-def: $vgpr142
; %bb.14:
	s_and_not1_saveexec_b32 s3, s3
; %bb.15:
	v_and_b32_e32 v141, 0xffff, v142
	v_or_b32_e32 v151, 0x10000, v142
	s_delay_alu instid0(VALU_DEP_2) | instskip(NEXT) | instid1(VALU_DEP_2)
	v_cmp_eq_u32_e32 vcc_lo, 0, v141
	v_cndmask_b32_e32 v141, v151, v142, vcc_lo
; %bb.16:
	s_or_b32 exec_lo, exec_lo, s3
	v_and_b32_e32 v142, 0x7f800000, v144
	s_delay_alu instid0(VALU_DEP_1) | instskip(SKIP_1) | instid1(SALU_CYCLE_1)
	v_cmp_ne_u32_e32 vcc_lo, 0x7f800000, v142
                                        ; implicit-def: $vgpr142
	s_and_saveexec_b32 s3, vcc_lo
	s_xor_b32 s3, exec_lo, s3
; %bb.17:
	v_bfe_u32 v142, v144, 16, 1
	s_delay_alu instid0(VALU_DEP_1)
	v_add3_u32 v142, v144, v142, 0x7fff
                                        ; implicit-def: $vgpr144
; %bb.18:
	s_and_not1_saveexec_b32 s3, s3
; %bb.19:
	v_and_b32_e32 v142, 0xffff, v144
	v_or_b32_e32 v151, 0x10000, v144
	s_delay_alu instid0(VALU_DEP_2) | instskip(NEXT) | instid1(VALU_DEP_2)
	v_cmp_eq_u32_e32 vcc_lo, 0, v142
	v_cndmask_b32_e32 v142, v151, v144, vcc_lo
; %bb.20:
	s_or_b32 exec_lo, exec_lo, s3
	v_and_b32_e32 v144, 0x7f800000, v153
	s_delay_alu instid0(VALU_DEP_1) | instskip(SKIP_1) | instid1(SALU_CYCLE_1)
	v_cmp_ne_u32_e32 vcc_lo, 0x7f800000, v144
                                        ; implicit-def: $vgpr144
	s_and_saveexec_b32 s3, vcc_lo
	s_xor_b32 s3, exec_lo, s3
; %bb.21:
	v_bfe_u32 v144, v153, 16, 1
	s_delay_alu instid0(VALU_DEP_1)
	v_add3_u32 v144, v153, v144, 0x7fff
                                        ; implicit-def: $vgpr153
; %bb.22:
	s_and_not1_saveexec_b32 s3, s3
; %bb.23:
	v_and_b32_e32 v144, 0xffff, v153
	v_or_b32_e32 v151, 0x10000, v153
	s_delay_alu instid0(VALU_DEP_2) | instskip(NEXT) | instid1(VALU_DEP_2)
	v_cmp_eq_u32_e32 vcc_lo, 0, v144
	v_cndmask_b32_e32 v144, v151, v153, vcc_lo
; %bb.24:
	s_or_b32 exec_lo, exec_lo, s3
	v_and_b32_e32 v151, 0x7f800000, v154
	s_delay_alu instid0(VALU_DEP_1) | instskip(SKIP_1) | instid1(SALU_CYCLE_1)
	v_cmp_ne_u32_e32 vcc_lo, 0x7f800000, v151
                                        ; implicit-def: $vgpr151
	s_and_saveexec_b32 s3, vcc_lo
	s_xor_b32 s3, exec_lo, s3
; %bb.25:
	v_bfe_u32 v151, v154, 16, 1
	s_delay_alu instid0(VALU_DEP_1)
	v_add3_u32 v151, v154, v151, 0x7fff
                                        ; implicit-def: $vgpr154
; %bb.26:
	s_and_not1_saveexec_b32 s3, s3
; %bb.27:
	v_and_b32_e32 v151, 0xffff, v154
	v_or_b32_e32 v153, 0x10000, v154
	s_delay_alu instid0(VALU_DEP_2) | instskip(NEXT) | instid1(VALU_DEP_2)
	v_cmp_eq_u32_e32 vcc_lo, 0, v151
	v_cndmask_b32_e32 v151, v153, v154, vcc_lo
; %bb.28:
	s_or_b32 exec_lo, exec_lo, s3
	v_and_b32_e32 v153, 0x7f800000, v152
	s_delay_alu instid0(VALU_DEP_1) | instskip(SKIP_1) | instid1(SALU_CYCLE_1)
	v_cmp_ne_u32_e32 vcc_lo, 0x7f800000, v153
                                        ; implicit-def: $vgpr153
	s_and_saveexec_b32 s3, vcc_lo
	s_xor_b32 s3, exec_lo, s3
; %bb.29:
	v_bfe_u32 v153, v152, 16, 1
	s_delay_alu instid0(VALU_DEP_1)
	v_add3_u32 v153, v152, v153, 0x7fff
                                        ; implicit-def: $vgpr152
; %bb.30:
	s_and_not1_saveexec_b32 s3, s3
; %bb.31:
	v_and_b32_e32 v153, 0xffff, v152
	v_or_b32_e32 v154, 0x10000, v152
	s_delay_alu instid0(VALU_DEP_2) | instskip(NEXT) | instid1(VALU_DEP_2)
	v_cmp_eq_u32_e32 vcc_lo, 0, v153
	v_cndmask_b32_e32 v153, v154, v152, vcc_lo
; %bb.32:
	s_or_b32 exec_lo, exec_lo, s3
	v_and_b32_e32 v152, 0x7f800000, v150
	s_delay_alu instid0(VALU_DEP_1) | instskip(SKIP_1) | instid1(SALU_CYCLE_1)
	v_cmp_ne_u32_e32 vcc_lo, 0x7f800000, v152
                                        ; implicit-def: $vgpr152
	s_and_saveexec_b32 s3, vcc_lo
	s_xor_b32 s3, exec_lo, s3
; %bb.33:
	v_bfe_u32 v152, v150, 16, 1
	s_delay_alu instid0(VALU_DEP_1)
	v_add3_u32 v152, v150, v152, 0x7fff
                                        ; implicit-def: $vgpr150
; %bb.34:
	s_and_not1_saveexec_b32 s3, s3
; %bb.35:
	v_and_b32_e32 v152, 0xffff, v150
	v_or_b32_e32 v154, 0x10000, v150
	s_delay_alu instid0(VALU_DEP_2) | instskip(NEXT) | instid1(VALU_DEP_2)
	v_cmp_eq_u32_e32 vcc_lo, 0, v152
	v_cndmask_b32_e32 v152, v154, v150, vcc_lo
; %bb.36:
	s_or_b32 exec_lo, exec_lo, s3
	v_and_b32_e32 v150, 0x7f800000, v143
	s_delay_alu instid0(VALU_DEP_1) | instskip(SKIP_1) | instid1(SALU_CYCLE_1)
	v_cmp_ne_u32_e32 vcc_lo, 0x7f800000, v150
                                        ; implicit-def: $vgpr150
	s_and_saveexec_b32 s3, vcc_lo
	s_xor_b32 s3, exec_lo, s3
; %bb.37:
	v_bfe_u32 v150, v143, 16, 1
	s_delay_alu instid0(VALU_DEP_1)
	v_add3_u32 v150, v143, v150, 0x7fff
                                        ; implicit-def: $vgpr143
; %bb.38:
	s_and_not1_saveexec_b32 s3, s3
; %bb.39:
	v_and_b32_e32 v150, 0xffff, v143
	v_or_b32_e32 v154, 0x10000, v143
	s_delay_alu instid0(VALU_DEP_2) | instskip(NEXT) | instid1(VALU_DEP_2)
	v_cmp_eq_u32_e32 vcc_lo, 0, v150
	v_cndmask_b32_e32 v150, v154, v143, vcc_lo
; %bb.40:
	s_or_b32 exec_lo, exec_lo, s3
	v_and_b32_e32 v143, 0x7f800000, v140
	s_delay_alu instid0(VALU_DEP_1) | instskip(SKIP_1) | instid1(SALU_CYCLE_1)
	v_cmp_ne_u32_e32 vcc_lo, 0x7f800000, v143
                                        ; implicit-def: $vgpr143
	s_and_saveexec_b32 s3, vcc_lo
	s_xor_b32 s3, exec_lo, s3
; %bb.41:
	v_bfe_u32 v143, v140, 16, 1
	s_delay_alu instid0(VALU_DEP_1)
	v_add3_u32 v143, v140, v143, 0x7fff
                                        ; implicit-def: $vgpr140
; %bb.42:
	s_and_not1_saveexec_b32 s3, s3
; %bb.43:
	v_and_b32_e32 v143, 0xffff, v140
	v_or_b32_e32 v154, 0x10000, v140
	s_delay_alu instid0(VALU_DEP_2) | instskip(NEXT) | instid1(VALU_DEP_2)
	v_cmp_eq_u32_e32 vcc_lo, 0, v143
	v_cndmask_b32_e32 v143, v154, v140, vcc_lo
; %bb.44:
	s_or_b32 exec_lo, exec_lo, s3
	s_load_b64 s[34:35], s[0:1], 0x94
	v_dual_mul_f32 v136, v139, v136 :: v_dual_lshlrev_b32 v155, 4, v146
	s_delay_alu instid0(VALU_DEP_2)
	v_perm_b32 v154, v143, v150, 0x7060302
	v_dual_mul_f32 v143, v139, v131 :: v_dual_lshlrev_b32 v140, 6, v148
	v_dual_mul_f32 v135, v139, v135 :: v_dual_lshlrev_b32 v150, 11, v149
	v_perm_b32 v153, v152, v153, 0x7060302
	v_perm_b32 v152, v151, v144, 0x7060302
	;; [unrolled: 1-line block ×3, first 2 shown]
	s_delay_alu instid0(VALU_DEP_4)
	v_or3_b32 v131, v155, v150, v140
	v_mul_f32_e32 v138, v139, v138
	v_dual_mul_f32 v137, v139, v137 :: v_dual_and_b32 v144, 0x7f800000, v143
	v_mul_f32_e32 v141, v139, v134
	v_mul_f32_e32 v142, v139, v133
	;; [unrolled: 1-line block ×3, first 2 shown]
	s_mov_b32 s3, exec_lo
	ds_store_b128 v131, v[151:154]
                                        ; implicit-def: $vgpr132
	v_cmpx_ne_u32_e32 0x7f800000, v144
	s_xor_b32 s3, exec_lo, s3
; %bb.45:
	v_bfe_u32 v132, v143, 16, 1
	s_delay_alu instid0(VALU_DEP_1)
	v_add3_u32 v132, v143, v132, 0x7fff
                                        ; implicit-def: $vgpr143
; %bb.46:
	s_and_not1_saveexec_b32 s3, s3
; %bb.47:
	v_and_b32_e32 v132, 0xffff, v143
	v_or_b32_e32 v133, 0x10000, v143
	s_delay_alu instid0(VALU_DEP_2) | instskip(NEXT) | instid1(VALU_DEP_2)
	v_cmp_eq_u32_e32 vcc_lo, 0, v132
	v_cndmask_b32_e32 v132, v133, v143, vcc_lo
; %bb.48:
	s_or_b32 exec_lo, exec_lo, s3
	v_and_b32_e32 v133, 0x7f800000, v134
	s_delay_alu instid0(VALU_DEP_1) | instskip(SKIP_1) | instid1(SALU_CYCLE_1)
	v_cmp_ne_u32_e32 vcc_lo, 0x7f800000, v133
                                        ; implicit-def: $vgpr133
	s_and_saveexec_b32 s3, vcc_lo
	s_xor_b32 s3, exec_lo, s3
; %bb.49:
	v_bfe_u32 v133, v134, 16, 1
	s_delay_alu instid0(VALU_DEP_1)
	v_add3_u32 v133, v134, v133, 0x7fff
                                        ; implicit-def: $vgpr134
; %bb.50:
	s_and_not1_saveexec_b32 s3, s3
; %bb.51:
	v_and_b32_e32 v133, 0xffff, v134
	v_or_b32_e32 v139, 0x10000, v134
	s_delay_alu instid0(VALU_DEP_2) | instskip(NEXT) | instid1(VALU_DEP_2)
	v_cmp_eq_u32_e32 vcc_lo, 0, v133
	v_cndmask_b32_e32 v133, v139, v134, vcc_lo
; %bb.52:
	s_or_b32 exec_lo, exec_lo, s3
	v_and_b32_e32 v134, 0x7f800000, v142
	s_delay_alu instid0(VALU_DEP_1) | instskip(SKIP_1) | instid1(SALU_CYCLE_1)
	v_cmp_ne_u32_e32 vcc_lo, 0x7f800000, v134
                                        ; implicit-def: $vgpr134
	s_and_saveexec_b32 s3, vcc_lo
	s_xor_b32 s3, exec_lo, s3
; %bb.53:
	v_bfe_u32 v134, v142, 16, 1
	s_delay_alu instid0(VALU_DEP_1)
	v_add3_u32 v134, v142, v134, 0x7fff
                                        ; implicit-def: $vgpr142
; %bb.54:
	s_and_not1_saveexec_b32 s3, s3
; %bb.55:
	v_and_b32_e32 v134, 0xffff, v142
	v_or_b32_e32 v139, 0x10000, v142
	s_delay_alu instid0(VALU_DEP_2) | instskip(NEXT) | instid1(VALU_DEP_2)
	v_cmp_eq_u32_e32 vcc_lo, 0, v134
	v_cndmask_b32_e32 v134, v139, v142, vcc_lo
; %bb.56:
	s_or_b32 exec_lo, exec_lo, s3
	v_and_b32_e32 v139, 0x7f800000, v141
	s_delay_alu instid0(VALU_DEP_1) | instskip(SKIP_1) | instid1(SALU_CYCLE_1)
	v_cmp_ne_u32_e32 vcc_lo, 0x7f800000, v139
                                        ; implicit-def: $vgpr139
	s_and_saveexec_b32 s3, vcc_lo
	s_xor_b32 s3, exec_lo, s3
; %bb.57:
	v_bfe_u32 v139, v141, 16, 1
	s_delay_alu instid0(VALU_DEP_1)
	v_add3_u32 v139, v141, v139, 0x7fff
                                        ; implicit-def: $vgpr141
; %bb.58:
	s_and_not1_saveexec_b32 s3, s3
; %bb.59:
	v_and_b32_e32 v139, 0xffff, v141
	v_or_b32_e32 v142, 0x10000, v141
	s_delay_alu instid0(VALU_DEP_2) | instskip(NEXT) | instid1(VALU_DEP_2)
	v_cmp_eq_u32_e32 vcc_lo, 0, v139
	v_cndmask_b32_e32 v139, v142, v141, vcc_lo
; %bb.60:
	s_or_b32 exec_lo, exec_lo, s3
	v_and_b32_e32 v141, 0x7f800000, v135
	s_delay_alu instid0(VALU_DEP_1) | instskip(SKIP_1) | instid1(SALU_CYCLE_1)
	v_cmp_ne_u32_e32 vcc_lo, 0x7f800000, v141
                                        ; implicit-def: $vgpr141
	s_and_saveexec_b32 s3, vcc_lo
	s_xor_b32 s3, exec_lo, s3
; %bb.61:
	v_bfe_u32 v141, v135, 16, 1
	s_delay_alu instid0(VALU_DEP_1)
	v_add3_u32 v141, v135, v141, 0x7fff
                                        ; implicit-def: $vgpr135
; %bb.62:
	s_and_not1_saveexec_b32 s3, s3
; %bb.63:
	v_and_b32_e32 v141, 0xffff, v135
	v_or_b32_e32 v142, 0x10000, v135
	s_delay_alu instid0(VALU_DEP_2) | instskip(NEXT) | instid1(VALU_DEP_2)
	v_cmp_eq_u32_e32 vcc_lo, 0, v141
	v_cndmask_b32_e32 v141, v142, v135, vcc_lo
; %bb.64:
	s_or_b32 exec_lo, exec_lo, s3
	v_and_b32_e32 v135, 0x7f800000, v136
	s_delay_alu instid0(VALU_DEP_1) | instskip(SKIP_1) | instid1(SALU_CYCLE_1)
	v_cmp_ne_u32_e32 vcc_lo, 0x7f800000, v135
                                        ; implicit-def: $vgpr135
	s_and_saveexec_b32 s3, vcc_lo
	s_xor_b32 s3, exec_lo, s3
; %bb.65:
	v_bfe_u32 v135, v136, 16, 1
	s_delay_alu instid0(VALU_DEP_1)
	v_add3_u32 v135, v136, v135, 0x7fff
                                        ; implicit-def: $vgpr136
; %bb.66:
	s_and_not1_saveexec_b32 s3, s3
; %bb.67:
	v_and_b32_e32 v135, 0xffff, v136
	v_or_b32_e32 v142, 0x10000, v136
	s_delay_alu instid0(VALU_DEP_2) | instskip(NEXT) | instid1(VALU_DEP_2)
	v_cmp_eq_u32_e32 vcc_lo, 0, v135
	v_cndmask_b32_e32 v135, v142, v136, vcc_lo
; %bb.68:
	s_or_b32 exec_lo, exec_lo, s3
	v_and_b32_e32 v136, 0x7f800000, v137
	s_delay_alu instid0(VALU_DEP_1) | instskip(SKIP_1) | instid1(SALU_CYCLE_1)
	v_cmp_ne_u32_e32 vcc_lo, 0x7f800000, v136
                                        ; implicit-def: $vgpr136
	s_and_saveexec_b32 s3, vcc_lo
	s_xor_b32 s3, exec_lo, s3
; %bb.69:
	v_bfe_u32 v136, v137, 16, 1
	s_delay_alu instid0(VALU_DEP_1)
	v_add3_u32 v136, v137, v136, 0x7fff
                                        ; implicit-def: $vgpr137
; %bb.70:
	s_and_not1_saveexec_b32 s3, s3
; %bb.71:
	v_and_b32_e32 v136, 0xffff, v137
	v_or_b32_e32 v142, 0x10000, v137
	s_delay_alu instid0(VALU_DEP_2) | instskip(NEXT) | instid1(VALU_DEP_2)
	v_cmp_eq_u32_e32 vcc_lo, 0, v136
	v_cndmask_b32_e32 v136, v142, v137, vcc_lo
; %bb.72:
	s_or_b32 exec_lo, exec_lo, s3
	v_and_b32_e32 v137, 0x7f800000, v138
	s_delay_alu instid0(VALU_DEP_1) | instskip(SKIP_1) | instid1(SALU_CYCLE_1)
	v_cmp_ne_u32_e32 vcc_lo, 0x7f800000, v137
                                        ; implicit-def: $vgpr137
	s_and_saveexec_b32 s3, vcc_lo
	s_xor_b32 s3, exec_lo, s3
; %bb.73:
	v_bfe_u32 v137, v138, 16, 1
	s_delay_alu instid0(VALU_DEP_1)
	v_add3_u32 v137, v138, v137, 0x7fff
                                        ; implicit-def: $vgpr138
; %bb.74:
	s_and_not1_saveexec_b32 s3, s3
; %bb.75:
	v_and_b32_e32 v137, 0xffff, v138
	v_or_b32_e32 v142, 0x10000, v138
	s_delay_alu instid0(VALU_DEP_2) | instskip(NEXT) | instid1(VALU_DEP_2)
	v_cmp_eq_u32_e32 vcc_lo, 0, v137
	v_cndmask_b32_e32 v137, v142, v138, vcc_lo
; %bb.76:
	s_or_b32 exec_lo, exec_lo, s3
	s_delay_alu instid0(VALU_DEP_1)
	v_perm_b32 v136, v137, v136, 0x7060302
	v_perm_b32 v135, v135, v141, 0x7060302
	;; [unrolled: 1-line block ×4, first 2 shown]
	v_lshl_or_b32 v141, v149, 11, v140
	ds_store_b128 v131, v[133:136] offset:1024
	s_waitcnt lgkmcnt(0)
	s_barrier
	buffer_gl0_inv
	ds_load_b128 v[132:135], v141
	ds_load_b128 v[149:152], v141 offset:16
	s_waitcnt lgkmcnt(1)
	v_lshrrev_b32_e32 v136, 16, v132
	s_waitcnt lgkmcnt(0)
	v_lshrrev_b32_e32 v164, 16, v151
	v_lshlrev_b32_e32 v138, 2, v146
	v_lshrrev_b32_e32 v143, 16, v149
	v_lshrrev_b32_e32 v162, 16, v150
	v_lshrrev_b32_e32 v144, 16, v133
	v_lshrrev_b32_e32 v161, 16, v134
	v_or_b32_e32 v139, 1, v138
	v_lshrrev_b32_e32 v165, 16, v152
	v_lshrrev_b32_e32 v163, 16, v135
	s_delay_alu instid0(VALU_DEP_3)
	v_cmp_eq_u32_e64 s7, 1, v139
	v_cmp_eq_u32_e64 s6, 2, v139
	;; [unrolled: 1-line block ×4, first 2 shown]
	v_cmp_eq_u32_e32 vcc_lo, 5, v139
	v_cndmask_b32_e64 v155, v149, v143, s7
	v_cndmask_b32_e64 v154, v132, v136, s7
	v_cmp_eq_u32_e64 s4, 6, v139
	v_cmp_eq_u32_e64 s19, 7, v139
	s_delay_alu instid0(VALU_DEP_4) | instskip(NEXT) | instid1(VALU_DEP_4)
	v_cndmask_b32_e64 v155, v155, v150, s6
	v_cndmask_b32_e64 v154, v154, v133, s6
	s_delay_alu instid0(VALU_DEP_2) | instskip(NEXT) | instid1(VALU_DEP_2)
	v_cndmask_b32_e64 v155, v155, v162, s5
	v_cndmask_b32_e64 v154, v154, v144, s5
	s_delay_alu instid0(VALU_DEP_2) | instskip(NEXT) | instid1(VALU_DEP_2)
	v_cndmask_b32_e64 v155, v155, v151, s3
	v_cndmask_b32_e64 v154, v154, v134, s3
	s_delay_alu instid0(VALU_DEP_2)
	v_cndmask_b32_e32 v157, v155, v164, vcc_lo
	v_cmp_eq_u32_e64 s12, 1, v138
	v_cmp_eq_u32_e64 s11, 2, v138
	;; [unrolled: 1-line block ×3, first 2 shown]
	v_or_b32_e32 v137, 2, v138
	v_cmp_eq_u32_e64 s17, 4, v138
	v_cndmask_b32_e64 v153, v149, v143, s12
	v_cndmask_b32_e64 v142, v132, v136, s12
	v_cmp_eq_u32_e64 s13, 5, v138
	v_cmp_eq_u32_e64 s8, 1, v137
	;; [unrolled: 1-line block ×3, first 2 shown]
	v_cndmask_b32_e64 v153, v153, v150, s11
	v_cndmask_b32_e64 v142, v142, v133, s11
	v_cmp_eq_u32_e64 s10, 2, v137
	v_cndmask_b32_e64 v156, v132, v136, s8
	v_cndmask_b32_e32 v154, v154, v161, vcc_lo
	v_cndmask_b32_e64 v153, v153, v162, s16
	v_cndmask_b32_e64 v142, v142, v144, s16
	v_cmp_eq_u32_e64 s9, 7, v138
	v_cndmask_b32_e64 v156, v156, v133, s10
	v_cmp_eq_u32_e64 s18, 3, v137
	v_cndmask_b32_e64 v153, v153, v151, s17
	v_cndmask_b32_e64 v142, v142, v134, s17
	;; [unrolled: 1-line block ×3, first 2 shown]
	v_cmp_eq_u32_e64 s20, 4, v137
	v_cndmask_b32_e64 v156, v156, v144, s18
	v_cndmask_b32_e64 v153, v153, v164, s13
	;; [unrolled: 1-line block ×4, first 2 shown]
	v_cmp_eq_u32_e64 s22, 5, v137
	v_cndmask_b32_e64 v159, v156, v134, s20
	v_cndmask_b32_e64 v153, v153, v152, s15
	;; [unrolled: 1-line block ×3, first 2 shown]
	v_cmp_eq_u32_e64 s25, 6, v137
	v_cmp_eq_u32_e64 s27, 7, v137
	v_cndmask_b32_e64 v169, v159, v161, s22
	v_cndmask_b32_e64 v167, v153, v165, s9
	;; [unrolled: 1-line block ×4, first 2 shown]
	v_or_b32_e32 v142, 3, v138
	s_delay_alu instid0(VALU_DEP_3)
	v_cndmask_b32_e64 v158, v153, v150, s10
	ds_load_b128 v[153:156], v141 offset:1024
	v_cmp_eq_u32_e64 s21, 1, v142
	v_cmp_eq_u32_e64 s23, 2, v142
	;; [unrolled: 1-line block ×3, first 2 shown]
	v_cndmask_b32_e64 v158, v158, v162, s18
	v_cmp_eq_u32_e64 s26, 4, v142
	v_cndmask_b32_e64 v132, v132, v136, s21
	v_cndmask_b32_e64 v136, v157, v152, s4
	;; [unrolled: 1-line block ×4, first 2 shown]
	ds_load_b128 v[157:160], v141 offset:1040
	v_cndmask_b32_e64 v132, v132, v133, s23
	v_cmp_eq_u32_e64 s28, 5, v142
	v_cndmask_b32_e64 v143, v143, v150, s23
	v_cmp_eq_u32_e64 s29, 6, v142
	v_cndmask_b32_e64 v133, v170, v164, s22
	v_cndmask_b32_e64 v132, v132, v144, s24
	v_cndmask_b32_e64 v144, v169, v135, s25
	v_cndmask_b32_e64 v143, v143, v162, s24
	v_cndmask_b32_e64 v136, v136, v165, s19
	s_waitcnt lgkmcnt(1)
	v_lshrrev_b32_e32 v149, 16, v153
	v_cndmask_b32_e64 v132, v132, v134, s26
	v_cndmask_b32_e64 v133, v133, v152, s25
	;; [unrolled: 1-line block ×3, first 2 shown]
	v_lshrrev_b32_e32 v151, 16, v154
	v_cndmask_b32_e64 v143, v153, v149, s12
	v_cndmask_b32_e64 v132, v132, v161, s28
	;; [unrolled: 1-line block ×5, first 2 shown]
	s_waitcnt lgkmcnt(0)
	v_lshrrev_b32_e32 v150, 16, v157
	v_cndmask_b32_e64 v143, v143, v154, s11
	v_cndmask_b32_e64 v132, v132, v135, s29
	;; [unrolled: 1-line block ×3, first 2 shown]
	v_lshrrev_b32_e32 v164, 16, v159
	v_cndmask_b32_e64 v162, v157, v150, s12
	v_cndmask_b32_e64 v135, v143, v151, s16
	;; [unrolled: 1-line block ×3, first 2 shown]
	v_lshrrev_b32_e32 v161, 16, v158
	v_cndmask_b32_e64 v133, v133, v165, s27
	v_cndmask_b32_e64 v152, v162, v158, s11
	v_cmp_eq_u32_e64 s11, 7, v142
	v_cndmask_b32_e64 v143, v143, v151, s5
	v_cndmask_b32_e64 v135, v135, v155, s17
	v_lshrrev_b32_e32 v162, 16, v155
	v_cndmask_b32_e64 v152, v152, v161, s16
	v_cndmask_b32_e64 v132, v132, v163, s11
	;; [unrolled: 1-line block ×6, first 2 shown]
	s_delay_alu instid0(VALU_DEP_4) | instskip(NEXT) | instid1(VALU_DEP_4)
	v_perm_b32 v135, v134, v132, 0x5040100
	v_cndmask_b32_e32 v132, v143, v162, vcc_lo
	s_delay_alu instid0(VALU_DEP_4)
	v_cndmask_b32_e64 v143, v163, v156, s15
	v_lshrrev_b32_e32 v163, 16, v156
	v_cndmask_b32_e64 v152, v152, v164, s13
	v_perm_b32 v134, v133, v144, 0x5040100
	v_cndmask_b32_e64 v132, v132, v156, s4
	v_perm_b32 v133, v136, v168, 0x5040100
	v_cndmask_b32_e64 v136, v143, v163, s9
	v_cndmask_b32_e64 v143, v152, v160, s15
	;; [unrolled: 1-line block ×13, first 2 shown]
	v_lshrrev_b32_e32 v144, 16, v160
	v_cndmask_b32_e64 v132, v132, v151, s18
	v_cndmask_b32_e64 v149, v149, v151, s24
	;; [unrolled: 1-line block ×14, first 2 shown]
	v_cndmask_b32_e32 v150, v150, v164, vcc_lo
	v_cndmask_b32_e64 v132, v132, v156, s25
	v_cndmask_b32_e64 v149, v149, v156, s29
	;; [unrolled: 1-line block ×11, first 2 shown]
	v_perm_b32 v132, v167, v166, 0x5040100
	v_perm_b32 v152, v151, v149, 0x5040100
	;; [unrolled: 1-line block ×5, first 2 shown]
	s_mul_i32 s8, s35, 10
	s_mov_b32 s3, exec_lo
	ds_store_b128 v131, v[132:135]
	ds_store_b128 v131, v[149:152] offset:1024
	v_cmpx_gt_u32_e32 10, v0
	s_cbranch_execz .LBB451_78
; %bb.77:
	s_mul_i32 s4, s8, s30
	s_delay_alu instid0(SALU_CYCLE_1) | instskip(SKIP_1) | instid1(VALU_DEP_1)
	v_add3_u32 v133, s4, s31, v148
	s_load_b128 s[4:7], s[0:1], 0x58
	v_mad_u64_u32 v[131:132], null, v133, s34, s[14:15]
	s_delay_alu instid0(VALU_DEP_1) | instskip(NEXT) | instid1(VALU_DEP_1)
	v_ashrrev_i32_e32 v132, 31, v131
	v_lshlrev_b64 v[131:132], 2, v[131:132]
	s_waitcnt lgkmcnt(0)
	s_delay_alu instid0(VALU_DEP_1) | instskip(NEXT) | instid1(VALU_DEP_2)
	v_add_co_u32 v133, vcc_lo, s6, v131
	v_add_co_ci_u32_e32 v134, vcc_lo, s7, v132, vcc_lo
	v_add_co_u32 v131, vcc_lo, s4, v131
	v_add_co_ci_u32_e32 v132, vcc_lo, s5, v132, vcc_lo
	global_store_b32 v[133:134], v129, off
	global_store_b32 v[131:132], v130, off
.LBB451_78:
	s_or_b32 exec_lo, exec_lo, s3
	s_waitcnt lgkmcnt(0)
	s_waitcnt_vscnt null, 0x0
	s_barrier
	buffer_gl0_inv
	ds_load_b128 v[148:151], v140
	ds_load_b128 v[152:155], v140 offset:16
	ds_load_b128 v[160:163], v140 offset:1040
	;; [unrolled: 1-line block ×3, first 2 shown]
	v_mov_b32_e32 v129, 0
	ds_load_b128 v[168:171], v140 offset:2064
	ds_load_b128 v[164:167], v140 offset:2048
	;; [unrolled: 1-line block ×6, first 2 shown]
	v_mov_b32_e32 v130, v129
	v_mov_b32_e32 v131, v129
	;; [unrolled: 1-line block ×7, first 2 shown]
	s_waitcnt lgkmcnt(8)
	s_delay_alu instid0(VALU_DEP_1)
	v_wmma_f32_16x16x16_bf16 v[129:136], v[121:128], v[148:155], v[129:136]
	ds_load_b128 v[125:128], v140 offset:5136
	ds_load_b128 v[121:124], v140 offset:5120
	s_waitcnt lgkmcnt(8)
	v_wmma_f32_16x16x16_bf16 v[129:136], v[113:120], v[156:163], v[129:136]
	ds_load_b128 v[117:120], v140 offset:6160
	ds_load_b128 v[113:116], v140 offset:6144
	s_waitcnt lgkmcnt(8)
	;; [unrolled: 4-line block ×8, first 2 shown]
	v_wmma_f32_16x16x16_bf16 v[129:136], v[65:72], v[97:104], v[129:136]
	s_waitcnt lgkmcnt(6)
	s_delay_alu instid0(VALU_DEP_1)
	v_wmma_f32_16x16x16_bf16 v[129:136], v[49:56], v[89:96], v[129:136]
	ds_load_b128 v[53:56], v140 offset:13328
	ds_load_b128 v[49:52], v140 offset:13312
	s_waitcnt lgkmcnt(6)
	v_wmma_f32_16x16x16_bf16 v[129:136], v[41:48], v[81:88], v[129:136]
	ds_load_b128 v[45:48], v140 offset:14352
	ds_load_b128 v[41:44], v140 offset:14336
	s_waitcnt lgkmcnt(6)
	;; [unrolled: 4-line block ×3, first 2 shown]
	v_wmma_f32_16x16x16_bf16 v[129:136], v[1:8], v[57:64], v[129:136]
	s_waitcnt lgkmcnt(4)
	s_delay_alu instid0(VALU_DEP_1) | instskip(SKIP_1) | instid1(VALU_DEP_1)
	v_wmma_f32_16x16x16_bf16 v[129:136], v[25:32], v[49:56], v[129:136]
	s_waitcnt lgkmcnt(2)
	v_wmma_f32_16x16x16_bf16 v[129:136], v[33:40], v[41:48], v[129:136]
	s_waitcnt lgkmcnt(0)
	s_delay_alu instid0(VALU_DEP_1) | instskip(NEXT) | instid1(VALU_DEP_1)
	v_wmma_f32_16x16x16_bf16 v[129:136], v[9:16], v[17:24], v[129:136]
	v_and_b32_e32 v1, 0x7f800000, v129
	s_delay_alu instid0(VALU_DEP_1) | instskip(SKIP_1) | instid1(SALU_CYCLE_1)
	v_cmp_ne_u32_e32 vcc_lo, 0x7f800000, v1
                                        ; implicit-def: $vgpr1
	s_and_saveexec_b32 s3, vcc_lo
	s_xor_b32 s3, exec_lo, s3
; %bb.79:
	v_bfe_u32 v1, v129, 16, 1
	s_delay_alu instid0(VALU_DEP_1)
	v_add3_u32 v1, v129, v1, 0x7fff
; %bb.80:
	s_and_not1_saveexec_b32 s3, s3
; %bb.81:
	v_and_b32_e32 v1, 0xffff, v129
	v_or_b32_e32 v2, 0x10000, v129
	s_delay_alu instid0(VALU_DEP_2) | instskip(NEXT) | instid1(VALU_DEP_2)
	v_cmp_eq_u32_e32 vcc_lo, 0, v1
	v_cndmask_b32_e32 v1, v2, v129, vcc_lo
; %bb.82:
	s_or_b32 exec_lo, exec_lo, s3
	v_and_b32_e32 v2, 0x7f800000, v130
	s_delay_alu instid0(VALU_DEP_1) | instskip(SKIP_1) | instid1(SALU_CYCLE_1)
	v_cmp_ne_u32_e32 vcc_lo, 0x7f800000, v2
                                        ; implicit-def: $vgpr2
	s_and_saveexec_b32 s3, vcc_lo
	s_xor_b32 s3, exec_lo, s3
; %bb.83:
	v_bfe_u32 v2, v130, 16, 1
	s_delay_alu instid0(VALU_DEP_1)
	v_add3_u32 v2, v130, v2, 0x7fff
; %bb.84:
	s_and_not1_saveexec_b32 s3, s3
; %bb.85:
	v_and_b32_e32 v2, 0xffff, v130
	v_or_b32_e32 v3, 0x10000, v130
	s_delay_alu instid0(VALU_DEP_2) | instskip(NEXT) | instid1(VALU_DEP_2)
	v_cmp_eq_u32_e32 vcc_lo, 0, v2
	v_cndmask_b32_e32 v2, v3, v130, vcc_lo
; %bb.86:
	s_or_b32 exec_lo, exec_lo, s3
	v_and_b32_e32 v3, 0x7f800000, v131
	s_delay_alu instid0(VALU_DEP_1) | instskip(SKIP_1) | instid1(SALU_CYCLE_1)
	v_cmp_ne_u32_e32 vcc_lo, 0x7f800000, v3
                                        ; implicit-def: $vgpr3
	s_and_saveexec_b32 s3, vcc_lo
	s_xor_b32 s3, exec_lo, s3
; %bb.87:
	v_bfe_u32 v3, v131, 16, 1
	s_delay_alu instid0(VALU_DEP_1)
	v_add3_u32 v3, v131, v3, 0x7fff
; %bb.88:
	s_and_not1_saveexec_b32 s3, s3
; %bb.89:
	v_and_b32_e32 v3, 0xffff, v131
	v_or_b32_e32 v4, 0x10000, v131
	s_delay_alu instid0(VALU_DEP_2) | instskip(NEXT) | instid1(VALU_DEP_2)
	v_cmp_eq_u32_e32 vcc_lo, 0, v3
	v_cndmask_b32_e32 v3, v4, v131, vcc_lo
; %bb.90:
	s_or_b32 exec_lo, exec_lo, s3
	v_and_b32_e32 v4, 0x7f800000, v132
	s_delay_alu instid0(VALU_DEP_1) | instskip(SKIP_1) | instid1(SALU_CYCLE_1)
	v_cmp_ne_u32_e32 vcc_lo, 0x7f800000, v4
                                        ; implicit-def: $vgpr4
	s_and_saveexec_b32 s3, vcc_lo
	s_xor_b32 s3, exec_lo, s3
; %bb.91:
	v_bfe_u32 v4, v132, 16, 1
	s_delay_alu instid0(VALU_DEP_1)
	v_add3_u32 v4, v132, v4, 0x7fff
; %bb.92:
	s_and_not1_saveexec_b32 s3, s3
; %bb.93:
	v_and_b32_e32 v4, 0xffff, v132
	v_or_b32_e32 v5, 0x10000, v132
	s_delay_alu instid0(VALU_DEP_2) | instskip(NEXT) | instid1(VALU_DEP_2)
	v_cmp_eq_u32_e32 vcc_lo, 0, v4
	v_cndmask_b32_e32 v4, v5, v132, vcc_lo
; %bb.94:
	s_or_b32 exec_lo, exec_lo, s3
	v_and_b32_e32 v5, 0x7f800000, v133
	s_delay_alu instid0(VALU_DEP_1) | instskip(SKIP_1) | instid1(SALU_CYCLE_1)
	v_cmp_ne_u32_e32 vcc_lo, 0x7f800000, v5
                                        ; implicit-def: $vgpr5
	s_and_saveexec_b32 s3, vcc_lo
	s_xor_b32 s3, exec_lo, s3
; %bb.95:
	v_bfe_u32 v5, v133, 16, 1
	s_delay_alu instid0(VALU_DEP_1)
	v_add3_u32 v5, v133, v5, 0x7fff
; %bb.96:
	s_and_not1_saveexec_b32 s3, s3
; %bb.97:
	v_and_b32_e32 v5, 0xffff, v133
	v_or_b32_e32 v6, 0x10000, v133
	s_delay_alu instid0(VALU_DEP_2) | instskip(NEXT) | instid1(VALU_DEP_2)
	v_cmp_eq_u32_e32 vcc_lo, 0, v5
	v_cndmask_b32_e32 v5, v6, v133, vcc_lo
; %bb.98:
	s_or_b32 exec_lo, exec_lo, s3
	v_and_b32_e32 v6, 0x7f800000, v134
	s_delay_alu instid0(VALU_DEP_1) | instskip(SKIP_1) | instid1(SALU_CYCLE_1)
	v_cmp_ne_u32_e32 vcc_lo, 0x7f800000, v6
                                        ; implicit-def: $vgpr6
	s_and_saveexec_b32 s3, vcc_lo
	s_xor_b32 s3, exec_lo, s3
; %bb.99:
	v_bfe_u32 v6, v134, 16, 1
	s_delay_alu instid0(VALU_DEP_1)
	v_add3_u32 v6, v134, v6, 0x7fff
; %bb.100:
	s_and_not1_saveexec_b32 s3, s3
; %bb.101:
	v_and_b32_e32 v6, 0xffff, v134
	v_or_b32_e32 v7, 0x10000, v134
	s_delay_alu instid0(VALU_DEP_2) | instskip(NEXT) | instid1(VALU_DEP_2)
	v_cmp_eq_u32_e32 vcc_lo, 0, v6
	v_cndmask_b32_e32 v6, v7, v134, vcc_lo
; %bb.102:
	s_or_b32 exec_lo, exec_lo, s3
	v_and_b32_e32 v7, 0x7f800000, v135
	s_delay_alu instid0(VALU_DEP_1) | instskip(SKIP_1) | instid1(SALU_CYCLE_1)
	v_cmp_ne_u32_e32 vcc_lo, 0x7f800000, v7
                                        ; implicit-def: $vgpr7
	s_and_saveexec_b32 s3, vcc_lo
	s_xor_b32 s3, exec_lo, s3
; %bb.103:
	v_bfe_u32 v7, v135, 16, 1
	s_delay_alu instid0(VALU_DEP_1)
	v_add3_u32 v7, v135, v7, 0x7fff
; %bb.104:
	s_and_not1_saveexec_b32 s3, s3
; %bb.105:
	v_and_b32_e32 v7, 0xffff, v135
	v_or_b32_e32 v8, 0x10000, v135
	s_delay_alu instid0(VALU_DEP_2) | instskip(NEXT) | instid1(VALU_DEP_2)
	v_cmp_eq_u32_e32 vcc_lo, 0, v7
	v_cndmask_b32_e32 v7, v8, v135, vcc_lo
; %bb.106:
	s_or_b32 exec_lo, exec_lo, s3
	v_and_b32_e32 v8, 0x7f800000, v136
	s_delay_alu instid0(VALU_DEP_1) | instskip(SKIP_1) | instid1(SALU_CYCLE_1)
	v_cmp_ne_u32_e32 vcc_lo, 0x7f800000, v8
                                        ; implicit-def: $vgpr8
	s_and_saveexec_b32 s3, vcc_lo
	s_xor_b32 s3, exec_lo, s3
; %bb.107:
	v_bfe_u32 v8, v136, 16, 1
	s_delay_alu instid0(VALU_DEP_1)
	v_add3_u32 v8, v136, v8, 0x7fff
                                        ; implicit-def: $vgpr129_vgpr130_vgpr131_vgpr132_vgpr133_vgpr134_vgpr135_vgpr136
; %bb.108:
	s_and_not1_saveexec_b32 s3, s3
; %bb.109:
	v_and_b32_e32 v8, 0xffff, v136
	v_or_b32_e32 v9, 0x10000, v136
	s_delay_alu instid0(VALU_DEP_2) | instskip(NEXT) | instid1(VALU_DEP_2)
	v_cmp_eq_u32_e32 vcc_lo, 0, v8
	v_cndmask_b32_e32 v8, v9, v136, vcc_lo
; %bb.110:
	s_or_b32 exec_lo, exec_lo, s3
	s_delay_alu instid0(VALU_DEP_1)
	v_perm_b32 v7, v8, v7, 0x7060302
	v_perm_b32 v6, v6, v5, 0x7060302
	v_perm_b32 v5, v4, v3, 0x7060302
	v_perm_b32 v4, v2, v1, 0x7060302
	v_lshl_or_b32 v9, v146, 4, v141
	s_barrier
	buffer_gl0_inv
	v_cmp_eq_u32_e32 vcc_lo, 1, v138
	ds_store_b128 v9, v[4:7]
	s_waitcnt lgkmcnt(0)
	s_barrier
	buffer_gl0_inv
	ds_load_b128 v[1:4], v141
	ds_load_b128 v[5:8], v141 offset:16
	v_cmp_eq_u32_e64 s4, 2, v138
	v_cmp_eq_u32_e64 s3, 1, v139
	;; [unrolled: 1-line block ×5, first 2 shown]
	s_waitcnt lgkmcnt(1)
	v_lshrrev_b32_e32 v10, 16, v1
	s_waitcnt lgkmcnt(0)
	v_lshrrev_b32_e32 v14, 16, v5
	v_lshrrev_b32_e32 v15, 16, v6
	;; [unrolled: 1-line block ×4, first 2 shown]
	v_cndmask_b32_e64 v20, v1, v10, s3
	v_cndmask_b32_e32 v19, v5, v14, vcc_lo
	v_cndmask_b32_e64 v21, v5, v14, s3
	v_lshrrev_b32_e32 v16, 16, v7
	v_cmp_eq_u32_e64 s3, 1, v137
	v_lshrrev_b32_e32 v13, 16, v4
	v_cndmask_b32_e64 v19, v19, v6, s4
	v_lshrrev_b32_e32 v17, 16, v8
	s_delay_alu instid0(VALU_DEP_4) | instskip(SKIP_1) | instid1(VALU_DEP_4)
	v_cndmask_b32_e64 v22, v1, v10, s3
	v_cndmask_b32_e64 v23, v5, v14, s3
	;; [unrolled: 1-line block ×3, first 2 shown]
	v_cndmask_b32_e32 v18, v1, v10, vcc_lo
	v_cmp_eq_u32_e32 vcc_lo, 2, v139
	v_cmp_eq_u32_e64 s3, 2, v142
	v_cndmask_b32_e64 v22, v22, v2, s7
	v_cndmask_b32_e32 v20, v20, v2, vcc_lo
	v_cndmask_b32_e32 v21, v21, v6, vcc_lo
	v_cmp_eq_u32_e32 vcc_lo, 4, v138
	v_cndmask_b32_e32 v19, v19, v7, vcc_lo
	v_cndmask_b32_e64 v18, v18, v2, s4
	v_cmp_eq_u32_e64 s4, 3, v139
	s_delay_alu instid0(VALU_DEP_2) | instskip(NEXT) | instid1(VALU_DEP_2)
	v_cndmask_b32_e64 v18, v18, v11, s5
	v_cndmask_b32_e64 v21, v21, v15, s4
	v_cmp_eq_u32_e64 s5, 5, v138
	s_delay_alu instid0(VALU_DEP_3) | instskip(SKIP_1) | instid1(VALU_DEP_3)
	v_cndmask_b32_e32 v18, v18, v3, vcc_lo
	v_cmp_eq_u32_e32 vcc_lo, 4, v139
	v_cndmask_b32_e64 v19, v19, v16, s5
	s_delay_alu instid0(VALU_DEP_3) | instskip(SKIP_4) | instid1(VALU_DEP_3)
	v_cndmask_b32_e64 v18, v18, v12, s5
	v_cndmask_b32_e32 v21, v21, v7, vcc_lo
	v_cndmask_b32_e64 v20, v20, v11, s4
	v_cmp_eq_u32_e64 s4, 5, v139
	v_cmp_eq_u32_e64 s5, 6, v138
	v_cndmask_b32_e32 v20, v20, v3, vcc_lo
	s_delay_alu instid0(VALU_DEP_3) | instskip(SKIP_1) | instid1(VALU_DEP_4)
	v_cndmask_b32_e64 v21, v21, v16, s4
	v_cmp_eq_u32_e32 vcc_lo, 6, v139
	v_cndmask_b32_e64 v18, v18, v4, s5
	v_cndmask_b32_e64 v19, v19, v8, s5
	;; [unrolled: 1-line block ×3, first 2 shown]
	v_cmp_eq_u32_e64 s4, 1, v142
	v_cmp_eq_u32_e64 s5, 7, v138
	s_delay_alu instid0(VALU_DEP_3) | instskip(NEXT) | instid1(VALU_DEP_3)
	v_cndmask_b32_e32 v20, v20, v4, vcc_lo
	v_cndmask_b32_e64 v1, v1, v10, s4
	v_cndmask_b32_e64 v5, v5, v14, s4
	v_cmp_eq_u32_e64 s4, 3, v137
	v_cndmask_b32_e64 v14, v23, v6, s7
	v_cmp_eq_u32_e64 s7, 3, v142
	v_cndmask_b32_e64 v1, v1, v2, s3
	v_cndmask_b32_e64 v2, v5, v6, s3
	;; [unrolled: 1-line block ×3, first 2 shown]
	v_cmp_eq_u32_e64 s3, 4, v137
	v_cndmask_b32_e64 v6, v14, v15, s4
	v_cndmask_b32_e64 v1, v1, v11, s7
	v_cmp_eq_u32_e64 s4, 4, v142
	v_cndmask_b32_e64 v2, v2, v15, s7
	v_cndmask_b32_e64 v5, v10, v3, s3
	;; [unrolled: 3-line block ×3, first 2 shown]
	v_cndmask_b32_e64 v2, v2, v7, s4
	v_cmp_eq_u32_e64 s3, 5, v142
	v_cndmask_b32_e64 v5, v5, v12, s7
	v_cmp_eq_u32_e64 s4, 6, v137
	;; [unrolled: 2-line block ×3, first 2 shown]
	v_cndmask_b32_e64 v1, v1, v12, s3
	v_cndmask_b32_e64 v2, v2, v16, s3
	;; [unrolled: 1-line block ×4, first 2 shown]
	v_cmp_eq_u32_e64 s3, 7, v142
	v_cndmask_b32_e64 v1, v1, v4, s7
	v_cndmask_b32_e64 v2, v2, v8, s7
	v_cmp_eq_u32_e64 s4, 7, v137
	v_cndmask_b32_e32 v4, v21, v8, vcc_lo
	v_cndmask_b32_e64 v18, v18, v13, s5
	v_cndmask_b32_e64 v20, v20, v13, s6
	;; [unrolled: 1-line block ×8, first 2 shown]
	v_cmp_gt_u32_e32 vcc_lo, 32, v0
	v_perm_b32 v4, v2, v1, 0x5040100
	v_perm_b32 v3, v3, v5, 0x5040100
	v_perm_b32 v2, v6, v20, 0x5040100
	v_perm_b32 v1, v7, v18, 0x5040100
	s_and_b32 s2, vcc_lo, s2
	ds_store_b128 v9, v[1:4]
	s_waitcnt lgkmcnt(0)
	s_barrier
	buffer_gl0_inv
	s_and_saveexec_b32 s3, s2
	s_cbranch_execz .LBB451_2
; %bb.111:
	s_load_b64 s[0:1], s[0:1], 0x68
	s_lshl_b32 s4, s34, 6
	v_or_b32_e32 v2, s31, v146
	s_mul_i32 s2, s4, s30
	v_lshlrev_b32_e32 v0, 10, v0
	s_mul_i32 s2, s2, s8
	v_lshlrev_b32_e32 v1, 4, v147
	s_ashr_i32 s3, s2, 31
	v_mul_lo_u32 v20, v2, s4
	s_lshl_b64 s[2:3], s[2:3], 1
	v_lshlrev_b32_e32 v3, 6, v146
	v_and_b32_e32 v0, 0x3800, v0
	s_delay_alu instid0(VALU_DEP_1) | instskip(NEXT) | instid1(VALU_DEP_4)
	v_or3_b32 v16, v0, v1, v3
	v_ashrrev_i32_e32 v21, 31, v20
	ds_load_b128 v[0:3], v16
	ds_load_b128 v[4:7], v16 offset:128
	s_waitcnt lgkmcnt(0)
	s_add_u32 s2, s0, s2
	s_addc_u32 s3, s1, s3
	s_lshl_b32 s0, s14, 6
	ds_load_b128 v[8:11], v16 offset:256
	ds_load_b128 v[12:15], v16 offset:384
	;; [unrolled: 1-line block ×3, first 2 shown]
	s_ashr_i32 s1, s0, 31
	s_delay_alu instid0(SALU_CYCLE_1) | instskip(NEXT) | instid1(SALU_CYCLE_1)
	s_lshl_b64 s[0:1], s[0:1], 1
	s_add_u32 s0, s2, s0
	s_addc_u32 s1, s3, s1
	s_lshl_b32 s2, s34, 7
	v_add_co_u32 v30, s0, s0, v145
	v_add_nc_u32_e32 v22, s2, v20
	v_lshlrev_b64 v[20:21], 1, v[20:21]
	v_add_co_ci_u32_e64 v31, null, s1, 0, s0
	s_delay_alu instid0(VALU_DEP_3) | instskip(SKIP_1) | instid1(VALU_DEP_4)
	v_add_nc_u32_e32 v24, s2, v22
	v_ashrrev_i32_e32 v23, 31, v22
	v_add_co_u32 v20, vcc_lo, v30, v20
	s_delay_alu instid0(VALU_DEP_4) | instskip(NEXT) | instid1(VALU_DEP_4)
	v_add_co_ci_u32_e32 v21, vcc_lo, v31, v21, vcc_lo
	v_add_nc_u32_e32 v26, s2, v24
	v_ashrrev_i32_e32 v25, 31, v24
	v_lshlrev_b64 v[22:23], 1, v[22:23]
	s_delay_alu instid0(VALU_DEP_3) | instskip(SKIP_1) | instid1(VALU_DEP_4)
	v_add_nc_u32_e32 v28, s2, v26
	v_ashrrev_i32_e32 v27, 31, v26
	v_lshlrev_b64 v[24:25], 1, v[24:25]
	s_delay_alu instid0(VALU_DEP_4) | instskip(NEXT) | instid1(VALU_DEP_4)
	v_add_co_u32 v22, vcc_lo, v30, v22
	v_ashrrev_i32_e32 v29, 31, v28
	s_delay_alu instid0(VALU_DEP_4) | instskip(SKIP_2) | instid1(VALU_DEP_4)
	v_lshlrev_b64 v[26:27], 1, v[26:27]
	v_add_co_ci_u32_e32 v23, vcc_lo, v31, v23, vcc_lo
	v_add_co_u32 v24, vcc_lo, v30, v24
	v_lshlrev_b64 v[28:29], 1, v[28:29]
	v_add_co_ci_u32_e32 v25, vcc_lo, v31, v25, vcc_lo
	v_add_co_u32 v26, vcc_lo, v30, v26
	v_add_co_ci_u32_e32 v27, vcc_lo, v31, v27, vcc_lo
	s_delay_alu instid0(VALU_DEP_4)
	v_add_co_u32 v28, vcc_lo, v30, v28
	v_add_co_ci_u32_e32 v29, vcc_lo, v31, v29, vcc_lo
	s_clause 0x1
	global_store_b128 v[20:21], v[0:3], off
	global_store_b128 v[22:23], v[4:7], off
	s_waitcnt lgkmcnt(2)
	global_store_b128 v[24:25], v[8:11], off
	s_waitcnt lgkmcnt(1)
	;; [unrolled: 2-line block ×3, first 2 shown]
	global_store_b128 v[28:29], v[16:19], off
	s_nop 0
	s_sendmsg sendmsg(MSG_DEALLOC_VGPRS)
	s_endpgm
	.section	.rodata,"a",@progbits
	.p2align	6, 0x0
	.amdhsa_kernel _Z39paged_attention_ll4mi_QKV_mfma16_kernelI14__hip_bfloat16S0_LN4vllm18Fp8KVCacheDataTypeE0ES0_Li16ELi64ELi256ELb1ELi10EL8MFMAType0EEvPKT_PKT0_S9_ifPKiSB_SB_iPKfiiiPfSE_PS4_PT2_iSD_SD_
		.amdhsa_group_segment_fixed_size 17472
		.amdhsa_private_segment_fixed_size 0
		.amdhsa_kernarg_size 400
		.amdhsa_user_sgpr_count 13
		.amdhsa_user_sgpr_dispatch_ptr 0
		.amdhsa_user_sgpr_queue_ptr 0
		.amdhsa_user_sgpr_kernarg_segment_ptr 1
		.amdhsa_user_sgpr_dispatch_id 0
		.amdhsa_user_sgpr_private_segment_size 0
		.amdhsa_wavefront_size32 1
		.amdhsa_uses_dynamic_stack 0
		.amdhsa_enable_private_segment 0
		.amdhsa_system_sgpr_workgroup_id_x 1
		.amdhsa_system_sgpr_workgroup_id_y 1
		.amdhsa_system_sgpr_workgroup_id_z 1
		.amdhsa_system_sgpr_workgroup_info 0
		.amdhsa_system_vgpr_workitem_id 0
		.amdhsa_next_free_vgpr 198
		.amdhsa_next_free_sgpr 52
		.amdhsa_reserve_vcc 1
		.amdhsa_float_round_mode_32 0
		.amdhsa_float_round_mode_16_64 0
		.amdhsa_float_denorm_mode_32 3
		.amdhsa_float_denorm_mode_16_64 3
		.amdhsa_dx10_clamp 1
		.amdhsa_ieee_mode 1
		.amdhsa_fp16_overflow 0
		.amdhsa_workgroup_processor_mode 1
		.amdhsa_memory_ordered 1
		.amdhsa_forward_progress 0
		.amdhsa_shared_vgpr_count 0
		.amdhsa_exception_fp_ieee_invalid_op 0
		.amdhsa_exception_fp_denorm_src 0
		.amdhsa_exception_fp_ieee_div_zero 0
		.amdhsa_exception_fp_ieee_overflow 0
		.amdhsa_exception_fp_ieee_underflow 0
		.amdhsa_exception_fp_ieee_inexact 0
		.amdhsa_exception_int_div_zero 0
	.end_amdhsa_kernel
	.section	.text._Z39paged_attention_ll4mi_QKV_mfma16_kernelI14__hip_bfloat16S0_LN4vllm18Fp8KVCacheDataTypeE0ES0_Li16ELi64ELi256ELb1ELi10EL8MFMAType0EEvPKT_PKT0_S9_ifPKiSB_SB_iPKfiiiPfSE_PS4_PT2_iSD_SD_,"axG",@progbits,_Z39paged_attention_ll4mi_QKV_mfma16_kernelI14__hip_bfloat16S0_LN4vllm18Fp8KVCacheDataTypeE0ES0_Li16ELi64ELi256ELb1ELi10EL8MFMAType0EEvPKT_PKT0_S9_ifPKiSB_SB_iPKfiiiPfSE_PS4_PT2_iSD_SD_,comdat
.Lfunc_end451:
	.size	_Z39paged_attention_ll4mi_QKV_mfma16_kernelI14__hip_bfloat16S0_LN4vllm18Fp8KVCacheDataTypeE0ES0_Li16ELi64ELi256ELb1ELi10EL8MFMAType0EEvPKT_PKT0_S9_ifPKiSB_SB_iPKfiiiPfSE_PS4_PT2_iSD_SD_, .Lfunc_end451-_Z39paged_attention_ll4mi_QKV_mfma16_kernelI14__hip_bfloat16S0_LN4vllm18Fp8KVCacheDataTypeE0ES0_Li16ELi64ELi256ELb1ELi10EL8MFMAType0EEvPKT_PKT0_S9_ifPKiSB_SB_iPKfiiiPfSE_PS4_PT2_iSD_SD_
                                        ; -- End function
	.section	.AMDGPU.csdata,"",@progbits
; Kernel info:
; codeLenInByte = 10116
; NumSgprs: 54
; NumVgprs: 198
; ScratchSize: 0
; MemoryBound: 0
; FloatMode: 240
; IeeeMode: 1
; LDSByteSize: 17472 bytes/workgroup (compile time only)
; SGPRBlocks: 6
; VGPRBlocks: 24
; NumSGPRsForWavesPerEU: 54
; NumVGPRsForWavesPerEU: 198
; Occupancy: 7
; WaveLimiterHint : 1
; COMPUTE_PGM_RSRC2:SCRATCH_EN: 0
; COMPUTE_PGM_RSRC2:USER_SGPR: 13
; COMPUTE_PGM_RSRC2:TRAP_HANDLER: 0
; COMPUTE_PGM_RSRC2:TGID_X_EN: 1
; COMPUTE_PGM_RSRC2:TGID_Y_EN: 1
; COMPUTE_PGM_RSRC2:TGID_Z_EN: 1
; COMPUTE_PGM_RSRC2:TIDIG_COMP_CNT: 0
	.section	.text._Z39paged_attention_ll4mi_QKV_mfma16_kernelI14__hip_bfloat16S0_LN4vllm18Fp8KVCacheDataTypeE0ES0_Li16ELi64ELi256ELb1ELi11EL8MFMAType0EEvPKT_PKT0_S9_ifPKiSB_SB_iPKfiiiPfSE_PS4_PT2_iSD_SD_,"axG",@progbits,_Z39paged_attention_ll4mi_QKV_mfma16_kernelI14__hip_bfloat16S0_LN4vllm18Fp8KVCacheDataTypeE0ES0_Li16ELi64ELi256ELb1ELi11EL8MFMAType0EEvPKT_PKT0_S9_ifPKiSB_SB_iPKfiiiPfSE_PS4_PT2_iSD_SD_,comdat
	.protected	_Z39paged_attention_ll4mi_QKV_mfma16_kernelI14__hip_bfloat16S0_LN4vllm18Fp8KVCacheDataTypeE0ES0_Li16ELi64ELi256ELb1ELi11EL8MFMAType0EEvPKT_PKT0_S9_ifPKiSB_SB_iPKfiiiPfSE_PS4_PT2_iSD_SD_ ; -- Begin function _Z39paged_attention_ll4mi_QKV_mfma16_kernelI14__hip_bfloat16S0_LN4vllm18Fp8KVCacheDataTypeE0ES0_Li16ELi64ELi256ELb1ELi11EL8MFMAType0EEvPKT_PKT0_S9_ifPKiSB_SB_iPKfiiiPfSE_PS4_PT2_iSD_SD_
	.globl	_Z39paged_attention_ll4mi_QKV_mfma16_kernelI14__hip_bfloat16S0_LN4vllm18Fp8KVCacheDataTypeE0ES0_Li16ELi64ELi256ELb1ELi11EL8MFMAType0EEvPKT_PKT0_S9_ifPKiSB_SB_iPKfiiiPfSE_PS4_PT2_iSD_SD_
	.p2align	8
	.type	_Z39paged_attention_ll4mi_QKV_mfma16_kernelI14__hip_bfloat16S0_LN4vllm18Fp8KVCacheDataTypeE0ES0_Li16ELi64ELi256ELb1ELi11EL8MFMAType0EEvPKT_PKT0_S9_ifPKiSB_SB_iPKfiiiPfSE_PS4_PT2_iSD_SD_,@function
_Z39paged_attention_ll4mi_QKV_mfma16_kernelI14__hip_bfloat16S0_LN4vllm18Fp8KVCacheDataTypeE0ES0_Li16ELi64ELi256ELb1ELi11EL8MFMAType0EEvPKT_PKT0_S9_ifPKiSB_SB_iPKfiiiPfSE_PS4_PT2_iSD_SD_: ; @_Z39paged_attention_ll4mi_QKV_mfma16_kernelI14__hip_bfloat16S0_LN4vllm18Fp8KVCacheDataTypeE0ES0_Li16ELi64ELi256ELb1ELi11EL8MFMAType0EEvPKT_PKT0_S9_ifPKiSB_SB_iPKfiiiPfSE_PS4_PT2_iSD_SD_
; %bb.0:
	s_load_b64 s[2:3], s[0:1], 0x30
	s_mov_b32 s34, s13
	s_waitcnt lgkmcnt(0)
	s_cmp_lg_u64 s[2:3], 0
	s_cselect_b32 s6, -1, 0
	s_ashr_i32 s35, s13, 31
	s_cmp_eq_u64 s[2:3], 0
	s_cbranch_scc1 .LBB452_3
; %bb.1:
	s_lshl_b64 s[4:5], s[34:35], 2
	s_delay_alu instid0(SALU_CYCLE_1) | instskip(SKIP_4) | instid1(SALU_CYCLE_1)
	s_add_u32 s4, s2, s4
	s_addc_u32 s5, s3, s5
	s_load_b64 s[4:5], s[4:5], 0x0
	s_waitcnt lgkmcnt(0)
	s_sub_i32 s4, s5, s4
	s_cmp_eq_u32 s4, 1
	s_cselect_b32 s4, -1, 0
	s_delay_alu instid0(SALU_CYCLE_1)
	s_and_not1_b32 vcc_lo, exec_lo, s4
	s_cbranch_vccz .LBB452_4
.LBB452_2:
	s_nop 0
	s_sendmsg sendmsg(MSG_DEALLOC_VGPRS)
	s_endpgm
.LBB452_3:
.LBB452_4:
	s_load_b64 s[8:9], s[0:1], 0x28
	s_lshl_b64 s[4:5], s[34:35], 2
	s_waitcnt lgkmcnt(0)
	s_add_u32 s8, s8, s4
	s_addc_u32 s9, s9, s5
	s_lshl_b32 s33, s14, 8
	s_load_b32 s30, s[8:9], 0x0
	s_waitcnt lgkmcnt(0)
	s_cmp_ge_i32 s33, s30
	s_cbranch_scc1 .LBB452_2
; %bb.5:
	s_clause 0x1
	s_load_b128 s[8:11], s[0:1], 0x8
	s_load_b64 s[12:13], s[0:1], 0x20
	s_and_not1_b32 vcc_lo, exec_lo, s6
	s_cbranch_vccnz .LBB452_7
; %bb.6:
	s_add_u32 s2, s2, s4
	s_addc_u32 s3, s3, s5
	s_load_b32 s3, s[2:3], 0x0
	s_branch .LBB452_8
.LBB452_7:
	s_mov_b32 s3, s34
.LBB452_8:
	s_load_b128 s[4:7], s[0:1], 0x48
	v_lshrrev_b32_e32 v149, 5, v0
	v_bfe_u32 v146, v0, 4, 1
	v_and_b32_e32 v148, 15, v0
	v_and_b32_e32 v150, 31, v0
	;; [unrolled: 1-line block ×3, first 2 shown]
	s_mul_i32 s31, s15, 11
	v_lshl_or_b32 v1, v149, 1, v146
	v_lshlrev_b32_e32 v2, 3, v148
	v_cmp_gt_u32_e64 s2, 8, v148
	s_delay_alu instid0(VALU_DEP_3) | instskip(NEXT) | instid1(VALU_DEP_3)
	v_cmp_gt_u32_e32 vcc_lo, 11, v1
	v_lshlrev_b32_e32 v145, 1, v2
	s_delay_alu instid0(VALU_DEP_3)
	s_and_b32 s16, s2, vcc_lo
	s_waitcnt lgkmcnt(0)
	s_and_saveexec_b32 s7, s16
	s_cbranch_execz .LBB452_10
; %bb.9:
	s_load_b64 s[16:17], s[0:1], 0x0
	v_add_lshl_u32 v2, v1, s31, 6
	s_mul_hi_i32 s19, s3, s4
	s_mul_i32 s18, s3, s4
	v_lshlrev_b32_e32 v6, 10, v148
	s_lshl_b64 s[18:19], s[18:19], 1
	v_ashrrev_i32_e32 v3, 31, v2
	v_lshlrev_b32_e32 v1, 6, v1
	v_lshlrev_b32_e32 v7, 10, v147
	v_and_b32_e32 v6, 0x3800, v6
	s_delay_alu instid0(VALU_DEP_4) | instskip(NEXT) | instid1(VALU_DEP_2)
	v_lshlrev_b64 v[2:3], 1, v[2:3]
	v_or3_b32 v1, v6, v7, v1
	s_waitcnt lgkmcnt(0)
	s_add_u32 s3, s16, s18
	s_addc_u32 s4, s17, s19
	s_delay_alu instid0(VALU_DEP_2) | instskip(SKIP_1) | instid1(VALU_DEP_2)
	v_add_co_u32 v2, vcc_lo, s3, v2
	v_add_co_ci_u32_e32 v3, vcc_lo, s4, v3, vcc_lo
	v_add_co_u32 v2, vcc_lo, v2, v145
	s_delay_alu instid0(VALU_DEP_2)
	v_add_co_ci_u32_e32 v3, vcc_lo, 0, v3, vcc_lo
	global_load_b128 v[2:5], v[2:3], off
	s_waitcnt vmcnt(0)
	ds_store_b128 v1, v[2:5]
.LBB452_10:
	s_or_b32 exec_lo, exec_lo, s7
	s_mov_b32 s40, 0
	s_add_i32 s3, s30, 15
	s_mov_b32 s41, s40
	s_mov_b32 s42, s40
	;; [unrolled: 1-line block ×7, first 2 shown]
	s_delay_alu instid0(SALU_CYCLE_1)
	v_dual_mov_b32 v144, s47 :: v_dual_and_b32 v1, 0xef, v0
	v_mov_b32_e32 v142, s45
	s_ashr_i32 s7, s3, 31
	s_clause 0x1
	s_load_b32 s4, s[0:1], 0x38
	s_load_b32 s35, s[0:1], 0x1c
	v_add_nc_u32_e32 v1, s33, v1
	s_lshr_b32 s7, s7, 28
	s_waitcnt lgkmcnt(0)
	s_add_i32 s3, s3, s7
	s_barrier
	v_ashrrev_i32_e32 v2, 31, v1
	v_or_b32_e32 v3, 16, v1
	s_ashr_i32 s3, s3, 4
	v_cmp_gt_i32_e32 vcc_lo, s30, v1
	s_add_i32 s3, s3, -1
	v_lshrrev_b32_e32 v2, 28, v2
	v_mov_b32_e32 v143, s46
	buffer_gl0_inv
	s_mul_i32 s6, s15, s6
	v_add_nc_u32_e32 v21, -11, v148
	v_dual_mov_b32 v141, s44 :: v_dual_add_nc_u32 v4, v1, v2
	v_mov_b32_e32 v139, s42
	s_mul_i32 s16, s34, s4
	v_mov_b32_e32 v137, s40
	s_delay_alu instid0(VALU_DEP_3)
	v_ashrrev_i32_e32 v4, 4, v4
	v_add_nc_u32_e32 v2, v3, v2
	v_lshlrev_b32_e32 v22, 5, v148
	s_ashr_i32 s17, s16, 31
	v_mov_b32_e32 v140, s43
	v_cndmask_b32_e32 v1, s3, v4, vcc_lo
	v_ashrrev_i32_e32 v2, 4, v2
	v_cmp_gt_i32_e32 vcc_lo, s30, v3
	s_lshl_b64 s[16:17], s[16:17], 2
	v_lshl_or_b32 v22, v149, 9, v22
	s_add_u32 s4, s12, s16
	s_addc_u32 s36, s13, s17
	v_cndmask_b32_e32 v3, s3, v2, vcc_lo
	v_ashrrev_i32_e32 v2, 31, v1
	s_ashr_i32 s7, s6, 31
	v_mov_b32_e32 v138, s41
	s_lshl_b64 s[6:7], s[6:7], 1
	v_ashrrev_i32_e32 v4, 31, v3
	v_lshlrev_b64 v[1:2], 2, v[1:2]
	s_add_u32 s24, s8, s6
	s_addc_u32 s25, s9, s7
	s_lshl_b32 s8, s14, 4
	v_lshlrev_b64 v[3:4], 2, v[3:4]
	s_ashr_i32 s9, s8, 31
	v_add_co_u32 v1, vcc_lo, s4, v1
	v_add_co_ci_u32_e32 v2, vcc_lo, s36, v2, vcc_lo
	s_delay_alu instid0(VALU_DEP_3) | instskip(NEXT) | instid1(VALU_DEP_4)
	v_add_co_u32 v3, vcc_lo, s4, v3
	v_add_co_ci_u32_e32 v4, vcc_lo, s36, v4, vcc_lo
	s_clause 0x1
	global_load_b32 v5, v[1:2], off
	global_load_b32 v6, v[3:4], off
	s_lshl_b64 s[8:9], s[8:9], 2
	v_lshlrev_b32_e32 v3, 4, v0
	s_add_u32 s8, s4, s8
	s_addc_u32 s9, s36, s9
	s_or_b32 s12, s33, 16
	s_delay_alu instid0(SALU_CYCLE_1) | instskip(SKIP_2) | instid1(SALU_CYCLE_1)
	s_ashr_i32 s13, s12, 4
	s_cmp_lt_i32 s12, s30
	s_cselect_b32 s12, s13, s3
	s_ashr_i32 s13, s12, 31
	s_delay_alu instid0(SALU_CYCLE_1) | instskip(NEXT) | instid1(SALU_CYCLE_1)
	s_lshl_b64 s[12:13], s[12:13], 2
	s_add_u32 s12, s4, s12
	s_addc_u32 s13, s36, s13
	s_or_b32 s15, s33, 32
	s_delay_alu instid0(SALU_CYCLE_1) | instskip(SKIP_2) | instid1(SALU_CYCLE_1)
	s_ashr_i32 s16, s15, 4
	s_cmp_lt_i32 s15, s30
	s_cselect_b32 s16, s16, s3
	s_ashr_i32 s17, s16, 31
	s_delay_alu instid0(SALU_CYCLE_1) | instskip(NEXT) | instid1(SALU_CYCLE_1)
	s_lshl_b64 s[16:17], s[16:17], 2
	;; [unrolled: 10-line block ×5, first 2 shown]
	s_add_u32 s22, s4, s22
	s_addc_u32 s23, s36, s23
	s_clause 0x5
	s_load_b32 s8, s[8:9], 0x0
	s_load_b32 s12, s[12:13], 0x0
	;; [unrolled: 1-line block ×6, first 2 shown]
	s_waitcnt lgkmcnt(0)
	s_mul_hi_i32 s17, s16, s5
	s_mul_i32 s16, s16, s5
	s_waitcnt vmcnt(1)
	v_mad_i64_i32 v[1:2], null, v5, s5, 0
	v_and_b32_e32 v5, 0xf0, v3
	s_waitcnt vmcnt(0)
	v_mad_i64_i32 v[3:4], null, v6, s5, 0
	s_delay_alu instid0(VALU_DEP_2) | instskip(NEXT) | instid1(VALU_DEP_4)
	v_add_co_u32 v5, s9, s24, v5
	v_lshlrev_b64 v[1:2], 1, v[1:2]
	v_add_co_ci_u32_e64 v6, null, s25, 0, s9
	s_delay_alu instid0(VALU_DEP_4) | instskip(SKIP_1) | instid1(VALU_DEP_3)
	v_lshlrev_b64 v[3:4], 1, v[3:4]
	s_or_b32 s9, s33, 0x60
	v_add_co_u32 v19, vcc_lo, v5, v1
	s_delay_alu instid0(VALU_DEP_3) | instskip(NEXT) | instid1(VALU_DEP_3)
	v_add_co_ci_u32_e32 v20, vcc_lo, v6, v2, vcc_lo
	v_add_co_u32 v17, vcc_lo, v5, v3
	s_delay_alu instid0(VALU_DEP_4)
	v_add_co_ci_u32_e32 v18, vcc_lo, v6, v4, vcc_lo
	s_clause 0x9
	global_load_b128 v[1:4], v[19:20], off
	global_load_b128 v[5:8], v[19:20], off offset:256
	global_load_b128 v[129:132], v[17:18], off
	global_load_b128 v[133:136], v[17:18], off offset:256
	global_load_b128 v[33:36], v[19:20], off offset:512
	global_load_b128 v[37:40], v[19:20], off offset:768
	global_load_b128 v[25:28], v[17:18], off offset:512
	global_load_b128 v[29:32], v[17:18], off offset:768
	global_load_b128 v[9:12], v[19:20], off offset:1024
	global_load_b128 v[13:16], v[19:20], off offset:1280
	v_cmp_gt_u32_e32 vcc_lo, 11, v148
	s_clause 0x1
	global_load_b128 v[151:154], v[17:18], off offset:1024
	global_load_b128 v[155:158], v[17:18], off offset:1280
	s_ashr_i32 s13, s9, 4
	s_cmp_lt_i32 s9, s30
	v_cndmask_b32_e32 v21, v21, v148, vcc_lo
	s_cselect_b32 s22, s13, s3
	s_delay_alu instid0(SALU_CYCLE_1) | instskip(NEXT) | instid1(VALU_DEP_1)
	s_ashr_i32 s23, s22, 31
	v_lshlrev_b32_e32 v197, 6, v21
	ds_load_b128 v[159:162], v197
	ds_load_b128 v[163:166], v197 offset:1024
	s_clause 0x3
	global_load_b128 v[167:170], v[19:20], off offset:1536
	global_load_b128 v[171:174], v[19:20], off offset:1792
	global_load_b128 v[175:178], v[17:18], off offset:1536
	global_load_b128 v[179:182], v[17:18], off offset:1792
	s_lshl_b64 s[22:23], s[22:23], 2
	s_delay_alu instid0(SALU_CYCLE_1) | instskip(SKIP_2) | instid1(SALU_CYCLE_1)
	s_add_u32 s22, s4, s22
	s_addc_u32 s23, s36, s23
	s_or_b32 s9, s33, 0x70
	s_ashr_i32 s13, s9, 4
	s_cmp_lt_i32 s9, s30
	s_cselect_b32 s24, s13, s3
	s_delay_alu instid0(SALU_CYCLE_1) | instskip(NEXT) | instid1(SALU_CYCLE_1)
	s_ashr_i32 s25, s24, 31
	s_lshl_b64 s[24:25], s[24:25], 2
	s_delay_alu instid0(SALU_CYCLE_1)
	s_add_u32 s24, s4, s24
	s_addc_u32 s25, s36, s25
	s_or_b32 s9, s33, 0x80
	s_load_b32 s46, s[24:25], 0x0
	s_ashr_i32 s13, s9, 4
	s_cmp_lt_i32 s9, s30
	s_cselect_b32 s26, s13, s3
	s_delay_alu instid0(SALU_CYCLE_1) | instskip(NEXT) | instid1(SALU_CYCLE_1)
	s_ashr_i32 s27, s26, 31
	s_lshl_b64 s[26:27], s[26:27], 2
	s_delay_alu instid0(SALU_CYCLE_1)
	s_add_u32 s26, s4, s26
	s_addc_u32 s27, s36, s27
	s_or_b32 s9, s33, 0x90
	s_load_b32 s47, s[26:27], 0x0
	s_ashr_i32 s13, s9, 4
	s_cmp_lt_i32 s9, s30
	s_cselect_b32 s28, s13, s3
	s_delay_alu instid0(SALU_CYCLE_1) | instskip(NEXT) | instid1(SALU_CYCLE_1)
	s_ashr_i32 s29, s28, 31
	s_lshl_b64 s[28:29], s[28:29], 2
	s_delay_alu instid0(SALU_CYCLE_1) | instskip(SKIP_2) | instid1(SALU_CYCLE_1)
	s_add_u32 s28, s4, s28
	s_addc_u32 s29, s36, s29
	s_or_b32 s9, s33, 0xa0
	s_ashr_i32 s13, s9, 4
	s_cmp_lt_i32 s9, s30
	s_cselect_b32 s38, s13, s3
	s_delay_alu instid0(SALU_CYCLE_1) | instskip(NEXT) | instid1(SALU_CYCLE_1)
	s_ashr_i32 s39, s38, 31
	s_lshl_b64 s[38:39], s[38:39], 2
	s_delay_alu instid0(SALU_CYCLE_1)
	s_add_u32 s38, s4, s38
	s_addc_u32 s39, s36, s39
	s_or_b32 s9, s33, 0xb0
	s_load_b32 s39, s[38:39], 0x0
	s_ashr_i32 s13, s9, 4
	s_cmp_lt_i32 s9, s30
	s_mul_hi_i32 s9, s8, s5
	s_cselect_b32 s40, s13, s3
	s_mul_i32 s8, s8, s5
	s_ashr_i32 s41, s40, 31
	s_mul_hi_i32 s13, s12, s5
	s_lshl_b64 s[40:41], s[40:41], 2
	s_mul_i32 s12, s12, s5
	s_add_u32 s42, s4, s40
	s_addc_u32 s43, s36, s41
	s_or_b32 s19, s33, 0xc0
	s_delay_alu instid0(SALU_CYCLE_1)
	s_ashr_i32 s21, s19, 4
	s_cmp_lt_i32 s19, s30
	s_mul_hi_i32 s19, s18, s5
	s_cselect_b32 s40, s21, s3
	s_mul_i32 s18, s18, s5
	s_ashr_i32 s41, s40, 31
	s_mul_hi_i32 s21, s20, s5
	s_lshl_b64 s[40:41], s[40:41], 2
	s_mul_i32 s20, s20, s5
	s_add_u32 s44, s4, s40
	s_load_b32 s40, s[28:29], 0x0
	s_addc_u32 s45, s36, s41
	s_or_b32 s37, s33, 0xd0
	s_load_b32 s41, s[22:23], 0x0
	s_ashr_i32 s22, s37, 4
	s_cmp_lt_i32 s37, s30
	s_mul_hi_i32 s23, s15, s5
	s_cselect_b32 s24, s22, s3
	s_mul_i32 s22, s15, s5
	s_ashr_i32 s25, s24, 31
	s_waitcnt lgkmcnt(0)
	s_mul_hi_i32 s27, s46, s5
	s_lshl_b64 s[24:25], s[24:25], 2
	s_mul_i32 s26, s46, s5
	s_add_u32 s24, s4, s24
	s_addc_u32 s25, s36, s25
	s_or_b32 s48, s33, 0xe0
	s_clause 0x2
	s_load_b32 s38, s[42:43], 0x0
	s_load_b32 s37, s[44:45], 0x0
	;; [unrolled: 1-line block ×3, first 2 shown]
	s_ashr_i32 s49, s48, 4
	s_cmp_lt_i32 s48, s30
	s_mul_hi_i32 s29, s47, s5
	s_cselect_b32 s42, s49, s3
	s_mul_i32 s28, s47, s5
	s_ashr_i32 s43, s42, 31
	s_mul_hi_i32 s25, s41, s5
	s_lshl_b64 s[42:43], s[42:43], 2
	s_mul_i32 s24, s41, s5
	s_add_u32 s42, s4, s42
	s_addc_u32 s43, s36, s43
	s_or_b32 s46, s33, 0xf0
	s_mul_hi_i32 s41, s40, s5
	s_ashr_i32 s47, s46, 4
	s_cmp_lt_i32 s46, s30
	s_mul_i32 s40, s40, s5
	s_cselect_b32 s46, s47, s3
	s_mul_hi_i32 s45, s39, s5
	s_ashr_i32 s47, s46, 31
	s_mul_i32 s44, s39, s5
	s_lshl_b64 s[46:47], s[46:47], 2
	s_waitcnt lgkmcnt(0)
	s_mul_hi_i32 s39, s38, s5
	s_add_u32 s46, s4, s46
	s_addc_u32 s47, s36, s47
	s_add_u32 s3, s10, s6
	s_addc_u32 s4, s11, s7
	v_add_co_u32 v195, s3, s3, v22
	s_delay_alu instid0(VALU_DEP_1) | instskip(SKIP_2) | instid1(VALU_DEP_2)
	v_add_co_ci_u32_e64 v196, null, s4, 0, s3
	s_lshl_b64 s[6:7], s[8:9], 1
	s_lshl_b64 s[8:9], s[12:13], 1
	v_add_co_u32 v17, vcc_lo, v195, s6
	s_delay_alu instid0(VALU_DEP_2)
	v_add_co_ci_u32_e32 v18, vcc_lo, s7, v196, vcc_lo
	v_add_co_u32 v19, vcc_lo, v195, s8
	s_lshl_b64 s[10:11], s[16:17], 1
	v_add_co_ci_u32_e32 v20, vcc_lo, s9, v196, vcc_lo
	v_add_co_u32 v21, vcc_lo, v195, s10
	s_lshl_b64 s[12:13], s[18:19], 1
	;; [unrolled: 3-line block ×9, first 2 shown]
	s_mul_i32 s38, s38, s5
	v_add_co_ci_u32_e32 v54, vcc_lo, s27, v196, vcc_lo
	v_add_co_u32 v183, vcc_lo, v195, s28
	s_mul_hi_i32 s49, s37, s5
	s_mul_i32 s48, s37, s5
	s_lshl_b64 s[36:37], s[38:39], 1
	v_add_co_ci_u32_e32 v184, vcc_lo, s29, v196, vcc_lo
	v_add_co_u32 v185, vcc_lo, v195, s36
	s_lshl_b64 s[38:39], s[48:49], 1
	s_clause 0x1
	s_load_b32 s3, s[42:43], 0x0
	s_load_b32 s4, s[46:47], 0x0
	v_add_co_ci_u32_e32 v186, vcc_lo, s37, v196, vcc_lo
	v_add_co_u32 v191, vcc_lo, v195, s38
	v_add_co_ci_u32_e32 v192, vcc_lo, s39, v196, vcc_lo
	s_clause 0x17
	global_load_b128 v[121:124], v[17:18], off
	global_load_b128 v[125:128], v[17:18], off offset:16
	global_load_b128 v[113:116], v[19:20], off
	global_load_b128 v[117:120], v[19:20], off offset:16
	;; [unrolled: 2-line block ×12, first 2 shown]
	s_mul_hi_i32 s51, s15, s5
	s_mul_i32 s50, s15, s5
	s_delay_alu instid0(SALU_CYCLE_1) | instskip(NEXT) | instid1(SALU_CYCLE_1)
	s_lshl_b64 s[40:41], s[50:51], 1
	v_add_co_u32 v193, vcc_lo, v195, s40
	v_add_co_ci_u32_e32 v194, vcc_lo, s41, v196, vcc_lo
	s_waitcnt lgkmcnt(0)
	s_mul_hi_i32 s7, s3, s5
	s_mul_i32 s6, s3, s5
	s_mul_hi_i32 s9, s4, s5
	s_lshl_b64 s[6:7], s[6:7], 1
	s_mul_i32 s8, s4, s5
	s_delay_alu instid0(SALU_CYCLE_1)
	s_lshl_b64 s[4:5], s[8:9], 1
	s_waitcnt vmcnt(38)
	v_wmma_f32_16x16x16_bf16 v[183:190], v[1:8], v[159:166], v[137:144]
	s_waitcnt vmcnt(36)
	v_wmma_f32_16x16x16_bf16 v[137:144], v[129:136], v[159:166], v[137:144]
	s_clause 0x1
	global_load_b128 v[1:4], v[191:192], off
	global_load_b128 v[5:8], v[191:192], off offset:16
	ds_load_b128 v[129:132], v197 offset:2048
	ds_load_b128 v[133:136], v197 offset:3072
	ds_load_b128 v[159:162], v197 offset:4096
	ds_load_b128 v[163:166], v197 offset:5120
	v_add_co_u32 v191, vcc_lo, v195, s6
	v_add_co_ci_u32_e32 v192, vcc_lo, s7, v196, vcc_lo
	v_add_co_u32 v195, vcc_lo, v195, s4
	v_add_co_ci_u32_e32 v196, vcc_lo, s5, v196, vcc_lo
	s_waitcnt vmcnt(36) lgkmcnt(2)
	v_wmma_f32_16x16x16_bf16 v[183:190], v[33:40], v[129:136], v[183:190]
	s_waitcnt vmcnt(34)
	v_wmma_f32_16x16x16_bf16 v[137:144], v[25:32], v[129:136], v[137:144]
	s_clause 0x3
	global_load_b128 v[25:28], v[193:194], off
	global_load_b128 v[29:32], v[193:194], off offset:16
	global_load_b128 v[33:36], v[191:192], off
	global_load_b128 v[37:40], v[191:192], off offset:16
	v_and_b32_e32 v129, 0xe0, v0
	v_mbcnt_lo_u32_b32 v191, -1, 0
	s_waitcnt vmcnt(36) lgkmcnt(0)
	v_wmma_f32_16x16x16_bf16 v[183:190], v[9:16], v[159:166], v[183:190]
	s_clause 0x1
	global_load_b128 v[9:12], v[195:196], off
	global_load_b128 v[13:16], v[195:196], off offset:16
	s_waitcnt vmcnt(36)
	v_wmma_f32_16x16x16_bf16 v[137:144], v[151:158], v[159:166], v[137:144]
	v_add_nc_u32_e32 v192, s33, v129
	ds_load_b128 v[129:132], v197 offset:6144
	ds_load_b128 v[133:136], v197 offset:7168
	v_xor_b32_e32 v151, 16, v191
	s_waitcnt vmcnt(0) lgkmcnt(0)
	s_barrier
	v_or_b32_e32 v152, v192, v146
	buffer_gl0_inv
	v_cmp_gt_i32_e32 vcc_lo, 32, v151
	v_or_b32_e32 v153, 2, v152
	v_or_b32_e32 v154, 4, v152
	;; [unrolled: 1-line block ×5, first 2 shown]
	v_cmp_gt_i32_e64 s3, s30, v153
	v_cmp_gt_i32_e64 s4, s30, v154
	;; [unrolled: 1-line block ×3, first 2 shown]
	v_or_b32_e32 v158, 12, v152
	v_or_b32_e32 v159, 14, v152
	v_cmp_gt_i32_e64 s6, s30, v156
	v_wmma_f32_16x16x16_bf16 v[183:190], v[167:174], v[129:136], v[183:190]
	v_wmma_f32_16x16x16_bf16 v[137:144], v[175:182], v[129:136], v[137:144]
	v_cndmask_b32_e32 v151, v191, v151, vcc_lo
	v_cmp_gt_i32_e32 vcc_lo, s30, v152
	v_cmp_gt_i32_e64 s7, s30, v157
	v_dual_mul_f32 v135, s35, v184 :: v_dual_mul_f32 v136, s35, v183
	v_dual_mul_f32 v133, s35, v186 :: v_dual_mul_f32 v134, s35, v185
	;; [unrolled: 1-line block ×3, first 2 shown]
	s_delay_alu instid0(VALU_DEP_3) | instskip(NEXT) | instid1(VALU_DEP_4)
	v_cndmask_b32_e32 v136, 0xff7fffff, v136, vcc_lo
	v_cndmask_b32_e64 v135, 0xff7fffff, v135, s3
	v_mul_f32_e32 v132, s35, v187
	v_cndmask_b32_e64 v134, 0xff7fffff, v134, s4
	v_cndmask_b32_e64 v133, 0xff7fffff, v133, s5
	v_or_b32_e32 v160, 16, v152
	v_max3_f32 v135, v136, 0xff7fffff, v135
	v_or_b32_e32 v161, 18, v152
	v_mul_f32_e32 v130, s35, v189
	v_dual_mul_f32 v172, s35, v140 :: v_dual_mul_f32 v129, s35, v190
	v_cndmask_b32_e64 v132, 0xff7fffff, v132, s6
	v_cndmask_b32_e64 v131, 0xff7fffff, v131, s7
	v_max3_f32 v133, v135, v134, v133
	v_cmp_gt_i32_e64 s8, s30, v158
	v_lshlrev_b32_e32 v158, 2, v151
	v_cmp_gt_i32_e64 s9, s30, v159
	v_or_b32_e32 v162, 20, v152
	v_or_b32_e32 v163, 22, v152
	v_mul_f32_e32 v175, s35, v137
	v_cndmask_b32_e64 v130, 0xff7fffff, v130, s8
	v_cndmask_b32_e64 v129, 0xff7fffff, v129, s9
	v_max3_f32 v131, v133, v132, v131
	v_cmp_gt_i32_e64 s10, s30, v160
	v_cmp_gt_i32_e64 s11, s30, v161
	v_or_b32_e32 v164, 24, v152
	v_or_b32_e32 v165, 26, v152
	v_mul_f32_e32 v173, s35, v139
	v_cndmask_b32_e64 v132, 0xff7fffff, v175, s10
	v_cndmask_b32_e64 v133, 0xff7fffff, v174, s11
	v_max3_f32 v129, v131, v130, v129
	v_cmp_gt_i32_e64 s12, s30, v162
	v_cmp_gt_i32_e64 s13, s30, v163
	v_or_b32_e32 v166, 28, v152
	v_or_b32_e32 v167, 30, v152
	v_dual_mul_f32 v170, s35, v142 :: v_dual_mul_f32 v171, s35, v141
	v_cndmask_b32_e64 v130, 0xff7fffff, v173, s12
	v_cndmask_b32_e64 v131, 0xff7fffff, v172, s13
	v_max3_f32 v129, v129, v132, v133
	v_cmp_gt_i32_e64 s15, s30, v164
	v_cmp_gt_i32_e64 s16, s30, v165
	v_dual_mul_f32 v168, s35, v144 :: v_dual_mul_f32 v169, s35, v143
	s_delay_alu instid0(VALU_DEP_4) | instskip(NEXT) | instid1(VALU_DEP_4)
	v_max3_f32 v129, v129, v130, v131
	v_cndmask_b32_e64 v132, 0xff7fffff, v171, s15
	s_delay_alu instid0(VALU_DEP_4) | instskip(SKIP_2) | instid1(VALU_DEP_3)
	v_cndmask_b32_e64 v133, 0xff7fffff, v170, s16
	v_cmp_gt_i32_e64 s17, s30, v166
	v_cmp_gt_i32_e64 s18, s30, v167
	v_max3_f32 v129, v129, v132, v133
	s_delay_alu instid0(VALU_DEP_3) | instskip(NEXT) | instid1(VALU_DEP_3)
	v_cndmask_b32_e64 v130, 0xff7fffff, v169, s17
	v_cndmask_b32_e64 v131, 0xff7fffff, v168, s18
	s_delay_alu instid0(VALU_DEP_1) | instskip(SKIP_3) | instid1(VALU_DEP_1)
	v_max3_f32 v129, v129, v130, v131
	ds_bpermute_b32 v130, v158, v129
	s_waitcnt lgkmcnt(0)
	v_max_f32_e32 v130, v130, v130
	v_max_f32_e32 v129, v129, v130
	s_delay_alu instid0(VALU_DEP_1)
	v_fma_f32 v130, s35, v183, -v129
	v_fma_f32 v132, s35, v185, -v129
	;; [unrolled: 1-line block ×5, first 2 shown]
	v_mul_f32_e32 v130, 0x3fb8aa3b, v130
	v_mul_f32_e32 v132, 0x3fb8aa3b, v132
	;; [unrolled: 1-line block ×3, first 2 shown]
	v_fma_f32 v135, s35, v189, -v129
	s_delay_alu instid0(VALU_DEP_4) | instskip(NEXT) | instid1(VALU_DEP_3)
	v_exp_f32_e32 v130, v130
	v_exp_f32_e32 v132, v132
	s_delay_alu instid0(VALU_DEP_2) | instskip(NEXT) | instid1(TRANS32_DEP_3)
	v_exp_f32_e32 v134, v134
	v_cndmask_b32_e32 v152, 0, v130, vcc_lo
	v_fma_f32 v130, s35, v188, -v129
	s_waitcnt_depctr 0xfff
	v_cndmask_b32_e64 v153, 0, v132, s4
	v_fma_f32 v132, s35, v190, -v129
	v_mul_f32_e32 v131, 0x3fb8aa3b, v131
	v_cndmask_b32_e64 v155, 0, v134, s6
	v_dual_mul_f32 v130, 0x3fb8aa3b, v130 :: v_dual_mul_f32 v133, 0x3fb8aa3b, v133
	s_delay_alu instid0(VALU_DEP_4) | instskip(NEXT) | instid1(VALU_DEP_4)
	v_mul_f32_e32 v132, 0x3fb8aa3b, v132
	v_exp_f32_e32 v131, v131
	v_fma_f32 v134, s35, v138, -v129
	s_delay_alu instid0(VALU_DEP_3) | instskip(SKIP_2) | instid1(VALU_DEP_1)
	v_exp_f32_e32 v130, v130
	v_exp_f32_e32 v133, v133
	;; [unrolled: 1-line block ×3, first 2 shown]
	v_mul_f32_e32 v134, 0x3fb8aa3b, v134
	v_cndmask_b32_e64 v151, 0, v131, s3
	v_add_f32_e32 v131, 0, v152
	s_delay_alu instid0(TRANS32_DEP_3)
	v_cndmask_b32_e64 v156, 0, v130, s7
	s_waitcnt_depctr 0xfff
	v_cndmask_b32_e64 v154, 0, v133, s5
	v_fma_f32 v133, s35, v137, -v129
	v_exp_f32_e32 v134, v134
	v_add_f32_e32 v131, v131, v151
	v_cmp_gt_u32_e64 s3, 16, v150
	s_delay_alu instid0(VALU_DEP_2) | instskip(NEXT) | instid1(VALU_DEP_1)
	v_add_f32_e32 v131, v131, v153
	v_add_f32_e32 v131, v131, v154
	s_delay_alu instid0(VALU_DEP_1) | instskip(SKIP_2) | instid1(VALU_DEP_3)
	v_add_f32_e32 v130, v131, v155
	v_fma_f32 v131, s35, v139, -v129
	v_fma_f32 v139, s35, v144, -v129
	v_dual_add_f32 v130, v130, v156 :: v_dual_mul_f32 v135, 0x3fb8aa3b, v135
	s_delay_alu instid0(VALU_DEP_1)
	v_exp_f32_e32 v135, v135
	s_waitcnt_depctr 0xfff
	v_cndmask_b32_e64 v157, 0, v135, s8
	v_fma_f32 v135, s35, v140, -v129
	v_cndmask_b32_e64 v140, 0, v132, s9
	v_fma_f32 v132, s35, v141, -v129
	s_delay_alu instid0(VALU_DEP_1) | instskip(SKIP_1) | instid1(VALU_DEP_2)
	v_dual_add_f32 v130, v130, v157 :: v_dual_mul_f32 v137, 0x3fb8aa3b, v132
	v_cndmask_b32_e64 v132, 0, v134, s11
	v_dual_add_f32 v130, v130, v140 :: v_dual_mul_f32 v133, 0x3fb8aa3b, v133
	v_mul_f32_e32 v131, 0x3fb8aa3b, v131
	v_fma_f32 v134, s35, v143, -v129
	v_mul_f32_e32 v135, 0x3fb8aa3b, v135
	s_delay_alu instid0(VALU_DEP_4) | instskip(NEXT) | instid1(VALU_DEP_3)
	v_exp_f32_e32 v133, v133
	v_exp_f32_e32 v136, v131
	s_waitcnt_depctr 0xfff
	v_cndmask_b32_e64 v131, 0, v133, s10
	v_fma_f32 v133, s35, v142, -v129
	s_delay_alu instid0(VALU_DEP_2) | instskip(NEXT) | instid1(VALU_DEP_2)
	v_add_f32_e32 v130, v130, v131
	v_mul_f32_e32 v138, 0x3fb8aa3b, v133
	v_cndmask_b32_e64 v133, 0, v136, s12
	v_mul_f32_e32 v136, 0x3fb8aa3b, v134
	v_exp_f32_e32 v135, v135
	v_add_f32_e32 v130, v130, v132
	v_exp_f32_e32 v138, v138
	s_delay_alu instid0(VALU_DEP_2) | instskip(NEXT) | instid1(VALU_DEP_1)
	v_exp_f32_e32 v141, v136
	v_add_f32_e32 v130, v130, v133
	v_exp_f32_e32 v137, v137
	v_cndmask_b32_e64 v134, 0, v135, s13
	s_delay_alu instid0(TRANS32_DEP_3) | instskip(NEXT) | instid1(VALU_DEP_2)
	v_cndmask_b32_e64 v136, 0, v138, s16
	v_add_f32_e32 v130, v130, v134
	s_waitcnt_depctr 0xfff
	v_cndmask_b32_e64 v135, 0, v137, s15
	v_mul_f32_e32 v137, 0x3fb8aa3b, v139
	s_delay_alu instid0(VALU_DEP_2) | instskip(NEXT) | instid1(VALU_DEP_2)
	v_add_f32_e32 v130, v130, v135
	v_exp_f32_e32 v138, v137
	v_cndmask_b32_e64 v137, 0, v141, s17
	s_delay_alu instid0(VALU_DEP_2) | instskip(NEXT) | instid1(VALU_DEP_1)
	v_add_f32_e32 v130, v130, v136
	v_add_f32_e32 v130, v130, v137
	s_waitcnt_depctr 0xfff
	v_cndmask_b32_e64 v138, 0, v138, s18
	s_delay_alu instid0(VALU_DEP_1)
	v_add_f32_e32 v130, v130, v138
	ds_bpermute_b32 v139, v158, v130
	s_and_saveexec_b32 s4, s3
	s_cbranch_execz .LBB452_12
; %bb.11:
	v_mul_u32_u24_e32 v141, 0x44, v149
	s_delay_alu instid0(VALU_DEP_1) | instskip(SKIP_1) | instid1(VALU_DEP_1)
	v_lshl_add_u32 v141, v148, 2, v141
	s_waitcnt lgkmcnt(0)
	v_dual_add_f32 v130, v130, v139 :: v_dual_add_nc_u32 v139, 0x4000, v141
	ds_store_2addr_b32 v139, v129, v130 offset1:136
.LBB452_12:
	s_or_b32 exec_lo, exec_lo, s4
	v_lshlrev_b32_e32 v129, 2, v148
	s_waitcnt lgkmcnt(0)
	s_barrier
	buffer_gl0_inv
	v_cmp_eq_u32_e64 s4, 1, v149
	v_add_nc_u32_e32 v139, 0x4000, v129
	ds_load_2addr_b32 v[141:142], v139 offset1:17
	ds_load_2addr_b32 v[143:144], v139 offset0:34 offset1:51
	ds_load_2addr_b32 v[158:159], v139 offset0:68 offset1:85
	;; [unrolled: 1-line block ×4, first 2 shown]
	s_waitcnt lgkmcnt(4)
	v_max3_f32 v129, v141, 0xff7fffff, v142
	s_waitcnt lgkmcnt(3)
	s_delay_alu instid0(VALU_DEP_1) | instskip(SKIP_1) | instid1(VALU_DEP_1)
	v_max3_f32 v129, v129, v143, v144
	s_waitcnt lgkmcnt(2)
	v_max3_f32 v129, v129, v158, v159
	s_waitcnt lgkmcnt(1)
	s_delay_alu instid0(VALU_DEP_1) | instskip(NEXT) | instid1(VALU_DEP_1)
	v_max3_f32 v129, v129, v160, v161
	v_sub_f32_e32 v158, v158, v129
	s_delay_alu instid0(VALU_DEP_1) | instskip(NEXT) | instid1(VALU_DEP_1)
	v_dual_sub_f32 v150, v142, v129 :: v_dual_mul_f32 v167, 0x3fb8aa3b, v158
	v_dual_sub_f32 v143, v143, v129 :: v_dual_mul_f32 v150, 0x3fb8aa3b, v150
	s_delay_alu instid0(VALU_DEP_1) | instskip(NEXT) | instid1(VALU_DEP_2)
	v_dual_sub_f32 v130, v141, v129 :: v_dual_mul_f32 v165, 0x3fb8aa3b, v143
	v_exp_f32_e32 v150, v150
	s_delay_alu instid0(VALU_DEP_1) | instskip(NEXT) | instid1(VALU_DEP_2)
	v_mul_f32_e32 v130, 0x3fb8aa3b, v130
	v_exp_f32_e32 v165, v165
	s_delay_alu instid0(VALU_DEP_1) | instskip(SKIP_1) | instid1(VALU_DEP_1)
	v_exp_f32_e32 v164, v130
	v_sub_f32_e32 v130, v144, v129
	v_mul_f32_e32 v166, 0x3fb8aa3b, v130
	s_waitcnt lgkmcnt(0)
	s_waitcnt_depctr 0xfff
	v_fma_f32 v130, v164, v162, 0
	v_sub_f32_e32 v162, v159, v129
	s_delay_alu instid0(VALU_DEP_2)
	v_fmac_f32_e32 v130, v150, v163
	ds_load_2addr_b32 v[141:142], v139 offset0:170 offset1:187
	ds_load_2addr_b32 v[143:144], v139 offset0:204 offset1:221
	;; [unrolled: 1-line block ×3, first 2 shown]
	v_sub_f32_e32 v139, v160, v129
	v_exp_f32_e32 v166, v166
	v_mul_f32_e32 v160, 0x3fb8aa3b, v162
	v_exp_f32_e32 v162, v167
	v_cndmask_b32_e64 v150, v164, v150, s4
	v_mul_f32_e32 v139, 0x3fb8aa3b, v139
	v_cmp_eq_u32_e64 s4, 2, v149
	s_waitcnt lgkmcnt(0)
	s_barrier
	buffer_gl0_inv
	v_exp_f32_e32 v139, v139
	v_cndmask_b32_e64 v150, v150, v165, s4
	v_cmp_eq_u32_e64 s4, 3, v149
	v_fmac_f32_e32 v130, v165, v141
	v_sub_f32_e32 v141, v161, v129
	v_exp_f32_e32 v160, v160
	s_delay_alu instid0(VALU_DEP_3) | instskip(SKIP_1) | instid1(VALU_DEP_3)
	v_cndmask_b32_e64 v150, v150, v166, s4
	v_cmp_eq_u32_e64 s4, 4, v149
	v_dual_fmac_f32 v130, v166, v142 :: v_dual_mul_f32 v141, 0x3fb8aa3b, v141
	s_delay_alu instid0(VALU_DEP_2) | instskip(SKIP_1) | instid1(VALU_DEP_3)
	v_cndmask_b32_e64 v150, v150, v162, s4
	v_cmp_eq_u32_e64 s4, 5, v149
	v_exp_f32_e32 v141, v141
	s_delay_alu instid0(VALU_DEP_3)
	v_fmac_f32_e32 v130, v162, v143
	s_delay_alu instid0(TRANS32_DEP_2) | instid1(VALU_DEP_2)
	v_cndmask_b32_e64 v150, v150, v160, s4
	s_delay_alu instid0(VALU_DEP_2) | instskip(NEXT) | instid1(VALU_DEP_1)
	v_fmac_f32_e32 v130, v160, v144
	v_fmac_f32_e32 v130, v139, v158
	s_waitcnt_depctr 0xfff
	v_fmac_f32_e32 v130, v141, v159
	s_delay_alu instid0(VALU_DEP_1) | instskip(NEXT) | instid1(VALU_DEP_1)
	v_add_f32_e32 v142, 0x358637bd, v130
	v_div_scale_f32 v143, null, v142, v142, 1.0
	v_div_scale_f32 v159, vcc_lo, 1.0, v142, 1.0
	s_delay_alu instid0(VALU_DEP_2) | instskip(SKIP_2) | instid1(VALU_DEP_1)
	v_rcp_f32_e32 v144, v143
	s_waitcnt_depctr 0xfff
	v_fma_f32 v158, -v143, v144, 1.0
	v_fmac_f32_e32 v144, v158, v144
	s_delay_alu instid0(VALU_DEP_1) | instskip(NEXT) | instid1(VALU_DEP_1)
	v_mul_f32_e32 v158, v159, v144
	v_fma_f32 v161, -v143, v158, v159
	s_delay_alu instid0(VALU_DEP_1) | instskip(NEXT) | instid1(VALU_DEP_1)
	v_fmac_f32_e32 v158, v161, v144
	v_fma_f32 v143, -v143, v158, v159
	s_delay_alu instid0(VALU_DEP_1) | instskip(SKIP_1) | instid1(VALU_DEP_2)
	v_div_fmas_f32 v143, v143, v144, v158
	v_cmp_eq_u32_e32 vcc_lo, 6, v149
	v_div_fixup_f32 v142, v143, v142, 1.0
	v_cndmask_b32_e32 v139, v150, v139, vcc_lo
	v_cmp_eq_u32_e32 vcc_lo, 7, v149
	s_delay_alu instid0(VALU_DEP_2) | instskip(NEXT) | instid1(VALU_DEP_1)
	v_cndmask_b32_e32 v139, v139, v141, vcc_lo
	v_mul_f32_e32 v139, v139, v142
	s_delay_alu instid0(VALU_DEP_1) | instskip(SKIP_4) | instid1(VALU_DEP_4)
	v_mul_f32_e32 v153, v139, v153
	v_mul_f32_e32 v142, v139, v152
	;; [unrolled: 1-line block ×5, first 2 shown]
	v_dual_mul_f32 v152, v139, v155 :: v_dual_and_b32 v141, 0x7f800000, v142
	v_mul_f32_e32 v154, v139, v154
	v_mul_f32_e32 v144, v139, v151
	s_delay_alu instid0(VALU_DEP_3) | instskip(SKIP_1) | instid1(SALU_CYCLE_1)
	v_cmp_ne_u32_e32 vcc_lo, 0x7f800000, v141
                                        ; implicit-def: $vgpr141
	s_and_saveexec_b32 s4, vcc_lo
	s_xor_b32 s4, exec_lo, s4
; %bb.13:
	v_bfe_u32 v141, v142, 16, 1
	s_delay_alu instid0(VALU_DEP_1)
	v_add3_u32 v141, v142, v141, 0x7fff
                                        ; implicit-def: $vgpr142
; %bb.14:
	s_and_not1_saveexec_b32 s4, s4
; %bb.15:
	v_and_b32_e32 v141, 0xffff, v142
	v_or_b32_e32 v151, 0x10000, v142
	s_delay_alu instid0(VALU_DEP_2) | instskip(NEXT) | instid1(VALU_DEP_2)
	v_cmp_eq_u32_e32 vcc_lo, 0, v141
	v_cndmask_b32_e32 v141, v151, v142, vcc_lo
; %bb.16:
	s_or_b32 exec_lo, exec_lo, s4
	v_and_b32_e32 v142, 0x7f800000, v144
	s_delay_alu instid0(VALU_DEP_1) | instskip(SKIP_1) | instid1(SALU_CYCLE_1)
	v_cmp_ne_u32_e32 vcc_lo, 0x7f800000, v142
                                        ; implicit-def: $vgpr142
	s_and_saveexec_b32 s4, vcc_lo
	s_xor_b32 s4, exec_lo, s4
; %bb.17:
	v_bfe_u32 v142, v144, 16, 1
	s_delay_alu instid0(VALU_DEP_1)
	v_add3_u32 v142, v144, v142, 0x7fff
                                        ; implicit-def: $vgpr144
; %bb.18:
	s_and_not1_saveexec_b32 s4, s4
; %bb.19:
	v_and_b32_e32 v142, 0xffff, v144
	v_or_b32_e32 v151, 0x10000, v144
	s_delay_alu instid0(VALU_DEP_2) | instskip(NEXT) | instid1(VALU_DEP_2)
	v_cmp_eq_u32_e32 vcc_lo, 0, v142
	v_cndmask_b32_e32 v142, v151, v144, vcc_lo
; %bb.20:
	s_or_b32 exec_lo, exec_lo, s4
	v_and_b32_e32 v144, 0x7f800000, v153
	s_delay_alu instid0(VALU_DEP_1) | instskip(SKIP_1) | instid1(SALU_CYCLE_1)
	v_cmp_ne_u32_e32 vcc_lo, 0x7f800000, v144
                                        ; implicit-def: $vgpr144
	s_and_saveexec_b32 s4, vcc_lo
	s_xor_b32 s4, exec_lo, s4
; %bb.21:
	v_bfe_u32 v144, v153, 16, 1
	s_delay_alu instid0(VALU_DEP_1)
	v_add3_u32 v144, v153, v144, 0x7fff
                                        ; implicit-def: $vgpr153
; %bb.22:
	s_and_not1_saveexec_b32 s4, s4
; %bb.23:
	v_and_b32_e32 v144, 0xffff, v153
	v_or_b32_e32 v151, 0x10000, v153
	s_delay_alu instid0(VALU_DEP_2) | instskip(NEXT) | instid1(VALU_DEP_2)
	v_cmp_eq_u32_e32 vcc_lo, 0, v144
	v_cndmask_b32_e32 v144, v151, v153, vcc_lo
; %bb.24:
	s_or_b32 exec_lo, exec_lo, s4
	v_and_b32_e32 v151, 0x7f800000, v154
	s_delay_alu instid0(VALU_DEP_1) | instskip(SKIP_1) | instid1(SALU_CYCLE_1)
	v_cmp_ne_u32_e32 vcc_lo, 0x7f800000, v151
                                        ; implicit-def: $vgpr151
	s_and_saveexec_b32 s4, vcc_lo
	s_xor_b32 s4, exec_lo, s4
; %bb.25:
	v_bfe_u32 v151, v154, 16, 1
	s_delay_alu instid0(VALU_DEP_1)
	v_add3_u32 v151, v154, v151, 0x7fff
                                        ; implicit-def: $vgpr154
; %bb.26:
	s_and_not1_saveexec_b32 s4, s4
; %bb.27:
	v_and_b32_e32 v151, 0xffff, v154
	v_or_b32_e32 v153, 0x10000, v154
	s_delay_alu instid0(VALU_DEP_2) | instskip(NEXT) | instid1(VALU_DEP_2)
	v_cmp_eq_u32_e32 vcc_lo, 0, v151
	v_cndmask_b32_e32 v151, v153, v154, vcc_lo
; %bb.28:
	s_or_b32 exec_lo, exec_lo, s4
	v_and_b32_e32 v153, 0x7f800000, v152
	s_delay_alu instid0(VALU_DEP_1) | instskip(SKIP_1) | instid1(SALU_CYCLE_1)
	v_cmp_ne_u32_e32 vcc_lo, 0x7f800000, v153
                                        ; implicit-def: $vgpr153
	s_and_saveexec_b32 s4, vcc_lo
	s_xor_b32 s4, exec_lo, s4
; %bb.29:
	v_bfe_u32 v153, v152, 16, 1
	s_delay_alu instid0(VALU_DEP_1)
	v_add3_u32 v153, v152, v153, 0x7fff
                                        ; implicit-def: $vgpr152
; %bb.30:
	s_and_not1_saveexec_b32 s4, s4
; %bb.31:
	v_and_b32_e32 v153, 0xffff, v152
	v_or_b32_e32 v154, 0x10000, v152
	s_delay_alu instid0(VALU_DEP_2) | instskip(NEXT) | instid1(VALU_DEP_2)
	v_cmp_eq_u32_e32 vcc_lo, 0, v153
	v_cndmask_b32_e32 v153, v154, v152, vcc_lo
; %bb.32:
	s_or_b32 exec_lo, exec_lo, s4
	v_and_b32_e32 v152, 0x7f800000, v150
	s_delay_alu instid0(VALU_DEP_1) | instskip(SKIP_1) | instid1(SALU_CYCLE_1)
	v_cmp_ne_u32_e32 vcc_lo, 0x7f800000, v152
                                        ; implicit-def: $vgpr152
	s_and_saveexec_b32 s4, vcc_lo
	s_xor_b32 s4, exec_lo, s4
; %bb.33:
	v_bfe_u32 v152, v150, 16, 1
	s_delay_alu instid0(VALU_DEP_1)
	v_add3_u32 v152, v150, v152, 0x7fff
                                        ; implicit-def: $vgpr150
; %bb.34:
	s_and_not1_saveexec_b32 s4, s4
; %bb.35:
	v_and_b32_e32 v152, 0xffff, v150
	v_or_b32_e32 v154, 0x10000, v150
	s_delay_alu instid0(VALU_DEP_2) | instskip(NEXT) | instid1(VALU_DEP_2)
	v_cmp_eq_u32_e32 vcc_lo, 0, v152
	v_cndmask_b32_e32 v152, v154, v150, vcc_lo
; %bb.36:
	s_or_b32 exec_lo, exec_lo, s4
	v_and_b32_e32 v150, 0x7f800000, v143
	s_delay_alu instid0(VALU_DEP_1) | instskip(SKIP_1) | instid1(SALU_CYCLE_1)
	v_cmp_ne_u32_e32 vcc_lo, 0x7f800000, v150
                                        ; implicit-def: $vgpr150
	s_and_saveexec_b32 s4, vcc_lo
	s_xor_b32 s4, exec_lo, s4
; %bb.37:
	v_bfe_u32 v150, v143, 16, 1
	s_delay_alu instid0(VALU_DEP_1)
	v_add3_u32 v150, v143, v150, 0x7fff
                                        ; implicit-def: $vgpr143
; %bb.38:
	s_and_not1_saveexec_b32 s4, s4
; %bb.39:
	v_and_b32_e32 v150, 0xffff, v143
	v_or_b32_e32 v154, 0x10000, v143
	s_delay_alu instid0(VALU_DEP_2) | instskip(NEXT) | instid1(VALU_DEP_2)
	v_cmp_eq_u32_e32 vcc_lo, 0, v150
	v_cndmask_b32_e32 v150, v154, v143, vcc_lo
; %bb.40:
	s_or_b32 exec_lo, exec_lo, s4
	v_and_b32_e32 v143, 0x7f800000, v140
	s_delay_alu instid0(VALU_DEP_1) | instskip(SKIP_1) | instid1(SALU_CYCLE_1)
	v_cmp_ne_u32_e32 vcc_lo, 0x7f800000, v143
                                        ; implicit-def: $vgpr143
	s_and_saveexec_b32 s4, vcc_lo
	s_xor_b32 s4, exec_lo, s4
; %bb.41:
	v_bfe_u32 v143, v140, 16, 1
	s_delay_alu instid0(VALU_DEP_1)
	v_add3_u32 v143, v140, v143, 0x7fff
                                        ; implicit-def: $vgpr140
; %bb.42:
	s_and_not1_saveexec_b32 s4, s4
; %bb.43:
	v_and_b32_e32 v143, 0xffff, v140
	v_or_b32_e32 v154, 0x10000, v140
	s_delay_alu instid0(VALU_DEP_2) | instskip(NEXT) | instid1(VALU_DEP_2)
	v_cmp_eq_u32_e32 vcc_lo, 0, v143
	v_cndmask_b32_e32 v143, v154, v140, vcc_lo
; %bb.44:
	s_or_b32 exec_lo, exec_lo, s4
	s_load_b64 s[36:37], s[0:1], 0x94
	v_dual_mul_f32 v136, v139, v136 :: v_dual_lshlrev_b32 v155, 4, v146
	s_delay_alu instid0(VALU_DEP_2)
	v_perm_b32 v154, v143, v150, 0x7060302
	v_dual_mul_f32 v143, v139, v131 :: v_dual_lshlrev_b32 v140, 6, v148
	v_dual_mul_f32 v135, v139, v135 :: v_dual_lshlrev_b32 v150, 11, v149
	v_perm_b32 v153, v152, v153, 0x7060302
	v_perm_b32 v152, v151, v144, 0x7060302
	;; [unrolled: 1-line block ×3, first 2 shown]
	s_delay_alu instid0(VALU_DEP_4)
	v_or3_b32 v131, v155, v150, v140
	v_mul_f32_e32 v138, v139, v138
	v_dual_mul_f32 v137, v139, v137 :: v_dual_and_b32 v144, 0x7f800000, v143
	v_mul_f32_e32 v141, v139, v134
	v_mul_f32_e32 v142, v139, v133
	;; [unrolled: 1-line block ×3, first 2 shown]
	s_mov_b32 s4, exec_lo
	ds_store_b128 v131, v[151:154]
                                        ; implicit-def: $vgpr132
	v_cmpx_ne_u32_e32 0x7f800000, v144
	s_xor_b32 s4, exec_lo, s4
; %bb.45:
	v_bfe_u32 v132, v143, 16, 1
	s_delay_alu instid0(VALU_DEP_1)
	v_add3_u32 v132, v143, v132, 0x7fff
                                        ; implicit-def: $vgpr143
; %bb.46:
	s_and_not1_saveexec_b32 s4, s4
; %bb.47:
	v_and_b32_e32 v132, 0xffff, v143
	v_or_b32_e32 v133, 0x10000, v143
	s_delay_alu instid0(VALU_DEP_2) | instskip(NEXT) | instid1(VALU_DEP_2)
	v_cmp_eq_u32_e32 vcc_lo, 0, v132
	v_cndmask_b32_e32 v132, v133, v143, vcc_lo
; %bb.48:
	s_or_b32 exec_lo, exec_lo, s4
	v_and_b32_e32 v133, 0x7f800000, v134
	s_delay_alu instid0(VALU_DEP_1) | instskip(SKIP_1) | instid1(SALU_CYCLE_1)
	v_cmp_ne_u32_e32 vcc_lo, 0x7f800000, v133
                                        ; implicit-def: $vgpr133
	s_and_saveexec_b32 s4, vcc_lo
	s_xor_b32 s4, exec_lo, s4
; %bb.49:
	v_bfe_u32 v133, v134, 16, 1
	s_delay_alu instid0(VALU_DEP_1)
	v_add3_u32 v133, v134, v133, 0x7fff
                                        ; implicit-def: $vgpr134
; %bb.50:
	s_and_not1_saveexec_b32 s4, s4
; %bb.51:
	v_and_b32_e32 v133, 0xffff, v134
	v_or_b32_e32 v139, 0x10000, v134
	s_delay_alu instid0(VALU_DEP_2) | instskip(NEXT) | instid1(VALU_DEP_2)
	v_cmp_eq_u32_e32 vcc_lo, 0, v133
	v_cndmask_b32_e32 v133, v139, v134, vcc_lo
; %bb.52:
	s_or_b32 exec_lo, exec_lo, s4
	v_and_b32_e32 v134, 0x7f800000, v142
	s_delay_alu instid0(VALU_DEP_1) | instskip(SKIP_1) | instid1(SALU_CYCLE_1)
	v_cmp_ne_u32_e32 vcc_lo, 0x7f800000, v134
                                        ; implicit-def: $vgpr134
	s_and_saveexec_b32 s4, vcc_lo
	s_xor_b32 s4, exec_lo, s4
; %bb.53:
	v_bfe_u32 v134, v142, 16, 1
	s_delay_alu instid0(VALU_DEP_1)
	v_add3_u32 v134, v142, v134, 0x7fff
                                        ; implicit-def: $vgpr142
; %bb.54:
	s_and_not1_saveexec_b32 s4, s4
; %bb.55:
	v_and_b32_e32 v134, 0xffff, v142
	v_or_b32_e32 v139, 0x10000, v142
	s_delay_alu instid0(VALU_DEP_2) | instskip(NEXT) | instid1(VALU_DEP_2)
	v_cmp_eq_u32_e32 vcc_lo, 0, v134
	v_cndmask_b32_e32 v134, v139, v142, vcc_lo
; %bb.56:
	s_or_b32 exec_lo, exec_lo, s4
	v_and_b32_e32 v139, 0x7f800000, v141
	s_delay_alu instid0(VALU_DEP_1) | instskip(SKIP_1) | instid1(SALU_CYCLE_1)
	v_cmp_ne_u32_e32 vcc_lo, 0x7f800000, v139
                                        ; implicit-def: $vgpr139
	s_and_saveexec_b32 s4, vcc_lo
	s_xor_b32 s4, exec_lo, s4
; %bb.57:
	v_bfe_u32 v139, v141, 16, 1
	s_delay_alu instid0(VALU_DEP_1)
	v_add3_u32 v139, v141, v139, 0x7fff
                                        ; implicit-def: $vgpr141
; %bb.58:
	s_and_not1_saveexec_b32 s4, s4
; %bb.59:
	v_and_b32_e32 v139, 0xffff, v141
	v_or_b32_e32 v142, 0x10000, v141
	s_delay_alu instid0(VALU_DEP_2) | instskip(NEXT) | instid1(VALU_DEP_2)
	v_cmp_eq_u32_e32 vcc_lo, 0, v139
	v_cndmask_b32_e32 v139, v142, v141, vcc_lo
; %bb.60:
	s_or_b32 exec_lo, exec_lo, s4
	v_and_b32_e32 v141, 0x7f800000, v135
	s_delay_alu instid0(VALU_DEP_1) | instskip(SKIP_1) | instid1(SALU_CYCLE_1)
	v_cmp_ne_u32_e32 vcc_lo, 0x7f800000, v141
                                        ; implicit-def: $vgpr141
	s_and_saveexec_b32 s4, vcc_lo
	s_xor_b32 s4, exec_lo, s4
; %bb.61:
	v_bfe_u32 v141, v135, 16, 1
	s_delay_alu instid0(VALU_DEP_1)
	v_add3_u32 v141, v135, v141, 0x7fff
                                        ; implicit-def: $vgpr135
; %bb.62:
	s_and_not1_saveexec_b32 s4, s4
; %bb.63:
	v_and_b32_e32 v141, 0xffff, v135
	v_or_b32_e32 v142, 0x10000, v135
	s_delay_alu instid0(VALU_DEP_2) | instskip(NEXT) | instid1(VALU_DEP_2)
	v_cmp_eq_u32_e32 vcc_lo, 0, v141
	v_cndmask_b32_e32 v141, v142, v135, vcc_lo
; %bb.64:
	s_or_b32 exec_lo, exec_lo, s4
	v_and_b32_e32 v135, 0x7f800000, v136
	s_delay_alu instid0(VALU_DEP_1) | instskip(SKIP_1) | instid1(SALU_CYCLE_1)
	v_cmp_ne_u32_e32 vcc_lo, 0x7f800000, v135
                                        ; implicit-def: $vgpr135
	s_and_saveexec_b32 s4, vcc_lo
	s_xor_b32 s4, exec_lo, s4
; %bb.65:
	v_bfe_u32 v135, v136, 16, 1
	s_delay_alu instid0(VALU_DEP_1)
	v_add3_u32 v135, v136, v135, 0x7fff
                                        ; implicit-def: $vgpr136
; %bb.66:
	s_and_not1_saveexec_b32 s4, s4
; %bb.67:
	v_and_b32_e32 v135, 0xffff, v136
	v_or_b32_e32 v142, 0x10000, v136
	s_delay_alu instid0(VALU_DEP_2) | instskip(NEXT) | instid1(VALU_DEP_2)
	v_cmp_eq_u32_e32 vcc_lo, 0, v135
	v_cndmask_b32_e32 v135, v142, v136, vcc_lo
; %bb.68:
	s_or_b32 exec_lo, exec_lo, s4
	v_and_b32_e32 v136, 0x7f800000, v137
	s_delay_alu instid0(VALU_DEP_1) | instskip(SKIP_1) | instid1(SALU_CYCLE_1)
	v_cmp_ne_u32_e32 vcc_lo, 0x7f800000, v136
                                        ; implicit-def: $vgpr136
	s_and_saveexec_b32 s4, vcc_lo
	s_xor_b32 s4, exec_lo, s4
; %bb.69:
	v_bfe_u32 v136, v137, 16, 1
	s_delay_alu instid0(VALU_DEP_1)
	v_add3_u32 v136, v137, v136, 0x7fff
                                        ; implicit-def: $vgpr137
; %bb.70:
	s_and_not1_saveexec_b32 s4, s4
; %bb.71:
	v_and_b32_e32 v136, 0xffff, v137
	v_or_b32_e32 v142, 0x10000, v137
	s_delay_alu instid0(VALU_DEP_2) | instskip(NEXT) | instid1(VALU_DEP_2)
	v_cmp_eq_u32_e32 vcc_lo, 0, v136
	v_cndmask_b32_e32 v136, v142, v137, vcc_lo
; %bb.72:
	s_or_b32 exec_lo, exec_lo, s4
	v_and_b32_e32 v137, 0x7f800000, v138
	s_delay_alu instid0(VALU_DEP_1) | instskip(SKIP_1) | instid1(SALU_CYCLE_1)
	v_cmp_ne_u32_e32 vcc_lo, 0x7f800000, v137
                                        ; implicit-def: $vgpr137
	s_and_saveexec_b32 s4, vcc_lo
	s_xor_b32 s4, exec_lo, s4
; %bb.73:
	v_bfe_u32 v137, v138, 16, 1
	s_delay_alu instid0(VALU_DEP_1)
	v_add3_u32 v137, v138, v137, 0x7fff
                                        ; implicit-def: $vgpr138
; %bb.74:
	s_and_not1_saveexec_b32 s4, s4
; %bb.75:
	v_and_b32_e32 v137, 0xffff, v138
	v_or_b32_e32 v142, 0x10000, v138
	s_delay_alu instid0(VALU_DEP_2) | instskip(NEXT) | instid1(VALU_DEP_2)
	v_cmp_eq_u32_e32 vcc_lo, 0, v137
	v_cndmask_b32_e32 v137, v142, v138, vcc_lo
; %bb.76:
	s_or_b32 exec_lo, exec_lo, s4
	s_delay_alu instid0(VALU_DEP_1)
	v_perm_b32 v136, v137, v136, 0x7060302
	v_perm_b32 v135, v135, v141, 0x7060302
	;; [unrolled: 1-line block ×4, first 2 shown]
	v_lshl_or_b32 v141, v149, 11, v140
	ds_store_b128 v131, v[133:136] offset:1024
	s_waitcnt lgkmcnt(0)
	s_barrier
	buffer_gl0_inv
	ds_load_b128 v[132:135], v141
	ds_load_b128 v[149:152], v141 offset:16
	s_waitcnt lgkmcnt(1)
	v_lshrrev_b32_e32 v136, 16, v132
	s_waitcnt lgkmcnt(0)
	v_lshrrev_b32_e32 v164, 16, v151
	v_lshlrev_b32_e32 v138, 2, v146
	v_lshrrev_b32_e32 v143, 16, v149
	v_lshrrev_b32_e32 v162, 16, v150
	;; [unrolled: 1-line block ×4, first 2 shown]
	v_or_b32_e32 v139, 1, v138
	v_lshrrev_b32_e32 v165, 16, v152
	v_lshrrev_b32_e32 v163, 16, v135
	s_delay_alu instid0(VALU_DEP_3)
	v_cmp_eq_u32_e64 s8, 1, v139
	v_cmp_eq_u32_e64 s7, 2, v139
	v_cmp_eq_u32_e64 s6, 3, v139
	v_cmp_eq_u32_e64 s4, 4, v139
	v_cmp_eq_u32_e32 vcc_lo, 5, v139
	v_cndmask_b32_e64 v155, v149, v143, s8
	v_cndmask_b32_e64 v154, v132, v136, s8
	v_cmp_eq_u32_e64 s5, 6, v139
	v_cmp_eq_u32_e64 s20, 7, v139
	s_delay_alu instid0(VALU_DEP_4) | instskip(NEXT) | instid1(VALU_DEP_4)
	v_cndmask_b32_e64 v155, v155, v150, s7
	v_cndmask_b32_e64 v154, v154, v133, s7
	s_delay_alu instid0(VALU_DEP_2) | instskip(NEXT) | instid1(VALU_DEP_2)
	v_cndmask_b32_e64 v155, v155, v162, s6
	v_cndmask_b32_e64 v154, v154, v144, s6
	s_delay_alu instid0(VALU_DEP_2) | instskip(NEXT) | instid1(VALU_DEP_2)
	v_cndmask_b32_e64 v155, v155, v151, s4
	v_cndmask_b32_e64 v154, v154, v134, s4
	s_delay_alu instid0(VALU_DEP_2)
	v_cndmask_b32_e32 v157, v155, v164, vcc_lo
	v_cmp_eq_u32_e64 s13, 1, v138
	v_cmp_eq_u32_e64 s12, 2, v138
	;; [unrolled: 1-line block ×3, first 2 shown]
	v_or_b32_e32 v137, 2, v138
	v_cmp_eq_u32_e64 s18, 4, v138
	v_cndmask_b32_e64 v153, v149, v143, s13
	v_cndmask_b32_e64 v142, v132, v136, s13
	v_cmp_eq_u32_e64 s15, 5, v138
	v_cmp_eq_u32_e64 s9, 1, v137
	;; [unrolled: 1-line block ×3, first 2 shown]
	v_cndmask_b32_e64 v153, v153, v150, s12
	v_cndmask_b32_e64 v142, v142, v133, s12
	v_cmp_eq_u32_e64 s11, 2, v137
	v_cndmask_b32_e64 v156, v132, v136, s9
	v_cndmask_b32_e32 v154, v154, v161, vcc_lo
	v_cndmask_b32_e64 v153, v153, v162, s17
	v_cndmask_b32_e64 v142, v142, v144, s17
	v_cmp_eq_u32_e64 s10, 7, v138
	v_cndmask_b32_e64 v156, v156, v133, s11
	v_cmp_eq_u32_e64 s19, 3, v137
	v_cndmask_b32_e64 v153, v153, v151, s18
	v_cndmask_b32_e64 v142, v142, v134, s18
	;; [unrolled: 1-line block ×3, first 2 shown]
	v_cmp_eq_u32_e64 s21, 4, v137
	v_cndmask_b32_e64 v156, v156, v144, s19
	v_cndmask_b32_e64 v153, v153, v164, s15
	;; [unrolled: 1-line block ×4, first 2 shown]
	v_cmp_eq_u32_e64 s23, 5, v137
	v_cndmask_b32_e64 v159, v156, v134, s21
	v_cndmask_b32_e64 v153, v153, v152, s16
	;; [unrolled: 1-line block ×3, first 2 shown]
	v_cmp_eq_u32_e64 s26, 6, v137
	v_cmp_eq_u32_e64 s28, 7, v137
	v_cndmask_b32_e64 v169, v159, v161, s23
	v_cndmask_b32_e64 v167, v153, v165, s10
	;; [unrolled: 1-line block ×4, first 2 shown]
	v_or_b32_e32 v142, 3, v138
	s_delay_alu instid0(VALU_DEP_3)
	v_cndmask_b32_e64 v158, v153, v150, s11
	ds_load_b128 v[153:156], v141 offset:1024
	v_cmp_eq_u32_e64 s22, 1, v142
	v_cmp_eq_u32_e64 s24, 2, v142
	;; [unrolled: 1-line block ×3, first 2 shown]
	v_cndmask_b32_e64 v158, v158, v162, s19
	v_cmp_eq_u32_e64 s27, 4, v142
	v_cndmask_b32_e64 v132, v132, v136, s22
	v_cndmask_b32_e64 v136, v157, v152, s5
	;; [unrolled: 1-line block ×4, first 2 shown]
	ds_load_b128 v[157:160], v141 offset:1040
	v_cndmask_b32_e64 v132, v132, v133, s24
	v_cmp_eq_u32_e64 s29, 5, v142
	v_cndmask_b32_e64 v143, v143, v150, s24
	v_cmp_eq_u32_e64 s30, 6, v142
	v_cndmask_b32_e64 v133, v170, v164, s23
	v_cndmask_b32_e64 v132, v132, v144, s25
	;; [unrolled: 1-line block ×5, first 2 shown]
	s_waitcnt lgkmcnt(1)
	v_lshrrev_b32_e32 v149, 16, v153
	v_cndmask_b32_e64 v132, v132, v134, s27
	v_cndmask_b32_e64 v133, v133, v152, s26
	;; [unrolled: 1-line block ×3, first 2 shown]
	v_lshrrev_b32_e32 v151, 16, v154
	v_cndmask_b32_e64 v143, v153, v149, s13
	v_cndmask_b32_e64 v132, v132, v161, s29
	;; [unrolled: 1-line block ×5, first 2 shown]
	s_waitcnt lgkmcnt(0)
	v_lshrrev_b32_e32 v150, 16, v157
	v_cndmask_b32_e64 v143, v143, v154, s12
	v_cndmask_b32_e64 v132, v132, v135, s30
	;; [unrolled: 1-line block ×3, first 2 shown]
	v_lshrrev_b32_e32 v164, 16, v159
	v_cndmask_b32_e64 v162, v157, v150, s13
	v_cndmask_b32_e64 v135, v143, v151, s17
	;; [unrolled: 1-line block ×3, first 2 shown]
	v_lshrrev_b32_e32 v161, 16, v158
	v_cndmask_b32_e64 v133, v133, v165, s28
	v_cndmask_b32_e64 v152, v162, v158, s12
	v_cmp_eq_u32_e64 s12, 7, v142
	v_cndmask_b32_e64 v143, v143, v151, s6
	v_cndmask_b32_e64 v135, v135, v155, s18
	v_lshrrev_b32_e32 v162, 16, v155
	v_cndmask_b32_e64 v152, v152, v161, s17
	v_cndmask_b32_e64 v132, v132, v163, s12
	;; [unrolled: 1-line block ×6, first 2 shown]
	s_delay_alu instid0(VALU_DEP_4) | instskip(NEXT) | instid1(VALU_DEP_4)
	v_perm_b32 v135, v134, v132, 0x5040100
	v_cndmask_b32_e32 v132, v143, v162, vcc_lo
	s_delay_alu instid0(VALU_DEP_4)
	v_cndmask_b32_e64 v143, v163, v156, s16
	v_lshrrev_b32_e32 v163, 16, v156
	v_cndmask_b32_e64 v152, v152, v164, s15
	v_perm_b32 v134, v133, v144, 0x5040100
	v_cndmask_b32_e64 v132, v132, v156, s5
	v_perm_b32 v133, v136, v168, 0x5040100
	v_cndmask_b32_e64 v136, v143, v163, s10
	v_cndmask_b32_e64 v143, v152, v160, s16
	;; [unrolled: 1-line block ×13, first 2 shown]
	v_lshrrev_b32_e32 v144, 16, v160
	v_cndmask_b32_e64 v132, v132, v151, s19
	v_cndmask_b32_e64 v149, v149, v151, s25
	;; [unrolled: 1-line block ×14, first 2 shown]
	v_cndmask_b32_e32 v150, v150, v164, vcc_lo
	v_cndmask_b32_e64 v132, v132, v156, s26
	v_cndmask_b32_e64 v149, v149, v156, s30
	;; [unrolled: 1-line block ×11, first 2 shown]
	v_perm_b32 v132, v167, v166, 0x5040100
	v_perm_b32 v152, v151, v149, 0x5040100
	;; [unrolled: 1-line block ×5, first 2 shown]
	s_mul_i32 s9, s37, 11
	s_mov_b32 s4, exec_lo
	ds_store_b128 v131, v[132:135]
	ds_store_b128 v131, v[149:152] offset:1024
	v_cmpx_gt_u32_e32 11, v0
	s_cbranch_execz .LBB452_78
; %bb.77:
	s_mul_i32 s5, s9, s34
	s_load_b128 s[16:19], s[0:1], 0x58
	v_add3_u32 v133, s5, s31, v148
	s_delay_alu instid0(VALU_DEP_1) | instskip(NEXT) | instid1(VALU_DEP_1)
	v_mad_u64_u32 v[131:132], null, v133, s36, s[14:15]
	v_ashrrev_i32_e32 v132, 31, v131
	s_delay_alu instid0(VALU_DEP_1) | instskip(SKIP_1) | instid1(VALU_DEP_1)
	v_lshlrev_b64 v[131:132], 2, v[131:132]
	s_waitcnt lgkmcnt(0)
	v_add_co_u32 v133, vcc_lo, s18, v131
	s_delay_alu instid0(VALU_DEP_2)
	v_add_co_ci_u32_e32 v134, vcc_lo, s19, v132, vcc_lo
	v_add_co_u32 v131, vcc_lo, s16, v131
	v_add_co_ci_u32_e32 v132, vcc_lo, s17, v132, vcc_lo
	global_store_b32 v[133:134], v129, off
	global_store_b32 v[131:132], v130, off
.LBB452_78:
	s_or_b32 exec_lo, exec_lo, s4
	s_waitcnt lgkmcnt(0)
	s_waitcnt_vscnt null, 0x0
	s_barrier
	buffer_gl0_inv
	ds_load_b128 v[148:151], v140
	ds_load_b128 v[152:155], v140 offset:16
	ds_load_b128 v[160:163], v140 offset:1040
	;; [unrolled: 1-line block ×3, first 2 shown]
	v_mov_b32_e32 v129, 0
	ds_load_b128 v[168:171], v140 offset:2064
	ds_load_b128 v[164:167], v140 offset:2048
	;; [unrolled: 1-line block ×6, first 2 shown]
	v_mov_b32_e32 v130, v129
	v_mov_b32_e32 v131, v129
	;; [unrolled: 1-line block ×7, first 2 shown]
	s_waitcnt lgkmcnt(8)
	s_delay_alu instid0(VALU_DEP_1)
	v_wmma_f32_16x16x16_bf16 v[129:136], v[121:128], v[148:155], v[129:136]
	ds_load_b128 v[125:128], v140 offset:5136
	ds_load_b128 v[121:124], v140 offset:5120
	s_waitcnt lgkmcnt(8)
	v_wmma_f32_16x16x16_bf16 v[129:136], v[113:120], v[156:163], v[129:136]
	ds_load_b128 v[117:120], v140 offset:6160
	ds_load_b128 v[113:116], v140 offset:6144
	s_waitcnt lgkmcnt(8)
	;; [unrolled: 4-line block ×8, first 2 shown]
	v_wmma_f32_16x16x16_bf16 v[129:136], v[65:72], v[97:104], v[129:136]
	s_waitcnt lgkmcnt(6)
	s_delay_alu instid0(VALU_DEP_1)
	v_wmma_f32_16x16x16_bf16 v[129:136], v[49:56], v[89:96], v[129:136]
	ds_load_b128 v[53:56], v140 offset:13328
	ds_load_b128 v[49:52], v140 offset:13312
	s_waitcnt lgkmcnt(6)
	v_wmma_f32_16x16x16_bf16 v[129:136], v[41:48], v[81:88], v[129:136]
	ds_load_b128 v[45:48], v140 offset:14352
	ds_load_b128 v[41:44], v140 offset:14336
	s_waitcnt lgkmcnt(6)
	v_wmma_f32_16x16x16_bf16 v[129:136], v[17:24], v[73:80], v[129:136]
	ds_load_b128 v[21:24], v140 offset:15376
	ds_load_b128 v[17:20], v140 offset:15360
	s_waitcnt lgkmcnt(6)
	v_wmma_f32_16x16x16_bf16 v[129:136], v[1:8], v[57:64], v[129:136]
	s_waitcnt lgkmcnt(4)
	s_delay_alu instid0(VALU_DEP_1) | instskip(SKIP_1) | instid1(VALU_DEP_1)
	v_wmma_f32_16x16x16_bf16 v[129:136], v[25:32], v[49:56], v[129:136]
	s_waitcnt lgkmcnt(2)
	v_wmma_f32_16x16x16_bf16 v[129:136], v[33:40], v[41:48], v[129:136]
	s_waitcnt lgkmcnt(0)
	s_delay_alu instid0(VALU_DEP_1) | instskip(NEXT) | instid1(VALU_DEP_1)
	v_wmma_f32_16x16x16_bf16 v[129:136], v[9:16], v[17:24], v[129:136]
	v_and_b32_e32 v1, 0x7f800000, v129
	s_delay_alu instid0(VALU_DEP_1) | instskip(SKIP_1) | instid1(SALU_CYCLE_1)
	v_cmp_ne_u32_e32 vcc_lo, 0x7f800000, v1
                                        ; implicit-def: $vgpr1
	s_and_saveexec_b32 s4, vcc_lo
	s_xor_b32 s4, exec_lo, s4
; %bb.79:
	v_bfe_u32 v1, v129, 16, 1
	s_delay_alu instid0(VALU_DEP_1)
	v_add3_u32 v1, v129, v1, 0x7fff
; %bb.80:
	s_and_not1_saveexec_b32 s4, s4
; %bb.81:
	v_and_b32_e32 v1, 0xffff, v129
	v_or_b32_e32 v2, 0x10000, v129
	s_delay_alu instid0(VALU_DEP_2) | instskip(NEXT) | instid1(VALU_DEP_2)
	v_cmp_eq_u32_e32 vcc_lo, 0, v1
	v_cndmask_b32_e32 v1, v2, v129, vcc_lo
; %bb.82:
	s_or_b32 exec_lo, exec_lo, s4
	v_and_b32_e32 v2, 0x7f800000, v130
	s_delay_alu instid0(VALU_DEP_1) | instskip(SKIP_1) | instid1(SALU_CYCLE_1)
	v_cmp_ne_u32_e32 vcc_lo, 0x7f800000, v2
                                        ; implicit-def: $vgpr2
	s_and_saveexec_b32 s4, vcc_lo
	s_xor_b32 s4, exec_lo, s4
; %bb.83:
	v_bfe_u32 v2, v130, 16, 1
	s_delay_alu instid0(VALU_DEP_1)
	v_add3_u32 v2, v130, v2, 0x7fff
; %bb.84:
	s_and_not1_saveexec_b32 s4, s4
; %bb.85:
	v_and_b32_e32 v2, 0xffff, v130
	v_or_b32_e32 v3, 0x10000, v130
	s_delay_alu instid0(VALU_DEP_2) | instskip(NEXT) | instid1(VALU_DEP_2)
	v_cmp_eq_u32_e32 vcc_lo, 0, v2
	v_cndmask_b32_e32 v2, v3, v130, vcc_lo
; %bb.86:
	s_or_b32 exec_lo, exec_lo, s4
	v_and_b32_e32 v3, 0x7f800000, v131
	s_delay_alu instid0(VALU_DEP_1) | instskip(SKIP_1) | instid1(SALU_CYCLE_1)
	v_cmp_ne_u32_e32 vcc_lo, 0x7f800000, v3
                                        ; implicit-def: $vgpr3
	s_and_saveexec_b32 s4, vcc_lo
	s_xor_b32 s4, exec_lo, s4
; %bb.87:
	v_bfe_u32 v3, v131, 16, 1
	s_delay_alu instid0(VALU_DEP_1)
	v_add3_u32 v3, v131, v3, 0x7fff
; %bb.88:
	s_and_not1_saveexec_b32 s4, s4
; %bb.89:
	v_and_b32_e32 v3, 0xffff, v131
	v_or_b32_e32 v4, 0x10000, v131
	s_delay_alu instid0(VALU_DEP_2) | instskip(NEXT) | instid1(VALU_DEP_2)
	v_cmp_eq_u32_e32 vcc_lo, 0, v3
	v_cndmask_b32_e32 v3, v4, v131, vcc_lo
; %bb.90:
	s_or_b32 exec_lo, exec_lo, s4
	v_and_b32_e32 v4, 0x7f800000, v132
	s_delay_alu instid0(VALU_DEP_1) | instskip(SKIP_1) | instid1(SALU_CYCLE_1)
	v_cmp_ne_u32_e32 vcc_lo, 0x7f800000, v4
                                        ; implicit-def: $vgpr4
	s_and_saveexec_b32 s4, vcc_lo
	s_xor_b32 s4, exec_lo, s4
; %bb.91:
	v_bfe_u32 v4, v132, 16, 1
	s_delay_alu instid0(VALU_DEP_1)
	v_add3_u32 v4, v132, v4, 0x7fff
; %bb.92:
	s_and_not1_saveexec_b32 s4, s4
; %bb.93:
	v_and_b32_e32 v4, 0xffff, v132
	v_or_b32_e32 v5, 0x10000, v132
	s_delay_alu instid0(VALU_DEP_2) | instskip(NEXT) | instid1(VALU_DEP_2)
	v_cmp_eq_u32_e32 vcc_lo, 0, v4
	v_cndmask_b32_e32 v4, v5, v132, vcc_lo
; %bb.94:
	s_or_b32 exec_lo, exec_lo, s4
	v_and_b32_e32 v5, 0x7f800000, v133
	s_delay_alu instid0(VALU_DEP_1) | instskip(SKIP_1) | instid1(SALU_CYCLE_1)
	v_cmp_ne_u32_e32 vcc_lo, 0x7f800000, v5
                                        ; implicit-def: $vgpr5
	s_and_saveexec_b32 s4, vcc_lo
	s_xor_b32 s4, exec_lo, s4
; %bb.95:
	v_bfe_u32 v5, v133, 16, 1
	s_delay_alu instid0(VALU_DEP_1)
	v_add3_u32 v5, v133, v5, 0x7fff
; %bb.96:
	s_and_not1_saveexec_b32 s4, s4
; %bb.97:
	v_and_b32_e32 v5, 0xffff, v133
	v_or_b32_e32 v6, 0x10000, v133
	s_delay_alu instid0(VALU_DEP_2) | instskip(NEXT) | instid1(VALU_DEP_2)
	v_cmp_eq_u32_e32 vcc_lo, 0, v5
	v_cndmask_b32_e32 v5, v6, v133, vcc_lo
; %bb.98:
	s_or_b32 exec_lo, exec_lo, s4
	v_and_b32_e32 v6, 0x7f800000, v134
	s_delay_alu instid0(VALU_DEP_1) | instskip(SKIP_1) | instid1(SALU_CYCLE_1)
	v_cmp_ne_u32_e32 vcc_lo, 0x7f800000, v6
                                        ; implicit-def: $vgpr6
	s_and_saveexec_b32 s4, vcc_lo
	s_xor_b32 s4, exec_lo, s4
; %bb.99:
	v_bfe_u32 v6, v134, 16, 1
	s_delay_alu instid0(VALU_DEP_1)
	v_add3_u32 v6, v134, v6, 0x7fff
; %bb.100:
	s_and_not1_saveexec_b32 s4, s4
; %bb.101:
	v_and_b32_e32 v6, 0xffff, v134
	v_or_b32_e32 v7, 0x10000, v134
	s_delay_alu instid0(VALU_DEP_2) | instskip(NEXT) | instid1(VALU_DEP_2)
	v_cmp_eq_u32_e32 vcc_lo, 0, v6
	v_cndmask_b32_e32 v6, v7, v134, vcc_lo
; %bb.102:
	s_or_b32 exec_lo, exec_lo, s4
	v_and_b32_e32 v7, 0x7f800000, v135
	s_delay_alu instid0(VALU_DEP_1) | instskip(SKIP_1) | instid1(SALU_CYCLE_1)
	v_cmp_ne_u32_e32 vcc_lo, 0x7f800000, v7
                                        ; implicit-def: $vgpr7
	s_and_saveexec_b32 s4, vcc_lo
	s_xor_b32 s4, exec_lo, s4
; %bb.103:
	v_bfe_u32 v7, v135, 16, 1
	s_delay_alu instid0(VALU_DEP_1)
	v_add3_u32 v7, v135, v7, 0x7fff
; %bb.104:
	s_and_not1_saveexec_b32 s4, s4
; %bb.105:
	v_and_b32_e32 v7, 0xffff, v135
	v_or_b32_e32 v8, 0x10000, v135
	s_delay_alu instid0(VALU_DEP_2) | instskip(NEXT) | instid1(VALU_DEP_2)
	v_cmp_eq_u32_e32 vcc_lo, 0, v7
	v_cndmask_b32_e32 v7, v8, v135, vcc_lo
; %bb.106:
	s_or_b32 exec_lo, exec_lo, s4
	v_and_b32_e32 v8, 0x7f800000, v136
	s_delay_alu instid0(VALU_DEP_1) | instskip(SKIP_1) | instid1(SALU_CYCLE_1)
	v_cmp_ne_u32_e32 vcc_lo, 0x7f800000, v8
                                        ; implicit-def: $vgpr8
	s_and_saveexec_b32 s4, vcc_lo
	s_xor_b32 s4, exec_lo, s4
; %bb.107:
	v_bfe_u32 v8, v136, 16, 1
	s_delay_alu instid0(VALU_DEP_1)
	v_add3_u32 v8, v136, v8, 0x7fff
                                        ; implicit-def: $vgpr129_vgpr130_vgpr131_vgpr132_vgpr133_vgpr134_vgpr135_vgpr136
; %bb.108:
	s_and_not1_saveexec_b32 s4, s4
; %bb.109:
	v_and_b32_e32 v8, 0xffff, v136
	v_or_b32_e32 v9, 0x10000, v136
	s_delay_alu instid0(VALU_DEP_2) | instskip(NEXT) | instid1(VALU_DEP_2)
	v_cmp_eq_u32_e32 vcc_lo, 0, v8
	v_cndmask_b32_e32 v8, v9, v136, vcc_lo
; %bb.110:
	s_or_b32 exec_lo, exec_lo, s4
	s_delay_alu instid0(VALU_DEP_1)
	v_perm_b32 v7, v8, v7, 0x7060302
	v_perm_b32 v6, v6, v5, 0x7060302
	;; [unrolled: 1-line block ×4, first 2 shown]
	v_lshl_or_b32 v9, v146, 4, v141
	s_barrier
	buffer_gl0_inv
	v_cmp_eq_u32_e32 vcc_lo, 1, v138
	ds_store_b128 v9, v[4:7]
	s_waitcnt lgkmcnt(0)
	s_barrier
	buffer_gl0_inv
	ds_load_b128 v[1:4], v141
	ds_load_b128 v[5:8], v141 offset:16
	v_cmp_eq_u32_e64 s5, 2, v138
	v_cmp_eq_u32_e64 s4, 1, v139
	;; [unrolled: 1-line block ×5, first 2 shown]
	s_waitcnt lgkmcnt(1)
	v_lshrrev_b32_e32 v10, 16, v1
	s_waitcnt lgkmcnt(0)
	v_lshrrev_b32_e32 v14, 16, v5
	v_lshrrev_b32_e32 v15, 16, v6
	;; [unrolled: 1-line block ×4, first 2 shown]
	v_cndmask_b32_e64 v20, v1, v10, s4
	v_cndmask_b32_e32 v19, v5, v14, vcc_lo
	v_cndmask_b32_e64 v21, v5, v14, s4
	v_lshrrev_b32_e32 v16, 16, v7
	v_cmp_eq_u32_e64 s4, 1, v137
	v_lshrrev_b32_e32 v13, 16, v4
	v_cndmask_b32_e64 v19, v19, v6, s5
	v_lshrrev_b32_e32 v17, 16, v8
	s_delay_alu instid0(VALU_DEP_4) | instskip(SKIP_1) | instid1(VALU_DEP_4)
	v_cndmask_b32_e64 v22, v1, v10, s4
	v_cndmask_b32_e64 v23, v5, v14, s4
	;; [unrolled: 1-line block ×3, first 2 shown]
	v_cndmask_b32_e32 v18, v1, v10, vcc_lo
	v_cmp_eq_u32_e32 vcc_lo, 2, v139
	v_cmp_eq_u32_e64 s4, 2, v142
	v_cndmask_b32_e64 v22, v22, v2, s8
	v_cndmask_b32_e32 v20, v20, v2, vcc_lo
	v_cndmask_b32_e32 v21, v21, v6, vcc_lo
	v_cmp_eq_u32_e32 vcc_lo, 4, v138
	v_cndmask_b32_e32 v19, v19, v7, vcc_lo
	v_cndmask_b32_e64 v18, v18, v2, s5
	v_cmp_eq_u32_e64 s5, 3, v139
	s_delay_alu instid0(VALU_DEP_2) | instskip(NEXT) | instid1(VALU_DEP_2)
	v_cndmask_b32_e64 v18, v18, v11, s6
	v_cndmask_b32_e64 v21, v21, v15, s5
	v_cmp_eq_u32_e64 s6, 5, v138
	s_delay_alu instid0(VALU_DEP_3) | instskip(SKIP_1) | instid1(VALU_DEP_3)
	v_cndmask_b32_e32 v18, v18, v3, vcc_lo
	v_cmp_eq_u32_e32 vcc_lo, 4, v139
	v_cndmask_b32_e64 v19, v19, v16, s6
	s_delay_alu instid0(VALU_DEP_3) | instskip(SKIP_4) | instid1(VALU_DEP_3)
	v_cndmask_b32_e64 v18, v18, v12, s6
	v_cndmask_b32_e32 v21, v21, v7, vcc_lo
	v_cndmask_b32_e64 v20, v20, v11, s5
	v_cmp_eq_u32_e64 s5, 5, v139
	v_cmp_eq_u32_e64 s6, 6, v138
	v_cndmask_b32_e32 v20, v20, v3, vcc_lo
	s_delay_alu instid0(VALU_DEP_3) | instskip(SKIP_1) | instid1(VALU_DEP_4)
	v_cndmask_b32_e64 v21, v21, v16, s5
	v_cmp_eq_u32_e32 vcc_lo, 6, v139
	v_cndmask_b32_e64 v18, v18, v4, s6
	v_cndmask_b32_e64 v19, v19, v8, s6
	;; [unrolled: 1-line block ×3, first 2 shown]
	v_cmp_eq_u32_e64 s5, 1, v142
	v_cmp_eq_u32_e64 s6, 7, v138
	s_delay_alu instid0(VALU_DEP_3) | instskip(NEXT) | instid1(VALU_DEP_3)
	v_cndmask_b32_e32 v20, v20, v4, vcc_lo
	v_cndmask_b32_e64 v1, v1, v10, s5
	v_cndmask_b32_e64 v5, v5, v14, s5
	v_cmp_eq_u32_e64 s5, 3, v137
	v_cndmask_b32_e64 v14, v23, v6, s8
	v_cmp_eq_u32_e64 s8, 3, v142
	v_cndmask_b32_e64 v1, v1, v2, s4
	v_cndmask_b32_e64 v2, v5, v6, s4
	;; [unrolled: 1-line block ×3, first 2 shown]
	v_cmp_eq_u32_e64 s4, 4, v137
	v_cndmask_b32_e64 v6, v14, v15, s5
	v_cndmask_b32_e64 v1, v1, v11, s8
	v_cmp_eq_u32_e64 s5, 4, v142
	v_cndmask_b32_e64 v2, v2, v15, s8
	v_cndmask_b32_e64 v5, v10, v3, s4
	;; [unrolled: 3-line block ×3, first 2 shown]
	v_cndmask_b32_e64 v2, v2, v7, s5
	v_cmp_eq_u32_e64 s4, 5, v142
	v_cndmask_b32_e64 v5, v5, v12, s8
	v_cmp_eq_u32_e64 s5, 6, v137
	;; [unrolled: 2-line block ×3, first 2 shown]
	v_cndmask_b32_e64 v1, v1, v12, s4
	v_cndmask_b32_e64 v2, v2, v16, s4
	;; [unrolled: 1-line block ×4, first 2 shown]
	v_cmp_eq_u32_e64 s4, 7, v142
	v_cndmask_b32_e64 v1, v1, v4, s8
	v_cndmask_b32_e64 v2, v2, v8, s8
	v_cmp_eq_u32_e64 s5, 7, v137
	v_cndmask_b32_e32 v4, v21, v8, vcc_lo
	v_cndmask_b32_e64 v18, v18, v13, s6
	v_cndmask_b32_e64 v20, v20, v13, s7
	;; [unrolled: 1-line block ×8, first 2 shown]
	v_cmp_gt_u32_e32 vcc_lo, 32, v0
	v_perm_b32 v4, v2, v1, 0x5040100
	v_perm_b32 v3, v3, v5, 0x5040100
	v_perm_b32 v2, v6, v20, 0x5040100
	v_perm_b32 v1, v7, v18, 0x5040100
	s_and_b32 s2, vcc_lo, s2
	ds_store_b128 v9, v[1:4]
	s_waitcnt lgkmcnt(0)
	s_barrier
	buffer_gl0_inv
	s_and_saveexec_b32 s4, s2
	s_cbranch_execz .LBB452_2
; %bb.111:
	s_load_b64 s[4:5], s[0:1], 0x68
	v_lshlrev_b32_e32 v0, 10, v0
	v_lshlrev_b32_e32 v1, 4, v147
	s_lshl_b32 s0, s36, 6
	v_add_nc_u32_e32 v7, s31, v146
	s_mul_i32 s1, s0, s34
	s_delay_alu instid0(SALU_CYCLE_1) | instskip(SKIP_1) | instid1(VALU_DEP_2)
	s_mul_i32 s6, s1, s9
	v_and_or_b32 v0, 0x3800, v0, v1
	v_mul_lo_u32 v1, v7, s0
	v_add_nc_u32_e32 v2, 2, v7
	s_ashr_i32 s7, s6, 31
	v_add_nc_u32_e32 v4, 4, v7
	s_lshl_b64 s[6:7], s[6:7], 1
	v_add_nc_u32_e32 v8, 6, v7
	v_mul_lo_u32 v3, v2, s0
	v_lshl_or_b32 v19, v146, 6, v0
	v_ashrrev_i32_e32 v2, 31, v1
	v_mul_lo_u32 v11, v4, s0
	v_mul_lo_u32 v25, v8, s0
	s_waitcnt lgkmcnt(0)
	s_add_u32 s1, s4, s6
	s_addc_u32 s2, s5, s7
	s_lshl_b32 s4, s14, 6
	v_lshlrev_b64 v[5:6], 1, v[1:2]
	s_ashr_i32 s5, s4, 31
	v_ashrrev_i32_e32 v4, 31, v3
	s_lshl_b64 s[4:5], s[4:5], 1
	v_ashrrev_i32_e32 v12, 31, v11
	s_add_u32 s1, s1, s4
	s_addc_u32 s2, s2, s5
	v_add_co_u32 v1, s1, s1, v145
	s_delay_alu instid0(VALU_DEP_1) | instskip(SKIP_1) | instid1(VALU_DEP_3)
	v_add_co_ci_u32_e64 v2, null, s2, 0, s1
	v_lshlrev_b64 v[3:4], 1, v[3:4]
	v_add_co_u32 v23, vcc_lo, v1, v5
	v_add_nc_u32_e32 v5, 8, v7
	s_delay_alu instid0(VALU_DEP_4) | instskip(NEXT) | instid1(VALU_DEP_4)
	v_add_co_ci_u32_e32 v24, vcc_lo, v2, v6, vcc_lo
	v_add_co_u32 v27, vcc_lo, v1, v3
	s_delay_alu instid0(VALU_DEP_3)
	v_mul_lo_u32 v29, v5, s0
	v_add_co_ci_u32_e32 v28, vcc_lo, v2, v4, vcc_lo
	ds_load_b128 v[3:6], v19
	ds_load_b128 v[7:10], v19 offset:128
	v_lshlrev_b64 v[31:32], 1, v[11:12]
	ds_load_b128 v[11:14], v19 offset:256
	ds_load_b128 v[15:18], v19 offset:384
	;; [unrolled: 1-line block ×3, first 2 shown]
	v_ashrrev_i32_e32 v26, 31, v25
	v_ashrrev_i32_e32 v30, 31, v29
	v_add_co_u32 v31, vcc_lo, v1, v31
	s_delay_alu instid0(VALU_DEP_3) | instskip(NEXT) | instid1(VALU_DEP_3)
	v_lshlrev_b64 v[25:26], 1, v[25:26]
	v_lshlrev_b64 v[29:30], 1, v[29:30]
	v_add_co_ci_u32_e32 v32, vcc_lo, v2, v32, vcc_lo
	s_delay_alu instid0(VALU_DEP_3) | instskip(NEXT) | instid1(VALU_DEP_4)
	v_add_co_u32 v25, vcc_lo, v1, v25
	v_add_co_ci_u32_e32 v26, vcc_lo, v2, v26, vcc_lo
	s_delay_alu instid0(VALU_DEP_4)
	v_add_co_u32 v29, vcc_lo, v1, v29
	v_add_co_ci_u32_e32 v30, vcc_lo, v2, v30, vcc_lo
	s_waitcnt lgkmcnt(4)
	global_store_b128 v[23:24], v[3:6], off
	s_waitcnt lgkmcnt(3)
	global_store_b128 v[27:28], v[7:10], off
	;; [unrolled: 2-line block ×5, first 2 shown]
	s_and_b32 exec_lo, exec_lo, s3
	s_cbranch_execz .LBB452_2
; %bb.112:
	ds_load_b128 v[3:6], v0 offset:640
	s_add_i32 s1, s31, 10
	s_delay_alu instid0(SALU_CYCLE_1) | instskip(NEXT) | instid1(SALU_CYCLE_1)
	s_mul_i32 s0, s1, s0
	s_ashr_i32 s1, s0, 31
	s_delay_alu instid0(SALU_CYCLE_1) | instskip(NEXT) | instid1(SALU_CYCLE_1)
	s_lshl_b64 s[0:1], s[0:1], 1
	v_add_co_u32 v0, vcc_lo, v1, s0
	v_add_co_ci_u32_e32 v1, vcc_lo, s1, v2, vcc_lo
	s_waitcnt lgkmcnt(0)
	global_store_b128 v[0:1], v[3:6], off
	s_nop 0
	s_sendmsg sendmsg(MSG_DEALLOC_VGPRS)
	s_endpgm
	.section	.rodata,"a",@progbits
	.p2align	6, 0x0
	.amdhsa_kernel _Z39paged_attention_ll4mi_QKV_mfma16_kernelI14__hip_bfloat16S0_LN4vllm18Fp8KVCacheDataTypeE0ES0_Li16ELi64ELi256ELb1ELi11EL8MFMAType0EEvPKT_PKT0_S9_ifPKiSB_SB_iPKfiiiPfSE_PS4_PT2_iSD_SD_
		.amdhsa_group_segment_fixed_size 17472
		.amdhsa_private_segment_fixed_size 0
		.amdhsa_kernarg_size 400
		.amdhsa_user_sgpr_count 13
		.amdhsa_user_sgpr_dispatch_ptr 0
		.amdhsa_user_sgpr_queue_ptr 0
		.amdhsa_user_sgpr_kernarg_segment_ptr 1
		.amdhsa_user_sgpr_dispatch_id 0
		.amdhsa_user_sgpr_private_segment_size 0
		.amdhsa_wavefront_size32 1
		.amdhsa_uses_dynamic_stack 0
		.amdhsa_enable_private_segment 0
		.amdhsa_system_sgpr_workgroup_id_x 1
		.amdhsa_system_sgpr_workgroup_id_y 1
		.amdhsa_system_sgpr_workgroup_id_z 1
		.amdhsa_system_sgpr_workgroup_info 0
		.amdhsa_system_vgpr_workitem_id 0
		.amdhsa_next_free_vgpr 198
		.amdhsa_next_free_sgpr 52
		.amdhsa_reserve_vcc 1
		.amdhsa_float_round_mode_32 0
		.amdhsa_float_round_mode_16_64 0
		.amdhsa_float_denorm_mode_32 3
		.amdhsa_float_denorm_mode_16_64 3
		.amdhsa_dx10_clamp 1
		.amdhsa_ieee_mode 1
		.amdhsa_fp16_overflow 0
		.amdhsa_workgroup_processor_mode 1
		.amdhsa_memory_ordered 1
		.amdhsa_forward_progress 0
		.amdhsa_shared_vgpr_count 0
		.amdhsa_exception_fp_ieee_invalid_op 0
		.amdhsa_exception_fp_denorm_src 0
		.amdhsa_exception_fp_ieee_div_zero 0
		.amdhsa_exception_fp_ieee_overflow 0
		.amdhsa_exception_fp_ieee_underflow 0
		.amdhsa_exception_fp_ieee_inexact 0
		.amdhsa_exception_int_div_zero 0
	.end_amdhsa_kernel
	.section	.text._Z39paged_attention_ll4mi_QKV_mfma16_kernelI14__hip_bfloat16S0_LN4vllm18Fp8KVCacheDataTypeE0ES0_Li16ELi64ELi256ELb1ELi11EL8MFMAType0EEvPKT_PKT0_S9_ifPKiSB_SB_iPKfiiiPfSE_PS4_PT2_iSD_SD_,"axG",@progbits,_Z39paged_attention_ll4mi_QKV_mfma16_kernelI14__hip_bfloat16S0_LN4vllm18Fp8KVCacheDataTypeE0ES0_Li16ELi64ELi256ELb1ELi11EL8MFMAType0EEvPKT_PKT0_S9_ifPKiSB_SB_iPKfiiiPfSE_PS4_PT2_iSD_SD_,comdat
.Lfunc_end452:
	.size	_Z39paged_attention_ll4mi_QKV_mfma16_kernelI14__hip_bfloat16S0_LN4vllm18Fp8KVCacheDataTypeE0ES0_Li16ELi64ELi256ELb1ELi11EL8MFMAType0EEvPKT_PKT0_S9_ifPKiSB_SB_iPKfiiiPfSE_PS4_PT2_iSD_SD_, .Lfunc_end452-_Z39paged_attention_ll4mi_QKV_mfma16_kernelI14__hip_bfloat16S0_LN4vllm18Fp8KVCacheDataTypeE0ES0_Li16ELi64ELi256ELb1ELi11EL8MFMAType0EEvPKT_PKT0_S9_ifPKiSB_SB_iPKfiiiPfSE_PS4_PT2_iSD_SD_
                                        ; -- End function
	.section	.AMDGPU.csdata,"",@progbits
; Kernel info:
; codeLenInByte = 10216
; NumSgprs: 54
; NumVgprs: 198
; ScratchSize: 0
; MemoryBound: 0
; FloatMode: 240
; IeeeMode: 1
; LDSByteSize: 17472 bytes/workgroup (compile time only)
; SGPRBlocks: 6
; VGPRBlocks: 24
; NumSGPRsForWavesPerEU: 54
; NumVGPRsForWavesPerEU: 198
; Occupancy: 7
; WaveLimiterHint : 1
; COMPUTE_PGM_RSRC2:SCRATCH_EN: 0
; COMPUTE_PGM_RSRC2:USER_SGPR: 13
; COMPUTE_PGM_RSRC2:TRAP_HANDLER: 0
; COMPUTE_PGM_RSRC2:TGID_X_EN: 1
; COMPUTE_PGM_RSRC2:TGID_Y_EN: 1
; COMPUTE_PGM_RSRC2:TGID_Z_EN: 1
; COMPUTE_PGM_RSRC2:TIDIG_COMP_CNT: 0
	.section	.text._Z39paged_attention_ll4mi_QKV_mfma16_kernelI14__hip_bfloat16S0_LN4vllm18Fp8KVCacheDataTypeE0ES0_Li16ELi64ELi256ELb1ELi12EL8MFMAType0EEvPKT_PKT0_S9_ifPKiSB_SB_iPKfiiiPfSE_PS4_PT2_iSD_SD_,"axG",@progbits,_Z39paged_attention_ll4mi_QKV_mfma16_kernelI14__hip_bfloat16S0_LN4vllm18Fp8KVCacheDataTypeE0ES0_Li16ELi64ELi256ELb1ELi12EL8MFMAType0EEvPKT_PKT0_S9_ifPKiSB_SB_iPKfiiiPfSE_PS4_PT2_iSD_SD_,comdat
	.protected	_Z39paged_attention_ll4mi_QKV_mfma16_kernelI14__hip_bfloat16S0_LN4vllm18Fp8KVCacheDataTypeE0ES0_Li16ELi64ELi256ELb1ELi12EL8MFMAType0EEvPKT_PKT0_S9_ifPKiSB_SB_iPKfiiiPfSE_PS4_PT2_iSD_SD_ ; -- Begin function _Z39paged_attention_ll4mi_QKV_mfma16_kernelI14__hip_bfloat16S0_LN4vllm18Fp8KVCacheDataTypeE0ES0_Li16ELi64ELi256ELb1ELi12EL8MFMAType0EEvPKT_PKT0_S9_ifPKiSB_SB_iPKfiiiPfSE_PS4_PT2_iSD_SD_
	.globl	_Z39paged_attention_ll4mi_QKV_mfma16_kernelI14__hip_bfloat16S0_LN4vllm18Fp8KVCacheDataTypeE0ES0_Li16ELi64ELi256ELb1ELi12EL8MFMAType0EEvPKT_PKT0_S9_ifPKiSB_SB_iPKfiiiPfSE_PS4_PT2_iSD_SD_
	.p2align	8
	.type	_Z39paged_attention_ll4mi_QKV_mfma16_kernelI14__hip_bfloat16S0_LN4vllm18Fp8KVCacheDataTypeE0ES0_Li16ELi64ELi256ELb1ELi12EL8MFMAType0EEvPKT_PKT0_S9_ifPKiSB_SB_iPKfiiiPfSE_PS4_PT2_iSD_SD_,@function
_Z39paged_attention_ll4mi_QKV_mfma16_kernelI14__hip_bfloat16S0_LN4vllm18Fp8KVCacheDataTypeE0ES0_Li16ELi64ELi256ELb1ELi12EL8MFMAType0EEvPKT_PKT0_S9_ifPKiSB_SB_iPKfiiiPfSE_PS4_PT2_iSD_SD_: ; @_Z39paged_attention_ll4mi_QKV_mfma16_kernelI14__hip_bfloat16S0_LN4vllm18Fp8KVCacheDataTypeE0ES0_Li16ELi64ELi256ELb1ELi12EL8MFMAType0EEvPKT_PKT0_S9_ifPKiSB_SB_iPKfiiiPfSE_PS4_PT2_iSD_SD_
; %bb.0:
	s_load_b64 s[2:3], s[0:1], 0x30
	s_mov_b32 s30, s13
	s_waitcnt lgkmcnt(0)
	s_cmp_lg_u64 s[2:3], 0
	s_cselect_b32 s6, -1, 0
	s_ashr_i32 s31, s13, 31
	s_cmp_eq_u64 s[2:3], 0
	s_cbranch_scc1 .LBB453_3
; %bb.1:
	s_lshl_b64 s[4:5], s[30:31], 2
	s_delay_alu instid0(SALU_CYCLE_1) | instskip(SKIP_4) | instid1(SALU_CYCLE_1)
	s_add_u32 s4, s2, s4
	s_addc_u32 s5, s3, s5
	s_load_b64 s[4:5], s[4:5], 0x0
	s_waitcnt lgkmcnt(0)
	s_sub_i32 s4, s5, s4
	s_cmp_eq_u32 s4, 1
	s_cselect_b32 s4, -1, 0
	s_delay_alu instid0(SALU_CYCLE_1)
	s_and_not1_b32 vcc_lo, exec_lo, s4
	s_cbranch_vccz .LBB453_4
.LBB453_2:
	s_endpgm
.LBB453_3:
.LBB453_4:
	s_load_b64 s[8:9], s[0:1], 0x28
	s_lshl_b64 s[4:5], s[30:31], 2
	s_waitcnt lgkmcnt(0)
	s_add_u32 s8, s8, s4
	s_addc_u32 s9, s9, s5
	s_lshl_b32 s34, s14, 8
	s_load_b32 s33, s[8:9], 0x0
	s_waitcnt lgkmcnt(0)
	s_cmp_ge_i32 s34, s33
	s_cbranch_scc1 .LBB453_2
; %bb.5:
	s_clause 0x1
	s_load_b128 s[8:11], s[0:1], 0x8
	s_load_b64 s[12:13], s[0:1], 0x20
	s_and_not1_b32 vcc_lo, exec_lo, s6
	s_cbranch_vccnz .LBB453_7
; %bb.6:
	s_add_u32 s2, s2, s4
	s_addc_u32 s3, s3, s5
	s_load_b32 s3, s[2:3], 0x0
	s_branch .LBB453_8
.LBB453_7:
	s_mov_b32 s3, s30
.LBB453_8:
	s_load_b128 s[4:7], s[0:1], 0x48
	v_and_b32_e32 v148, 15, v0
	v_cmp_gt_u32_e32 vcc_lo, 0xc0, v0
	v_lshrrev_b32_e32 v149, 5, v0
	v_and_b32_e32 v150, 31, v0
	v_and_b32_e32 v147, 1, v0
	v_lshlrev_b32_e32 v1, 3, v148
	v_cmp_gt_u32_e64 s2, 8, v148
	v_bfe_u32 v146, v0, 4, 1
	s_mul_i32 s31, s15, 12
	s_delay_alu instid0(VALU_DEP_3) | instskip(NEXT) | instid1(VALU_DEP_3)
	v_lshlrev_b32_e32 v145, 1, v1
	s_and_b32 s16, vcc_lo, s2
	s_waitcnt lgkmcnt(0)
	s_and_saveexec_b32 s7, s16
	s_cbranch_execz .LBB453_10
; %bb.9:
	s_load_b64 s[16:17], s[0:1], 0x0
	v_lshl_or_b32 v5, v149, 1, v146
	s_mul_hi_i32 s19, s3, s4
	s_mul_i32 s18, s3, s4
	v_lshlrev_b32_e32 v6, 10, v148
	s_lshl_b64 s[18:19], s[18:19], 1
	v_add_lshl_u32 v1, v5, s31, 6
	v_lshlrev_b32_e32 v5, 6, v5
	v_lshlrev_b32_e32 v7, 10, v147
	v_and_b32_e32 v6, 0x3800, v6
	s_delay_alu instid0(VALU_DEP_4) | instskip(NEXT) | instid1(VALU_DEP_2)
	v_ashrrev_i32_e32 v2, 31, v1
	v_or3_b32 v5, v6, v7, v5
	s_delay_alu instid0(VALU_DEP_2) | instskip(SKIP_3) | instid1(VALU_DEP_1)
	v_lshlrev_b64 v[1:2], 1, v[1:2]
	s_waitcnt lgkmcnt(0)
	s_add_u32 s3, s16, s18
	s_addc_u32 s4, s17, s19
	v_add_co_u32 v1, vcc_lo, s3, v1
	s_delay_alu instid0(VALU_DEP_2) | instskip(NEXT) | instid1(VALU_DEP_2)
	v_add_co_ci_u32_e32 v2, vcc_lo, s4, v2, vcc_lo
	v_add_co_u32 v1, vcc_lo, v1, v145
	s_delay_alu instid0(VALU_DEP_2)
	v_add_co_ci_u32_e32 v2, vcc_lo, 0, v2, vcc_lo
	global_load_b128 v[1:4], v[1:2], off
	s_waitcnt vmcnt(0)
	ds_store_b128 v5, v[1:4]
.LBB453_10:
	s_or_b32 exec_lo, exec_lo, s7
	s_mov_b32 s40, 0
	s_add_i32 s3, s33, 15
	s_mov_b32 s41, s40
	s_mov_b32 s42, s40
	;; [unrolled: 1-line block ×7, first 2 shown]
	s_delay_alu instid0(SALU_CYCLE_1)
	v_dual_mov_b32 v144, s47 :: v_dual_and_b32 v1, 0xef, v0
	v_mov_b32_e32 v142, s45
	s_ashr_i32 s7, s3, 31
	s_clause 0x1
	s_load_b32 s4, s[0:1], 0x38
	s_load_b32 s35, s[0:1], 0x1c
	v_add_nc_u32_e32 v1, s34, v1
	s_lshr_b32 s7, s7, 28
	s_waitcnt lgkmcnt(0)
	s_add_i32 s3, s3, s7
	s_barrier
	v_ashrrev_i32_e32 v2, 31, v1
	v_or_b32_e32 v3, 16, v1
	s_ashr_i32 s3, s3, 4
	v_cmp_gt_i32_e32 vcc_lo, s33, v1
	s_add_i32 s3, s3, -1
	v_lshrrev_b32_e32 v2, 28, v2
	v_mov_b32_e32 v143, s46
	buffer_gl0_inv
	s_mul_i32 s6, s15, s6
	v_add_nc_u32_e32 v21, -12, v148
	v_dual_mov_b32 v141, s44 :: v_dual_add_nc_u32 v4, v1, v2
	v_mov_b32_e32 v139, s42
	s_mul_i32 s16, s30, s4
	v_mov_b32_e32 v137, s40
	s_delay_alu instid0(VALU_DEP_3)
	v_ashrrev_i32_e32 v4, 4, v4
	v_add_nc_u32_e32 v2, v3, v2
	v_lshlrev_b32_e32 v22, 5, v148
	s_ashr_i32 s17, s16, 31
	v_mov_b32_e32 v140, s43
	v_cndmask_b32_e32 v1, s3, v4, vcc_lo
	v_ashrrev_i32_e32 v2, 4, v2
	v_cmp_gt_i32_e32 vcc_lo, s33, v3
	s_lshl_b64 s[16:17], s[16:17], 2
	v_lshl_or_b32 v22, v149, 9, v22
	s_add_u32 s4, s12, s16
	s_addc_u32 s36, s13, s17
	v_cndmask_b32_e32 v3, s3, v2, vcc_lo
	v_ashrrev_i32_e32 v2, 31, v1
	s_ashr_i32 s7, s6, 31
	v_mov_b32_e32 v138, s41
	s_lshl_b64 s[6:7], s[6:7], 1
	v_ashrrev_i32_e32 v4, 31, v3
	v_lshlrev_b64 v[1:2], 2, v[1:2]
	s_add_u32 s24, s8, s6
	s_addc_u32 s25, s9, s7
	s_lshl_b32 s8, s14, 4
	v_lshlrev_b64 v[3:4], 2, v[3:4]
	s_ashr_i32 s9, s8, 31
	v_add_co_u32 v1, vcc_lo, s4, v1
	v_add_co_ci_u32_e32 v2, vcc_lo, s36, v2, vcc_lo
	s_delay_alu instid0(VALU_DEP_3) | instskip(NEXT) | instid1(VALU_DEP_4)
	v_add_co_u32 v3, vcc_lo, s4, v3
	v_add_co_ci_u32_e32 v4, vcc_lo, s36, v4, vcc_lo
	s_clause 0x1
	global_load_b32 v5, v[1:2], off
	global_load_b32 v6, v[3:4], off
	s_lshl_b64 s[8:9], s[8:9], 2
	v_lshlrev_b32_e32 v3, 4, v0
	s_add_u32 s8, s4, s8
	s_addc_u32 s9, s36, s9
	s_or_b32 s12, s34, 16
	s_delay_alu instid0(SALU_CYCLE_1) | instskip(SKIP_2) | instid1(SALU_CYCLE_1)
	s_ashr_i32 s13, s12, 4
	s_cmp_lt_i32 s12, s33
	s_cselect_b32 s12, s13, s3
	s_ashr_i32 s13, s12, 31
	s_delay_alu instid0(SALU_CYCLE_1) | instskip(NEXT) | instid1(SALU_CYCLE_1)
	s_lshl_b64 s[12:13], s[12:13], 2
	s_add_u32 s12, s4, s12
	s_addc_u32 s13, s36, s13
	s_or_b32 s15, s34, 32
	s_delay_alu instid0(SALU_CYCLE_1) | instskip(SKIP_2) | instid1(SALU_CYCLE_1)
	s_ashr_i32 s16, s15, 4
	s_cmp_lt_i32 s15, s33
	s_cselect_b32 s16, s16, s3
	s_ashr_i32 s17, s16, 31
	s_delay_alu instid0(SALU_CYCLE_1) | instskip(NEXT) | instid1(SALU_CYCLE_1)
	s_lshl_b64 s[16:17], s[16:17], 2
	;; [unrolled: 10-line block ×5, first 2 shown]
	s_add_u32 s22, s4, s22
	s_addc_u32 s23, s36, s23
	s_clause 0x5
	s_load_b32 s8, s[8:9], 0x0
	s_load_b32 s12, s[12:13], 0x0
	;; [unrolled: 1-line block ×6, first 2 shown]
	s_waitcnt lgkmcnt(0)
	s_mul_hi_i32 s17, s16, s5
	s_mul_i32 s16, s16, s5
	s_waitcnt vmcnt(1)
	v_mad_i64_i32 v[1:2], null, v5, s5, 0
	v_and_b32_e32 v5, 0xf0, v3
	s_waitcnt vmcnt(0)
	v_mad_i64_i32 v[3:4], null, v6, s5, 0
	s_delay_alu instid0(VALU_DEP_2) | instskip(NEXT) | instid1(VALU_DEP_4)
	v_add_co_u32 v5, s9, s24, v5
	v_lshlrev_b64 v[1:2], 1, v[1:2]
	v_add_co_ci_u32_e64 v6, null, s25, 0, s9
	s_delay_alu instid0(VALU_DEP_4) | instskip(SKIP_1) | instid1(VALU_DEP_3)
	v_lshlrev_b64 v[3:4], 1, v[3:4]
	s_or_b32 s9, s34, 0x60
	v_add_co_u32 v19, vcc_lo, v5, v1
	s_delay_alu instid0(VALU_DEP_3) | instskip(NEXT) | instid1(VALU_DEP_3)
	v_add_co_ci_u32_e32 v20, vcc_lo, v6, v2, vcc_lo
	v_add_co_u32 v17, vcc_lo, v5, v3
	s_delay_alu instid0(VALU_DEP_4)
	v_add_co_ci_u32_e32 v18, vcc_lo, v6, v4, vcc_lo
	s_clause 0x9
	global_load_b128 v[1:4], v[19:20], off
	global_load_b128 v[5:8], v[19:20], off offset:256
	global_load_b128 v[129:132], v[17:18], off
	global_load_b128 v[133:136], v[17:18], off offset:256
	global_load_b128 v[33:36], v[19:20], off offset:512
	;; [unrolled: 1-line block ×7, first 2 shown]
	v_cmp_gt_u32_e32 vcc_lo, 12, v148
	s_clause 0x1
	global_load_b128 v[151:154], v[17:18], off offset:1024
	global_load_b128 v[155:158], v[17:18], off offset:1280
	s_ashr_i32 s13, s9, 4
	s_cmp_lt_i32 s9, s33
	v_cndmask_b32_e32 v21, v21, v148, vcc_lo
	s_cselect_b32 s22, s13, s3
	s_delay_alu instid0(SALU_CYCLE_1) | instskip(NEXT) | instid1(VALU_DEP_1)
	s_ashr_i32 s23, s22, 31
	v_lshlrev_b32_e32 v197, 6, v21
	ds_load_b128 v[159:162], v197
	ds_load_b128 v[163:166], v197 offset:1024
	s_clause 0x3
	global_load_b128 v[167:170], v[19:20], off offset:1536
	global_load_b128 v[171:174], v[19:20], off offset:1792
	;; [unrolled: 1-line block ×4, first 2 shown]
	s_lshl_b64 s[22:23], s[22:23], 2
	s_delay_alu instid0(SALU_CYCLE_1) | instskip(SKIP_2) | instid1(SALU_CYCLE_1)
	s_add_u32 s22, s4, s22
	s_addc_u32 s23, s36, s23
	s_or_b32 s9, s34, 0x70
	s_ashr_i32 s13, s9, 4
	s_cmp_lt_i32 s9, s33
	s_cselect_b32 s24, s13, s3
	s_delay_alu instid0(SALU_CYCLE_1) | instskip(NEXT) | instid1(SALU_CYCLE_1)
	s_ashr_i32 s25, s24, 31
	s_lshl_b64 s[24:25], s[24:25], 2
	s_delay_alu instid0(SALU_CYCLE_1)
	s_add_u32 s24, s4, s24
	s_addc_u32 s25, s36, s25
	s_or_b32 s9, s34, 0x80
	s_load_b32 s46, s[24:25], 0x0
	s_ashr_i32 s13, s9, 4
	s_cmp_lt_i32 s9, s33
	s_cselect_b32 s26, s13, s3
	s_delay_alu instid0(SALU_CYCLE_1) | instskip(NEXT) | instid1(SALU_CYCLE_1)
	s_ashr_i32 s27, s26, 31
	s_lshl_b64 s[26:27], s[26:27], 2
	s_delay_alu instid0(SALU_CYCLE_1)
	s_add_u32 s26, s4, s26
	s_addc_u32 s27, s36, s27
	s_or_b32 s9, s34, 0x90
	s_load_b32 s47, s[26:27], 0x0
	s_ashr_i32 s13, s9, 4
	s_cmp_lt_i32 s9, s33
	s_cselect_b32 s28, s13, s3
	s_delay_alu instid0(SALU_CYCLE_1) | instskip(NEXT) | instid1(SALU_CYCLE_1)
	s_ashr_i32 s29, s28, 31
	s_lshl_b64 s[28:29], s[28:29], 2
	s_delay_alu instid0(SALU_CYCLE_1) | instskip(SKIP_2) | instid1(SALU_CYCLE_1)
	s_add_u32 s28, s4, s28
	s_addc_u32 s29, s36, s29
	s_or_b32 s9, s34, 0xa0
	s_ashr_i32 s13, s9, 4
	s_cmp_lt_i32 s9, s33
	s_cselect_b32 s38, s13, s3
	s_delay_alu instid0(SALU_CYCLE_1) | instskip(NEXT) | instid1(SALU_CYCLE_1)
	s_ashr_i32 s39, s38, 31
	s_lshl_b64 s[38:39], s[38:39], 2
	s_delay_alu instid0(SALU_CYCLE_1)
	s_add_u32 s38, s4, s38
	s_addc_u32 s39, s36, s39
	s_or_b32 s9, s34, 0xb0
	s_load_b32 s39, s[38:39], 0x0
	s_ashr_i32 s13, s9, 4
	s_cmp_lt_i32 s9, s33
	s_mul_hi_i32 s9, s8, s5
	s_cselect_b32 s40, s13, s3
	s_mul_i32 s8, s8, s5
	s_ashr_i32 s41, s40, 31
	s_mul_hi_i32 s13, s12, s5
	s_lshl_b64 s[40:41], s[40:41], 2
	s_mul_i32 s12, s12, s5
	s_add_u32 s42, s4, s40
	s_addc_u32 s43, s36, s41
	s_or_b32 s19, s34, 0xc0
	s_delay_alu instid0(SALU_CYCLE_1)
	s_ashr_i32 s21, s19, 4
	s_cmp_lt_i32 s19, s33
	s_mul_hi_i32 s19, s18, s5
	s_cselect_b32 s40, s21, s3
	s_mul_i32 s18, s18, s5
	s_ashr_i32 s41, s40, 31
	s_mul_hi_i32 s21, s20, s5
	s_lshl_b64 s[40:41], s[40:41], 2
	s_mul_i32 s20, s20, s5
	s_add_u32 s44, s4, s40
	s_load_b32 s40, s[28:29], 0x0
	s_addc_u32 s45, s36, s41
	s_or_b32 s37, s34, 0xd0
	s_load_b32 s41, s[22:23], 0x0
	s_ashr_i32 s22, s37, 4
	s_cmp_lt_i32 s37, s33
	s_mul_hi_i32 s23, s15, s5
	s_cselect_b32 s24, s22, s3
	s_mul_i32 s22, s15, s5
	s_ashr_i32 s25, s24, 31
	s_waitcnt lgkmcnt(0)
	s_mul_hi_i32 s27, s46, s5
	s_lshl_b64 s[24:25], s[24:25], 2
	s_mul_i32 s26, s46, s5
	s_add_u32 s24, s4, s24
	s_addc_u32 s25, s36, s25
	s_or_b32 s48, s34, 0xe0
	s_clause 0x2
	s_load_b32 s38, s[42:43], 0x0
	s_load_b32 s37, s[44:45], 0x0
	s_load_b32 s15, s[24:25], 0x0
	s_ashr_i32 s49, s48, 4
	s_cmp_lt_i32 s48, s33
	s_mul_hi_i32 s29, s47, s5
	s_cselect_b32 s42, s49, s3
	s_mul_i32 s28, s47, s5
	s_ashr_i32 s43, s42, 31
	s_mul_hi_i32 s25, s41, s5
	s_lshl_b64 s[42:43], s[42:43], 2
	s_mul_i32 s24, s41, s5
	s_add_u32 s42, s4, s42
	s_addc_u32 s43, s36, s43
	s_or_b32 s46, s34, 0xf0
	s_mul_hi_i32 s41, s40, s5
	s_ashr_i32 s47, s46, 4
	s_cmp_lt_i32 s46, s33
	s_mul_i32 s40, s40, s5
	s_cselect_b32 s46, s47, s3
	s_mul_hi_i32 s45, s39, s5
	s_ashr_i32 s47, s46, 31
	s_mul_i32 s44, s39, s5
	s_lshl_b64 s[46:47], s[46:47], 2
	s_waitcnt lgkmcnt(0)
	s_mul_hi_i32 s39, s38, s5
	s_add_u32 s46, s4, s46
	s_addc_u32 s47, s36, s47
	s_add_u32 s3, s10, s6
	s_addc_u32 s4, s11, s7
	v_add_co_u32 v195, s3, s3, v22
	s_delay_alu instid0(VALU_DEP_1) | instskip(SKIP_2) | instid1(VALU_DEP_2)
	v_add_co_ci_u32_e64 v196, null, s4, 0, s3
	s_lshl_b64 s[6:7], s[8:9], 1
	s_lshl_b64 s[8:9], s[12:13], 1
	v_add_co_u32 v17, vcc_lo, v195, s6
	s_delay_alu instid0(VALU_DEP_2)
	v_add_co_ci_u32_e32 v18, vcc_lo, s7, v196, vcc_lo
	v_add_co_u32 v19, vcc_lo, v195, s8
	s_lshl_b64 s[10:11], s[16:17], 1
	v_add_co_ci_u32_e32 v20, vcc_lo, s9, v196, vcc_lo
	v_add_co_u32 v21, vcc_lo, v195, s10
	s_lshl_b64 s[12:13], s[18:19], 1
	;; [unrolled: 3-line block ×9, first 2 shown]
	s_mul_i32 s38, s38, s5
	v_add_co_ci_u32_e32 v54, vcc_lo, s27, v196, vcc_lo
	v_add_co_u32 v183, vcc_lo, v195, s28
	s_mul_hi_i32 s49, s37, s5
	s_mul_i32 s48, s37, s5
	s_lshl_b64 s[36:37], s[38:39], 1
	v_add_co_ci_u32_e32 v184, vcc_lo, s29, v196, vcc_lo
	v_add_co_u32 v185, vcc_lo, v195, s36
	s_lshl_b64 s[38:39], s[48:49], 1
	s_clause 0x1
	s_load_b32 s3, s[42:43], 0x0
	s_load_b32 s4, s[46:47], 0x0
	v_add_co_ci_u32_e32 v186, vcc_lo, s37, v196, vcc_lo
	v_add_co_u32 v191, vcc_lo, v195, s38
	v_add_co_ci_u32_e32 v192, vcc_lo, s39, v196, vcc_lo
	s_clause 0x17
	global_load_b128 v[121:124], v[17:18], off
	global_load_b128 v[125:128], v[17:18], off offset:16
	global_load_b128 v[113:116], v[19:20], off
	global_load_b128 v[117:120], v[19:20], off offset:16
	;; [unrolled: 2-line block ×12, first 2 shown]
	s_mul_hi_i32 s51, s15, s5
	s_mul_i32 s50, s15, s5
	s_delay_alu instid0(SALU_CYCLE_1) | instskip(NEXT) | instid1(SALU_CYCLE_1)
	s_lshl_b64 s[40:41], s[50:51], 1
	v_add_co_u32 v193, vcc_lo, v195, s40
	v_add_co_ci_u32_e32 v194, vcc_lo, s41, v196, vcc_lo
	s_waitcnt lgkmcnt(0)
	s_mul_hi_i32 s7, s3, s5
	s_mul_i32 s6, s3, s5
	s_mul_hi_i32 s9, s4, s5
	s_lshl_b64 s[6:7], s[6:7], 1
	s_mul_i32 s8, s4, s5
	s_delay_alu instid0(SALU_CYCLE_1)
	s_lshl_b64 s[4:5], s[8:9], 1
	s_waitcnt vmcnt(38)
	v_wmma_f32_16x16x16_bf16 v[183:190], v[1:8], v[159:166], v[137:144]
	s_waitcnt vmcnt(36)
	v_wmma_f32_16x16x16_bf16 v[137:144], v[129:136], v[159:166], v[137:144]
	s_clause 0x1
	global_load_b128 v[1:4], v[191:192], off
	global_load_b128 v[5:8], v[191:192], off offset:16
	ds_load_b128 v[129:132], v197 offset:2048
	ds_load_b128 v[133:136], v197 offset:3072
	;; [unrolled: 1-line block ×4, first 2 shown]
	v_add_co_u32 v191, vcc_lo, v195, s6
	v_add_co_ci_u32_e32 v192, vcc_lo, s7, v196, vcc_lo
	v_add_co_u32 v195, vcc_lo, v195, s4
	v_add_co_ci_u32_e32 v196, vcc_lo, s5, v196, vcc_lo
	s_waitcnt vmcnt(36) lgkmcnt(2)
	v_wmma_f32_16x16x16_bf16 v[183:190], v[33:40], v[129:136], v[183:190]
	s_waitcnt vmcnt(34)
	v_wmma_f32_16x16x16_bf16 v[137:144], v[25:32], v[129:136], v[137:144]
	s_clause 0x3
	global_load_b128 v[25:28], v[193:194], off
	global_load_b128 v[29:32], v[193:194], off offset:16
	global_load_b128 v[33:36], v[191:192], off
	global_load_b128 v[37:40], v[191:192], off offset:16
	v_and_b32_e32 v129, 0xe0, v0
	v_mbcnt_lo_u32_b32 v191, -1, 0
	s_waitcnt vmcnt(36) lgkmcnt(0)
	v_wmma_f32_16x16x16_bf16 v[183:190], v[9:16], v[159:166], v[183:190]
	s_clause 0x1
	global_load_b128 v[9:12], v[195:196], off
	global_load_b128 v[13:16], v[195:196], off offset:16
	s_waitcnt vmcnt(36)
	v_wmma_f32_16x16x16_bf16 v[137:144], v[151:158], v[159:166], v[137:144]
	v_add_nc_u32_e32 v192, s34, v129
	ds_load_b128 v[129:132], v197 offset:6144
	ds_load_b128 v[133:136], v197 offset:7168
	v_xor_b32_e32 v151, 16, v191
	s_waitcnt vmcnt(0) lgkmcnt(0)
	s_barrier
	v_or_b32_e32 v152, v192, v146
	buffer_gl0_inv
	v_cmp_gt_i32_e32 vcc_lo, 32, v151
	v_or_b32_e32 v153, 2, v152
	v_or_b32_e32 v154, 4, v152
	;; [unrolled: 1-line block ×5, first 2 shown]
	v_cmp_gt_i32_e64 s3, s33, v153
	v_cmp_gt_i32_e64 s4, s33, v154
	;; [unrolled: 1-line block ×3, first 2 shown]
	v_or_b32_e32 v158, 12, v152
	v_or_b32_e32 v159, 14, v152
	v_cmp_gt_i32_e64 s6, s33, v156
	v_wmma_f32_16x16x16_bf16 v[183:190], v[167:174], v[129:136], v[183:190]
	v_wmma_f32_16x16x16_bf16 v[137:144], v[175:182], v[129:136], v[137:144]
	v_cndmask_b32_e32 v151, v191, v151, vcc_lo
	v_cmp_gt_i32_e32 vcc_lo, s33, v152
	v_cmp_gt_i32_e64 s7, s33, v157
	v_dual_mul_f32 v135, s35, v184 :: v_dual_mul_f32 v136, s35, v183
	v_dual_mul_f32 v133, s35, v186 :: v_dual_mul_f32 v134, s35, v185
	v_dual_mul_f32 v131, s35, v188 :: v_dual_mul_f32 v174, s35, v138
	s_delay_alu instid0(VALU_DEP_3) | instskip(NEXT) | instid1(VALU_DEP_4)
	v_cndmask_b32_e32 v136, 0xff7fffff, v136, vcc_lo
	v_cndmask_b32_e64 v135, 0xff7fffff, v135, s3
	v_mul_f32_e32 v132, s35, v187
	v_cndmask_b32_e64 v134, 0xff7fffff, v134, s4
	v_cndmask_b32_e64 v133, 0xff7fffff, v133, s5
	v_or_b32_e32 v160, 16, v152
	v_max3_f32 v135, v136, 0xff7fffff, v135
	v_or_b32_e32 v161, 18, v152
	v_mul_f32_e32 v130, s35, v189
	v_dual_mul_f32 v172, s35, v140 :: v_dual_mul_f32 v129, s35, v190
	v_cndmask_b32_e64 v132, 0xff7fffff, v132, s6
	v_cndmask_b32_e64 v131, 0xff7fffff, v131, s7
	v_max3_f32 v133, v135, v134, v133
	v_cmp_gt_i32_e64 s8, s33, v158
	v_lshlrev_b32_e32 v158, 2, v151
	v_cmp_gt_i32_e64 s9, s33, v159
	v_or_b32_e32 v162, 20, v152
	v_or_b32_e32 v163, 22, v152
	v_mul_f32_e32 v175, s35, v137
	v_cndmask_b32_e64 v130, 0xff7fffff, v130, s8
	v_cndmask_b32_e64 v129, 0xff7fffff, v129, s9
	v_max3_f32 v131, v133, v132, v131
	v_cmp_gt_i32_e64 s10, s33, v160
	v_cmp_gt_i32_e64 s11, s33, v161
	v_or_b32_e32 v164, 24, v152
	v_or_b32_e32 v165, 26, v152
	v_mul_f32_e32 v173, s35, v139
	v_cndmask_b32_e64 v132, 0xff7fffff, v175, s10
	v_cndmask_b32_e64 v133, 0xff7fffff, v174, s11
	v_max3_f32 v129, v131, v130, v129
	v_cmp_gt_i32_e64 s12, s33, v162
	v_cmp_gt_i32_e64 s13, s33, v163
	v_or_b32_e32 v166, 28, v152
	v_or_b32_e32 v167, 30, v152
	v_dual_mul_f32 v170, s35, v142 :: v_dual_mul_f32 v171, s35, v141
	v_cndmask_b32_e64 v130, 0xff7fffff, v173, s12
	v_cndmask_b32_e64 v131, 0xff7fffff, v172, s13
	v_max3_f32 v129, v129, v132, v133
	v_cmp_gt_i32_e64 s15, s33, v164
	v_cmp_gt_i32_e64 s16, s33, v165
	v_dual_mul_f32 v168, s35, v144 :: v_dual_mul_f32 v169, s35, v143
	s_delay_alu instid0(VALU_DEP_4) | instskip(NEXT) | instid1(VALU_DEP_4)
	v_max3_f32 v129, v129, v130, v131
	v_cndmask_b32_e64 v132, 0xff7fffff, v171, s15
	s_delay_alu instid0(VALU_DEP_4) | instskip(SKIP_2) | instid1(VALU_DEP_3)
	v_cndmask_b32_e64 v133, 0xff7fffff, v170, s16
	v_cmp_gt_i32_e64 s17, s33, v166
	v_cmp_gt_i32_e64 s18, s33, v167
	v_max3_f32 v129, v129, v132, v133
	s_delay_alu instid0(VALU_DEP_3) | instskip(NEXT) | instid1(VALU_DEP_3)
	v_cndmask_b32_e64 v130, 0xff7fffff, v169, s17
	v_cndmask_b32_e64 v131, 0xff7fffff, v168, s18
	s_delay_alu instid0(VALU_DEP_1) | instskip(SKIP_3) | instid1(VALU_DEP_1)
	v_max3_f32 v129, v129, v130, v131
	ds_bpermute_b32 v130, v158, v129
	s_waitcnt lgkmcnt(0)
	v_max_f32_e32 v130, v130, v130
	v_max_f32_e32 v129, v129, v130
	s_delay_alu instid0(VALU_DEP_1)
	v_fma_f32 v130, s35, v183, -v129
	v_fma_f32 v132, s35, v185, -v129
	;; [unrolled: 1-line block ×5, first 2 shown]
	v_mul_f32_e32 v130, 0x3fb8aa3b, v130
	v_mul_f32_e32 v132, 0x3fb8aa3b, v132
	;; [unrolled: 1-line block ×3, first 2 shown]
	v_fma_f32 v135, s35, v189, -v129
	s_delay_alu instid0(VALU_DEP_4) | instskip(NEXT) | instid1(VALU_DEP_3)
	v_exp_f32_e32 v130, v130
	v_exp_f32_e32 v132, v132
	s_delay_alu instid0(VALU_DEP_2) | instskip(NEXT) | instid1(TRANS32_DEP_3)
	v_exp_f32_e32 v134, v134
	v_cndmask_b32_e32 v152, 0, v130, vcc_lo
	v_fma_f32 v130, s35, v188, -v129
	s_waitcnt_depctr 0xfff
	v_cndmask_b32_e64 v153, 0, v132, s4
	v_fma_f32 v132, s35, v190, -v129
	v_mul_f32_e32 v131, 0x3fb8aa3b, v131
	v_cndmask_b32_e64 v155, 0, v134, s6
	v_dual_mul_f32 v130, 0x3fb8aa3b, v130 :: v_dual_mul_f32 v133, 0x3fb8aa3b, v133
	s_delay_alu instid0(VALU_DEP_4) | instskip(NEXT) | instid1(VALU_DEP_4)
	v_mul_f32_e32 v132, 0x3fb8aa3b, v132
	v_exp_f32_e32 v131, v131
	v_fma_f32 v134, s35, v138, -v129
	s_delay_alu instid0(VALU_DEP_3) | instskip(SKIP_2) | instid1(VALU_DEP_1)
	v_exp_f32_e32 v130, v130
	v_exp_f32_e32 v133, v133
	;; [unrolled: 1-line block ×3, first 2 shown]
	v_mul_f32_e32 v134, 0x3fb8aa3b, v134
	v_cndmask_b32_e64 v151, 0, v131, s3
	v_add_f32_e32 v131, 0, v152
	s_delay_alu instid0(TRANS32_DEP_3)
	v_cndmask_b32_e64 v156, 0, v130, s7
	s_waitcnt_depctr 0xfff
	v_cndmask_b32_e64 v154, 0, v133, s5
	v_fma_f32 v133, s35, v137, -v129
	v_exp_f32_e32 v134, v134
	v_add_f32_e32 v131, v131, v151
	s_mov_b32 s3, exec_lo
	s_delay_alu instid0(VALU_DEP_1) | instskip(NEXT) | instid1(VALU_DEP_1)
	v_add_f32_e32 v131, v131, v153
	v_add_f32_e32 v131, v131, v154
	s_delay_alu instid0(VALU_DEP_1) | instskip(SKIP_2) | instid1(VALU_DEP_3)
	v_add_f32_e32 v130, v131, v155
	v_fma_f32 v131, s35, v139, -v129
	v_fma_f32 v139, s35, v144, -v129
	v_dual_add_f32 v130, v130, v156 :: v_dual_mul_f32 v135, 0x3fb8aa3b, v135
	s_delay_alu instid0(VALU_DEP_1)
	v_exp_f32_e32 v135, v135
	s_waitcnt_depctr 0xfff
	v_cndmask_b32_e64 v157, 0, v135, s8
	v_fma_f32 v135, s35, v140, -v129
	v_cndmask_b32_e64 v140, 0, v132, s9
	v_fma_f32 v132, s35, v141, -v129
	s_delay_alu instid0(VALU_DEP_1) | instskip(SKIP_1) | instid1(VALU_DEP_2)
	v_dual_add_f32 v130, v130, v157 :: v_dual_mul_f32 v137, 0x3fb8aa3b, v132
	v_cndmask_b32_e64 v132, 0, v134, s11
	v_dual_add_f32 v130, v130, v140 :: v_dual_mul_f32 v133, 0x3fb8aa3b, v133
	v_mul_f32_e32 v131, 0x3fb8aa3b, v131
	v_fma_f32 v134, s35, v143, -v129
	v_mul_f32_e32 v135, 0x3fb8aa3b, v135
	s_delay_alu instid0(VALU_DEP_4) | instskip(NEXT) | instid1(VALU_DEP_3)
	v_exp_f32_e32 v133, v133
	v_exp_f32_e32 v136, v131
	s_waitcnt_depctr 0xfff
	v_cndmask_b32_e64 v131, 0, v133, s10
	v_fma_f32 v133, s35, v142, -v129
	s_delay_alu instid0(VALU_DEP_2) | instskip(NEXT) | instid1(VALU_DEP_2)
	v_add_f32_e32 v130, v130, v131
	v_mul_f32_e32 v138, 0x3fb8aa3b, v133
	v_cndmask_b32_e64 v133, 0, v136, s12
	v_mul_f32_e32 v136, 0x3fb8aa3b, v134
	v_exp_f32_e32 v135, v135
	v_add_f32_e32 v130, v130, v132
	v_exp_f32_e32 v138, v138
	s_delay_alu instid0(VALU_DEP_2) | instskip(NEXT) | instid1(VALU_DEP_1)
	v_exp_f32_e32 v141, v136
	v_add_f32_e32 v130, v130, v133
	v_exp_f32_e32 v137, v137
	v_cndmask_b32_e64 v134, 0, v135, s13
	s_delay_alu instid0(TRANS32_DEP_3) | instskip(NEXT) | instid1(VALU_DEP_2)
	v_cndmask_b32_e64 v136, 0, v138, s16
	v_add_f32_e32 v130, v130, v134
	s_waitcnt_depctr 0xfff
	v_cndmask_b32_e64 v135, 0, v137, s15
	v_mul_f32_e32 v137, 0x3fb8aa3b, v139
	s_delay_alu instid0(VALU_DEP_2) | instskip(NEXT) | instid1(VALU_DEP_2)
	v_add_f32_e32 v130, v130, v135
	v_exp_f32_e32 v138, v137
	v_cndmask_b32_e64 v137, 0, v141, s17
	s_delay_alu instid0(VALU_DEP_2) | instskip(NEXT) | instid1(VALU_DEP_1)
	v_add_f32_e32 v130, v130, v136
	v_add_f32_e32 v130, v130, v137
	s_waitcnt_depctr 0xfff
	v_cndmask_b32_e64 v138, 0, v138, s18
	s_delay_alu instid0(VALU_DEP_1)
	v_add_f32_e32 v130, v130, v138
	ds_bpermute_b32 v139, v158, v130
	v_cmpx_gt_u32_e32 16, v150
	s_cbranch_execz .LBB453_12
; %bb.11:
	v_mul_u32_u24_e32 v141, 0x44, v149
	s_delay_alu instid0(VALU_DEP_1) | instskip(SKIP_1) | instid1(VALU_DEP_1)
	v_lshl_add_u32 v141, v148, 2, v141
	s_waitcnt lgkmcnt(0)
	v_dual_add_f32 v130, v130, v139 :: v_dual_add_nc_u32 v139, 0x4000, v141
	ds_store_2addr_b32 v139, v129, v130 offset1:136
.LBB453_12:
	s_or_b32 exec_lo, exec_lo, s3
	v_lshlrev_b32_e32 v129, 2, v148
	s_waitcnt lgkmcnt(0)
	s_barrier
	buffer_gl0_inv
	v_cmp_eq_u32_e64 s3, 1, v149
	v_add_nc_u32_e32 v139, 0x4000, v129
	ds_load_2addr_b32 v[141:142], v139 offset1:17
	ds_load_2addr_b32 v[143:144], v139 offset0:34 offset1:51
	ds_load_2addr_b32 v[158:159], v139 offset0:68 offset1:85
	;; [unrolled: 1-line block ×4, first 2 shown]
	s_waitcnt lgkmcnt(4)
	v_max3_f32 v129, v141, 0xff7fffff, v142
	s_waitcnt lgkmcnt(3)
	s_delay_alu instid0(VALU_DEP_1) | instskip(SKIP_1) | instid1(VALU_DEP_1)
	v_max3_f32 v129, v129, v143, v144
	s_waitcnt lgkmcnt(2)
	v_max3_f32 v129, v129, v158, v159
	s_waitcnt lgkmcnt(1)
	s_delay_alu instid0(VALU_DEP_1) | instskip(NEXT) | instid1(VALU_DEP_1)
	v_max3_f32 v129, v129, v160, v161
	v_sub_f32_e32 v158, v158, v129
	s_delay_alu instid0(VALU_DEP_1) | instskip(NEXT) | instid1(VALU_DEP_1)
	v_dual_sub_f32 v150, v142, v129 :: v_dual_mul_f32 v167, 0x3fb8aa3b, v158
	v_dual_sub_f32 v143, v143, v129 :: v_dual_mul_f32 v150, 0x3fb8aa3b, v150
	s_delay_alu instid0(VALU_DEP_1) | instskip(NEXT) | instid1(VALU_DEP_2)
	v_dual_sub_f32 v130, v141, v129 :: v_dual_mul_f32 v165, 0x3fb8aa3b, v143
	v_exp_f32_e32 v150, v150
	s_delay_alu instid0(VALU_DEP_1) | instskip(NEXT) | instid1(VALU_DEP_2)
	v_mul_f32_e32 v130, 0x3fb8aa3b, v130
	v_exp_f32_e32 v165, v165
	s_delay_alu instid0(VALU_DEP_1) | instskip(SKIP_1) | instid1(VALU_DEP_1)
	v_exp_f32_e32 v164, v130
	v_sub_f32_e32 v130, v144, v129
	v_mul_f32_e32 v166, 0x3fb8aa3b, v130
	s_waitcnt lgkmcnt(0)
	s_waitcnt_depctr 0xfff
	v_fma_f32 v130, v164, v162, 0
	v_sub_f32_e32 v162, v159, v129
	s_delay_alu instid0(VALU_DEP_2)
	v_fmac_f32_e32 v130, v150, v163
	ds_load_2addr_b32 v[141:142], v139 offset0:170 offset1:187
	ds_load_2addr_b32 v[143:144], v139 offset0:204 offset1:221
	;; [unrolled: 1-line block ×3, first 2 shown]
	v_sub_f32_e32 v139, v160, v129
	v_exp_f32_e32 v166, v166
	v_mul_f32_e32 v160, 0x3fb8aa3b, v162
	v_exp_f32_e32 v162, v167
	v_cndmask_b32_e64 v150, v164, v150, s3
	v_mul_f32_e32 v139, 0x3fb8aa3b, v139
	v_cmp_eq_u32_e64 s3, 2, v149
	s_waitcnt lgkmcnt(0)
	s_barrier
	buffer_gl0_inv
	v_exp_f32_e32 v139, v139
	v_cndmask_b32_e64 v150, v150, v165, s3
	v_cmp_eq_u32_e64 s3, 3, v149
	v_fmac_f32_e32 v130, v165, v141
	v_sub_f32_e32 v141, v161, v129
	v_exp_f32_e32 v160, v160
	s_delay_alu instid0(VALU_DEP_3) | instskip(SKIP_1) | instid1(VALU_DEP_3)
	v_cndmask_b32_e64 v150, v150, v166, s3
	v_cmp_eq_u32_e64 s3, 4, v149
	v_dual_fmac_f32 v130, v166, v142 :: v_dual_mul_f32 v141, 0x3fb8aa3b, v141
	s_delay_alu instid0(VALU_DEP_2) | instskip(SKIP_1) | instid1(VALU_DEP_3)
	v_cndmask_b32_e64 v150, v150, v162, s3
	v_cmp_eq_u32_e64 s3, 5, v149
	v_exp_f32_e32 v141, v141
	s_delay_alu instid0(VALU_DEP_3)
	v_fmac_f32_e32 v130, v162, v143
	s_delay_alu instid0(TRANS32_DEP_2) | instid1(VALU_DEP_2)
	v_cndmask_b32_e64 v150, v150, v160, s3
	s_delay_alu instid0(VALU_DEP_2) | instskip(NEXT) | instid1(VALU_DEP_1)
	v_fmac_f32_e32 v130, v160, v144
	v_fmac_f32_e32 v130, v139, v158
	s_waitcnt_depctr 0xfff
	v_fmac_f32_e32 v130, v141, v159
	s_delay_alu instid0(VALU_DEP_1) | instskip(NEXT) | instid1(VALU_DEP_1)
	v_add_f32_e32 v142, 0x358637bd, v130
	v_div_scale_f32 v143, null, v142, v142, 1.0
	v_div_scale_f32 v159, vcc_lo, 1.0, v142, 1.0
	s_delay_alu instid0(VALU_DEP_2) | instskip(SKIP_2) | instid1(VALU_DEP_1)
	v_rcp_f32_e32 v144, v143
	s_waitcnt_depctr 0xfff
	v_fma_f32 v158, -v143, v144, 1.0
	v_fmac_f32_e32 v144, v158, v144
	s_delay_alu instid0(VALU_DEP_1) | instskip(NEXT) | instid1(VALU_DEP_1)
	v_mul_f32_e32 v158, v159, v144
	v_fma_f32 v161, -v143, v158, v159
	s_delay_alu instid0(VALU_DEP_1) | instskip(NEXT) | instid1(VALU_DEP_1)
	v_fmac_f32_e32 v158, v161, v144
	v_fma_f32 v143, -v143, v158, v159
	s_delay_alu instid0(VALU_DEP_1) | instskip(SKIP_1) | instid1(VALU_DEP_2)
	v_div_fmas_f32 v143, v143, v144, v158
	v_cmp_eq_u32_e32 vcc_lo, 6, v149
	v_div_fixup_f32 v142, v143, v142, 1.0
	v_cndmask_b32_e32 v139, v150, v139, vcc_lo
	v_cmp_eq_u32_e32 vcc_lo, 7, v149
	s_delay_alu instid0(VALU_DEP_2) | instskip(NEXT) | instid1(VALU_DEP_1)
	v_cndmask_b32_e32 v139, v139, v141, vcc_lo
	v_mul_f32_e32 v139, v139, v142
	s_delay_alu instid0(VALU_DEP_1) | instskip(SKIP_4) | instid1(VALU_DEP_4)
	v_mul_f32_e32 v153, v139, v153
	v_mul_f32_e32 v142, v139, v152
	;; [unrolled: 1-line block ×5, first 2 shown]
	v_dual_mul_f32 v152, v139, v155 :: v_dual_and_b32 v141, 0x7f800000, v142
	v_mul_f32_e32 v154, v139, v154
	v_mul_f32_e32 v144, v139, v151
	s_delay_alu instid0(VALU_DEP_3) | instskip(SKIP_1) | instid1(SALU_CYCLE_1)
	v_cmp_ne_u32_e32 vcc_lo, 0x7f800000, v141
                                        ; implicit-def: $vgpr141
	s_and_saveexec_b32 s3, vcc_lo
	s_xor_b32 s3, exec_lo, s3
; %bb.13:
	v_bfe_u32 v141, v142, 16, 1
	s_delay_alu instid0(VALU_DEP_1)
	v_add3_u32 v141, v142, v141, 0x7fff
                                        ; implicit-def: $vgpr142
; %bb.14:
	s_and_not1_saveexec_b32 s3, s3
; %bb.15:
	v_and_b32_e32 v141, 0xffff, v142
	v_or_b32_e32 v151, 0x10000, v142
	s_delay_alu instid0(VALU_DEP_2) | instskip(NEXT) | instid1(VALU_DEP_2)
	v_cmp_eq_u32_e32 vcc_lo, 0, v141
	v_cndmask_b32_e32 v141, v151, v142, vcc_lo
; %bb.16:
	s_or_b32 exec_lo, exec_lo, s3
	v_and_b32_e32 v142, 0x7f800000, v144
	s_delay_alu instid0(VALU_DEP_1) | instskip(SKIP_1) | instid1(SALU_CYCLE_1)
	v_cmp_ne_u32_e32 vcc_lo, 0x7f800000, v142
                                        ; implicit-def: $vgpr142
	s_and_saveexec_b32 s3, vcc_lo
	s_xor_b32 s3, exec_lo, s3
; %bb.17:
	v_bfe_u32 v142, v144, 16, 1
	s_delay_alu instid0(VALU_DEP_1)
	v_add3_u32 v142, v144, v142, 0x7fff
                                        ; implicit-def: $vgpr144
; %bb.18:
	s_and_not1_saveexec_b32 s3, s3
; %bb.19:
	v_and_b32_e32 v142, 0xffff, v144
	v_or_b32_e32 v151, 0x10000, v144
	s_delay_alu instid0(VALU_DEP_2) | instskip(NEXT) | instid1(VALU_DEP_2)
	v_cmp_eq_u32_e32 vcc_lo, 0, v142
	v_cndmask_b32_e32 v142, v151, v144, vcc_lo
; %bb.20:
	s_or_b32 exec_lo, exec_lo, s3
	v_and_b32_e32 v144, 0x7f800000, v153
	s_delay_alu instid0(VALU_DEP_1) | instskip(SKIP_1) | instid1(SALU_CYCLE_1)
	v_cmp_ne_u32_e32 vcc_lo, 0x7f800000, v144
                                        ; implicit-def: $vgpr144
	s_and_saveexec_b32 s3, vcc_lo
	s_xor_b32 s3, exec_lo, s3
; %bb.21:
	v_bfe_u32 v144, v153, 16, 1
	s_delay_alu instid0(VALU_DEP_1)
	v_add3_u32 v144, v153, v144, 0x7fff
                                        ; implicit-def: $vgpr153
; %bb.22:
	s_and_not1_saveexec_b32 s3, s3
; %bb.23:
	v_and_b32_e32 v144, 0xffff, v153
	v_or_b32_e32 v151, 0x10000, v153
	s_delay_alu instid0(VALU_DEP_2) | instskip(NEXT) | instid1(VALU_DEP_2)
	v_cmp_eq_u32_e32 vcc_lo, 0, v144
	v_cndmask_b32_e32 v144, v151, v153, vcc_lo
; %bb.24:
	s_or_b32 exec_lo, exec_lo, s3
	v_and_b32_e32 v151, 0x7f800000, v154
	s_delay_alu instid0(VALU_DEP_1) | instskip(SKIP_1) | instid1(SALU_CYCLE_1)
	v_cmp_ne_u32_e32 vcc_lo, 0x7f800000, v151
                                        ; implicit-def: $vgpr151
	s_and_saveexec_b32 s3, vcc_lo
	s_xor_b32 s3, exec_lo, s3
; %bb.25:
	v_bfe_u32 v151, v154, 16, 1
	s_delay_alu instid0(VALU_DEP_1)
	v_add3_u32 v151, v154, v151, 0x7fff
                                        ; implicit-def: $vgpr154
; %bb.26:
	s_and_not1_saveexec_b32 s3, s3
; %bb.27:
	v_and_b32_e32 v151, 0xffff, v154
	v_or_b32_e32 v153, 0x10000, v154
	s_delay_alu instid0(VALU_DEP_2) | instskip(NEXT) | instid1(VALU_DEP_2)
	v_cmp_eq_u32_e32 vcc_lo, 0, v151
	v_cndmask_b32_e32 v151, v153, v154, vcc_lo
; %bb.28:
	s_or_b32 exec_lo, exec_lo, s3
	v_and_b32_e32 v153, 0x7f800000, v152
	s_delay_alu instid0(VALU_DEP_1) | instskip(SKIP_1) | instid1(SALU_CYCLE_1)
	v_cmp_ne_u32_e32 vcc_lo, 0x7f800000, v153
                                        ; implicit-def: $vgpr153
	s_and_saveexec_b32 s3, vcc_lo
	s_xor_b32 s3, exec_lo, s3
; %bb.29:
	v_bfe_u32 v153, v152, 16, 1
	s_delay_alu instid0(VALU_DEP_1)
	v_add3_u32 v153, v152, v153, 0x7fff
                                        ; implicit-def: $vgpr152
; %bb.30:
	s_and_not1_saveexec_b32 s3, s3
; %bb.31:
	v_and_b32_e32 v153, 0xffff, v152
	v_or_b32_e32 v154, 0x10000, v152
	s_delay_alu instid0(VALU_DEP_2) | instskip(NEXT) | instid1(VALU_DEP_2)
	v_cmp_eq_u32_e32 vcc_lo, 0, v153
	v_cndmask_b32_e32 v153, v154, v152, vcc_lo
; %bb.32:
	s_or_b32 exec_lo, exec_lo, s3
	v_and_b32_e32 v152, 0x7f800000, v150
	s_delay_alu instid0(VALU_DEP_1) | instskip(SKIP_1) | instid1(SALU_CYCLE_1)
	v_cmp_ne_u32_e32 vcc_lo, 0x7f800000, v152
                                        ; implicit-def: $vgpr152
	s_and_saveexec_b32 s3, vcc_lo
	s_xor_b32 s3, exec_lo, s3
; %bb.33:
	v_bfe_u32 v152, v150, 16, 1
	s_delay_alu instid0(VALU_DEP_1)
	v_add3_u32 v152, v150, v152, 0x7fff
                                        ; implicit-def: $vgpr150
; %bb.34:
	s_and_not1_saveexec_b32 s3, s3
; %bb.35:
	v_and_b32_e32 v152, 0xffff, v150
	v_or_b32_e32 v154, 0x10000, v150
	s_delay_alu instid0(VALU_DEP_2) | instskip(NEXT) | instid1(VALU_DEP_2)
	v_cmp_eq_u32_e32 vcc_lo, 0, v152
	v_cndmask_b32_e32 v152, v154, v150, vcc_lo
; %bb.36:
	s_or_b32 exec_lo, exec_lo, s3
	v_and_b32_e32 v150, 0x7f800000, v143
	s_delay_alu instid0(VALU_DEP_1) | instskip(SKIP_1) | instid1(SALU_CYCLE_1)
	v_cmp_ne_u32_e32 vcc_lo, 0x7f800000, v150
                                        ; implicit-def: $vgpr150
	s_and_saveexec_b32 s3, vcc_lo
	s_xor_b32 s3, exec_lo, s3
; %bb.37:
	v_bfe_u32 v150, v143, 16, 1
	s_delay_alu instid0(VALU_DEP_1)
	v_add3_u32 v150, v143, v150, 0x7fff
                                        ; implicit-def: $vgpr143
; %bb.38:
	s_and_not1_saveexec_b32 s3, s3
; %bb.39:
	v_and_b32_e32 v150, 0xffff, v143
	v_or_b32_e32 v154, 0x10000, v143
	s_delay_alu instid0(VALU_DEP_2) | instskip(NEXT) | instid1(VALU_DEP_2)
	v_cmp_eq_u32_e32 vcc_lo, 0, v150
	v_cndmask_b32_e32 v150, v154, v143, vcc_lo
; %bb.40:
	s_or_b32 exec_lo, exec_lo, s3
	v_and_b32_e32 v143, 0x7f800000, v140
	s_delay_alu instid0(VALU_DEP_1) | instskip(SKIP_1) | instid1(SALU_CYCLE_1)
	v_cmp_ne_u32_e32 vcc_lo, 0x7f800000, v143
                                        ; implicit-def: $vgpr143
	s_and_saveexec_b32 s3, vcc_lo
	s_xor_b32 s3, exec_lo, s3
; %bb.41:
	v_bfe_u32 v143, v140, 16, 1
	s_delay_alu instid0(VALU_DEP_1)
	v_add3_u32 v143, v140, v143, 0x7fff
                                        ; implicit-def: $vgpr140
; %bb.42:
	s_and_not1_saveexec_b32 s3, s3
; %bb.43:
	v_and_b32_e32 v143, 0xffff, v140
	v_or_b32_e32 v154, 0x10000, v140
	s_delay_alu instid0(VALU_DEP_2) | instskip(NEXT) | instid1(VALU_DEP_2)
	v_cmp_eq_u32_e32 vcc_lo, 0, v143
	v_cndmask_b32_e32 v143, v154, v140, vcc_lo
; %bb.44:
	s_or_b32 exec_lo, exec_lo, s3
	s_load_b64 s[34:35], s[0:1], 0x94
	v_dual_mul_f32 v136, v139, v136 :: v_dual_lshlrev_b32 v155, 4, v146
	s_delay_alu instid0(VALU_DEP_2)
	v_perm_b32 v154, v143, v150, 0x7060302
	v_dual_mul_f32 v143, v139, v131 :: v_dual_lshlrev_b32 v140, 6, v148
	v_dual_mul_f32 v135, v139, v135 :: v_dual_lshlrev_b32 v150, 11, v149
	v_perm_b32 v153, v152, v153, 0x7060302
	v_perm_b32 v152, v151, v144, 0x7060302
	v_perm_b32 v151, v142, v141, 0x7060302
	s_delay_alu instid0(VALU_DEP_4)
	v_or3_b32 v131, v155, v150, v140
	v_mul_f32_e32 v138, v139, v138
	v_dual_mul_f32 v137, v139, v137 :: v_dual_and_b32 v144, 0x7f800000, v143
	v_mul_f32_e32 v141, v139, v134
	v_mul_f32_e32 v142, v139, v133
	;; [unrolled: 1-line block ×3, first 2 shown]
	s_mov_b32 s3, exec_lo
	ds_store_b128 v131, v[151:154]
                                        ; implicit-def: $vgpr132
	v_cmpx_ne_u32_e32 0x7f800000, v144
	s_xor_b32 s3, exec_lo, s3
; %bb.45:
	v_bfe_u32 v132, v143, 16, 1
	s_delay_alu instid0(VALU_DEP_1)
	v_add3_u32 v132, v143, v132, 0x7fff
                                        ; implicit-def: $vgpr143
; %bb.46:
	s_and_not1_saveexec_b32 s3, s3
; %bb.47:
	v_and_b32_e32 v132, 0xffff, v143
	v_or_b32_e32 v133, 0x10000, v143
	s_delay_alu instid0(VALU_DEP_2) | instskip(NEXT) | instid1(VALU_DEP_2)
	v_cmp_eq_u32_e32 vcc_lo, 0, v132
	v_cndmask_b32_e32 v132, v133, v143, vcc_lo
; %bb.48:
	s_or_b32 exec_lo, exec_lo, s3
	v_and_b32_e32 v133, 0x7f800000, v134
	s_delay_alu instid0(VALU_DEP_1) | instskip(SKIP_1) | instid1(SALU_CYCLE_1)
	v_cmp_ne_u32_e32 vcc_lo, 0x7f800000, v133
                                        ; implicit-def: $vgpr133
	s_and_saveexec_b32 s3, vcc_lo
	s_xor_b32 s3, exec_lo, s3
; %bb.49:
	v_bfe_u32 v133, v134, 16, 1
	s_delay_alu instid0(VALU_DEP_1)
	v_add3_u32 v133, v134, v133, 0x7fff
                                        ; implicit-def: $vgpr134
; %bb.50:
	s_and_not1_saveexec_b32 s3, s3
; %bb.51:
	v_and_b32_e32 v133, 0xffff, v134
	v_or_b32_e32 v139, 0x10000, v134
	s_delay_alu instid0(VALU_DEP_2) | instskip(NEXT) | instid1(VALU_DEP_2)
	v_cmp_eq_u32_e32 vcc_lo, 0, v133
	v_cndmask_b32_e32 v133, v139, v134, vcc_lo
; %bb.52:
	s_or_b32 exec_lo, exec_lo, s3
	v_and_b32_e32 v134, 0x7f800000, v142
	s_delay_alu instid0(VALU_DEP_1) | instskip(SKIP_1) | instid1(SALU_CYCLE_1)
	v_cmp_ne_u32_e32 vcc_lo, 0x7f800000, v134
                                        ; implicit-def: $vgpr134
	s_and_saveexec_b32 s3, vcc_lo
	s_xor_b32 s3, exec_lo, s3
; %bb.53:
	v_bfe_u32 v134, v142, 16, 1
	s_delay_alu instid0(VALU_DEP_1)
	v_add3_u32 v134, v142, v134, 0x7fff
                                        ; implicit-def: $vgpr142
; %bb.54:
	s_and_not1_saveexec_b32 s3, s3
; %bb.55:
	v_and_b32_e32 v134, 0xffff, v142
	v_or_b32_e32 v139, 0x10000, v142
	s_delay_alu instid0(VALU_DEP_2) | instskip(NEXT) | instid1(VALU_DEP_2)
	v_cmp_eq_u32_e32 vcc_lo, 0, v134
	v_cndmask_b32_e32 v134, v139, v142, vcc_lo
; %bb.56:
	s_or_b32 exec_lo, exec_lo, s3
	v_and_b32_e32 v139, 0x7f800000, v141
	s_delay_alu instid0(VALU_DEP_1) | instskip(SKIP_1) | instid1(SALU_CYCLE_1)
	v_cmp_ne_u32_e32 vcc_lo, 0x7f800000, v139
                                        ; implicit-def: $vgpr139
	s_and_saveexec_b32 s3, vcc_lo
	s_xor_b32 s3, exec_lo, s3
; %bb.57:
	v_bfe_u32 v139, v141, 16, 1
	s_delay_alu instid0(VALU_DEP_1)
	v_add3_u32 v139, v141, v139, 0x7fff
                                        ; implicit-def: $vgpr141
; %bb.58:
	s_and_not1_saveexec_b32 s3, s3
; %bb.59:
	v_and_b32_e32 v139, 0xffff, v141
	v_or_b32_e32 v142, 0x10000, v141
	s_delay_alu instid0(VALU_DEP_2) | instskip(NEXT) | instid1(VALU_DEP_2)
	v_cmp_eq_u32_e32 vcc_lo, 0, v139
	v_cndmask_b32_e32 v139, v142, v141, vcc_lo
; %bb.60:
	s_or_b32 exec_lo, exec_lo, s3
	v_and_b32_e32 v141, 0x7f800000, v135
	s_delay_alu instid0(VALU_DEP_1) | instskip(SKIP_1) | instid1(SALU_CYCLE_1)
	v_cmp_ne_u32_e32 vcc_lo, 0x7f800000, v141
                                        ; implicit-def: $vgpr141
	s_and_saveexec_b32 s3, vcc_lo
	s_xor_b32 s3, exec_lo, s3
; %bb.61:
	v_bfe_u32 v141, v135, 16, 1
	s_delay_alu instid0(VALU_DEP_1)
	v_add3_u32 v141, v135, v141, 0x7fff
                                        ; implicit-def: $vgpr135
; %bb.62:
	s_and_not1_saveexec_b32 s3, s3
; %bb.63:
	v_and_b32_e32 v141, 0xffff, v135
	v_or_b32_e32 v142, 0x10000, v135
	s_delay_alu instid0(VALU_DEP_2) | instskip(NEXT) | instid1(VALU_DEP_2)
	v_cmp_eq_u32_e32 vcc_lo, 0, v141
	v_cndmask_b32_e32 v141, v142, v135, vcc_lo
; %bb.64:
	s_or_b32 exec_lo, exec_lo, s3
	v_and_b32_e32 v135, 0x7f800000, v136
	s_delay_alu instid0(VALU_DEP_1) | instskip(SKIP_1) | instid1(SALU_CYCLE_1)
	v_cmp_ne_u32_e32 vcc_lo, 0x7f800000, v135
                                        ; implicit-def: $vgpr135
	s_and_saveexec_b32 s3, vcc_lo
	s_xor_b32 s3, exec_lo, s3
; %bb.65:
	v_bfe_u32 v135, v136, 16, 1
	s_delay_alu instid0(VALU_DEP_1)
	v_add3_u32 v135, v136, v135, 0x7fff
                                        ; implicit-def: $vgpr136
; %bb.66:
	s_and_not1_saveexec_b32 s3, s3
; %bb.67:
	v_and_b32_e32 v135, 0xffff, v136
	v_or_b32_e32 v142, 0x10000, v136
	s_delay_alu instid0(VALU_DEP_2) | instskip(NEXT) | instid1(VALU_DEP_2)
	v_cmp_eq_u32_e32 vcc_lo, 0, v135
	v_cndmask_b32_e32 v135, v142, v136, vcc_lo
; %bb.68:
	s_or_b32 exec_lo, exec_lo, s3
	v_and_b32_e32 v136, 0x7f800000, v137
	s_delay_alu instid0(VALU_DEP_1) | instskip(SKIP_1) | instid1(SALU_CYCLE_1)
	v_cmp_ne_u32_e32 vcc_lo, 0x7f800000, v136
                                        ; implicit-def: $vgpr136
	s_and_saveexec_b32 s3, vcc_lo
	s_xor_b32 s3, exec_lo, s3
; %bb.69:
	v_bfe_u32 v136, v137, 16, 1
	s_delay_alu instid0(VALU_DEP_1)
	v_add3_u32 v136, v137, v136, 0x7fff
                                        ; implicit-def: $vgpr137
; %bb.70:
	s_and_not1_saveexec_b32 s3, s3
; %bb.71:
	v_and_b32_e32 v136, 0xffff, v137
	v_or_b32_e32 v142, 0x10000, v137
	s_delay_alu instid0(VALU_DEP_2) | instskip(NEXT) | instid1(VALU_DEP_2)
	v_cmp_eq_u32_e32 vcc_lo, 0, v136
	v_cndmask_b32_e32 v136, v142, v137, vcc_lo
; %bb.72:
	s_or_b32 exec_lo, exec_lo, s3
	v_and_b32_e32 v137, 0x7f800000, v138
	s_delay_alu instid0(VALU_DEP_1) | instskip(SKIP_1) | instid1(SALU_CYCLE_1)
	v_cmp_ne_u32_e32 vcc_lo, 0x7f800000, v137
                                        ; implicit-def: $vgpr137
	s_and_saveexec_b32 s3, vcc_lo
	s_xor_b32 s3, exec_lo, s3
; %bb.73:
	v_bfe_u32 v137, v138, 16, 1
	s_delay_alu instid0(VALU_DEP_1)
	v_add3_u32 v137, v138, v137, 0x7fff
                                        ; implicit-def: $vgpr138
; %bb.74:
	s_and_not1_saveexec_b32 s3, s3
; %bb.75:
	v_and_b32_e32 v137, 0xffff, v138
	v_or_b32_e32 v142, 0x10000, v138
	s_delay_alu instid0(VALU_DEP_2) | instskip(NEXT) | instid1(VALU_DEP_2)
	v_cmp_eq_u32_e32 vcc_lo, 0, v137
	v_cndmask_b32_e32 v137, v142, v138, vcc_lo
; %bb.76:
	s_or_b32 exec_lo, exec_lo, s3
	s_delay_alu instid0(VALU_DEP_1)
	v_perm_b32 v136, v137, v136, 0x7060302
	v_perm_b32 v135, v135, v141, 0x7060302
	;; [unrolled: 1-line block ×4, first 2 shown]
	v_lshl_or_b32 v141, v149, 11, v140
	ds_store_b128 v131, v[133:136] offset:1024
	s_waitcnt lgkmcnt(0)
	s_barrier
	buffer_gl0_inv
	ds_load_b128 v[132:135], v141
	ds_load_b128 v[149:152], v141 offset:16
	s_waitcnt lgkmcnt(1)
	v_lshrrev_b32_e32 v136, 16, v132
	s_waitcnt lgkmcnt(0)
	v_lshrrev_b32_e32 v164, 16, v151
	v_lshlrev_b32_e32 v138, 2, v146
	v_lshrrev_b32_e32 v143, 16, v149
	v_lshrrev_b32_e32 v162, 16, v150
	;; [unrolled: 1-line block ×4, first 2 shown]
	v_or_b32_e32 v139, 1, v138
	v_lshrrev_b32_e32 v165, 16, v152
	v_lshrrev_b32_e32 v163, 16, v135
	s_delay_alu instid0(VALU_DEP_3)
	v_cmp_eq_u32_e64 s7, 1, v139
	v_cmp_eq_u32_e64 s6, 2, v139
	v_cmp_eq_u32_e64 s5, 3, v139
	v_cmp_eq_u32_e64 s3, 4, v139
	v_cmp_eq_u32_e32 vcc_lo, 5, v139
	v_cndmask_b32_e64 v155, v149, v143, s7
	v_cndmask_b32_e64 v154, v132, v136, s7
	v_cmp_eq_u32_e64 s4, 6, v139
	v_cmp_eq_u32_e64 s19, 7, v139
	s_delay_alu instid0(VALU_DEP_4) | instskip(NEXT) | instid1(VALU_DEP_4)
	v_cndmask_b32_e64 v155, v155, v150, s6
	v_cndmask_b32_e64 v154, v154, v133, s6
	s_delay_alu instid0(VALU_DEP_2) | instskip(NEXT) | instid1(VALU_DEP_2)
	v_cndmask_b32_e64 v155, v155, v162, s5
	v_cndmask_b32_e64 v154, v154, v144, s5
	s_delay_alu instid0(VALU_DEP_2) | instskip(NEXT) | instid1(VALU_DEP_2)
	v_cndmask_b32_e64 v155, v155, v151, s3
	v_cndmask_b32_e64 v154, v154, v134, s3
	s_delay_alu instid0(VALU_DEP_2)
	v_cndmask_b32_e32 v157, v155, v164, vcc_lo
	v_cmp_eq_u32_e64 s12, 1, v138
	v_cmp_eq_u32_e64 s11, 2, v138
	;; [unrolled: 1-line block ×3, first 2 shown]
	v_or_b32_e32 v137, 2, v138
	v_cmp_eq_u32_e64 s17, 4, v138
	v_cndmask_b32_e64 v153, v149, v143, s12
	v_cndmask_b32_e64 v142, v132, v136, s12
	v_cmp_eq_u32_e64 s13, 5, v138
	v_cmp_eq_u32_e64 s8, 1, v137
	;; [unrolled: 1-line block ×3, first 2 shown]
	v_cndmask_b32_e64 v153, v153, v150, s11
	v_cndmask_b32_e64 v142, v142, v133, s11
	v_cmp_eq_u32_e64 s10, 2, v137
	v_cndmask_b32_e64 v156, v132, v136, s8
	v_cndmask_b32_e32 v154, v154, v161, vcc_lo
	v_cndmask_b32_e64 v153, v153, v162, s16
	v_cndmask_b32_e64 v142, v142, v144, s16
	v_cmp_eq_u32_e64 s9, 7, v138
	v_cndmask_b32_e64 v156, v156, v133, s10
	v_cmp_eq_u32_e64 s18, 3, v137
	v_cndmask_b32_e64 v153, v153, v151, s17
	v_cndmask_b32_e64 v142, v142, v134, s17
	;; [unrolled: 1-line block ×3, first 2 shown]
	v_cmp_eq_u32_e64 s20, 4, v137
	v_cndmask_b32_e64 v156, v156, v144, s18
	v_cndmask_b32_e64 v153, v153, v164, s13
	v_cndmask_b32_e64 v142, v142, v161, s13
	v_cndmask_b32_e64 v168, v154, v163, s19
	v_cmp_eq_u32_e64 s22, 5, v137
	v_cndmask_b32_e64 v159, v156, v134, s20
	v_cndmask_b32_e64 v153, v153, v152, s15
	;; [unrolled: 1-line block ×3, first 2 shown]
	v_cmp_eq_u32_e64 s25, 6, v137
	v_cmp_eq_u32_e64 s27, 7, v137
	v_cndmask_b32_e64 v169, v159, v161, s22
	v_cndmask_b32_e64 v167, v153, v165, s9
	v_cndmask_b32_e64 v153, v149, v143, s8
	v_cndmask_b32_e64 v166, v142, v163, s9
	v_or_b32_e32 v142, 3, v138
	s_delay_alu instid0(VALU_DEP_3)
	v_cndmask_b32_e64 v158, v153, v150, s10
	ds_load_b128 v[153:156], v141 offset:1024
	v_cmp_eq_u32_e64 s21, 1, v142
	v_cmp_eq_u32_e64 s23, 2, v142
	;; [unrolled: 1-line block ×3, first 2 shown]
	v_cndmask_b32_e64 v158, v158, v162, s18
	v_cmp_eq_u32_e64 s26, 4, v142
	v_cndmask_b32_e64 v132, v132, v136, s21
	v_cndmask_b32_e64 v136, v157, v152, s4
	;; [unrolled: 1-line block ×4, first 2 shown]
	ds_load_b128 v[157:160], v141 offset:1040
	v_cndmask_b32_e64 v132, v132, v133, s23
	v_cmp_eq_u32_e64 s28, 5, v142
	v_cndmask_b32_e64 v143, v143, v150, s23
	v_cmp_eq_u32_e64 s29, 6, v142
	v_cndmask_b32_e64 v133, v170, v164, s22
	v_cndmask_b32_e64 v132, v132, v144, s24
	;; [unrolled: 1-line block ×5, first 2 shown]
	s_waitcnt lgkmcnt(1)
	v_lshrrev_b32_e32 v149, 16, v153
	v_cndmask_b32_e64 v132, v132, v134, s26
	v_cndmask_b32_e64 v133, v133, v152, s25
	v_cndmask_b32_e64 v134, v143, v151, s26
	v_lshrrev_b32_e32 v151, 16, v154
	v_cndmask_b32_e64 v143, v153, v149, s12
	v_cndmask_b32_e64 v132, v132, v161, s28
	;; [unrolled: 1-line block ×5, first 2 shown]
	s_waitcnt lgkmcnt(0)
	v_lshrrev_b32_e32 v150, 16, v157
	v_cndmask_b32_e64 v143, v143, v154, s11
	v_cndmask_b32_e64 v132, v132, v135, s29
	;; [unrolled: 1-line block ×3, first 2 shown]
	v_lshrrev_b32_e32 v164, 16, v159
	v_cndmask_b32_e64 v162, v157, v150, s12
	v_cndmask_b32_e64 v135, v143, v151, s16
	;; [unrolled: 1-line block ×3, first 2 shown]
	v_lshrrev_b32_e32 v161, 16, v158
	v_cndmask_b32_e64 v133, v133, v165, s27
	v_cndmask_b32_e64 v152, v162, v158, s11
	v_cmp_eq_u32_e64 s11, 7, v142
	v_cndmask_b32_e64 v143, v143, v151, s5
	v_cndmask_b32_e64 v135, v135, v155, s17
	v_lshrrev_b32_e32 v162, 16, v155
	v_cndmask_b32_e64 v152, v152, v161, s16
	v_cndmask_b32_e64 v132, v132, v163, s11
	;; [unrolled: 1-line block ×6, first 2 shown]
	s_delay_alu instid0(VALU_DEP_4) | instskip(NEXT) | instid1(VALU_DEP_4)
	v_perm_b32 v135, v134, v132, 0x5040100
	v_cndmask_b32_e32 v132, v143, v162, vcc_lo
	s_delay_alu instid0(VALU_DEP_4)
	v_cndmask_b32_e64 v143, v163, v156, s15
	v_lshrrev_b32_e32 v163, 16, v156
	v_cndmask_b32_e64 v152, v152, v164, s13
	v_perm_b32 v134, v133, v144, 0x5040100
	v_cndmask_b32_e64 v132, v132, v156, s4
	v_perm_b32 v133, v136, v168, 0x5040100
	v_cndmask_b32_e64 v136, v143, v163, s9
	v_cndmask_b32_e64 v143, v152, v160, s15
	;; [unrolled: 1-line block ×13, first 2 shown]
	v_lshrrev_b32_e32 v144, 16, v160
	v_cndmask_b32_e64 v132, v132, v151, s18
	v_cndmask_b32_e64 v149, v149, v151, s24
	;; [unrolled: 1-line block ×14, first 2 shown]
	v_cndmask_b32_e32 v150, v150, v164, vcc_lo
	v_cndmask_b32_e64 v132, v132, v156, s25
	v_cndmask_b32_e64 v149, v149, v156, s29
	;; [unrolled: 1-line block ×11, first 2 shown]
	v_perm_b32 v132, v167, v166, 0x5040100
	v_perm_b32 v152, v151, v149, 0x5040100
	;; [unrolled: 1-line block ×5, first 2 shown]
	s_mul_i32 s8, s35, 12
	s_mov_b32 s3, exec_lo
	ds_store_b128 v131, v[132:135]
	ds_store_b128 v131, v[149:152] offset:1024
	v_cmpx_gt_u32_e32 12, v0
	s_cbranch_execz .LBB453_78
; %bb.77:
	s_mul_i32 s4, s8, s30
	s_delay_alu instid0(SALU_CYCLE_1) | instskip(SKIP_1) | instid1(VALU_DEP_1)
	v_add3_u32 v133, s4, s31, v148
	s_load_b128 s[4:7], s[0:1], 0x58
	v_mad_u64_u32 v[131:132], null, v133, s34, s[14:15]
	s_delay_alu instid0(VALU_DEP_1) | instskip(NEXT) | instid1(VALU_DEP_1)
	v_ashrrev_i32_e32 v132, 31, v131
	v_lshlrev_b64 v[131:132], 2, v[131:132]
	s_waitcnt lgkmcnt(0)
	s_delay_alu instid0(VALU_DEP_1) | instskip(NEXT) | instid1(VALU_DEP_2)
	v_add_co_u32 v133, vcc_lo, s6, v131
	v_add_co_ci_u32_e32 v134, vcc_lo, s7, v132, vcc_lo
	v_add_co_u32 v131, vcc_lo, s4, v131
	v_add_co_ci_u32_e32 v132, vcc_lo, s5, v132, vcc_lo
	global_store_b32 v[133:134], v129, off
	global_store_b32 v[131:132], v130, off
.LBB453_78:
	s_or_b32 exec_lo, exec_lo, s3
	s_waitcnt lgkmcnt(0)
	s_waitcnt_vscnt null, 0x0
	s_barrier
	buffer_gl0_inv
	ds_load_b128 v[148:151], v140
	ds_load_b128 v[152:155], v140 offset:16
	ds_load_b128 v[160:163], v140 offset:1040
	;; [unrolled: 1-line block ×3, first 2 shown]
	v_mov_b32_e32 v129, 0
	ds_load_b128 v[168:171], v140 offset:2064
	ds_load_b128 v[164:167], v140 offset:2048
	;; [unrolled: 1-line block ×6, first 2 shown]
	v_mov_b32_e32 v130, v129
	v_mov_b32_e32 v131, v129
	;; [unrolled: 1-line block ×7, first 2 shown]
	s_waitcnt lgkmcnt(8)
	s_delay_alu instid0(VALU_DEP_1)
	v_wmma_f32_16x16x16_bf16 v[129:136], v[121:128], v[148:155], v[129:136]
	ds_load_b128 v[125:128], v140 offset:5136
	ds_load_b128 v[121:124], v140 offset:5120
	s_waitcnt lgkmcnt(8)
	v_wmma_f32_16x16x16_bf16 v[129:136], v[113:120], v[156:163], v[129:136]
	ds_load_b128 v[117:120], v140 offset:6160
	ds_load_b128 v[113:116], v140 offset:6144
	s_waitcnt lgkmcnt(8)
	;; [unrolled: 4-line block ×8, first 2 shown]
	v_wmma_f32_16x16x16_bf16 v[129:136], v[65:72], v[97:104], v[129:136]
	s_waitcnt lgkmcnt(6)
	s_delay_alu instid0(VALU_DEP_1)
	v_wmma_f32_16x16x16_bf16 v[129:136], v[49:56], v[89:96], v[129:136]
	ds_load_b128 v[53:56], v140 offset:13328
	ds_load_b128 v[49:52], v140 offset:13312
	s_waitcnt lgkmcnt(6)
	v_wmma_f32_16x16x16_bf16 v[129:136], v[41:48], v[81:88], v[129:136]
	ds_load_b128 v[45:48], v140 offset:14352
	ds_load_b128 v[41:44], v140 offset:14336
	s_waitcnt lgkmcnt(6)
	;; [unrolled: 4-line block ×3, first 2 shown]
	v_wmma_f32_16x16x16_bf16 v[129:136], v[1:8], v[57:64], v[129:136]
	s_waitcnt lgkmcnt(4)
	s_delay_alu instid0(VALU_DEP_1) | instskip(SKIP_1) | instid1(VALU_DEP_1)
	v_wmma_f32_16x16x16_bf16 v[129:136], v[25:32], v[49:56], v[129:136]
	s_waitcnt lgkmcnt(2)
	v_wmma_f32_16x16x16_bf16 v[129:136], v[33:40], v[41:48], v[129:136]
	s_waitcnt lgkmcnt(0)
	s_delay_alu instid0(VALU_DEP_1) | instskip(NEXT) | instid1(VALU_DEP_1)
	v_wmma_f32_16x16x16_bf16 v[129:136], v[9:16], v[17:24], v[129:136]
	v_and_b32_e32 v1, 0x7f800000, v129
	s_delay_alu instid0(VALU_DEP_1) | instskip(SKIP_1) | instid1(SALU_CYCLE_1)
	v_cmp_ne_u32_e32 vcc_lo, 0x7f800000, v1
                                        ; implicit-def: $vgpr1
	s_and_saveexec_b32 s3, vcc_lo
	s_xor_b32 s3, exec_lo, s3
; %bb.79:
	v_bfe_u32 v1, v129, 16, 1
	s_delay_alu instid0(VALU_DEP_1)
	v_add3_u32 v1, v129, v1, 0x7fff
; %bb.80:
	s_and_not1_saveexec_b32 s3, s3
; %bb.81:
	v_and_b32_e32 v1, 0xffff, v129
	v_or_b32_e32 v2, 0x10000, v129
	s_delay_alu instid0(VALU_DEP_2) | instskip(NEXT) | instid1(VALU_DEP_2)
	v_cmp_eq_u32_e32 vcc_lo, 0, v1
	v_cndmask_b32_e32 v1, v2, v129, vcc_lo
; %bb.82:
	s_or_b32 exec_lo, exec_lo, s3
	v_and_b32_e32 v2, 0x7f800000, v130
	s_delay_alu instid0(VALU_DEP_1) | instskip(SKIP_1) | instid1(SALU_CYCLE_1)
	v_cmp_ne_u32_e32 vcc_lo, 0x7f800000, v2
                                        ; implicit-def: $vgpr2
	s_and_saveexec_b32 s3, vcc_lo
	s_xor_b32 s3, exec_lo, s3
; %bb.83:
	v_bfe_u32 v2, v130, 16, 1
	s_delay_alu instid0(VALU_DEP_1)
	v_add3_u32 v2, v130, v2, 0x7fff
; %bb.84:
	s_and_not1_saveexec_b32 s3, s3
; %bb.85:
	v_and_b32_e32 v2, 0xffff, v130
	v_or_b32_e32 v3, 0x10000, v130
	s_delay_alu instid0(VALU_DEP_2) | instskip(NEXT) | instid1(VALU_DEP_2)
	v_cmp_eq_u32_e32 vcc_lo, 0, v2
	v_cndmask_b32_e32 v2, v3, v130, vcc_lo
; %bb.86:
	s_or_b32 exec_lo, exec_lo, s3
	v_and_b32_e32 v3, 0x7f800000, v131
	s_delay_alu instid0(VALU_DEP_1) | instskip(SKIP_1) | instid1(SALU_CYCLE_1)
	v_cmp_ne_u32_e32 vcc_lo, 0x7f800000, v3
                                        ; implicit-def: $vgpr3
	s_and_saveexec_b32 s3, vcc_lo
	s_xor_b32 s3, exec_lo, s3
; %bb.87:
	v_bfe_u32 v3, v131, 16, 1
	s_delay_alu instid0(VALU_DEP_1)
	v_add3_u32 v3, v131, v3, 0x7fff
; %bb.88:
	s_and_not1_saveexec_b32 s3, s3
; %bb.89:
	v_and_b32_e32 v3, 0xffff, v131
	v_or_b32_e32 v4, 0x10000, v131
	s_delay_alu instid0(VALU_DEP_2) | instskip(NEXT) | instid1(VALU_DEP_2)
	v_cmp_eq_u32_e32 vcc_lo, 0, v3
	v_cndmask_b32_e32 v3, v4, v131, vcc_lo
; %bb.90:
	s_or_b32 exec_lo, exec_lo, s3
	v_and_b32_e32 v4, 0x7f800000, v132
	s_delay_alu instid0(VALU_DEP_1) | instskip(SKIP_1) | instid1(SALU_CYCLE_1)
	v_cmp_ne_u32_e32 vcc_lo, 0x7f800000, v4
                                        ; implicit-def: $vgpr4
	s_and_saveexec_b32 s3, vcc_lo
	s_xor_b32 s3, exec_lo, s3
; %bb.91:
	v_bfe_u32 v4, v132, 16, 1
	s_delay_alu instid0(VALU_DEP_1)
	v_add3_u32 v4, v132, v4, 0x7fff
; %bb.92:
	s_and_not1_saveexec_b32 s3, s3
; %bb.93:
	v_and_b32_e32 v4, 0xffff, v132
	v_or_b32_e32 v5, 0x10000, v132
	s_delay_alu instid0(VALU_DEP_2) | instskip(NEXT) | instid1(VALU_DEP_2)
	v_cmp_eq_u32_e32 vcc_lo, 0, v4
	v_cndmask_b32_e32 v4, v5, v132, vcc_lo
; %bb.94:
	s_or_b32 exec_lo, exec_lo, s3
	v_and_b32_e32 v5, 0x7f800000, v133
	s_delay_alu instid0(VALU_DEP_1) | instskip(SKIP_1) | instid1(SALU_CYCLE_1)
	v_cmp_ne_u32_e32 vcc_lo, 0x7f800000, v5
                                        ; implicit-def: $vgpr5
	s_and_saveexec_b32 s3, vcc_lo
	s_xor_b32 s3, exec_lo, s3
; %bb.95:
	v_bfe_u32 v5, v133, 16, 1
	s_delay_alu instid0(VALU_DEP_1)
	v_add3_u32 v5, v133, v5, 0x7fff
; %bb.96:
	s_and_not1_saveexec_b32 s3, s3
; %bb.97:
	v_and_b32_e32 v5, 0xffff, v133
	v_or_b32_e32 v6, 0x10000, v133
	s_delay_alu instid0(VALU_DEP_2) | instskip(NEXT) | instid1(VALU_DEP_2)
	v_cmp_eq_u32_e32 vcc_lo, 0, v5
	v_cndmask_b32_e32 v5, v6, v133, vcc_lo
; %bb.98:
	s_or_b32 exec_lo, exec_lo, s3
	v_and_b32_e32 v6, 0x7f800000, v134
	s_delay_alu instid0(VALU_DEP_1) | instskip(SKIP_1) | instid1(SALU_CYCLE_1)
	v_cmp_ne_u32_e32 vcc_lo, 0x7f800000, v6
                                        ; implicit-def: $vgpr6
	s_and_saveexec_b32 s3, vcc_lo
	s_xor_b32 s3, exec_lo, s3
; %bb.99:
	v_bfe_u32 v6, v134, 16, 1
	s_delay_alu instid0(VALU_DEP_1)
	v_add3_u32 v6, v134, v6, 0x7fff
; %bb.100:
	s_and_not1_saveexec_b32 s3, s3
; %bb.101:
	v_and_b32_e32 v6, 0xffff, v134
	v_or_b32_e32 v7, 0x10000, v134
	s_delay_alu instid0(VALU_DEP_2) | instskip(NEXT) | instid1(VALU_DEP_2)
	v_cmp_eq_u32_e32 vcc_lo, 0, v6
	v_cndmask_b32_e32 v6, v7, v134, vcc_lo
; %bb.102:
	s_or_b32 exec_lo, exec_lo, s3
	v_and_b32_e32 v7, 0x7f800000, v135
	s_delay_alu instid0(VALU_DEP_1) | instskip(SKIP_1) | instid1(SALU_CYCLE_1)
	v_cmp_ne_u32_e32 vcc_lo, 0x7f800000, v7
                                        ; implicit-def: $vgpr7
	s_and_saveexec_b32 s3, vcc_lo
	s_xor_b32 s3, exec_lo, s3
; %bb.103:
	v_bfe_u32 v7, v135, 16, 1
	s_delay_alu instid0(VALU_DEP_1)
	v_add3_u32 v7, v135, v7, 0x7fff
; %bb.104:
	s_and_not1_saveexec_b32 s3, s3
; %bb.105:
	v_and_b32_e32 v7, 0xffff, v135
	v_or_b32_e32 v8, 0x10000, v135
	s_delay_alu instid0(VALU_DEP_2) | instskip(NEXT) | instid1(VALU_DEP_2)
	v_cmp_eq_u32_e32 vcc_lo, 0, v7
	v_cndmask_b32_e32 v7, v8, v135, vcc_lo
; %bb.106:
	s_or_b32 exec_lo, exec_lo, s3
	v_and_b32_e32 v8, 0x7f800000, v136
	s_delay_alu instid0(VALU_DEP_1) | instskip(SKIP_1) | instid1(SALU_CYCLE_1)
	v_cmp_ne_u32_e32 vcc_lo, 0x7f800000, v8
                                        ; implicit-def: $vgpr8
	s_and_saveexec_b32 s3, vcc_lo
	s_xor_b32 s3, exec_lo, s3
; %bb.107:
	v_bfe_u32 v8, v136, 16, 1
	s_delay_alu instid0(VALU_DEP_1)
	v_add3_u32 v8, v136, v8, 0x7fff
                                        ; implicit-def: $vgpr129_vgpr130_vgpr131_vgpr132_vgpr133_vgpr134_vgpr135_vgpr136
; %bb.108:
	s_and_not1_saveexec_b32 s3, s3
; %bb.109:
	v_and_b32_e32 v8, 0xffff, v136
	v_or_b32_e32 v9, 0x10000, v136
	s_delay_alu instid0(VALU_DEP_2) | instskip(NEXT) | instid1(VALU_DEP_2)
	v_cmp_eq_u32_e32 vcc_lo, 0, v8
	v_cndmask_b32_e32 v8, v9, v136, vcc_lo
; %bb.110:
	s_or_b32 exec_lo, exec_lo, s3
	s_delay_alu instid0(VALU_DEP_1)
	v_perm_b32 v7, v8, v7, 0x7060302
	v_perm_b32 v6, v6, v5, 0x7060302
	;; [unrolled: 1-line block ×4, first 2 shown]
	v_lshl_or_b32 v9, v146, 4, v141
	s_barrier
	buffer_gl0_inv
	v_cmp_eq_u32_e32 vcc_lo, 1, v138
	ds_store_b128 v9, v[4:7]
	s_waitcnt lgkmcnt(0)
	s_barrier
	buffer_gl0_inv
	ds_load_b128 v[1:4], v141
	ds_load_b128 v[5:8], v141 offset:16
	v_cmp_eq_u32_e64 s4, 2, v138
	v_cmp_eq_u32_e64 s3, 1, v139
	;; [unrolled: 1-line block ×5, first 2 shown]
	s_waitcnt lgkmcnt(1)
	v_lshrrev_b32_e32 v10, 16, v1
	s_waitcnt lgkmcnt(0)
	v_lshrrev_b32_e32 v14, 16, v5
	v_lshrrev_b32_e32 v15, 16, v6
	v_lshrrev_b32_e32 v11, 16, v2
	v_lshrrev_b32_e32 v12, 16, v3
	v_cndmask_b32_e64 v20, v1, v10, s3
	v_cndmask_b32_e32 v19, v5, v14, vcc_lo
	v_cndmask_b32_e64 v21, v5, v14, s3
	v_lshrrev_b32_e32 v16, 16, v7
	v_cmp_eq_u32_e64 s3, 1, v137
	v_lshrrev_b32_e32 v13, 16, v4
	v_cndmask_b32_e64 v19, v19, v6, s4
	v_lshrrev_b32_e32 v17, 16, v8
	s_delay_alu instid0(VALU_DEP_4) | instskip(SKIP_1) | instid1(VALU_DEP_4)
	v_cndmask_b32_e64 v22, v1, v10, s3
	v_cndmask_b32_e64 v23, v5, v14, s3
	;; [unrolled: 1-line block ×3, first 2 shown]
	v_cndmask_b32_e32 v18, v1, v10, vcc_lo
	v_cmp_eq_u32_e32 vcc_lo, 2, v139
	v_cmp_eq_u32_e64 s3, 2, v142
	v_cndmask_b32_e64 v22, v22, v2, s7
	v_cndmask_b32_e32 v20, v20, v2, vcc_lo
	v_cndmask_b32_e32 v21, v21, v6, vcc_lo
	v_cmp_eq_u32_e32 vcc_lo, 4, v138
	v_cndmask_b32_e32 v19, v19, v7, vcc_lo
	v_cndmask_b32_e64 v18, v18, v2, s4
	v_cmp_eq_u32_e64 s4, 3, v139
	s_delay_alu instid0(VALU_DEP_2) | instskip(NEXT) | instid1(VALU_DEP_2)
	v_cndmask_b32_e64 v18, v18, v11, s5
	v_cndmask_b32_e64 v21, v21, v15, s4
	v_cmp_eq_u32_e64 s5, 5, v138
	s_delay_alu instid0(VALU_DEP_3) | instskip(SKIP_1) | instid1(VALU_DEP_3)
	v_cndmask_b32_e32 v18, v18, v3, vcc_lo
	v_cmp_eq_u32_e32 vcc_lo, 4, v139
	v_cndmask_b32_e64 v19, v19, v16, s5
	s_delay_alu instid0(VALU_DEP_3) | instskip(SKIP_4) | instid1(VALU_DEP_3)
	v_cndmask_b32_e64 v18, v18, v12, s5
	v_cndmask_b32_e32 v21, v21, v7, vcc_lo
	v_cndmask_b32_e64 v20, v20, v11, s4
	v_cmp_eq_u32_e64 s4, 5, v139
	v_cmp_eq_u32_e64 s5, 6, v138
	v_cndmask_b32_e32 v20, v20, v3, vcc_lo
	s_delay_alu instid0(VALU_DEP_3) | instskip(SKIP_1) | instid1(VALU_DEP_4)
	v_cndmask_b32_e64 v21, v21, v16, s4
	v_cmp_eq_u32_e32 vcc_lo, 6, v139
	v_cndmask_b32_e64 v18, v18, v4, s5
	v_cndmask_b32_e64 v19, v19, v8, s5
	v_cndmask_b32_e64 v20, v20, v12, s4
	v_cmp_eq_u32_e64 s4, 1, v142
	v_cmp_eq_u32_e64 s5, 7, v138
	s_delay_alu instid0(VALU_DEP_3) | instskip(NEXT) | instid1(VALU_DEP_3)
	v_cndmask_b32_e32 v20, v20, v4, vcc_lo
	v_cndmask_b32_e64 v1, v1, v10, s4
	v_cndmask_b32_e64 v5, v5, v14, s4
	v_cmp_eq_u32_e64 s4, 3, v137
	v_cndmask_b32_e64 v14, v23, v6, s7
	v_cmp_eq_u32_e64 s7, 3, v142
	v_cndmask_b32_e64 v1, v1, v2, s3
	v_cndmask_b32_e64 v2, v5, v6, s3
	;; [unrolled: 1-line block ×3, first 2 shown]
	v_cmp_eq_u32_e64 s3, 4, v137
	v_cndmask_b32_e64 v6, v14, v15, s4
	v_cndmask_b32_e64 v1, v1, v11, s7
	v_cmp_eq_u32_e64 s4, 4, v142
	v_cndmask_b32_e64 v2, v2, v15, s7
	v_cndmask_b32_e64 v5, v10, v3, s3
	;; [unrolled: 3-line block ×3, first 2 shown]
	v_cndmask_b32_e64 v2, v2, v7, s4
	v_cmp_eq_u32_e64 s3, 5, v142
	v_cndmask_b32_e64 v5, v5, v12, s7
	v_cmp_eq_u32_e64 s4, 6, v137
	v_cndmask_b32_e64 v3, v6, v16, s7
	v_cmp_eq_u32_e64 s7, 6, v142
	v_cndmask_b32_e64 v1, v1, v12, s3
	v_cndmask_b32_e64 v2, v2, v16, s3
	;; [unrolled: 1-line block ×4, first 2 shown]
	v_cmp_eq_u32_e64 s3, 7, v142
	v_cndmask_b32_e64 v1, v1, v4, s7
	v_cndmask_b32_e64 v2, v2, v8, s7
	v_cmp_eq_u32_e64 s4, 7, v137
	v_cndmask_b32_e32 v4, v21, v8, vcc_lo
	v_cndmask_b32_e64 v18, v18, v13, s5
	v_cndmask_b32_e64 v20, v20, v13, s6
	;; [unrolled: 1-line block ×8, first 2 shown]
	v_cmp_gt_u32_e32 vcc_lo, 32, v0
	v_perm_b32 v4, v2, v1, 0x5040100
	v_perm_b32 v3, v3, v5, 0x5040100
	;; [unrolled: 1-line block ×4, first 2 shown]
	s_and_b32 s2, vcc_lo, s2
	ds_store_b128 v9, v[1:4]
	s_waitcnt lgkmcnt(0)
	s_barrier
	buffer_gl0_inv
	s_and_saveexec_b32 s3, s2
	s_cbranch_execz .LBB453_2
; %bb.111:
	s_load_b64 s[0:1], s[0:1], 0x68
	v_lshlrev_b32_e32 v0, 10, v0
	s_lshl_b32 s4, s34, 6
	v_or_b32_e32 v3, s31, v146
	s_mul_i32 s2, s4, s30
	v_lshlrev_b32_e32 v1, 4, v147
	s_mul_i32 s2, s2, s8
	v_lshlrev_b32_e32 v2, 6, v146
	v_and_b32_e32 v0, 0x3800, v0
	s_ashr_i32 s3, s2, 31
	v_mul_lo_u32 v4, v3, s4
	s_lshl_b64 s[2:3], s[2:3], 1
	s_delay_alu instid0(VALU_DEP_2) | instskip(NEXT) | instid1(VALU_DEP_2)
	v_or3_b32 v16, v0, v1, v2
	v_ashrrev_i32_e32 v5, 31, v4
	ds_load_b128 v[0:3], v16
	s_waitcnt lgkmcnt(0)
	s_add_u32 s2, s0, s2
	s_addc_u32 s3, s1, s3
	s_lshl_b32 s0, s14, 6
	v_lshlrev_b64 v[5:6], 1, v[4:5]
	s_ashr_i32 s1, s0, 31
	s_delay_alu instid0(SALU_CYCLE_1) | instskip(NEXT) | instid1(SALU_CYCLE_1)
	s_lshl_b64 s[0:1], s[0:1], 1
	s_add_u32 s0, s2, s0
	s_addc_u32 s1, s3, s1
	s_lshl_b32 s2, s34, 7
	v_add_co_u32 v30, s0, s0, v145
	v_add_nc_u32_e32 v8, s2, v4
	v_add_co_ci_u32_e64 v31, null, s1, 0, s0
	s_delay_alu instid0(VALU_DEP_3) | instskip(NEXT) | instid1(VALU_DEP_3)
	v_add_co_u32 v12, vcc_lo, v30, v5
	v_add_nc_u32_e32 v10, s2, v8
	v_ashrrev_i32_e32 v9, 31, v8
	s_delay_alu instid0(VALU_DEP_4)
	v_add_co_ci_u32_e32 v13, vcc_lo, v31, v6, vcc_lo
	ds_load_b128 v[4:7], v16 offset:128
	v_ashrrev_i32_e32 v11, 31, v10
	v_lshlrev_b64 v[8:9], 1, v[8:9]
	v_add_nc_u32_e32 v14, s2, v10
	global_store_b128 v[12:13], v[0:3], off
	v_lshlrev_b64 v[0:1], 1, v[10:11]
	v_ashrrev_i32_e32 v15, 31, v14
	v_add_co_u32 v22, vcc_lo, v30, v8
	v_add_nc_u32_e32 v20, s2, v14
	v_add_co_ci_u32_e32 v23, vcc_lo, v31, v9, vcc_lo
	v_add_co_u32 v26, vcc_lo, v30, v0
	v_lshlrev_b64 v[24:25], 1, v[14:15]
	v_add_co_ci_u32_e32 v27, vcc_lo, v31, v1, vcc_lo
	ds_load_b128 v[0:3], v16 offset:256
	ds_load_b128 v[8:11], v16 offset:384
	;; [unrolled: 1-line block ×4, first 2 shown]
	v_add_nc_u32_e32 v28, s2, v20
	v_ashrrev_i32_e32 v21, 31, v20
	v_add_co_u32 v24, vcc_lo, v30, v24
	v_add_co_ci_u32_e32 v25, vcc_lo, v31, v25, vcc_lo
	s_delay_alu instid0(VALU_DEP_4) | instskip(NEXT) | instid1(VALU_DEP_4)
	v_ashrrev_i32_e32 v29, 31, v28
	v_lshlrev_b64 v[20:21], 1, v[20:21]
	s_delay_alu instid0(VALU_DEP_2) | instskip(NEXT) | instid1(VALU_DEP_2)
	v_lshlrev_b64 v[28:29], 1, v[28:29]
	v_add_co_u32 v20, vcc_lo, v30, v20
	s_delay_alu instid0(VALU_DEP_3) | instskip(NEXT) | instid1(VALU_DEP_3)
	v_add_co_ci_u32_e32 v21, vcc_lo, v31, v21, vcc_lo
	v_add_co_u32 v28, vcc_lo, v30, v28
	s_delay_alu instid0(VALU_DEP_4)
	v_add_co_ci_u32_e32 v29, vcc_lo, v31, v29, vcc_lo
	s_waitcnt lgkmcnt(4)
	global_store_b128 v[22:23], v[4:7], off
	s_waitcnt lgkmcnt(3)
	global_store_b128 v[26:27], v[0:3], off
	;; [unrolled: 2-line block ×5, first 2 shown]
	s_nop 0
	s_sendmsg sendmsg(MSG_DEALLOC_VGPRS)
	s_endpgm
	.section	.rodata,"a",@progbits
	.p2align	6, 0x0
	.amdhsa_kernel _Z39paged_attention_ll4mi_QKV_mfma16_kernelI14__hip_bfloat16S0_LN4vllm18Fp8KVCacheDataTypeE0ES0_Li16ELi64ELi256ELb1ELi12EL8MFMAType0EEvPKT_PKT0_S9_ifPKiSB_SB_iPKfiiiPfSE_PS4_PT2_iSD_SD_
		.amdhsa_group_segment_fixed_size 17472
		.amdhsa_private_segment_fixed_size 0
		.amdhsa_kernarg_size 400
		.amdhsa_user_sgpr_count 13
		.amdhsa_user_sgpr_dispatch_ptr 0
		.amdhsa_user_sgpr_queue_ptr 0
		.amdhsa_user_sgpr_kernarg_segment_ptr 1
		.amdhsa_user_sgpr_dispatch_id 0
		.amdhsa_user_sgpr_private_segment_size 0
		.amdhsa_wavefront_size32 1
		.amdhsa_uses_dynamic_stack 0
		.amdhsa_enable_private_segment 0
		.amdhsa_system_sgpr_workgroup_id_x 1
		.amdhsa_system_sgpr_workgroup_id_y 1
		.amdhsa_system_sgpr_workgroup_id_z 1
		.amdhsa_system_sgpr_workgroup_info 0
		.amdhsa_system_vgpr_workitem_id 0
		.amdhsa_next_free_vgpr 198
		.amdhsa_next_free_sgpr 52
		.amdhsa_reserve_vcc 1
		.amdhsa_float_round_mode_32 0
		.amdhsa_float_round_mode_16_64 0
		.amdhsa_float_denorm_mode_32 3
		.amdhsa_float_denorm_mode_16_64 3
		.amdhsa_dx10_clamp 1
		.amdhsa_ieee_mode 1
		.amdhsa_fp16_overflow 0
		.amdhsa_workgroup_processor_mode 1
		.amdhsa_memory_ordered 1
		.amdhsa_forward_progress 0
		.amdhsa_shared_vgpr_count 0
		.amdhsa_exception_fp_ieee_invalid_op 0
		.amdhsa_exception_fp_denorm_src 0
		.amdhsa_exception_fp_ieee_div_zero 0
		.amdhsa_exception_fp_ieee_overflow 0
		.amdhsa_exception_fp_ieee_underflow 0
		.amdhsa_exception_fp_ieee_inexact 0
		.amdhsa_exception_int_div_zero 0
	.end_amdhsa_kernel
	.section	.text._Z39paged_attention_ll4mi_QKV_mfma16_kernelI14__hip_bfloat16S0_LN4vllm18Fp8KVCacheDataTypeE0ES0_Li16ELi64ELi256ELb1ELi12EL8MFMAType0EEvPKT_PKT0_S9_ifPKiSB_SB_iPKfiiiPfSE_PS4_PT2_iSD_SD_,"axG",@progbits,_Z39paged_attention_ll4mi_QKV_mfma16_kernelI14__hip_bfloat16S0_LN4vllm18Fp8KVCacheDataTypeE0ES0_Li16ELi64ELi256ELb1ELi12EL8MFMAType0EEvPKT_PKT0_S9_ifPKiSB_SB_iPKfiiiPfSE_PS4_PT2_iSD_SD_,comdat
.Lfunc_end453:
	.size	_Z39paged_attention_ll4mi_QKV_mfma16_kernelI14__hip_bfloat16S0_LN4vllm18Fp8KVCacheDataTypeE0ES0_Li16ELi64ELi256ELb1ELi12EL8MFMAType0EEvPKT_PKT0_S9_ifPKiSB_SB_iPKfiiiPfSE_PS4_PT2_iSD_SD_, .Lfunc_end453-_Z39paged_attention_ll4mi_QKV_mfma16_kernelI14__hip_bfloat16S0_LN4vllm18Fp8KVCacheDataTypeE0ES0_Li16ELi64ELi256ELb1ELi12EL8MFMAType0EEvPKT_PKT0_S9_ifPKiSB_SB_iPKfiiiPfSE_PS4_PT2_iSD_SD_
                                        ; -- End function
	.section	.AMDGPU.csdata,"",@progbits
; Kernel info:
; codeLenInByte = 10164
; NumSgprs: 54
; NumVgprs: 198
; ScratchSize: 0
; MemoryBound: 0
; FloatMode: 240
; IeeeMode: 1
; LDSByteSize: 17472 bytes/workgroup (compile time only)
; SGPRBlocks: 6
; VGPRBlocks: 24
; NumSGPRsForWavesPerEU: 54
; NumVGPRsForWavesPerEU: 198
; Occupancy: 7
; WaveLimiterHint : 1
; COMPUTE_PGM_RSRC2:SCRATCH_EN: 0
; COMPUTE_PGM_RSRC2:USER_SGPR: 13
; COMPUTE_PGM_RSRC2:TRAP_HANDLER: 0
; COMPUTE_PGM_RSRC2:TGID_X_EN: 1
; COMPUTE_PGM_RSRC2:TGID_Y_EN: 1
; COMPUTE_PGM_RSRC2:TGID_Z_EN: 1
; COMPUTE_PGM_RSRC2:TIDIG_COMP_CNT: 0
	.section	.text._Z39paged_attention_ll4mi_QKV_mfma16_kernelI14__hip_bfloat16S0_LN4vllm18Fp8KVCacheDataTypeE0ES0_Li16ELi64ELi256ELb1ELi13EL8MFMAType0EEvPKT_PKT0_S9_ifPKiSB_SB_iPKfiiiPfSE_PS4_PT2_iSD_SD_,"axG",@progbits,_Z39paged_attention_ll4mi_QKV_mfma16_kernelI14__hip_bfloat16S0_LN4vllm18Fp8KVCacheDataTypeE0ES0_Li16ELi64ELi256ELb1ELi13EL8MFMAType0EEvPKT_PKT0_S9_ifPKiSB_SB_iPKfiiiPfSE_PS4_PT2_iSD_SD_,comdat
	.protected	_Z39paged_attention_ll4mi_QKV_mfma16_kernelI14__hip_bfloat16S0_LN4vllm18Fp8KVCacheDataTypeE0ES0_Li16ELi64ELi256ELb1ELi13EL8MFMAType0EEvPKT_PKT0_S9_ifPKiSB_SB_iPKfiiiPfSE_PS4_PT2_iSD_SD_ ; -- Begin function _Z39paged_attention_ll4mi_QKV_mfma16_kernelI14__hip_bfloat16S0_LN4vllm18Fp8KVCacheDataTypeE0ES0_Li16ELi64ELi256ELb1ELi13EL8MFMAType0EEvPKT_PKT0_S9_ifPKiSB_SB_iPKfiiiPfSE_PS4_PT2_iSD_SD_
	.globl	_Z39paged_attention_ll4mi_QKV_mfma16_kernelI14__hip_bfloat16S0_LN4vllm18Fp8KVCacheDataTypeE0ES0_Li16ELi64ELi256ELb1ELi13EL8MFMAType0EEvPKT_PKT0_S9_ifPKiSB_SB_iPKfiiiPfSE_PS4_PT2_iSD_SD_
	.p2align	8
	.type	_Z39paged_attention_ll4mi_QKV_mfma16_kernelI14__hip_bfloat16S0_LN4vllm18Fp8KVCacheDataTypeE0ES0_Li16ELi64ELi256ELb1ELi13EL8MFMAType0EEvPKT_PKT0_S9_ifPKiSB_SB_iPKfiiiPfSE_PS4_PT2_iSD_SD_,@function
_Z39paged_attention_ll4mi_QKV_mfma16_kernelI14__hip_bfloat16S0_LN4vllm18Fp8KVCacheDataTypeE0ES0_Li16ELi64ELi256ELb1ELi13EL8MFMAType0EEvPKT_PKT0_S9_ifPKiSB_SB_iPKfiiiPfSE_PS4_PT2_iSD_SD_: ; @_Z39paged_attention_ll4mi_QKV_mfma16_kernelI14__hip_bfloat16S0_LN4vllm18Fp8KVCacheDataTypeE0ES0_Li16ELi64ELi256ELb1ELi13EL8MFMAType0EEvPKT_PKT0_S9_ifPKiSB_SB_iPKfiiiPfSE_PS4_PT2_iSD_SD_
; %bb.0:
	s_load_b64 s[2:3], s[0:1], 0x30
	s_mov_b32 s34, s13
	s_waitcnt lgkmcnt(0)
	s_cmp_lg_u64 s[2:3], 0
	s_cselect_b32 s6, -1, 0
	s_ashr_i32 s35, s13, 31
	s_cmp_eq_u64 s[2:3], 0
	s_cbranch_scc1 .LBB454_3
; %bb.1:
	s_lshl_b64 s[4:5], s[34:35], 2
	s_delay_alu instid0(SALU_CYCLE_1) | instskip(SKIP_4) | instid1(SALU_CYCLE_1)
	s_add_u32 s4, s2, s4
	s_addc_u32 s5, s3, s5
	s_load_b64 s[4:5], s[4:5], 0x0
	s_waitcnt lgkmcnt(0)
	s_sub_i32 s4, s5, s4
	s_cmp_eq_u32 s4, 1
	s_cselect_b32 s4, -1, 0
	s_delay_alu instid0(SALU_CYCLE_1)
	s_and_not1_b32 vcc_lo, exec_lo, s4
	s_cbranch_vccz .LBB454_4
.LBB454_2:
	s_nop 0
	s_sendmsg sendmsg(MSG_DEALLOC_VGPRS)
	s_endpgm
.LBB454_3:
.LBB454_4:
	s_load_b64 s[8:9], s[0:1], 0x28
	s_lshl_b64 s[4:5], s[34:35], 2
	s_waitcnt lgkmcnt(0)
	s_add_u32 s8, s8, s4
	s_addc_u32 s9, s9, s5
	s_lshl_b32 s33, s14, 8
	s_load_b32 s30, s[8:9], 0x0
	s_waitcnt lgkmcnt(0)
	s_cmp_ge_i32 s33, s30
	s_cbranch_scc1 .LBB454_2
; %bb.5:
	s_clause 0x1
	s_load_b128 s[8:11], s[0:1], 0x8
	s_load_b64 s[12:13], s[0:1], 0x20
	s_and_not1_b32 vcc_lo, exec_lo, s6
	s_cbranch_vccnz .LBB454_7
; %bb.6:
	s_add_u32 s2, s2, s4
	s_addc_u32 s3, s3, s5
	s_load_b32 s3, s[2:3], 0x0
	s_branch .LBB454_8
.LBB454_7:
	s_mov_b32 s3, s34
.LBB454_8:
	s_load_b128 s[4:7], s[0:1], 0x48
	v_lshrrev_b32_e32 v149, 5, v0
	v_bfe_u32 v146, v0, 4, 1
	v_and_b32_e32 v148, 15, v0
	v_and_b32_e32 v150, 31, v0
	;; [unrolled: 1-line block ×3, first 2 shown]
	s_mul_i32 s31, s15, 13
	v_lshl_or_b32 v1, v149, 1, v146
	v_lshlrev_b32_e32 v2, 3, v148
	v_cmp_gt_u32_e64 s2, 8, v148
	s_delay_alu instid0(VALU_DEP_3) | instskip(NEXT) | instid1(VALU_DEP_3)
	v_cmp_gt_u32_e32 vcc_lo, 13, v1
	v_lshlrev_b32_e32 v145, 1, v2
	s_delay_alu instid0(VALU_DEP_3)
	s_and_b32 s16, s2, vcc_lo
	s_waitcnt lgkmcnt(0)
	s_and_saveexec_b32 s7, s16
	s_cbranch_execz .LBB454_10
; %bb.9:
	s_load_b64 s[16:17], s[0:1], 0x0
	v_add_lshl_u32 v2, v1, s31, 6
	s_mul_hi_i32 s19, s3, s4
	s_mul_i32 s18, s3, s4
	v_lshlrev_b32_e32 v6, 10, v148
	s_lshl_b64 s[18:19], s[18:19], 1
	v_ashrrev_i32_e32 v3, 31, v2
	v_lshlrev_b32_e32 v1, 6, v1
	v_lshlrev_b32_e32 v7, 10, v147
	v_and_b32_e32 v6, 0x3800, v6
	s_delay_alu instid0(VALU_DEP_4) | instskip(NEXT) | instid1(VALU_DEP_2)
	v_lshlrev_b64 v[2:3], 1, v[2:3]
	v_or3_b32 v1, v6, v7, v1
	s_waitcnt lgkmcnt(0)
	s_add_u32 s3, s16, s18
	s_addc_u32 s4, s17, s19
	s_delay_alu instid0(VALU_DEP_2) | instskip(SKIP_1) | instid1(VALU_DEP_2)
	v_add_co_u32 v2, vcc_lo, s3, v2
	v_add_co_ci_u32_e32 v3, vcc_lo, s4, v3, vcc_lo
	v_add_co_u32 v2, vcc_lo, v2, v145
	s_delay_alu instid0(VALU_DEP_2)
	v_add_co_ci_u32_e32 v3, vcc_lo, 0, v3, vcc_lo
	global_load_b128 v[2:5], v[2:3], off
	s_waitcnt vmcnt(0)
	ds_store_b128 v1, v[2:5]
.LBB454_10:
	s_or_b32 exec_lo, exec_lo, s7
	s_mov_b32 s40, 0
	s_add_i32 s3, s30, 15
	s_mov_b32 s41, s40
	s_mov_b32 s42, s40
	;; [unrolled: 1-line block ×7, first 2 shown]
	s_delay_alu instid0(SALU_CYCLE_1)
	v_dual_mov_b32 v144, s47 :: v_dual_and_b32 v1, 0xef, v0
	v_mov_b32_e32 v142, s45
	s_ashr_i32 s7, s3, 31
	s_clause 0x1
	s_load_b32 s4, s[0:1], 0x38
	s_load_b32 s35, s[0:1], 0x1c
	v_add_nc_u32_e32 v1, s33, v1
	s_lshr_b32 s7, s7, 28
	s_waitcnt lgkmcnt(0)
	s_add_i32 s3, s3, s7
	s_barrier
	v_ashrrev_i32_e32 v2, 31, v1
	v_or_b32_e32 v3, 16, v1
	s_ashr_i32 s3, s3, 4
	v_cmp_gt_i32_e32 vcc_lo, s30, v1
	s_add_i32 s3, s3, -1
	v_lshrrev_b32_e32 v2, 28, v2
	v_mov_b32_e32 v143, s46
	buffer_gl0_inv
	s_mul_i32 s6, s15, s6
	v_add_nc_u32_e32 v21, -13, v148
	v_dual_mov_b32 v141, s44 :: v_dual_add_nc_u32 v4, v1, v2
	v_mov_b32_e32 v139, s42
	s_mul_i32 s16, s34, s4
	v_mov_b32_e32 v137, s40
	s_delay_alu instid0(VALU_DEP_3)
	v_ashrrev_i32_e32 v4, 4, v4
	v_add_nc_u32_e32 v2, v3, v2
	v_lshlrev_b32_e32 v22, 5, v148
	s_ashr_i32 s17, s16, 31
	v_mov_b32_e32 v140, s43
	v_cndmask_b32_e32 v1, s3, v4, vcc_lo
	v_ashrrev_i32_e32 v2, 4, v2
	v_cmp_gt_i32_e32 vcc_lo, s30, v3
	s_lshl_b64 s[16:17], s[16:17], 2
	v_lshl_or_b32 v22, v149, 9, v22
	s_add_u32 s4, s12, s16
	s_addc_u32 s36, s13, s17
	v_cndmask_b32_e32 v3, s3, v2, vcc_lo
	v_ashrrev_i32_e32 v2, 31, v1
	s_ashr_i32 s7, s6, 31
	v_mov_b32_e32 v138, s41
	s_lshl_b64 s[6:7], s[6:7], 1
	v_ashrrev_i32_e32 v4, 31, v3
	v_lshlrev_b64 v[1:2], 2, v[1:2]
	s_add_u32 s24, s8, s6
	s_addc_u32 s25, s9, s7
	s_lshl_b32 s8, s14, 4
	v_lshlrev_b64 v[3:4], 2, v[3:4]
	s_ashr_i32 s9, s8, 31
	v_add_co_u32 v1, vcc_lo, s4, v1
	v_add_co_ci_u32_e32 v2, vcc_lo, s36, v2, vcc_lo
	s_delay_alu instid0(VALU_DEP_3) | instskip(NEXT) | instid1(VALU_DEP_4)
	v_add_co_u32 v3, vcc_lo, s4, v3
	v_add_co_ci_u32_e32 v4, vcc_lo, s36, v4, vcc_lo
	s_clause 0x1
	global_load_b32 v5, v[1:2], off
	global_load_b32 v6, v[3:4], off
	s_lshl_b64 s[8:9], s[8:9], 2
	v_lshlrev_b32_e32 v3, 4, v0
	s_add_u32 s8, s4, s8
	s_addc_u32 s9, s36, s9
	s_or_b32 s12, s33, 16
	s_delay_alu instid0(SALU_CYCLE_1) | instskip(SKIP_2) | instid1(SALU_CYCLE_1)
	s_ashr_i32 s13, s12, 4
	s_cmp_lt_i32 s12, s30
	s_cselect_b32 s12, s13, s3
	s_ashr_i32 s13, s12, 31
	s_delay_alu instid0(SALU_CYCLE_1) | instskip(NEXT) | instid1(SALU_CYCLE_1)
	s_lshl_b64 s[12:13], s[12:13], 2
	s_add_u32 s12, s4, s12
	s_addc_u32 s13, s36, s13
	s_or_b32 s15, s33, 32
	s_delay_alu instid0(SALU_CYCLE_1) | instskip(SKIP_2) | instid1(SALU_CYCLE_1)
	s_ashr_i32 s16, s15, 4
	s_cmp_lt_i32 s15, s30
	s_cselect_b32 s16, s16, s3
	s_ashr_i32 s17, s16, 31
	s_delay_alu instid0(SALU_CYCLE_1) | instskip(NEXT) | instid1(SALU_CYCLE_1)
	s_lshl_b64 s[16:17], s[16:17], 2
	;; [unrolled: 10-line block ×5, first 2 shown]
	s_add_u32 s22, s4, s22
	s_addc_u32 s23, s36, s23
	s_clause 0x5
	s_load_b32 s8, s[8:9], 0x0
	s_load_b32 s12, s[12:13], 0x0
	;; [unrolled: 1-line block ×6, first 2 shown]
	s_waitcnt lgkmcnt(0)
	s_mul_hi_i32 s17, s16, s5
	s_mul_i32 s16, s16, s5
	s_waitcnt vmcnt(1)
	v_mad_i64_i32 v[1:2], null, v5, s5, 0
	v_and_b32_e32 v5, 0xf0, v3
	s_waitcnt vmcnt(0)
	v_mad_i64_i32 v[3:4], null, v6, s5, 0
	s_delay_alu instid0(VALU_DEP_2) | instskip(NEXT) | instid1(VALU_DEP_4)
	v_add_co_u32 v5, s9, s24, v5
	v_lshlrev_b64 v[1:2], 1, v[1:2]
	v_add_co_ci_u32_e64 v6, null, s25, 0, s9
	s_delay_alu instid0(VALU_DEP_4) | instskip(SKIP_1) | instid1(VALU_DEP_3)
	v_lshlrev_b64 v[3:4], 1, v[3:4]
	s_or_b32 s9, s33, 0x60
	v_add_co_u32 v19, vcc_lo, v5, v1
	s_delay_alu instid0(VALU_DEP_3) | instskip(NEXT) | instid1(VALU_DEP_3)
	v_add_co_ci_u32_e32 v20, vcc_lo, v6, v2, vcc_lo
	v_add_co_u32 v17, vcc_lo, v5, v3
	s_delay_alu instid0(VALU_DEP_4)
	v_add_co_ci_u32_e32 v18, vcc_lo, v6, v4, vcc_lo
	s_clause 0x9
	global_load_b128 v[1:4], v[19:20], off
	global_load_b128 v[5:8], v[19:20], off offset:256
	global_load_b128 v[129:132], v[17:18], off
	global_load_b128 v[133:136], v[17:18], off offset:256
	global_load_b128 v[33:36], v[19:20], off offset:512
	;; [unrolled: 1-line block ×7, first 2 shown]
	v_cmp_gt_u32_e32 vcc_lo, 13, v148
	s_clause 0x1
	global_load_b128 v[151:154], v[17:18], off offset:1024
	global_load_b128 v[155:158], v[17:18], off offset:1280
	s_ashr_i32 s13, s9, 4
	s_cmp_lt_i32 s9, s30
	v_cndmask_b32_e32 v21, v21, v148, vcc_lo
	s_cselect_b32 s22, s13, s3
	s_delay_alu instid0(SALU_CYCLE_1) | instskip(NEXT) | instid1(VALU_DEP_1)
	s_ashr_i32 s23, s22, 31
	v_lshlrev_b32_e32 v197, 6, v21
	ds_load_b128 v[159:162], v197
	ds_load_b128 v[163:166], v197 offset:1024
	s_clause 0x3
	global_load_b128 v[167:170], v[19:20], off offset:1536
	global_load_b128 v[171:174], v[19:20], off offset:1792
	;; [unrolled: 1-line block ×4, first 2 shown]
	s_lshl_b64 s[22:23], s[22:23], 2
	s_delay_alu instid0(SALU_CYCLE_1) | instskip(SKIP_2) | instid1(SALU_CYCLE_1)
	s_add_u32 s22, s4, s22
	s_addc_u32 s23, s36, s23
	s_or_b32 s9, s33, 0x70
	s_ashr_i32 s13, s9, 4
	s_cmp_lt_i32 s9, s30
	s_cselect_b32 s24, s13, s3
	s_delay_alu instid0(SALU_CYCLE_1) | instskip(NEXT) | instid1(SALU_CYCLE_1)
	s_ashr_i32 s25, s24, 31
	s_lshl_b64 s[24:25], s[24:25], 2
	s_delay_alu instid0(SALU_CYCLE_1)
	s_add_u32 s24, s4, s24
	s_addc_u32 s25, s36, s25
	s_or_b32 s9, s33, 0x80
	s_load_b32 s46, s[24:25], 0x0
	s_ashr_i32 s13, s9, 4
	s_cmp_lt_i32 s9, s30
	s_cselect_b32 s26, s13, s3
	s_delay_alu instid0(SALU_CYCLE_1) | instskip(NEXT) | instid1(SALU_CYCLE_1)
	s_ashr_i32 s27, s26, 31
	s_lshl_b64 s[26:27], s[26:27], 2
	s_delay_alu instid0(SALU_CYCLE_1)
	s_add_u32 s26, s4, s26
	s_addc_u32 s27, s36, s27
	s_or_b32 s9, s33, 0x90
	s_load_b32 s47, s[26:27], 0x0
	s_ashr_i32 s13, s9, 4
	s_cmp_lt_i32 s9, s30
	s_cselect_b32 s28, s13, s3
	s_delay_alu instid0(SALU_CYCLE_1) | instskip(NEXT) | instid1(SALU_CYCLE_1)
	s_ashr_i32 s29, s28, 31
	s_lshl_b64 s[28:29], s[28:29], 2
	s_delay_alu instid0(SALU_CYCLE_1) | instskip(SKIP_2) | instid1(SALU_CYCLE_1)
	s_add_u32 s28, s4, s28
	s_addc_u32 s29, s36, s29
	s_or_b32 s9, s33, 0xa0
	s_ashr_i32 s13, s9, 4
	s_cmp_lt_i32 s9, s30
	s_cselect_b32 s38, s13, s3
	s_delay_alu instid0(SALU_CYCLE_1) | instskip(NEXT) | instid1(SALU_CYCLE_1)
	s_ashr_i32 s39, s38, 31
	s_lshl_b64 s[38:39], s[38:39], 2
	s_delay_alu instid0(SALU_CYCLE_1)
	s_add_u32 s38, s4, s38
	s_addc_u32 s39, s36, s39
	s_or_b32 s9, s33, 0xb0
	s_load_b32 s39, s[38:39], 0x0
	s_ashr_i32 s13, s9, 4
	s_cmp_lt_i32 s9, s30
	s_mul_hi_i32 s9, s8, s5
	s_cselect_b32 s40, s13, s3
	s_mul_i32 s8, s8, s5
	s_ashr_i32 s41, s40, 31
	s_mul_hi_i32 s13, s12, s5
	s_lshl_b64 s[40:41], s[40:41], 2
	s_mul_i32 s12, s12, s5
	s_add_u32 s42, s4, s40
	s_addc_u32 s43, s36, s41
	s_or_b32 s19, s33, 0xc0
	s_delay_alu instid0(SALU_CYCLE_1)
	s_ashr_i32 s21, s19, 4
	s_cmp_lt_i32 s19, s30
	s_mul_hi_i32 s19, s18, s5
	s_cselect_b32 s40, s21, s3
	s_mul_i32 s18, s18, s5
	s_ashr_i32 s41, s40, 31
	s_mul_hi_i32 s21, s20, s5
	s_lshl_b64 s[40:41], s[40:41], 2
	s_mul_i32 s20, s20, s5
	s_add_u32 s44, s4, s40
	s_load_b32 s40, s[28:29], 0x0
	s_addc_u32 s45, s36, s41
	s_or_b32 s37, s33, 0xd0
	s_load_b32 s41, s[22:23], 0x0
	s_ashr_i32 s22, s37, 4
	s_cmp_lt_i32 s37, s30
	s_mul_hi_i32 s23, s15, s5
	s_cselect_b32 s24, s22, s3
	s_mul_i32 s22, s15, s5
	s_ashr_i32 s25, s24, 31
	s_waitcnt lgkmcnt(0)
	s_mul_hi_i32 s27, s46, s5
	s_lshl_b64 s[24:25], s[24:25], 2
	s_mul_i32 s26, s46, s5
	s_add_u32 s24, s4, s24
	s_addc_u32 s25, s36, s25
	s_or_b32 s48, s33, 0xe0
	s_clause 0x2
	s_load_b32 s38, s[42:43], 0x0
	s_load_b32 s37, s[44:45], 0x0
	;; [unrolled: 1-line block ×3, first 2 shown]
	s_ashr_i32 s49, s48, 4
	s_cmp_lt_i32 s48, s30
	s_mul_hi_i32 s29, s47, s5
	s_cselect_b32 s42, s49, s3
	s_mul_i32 s28, s47, s5
	s_ashr_i32 s43, s42, 31
	s_mul_hi_i32 s25, s41, s5
	s_lshl_b64 s[42:43], s[42:43], 2
	s_mul_i32 s24, s41, s5
	s_add_u32 s42, s4, s42
	s_addc_u32 s43, s36, s43
	s_or_b32 s46, s33, 0xf0
	s_mul_hi_i32 s41, s40, s5
	s_ashr_i32 s47, s46, 4
	s_cmp_lt_i32 s46, s30
	s_mul_i32 s40, s40, s5
	s_cselect_b32 s46, s47, s3
	s_mul_hi_i32 s45, s39, s5
	s_ashr_i32 s47, s46, 31
	s_mul_i32 s44, s39, s5
	s_lshl_b64 s[46:47], s[46:47], 2
	s_waitcnt lgkmcnt(0)
	s_mul_hi_i32 s39, s38, s5
	s_add_u32 s46, s4, s46
	s_addc_u32 s47, s36, s47
	s_add_u32 s3, s10, s6
	s_addc_u32 s4, s11, s7
	v_add_co_u32 v195, s3, s3, v22
	s_delay_alu instid0(VALU_DEP_1) | instskip(SKIP_2) | instid1(VALU_DEP_2)
	v_add_co_ci_u32_e64 v196, null, s4, 0, s3
	s_lshl_b64 s[6:7], s[8:9], 1
	s_lshl_b64 s[8:9], s[12:13], 1
	v_add_co_u32 v17, vcc_lo, v195, s6
	s_delay_alu instid0(VALU_DEP_2)
	v_add_co_ci_u32_e32 v18, vcc_lo, s7, v196, vcc_lo
	v_add_co_u32 v19, vcc_lo, v195, s8
	s_lshl_b64 s[10:11], s[16:17], 1
	v_add_co_ci_u32_e32 v20, vcc_lo, s9, v196, vcc_lo
	v_add_co_u32 v21, vcc_lo, v195, s10
	s_lshl_b64 s[12:13], s[18:19], 1
	;; [unrolled: 3-line block ×9, first 2 shown]
	s_mul_i32 s38, s38, s5
	v_add_co_ci_u32_e32 v54, vcc_lo, s27, v196, vcc_lo
	v_add_co_u32 v183, vcc_lo, v195, s28
	s_mul_hi_i32 s49, s37, s5
	s_mul_i32 s48, s37, s5
	s_lshl_b64 s[36:37], s[38:39], 1
	v_add_co_ci_u32_e32 v184, vcc_lo, s29, v196, vcc_lo
	v_add_co_u32 v185, vcc_lo, v195, s36
	s_lshl_b64 s[38:39], s[48:49], 1
	s_clause 0x1
	s_load_b32 s3, s[42:43], 0x0
	s_load_b32 s4, s[46:47], 0x0
	v_add_co_ci_u32_e32 v186, vcc_lo, s37, v196, vcc_lo
	v_add_co_u32 v191, vcc_lo, v195, s38
	v_add_co_ci_u32_e32 v192, vcc_lo, s39, v196, vcc_lo
	s_clause 0x17
	global_load_b128 v[121:124], v[17:18], off
	global_load_b128 v[125:128], v[17:18], off offset:16
	global_load_b128 v[113:116], v[19:20], off
	global_load_b128 v[117:120], v[19:20], off offset:16
	global_load_b128 v[105:108], v[21:22], off
	global_load_b128 v[109:112], v[21:22], off offset:16
	global_load_b128 v[97:100], v[23:24], off
	global_load_b128 v[101:104], v[23:24], off offset:16
	global_load_b128 v[89:92], v[41:42], off
	global_load_b128 v[93:96], v[41:42], off offset:16
	global_load_b128 v[81:84], v[43:44], off
	global_load_b128 v[85:88], v[43:44], off offset:16
	global_load_b128 v[73:76], v[45:46], off
	global_load_b128 v[77:80], v[45:46], off offset:16
	global_load_b128 v[57:60], v[47:48], off
	global_load_b128 v[61:64], v[47:48], off offset:16
	global_load_b128 v[65:68], v[49:50], off
	global_load_b128 v[69:72], v[49:50], off offset:16
	global_load_b128 v[49:52], v[53:54], off
	global_load_b128 v[53:56], v[53:54], off offset:16
	global_load_b128 v[41:44], v[183:184], off
	global_load_b128 v[45:48], v[183:184], off offset:16
	global_load_b128 v[17:20], v[185:186], off
	global_load_b128 v[21:24], v[185:186], off offset:16
	s_mul_hi_i32 s51, s15, s5
	s_mul_i32 s50, s15, s5
	s_delay_alu instid0(SALU_CYCLE_1) | instskip(NEXT) | instid1(SALU_CYCLE_1)
	s_lshl_b64 s[40:41], s[50:51], 1
	v_add_co_u32 v193, vcc_lo, v195, s40
	v_add_co_ci_u32_e32 v194, vcc_lo, s41, v196, vcc_lo
	s_waitcnt lgkmcnt(0)
	s_mul_hi_i32 s7, s3, s5
	s_mul_i32 s6, s3, s5
	s_mul_hi_i32 s9, s4, s5
	s_lshl_b64 s[6:7], s[6:7], 1
	s_mul_i32 s8, s4, s5
	s_delay_alu instid0(SALU_CYCLE_1)
	s_lshl_b64 s[4:5], s[8:9], 1
	s_waitcnt vmcnt(38)
	v_wmma_f32_16x16x16_bf16 v[183:190], v[1:8], v[159:166], v[137:144]
	s_waitcnt vmcnt(36)
	v_wmma_f32_16x16x16_bf16 v[137:144], v[129:136], v[159:166], v[137:144]
	s_clause 0x1
	global_load_b128 v[1:4], v[191:192], off
	global_load_b128 v[5:8], v[191:192], off offset:16
	ds_load_b128 v[129:132], v197 offset:2048
	ds_load_b128 v[133:136], v197 offset:3072
	;; [unrolled: 1-line block ×4, first 2 shown]
	v_add_co_u32 v191, vcc_lo, v195, s6
	v_add_co_ci_u32_e32 v192, vcc_lo, s7, v196, vcc_lo
	v_add_co_u32 v195, vcc_lo, v195, s4
	v_add_co_ci_u32_e32 v196, vcc_lo, s5, v196, vcc_lo
	s_waitcnt vmcnt(36) lgkmcnt(2)
	v_wmma_f32_16x16x16_bf16 v[183:190], v[33:40], v[129:136], v[183:190]
	s_waitcnt vmcnt(34)
	v_wmma_f32_16x16x16_bf16 v[137:144], v[25:32], v[129:136], v[137:144]
	s_clause 0x3
	global_load_b128 v[25:28], v[193:194], off
	global_load_b128 v[29:32], v[193:194], off offset:16
	global_load_b128 v[33:36], v[191:192], off
	global_load_b128 v[37:40], v[191:192], off offset:16
	v_and_b32_e32 v129, 0xe0, v0
	v_mbcnt_lo_u32_b32 v191, -1, 0
	s_waitcnt vmcnt(36) lgkmcnt(0)
	v_wmma_f32_16x16x16_bf16 v[183:190], v[9:16], v[159:166], v[183:190]
	s_clause 0x1
	global_load_b128 v[9:12], v[195:196], off
	global_load_b128 v[13:16], v[195:196], off offset:16
	s_waitcnt vmcnt(36)
	v_wmma_f32_16x16x16_bf16 v[137:144], v[151:158], v[159:166], v[137:144]
	v_add_nc_u32_e32 v192, s33, v129
	ds_load_b128 v[129:132], v197 offset:6144
	ds_load_b128 v[133:136], v197 offset:7168
	v_xor_b32_e32 v151, 16, v191
	s_waitcnt vmcnt(0) lgkmcnt(0)
	s_barrier
	v_or_b32_e32 v152, v192, v146
	buffer_gl0_inv
	v_cmp_gt_i32_e32 vcc_lo, 32, v151
	v_or_b32_e32 v153, 2, v152
	v_or_b32_e32 v154, 4, v152
	v_or_b32_e32 v155, 6, v152
	v_or_b32_e32 v156, 8, v152
	v_or_b32_e32 v157, 10, v152
	v_cmp_gt_i32_e64 s3, s30, v153
	v_cmp_gt_i32_e64 s4, s30, v154
	;; [unrolled: 1-line block ×3, first 2 shown]
	v_or_b32_e32 v158, 12, v152
	v_or_b32_e32 v159, 14, v152
	v_cmp_gt_i32_e64 s6, s30, v156
	v_wmma_f32_16x16x16_bf16 v[183:190], v[167:174], v[129:136], v[183:190]
	v_wmma_f32_16x16x16_bf16 v[137:144], v[175:182], v[129:136], v[137:144]
	v_cndmask_b32_e32 v151, v191, v151, vcc_lo
	v_cmp_gt_i32_e32 vcc_lo, s30, v152
	v_cmp_gt_i32_e64 s7, s30, v157
	v_dual_mul_f32 v135, s35, v184 :: v_dual_mul_f32 v136, s35, v183
	v_dual_mul_f32 v133, s35, v186 :: v_dual_mul_f32 v134, s35, v185
	;; [unrolled: 1-line block ×3, first 2 shown]
	s_delay_alu instid0(VALU_DEP_3) | instskip(NEXT) | instid1(VALU_DEP_4)
	v_cndmask_b32_e32 v136, 0xff7fffff, v136, vcc_lo
	v_cndmask_b32_e64 v135, 0xff7fffff, v135, s3
	v_mul_f32_e32 v132, s35, v187
	v_cndmask_b32_e64 v134, 0xff7fffff, v134, s4
	v_cndmask_b32_e64 v133, 0xff7fffff, v133, s5
	v_or_b32_e32 v160, 16, v152
	v_max3_f32 v135, v136, 0xff7fffff, v135
	v_or_b32_e32 v161, 18, v152
	v_mul_f32_e32 v130, s35, v189
	v_dual_mul_f32 v172, s35, v140 :: v_dual_mul_f32 v129, s35, v190
	v_cndmask_b32_e64 v132, 0xff7fffff, v132, s6
	v_cndmask_b32_e64 v131, 0xff7fffff, v131, s7
	v_max3_f32 v133, v135, v134, v133
	v_cmp_gt_i32_e64 s8, s30, v158
	v_lshlrev_b32_e32 v158, 2, v151
	v_cmp_gt_i32_e64 s9, s30, v159
	v_or_b32_e32 v162, 20, v152
	v_or_b32_e32 v163, 22, v152
	v_mul_f32_e32 v175, s35, v137
	v_cndmask_b32_e64 v130, 0xff7fffff, v130, s8
	v_cndmask_b32_e64 v129, 0xff7fffff, v129, s9
	v_max3_f32 v131, v133, v132, v131
	v_cmp_gt_i32_e64 s10, s30, v160
	v_cmp_gt_i32_e64 s11, s30, v161
	v_or_b32_e32 v164, 24, v152
	v_or_b32_e32 v165, 26, v152
	v_mul_f32_e32 v173, s35, v139
	v_cndmask_b32_e64 v132, 0xff7fffff, v175, s10
	v_cndmask_b32_e64 v133, 0xff7fffff, v174, s11
	v_max3_f32 v129, v131, v130, v129
	v_cmp_gt_i32_e64 s12, s30, v162
	v_cmp_gt_i32_e64 s13, s30, v163
	v_or_b32_e32 v166, 28, v152
	v_or_b32_e32 v167, 30, v152
	v_dual_mul_f32 v170, s35, v142 :: v_dual_mul_f32 v171, s35, v141
	v_cndmask_b32_e64 v130, 0xff7fffff, v173, s12
	v_cndmask_b32_e64 v131, 0xff7fffff, v172, s13
	v_max3_f32 v129, v129, v132, v133
	v_cmp_gt_i32_e64 s15, s30, v164
	v_cmp_gt_i32_e64 s16, s30, v165
	v_dual_mul_f32 v168, s35, v144 :: v_dual_mul_f32 v169, s35, v143
	s_delay_alu instid0(VALU_DEP_4) | instskip(NEXT) | instid1(VALU_DEP_4)
	v_max3_f32 v129, v129, v130, v131
	v_cndmask_b32_e64 v132, 0xff7fffff, v171, s15
	s_delay_alu instid0(VALU_DEP_4) | instskip(SKIP_2) | instid1(VALU_DEP_3)
	v_cndmask_b32_e64 v133, 0xff7fffff, v170, s16
	v_cmp_gt_i32_e64 s17, s30, v166
	v_cmp_gt_i32_e64 s18, s30, v167
	v_max3_f32 v129, v129, v132, v133
	s_delay_alu instid0(VALU_DEP_3) | instskip(NEXT) | instid1(VALU_DEP_3)
	v_cndmask_b32_e64 v130, 0xff7fffff, v169, s17
	v_cndmask_b32_e64 v131, 0xff7fffff, v168, s18
	s_delay_alu instid0(VALU_DEP_1) | instskip(SKIP_3) | instid1(VALU_DEP_1)
	v_max3_f32 v129, v129, v130, v131
	ds_bpermute_b32 v130, v158, v129
	s_waitcnt lgkmcnt(0)
	v_max_f32_e32 v130, v130, v130
	v_max_f32_e32 v129, v129, v130
	s_delay_alu instid0(VALU_DEP_1)
	v_fma_f32 v130, s35, v183, -v129
	v_fma_f32 v132, s35, v185, -v129
	;; [unrolled: 1-line block ×5, first 2 shown]
	v_mul_f32_e32 v130, 0x3fb8aa3b, v130
	v_mul_f32_e32 v132, 0x3fb8aa3b, v132
	;; [unrolled: 1-line block ×3, first 2 shown]
	v_fma_f32 v135, s35, v189, -v129
	s_delay_alu instid0(VALU_DEP_4) | instskip(NEXT) | instid1(VALU_DEP_3)
	v_exp_f32_e32 v130, v130
	v_exp_f32_e32 v132, v132
	s_delay_alu instid0(VALU_DEP_2) | instskip(NEXT) | instid1(TRANS32_DEP_3)
	v_exp_f32_e32 v134, v134
	v_cndmask_b32_e32 v152, 0, v130, vcc_lo
	v_fma_f32 v130, s35, v188, -v129
	s_waitcnt_depctr 0xfff
	v_cndmask_b32_e64 v153, 0, v132, s4
	v_fma_f32 v132, s35, v190, -v129
	v_mul_f32_e32 v131, 0x3fb8aa3b, v131
	v_cndmask_b32_e64 v155, 0, v134, s6
	v_dual_mul_f32 v130, 0x3fb8aa3b, v130 :: v_dual_mul_f32 v133, 0x3fb8aa3b, v133
	s_delay_alu instid0(VALU_DEP_4) | instskip(NEXT) | instid1(VALU_DEP_4)
	v_mul_f32_e32 v132, 0x3fb8aa3b, v132
	v_exp_f32_e32 v131, v131
	v_fma_f32 v134, s35, v138, -v129
	s_delay_alu instid0(VALU_DEP_3) | instskip(SKIP_2) | instid1(VALU_DEP_1)
	v_exp_f32_e32 v130, v130
	v_exp_f32_e32 v133, v133
	v_exp_f32_e32 v132, v132
	v_mul_f32_e32 v134, 0x3fb8aa3b, v134
	v_cndmask_b32_e64 v151, 0, v131, s3
	v_add_f32_e32 v131, 0, v152
	s_delay_alu instid0(TRANS32_DEP_3)
	v_cndmask_b32_e64 v156, 0, v130, s7
	s_waitcnt_depctr 0xfff
	v_cndmask_b32_e64 v154, 0, v133, s5
	v_fma_f32 v133, s35, v137, -v129
	v_exp_f32_e32 v134, v134
	v_add_f32_e32 v131, v131, v151
	v_cmp_gt_u32_e64 s3, 16, v150
	s_delay_alu instid0(VALU_DEP_2) | instskip(NEXT) | instid1(VALU_DEP_1)
	v_add_f32_e32 v131, v131, v153
	v_add_f32_e32 v131, v131, v154
	s_delay_alu instid0(VALU_DEP_1) | instskip(SKIP_2) | instid1(VALU_DEP_3)
	v_add_f32_e32 v130, v131, v155
	v_fma_f32 v131, s35, v139, -v129
	v_fma_f32 v139, s35, v144, -v129
	v_dual_add_f32 v130, v130, v156 :: v_dual_mul_f32 v135, 0x3fb8aa3b, v135
	s_delay_alu instid0(VALU_DEP_1)
	v_exp_f32_e32 v135, v135
	s_waitcnt_depctr 0xfff
	v_cndmask_b32_e64 v157, 0, v135, s8
	v_fma_f32 v135, s35, v140, -v129
	v_cndmask_b32_e64 v140, 0, v132, s9
	v_fma_f32 v132, s35, v141, -v129
	s_delay_alu instid0(VALU_DEP_1) | instskip(SKIP_1) | instid1(VALU_DEP_2)
	v_dual_add_f32 v130, v130, v157 :: v_dual_mul_f32 v137, 0x3fb8aa3b, v132
	v_cndmask_b32_e64 v132, 0, v134, s11
	v_dual_add_f32 v130, v130, v140 :: v_dual_mul_f32 v133, 0x3fb8aa3b, v133
	v_mul_f32_e32 v131, 0x3fb8aa3b, v131
	v_fma_f32 v134, s35, v143, -v129
	v_mul_f32_e32 v135, 0x3fb8aa3b, v135
	s_delay_alu instid0(VALU_DEP_4) | instskip(NEXT) | instid1(VALU_DEP_3)
	v_exp_f32_e32 v133, v133
	v_exp_f32_e32 v136, v131
	s_waitcnt_depctr 0xfff
	v_cndmask_b32_e64 v131, 0, v133, s10
	v_fma_f32 v133, s35, v142, -v129
	s_delay_alu instid0(VALU_DEP_2) | instskip(NEXT) | instid1(VALU_DEP_2)
	v_add_f32_e32 v130, v130, v131
	v_mul_f32_e32 v138, 0x3fb8aa3b, v133
	v_cndmask_b32_e64 v133, 0, v136, s12
	v_mul_f32_e32 v136, 0x3fb8aa3b, v134
	v_exp_f32_e32 v135, v135
	v_add_f32_e32 v130, v130, v132
	v_exp_f32_e32 v138, v138
	s_delay_alu instid0(VALU_DEP_2) | instskip(NEXT) | instid1(VALU_DEP_1)
	v_exp_f32_e32 v141, v136
	v_add_f32_e32 v130, v130, v133
	v_exp_f32_e32 v137, v137
	v_cndmask_b32_e64 v134, 0, v135, s13
	s_delay_alu instid0(TRANS32_DEP_3) | instskip(NEXT) | instid1(VALU_DEP_2)
	v_cndmask_b32_e64 v136, 0, v138, s16
	v_add_f32_e32 v130, v130, v134
	s_waitcnt_depctr 0xfff
	v_cndmask_b32_e64 v135, 0, v137, s15
	v_mul_f32_e32 v137, 0x3fb8aa3b, v139
	s_delay_alu instid0(VALU_DEP_2) | instskip(NEXT) | instid1(VALU_DEP_2)
	v_add_f32_e32 v130, v130, v135
	v_exp_f32_e32 v138, v137
	v_cndmask_b32_e64 v137, 0, v141, s17
	s_delay_alu instid0(VALU_DEP_2) | instskip(NEXT) | instid1(VALU_DEP_1)
	v_add_f32_e32 v130, v130, v136
	v_add_f32_e32 v130, v130, v137
	s_waitcnt_depctr 0xfff
	v_cndmask_b32_e64 v138, 0, v138, s18
	s_delay_alu instid0(VALU_DEP_1)
	v_add_f32_e32 v130, v130, v138
	ds_bpermute_b32 v139, v158, v130
	s_and_saveexec_b32 s4, s3
	s_cbranch_execz .LBB454_12
; %bb.11:
	v_mul_u32_u24_e32 v141, 0x44, v149
	s_delay_alu instid0(VALU_DEP_1) | instskip(SKIP_1) | instid1(VALU_DEP_1)
	v_lshl_add_u32 v141, v148, 2, v141
	s_waitcnt lgkmcnt(0)
	v_dual_add_f32 v130, v130, v139 :: v_dual_add_nc_u32 v139, 0x4000, v141
	ds_store_2addr_b32 v139, v129, v130 offset1:136
.LBB454_12:
	s_or_b32 exec_lo, exec_lo, s4
	v_lshlrev_b32_e32 v129, 2, v148
	s_waitcnt lgkmcnt(0)
	s_barrier
	buffer_gl0_inv
	v_cmp_eq_u32_e64 s4, 1, v149
	v_add_nc_u32_e32 v139, 0x4000, v129
	ds_load_2addr_b32 v[141:142], v139 offset1:17
	ds_load_2addr_b32 v[143:144], v139 offset0:34 offset1:51
	ds_load_2addr_b32 v[158:159], v139 offset0:68 offset1:85
	;; [unrolled: 1-line block ×4, first 2 shown]
	s_waitcnt lgkmcnt(4)
	v_max3_f32 v129, v141, 0xff7fffff, v142
	s_waitcnt lgkmcnt(3)
	s_delay_alu instid0(VALU_DEP_1) | instskip(SKIP_1) | instid1(VALU_DEP_1)
	v_max3_f32 v129, v129, v143, v144
	s_waitcnt lgkmcnt(2)
	v_max3_f32 v129, v129, v158, v159
	s_waitcnt lgkmcnt(1)
	s_delay_alu instid0(VALU_DEP_1) | instskip(NEXT) | instid1(VALU_DEP_1)
	v_max3_f32 v129, v129, v160, v161
	v_sub_f32_e32 v158, v158, v129
	s_delay_alu instid0(VALU_DEP_1) | instskip(NEXT) | instid1(VALU_DEP_1)
	v_dual_sub_f32 v150, v142, v129 :: v_dual_mul_f32 v167, 0x3fb8aa3b, v158
	v_dual_sub_f32 v143, v143, v129 :: v_dual_mul_f32 v150, 0x3fb8aa3b, v150
	s_delay_alu instid0(VALU_DEP_1) | instskip(NEXT) | instid1(VALU_DEP_2)
	v_dual_sub_f32 v130, v141, v129 :: v_dual_mul_f32 v165, 0x3fb8aa3b, v143
	v_exp_f32_e32 v150, v150
	s_delay_alu instid0(VALU_DEP_1) | instskip(NEXT) | instid1(VALU_DEP_2)
	v_mul_f32_e32 v130, 0x3fb8aa3b, v130
	v_exp_f32_e32 v165, v165
	s_delay_alu instid0(VALU_DEP_1) | instskip(SKIP_1) | instid1(VALU_DEP_1)
	v_exp_f32_e32 v164, v130
	v_sub_f32_e32 v130, v144, v129
	v_mul_f32_e32 v166, 0x3fb8aa3b, v130
	s_waitcnt lgkmcnt(0)
	s_waitcnt_depctr 0xfff
	v_fma_f32 v130, v164, v162, 0
	v_sub_f32_e32 v162, v159, v129
	s_delay_alu instid0(VALU_DEP_2)
	v_fmac_f32_e32 v130, v150, v163
	ds_load_2addr_b32 v[141:142], v139 offset0:170 offset1:187
	ds_load_2addr_b32 v[143:144], v139 offset0:204 offset1:221
	;; [unrolled: 1-line block ×3, first 2 shown]
	v_sub_f32_e32 v139, v160, v129
	v_exp_f32_e32 v166, v166
	v_mul_f32_e32 v160, 0x3fb8aa3b, v162
	v_exp_f32_e32 v162, v167
	v_cndmask_b32_e64 v150, v164, v150, s4
	v_mul_f32_e32 v139, 0x3fb8aa3b, v139
	v_cmp_eq_u32_e64 s4, 2, v149
	s_waitcnt lgkmcnt(0)
	s_barrier
	buffer_gl0_inv
	v_exp_f32_e32 v139, v139
	v_cndmask_b32_e64 v150, v150, v165, s4
	v_cmp_eq_u32_e64 s4, 3, v149
	v_fmac_f32_e32 v130, v165, v141
	v_sub_f32_e32 v141, v161, v129
	v_exp_f32_e32 v160, v160
	s_delay_alu instid0(VALU_DEP_3) | instskip(SKIP_1) | instid1(VALU_DEP_3)
	v_cndmask_b32_e64 v150, v150, v166, s4
	v_cmp_eq_u32_e64 s4, 4, v149
	v_dual_fmac_f32 v130, v166, v142 :: v_dual_mul_f32 v141, 0x3fb8aa3b, v141
	s_delay_alu instid0(VALU_DEP_2) | instskip(SKIP_1) | instid1(VALU_DEP_3)
	v_cndmask_b32_e64 v150, v150, v162, s4
	v_cmp_eq_u32_e64 s4, 5, v149
	v_exp_f32_e32 v141, v141
	s_delay_alu instid0(VALU_DEP_3)
	v_fmac_f32_e32 v130, v162, v143
	s_delay_alu instid0(TRANS32_DEP_2) | instid1(VALU_DEP_2)
	v_cndmask_b32_e64 v150, v150, v160, s4
	s_delay_alu instid0(VALU_DEP_2) | instskip(NEXT) | instid1(VALU_DEP_1)
	v_fmac_f32_e32 v130, v160, v144
	v_fmac_f32_e32 v130, v139, v158
	s_waitcnt_depctr 0xfff
	v_fmac_f32_e32 v130, v141, v159
	s_delay_alu instid0(VALU_DEP_1) | instskip(NEXT) | instid1(VALU_DEP_1)
	v_add_f32_e32 v142, 0x358637bd, v130
	v_div_scale_f32 v143, null, v142, v142, 1.0
	v_div_scale_f32 v159, vcc_lo, 1.0, v142, 1.0
	s_delay_alu instid0(VALU_DEP_2) | instskip(SKIP_2) | instid1(VALU_DEP_1)
	v_rcp_f32_e32 v144, v143
	s_waitcnt_depctr 0xfff
	v_fma_f32 v158, -v143, v144, 1.0
	v_fmac_f32_e32 v144, v158, v144
	s_delay_alu instid0(VALU_DEP_1) | instskip(NEXT) | instid1(VALU_DEP_1)
	v_mul_f32_e32 v158, v159, v144
	v_fma_f32 v161, -v143, v158, v159
	s_delay_alu instid0(VALU_DEP_1) | instskip(NEXT) | instid1(VALU_DEP_1)
	v_fmac_f32_e32 v158, v161, v144
	v_fma_f32 v143, -v143, v158, v159
	s_delay_alu instid0(VALU_DEP_1) | instskip(SKIP_1) | instid1(VALU_DEP_2)
	v_div_fmas_f32 v143, v143, v144, v158
	v_cmp_eq_u32_e32 vcc_lo, 6, v149
	v_div_fixup_f32 v142, v143, v142, 1.0
	v_cndmask_b32_e32 v139, v150, v139, vcc_lo
	v_cmp_eq_u32_e32 vcc_lo, 7, v149
	s_delay_alu instid0(VALU_DEP_2) | instskip(NEXT) | instid1(VALU_DEP_1)
	v_cndmask_b32_e32 v139, v139, v141, vcc_lo
	v_mul_f32_e32 v139, v139, v142
	s_delay_alu instid0(VALU_DEP_1) | instskip(SKIP_4) | instid1(VALU_DEP_4)
	v_mul_f32_e32 v153, v139, v153
	v_mul_f32_e32 v142, v139, v152
	v_mul_f32_e32 v140, v139, v140
	v_mul_f32_e32 v143, v139, v157
	v_mul_f32_e32 v150, v139, v156
	v_dual_mul_f32 v152, v139, v155 :: v_dual_and_b32 v141, 0x7f800000, v142
	v_mul_f32_e32 v154, v139, v154
	v_mul_f32_e32 v144, v139, v151
	s_delay_alu instid0(VALU_DEP_3) | instskip(SKIP_1) | instid1(SALU_CYCLE_1)
	v_cmp_ne_u32_e32 vcc_lo, 0x7f800000, v141
                                        ; implicit-def: $vgpr141
	s_and_saveexec_b32 s4, vcc_lo
	s_xor_b32 s4, exec_lo, s4
; %bb.13:
	v_bfe_u32 v141, v142, 16, 1
	s_delay_alu instid0(VALU_DEP_1)
	v_add3_u32 v141, v142, v141, 0x7fff
                                        ; implicit-def: $vgpr142
; %bb.14:
	s_and_not1_saveexec_b32 s4, s4
; %bb.15:
	v_and_b32_e32 v141, 0xffff, v142
	v_or_b32_e32 v151, 0x10000, v142
	s_delay_alu instid0(VALU_DEP_2) | instskip(NEXT) | instid1(VALU_DEP_2)
	v_cmp_eq_u32_e32 vcc_lo, 0, v141
	v_cndmask_b32_e32 v141, v151, v142, vcc_lo
; %bb.16:
	s_or_b32 exec_lo, exec_lo, s4
	v_and_b32_e32 v142, 0x7f800000, v144
	s_delay_alu instid0(VALU_DEP_1) | instskip(SKIP_1) | instid1(SALU_CYCLE_1)
	v_cmp_ne_u32_e32 vcc_lo, 0x7f800000, v142
                                        ; implicit-def: $vgpr142
	s_and_saveexec_b32 s4, vcc_lo
	s_xor_b32 s4, exec_lo, s4
; %bb.17:
	v_bfe_u32 v142, v144, 16, 1
	s_delay_alu instid0(VALU_DEP_1)
	v_add3_u32 v142, v144, v142, 0x7fff
                                        ; implicit-def: $vgpr144
; %bb.18:
	s_and_not1_saveexec_b32 s4, s4
; %bb.19:
	v_and_b32_e32 v142, 0xffff, v144
	v_or_b32_e32 v151, 0x10000, v144
	s_delay_alu instid0(VALU_DEP_2) | instskip(NEXT) | instid1(VALU_DEP_2)
	v_cmp_eq_u32_e32 vcc_lo, 0, v142
	v_cndmask_b32_e32 v142, v151, v144, vcc_lo
; %bb.20:
	s_or_b32 exec_lo, exec_lo, s4
	v_and_b32_e32 v144, 0x7f800000, v153
	s_delay_alu instid0(VALU_DEP_1) | instskip(SKIP_1) | instid1(SALU_CYCLE_1)
	v_cmp_ne_u32_e32 vcc_lo, 0x7f800000, v144
                                        ; implicit-def: $vgpr144
	s_and_saveexec_b32 s4, vcc_lo
	s_xor_b32 s4, exec_lo, s4
; %bb.21:
	v_bfe_u32 v144, v153, 16, 1
	s_delay_alu instid0(VALU_DEP_1)
	v_add3_u32 v144, v153, v144, 0x7fff
                                        ; implicit-def: $vgpr153
; %bb.22:
	s_and_not1_saveexec_b32 s4, s4
; %bb.23:
	v_and_b32_e32 v144, 0xffff, v153
	v_or_b32_e32 v151, 0x10000, v153
	s_delay_alu instid0(VALU_DEP_2) | instskip(NEXT) | instid1(VALU_DEP_2)
	v_cmp_eq_u32_e32 vcc_lo, 0, v144
	v_cndmask_b32_e32 v144, v151, v153, vcc_lo
; %bb.24:
	s_or_b32 exec_lo, exec_lo, s4
	v_and_b32_e32 v151, 0x7f800000, v154
	s_delay_alu instid0(VALU_DEP_1) | instskip(SKIP_1) | instid1(SALU_CYCLE_1)
	v_cmp_ne_u32_e32 vcc_lo, 0x7f800000, v151
                                        ; implicit-def: $vgpr151
	s_and_saveexec_b32 s4, vcc_lo
	s_xor_b32 s4, exec_lo, s4
; %bb.25:
	v_bfe_u32 v151, v154, 16, 1
	s_delay_alu instid0(VALU_DEP_1)
	v_add3_u32 v151, v154, v151, 0x7fff
                                        ; implicit-def: $vgpr154
; %bb.26:
	s_and_not1_saveexec_b32 s4, s4
; %bb.27:
	v_and_b32_e32 v151, 0xffff, v154
	v_or_b32_e32 v153, 0x10000, v154
	s_delay_alu instid0(VALU_DEP_2) | instskip(NEXT) | instid1(VALU_DEP_2)
	v_cmp_eq_u32_e32 vcc_lo, 0, v151
	v_cndmask_b32_e32 v151, v153, v154, vcc_lo
; %bb.28:
	s_or_b32 exec_lo, exec_lo, s4
	v_and_b32_e32 v153, 0x7f800000, v152
	s_delay_alu instid0(VALU_DEP_1) | instskip(SKIP_1) | instid1(SALU_CYCLE_1)
	v_cmp_ne_u32_e32 vcc_lo, 0x7f800000, v153
                                        ; implicit-def: $vgpr153
	s_and_saveexec_b32 s4, vcc_lo
	s_xor_b32 s4, exec_lo, s4
; %bb.29:
	v_bfe_u32 v153, v152, 16, 1
	s_delay_alu instid0(VALU_DEP_1)
	v_add3_u32 v153, v152, v153, 0x7fff
                                        ; implicit-def: $vgpr152
; %bb.30:
	s_and_not1_saveexec_b32 s4, s4
; %bb.31:
	v_and_b32_e32 v153, 0xffff, v152
	v_or_b32_e32 v154, 0x10000, v152
	s_delay_alu instid0(VALU_DEP_2) | instskip(NEXT) | instid1(VALU_DEP_2)
	v_cmp_eq_u32_e32 vcc_lo, 0, v153
	v_cndmask_b32_e32 v153, v154, v152, vcc_lo
; %bb.32:
	s_or_b32 exec_lo, exec_lo, s4
	v_and_b32_e32 v152, 0x7f800000, v150
	s_delay_alu instid0(VALU_DEP_1) | instskip(SKIP_1) | instid1(SALU_CYCLE_1)
	v_cmp_ne_u32_e32 vcc_lo, 0x7f800000, v152
                                        ; implicit-def: $vgpr152
	s_and_saveexec_b32 s4, vcc_lo
	s_xor_b32 s4, exec_lo, s4
; %bb.33:
	v_bfe_u32 v152, v150, 16, 1
	s_delay_alu instid0(VALU_DEP_1)
	v_add3_u32 v152, v150, v152, 0x7fff
                                        ; implicit-def: $vgpr150
; %bb.34:
	s_and_not1_saveexec_b32 s4, s4
; %bb.35:
	v_and_b32_e32 v152, 0xffff, v150
	v_or_b32_e32 v154, 0x10000, v150
	s_delay_alu instid0(VALU_DEP_2) | instskip(NEXT) | instid1(VALU_DEP_2)
	v_cmp_eq_u32_e32 vcc_lo, 0, v152
	v_cndmask_b32_e32 v152, v154, v150, vcc_lo
; %bb.36:
	s_or_b32 exec_lo, exec_lo, s4
	v_and_b32_e32 v150, 0x7f800000, v143
	s_delay_alu instid0(VALU_DEP_1) | instskip(SKIP_1) | instid1(SALU_CYCLE_1)
	v_cmp_ne_u32_e32 vcc_lo, 0x7f800000, v150
                                        ; implicit-def: $vgpr150
	s_and_saveexec_b32 s4, vcc_lo
	s_xor_b32 s4, exec_lo, s4
; %bb.37:
	v_bfe_u32 v150, v143, 16, 1
	s_delay_alu instid0(VALU_DEP_1)
	v_add3_u32 v150, v143, v150, 0x7fff
                                        ; implicit-def: $vgpr143
; %bb.38:
	s_and_not1_saveexec_b32 s4, s4
; %bb.39:
	v_and_b32_e32 v150, 0xffff, v143
	v_or_b32_e32 v154, 0x10000, v143
	s_delay_alu instid0(VALU_DEP_2) | instskip(NEXT) | instid1(VALU_DEP_2)
	v_cmp_eq_u32_e32 vcc_lo, 0, v150
	v_cndmask_b32_e32 v150, v154, v143, vcc_lo
; %bb.40:
	s_or_b32 exec_lo, exec_lo, s4
	v_and_b32_e32 v143, 0x7f800000, v140
	s_delay_alu instid0(VALU_DEP_1) | instskip(SKIP_1) | instid1(SALU_CYCLE_1)
	v_cmp_ne_u32_e32 vcc_lo, 0x7f800000, v143
                                        ; implicit-def: $vgpr143
	s_and_saveexec_b32 s4, vcc_lo
	s_xor_b32 s4, exec_lo, s4
; %bb.41:
	v_bfe_u32 v143, v140, 16, 1
	s_delay_alu instid0(VALU_DEP_1)
	v_add3_u32 v143, v140, v143, 0x7fff
                                        ; implicit-def: $vgpr140
; %bb.42:
	s_and_not1_saveexec_b32 s4, s4
; %bb.43:
	v_and_b32_e32 v143, 0xffff, v140
	v_or_b32_e32 v154, 0x10000, v140
	s_delay_alu instid0(VALU_DEP_2) | instskip(NEXT) | instid1(VALU_DEP_2)
	v_cmp_eq_u32_e32 vcc_lo, 0, v143
	v_cndmask_b32_e32 v143, v154, v140, vcc_lo
; %bb.44:
	s_or_b32 exec_lo, exec_lo, s4
	s_load_b64 s[36:37], s[0:1], 0x94
	v_dual_mul_f32 v136, v139, v136 :: v_dual_lshlrev_b32 v155, 4, v146
	s_delay_alu instid0(VALU_DEP_2)
	v_perm_b32 v154, v143, v150, 0x7060302
	v_dual_mul_f32 v143, v139, v131 :: v_dual_lshlrev_b32 v140, 6, v148
	v_dual_mul_f32 v135, v139, v135 :: v_dual_lshlrev_b32 v150, 11, v149
	v_perm_b32 v153, v152, v153, 0x7060302
	v_perm_b32 v152, v151, v144, 0x7060302
	;; [unrolled: 1-line block ×3, first 2 shown]
	s_delay_alu instid0(VALU_DEP_4)
	v_or3_b32 v131, v155, v150, v140
	v_mul_f32_e32 v138, v139, v138
	v_dual_mul_f32 v137, v139, v137 :: v_dual_and_b32 v144, 0x7f800000, v143
	v_mul_f32_e32 v141, v139, v134
	v_mul_f32_e32 v142, v139, v133
	v_mul_f32_e32 v134, v139, v132
	s_mov_b32 s4, exec_lo
	ds_store_b128 v131, v[151:154]
                                        ; implicit-def: $vgpr132
	v_cmpx_ne_u32_e32 0x7f800000, v144
	s_xor_b32 s4, exec_lo, s4
; %bb.45:
	v_bfe_u32 v132, v143, 16, 1
	s_delay_alu instid0(VALU_DEP_1)
	v_add3_u32 v132, v143, v132, 0x7fff
                                        ; implicit-def: $vgpr143
; %bb.46:
	s_and_not1_saveexec_b32 s4, s4
; %bb.47:
	v_and_b32_e32 v132, 0xffff, v143
	v_or_b32_e32 v133, 0x10000, v143
	s_delay_alu instid0(VALU_DEP_2) | instskip(NEXT) | instid1(VALU_DEP_2)
	v_cmp_eq_u32_e32 vcc_lo, 0, v132
	v_cndmask_b32_e32 v132, v133, v143, vcc_lo
; %bb.48:
	s_or_b32 exec_lo, exec_lo, s4
	v_and_b32_e32 v133, 0x7f800000, v134
	s_delay_alu instid0(VALU_DEP_1) | instskip(SKIP_1) | instid1(SALU_CYCLE_1)
	v_cmp_ne_u32_e32 vcc_lo, 0x7f800000, v133
                                        ; implicit-def: $vgpr133
	s_and_saveexec_b32 s4, vcc_lo
	s_xor_b32 s4, exec_lo, s4
; %bb.49:
	v_bfe_u32 v133, v134, 16, 1
	s_delay_alu instid0(VALU_DEP_1)
	v_add3_u32 v133, v134, v133, 0x7fff
                                        ; implicit-def: $vgpr134
; %bb.50:
	s_and_not1_saveexec_b32 s4, s4
; %bb.51:
	v_and_b32_e32 v133, 0xffff, v134
	v_or_b32_e32 v139, 0x10000, v134
	s_delay_alu instid0(VALU_DEP_2) | instskip(NEXT) | instid1(VALU_DEP_2)
	v_cmp_eq_u32_e32 vcc_lo, 0, v133
	v_cndmask_b32_e32 v133, v139, v134, vcc_lo
; %bb.52:
	s_or_b32 exec_lo, exec_lo, s4
	v_and_b32_e32 v134, 0x7f800000, v142
	s_delay_alu instid0(VALU_DEP_1) | instskip(SKIP_1) | instid1(SALU_CYCLE_1)
	v_cmp_ne_u32_e32 vcc_lo, 0x7f800000, v134
                                        ; implicit-def: $vgpr134
	s_and_saveexec_b32 s4, vcc_lo
	s_xor_b32 s4, exec_lo, s4
; %bb.53:
	v_bfe_u32 v134, v142, 16, 1
	s_delay_alu instid0(VALU_DEP_1)
	v_add3_u32 v134, v142, v134, 0x7fff
                                        ; implicit-def: $vgpr142
; %bb.54:
	s_and_not1_saveexec_b32 s4, s4
; %bb.55:
	v_and_b32_e32 v134, 0xffff, v142
	v_or_b32_e32 v139, 0x10000, v142
	s_delay_alu instid0(VALU_DEP_2) | instskip(NEXT) | instid1(VALU_DEP_2)
	v_cmp_eq_u32_e32 vcc_lo, 0, v134
	v_cndmask_b32_e32 v134, v139, v142, vcc_lo
; %bb.56:
	s_or_b32 exec_lo, exec_lo, s4
	v_and_b32_e32 v139, 0x7f800000, v141
	s_delay_alu instid0(VALU_DEP_1) | instskip(SKIP_1) | instid1(SALU_CYCLE_1)
	v_cmp_ne_u32_e32 vcc_lo, 0x7f800000, v139
                                        ; implicit-def: $vgpr139
	s_and_saveexec_b32 s4, vcc_lo
	s_xor_b32 s4, exec_lo, s4
; %bb.57:
	v_bfe_u32 v139, v141, 16, 1
	s_delay_alu instid0(VALU_DEP_1)
	v_add3_u32 v139, v141, v139, 0x7fff
                                        ; implicit-def: $vgpr141
; %bb.58:
	s_and_not1_saveexec_b32 s4, s4
; %bb.59:
	v_and_b32_e32 v139, 0xffff, v141
	v_or_b32_e32 v142, 0x10000, v141
	s_delay_alu instid0(VALU_DEP_2) | instskip(NEXT) | instid1(VALU_DEP_2)
	v_cmp_eq_u32_e32 vcc_lo, 0, v139
	v_cndmask_b32_e32 v139, v142, v141, vcc_lo
; %bb.60:
	s_or_b32 exec_lo, exec_lo, s4
	v_and_b32_e32 v141, 0x7f800000, v135
	s_delay_alu instid0(VALU_DEP_1) | instskip(SKIP_1) | instid1(SALU_CYCLE_1)
	v_cmp_ne_u32_e32 vcc_lo, 0x7f800000, v141
                                        ; implicit-def: $vgpr141
	s_and_saveexec_b32 s4, vcc_lo
	s_xor_b32 s4, exec_lo, s4
; %bb.61:
	v_bfe_u32 v141, v135, 16, 1
	s_delay_alu instid0(VALU_DEP_1)
	v_add3_u32 v141, v135, v141, 0x7fff
                                        ; implicit-def: $vgpr135
; %bb.62:
	s_and_not1_saveexec_b32 s4, s4
; %bb.63:
	v_and_b32_e32 v141, 0xffff, v135
	v_or_b32_e32 v142, 0x10000, v135
	s_delay_alu instid0(VALU_DEP_2) | instskip(NEXT) | instid1(VALU_DEP_2)
	v_cmp_eq_u32_e32 vcc_lo, 0, v141
	v_cndmask_b32_e32 v141, v142, v135, vcc_lo
; %bb.64:
	s_or_b32 exec_lo, exec_lo, s4
	v_and_b32_e32 v135, 0x7f800000, v136
	s_delay_alu instid0(VALU_DEP_1) | instskip(SKIP_1) | instid1(SALU_CYCLE_1)
	v_cmp_ne_u32_e32 vcc_lo, 0x7f800000, v135
                                        ; implicit-def: $vgpr135
	s_and_saveexec_b32 s4, vcc_lo
	s_xor_b32 s4, exec_lo, s4
; %bb.65:
	v_bfe_u32 v135, v136, 16, 1
	s_delay_alu instid0(VALU_DEP_1)
	v_add3_u32 v135, v136, v135, 0x7fff
                                        ; implicit-def: $vgpr136
; %bb.66:
	s_and_not1_saveexec_b32 s4, s4
; %bb.67:
	v_and_b32_e32 v135, 0xffff, v136
	v_or_b32_e32 v142, 0x10000, v136
	s_delay_alu instid0(VALU_DEP_2) | instskip(NEXT) | instid1(VALU_DEP_2)
	v_cmp_eq_u32_e32 vcc_lo, 0, v135
	v_cndmask_b32_e32 v135, v142, v136, vcc_lo
; %bb.68:
	s_or_b32 exec_lo, exec_lo, s4
	v_and_b32_e32 v136, 0x7f800000, v137
	s_delay_alu instid0(VALU_DEP_1) | instskip(SKIP_1) | instid1(SALU_CYCLE_1)
	v_cmp_ne_u32_e32 vcc_lo, 0x7f800000, v136
                                        ; implicit-def: $vgpr136
	s_and_saveexec_b32 s4, vcc_lo
	s_xor_b32 s4, exec_lo, s4
; %bb.69:
	v_bfe_u32 v136, v137, 16, 1
	s_delay_alu instid0(VALU_DEP_1)
	v_add3_u32 v136, v137, v136, 0x7fff
                                        ; implicit-def: $vgpr137
; %bb.70:
	s_and_not1_saveexec_b32 s4, s4
; %bb.71:
	v_and_b32_e32 v136, 0xffff, v137
	v_or_b32_e32 v142, 0x10000, v137
	s_delay_alu instid0(VALU_DEP_2) | instskip(NEXT) | instid1(VALU_DEP_2)
	v_cmp_eq_u32_e32 vcc_lo, 0, v136
	v_cndmask_b32_e32 v136, v142, v137, vcc_lo
; %bb.72:
	s_or_b32 exec_lo, exec_lo, s4
	v_and_b32_e32 v137, 0x7f800000, v138
	s_delay_alu instid0(VALU_DEP_1) | instskip(SKIP_1) | instid1(SALU_CYCLE_1)
	v_cmp_ne_u32_e32 vcc_lo, 0x7f800000, v137
                                        ; implicit-def: $vgpr137
	s_and_saveexec_b32 s4, vcc_lo
	s_xor_b32 s4, exec_lo, s4
; %bb.73:
	v_bfe_u32 v137, v138, 16, 1
	s_delay_alu instid0(VALU_DEP_1)
	v_add3_u32 v137, v138, v137, 0x7fff
                                        ; implicit-def: $vgpr138
; %bb.74:
	s_and_not1_saveexec_b32 s4, s4
; %bb.75:
	v_and_b32_e32 v137, 0xffff, v138
	v_or_b32_e32 v142, 0x10000, v138
	s_delay_alu instid0(VALU_DEP_2) | instskip(NEXT) | instid1(VALU_DEP_2)
	v_cmp_eq_u32_e32 vcc_lo, 0, v137
	v_cndmask_b32_e32 v137, v142, v138, vcc_lo
; %bb.76:
	s_or_b32 exec_lo, exec_lo, s4
	s_delay_alu instid0(VALU_DEP_1)
	v_perm_b32 v136, v137, v136, 0x7060302
	v_perm_b32 v135, v135, v141, 0x7060302
	;; [unrolled: 1-line block ×4, first 2 shown]
	v_lshl_or_b32 v141, v149, 11, v140
	ds_store_b128 v131, v[133:136] offset:1024
	s_waitcnt lgkmcnt(0)
	s_barrier
	buffer_gl0_inv
	ds_load_b128 v[132:135], v141
	ds_load_b128 v[149:152], v141 offset:16
	s_waitcnt lgkmcnt(1)
	v_lshrrev_b32_e32 v136, 16, v132
	s_waitcnt lgkmcnt(0)
	v_lshrrev_b32_e32 v164, 16, v151
	v_lshlrev_b32_e32 v138, 2, v146
	v_lshrrev_b32_e32 v143, 16, v149
	v_lshrrev_b32_e32 v162, 16, v150
	;; [unrolled: 1-line block ×4, first 2 shown]
	v_or_b32_e32 v139, 1, v138
	v_lshrrev_b32_e32 v165, 16, v152
	v_lshrrev_b32_e32 v163, 16, v135
	s_delay_alu instid0(VALU_DEP_3)
	v_cmp_eq_u32_e64 s8, 1, v139
	v_cmp_eq_u32_e64 s7, 2, v139
	;; [unrolled: 1-line block ×4, first 2 shown]
	v_cmp_eq_u32_e32 vcc_lo, 5, v139
	v_cndmask_b32_e64 v155, v149, v143, s8
	v_cndmask_b32_e64 v154, v132, v136, s8
	v_cmp_eq_u32_e64 s5, 6, v139
	v_cmp_eq_u32_e64 s20, 7, v139
	s_delay_alu instid0(VALU_DEP_4) | instskip(NEXT) | instid1(VALU_DEP_4)
	v_cndmask_b32_e64 v155, v155, v150, s7
	v_cndmask_b32_e64 v154, v154, v133, s7
	s_delay_alu instid0(VALU_DEP_2) | instskip(NEXT) | instid1(VALU_DEP_2)
	v_cndmask_b32_e64 v155, v155, v162, s6
	v_cndmask_b32_e64 v154, v154, v144, s6
	s_delay_alu instid0(VALU_DEP_2) | instskip(NEXT) | instid1(VALU_DEP_2)
	v_cndmask_b32_e64 v155, v155, v151, s4
	v_cndmask_b32_e64 v154, v154, v134, s4
	s_delay_alu instid0(VALU_DEP_2)
	v_cndmask_b32_e32 v157, v155, v164, vcc_lo
	v_cmp_eq_u32_e64 s13, 1, v138
	v_cmp_eq_u32_e64 s12, 2, v138
	;; [unrolled: 1-line block ×3, first 2 shown]
	v_or_b32_e32 v137, 2, v138
	v_cmp_eq_u32_e64 s18, 4, v138
	v_cndmask_b32_e64 v153, v149, v143, s13
	v_cndmask_b32_e64 v142, v132, v136, s13
	v_cmp_eq_u32_e64 s15, 5, v138
	v_cmp_eq_u32_e64 s9, 1, v137
	;; [unrolled: 1-line block ×3, first 2 shown]
	v_cndmask_b32_e64 v153, v153, v150, s12
	v_cndmask_b32_e64 v142, v142, v133, s12
	v_cmp_eq_u32_e64 s11, 2, v137
	v_cndmask_b32_e64 v156, v132, v136, s9
	v_cndmask_b32_e32 v154, v154, v161, vcc_lo
	v_cndmask_b32_e64 v153, v153, v162, s17
	v_cndmask_b32_e64 v142, v142, v144, s17
	v_cmp_eq_u32_e64 s10, 7, v138
	v_cndmask_b32_e64 v156, v156, v133, s11
	v_cmp_eq_u32_e64 s19, 3, v137
	v_cndmask_b32_e64 v153, v153, v151, s18
	v_cndmask_b32_e64 v142, v142, v134, s18
	;; [unrolled: 1-line block ×3, first 2 shown]
	v_cmp_eq_u32_e64 s21, 4, v137
	v_cndmask_b32_e64 v156, v156, v144, s19
	v_cndmask_b32_e64 v153, v153, v164, s15
	;; [unrolled: 1-line block ×4, first 2 shown]
	v_cmp_eq_u32_e64 s23, 5, v137
	v_cndmask_b32_e64 v159, v156, v134, s21
	v_cndmask_b32_e64 v153, v153, v152, s16
	v_cndmask_b32_e64 v142, v142, v135, s16
	v_cmp_eq_u32_e64 s26, 6, v137
	v_cmp_eq_u32_e64 s28, 7, v137
	v_cndmask_b32_e64 v169, v159, v161, s23
	v_cndmask_b32_e64 v167, v153, v165, s10
	;; [unrolled: 1-line block ×4, first 2 shown]
	v_or_b32_e32 v142, 3, v138
	s_delay_alu instid0(VALU_DEP_3)
	v_cndmask_b32_e64 v158, v153, v150, s11
	ds_load_b128 v[153:156], v141 offset:1024
	v_cmp_eq_u32_e64 s22, 1, v142
	v_cmp_eq_u32_e64 s24, 2, v142
	;; [unrolled: 1-line block ×3, first 2 shown]
	v_cndmask_b32_e64 v158, v158, v162, s19
	v_cmp_eq_u32_e64 s27, 4, v142
	v_cndmask_b32_e64 v132, v132, v136, s22
	v_cndmask_b32_e64 v136, v157, v152, s5
	;; [unrolled: 1-line block ×4, first 2 shown]
	ds_load_b128 v[157:160], v141 offset:1040
	v_cndmask_b32_e64 v132, v132, v133, s24
	v_cmp_eq_u32_e64 s29, 5, v142
	v_cndmask_b32_e64 v143, v143, v150, s24
	v_cmp_eq_u32_e64 s30, 6, v142
	v_cndmask_b32_e64 v133, v170, v164, s23
	v_cndmask_b32_e64 v132, v132, v144, s25
	;; [unrolled: 1-line block ×5, first 2 shown]
	s_waitcnt lgkmcnt(1)
	v_lshrrev_b32_e32 v149, 16, v153
	v_cndmask_b32_e64 v132, v132, v134, s27
	v_cndmask_b32_e64 v133, v133, v152, s26
	v_cndmask_b32_e64 v134, v143, v151, s27
	v_lshrrev_b32_e32 v151, 16, v154
	v_cndmask_b32_e64 v143, v153, v149, s13
	v_cndmask_b32_e64 v132, v132, v161, s29
	;; [unrolled: 1-line block ×5, first 2 shown]
	s_waitcnt lgkmcnt(0)
	v_lshrrev_b32_e32 v150, 16, v157
	v_cndmask_b32_e64 v143, v143, v154, s12
	v_cndmask_b32_e64 v132, v132, v135, s30
	;; [unrolled: 1-line block ×3, first 2 shown]
	v_lshrrev_b32_e32 v164, 16, v159
	v_cndmask_b32_e64 v162, v157, v150, s13
	v_cndmask_b32_e64 v135, v143, v151, s17
	;; [unrolled: 1-line block ×3, first 2 shown]
	v_lshrrev_b32_e32 v161, 16, v158
	v_cndmask_b32_e64 v133, v133, v165, s28
	v_cndmask_b32_e64 v152, v162, v158, s12
	v_cmp_eq_u32_e64 s12, 7, v142
	v_cndmask_b32_e64 v143, v143, v151, s6
	v_cndmask_b32_e64 v135, v135, v155, s18
	v_lshrrev_b32_e32 v162, 16, v155
	v_cndmask_b32_e64 v152, v152, v161, s17
	v_cndmask_b32_e64 v132, v132, v163, s12
	;; [unrolled: 1-line block ×6, first 2 shown]
	s_delay_alu instid0(VALU_DEP_4) | instskip(NEXT) | instid1(VALU_DEP_4)
	v_perm_b32 v135, v134, v132, 0x5040100
	v_cndmask_b32_e32 v132, v143, v162, vcc_lo
	s_delay_alu instid0(VALU_DEP_4)
	v_cndmask_b32_e64 v143, v163, v156, s16
	v_lshrrev_b32_e32 v163, 16, v156
	v_cndmask_b32_e64 v152, v152, v164, s15
	v_perm_b32 v134, v133, v144, 0x5040100
	v_cndmask_b32_e64 v132, v132, v156, s5
	v_perm_b32 v133, v136, v168, 0x5040100
	v_cndmask_b32_e64 v136, v143, v163, s10
	v_cndmask_b32_e64 v143, v152, v160, s16
	;; [unrolled: 1-line block ×13, first 2 shown]
	v_lshrrev_b32_e32 v144, 16, v160
	v_cndmask_b32_e64 v132, v132, v151, s19
	v_cndmask_b32_e64 v149, v149, v151, s25
	v_cndmask_b32_e64 v151, v152, v161, s25
	v_cndmask_b32_e64 v152, v153, v161, s19
	v_cndmask_b32_e64 v150, v150, v161, s6
	v_cndmask_b32_e64 v132, v132, v155, s21
	v_cndmask_b32_e64 v149, v149, v155, s27
	v_cndmask_b32_e64 v151, v151, v159, s27
	v_cndmask_b32_e64 v152, v152, v159, s21
	v_cndmask_b32_e64 v150, v150, v159, s4
	v_cndmask_b32_e64 v132, v132, v162, s23
	v_cndmask_b32_e64 v149, v149, v162, s29
	v_cndmask_b32_e64 v151, v151, v164, s29
	v_cndmask_b32_e64 v152, v152, v164, s23
	v_cndmask_b32_e32 v150, v150, v164, vcc_lo
	v_cndmask_b32_e64 v132, v132, v156, s26
	v_cndmask_b32_e64 v149, v149, v156, s30
	;; [unrolled: 1-line block ×11, first 2 shown]
	v_perm_b32 v132, v167, v166, 0x5040100
	v_perm_b32 v152, v151, v149, 0x5040100
	;; [unrolled: 1-line block ×5, first 2 shown]
	s_mul_i32 s9, s37, 13
	s_mov_b32 s4, exec_lo
	ds_store_b128 v131, v[132:135]
	ds_store_b128 v131, v[149:152] offset:1024
	v_cmpx_gt_u32_e32 13, v0
	s_cbranch_execz .LBB454_78
; %bb.77:
	s_mul_i32 s5, s9, s34
	s_load_b128 s[16:19], s[0:1], 0x58
	v_add3_u32 v133, s5, s31, v148
	s_delay_alu instid0(VALU_DEP_1) | instskip(NEXT) | instid1(VALU_DEP_1)
	v_mad_u64_u32 v[131:132], null, v133, s36, s[14:15]
	v_ashrrev_i32_e32 v132, 31, v131
	s_delay_alu instid0(VALU_DEP_1) | instskip(SKIP_1) | instid1(VALU_DEP_1)
	v_lshlrev_b64 v[131:132], 2, v[131:132]
	s_waitcnt lgkmcnt(0)
	v_add_co_u32 v133, vcc_lo, s18, v131
	s_delay_alu instid0(VALU_DEP_2)
	v_add_co_ci_u32_e32 v134, vcc_lo, s19, v132, vcc_lo
	v_add_co_u32 v131, vcc_lo, s16, v131
	v_add_co_ci_u32_e32 v132, vcc_lo, s17, v132, vcc_lo
	global_store_b32 v[133:134], v129, off
	global_store_b32 v[131:132], v130, off
.LBB454_78:
	s_or_b32 exec_lo, exec_lo, s4
	s_waitcnt lgkmcnt(0)
	s_waitcnt_vscnt null, 0x0
	s_barrier
	buffer_gl0_inv
	ds_load_b128 v[148:151], v140
	ds_load_b128 v[152:155], v140 offset:16
	ds_load_b128 v[160:163], v140 offset:1040
	;; [unrolled: 1-line block ×3, first 2 shown]
	v_mov_b32_e32 v129, 0
	ds_load_b128 v[168:171], v140 offset:2064
	ds_load_b128 v[164:167], v140 offset:2048
	;; [unrolled: 1-line block ×6, first 2 shown]
	v_mov_b32_e32 v130, v129
	v_mov_b32_e32 v131, v129
	;; [unrolled: 1-line block ×7, first 2 shown]
	s_waitcnt lgkmcnt(8)
	s_delay_alu instid0(VALU_DEP_1)
	v_wmma_f32_16x16x16_bf16 v[129:136], v[121:128], v[148:155], v[129:136]
	ds_load_b128 v[125:128], v140 offset:5136
	ds_load_b128 v[121:124], v140 offset:5120
	s_waitcnt lgkmcnt(8)
	v_wmma_f32_16x16x16_bf16 v[129:136], v[113:120], v[156:163], v[129:136]
	ds_load_b128 v[117:120], v140 offset:6160
	ds_load_b128 v[113:116], v140 offset:6144
	s_waitcnt lgkmcnt(8)
	;; [unrolled: 4-line block ×8, first 2 shown]
	v_wmma_f32_16x16x16_bf16 v[129:136], v[65:72], v[97:104], v[129:136]
	s_waitcnt lgkmcnt(6)
	s_delay_alu instid0(VALU_DEP_1)
	v_wmma_f32_16x16x16_bf16 v[129:136], v[49:56], v[89:96], v[129:136]
	ds_load_b128 v[53:56], v140 offset:13328
	ds_load_b128 v[49:52], v140 offset:13312
	s_waitcnt lgkmcnt(6)
	v_wmma_f32_16x16x16_bf16 v[129:136], v[41:48], v[81:88], v[129:136]
	ds_load_b128 v[45:48], v140 offset:14352
	ds_load_b128 v[41:44], v140 offset:14336
	s_waitcnt lgkmcnt(6)
	;; [unrolled: 4-line block ×3, first 2 shown]
	v_wmma_f32_16x16x16_bf16 v[129:136], v[1:8], v[57:64], v[129:136]
	s_waitcnt lgkmcnt(4)
	s_delay_alu instid0(VALU_DEP_1) | instskip(SKIP_1) | instid1(VALU_DEP_1)
	v_wmma_f32_16x16x16_bf16 v[129:136], v[25:32], v[49:56], v[129:136]
	s_waitcnt lgkmcnt(2)
	v_wmma_f32_16x16x16_bf16 v[129:136], v[33:40], v[41:48], v[129:136]
	s_waitcnt lgkmcnt(0)
	s_delay_alu instid0(VALU_DEP_1) | instskip(NEXT) | instid1(VALU_DEP_1)
	v_wmma_f32_16x16x16_bf16 v[129:136], v[9:16], v[17:24], v[129:136]
	v_and_b32_e32 v1, 0x7f800000, v129
	s_delay_alu instid0(VALU_DEP_1) | instskip(SKIP_1) | instid1(SALU_CYCLE_1)
	v_cmp_ne_u32_e32 vcc_lo, 0x7f800000, v1
                                        ; implicit-def: $vgpr1
	s_and_saveexec_b32 s4, vcc_lo
	s_xor_b32 s4, exec_lo, s4
; %bb.79:
	v_bfe_u32 v1, v129, 16, 1
	s_delay_alu instid0(VALU_DEP_1)
	v_add3_u32 v1, v129, v1, 0x7fff
; %bb.80:
	s_and_not1_saveexec_b32 s4, s4
; %bb.81:
	v_and_b32_e32 v1, 0xffff, v129
	v_or_b32_e32 v2, 0x10000, v129
	s_delay_alu instid0(VALU_DEP_2) | instskip(NEXT) | instid1(VALU_DEP_2)
	v_cmp_eq_u32_e32 vcc_lo, 0, v1
	v_cndmask_b32_e32 v1, v2, v129, vcc_lo
; %bb.82:
	s_or_b32 exec_lo, exec_lo, s4
	v_and_b32_e32 v2, 0x7f800000, v130
	s_delay_alu instid0(VALU_DEP_1) | instskip(SKIP_1) | instid1(SALU_CYCLE_1)
	v_cmp_ne_u32_e32 vcc_lo, 0x7f800000, v2
                                        ; implicit-def: $vgpr2
	s_and_saveexec_b32 s4, vcc_lo
	s_xor_b32 s4, exec_lo, s4
; %bb.83:
	v_bfe_u32 v2, v130, 16, 1
	s_delay_alu instid0(VALU_DEP_1)
	v_add3_u32 v2, v130, v2, 0x7fff
; %bb.84:
	s_and_not1_saveexec_b32 s4, s4
; %bb.85:
	v_and_b32_e32 v2, 0xffff, v130
	v_or_b32_e32 v3, 0x10000, v130
	s_delay_alu instid0(VALU_DEP_2) | instskip(NEXT) | instid1(VALU_DEP_2)
	v_cmp_eq_u32_e32 vcc_lo, 0, v2
	v_cndmask_b32_e32 v2, v3, v130, vcc_lo
; %bb.86:
	s_or_b32 exec_lo, exec_lo, s4
	v_and_b32_e32 v3, 0x7f800000, v131
	s_delay_alu instid0(VALU_DEP_1) | instskip(SKIP_1) | instid1(SALU_CYCLE_1)
	v_cmp_ne_u32_e32 vcc_lo, 0x7f800000, v3
                                        ; implicit-def: $vgpr3
	s_and_saveexec_b32 s4, vcc_lo
	s_xor_b32 s4, exec_lo, s4
; %bb.87:
	v_bfe_u32 v3, v131, 16, 1
	s_delay_alu instid0(VALU_DEP_1)
	v_add3_u32 v3, v131, v3, 0x7fff
; %bb.88:
	s_and_not1_saveexec_b32 s4, s4
; %bb.89:
	v_and_b32_e32 v3, 0xffff, v131
	v_or_b32_e32 v4, 0x10000, v131
	s_delay_alu instid0(VALU_DEP_2) | instskip(NEXT) | instid1(VALU_DEP_2)
	v_cmp_eq_u32_e32 vcc_lo, 0, v3
	v_cndmask_b32_e32 v3, v4, v131, vcc_lo
; %bb.90:
	s_or_b32 exec_lo, exec_lo, s4
	v_and_b32_e32 v4, 0x7f800000, v132
	s_delay_alu instid0(VALU_DEP_1) | instskip(SKIP_1) | instid1(SALU_CYCLE_1)
	v_cmp_ne_u32_e32 vcc_lo, 0x7f800000, v4
                                        ; implicit-def: $vgpr4
	s_and_saveexec_b32 s4, vcc_lo
	s_xor_b32 s4, exec_lo, s4
; %bb.91:
	v_bfe_u32 v4, v132, 16, 1
	s_delay_alu instid0(VALU_DEP_1)
	v_add3_u32 v4, v132, v4, 0x7fff
; %bb.92:
	s_and_not1_saveexec_b32 s4, s4
; %bb.93:
	v_and_b32_e32 v4, 0xffff, v132
	v_or_b32_e32 v5, 0x10000, v132
	s_delay_alu instid0(VALU_DEP_2) | instskip(NEXT) | instid1(VALU_DEP_2)
	v_cmp_eq_u32_e32 vcc_lo, 0, v4
	v_cndmask_b32_e32 v4, v5, v132, vcc_lo
; %bb.94:
	s_or_b32 exec_lo, exec_lo, s4
	v_and_b32_e32 v5, 0x7f800000, v133
	s_delay_alu instid0(VALU_DEP_1) | instskip(SKIP_1) | instid1(SALU_CYCLE_1)
	v_cmp_ne_u32_e32 vcc_lo, 0x7f800000, v5
                                        ; implicit-def: $vgpr5
	s_and_saveexec_b32 s4, vcc_lo
	s_xor_b32 s4, exec_lo, s4
; %bb.95:
	v_bfe_u32 v5, v133, 16, 1
	s_delay_alu instid0(VALU_DEP_1)
	v_add3_u32 v5, v133, v5, 0x7fff
; %bb.96:
	s_and_not1_saveexec_b32 s4, s4
; %bb.97:
	v_and_b32_e32 v5, 0xffff, v133
	v_or_b32_e32 v6, 0x10000, v133
	s_delay_alu instid0(VALU_DEP_2) | instskip(NEXT) | instid1(VALU_DEP_2)
	v_cmp_eq_u32_e32 vcc_lo, 0, v5
	v_cndmask_b32_e32 v5, v6, v133, vcc_lo
; %bb.98:
	s_or_b32 exec_lo, exec_lo, s4
	v_and_b32_e32 v6, 0x7f800000, v134
	s_delay_alu instid0(VALU_DEP_1) | instskip(SKIP_1) | instid1(SALU_CYCLE_1)
	v_cmp_ne_u32_e32 vcc_lo, 0x7f800000, v6
                                        ; implicit-def: $vgpr6
	s_and_saveexec_b32 s4, vcc_lo
	s_xor_b32 s4, exec_lo, s4
; %bb.99:
	v_bfe_u32 v6, v134, 16, 1
	s_delay_alu instid0(VALU_DEP_1)
	v_add3_u32 v6, v134, v6, 0x7fff
; %bb.100:
	s_and_not1_saveexec_b32 s4, s4
; %bb.101:
	v_and_b32_e32 v6, 0xffff, v134
	v_or_b32_e32 v7, 0x10000, v134
	s_delay_alu instid0(VALU_DEP_2) | instskip(NEXT) | instid1(VALU_DEP_2)
	v_cmp_eq_u32_e32 vcc_lo, 0, v6
	v_cndmask_b32_e32 v6, v7, v134, vcc_lo
; %bb.102:
	s_or_b32 exec_lo, exec_lo, s4
	v_and_b32_e32 v7, 0x7f800000, v135
	s_delay_alu instid0(VALU_DEP_1) | instskip(SKIP_1) | instid1(SALU_CYCLE_1)
	v_cmp_ne_u32_e32 vcc_lo, 0x7f800000, v7
                                        ; implicit-def: $vgpr7
	s_and_saveexec_b32 s4, vcc_lo
	s_xor_b32 s4, exec_lo, s4
; %bb.103:
	v_bfe_u32 v7, v135, 16, 1
	s_delay_alu instid0(VALU_DEP_1)
	v_add3_u32 v7, v135, v7, 0x7fff
; %bb.104:
	s_and_not1_saveexec_b32 s4, s4
; %bb.105:
	v_and_b32_e32 v7, 0xffff, v135
	v_or_b32_e32 v8, 0x10000, v135
	s_delay_alu instid0(VALU_DEP_2) | instskip(NEXT) | instid1(VALU_DEP_2)
	v_cmp_eq_u32_e32 vcc_lo, 0, v7
	v_cndmask_b32_e32 v7, v8, v135, vcc_lo
; %bb.106:
	s_or_b32 exec_lo, exec_lo, s4
	v_and_b32_e32 v8, 0x7f800000, v136
	s_delay_alu instid0(VALU_DEP_1) | instskip(SKIP_1) | instid1(SALU_CYCLE_1)
	v_cmp_ne_u32_e32 vcc_lo, 0x7f800000, v8
                                        ; implicit-def: $vgpr8
	s_and_saveexec_b32 s4, vcc_lo
	s_xor_b32 s4, exec_lo, s4
; %bb.107:
	v_bfe_u32 v8, v136, 16, 1
	s_delay_alu instid0(VALU_DEP_1)
	v_add3_u32 v8, v136, v8, 0x7fff
                                        ; implicit-def: $vgpr129_vgpr130_vgpr131_vgpr132_vgpr133_vgpr134_vgpr135_vgpr136
; %bb.108:
	s_and_not1_saveexec_b32 s4, s4
; %bb.109:
	v_and_b32_e32 v8, 0xffff, v136
	v_or_b32_e32 v9, 0x10000, v136
	s_delay_alu instid0(VALU_DEP_2) | instskip(NEXT) | instid1(VALU_DEP_2)
	v_cmp_eq_u32_e32 vcc_lo, 0, v8
	v_cndmask_b32_e32 v8, v9, v136, vcc_lo
; %bb.110:
	s_or_b32 exec_lo, exec_lo, s4
	s_delay_alu instid0(VALU_DEP_1)
	v_perm_b32 v7, v8, v7, 0x7060302
	v_perm_b32 v6, v6, v5, 0x7060302
	;; [unrolled: 1-line block ×4, first 2 shown]
	v_lshl_or_b32 v9, v146, 4, v141
	s_barrier
	buffer_gl0_inv
	v_cmp_eq_u32_e32 vcc_lo, 1, v138
	ds_store_b128 v9, v[4:7]
	s_waitcnt lgkmcnt(0)
	s_barrier
	buffer_gl0_inv
	ds_load_b128 v[1:4], v141
	ds_load_b128 v[5:8], v141 offset:16
	v_cmp_eq_u32_e64 s5, 2, v138
	v_cmp_eq_u32_e64 s4, 1, v139
	;; [unrolled: 1-line block ×5, first 2 shown]
	s_waitcnt lgkmcnt(1)
	v_lshrrev_b32_e32 v10, 16, v1
	s_waitcnt lgkmcnt(0)
	v_lshrrev_b32_e32 v14, 16, v5
	v_lshrrev_b32_e32 v15, 16, v6
	;; [unrolled: 1-line block ×4, first 2 shown]
	v_cndmask_b32_e64 v20, v1, v10, s4
	v_cndmask_b32_e32 v19, v5, v14, vcc_lo
	v_cndmask_b32_e64 v21, v5, v14, s4
	v_lshrrev_b32_e32 v16, 16, v7
	v_cmp_eq_u32_e64 s4, 1, v137
	v_lshrrev_b32_e32 v13, 16, v4
	v_cndmask_b32_e64 v19, v19, v6, s5
	v_lshrrev_b32_e32 v17, 16, v8
	s_delay_alu instid0(VALU_DEP_4) | instskip(SKIP_1) | instid1(VALU_DEP_4)
	v_cndmask_b32_e64 v22, v1, v10, s4
	v_cndmask_b32_e64 v23, v5, v14, s4
	v_cndmask_b32_e64 v19, v19, v15, s6
	v_cndmask_b32_e32 v18, v1, v10, vcc_lo
	v_cmp_eq_u32_e32 vcc_lo, 2, v139
	v_cmp_eq_u32_e64 s4, 2, v142
	v_cndmask_b32_e64 v22, v22, v2, s8
	v_cndmask_b32_e32 v20, v20, v2, vcc_lo
	v_cndmask_b32_e32 v21, v21, v6, vcc_lo
	v_cmp_eq_u32_e32 vcc_lo, 4, v138
	v_cndmask_b32_e32 v19, v19, v7, vcc_lo
	v_cndmask_b32_e64 v18, v18, v2, s5
	v_cmp_eq_u32_e64 s5, 3, v139
	s_delay_alu instid0(VALU_DEP_2) | instskip(NEXT) | instid1(VALU_DEP_2)
	v_cndmask_b32_e64 v18, v18, v11, s6
	v_cndmask_b32_e64 v21, v21, v15, s5
	v_cmp_eq_u32_e64 s6, 5, v138
	s_delay_alu instid0(VALU_DEP_3) | instskip(SKIP_1) | instid1(VALU_DEP_3)
	v_cndmask_b32_e32 v18, v18, v3, vcc_lo
	v_cmp_eq_u32_e32 vcc_lo, 4, v139
	v_cndmask_b32_e64 v19, v19, v16, s6
	s_delay_alu instid0(VALU_DEP_3) | instskip(SKIP_4) | instid1(VALU_DEP_3)
	v_cndmask_b32_e64 v18, v18, v12, s6
	v_cndmask_b32_e32 v21, v21, v7, vcc_lo
	v_cndmask_b32_e64 v20, v20, v11, s5
	v_cmp_eq_u32_e64 s5, 5, v139
	v_cmp_eq_u32_e64 s6, 6, v138
	v_cndmask_b32_e32 v20, v20, v3, vcc_lo
	s_delay_alu instid0(VALU_DEP_3) | instskip(SKIP_1) | instid1(VALU_DEP_4)
	v_cndmask_b32_e64 v21, v21, v16, s5
	v_cmp_eq_u32_e32 vcc_lo, 6, v139
	v_cndmask_b32_e64 v18, v18, v4, s6
	v_cndmask_b32_e64 v19, v19, v8, s6
	;; [unrolled: 1-line block ×3, first 2 shown]
	v_cmp_eq_u32_e64 s5, 1, v142
	v_cmp_eq_u32_e64 s6, 7, v138
	s_delay_alu instid0(VALU_DEP_3) | instskip(NEXT) | instid1(VALU_DEP_3)
	v_cndmask_b32_e32 v20, v20, v4, vcc_lo
	v_cndmask_b32_e64 v1, v1, v10, s5
	v_cndmask_b32_e64 v5, v5, v14, s5
	v_cmp_eq_u32_e64 s5, 3, v137
	v_cndmask_b32_e64 v14, v23, v6, s8
	v_cmp_eq_u32_e64 s8, 3, v142
	v_cndmask_b32_e64 v1, v1, v2, s4
	v_cndmask_b32_e64 v2, v5, v6, s4
	;; [unrolled: 1-line block ×3, first 2 shown]
	v_cmp_eq_u32_e64 s4, 4, v137
	v_cndmask_b32_e64 v6, v14, v15, s5
	v_cndmask_b32_e64 v1, v1, v11, s8
	v_cmp_eq_u32_e64 s5, 4, v142
	v_cndmask_b32_e64 v2, v2, v15, s8
	v_cndmask_b32_e64 v5, v10, v3, s4
	;; [unrolled: 3-line block ×3, first 2 shown]
	v_cndmask_b32_e64 v2, v2, v7, s5
	v_cmp_eq_u32_e64 s4, 5, v142
	v_cndmask_b32_e64 v5, v5, v12, s8
	v_cmp_eq_u32_e64 s5, 6, v137
	;; [unrolled: 2-line block ×3, first 2 shown]
	v_cndmask_b32_e64 v1, v1, v12, s4
	v_cndmask_b32_e64 v2, v2, v16, s4
	;; [unrolled: 1-line block ×4, first 2 shown]
	v_cmp_eq_u32_e64 s4, 7, v142
	v_cndmask_b32_e64 v1, v1, v4, s8
	v_cndmask_b32_e64 v2, v2, v8, s8
	v_cmp_eq_u32_e64 s5, 7, v137
	v_cndmask_b32_e32 v4, v21, v8, vcc_lo
	v_cndmask_b32_e64 v18, v18, v13, s6
	v_cndmask_b32_e64 v20, v20, v13, s7
	;; [unrolled: 1-line block ×8, first 2 shown]
	v_cmp_gt_u32_e32 vcc_lo, 32, v0
	v_perm_b32 v4, v2, v1, 0x5040100
	v_perm_b32 v3, v3, v5, 0x5040100
	;; [unrolled: 1-line block ×4, first 2 shown]
	s_and_b32 s2, vcc_lo, s2
	ds_store_b128 v9, v[1:4]
	s_waitcnt lgkmcnt(0)
	s_barrier
	buffer_gl0_inv
	s_and_saveexec_b32 s4, s2
	s_cbranch_execz .LBB454_2
; %bb.111:
	s_load_b64 s[4:5], s[0:1], 0x68
	v_lshlrev_b32_e32 v0, 10, v0
	v_lshlrev_b32_e32 v1, 4, v147
	s_lshl_b32 s0, s36, 6
	v_add_nc_u32_e32 v18, s31, v146
	s_mul_i32 s1, s0, s34
	s_delay_alu instid0(VALU_DEP_2) | instskip(SKIP_1) | instid1(VALU_DEP_2)
	v_and_or_b32 v0, 0x3800, v0, v1
	s_mul_i32 s6, s1, s9
	v_mul_lo_u32 v1, v18, s0
	s_ashr_i32 s7, s6, 31
	v_add_nc_u32_e32 v2, 2, v18
	v_lshl_or_b32 v19, v146, 6, v0
	s_lshl_b64 s[6:7], s[6:7], 1
	v_add_nc_u32_e32 v8, 4, v18
	v_add_nc_u32_e32 v15, 6, v18
	v_mul_lo_u32 v7, v2, s0
	ds_load_b128 v[3:6], v19
	v_ashrrev_i32_e32 v2, 31, v1
	v_mul_lo_u32 v11, v8, s0
	s_waitcnt lgkmcnt(0)
	s_add_u32 s1, s4, s6
	s_addc_u32 s2, s5, s7
	s_lshl_b32 s4, s14, 6
	v_lshlrev_b64 v[9:10], 1, v[1:2]
	s_ashr_i32 s5, s4, 31
	v_ashrrev_i32_e32 v8, 31, v7
	s_lshl_b64 s[4:5], s[4:5], 1
	v_ashrrev_i32_e32 v12, 31, v11
	s_add_u32 s1, s1, s4
	s_addc_u32 s2, s2, s5
	v_add_co_u32 v1, s1, s1, v145
	s_delay_alu instid0(VALU_DEP_1) | instskip(SKIP_1) | instid1(VALU_DEP_3)
	v_add_co_ci_u32_e64 v2, null, s2, 0, s1
	v_mul_lo_u32 v15, v15, s0
	v_add_co_u32 v13, vcc_lo, v1, v9
	s_delay_alu instid0(VALU_DEP_3)
	v_add_co_ci_u32_e32 v14, vcc_lo, v2, v10, vcc_lo
	v_lshlrev_b64 v[16:17], 1, v[7:8]
	ds_load_b128 v[7:10], v19 offset:128
	global_store_b128 v[13:14], v[3:6], off
	v_add_nc_u32_e32 v5, 8, v18
	v_lshlrev_b64 v[3:4], 1, v[11:12]
	v_add_co_u32 v23, vcc_lo, v1, v16
	v_ashrrev_i32_e32 v16, 31, v15
	s_delay_alu instid0(VALU_DEP_4) | instskip(SKIP_3) | instid1(VALU_DEP_3)
	v_mul_lo_u32 v25, v5, s0
	v_add_nc_u32_e32 v5, 10, v18
	v_add_co_ci_u32_e32 v24, vcc_lo, v2, v17, vcc_lo
	v_add_co_u32 v27, vcc_lo, v1, v3
	v_mul_lo_u32 v29, v5, s0
	v_add_co_ci_u32_e32 v28, vcc_lo, v2, v4, vcc_lo
	v_lshlrev_b64 v[31:32], 1, v[15:16]
	ds_load_b128 v[3:6], v19 offset:256
	ds_load_b128 v[11:14], v19 offset:384
	;; [unrolled: 1-line block ×4, first 2 shown]
	v_ashrrev_i32_e32 v26, 31, v25
	v_ashrrev_i32_e32 v30, 31, v29
	v_add_co_u32 v31, vcc_lo, v1, v31
	s_delay_alu instid0(VALU_DEP_3) | instskip(SKIP_1) | instid1(VALU_DEP_4)
	v_lshlrev_b64 v[25:26], 1, v[25:26]
	v_add_co_ci_u32_e32 v32, vcc_lo, v2, v32, vcc_lo
	v_lshlrev_b64 v[29:30], 1, v[29:30]
	s_delay_alu instid0(VALU_DEP_3) | instskip(NEXT) | instid1(VALU_DEP_4)
	v_add_co_u32 v25, vcc_lo, v1, v25
	v_add_co_ci_u32_e32 v26, vcc_lo, v2, v26, vcc_lo
	s_delay_alu instid0(VALU_DEP_3) | instskip(NEXT) | instid1(VALU_DEP_4)
	v_add_co_u32 v29, vcc_lo, v1, v29
	v_add_co_ci_u32_e32 v30, vcc_lo, v2, v30, vcc_lo
	s_waitcnt lgkmcnt(4)
	global_store_b128 v[23:24], v[7:10], off
	s_waitcnt lgkmcnt(3)
	global_store_b128 v[27:28], v[3:6], off
	;; [unrolled: 2-line block ×5, first 2 shown]
	s_and_b32 exec_lo, exec_lo, s3
	s_cbranch_execz .LBB454_2
; %bb.112:
	ds_load_b128 v[3:6], v0 offset:768
	s_add_i32 s1, s31, 12
	s_delay_alu instid0(SALU_CYCLE_1) | instskip(NEXT) | instid1(SALU_CYCLE_1)
	s_mul_i32 s0, s1, s0
	s_ashr_i32 s1, s0, 31
	s_delay_alu instid0(SALU_CYCLE_1) | instskip(NEXT) | instid1(SALU_CYCLE_1)
	s_lshl_b64 s[0:1], s[0:1], 1
	v_add_co_u32 v0, vcc_lo, v1, s0
	v_add_co_ci_u32_e32 v1, vcc_lo, s1, v2, vcc_lo
	s_waitcnt lgkmcnt(0)
	global_store_b128 v[0:1], v[3:6], off
	s_nop 0
	s_sendmsg sendmsg(MSG_DEALLOC_VGPRS)
	s_endpgm
	.section	.rodata,"a",@progbits
	.p2align	6, 0x0
	.amdhsa_kernel _Z39paged_attention_ll4mi_QKV_mfma16_kernelI14__hip_bfloat16S0_LN4vllm18Fp8KVCacheDataTypeE0ES0_Li16ELi64ELi256ELb1ELi13EL8MFMAType0EEvPKT_PKT0_S9_ifPKiSB_SB_iPKfiiiPfSE_PS4_PT2_iSD_SD_
		.amdhsa_group_segment_fixed_size 17472
		.amdhsa_private_segment_fixed_size 0
		.amdhsa_kernarg_size 400
		.amdhsa_user_sgpr_count 13
		.amdhsa_user_sgpr_dispatch_ptr 0
		.amdhsa_user_sgpr_queue_ptr 0
		.amdhsa_user_sgpr_kernarg_segment_ptr 1
		.amdhsa_user_sgpr_dispatch_id 0
		.amdhsa_user_sgpr_private_segment_size 0
		.amdhsa_wavefront_size32 1
		.amdhsa_uses_dynamic_stack 0
		.amdhsa_enable_private_segment 0
		.amdhsa_system_sgpr_workgroup_id_x 1
		.amdhsa_system_sgpr_workgroup_id_y 1
		.amdhsa_system_sgpr_workgroup_id_z 1
		.amdhsa_system_sgpr_workgroup_info 0
		.amdhsa_system_vgpr_workitem_id 0
		.amdhsa_next_free_vgpr 198
		.amdhsa_next_free_sgpr 52
		.amdhsa_reserve_vcc 1
		.amdhsa_float_round_mode_32 0
		.amdhsa_float_round_mode_16_64 0
		.amdhsa_float_denorm_mode_32 3
		.amdhsa_float_denorm_mode_16_64 3
		.amdhsa_dx10_clamp 1
		.amdhsa_ieee_mode 1
		.amdhsa_fp16_overflow 0
		.amdhsa_workgroup_processor_mode 1
		.amdhsa_memory_ordered 1
		.amdhsa_forward_progress 0
		.amdhsa_shared_vgpr_count 0
		.amdhsa_exception_fp_ieee_invalid_op 0
		.amdhsa_exception_fp_denorm_src 0
		.amdhsa_exception_fp_ieee_div_zero 0
		.amdhsa_exception_fp_ieee_overflow 0
		.amdhsa_exception_fp_ieee_underflow 0
		.amdhsa_exception_fp_ieee_inexact 0
		.amdhsa_exception_int_div_zero 0
	.end_amdhsa_kernel
	.section	.text._Z39paged_attention_ll4mi_QKV_mfma16_kernelI14__hip_bfloat16S0_LN4vllm18Fp8KVCacheDataTypeE0ES0_Li16ELi64ELi256ELb1ELi13EL8MFMAType0EEvPKT_PKT0_S9_ifPKiSB_SB_iPKfiiiPfSE_PS4_PT2_iSD_SD_,"axG",@progbits,_Z39paged_attention_ll4mi_QKV_mfma16_kernelI14__hip_bfloat16S0_LN4vllm18Fp8KVCacheDataTypeE0ES0_Li16ELi64ELi256ELb1ELi13EL8MFMAType0EEvPKT_PKT0_S9_ifPKiSB_SB_iPKfiiiPfSE_PS4_PT2_iSD_SD_,comdat
.Lfunc_end454:
	.size	_Z39paged_attention_ll4mi_QKV_mfma16_kernelI14__hip_bfloat16S0_LN4vllm18Fp8KVCacheDataTypeE0ES0_Li16ELi64ELi256ELb1ELi13EL8MFMAType0EEvPKT_PKT0_S9_ifPKiSB_SB_iPKfiiiPfSE_PS4_PT2_iSD_SD_, .Lfunc_end454-_Z39paged_attention_ll4mi_QKV_mfma16_kernelI14__hip_bfloat16S0_LN4vllm18Fp8KVCacheDataTypeE0ES0_Li16ELi64ELi256ELb1ELi13EL8MFMAType0EEvPKT_PKT0_S9_ifPKiSB_SB_iPKfiiiPfSE_PS4_PT2_iSD_SD_
                                        ; -- End function
	.section	.AMDGPU.csdata,"",@progbits
; Kernel info:
; codeLenInByte = 10268
; NumSgprs: 54
; NumVgprs: 198
; ScratchSize: 0
; MemoryBound: 0
; FloatMode: 240
; IeeeMode: 1
; LDSByteSize: 17472 bytes/workgroup (compile time only)
; SGPRBlocks: 6
; VGPRBlocks: 24
; NumSGPRsForWavesPerEU: 54
; NumVGPRsForWavesPerEU: 198
; Occupancy: 7
; WaveLimiterHint : 1
; COMPUTE_PGM_RSRC2:SCRATCH_EN: 0
; COMPUTE_PGM_RSRC2:USER_SGPR: 13
; COMPUTE_PGM_RSRC2:TRAP_HANDLER: 0
; COMPUTE_PGM_RSRC2:TGID_X_EN: 1
; COMPUTE_PGM_RSRC2:TGID_Y_EN: 1
; COMPUTE_PGM_RSRC2:TGID_Z_EN: 1
; COMPUTE_PGM_RSRC2:TIDIG_COMP_CNT: 0
	.section	.text._Z39paged_attention_ll4mi_QKV_mfma16_kernelI14__hip_bfloat16S0_LN4vllm18Fp8KVCacheDataTypeE0ES0_Li16ELi64ELi256ELb1ELi14EL8MFMAType0EEvPKT_PKT0_S9_ifPKiSB_SB_iPKfiiiPfSE_PS4_PT2_iSD_SD_,"axG",@progbits,_Z39paged_attention_ll4mi_QKV_mfma16_kernelI14__hip_bfloat16S0_LN4vllm18Fp8KVCacheDataTypeE0ES0_Li16ELi64ELi256ELb1ELi14EL8MFMAType0EEvPKT_PKT0_S9_ifPKiSB_SB_iPKfiiiPfSE_PS4_PT2_iSD_SD_,comdat
	.protected	_Z39paged_attention_ll4mi_QKV_mfma16_kernelI14__hip_bfloat16S0_LN4vllm18Fp8KVCacheDataTypeE0ES0_Li16ELi64ELi256ELb1ELi14EL8MFMAType0EEvPKT_PKT0_S9_ifPKiSB_SB_iPKfiiiPfSE_PS4_PT2_iSD_SD_ ; -- Begin function _Z39paged_attention_ll4mi_QKV_mfma16_kernelI14__hip_bfloat16S0_LN4vllm18Fp8KVCacheDataTypeE0ES0_Li16ELi64ELi256ELb1ELi14EL8MFMAType0EEvPKT_PKT0_S9_ifPKiSB_SB_iPKfiiiPfSE_PS4_PT2_iSD_SD_
	.globl	_Z39paged_attention_ll4mi_QKV_mfma16_kernelI14__hip_bfloat16S0_LN4vllm18Fp8KVCacheDataTypeE0ES0_Li16ELi64ELi256ELb1ELi14EL8MFMAType0EEvPKT_PKT0_S9_ifPKiSB_SB_iPKfiiiPfSE_PS4_PT2_iSD_SD_
	.p2align	8
	.type	_Z39paged_attention_ll4mi_QKV_mfma16_kernelI14__hip_bfloat16S0_LN4vllm18Fp8KVCacheDataTypeE0ES0_Li16ELi64ELi256ELb1ELi14EL8MFMAType0EEvPKT_PKT0_S9_ifPKiSB_SB_iPKfiiiPfSE_PS4_PT2_iSD_SD_,@function
_Z39paged_attention_ll4mi_QKV_mfma16_kernelI14__hip_bfloat16S0_LN4vllm18Fp8KVCacheDataTypeE0ES0_Li16ELi64ELi256ELb1ELi14EL8MFMAType0EEvPKT_PKT0_S9_ifPKiSB_SB_iPKfiiiPfSE_PS4_PT2_iSD_SD_: ; @_Z39paged_attention_ll4mi_QKV_mfma16_kernelI14__hip_bfloat16S0_LN4vllm18Fp8KVCacheDataTypeE0ES0_Li16ELi64ELi256ELb1ELi14EL8MFMAType0EEvPKT_PKT0_S9_ifPKiSB_SB_iPKfiiiPfSE_PS4_PT2_iSD_SD_
; %bb.0:
	s_load_b64 s[2:3], s[0:1], 0x30
	s_mov_b32 s30, s13
	s_waitcnt lgkmcnt(0)
	s_cmp_lg_u64 s[2:3], 0
	s_cselect_b32 s6, -1, 0
	s_ashr_i32 s31, s13, 31
	s_cmp_eq_u64 s[2:3], 0
	s_cbranch_scc1 .LBB455_3
; %bb.1:
	s_lshl_b64 s[4:5], s[30:31], 2
	s_delay_alu instid0(SALU_CYCLE_1) | instskip(SKIP_4) | instid1(SALU_CYCLE_1)
	s_add_u32 s4, s2, s4
	s_addc_u32 s5, s3, s5
	s_load_b64 s[4:5], s[4:5], 0x0
	s_waitcnt lgkmcnt(0)
	s_sub_i32 s4, s5, s4
	s_cmp_eq_u32 s4, 1
	s_cselect_b32 s4, -1, 0
	s_delay_alu instid0(SALU_CYCLE_1)
	s_and_not1_b32 vcc_lo, exec_lo, s4
	s_cbranch_vccz .LBB455_4
.LBB455_2:
	s_endpgm
.LBB455_3:
.LBB455_4:
	s_load_b64 s[8:9], s[0:1], 0x28
	s_lshl_b64 s[4:5], s[30:31], 2
	s_waitcnt lgkmcnt(0)
	s_add_u32 s8, s8, s4
	s_addc_u32 s9, s9, s5
	s_lshl_b32 s34, s14, 8
	s_load_b32 s33, s[8:9], 0x0
	s_waitcnt lgkmcnt(0)
	s_cmp_ge_i32 s34, s33
	s_cbranch_scc1 .LBB455_2
; %bb.5:
	s_clause 0x1
	s_load_b128 s[8:11], s[0:1], 0x8
	s_load_b64 s[12:13], s[0:1], 0x20
	s_and_not1_b32 vcc_lo, exec_lo, s6
	s_cbranch_vccnz .LBB455_7
; %bb.6:
	s_add_u32 s2, s2, s4
	s_addc_u32 s3, s3, s5
	s_load_b32 s3, s[2:3], 0x0
	s_branch .LBB455_8
.LBB455_7:
	s_mov_b32 s3, s30
.LBB455_8:
	s_load_b128 s[4:7], s[0:1], 0x48
	v_and_b32_e32 v148, 15, v0
	v_cmp_gt_u32_e32 vcc_lo, 0xe0, v0
	v_lshrrev_b32_e32 v149, 5, v0
	v_and_b32_e32 v150, 31, v0
	v_and_b32_e32 v147, 1, v0
	v_lshlrev_b32_e32 v1, 3, v148
	v_cmp_gt_u32_e64 s2, 8, v148
	v_bfe_u32 v146, v0, 4, 1
	s_mul_i32 s31, s15, 14
	s_delay_alu instid0(VALU_DEP_3) | instskip(NEXT) | instid1(VALU_DEP_3)
	v_lshlrev_b32_e32 v145, 1, v1
	s_and_b32 s16, vcc_lo, s2
	s_waitcnt lgkmcnt(0)
	s_and_saveexec_b32 s7, s16
	s_cbranch_execz .LBB455_10
; %bb.9:
	s_load_b64 s[16:17], s[0:1], 0x0
	v_lshl_or_b32 v5, v149, 1, v146
	s_mul_hi_i32 s19, s3, s4
	s_mul_i32 s18, s3, s4
	v_lshlrev_b32_e32 v6, 10, v148
	s_lshl_b64 s[18:19], s[18:19], 1
	v_add_lshl_u32 v1, v5, s31, 6
	v_lshlrev_b32_e32 v5, 6, v5
	v_lshlrev_b32_e32 v7, 10, v147
	v_and_b32_e32 v6, 0x3800, v6
	s_delay_alu instid0(VALU_DEP_4) | instskip(NEXT) | instid1(VALU_DEP_2)
	v_ashrrev_i32_e32 v2, 31, v1
	v_or3_b32 v5, v6, v7, v5
	s_delay_alu instid0(VALU_DEP_2) | instskip(SKIP_3) | instid1(VALU_DEP_1)
	v_lshlrev_b64 v[1:2], 1, v[1:2]
	s_waitcnt lgkmcnt(0)
	s_add_u32 s3, s16, s18
	s_addc_u32 s4, s17, s19
	v_add_co_u32 v1, vcc_lo, s3, v1
	s_delay_alu instid0(VALU_DEP_2) | instskip(NEXT) | instid1(VALU_DEP_2)
	v_add_co_ci_u32_e32 v2, vcc_lo, s4, v2, vcc_lo
	v_add_co_u32 v1, vcc_lo, v1, v145
	s_delay_alu instid0(VALU_DEP_2)
	v_add_co_ci_u32_e32 v2, vcc_lo, 0, v2, vcc_lo
	global_load_b128 v[1:4], v[1:2], off
	s_waitcnt vmcnt(0)
	ds_store_b128 v5, v[1:4]
.LBB455_10:
	s_or_b32 exec_lo, exec_lo, s7
	s_mov_b32 s40, 0
	s_add_i32 s3, s33, 15
	s_mov_b32 s41, s40
	s_mov_b32 s42, s40
	;; [unrolled: 1-line block ×7, first 2 shown]
	s_delay_alu instid0(SALU_CYCLE_1)
	v_dual_mov_b32 v144, s47 :: v_dual_and_b32 v1, 0xef, v0
	v_mov_b32_e32 v142, s45
	s_ashr_i32 s7, s3, 31
	s_clause 0x1
	s_load_b32 s4, s[0:1], 0x38
	s_load_b32 s35, s[0:1], 0x1c
	v_add_nc_u32_e32 v1, s34, v1
	s_lshr_b32 s7, s7, 28
	s_waitcnt lgkmcnt(0)
	s_add_i32 s3, s3, s7
	s_barrier
	v_ashrrev_i32_e32 v2, 31, v1
	v_or_b32_e32 v3, 16, v1
	s_ashr_i32 s3, s3, 4
	v_cmp_gt_i32_e32 vcc_lo, s33, v1
	s_add_i32 s3, s3, -1
	v_lshrrev_b32_e32 v2, 28, v2
	v_mov_b32_e32 v143, s46
	buffer_gl0_inv
	s_mul_i32 s6, s15, s6
	v_add_nc_u32_e32 v21, -14, v148
	v_dual_mov_b32 v141, s44 :: v_dual_add_nc_u32 v4, v1, v2
	v_mov_b32_e32 v139, s42
	s_mul_i32 s16, s30, s4
	v_mov_b32_e32 v137, s40
	s_delay_alu instid0(VALU_DEP_3)
	v_ashrrev_i32_e32 v4, 4, v4
	v_add_nc_u32_e32 v2, v3, v2
	v_lshlrev_b32_e32 v22, 5, v148
	s_ashr_i32 s17, s16, 31
	v_mov_b32_e32 v140, s43
	v_cndmask_b32_e32 v1, s3, v4, vcc_lo
	v_ashrrev_i32_e32 v2, 4, v2
	v_cmp_gt_i32_e32 vcc_lo, s33, v3
	s_lshl_b64 s[16:17], s[16:17], 2
	v_lshl_or_b32 v22, v149, 9, v22
	s_add_u32 s4, s12, s16
	s_addc_u32 s36, s13, s17
	v_cndmask_b32_e32 v3, s3, v2, vcc_lo
	v_ashrrev_i32_e32 v2, 31, v1
	s_ashr_i32 s7, s6, 31
	v_mov_b32_e32 v138, s41
	s_lshl_b64 s[6:7], s[6:7], 1
	v_ashrrev_i32_e32 v4, 31, v3
	v_lshlrev_b64 v[1:2], 2, v[1:2]
	s_add_u32 s24, s8, s6
	s_addc_u32 s25, s9, s7
	s_lshl_b32 s8, s14, 4
	v_lshlrev_b64 v[3:4], 2, v[3:4]
	s_ashr_i32 s9, s8, 31
	v_add_co_u32 v1, vcc_lo, s4, v1
	v_add_co_ci_u32_e32 v2, vcc_lo, s36, v2, vcc_lo
	s_delay_alu instid0(VALU_DEP_3) | instskip(NEXT) | instid1(VALU_DEP_4)
	v_add_co_u32 v3, vcc_lo, s4, v3
	v_add_co_ci_u32_e32 v4, vcc_lo, s36, v4, vcc_lo
	s_clause 0x1
	global_load_b32 v5, v[1:2], off
	global_load_b32 v6, v[3:4], off
	s_lshl_b64 s[8:9], s[8:9], 2
	v_lshlrev_b32_e32 v3, 4, v0
	s_add_u32 s8, s4, s8
	s_addc_u32 s9, s36, s9
	s_or_b32 s12, s34, 16
	s_delay_alu instid0(SALU_CYCLE_1) | instskip(SKIP_2) | instid1(SALU_CYCLE_1)
	s_ashr_i32 s13, s12, 4
	s_cmp_lt_i32 s12, s33
	s_cselect_b32 s12, s13, s3
	s_ashr_i32 s13, s12, 31
	s_delay_alu instid0(SALU_CYCLE_1) | instskip(NEXT) | instid1(SALU_CYCLE_1)
	s_lshl_b64 s[12:13], s[12:13], 2
	s_add_u32 s12, s4, s12
	s_addc_u32 s13, s36, s13
	s_or_b32 s15, s34, 32
	s_delay_alu instid0(SALU_CYCLE_1) | instskip(SKIP_2) | instid1(SALU_CYCLE_1)
	s_ashr_i32 s16, s15, 4
	s_cmp_lt_i32 s15, s33
	s_cselect_b32 s16, s16, s3
	s_ashr_i32 s17, s16, 31
	s_delay_alu instid0(SALU_CYCLE_1) | instskip(NEXT) | instid1(SALU_CYCLE_1)
	s_lshl_b64 s[16:17], s[16:17], 2
	;; [unrolled: 10-line block ×5, first 2 shown]
	s_add_u32 s22, s4, s22
	s_addc_u32 s23, s36, s23
	s_clause 0x5
	s_load_b32 s8, s[8:9], 0x0
	s_load_b32 s12, s[12:13], 0x0
	;; [unrolled: 1-line block ×6, first 2 shown]
	s_waitcnt lgkmcnt(0)
	s_mul_hi_i32 s17, s16, s5
	s_mul_i32 s16, s16, s5
	s_waitcnt vmcnt(1)
	v_mad_i64_i32 v[1:2], null, v5, s5, 0
	v_and_b32_e32 v5, 0xf0, v3
	s_waitcnt vmcnt(0)
	v_mad_i64_i32 v[3:4], null, v6, s5, 0
	s_delay_alu instid0(VALU_DEP_2) | instskip(NEXT) | instid1(VALU_DEP_4)
	v_add_co_u32 v5, s9, s24, v5
	v_lshlrev_b64 v[1:2], 1, v[1:2]
	v_add_co_ci_u32_e64 v6, null, s25, 0, s9
	s_delay_alu instid0(VALU_DEP_4) | instskip(SKIP_1) | instid1(VALU_DEP_3)
	v_lshlrev_b64 v[3:4], 1, v[3:4]
	s_or_b32 s9, s34, 0x60
	v_add_co_u32 v19, vcc_lo, v5, v1
	s_delay_alu instid0(VALU_DEP_3) | instskip(NEXT) | instid1(VALU_DEP_3)
	v_add_co_ci_u32_e32 v20, vcc_lo, v6, v2, vcc_lo
	v_add_co_u32 v17, vcc_lo, v5, v3
	s_delay_alu instid0(VALU_DEP_4)
	v_add_co_ci_u32_e32 v18, vcc_lo, v6, v4, vcc_lo
	s_clause 0x9
	global_load_b128 v[1:4], v[19:20], off
	global_load_b128 v[5:8], v[19:20], off offset:256
	global_load_b128 v[129:132], v[17:18], off
	global_load_b128 v[133:136], v[17:18], off offset:256
	global_load_b128 v[33:36], v[19:20], off offset:512
	;; [unrolled: 1-line block ×7, first 2 shown]
	v_cmp_gt_u32_e32 vcc_lo, 14, v148
	s_clause 0x1
	global_load_b128 v[151:154], v[17:18], off offset:1024
	global_load_b128 v[155:158], v[17:18], off offset:1280
	s_ashr_i32 s13, s9, 4
	s_cmp_lt_i32 s9, s33
	v_cndmask_b32_e32 v21, v21, v148, vcc_lo
	s_cselect_b32 s22, s13, s3
	s_delay_alu instid0(SALU_CYCLE_1) | instskip(NEXT) | instid1(VALU_DEP_1)
	s_ashr_i32 s23, s22, 31
	v_lshlrev_b32_e32 v197, 6, v21
	ds_load_b128 v[159:162], v197
	ds_load_b128 v[163:166], v197 offset:1024
	s_clause 0x3
	global_load_b128 v[167:170], v[19:20], off offset:1536
	global_load_b128 v[171:174], v[19:20], off offset:1792
	;; [unrolled: 1-line block ×4, first 2 shown]
	s_lshl_b64 s[22:23], s[22:23], 2
	s_delay_alu instid0(SALU_CYCLE_1) | instskip(SKIP_2) | instid1(SALU_CYCLE_1)
	s_add_u32 s22, s4, s22
	s_addc_u32 s23, s36, s23
	s_or_b32 s9, s34, 0x70
	s_ashr_i32 s13, s9, 4
	s_cmp_lt_i32 s9, s33
	s_cselect_b32 s24, s13, s3
	s_delay_alu instid0(SALU_CYCLE_1) | instskip(NEXT) | instid1(SALU_CYCLE_1)
	s_ashr_i32 s25, s24, 31
	s_lshl_b64 s[24:25], s[24:25], 2
	s_delay_alu instid0(SALU_CYCLE_1)
	s_add_u32 s24, s4, s24
	s_addc_u32 s25, s36, s25
	s_or_b32 s9, s34, 0x80
	s_load_b32 s46, s[24:25], 0x0
	s_ashr_i32 s13, s9, 4
	s_cmp_lt_i32 s9, s33
	s_cselect_b32 s26, s13, s3
	s_delay_alu instid0(SALU_CYCLE_1) | instskip(NEXT) | instid1(SALU_CYCLE_1)
	s_ashr_i32 s27, s26, 31
	s_lshl_b64 s[26:27], s[26:27], 2
	s_delay_alu instid0(SALU_CYCLE_1)
	s_add_u32 s26, s4, s26
	s_addc_u32 s27, s36, s27
	s_or_b32 s9, s34, 0x90
	s_load_b32 s47, s[26:27], 0x0
	s_ashr_i32 s13, s9, 4
	s_cmp_lt_i32 s9, s33
	s_cselect_b32 s28, s13, s3
	s_delay_alu instid0(SALU_CYCLE_1) | instskip(NEXT) | instid1(SALU_CYCLE_1)
	s_ashr_i32 s29, s28, 31
	s_lshl_b64 s[28:29], s[28:29], 2
	s_delay_alu instid0(SALU_CYCLE_1) | instskip(SKIP_2) | instid1(SALU_CYCLE_1)
	s_add_u32 s28, s4, s28
	s_addc_u32 s29, s36, s29
	s_or_b32 s9, s34, 0xa0
	s_ashr_i32 s13, s9, 4
	s_cmp_lt_i32 s9, s33
	s_cselect_b32 s38, s13, s3
	s_delay_alu instid0(SALU_CYCLE_1) | instskip(NEXT) | instid1(SALU_CYCLE_1)
	s_ashr_i32 s39, s38, 31
	s_lshl_b64 s[38:39], s[38:39], 2
	s_delay_alu instid0(SALU_CYCLE_1)
	s_add_u32 s38, s4, s38
	s_addc_u32 s39, s36, s39
	s_or_b32 s9, s34, 0xb0
	s_load_b32 s39, s[38:39], 0x0
	s_ashr_i32 s13, s9, 4
	s_cmp_lt_i32 s9, s33
	s_mul_hi_i32 s9, s8, s5
	s_cselect_b32 s40, s13, s3
	s_mul_i32 s8, s8, s5
	s_ashr_i32 s41, s40, 31
	s_mul_hi_i32 s13, s12, s5
	s_lshl_b64 s[40:41], s[40:41], 2
	s_mul_i32 s12, s12, s5
	s_add_u32 s42, s4, s40
	s_addc_u32 s43, s36, s41
	s_or_b32 s19, s34, 0xc0
	s_delay_alu instid0(SALU_CYCLE_1)
	s_ashr_i32 s21, s19, 4
	s_cmp_lt_i32 s19, s33
	s_mul_hi_i32 s19, s18, s5
	s_cselect_b32 s40, s21, s3
	s_mul_i32 s18, s18, s5
	s_ashr_i32 s41, s40, 31
	s_mul_hi_i32 s21, s20, s5
	s_lshl_b64 s[40:41], s[40:41], 2
	s_mul_i32 s20, s20, s5
	s_add_u32 s44, s4, s40
	s_load_b32 s40, s[28:29], 0x0
	s_addc_u32 s45, s36, s41
	s_or_b32 s37, s34, 0xd0
	s_load_b32 s41, s[22:23], 0x0
	s_ashr_i32 s22, s37, 4
	s_cmp_lt_i32 s37, s33
	s_mul_hi_i32 s23, s15, s5
	s_cselect_b32 s24, s22, s3
	s_mul_i32 s22, s15, s5
	s_ashr_i32 s25, s24, 31
	s_waitcnt lgkmcnt(0)
	s_mul_hi_i32 s27, s46, s5
	s_lshl_b64 s[24:25], s[24:25], 2
	s_mul_i32 s26, s46, s5
	s_add_u32 s24, s4, s24
	s_addc_u32 s25, s36, s25
	s_or_b32 s48, s34, 0xe0
	s_clause 0x2
	s_load_b32 s38, s[42:43], 0x0
	s_load_b32 s37, s[44:45], 0x0
	;; [unrolled: 1-line block ×3, first 2 shown]
	s_ashr_i32 s49, s48, 4
	s_cmp_lt_i32 s48, s33
	s_mul_hi_i32 s29, s47, s5
	s_cselect_b32 s42, s49, s3
	s_mul_i32 s28, s47, s5
	s_ashr_i32 s43, s42, 31
	s_mul_hi_i32 s25, s41, s5
	s_lshl_b64 s[42:43], s[42:43], 2
	s_mul_i32 s24, s41, s5
	s_add_u32 s42, s4, s42
	s_addc_u32 s43, s36, s43
	s_or_b32 s46, s34, 0xf0
	s_mul_hi_i32 s41, s40, s5
	s_ashr_i32 s47, s46, 4
	s_cmp_lt_i32 s46, s33
	s_mul_i32 s40, s40, s5
	s_cselect_b32 s46, s47, s3
	s_mul_hi_i32 s45, s39, s5
	s_ashr_i32 s47, s46, 31
	s_mul_i32 s44, s39, s5
	s_lshl_b64 s[46:47], s[46:47], 2
	s_waitcnt lgkmcnt(0)
	s_mul_hi_i32 s39, s38, s5
	s_add_u32 s46, s4, s46
	s_addc_u32 s47, s36, s47
	s_add_u32 s3, s10, s6
	s_addc_u32 s4, s11, s7
	v_add_co_u32 v195, s3, s3, v22
	s_delay_alu instid0(VALU_DEP_1) | instskip(SKIP_2) | instid1(VALU_DEP_2)
	v_add_co_ci_u32_e64 v196, null, s4, 0, s3
	s_lshl_b64 s[6:7], s[8:9], 1
	s_lshl_b64 s[8:9], s[12:13], 1
	v_add_co_u32 v17, vcc_lo, v195, s6
	s_delay_alu instid0(VALU_DEP_2)
	v_add_co_ci_u32_e32 v18, vcc_lo, s7, v196, vcc_lo
	v_add_co_u32 v19, vcc_lo, v195, s8
	s_lshl_b64 s[10:11], s[16:17], 1
	v_add_co_ci_u32_e32 v20, vcc_lo, s9, v196, vcc_lo
	v_add_co_u32 v21, vcc_lo, v195, s10
	s_lshl_b64 s[12:13], s[18:19], 1
	;; [unrolled: 3-line block ×9, first 2 shown]
	s_mul_i32 s38, s38, s5
	v_add_co_ci_u32_e32 v54, vcc_lo, s27, v196, vcc_lo
	v_add_co_u32 v183, vcc_lo, v195, s28
	s_mul_hi_i32 s49, s37, s5
	s_mul_i32 s48, s37, s5
	s_lshl_b64 s[36:37], s[38:39], 1
	v_add_co_ci_u32_e32 v184, vcc_lo, s29, v196, vcc_lo
	v_add_co_u32 v185, vcc_lo, v195, s36
	s_lshl_b64 s[38:39], s[48:49], 1
	s_clause 0x1
	s_load_b32 s3, s[42:43], 0x0
	s_load_b32 s4, s[46:47], 0x0
	v_add_co_ci_u32_e32 v186, vcc_lo, s37, v196, vcc_lo
	v_add_co_u32 v191, vcc_lo, v195, s38
	v_add_co_ci_u32_e32 v192, vcc_lo, s39, v196, vcc_lo
	s_clause 0x17
	global_load_b128 v[121:124], v[17:18], off
	global_load_b128 v[125:128], v[17:18], off offset:16
	global_load_b128 v[113:116], v[19:20], off
	global_load_b128 v[117:120], v[19:20], off offset:16
	;; [unrolled: 2-line block ×12, first 2 shown]
	s_mul_hi_i32 s51, s15, s5
	s_mul_i32 s50, s15, s5
	s_delay_alu instid0(SALU_CYCLE_1) | instskip(NEXT) | instid1(SALU_CYCLE_1)
	s_lshl_b64 s[40:41], s[50:51], 1
	v_add_co_u32 v193, vcc_lo, v195, s40
	v_add_co_ci_u32_e32 v194, vcc_lo, s41, v196, vcc_lo
	s_waitcnt lgkmcnt(0)
	s_mul_hi_i32 s7, s3, s5
	s_mul_i32 s6, s3, s5
	s_mul_hi_i32 s9, s4, s5
	s_lshl_b64 s[6:7], s[6:7], 1
	s_mul_i32 s8, s4, s5
	s_delay_alu instid0(SALU_CYCLE_1)
	s_lshl_b64 s[4:5], s[8:9], 1
	s_waitcnt vmcnt(38)
	v_wmma_f32_16x16x16_bf16 v[183:190], v[1:8], v[159:166], v[137:144]
	s_waitcnt vmcnt(36)
	v_wmma_f32_16x16x16_bf16 v[137:144], v[129:136], v[159:166], v[137:144]
	s_clause 0x1
	global_load_b128 v[1:4], v[191:192], off
	global_load_b128 v[5:8], v[191:192], off offset:16
	ds_load_b128 v[129:132], v197 offset:2048
	ds_load_b128 v[133:136], v197 offset:3072
	;; [unrolled: 1-line block ×4, first 2 shown]
	v_add_co_u32 v191, vcc_lo, v195, s6
	v_add_co_ci_u32_e32 v192, vcc_lo, s7, v196, vcc_lo
	v_add_co_u32 v195, vcc_lo, v195, s4
	v_add_co_ci_u32_e32 v196, vcc_lo, s5, v196, vcc_lo
	s_waitcnt vmcnt(36) lgkmcnt(2)
	v_wmma_f32_16x16x16_bf16 v[183:190], v[33:40], v[129:136], v[183:190]
	s_waitcnt vmcnt(34)
	v_wmma_f32_16x16x16_bf16 v[137:144], v[25:32], v[129:136], v[137:144]
	s_clause 0x3
	global_load_b128 v[25:28], v[193:194], off
	global_load_b128 v[29:32], v[193:194], off offset:16
	global_load_b128 v[33:36], v[191:192], off
	global_load_b128 v[37:40], v[191:192], off offset:16
	v_and_b32_e32 v129, 0xe0, v0
	v_mbcnt_lo_u32_b32 v191, -1, 0
	s_waitcnt vmcnt(36) lgkmcnt(0)
	v_wmma_f32_16x16x16_bf16 v[183:190], v[9:16], v[159:166], v[183:190]
	s_clause 0x1
	global_load_b128 v[9:12], v[195:196], off
	global_load_b128 v[13:16], v[195:196], off offset:16
	s_waitcnt vmcnt(36)
	v_wmma_f32_16x16x16_bf16 v[137:144], v[151:158], v[159:166], v[137:144]
	v_add_nc_u32_e32 v192, s34, v129
	ds_load_b128 v[129:132], v197 offset:6144
	ds_load_b128 v[133:136], v197 offset:7168
	v_xor_b32_e32 v151, 16, v191
	s_waitcnt vmcnt(0) lgkmcnt(0)
	s_barrier
	v_or_b32_e32 v152, v192, v146
	buffer_gl0_inv
	v_cmp_gt_i32_e32 vcc_lo, 32, v151
	v_or_b32_e32 v153, 2, v152
	v_or_b32_e32 v154, 4, v152
	;; [unrolled: 1-line block ×5, first 2 shown]
	v_cmp_gt_i32_e64 s3, s33, v153
	v_cmp_gt_i32_e64 s4, s33, v154
	;; [unrolled: 1-line block ×3, first 2 shown]
	v_or_b32_e32 v158, 12, v152
	v_or_b32_e32 v159, 14, v152
	v_cmp_gt_i32_e64 s6, s33, v156
	v_wmma_f32_16x16x16_bf16 v[183:190], v[167:174], v[129:136], v[183:190]
	v_wmma_f32_16x16x16_bf16 v[137:144], v[175:182], v[129:136], v[137:144]
	v_cndmask_b32_e32 v151, v191, v151, vcc_lo
	v_cmp_gt_i32_e32 vcc_lo, s33, v152
	v_cmp_gt_i32_e64 s7, s33, v157
	v_dual_mul_f32 v135, s35, v184 :: v_dual_mul_f32 v136, s35, v183
	v_dual_mul_f32 v133, s35, v186 :: v_dual_mul_f32 v134, s35, v185
	;; [unrolled: 1-line block ×3, first 2 shown]
	s_delay_alu instid0(VALU_DEP_3) | instskip(NEXT) | instid1(VALU_DEP_4)
	v_cndmask_b32_e32 v136, 0xff7fffff, v136, vcc_lo
	v_cndmask_b32_e64 v135, 0xff7fffff, v135, s3
	v_mul_f32_e32 v132, s35, v187
	v_cndmask_b32_e64 v134, 0xff7fffff, v134, s4
	v_cndmask_b32_e64 v133, 0xff7fffff, v133, s5
	v_or_b32_e32 v160, 16, v152
	v_max3_f32 v135, v136, 0xff7fffff, v135
	v_or_b32_e32 v161, 18, v152
	v_mul_f32_e32 v130, s35, v189
	v_dual_mul_f32 v172, s35, v140 :: v_dual_mul_f32 v129, s35, v190
	v_cndmask_b32_e64 v132, 0xff7fffff, v132, s6
	v_cndmask_b32_e64 v131, 0xff7fffff, v131, s7
	v_max3_f32 v133, v135, v134, v133
	v_cmp_gt_i32_e64 s8, s33, v158
	v_lshlrev_b32_e32 v158, 2, v151
	v_cmp_gt_i32_e64 s9, s33, v159
	v_or_b32_e32 v162, 20, v152
	v_or_b32_e32 v163, 22, v152
	v_mul_f32_e32 v175, s35, v137
	v_cndmask_b32_e64 v130, 0xff7fffff, v130, s8
	v_cndmask_b32_e64 v129, 0xff7fffff, v129, s9
	v_max3_f32 v131, v133, v132, v131
	v_cmp_gt_i32_e64 s10, s33, v160
	v_cmp_gt_i32_e64 s11, s33, v161
	v_or_b32_e32 v164, 24, v152
	v_or_b32_e32 v165, 26, v152
	v_mul_f32_e32 v173, s35, v139
	v_cndmask_b32_e64 v132, 0xff7fffff, v175, s10
	v_cndmask_b32_e64 v133, 0xff7fffff, v174, s11
	v_max3_f32 v129, v131, v130, v129
	v_cmp_gt_i32_e64 s12, s33, v162
	v_cmp_gt_i32_e64 s13, s33, v163
	v_or_b32_e32 v166, 28, v152
	v_or_b32_e32 v167, 30, v152
	v_dual_mul_f32 v170, s35, v142 :: v_dual_mul_f32 v171, s35, v141
	v_cndmask_b32_e64 v130, 0xff7fffff, v173, s12
	v_cndmask_b32_e64 v131, 0xff7fffff, v172, s13
	v_max3_f32 v129, v129, v132, v133
	v_cmp_gt_i32_e64 s15, s33, v164
	v_cmp_gt_i32_e64 s16, s33, v165
	v_dual_mul_f32 v168, s35, v144 :: v_dual_mul_f32 v169, s35, v143
	s_delay_alu instid0(VALU_DEP_4) | instskip(NEXT) | instid1(VALU_DEP_4)
	v_max3_f32 v129, v129, v130, v131
	v_cndmask_b32_e64 v132, 0xff7fffff, v171, s15
	s_delay_alu instid0(VALU_DEP_4) | instskip(SKIP_2) | instid1(VALU_DEP_3)
	v_cndmask_b32_e64 v133, 0xff7fffff, v170, s16
	v_cmp_gt_i32_e64 s17, s33, v166
	v_cmp_gt_i32_e64 s18, s33, v167
	v_max3_f32 v129, v129, v132, v133
	s_delay_alu instid0(VALU_DEP_3) | instskip(NEXT) | instid1(VALU_DEP_3)
	v_cndmask_b32_e64 v130, 0xff7fffff, v169, s17
	v_cndmask_b32_e64 v131, 0xff7fffff, v168, s18
	s_delay_alu instid0(VALU_DEP_1) | instskip(SKIP_3) | instid1(VALU_DEP_1)
	v_max3_f32 v129, v129, v130, v131
	ds_bpermute_b32 v130, v158, v129
	s_waitcnt lgkmcnt(0)
	v_max_f32_e32 v130, v130, v130
	v_max_f32_e32 v129, v129, v130
	s_delay_alu instid0(VALU_DEP_1)
	v_fma_f32 v130, s35, v183, -v129
	v_fma_f32 v132, s35, v185, -v129
	v_fma_f32 v134, s35, v187, -v129
	v_fma_f32 v131, s35, v184, -v129
	v_fma_f32 v133, s35, v186, -v129
	v_mul_f32_e32 v130, 0x3fb8aa3b, v130
	v_mul_f32_e32 v132, 0x3fb8aa3b, v132
	;; [unrolled: 1-line block ×3, first 2 shown]
	v_fma_f32 v135, s35, v189, -v129
	s_delay_alu instid0(VALU_DEP_4) | instskip(NEXT) | instid1(VALU_DEP_3)
	v_exp_f32_e32 v130, v130
	v_exp_f32_e32 v132, v132
	s_delay_alu instid0(VALU_DEP_2) | instskip(NEXT) | instid1(TRANS32_DEP_3)
	v_exp_f32_e32 v134, v134
	v_cndmask_b32_e32 v152, 0, v130, vcc_lo
	v_fma_f32 v130, s35, v188, -v129
	s_waitcnt_depctr 0xfff
	v_cndmask_b32_e64 v153, 0, v132, s4
	v_fma_f32 v132, s35, v190, -v129
	v_mul_f32_e32 v131, 0x3fb8aa3b, v131
	v_cndmask_b32_e64 v155, 0, v134, s6
	v_dual_mul_f32 v130, 0x3fb8aa3b, v130 :: v_dual_mul_f32 v133, 0x3fb8aa3b, v133
	s_delay_alu instid0(VALU_DEP_4) | instskip(NEXT) | instid1(VALU_DEP_4)
	v_mul_f32_e32 v132, 0x3fb8aa3b, v132
	v_exp_f32_e32 v131, v131
	v_fma_f32 v134, s35, v138, -v129
	s_delay_alu instid0(VALU_DEP_3) | instskip(SKIP_2) | instid1(VALU_DEP_1)
	v_exp_f32_e32 v130, v130
	v_exp_f32_e32 v133, v133
	;; [unrolled: 1-line block ×3, first 2 shown]
	v_mul_f32_e32 v134, 0x3fb8aa3b, v134
	v_cndmask_b32_e64 v151, 0, v131, s3
	v_add_f32_e32 v131, 0, v152
	s_delay_alu instid0(TRANS32_DEP_3)
	v_cndmask_b32_e64 v156, 0, v130, s7
	s_waitcnt_depctr 0xfff
	v_cndmask_b32_e64 v154, 0, v133, s5
	v_fma_f32 v133, s35, v137, -v129
	v_exp_f32_e32 v134, v134
	v_add_f32_e32 v131, v131, v151
	s_mov_b32 s3, exec_lo
	s_delay_alu instid0(VALU_DEP_1) | instskip(NEXT) | instid1(VALU_DEP_1)
	v_add_f32_e32 v131, v131, v153
	v_add_f32_e32 v131, v131, v154
	s_delay_alu instid0(VALU_DEP_1) | instskip(SKIP_2) | instid1(VALU_DEP_3)
	v_add_f32_e32 v130, v131, v155
	v_fma_f32 v131, s35, v139, -v129
	v_fma_f32 v139, s35, v144, -v129
	v_dual_add_f32 v130, v130, v156 :: v_dual_mul_f32 v135, 0x3fb8aa3b, v135
	s_delay_alu instid0(VALU_DEP_1)
	v_exp_f32_e32 v135, v135
	s_waitcnt_depctr 0xfff
	v_cndmask_b32_e64 v157, 0, v135, s8
	v_fma_f32 v135, s35, v140, -v129
	v_cndmask_b32_e64 v140, 0, v132, s9
	v_fma_f32 v132, s35, v141, -v129
	s_delay_alu instid0(VALU_DEP_1) | instskip(SKIP_1) | instid1(VALU_DEP_2)
	v_dual_add_f32 v130, v130, v157 :: v_dual_mul_f32 v137, 0x3fb8aa3b, v132
	v_cndmask_b32_e64 v132, 0, v134, s11
	v_dual_add_f32 v130, v130, v140 :: v_dual_mul_f32 v133, 0x3fb8aa3b, v133
	v_mul_f32_e32 v131, 0x3fb8aa3b, v131
	v_fma_f32 v134, s35, v143, -v129
	v_mul_f32_e32 v135, 0x3fb8aa3b, v135
	s_delay_alu instid0(VALU_DEP_4) | instskip(NEXT) | instid1(VALU_DEP_3)
	v_exp_f32_e32 v133, v133
	v_exp_f32_e32 v136, v131
	s_waitcnt_depctr 0xfff
	v_cndmask_b32_e64 v131, 0, v133, s10
	v_fma_f32 v133, s35, v142, -v129
	s_delay_alu instid0(VALU_DEP_2) | instskip(NEXT) | instid1(VALU_DEP_2)
	v_add_f32_e32 v130, v130, v131
	v_mul_f32_e32 v138, 0x3fb8aa3b, v133
	v_cndmask_b32_e64 v133, 0, v136, s12
	v_mul_f32_e32 v136, 0x3fb8aa3b, v134
	v_exp_f32_e32 v135, v135
	v_add_f32_e32 v130, v130, v132
	v_exp_f32_e32 v138, v138
	s_delay_alu instid0(VALU_DEP_2) | instskip(NEXT) | instid1(VALU_DEP_1)
	v_exp_f32_e32 v141, v136
	v_add_f32_e32 v130, v130, v133
	v_exp_f32_e32 v137, v137
	v_cndmask_b32_e64 v134, 0, v135, s13
	s_delay_alu instid0(TRANS32_DEP_3) | instskip(NEXT) | instid1(VALU_DEP_2)
	v_cndmask_b32_e64 v136, 0, v138, s16
	v_add_f32_e32 v130, v130, v134
	s_waitcnt_depctr 0xfff
	v_cndmask_b32_e64 v135, 0, v137, s15
	v_mul_f32_e32 v137, 0x3fb8aa3b, v139
	s_delay_alu instid0(VALU_DEP_2) | instskip(NEXT) | instid1(VALU_DEP_2)
	v_add_f32_e32 v130, v130, v135
	v_exp_f32_e32 v138, v137
	v_cndmask_b32_e64 v137, 0, v141, s17
	s_delay_alu instid0(VALU_DEP_2) | instskip(NEXT) | instid1(VALU_DEP_1)
	v_add_f32_e32 v130, v130, v136
	v_add_f32_e32 v130, v130, v137
	s_waitcnt_depctr 0xfff
	v_cndmask_b32_e64 v138, 0, v138, s18
	s_delay_alu instid0(VALU_DEP_1)
	v_add_f32_e32 v130, v130, v138
	ds_bpermute_b32 v139, v158, v130
	v_cmpx_gt_u32_e32 16, v150
	s_cbranch_execz .LBB455_12
; %bb.11:
	v_mul_u32_u24_e32 v141, 0x44, v149
	s_delay_alu instid0(VALU_DEP_1) | instskip(SKIP_1) | instid1(VALU_DEP_1)
	v_lshl_add_u32 v141, v148, 2, v141
	s_waitcnt lgkmcnt(0)
	v_dual_add_f32 v130, v130, v139 :: v_dual_add_nc_u32 v139, 0x4000, v141
	ds_store_2addr_b32 v139, v129, v130 offset1:136
.LBB455_12:
	s_or_b32 exec_lo, exec_lo, s3
	v_lshlrev_b32_e32 v129, 2, v148
	s_waitcnt lgkmcnt(0)
	s_barrier
	buffer_gl0_inv
	v_cmp_eq_u32_e64 s3, 1, v149
	v_add_nc_u32_e32 v139, 0x4000, v129
	ds_load_2addr_b32 v[141:142], v139 offset1:17
	ds_load_2addr_b32 v[143:144], v139 offset0:34 offset1:51
	ds_load_2addr_b32 v[158:159], v139 offset0:68 offset1:85
	ds_load_2addr_b32 v[160:161], v139 offset0:102 offset1:119
	ds_load_2addr_b32 v[162:163], v139 offset0:136 offset1:153
	s_waitcnt lgkmcnt(4)
	v_max3_f32 v129, v141, 0xff7fffff, v142
	s_waitcnt lgkmcnt(3)
	s_delay_alu instid0(VALU_DEP_1) | instskip(SKIP_1) | instid1(VALU_DEP_1)
	v_max3_f32 v129, v129, v143, v144
	s_waitcnt lgkmcnt(2)
	v_max3_f32 v129, v129, v158, v159
	s_waitcnt lgkmcnt(1)
	s_delay_alu instid0(VALU_DEP_1) | instskip(NEXT) | instid1(VALU_DEP_1)
	v_max3_f32 v129, v129, v160, v161
	v_sub_f32_e32 v158, v158, v129
	s_delay_alu instid0(VALU_DEP_1) | instskip(NEXT) | instid1(VALU_DEP_1)
	v_dual_sub_f32 v150, v142, v129 :: v_dual_mul_f32 v167, 0x3fb8aa3b, v158
	v_dual_sub_f32 v143, v143, v129 :: v_dual_mul_f32 v150, 0x3fb8aa3b, v150
	s_delay_alu instid0(VALU_DEP_1) | instskip(NEXT) | instid1(VALU_DEP_2)
	v_dual_sub_f32 v130, v141, v129 :: v_dual_mul_f32 v165, 0x3fb8aa3b, v143
	v_exp_f32_e32 v150, v150
	s_delay_alu instid0(VALU_DEP_1) | instskip(NEXT) | instid1(VALU_DEP_2)
	v_mul_f32_e32 v130, 0x3fb8aa3b, v130
	v_exp_f32_e32 v165, v165
	s_delay_alu instid0(VALU_DEP_1) | instskip(SKIP_1) | instid1(VALU_DEP_1)
	v_exp_f32_e32 v164, v130
	v_sub_f32_e32 v130, v144, v129
	v_mul_f32_e32 v166, 0x3fb8aa3b, v130
	s_waitcnt lgkmcnt(0)
	s_waitcnt_depctr 0xfff
	v_fma_f32 v130, v164, v162, 0
	v_sub_f32_e32 v162, v159, v129
	s_delay_alu instid0(VALU_DEP_2)
	v_fmac_f32_e32 v130, v150, v163
	ds_load_2addr_b32 v[141:142], v139 offset0:170 offset1:187
	ds_load_2addr_b32 v[143:144], v139 offset0:204 offset1:221
	;; [unrolled: 1-line block ×3, first 2 shown]
	v_sub_f32_e32 v139, v160, v129
	v_exp_f32_e32 v166, v166
	v_mul_f32_e32 v160, 0x3fb8aa3b, v162
	v_exp_f32_e32 v162, v167
	v_cndmask_b32_e64 v150, v164, v150, s3
	v_mul_f32_e32 v139, 0x3fb8aa3b, v139
	v_cmp_eq_u32_e64 s3, 2, v149
	s_waitcnt lgkmcnt(0)
	s_barrier
	buffer_gl0_inv
	v_exp_f32_e32 v139, v139
	v_cndmask_b32_e64 v150, v150, v165, s3
	v_cmp_eq_u32_e64 s3, 3, v149
	v_fmac_f32_e32 v130, v165, v141
	v_sub_f32_e32 v141, v161, v129
	v_exp_f32_e32 v160, v160
	s_delay_alu instid0(VALU_DEP_3) | instskip(SKIP_1) | instid1(VALU_DEP_3)
	v_cndmask_b32_e64 v150, v150, v166, s3
	v_cmp_eq_u32_e64 s3, 4, v149
	v_dual_fmac_f32 v130, v166, v142 :: v_dual_mul_f32 v141, 0x3fb8aa3b, v141
	s_delay_alu instid0(VALU_DEP_2) | instskip(SKIP_1) | instid1(VALU_DEP_3)
	v_cndmask_b32_e64 v150, v150, v162, s3
	v_cmp_eq_u32_e64 s3, 5, v149
	v_exp_f32_e32 v141, v141
	s_delay_alu instid0(VALU_DEP_3)
	v_fmac_f32_e32 v130, v162, v143
	s_delay_alu instid0(TRANS32_DEP_2) | instid1(VALU_DEP_2)
	v_cndmask_b32_e64 v150, v150, v160, s3
	s_delay_alu instid0(VALU_DEP_2) | instskip(NEXT) | instid1(VALU_DEP_1)
	v_fmac_f32_e32 v130, v160, v144
	v_fmac_f32_e32 v130, v139, v158
	s_waitcnt_depctr 0xfff
	v_fmac_f32_e32 v130, v141, v159
	s_delay_alu instid0(VALU_DEP_1) | instskip(NEXT) | instid1(VALU_DEP_1)
	v_add_f32_e32 v142, 0x358637bd, v130
	v_div_scale_f32 v143, null, v142, v142, 1.0
	v_div_scale_f32 v159, vcc_lo, 1.0, v142, 1.0
	s_delay_alu instid0(VALU_DEP_2) | instskip(SKIP_2) | instid1(VALU_DEP_1)
	v_rcp_f32_e32 v144, v143
	s_waitcnt_depctr 0xfff
	v_fma_f32 v158, -v143, v144, 1.0
	v_fmac_f32_e32 v144, v158, v144
	s_delay_alu instid0(VALU_DEP_1) | instskip(NEXT) | instid1(VALU_DEP_1)
	v_mul_f32_e32 v158, v159, v144
	v_fma_f32 v161, -v143, v158, v159
	s_delay_alu instid0(VALU_DEP_1) | instskip(NEXT) | instid1(VALU_DEP_1)
	v_fmac_f32_e32 v158, v161, v144
	v_fma_f32 v143, -v143, v158, v159
	s_delay_alu instid0(VALU_DEP_1) | instskip(SKIP_1) | instid1(VALU_DEP_2)
	v_div_fmas_f32 v143, v143, v144, v158
	v_cmp_eq_u32_e32 vcc_lo, 6, v149
	v_div_fixup_f32 v142, v143, v142, 1.0
	v_cndmask_b32_e32 v139, v150, v139, vcc_lo
	v_cmp_eq_u32_e32 vcc_lo, 7, v149
	s_delay_alu instid0(VALU_DEP_2) | instskip(NEXT) | instid1(VALU_DEP_1)
	v_cndmask_b32_e32 v139, v139, v141, vcc_lo
	v_mul_f32_e32 v139, v139, v142
	s_delay_alu instid0(VALU_DEP_1) | instskip(SKIP_4) | instid1(VALU_DEP_4)
	v_mul_f32_e32 v153, v139, v153
	v_mul_f32_e32 v142, v139, v152
	;; [unrolled: 1-line block ×5, first 2 shown]
	v_dual_mul_f32 v152, v139, v155 :: v_dual_and_b32 v141, 0x7f800000, v142
	v_mul_f32_e32 v154, v139, v154
	v_mul_f32_e32 v144, v139, v151
	s_delay_alu instid0(VALU_DEP_3) | instskip(SKIP_1) | instid1(SALU_CYCLE_1)
	v_cmp_ne_u32_e32 vcc_lo, 0x7f800000, v141
                                        ; implicit-def: $vgpr141
	s_and_saveexec_b32 s3, vcc_lo
	s_xor_b32 s3, exec_lo, s3
; %bb.13:
	v_bfe_u32 v141, v142, 16, 1
	s_delay_alu instid0(VALU_DEP_1)
	v_add3_u32 v141, v142, v141, 0x7fff
                                        ; implicit-def: $vgpr142
; %bb.14:
	s_and_not1_saveexec_b32 s3, s3
; %bb.15:
	v_and_b32_e32 v141, 0xffff, v142
	v_or_b32_e32 v151, 0x10000, v142
	s_delay_alu instid0(VALU_DEP_2) | instskip(NEXT) | instid1(VALU_DEP_2)
	v_cmp_eq_u32_e32 vcc_lo, 0, v141
	v_cndmask_b32_e32 v141, v151, v142, vcc_lo
; %bb.16:
	s_or_b32 exec_lo, exec_lo, s3
	v_and_b32_e32 v142, 0x7f800000, v144
	s_delay_alu instid0(VALU_DEP_1) | instskip(SKIP_1) | instid1(SALU_CYCLE_1)
	v_cmp_ne_u32_e32 vcc_lo, 0x7f800000, v142
                                        ; implicit-def: $vgpr142
	s_and_saveexec_b32 s3, vcc_lo
	s_xor_b32 s3, exec_lo, s3
; %bb.17:
	v_bfe_u32 v142, v144, 16, 1
	s_delay_alu instid0(VALU_DEP_1)
	v_add3_u32 v142, v144, v142, 0x7fff
                                        ; implicit-def: $vgpr144
; %bb.18:
	s_and_not1_saveexec_b32 s3, s3
; %bb.19:
	v_and_b32_e32 v142, 0xffff, v144
	v_or_b32_e32 v151, 0x10000, v144
	s_delay_alu instid0(VALU_DEP_2) | instskip(NEXT) | instid1(VALU_DEP_2)
	v_cmp_eq_u32_e32 vcc_lo, 0, v142
	v_cndmask_b32_e32 v142, v151, v144, vcc_lo
; %bb.20:
	s_or_b32 exec_lo, exec_lo, s3
	v_and_b32_e32 v144, 0x7f800000, v153
	s_delay_alu instid0(VALU_DEP_1) | instskip(SKIP_1) | instid1(SALU_CYCLE_1)
	v_cmp_ne_u32_e32 vcc_lo, 0x7f800000, v144
                                        ; implicit-def: $vgpr144
	s_and_saveexec_b32 s3, vcc_lo
	s_xor_b32 s3, exec_lo, s3
; %bb.21:
	v_bfe_u32 v144, v153, 16, 1
	s_delay_alu instid0(VALU_DEP_1)
	v_add3_u32 v144, v153, v144, 0x7fff
                                        ; implicit-def: $vgpr153
; %bb.22:
	s_and_not1_saveexec_b32 s3, s3
; %bb.23:
	v_and_b32_e32 v144, 0xffff, v153
	v_or_b32_e32 v151, 0x10000, v153
	s_delay_alu instid0(VALU_DEP_2) | instskip(NEXT) | instid1(VALU_DEP_2)
	v_cmp_eq_u32_e32 vcc_lo, 0, v144
	v_cndmask_b32_e32 v144, v151, v153, vcc_lo
; %bb.24:
	s_or_b32 exec_lo, exec_lo, s3
	v_and_b32_e32 v151, 0x7f800000, v154
	s_delay_alu instid0(VALU_DEP_1) | instskip(SKIP_1) | instid1(SALU_CYCLE_1)
	v_cmp_ne_u32_e32 vcc_lo, 0x7f800000, v151
                                        ; implicit-def: $vgpr151
	s_and_saveexec_b32 s3, vcc_lo
	s_xor_b32 s3, exec_lo, s3
; %bb.25:
	v_bfe_u32 v151, v154, 16, 1
	s_delay_alu instid0(VALU_DEP_1)
	v_add3_u32 v151, v154, v151, 0x7fff
                                        ; implicit-def: $vgpr154
; %bb.26:
	s_and_not1_saveexec_b32 s3, s3
; %bb.27:
	v_and_b32_e32 v151, 0xffff, v154
	v_or_b32_e32 v153, 0x10000, v154
	s_delay_alu instid0(VALU_DEP_2) | instskip(NEXT) | instid1(VALU_DEP_2)
	v_cmp_eq_u32_e32 vcc_lo, 0, v151
	v_cndmask_b32_e32 v151, v153, v154, vcc_lo
; %bb.28:
	s_or_b32 exec_lo, exec_lo, s3
	v_and_b32_e32 v153, 0x7f800000, v152
	s_delay_alu instid0(VALU_DEP_1) | instskip(SKIP_1) | instid1(SALU_CYCLE_1)
	v_cmp_ne_u32_e32 vcc_lo, 0x7f800000, v153
                                        ; implicit-def: $vgpr153
	s_and_saveexec_b32 s3, vcc_lo
	s_xor_b32 s3, exec_lo, s3
; %bb.29:
	v_bfe_u32 v153, v152, 16, 1
	s_delay_alu instid0(VALU_DEP_1)
	v_add3_u32 v153, v152, v153, 0x7fff
                                        ; implicit-def: $vgpr152
; %bb.30:
	s_and_not1_saveexec_b32 s3, s3
; %bb.31:
	v_and_b32_e32 v153, 0xffff, v152
	v_or_b32_e32 v154, 0x10000, v152
	s_delay_alu instid0(VALU_DEP_2) | instskip(NEXT) | instid1(VALU_DEP_2)
	v_cmp_eq_u32_e32 vcc_lo, 0, v153
	v_cndmask_b32_e32 v153, v154, v152, vcc_lo
; %bb.32:
	s_or_b32 exec_lo, exec_lo, s3
	v_and_b32_e32 v152, 0x7f800000, v150
	s_delay_alu instid0(VALU_DEP_1) | instskip(SKIP_1) | instid1(SALU_CYCLE_1)
	v_cmp_ne_u32_e32 vcc_lo, 0x7f800000, v152
                                        ; implicit-def: $vgpr152
	s_and_saveexec_b32 s3, vcc_lo
	s_xor_b32 s3, exec_lo, s3
; %bb.33:
	v_bfe_u32 v152, v150, 16, 1
	s_delay_alu instid0(VALU_DEP_1)
	v_add3_u32 v152, v150, v152, 0x7fff
                                        ; implicit-def: $vgpr150
; %bb.34:
	s_and_not1_saveexec_b32 s3, s3
; %bb.35:
	v_and_b32_e32 v152, 0xffff, v150
	v_or_b32_e32 v154, 0x10000, v150
	s_delay_alu instid0(VALU_DEP_2) | instskip(NEXT) | instid1(VALU_DEP_2)
	v_cmp_eq_u32_e32 vcc_lo, 0, v152
	v_cndmask_b32_e32 v152, v154, v150, vcc_lo
; %bb.36:
	s_or_b32 exec_lo, exec_lo, s3
	v_and_b32_e32 v150, 0x7f800000, v143
	s_delay_alu instid0(VALU_DEP_1) | instskip(SKIP_1) | instid1(SALU_CYCLE_1)
	v_cmp_ne_u32_e32 vcc_lo, 0x7f800000, v150
                                        ; implicit-def: $vgpr150
	s_and_saveexec_b32 s3, vcc_lo
	s_xor_b32 s3, exec_lo, s3
; %bb.37:
	v_bfe_u32 v150, v143, 16, 1
	s_delay_alu instid0(VALU_DEP_1)
	v_add3_u32 v150, v143, v150, 0x7fff
                                        ; implicit-def: $vgpr143
; %bb.38:
	s_and_not1_saveexec_b32 s3, s3
; %bb.39:
	v_and_b32_e32 v150, 0xffff, v143
	v_or_b32_e32 v154, 0x10000, v143
	s_delay_alu instid0(VALU_DEP_2) | instskip(NEXT) | instid1(VALU_DEP_2)
	v_cmp_eq_u32_e32 vcc_lo, 0, v150
	v_cndmask_b32_e32 v150, v154, v143, vcc_lo
; %bb.40:
	s_or_b32 exec_lo, exec_lo, s3
	v_and_b32_e32 v143, 0x7f800000, v140
	s_delay_alu instid0(VALU_DEP_1) | instskip(SKIP_1) | instid1(SALU_CYCLE_1)
	v_cmp_ne_u32_e32 vcc_lo, 0x7f800000, v143
                                        ; implicit-def: $vgpr143
	s_and_saveexec_b32 s3, vcc_lo
	s_xor_b32 s3, exec_lo, s3
; %bb.41:
	v_bfe_u32 v143, v140, 16, 1
	s_delay_alu instid0(VALU_DEP_1)
	v_add3_u32 v143, v140, v143, 0x7fff
                                        ; implicit-def: $vgpr140
; %bb.42:
	s_and_not1_saveexec_b32 s3, s3
; %bb.43:
	v_and_b32_e32 v143, 0xffff, v140
	v_or_b32_e32 v154, 0x10000, v140
	s_delay_alu instid0(VALU_DEP_2) | instskip(NEXT) | instid1(VALU_DEP_2)
	v_cmp_eq_u32_e32 vcc_lo, 0, v143
	v_cndmask_b32_e32 v143, v154, v140, vcc_lo
; %bb.44:
	s_or_b32 exec_lo, exec_lo, s3
	s_load_b64 s[34:35], s[0:1], 0x94
	v_dual_mul_f32 v136, v139, v136 :: v_dual_lshlrev_b32 v155, 4, v146
	s_delay_alu instid0(VALU_DEP_2)
	v_perm_b32 v154, v143, v150, 0x7060302
	v_dual_mul_f32 v143, v139, v131 :: v_dual_lshlrev_b32 v140, 6, v148
	v_dual_mul_f32 v135, v139, v135 :: v_dual_lshlrev_b32 v150, 11, v149
	v_perm_b32 v153, v152, v153, 0x7060302
	v_perm_b32 v152, v151, v144, 0x7060302
	;; [unrolled: 1-line block ×3, first 2 shown]
	s_delay_alu instid0(VALU_DEP_4)
	v_or3_b32 v131, v155, v150, v140
	v_mul_f32_e32 v138, v139, v138
	v_dual_mul_f32 v137, v139, v137 :: v_dual_and_b32 v144, 0x7f800000, v143
	v_mul_f32_e32 v141, v139, v134
	v_mul_f32_e32 v142, v139, v133
	;; [unrolled: 1-line block ×3, first 2 shown]
	s_mov_b32 s3, exec_lo
	ds_store_b128 v131, v[151:154]
                                        ; implicit-def: $vgpr132
	v_cmpx_ne_u32_e32 0x7f800000, v144
	s_xor_b32 s3, exec_lo, s3
; %bb.45:
	v_bfe_u32 v132, v143, 16, 1
	s_delay_alu instid0(VALU_DEP_1)
	v_add3_u32 v132, v143, v132, 0x7fff
                                        ; implicit-def: $vgpr143
; %bb.46:
	s_and_not1_saveexec_b32 s3, s3
; %bb.47:
	v_and_b32_e32 v132, 0xffff, v143
	v_or_b32_e32 v133, 0x10000, v143
	s_delay_alu instid0(VALU_DEP_2) | instskip(NEXT) | instid1(VALU_DEP_2)
	v_cmp_eq_u32_e32 vcc_lo, 0, v132
	v_cndmask_b32_e32 v132, v133, v143, vcc_lo
; %bb.48:
	s_or_b32 exec_lo, exec_lo, s3
	v_and_b32_e32 v133, 0x7f800000, v134
	s_delay_alu instid0(VALU_DEP_1) | instskip(SKIP_1) | instid1(SALU_CYCLE_1)
	v_cmp_ne_u32_e32 vcc_lo, 0x7f800000, v133
                                        ; implicit-def: $vgpr133
	s_and_saveexec_b32 s3, vcc_lo
	s_xor_b32 s3, exec_lo, s3
; %bb.49:
	v_bfe_u32 v133, v134, 16, 1
	s_delay_alu instid0(VALU_DEP_1)
	v_add3_u32 v133, v134, v133, 0x7fff
                                        ; implicit-def: $vgpr134
; %bb.50:
	s_and_not1_saveexec_b32 s3, s3
; %bb.51:
	v_and_b32_e32 v133, 0xffff, v134
	v_or_b32_e32 v139, 0x10000, v134
	s_delay_alu instid0(VALU_DEP_2) | instskip(NEXT) | instid1(VALU_DEP_2)
	v_cmp_eq_u32_e32 vcc_lo, 0, v133
	v_cndmask_b32_e32 v133, v139, v134, vcc_lo
; %bb.52:
	s_or_b32 exec_lo, exec_lo, s3
	v_and_b32_e32 v134, 0x7f800000, v142
	s_delay_alu instid0(VALU_DEP_1) | instskip(SKIP_1) | instid1(SALU_CYCLE_1)
	v_cmp_ne_u32_e32 vcc_lo, 0x7f800000, v134
                                        ; implicit-def: $vgpr134
	s_and_saveexec_b32 s3, vcc_lo
	s_xor_b32 s3, exec_lo, s3
; %bb.53:
	v_bfe_u32 v134, v142, 16, 1
	s_delay_alu instid0(VALU_DEP_1)
	v_add3_u32 v134, v142, v134, 0x7fff
                                        ; implicit-def: $vgpr142
; %bb.54:
	s_and_not1_saveexec_b32 s3, s3
; %bb.55:
	v_and_b32_e32 v134, 0xffff, v142
	v_or_b32_e32 v139, 0x10000, v142
	s_delay_alu instid0(VALU_DEP_2) | instskip(NEXT) | instid1(VALU_DEP_2)
	v_cmp_eq_u32_e32 vcc_lo, 0, v134
	v_cndmask_b32_e32 v134, v139, v142, vcc_lo
; %bb.56:
	s_or_b32 exec_lo, exec_lo, s3
	v_and_b32_e32 v139, 0x7f800000, v141
	s_delay_alu instid0(VALU_DEP_1) | instskip(SKIP_1) | instid1(SALU_CYCLE_1)
	v_cmp_ne_u32_e32 vcc_lo, 0x7f800000, v139
                                        ; implicit-def: $vgpr139
	s_and_saveexec_b32 s3, vcc_lo
	s_xor_b32 s3, exec_lo, s3
; %bb.57:
	v_bfe_u32 v139, v141, 16, 1
	s_delay_alu instid0(VALU_DEP_1)
	v_add3_u32 v139, v141, v139, 0x7fff
                                        ; implicit-def: $vgpr141
; %bb.58:
	s_and_not1_saveexec_b32 s3, s3
; %bb.59:
	v_and_b32_e32 v139, 0xffff, v141
	v_or_b32_e32 v142, 0x10000, v141
	s_delay_alu instid0(VALU_DEP_2) | instskip(NEXT) | instid1(VALU_DEP_2)
	v_cmp_eq_u32_e32 vcc_lo, 0, v139
	v_cndmask_b32_e32 v139, v142, v141, vcc_lo
; %bb.60:
	s_or_b32 exec_lo, exec_lo, s3
	v_and_b32_e32 v141, 0x7f800000, v135
	s_delay_alu instid0(VALU_DEP_1) | instskip(SKIP_1) | instid1(SALU_CYCLE_1)
	v_cmp_ne_u32_e32 vcc_lo, 0x7f800000, v141
                                        ; implicit-def: $vgpr141
	s_and_saveexec_b32 s3, vcc_lo
	s_xor_b32 s3, exec_lo, s3
; %bb.61:
	v_bfe_u32 v141, v135, 16, 1
	s_delay_alu instid0(VALU_DEP_1)
	v_add3_u32 v141, v135, v141, 0x7fff
                                        ; implicit-def: $vgpr135
; %bb.62:
	s_and_not1_saveexec_b32 s3, s3
; %bb.63:
	v_and_b32_e32 v141, 0xffff, v135
	v_or_b32_e32 v142, 0x10000, v135
	s_delay_alu instid0(VALU_DEP_2) | instskip(NEXT) | instid1(VALU_DEP_2)
	v_cmp_eq_u32_e32 vcc_lo, 0, v141
	v_cndmask_b32_e32 v141, v142, v135, vcc_lo
; %bb.64:
	s_or_b32 exec_lo, exec_lo, s3
	v_and_b32_e32 v135, 0x7f800000, v136
	s_delay_alu instid0(VALU_DEP_1) | instskip(SKIP_1) | instid1(SALU_CYCLE_1)
	v_cmp_ne_u32_e32 vcc_lo, 0x7f800000, v135
                                        ; implicit-def: $vgpr135
	s_and_saveexec_b32 s3, vcc_lo
	s_xor_b32 s3, exec_lo, s3
; %bb.65:
	v_bfe_u32 v135, v136, 16, 1
	s_delay_alu instid0(VALU_DEP_1)
	v_add3_u32 v135, v136, v135, 0x7fff
                                        ; implicit-def: $vgpr136
; %bb.66:
	s_and_not1_saveexec_b32 s3, s3
; %bb.67:
	v_and_b32_e32 v135, 0xffff, v136
	v_or_b32_e32 v142, 0x10000, v136
	s_delay_alu instid0(VALU_DEP_2) | instskip(NEXT) | instid1(VALU_DEP_2)
	v_cmp_eq_u32_e32 vcc_lo, 0, v135
	v_cndmask_b32_e32 v135, v142, v136, vcc_lo
; %bb.68:
	s_or_b32 exec_lo, exec_lo, s3
	v_and_b32_e32 v136, 0x7f800000, v137
	s_delay_alu instid0(VALU_DEP_1) | instskip(SKIP_1) | instid1(SALU_CYCLE_1)
	v_cmp_ne_u32_e32 vcc_lo, 0x7f800000, v136
                                        ; implicit-def: $vgpr136
	s_and_saveexec_b32 s3, vcc_lo
	s_xor_b32 s3, exec_lo, s3
; %bb.69:
	v_bfe_u32 v136, v137, 16, 1
	s_delay_alu instid0(VALU_DEP_1)
	v_add3_u32 v136, v137, v136, 0x7fff
                                        ; implicit-def: $vgpr137
; %bb.70:
	s_and_not1_saveexec_b32 s3, s3
; %bb.71:
	v_and_b32_e32 v136, 0xffff, v137
	v_or_b32_e32 v142, 0x10000, v137
	s_delay_alu instid0(VALU_DEP_2) | instskip(NEXT) | instid1(VALU_DEP_2)
	v_cmp_eq_u32_e32 vcc_lo, 0, v136
	v_cndmask_b32_e32 v136, v142, v137, vcc_lo
; %bb.72:
	s_or_b32 exec_lo, exec_lo, s3
	v_and_b32_e32 v137, 0x7f800000, v138
	s_delay_alu instid0(VALU_DEP_1) | instskip(SKIP_1) | instid1(SALU_CYCLE_1)
	v_cmp_ne_u32_e32 vcc_lo, 0x7f800000, v137
                                        ; implicit-def: $vgpr137
	s_and_saveexec_b32 s3, vcc_lo
	s_xor_b32 s3, exec_lo, s3
; %bb.73:
	v_bfe_u32 v137, v138, 16, 1
	s_delay_alu instid0(VALU_DEP_1)
	v_add3_u32 v137, v138, v137, 0x7fff
                                        ; implicit-def: $vgpr138
; %bb.74:
	s_and_not1_saveexec_b32 s3, s3
; %bb.75:
	v_and_b32_e32 v137, 0xffff, v138
	v_or_b32_e32 v142, 0x10000, v138
	s_delay_alu instid0(VALU_DEP_2) | instskip(NEXT) | instid1(VALU_DEP_2)
	v_cmp_eq_u32_e32 vcc_lo, 0, v137
	v_cndmask_b32_e32 v137, v142, v138, vcc_lo
; %bb.76:
	s_or_b32 exec_lo, exec_lo, s3
	s_delay_alu instid0(VALU_DEP_1)
	v_perm_b32 v136, v137, v136, 0x7060302
	v_perm_b32 v135, v135, v141, 0x7060302
	;; [unrolled: 1-line block ×4, first 2 shown]
	v_lshl_or_b32 v141, v149, 11, v140
	ds_store_b128 v131, v[133:136] offset:1024
	s_waitcnt lgkmcnt(0)
	s_barrier
	buffer_gl0_inv
	ds_load_b128 v[132:135], v141
	ds_load_b128 v[149:152], v141 offset:16
	s_waitcnt lgkmcnt(1)
	v_lshrrev_b32_e32 v136, 16, v132
	s_waitcnt lgkmcnt(0)
	v_lshrrev_b32_e32 v164, 16, v151
	v_lshlrev_b32_e32 v138, 2, v146
	v_lshrrev_b32_e32 v143, 16, v149
	v_lshrrev_b32_e32 v162, 16, v150
	;; [unrolled: 1-line block ×4, first 2 shown]
	v_or_b32_e32 v139, 1, v138
	v_lshrrev_b32_e32 v165, 16, v152
	v_lshrrev_b32_e32 v163, 16, v135
	s_delay_alu instid0(VALU_DEP_3)
	v_cmp_eq_u32_e64 s7, 1, v139
	v_cmp_eq_u32_e64 s6, 2, v139
	;; [unrolled: 1-line block ×4, first 2 shown]
	v_cmp_eq_u32_e32 vcc_lo, 5, v139
	v_cndmask_b32_e64 v155, v149, v143, s7
	v_cndmask_b32_e64 v154, v132, v136, s7
	v_cmp_eq_u32_e64 s4, 6, v139
	v_cmp_eq_u32_e64 s19, 7, v139
	s_delay_alu instid0(VALU_DEP_4) | instskip(NEXT) | instid1(VALU_DEP_4)
	v_cndmask_b32_e64 v155, v155, v150, s6
	v_cndmask_b32_e64 v154, v154, v133, s6
	s_delay_alu instid0(VALU_DEP_2) | instskip(NEXT) | instid1(VALU_DEP_2)
	v_cndmask_b32_e64 v155, v155, v162, s5
	v_cndmask_b32_e64 v154, v154, v144, s5
	s_delay_alu instid0(VALU_DEP_2) | instskip(NEXT) | instid1(VALU_DEP_2)
	v_cndmask_b32_e64 v155, v155, v151, s3
	v_cndmask_b32_e64 v154, v154, v134, s3
	s_delay_alu instid0(VALU_DEP_2)
	v_cndmask_b32_e32 v157, v155, v164, vcc_lo
	v_cmp_eq_u32_e64 s12, 1, v138
	v_cmp_eq_u32_e64 s11, 2, v138
	;; [unrolled: 1-line block ×3, first 2 shown]
	v_or_b32_e32 v137, 2, v138
	v_cmp_eq_u32_e64 s17, 4, v138
	v_cndmask_b32_e64 v153, v149, v143, s12
	v_cndmask_b32_e64 v142, v132, v136, s12
	v_cmp_eq_u32_e64 s13, 5, v138
	v_cmp_eq_u32_e64 s8, 1, v137
	;; [unrolled: 1-line block ×3, first 2 shown]
	v_cndmask_b32_e64 v153, v153, v150, s11
	v_cndmask_b32_e64 v142, v142, v133, s11
	v_cmp_eq_u32_e64 s10, 2, v137
	v_cndmask_b32_e64 v156, v132, v136, s8
	v_cndmask_b32_e32 v154, v154, v161, vcc_lo
	v_cndmask_b32_e64 v153, v153, v162, s16
	v_cndmask_b32_e64 v142, v142, v144, s16
	v_cmp_eq_u32_e64 s9, 7, v138
	v_cndmask_b32_e64 v156, v156, v133, s10
	v_cmp_eq_u32_e64 s18, 3, v137
	v_cndmask_b32_e64 v153, v153, v151, s17
	v_cndmask_b32_e64 v142, v142, v134, s17
	;; [unrolled: 1-line block ×3, first 2 shown]
	v_cmp_eq_u32_e64 s20, 4, v137
	v_cndmask_b32_e64 v156, v156, v144, s18
	v_cndmask_b32_e64 v153, v153, v164, s13
	;; [unrolled: 1-line block ×4, first 2 shown]
	v_cmp_eq_u32_e64 s22, 5, v137
	v_cndmask_b32_e64 v159, v156, v134, s20
	v_cndmask_b32_e64 v153, v153, v152, s15
	;; [unrolled: 1-line block ×3, first 2 shown]
	v_cmp_eq_u32_e64 s25, 6, v137
	v_cmp_eq_u32_e64 s27, 7, v137
	v_cndmask_b32_e64 v169, v159, v161, s22
	v_cndmask_b32_e64 v167, v153, v165, s9
	;; [unrolled: 1-line block ×4, first 2 shown]
	v_or_b32_e32 v142, 3, v138
	s_delay_alu instid0(VALU_DEP_3)
	v_cndmask_b32_e64 v158, v153, v150, s10
	ds_load_b128 v[153:156], v141 offset:1024
	v_cmp_eq_u32_e64 s21, 1, v142
	v_cmp_eq_u32_e64 s23, 2, v142
	;; [unrolled: 1-line block ×3, first 2 shown]
	v_cndmask_b32_e64 v158, v158, v162, s18
	v_cmp_eq_u32_e64 s26, 4, v142
	v_cndmask_b32_e64 v132, v132, v136, s21
	v_cndmask_b32_e64 v136, v157, v152, s4
	;; [unrolled: 1-line block ×4, first 2 shown]
	ds_load_b128 v[157:160], v141 offset:1040
	v_cndmask_b32_e64 v132, v132, v133, s23
	v_cmp_eq_u32_e64 s28, 5, v142
	v_cndmask_b32_e64 v143, v143, v150, s23
	v_cmp_eq_u32_e64 s29, 6, v142
	v_cndmask_b32_e64 v133, v170, v164, s22
	v_cndmask_b32_e64 v132, v132, v144, s24
	;; [unrolled: 1-line block ×5, first 2 shown]
	s_waitcnt lgkmcnt(1)
	v_lshrrev_b32_e32 v149, 16, v153
	v_cndmask_b32_e64 v132, v132, v134, s26
	v_cndmask_b32_e64 v133, v133, v152, s25
	;; [unrolled: 1-line block ×3, first 2 shown]
	v_lshrrev_b32_e32 v151, 16, v154
	v_cndmask_b32_e64 v143, v153, v149, s12
	v_cndmask_b32_e64 v132, v132, v161, s28
	;; [unrolled: 1-line block ×5, first 2 shown]
	s_waitcnt lgkmcnt(0)
	v_lshrrev_b32_e32 v150, 16, v157
	v_cndmask_b32_e64 v143, v143, v154, s11
	v_cndmask_b32_e64 v132, v132, v135, s29
	;; [unrolled: 1-line block ×3, first 2 shown]
	v_lshrrev_b32_e32 v164, 16, v159
	v_cndmask_b32_e64 v162, v157, v150, s12
	v_cndmask_b32_e64 v135, v143, v151, s16
	;; [unrolled: 1-line block ×3, first 2 shown]
	v_lshrrev_b32_e32 v161, 16, v158
	v_cndmask_b32_e64 v133, v133, v165, s27
	v_cndmask_b32_e64 v152, v162, v158, s11
	v_cmp_eq_u32_e64 s11, 7, v142
	v_cndmask_b32_e64 v143, v143, v151, s5
	v_cndmask_b32_e64 v135, v135, v155, s17
	v_lshrrev_b32_e32 v162, 16, v155
	v_cndmask_b32_e64 v152, v152, v161, s16
	v_cndmask_b32_e64 v132, v132, v163, s11
	v_cndmask_b32_e64 v134, v134, v165, s11
	v_cndmask_b32_e64 v143, v143, v155, s3
	v_cndmask_b32_e64 v163, v135, v162, s13
	v_cndmask_b32_e64 v152, v152, v159, s17
	s_delay_alu instid0(VALU_DEP_4) | instskip(NEXT) | instid1(VALU_DEP_4)
	v_perm_b32 v135, v134, v132, 0x5040100
	v_cndmask_b32_e32 v132, v143, v162, vcc_lo
	s_delay_alu instid0(VALU_DEP_4)
	v_cndmask_b32_e64 v143, v163, v156, s15
	v_lshrrev_b32_e32 v163, 16, v156
	v_cndmask_b32_e64 v152, v152, v164, s13
	v_perm_b32 v134, v133, v144, 0x5040100
	v_cndmask_b32_e64 v132, v132, v156, s4
	v_perm_b32 v133, v136, v168, 0x5040100
	v_cndmask_b32_e64 v136, v143, v163, s9
	v_cndmask_b32_e64 v143, v152, v160, s15
	;; [unrolled: 1-line block ×13, first 2 shown]
	v_lshrrev_b32_e32 v144, 16, v160
	v_cndmask_b32_e64 v132, v132, v151, s18
	v_cndmask_b32_e64 v149, v149, v151, s24
	;; [unrolled: 1-line block ×14, first 2 shown]
	v_cndmask_b32_e32 v150, v150, v164, vcc_lo
	v_cndmask_b32_e64 v132, v132, v156, s25
	v_cndmask_b32_e64 v149, v149, v156, s29
	;; [unrolled: 1-line block ×11, first 2 shown]
	v_perm_b32 v132, v167, v166, 0x5040100
	v_perm_b32 v152, v151, v149, 0x5040100
	;; [unrolled: 1-line block ×5, first 2 shown]
	s_mul_i32 s8, s35, 14
	s_mov_b32 s3, exec_lo
	ds_store_b128 v131, v[132:135]
	ds_store_b128 v131, v[149:152] offset:1024
	v_cmpx_gt_u32_e32 14, v0
	s_cbranch_execz .LBB455_78
; %bb.77:
	s_mul_i32 s4, s8, s30
	s_delay_alu instid0(SALU_CYCLE_1) | instskip(SKIP_1) | instid1(VALU_DEP_1)
	v_add3_u32 v133, s4, s31, v148
	s_load_b128 s[4:7], s[0:1], 0x58
	v_mad_u64_u32 v[131:132], null, v133, s34, s[14:15]
	s_delay_alu instid0(VALU_DEP_1) | instskip(NEXT) | instid1(VALU_DEP_1)
	v_ashrrev_i32_e32 v132, 31, v131
	v_lshlrev_b64 v[131:132], 2, v[131:132]
	s_waitcnt lgkmcnt(0)
	s_delay_alu instid0(VALU_DEP_1) | instskip(NEXT) | instid1(VALU_DEP_2)
	v_add_co_u32 v133, vcc_lo, s6, v131
	v_add_co_ci_u32_e32 v134, vcc_lo, s7, v132, vcc_lo
	v_add_co_u32 v131, vcc_lo, s4, v131
	v_add_co_ci_u32_e32 v132, vcc_lo, s5, v132, vcc_lo
	global_store_b32 v[133:134], v129, off
	global_store_b32 v[131:132], v130, off
.LBB455_78:
	s_or_b32 exec_lo, exec_lo, s3
	s_waitcnt lgkmcnt(0)
	s_waitcnt_vscnt null, 0x0
	s_barrier
	buffer_gl0_inv
	ds_load_b128 v[148:151], v140
	ds_load_b128 v[152:155], v140 offset:16
	ds_load_b128 v[160:163], v140 offset:1040
	;; [unrolled: 1-line block ×3, first 2 shown]
	v_mov_b32_e32 v129, 0
	ds_load_b128 v[168:171], v140 offset:2064
	ds_load_b128 v[164:167], v140 offset:2048
	;; [unrolled: 1-line block ×6, first 2 shown]
	v_mov_b32_e32 v130, v129
	v_mov_b32_e32 v131, v129
	;; [unrolled: 1-line block ×7, first 2 shown]
	s_waitcnt lgkmcnt(8)
	s_delay_alu instid0(VALU_DEP_1)
	v_wmma_f32_16x16x16_bf16 v[129:136], v[121:128], v[148:155], v[129:136]
	ds_load_b128 v[125:128], v140 offset:5136
	ds_load_b128 v[121:124], v140 offset:5120
	s_waitcnt lgkmcnt(8)
	v_wmma_f32_16x16x16_bf16 v[129:136], v[113:120], v[156:163], v[129:136]
	ds_load_b128 v[117:120], v140 offset:6160
	ds_load_b128 v[113:116], v140 offset:6144
	s_waitcnt lgkmcnt(8)
	v_wmma_f32_16x16x16_bf16 v[129:136], v[105:112], v[164:171], v[129:136]
	ds_load_b128 v[109:112], v140 offset:7184
	ds_load_b128 v[105:108], v140 offset:7168
	s_waitcnt lgkmcnt(8)
	v_wmma_f32_16x16x16_bf16 v[129:136], v[97:104], v[172:179], v[129:136]
	ds_load_b128 v[101:104], v140 offset:8208
	ds_load_b128 v[97:100], v140 offset:8192
	s_waitcnt lgkmcnt(8)
	v_wmma_f32_16x16x16_bf16 v[129:136], v[89:96], v[180:187], v[129:136]
	ds_load_b128 v[93:96], v140 offset:9232
	ds_load_b128 v[89:92], v140 offset:9216
	s_waitcnt lgkmcnt(8)
	v_wmma_f32_16x16x16_bf16 v[129:136], v[81:88], v[121:128], v[129:136]
	ds_load_b128 v[85:88], v140 offset:10256
	ds_load_b128 v[81:84], v140 offset:10240
	s_waitcnt lgkmcnt(8)
	v_wmma_f32_16x16x16_bf16 v[129:136], v[73:80], v[113:120], v[129:136]
	ds_load_b128 v[77:80], v140 offset:11280
	ds_load_b128 v[73:76], v140 offset:11264
	s_waitcnt lgkmcnt(8)
	v_wmma_f32_16x16x16_bf16 v[129:136], v[57:64], v[105:112], v[129:136]
	ds_load_b128 v[61:64], v140 offset:12304
	ds_load_b128 v[57:60], v140 offset:12288
	s_waitcnt lgkmcnt(8)
	v_wmma_f32_16x16x16_bf16 v[129:136], v[65:72], v[97:104], v[129:136]
	s_waitcnt lgkmcnt(6)
	s_delay_alu instid0(VALU_DEP_1)
	v_wmma_f32_16x16x16_bf16 v[129:136], v[49:56], v[89:96], v[129:136]
	ds_load_b128 v[53:56], v140 offset:13328
	ds_load_b128 v[49:52], v140 offset:13312
	s_waitcnt lgkmcnt(6)
	v_wmma_f32_16x16x16_bf16 v[129:136], v[41:48], v[81:88], v[129:136]
	ds_load_b128 v[45:48], v140 offset:14352
	ds_load_b128 v[41:44], v140 offset:14336
	s_waitcnt lgkmcnt(6)
	;; [unrolled: 4-line block ×3, first 2 shown]
	v_wmma_f32_16x16x16_bf16 v[129:136], v[1:8], v[57:64], v[129:136]
	s_waitcnt lgkmcnt(4)
	s_delay_alu instid0(VALU_DEP_1) | instskip(SKIP_1) | instid1(VALU_DEP_1)
	v_wmma_f32_16x16x16_bf16 v[129:136], v[25:32], v[49:56], v[129:136]
	s_waitcnt lgkmcnt(2)
	v_wmma_f32_16x16x16_bf16 v[129:136], v[33:40], v[41:48], v[129:136]
	s_waitcnt lgkmcnt(0)
	s_delay_alu instid0(VALU_DEP_1) | instskip(NEXT) | instid1(VALU_DEP_1)
	v_wmma_f32_16x16x16_bf16 v[129:136], v[9:16], v[17:24], v[129:136]
	v_and_b32_e32 v1, 0x7f800000, v129
	s_delay_alu instid0(VALU_DEP_1) | instskip(SKIP_1) | instid1(SALU_CYCLE_1)
	v_cmp_ne_u32_e32 vcc_lo, 0x7f800000, v1
                                        ; implicit-def: $vgpr1
	s_and_saveexec_b32 s3, vcc_lo
	s_xor_b32 s3, exec_lo, s3
; %bb.79:
	v_bfe_u32 v1, v129, 16, 1
	s_delay_alu instid0(VALU_DEP_1)
	v_add3_u32 v1, v129, v1, 0x7fff
; %bb.80:
	s_and_not1_saveexec_b32 s3, s3
; %bb.81:
	v_and_b32_e32 v1, 0xffff, v129
	v_or_b32_e32 v2, 0x10000, v129
	s_delay_alu instid0(VALU_DEP_2) | instskip(NEXT) | instid1(VALU_DEP_2)
	v_cmp_eq_u32_e32 vcc_lo, 0, v1
	v_cndmask_b32_e32 v1, v2, v129, vcc_lo
; %bb.82:
	s_or_b32 exec_lo, exec_lo, s3
	v_and_b32_e32 v2, 0x7f800000, v130
	s_delay_alu instid0(VALU_DEP_1) | instskip(SKIP_1) | instid1(SALU_CYCLE_1)
	v_cmp_ne_u32_e32 vcc_lo, 0x7f800000, v2
                                        ; implicit-def: $vgpr2
	s_and_saveexec_b32 s3, vcc_lo
	s_xor_b32 s3, exec_lo, s3
; %bb.83:
	v_bfe_u32 v2, v130, 16, 1
	s_delay_alu instid0(VALU_DEP_1)
	v_add3_u32 v2, v130, v2, 0x7fff
; %bb.84:
	s_and_not1_saveexec_b32 s3, s3
; %bb.85:
	v_and_b32_e32 v2, 0xffff, v130
	v_or_b32_e32 v3, 0x10000, v130
	s_delay_alu instid0(VALU_DEP_2) | instskip(NEXT) | instid1(VALU_DEP_2)
	v_cmp_eq_u32_e32 vcc_lo, 0, v2
	v_cndmask_b32_e32 v2, v3, v130, vcc_lo
; %bb.86:
	s_or_b32 exec_lo, exec_lo, s3
	v_and_b32_e32 v3, 0x7f800000, v131
	s_delay_alu instid0(VALU_DEP_1) | instskip(SKIP_1) | instid1(SALU_CYCLE_1)
	v_cmp_ne_u32_e32 vcc_lo, 0x7f800000, v3
                                        ; implicit-def: $vgpr3
	s_and_saveexec_b32 s3, vcc_lo
	s_xor_b32 s3, exec_lo, s3
; %bb.87:
	v_bfe_u32 v3, v131, 16, 1
	s_delay_alu instid0(VALU_DEP_1)
	v_add3_u32 v3, v131, v3, 0x7fff
; %bb.88:
	s_and_not1_saveexec_b32 s3, s3
; %bb.89:
	v_and_b32_e32 v3, 0xffff, v131
	v_or_b32_e32 v4, 0x10000, v131
	s_delay_alu instid0(VALU_DEP_2) | instskip(NEXT) | instid1(VALU_DEP_2)
	v_cmp_eq_u32_e32 vcc_lo, 0, v3
	v_cndmask_b32_e32 v3, v4, v131, vcc_lo
; %bb.90:
	s_or_b32 exec_lo, exec_lo, s3
	v_and_b32_e32 v4, 0x7f800000, v132
	s_delay_alu instid0(VALU_DEP_1) | instskip(SKIP_1) | instid1(SALU_CYCLE_1)
	v_cmp_ne_u32_e32 vcc_lo, 0x7f800000, v4
                                        ; implicit-def: $vgpr4
	s_and_saveexec_b32 s3, vcc_lo
	s_xor_b32 s3, exec_lo, s3
; %bb.91:
	v_bfe_u32 v4, v132, 16, 1
	s_delay_alu instid0(VALU_DEP_1)
	v_add3_u32 v4, v132, v4, 0x7fff
; %bb.92:
	s_and_not1_saveexec_b32 s3, s3
; %bb.93:
	v_and_b32_e32 v4, 0xffff, v132
	v_or_b32_e32 v5, 0x10000, v132
	s_delay_alu instid0(VALU_DEP_2) | instskip(NEXT) | instid1(VALU_DEP_2)
	v_cmp_eq_u32_e32 vcc_lo, 0, v4
	v_cndmask_b32_e32 v4, v5, v132, vcc_lo
; %bb.94:
	s_or_b32 exec_lo, exec_lo, s3
	v_and_b32_e32 v5, 0x7f800000, v133
	s_delay_alu instid0(VALU_DEP_1) | instskip(SKIP_1) | instid1(SALU_CYCLE_1)
	v_cmp_ne_u32_e32 vcc_lo, 0x7f800000, v5
                                        ; implicit-def: $vgpr5
	s_and_saveexec_b32 s3, vcc_lo
	s_xor_b32 s3, exec_lo, s3
; %bb.95:
	v_bfe_u32 v5, v133, 16, 1
	s_delay_alu instid0(VALU_DEP_1)
	v_add3_u32 v5, v133, v5, 0x7fff
; %bb.96:
	s_and_not1_saveexec_b32 s3, s3
; %bb.97:
	v_and_b32_e32 v5, 0xffff, v133
	v_or_b32_e32 v6, 0x10000, v133
	s_delay_alu instid0(VALU_DEP_2) | instskip(NEXT) | instid1(VALU_DEP_2)
	v_cmp_eq_u32_e32 vcc_lo, 0, v5
	v_cndmask_b32_e32 v5, v6, v133, vcc_lo
; %bb.98:
	s_or_b32 exec_lo, exec_lo, s3
	v_and_b32_e32 v6, 0x7f800000, v134
	s_delay_alu instid0(VALU_DEP_1) | instskip(SKIP_1) | instid1(SALU_CYCLE_1)
	v_cmp_ne_u32_e32 vcc_lo, 0x7f800000, v6
                                        ; implicit-def: $vgpr6
	s_and_saveexec_b32 s3, vcc_lo
	s_xor_b32 s3, exec_lo, s3
; %bb.99:
	v_bfe_u32 v6, v134, 16, 1
	s_delay_alu instid0(VALU_DEP_1)
	v_add3_u32 v6, v134, v6, 0x7fff
; %bb.100:
	s_and_not1_saveexec_b32 s3, s3
; %bb.101:
	v_and_b32_e32 v6, 0xffff, v134
	v_or_b32_e32 v7, 0x10000, v134
	s_delay_alu instid0(VALU_DEP_2) | instskip(NEXT) | instid1(VALU_DEP_2)
	v_cmp_eq_u32_e32 vcc_lo, 0, v6
	v_cndmask_b32_e32 v6, v7, v134, vcc_lo
; %bb.102:
	s_or_b32 exec_lo, exec_lo, s3
	v_and_b32_e32 v7, 0x7f800000, v135
	s_delay_alu instid0(VALU_DEP_1) | instskip(SKIP_1) | instid1(SALU_CYCLE_1)
	v_cmp_ne_u32_e32 vcc_lo, 0x7f800000, v7
                                        ; implicit-def: $vgpr7
	s_and_saveexec_b32 s3, vcc_lo
	s_xor_b32 s3, exec_lo, s3
; %bb.103:
	v_bfe_u32 v7, v135, 16, 1
	s_delay_alu instid0(VALU_DEP_1)
	v_add3_u32 v7, v135, v7, 0x7fff
; %bb.104:
	s_and_not1_saveexec_b32 s3, s3
; %bb.105:
	v_and_b32_e32 v7, 0xffff, v135
	v_or_b32_e32 v8, 0x10000, v135
	s_delay_alu instid0(VALU_DEP_2) | instskip(NEXT) | instid1(VALU_DEP_2)
	v_cmp_eq_u32_e32 vcc_lo, 0, v7
	v_cndmask_b32_e32 v7, v8, v135, vcc_lo
; %bb.106:
	s_or_b32 exec_lo, exec_lo, s3
	v_and_b32_e32 v8, 0x7f800000, v136
	s_delay_alu instid0(VALU_DEP_1) | instskip(SKIP_1) | instid1(SALU_CYCLE_1)
	v_cmp_ne_u32_e32 vcc_lo, 0x7f800000, v8
                                        ; implicit-def: $vgpr8
	s_and_saveexec_b32 s3, vcc_lo
	s_xor_b32 s3, exec_lo, s3
; %bb.107:
	v_bfe_u32 v8, v136, 16, 1
	s_delay_alu instid0(VALU_DEP_1)
	v_add3_u32 v8, v136, v8, 0x7fff
                                        ; implicit-def: $vgpr129_vgpr130_vgpr131_vgpr132_vgpr133_vgpr134_vgpr135_vgpr136
; %bb.108:
	s_and_not1_saveexec_b32 s3, s3
; %bb.109:
	v_and_b32_e32 v8, 0xffff, v136
	v_or_b32_e32 v9, 0x10000, v136
	s_delay_alu instid0(VALU_DEP_2) | instskip(NEXT) | instid1(VALU_DEP_2)
	v_cmp_eq_u32_e32 vcc_lo, 0, v8
	v_cndmask_b32_e32 v8, v9, v136, vcc_lo
; %bb.110:
	s_or_b32 exec_lo, exec_lo, s3
	s_delay_alu instid0(VALU_DEP_1)
	v_perm_b32 v7, v8, v7, 0x7060302
	v_perm_b32 v6, v6, v5, 0x7060302
	;; [unrolled: 1-line block ×4, first 2 shown]
	v_lshl_or_b32 v9, v146, 4, v141
	s_barrier
	buffer_gl0_inv
	v_cmp_eq_u32_e32 vcc_lo, 1, v138
	ds_store_b128 v9, v[4:7]
	s_waitcnt lgkmcnt(0)
	s_barrier
	buffer_gl0_inv
	ds_load_b128 v[1:4], v141
	ds_load_b128 v[5:8], v141 offset:16
	v_cmp_eq_u32_e64 s4, 2, v138
	v_cmp_eq_u32_e64 s3, 1, v139
	;; [unrolled: 1-line block ×5, first 2 shown]
	s_waitcnt lgkmcnt(1)
	v_lshrrev_b32_e32 v10, 16, v1
	s_waitcnt lgkmcnt(0)
	v_lshrrev_b32_e32 v14, 16, v5
	v_lshrrev_b32_e32 v15, 16, v6
	;; [unrolled: 1-line block ×4, first 2 shown]
	v_cndmask_b32_e64 v20, v1, v10, s3
	v_cndmask_b32_e32 v19, v5, v14, vcc_lo
	v_cndmask_b32_e64 v21, v5, v14, s3
	v_lshrrev_b32_e32 v16, 16, v7
	v_cmp_eq_u32_e64 s3, 1, v137
	v_lshrrev_b32_e32 v13, 16, v4
	v_cndmask_b32_e64 v19, v19, v6, s4
	v_lshrrev_b32_e32 v17, 16, v8
	s_delay_alu instid0(VALU_DEP_4) | instskip(SKIP_1) | instid1(VALU_DEP_4)
	v_cndmask_b32_e64 v22, v1, v10, s3
	v_cndmask_b32_e64 v23, v5, v14, s3
	;; [unrolled: 1-line block ×3, first 2 shown]
	v_cndmask_b32_e32 v18, v1, v10, vcc_lo
	v_cmp_eq_u32_e32 vcc_lo, 2, v139
	v_cmp_eq_u32_e64 s3, 2, v142
	v_cndmask_b32_e64 v22, v22, v2, s7
	v_cndmask_b32_e32 v20, v20, v2, vcc_lo
	v_cndmask_b32_e32 v21, v21, v6, vcc_lo
	v_cmp_eq_u32_e32 vcc_lo, 4, v138
	v_cndmask_b32_e32 v19, v19, v7, vcc_lo
	v_cndmask_b32_e64 v18, v18, v2, s4
	v_cmp_eq_u32_e64 s4, 3, v139
	s_delay_alu instid0(VALU_DEP_2) | instskip(NEXT) | instid1(VALU_DEP_2)
	v_cndmask_b32_e64 v18, v18, v11, s5
	v_cndmask_b32_e64 v21, v21, v15, s4
	v_cmp_eq_u32_e64 s5, 5, v138
	s_delay_alu instid0(VALU_DEP_3) | instskip(SKIP_1) | instid1(VALU_DEP_3)
	v_cndmask_b32_e32 v18, v18, v3, vcc_lo
	v_cmp_eq_u32_e32 vcc_lo, 4, v139
	v_cndmask_b32_e64 v19, v19, v16, s5
	s_delay_alu instid0(VALU_DEP_3) | instskip(SKIP_4) | instid1(VALU_DEP_3)
	v_cndmask_b32_e64 v18, v18, v12, s5
	v_cndmask_b32_e32 v21, v21, v7, vcc_lo
	v_cndmask_b32_e64 v20, v20, v11, s4
	v_cmp_eq_u32_e64 s4, 5, v139
	v_cmp_eq_u32_e64 s5, 6, v138
	v_cndmask_b32_e32 v20, v20, v3, vcc_lo
	s_delay_alu instid0(VALU_DEP_3) | instskip(SKIP_1) | instid1(VALU_DEP_4)
	v_cndmask_b32_e64 v21, v21, v16, s4
	v_cmp_eq_u32_e32 vcc_lo, 6, v139
	v_cndmask_b32_e64 v18, v18, v4, s5
	v_cndmask_b32_e64 v19, v19, v8, s5
	;; [unrolled: 1-line block ×3, first 2 shown]
	v_cmp_eq_u32_e64 s4, 1, v142
	v_cmp_eq_u32_e64 s5, 7, v138
	s_delay_alu instid0(VALU_DEP_3) | instskip(NEXT) | instid1(VALU_DEP_3)
	v_cndmask_b32_e32 v20, v20, v4, vcc_lo
	v_cndmask_b32_e64 v1, v1, v10, s4
	v_cndmask_b32_e64 v5, v5, v14, s4
	v_cmp_eq_u32_e64 s4, 3, v137
	v_cndmask_b32_e64 v14, v23, v6, s7
	v_cmp_eq_u32_e64 s7, 3, v142
	v_cndmask_b32_e64 v1, v1, v2, s3
	v_cndmask_b32_e64 v2, v5, v6, s3
	;; [unrolled: 1-line block ×3, first 2 shown]
	v_cmp_eq_u32_e64 s3, 4, v137
	v_cndmask_b32_e64 v6, v14, v15, s4
	v_cndmask_b32_e64 v1, v1, v11, s7
	v_cmp_eq_u32_e64 s4, 4, v142
	v_cndmask_b32_e64 v2, v2, v15, s7
	v_cndmask_b32_e64 v5, v10, v3, s3
	;; [unrolled: 3-line block ×3, first 2 shown]
	v_cndmask_b32_e64 v2, v2, v7, s4
	v_cmp_eq_u32_e64 s3, 5, v142
	v_cndmask_b32_e64 v5, v5, v12, s7
	v_cmp_eq_u32_e64 s4, 6, v137
	;; [unrolled: 2-line block ×3, first 2 shown]
	v_cndmask_b32_e64 v1, v1, v12, s3
	v_cndmask_b32_e64 v2, v2, v16, s3
	;; [unrolled: 1-line block ×4, first 2 shown]
	v_cmp_eq_u32_e64 s3, 7, v142
	v_cndmask_b32_e64 v1, v1, v4, s7
	v_cndmask_b32_e64 v2, v2, v8, s7
	v_cmp_eq_u32_e64 s4, 7, v137
	v_cndmask_b32_e32 v4, v21, v8, vcc_lo
	v_cndmask_b32_e64 v18, v18, v13, s5
	v_cndmask_b32_e64 v20, v20, v13, s6
	;; [unrolled: 1-line block ×8, first 2 shown]
	v_cmp_gt_u32_e32 vcc_lo, 32, v0
	v_perm_b32 v4, v2, v1, 0x5040100
	v_perm_b32 v3, v3, v5, 0x5040100
	;; [unrolled: 1-line block ×4, first 2 shown]
	s_and_b32 s2, vcc_lo, s2
	ds_store_b128 v9, v[1:4]
	s_waitcnt lgkmcnt(0)
	s_barrier
	buffer_gl0_inv
	s_and_saveexec_b32 s3, s2
	s_cbranch_execz .LBB455_2
; %bb.111:
	s_load_b64 s[0:1], s[0:1], 0x68
	v_lshlrev_b32_e32 v0, 10, v0
	s_lshl_b32 s4, s34, 6
	v_or_b32_e32 v3, s31, v146
	s_mul_i32 s2, s4, s30
	v_lshlrev_b32_e32 v1, 4, v147
	v_lshlrev_b32_e32 v2, 6, v146
	v_and_b32_e32 v0, 0x3800, v0
	s_mul_i32 s2, s2, s8
	v_mul_lo_u32 v8, v3, s4
	s_ashr_i32 s3, s2, 31
	s_delay_alu instid0(SALU_CYCLE_1)
	s_lshl_b64 s[2:3], s[2:3], 1
	v_or3_b32 v16, v0, v1, v2
	ds_load_b128 v[0:3], v16
	ds_load_b128 v[4:7], v16 offset:128
	v_ashrrev_i32_e32 v9, 31, v8
	s_waitcnt lgkmcnt(0)
	s_add_u32 s2, s0, s2
	s_addc_u32 s3, s1, s3
	s_lshl_b32 s0, s14, 6
	s_delay_alu instid0(SALU_CYCLE_1) | instskip(SKIP_2) | instid1(SALU_CYCLE_1)
	s_ashr_i32 s1, s0, 31
	v_lshlrev_b64 v[9:10], 1, v[8:9]
	s_lshl_b64 s[0:1], s[0:1], 1
	s_add_u32 s0, s2, s0
	s_addc_u32 s1, s3, s1
	s_lshl_b32 s2, s34, 7
	v_add_co_u32 v30, s0, s0, v145
	v_add_nc_u32_e32 v11, s2, v8
	v_add_co_ci_u32_e64 v31, null, s1, 0, s0
	s_delay_alu instid0(VALU_DEP_3) | instskip(NEXT) | instid1(VALU_DEP_3)
	v_add_co_u32 v9, vcc_lo, v30, v9
	v_add_nc_u32_e32 v8, s2, v11
	s_delay_alu instid0(VALU_DEP_3) | instskip(SKIP_1) | instid1(VALU_DEP_3)
	v_add_co_ci_u32_e32 v10, vcc_lo, v31, v10, vcc_lo
	v_ashrrev_i32_e32 v12, 31, v11
	v_add_nc_u32_e32 v13, s2, v8
	global_store_b128 v[9:10], v[0:3], off
	v_ashrrev_i32_e32 v9, 31, v8
	v_lshlrev_b64 v[11:12], 1, v[11:12]
	v_ashrrev_i32_e32 v14, 31, v13
	v_add_nc_u32_e32 v10, s2, v13
	s_delay_alu instid0(VALU_DEP_4) | instskip(NEXT) | instid1(VALU_DEP_4)
	v_lshlrev_b64 v[2:3], 1, v[8:9]
	v_add_co_u32 v0, vcc_lo, v30, v11
	s_delay_alu instid0(VALU_DEP_4)
	v_lshlrev_b64 v[8:9], 1, v[13:14]
	v_add_co_ci_u32_e32 v1, vcc_lo, v31, v12, vcc_lo
	v_ashrrev_i32_e32 v11, 31, v10
	v_add_co_u32 v22, vcc_lo, v30, v2
	v_add_nc_u32_e32 v20, s2, v10
	v_add_co_ci_u32_e32 v23, vcc_lo, v31, v3, vcc_lo
	v_add_co_u32 v24, vcc_lo, v30, v8
	global_store_b128 v[0:1], v[4:7], off
	v_add_co_ci_u32_e32 v25, vcc_lo, v31, v9, vcc_lo
	ds_load_b128 v[0:3], v16 offset:256
	ds_load_b128 v[4:7], v16 offset:384
	v_lshlrev_b64 v[26:27], 1, v[10:11]
	ds_load_b128 v[8:11], v16 offset:512
	ds_load_b128 v[12:15], v16 offset:640
	ds_load_b128 v[16:19], v16 offset:768
	v_add_nc_u32_e32 v28, s2, v20
	v_ashrrev_i32_e32 v21, 31, v20
	v_add_co_u32 v26, vcc_lo, v30, v26
	s_delay_alu instid0(VALU_DEP_3) | instskip(NEXT) | instid1(VALU_DEP_3)
	v_ashrrev_i32_e32 v29, 31, v28
	v_lshlrev_b64 v[20:21], 1, v[20:21]
	v_add_co_ci_u32_e32 v27, vcc_lo, v31, v27, vcc_lo
	s_delay_alu instid0(VALU_DEP_3) | instskip(NEXT) | instid1(VALU_DEP_3)
	v_lshlrev_b64 v[28:29], 1, v[28:29]
	v_add_co_u32 v20, vcc_lo, v30, v20
	s_delay_alu instid0(VALU_DEP_4) | instskip(NEXT) | instid1(VALU_DEP_3)
	v_add_co_ci_u32_e32 v21, vcc_lo, v31, v21, vcc_lo
	v_add_co_u32 v28, vcc_lo, v30, v28
	s_delay_alu instid0(VALU_DEP_4)
	v_add_co_ci_u32_e32 v29, vcc_lo, v31, v29, vcc_lo
	s_waitcnt lgkmcnt(4)
	global_store_b128 v[22:23], v[0:3], off
	s_waitcnt lgkmcnt(3)
	global_store_b128 v[24:25], v[4:7], off
	;; [unrolled: 2-line block ×5, first 2 shown]
	s_nop 0
	s_sendmsg sendmsg(MSG_DEALLOC_VGPRS)
	s_endpgm
	.section	.rodata,"a",@progbits
	.p2align	6, 0x0
	.amdhsa_kernel _Z39paged_attention_ll4mi_QKV_mfma16_kernelI14__hip_bfloat16S0_LN4vllm18Fp8KVCacheDataTypeE0ES0_Li16ELi64ELi256ELb1ELi14EL8MFMAType0EEvPKT_PKT0_S9_ifPKiSB_SB_iPKfiiiPfSE_PS4_PT2_iSD_SD_
		.amdhsa_group_segment_fixed_size 17472
		.amdhsa_private_segment_fixed_size 0
		.amdhsa_kernarg_size 400
		.amdhsa_user_sgpr_count 13
		.amdhsa_user_sgpr_dispatch_ptr 0
		.amdhsa_user_sgpr_queue_ptr 0
		.amdhsa_user_sgpr_kernarg_segment_ptr 1
		.amdhsa_user_sgpr_dispatch_id 0
		.amdhsa_user_sgpr_private_segment_size 0
		.amdhsa_wavefront_size32 1
		.amdhsa_uses_dynamic_stack 0
		.amdhsa_enable_private_segment 0
		.amdhsa_system_sgpr_workgroup_id_x 1
		.amdhsa_system_sgpr_workgroup_id_y 1
		.amdhsa_system_sgpr_workgroup_id_z 1
		.amdhsa_system_sgpr_workgroup_info 0
		.amdhsa_system_vgpr_workitem_id 0
		.amdhsa_next_free_vgpr 198
		.amdhsa_next_free_sgpr 52
		.amdhsa_reserve_vcc 1
		.amdhsa_float_round_mode_32 0
		.amdhsa_float_round_mode_16_64 0
		.amdhsa_float_denorm_mode_32 3
		.amdhsa_float_denorm_mode_16_64 3
		.amdhsa_dx10_clamp 1
		.amdhsa_ieee_mode 1
		.amdhsa_fp16_overflow 0
		.amdhsa_workgroup_processor_mode 1
		.amdhsa_memory_ordered 1
		.amdhsa_forward_progress 0
		.amdhsa_shared_vgpr_count 0
		.amdhsa_exception_fp_ieee_invalid_op 0
		.amdhsa_exception_fp_denorm_src 0
		.amdhsa_exception_fp_ieee_div_zero 0
		.amdhsa_exception_fp_ieee_overflow 0
		.amdhsa_exception_fp_ieee_underflow 0
		.amdhsa_exception_fp_ieee_inexact 0
		.amdhsa_exception_int_div_zero 0
	.end_amdhsa_kernel
	.section	.text._Z39paged_attention_ll4mi_QKV_mfma16_kernelI14__hip_bfloat16S0_LN4vllm18Fp8KVCacheDataTypeE0ES0_Li16ELi64ELi256ELb1ELi14EL8MFMAType0EEvPKT_PKT0_S9_ifPKiSB_SB_iPKfiiiPfSE_PS4_PT2_iSD_SD_,"axG",@progbits,_Z39paged_attention_ll4mi_QKV_mfma16_kernelI14__hip_bfloat16S0_LN4vllm18Fp8KVCacheDataTypeE0ES0_Li16ELi64ELi256ELb1ELi14EL8MFMAType0EEvPKT_PKT0_S9_ifPKiSB_SB_iPKfiiiPfSE_PS4_PT2_iSD_SD_,comdat
.Lfunc_end455:
	.size	_Z39paged_attention_ll4mi_QKV_mfma16_kernelI14__hip_bfloat16S0_LN4vllm18Fp8KVCacheDataTypeE0ES0_Li16ELi64ELi256ELb1ELi14EL8MFMAType0EEvPKT_PKT0_S9_ifPKiSB_SB_iPKfiiiPfSE_PS4_PT2_iSD_SD_, .Lfunc_end455-_Z39paged_attention_ll4mi_QKV_mfma16_kernelI14__hip_bfloat16S0_LN4vllm18Fp8KVCacheDataTypeE0ES0_Li16ELi64ELi256ELb1ELi14EL8MFMAType0EEvPKT_PKT0_S9_ifPKiSB_SB_iPKfiiiPfSE_PS4_PT2_iSD_SD_
                                        ; -- End function
	.section	.AMDGPU.csdata,"",@progbits
; Kernel info:
; codeLenInByte = 10216
; NumSgprs: 54
; NumVgprs: 198
; ScratchSize: 0
; MemoryBound: 0
; FloatMode: 240
; IeeeMode: 1
; LDSByteSize: 17472 bytes/workgroup (compile time only)
; SGPRBlocks: 6
; VGPRBlocks: 24
; NumSGPRsForWavesPerEU: 54
; NumVGPRsForWavesPerEU: 198
; Occupancy: 7
; WaveLimiterHint : 1
; COMPUTE_PGM_RSRC2:SCRATCH_EN: 0
; COMPUTE_PGM_RSRC2:USER_SGPR: 13
; COMPUTE_PGM_RSRC2:TRAP_HANDLER: 0
; COMPUTE_PGM_RSRC2:TGID_X_EN: 1
; COMPUTE_PGM_RSRC2:TGID_Y_EN: 1
; COMPUTE_PGM_RSRC2:TGID_Z_EN: 1
; COMPUTE_PGM_RSRC2:TIDIG_COMP_CNT: 0
	.section	.text._Z39paged_attention_ll4mi_QKV_mfma16_kernelI14__hip_bfloat16S0_LN4vllm18Fp8KVCacheDataTypeE0ES0_Li16ELi64ELi256ELb1ELi15EL8MFMAType0EEvPKT_PKT0_S9_ifPKiSB_SB_iPKfiiiPfSE_PS4_PT2_iSD_SD_,"axG",@progbits,_Z39paged_attention_ll4mi_QKV_mfma16_kernelI14__hip_bfloat16S0_LN4vllm18Fp8KVCacheDataTypeE0ES0_Li16ELi64ELi256ELb1ELi15EL8MFMAType0EEvPKT_PKT0_S9_ifPKiSB_SB_iPKfiiiPfSE_PS4_PT2_iSD_SD_,comdat
	.protected	_Z39paged_attention_ll4mi_QKV_mfma16_kernelI14__hip_bfloat16S0_LN4vllm18Fp8KVCacheDataTypeE0ES0_Li16ELi64ELi256ELb1ELi15EL8MFMAType0EEvPKT_PKT0_S9_ifPKiSB_SB_iPKfiiiPfSE_PS4_PT2_iSD_SD_ ; -- Begin function _Z39paged_attention_ll4mi_QKV_mfma16_kernelI14__hip_bfloat16S0_LN4vllm18Fp8KVCacheDataTypeE0ES0_Li16ELi64ELi256ELb1ELi15EL8MFMAType0EEvPKT_PKT0_S9_ifPKiSB_SB_iPKfiiiPfSE_PS4_PT2_iSD_SD_
	.globl	_Z39paged_attention_ll4mi_QKV_mfma16_kernelI14__hip_bfloat16S0_LN4vllm18Fp8KVCacheDataTypeE0ES0_Li16ELi64ELi256ELb1ELi15EL8MFMAType0EEvPKT_PKT0_S9_ifPKiSB_SB_iPKfiiiPfSE_PS4_PT2_iSD_SD_
	.p2align	8
	.type	_Z39paged_attention_ll4mi_QKV_mfma16_kernelI14__hip_bfloat16S0_LN4vllm18Fp8KVCacheDataTypeE0ES0_Li16ELi64ELi256ELb1ELi15EL8MFMAType0EEvPKT_PKT0_S9_ifPKiSB_SB_iPKfiiiPfSE_PS4_PT2_iSD_SD_,@function
_Z39paged_attention_ll4mi_QKV_mfma16_kernelI14__hip_bfloat16S0_LN4vllm18Fp8KVCacheDataTypeE0ES0_Li16ELi64ELi256ELb1ELi15EL8MFMAType0EEvPKT_PKT0_S9_ifPKiSB_SB_iPKfiiiPfSE_PS4_PT2_iSD_SD_: ; @_Z39paged_attention_ll4mi_QKV_mfma16_kernelI14__hip_bfloat16S0_LN4vllm18Fp8KVCacheDataTypeE0ES0_Li16ELi64ELi256ELb1ELi15EL8MFMAType0EEvPKT_PKT0_S9_ifPKiSB_SB_iPKfiiiPfSE_PS4_PT2_iSD_SD_
; %bb.0:
	s_load_b64 s[2:3], s[0:1], 0x30
	s_mov_b32 s34, s13
	s_waitcnt lgkmcnt(0)
	s_cmp_lg_u64 s[2:3], 0
	s_cselect_b32 s6, -1, 0
	s_ashr_i32 s35, s13, 31
	s_cmp_eq_u64 s[2:3], 0
	s_cbranch_scc1 .LBB456_3
; %bb.1:
	s_lshl_b64 s[4:5], s[34:35], 2
	s_delay_alu instid0(SALU_CYCLE_1) | instskip(SKIP_4) | instid1(SALU_CYCLE_1)
	s_add_u32 s4, s2, s4
	s_addc_u32 s5, s3, s5
	s_load_b64 s[4:5], s[4:5], 0x0
	s_waitcnt lgkmcnt(0)
	s_sub_i32 s4, s5, s4
	s_cmp_eq_u32 s4, 1
	s_cselect_b32 s4, -1, 0
	s_delay_alu instid0(SALU_CYCLE_1)
	s_and_not1_b32 vcc_lo, exec_lo, s4
	s_cbranch_vccz .LBB456_4
.LBB456_2:
	s_nop 0
	s_sendmsg sendmsg(MSG_DEALLOC_VGPRS)
	s_endpgm
.LBB456_3:
.LBB456_4:
	s_load_b64 s[8:9], s[0:1], 0x28
	s_lshl_b64 s[4:5], s[34:35], 2
	s_waitcnt lgkmcnt(0)
	s_add_u32 s8, s8, s4
	s_addc_u32 s9, s9, s5
	s_lshl_b32 s33, s14, 8
	s_load_b32 s30, s[8:9], 0x0
	s_waitcnt lgkmcnt(0)
	s_cmp_ge_i32 s33, s30
	s_cbranch_scc1 .LBB456_2
; %bb.5:
	s_clause 0x1
	s_load_b128 s[8:11], s[0:1], 0x8
	s_load_b64 s[12:13], s[0:1], 0x20
	s_and_not1_b32 vcc_lo, exec_lo, s6
	s_cbranch_vccnz .LBB456_7
; %bb.6:
	s_add_u32 s2, s2, s4
	s_addc_u32 s3, s3, s5
	s_load_b32 s3, s[2:3], 0x0
	s_branch .LBB456_8
.LBB456_7:
	s_mov_b32 s3, s34
.LBB456_8:
	s_load_b128 s[4:7], s[0:1], 0x48
	v_lshrrev_b32_e32 v149, 5, v0
	v_bfe_u32 v146, v0, 4, 1
	v_and_b32_e32 v148, 15, v0
	v_and_b32_e32 v150, 31, v0
	v_and_b32_e32 v147, 1, v0
	s_mul_i32 s31, s15, 15
	v_lshl_or_b32 v1, v149, 1, v146
	v_lshlrev_b32_e32 v2, 3, v148
	v_cmp_gt_u32_e64 s2, 8, v148
	s_delay_alu instid0(VALU_DEP_3) | instskip(NEXT) | instid1(VALU_DEP_3)
	v_cmp_gt_u32_e32 vcc_lo, 15, v1
	v_lshlrev_b32_e32 v145, 1, v2
	s_delay_alu instid0(VALU_DEP_3)
	s_and_b32 s16, s2, vcc_lo
	s_waitcnt lgkmcnt(0)
	s_and_saveexec_b32 s7, s16
	s_cbranch_execz .LBB456_10
; %bb.9:
	s_load_b64 s[16:17], s[0:1], 0x0
	v_add_lshl_u32 v2, v1, s31, 6
	s_mul_hi_i32 s19, s3, s4
	s_mul_i32 s18, s3, s4
	v_lshlrev_b32_e32 v6, 10, v148
	s_lshl_b64 s[18:19], s[18:19], 1
	v_ashrrev_i32_e32 v3, 31, v2
	v_lshlrev_b32_e32 v1, 6, v1
	v_lshlrev_b32_e32 v7, 10, v147
	v_and_b32_e32 v6, 0x3800, v6
	s_delay_alu instid0(VALU_DEP_4) | instskip(NEXT) | instid1(VALU_DEP_2)
	v_lshlrev_b64 v[2:3], 1, v[2:3]
	v_or3_b32 v1, v6, v7, v1
	s_waitcnt lgkmcnt(0)
	s_add_u32 s3, s16, s18
	s_addc_u32 s4, s17, s19
	s_delay_alu instid0(VALU_DEP_2) | instskip(SKIP_1) | instid1(VALU_DEP_2)
	v_add_co_u32 v2, vcc_lo, s3, v2
	v_add_co_ci_u32_e32 v3, vcc_lo, s4, v3, vcc_lo
	v_add_co_u32 v2, vcc_lo, v2, v145
	s_delay_alu instid0(VALU_DEP_2)
	v_add_co_ci_u32_e32 v3, vcc_lo, 0, v3, vcc_lo
	global_load_b128 v[2:5], v[2:3], off
	s_waitcnt vmcnt(0)
	ds_store_b128 v1, v[2:5]
.LBB456_10:
	s_or_b32 exec_lo, exec_lo, s7
	s_mov_b32 s40, 0
	s_add_i32 s3, s30, 15
	s_mov_b32 s41, s40
	s_mov_b32 s42, s40
	;; [unrolled: 1-line block ×7, first 2 shown]
	s_delay_alu instid0(SALU_CYCLE_1)
	v_dual_mov_b32 v136, s47 :: v_dual_and_b32 v1, 0xef, v0
	v_mov_b32_e32 v134, s45
	s_clause 0x1
	s_load_b32 s4, s[0:1], 0x38
	s_load_b32 s35, s[0:1], 0x1c
	v_add_nc_u32_e32 v1, s33, v1
	s_ashr_i32 s7, s3, 31
	s_waitcnt lgkmcnt(0)
	s_lshr_b32 s7, s7, 28
	s_barrier
	v_ashrrev_i32_e32 v2, 31, v1
	s_add_i32 s3, s3, s7
	v_cmp_gt_i32_e32 vcc_lo, s30, v1
	s_ashr_i32 s3, s3, 4
	v_mov_b32_e32 v132, s43
	v_lshrrev_b32_e32 v3, 28, v2
	v_or_b32_e32 v2, 16, v1
	s_add_i32 s3, s3, -1
	buffer_gl0_inv
	s_mul_i32 s6, s15, s6
	v_add_nc_u32_e32 v4, v1, v3
	v_add_nc_u32_e32 v3, v2, v3
	v_mov_b32_e32 v135, s46
	s_mul_i32 s16, s34, s4
	v_mov_b32_e32 v133, s44
	v_ashrrev_i32_e32 v4, 4, v4
	v_ashrrev_i32_e32 v3, 4, v3
	s_ashr_i32 s17, s16, 31
	v_lshlrev_b32_e32 v22, 5, v148
	s_lshl_b64 s[16:17], s[16:17], 2
	v_cndmask_b32_e32 v1, s3, v4, vcc_lo
	v_cmp_gt_i32_e32 vcc_lo, s30, v2
	s_add_u32 s4, s12, s16
	s_addc_u32 s36, s13, s17
	s_ashr_i32 s7, s6, 31
	v_ashrrev_i32_e32 v2, 31, v1
	v_cndmask_b32_e32 v3, s3, v3, vcc_lo
	s_lshl_b64 s[6:7], s[6:7], 1
	v_mov_b32_e32 v131, s42
	s_add_u32 s24, s8, s6
	v_lshlrev_b64 v[1:2], 2, v[1:2]
	v_ashrrev_i32_e32 v4, 31, v3
	s_addc_u32 s25, s9, s7
	s_lshl_b32 s8, s14, 4
	v_mov_b32_e32 v129, s40
	s_ashr_i32 s9, s8, 31
	v_lshlrev_b64 v[3:4], 2, v[3:4]
	v_add_co_u32 v1, vcc_lo, s4, v1
	v_add_co_ci_u32_e32 v2, vcc_lo, s36, v2, vcc_lo
	s_lshl_b64 s[8:9], s[8:9], 2
	s_delay_alu instid0(VALU_DEP_3) | instskip(NEXT) | instid1(VALU_DEP_4)
	v_add_co_u32 v3, vcc_lo, s4, v3
	v_add_co_ci_u32_e32 v4, vcc_lo, s36, v4, vcc_lo
	s_clause 0x1
	global_load_b32 v5, v[1:2], off
	global_load_b32 v6, v[3:4], off
	s_add_u32 s8, s4, s8
	s_addc_u32 s9, s36, s9
	s_or_b32 s12, s33, 16
	v_dual_mov_b32 v130, s41 :: v_dual_lshlrev_b32 v3, 4, v0
	s_ashr_i32 s13, s12, 4
	s_cmp_lt_i32 s12, s30
	s_cselect_b32 s12, s13, s3
	s_delay_alu instid0(SALU_CYCLE_1) | instskip(NEXT) | instid1(SALU_CYCLE_1)
	s_ashr_i32 s13, s12, 31
	s_lshl_b64 s[12:13], s[12:13], 2
	s_delay_alu instid0(SALU_CYCLE_1) | instskip(SKIP_2) | instid1(SALU_CYCLE_1)
	s_add_u32 s12, s4, s12
	s_addc_u32 s13, s36, s13
	s_or_b32 s15, s33, 32
	s_ashr_i32 s16, s15, 4
	s_cmp_lt_i32 s15, s30
	s_cselect_b32 s16, s16, s3
	s_delay_alu instid0(SALU_CYCLE_1) | instskip(NEXT) | instid1(SALU_CYCLE_1)
	s_ashr_i32 s17, s16, 31
	s_lshl_b64 s[16:17], s[16:17], 2
	s_delay_alu instid0(SALU_CYCLE_1) | instskip(SKIP_2) | instid1(SALU_CYCLE_1)
	s_add_u32 s16, s4, s16
	s_addc_u32 s17, s36, s17
	s_or_b32 s15, s33, 48
	s_ashr_i32 s18, s15, 4
	s_cmp_lt_i32 s15, s30
	s_cselect_b32 s18, s18, s3
	s_delay_alu instid0(SALU_CYCLE_1) | instskip(NEXT) | instid1(SALU_CYCLE_1)
	s_ashr_i32 s19, s18, 31
	s_lshl_b64 s[18:19], s[18:19], 2
	s_delay_alu instid0(SALU_CYCLE_1) | instskip(SKIP_2) | instid1(SALU_CYCLE_1)
	s_add_u32 s18, s4, s18
	s_addc_u32 s19, s36, s19
	s_or_b32 s15, s33, 64
	s_ashr_i32 s20, s15, 4
	s_cmp_lt_i32 s15, s30
	s_cselect_b32 s20, s20, s3
	s_delay_alu instid0(SALU_CYCLE_1) | instskip(NEXT) | instid1(SALU_CYCLE_1)
	s_ashr_i32 s21, s20, 31
	s_lshl_b64 s[20:21], s[20:21], 2
	s_delay_alu instid0(SALU_CYCLE_1) | instskip(SKIP_2) | instid1(SALU_CYCLE_1)
	s_add_u32 s20, s4, s20
	s_addc_u32 s21, s36, s21
	s_or_b32 s15, s33, 0x50
	s_ashr_i32 s22, s15, 4
	s_cmp_lt_i32 s15, s30
	s_cselect_b32 s22, s22, s3
	s_delay_alu instid0(SALU_CYCLE_1) | instskip(NEXT) | instid1(SALU_CYCLE_1)
	s_ashr_i32 s23, s22, 31
	s_lshl_b64 s[22:23], s[22:23], 2
	s_delay_alu instid0(SALU_CYCLE_1)
	s_add_u32 s22, s4, s22
	s_addc_u32 s23, s36, s23
	s_clause 0x5
	s_load_b32 s8, s[8:9], 0x0
	s_load_b32 s12, s[12:13], 0x0
	;; [unrolled: 1-line block ×6, first 2 shown]
	s_waitcnt lgkmcnt(0)
	s_mul_hi_i32 s17, s16, s5
	s_mul_i32 s16, s16, s5
	s_waitcnt vmcnt(1)
	v_mad_i64_i32 v[1:2], null, v5, s5, 0
	v_and_b32_e32 v5, 0xf0, v3
	s_waitcnt vmcnt(0)
	v_mad_i64_i32 v[3:4], null, v6, s5, 0
	s_delay_alu instid0(VALU_DEP_2) | instskip(NEXT) | instid1(VALU_DEP_4)
	v_add_co_u32 v5, s9, s24, v5
	v_lshlrev_b64 v[1:2], 1, v[1:2]
	v_add_co_ci_u32_e64 v6, null, s25, 0, s9
	s_delay_alu instid0(VALU_DEP_4) | instskip(SKIP_1) | instid1(VALU_DEP_3)
	v_lshlrev_b64 v[3:4], 1, v[3:4]
	s_or_b32 s9, s33, 0x60
	v_add_co_u32 v17, vcc_lo, v5, v1
	s_delay_alu instid0(VALU_DEP_3) | instskip(NEXT) | instid1(VALU_DEP_3)
	v_add_co_ci_u32_e32 v18, vcc_lo, v6, v2, vcc_lo
	v_add_co_u32 v19, vcc_lo, v5, v3
	s_delay_alu instid0(VALU_DEP_4)
	v_add_co_ci_u32_e32 v20, vcc_lo, v6, v4, vcc_lo
	s_clause 0x9
	global_load_b128 v[1:4], v[17:18], off
	global_load_b128 v[5:8], v[17:18], off offset:256
	global_load_b128 v[137:140], v[19:20], off
	global_load_b128 v[141:144], v[19:20], off offset:256
	global_load_b128 v[33:36], v[17:18], off offset:512
	;; [unrolled: 1-line block ×7, first 2 shown]
	v_cmp_ne_u32_e32 vcc_lo, 15, v148
	s_clause 0x1
	global_load_b128 v[151:154], v[19:20], off offset:1024
	global_load_b128 v[155:158], v[19:20], off offset:1280
	s_ashr_i32 s13, s9, 4
	s_cmp_lt_i32 s9, s30
	v_cndmask_b32_e32 v21, 0, v148, vcc_lo
	s_cselect_b32 s22, s13, s3
	s_delay_alu instid0(SALU_CYCLE_1) | instskip(NEXT) | instid1(VALU_DEP_1)
	s_ashr_i32 s23, s22, 31
	v_lshlrev_b32_e32 v197, 6, v21
	ds_load_b128 v[159:162], v197
	ds_load_b128 v[163:166], v197 offset:1024
	s_clause 0x3
	global_load_b128 v[167:170], v[17:18], off offset:1536
	global_load_b128 v[171:174], v[17:18], off offset:1792
	;; [unrolled: 1-line block ×4, first 2 shown]
	s_lshl_b64 s[22:23], s[22:23], 2
	v_lshl_or_b32 v21, v149, 9, v22
	s_add_u32 s22, s4, s22
	s_addc_u32 s23, s36, s23
	s_or_b32 s9, s33, 0x70
	s_delay_alu instid0(SALU_CYCLE_1) | instskip(SKIP_2) | instid1(SALU_CYCLE_1)
	s_ashr_i32 s13, s9, 4
	s_cmp_lt_i32 s9, s30
	s_cselect_b32 s24, s13, s3
	s_ashr_i32 s25, s24, 31
	s_delay_alu instid0(SALU_CYCLE_1) | instskip(NEXT) | instid1(SALU_CYCLE_1)
	s_lshl_b64 s[24:25], s[24:25], 2
	s_add_u32 s24, s4, s24
	s_addc_u32 s25, s36, s25
	s_or_b32 s9, s33, 0x80
	s_load_b32 s46, s[24:25], 0x0
	s_ashr_i32 s13, s9, 4
	s_cmp_lt_i32 s9, s30
	s_cselect_b32 s26, s13, s3
	s_delay_alu instid0(SALU_CYCLE_1) | instskip(NEXT) | instid1(SALU_CYCLE_1)
	s_ashr_i32 s27, s26, 31
	s_lshl_b64 s[26:27], s[26:27], 2
	s_delay_alu instid0(SALU_CYCLE_1)
	s_add_u32 s26, s4, s26
	s_addc_u32 s27, s36, s27
	s_or_b32 s9, s33, 0x90
	s_load_b32 s47, s[26:27], 0x0
	s_ashr_i32 s13, s9, 4
	s_cmp_lt_i32 s9, s30
	s_cselect_b32 s28, s13, s3
	s_delay_alu instid0(SALU_CYCLE_1) | instskip(NEXT) | instid1(SALU_CYCLE_1)
	s_ashr_i32 s29, s28, 31
	s_lshl_b64 s[28:29], s[28:29], 2
	s_delay_alu instid0(SALU_CYCLE_1) | instskip(SKIP_2) | instid1(SALU_CYCLE_1)
	s_add_u32 s28, s4, s28
	s_addc_u32 s29, s36, s29
	s_or_b32 s9, s33, 0xa0
	s_ashr_i32 s13, s9, 4
	s_cmp_lt_i32 s9, s30
	s_cselect_b32 s38, s13, s3
	s_delay_alu instid0(SALU_CYCLE_1) | instskip(NEXT) | instid1(SALU_CYCLE_1)
	s_ashr_i32 s39, s38, 31
	s_lshl_b64 s[38:39], s[38:39], 2
	s_delay_alu instid0(SALU_CYCLE_1)
	s_add_u32 s38, s4, s38
	s_addc_u32 s39, s36, s39
	s_or_b32 s9, s33, 0xb0
	s_load_b32 s39, s[38:39], 0x0
	s_ashr_i32 s13, s9, 4
	s_cmp_lt_i32 s9, s30
	s_mul_hi_i32 s9, s8, s5
	s_cselect_b32 s40, s13, s3
	s_mul_i32 s8, s8, s5
	s_ashr_i32 s41, s40, 31
	s_mul_hi_i32 s13, s12, s5
	s_lshl_b64 s[40:41], s[40:41], 2
	s_mul_i32 s12, s12, s5
	s_add_u32 s42, s4, s40
	s_addc_u32 s43, s36, s41
	s_or_b32 s19, s33, 0xc0
	s_delay_alu instid0(SALU_CYCLE_1)
	s_ashr_i32 s21, s19, 4
	s_cmp_lt_i32 s19, s30
	s_mul_hi_i32 s19, s18, s5
	s_cselect_b32 s40, s21, s3
	s_mul_i32 s18, s18, s5
	s_ashr_i32 s41, s40, 31
	s_mul_hi_i32 s21, s20, s5
	s_lshl_b64 s[40:41], s[40:41], 2
	s_mul_i32 s20, s20, s5
	s_add_u32 s44, s4, s40
	s_load_b32 s40, s[28:29], 0x0
	s_addc_u32 s45, s36, s41
	s_or_b32 s37, s33, 0xd0
	s_load_b32 s41, s[22:23], 0x0
	s_ashr_i32 s22, s37, 4
	s_cmp_lt_i32 s37, s30
	s_mul_hi_i32 s23, s15, s5
	s_cselect_b32 s24, s22, s3
	s_mul_i32 s22, s15, s5
	s_ashr_i32 s25, s24, 31
	s_waitcnt lgkmcnt(0)
	s_mul_hi_i32 s27, s46, s5
	s_lshl_b64 s[24:25], s[24:25], 2
	s_mul_i32 s26, s46, s5
	s_add_u32 s24, s4, s24
	s_addc_u32 s25, s36, s25
	s_or_b32 s48, s33, 0xe0
	s_clause 0x2
	s_load_b32 s38, s[42:43], 0x0
	s_load_b32 s37, s[44:45], 0x0
	;; [unrolled: 1-line block ×3, first 2 shown]
	s_ashr_i32 s49, s48, 4
	s_cmp_lt_i32 s48, s30
	s_mul_hi_i32 s29, s47, s5
	s_cselect_b32 s42, s49, s3
	s_mul_i32 s28, s47, s5
	s_ashr_i32 s43, s42, 31
	s_mul_hi_i32 s25, s41, s5
	s_lshl_b64 s[42:43], s[42:43], 2
	s_mul_i32 s24, s41, s5
	s_add_u32 s42, s4, s42
	s_addc_u32 s43, s36, s43
	s_or_b32 s46, s33, 0xf0
	s_mul_hi_i32 s41, s40, s5
	s_ashr_i32 s47, s46, 4
	s_cmp_lt_i32 s46, s30
	s_mul_i32 s40, s40, s5
	s_cselect_b32 s46, s47, s3
	s_mul_hi_i32 s45, s39, s5
	s_ashr_i32 s47, s46, 31
	s_mul_i32 s44, s39, s5
	s_lshl_b64 s[46:47], s[46:47], 2
	s_waitcnt lgkmcnt(0)
	s_mul_hi_i32 s39, s38, s5
	s_add_u32 s46, s4, s46
	s_addc_u32 s47, s36, s47
	s_add_u32 s3, s10, s6
	s_addc_u32 s4, s11, s7
	v_add_co_u32 v195, s3, s3, v21
	s_delay_alu instid0(VALU_DEP_1) | instskip(SKIP_2) | instid1(VALU_DEP_2)
	v_add_co_ci_u32_e64 v196, null, s4, 0, s3
	s_lshl_b64 s[6:7], s[8:9], 1
	s_lshl_b64 s[8:9], s[12:13], 1
	v_add_co_u32 v17, vcc_lo, v195, s6
	s_delay_alu instid0(VALU_DEP_2)
	v_add_co_ci_u32_e32 v18, vcc_lo, s7, v196, vcc_lo
	v_add_co_u32 v19, vcc_lo, v195, s8
	s_lshl_b64 s[10:11], s[16:17], 1
	v_add_co_ci_u32_e32 v20, vcc_lo, s9, v196, vcc_lo
	v_add_co_u32 v21, vcc_lo, v195, s10
	s_lshl_b64 s[12:13], s[18:19], 1
	;; [unrolled: 3-line block ×9, first 2 shown]
	s_mul_i32 s38, s38, s5
	v_add_co_ci_u32_e32 v54, vcc_lo, s27, v196, vcc_lo
	v_add_co_u32 v183, vcc_lo, v195, s28
	s_mul_hi_i32 s49, s37, s5
	s_mul_i32 s48, s37, s5
	s_lshl_b64 s[36:37], s[38:39], 1
	v_add_co_ci_u32_e32 v184, vcc_lo, s29, v196, vcc_lo
	v_add_co_u32 v185, vcc_lo, v195, s36
	s_lshl_b64 s[38:39], s[48:49], 1
	s_clause 0x1
	s_load_b32 s3, s[42:43], 0x0
	s_load_b32 s4, s[46:47], 0x0
	v_add_co_ci_u32_e32 v186, vcc_lo, s37, v196, vcc_lo
	v_add_co_u32 v191, vcc_lo, v195, s38
	v_add_co_ci_u32_e32 v192, vcc_lo, s39, v196, vcc_lo
	s_clause 0x17
	global_load_b128 v[121:124], v[17:18], off
	global_load_b128 v[125:128], v[17:18], off offset:16
	global_load_b128 v[113:116], v[19:20], off
	global_load_b128 v[117:120], v[19:20], off offset:16
	;; [unrolled: 2-line block ×12, first 2 shown]
	s_mul_hi_i32 s51, s15, s5
	s_mul_i32 s50, s15, s5
	s_delay_alu instid0(SALU_CYCLE_1) | instskip(NEXT) | instid1(SALU_CYCLE_1)
	s_lshl_b64 s[40:41], s[50:51], 1
	v_add_co_u32 v193, vcc_lo, v195, s40
	v_add_co_ci_u32_e32 v194, vcc_lo, s41, v196, vcc_lo
	s_waitcnt lgkmcnt(0)
	s_mul_hi_i32 s7, s3, s5
	s_mul_i32 s6, s3, s5
	s_mul_hi_i32 s9, s4, s5
	s_lshl_b64 s[6:7], s[6:7], 1
	s_mul_i32 s8, s4, s5
	s_delay_alu instid0(SALU_CYCLE_1)
	s_lshl_b64 s[4:5], s[8:9], 1
	s_waitcnt vmcnt(38)
	v_wmma_f32_16x16x16_bf16 v[183:190], v[1:8], v[159:166], v[129:136]
	s_waitcnt vmcnt(36)
	v_wmma_f32_16x16x16_bf16 v[129:136], v[137:144], v[159:166], v[129:136]
	s_clause 0x1
	global_load_b128 v[1:4], v[191:192], off
	global_load_b128 v[5:8], v[191:192], off offset:16
	ds_load_b128 v[137:140], v197 offset:2048
	ds_load_b128 v[141:144], v197 offset:3072
	;; [unrolled: 1-line block ×4, first 2 shown]
	v_add_co_u32 v191, vcc_lo, v195, s6
	v_add_co_ci_u32_e32 v192, vcc_lo, s7, v196, vcc_lo
	v_add_co_u32 v195, vcc_lo, v195, s4
	v_add_co_ci_u32_e32 v196, vcc_lo, s5, v196, vcc_lo
	s_waitcnt vmcnt(36) lgkmcnt(2)
	v_wmma_f32_16x16x16_bf16 v[183:190], v[33:40], v[137:144], v[183:190]
	s_waitcnt vmcnt(34)
	v_wmma_f32_16x16x16_bf16 v[129:136], v[25:32], v[137:144], v[129:136]
	s_clause 0x3
	global_load_b128 v[25:28], v[193:194], off
	global_load_b128 v[29:32], v[193:194], off offset:16
	global_load_b128 v[33:36], v[191:192], off
	global_load_b128 v[37:40], v[191:192], off offset:16
	v_and_b32_e32 v137, 0xe0, v0
	v_mbcnt_lo_u32_b32 v191, -1, 0
	s_waitcnt vmcnt(36) lgkmcnt(0)
	v_wmma_f32_16x16x16_bf16 v[183:190], v[9:16], v[159:166], v[183:190]
	s_clause 0x1
	global_load_b128 v[9:12], v[195:196], off
	global_load_b128 v[13:16], v[195:196], off offset:16
	s_waitcnt vmcnt(36)
	v_wmma_f32_16x16x16_bf16 v[129:136], v[151:158], v[159:166], v[129:136]
	v_add_nc_u32_e32 v192, s33, v137
	ds_load_b128 v[137:140], v197 offset:6144
	ds_load_b128 v[141:144], v197 offset:7168
	v_xor_b32_e32 v151, 16, v191
	s_waitcnt vmcnt(0) lgkmcnt(0)
	s_barrier
	v_or_b32_e32 v152, v192, v146
	buffer_gl0_inv
	v_cmp_gt_i32_e32 vcc_lo, 32, v151
	v_or_b32_e32 v153, 2, v152
	v_or_b32_e32 v154, 4, v152
	;; [unrolled: 1-line block ×5, first 2 shown]
	v_cmp_gt_i32_e64 s3, s30, v153
	v_cmp_gt_i32_e64 s4, s30, v154
	;; [unrolled: 1-line block ×3, first 2 shown]
	v_or_b32_e32 v158, 12, v152
	v_or_b32_e32 v159, 14, v152
	v_cmp_gt_i32_e64 s6, s30, v156
	v_wmma_f32_16x16x16_bf16 v[183:190], v[167:174], v[137:144], v[183:190]
	v_wmma_f32_16x16x16_bf16 v[129:136], v[175:182], v[137:144], v[129:136]
	v_cndmask_b32_e32 v151, v191, v151, vcc_lo
	v_cmp_gt_i32_e32 vcc_lo, s30, v152
	v_cmp_gt_i32_e64 s7, s30, v157
	v_dual_mul_f32 v143, s35, v184 :: v_dual_mul_f32 v144, s35, v183
	v_dual_mul_f32 v141, s35, v186 :: v_dual_mul_f32 v142, s35, v185
	;; [unrolled: 1-line block ×3, first 2 shown]
	s_delay_alu instid0(VALU_DEP_3) | instskip(NEXT) | instid1(VALU_DEP_4)
	v_cndmask_b32_e32 v144, 0xff7fffff, v144, vcc_lo
	v_cndmask_b32_e64 v143, 0xff7fffff, v143, s3
	v_mul_f32_e32 v140, s35, v187
	v_cndmask_b32_e64 v142, 0xff7fffff, v142, s4
	v_cndmask_b32_e64 v141, 0xff7fffff, v141, s5
	v_or_b32_e32 v160, 16, v152
	v_max3_f32 v143, v144, 0xff7fffff, v143
	v_or_b32_e32 v161, 18, v152
	v_dual_mul_f32 v137, s35, v190 :: v_dual_mul_f32 v138, s35, v189
	v_cndmask_b32_e64 v140, 0xff7fffff, v140, s6
	v_cndmask_b32_e64 v139, 0xff7fffff, v139, s7
	v_max3_f32 v141, v143, v142, v141
	v_cmp_gt_i32_e64 s8, s30, v158
	v_cmp_gt_i32_e64 s9, s30, v159
	v_or_b32_e32 v162, 20, v152
	v_or_b32_e32 v163, 22, v152
	v_mul_f32_e32 v175, s35, v129
	v_cndmask_b32_e64 v138, 0xff7fffff, v138, s8
	v_cndmask_b32_e64 v137, 0xff7fffff, v137, s9
	v_max3_f32 v139, v141, v140, v139
	v_cmp_gt_i32_e64 s10, s30, v160
	v_cmp_gt_i32_e64 s11, s30, v161
	v_or_b32_e32 v164, 24, v152
	v_or_b32_e32 v165, 26, v152
	v_dual_mul_f32 v172, s35, v132 :: v_dual_mul_f32 v173, s35, v131
	v_cndmask_b32_e64 v140, 0xff7fffff, v175, s10
	v_cndmask_b32_e64 v141, 0xff7fffff, v174, s11
	v_max3_f32 v137, v139, v138, v137
	v_cmp_gt_i32_e64 s12, s30, v162
	v_cmp_gt_i32_e64 s13, s30, v163
	v_or_b32_e32 v166, 28, v152
	v_or_b32_e32 v167, 30, v152
	v_dual_mul_f32 v170, s35, v134 :: v_dual_mul_f32 v171, s35, v133
	v_cndmask_b32_e64 v138, 0xff7fffff, v173, s12
	v_cndmask_b32_e64 v139, 0xff7fffff, v172, s13
	v_max3_f32 v137, v137, v140, v141
	v_cmp_gt_i32_e64 s15, s30, v164
	v_cmp_gt_i32_e64 s16, s30, v165
	v_dual_mul_f32 v168, s35, v136 :: v_dual_mul_f32 v169, s35, v135
	s_delay_alu instid0(VALU_DEP_4) | instskip(NEXT) | instid1(VALU_DEP_4)
	v_max3_f32 v137, v137, v138, v139
	v_cndmask_b32_e64 v140, 0xff7fffff, v171, s15
	s_delay_alu instid0(VALU_DEP_4) | instskip(SKIP_3) | instid1(VALU_DEP_4)
	v_cndmask_b32_e64 v141, 0xff7fffff, v170, s16
	v_cmp_gt_i32_e64 s17, s30, v166
	v_cmp_gt_i32_e64 s18, s30, v167
	v_lshlrev_b32_e32 v154, 2, v151
	v_max3_f32 v137, v137, v140, v141
	s_delay_alu instid0(VALU_DEP_4) | instskip(NEXT) | instid1(VALU_DEP_4)
	v_cndmask_b32_e64 v138, 0xff7fffff, v169, s17
	v_cndmask_b32_e64 v139, 0xff7fffff, v168, s18
	s_delay_alu instid0(VALU_DEP_1) | instskip(SKIP_3) | instid1(VALU_DEP_1)
	v_max3_f32 v137, v137, v138, v139
	ds_bpermute_b32 v138, v154, v137
	s_waitcnt lgkmcnt(0)
	v_max_f32_e32 v138, v138, v138
	v_max_f32_e32 v139, v137, v138
	s_delay_alu instid0(VALU_DEP_1) | instskip(SKIP_4) | instid1(VALU_DEP_4)
	v_fma_f32 v141, s35, v186, -v139
	v_fma_f32 v130, s35, v130, -v139
	;; [unrolled: 1-line block ×5, first 2 shown]
	v_dual_mul_f32 v141, 0x3fb8aa3b, v141 :: v_dual_mul_f32 v130, 0x3fb8aa3b, v130
	v_fma_f32 v142, s35, v187, -v139
	s_delay_alu instid0(VALU_DEP_4) | instskip(NEXT) | instid1(VALU_DEP_4)
	v_mul_f32_e32 v138, 0x3fb8aa3b, v138
	v_mul_f32_e32 v140, 0x3fb8aa3b, v140
	s_delay_alu instid0(VALU_DEP_4)
	v_exp_f32_e32 v144, v141
	v_fma_f32 v151, s35, v189, -v139
	v_mul_f32_e32 v142, 0x3fb8aa3b, v142
	v_exp_f32_e32 v138, v138
	v_exp_f32_e32 v143, v140
	v_fma_f32 v132, s35, v132, -v139
	v_mul_f32_e32 v151, 0x3fb8aa3b, v151
	v_exp_f32_e32 v152, v142
	v_fma_f32 v129, s35, v129, -v139
	v_fma_f32 v134, s35, v134, -v139
	v_cndmask_b32_e64 v144, 0, v144, s5
	v_dual_mul_f32 v137, 0x3fb8aa3b, v137 :: v_dual_mul_f32 v132, 0x3fb8aa3b, v132
	s_delay_alu instid0(TRANS32_DEP_3) | instskip(NEXT) | instid1(TRANS32_DEP_2)
	v_cndmask_b32_e64 v141, 0, v138, s3
	v_cndmask_b32_e64 v142, 0, v143, s4
	v_fma_f32 v143, s35, v190, -v139
	s_delay_alu instid0(VALU_DEP_4)
	v_exp_f32_e32 v137, v137
	v_exp_f32_e32 v153, v151
	v_cndmask_b32_e64 v151, 0, v152, s6
	v_mul_f32_e32 v129, 0x3fb8aa3b, v129
	v_dual_mul_f32 v143, 0x3fb8aa3b, v143 :: v_dual_mul_f32 v134, 0x3fb8aa3b, v134
	v_fma_f32 v131, s35, v131, -v139
	v_exp_f32_e32 v130, v130
	s_delay_alu instid0(VALU_DEP_3) | instskip(NEXT) | instid1(VALU_DEP_2)
	v_exp_f32_e32 v129, v129
	v_exp_f32_e32 v155, v143
	v_cndmask_b32_e32 v140, 0, v137, vcc_lo
	v_fma_f32 v137, s35, v188, -v139
	v_cndmask_b32_e64 v143, 0, v153, s8
	v_mul_f32_e32 v131, 0x3fb8aa3b, v131
	v_fma_f32 v133, s35, v133, -v139
	s_delay_alu instid0(VALU_DEP_4) | instskip(SKIP_2) | instid1(TRANS32_DEP_1)
	v_dual_add_f32 v138, 0, v140 :: v_dual_mul_f32 v137, 0x3fb8aa3b, v137
	v_fma_f32 v136, s35, v136, -v139
	v_cmp_gt_u32_e64 s3, 16, v150
	v_cndmask_b32_e64 v153, 0, v155, s9
	s_delay_alu instid0(VALU_DEP_4) | instskip(SKIP_1) | instid1(VALU_DEP_1)
	v_add_f32_e32 v138, v138, v141
	v_exp_f32_e32 v137, v137
	v_dual_mul_f32 v133, 0x3fb8aa3b, v133 :: v_dual_add_f32 v138, v138, v142
	s_delay_alu instid0(VALU_DEP_1)
	v_add_f32_e32 v138, v138, v144
	s_waitcnt_depctr 0xfff
	v_cndmask_b32_e64 v152, 0, v137, s7
	v_add_f32_e32 v137, v138, v151
	v_exp_f32_e32 v138, v131
	v_cndmask_b32_e64 v131, 0, v129, s10
	s_delay_alu instid0(VALU_DEP_2) | instskip(NEXT) | instid1(VALU_DEP_1)
	v_add_f32_e32 v137, v137, v152
	v_add_f32_e32 v137, v137, v143
	s_delay_alu instid0(VALU_DEP_1)
	v_add_f32_e32 v129, v137, v153
	v_exp_f32_e32 v137, v132
	v_cndmask_b32_e64 v132, 0, v130, s11
	v_fma_f32 v130, s35, v135, -v139
	v_exp_f32_e32 v135, v133
	v_add_f32_e32 v129, v129, v131
	v_cndmask_b32_e64 v133, 0, v138, s12
	v_exp_f32_e32 v138, v134
	s_delay_alu instid0(VALU_DEP_2) | instskip(NEXT) | instid1(TRANS32_DEP_3)
	v_dual_mul_f32 v130, 0x3fb8aa3b, v130 :: v_dual_add_f32 v129, v129, v132
	v_cndmask_b32_e64 v134, 0, v137, s13
	v_mul_f32_e32 v137, 0x3fb8aa3b, v136
	s_delay_alu instid0(VALU_DEP_3) | instskip(NEXT) | instid1(TRANS32_DEP_3)
	v_exp_f32_e32 v130, v130
	v_cndmask_b32_e64 v135, 0, v135, s15
	v_add_f32_e32 v129, v129, v133
	s_delay_alu instid0(TRANS32_DEP_2) | instskip(SKIP_1) | instid1(VALU_DEP_2)
	v_cndmask_b32_e64 v136, 0, v138, s16
	v_exp_f32_e32 v138, v137
	v_add_f32_e32 v129, v129, v134
	s_waitcnt_depctr 0xfff
	v_cndmask_b32_e64 v137, 0, v130, s17
	v_add_f32_e32 v129, v129, v135
	v_cndmask_b32_e64 v138, 0, v138, s18
	s_delay_alu instid0(VALU_DEP_2) | instskip(NEXT) | instid1(VALU_DEP_1)
	v_add_f32_e32 v129, v129, v136
	v_add_f32_e32 v129, v129, v137
	s_delay_alu instid0(VALU_DEP_1)
	v_add_f32_e32 v129, v129, v138
	ds_bpermute_b32 v130, v154, v129
	s_and_saveexec_b32 s4, s3
	s_cbranch_execz .LBB456_12
; %bb.11:
	v_mul_u32_u24_e32 v150, 0x44, v149
	s_waitcnt lgkmcnt(0)
	v_add_f32_e32 v129, v129, v130
	s_delay_alu instid0(VALU_DEP_2) | instskip(NEXT) | instid1(VALU_DEP_1)
	v_lshl_add_u32 v150, v148, 2, v150
	v_add_nc_u32_e32 v130, 0x4000, v150
	ds_store_2addr_b32 v130, v139, v129 offset1:136
.LBB456_12:
	s_or_b32 exec_lo, exec_lo, s4
	v_lshlrev_b32_e32 v129, 2, v148
	s_waitcnt lgkmcnt(0)
	s_barrier
	buffer_gl0_inv
	v_cmp_eq_u32_e64 s4, 1, v149
	v_add_nc_u32_e32 v139, 0x4000, v129
	ds_load_2addr_b32 v[154:155], v139 offset1:17
	ds_load_2addr_b32 v[156:157], v139 offset0:34 offset1:51
	ds_load_2addr_b32 v[158:159], v139 offset0:68 offset1:85
	ds_load_2addr_b32 v[160:161], v139 offset0:102 offset1:119
	ds_load_2addr_b32 v[162:163], v139 offset0:136 offset1:153
	s_waitcnt lgkmcnt(4)
	v_max3_f32 v129, v154, 0xff7fffff, v155
	s_waitcnt lgkmcnt(3)
	s_delay_alu instid0(VALU_DEP_1) | instskip(SKIP_1) | instid1(VALU_DEP_1)
	v_max3_f32 v129, v129, v156, v157
	s_waitcnt lgkmcnt(2)
	v_max3_f32 v129, v129, v158, v159
	s_waitcnt lgkmcnt(1)
	s_delay_alu instid0(VALU_DEP_1) | instskip(NEXT) | instid1(VALU_DEP_1)
	v_max3_f32 v129, v129, v160, v161
	v_sub_f32_e32 v156, v156, v129
	v_sub_f32_e32 v130, v154, v129
	;; [unrolled: 1-line block ×3, first 2 shown]
	s_delay_alu instid0(VALU_DEP_3) | instskip(NEXT) | instid1(VALU_DEP_3)
	v_dual_sub_f32 v150, v155, v129 :: v_dual_mul_f32 v165, 0x3fb8aa3b, v156
	v_mul_f32_e32 v130, 0x3fb8aa3b, v130
	s_delay_alu instid0(VALU_DEP_3) | instskip(NEXT) | instid1(VALU_DEP_3)
	v_mul_f32_e32 v167, 0x3fb8aa3b, v158
	v_mul_f32_e32 v150, 0x3fb8aa3b, v150
	s_delay_alu instid0(VALU_DEP_4) | instskip(NEXT) | instid1(VALU_DEP_3)
	v_exp_f32_e32 v165, v165
	v_exp_f32_e32 v164, v130
	v_sub_f32_e32 v130, v157, v129
	s_delay_alu instid0(VALU_DEP_2) | instskip(NEXT) | instid1(VALU_DEP_1)
	v_exp_f32_e32 v150, v150
	v_mul_f32_e32 v166, 0x3fb8aa3b, v130
	s_waitcnt lgkmcnt(0)
	s_waitcnt_depctr 0xfff
	v_fma_f32 v130, v164, v162, 0
	v_sub_f32_e32 v162, v159, v129
	v_exp_f32_e32 v166, v166
	s_delay_alu instid0(VALU_DEP_2)
	v_fmac_f32_e32 v130, v150, v163
	ds_load_2addr_b32 v[154:155], v139 offset0:170 offset1:187
	ds_load_2addr_b32 v[156:157], v139 offset0:204 offset1:221
	;; [unrolled: 1-line block ×3, first 2 shown]
	v_dual_sub_f32 v139, v160, v129 :: v_dual_mul_f32 v160, 0x3fb8aa3b, v162
	v_exp_f32_e32 v162, v167
	v_cndmask_b32_e64 v150, v164, v150, s4
	v_cmp_eq_u32_e64 s4, 2, v149
	s_delay_alu instid0(VALU_DEP_3)
	v_mul_f32_e32 v139, 0x3fb8aa3b, v139
	v_exp_f32_e32 v160, v160
	s_waitcnt lgkmcnt(0)
	s_barrier
	v_cndmask_b32_e64 v150, v150, v165, s4
	v_exp_f32_e32 v139, v139
	v_cmp_eq_u32_e64 s4, 3, v149
	buffer_gl0_inv
	v_cndmask_b32_e64 v150, v150, v166, s4
	v_fmac_f32_e32 v130, v165, v154
	v_sub_f32_e32 v154, v161, v129
	v_cmp_eq_u32_e64 s4, 4, v149
	s_delay_alu instid0(VALU_DEP_2) | instskip(NEXT) | instid1(VALU_DEP_2)
	v_mul_f32_e32 v154, 0x3fb8aa3b, v154
	v_cndmask_b32_e64 v150, v150, v162, s4
	v_cmp_eq_u32_e64 s4, 5, v149
	s_delay_alu instid0(VALU_DEP_3) | instskip(SKIP_1) | instid1(VALU_DEP_2)
	v_exp_f32_e32 v154, v154
	v_fmac_f32_e32 v130, v166, v155
	v_cndmask_b32_e64 v150, v150, v160, s4
	s_mov_b32 s4, exec_lo
	s_delay_alu instid0(VALU_DEP_2) | instskip(NEXT) | instid1(VALU_DEP_1)
	v_fmac_f32_e32 v130, v162, v156
	v_fmac_f32_e32 v130, v160, v157
	s_delay_alu instid0(VALU_DEP_1) | instskip(SKIP_2) | instid1(VALU_DEP_1)
	v_fmac_f32_e32 v130, v139, v158
	s_waitcnt_depctr 0xfff
	v_fmac_f32_e32 v130, v154, v159
	v_add_f32_e32 v155, 0x358637bd, v130
	s_delay_alu instid0(VALU_DEP_1) | instskip(SKIP_1) | instid1(VALU_DEP_2)
	v_div_scale_f32 v156, null, v155, v155, 1.0
	v_div_scale_f32 v159, vcc_lo, 1.0, v155, 1.0
	v_rcp_f32_e32 v157, v156
	s_waitcnt_depctr 0xfff
	v_fma_f32 v158, -v156, v157, 1.0
	s_delay_alu instid0(VALU_DEP_1) | instskip(NEXT) | instid1(VALU_DEP_1)
	v_fmac_f32_e32 v157, v158, v157
	v_mul_f32_e32 v158, v159, v157
	s_delay_alu instid0(VALU_DEP_1) | instskip(NEXT) | instid1(VALU_DEP_1)
	v_fma_f32 v161, -v156, v158, v159
	v_fmac_f32_e32 v158, v161, v157
	s_delay_alu instid0(VALU_DEP_1) | instskip(NEXT) | instid1(VALU_DEP_1)
	v_fma_f32 v156, -v156, v158, v159
	v_div_fmas_f32 v156, v156, v157, v158
	v_cmp_eq_u32_e32 vcc_lo, 6, v149
	v_cndmask_b32_e32 v139, v150, v139, vcc_lo
	v_cmp_eq_u32_e32 vcc_lo, 7, v149
	s_delay_alu instid0(VALU_DEP_4) | instskip(NEXT) | instid1(VALU_DEP_3)
	v_div_fixup_f32 v150, v156, v155, 1.0
	v_cndmask_b32_e32 v139, v139, v154, vcc_lo
	s_delay_alu instid0(VALU_DEP_1) | instskip(NEXT) | instid1(VALU_DEP_1)
	v_mul_f32_e32 v139, v139, v150
	v_mul_f32_e32 v154, v139, v140
	;; [unrolled: 1-line block ×7, first 2 shown]
	v_and_b32_e32 v155, 0x7f800000, v154
	v_mul_f32_e32 v153, v139, v144
	v_mul_f32_e32 v144, v139, v141
                                        ; implicit-def: $vgpr141
	s_delay_alu instid0(VALU_DEP_3)
	v_cmpx_ne_u32_e32 0x7f800000, v155
	s_xor_b32 s4, exec_lo, s4
; %bb.13:
	v_bfe_u32 v141, v154, 16, 1
	s_delay_alu instid0(VALU_DEP_1)
	v_add3_u32 v141, v154, v141, 0x7fff
                                        ; implicit-def: $vgpr154
; %bb.14:
	s_and_not1_saveexec_b32 s4, s4
; %bb.15:
	v_and_b32_e32 v141, 0xffff, v154
	v_or_b32_e32 v142, 0x10000, v154
	s_delay_alu instid0(VALU_DEP_2) | instskip(NEXT) | instid1(VALU_DEP_2)
	v_cmp_eq_u32_e32 vcc_lo, 0, v141
	v_cndmask_b32_e32 v141, v142, v154, vcc_lo
; %bb.16:
	s_or_b32 exec_lo, exec_lo, s4
	v_and_b32_e32 v142, 0x7f800000, v144
	s_delay_alu instid0(VALU_DEP_1) | instskip(SKIP_1) | instid1(SALU_CYCLE_1)
	v_cmp_ne_u32_e32 vcc_lo, 0x7f800000, v142
                                        ; implicit-def: $vgpr142
	s_and_saveexec_b32 s4, vcc_lo
	s_xor_b32 s4, exec_lo, s4
; %bb.17:
	v_bfe_u32 v142, v144, 16, 1
	s_delay_alu instid0(VALU_DEP_1)
	v_add3_u32 v142, v144, v142, 0x7fff
                                        ; implicit-def: $vgpr144
; %bb.18:
	s_and_not1_saveexec_b32 s4, s4
; %bb.19:
	v_and_b32_e32 v142, 0xffff, v144
	v_or_b32_e32 v154, 0x10000, v144
	s_delay_alu instid0(VALU_DEP_2) | instskip(NEXT) | instid1(VALU_DEP_2)
	v_cmp_eq_u32_e32 vcc_lo, 0, v142
	v_cndmask_b32_e32 v142, v154, v144, vcc_lo
; %bb.20:
	s_or_b32 exec_lo, exec_lo, s4
	v_and_b32_e32 v144, 0x7f800000, v151
	s_delay_alu instid0(VALU_DEP_1) | instskip(SKIP_1) | instid1(SALU_CYCLE_1)
	v_cmp_ne_u32_e32 vcc_lo, 0x7f800000, v144
                                        ; implicit-def: $vgpr144
	s_and_saveexec_b32 s4, vcc_lo
	s_xor_b32 s4, exec_lo, s4
; %bb.21:
	v_bfe_u32 v144, v151, 16, 1
	s_delay_alu instid0(VALU_DEP_1)
	v_add3_u32 v144, v151, v144, 0x7fff
                                        ; implicit-def: $vgpr151
; %bb.22:
	s_and_not1_saveexec_b32 s4, s4
; %bb.23:
	v_and_b32_e32 v144, 0xffff, v151
	v_or_b32_e32 v154, 0x10000, v151
	s_delay_alu instid0(VALU_DEP_2) | instskip(NEXT) | instid1(VALU_DEP_2)
	v_cmp_eq_u32_e32 vcc_lo, 0, v144
	v_cndmask_b32_e32 v144, v154, v151, vcc_lo
; %bb.24:
	s_or_b32 exec_lo, exec_lo, s4
	v_and_b32_e32 v151, 0x7f800000, v153
	s_delay_alu instid0(VALU_DEP_1) | instskip(SKIP_1) | instid1(SALU_CYCLE_1)
	v_cmp_ne_u32_e32 vcc_lo, 0x7f800000, v151
                                        ; implicit-def: $vgpr151
	s_and_saveexec_b32 s4, vcc_lo
	s_xor_b32 s4, exec_lo, s4
; %bb.25:
	v_bfe_u32 v151, v153, 16, 1
	s_delay_alu instid0(VALU_DEP_1)
	v_add3_u32 v151, v153, v151, 0x7fff
                                        ; implicit-def: $vgpr153
; %bb.26:
	s_and_not1_saveexec_b32 s4, s4
; %bb.27:
	v_and_b32_e32 v151, 0xffff, v153
	v_or_b32_e32 v154, 0x10000, v153
	s_delay_alu instid0(VALU_DEP_2) | instskip(NEXT) | instid1(VALU_DEP_2)
	v_cmp_eq_u32_e32 vcc_lo, 0, v151
	v_cndmask_b32_e32 v151, v154, v153, vcc_lo
; %bb.28:
	s_or_b32 exec_lo, exec_lo, s4
	v_and_b32_e32 v153, 0x7f800000, v152
	s_delay_alu instid0(VALU_DEP_1) | instskip(SKIP_1) | instid1(SALU_CYCLE_1)
	v_cmp_ne_u32_e32 vcc_lo, 0x7f800000, v153
                                        ; implicit-def: $vgpr153
	s_and_saveexec_b32 s4, vcc_lo
	s_xor_b32 s4, exec_lo, s4
; %bb.29:
	v_bfe_u32 v153, v152, 16, 1
	s_delay_alu instid0(VALU_DEP_1)
	v_add3_u32 v153, v152, v153, 0x7fff
                                        ; implicit-def: $vgpr152
; %bb.30:
	s_and_not1_saveexec_b32 s4, s4
; %bb.31:
	v_and_b32_e32 v153, 0xffff, v152
	v_or_b32_e32 v154, 0x10000, v152
	s_delay_alu instid0(VALU_DEP_2) | instskip(NEXT) | instid1(VALU_DEP_2)
	v_cmp_eq_u32_e32 vcc_lo, 0, v153
	v_cndmask_b32_e32 v153, v154, v152, vcc_lo
; %bb.32:
	s_or_b32 exec_lo, exec_lo, s4
	v_and_b32_e32 v152, 0x7f800000, v150
	s_delay_alu instid0(VALU_DEP_1) | instskip(SKIP_1) | instid1(SALU_CYCLE_1)
	v_cmp_ne_u32_e32 vcc_lo, 0x7f800000, v152
                                        ; implicit-def: $vgpr152
	s_and_saveexec_b32 s4, vcc_lo
	s_xor_b32 s4, exec_lo, s4
; %bb.33:
	v_bfe_u32 v152, v150, 16, 1
	s_delay_alu instid0(VALU_DEP_1)
	v_add3_u32 v152, v150, v152, 0x7fff
                                        ; implicit-def: $vgpr150
; %bb.34:
	s_and_not1_saveexec_b32 s4, s4
; %bb.35:
	v_and_b32_e32 v152, 0xffff, v150
	v_or_b32_e32 v154, 0x10000, v150
	s_delay_alu instid0(VALU_DEP_2) | instskip(NEXT) | instid1(VALU_DEP_2)
	v_cmp_eq_u32_e32 vcc_lo, 0, v152
	v_cndmask_b32_e32 v152, v154, v150, vcc_lo
; %bb.36:
	s_or_b32 exec_lo, exec_lo, s4
	v_and_b32_e32 v150, 0x7f800000, v143
	s_delay_alu instid0(VALU_DEP_1) | instskip(SKIP_1) | instid1(SALU_CYCLE_1)
	v_cmp_ne_u32_e32 vcc_lo, 0x7f800000, v150
                                        ; implicit-def: $vgpr150
	s_and_saveexec_b32 s4, vcc_lo
	s_xor_b32 s4, exec_lo, s4
; %bb.37:
	v_bfe_u32 v150, v143, 16, 1
	s_delay_alu instid0(VALU_DEP_1)
	v_add3_u32 v150, v143, v150, 0x7fff
                                        ; implicit-def: $vgpr143
; %bb.38:
	s_and_not1_saveexec_b32 s4, s4
; %bb.39:
	v_and_b32_e32 v150, 0xffff, v143
	v_or_b32_e32 v154, 0x10000, v143
	s_delay_alu instid0(VALU_DEP_2) | instskip(NEXT) | instid1(VALU_DEP_2)
	v_cmp_eq_u32_e32 vcc_lo, 0, v150
	v_cndmask_b32_e32 v150, v154, v143, vcc_lo
; %bb.40:
	s_or_b32 exec_lo, exec_lo, s4
	v_and_b32_e32 v143, 0x7f800000, v140
	s_delay_alu instid0(VALU_DEP_1) | instskip(SKIP_1) | instid1(SALU_CYCLE_1)
	v_cmp_ne_u32_e32 vcc_lo, 0x7f800000, v143
                                        ; implicit-def: $vgpr143
	s_and_saveexec_b32 s4, vcc_lo
	s_xor_b32 s4, exec_lo, s4
; %bb.41:
	v_bfe_u32 v143, v140, 16, 1
	s_delay_alu instid0(VALU_DEP_1)
	v_add3_u32 v143, v140, v143, 0x7fff
                                        ; implicit-def: $vgpr140
; %bb.42:
	s_and_not1_saveexec_b32 s4, s4
; %bb.43:
	v_and_b32_e32 v143, 0xffff, v140
	v_or_b32_e32 v154, 0x10000, v140
	s_delay_alu instid0(VALU_DEP_2) | instskip(NEXT) | instid1(VALU_DEP_2)
	v_cmp_eq_u32_e32 vcc_lo, 0, v143
	v_cndmask_b32_e32 v143, v154, v140, vcc_lo
; %bb.44:
	s_or_b32 exec_lo, exec_lo, s4
	s_load_b64 s[36:37], s[0:1], 0x94
	v_dual_mul_f32 v136, v139, v136 :: v_dual_lshlrev_b32 v155, 4, v146
	s_delay_alu instid0(VALU_DEP_2)
	v_perm_b32 v154, v143, v150, 0x7060302
	v_dual_mul_f32 v143, v139, v131 :: v_dual_lshlrev_b32 v140, 6, v148
	v_dual_mul_f32 v135, v139, v135 :: v_dual_lshlrev_b32 v150, 11, v149
	v_perm_b32 v153, v152, v153, 0x7060302
	v_perm_b32 v152, v151, v144, 0x7060302
	;; [unrolled: 1-line block ×3, first 2 shown]
	s_delay_alu instid0(VALU_DEP_4)
	v_or3_b32 v131, v155, v150, v140
	v_mul_f32_e32 v138, v139, v138
	v_dual_mul_f32 v137, v139, v137 :: v_dual_and_b32 v144, 0x7f800000, v143
	v_mul_f32_e32 v141, v139, v134
	v_mul_f32_e32 v142, v139, v133
	;; [unrolled: 1-line block ×3, first 2 shown]
	s_mov_b32 s4, exec_lo
	ds_store_b128 v131, v[151:154]
                                        ; implicit-def: $vgpr132
	v_cmpx_ne_u32_e32 0x7f800000, v144
	s_xor_b32 s4, exec_lo, s4
; %bb.45:
	v_bfe_u32 v132, v143, 16, 1
	s_delay_alu instid0(VALU_DEP_1)
	v_add3_u32 v132, v143, v132, 0x7fff
                                        ; implicit-def: $vgpr143
; %bb.46:
	s_and_not1_saveexec_b32 s4, s4
; %bb.47:
	v_and_b32_e32 v132, 0xffff, v143
	v_or_b32_e32 v133, 0x10000, v143
	s_delay_alu instid0(VALU_DEP_2) | instskip(NEXT) | instid1(VALU_DEP_2)
	v_cmp_eq_u32_e32 vcc_lo, 0, v132
	v_cndmask_b32_e32 v132, v133, v143, vcc_lo
; %bb.48:
	s_or_b32 exec_lo, exec_lo, s4
	v_and_b32_e32 v133, 0x7f800000, v134
	s_delay_alu instid0(VALU_DEP_1) | instskip(SKIP_1) | instid1(SALU_CYCLE_1)
	v_cmp_ne_u32_e32 vcc_lo, 0x7f800000, v133
                                        ; implicit-def: $vgpr133
	s_and_saveexec_b32 s4, vcc_lo
	s_xor_b32 s4, exec_lo, s4
; %bb.49:
	v_bfe_u32 v133, v134, 16, 1
	s_delay_alu instid0(VALU_DEP_1)
	v_add3_u32 v133, v134, v133, 0x7fff
                                        ; implicit-def: $vgpr134
; %bb.50:
	s_and_not1_saveexec_b32 s4, s4
; %bb.51:
	v_and_b32_e32 v133, 0xffff, v134
	v_or_b32_e32 v139, 0x10000, v134
	s_delay_alu instid0(VALU_DEP_2) | instskip(NEXT) | instid1(VALU_DEP_2)
	v_cmp_eq_u32_e32 vcc_lo, 0, v133
	v_cndmask_b32_e32 v133, v139, v134, vcc_lo
; %bb.52:
	s_or_b32 exec_lo, exec_lo, s4
	v_and_b32_e32 v134, 0x7f800000, v142
	s_delay_alu instid0(VALU_DEP_1) | instskip(SKIP_1) | instid1(SALU_CYCLE_1)
	v_cmp_ne_u32_e32 vcc_lo, 0x7f800000, v134
                                        ; implicit-def: $vgpr134
	s_and_saveexec_b32 s4, vcc_lo
	s_xor_b32 s4, exec_lo, s4
; %bb.53:
	v_bfe_u32 v134, v142, 16, 1
	s_delay_alu instid0(VALU_DEP_1)
	v_add3_u32 v134, v142, v134, 0x7fff
                                        ; implicit-def: $vgpr142
; %bb.54:
	s_and_not1_saveexec_b32 s4, s4
; %bb.55:
	v_and_b32_e32 v134, 0xffff, v142
	v_or_b32_e32 v139, 0x10000, v142
	s_delay_alu instid0(VALU_DEP_2) | instskip(NEXT) | instid1(VALU_DEP_2)
	v_cmp_eq_u32_e32 vcc_lo, 0, v134
	v_cndmask_b32_e32 v134, v139, v142, vcc_lo
; %bb.56:
	s_or_b32 exec_lo, exec_lo, s4
	v_and_b32_e32 v139, 0x7f800000, v141
	s_delay_alu instid0(VALU_DEP_1) | instskip(SKIP_1) | instid1(SALU_CYCLE_1)
	v_cmp_ne_u32_e32 vcc_lo, 0x7f800000, v139
                                        ; implicit-def: $vgpr139
	s_and_saveexec_b32 s4, vcc_lo
	s_xor_b32 s4, exec_lo, s4
; %bb.57:
	v_bfe_u32 v139, v141, 16, 1
	s_delay_alu instid0(VALU_DEP_1)
	v_add3_u32 v139, v141, v139, 0x7fff
                                        ; implicit-def: $vgpr141
; %bb.58:
	s_and_not1_saveexec_b32 s4, s4
; %bb.59:
	v_and_b32_e32 v139, 0xffff, v141
	v_or_b32_e32 v142, 0x10000, v141
	s_delay_alu instid0(VALU_DEP_2) | instskip(NEXT) | instid1(VALU_DEP_2)
	v_cmp_eq_u32_e32 vcc_lo, 0, v139
	v_cndmask_b32_e32 v139, v142, v141, vcc_lo
; %bb.60:
	s_or_b32 exec_lo, exec_lo, s4
	v_and_b32_e32 v141, 0x7f800000, v135
	s_delay_alu instid0(VALU_DEP_1) | instskip(SKIP_1) | instid1(SALU_CYCLE_1)
	v_cmp_ne_u32_e32 vcc_lo, 0x7f800000, v141
                                        ; implicit-def: $vgpr141
	s_and_saveexec_b32 s4, vcc_lo
	s_xor_b32 s4, exec_lo, s4
; %bb.61:
	v_bfe_u32 v141, v135, 16, 1
	s_delay_alu instid0(VALU_DEP_1)
	v_add3_u32 v141, v135, v141, 0x7fff
                                        ; implicit-def: $vgpr135
; %bb.62:
	s_and_not1_saveexec_b32 s4, s4
; %bb.63:
	v_and_b32_e32 v141, 0xffff, v135
	v_or_b32_e32 v142, 0x10000, v135
	s_delay_alu instid0(VALU_DEP_2) | instskip(NEXT) | instid1(VALU_DEP_2)
	v_cmp_eq_u32_e32 vcc_lo, 0, v141
	v_cndmask_b32_e32 v141, v142, v135, vcc_lo
; %bb.64:
	s_or_b32 exec_lo, exec_lo, s4
	v_and_b32_e32 v135, 0x7f800000, v136
	s_delay_alu instid0(VALU_DEP_1) | instskip(SKIP_1) | instid1(SALU_CYCLE_1)
	v_cmp_ne_u32_e32 vcc_lo, 0x7f800000, v135
                                        ; implicit-def: $vgpr135
	s_and_saveexec_b32 s4, vcc_lo
	s_xor_b32 s4, exec_lo, s4
; %bb.65:
	v_bfe_u32 v135, v136, 16, 1
	s_delay_alu instid0(VALU_DEP_1)
	v_add3_u32 v135, v136, v135, 0x7fff
                                        ; implicit-def: $vgpr136
; %bb.66:
	s_and_not1_saveexec_b32 s4, s4
; %bb.67:
	v_and_b32_e32 v135, 0xffff, v136
	v_or_b32_e32 v142, 0x10000, v136
	s_delay_alu instid0(VALU_DEP_2) | instskip(NEXT) | instid1(VALU_DEP_2)
	v_cmp_eq_u32_e32 vcc_lo, 0, v135
	v_cndmask_b32_e32 v135, v142, v136, vcc_lo
; %bb.68:
	s_or_b32 exec_lo, exec_lo, s4
	v_and_b32_e32 v136, 0x7f800000, v137
	s_delay_alu instid0(VALU_DEP_1) | instskip(SKIP_1) | instid1(SALU_CYCLE_1)
	v_cmp_ne_u32_e32 vcc_lo, 0x7f800000, v136
                                        ; implicit-def: $vgpr136
	s_and_saveexec_b32 s4, vcc_lo
	s_xor_b32 s4, exec_lo, s4
; %bb.69:
	v_bfe_u32 v136, v137, 16, 1
	s_delay_alu instid0(VALU_DEP_1)
	v_add3_u32 v136, v137, v136, 0x7fff
                                        ; implicit-def: $vgpr137
; %bb.70:
	s_and_not1_saveexec_b32 s4, s4
; %bb.71:
	v_and_b32_e32 v136, 0xffff, v137
	v_or_b32_e32 v142, 0x10000, v137
	s_delay_alu instid0(VALU_DEP_2) | instskip(NEXT) | instid1(VALU_DEP_2)
	v_cmp_eq_u32_e32 vcc_lo, 0, v136
	v_cndmask_b32_e32 v136, v142, v137, vcc_lo
; %bb.72:
	s_or_b32 exec_lo, exec_lo, s4
	v_and_b32_e32 v137, 0x7f800000, v138
	s_delay_alu instid0(VALU_DEP_1) | instskip(SKIP_1) | instid1(SALU_CYCLE_1)
	v_cmp_ne_u32_e32 vcc_lo, 0x7f800000, v137
                                        ; implicit-def: $vgpr137
	s_and_saveexec_b32 s4, vcc_lo
	s_xor_b32 s4, exec_lo, s4
; %bb.73:
	v_bfe_u32 v137, v138, 16, 1
	s_delay_alu instid0(VALU_DEP_1)
	v_add3_u32 v137, v138, v137, 0x7fff
                                        ; implicit-def: $vgpr138
; %bb.74:
	s_and_not1_saveexec_b32 s4, s4
; %bb.75:
	v_and_b32_e32 v137, 0xffff, v138
	v_or_b32_e32 v142, 0x10000, v138
	s_delay_alu instid0(VALU_DEP_2) | instskip(NEXT) | instid1(VALU_DEP_2)
	v_cmp_eq_u32_e32 vcc_lo, 0, v137
	v_cndmask_b32_e32 v137, v142, v138, vcc_lo
; %bb.76:
	s_or_b32 exec_lo, exec_lo, s4
	s_delay_alu instid0(VALU_DEP_1)
	v_perm_b32 v136, v137, v136, 0x7060302
	v_perm_b32 v135, v135, v141, 0x7060302
	;; [unrolled: 1-line block ×4, first 2 shown]
	v_lshl_or_b32 v141, v149, 11, v140
	ds_store_b128 v131, v[133:136] offset:1024
	s_waitcnt lgkmcnt(0)
	s_barrier
	buffer_gl0_inv
	ds_load_b128 v[132:135], v141
	ds_load_b128 v[149:152], v141 offset:16
	s_waitcnt lgkmcnt(1)
	v_lshrrev_b32_e32 v136, 16, v132
	s_waitcnt lgkmcnt(0)
	v_lshrrev_b32_e32 v164, 16, v151
	v_lshlrev_b32_e32 v138, 2, v146
	v_lshrrev_b32_e32 v143, 16, v149
	v_lshrrev_b32_e32 v162, 16, v150
	;; [unrolled: 1-line block ×4, first 2 shown]
	v_or_b32_e32 v139, 1, v138
	v_lshrrev_b32_e32 v165, 16, v152
	v_lshrrev_b32_e32 v163, 16, v135
	s_delay_alu instid0(VALU_DEP_3)
	v_cmp_eq_u32_e64 s8, 1, v139
	v_cmp_eq_u32_e64 s7, 2, v139
	;; [unrolled: 1-line block ×4, first 2 shown]
	v_cmp_eq_u32_e32 vcc_lo, 5, v139
	v_cndmask_b32_e64 v155, v149, v143, s8
	v_cndmask_b32_e64 v154, v132, v136, s8
	v_cmp_eq_u32_e64 s5, 6, v139
	v_cmp_eq_u32_e64 s20, 7, v139
	s_delay_alu instid0(VALU_DEP_4) | instskip(NEXT) | instid1(VALU_DEP_4)
	v_cndmask_b32_e64 v155, v155, v150, s7
	v_cndmask_b32_e64 v154, v154, v133, s7
	s_delay_alu instid0(VALU_DEP_2) | instskip(NEXT) | instid1(VALU_DEP_2)
	v_cndmask_b32_e64 v155, v155, v162, s6
	v_cndmask_b32_e64 v154, v154, v144, s6
	s_delay_alu instid0(VALU_DEP_2) | instskip(NEXT) | instid1(VALU_DEP_2)
	v_cndmask_b32_e64 v155, v155, v151, s4
	v_cndmask_b32_e64 v154, v154, v134, s4
	s_delay_alu instid0(VALU_DEP_2)
	v_cndmask_b32_e32 v157, v155, v164, vcc_lo
	v_cmp_eq_u32_e64 s13, 1, v138
	v_cmp_eq_u32_e64 s12, 2, v138
	;; [unrolled: 1-line block ×3, first 2 shown]
	v_or_b32_e32 v137, 2, v138
	v_cmp_eq_u32_e64 s18, 4, v138
	v_cndmask_b32_e64 v153, v149, v143, s13
	v_cndmask_b32_e64 v142, v132, v136, s13
	v_cmp_eq_u32_e64 s15, 5, v138
	v_cmp_eq_u32_e64 s9, 1, v137
	;; [unrolled: 1-line block ×3, first 2 shown]
	v_cndmask_b32_e64 v153, v153, v150, s12
	v_cndmask_b32_e64 v142, v142, v133, s12
	v_cmp_eq_u32_e64 s11, 2, v137
	v_cndmask_b32_e64 v156, v132, v136, s9
	v_cndmask_b32_e32 v154, v154, v161, vcc_lo
	v_cndmask_b32_e64 v153, v153, v162, s17
	v_cndmask_b32_e64 v142, v142, v144, s17
	v_cmp_eq_u32_e64 s10, 7, v138
	v_cndmask_b32_e64 v156, v156, v133, s11
	v_cmp_eq_u32_e64 s19, 3, v137
	v_cndmask_b32_e64 v153, v153, v151, s18
	v_cndmask_b32_e64 v142, v142, v134, s18
	;; [unrolled: 1-line block ×3, first 2 shown]
	v_cmp_eq_u32_e64 s21, 4, v137
	v_cndmask_b32_e64 v156, v156, v144, s19
	v_cndmask_b32_e64 v153, v153, v164, s15
	;; [unrolled: 1-line block ×4, first 2 shown]
	v_cmp_eq_u32_e64 s23, 5, v137
	v_cndmask_b32_e64 v159, v156, v134, s21
	v_cndmask_b32_e64 v153, v153, v152, s16
	;; [unrolled: 1-line block ×3, first 2 shown]
	v_cmp_eq_u32_e64 s26, 6, v137
	v_cmp_eq_u32_e64 s28, 7, v137
	v_cndmask_b32_e64 v169, v159, v161, s23
	v_cndmask_b32_e64 v167, v153, v165, s10
	;; [unrolled: 1-line block ×4, first 2 shown]
	v_or_b32_e32 v142, 3, v138
	s_delay_alu instid0(VALU_DEP_3)
	v_cndmask_b32_e64 v158, v153, v150, s11
	ds_load_b128 v[153:156], v141 offset:1024
	v_cmp_eq_u32_e64 s22, 1, v142
	v_cmp_eq_u32_e64 s24, 2, v142
	;; [unrolled: 1-line block ×3, first 2 shown]
	v_cndmask_b32_e64 v158, v158, v162, s19
	v_cmp_eq_u32_e64 s27, 4, v142
	v_cndmask_b32_e64 v132, v132, v136, s22
	v_cndmask_b32_e64 v136, v157, v152, s5
	;; [unrolled: 1-line block ×4, first 2 shown]
	ds_load_b128 v[157:160], v141 offset:1040
	v_cndmask_b32_e64 v132, v132, v133, s24
	v_cmp_eq_u32_e64 s29, 5, v142
	v_cndmask_b32_e64 v143, v143, v150, s24
	v_cmp_eq_u32_e64 s30, 6, v142
	v_cndmask_b32_e64 v133, v170, v164, s23
	v_cndmask_b32_e64 v132, v132, v144, s25
	;; [unrolled: 1-line block ×5, first 2 shown]
	s_waitcnt lgkmcnt(1)
	v_lshrrev_b32_e32 v149, 16, v153
	v_cndmask_b32_e64 v132, v132, v134, s27
	v_cndmask_b32_e64 v133, v133, v152, s26
	v_cndmask_b32_e64 v134, v143, v151, s27
	v_lshrrev_b32_e32 v151, 16, v154
	v_cndmask_b32_e64 v143, v153, v149, s13
	v_cndmask_b32_e64 v132, v132, v161, s29
	;; [unrolled: 1-line block ×5, first 2 shown]
	s_waitcnt lgkmcnt(0)
	v_lshrrev_b32_e32 v150, 16, v157
	v_cndmask_b32_e64 v143, v143, v154, s12
	v_cndmask_b32_e64 v132, v132, v135, s30
	;; [unrolled: 1-line block ×3, first 2 shown]
	v_lshrrev_b32_e32 v164, 16, v159
	v_cndmask_b32_e64 v162, v157, v150, s13
	v_cndmask_b32_e64 v135, v143, v151, s17
	;; [unrolled: 1-line block ×3, first 2 shown]
	v_lshrrev_b32_e32 v161, 16, v158
	v_cndmask_b32_e64 v133, v133, v165, s28
	v_cndmask_b32_e64 v152, v162, v158, s12
	v_cmp_eq_u32_e64 s12, 7, v142
	v_cndmask_b32_e64 v143, v143, v151, s6
	v_cndmask_b32_e64 v135, v135, v155, s18
	v_lshrrev_b32_e32 v162, 16, v155
	v_cndmask_b32_e64 v152, v152, v161, s17
	v_cndmask_b32_e64 v132, v132, v163, s12
	;; [unrolled: 1-line block ×6, first 2 shown]
	s_delay_alu instid0(VALU_DEP_4) | instskip(NEXT) | instid1(VALU_DEP_4)
	v_perm_b32 v135, v134, v132, 0x5040100
	v_cndmask_b32_e32 v132, v143, v162, vcc_lo
	s_delay_alu instid0(VALU_DEP_4)
	v_cndmask_b32_e64 v143, v163, v156, s16
	v_lshrrev_b32_e32 v163, 16, v156
	v_cndmask_b32_e64 v152, v152, v164, s15
	v_perm_b32 v134, v133, v144, 0x5040100
	v_cndmask_b32_e64 v132, v132, v156, s5
	v_perm_b32 v133, v136, v168, 0x5040100
	v_cndmask_b32_e64 v136, v143, v163, s10
	v_cndmask_b32_e64 v143, v152, v160, s16
	;; [unrolled: 1-line block ×13, first 2 shown]
	v_lshrrev_b32_e32 v144, 16, v160
	v_cndmask_b32_e64 v132, v132, v151, s19
	v_cndmask_b32_e64 v149, v149, v151, s25
	;; [unrolled: 1-line block ×14, first 2 shown]
	v_cndmask_b32_e32 v150, v150, v164, vcc_lo
	v_cndmask_b32_e64 v132, v132, v156, s26
	v_cndmask_b32_e64 v149, v149, v156, s30
	;; [unrolled: 1-line block ×11, first 2 shown]
	v_perm_b32 v132, v167, v166, 0x5040100
	v_perm_b32 v152, v151, v149, 0x5040100
	;; [unrolled: 1-line block ×5, first 2 shown]
	s_mul_i32 s9, s37, 15
	s_mov_b32 s4, exec_lo
	ds_store_b128 v131, v[132:135]
	ds_store_b128 v131, v[149:152] offset:1024
	v_cmpx_gt_u32_e32 15, v0
	s_cbranch_execz .LBB456_78
; %bb.77:
	s_mul_i32 s5, s9, s34
	s_load_b128 s[16:19], s[0:1], 0x58
	v_add3_u32 v133, s5, s31, v148
	s_delay_alu instid0(VALU_DEP_1) | instskip(NEXT) | instid1(VALU_DEP_1)
	v_mad_u64_u32 v[131:132], null, v133, s36, s[14:15]
	v_ashrrev_i32_e32 v132, 31, v131
	s_delay_alu instid0(VALU_DEP_1) | instskip(SKIP_1) | instid1(VALU_DEP_1)
	v_lshlrev_b64 v[131:132], 2, v[131:132]
	s_waitcnt lgkmcnt(0)
	v_add_co_u32 v133, vcc_lo, s18, v131
	s_delay_alu instid0(VALU_DEP_2)
	v_add_co_ci_u32_e32 v134, vcc_lo, s19, v132, vcc_lo
	v_add_co_u32 v131, vcc_lo, s16, v131
	v_add_co_ci_u32_e32 v132, vcc_lo, s17, v132, vcc_lo
	global_store_b32 v[133:134], v129, off
	global_store_b32 v[131:132], v130, off
.LBB456_78:
	s_or_b32 exec_lo, exec_lo, s4
	s_waitcnt lgkmcnt(0)
	s_waitcnt_vscnt null, 0x0
	s_barrier
	buffer_gl0_inv
	ds_load_b128 v[148:151], v140
	ds_load_b128 v[152:155], v140 offset:16
	ds_load_b128 v[160:163], v140 offset:1040
	;; [unrolled: 1-line block ×3, first 2 shown]
	v_mov_b32_e32 v129, 0
	ds_load_b128 v[168:171], v140 offset:2064
	ds_load_b128 v[164:167], v140 offset:2048
	;; [unrolled: 1-line block ×6, first 2 shown]
	v_mov_b32_e32 v130, v129
	v_mov_b32_e32 v131, v129
	;; [unrolled: 1-line block ×7, first 2 shown]
	s_waitcnt lgkmcnt(8)
	s_delay_alu instid0(VALU_DEP_1)
	v_wmma_f32_16x16x16_bf16 v[129:136], v[121:128], v[148:155], v[129:136]
	ds_load_b128 v[125:128], v140 offset:5136
	ds_load_b128 v[121:124], v140 offset:5120
	s_waitcnt lgkmcnt(8)
	v_wmma_f32_16x16x16_bf16 v[129:136], v[113:120], v[156:163], v[129:136]
	ds_load_b128 v[117:120], v140 offset:6160
	ds_load_b128 v[113:116], v140 offset:6144
	s_waitcnt lgkmcnt(8)
	;; [unrolled: 4-line block ×8, first 2 shown]
	v_wmma_f32_16x16x16_bf16 v[129:136], v[65:72], v[97:104], v[129:136]
	s_waitcnt lgkmcnt(6)
	s_delay_alu instid0(VALU_DEP_1)
	v_wmma_f32_16x16x16_bf16 v[129:136], v[49:56], v[89:96], v[129:136]
	ds_load_b128 v[53:56], v140 offset:13328
	ds_load_b128 v[49:52], v140 offset:13312
	s_waitcnt lgkmcnt(6)
	v_wmma_f32_16x16x16_bf16 v[129:136], v[41:48], v[81:88], v[129:136]
	ds_load_b128 v[45:48], v140 offset:14352
	ds_load_b128 v[41:44], v140 offset:14336
	s_waitcnt lgkmcnt(6)
	;; [unrolled: 4-line block ×3, first 2 shown]
	v_wmma_f32_16x16x16_bf16 v[129:136], v[1:8], v[57:64], v[129:136]
	s_waitcnt lgkmcnt(4)
	s_delay_alu instid0(VALU_DEP_1) | instskip(SKIP_1) | instid1(VALU_DEP_1)
	v_wmma_f32_16x16x16_bf16 v[129:136], v[25:32], v[49:56], v[129:136]
	s_waitcnt lgkmcnt(2)
	v_wmma_f32_16x16x16_bf16 v[129:136], v[33:40], v[41:48], v[129:136]
	s_waitcnt lgkmcnt(0)
	s_delay_alu instid0(VALU_DEP_1) | instskip(NEXT) | instid1(VALU_DEP_1)
	v_wmma_f32_16x16x16_bf16 v[129:136], v[9:16], v[17:24], v[129:136]
	v_and_b32_e32 v1, 0x7f800000, v129
	s_delay_alu instid0(VALU_DEP_1) | instskip(SKIP_1) | instid1(SALU_CYCLE_1)
	v_cmp_ne_u32_e32 vcc_lo, 0x7f800000, v1
                                        ; implicit-def: $vgpr1
	s_and_saveexec_b32 s4, vcc_lo
	s_xor_b32 s4, exec_lo, s4
; %bb.79:
	v_bfe_u32 v1, v129, 16, 1
	s_delay_alu instid0(VALU_DEP_1)
	v_add3_u32 v1, v129, v1, 0x7fff
; %bb.80:
	s_and_not1_saveexec_b32 s4, s4
; %bb.81:
	v_and_b32_e32 v1, 0xffff, v129
	v_or_b32_e32 v2, 0x10000, v129
	s_delay_alu instid0(VALU_DEP_2) | instskip(NEXT) | instid1(VALU_DEP_2)
	v_cmp_eq_u32_e32 vcc_lo, 0, v1
	v_cndmask_b32_e32 v1, v2, v129, vcc_lo
; %bb.82:
	s_or_b32 exec_lo, exec_lo, s4
	v_and_b32_e32 v2, 0x7f800000, v130
	s_delay_alu instid0(VALU_DEP_1) | instskip(SKIP_1) | instid1(SALU_CYCLE_1)
	v_cmp_ne_u32_e32 vcc_lo, 0x7f800000, v2
                                        ; implicit-def: $vgpr2
	s_and_saveexec_b32 s4, vcc_lo
	s_xor_b32 s4, exec_lo, s4
; %bb.83:
	v_bfe_u32 v2, v130, 16, 1
	s_delay_alu instid0(VALU_DEP_1)
	v_add3_u32 v2, v130, v2, 0x7fff
; %bb.84:
	s_and_not1_saveexec_b32 s4, s4
; %bb.85:
	v_and_b32_e32 v2, 0xffff, v130
	v_or_b32_e32 v3, 0x10000, v130
	s_delay_alu instid0(VALU_DEP_2) | instskip(NEXT) | instid1(VALU_DEP_2)
	v_cmp_eq_u32_e32 vcc_lo, 0, v2
	v_cndmask_b32_e32 v2, v3, v130, vcc_lo
; %bb.86:
	s_or_b32 exec_lo, exec_lo, s4
	v_and_b32_e32 v3, 0x7f800000, v131
	s_delay_alu instid0(VALU_DEP_1) | instskip(SKIP_1) | instid1(SALU_CYCLE_1)
	v_cmp_ne_u32_e32 vcc_lo, 0x7f800000, v3
                                        ; implicit-def: $vgpr3
	s_and_saveexec_b32 s4, vcc_lo
	s_xor_b32 s4, exec_lo, s4
; %bb.87:
	v_bfe_u32 v3, v131, 16, 1
	s_delay_alu instid0(VALU_DEP_1)
	v_add3_u32 v3, v131, v3, 0x7fff
; %bb.88:
	s_and_not1_saveexec_b32 s4, s4
; %bb.89:
	v_and_b32_e32 v3, 0xffff, v131
	v_or_b32_e32 v4, 0x10000, v131
	s_delay_alu instid0(VALU_DEP_2) | instskip(NEXT) | instid1(VALU_DEP_2)
	v_cmp_eq_u32_e32 vcc_lo, 0, v3
	v_cndmask_b32_e32 v3, v4, v131, vcc_lo
; %bb.90:
	s_or_b32 exec_lo, exec_lo, s4
	v_and_b32_e32 v4, 0x7f800000, v132
	s_delay_alu instid0(VALU_DEP_1) | instskip(SKIP_1) | instid1(SALU_CYCLE_1)
	v_cmp_ne_u32_e32 vcc_lo, 0x7f800000, v4
                                        ; implicit-def: $vgpr4
	s_and_saveexec_b32 s4, vcc_lo
	s_xor_b32 s4, exec_lo, s4
; %bb.91:
	v_bfe_u32 v4, v132, 16, 1
	s_delay_alu instid0(VALU_DEP_1)
	v_add3_u32 v4, v132, v4, 0x7fff
; %bb.92:
	s_and_not1_saveexec_b32 s4, s4
; %bb.93:
	v_and_b32_e32 v4, 0xffff, v132
	v_or_b32_e32 v5, 0x10000, v132
	s_delay_alu instid0(VALU_DEP_2) | instskip(NEXT) | instid1(VALU_DEP_2)
	v_cmp_eq_u32_e32 vcc_lo, 0, v4
	v_cndmask_b32_e32 v4, v5, v132, vcc_lo
; %bb.94:
	s_or_b32 exec_lo, exec_lo, s4
	v_and_b32_e32 v5, 0x7f800000, v133
	s_delay_alu instid0(VALU_DEP_1) | instskip(SKIP_1) | instid1(SALU_CYCLE_1)
	v_cmp_ne_u32_e32 vcc_lo, 0x7f800000, v5
                                        ; implicit-def: $vgpr5
	s_and_saveexec_b32 s4, vcc_lo
	s_xor_b32 s4, exec_lo, s4
; %bb.95:
	v_bfe_u32 v5, v133, 16, 1
	s_delay_alu instid0(VALU_DEP_1)
	v_add3_u32 v5, v133, v5, 0x7fff
; %bb.96:
	s_and_not1_saveexec_b32 s4, s4
; %bb.97:
	v_and_b32_e32 v5, 0xffff, v133
	v_or_b32_e32 v6, 0x10000, v133
	s_delay_alu instid0(VALU_DEP_2) | instskip(NEXT) | instid1(VALU_DEP_2)
	v_cmp_eq_u32_e32 vcc_lo, 0, v5
	v_cndmask_b32_e32 v5, v6, v133, vcc_lo
; %bb.98:
	s_or_b32 exec_lo, exec_lo, s4
	v_and_b32_e32 v6, 0x7f800000, v134
	s_delay_alu instid0(VALU_DEP_1) | instskip(SKIP_1) | instid1(SALU_CYCLE_1)
	v_cmp_ne_u32_e32 vcc_lo, 0x7f800000, v6
                                        ; implicit-def: $vgpr6
	s_and_saveexec_b32 s4, vcc_lo
	s_xor_b32 s4, exec_lo, s4
; %bb.99:
	v_bfe_u32 v6, v134, 16, 1
	s_delay_alu instid0(VALU_DEP_1)
	v_add3_u32 v6, v134, v6, 0x7fff
; %bb.100:
	s_and_not1_saveexec_b32 s4, s4
; %bb.101:
	v_and_b32_e32 v6, 0xffff, v134
	v_or_b32_e32 v7, 0x10000, v134
	s_delay_alu instid0(VALU_DEP_2) | instskip(NEXT) | instid1(VALU_DEP_2)
	v_cmp_eq_u32_e32 vcc_lo, 0, v6
	v_cndmask_b32_e32 v6, v7, v134, vcc_lo
; %bb.102:
	s_or_b32 exec_lo, exec_lo, s4
	v_and_b32_e32 v7, 0x7f800000, v135
	s_delay_alu instid0(VALU_DEP_1) | instskip(SKIP_1) | instid1(SALU_CYCLE_1)
	v_cmp_ne_u32_e32 vcc_lo, 0x7f800000, v7
                                        ; implicit-def: $vgpr7
	s_and_saveexec_b32 s4, vcc_lo
	s_xor_b32 s4, exec_lo, s4
; %bb.103:
	v_bfe_u32 v7, v135, 16, 1
	s_delay_alu instid0(VALU_DEP_1)
	v_add3_u32 v7, v135, v7, 0x7fff
; %bb.104:
	s_and_not1_saveexec_b32 s4, s4
; %bb.105:
	v_and_b32_e32 v7, 0xffff, v135
	v_or_b32_e32 v8, 0x10000, v135
	s_delay_alu instid0(VALU_DEP_2) | instskip(NEXT) | instid1(VALU_DEP_2)
	v_cmp_eq_u32_e32 vcc_lo, 0, v7
	v_cndmask_b32_e32 v7, v8, v135, vcc_lo
; %bb.106:
	s_or_b32 exec_lo, exec_lo, s4
	v_and_b32_e32 v8, 0x7f800000, v136
	s_delay_alu instid0(VALU_DEP_1) | instskip(SKIP_1) | instid1(SALU_CYCLE_1)
	v_cmp_ne_u32_e32 vcc_lo, 0x7f800000, v8
                                        ; implicit-def: $vgpr8
	s_and_saveexec_b32 s4, vcc_lo
	s_xor_b32 s4, exec_lo, s4
; %bb.107:
	v_bfe_u32 v8, v136, 16, 1
	s_delay_alu instid0(VALU_DEP_1)
	v_add3_u32 v8, v136, v8, 0x7fff
                                        ; implicit-def: $vgpr129_vgpr130_vgpr131_vgpr132_vgpr133_vgpr134_vgpr135_vgpr136
; %bb.108:
	s_and_not1_saveexec_b32 s4, s4
; %bb.109:
	v_and_b32_e32 v8, 0xffff, v136
	v_or_b32_e32 v9, 0x10000, v136
	s_delay_alu instid0(VALU_DEP_2) | instskip(NEXT) | instid1(VALU_DEP_2)
	v_cmp_eq_u32_e32 vcc_lo, 0, v8
	v_cndmask_b32_e32 v8, v9, v136, vcc_lo
; %bb.110:
	s_or_b32 exec_lo, exec_lo, s4
	s_delay_alu instid0(VALU_DEP_1)
	v_perm_b32 v7, v8, v7, 0x7060302
	v_perm_b32 v6, v6, v5, 0x7060302
	;; [unrolled: 1-line block ×4, first 2 shown]
	v_lshl_or_b32 v9, v146, 4, v141
	s_barrier
	buffer_gl0_inv
	v_cmp_eq_u32_e32 vcc_lo, 1, v138
	ds_store_b128 v9, v[4:7]
	s_waitcnt lgkmcnt(0)
	s_barrier
	buffer_gl0_inv
	ds_load_b128 v[1:4], v141
	ds_load_b128 v[5:8], v141 offset:16
	v_cmp_eq_u32_e64 s5, 2, v138
	v_cmp_eq_u32_e64 s4, 1, v139
	;; [unrolled: 1-line block ×5, first 2 shown]
	s_waitcnt lgkmcnt(1)
	v_lshrrev_b32_e32 v10, 16, v1
	s_waitcnt lgkmcnt(0)
	v_lshrrev_b32_e32 v14, 16, v5
	v_lshrrev_b32_e32 v15, 16, v6
	;; [unrolled: 1-line block ×4, first 2 shown]
	v_cndmask_b32_e64 v20, v1, v10, s4
	v_cndmask_b32_e32 v19, v5, v14, vcc_lo
	v_cndmask_b32_e64 v21, v5, v14, s4
	v_lshrrev_b32_e32 v16, 16, v7
	v_cmp_eq_u32_e64 s4, 1, v137
	v_lshrrev_b32_e32 v13, 16, v4
	v_cndmask_b32_e64 v19, v19, v6, s5
	v_lshrrev_b32_e32 v17, 16, v8
	s_delay_alu instid0(VALU_DEP_4) | instskip(SKIP_1) | instid1(VALU_DEP_4)
	v_cndmask_b32_e64 v22, v1, v10, s4
	v_cndmask_b32_e64 v23, v5, v14, s4
	;; [unrolled: 1-line block ×3, first 2 shown]
	v_cndmask_b32_e32 v18, v1, v10, vcc_lo
	v_cmp_eq_u32_e32 vcc_lo, 2, v139
	v_cmp_eq_u32_e64 s4, 2, v142
	v_cndmask_b32_e64 v22, v22, v2, s8
	v_cndmask_b32_e32 v20, v20, v2, vcc_lo
	v_cndmask_b32_e32 v21, v21, v6, vcc_lo
	v_cmp_eq_u32_e32 vcc_lo, 4, v138
	v_cndmask_b32_e32 v19, v19, v7, vcc_lo
	v_cndmask_b32_e64 v18, v18, v2, s5
	v_cmp_eq_u32_e64 s5, 3, v139
	s_delay_alu instid0(VALU_DEP_2) | instskip(NEXT) | instid1(VALU_DEP_2)
	v_cndmask_b32_e64 v18, v18, v11, s6
	v_cndmask_b32_e64 v21, v21, v15, s5
	v_cmp_eq_u32_e64 s6, 5, v138
	s_delay_alu instid0(VALU_DEP_3) | instskip(SKIP_1) | instid1(VALU_DEP_3)
	v_cndmask_b32_e32 v18, v18, v3, vcc_lo
	v_cmp_eq_u32_e32 vcc_lo, 4, v139
	v_cndmask_b32_e64 v19, v19, v16, s6
	s_delay_alu instid0(VALU_DEP_3) | instskip(SKIP_4) | instid1(VALU_DEP_3)
	v_cndmask_b32_e64 v18, v18, v12, s6
	v_cndmask_b32_e32 v21, v21, v7, vcc_lo
	v_cndmask_b32_e64 v20, v20, v11, s5
	v_cmp_eq_u32_e64 s5, 5, v139
	v_cmp_eq_u32_e64 s6, 6, v138
	v_cndmask_b32_e32 v20, v20, v3, vcc_lo
	s_delay_alu instid0(VALU_DEP_3) | instskip(SKIP_1) | instid1(VALU_DEP_4)
	v_cndmask_b32_e64 v21, v21, v16, s5
	v_cmp_eq_u32_e32 vcc_lo, 6, v139
	v_cndmask_b32_e64 v18, v18, v4, s6
	v_cndmask_b32_e64 v19, v19, v8, s6
	;; [unrolled: 1-line block ×3, first 2 shown]
	v_cmp_eq_u32_e64 s5, 1, v142
	v_cmp_eq_u32_e64 s6, 7, v138
	s_delay_alu instid0(VALU_DEP_3) | instskip(NEXT) | instid1(VALU_DEP_3)
	v_cndmask_b32_e32 v20, v20, v4, vcc_lo
	v_cndmask_b32_e64 v1, v1, v10, s5
	v_cndmask_b32_e64 v5, v5, v14, s5
	v_cmp_eq_u32_e64 s5, 3, v137
	v_cndmask_b32_e64 v14, v23, v6, s8
	v_cmp_eq_u32_e64 s8, 3, v142
	v_cndmask_b32_e64 v1, v1, v2, s4
	v_cndmask_b32_e64 v2, v5, v6, s4
	;; [unrolled: 1-line block ×3, first 2 shown]
	v_cmp_eq_u32_e64 s4, 4, v137
	v_cndmask_b32_e64 v6, v14, v15, s5
	v_cndmask_b32_e64 v1, v1, v11, s8
	v_cmp_eq_u32_e64 s5, 4, v142
	v_cndmask_b32_e64 v2, v2, v15, s8
	v_cndmask_b32_e64 v5, v10, v3, s4
	;; [unrolled: 3-line block ×3, first 2 shown]
	v_cndmask_b32_e64 v2, v2, v7, s5
	v_cmp_eq_u32_e64 s4, 5, v142
	v_cndmask_b32_e64 v5, v5, v12, s8
	v_cmp_eq_u32_e64 s5, 6, v137
	;; [unrolled: 2-line block ×3, first 2 shown]
	v_cndmask_b32_e64 v1, v1, v12, s4
	v_cndmask_b32_e64 v2, v2, v16, s4
	;; [unrolled: 1-line block ×4, first 2 shown]
	v_cmp_eq_u32_e64 s4, 7, v142
	v_cndmask_b32_e64 v1, v1, v4, s8
	v_cndmask_b32_e64 v2, v2, v8, s8
	v_cmp_eq_u32_e64 s5, 7, v137
	v_cndmask_b32_e32 v4, v21, v8, vcc_lo
	v_cndmask_b32_e64 v18, v18, v13, s6
	v_cndmask_b32_e64 v20, v20, v13, s7
	;; [unrolled: 1-line block ×8, first 2 shown]
	v_cmp_gt_u32_e32 vcc_lo, 32, v0
	v_perm_b32 v4, v2, v1, 0x5040100
	v_perm_b32 v3, v3, v5, 0x5040100
	;; [unrolled: 1-line block ×4, first 2 shown]
	s_and_b32 s2, vcc_lo, s2
	ds_store_b128 v9, v[1:4]
	s_waitcnt lgkmcnt(0)
	s_barrier
	buffer_gl0_inv
	s_and_saveexec_b32 s4, s2
	s_cbranch_execz .LBB456_2
; %bb.111:
	s_load_b64 s[4:5], s[0:1], 0x68
	v_add_nc_u32_e32 v20, s31, v146
	v_lshlrev_b32_e32 v0, 10, v0
	v_lshlrev_b32_e32 v1, 4, v147
	s_lshl_b32 s0, s36, 6
	s_delay_alu instid0(SALU_CYCLE_1)
	s_mul_i32 s1, s0, s34
	v_add_nc_u32_e32 v2, 2, v20
	s_mul_i32 s6, s1, s9
	v_and_or_b32 v0, 0x3800, v0, v1
	v_mul_lo_u32 v1, v20, s0
	s_ashr_i32 s7, s6, 31
	v_mul_lo_u32 v11, v2, s0
	s_lshl_b64 s[6:7], s[6:7], 1
	v_add_nc_u32_e32 v3, 4, v20
	v_lshl_or_b32 v21, v146, 6, v0
	v_add_nc_u32_e32 v16, 6, v20
	v_ashrrev_i32_e32 v2, 31, v1
	s_delay_alu instid0(VALU_DEP_4)
	v_mul_lo_u32 v13, v3, s0
	s_waitcnt lgkmcnt(0)
	s_add_u32 s1, s4, s6
	s_addc_u32 s2, s5, s7
	s_lshl_b32 s4, s14, 6
	ds_load_b128 v[3:6], v21
	ds_load_b128 v[7:10], v21 offset:128
	s_ashr_i32 s5, s4, 31
	v_ashrrev_i32_e32 v12, 31, v11
	s_lshl_b64 s[4:5], s[4:5], 1
	v_lshlrev_b64 v[14:15], 1, v[1:2]
	s_add_u32 s1, s1, s4
	s_addc_u32 s2, s2, s5
	v_add_co_u32 v1, s1, s1, v145
	s_delay_alu instid0(VALU_DEP_1) | instskip(SKIP_1) | instid1(VALU_DEP_3)
	v_add_co_ci_u32_e64 v2, null, s2, 0, s1
	v_lshlrev_b64 v[11:12], 1, v[11:12]
	v_add_co_u32 v18, vcc_lo, v1, v14
	v_mul_lo_u32 v16, v16, s0
	s_delay_alu instid0(VALU_DEP_4) | instskip(NEXT) | instid1(VALU_DEP_4)
	v_add_co_ci_u32_e32 v19, vcc_lo, v2, v15, vcc_lo
	v_add_co_u32 v11, vcc_lo, v1, v11
	v_ashrrev_i32_e32 v14, 31, v13
	v_add_co_ci_u32_e32 v12, vcc_lo, v2, v12, vcc_lo
	v_add_nc_u32_e32 v15, 8, v20
	v_ashrrev_i32_e32 v17, 31, v16
	s_waitcnt lgkmcnt(1)
	global_store_b128 v[18:19], v[3:6], off
	v_lshlrev_b64 v[3:4], 1, v[13:14]
	s_waitcnt lgkmcnt(0)
	global_store_b128 v[11:12], v[7:10], off
	v_mul_lo_u32 v11, v15, s0
	v_add_nc_u32_e32 v7, 10, v20
	v_lshlrev_b64 v[5:6], 1, v[16:17]
	v_add_co_u32 v23, vcc_lo, v1, v3
	v_add_nc_u32_e32 v3, 12, v20
	s_delay_alu instid0(VALU_DEP_4)
	v_mul_lo_u32 v25, v7, s0
	v_ashrrev_i32_e32 v12, 31, v11
	v_add_co_ci_u32_e32 v24, vcc_lo, v2, v4, vcc_lo
	v_add_co_u32 v27, vcc_lo, v1, v5
	v_mul_lo_u32 v29, v3, s0
	v_add_co_ci_u32_e32 v28, vcc_lo, v2, v6, vcc_lo
	ds_load_b128 v[3:6], v21 offset:256
	ds_load_b128 v[7:10], v21 offset:384
	v_lshlrev_b64 v[31:32], 1, v[11:12]
	ds_load_b128 v[11:14], v21 offset:512
	ds_load_b128 v[15:18], v21 offset:640
	ds_load_b128 v[19:22], v21 offset:768
	v_ashrrev_i32_e32 v26, 31, v25
	v_ashrrev_i32_e32 v30, 31, v29
	v_add_co_u32 v31, vcc_lo, v1, v31
	s_delay_alu instid0(VALU_DEP_3) | instskip(NEXT) | instid1(VALU_DEP_3)
	v_lshlrev_b64 v[25:26], 1, v[25:26]
	v_lshlrev_b64 v[29:30], 1, v[29:30]
	v_add_co_ci_u32_e32 v32, vcc_lo, v2, v32, vcc_lo
	s_delay_alu instid0(VALU_DEP_3) | instskip(NEXT) | instid1(VALU_DEP_4)
	v_add_co_u32 v25, vcc_lo, v1, v25
	v_add_co_ci_u32_e32 v26, vcc_lo, v2, v26, vcc_lo
	s_delay_alu instid0(VALU_DEP_4)
	v_add_co_u32 v29, vcc_lo, v1, v29
	v_add_co_ci_u32_e32 v30, vcc_lo, v2, v30, vcc_lo
	s_waitcnt lgkmcnt(4)
	global_store_b128 v[23:24], v[3:6], off
	s_waitcnt lgkmcnt(3)
	global_store_b128 v[27:28], v[7:10], off
	;; [unrolled: 2-line block ×5, first 2 shown]
	s_and_b32 exec_lo, exec_lo, s3
	s_cbranch_execz .LBB456_2
; %bb.112:
	ds_load_b128 v[3:6], v0 offset:896
	s_add_i32 s1, s31, 14
	s_delay_alu instid0(SALU_CYCLE_1) | instskip(NEXT) | instid1(SALU_CYCLE_1)
	s_mul_i32 s0, s1, s0
	s_ashr_i32 s1, s0, 31
	s_delay_alu instid0(SALU_CYCLE_1) | instskip(NEXT) | instid1(SALU_CYCLE_1)
	s_lshl_b64 s[0:1], s[0:1], 1
	v_add_co_u32 v0, vcc_lo, v1, s0
	v_add_co_ci_u32_e32 v1, vcc_lo, s1, v2, vcc_lo
	s_waitcnt lgkmcnt(0)
	global_store_b128 v[0:1], v[3:6], off
	s_nop 0
	s_sendmsg sendmsg(MSG_DEALLOC_VGPRS)
	s_endpgm
	.section	.rodata,"a",@progbits
	.p2align	6, 0x0
	.amdhsa_kernel _Z39paged_attention_ll4mi_QKV_mfma16_kernelI14__hip_bfloat16S0_LN4vllm18Fp8KVCacheDataTypeE0ES0_Li16ELi64ELi256ELb1ELi15EL8MFMAType0EEvPKT_PKT0_S9_ifPKiSB_SB_iPKfiiiPfSE_PS4_PT2_iSD_SD_
		.amdhsa_group_segment_fixed_size 17472
		.amdhsa_private_segment_fixed_size 0
		.amdhsa_kernarg_size 400
		.amdhsa_user_sgpr_count 13
		.amdhsa_user_sgpr_dispatch_ptr 0
		.amdhsa_user_sgpr_queue_ptr 0
		.amdhsa_user_sgpr_kernarg_segment_ptr 1
		.amdhsa_user_sgpr_dispatch_id 0
		.amdhsa_user_sgpr_private_segment_size 0
		.amdhsa_wavefront_size32 1
		.amdhsa_uses_dynamic_stack 0
		.amdhsa_enable_private_segment 0
		.amdhsa_system_sgpr_workgroup_id_x 1
		.amdhsa_system_sgpr_workgroup_id_y 1
		.amdhsa_system_sgpr_workgroup_id_z 1
		.amdhsa_system_sgpr_workgroup_info 0
		.amdhsa_system_vgpr_workitem_id 0
		.amdhsa_next_free_vgpr 198
		.amdhsa_next_free_sgpr 52
		.amdhsa_reserve_vcc 1
		.amdhsa_float_round_mode_32 0
		.amdhsa_float_round_mode_16_64 0
		.amdhsa_float_denorm_mode_32 3
		.amdhsa_float_denorm_mode_16_64 3
		.amdhsa_dx10_clamp 1
		.amdhsa_ieee_mode 1
		.amdhsa_fp16_overflow 0
		.amdhsa_workgroup_processor_mode 1
		.amdhsa_memory_ordered 1
		.amdhsa_forward_progress 0
		.amdhsa_shared_vgpr_count 0
		.amdhsa_exception_fp_ieee_invalid_op 0
		.amdhsa_exception_fp_denorm_src 0
		.amdhsa_exception_fp_ieee_div_zero 0
		.amdhsa_exception_fp_ieee_overflow 0
		.amdhsa_exception_fp_ieee_underflow 0
		.amdhsa_exception_fp_ieee_inexact 0
		.amdhsa_exception_int_div_zero 0
	.end_amdhsa_kernel
	.section	.text._Z39paged_attention_ll4mi_QKV_mfma16_kernelI14__hip_bfloat16S0_LN4vllm18Fp8KVCacheDataTypeE0ES0_Li16ELi64ELi256ELb1ELi15EL8MFMAType0EEvPKT_PKT0_S9_ifPKiSB_SB_iPKfiiiPfSE_PS4_PT2_iSD_SD_,"axG",@progbits,_Z39paged_attention_ll4mi_QKV_mfma16_kernelI14__hip_bfloat16S0_LN4vllm18Fp8KVCacheDataTypeE0ES0_Li16ELi64ELi256ELb1ELi15EL8MFMAType0EEvPKT_PKT0_S9_ifPKiSB_SB_iPKfiiiPfSE_PS4_PT2_iSD_SD_,comdat
.Lfunc_end456:
	.size	_Z39paged_attention_ll4mi_QKV_mfma16_kernelI14__hip_bfloat16S0_LN4vllm18Fp8KVCacheDataTypeE0ES0_Li16ELi64ELi256ELb1ELi15EL8MFMAType0EEvPKT_PKT0_S9_ifPKiSB_SB_iPKfiiiPfSE_PS4_PT2_iSD_SD_, .Lfunc_end456-_Z39paged_attention_ll4mi_QKV_mfma16_kernelI14__hip_bfloat16S0_LN4vllm18Fp8KVCacheDataTypeE0ES0_Li16ELi64ELi256ELb1ELi15EL8MFMAType0EEvPKT_PKT0_S9_ifPKiSB_SB_iPKfiiiPfSE_PS4_PT2_iSD_SD_
                                        ; -- End function
	.section	.AMDGPU.csdata,"",@progbits
; Kernel info:
; codeLenInByte = 10288
; NumSgprs: 54
; NumVgprs: 198
; ScratchSize: 0
; MemoryBound: 0
; FloatMode: 240
; IeeeMode: 1
; LDSByteSize: 17472 bytes/workgroup (compile time only)
; SGPRBlocks: 6
; VGPRBlocks: 24
; NumSGPRsForWavesPerEU: 54
; NumVGPRsForWavesPerEU: 198
; Occupancy: 7
; WaveLimiterHint : 1
; COMPUTE_PGM_RSRC2:SCRATCH_EN: 0
; COMPUTE_PGM_RSRC2:USER_SGPR: 13
; COMPUTE_PGM_RSRC2:TRAP_HANDLER: 0
; COMPUTE_PGM_RSRC2:TGID_X_EN: 1
; COMPUTE_PGM_RSRC2:TGID_Y_EN: 1
; COMPUTE_PGM_RSRC2:TGID_Z_EN: 1
; COMPUTE_PGM_RSRC2:TIDIG_COMP_CNT: 0
	.section	.text._Z39paged_attention_ll4mi_QKV_mfma16_kernelI14__hip_bfloat16S0_LN4vllm18Fp8KVCacheDataTypeE0ES0_Li16ELi64ELi256ELb1ELi16EL8MFMAType0EEvPKT_PKT0_S9_ifPKiSB_SB_iPKfiiiPfSE_PS4_PT2_iSD_SD_,"axG",@progbits,_Z39paged_attention_ll4mi_QKV_mfma16_kernelI14__hip_bfloat16S0_LN4vllm18Fp8KVCacheDataTypeE0ES0_Li16ELi64ELi256ELb1ELi16EL8MFMAType0EEvPKT_PKT0_S9_ifPKiSB_SB_iPKfiiiPfSE_PS4_PT2_iSD_SD_,comdat
	.protected	_Z39paged_attention_ll4mi_QKV_mfma16_kernelI14__hip_bfloat16S0_LN4vllm18Fp8KVCacheDataTypeE0ES0_Li16ELi64ELi256ELb1ELi16EL8MFMAType0EEvPKT_PKT0_S9_ifPKiSB_SB_iPKfiiiPfSE_PS4_PT2_iSD_SD_ ; -- Begin function _Z39paged_attention_ll4mi_QKV_mfma16_kernelI14__hip_bfloat16S0_LN4vllm18Fp8KVCacheDataTypeE0ES0_Li16ELi64ELi256ELb1ELi16EL8MFMAType0EEvPKT_PKT0_S9_ifPKiSB_SB_iPKfiiiPfSE_PS4_PT2_iSD_SD_
	.globl	_Z39paged_attention_ll4mi_QKV_mfma16_kernelI14__hip_bfloat16S0_LN4vllm18Fp8KVCacheDataTypeE0ES0_Li16ELi64ELi256ELb1ELi16EL8MFMAType0EEvPKT_PKT0_S9_ifPKiSB_SB_iPKfiiiPfSE_PS4_PT2_iSD_SD_
	.p2align	8
	.type	_Z39paged_attention_ll4mi_QKV_mfma16_kernelI14__hip_bfloat16S0_LN4vllm18Fp8KVCacheDataTypeE0ES0_Li16ELi64ELi256ELb1ELi16EL8MFMAType0EEvPKT_PKT0_S9_ifPKiSB_SB_iPKfiiiPfSE_PS4_PT2_iSD_SD_,@function
_Z39paged_attention_ll4mi_QKV_mfma16_kernelI14__hip_bfloat16S0_LN4vllm18Fp8KVCacheDataTypeE0ES0_Li16ELi64ELi256ELb1ELi16EL8MFMAType0EEvPKT_PKT0_S9_ifPKiSB_SB_iPKfiiiPfSE_PS4_PT2_iSD_SD_: ; @_Z39paged_attention_ll4mi_QKV_mfma16_kernelI14__hip_bfloat16S0_LN4vllm18Fp8KVCacheDataTypeE0ES0_Li16ELi64ELi256ELb1ELi16EL8MFMAType0EEvPKT_PKT0_S9_ifPKiSB_SB_iPKfiiiPfSE_PS4_PT2_iSD_SD_
; %bb.0:
	s_load_b64 s[2:3], s[0:1], 0x30
	s_mov_b32 s30, s13
	s_waitcnt lgkmcnt(0)
	s_cmp_lg_u64 s[2:3], 0
	s_cselect_b32 s6, -1, 0
	s_ashr_i32 s31, s13, 31
	s_cmp_eq_u64 s[2:3], 0
	s_cbranch_scc1 .LBB457_3
; %bb.1:
	s_lshl_b64 s[4:5], s[30:31], 2
	s_delay_alu instid0(SALU_CYCLE_1) | instskip(SKIP_4) | instid1(SALU_CYCLE_1)
	s_add_u32 s4, s2, s4
	s_addc_u32 s5, s3, s5
	s_load_b64 s[4:5], s[4:5], 0x0
	s_waitcnt lgkmcnt(0)
	s_sub_i32 s4, s5, s4
	s_cmp_eq_u32 s4, 1
	s_cselect_b32 s4, -1, 0
	s_delay_alu instid0(SALU_CYCLE_1)
	s_and_not1_b32 vcc_lo, exec_lo, s4
	s_cbranch_vccz .LBB457_4
.LBB457_2:
	s_endpgm
.LBB457_3:
.LBB457_4:
	s_load_b64 s[8:9], s[0:1], 0x28
	s_lshl_b64 s[4:5], s[30:31], 2
	s_waitcnt lgkmcnt(0)
	s_add_u32 s8, s8, s4
	s_addc_u32 s9, s9, s5
	s_lshl_b32 s34, s14, 8
	s_load_b32 s33, s[8:9], 0x0
	s_waitcnt lgkmcnt(0)
	s_cmp_ge_i32 s34, s33
	s_cbranch_scc1 .LBB457_2
; %bb.5:
	s_clause 0x1
	s_load_b128 s[8:11], s[0:1], 0x8
	s_load_b64 s[12:13], s[0:1], 0x20
	s_and_not1_b32 vcc_lo, exec_lo, s6
	s_cbranch_vccnz .LBB457_7
; %bb.6:
	s_add_u32 s2, s2, s4
	s_addc_u32 s3, s3, s5
	s_load_b32 s3, s[2:3], 0x0
	s_branch .LBB457_8
.LBB457_7:
	s_mov_b32 s3, s30
.LBB457_8:
	s_load_b128 s[4:7], s[0:1], 0x48
	v_and_b32_e32 v150, 15, v0
	v_cmp_gt_u32_e32 vcc_lo, 0x100, v0
	v_lshrrev_b32_e32 v148, 5, v0
	v_and_b32_e32 v151, 31, v0
	v_and_b32_e32 v147, 1, v0
	v_lshlrev_b32_e32 v1, 3, v150
	v_cmp_gt_u32_e64 s2, 8, v150
	v_bfe_u32 v146, v0, 4, 1
	s_lshl_b32 s31, s15, 4
	s_delay_alu instid0(VALU_DEP_3) | instskip(NEXT) | instid1(VALU_DEP_3)
	v_lshlrev_b32_e32 v145, 1, v1
	s_and_b32 s16, vcc_lo, s2
	s_waitcnt lgkmcnt(0)
	s_and_saveexec_b32 s7, s16
	s_cbranch_execz .LBB457_10
; %bb.9:
	v_lshl_or_b32 v5, v148, 1, v146
	s_load_b64 s[16:17], s[0:1], 0x0
	s_mul_hi_i32 s19, s3, s4
	s_mul_i32 s18, s3, s4
	v_lshlrev_b32_e32 v6, 10, v150
	v_or_b32_e32 v1, s31, v5
	s_lshl_b64 s[18:19], s[18:19], 1
	v_lshlrev_b32_e32 v5, 6, v5
	v_lshlrev_b32_e32 v7, 10, v147
	v_and_b32_e32 v6, 0x3800, v6
	v_lshlrev_b32_e32 v1, 6, v1
	s_delay_alu instid0(VALU_DEP_2) | instskip(NEXT) | instid1(VALU_DEP_2)
	v_or3_b32 v5, v6, v7, v5
	v_ashrrev_i32_e32 v2, 31, v1
	s_delay_alu instid0(VALU_DEP_1) | instskip(SKIP_3) | instid1(VALU_DEP_1)
	v_lshlrev_b64 v[1:2], 1, v[1:2]
	s_waitcnt lgkmcnt(0)
	s_add_u32 s3, s16, s18
	s_addc_u32 s4, s17, s19
	v_add_co_u32 v1, vcc_lo, s3, v1
	s_delay_alu instid0(VALU_DEP_2) | instskip(NEXT) | instid1(VALU_DEP_2)
	v_add_co_ci_u32_e32 v2, vcc_lo, s4, v2, vcc_lo
	v_add_co_u32 v1, vcc_lo, v1, v145
	s_delay_alu instid0(VALU_DEP_2)
	v_add_co_ci_u32_e32 v2, vcc_lo, 0, v2, vcc_lo
	global_load_b128 v[1:4], v[1:2], off
	s_waitcnt vmcnt(0)
	ds_store_b128 v5, v[1:4]
.LBB457_10:
	s_or_b32 exec_lo, exec_lo, s7
	s_mov_b32 s40, 0
	s_add_i32 s3, s33, 15
	s_mov_b32 s41, s40
	s_mov_b32 s42, s40
	;; [unrolled: 1-line block ×7, first 2 shown]
	s_delay_alu instid0(SALU_CYCLE_1)
	v_dual_mov_b32 v136, s47 :: v_dual_and_b32 v1, 0xef, v0
	v_mov_b32_e32 v134, s45
	s_clause 0x1
	s_load_b32 s4, s[0:1], 0x38
	s_load_b32 s35, s[0:1], 0x1c
	v_add_nc_u32_e32 v1, s34, v1
	s_ashr_i32 s7, s3, 31
	s_waitcnt lgkmcnt(0)
	s_lshr_b32 s7, s7, 28
	s_barrier
	v_ashrrev_i32_e32 v2, 31, v1
	s_add_i32 s3, s3, s7
	v_cmp_gt_i32_e32 vcc_lo, s33, v1
	v_mov_b32_e32 v135, s46
	s_ashr_i32 s3, s3, 4
	v_lshrrev_b32_e32 v3, 28, v2
	v_or_b32_e32 v2, 16, v1
	s_add_i32 s3, s3, -1
	v_mov_b32_e32 v132, s43
	buffer_gl0_inv
	v_add_nc_u32_e32 v4, v1, v3
	v_add_nc_u32_e32 v3, v2, v3
	s_mul_i32 s6, s15, s6
	s_mul_i32 s16, s30, s4
	v_lshlrev_b32_e32 v149, 6, v150
	v_ashrrev_i32_e32 v4, 4, v4
	v_ashrrev_i32_e32 v3, 4, v3
	s_ashr_i32 s17, s16, 31
	v_mov_b32_e32 v133, s44
	s_lshl_b64 s[16:17], s[16:17], 2
	v_cndmask_b32_e32 v1, s3, v4, vcc_lo
	v_cmp_gt_i32_e32 vcc_lo, s33, v2
	s_add_u32 s4, s12, s16
	s_addc_u32 s36, s13, s17
	s_ashr_i32 s7, s6, 31
	v_ashrrev_i32_e32 v2, 31, v1
	v_cndmask_b32_e32 v3, s3, v3, vcc_lo
	s_lshl_b64 s[6:7], s[6:7], 1
	v_mov_b32_e32 v131, s42
	s_add_u32 s24, s8, s6
	v_lshlrev_b64 v[1:2], 2, v[1:2]
	v_ashrrev_i32_e32 v4, 31, v3
	s_addc_u32 s25, s9, s7
	s_lshl_b32 s8, s14, 4
	v_mov_b32_e32 v129, s40
	s_ashr_i32 s9, s8, 31
	v_lshlrev_b64 v[3:4], 2, v[3:4]
	v_add_co_u32 v1, vcc_lo, s4, v1
	v_add_co_ci_u32_e32 v2, vcc_lo, s36, v2, vcc_lo
	s_lshl_b64 s[8:9], s[8:9], 2
	s_delay_alu instid0(VALU_DEP_3) | instskip(NEXT) | instid1(VALU_DEP_4)
	v_add_co_u32 v3, vcc_lo, s4, v3
	v_add_co_ci_u32_e32 v4, vcc_lo, s36, v4, vcc_lo
	s_clause 0x1
	global_load_b32 v5, v[1:2], off
	global_load_b32 v6, v[3:4], off
	s_add_u32 s8, s4, s8
	s_addc_u32 s9, s36, s9
	s_or_b32 s12, s34, 16
	v_dual_mov_b32 v130, s41 :: v_dual_lshlrev_b32 v3, 4, v0
	s_ashr_i32 s13, s12, 4
	s_cmp_lt_i32 s12, s33
	v_lshlrev_b32_e32 v21, 5, v150
	s_cselect_b32 s12, s13, s3
	s_delay_alu instid0(SALU_CYCLE_1) | instskip(NEXT) | instid1(SALU_CYCLE_1)
	s_ashr_i32 s13, s12, 31
	s_lshl_b64 s[12:13], s[12:13], 2
	s_delay_alu instid0(VALU_DEP_1) | instskip(SKIP_3) | instid1(SALU_CYCLE_1)
	v_lshl_or_b32 v21, v148, 9, v21
	s_add_u32 s12, s4, s12
	s_addc_u32 s13, s36, s13
	s_or_b32 s15, s34, 32
	s_ashr_i32 s16, s15, 4
	s_cmp_lt_i32 s15, s33
	s_cselect_b32 s16, s16, s3
	s_delay_alu instid0(SALU_CYCLE_1) | instskip(NEXT) | instid1(SALU_CYCLE_1)
	s_ashr_i32 s17, s16, 31
	s_lshl_b64 s[16:17], s[16:17], 2
	s_delay_alu instid0(SALU_CYCLE_1) | instskip(SKIP_2) | instid1(SALU_CYCLE_1)
	s_add_u32 s16, s4, s16
	s_addc_u32 s17, s36, s17
	s_or_b32 s15, s34, 48
	s_ashr_i32 s18, s15, 4
	s_cmp_lt_i32 s15, s33
	s_cselect_b32 s18, s18, s3
	s_delay_alu instid0(SALU_CYCLE_1) | instskip(NEXT) | instid1(SALU_CYCLE_1)
	s_ashr_i32 s19, s18, 31
	s_lshl_b64 s[18:19], s[18:19], 2
	s_delay_alu instid0(SALU_CYCLE_1) | instskip(SKIP_2) | instid1(SALU_CYCLE_1)
	s_add_u32 s18, s4, s18
	s_addc_u32 s19, s36, s19
	s_or_b32 s15, s34, 64
	s_ashr_i32 s20, s15, 4
	s_cmp_lt_i32 s15, s33
	s_cselect_b32 s20, s20, s3
	s_delay_alu instid0(SALU_CYCLE_1) | instskip(NEXT) | instid1(SALU_CYCLE_1)
	s_ashr_i32 s21, s20, 31
	s_lshl_b64 s[20:21], s[20:21], 2
	s_delay_alu instid0(SALU_CYCLE_1) | instskip(SKIP_2) | instid1(SALU_CYCLE_1)
	s_add_u32 s20, s4, s20
	s_addc_u32 s21, s36, s21
	s_or_b32 s15, s34, 0x50
	s_ashr_i32 s22, s15, 4
	s_cmp_lt_i32 s15, s33
	s_cselect_b32 s22, s22, s3
	s_delay_alu instid0(SALU_CYCLE_1) | instskip(NEXT) | instid1(SALU_CYCLE_1)
	s_ashr_i32 s23, s22, 31
	s_lshl_b64 s[22:23], s[22:23], 2
	s_delay_alu instid0(SALU_CYCLE_1)
	s_add_u32 s22, s4, s22
	s_addc_u32 s23, s36, s23
	s_clause 0x5
	s_load_b32 s37, s[8:9], 0x0
	s_load_b32 s12, s[12:13], 0x0
	;; [unrolled: 1-line block ×6, first 2 shown]
	s_waitcnt lgkmcnt(0)
	s_mul_hi_i32 s17, s16, s5
	s_mul_i32 s16, s16, s5
	s_waitcnt vmcnt(1)
	v_mad_i64_i32 v[1:2], null, v5, s5, 0
	v_and_b32_e32 v5, 0xf0, v3
	s_waitcnt vmcnt(0)
	v_mad_i64_i32 v[3:4], null, v6, s5, 0
	s_delay_alu instid0(VALU_DEP_2) | instskip(NEXT) | instid1(VALU_DEP_4)
	v_add_co_u32 v5, s8, s24, v5
	v_lshlrev_b64 v[1:2], 1, v[1:2]
	v_add_co_ci_u32_e64 v6, null, s25, 0, s8
	s_delay_alu instid0(VALU_DEP_4) | instskip(SKIP_1) | instid1(VALU_DEP_3)
	v_lshlrev_b64 v[3:4], 1, v[3:4]
	s_or_b32 s8, s34, 0x60
	v_add_co_u32 v17, vcc_lo, v5, v1
	s_delay_alu instid0(VALU_DEP_3) | instskip(NEXT) | instid1(VALU_DEP_3)
	v_add_co_ci_u32_e32 v18, vcc_lo, v6, v2, vcc_lo
	v_add_co_u32 v19, vcc_lo, v5, v3
	s_delay_alu instid0(VALU_DEP_4)
	v_add_co_ci_u32_e32 v20, vcc_lo, v6, v4, vcc_lo
	s_clause 0x9
	global_load_b128 v[1:4], v[17:18], off
	global_load_b128 v[5:8], v[17:18], off offset:256
	global_load_b128 v[137:140], v[19:20], off
	global_load_b128 v[141:144], v[19:20], off offset:256
	global_load_b128 v[33:36], v[17:18], off offset:512
	;; [unrolled: 1-line block ×7, first 2 shown]
	ds_load_b128 v[152:155], v149
	ds_load_b128 v[156:159], v149 offset:1024
	s_clause 0x5
	global_load_b128 v[160:163], v[19:20], off offset:1024
	global_load_b128 v[164:167], v[19:20], off offset:1280
	;; [unrolled: 1-line block ×6, first 2 shown]
	s_ashr_i32 s9, s8, 4
	s_cmp_lt_i32 s8, s33
	s_cselect_b32 s8, s9, s3
	s_delay_alu instid0(SALU_CYCLE_1) | instskip(NEXT) | instid1(SALU_CYCLE_1)
	s_ashr_i32 s9, s8, 31
	s_lshl_b64 s[8:9], s[8:9], 2
	s_delay_alu instid0(SALU_CYCLE_1) | instskip(SKIP_2) | instid1(SALU_CYCLE_1)
	s_add_u32 s22, s4, s8
	s_addc_u32 s23, s36, s9
	s_or_b32 s8, s34, 0x70
	s_ashr_i32 s9, s8, 4
	s_cmp_lt_i32 s8, s33
	s_cselect_b32 s8, s9, s3
	s_delay_alu instid0(SALU_CYCLE_1) | instskip(NEXT) | instid1(SALU_CYCLE_1)
	s_ashr_i32 s9, s8, 31
	s_lshl_b64 s[8:9], s[8:9], 2
	s_delay_alu instid0(SALU_CYCLE_1)
	s_add_u32 s24, s4, s8
	s_addc_u32 s25, s36, s9
	s_or_b32 s8, s34, 0x80
	s_load_b32 s46, s[24:25], 0x0
	s_ashr_i32 s9, s8, 4
	s_cmp_lt_i32 s8, s33
	s_cselect_b32 s8, s9, s3
	s_delay_alu instid0(SALU_CYCLE_1) | instskip(NEXT) | instid1(SALU_CYCLE_1)
	s_ashr_i32 s9, s8, 31
	s_lshl_b64 s[8:9], s[8:9], 2
	s_delay_alu instid0(SALU_CYCLE_1)
	s_add_u32 s26, s4, s8
	s_addc_u32 s27, s36, s9
	s_or_b32 s8, s34, 0x90
	s_load_b32 s47, s[26:27], 0x0
	s_ashr_i32 s9, s8, 4
	s_cmp_lt_i32 s8, s33
	s_cselect_b32 s8, s9, s3
	s_delay_alu instid0(SALU_CYCLE_1) | instskip(NEXT) | instid1(SALU_CYCLE_1)
	s_ashr_i32 s9, s8, 31
	s_lshl_b64 s[8:9], s[8:9], 2
	s_delay_alu instid0(SALU_CYCLE_1) | instskip(SKIP_2) | instid1(SALU_CYCLE_1)
	s_add_u32 s28, s4, s8
	s_addc_u32 s29, s36, s9
	s_or_b32 s8, s34, 0xa0
	s_ashr_i32 s9, s8, 4
	s_cmp_lt_i32 s8, s33
	s_cselect_b32 s8, s9, s3
	s_delay_alu instid0(SALU_CYCLE_1) | instskip(NEXT) | instid1(SALU_CYCLE_1)
	s_ashr_i32 s9, s8, 31
	s_lshl_b64 s[8:9], s[8:9], 2
	s_delay_alu instid0(SALU_CYCLE_1)
	s_add_u32 s38, s4, s8
	s_addc_u32 s39, s36, s9
	s_or_b32 s8, s34, 0xb0
	s_mul_hi_i32 s9, s37, s5
	s_ashr_i32 s13, s8, 4
	s_cmp_lt_i32 s8, s33
	s_mul_i32 s8, s37, s5
	s_cselect_b32 s40, s13, s3
	s_load_b32 s39, s[38:39], 0x0
	s_ashr_i32 s41, s40, 31
	s_mul_hi_i32 s13, s12, s5
	s_lshl_b64 s[40:41], s[40:41], 2
	s_mul_i32 s12, s12, s5
	s_add_u32 s42, s4, s40
	s_addc_u32 s43, s36, s41
	s_or_b32 s19, s34, 0xc0
	s_delay_alu instid0(SALU_CYCLE_1)
	s_ashr_i32 s21, s19, 4
	s_cmp_lt_i32 s19, s33
	s_mul_hi_i32 s19, s18, s5
	s_cselect_b32 s40, s21, s3
	s_mul_i32 s18, s18, s5
	s_ashr_i32 s41, s40, 31
	s_mul_hi_i32 s21, s20, s5
	s_lshl_b64 s[40:41], s[40:41], 2
	s_mul_i32 s20, s20, s5
	s_add_u32 s44, s4, s40
	s_load_b32 s40, s[28:29], 0x0
	s_addc_u32 s45, s36, s41
	s_or_b32 s37, s34, 0xd0
	s_load_b32 s41, s[22:23], 0x0
	s_ashr_i32 s22, s37, 4
	s_cmp_lt_i32 s37, s33
	s_mul_hi_i32 s23, s15, s5
	s_cselect_b32 s24, s22, s3
	s_mul_i32 s22, s15, s5
	s_ashr_i32 s25, s24, 31
	s_waitcnt lgkmcnt(0)
	s_mul_hi_i32 s27, s46, s5
	s_lshl_b64 s[24:25], s[24:25], 2
	s_mul_i32 s26, s46, s5
	s_add_u32 s24, s4, s24
	s_addc_u32 s25, s36, s25
	s_or_b32 s48, s34, 0xe0
	s_clause 0x2
	s_load_b32 s38, s[42:43], 0x0
	s_load_b32 s37, s[44:45], 0x0
	;; [unrolled: 1-line block ×3, first 2 shown]
	s_ashr_i32 s49, s48, 4
	s_cmp_lt_i32 s48, s33
	s_mul_hi_i32 s29, s47, s5
	s_cselect_b32 s42, s49, s3
	s_mul_i32 s28, s47, s5
	s_ashr_i32 s43, s42, 31
	s_mul_hi_i32 s25, s41, s5
	s_lshl_b64 s[42:43], s[42:43], 2
	s_mul_i32 s24, s41, s5
	s_add_u32 s42, s4, s42
	s_addc_u32 s43, s36, s43
	s_or_b32 s46, s34, 0xf0
	s_mul_hi_i32 s41, s40, s5
	s_ashr_i32 s47, s46, 4
	s_cmp_lt_i32 s46, s33
	s_mul_i32 s40, s40, s5
	s_cselect_b32 s46, s47, s3
	s_mul_hi_i32 s45, s39, s5
	s_ashr_i32 s47, s46, 31
	s_mul_i32 s44, s39, s5
	s_lshl_b64 s[46:47], s[46:47], 2
	s_waitcnt lgkmcnt(0)
	s_mul_hi_i32 s39, s38, s5
	s_add_u32 s46, s4, s46
	s_addc_u32 s47, s36, s47
	s_add_u32 s3, s10, s6
	s_addc_u32 s4, s11, s7
	v_add_co_u32 v196, s3, s3, v21
	s_delay_alu instid0(VALU_DEP_1) | instskip(SKIP_2) | instid1(VALU_DEP_2)
	v_add_co_ci_u32_e64 v197, null, s4, 0, s3
	s_lshl_b64 s[6:7], s[8:9], 1
	s_lshl_b64 s[8:9], s[12:13], 1
	v_add_co_u32 v17, vcc_lo, v196, s6
	s_delay_alu instid0(VALU_DEP_2)
	v_add_co_ci_u32_e32 v18, vcc_lo, s7, v197, vcc_lo
	v_add_co_u32 v19, vcc_lo, v196, s8
	s_lshl_b64 s[10:11], s[16:17], 1
	v_add_co_ci_u32_e32 v20, vcc_lo, s9, v197, vcc_lo
	v_add_co_u32 v21, vcc_lo, v196, s10
	s_lshl_b64 s[12:13], s[18:19], 1
	;; [unrolled: 3-line block ×9, first 2 shown]
	s_mul_i32 s38, s38, s5
	v_add_co_ci_u32_e32 v54, vcc_lo, s27, v197, vcc_lo
	v_add_co_u32 v184, vcc_lo, v196, s28
	s_mul_hi_i32 s49, s37, s5
	s_mul_i32 s48, s37, s5
	s_lshl_b64 s[36:37], s[38:39], 1
	v_add_co_ci_u32_e32 v185, vcc_lo, s29, v197, vcc_lo
	v_add_co_u32 v186, vcc_lo, v196, s36
	s_lshl_b64 s[38:39], s[48:49], 1
	s_clause 0x1
	s_load_b32 s3, s[42:43], 0x0
	s_load_b32 s4, s[46:47], 0x0
	v_add_co_ci_u32_e32 v187, vcc_lo, s37, v197, vcc_lo
	v_add_co_u32 v192, vcc_lo, v196, s38
	v_add_co_ci_u32_e32 v193, vcc_lo, s39, v197, vcc_lo
	s_clause 0x17
	global_load_b128 v[121:124], v[17:18], off
	global_load_b128 v[125:128], v[17:18], off offset:16
	global_load_b128 v[113:116], v[19:20], off
	global_load_b128 v[117:120], v[19:20], off offset:16
	global_load_b128 v[105:108], v[21:22], off
	global_load_b128 v[109:112], v[21:22], off offset:16
	global_load_b128 v[97:100], v[23:24], off
	global_load_b128 v[101:104], v[23:24], off offset:16
	global_load_b128 v[89:92], v[41:42], off
	global_load_b128 v[93:96], v[41:42], off offset:16
	global_load_b128 v[81:84], v[43:44], off
	global_load_b128 v[85:88], v[43:44], off offset:16
	global_load_b128 v[73:76], v[45:46], off
	global_load_b128 v[77:80], v[45:46], off offset:16
	global_load_b128 v[57:60], v[47:48], off
	global_load_b128 v[61:64], v[47:48], off offset:16
	global_load_b128 v[65:68], v[49:50], off
	global_load_b128 v[69:72], v[49:50], off offset:16
	global_load_b128 v[49:52], v[53:54], off
	global_load_b128 v[53:56], v[53:54], off offset:16
	global_load_b128 v[41:44], v[184:185], off
	global_load_b128 v[45:48], v[184:185], off offset:16
	global_load_b128 v[17:20], v[186:187], off
	global_load_b128 v[21:24], v[186:187], off offset:16
	s_mul_hi_i32 s51, s15, s5
	s_mul_i32 s50, s15, s5
	s_delay_alu instid0(SALU_CYCLE_1) | instskip(NEXT) | instid1(SALU_CYCLE_1)
	s_lshl_b64 s[40:41], s[50:51], 1
	v_add_co_u32 v194, vcc_lo, v196, s40
	v_add_co_ci_u32_e32 v195, vcc_lo, s41, v197, vcc_lo
	s_waitcnt lgkmcnt(0)
	s_mul_hi_i32 s7, s3, s5
	s_mul_i32 s6, s3, s5
	s_mul_hi_i32 s9, s4, s5
	s_lshl_b64 s[6:7], s[6:7], 1
	s_mul_i32 s8, s4, s5
	s_delay_alu instid0(SALU_CYCLE_1)
	s_lshl_b64 s[4:5], s[8:9], 1
	s_waitcnt vmcnt(38)
	v_wmma_f32_16x16x16_bf16 v[184:191], v[1:8], v[152:159], v[129:136]
	s_waitcnt vmcnt(36)
	v_wmma_f32_16x16x16_bf16 v[129:136], v[137:144], v[152:159], v[129:136]
	s_clause 0x1
	global_load_b128 v[1:4], v[192:193], off
	global_load_b128 v[5:8], v[192:193], off offset:16
	ds_load_b128 v[137:140], v149 offset:2048
	ds_load_b128 v[141:144], v149 offset:3072
	ds_load_b128 v[152:155], v149 offset:4096
	ds_load_b128 v[156:159], v149 offset:5120
	v_add_co_u32 v192, vcc_lo, v196, s6
	v_add_co_ci_u32_e32 v193, vcc_lo, s7, v197, vcc_lo
	v_add_co_u32 v196, vcc_lo, v196, s4
	v_add_co_ci_u32_e32 v197, vcc_lo, s5, v197, vcc_lo
	s_waitcnt vmcnt(36) lgkmcnt(2)
	v_wmma_f32_16x16x16_bf16 v[184:191], v[33:40], v[137:144], v[184:191]
	s_waitcnt vmcnt(34)
	v_wmma_f32_16x16x16_bf16 v[129:136], v[25:32], v[137:144], v[129:136]
	s_clause 0x3
	global_load_b128 v[25:28], v[194:195], off
	global_load_b128 v[29:32], v[194:195], off offset:16
	global_load_b128 v[33:36], v[192:193], off
	global_load_b128 v[37:40], v[192:193], off offset:16
	v_and_b32_e32 v137, 0xe0, v0
	v_mbcnt_lo_u32_b32 v192, -1, 0
	s_waitcnt vmcnt(36) lgkmcnt(0)
	v_wmma_f32_16x16x16_bf16 v[184:191], v[9:16], v[152:159], v[184:191]
	s_clause 0x1
	global_load_b128 v[9:12], v[196:197], off
	global_load_b128 v[13:16], v[196:197], off offset:16
	s_waitcnt vmcnt(36)
	v_wmma_f32_16x16x16_bf16 v[129:136], v[160:167], v[152:159], v[129:136]
	v_add_nc_u32_e32 v193, s34, v137
	ds_load_b128 v[137:140], v149 offset:6144
	ds_load_b128 v[141:144], v149 offset:7168
	v_xor_b32_e32 v152, 16, v192
	s_waitcnt vmcnt(0) lgkmcnt(0)
	s_barrier
	buffer_gl0_inv
	v_cmp_gt_i32_e32 vcc_lo, 32, v152
	v_cndmask_b32_e32 v152, v192, v152, vcc_lo
	v_wmma_f32_16x16x16_bf16 v[129:136], v[176:183], v[137:144], v[129:136]
	v_wmma_f32_16x16x16_bf16 v[184:191], v[168:175], v[137:144], v[184:191]
	s_delay_alu instid0(VALU_DEP_2) | instskip(SKIP_1) | instid1(VALU_DEP_3)
	v_mul_f32_e32 v174, s35, v131
	v_or_b32_e32 v153, v193, v146
	v_dual_mul_f32 v143, s35, v185 :: v_dual_mul_f32 v144, s35, v184
	s_delay_alu instid0(VALU_DEP_4) | instskip(NEXT) | instid1(VALU_DEP_3)
	v_dual_mul_f32 v141, s35, v187 :: v_dual_mul_f32 v142, s35, v186
	v_or_b32_e32 v154, 2, v153
	v_or_b32_e32 v155, 4, v153
	;; [unrolled: 1-line block ×3, first 2 shown]
	v_cmp_gt_i32_e32 vcc_lo, s33, v153
	v_or_b32_e32 v157, 8, v153
	v_cmp_gt_i32_e64 s3, s33, v154
	v_or_b32_e32 v158, 10, v153
	v_cmp_gt_i32_e64 s4, s33, v155
	v_cndmask_b32_e32 v144, 0xff7fffff, v144, vcc_lo
	v_cmp_gt_i32_e64 s5, s33, v156
	v_cndmask_b32_e64 v143, 0xff7fffff, v143, s3
	v_or_b32_e32 v159, 12, v153
	v_or_b32_e32 v160, 14, v153
	v_dual_mul_f32 v139, s35, v189 :: v_dual_mul_f32 v140, s35, v188
	v_cndmask_b32_e64 v142, 0xff7fffff, v142, s4
	v_cndmask_b32_e64 v141, 0xff7fffff, v141, s5
	v_max3_f32 v143, v144, 0xff7fffff, v143
	v_cmp_gt_i32_e64 s6, s33, v157
	v_cmp_gt_i32_e64 s7, s33, v158
	v_or_b32_e32 v161, 16, v153
	v_or_b32_e32 v162, 18, v153
	v_dual_mul_f32 v137, s35, v191 :: v_dual_mul_f32 v176, s35, v129
	v_mul_f32_e32 v138, s35, v190
	v_cndmask_b32_e64 v140, 0xff7fffff, v140, s6
	v_cndmask_b32_e64 v139, 0xff7fffff, v139, s7
	v_max3_f32 v141, v143, v142, v141
	v_cmp_gt_i32_e64 s8, s33, v159
	v_cmp_gt_i32_e64 s9, s33, v160
	v_or_b32_e32 v163, 20, v153
	v_or_b32_e32 v164, 22, v153
	v_mul_f32_e32 v175, s35, v130
	v_cndmask_b32_e64 v138, 0xff7fffff, v138, s8
	v_cndmask_b32_e64 v137, 0xff7fffff, v137, s9
	v_max3_f32 v139, v141, v140, v139
	v_cmp_gt_i32_e64 s10, s33, v161
	v_cmp_gt_i32_e64 s11, s33, v162
	v_or_b32_e32 v165, 24, v153
	v_or_b32_e32 v166, 26, v153
	;; [unrolled: 8-line block ×3, first 2 shown]
	v_dual_mul_f32 v171, s35, v134 :: v_dual_mul_f32 v172, s35, v133
	v_cndmask_b32_e64 v138, 0xff7fffff, v174, s12
	v_cndmask_b32_e64 v139, 0xff7fffff, v173, s13
	v_max3_f32 v137, v137, v140, v141
	v_cmp_gt_i32_e64 s15, s33, v165
	v_cmp_gt_i32_e64 s16, s33, v166
	v_dual_mul_f32 v169, s35, v136 :: v_dual_mul_f32 v170, s35, v135
	s_delay_alu instid0(VALU_DEP_4) | instskip(NEXT) | instid1(VALU_DEP_4)
	v_max3_f32 v137, v137, v138, v139
	v_cndmask_b32_e64 v140, 0xff7fffff, v172, s15
	s_delay_alu instid0(VALU_DEP_4) | instskip(SKIP_3) | instid1(VALU_DEP_4)
	v_cndmask_b32_e64 v141, 0xff7fffff, v171, s16
	v_cmp_gt_i32_e64 s17, s33, v167
	v_cmp_gt_i32_e64 s18, s33, v168
	v_lshlrev_b32_e32 v155, 2, v152
	v_max3_f32 v137, v137, v140, v141
	s_delay_alu instid0(VALU_DEP_4) | instskip(NEXT) | instid1(VALU_DEP_4)
	v_cndmask_b32_e64 v138, 0xff7fffff, v170, s17
	v_cndmask_b32_e64 v139, 0xff7fffff, v169, s18
	s_delay_alu instid0(VALU_DEP_1) | instskip(SKIP_3) | instid1(VALU_DEP_1)
	v_max3_f32 v137, v137, v138, v139
	ds_bpermute_b32 v138, v155, v137
	s_waitcnt lgkmcnt(0)
	v_max_f32_e32 v138, v138, v138
	v_max_f32_e32 v139, v137, v138
	s_delay_alu instid0(VALU_DEP_1) | instskip(SKIP_4) | instid1(VALU_DEP_4)
	v_fma_f32 v140, s35, v186, -v139
	v_fma_f32 v141, s35, v187, -v139
	;; [unrolled: 1-line block ×5, first 2 shown]
	v_dual_mul_f32 v140, 0x3fb8aa3b, v140 :: v_dual_mul_f32 v143, 0x3fb8aa3b, v141
	s_delay_alu instid0(VALU_DEP_4) | instskip(NEXT) | instid1(VALU_DEP_4)
	v_mul_f32_e32 v132, 0x3fb8aa3b, v132
	v_mul_f32_e32 v142, 0x3fb8aa3b, v142
	v_fma_f32 v138, s35, v185, -v139
	s_delay_alu instid0(VALU_DEP_4)
	v_exp_f32_e32 v144, v140
	v_exp_f32_e32 v143, v143
	v_fma_f32 v152, s35, v190, -v139
	v_exp_f32_e32 v153, v142
	v_mul_f32_e32 v138, 0x3fb8aa3b, v138
	v_fma_f32 v154, s35, v191, -v139
	v_fma_f32 v129, s35, v129, -v139
	v_mul_f32_e32 v152, 0x3fb8aa3b, v152
	v_fma_f32 v130, s35, v130, -v139
	v_exp_f32_e32 v138, v138
	v_cndmask_b32_e64 v142, 0, v144, s4
	v_cndmask_b32_e64 v144, 0, v143, s5
	v_mul_f32_e32 v137, 0x3fb8aa3b, v137
	v_mul_f32_e32 v143, 0x3fb8aa3b, v154
	v_exp_f32_e32 v154, v152
	v_cndmask_b32_e64 v152, 0, v153, s6
	v_mul_f32_e32 v129, 0x3fb8aa3b, v129
	v_exp_f32_e32 v137, v137
	v_exp_f32_e32 v156, v143
	v_cndmask_b32_e64 v140, 0, v138, s3
	v_fma_f32 v131, s35, v131, -v139
	v_mul_f32_e32 v130, 0x3fb8aa3b, v130
	v_exp_f32_e32 v129, v129
	v_fma_f32 v133, s35, v133, -v139
	v_cndmask_b32_e64 v143, 0, v154, s8
	v_mul_f32_e32 v131, 0x3fb8aa3b, v131
	v_exp_f32_e32 v130, v130
	v_cndmask_b32_e32 v141, 0, v137, vcc_lo
	v_fma_f32 v137, s35, v189, -v139
	v_cndmask_b32_e64 v154, 0, v156, s9
	v_fma_f32 v134, s35, v134, -v139
	v_mul_f32_e32 v133, 0x3fb8aa3b, v133
	v_add_f32_e32 v138, 0, v141
	v_mul_f32_e32 v137, 0x3fb8aa3b, v137
	v_fma_f32 v136, s35, v136, -v139
	v_mul_f32_e32 v134, 0x3fb8aa3b, v134
	s_mov_b32 s3, exec_lo
	v_add_f32_e32 v138, v138, v140
	v_exp_f32_e32 v137, v137
	s_delay_alu instid0(VALU_DEP_1) | instskip(NEXT) | instid1(VALU_DEP_1)
	v_add_f32_e32 v138, v138, v142
	v_add_f32_e32 v138, v138, v144
	s_waitcnt_depctr 0xfff
	v_cndmask_b32_e64 v153, 0, v137, s7
	v_add_f32_e32 v137, v138, v152
	v_exp_f32_e32 v138, v131
	v_cndmask_b32_e64 v131, 0, v129, s10
	s_delay_alu instid0(VALU_DEP_2) | instskip(NEXT) | instid1(VALU_DEP_1)
	v_add_f32_e32 v137, v137, v153
	v_add_f32_e32 v137, v137, v143
	s_delay_alu instid0(VALU_DEP_1)
	v_add_f32_e32 v129, v137, v154
	v_exp_f32_e32 v137, v132
	v_cndmask_b32_e64 v132, 0, v130, s11
	v_fma_f32 v130, s35, v135, -v139
	v_exp_f32_e32 v135, v133
	v_add_f32_e32 v129, v129, v131
	v_cndmask_b32_e64 v133, 0, v138, s12
	v_exp_f32_e32 v138, v134
	s_delay_alu instid0(VALU_DEP_2) | instskip(NEXT) | instid1(TRANS32_DEP_3)
	v_dual_mul_f32 v130, 0x3fb8aa3b, v130 :: v_dual_add_f32 v129, v129, v132
	v_cndmask_b32_e64 v134, 0, v137, s13
	v_mul_f32_e32 v137, 0x3fb8aa3b, v136
	s_delay_alu instid0(VALU_DEP_3) | instskip(NEXT) | instid1(TRANS32_DEP_3)
	v_exp_f32_e32 v130, v130
	v_cndmask_b32_e64 v135, 0, v135, s15
	v_add_f32_e32 v129, v129, v133
	s_delay_alu instid0(TRANS32_DEP_2) | instskip(SKIP_1) | instid1(VALU_DEP_2)
	v_cndmask_b32_e64 v136, 0, v138, s16
	v_exp_f32_e32 v138, v137
	v_add_f32_e32 v129, v129, v134
	s_waitcnt_depctr 0xfff
	v_cndmask_b32_e64 v137, 0, v130, s17
	v_add_f32_e32 v129, v129, v135
	v_cndmask_b32_e64 v138, 0, v138, s18
	s_delay_alu instid0(VALU_DEP_2) | instskip(NEXT) | instid1(VALU_DEP_1)
	v_add_f32_e32 v129, v129, v136
	v_add_f32_e32 v129, v129, v137
	s_delay_alu instid0(VALU_DEP_1)
	v_add_f32_e32 v129, v129, v138
	ds_bpermute_b32 v130, v155, v129
	v_cmpx_gt_u32_e32 16, v151
	s_cbranch_execz .LBB457_12
; %bb.11:
	v_mul_u32_u24_e32 v151, 0x44, v148
	s_delay_alu instid0(VALU_DEP_1) | instskip(SKIP_1) | instid1(VALU_DEP_1)
	v_lshl_add_u32 v151, v150, 2, v151
	s_waitcnt lgkmcnt(0)
	v_dual_add_f32 v129, v129, v130 :: v_dual_add_nc_u32 v130, 0x4000, v151
	ds_store_2addr_b32 v130, v139, v129 offset1:136
.LBB457_12:
	s_or_b32 exec_lo, exec_lo, s3
	v_lshlrev_b32_e32 v129, 2, v150
	s_waitcnt lgkmcnt(0)
	s_barrier
	buffer_gl0_inv
	v_cmp_eq_u32_e64 s3, 1, v148
	v_add_nc_u32_e32 v139, 0x4000, v129
	ds_load_2addr_b32 v[150:151], v139 offset1:17
	ds_load_2addr_b32 v[155:156], v139 offset0:34 offset1:51
	ds_load_2addr_b32 v[157:158], v139 offset0:68 offset1:85
	;; [unrolled: 1-line block ×4, first 2 shown]
	s_waitcnt lgkmcnt(4)
	v_max3_f32 v129, v150, 0xff7fffff, v151
	s_waitcnt lgkmcnt(3)
	s_delay_alu instid0(VALU_DEP_1) | instskip(SKIP_1) | instid1(VALU_DEP_1)
	v_max3_f32 v129, v129, v155, v156
	s_waitcnt lgkmcnt(2)
	v_max3_f32 v129, v129, v157, v158
	s_waitcnt lgkmcnt(1)
	s_delay_alu instid0(VALU_DEP_1) | instskip(NEXT) | instid1(VALU_DEP_1)
	v_max3_f32 v129, v129, v159, v160
	v_sub_f32_e32 v163, v151, v129
	s_delay_alu instid0(VALU_DEP_1) | instskip(NEXT) | instid1(VALU_DEP_1)
	v_dual_sub_f32 v130, v150, v129 :: v_dual_mul_f32 v163, 0x3fb8aa3b, v163
	v_mul_f32_e32 v130, 0x3fb8aa3b, v130
	s_delay_alu instid0(VALU_DEP_2) | instskip(NEXT) | instid1(VALU_DEP_1)
	v_exp_f32_e32 v163, v163
	v_exp_f32_e32 v164, v130
	v_sub_f32_e32 v130, v156, v129
	s_delay_alu instid0(VALU_DEP_1) | instskip(NEXT) | instid1(VALU_DEP_1)
	v_dual_sub_f32 v155, v155, v129 :: v_dual_mul_f32 v166, 0x3fb8aa3b, v130
	v_mul_f32_e32 v165, 0x3fb8aa3b, v155
	s_waitcnt lgkmcnt(0)
	s_waitcnt_depctr 0xfff
	v_fma_f32 v130, v164, v161, 0
	v_exp_f32_e32 v166, v166
	v_exp_f32_e32 v165, v165
	s_delay_alu instid0(VALU_DEP_1)
	v_fmac_f32_e32 v130, v163, v162
	ds_load_2addr_b32 v[150:151], v139 offset0:170 offset1:187
	ds_load_2addr_b32 v[155:156], v139 offset0:204 offset1:221
	s_waitcnt lgkmcnt(1)
	v_dual_sub_f32 v161, v158, v129 :: v_dual_fmac_f32 v130, v165, v150
	v_sub_f32_e32 v150, v160, v129
	s_delay_alu instid0(VALU_DEP_2) | instskip(NEXT) | instid1(VALU_DEP_1)
	v_dual_sub_f32 v157, v157, v129 :: v_dual_fmac_f32 v130, v166, v151
	v_dual_mul_f32 v150, 0x3fb8aa3b, v150 :: v_dual_mul_f32 v167, 0x3fb8aa3b, v157
	ds_load_2addr_b32 v[157:158], v139 offset0:238 offset1:255
	s_waitcnt lgkmcnt(0)
	s_barrier
	v_exp_f32_e32 v150, v150
	v_sub_f32_e32 v139, v159, v129
	v_mul_f32_e32 v159, 0x3fb8aa3b, v161
	v_exp_f32_e32 v161, v167
	buffer_gl0_inv
	v_mul_f32_e32 v139, 0x3fb8aa3b, v139
	v_exp_f32_e32 v159, v159
	s_delay_alu instid0(VALU_DEP_1) | instskip(SKIP_3) | instid1(VALU_DEP_1)
	v_exp_f32_e32 v139, v139
	v_fmac_f32_e32 v130, v161, v155
	s_waitcnt_depctr 0xfff
	v_fmac_f32_e32 v130, v159, v156
	v_fmac_f32_e32 v130, v139, v157
	s_delay_alu instid0(VALU_DEP_1) | instskip(NEXT) | instid1(VALU_DEP_1)
	v_fmac_f32_e32 v130, v150, v158
	v_add_f32_e32 v151, 0x358637bd, v130
	s_delay_alu instid0(VALU_DEP_1) | instskip(SKIP_1) | instid1(VALU_DEP_2)
	v_div_scale_f32 v155, null, v151, v151, 1.0
	v_div_scale_f32 v158, vcc_lo, 1.0, v151, 1.0
	v_rcp_f32_e32 v156, v155
	s_waitcnt_depctr 0xfff
	v_fma_f32 v157, -v155, v156, 1.0
	s_delay_alu instid0(VALU_DEP_1) | instskip(SKIP_2) | instid1(VALU_DEP_3)
	v_fmac_f32_e32 v156, v157, v156
	v_cndmask_b32_e64 v157, v164, v163, s3
	v_cmp_eq_u32_e64 s3, 2, v148
	v_mul_f32_e32 v160, v158, v156
	s_delay_alu instid0(VALU_DEP_2) | instskip(SKIP_1) | instid1(VALU_DEP_3)
	v_cndmask_b32_e64 v157, v157, v165, s3
	v_cmp_eq_u32_e64 s3, 3, v148
	v_fma_f32 v162, -v155, v160, v158
	s_delay_alu instid0(VALU_DEP_2) | instskip(SKIP_1) | instid1(VALU_DEP_3)
	v_cndmask_b32_e64 v157, v157, v166, s3
	v_cmp_eq_u32_e64 s3, 4, v148
	v_fmac_f32_e32 v160, v162, v156
	s_delay_alu instid0(VALU_DEP_2) | instskip(NEXT) | instid1(VALU_DEP_2)
	v_cndmask_b32_e64 v157, v157, v161, s3
	v_fma_f32 v155, -v155, v160, v158
	v_cmp_eq_u32_e64 s3, 5, v148
	s_delay_alu instid0(VALU_DEP_2) | instskip(NEXT) | instid1(VALU_DEP_2)
	v_div_fmas_f32 v155, v155, v156, v160
	v_cndmask_b32_e64 v157, v157, v159, s3
	v_cmp_eq_u32_e32 vcc_lo, 6, v148
	s_mov_b32 s3, exec_lo
	s_delay_alu instid0(VALU_DEP_3) | instskip(NEXT) | instid1(VALU_DEP_3)
	v_div_fixup_f32 v151, v155, v151, 1.0
	v_cndmask_b32_e32 v139, v157, v139, vcc_lo
	v_cmp_eq_u32_e32 vcc_lo, 7, v148
	s_delay_alu instid0(VALU_DEP_2) | instskip(NEXT) | instid1(VALU_DEP_1)
	v_cndmask_b32_e32 v139, v139, v150, vcc_lo
	v_mul_f32_e32 v139, v139, v151
	s_delay_alu instid0(VALU_DEP_1)
	v_mul_f32_e32 v155, v139, v141
	v_mul_f32_e32 v141, v139, v154
	;; [unrolled: 1-line block ×5, first 2 shown]
	v_dual_mul_f32 v153, v139, v144 :: v_dual_and_b32 v154, 0x7f800000, v155
	v_mul_f32_e32 v151, v139, v142
	v_mul_f32_e32 v144, v139, v140
                                        ; implicit-def: $vgpr140
	s_delay_alu instid0(VALU_DEP_3)
	v_cmpx_ne_u32_e32 0x7f800000, v154
	s_xor_b32 s3, exec_lo, s3
; %bb.13:
	v_bfe_u32 v140, v155, 16, 1
	s_delay_alu instid0(VALU_DEP_1)
	v_add3_u32 v140, v155, v140, 0x7fff
                                        ; implicit-def: $vgpr155
; %bb.14:
	s_and_not1_saveexec_b32 s3, s3
; %bb.15:
	v_and_b32_e32 v140, 0xffff, v155
	v_or_b32_e32 v142, 0x10000, v155
	s_delay_alu instid0(VALU_DEP_2) | instskip(NEXT) | instid1(VALU_DEP_2)
	v_cmp_eq_u32_e32 vcc_lo, 0, v140
	v_cndmask_b32_e32 v140, v142, v155, vcc_lo
; %bb.16:
	s_or_b32 exec_lo, exec_lo, s3
	v_and_b32_e32 v142, 0x7f800000, v144
	s_delay_alu instid0(VALU_DEP_1) | instskip(SKIP_1) | instid1(SALU_CYCLE_1)
	v_cmp_ne_u32_e32 vcc_lo, 0x7f800000, v142
                                        ; implicit-def: $vgpr142
	s_and_saveexec_b32 s3, vcc_lo
	s_xor_b32 s3, exec_lo, s3
; %bb.17:
	v_bfe_u32 v142, v144, 16, 1
	s_delay_alu instid0(VALU_DEP_1)
	v_add3_u32 v142, v144, v142, 0x7fff
                                        ; implicit-def: $vgpr144
; %bb.18:
	s_and_not1_saveexec_b32 s3, s3
; %bb.19:
	v_and_b32_e32 v142, 0xffff, v144
	v_or_b32_e32 v154, 0x10000, v144
	s_delay_alu instid0(VALU_DEP_2) | instskip(NEXT) | instid1(VALU_DEP_2)
	v_cmp_eq_u32_e32 vcc_lo, 0, v142
	v_cndmask_b32_e32 v142, v154, v144, vcc_lo
; %bb.20:
	s_or_b32 exec_lo, exec_lo, s3
	v_and_b32_e32 v144, 0x7f800000, v151
	s_delay_alu instid0(VALU_DEP_1) | instskip(SKIP_1) | instid1(SALU_CYCLE_1)
	v_cmp_ne_u32_e32 vcc_lo, 0x7f800000, v144
                                        ; implicit-def: $vgpr144
	s_and_saveexec_b32 s3, vcc_lo
	s_xor_b32 s3, exec_lo, s3
; %bb.21:
	v_bfe_u32 v144, v151, 16, 1
	s_delay_alu instid0(VALU_DEP_1)
	v_add3_u32 v144, v151, v144, 0x7fff
                                        ; implicit-def: $vgpr151
; %bb.22:
	s_and_not1_saveexec_b32 s3, s3
; %bb.23:
	v_and_b32_e32 v144, 0xffff, v151
	v_or_b32_e32 v154, 0x10000, v151
	s_delay_alu instid0(VALU_DEP_2) | instskip(NEXT) | instid1(VALU_DEP_2)
	v_cmp_eq_u32_e32 vcc_lo, 0, v144
	v_cndmask_b32_e32 v144, v154, v151, vcc_lo
; %bb.24:
	s_or_b32 exec_lo, exec_lo, s3
	v_and_b32_e32 v151, 0x7f800000, v153
	s_delay_alu instid0(VALU_DEP_1) | instskip(SKIP_1) | instid1(SALU_CYCLE_1)
	v_cmp_ne_u32_e32 vcc_lo, 0x7f800000, v151
                                        ; implicit-def: $vgpr151
	s_and_saveexec_b32 s3, vcc_lo
	s_xor_b32 s3, exec_lo, s3
; %bb.25:
	v_bfe_u32 v151, v153, 16, 1
	s_delay_alu instid0(VALU_DEP_1)
	v_add3_u32 v151, v153, v151, 0x7fff
                                        ; implicit-def: $vgpr153
; %bb.26:
	s_and_not1_saveexec_b32 s3, s3
; %bb.27:
	v_and_b32_e32 v151, 0xffff, v153
	v_or_b32_e32 v154, 0x10000, v153
	s_delay_alu instid0(VALU_DEP_2) | instskip(NEXT) | instid1(VALU_DEP_2)
	v_cmp_eq_u32_e32 vcc_lo, 0, v151
	v_cndmask_b32_e32 v151, v154, v153, vcc_lo
; %bb.28:
	s_or_b32 exec_lo, exec_lo, s3
	v_and_b32_e32 v153, 0x7f800000, v152
	s_delay_alu instid0(VALU_DEP_1) | instskip(SKIP_1) | instid1(SALU_CYCLE_1)
	v_cmp_ne_u32_e32 vcc_lo, 0x7f800000, v153
                                        ; implicit-def: $vgpr153
	s_and_saveexec_b32 s3, vcc_lo
	s_xor_b32 s3, exec_lo, s3
; %bb.29:
	v_bfe_u32 v153, v152, 16, 1
	s_delay_alu instid0(VALU_DEP_1)
	v_add3_u32 v153, v152, v153, 0x7fff
                                        ; implicit-def: $vgpr152
; %bb.30:
	s_and_not1_saveexec_b32 s3, s3
; %bb.31:
	v_and_b32_e32 v153, 0xffff, v152
	v_or_b32_e32 v154, 0x10000, v152
	s_delay_alu instid0(VALU_DEP_2) | instskip(NEXT) | instid1(VALU_DEP_2)
	v_cmp_eq_u32_e32 vcc_lo, 0, v153
	v_cndmask_b32_e32 v153, v154, v152, vcc_lo
; %bb.32:
	s_or_b32 exec_lo, exec_lo, s3
	v_and_b32_e32 v152, 0x7f800000, v150
	s_delay_alu instid0(VALU_DEP_1) | instskip(SKIP_1) | instid1(SALU_CYCLE_1)
	v_cmp_ne_u32_e32 vcc_lo, 0x7f800000, v152
                                        ; implicit-def: $vgpr152
	s_and_saveexec_b32 s3, vcc_lo
	s_xor_b32 s3, exec_lo, s3
; %bb.33:
	v_bfe_u32 v152, v150, 16, 1
	s_delay_alu instid0(VALU_DEP_1)
	v_add3_u32 v152, v150, v152, 0x7fff
                                        ; implicit-def: $vgpr150
; %bb.34:
	s_and_not1_saveexec_b32 s3, s3
; %bb.35:
	v_and_b32_e32 v152, 0xffff, v150
	v_or_b32_e32 v154, 0x10000, v150
	s_delay_alu instid0(VALU_DEP_2) | instskip(NEXT) | instid1(VALU_DEP_2)
	v_cmp_eq_u32_e32 vcc_lo, 0, v152
	v_cndmask_b32_e32 v152, v154, v150, vcc_lo
; %bb.36:
	s_or_b32 exec_lo, exec_lo, s3
	v_and_b32_e32 v150, 0x7f800000, v143
	s_delay_alu instid0(VALU_DEP_1) | instskip(SKIP_1) | instid1(SALU_CYCLE_1)
	v_cmp_ne_u32_e32 vcc_lo, 0x7f800000, v150
                                        ; implicit-def: $vgpr150
	s_and_saveexec_b32 s3, vcc_lo
	s_xor_b32 s3, exec_lo, s3
; %bb.37:
	v_bfe_u32 v150, v143, 16, 1
	s_delay_alu instid0(VALU_DEP_1)
	v_add3_u32 v150, v143, v150, 0x7fff
                                        ; implicit-def: $vgpr143
; %bb.38:
	s_and_not1_saveexec_b32 s3, s3
; %bb.39:
	v_and_b32_e32 v150, 0xffff, v143
	v_or_b32_e32 v154, 0x10000, v143
	s_delay_alu instid0(VALU_DEP_2) | instskip(NEXT) | instid1(VALU_DEP_2)
	v_cmp_eq_u32_e32 vcc_lo, 0, v150
	v_cndmask_b32_e32 v150, v154, v143, vcc_lo
; %bb.40:
	s_or_b32 exec_lo, exec_lo, s3
	v_and_b32_e32 v143, 0x7f800000, v141
	s_delay_alu instid0(VALU_DEP_1) | instskip(SKIP_1) | instid1(SALU_CYCLE_1)
	v_cmp_ne_u32_e32 vcc_lo, 0x7f800000, v143
                                        ; implicit-def: $vgpr143
	s_and_saveexec_b32 s3, vcc_lo
	s_xor_b32 s3, exec_lo, s3
; %bb.41:
	v_bfe_u32 v143, v141, 16, 1
	s_delay_alu instid0(VALU_DEP_1)
	v_add3_u32 v143, v141, v143, 0x7fff
                                        ; implicit-def: $vgpr141
; %bb.42:
	s_and_not1_saveexec_b32 s3, s3
; %bb.43:
	v_and_b32_e32 v143, 0xffff, v141
	v_or_b32_e32 v154, 0x10000, v141
	s_delay_alu instid0(VALU_DEP_2) | instskip(NEXT) | instid1(VALU_DEP_2)
	v_cmp_eq_u32_e32 vcc_lo, 0, v143
	v_cndmask_b32_e32 v143, v154, v141, vcc_lo
; %bb.44:
	s_or_b32 exec_lo, exec_lo, s3
	s_load_b64 s[34:35], s[0:1], 0x94
	v_lshlrev_b32_e32 v141, 4, v146
	s_delay_alu instid0(VALU_DEP_2)
	v_perm_b32 v154, v143, v150, 0x7060302
	v_dual_mul_f32 v138, v139, v138 :: v_dual_lshlrev_b32 v143, 11, v148
	v_perm_b32 v153, v152, v153, 0x7060302
	v_perm_b32 v152, v151, v144, 0x7060302
	;; [unrolled: 1-line block ×3, first 2 shown]
	v_mul_f32_e32 v142, v139, v131
	v_or3_b32 v131, v141, v143, v149
	v_mul_f32_e32 v137, v139, v137
	v_mul_f32_e32 v136, v139, v136
	v_mul_f32_e32 v135, v139, v135
	v_and_b32_e32 v143, 0x7f800000, v142
	v_mul_f32_e32 v140, v139, v134
	v_mul_f32_e32 v141, v139, v133
	;; [unrolled: 1-line block ×3, first 2 shown]
	s_mov_b32 s3, exec_lo
	ds_store_b128 v131, v[151:154]
                                        ; implicit-def: $vgpr132
	v_cmpx_ne_u32_e32 0x7f800000, v143
	s_xor_b32 s3, exec_lo, s3
; %bb.45:
	v_bfe_u32 v132, v142, 16, 1
	s_delay_alu instid0(VALU_DEP_1)
	v_add3_u32 v132, v142, v132, 0x7fff
                                        ; implicit-def: $vgpr142
; %bb.46:
	s_and_not1_saveexec_b32 s3, s3
; %bb.47:
	v_and_b32_e32 v132, 0xffff, v142
	v_or_b32_e32 v133, 0x10000, v142
	s_delay_alu instid0(VALU_DEP_2) | instskip(NEXT) | instid1(VALU_DEP_2)
	v_cmp_eq_u32_e32 vcc_lo, 0, v132
	v_cndmask_b32_e32 v132, v133, v142, vcc_lo
; %bb.48:
	s_or_b32 exec_lo, exec_lo, s3
	v_and_b32_e32 v133, 0x7f800000, v134
	s_delay_alu instid0(VALU_DEP_1) | instskip(SKIP_1) | instid1(SALU_CYCLE_1)
	v_cmp_ne_u32_e32 vcc_lo, 0x7f800000, v133
                                        ; implicit-def: $vgpr133
	s_and_saveexec_b32 s3, vcc_lo
	s_xor_b32 s3, exec_lo, s3
; %bb.49:
	v_bfe_u32 v133, v134, 16, 1
	s_delay_alu instid0(VALU_DEP_1)
	v_add3_u32 v133, v134, v133, 0x7fff
                                        ; implicit-def: $vgpr134
; %bb.50:
	s_and_not1_saveexec_b32 s3, s3
; %bb.51:
	v_and_b32_e32 v133, 0xffff, v134
	v_or_b32_e32 v139, 0x10000, v134
	s_delay_alu instid0(VALU_DEP_2) | instskip(NEXT) | instid1(VALU_DEP_2)
	v_cmp_eq_u32_e32 vcc_lo, 0, v133
	v_cndmask_b32_e32 v133, v139, v134, vcc_lo
; %bb.52:
	s_or_b32 exec_lo, exec_lo, s3
	v_and_b32_e32 v134, 0x7f800000, v141
	s_delay_alu instid0(VALU_DEP_1) | instskip(SKIP_1) | instid1(SALU_CYCLE_1)
	v_cmp_ne_u32_e32 vcc_lo, 0x7f800000, v134
                                        ; implicit-def: $vgpr134
	s_and_saveexec_b32 s3, vcc_lo
	s_xor_b32 s3, exec_lo, s3
; %bb.53:
	v_bfe_u32 v134, v141, 16, 1
	s_delay_alu instid0(VALU_DEP_1)
	v_add3_u32 v134, v141, v134, 0x7fff
                                        ; implicit-def: $vgpr141
; %bb.54:
	s_and_not1_saveexec_b32 s3, s3
; %bb.55:
	v_and_b32_e32 v134, 0xffff, v141
	v_or_b32_e32 v139, 0x10000, v141
	s_delay_alu instid0(VALU_DEP_2) | instskip(NEXT) | instid1(VALU_DEP_2)
	v_cmp_eq_u32_e32 vcc_lo, 0, v134
	v_cndmask_b32_e32 v134, v139, v141, vcc_lo
; %bb.56:
	s_or_b32 exec_lo, exec_lo, s3
	v_and_b32_e32 v139, 0x7f800000, v140
	s_delay_alu instid0(VALU_DEP_1) | instskip(SKIP_1) | instid1(SALU_CYCLE_1)
	v_cmp_ne_u32_e32 vcc_lo, 0x7f800000, v139
                                        ; implicit-def: $vgpr139
	s_and_saveexec_b32 s3, vcc_lo
	s_xor_b32 s3, exec_lo, s3
; %bb.57:
	v_bfe_u32 v139, v140, 16, 1
	s_delay_alu instid0(VALU_DEP_1)
	v_add3_u32 v139, v140, v139, 0x7fff
                                        ; implicit-def: $vgpr140
; %bb.58:
	s_and_not1_saveexec_b32 s3, s3
; %bb.59:
	v_and_b32_e32 v139, 0xffff, v140
	v_or_b32_e32 v141, 0x10000, v140
	s_delay_alu instid0(VALU_DEP_2) | instskip(NEXT) | instid1(VALU_DEP_2)
	v_cmp_eq_u32_e32 vcc_lo, 0, v139
	v_cndmask_b32_e32 v139, v141, v140, vcc_lo
; %bb.60:
	s_or_b32 exec_lo, exec_lo, s3
	v_and_b32_e32 v140, 0x7f800000, v135
	s_delay_alu instid0(VALU_DEP_1) | instskip(SKIP_1) | instid1(SALU_CYCLE_1)
	v_cmp_ne_u32_e32 vcc_lo, 0x7f800000, v140
                                        ; implicit-def: $vgpr140
	s_and_saveexec_b32 s3, vcc_lo
	s_xor_b32 s3, exec_lo, s3
; %bb.61:
	v_bfe_u32 v140, v135, 16, 1
	s_delay_alu instid0(VALU_DEP_1)
	v_add3_u32 v140, v135, v140, 0x7fff
                                        ; implicit-def: $vgpr135
; %bb.62:
	s_and_not1_saveexec_b32 s3, s3
; %bb.63:
	v_and_b32_e32 v140, 0xffff, v135
	v_or_b32_e32 v141, 0x10000, v135
	s_delay_alu instid0(VALU_DEP_2) | instskip(NEXT) | instid1(VALU_DEP_2)
	v_cmp_eq_u32_e32 vcc_lo, 0, v140
	v_cndmask_b32_e32 v140, v141, v135, vcc_lo
; %bb.64:
	s_or_b32 exec_lo, exec_lo, s3
	v_and_b32_e32 v135, 0x7f800000, v136
	s_delay_alu instid0(VALU_DEP_1) | instskip(SKIP_1) | instid1(SALU_CYCLE_1)
	v_cmp_ne_u32_e32 vcc_lo, 0x7f800000, v135
                                        ; implicit-def: $vgpr135
	s_and_saveexec_b32 s3, vcc_lo
	s_xor_b32 s3, exec_lo, s3
; %bb.65:
	v_bfe_u32 v135, v136, 16, 1
	s_delay_alu instid0(VALU_DEP_1)
	v_add3_u32 v135, v136, v135, 0x7fff
                                        ; implicit-def: $vgpr136
; %bb.66:
	s_and_not1_saveexec_b32 s3, s3
; %bb.67:
	v_and_b32_e32 v135, 0xffff, v136
	v_or_b32_e32 v141, 0x10000, v136
	s_delay_alu instid0(VALU_DEP_2) | instskip(NEXT) | instid1(VALU_DEP_2)
	v_cmp_eq_u32_e32 vcc_lo, 0, v135
	v_cndmask_b32_e32 v135, v141, v136, vcc_lo
; %bb.68:
	s_or_b32 exec_lo, exec_lo, s3
	v_and_b32_e32 v136, 0x7f800000, v137
	s_delay_alu instid0(VALU_DEP_1) | instskip(SKIP_1) | instid1(SALU_CYCLE_1)
	v_cmp_ne_u32_e32 vcc_lo, 0x7f800000, v136
                                        ; implicit-def: $vgpr136
	s_and_saveexec_b32 s3, vcc_lo
	s_xor_b32 s3, exec_lo, s3
; %bb.69:
	v_bfe_u32 v136, v137, 16, 1
	s_delay_alu instid0(VALU_DEP_1)
	v_add3_u32 v136, v137, v136, 0x7fff
                                        ; implicit-def: $vgpr137
; %bb.70:
	s_and_not1_saveexec_b32 s3, s3
; %bb.71:
	v_and_b32_e32 v136, 0xffff, v137
	v_or_b32_e32 v141, 0x10000, v137
	s_delay_alu instid0(VALU_DEP_2) | instskip(NEXT) | instid1(VALU_DEP_2)
	v_cmp_eq_u32_e32 vcc_lo, 0, v136
	v_cndmask_b32_e32 v136, v141, v137, vcc_lo
; %bb.72:
	s_or_b32 exec_lo, exec_lo, s3
	v_and_b32_e32 v137, 0x7f800000, v138
	s_delay_alu instid0(VALU_DEP_1) | instskip(SKIP_1) | instid1(SALU_CYCLE_1)
	v_cmp_ne_u32_e32 vcc_lo, 0x7f800000, v137
                                        ; implicit-def: $vgpr137
	s_and_saveexec_b32 s3, vcc_lo
	s_xor_b32 s3, exec_lo, s3
; %bb.73:
	v_bfe_u32 v137, v138, 16, 1
	s_delay_alu instid0(VALU_DEP_1)
	v_add3_u32 v137, v138, v137, 0x7fff
                                        ; implicit-def: $vgpr138
; %bb.74:
	s_and_not1_saveexec_b32 s3, s3
; %bb.75:
	v_and_b32_e32 v137, 0xffff, v138
	v_or_b32_e32 v141, 0x10000, v138
	s_delay_alu instid0(VALU_DEP_2) | instskip(NEXT) | instid1(VALU_DEP_2)
	v_cmp_eq_u32_e32 vcc_lo, 0, v137
	v_cndmask_b32_e32 v137, v141, v138, vcc_lo
; %bb.76:
	s_or_b32 exec_lo, exec_lo, s3
	s_delay_alu instid0(VALU_DEP_1)
	v_perm_b32 v136, v137, v136, 0x7060302
	v_perm_b32 v135, v135, v140, 0x7060302
	;; [unrolled: 1-line block ×4, first 2 shown]
	v_lshl_or_b32 v140, v148, 11, v149
	v_lshlrev_b32_e32 v138, 2, v146
	ds_store_b128 v131, v[133:136] offset:1024
	s_waitcnt lgkmcnt(0)
	s_barrier
	buffer_gl0_inv
	ds_load_b128 v[132:135], v140
	ds_load_b128 v[150:153], v140 offset:16
	v_or_b32_e32 v139, 1, v138
	v_cmp_eq_u32_e64 s12, 1, v138
	v_cmp_eq_u32_e64 s11, 2, v138
	v_or_b32_e32 v137, 2, v138
	v_cmp_eq_u32_e64 s16, 3, v138
	v_cmp_eq_u32_e64 s7, 1, v139
	;; [unrolled: 1-line block ×8, first 2 shown]
	v_cmp_eq_u32_e32 vcc_lo, 5, v139
	v_cmp_eq_u32_e64 s10, 2, v137
	v_cmp_eq_u32_e64 s15, 6, v138
	;; [unrolled: 1-line block ×5, first 2 shown]
	s_waitcnt lgkmcnt(1)
	v_lshrrev_b32_e32 v136, 16, v132
	s_waitcnt lgkmcnt(0)
	v_lshrrev_b32_e32 v142, 16, v150
	v_lshrrev_b32_e32 v143, 16, v133
	;; [unrolled: 1-line block ×4, first 2 shown]
	v_cndmask_b32_e64 v141, v132, v136, s12
	v_cndmask_b32_e64 v154, v132, v136, s7
	;; [unrolled: 1-line block ×4, first 2 shown]
	v_lshrrev_b32_e32 v163, 16, v135
	v_cndmask_b32_e64 v141, v141, v133, s11
	v_cndmask_b32_e64 v154, v154, v133, s6
	;; [unrolled: 1-line block ×4, first 2 shown]
	v_lshrrev_b32_e32 v164, 16, v152
	v_cndmask_b32_e64 v141, v141, v143, s16
	v_cndmask_b32_e64 v154, v154, v143, s5
	;; [unrolled: 1-line block ×3, first 2 shown]
	v_cmp_eq_u32_e64 s19, 7, v139
	v_cndmask_b32_e64 v157, v150, v142, s8
	v_cndmask_b32_e64 v141, v141, v134, s17
	;; [unrolled: 1-line block ×5, first 2 shown]
	v_cmp_eq_u32_e64 s20, 4, v137
	v_cndmask_b32_e64 v141, v141, v148, s13
	v_cndmask_b32_e32 v154, v154, v148, vcc_lo
	v_cndmask_b32_e32 v158, v155, v164, vcc_lo
	v_cndmask_b32_e64 v159, v157, v151, s10
	v_cndmask_b32_e64 v160, v156, v134, s20
	;; [unrolled: 1-line block ×4, first 2 shown]
	v_cmp_eq_u32_e64 s22, 5, v137
	v_cndmask_b32_e64 v159, v159, v162, s18
	v_cndmask_b32_e64 v144, v150, v142, s12
	;; [unrolled: 1-line block ×3, first 2 shown]
	v_or_b32_e32 v141, 3, v138
	v_cndmask_b32_e64 v167, v154, v163, s19
	ds_load_b128 v[154:157], v140 offset:1024
	v_cndmask_b32_e64 v168, v160, v148, s22
	v_cndmask_b32_e64 v169, v159, v152, s20
	v_cmp_eq_u32_e64 s21, 1, v141
	v_cmp_eq_u32_e64 s23, 2, v141
	;; [unrolled: 1-line block ×3, first 2 shown]
	v_cndmask_b32_e64 v144, v144, v151, s11
	v_cmp_eq_u32_e64 s26, 4, v141
	v_cndmask_b32_e64 v132, v132, v136, s21
	v_cndmask_b32_e64 v136, v158, v153, s4
	ds_load_b128 v[158:161], v140 offset:1040
	v_cndmask_b32_e64 v142, v150, v142, s21
	v_cndmask_b32_e64 v144, v144, v162, s16
	v_cndmask_b32_e64 v132, v132, v133, s23
	v_cmp_eq_u32_e64 s28, 5, v141
	v_cmp_eq_u32_e64 s25, 6, v137
	v_cndmask_b32_e64 v142, v142, v151, s23
	v_cndmask_b32_e64 v144, v144, v152, s17
	;; [unrolled: 1-line block ×3, first 2 shown]
	v_cmp_eq_u32_e64 s29, 6, v141
	s_waitcnt lgkmcnt(1)
	v_lshrrev_b32_e32 v150, 16, v154
	v_cndmask_b32_e64 v142, v142, v162, s24
	v_lshrrev_b32_e32 v151, 16, v155
	v_cndmask_b32_e64 v132, v132, v134, s26
	v_cndmask_b32_e64 v144, v144, v164, s13
	;; [unrolled: 1-line block ×7, first 2 shown]
	s_waitcnt lgkmcnt(0)
	v_lshrrev_b32_e32 v148, 16, v158
	v_cndmask_b32_e64 v143, v168, v135, s25
	v_cndmask_b32_e64 v142, v142, v155, s11
	;; [unrolled: 1-line block ×5, first 2 shown]
	v_lshrrev_b32_e32 v165, 16, v153
	v_cndmask_b32_e64 v135, v142, v151, s16
	v_cndmask_b32_e64 v142, v152, v155, s6
	;; [unrolled: 1-line block ×6, first 2 shown]
	v_lshrrev_b32_e32 v153, 16, v159
	v_cmp_eq_u32_e64 s11, 7, v141
	v_cndmask_b32_e64 v142, v142, v151, s5
	v_cmp_eq_u32_e64 s27, 7, v137
	v_cndmask_b32_e64 v135, v135, v156, s17
	v_lshrrev_b32_e32 v162, 16, v156
	v_cndmask_b32_e64 v152, v152, v153, s16
	v_cndmask_b32_e64 v132, v132, v163, s11
	;; [unrolled: 1-line block ×7, first 2 shown]
	v_lshrrev_b32_e32 v164, 16, v160
	v_perm_b32 v135, v134, v132, 0x5040100
	v_cndmask_b32_e32 v132, v142, v162, vcc_lo
	v_cndmask_b32_e64 v136, v136, v165, s19
	v_cndmask_b32_e64 v133, v133, v165, s27
	;; [unrolled: 1-line block ×3, first 2 shown]
	v_lshrrev_b32_e32 v163, 16, v157
	v_cndmask_b32_e64 v152, v152, v164, s13
	v_cndmask_b32_e64 v132, v132, v157, s4
	;; [unrolled: 1-line block ×3, first 2 shown]
	v_perm_b32 v134, v133, v143, 0x5040100
	v_perm_b32 v133, v136, v167, 0x5040100
	v_cndmask_b32_e64 v136, v142, v163, s9
	v_cndmask_b32_e64 v142, v152, v161, s15
	v_cndmask_b32_e64 v165, v132, v163, s19
	v_cndmask_b32_e64 v132, v154, v150, s8
	v_cndmask_b32_e64 v150, v154, v150, s21
	v_cndmask_b32_e64 v152, v158, v148, s21
	v_cndmask_b32_e64 v154, v158, v148, s8
	v_cndmask_b32_e64 v148, v158, v148, s7
	v_cndmask_b32_e64 v132, v132, v155, s10
	v_cndmask_b32_e64 v150, v150, v155, s23
	v_cndmask_b32_e64 v152, v152, v159, s23
	v_cndmask_b32_e64 v154, v154, v159, s10
	v_cndmask_b32_e64 v148, v148, v159, s6
	v_cndmask_b32_e64 v132, v132, v151, s18
	v_cndmask_b32_e64 v150, v150, v151, s24
	v_cndmask_b32_e64 v151, v152, v153, s24
	v_cndmask_b32_e64 v152, v154, v153, s18
	v_cndmask_b32_e64 v148, v148, v153, s5
	v_cndmask_b32_e64 v132, v132, v156, s20
	v_cndmask_b32_e64 v150, v150, v156, s26
	v_cndmask_b32_e64 v151, v151, v160, s26
	v_cndmask_b32_e64 v152, v152, v160, s20
	v_cndmask_b32_e64 v148, v148, v160, s3
	v_cndmask_b32_e64 v132, v132, v162, s22
	v_cndmask_b32_e64 v150, v150, v162, s28
	v_cndmask_b32_e64 v151, v151, v164, s28
	v_cndmask_b32_e64 v152, v152, v164, s22
	v_cndmask_b32_e32 v148, v148, v164, vcc_lo
	v_lshrrev_b32_e32 v143, 16, v161
	v_cndmask_b32_e64 v132, v132, v157, s25
	v_cndmask_b32_e64 v150, v150, v157, s29
	;; [unrolled: 1-line block ×11, first 2 shown]
	v_perm_b32 v132, v144, v166, 0x5040100
	v_perm_b32 v153, v151, v150, 0x5040100
	;; [unrolled: 1-line block ×5, first 2 shown]
	s_lshl_b32 s8, s35, 4
	s_mov_b32 s3, exec_lo
	ds_store_b128 v131, v[132:135]
	ds_store_b128 v131, v[150:153] offset:1024
	v_cmpx_gt_u32_e32 16, v0
	s_cbranch_execz .LBB457_78
; %bb.77:
	v_or_b32_e32 v131, s31, v0
	s_load_b128 s[4:7], s[0:1], 0x58
	s_delay_alu instid0(VALU_DEP_1) | instskip(NEXT) | instid1(VALU_DEP_1)
	v_mad_u64_u32 v[132:133], null, s8, s30, v[131:132]
	v_mad_u64_u32 v[133:134], null, v132, s34, s[14:15]
	s_delay_alu instid0(VALU_DEP_1) | instskip(NEXT) | instid1(VALU_DEP_1)
	v_ashrrev_i32_e32 v134, 31, v133
	v_lshlrev_b64 v[131:132], 2, v[133:134]
	s_waitcnt lgkmcnt(0)
	s_delay_alu instid0(VALU_DEP_1) | instskip(NEXT) | instid1(VALU_DEP_2)
	v_add_co_u32 v133, vcc_lo, s6, v131
	v_add_co_ci_u32_e32 v134, vcc_lo, s7, v132, vcc_lo
	v_add_co_u32 v131, vcc_lo, s4, v131
	v_add_co_ci_u32_e32 v132, vcc_lo, s5, v132, vcc_lo
	global_store_b32 v[133:134], v129, off
	global_store_b32 v[131:132], v130, off
.LBB457_78:
	s_or_b32 exec_lo, exec_lo, s3
	s_waitcnt lgkmcnt(0)
	s_waitcnt_vscnt null, 0x0
	s_barrier
	buffer_gl0_inv
	ds_load_b128 v[150:153], v149
	ds_load_b128 v[154:157], v149 offset:16
	ds_load_b128 v[162:165], v149 offset:1040
	;; [unrolled: 1-line block ×3, first 2 shown]
	v_mov_b32_e32 v129, 0
	ds_load_b128 v[170:173], v149 offset:2064
	ds_load_b128 v[166:169], v149 offset:2048
	;; [unrolled: 1-line block ×6, first 2 shown]
	v_mov_b32_e32 v130, v129
	v_mov_b32_e32 v131, v129
	v_mov_b32_e32 v132, v129
	v_mov_b32_e32 v133, v129
	v_mov_b32_e32 v134, v129
	v_mov_b32_e32 v135, v129
	v_mov_b32_e32 v136, v129
	s_waitcnt lgkmcnt(8)
	s_delay_alu instid0(VALU_DEP_1)
	v_wmma_f32_16x16x16_bf16 v[129:136], v[121:128], v[150:157], v[129:136]
	ds_load_b128 v[125:128], v149 offset:5136
	ds_load_b128 v[121:124], v149 offset:5120
	s_waitcnt lgkmcnt(8)
	v_wmma_f32_16x16x16_bf16 v[129:136], v[113:120], v[158:165], v[129:136]
	ds_load_b128 v[117:120], v149 offset:6160
	ds_load_b128 v[113:116], v149 offset:6144
	s_waitcnt lgkmcnt(8)
	;; [unrolled: 4-line block ×8, first 2 shown]
	v_wmma_f32_16x16x16_bf16 v[129:136], v[65:72], v[97:104], v[129:136]
	s_waitcnt lgkmcnt(6)
	s_delay_alu instid0(VALU_DEP_1)
	v_wmma_f32_16x16x16_bf16 v[129:136], v[49:56], v[89:96], v[129:136]
	ds_load_b128 v[53:56], v149 offset:13328
	ds_load_b128 v[49:52], v149 offset:13312
	s_waitcnt lgkmcnt(6)
	v_wmma_f32_16x16x16_bf16 v[129:136], v[41:48], v[81:88], v[129:136]
	ds_load_b128 v[45:48], v149 offset:14352
	ds_load_b128 v[41:44], v149 offset:14336
	s_waitcnt lgkmcnt(6)
	;; [unrolled: 4-line block ×3, first 2 shown]
	v_wmma_f32_16x16x16_bf16 v[129:136], v[1:8], v[57:64], v[129:136]
	s_waitcnt lgkmcnt(4)
	s_delay_alu instid0(VALU_DEP_1) | instskip(SKIP_1) | instid1(VALU_DEP_1)
	v_wmma_f32_16x16x16_bf16 v[129:136], v[25:32], v[49:56], v[129:136]
	s_waitcnt lgkmcnt(2)
	v_wmma_f32_16x16x16_bf16 v[129:136], v[33:40], v[41:48], v[129:136]
	s_waitcnt lgkmcnt(0)
	s_delay_alu instid0(VALU_DEP_1) | instskip(NEXT) | instid1(VALU_DEP_1)
	v_wmma_f32_16x16x16_bf16 v[129:136], v[9:16], v[17:24], v[129:136]
	v_and_b32_e32 v1, 0x7f800000, v129
	s_delay_alu instid0(VALU_DEP_1) | instskip(SKIP_1) | instid1(SALU_CYCLE_1)
	v_cmp_ne_u32_e32 vcc_lo, 0x7f800000, v1
                                        ; implicit-def: $vgpr1
	s_and_saveexec_b32 s3, vcc_lo
	s_xor_b32 s3, exec_lo, s3
; %bb.79:
	v_bfe_u32 v1, v129, 16, 1
	s_delay_alu instid0(VALU_DEP_1)
	v_add3_u32 v1, v129, v1, 0x7fff
; %bb.80:
	s_and_not1_saveexec_b32 s3, s3
; %bb.81:
	v_and_b32_e32 v1, 0xffff, v129
	v_or_b32_e32 v2, 0x10000, v129
	s_delay_alu instid0(VALU_DEP_2) | instskip(NEXT) | instid1(VALU_DEP_2)
	v_cmp_eq_u32_e32 vcc_lo, 0, v1
	v_cndmask_b32_e32 v1, v2, v129, vcc_lo
; %bb.82:
	s_or_b32 exec_lo, exec_lo, s3
	v_and_b32_e32 v2, 0x7f800000, v130
	s_delay_alu instid0(VALU_DEP_1) | instskip(SKIP_1) | instid1(SALU_CYCLE_1)
	v_cmp_ne_u32_e32 vcc_lo, 0x7f800000, v2
                                        ; implicit-def: $vgpr2
	s_and_saveexec_b32 s3, vcc_lo
	s_xor_b32 s3, exec_lo, s3
; %bb.83:
	v_bfe_u32 v2, v130, 16, 1
	s_delay_alu instid0(VALU_DEP_1)
	v_add3_u32 v2, v130, v2, 0x7fff
; %bb.84:
	s_and_not1_saveexec_b32 s3, s3
; %bb.85:
	v_and_b32_e32 v2, 0xffff, v130
	v_or_b32_e32 v3, 0x10000, v130
	s_delay_alu instid0(VALU_DEP_2) | instskip(NEXT) | instid1(VALU_DEP_2)
	v_cmp_eq_u32_e32 vcc_lo, 0, v2
	v_cndmask_b32_e32 v2, v3, v130, vcc_lo
; %bb.86:
	s_or_b32 exec_lo, exec_lo, s3
	v_and_b32_e32 v3, 0x7f800000, v131
	s_delay_alu instid0(VALU_DEP_1) | instskip(SKIP_1) | instid1(SALU_CYCLE_1)
	v_cmp_ne_u32_e32 vcc_lo, 0x7f800000, v3
                                        ; implicit-def: $vgpr3
	s_and_saveexec_b32 s3, vcc_lo
	s_xor_b32 s3, exec_lo, s3
; %bb.87:
	v_bfe_u32 v3, v131, 16, 1
	s_delay_alu instid0(VALU_DEP_1)
	v_add3_u32 v3, v131, v3, 0x7fff
; %bb.88:
	s_and_not1_saveexec_b32 s3, s3
; %bb.89:
	v_and_b32_e32 v3, 0xffff, v131
	v_or_b32_e32 v4, 0x10000, v131
	s_delay_alu instid0(VALU_DEP_2) | instskip(NEXT) | instid1(VALU_DEP_2)
	v_cmp_eq_u32_e32 vcc_lo, 0, v3
	v_cndmask_b32_e32 v3, v4, v131, vcc_lo
; %bb.90:
	s_or_b32 exec_lo, exec_lo, s3
	v_and_b32_e32 v4, 0x7f800000, v132
	s_delay_alu instid0(VALU_DEP_1) | instskip(SKIP_1) | instid1(SALU_CYCLE_1)
	v_cmp_ne_u32_e32 vcc_lo, 0x7f800000, v4
                                        ; implicit-def: $vgpr4
	s_and_saveexec_b32 s3, vcc_lo
	s_xor_b32 s3, exec_lo, s3
; %bb.91:
	v_bfe_u32 v4, v132, 16, 1
	s_delay_alu instid0(VALU_DEP_1)
	v_add3_u32 v4, v132, v4, 0x7fff
; %bb.92:
	s_and_not1_saveexec_b32 s3, s3
; %bb.93:
	v_and_b32_e32 v4, 0xffff, v132
	v_or_b32_e32 v5, 0x10000, v132
	s_delay_alu instid0(VALU_DEP_2) | instskip(NEXT) | instid1(VALU_DEP_2)
	v_cmp_eq_u32_e32 vcc_lo, 0, v4
	v_cndmask_b32_e32 v4, v5, v132, vcc_lo
; %bb.94:
	s_or_b32 exec_lo, exec_lo, s3
	v_and_b32_e32 v5, 0x7f800000, v133
	s_delay_alu instid0(VALU_DEP_1) | instskip(SKIP_1) | instid1(SALU_CYCLE_1)
	v_cmp_ne_u32_e32 vcc_lo, 0x7f800000, v5
                                        ; implicit-def: $vgpr5
	s_and_saveexec_b32 s3, vcc_lo
	s_xor_b32 s3, exec_lo, s3
; %bb.95:
	v_bfe_u32 v5, v133, 16, 1
	s_delay_alu instid0(VALU_DEP_1)
	v_add3_u32 v5, v133, v5, 0x7fff
; %bb.96:
	s_and_not1_saveexec_b32 s3, s3
; %bb.97:
	v_and_b32_e32 v5, 0xffff, v133
	v_or_b32_e32 v6, 0x10000, v133
	s_delay_alu instid0(VALU_DEP_2) | instskip(NEXT) | instid1(VALU_DEP_2)
	v_cmp_eq_u32_e32 vcc_lo, 0, v5
	v_cndmask_b32_e32 v5, v6, v133, vcc_lo
; %bb.98:
	s_or_b32 exec_lo, exec_lo, s3
	v_and_b32_e32 v6, 0x7f800000, v134
	s_delay_alu instid0(VALU_DEP_1) | instskip(SKIP_1) | instid1(SALU_CYCLE_1)
	v_cmp_ne_u32_e32 vcc_lo, 0x7f800000, v6
                                        ; implicit-def: $vgpr6
	s_and_saveexec_b32 s3, vcc_lo
	s_xor_b32 s3, exec_lo, s3
; %bb.99:
	v_bfe_u32 v6, v134, 16, 1
	s_delay_alu instid0(VALU_DEP_1)
	v_add3_u32 v6, v134, v6, 0x7fff
; %bb.100:
	s_and_not1_saveexec_b32 s3, s3
; %bb.101:
	v_and_b32_e32 v6, 0xffff, v134
	v_or_b32_e32 v7, 0x10000, v134
	s_delay_alu instid0(VALU_DEP_2) | instskip(NEXT) | instid1(VALU_DEP_2)
	v_cmp_eq_u32_e32 vcc_lo, 0, v6
	v_cndmask_b32_e32 v6, v7, v134, vcc_lo
; %bb.102:
	s_or_b32 exec_lo, exec_lo, s3
	v_and_b32_e32 v7, 0x7f800000, v135
	s_delay_alu instid0(VALU_DEP_1) | instskip(SKIP_1) | instid1(SALU_CYCLE_1)
	v_cmp_ne_u32_e32 vcc_lo, 0x7f800000, v7
                                        ; implicit-def: $vgpr7
	s_and_saveexec_b32 s3, vcc_lo
	s_xor_b32 s3, exec_lo, s3
; %bb.103:
	v_bfe_u32 v7, v135, 16, 1
	s_delay_alu instid0(VALU_DEP_1)
	v_add3_u32 v7, v135, v7, 0x7fff
; %bb.104:
	s_and_not1_saveexec_b32 s3, s3
; %bb.105:
	v_and_b32_e32 v7, 0xffff, v135
	v_or_b32_e32 v8, 0x10000, v135
	s_delay_alu instid0(VALU_DEP_2) | instskip(NEXT) | instid1(VALU_DEP_2)
	v_cmp_eq_u32_e32 vcc_lo, 0, v7
	v_cndmask_b32_e32 v7, v8, v135, vcc_lo
; %bb.106:
	s_or_b32 exec_lo, exec_lo, s3
	v_and_b32_e32 v8, 0x7f800000, v136
	s_delay_alu instid0(VALU_DEP_1) | instskip(SKIP_1) | instid1(SALU_CYCLE_1)
	v_cmp_ne_u32_e32 vcc_lo, 0x7f800000, v8
                                        ; implicit-def: $vgpr8
	s_and_saveexec_b32 s3, vcc_lo
	s_xor_b32 s3, exec_lo, s3
; %bb.107:
	v_bfe_u32 v8, v136, 16, 1
	s_delay_alu instid0(VALU_DEP_1)
	v_add3_u32 v8, v136, v8, 0x7fff
                                        ; implicit-def: $vgpr129_vgpr130_vgpr131_vgpr132_vgpr133_vgpr134_vgpr135_vgpr136
; %bb.108:
	s_and_not1_saveexec_b32 s3, s3
; %bb.109:
	v_and_b32_e32 v8, 0xffff, v136
	v_or_b32_e32 v9, 0x10000, v136
	s_delay_alu instid0(VALU_DEP_2) | instskip(NEXT) | instid1(VALU_DEP_2)
	v_cmp_eq_u32_e32 vcc_lo, 0, v8
	v_cndmask_b32_e32 v8, v9, v136, vcc_lo
; %bb.110:
	s_or_b32 exec_lo, exec_lo, s3
	s_delay_alu instid0(VALU_DEP_1)
	v_perm_b32 v7, v8, v7, 0x7060302
	v_perm_b32 v6, v6, v5, 0x7060302
	;; [unrolled: 1-line block ×4, first 2 shown]
	v_lshl_or_b32 v9, v146, 4, v140
	s_barrier
	buffer_gl0_inv
	v_cmp_eq_u32_e32 vcc_lo, 1, v138
	ds_store_b128 v9, v[4:7]
	s_waitcnt lgkmcnt(0)
	s_barrier
	buffer_gl0_inv
	ds_load_b128 v[1:4], v140
	ds_load_b128 v[5:8], v140 offset:16
	v_cmp_eq_u32_e64 s4, 2, v138
	v_cmp_eq_u32_e64 s3, 1, v139
	;; [unrolled: 1-line block ×5, first 2 shown]
	s_waitcnt lgkmcnt(1)
	v_lshrrev_b32_e32 v10, 16, v1
	s_waitcnt lgkmcnt(0)
	v_lshrrev_b32_e32 v14, 16, v5
	v_lshrrev_b32_e32 v15, 16, v6
	;; [unrolled: 1-line block ×4, first 2 shown]
	v_cndmask_b32_e64 v20, v1, v10, s3
	v_cndmask_b32_e32 v19, v5, v14, vcc_lo
	v_cndmask_b32_e64 v21, v5, v14, s3
	v_lshrrev_b32_e32 v16, 16, v7
	v_cmp_eq_u32_e64 s3, 1, v137
	v_lshrrev_b32_e32 v13, 16, v4
	v_cndmask_b32_e64 v19, v19, v6, s4
	v_lshrrev_b32_e32 v17, 16, v8
	s_delay_alu instid0(VALU_DEP_4) | instskip(SKIP_1) | instid1(VALU_DEP_4)
	v_cndmask_b32_e64 v22, v1, v10, s3
	v_cndmask_b32_e64 v23, v5, v14, s3
	;; [unrolled: 1-line block ×3, first 2 shown]
	v_cndmask_b32_e32 v18, v1, v10, vcc_lo
	v_cmp_eq_u32_e32 vcc_lo, 2, v139
	v_cmp_eq_u32_e64 s3, 2, v141
	v_cndmask_b32_e64 v22, v22, v2, s7
	v_cndmask_b32_e32 v20, v20, v2, vcc_lo
	v_cndmask_b32_e32 v21, v21, v6, vcc_lo
	v_cmp_eq_u32_e32 vcc_lo, 4, v138
	v_cndmask_b32_e32 v19, v19, v7, vcc_lo
	v_cndmask_b32_e64 v18, v18, v2, s4
	v_cmp_eq_u32_e64 s4, 3, v139
	s_delay_alu instid0(VALU_DEP_2) | instskip(NEXT) | instid1(VALU_DEP_2)
	v_cndmask_b32_e64 v18, v18, v11, s5
	v_cndmask_b32_e64 v21, v21, v15, s4
	v_cmp_eq_u32_e64 s5, 5, v138
	s_delay_alu instid0(VALU_DEP_3) | instskip(SKIP_1) | instid1(VALU_DEP_3)
	v_cndmask_b32_e32 v18, v18, v3, vcc_lo
	v_cmp_eq_u32_e32 vcc_lo, 4, v139
	v_cndmask_b32_e64 v19, v19, v16, s5
	s_delay_alu instid0(VALU_DEP_3) | instskip(SKIP_4) | instid1(VALU_DEP_3)
	v_cndmask_b32_e64 v18, v18, v12, s5
	v_cndmask_b32_e32 v21, v21, v7, vcc_lo
	v_cndmask_b32_e64 v20, v20, v11, s4
	v_cmp_eq_u32_e64 s4, 5, v139
	v_cmp_eq_u32_e64 s5, 6, v138
	v_cndmask_b32_e32 v20, v20, v3, vcc_lo
	s_delay_alu instid0(VALU_DEP_3) | instskip(SKIP_1) | instid1(VALU_DEP_4)
	v_cndmask_b32_e64 v21, v21, v16, s4
	v_cmp_eq_u32_e32 vcc_lo, 6, v139
	v_cndmask_b32_e64 v18, v18, v4, s5
	v_cndmask_b32_e64 v19, v19, v8, s5
	;; [unrolled: 1-line block ×3, first 2 shown]
	v_cmp_eq_u32_e64 s4, 1, v141
	v_cmp_eq_u32_e64 s5, 7, v138
	s_delay_alu instid0(VALU_DEP_3) | instskip(NEXT) | instid1(VALU_DEP_3)
	v_cndmask_b32_e32 v20, v20, v4, vcc_lo
	v_cndmask_b32_e64 v1, v1, v10, s4
	v_cndmask_b32_e64 v5, v5, v14, s4
	v_cmp_eq_u32_e64 s4, 3, v137
	v_cndmask_b32_e64 v14, v23, v6, s7
	v_cmp_eq_u32_e64 s7, 3, v141
	v_cndmask_b32_e64 v1, v1, v2, s3
	v_cndmask_b32_e64 v2, v5, v6, s3
	;; [unrolled: 1-line block ×3, first 2 shown]
	v_cmp_eq_u32_e64 s3, 4, v137
	v_cndmask_b32_e64 v6, v14, v15, s4
	v_cndmask_b32_e64 v1, v1, v11, s7
	v_cmp_eq_u32_e64 s4, 4, v141
	v_cndmask_b32_e64 v2, v2, v15, s7
	v_cndmask_b32_e64 v5, v10, v3, s3
	;; [unrolled: 3-line block ×3, first 2 shown]
	v_cndmask_b32_e64 v2, v2, v7, s4
	v_cmp_eq_u32_e64 s3, 5, v141
	v_cndmask_b32_e64 v5, v5, v12, s7
	v_cmp_eq_u32_e64 s4, 6, v137
	;; [unrolled: 2-line block ×3, first 2 shown]
	v_cndmask_b32_e64 v1, v1, v12, s3
	v_cndmask_b32_e64 v2, v2, v16, s3
	;; [unrolled: 1-line block ×4, first 2 shown]
	v_cmp_eq_u32_e64 s3, 7, v141
	v_cndmask_b32_e64 v1, v1, v4, s7
	v_cndmask_b32_e64 v2, v2, v8, s7
	v_cmp_eq_u32_e64 s4, 7, v137
	v_cndmask_b32_e32 v4, v21, v8, vcc_lo
	v_cndmask_b32_e64 v18, v18, v13, s5
	v_cndmask_b32_e64 v20, v20, v13, s6
	;; [unrolled: 1-line block ×8, first 2 shown]
	v_cmp_gt_u32_e32 vcc_lo, 32, v0
	v_perm_b32 v4, v2, v1, 0x5040100
	v_perm_b32 v3, v3, v5, 0x5040100
	v_perm_b32 v2, v6, v20, 0x5040100
	v_perm_b32 v1, v7, v18, 0x5040100
	s_and_b32 s2, vcc_lo, s2
	ds_store_b128 v9, v[1:4]
	s_waitcnt lgkmcnt(0)
	s_barrier
	buffer_gl0_inv
	s_and_saveexec_b32 s3, s2
	s_cbranch_execz .LBB457_2
; %bb.111:
	s_load_b64 s[0:1], s[0:1], 0x68
	v_lshlrev_b32_e32 v0, 10, v0
	s_lshl_b32 s4, s34, 6
	v_or_b32_e32 v23, s31, v146
	s_mul_i32 s2, s4, s30
	v_lshlrev_b32_e32 v1, 4, v147
	v_lshlrev_b32_e32 v2, 6, v146
	s_mul_i32 s2, s2, s8
	v_and_b32_e32 v0, 0x3800, v0
	v_mul_lo_u32 v8, v23, s4
	s_ashr_i32 s3, s2, 31
	v_or_b32_e32 v3, 2, v23
	s_lshl_b64 s[2:3], s[2:3], 1
	v_or3_b32 v27, v0, v1, v2
	v_or_b32_e32 v11, 4, v23
	v_or_b32_e32 v18, 6, v23
	v_mul_lo_u32 v10, v3, s4
	v_ashrrev_i32_e32 v9, 31, v8
	ds_load_b128 v[0:3], v27
	ds_load_b128 v[4:7], v27 offset:128
	v_mul_lo_u32 v12, v11, s4
	s_waitcnt lgkmcnt(0)
	s_add_u32 s2, s0, s2
	s_addc_u32 s3, s1, s3
	s_lshl_b32 s0, s14, 6
	v_lshlrev_b64 v[8:9], 1, v[8:9]
	s_ashr_i32 s1, s0, 31
	v_ashrrev_i32_e32 v11, 31, v10
	s_lshl_b64 s[0:1], s[0:1], 1
	v_ashrrev_i32_e32 v13, 31, v12
	s_add_u32 s0, s2, s0
	s_addc_u32 s1, s3, s1
	v_add_co_u32 v30, s0, s0, v145
	s_delay_alu instid0(VALU_DEP_1) | instskip(SKIP_1) | instid1(VALU_DEP_3)
	v_add_co_ci_u32_e64 v31, null, s1, 0, s0
	v_lshlrev_b64 v[16:17], 1, v[10:11]
	v_add_co_u32 v14, vcc_lo, v30, v8
	s_delay_alu instid0(VALU_DEP_3)
	v_add_co_ci_u32_e32 v15, vcc_lo, v31, v9, vcc_lo
	ds_load_b128 v[8:11], v27 offset:256
	v_mul_lo_u32 v18, v18, s4
	v_or_b32_e32 v19, 8, v23
	v_add_co_u32 v16, vcc_lo, v30, v16
	global_store_b128 v[14:15], v[0:3], off
	v_lshlrev_b64 v[0:1], 1, v[12:13]
	v_add_co_ci_u32_e32 v17, vcc_lo, v31, v17, vcc_lo
	v_mul_lo_u32 v12, v19, s4
	v_ashrrev_i32_e32 v19, 31, v18
	v_or_b32_e32 v14, 10, v23
	global_store_b128 v[16:17], v[4:7], off
	v_add_co_u32 v4, vcc_lo, v30, v0
	v_add_co_ci_u32_e32 v5, vcc_lo, v31, v1, vcc_lo
	ds_load_b128 v[0:3], v27 offset:384
	v_ashrrev_i32_e32 v13, 31, v12
	v_lshlrev_b64 v[6:7], 1, v[18:19]
	v_mul_lo_u32 v14, v14, s4
	s_waitcnt lgkmcnt(1)
	global_store_b128 v[4:5], v[8:11], off
	v_or_b32_e32 v8, 12, v23
	v_lshlrev_b64 v[4:5], 1, v[12:13]
	v_add_co_u32 v20, vcc_lo, v30, v6
	v_or_b32_e32 v6, 14, v23
	v_ashrrev_i32_e32 v15, 31, v14
	v_mul_lo_u32 v22, v8, s4
	v_add_co_ci_u32_e32 v21, vcc_lo, v31, v7, vcc_lo
	v_add_co_u32 v24, vcc_lo, v30, v4
	v_mul_lo_u32 v26, v6, s4
	v_add_co_ci_u32_e32 v25, vcc_lo, v31, v5, vcc_lo
	v_lshlrev_b64 v[28:29], 1, v[14:15]
	ds_load_b128 v[4:7], v27 offset:512
	ds_load_b128 v[8:11], v27 offset:640
	;; [unrolled: 1-line block ×4, first 2 shown]
	v_ashrrev_i32_e32 v23, 31, v22
	v_ashrrev_i32_e32 v27, 31, v26
	v_add_co_u32 v28, vcc_lo, v30, v28
	s_delay_alu instid0(VALU_DEP_3) | instskip(SKIP_1) | instid1(VALU_DEP_4)
	v_lshlrev_b64 v[22:23], 1, v[22:23]
	v_add_co_ci_u32_e32 v29, vcc_lo, v31, v29, vcc_lo
	v_lshlrev_b64 v[26:27], 1, v[26:27]
	s_delay_alu instid0(VALU_DEP_3) | instskip(NEXT) | instid1(VALU_DEP_4)
	v_add_co_u32 v22, vcc_lo, v30, v22
	v_add_co_ci_u32_e32 v23, vcc_lo, v31, v23, vcc_lo
	s_delay_alu instid0(VALU_DEP_3) | instskip(NEXT) | instid1(VALU_DEP_4)
	v_add_co_u32 v26, vcc_lo, v30, v26
	v_add_co_ci_u32_e32 v27, vcc_lo, v31, v27, vcc_lo
	s_waitcnt lgkmcnt(4)
	global_store_b128 v[20:21], v[0:3], off
	s_waitcnt lgkmcnt(3)
	global_store_b128 v[24:25], v[4:7], off
	;; [unrolled: 2-line block ×5, first 2 shown]
	s_nop 0
	s_sendmsg sendmsg(MSG_DEALLOC_VGPRS)
	s_endpgm
	.section	.rodata,"a",@progbits
	.p2align	6, 0x0
	.amdhsa_kernel _Z39paged_attention_ll4mi_QKV_mfma16_kernelI14__hip_bfloat16S0_LN4vllm18Fp8KVCacheDataTypeE0ES0_Li16ELi64ELi256ELb1ELi16EL8MFMAType0EEvPKT_PKT0_S9_ifPKiSB_SB_iPKfiiiPfSE_PS4_PT2_iSD_SD_
		.amdhsa_group_segment_fixed_size 17472
		.amdhsa_private_segment_fixed_size 0
		.amdhsa_kernarg_size 400
		.amdhsa_user_sgpr_count 13
		.amdhsa_user_sgpr_dispatch_ptr 0
		.amdhsa_user_sgpr_queue_ptr 0
		.amdhsa_user_sgpr_kernarg_segment_ptr 1
		.amdhsa_user_sgpr_dispatch_id 0
		.amdhsa_user_sgpr_private_segment_size 0
		.amdhsa_wavefront_size32 1
		.amdhsa_uses_dynamic_stack 0
		.amdhsa_enable_private_segment 0
		.amdhsa_system_sgpr_workgroup_id_x 1
		.amdhsa_system_sgpr_workgroup_id_y 1
		.amdhsa_system_sgpr_workgroup_id_z 1
		.amdhsa_system_sgpr_workgroup_info 0
		.amdhsa_system_vgpr_workitem_id 0
		.amdhsa_next_free_vgpr 198
		.amdhsa_next_free_sgpr 52
		.amdhsa_reserve_vcc 1
		.amdhsa_float_round_mode_32 0
		.amdhsa_float_round_mode_16_64 0
		.amdhsa_float_denorm_mode_32 3
		.amdhsa_float_denorm_mode_16_64 3
		.amdhsa_dx10_clamp 1
		.amdhsa_ieee_mode 1
		.amdhsa_fp16_overflow 0
		.amdhsa_workgroup_processor_mode 1
		.amdhsa_memory_ordered 1
		.amdhsa_forward_progress 0
		.amdhsa_shared_vgpr_count 0
		.amdhsa_exception_fp_ieee_invalid_op 0
		.amdhsa_exception_fp_denorm_src 0
		.amdhsa_exception_fp_ieee_div_zero 0
		.amdhsa_exception_fp_ieee_overflow 0
		.amdhsa_exception_fp_ieee_underflow 0
		.amdhsa_exception_fp_ieee_inexact 0
		.amdhsa_exception_int_div_zero 0
	.end_amdhsa_kernel
	.section	.text._Z39paged_attention_ll4mi_QKV_mfma16_kernelI14__hip_bfloat16S0_LN4vllm18Fp8KVCacheDataTypeE0ES0_Li16ELi64ELi256ELb1ELi16EL8MFMAType0EEvPKT_PKT0_S9_ifPKiSB_SB_iPKfiiiPfSE_PS4_PT2_iSD_SD_,"axG",@progbits,_Z39paged_attention_ll4mi_QKV_mfma16_kernelI14__hip_bfloat16S0_LN4vllm18Fp8KVCacheDataTypeE0ES0_Li16ELi64ELi256ELb1ELi16EL8MFMAType0EEvPKT_PKT0_S9_ifPKiSB_SB_iPKfiiiPfSE_PS4_PT2_iSD_SD_,comdat
.Lfunc_end457:
	.size	_Z39paged_attention_ll4mi_QKV_mfma16_kernelI14__hip_bfloat16S0_LN4vllm18Fp8KVCacheDataTypeE0ES0_Li16ELi64ELi256ELb1ELi16EL8MFMAType0EEvPKT_PKT0_S9_ifPKiSB_SB_iPKfiiiPfSE_PS4_PT2_iSD_SD_, .Lfunc_end457-_Z39paged_attention_ll4mi_QKV_mfma16_kernelI14__hip_bfloat16S0_LN4vllm18Fp8KVCacheDataTypeE0ES0_Li16ELi64ELi256ELb1ELi16EL8MFMAType0EEvPKT_PKT0_S9_ifPKiSB_SB_iPKfiiiPfSE_PS4_PT2_iSD_SD_
                                        ; -- End function
	.section	.AMDGPU.csdata,"",@progbits
; Kernel info:
; codeLenInByte = 10196
; NumSgprs: 54
; NumVgprs: 198
; ScratchSize: 0
; MemoryBound: 0
; FloatMode: 240
; IeeeMode: 1
; LDSByteSize: 17472 bytes/workgroup (compile time only)
; SGPRBlocks: 6
; VGPRBlocks: 24
; NumSGPRsForWavesPerEU: 54
; NumVGPRsForWavesPerEU: 198
; Occupancy: 7
; WaveLimiterHint : 1
; COMPUTE_PGM_RSRC2:SCRATCH_EN: 0
; COMPUTE_PGM_RSRC2:USER_SGPR: 13
; COMPUTE_PGM_RSRC2:TRAP_HANDLER: 0
; COMPUTE_PGM_RSRC2:TGID_X_EN: 1
; COMPUTE_PGM_RSRC2:TGID_Y_EN: 1
; COMPUTE_PGM_RSRC2:TGID_Z_EN: 1
; COMPUTE_PGM_RSRC2:TIDIG_COMP_CNT: 0
	.section	.text._Z35paged_attention_ll4mi_reduce_kernelI14__hip_bfloat16S0_Li64ELi64ELi256ELi1EEvPT0_PKfS4_PKT_PKiS9_iS4_,"axG",@progbits,_Z35paged_attention_ll4mi_reduce_kernelI14__hip_bfloat16S0_Li64ELi64ELi256ELi1EEvPT0_PKfS4_PKT_PKiS9_iS4_,comdat
	.protected	_Z35paged_attention_ll4mi_reduce_kernelI14__hip_bfloat16S0_Li64ELi64ELi256ELi1EEvPT0_PKfS4_PKT_PKiS9_iS4_ ; -- Begin function _Z35paged_attention_ll4mi_reduce_kernelI14__hip_bfloat16S0_Li64ELi64ELi256ELi1EEvPT0_PKfS4_PKT_PKiS9_iS4_
	.globl	_Z35paged_attention_ll4mi_reduce_kernelI14__hip_bfloat16S0_Li64ELi64ELi256ELi1EEvPT0_PKfS4_PKT_PKiS9_iS4_
	.p2align	8
	.type	_Z35paged_attention_ll4mi_reduce_kernelI14__hip_bfloat16S0_Li64ELi64ELi256ELi1EEvPT0_PKfS4_PKT_PKiS9_iS4_,@function
_Z35paged_attention_ll4mi_reduce_kernelI14__hip_bfloat16S0_Li64ELi64ELi256ELi1EEvPT0_PKfS4_PKT_PKiS9_iS4_: ; @_Z35paged_attention_ll4mi_reduce_kernelI14__hip_bfloat16S0_Li64ELi64ELi256ELi1EEvPT0_PKfS4_PKT_PKiS9_iS4_
; %bb.0:
	s_load_b64 s[16:17], s[0:1], 0x28
	s_mov_b32 s12, s15
	s_waitcnt lgkmcnt(0)
	s_cmp_lg_u64 s[16:17], 0
	s_cselect_b32 s15, -1, 0
	s_delay_alu instid0(SALU_CYCLE_1)
	s_and_b32 vcc_lo, exec_lo, s15
	s_cbranch_vccz .LBB458_20
; %bb.1:
	s_add_i32 s2, s12, 1
	s_mov_b32 s3, 0
	s_delay_alu instid0(SALU_CYCLE_1) | instskip(SKIP_4) | instid1(SALU_CYCLE_1)
	s_lshl_b64 s[4:5], s[2:3], 2
	s_mov_b32 s13, s3
	s_add_u32 s4, s16, s4
	s_addc_u32 s5, s17, s5
	s_lshl_b64 s[6:7], s[12:13], 2
	s_add_u32 s6, s16, s6
	s_addc_u32 s7, s17, s7
	s_clause 0x1
	s_load_b32 s2, s[4:5], 0x0
	s_load_b32 s4, s[6:7], 0x0
	s_waitcnt lgkmcnt(0)
	s_sub_i32 s2, s2, s4
	s_delay_alu instid0(SALU_CYCLE_1)
	s_cmp_eq_u32 s2, 1
	s_cselect_b32 s2, -1, 0
	s_cbranch_execnz .LBB458_3
.LBB458_2:
	s_mov_b32 s13, 0
	s_mov_b32 s2, -1
.LBB458_3:
	s_delay_alu instid0(SALU_CYCLE_1)
	s_and_not1_b32 vcc_lo, exec_lo, s2
	s_cbranch_vccz .LBB458_5
; %bb.4:
	s_endpgm
.LBB458_5:
	s_clause 0x1
	s_load_b128 s[4:7], s[0:1], 0x18
	s_load_b32 s8, s[0:1], 0x30
	s_lshl_b64 s[18:19], s[12:13], 2
	s_waitcnt lgkmcnt(0)
	s_add_u32 s2, s6, s18
	s_addc_u32 s3, s7, s19
	s_mov_b32 s7, exec_lo
	s_load_b32 s23, s[2:3], 0x0
	s_load_b32 s22, s[0:1], 0x40
	s_waitcnt lgkmcnt(0)
	s_add_i32 s3, s23, 0xff
	s_delay_alu instid0(SALU_CYCLE_1) | instskip(NEXT) | instid1(SALU_CYCLE_1)
	s_ashr_i32 s2, s3, 31
	s_lshr_b32 s6, s2, 24
	s_mul_i32 s2, s12, s8
	s_add_i32 s3, s3, s6
	s_mul_i32 s6, s14, s8
	v_cmpx_lt_u32_e32 31, v0
	s_xor_b32 s7, exec_lo, s7
	s_delay_alu instid0(SALU_CYCLE_1)
	s_or_saveexec_b32 s24, s7
	v_mov_b32_e32 v1, s6
	s_ashr_i32 s3, s3, 8
	s_mul_i32 s20, s2, s22
	s_xor_b32 exec_lo, exec_lo, s24
	s_cbranch_execz .LBB458_9
; %bb.6:
	s_load_b128 s[8:11], s[0:1], 0x8
	s_mov_b32 s21, 0
	v_cmp_gt_i32_e32 vcc_lo, s3, v0
	s_lshl_b64 s[26:27], s[20:21], 2
	s_mov_b32 s7, s21
	s_waitcnt lgkmcnt(0)
	s_add_u32 s2, s10, s26
	s_addc_u32 s21, s11, s27
	s_lshl_b64 s[10:11], s[6:7], 2
	s_delay_alu instid0(SALU_CYCLE_1) | instskip(SKIP_2) | instid1(SALU_CYCLE_1)
	s_add_u32 s2, s2, s10
	s_addc_u32 s7, s21, s11
	s_add_i32 s21, s3, -1
	v_cndmask_b32_e32 v1, s21, v0, vcc_lo
	s_delay_alu instid0(VALU_DEP_1) | instskip(NEXT) | instid1(VALU_DEP_1)
	v_ashrrev_i32_e32 v2, 31, v1
	v_lshlrev_b64 v[1:2], 2, v[1:2]
	s_delay_alu instid0(VALU_DEP_1) | instskip(NEXT) | instid1(VALU_DEP_1)
	v_add_co_u32 v3, s2, s2, v1
	v_add_co_ci_u32_e64 v4, s2, s7, v2, s2
	s_add_u32 s2, s8, s26
	s_addc_u32 s7, s9, s27
	s_add_u32 s2, s2, s10
	global_load_b32 v3, v[3:4], off
	s_addc_u32 s7, s7, s11
	v_add_co_u32 v1, s2, s2, v1
	s_delay_alu instid0(VALU_DEP_1) | instskip(SKIP_2) | instid1(VALU_DEP_1)
	v_add_co_ci_u32_e64 v2, s2, s7, v2, s2
	global_load_b32 v1, v[1:2], off
	v_mbcnt_lo_u32_b32 v2, -1, 0
	v_xor_b32_e32 v4, 16, v2
	v_xor_b32_e32 v6, 8, v2
	v_xor_b32_e32 v8, 4, v2
	v_xor_b32_e32 v9, 2, v2
	v_xor_b32_e32 v10, 1, v2
	v_cmp_gt_i32_e64 s2, 32, v4
	s_delay_alu instid0(VALU_DEP_1) | instskip(SKIP_1) | instid1(VALU_DEP_2)
	v_cndmask_b32_e64 v4, v2, v4, s2
	v_cmp_gt_i32_e64 s2, 32, v6
	v_lshlrev_b32_e32 v4, 2, v4
	s_delay_alu instid0(VALU_DEP_2) | instskip(SKIP_1) | instid1(VALU_DEP_2)
	v_cndmask_b32_e64 v6, v2, v6, s2
	v_cmp_gt_i32_e64 s2, 32, v8
	v_lshlrev_b32_e32 v6, 2, v6
	s_delay_alu instid0(VALU_DEP_2) | instskip(SKIP_1) | instid1(VALU_DEP_2)
	;; [unrolled: 4-line block ×3, first 2 shown]
	v_cndmask_b32_e64 v9, v2, v9, s2
	v_cmp_gt_i32_e64 s2, 32, v10
	v_lshlrev_b32_e32 v9, 2, v9
	s_delay_alu instid0(VALU_DEP_2) | instskip(SKIP_1) | instid1(VALU_DEP_1)
	v_cndmask_b32_e64 v2, v2, v10, s2
	s_waitcnt vmcnt(1)
	v_dual_max_f32 v7, v3, v3 :: v_dual_lshlrev_b32 v2, 2, v2
	ds_bpermute_b32 v5, v4, v3
	s_waitcnt lgkmcnt(0)
	v_max_f32_e32 v5, v5, v5
	s_delay_alu instid0(VALU_DEP_1) | instskip(SKIP_3) | instid1(VALU_DEP_1)
	v_max_f32_e32 v5, v7, v5
	ds_bpermute_b32 v7, v6, v5
	s_waitcnt lgkmcnt(0)
	v_max_f32_e32 v7, v7, v7
	v_max_f32_e32 v5, v5, v7
	ds_bpermute_b32 v7, v8, v5
	s_waitcnt lgkmcnt(0)
	v_max_f32_e32 v7, v7, v7
	s_delay_alu instid0(VALU_DEP_1) | instskip(SKIP_3) | instid1(VALU_DEP_1)
	v_max_f32_e32 v5, v5, v7
	ds_bpermute_b32 v7, v9, v5
	s_waitcnt lgkmcnt(0)
	v_max_f32_e32 v7, v7, v7
	v_max_f32_e32 v5, v5, v7
	ds_bpermute_b32 v7, v2, v5
	s_waitcnt lgkmcnt(0)
	v_max_f32_e32 v7, v7, v7
	s_delay_alu instid0(VALU_DEP_1) | instskip(NEXT) | instid1(VALU_DEP_1)
	v_max_f32_e32 v5, v5, v7
	v_sub_f32_e32 v3, v3, v5
	s_delay_alu instid0(VALU_DEP_1) | instskip(SKIP_1) | instid1(VALU_DEP_2)
	v_mul_f32_e32 v5, 0x3fb8aa3b, v3
	v_cmp_ngt_f32_e64 s2, 0xc2ce8ed0, v3
	v_fma_f32 v7, 0x3fb8aa3b, v3, -v5
	v_rndne_f32_e32 v10, v5
	s_delay_alu instid0(VALU_DEP_2) | instskip(NEXT) | instid1(VALU_DEP_2)
	v_fmamk_f32 v7, v3, 0x32a5705f, v7
	v_sub_f32_e32 v5, v5, v10
	s_delay_alu instid0(VALU_DEP_1) | instskip(SKIP_1) | instid1(VALU_DEP_2)
	v_add_f32_e32 v5, v5, v7
	v_cvt_i32_f32_e32 v7, v10
	v_exp_f32_e32 v5, v5
	s_waitcnt_depctr 0xfff
	v_ldexp_f32 v5, v5, v7
	s_delay_alu instid0(VALU_DEP_1) | instskip(SKIP_1) | instid1(VALU_DEP_1)
	v_cndmask_b32_e64 v5, 0, v5, s2
	v_cmp_nlt_f32_e64 s2, 0x42b17218, v3
	v_cndmask_b32_e64 v3, 0x7f800000, v5, s2
	s_mov_b32 s2, exec_lo
	s_delay_alu instid0(VALU_DEP_1) | instskip(SKIP_1) | instid1(VALU_DEP_1)
	v_cndmask_b32_e32 v3, 0, v3, vcc_lo
	s_waitcnt vmcnt(0)
	v_mul_f32_e32 v3, v3, v1
	ds_bpermute_b32 v1, v4, v3
	s_waitcnt lgkmcnt(0)
	v_add_f32_e32 v1, v3, v1
	ds_bpermute_b32 v4, v6, v1
	s_waitcnt lgkmcnt(0)
	v_add_f32_e32 v1, v1, v4
	;; [unrolled: 3-line block ×4, first 2 shown]
	v_lshlrev_b32_e32 v4, 2, v0
	ds_bpermute_b32 v2, v2, v1
	ds_store_b32 v4, v3
	v_cmpx_eq_u32_e32 0, v0
	s_cbranch_execz .LBB458_8
; %bb.7:
	s_waitcnt lgkmcnt(1)
	v_dual_add_f32 v1, v1, v2 :: v_dual_mov_b32 v2, 0
	ds_store_b32 v2, v1 offset:128
.LBB458_8:
	s_or_b32 exec_lo, exec_lo, s2
	v_mov_b32_e32 v1, s6
.LBB458_9:
	s_or_b32 exec_lo, exec_lo, s24
	s_lshl_b32 s6, s20, 6
	s_mov_b32 s7, 0
	s_waitcnt lgkmcnt(1)
	v_dual_mov_b32 v2, 0 :: v_dual_lshlrev_b32 v1, 6, v1
	s_lshl_b64 s[6:7], s[6:7], 1
	v_lshlrev_b32_e32 v3, 1, v0
	s_add_u32 s9, s4, s6
	s_addc_u32 s33, s5, s7
	s_lshl_b32 s2, s3, 6
	v_lshlrev_b64 v[4:5], 1, v[1:2]
	s_sub_i32 s8, s2, 64
	s_cmp_lt_i32 s23, 1
	v_dual_mov_b32 v33, 0 :: v_dual_mov_b32 v34, 0
	s_cselect_b32 s2, s8, 0
	s_delay_alu instid0(VALU_DEP_2)
	v_add_co_u32 v0, vcc_lo, s9, v4
	s_ashr_i32 s3, s2, 31
	v_add_co_ci_u32_e32 v1, vcc_lo, s33, v5, vcc_lo
	s_lshl_b64 s[2:3], s[2:3], 1
	s_cmpk_lt_i32 s23, 0x101
	v_add_co_u32 v0, vcc_lo, v0, v3
	s_cselect_b32 s4, s8, 64
	v_add_co_ci_u32_e32 v1, vcc_lo, 0, v1, vcc_lo
	s_ashr_i32 s5, s4, 31
	s_delay_alu instid0(VALU_DEP_2)
	v_add_co_u32 v4, vcc_lo, v0, s2
	s_lshl_b64 s[4:5], s[4:5], 1
	s_cmpk_lt_i32 s23, 0x201
	v_add_co_ci_u32_e32 v5, vcc_lo, s3, v1, vcc_lo
	s_cselect_b32 s6, s8, 0x80
	v_add_co_u32 v6, vcc_lo, v0, s4
	s_ashr_i32 s7, s6, 31
	v_add_co_ci_u32_e32 v7, vcc_lo, s5, v1, vcc_lo
	s_lshl_b64 s[6:7], s[6:7], 1
	s_cmpk_lt_i32 s23, 0x301
	v_add_co_u32 v8, vcc_lo, v0, s6
	s_cselect_b32 s10, s8, 0xc0
	v_add_co_ci_u32_e32 v9, vcc_lo, s7, v1, vcc_lo
	s_ashr_i32 s11, s10, 31
	v_mov_b32_e32 v35, 0
	s_lshl_b64 s[10:11], s[10:11], 1
	s_cmpk_lt_i32 s23, 0x401
	v_add_co_u32 v14, vcc_lo, v0, s10
	s_cselect_b32 s20, s8, 0x100
	v_add_co_ci_u32_e32 v15, vcc_lo, s11, v1, vcc_lo
	s_ashr_i32 s21, s20, 31
	v_mov_b32_e32 v32, 0
	s_lshl_b64 s[20:21], s[20:21], 1
	s_cmpk_lt_i32 s23, 0x501
	v_add_co_u32 v16, vcc_lo, v0, s20
	s_cselect_b32 s24, s8, 0x140
	v_add_co_ci_u32_e32 v17, vcc_lo, s21, v1, vcc_lo
	s_ashr_i32 s25, s24, 31
	s_delay_alu instid0(SALU_CYCLE_1)
	s_lshl_b64 s[24:25], s[24:25], 1
	s_cmpk_lt_i32 s23, 0x601
	v_add_co_u32 v18, vcc_lo, v0, s24
	s_cselect_b32 s26, s8, 0x180
	v_add_co_ci_u32_e32 v19, vcc_lo, s25, v1, vcc_lo
	s_ashr_i32 s27, s26, 31
	s_delay_alu instid0(SALU_CYCLE_1)
	;; [unrolled: 7-line block ×3, first 2 shown]
	s_lshl_b64 s[28:29], s[28:29], 1
	s_cmpk_lt_i32 s23, 0x801
	v_add_co_u32 v22, vcc_lo, v0, s28
	s_cselect_b32 s30, s8, 0x200
	v_add_co_ci_u32_e32 v23, vcc_lo, s29, v1, vcc_lo
	s_ashr_i32 s31, s30, 31
	s_clause 0x7
	global_load_u16 v13, v[4:5], off
	global_load_u16 v11, v[6:7], off
	;; [unrolled: 1-line block ×8, first 2 shown]
	s_lshl_b64 s[30:31], s[30:31], 1
	s_cmpk_lt_i32 s23, 0x901
	v_add_co_u32 v14, vcc_lo, v0, s30
	s_cselect_b32 s34, s8, 0x240
	v_add_co_ci_u32_e32 v15, vcc_lo, s31, v1, vcc_lo
	s_ashr_i32 s35, s34, 31
	s_delay_alu instid0(SALU_CYCLE_1)
	s_lshl_b64 s[34:35], s[34:35], 1
	s_cmpk_lt_i32 s23, 0xa01
	v_add_co_u32 v16, vcc_lo, v0, s34
	s_cselect_b32 s36, s8, 0x280
	v_add_co_ci_u32_e32 v17, vcc_lo, s35, v1, vcc_lo
	s_ashr_i32 s37, s36, 31
	s_delay_alu instid0(SALU_CYCLE_1)
	;; [unrolled: 7-line block ×7, first 2 shown]
	s_lshl_b64 s[2:3], s[4:5], 1
	s_cmpk_gt_i32 s23, 0x1000
	v_add_co_u32 v30, vcc_lo, v0, s2
	v_add_co_ci_u32_e32 v31, vcc_lo, s3, v1, vcc_lo
	s_clause 0x7
	global_load_u16 v19, v[14:15], off
	global_load_u16 v18, v[16:17], off
	;; [unrolled: 1-line block ×8, first 2 shown]
	v_dual_mov_b32 v20, 0 :: v_dual_mov_b32 v21, 0
	v_dual_mov_b32 v22, 0 :: v_dual_mov_b32 v23, 0
	v_dual_mov_b32 v24, 0 :: v_dual_mov_b32 v25, 0
	v_dual_mov_b32 v26, 0 :: v_dual_mov_b32 v27, 0
	v_dual_mov_b32 v28, 0 :: v_dual_mov_b32 v29, 0
	v_dual_mov_b32 v30, 0 :: v_dual_mov_b32 v31, 0
	s_cselect_b32 s2, -1, 0
	s_cmpk_lt_i32 s23, 0x1001
	s_waitcnt vmcnt(0) lgkmcnt(0)
	s_barrier
	buffer_gl0_inv
	s_cbranch_scc1 .LBB458_11
; %bb.10:
	s_cmpk_lt_u32 s23, 0x1101
	s_cselect_b32 s4, s8, 0x440
	s_delay_alu instid0(SALU_CYCLE_1) | instskip(NEXT) | instid1(SALU_CYCLE_1)
	s_ashr_i32 s5, s4, 31
	s_lshl_b64 s[4:5], s[4:5], 1
	s_cmpk_lt_u32 s23, 0x1201
	v_add_co_u32 v20, vcc_lo, v0, s4
	s_cselect_b32 s6, s8, 0x480
	v_add_co_ci_u32_e32 v21, vcc_lo, s5, v1, vcc_lo
	s_ashr_i32 s7, s6, 31
	s_delay_alu instid0(SALU_CYCLE_1)
	s_lshl_b64 s[6:7], s[6:7], 1
	s_cmpk_lt_u32 s23, 0x1301
	v_add_co_u32 v22, vcc_lo, v0, s6
	s_cselect_b32 s10, s8, 0x4c0
	v_add_co_ci_u32_e32 v23, vcc_lo, s7, v1, vcc_lo
	s_ashr_i32 s11, s10, 31
	s_delay_alu instid0(SALU_CYCLE_1)
	;; [unrolled: 7-line block ×6, first 2 shown]
	s_lshl_b64 s[28:29], s[28:29], 1
	s_cmpk_lt_u32 s23, 0x1801
	v_add_co_u32 v32, vcc_lo, v0, s28
	s_cselect_b32 s30, s8, 0x600
	v_add_co_ci_u32_e32 v33, vcc_lo, s29, v1, vcc_lo
	s_ashr_i32 s31, s30, 31
	s_clause 0x7
	global_load_u16 v20, v[20:21], off
	global_load_u16 v21, v[22:23], off
	;; [unrolled: 1-line block ×7, first 2 shown]
	global_load_u16 v27, v[0:1], off offset:2048
	s_lshl_b64 s[30:31], s[30:31], 1
	s_cmpk_lt_u32 s23, 0x1901
	v_add_co_u32 v34, vcc_lo, v0, s30
	s_cselect_b32 s34, s8, 0x640
	v_add_co_ci_u32_e32 v35, vcc_lo, s31, v1, vcc_lo
	s_ashr_i32 s35, s34, 31
	s_delay_alu instid0(SALU_CYCLE_1)
	s_lshl_b64 s[34:35], s[34:35], 1
	s_cmpk_lt_u32 s23, 0x1a01
	v_add_co_u32 v36, vcc_lo, v0, s34
	s_cselect_b32 s36, s8, 0x680
	v_add_co_ci_u32_e32 v37, vcc_lo, s35, v1, vcc_lo
	s_ashr_i32 s37, s36, 31
	s_delay_alu instid0(SALU_CYCLE_1)
	;; [unrolled: 7-line block ×6, first 2 shown]
	s_lshl_b64 s[4:5], s[20:21], 1
	s_cmpk_lt_u32 s23, 0x1f01
	v_add_co_u32 v46, vcc_lo, v0, s4
	s_cselect_b32 s6, s8, 0x7c0
	v_add_co_ci_u32_e32 v47, vcc_lo, s5, v1, vcc_lo
	s_ashr_i32 s7, s6, 31
	s_delay_alu instid0(SALU_CYCLE_1) | instskip(NEXT) | instid1(SALU_CYCLE_1)
	s_lshl_b64 s[4:5], s[6:7], 1
	v_add_co_u32 v0, vcc_lo, v0, s4
	v_add_co_ci_u32_e32 v1, vcc_lo, s5, v1, vcc_lo
	s_clause 0x7
	global_load_u16 v48, v[34:35], off
	global_load_u16 v36, v[36:37], off
	;; [unrolled: 1-line block ×8, first 2 shown]
	s_waitcnt vmcnt(15)
	v_lshlrev_b32_e32 v34, 16, v20
	s_waitcnt vmcnt(14)
	v_lshlrev_b32_e32 v33, 16, v21
	;; [unrolled: 2-line block ×16, first 2 shown]
.LBB458_11:
	ds_load_b128 v[36:39], v2
	ds_load_b128 v[40:43], v2 offset:16
	v_lshlrev_b32_e32 v0, 16, v13
	v_lshlrev_b32_e32 v10, 16, v10
	;; [unrolled: 1-line block ×3, first 2 shown]
	s_and_not1_b32 vcc_lo, exec_lo, s2
	s_waitcnt lgkmcnt(1)
	v_fma_f32 v0, v36, v0, 0
	s_delay_alu instid0(VALU_DEP_1) | instskip(SKIP_1) | instid1(VALU_DEP_2)
	v_dual_fmac_f32 v0, v37, v1 :: v_dual_lshlrev_b32 v1, 16, v8
	v_lshlrev_b32_e32 v8, 16, v19
	v_dual_fmac_f32 v0, v38, v10 :: v_dual_lshlrev_b32 v7, 16, v7
	s_delay_alu instid0(VALU_DEP_1) | instskip(SKIP_3) | instid1(VALU_DEP_1)
	v_dual_fmac_f32 v0, v39, v1 :: v_dual_lshlrev_b32 v1, 16, v6
	ds_load_b128 v[36:39], v2 offset:32
	s_waitcnt lgkmcnt(1)
	v_dual_fmac_f32 v0, v40, v7 :: v_dual_lshlrev_b32 v5, 16, v5
	v_dual_fmac_f32 v0, v41, v1 :: v_dual_lshlrev_b32 v1, 16, v4
	s_delay_alu instid0(VALU_DEP_1) | instskip(SKIP_3) | instid1(VALU_DEP_1)
	v_fmac_f32_e32 v0, v42, v5
	ds_load_b128 v[4:7], v2 offset:48
	v_dual_fmac_f32 v0, v43, v1 :: v_dual_lshlrev_b32 v1, 16, v18
	s_waitcnt lgkmcnt(1)
	v_fmac_f32_e32 v0, v36, v8
	v_lshlrev_b32_e32 v8, 16, v17
	s_delay_alu instid0(VALU_DEP_2) | instskip(NEXT) | instid1(VALU_DEP_1)
	v_dual_fmac_f32 v0, v37, v1 :: v_dual_lshlrev_b32 v1, 16, v16
	v_fmac_f32_e32 v0, v38, v8
	v_lshlrev_b32_e32 v8, 16, v15
	s_delay_alu instid0(VALU_DEP_2) | instskip(SKIP_1) | instid1(VALU_DEP_1)
	v_dual_fmac_f32 v0, v39, v1 :: v_dual_lshlrev_b32 v1, 16, v14
	s_waitcnt lgkmcnt(0)
	v_fmac_f32_e32 v0, v4, v8
	v_lshlrev_b32_e32 v4, 16, v12
	s_delay_alu instid0(VALU_DEP_2) | instskip(NEXT) | instid1(VALU_DEP_1)
	v_fmac_f32_e32 v0, v5, v1
	v_dual_fmac_f32 v0, v6, v4 :: v_dual_lshlrev_b32 v1, 16, v9
	s_delay_alu instid0(VALU_DEP_1)
	v_fmac_f32_e32 v0, v7, v1
	s_cbranch_vccnz .LBB458_13
; %bb.12:
	ds_load_b128 v[4:7], v2 offset:64
	ds_load_b128 v[8:11], v2 offset:80
	s_waitcnt lgkmcnt(1)
	v_fmac_f32_e32 v0, v4, v35
	s_delay_alu instid0(VALU_DEP_1) | instskip(NEXT) | instid1(VALU_DEP_1)
	v_fmac_f32_e32 v0, v5, v34
	v_fmac_f32_e32 v0, v6, v33
	s_delay_alu instid0(VALU_DEP_1) | instskip(SKIP_3) | instid1(VALU_DEP_1)
	v_fmac_f32_e32 v0, v7, v32
	ds_load_b128 v[4:7], v2 offset:96
	s_waitcnt lgkmcnt(1)
	v_fmac_f32_e32 v0, v8, v31
	v_fmac_f32_e32 v0, v9, v30
	s_delay_alu instid0(VALU_DEP_1) | instskip(NEXT) | instid1(VALU_DEP_1)
	v_fmac_f32_e32 v0, v10, v29
	v_fmac_f32_e32 v0, v11, v28
	ds_load_b128 v[8:11], v2 offset:112
	s_waitcnt lgkmcnt(1)
	v_fmac_f32_e32 v0, v4, v27
	s_delay_alu instid0(VALU_DEP_1) | instskip(NEXT) | instid1(VALU_DEP_1)
	v_fmac_f32_e32 v0, v5, v26
	v_fmac_f32_e32 v0, v6, v25
	s_delay_alu instid0(VALU_DEP_1) | instskip(SKIP_1) | instid1(VALU_DEP_1)
	v_fmac_f32_e32 v0, v7, v24
	s_waitcnt lgkmcnt(0)
	v_fmac_f32_e32 v0, v8, v23
	s_delay_alu instid0(VALU_DEP_1) | instskip(NEXT) | instid1(VALU_DEP_1)
	v_fmac_f32_e32 v0, v9, v22
	v_fmac_f32_e32 v0, v10, v21
	s_delay_alu instid0(VALU_DEP_1)
	v_fmac_f32_e32 v0, v11, v20
.LBB458_13:
	ds_load_b32 v1, v2 offset:128
	s_and_not1_b32 vcc_lo, exec_lo, s15
	s_cbranch_vccnz .LBB458_15
; %bb.14:
	s_add_u32 s2, s16, s18
	s_addc_u32 s3, s17, s19
	s_mov_b32 s13, 0
	s_load_b32 s12, s[2:3], 0x0
.LBB458_15:
	s_waitcnt lgkmcnt(0)
	v_add_f32_e32 v1, 0x358637bd, v1
	s_load_b64 s[0:1], s[0:1], 0x0
	s_delay_alu instid0(VALU_DEP_1) | instskip(NEXT) | instid1(VALU_DEP_1)
	v_div_scale_f32 v2, null, v1, v1, 1.0
	v_rcp_f32_e32 v4, v2
	s_waitcnt_depctr 0xfff
	v_fma_f32 v5, -v2, v4, 1.0
	s_delay_alu instid0(VALU_DEP_1) | instskip(SKIP_1) | instid1(VALU_DEP_1)
	v_fmac_f32_e32 v4, v5, v4
	v_div_scale_f32 v5, vcc_lo, 1.0, v1, 1.0
	v_mul_f32_e32 v6, v5, v4
	s_delay_alu instid0(VALU_DEP_1) | instskip(NEXT) | instid1(VALU_DEP_1)
	v_fma_f32 v7, -v2, v6, v5
	v_fmac_f32_e32 v6, v7, v4
	s_delay_alu instid0(VALU_DEP_1) | instskip(NEXT) | instid1(VALU_DEP_1)
	v_fma_f32 v2, -v2, v6, v5
	v_div_fmas_f32 v2, v2, v4, v6
	s_delay_alu instid0(VALU_DEP_1) | instskip(NEXT) | instid1(VALU_DEP_1)
	v_div_fixup_f32 v1, v2, v1, 1.0
	v_mul_f32_e32 v1, v0, v1
	s_delay_alu instid0(VALU_DEP_1) | instskip(NEXT) | instid1(VALU_DEP_1)
	v_and_b32_e32 v0, 0x7f800000, v1
	v_cmp_ne_u32_e32 vcc_lo, 0x7f800000, v0
                                        ; implicit-def: $vgpr0
	s_and_saveexec_b32 s2, vcc_lo
	s_delay_alu instid0(SALU_CYCLE_1)
	s_xor_b32 s2, exec_lo, s2
; %bb.16:
	v_bfe_u32 v0, v1, 16, 1
	s_delay_alu instid0(VALU_DEP_1)
	v_add3_u32 v0, v1, v0, 0x7fff
                                        ; implicit-def: $vgpr1
; %bb.17:
	s_and_not1_saveexec_b32 s2, s2
; %bb.18:
	v_and_b32_e32 v0, 0xffff, v1
	v_or_b32_e32 v2, 0x10000, v1
	s_delay_alu instid0(VALU_DEP_2) | instskip(NEXT) | instid1(VALU_DEP_2)
	v_cmp_eq_u32_e32 vcc_lo, 0, v0
	v_cndmask_b32_e32 v0, v2, v1, vcc_lo
; %bb.19:
	s_or_b32 exec_lo, exec_lo, s2
	s_mul_i32 s3, s22, s13
	s_mul_hi_u32 s4, s22, s12
	s_mul_i32 s2, s22, s12
	s_add_i32 s3, s4, s3
	s_mov_b32 s15, 0
	s_lshl_b64 s[2:3], s[2:3], 7
	s_waitcnt lgkmcnt(0)
	s_add_u32 s2, s0, s2
	s_addc_u32 s3, s1, s3
	s_lshl_b64 s[0:1], s[14:15], 7
	s_delay_alu instid0(SALU_CYCLE_1)
	s_add_u32 s0, s2, s0
	s_addc_u32 s1, s3, s1
	global_store_d16_hi_b16 v3, v0, s[0:1]
	s_nop 0
	s_sendmsg sendmsg(MSG_DEALLOC_VGPRS)
	s_endpgm
.LBB458_20:
	s_mov_b32 s2, 0
	s_branch .LBB458_2
	.section	.rodata,"a",@progbits
	.p2align	6, 0x0
	.amdhsa_kernel _Z35paged_attention_ll4mi_reduce_kernelI14__hip_bfloat16S0_Li64ELi64ELi256ELi1EEvPT0_PKfS4_PKT_PKiS9_iS4_
		.amdhsa_group_segment_fixed_size 132
		.amdhsa_private_segment_fixed_size 0
		.amdhsa_kernarg_size 320
		.amdhsa_user_sgpr_count 14
		.amdhsa_user_sgpr_dispatch_ptr 0
		.amdhsa_user_sgpr_queue_ptr 0
		.amdhsa_user_sgpr_kernarg_segment_ptr 1
		.amdhsa_user_sgpr_dispatch_id 0
		.amdhsa_user_sgpr_private_segment_size 0
		.amdhsa_wavefront_size32 1
		.amdhsa_uses_dynamic_stack 0
		.amdhsa_enable_private_segment 0
		.amdhsa_system_sgpr_workgroup_id_x 1
		.amdhsa_system_sgpr_workgroup_id_y 1
		.amdhsa_system_sgpr_workgroup_id_z 0
		.amdhsa_system_sgpr_workgroup_info 0
		.amdhsa_system_vgpr_workitem_id 0
		.amdhsa_next_free_vgpr 49
		.amdhsa_next_free_sgpr 40
		.amdhsa_reserve_vcc 1
		.amdhsa_float_round_mode_32 0
		.amdhsa_float_round_mode_16_64 0
		.amdhsa_float_denorm_mode_32 3
		.amdhsa_float_denorm_mode_16_64 3
		.amdhsa_dx10_clamp 1
		.amdhsa_ieee_mode 1
		.amdhsa_fp16_overflow 0
		.amdhsa_workgroup_processor_mode 1
		.amdhsa_memory_ordered 1
		.amdhsa_forward_progress 0
		.amdhsa_shared_vgpr_count 0
		.amdhsa_exception_fp_ieee_invalid_op 0
		.amdhsa_exception_fp_denorm_src 0
		.amdhsa_exception_fp_ieee_div_zero 0
		.amdhsa_exception_fp_ieee_overflow 0
		.amdhsa_exception_fp_ieee_underflow 0
		.amdhsa_exception_fp_ieee_inexact 0
		.amdhsa_exception_int_div_zero 0
	.end_amdhsa_kernel
	.section	.text._Z35paged_attention_ll4mi_reduce_kernelI14__hip_bfloat16S0_Li64ELi64ELi256ELi1EEvPT0_PKfS4_PKT_PKiS9_iS4_,"axG",@progbits,_Z35paged_attention_ll4mi_reduce_kernelI14__hip_bfloat16S0_Li64ELi64ELi256ELi1EEvPT0_PKfS4_PKT_PKiS9_iS4_,comdat
.Lfunc_end458:
	.size	_Z35paged_attention_ll4mi_reduce_kernelI14__hip_bfloat16S0_Li64ELi64ELi256ELi1EEvPT0_PKfS4_PKT_PKiS9_iS4_, .Lfunc_end458-_Z35paged_attention_ll4mi_reduce_kernelI14__hip_bfloat16S0_Li64ELi64ELi256ELi1EEvPT0_PKfS4_PKT_PKiS9_iS4_
                                        ; -- End function
	.section	.AMDGPU.csdata,"",@progbits
; Kernel info:
; codeLenInByte = 3300
; NumSgprs: 42
; NumVgprs: 49
; ScratchSize: 0
; MemoryBound: 0
; FloatMode: 240
; IeeeMode: 1
; LDSByteSize: 132 bytes/workgroup (compile time only)
; SGPRBlocks: 5
; VGPRBlocks: 6
; NumSGPRsForWavesPerEU: 42
; NumVGPRsForWavesPerEU: 49
; Occupancy: 16
; WaveLimiterHint : 1
; COMPUTE_PGM_RSRC2:SCRATCH_EN: 0
; COMPUTE_PGM_RSRC2:USER_SGPR: 14
; COMPUTE_PGM_RSRC2:TRAP_HANDLER: 0
; COMPUTE_PGM_RSRC2:TGID_X_EN: 1
; COMPUTE_PGM_RSRC2:TGID_Y_EN: 1
; COMPUTE_PGM_RSRC2:TGID_Z_EN: 0
; COMPUTE_PGM_RSRC2:TIDIG_COMP_CNT: 0
	.section	.text._Z35paged_attention_ll4mi_reduce_kernelI14__hip_bfloat16S0_Li64ELi64ELi256ELi2EEvPT0_PKfS4_PKT_PKiS9_iS4_,"axG",@progbits,_Z35paged_attention_ll4mi_reduce_kernelI14__hip_bfloat16S0_Li64ELi64ELi256ELi2EEvPT0_PKfS4_PKT_PKiS9_iS4_,comdat
	.protected	_Z35paged_attention_ll4mi_reduce_kernelI14__hip_bfloat16S0_Li64ELi64ELi256ELi2EEvPT0_PKfS4_PKT_PKiS9_iS4_ ; -- Begin function _Z35paged_attention_ll4mi_reduce_kernelI14__hip_bfloat16S0_Li64ELi64ELi256ELi2EEvPT0_PKfS4_PKT_PKiS9_iS4_
	.globl	_Z35paged_attention_ll4mi_reduce_kernelI14__hip_bfloat16S0_Li64ELi64ELi256ELi2EEvPT0_PKfS4_PKT_PKiS9_iS4_
	.p2align	8
	.type	_Z35paged_attention_ll4mi_reduce_kernelI14__hip_bfloat16S0_Li64ELi64ELi256ELi2EEvPT0_PKfS4_PKT_PKiS9_iS4_,@function
_Z35paged_attention_ll4mi_reduce_kernelI14__hip_bfloat16S0_Li64ELi64ELi256ELi2EEvPT0_PKfS4_PKT_PKiS9_iS4_: ; @_Z35paged_attention_ll4mi_reduce_kernelI14__hip_bfloat16S0_Li64ELi64ELi256ELi2EEvPT0_PKfS4_PKT_PKiS9_iS4_
; %bb.0:
	s_load_b64 s[12:13], s[0:1], 0x28
	s_mov_b32 s2, s15
	s_waitcnt lgkmcnt(0)
	s_cmp_lg_u64 s[12:13], 0
	s_cselect_b32 s15, -1, 0
	s_delay_alu instid0(SALU_CYCLE_1)
	s_and_b32 vcc_lo, exec_lo, s15
	s_cbranch_vccz .LBB459_20
; %bb.1:
	s_add_i32 s4, s2, 1
	s_mov_b32 s5, 0
	s_delay_alu instid0(SALU_CYCLE_1) | instskip(SKIP_4) | instid1(SALU_CYCLE_1)
	s_lshl_b64 s[6:7], s[4:5], 2
	s_mov_b32 s3, s5
	s_add_u32 s6, s12, s6
	s_addc_u32 s7, s13, s7
	s_lshl_b64 s[8:9], s[2:3], 2
	s_add_u32 s8, s12, s8
	s_addc_u32 s9, s13, s9
	s_clause 0x1
	s_load_b32 s4, s[6:7], 0x0
	s_load_b32 s6, s[8:9], 0x0
	s_waitcnt lgkmcnt(0)
	s_sub_i32 s4, s4, s6
	s_delay_alu instid0(SALU_CYCLE_1)
	s_cmp_eq_u32 s4, 1
	s_cselect_b32 s4, -1, 0
	s_cbranch_execnz .LBB459_3
.LBB459_2:
	s_mov_b32 s3, 0
	s_mov_b32 s4, -1
.LBB459_3:
	s_delay_alu instid0(SALU_CYCLE_1)
	s_and_not1_b32 vcc_lo, exec_lo, s4
	s_cbranch_vccz .LBB459_5
; %bb.4:
	s_endpgm
.LBB459_5:
	s_clause 0x1
	s_load_b128 s[4:7], s[0:1], 0x18
	s_load_b32 s9, s[0:1], 0x30
	s_lshl_b64 s[16:17], s[2:3], 2
	s_waitcnt lgkmcnt(0)
	s_add_u32 s6, s6, s16
	s_addc_u32 s7, s7, s17
	s_load_b32 s20, s[6:7], 0x0
	s_load_b32 s33, s[0:1], 0x40
	s_mul_i32 s7, s2, s9
	s_waitcnt lgkmcnt(0)
	s_add_i32 s50, s20, 0xff
	s_delay_alu instid0(SALU_CYCLE_1) | instskip(NEXT) | instid1(SALU_CYCLE_1)
	s_ashr_i32 s6, s50, 31
	s_lshr_b32 s6, s6, 24
	s_delay_alu instid0(SALU_CYCLE_1) | instskip(SKIP_4) | instid1(SALU_CYCLE_1)
	s_add_i32 s8, s50, s6
	s_mul_i32 s6, s14, s9
	s_mov_b32 s9, exec_lo
	v_cmpx_lt_u32_e32 31, v0
	s_xor_b32 s9, exec_lo, s9
	s_or_saveexec_b32 s22, s9
	v_mov_b32_e32 v1, s6
	s_ashr_i32 s21, s8, 8
	s_mul_i32 s18, s7, s33
	s_xor_b32 exec_lo, exec_lo, s22
	s_cbranch_execz .LBB459_9
; %bb.6:
	v_or_b32_e32 v1, 32, v0
	s_load_b128 s[8:11], s[0:1], 0x8
	s_add_i32 s7, s21, -1
	s_mov_b32 s19, 0
	s_delay_alu instid0(SALU_CYCLE_1) | instskip(SKIP_3) | instid1(VALU_DEP_2)
	s_lshl_b64 s[24:25], s[18:19], 2
	v_cmp_gt_i32_e32 vcc_lo, s21, v1
	v_cndmask_b32_e32 v1, s7, v1, vcc_lo
	v_cmp_gt_i32_e32 vcc_lo, s21, v0
	v_ashrrev_i32_e32 v2, 31, v1
	v_cndmask_b32_e32 v3, s7, v0, vcc_lo
	s_mov_b32 s7, s19
	s_delay_alu instid0(VALU_DEP_2) | instskip(NEXT) | instid1(VALU_DEP_2)
	v_lshlrev_b64 v[1:2], 2, v[1:2]
	v_ashrrev_i32_e32 v4, 31, v3
	s_waitcnt lgkmcnt(0)
	s_add_u32 s19, s10, s24
	s_addc_u32 s23, s11, s25
	s_lshl_b64 s[10:11], s[6:7], 2
	v_lshlrev_b64 v[3:4], 2, v[3:4]
	s_add_u32 s7, s19, s10
	s_addc_u32 s19, s23, s11
	v_add_co_u32 v5, vcc_lo, s7, v1
	v_add_co_ci_u32_e32 v6, vcc_lo, s19, v2, vcc_lo
	s_delay_alu instid0(VALU_DEP_3)
	v_add_co_u32 v7, vcc_lo, s7, v3
	v_add_co_ci_u32_e32 v8, vcc_lo, s19, v4, vcc_lo
	s_clause 0x1
	global_load_b32 v5, v[5:6], off
	global_load_b32 v6, v[7:8], off
	s_add_u32 s7, s8, s24
	s_addc_u32 s8, s9, s25
	s_add_u32 s7, s7, s10
	s_addc_u32 s8, s8, s11
	v_add_co_u32 v3, vcc_lo, s7, v3
	v_add_co_ci_u32_e32 v4, vcc_lo, s8, v4, vcc_lo
	v_add_co_u32 v1, vcc_lo, s7, v1
	v_add_co_ci_u32_e32 v2, vcc_lo, s8, v2, vcc_lo
	s_clause 0x1
	global_load_b32 v3, v[3:4], off
	global_load_b32 v1, v[1:2], off
	v_mbcnt_lo_u32_b32 v2, -1, 0
	s_mov_b32 s7, exec_lo
	s_delay_alu instid0(VALU_DEP_1)
	v_xor_b32_e32 v4, 16, v2
	v_xor_b32_e32 v9, 8, v2
	;; [unrolled: 1-line block ×5, first 2 shown]
	v_cmp_gt_i32_e32 vcc_lo, 32, v4
	v_cndmask_b32_e32 v4, v2, v4, vcc_lo
	v_cmp_gt_i32_e32 vcc_lo, 32, v9
	s_waitcnt vmcnt(2)
	v_dual_max_f32 v7, v5, v5 :: v_dual_max_f32 v8, v6, v6
	s_delay_alu instid0(VALU_DEP_1)
	v_dual_max_f32 v7, v8, v7 :: v_dual_lshlrev_b32 v4, 2, v4
	ds_bpermute_b32 v8, v4, v7
	v_cndmask_b32_e32 v9, v2, v9, vcc_lo
	v_cmp_gt_i32_e32 vcc_lo, 32, v10
	v_cndmask_b32_e32 v10, v2, v10, vcc_lo
	v_cmp_gt_i32_e32 vcc_lo, 32, v11
	s_delay_alu instid0(VALU_DEP_2) | instskip(SKIP_1) | instid1(VALU_DEP_2)
	v_dual_cndmask_b32 v11, v2, v11 :: v_dual_lshlrev_b32 v10, 2, v10
	v_cmp_gt_i32_e32 vcc_lo, 32, v12
	v_dual_cndmask_b32 v2, v2, v12 :: v_dual_lshlrev_b32 v11, 2, v11
	s_waitcnt lgkmcnt(0)
	v_dual_max_f32 v8, v8, v8 :: v_dual_lshlrev_b32 v9, 2, v9
	s_delay_alu instid0(VALU_DEP_1) | instskip(SKIP_3) | instid1(VALU_DEP_1)
	v_dual_max_f32 v7, v7, v8 :: v_dual_lshlrev_b32 v2, 2, v2
	ds_bpermute_b32 v8, v9, v7
	s_waitcnt lgkmcnt(0)
	v_max_f32_e32 v8, v8, v8
	v_max_f32_e32 v7, v7, v8
	ds_bpermute_b32 v8, v10, v7
	s_waitcnt lgkmcnt(0)
	v_max_f32_e32 v8, v8, v8
	s_delay_alu instid0(VALU_DEP_1) | instskip(SKIP_3) | instid1(VALU_DEP_1)
	v_max_f32_e32 v7, v7, v8
	ds_bpermute_b32 v8, v11, v7
	s_waitcnt lgkmcnt(0)
	v_max_f32_e32 v8, v8, v8
	v_max_f32_e32 v7, v7, v8
	ds_bpermute_b32 v8, v2, v7
	s_waitcnt lgkmcnt(0)
	v_max_f32_e32 v8, v8, v8
	s_delay_alu instid0(VALU_DEP_1) | instskip(NEXT) | instid1(VALU_DEP_1)
	v_max_f32_e32 v7, v7, v8
	v_sub_f32_e32 v5, v5, v7
	s_delay_alu instid0(VALU_DEP_1) | instskip(NEXT) | instid1(VALU_DEP_1)
	v_mul_f32_e32 v8, 0x3fb8aa3b, v5
	v_rndne_f32_e32 v15, v8
	v_fma_f32 v14, 0x3fb8aa3b, v5, -v8
	s_delay_alu instid0(VALU_DEP_2) | instskip(SKIP_1) | instid1(VALU_DEP_3)
	v_sub_f32_e32 v8, v8, v15
	v_sub_f32_e32 v6, v6, v7
	v_fmac_f32_e32 v14, 0x32a5705f, v5
	s_delay_alu instid0(VALU_DEP_2) | instskip(NEXT) | instid1(VALU_DEP_1)
	v_mul_f32_e32 v7, 0x3fb8aa3b, v6
	v_fma_f32 v12, 0x3fb8aa3b, v6, -v7
	v_rndne_f32_e32 v13, v7
	s_delay_alu instid0(VALU_DEP_1) | instskip(NEXT) | instid1(VALU_DEP_1)
	v_dual_fmac_f32 v12, 0x32a5705f, v6 :: v_dual_sub_f32 v7, v7, v13
	v_add_f32_e32 v7, v7, v12
	v_cvt_i32_f32_e32 v12, v13
	v_cmp_ngt_f32_e32 vcc_lo, 0xc2ce8ed0, v6
	v_cvt_i32_f32_e32 v13, v15
	s_delay_alu instid0(VALU_DEP_4) | instskip(SKIP_4) | instid1(VALU_DEP_3)
	v_exp_f32_e32 v7, v7
	s_waitcnt_depctr 0xfff
	v_ldexp_f32 v7, v7, v12
	v_add_f32_e32 v8, v8, v14
	v_sub_nc_u32_e32 v12, s21, v0
	v_cndmask_b32_e32 v7, 0, v7, vcc_lo
	s_delay_alu instid0(VALU_DEP_3) | instskip(SKIP_3) | instid1(VALU_DEP_1)
	v_exp_f32_e32 v8, v8
	v_cmp_ngt_f32_e32 vcc_lo, 0xc2ce8ed0, v5
	s_waitcnt_depctr 0xfff
	v_ldexp_f32 v8, v8, v13
	v_cndmask_b32_e32 v8, 0, v8, vcc_lo
	v_cmp_nlt_f32_e32 vcc_lo, 0x42b17218, v6
	v_dual_cndmask_b32 v6, 0x7f800000, v7 :: v_dual_lshlrev_b32 v7, 2, v0
	v_cmp_nlt_f32_e32 vcc_lo, 0x42b17218, v5
	s_delay_alu instid0(VALU_DEP_4) | instskip(SKIP_1) | instid1(VALU_DEP_4)
	v_cndmask_b32_e32 v5, 0x7f800000, v8, vcc_lo
	v_cmp_lt_i32_e32 vcc_lo, 0, v12
	v_cndmask_b32_e32 v6, 0, v6, vcc_lo
	v_cmp_lt_i32_e32 vcc_lo, 32, v12
	s_delay_alu instid0(VALU_DEP_4) | instskip(SKIP_1) | instid1(VALU_DEP_1)
	v_cndmask_b32_e32 v5, 0, v5, vcc_lo
	s_waitcnt vmcnt(0)
	v_dual_mul_f32 v3, v3, v6 :: v_dual_mul_f32 v6, v1, v5
	ds_store_2addr_b32 v7, v3, v6 offset1:32
	v_fmac_f32_e32 v3, v1, v5
	ds_bpermute_b32 v1, v4, v3
	s_waitcnt lgkmcnt(0)
	v_add_f32_e32 v1, v3, v1
	ds_bpermute_b32 v3, v9, v1
	s_waitcnt lgkmcnt(0)
	v_add_f32_e32 v1, v1, v3
	;; [unrolled: 3-line block ×4, first 2 shown]
	ds_bpermute_b32 v2, v2, v1
	v_cmpx_eq_u32_e32 0, v0
	s_cbranch_execz .LBB459_8
; %bb.7:
	s_waitcnt lgkmcnt(0)
	v_dual_add_f32 v1, v1, v2 :: v_dual_mov_b32 v2, 0
	ds_store_b32 v2, v1 offset:256
.LBB459_8:
	s_or_b32 exec_lo, exec_lo, s7
	v_mov_b32_e32 v1, s6
.LBB459_9:
	s_or_b32 exec_lo, exec_lo, s22
	s_lshl_b32 s6, s18, 6
	s_mov_b32 s7, 0
	s_waitcnt lgkmcnt(0)
	v_dual_mov_b32 v2, 0 :: v_dual_lshlrev_b32 v1, 6, v1
	s_lshl_b64 s[6:7], s[6:7], 1
	v_lshlrev_b32_e32 v0, 1, v0
	s_add_u32 s34, s4, s6
	s_addc_u32 s35, s5, s7
	s_lshl_b32 s4, s21, 6
	v_lshlrev_b64 v[3:4], 1, v[1:2]
	s_sub_i32 s51, s4, 64
	s_cmpk_lt_i32 s50, 0x100
	v_dual_mov_b32 v32, 0 :: v_dual_mov_b32 v35, 0
	s_cselect_b32 s4, s51, 0
	s_delay_alu instid0(VALU_DEP_2)
	v_add_co_u32 v1, vcc_lo, s34, v3
	s_ashr_i32 s5, s4, 31
	v_add_co_ci_u32_e32 v3, vcc_lo, s35, v4, vcc_lo
	s_lshl_b64 s[4:5], s[4:5], 1
	s_cmpk_lt_i32 s50, 0x200
	v_add_co_u32 v1, vcc_lo, v1, v0
	s_cselect_b32 s6, s51, 64
	v_add_co_ci_u32_e32 v3, vcc_lo, 0, v3, vcc_lo
	s_ashr_i32 s7, s6, 31
	s_delay_alu instid0(VALU_DEP_2)
	v_add_co_u32 v4, vcc_lo, v1, s4
	s_lshl_b64 s[6:7], s[6:7], 1
	s_cmpk_lt_i32 s50, 0x300
	v_add_co_ci_u32_e32 v5, vcc_lo, s5, v3, vcc_lo
	s_cselect_b32 s8, s51, 0x80
	v_add_co_u32 v6, vcc_lo, v1, s6
	s_ashr_i32 s9, s8, 31
	v_add_co_ci_u32_e32 v7, vcc_lo, s7, v3, vcc_lo
	s_lshl_b64 s[8:9], s[8:9], 1
	s_cmpk_lt_i32 s50, 0x400
	v_add_co_u32 v8, vcc_lo, v1, s8
	s_cselect_b32 s10, s51, 0xc0
	v_add_co_ci_u32_e32 v9, vcc_lo, s9, v3, vcc_lo
	s_ashr_i32 s11, s10, 31
	v_mov_b32_e32 v34, 0
	s_lshl_b64 s[10:11], s[10:11], 1
	s_cmpk_lt_i32 s50, 0x500
	v_add_co_u32 v14, vcc_lo, v1, s10
	s_cselect_b32 s18, s51, 0x100
	v_add_co_ci_u32_e32 v15, vcc_lo, s11, v3, vcc_lo
	s_ashr_i32 s19, s18, 31
	v_mov_b32_e32 v33, 0
	s_lshl_b64 s[18:19], s[18:19], 1
	s_cmpk_lt_i32 s50, 0x600
	v_add_co_u32 v16, vcc_lo, v1, s18
	s_cselect_b32 s22, s51, 0x140
	v_add_co_ci_u32_e32 v17, vcc_lo, s19, v3, vcc_lo
	s_ashr_i32 s23, s22, 31
	s_delay_alu instid0(SALU_CYCLE_1)
	s_lshl_b64 s[22:23], s[22:23], 1
	s_cmpk_lt_i32 s50, 0x700
	v_add_co_u32 v18, vcc_lo, v1, s22
	s_cselect_b32 s24, s51, 0x180
	v_add_co_ci_u32_e32 v19, vcc_lo, s23, v3, vcc_lo
	s_ashr_i32 s25, s24, 31
	s_delay_alu instid0(SALU_CYCLE_1)
	;; [unrolled: 7-line block ×3, first 2 shown]
	s_lshl_b64 s[26:27], s[26:27], 1
	s_cmpk_lt_i32 s50, 0x900
	v_add_co_u32 v22, vcc_lo, v1, s26
	s_cselect_b32 s28, s51, 0x200
	v_add_co_ci_u32_e32 v23, vcc_lo, s27, v3, vcc_lo
	s_ashr_i32 s29, s28, 31
	s_clause 0x7
	global_load_u16 v13, v[4:5], off
	global_load_u16 v4, v[6:7], off
	;; [unrolled: 1-line block ×8, first 2 shown]
	s_lshl_b64 s[28:29], s[28:29], 1
	s_cmpk_lt_i32 s50, 0xa00
	v_add_co_u32 v14, vcc_lo, v1, s28
	s_cselect_b32 s30, s51, 0x240
	v_add_co_ci_u32_e32 v15, vcc_lo, s29, v3, vcc_lo
	s_ashr_i32 s31, s30, 31
	s_delay_alu instid0(SALU_CYCLE_1)
	s_lshl_b64 s[30:31], s[30:31], 1
	s_cmpk_lt_i32 s50, 0xb00
	v_add_co_u32 v16, vcc_lo, v1, s30
	s_cselect_b32 s34, s51, 0x280
	v_add_co_ci_u32_e32 v17, vcc_lo, s31, v3, vcc_lo
	s_ashr_i32 s35, s34, 31
	s_delay_alu instid0(SALU_CYCLE_1)
	;; [unrolled: 7-line block ×7, first 2 shown]
	s_lshl_b64 s[4:5], s[6:7], 1
	s_cmpk_gt_i32 s20, 0x1000
	v_add_co_u32 v30, vcc_lo, v1, s4
	v_add_co_ci_u32_e32 v31, vcc_lo, s5, v3, vcc_lo
	s_clause 0x7
	global_load_u16 v19, v[14:15], off
	global_load_u16 v18, v[16:17], off
	;; [unrolled: 1-line block ×8, first 2 shown]
	v_dual_mov_b32 v20, 0 :: v_dual_mov_b32 v23, 0
	v_dual_mov_b32 v21, 0 :: v_dual_mov_b32 v22, 0
	;; [unrolled: 1-line block ×6, first 2 shown]
	s_cselect_b32 s6, -1, 0
	s_cmpk_lt_i32 s20, 0x1001
	s_waitcnt vmcnt(0)
	s_barrier
	buffer_gl0_inv
	s_cbranch_scc1 .LBB459_11
; %bb.10:
	s_cmpk_lt_i32 s50, 0x1100
	s_cselect_b32 s4, s51, 0x400
	s_delay_alu instid0(SALU_CYCLE_1) | instskip(NEXT) | instid1(SALU_CYCLE_1)
	s_ashr_i32 s5, s4, 31
	s_lshl_b64 s[4:5], s[4:5], 1
	s_cmpk_lt_i32 s50, 0x1200
	v_add_co_u32 v20, vcc_lo, v1, s4
	s_cselect_b32 s8, s51, 0x440
	v_add_co_ci_u32_e32 v21, vcc_lo, s5, v3, vcc_lo
	s_ashr_i32 s9, s8, 31
	s_delay_alu instid0(SALU_CYCLE_1)
	s_lshl_b64 s[8:9], s[8:9], 1
	s_cmpk_lt_i32 s50, 0x1300
	v_add_co_u32 v22, vcc_lo, v1, s8
	s_cselect_b32 s10, s51, 0x480
	v_add_co_ci_u32_e32 v23, vcc_lo, s9, v3, vcc_lo
	s_ashr_i32 s11, s10, 31
	s_delay_alu instid0(SALU_CYCLE_1)
	;; [unrolled: 7-line block ×14, first 2 shown]
	s_lshl_b64 s[4:5], s[18:19], 1
	s_cmpk_lt_i32 s50, 0x2000
	v_add_co_u32 v48, vcc_lo, v1, s4
	s_cselect_b32 s8, s51, 0x7c0
	v_add_co_ci_u32_e32 v49, vcc_lo, s5, v3, vcc_lo
	s_ashr_i32 s9, s8, 31
	s_delay_alu instid0(SALU_CYCLE_1) | instskip(NEXT) | instid1(SALU_CYCLE_1)
	s_lshl_b64 s[4:5], s[8:9], 1
	v_add_co_u32 v50, vcc_lo, v1, s4
	v_add_co_ci_u32_e32 v51, vcc_lo, s5, v3, vcc_lo
	s_clause 0xf
	global_load_u16 v20, v[20:21], off
	global_load_u16 v21, v[22:23], off
	;; [unrolled: 1-line block ×16, first 2 shown]
	s_waitcnt vmcnt(15)
	v_lshlrev_b32_e32 v35, 16, v20
	s_waitcnt vmcnt(14)
	v_lshlrev_b32_e32 v34, 16, v21
	;; [unrolled: 2-line block ×16, first 2 shown]
.LBB459_11:
	ds_load_b128 v[36:39], v2
	ds_load_b128 v[40:43], v2 offset:16
	v_lshlrev_b32_e32 v44, 16, v4
	v_lshlrev_b32_e32 v13, 16, v13
	;; [unrolled: 1-line block ×4, first 2 shown]
	s_and_not1_b32 vcc_lo, exec_lo, s6
	v_lshlrev_b32_e32 v5, 16, v5
	s_waitcnt lgkmcnt(1)
	v_fma_f32 v4, v36, v13, 0
	s_delay_alu instid0(VALU_DEP_1) | instskip(SKIP_1) | instid1(VALU_DEP_1)
	v_dual_fmac_f32 v4, v37, v44 :: v_dual_lshlrev_b32 v9, 16, v9
	v_lshlrev_b32_e32 v11, 16, v11
	v_dual_fmac_f32 v4, v38, v11 :: v_dual_lshlrev_b32 v11, 16, v18
	s_delay_alu instid0(VALU_DEP_1) | instskip(SKIP_3) | instid1(VALU_DEP_1)
	v_dual_fmac_f32 v4, v39, v9 :: v_dual_lshlrev_b32 v7, 16, v7
	ds_load_b128 v[36:39], v2 offset:32
	s_waitcnt lgkmcnt(1)
	v_dual_fmac_f32 v4, v40, v8 :: v_dual_lshlrev_b32 v9, 16, v19
	v_fmac_f32_e32 v4, v41, v7
	s_delay_alu instid0(VALU_DEP_1) | instskip(NEXT) | instid1(VALU_DEP_1)
	v_fmac_f32_e32 v4, v42, v6
	v_fmac_f32_e32 v4, v43, v5
	ds_load_b128 v[5:8], v2 offset:48
	s_waitcnt lgkmcnt(1)
	v_fmac_f32_e32 v4, v36, v9
	s_delay_alu instid0(VALU_DEP_1) | instskip(NEXT) | instid1(VALU_DEP_1)
	v_dual_fmac_f32 v4, v37, v11 :: v_dual_lshlrev_b32 v9, 16, v17
	v_dual_fmac_f32 v4, v38, v9 :: v_dual_lshlrev_b32 v11, 16, v16
	v_lshlrev_b32_e32 v9, 16, v15
	s_delay_alu instid0(VALU_DEP_2) | instskip(SKIP_1) | instid1(VALU_DEP_1)
	v_dual_fmac_f32 v4, v39, v11 :: v_dual_lshlrev_b32 v11, 16, v14
	s_waitcnt lgkmcnt(0)
	v_dual_fmac_f32 v4, v5, v9 :: v_dual_lshlrev_b32 v5, 16, v12
	s_delay_alu instid0(VALU_DEP_1) | instskip(NEXT) | instid1(VALU_DEP_1)
	v_fmac_f32_e32 v4, v6, v11
	v_dual_fmac_f32 v4, v7, v5 :: v_dual_lshlrev_b32 v5, 16, v10
	s_delay_alu instid0(VALU_DEP_1)
	v_fmac_f32_e32 v4, v8, v5
	s_cbranch_vccz .LBB459_21
; %bb.12:
	s_cmpk_lt_i32 s20, 0x2001
	s_cbranch_scc0 .LBB459_22
.LBB459_13:
	v_mov_b32_e32 v1, 0
	s_and_not1_b32 vcc_lo, exec_lo, s15
	ds_load_b32 v1, v1 offset:256
	s_cbranch_vccnz .LBB459_15
.LBB459_14:
	s_add_u32 s2, s12, s16
	s_addc_u32 s3, s13, s17
	s_load_b32 s2, s[2:3], 0x0
	s_mov_b32 s3, 0
.LBB459_15:
	s_waitcnt lgkmcnt(0)
	v_add_f32_e32 v1, 0x358637bd, v1
	s_load_b64 s[0:1], s[0:1], 0x0
	s_delay_alu instid0(VALU_DEP_1) | instskip(NEXT) | instid1(VALU_DEP_1)
	v_div_scale_f32 v2, null, v1, v1, 1.0
	v_rcp_f32_e32 v3, v2
	s_waitcnt_depctr 0xfff
	v_fma_f32 v5, -v2, v3, 1.0
	s_delay_alu instid0(VALU_DEP_1) | instskip(SKIP_1) | instid1(VALU_DEP_1)
	v_fmac_f32_e32 v3, v5, v3
	v_div_scale_f32 v5, vcc_lo, 1.0, v1, 1.0
	v_mul_f32_e32 v6, v5, v3
	s_delay_alu instid0(VALU_DEP_1) | instskip(NEXT) | instid1(VALU_DEP_1)
	v_fma_f32 v7, -v2, v6, v5
	v_fmac_f32_e32 v6, v7, v3
	s_delay_alu instid0(VALU_DEP_1) | instskip(NEXT) | instid1(VALU_DEP_1)
	v_fma_f32 v2, -v2, v6, v5
	v_div_fmas_f32 v2, v2, v3, v6
	s_delay_alu instid0(VALU_DEP_1) | instskip(NEXT) | instid1(VALU_DEP_1)
	v_div_fixup_f32 v1, v2, v1, 1.0
	v_mul_f32_e32 v2, v4, v1
	s_delay_alu instid0(VALU_DEP_1) | instskip(NEXT) | instid1(VALU_DEP_1)
	v_and_b32_e32 v1, 0x7f800000, v2
	v_cmp_ne_u32_e32 vcc_lo, 0x7f800000, v1
                                        ; implicit-def: $vgpr1
	s_and_saveexec_b32 s4, vcc_lo
	s_delay_alu instid0(SALU_CYCLE_1)
	s_xor_b32 s4, exec_lo, s4
; %bb.16:
	v_bfe_u32 v1, v2, 16, 1
	s_delay_alu instid0(VALU_DEP_1)
	v_add3_u32 v1, v2, v1, 0x7fff
                                        ; implicit-def: $vgpr2
; %bb.17:
	s_and_not1_saveexec_b32 s4, s4
; %bb.18:
	v_and_b32_e32 v1, 0xffff, v2
	v_or_b32_e32 v3, 0x10000, v2
	s_delay_alu instid0(VALU_DEP_2) | instskip(NEXT) | instid1(VALU_DEP_2)
	v_cmp_eq_u32_e32 vcc_lo, 0, v1
	v_cndmask_b32_e32 v1, v3, v2, vcc_lo
; %bb.19:
	s_or_b32 exec_lo, exec_lo, s4
	s_mul_i32 s3, s33, s3
	s_mul_hi_u32 s4, s33, s2
	s_mul_i32 s2, s33, s2
	s_add_i32 s3, s4, s3
	s_mov_b32 s15, 0
	s_lshl_b64 s[2:3], s[2:3], 7
	s_waitcnt lgkmcnt(0)
	s_add_u32 s2, s0, s2
	s_addc_u32 s3, s1, s3
	s_lshl_b64 s[0:1], s[14:15], 7
	s_delay_alu instid0(SALU_CYCLE_1)
	s_add_u32 s0, s2, s0
	s_addc_u32 s1, s3, s1
	global_store_d16_hi_b16 v0, v1, s[0:1]
	s_nop 0
	s_sendmsg sendmsg(MSG_DEALLOC_VGPRS)
	s_endpgm
.LBB459_20:
	s_mov_b32 s4, 0
	s_branch .LBB459_2
.LBB459_21:
	ds_load_b128 v[5:8], v2 offset:64
	ds_load_b128 v[9:12], v2 offset:80
	s_waitcnt lgkmcnt(1)
	v_fmac_f32_e32 v4, v5, v35
	s_delay_alu instid0(VALU_DEP_1) | instskip(NEXT) | instid1(VALU_DEP_1)
	v_fmac_f32_e32 v4, v6, v34
	v_fmac_f32_e32 v4, v7, v33
	s_delay_alu instid0(VALU_DEP_1) | instskip(SKIP_3) | instid1(VALU_DEP_1)
	v_fmac_f32_e32 v4, v8, v32
	ds_load_b128 v[5:8], v2 offset:96
	s_waitcnt lgkmcnt(1)
	v_fmac_f32_e32 v4, v9, v31
	v_fmac_f32_e32 v4, v10, v30
	s_delay_alu instid0(VALU_DEP_1) | instskip(NEXT) | instid1(VALU_DEP_1)
	v_fmac_f32_e32 v4, v11, v29
	v_fmac_f32_e32 v4, v12, v28
	ds_load_b128 v[9:12], v2 offset:112
	s_waitcnt lgkmcnt(1)
	v_fmac_f32_e32 v4, v5, v27
	s_delay_alu instid0(VALU_DEP_1) | instskip(NEXT) | instid1(VALU_DEP_1)
	v_fmac_f32_e32 v4, v6, v26
	v_fmac_f32_e32 v4, v7, v25
	s_delay_alu instid0(VALU_DEP_1) | instskip(SKIP_1) | instid1(VALU_DEP_1)
	v_fmac_f32_e32 v4, v8, v24
	s_waitcnt lgkmcnt(0)
	v_fmac_f32_e32 v4, v9, v23
	s_delay_alu instid0(VALU_DEP_1) | instskip(NEXT) | instid1(VALU_DEP_1)
	v_fmac_f32_e32 v4, v10, v22
	v_fmac_f32_e32 v4, v11, v21
	s_delay_alu instid0(VALU_DEP_1)
	v_fmac_f32_e32 v4, v12, v20
	s_cmpk_lt_i32 s20, 0x2001
	s_cbranch_scc1 .LBB459_13
.LBB459_22:
	s_cmpk_lt_i32 s50, 0x2100
	s_cselect_b32 s4, s51, 0x800
	s_delay_alu instid0(SALU_CYCLE_1) | instskip(NEXT) | instid1(SALU_CYCLE_1)
	s_ashr_i32 s5, s4, 31
	s_lshl_b64 s[40:41], s[4:5], 1
	s_cmpk_lt_i32 s50, 0x2200
	v_add_co_u32 v5, vcc_lo, v1, s40
	s_cselect_b32 s4, s51, 0x840
	v_add_co_ci_u32_e32 v6, vcc_lo, s41, v3, vcc_lo
	s_ashr_i32 s5, s4, 31
	s_delay_alu instid0(SALU_CYCLE_1)
	s_lshl_b64 s[42:43], s[4:5], 1
	s_cmpk_lt_i32 s50, 0x2300
	v_add_co_u32 v7, vcc_lo, v1, s42
	s_cselect_b32 s4, s51, 0x880
	v_add_co_ci_u32_e32 v8, vcc_lo, s43, v3, vcc_lo
	s_ashr_i32 s5, s4, 31
	s_delay_alu instid0(SALU_CYCLE_1)
	;; [unrolled: 7-line block ×4, first 2 shown]
	s_lshl_b64 s[48:49], s[4:5], 1
	s_cmpk_lt_i32 s50, 0x2600
	v_add_co_u32 v13, vcc_lo, v1, s48
	s_cselect_b32 s4, s51, 0x940
	v_add_co_ci_u32_e32 v14, vcc_lo, s49, v3, vcc_lo
	s_ashr_i32 s5, s4, 31
	s_clause 0x4
	global_load_u16 v15, v[5:6], off
	global_load_u16 v16, v[7:8], off
	;; [unrolled: 1-line block ×5, first 2 shown]
	s_lshl_b64 s[4:5], s[4:5], 1
	s_cmpk_lt_i32 s50, 0x2700
	v_add_co_u32 v5, vcc_lo, v1, s4
	s_cselect_b32 s6, s51, 0x980
	v_add_co_ci_u32_e32 v6, vcc_lo, s5, v3, vcc_lo
	s_ashr_i32 s7, s6, 31
	s_delay_alu instid0(SALU_CYCLE_1)
	s_lshl_b64 s[6:7], s[6:7], 1
	s_cmpk_lt_i32 s50, 0x2800
	v_add_co_u32 v7, vcc_lo, v1, s6
	s_cselect_b32 s8, s51, 0x9c0
	v_add_co_ci_u32_e32 v8, vcc_lo, s7, v3, vcc_lo
	s_ashr_i32 s9, s8, 31
	global_load_u16 v20, v[5:6], off
	s_lshl_b64 s[10:11], s[8:9], 1
	s_cmpk_lt_i32 s50, 0x2900
	v_add_co_u32 v9, vcc_lo, v1, s10
	s_cselect_b32 s8, s51, 0xa00
	v_add_co_ci_u32_e32 v10, vcc_lo, s11, v3, vcc_lo
	s_ashr_i32 s9, s8, 31
	s_clause 0x1
	global_load_u16 v21, v[7:8], off
	global_load_u16 v22, v[9:10], off
	s_lshl_b64 s[22:23], s[8:9], 1
	s_cmpk_lt_i32 s50, 0x2a00
	v_add_co_u32 v11, vcc_lo, v1, s22
	s_cselect_b32 s8, s51, 0xa40
	v_add_co_ci_u32_e32 v12, vcc_lo, s23, v3, vcc_lo
	s_ashr_i32 s9, s8, 31
	s_delay_alu instid0(SALU_CYCLE_1)
	s_lshl_b64 s[28:29], s[8:9], 1
	s_cmpk_lt_i32 s50, 0x2b00
	v_add_co_u32 v13, vcc_lo, v1, s28
	s_cselect_b32 s8, s51, 0xa80
	v_add_co_ci_u32_e32 v14, vcc_lo, s29, v3, vcc_lo
	s_ashr_i32 s9, s8, 31
	s_clause 0x1
	global_load_u16 v23, v[11:12], off
	global_load_u16 v13, v[13:14], off
	s_lshl_b64 s[8:9], s[8:9], 1
	s_cmpk_lt_i32 s50, 0x2c00
	v_add_co_u32 v5, vcc_lo, v1, s8
	s_cselect_b32 s18, s51, 0xac0
	v_add_co_ci_u32_e32 v6, vcc_lo, s9, v3, vcc_lo
	s_ashr_i32 s19, s18, 31
	s_delay_alu instid0(SALU_CYCLE_1)
	s_lshl_b64 s[18:19], s[18:19], 1
	s_cmpk_lt_i32 s50, 0x2d00
	v_add_co_u32 v7, vcc_lo, v1, s18
	s_cselect_b32 s20, s51, 0xb00
	v_add_co_ci_u32_e32 v8, vcc_lo, s19, v3, vcc_lo
	s_ashr_i32 s21, s20, 31
	global_load_u16 v14, v[5:6], off
	s_lshl_b64 s[24:25], s[20:21], 1
	s_cmpk_lt_i32 s50, 0x2e00
	v_add_co_u32 v9, vcc_lo, v1, s24
	s_cselect_b32 s20, s51, 0xb40
	v_add_co_ci_u32_e32 v10, vcc_lo, s25, v3, vcc_lo
	s_ashr_i32 s21, s20, 31
	s_delay_alu instid0(SALU_CYCLE_1)
	s_lshl_b64 s[30:31], s[20:21], 1
	s_cmpk_lt_i32 s50, 0x2f00
	v_add_co_u32 v11, vcc_lo, v1, s30
	s_cselect_b32 s20, s51, 0xb80
	v_add_co_ci_u32_e32 v12, vcc_lo, s31, v3, vcc_lo
	s_ashr_i32 s21, s20, 31
	s_clause 0x2
	global_load_u16 v24, v[7:8], off
	global_load_u16 v25, v[9:10], off
	;; [unrolled: 1-line block ×3, first 2 shown]
	s_lshl_b64 s[20:21], s[20:21], 1
	s_cmpk_lt_i32 s50, 0x3000
	v_add_co_u32 v5, vcc_lo, v1, s20
	s_cselect_b32 s26, s51, 0xbc0
	v_add_co_ci_u32_e32 v6, vcc_lo, s21, v3, vcc_lo
	s_ashr_i32 s27, s26, 31
	s_delay_alu instid0(SALU_CYCLE_1)
	s_lshl_b64 s[26:27], s[26:27], 1
	s_cmpk_lt_i32 s50, 0x3100
	v_add_co_u32 v7, vcc_lo, v1, s26
	s_cselect_b32 s34, s51, 0xc00
	v_add_co_ci_u32_e32 v8, vcc_lo, s27, v3, vcc_lo
	s_ashr_i32 s35, s34, 31
	global_load_u16 v27, v[5:6], off
	s_lshl_b64 s[34:35], s[34:35], 1
	global_load_u16 v28, v[7:8], off
	s_cmpk_lt_i32 s50, 0x3200
	v_add_co_u32 v9, vcc_lo, v1, s34
	s_cselect_b32 s36, s51, 0xc40
	v_add_co_ci_u32_e32 v10, vcc_lo, s35, v3, vcc_lo
	s_ashr_i32 s37, s36, 31
	s_delay_alu instid0(SALU_CYCLE_1)
	s_lshl_b64 s[36:37], s[36:37], 1
	global_load_u16 v29, v[9:10], off
	s_cmpk_lt_i32 s50, 0x3300
	v_add_co_u32 v5, vcc_lo, v1, s36
	s_cselect_b32 s38, s51, 0xc80
	v_add_co_ci_u32_e32 v6, vcc_lo, s37, v3, vcc_lo
	s_ashr_i32 s39, s38, 31
	s_delay_alu instid0(SALU_CYCLE_1)
	s_lshl_b64 s[38:39], s[38:39], 1
	s_cmpk_lt_i32 s50, 0x3400
	v_add_co_u32 v7, vcc_lo, v1, s38
	s_cselect_b32 s52, s51, 0xcc0
	v_add_co_ci_u32_e32 v8, vcc_lo, s39, v3, vcc_lo
	s_ashr_i32 s53, s52, 31
	global_load_u16 v30, v[5:6], off
	s_lshl_b64 s[40:41], s[52:53], 1
	global_load_u16 v31, v[7:8], off
	s_cmpk_lt_i32 s50, 0x3500
	v_add_co_u32 v9, vcc_lo, v1, s40
	s_cselect_b32 s42, s51, 0xd00
	v_add_co_ci_u32_e32 v10, vcc_lo, s41, v3, vcc_lo
	s_ashr_i32 s43, s42, 31
	s_delay_alu instid0(SALU_CYCLE_1)
	s_lshl_b64 s[42:43], s[42:43], 1
	s_cmpk_lt_i32 s50, 0x3600
	v_add_co_u32 v5, vcc_lo, v1, s42
	s_cselect_b32 s44, s51, 0xd40
	v_add_co_ci_u32_e32 v6, vcc_lo, s43, v3, vcc_lo
	s_ashr_i32 s45, s44, 31
	global_load_u16 v32, v[9:10], off
	s_lshl_b64 s[4:5], s[44:45], 1
	s_cmpk_lt_i32 s50, 0x3700
	v_add_co_u32 v7, vcc_lo, v1, s4
	s_cselect_b32 s6, s51, 0xd80
	v_add_co_ci_u32_e32 v8, vcc_lo, s5, v3, vcc_lo
	s_ashr_i32 s7, s6, 31
	global_load_u16 v33, v[5:6], off
	s_lshl_b64 s[6:7], s[6:7], 1
	global_load_u16 v34, v[7:8], off
	s_cmpk_lt_i32 s50, 0x3800
	v_add_co_u32 v5, vcc_lo, v1, s6
	s_cselect_b32 s10, s51, 0xdc0
	v_add_co_ci_u32_e32 v6, vcc_lo, s7, v3, vcc_lo
	s_ashr_i32 s11, s10, 31
	s_delay_alu instid0(SALU_CYCLE_1)
	s_lshl_b64 s[8:9], s[10:11], 1
	s_cmpk_lt_i32 s50, 0x3900
	v_add_co_u32 v7, vcc_lo, v1, s8
	s_cselect_b32 s10, s51, 0xe00
	v_add_co_ci_u32_e32 v8, vcc_lo, s9, v3, vcc_lo
	s_ashr_i32 s11, s10, 31
	global_load_u16 v35, v[5:6], off
	s_lshl_b64 s[10:11], s[10:11], 1
	global_load_u16 v36, v[7:8], off
	s_cmpk_lt_i32 s50, 0x3a00
	v_add_co_u32 v5, vcc_lo, v1, s10
	s_cselect_b32 s18, s51, 0xe40
	v_add_co_ci_u32_e32 v6, vcc_lo, s11, v3, vcc_lo
	s_ashr_i32 s19, s18, 31
	s_delay_alu instid0(SALU_CYCLE_1)
	;; [unrolled: 15-line block ×5, first 2 shown]
	s_lshl_b64 s[4:5], s[6:7], 1
	global_load_u16 v43, v[5:6], off
	v_add_co_u32 v1, vcc_lo, v1, s4
	v_add_co_ci_u32_e32 v2, vcc_lo, s5, v3, vcc_lo
	global_load_u16 v1, v[1:2], off
	s_waitcnt vmcnt(31)
	v_dual_mov_b32 v2, 0 :: v_dual_lshlrev_b32 v3, 16, v15
	ds_load_b128 v[5:8], v2 offset:128
	ds_load_b128 v[9:12], v2 offset:144
	s_waitcnt vmcnt(30) lgkmcnt(1)
	v_dual_fmac_f32 v4, v5, v3 :: v_dual_lshlrev_b32 v3, 16, v16
	s_waitcnt vmcnt(29)
	s_delay_alu instid0(VALU_DEP_1) | instskip(SKIP_1) | instid1(VALU_DEP_1)
	v_dual_fmac_f32 v4, v6, v3 :: v_dual_lshlrev_b32 v3, 16, v17
	s_waitcnt vmcnt(28)
	v_dual_fmac_f32 v4, v7, v3 :: v_dual_lshlrev_b32 v3, 16, v18
	s_delay_alu instid0(VALU_DEP_1)
	v_fmac_f32_e32 v4, v8, v3
	s_waitcnt vmcnt(27)
	v_lshlrev_b32_e32 v3, 16, v19
	ds_load_b128 v[5:8], v2 offset:160
	s_waitcnt vmcnt(26) lgkmcnt(1)
	v_dual_fmac_f32 v4, v9, v3 :: v_dual_lshlrev_b32 v3, 16, v20
	s_waitcnt vmcnt(25)
	s_delay_alu instid0(VALU_DEP_1) | instskip(SKIP_1) | instid1(VALU_DEP_1)
	v_dual_fmac_f32 v4, v10, v3 :: v_dual_lshlrev_b32 v3, 16, v21
	s_waitcnt vmcnt(24)
	v_dual_fmac_f32 v4, v11, v3 :: v_dual_lshlrev_b32 v3, 16, v22
	s_delay_alu instid0(VALU_DEP_1)
	v_fmac_f32_e32 v4, v12, v3
	s_waitcnt vmcnt(23)
	v_lshlrev_b32_e32 v3, 16, v23
	ds_load_b128 v[9:12], v2 offset:176
	s_waitcnt vmcnt(22) lgkmcnt(1)
	v_dual_fmac_f32 v4, v5, v3 :: v_dual_lshlrev_b32 v3, 16, v13
	s_waitcnt vmcnt(21)
	s_delay_alu instid0(VALU_DEP_1) | instskip(SKIP_1) | instid1(VALU_DEP_1)
	v_dual_fmac_f32 v4, v6, v3 :: v_dual_lshlrev_b32 v3, 16, v14
	s_waitcnt vmcnt(20)
	v_dual_fmac_f32 v4, v7, v3 :: v_dual_lshlrev_b32 v3, 16, v24
	s_waitcnt vmcnt(19)
	s_delay_alu instid0(VALU_DEP_1) | instskip(SKIP_3) | instid1(VALU_DEP_1)
	v_dual_fmac_f32 v4, v8, v3 :: v_dual_lshlrev_b32 v3, 16, v25
	ds_load_b128 v[5:8], v2 offset:192
	s_waitcnt vmcnt(18) lgkmcnt(1)
	v_dual_fmac_f32 v4, v9, v3 :: v_dual_lshlrev_b32 v3, 16, v26
	v_fmac_f32_e32 v4, v10, v3
	s_waitcnt vmcnt(17)
	v_lshlrev_b32_e32 v3, 16, v27
	s_waitcnt vmcnt(16)
	s_delay_alu instid0(VALU_DEP_1) | instskip(SKIP_1) | instid1(VALU_DEP_1)
	v_dual_fmac_f32 v4, v11, v3 :: v_dual_lshlrev_b32 v3, 16, v28
	s_waitcnt vmcnt(15)
	v_dual_fmac_f32 v4, v12, v3 :: v_dual_lshlrev_b32 v3, 16, v29
	ds_load_b128 v[9:12], v2 offset:208
	s_waitcnt vmcnt(14) lgkmcnt(1)
	v_dual_fmac_f32 v4, v5, v3 :: v_dual_lshlrev_b32 v3, 16, v30
	s_delay_alu instid0(VALU_DEP_1) | instskip(SKIP_3) | instid1(VALU_DEP_1)
	v_fmac_f32_e32 v4, v6, v3
	s_waitcnt vmcnt(13)
	v_lshlrev_b32_e32 v3, 16, v31
	s_waitcnt vmcnt(12)
	v_dual_fmac_f32 v4, v7, v3 :: v_dual_lshlrev_b32 v3, 16, v32
	s_delay_alu instid0(VALU_DEP_1) | instskip(SKIP_4) | instid1(VALU_DEP_1)
	v_fmac_f32_e32 v4, v8, v3
	ds_load_b128 v[5:8], v2 offset:224
	s_waitcnt vmcnt(11)
	v_lshlrev_b32_e32 v3, 16, v33
	s_waitcnt vmcnt(0) lgkmcnt(1)
	v_dual_fmac_f32 v4, v9, v3 :: v_dual_lshlrev_b32 v1, 16, v1
	v_lshlrev_b32_e32 v3, 16, v34
	s_delay_alu instid0(VALU_DEP_1) | instskip(SKIP_1) | instid1(VALU_DEP_1)
	v_fmac_f32_e32 v4, v10, v3
	v_lshlrev_b32_e32 v3, 16, v35
	v_dual_fmac_f32 v4, v11, v3 :: v_dual_lshlrev_b32 v3, 16, v36
	s_delay_alu instid0(VALU_DEP_1) | instskip(SKIP_4) | instid1(VALU_DEP_1)
	v_dual_fmac_f32 v4, v12, v3 :: v_dual_lshlrev_b32 v3, 16, v37
	ds_load_b128 v[9:12], v2 offset:240
	v_lshlrev_b32_e32 v2, 16, v38
	s_waitcnt lgkmcnt(1)
	v_fmac_f32_e32 v4, v5, v3
	v_fmac_f32_e32 v4, v6, v2
	v_lshlrev_b32_e32 v2, 16, v39
	s_delay_alu instid0(VALU_DEP_1) | instskip(SKIP_1) | instid1(VALU_DEP_1)
	v_fmac_f32_e32 v4, v7, v2
	v_lshlrev_b32_e32 v2, 16, v40
	v_fmac_f32_e32 v4, v8, v2
	v_lshlrev_b32_e32 v2, 16, v41
	s_waitcnt lgkmcnt(0)
	s_delay_alu instid0(VALU_DEP_1) | instskip(SKIP_1) | instid1(VALU_DEP_1)
	v_fmac_f32_e32 v4, v9, v2
	v_lshlrev_b32_e32 v2, 16, v42
	v_fmac_f32_e32 v4, v10, v2
	v_lshlrev_b32_e32 v2, 16, v43
	s_delay_alu instid0(VALU_DEP_1) | instskip(NEXT) | instid1(VALU_DEP_1)
	v_fmac_f32_e32 v4, v11, v2
	v_dual_fmac_f32 v4, v12, v1 :: v_dual_mov_b32 v1, 0
	s_and_not1_b32 vcc_lo, exec_lo, s15
	ds_load_b32 v1, v1 offset:256
	s_cbranch_vccz .LBB459_14
	s_branch .LBB459_15
	.section	.rodata,"a",@progbits
	.p2align	6, 0x0
	.amdhsa_kernel _Z35paged_attention_ll4mi_reduce_kernelI14__hip_bfloat16S0_Li64ELi64ELi256ELi2EEvPT0_PKfS4_PKT_PKiS9_iS4_
		.amdhsa_group_segment_fixed_size 260
		.amdhsa_private_segment_fixed_size 0
		.amdhsa_kernarg_size 320
		.amdhsa_user_sgpr_count 14
		.amdhsa_user_sgpr_dispatch_ptr 0
		.amdhsa_user_sgpr_queue_ptr 0
		.amdhsa_user_sgpr_kernarg_segment_ptr 1
		.amdhsa_user_sgpr_dispatch_id 0
		.amdhsa_user_sgpr_private_segment_size 0
		.amdhsa_wavefront_size32 1
		.amdhsa_uses_dynamic_stack 0
		.amdhsa_enable_private_segment 0
		.amdhsa_system_sgpr_workgroup_id_x 1
		.amdhsa_system_sgpr_workgroup_id_y 1
		.amdhsa_system_sgpr_workgroup_id_z 0
		.amdhsa_system_sgpr_workgroup_info 0
		.amdhsa_system_vgpr_workitem_id 0
		.amdhsa_next_free_vgpr 52
		.amdhsa_next_free_sgpr 54
		.amdhsa_reserve_vcc 1
		.amdhsa_float_round_mode_32 0
		.amdhsa_float_round_mode_16_64 0
		.amdhsa_float_denorm_mode_32 3
		.amdhsa_float_denorm_mode_16_64 3
		.amdhsa_dx10_clamp 1
		.amdhsa_ieee_mode 1
		.amdhsa_fp16_overflow 0
		.amdhsa_workgroup_processor_mode 1
		.amdhsa_memory_ordered 1
		.amdhsa_forward_progress 0
		.amdhsa_shared_vgpr_count 0
		.amdhsa_exception_fp_ieee_invalid_op 0
		.amdhsa_exception_fp_denorm_src 0
		.amdhsa_exception_fp_ieee_div_zero 0
		.amdhsa_exception_fp_ieee_overflow 0
		.amdhsa_exception_fp_ieee_underflow 0
		.amdhsa_exception_fp_ieee_inexact 0
		.amdhsa_exception_int_div_zero 0
	.end_amdhsa_kernel
	.section	.text._Z35paged_attention_ll4mi_reduce_kernelI14__hip_bfloat16S0_Li64ELi64ELi256ELi2EEvPT0_PKfS4_PKT_PKiS9_iS4_,"axG",@progbits,_Z35paged_attention_ll4mi_reduce_kernelI14__hip_bfloat16S0_Li64ELi64ELi256ELi2EEvPT0_PKfS4_PKT_PKiS9_iS4_,comdat
.Lfunc_end459:
	.size	_Z35paged_attention_ll4mi_reduce_kernelI14__hip_bfloat16S0_Li64ELi64ELi256ELi2EEvPT0_PKfS4_PKT_PKiS9_iS4_, .Lfunc_end459-_Z35paged_attention_ll4mi_reduce_kernelI14__hip_bfloat16S0_Li64ELi64ELi256ELi2EEvPT0_PKfS4_PKT_PKiS9_iS4_
                                        ; -- End function
	.section	.AMDGPU.csdata,"",@progbits
; Kernel info:
; codeLenInByte = 5356
; NumSgprs: 56
; NumVgprs: 52
; ScratchSize: 0
; MemoryBound: 0
; FloatMode: 240
; IeeeMode: 1
; LDSByteSize: 260 bytes/workgroup (compile time only)
; SGPRBlocks: 6
; VGPRBlocks: 6
; NumSGPRsForWavesPerEU: 56
; NumVGPRsForWavesPerEU: 52
; Occupancy: 16
; WaveLimiterHint : 0
; COMPUTE_PGM_RSRC2:SCRATCH_EN: 0
; COMPUTE_PGM_RSRC2:USER_SGPR: 14
; COMPUTE_PGM_RSRC2:TRAP_HANDLER: 0
; COMPUTE_PGM_RSRC2:TGID_X_EN: 1
; COMPUTE_PGM_RSRC2:TGID_Y_EN: 1
; COMPUTE_PGM_RSRC2:TGID_Z_EN: 0
; COMPUTE_PGM_RSRC2:TIDIG_COMP_CNT: 0
	.section	.text._Z35paged_attention_ll4mi_reduce_kernelI14__hip_bfloat16S0_Li64ELi64ELi256ELi3EEvPT0_PKfS4_PKT_PKiS9_iS4_,"axG",@progbits,_Z35paged_attention_ll4mi_reduce_kernelI14__hip_bfloat16S0_Li64ELi64ELi256ELi3EEvPT0_PKfS4_PKT_PKiS9_iS4_,comdat
	.protected	_Z35paged_attention_ll4mi_reduce_kernelI14__hip_bfloat16S0_Li64ELi64ELi256ELi3EEvPT0_PKfS4_PKT_PKiS9_iS4_ ; -- Begin function _Z35paged_attention_ll4mi_reduce_kernelI14__hip_bfloat16S0_Li64ELi64ELi256ELi3EEvPT0_PKfS4_PKT_PKiS9_iS4_
	.globl	_Z35paged_attention_ll4mi_reduce_kernelI14__hip_bfloat16S0_Li64ELi64ELi256ELi3EEvPT0_PKfS4_PKT_PKiS9_iS4_
	.p2align	8
	.type	_Z35paged_attention_ll4mi_reduce_kernelI14__hip_bfloat16S0_Li64ELi64ELi256ELi3EEvPT0_PKfS4_PKT_PKiS9_iS4_,@function
_Z35paged_attention_ll4mi_reduce_kernelI14__hip_bfloat16S0_Li64ELi64ELi256ELi3EEvPT0_PKfS4_PKT_PKiS9_iS4_: ; @_Z35paged_attention_ll4mi_reduce_kernelI14__hip_bfloat16S0_Li64ELi64ELi256ELi3EEvPT0_PKfS4_PKT_PKiS9_iS4_
; %bb.0:
	s_load_b64 s[12:13], s[0:1], 0x28
	s_mov_b32 s2, s15
	s_waitcnt lgkmcnt(0)
	s_cmp_lg_u64 s[12:13], 0
	s_cselect_b32 s15, -1, 0
	s_delay_alu instid0(SALU_CYCLE_1)
	s_and_b32 vcc_lo, exec_lo, s15
	s_cbranch_vccz .LBB460_21
; %bb.1:
	s_add_i32 s4, s2, 1
	s_mov_b32 s5, 0
	s_delay_alu instid0(SALU_CYCLE_1) | instskip(SKIP_4) | instid1(SALU_CYCLE_1)
	s_lshl_b64 s[6:7], s[4:5], 2
	s_mov_b32 s3, s5
	s_add_u32 s6, s12, s6
	s_addc_u32 s7, s13, s7
	s_lshl_b64 s[8:9], s[2:3], 2
	s_add_u32 s8, s12, s8
	s_addc_u32 s9, s13, s9
	s_clause 0x1
	s_load_b32 s4, s[6:7], 0x0
	s_load_b32 s6, s[8:9], 0x0
	s_waitcnt lgkmcnt(0)
	s_sub_i32 s4, s4, s6
	s_delay_alu instid0(SALU_CYCLE_1)
	s_cmp_eq_u32 s4, 1
	s_cselect_b32 s4, -1, 0
	s_cbranch_execnz .LBB460_3
.LBB460_2:
	s_mov_b32 s3, 0
	s_mov_b32 s4, -1
.LBB460_3:
	s_delay_alu instid0(SALU_CYCLE_1)
	s_and_not1_b32 vcc_lo, exec_lo, s4
	s_cbranch_vccz .LBB460_5
; %bb.4:
	s_endpgm
.LBB460_5:
	s_clause 0x1
	s_load_b128 s[4:7], s[0:1], 0x18
	s_load_b32 s9, s[0:1], 0x30
	s_lshl_b64 s[16:17], s[2:3], 2
	s_waitcnt lgkmcnt(0)
	s_add_u32 s6, s6, s16
	s_addc_u32 s7, s7, s17
	s_load_b32 s20, s[6:7], 0x0
	s_load_b32 s33, s[0:1], 0x40
	s_mul_i32 s7, s2, s9
	s_waitcnt lgkmcnt(0)
	s_add_i32 s50, s20, 0xff
	s_delay_alu instid0(SALU_CYCLE_1) | instskip(NEXT) | instid1(SALU_CYCLE_1)
	s_ashr_i32 s6, s50, 31
	s_lshr_b32 s6, s6, 24
	s_delay_alu instid0(SALU_CYCLE_1) | instskip(SKIP_4) | instid1(SALU_CYCLE_1)
	s_add_i32 s8, s50, s6
	s_mul_i32 s6, s14, s9
	s_mov_b32 s9, exec_lo
	v_cmpx_lt_u32_e32 31, v0
	s_xor_b32 s9, exec_lo, s9
	s_or_saveexec_b32 s22, s9
	v_mov_b32_e32 v1, s6
	s_ashr_i32 s21, s8, 8
	s_mul_i32 s18, s7, s33
	s_xor_b32 exec_lo, exec_lo, s22
	s_cbranch_execz .LBB460_9
; %bb.6:
	s_load_b128 s[8:11], s[0:1], 0x8
	v_or_b32_e32 v2, 32, v0
	v_cmp_gt_i32_e32 vcc_lo, s21, v0
	s_add_i32 s7, s21, -1
	v_or_b32_e32 v4, 64, v0
	s_mov_b32 s19, 0
	v_cndmask_b32_e32 v1, s7, v0, vcc_lo
	v_cmp_gt_i32_e32 vcc_lo, s21, v2
	s_lshl_b64 s[24:25], s[18:19], 2
	v_cndmask_b32_e32 v3, s7, v2, vcc_lo
	v_cmp_gt_i32_e32 vcc_lo, s21, v4
	v_ashrrev_i32_e32 v2, 31, v1
	v_cndmask_b32_e32 v5, s7, v4, vcc_lo
	s_delay_alu instid0(VALU_DEP_4) | instskip(SKIP_1) | instid1(VALU_DEP_3)
	v_ashrrev_i32_e32 v4, 31, v3
	s_mov_b32 s7, s19
	v_lshlrev_b64 v[1:2], 2, v[1:2]
	s_waitcnt lgkmcnt(0)
	s_add_u32 s19, s10, s24
	v_ashrrev_i32_e32 v6, 31, v5
	s_addc_u32 s23, s11, s25
	s_lshl_b64 s[10:11], s[6:7], 2
	v_lshlrev_b64 v[3:4], 2, v[3:4]
	s_add_u32 s7, s19, s10
	s_addc_u32 s19, s23, s11
	v_add_co_u32 v7, vcc_lo, s7, v1
	v_lshlrev_b64 v[5:6], 2, v[5:6]
	v_add_co_ci_u32_e32 v8, vcc_lo, s19, v2, vcc_lo
	v_add_co_u32 v9, vcc_lo, s7, v3
	v_add_co_ci_u32_e32 v10, vcc_lo, s19, v4, vcc_lo
	s_delay_alu instid0(VALU_DEP_4)
	v_add_co_u32 v11, vcc_lo, s7, v5
	v_add_co_ci_u32_e32 v12, vcc_lo, s19, v6, vcc_lo
	s_clause 0x2
	global_load_b32 v7, v[7:8], off
	global_load_b32 v8, v[9:10], off
	;; [unrolled: 1-line block ×3, first 2 shown]
	s_add_u32 s7, s8, s24
	s_addc_u32 s8, s9, s25
	s_add_u32 s7, s7, s10
	s_addc_u32 s8, s8, s11
	v_add_co_u32 v1, vcc_lo, s7, v1
	v_add_co_ci_u32_e32 v2, vcc_lo, s8, v2, vcc_lo
	v_add_co_u32 v3, vcc_lo, s7, v3
	v_add_co_ci_u32_e32 v4, vcc_lo, s8, v4, vcc_lo
	;; [unrolled: 2-line block ×3, first 2 shown]
	s_clause 0x2
	global_load_b32 v1, v[1:2], off
	global_load_b32 v2, v[3:4], off
	;; [unrolled: 1-line block ×3, first 2 shown]
	v_mbcnt_lo_u32_b32 v4, -1, 0
	s_mov_b32 s7, exec_lo
	s_delay_alu instid0(VALU_DEP_1)
	v_xor_b32_e32 v5, 16, v4
	v_xor_b32_e32 v11, 8, v4
	;; [unrolled: 1-line block ×5, first 2 shown]
	v_cmp_gt_i32_e32 vcc_lo, 32, v5
	v_cndmask_b32_e32 v5, v4, v5, vcc_lo
	v_cmp_gt_i32_e32 vcc_lo, 32, v11
	v_cndmask_b32_e32 v11, v4, v11, vcc_lo
	v_cmp_gt_i32_e32 vcc_lo, 32, v12
	s_delay_alu instid0(VALU_DEP_4) | instskip(NEXT) | instid1(VALU_DEP_3)
	v_lshlrev_b32_e32 v5, 2, v5
	v_dual_cndmask_b32 v12, v4, v12 :: v_dual_lshlrev_b32 v11, 2, v11
	v_cmp_gt_i32_e32 vcc_lo, 32, v13
	s_delay_alu instid0(VALU_DEP_2)
	v_lshlrev_b32_e32 v12, 2, v12
	s_waitcnt vmcnt(3)
	v_max3_f32 v6, v7, v8, v9
	ds_bpermute_b32 v10, v5, v6
	s_waitcnt lgkmcnt(0)
	v_max_f32_e32 v10, v10, v10
	s_delay_alu instid0(VALU_DEP_1) | instskip(SKIP_3) | instid1(VALU_DEP_1)
	v_max_f32_e32 v6, v6, v10
	ds_bpermute_b32 v10, v11, v6
	s_waitcnt lgkmcnt(0)
	v_max_f32_e32 v10, v10, v10
	v_max_f32_e32 v6, v6, v10
	ds_bpermute_b32 v10, v12, v6
	s_waitcnt lgkmcnt(0)
	v_dual_max_f32 v10, v10, v10 :: v_dual_cndmask_b32 v13, v4, v13
	v_cmp_gt_i32_e32 vcc_lo, 32, v14
	s_delay_alu instid0(VALU_DEP_2)
	v_dual_max_f32 v6, v6, v10 :: v_dual_lshlrev_b32 v13, 2, v13
	v_cndmask_b32_e32 v4, v4, v14, vcc_lo
	ds_bpermute_b32 v10, v13, v6
	v_lshlrev_b32_e32 v4, 2, v4
	s_waitcnt lgkmcnt(0)
	v_max_f32_e32 v10, v10, v10
	s_delay_alu instid0(VALU_DEP_1) | instskip(SKIP_3) | instid1(VALU_DEP_1)
	v_max_f32_e32 v6, v6, v10
	ds_bpermute_b32 v10, v4, v6
	s_waitcnt lgkmcnt(0)
	v_max_f32_e32 v10, v10, v10
	v_max_f32_e32 v6, v6, v10
	s_delay_alu instid0(VALU_DEP_1) | instskip(NEXT) | instid1(VALU_DEP_1)
	v_sub_f32_e32 v8, v8, v6
	v_mul_f32_e32 v10, 0x3fb8aa3b, v8
	s_delay_alu instid0(VALU_DEP_1) | instskip(SKIP_1) | instid1(VALU_DEP_2)
	v_fma_f32 v17, 0x3fb8aa3b, v8, -v10
	v_rndne_f32_e32 v18, v10
	v_fmac_f32_e32 v17, 0x32a5705f, v8
	v_sub_f32_e32 v7, v7, v6
	s_delay_alu instid0(VALU_DEP_1) | instskip(SKIP_1) | instid1(VALU_DEP_1)
	v_cmp_ngt_f32_e32 vcc_lo, 0xc2ce8ed0, v7
	v_dual_sub_f32 v6, v9, v6 :: v_dual_mul_f32 v9, 0x3fb8aa3b, v7
	v_fma_f32 v15, 0x3fb8aa3b, v7, -v9
	v_rndne_f32_e32 v16, v9
	s_delay_alu instid0(VALU_DEP_2) | instskip(NEXT) | instid1(VALU_DEP_2)
	v_fmac_f32_e32 v15, 0x32a5705f, v7
	v_sub_f32_e32 v9, v9, v16
	s_delay_alu instid0(VALU_DEP_1) | instskip(SKIP_2) | instid1(VALU_DEP_3)
	v_add_f32_e32 v9, v9, v15
	v_cvt_i32_f32_e32 v15, v16
	v_cvt_i32_f32_e32 v16, v18
	v_exp_f32_e32 v9, v9
	s_waitcnt_depctr 0xfff
	v_ldexp_f32 v9, v9, v15
	v_sub_nc_u32_e32 v15, s21, v0
	s_delay_alu instid0(VALU_DEP_2) | instskip(SKIP_2) | instid1(VALU_DEP_3)
	v_dual_cndmask_b32 v9, 0, v9 :: v_dual_mul_f32 v14, 0x3fb8aa3b, v6
	v_sub_f32_e32 v10, v10, v18
	v_cmp_ngt_f32_e32 vcc_lo, 0xc2ce8ed0, v8
	v_fma_f32 v19, 0x3fb8aa3b, v6, -v14
	v_rndne_f32_e32 v20, v14
	s_delay_alu instid0(VALU_DEP_2) | instskip(NEXT) | instid1(VALU_DEP_2)
	v_dual_add_f32 v10, v10, v17 :: v_dual_fmac_f32 v19, 0x32a5705f, v6
	v_sub_f32_e32 v14, v14, v20
	s_delay_alu instid0(VALU_DEP_2) | instskip(SKIP_1) | instid1(VALU_DEP_2)
	v_exp_f32_e32 v10, v10
	v_cvt_i32_f32_e32 v17, v20
	v_add_f32_e32 v14, v14, v19
	s_delay_alu instid0(VALU_DEP_1) | instskip(SKIP_2) | instid1(VALU_DEP_1)
	v_exp_f32_e32 v14, v14
	s_waitcnt_depctr 0xfff
	v_ldexp_f32 v10, v10, v16
	v_cndmask_b32_e32 v10, 0, v10, vcc_lo
	v_cmp_ngt_f32_e32 vcc_lo, 0xc2ce8ed0, v6
	v_ldexp_f32 v14, v14, v17
	s_delay_alu instid0(VALU_DEP_1)
	v_cndmask_b32_e32 v14, 0, v14, vcc_lo
	v_cmp_nlt_f32_e32 vcc_lo, 0x42b17218, v7
	v_cndmask_b32_e32 v7, 0x7f800000, v9, vcc_lo
	v_cmp_nlt_f32_e32 vcc_lo, 0x42b17218, v8
	v_cndmask_b32_e32 v8, 0x7f800000, v10, vcc_lo
	v_cmp_nlt_f32_e32 vcc_lo, 0x42b17218, v6
	v_cndmask_b32_e32 v6, 0x7f800000, v14, vcc_lo
	v_cmp_lt_i32_e32 vcc_lo, 0, v15
	v_cndmask_b32_e32 v7, 0, v7, vcc_lo
	v_cmp_lt_i32_e32 vcc_lo, 32, v15
	s_waitcnt vmcnt(2)
	s_delay_alu instid0(VALU_DEP_2) | instskip(SKIP_2) | instid1(VALU_DEP_2)
	v_dual_mul_f32 v7, v1, v7 :: v_dual_cndmask_b32 v8, 0, v8
	v_cmp_lt_i32_e32 vcc_lo, 64, v15
	s_waitcnt vmcnt(1)
	v_mul_f32_e32 v8, v2, v8
	s_delay_alu instid0(VALU_DEP_1) | instskip(SKIP_1) | instid1(VALU_DEP_1)
	v_dual_cndmask_b32 v6, 0, v6 :: v_dual_add_f32 v1, v7, v8
	s_waitcnt vmcnt(0)
	v_mul_f32_e32 v3, v3, v6
	s_delay_alu instid0(VALU_DEP_1)
	v_add_f32_e32 v1, v1, v3
	ds_bpermute_b32 v2, v5, v1
	s_waitcnt lgkmcnt(0)
	v_add_f32_e32 v1, v1, v2
	ds_bpermute_b32 v2, v11, v1
	s_waitcnt lgkmcnt(0)
	;; [unrolled: 3-line block ×4, first 2 shown]
	v_add_f32_e32 v1, v1, v2
	ds_bpermute_b32 v2, v4, v1
	v_lshlrev_b32_e32 v4, 2, v0
	ds_store_2addr_b32 v4, v7, v8 offset1:32
	ds_store_b32 v4, v3 offset:256
	v_cmpx_eq_u32_e32 0, v0
	s_cbranch_execz .LBB460_8
; %bb.7:
	s_waitcnt lgkmcnt(2)
	v_dual_add_f32 v1, v1, v2 :: v_dual_mov_b32 v2, 0
	ds_store_b32 v2, v1 offset:384
.LBB460_8:
	s_or_b32 exec_lo, exec_lo, s7
	v_mov_b32_e32 v1, s6
.LBB460_9:
	s_or_b32 exec_lo, exec_lo, s22
	s_lshl_b32 s6, s18, 6
	s_mov_b32 s7, 0
	s_waitcnt lgkmcnt(2)
	v_dual_mov_b32 v2, 0 :: v_dual_lshlrev_b32 v1, 6, v1
	s_lshl_b64 s[6:7], s[6:7], 1
	v_lshlrev_b32_e32 v0, 1, v0
	s_add_u32 s34, s4, s6
	s_addc_u32 s35, s5, s7
	s_lshl_b32 s4, s21, 6
	v_lshlrev_b64 v[3:4], 1, v[1:2]
	s_sub_i32 s51, s4, 64
	s_cmpk_lt_i32 s50, 0x100
	v_dual_mov_b32 v32, 0 :: v_dual_mov_b32 v35, 0
	s_cselect_b32 s4, s51, 0
	s_delay_alu instid0(VALU_DEP_2)
	v_add_co_u32 v1, vcc_lo, s34, v3
	s_ashr_i32 s5, s4, 31
	v_add_co_ci_u32_e32 v3, vcc_lo, s35, v4, vcc_lo
	s_lshl_b64 s[4:5], s[4:5], 1
	s_cmpk_lt_i32 s50, 0x200
	v_add_co_u32 v1, vcc_lo, v1, v0
	s_cselect_b32 s6, s51, 64
	v_add_co_ci_u32_e32 v3, vcc_lo, 0, v3, vcc_lo
	s_ashr_i32 s7, s6, 31
	s_delay_alu instid0(VALU_DEP_2)
	v_add_co_u32 v4, vcc_lo, v1, s4
	s_lshl_b64 s[6:7], s[6:7], 1
	s_cmpk_lt_i32 s50, 0x300
	v_add_co_ci_u32_e32 v5, vcc_lo, s5, v3, vcc_lo
	s_cselect_b32 s8, s51, 0x80
	v_add_co_u32 v6, vcc_lo, v1, s6
	s_ashr_i32 s9, s8, 31
	v_add_co_ci_u32_e32 v7, vcc_lo, s7, v3, vcc_lo
	s_lshl_b64 s[8:9], s[8:9], 1
	s_cmpk_lt_i32 s50, 0x400
	v_add_co_u32 v8, vcc_lo, v1, s8
	s_cselect_b32 s10, s51, 0xc0
	v_add_co_ci_u32_e32 v9, vcc_lo, s9, v3, vcc_lo
	s_ashr_i32 s11, s10, 31
	v_mov_b32_e32 v34, 0
	s_lshl_b64 s[10:11], s[10:11], 1
	s_cmpk_lt_i32 s50, 0x500
	v_add_co_u32 v14, vcc_lo, v1, s10
	s_cselect_b32 s18, s51, 0x100
	v_add_co_ci_u32_e32 v15, vcc_lo, s11, v3, vcc_lo
	s_ashr_i32 s19, s18, 31
	v_mov_b32_e32 v33, 0
	s_lshl_b64 s[18:19], s[18:19], 1
	s_cmpk_lt_i32 s50, 0x600
	v_add_co_u32 v16, vcc_lo, v1, s18
	s_cselect_b32 s22, s51, 0x140
	v_add_co_ci_u32_e32 v17, vcc_lo, s19, v3, vcc_lo
	s_ashr_i32 s23, s22, 31
	s_delay_alu instid0(SALU_CYCLE_1)
	s_lshl_b64 s[22:23], s[22:23], 1
	s_cmpk_lt_i32 s50, 0x700
	v_add_co_u32 v18, vcc_lo, v1, s22
	s_cselect_b32 s24, s51, 0x180
	v_add_co_ci_u32_e32 v19, vcc_lo, s23, v3, vcc_lo
	s_ashr_i32 s25, s24, 31
	s_delay_alu instid0(SALU_CYCLE_1)
	;; [unrolled: 7-line block ×3, first 2 shown]
	s_lshl_b64 s[26:27], s[26:27], 1
	s_cmpk_lt_i32 s50, 0x900
	v_add_co_u32 v22, vcc_lo, v1, s26
	s_cselect_b32 s28, s51, 0x200
	v_add_co_ci_u32_e32 v23, vcc_lo, s27, v3, vcc_lo
	s_ashr_i32 s29, s28, 31
	s_clause 0x7
	global_load_u16 v13, v[4:5], off
	global_load_u16 v4, v[6:7], off
	;; [unrolled: 1-line block ×8, first 2 shown]
	s_lshl_b64 s[28:29], s[28:29], 1
	s_cmpk_lt_i32 s50, 0xa00
	v_add_co_u32 v14, vcc_lo, v1, s28
	s_cselect_b32 s30, s51, 0x240
	v_add_co_ci_u32_e32 v15, vcc_lo, s29, v3, vcc_lo
	s_ashr_i32 s31, s30, 31
	s_delay_alu instid0(SALU_CYCLE_1)
	s_lshl_b64 s[30:31], s[30:31], 1
	s_cmpk_lt_i32 s50, 0xb00
	v_add_co_u32 v16, vcc_lo, v1, s30
	s_cselect_b32 s34, s51, 0x280
	v_add_co_ci_u32_e32 v17, vcc_lo, s31, v3, vcc_lo
	s_ashr_i32 s35, s34, 31
	s_delay_alu instid0(SALU_CYCLE_1)
	;; [unrolled: 7-line block ×7, first 2 shown]
	s_lshl_b64 s[4:5], s[6:7], 1
	s_cmpk_gt_i32 s20, 0x1000
	v_add_co_u32 v30, vcc_lo, v1, s4
	v_add_co_ci_u32_e32 v31, vcc_lo, s5, v3, vcc_lo
	s_clause 0x7
	global_load_u16 v19, v[14:15], off
	global_load_u16 v18, v[16:17], off
	;; [unrolled: 1-line block ×8, first 2 shown]
	v_dual_mov_b32 v20, 0 :: v_dual_mov_b32 v23, 0
	v_dual_mov_b32 v21, 0 :: v_dual_mov_b32 v22, 0
	;; [unrolled: 1-line block ×6, first 2 shown]
	s_cselect_b32 s6, -1, 0
	s_cmpk_lt_i32 s20, 0x1001
	s_waitcnt vmcnt(0) lgkmcnt(0)
	s_barrier
	buffer_gl0_inv
	s_cbranch_scc1 .LBB460_11
; %bb.10:
	s_cmpk_lt_i32 s50, 0x1100
	s_cselect_b32 s4, s51, 0x400
	s_delay_alu instid0(SALU_CYCLE_1) | instskip(NEXT) | instid1(SALU_CYCLE_1)
	s_ashr_i32 s5, s4, 31
	s_lshl_b64 s[4:5], s[4:5], 1
	s_cmpk_lt_i32 s50, 0x1200
	v_add_co_u32 v20, vcc_lo, v1, s4
	s_cselect_b32 s8, s51, 0x440
	v_add_co_ci_u32_e32 v21, vcc_lo, s5, v3, vcc_lo
	s_ashr_i32 s9, s8, 31
	s_delay_alu instid0(SALU_CYCLE_1)
	s_lshl_b64 s[8:9], s[8:9], 1
	s_cmpk_lt_i32 s50, 0x1300
	v_add_co_u32 v22, vcc_lo, v1, s8
	s_cselect_b32 s10, s51, 0x480
	v_add_co_ci_u32_e32 v23, vcc_lo, s9, v3, vcc_lo
	s_ashr_i32 s11, s10, 31
	s_delay_alu instid0(SALU_CYCLE_1)
	;; [unrolled: 7-line block ×14, first 2 shown]
	s_lshl_b64 s[4:5], s[18:19], 1
	s_cmpk_lt_i32 s50, 0x2000
	v_add_co_u32 v48, vcc_lo, v1, s4
	s_cselect_b32 s8, s51, 0x7c0
	v_add_co_ci_u32_e32 v49, vcc_lo, s5, v3, vcc_lo
	s_ashr_i32 s9, s8, 31
	s_delay_alu instid0(SALU_CYCLE_1) | instskip(NEXT) | instid1(SALU_CYCLE_1)
	s_lshl_b64 s[4:5], s[8:9], 1
	v_add_co_u32 v50, vcc_lo, v1, s4
	v_add_co_ci_u32_e32 v51, vcc_lo, s5, v3, vcc_lo
	s_clause 0xf
	global_load_u16 v20, v[20:21], off
	global_load_u16 v21, v[22:23], off
	;; [unrolled: 1-line block ×16, first 2 shown]
	s_waitcnt vmcnt(15)
	v_lshlrev_b32_e32 v35, 16, v20
	s_waitcnt vmcnt(14)
	v_lshlrev_b32_e32 v34, 16, v21
	s_waitcnt vmcnt(13)
	v_lshlrev_b32_e32 v33, 16, v22
	s_waitcnt vmcnt(12)
	v_lshlrev_b32_e32 v32, 16, v23
	s_waitcnt vmcnt(11)
	v_lshlrev_b32_e32 v31, 16, v24
	s_waitcnt vmcnt(10)
	v_lshlrev_b32_e32 v30, 16, v25
	s_waitcnt vmcnt(9)
	v_lshlrev_b32_e32 v29, 16, v26
	s_waitcnt vmcnt(8)
	v_lshlrev_b32_e32 v28, 16, v27
	s_waitcnt vmcnt(7)
	v_lshlrev_b32_e32 v27, 16, v36
	s_waitcnt vmcnt(6)
	v_lshlrev_b32_e32 v26, 16, v37
	s_waitcnt vmcnt(5)
	v_lshlrev_b32_e32 v25, 16, v38
	s_waitcnt vmcnt(4)
	v_lshlrev_b32_e32 v24, 16, v39
	s_waitcnt vmcnt(3)
	v_lshlrev_b32_e32 v23, 16, v40
	s_waitcnt vmcnt(2)
	v_lshlrev_b32_e32 v22, 16, v41
	s_waitcnt vmcnt(1)
	v_lshlrev_b32_e32 v20, 16, v42
	s_waitcnt vmcnt(0)
	v_lshlrev_b32_e32 v21, 16, v43
.LBB460_11:
	ds_load_b128 v[36:39], v2
	ds_load_b128 v[40:43], v2 offset:16
	v_lshlrev_b32_e32 v44, 16, v4
	v_lshlrev_b32_e32 v13, 16, v13
	;; [unrolled: 1-line block ×4, first 2 shown]
	s_and_not1_b32 vcc_lo, exec_lo, s6
	v_lshlrev_b32_e32 v5, 16, v5
	s_waitcnt lgkmcnt(1)
	v_fma_f32 v4, v36, v13, 0
	s_delay_alu instid0(VALU_DEP_1) | instskip(SKIP_1) | instid1(VALU_DEP_1)
	v_dual_fmac_f32 v4, v37, v44 :: v_dual_lshlrev_b32 v9, 16, v9
	v_lshlrev_b32_e32 v11, 16, v11
	v_dual_fmac_f32 v4, v38, v11 :: v_dual_lshlrev_b32 v11, 16, v18
	s_delay_alu instid0(VALU_DEP_1) | instskip(SKIP_3) | instid1(VALU_DEP_1)
	v_dual_fmac_f32 v4, v39, v9 :: v_dual_lshlrev_b32 v7, 16, v7
	ds_load_b128 v[36:39], v2 offset:32
	s_waitcnt lgkmcnt(1)
	v_dual_fmac_f32 v4, v40, v8 :: v_dual_lshlrev_b32 v9, 16, v19
	v_fmac_f32_e32 v4, v41, v7
	s_delay_alu instid0(VALU_DEP_1) | instskip(NEXT) | instid1(VALU_DEP_1)
	v_fmac_f32_e32 v4, v42, v6
	v_fmac_f32_e32 v4, v43, v5
	ds_load_b128 v[5:8], v2 offset:48
	s_waitcnt lgkmcnt(1)
	v_fmac_f32_e32 v4, v36, v9
	s_delay_alu instid0(VALU_DEP_1) | instskip(NEXT) | instid1(VALU_DEP_1)
	v_dual_fmac_f32 v4, v37, v11 :: v_dual_lshlrev_b32 v9, 16, v17
	v_dual_fmac_f32 v4, v38, v9 :: v_dual_lshlrev_b32 v11, 16, v16
	v_lshlrev_b32_e32 v9, 16, v15
	s_delay_alu instid0(VALU_DEP_2) | instskip(SKIP_1) | instid1(VALU_DEP_1)
	v_dual_fmac_f32 v4, v39, v11 :: v_dual_lshlrev_b32 v11, 16, v14
	s_waitcnt lgkmcnt(0)
	v_dual_fmac_f32 v4, v5, v9 :: v_dual_lshlrev_b32 v5, 16, v12
	s_delay_alu instid0(VALU_DEP_1) | instskip(NEXT) | instid1(VALU_DEP_1)
	v_fmac_f32_e32 v4, v6, v11
	v_dual_fmac_f32 v4, v7, v5 :: v_dual_lshlrev_b32 v5, 16, v10
	s_delay_alu instid0(VALU_DEP_1)
	v_fmac_f32_e32 v4, v8, v5
	s_cbranch_vccz .LBB460_22
; %bb.12:
	s_cmpk_lt_i32 s50, 0x2100
	s_cbranch_scc0 .LBB460_23
.LBB460_13:
	s_cmpk_lt_i32 s50, 0x4100
	s_cbranch_scc0 .LBB460_24
.LBB460_14:
	v_mov_b32_e32 v1, 0
	s_and_not1_b32 vcc_lo, exec_lo, s15
	ds_load_b32 v1, v1 offset:384
	s_cbranch_vccnz .LBB460_16
.LBB460_15:
	s_add_u32 s2, s12, s16
	s_addc_u32 s3, s13, s17
	s_load_b32 s2, s[2:3], 0x0
	s_mov_b32 s3, 0
.LBB460_16:
	s_waitcnt lgkmcnt(0)
	v_add_f32_e32 v1, 0x358637bd, v1
	s_load_b64 s[0:1], s[0:1], 0x0
	s_delay_alu instid0(VALU_DEP_1) | instskip(NEXT) | instid1(VALU_DEP_1)
	v_div_scale_f32 v2, null, v1, v1, 1.0
	v_rcp_f32_e32 v3, v2
	s_waitcnt_depctr 0xfff
	v_fma_f32 v5, -v2, v3, 1.0
	s_delay_alu instid0(VALU_DEP_1) | instskip(SKIP_1) | instid1(VALU_DEP_1)
	v_fmac_f32_e32 v3, v5, v3
	v_div_scale_f32 v5, vcc_lo, 1.0, v1, 1.0
	v_mul_f32_e32 v6, v5, v3
	s_delay_alu instid0(VALU_DEP_1) | instskip(NEXT) | instid1(VALU_DEP_1)
	v_fma_f32 v7, -v2, v6, v5
	v_fmac_f32_e32 v6, v7, v3
	s_delay_alu instid0(VALU_DEP_1) | instskip(NEXT) | instid1(VALU_DEP_1)
	v_fma_f32 v2, -v2, v6, v5
	v_div_fmas_f32 v2, v2, v3, v6
	s_delay_alu instid0(VALU_DEP_1) | instskip(NEXT) | instid1(VALU_DEP_1)
	v_div_fixup_f32 v1, v2, v1, 1.0
	v_mul_f32_e32 v2, v4, v1
	s_delay_alu instid0(VALU_DEP_1) | instskip(NEXT) | instid1(VALU_DEP_1)
	v_and_b32_e32 v1, 0x7f800000, v2
	v_cmp_ne_u32_e32 vcc_lo, 0x7f800000, v1
                                        ; implicit-def: $vgpr1
	s_and_saveexec_b32 s4, vcc_lo
	s_delay_alu instid0(SALU_CYCLE_1)
	s_xor_b32 s4, exec_lo, s4
; %bb.17:
	v_bfe_u32 v1, v2, 16, 1
	s_delay_alu instid0(VALU_DEP_1)
	v_add3_u32 v1, v2, v1, 0x7fff
                                        ; implicit-def: $vgpr2
; %bb.18:
	s_and_not1_saveexec_b32 s4, s4
; %bb.19:
	v_and_b32_e32 v1, 0xffff, v2
	v_or_b32_e32 v3, 0x10000, v2
	s_delay_alu instid0(VALU_DEP_2) | instskip(NEXT) | instid1(VALU_DEP_2)
	v_cmp_eq_u32_e32 vcc_lo, 0, v1
	v_cndmask_b32_e32 v1, v3, v2, vcc_lo
; %bb.20:
	s_or_b32 exec_lo, exec_lo, s4
	s_mul_i32 s3, s33, s3
	s_mul_hi_u32 s4, s33, s2
	s_mul_i32 s2, s33, s2
	s_add_i32 s3, s4, s3
	s_mov_b32 s15, 0
	s_lshl_b64 s[2:3], s[2:3], 7
	s_waitcnt lgkmcnt(0)
	s_add_u32 s2, s0, s2
	s_addc_u32 s3, s1, s3
	s_lshl_b64 s[0:1], s[14:15], 7
	s_delay_alu instid0(SALU_CYCLE_1)
	s_add_u32 s0, s2, s0
	s_addc_u32 s1, s3, s1
	global_store_d16_hi_b16 v0, v1, s[0:1]
	s_nop 0
	s_sendmsg sendmsg(MSG_DEALLOC_VGPRS)
	s_endpgm
.LBB460_21:
	s_mov_b32 s4, 0
	s_branch .LBB460_2
.LBB460_22:
	ds_load_b128 v[5:8], v2 offset:64
	ds_load_b128 v[9:12], v2 offset:80
	s_waitcnt lgkmcnt(1)
	v_fmac_f32_e32 v4, v5, v35
	s_delay_alu instid0(VALU_DEP_1) | instskip(NEXT) | instid1(VALU_DEP_1)
	v_fmac_f32_e32 v4, v6, v34
	v_fmac_f32_e32 v4, v7, v33
	s_delay_alu instid0(VALU_DEP_1) | instskip(SKIP_3) | instid1(VALU_DEP_1)
	v_fmac_f32_e32 v4, v8, v32
	ds_load_b128 v[5:8], v2 offset:96
	s_waitcnt lgkmcnt(1)
	v_fmac_f32_e32 v4, v9, v31
	v_fmac_f32_e32 v4, v10, v30
	s_delay_alu instid0(VALU_DEP_1) | instskip(NEXT) | instid1(VALU_DEP_1)
	v_fmac_f32_e32 v4, v11, v29
	v_fmac_f32_e32 v4, v12, v28
	ds_load_b128 v[9:12], v2 offset:112
	s_waitcnt lgkmcnt(1)
	v_fmac_f32_e32 v4, v5, v27
	s_delay_alu instid0(VALU_DEP_1) | instskip(NEXT) | instid1(VALU_DEP_1)
	v_fmac_f32_e32 v4, v6, v26
	v_fmac_f32_e32 v4, v7, v25
	s_delay_alu instid0(VALU_DEP_1) | instskip(SKIP_1) | instid1(VALU_DEP_1)
	v_fmac_f32_e32 v4, v8, v24
	s_waitcnt lgkmcnt(0)
	v_fmac_f32_e32 v4, v9, v23
	s_delay_alu instid0(VALU_DEP_1) | instskip(NEXT) | instid1(VALU_DEP_1)
	v_fmac_f32_e32 v4, v10, v22
	v_fmac_f32_e32 v4, v11, v21
	s_delay_alu instid0(VALU_DEP_1)
	v_fmac_f32_e32 v4, v12, v20
	s_cmpk_lt_i32 s50, 0x2100
	s_cbranch_scc1 .LBB460_13
.LBB460_23:
	s_cmpk_lt_u32 s50, 0x2200
	v_add_co_u32 v5, vcc_lo, 0x1000, v1
	s_cselect_b32 s4, s51, 0x840
	v_add_co_ci_u32_e32 v6, vcc_lo, 0, v3, vcc_lo
	s_ashr_i32 s5, s4, 31
	v_mov_b32_e32 v44, 0
	s_lshl_b64 s[4:5], s[4:5], 1
	s_cmpk_lt_u32 s50, 0x2300
	global_load_u16 v2, v[5:6], off
	s_cselect_b32 s6, s51, 0x880
	v_add_co_u32 v5, vcc_lo, v1, s4
	s_ashr_i32 s7, s6, 31
	v_add_co_ci_u32_e32 v6, vcc_lo, s5, v3, vcc_lo
	s_lshl_b64 s[8:9], s[6:7], 1
	s_cmpk_lt_u32 s50, 0x2400
	v_add_co_u32 v7, vcc_lo, v1, s8
	s_cselect_b32 s6, s51, 0x8c0
	v_add_co_ci_u32_e32 v8, vcc_lo, s9, v3, vcc_lo
	s_ashr_i32 s7, s6, 31
	s_delay_alu instid0(SALU_CYCLE_1)
	s_lshl_b64 s[18:19], s[6:7], 1
	s_cmpk_lt_u32 s50, 0x2500
	v_add_co_u32 v9, vcc_lo, v1, s18
	s_cselect_b32 s6, s51, 0x900
	v_add_co_ci_u32_e32 v10, vcc_lo, s19, v3, vcc_lo
	s_ashr_i32 s7, s6, 31
	s_delay_alu instid0(SALU_CYCLE_1)
	s_lshl_b64 s[24:25], s[6:7], 1
	s_cmpk_lt_u32 s50, 0x2600
	v_add_co_u32 v11, vcc_lo, v1, s24
	s_cselect_b32 s6, s51, 0x940
	v_add_co_ci_u32_e32 v12, vcc_lo, s25, v3, vcc_lo
	s_ashr_i32 s7, s6, 31
	s_clause 0x3
	global_load_u16 v13, v[5:6], off
	global_load_u16 v14, v[7:8], off
	;; [unrolled: 1-line block ×4, first 2 shown]
	s_lshl_b64 s[6:7], s[6:7], 1
	s_cmpk_lt_u32 s50, 0x2700
	v_add_co_u32 v5, vcc_lo, v1, s6
	s_cselect_b32 s10, s51, 0x980
	v_add_co_ci_u32_e32 v6, vcc_lo, s7, v3, vcc_lo
	s_ashr_i32 s11, s10, 31
	s_delay_alu instid0(SALU_CYCLE_1)
	s_lshl_b64 s[10:11], s[10:11], 1
	s_cmpk_lt_u32 s50, 0x2800
	v_add_co_u32 v7, vcc_lo, v1, s10
	s_cselect_b32 s20, s51, 0x9c0
	v_add_co_ci_u32_e32 v8, vcc_lo, s11, v3, vcc_lo
	s_ashr_i32 s21, s20, 31
	s_delay_alu instid0(SALU_CYCLE_1)
	;; [unrolled: 7-line block ×3, first 2 shown]
	s_lshl_b64 s[30:31], s[20:21], 1
	s_cmpk_lt_u32 s50, 0x2a00
	v_add_co_u32 v11, vcc_lo, v1, s30
	s_cselect_b32 s20, s51, 0xa40
	v_add_co_ci_u32_e32 v12, vcc_lo, s31, v3, vcc_lo
	s_ashr_i32 s21, s20, 31
	s_clause 0x3
	global_load_u16 v17, v[5:6], off
	global_load_u16 v18, v[7:8], off
	;; [unrolled: 1-line block ×4, first 2 shown]
	s_lshl_b64 s[20:21], s[20:21], 1
	s_cmpk_lt_u32 s50, 0x2b00
	v_add_co_u32 v5, vcc_lo, v1, s20
	s_cselect_b32 s26, s51, 0xa80
	v_add_co_ci_u32_e32 v6, vcc_lo, s21, v3, vcc_lo
	s_ashr_i32 s27, s26, 31
	s_delay_alu instid0(SALU_CYCLE_1)
	s_lshl_b64 s[26:27], s[26:27], 1
	s_cmpk_lt_u32 s50, 0x2c00
	v_add_co_u32 v7, vcc_lo, v1, s26
	s_cselect_b32 s28, s51, 0xac0
	v_add_co_ci_u32_e32 v8, vcc_lo, s27, v3, vcc_lo
	s_ashr_i32 s29, s28, 31
	global_load_u16 v21, v[5:6], off
	s_lshl_b64 s[34:35], s[28:29], 1
	s_cmpk_lt_u32 s50, 0x2d00
	v_add_co_u32 v9, vcc_lo, v1, s34
	s_cselect_b32 s28, s51, 0xb00
	v_add_co_ci_u32_e32 v10, vcc_lo, s35, v3, vcc_lo
	s_ashr_i32 s29, s28, 31
	s_delay_alu instid0(SALU_CYCLE_1)
	s_lshl_b64 s[38:39], s[28:29], 1
	s_cmpk_lt_u32 s50, 0x2e00
	v_add_co_u32 v11, vcc_lo, v1, s38
	s_cselect_b32 s28, s51, 0xb40
	v_add_co_ci_u32_e32 v12, vcc_lo, s39, v3, vcc_lo
	s_ashr_i32 s29, s28, 31
	s_clause 0x2
	global_load_u16 v22, v[7:8], off
	global_load_u16 v23, v[9:10], off
	;; [unrolled: 1-line block ×3, first 2 shown]
	s_lshl_b64 s[28:29], s[28:29], 1
	s_cmpk_lt_u32 s50, 0x2f00
	v_add_co_u32 v5, vcc_lo, v1, s28
	s_cselect_b32 s36, s51, 0xb80
	v_add_co_ci_u32_e32 v6, vcc_lo, s29, v3, vcc_lo
	s_ashr_i32 s37, s36, 31
	s_delay_alu instid0(SALU_CYCLE_1)
	s_lshl_b64 s[36:37], s[36:37], 1
	s_cmpk_lt_u32 s50, 0x3000
	v_add_co_u32 v7, vcc_lo, v1, s36
	s_cselect_b32 s40, s51, 0xbc0
	v_add_co_ci_u32_e32 v8, vcc_lo, s37, v3, vcc_lo
	s_ashr_i32 s41, s40, 31
	global_load_u16 v25, v[5:6], off
	s_lshl_b64 s[40:41], s[40:41], 1
	global_load_u16 v26, v[7:8], off
	s_cmpk_lt_u32 s50, 0x3100
	v_add_co_u32 v9, vcc_lo, v1, s40
	s_cselect_b32 s42, s51, 0xc00
	v_add_co_ci_u32_e32 v10, vcc_lo, s41, v3, vcc_lo
	s_ashr_i32 s43, s42, 31
	s_delay_alu instid0(SALU_CYCLE_1)
	s_lshl_b64 s[42:43], s[42:43], 1
	global_load_u16 v27, v[9:10], off
	s_cmpk_lt_u32 s50, 0x3200
	v_add_co_u32 v5, vcc_lo, v1, s42
	s_cselect_b32 s44, s51, 0xc40
	v_add_co_ci_u32_e32 v6, vcc_lo, s43, v3, vcc_lo
	s_ashr_i32 s45, s44, 31
	s_delay_alu instid0(SALU_CYCLE_1)
	s_lshl_b64 s[44:45], s[44:45], 1
	s_cmpk_lt_u32 s50, 0x3300
	v_add_co_u32 v7, vcc_lo, v1, s44
	s_cselect_b32 s46, s51, 0xc80
	v_add_co_ci_u32_e32 v8, vcc_lo, s45, v3, vcc_lo
	s_ashr_i32 s47, s46, 31
	global_load_u16 v28, v[5:6], off
	s_lshl_b64 s[46:47], s[46:47], 1
	global_load_u16 v29, v[7:8], off
	s_cmpk_lt_u32 s50, 0x3400
	v_add_co_u32 v9, vcc_lo, v1, s46
	s_cselect_b32 s48, s51, 0xcc0
	v_add_co_ci_u32_e32 v10, vcc_lo, s47, v3, vcc_lo
	s_ashr_i32 s49, s48, 31
	s_delay_alu instid0(SALU_CYCLE_1)
	s_lshl_b64 s[48:49], s[48:49], 1
	s_cmpk_lt_u32 s50, 0x3500
	v_add_co_u32 v5, vcc_lo, v1, s48
	s_cselect_b32 s4, s51, 0xd00
	v_add_co_ci_u32_e32 v6, vcc_lo, s49, v3, vcc_lo
	s_ashr_i32 s5, s4, 31
	global_load_u16 v30, v[9:10], off
	s_lshl_b64 s[4:5], s[4:5], 1
	s_cmpk_lt_u32 s50, 0x3600
	v_add_co_u32 v7, vcc_lo, v1, s4
	s_cselect_b32 s8, s51, 0xd40
	v_add_co_ci_u32_e32 v8, vcc_lo, s5, v3, vcc_lo
	s_ashr_i32 s9, s8, 31
	global_load_u16 v31, v[5:6], off
	s_lshl_b64 s[6:7], s[8:9], 1
	global_load_u16 v32, v[7:8], off
	s_cmpk_lt_u32 s50, 0x3700
	v_add_co_u32 v5, vcc_lo, v1, s6
	s_cselect_b32 s8, s51, 0xd80
	v_add_co_ci_u32_e32 v6, vcc_lo, s7, v3, vcc_lo
	s_ashr_i32 s9, s8, 31
	s_delay_alu instid0(SALU_CYCLE_1)
	s_lshl_b64 s[8:9], s[8:9], 1
	s_cmpk_lt_u32 s50, 0x3800
	v_add_co_u32 v7, vcc_lo, v1, s8
	s_cselect_b32 s10, s51, 0xdc0
	v_add_co_ci_u32_e32 v8, vcc_lo, s9, v3, vcc_lo
	s_ashr_i32 s11, s10, 31
	global_load_u16 v33, v[5:6], off
	s_lshl_b64 s[10:11], s[10:11], 1
	global_load_u16 v34, v[7:8], off
	s_cmpk_lt_u32 s50, 0x3900
	v_add_co_u32 v5, vcc_lo, v1, s10
	s_cselect_b32 s18, s51, 0xe00
	v_add_co_ci_u32_e32 v6, vcc_lo, s11, v3, vcc_lo
	s_ashr_i32 s19, s18, 31
	s_delay_alu instid0(SALU_CYCLE_1)
	;; [unrolled: 15-line block ×5, first 2 shown]
	s_lshl_b64 s[4:5], s[8:9], 1
	s_cmpk_lt_u32 s50, 0x4000
	v_add_co_u32 v7, vcc_lo, v1, s4
	s_cselect_b32 s6, s51, 0xfc0
	v_add_co_ci_u32_e32 v8, vcc_lo, s5, v3, vcc_lo
	s_ashr_i32 s7, s6, 31
	global_load_u16 v41, v[5:6], off
	s_lshl_b64 s[4:5], s[6:7], 1
	global_load_u16 v42, v[7:8], off
	v_add_co_u32 v5, vcc_lo, v1, s4
	v_add_co_ci_u32_e32 v6, vcc_lo, s5, v3, vcc_lo
	global_load_u16 v43, v[5:6], off
	ds_load_b128 v[5:8], v44 offset:128
	ds_load_b128 v[9:12], v44 offset:144
	s_waitcnt vmcnt(31)
	v_lshlrev_b32_e32 v2, 16, v2
	s_waitcnt lgkmcnt(1)
	s_delay_alu instid0(VALU_DEP_1) | instskip(SKIP_2) | instid1(VALU_DEP_1)
	v_fmac_f32_e32 v4, v5, v2
	s_waitcnt vmcnt(30)
	v_lshlrev_b32_e32 v2, 16, v13
	v_fmac_f32_e32 v4, v6, v2
	s_waitcnt vmcnt(29)
	v_lshlrev_b32_e32 v2, 16, v14
	s_delay_alu instid0(VALU_DEP_1) | instskip(SKIP_2) | instid1(VALU_DEP_1)
	v_fmac_f32_e32 v4, v7, v2
	s_waitcnt vmcnt(28)
	v_lshlrev_b32_e32 v2, 16, v15
	v_fmac_f32_e32 v4, v8, v2
	s_waitcnt vmcnt(27)
	v_lshlrev_b32_e32 v2, 16, v16
	ds_load_b128 v[5:8], v44 offset:160
	s_waitcnt lgkmcnt(1)
	v_fmac_f32_e32 v4, v9, v2
	s_waitcnt vmcnt(26)
	v_lshlrev_b32_e32 v2, 16, v17
	s_delay_alu instid0(VALU_DEP_1) | instskip(SKIP_2) | instid1(VALU_DEP_1)
	v_fmac_f32_e32 v4, v10, v2
	s_waitcnt vmcnt(25)
	v_lshlrev_b32_e32 v2, 16, v18
	v_fmac_f32_e32 v4, v11, v2
	s_waitcnt vmcnt(24)
	v_lshlrev_b32_e32 v2, 16, v19
	s_delay_alu instid0(VALU_DEP_1) | instskip(SKIP_4) | instid1(VALU_DEP_1)
	v_fmac_f32_e32 v4, v12, v2
	ds_load_b128 v[9:12], v44 offset:176
	s_waitcnt vmcnt(23)
	v_lshlrev_b32_e32 v2, 16, v20
	s_waitcnt lgkmcnt(1)
	v_fmac_f32_e32 v4, v5, v2
	s_waitcnt vmcnt(22)
	v_lshlrev_b32_e32 v2, 16, v21
	s_delay_alu instid0(VALU_DEP_1) | instskip(SKIP_2) | instid1(VALU_DEP_1)
	v_fmac_f32_e32 v4, v6, v2
	s_waitcnt vmcnt(21)
	v_lshlrev_b32_e32 v2, 16, v22
	v_fmac_f32_e32 v4, v7, v2
	s_waitcnt vmcnt(20)
	v_lshlrev_b32_e32 v2, 16, v23
	s_delay_alu instid0(VALU_DEP_1)
	v_fmac_f32_e32 v4, v8, v2
	s_waitcnt vmcnt(19)
	v_lshlrev_b32_e32 v2, 16, v24
	ds_load_b128 v[5:8], v44 offset:192
	s_waitcnt lgkmcnt(1)
	v_fmac_f32_e32 v4, v9, v2
	s_waitcnt vmcnt(18)
	v_lshlrev_b32_e32 v2, 16, v25
	s_delay_alu instid0(VALU_DEP_1) | instskip(SKIP_2) | instid1(VALU_DEP_1)
	v_fmac_f32_e32 v4, v10, v2
	s_waitcnt vmcnt(17)
	v_lshlrev_b32_e32 v2, 16, v26
	v_fmac_f32_e32 v4, v11, v2
	s_waitcnt vmcnt(16)
	v_lshlrev_b32_e32 v2, 16, v27
	s_delay_alu instid0(VALU_DEP_1) | instskip(SKIP_4) | instid1(VALU_DEP_1)
	v_fmac_f32_e32 v4, v12, v2
	ds_load_b128 v[9:12], v44 offset:208
	s_waitcnt vmcnt(15)
	v_lshlrev_b32_e32 v2, 16, v28
	s_waitcnt lgkmcnt(1)
	v_fmac_f32_e32 v4, v5, v2
	s_waitcnt vmcnt(14)
	v_lshlrev_b32_e32 v2, 16, v29
	s_delay_alu instid0(VALU_DEP_1) | instskip(SKIP_2) | instid1(VALU_DEP_1)
	v_fmac_f32_e32 v4, v6, v2
	s_waitcnt vmcnt(13)
	v_lshlrev_b32_e32 v2, 16, v30
	v_fmac_f32_e32 v4, v7, v2
	s_waitcnt vmcnt(12)
	v_lshlrev_b32_e32 v2, 16, v31
	s_delay_alu instid0(VALU_DEP_1)
	v_fmac_f32_e32 v4, v8, v2
	s_waitcnt vmcnt(11)
	v_lshlrev_b32_e32 v2, 16, v32
	ds_load_b128 v[5:8], v44 offset:224
	s_waitcnt lgkmcnt(1)
	v_fmac_f32_e32 v4, v9, v2
	s_waitcnt vmcnt(10)
	v_lshlrev_b32_e32 v2, 16, v33
	s_delay_alu instid0(VALU_DEP_1) | instskip(SKIP_2) | instid1(VALU_DEP_1)
	v_fmac_f32_e32 v4, v10, v2
	s_waitcnt vmcnt(9)
	v_lshlrev_b32_e32 v2, 16, v34
	v_fmac_f32_e32 v4, v11, v2
	s_waitcnt vmcnt(8)
	v_lshlrev_b32_e32 v2, 16, v35
	s_delay_alu instid0(VALU_DEP_1) | instskip(SKIP_4) | instid1(VALU_DEP_1)
	v_fmac_f32_e32 v4, v12, v2
	ds_load_b128 v[9:12], v44 offset:240
	s_waitcnt vmcnt(7)
	v_lshlrev_b32_e32 v2, 16, v36
	s_waitcnt lgkmcnt(1)
	v_fmac_f32_e32 v4, v5, v2
	s_waitcnt vmcnt(6)
	v_lshlrev_b32_e32 v2, 16, v37
	s_delay_alu instid0(VALU_DEP_1) | instskip(SKIP_2) | instid1(VALU_DEP_1)
	v_fmac_f32_e32 v4, v6, v2
	s_waitcnt vmcnt(5)
	v_lshlrev_b32_e32 v2, 16, v38
	v_fmac_f32_e32 v4, v7, v2
	s_waitcnt vmcnt(4)
	v_lshlrev_b32_e32 v2, 16, v39
	s_delay_alu instid0(VALU_DEP_1) | instskip(SKIP_3) | instid1(VALU_DEP_1)
	v_fmac_f32_e32 v4, v8, v2
	s_waitcnt vmcnt(3)
	v_lshlrev_b32_e32 v2, 16, v40
	s_waitcnt lgkmcnt(0)
	v_fmac_f32_e32 v4, v9, v2
	s_waitcnt vmcnt(2)
	v_lshlrev_b32_e32 v2, 16, v41
	s_delay_alu instid0(VALU_DEP_1) | instskip(SKIP_2) | instid1(VALU_DEP_1)
	v_fmac_f32_e32 v4, v10, v2
	s_waitcnt vmcnt(1)
	v_lshlrev_b32_e32 v2, 16, v42
	v_fmac_f32_e32 v4, v11, v2
	s_waitcnt vmcnt(0)
	v_lshlrev_b32_e32 v2, 16, v43
	s_delay_alu instid0(VALU_DEP_1)
	v_fmac_f32_e32 v4, v12, v2
	s_cmpk_lt_i32 s50, 0x4100
	s_cbranch_scc1 .LBB460_14
.LBB460_24:
	s_cmpk_lt_u32 s50, 0x4200
	v_add_co_u32 v5, vcc_lo, 0x2000, v1
	s_cselect_b32 s4, s51, 0x1040
	v_add_co_ci_u32_e32 v6, vcc_lo, 0, v3, vcc_lo
	s_ashr_i32 s5, s4, 31
	s_delay_alu instid0(SALU_CYCLE_1)
	s_lshl_b64 s[4:5], s[4:5], 1
	s_cmpk_lt_u32 s50, 0x4300
	global_load_u16 v13, v[5:6], off
	s_cselect_b32 s6, s51, 0x1080
	v_add_co_u32 v5, vcc_lo, v1, s4
	s_ashr_i32 s7, s6, 31
	v_add_co_ci_u32_e32 v6, vcc_lo, s5, v3, vcc_lo
	s_lshl_b64 s[8:9], s[6:7], 1
	s_cmpk_lt_u32 s50, 0x4400
	v_add_co_u32 v7, vcc_lo, v1, s8
	s_cselect_b32 s6, s51, 0x10c0
	v_add_co_ci_u32_e32 v8, vcc_lo, s9, v3, vcc_lo
	s_ashr_i32 s7, s6, 31
	s_delay_alu instid0(SALU_CYCLE_1)
	s_lshl_b64 s[18:19], s[6:7], 1
	s_cmpk_lt_u32 s50, 0x4500
	v_add_co_u32 v9, vcc_lo, v1, s18
	s_cselect_b32 s6, s51, 0x1100
	v_add_co_ci_u32_e32 v10, vcc_lo, s19, v3, vcc_lo
	s_ashr_i32 s7, s6, 31
	s_delay_alu instid0(SALU_CYCLE_1)
	s_lshl_b64 s[24:25], s[6:7], 1
	s_cmpk_lt_u32 s50, 0x4600
	v_add_co_u32 v11, vcc_lo, v1, s24
	s_cselect_b32 s6, s51, 0x1140
	v_add_co_ci_u32_e32 v12, vcc_lo, s25, v3, vcc_lo
	s_ashr_i32 s7, s6, 31
	s_clause 0x3
	global_load_u16 v14, v[5:6], off
	global_load_u16 v15, v[7:8], off
	;; [unrolled: 1-line block ×4, first 2 shown]
	s_lshl_b64 s[6:7], s[6:7], 1
	s_cmpk_lt_u32 s50, 0x4700
	v_add_co_u32 v5, vcc_lo, v1, s6
	s_cselect_b32 s10, s51, 0x1180
	v_add_co_ci_u32_e32 v6, vcc_lo, s7, v3, vcc_lo
	s_ashr_i32 s11, s10, 31
	s_delay_alu instid0(SALU_CYCLE_1)
	s_lshl_b64 s[10:11], s[10:11], 1
	s_cmpk_lt_u32 s50, 0x4800
	v_add_co_u32 v7, vcc_lo, v1, s10
	s_cselect_b32 s20, s51, 0x11c0
	v_add_co_ci_u32_e32 v8, vcc_lo, s11, v3, vcc_lo
	s_ashr_i32 s21, s20, 31
	s_delay_alu instid0(SALU_CYCLE_1)
	;; [unrolled: 7-line block ×3, first 2 shown]
	s_lshl_b64 s[30:31], s[20:21], 1
	s_cmpk_lt_u32 s50, 0x4a00
	v_add_co_u32 v11, vcc_lo, v1, s30
	s_cselect_b32 s20, s51, 0x1240
	v_add_co_ci_u32_e32 v12, vcc_lo, s31, v3, vcc_lo
	s_ashr_i32 s21, s20, 31
	s_clause 0x3
	global_load_u16 v18, v[5:6], off
	global_load_u16 v19, v[7:8], off
	global_load_u16 v20, v[9:10], off
	global_load_u16 v21, v[11:12], off
	s_lshl_b64 s[20:21], s[20:21], 1
	s_cmpk_lt_u32 s50, 0x4b00
	v_add_co_u32 v5, vcc_lo, v1, s20
	s_cselect_b32 s26, s51, 0x1280
	v_add_co_ci_u32_e32 v6, vcc_lo, s21, v3, vcc_lo
	s_ashr_i32 s27, s26, 31
	s_delay_alu instid0(SALU_CYCLE_1)
	s_lshl_b64 s[26:27], s[26:27], 1
	s_cmpk_lt_u32 s50, 0x4c00
	v_add_co_u32 v7, vcc_lo, v1, s26
	s_cselect_b32 s28, s51, 0x12c0
	v_add_co_ci_u32_e32 v8, vcc_lo, s27, v3, vcc_lo
	s_ashr_i32 s29, s28, 31
	global_load_u16 v22, v[5:6], off
	s_lshl_b64 s[34:35], s[28:29], 1
	s_cmpk_lt_u32 s50, 0x4d00
	v_add_co_u32 v9, vcc_lo, v1, s34
	s_cselect_b32 s28, s51, 0x1300
	v_add_co_ci_u32_e32 v10, vcc_lo, s35, v3, vcc_lo
	s_ashr_i32 s29, s28, 31
	s_delay_alu instid0(SALU_CYCLE_1)
	s_lshl_b64 s[38:39], s[28:29], 1
	s_cmpk_lt_u32 s50, 0x4e00
	v_add_co_u32 v11, vcc_lo, v1, s38
	s_cselect_b32 s28, s51, 0x1340
	v_add_co_ci_u32_e32 v12, vcc_lo, s39, v3, vcc_lo
	s_ashr_i32 s29, s28, 31
	s_clause 0x2
	global_load_u16 v23, v[7:8], off
	global_load_u16 v24, v[9:10], off
	;; [unrolled: 1-line block ×3, first 2 shown]
	s_lshl_b64 s[28:29], s[28:29], 1
	s_cmpk_lt_u32 s50, 0x4f00
	v_add_co_u32 v5, vcc_lo, v1, s28
	s_cselect_b32 s36, s51, 0x1380
	v_add_co_ci_u32_e32 v6, vcc_lo, s29, v3, vcc_lo
	s_ashr_i32 s37, s36, 31
	s_delay_alu instid0(SALU_CYCLE_1)
	s_lshl_b64 s[36:37], s[36:37], 1
	s_cmpk_lt_u32 s50, 0x5000
	v_add_co_u32 v7, vcc_lo, v1, s36
	s_cselect_b32 s40, s51, 0x13c0
	v_add_co_ci_u32_e32 v8, vcc_lo, s37, v3, vcc_lo
	s_ashr_i32 s41, s40, 31
	global_load_u16 v26, v[5:6], off
	s_lshl_b64 s[40:41], s[40:41], 1
	global_load_u16 v27, v[7:8], off
	s_cmpk_lt_u32 s50, 0x5100
	v_add_co_u32 v9, vcc_lo, v1, s40
	s_cselect_b32 s42, s51, 0x1400
	v_add_co_ci_u32_e32 v10, vcc_lo, s41, v3, vcc_lo
	s_ashr_i32 s43, s42, 31
	s_delay_alu instid0(SALU_CYCLE_1)
	s_lshl_b64 s[42:43], s[42:43], 1
	global_load_u16 v28, v[9:10], off
	s_cmpk_lt_u32 s50, 0x5200
	v_add_co_u32 v5, vcc_lo, v1, s42
	s_cselect_b32 s44, s51, 0x1440
	v_add_co_ci_u32_e32 v6, vcc_lo, s43, v3, vcc_lo
	s_ashr_i32 s45, s44, 31
	s_delay_alu instid0(SALU_CYCLE_1)
	s_lshl_b64 s[44:45], s[44:45], 1
	s_cmpk_lt_u32 s50, 0x5300
	v_add_co_u32 v7, vcc_lo, v1, s44
	s_cselect_b32 s46, s51, 0x1480
	v_add_co_ci_u32_e32 v8, vcc_lo, s45, v3, vcc_lo
	s_ashr_i32 s47, s46, 31
	global_load_u16 v29, v[5:6], off
	s_lshl_b64 s[46:47], s[46:47], 1
	global_load_u16 v30, v[7:8], off
	s_cmpk_lt_u32 s50, 0x5400
	v_add_co_u32 v9, vcc_lo, v1, s46
	s_cselect_b32 s48, s51, 0x14c0
	v_add_co_ci_u32_e32 v10, vcc_lo, s47, v3, vcc_lo
	s_ashr_i32 s49, s48, 31
	s_delay_alu instid0(SALU_CYCLE_1)
	s_lshl_b64 s[48:49], s[48:49], 1
	global_load_u16 v31, v[9:10], off
	s_cmpk_lt_u32 s50, 0x5500
	v_add_co_u32 v5, vcc_lo, v1, s48
	s_cselect_b32 s4, s51, 0x1500
	v_add_co_ci_u32_e32 v6, vcc_lo, s49, v3, vcc_lo
	s_ashr_i32 s5, s4, 31
	s_delay_alu instid0(SALU_CYCLE_1)
	s_lshl_b64 s[4:5], s[4:5], 1
	s_cmpk_lt_u32 s50, 0x5600
	v_add_co_u32 v7, vcc_lo, v1, s4
	s_cselect_b32 s8, s51, 0x1540
	v_add_co_ci_u32_e32 v8, vcc_lo, s5, v3, vcc_lo
	s_ashr_i32 s9, s8, 31
	global_load_u16 v32, v[5:6], off
	s_lshl_b64 s[6:7], s[8:9], 1
	global_load_u16 v33, v[7:8], off
	s_cmpk_lt_u32 s50, 0x5700
	v_add_co_u32 v5, vcc_lo, v1, s6
	s_cselect_b32 s8, s51, 0x1580
	v_add_co_ci_u32_e32 v6, vcc_lo, s7, v3, vcc_lo
	s_ashr_i32 s9, s8, 31
	s_delay_alu instid0(SALU_CYCLE_1)
	s_lshl_b64 s[8:9], s[8:9], 1
	s_cmpk_lt_u32 s50, 0x5800
	v_add_co_u32 v7, vcc_lo, v1, s8
	s_cselect_b32 s10, s51, 0x15c0
	v_add_co_ci_u32_e32 v8, vcc_lo, s9, v3, vcc_lo
	s_ashr_i32 s11, s10, 31
	global_load_u16 v34, v[5:6], off
	;; [unrolled: 15-line block ×6, first 2 shown]
	s_lshl_b64 s[4:5], s[6:7], 1
	global_load_u16 v43, v[7:8], off
	v_add_co_u32 v1, vcc_lo, v1, s4
	v_add_co_ci_u32_e32 v2, vcc_lo, s5, v3, vcc_lo
	global_load_u16 v1, v[1:2], off
	s_waitcnt vmcnt(31)
	v_dual_mov_b32 v2, 0 :: v_dual_lshlrev_b32 v3, 16, v13
	ds_load_b128 v[5:8], v2 offset:256
	ds_load_b128 v[9:12], v2 offset:272
	s_waitcnt vmcnt(30) lgkmcnt(1)
	v_dual_fmac_f32 v4, v5, v3 :: v_dual_lshlrev_b32 v3, 16, v14
	s_delay_alu instid0(VALU_DEP_1) | instskip(SKIP_3) | instid1(VALU_DEP_1)
	v_fmac_f32_e32 v4, v6, v3
	s_waitcnt vmcnt(29)
	v_lshlrev_b32_e32 v3, 16, v15
	s_waitcnt vmcnt(28)
	v_dual_fmac_f32 v4, v7, v3 :: v_dual_lshlrev_b32 v3, 16, v16
	s_waitcnt vmcnt(27)
	s_delay_alu instid0(VALU_DEP_1) | instskip(SKIP_3) | instid1(VALU_DEP_1)
	v_dual_fmac_f32 v4, v8, v3 :: v_dual_lshlrev_b32 v3, 16, v17
	ds_load_b128 v[5:8], v2 offset:288
	s_waitcnt vmcnt(26) lgkmcnt(1)
	v_dual_fmac_f32 v4, v9, v3 :: v_dual_lshlrev_b32 v3, 16, v18
	v_fmac_f32_e32 v4, v10, v3
	s_waitcnt vmcnt(25)
	v_lshlrev_b32_e32 v3, 16, v19
	s_waitcnt vmcnt(24)
	s_delay_alu instid0(VALU_DEP_1) | instskip(SKIP_1) | instid1(VALU_DEP_1)
	v_dual_fmac_f32 v4, v11, v3 :: v_dual_lshlrev_b32 v3, 16, v20
	s_waitcnt vmcnt(23)
	v_dual_fmac_f32 v4, v12, v3 :: v_dual_lshlrev_b32 v3, 16, v21
	ds_load_b128 v[9:12], v2 offset:304
	s_waitcnt vmcnt(22) lgkmcnt(1)
	v_dual_fmac_f32 v4, v5, v3 :: v_dual_lshlrev_b32 v3, 16, v22
	s_delay_alu instid0(VALU_DEP_1) | instskip(SKIP_3) | instid1(VALU_DEP_1)
	v_fmac_f32_e32 v4, v6, v3
	s_waitcnt vmcnt(21)
	v_lshlrev_b32_e32 v3, 16, v23
	s_waitcnt vmcnt(20)
	v_dual_fmac_f32 v4, v7, v3 :: v_dual_lshlrev_b32 v3, 16, v24
	s_waitcnt vmcnt(19)
	s_delay_alu instid0(VALU_DEP_1) | instskip(SKIP_3) | instid1(VALU_DEP_1)
	v_dual_fmac_f32 v4, v8, v3 :: v_dual_lshlrev_b32 v3, 16, v25
	ds_load_b128 v[5:8], v2 offset:320
	s_waitcnt vmcnt(18) lgkmcnt(1)
	v_dual_fmac_f32 v4, v9, v3 :: v_dual_lshlrev_b32 v3, 16, v26
	v_fmac_f32_e32 v4, v10, v3
	s_waitcnt vmcnt(17)
	v_lshlrev_b32_e32 v3, 16, v27
	s_waitcnt vmcnt(16)
	s_delay_alu instid0(VALU_DEP_1) | instskip(NEXT) | instid1(VALU_DEP_1)
	v_dual_fmac_f32 v4, v11, v3 :: v_dual_lshlrev_b32 v3, 16, v28
	v_fmac_f32_e32 v4, v12, v3
	ds_load_b128 v[9:12], v2 offset:336
	s_waitcnt vmcnt(15)
	v_lshlrev_b32_e32 v3, 16, v29
	s_waitcnt vmcnt(14) lgkmcnt(1)
	s_delay_alu instid0(VALU_DEP_1) | instskip(NEXT) | instid1(VALU_DEP_1)
	v_dual_fmac_f32 v4, v5, v3 :: v_dual_lshlrev_b32 v3, 16, v30
	v_fmac_f32_e32 v4, v6, v3
	s_waitcnt vmcnt(13)
	v_lshlrev_b32_e32 v3, 16, v31
	s_waitcnt vmcnt(12)
	s_delay_alu instid0(VALU_DEP_1) | instskip(SKIP_1) | instid1(VALU_DEP_1)
	v_dual_fmac_f32 v4, v7, v3 :: v_dual_lshlrev_b32 v3, 16, v32
	s_waitcnt vmcnt(0)
	v_dual_fmac_f32 v4, v8, v3 :: v_dual_lshlrev_b32 v1, 16, v1
	v_lshlrev_b32_e32 v3, 16, v33
	ds_load_b128 v[5:8], v2 offset:352
	s_waitcnt lgkmcnt(1)
	v_dual_fmac_f32 v4, v9, v3 :: v_dual_lshlrev_b32 v3, 16, v34
	s_delay_alu instid0(VALU_DEP_1) | instskip(SKIP_1) | instid1(VALU_DEP_1)
	v_fmac_f32_e32 v4, v10, v3
	v_lshlrev_b32_e32 v3, 16, v35
	v_dual_fmac_f32 v4, v11, v3 :: v_dual_lshlrev_b32 v3, 16, v36
	s_delay_alu instid0(VALU_DEP_1) | instskip(SKIP_4) | instid1(VALU_DEP_1)
	v_dual_fmac_f32 v4, v12, v3 :: v_dual_lshlrev_b32 v3, 16, v37
	ds_load_b128 v[9:12], v2 offset:368
	v_lshlrev_b32_e32 v2, 16, v38
	s_waitcnt lgkmcnt(1)
	v_fmac_f32_e32 v4, v5, v3
	v_fmac_f32_e32 v4, v6, v2
	v_lshlrev_b32_e32 v2, 16, v39
	s_delay_alu instid0(VALU_DEP_1) | instskip(SKIP_1) | instid1(VALU_DEP_1)
	v_fmac_f32_e32 v4, v7, v2
	v_lshlrev_b32_e32 v2, 16, v40
	v_fmac_f32_e32 v4, v8, v2
	v_lshlrev_b32_e32 v2, 16, v41
	s_waitcnt lgkmcnt(0)
	s_delay_alu instid0(VALU_DEP_1) | instskip(SKIP_1) | instid1(VALU_DEP_1)
	v_fmac_f32_e32 v4, v9, v2
	v_lshlrev_b32_e32 v2, 16, v42
	v_fmac_f32_e32 v4, v10, v2
	v_lshlrev_b32_e32 v2, 16, v43
	s_delay_alu instid0(VALU_DEP_1) | instskip(NEXT) | instid1(VALU_DEP_1)
	v_fmac_f32_e32 v4, v11, v2
	v_dual_fmac_f32 v4, v12, v1 :: v_dual_mov_b32 v1, 0
	s_and_not1_b32 vcc_lo, exec_lo, s15
	ds_load_b32 v1, v1 offset:384
	s_cbranch_vccz .LBB460_15
	s_branch .LBB460_16
	.section	.rodata,"a",@progbits
	.p2align	6, 0x0
	.amdhsa_kernel _Z35paged_attention_ll4mi_reduce_kernelI14__hip_bfloat16S0_Li64ELi64ELi256ELi3EEvPT0_PKfS4_PKT_PKiS9_iS4_
		.amdhsa_group_segment_fixed_size 388
		.amdhsa_private_segment_fixed_size 0
		.amdhsa_kernarg_size 320
		.amdhsa_user_sgpr_count 14
		.amdhsa_user_sgpr_dispatch_ptr 0
		.amdhsa_user_sgpr_queue_ptr 0
		.amdhsa_user_sgpr_kernarg_segment_ptr 1
		.amdhsa_user_sgpr_dispatch_id 0
		.amdhsa_user_sgpr_private_segment_size 0
		.amdhsa_wavefront_size32 1
		.amdhsa_uses_dynamic_stack 0
		.amdhsa_enable_private_segment 0
		.amdhsa_system_sgpr_workgroup_id_x 1
		.amdhsa_system_sgpr_workgroup_id_y 1
		.amdhsa_system_sgpr_workgroup_id_z 0
		.amdhsa_system_sgpr_workgroup_info 0
		.amdhsa_system_vgpr_workitem_id 0
		.amdhsa_next_free_vgpr 52
		.amdhsa_next_free_sgpr 52
		.amdhsa_reserve_vcc 1
		.amdhsa_float_round_mode_32 0
		.amdhsa_float_round_mode_16_64 0
		.amdhsa_float_denorm_mode_32 3
		.amdhsa_float_denorm_mode_16_64 3
		.amdhsa_dx10_clamp 1
		.amdhsa_ieee_mode 1
		.amdhsa_fp16_overflow 0
		.amdhsa_workgroup_processor_mode 1
		.amdhsa_memory_ordered 1
		.amdhsa_forward_progress 0
		.amdhsa_shared_vgpr_count 0
		.amdhsa_exception_fp_ieee_invalid_op 0
		.amdhsa_exception_fp_denorm_src 0
		.amdhsa_exception_fp_ieee_div_zero 0
		.amdhsa_exception_fp_ieee_overflow 0
		.amdhsa_exception_fp_ieee_underflow 0
		.amdhsa_exception_fp_ieee_inexact 0
		.amdhsa_exception_int_div_zero 0
	.end_amdhsa_kernel
	.section	.text._Z35paged_attention_ll4mi_reduce_kernelI14__hip_bfloat16S0_Li64ELi64ELi256ELi3EEvPT0_PKfS4_PKT_PKiS9_iS4_,"axG",@progbits,_Z35paged_attention_ll4mi_reduce_kernelI14__hip_bfloat16S0_Li64ELi64ELi256ELi3EEvPT0_PKfS4_PKT_PKiS9_iS4_,comdat
.Lfunc_end460:
	.size	_Z35paged_attention_ll4mi_reduce_kernelI14__hip_bfloat16S0_Li64ELi64ELi256ELi3EEvPT0_PKfS4_PKT_PKiS9_iS4_, .Lfunc_end460-_Z35paged_attention_ll4mi_reduce_kernelI14__hip_bfloat16S0_Li64ELi64ELi256ELi3EEvPT0_PKfS4_PKT_PKiS9_iS4_
                                        ; -- End function
	.section	.AMDGPU.csdata,"",@progbits
; Kernel info:
; codeLenInByte = 7432
; NumSgprs: 54
; NumVgprs: 52
; ScratchSize: 0
; MemoryBound: 0
; FloatMode: 240
; IeeeMode: 1
; LDSByteSize: 388 bytes/workgroup (compile time only)
; SGPRBlocks: 6
; VGPRBlocks: 6
; NumSGPRsForWavesPerEU: 54
; NumVGPRsForWavesPerEU: 52
; Occupancy: 16
; WaveLimiterHint : 0
; COMPUTE_PGM_RSRC2:SCRATCH_EN: 0
; COMPUTE_PGM_RSRC2:USER_SGPR: 14
; COMPUTE_PGM_RSRC2:TRAP_HANDLER: 0
; COMPUTE_PGM_RSRC2:TGID_X_EN: 1
; COMPUTE_PGM_RSRC2:TGID_Y_EN: 1
; COMPUTE_PGM_RSRC2:TGID_Z_EN: 0
; COMPUTE_PGM_RSRC2:TIDIG_COMP_CNT: 0
	.section	.text._Z35paged_attention_ll4mi_reduce_kernelI14__hip_bfloat16S0_Li64ELi64ELi256ELi4EEvPT0_PKfS4_PKT_PKiS9_iS4_,"axG",@progbits,_Z35paged_attention_ll4mi_reduce_kernelI14__hip_bfloat16S0_Li64ELi64ELi256ELi4EEvPT0_PKfS4_PKT_PKiS9_iS4_,comdat
	.protected	_Z35paged_attention_ll4mi_reduce_kernelI14__hip_bfloat16S0_Li64ELi64ELi256ELi4EEvPT0_PKfS4_PKT_PKiS9_iS4_ ; -- Begin function _Z35paged_attention_ll4mi_reduce_kernelI14__hip_bfloat16S0_Li64ELi64ELi256ELi4EEvPT0_PKfS4_PKT_PKiS9_iS4_
	.globl	_Z35paged_attention_ll4mi_reduce_kernelI14__hip_bfloat16S0_Li64ELi64ELi256ELi4EEvPT0_PKfS4_PKT_PKiS9_iS4_
	.p2align	8
	.type	_Z35paged_attention_ll4mi_reduce_kernelI14__hip_bfloat16S0_Li64ELi64ELi256ELi4EEvPT0_PKfS4_PKT_PKiS9_iS4_,@function
_Z35paged_attention_ll4mi_reduce_kernelI14__hip_bfloat16S0_Li64ELi64ELi256ELi4EEvPT0_PKfS4_PKT_PKiS9_iS4_: ; @_Z35paged_attention_ll4mi_reduce_kernelI14__hip_bfloat16S0_Li64ELi64ELi256ELi4EEvPT0_PKfS4_PKT_PKiS9_iS4_
; %bb.0:
	s_load_b64 s[12:13], s[0:1], 0x28
	s_mov_b32 s2, s15
	s_waitcnt lgkmcnt(0)
	s_cmp_lg_u64 s[12:13], 0
	s_cselect_b32 s15, -1, 0
	s_delay_alu instid0(SALU_CYCLE_1)
	s_and_b32 vcc_lo, exec_lo, s15
	s_cbranch_vccz .LBB461_22
; %bb.1:
	s_add_i32 s4, s2, 1
	s_mov_b32 s5, 0
	s_delay_alu instid0(SALU_CYCLE_1) | instskip(SKIP_4) | instid1(SALU_CYCLE_1)
	s_lshl_b64 s[6:7], s[4:5], 2
	s_mov_b32 s3, s5
	s_add_u32 s6, s12, s6
	s_addc_u32 s7, s13, s7
	s_lshl_b64 s[8:9], s[2:3], 2
	s_add_u32 s8, s12, s8
	s_addc_u32 s9, s13, s9
	s_clause 0x1
	s_load_b32 s4, s[6:7], 0x0
	s_load_b32 s6, s[8:9], 0x0
	s_waitcnt lgkmcnt(0)
	s_sub_i32 s4, s4, s6
	s_delay_alu instid0(SALU_CYCLE_1)
	s_cmp_eq_u32 s4, 1
	s_cselect_b32 s4, -1, 0
	s_cbranch_execnz .LBB461_3
.LBB461_2:
	s_mov_b32 s3, 0
	s_mov_b32 s4, -1
.LBB461_3:
	s_delay_alu instid0(SALU_CYCLE_1)
	s_and_not1_b32 vcc_lo, exec_lo, s4
	s_cbranch_vccz .LBB461_5
; %bb.4:
	s_endpgm
.LBB461_5:
	s_clause 0x1
	s_load_b128 s[4:7], s[0:1], 0x18
	s_load_b32 s9, s[0:1], 0x30
	s_lshl_b64 s[16:17], s[2:3], 2
	s_waitcnt lgkmcnt(0)
	s_add_u32 s6, s6, s16
	s_addc_u32 s7, s7, s17
	s_load_b32 s20, s[6:7], 0x0
	s_load_b32 s33, s[0:1], 0x40
	s_mul_i32 s7, s2, s9
	s_waitcnt lgkmcnt(0)
	s_add_i32 s50, s20, 0xff
	s_delay_alu instid0(SALU_CYCLE_1) | instskip(NEXT) | instid1(SALU_CYCLE_1)
	s_ashr_i32 s6, s50, 31
	s_lshr_b32 s6, s6, 24
	s_delay_alu instid0(SALU_CYCLE_1) | instskip(SKIP_4) | instid1(SALU_CYCLE_1)
	s_add_i32 s8, s50, s6
	s_mul_i32 s6, s14, s9
	s_mov_b32 s9, exec_lo
	v_cmpx_lt_u32_e32 31, v0
	s_xor_b32 s9, exec_lo, s9
	s_or_saveexec_b32 s22, s9
	v_mov_b32_e32 v1, s6
	s_ashr_i32 s21, s8, 8
	s_mul_i32 s18, s7, s33
	s_xor_b32 exec_lo, exec_lo, s22
	s_cbranch_execz .LBB461_9
; %bb.6:
	s_load_b128 s[8:11], s[0:1], 0x8
	v_or_b32_e32 v2, 32, v0
	v_cmp_gt_i32_e32 vcc_lo, s21, v0
	s_add_i32 s23, s21, -1
	v_or_b32_e32 v4, 64, v0
	v_or_b32_e32 v6, 0x60, v0
	s_mov_b32 s19, 0
	v_cndmask_b32_e32 v1, s23, v0, vcc_lo
	v_cmp_gt_i32_e32 vcc_lo, s21, v2
	s_lshl_b64 s[24:25], s[18:19], 2
	s_mov_b32 s7, s19
	v_cndmask_b32_e32 v3, s23, v2, vcc_lo
	v_cmp_gt_i32_e32 vcc_lo, s21, v4
	v_ashrrev_i32_e32 v2, 31, v1
	v_cndmask_b32_e32 v5, s23, v4, vcc_lo
	v_cmp_gt_i32_e32 vcc_lo, s21, v6
	v_ashrrev_i32_e32 v4, 31, v3
	s_delay_alu instid0(VALU_DEP_4)
	v_lshlrev_b64 v[1:2], 2, v[1:2]
	s_waitcnt lgkmcnt(0)
	s_add_u32 s19, s10, s24
	v_cndmask_b32_e32 v7, s23, v6, vcc_lo
	s_addc_u32 s23, s11, s25
	s_lshl_b64 s[10:11], s[6:7], 2
	v_lshlrev_b64 v[3:4], 2, v[3:4]
	s_add_u32 s7, s19, s10
	v_ashrrev_i32_e32 v6, 31, v5
	s_addc_u32 s19, s23, s11
	v_add_co_u32 v9, vcc_lo, s7, v1
	v_add_co_ci_u32_e32 v10, vcc_lo, s19, v2, vcc_lo
	v_ashrrev_i32_e32 v8, 31, v7
	v_add_co_u32 v11, vcc_lo, s7, v3
	v_lshlrev_b64 v[5:6], 2, v[5:6]
	v_add_co_ci_u32_e32 v12, vcc_lo, s19, v4, vcc_lo
	s_delay_alu instid0(VALU_DEP_4)
	v_lshlrev_b64 v[7:8], 2, v[7:8]
	s_clause 0x1
	global_load_b32 v13, v[9:10], off
	global_load_b32 v14, v[11:12], off
	v_add_co_u32 v9, vcc_lo, s7, v5
	v_add_co_ci_u32_e32 v10, vcc_lo, s19, v6, vcc_lo
	v_add_co_u32 v11, vcc_lo, s7, v7
	v_add_co_ci_u32_e32 v12, vcc_lo, s19, v8, vcc_lo
	s_clause 0x1
	global_load_b32 v9, v[9:10], off
	global_load_b32 v10, v[11:12], off
	s_add_u32 s7, s8, s24
	s_addc_u32 s8, s9, s25
	s_add_u32 s7, s7, s10
	s_addc_u32 s8, s8, s11
	v_add_co_u32 v1, vcc_lo, s7, v1
	v_add_co_ci_u32_e32 v2, vcc_lo, s8, v2, vcc_lo
	v_add_co_u32 v3, vcc_lo, s7, v3
	v_add_co_ci_u32_e32 v4, vcc_lo, s8, v4, vcc_lo
	;; [unrolled: 2-line block ×3, first 2 shown]
	s_clause 0x2
	global_load_b32 v11, v[1:2], off
	global_load_b32 v3, v[3:4], off
	;; [unrolled: 1-line block ×3, first 2 shown]
	v_add_co_u32 v1, vcc_lo, s7, v7
	v_add_co_ci_u32_e32 v2, vcc_lo, s8, v8, vcc_lo
	s_mov_b32 s7, exec_lo
	global_load_b32 v5, v[1:2], off
	v_mbcnt_lo_u32_b32 v1, -1, 0
	s_delay_alu instid0(VALU_DEP_1)
	v_xor_b32_e32 v2, 16, v1
	v_xor_b32_e32 v8, 8, v1
	;; [unrolled: 1-line block ×5, first 2 shown]
	v_cmp_gt_i32_e32 vcc_lo, 32, v2
	v_cndmask_b32_e32 v2, v1, v2, vcc_lo
	v_cmp_gt_i32_e32 vcc_lo, 32, v8
	s_delay_alu instid0(VALU_DEP_2) | instskip(SKIP_2) | instid1(VALU_DEP_2)
	v_lshlrev_b32_e32 v2, 2, v2
	v_cndmask_b32_e32 v8, v1, v8, vcc_lo
	v_cmp_gt_i32_e32 vcc_lo, 32, v12
	v_lshlrev_b32_e32 v8, 2, v8
	v_cndmask_b32_e32 v12, v1, v12, vcc_lo
	v_cmp_gt_i32_e32 vcc_lo, 32, v15
	s_delay_alu instid0(VALU_DEP_2) | instskip(SKIP_2) | instid1(VALU_DEP_1)
	v_dual_cndmask_b32 v15, v1, v15 :: v_dual_lshlrev_b32 v12, 2, v12
	v_cmp_gt_i32_e32 vcc_lo, 32, v16
	v_cndmask_b32_e32 v1, v1, v16, vcc_lo
	v_lshlrev_b32_e32 v16, 2, v1
	s_delay_alu instid0(VALU_DEP_4) | instskip(SKIP_2) | instid1(VALU_DEP_1)
	v_lshlrev_b32_e32 v15, 2, v15
	s_waitcnt vmcnt(6)
	v_dual_max_f32 v7, v13, v13 :: v_dual_max_f32 v6, v14, v14
	v_max_f32_e32 v6, v7, v6
	s_waitcnt vmcnt(4)
	s_delay_alu instid0(VALU_DEP_1) | instskip(SKIP_3) | instid1(VALU_DEP_1)
	v_max3_f32 v6, v6, v9, v10
	ds_bpermute_b32 v7, v2, v6
	s_waitcnt lgkmcnt(0)
	v_max_f32_e32 v7, v7, v7
	v_max_f32_e32 v6, v6, v7
	ds_bpermute_b32 v7, v8, v6
	s_waitcnt lgkmcnt(0)
	v_max_f32_e32 v7, v7, v7
	s_delay_alu instid0(VALU_DEP_1) | instskip(SKIP_3) | instid1(VALU_DEP_1)
	v_max_f32_e32 v6, v6, v7
	ds_bpermute_b32 v7, v12, v6
	s_waitcnt lgkmcnt(0)
	v_max_f32_e32 v7, v7, v7
	v_max_f32_e32 v6, v6, v7
	ds_bpermute_b32 v7, v15, v6
	s_waitcnt lgkmcnt(0)
	v_max_f32_e32 v7, v7, v7
	s_delay_alu instid0(VALU_DEP_1) | instskip(SKIP_3) | instid1(VALU_DEP_1)
	v_max_f32_e32 v1, v6, v7
	ds_bpermute_b32 v6, v16, v1
	s_waitcnt lgkmcnt(0)
	v_max_f32_e32 v6, v6, v6
	v_max_f32_e32 v1, v1, v6
	s_delay_alu instid0(VALU_DEP_1) | instskip(SKIP_1) | instid1(VALU_DEP_2)
	v_sub_f32_e32 v9, v9, v1
	v_sub_f32_e32 v7, v14, v1
	v_mul_f32_e32 v14, 0x3fb8aa3b, v9
	v_sub_f32_e32 v6, v13, v1
	v_sub_f32_e32 v1, v10, v1
	s_delay_alu instid0(VALU_DEP_3) | instskip(NEXT) | instid1(VALU_DEP_3)
	v_fma_f32 v22, 0x3fb8aa3b, v9, -v14
	v_mul_f32_e32 v10, 0x3fb8aa3b, v6
	v_rndne_f32_e32 v23, v14
	v_cmp_ngt_f32_e32 vcc_lo, 0xc2ce8ed0, v6
	s_delay_alu instid0(VALU_DEP_3) | instskip(SKIP_1) | instid1(VALU_DEP_2)
	v_fma_f32 v18, 0x3fb8aa3b, v6, -v10
	v_rndne_f32_e32 v19, v10
	v_fmac_f32_e32 v18, 0x32a5705f, v6
	s_delay_alu instid0(VALU_DEP_2) | instskip(NEXT) | instid1(VALU_DEP_1)
	v_sub_f32_e32 v10, v10, v19
	v_dual_mul_f32 v13, 0x3fb8aa3b, v7 :: v_dual_add_f32 v10, v10, v18
	s_delay_alu instid0(VALU_DEP_1) | instskip(SKIP_2) | instid1(VALU_DEP_4)
	v_fma_f32 v20, 0x3fb8aa3b, v7, -v13
	v_rndne_f32_e32 v21, v13
	v_cvt_i32_f32_e32 v18, v19
	v_exp_f32_e32 v10, v10
	s_delay_alu instid0(VALU_DEP_3) | instskip(SKIP_4) | instid1(VALU_DEP_4)
	v_fmac_f32_e32 v20, 0x32a5705f, v7
	v_mul_f32_e32 v17, 0x3fb8aa3b, v1
	v_sub_f32_e32 v13, v13, v21
	v_fmac_f32_e32 v22, 0x32a5705f, v9
	v_cvt_i32_f32_e32 v19, v21
	v_rndne_f32_e32 v25, v17
	s_delay_alu instid0(VALU_DEP_4) | instskip(SKIP_1) | instid1(TRANS32_DEP_1)
	v_dual_add_f32 v13, v13, v20 :: v_dual_sub_f32 v14, v14, v23
	v_fma_f32 v24, 0x3fb8aa3b, v1, -v17
	v_ldexp_f32 v10, v10, v18
	s_delay_alu instid0(VALU_DEP_4) | instskip(NEXT) | instid1(VALU_DEP_4)
	v_sub_f32_e32 v17, v17, v25
	v_exp_f32_e32 v13, v13
	v_add_f32_e32 v14, v14, v22
	v_cvt_i32_f32_e32 v20, v23
	v_sub_nc_u32_e32 v22, s21, v0
	v_cvt_i32_f32_e32 v21, v25
	s_delay_alu instid0(VALU_DEP_4)
	v_exp_f32_e32 v14, v14
	s_waitcnt_depctr 0xfff
	v_ldexp_f32 v13, v13, v19
	v_cndmask_b32_e32 v10, 0, v10, vcc_lo
	v_cmp_ngt_f32_e32 vcc_lo, 0xc2ce8ed0, v7
	v_ldexp_f32 v14, v14, v20
	s_delay_alu instid0(VALU_DEP_4) | instskip(SKIP_1) | instid1(VALU_DEP_3)
	v_cndmask_b32_e32 v13, 0, v13, vcc_lo
	v_cmp_ngt_f32_e32 vcc_lo, 0xc2ce8ed0, v9
	v_cndmask_b32_e32 v14, 0, v14, vcc_lo
	v_cmp_nlt_f32_e32 vcc_lo, 0x42b17218, v6
	v_cndmask_b32_e32 v6, 0x7f800000, v10, vcc_lo
	v_cmp_nlt_f32_e32 vcc_lo, 0x42b17218, v7
	;; [unrolled: 2-line block ×3, first 2 shown]
	v_cndmask_b32_e32 v9, 0x7f800000, v14, vcc_lo
	v_cmp_lt_i32_e32 vcc_lo, 0, v22
	v_cndmask_b32_e32 v6, 0, v6, vcc_lo
	v_cmp_lt_i32_e32 vcc_lo, 32, v22
	s_waitcnt vmcnt(3)
	s_delay_alu instid0(VALU_DEP_2) | instskip(SKIP_2) | instid1(VALU_DEP_2)
	v_mul_f32_e32 v6, v11, v6
	v_dual_fmac_f32 v24, 0x32a5705f, v1 :: v_dual_cndmask_b32 v7, 0, v7
	v_cmp_lt_i32_e32 vcc_lo, 64, v22
	v_add_f32_e32 v17, v17, v24
	s_waitcnt vmcnt(2)
	s_delay_alu instid0(VALU_DEP_3) | instskip(SKIP_3) | instid1(VALU_DEP_3)
	v_mul_f32_e32 v3, v3, v7
	v_cndmask_b32_e32 v9, 0, v9, vcc_lo
	v_cmp_ngt_f32_e32 vcc_lo, 0xc2ce8ed0, v1
	v_exp_f32_e32 v17, v17
	v_add_f32_e32 v7, v6, v3
	s_waitcnt_depctr 0xfff
	v_ldexp_f32 v17, v17, v21
	s_delay_alu instid0(VALU_DEP_1) | instskip(SKIP_2) | instid1(VALU_DEP_2)
	v_cndmask_b32_e32 v10, 0, v17, vcc_lo
	v_cmp_nlt_f32_e32 vcc_lo, 0x42b17218, v1
	s_waitcnt vmcnt(1)
	v_dual_mul_f32 v4, v4, v9 :: v_dual_cndmask_b32 v1, 0x7f800000, v10
	v_cmp_lt_i32_e32 vcc_lo, 0x60, v22
	s_delay_alu instid0(VALU_DEP_2) | instskip(NEXT) | instid1(VALU_DEP_3)
	v_cndmask_b32_e32 v9, 0, v1, vcc_lo
	v_add_f32_e32 v1, v7, v4
	v_lshlrev_b32_e32 v7, 2, v0
	s_waitcnt vmcnt(0)
	s_delay_alu instid0(VALU_DEP_2)
	v_fmac_f32_e32 v1, v5, v9
	v_mul_f32_e32 v5, v5, v9
	ds_store_2addr_b32 v7, v6, v3 offset1:32
	ds_store_2addr_b32 v7, v4, v5 offset0:64 offset1:96
	ds_bpermute_b32 v2, v2, v1
	s_waitcnt lgkmcnt(0)
	v_add_f32_e32 v1, v1, v2
	ds_bpermute_b32 v2, v8, v1
	s_waitcnt lgkmcnt(0)
	v_add_f32_e32 v1, v1, v2
	;; [unrolled: 3-line block ×4, first 2 shown]
	ds_bpermute_b32 v2, v16, v1
	v_cmpx_eq_u32_e32 0, v0
	s_cbranch_execz .LBB461_8
; %bb.7:
	s_waitcnt lgkmcnt(0)
	v_dual_add_f32 v1, v1, v2 :: v_dual_mov_b32 v2, 0
	ds_store_b32 v2, v1 offset:512
.LBB461_8:
	s_or_b32 exec_lo, exec_lo, s7
	v_mov_b32_e32 v1, s6
.LBB461_9:
	s_or_b32 exec_lo, exec_lo, s22
	s_lshl_b32 s6, s18, 6
	s_mov_b32 s7, 0
	s_waitcnt lgkmcnt(0)
	v_dual_mov_b32 v2, 0 :: v_dual_lshlrev_b32 v1, 6, v1
	s_lshl_b64 s[6:7], s[6:7], 1
	v_lshlrev_b32_e32 v0, 1, v0
	s_add_u32 s34, s4, s6
	s_addc_u32 s35, s5, s7
	s_lshl_b32 s4, s21, 6
	v_lshlrev_b64 v[3:4], 1, v[1:2]
	s_sub_i32 s51, s4, 64
	s_cmpk_lt_i32 s50, 0x100
	v_dual_mov_b32 v32, 0 :: v_dual_mov_b32 v35, 0
	s_cselect_b32 s4, s51, 0
	s_delay_alu instid0(VALU_DEP_2)
	v_add_co_u32 v1, vcc_lo, s34, v3
	s_ashr_i32 s5, s4, 31
	v_add_co_ci_u32_e32 v3, vcc_lo, s35, v4, vcc_lo
	s_lshl_b64 s[4:5], s[4:5], 1
	s_cmpk_lt_i32 s50, 0x200
	v_add_co_u32 v1, vcc_lo, v1, v0
	s_cselect_b32 s6, s51, 64
	v_add_co_ci_u32_e32 v3, vcc_lo, 0, v3, vcc_lo
	s_ashr_i32 s7, s6, 31
	s_delay_alu instid0(VALU_DEP_2)
	v_add_co_u32 v4, vcc_lo, v1, s4
	s_lshl_b64 s[6:7], s[6:7], 1
	s_cmpk_lt_i32 s50, 0x300
	v_add_co_ci_u32_e32 v5, vcc_lo, s5, v3, vcc_lo
	s_cselect_b32 s8, s51, 0x80
	v_add_co_u32 v6, vcc_lo, v1, s6
	s_ashr_i32 s9, s8, 31
	v_add_co_ci_u32_e32 v7, vcc_lo, s7, v3, vcc_lo
	s_lshl_b64 s[8:9], s[8:9], 1
	s_cmpk_lt_i32 s50, 0x400
	v_add_co_u32 v8, vcc_lo, v1, s8
	s_cselect_b32 s10, s51, 0xc0
	v_add_co_ci_u32_e32 v9, vcc_lo, s9, v3, vcc_lo
	s_ashr_i32 s11, s10, 31
	v_mov_b32_e32 v34, 0
	s_lshl_b64 s[10:11], s[10:11], 1
	s_cmpk_lt_i32 s50, 0x500
	v_add_co_u32 v14, vcc_lo, v1, s10
	s_cselect_b32 s18, s51, 0x100
	v_add_co_ci_u32_e32 v15, vcc_lo, s11, v3, vcc_lo
	s_ashr_i32 s19, s18, 31
	v_mov_b32_e32 v33, 0
	s_lshl_b64 s[18:19], s[18:19], 1
	s_cmpk_lt_i32 s50, 0x600
	v_add_co_u32 v16, vcc_lo, v1, s18
	s_cselect_b32 s22, s51, 0x140
	v_add_co_ci_u32_e32 v17, vcc_lo, s19, v3, vcc_lo
	s_ashr_i32 s23, s22, 31
	s_delay_alu instid0(SALU_CYCLE_1)
	s_lshl_b64 s[22:23], s[22:23], 1
	s_cmpk_lt_i32 s50, 0x700
	v_add_co_u32 v18, vcc_lo, v1, s22
	s_cselect_b32 s24, s51, 0x180
	v_add_co_ci_u32_e32 v19, vcc_lo, s23, v3, vcc_lo
	s_ashr_i32 s25, s24, 31
	s_delay_alu instid0(SALU_CYCLE_1)
	;; [unrolled: 7-line block ×3, first 2 shown]
	s_lshl_b64 s[26:27], s[26:27], 1
	s_cmpk_lt_i32 s50, 0x900
	v_add_co_u32 v22, vcc_lo, v1, s26
	s_cselect_b32 s28, s51, 0x200
	v_add_co_ci_u32_e32 v23, vcc_lo, s27, v3, vcc_lo
	s_ashr_i32 s29, s28, 31
	s_clause 0x7
	global_load_u16 v13, v[4:5], off
	global_load_u16 v4, v[6:7], off
	;; [unrolled: 1-line block ×8, first 2 shown]
	s_lshl_b64 s[28:29], s[28:29], 1
	s_cmpk_lt_i32 s50, 0xa00
	v_add_co_u32 v14, vcc_lo, v1, s28
	s_cselect_b32 s30, s51, 0x240
	v_add_co_ci_u32_e32 v15, vcc_lo, s29, v3, vcc_lo
	s_ashr_i32 s31, s30, 31
	s_delay_alu instid0(SALU_CYCLE_1)
	s_lshl_b64 s[30:31], s[30:31], 1
	s_cmpk_lt_i32 s50, 0xb00
	v_add_co_u32 v16, vcc_lo, v1, s30
	s_cselect_b32 s34, s51, 0x280
	v_add_co_ci_u32_e32 v17, vcc_lo, s31, v3, vcc_lo
	s_ashr_i32 s35, s34, 31
	s_delay_alu instid0(SALU_CYCLE_1)
	;; [unrolled: 7-line block ×7, first 2 shown]
	s_lshl_b64 s[4:5], s[6:7], 1
	s_cmpk_gt_i32 s20, 0x1000
	v_add_co_u32 v30, vcc_lo, v1, s4
	v_add_co_ci_u32_e32 v31, vcc_lo, s5, v3, vcc_lo
	s_clause 0x7
	global_load_u16 v19, v[14:15], off
	global_load_u16 v18, v[16:17], off
	;; [unrolled: 1-line block ×8, first 2 shown]
	v_dual_mov_b32 v20, 0 :: v_dual_mov_b32 v23, 0
	v_dual_mov_b32 v21, 0 :: v_dual_mov_b32 v22, 0
	;; [unrolled: 1-line block ×6, first 2 shown]
	s_cselect_b32 s6, -1, 0
	s_cmpk_lt_i32 s20, 0x1001
	s_waitcnt vmcnt(0)
	s_barrier
	buffer_gl0_inv
	s_cbranch_scc1 .LBB461_11
; %bb.10:
	s_cmpk_lt_i32 s50, 0x1100
	s_cselect_b32 s4, s51, 0x400
	s_delay_alu instid0(SALU_CYCLE_1) | instskip(NEXT) | instid1(SALU_CYCLE_1)
	s_ashr_i32 s5, s4, 31
	s_lshl_b64 s[4:5], s[4:5], 1
	s_cmpk_lt_i32 s50, 0x1200
	v_add_co_u32 v20, vcc_lo, v1, s4
	s_cselect_b32 s8, s51, 0x440
	v_add_co_ci_u32_e32 v21, vcc_lo, s5, v3, vcc_lo
	s_ashr_i32 s9, s8, 31
	s_delay_alu instid0(SALU_CYCLE_1)
	s_lshl_b64 s[8:9], s[8:9], 1
	s_cmpk_lt_i32 s50, 0x1300
	v_add_co_u32 v22, vcc_lo, v1, s8
	s_cselect_b32 s10, s51, 0x480
	v_add_co_ci_u32_e32 v23, vcc_lo, s9, v3, vcc_lo
	s_ashr_i32 s11, s10, 31
	s_delay_alu instid0(SALU_CYCLE_1)
	;; [unrolled: 7-line block ×14, first 2 shown]
	s_lshl_b64 s[4:5], s[18:19], 1
	s_cmpk_lt_i32 s50, 0x2000
	v_add_co_u32 v48, vcc_lo, v1, s4
	s_cselect_b32 s8, s51, 0x7c0
	v_add_co_ci_u32_e32 v49, vcc_lo, s5, v3, vcc_lo
	s_ashr_i32 s9, s8, 31
	s_delay_alu instid0(SALU_CYCLE_1) | instskip(NEXT) | instid1(SALU_CYCLE_1)
	s_lshl_b64 s[4:5], s[8:9], 1
	v_add_co_u32 v50, vcc_lo, v1, s4
	v_add_co_ci_u32_e32 v51, vcc_lo, s5, v3, vcc_lo
	s_clause 0xf
	global_load_u16 v20, v[20:21], off
	global_load_u16 v21, v[22:23], off
	;; [unrolled: 1-line block ×16, first 2 shown]
	s_waitcnt vmcnt(15)
	v_lshlrev_b32_e32 v35, 16, v20
	s_waitcnt vmcnt(14)
	v_lshlrev_b32_e32 v34, 16, v21
	;; [unrolled: 2-line block ×16, first 2 shown]
.LBB461_11:
	ds_load_b128 v[36:39], v2
	ds_load_b128 v[40:43], v2 offset:16
	v_lshlrev_b32_e32 v44, 16, v4
	v_lshlrev_b32_e32 v13, 16, v13
	;; [unrolled: 1-line block ×4, first 2 shown]
	s_and_not1_b32 vcc_lo, exec_lo, s6
	v_lshlrev_b32_e32 v5, 16, v5
	s_waitcnt lgkmcnt(1)
	v_fma_f32 v4, v36, v13, 0
	s_delay_alu instid0(VALU_DEP_1) | instskip(SKIP_1) | instid1(VALU_DEP_1)
	v_dual_fmac_f32 v4, v37, v44 :: v_dual_lshlrev_b32 v9, 16, v9
	v_lshlrev_b32_e32 v11, 16, v11
	v_dual_fmac_f32 v4, v38, v11 :: v_dual_lshlrev_b32 v11, 16, v18
	s_delay_alu instid0(VALU_DEP_1) | instskip(SKIP_3) | instid1(VALU_DEP_1)
	v_dual_fmac_f32 v4, v39, v9 :: v_dual_lshlrev_b32 v7, 16, v7
	ds_load_b128 v[36:39], v2 offset:32
	s_waitcnt lgkmcnt(1)
	v_dual_fmac_f32 v4, v40, v8 :: v_dual_lshlrev_b32 v9, 16, v19
	v_fmac_f32_e32 v4, v41, v7
	s_delay_alu instid0(VALU_DEP_1) | instskip(NEXT) | instid1(VALU_DEP_1)
	v_fmac_f32_e32 v4, v42, v6
	v_fmac_f32_e32 v4, v43, v5
	ds_load_b128 v[5:8], v2 offset:48
	s_waitcnt lgkmcnt(1)
	v_fmac_f32_e32 v4, v36, v9
	s_delay_alu instid0(VALU_DEP_1) | instskip(NEXT) | instid1(VALU_DEP_1)
	v_dual_fmac_f32 v4, v37, v11 :: v_dual_lshlrev_b32 v9, 16, v17
	v_dual_fmac_f32 v4, v38, v9 :: v_dual_lshlrev_b32 v11, 16, v16
	v_lshlrev_b32_e32 v9, 16, v15
	s_delay_alu instid0(VALU_DEP_2) | instskip(SKIP_1) | instid1(VALU_DEP_1)
	v_dual_fmac_f32 v4, v39, v11 :: v_dual_lshlrev_b32 v11, 16, v14
	s_waitcnt lgkmcnt(0)
	v_dual_fmac_f32 v4, v5, v9 :: v_dual_lshlrev_b32 v5, 16, v12
	s_delay_alu instid0(VALU_DEP_1) | instskip(NEXT) | instid1(VALU_DEP_1)
	v_fmac_f32_e32 v4, v6, v11
	v_dual_fmac_f32 v4, v7, v5 :: v_dual_lshlrev_b32 v5, 16, v10
	s_delay_alu instid0(VALU_DEP_1)
	v_fmac_f32_e32 v4, v8, v5
	s_cbranch_vccz .LBB461_23
; %bb.12:
	s_cmpk_lt_i32 s50, 0x2100
	s_cbranch_scc0 .LBB461_24
.LBB461_13:
	s_cmpk_lt_i32 s50, 0x4100
	s_cbranch_scc0 .LBB461_25
.LBB461_14:
	s_cmpk_lt_i32 s50, 0x6100
	s_cbranch_scc0 .LBB461_26
.LBB461_15:
	v_mov_b32_e32 v1, 0
	s_and_not1_b32 vcc_lo, exec_lo, s15
	ds_load_b32 v1, v1 offset:512
	s_cbranch_vccnz .LBB461_17
.LBB461_16:
	s_add_u32 s2, s12, s16
	s_addc_u32 s3, s13, s17
	s_load_b32 s2, s[2:3], 0x0
	s_mov_b32 s3, 0
.LBB461_17:
	s_waitcnt lgkmcnt(0)
	v_add_f32_e32 v1, 0x358637bd, v1
	s_load_b64 s[0:1], s[0:1], 0x0
	s_delay_alu instid0(VALU_DEP_1) | instskip(NEXT) | instid1(VALU_DEP_1)
	v_div_scale_f32 v2, null, v1, v1, 1.0
	v_rcp_f32_e32 v3, v2
	s_waitcnt_depctr 0xfff
	v_fma_f32 v5, -v2, v3, 1.0
	s_delay_alu instid0(VALU_DEP_1) | instskip(SKIP_1) | instid1(VALU_DEP_1)
	v_fmac_f32_e32 v3, v5, v3
	v_div_scale_f32 v5, vcc_lo, 1.0, v1, 1.0
	v_mul_f32_e32 v6, v5, v3
	s_delay_alu instid0(VALU_DEP_1) | instskip(NEXT) | instid1(VALU_DEP_1)
	v_fma_f32 v7, -v2, v6, v5
	v_fmac_f32_e32 v6, v7, v3
	s_delay_alu instid0(VALU_DEP_1) | instskip(NEXT) | instid1(VALU_DEP_1)
	v_fma_f32 v2, -v2, v6, v5
	v_div_fmas_f32 v2, v2, v3, v6
	s_delay_alu instid0(VALU_DEP_1) | instskip(NEXT) | instid1(VALU_DEP_1)
	v_div_fixup_f32 v1, v2, v1, 1.0
	v_mul_f32_e32 v2, v4, v1
	s_delay_alu instid0(VALU_DEP_1) | instskip(NEXT) | instid1(VALU_DEP_1)
	v_and_b32_e32 v1, 0x7f800000, v2
	v_cmp_ne_u32_e32 vcc_lo, 0x7f800000, v1
                                        ; implicit-def: $vgpr1
	s_and_saveexec_b32 s4, vcc_lo
	s_delay_alu instid0(SALU_CYCLE_1)
	s_xor_b32 s4, exec_lo, s4
; %bb.18:
	v_bfe_u32 v1, v2, 16, 1
	s_delay_alu instid0(VALU_DEP_1)
	v_add3_u32 v1, v2, v1, 0x7fff
                                        ; implicit-def: $vgpr2
; %bb.19:
	s_and_not1_saveexec_b32 s4, s4
; %bb.20:
	v_and_b32_e32 v1, 0xffff, v2
	v_or_b32_e32 v3, 0x10000, v2
	s_delay_alu instid0(VALU_DEP_2) | instskip(NEXT) | instid1(VALU_DEP_2)
	v_cmp_eq_u32_e32 vcc_lo, 0, v1
	v_cndmask_b32_e32 v1, v3, v2, vcc_lo
; %bb.21:
	s_or_b32 exec_lo, exec_lo, s4
	s_mul_i32 s3, s33, s3
	s_mul_hi_u32 s4, s33, s2
	s_mul_i32 s2, s33, s2
	s_add_i32 s3, s4, s3
	s_mov_b32 s15, 0
	s_lshl_b64 s[2:3], s[2:3], 7
	s_waitcnt lgkmcnt(0)
	s_add_u32 s2, s0, s2
	s_addc_u32 s3, s1, s3
	s_lshl_b64 s[0:1], s[14:15], 7
	s_delay_alu instid0(SALU_CYCLE_1)
	s_add_u32 s0, s2, s0
	s_addc_u32 s1, s3, s1
	global_store_d16_hi_b16 v0, v1, s[0:1]
	s_nop 0
	s_sendmsg sendmsg(MSG_DEALLOC_VGPRS)
	s_endpgm
.LBB461_22:
	s_mov_b32 s4, 0
	s_branch .LBB461_2
.LBB461_23:
	ds_load_b128 v[5:8], v2 offset:64
	ds_load_b128 v[9:12], v2 offset:80
	s_waitcnt lgkmcnt(1)
	v_fmac_f32_e32 v4, v5, v35
	s_delay_alu instid0(VALU_DEP_1) | instskip(NEXT) | instid1(VALU_DEP_1)
	v_fmac_f32_e32 v4, v6, v34
	v_fmac_f32_e32 v4, v7, v33
	s_delay_alu instid0(VALU_DEP_1) | instskip(SKIP_3) | instid1(VALU_DEP_1)
	v_fmac_f32_e32 v4, v8, v32
	ds_load_b128 v[5:8], v2 offset:96
	s_waitcnt lgkmcnt(1)
	v_fmac_f32_e32 v4, v9, v31
	v_fmac_f32_e32 v4, v10, v30
	s_delay_alu instid0(VALU_DEP_1) | instskip(NEXT) | instid1(VALU_DEP_1)
	v_fmac_f32_e32 v4, v11, v29
	v_fmac_f32_e32 v4, v12, v28
	ds_load_b128 v[9:12], v2 offset:112
	s_waitcnt lgkmcnt(1)
	v_fmac_f32_e32 v4, v5, v27
	s_delay_alu instid0(VALU_DEP_1) | instskip(NEXT) | instid1(VALU_DEP_1)
	v_fmac_f32_e32 v4, v6, v26
	v_fmac_f32_e32 v4, v7, v25
	s_delay_alu instid0(VALU_DEP_1) | instskip(SKIP_1) | instid1(VALU_DEP_1)
	v_fmac_f32_e32 v4, v8, v24
	s_waitcnt lgkmcnt(0)
	v_fmac_f32_e32 v4, v9, v23
	s_delay_alu instid0(VALU_DEP_1) | instskip(NEXT) | instid1(VALU_DEP_1)
	v_fmac_f32_e32 v4, v10, v22
	v_fmac_f32_e32 v4, v11, v21
	s_delay_alu instid0(VALU_DEP_1)
	v_fmac_f32_e32 v4, v12, v20
	s_cmpk_lt_i32 s50, 0x2100
	s_cbranch_scc1 .LBB461_13
.LBB461_24:
	s_cmpk_lt_u32 s50, 0x2200
	v_add_co_u32 v5, vcc_lo, 0x1000, v1
	s_cselect_b32 s4, s51, 0x840
	v_add_co_ci_u32_e32 v6, vcc_lo, 0, v3, vcc_lo
	s_ashr_i32 s5, s4, 31
	v_mov_b32_e32 v44, 0
	s_lshl_b64 s[4:5], s[4:5], 1
	s_cmpk_lt_u32 s50, 0x2300
	global_load_u16 v2, v[5:6], off
	s_cselect_b32 s6, s51, 0x880
	v_add_co_u32 v5, vcc_lo, v1, s4
	s_ashr_i32 s7, s6, 31
	v_add_co_ci_u32_e32 v6, vcc_lo, s5, v3, vcc_lo
	s_lshl_b64 s[8:9], s[6:7], 1
	s_cmpk_lt_u32 s50, 0x2400
	v_add_co_u32 v7, vcc_lo, v1, s8
	s_cselect_b32 s6, s51, 0x8c0
	v_add_co_ci_u32_e32 v8, vcc_lo, s9, v3, vcc_lo
	s_ashr_i32 s7, s6, 31
	s_delay_alu instid0(SALU_CYCLE_1)
	s_lshl_b64 s[18:19], s[6:7], 1
	s_cmpk_lt_u32 s50, 0x2500
	v_add_co_u32 v9, vcc_lo, v1, s18
	s_cselect_b32 s6, s51, 0x900
	v_add_co_ci_u32_e32 v10, vcc_lo, s19, v3, vcc_lo
	s_ashr_i32 s7, s6, 31
	s_delay_alu instid0(SALU_CYCLE_1)
	s_lshl_b64 s[24:25], s[6:7], 1
	s_cmpk_lt_u32 s50, 0x2600
	v_add_co_u32 v11, vcc_lo, v1, s24
	s_cselect_b32 s6, s51, 0x940
	v_add_co_ci_u32_e32 v12, vcc_lo, s25, v3, vcc_lo
	s_ashr_i32 s7, s6, 31
	s_clause 0x3
	global_load_u16 v13, v[5:6], off
	global_load_u16 v14, v[7:8], off
	;; [unrolled: 1-line block ×4, first 2 shown]
	s_lshl_b64 s[6:7], s[6:7], 1
	s_cmpk_lt_u32 s50, 0x2700
	v_add_co_u32 v5, vcc_lo, v1, s6
	s_cselect_b32 s10, s51, 0x980
	v_add_co_ci_u32_e32 v6, vcc_lo, s7, v3, vcc_lo
	s_ashr_i32 s11, s10, 31
	s_delay_alu instid0(SALU_CYCLE_1)
	s_lshl_b64 s[10:11], s[10:11], 1
	s_cmpk_lt_u32 s50, 0x2800
	v_add_co_u32 v7, vcc_lo, v1, s10
	s_cselect_b32 s20, s51, 0x9c0
	v_add_co_ci_u32_e32 v8, vcc_lo, s11, v3, vcc_lo
	s_ashr_i32 s21, s20, 31
	s_delay_alu instid0(SALU_CYCLE_1)
	;; [unrolled: 7-line block ×3, first 2 shown]
	s_lshl_b64 s[30:31], s[20:21], 1
	s_cmpk_lt_u32 s50, 0x2a00
	v_add_co_u32 v11, vcc_lo, v1, s30
	s_cselect_b32 s20, s51, 0xa40
	v_add_co_ci_u32_e32 v12, vcc_lo, s31, v3, vcc_lo
	s_ashr_i32 s21, s20, 31
	s_clause 0x3
	global_load_u16 v17, v[5:6], off
	global_load_u16 v18, v[7:8], off
	;; [unrolled: 1-line block ×4, first 2 shown]
	s_lshl_b64 s[20:21], s[20:21], 1
	s_cmpk_lt_u32 s50, 0x2b00
	v_add_co_u32 v5, vcc_lo, v1, s20
	s_cselect_b32 s26, s51, 0xa80
	v_add_co_ci_u32_e32 v6, vcc_lo, s21, v3, vcc_lo
	s_ashr_i32 s27, s26, 31
	s_delay_alu instid0(SALU_CYCLE_1)
	s_lshl_b64 s[26:27], s[26:27], 1
	s_cmpk_lt_u32 s50, 0x2c00
	v_add_co_u32 v7, vcc_lo, v1, s26
	s_cselect_b32 s28, s51, 0xac0
	v_add_co_ci_u32_e32 v8, vcc_lo, s27, v3, vcc_lo
	s_ashr_i32 s29, s28, 31
	global_load_u16 v21, v[5:6], off
	s_lshl_b64 s[34:35], s[28:29], 1
	s_cmpk_lt_u32 s50, 0x2d00
	v_add_co_u32 v9, vcc_lo, v1, s34
	s_cselect_b32 s28, s51, 0xb00
	v_add_co_ci_u32_e32 v10, vcc_lo, s35, v3, vcc_lo
	s_ashr_i32 s29, s28, 31
	s_delay_alu instid0(SALU_CYCLE_1)
	s_lshl_b64 s[38:39], s[28:29], 1
	s_cmpk_lt_u32 s50, 0x2e00
	v_add_co_u32 v11, vcc_lo, v1, s38
	s_cselect_b32 s28, s51, 0xb40
	v_add_co_ci_u32_e32 v12, vcc_lo, s39, v3, vcc_lo
	s_ashr_i32 s29, s28, 31
	s_clause 0x2
	global_load_u16 v22, v[7:8], off
	global_load_u16 v23, v[9:10], off
	;; [unrolled: 1-line block ×3, first 2 shown]
	s_lshl_b64 s[28:29], s[28:29], 1
	s_cmpk_lt_u32 s50, 0x2f00
	v_add_co_u32 v5, vcc_lo, v1, s28
	s_cselect_b32 s36, s51, 0xb80
	v_add_co_ci_u32_e32 v6, vcc_lo, s29, v3, vcc_lo
	s_ashr_i32 s37, s36, 31
	s_delay_alu instid0(SALU_CYCLE_1)
	s_lshl_b64 s[36:37], s[36:37], 1
	s_cmpk_lt_u32 s50, 0x3000
	v_add_co_u32 v7, vcc_lo, v1, s36
	s_cselect_b32 s40, s51, 0xbc0
	v_add_co_ci_u32_e32 v8, vcc_lo, s37, v3, vcc_lo
	s_ashr_i32 s41, s40, 31
	global_load_u16 v25, v[5:6], off
	s_lshl_b64 s[40:41], s[40:41], 1
	global_load_u16 v26, v[7:8], off
	s_cmpk_lt_u32 s50, 0x3100
	v_add_co_u32 v9, vcc_lo, v1, s40
	s_cselect_b32 s42, s51, 0xc00
	v_add_co_ci_u32_e32 v10, vcc_lo, s41, v3, vcc_lo
	s_ashr_i32 s43, s42, 31
	s_delay_alu instid0(SALU_CYCLE_1)
	s_lshl_b64 s[42:43], s[42:43], 1
	global_load_u16 v27, v[9:10], off
	s_cmpk_lt_u32 s50, 0x3200
	v_add_co_u32 v5, vcc_lo, v1, s42
	s_cselect_b32 s44, s51, 0xc40
	v_add_co_ci_u32_e32 v6, vcc_lo, s43, v3, vcc_lo
	s_ashr_i32 s45, s44, 31
	s_delay_alu instid0(SALU_CYCLE_1)
	s_lshl_b64 s[44:45], s[44:45], 1
	s_cmpk_lt_u32 s50, 0x3300
	v_add_co_u32 v7, vcc_lo, v1, s44
	s_cselect_b32 s46, s51, 0xc80
	v_add_co_ci_u32_e32 v8, vcc_lo, s45, v3, vcc_lo
	s_ashr_i32 s47, s46, 31
	global_load_u16 v28, v[5:6], off
	s_lshl_b64 s[46:47], s[46:47], 1
	global_load_u16 v29, v[7:8], off
	s_cmpk_lt_u32 s50, 0x3400
	v_add_co_u32 v9, vcc_lo, v1, s46
	s_cselect_b32 s48, s51, 0xcc0
	v_add_co_ci_u32_e32 v10, vcc_lo, s47, v3, vcc_lo
	s_ashr_i32 s49, s48, 31
	s_delay_alu instid0(SALU_CYCLE_1)
	s_lshl_b64 s[48:49], s[48:49], 1
	s_cmpk_lt_u32 s50, 0x3500
	v_add_co_u32 v5, vcc_lo, v1, s48
	s_cselect_b32 s4, s51, 0xd00
	v_add_co_ci_u32_e32 v6, vcc_lo, s49, v3, vcc_lo
	s_ashr_i32 s5, s4, 31
	global_load_u16 v30, v[9:10], off
	s_lshl_b64 s[4:5], s[4:5], 1
	s_cmpk_lt_u32 s50, 0x3600
	v_add_co_u32 v7, vcc_lo, v1, s4
	s_cselect_b32 s8, s51, 0xd40
	v_add_co_ci_u32_e32 v8, vcc_lo, s5, v3, vcc_lo
	s_ashr_i32 s9, s8, 31
	global_load_u16 v31, v[5:6], off
	s_lshl_b64 s[6:7], s[8:9], 1
	global_load_u16 v32, v[7:8], off
	s_cmpk_lt_u32 s50, 0x3700
	v_add_co_u32 v5, vcc_lo, v1, s6
	s_cselect_b32 s8, s51, 0xd80
	v_add_co_ci_u32_e32 v6, vcc_lo, s7, v3, vcc_lo
	s_ashr_i32 s9, s8, 31
	s_delay_alu instid0(SALU_CYCLE_1)
	s_lshl_b64 s[8:9], s[8:9], 1
	s_cmpk_lt_u32 s50, 0x3800
	v_add_co_u32 v7, vcc_lo, v1, s8
	s_cselect_b32 s10, s51, 0xdc0
	v_add_co_ci_u32_e32 v8, vcc_lo, s9, v3, vcc_lo
	s_ashr_i32 s11, s10, 31
	global_load_u16 v33, v[5:6], off
	s_lshl_b64 s[10:11], s[10:11], 1
	global_load_u16 v34, v[7:8], off
	s_cmpk_lt_u32 s50, 0x3900
	v_add_co_u32 v5, vcc_lo, v1, s10
	s_cselect_b32 s18, s51, 0xe00
	v_add_co_ci_u32_e32 v6, vcc_lo, s11, v3, vcc_lo
	s_ashr_i32 s19, s18, 31
	s_delay_alu instid0(SALU_CYCLE_1)
	;; [unrolled: 15-line block ×5, first 2 shown]
	s_lshl_b64 s[4:5], s[8:9], 1
	s_cmpk_lt_u32 s50, 0x4000
	v_add_co_u32 v7, vcc_lo, v1, s4
	s_cselect_b32 s6, s51, 0xfc0
	v_add_co_ci_u32_e32 v8, vcc_lo, s5, v3, vcc_lo
	s_ashr_i32 s7, s6, 31
	global_load_u16 v41, v[5:6], off
	s_lshl_b64 s[4:5], s[6:7], 1
	global_load_u16 v42, v[7:8], off
	v_add_co_u32 v5, vcc_lo, v1, s4
	v_add_co_ci_u32_e32 v6, vcc_lo, s5, v3, vcc_lo
	global_load_u16 v43, v[5:6], off
	ds_load_b128 v[5:8], v44 offset:128
	ds_load_b128 v[9:12], v44 offset:144
	s_waitcnt vmcnt(31)
	v_lshlrev_b32_e32 v2, 16, v2
	s_waitcnt lgkmcnt(1)
	s_delay_alu instid0(VALU_DEP_1) | instskip(SKIP_2) | instid1(VALU_DEP_1)
	v_fmac_f32_e32 v4, v5, v2
	s_waitcnt vmcnt(30)
	v_lshlrev_b32_e32 v2, 16, v13
	v_fmac_f32_e32 v4, v6, v2
	s_waitcnt vmcnt(29)
	v_lshlrev_b32_e32 v2, 16, v14
	s_delay_alu instid0(VALU_DEP_1) | instskip(SKIP_2) | instid1(VALU_DEP_1)
	v_fmac_f32_e32 v4, v7, v2
	s_waitcnt vmcnt(28)
	v_lshlrev_b32_e32 v2, 16, v15
	v_fmac_f32_e32 v4, v8, v2
	s_waitcnt vmcnt(27)
	v_lshlrev_b32_e32 v2, 16, v16
	ds_load_b128 v[5:8], v44 offset:160
	s_waitcnt lgkmcnt(1)
	v_fmac_f32_e32 v4, v9, v2
	s_waitcnt vmcnt(26)
	v_lshlrev_b32_e32 v2, 16, v17
	s_delay_alu instid0(VALU_DEP_1) | instskip(SKIP_2) | instid1(VALU_DEP_1)
	v_fmac_f32_e32 v4, v10, v2
	s_waitcnt vmcnt(25)
	v_lshlrev_b32_e32 v2, 16, v18
	v_fmac_f32_e32 v4, v11, v2
	s_waitcnt vmcnt(24)
	v_lshlrev_b32_e32 v2, 16, v19
	s_delay_alu instid0(VALU_DEP_1) | instskip(SKIP_4) | instid1(VALU_DEP_1)
	v_fmac_f32_e32 v4, v12, v2
	ds_load_b128 v[9:12], v44 offset:176
	s_waitcnt vmcnt(23)
	v_lshlrev_b32_e32 v2, 16, v20
	s_waitcnt lgkmcnt(1)
	v_fmac_f32_e32 v4, v5, v2
	s_waitcnt vmcnt(22)
	v_lshlrev_b32_e32 v2, 16, v21
	s_delay_alu instid0(VALU_DEP_1) | instskip(SKIP_2) | instid1(VALU_DEP_1)
	v_fmac_f32_e32 v4, v6, v2
	s_waitcnt vmcnt(21)
	v_lshlrev_b32_e32 v2, 16, v22
	v_fmac_f32_e32 v4, v7, v2
	s_waitcnt vmcnt(20)
	v_lshlrev_b32_e32 v2, 16, v23
	s_delay_alu instid0(VALU_DEP_1)
	v_fmac_f32_e32 v4, v8, v2
	s_waitcnt vmcnt(19)
	v_lshlrev_b32_e32 v2, 16, v24
	ds_load_b128 v[5:8], v44 offset:192
	s_waitcnt lgkmcnt(1)
	v_fmac_f32_e32 v4, v9, v2
	s_waitcnt vmcnt(18)
	v_lshlrev_b32_e32 v2, 16, v25
	s_delay_alu instid0(VALU_DEP_1) | instskip(SKIP_2) | instid1(VALU_DEP_1)
	v_fmac_f32_e32 v4, v10, v2
	s_waitcnt vmcnt(17)
	v_lshlrev_b32_e32 v2, 16, v26
	v_fmac_f32_e32 v4, v11, v2
	s_waitcnt vmcnt(16)
	v_lshlrev_b32_e32 v2, 16, v27
	s_delay_alu instid0(VALU_DEP_1) | instskip(SKIP_4) | instid1(VALU_DEP_1)
	v_fmac_f32_e32 v4, v12, v2
	ds_load_b128 v[9:12], v44 offset:208
	s_waitcnt vmcnt(15)
	v_lshlrev_b32_e32 v2, 16, v28
	s_waitcnt lgkmcnt(1)
	v_fmac_f32_e32 v4, v5, v2
	s_waitcnt vmcnt(14)
	v_lshlrev_b32_e32 v2, 16, v29
	s_delay_alu instid0(VALU_DEP_1) | instskip(SKIP_2) | instid1(VALU_DEP_1)
	v_fmac_f32_e32 v4, v6, v2
	s_waitcnt vmcnt(13)
	v_lshlrev_b32_e32 v2, 16, v30
	v_fmac_f32_e32 v4, v7, v2
	s_waitcnt vmcnt(12)
	v_lshlrev_b32_e32 v2, 16, v31
	s_delay_alu instid0(VALU_DEP_1)
	v_fmac_f32_e32 v4, v8, v2
	s_waitcnt vmcnt(11)
	v_lshlrev_b32_e32 v2, 16, v32
	ds_load_b128 v[5:8], v44 offset:224
	s_waitcnt lgkmcnt(1)
	v_fmac_f32_e32 v4, v9, v2
	s_waitcnt vmcnt(10)
	v_lshlrev_b32_e32 v2, 16, v33
	s_delay_alu instid0(VALU_DEP_1) | instskip(SKIP_2) | instid1(VALU_DEP_1)
	v_fmac_f32_e32 v4, v10, v2
	s_waitcnt vmcnt(9)
	v_lshlrev_b32_e32 v2, 16, v34
	v_fmac_f32_e32 v4, v11, v2
	s_waitcnt vmcnt(8)
	v_lshlrev_b32_e32 v2, 16, v35
	s_delay_alu instid0(VALU_DEP_1) | instskip(SKIP_4) | instid1(VALU_DEP_1)
	v_fmac_f32_e32 v4, v12, v2
	ds_load_b128 v[9:12], v44 offset:240
	s_waitcnt vmcnt(7)
	v_lshlrev_b32_e32 v2, 16, v36
	s_waitcnt lgkmcnt(1)
	v_fmac_f32_e32 v4, v5, v2
	s_waitcnt vmcnt(6)
	v_lshlrev_b32_e32 v2, 16, v37
	s_delay_alu instid0(VALU_DEP_1) | instskip(SKIP_2) | instid1(VALU_DEP_1)
	v_fmac_f32_e32 v4, v6, v2
	s_waitcnt vmcnt(5)
	v_lshlrev_b32_e32 v2, 16, v38
	v_fmac_f32_e32 v4, v7, v2
	s_waitcnt vmcnt(4)
	v_lshlrev_b32_e32 v2, 16, v39
	s_delay_alu instid0(VALU_DEP_1) | instskip(SKIP_3) | instid1(VALU_DEP_1)
	v_fmac_f32_e32 v4, v8, v2
	s_waitcnt vmcnt(3)
	v_lshlrev_b32_e32 v2, 16, v40
	s_waitcnt lgkmcnt(0)
	v_fmac_f32_e32 v4, v9, v2
	s_waitcnt vmcnt(2)
	v_lshlrev_b32_e32 v2, 16, v41
	s_delay_alu instid0(VALU_DEP_1) | instskip(SKIP_2) | instid1(VALU_DEP_1)
	v_fmac_f32_e32 v4, v10, v2
	s_waitcnt vmcnt(1)
	v_lshlrev_b32_e32 v2, 16, v42
	v_fmac_f32_e32 v4, v11, v2
	s_waitcnt vmcnt(0)
	v_lshlrev_b32_e32 v2, 16, v43
	s_delay_alu instid0(VALU_DEP_1)
	v_fmac_f32_e32 v4, v12, v2
	s_cmpk_lt_i32 s50, 0x4100
	s_cbranch_scc1 .LBB461_14
.LBB461_25:
	s_cmpk_lt_u32 s50, 0x4200
	v_add_co_u32 v5, vcc_lo, 0x2000, v1
	s_cselect_b32 s4, s51, 0x1040
	v_add_co_ci_u32_e32 v6, vcc_lo, 0, v3, vcc_lo
	s_ashr_i32 s5, s4, 31
	v_mov_b32_e32 v44, 0
	s_lshl_b64 s[4:5], s[4:5], 1
	s_cmpk_lt_u32 s50, 0x4300
	global_load_u16 v2, v[5:6], off
	s_cselect_b32 s6, s51, 0x1080
	v_add_co_u32 v5, vcc_lo, v1, s4
	s_ashr_i32 s7, s6, 31
	v_add_co_ci_u32_e32 v6, vcc_lo, s5, v3, vcc_lo
	s_lshl_b64 s[8:9], s[6:7], 1
	s_cmpk_lt_u32 s50, 0x4400
	v_add_co_u32 v7, vcc_lo, v1, s8
	s_cselect_b32 s6, s51, 0x10c0
	v_add_co_ci_u32_e32 v8, vcc_lo, s9, v3, vcc_lo
	s_ashr_i32 s7, s6, 31
	s_delay_alu instid0(SALU_CYCLE_1)
	s_lshl_b64 s[18:19], s[6:7], 1
	s_cmpk_lt_u32 s50, 0x4500
	v_add_co_u32 v9, vcc_lo, v1, s18
	s_cselect_b32 s6, s51, 0x1100
	v_add_co_ci_u32_e32 v10, vcc_lo, s19, v3, vcc_lo
	s_ashr_i32 s7, s6, 31
	s_delay_alu instid0(SALU_CYCLE_1)
	s_lshl_b64 s[24:25], s[6:7], 1
	s_cmpk_lt_u32 s50, 0x4600
	v_add_co_u32 v11, vcc_lo, v1, s24
	s_cselect_b32 s6, s51, 0x1140
	v_add_co_ci_u32_e32 v12, vcc_lo, s25, v3, vcc_lo
	s_ashr_i32 s7, s6, 31
	s_clause 0x3
	global_load_u16 v13, v[5:6], off
	global_load_u16 v14, v[7:8], off
	;; [unrolled: 1-line block ×4, first 2 shown]
	s_lshl_b64 s[6:7], s[6:7], 1
	s_cmpk_lt_u32 s50, 0x4700
	v_add_co_u32 v5, vcc_lo, v1, s6
	s_cselect_b32 s10, s51, 0x1180
	v_add_co_ci_u32_e32 v6, vcc_lo, s7, v3, vcc_lo
	s_ashr_i32 s11, s10, 31
	s_delay_alu instid0(SALU_CYCLE_1)
	s_lshl_b64 s[10:11], s[10:11], 1
	s_cmpk_lt_u32 s50, 0x4800
	v_add_co_u32 v7, vcc_lo, v1, s10
	s_cselect_b32 s20, s51, 0x11c0
	v_add_co_ci_u32_e32 v8, vcc_lo, s11, v3, vcc_lo
	s_ashr_i32 s21, s20, 31
	s_delay_alu instid0(SALU_CYCLE_1)
	;; [unrolled: 7-line block ×3, first 2 shown]
	s_lshl_b64 s[30:31], s[20:21], 1
	s_cmpk_lt_u32 s50, 0x4a00
	v_add_co_u32 v11, vcc_lo, v1, s30
	s_cselect_b32 s20, s51, 0x1240
	v_add_co_ci_u32_e32 v12, vcc_lo, s31, v3, vcc_lo
	s_ashr_i32 s21, s20, 31
	s_clause 0x3
	global_load_u16 v17, v[5:6], off
	global_load_u16 v18, v[7:8], off
	;; [unrolled: 1-line block ×4, first 2 shown]
	s_lshl_b64 s[20:21], s[20:21], 1
	s_cmpk_lt_u32 s50, 0x4b00
	v_add_co_u32 v5, vcc_lo, v1, s20
	s_cselect_b32 s26, s51, 0x1280
	v_add_co_ci_u32_e32 v6, vcc_lo, s21, v3, vcc_lo
	s_ashr_i32 s27, s26, 31
	s_delay_alu instid0(SALU_CYCLE_1)
	s_lshl_b64 s[26:27], s[26:27], 1
	s_cmpk_lt_u32 s50, 0x4c00
	v_add_co_u32 v7, vcc_lo, v1, s26
	s_cselect_b32 s28, s51, 0x12c0
	v_add_co_ci_u32_e32 v8, vcc_lo, s27, v3, vcc_lo
	s_ashr_i32 s29, s28, 31
	global_load_u16 v21, v[5:6], off
	s_lshl_b64 s[34:35], s[28:29], 1
	s_cmpk_lt_u32 s50, 0x4d00
	v_add_co_u32 v9, vcc_lo, v1, s34
	s_cselect_b32 s28, s51, 0x1300
	v_add_co_ci_u32_e32 v10, vcc_lo, s35, v3, vcc_lo
	s_ashr_i32 s29, s28, 31
	s_delay_alu instid0(SALU_CYCLE_1)
	s_lshl_b64 s[38:39], s[28:29], 1
	s_cmpk_lt_u32 s50, 0x4e00
	v_add_co_u32 v11, vcc_lo, v1, s38
	s_cselect_b32 s28, s51, 0x1340
	v_add_co_ci_u32_e32 v12, vcc_lo, s39, v3, vcc_lo
	s_ashr_i32 s29, s28, 31
	s_clause 0x2
	global_load_u16 v22, v[7:8], off
	global_load_u16 v23, v[9:10], off
	;; [unrolled: 1-line block ×3, first 2 shown]
	s_lshl_b64 s[28:29], s[28:29], 1
	s_cmpk_lt_u32 s50, 0x4f00
	v_add_co_u32 v5, vcc_lo, v1, s28
	s_cselect_b32 s36, s51, 0x1380
	v_add_co_ci_u32_e32 v6, vcc_lo, s29, v3, vcc_lo
	s_ashr_i32 s37, s36, 31
	s_delay_alu instid0(SALU_CYCLE_1)
	s_lshl_b64 s[36:37], s[36:37], 1
	s_cmpk_lt_u32 s50, 0x5000
	v_add_co_u32 v7, vcc_lo, v1, s36
	s_cselect_b32 s40, s51, 0x13c0
	v_add_co_ci_u32_e32 v8, vcc_lo, s37, v3, vcc_lo
	s_ashr_i32 s41, s40, 31
	global_load_u16 v25, v[5:6], off
	s_lshl_b64 s[40:41], s[40:41], 1
	global_load_u16 v26, v[7:8], off
	s_cmpk_lt_u32 s50, 0x5100
	v_add_co_u32 v9, vcc_lo, v1, s40
	s_cselect_b32 s42, s51, 0x1400
	v_add_co_ci_u32_e32 v10, vcc_lo, s41, v3, vcc_lo
	s_ashr_i32 s43, s42, 31
	s_delay_alu instid0(SALU_CYCLE_1)
	s_lshl_b64 s[42:43], s[42:43], 1
	global_load_u16 v27, v[9:10], off
	s_cmpk_lt_u32 s50, 0x5200
	v_add_co_u32 v5, vcc_lo, v1, s42
	s_cselect_b32 s44, s51, 0x1440
	v_add_co_ci_u32_e32 v6, vcc_lo, s43, v3, vcc_lo
	s_ashr_i32 s45, s44, 31
	s_delay_alu instid0(SALU_CYCLE_1)
	s_lshl_b64 s[44:45], s[44:45], 1
	s_cmpk_lt_u32 s50, 0x5300
	v_add_co_u32 v7, vcc_lo, v1, s44
	s_cselect_b32 s46, s51, 0x1480
	v_add_co_ci_u32_e32 v8, vcc_lo, s45, v3, vcc_lo
	s_ashr_i32 s47, s46, 31
	global_load_u16 v28, v[5:6], off
	s_lshl_b64 s[46:47], s[46:47], 1
	global_load_u16 v29, v[7:8], off
	s_cmpk_lt_u32 s50, 0x5400
	v_add_co_u32 v9, vcc_lo, v1, s46
	s_cselect_b32 s48, s51, 0x14c0
	v_add_co_ci_u32_e32 v10, vcc_lo, s47, v3, vcc_lo
	s_ashr_i32 s49, s48, 31
	s_delay_alu instid0(SALU_CYCLE_1)
	s_lshl_b64 s[48:49], s[48:49], 1
	s_cmpk_lt_u32 s50, 0x5500
	v_add_co_u32 v5, vcc_lo, v1, s48
	s_cselect_b32 s4, s51, 0x1500
	v_add_co_ci_u32_e32 v6, vcc_lo, s49, v3, vcc_lo
	s_ashr_i32 s5, s4, 31
	global_load_u16 v30, v[9:10], off
	s_lshl_b64 s[4:5], s[4:5], 1
	s_cmpk_lt_u32 s50, 0x5600
	v_add_co_u32 v7, vcc_lo, v1, s4
	s_cselect_b32 s8, s51, 0x1540
	v_add_co_ci_u32_e32 v8, vcc_lo, s5, v3, vcc_lo
	s_ashr_i32 s9, s8, 31
	global_load_u16 v31, v[5:6], off
	s_lshl_b64 s[6:7], s[8:9], 1
	global_load_u16 v32, v[7:8], off
	s_cmpk_lt_u32 s50, 0x5700
	v_add_co_u32 v5, vcc_lo, v1, s6
	s_cselect_b32 s8, s51, 0x1580
	v_add_co_ci_u32_e32 v6, vcc_lo, s7, v3, vcc_lo
	s_ashr_i32 s9, s8, 31
	s_delay_alu instid0(SALU_CYCLE_1)
	s_lshl_b64 s[8:9], s[8:9], 1
	s_cmpk_lt_u32 s50, 0x5800
	v_add_co_u32 v7, vcc_lo, v1, s8
	s_cselect_b32 s10, s51, 0x15c0
	v_add_co_ci_u32_e32 v8, vcc_lo, s9, v3, vcc_lo
	s_ashr_i32 s11, s10, 31
	global_load_u16 v33, v[5:6], off
	s_lshl_b64 s[10:11], s[10:11], 1
	global_load_u16 v34, v[7:8], off
	s_cmpk_lt_u32 s50, 0x5900
	v_add_co_u32 v5, vcc_lo, v1, s10
	s_cselect_b32 s18, s51, 0x1600
	v_add_co_ci_u32_e32 v6, vcc_lo, s11, v3, vcc_lo
	s_ashr_i32 s19, s18, 31
	s_delay_alu instid0(SALU_CYCLE_1)
	;; [unrolled: 15-line block ×5, first 2 shown]
	s_lshl_b64 s[4:5], s[8:9], 1
	s_cmpk_lt_u32 s50, 0x6000
	v_add_co_u32 v7, vcc_lo, v1, s4
	s_cselect_b32 s6, s51, 0x17c0
	v_add_co_ci_u32_e32 v8, vcc_lo, s5, v3, vcc_lo
	s_ashr_i32 s7, s6, 31
	global_load_u16 v41, v[5:6], off
	s_lshl_b64 s[4:5], s[6:7], 1
	global_load_u16 v42, v[7:8], off
	v_add_co_u32 v5, vcc_lo, v1, s4
	v_add_co_ci_u32_e32 v6, vcc_lo, s5, v3, vcc_lo
	global_load_u16 v43, v[5:6], off
	ds_load_b128 v[5:8], v44 offset:256
	ds_load_b128 v[9:12], v44 offset:272
	s_waitcnt vmcnt(31)
	v_lshlrev_b32_e32 v2, 16, v2
	s_waitcnt lgkmcnt(1)
	s_delay_alu instid0(VALU_DEP_1) | instskip(SKIP_2) | instid1(VALU_DEP_1)
	v_fmac_f32_e32 v4, v5, v2
	s_waitcnt vmcnt(30)
	v_lshlrev_b32_e32 v2, 16, v13
	v_fmac_f32_e32 v4, v6, v2
	s_waitcnt vmcnt(29)
	v_lshlrev_b32_e32 v2, 16, v14
	s_delay_alu instid0(VALU_DEP_1) | instskip(SKIP_2) | instid1(VALU_DEP_1)
	v_fmac_f32_e32 v4, v7, v2
	s_waitcnt vmcnt(28)
	v_lshlrev_b32_e32 v2, 16, v15
	v_fmac_f32_e32 v4, v8, v2
	s_waitcnt vmcnt(27)
	v_lshlrev_b32_e32 v2, 16, v16
	ds_load_b128 v[5:8], v44 offset:288
	s_waitcnt lgkmcnt(1)
	v_fmac_f32_e32 v4, v9, v2
	s_waitcnt vmcnt(26)
	v_lshlrev_b32_e32 v2, 16, v17
	s_delay_alu instid0(VALU_DEP_1) | instskip(SKIP_2) | instid1(VALU_DEP_1)
	v_fmac_f32_e32 v4, v10, v2
	s_waitcnt vmcnt(25)
	v_lshlrev_b32_e32 v2, 16, v18
	v_fmac_f32_e32 v4, v11, v2
	s_waitcnt vmcnt(24)
	v_lshlrev_b32_e32 v2, 16, v19
	s_delay_alu instid0(VALU_DEP_1) | instskip(SKIP_4) | instid1(VALU_DEP_1)
	v_fmac_f32_e32 v4, v12, v2
	ds_load_b128 v[9:12], v44 offset:304
	s_waitcnt vmcnt(23)
	v_lshlrev_b32_e32 v2, 16, v20
	s_waitcnt lgkmcnt(1)
	v_fmac_f32_e32 v4, v5, v2
	s_waitcnt vmcnt(22)
	v_lshlrev_b32_e32 v2, 16, v21
	s_delay_alu instid0(VALU_DEP_1) | instskip(SKIP_2) | instid1(VALU_DEP_1)
	v_fmac_f32_e32 v4, v6, v2
	s_waitcnt vmcnt(21)
	v_lshlrev_b32_e32 v2, 16, v22
	v_fmac_f32_e32 v4, v7, v2
	s_waitcnt vmcnt(20)
	v_lshlrev_b32_e32 v2, 16, v23
	s_delay_alu instid0(VALU_DEP_1)
	v_fmac_f32_e32 v4, v8, v2
	s_waitcnt vmcnt(19)
	v_lshlrev_b32_e32 v2, 16, v24
	ds_load_b128 v[5:8], v44 offset:320
	s_waitcnt lgkmcnt(1)
	v_fmac_f32_e32 v4, v9, v2
	s_waitcnt vmcnt(18)
	v_lshlrev_b32_e32 v2, 16, v25
	s_delay_alu instid0(VALU_DEP_1) | instskip(SKIP_2) | instid1(VALU_DEP_1)
	v_fmac_f32_e32 v4, v10, v2
	s_waitcnt vmcnt(17)
	v_lshlrev_b32_e32 v2, 16, v26
	v_fmac_f32_e32 v4, v11, v2
	s_waitcnt vmcnt(16)
	v_lshlrev_b32_e32 v2, 16, v27
	s_delay_alu instid0(VALU_DEP_1) | instskip(SKIP_4) | instid1(VALU_DEP_1)
	v_fmac_f32_e32 v4, v12, v2
	ds_load_b128 v[9:12], v44 offset:336
	s_waitcnt vmcnt(15)
	v_lshlrev_b32_e32 v2, 16, v28
	s_waitcnt lgkmcnt(1)
	v_fmac_f32_e32 v4, v5, v2
	s_waitcnt vmcnt(14)
	v_lshlrev_b32_e32 v2, 16, v29
	s_delay_alu instid0(VALU_DEP_1) | instskip(SKIP_2) | instid1(VALU_DEP_1)
	v_fmac_f32_e32 v4, v6, v2
	s_waitcnt vmcnt(13)
	v_lshlrev_b32_e32 v2, 16, v30
	v_fmac_f32_e32 v4, v7, v2
	s_waitcnt vmcnt(12)
	v_lshlrev_b32_e32 v2, 16, v31
	s_delay_alu instid0(VALU_DEP_1)
	v_fmac_f32_e32 v4, v8, v2
	s_waitcnt vmcnt(11)
	v_lshlrev_b32_e32 v2, 16, v32
	ds_load_b128 v[5:8], v44 offset:352
	s_waitcnt lgkmcnt(1)
	v_fmac_f32_e32 v4, v9, v2
	s_waitcnt vmcnt(10)
	v_lshlrev_b32_e32 v2, 16, v33
	s_delay_alu instid0(VALU_DEP_1) | instskip(SKIP_2) | instid1(VALU_DEP_1)
	v_fmac_f32_e32 v4, v10, v2
	s_waitcnt vmcnt(9)
	v_lshlrev_b32_e32 v2, 16, v34
	v_fmac_f32_e32 v4, v11, v2
	s_waitcnt vmcnt(8)
	v_lshlrev_b32_e32 v2, 16, v35
	s_delay_alu instid0(VALU_DEP_1) | instskip(SKIP_4) | instid1(VALU_DEP_1)
	v_fmac_f32_e32 v4, v12, v2
	ds_load_b128 v[9:12], v44 offset:368
	s_waitcnt vmcnt(7)
	v_lshlrev_b32_e32 v2, 16, v36
	s_waitcnt lgkmcnt(1)
	v_fmac_f32_e32 v4, v5, v2
	s_waitcnt vmcnt(6)
	v_lshlrev_b32_e32 v2, 16, v37
	s_delay_alu instid0(VALU_DEP_1) | instskip(SKIP_2) | instid1(VALU_DEP_1)
	v_fmac_f32_e32 v4, v6, v2
	s_waitcnt vmcnt(5)
	v_lshlrev_b32_e32 v2, 16, v38
	v_fmac_f32_e32 v4, v7, v2
	s_waitcnt vmcnt(4)
	v_lshlrev_b32_e32 v2, 16, v39
	s_delay_alu instid0(VALU_DEP_1) | instskip(SKIP_3) | instid1(VALU_DEP_1)
	v_fmac_f32_e32 v4, v8, v2
	s_waitcnt vmcnt(3)
	v_lshlrev_b32_e32 v2, 16, v40
	s_waitcnt lgkmcnt(0)
	v_fmac_f32_e32 v4, v9, v2
	s_waitcnt vmcnt(2)
	v_lshlrev_b32_e32 v2, 16, v41
	s_delay_alu instid0(VALU_DEP_1) | instskip(SKIP_2) | instid1(VALU_DEP_1)
	v_fmac_f32_e32 v4, v10, v2
	s_waitcnt vmcnt(1)
	v_lshlrev_b32_e32 v2, 16, v42
	v_fmac_f32_e32 v4, v11, v2
	s_waitcnt vmcnt(0)
	v_lshlrev_b32_e32 v2, 16, v43
	s_delay_alu instid0(VALU_DEP_1)
	v_fmac_f32_e32 v4, v12, v2
	s_cmpk_lt_i32 s50, 0x6100
	s_cbranch_scc1 .LBB461_15
.LBB461_26:
	s_cmpk_lt_u32 s50, 0x6200
	v_add_co_u32 v5, vcc_lo, 0x3000, v1
	s_cselect_b32 s4, s51, 0x1840
	v_add_co_ci_u32_e32 v6, vcc_lo, 0, v3, vcc_lo
	s_ashr_i32 s5, s4, 31
	s_delay_alu instid0(SALU_CYCLE_1)
	s_lshl_b64 s[4:5], s[4:5], 1
	s_cmpk_lt_u32 s50, 0x6300
	global_load_u16 v13, v[5:6], off
	s_cselect_b32 s6, s51, 0x1880
	v_add_co_u32 v5, vcc_lo, v1, s4
	s_ashr_i32 s7, s6, 31
	v_add_co_ci_u32_e32 v6, vcc_lo, s5, v3, vcc_lo
	s_lshl_b64 s[8:9], s[6:7], 1
	s_cmpk_lt_u32 s50, 0x6400
	v_add_co_u32 v7, vcc_lo, v1, s8
	s_cselect_b32 s6, s51, 0x18c0
	v_add_co_ci_u32_e32 v8, vcc_lo, s9, v3, vcc_lo
	s_ashr_i32 s7, s6, 31
	s_delay_alu instid0(SALU_CYCLE_1)
	s_lshl_b64 s[18:19], s[6:7], 1
	s_cmpk_lt_u32 s50, 0x6500
	v_add_co_u32 v9, vcc_lo, v1, s18
	s_cselect_b32 s6, s51, 0x1900
	v_add_co_ci_u32_e32 v10, vcc_lo, s19, v3, vcc_lo
	s_ashr_i32 s7, s6, 31
	s_delay_alu instid0(SALU_CYCLE_1)
	s_lshl_b64 s[24:25], s[6:7], 1
	s_cmpk_lt_u32 s50, 0x6600
	v_add_co_u32 v11, vcc_lo, v1, s24
	s_cselect_b32 s6, s51, 0x1940
	v_add_co_ci_u32_e32 v12, vcc_lo, s25, v3, vcc_lo
	s_ashr_i32 s7, s6, 31
	s_clause 0x3
	global_load_u16 v14, v[5:6], off
	global_load_u16 v15, v[7:8], off
	;; [unrolled: 1-line block ×4, first 2 shown]
	s_lshl_b64 s[6:7], s[6:7], 1
	s_cmpk_lt_u32 s50, 0x6700
	v_add_co_u32 v5, vcc_lo, v1, s6
	s_cselect_b32 s10, s51, 0x1980
	v_add_co_ci_u32_e32 v6, vcc_lo, s7, v3, vcc_lo
	s_ashr_i32 s11, s10, 31
	s_delay_alu instid0(SALU_CYCLE_1)
	s_lshl_b64 s[10:11], s[10:11], 1
	s_cmpk_lt_u32 s50, 0x6800
	v_add_co_u32 v7, vcc_lo, v1, s10
	s_cselect_b32 s20, s51, 0x19c0
	v_add_co_ci_u32_e32 v8, vcc_lo, s11, v3, vcc_lo
	s_ashr_i32 s21, s20, 31
	s_delay_alu instid0(SALU_CYCLE_1)
	;; [unrolled: 7-line block ×3, first 2 shown]
	s_lshl_b64 s[30:31], s[20:21], 1
	s_cmpk_lt_u32 s50, 0x6a00
	v_add_co_u32 v11, vcc_lo, v1, s30
	s_cselect_b32 s20, s51, 0x1a40
	v_add_co_ci_u32_e32 v12, vcc_lo, s31, v3, vcc_lo
	s_ashr_i32 s21, s20, 31
	s_clause 0x3
	global_load_u16 v18, v[5:6], off
	global_load_u16 v19, v[7:8], off
	;; [unrolled: 1-line block ×4, first 2 shown]
	s_lshl_b64 s[20:21], s[20:21], 1
	s_cmpk_lt_u32 s50, 0x6b00
	v_add_co_u32 v5, vcc_lo, v1, s20
	s_cselect_b32 s26, s51, 0x1a80
	v_add_co_ci_u32_e32 v6, vcc_lo, s21, v3, vcc_lo
	s_ashr_i32 s27, s26, 31
	s_delay_alu instid0(SALU_CYCLE_1)
	s_lshl_b64 s[26:27], s[26:27], 1
	s_cmpk_lt_u32 s50, 0x6c00
	v_add_co_u32 v7, vcc_lo, v1, s26
	s_cselect_b32 s28, s51, 0x1ac0
	v_add_co_ci_u32_e32 v8, vcc_lo, s27, v3, vcc_lo
	s_ashr_i32 s29, s28, 31
	global_load_u16 v22, v[5:6], off
	s_lshl_b64 s[34:35], s[28:29], 1
	s_cmpk_lt_u32 s50, 0x6d00
	v_add_co_u32 v9, vcc_lo, v1, s34
	s_cselect_b32 s28, s51, 0x1b00
	v_add_co_ci_u32_e32 v10, vcc_lo, s35, v3, vcc_lo
	s_ashr_i32 s29, s28, 31
	s_delay_alu instid0(SALU_CYCLE_1)
	s_lshl_b64 s[38:39], s[28:29], 1
	s_cmpk_lt_u32 s50, 0x6e00
	v_add_co_u32 v11, vcc_lo, v1, s38
	s_cselect_b32 s28, s51, 0x1b40
	v_add_co_ci_u32_e32 v12, vcc_lo, s39, v3, vcc_lo
	s_ashr_i32 s29, s28, 31
	s_clause 0x2
	global_load_u16 v23, v[7:8], off
	global_load_u16 v24, v[9:10], off
	;; [unrolled: 1-line block ×3, first 2 shown]
	s_lshl_b64 s[28:29], s[28:29], 1
	s_cmpk_lt_u32 s50, 0x6f00
	v_add_co_u32 v5, vcc_lo, v1, s28
	s_cselect_b32 s36, s51, 0x1b80
	v_add_co_ci_u32_e32 v6, vcc_lo, s29, v3, vcc_lo
	s_ashr_i32 s37, s36, 31
	s_delay_alu instid0(SALU_CYCLE_1)
	s_lshl_b64 s[36:37], s[36:37], 1
	s_cmpk_lt_u32 s50, 0x7000
	v_add_co_u32 v7, vcc_lo, v1, s36
	s_cselect_b32 s40, s51, 0x1bc0
	v_add_co_ci_u32_e32 v8, vcc_lo, s37, v3, vcc_lo
	s_ashr_i32 s41, s40, 31
	global_load_u16 v26, v[5:6], off
	s_lshl_b64 s[40:41], s[40:41], 1
	global_load_u16 v27, v[7:8], off
	s_cmpk_lt_u32 s50, 0x7100
	v_add_co_u32 v9, vcc_lo, v1, s40
	s_cselect_b32 s42, s51, 0x1c00
	v_add_co_ci_u32_e32 v10, vcc_lo, s41, v3, vcc_lo
	s_ashr_i32 s43, s42, 31
	s_delay_alu instid0(SALU_CYCLE_1)
	s_lshl_b64 s[42:43], s[42:43], 1
	global_load_u16 v28, v[9:10], off
	s_cmpk_lt_u32 s50, 0x7200
	v_add_co_u32 v5, vcc_lo, v1, s42
	s_cselect_b32 s44, s51, 0x1c40
	v_add_co_ci_u32_e32 v6, vcc_lo, s43, v3, vcc_lo
	s_ashr_i32 s45, s44, 31
	s_delay_alu instid0(SALU_CYCLE_1)
	s_lshl_b64 s[44:45], s[44:45], 1
	s_cmpk_lt_u32 s50, 0x7300
	v_add_co_u32 v7, vcc_lo, v1, s44
	s_cselect_b32 s46, s51, 0x1c80
	v_add_co_ci_u32_e32 v8, vcc_lo, s45, v3, vcc_lo
	s_ashr_i32 s47, s46, 31
	global_load_u16 v29, v[5:6], off
	s_lshl_b64 s[46:47], s[46:47], 1
	global_load_u16 v30, v[7:8], off
	s_cmpk_lt_u32 s50, 0x7400
	v_add_co_u32 v9, vcc_lo, v1, s46
	s_cselect_b32 s48, s51, 0x1cc0
	v_add_co_ci_u32_e32 v10, vcc_lo, s47, v3, vcc_lo
	s_ashr_i32 s49, s48, 31
	s_delay_alu instid0(SALU_CYCLE_1)
	s_lshl_b64 s[48:49], s[48:49], 1
	global_load_u16 v31, v[9:10], off
	s_cmpk_lt_u32 s50, 0x7500
	v_add_co_u32 v5, vcc_lo, v1, s48
	s_cselect_b32 s4, s51, 0x1d00
	v_add_co_ci_u32_e32 v6, vcc_lo, s49, v3, vcc_lo
	s_ashr_i32 s5, s4, 31
	s_delay_alu instid0(SALU_CYCLE_1)
	s_lshl_b64 s[4:5], s[4:5], 1
	s_cmpk_lt_u32 s50, 0x7600
	v_add_co_u32 v7, vcc_lo, v1, s4
	s_cselect_b32 s8, s51, 0x1d40
	v_add_co_ci_u32_e32 v8, vcc_lo, s5, v3, vcc_lo
	s_ashr_i32 s9, s8, 31
	global_load_u16 v32, v[5:6], off
	s_lshl_b64 s[6:7], s[8:9], 1
	global_load_u16 v33, v[7:8], off
	s_cmpk_lt_u32 s50, 0x7700
	v_add_co_u32 v5, vcc_lo, v1, s6
	s_cselect_b32 s8, s51, 0x1d80
	v_add_co_ci_u32_e32 v6, vcc_lo, s7, v3, vcc_lo
	s_ashr_i32 s9, s8, 31
	s_delay_alu instid0(SALU_CYCLE_1)
	s_lshl_b64 s[8:9], s[8:9], 1
	s_cmpk_lt_u32 s50, 0x7800
	v_add_co_u32 v7, vcc_lo, v1, s8
	s_cselect_b32 s10, s51, 0x1dc0
	v_add_co_ci_u32_e32 v8, vcc_lo, s9, v3, vcc_lo
	s_ashr_i32 s11, s10, 31
	global_load_u16 v34, v[5:6], off
	;; [unrolled: 15-line block ×6, first 2 shown]
	s_lshl_b64 s[4:5], s[6:7], 1
	global_load_u16 v43, v[7:8], off
	v_add_co_u32 v1, vcc_lo, v1, s4
	v_add_co_ci_u32_e32 v2, vcc_lo, s5, v3, vcc_lo
	global_load_u16 v1, v[1:2], off
	s_waitcnt vmcnt(31)
	v_dual_mov_b32 v2, 0 :: v_dual_lshlrev_b32 v3, 16, v13
	ds_load_b128 v[5:8], v2 offset:384
	ds_load_b128 v[9:12], v2 offset:400
	s_waitcnt vmcnt(30) lgkmcnt(1)
	v_dual_fmac_f32 v4, v5, v3 :: v_dual_lshlrev_b32 v3, 16, v14
	s_delay_alu instid0(VALU_DEP_1) | instskip(SKIP_3) | instid1(VALU_DEP_1)
	v_fmac_f32_e32 v4, v6, v3
	s_waitcnt vmcnt(29)
	v_lshlrev_b32_e32 v3, 16, v15
	s_waitcnt vmcnt(28)
	v_dual_fmac_f32 v4, v7, v3 :: v_dual_lshlrev_b32 v3, 16, v16
	s_waitcnt vmcnt(27)
	s_delay_alu instid0(VALU_DEP_1) | instskip(SKIP_3) | instid1(VALU_DEP_1)
	v_dual_fmac_f32 v4, v8, v3 :: v_dual_lshlrev_b32 v3, 16, v17
	ds_load_b128 v[5:8], v2 offset:416
	s_waitcnt vmcnt(26) lgkmcnt(1)
	v_dual_fmac_f32 v4, v9, v3 :: v_dual_lshlrev_b32 v3, 16, v18
	v_fmac_f32_e32 v4, v10, v3
	s_waitcnt vmcnt(25)
	v_lshlrev_b32_e32 v3, 16, v19
	s_waitcnt vmcnt(24)
	s_delay_alu instid0(VALU_DEP_1) | instskip(SKIP_1) | instid1(VALU_DEP_1)
	v_dual_fmac_f32 v4, v11, v3 :: v_dual_lshlrev_b32 v3, 16, v20
	s_waitcnt vmcnt(23)
	v_dual_fmac_f32 v4, v12, v3 :: v_dual_lshlrev_b32 v3, 16, v21
	ds_load_b128 v[9:12], v2 offset:432
	s_waitcnt vmcnt(22) lgkmcnt(1)
	v_dual_fmac_f32 v4, v5, v3 :: v_dual_lshlrev_b32 v3, 16, v22
	s_delay_alu instid0(VALU_DEP_1) | instskip(SKIP_3) | instid1(VALU_DEP_1)
	v_fmac_f32_e32 v4, v6, v3
	s_waitcnt vmcnt(21)
	v_lshlrev_b32_e32 v3, 16, v23
	s_waitcnt vmcnt(20)
	v_dual_fmac_f32 v4, v7, v3 :: v_dual_lshlrev_b32 v3, 16, v24
	s_waitcnt vmcnt(19)
	s_delay_alu instid0(VALU_DEP_1) | instskip(SKIP_3) | instid1(VALU_DEP_1)
	v_dual_fmac_f32 v4, v8, v3 :: v_dual_lshlrev_b32 v3, 16, v25
	ds_load_b128 v[5:8], v2 offset:448
	s_waitcnt vmcnt(18) lgkmcnt(1)
	v_dual_fmac_f32 v4, v9, v3 :: v_dual_lshlrev_b32 v3, 16, v26
	v_fmac_f32_e32 v4, v10, v3
	s_waitcnt vmcnt(17)
	v_lshlrev_b32_e32 v3, 16, v27
	s_waitcnt vmcnt(16)
	s_delay_alu instid0(VALU_DEP_1) | instskip(NEXT) | instid1(VALU_DEP_1)
	v_dual_fmac_f32 v4, v11, v3 :: v_dual_lshlrev_b32 v3, 16, v28
	v_fmac_f32_e32 v4, v12, v3
	ds_load_b128 v[9:12], v2 offset:464
	s_waitcnt vmcnt(15)
	v_lshlrev_b32_e32 v3, 16, v29
	s_waitcnt vmcnt(14) lgkmcnt(1)
	s_delay_alu instid0(VALU_DEP_1) | instskip(NEXT) | instid1(VALU_DEP_1)
	v_dual_fmac_f32 v4, v5, v3 :: v_dual_lshlrev_b32 v3, 16, v30
	v_fmac_f32_e32 v4, v6, v3
	s_waitcnt vmcnt(13)
	v_lshlrev_b32_e32 v3, 16, v31
	s_waitcnt vmcnt(12)
	s_delay_alu instid0(VALU_DEP_1) | instskip(SKIP_1) | instid1(VALU_DEP_1)
	v_dual_fmac_f32 v4, v7, v3 :: v_dual_lshlrev_b32 v3, 16, v32
	s_waitcnt vmcnt(0)
	v_dual_fmac_f32 v4, v8, v3 :: v_dual_lshlrev_b32 v1, 16, v1
	v_lshlrev_b32_e32 v3, 16, v33
	ds_load_b128 v[5:8], v2 offset:480
	s_waitcnt lgkmcnt(1)
	v_dual_fmac_f32 v4, v9, v3 :: v_dual_lshlrev_b32 v3, 16, v34
	s_delay_alu instid0(VALU_DEP_1) | instskip(SKIP_1) | instid1(VALU_DEP_1)
	v_fmac_f32_e32 v4, v10, v3
	v_lshlrev_b32_e32 v3, 16, v35
	v_dual_fmac_f32 v4, v11, v3 :: v_dual_lshlrev_b32 v3, 16, v36
	s_delay_alu instid0(VALU_DEP_1) | instskip(SKIP_4) | instid1(VALU_DEP_1)
	v_dual_fmac_f32 v4, v12, v3 :: v_dual_lshlrev_b32 v3, 16, v37
	ds_load_b128 v[9:12], v2 offset:496
	v_lshlrev_b32_e32 v2, 16, v38
	s_waitcnt lgkmcnt(1)
	v_fmac_f32_e32 v4, v5, v3
	v_fmac_f32_e32 v4, v6, v2
	v_lshlrev_b32_e32 v2, 16, v39
	s_delay_alu instid0(VALU_DEP_1) | instskip(SKIP_1) | instid1(VALU_DEP_1)
	v_fmac_f32_e32 v4, v7, v2
	v_lshlrev_b32_e32 v2, 16, v40
	v_fmac_f32_e32 v4, v8, v2
	v_lshlrev_b32_e32 v2, 16, v41
	s_waitcnt lgkmcnt(0)
	s_delay_alu instid0(VALU_DEP_1) | instskip(SKIP_1) | instid1(VALU_DEP_1)
	v_fmac_f32_e32 v4, v9, v2
	v_lshlrev_b32_e32 v2, 16, v42
	v_fmac_f32_e32 v4, v10, v2
	v_lshlrev_b32_e32 v2, 16, v43
	s_delay_alu instid0(VALU_DEP_1) | instskip(NEXT) | instid1(VALU_DEP_1)
	v_fmac_f32_e32 v4, v11, v2
	v_dual_fmac_f32 v4, v12, v1 :: v_dual_mov_b32 v1, 0
	s_and_not1_b32 vcc_lo, exec_lo, s15
	ds_load_b32 v1, v1 offset:512
	s_cbranch_vccz .LBB461_16
	s_branch .LBB461_17
	.section	.rodata,"a",@progbits
	.p2align	6, 0x0
	.amdhsa_kernel _Z35paged_attention_ll4mi_reduce_kernelI14__hip_bfloat16S0_Li64ELi64ELi256ELi4EEvPT0_PKfS4_PKT_PKiS9_iS4_
		.amdhsa_group_segment_fixed_size 516
		.amdhsa_private_segment_fixed_size 0
		.amdhsa_kernarg_size 320
		.amdhsa_user_sgpr_count 14
		.amdhsa_user_sgpr_dispatch_ptr 0
		.amdhsa_user_sgpr_queue_ptr 0
		.amdhsa_user_sgpr_kernarg_segment_ptr 1
		.amdhsa_user_sgpr_dispatch_id 0
		.amdhsa_user_sgpr_private_segment_size 0
		.amdhsa_wavefront_size32 1
		.amdhsa_uses_dynamic_stack 0
		.amdhsa_enable_private_segment 0
		.amdhsa_system_sgpr_workgroup_id_x 1
		.amdhsa_system_sgpr_workgroup_id_y 1
		.amdhsa_system_sgpr_workgroup_id_z 0
		.amdhsa_system_sgpr_workgroup_info 0
		.amdhsa_system_vgpr_workitem_id 0
		.amdhsa_next_free_vgpr 52
		.amdhsa_next_free_sgpr 52
		.amdhsa_reserve_vcc 1
		.amdhsa_float_round_mode_32 0
		.amdhsa_float_round_mode_16_64 0
		.amdhsa_float_denorm_mode_32 3
		.amdhsa_float_denorm_mode_16_64 3
		.amdhsa_dx10_clamp 1
		.amdhsa_ieee_mode 1
		.amdhsa_fp16_overflow 0
		.amdhsa_workgroup_processor_mode 1
		.amdhsa_memory_ordered 1
		.amdhsa_forward_progress 0
		.amdhsa_shared_vgpr_count 0
		.amdhsa_exception_fp_ieee_invalid_op 0
		.amdhsa_exception_fp_denorm_src 0
		.amdhsa_exception_fp_ieee_div_zero 0
		.amdhsa_exception_fp_ieee_overflow 0
		.amdhsa_exception_fp_ieee_underflow 0
		.amdhsa_exception_fp_ieee_inexact 0
		.amdhsa_exception_int_div_zero 0
	.end_amdhsa_kernel
	.section	.text._Z35paged_attention_ll4mi_reduce_kernelI14__hip_bfloat16S0_Li64ELi64ELi256ELi4EEvPT0_PKfS4_PKT_PKiS9_iS4_,"axG",@progbits,_Z35paged_attention_ll4mi_reduce_kernelI14__hip_bfloat16S0_Li64ELi64ELi256ELi4EEvPT0_PKfS4_PKT_PKiS9_iS4_,comdat
.Lfunc_end461:
	.size	_Z35paged_attention_ll4mi_reduce_kernelI14__hip_bfloat16S0_Li64ELi64ELi256ELi4EEvPT0_PKfS4_PKT_PKiS9_iS4_, .Lfunc_end461-_Z35paged_attention_ll4mi_reduce_kernelI14__hip_bfloat16S0_Li64ELi64ELi256ELi4EEvPT0_PKfS4_PKT_PKiS9_iS4_
                                        ; -- End function
	.section	.AMDGPU.csdata,"",@progbits
; Kernel info:
; codeLenInByte = 9548
; NumSgprs: 54
; NumVgprs: 52
; ScratchSize: 0
; MemoryBound: 0
; FloatMode: 240
; IeeeMode: 1
; LDSByteSize: 516 bytes/workgroup (compile time only)
; SGPRBlocks: 6
; VGPRBlocks: 6
; NumSGPRsForWavesPerEU: 54
; NumVGPRsForWavesPerEU: 52
; Occupancy: 16
; WaveLimiterHint : 0
; COMPUTE_PGM_RSRC2:SCRATCH_EN: 0
; COMPUTE_PGM_RSRC2:USER_SGPR: 14
; COMPUTE_PGM_RSRC2:TRAP_HANDLER: 0
; COMPUTE_PGM_RSRC2:TGID_X_EN: 1
; COMPUTE_PGM_RSRC2:TGID_Y_EN: 1
; COMPUTE_PGM_RSRC2:TGID_Z_EN: 0
; COMPUTE_PGM_RSRC2:TIDIG_COMP_CNT: 0
	.section	.text._Z35paged_attention_ll4mi_reduce_kernelI14__hip_bfloat16S0_Li64ELi64ELi256ELi5EEvPT0_PKfS4_PKT_PKiS9_iS4_,"axG",@progbits,_Z35paged_attention_ll4mi_reduce_kernelI14__hip_bfloat16S0_Li64ELi64ELi256ELi5EEvPT0_PKfS4_PKT_PKiS9_iS4_,comdat
	.protected	_Z35paged_attention_ll4mi_reduce_kernelI14__hip_bfloat16S0_Li64ELi64ELi256ELi5EEvPT0_PKfS4_PKT_PKiS9_iS4_ ; -- Begin function _Z35paged_attention_ll4mi_reduce_kernelI14__hip_bfloat16S0_Li64ELi64ELi256ELi5EEvPT0_PKfS4_PKT_PKiS9_iS4_
	.globl	_Z35paged_attention_ll4mi_reduce_kernelI14__hip_bfloat16S0_Li64ELi64ELi256ELi5EEvPT0_PKfS4_PKT_PKiS9_iS4_
	.p2align	8
	.type	_Z35paged_attention_ll4mi_reduce_kernelI14__hip_bfloat16S0_Li64ELi64ELi256ELi5EEvPT0_PKfS4_PKT_PKiS9_iS4_,@function
_Z35paged_attention_ll4mi_reduce_kernelI14__hip_bfloat16S0_Li64ELi64ELi256ELi5EEvPT0_PKfS4_PKT_PKiS9_iS4_: ; @_Z35paged_attention_ll4mi_reduce_kernelI14__hip_bfloat16S0_Li64ELi64ELi256ELi5EEvPT0_PKfS4_PKT_PKiS9_iS4_
; %bb.0:
	s_load_b64 s[12:13], s[0:1], 0x28
	s_mov_b32 s2, s15
	s_waitcnt lgkmcnt(0)
	s_cmp_lg_u64 s[12:13], 0
	s_cselect_b32 s15, -1, 0
	s_delay_alu instid0(SALU_CYCLE_1)
	s_and_b32 vcc_lo, exec_lo, s15
	s_cbranch_vccz .LBB462_23
; %bb.1:
	s_add_i32 s4, s2, 1
	s_mov_b32 s5, 0
	s_delay_alu instid0(SALU_CYCLE_1) | instskip(SKIP_4) | instid1(SALU_CYCLE_1)
	s_lshl_b64 s[6:7], s[4:5], 2
	s_mov_b32 s3, s5
	s_add_u32 s6, s12, s6
	s_addc_u32 s7, s13, s7
	s_lshl_b64 s[8:9], s[2:3], 2
	s_add_u32 s8, s12, s8
	s_addc_u32 s9, s13, s9
	s_clause 0x1
	s_load_b32 s4, s[6:7], 0x0
	s_load_b32 s6, s[8:9], 0x0
	s_waitcnt lgkmcnt(0)
	s_sub_i32 s4, s4, s6
	s_delay_alu instid0(SALU_CYCLE_1)
	s_cmp_eq_u32 s4, 1
	s_cselect_b32 s4, -1, 0
	s_cbranch_execnz .LBB462_3
.LBB462_2:
	s_mov_b32 s3, 0
	s_mov_b32 s4, -1
.LBB462_3:
	s_delay_alu instid0(SALU_CYCLE_1)
	s_and_not1_b32 vcc_lo, exec_lo, s4
	s_cbranch_vccz .LBB462_5
; %bb.4:
	s_endpgm
.LBB462_5:
	s_clause 0x1
	s_load_b128 s[4:7], s[0:1], 0x18
	s_load_b32 s9, s[0:1], 0x30
	s_lshl_b64 s[16:17], s[2:3], 2
	s_waitcnt lgkmcnt(0)
	s_add_u32 s6, s6, s16
	s_addc_u32 s7, s7, s17
	s_load_b32 s22, s[6:7], 0x0
	s_load_b32 s33, s[0:1], 0x40
	s_mul_i32 s7, s2, s9
	s_waitcnt lgkmcnt(0)
	s_add_i32 s50, s22, 0xff
	s_delay_alu instid0(SALU_CYCLE_1) | instskip(NEXT) | instid1(SALU_CYCLE_1)
	s_ashr_i32 s6, s50, 31
	s_lshr_b32 s6, s6, 24
	s_delay_alu instid0(SALU_CYCLE_1) | instskip(SKIP_4) | instid1(SALU_CYCLE_1)
	s_add_i32 s8, s50, s6
	s_mul_i32 s6, s14, s9
	s_mov_b32 s9, exec_lo
	v_cmpx_lt_u32_e32 31, v0
	s_xor_b32 s9, exec_lo, s9
	s_or_saveexec_b32 s24, s9
	v_mov_b32_e32 v1, s6
	s_ashr_i32 s23, s8, 8
	s_mul_i32 s18, s7, s33
	s_xor_b32 exec_lo, exec_lo, s24
	s_cbranch_execz .LBB462_9
; %bb.6:
	v_or_b32_e32 v2, 32, v0
	v_cmp_gt_i32_e32 vcc_lo, s23, v0
	s_add_i32 s25, s23, -1
	s_load_b128 s[8:11], s[0:1], 0x8
	v_or_b32_e32 v4, 64, v0
	v_or_b32_e32 v6, 0x60, v0
	v_cndmask_b32_e32 v1, s25, v0, vcc_lo
	v_cmp_gt_i32_e32 vcc_lo, s23, v2
	v_or_b32_e32 v8, 0x80, v0
	s_mov_b32 s19, 0
	s_delay_alu instid0(SALU_CYCLE_1)
	s_lshl_b64 s[20:21], s[18:19], 2
	v_cndmask_b32_e32 v3, s25, v2, vcc_lo
	v_cmp_gt_i32_e32 vcc_lo, s23, v4
	v_ashrrev_i32_e32 v2, 31, v1
	s_mov_b32 s7, s19
	v_cndmask_b32_e32 v5, s25, v4, vcc_lo
	v_cmp_gt_i32_e32 vcc_lo, s23, v6
	v_ashrrev_i32_e32 v4, 31, v3
	v_lshlrev_b64 v[1:2], 2, v[1:2]
	s_waitcnt lgkmcnt(0)
	s_add_u32 s19, s10, s20
	v_cndmask_b32_e32 v7, s25, v6, vcc_lo
	v_cmp_gt_i32_e32 vcc_lo, s23, v8
	v_ashrrev_i32_e32 v6, 31, v5
	v_lshlrev_b64 v[3:4], 2, v[3:4]
	v_cndmask_b32_e32 v9, s25, v8, vcc_lo
	s_addc_u32 s25, s11, s21
	s_lshl_b64 s[10:11], s[6:7], 2
	v_ashrrev_i32_e32 v8, 31, v7
	s_add_u32 s7, s19, s10
	s_addc_u32 s19, s25, s11
	v_add_co_u32 v11, vcc_lo, s7, v1
	v_lshlrev_b64 v[5:6], 2, v[5:6]
	v_ashrrev_i32_e32 v10, 31, v9
	v_add_co_ci_u32_e32 v12, vcc_lo, s19, v2, vcc_lo
	v_add_co_u32 v13, vcc_lo, s7, v3
	v_lshlrev_b64 v[7:8], 2, v[7:8]
	v_add_co_ci_u32_e32 v14, vcc_lo, s19, v4, vcc_lo
	v_add_co_u32 v15, vcc_lo, s7, v5
	v_lshlrev_b64 v[9:10], 2, v[9:10]
	v_add_co_ci_u32_e32 v16, vcc_lo, s19, v6, vcc_lo
	v_add_co_u32 v17, vcc_lo, s7, v7
	v_add_co_ci_u32_e32 v18, vcc_lo, s19, v8, vcc_lo
	s_delay_alu instid0(VALU_DEP_4)
	v_add_co_u32 v19, vcc_lo, s7, v9
	v_add_co_ci_u32_e32 v20, vcc_lo, s19, v10, vcc_lo
	s_clause 0x4
	global_load_b32 v11, v[11:12], off
	global_load_b32 v12, v[13:14], off
	;; [unrolled: 1-line block ×5, first 2 shown]
	s_add_u32 s7, s8, s20
	s_addc_u32 s8, s9, s21
	s_add_u32 s7, s7, s10
	s_addc_u32 s8, s8, s11
	v_add_co_u32 v1, vcc_lo, s7, v1
	v_add_co_ci_u32_e32 v2, vcc_lo, s8, v2, vcc_lo
	v_add_co_u32 v3, vcc_lo, s7, v3
	v_add_co_ci_u32_e32 v4, vcc_lo, s8, v4, vcc_lo
	v_add_co_u32 v5, vcc_lo, s7, v5
	v_add_co_ci_u32_e32 v6, vcc_lo, s8, v6, vcc_lo
	v_add_co_u32 v7, vcc_lo, s7, v7
	v_add_co_ci_u32_e32 v8, vcc_lo, s8, v8, vcc_lo
	s_clause 0x3
	global_load_b32 v16, v[1:2], off
	global_load_b32 v3, v[3:4], off
	global_load_b32 v4, v[5:6], off
	global_load_b32 v5, v[7:8], off
	v_add_co_u32 v1, vcc_lo, s7, v9
	v_add_co_ci_u32_e32 v2, vcc_lo, s8, v10, vcc_lo
	s_mov_b32 s7, exec_lo
	global_load_b32 v1, v[1:2], off
	v_mbcnt_lo_u32_b32 v2, -1, 0
	s_delay_alu instid0(VALU_DEP_1)
	v_xor_b32_e32 v6, 16, v2
	v_xor_b32_e32 v9, 8, v2
	;; [unrolled: 1-line block ×5, first 2 shown]
	v_cmp_gt_i32_e32 vcc_lo, 32, v6
	v_cndmask_b32_e32 v6, v2, v6, vcc_lo
	v_cmp_gt_i32_e32 vcc_lo, 32, v9
	v_cndmask_b32_e32 v9, v2, v9, vcc_lo
	v_cmp_gt_i32_e32 vcc_lo, 32, v10
	s_delay_alu instid0(VALU_DEP_2) | instskip(SKIP_3) | instid1(VALU_DEP_2)
	v_lshlrev_b32_e32 v9, 2, v9
	v_lshlrev_b32_e32 v6, 2, v6
	v_cndmask_b32_e32 v10, v2, v10, vcc_lo
	v_cmp_gt_i32_e32 vcc_lo, 32, v17
	v_dual_cndmask_b32 v17, v2, v17 :: v_dual_lshlrev_b32 v10, 2, v10
	v_cmp_gt_i32_e32 vcc_lo, 32, v18
	s_delay_alu instid0(VALU_DEP_2) | instskip(NEXT) | instid1(VALU_DEP_1)
	v_dual_cndmask_b32 v2, v2, v18 :: v_dual_lshlrev_b32 v17, 2, v17
	v_lshlrev_b32_e32 v2, 2, v2
	s_waitcnt vmcnt(7)
	v_max3_f32 v7, v11, v12, v13
	s_waitcnt vmcnt(5)
	s_delay_alu instid0(VALU_DEP_1) | instskip(SKIP_3) | instid1(VALU_DEP_1)
	v_max3_f32 v7, v7, v14, v15
	ds_bpermute_b32 v8, v6, v7
	s_waitcnt lgkmcnt(0)
	v_max_f32_e32 v8, v8, v8
	v_max_f32_e32 v7, v7, v8
	ds_bpermute_b32 v8, v9, v7
	s_waitcnt lgkmcnt(0)
	v_max_f32_e32 v8, v8, v8
	s_delay_alu instid0(VALU_DEP_1) | instskip(SKIP_3) | instid1(VALU_DEP_1)
	v_max_f32_e32 v7, v7, v8
	ds_bpermute_b32 v8, v10, v7
	s_waitcnt lgkmcnt(0)
	v_max_f32_e32 v8, v8, v8
	v_max_f32_e32 v7, v7, v8
	ds_bpermute_b32 v8, v17, v7
	s_waitcnt lgkmcnt(0)
	v_max_f32_e32 v8, v8, v8
	s_delay_alu instid0(VALU_DEP_1) | instskip(SKIP_3) | instid1(VALU_DEP_1)
	v_max_f32_e32 v7, v7, v8
	ds_bpermute_b32 v8, v2, v7
	s_waitcnt lgkmcnt(0)
	v_max_f32_e32 v8, v8, v8
	v_max_f32_e32 v7, v7, v8
	v_sub_nc_u32_e32 v8, s23, v0
	s_delay_alu instid0(VALU_DEP_2) | instskip(NEXT) | instid1(VALU_DEP_1)
	v_sub_f32_e32 v12, v12, v7
	v_mul_f32_e32 v18, 0x3fb8aa3b, v12
	s_delay_alu instid0(VALU_DEP_1) | instskip(SKIP_1) | instid1(VALU_DEP_2)
	v_rndne_f32_e32 v25, v18
	v_fma_f32 v24, 0x3fb8aa3b, v12, -v18
	v_sub_f32_e32 v18, v18, v25
	v_sub_f32_e32 v14, v14, v7
	s_delay_alu instid0(VALU_DEP_1) | instskip(NEXT) | instid1(VALU_DEP_1)
	v_mul_f32_e32 v20, 0x3fb8aa3b, v14
	v_fma_f32 v28, 0x3fb8aa3b, v14, -v20
	v_sub_f32_e32 v13, v13, v7
	v_rndne_f32_e32 v29, v20
	s_delay_alu instid0(VALU_DEP_3) | instskip(NEXT) | instid1(VALU_DEP_3)
	v_fmac_f32_e32 v28, 0x32a5705f, v14
	v_mul_f32_e32 v19, 0x3fb8aa3b, v13
	v_dual_sub_f32 v11, v11, v7 :: v_dual_fmac_f32 v24, 0x32a5705f, v12
	s_delay_alu instid0(VALU_DEP_4) | instskip(NEXT) | instid1(VALU_DEP_3)
	v_sub_f32_e32 v20, v20, v29
	v_fma_f32 v26, 0x3fb8aa3b, v13, -v19
	v_sub_f32_e32 v7, v15, v7
	s_delay_alu instid0(VALU_DEP_4)
	v_mul_f32_e32 v15, 0x3fb8aa3b, v11
	v_rndne_f32_e32 v27, v19
	v_add_f32_e32 v18, v18, v24
	v_fmac_f32_e32 v26, 0x32a5705f, v13
	v_mul_f32_e32 v21, 0x3fb8aa3b, v7
	v_fma_f32 v22, 0x3fb8aa3b, v11, -v15
	v_rndne_f32_e32 v23, v15
	v_dual_sub_f32 v19, v19, v27 :: v_dual_add_f32 v20, v20, v28
	s_delay_alu instid0(VALU_DEP_4) | instskip(NEXT) | instid1(VALU_DEP_4)
	v_fma_f32 v30, 0x3fb8aa3b, v7, -v21
	v_fmac_f32_e32 v22, 0x32a5705f, v11
	s_delay_alu instid0(VALU_DEP_4) | instskip(NEXT) | instid1(VALU_DEP_4)
	v_sub_f32_e32 v15, v15, v23
	v_add_f32_e32 v19, v19, v26
	v_exp_f32_e32 v18, v18
	v_fmac_f32_e32 v30, 0x32a5705f, v7
	v_cmp_ngt_f32_e32 vcc_lo, 0xc2ce8ed0, v11
	v_add_f32_e32 v15, v15, v22
	v_cvt_i32_f32_e32 v22, v23
	v_exp_f32_e32 v19, v19
	v_cvt_i32_f32_e32 v23, v25
	v_rndne_f32_e32 v31, v21
	v_exp_f32_e32 v15, v15
	v_exp_f32_e32 v20, v20
	v_cvt_i32_f32_e32 v24, v27
	v_ldexp_f32 v18, v18, v23
	v_cvt_i32_f32_e32 v25, v29
	v_cvt_i32_f32_e32 v26, v31
	s_delay_alu instid0(TRANS32_DEP_3) | instid1(VALU_DEP_4)
	v_ldexp_f32 v19, v19, v24
	s_delay_alu instid0(TRANS32_DEP_2)
	v_ldexp_f32 v15, v15, v22
	s_delay_alu instid0(TRANS32_DEP_1) | instid1(VALU_DEP_4)
	v_ldexp_f32 v20, v20, v25
	s_delay_alu instid0(VALU_DEP_2)
	v_cndmask_b32_e32 v15, 0, v15, vcc_lo
	v_cmp_ngt_f32_e32 vcc_lo, 0xc2ce8ed0, v12
	v_dual_sub_f32 v21, v21, v31 :: v_dual_cndmask_b32 v18, 0, v18
	v_cmp_ngt_f32_e32 vcc_lo, 0xc2ce8ed0, v13
	v_cndmask_b32_e32 v19, 0, v19, vcc_lo
	v_cmp_ngt_f32_e32 vcc_lo, 0xc2ce8ed0, v14
	s_delay_alu instid0(VALU_DEP_4) | instskip(NEXT) | instid1(VALU_DEP_1)
	v_dual_add_f32 v21, v21, v30 :: v_dual_cndmask_b32 v20, 0, v20
	v_exp_f32_e32 v21, v21
	v_cmp_ngt_f32_e32 vcc_lo, 0xc2ce8ed0, v7
	s_waitcnt_depctr 0xfff
	v_ldexp_f32 v21, v21, v26
	s_delay_alu instid0(VALU_DEP_1)
	v_cndmask_b32_e32 v21, 0, v21, vcc_lo
	v_cmp_nlt_f32_e32 vcc_lo, 0x42b17218, v11
	v_cndmask_b32_e32 v11, 0x7f800000, v15, vcc_lo
	v_cmp_nlt_f32_e32 vcc_lo, 0x42b17218, v12
	;; [unrolled: 2-line block ×3, first 2 shown]
	v_cndmask_b32_e32 v13, 0x7f800000, v19, vcc_lo
	v_cmp_lt_i32_e32 vcc_lo, 0, v8
	v_cndmask_b32_e32 v11, 0, v11, vcc_lo
	v_cmp_lt_i32_e32 vcc_lo, 32, v8
	s_waitcnt vmcnt(4)
	s_delay_alu instid0(VALU_DEP_2) | instskip(SKIP_2) | instid1(VALU_DEP_2)
	v_dual_mul_f32 v11, v16, v11 :: v_dual_cndmask_b32 v12, 0, v12
	v_cmp_lt_i32_e32 vcc_lo, 64, v8
	s_waitcnt vmcnt(3)
	v_mul_f32_e32 v3, v3, v12
	v_cndmask_b32_e32 v13, 0, v13, vcc_lo
	v_cmp_nlt_f32_e32 vcc_lo, 0x42b17218, v14
	s_waitcnt vmcnt(2)
	s_delay_alu instid0(VALU_DEP_2) | instskip(SKIP_2) | instid1(VALU_DEP_2)
	v_mul_f32_e32 v4, v4, v13
	v_dual_cndmask_b32 v14, 0x7f800000, v20 :: v_dual_add_f32 v13, v11, v3
	v_cmp_lt_i32_e32 vcc_lo, 0x60, v8
	v_cndmask_b32_e32 v12, 0, v14, vcc_lo
	v_cmp_nlt_f32_e32 vcc_lo, 0x42b17218, v7
	s_waitcnt vmcnt(1)
	s_delay_alu instid0(VALU_DEP_2) | instskip(SKIP_2) | instid1(VALU_DEP_2)
	v_mul_f32_e32 v5, v5, v12
	v_cndmask_b32_e32 v7, 0x7f800000, v21, vcc_lo
	v_cmp_lt_i32_e32 vcc_lo, 0x80, v8
	v_dual_add_f32 v8, v13, v4 :: v_dual_cndmask_b32 v7, 0, v7
	s_waitcnt vmcnt(0)
	s_delay_alu instid0(VALU_DEP_1) | instskip(NEXT) | instid1(VALU_DEP_2)
	v_mul_f32_e32 v7, v1, v7
	v_add_f32_e32 v1, v8, v5
	s_delay_alu instid0(VALU_DEP_1)
	v_add_f32_e32 v1, v1, v7
	ds_bpermute_b32 v6, v6, v1
	s_waitcnt lgkmcnt(0)
	v_add_f32_e32 v1, v1, v6
	ds_bpermute_b32 v6, v9, v1
	s_waitcnt lgkmcnt(0)
	;; [unrolled: 3-line block ×4, first 2 shown]
	v_dual_add_f32 v1, v1, v6 :: v_dual_lshlrev_b32 v6, 2, v0
	ds_store_2addr_b32 v6, v11, v3 offset1:32
	ds_store_2addr_b32 v6, v4, v5 offset0:64 offset1:96
	ds_store_b32 v6, v7 offset:512
	ds_bpermute_b32 v2, v2, v1
	v_cmpx_eq_u32_e32 0, v0
	s_cbranch_execz .LBB462_8
; %bb.7:
	s_waitcnt lgkmcnt(0)
	v_dual_add_f32 v1, v1, v2 :: v_dual_mov_b32 v2, 0
	ds_store_b32 v2, v1 offset:640
.LBB462_8:
	s_or_b32 exec_lo, exec_lo, s7
	v_mov_b32_e32 v1, s6
.LBB462_9:
	s_or_b32 exec_lo, exec_lo, s24
	s_lshl_b32 s6, s18, 6
	s_mov_b32 s7, 0
	s_waitcnt lgkmcnt(0)
	v_dual_mov_b32 v2, 0 :: v_dual_lshlrev_b32 v1, 6, v1
	s_lshl_b64 s[6:7], s[6:7], 1
	v_lshlrev_b32_e32 v0, 1, v0
	s_add_u32 s34, s4, s6
	s_addc_u32 s35, s5, s7
	s_lshl_b32 s4, s23, 6
	v_lshlrev_b64 v[3:4], 1, v[1:2]
	s_sub_i32 s51, s4, 64
	s_cmpk_lt_i32 s50, 0x100
	v_dual_mov_b32 v32, 0 :: v_dual_mov_b32 v35, 0
	s_cselect_b32 s4, s51, 0
	s_delay_alu instid0(VALU_DEP_2)
	v_add_co_u32 v1, vcc_lo, s34, v3
	s_ashr_i32 s5, s4, 31
	v_add_co_ci_u32_e32 v3, vcc_lo, s35, v4, vcc_lo
	s_lshl_b64 s[4:5], s[4:5], 1
	s_cmpk_lt_i32 s50, 0x200
	v_add_co_u32 v1, vcc_lo, v1, v0
	s_cselect_b32 s6, s51, 64
	v_add_co_ci_u32_e32 v3, vcc_lo, 0, v3, vcc_lo
	s_ashr_i32 s7, s6, 31
	s_delay_alu instid0(VALU_DEP_2)
	v_add_co_u32 v4, vcc_lo, v1, s4
	s_lshl_b64 s[6:7], s[6:7], 1
	s_cmpk_lt_i32 s50, 0x300
	v_add_co_ci_u32_e32 v5, vcc_lo, s5, v3, vcc_lo
	s_cselect_b32 s8, s51, 0x80
	v_add_co_u32 v6, vcc_lo, v1, s6
	s_ashr_i32 s9, s8, 31
	v_add_co_ci_u32_e32 v7, vcc_lo, s7, v3, vcc_lo
	s_lshl_b64 s[8:9], s[8:9], 1
	s_cmpk_lt_i32 s50, 0x400
	v_add_co_u32 v8, vcc_lo, v1, s8
	s_cselect_b32 s10, s51, 0xc0
	v_add_co_ci_u32_e32 v9, vcc_lo, s9, v3, vcc_lo
	s_ashr_i32 s11, s10, 31
	v_mov_b32_e32 v34, 0
	s_lshl_b64 s[10:11], s[10:11], 1
	s_cmpk_lt_i32 s50, 0x500
	v_add_co_u32 v14, vcc_lo, v1, s10
	s_cselect_b32 s18, s51, 0x100
	v_add_co_ci_u32_e32 v15, vcc_lo, s11, v3, vcc_lo
	s_ashr_i32 s19, s18, 31
	v_mov_b32_e32 v33, 0
	s_lshl_b64 s[18:19], s[18:19], 1
	s_cmpk_lt_i32 s50, 0x600
	v_add_co_u32 v16, vcc_lo, v1, s18
	s_cselect_b32 s20, s51, 0x140
	v_add_co_ci_u32_e32 v17, vcc_lo, s19, v3, vcc_lo
	s_ashr_i32 s21, s20, 31
	s_delay_alu instid0(SALU_CYCLE_1)
	s_lshl_b64 s[20:21], s[20:21], 1
	s_cmpk_lt_i32 s50, 0x700
	v_add_co_u32 v18, vcc_lo, v1, s20
	s_cselect_b32 s24, s51, 0x180
	v_add_co_ci_u32_e32 v19, vcc_lo, s21, v3, vcc_lo
	s_ashr_i32 s25, s24, 31
	s_delay_alu instid0(SALU_CYCLE_1)
	;; [unrolled: 7-line block ×3, first 2 shown]
	s_lshl_b64 s[26:27], s[26:27], 1
	s_cmpk_lt_i32 s50, 0x900
	v_add_co_u32 v22, vcc_lo, v1, s26
	s_cselect_b32 s28, s51, 0x200
	v_add_co_ci_u32_e32 v23, vcc_lo, s27, v3, vcc_lo
	s_ashr_i32 s29, s28, 31
	s_clause 0x7
	global_load_u16 v13, v[4:5], off
	global_load_u16 v4, v[6:7], off
	;; [unrolled: 1-line block ×8, first 2 shown]
	s_lshl_b64 s[28:29], s[28:29], 1
	s_cmpk_lt_i32 s50, 0xa00
	v_add_co_u32 v14, vcc_lo, v1, s28
	s_cselect_b32 s30, s51, 0x240
	v_add_co_ci_u32_e32 v15, vcc_lo, s29, v3, vcc_lo
	s_ashr_i32 s31, s30, 31
	s_delay_alu instid0(SALU_CYCLE_1)
	s_lshl_b64 s[30:31], s[30:31], 1
	s_cmpk_lt_i32 s50, 0xb00
	v_add_co_u32 v16, vcc_lo, v1, s30
	s_cselect_b32 s34, s51, 0x280
	v_add_co_ci_u32_e32 v17, vcc_lo, s31, v3, vcc_lo
	s_ashr_i32 s35, s34, 31
	s_delay_alu instid0(SALU_CYCLE_1)
	;; [unrolled: 7-line block ×7, first 2 shown]
	s_lshl_b64 s[4:5], s[6:7], 1
	s_cmpk_gt_i32 s22, 0x1000
	v_add_co_u32 v30, vcc_lo, v1, s4
	v_add_co_ci_u32_e32 v31, vcc_lo, s5, v3, vcc_lo
	s_clause 0x7
	global_load_u16 v19, v[14:15], off
	global_load_u16 v18, v[16:17], off
	;; [unrolled: 1-line block ×8, first 2 shown]
	v_dual_mov_b32 v20, 0 :: v_dual_mov_b32 v23, 0
	v_dual_mov_b32 v21, 0 :: v_dual_mov_b32 v22, 0
	;; [unrolled: 1-line block ×6, first 2 shown]
	s_cselect_b32 s6, -1, 0
	s_cmpk_lt_i32 s22, 0x1001
	s_waitcnt vmcnt(0)
	s_barrier
	buffer_gl0_inv
	s_cbranch_scc1 .LBB462_11
; %bb.10:
	s_cmpk_lt_i32 s50, 0x1100
	s_cselect_b32 s4, s51, 0x400
	s_delay_alu instid0(SALU_CYCLE_1) | instskip(NEXT) | instid1(SALU_CYCLE_1)
	s_ashr_i32 s5, s4, 31
	s_lshl_b64 s[4:5], s[4:5], 1
	s_cmpk_lt_i32 s50, 0x1200
	v_add_co_u32 v20, vcc_lo, v1, s4
	s_cselect_b32 s8, s51, 0x440
	v_add_co_ci_u32_e32 v21, vcc_lo, s5, v3, vcc_lo
	s_ashr_i32 s9, s8, 31
	s_delay_alu instid0(SALU_CYCLE_1)
	s_lshl_b64 s[8:9], s[8:9], 1
	s_cmpk_lt_i32 s50, 0x1300
	v_add_co_u32 v22, vcc_lo, v1, s8
	s_cselect_b32 s10, s51, 0x480
	v_add_co_ci_u32_e32 v23, vcc_lo, s9, v3, vcc_lo
	s_ashr_i32 s11, s10, 31
	s_delay_alu instid0(SALU_CYCLE_1)
	;; [unrolled: 7-line block ×14, first 2 shown]
	s_lshl_b64 s[4:5], s[18:19], 1
	s_cmpk_lt_i32 s50, 0x2000
	v_add_co_u32 v48, vcc_lo, v1, s4
	s_cselect_b32 s8, s51, 0x7c0
	v_add_co_ci_u32_e32 v49, vcc_lo, s5, v3, vcc_lo
	s_ashr_i32 s9, s8, 31
	s_delay_alu instid0(SALU_CYCLE_1) | instskip(NEXT) | instid1(SALU_CYCLE_1)
	s_lshl_b64 s[4:5], s[8:9], 1
	v_add_co_u32 v50, vcc_lo, v1, s4
	v_add_co_ci_u32_e32 v51, vcc_lo, s5, v3, vcc_lo
	s_clause 0xf
	global_load_u16 v20, v[20:21], off
	global_load_u16 v21, v[22:23], off
	;; [unrolled: 1-line block ×16, first 2 shown]
	s_waitcnt vmcnt(15)
	v_lshlrev_b32_e32 v35, 16, v20
	s_waitcnt vmcnt(14)
	v_lshlrev_b32_e32 v34, 16, v21
	;; [unrolled: 2-line block ×16, first 2 shown]
.LBB462_11:
	ds_load_b128 v[36:39], v2
	ds_load_b128 v[40:43], v2 offset:16
	v_lshlrev_b32_e32 v44, 16, v4
	v_lshlrev_b32_e32 v13, 16, v13
	v_lshlrev_b32_e32 v8, 16, v8
	v_lshlrev_b32_e32 v6, 16, v6
	s_and_not1_b32 vcc_lo, exec_lo, s6
	v_lshlrev_b32_e32 v5, 16, v5
	s_waitcnt lgkmcnt(1)
	v_fma_f32 v4, v36, v13, 0
	s_delay_alu instid0(VALU_DEP_1) | instskip(SKIP_1) | instid1(VALU_DEP_1)
	v_dual_fmac_f32 v4, v37, v44 :: v_dual_lshlrev_b32 v9, 16, v9
	v_lshlrev_b32_e32 v11, 16, v11
	v_dual_fmac_f32 v4, v38, v11 :: v_dual_lshlrev_b32 v11, 16, v18
	s_delay_alu instid0(VALU_DEP_1) | instskip(SKIP_3) | instid1(VALU_DEP_1)
	v_dual_fmac_f32 v4, v39, v9 :: v_dual_lshlrev_b32 v7, 16, v7
	ds_load_b128 v[36:39], v2 offset:32
	s_waitcnt lgkmcnt(1)
	v_dual_fmac_f32 v4, v40, v8 :: v_dual_lshlrev_b32 v9, 16, v19
	v_fmac_f32_e32 v4, v41, v7
	s_delay_alu instid0(VALU_DEP_1) | instskip(NEXT) | instid1(VALU_DEP_1)
	v_fmac_f32_e32 v4, v42, v6
	v_fmac_f32_e32 v4, v43, v5
	ds_load_b128 v[5:8], v2 offset:48
	s_waitcnt lgkmcnt(1)
	v_fmac_f32_e32 v4, v36, v9
	s_delay_alu instid0(VALU_DEP_1) | instskip(NEXT) | instid1(VALU_DEP_1)
	v_dual_fmac_f32 v4, v37, v11 :: v_dual_lshlrev_b32 v9, 16, v17
	v_dual_fmac_f32 v4, v38, v9 :: v_dual_lshlrev_b32 v11, 16, v16
	v_lshlrev_b32_e32 v9, 16, v15
	s_delay_alu instid0(VALU_DEP_2) | instskip(SKIP_1) | instid1(VALU_DEP_1)
	v_dual_fmac_f32 v4, v39, v11 :: v_dual_lshlrev_b32 v11, 16, v14
	s_waitcnt lgkmcnt(0)
	v_dual_fmac_f32 v4, v5, v9 :: v_dual_lshlrev_b32 v5, 16, v12
	s_delay_alu instid0(VALU_DEP_1) | instskip(NEXT) | instid1(VALU_DEP_1)
	v_fmac_f32_e32 v4, v6, v11
	v_dual_fmac_f32 v4, v7, v5 :: v_dual_lshlrev_b32 v5, 16, v10
	s_delay_alu instid0(VALU_DEP_1)
	v_fmac_f32_e32 v4, v8, v5
	s_cbranch_vccz .LBB462_24
; %bb.12:
	s_cmpk_lt_i32 s50, 0x2100
	s_cbranch_scc0 .LBB462_25
.LBB462_13:
	s_cmpk_lt_i32 s50, 0x4100
	s_cbranch_scc0 .LBB462_26
.LBB462_14:
	s_cmpk_lt_i32 s50, 0x6100
	s_cbranch_scc0 .LBB462_27
.LBB462_15:
	s_cmp_lt_i32 s50, 0x8100
	s_cbranch_scc0 .LBB462_28
.LBB462_16:
	v_mov_b32_e32 v1, 0
	s_and_not1_b32 vcc_lo, exec_lo, s15
	ds_load_b32 v1, v1 offset:640
	s_cbranch_vccnz .LBB462_18
.LBB462_17:
	s_add_u32 s2, s12, s16
	s_addc_u32 s3, s13, s17
	s_load_b32 s2, s[2:3], 0x0
	s_mov_b32 s3, 0
.LBB462_18:
	s_waitcnt lgkmcnt(0)
	v_add_f32_e32 v1, 0x358637bd, v1
	s_load_b64 s[0:1], s[0:1], 0x0
	s_delay_alu instid0(VALU_DEP_1) | instskip(NEXT) | instid1(VALU_DEP_1)
	v_div_scale_f32 v2, null, v1, v1, 1.0
	v_rcp_f32_e32 v3, v2
	s_waitcnt_depctr 0xfff
	v_fma_f32 v5, -v2, v3, 1.0
	s_delay_alu instid0(VALU_DEP_1) | instskip(SKIP_1) | instid1(VALU_DEP_1)
	v_fmac_f32_e32 v3, v5, v3
	v_div_scale_f32 v5, vcc_lo, 1.0, v1, 1.0
	v_mul_f32_e32 v6, v5, v3
	s_delay_alu instid0(VALU_DEP_1) | instskip(NEXT) | instid1(VALU_DEP_1)
	v_fma_f32 v7, -v2, v6, v5
	v_fmac_f32_e32 v6, v7, v3
	s_delay_alu instid0(VALU_DEP_1) | instskip(NEXT) | instid1(VALU_DEP_1)
	v_fma_f32 v2, -v2, v6, v5
	v_div_fmas_f32 v2, v2, v3, v6
	s_delay_alu instid0(VALU_DEP_1) | instskip(NEXT) | instid1(VALU_DEP_1)
	v_div_fixup_f32 v1, v2, v1, 1.0
	v_mul_f32_e32 v2, v4, v1
	s_delay_alu instid0(VALU_DEP_1) | instskip(NEXT) | instid1(VALU_DEP_1)
	v_and_b32_e32 v1, 0x7f800000, v2
	v_cmp_ne_u32_e32 vcc_lo, 0x7f800000, v1
                                        ; implicit-def: $vgpr1
	s_and_saveexec_b32 s4, vcc_lo
	s_delay_alu instid0(SALU_CYCLE_1)
	s_xor_b32 s4, exec_lo, s4
; %bb.19:
	v_bfe_u32 v1, v2, 16, 1
	s_delay_alu instid0(VALU_DEP_1)
	v_add3_u32 v1, v2, v1, 0x7fff
                                        ; implicit-def: $vgpr2
; %bb.20:
	s_and_not1_saveexec_b32 s4, s4
; %bb.21:
	v_and_b32_e32 v1, 0xffff, v2
	v_or_b32_e32 v3, 0x10000, v2
	s_delay_alu instid0(VALU_DEP_2) | instskip(NEXT) | instid1(VALU_DEP_2)
	v_cmp_eq_u32_e32 vcc_lo, 0, v1
	v_cndmask_b32_e32 v1, v3, v2, vcc_lo
; %bb.22:
	s_or_b32 exec_lo, exec_lo, s4
	s_mul_i32 s3, s33, s3
	s_mul_hi_u32 s4, s33, s2
	s_mul_i32 s2, s33, s2
	s_add_i32 s3, s4, s3
	s_mov_b32 s15, 0
	s_lshl_b64 s[2:3], s[2:3], 7
	s_waitcnt lgkmcnt(0)
	s_add_u32 s2, s0, s2
	s_addc_u32 s3, s1, s3
	s_lshl_b64 s[0:1], s[14:15], 7
	s_delay_alu instid0(SALU_CYCLE_1)
	s_add_u32 s0, s2, s0
	s_addc_u32 s1, s3, s1
	global_store_d16_hi_b16 v0, v1, s[0:1]
	s_nop 0
	s_sendmsg sendmsg(MSG_DEALLOC_VGPRS)
	s_endpgm
.LBB462_23:
	s_mov_b32 s4, 0
	s_branch .LBB462_2
.LBB462_24:
	ds_load_b128 v[5:8], v2 offset:64
	ds_load_b128 v[9:12], v2 offset:80
	s_waitcnt lgkmcnt(1)
	v_fmac_f32_e32 v4, v5, v35
	s_delay_alu instid0(VALU_DEP_1) | instskip(NEXT) | instid1(VALU_DEP_1)
	v_fmac_f32_e32 v4, v6, v34
	v_fmac_f32_e32 v4, v7, v33
	s_delay_alu instid0(VALU_DEP_1) | instskip(SKIP_3) | instid1(VALU_DEP_1)
	v_fmac_f32_e32 v4, v8, v32
	ds_load_b128 v[5:8], v2 offset:96
	s_waitcnt lgkmcnt(1)
	v_fmac_f32_e32 v4, v9, v31
	v_fmac_f32_e32 v4, v10, v30
	s_delay_alu instid0(VALU_DEP_1) | instskip(NEXT) | instid1(VALU_DEP_1)
	v_fmac_f32_e32 v4, v11, v29
	v_fmac_f32_e32 v4, v12, v28
	ds_load_b128 v[9:12], v2 offset:112
	s_waitcnt lgkmcnt(1)
	v_fmac_f32_e32 v4, v5, v27
	s_delay_alu instid0(VALU_DEP_1) | instskip(NEXT) | instid1(VALU_DEP_1)
	v_fmac_f32_e32 v4, v6, v26
	v_fmac_f32_e32 v4, v7, v25
	s_delay_alu instid0(VALU_DEP_1) | instskip(SKIP_1) | instid1(VALU_DEP_1)
	v_fmac_f32_e32 v4, v8, v24
	s_waitcnt lgkmcnt(0)
	v_fmac_f32_e32 v4, v9, v23
	s_delay_alu instid0(VALU_DEP_1) | instskip(NEXT) | instid1(VALU_DEP_1)
	v_fmac_f32_e32 v4, v10, v22
	v_fmac_f32_e32 v4, v11, v21
	s_delay_alu instid0(VALU_DEP_1)
	v_fmac_f32_e32 v4, v12, v20
	s_cmpk_lt_i32 s50, 0x2100
	s_cbranch_scc1 .LBB462_13
.LBB462_25:
	s_cmpk_lt_i32 s50, 0x2200
	v_add_co_u32 v5, vcc_lo, 0x1000, v1
	s_cselect_b32 s4, s51, 0x840
	v_add_co_ci_u32_e32 v6, vcc_lo, 0, v3, vcc_lo
	s_ashr_i32 s5, s4, 31
	v_mov_b32_e32 v44, 0
	s_lshl_b64 s[4:5], s[4:5], 1
	s_cmpk_lt_i32 s50, 0x2300
	global_load_u16 v2, v[5:6], off
	s_cselect_b32 s6, s51, 0x880
	v_add_co_u32 v5, vcc_lo, v1, s4
	s_ashr_i32 s7, s6, 31
	v_add_co_ci_u32_e32 v6, vcc_lo, s5, v3, vcc_lo
	s_lshl_b64 s[8:9], s[6:7], 1
	s_cmpk_lt_i32 s50, 0x2400
	v_add_co_u32 v7, vcc_lo, v1, s8
	s_cselect_b32 s6, s51, 0x8c0
	v_add_co_ci_u32_e32 v8, vcc_lo, s9, v3, vcc_lo
	s_ashr_i32 s7, s6, 31
	s_delay_alu instid0(SALU_CYCLE_1)
	s_lshl_b64 s[18:19], s[6:7], 1
	s_cmpk_lt_i32 s50, 0x2500
	v_add_co_u32 v9, vcc_lo, v1, s18
	s_cselect_b32 s6, s51, 0x900
	v_add_co_ci_u32_e32 v10, vcc_lo, s19, v3, vcc_lo
	s_ashr_i32 s7, s6, 31
	s_delay_alu instid0(SALU_CYCLE_1)
	s_lshl_b64 s[24:25], s[6:7], 1
	s_cmpk_lt_i32 s50, 0x2600
	v_add_co_u32 v11, vcc_lo, v1, s24
	s_cselect_b32 s6, s51, 0x940
	v_add_co_ci_u32_e32 v12, vcc_lo, s25, v3, vcc_lo
	s_ashr_i32 s7, s6, 31
	s_clause 0x3
	global_load_u16 v13, v[5:6], off
	global_load_u16 v14, v[7:8], off
	;; [unrolled: 1-line block ×4, first 2 shown]
	s_lshl_b64 s[6:7], s[6:7], 1
	s_cmpk_lt_i32 s50, 0x2700
	v_add_co_u32 v5, vcc_lo, v1, s6
	s_cselect_b32 s10, s51, 0x980
	v_add_co_ci_u32_e32 v6, vcc_lo, s7, v3, vcc_lo
	s_ashr_i32 s11, s10, 31
	s_delay_alu instid0(SALU_CYCLE_1)
	s_lshl_b64 s[10:11], s[10:11], 1
	s_cmpk_lt_i32 s50, 0x2800
	v_add_co_u32 v7, vcc_lo, v1, s10
	s_cselect_b32 s20, s51, 0x9c0
	v_add_co_ci_u32_e32 v8, vcc_lo, s11, v3, vcc_lo
	s_ashr_i32 s21, s20, 31
	s_delay_alu instid0(SALU_CYCLE_1)
	;; [unrolled: 7-line block ×3, first 2 shown]
	s_lshl_b64 s[30:31], s[20:21], 1
	s_cmpk_lt_i32 s50, 0x2a00
	v_add_co_u32 v11, vcc_lo, v1, s30
	s_cselect_b32 s20, s51, 0xa40
	v_add_co_ci_u32_e32 v12, vcc_lo, s31, v3, vcc_lo
	s_ashr_i32 s21, s20, 31
	s_clause 0x3
	global_load_u16 v17, v[5:6], off
	global_load_u16 v18, v[7:8], off
	;; [unrolled: 1-line block ×4, first 2 shown]
	s_lshl_b64 s[20:21], s[20:21], 1
	s_cmpk_lt_i32 s50, 0x2b00
	v_add_co_u32 v5, vcc_lo, v1, s20
	s_cselect_b32 s26, s51, 0xa80
	v_add_co_ci_u32_e32 v6, vcc_lo, s21, v3, vcc_lo
	s_ashr_i32 s27, s26, 31
	s_delay_alu instid0(SALU_CYCLE_1)
	s_lshl_b64 s[26:27], s[26:27], 1
	s_cmpk_lt_i32 s50, 0x2c00
	v_add_co_u32 v7, vcc_lo, v1, s26
	s_cselect_b32 s28, s51, 0xac0
	v_add_co_ci_u32_e32 v8, vcc_lo, s27, v3, vcc_lo
	s_ashr_i32 s29, s28, 31
	global_load_u16 v21, v[5:6], off
	s_lshl_b64 s[34:35], s[28:29], 1
	s_cmpk_lt_i32 s50, 0x2d00
	v_add_co_u32 v9, vcc_lo, v1, s34
	s_cselect_b32 s28, s51, 0xb00
	v_add_co_ci_u32_e32 v10, vcc_lo, s35, v3, vcc_lo
	s_ashr_i32 s29, s28, 31
	s_delay_alu instid0(SALU_CYCLE_1)
	s_lshl_b64 s[38:39], s[28:29], 1
	s_cmpk_lt_i32 s50, 0x2e00
	v_add_co_u32 v11, vcc_lo, v1, s38
	s_cselect_b32 s28, s51, 0xb40
	v_add_co_ci_u32_e32 v12, vcc_lo, s39, v3, vcc_lo
	s_ashr_i32 s29, s28, 31
	s_clause 0x2
	global_load_u16 v22, v[7:8], off
	global_load_u16 v23, v[9:10], off
	;; [unrolled: 1-line block ×3, first 2 shown]
	s_lshl_b64 s[28:29], s[28:29], 1
	s_cmpk_lt_i32 s50, 0x2f00
	v_add_co_u32 v5, vcc_lo, v1, s28
	s_cselect_b32 s36, s51, 0xb80
	v_add_co_ci_u32_e32 v6, vcc_lo, s29, v3, vcc_lo
	s_ashr_i32 s37, s36, 31
	s_delay_alu instid0(SALU_CYCLE_1)
	s_lshl_b64 s[36:37], s[36:37], 1
	s_cmpk_lt_i32 s50, 0x3000
	v_add_co_u32 v7, vcc_lo, v1, s36
	s_cselect_b32 s40, s51, 0xbc0
	v_add_co_ci_u32_e32 v8, vcc_lo, s37, v3, vcc_lo
	s_ashr_i32 s41, s40, 31
	global_load_u16 v25, v[5:6], off
	s_lshl_b64 s[40:41], s[40:41], 1
	global_load_u16 v26, v[7:8], off
	s_cmpk_lt_i32 s50, 0x3100
	v_add_co_u32 v9, vcc_lo, v1, s40
	s_cselect_b32 s42, s51, 0xc00
	v_add_co_ci_u32_e32 v10, vcc_lo, s41, v3, vcc_lo
	s_ashr_i32 s43, s42, 31
	s_delay_alu instid0(SALU_CYCLE_1)
	s_lshl_b64 s[42:43], s[42:43], 1
	global_load_u16 v27, v[9:10], off
	s_cmpk_lt_i32 s50, 0x3200
	v_add_co_u32 v5, vcc_lo, v1, s42
	s_cselect_b32 s44, s51, 0xc40
	v_add_co_ci_u32_e32 v6, vcc_lo, s43, v3, vcc_lo
	s_ashr_i32 s45, s44, 31
	s_delay_alu instid0(SALU_CYCLE_1)
	s_lshl_b64 s[44:45], s[44:45], 1
	s_cmpk_lt_i32 s50, 0x3300
	v_add_co_u32 v7, vcc_lo, v1, s44
	s_cselect_b32 s46, s51, 0xc80
	v_add_co_ci_u32_e32 v8, vcc_lo, s45, v3, vcc_lo
	s_ashr_i32 s47, s46, 31
	global_load_u16 v28, v[5:6], off
	s_lshl_b64 s[46:47], s[46:47], 1
	global_load_u16 v29, v[7:8], off
	s_cmpk_lt_i32 s50, 0x3400
	v_add_co_u32 v9, vcc_lo, v1, s46
	s_cselect_b32 s48, s51, 0xcc0
	v_add_co_ci_u32_e32 v10, vcc_lo, s47, v3, vcc_lo
	s_ashr_i32 s49, s48, 31
	s_delay_alu instid0(SALU_CYCLE_1)
	s_lshl_b64 s[48:49], s[48:49], 1
	s_cmpk_lt_i32 s50, 0x3500
	v_add_co_u32 v5, vcc_lo, v1, s48
	s_cselect_b32 s4, s51, 0xd00
	v_add_co_ci_u32_e32 v6, vcc_lo, s49, v3, vcc_lo
	s_ashr_i32 s5, s4, 31
	global_load_u16 v30, v[9:10], off
	s_lshl_b64 s[4:5], s[4:5], 1
	s_cmpk_lt_i32 s50, 0x3600
	v_add_co_u32 v7, vcc_lo, v1, s4
	s_cselect_b32 s8, s51, 0xd40
	v_add_co_ci_u32_e32 v8, vcc_lo, s5, v3, vcc_lo
	s_ashr_i32 s9, s8, 31
	global_load_u16 v31, v[5:6], off
	s_lshl_b64 s[6:7], s[8:9], 1
	global_load_u16 v32, v[7:8], off
	s_cmpk_lt_i32 s50, 0x3700
	v_add_co_u32 v5, vcc_lo, v1, s6
	s_cselect_b32 s8, s51, 0xd80
	v_add_co_ci_u32_e32 v6, vcc_lo, s7, v3, vcc_lo
	s_ashr_i32 s9, s8, 31
	s_delay_alu instid0(SALU_CYCLE_1)
	s_lshl_b64 s[8:9], s[8:9], 1
	s_cmpk_lt_i32 s50, 0x3800
	v_add_co_u32 v7, vcc_lo, v1, s8
	s_cselect_b32 s10, s51, 0xdc0
	v_add_co_ci_u32_e32 v8, vcc_lo, s9, v3, vcc_lo
	s_ashr_i32 s11, s10, 31
	global_load_u16 v33, v[5:6], off
	s_lshl_b64 s[10:11], s[10:11], 1
	global_load_u16 v34, v[7:8], off
	s_cmpk_lt_i32 s50, 0x3900
	v_add_co_u32 v5, vcc_lo, v1, s10
	s_cselect_b32 s18, s51, 0xe00
	v_add_co_ci_u32_e32 v6, vcc_lo, s11, v3, vcc_lo
	s_ashr_i32 s19, s18, 31
	s_delay_alu instid0(SALU_CYCLE_1)
	;; [unrolled: 15-line block ×5, first 2 shown]
	s_lshl_b64 s[4:5], s[8:9], 1
	s_cmpk_lt_i32 s50, 0x4000
	v_add_co_u32 v7, vcc_lo, v1, s4
	s_cselect_b32 s6, s51, 0xfc0
	v_add_co_ci_u32_e32 v8, vcc_lo, s5, v3, vcc_lo
	s_ashr_i32 s7, s6, 31
	global_load_u16 v41, v[5:6], off
	s_lshl_b64 s[4:5], s[6:7], 1
	global_load_u16 v42, v[7:8], off
	v_add_co_u32 v5, vcc_lo, v1, s4
	v_add_co_ci_u32_e32 v6, vcc_lo, s5, v3, vcc_lo
	global_load_u16 v43, v[5:6], off
	ds_load_b128 v[5:8], v44 offset:128
	ds_load_b128 v[9:12], v44 offset:144
	s_waitcnt vmcnt(31)
	v_lshlrev_b32_e32 v2, 16, v2
	s_waitcnt lgkmcnt(1)
	s_delay_alu instid0(VALU_DEP_1) | instskip(SKIP_2) | instid1(VALU_DEP_1)
	v_fmac_f32_e32 v4, v5, v2
	s_waitcnt vmcnt(30)
	v_lshlrev_b32_e32 v2, 16, v13
	v_fmac_f32_e32 v4, v6, v2
	s_waitcnt vmcnt(29)
	v_lshlrev_b32_e32 v2, 16, v14
	s_delay_alu instid0(VALU_DEP_1) | instskip(SKIP_2) | instid1(VALU_DEP_1)
	v_fmac_f32_e32 v4, v7, v2
	s_waitcnt vmcnt(28)
	v_lshlrev_b32_e32 v2, 16, v15
	v_fmac_f32_e32 v4, v8, v2
	s_waitcnt vmcnt(27)
	v_lshlrev_b32_e32 v2, 16, v16
	ds_load_b128 v[5:8], v44 offset:160
	s_waitcnt lgkmcnt(1)
	v_fmac_f32_e32 v4, v9, v2
	s_waitcnt vmcnt(26)
	v_lshlrev_b32_e32 v2, 16, v17
	s_delay_alu instid0(VALU_DEP_1) | instskip(SKIP_2) | instid1(VALU_DEP_1)
	v_fmac_f32_e32 v4, v10, v2
	s_waitcnt vmcnt(25)
	v_lshlrev_b32_e32 v2, 16, v18
	v_fmac_f32_e32 v4, v11, v2
	s_waitcnt vmcnt(24)
	v_lshlrev_b32_e32 v2, 16, v19
	s_delay_alu instid0(VALU_DEP_1) | instskip(SKIP_4) | instid1(VALU_DEP_1)
	v_fmac_f32_e32 v4, v12, v2
	ds_load_b128 v[9:12], v44 offset:176
	s_waitcnt vmcnt(23)
	v_lshlrev_b32_e32 v2, 16, v20
	s_waitcnt lgkmcnt(1)
	v_fmac_f32_e32 v4, v5, v2
	s_waitcnt vmcnt(22)
	v_lshlrev_b32_e32 v2, 16, v21
	s_delay_alu instid0(VALU_DEP_1) | instskip(SKIP_2) | instid1(VALU_DEP_1)
	v_fmac_f32_e32 v4, v6, v2
	s_waitcnt vmcnt(21)
	v_lshlrev_b32_e32 v2, 16, v22
	v_fmac_f32_e32 v4, v7, v2
	s_waitcnt vmcnt(20)
	v_lshlrev_b32_e32 v2, 16, v23
	s_delay_alu instid0(VALU_DEP_1)
	v_fmac_f32_e32 v4, v8, v2
	s_waitcnt vmcnt(19)
	v_lshlrev_b32_e32 v2, 16, v24
	ds_load_b128 v[5:8], v44 offset:192
	s_waitcnt lgkmcnt(1)
	v_fmac_f32_e32 v4, v9, v2
	s_waitcnt vmcnt(18)
	v_lshlrev_b32_e32 v2, 16, v25
	s_delay_alu instid0(VALU_DEP_1) | instskip(SKIP_2) | instid1(VALU_DEP_1)
	v_fmac_f32_e32 v4, v10, v2
	s_waitcnt vmcnt(17)
	v_lshlrev_b32_e32 v2, 16, v26
	v_fmac_f32_e32 v4, v11, v2
	s_waitcnt vmcnt(16)
	v_lshlrev_b32_e32 v2, 16, v27
	s_delay_alu instid0(VALU_DEP_1) | instskip(SKIP_4) | instid1(VALU_DEP_1)
	v_fmac_f32_e32 v4, v12, v2
	ds_load_b128 v[9:12], v44 offset:208
	s_waitcnt vmcnt(15)
	v_lshlrev_b32_e32 v2, 16, v28
	s_waitcnt lgkmcnt(1)
	v_fmac_f32_e32 v4, v5, v2
	s_waitcnt vmcnt(14)
	v_lshlrev_b32_e32 v2, 16, v29
	s_delay_alu instid0(VALU_DEP_1) | instskip(SKIP_2) | instid1(VALU_DEP_1)
	v_fmac_f32_e32 v4, v6, v2
	s_waitcnt vmcnt(13)
	v_lshlrev_b32_e32 v2, 16, v30
	v_fmac_f32_e32 v4, v7, v2
	s_waitcnt vmcnt(12)
	v_lshlrev_b32_e32 v2, 16, v31
	s_delay_alu instid0(VALU_DEP_1)
	v_fmac_f32_e32 v4, v8, v2
	s_waitcnt vmcnt(11)
	v_lshlrev_b32_e32 v2, 16, v32
	ds_load_b128 v[5:8], v44 offset:224
	s_waitcnt lgkmcnt(1)
	v_fmac_f32_e32 v4, v9, v2
	s_waitcnt vmcnt(10)
	v_lshlrev_b32_e32 v2, 16, v33
	s_delay_alu instid0(VALU_DEP_1) | instskip(SKIP_2) | instid1(VALU_DEP_1)
	v_fmac_f32_e32 v4, v10, v2
	s_waitcnt vmcnt(9)
	v_lshlrev_b32_e32 v2, 16, v34
	v_fmac_f32_e32 v4, v11, v2
	s_waitcnt vmcnt(8)
	v_lshlrev_b32_e32 v2, 16, v35
	s_delay_alu instid0(VALU_DEP_1) | instskip(SKIP_4) | instid1(VALU_DEP_1)
	v_fmac_f32_e32 v4, v12, v2
	ds_load_b128 v[9:12], v44 offset:240
	s_waitcnt vmcnt(7)
	v_lshlrev_b32_e32 v2, 16, v36
	s_waitcnt lgkmcnt(1)
	v_fmac_f32_e32 v4, v5, v2
	s_waitcnt vmcnt(6)
	v_lshlrev_b32_e32 v2, 16, v37
	s_delay_alu instid0(VALU_DEP_1) | instskip(SKIP_2) | instid1(VALU_DEP_1)
	v_fmac_f32_e32 v4, v6, v2
	s_waitcnt vmcnt(5)
	v_lshlrev_b32_e32 v2, 16, v38
	v_fmac_f32_e32 v4, v7, v2
	s_waitcnt vmcnt(4)
	v_lshlrev_b32_e32 v2, 16, v39
	s_delay_alu instid0(VALU_DEP_1) | instskip(SKIP_3) | instid1(VALU_DEP_1)
	v_fmac_f32_e32 v4, v8, v2
	s_waitcnt vmcnt(3)
	v_lshlrev_b32_e32 v2, 16, v40
	s_waitcnt lgkmcnt(0)
	v_fmac_f32_e32 v4, v9, v2
	s_waitcnt vmcnt(2)
	v_lshlrev_b32_e32 v2, 16, v41
	s_delay_alu instid0(VALU_DEP_1) | instskip(SKIP_2) | instid1(VALU_DEP_1)
	v_fmac_f32_e32 v4, v10, v2
	s_waitcnt vmcnt(1)
	v_lshlrev_b32_e32 v2, 16, v42
	v_fmac_f32_e32 v4, v11, v2
	s_waitcnt vmcnt(0)
	v_lshlrev_b32_e32 v2, 16, v43
	s_delay_alu instid0(VALU_DEP_1)
	v_fmac_f32_e32 v4, v12, v2
	s_cmpk_lt_i32 s50, 0x4100
	s_cbranch_scc1 .LBB462_14
.LBB462_26:
	s_cmpk_lt_i32 s50, 0x4200
	v_add_co_u32 v5, vcc_lo, 0x2000, v1
	s_cselect_b32 s4, s51, 0x1040
	v_add_co_ci_u32_e32 v6, vcc_lo, 0, v3, vcc_lo
	s_ashr_i32 s5, s4, 31
	v_mov_b32_e32 v44, 0
	s_lshl_b64 s[4:5], s[4:5], 1
	s_cmpk_lt_i32 s50, 0x4300
	global_load_u16 v2, v[5:6], off
	s_cselect_b32 s6, s51, 0x1080
	v_add_co_u32 v5, vcc_lo, v1, s4
	s_ashr_i32 s7, s6, 31
	v_add_co_ci_u32_e32 v6, vcc_lo, s5, v3, vcc_lo
	s_lshl_b64 s[8:9], s[6:7], 1
	s_cmpk_lt_i32 s50, 0x4400
	v_add_co_u32 v7, vcc_lo, v1, s8
	s_cselect_b32 s6, s51, 0x10c0
	v_add_co_ci_u32_e32 v8, vcc_lo, s9, v3, vcc_lo
	s_ashr_i32 s7, s6, 31
	s_delay_alu instid0(SALU_CYCLE_1)
	s_lshl_b64 s[18:19], s[6:7], 1
	s_cmpk_lt_i32 s50, 0x4500
	v_add_co_u32 v9, vcc_lo, v1, s18
	s_cselect_b32 s6, s51, 0x1100
	v_add_co_ci_u32_e32 v10, vcc_lo, s19, v3, vcc_lo
	s_ashr_i32 s7, s6, 31
	s_delay_alu instid0(SALU_CYCLE_1)
	s_lshl_b64 s[24:25], s[6:7], 1
	s_cmpk_lt_i32 s50, 0x4600
	v_add_co_u32 v11, vcc_lo, v1, s24
	s_cselect_b32 s6, s51, 0x1140
	v_add_co_ci_u32_e32 v12, vcc_lo, s25, v3, vcc_lo
	s_ashr_i32 s7, s6, 31
	s_clause 0x3
	global_load_u16 v13, v[5:6], off
	global_load_u16 v14, v[7:8], off
	;; [unrolled: 1-line block ×4, first 2 shown]
	s_lshl_b64 s[6:7], s[6:7], 1
	s_cmpk_lt_i32 s50, 0x4700
	v_add_co_u32 v5, vcc_lo, v1, s6
	s_cselect_b32 s10, s51, 0x1180
	v_add_co_ci_u32_e32 v6, vcc_lo, s7, v3, vcc_lo
	s_ashr_i32 s11, s10, 31
	s_delay_alu instid0(SALU_CYCLE_1)
	s_lshl_b64 s[10:11], s[10:11], 1
	s_cmpk_lt_i32 s50, 0x4800
	v_add_co_u32 v7, vcc_lo, v1, s10
	s_cselect_b32 s20, s51, 0x11c0
	v_add_co_ci_u32_e32 v8, vcc_lo, s11, v3, vcc_lo
	s_ashr_i32 s21, s20, 31
	s_delay_alu instid0(SALU_CYCLE_1)
	;; [unrolled: 7-line block ×3, first 2 shown]
	s_lshl_b64 s[30:31], s[20:21], 1
	s_cmpk_lt_i32 s50, 0x4a00
	v_add_co_u32 v11, vcc_lo, v1, s30
	s_cselect_b32 s20, s51, 0x1240
	v_add_co_ci_u32_e32 v12, vcc_lo, s31, v3, vcc_lo
	s_ashr_i32 s21, s20, 31
	s_clause 0x3
	global_load_u16 v17, v[5:6], off
	global_load_u16 v18, v[7:8], off
	;; [unrolled: 1-line block ×4, first 2 shown]
	s_lshl_b64 s[20:21], s[20:21], 1
	s_cmpk_lt_i32 s50, 0x4b00
	v_add_co_u32 v5, vcc_lo, v1, s20
	s_cselect_b32 s26, s51, 0x1280
	v_add_co_ci_u32_e32 v6, vcc_lo, s21, v3, vcc_lo
	s_ashr_i32 s27, s26, 31
	s_delay_alu instid0(SALU_CYCLE_1)
	s_lshl_b64 s[26:27], s[26:27], 1
	s_cmpk_lt_i32 s50, 0x4c00
	v_add_co_u32 v7, vcc_lo, v1, s26
	s_cselect_b32 s28, s51, 0x12c0
	v_add_co_ci_u32_e32 v8, vcc_lo, s27, v3, vcc_lo
	s_ashr_i32 s29, s28, 31
	global_load_u16 v21, v[5:6], off
	s_lshl_b64 s[34:35], s[28:29], 1
	s_cmpk_lt_i32 s50, 0x4d00
	v_add_co_u32 v9, vcc_lo, v1, s34
	s_cselect_b32 s28, s51, 0x1300
	v_add_co_ci_u32_e32 v10, vcc_lo, s35, v3, vcc_lo
	s_ashr_i32 s29, s28, 31
	s_delay_alu instid0(SALU_CYCLE_1)
	s_lshl_b64 s[38:39], s[28:29], 1
	s_cmpk_lt_i32 s50, 0x4e00
	v_add_co_u32 v11, vcc_lo, v1, s38
	s_cselect_b32 s28, s51, 0x1340
	v_add_co_ci_u32_e32 v12, vcc_lo, s39, v3, vcc_lo
	s_ashr_i32 s29, s28, 31
	s_clause 0x2
	global_load_u16 v22, v[7:8], off
	global_load_u16 v23, v[9:10], off
	;; [unrolled: 1-line block ×3, first 2 shown]
	s_lshl_b64 s[28:29], s[28:29], 1
	s_cmpk_lt_i32 s50, 0x4f00
	v_add_co_u32 v5, vcc_lo, v1, s28
	s_cselect_b32 s36, s51, 0x1380
	v_add_co_ci_u32_e32 v6, vcc_lo, s29, v3, vcc_lo
	s_ashr_i32 s37, s36, 31
	s_delay_alu instid0(SALU_CYCLE_1)
	s_lshl_b64 s[36:37], s[36:37], 1
	s_cmpk_lt_i32 s50, 0x5000
	v_add_co_u32 v7, vcc_lo, v1, s36
	s_cselect_b32 s40, s51, 0x13c0
	v_add_co_ci_u32_e32 v8, vcc_lo, s37, v3, vcc_lo
	s_ashr_i32 s41, s40, 31
	global_load_u16 v25, v[5:6], off
	s_lshl_b64 s[40:41], s[40:41], 1
	global_load_u16 v26, v[7:8], off
	s_cmpk_lt_i32 s50, 0x5100
	v_add_co_u32 v9, vcc_lo, v1, s40
	s_cselect_b32 s42, s51, 0x1400
	v_add_co_ci_u32_e32 v10, vcc_lo, s41, v3, vcc_lo
	s_ashr_i32 s43, s42, 31
	s_delay_alu instid0(SALU_CYCLE_1)
	s_lshl_b64 s[42:43], s[42:43], 1
	global_load_u16 v27, v[9:10], off
	s_cmpk_lt_i32 s50, 0x5200
	v_add_co_u32 v5, vcc_lo, v1, s42
	s_cselect_b32 s44, s51, 0x1440
	v_add_co_ci_u32_e32 v6, vcc_lo, s43, v3, vcc_lo
	s_ashr_i32 s45, s44, 31
	s_delay_alu instid0(SALU_CYCLE_1)
	s_lshl_b64 s[44:45], s[44:45], 1
	s_cmpk_lt_i32 s50, 0x5300
	v_add_co_u32 v7, vcc_lo, v1, s44
	s_cselect_b32 s46, s51, 0x1480
	v_add_co_ci_u32_e32 v8, vcc_lo, s45, v3, vcc_lo
	s_ashr_i32 s47, s46, 31
	global_load_u16 v28, v[5:6], off
	s_lshl_b64 s[46:47], s[46:47], 1
	global_load_u16 v29, v[7:8], off
	s_cmpk_lt_i32 s50, 0x5400
	v_add_co_u32 v9, vcc_lo, v1, s46
	s_cselect_b32 s48, s51, 0x14c0
	v_add_co_ci_u32_e32 v10, vcc_lo, s47, v3, vcc_lo
	s_ashr_i32 s49, s48, 31
	s_delay_alu instid0(SALU_CYCLE_1)
	s_lshl_b64 s[48:49], s[48:49], 1
	s_cmpk_lt_i32 s50, 0x5500
	v_add_co_u32 v5, vcc_lo, v1, s48
	s_cselect_b32 s4, s51, 0x1500
	v_add_co_ci_u32_e32 v6, vcc_lo, s49, v3, vcc_lo
	s_ashr_i32 s5, s4, 31
	global_load_u16 v30, v[9:10], off
	s_lshl_b64 s[4:5], s[4:5], 1
	s_cmpk_lt_i32 s50, 0x5600
	v_add_co_u32 v7, vcc_lo, v1, s4
	s_cselect_b32 s8, s51, 0x1540
	v_add_co_ci_u32_e32 v8, vcc_lo, s5, v3, vcc_lo
	s_ashr_i32 s9, s8, 31
	global_load_u16 v31, v[5:6], off
	s_lshl_b64 s[6:7], s[8:9], 1
	global_load_u16 v32, v[7:8], off
	s_cmpk_lt_i32 s50, 0x5700
	v_add_co_u32 v5, vcc_lo, v1, s6
	s_cselect_b32 s8, s51, 0x1580
	v_add_co_ci_u32_e32 v6, vcc_lo, s7, v3, vcc_lo
	s_ashr_i32 s9, s8, 31
	s_delay_alu instid0(SALU_CYCLE_1)
	s_lshl_b64 s[8:9], s[8:9], 1
	s_cmpk_lt_i32 s50, 0x5800
	v_add_co_u32 v7, vcc_lo, v1, s8
	s_cselect_b32 s10, s51, 0x15c0
	v_add_co_ci_u32_e32 v8, vcc_lo, s9, v3, vcc_lo
	s_ashr_i32 s11, s10, 31
	global_load_u16 v33, v[5:6], off
	s_lshl_b64 s[10:11], s[10:11], 1
	global_load_u16 v34, v[7:8], off
	s_cmpk_lt_i32 s50, 0x5900
	v_add_co_u32 v5, vcc_lo, v1, s10
	s_cselect_b32 s18, s51, 0x1600
	v_add_co_ci_u32_e32 v6, vcc_lo, s11, v3, vcc_lo
	s_ashr_i32 s19, s18, 31
	s_delay_alu instid0(SALU_CYCLE_1)
	;; [unrolled: 15-line block ×5, first 2 shown]
	s_lshl_b64 s[4:5], s[8:9], 1
	s_cmpk_lt_i32 s50, 0x6000
	v_add_co_u32 v7, vcc_lo, v1, s4
	s_cselect_b32 s6, s51, 0x17c0
	v_add_co_ci_u32_e32 v8, vcc_lo, s5, v3, vcc_lo
	s_ashr_i32 s7, s6, 31
	global_load_u16 v41, v[5:6], off
	s_lshl_b64 s[4:5], s[6:7], 1
	global_load_u16 v42, v[7:8], off
	v_add_co_u32 v5, vcc_lo, v1, s4
	v_add_co_ci_u32_e32 v6, vcc_lo, s5, v3, vcc_lo
	global_load_u16 v43, v[5:6], off
	ds_load_b128 v[5:8], v44 offset:256
	ds_load_b128 v[9:12], v44 offset:272
	s_waitcnt vmcnt(31)
	v_lshlrev_b32_e32 v2, 16, v2
	s_waitcnt lgkmcnt(1)
	s_delay_alu instid0(VALU_DEP_1) | instskip(SKIP_2) | instid1(VALU_DEP_1)
	v_fmac_f32_e32 v4, v5, v2
	s_waitcnt vmcnt(30)
	v_lshlrev_b32_e32 v2, 16, v13
	v_fmac_f32_e32 v4, v6, v2
	s_waitcnt vmcnt(29)
	v_lshlrev_b32_e32 v2, 16, v14
	s_delay_alu instid0(VALU_DEP_1) | instskip(SKIP_2) | instid1(VALU_DEP_1)
	v_fmac_f32_e32 v4, v7, v2
	s_waitcnt vmcnt(28)
	v_lshlrev_b32_e32 v2, 16, v15
	v_fmac_f32_e32 v4, v8, v2
	s_waitcnt vmcnt(27)
	v_lshlrev_b32_e32 v2, 16, v16
	ds_load_b128 v[5:8], v44 offset:288
	s_waitcnt lgkmcnt(1)
	v_fmac_f32_e32 v4, v9, v2
	s_waitcnt vmcnt(26)
	v_lshlrev_b32_e32 v2, 16, v17
	s_delay_alu instid0(VALU_DEP_1) | instskip(SKIP_2) | instid1(VALU_DEP_1)
	v_fmac_f32_e32 v4, v10, v2
	s_waitcnt vmcnt(25)
	v_lshlrev_b32_e32 v2, 16, v18
	v_fmac_f32_e32 v4, v11, v2
	s_waitcnt vmcnt(24)
	v_lshlrev_b32_e32 v2, 16, v19
	s_delay_alu instid0(VALU_DEP_1) | instskip(SKIP_4) | instid1(VALU_DEP_1)
	v_fmac_f32_e32 v4, v12, v2
	ds_load_b128 v[9:12], v44 offset:304
	s_waitcnt vmcnt(23)
	v_lshlrev_b32_e32 v2, 16, v20
	s_waitcnt lgkmcnt(1)
	v_fmac_f32_e32 v4, v5, v2
	s_waitcnt vmcnt(22)
	v_lshlrev_b32_e32 v2, 16, v21
	s_delay_alu instid0(VALU_DEP_1) | instskip(SKIP_2) | instid1(VALU_DEP_1)
	v_fmac_f32_e32 v4, v6, v2
	s_waitcnt vmcnt(21)
	v_lshlrev_b32_e32 v2, 16, v22
	v_fmac_f32_e32 v4, v7, v2
	s_waitcnt vmcnt(20)
	v_lshlrev_b32_e32 v2, 16, v23
	s_delay_alu instid0(VALU_DEP_1)
	v_fmac_f32_e32 v4, v8, v2
	s_waitcnt vmcnt(19)
	v_lshlrev_b32_e32 v2, 16, v24
	ds_load_b128 v[5:8], v44 offset:320
	s_waitcnt lgkmcnt(1)
	v_fmac_f32_e32 v4, v9, v2
	s_waitcnt vmcnt(18)
	v_lshlrev_b32_e32 v2, 16, v25
	s_delay_alu instid0(VALU_DEP_1) | instskip(SKIP_2) | instid1(VALU_DEP_1)
	v_fmac_f32_e32 v4, v10, v2
	s_waitcnt vmcnt(17)
	v_lshlrev_b32_e32 v2, 16, v26
	v_fmac_f32_e32 v4, v11, v2
	s_waitcnt vmcnt(16)
	v_lshlrev_b32_e32 v2, 16, v27
	s_delay_alu instid0(VALU_DEP_1) | instskip(SKIP_4) | instid1(VALU_DEP_1)
	v_fmac_f32_e32 v4, v12, v2
	ds_load_b128 v[9:12], v44 offset:336
	s_waitcnt vmcnt(15)
	v_lshlrev_b32_e32 v2, 16, v28
	s_waitcnt lgkmcnt(1)
	v_fmac_f32_e32 v4, v5, v2
	s_waitcnt vmcnt(14)
	v_lshlrev_b32_e32 v2, 16, v29
	s_delay_alu instid0(VALU_DEP_1) | instskip(SKIP_2) | instid1(VALU_DEP_1)
	v_fmac_f32_e32 v4, v6, v2
	s_waitcnt vmcnt(13)
	v_lshlrev_b32_e32 v2, 16, v30
	v_fmac_f32_e32 v4, v7, v2
	s_waitcnt vmcnt(12)
	v_lshlrev_b32_e32 v2, 16, v31
	s_delay_alu instid0(VALU_DEP_1)
	v_fmac_f32_e32 v4, v8, v2
	s_waitcnt vmcnt(11)
	v_lshlrev_b32_e32 v2, 16, v32
	ds_load_b128 v[5:8], v44 offset:352
	s_waitcnt lgkmcnt(1)
	v_fmac_f32_e32 v4, v9, v2
	s_waitcnt vmcnt(10)
	v_lshlrev_b32_e32 v2, 16, v33
	s_delay_alu instid0(VALU_DEP_1) | instskip(SKIP_2) | instid1(VALU_DEP_1)
	v_fmac_f32_e32 v4, v10, v2
	s_waitcnt vmcnt(9)
	v_lshlrev_b32_e32 v2, 16, v34
	v_fmac_f32_e32 v4, v11, v2
	s_waitcnt vmcnt(8)
	v_lshlrev_b32_e32 v2, 16, v35
	s_delay_alu instid0(VALU_DEP_1) | instskip(SKIP_4) | instid1(VALU_DEP_1)
	v_fmac_f32_e32 v4, v12, v2
	ds_load_b128 v[9:12], v44 offset:368
	s_waitcnt vmcnt(7)
	v_lshlrev_b32_e32 v2, 16, v36
	s_waitcnt lgkmcnt(1)
	v_fmac_f32_e32 v4, v5, v2
	s_waitcnt vmcnt(6)
	v_lshlrev_b32_e32 v2, 16, v37
	s_delay_alu instid0(VALU_DEP_1) | instskip(SKIP_2) | instid1(VALU_DEP_1)
	v_fmac_f32_e32 v4, v6, v2
	s_waitcnt vmcnt(5)
	v_lshlrev_b32_e32 v2, 16, v38
	v_fmac_f32_e32 v4, v7, v2
	s_waitcnt vmcnt(4)
	v_lshlrev_b32_e32 v2, 16, v39
	s_delay_alu instid0(VALU_DEP_1) | instskip(SKIP_3) | instid1(VALU_DEP_1)
	v_fmac_f32_e32 v4, v8, v2
	s_waitcnt vmcnt(3)
	v_lshlrev_b32_e32 v2, 16, v40
	s_waitcnt lgkmcnt(0)
	v_fmac_f32_e32 v4, v9, v2
	s_waitcnt vmcnt(2)
	v_lshlrev_b32_e32 v2, 16, v41
	s_delay_alu instid0(VALU_DEP_1) | instskip(SKIP_2) | instid1(VALU_DEP_1)
	v_fmac_f32_e32 v4, v10, v2
	s_waitcnt vmcnt(1)
	v_lshlrev_b32_e32 v2, 16, v42
	v_fmac_f32_e32 v4, v11, v2
	s_waitcnt vmcnt(0)
	v_lshlrev_b32_e32 v2, 16, v43
	s_delay_alu instid0(VALU_DEP_1)
	v_fmac_f32_e32 v4, v12, v2
	s_cmpk_lt_i32 s50, 0x6100
	s_cbranch_scc1 .LBB462_15
.LBB462_27:
	s_cmpk_lt_i32 s50, 0x6200
	v_add_co_u32 v5, vcc_lo, 0x3000, v1
	s_cselect_b32 s4, s51, 0x1840
	v_add_co_ci_u32_e32 v6, vcc_lo, 0, v3, vcc_lo
	s_ashr_i32 s5, s4, 31
	v_mov_b32_e32 v44, 0
	s_lshl_b64 s[4:5], s[4:5], 1
	s_cmpk_lt_i32 s50, 0x6300
	global_load_u16 v2, v[5:6], off
	s_cselect_b32 s6, s51, 0x1880
	v_add_co_u32 v5, vcc_lo, v1, s4
	s_ashr_i32 s7, s6, 31
	v_add_co_ci_u32_e32 v6, vcc_lo, s5, v3, vcc_lo
	s_lshl_b64 s[8:9], s[6:7], 1
	s_cmpk_lt_i32 s50, 0x6400
	v_add_co_u32 v7, vcc_lo, v1, s8
	s_cselect_b32 s6, s51, 0x18c0
	v_add_co_ci_u32_e32 v8, vcc_lo, s9, v3, vcc_lo
	s_ashr_i32 s7, s6, 31
	s_delay_alu instid0(SALU_CYCLE_1)
	s_lshl_b64 s[18:19], s[6:7], 1
	s_cmpk_lt_i32 s50, 0x6500
	v_add_co_u32 v9, vcc_lo, v1, s18
	s_cselect_b32 s6, s51, 0x1900
	v_add_co_ci_u32_e32 v10, vcc_lo, s19, v3, vcc_lo
	s_ashr_i32 s7, s6, 31
	s_delay_alu instid0(SALU_CYCLE_1)
	s_lshl_b64 s[24:25], s[6:7], 1
	s_cmpk_lt_i32 s50, 0x6600
	v_add_co_u32 v11, vcc_lo, v1, s24
	s_cselect_b32 s6, s51, 0x1940
	v_add_co_ci_u32_e32 v12, vcc_lo, s25, v3, vcc_lo
	s_ashr_i32 s7, s6, 31
	s_clause 0x3
	global_load_u16 v13, v[5:6], off
	global_load_u16 v14, v[7:8], off
	;; [unrolled: 1-line block ×4, first 2 shown]
	s_lshl_b64 s[6:7], s[6:7], 1
	s_cmpk_lt_i32 s50, 0x6700
	v_add_co_u32 v5, vcc_lo, v1, s6
	s_cselect_b32 s10, s51, 0x1980
	v_add_co_ci_u32_e32 v6, vcc_lo, s7, v3, vcc_lo
	s_ashr_i32 s11, s10, 31
	s_delay_alu instid0(SALU_CYCLE_1)
	s_lshl_b64 s[10:11], s[10:11], 1
	s_cmpk_lt_i32 s50, 0x6800
	v_add_co_u32 v7, vcc_lo, v1, s10
	s_cselect_b32 s20, s51, 0x19c0
	v_add_co_ci_u32_e32 v8, vcc_lo, s11, v3, vcc_lo
	s_ashr_i32 s21, s20, 31
	s_delay_alu instid0(SALU_CYCLE_1)
	;; [unrolled: 7-line block ×3, first 2 shown]
	s_lshl_b64 s[30:31], s[20:21], 1
	s_cmpk_lt_i32 s50, 0x6a00
	v_add_co_u32 v11, vcc_lo, v1, s30
	s_cselect_b32 s20, s51, 0x1a40
	v_add_co_ci_u32_e32 v12, vcc_lo, s31, v3, vcc_lo
	s_ashr_i32 s21, s20, 31
	s_clause 0x3
	global_load_u16 v17, v[5:6], off
	global_load_u16 v18, v[7:8], off
	global_load_u16 v19, v[9:10], off
	global_load_u16 v20, v[11:12], off
	s_lshl_b64 s[20:21], s[20:21], 1
	s_cmpk_lt_i32 s50, 0x6b00
	v_add_co_u32 v5, vcc_lo, v1, s20
	s_cselect_b32 s26, s51, 0x1a80
	v_add_co_ci_u32_e32 v6, vcc_lo, s21, v3, vcc_lo
	s_ashr_i32 s27, s26, 31
	s_delay_alu instid0(SALU_CYCLE_1)
	s_lshl_b64 s[26:27], s[26:27], 1
	s_cmpk_lt_i32 s50, 0x6c00
	v_add_co_u32 v7, vcc_lo, v1, s26
	s_cselect_b32 s28, s51, 0x1ac0
	v_add_co_ci_u32_e32 v8, vcc_lo, s27, v3, vcc_lo
	s_ashr_i32 s29, s28, 31
	global_load_u16 v21, v[5:6], off
	s_lshl_b64 s[34:35], s[28:29], 1
	s_cmpk_lt_i32 s50, 0x6d00
	v_add_co_u32 v9, vcc_lo, v1, s34
	s_cselect_b32 s28, s51, 0x1b00
	v_add_co_ci_u32_e32 v10, vcc_lo, s35, v3, vcc_lo
	s_ashr_i32 s29, s28, 31
	s_delay_alu instid0(SALU_CYCLE_1)
	s_lshl_b64 s[38:39], s[28:29], 1
	s_cmpk_lt_i32 s50, 0x6e00
	v_add_co_u32 v11, vcc_lo, v1, s38
	s_cselect_b32 s28, s51, 0x1b40
	v_add_co_ci_u32_e32 v12, vcc_lo, s39, v3, vcc_lo
	s_ashr_i32 s29, s28, 31
	s_clause 0x2
	global_load_u16 v22, v[7:8], off
	global_load_u16 v23, v[9:10], off
	global_load_u16 v24, v[11:12], off
	s_lshl_b64 s[28:29], s[28:29], 1
	s_cmpk_lt_i32 s50, 0x6f00
	v_add_co_u32 v5, vcc_lo, v1, s28
	s_cselect_b32 s36, s51, 0x1b80
	v_add_co_ci_u32_e32 v6, vcc_lo, s29, v3, vcc_lo
	s_ashr_i32 s37, s36, 31
	s_delay_alu instid0(SALU_CYCLE_1)
	s_lshl_b64 s[36:37], s[36:37], 1
	s_cmpk_lt_i32 s50, 0x7000
	v_add_co_u32 v7, vcc_lo, v1, s36
	s_cselect_b32 s40, s51, 0x1bc0
	v_add_co_ci_u32_e32 v8, vcc_lo, s37, v3, vcc_lo
	s_ashr_i32 s41, s40, 31
	global_load_u16 v25, v[5:6], off
	s_lshl_b64 s[40:41], s[40:41], 1
	global_load_u16 v26, v[7:8], off
	s_cmpk_lt_i32 s50, 0x7100
	v_add_co_u32 v9, vcc_lo, v1, s40
	s_cselect_b32 s42, s51, 0x1c00
	v_add_co_ci_u32_e32 v10, vcc_lo, s41, v3, vcc_lo
	s_ashr_i32 s43, s42, 31
	s_delay_alu instid0(SALU_CYCLE_1)
	s_lshl_b64 s[42:43], s[42:43], 1
	global_load_u16 v27, v[9:10], off
	s_cmpk_lt_i32 s50, 0x7200
	v_add_co_u32 v5, vcc_lo, v1, s42
	s_cselect_b32 s44, s51, 0x1c40
	v_add_co_ci_u32_e32 v6, vcc_lo, s43, v3, vcc_lo
	s_ashr_i32 s45, s44, 31
	s_delay_alu instid0(SALU_CYCLE_1)
	s_lshl_b64 s[44:45], s[44:45], 1
	s_cmpk_lt_i32 s50, 0x7300
	v_add_co_u32 v7, vcc_lo, v1, s44
	s_cselect_b32 s46, s51, 0x1c80
	v_add_co_ci_u32_e32 v8, vcc_lo, s45, v3, vcc_lo
	s_ashr_i32 s47, s46, 31
	global_load_u16 v28, v[5:6], off
	s_lshl_b64 s[46:47], s[46:47], 1
	global_load_u16 v29, v[7:8], off
	s_cmpk_lt_i32 s50, 0x7400
	v_add_co_u32 v9, vcc_lo, v1, s46
	s_cselect_b32 s48, s51, 0x1cc0
	v_add_co_ci_u32_e32 v10, vcc_lo, s47, v3, vcc_lo
	s_ashr_i32 s49, s48, 31
	s_delay_alu instid0(SALU_CYCLE_1)
	s_lshl_b64 s[48:49], s[48:49], 1
	s_cmpk_lt_i32 s50, 0x7500
	v_add_co_u32 v5, vcc_lo, v1, s48
	s_cselect_b32 s4, s51, 0x1d00
	v_add_co_ci_u32_e32 v6, vcc_lo, s49, v3, vcc_lo
	s_ashr_i32 s5, s4, 31
	global_load_u16 v30, v[9:10], off
	s_lshl_b64 s[4:5], s[4:5], 1
	s_cmpk_lt_i32 s50, 0x7600
	v_add_co_u32 v7, vcc_lo, v1, s4
	s_cselect_b32 s8, s51, 0x1d40
	v_add_co_ci_u32_e32 v8, vcc_lo, s5, v3, vcc_lo
	s_ashr_i32 s9, s8, 31
	global_load_u16 v31, v[5:6], off
	s_lshl_b64 s[6:7], s[8:9], 1
	global_load_u16 v32, v[7:8], off
	s_cmpk_lt_i32 s50, 0x7700
	v_add_co_u32 v5, vcc_lo, v1, s6
	s_cselect_b32 s8, s51, 0x1d80
	v_add_co_ci_u32_e32 v6, vcc_lo, s7, v3, vcc_lo
	s_ashr_i32 s9, s8, 31
	s_delay_alu instid0(SALU_CYCLE_1)
	s_lshl_b64 s[8:9], s[8:9], 1
	s_cmpk_lt_i32 s50, 0x7800
	v_add_co_u32 v7, vcc_lo, v1, s8
	s_cselect_b32 s10, s51, 0x1dc0
	v_add_co_ci_u32_e32 v8, vcc_lo, s9, v3, vcc_lo
	s_ashr_i32 s11, s10, 31
	global_load_u16 v33, v[5:6], off
	s_lshl_b64 s[10:11], s[10:11], 1
	global_load_u16 v34, v[7:8], off
	s_cmpk_lt_i32 s50, 0x7900
	v_add_co_u32 v5, vcc_lo, v1, s10
	s_cselect_b32 s18, s51, 0x1e00
	v_add_co_ci_u32_e32 v6, vcc_lo, s11, v3, vcc_lo
	s_ashr_i32 s19, s18, 31
	s_delay_alu instid0(SALU_CYCLE_1)
	;; [unrolled: 15-line block ×5, first 2 shown]
	s_lshl_b64 s[4:5], s[8:9], 1
	s_cmp_lt_i32 s50, 0x8000
	v_add_co_u32 v7, vcc_lo, v1, s4
	s_cselect_b32 s6, s51, 0x1fc0
	v_add_co_ci_u32_e32 v8, vcc_lo, s5, v3, vcc_lo
	s_ashr_i32 s7, s6, 31
	global_load_u16 v41, v[5:6], off
	s_lshl_b64 s[4:5], s[6:7], 1
	global_load_u16 v42, v[7:8], off
	v_add_co_u32 v5, vcc_lo, v1, s4
	v_add_co_ci_u32_e32 v6, vcc_lo, s5, v3, vcc_lo
	global_load_u16 v43, v[5:6], off
	ds_load_b128 v[5:8], v44 offset:384
	ds_load_b128 v[9:12], v44 offset:400
	s_waitcnt vmcnt(31)
	v_lshlrev_b32_e32 v2, 16, v2
	s_waitcnt lgkmcnt(1)
	s_delay_alu instid0(VALU_DEP_1) | instskip(SKIP_2) | instid1(VALU_DEP_1)
	v_fmac_f32_e32 v4, v5, v2
	s_waitcnt vmcnt(30)
	v_lshlrev_b32_e32 v2, 16, v13
	v_fmac_f32_e32 v4, v6, v2
	s_waitcnt vmcnt(29)
	v_lshlrev_b32_e32 v2, 16, v14
	s_delay_alu instid0(VALU_DEP_1) | instskip(SKIP_2) | instid1(VALU_DEP_1)
	v_fmac_f32_e32 v4, v7, v2
	s_waitcnt vmcnt(28)
	v_lshlrev_b32_e32 v2, 16, v15
	v_fmac_f32_e32 v4, v8, v2
	s_waitcnt vmcnt(27)
	v_lshlrev_b32_e32 v2, 16, v16
	ds_load_b128 v[5:8], v44 offset:416
	s_waitcnt lgkmcnt(1)
	v_fmac_f32_e32 v4, v9, v2
	s_waitcnt vmcnt(26)
	v_lshlrev_b32_e32 v2, 16, v17
	s_delay_alu instid0(VALU_DEP_1) | instskip(SKIP_2) | instid1(VALU_DEP_1)
	v_fmac_f32_e32 v4, v10, v2
	s_waitcnt vmcnt(25)
	v_lshlrev_b32_e32 v2, 16, v18
	v_fmac_f32_e32 v4, v11, v2
	s_waitcnt vmcnt(24)
	v_lshlrev_b32_e32 v2, 16, v19
	s_delay_alu instid0(VALU_DEP_1) | instskip(SKIP_4) | instid1(VALU_DEP_1)
	v_fmac_f32_e32 v4, v12, v2
	ds_load_b128 v[9:12], v44 offset:432
	s_waitcnt vmcnt(23)
	v_lshlrev_b32_e32 v2, 16, v20
	s_waitcnt lgkmcnt(1)
	v_fmac_f32_e32 v4, v5, v2
	s_waitcnt vmcnt(22)
	v_lshlrev_b32_e32 v2, 16, v21
	s_delay_alu instid0(VALU_DEP_1) | instskip(SKIP_2) | instid1(VALU_DEP_1)
	v_fmac_f32_e32 v4, v6, v2
	s_waitcnt vmcnt(21)
	v_lshlrev_b32_e32 v2, 16, v22
	v_fmac_f32_e32 v4, v7, v2
	s_waitcnt vmcnt(20)
	v_lshlrev_b32_e32 v2, 16, v23
	s_delay_alu instid0(VALU_DEP_1)
	v_fmac_f32_e32 v4, v8, v2
	s_waitcnt vmcnt(19)
	v_lshlrev_b32_e32 v2, 16, v24
	ds_load_b128 v[5:8], v44 offset:448
	s_waitcnt lgkmcnt(1)
	v_fmac_f32_e32 v4, v9, v2
	s_waitcnt vmcnt(18)
	v_lshlrev_b32_e32 v2, 16, v25
	s_delay_alu instid0(VALU_DEP_1) | instskip(SKIP_2) | instid1(VALU_DEP_1)
	v_fmac_f32_e32 v4, v10, v2
	s_waitcnt vmcnt(17)
	v_lshlrev_b32_e32 v2, 16, v26
	v_fmac_f32_e32 v4, v11, v2
	s_waitcnt vmcnt(16)
	v_lshlrev_b32_e32 v2, 16, v27
	s_delay_alu instid0(VALU_DEP_1) | instskip(SKIP_4) | instid1(VALU_DEP_1)
	v_fmac_f32_e32 v4, v12, v2
	ds_load_b128 v[9:12], v44 offset:464
	s_waitcnt vmcnt(15)
	v_lshlrev_b32_e32 v2, 16, v28
	s_waitcnt lgkmcnt(1)
	v_fmac_f32_e32 v4, v5, v2
	s_waitcnt vmcnt(14)
	v_lshlrev_b32_e32 v2, 16, v29
	s_delay_alu instid0(VALU_DEP_1) | instskip(SKIP_2) | instid1(VALU_DEP_1)
	v_fmac_f32_e32 v4, v6, v2
	s_waitcnt vmcnt(13)
	v_lshlrev_b32_e32 v2, 16, v30
	v_fmac_f32_e32 v4, v7, v2
	s_waitcnt vmcnt(12)
	v_lshlrev_b32_e32 v2, 16, v31
	s_delay_alu instid0(VALU_DEP_1)
	v_fmac_f32_e32 v4, v8, v2
	s_waitcnt vmcnt(11)
	v_lshlrev_b32_e32 v2, 16, v32
	ds_load_b128 v[5:8], v44 offset:480
	s_waitcnt lgkmcnt(1)
	v_fmac_f32_e32 v4, v9, v2
	s_waitcnt vmcnt(10)
	v_lshlrev_b32_e32 v2, 16, v33
	s_delay_alu instid0(VALU_DEP_1) | instskip(SKIP_2) | instid1(VALU_DEP_1)
	v_fmac_f32_e32 v4, v10, v2
	s_waitcnt vmcnt(9)
	v_lshlrev_b32_e32 v2, 16, v34
	v_fmac_f32_e32 v4, v11, v2
	s_waitcnt vmcnt(8)
	v_lshlrev_b32_e32 v2, 16, v35
	s_delay_alu instid0(VALU_DEP_1) | instskip(SKIP_4) | instid1(VALU_DEP_1)
	v_fmac_f32_e32 v4, v12, v2
	ds_load_b128 v[9:12], v44 offset:496
	s_waitcnt vmcnt(7)
	v_lshlrev_b32_e32 v2, 16, v36
	s_waitcnt lgkmcnt(1)
	v_fmac_f32_e32 v4, v5, v2
	s_waitcnt vmcnt(6)
	v_lshlrev_b32_e32 v2, 16, v37
	s_delay_alu instid0(VALU_DEP_1) | instskip(SKIP_2) | instid1(VALU_DEP_1)
	v_fmac_f32_e32 v4, v6, v2
	s_waitcnt vmcnt(5)
	v_lshlrev_b32_e32 v2, 16, v38
	v_fmac_f32_e32 v4, v7, v2
	s_waitcnt vmcnt(4)
	v_lshlrev_b32_e32 v2, 16, v39
	s_delay_alu instid0(VALU_DEP_1) | instskip(SKIP_3) | instid1(VALU_DEP_1)
	v_fmac_f32_e32 v4, v8, v2
	s_waitcnt vmcnt(3)
	v_lshlrev_b32_e32 v2, 16, v40
	s_waitcnt lgkmcnt(0)
	v_fmac_f32_e32 v4, v9, v2
	s_waitcnt vmcnt(2)
	v_lshlrev_b32_e32 v2, 16, v41
	s_delay_alu instid0(VALU_DEP_1) | instskip(SKIP_2) | instid1(VALU_DEP_1)
	v_fmac_f32_e32 v4, v10, v2
	s_waitcnt vmcnt(1)
	v_lshlrev_b32_e32 v2, 16, v42
	v_fmac_f32_e32 v4, v11, v2
	s_waitcnt vmcnt(0)
	v_lshlrev_b32_e32 v2, 16, v43
	s_delay_alu instid0(VALU_DEP_1)
	v_fmac_f32_e32 v4, v12, v2
	s_cmp_lt_i32 s50, 0x8100
	s_cbranch_scc1 .LBB462_16
.LBB462_28:
	s_cmp_lt_i32 s50, 0x8200
	v_add_co_u32 v5, vcc_lo, 0x4000, v1
	s_cselect_b32 s4, s51, 0x2040
	v_add_co_ci_u32_e32 v6, vcc_lo, 0, v3, vcc_lo
	s_ashr_i32 s5, s4, 31
	s_delay_alu instid0(SALU_CYCLE_1)
	s_lshl_b64 s[4:5], s[4:5], 1
	s_cmp_lt_i32 s50, 0x8300
	global_load_u16 v13, v[5:6], off
	s_cselect_b32 s6, s51, 0x2080
	v_add_co_u32 v5, vcc_lo, v1, s4
	s_ashr_i32 s7, s6, 31
	v_add_co_ci_u32_e32 v6, vcc_lo, s5, v3, vcc_lo
	s_lshl_b64 s[8:9], s[6:7], 1
	s_cmp_lt_i32 s50, 0x8400
	v_add_co_u32 v7, vcc_lo, v1, s8
	s_cselect_b32 s6, s51, 0x20c0
	v_add_co_ci_u32_e32 v8, vcc_lo, s9, v3, vcc_lo
	s_ashr_i32 s7, s6, 31
	s_delay_alu instid0(SALU_CYCLE_1)
	s_lshl_b64 s[18:19], s[6:7], 1
	s_cmp_lt_i32 s50, 0x8500
	v_add_co_u32 v9, vcc_lo, v1, s18
	s_cselect_b32 s6, s51, 0x2100
	v_add_co_ci_u32_e32 v10, vcc_lo, s19, v3, vcc_lo
	s_ashr_i32 s7, s6, 31
	s_delay_alu instid0(SALU_CYCLE_1)
	s_lshl_b64 s[24:25], s[6:7], 1
	s_cmp_lt_i32 s50, 0x8600
	v_add_co_u32 v11, vcc_lo, v1, s24
	s_cselect_b32 s6, s51, 0x2140
	v_add_co_ci_u32_e32 v12, vcc_lo, s25, v3, vcc_lo
	s_ashr_i32 s7, s6, 31
	s_clause 0x3
	global_load_u16 v14, v[5:6], off
	global_load_u16 v15, v[7:8], off
	;; [unrolled: 1-line block ×4, first 2 shown]
	s_lshl_b64 s[6:7], s[6:7], 1
	s_cmp_lt_i32 s50, 0x8700
	v_add_co_u32 v5, vcc_lo, v1, s6
	s_cselect_b32 s10, s51, 0x2180
	v_add_co_ci_u32_e32 v6, vcc_lo, s7, v3, vcc_lo
	s_ashr_i32 s11, s10, 31
	s_delay_alu instid0(SALU_CYCLE_1)
	s_lshl_b64 s[10:11], s[10:11], 1
	s_cmp_lt_i32 s50, 0x8800
	v_add_co_u32 v7, vcc_lo, v1, s10
	s_cselect_b32 s20, s51, 0x21c0
	v_add_co_ci_u32_e32 v8, vcc_lo, s11, v3, vcc_lo
	s_ashr_i32 s21, s20, 31
	s_delay_alu instid0(SALU_CYCLE_1)
	;; [unrolled: 7-line block ×3, first 2 shown]
	s_lshl_b64 s[30:31], s[20:21], 1
	s_cmp_lt_i32 s50, 0x8a00
	v_add_co_u32 v11, vcc_lo, v1, s30
	s_cselect_b32 s20, s51, 0x2240
	v_add_co_ci_u32_e32 v12, vcc_lo, s31, v3, vcc_lo
	s_ashr_i32 s21, s20, 31
	s_clause 0x3
	global_load_u16 v18, v[5:6], off
	global_load_u16 v19, v[7:8], off
	;; [unrolled: 1-line block ×4, first 2 shown]
	s_lshl_b64 s[20:21], s[20:21], 1
	s_cmp_lt_i32 s50, 0x8b00
	v_add_co_u32 v5, vcc_lo, v1, s20
	s_cselect_b32 s26, s51, 0x2280
	v_add_co_ci_u32_e32 v6, vcc_lo, s21, v3, vcc_lo
	s_ashr_i32 s27, s26, 31
	s_delay_alu instid0(SALU_CYCLE_1)
	s_lshl_b64 s[26:27], s[26:27], 1
	s_cmp_lt_i32 s50, 0x8c00
	v_add_co_u32 v7, vcc_lo, v1, s26
	s_cselect_b32 s28, s51, 0x22c0
	v_add_co_ci_u32_e32 v8, vcc_lo, s27, v3, vcc_lo
	s_ashr_i32 s29, s28, 31
	global_load_u16 v22, v[5:6], off
	s_lshl_b64 s[34:35], s[28:29], 1
	s_cmp_lt_i32 s50, 0x8d00
	v_add_co_u32 v9, vcc_lo, v1, s34
	s_cselect_b32 s28, s51, 0x2300
	v_add_co_ci_u32_e32 v10, vcc_lo, s35, v3, vcc_lo
	s_ashr_i32 s29, s28, 31
	s_delay_alu instid0(SALU_CYCLE_1)
	s_lshl_b64 s[38:39], s[28:29], 1
	s_cmp_lt_i32 s50, 0x8e00
	v_add_co_u32 v11, vcc_lo, v1, s38
	s_cselect_b32 s28, s51, 0x2340
	v_add_co_ci_u32_e32 v12, vcc_lo, s39, v3, vcc_lo
	s_ashr_i32 s29, s28, 31
	s_clause 0x2
	global_load_u16 v23, v[7:8], off
	global_load_u16 v24, v[9:10], off
	;; [unrolled: 1-line block ×3, first 2 shown]
	s_lshl_b64 s[28:29], s[28:29], 1
	s_cmp_lt_i32 s50, 0x8f00
	v_add_co_u32 v5, vcc_lo, v1, s28
	s_cselect_b32 s36, s51, 0x2380
	v_add_co_ci_u32_e32 v6, vcc_lo, s29, v3, vcc_lo
	s_ashr_i32 s37, s36, 31
	s_delay_alu instid0(SALU_CYCLE_1)
	s_lshl_b64 s[36:37], s[36:37], 1
	s_cmp_lt_i32 s50, 0x9000
	v_add_co_u32 v7, vcc_lo, v1, s36
	s_cselect_b32 s40, s51, 0x23c0
	v_add_co_ci_u32_e32 v8, vcc_lo, s37, v3, vcc_lo
	s_ashr_i32 s41, s40, 31
	global_load_u16 v26, v[5:6], off
	s_lshl_b64 s[40:41], s[40:41], 1
	global_load_u16 v27, v[7:8], off
	s_cmp_lt_i32 s50, 0x9100
	v_add_co_u32 v9, vcc_lo, v1, s40
	s_cselect_b32 s42, s51, 0x2400
	v_add_co_ci_u32_e32 v10, vcc_lo, s41, v3, vcc_lo
	s_ashr_i32 s43, s42, 31
	s_delay_alu instid0(SALU_CYCLE_1)
	s_lshl_b64 s[42:43], s[42:43], 1
	global_load_u16 v28, v[9:10], off
	s_cmp_lt_i32 s50, 0x9200
	v_add_co_u32 v5, vcc_lo, v1, s42
	s_cselect_b32 s44, s51, 0x2440
	v_add_co_ci_u32_e32 v6, vcc_lo, s43, v3, vcc_lo
	s_ashr_i32 s45, s44, 31
	s_delay_alu instid0(SALU_CYCLE_1)
	s_lshl_b64 s[44:45], s[44:45], 1
	s_cmp_lt_i32 s50, 0x9300
	v_add_co_u32 v7, vcc_lo, v1, s44
	s_cselect_b32 s46, s51, 0x2480
	v_add_co_ci_u32_e32 v8, vcc_lo, s45, v3, vcc_lo
	s_ashr_i32 s47, s46, 31
	global_load_u16 v29, v[5:6], off
	s_lshl_b64 s[46:47], s[46:47], 1
	global_load_u16 v30, v[7:8], off
	s_cmp_lt_i32 s50, 0x9400
	v_add_co_u32 v9, vcc_lo, v1, s46
	s_cselect_b32 s48, s51, 0x24c0
	v_add_co_ci_u32_e32 v10, vcc_lo, s47, v3, vcc_lo
	s_ashr_i32 s49, s48, 31
	s_delay_alu instid0(SALU_CYCLE_1)
	s_lshl_b64 s[48:49], s[48:49], 1
	global_load_u16 v31, v[9:10], off
	s_cmp_lt_i32 s50, 0x9500
	v_add_co_u32 v5, vcc_lo, v1, s48
	s_cselect_b32 s4, s51, 0x2500
	v_add_co_ci_u32_e32 v6, vcc_lo, s49, v3, vcc_lo
	s_ashr_i32 s5, s4, 31
	s_delay_alu instid0(SALU_CYCLE_1)
	s_lshl_b64 s[4:5], s[4:5], 1
	s_cmp_lt_i32 s50, 0x9600
	v_add_co_u32 v7, vcc_lo, v1, s4
	s_cselect_b32 s8, s51, 0x2540
	v_add_co_ci_u32_e32 v8, vcc_lo, s5, v3, vcc_lo
	s_ashr_i32 s9, s8, 31
	global_load_u16 v32, v[5:6], off
	s_lshl_b64 s[6:7], s[8:9], 1
	global_load_u16 v33, v[7:8], off
	s_cmp_lt_i32 s50, 0x9700
	v_add_co_u32 v5, vcc_lo, v1, s6
	s_cselect_b32 s8, s51, 0x2580
	v_add_co_ci_u32_e32 v6, vcc_lo, s7, v3, vcc_lo
	s_ashr_i32 s9, s8, 31
	s_delay_alu instid0(SALU_CYCLE_1)
	s_lshl_b64 s[8:9], s[8:9], 1
	s_cmp_lt_i32 s50, 0x9800
	v_add_co_u32 v7, vcc_lo, v1, s8
	s_cselect_b32 s10, s51, 0x25c0
	v_add_co_ci_u32_e32 v8, vcc_lo, s9, v3, vcc_lo
	s_ashr_i32 s11, s10, 31
	global_load_u16 v34, v[5:6], off
	;; [unrolled: 15-line block ×6, first 2 shown]
	s_lshl_b64 s[4:5], s[6:7], 1
	global_load_u16 v43, v[7:8], off
	v_add_co_u32 v1, vcc_lo, v1, s4
	v_add_co_ci_u32_e32 v2, vcc_lo, s5, v3, vcc_lo
	global_load_u16 v1, v[1:2], off
	s_waitcnt vmcnt(31)
	v_dual_mov_b32 v2, 0 :: v_dual_lshlrev_b32 v3, 16, v13
	ds_load_b128 v[5:8], v2 offset:512
	ds_load_b128 v[9:12], v2 offset:528
	s_waitcnt vmcnt(30) lgkmcnt(1)
	v_dual_fmac_f32 v4, v5, v3 :: v_dual_lshlrev_b32 v3, 16, v14
	s_delay_alu instid0(VALU_DEP_1) | instskip(SKIP_3) | instid1(VALU_DEP_1)
	v_fmac_f32_e32 v4, v6, v3
	s_waitcnt vmcnt(29)
	v_lshlrev_b32_e32 v3, 16, v15
	s_waitcnt vmcnt(28)
	v_dual_fmac_f32 v4, v7, v3 :: v_dual_lshlrev_b32 v3, 16, v16
	s_waitcnt vmcnt(27)
	s_delay_alu instid0(VALU_DEP_1) | instskip(SKIP_3) | instid1(VALU_DEP_1)
	v_dual_fmac_f32 v4, v8, v3 :: v_dual_lshlrev_b32 v3, 16, v17
	ds_load_b128 v[5:8], v2 offset:544
	s_waitcnt vmcnt(26) lgkmcnt(1)
	v_dual_fmac_f32 v4, v9, v3 :: v_dual_lshlrev_b32 v3, 16, v18
	v_fmac_f32_e32 v4, v10, v3
	s_waitcnt vmcnt(25)
	v_lshlrev_b32_e32 v3, 16, v19
	s_waitcnt vmcnt(24)
	s_delay_alu instid0(VALU_DEP_1) | instskip(SKIP_1) | instid1(VALU_DEP_1)
	v_dual_fmac_f32 v4, v11, v3 :: v_dual_lshlrev_b32 v3, 16, v20
	s_waitcnt vmcnt(23)
	v_dual_fmac_f32 v4, v12, v3 :: v_dual_lshlrev_b32 v3, 16, v21
	ds_load_b128 v[9:12], v2 offset:560
	s_waitcnt vmcnt(22) lgkmcnt(1)
	v_dual_fmac_f32 v4, v5, v3 :: v_dual_lshlrev_b32 v3, 16, v22
	s_delay_alu instid0(VALU_DEP_1) | instskip(SKIP_3) | instid1(VALU_DEP_1)
	v_fmac_f32_e32 v4, v6, v3
	s_waitcnt vmcnt(21)
	v_lshlrev_b32_e32 v3, 16, v23
	s_waitcnt vmcnt(20)
	v_dual_fmac_f32 v4, v7, v3 :: v_dual_lshlrev_b32 v3, 16, v24
	s_waitcnt vmcnt(19)
	s_delay_alu instid0(VALU_DEP_1) | instskip(SKIP_3) | instid1(VALU_DEP_1)
	v_dual_fmac_f32 v4, v8, v3 :: v_dual_lshlrev_b32 v3, 16, v25
	ds_load_b128 v[5:8], v2 offset:576
	s_waitcnt vmcnt(18) lgkmcnt(1)
	v_dual_fmac_f32 v4, v9, v3 :: v_dual_lshlrev_b32 v3, 16, v26
	v_fmac_f32_e32 v4, v10, v3
	s_waitcnt vmcnt(17)
	v_lshlrev_b32_e32 v3, 16, v27
	s_waitcnt vmcnt(16)
	s_delay_alu instid0(VALU_DEP_1) | instskip(NEXT) | instid1(VALU_DEP_1)
	v_dual_fmac_f32 v4, v11, v3 :: v_dual_lshlrev_b32 v3, 16, v28
	v_fmac_f32_e32 v4, v12, v3
	ds_load_b128 v[9:12], v2 offset:592
	s_waitcnt vmcnt(15)
	v_lshlrev_b32_e32 v3, 16, v29
	s_waitcnt vmcnt(14) lgkmcnt(1)
	s_delay_alu instid0(VALU_DEP_1) | instskip(NEXT) | instid1(VALU_DEP_1)
	v_dual_fmac_f32 v4, v5, v3 :: v_dual_lshlrev_b32 v3, 16, v30
	v_fmac_f32_e32 v4, v6, v3
	s_waitcnt vmcnt(13)
	v_lshlrev_b32_e32 v3, 16, v31
	s_waitcnt vmcnt(12)
	s_delay_alu instid0(VALU_DEP_1) | instskip(SKIP_1) | instid1(VALU_DEP_1)
	v_dual_fmac_f32 v4, v7, v3 :: v_dual_lshlrev_b32 v3, 16, v32
	s_waitcnt vmcnt(0)
	v_dual_fmac_f32 v4, v8, v3 :: v_dual_lshlrev_b32 v1, 16, v1
	v_lshlrev_b32_e32 v3, 16, v33
	ds_load_b128 v[5:8], v2 offset:608
	s_waitcnt lgkmcnt(1)
	v_dual_fmac_f32 v4, v9, v3 :: v_dual_lshlrev_b32 v3, 16, v34
	s_delay_alu instid0(VALU_DEP_1) | instskip(SKIP_1) | instid1(VALU_DEP_1)
	v_fmac_f32_e32 v4, v10, v3
	v_lshlrev_b32_e32 v3, 16, v35
	v_dual_fmac_f32 v4, v11, v3 :: v_dual_lshlrev_b32 v3, 16, v36
	s_delay_alu instid0(VALU_DEP_1) | instskip(SKIP_4) | instid1(VALU_DEP_1)
	v_dual_fmac_f32 v4, v12, v3 :: v_dual_lshlrev_b32 v3, 16, v37
	ds_load_b128 v[9:12], v2 offset:624
	v_lshlrev_b32_e32 v2, 16, v38
	s_waitcnt lgkmcnt(1)
	v_fmac_f32_e32 v4, v5, v3
	v_fmac_f32_e32 v4, v6, v2
	v_lshlrev_b32_e32 v2, 16, v39
	s_delay_alu instid0(VALU_DEP_1) | instskip(SKIP_1) | instid1(VALU_DEP_1)
	v_fmac_f32_e32 v4, v7, v2
	v_lshlrev_b32_e32 v2, 16, v40
	v_fmac_f32_e32 v4, v8, v2
	v_lshlrev_b32_e32 v2, 16, v41
	s_waitcnt lgkmcnt(0)
	s_delay_alu instid0(VALU_DEP_1) | instskip(SKIP_1) | instid1(VALU_DEP_1)
	v_fmac_f32_e32 v4, v9, v2
	v_lshlrev_b32_e32 v2, 16, v42
	v_fmac_f32_e32 v4, v10, v2
	v_lshlrev_b32_e32 v2, 16, v43
	s_delay_alu instid0(VALU_DEP_1) | instskip(NEXT) | instid1(VALU_DEP_1)
	v_fmac_f32_e32 v4, v11, v2
	v_dual_fmac_f32 v4, v12, v1 :: v_dual_mov_b32 v1, 0
	s_and_not1_b32 vcc_lo, exec_lo, s15
	ds_load_b32 v1, v1 offset:640
	s_cbranch_vccz .LBB462_17
	s_branch .LBB462_18
	.section	.rodata,"a",@progbits
	.p2align	6, 0x0
	.amdhsa_kernel _Z35paged_attention_ll4mi_reduce_kernelI14__hip_bfloat16S0_Li64ELi64ELi256ELi5EEvPT0_PKfS4_PKT_PKiS9_iS4_
		.amdhsa_group_segment_fixed_size 644
		.amdhsa_private_segment_fixed_size 0
		.amdhsa_kernarg_size 320
		.amdhsa_user_sgpr_count 14
		.amdhsa_user_sgpr_dispatch_ptr 0
		.amdhsa_user_sgpr_queue_ptr 0
		.amdhsa_user_sgpr_kernarg_segment_ptr 1
		.amdhsa_user_sgpr_dispatch_id 0
		.amdhsa_user_sgpr_private_segment_size 0
		.amdhsa_wavefront_size32 1
		.amdhsa_uses_dynamic_stack 0
		.amdhsa_enable_private_segment 0
		.amdhsa_system_sgpr_workgroup_id_x 1
		.amdhsa_system_sgpr_workgroup_id_y 1
		.amdhsa_system_sgpr_workgroup_id_z 0
		.amdhsa_system_sgpr_workgroup_info 0
		.amdhsa_system_vgpr_workitem_id 0
		.amdhsa_next_free_vgpr 52
		.amdhsa_next_free_sgpr 52
		.amdhsa_reserve_vcc 1
		.amdhsa_float_round_mode_32 0
		.amdhsa_float_round_mode_16_64 0
		.amdhsa_float_denorm_mode_32 3
		.amdhsa_float_denorm_mode_16_64 3
		.amdhsa_dx10_clamp 1
		.amdhsa_ieee_mode 1
		.amdhsa_fp16_overflow 0
		.amdhsa_workgroup_processor_mode 1
		.amdhsa_memory_ordered 1
		.amdhsa_forward_progress 0
		.amdhsa_shared_vgpr_count 0
		.amdhsa_exception_fp_ieee_invalid_op 0
		.amdhsa_exception_fp_denorm_src 0
		.amdhsa_exception_fp_ieee_div_zero 0
		.amdhsa_exception_fp_ieee_overflow 0
		.amdhsa_exception_fp_ieee_underflow 0
		.amdhsa_exception_fp_ieee_inexact 0
		.amdhsa_exception_int_div_zero 0
	.end_amdhsa_kernel
	.section	.text._Z35paged_attention_ll4mi_reduce_kernelI14__hip_bfloat16S0_Li64ELi64ELi256ELi5EEvPT0_PKfS4_PKT_PKiS9_iS4_,"axG",@progbits,_Z35paged_attention_ll4mi_reduce_kernelI14__hip_bfloat16S0_Li64ELi64ELi256ELi5EEvPT0_PKfS4_PKT_PKiS9_iS4_,comdat
.Lfunc_end462:
	.size	_Z35paged_attention_ll4mi_reduce_kernelI14__hip_bfloat16S0_Li64ELi64ELi256ELi5EEvPT0_PKfS4_PKT_PKiS9_iS4_, .Lfunc_end462-_Z35paged_attention_ll4mi_reduce_kernelI14__hip_bfloat16S0_Li64ELi64ELi256ELi5EEvPT0_PKfS4_PKT_PKiS9_iS4_
                                        ; -- End function
	.section	.AMDGPU.csdata,"",@progbits
; Kernel info:
; codeLenInByte = 11776
; NumSgprs: 54
; NumVgprs: 52
; ScratchSize: 0
; MemoryBound: 0
; FloatMode: 240
; IeeeMode: 1
; LDSByteSize: 644 bytes/workgroup (compile time only)
; SGPRBlocks: 6
; VGPRBlocks: 6
; NumSGPRsForWavesPerEU: 54
; NumVGPRsForWavesPerEU: 52
; Occupancy: 16
; WaveLimiterHint : 0
; COMPUTE_PGM_RSRC2:SCRATCH_EN: 0
; COMPUTE_PGM_RSRC2:USER_SGPR: 14
; COMPUTE_PGM_RSRC2:TRAP_HANDLER: 0
; COMPUTE_PGM_RSRC2:TGID_X_EN: 1
; COMPUTE_PGM_RSRC2:TGID_Y_EN: 1
; COMPUTE_PGM_RSRC2:TGID_Z_EN: 0
; COMPUTE_PGM_RSRC2:TIDIG_COMP_CNT: 0
	.section	.text._Z35paged_attention_ll4mi_reduce_kernelI14__hip_bfloat16S0_Li64ELi64ELi256ELi6EEvPT0_PKfS4_PKT_PKiS9_iS4_,"axG",@progbits,_Z35paged_attention_ll4mi_reduce_kernelI14__hip_bfloat16S0_Li64ELi64ELi256ELi6EEvPT0_PKfS4_PKT_PKiS9_iS4_,comdat
	.protected	_Z35paged_attention_ll4mi_reduce_kernelI14__hip_bfloat16S0_Li64ELi64ELi256ELi6EEvPT0_PKfS4_PKT_PKiS9_iS4_ ; -- Begin function _Z35paged_attention_ll4mi_reduce_kernelI14__hip_bfloat16S0_Li64ELi64ELi256ELi6EEvPT0_PKfS4_PKT_PKiS9_iS4_
	.globl	_Z35paged_attention_ll4mi_reduce_kernelI14__hip_bfloat16S0_Li64ELi64ELi256ELi6EEvPT0_PKfS4_PKT_PKiS9_iS4_
	.p2align	8
	.type	_Z35paged_attention_ll4mi_reduce_kernelI14__hip_bfloat16S0_Li64ELi64ELi256ELi6EEvPT0_PKfS4_PKT_PKiS9_iS4_,@function
_Z35paged_attention_ll4mi_reduce_kernelI14__hip_bfloat16S0_Li64ELi64ELi256ELi6EEvPT0_PKfS4_PKT_PKiS9_iS4_: ; @_Z35paged_attention_ll4mi_reduce_kernelI14__hip_bfloat16S0_Li64ELi64ELi256ELi6EEvPT0_PKfS4_PKT_PKiS9_iS4_
; %bb.0:
	s_load_b64 s[12:13], s[0:1], 0x28
	s_mov_b32 s2, s15
	s_waitcnt lgkmcnt(0)
	s_cmp_lg_u64 s[12:13], 0
	s_cselect_b32 s15, -1, 0
	s_delay_alu instid0(SALU_CYCLE_1)
	s_and_b32 vcc_lo, exec_lo, s15
	s_cbranch_vccz .LBB463_24
; %bb.1:
	s_add_i32 s4, s2, 1
	s_mov_b32 s5, 0
	s_delay_alu instid0(SALU_CYCLE_1) | instskip(SKIP_4) | instid1(SALU_CYCLE_1)
	s_lshl_b64 s[6:7], s[4:5], 2
	s_mov_b32 s3, s5
	s_add_u32 s6, s12, s6
	s_addc_u32 s7, s13, s7
	s_lshl_b64 s[8:9], s[2:3], 2
	s_add_u32 s8, s12, s8
	s_addc_u32 s9, s13, s9
	s_clause 0x1
	s_load_b32 s4, s[6:7], 0x0
	s_load_b32 s6, s[8:9], 0x0
	s_waitcnt lgkmcnt(0)
	s_sub_i32 s4, s4, s6
	s_delay_alu instid0(SALU_CYCLE_1)
	s_cmp_eq_u32 s4, 1
	s_cselect_b32 s4, -1, 0
	s_cbranch_execnz .LBB463_3
.LBB463_2:
	s_mov_b32 s3, 0
	s_mov_b32 s4, -1
.LBB463_3:
	s_delay_alu instid0(SALU_CYCLE_1)
	s_and_not1_b32 vcc_lo, exec_lo, s4
	s_cbranch_vccz .LBB463_5
; %bb.4:
	s_endpgm
.LBB463_5:
	s_clause 0x1
	s_load_b128 s[4:7], s[0:1], 0x18
	s_load_b32 s9, s[0:1], 0x30
	s_lshl_b64 s[16:17], s[2:3], 2
	s_waitcnt lgkmcnt(0)
	s_add_u32 s6, s6, s16
	s_addc_u32 s7, s7, s17
	s_load_b32 s23, s[6:7], 0x0
	s_load_b32 s33, s[0:1], 0x40
	s_mul_i32 s7, s2, s9
	s_waitcnt lgkmcnt(0)
	s_add_i32 s22, s23, 0xff
	s_delay_alu instid0(SALU_CYCLE_1) | instskip(NEXT) | instid1(SALU_CYCLE_1)
	s_ashr_i32 s6, s22, 31
	s_lshr_b32 s6, s6, 24
	s_delay_alu instid0(SALU_CYCLE_1) | instskip(SKIP_4) | instid1(SALU_CYCLE_1)
	s_add_i32 s8, s22, s6
	s_mul_i32 s6, s14, s9
	s_mov_b32 s9, exec_lo
	v_cmpx_lt_u32_e32 31, v0
	s_xor_b32 s9, exec_lo, s9
	s_or_saveexec_b32 s24, s9
	v_mov_b32_e32 v1, s6
	s_ashr_i32 s40, s8, 8
	s_mul_i32 s18, s7, s33
	s_xor_b32 exec_lo, exec_lo, s24
	s_cbranch_execz .LBB463_9
; %bb.6:
	s_load_b128 s[8:11], s[0:1], 0x8
	v_or_b32_e32 v2, 32, v0
	v_cmp_gt_i32_e32 vcc_lo, s40, v0
	s_add_i32 s25, s40, -1
	v_or_b32_e32 v4, 64, v0
	v_or_b32_e32 v6, 0x60, v0
	;; [unrolled: 1-line block ×3, first 2 shown]
	v_cndmask_b32_e32 v1, s25, v0, vcc_lo
	v_cmp_gt_i32_e32 vcc_lo, s40, v2
	s_mov_b32 s19, 0
	v_or_b32_e32 v14, 0xa0, v0
	s_lshl_b64 s[20:21], s[18:19], 2
	s_mov_b32 s7, s19
	v_cndmask_b32_e32 v3, s25, v2, vcc_lo
	v_cmp_gt_i32_e32 vcc_lo, s40, v4
	v_ashrrev_i32_e32 v2, 31, v1
	v_cndmask_b32_e32 v5, s25, v4, vcc_lo
	v_cmp_gt_i32_e32 vcc_lo, s40, v6
	v_ashrrev_i32_e32 v4, 31, v3
	s_delay_alu instid0(VALU_DEP_4)
	v_lshlrev_b64 v[1:2], 2, v[1:2]
	s_waitcnt lgkmcnt(0)
	s_add_u32 s19, s10, s20
	s_addc_u32 s26, s11, s21
	v_cndmask_b32_e32 v7, s25, v6, vcc_lo
	v_cmp_gt_i32_e32 vcc_lo, s40, v8
	s_lshl_b64 s[10:11], s[6:7], 2
	v_lshlrev_b64 v[3:4], 2, v[3:4]
	s_add_u32 s7, s19, s10
	s_addc_u32 s19, s26, s11
	v_cndmask_b32_e32 v9, s25, v8, vcc_lo
	v_add_co_u32 v10, vcc_lo, s7, v1
	v_add_co_ci_u32_e32 v11, vcc_lo, s19, v2, vcc_lo
	v_add_co_u32 v12, vcc_lo, s7, v3
	v_add_co_ci_u32_e32 v13, vcc_lo, s19, v4, vcc_lo
	v_cmp_gt_i32_e32 vcc_lo, s40, v14
	v_ashrrev_i32_e32 v6, 31, v5
	v_ashrrev_i32_e32 v8, 31, v7
	s_clause 0x1
	global_load_b32 v22, v[10:11], off
	global_load_b32 v23, v[12:13], off
	v_ashrrev_i32_e32 v10, 31, v9
	v_cndmask_b32_e32 v14, s25, v14, vcc_lo
	v_lshlrev_b64 v[5:6], 2, v[5:6]
	v_lshlrev_b64 v[7:8], 2, v[7:8]
	s_delay_alu instid0(VALU_DEP_4) | instskip(NEXT) | instid1(VALU_DEP_4)
	v_lshlrev_b64 v[9:10], 2, v[9:10]
	v_ashrrev_i32_e32 v15, 31, v14
	s_delay_alu instid0(VALU_DEP_4) | instskip(SKIP_2) | instid1(VALU_DEP_4)
	v_add_co_u32 v11, vcc_lo, s7, v5
	v_add_co_ci_u32_e32 v12, vcc_lo, s19, v6, vcc_lo
	v_add_co_u32 v16, vcc_lo, s7, v7
	v_lshlrev_b64 v[13:14], 2, v[14:15]
	v_add_co_ci_u32_e32 v17, vcc_lo, s19, v8, vcc_lo
	v_add_co_u32 v18, vcc_lo, s7, v9
	v_add_co_ci_u32_e32 v19, vcc_lo, s19, v10, vcc_lo
	s_delay_alu instid0(VALU_DEP_4)
	v_add_co_u32 v20, vcc_lo, s7, v13
	v_add_co_ci_u32_e32 v21, vcc_lo, s19, v14, vcc_lo
	s_clause 0x3
	global_load_b32 v11, v[11:12], off
	global_load_b32 v12, v[16:17], off
	;; [unrolled: 1-line block ×4, first 2 shown]
	s_add_u32 s7, s8, s20
	s_addc_u32 s8, s9, s21
	s_add_u32 s7, s7, s10
	s_addc_u32 s8, s8, s11
	v_add_co_u32 v1, vcc_lo, s7, v1
	v_add_co_ci_u32_e32 v2, vcc_lo, s8, v2, vcc_lo
	v_add_co_u32 v3, vcc_lo, s7, v3
	v_add_co_ci_u32_e32 v4, vcc_lo, s8, v4, vcc_lo
	;; [unrolled: 2-line block ×4, first 2 shown]
	s_clause 0x3
	global_load_b32 v17, v[1:2], off
	global_load_b32 v3, v[3:4], off
	;; [unrolled: 1-line block ×4, first 2 shown]
	v_add_co_u32 v1, vcc_lo, s7, v9
	v_add_co_ci_u32_e32 v2, vcc_lo, s8, v10, vcc_lo
	global_load_b32 v6, v[1:2], off
	v_add_co_u32 v1, vcc_lo, s7, v13
	v_add_co_ci_u32_e32 v2, vcc_lo, s8, v14, vcc_lo
	s_mov_b32 s7, exec_lo
	global_load_b32 v7, v[1:2], off
	v_mbcnt_lo_u32_b32 v1, -1, 0
	s_delay_alu instid0(VALU_DEP_1)
	v_xor_b32_e32 v9, 16, v1
	v_xor_b32_e32 v10, 8, v1
	;; [unrolled: 1-line block ×5, first 2 shown]
	v_cmp_gt_i32_e32 vcc_lo, 32, v9
	s_waitcnt vmcnt(11)
	v_max_f32_e32 v8, v22, v22
	s_waitcnt vmcnt(10)
	v_max_f32_e32 v2, v23, v23
	s_delay_alu instid0(VALU_DEP_1) | instskip(SKIP_2) | instid1(VALU_DEP_2)
	v_max_f32_e32 v2, v8, v2
	v_cndmask_b32_e32 v8, v1, v9, vcc_lo
	v_cmp_gt_i32_e32 vcc_lo, 32, v10
	v_lshlrev_b32_e32 v8, 2, v8
	v_cndmask_b32_e32 v10, v1, v10, vcc_lo
	v_cmp_gt_i32_e32 vcc_lo, 32, v13
	v_cndmask_b32_e32 v13, v1, v13, vcc_lo
	v_cmp_gt_i32_e32 vcc_lo, 32, v14
	s_waitcnt vmcnt(8)
	v_max3_f32 v2, v2, v11, v12
	v_cndmask_b32_e32 v14, v1, v14, vcc_lo
	v_cmp_gt_i32_e32 vcc_lo, 32, v18
	s_waitcnt vmcnt(6)
	s_delay_alu instid0(VALU_DEP_3) | instskip(NEXT) | instid1(VALU_DEP_3)
	v_max3_f32 v2, v2, v15, v16
	v_lshlrev_b32_e32 v14, 2, v14
	v_lshlrev_b32_e32 v13, 2, v13
	;; [unrolled: 1-line block ×3, first 2 shown]
	v_cndmask_b32_e32 v1, v1, v18, vcc_lo
	ds_bpermute_b32 v9, v8, v2
	v_lshlrev_b32_e32 v18, 2, v1
	s_waitcnt lgkmcnt(0)
	v_max_f32_e32 v9, v9, v9
	s_delay_alu instid0(VALU_DEP_1) | instskip(SKIP_3) | instid1(VALU_DEP_1)
	v_max_f32_e32 v2, v2, v9
	ds_bpermute_b32 v9, v10, v2
	s_waitcnt lgkmcnt(0)
	v_max_f32_e32 v9, v9, v9
	v_max_f32_e32 v2, v2, v9
	ds_bpermute_b32 v9, v13, v2
	s_waitcnt lgkmcnt(0)
	v_max_f32_e32 v9, v9, v9
	s_delay_alu instid0(VALU_DEP_1) | instskip(SKIP_3) | instid1(VALU_DEP_1)
	v_max_f32_e32 v2, v2, v9
	ds_bpermute_b32 v9, v14, v2
	s_waitcnt lgkmcnt(0)
	v_max_f32_e32 v9, v9, v9
	v_max_f32_e32 v1, v2, v9
	ds_bpermute_b32 v2, v18, v1
	s_waitcnt lgkmcnt(0)
	v_max_f32_e32 v2, v2, v2
	s_delay_alu instid0(VALU_DEP_1) | instskip(SKIP_1) | instid1(VALU_DEP_2)
	v_max_f32_e32 v1, v1, v2
	v_sub_nc_u32_e32 v2, s40, v0
	v_sub_f32_e32 v19, v23, v1
	v_sub_f32_e32 v12, v12, v1
	;; [unrolled: 1-line block ×3, first 2 shown]
	s_delay_alu instid0(VALU_DEP_2) | instskip(NEXT) | instid1(VALU_DEP_2)
	v_dual_sub_f32 v11, v11, v1 :: v_dual_mul_f32 v22, 0x3fb8aa3b, v12
	v_cmp_ngt_f32_e32 vcc_lo, 0xc2ce8ed0, v9
	s_delay_alu instid0(VALU_DEP_2) | instskip(SKIP_3) | instid1(VALU_DEP_1)
	v_rndne_f32_e32 v32, v22
	v_sub_f32_e32 v15, v15, v1
	v_sub_f32_e32 v1, v16, v1
	v_mul_f32_e32 v16, 0x3fb8aa3b, v9
	v_rndne_f32_e32 v26, v16
	v_fma_f32 v25, 0x3fb8aa3b, v9, -v16
	s_delay_alu instid0(VALU_DEP_2) | instskip(SKIP_2) | instid1(VALU_DEP_2)
	v_sub_f32_e32 v16, v16, v26
	v_mul_f32_e32 v20, 0x3fb8aa3b, v19
	v_cvt_i32_f32_e32 v26, v26
	v_fma_f32 v27, 0x3fb8aa3b, v19, -v20
	v_rndne_f32_e32 v28, v20
	s_delay_alu instid0(VALU_DEP_2) | instskip(SKIP_1) | instid1(VALU_DEP_3)
	v_fmac_f32_e32 v27, 0x32a5705f, v19
	v_fma_f32 v31, 0x3fb8aa3b, v12, -v22
	v_sub_f32_e32 v20, v20, v28
	v_dual_sub_f32 v22, v22, v32 :: v_dual_mul_f32 v23, 0x3fb8aa3b, v15
	v_mul_f32_e32 v21, 0x3fb8aa3b, v11
	s_delay_alu instid0(VALU_DEP_3) | instskip(SKIP_1) | instid1(VALU_DEP_4)
	v_dual_fmac_f32 v31, 0x32a5705f, v12 :: v_dual_add_f32 v20, v20, v27
	v_cvt_i32_f32_e32 v28, v28
	v_rndne_f32_e32 v34, v23
	s_delay_alu instid0(VALU_DEP_4) | instskip(NEXT) | instid1(VALU_DEP_4)
	v_fma_f32 v29, 0x3fb8aa3b, v11, -v21
	v_add_f32_e32 v22, v22, v31
	v_mul_f32_e32 v24, 0x3fb8aa3b, v1
	v_fma_f32 v33, 0x3fb8aa3b, v15, -v23
	v_sub_f32_e32 v23, v23, v34
	v_exp_f32_e32 v20, v20
	v_rndne_f32_e32 v30, v21
	v_rndne_f32_e32 v36, v24
	v_fmac_f32_e32 v25, 0x32a5705f, v9
	v_fma_f32 v35, 0x3fb8aa3b, v1, -v24
	v_exp_f32_e32 v22, v22
	s_delay_alu instid0(VALU_DEP_3) | instskip(NEXT) | instid1(VALU_DEP_3)
	v_dual_sub_f32 v21, v21, v30 :: v_dual_sub_f32 v24, v24, v36
	v_dual_fmac_f32 v29, 0x32a5705f, v11 :: v_dual_add_f32 v16, v16, v25
	s_delay_alu instid0(TRANS32_DEP_2)
	v_ldexp_f32 v20, v20, v28
	v_cvt_i32_f32_e32 v25, v30
	v_cvt_i32_f32_e32 v27, v32
	;; [unrolled: 1-line block ×3, first 2 shown]
	v_exp_f32_e32 v16, v16
	s_delay_alu instid0(TRANS32_DEP_2) | instid1(VALU_DEP_2)
	v_ldexp_f32 v22, v22, v27
	s_waitcnt_depctr 0xfff
	v_ldexp_f32 v16, v16, v26
	s_delay_alu instid0(VALU_DEP_1) | instskip(SKIP_2) | instid1(VALU_DEP_1)
	v_dual_fmac_f32 v33, 0x32a5705f, v15 :: v_dual_cndmask_b32 v16, 0, v16
	v_cmp_ngt_f32_e32 vcc_lo, 0xc2ce8ed0, v19
	v_dual_fmac_f32 v35, 0x32a5705f, v1 :: v_dual_cndmask_b32 v20, 0, v20
	v_dual_add_f32 v21, v21, v29 :: v_dual_add_f32 v24, v24, v35
	v_cmp_ngt_f32_e32 vcc_lo, 0xc2ce8ed0, v11
	v_cvt_i32_f32_e32 v29, v34
	s_delay_alu instid0(VALU_DEP_3) | instskip(NEXT) | instid1(VALU_DEP_3)
	v_exp_f32_e32 v21, v21
	v_exp_f32_e32 v24, v24
	s_waitcnt_depctr 0xfff
	v_ldexp_f32 v21, v21, v25
	s_delay_alu instid0(VALU_DEP_1) | instskip(SKIP_2) | instid1(VALU_DEP_1)
	v_cndmask_b32_e32 v21, 0, v21, vcc_lo
	v_cmp_ngt_f32_e32 vcc_lo, 0xc2ce8ed0, v12
	v_dual_add_f32 v23, v23, v33 :: v_dual_cndmask_b32 v22, 0, v22
	v_exp_f32_e32 v23, v23
	v_cmp_ngt_f32_e32 vcc_lo, 0xc2ce8ed0, v15
	s_waitcnt_depctr 0xfff
	v_ldexp_f32 v23, v23, v29
	s_delay_alu instid0(VALU_DEP_1)
	v_cndmask_b32_e32 v23, 0, v23, vcc_lo
	v_cmp_nlt_f32_e32 vcc_lo, 0x42b17218, v9
	v_cndmask_b32_e32 v9, 0x7f800000, v16, vcc_lo
	v_cmp_nlt_f32_e32 vcc_lo, 0x42b17218, v19
	v_cndmask_b32_e32 v16, 0x7f800000, v20, vcc_lo
	v_cmp_nlt_f32_e32 vcc_lo, 0x42b17218, v11
	v_cndmask_b32_e32 v11, 0x7f800000, v21, vcc_lo
	v_cmp_nlt_f32_e32 vcc_lo, 0x42b17218, v12
	v_cndmask_b32_e32 v12, 0x7f800000, v22, vcc_lo
	v_cmp_lt_i32_e32 vcc_lo, 0, v2
	v_cndmask_b32_e32 v9, 0, v9, vcc_lo
	v_cmp_lt_i32_e32 vcc_lo, 32, v2
	s_waitcnt vmcnt(5)
	s_delay_alu instid0(VALU_DEP_2) | instskip(SKIP_2) | instid1(VALU_DEP_2)
	v_dual_mul_f32 v9, v17, v9 :: v_dual_cndmask_b32 v16, 0, v16
	v_cmp_lt_i32_e32 vcc_lo, 64, v2
	s_waitcnt vmcnt(4)
	v_mul_f32_e32 v3, v3, v16
	v_cndmask_b32_e32 v11, 0, v11, vcc_lo
	v_cmp_lt_i32_e32 vcc_lo, 0x60, v2
	s_waitcnt vmcnt(3)
	s_delay_alu instid0(VALU_DEP_2)
	v_mul_f32_e32 v4, v4, v11
	v_cndmask_b32_e32 v12, 0, v12, vcc_lo
	v_cmp_nlt_f32_e32 vcc_lo, 0x42b17218, v15
	v_add_f32_e32 v15, v9, v3
	v_cndmask_b32_e32 v11, 0x7f800000, v23, vcc_lo
	v_cmp_lt_i32_e32 vcc_lo, 0x80, v2
	s_delay_alu instid0(VALU_DEP_3) | instskip(NEXT) | instid1(VALU_DEP_3)
	v_add_f32_e32 v15, v15, v4
	v_cndmask_b32_e32 v11, 0, v11, vcc_lo
	s_waitcnt vmcnt(2)
	v_mul_f32_e32 v5, v5, v12
	v_ldexp_f32 v12, v24, v30
	v_cmp_ngt_f32_e32 vcc_lo, 0xc2ce8ed0, v1
	s_waitcnt vmcnt(1)
	s_delay_alu instid0(VALU_DEP_3) | instskip(NEXT) | instid1(VALU_DEP_3)
	v_dual_mul_f32 v6, v6, v11 :: v_dual_add_f32 v11, v15, v5
	v_cndmask_b32_e32 v12, 0, v12, vcc_lo
	v_cmp_nlt_f32_e32 vcc_lo, 0x42b17218, v1
	s_delay_alu instid0(VALU_DEP_2) | instskip(SKIP_1) | instid1(VALU_DEP_2)
	v_cndmask_b32_e32 v1, 0x7f800000, v12, vcc_lo
	v_cmp_lt_i32_e32 vcc_lo, 0xa0, v2
	v_dual_cndmask_b32 v12, 0, v1 :: v_dual_add_f32 v1, v11, v6
	s_waitcnt vmcnt(0)
	s_delay_alu instid0(VALU_DEP_1)
	v_fmac_f32_e32 v1, v7, v12
	v_mul_f32_e32 v7, v7, v12
	ds_bpermute_b32 v2, v8, v1
	v_lshlrev_b32_e32 v8, 2, v0
	ds_store_2addr_b32 v8, v9, v3 offset1:32
	ds_store_2addr_b32 v8, v4, v5 offset0:64 offset1:96
	ds_store_2addr_b32 v8, v6, v7 offset0:128 offset1:160
	s_waitcnt lgkmcnt(3)
	v_add_f32_e32 v1, v1, v2
	ds_bpermute_b32 v2, v10, v1
	s_waitcnt lgkmcnt(0)
	v_add_f32_e32 v1, v1, v2
	ds_bpermute_b32 v2, v13, v1
	;; [unrolled: 3-line block ×4, first 2 shown]
	v_cmpx_eq_u32_e32 0, v0
	s_cbranch_execz .LBB463_8
; %bb.7:
	s_waitcnt lgkmcnt(0)
	v_dual_add_f32 v1, v1, v2 :: v_dual_mov_b32 v2, 0
	ds_store_b32 v2, v1 offset:768
.LBB463_8:
	s_or_b32 exec_lo, exec_lo, s7
	v_mov_b32_e32 v1, s6
.LBB463_9:
	s_or_b32 exec_lo, exec_lo, s24
	s_lshl_b32 s6, s18, 6
	s_mov_b32 s7, 0
	s_waitcnt lgkmcnt(0)
	v_dual_mov_b32 v2, 0 :: v_dual_lshlrev_b32 v1, 6, v1
	s_lshl_b64 s[6:7], s[6:7], 1
	v_lshlrev_b32_e32 v0, 1, v0
	s_add_u32 s34, s4, s6
	s_addc_u32 s35, s5, s7
	s_lshl_b32 s41, s40, 6
	v_lshlrev_b64 v[3:4], 1, v[1:2]
	s_sub_i32 s42, s41, 64
	s_cmpk_lt_i32 s22, 0x100
	v_dual_mov_b32 v30, 0 :: v_dual_mov_b32 v33, 0
	s_cselect_b32 s4, s42, 0
	s_delay_alu instid0(VALU_DEP_2)
	v_add_co_u32 v1, vcc_lo, s34, v3
	s_ashr_i32 s5, s4, 31
	v_add_co_ci_u32_e32 v3, vcc_lo, s35, v4, vcc_lo
	s_lshl_b64 s[4:5], s[4:5], 1
	s_cmpk_lt_i32 s22, 0x200
	v_add_co_u32 v1, vcc_lo, v1, v0
	s_cselect_b32 s6, s42, 64
	v_add_co_ci_u32_e32 v3, vcc_lo, 0, v3, vcc_lo
	s_ashr_i32 s7, s6, 31
	s_delay_alu instid0(VALU_DEP_2)
	v_add_co_u32 v4, vcc_lo, v1, s4
	s_lshl_b64 s[6:7], s[6:7], 1
	s_cmpk_lt_i32 s22, 0x300
	v_add_co_ci_u32_e32 v5, vcc_lo, s5, v3, vcc_lo
	s_cselect_b32 s8, s42, 0x80
	v_add_co_u32 v6, vcc_lo, v1, s6
	s_ashr_i32 s9, s8, 31
	v_add_co_ci_u32_e32 v7, vcc_lo, s7, v3, vcc_lo
	s_lshl_b64 s[8:9], s[8:9], 1
	s_cmpk_lt_i32 s22, 0x400
	v_add_co_u32 v8, vcc_lo, v1, s8
	s_cselect_b32 s10, s42, 0xc0
	v_add_co_ci_u32_e32 v9, vcc_lo, s9, v3, vcc_lo
	s_ashr_i32 s11, s10, 31
	v_dual_mov_b32 v32, 0 :: v_dual_mov_b32 v35, 0
	s_lshl_b64 s[10:11], s[10:11], 1
	s_cmpk_lt_i32 s22, 0x500
	v_add_co_u32 v11, vcc_lo, v1, s10
	s_cselect_b32 s18, s42, 0x100
	v_add_co_ci_u32_e32 v12, vcc_lo, s11, v3, vcc_lo
	s_ashr_i32 s19, s18, 31
	v_mov_b32_e32 v34, 0
	s_lshl_b64 s[18:19], s[18:19], 1
	s_cmpk_lt_i32 s22, 0x600
	v_add_co_u32 v14, vcc_lo, v1, s18
	s_cselect_b32 s20, s42, 0x140
	v_add_co_ci_u32_e32 v15, vcc_lo, s19, v3, vcc_lo
	s_ashr_i32 s21, s20, 31
	v_mov_b32_e32 v31, 0
	s_lshl_b64 s[20:21], s[20:21], 1
	s_cmpk_lt_i32 s22, 0x700
	v_add_co_u32 v16, vcc_lo, v1, s20
	s_cselect_b32 s24, s42, 0x180
	v_add_co_ci_u32_e32 v17, vcc_lo, s21, v3, vcc_lo
	s_ashr_i32 s25, s24, 31
	s_delay_alu instid0(SALU_CYCLE_1)
	s_lshl_b64 s[24:25], s[24:25], 1
	s_cmpk_lt_i32 s22, 0x800
	v_add_co_u32 v18, vcc_lo, v1, s24
	s_cselect_b32 s26, s42, 0x1c0
	v_add_co_ci_u32_e32 v19, vcc_lo, s25, v3, vcc_lo
	s_ashr_i32 s27, s26, 31
	s_delay_alu instid0(SALU_CYCLE_1)
	s_lshl_b64 s[26:27], s[26:27], 1
	s_cmpk_lt_i32 s22, 0x900
	v_add_co_u32 v20, vcc_lo, v1, s26
	s_cselect_b32 s28, s42, 0x200
	v_add_co_ci_u32_e32 v21, vcc_lo, s27, v3, vcc_lo
	s_ashr_i32 s29, s28, 31
	s_clause 0x7
	global_load_u16 v13, v[4:5], off
	global_load_u16 v4, v[6:7], off
	;; [unrolled: 1-line block ×8, first 2 shown]
	s_lshl_b64 s[28:29], s[28:29], 1
	s_cmpk_lt_i32 s22, 0xa00
	v_add_co_u32 v11, vcc_lo, v1, s28
	s_cselect_b32 s30, s42, 0x240
	v_add_co_ci_u32_e32 v12, vcc_lo, s29, v3, vcc_lo
	s_ashr_i32 s31, s30, 31
	s_delay_alu instid0(SALU_CYCLE_1)
	s_lshl_b64 s[30:31], s[30:31], 1
	s_cmpk_lt_i32 s22, 0xb00
	v_add_co_u32 v14, vcc_lo, v1, s30
	s_cselect_b32 s34, s42, 0x280
	v_add_co_ci_u32_e32 v15, vcc_lo, s31, v3, vcc_lo
	s_ashr_i32 s35, s34, 31
	s_delay_alu instid0(SALU_CYCLE_1)
	;; [unrolled: 7-line block ×7, first 2 shown]
	s_lshl_b64 s[4:5], s[6:7], 1
	s_cmpk_gt_i32 s23, 0x1000
	v_add_co_u32 v28, vcc_lo, v1, s4
	v_add_co_ci_u32_e32 v29, vcc_lo, s5, v3, vcc_lo
	s_clause 0x7
	global_load_u16 v19, v[11:12], off
	global_load_u16 v18, v[14:15], off
	;; [unrolled: 1-line block ×8, first 2 shown]
	v_dual_mov_b32 v20, 0 :: v_dual_mov_b32 v23, 0
	v_dual_mov_b32 v21, 0 :: v_dual_mov_b32 v22, 0
	;; [unrolled: 1-line block ×5, first 2 shown]
	s_cselect_b32 s6, -1, 0
	s_cmpk_lt_i32 s23, 0x1001
	s_waitcnt vmcnt(0)
	s_barrier
	buffer_gl0_inv
	s_cbranch_scc1 .LBB463_11
; %bb.10:
	s_cmpk_lt_i32 s22, 0x1100
	s_cselect_b32 s4, s42, 0x400
	s_delay_alu instid0(SALU_CYCLE_1) | instskip(NEXT) | instid1(SALU_CYCLE_1)
	s_ashr_i32 s5, s4, 31
	s_lshl_b64 s[4:5], s[4:5], 1
	s_cmpk_lt_i32 s22, 0x1200
	v_add_co_u32 v20, vcc_lo, v1, s4
	s_cselect_b32 s8, s42, 0x440
	v_add_co_ci_u32_e32 v21, vcc_lo, s5, v3, vcc_lo
	s_ashr_i32 s9, s8, 31
	s_delay_alu instid0(SALU_CYCLE_1)
	s_lshl_b64 s[8:9], s[8:9], 1
	s_cmpk_lt_i32 s22, 0x1300
	v_add_co_u32 v22, vcc_lo, v1, s8
	s_cselect_b32 s10, s42, 0x480
	v_add_co_ci_u32_e32 v23, vcc_lo, s9, v3, vcc_lo
	s_ashr_i32 s11, s10, 31
	s_delay_alu instid0(SALU_CYCLE_1)
	;; [unrolled: 7-line block ×14, first 2 shown]
	s_lshl_b64 s[4:5], s[18:19], 1
	s_cmpk_lt_i32 s22, 0x2000
	v_add_co_u32 v48, vcc_lo, v1, s4
	s_cselect_b32 s8, s42, 0x7c0
	v_add_co_ci_u32_e32 v49, vcc_lo, s5, v3, vcc_lo
	s_ashr_i32 s9, s8, 31
	s_delay_alu instid0(SALU_CYCLE_1) | instskip(NEXT) | instid1(SALU_CYCLE_1)
	s_lshl_b64 s[4:5], s[8:9], 1
	v_add_co_u32 v50, vcc_lo, v1, s4
	v_add_co_ci_u32_e32 v51, vcc_lo, s5, v3, vcc_lo
	s_clause 0xf
	global_load_u16 v20, v[20:21], off
	global_load_u16 v21, v[22:23], off
	;; [unrolled: 1-line block ×16, first 2 shown]
	s_waitcnt vmcnt(15)
	v_lshlrev_b32_e32 v35, 16, v20
	s_waitcnt vmcnt(14)
	v_lshlrev_b32_e32 v34, 16, v21
	;; [unrolled: 2-line block ×16, first 2 shown]
.LBB463_11:
	ds_load_b128 v[36:39], v2
	ds_load_b128 v[40:43], v2 offset:16
	v_lshlrev_b32_e32 v44, 16, v4
	v_lshlrev_b32_e32 v13, 16, v13
	v_lshlrev_b32_e32 v10, 16, v10
	v_lshlrev_b32_e32 v8, 16, v8
	v_lshlrev_b32_e32 v6, 16, v6
	s_load_b64 s[0:1], s[0:1], 0x0
	s_and_b32 vcc_lo, exec_lo, s6
	v_lshlrev_b32_e32 v5, 16, v5
	s_waitcnt lgkmcnt(0)
	v_fma_f32 v4, v36, v13, 0
	s_delay_alu instid0(VALU_DEP_1) | instskip(NEXT) | instid1(VALU_DEP_1)
	v_dual_fmac_f32 v4, v37, v44 :: v_dual_lshlrev_b32 v13, 16, v7
	v_dual_fmac_f32 v4, v38, v10 :: v_dual_lshlrev_b32 v9, 16, v9
	s_delay_alu instid0(VALU_DEP_1) | instskip(SKIP_4) | instid1(VALU_DEP_1)
	v_fmac_f32_e32 v4, v39, v9
	ds_load_b128 v[36:39], v2 offset:48
	v_fmac_f32_e32 v4, v40, v8
	ds_load_b128 v[7:10], v2 offset:32
	v_fmac_f32_e32 v4, v41, v13
	v_fmac_f32_e32 v4, v42, v6
	v_lshlrev_b32_e32 v6, 16, v19
	s_delay_alu instid0(VALU_DEP_2) | instskip(SKIP_1) | instid1(VALU_DEP_1)
	v_dual_fmac_f32 v4, v43, v5 :: v_dual_lshlrev_b32 v5, 16, v18
	s_waitcnt lgkmcnt(0)
	v_fmac_f32_e32 v4, v7, v6
	v_lshlrev_b32_e32 v6, 16, v17
	s_delay_alu instid0(VALU_DEP_2) | instskip(NEXT) | instid1(VALU_DEP_1)
	v_dual_fmac_f32 v4, v8, v5 :: v_dual_lshlrev_b32 v5, 16, v16
	v_fmac_f32_e32 v4, v9, v6
	v_lshlrev_b32_e32 v6, 16, v15
	s_delay_alu instid0(VALU_DEP_2) | instskip(NEXT) | instid1(VALU_DEP_1)
	v_dual_fmac_f32 v4, v10, v5 :: v_dual_lshlrev_b32 v5, 16, v14
	;; [unrolled: 4-line block ×3, first 2 shown]
	v_fmac_f32_e32 v4, v38, v6
	s_delay_alu instid0(VALU_DEP_1)
	v_fmac_f32_e32 v4, v39, v5
	s_cbranch_vccz .LBB463_13
; %bb.12:
	ds_load_b128 v[5:8], v2 offset:64
	ds_load_b128 v[9:12], v2 offset:80
	s_waitcnt lgkmcnt(1)
	v_fmac_f32_e32 v4, v5, v35
	s_delay_alu instid0(VALU_DEP_1) | instskip(NEXT) | instid1(VALU_DEP_1)
	v_fmac_f32_e32 v4, v6, v34
	v_fmac_f32_e32 v4, v7, v33
	s_delay_alu instid0(VALU_DEP_1) | instskip(SKIP_3) | instid1(VALU_DEP_1)
	v_fmac_f32_e32 v4, v8, v32
	ds_load_b128 v[5:8], v2 offset:96
	s_waitcnt lgkmcnt(1)
	v_fmac_f32_e32 v4, v9, v31
	v_fmac_f32_e32 v4, v10, v30
	s_delay_alu instid0(VALU_DEP_1) | instskip(NEXT) | instid1(VALU_DEP_1)
	v_fmac_f32_e32 v4, v11, v29
	v_fmac_f32_e32 v4, v12, v28
	ds_load_b128 v[9:12], v2 offset:112
	s_waitcnt lgkmcnt(1)
	v_fmac_f32_e32 v4, v5, v27
	s_delay_alu instid0(VALU_DEP_1) | instskip(NEXT) | instid1(VALU_DEP_1)
	v_fmac_f32_e32 v4, v6, v26
	v_fmac_f32_e32 v4, v7, v25
	s_delay_alu instid0(VALU_DEP_1) | instskip(SKIP_1) | instid1(VALU_DEP_1)
	v_fmac_f32_e32 v4, v8, v24
	s_waitcnt lgkmcnt(0)
	v_fmac_f32_e32 v4, v9, v23
	s_delay_alu instid0(VALU_DEP_1) | instskip(NEXT) | instid1(VALU_DEP_1)
	v_fmac_f32_e32 v4, v10, v22
	v_fmac_f32_e32 v4, v11, v21
	s_delay_alu instid0(VALU_DEP_1)
	v_fmac_f32_e32 v4, v12, v20
.LBB463_13:
	s_movk_i32 s43, 0xfc0
	s_movk_i32 s44, 0x80
	s_mov_b32 s45, 32
	s_branch .LBB463_15
.LBB463_14:                             ;   in Loop: Header=BB463_15 Depth=1
	s_addk_i32 s43, 0x800
	s_addk_i32 s44, 0x80
	s_add_i32 s45, s45, 32
	s_cmpk_eq_i32 s43, 0x37c0
	s_cbranch_scc1 .LBB463_17
.LBB463_15:                             ; =>This Inner Loop Header: Depth=1
	s_cmp_le_i32 s40, s45
	s_cbranch_scc1 .LBB463_14
; %bb.16:                               ;   in Loop: Header=BB463_15 Depth=1
	s_add_i32 s4, s43, 0xfffff840
	v_mov_b32_e32 v44, s44
	s_cmp_lt_i32 s4, s41
	s_cselect_b32 s4, s4, s42
	s_add_i32 s6, s43, 0xfffff880
	s_ashr_i32 s5, s4, 31
	s_delay_alu instid0(SALU_CYCLE_1)
	s_lshl_b64 s[38:39], s[4:5], 1
	s_cmp_lt_i32 s6, s41
	v_add_co_u32 v5, vcc_lo, v1, s38
	s_cselect_b32 s4, s6, s42
	s_add_i32 s6, s43, 0xfffff8c0
	s_ashr_i32 s5, s4, 31
	v_add_co_ci_u32_e32 v6, vcc_lo, s39, v3, vcc_lo
	s_lshl_b64 s[4:5], s[4:5], 1
	s_cmp_lt_i32 s6, s41
	s_cselect_b32 s6, s6, s42
	s_add_i32 s8, s43, 0xfffff900
	s_ashr_i32 s7, s6, 31
	global_load_u16 v2, v[5:6], off
	s_lshl_b64 s[6:7], s[6:7], 1
	s_cmp_lt_i32 s8, s41
	v_add_co_u32 v5, vcc_lo, v1, s4
	s_cselect_b32 s8, s8, s42
	s_add_i32 s10, s43, 0xfffff940
	s_ashr_i32 s9, s8, 31
	v_add_co_ci_u32_e32 v6, vcc_lo, s5, v3, vcc_lo
	s_lshl_b64 s[8:9], s[8:9], 1
	s_cmp_lt_i32 s10, s41
	v_add_co_u32 v7, vcc_lo, v1, s6
	s_cselect_b32 s10, s10, s42
	s_add_i32 s18, s43, 0xfffff980
	s_ashr_i32 s11, s10, 31
	v_add_co_ci_u32_e32 v8, vcc_lo, s7, v3, vcc_lo
	s_lshl_b64 s[10:11], s[10:11], 1
	s_cmp_lt_i32 s18, s41
	v_add_co_u32 v9, vcc_lo, v1, s8
	s_cselect_b32 s18, s18, s42
	s_add_i32 s20, s43, 0xfffff9c0
	s_ashr_i32 s19, s18, 31
	s_clause 0x1
	global_load_u16 v23, v[5:6], off
	global_load_u16 v24, v[7:8], off
	s_lshl_b64 s[18:19], s[18:19], 1
	s_cmp_lt_i32 s20, s41
	v_add_co_ci_u32_e32 v10, vcc_lo, s9, v3, vcc_lo
	s_cselect_b32 s20, s20, s42
	s_add_i32 s22, s43, 0xfffffa00
	s_ashr_i32 s21, s20, 31
	global_load_u16 v25, v[9:10], off
	s_lshl_b64 s[20:21], s[20:21], 1
	s_cmp_lt_i32 s22, s41
	v_add_co_u32 v11, vcc_lo, v1, s10
	s_cselect_b32 s22, s22, s42
	s_add_i32 s24, s43, 0xfffffa40
	s_ashr_i32 s23, s22, 31
	v_add_co_ci_u32_e32 v12, vcc_lo, s11, v3, vcc_lo
	s_lshl_b64 s[22:23], s[22:23], 1
	s_cmp_lt_i32 s24, s41
	v_add_co_u32 v13, vcc_lo, v1, s18
	global_load_u16 v26, v[11:12], off
	s_cselect_b32 s24, s24, s42
	s_add_i32 s26, s43, 0xfffffa80
	s_ashr_i32 s25, s24, 31
	v_add_co_ci_u32_e32 v14, vcc_lo, s19, v3, vcc_lo
	s_lshl_b64 s[24:25], s[24:25], 1
	s_cmp_lt_i32 s26, s41
	v_add_co_u32 v15, vcc_lo, v1, s20
	global_load_u16 v27, v[13:14], off
	s_cselect_b32 s26, s26, s42
	s_add_i32 s28, s43, 0xfffffac0
	s_ashr_i32 s27, s26, 31
	v_add_co_ci_u32_e32 v16, vcc_lo, s21, v3, vcc_lo
	s_lshl_b64 s[36:37], s[26:27], 1
	s_cmp_lt_i32 s28, s41
	v_add_co_u32 v17, vcc_lo, v1, s22
	s_cselect_b32 s26, s28, s42
	s_add_i32 s30, s43, 0xfffffb00
	s_ashr_i32 s27, s26, 31
	v_add_co_ci_u32_e32 v18, vcc_lo, s23, v3, vcc_lo
	s_lshl_b64 s[28:29], s[26:27], 1
	s_cmp_lt_i32 s30, s41
	v_add_co_u32 v19, vcc_lo, v1, s24
	global_load_u16 v17, v[17:18], off
	s_cselect_b32 s26, s30, s42
	s_add_i32 s30, s43, 0xfffffb40
	s_ashr_i32 s27, s26, 31
	v_add_co_ci_u32_e32 v20, vcc_lo, s25, v3, vcc_lo
	s_lshl_b64 s[26:27], s[26:27], 1
	s_cmp_lt_i32 s30, s41
	v_add_co_u32 v21, vcc_lo, v1, s36
	s_cselect_b32 s30, s30, s42
	s_add_i32 s46, s43, 0xfffffb80
	s_ashr_i32 s31, s30, 31
	v_add_co_ci_u32_e32 v22, vcc_lo, s37, v3, vcc_lo
	s_lshl_b64 s[34:35], s[30:31], 1
	s_cmp_lt_i32 s46, s41
	v_add_co_u32 v5, vcc_lo, v1, s28
	;; [unrolled: 7-line block ×3, first 2 shown]
	s_cselect_b32 s46, s46, s42
	s_add_i32 s48, s43, 0xfffffc00
	s_ashr_i32 s47, s46, 31
	global_load_u16 v28, v[15:16], off
	s_lshl_b64 s[38:39], s[46:47], 1
	s_cmp_lt_i32 s48, s41
	v_add_co_ci_u32_e32 v8, vcc_lo, s27, v3, vcc_lo
	s_cselect_b32 s46, s48, s42
	v_add_co_u32 v9, vcc_lo, v1, s34
	s_ashr_i32 s47, s46, 31
	s_add_i32 s4, s43, 0xfffffc40
	s_lshl_b64 s[46:47], s[46:47], 1
	v_add_co_ci_u32_e32 v10, vcc_lo, s35, v3, vcc_lo
	s_cmp_lt_i32 s4, s41
	v_add_co_u32 v11, vcc_lo, v1, s30
	s_cselect_b32 s4, s4, s42
	v_add_co_ci_u32_e32 v12, vcc_lo, s31, v3, vcc_lo
	v_add_co_u32 v13, vcc_lo, v1, s38
	s_ashr_i32 s5, s4, 31
	s_add_i32 s6, s43, 0xfffffc80
	v_add_co_ci_u32_e32 v14, vcc_lo, s39, v3, vcc_lo
	global_load_u16 v18, v[19:20], off
	s_lshl_b64 s[8:9], s[4:5], 1
	s_cmp_lt_i32 s6, s41
	global_load_u16 v30, v[13:14], off
	s_cselect_b32 s4, s6, s42
	global_load_u16 v19, v[21:22], off
	s_ashr_i32 s5, s4, 31
	s_add_i32 s6, s43, 0xfffffcc0
	s_lshl_b64 s[10:11], s[4:5], 1
	s_cmp_lt_i32 s6, s41
	s_clause 0x3
	global_load_u16 v20, v[5:6], off
	global_load_u16 v21, v[7:8], off
	;; [unrolled: 1-line block ×4, first 2 shown]
	s_cselect_b32 s4, s6, s42
	s_add_i32 s6, s43, 0xfffffd00
	s_ashr_i32 s5, s4, 31
	v_add_co_u32 v15, vcc_lo, v1, s46
	s_lshl_b64 s[4:5], s[4:5], 1
	s_cmp_lt_i32 s6, s41
	v_add_co_ci_u32_e32 v16, vcc_lo, s47, v3, vcc_lo
	s_cselect_b32 s6, s6, s42
	s_add_i32 s18, s43, 0xfffffd40
	s_ashr_i32 s7, s6, 31
	v_add_co_u32 v5, vcc_lo, v1, s8
	s_lshl_b64 s[6:7], s[6:7], 1
	s_cmp_lt_i32 s18, s41
	v_add_co_ci_u32_e32 v6, vcc_lo, s9, v3, vcc_lo
	s_cselect_b32 s18, s18, s42
	v_add_co_u32 v7, vcc_lo, v1, s10
	s_ashr_i32 s19, s18, 31
	s_add_i32 s20, s43, 0xfffffd80
	s_lshl_b64 s[18:19], s[18:19], 1
	v_add_co_ci_u32_e32 v8, vcc_lo, s11, v3, vcc_lo
	s_cmp_lt_i32 s20, s41
	v_add_co_u32 v9, vcc_lo, v1, s4
	s_cselect_b32 s20, s20, s42
	v_add_co_ci_u32_e32 v10, vcc_lo, s5, v3, vcc_lo
	v_add_co_u32 v11, vcc_lo, v1, s6
	s_ashr_i32 s21, s20, 31
	s_add_i32 s22, s43, 0xfffffdc0
	v_add_co_ci_u32_e32 v12, vcc_lo, s7, v3, vcc_lo
	global_load_u16 v15, v[15:16], off
	s_lshl_b64 s[20:21], s[20:21], 1
	s_cmp_lt_i32 s22, s41
	global_load_u16 v33, v[11:12], off
	s_cselect_b32 s22, s22, s42
	s_clause 0x2
	global_load_u16 v16, v[5:6], off
	global_load_u16 v31, v[7:8], off
	global_load_u16 v32, v[9:10], off
	s_ashr_i32 s23, s22, 31
	s_add_i32 s24, s43, 0xfffffe00
	s_lshl_b64 s[22:23], s[22:23], 1
	s_cmp_lt_i32 s24, s41
	v_add_co_u32 v13, vcc_lo, v1, s18
	s_cselect_b32 s24, s24, s42
	s_add_i32 s26, s43, 0xfffffe40
	s_ashr_i32 s25, s24, 31
	v_add_co_ci_u32_e32 v14, vcc_lo, s19, v3, vcc_lo
	s_lshl_b64 s[24:25], s[24:25], 1
	s_cmp_lt_i32 s26, s41
	v_add_co_u32 v5, vcc_lo, v1, s20
	s_cselect_b32 s8, s26, s42
	v_add_co_ci_u32_e32 v6, vcc_lo, s21, v3, vcc_lo
	s_ashr_i32 s9, s8, 31
	v_add_co_u32 v7, vcc_lo, v1, s22
	s_add_i32 s10, s43, 0xfffffe80
	s_lshl_b64 s[8:9], s[8:9], 1
	v_add_co_ci_u32_e32 v8, vcc_lo, s23, v3, vcc_lo
	s_cmp_lt_i32 s10, s41
	v_add_co_u32 v9, vcc_lo, v1, s24
	s_cselect_b32 s4, s10, s42
	global_load_u16 v13, v[13:14], off
	v_add_co_ci_u32_e32 v10, vcc_lo, s25, v3, vcc_lo
	s_ashr_i32 s5, s4, 31
	s_add_i32 s6, s43, 0xfffffec0
	s_lshl_b64 s[4:5], s[4:5], 1
	global_load_u16 v35, v[9:10], off
	s_cmp_lt_i32 s6, s41
	s_clause 0x1
	global_load_u16 v14, v[5:6], off
	global_load_u16 v34, v[7:8], off
	s_cselect_b32 s6, s6, s42
	s_add_i32 s10, s43, 0xffffff00
	s_ashr_i32 s7, s6, 31
	v_add_co_u32 v5, vcc_lo, v1, s8
	s_lshl_b64 s[6:7], s[6:7], 1
	s_cmp_lt_i32 s10, s41
	v_add_co_ci_u32_e32 v6, vcc_lo, s9, v3, vcc_lo
	s_cselect_b32 s10, s10, s42
	v_add_co_u32 v7, vcc_lo, v1, s4
	s_ashr_i32 s11, s10, 31
	v_add_co_ci_u32_e32 v8, vcc_lo, s5, v3, vcc_lo
	s_add_i32 s18, s43, 0xffffff40
	s_lshl_b64 s[10:11], s[10:11], 1
	s_cmp_lt_i32 s18, s41
	s_clause 0x1
	global_load_u16 v36, v[5:6], off
	global_load_u16 v37, v[7:8], off
	s_cselect_b32 s18, s18, s42
	v_add_co_u32 v5, vcc_lo, v1, s6
	s_ashr_i32 s19, s18, 31
	v_add_co_ci_u32_e32 v6, vcc_lo, s7, v3, vcc_lo
	s_add_i32 s20, s43, 0xffffff80
	v_add_co_u32 v7, vcc_lo, v1, s10
	s_lshl_b64 s[8:9], s[18:19], 1
	s_cmp_lt_i32 s20, s41
	v_add_co_ci_u32_e32 v8, vcc_lo, s11, v3, vcc_lo
	s_cselect_b32 s4, s20, s42
	global_load_u16 v38, v[5:6], off
	s_ashr_i32 s5, s4, 31
	global_load_u16 v39, v[7:8], off
	s_sub_i32 s18, s43, 64
	v_add_co_u32 v5, vcc_lo, v1, s8
	s_lshl_b64 s[4:5], s[4:5], 1
	s_cmp_lt_i32 s18, s41
	v_add_co_ci_u32_e32 v6, vcc_lo, s9, v3, vcc_lo
	v_add_co_u32 v7, vcc_lo, v1, s4
	s_cselect_b32 s6, s18, s42
	v_add_co_ci_u32_e32 v8, vcc_lo, s5, v3, vcc_lo
	s_ashr_i32 s7, s6, 31
	global_load_u16 v40, v[5:6], off
	s_lshl_b64 s[6:7], s[6:7], 1
	global_load_u16 v41, v[7:8], off
	s_cmp_lt_i32 s43, s41
	v_add_co_u32 v5, vcc_lo, v1, s6
	s_cselect_b32 s4, s43, s42
	v_add_co_ci_u32_e32 v6, vcc_lo, s7, v3, vcc_lo
	s_ashr_i32 s5, s4, 31
	s_delay_alu instid0(SALU_CYCLE_1)
	s_lshl_b64 s[4:5], s[4:5], 1
	global_load_u16 v42, v[5:6], off
	v_add_co_u32 v5, vcc_lo, v1, s4
	v_add_co_ci_u32_e32 v6, vcc_lo, s5, v3, vcc_lo
	global_load_u16 v43, v[5:6], off
	ds_load_b128 v[5:8], v44
	ds_load_b128 v[9:12], v44 offset:16
	s_waitcnt vmcnt(31)
	v_lshlrev_b32_e32 v2, 16, v2
	s_waitcnt lgkmcnt(1)
	s_delay_alu instid0(VALU_DEP_1) | instskip(SKIP_2) | instid1(VALU_DEP_1)
	v_fmac_f32_e32 v4, v5, v2
	s_waitcnt vmcnt(30)
	v_lshlrev_b32_e32 v2, 16, v23
	v_fmac_f32_e32 v4, v6, v2
	s_waitcnt vmcnt(29)
	v_lshlrev_b32_e32 v2, 16, v24
	s_delay_alu instid0(VALU_DEP_1) | instskip(SKIP_2) | instid1(VALU_DEP_1)
	v_fmac_f32_e32 v4, v7, v2
	s_waitcnt vmcnt(28)
	v_lshlrev_b32_e32 v2, 16, v25
	v_fmac_f32_e32 v4, v8, v2
	ds_load_b128 v[5:8], v44 offset:32
	s_waitcnt vmcnt(27)
	v_lshlrev_b32_e32 v2, 16, v26
	s_waitcnt lgkmcnt(1)
	s_delay_alu instid0(VALU_DEP_1) | instskip(SKIP_2) | instid1(VALU_DEP_1)
	v_fmac_f32_e32 v4, v9, v2
	s_waitcnt vmcnt(26)
	v_lshlrev_b32_e32 v2, 16, v27
	v_fmac_f32_e32 v4, v10, v2
	s_waitcnt vmcnt(24)
	v_lshlrev_b32_e32 v2, 16, v28
	s_delay_alu instid0(VALU_DEP_1) | instskip(SKIP_1) | instid1(VALU_DEP_1)
	v_fmac_f32_e32 v4, v11, v2
	v_lshlrev_b32_e32 v2, 16, v17
	v_fmac_f32_e32 v4, v12, v2
	ds_load_b128 v[9:12], v44 offset:48
	s_waitcnt vmcnt(23)
	v_lshlrev_b32_e32 v2, 16, v18
	s_waitcnt lgkmcnt(1)
	s_delay_alu instid0(VALU_DEP_1) | instskip(SKIP_2) | instid1(VALU_DEP_1)
	v_fmac_f32_e32 v4, v5, v2
	s_waitcnt vmcnt(21)
	v_lshlrev_b32_e32 v2, 16, v19
	v_fmac_f32_e32 v4, v6, v2
	s_waitcnt vmcnt(20)
	v_lshlrev_b32_e32 v2, 16, v20
	s_delay_alu instid0(VALU_DEP_1) | instskip(SKIP_2) | instid1(VALU_DEP_1)
	v_fmac_f32_e32 v4, v7, v2
	s_waitcnt vmcnt(19)
	v_lshlrev_b32_e32 v2, 16, v21
	v_fmac_f32_e32 v4, v8, v2
	s_waitcnt vmcnt(18)
	v_lshlrev_b32_e32 v2, 16, v22
	ds_load_b128 v[5:8], v44 offset:64
	s_waitcnt lgkmcnt(1)
	v_fmac_f32_e32 v4, v9, v2
	s_waitcnt vmcnt(17)
	v_lshlrev_b32_e32 v2, 16, v29
	s_delay_alu instid0(VALU_DEP_1) | instskip(SKIP_1) | instid1(VALU_DEP_1)
	v_fmac_f32_e32 v4, v10, v2
	v_lshlrev_b32_e32 v2, 16, v30
	v_fmac_f32_e32 v4, v11, v2
	s_waitcnt vmcnt(16)
	v_lshlrev_b32_e32 v2, 16, v15
	s_delay_alu instid0(VALU_DEP_1) | instskip(SKIP_4) | instid1(VALU_DEP_1)
	v_fmac_f32_e32 v4, v12, v2
	ds_load_b128 v[9:12], v44 offset:80
	s_waitcnt vmcnt(14)
	v_lshlrev_b32_e32 v2, 16, v16
	s_waitcnt lgkmcnt(1)
	v_fmac_f32_e32 v4, v5, v2
	s_waitcnt vmcnt(13)
	v_lshlrev_b32_e32 v2, 16, v31
	s_delay_alu instid0(VALU_DEP_1) | instskip(SKIP_2) | instid1(VALU_DEP_1)
	v_fmac_f32_e32 v4, v6, v2
	s_waitcnt vmcnt(12)
	v_lshlrev_b32_e32 v2, 16, v32
	v_fmac_f32_e32 v4, v7, v2
	v_lshlrev_b32_e32 v2, 16, v33
	s_delay_alu instid0(VALU_DEP_1) | instskip(SKIP_4) | instid1(VALU_DEP_1)
	v_fmac_f32_e32 v4, v8, v2
	ds_load_b128 v[5:8], v44 offset:96
	s_waitcnt vmcnt(11)
	v_lshlrev_b32_e32 v2, 16, v13
	s_waitcnt lgkmcnt(1)
	v_fmac_f32_e32 v4, v9, v2
	s_waitcnt vmcnt(9)
	v_lshlrev_b32_e32 v2, 16, v14
	s_delay_alu instid0(VALU_DEP_1) | instskip(SKIP_2) | instid1(VALU_DEP_1)
	v_fmac_f32_e32 v4, v10, v2
	s_waitcnt vmcnt(8)
	v_lshlrev_b32_e32 v2, 16, v34
	v_fmac_f32_e32 v4, v11, v2
	;; [unrolled: 15-line block ×3, first 2 shown]
	s_waitcnt vmcnt(4)
	v_lshlrev_b32_e32 v2, 16, v39
	s_delay_alu instid0(VALU_DEP_1) | instskip(SKIP_3) | instid1(VALU_DEP_1)
	v_fmac_f32_e32 v4, v8, v2
	s_waitcnt vmcnt(3)
	v_lshlrev_b32_e32 v2, 16, v40
	s_waitcnt lgkmcnt(0)
	v_fmac_f32_e32 v4, v9, v2
	s_waitcnt vmcnt(2)
	v_lshlrev_b32_e32 v2, 16, v41
	s_delay_alu instid0(VALU_DEP_1) | instskip(SKIP_2) | instid1(VALU_DEP_1)
	v_fmac_f32_e32 v4, v10, v2
	s_waitcnt vmcnt(1)
	v_lshlrev_b32_e32 v2, 16, v42
	v_fmac_f32_e32 v4, v11, v2
	s_waitcnt vmcnt(0)
	v_lshlrev_b32_e32 v2, 16, v43
	s_delay_alu instid0(VALU_DEP_1)
	v_fmac_f32_e32 v4, v12, v2
	s_branch .LBB463_14
.LBB463_17:
	v_mov_b32_e32 v1, 0
	s_and_b32 vcc_lo, exec_lo, s15
	ds_load_b32 v1, v1 offset:768
	s_cbranch_vccz .LBB463_19
; %bb.18:
	s_add_u32 s2, s12, s16
	s_addc_u32 s3, s13, s17
	s_load_b32 s2, s[2:3], 0x0
	s_mov_b32 s3, 0
.LBB463_19:
	s_waitcnt lgkmcnt(0)
	v_add_f32_e32 v1, 0x358637bd, v1
	s_delay_alu instid0(VALU_DEP_1) | instskip(NEXT) | instid1(VALU_DEP_1)
	v_div_scale_f32 v2, null, v1, v1, 1.0
	v_rcp_f32_e32 v3, v2
	s_waitcnt_depctr 0xfff
	v_fma_f32 v5, -v2, v3, 1.0
	s_delay_alu instid0(VALU_DEP_1) | instskip(SKIP_1) | instid1(VALU_DEP_1)
	v_fmac_f32_e32 v3, v5, v3
	v_div_scale_f32 v5, vcc_lo, 1.0, v1, 1.0
	v_mul_f32_e32 v6, v5, v3
	s_delay_alu instid0(VALU_DEP_1) | instskip(NEXT) | instid1(VALU_DEP_1)
	v_fma_f32 v7, -v2, v6, v5
	v_fmac_f32_e32 v6, v7, v3
	s_delay_alu instid0(VALU_DEP_1) | instskip(NEXT) | instid1(VALU_DEP_1)
	v_fma_f32 v2, -v2, v6, v5
	v_div_fmas_f32 v2, v2, v3, v6
	s_delay_alu instid0(VALU_DEP_1) | instskip(NEXT) | instid1(VALU_DEP_1)
	v_div_fixup_f32 v1, v2, v1, 1.0
	v_mul_f32_e32 v2, v4, v1
	s_delay_alu instid0(VALU_DEP_1) | instskip(NEXT) | instid1(VALU_DEP_1)
	v_and_b32_e32 v1, 0x7f800000, v2
	v_cmp_ne_u32_e32 vcc_lo, 0x7f800000, v1
                                        ; implicit-def: $vgpr1
	s_and_saveexec_b32 s4, vcc_lo
	s_delay_alu instid0(SALU_CYCLE_1)
	s_xor_b32 s4, exec_lo, s4
; %bb.20:
	v_bfe_u32 v1, v2, 16, 1
	s_delay_alu instid0(VALU_DEP_1)
	v_add3_u32 v1, v2, v1, 0x7fff
                                        ; implicit-def: $vgpr2
; %bb.21:
	s_and_not1_saveexec_b32 s4, s4
; %bb.22:
	v_and_b32_e32 v1, 0xffff, v2
	v_or_b32_e32 v3, 0x10000, v2
	s_delay_alu instid0(VALU_DEP_2) | instskip(NEXT) | instid1(VALU_DEP_2)
	v_cmp_eq_u32_e32 vcc_lo, 0, v1
	v_cndmask_b32_e32 v1, v3, v2, vcc_lo
; %bb.23:
	s_or_b32 exec_lo, exec_lo, s4
	s_mul_i32 s3, s33, s3
	s_mul_hi_u32 s4, s33, s2
	s_mul_i32 s2, s33, s2
	s_add_i32 s3, s4, s3
	s_mov_b32 s15, 0
	s_lshl_b64 s[2:3], s[2:3], 7
	s_delay_alu instid0(SALU_CYCLE_1) | instskip(SKIP_2) | instid1(SALU_CYCLE_1)
	s_add_u32 s2, s0, s2
	s_addc_u32 s3, s1, s3
	s_lshl_b64 s[0:1], s[14:15], 7
	s_add_u32 s0, s2, s0
	s_addc_u32 s1, s3, s1
	global_store_d16_hi_b16 v0, v1, s[0:1]
	s_nop 0
	s_sendmsg sendmsg(MSG_DEALLOC_VGPRS)
	s_endpgm
.LBB463_24:
	s_mov_b32 s4, 0
	s_branch .LBB463_2
	.section	.rodata,"a",@progbits
	.p2align	6, 0x0
	.amdhsa_kernel _Z35paged_attention_ll4mi_reduce_kernelI14__hip_bfloat16S0_Li64ELi64ELi256ELi6EEvPT0_PKfS4_PKT_PKiS9_iS4_
		.amdhsa_group_segment_fixed_size 772
		.amdhsa_private_segment_fixed_size 0
		.amdhsa_kernarg_size 320
		.amdhsa_user_sgpr_count 14
		.amdhsa_user_sgpr_dispatch_ptr 0
		.amdhsa_user_sgpr_queue_ptr 0
		.amdhsa_user_sgpr_kernarg_segment_ptr 1
		.amdhsa_user_sgpr_dispatch_id 0
		.amdhsa_user_sgpr_private_segment_size 0
		.amdhsa_wavefront_size32 1
		.amdhsa_uses_dynamic_stack 0
		.amdhsa_enable_private_segment 0
		.amdhsa_system_sgpr_workgroup_id_x 1
		.amdhsa_system_sgpr_workgroup_id_y 1
		.amdhsa_system_sgpr_workgroup_id_z 0
		.amdhsa_system_sgpr_workgroup_info 0
		.amdhsa_system_vgpr_workitem_id 0
		.amdhsa_next_free_vgpr 52
		.amdhsa_next_free_sgpr 49
		.amdhsa_reserve_vcc 1
		.amdhsa_float_round_mode_32 0
		.amdhsa_float_round_mode_16_64 0
		.amdhsa_float_denorm_mode_32 3
		.amdhsa_float_denorm_mode_16_64 3
		.amdhsa_dx10_clamp 1
		.amdhsa_ieee_mode 1
		.amdhsa_fp16_overflow 0
		.amdhsa_workgroup_processor_mode 1
		.amdhsa_memory_ordered 1
		.amdhsa_forward_progress 0
		.amdhsa_shared_vgpr_count 0
		.amdhsa_exception_fp_ieee_invalid_op 0
		.amdhsa_exception_fp_denorm_src 0
		.amdhsa_exception_fp_ieee_div_zero 0
		.amdhsa_exception_fp_ieee_overflow 0
		.amdhsa_exception_fp_ieee_underflow 0
		.amdhsa_exception_fp_ieee_inexact 0
		.amdhsa_exception_int_div_zero 0
	.end_amdhsa_kernel
	.section	.text._Z35paged_attention_ll4mi_reduce_kernelI14__hip_bfloat16S0_Li64ELi64ELi256ELi6EEvPT0_PKfS4_PKT_PKiS9_iS4_,"axG",@progbits,_Z35paged_attention_ll4mi_reduce_kernelI14__hip_bfloat16S0_Li64ELi64ELi256ELi6EEvPT0_PKfS4_PKT_PKiS9_iS4_,comdat
.Lfunc_end463:
	.size	_Z35paged_attention_ll4mi_reduce_kernelI14__hip_bfloat16S0_Li64ELi64ELi256ELi6EEvPT0_PKfS4_PKT_PKiS9_iS4_, .Lfunc_end463-_Z35paged_attention_ll4mi_reduce_kernelI14__hip_bfloat16S0_Li64ELi64ELi256ELi6EEvPT0_PKfS4_PKT_PKiS9_iS4_
                                        ; -- End function
	.section	.AMDGPU.csdata,"",@progbits
; Kernel info:
; codeLenInByte = 6276
; NumSgprs: 51
; NumVgprs: 52
; ScratchSize: 0
; MemoryBound: 0
; FloatMode: 240
; IeeeMode: 1
; LDSByteSize: 772 bytes/workgroup (compile time only)
; SGPRBlocks: 6
; VGPRBlocks: 6
; NumSGPRsForWavesPerEU: 51
; NumVGPRsForWavesPerEU: 52
; Occupancy: 16
; WaveLimiterHint : 0
; COMPUTE_PGM_RSRC2:SCRATCH_EN: 0
; COMPUTE_PGM_RSRC2:USER_SGPR: 14
; COMPUTE_PGM_RSRC2:TRAP_HANDLER: 0
; COMPUTE_PGM_RSRC2:TGID_X_EN: 1
; COMPUTE_PGM_RSRC2:TGID_Y_EN: 1
; COMPUTE_PGM_RSRC2:TGID_Z_EN: 0
; COMPUTE_PGM_RSRC2:TIDIG_COMP_CNT: 0
	.section	.text._Z35paged_attention_ll4mi_reduce_kernelI14__hip_bfloat16S0_Li64ELi64ELi256ELi7EEvPT0_PKfS4_PKT_PKiS9_iS4_,"axG",@progbits,_Z35paged_attention_ll4mi_reduce_kernelI14__hip_bfloat16S0_Li64ELi64ELi256ELi7EEvPT0_PKfS4_PKT_PKiS9_iS4_,comdat
	.protected	_Z35paged_attention_ll4mi_reduce_kernelI14__hip_bfloat16S0_Li64ELi64ELi256ELi7EEvPT0_PKfS4_PKT_PKiS9_iS4_ ; -- Begin function _Z35paged_attention_ll4mi_reduce_kernelI14__hip_bfloat16S0_Li64ELi64ELi256ELi7EEvPT0_PKfS4_PKT_PKiS9_iS4_
	.globl	_Z35paged_attention_ll4mi_reduce_kernelI14__hip_bfloat16S0_Li64ELi64ELi256ELi7EEvPT0_PKfS4_PKT_PKiS9_iS4_
	.p2align	8
	.type	_Z35paged_attention_ll4mi_reduce_kernelI14__hip_bfloat16S0_Li64ELi64ELi256ELi7EEvPT0_PKfS4_PKT_PKiS9_iS4_,@function
_Z35paged_attention_ll4mi_reduce_kernelI14__hip_bfloat16S0_Li64ELi64ELi256ELi7EEvPT0_PKfS4_PKT_PKiS9_iS4_: ; @_Z35paged_attention_ll4mi_reduce_kernelI14__hip_bfloat16S0_Li64ELi64ELi256ELi7EEvPT0_PKfS4_PKT_PKiS9_iS4_
; %bb.0:
	s_load_b64 s[12:13], s[0:1], 0x28
	s_mov_b32 s2, s15
	s_waitcnt lgkmcnt(0)
	s_cmp_lg_u64 s[12:13], 0
	s_cselect_b32 s15, -1, 0
	s_delay_alu instid0(SALU_CYCLE_1)
	s_and_b32 vcc_lo, exec_lo, s15
	s_cbranch_vccz .LBB464_24
; %bb.1:
	s_add_i32 s4, s2, 1
	s_mov_b32 s5, 0
	s_delay_alu instid0(SALU_CYCLE_1) | instskip(SKIP_4) | instid1(SALU_CYCLE_1)
	s_lshl_b64 s[6:7], s[4:5], 2
	s_mov_b32 s3, s5
	s_add_u32 s6, s12, s6
	s_addc_u32 s7, s13, s7
	s_lshl_b64 s[8:9], s[2:3], 2
	s_add_u32 s8, s12, s8
	s_addc_u32 s9, s13, s9
	s_clause 0x1
	s_load_b32 s4, s[6:7], 0x0
	s_load_b32 s6, s[8:9], 0x0
	s_waitcnt lgkmcnt(0)
	s_sub_i32 s4, s4, s6
	s_delay_alu instid0(SALU_CYCLE_1)
	s_cmp_eq_u32 s4, 1
	s_cselect_b32 s4, -1, 0
	s_cbranch_execnz .LBB464_3
.LBB464_2:
	s_mov_b32 s3, 0
	s_mov_b32 s4, -1
.LBB464_3:
	s_delay_alu instid0(SALU_CYCLE_1)
	s_and_not1_b32 vcc_lo, exec_lo, s4
	s_cbranch_vccz .LBB464_5
; %bb.4:
	s_endpgm
.LBB464_5:
	s_clause 0x1
	s_load_b128 s[4:7], s[0:1], 0x18
	s_load_b32 s9, s[0:1], 0x30
	s_lshl_b64 s[16:17], s[2:3], 2
	s_waitcnt lgkmcnt(0)
	s_add_u32 s6, s6, s16
	s_addc_u32 s7, s7, s17
	s_load_b32 s23, s[6:7], 0x0
	s_load_b32 s33, s[0:1], 0x40
	s_mul_i32 s7, s2, s9
	s_waitcnt lgkmcnt(0)
	s_add_i32 s22, s23, 0xff
	s_delay_alu instid0(SALU_CYCLE_1) | instskip(NEXT) | instid1(SALU_CYCLE_1)
	s_ashr_i32 s6, s22, 31
	s_lshr_b32 s6, s6, 24
	s_delay_alu instid0(SALU_CYCLE_1) | instskip(SKIP_4) | instid1(SALU_CYCLE_1)
	s_add_i32 s8, s22, s6
	s_mul_i32 s6, s14, s9
	s_mov_b32 s9, exec_lo
	v_cmpx_lt_u32_e32 31, v0
	s_xor_b32 s9, exec_lo, s9
	s_or_saveexec_b32 s24, s9
	v_mov_b32_e32 v1, s6
	s_ashr_i32 s40, s8, 8
	s_mul_i32 s18, s7, s33
	s_xor_b32 exec_lo, exec_lo, s24
	s_cbranch_execz .LBB464_9
; %bb.6:
	v_or_b32_e32 v2, 32, v0
	v_cmp_gt_i32_e32 vcc_lo, s40, v0
	s_add_i32 s20, s40, -1
	v_or_b32_e32 v4, 64, v0
	v_or_b32_e32 v6, 0xa0, v0
	s_load_b128 s[8:11], s[0:1], 0x8
	v_cndmask_b32_e32 v1, s20, v0, vcc_lo
	v_cmp_gt_i32_e32 vcc_lo, s40, v2
	s_mov_b32 s19, 0
	s_delay_alu instid0(SALU_CYCLE_1)
	s_mov_b32 s7, s19
	v_cndmask_b32_e32 v3, s20, v2, vcc_lo
	v_or_b32_e32 v2, 0x60, v0
	v_cmp_gt_i32_e32 vcc_lo, s40, v4
	v_cndmask_b32_e32 v5, s20, v4, vcc_lo
	v_or_b32_e32 v4, 0x80, v0
	s_delay_alu instid0(VALU_DEP_4) | instskip(SKIP_1) | instid1(VALU_DEP_3)
	v_cmp_gt_i32_e32 vcc_lo, s40, v2
	v_cndmask_b32_e32 v7, s20, v2, vcc_lo
	v_cmp_gt_i32_e32 vcc_lo, s40, v4
	v_or_b32_e32 v2, 0xc0, v0
	s_delay_alu instid0(VALU_DEP_3) | instskip(SKIP_3) | instid1(VALU_DEP_4)
	v_ashrrev_i32_e32 v8, 31, v7
	v_cndmask_b32_e32 v9, s20, v4, vcc_lo
	v_cmp_gt_i32_e32 vcc_lo, s40, v6
	v_ashrrev_i32_e32 v4, 31, v3
	v_lshlrev_b64 v[7:8], 2, v[7:8]
	s_delay_alu instid0(VALU_DEP_4)
	v_ashrrev_i32_e32 v10, 31, v9
	v_cndmask_b32_e32 v11, s20, v6, vcc_lo
	v_cmp_gt_i32_e32 vcc_lo, s40, v2
	v_ashrrev_i32_e32 v6, 31, v5
	v_lshlrev_b64 v[3:4], 2, v[3:4]
	v_lshlrev_b64 v[9:10], 2, v[9:10]
	v_ashrrev_i32_e32 v12, 31, v11
	v_cndmask_b32_e32 v13, s20, v2, vcc_lo
	v_ashrrev_i32_e32 v2, 31, v1
	s_lshl_b64 s[20:21], s[18:19], 2
	v_lshlrev_b64 v[5:6], 2, v[5:6]
	s_waitcnt lgkmcnt(0)
	s_add_u32 s19, s10, s20
	s_addc_u32 s25, s11, s21
	v_lshlrev_b64 v[1:2], 2, v[1:2]
	s_lshl_b64 s[10:11], s[6:7], 2
	v_lshlrev_b64 v[11:12], 2, v[11:12]
	s_add_u32 s7, s19, s10
	s_addc_u32 s19, s25, s11
	s_delay_alu instid0(VALU_DEP_2)
	v_add_co_u32 v14, vcc_lo, s7, v1
	v_add_co_ci_u32_e32 v15, vcc_lo, s19, v2, vcc_lo
	v_add_co_u32 v16, vcc_lo, s7, v3
	v_add_co_ci_u32_e32 v17, vcc_lo, s19, v4, vcc_lo
	;; [unrolled: 2-line block ×3, first 2 shown]
	s_clause 0x2
	global_load_b32 v23, v[14:15], off
	global_load_b32 v24, v[16:17], off
	global_load_b32 v25, v[18:19], off
	v_ashrrev_i32_e32 v14, 31, v13
	v_add_co_u32 v15, vcc_lo, s7, v7
	v_add_co_ci_u32_e32 v16, vcc_lo, s19, v8, vcc_lo
	v_add_co_u32 v17, vcc_lo, s7, v9
	s_delay_alu instid0(VALU_DEP_4) | instskip(SKIP_3) | instid1(VALU_DEP_4)
	v_lshlrev_b64 v[13:14], 2, v[13:14]
	v_add_co_ci_u32_e32 v18, vcc_lo, s19, v10, vcc_lo
	v_add_co_u32 v19, vcc_lo, s7, v11
	v_add_co_ci_u32_e32 v20, vcc_lo, s19, v12, vcc_lo
	v_add_co_u32 v21, vcc_lo, s7, v13
	v_add_co_ci_u32_e32 v22, vcc_lo, s19, v14, vcc_lo
	s_clause 0x3
	global_load_b32 v15, v[15:16], off
	global_load_b32 v16, v[17:18], off
	;; [unrolled: 1-line block ×4, first 2 shown]
	s_add_u32 s7, s8, s20
	s_addc_u32 s8, s9, s21
	s_add_u32 s7, s7, s10
	s_addc_u32 s8, s8, s11
	v_add_co_u32 v1, vcc_lo, s7, v1
	v_add_co_ci_u32_e32 v2, vcc_lo, s8, v2, vcc_lo
	v_add_co_u32 v3, vcc_lo, s7, v3
	v_add_co_ci_u32_e32 v4, vcc_lo, s8, v4, vcc_lo
	;; [unrolled: 2-line block ×5, first 2 shown]
	s_clause 0x4
	global_load_b32 v19, v[1:2], off
	global_load_b32 v3, v[3:4], off
	;; [unrolled: 1-line block ×5, first 2 shown]
	v_add_co_u32 v1, vcc_lo, s7, v11
	v_add_co_ci_u32_e32 v2, vcc_lo, s8, v12, vcc_lo
	global_load_b32 v7, v[1:2], off
	v_add_co_u32 v1, vcc_lo, s7, v13
	v_add_co_ci_u32_e32 v2, vcc_lo, s8, v14, vcc_lo
	s_mov_b32 s7, exec_lo
	global_load_b32 v1, v[1:2], off
	v_mbcnt_lo_u32_b32 v2, -1, 0
	s_delay_alu instid0(VALU_DEP_1)
	v_xor_b32_e32 v8, 16, v2
	v_xor_b32_e32 v11, 8, v2
	;; [unrolled: 1-line block ×5, first 2 shown]
	v_cmp_gt_i32_e32 vcc_lo, 32, v8
	v_cndmask_b32_e32 v8, v2, v8, vcc_lo
	v_cmp_gt_i32_e32 vcc_lo, 32, v11
	v_cndmask_b32_e32 v11, v2, v11, vcc_lo
	;; [unrolled: 2-line block ×4, first 2 shown]
	v_cmp_gt_i32_e32 vcc_lo, 32, v14
	s_delay_alu instid0(VALU_DEP_2) | instskip(NEXT) | instid1(VALU_DEP_1)
	v_dual_cndmask_b32 v2, v2, v14 :: v_dual_lshlrev_b32 v13, 2, v13
	v_lshlrev_b32_e32 v2, 2, v2
	v_lshlrev_b32_e32 v11, 2, v11
	;; [unrolled: 1-line block ×3, first 2 shown]
	s_waitcnt vmcnt(11)
	v_max3_f32 v9, v23, v24, v25
	s_waitcnt vmcnt(9)
	s_delay_alu instid0(VALU_DEP_1) | instskip(SKIP_1) | instid1(VALU_DEP_1)
	v_max3_f32 v9, v9, v15, v16
	s_waitcnt vmcnt(7)
	v_max3_f32 v9, v9, v17, v18
	ds_bpermute_b32 v10, v8, v9
	s_waitcnt lgkmcnt(0)
	v_max_f32_e32 v10, v10, v10
	s_delay_alu instid0(VALU_DEP_1) | instskip(SKIP_3) | instid1(VALU_DEP_1)
	v_max_f32_e32 v9, v9, v10
	ds_bpermute_b32 v10, v11, v9
	s_waitcnt lgkmcnt(0)
	v_max_f32_e32 v10, v10, v10
	v_dual_max_f32 v9, v9, v10 :: v_dual_lshlrev_b32 v12, 2, v12
	ds_bpermute_b32 v10, v12, v9
	s_waitcnt lgkmcnt(0)
	v_max_f32_e32 v10, v10, v10
	s_delay_alu instid0(VALU_DEP_1) | instskip(SKIP_3) | instid1(VALU_DEP_1)
	v_max_f32_e32 v9, v9, v10
	ds_bpermute_b32 v10, v13, v9
	s_waitcnt lgkmcnt(0)
	v_max_f32_e32 v10, v10, v10
	v_max_f32_e32 v9, v9, v10
	ds_bpermute_b32 v10, v2, v9
	s_waitcnt lgkmcnt(0)
	v_max_f32_e32 v10, v10, v10
	s_delay_alu instid0(VALU_DEP_1) | instskip(SKIP_1) | instid1(VALU_DEP_2)
	v_max_f32_e32 v9, v9, v10
	v_sub_nc_u32_e32 v10, s40, v0
	v_sub_f32_e32 v20, v24, v9
	v_sub_f32_e32 v21, v25, v9
	;; [unrolled: 1-line block ×4, first 2 shown]
	s_delay_alu instid0(VALU_DEP_4) | instskip(NEXT) | instid1(VALU_DEP_3)
	v_dual_sub_f32 v17, v17, v9 :: v_dual_mul_f32 v22, 0x3fb8aa3b, v20
	v_mul_f32_e32 v24, 0x3fb8aa3b, v15
	s_delay_alu instid0(VALU_DEP_3) | instskip(NEXT) | instid1(VALU_DEP_3)
	v_cmp_ngt_f32_e32 vcc_lo, 0xc2ce8ed0, v14
	v_rndne_f32_e32 v31, v22
	v_mul_f32_e32 v23, 0x3fb8aa3b, v21
	v_fma_f32 v30, 0x3fb8aa3b, v20, -v22
	v_fma_f32 v34, 0x3fb8aa3b, v15, -v24
	v_rndne_f32_e32 v35, v24
	v_sub_f32_e32 v22, v22, v31
	v_fma_f32 v32, 0x3fb8aa3b, v21, -v23
	v_rndne_f32_e32 v33, v23
	v_fmac_f32_e32 v34, 0x32a5705f, v15
	v_sub_f32_e32 v24, v24, v35
	v_fmac_f32_e32 v30, 0x32a5705f, v20
	v_fmac_f32_e32 v32, 0x32a5705f, v21
	v_sub_f32_e32 v23, v23, v33
	v_sub_f32_e32 v16, v16, v9
	v_dual_sub_f32 v9, v18, v9 :: v_dual_mul_f32 v18, 0x3fb8aa3b, v14
	v_cvt_i32_f32_e32 v31, v31
	s_delay_alu instid0(VALU_DEP_4) | instskip(NEXT) | instid1(VALU_DEP_4)
	v_add_f32_e32 v23, v23, v32
	v_dual_mul_f32 v25, 0x3fb8aa3b, v16 :: v_dual_add_f32 v24, v24, v34
	s_delay_alu instid0(VALU_DEP_4) | instskip(SKIP_1) | instid1(VALU_DEP_4)
	v_fma_f32 v28, 0x3fb8aa3b, v14, -v18
	v_rndne_f32_e32 v29, v18
	v_exp_f32_e32 v23, v23
	s_delay_alu instid0(VALU_DEP_3) | instskip(SKIP_4) | instid1(VALU_DEP_4)
	v_fma_f32 v36, 0x3fb8aa3b, v16, -v25
	v_rndne_f32_e32 v37, v25
	v_fmac_f32_e32 v28, 0x32a5705f, v14
	v_mul_f32_e32 v26, 0x3fb8aa3b, v17
	v_sub_f32_e32 v18, v18, v29
	v_dual_fmac_f32 v36, 0x32a5705f, v16 :: v_dual_sub_f32 v25, v25, v37
	v_cvt_i32_f32_e32 v29, v29
	s_delay_alu instid0(VALU_DEP_4)
	v_rndne_f32_e32 v39, v26
	v_mul_f32_e32 v27, 0x3fb8aa3b, v9
	v_fma_f32 v38, 0x3fb8aa3b, v17, -v26
	v_add_f32_e32 v25, v25, v36
	v_add_f32_e32 v18, v18, v28
	v_sub_f32_e32 v26, v26, v39
	v_rndne_f32_e32 v41, v27
	v_fma_f32 v40, 0x3fb8aa3b, v9, -v27
	v_exp_f32_e32 v25, v25
	v_cvt_i32_f32_e32 v28, v37
	v_exp_f32_e32 v18, v18
	v_sub_f32_e32 v27, v27, v41
	v_cvt_i32_f32_e32 v33, v33
	v_exp_f32_e32 v24, v24
	v_cvt_i32_f32_e32 v35, v35
	v_cvt_i32_f32_e32 v32, v41
	s_delay_alu instid0(VALU_DEP_3) | instskip(NEXT) | instid1(TRANS32_DEP_3)
	v_ldexp_f32 v23, v23, v33
	v_ldexp_f32 v25, v25, v28
	v_add_f32_e32 v22, v22, v30
	s_delay_alu instid0(TRANS32_DEP_2) | instskip(SKIP_1) | instid1(TRANS32_DEP_1)
	v_ldexp_f32 v18, v18, v29
	v_cvt_i32_f32_e32 v30, v39
	v_ldexp_f32 v24, v24, v35
	s_delay_alu instid0(VALU_DEP_4) | instskip(NEXT) | instid1(VALU_DEP_3)
	v_exp_f32_e32 v22, v22
	v_cndmask_b32_e32 v18, 0, v18, vcc_lo
	v_cmp_ngt_f32_e32 vcc_lo, 0xc2ce8ed0, v20
	s_waitcnt_depctr 0xfff
	v_ldexp_f32 v22, v22, v31
	s_delay_alu instid0(VALU_DEP_1) | instskip(SKIP_3) | instid1(VALU_DEP_2)
	v_cndmask_b32_e32 v22, 0, v22, vcc_lo
	v_cmp_ngt_f32_e32 vcc_lo, 0xc2ce8ed0, v21
	v_dual_fmac_f32 v40, 0x32a5705f, v9 :: v_dual_cndmask_b32 v23, 0, v23
	v_cmp_ngt_f32_e32 vcc_lo, 0xc2ce8ed0, v15
	v_dual_fmac_f32 v38, 0x32a5705f, v17 :: v_dual_add_f32 v27, v27, v40
	v_cndmask_b32_e32 v24, 0, v24, vcc_lo
	v_cmp_ngt_f32_e32 vcc_lo, 0xc2ce8ed0, v16
	s_delay_alu instid0(VALU_DEP_3)
	v_exp_f32_e32 v27, v27
	v_cndmask_b32_e32 v25, 0, v25, vcc_lo
	v_cmp_nlt_f32_e32 vcc_lo, 0x42b17218, v14
	v_cndmask_b32_e32 v14, 0x7f800000, v18, vcc_lo
	v_cmp_nlt_f32_e32 vcc_lo, 0x42b17218, v20
	;; [unrolled: 2-line block ×4, first 2 shown]
	v_dual_add_f32 v26, v26, v38 :: v_dual_cndmask_b32 v15, 0x7f800000, v24
	v_cmp_nlt_f32_e32 vcc_lo, 0x42b17218, v16
	s_delay_alu instid0(VALU_DEP_2)
	v_exp_f32_e32 v26, v26
	v_cndmask_b32_e32 v16, 0x7f800000, v25, vcc_lo
	v_cmp_lt_i32_e32 vcc_lo, 0, v10
	v_cndmask_b32_e32 v14, 0, v14, vcc_lo
	v_cmp_lt_i32_e32 vcc_lo, 32, v10
	s_waitcnt_depctr 0xfff
	v_ldexp_f32 v26, v26, v30
	v_cndmask_b32_e32 v18, 0, v18, vcc_lo
	v_cmp_lt_i32_e32 vcc_lo, 64, v10
	v_cndmask_b32_e32 v20, 0, v20, vcc_lo
	v_cmp_lt_i32_e32 vcc_lo, 0x60, v10
	;; [unrolled: 2-line block ×3, first 2 shown]
	s_waitcnt vmcnt(3)
	s_delay_alu instid0(VALU_DEP_2) | instskip(SKIP_2) | instid1(VALU_DEP_2)
	v_dual_mul_f32 v5, v5, v15 :: v_dual_cndmask_b32 v16, 0, v16
	v_cmp_ngt_f32_e32 vcc_lo, 0xc2ce8ed0, v17
	s_waitcnt vmcnt(2)
	v_dual_mul_f32 v6, v6, v16 :: v_dual_cndmask_b32 v15, 0, v26
	v_cmp_nlt_f32_e32 vcc_lo, 0x42b17218, v17
	v_mul_f32_e32 v4, v4, v20
	v_ldexp_f32 v16, v27, v32
	s_delay_alu instid0(VALU_DEP_4) | instskip(SKIP_1) | instid1(VALU_DEP_3)
	v_cndmask_b32_e32 v15, 0x7f800000, v15, vcc_lo
	v_cmp_ngt_f32_e32 vcc_lo, 0xc2ce8ed0, v9
	v_cndmask_b32_e32 v16, 0, v16, vcc_lo
	v_cmp_lt_i32_e32 vcc_lo, 0xa0, v10
	s_delay_alu instid0(VALU_DEP_4) | instskip(SKIP_3) | instid1(VALU_DEP_3)
	v_cndmask_b32_e32 v15, 0, v15, vcc_lo
	v_cmp_nlt_f32_e32 vcc_lo, 0x42b17218, v9
	v_mul_f32_e32 v14, v19, v14
	s_waitcnt vmcnt(1)
	v_mul_f32_e32 v7, v7, v15
	v_cndmask_b32_e32 v9, 0x7f800000, v16, vcc_lo
	v_cmp_lt_i32_e32 vcc_lo, 0xc0, v10
	s_delay_alu instid0(VALU_DEP_2) | instskip(SKIP_2) | instid1(VALU_DEP_1)
	v_cndmask_b32_e32 v9, 0, v9, vcc_lo
	v_mul_f32_e32 v3, v3, v18
	s_waitcnt vmcnt(0)
	v_dual_mul_f32 v9, v1, v9 :: v_dual_add_f32 v18, v14, v3
	s_delay_alu instid0(VALU_DEP_1) | instskip(NEXT) | instid1(VALU_DEP_1)
	v_add_f32_e32 v17, v18, v4
	v_add_f32_e32 v16, v17, v5
	s_delay_alu instid0(VALU_DEP_1) | instskip(NEXT) | instid1(VALU_DEP_1)
	v_add_f32_e32 v10, v16, v6
	v_add_f32_e32 v1, v10, v7
	s_delay_alu instid0(VALU_DEP_1)
	v_add_f32_e32 v1, v1, v9
	ds_bpermute_b32 v8, v8, v1
	s_waitcnt lgkmcnt(0)
	v_add_f32_e32 v1, v1, v8
	ds_bpermute_b32 v8, v11, v1
	s_waitcnt lgkmcnt(0)
	;; [unrolled: 3-line block ×4, first 2 shown]
	v_add_f32_e32 v1, v1, v8
	v_lshlrev_b32_e32 v8, 2, v0
	ds_store_2addr_b32 v8, v14, v3 offset1:32
	ds_store_2addr_b32 v8, v4, v5 offset0:64 offset1:96
	ds_store_2addr_b32 v8, v6, v7 offset0:128 offset1:160
	ds_store_b32 v8, v9 offset:768
	ds_bpermute_b32 v2, v2, v1
	v_cmpx_eq_u32_e32 0, v0
	s_cbranch_execz .LBB464_8
; %bb.7:
	s_waitcnt lgkmcnt(0)
	v_dual_add_f32 v1, v1, v2 :: v_dual_mov_b32 v2, 0
	ds_store_b32 v2, v1 offset:896
.LBB464_8:
	s_or_b32 exec_lo, exec_lo, s7
	v_mov_b32_e32 v1, s6
.LBB464_9:
	s_or_b32 exec_lo, exec_lo, s24
	s_lshl_b32 s6, s18, 6
	s_mov_b32 s7, 0
	s_waitcnt lgkmcnt(0)
	v_dual_mov_b32 v2, 0 :: v_dual_lshlrev_b32 v1, 6, v1
	s_lshl_b64 s[6:7], s[6:7], 1
	v_lshlrev_b32_e32 v0, 1, v0
	s_add_u32 s34, s4, s6
	s_addc_u32 s35, s5, s7
	s_lshl_b32 s41, s40, 6
	v_lshlrev_b64 v[3:4], 1, v[1:2]
	s_sub_i32 s42, s41, 64
	s_cmpk_lt_i32 s22, 0x100
	v_dual_mov_b32 v30, 0 :: v_dual_mov_b32 v33, 0
	s_cselect_b32 s4, s42, 0
	s_delay_alu instid0(VALU_DEP_2)
	v_add_co_u32 v1, vcc_lo, s34, v3
	s_ashr_i32 s5, s4, 31
	v_add_co_ci_u32_e32 v3, vcc_lo, s35, v4, vcc_lo
	s_lshl_b64 s[4:5], s[4:5], 1
	s_cmpk_lt_i32 s22, 0x200
	v_add_co_u32 v1, vcc_lo, v1, v0
	s_cselect_b32 s6, s42, 64
	v_add_co_ci_u32_e32 v3, vcc_lo, 0, v3, vcc_lo
	s_ashr_i32 s7, s6, 31
	s_delay_alu instid0(VALU_DEP_2)
	v_add_co_u32 v4, vcc_lo, v1, s4
	s_lshl_b64 s[6:7], s[6:7], 1
	s_cmpk_lt_i32 s22, 0x300
	v_add_co_ci_u32_e32 v5, vcc_lo, s5, v3, vcc_lo
	s_cselect_b32 s8, s42, 0x80
	v_add_co_u32 v6, vcc_lo, v1, s6
	s_ashr_i32 s9, s8, 31
	v_add_co_ci_u32_e32 v7, vcc_lo, s7, v3, vcc_lo
	s_lshl_b64 s[8:9], s[8:9], 1
	s_cmpk_lt_i32 s22, 0x400
	v_add_co_u32 v8, vcc_lo, v1, s8
	s_cselect_b32 s10, s42, 0xc0
	v_add_co_ci_u32_e32 v9, vcc_lo, s9, v3, vcc_lo
	s_ashr_i32 s11, s10, 31
	v_dual_mov_b32 v32, 0 :: v_dual_mov_b32 v35, 0
	s_lshl_b64 s[10:11], s[10:11], 1
	s_cmpk_lt_i32 s22, 0x500
	v_add_co_u32 v11, vcc_lo, v1, s10
	s_cselect_b32 s18, s42, 0x100
	v_add_co_ci_u32_e32 v12, vcc_lo, s11, v3, vcc_lo
	s_ashr_i32 s19, s18, 31
	v_mov_b32_e32 v34, 0
	s_lshl_b64 s[18:19], s[18:19], 1
	s_cmpk_lt_i32 s22, 0x600
	v_add_co_u32 v14, vcc_lo, v1, s18
	s_cselect_b32 s20, s42, 0x140
	v_add_co_ci_u32_e32 v15, vcc_lo, s19, v3, vcc_lo
	s_ashr_i32 s21, s20, 31
	v_mov_b32_e32 v31, 0
	s_lshl_b64 s[20:21], s[20:21], 1
	s_cmpk_lt_i32 s22, 0x700
	v_add_co_u32 v16, vcc_lo, v1, s20
	s_cselect_b32 s24, s42, 0x180
	v_add_co_ci_u32_e32 v17, vcc_lo, s21, v3, vcc_lo
	s_ashr_i32 s25, s24, 31
	s_delay_alu instid0(SALU_CYCLE_1)
	s_lshl_b64 s[24:25], s[24:25], 1
	s_cmpk_lt_i32 s22, 0x800
	v_add_co_u32 v18, vcc_lo, v1, s24
	s_cselect_b32 s26, s42, 0x1c0
	v_add_co_ci_u32_e32 v19, vcc_lo, s25, v3, vcc_lo
	s_ashr_i32 s27, s26, 31
	s_delay_alu instid0(SALU_CYCLE_1)
	s_lshl_b64 s[26:27], s[26:27], 1
	s_cmpk_lt_i32 s22, 0x900
	v_add_co_u32 v20, vcc_lo, v1, s26
	s_cselect_b32 s28, s42, 0x200
	v_add_co_ci_u32_e32 v21, vcc_lo, s27, v3, vcc_lo
	s_ashr_i32 s29, s28, 31
	s_clause 0x7
	global_load_u16 v13, v[4:5], off
	global_load_u16 v4, v[6:7], off
	;; [unrolled: 1-line block ×8, first 2 shown]
	s_lshl_b64 s[28:29], s[28:29], 1
	s_cmpk_lt_i32 s22, 0xa00
	v_add_co_u32 v11, vcc_lo, v1, s28
	s_cselect_b32 s30, s42, 0x240
	v_add_co_ci_u32_e32 v12, vcc_lo, s29, v3, vcc_lo
	s_ashr_i32 s31, s30, 31
	s_delay_alu instid0(SALU_CYCLE_1)
	s_lshl_b64 s[30:31], s[30:31], 1
	s_cmpk_lt_i32 s22, 0xb00
	v_add_co_u32 v14, vcc_lo, v1, s30
	s_cselect_b32 s34, s42, 0x280
	v_add_co_ci_u32_e32 v15, vcc_lo, s31, v3, vcc_lo
	s_ashr_i32 s35, s34, 31
	s_delay_alu instid0(SALU_CYCLE_1)
	;; [unrolled: 7-line block ×7, first 2 shown]
	s_lshl_b64 s[4:5], s[6:7], 1
	s_cmpk_gt_i32 s23, 0x1000
	v_add_co_u32 v28, vcc_lo, v1, s4
	v_add_co_ci_u32_e32 v29, vcc_lo, s5, v3, vcc_lo
	s_clause 0x7
	global_load_u16 v19, v[11:12], off
	global_load_u16 v18, v[14:15], off
	;; [unrolled: 1-line block ×8, first 2 shown]
	v_dual_mov_b32 v20, 0 :: v_dual_mov_b32 v23, 0
	v_dual_mov_b32 v21, 0 :: v_dual_mov_b32 v22, 0
	;; [unrolled: 1-line block ×5, first 2 shown]
	s_cselect_b32 s6, -1, 0
	s_cmpk_lt_i32 s23, 0x1001
	s_waitcnt vmcnt(0)
	s_barrier
	buffer_gl0_inv
	s_cbranch_scc1 .LBB464_11
; %bb.10:
	s_cmpk_lt_i32 s22, 0x1100
	s_cselect_b32 s4, s42, 0x400
	s_delay_alu instid0(SALU_CYCLE_1) | instskip(NEXT) | instid1(SALU_CYCLE_1)
	s_ashr_i32 s5, s4, 31
	s_lshl_b64 s[4:5], s[4:5], 1
	s_cmpk_lt_i32 s22, 0x1200
	v_add_co_u32 v20, vcc_lo, v1, s4
	s_cselect_b32 s8, s42, 0x440
	v_add_co_ci_u32_e32 v21, vcc_lo, s5, v3, vcc_lo
	s_ashr_i32 s9, s8, 31
	s_delay_alu instid0(SALU_CYCLE_1)
	s_lshl_b64 s[8:9], s[8:9], 1
	s_cmpk_lt_i32 s22, 0x1300
	v_add_co_u32 v22, vcc_lo, v1, s8
	s_cselect_b32 s10, s42, 0x480
	v_add_co_ci_u32_e32 v23, vcc_lo, s9, v3, vcc_lo
	s_ashr_i32 s11, s10, 31
	s_delay_alu instid0(SALU_CYCLE_1)
	;; [unrolled: 7-line block ×14, first 2 shown]
	s_lshl_b64 s[4:5], s[18:19], 1
	s_cmpk_lt_i32 s22, 0x2000
	v_add_co_u32 v48, vcc_lo, v1, s4
	s_cselect_b32 s8, s42, 0x7c0
	v_add_co_ci_u32_e32 v49, vcc_lo, s5, v3, vcc_lo
	s_ashr_i32 s9, s8, 31
	s_delay_alu instid0(SALU_CYCLE_1) | instskip(NEXT) | instid1(SALU_CYCLE_1)
	s_lshl_b64 s[4:5], s[8:9], 1
	v_add_co_u32 v50, vcc_lo, v1, s4
	v_add_co_ci_u32_e32 v51, vcc_lo, s5, v3, vcc_lo
	s_clause 0xf
	global_load_u16 v20, v[20:21], off
	global_load_u16 v21, v[22:23], off
	;; [unrolled: 1-line block ×16, first 2 shown]
	s_waitcnt vmcnt(15)
	v_lshlrev_b32_e32 v35, 16, v20
	s_waitcnt vmcnt(14)
	v_lshlrev_b32_e32 v34, 16, v21
	;; [unrolled: 2-line block ×16, first 2 shown]
.LBB464_11:
	ds_load_b128 v[36:39], v2
	ds_load_b128 v[40:43], v2 offset:16
	v_lshlrev_b32_e32 v44, 16, v4
	v_lshlrev_b32_e32 v13, 16, v13
	;; [unrolled: 1-line block ×5, first 2 shown]
	s_load_b64 s[0:1], s[0:1], 0x0
	s_and_b32 vcc_lo, exec_lo, s6
	v_lshlrev_b32_e32 v5, 16, v5
	s_waitcnt lgkmcnt(0)
	v_fma_f32 v4, v36, v13, 0
	s_delay_alu instid0(VALU_DEP_1) | instskip(NEXT) | instid1(VALU_DEP_1)
	v_dual_fmac_f32 v4, v37, v44 :: v_dual_lshlrev_b32 v13, 16, v7
	v_dual_fmac_f32 v4, v38, v10 :: v_dual_lshlrev_b32 v9, 16, v9
	s_delay_alu instid0(VALU_DEP_1) | instskip(SKIP_4) | instid1(VALU_DEP_1)
	v_fmac_f32_e32 v4, v39, v9
	ds_load_b128 v[36:39], v2 offset:48
	v_fmac_f32_e32 v4, v40, v8
	ds_load_b128 v[7:10], v2 offset:32
	v_fmac_f32_e32 v4, v41, v13
	v_fmac_f32_e32 v4, v42, v6
	v_lshlrev_b32_e32 v6, 16, v19
	s_delay_alu instid0(VALU_DEP_2) | instskip(SKIP_1) | instid1(VALU_DEP_1)
	v_dual_fmac_f32 v4, v43, v5 :: v_dual_lshlrev_b32 v5, 16, v18
	s_waitcnt lgkmcnt(0)
	v_fmac_f32_e32 v4, v7, v6
	v_lshlrev_b32_e32 v6, 16, v17
	s_delay_alu instid0(VALU_DEP_2) | instskip(NEXT) | instid1(VALU_DEP_1)
	v_dual_fmac_f32 v4, v8, v5 :: v_dual_lshlrev_b32 v5, 16, v16
	v_fmac_f32_e32 v4, v9, v6
	v_lshlrev_b32_e32 v6, 16, v15
	s_delay_alu instid0(VALU_DEP_2) | instskip(NEXT) | instid1(VALU_DEP_1)
	v_dual_fmac_f32 v4, v10, v5 :: v_dual_lshlrev_b32 v5, 16, v14
	v_fmac_f32_e32 v4, v36, v6
	v_lshlrev_b32_e32 v6, 16, v12
	s_delay_alu instid0(VALU_DEP_2) | instskip(NEXT) | instid1(VALU_DEP_1)
	v_dual_fmac_f32 v4, v37, v5 :: v_dual_lshlrev_b32 v5, 16, v11
	v_fmac_f32_e32 v4, v38, v6
	s_delay_alu instid0(VALU_DEP_1)
	v_fmac_f32_e32 v4, v39, v5
	s_cbranch_vccz .LBB464_13
; %bb.12:
	ds_load_b128 v[5:8], v2 offset:64
	ds_load_b128 v[9:12], v2 offset:80
	s_waitcnt lgkmcnt(1)
	v_fmac_f32_e32 v4, v5, v35
	s_delay_alu instid0(VALU_DEP_1) | instskip(NEXT) | instid1(VALU_DEP_1)
	v_fmac_f32_e32 v4, v6, v34
	v_fmac_f32_e32 v4, v7, v33
	s_delay_alu instid0(VALU_DEP_1) | instskip(SKIP_3) | instid1(VALU_DEP_1)
	v_fmac_f32_e32 v4, v8, v32
	ds_load_b128 v[5:8], v2 offset:96
	s_waitcnt lgkmcnt(1)
	v_fmac_f32_e32 v4, v9, v31
	v_fmac_f32_e32 v4, v10, v30
	s_delay_alu instid0(VALU_DEP_1) | instskip(NEXT) | instid1(VALU_DEP_1)
	v_fmac_f32_e32 v4, v11, v29
	v_fmac_f32_e32 v4, v12, v28
	ds_load_b128 v[9:12], v2 offset:112
	s_waitcnt lgkmcnt(1)
	v_fmac_f32_e32 v4, v5, v27
	s_delay_alu instid0(VALU_DEP_1) | instskip(NEXT) | instid1(VALU_DEP_1)
	v_fmac_f32_e32 v4, v6, v26
	v_fmac_f32_e32 v4, v7, v25
	s_delay_alu instid0(VALU_DEP_1) | instskip(SKIP_1) | instid1(VALU_DEP_1)
	v_fmac_f32_e32 v4, v8, v24
	s_waitcnt lgkmcnt(0)
	v_fmac_f32_e32 v4, v9, v23
	s_delay_alu instid0(VALU_DEP_1) | instskip(NEXT) | instid1(VALU_DEP_1)
	v_fmac_f32_e32 v4, v10, v22
	v_fmac_f32_e32 v4, v11, v21
	s_delay_alu instid0(VALU_DEP_1)
	v_fmac_f32_e32 v4, v12, v20
.LBB464_13:
	s_movk_i32 s43, 0xfc0
	s_movk_i32 s44, 0x80
	s_mov_b32 s45, 32
	s_branch .LBB464_15
.LBB464_14:                             ;   in Loop: Header=BB464_15 Depth=1
	s_addk_i32 s43, 0x800
	s_addk_i32 s44, 0x80
	s_add_i32 s45, s45, 32
	s_cmpk_eq_i32 s43, 0x3fc0
	s_cbranch_scc1 .LBB464_17
.LBB464_15:                             ; =>This Inner Loop Header: Depth=1
	s_cmp_le_i32 s40, s45
	s_cbranch_scc1 .LBB464_14
; %bb.16:                               ;   in Loop: Header=BB464_15 Depth=1
	s_add_i32 s4, s43, 0xfffff840
	v_mov_b32_e32 v44, s44
	s_cmp_lt_i32 s4, s41
	s_cselect_b32 s4, s4, s42
	s_add_i32 s6, s43, 0xfffff880
	s_ashr_i32 s5, s4, 31
	s_delay_alu instid0(SALU_CYCLE_1)
	s_lshl_b64 s[38:39], s[4:5], 1
	s_cmp_lt_i32 s6, s41
	v_add_co_u32 v5, vcc_lo, v1, s38
	s_cselect_b32 s4, s6, s42
	s_add_i32 s6, s43, 0xfffff8c0
	s_ashr_i32 s5, s4, 31
	v_add_co_ci_u32_e32 v6, vcc_lo, s39, v3, vcc_lo
	s_lshl_b64 s[4:5], s[4:5], 1
	s_cmp_lt_i32 s6, s41
	s_cselect_b32 s6, s6, s42
	s_add_i32 s8, s43, 0xfffff900
	s_ashr_i32 s7, s6, 31
	global_load_u16 v2, v[5:6], off
	s_lshl_b64 s[6:7], s[6:7], 1
	s_cmp_lt_i32 s8, s41
	v_add_co_u32 v5, vcc_lo, v1, s4
	s_cselect_b32 s8, s8, s42
	s_add_i32 s10, s43, 0xfffff940
	s_ashr_i32 s9, s8, 31
	v_add_co_ci_u32_e32 v6, vcc_lo, s5, v3, vcc_lo
	s_lshl_b64 s[8:9], s[8:9], 1
	s_cmp_lt_i32 s10, s41
	v_add_co_u32 v7, vcc_lo, v1, s6
	s_cselect_b32 s10, s10, s42
	s_add_i32 s18, s43, 0xfffff980
	s_ashr_i32 s11, s10, 31
	v_add_co_ci_u32_e32 v8, vcc_lo, s7, v3, vcc_lo
	s_lshl_b64 s[10:11], s[10:11], 1
	s_cmp_lt_i32 s18, s41
	v_add_co_u32 v9, vcc_lo, v1, s8
	s_cselect_b32 s18, s18, s42
	s_add_i32 s20, s43, 0xfffff9c0
	s_ashr_i32 s19, s18, 31
	s_clause 0x1
	global_load_u16 v23, v[5:6], off
	global_load_u16 v24, v[7:8], off
	s_lshl_b64 s[18:19], s[18:19], 1
	s_cmp_lt_i32 s20, s41
	v_add_co_ci_u32_e32 v10, vcc_lo, s9, v3, vcc_lo
	s_cselect_b32 s20, s20, s42
	s_add_i32 s22, s43, 0xfffffa00
	s_ashr_i32 s21, s20, 31
	global_load_u16 v25, v[9:10], off
	s_lshl_b64 s[20:21], s[20:21], 1
	s_cmp_lt_i32 s22, s41
	v_add_co_u32 v11, vcc_lo, v1, s10
	s_cselect_b32 s22, s22, s42
	s_add_i32 s24, s43, 0xfffffa40
	s_ashr_i32 s23, s22, 31
	v_add_co_ci_u32_e32 v12, vcc_lo, s11, v3, vcc_lo
	s_lshl_b64 s[22:23], s[22:23], 1
	s_cmp_lt_i32 s24, s41
	v_add_co_u32 v13, vcc_lo, v1, s18
	global_load_u16 v26, v[11:12], off
	s_cselect_b32 s24, s24, s42
	s_add_i32 s26, s43, 0xfffffa80
	s_ashr_i32 s25, s24, 31
	v_add_co_ci_u32_e32 v14, vcc_lo, s19, v3, vcc_lo
	s_lshl_b64 s[24:25], s[24:25], 1
	s_cmp_lt_i32 s26, s41
	v_add_co_u32 v15, vcc_lo, v1, s20
	global_load_u16 v27, v[13:14], off
	s_cselect_b32 s26, s26, s42
	s_add_i32 s28, s43, 0xfffffac0
	s_ashr_i32 s27, s26, 31
	v_add_co_ci_u32_e32 v16, vcc_lo, s21, v3, vcc_lo
	s_lshl_b64 s[36:37], s[26:27], 1
	s_cmp_lt_i32 s28, s41
	v_add_co_u32 v17, vcc_lo, v1, s22
	s_cselect_b32 s26, s28, s42
	s_add_i32 s30, s43, 0xfffffb00
	s_ashr_i32 s27, s26, 31
	v_add_co_ci_u32_e32 v18, vcc_lo, s23, v3, vcc_lo
	s_lshl_b64 s[28:29], s[26:27], 1
	s_cmp_lt_i32 s30, s41
	v_add_co_u32 v19, vcc_lo, v1, s24
	global_load_u16 v17, v[17:18], off
	s_cselect_b32 s26, s30, s42
	s_add_i32 s30, s43, 0xfffffb40
	s_ashr_i32 s27, s26, 31
	v_add_co_ci_u32_e32 v20, vcc_lo, s25, v3, vcc_lo
	s_lshl_b64 s[26:27], s[26:27], 1
	s_cmp_lt_i32 s30, s41
	v_add_co_u32 v21, vcc_lo, v1, s36
	s_cselect_b32 s30, s30, s42
	s_add_i32 s46, s43, 0xfffffb80
	s_ashr_i32 s31, s30, 31
	v_add_co_ci_u32_e32 v22, vcc_lo, s37, v3, vcc_lo
	s_lshl_b64 s[34:35], s[30:31], 1
	s_cmp_lt_i32 s46, s41
	v_add_co_u32 v5, vcc_lo, v1, s28
	;; [unrolled: 7-line block ×3, first 2 shown]
	s_cselect_b32 s46, s46, s42
	s_add_i32 s48, s43, 0xfffffc00
	s_ashr_i32 s47, s46, 31
	global_load_u16 v28, v[15:16], off
	s_lshl_b64 s[38:39], s[46:47], 1
	s_cmp_lt_i32 s48, s41
	v_add_co_ci_u32_e32 v8, vcc_lo, s27, v3, vcc_lo
	s_cselect_b32 s46, s48, s42
	v_add_co_u32 v9, vcc_lo, v1, s34
	s_ashr_i32 s47, s46, 31
	s_add_i32 s4, s43, 0xfffffc40
	s_lshl_b64 s[46:47], s[46:47], 1
	v_add_co_ci_u32_e32 v10, vcc_lo, s35, v3, vcc_lo
	s_cmp_lt_i32 s4, s41
	v_add_co_u32 v11, vcc_lo, v1, s30
	s_cselect_b32 s4, s4, s42
	v_add_co_ci_u32_e32 v12, vcc_lo, s31, v3, vcc_lo
	v_add_co_u32 v13, vcc_lo, v1, s38
	s_ashr_i32 s5, s4, 31
	s_add_i32 s6, s43, 0xfffffc80
	v_add_co_ci_u32_e32 v14, vcc_lo, s39, v3, vcc_lo
	global_load_u16 v18, v[19:20], off
	s_lshl_b64 s[8:9], s[4:5], 1
	s_cmp_lt_i32 s6, s41
	global_load_u16 v30, v[13:14], off
	s_cselect_b32 s4, s6, s42
	global_load_u16 v19, v[21:22], off
	s_ashr_i32 s5, s4, 31
	s_add_i32 s6, s43, 0xfffffcc0
	s_lshl_b64 s[10:11], s[4:5], 1
	s_cmp_lt_i32 s6, s41
	s_clause 0x3
	global_load_u16 v20, v[5:6], off
	global_load_u16 v21, v[7:8], off
	;; [unrolled: 1-line block ×4, first 2 shown]
	s_cselect_b32 s4, s6, s42
	s_add_i32 s6, s43, 0xfffffd00
	s_ashr_i32 s5, s4, 31
	v_add_co_u32 v15, vcc_lo, v1, s46
	s_lshl_b64 s[4:5], s[4:5], 1
	s_cmp_lt_i32 s6, s41
	v_add_co_ci_u32_e32 v16, vcc_lo, s47, v3, vcc_lo
	s_cselect_b32 s6, s6, s42
	s_add_i32 s18, s43, 0xfffffd40
	s_ashr_i32 s7, s6, 31
	v_add_co_u32 v5, vcc_lo, v1, s8
	s_lshl_b64 s[6:7], s[6:7], 1
	s_cmp_lt_i32 s18, s41
	v_add_co_ci_u32_e32 v6, vcc_lo, s9, v3, vcc_lo
	s_cselect_b32 s18, s18, s42
	v_add_co_u32 v7, vcc_lo, v1, s10
	s_ashr_i32 s19, s18, 31
	s_add_i32 s20, s43, 0xfffffd80
	s_lshl_b64 s[18:19], s[18:19], 1
	v_add_co_ci_u32_e32 v8, vcc_lo, s11, v3, vcc_lo
	s_cmp_lt_i32 s20, s41
	v_add_co_u32 v9, vcc_lo, v1, s4
	s_cselect_b32 s20, s20, s42
	v_add_co_ci_u32_e32 v10, vcc_lo, s5, v3, vcc_lo
	v_add_co_u32 v11, vcc_lo, v1, s6
	s_ashr_i32 s21, s20, 31
	s_add_i32 s22, s43, 0xfffffdc0
	v_add_co_ci_u32_e32 v12, vcc_lo, s7, v3, vcc_lo
	global_load_u16 v15, v[15:16], off
	s_lshl_b64 s[20:21], s[20:21], 1
	s_cmp_lt_i32 s22, s41
	global_load_u16 v33, v[11:12], off
	s_cselect_b32 s22, s22, s42
	s_clause 0x2
	global_load_u16 v16, v[5:6], off
	global_load_u16 v31, v[7:8], off
	;; [unrolled: 1-line block ×3, first 2 shown]
	s_ashr_i32 s23, s22, 31
	s_add_i32 s24, s43, 0xfffffe00
	s_lshl_b64 s[22:23], s[22:23], 1
	s_cmp_lt_i32 s24, s41
	v_add_co_u32 v13, vcc_lo, v1, s18
	s_cselect_b32 s24, s24, s42
	s_add_i32 s26, s43, 0xfffffe40
	s_ashr_i32 s25, s24, 31
	v_add_co_ci_u32_e32 v14, vcc_lo, s19, v3, vcc_lo
	s_lshl_b64 s[24:25], s[24:25], 1
	s_cmp_lt_i32 s26, s41
	v_add_co_u32 v5, vcc_lo, v1, s20
	s_cselect_b32 s8, s26, s42
	v_add_co_ci_u32_e32 v6, vcc_lo, s21, v3, vcc_lo
	s_ashr_i32 s9, s8, 31
	v_add_co_u32 v7, vcc_lo, v1, s22
	s_add_i32 s10, s43, 0xfffffe80
	s_lshl_b64 s[8:9], s[8:9], 1
	v_add_co_ci_u32_e32 v8, vcc_lo, s23, v3, vcc_lo
	s_cmp_lt_i32 s10, s41
	v_add_co_u32 v9, vcc_lo, v1, s24
	s_cselect_b32 s4, s10, s42
	global_load_u16 v13, v[13:14], off
	v_add_co_ci_u32_e32 v10, vcc_lo, s25, v3, vcc_lo
	s_ashr_i32 s5, s4, 31
	s_add_i32 s6, s43, 0xfffffec0
	s_lshl_b64 s[4:5], s[4:5], 1
	global_load_u16 v35, v[9:10], off
	s_cmp_lt_i32 s6, s41
	s_clause 0x1
	global_load_u16 v14, v[5:6], off
	global_load_u16 v34, v[7:8], off
	s_cselect_b32 s6, s6, s42
	s_add_i32 s10, s43, 0xffffff00
	s_ashr_i32 s7, s6, 31
	v_add_co_u32 v5, vcc_lo, v1, s8
	s_lshl_b64 s[6:7], s[6:7], 1
	s_cmp_lt_i32 s10, s41
	v_add_co_ci_u32_e32 v6, vcc_lo, s9, v3, vcc_lo
	s_cselect_b32 s10, s10, s42
	v_add_co_u32 v7, vcc_lo, v1, s4
	s_ashr_i32 s11, s10, 31
	v_add_co_ci_u32_e32 v8, vcc_lo, s5, v3, vcc_lo
	s_add_i32 s18, s43, 0xffffff40
	s_lshl_b64 s[10:11], s[10:11], 1
	s_cmp_lt_i32 s18, s41
	s_clause 0x1
	global_load_u16 v36, v[5:6], off
	global_load_u16 v37, v[7:8], off
	s_cselect_b32 s18, s18, s42
	v_add_co_u32 v5, vcc_lo, v1, s6
	s_ashr_i32 s19, s18, 31
	v_add_co_ci_u32_e32 v6, vcc_lo, s7, v3, vcc_lo
	s_add_i32 s20, s43, 0xffffff80
	v_add_co_u32 v7, vcc_lo, v1, s10
	s_lshl_b64 s[8:9], s[18:19], 1
	s_cmp_lt_i32 s20, s41
	v_add_co_ci_u32_e32 v8, vcc_lo, s11, v3, vcc_lo
	s_cselect_b32 s4, s20, s42
	global_load_u16 v38, v[5:6], off
	s_ashr_i32 s5, s4, 31
	global_load_u16 v39, v[7:8], off
	s_sub_i32 s18, s43, 64
	v_add_co_u32 v5, vcc_lo, v1, s8
	s_lshl_b64 s[4:5], s[4:5], 1
	s_cmp_lt_i32 s18, s41
	v_add_co_ci_u32_e32 v6, vcc_lo, s9, v3, vcc_lo
	v_add_co_u32 v7, vcc_lo, v1, s4
	s_cselect_b32 s6, s18, s42
	v_add_co_ci_u32_e32 v8, vcc_lo, s5, v3, vcc_lo
	s_ashr_i32 s7, s6, 31
	global_load_u16 v40, v[5:6], off
	s_lshl_b64 s[6:7], s[6:7], 1
	global_load_u16 v41, v[7:8], off
	s_cmp_lt_i32 s43, s41
	v_add_co_u32 v5, vcc_lo, v1, s6
	s_cselect_b32 s4, s43, s42
	v_add_co_ci_u32_e32 v6, vcc_lo, s7, v3, vcc_lo
	s_ashr_i32 s5, s4, 31
	s_delay_alu instid0(SALU_CYCLE_1)
	s_lshl_b64 s[4:5], s[4:5], 1
	global_load_u16 v42, v[5:6], off
	v_add_co_u32 v5, vcc_lo, v1, s4
	v_add_co_ci_u32_e32 v6, vcc_lo, s5, v3, vcc_lo
	global_load_u16 v43, v[5:6], off
	ds_load_b128 v[5:8], v44
	ds_load_b128 v[9:12], v44 offset:16
	s_waitcnt vmcnt(31)
	v_lshlrev_b32_e32 v2, 16, v2
	s_waitcnt lgkmcnt(1)
	s_delay_alu instid0(VALU_DEP_1) | instskip(SKIP_2) | instid1(VALU_DEP_1)
	v_fmac_f32_e32 v4, v5, v2
	s_waitcnt vmcnt(30)
	v_lshlrev_b32_e32 v2, 16, v23
	v_fmac_f32_e32 v4, v6, v2
	s_waitcnt vmcnt(29)
	v_lshlrev_b32_e32 v2, 16, v24
	s_delay_alu instid0(VALU_DEP_1) | instskip(SKIP_2) | instid1(VALU_DEP_1)
	v_fmac_f32_e32 v4, v7, v2
	s_waitcnt vmcnt(28)
	v_lshlrev_b32_e32 v2, 16, v25
	v_fmac_f32_e32 v4, v8, v2
	ds_load_b128 v[5:8], v44 offset:32
	s_waitcnt vmcnt(27)
	v_lshlrev_b32_e32 v2, 16, v26
	s_waitcnt lgkmcnt(1)
	s_delay_alu instid0(VALU_DEP_1) | instskip(SKIP_2) | instid1(VALU_DEP_1)
	v_fmac_f32_e32 v4, v9, v2
	s_waitcnt vmcnt(26)
	v_lshlrev_b32_e32 v2, 16, v27
	v_fmac_f32_e32 v4, v10, v2
	s_waitcnt vmcnt(24)
	v_lshlrev_b32_e32 v2, 16, v28
	s_delay_alu instid0(VALU_DEP_1) | instskip(SKIP_1) | instid1(VALU_DEP_1)
	v_fmac_f32_e32 v4, v11, v2
	v_lshlrev_b32_e32 v2, 16, v17
	v_fmac_f32_e32 v4, v12, v2
	ds_load_b128 v[9:12], v44 offset:48
	s_waitcnt vmcnt(23)
	v_lshlrev_b32_e32 v2, 16, v18
	s_waitcnt lgkmcnt(1)
	s_delay_alu instid0(VALU_DEP_1) | instskip(SKIP_2) | instid1(VALU_DEP_1)
	v_fmac_f32_e32 v4, v5, v2
	s_waitcnt vmcnt(21)
	v_lshlrev_b32_e32 v2, 16, v19
	v_fmac_f32_e32 v4, v6, v2
	s_waitcnt vmcnt(20)
	v_lshlrev_b32_e32 v2, 16, v20
	s_delay_alu instid0(VALU_DEP_1) | instskip(SKIP_2) | instid1(VALU_DEP_1)
	v_fmac_f32_e32 v4, v7, v2
	s_waitcnt vmcnt(19)
	v_lshlrev_b32_e32 v2, 16, v21
	v_fmac_f32_e32 v4, v8, v2
	s_waitcnt vmcnt(18)
	v_lshlrev_b32_e32 v2, 16, v22
	ds_load_b128 v[5:8], v44 offset:64
	s_waitcnt lgkmcnt(1)
	v_fmac_f32_e32 v4, v9, v2
	s_waitcnt vmcnt(17)
	v_lshlrev_b32_e32 v2, 16, v29
	s_delay_alu instid0(VALU_DEP_1) | instskip(SKIP_1) | instid1(VALU_DEP_1)
	v_fmac_f32_e32 v4, v10, v2
	v_lshlrev_b32_e32 v2, 16, v30
	v_fmac_f32_e32 v4, v11, v2
	s_waitcnt vmcnt(16)
	v_lshlrev_b32_e32 v2, 16, v15
	s_delay_alu instid0(VALU_DEP_1) | instskip(SKIP_4) | instid1(VALU_DEP_1)
	v_fmac_f32_e32 v4, v12, v2
	ds_load_b128 v[9:12], v44 offset:80
	s_waitcnt vmcnt(14)
	v_lshlrev_b32_e32 v2, 16, v16
	s_waitcnt lgkmcnt(1)
	v_fmac_f32_e32 v4, v5, v2
	s_waitcnt vmcnt(13)
	v_lshlrev_b32_e32 v2, 16, v31
	s_delay_alu instid0(VALU_DEP_1) | instskip(SKIP_2) | instid1(VALU_DEP_1)
	v_fmac_f32_e32 v4, v6, v2
	s_waitcnt vmcnt(12)
	v_lshlrev_b32_e32 v2, 16, v32
	v_fmac_f32_e32 v4, v7, v2
	v_lshlrev_b32_e32 v2, 16, v33
	s_delay_alu instid0(VALU_DEP_1) | instskip(SKIP_4) | instid1(VALU_DEP_1)
	v_fmac_f32_e32 v4, v8, v2
	ds_load_b128 v[5:8], v44 offset:96
	s_waitcnt vmcnt(11)
	v_lshlrev_b32_e32 v2, 16, v13
	s_waitcnt lgkmcnt(1)
	v_fmac_f32_e32 v4, v9, v2
	s_waitcnt vmcnt(9)
	v_lshlrev_b32_e32 v2, 16, v14
	s_delay_alu instid0(VALU_DEP_1) | instskip(SKIP_2) | instid1(VALU_DEP_1)
	v_fmac_f32_e32 v4, v10, v2
	s_waitcnt vmcnt(8)
	v_lshlrev_b32_e32 v2, 16, v34
	v_fmac_f32_e32 v4, v11, v2
	v_lshlrev_b32_e32 v2, 16, v35
	s_delay_alu instid0(VALU_DEP_1) | instskip(SKIP_4) | instid1(VALU_DEP_1)
	v_fmac_f32_e32 v4, v12, v2
	ds_load_b128 v[9:12], v44 offset:112
	s_waitcnt vmcnt(7)
	v_lshlrev_b32_e32 v2, 16, v36
	s_waitcnt lgkmcnt(1)
	v_fmac_f32_e32 v4, v5, v2
	s_waitcnt vmcnt(6)
	v_lshlrev_b32_e32 v2, 16, v37
	s_delay_alu instid0(VALU_DEP_1) | instskip(SKIP_2) | instid1(VALU_DEP_1)
	v_fmac_f32_e32 v4, v6, v2
	s_waitcnt vmcnt(5)
	v_lshlrev_b32_e32 v2, 16, v38
	v_fmac_f32_e32 v4, v7, v2
	s_waitcnt vmcnt(4)
	v_lshlrev_b32_e32 v2, 16, v39
	s_delay_alu instid0(VALU_DEP_1) | instskip(SKIP_3) | instid1(VALU_DEP_1)
	v_fmac_f32_e32 v4, v8, v2
	s_waitcnt vmcnt(3)
	v_lshlrev_b32_e32 v2, 16, v40
	s_waitcnt lgkmcnt(0)
	v_fmac_f32_e32 v4, v9, v2
	s_waitcnt vmcnt(2)
	v_lshlrev_b32_e32 v2, 16, v41
	s_delay_alu instid0(VALU_DEP_1) | instskip(SKIP_2) | instid1(VALU_DEP_1)
	v_fmac_f32_e32 v4, v10, v2
	s_waitcnt vmcnt(1)
	v_lshlrev_b32_e32 v2, 16, v42
	v_fmac_f32_e32 v4, v11, v2
	s_waitcnt vmcnt(0)
	v_lshlrev_b32_e32 v2, 16, v43
	s_delay_alu instid0(VALU_DEP_1)
	v_fmac_f32_e32 v4, v12, v2
	s_branch .LBB464_14
.LBB464_17:
	v_mov_b32_e32 v1, 0
	s_and_b32 vcc_lo, exec_lo, s15
	ds_load_b32 v1, v1 offset:896
	s_cbranch_vccz .LBB464_19
; %bb.18:
	s_add_u32 s2, s12, s16
	s_addc_u32 s3, s13, s17
	s_load_b32 s2, s[2:3], 0x0
	s_mov_b32 s3, 0
.LBB464_19:
	s_waitcnt lgkmcnt(0)
	v_add_f32_e32 v1, 0x358637bd, v1
	s_delay_alu instid0(VALU_DEP_1) | instskip(NEXT) | instid1(VALU_DEP_1)
	v_div_scale_f32 v2, null, v1, v1, 1.0
	v_rcp_f32_e32 v3, v2
	s_waitcnt_depctr 0xfff
	v_fma_f32 v5, -v2, v3, 1.0
	s_delay_alu instid0(VALU_DEP_1) | instskip(SKIP_1) | instid1(VALU_DEP_1)
	v_fmac_f32_e32 v3, v5, v3
	v_div_scale_f32 v5, vcc_lo, 1.0, v1, 1.0
	v_mul_f32_e32 v6, v5, v3
	s_delay_alu instid0(VALU_DEP_1) | instskip(NEXT) | instid1(VALU_DEP_1)
	v_fma_f32 v7, -v2, v6, v5
	v_fmac_f32_e32 v6, v7, v3
	s_delay_alu instid0(VALU_DEP_1) | instskip(NEXT) | instid1(VALU_DEP_1)
	v_fma_f32 v2, -v2, v6, v5
	v_div_fmas_f32 v2, v2, v3, v6
	s_delay_alu instid0(VALU_DEP_1) | instskip(NEXT) | instid1(VALU_DEP_1)
	v_div_fixup_f32 v1, v2, v1, 1.0
	v_mul_f32_e32 v2, v4, v1
	s_delay_alu instid0(VALU_DEP_1) | instskip(NEXT) | instid1(VALU_DEP_1)
	v_and_b32_e32 v1, 0x7f800000, v2
	v_cmp_ne_u32_e32 vcc_lo, 0x7f800000, v1
                                        ; implicit-def: $vgpr1
	s_and_saveexec_b32 s4, vcc_lo
	s_delay_alu instid0(SALU_CYCLE_1)
	s_xor_b32 s4, exec_lo, s4
; %bb.20:
	v_bfe_u32 v1, v2, 16, 1
	s_delay_alu instid0(VALU_DEP_1)
	v_add3_u32 v1, v2, v1, 0x7fff
                                        ; implicit-def: $vgpr2
; %bb.21:
	s_and_not1_saveexec_b32 s4, s4
; %bb.22:
	v_and_b32_e32 v1, 0xffff, v2
	v_or_b32_e32 v3, 0x10000, v2
	s_delay_alu instid0(VALU_DEP_2) | instskip(NEXT) | instid1(VALU_DEP_2)
	v_cmp_eq_u32_e32 vcc_lo, 0, v1
	v_cndmask_b32_e32 v1, v3, v2, vcc_lo
; %bb.23:
	s_or_b32 exec_lo, exec_lo, s4
	s_mul_i32 s3, s33, s3
	s_mul_hi_u32 s4, s33, s2
	s_mul_i32 s2, s33, s2
	s_add_i32 s3, s4, s3
	s_mov_b32 s15, 0
	s_lshl_b64 s[2:3], s[2:3], 7
	s_delay_alu instid0(SALU_CYCLE_1) | instskip(SKIP_2) | instid1(SALU_CYCLE_1)
	s_add_u32 s2, s0, s2
	s_addc_u32 s3, s1, s3
	s_lshl_b64 s[0:1], s[14:15], 7
	s_add_u32 s0, s2, s0
	s_addc_u32 s1, s3, s1
	global_store_d16_hi_b16 v0, v1, s[0:1]
	s_nop 0
	s_sendmsg sendmsg(MSG_DEALLOC_VGPRS)
	s_endpgm
.LBB464_24:
	s_mov_b32 s4, 0
	s_branch .LBB464_2
	.section	.rodata,"a",@progbits
	.p2align	6, 0x0
	.amdhsa_kernel _Z35paged_attention_ll4mi_reduce_kernelI14__hip_bfloat16S0_Li64ELi64ELi256ELi7EEvPT0_PKfS4_PKT_PKiS9_iS4_
		.amdhsa_group_segment_fixed_size 900
		.amdhsa_private_segment_fixed_size 0
		.amdhsa_kernarg_size 320
		.amdhsa_user_sgpr_count 14
		.amdhsa_user_sgpr_dispatch_ptr 0
		.amdhsa_user_sgpr_queue_ptr 0
		.amdhsa_user_sgpr_kernarg_segment_ptr 1
		.amdhsa_user_sgpr_dispatch_id 0
		.amdhsa_user_sgpr_private_segment_size 0
		.amdhsa_wavefront_size32 1
		.amdhsa_uses_dynamic_stack 0
		.amdhsa_enable_private_segment 0
		.amdhsa_system_sgpr_workgroup_id_x 1
		.amdhsa_system_sgpr_workgroup_id_y 1
		.amdhsa_system_sgpr_workgroup_id_z 0
		.amdhsa_system_sgpr_workgroup_info 0
		.amdhsa_system_vgpr_workitem_id 0
		.amdhsa_next_free_vgpr 52
		.amdhsa_next_free_sgpr 49
		.amdhsa_reserve_vcc 1
		.amdhsa_float_round_mode_32 0
		.amdhsa_float_round_mode_16_64 0
		.amdhsa_float_denorm_mode_32 3
		.amdhsa_float_denorm_mode_16_64 3
		.amdhsa_dx10_clamp 1
		.amdhsa_ieee_mode 1
		.amdhsa_fp16_overflow 0
		.amdhsa_workgroup_processor_mode 1
		.amdhsa_memory_ordered 1
		.amdhsa_forward_progress 0
		.amdhsa_shared_vgpr_count 0
		.amdhsa_exception_fp_ieee_invalid_op 0
		.amdhsa_exception_fp_denorm_src 0
		.amdhsa_exception_fp_ieee_div_zero 0
		.amdhsa_exception_fp_ieee_overflow 0
		.amdhsa_exception_fp_ieee_underflow 0
		.amdhsa_exception_fp_ieee_inexact 0
		.amdhsa_exception_int_div_zero 0
	.end_amdhsa_kernel
	.section	.text._Z35paged_attention_ll4mi_reduce_kernelI14__hip_bfloat16S0_Li64ELi64ELi256ELi7EEvPT0_PKfS4_PKT_PKiS9_iS4_,"axG",@progbits,_Z35paged_attention_ll4mi_reduce_kernelI14__hip_bfloat16S0_Li64ELi64ELi256ELi7EEvPT0_PKfS4_PKT_PKiS9_iS4_,comdat
.Lfunc_end464:
	.size	_Z35paged_attention_ll4mi_reduce_kernelI14__hip_bfloat16S0_Li64ELi64ELi256ELi7EEvPT0_PKfS4_PKT_PKiS9_iS4_, .Lfunc_end464-_Z35paged_attention_ll4mi_reduce_kernelI14__hip_bfloat16S0_Li64ELi64ELi256ELi7EEvPT0_PKfS4_PKT_PKiS9_iS4_
                                        ; -- End function
	.section	.AMDGPU.csdata,"",@progbits
; Kernel info:
; codeLenInByte = 6448
; NumSgprs: 51
; NumVgprs: 52
; ScratchSize: 0
; MemoryBound: 0
; FloatMode: 240
; IeeeMode: 1
; LDSByteSize: 900 bytes/workgroup (compile time only)
; SGPRBlocks: 6
; VGPRBlocks: 6
; NumSGPRsForWavesPerEU: 51
; NumVGPRsForWavesPerEU: 52
; Occupancy: 16
; WaveLimiterHint : 0
; COMPUTE_PGM_RSRC2:SCRATCH_EN: 0
; COMPUTE_PGM_RSRC2:USER_SGPR: 14
; COMPUTE_PGM_RSRC2:TRAP_HANDLER: 0
; COMPUTE_PGM_RSRC2:TGID_X_EN: 1
; COMPUTE_PGM_RSRC2:TGID_Y_EN: 1
; COMPUTE_PGM_RSRC2:TGID_Z_EN: 0
; COMPUTE_PGM_RSRC2:TIDIG_COMP_CNT: 0
	.section	.text._Z35paged_attention_ll4mi_reduce_kernelI14__hip_bfloat16S0_Li64ELi64ELi256ELi8EEvPT0_PKfS4_PKT_PKiS9_iS4_,"axG",@progbits,_Z35paged_attention_ll4mi_reduce_kernelI14__hip_bfloat16S0_Li64ELi64ELi256ELi8EEvPT0_PKfS4_PKT_PKiS9_iS4_,comdat
	.protected	_Z35paged_attention_ll4mi_reduce_kernelI14__hip_bfloat16S0_Li64ELi64ELi256ELi8EEvPT0_PKfS4_PKT_PKiS9_iS4_ ; -- Begin function _Z35paged_attention_ll4mi_reduce_kernelI14__hip_bfloat16S0_Li64ELi64ELi256ELi8EEvPT0_PKfS4_PKT_PKiS9_iS4_
	.globl	_Z35paged_attention_ll4mi_reduce_kernelI14__hip_bfloat16S0_Li64ELi64ELi256ELi8EEvPT0_PKfS4_PKT_PKiS9_iS4_
	.p2align	8
	.type	_Z35paged_attention_ll4mi_reduce_kernelI14__hip_bfloat16S0_Li64ELi64ELi256ELi8EEvPT0_PKfS4_PKT_PKiS9_iS4_,@function
_Z35paged_attention_ll4mi_reduce_kernelI14__hip_bfloat16S0_Li64ELi64ELi256ELi8EEvPT0_PKfS4_PKT_PKiS9_iS4_: ; @_Z35paged_attention_ll4mi_reduce_kernelI14__hip_bfloat16S0_Li64ELi64ELi256ELi8EEvPT0_PKfS4_PKT_PKiS9_iS4_
; %bb.0:
	s_load_b64 s[12:13], s[0:1], 0x28
	s_mov_b32 s2, s15
	s_waitcnt lgkmcnt(0)
	s_cmp_lg_u64 s[12:13], 0
	s_cselect_b32 s15, -1, 0
	s_delay_alu instid0(SALU_CYCLE_1)
	s_and_b32 vcc_lo, exec_lo, s15
	s_cbranch_vccz .LBB465_24
; %bb.1:
	s_add_i32 s4, s2, 1
	s_mov_b32 s5, 0
	s_delay_alu instid0(SALU_CYCLE_1) | instskip(SKIP_4) | instid1(SALU_CYCLE_1)
	s_lshl_b64 s[6:7], s[4:5], 2
	s_mov_b32 s3, s5
	s_add_u32 s6, s12, s6
	s_addc_u32 s7, s13, s7
	s_lshl_b64 s[8:9], s[2:3], 2
	s_add_u32 s8, s12, s8
	s_addc_u32 s9, s13, s9
	s_clause 0x1
	s_load_b32 s4, s[6:7], 0x0
	s_load_b32 s6, s[8:9], 0x0
	s_waitcnt lgkmcnt(0)
	s_sub_i32 s4, s4, s6
	s_delay_alu instid0(SALU_CYCLE_1)
	s_cmp_eq_u32 s4, 1
	s_cselect_b32 s4, -1, 0
	s_cbranch_execnz .LBB465_3
.LBB465_2:
	s_mov_b32 s3, 0
	s_mov_b32 s4, -1
.LBB465_3:
	s_delay_alu instid0(SALU_CYCLE_1)
	s_and_not1_b32 vcc_lo, exec_lo, s4
	s_cbranch_vccz .LBB465_5
; %bb.4:
	s_endpgm
.LBB465_5:
	s_clause 0x1
	s_load_b128 s[4:7], s[0:1], 0x18
	s_load_b32 s9, s[0:1], 0x30
	s_lshl_b64 s[16:17], s[2:3], 2
	s_waitcnt lgkmcnt(0)
	s_add_u32 s6, s6, s16
	s_addc_u32 s7, s7, s17
	s_load_b32 s23, s[6:7], 0x0
	s_load_b32 s33, s[0:1], 0x40
	s_mul_i32 s7, s2, s9
	s_waitcnt lgkmcnt(0)
	s_add_i32 s22, s23, 0xff
	s_delay_alu instid0(SALU_CYCLE_1) | instskip(NEXT) | instid1(SALU_CYCLE_1)
	s_ashr_i32 s6, s22, 31
	s_lshr_b32 s6, s6, 24
	s_delay_alu instid0(SALU_CYCLE_1) | instskip(SKIP_4) | instid1(SALU_CYCLE_1)
	s_add_i32 s8, s22, s6
	s_mul_i32 s6, s14, s9
	s_mov_b32 s9, exec_lo
	v_cmpx_lt_u32_e32 31, v0
	s_xor_b32 s9, exec_lo, s9
	s_or_saveexec_b32 s24, s9
	v_mov_b32_e32 v1, s6
	s_ashr_i32 s40, s8, 8
	s_mul_i32 s18, s7, s33
	s_xor_b32 exec_lo, exec_lo, s24
	s_cbranch_execz .LBB465_9
; %bb.6:
	v_or_b32_e32 v2, 32, v0
	v_cmp_gt_i32_e32 vcc_lo, s40, v0
	s_add_i32 s20, s40, -1
	v_or_b32_e32 v4, 64, v0
	v_or_b32_e32 v6, 0x60, v0
	s_load_b128 s[8:11], s[0:1], 0x8
	v_cndmask_b32_e32 v1, s20, v0, vcc_lo
	v_cmp_gt_i32_e32 vcc_lo, s40, v2
	s_mov_b32 s19, 0
	s_delay_alu instid0(SALU_CYCLE_1)
	s_mov_b32 s7, s19
	v_cndmask_b32_e32 v3, s20, v2, vcc_lo
	v_cmp_gt_i32_e32 vcc_lo, s40, v4
	v_or_b32_e32 v2, 0x80, v0
	v_cndmask_b32_e32 v5, s20, v4, vcc_lo
	v_cmp_gt_i32_e32 vcc_lo, s40, v6
	v_or_b32_e32 v4, 0xa0, v0
	;; [unrolled: 3-line block ×3, first 2 shown]
	s_delay_alu instid0(VALU_DEP_3) | instskip(SKIP_3) | instid1(VALU_DEP_4)
	v_ashrrev_i32_e32 v8, 31, v7
	v_cndmask_b32_e32 v9, s20, v2, vcc_lo
	v_cmp_gt_i32_e32 vcc_lo, s40, v4
	v_or_b32_e32 v2, 0xe0, v0
	v_lshlrev_b64 v[7:8], 2, v[7:8]
	s_delay_alu instid0(VALU_DEP_4) | instskip(SKIP_3) | instid1(VALU_DEP_4)
	v_ashrrev_i32_e32 v10, 31, v9
	v_cndmask_b32_e32 v11, s20, v4, vcc_lo
	v_cmp_gt_i32_e32 vcc_lo, s40, v6
	v_ashrrev_i32_e32 v4, 31, v3
	v_lshlrev_b64 v[9:10], 2, v[9:10]
	s_delay_alu instid0(VALU_DEP_4)
	v_ashrrev_i32_e32 v12, 31, v11
	v_cndmask_b32_e32 v13, s20, v6, vcc_lo
	v_cmp_gt_i32_e32 vcc_lo, s40, v2
	v_ashrrev_i32_e32 v6, 31, v5
	v_lshlrev_b64 v[3:4], 2, v[3:4]
	v_lshlrev_b64 v[11:12], 2, v[11:12]
	v_ashrrev_i32_e32 v14, 31, v13
	v_cndmask_b32_e32 v15, s20, v2, vcc_lo
	v_ashrrev_i32_e32 v2, 31, v1
	s_lshl_b64 s[20:21], s[18:19], 2
	v_lshlrev_b64 v[5:6], 2, v[5:6]
	s_waitcnt lgkmcnt(0)
	s_add_u32 s19, s10, s20
	s_addc_u32 s25, s11, s21
	v_lshlrev_b64 v[1:2], 2, v[1:2]
	s_lshl_b64 s[10:11], s[6:7], 2
	v_lshlrev_b64 v[13:14], 2, v[13:14]
	s_add_u32 s7, s19, s10
	s_addc_u32 s19, s25, s11
	s_delay_alu instid0(VALU_DEP_2)
	v_add_co_u32 v16, vcc_lo, s7, v1
	v_add_co_ci_u32_e32 v17, vcc_lo, s19, v2, vcc_lo
	v_add_co_u32 v18, vcc_lo, s7, v3
	v_add_co_ci_u32_e32 v19, vcc_lo, s19, v4, vcc_lo
	;; [unrolled: 2-line block ×4, first 2 shown]
	s_clause 0x3
	global_load_b32 v25, v[16:17], off
	global_load_b32 v26, v[18:19], off
	;; [unrolled: 1-line block ×4, first 2 shown]
	v_ashrrev_i32_e32 v16, 31, v15
	v_add_co_u32 v17, vcc_lo, s7, v9
	v_add_co_ci_u32_e32 v18, vcc_lo, s19, v10, vcc_lo
	v_add_co_u32 v19, vcc_lo, s7, v11
	s_delay_alu instid0(VALU_DEP_4) | instskip(SKIP_3) | instid1(VALU_DEP_4)
	v_lshlrev_b64 v[15:16], 2, v[15:16]
	v_add_co_ci_u32_e32 v20, vcc_lo, s19, v12, vcc_lo
	v_add_co_u32 v21, vcc_lo, s7, v13
	v_add_co_ci_u32_e32 v22, vcc_lo, s19, v14, vcc_lo
	v_add_co_u32 v23, vcc_lo, s7, v15
	v_add_co_ci_u32_e32 v24, vcc_lo, s19, v16, vcc_lo
	s_clause 0x3
	global_load_b32 v17, v[17:18], off
	global_load_b32 v18, v[19:20], off
	;; [unrolled: 1-line block ×4, first 2 shown]
	s_add_u32 s7, s8, s20
	s_addc_u32 s8, s9, s21
	s_add_u32 s7, s7, s10
	s_addc_u32 s8, s8, s11
	v_add_co_u32 v1, vcc_lo, s7, v1
	v_add_co_ci_u32_e32 v2, vcc_lo, s8, v2, vcc_lo
	v_add_co_u32 v3, vcc_lo, s7, v3
	v_add_co_ci_u32_e32 v4, vcc_lo, s8, v4, vcc_lo
	;; [unrolled: 2-line block ×5, first 2 shown]
	s_clause 0x4
	global_load_b32 v21, v[1:2], off
	global_load_b32 v3, v[3:4], off
	;; [unrolled: 1-line block ×5, first 2 shown]
	v_add_co_u32 v1, vcc_lo, s7, v11
	v_add_co_ci_u32_e32 v2, vcc_lo, s8, v12, vcc_lo
	global_load_b32 v7, v[1:2], off
	v_add_co_u32 v1, vcc_lo, s7, v13
	v_add_co_ci_u32_e32 v2, vcc_lo, s8, v14, vcc_lo
	global_load_b32 v8, v[1:2], off
	v_add_co_u32 v1, vcc_lo, s7, v15
	v_add_co_ci_u32_e32 v2, vcc_lo, s8, v16, vcc_lo
	s_mov_b32 s7, exec_lo
	global_load_b32 v11, v[1:2], off
	v_mbcnt_lo_u32_b32 v1, -1, 0
	s_delay_alu instid0(VALU_DEP_1)
	v_xor_b32_e32 v12, 8, v1
	v_xor_b32_e32 v13, 4, v1
	;; [unrolled: 1-line block ×4, first 2 shown]
	s_waitcnt vmcnt(14)
	v_dual_max_f32 v10, v25, v25 :: v_dual_max_f32 v9, v26, v26
	s_delay_alu instid0(VALU_DEP_1) | instskip(SKIP_2) | instid1(VALU_DEP_2)
	v_max_f32_e32 v2, v10, v9
	v_xor_b32_e32 v9, 16, v1
	s_waitcnt vmcnt(12)
	v_max3_f32 v2, v2, v27, v28
	s_delay_alu instid0(VALU_DEP_2) | instskip(SKIP_4) | instid1(VALU_DEP_3)
	v_cmp_gt_i32_e32 vcc_lo, 32, v9
	v_cndmask_b32_e32 v9, v1, v9, vcc_lo
	v_cmp_gt_i32_e32 vcc_lo, 32, v12
	s_waitcnt vmcnt(10)
	v_max3_f32 v2, v2, v17, v18
	v_dual_cndmask_b32 v12, v1, v12 :: v_dual_lshlrev_b32 v9, 2, v9
	v_cmp_gt_i32_e32 vcc_lo, 32, v13
	s_waitcnt vmcnt(8)
	s_delay_alu instid0(VALU_DEP_3) | instskip(NEXT) | instid1(VALU_DEP_3)
	v_max3_f32 v2, v2, v19, v20
	v_dual_cndmask_b32 v13, v1, v13 :: v_dual_lshlrev_b32 v12, 2, v12
	ds_bpermute_b32 v10, v9, v2
	v_cmp_gt_i32_e32 vcc_lo, 32, v14
	v_dual_cndmask_b32 v14, v1, v14 :: v_dual_lshlrev_b32 v13, 2, v13
	v_cmp_gt_i32_e32 vcc_lo, 32, v15
	s_delay_alu instid0(VALU_DEP_2) | instskip(SKIP_1) | instid1(VALU_DEP_1)
	v_dual_cndmask_b32 v1, v1, v15 :: v_dual_lshlrev_b32 v14, 2, v14
	s_waitcnt lgkmcnt(0)
	v_dual_max_f32 v10, v10, v10 :: v_dual_lshlrev_b32 v15, 2, v1
	s_delay_alu instid0(VALU_DEP_1) | instskip(SKIP_3) | instid1(VALU_DEP_1)
	v_max_f32_e32 v2, v2, v10
	ds_bpermute_b32 v10, v12, v2
	s_waitcnt lgkmcnt(0)
	v_max_f32_e32 v10, v10, v10
	v_max_f32_e32 v2, v2, v10
	ds_bpermute_b32 v10, v13, v2
	s_waitcnt lgkmcnt(0)
	v_max_f32_e32 v10, v10, v10
	s_delay_alu instid0(VALU_DEP_1) | instskip(SKIP_3) | instid1(VALU_DEP_1)
	v_max_f32_e32 v2, v2, v10
	ds_bpermute_b32 v10, v14, v2
	s_waitcnt lgkmcnt(0)
	v_max_f32_e32 v10, v10, v10
	v_max_f32_e32 v1, v2, v10
	ds_bpermute_b32 v2, v15, v1
	s_waitcnt lgkmcnt(0)
	v_max_f32_e32 v2, v2, v2
	s_delay_alu instid0(VALU_DEP_1) | instskip(SKIP_1) | instid1(VALU_DEP_2)
	v_max_f32_e32 v1, v1, v2
	v_sub_nc_u32_e32 v2, s40, v0
	v_sub_f32_e32 v23, v28, v1
	v_sub_f32_e32 v16, v26, v1
	s_delay_alu instid0(VALU_DEP_2)
	v_mul_f32_e32 v26, 0x3fb8aa3b, v23
	v_sub_f32_e32 v10, v25, v1
	v_sub_f32_e32 v22, v27, v1
	v_sub_f32_e32 v17, v17, v1
	v_sub_f32_e32 v18, v18, v1
	v_dual_sub_f32 v19, v19, v1 :: v_dual_mul_f32 v24, 0x3fb8aa3b, v16
	s_delay_alu instid0(VALU_DEP_4) | instskip(NEXT) | instid1(VALU_DEP_3)
	v_mul_f32_e32 v25, 0x3fb8aa3b, v22
	v_dual_sub_f32 v1, v20, v1 :: v_dual_mul_f32 v28, 0x3fb8aa3b, v18
	v_mul_f32_e32 v20, 0x3fb8aa3b, v10
	s_delay_alu instid0(VALU_DEP_4)
	v_fma_f32 v33, 0x3fb8aa3b, v16, -v24
	v_rndne_f32_e32 v34, v24
	v_fma_f32 v35, 0x3fb8aa3b, v22, -v25
	v_dual_mul_f32 v29, 0x3fb8aa3b, v19 :: v_dual_mul_f32 v30, 0x3fb8aa3b, v1
	v_fma_f32 v31, 0x3fb8aa3b, v10, -v20
	v_rndne_f32_e32 v32, v20
	v_mul_f32_e32 v27, 0x3fb8aa3b, v17
	v_dual_fmac_f32 v33, 0x32a5705f, v16 :: v_dual_sub_f32 v24, v24, v34
	s_delay_alu instid0(VALU_DEP_3) | instskip(SKIP_2) | instid1(VALU_DEP_4)
	v_dual_fmac_f32 v31, 0x32a5705f, v10 :: v_dual_sub_f32 v20, v20, v32
	v_cvt_i32_f32_e32 v32, v32
	v_fma_f32 v37, 0x3fb8aa3b, v23, -v26
	v_dual_add_f32 v24, v24, v33 :: v_dual_fmac_f32 v35, 0x32a5705f, v22
	s_delay_alu instid0(VALU_DEP_4)
	v_add_f32_e32 v20, v20, v31
	v_fma_f32 v39, 0x3fb8aa3b, v17, -v27
	v_fma_f32 v41, 0x3fb8aa3b, v18, -v28
	v_rndne_f32_e32 v42, v28
	v_fma_f32 v45, 0x3fb8aa3b, v1, -v30
	v_exp_f32_e32 v20, v20
	v_rndne_f32_e32 v46, v30
	v_cmp_ngt_f32_e32 vcc_lo, 0xc2ce8ed0, v10
	v_rndne_f32_e32 v36, v25
	v_fma_f32 v43, 0x3fb8aa3b, v19, -v29
	v_dual_fmac_f32 v37, 0x32a5705f, v23 :: v_dual_sub_f32 v28, v28, v42
	v_dual_fmac_f32 v39, 0x32a5705f, v17 :: v_dual_sub_f32 v30, v30, v46
	v_exp_f32_e32 v24, v24
	s_delay_alu instid0(TRANS32_DEP_2)
	v_ldexp_f32 v20, v20, v32
	v_fmac_f32_e32 v45, 0x32a5705f, v1
	v_rndne_f32_e32 v38, v26
	v_cvt_i32_f32_e32 v34, v34
	v_sub_f32_e32 v25, v25, v36
	v_dual_cndmask_b32 v20, 0, v20 :: v_dual_fmac_f32 v41, 0x32a5705f, v18
	v_dual_add_f32 v30, v30, v45 :: v_dual_fmac_f32 v43, 0x32a5705f, v19
	v_rndne_f32_e32 v40, v27
	v_sub_f32_e32 v26, v26, v38
	s_delay_alu instid0(VALU_DEP_4)
	v_add_f32_e32 v28, v28, v41
	v_ldexp_f32 v24, v24, v34
	v_cmp_ngt_f32_e32 vcc_lo, 0xc2ce8ed0, v16
	v_add_f32_e32 v25, v25, v35
	v_dual_sub_f32 v27, v27, v40 :: v_dual_add_f32 v26, v26, v37
	v_exp_f32_e32 v28, v28
	v_cvt_i32_f32_e32 v31, v42
	v_cndmask_b32_e32 v24, 0, v24, vcc_lo
	v_exp_f32_e32 v25, v25
	v_cvt_i32_f32_e32 v36, v36
	v_exp_f32_e32 v26, v26
	v_cvt_i32_f32_e32 v38, v38
	v_cmp_ngt_f32_e32 vcc_lo, 0xc2ce8ed0, v22
	v_rndne_f32_e32 v44, v29
	v_cvt_i32_f32_e32 v40, v40
	v_ldexp_f32 v28, v28, v31
	v_add_f32_e32 v27, v27, v39
	v_exp_f32_e32 v30, v30
	v_ldexp_f32 v25, v25, v36
	v_cvt_i32_f32_e32 v33, v44
	v_ldexp_f32 v26, v26, v38
	v_exp_f32_e32 v27, v27
	s_delay_alu instid0(VALU_DEP_3) | instskip(SKIP_1) | instid1(VALU_DEP_3)
	v_cndmask_b32_e32 v25, 0, v25, vcc_lo
	v_cmp_ngt_f32_e32 vcc_lo, 0xc2ce8ed0, v23
	v_dual_sub_f32 v29, v29, v44 :: v_dual_cndmask_b32 v26, 0, v26
	v_cmp_ngt_f32_e32 vcc_lo, 0xc2ce8ed0, v17
	s_waitcnt_depctr 0xfff
	v_ldexp_f32 v27, v27, v40
	s_delay_alu instid0(VALU_DEP_1)
	v_cndmask_b32_e32 v27, 0, v27, vcc_lo
	v_cmp_ngt_f32_e32 vcc_lo, 0xc2ce8ed0, v18
	v_cndmask_b32_e32 v28, 0, v28, vcc_lo
	v_cmp_nlt_f32_e32 vcc_lo, 0x42b17218, v10
	v_dual_add_f32 v29, v29, v43 :: v_dual_cndmask_b32 v10, 0x7f800000, v20
	v_cmp_nlt_f32_e32 vcc_lo, 0x42b17218, v16
	s_delay_alu instid0(VALU_DEP_2)
	v_exp_f32_e32 v29, v29
	v_cndmask_b32_e32 v16, 0x7f800000, v24, vcc_lo
	v_cmp_nlt_f32_e32 vcc_lo, 0x42b17218, v22
	v_cndmask_b32_e32 v20, 0x7f800000, v25, vcc_lo
	v_cmp_nlt_f32_e32 vcc_lo, 0x42b17218, v23
	s_waitcnt_depctr 0xfff
	v_ldexp_f32 v29, v29, v33
	v_cndmask_b32_e32 v22, 0x7f800000, v26, vcc_lo
	v_cmp_nlt_f32_e32 vcc_lo, 0x42b17218, v17
	v_cndmask_b32_e32 v17, 0x7f800000, v27, vcc_lo
	v_cmp_lt_i32_e32 vcc_lo, 0, v2
	v_cndmask_b32_e32 v10, 0, v10, vcc_lo
	v_cmp_lt_i32_e32 vcc_lo, 32, v2
	s_waitcnt vmcnt(7)
	s_delay_alu instid0(VALU_DEP_2) | instskip(SKIP_3) | instid1(VALU_DEP_2)
	v_mul_f32_e32 v10, v21, v10
	v_cndmask_b32_e32 v16, 0, v16, vcc_lo
	v_cmp_lt_i32_e32 vcc_lo, 64, v2
	s_waitcnt vmcnt(6)
	v_mul_f32_e32 v3, v3, v16
	v_cndmask_b32_e32 v20, 0, v20, vcc_lo
	v_cmp_lt_i32_e32 vcc_lo, 0x60, v2
	v_cndmask_b32_e32 v22, 0, v22, vcc_lo
	v_cmp_lt_i32_e32 vcc_lo, 0x80, v2
	v_cndmask_b32_e32 v17, 0, v17, vcc_lo
	v_cmp_nlt_f32_e32 vcc_lo, 0x42b17218, v18
	s_waitcnt vmcnt(3)
	s_delay_alu instid0(VALU_DEP_2) | instskip(SKIP_2) | instid1(VALU_DEP_2)
	v_mul_f32_e32 v6, v6, v17
	v_dual_mul_f32 v4, v4, v20 :: v_dual_add_f32 v17, v10, v3
	v_cvt_i32_f32_e32 v20, v46
	v_add_f32_e32 v17, v17, v4
	v_dual_mul_f32 v5, v5, v22 :: v_dual_cndmask_b32 v16, 0x7f800000, v28
	v_cmp_ngt_f32_e32 vcc_lo, 0xc2ce8ed0, v19
	s_delay_alu instid0(VALU_DEP_2)
	v_add_f32_e32 v17, v17, v5
	v_cndmask_b32_e32 v18, 0, v29, vcc_lo
	v_cmp_lt_i32_e32 vcc_lo, 0xa0, v2
	v_cndmask_b32_e32 v16, 0, v16, vcc_lo
	v_cmp_nlt_f32_e32 vcc_lo, 0x42b17218, v19
	s_waitcnt vmcnt(2)
	s_delay_alu instid0(VALU_DEP_2) | instskip(SKIP_3) | instid1(VALU_DEP_4)
	v_dual_mul_f32 v7, v7, v16 :: v_dual_cndmask_b32 v18, 0x7f800000, v18
	v_cmp_lt_i32_e32 vcc_lo, 0xc0, v2
	v_ldexp_f32 v16, v30, v20
	v_add_f32_e32 v17, v17, v6
	v_cndmask_b32_e32 v18, 0, v18, vcc_lo
	v_cmp_ngt_f32_e32 vcc_lo, 0xc2ce8ed0, v1
	s_delay_alu instid0(VALU_DEP_4) | instskip(SKIP_2) | instid1(VALU_DEP_2)
	v_cndmask_b32_e32 v16, 0, v16, vcc_lo
	v_cmp_nlt_f32_e32 vcc_lo, 0x42b17218, v1
	s_waitcnt vmcnt(1)
	v_dual_mul_f32 v8, v8, v18 :: v_dual_cndmask_b32 v1, 0x7f800000, v16
	v_add_f32_e32 v16, v17, v7
	v_cmp_lt_i32_e32 vcc_lo, 0xe0, v2
	s_delay_alu instid0(VALU_DEP_3) | instskip(NEXT) | instid1(VALU_DEP_3)
	v_cndmask_b32_e32 v17, 0, v1, vcc_lo
	v_add_f32_e32 v1, v16, v8
	s_waitcnt vmcnt(0)
	s_delay_alu instid0(VALU_DEP_1)
	v_fmac_f32_e32 v1, v11, v17
	v_mul_f32_e32 v11, v11, v17
	ds_bpermute_b32 v2, v9, v1
	v_lshlrev_b32_e32 v9, 2, v0
	ds_store_2addr_b32 v9, v10, v3 offset1:32
	ds_store_2addr_b32 v9, v4, v5 offset0:64 offset1:96
	ds_store_2addr_b32 v9, v6, v7 offset0:128 offset1:160
	;; [unrolled: 1-line block ×3, first 2 shown]
	s_waitcnt lgkmcnt(4)
	v_add_f32_e32 v1, v1, v2
	ds_bpermute_b32 v2, v12, v1
	s_waitcnt lgkmcnt(0)
	v_add_f32_e32 v1, v1, v2
	ds_bpermute_b32 v2, v13, v1
	;; [unrolled: 3-line block ×4, first 2 shown]
	v_cmpx_eq_u32_e32 0, v0
	s_cbranch_execz .LBB465_8
; %bb.7:
	s_waitcnt lgkmcnt(0)
	v_dual_add_f32 v1, v1, v2 :: v_dual_mov_b32 v2, 0
	ds_store_b32 v2, v1 offset:1024
.LBB465_8:
	s_or_b32 exec_lo, exec_lo, s7
	v_mov_b32_e32 v1, s6
.LBB465_9:
	s_or_b32 exec_lo, exec_lo, s24
	s_lshl_b32 s6, s18, 6
	s_mov_b32 s7, 0
	s_waitcnt lgkmcnt(0)
	v_dual_mov_b32 v2, 0 :: v_dual_lshlrev_b32 v1, 6, v1
	s_lshl_b64 s[6:7], s[6:7], 1
	v_lshlrev_b32_e32 v0, 1, v0
	s_add_u32 s34, s4, s6
	s_addc_u32 s35, s5, s7
	s_lshl_b32 s41, s40, 6
	v_lshlrev_b64 v[3:4], 1, v[1:2]
	s_sub_i32 s42, s41, 64
	s_cmpk_lt_i32 s22, 0x100
	v_dual_mov_b32 v30, 0 :: v_dual_mov_b32 v33, 0
	s_cselect_b32 s4, s42, 0
	s_delay_alu instid0(VALU_DEP_2)
	v_add_co_u32 v1, vcc_lo, s34, v3
	s_ashr_i32 s5, s4, 31
	v_add_co_ci_u32_e32 v3, vcc_lo, s35, v4, vcc_lo
	s_lshl_b64 s[4:5], s[4:5], 1
	s_cmpk_lt_i32 s22, 0x200
	v_add_co_u32 v1, vcc_lo, v1, v0
	s_cselect_b32 s6, s42, 64
	v_add_co_ci_u32_e32 v3, vcc_lo, 0, v3, vcc_lo
	s_ashr_i32 s7, s6, 31
	s_delay_alu instid0(VALU_DEP_2)
	v_add_co_u32 v4, vcc_lo, v1, s4
	s_lshl_b64 s[6:7], s[6:7], 1
	s_cmpk_lt_i32 s22, 0x300
	v_add_co_ci_u32_e32 v5, vcc_lo, s5, v3, vcc_lo
	s_cselect_b32 s8, s42, 0x80
	v_add_co_u32 v6, vcc_lo, v1, s6
	s_ashr_i32 s9, s8, 31
	v_add_co_ci_u32_e32 v7, vcc_lo, s7, v3, vcc_lo
	s_lshl_b64 s[8:9], s[8:9], 1
	s_cmpk_lt_i32 s22, 0x400
	v_add_co_u32 v8, vcc_lo, v1, s8
	s_cselect_b32 s10, s42, 0xc0
	v_add_co_ci_u32_e32 v9, vcc_lo, s9, v3, vcc_lo
	s_ashr_i32 s11, s10, 31
	v_dual_mov_b32 v32, 0 :: v_dual_mov_b32 v35, 0
	s_lshl_b64 s[10:11], s[10:11], 1
	s_cmpk_lt_i32 s22, 0x500
	v_add_co_u32 v11, vcc_lo, v1, s10
	s_cselect_b32 s18, s42, 0x100
	v_add_co_ci_u32_e32 v12, vcc_lo, s11, v3, vcc_lo
	s_ashr_i32 s19, s18, 31
	v_mov_b32_e32 v34, 0
	s_lshl_b64 s[18:19], s[18:19], 1
	s_cmpk_lt_i32 s22, 0x600
	v_add_co_u32 v14, vcc_lo, v1, s18
	s_cselect_b32 s20, s42, 0x140
	v_add_co_ci_u32_e32 v15, vcc_lo, s19, v3, vcc_lo
	s_ashr_i32 s21, s20, 31
	v_mov_b32_e32 v31, 0
	s_lshl_b64 s[20:21], s[20:21], 1
	s_cmpk_lt_i32 s22, 0x700
	v_add_co_u32 v16, vcc_lo, v1, s20
	s_cselect_b32 s24, s42, 0x180
	v_add_co_ci_u32_e32 v17, vcc_lo, s21, v3, vcc_lo
	s_ashr_i32 s25, s24, 31
	s_delay_alu instid0(SALU_CYCLE_1)
	s_lshl_b64 s[24:25], s[24:25], 1
	s_cmpk_lt_i32 s22, 0x800
	v_add_co_u32 v18, vcc_lo, v1, s24
	s_cselect_b32 s26, s42, 0x1c0
	v_add_co_ci_u32_e32 v19, vcc_lo, s25, v3, vcc_lo
	s_ashr_i32 s27, s26, 31
	s_delay_alu instid0(SALU_CYCLE_1)
	s_lshl_b64 s[26:27], s[26:27], 1
	s_cmpk_lt_i32 s22, 0x900
	v_add_co_u32 v20, vcc_lo, v1, s26
	s_cselect_b32 s28, s42, 0x200
	v_add_co_ci_u32_e32 v21, vcc_lo, s27, v3, vcc_lo
	s_ashr_i32 s29, s28, 31
	s_clause 0x7
	global_load_u16 v13, v[4:5], off
	global_load_u16 v4, v[6:7], off
	;; [unrolled: 1-line block ×8, first 2 shown]
	s_lshl_b64 s[28:29], s[28:29], 1
	s_cmpk_lt_i32 s22, 0xa00
	v_add_co_u32 v11, vcc_lo, v1, s28
	s_cselect_b32 s30, s42, 0x240
	v_add_co_ci_u32_e32 v12, vcc_lo, s29, v3, vcc_lo
	s_ashr_i32 s31, s30, 31
	s_delay_alu instid0(SALU_CYCLE_1)
	s_lshl_b64 s[30:31], s[30:31], 1
	s_cmpk_lt_i32 s22, 0xb00
	v_add_co_u32 v14, vcc_lo, v1, s30
	s_cselect_b32 s34, s42, 0x280
	v_add_co_ci_u32_e32 v15, vcc_lo, s31, v3, vcc_lo
	s_ashr_i32 s35, s34, 31
	s_delay_alu instid0(SALU_CYCLE_1)
	;; [unrolled: 7-line block ×7, first 2 shown]
	s_lshl_b64 s[4:5], s[6:7], 1
	s_cmpk_gt_i32 s23, 0x1000
	v_add_co_u32 v28, vcc_lo, v1, s4
	v_add_co_ci_u32_e32 v29, vcc_lo, s5, v3, vcc_lo
	s_clause 0x7
	global_load_u16 v19, v[11:12], off
	global_load_u16 v18, v[14:15], off
	;; [unrolled: 1-line block ×8, first 2 shown]
	v_dual_mov_b32 v20, 0 :: v_dual_mov_b32 v23, 0
	v_dual_mov_b32 v21, 0 :: v_dual_mov_b32 v22, 0
	;; [unrolled: 1-line block ×5, first 2 shown]
	s_cselect_b32 s6, -1, 0
	s_cmpk_lt_i32 s23, 0x1001
	s_waitcnt vmcnt(0)
	s_barrier
	buffer_gl0_inv
	s_cbranch_scc1 .LBB465_11
; %bb.10:
	s_cmpk_lt_i32 s22, 0x1100
	s_cselect_b32 s4, s42, 0x400
	s_delay_alu instid0(SALU_CYCLE_1) | instskip(NEXT) | instid1(SALU_CYCLE_1)
	s_ashr_i32 s5, s4, 31
	s_lshl_b64 s[4:5], s[4:5], 1
	s_cmpk_lt_i32 s22, 0x1200
	v_add_co_u32 v20, vcc_lo, v1, s4
	s_cselect_b32 s8, s42, 0x440
	v_add_co_ci_u32_e32 v21, vcc_lo, s5, v3, vcc_lo
	s_ashr_i32 s9, s8, 31
	s_delay_alu instid0(SALU_CYCLE_1)
	s_lshl_b64 s[8:9], s[8:9], 1
	s_cmpk_lt_i32 s22, 0x1300
	v_add_co_u32 v22, vcc_lo, v1, s8
	s_cselect_b32 s10, s42, 0x480
	v_add_co_ci_u32_e32 v23, vcc_lo, s9, v3, vcc_lo
	s_ashr_i32 s11, s10, 31
	s_delay_alu instid0(SALU_CYCLE_1)
	;; [unrolled: 7-line block ×14, first 2 shown]
	s_lshl_b64 s[4:5], s[18:19], 1
	s_cmpk_lt_i32 s22, 0x2000
	v_add_co_u32 v48, vcc_lo, v1, s4
	s_cselect_b32 s8, s42, 0x7c0
	v_add_co_ci_u32_e32 v49, vcc_lo, s5, v3, vcc_lo
	s_ashr_i32 s9, s8, 31
	s_delay_alu instid0(SALU_CYCLE_1) | instskip(NEXT) | instid1(SALU_CYCLE_1)
	s_lshl_b64 s[4:5], s[8:9], 1
	v_add_co_u32 v50, vcc_lo, v1, s4
	v_add_co_ci_u32_e32 v51, vcc_lo, s5, v3, vcc_lo
	s_clause 0xf
	global_load_u16 v20, v[20:21], off
	global_load_u16 v21, v[22:23], off
	;; [unrolled: 1-line block ×16, first 2 shown]
	s_waitcnt vmcnt(15)
	v_lshlrev_b32_e32 v35, 16, v20
	s_waitcnt vmcnt(14)
	v_lshlrev_b32_e32 v34, 16, v21
	;; [unrolled: 2-line block ×16, first 2 shown]
.LBB465_11:
	ds_load_b128 v[36:39], v2
	ds_load_b128 v[40:43], v2 offset:16
	v_lshlrev_b32_e32 v44, 16, v4
	v_lshlrev_b32_e32 v13, 16, v13
	;; [unrolled: 1-line block ×5, first 2 shown]
	s_load_b64 s[0:1], s[0:1], 0x0
	s_and_b32 vcc_lo, exec_lo, s6
	v_lshlrev_b32_e32 v5, 16, v5
	s_waitcnt lgkmcnt(0)
	v_fma_f32 v4, v36, v13, 0
	s_delay_alu instid0(VALU_DEP_1) | instskip(NEXT) | instid1(VALU_DEP_1)
	v_dual_fmac_f32 v4, v37, v44 :: v_dual_lshlrev_b32 v13, 16, v7
	v_dual_fmac_f32 v4, v38, v10 :: v_dual_lshlrev_b32 v9, 16, v9
	s_delay_alu instid0(VALU_DEP_1) | instskip(SKIP_4) | instid1(VALU_DEP_1)
	v_fmac_f32_e32 v4, v39, v9
	ds_load_b128 v[36:39], v2 offset:48
	v_fmac_f32_e32 v4, v40, v8
	ds_load_b128 v[7:10], v2 offset:32
	v_fmac_f32_e32 v4, v41, v13
	v_fmac_f32_e32 v4, v42, v6
	v_lshlrev_b32_e32 v6, 16, v19
	s_delay_alu instid0(VALU_DEP_2) | instskip(SKIP_1) | instid1(VALU_DEP_1)
	v_dual_fmac_f32 v4, v43, v5 :: v_dual_lshlrev_b32 v5, 16, v18
	s_waitcnt lgkmcnt(0)
	v_fmac_f32_e32 v4, v7, v6
	v_lshlrev_b32_e32 v6, 16, v17
	s_delay_alu instid0(VALU_DEP_2) | instskip(NEXT) | instid1(VALU_DEP_1)
	v_dual_fmac_f32 v4, v8, v5 :: v_dual_lshlrev_b32 v5, 16, v16
	v_fmac_f32_e32 v4, v9, v6
	v_lshlrev_b32_e32 v6, 16, v15
	s_delay_alu instid0(VALU_DEP_2) | instskip(NEXT) | instid1(VALU_DEP_1)
	v_dual_fmac_f32 v4, v10, v5 :: v_dual_lshlrev_b32 v5, 16, v14
	;; [unrolled: 4-line block ×3, first 2 shown]
	v_fmac_f32_e32 v4, v38, v6
	s_delay_alu instid0(VALU_DEP_1)
	v_fmac_f32_e32 v4, v39, v5
	s_cbranch_vccz .LBB465_13
; %bb.12:
	ds_load_b128 v[5:8], v2 offset:64
	ds_load_b128 v[9:12], v2 offset:80
	s_waitcnt lgkmcnt(1)
	v_fmac_f32_e32 v4, v5, v35
	s_delay_alu instid0(VALU_DEP_1) | instskip(NEXT) | instid1(VALU_DEP_1)
	v_fmac_f32_e32 v4, v6, v34
	v_fmac_f32_e32 v4, v7, v33
	s_delay_alu instid0(VALU_DEP_1) | instskip(SKIP_3) | instid1(VALU_DEP_1)
	v_fmac_f32_e32 v4, v8, v32
	ds_load_b128 v[5:8], v2 offset:96
	s_waitcnt lgkmcnt(1)
	v_fmac_f32_e32 v4, v9, v31
	v_fmac_f32_e32 v4, v10, v30
	s_delay_alu instid0(VALU_DEP_1) | instskip(NEXT) | instid1(VALU_DEP_1)
	v_fmac_f32_e32 v4, v11, v29
	v_fmac_f32_e32 v4, v12, v28
	ds_load_b128 v[9:12], v2 offset:112
	s_waitcnt lgkmcnt(1)
	v_fmac_f32_e32 v4, v5, v27
	s_delay_alu instid0(VALU_DEP_1) | instskip(NEXT) | instid1(VALU_DEP_1)
	v_fmac_f32_e32 v4, v6, v26
	v_fmac_f32_e32 v4, v7, v25
	s_delay_alu instid0(VALU_DEP_1) | instskip(SKIP_1) | instid1(VALU_DEP_1)
	v_fmac_f32_e32 v4, v8, v24
	s_waitcnt lgkmcnt(0)
	v_fmac_f32_e32 v4, v9, v23
	s_delay_alu instid0(VALU_DEP_1) | instskip(NEXT) | instid1(VALU_DEP_1)
	v_fmac_f32_e32 v4, v10, v22
	v_fmac_f32_e32 v4, v11, v21
	s_delay_alu instid0(VALU_DEP_1)
	v_fmac_f32_e32 v4, v12, v20
.LBB465_13:
	s_movk_i32 s43, 0xfc0
	s_movk_i32 s44, 0x80
	s_mov_b32 s45, 32
	s_branch .LBB465_15
.LBB465_14:                             ;   in Loop: Header=BB465_15 Depth=1
	s_addk_i32 s43, 0x800
	s_addk_i32 s44, 0x80
	s_add_i32 s45, s45, 32
	s_cmpk_eq_i32 s43, 0x47c0
	s_cbranch_scc1 .LBB465_17
.LBB465_15:                             ; =>This Inner Loop Header: Depth=1
	s_cmp_le_i32 s40, s45
	s_cbranch_scc1 .LBB465_14
; %bb.16:                               ;   in Loop: Header=BB465_15 Depth=1
	s_add_i32 s4, s43, 0xfffff840
	v_mov_b32_e32 v44, s44
	s_cmp_lt_i32 s4, s41
	s_cselect_b32 s4, s4, s42
	s_add_i32 s6, s43, 0xfffff880
	s_ashr_i32 s5, s4, 31
	s_delay_alu instid0(SALU_CYCLE_1)
	s_lshl_b64 s[38:39], s[4:5], 1
	s_cmp_lt_i32 s6, s41
	v_add_co_u32 v5, vcc_lo, v1, s38
	s_cselect_b32 s4, s6, s42
	s_add_i32 s6, s43, 0xfffff8c0
	s_ashr_i32 s5, s4, 31
	v_add_co_ci_u32_e32 v6, vcc_lo, s39, v3, vcc_lo
	s_lshl_b64 s[4:5], s[4:5], 1
	s_cmp_lt_i32 s6, s41
	s_cselect_b32 s6, s6, s42
	s_add_i32 s8, s43, 0xfffff900
	s_ashr_i32 s7, s6, 31
	global_load_u16 v2, v[5:6], off
	s_lshl_b64 s[6:7], s[6:7], 1
	s_cmp_lt_i32 s8, s41
	v_add_co_u32 v5, vcc_lo, v1, s4
	s_cselect_b32 s8, s8, s42
	s_add_i32 s10, s43, 0xfffff940
	s_ashr_i32 s9, s8, 31
	v_add_co_ci_u32_e32 v6, vcc_lo, s5, v3, vcc_lo
	s_lshl_b64 s[8:9], s[8:9], 1
	s_cmp_lt_i32 s10, s41
	v_add_co_u32 v7, vcc_lo, v1, s6
	s_cselect_b32 s10, s10, s42
	s_add_i32 s18, s43, 0xfffff980
	s_ashr_i32 s11, s10, 31
	v_add_co_ci_u32_e32 v8, vcc_lo, s7, v3, vcc_lo
	s_lshl_b64 s[10:11], s[10:11], 1
	s_cmp_lt_i32 s18, s41
	v_add_co_u32 v9, vcc_lo, v1, s8
	s_cselect_b32 s18, s18, s42
	s_add_i32 s20, s43, 0xfffff9c0
	s_ashr_i32 s19, s18, 31
	s_clause 0x1
	global_load_u16 v23, v[5:6], off
	global_load_u16 v24, v[7:8], off
	s_lshl_b64 s[18:19], s[18:19], 1
	s_cmp_lt_i32 s20, s41
	v_add_co_ci_u32_e32 v10, vcc_lo, s9, v3, vcc_lo
	s_cselect_b32 s20, s20, s42
	s_add_i32 s22, s43, 0xfffffa00
	s_ashr_i32 s21, s20, 31
	global_load_u16 v25, v[9:10], off
	s_lshl_b64 s[20:21], s[20:21], 1
	s_cmp_lt_i32 s22, s41
	v_add_co_u32 v11, vcc_lo, v1, s10
	s_cselect_b32 s22, s22, s42
	s_add_i32 s24, s43, 0xfffffa40
	s_ashr_i32 s23, s22, 31
	v_add_co_ci_u32_e32 v12, vcc_lo, s11, v3, vcc_lo
	s_lshl_b64 s[22:23], s[22:23], 1
	s_cmp_lt_i32 s24, s41
	v_add_co_u32 v13, vcc_lo, v1, s18
	global_load_u16 v26, v[11:12], off
	s_cselect_b32 s24, s24, s42
	s_add_i32 s26, s43, 0xfffffa80
	s_ashr_i32 s25, s24, 31
	v_add_co_ci_u32_e32 v14, vcc_lo, s19, v3, vcc_lo
	s_lshl_b64 s[24:25], s[24:25], 1
	s_cmp_lt_i32 s26, s41
	v_add_co_u32 v15, vcc_lo, v1, s20
	global_load_u16 v27, v[13:14], off
	s_cselect_b32 s26, s26, s42
	s_add_i32 s28, s43, 0xfffffac0
	s_ashr_i32 s27, s26, 31
	v_add_co_ci_u32_e32 v16, vcc_lo, s21, v3, vcc_lo
	s_lshl_b64 s[36:37], s[26:27], 1
	s_cmp_lt_i32 s28, s41
	v_add_co_u32 v17, vcc_lo, v1, s22
	s_cselect_b32 s26, s28, s42
	s_add_i32 s30, s43, 0xfffffb00
	s_ashr_i32 s27, s26, 31
	v_add_co_ci_u32_e32 v18, vcc_lo, s23, v3, vcc_lo
	s_lshl_b64 s[28:29], s[26:27], 1
	s_cmp_lt_i32 s30, s41
	v_add_co_u32 v19, vcc_lo, v1, s24
	global_load_u16 v17, v[17:18], off
	s_cselect_b32 s26, s30, s42
	s_add_i32 s30, s43, 0xfffffb40
	s_ashr_i32 s27, s26, 31
	v_add_co_ci_u32_e32 v20, vcc_lo, s25, v3, vcc_lo
	s_lshl_b64 s[26:27], s[26:27], 1
	s_cmp_lt_i32 s30, s41
	v_add_co_u32 v21, vcc_lo, v1, s36
	s_cselect_b32 s30, s30, s42
	s_add_i32 s46, s43, 0xfffffb80
	s_ashr_i32 s31, s30, 31
	v_add_co_ci_u32_e32 v22, vcc_lo, s37, v3, vcc_lo
	s_lshl_b64 s[34:35], s[30:31], 1
	s_cmp_lt_i32 s46, s41
	v_add_co_u32 v5, vcc_lo, v1, s28
	;; [unrolled: 7-line block ×3, first 2 shown]
	s_cselect_b32 s46, s46, s42
	s_add_i32 s48, s43, 0xfffffc00
	s_ashr_i32 s47, s46, 31
	global_load_u16 v28, v[15:16], off
	s_lshl_b64 s[38:39], s[46:47], 1
	s_cmp_lt_i32 s48, s41
	v_add_co_ci_u32_e32 v8, vcc_lo, s27, v3, vcc_lo
	s_cselect_b32 s46, s48, s42
	v_add_co_u32 v9, vcc_lo, v1, s34
	s_ashr_i32 s47, s46, 31
	s_add_i32 s4, s43, 0xfffffc40
	s_lshl_b64 s[46:47], s[46:47], 1
	v_add_co_ci_u32_e32 v10, vcc_lo, s35, v3, vcc_lo
	s_cmp_lt_i32 s4, s41
	v_add_co_u32 v11, vcc_lo, v1, s30
	s_cselect_b32 s4, s4, s42
	v_add_co_ci_u32_e32 v12, vcc_lo, s31, v3, vcc_lo
	v_add_co_u32 v13, vcc_lo, v1, s38
	s_ashr_i32 s5, s4, 31
	s_add_i32 s6, s43, 0xfffffc80
	v_add_co_ci_u32_e32 v14, vcc_lo, s39, v3, vcc_lo
	global_load_u16 v18, v[19:20], off
	s_lshl_b64 s[8:9], s[4:5], 1
	s_cmp_lt_i32 s6, s41
	global_load_u16 v30, v[13:14], off
	s_cselect_b32 s4, s6, s42
	global_load_u16 v19, v[21:22], off
	s_ashr_i32 s5, s4, 31
	s_add_i32 s6, s43, 0xfffffcc0
	s_lshl_b64 s[10:11], s[4:5], 1
	s_cmp_lt_i32 s6, s41
	s_clause 0x3
	global_load_u16 v20, v[5:6], off
	global_load_u16 v21, v[7:8], off
	global_load_u16 v22, v[9:10], off
	global_load_u16 v29, v[11:12], off
	s_cselect_b32 s4, s6, s42
	s_add_i32 s6, s43, 0xfffffd00
	s_ashr_i32 s5, s4, 31
	v_add_co_u32 v15, vcc_lo, v1, s46
	s_lshl_b64 s[4:5], s[4:5], 1
	s_cmp_lt_i32 s6, s41
	v_add_co_ci_u32_e32 v16, vcc_lo, s47, v3, vcc_lo
	s_cselect_b32 s6, s6, s42
	s_add_i32 s18, s43, 0xfffffd40
	s_ashr_i32 s7, s6, 31
	v_add_co_u32 v5, vcc_lo, v1, s8
	s_lshl_b64 s[6:7], s[6:7], 1
	s_cmp_lt_i32 s18, s41
	v_add_co_ci_u32_e32 v6, vcc_lo, s9, v3, vcc_lo
	s_cselect_b32 s18, s18, s42
	v_add_co_u32 v7, vcc_lo, v1, s10
	s_ashr_i32 s19, s18, 31
	s_add_i32 s20, s43, 0xfffffd80
	s_lshl_b64 s[18:19], s[18:19], 1
	v_add_co_ci_u32_e32 v8, vcc_lo, s11, v3, vcc_lo
	s_cmp_lt_i32 s20, s41
	v_add_co_u32 v9, vcc_lo, v1, s4
	s_cselect_b32 s20, s20, s42
	v_add_co_ci_u32_e32 v10, vcc_lo, s5, v3, vcc_lo
	v_add_co_u32 v11, vcc_lo, v1, s6
	s_ashr_i32 s21, s20, 31
	s_add_i32 s22, s43, 0xfffffdc0
	v_add_co_ci_u32_e32 v12, vcc_lo, s7, v3, vcc_lo
	global_load_u16 v15, v[15:16], off
	s_lshl_b64 s[20:21], s[20:21], 1
	s_cmp_lt_i32 s22, s41
	global_load_u16 v33, v[11:12], off
	s_cselect_b32 s22, s22, s42
	s_clause 0x2
	global_load_u16 v16, v[5:6], off
	global_load_u16 v31, v[7:8], off
	;; [unrolled: 1-line block ×3, first 2 shown]
	s_ashr_i32 s23, s22, 31
	s_add_i32 s24, s43, 0xfffffe00
	s_lshl_b64 s[22:23], s[22:23], 1
	s_cmp_lt_i32 s24, s41
	v_add_co_u32 v13, vcc_lo, v1, s18
	s_cselect_b32 s24, s24, s42
	s_add_i32 s26, s43, 0xfffffe40
	s_ashr_i32 s25, s24, 31
	v_add_co_ci_u32_e32 v14, vcc_lo, s19, v3, vcc_lo
	s_lshl_b64 s[24:25], s[24:25], 1
	s_cmp_lt_i32 s26, s41
	v_add_co_u32 v5, vcc_lo, v1, s20
	s_cselect_b32 s8, s26, s42
	v_add_co_ci_u32_e32 v6, vcc_lo, s21, v3, vcc_lo
	s_ashr_i32 s9, s8, 31
	v_add_co_u32 v7, vcc_lo, v1, s22
	s_add_i32 s10, s43, 0xfffffe80
	s_lshl_b64 s[8:9], s[8:9], 1
	v_add_co_ci_u32_e32 v8, vcc_lo, s23, v3, vcc_lo
	s_cmp_lt_i32 s10, s41
	v_add_co_u32 v9, vcc_lo, v1, s24
	s_cselect_b32 s4, s10, s42
	global_load_u16 v13, v[13:14], off
	v_add_co_ci_u32_e32 v10, vcc_lo, s25, v3, vcc_lo
	s_ashr_i32 s5, s4, 31
	s_add_i32 s6, s43, 0xfffffec0
	s_lshl_b64 s[4:5], s[4:5], 1
	global_load_u16 v35, v[9:10], off
	s_cmp_lt_i32 s6, s41
	s_clause 0x1
	global_load_u16 v14, v[5:6], off
	global_load_u16 v34, v[7:8], off
	s_cselect_b32 s6, s6, s42
	s_add_i32 s10, s43, 0xffffff00
	s_ashr_i32 s7, s6, 31
	v_add_co_u32 v5, vcc_lo, v1, s8
	s_lshl_b64 s[6:7], s[6:7], 1
	s_cmp_lt_i32 s10, s41
	v_add_co_ci_u32_e32 v6, vcc_lo, s9, v3, vcc_lo
	s_cselect_b32 s10, s10, s42
	v_add_co_u32 v7, vcc_lo, v1, s4
	s_ashr_i32 s11, s10, 31
	v_add_co_ci_u32_e32 v8, vcc_lo, s5, v3, vcc_lo
	s_add_i32 s18, s43, 0xffffff40
	s_lshl_b64 s[10:11], s[10:11], 1
	s_cmp_lt_i32 s18, s41
	s_clause 0x1
	global_load_u16 v36, v[5:6], off
	global_load_u16 v37, v[7:8], off
	s_cselect_b32 s18, s18, s42
	v_add_co_u32 v5, vcc_lo, v1, s6
	s_ashr_i32 s19, s18, 31
	v_add_co_ci_u32_e32 v6, vcc_lo, s7, v3, vcc_lo
	s_add_i32 s20, s43, 0xffffff80
	v_add_co_u32 v7, vcc_lo, v1, s10
	s_lshl_b64 s[8:9], s[18:19], 1
	s_cmp_lt_i32 s20, s41
	v_add_co_ci_u32_e32 v8, vcc_lo, s11, v3, vcc_lo
	s_cselect_b32 s4, s20, s42
	global_load_u16 v38, v[5:6], off
	s_ashr_i32 s5, s4, 31
	global_load_u16 v39, v[7:8], off
	s_sub_i32 s18, s43, 64
	v_add_co_u32 v5, vcc_lo, v1, s8
	s_lshl_b64 s[4:5], s[4:5], 1
	s_cmp_lt_i32 s18, s41
	v_add_co_ci_u32_e32 v6, vcc_lo, s9, v3, vcc_lo
	v_add_co_u32 v7, vcc_lo, v1, s4
	s_cselect_b32 s6, s18, s42
	v_add_co_ci_u32_e32 v8, vcc_lo, s5, v3, vcc_lo
	s_ashr_i32 s7, s6, 31
	global_load_u16 v40, v[5:6], off
	s_lshl_b64 s[6:7], s[6:7], 1
	global_load_u16 v41, v[7:8], off
	s_cmp_lt_i32 s43, s41
	v_add_co_u32 v5, vcc_lo, v1, s6
	s_cselect_b32 s4, s43, s42
	v_add_co_ci_u32_e32 v6, vcc_lo, s7, v3, vcc_lo
	s_ashr_i32 s5, s4, 31
	s_delay_alu instid0(SALU_CYCLE_1)
	s_lshl_b64 s[4:5], s[4:5], 1
	global_load_u16 v42, v[5:6], off
	v_add_co_u32 v5, vcc_lo, v1, s4
	v_add_co_ci_u32_e32 v6, vcc_lo, s5, v3, vcc_lo
	global_load_u16 v43, v[5:6], off
	ds_load_b128 v[5:8], v44
	ds_load_b128 v[9:12], v44 offset:16
	s_waitcnt vmcnt(31)
	v_lshlrev_b32_e32 v2, 16, v2
	s_waitcnt lgkmcnt(1)
	s_delay_alu instid0(VALU_DEP_1) | instskip(SKIP_2) | instid1(VALU_DEP_1)
	v_fmac_f32_e32 v4, v5, v2
	s_waitcnt vmcnt(30)
	v_lshlrev_b32_e32 v2, 16, v23
	v_fmac_f32_e32 v4, v6, v2
	s_waitcnt vmcnt(29)
	v_lshlrev_b32_e32 v2, 16, v24
	s_delay_alu instid0(VALU_DEP_1) | instskip(SKIP_2) | instid1(VALU_DEP_1)
	v_fmac_f32_e32 v4, v7, v2
	s_waitcnt vmcnt(28)
	v_lshlrev_b32_e32 v2, 16, v25
	v_fmac_f32_e32 v4, v8, v2
	ds_load_b128 v[5:8], v44 offset:32
	s_waitcnt vmcnt(27)
	v_lshlrev_b32_e32 v2, 16, v26
	s_waitcnt lgkmcnt(1)
	s_delay_alu instid0(VALU_DEP_1) | instskip(SKIP_2) | instid1(VALU_DEP_1)
	v_fmac_f32_e32 v4, v9, v2
	s_waitcnt vmcnt(26)
	v_lshlrev_b32_e32 v2, 16, v27
	v_fmac_f32_e32 v4, v10, v2
	s_waitcnt vmcnt(24)
	v_lshlrev_b32_e32 v2, 16, v28
	s_delay_alu instid0(VALU_DEP_1) | instskip(SKIP_1) | instid1(VALU_DEP_1)
	v_fmac_f32_e32 v4, v11, v2
	v_lshlrev_b32_e32 v2, 16, v17
	v_fmac_f32_e32 v4, v12, v2
	ds_load_b128 v[9:12], v44 offset:48
	s_waitcnt vmcnt(23)
	v_lshlrev_b32_e32 v2, 16, v18
	s_waitcnt lgkmcnt(1)
	s_delay_alu instid0(VALU_DEP_1) | instskip(SKIP_2) | instid1(VALU_DEP_1)
	v_fmac_f32_e32 v4, v5, v2
	s_waitcnt vmcnt(21)
	v_lshlrev_b32_e32 v2, 16, v19
	v_fmac_f32_e32 v4, v6, v2
	s_waitcnt vmcnt(20)
	v_lshlrev_b32_e32 v2, 16, v20
	s_delay_alu instid0(VALU_DEP_1) | instskip(SKIP_2) | instid1(VALU_DEP_1)
	v_fmac_f32_e32 v4, v7, v2
	s_waitcnt vmcnt(19)
	v_lshlrev_b32_e32 v2, 16, v21
	v_fmac_f32_e32 v4, v8, v2
	s_waitcnt vmcnt(18)
	v_lshlrev_b32_e32 v2, 16, v22
	ds_load_b128 v[5:8], v44 offset:64
	s_waitcnt lgkmcnt(1)
	v_fmac_f32_e32 v4, v9, v2
	s_waitcnt vmcnt(17)
	v_lshlrev_b32_e32 v2, 16, v29
	s_delay_alu instid0(VALU_DEP_1) | instskip(SKIP_1) | instid1(VALU_DEP_1)
	v_fmac_f32_e32 v4, v10, v2
	v_lshlrev_b32_e32 v2, 16, v30
	v_fmac_f32_e32 v4, v11, v2
	s_waitcnt vmcnt(16)
	v_lshlrev_b32_e32 v2, 16, v15
	s_delay_alu instid0(VALU_DEP_1) | instskip(SKIP_4) | instid1(VALU_DEP_1)
	v_fmac_f32_e32 v4, v12, v2
	ds_load_b128 v[9:12], v44 offset:80
	s_waitcnt vmcnt(14)
	v_lshlrev_b32_e32 v2, 16, v16
	s_waitcnt lgkmcnt(1)
	v_fmac_f32_e32 v4, v5, v2
	s_waitcnt vmcnt(13)
	v_lshlrev_b32_e32 v2, 16, v31
	s_delay_alu instid0(VALU_DEP_1) | instskip(SKIP_2) | instid1(VALU_DEP_1)
	v_fmac_f32_e32 v4, v6, v2
	s_waitcnt vmcnt(12)
	v_lshlrev_b32_e32 v2, 16, v32
	v_fmac_f32_e32 v4, v7, v2
	v_lshlrev_b32_e32 v2, 16, v33
	s_delay_alu instid0(VALU_DEP_1) | instskip(SKIP_4) | instid1(VALU_DEP_1)
	v_fmac_f32_e32 v4, v8, v2
	ds_load_b128 v[5:8], v44 offset:96
	s_waitcnt vmcnt(11)
	v_lshlrev_b32_e32 v2, 16, v13
	s_waitcnt lgkmcnt(1)
	v_fmac_f32_e32 v4, v9, v2
	s_waitcnt vmcnt(9)
	v_lshlrev_b32_e32 v2, 16, v14
	s_delay_alu instid0(VALU_DEP_1) | instskip(SKIP_2) | instid1(VALU_DEP_1)
	v_fmac_f32_e32 v4, v10, v2
	s_waitcnt vmcnt(8)
	v_lshlrev_b32_e32 v2, 16, v34
	v_fmac_f32_e32 v4, v11, v2
	;; [unrolled: 15-line block ×3, first 2 shown]
	s_waitcnt vmcnt(4)
	v_lshlrev_b32_e32 v2, 16, v39
	s_delay_alu instid0(VALU_DEP_1) | instskip(SKIP_3) | instid1(VALU_DEP_1)
	v_fmac_f32_e32 v4, v8, v2
	s_waitcnt vmcnt(3)
	v_lshlrev_b32_e32 v2, 16, v40
	s_waitcnt lgkmcnt(0)
	v_fmac_f32_e32 v4, v9, v2
	s_waitcnt vmcnt(2)
	v_lshlrev_b32_e32 v2, 16, v41
	s_delay_alu instid0(VALU_DEP_1) | instskip(SKIP_2) | instid1(VALU_DEP_1)
	v_fmac_f32_e32 v4, v10, v2
	s_waitcnt vmcnt(1)
	v_lshlrev_b32_e32 v2, 16, v42
	v_fmac_f32_e32 v4, v11, v2
	s_waitcnt vmcnt(0)
	v_lshlrev_b32_e32 v2, 16, v43
	s_delay_alu instid0(VALU_DEP_1)
	v_fmac_f32_e32 v4, v12, v2
	s_branch .LBB465_14
.LBB465_17:
	v_mov_b32_e32 v1, 0
	s_and_b32 vcc_lo, exec_lo, s15
	ds_load_b32 v1, v1 offset:1024
	s_cbranch_vccz .LBB465_19
; %bb.18:
	s_add_u32 s2, s12, s16
	s_addc_u32 s3, s13, s17
	s_load_b32 s2, s[2:3], 0x0
	s_mov_b32 s3, 0
.LBB465_19:
	s_waitcnt lgkmcnt(0)
	v_add_f32_e32 v1, 0x358637bd, v1
	s_delay_alu instid0(VALU_DEP_1) | instskip(NEXT) | instid1(VALU_DEP_1)
	v_div_scale_f32 v2, null, v1, v1, 1.0
	v_rcp_f32_e32 v3, v2
	s_waitcnt_depctr 0xfff
	v_fma_f32 v5, -v2, v3, 1.0
	s_delay_alu instid0(VALU_DEP_1) | instskip(SKIP_1) | instid1(VALU_DEP_1)
	v_fmac_f32_e32 v3, v5, v3
	v_div_scale_f32 v5, vcc_lo, 1.0, v1, 1.0
	v_mul_f32_e32 v6, v5, v3
	s_delay_alu instid0(VALU_DEP_1) | instskip(NEXT) | instid1(VALU_DEP_1)
	v_fma_f32 v7, -v2, v6, v5
	v_fmac_f32_e32 v6, v7, v3
	s_delay_alu instid0(VALU_DEP_1) | instskip(NEXT) | instid1(VALU_DEP_1)
	v_fma_f32 v2, -v2, v6, v5
	v_div_fmas_f32 v2, v2, v3, v6
	s_delay_alu instid0(VALU_DEP_1) | instskip(NEXT) | instid1(VALU_DEP_1)
	v_div_fixup_f32 v1, v2, v1, 1.0
	v_mul_f32_e32 v2, v4, v1
	s_delay_alu instid0(VALU_DEP_1) | instskip(NEXT) | instid1(VALU_DEP_1)
	v_and_b32_e32 v1, 0x7f800000, v2
	v_cmp_ne_u32_e32 vcc_lo, 0x7f800000, v1
                                        ; implicit-def: $vgpr1
	s_and_saveexec_b32 s4, vcc_lo
	s_delay_alu instid0(SALU_CYCLE_1)
	s_xor_b32 s4, exec_lo, s4
; %bb.20:
	v_bfe_u32 v1, v2, 16, 1
	s_delay_alu instid0(VALU_DEP_1)
	v_add3_u32 v1, v2, v1, 0x7fff
                                        ; implicit-def: $vgpr2
; %bb.21:
	s_and_not1_saveexec_b32 s4, s4
; %bb.22:
	v_and_b32_e32 v1, 0xffff, v2
	v_or_b32_e32 v3, 0x10000, v2
	s_delay_alu instid0(VALU_DEP_2) | instskip(NEXT) | instid1(VALU_DEP_2)
	v_cmp_eq_u32_e32 vcc_lo, 0, v1
	v_cndmask_b32_e32 v1, v3, v2, vcc_lo
; %bb.23:
	s_or_b32 exec_lo, exec_lo, s4
	s_mul_i32 s3, s33, s3
	s_mul_hi_u32 s4, s33, s2
	s_mul_i32 s2, s33, s2
	s_add_i32 s3, s4, s3
	s_mov_b32 s15, 0
	s_lshl_b64 s[2:3], s[2:3], 7
	s_delay_alu instid0(SALU_CYCLE_1) | instskip(SKIP_2) | instid1(SALU_CYCLE_1)
	s_add_u32 s2, s0, s2
	s_addc_u32 s3, s1, s3
	s_lshl_b64 s[0:1], s[14:15], 7
	s_add_u32 s0, s2, s0
	s_addc_u32 s1, s3, s1
	global_store_d16_hi_b16 v0, v1, s[0:1]
	s_nop 0
	s_sendmsg sendmsg(MSG_DEALLOC_VGPRS)
	s_endpgm
.LBB465_24:
	s_mov_b32 s4, 0
	s_branch .LBB465_2
	.section	.rodata,"a",@progbits
	.p2align	6, 0x0
	.amdhsa_kernel _Z35paged_attention_ll4mi_reduce_kernelI14__hip_bfloat16S0_Li64ELi64ELi256ELi8EEvPT0_PKfS4_PKT_PKiS9_iS4_
		.amdhsa_group_segment_fixed_size 1028
		.amdhsa_private_segment_fixed_size 0
		.amdhsa_kernarg_size 320
		.amdhsa_user_sgpr_count 14
		.amdhsa_user_sgpr_dispatch_ptr 0
		.amdhsa_user_sgpr_queue_ptr 0
		.amdhsa_user_sgpr_kernarg_segment_ptr 1
		.amdhsa_user_sgpr_dispatch_id 0
		.amdhsa_user_sgpr_private_segment_size 0
		.amdhsa_wavefront_size32 1
		.amdhsa_uses_dynamic_stack 0
		.amdhsa_enable_private_segment 0
		.amdhsa_system_sgpr_workgroup_id_x 1
		.amdhsa_system_sgpr_workgroup_id_y 1
		.amdhsa_system_sgpr_workgroup_id_z 0
		.amdhsa_system_sgpr_workgroup_info 0
		.amdhsa_system_vgpr_workitem_id 0
		.amdhsa_next_free_vgpr 52
		.amdhsa_next_free_sgpr 49
		.amdhsa_reserve_vcc 1
		.amdhsa_float_round_mode_32 0
		.amdhsa_float_round_mode_16_64 0
		.amdhsa_float_denorm_mode_32 3
		.amdhsa_float_denorm_mode_16_64 3
		.amdhsa_dx10_clamp 1
		.amdhsa_ieee_mode 1
		.amdhsa_fp16_overflow 0
		.amdhsa_workgroup_processor_mode 1
		.amdhsa_memory_ordered 1
		.amdhsa_forward_progress 0
		.amdhsa_shared_vgpr_count 0
		.amdhsa_exception_fp_ieee_invalid_op 0
		.amdhsa_exception_fp_denorm_src 0
		.amdhsa_exception_fp_ieee_div_zero 0
		.amdhsa_exception_fp_ieee_overflow 0
		.amdhsa_exception_fp_ieee_underflow 0
		.amdhsa_exception_fp_ieee_inexact 0
		.amdhsa_exception_int_div_zero 0
	.end_amdhsa_kernel
	.section	.text._Z35paged_attention_ll4mi_reduce_kernelI14__hip_bfloat16S0_Li64ELi64ELi256ELi8EEvPT0_PKfS4_PKT_PKiS9_iS4_,"axG",@progbits,_Z35paged_attention_ll4mi_reduce_kernelI14__hip_bfloat16S0_Li64ELi64ELi256ELi8EEvPT0_PKfS4_PKT_PKiS9_iS4_,comdat
.Lfunc_end465:
	.size	_Z35paged_attention_ll4mi_reduce_kernelI14__hip_bfloat16S0_Li64ELi64ELi256ELi8EEvPT0_PKfS4_PKT_PKiS9_iS4_, .Lfunc_end465-_Z35paged_attention_ll4mi_reduce_kernelI14__hip_bfloat16S0_Li64ELi64ELi256ELi8EEvPT0_PKfS4_PKT_PKiS9_iS4_
                                        ; -- End function
	.section	.AMDGPU.csdata,"",@progbits
; Kernel info:
; codeLenInByte = 6644
; NumSgprs: 51
; NumVgprs: 52
; ScratchSize: 0
; MemoryBound: 0
; FloatMode: 240
; IeeeMode: 1
; LDSByteSize: 1028 bytes/workgroup (compile time only)
; SGPRBlocks: 6
; VGPRBlocks: 6
; NumSGPRsForWavesPerEU: 51
; NumVGPRsForWavesPerEU: 52
; Occupancy: 16
; WaveLimiterHint : 0
; COMPUTE_PGM_RSRC2:SCRATCH_EN: 0
; COMPUTE_PGM_RSRC2:USER_SGPR: 14
; COMPUTE_PGM_RSRC2:TRAP_HANDLER: 0
; COMPUTE_PGM_RSRC2:TGID_X_EN: 1
; COMPUTE_PGM_RSRC2:TGID_Y_EN: 1
; COMPUTE_PGM_RSRC2:TGID_Z_EN: 0
; COMPUTE_PGM_RSRC2:TIDIG_COMP_CNT: 0
	.section	.text._Z39paged_attention_ll4mi_QKV_mfma16_kernelI14__hip_bfloat16S0_LN4vllm18Fp8KVCacheDataTypeE0ES0_Li16ELi64ELi256ELb1ELi1EL8MFMAType0EEvPKT_PKT0_S9_ifPKiSB_SB_iPKfiiiPfSE_PS4_PT2_iSD_SD_,"axG",@progbits,_Z39paged_attention_ll4mi_QKV_mfma16_kernelI14__hip_bfloat16S0_LN4vllm18Fp8KVCacheDataTypeE0ES0_Li16ELi64ELi256ELb1ELi1EL8MFMAType0EEvPKT_PKT0_S9_ifPKiSB_SB_iPKfiiiPfSE_PS4_PT2_iSD_SD_,comdat
	.protected	_Z39paged_attention_ll4mi_QKV_mfma16_kernelI14__hip_bfloat16S0_LN4vllm18Fp8KVCacheDataTypeE0ES0_Li16ELi64ELi256ELb1ELi1EL8MFMAType0EEvPKT_PKT0_S9_ifPKiSB_SB_iPKfiiiPfSE_PS4_PT2_iSD_SD_ ; -- Begin function _Z39paged_attention_ll4mi_QKV_mfma16_kernelI14__hip_bfloat16S0_LN4vllm18Fp8KVCacheDataTypeE0ES0_Li16ELi64ELi256ELb1ELi1EL8MFMAType0EEvPKT_PKT0_S9_ifPKiSB_SB_iPKfiiiPfSE_PS4_PT2_iSD_SD_
	.globl	_Z39paged_attention_ll4mi_QKV_mfma16_kernelI14__hip_bfloat16S0_LN4vllm18Fp8KVCacheDataTypeE0ES0_Li16ELi64ELi256ELb1ELi1EL8MFMAType0EEvPKT_PKT0_S9_ifPKiSB_SB_iPKfiiiPfSE_PS4_PT2_iSD_SD_
	.p2align	8
	.type	_Z39paged_attention_ll4mi_QKV_mfma16_kernelI14__hip_bfloat16S0_LN4vllm18Fp8KVCacheDataTypeE0ES0_Li16ELi64ELi256ELb1ELi1EL8MFMAType0EEvPKT_PKT0_S9_ifPKiSB_SB_iPKfiiiPfSE_PS4_PT2_iSD_SD_,@function
_Z39paged_attention_ll4mi_QKV_mfma16_kernelI14__hip_bfloat16S0_LN4vllm18Fp8KVCacheDataTypeE0ES0_Li16ELi64ELi256ELb1ELi1EL8MFMAType0EEvPKT_PKT0_S9_ifPKiSB_SB_iPKfiiiPfSE_PS4_PT2_iSD_SD_: ; @_Z39paged_attention_ll4mi_QKV_mfma16_kernelI14__hip_bfloat16S0_LN4vllm18Fp8KVCacheDataTypeE0ES0_Li16ELi64ELi256ELb1ELi1EL8MFMAType0EEvPKT_PKT0_S9_ifPKiSB_SB_iPKfiiiPfSE_PS4_PT2_iSD_SD_
; %bb.0:
	s_load_b64 s[4:5], s[0:1], 0x30
	s_mov_b32 s34, s13
	s_waitcnt lgkmcnt(0)
	s_cmp_lg_u64 s[4:5], 0
	s_cselect_b32 s6, -1, 0
	s_ashr_i32 s35, s13, 31
	s_cmp_eq_u64 s[4:5], 0
	s_cbranch_scc1 .LBB466_3
; %bb.1:
	s_lshl_b64 s[2:3], s[34:35], 2
	s_delay_alu instid0(SALU_CYCLE_1) | instskip(SKIP_4) | instid1(SALU_CYCLE_1)
	s_add_u32 s2, s4, s2
	s_addc_u32 s3, s5, s3
	s_load_b64 s[2:3], s[2:3], 0x0
	s_waitcnt lgkmcnt(0)
	s_sub_i32 s2, s3, s2
	s_cmp_eq_u32 s2, 1
	s_cselect_b32 s2, -1, 0
	s_delay_alu instid0(SALU_CYCLE_1)
	s_and_not1_b32 vcc_lo, exec_lo, s2
	s_cbranch_vccz .LBB466_4
.LBB466_2:
	s_endpgm
.LBB466_3:
.LBB466_4:
	s_load_b64 s[2:3], s[0:1], 0x28
	s_lshl_b64 s[8:9], s[34:35], 2
	s_waitcnt lgkmcnt(0)
	s_add_u32 s2, s2, s8
	s_addc_u32 s3, s3, s9
	s_lshl_b32 s60, s14, 8
	s_load_b32 s33, s[2:3], 0x0
	s_waitcnt lgkmcnt(0)
	s_cmp_ge_i32 s60, s33
	s_cbranch_scc1 .LBB466_2
; %bb.5:
	s_clause 0x1
	s_load_b128 s[56:59], s[0:1], 0x8
	s_load_b64 s[2:3], s[0:1], 0x20
	s_and_not1_b32 vcc_lo, exec_lo, s6
	s_mov_b64 s[6:7], s[34:35]
	s_cbranch_vccnz .LBB466_7
; %bb.6:
	s_add_u32 s4, s4, s8
	s_addc_u32 s5, s5, s9
	s_load_b32 s6, s[4:5], 0x0
.LBB466_7:
	s_load_b128 s[52:55], s[0:1], 0x48
	v_and_b32_e32 v137, 15, v0
	s_mov_b32 s12, exec_lo
                                        ; implicit-def: $sgpr4
                                        ; implicit-def: $sgpr16
                                        ; implicit-def: $sgpr24
                                        ; implicit-def: $sgpr36
	s_delay_alu instid0(VALU_DEP_1)
	v_cmpx_eq_u32_e32 0, v137
	s_cbranch_execz .LBB466_9
; %bb.8:
	s_load_b64 s[4:5], s[0:1], 0x0
	s_waitcnt lgkmcnt(0)
	s_mul_hi_i32 s7, s6, s52
	s_mul_i32 s6, s6, s52
	s_delay_alu instid0(SALU_CYCLE_1) | instskip(NEXT) | instid1(SALU_CYCLE_1)
	s_lshl_b64 s[6:7], s[6:7], 1
	s_add_u32 s6, s4, s6
	s_addc_u32 s7, s5, s7
	s_lshl_b32 s4, s15, 6
	s_delay_alu instid0(SALU_CYCLE_1) | instskip(NEXT) | instid1(SALU_CYCLE_1)
	s_ashr_i32 s5, s4, 31
	s_lshl_b64 s[4:5], s[4:5], 1
	s_delay_alu instid0(SALU_CYCLE_1)
	s_add_u32 s36, s6, s4
	s_addc_u32 s37, s7, s5
	s_clause 0x3
	s_load_b256 s[4:11], s[36:37], 0x0
	s_load_b256 s[16:23], s[36:37], 0x20
	;; [unrolled: 1-line block ×4, first 2 shown]
.LBB466_9:
	s_or_b32 exec_lo, exec_lo, s12
	v_and_b32_e32 v1, 0xef, v0
	s_add_i32 s13, s33, 15
	s_load_b32 s12, s[0:1], 0x38
	s_waitcnt lgkmcnt(0)
	s_load_b32 s52, s[0:1], 0x1c
	s_ashr_i32 s35, s13, 31
	v_add_nc_u32_e32 v1, s60, v1
	s_lshr_b32 s35, s35, 28
	v_mov_b32_e32 v155, s23
	s_add_i32 s13, s13, s35
	v_dual_mov_b32 v154, s22 :: v_dual_lshlrev_b32 v65, 5, v137
	v_ashrrev_i32_e32 v2, 31, v1
	v_or_b32_e32 v3, 16, v1
	s_ashr_i32 s35, s13, 4
	v_cmp_gt_i32_e32 vcc_lo, s33, v1
	s_add_i32 s35, s35, -1
	v_lshrrev_b32_e32 v2, 28, v2
	v_mov_b32_e32 v153, s21
	v_mov_b32_e32 v151, s19
	v_mov_b32_e32 v149, s17
	s_delay_alu instid0(VALU_DEP_4)
	v_dual_mov_b32 v163, s31 :: v_dual_add_nc_u32 v4, v1, v2
	s_mul_i32 s12, s34, s12
	v_mov_b32_e32 v162, s30
	s_ashr_i32 s13, s12, 31
	v_mov_b32_e32 v161, s29
	v_ashrrev_i32_e32 v4, 4, v4
	v_add_nc_u32_e32 v2, v3, v2
	s_lshl_b64 s[12:13], s[12:13], 2
	v_mov_b32_e32 v160, s28
	s_add_u32 s61, s2, s12
	v_cndmask_b32_e32 v1, s35, v4, vcc_lo
	v_ashrrev_i32_e32 v2, 4, v2
	v_cmp_gt_i32_e32 vcc_lo, s33, v3
	s_addc_u32 s62, s3, s13
	s_mul_i32 s2, s15, s54
	v_mov_b32_e32 v159, s27
	s_ashr_i32 s3, s2, 31
	v_cndmask_b32_e32 v3, s35, v2, vcc_lo
	v_ashrrev_i32_e32 v2, 31, v1
	s_lshl_b64 s[2:3], s[2:3], 1
	v_mov_b32_e32 v158, s26
	s_add_u32 s56, s56, s2
	v_ashrrev_i32_e32 v4, 31, v3
	v_lshlrev_b64 v[1:2], 2, v[1:2]
	s_addc_u32 s57, s57, s3
	s_lshl_b32 s12, s14, 4
	v_mov_b32_e32 v157, s25
	v_lshlrev_b64 v[3:4], 2, v[3:4]
	s_ashr_i32 s13, s12, 31
	v_add_co_u32 v1, vcc_lo, s61, v1
	v_add_co_ci_u32_e32 v2, vcc_lo, s62, v2, vcc_lo
	s_delay_alu instid0(VALU_DEP_3) | instskip(NEXT) | instid1(VALU_DEP_4)
	v_add_co_u32 v3, vcc_lo, s61, v3
	v_add_co_ci_u32_e32 v4, vcc_lo, s62, v4, vcc_lo
	s_clause 0x1
	global_load_b32 v5, v[1:2], off
	global_load_b32 v6, v[3:4], off
	s_lshl_b64 s[12:13], s[12:13], 2
	v_lshlrev_b32_e32 v3, 4, v0
	s_add_u32 s12, s61, s12
	s_addc_u32 s13, s62, s13
	s_or_b32 s44, s60, 16
	v_mov_b32_e32 v156, s24
	s_ashr_i32 s45, s44, 4
	s_cmp_lt_i32 s44, s33
	v_lshrrev_b32_e32 v139, 5, v0
	s_cselect_b32 s44, s45, s35
	v_mov_b32_e32 v152, s20
	s_ashr_i32 s45, s44, 31
	v_mov_b32_e32 v150, s18
	s_lshl_b64 s[44:45], s[44:45], 2
	v_mov_b32_e32 v148, s16
	s_add_u32 s44, s61, s44
	s_addc_u32 s45, s62, s45
	s_or_b32 s46, s60, 32
	v_lshl_or_b32 v65, v139, 9, v65
	s_ashr_i32 s47, s46, 4
	s_cmp_lt_i32 s46, s33
	s_cselect_b32 s46, s47, s35
	s_delay_alu instid0(SALU_CYCLE_1) | instskip(NEXT) | instid1(SALU_CYCLE_1)
	s_ashr_i32 s47, s46, 31
	s_lshl_b64 s[46:47], s[46:47], 2
	s_delay_alu instid0(SALU_CYCLE_1) | instskip(SKIP_2) | instid1(SALU_CYCLE_1)
	s_add_u32 s46, s61, s46
	s_addc_u32 s47, s62, s47
	s_or_b32 s48, s60, 48
	s_ashr_i32 s49, s48, 4
	s_cmp_lt_i32 s48, s33
	s_cselect_b32 s48, s49, s35
	s_delay_alu instid0(SALU_CYCLE_1) | instskip(NEXT) | instid1(SALU_CYCLE_1)
	s_ashr_i32 s49, s48, 31
	s_lshl_b64 s[48:49], s[48:49], 2
	s_delay_alu instid0(SALU_CYCLE_1) | instskip(SKIP_2) | instid1(SALU_CYCLE_1)
	s_add_u32 s48, s61, s48
	s_addc_u32 s49, s62, s49
	s_or_b32 s50, s60, 64
	;; [unrolled: 10-line block ×3, first 2 shown]
	s_ashr_i32 s55, s54, 4
	s_cmp_lt_i32 s54, s33
	s_cselect_b32 s54, s55, s35
	s_delay_alu instid0(SALU_CYCLE_1) | instskip(NEXT) | instid1(SALU_CYCLE_1)
	s_ashr_i32 s55, s54, 31
	s_lshl_b64 s[54:55], s[54:55], 2
	s_delay_alu instid0(SALU_CYCLE_1)
	s_add_u32 s54, s61, s54
	s_addc_u32 s55, s62, s55
	s_clause 0x5
	s_load_b32 s66, s[12:13], 0x0
	s_load_b32 s65, s[44:45], 0x0
	s_load_b32 s64, s[46:47], 0x0
	s_load_b32 s13, s[48:49], 0x0
	s_load_b32 s12, s[50:51], 0x0
	s_load_b32 s63, s[54:55], 0x0
	s_waitcnt vmcnt(1)
	v_mad_i64_i32 v[1:2], null, v5, s53, 0
	v_and_b32_e32 v5, 0xf0, v3
	s_waitcnt vmcnt(0)
	v_mad_i64_i32 v[3:4], null, v6, s53, 0
	s_delay_alu instid0(VALU_DEP_2) | instskip(NEXT) | instid1(VALU_DEP_4)
	v_add_co_u32 v5, s44, s56, v5
	v_lshlrev_b64 v[1:2], 1, v[1:2]
	v_add_co_ci_u32_e64 v6, null, s57, 0, s44
	s_delay_alu instid0(VALU_DEP_4) | instskip(SKIP_1) | instid1(VALU_DEP_3)
	v_lshlrev_b64 v[3:4], 1, v[3:4]
	s_or_b32 s44, s60, 0x60
	v_add_co_u32 v13, vcc_lo, v5, v1
	s_delay_alu instid0(VALU_DEP_3) | instskip(NEXT) | instid1(VALU_DEP_3)
	v_add_co_ci_u32_e32 v14, vcc_lo, v6, v2, vcc_lo
	v_add_co_u32 v57, vcc_lo, v5, v3
	s_delay_alu instid0(VALU_DEP_4)
	v_add_co_ci_u32_e32 v58, vcc_lo, v6, v4, vcc_lo
	s_clause 0xf
	global_load_b128 v[41:44], v[13:14], off
	global_load_b128 v[45:48], v[13:14], off offset:256
	global_load_b128 v[49:52], v[57:58], off
	global_load_b128 v[53:56], v[57:58], off offset:256
	global_load_b128 v[33:36], v[13:14], off offset:512
	global_load_b128 v[37:40], v[13:14], off offset:768
	global_load_b128 v[25:28], v[57:58], off offset:512
	global_load_b128 v[29:32], v[57:58], off offset:768
	global_load_b128 v[17:20], v[13:14], off offset:1024
	global_load_b128 v[21:24], v[13:14], off offset:1280
	global_load_b128 v[1:4], v[57:58], off offset:1024
	global_load_b128 v[5:8], v[57:58], off offset:1280
	global_load_b128 v[9:12], v[13:14], off offset:1536
	global_load_b128 v[13:16], v[13:14], off offset:1792
	global_load_b128 v[140:143], v[57:58], off offset:1536
	global_load_b128 v[144:147], v[57:58], off offset:1792
	s_ashr_i32 s45, s44, 4
	s_cmp_lt_i32 s44, s33
	v_mov_b32_e32 v64, s11
	v_mov_b32_e32 v58, s5
	s_cselect_b32 s44, s45, s35
	v_mov_b32_e32 v63, s10
	s_ashr_i32 s45, s44, 31
	v_mov_b32_e32 v62, s9
	s_lshl_b64 s[44:45], s[44:45], 2
	v_mov_b32_e32 v61, s8
	s_add_u32 s54, s61, s44
	s_addc_u32 s55, s62, s45
	s_or_b32 s44, s60, 0x70
	v_mov_b32_e32 v60, s7
	s_ashr_i32 s45, s44, 4
	s_cmp_lt_i32 s44, s33
	v_mov_b32_e32 v59, s6
	s_cselect_b32 s44, s45, s35
	v_mov_b32_e32 v57, s4
	s_ashr_i32 s45, s44, 31
	s_load_b32 s29, s[54:55], 0x0
	s_lshl_b64 s[44:45], s[44:45], 2
	s_waitcnt lgkmcnt(0)
	s_mul_hi_i32 s7, s65, s53
	s_add_u32 s56, s61, s44
	s_addc_u32 s57, s62, s45
	s_or_b32 s44, s60, 0x80
	s_load_b32 s30, s[56:57], 0x0
	s_ashr_i32 s45, s44, 4
	s_cmp_lt_i32 s44, s33
	s_mov_b32 s44, 0
	s_cselect_b32 s46, s45, s35
	s_mov_b32 s45, s44
	s_ashr_i32 s47, s46, 31
	s_mov_b32 s48, s44
	s_lshl_b64 s[4:5], s[46:47], 2
	s_mov_b32 s46, s44
	s_add_u32 s16, s61, s4
	s_addc_u32 s17, s62, s5
	s_or_b32 s4, s60, 0x90
	s_load_b32 s31, s[16:17], 0x0
	s_ashr_i32 s5, s4, 4
	s_cmp_lt_i32 s4, s33
	s_mov_b32 s47, s44
	s_cselect_b32 s4, s5, s35
	s_mov_b32 s49, s44
	s_ashr_i32 s5, s4, 31
	s_mov_b32 s50, s44
	s_lshl_b64 s[4:5], s[4:5], 2
	s_mov_b32 s51, s44
	s_add_u32 s18, s61, s4
	s_addc_u32 s19, s62, s5
	s_or_b32 s4, s60, 0xa0
	s_load_b32 s28, s[18:19], 0x0
	s_ashr_i32 s5, s4, 4
	s_cmp_lt_i32 s4, s33
	v_dual_mov_b32 v171, s43 :: v_dual_mov_b32 v136, s51
	s_cselect_b32 s4, s5, s35
	v_mov_b32_e32 v170, s42
	s_ashr_i32 s5, s4, 31
	v_dual_mov_b32 v169, s41 :: v_dual_mov_b32 v134, s49
	s_lshl_b64 s[4:5], s[4:5], 2
	v_mov_b32_e32 v168, s40
	s_add_u32 s20, s61, s4
	s_addc_u32 s21, s62, s5
	s_or_b32 s4, s60, 0xb0
	v_dual_mov_b32 v167, s39 :: v_dual_mov_b32 v132, s47
	s_ashr_i32 s6, s4, 4
	s_cmp_lt_i32 s4, s33
	v_mov_b32_e32 v166, s38
	s_cselect_b32 s8, s6, s35
	v_dual_mov_b32 v165, s37 :: v_dual_mov_b32 v130, s45
	s_ashr_i32 s9, s8, 31
	v_mov_b32_e32 v164, s36
	s_lshl_b64 s[8:9], s[8:9], 2
	s_mul_hi_i32 s5, s66, s53
	s_add_u32 s22, s61, s8
	s_addc_u32 s23, s62, s9
	s_or_b32 s8, s60, 0xc0
	s_mul_i32 s4, s66, s53
	s_ashr_i32 s10, s8, 4
	s_cmp_lt_i32 s8, s33
	s_mul_i32 s6, s65, s53
	s_cselect_b32 s24, s10, s35
	s_mul_hi_i32 s9, s64, s53
	s_ashr_i32 s25, s24, 31
	s_mul_i32 s8, s64, s53
	s_lshl_b64 s[24:25], s[24:25], 2
	s_mul_hi_i32 s11, s13, s53
	s_add_u32 s24, s61, s24
	s_addc_u32 s25, s62, s25
	s_or_b32 s26, s60, 0xd0
	s_mul_i32 s10, s13, s53
	s_ashr_i32 s27, s26, 4
	s_cmp_lt_i32 s26, s33
	s_mul_hi_i32 s13, s12, s53
	s_cselect_b32 s26, s27, s35
	s_mul_i32 s12, s12, s53
	s_ashr_i32 s27, s26, 31
	s_mul_hi_i32 s17, s63, s53
	s_lshl_b64 s[18:19], s[26:27], 2
	s_load_b32 s27, s[20:21], 0x0
	s_add_u32 s18, s61, s18
	s_addc_u32 s19, s62, s19
	s_or_b32 s36, s60, 0xe0
	s_waitcnt lgkmcnt(0)
	s_mul_hi_i32 s21, s30, s53
	s_ashr_i32 s37, s36, 4
	s_cmp_lt_i32 s36, s33
	s_mul_i32 s20, s30, s53
	s_cselect_b32 s30, s37, s35
	s_clause 0x2
	s_load_b32 s26, s[22:23], 0x0
	s_load_b32 s25, s[24:25], 0x0
	;; [unrolled: 1-line block ×3, first 2 shown]
	s_mul_hi_i32 s23, s31, s53
	s_mul_i32 s22, s31, s53
	s_ashr_i32 s31, s30, 31
	s_mul_i32 s16, s63, s53
	s_lshl_b64 s[30:31], s[30:31], 2
	s_mul_hi_i32 s19, s29, s53
	s_add_u32 s30, s61, s30
	s_addc_u32 s31, s62, s31
	s_or_b32 s38, s60, 0xf0
	s_mul_i32 s18, s29, s53
	s_ashr_i32 s39, s38, 4
	s_cmp_lt_i32 s38, s33
	s_mul_hi_i32 s29, s28, s53
	s_cselect_b32 s38, s39, s35
	s_mul_i32 s28, s28, s53
	s_ashr_i32 s39, s38, 31
	s_mul_hi_i32 s37, s27, s53
	s_lshl_b64 s[38:39], s[38:39], 2
	s_mul_i32 s36, s27, s53
	s_add_u32 s38, s61, s38
	s_addc_u32 s39, s62, s39
	s_add_u32 s35, s58, s2
	s_addc_u32 s42, s59, s3
	v_add_co_u32 v138, s35, s35, v65
	s_delay_alu instid0(VALU_DEP_1) | instskip(SKIP_2) | instid1(VALU_DEP_2)
	v_add_co_ci_u32_e64 v192, null, s42, 0, s35
	s_lshl_b64 s[2:3], s[4:5], 1
	s_lshl_b64 s[4:5], s[6:7], 1
	v_add_co_u32 v65, vcc_lo, v138, s2
	s_delay_alu instid0(VALU_DEP_2)
	v_add_co_ci_u32_e32 v66, vcc_lo, s3, v192, vcc_lo
	v_add_co_u32 v67, vcc_lo, v138, s4
	s_lshl_b64 s[6:7], s[8:9], 1
	v_add_co_ci_u32_e32 v68, vcc_lo, s5, v192, vcc_lo
	v_add_co_u32 v69, vcc_lo, v138, s6
	s_lshl_b64 s[8:9], s[10:11], 1
	;; [unrolled: 3-line block ×6, first 2 shown]
	s_clause 0x1
	s_load_b32 s30, s[30:31], 0x0
	s_load_b32 s31, s[38:39], 0x0
	v_add_co_ci_u32_e32 v78, vcc_lo, s17, v192, vcc_lo
	v_add_co_u32 v180, vcc_lo, v138, s18
	s_lshl_b64 s[20:21], s[22:23], 1
	v_add_co_ci_u32_e32 v181, vcc_lo, s19, v192, vcc_lo
	v_add_co_u32 v182, vcc_lo, v138, s20
	s_lshl_b64 s[22:23], s[28:29], 1
	;; [unrolled: 3-line block ×3, first 2 shown]
	v_mov_b32_e32 v135, s50
	v_mov_b32_e32 v133, s48
	;; [unrolled: 1-line block ×4, first 2 shown]
	s_waitcnt lgkmcnt(0)
	s_mul_hi_i32 s27, s26, s53
	s_mul_i32 s26, s26, s53
	v_add_co_ci_u32_e32 v185, vcc_lo, s23, v192, vcc_lo
	v_add_co_u32 v186, vcc_lo, v138, s28
	s_lshl_b64 s[26:27], s[26:27], 1
	s_mul_hi_i32 s41, s25, s53
	s_mul_i32 s40, s25, s53
	v_add_co_ci_u32_e32 v187, vcc_lo, s29, v192, vcc_lo
	v_add_co_u32 v188, vcc_lo, v138, s26
	s_lshl_b64 s[36:37], s[40:41], 1
	;; [unrolled: 5-line block ×3, first 2 shown]
	v_add_co_ci_u32_e32 v191, vcc_lo, s37, v192, vcc_lo
	s_mul_hi_i32 s3, s30, s53
	s_mul_i32 s2, s30, s53
	s_mul_hi_i32 s5, s31, s53
	s_lshl_b64 s[2:3], s[2:3], 1
	s_mul_i32 s4, s31, s53
	s_clause 0xf
	global_load_b128 v[121:124], v[65:66], off
	global_load_b128 v[125:128], v[65:66], off offset:16
	global_load_b128 v[113:116], v[67:68], off
	global_load_b128 v[117:120], v[67:68], off offset:16
	;; [unrolled: 2-line block ×8, first 2 shown]
	s_waitcnt vmcnt(30)
	v_wmma_f32_16x16x16_bf16 v[172:179], v[41:48], v[57:64], v[129:136]
	s_waitcnt vmcnt(28)
	v_wmma_f32_16x16x16_bf16 v[129:136], v[49:56], v[57:64], v[129:136]
	s_clause 0x5
	global_load_b128 v[57:60], v[182:183], off
	global_load_b128 v[61:64], v[182:183], off offset:16
	global_load_b128 v[49:52], v[184:185], off
	global_load_b128 v[53:56], v[184:185], off offset:16
	;; [unrolled: 2-line block ×3, first 2 shown]
	s_waitcnt vmcnt(32)
	v_wmma_f32_16x16x16_bf16 v[172:179], v[33:40], v[148:155], v[172:179]
	s_waitcnt vmcnt(30)
	v_wmma_f32_16x16x16_bf16 v[129:136], v[25:32], v[148:155], v[129:136]
	v_add_co_u32 v29, vcc_lo, v138, s24
	v_add_co_ci_u32_e32 v30, vcc_lo, s25, v192, vcc_lo
	v_add_co_u32 v37, vcc_lo, v138, s2
	v_add_co_ci_u32_e32 v38, vcc_lo, s3, v192, vcc_lo
	s_lshl_b64 s[2:3], s[4:5], 1
	s_waitcnt vmcnt(28)
	v_wmma_f32_16x16x16_bf16 v[172:179], v[17:24], v[156:163], v[172:179]
	v_add_co_u32 v148, vcc_lo, v138, s2
	v_add_co_ci_u32_e32 v149, vcc_lo, s3, v192, vcc_lo
	s_clause 0x1
	global_load_b128 v[17:20], v[188:189], off
	global_load_b128 v[21:24], v[188:189], off offset:16
	s_waitcnt vmcnt(28)
	v_wmma_f32_16x16x16_bf16 v[129:136], v[1:8], v[156:163], v[129:136]
	s_clause 0x3
	global_load_b128 v[1:4], v[190:191], off
	global_load_b128 v[5:8], v[190:191], off offset:16
	global_load_b128 v[25:28], v[29:30], off
	global_load_b128 v[29:32], v[29:30], off offset:16
	s_waitcnt vmcnt(30)
	v_wmma_f32_16x16x16_bf16 v[172:179], v[9:16], v[164:171], v[172:179]
	s_clause 0x3
	global_load_b128 v[33:36], v[37:38], off
	global_load_b128 v[37:40], v[37:38], off offset:16
	global_load_b128 v[9:12], v[148:149], off
	global_load_b128 v[13:16], v[148:149], off offset:16
	v_and_b32_e32 v148, 0xe0, v0
	s_waitcnt vmcnt(32)
	v_wmma_f32_16x16x16_bf16 v[129:136], v[140:147], v[164:171], v[129:136]
	v_mbcnt_lo_u32_b32 v140, -1, 0
	v_bfe_u32 v138, v0, 4, 1
	v_mul_f32_e32 v154, s52, v172
	v_add_nc_u32_e32 v141, s60, v148
	v_mul_f32_e32 v155, s52, v173
	v_xor_b32_e32 v142, 16, v140
	v_mul_f32_e32 v153, s52, v175
	s_waitcnt vmcnt(0)
	v_or_b32_e32 v141, v141, v138
	s_barrier
	v_cmp_gt_i32_e32 vcc_lo, 32, v142
	buffer_gl0_inv
	v_or_b32_e32 v143, 4, v141
	v_or_b32_e32 v144, 6, v141
	v_cndmask_b32_e32 v140, v140, v142, vcc_lo
	v_or_b32_e32 v142, 2, v141
	v_cmp_gt_i32_e64 s2, s33, v141
	v_cmp_gt_i32_e64 s3, s33, v143
	;; [unrolled: 1-line block ×3, first 2 shown]
	v_or_b32_e32 v145, 8, v141
	v_cmp_gt_i32_e32 vcc_lo, s33, v142
	v_mul_f32_e32 v142, s52, v174
	v_cndmask_b32_e64 v154, 0xff7fffff, v154, s2
	v_or_b32_e32 v146, 10, v141
	v_cndmask_b32_e64 v143, 0xff7fffff, v153, s4
	v_cndmask_b32_e32 v155, 0xff7fffff, v155, vcc_lo
	v_cndmask_b32_e64 v142, 0xff7fffff, v142, s3
	v_or_b32_e32 v147, 12, v141
	v_or_b32_e32 v148, 14, v141
	;; [unrolled: 1-line block ×3, first 2 shown]
	v_max3_f32 v144, v154, 0xff7fffff, v155
	v_cmp_gt_i32_e64 s5, s33, v146
	v_cmp_gt_i32_e64 s6, s33, v145
	v_dual_mul_f32 v146, s52, v178 :: v_dual_mul_f32 v145, s52, v179
	s_delay_alu instid0(VALU_DEP_4)
	v_max3_f32 v142, v144, v142, v143
	v_dual_mul_f32 v143, s52, v177 :: v_dual_mul_f32 v144, s52, v176
	v_cmp_gt_i32_e64 s7, s33, v147
	v_cmp_gt_i32_e64 s8, s33, v148
	v_cmp_gt_i32_e64 s9, s33, v150
	v_mul_f32_e32 v150, s52, v131
	v_cndmask_b32_e64 v144, 0xff7fffff, v144, s6
	v_cndmask_b32_e64 v143, 0xff7fffff, v143, s5
	v_or_b32_e32 v149, 16, v141
	v_cndmask_b32_e64 v146, 0xff7fffff, v146, s7
	v_mul_f32_e32 v148, s52, v133
	v_cndmask_b32_e64 v145, 0xff7fffff, v145, s8
	v_max3_f32 v142, v142, v144, v143
	v_or_b32_e32 v151, 20, v141
	v_or_b32_e32 v152, 22, v141
	v_mul_f32_e32 v143, s52, v136
	v_cmp_gt_i32_e64 s10, s33, v149
	v_max3_f32 v142, v142, v146, v145
	v_dual_mul_f32 v146, s52, v129 :: v_dual_mul_f32 v145, s52, v130
	v_or_b32_e32 v153, 24, v141
	v_or_b32_e32 v154, 26, v141
	v_mul_f32_e32 v149, s52, v132
	s_delay_alu instid0(VALU_DEP_4)
	v_cndmask_b32_e64 v146, 0xff7fffff, v146, s10
	v_cndmask_b32_e64 v145, 0xff7fffff, v145, s9
	v_cmp_gt_i32_e64 s11, s33, v151
	v_cmp_gt_i32_e64 s12, s33, v152
	v_or_b32_e32 v155, 28, v141
	v_or_b32_e32 v141, 30, v141
	v_mul_f32_e32 v147, s52, v134
	v_cndmask_b32_e64 v150, 0xff7fffff, v150, s11
	v_cndmask_b32_e64 v149, 0xff7fffff, v149, s12
	v_max3_f32 v142, v142, v146, v145
	v_cmp_gt_i32_e64 s13, s33, v153
	v_cmp_gt_i32_e64 s16, s33, v154
	v_mul_f32_e32 v144, s52, v135
	v_cmp_gt_i32_e64 s17, s33, v155
	v_max3_f32 v142, v142, v150, v149
	v_cndmask_b32_e64 v145, 0xff7fffff, v148, s13
	v_cndmask_b32_e64 v146, 0xff7fffff, v147, s16
	v_cmp_gt_i32_e64 s18, s33, v141
	v_cndmask_b32_e64 v144, 0xff7fffff, v144, s17
	v_lshlrev_b32_e32 v151, 2, v140
	s_delay_alu instid0(VALU_DEP_4) | instskip(NEXT) | instid1(VALU_DEP_4)
	v_max3_f32 v142, v142, v145, v146
	v_cndmask_b32_e64 v141, 0xff7fffff, v143, s18
	s_delay_alu instid0(VALU_DEP_1) | instskip(SKIP_3) | instid1(VALU_DEP_1)
	v_max3_f32 v140, v142, v144, v141
	ds_bpermute_b32 v141, v151, v140
	s_waitcnt lgkmcnt(0)
	v_max_f32_e32 v141, v141, v141
	v_max_f32_e32 v142, v140, v141
	s_delay_alu instid0(VALU_DEP_1) | instskip(SKIP_4) | instid1(VALU_DEP_4)
	v_fma_f32 v140, s52, v172, -v142
	v_fma_f32 v143, s52, v174, -v142
	;; [unrolled: 1-line block ×5, first 2 shown]
	v_dual_mul_f32 v140, 0x3fb8aa3b, v140 :: v_dual_mul_f32 v143, 0x3fb8aa3b, v143
	s_delay_alu instid0(VALU_DEP_4) | instskip(SKIP_2) | instid1(VALU_DEP_4)
	v_mul_f32_e32 v130, 0x3fb8aa3b, v130
	v_fma_f32 v148, s52, v178, -v142
	v_mul_f32_e32 v141, 0x3fb8aa3b, v141
	v_exp_f32_e32 v140, v140
	v_exp_f32_e32 v146, v143
	v_mul_f32_e32 v145, 0x3fb8aa3b, v145
	v_fma_f32 v144, s52, v175, -v142
	v_mul_f32_e32 v148, 0x3fb8aa3b, v148
	v_exp_f32_e32 v141, v141
	v_fma_f32 v134, s52, v134, -v142
	v_exp_f32_e32 v149, v145
	v_mul_f32_e32 v144, 0x3fb8aa3b, v144
	v_exp_f32_e32 v150, v148
	v_cndmask_b32_e64 v143, 0, v140, s2
	v_fma_f32 v140, s52, v177, -v142
	v_cndmask_b32_e64 v145, 0, v146, s3
	v_exp_f32_e32 v147, v144
	v_fma_f32 v146, s52, v179, -v142
	v_cndmask_b32_e32 v144, 0, v141, vcc_lo
	v_mul_f32_e32 v140, 0x3fb8aa3b, v140
	v_cndmask_b32_e64 v148, 0, v149, s6
	v_fma_f32 v132, s52, v132, -v142
	v_mul_f32_e32 v134, 0x3fb8aa3b, v134
	v_fma_f32 v129, s52, v129, -v142
	v_exp_f32_e32 v140, v140
	v_mul_f32_e32 v146, 0x3fb8aa3b, v146
	v_cndmask_b32_e64 v147, 0, v147, s4
	v_mul_f32_e32 v132, 0x3fb8aa3b, v132
	v_fma_f32 v136, s52, v136, -v142
	v_mul_f32_e32 v129, 0x3fb8aa3b, v129
	v_exp_f32_e32 v152, v146
	v_fma_f32 v131, s52, v131, -v142
	v_cndmask_b32_e64 v146, 0, v150, s7
	v_exp_f32_e32 v130, v130
	v_cndmask_b32_e64 v149, 0, v140, s5
	v_add_f32_e32 v141, 0, v143
	v_exp_f32_e32 v129, v129
	v_mul_f32_e32 v131, 0x3fb8aa3b, v131
	v_fma_f32 v133, s52, v133, -v142
	s_mov_b32 s3, exec_lo
	v_add_f32_e32 v141, v141, v144
	v_cndmask_b32_e64 v150, 0, v152, s8
	s_delay_alu instid0(VALU_DEP_3) | instskip(NEXT) | instid1(VALU_DEP_3)
	v_mul_f32_e32 v133, 0x3fb8aa3b, v133
	v_add_f32_e32 v141, v141, v145
	s_delay_alu instid0(VALU_DEP_1) | instskip(NEXT) | instid1(VALU_DEP_1)
	v_add_f32_e32 v141, v141, v147
	v_add_f32_e32 v140, v141, v148
	v_exp_f32_e32 v141, v131
	v_cndmask_b32_e64 v131, 0, v129, s10
	s_delay_alu instid0(VALU_DEP_2) | instskip(NEXT) | instid1(VALU_DEP_1)
	v_add_f32_e32 v140, v140, v149
	v_add_f32_e32 v140, v140, v146
	s_delay_alu instid0(VALU_DEP_1)
	v_add_f32_e32 v129, v140, v150
	v_exp_f32_e32 v140, v132
	v_cndmask_b32_e64 v132, 0, v130, s9
	v_fma_f32 v130, s52, v135, -v142
	v_exp_f32_e32 v135, v133
	v_add_f32_e32 v129, v129, v131
	v_cndmask_b32_e64 v133, 0, v141, s11
	v_exp_f32_e32 v141, v134
	s_delay_alu instid0(VALU_DEP_2) | instskip(NEXT) | instid1(TRANS32_DEP_3)
	v_dual_mul_f32 v130, 0x3fb8aa3b, v130 :: v_dual_add_f32 v129, v129, v132
	v_cndmask_b32_e64 v134, 0, v140, s12
	v_mul_f32_e32 v140, 0x3fb8aa3b, v136
	s_delay_alu instid0(VALU_DEP_3) | instskip(NEXT) | instid1(TRANS32_DEP_3)
	v_exp_f32_e32 v130, v130
	v_cndmask_b32_e64 v135, 0, v135, s13
	v_add_f32_e32 v129, v129, v133
	s_delay_alu instid0(TRANS32_DEP_2) | instskip(SKIP_1) | instid1(VALU_DEP_2)
	v_cndmask_b32_e64 v136, 0, v141, s16
	v_exp_f32_e32 v141, v140
	v_add_f32_e32 v129, v129, v134
	s_waitcnt_depctr 0xfff
	v_cndmask_b32_e64 v140, 0, v130, s17
	v_add_f32_e32 v129, v129, v135
	v_cndmask_b32_e64 v141, 0, v141, s18
	s_delay_alu instid0(VALU_DEP_2) | instskip(NEXT) | instid1(VALU_DEP_1)
	v_add_f32_e32 v129, v129, v136
	v_add_f32_e32 v129, v129, v140
	s_delay_alu instid0(VALU_DEP_1) | instskip(SKIP_2) | instid1(VALU_DEP_1)
	v_add_f32_e32 v129, v129, v141
	ds_bpermute_b32 v130, v151, v129
	v_and_b32_e32 v151, 31, v0
	v_cmp_lt_u32_e64 s2, 15, v151
	v_cmpx_gt_u32_e32 16, v151
	s_cbranch_execz .LBB466_11
; %bb.10:
	v_mul_u32_u24_e32 v151, 0x44, v139
	s_delay_alu instid0(VALU_DEP_1) | instskip(SKIP_1) | instid1(VALU_DEP_1)
	v_lshl_add_u32 v151, v137, 2, v151
	s_waitcnt lgkmcnt(0)
	v_dual_add_f32 v129, v129, v130 :: v_dual_add_nc_u32 v130, 0x4000, v151
	ds_store_2addr_b32 v130, v142, v129 offset1:136
.LBB466_11:
	s_or_b32 exec_lo, exec_lo, s3
	v_lshlrev_b32_e32 v129, 2, v137
	s_waitcnt lgkmcnt(0)
	s_barrier
	buffer_gl0_inv
	v_cmp_eq_u32_e64 s3, 1, v139
	v_add_nc_u32_e32 v142, 0x4000, v129
	ds_load_2addr_b32 v[151:152], v142 offset1:17
	ds_load_2addr_b32 v[153:154], v142 offset0:34 offset1:51
	ds_load_2addr_b32 v[155:156], v142 offset0:68 offset1:85
	;; [unrolled: 1-line block ×4, first 2 shown]
	s_waitcnt lgkmcnt(4)
	v_max3_f32 v129, v151, 0xff7fffff, v152
	s_waitcnt lgkmcnt(3)
	s_delay_alu instid0(VALU_DEP_1) | instskip(SKIP_1) | instid1(VALU_DEP_1)
	v_max3_f32 v129, v129, v153, v154
	s_waitcnt lgkmcnt(2)
	v_max3_f32 v129, v129, v155, v156
	s_waitcnt lgkmcnt(1)
	s_delay_alu instid0(VALU_DEP_1) | instskip(NEXT) | instid1(VALU_DEP_1)
	v_max3_f32 v129, v129, v157, v158
	v_sub_f32_e32 v155, v155, v129
	s_delay_alu instid0(VALU_DEP_1) | instskip(NEXT) | instid1(VALU_DEP_1)
	v_dual_sub_f32 v130, v151, v129 :: v_dual_mul_f32 v165, 0x3fb8aa3b, v155
	v_mul_f32_e32 v130, 0x3fb8aa3b, v130
	s_delay_alu instid0(VALU_DEP_1)
	v_exp_f32_e32 v162, v130
	v_sub_f32_e32 v130, v154, v129
	v_sub_f32_e32 v161, v152, v129
	ds_load_2addr_b32 v[151:152], v142 offset0:170 offset1:187
	v_dual_mul_f32 v164, 0x3fb8aa3b, v130 :: v_dual_mul_f32 v161, 0x3fb8aa3b, v161
	s_waitcnt lgkmcnt(1)
	v_fma_f32 v130, v162, v159, 0
	s_delay_alu instid0(VALU_DEP_2) | instskip(NEXT) | instid1(VALU_DEP_2)
	v_exp_f32_e32 v164, v164
	v_exp_f32_e32 v161, v161
	s_waitcnt_depctr 0xfff
	v_fmac_f32_e32 v130, v161, v160
	v_sub_f32_e32 v153, v153, v129
	s_delay_alu instid0(VALU_DEP_1)
	v_mul_f32_e32 v163, 0x3fb8aa3b, v153
	ds_load_2addr_b32 v[153:154], v142 offset0:204 offset1:221
	v_sub_f32_e32 v159, v156, v129
	ds_load_2addr_b32 v[155:156], v142 offset0:238 offset1:255
	s_waitcnt lgkmcnt(0)
	v_exp_f32_e32 v163, v163
	s_barrier
	buffer_gl0_inv
	v_dual_fmac_f32 v130, v163, v151 :: v_dual_sub_f32 v151, v158, v129
	v_dual_sub_f32 v142, v157, v129 :: v_dual_mul_f32 v157, 0x3fb8aa3b, v159
	v_exp_f32_e32 v159, v165
	s_delay_alu instid0(VALU_DEP_2) | instskip(NEXT) | instid1(VALU_DEP_2)
	v_dual_fmac_f32 v130, v164, v152 :: v_dual_mul_f32 v151, 0x3fb8aa3b, v151
	v_mul_f32_e32 v142, 0x3fb8aa3b, v142
	s_delay_alu instid0(VALU_DEP_3) | instskip(NEXT) | instid1(VALU_DEP_2)
	v_exp_f32_e32 v157, v157
	v_exp_f32_e32 v151, v151
	s_delay_alu instid0(VALU_DEP_1)
	v_exp_f32_e32 v142, v142
	v_fmac_f32_e32 v130, v159, v153
	s_delay_alu instid0(TRANS32_DEP_3) | instid1(VALU_DEP_1)
	v_fmac_f32_e32 v130, v157, v154
	s_waitcnt_depctr 0xfff
	v_fmac_f32_e32 v130, v142, v155
	s_delay_alu instid0(VALU_DEP_1) | instskip(NEXT) | instid1(VALU_DEP_1)
	v_fmac_f32_e32 v130, v151, v156
	v_add_f32_e32 v152, 0x358637bd, v130
	s_delay_alu instid0(VALU_DEP_1) | instskip(SKIP_1) | instid1(VALU_DEP_2)
	v_div_scale_f32 v153, null, v152, v152, 1.0
	v_div_scale_f32 v156, vcc_lo, 1.0, v152, 1.0
	v_rcp_f32_e32 v154, v153
	s_waitcnt_depctr 0xfff
	v_fma_f32 v155, -v153, v154, 1.0
	s_delay_alu instid0(VALU_DEP_1) | instskip(SKIP_2) | instid1(VALU_DEP_3)
	v_fmac_f32_e32 v154, v155, v154
	v_cndmask_b32_e64 v155, v162, v161, s3
	v_cmp_eq_u32_e64 s3, 2, v139
	v_mul_f32_e32 v158, v156, v154
	s_delay_alu instid0(VALU_DEP_2) | instskip(SKIP_1) | instid1(VALU_DEP_3)
	v_cndmask_b32_e64 v155, v155, v163, s3
	v_cmp_eq_u32_e64 s3, 3, v139
	v_fma_f32 v160, -v153, v158, v156
	s_delay_alu instid0(VALU_DEP_2) | instskip(SKIP_1) | instid1(VALU_DEP_3)
	v_cndmask_b32_e64 v155, v155, v164, s3
	v_cmp_eq_u32_e64 s3, 4, v139
	v_fmac_f32_e32 v158, v160, v154
	s_delay_alu instid0(VALU_DEP_2) | instskip(NEXT) | instid1(VALU_DEP_2)
	v_cndmask_b32_e64 v155, v155, v159, s3
	v_fma_f32 v153, -v153, v158, v156
	v_cmp_eq_u32_e64 s3, 5, v139
	s_delay_alu instid0(VALU_DEP_2) | instskip(NEXT) | instid1(VALU_DEP_2)
	v_div_fmas_f32 v153, v153, v154, v158
	v_cndmask_b32_e64 v155, v155, v157, s3
	v_cmp_eq_u32_e32 vcc_lo, 6, v139
	s_mov_b32 s3, exec_lo
	s_delay_alu instid0(VALU_DEP_3) | instskip(NEXT) | instid1(VALU_DEP_3)
	v_div_fixup_f32 v152, v153, v152, 1.0
	v_cndmask_b32_e32 v142, v155, v142, vcc_lo
	v_cmp_eq_u32_e32 vcc_lo, 7, v139
	s_delay_alu instid0(VALU_DEP_2) | instskip(NEXT) | instid1(VALU_DEP_1)
	v_cndmask_b32_e32 v142, v142, v151, vcc_lo
	v_mul_f32_e32 v142, v142, v152
	s_delay_alu instid0(VALU_DEP_1)
	v_mul_f32_e32 v152, v142, v143
	v_mul_f32_e32 v143, v142, v150
	;; [unrolled: 1-line block ×5, first 2 shown]
	v_and_b32_e32 v153, 0x7f800000, v152
	v_mul_f32_e32 v151, v142, v147
	v_mul_f32_e32 v147, v142, v144
	;; [unrolled: 1-line block ×3, first 2 shown]
                                        ; implicit-def: $vgpr144
	s_delay_alu instid0(VALU_DEP_4)
	v_cmpx_ne_u32_e32 0x7f800000, v153
	s_xor_b32 s3, exec_lo, s3
; %bb.12:
	v_bfe_u32 v144, v152, 16, 1
	s_delay_alu instid0(VALU_DEP_1)
	v_add3_u32 v144, v152, v144, 0x7fff
                                        ; implicit-def: $vgpr152
; %bb.13:
	s_and_not1_saveexec_b32 s3, s3
; %bb.14:
	v_and_b32_e32 v144, 0xffff, v152
	v_or_b32_e32 v145, 0x10000, v152
	s_delay_alu instid0(VALU_DEP_2) | instskip(NEXT) | instid1(VALU_DEP_2)
	v_cmp_eq_u32_e32 vcc_lo, 0, v144
	v_cndmask_b32_e32 v144, v145, v152, vcc_lo
; %bb.15:
	s_or_b32 exec_lo, exec_lo, s3
	v_and_b32_e32 v145, 0x7f800000, v147
	s_delay_alu instid0(VALU_DEP_1) | instskip(SKIP_1) | instid1(SALU_CYCLE_1)
	v_cmp_ne_u32_e32 vcc_lo, 0x7f800000, v145
                                        ; implicit-def: $vgpr145
	s_and_saveexec_b32 s3, vcc_lo
	s_xor_b32 s3, exec_lo, s3
; %bb.16:
	v_bfe_u32 v145, v147, 16, 1
	s_delay_alu instid0(VALU_DEP_1)
	v_add3_u32 v145, v147, v145, 0x7fff
                                        ; implicit-def: $vgpr147
; %bb.17:
	s_and_not1_saveexec_b32 s3, s3
; %bb.18:
	v_and_b32_e32 v145, 0xffff, v147
	v_or_b32_e32 v152, 0x10000, v147
	s_delay_alu instid0(VALU_DEP_2) | instskip(NEXT) | instid1(VALU_DEP_2)
	v_cmp_eq_u32_e32 vcc_lo, 0, v145
	v_cndmask_b32_e32 v145, v152, v147, vcc_lo
; %bb.19:
	s_or_b32 exec_lo, exec_lo, s3
	v_and_b32_e32 v147, 0x7f800000, v148
	s_delay_alu instid0(VALU_DEP_1) | instskip(SKIP_1) | instid1(SALU_CYCLE_1)
	v_cmp_ne_u32_e32 vcc_lo, 0x7f800000, v147
                                        ; implicit-def: $vgpr147
	s_and_saveexec_b32 s3, vcc_lo
	s_xor_b32 s3, exec_lo, s3
; %bb.20:
	v_bfe_u32 v147, v148, 16, 1
	s_delay_alu instid0(VALU_DEP_1)
	v_add3_u32 v147, v148, v147, 0x7fff
                                        ; implicit-def: $vgpr148
; %bb.21:
	s_and_not1_saveexec_b32 s3, s3
; %bb.22:
	v_and_b32_e32 v147, 0xffff, v148
	v_or_b32_e32 v152, 0x10000, v148
	s_delay_alu instid0(VALU_DEP_2) | instskip(NEXT) | instid1(VALU_DEP_2)
	v_cmp_eq_u32_e32 vcc_lo, 0, v147
	v_cndmask_b32_e32 v147, v152, v148, vcc_lo
; %bb.23:
	s_or_b32 exec_lo, exec_lo, s3
	v_and_b32_e32 v148, 0x7f800000, v151
	s_delay_alu instid0(VALU_DEP_1) | instskip(SKIP_1) | instid1(SALU_CYCLE_1)
	v_cmp_ne_u32_e32 vcc_lo, 0x7f800000, v148
                                        ; implicit-def: $vgpr148
	s_and_saveexec_b32 s3, vcc_lo
	s_xor_b32 s3, exec_lo, s3
; %bb.24:
	v_bfe_u32 v148, v151, 16, 1
	s_delay_alu instid0(VALU_DEP_1)
	v_add3_u32 v148, v151, v148, 0x7fff
                                        ; implicit-def: $vgpr151
; %bb.25:
	s_and_not1_saveexec_b32 s3, s3
; %bb.26:
	v_and_b32_e32 v148, 0xffff, v151
	v_or_b32_e32 v152, 0x10000, v151
	s_delay_alu instid0(VALU_DEP_2) | instskip(NEXT) | instid1(VALU_DEP_2)
	v_cmp_eq_u32_e32 vcc_lo, 0, v148
	v_cndmask_b32_e32 v148, v152, v151, vcc_lo
; %bb.27:
	s_or_b32 exec_lo, exec_lo, s3
	v_and_b32_e32 v151, 0x7f800000, v150
	s_delay_alu instid0(VALU_DEP_1) | instskip(SKIP_1) | instid1(SALU_CYCLE_1)
	v_cmp_ne_u32_e32 vcc_lo, 0x7f800000, v151
                                        ; implicit-def: $vgpr151
	s_and_saveexec_b32 s3, vcc_lo
	s_xor_b32 s3, exec_lo, s3
; %bb.28:
	v_bfe_u32 v151, v150, 16, 1
	s_delay_alu instid0(VALU_DEP_1)
	v_add3_u32 v151, v150, v151, 0x7fff
                                        ; implicit-def: $vgpr150
; %bb.29:
	s_and_not1_saveexec_b32 s3, s3
; %bb.30:
	v_and_b32_e32 v151, 0xffff, v150
	v_or_b32_e32 v152, 0x10000, v150
	s_delay_alu instid0(VALU_DEP_2) | instskip(NEXT) | instid1(VALU_DEP_2)
	v_cmp_eq_u32_e32 vcc_lo, 0, v151
	v_cndmask_b32_e32 v151, v152, v150, vcc_lo
; %bb.31:
	s_or_b32 exec_lo, exec_lo, s3
	v_and_b32_e32 v150, 0x7f800000, v149
	s_delay_alu instid0(VALU_DEP_1) | instskip(SKIP_1) | instid1(SALU_CYCLE_1)
	v_cmp_ne_u32_e32 vcc_lo, 0x7f800000, v150
                                        ; implicit-def: $vgpr150
	s_and_saveexec_b32 s3, vcc_lo
	s_xor_b32 s3, exec_lo, s3
; %bb.32:
	v_bfe_u32 v150, v149, 16, 1
	s_delay_alu instid0(VALU_DEP_1)
	v_add3_u32 v150, v149, v150, 0x7fff
                                        ; implicit-def: $vgpr149
; %bb.33:
	s_and_not1_saveexec_b32 s3, s3
; %bb.34:
	v_and_b32_e32 v150, 0xffff, v149
	v_or_b32_e32 v152, 0x10000, v149
	s_delay_alu instid0(VALU_DEP_2) | instskip(NEXT) | instid1(VALU_DEP_2)
	v_cmp_eq_u32_e32 vcc_lo, 0, v150
	v_cndmask_b32_e32 v150, v152, v149, vcc_lo
; %bb.35:
	s_or_b32 exec_lo, exec_lo, s3
	v_and_b32_e32 v149, 0x7f800000, v146
	s_delay_alu instid0(VALU_DEP_1) | instskip(SKIP_1) | instid1(SALU_CYCLE_1)
	v_cmp_ne_u32_e32 vcc_lo, 0x7f800000, v149
                                        ; implicit-def: $vgpr149
	s_and_saveexec_b32 s3, vcc_lo
	s_xor_b32 s3, exec_lo, s3
; %bb.36:
	v_bfe_u32 v149, v146, 16, 1
	s_delay_alu instid0(VALU_DEP_1)
	v_add3_u32 v149, v146, v149, 0x7fff
                                        ; implicit-def: $vgpr146
; %bb.37:
	s_and_not1_saveexec_b32 s3, s3
; %bb.38:
	v_and_b32_e32 v149, 0xffff, v146
	v_or_b32_e32 v152, 0x10000, v146
	s_delay_alu instid0(VALU_DEP_2) | instskip(NEXT) | instid1(VALU_DEP_2)
	v_cmp_eq_u32_e32 vcc_lo, 0, v149
	v_cndmask_b32_e32 v149, v152, v146, vcc_lo
; %bb.39:
	s_or_b32 exec_lo, exec_lo, s3
	v_and_b32_e32 v146, 0x7f800000, v143
	s_delay_alu instid0(VALU_DEP_1) | instskip(SKIP_1) | instid1(SALU_CYCLE_1)
	v_cmp_ne_u32_e32 vcc_lo, 0x7f800000, v146
                                        ; implicit-def: $vgpr146
	s_and_saveexec_b32 s3, vcc_lo
	s_xor_b32 s3, exec_lo, s3
; %bb.40:
	v_bfe_u32 v146, v143, 16, 1
	s_delay_alu instid0(VALU_DEP_1)
	v_add3_u32 v146, v143, v146, 0x7fff
                                        ; implicit-def: $vgpr143
; %bb.41:
	s_and_not1_saveexec_b32 s3, s3
; %bb.42:
	v_and_b32_e32 v146, 0xffff, v143
	v_or_b32_e32 v152, 0x10000, v143
	s_delay_alu instid0(VALU_DEP_2) | instskip(NEXT) | instid1(VALU_DEP_2)
	v_cmp_eq_u32_e32 vcc_lo, 0, v146
	v_cndmask_b32_e32 v146, v152, v143, vcc_lo
; %bb.43:
	s_or_b32 exec_lo, exec_lo, s3
	s_load_b64 s[36:37], s[0:1], 0x94
	v_lshlrev_b32_e32 v153, 4, v138
	s_delay_alu instid0(VALU_DEP_2)
	v_perm_b32 v152, v146, v149, 0x7060302
	v_dual_mul_f32 v146, v142, v131 :: v_dual_lshlrev_b32 v143, 6, v137
	v_mul_f32_e32 v140, v142, v140
	v_dual_mul_f32 v141, v142, v141 :: v_dual_lshlrev_b32 v154, 11, v139
	v_perm_b32 v151, v150, v151, 0x7060302
	v_perm_b32 v150, v148, v147, 0x7060302
	;; [unrolled: 1-line block ×3, first 2 shown]
	s_delay_alu instid0(VALU_DEP_4)
	v_or3_b32 v131, v153, v154, v143
	v_dual_mul_f32 v136, v142, v136 :: v_dual_and_b32 v147, 0x7f800000, v146
	v_mul_f32_e32 v135, v142, v135
	v_mul_f32_e32 v144, v142, v134
	;; [unrolled: 1-line block ×4, first 2 shown]
	s_mov_b32 s3, exec_lo
	ds_store_b128 v131, v[149:152]
                                        ; implicit-def: $vgpr132
	v_cmpx_ne_u32_e32 0x7f800000, v147
	s_xor_b32 s3, exec_lo, s3
; %bb.44:
	v_bfe_u32 v132, v146, 16, 1
	s_delay_alu instid0(VALU_DEP_1)
	v_add3_u32 v132, v146, v132, 0x7fff
                                        ; implicit-def: $vgpr146
; %bb.45:
	s_and_not1_saveexec_b32 s3, s3
; %bb.46:
	v_and_b32_e32 v132, 0xffff, v146
	v_or_b32_e32 v133, 0x10000, v146
	s_delay_alu instid0(VALU_DEP_2) | instskip(NEXT) | instid1(VALU_DEP_2)
	v_cmp_eq_u32_e32 vcc_lo, 0, v132
	v_cndmask_b32_e32 v132, v133, v146, vcc_lo
; %bb.47:
	s_or_b32 exec_lo, exec_lo, s3
	v_and_b32_e32 v133, 0x7f800000, v134
	s_delay_alu instid0(VALU_DEP_1) | instskip(SKIP_1) | instid1(SALU_CYCLE_1)
	v_cmp_ne_u32_e32 vcc_lo, 0x7f800000, v133
                                        ; implicit-def: $vgpr133
	s_and_saveexec_b32 s3, vcc_lo
	s_xor_b32 s3, exec_lo, s3
; %bb.48:
	v_bfe_u32 v133, v134, 16, 1
	s_delay_alu instid0(VALU_DEP_1)
	v_add3_u32 v133, v134, v133, 0x7fff
                                        ; implicit-def: $vgpr134
; %bb.49:
	s_and_not1_saveexec_b32 s3, s3
; %bb.50:
	v_and_b32_e32 v133, 0xffff, v134
	v_or_b32_e32 v142, 0x10000, v134
	s_delay_alu instid0(VALU_DEP_2) | instskip(NEXT) | instid1(VALU_DEP_2)
	v_cmp_eq_u32_e32 vcc_lo, 0, v133
	v_cndmask_b32_e32 v133, v142, v134, vcc_lo
; %bb.51:
	s_or_b32 exec_lo, exec_lo, s3
	v_and_b32_e32 v134, 0x7f800000, v145
	s_delay_alu instid0(VALU_DEP_1) | instskip(SKIP_1) | instid1(SALU_CYCLE_1)
	v_cmp_ne_u32_e32 vcc_lo, 0x7f800000, v134
                                        ; implicit-def: $vgpr134
	s_and_saveexec_b32 s3, vcc_lo
	s_xor_b32 s3, exec_lo, s3
; %bb.52:
	v_bfe_u32 v134, v145, 16, 1
	s_delay_alu instid0(VALU_DEP_1)
	v_add3_u32 v134, v145, v134, 0x7fff
                                        ; implicit-def: $vgpr145
; %bb.53:
	s_and_not1_saveexec_b32 s3, s3
; %bb.54:
	v_and_b32_e32 v134, 0xffff, v145
	v_or_b32_e32 v142, 0x10000, v145
	s_delay_alu instid0(VALU_DEP_2) | instskip(NEXT) | instid1(VALU_DEP_2)
	v_cmp_eq_u32_e32 vcc_lo, 0, v134
	v_cndmask_b32_e32 v134, v142, v145, vcc_lo
; %bb.55:
	s_or_b32 exec_lo, exec_lo, s3
	v_and_b32_e32 v142, 0x7f800000, v144
	s_delay_alu instid0(VALU_DEP_1) | instskip(SKIP_1) | instid1(SALU_CYCLE_1)
	v_cmp_ne_u32_e32 vcc_lo, 0x7f800000, v142
                                        ; implicit-def: $vgpr142
	s_and_saveexec_b32 s3, vcc_lo
	s_xor_b32 s3, exec_lo, s3
; %bb.56:
	v_bfe_u32 v142, v144, 16, 1
	s_delay_alu instid0(VALU_DEP_1)
	v_add3_u32 v142, v144, v142, 0x7fff
                                        ; implicit-def: $vgpr144
; %bb.57:
	s_and_not1_saveexec_b32 s3, s3
; %bb.58:
	v_and_b32_e32 v142, 0xffff, v144
	v_or_b32_e32 v145, 0x10000, v144
	s_delay_alu instid0(VALU_DEP_2) | instskip(NEXT) | instid1(VALU_DEP_2)
	v_cmp_eq_u32_e32 vcc_lo, 0, v142
	v_cndmask_b32_e32 v142, v145, v144, vcc_lo
; %bb.59:
	s_or_b32 exec_lo, exec_lo, s3
	v_and_b32_e32 v144, 0x7f800000, v135
	s_delay_alu instid0(VALU_DEP_1) | instskip(SKIP_1) | instid1(SALU_CYCLE_1)
	v_cmp_ne_u32_e32 vcc_lo, 0x7f800000, v144
                                        ; implicit-def: $vgpr144
	s_and_saveexec_b32 s3, vcc_lo
	s_xor_b32 s3, exec_lo, s3
; %bb.60:
	v_bfe_u32 v144, v135, 16, 1
	s_delay_alu instid0(VALU_DEP_1)
	v_add3_u32 v144, v135, v144, 0x7fff
                                        ; implicit-def: $vgpr135
; %bb.61:
	s_and_not1_saveexec_b32 s3, s3
; %bb.62:
	v_and_b32_e32 v144, 0xffff, v135
	v_or_b32_e32 v145, 0x10000, v135
	s_delay_alu instid0(VALU_DEP_2) | instskip(NEXT) | instid1(VALU_DEP_2)
	v_cmp_eq_u32_e32 vcc_lo, 0, v144
	v_cndmask_b32_e32 v144, v145, v135, vcc_lo
; %bb.63:
	s_or_b32 exec_lo, exec_lo, s3
	v_and_b32_e32 v135, 0x7f800000, v136
	s_delay_alu instid0(VALU_DEP_1) | instskip(SKIP_1) | instid1(SALU_CYCLE_1)
	v_cmp_ne_u32_e32 vcc_lo, 0x7f800000, v135
                                        ; implicit-def: $vgpr135
	s_and_saveexec_b32 s3, vcc_lo
	s_xor_b32 s3, exec_lo, s3
; %bb.64:
	v_bfe_u32 v135, v136, 16, 1
	s_delay_alu instid0(VALU_DEP_1)
	v_add3_u32 v135, v136, v135, 0x7fff
                                        ; implicit-def: $vgpr136
; %bb.65:
	s_and_not1_saveexec_b32 s3, s3
; %bb.66:
	v_and_b32_e32 v135, 0xffff, v136
	v_or_b32_e32 v145, 0x10000, v136
	s_delay_alu instid0(VALU_DEP_2) | instskip(NEXT) | instid1(VALU_DEP_2)
	v_cmp_eq_u32_e32 vcc_lo, 0, v135
	v_cndmask_b32_e32 v135, v145, v136, vcc_lo
; %bb.67:
	s_or_b32 exec_lo, exec_lo, s3
	v_and_b32_e32 v136, 0x7f800000, v140
	s_delay_alu instid0(VALU_DEP_1) | instskip(SKIP_1) | instid1(SALU_CYCLE_1)
	v_cmp_ne_u32_e32 vcc_lo, 0x7f800000, v136
                                        ; implicit-def: $vgpr136
	s_and_saveexec_b32 s3, vcc_lo
	s_xor_b32 s3, exec_lo, s3
; %bb.68:
	v_bfe_u32 v136, v140, 16, 1
	s_delay_alu instid0(VALU_DEP_1)
	v_add3_u32 v136, v140, v136, 0x7fff
                                        ; implicit-def: $vgpr140
; %bb.69:
	s_and_not1_saveexec_b32 s3, s3
; %bb.70:
	v_and_b32_e32 v136, 0xffff, v140
	v_or_b32_e32 v145, 0x10000, v140
	s_delay_alu instid0(VALU_DEP_2) | instskip(NEXT) | instid1(VALU_DEP_2)
	v_cmp_eq_u32_e32 vcc_lo, 0, v136
	v_cndmask_b32_e32 v136, v145, v140, vcc_lo
; %bb.71:
	s_or_b32 exec_lo, exec_lo, s3
	v_and_b32_e32 v140, 0x7f800000, v141
	s_delay_alu instid0(VALU_DEP_1) | instskip(SKIP_1) | instid1(SALU_CYCLE_1)
	v_cmp_ne_u32_e32 vcc_lo, 0x7f800000, v140
                                        ; implicit-def: $vgpr140
	s_and_saveexec_b32 s3, vcc_lo
	s_xor_b32 s3, exec_lo, s3
; %bb.72:
	v_bfe_u32 v140, v141, 16, 1
	s_delay_alu instid0(VALU_DEP_1)
	v_add3_u32 v140, v141, v140, 0x7fff
                                        ; implicit-def: $vgpr141
; %bb.73:
	s_and_not1_saveexec_b32 s3, s3
; %bb.74:
	v_and_b32_e32 v140, 0xffff, v141
	v_or_b32_e32 v145, 0x10000, v141
	s_delay_alu instid0(VALU_DEP_2) | instskip(NEXT) | instid1(VALU_DEP_2)
	v_cmp_eq_u32_e32 vcc_lo, 0, v140
	v_cndmask_b32_e32 v140, v145, v141, vcc_lo
; %bb.75:
	s_or_b32 exec_lo, exec_lo, s3
	s_delay_alu instid0(VALU_DEP_1)
	v_perm_b32 v136, v140, v136, 0x7060302
	v_perm_b32 v135, v135, v144, 0x7060302
	;; [unrolled: 1-line block ×4, first 2 shown]
	v_lshl_or_b32 v144, v139, 11, v143
	ds_store_b128 v131, v[133:136] offset:1024
	s_waitcnt lgkmcnt(0)
	s_barrier
	buffer_gl0_inv
	ds_load_b128 v[132:135], v144
	ds_load_b128 v[145:148], v144 offset:16
	s_waitcnt lgkmcnt(1)
	v_lshrrev_b32_e32 v136, 16, v132
	s_waitcnt lgkmcnt(0)
	v_lshrrev_b32_e32 v153, 16, v145
	v_lshlrev_b32_e32 v140, 2, v138
	v_lshrrev_b32_e32 v157, 16, v133
	v_lshrrev_b32_e32 v160, 16, v146
	;; [unrolled: 1-line block ×4, first 2 shown]
	v_cmp_eq_u32_e32 vcc_lo, 1, v140
	v_lshrrev_b32_e32 v159, 16, v135
	v_lshrrev_b32_e32 v162, 16, v148
	v_cndmask_b32_e32 v149, v145, v153, vcc_lo
	v_or_b32_e32 v141, 1, v140
	v_cndmask_b32_e32 v142, v132, v136, vcc_lo
	v_cmp_eq_u32_e64 s4, 2, v140
	v_cmp_eq_u32_e64 s7, 3, v140
	;; [unrolled: 1-line block ×5, first 2 shown]
	v_cndmask_b32_e64 v142, v142, v133, s4
	v_cndmask_b32_e64 v149, v149, v146, s4
	v_cmp_eq_u32_e64 s8, 3, v141
	v_cndmask_b32_e64 v150, v132, v136, s3
	v_or_b32_e32 v139, 2, v140
	v_cndmask_b32_e64 v142, v142, v157, s7
	v_cndmask_b32_e64 v149, v149, v160, s7
	v_cndmask_b32_e64 v151, v145, v153, s3
	v_cndmask_b32_e64 v150, v150, v133, s6
	v_cmp_eq_u32_e64 s10, 5, v140
	v_cndmask_b32_e64 v142, v142, v134, s9
	v_cndmask_b32_e64 v149, v149, v147, s9
	v_cmp_eq_u32_e64 s11, 4, v141
	v_cndmask_b32_e64 v150, v150, v157, s8
	v_cmp_eq_u32_e64 s5, 1, v139
	v_cndmask_b32_e64 v151, v151, v146, s6
	v_cndmask_b32_e64 v142, v142, v158, s10
	v_cmp_eq_u32_e64 s12, 6, v140
	v_cndmask_b32_e64 v150, v150, v134, s11
	;; [unrolled: 3-line block ×3, first 2 shown]
	v_cndmask_b32_e64 v151, v151, v160, s8
	v_cndmask_b32_e64 v142, v142, v135, s12
	v_cmp_eq_u32_e64 s16, 7, v140
	v_cndmask_b32_e64 v150, v150, v158, s13
	v_cndmask_b32_e64 v149, v149, v148, s12
	v_cmp_eq_u32_e64 s17, 6, v141
	v_cmp_eq_u32_e64 s18, 2, v139
	v_cndmask_b32_e64 v151, v151, v147, s11
	v_cndmask_b32_e64 v163, v142, v159, s16
	;; [unrolled: 1-line block ×6, first 2 shown]
	v_cmp_eq_u32_e64 s19, 7, v141
	v_cmp_eq_u32_e64 s20, 3, v139
	;; [unrolled: 1-line block ×4, first 2 shown]
	v_cndmask_b32_e64 v149, v149, v146, s18
	v_cndmask_b32_e64 v165, v150, v159, s19
	;; [unrolled: 1-line block ×4, first 2 shown]
	v_or_b32_e32 v142, 3, v140
	v_cndmask_b32_e64 v155, v149, v160, s20
	v_cmp_eq_u32_e64 s25, 6, v139
	v_cndmask_b32_e64 v166, v150, v148, s17
	v_cndmask_b32_e64 v154, v151, v134, s21
	ds_load_b128 v[149:152], v144 offset:1024
	v_cmp_eq_u32_e64 s22, 1, v142
	v_cmp_eq_u32_e64 s24, 2, v142
	;; [unrolled: 1-line block ×3, first 2 shown]
	v_cndmask_b32_e64 v167, v154, v158, s23
	v_cmp_eq_u32_e64 s27, 4, v142
	v_cndmask_b32_e64 v132, v132, v136, s22
	v_cndmask_b32_e64 v136, v155, v147, s21
	;; [unrolled: 1-line block ×3, first 2 shown]
	ds_load_b128 v[153:156], v144 offset:1040
	v_cmp_eq_u32_e64 s28, 7, v139
	v_cndmask_b32_e64 v132, v132, v133, s24
	v_cndmask_b32_e64 v133, v136, v161, s23
	;; [unrolled: 1-line block ×4, first 2 shown]
	v_cmp_eq_u32_e64 s29, 5, v142
	v_cndmask_b32_e64 v132, v132, v157, s26
	v_cmp_eq_u32_e64 s30, 6, v142
	v_cndmask_b32_e64 v136, v136, v160, s26
	v_cndmask_b32_e64 v133, v133, v148, s25
	s_waitcnt lgkmcnt(1)
	v_lshrrev_b32_e32 v157, 16, v149
	v_cndmask_b32_e64 v132, v132, v134, s27
	v_cndmask_b32_e64 v145, v166, v162, s19
	;; [unrolled: 1-line block ×4, first 2 shown]
	v_cndmask_b32_e32 v146, v149, v157, vcc_lo
	v_cndmask_b32_e64 v132, v132, v158, s29
	v_lshrrev_b32_e32 v158, 16, v150
	v_cndmask_b32_e64 v160, v149, v157, s3
	s_waitcnt lgkmcnt(0)
	v_lshrrev_b32_e32 v147, 16, v153
	v_cndmask_b32_e64 v146, v146, v150, s4
	v_cndmask_b32_e64 v134, v134, v161, s29
	;; [unrolled: 1-line block ×4, first 2 shown]
	v_cndmask_b32_e32 v161, v153, v147, vcc_lo
	v_cndmask_b32_e64 v135, v146, v158, s7
	v_cndmask_b32_e64 v146, v160, v150, s6
	;; [unrolled: 1-line block ×3, first 2 shown]
	v_lshrrev_b32_e32 v160, 16, v154
	v_cndmask_b32_e64 v148, v161, v154, s4
	v_cmp_eq_u32_e32 vcc_lo, 7, v142
	v_cndmask_b32_e64 v146, v146, v158, s8
	v_cndmask_b32_e64 v135, v135, v151, s9
	v_lshrrev_b32_e32 v161, 16, v151
	v_cndmask_b32_e64 v148, v148, v160, s7
	v_cndmask_b32_e32 v132, v132, v159, vcc_lo
	v_cndmask_b32_e32 v134, v134, v162, vcc_lo
	v_cndmask_b32_e64 v146, v146, v151, s11
	v_cndmask_b32_e64 v159, v135, v161, s10
	;; [unrolled: 1-line block ×3, first 2 shown]
	v_lshrrev_b32_e32 v162, 16, v155
	v_perm_b32 v135, v134, v132, 0x5040100
	v_cndmask_b32_e64 v132, v146, v161, s13
	v_cndmask_b32_e64 v146, v159, v152, s12
	v_lshrrev_b32_e32 v159, 16, v152
	v_cndmask_b32_e64 v148, v148, v162, s10
	v_perm_b32 v134, v133, v136, 0x5040100
	v_cndmask_b32_e64 v132, v132, v152, s17
	v_perm_b32 v133, v145, v165, 0x5040100
	v_cndmask_b32_e64 v136, v146, v159, s16
	v_cndmask_b32_e64 v145, v148, v156, s12
	;; [unrolled: 1-line block ×28, first 2 shown]
	v_lshrrev_b32_e32 v146, 16, v156
	v_cndmask_b32_e64 v132, v132, v152, s25
	v_cndmask_b32_e64 v148, v148, v152, s30
	;; [unrolled: 1-line block ×6, first 2 shown]
	s_delay_alu instid0(VALU_DEP_4) | instskip(NEXT) | instid1(VALU_DEP_4)
	v_dual_cndmask_b32 v148, v148, v159 :: v_dual_cndmask_b32 v149, v149, v146
	v_cndmask_b32_e64 v150, v150, v146, s28
	s_delay_alu instid0(VALU_DEP_4)
	v_cndmask_b32_e64 v152, v147, v146, s19
	v_cndmask_b32_e64 v145, v145, v146, s16
	v_perm_b32 v132, v164, v163, 0x5040100
	v_perm_b32 v148, v149, v148, 0x5040100
	;; [unrolled: 1-line block ×5, first 2 shown]
	s_mov_b32 s3, exec_lo
	ds_store_b128 v131, v[132:135]
	ds_store_b128 v131, v[145:148] offset:1024
	v_cmpx_eq_u32_e32 0, v0
	s_cbranch_execz .LBB466_77
; %bb.76:
	s_load_b128 s[4:7], s[0:1], 0x58
	s_mul_i32 s8, s37, s34
	v_mov_b32_e32 v131, 0
	s_add_i32 s8, s8, s15
	s_delay_alu instid0(SALU_CYCLE_1) | instskip(NEXT) | instid1(SALU_CYCLE_1)
	s_mul_i32 s8, s8, s36
	s_add_i32 s8, s8, s14
	s_delay_alu instid0(SALU_CYCLE_1) | instskip(NEXT) | instid1(SALU_CYCLE_1)
	s_ashr_i32 s9, s8, 31
	s_lshl_b64 s[8:9], s[8:9], 2
	s_waitcnt lgkmcnt(0)
	s_add_u32 s6, s6, s8
	s_addc_u32 s7, s7, s9
	s_add_u32 s4, s4, s8
	s_addc_u32 s5, s5, s9
	s_clause 0x1
	global_store_b32 v131, v129, s[6:7]
	global_store_b32 v131, v130, s[4:5]
.LBB466_77:
	s_or_b32 exec_lo, exec_lo, s3
	s_waitcnt lgkmcnt(0)
	s_waitcnt_vscnt null, 0x0
	s_barrier
	buffer_gl0_inv
	ds_load_b128 v[145:148], v143
	ds_load_b128 v[149:152], v143 offset:16
	ds_load_b128 v[157:160], v143 offset:1040
	;; [unrolled: 1-line block ×3, first 2 shown]
	v_mov_b32_e32 v129, 0
	ds_load_b128 v[165:168], v143 offset:2064
	ds_load_b128 v[161:164], v143 offset:2048
	v_mov_b32_e32 v130, v129
	v_mov_b32_e32 v131, v129
	v_mov_b32_e32 v132, v129
	v_mov_b32_e32 v133, v129
	v_mov_b32_e32 v134, v129
	v_mov_b32_e32 v135, v129
	v_mov_b32_e32 v136, v129
	s_waitcnt lgkmcnt(4)
	s_delay_alu instid0(VALU_DEP_1)
	v_wmma_f32_16x16x16_bf16 v[129:136], v[121:128], v[145:152], v[129:136]
	ds_load_b128 v[125:128], v143 offset:3088
	ds_load_b128 v[121:124], v143 offset:3072
	;; [unrolled: 1-line block ×4, first 2 shown]
	s_waitcnt lgkmcnt(6)
	v_wmma_f32_16x16x16_bf16 v[129:136], v[113:120], v[153:160], v[129:136]
	ds_load_b128 v[117:120], v143 offset:5136
	ds_load_b128 v[113:116], v143 offset:5120
	;; [unrolled: 1-line block ×4, first 2 shown]
	s_waitcnt lgkmcnt(8)
	v_wmma_f32_16x16x16_bf16 v[129:136], v[105:112], v[161:168], v[129:136]
	ds_load_b128 v[109:112], v143 offset:7184
	ds_load_b128 v[105:108], v143 offset:7168
	s_waitcnt lgkmcnt(8)
	v_wmma_f32_16x16x16_bf16 v[129:136], v[97:104], v[121:128], v[129:136]
	ds_load_b128 v[101:104], v143 offset:8208
	ds_load_b128 v[97:100], v143 offset:8192
	;; [unrolled: 4-line block ×5, first 2 shown]
	s_waitcnt lgkmcnt(8)
	v_wmma_f32_16x16x16_bf16 v[129:136], v[65:72], v[105:112], v[129:136]
	s_waitcnt lgkmcnt(6)
	s_delay_alu instid0(VALU_DEP_1)
	v_wmma_f32_16x16x16_bf16 v[129:136], v[57:64], v[97:104], v[129:136]
	ds_load_b128 v[61:64], v143 offset:12304
	ds_load_b128 v[57:60], v143 offset:12288
	s_waitcnt lgkmcnt(6)
	v_wmma_f32_16x16x16_bf16 v[129:136], v[49:56], v[89:96], v[129:136]
	ds_load_b128 v[53:56], v143 offset:13328
	ds_load_b128 v[49:52], v143 offset:13312
	s_waitcnt lgkmcnt(6)
	;; [unrolled: 4-line block ×4, first 2 shown]
	v_wmma_f32_16x16x16_bf16 v[129:136], v[1:8], v[57:64], v[129:136]
	s_waitcnt lgkmcnt(4)
	s_delay_alu instid0(VALU_DEP_1) | instskip(SKIP_1) | instid1(VALU_DEP_1)
	v_wmma_f32_16x16x16_bf16 v[129:136], v[25:32], v[49:56], v[129:136]
	s_waitcnt lgkmcnt(2)
	v_wmma_f32_16x16x16_bf16 v[129:136], v[33:40], v[41:48], v[129:136]
	s_waitcnt lgkmcnt(0)
	s_delay_alu instid0(VALU_DEP_1) | instskip(NEXT) | instid1(VALU_DEP_1)
	v_wmma_f32_16x16x16_bf16 v[129:136], v[9:16], v[17:24], v[129:136]
	v_and_b32_e32 v1, 0x7f800000, v129
	s_delay_alu instid0(VALU_DEP_1) | instskip(SKIP_1) | instid1(SALU_CYCLE_1)
	v_cmp_ne_u32_e32 vcc_lo, 0x7f800000, v1
                                        ; implicit-def: $vgpr1
	s_and_saveexec_b32 s3, vcc_lo
	s_xor_b32 s3, exec_lo, s3
; %bb.78:
	v_bfe_u32 v1, v129, 16, 1
	s_delay_alu instid0(VALU_DEP_1)
	v_add3_u32 v1, v129, v1, 0x7fff
; %bb.79:
	s_and_not1_saveexec_b32 s3, s3
; %bb.80:
	v_and_b32_e32 v1, 0xffff, v129
	v_or_b32_e32 v2, 0x10000, v129
	s_delay_alu instid0(VALU_DEP_2) | instskip(NEXT) | instid1(VALU_DEP_2)
	v_cmp_eq_u32_e32 vcc_lo, 0, v1
	v_cndmask_b32_e32 v1, v2, v129, vcc_lo
; %bb.81:
	s_or_b32 exec_lo, exec_lo, s3
	v_and_b32_e32 v2, 0x7f800000, v130
	s_delay_alu instid0(VALU_DEP_1) | instskip(SKIP_1) | instid1(SALU_CYCLE_1)
	v_cmp_ne_u32_e32 vcc_lo, 0x7f800000, v2
                                        ; implicit-def: $vgpr2
	s_and_saveexec_b32 s3, vcc_lo
	s_xor_b32 s3, exec_lo, s3
; %bb.82:
	v_bfe_u32 v2, v130, 16, 1
	s_delay_alu instid0(VALU_DEP_1)
	v_add3_u32 v2, v130, v2, 0x7fff
; %bb.83:
	s_and_not1_saveexec_b32 s3, s3
; %bb.84:
	v_and_b32_e32 v2, 0xffff, v130
	v_or_b32_e32 v3, 0x10000, v130
	s_delay_alu instid0(VALU_DEP_2) | instskip(NEXT) | instid1(VALU_DEP_2)
	v_cmp_eq_u32_e32 vcc_lo, 0, v2
	v_cndmask_b32_e32 v2, v3, v130, vcc_lo
; %bb.85:
	s_or_b32 exec_lo, exec_lo, s3
	v_and_b32_e32 v3, 0x7f800000, v131
	s_delay_alu instid0(VALU_DEP_1) | instskip(SKIP_1) | instid1(SALU_CYCLE_1)
	v_cmp_ne_u32_e32 vcc_lo, 0x7f800000, v3
                                        ; implicit-def: $vgpr3
	s_and_saveexec_b32 s3, vcc_lo
	s_xor_b32 s3, exec_lo, s3
; %bb.86:
	v_bfe_u32 v3, v131, 16, 1
	s_delay_alu instid0(VALU_DEP_1)
	v_add3_u32 v3, v131, v3, 0x7fff
; %bb.87:
	s_and_not1_saveexec_b32 s3, s3
; %bb.88:
	v_and_b32_e32 v3, 0xffff, v131
	v_or_b32_e32 v4, 0x10000, v131
	s_delay_alu instid0(VALU_DEP_2) | instskip(NEXT) | instid1(VALU_DEP_2)
	v_cmp_eq_u32_e32 vcc_lo, 0, v3
	v_cndmask_b32_e32 v3, v4, v131, vcc_lo
; %bb.89:
	s_or_b32 exec_lo, exec_lo, s3
	v_and_b32_e32 v4, 0x7f800000, v132
	s_delay_alu instid0(VALU_DEP_1) | instskip(SKIP_1) | instid1(SALU_CYCLE_1)
	v_cmp_ne_u32_e32 vcc_lo, 0x7f800000, v4
                                        ; implicit-def: $vgpr4
	s_and_saveexec_b32 s3, vcc_lo
	s_xor_b32 s3, exec_lo, s3
; %bb.90:
	v_bfe_u32 v4, v132, 16, 1
	s_delay_alu instid0(VALU_DEP_1)
	v_add3_u32 v4, v132, v4, 0x7fff
; %bb.91:
	s_and_not1_saveexec_b32 s3, s3
; %bb.92:
	v_and_b32_e32 v4, 0xffff, v132
	v_or_b32_e32 v5, 0x10000, v132
	s_delay_alu instid0(VALU_DEP_2) | instskip(NEXT) | instid1(VALU_DEP_2)
	v_cmp_eq_u32_e32 vcc_lo, 0, v4
	v_cndmask_b32_e32 v4, v5, v132, vcc_lo
; %bb.93:
	s_or_b32 exec_lo, exec_lo, s3
	v_and_b32_e32 v5, 0x7f800000, v133
	s_delay_alu instid0(VALU_DEP_1) | instskip(SKIP_1) | instid1(SALU_CYCLE_1)
	v_cmp_ne_u32_e32 vcc_lo, 0x7f800000, v5
                                        ; implicit-def: $vgpr5
	s_and_saveexec_b32 s3, vcc_lo
	s_xor_b32 s3, exec_lo, s3
; %bb.94:
	v_bfe_u32 v5, v133, 16, 1
	s_delay_alu instid0(VALU_DEP_1)
	v_add3_u32 v5, v133, v5, 0x7fff
; %bb.95:
	s_and_not1_saveexec_b32 s3, s3
; %bb.96:
	v_and_b32_e32 v5, 0xffff, v133
	v_or_b32_e32 v6, 0x10000, v133
	s_delay_alu instid0(VALU_DEP_2) | instskip(NEXT) | instid1(VALU_DEP_2)
	v_cmp_eq_u32_e32 vcc_lo, 0, v5
	v_cndmask_b32_e32 v5, v6, v133, vcc_lo
; %bb.97:
	s_or_b32 exec_lo, exec_lo, s3
	v_and_b32_e32 v6, 0x7f800000, v134
	s_delay_alu instid0(VALU_DEP_1) | instskip(SKIP_1) | instid1(SALU_CYCLE_1)
	v_cmp_ne_u32_e32 vcc_lo, 0x7f800000, v6
                                        ; implicit-def: $vgpr6
	s_and_saveexec_b32 s3, vcc_lo
	s_xor_b32 s3, exec_lo, s3
; %bb.98:
	v_bfe_u32 v6, v134, 16, 1
	s_delay_alu instid0(VALU_DEP_1)
	v_add3_u32 v6, v134, v6, 0x7fff
; %bb.99:
	s_and_not1_saveexec_b32 s3, s3
; %bb.100:
	v_and_b32_e32 v6, 0xffff, v134
	v_or_b32_e32 v7, 0x10000, v134
	s_delay_alu instid0(VALU_DEP_2) | instskip(NEXT) | instid1(VALU_DEP_2)
	v_cmp_eq_u32_e32 vcc_lo, 0, v6
	v_cndmask_b32_e32 v6, v7, v134, vcc_lo
; %bb.101:
	s_or_b32 exec_lo, exec_lo, s3
	v_and_b32_e32 v7, 0x7f800000, v135
	s_delay_alu instid0(VALU_DEP_1) | instskip(SKIP_1) | instid1(SALU_CYCLE_1)
	v_cmp_ne_u32_e32 vcc_lo, 0x7f800000, v7
                                        ; implicit-def: $vgpr7
	s_and_saveexec_b32 s3, vcc_lo
	s_xor_b32 s3, exec_lo, s3
; %bb.102:
	v_bfe_u32 v7, v135, 16, 1
	s_delay_alu instid0(VALU_DEP_1)
	v_add3_u32 v7, v135, v7, 0x7fff
; %bb.103:
	s_and_not1_saveexec_b32 s3, s3
; %bb.104:
	v_and_b32_e32 v7, 0xffff, v135
	v_or_b32_e32 v8, 0x10000, v135
	s_delay_alu instid0(VALU_DEP_2) | instskip(NEXT) | instid1(VALU_DEP_2)
	v_cmp_eq_u32_e32 vcc_lo, 0, v7
	v_cndmask_b32_e32 v7, v8, v135, vcc_lo
; %bb.105:
	s_or_b32 exec_lo, exec_lo, s3
	v_and_b32_e32 v8, 0x7f800000, v136
	s_delay_alu instid0(VALU_DEP_1) | instskip(SKIP_1) | instid1(SALU_CYCLE_1)
	v_cmp_ne_u32_e32 vcc_lo, 0x7f800000, v8
                                        ; implicit-def: $vgpr8
	s_and_saveexec_b32 s3, vcc_lo
	s_xor_b32 s3, exec_lo, s3
; %bb.106:
	v_bfe_u32 v8, v136, 16, 1
	s_delay_alu instid0(VALU_DEP_1)
	v_add3_u32 v8, v136, v8, 0x7fff
                                        ; implicit-def: $vgpr129_vgpr130_vgpr131_vgpr132_vgpr133_vgpr134_vgpr135_vgpr136
; %bb.107:
	s_and_not1_saveexec_b32 s3, s3
; %bb.108:
	v_and_b32_e32 v8, 0xffff, v136
	v_or_b32_e32 v9, 0x10000, v136
	s_delay_alu instid0(VALU_DEP_2) | instskip(NEXT) | instid1(VALU_DEP_2)
	v_cmp_eq_u32_e32 vcc_lo, 0, v8
	v_cndmask_b32_e32 v8, v9, v136, vcc_lo
; %bb.109:
	s_or_b32 exec_lo, exec_lo, s3
	s_delay_alu instid0(VALU_DEP_1)
	v_perm_b32 v7, v8, v7, 0x7060302
	v_perm_b32 v6, v6, v5, 0x7060302
	;; [unrolled: 1-line block ×4, first 2 shown]
	v_lshl_or_b32 v9, v138, 4, v144
	s_barrier
	buffer_gl0_inv
	v_cmp_eq_u32_e32 vcc_lo, 1, v140
	ds_store_b128 v9, v[4:7]
	s_waitcnt lgkmcnt(0)
	s_barrier
	buffer_gl0_inv
	ds_load_b128 v[1:4], v144
	ds_load_b128 v[5:8], v144 offset:16
	v_cmp_eq_u32_e64 s4, 2, v140
	v_cmp_eq_u32_e64 s3, 1, v141
	;; [unrolled: 1-line block ×5, first 2 shown]
	s_waitcnt lgkmcnt(1)
	v_lshrrev_b32_e32 v10, 16, v1
	s_waitcnt lgkmcnt(0)
	v_lshrrev_b32_e32 v14, 16, v5
	v_lshrrev_b32_e32 v15, 16, v6
	;; [unrolled: 1-line block ×4, first 2 shown]
	v_cndmask_b32_e64 v20, v1, v10, s3
	v_cndmask_b32_e32 v19, v5, v14, vcc_lo
	v_cndmask_b32_e64 v21, v5, v14, s3
	v_lshrrev_b32_e32 v16, 16, v7
	v_cmp_eq_u32_e64 s3, 1, v139
	v_lshrrev_b32_e32 v13, 16, v4
	v_cndmask_b32_e64 v19, v19, v6, s4
	v_lshrrev_b32_e32 v17, 16, v8
	s_delay_alu instid0(VALU_DEP_4) | instskip(SKIP_1) | instid1(VALU_DEP_4)
	v_cndmask_b32_e64 v22, v1, v10, s3
	v_cndmask_b32_e64 v23, v5, v14, s3
	;; [unrolled: 1-line block ×3, first 2 shown]
	v_cndmask_b32_e32 v18, v1, v10, vcc_lo
	v_cmp_eq_u32_e32 vcc_lo, 2, v141
	v_cmp_eq_u32_e64 s3, 2, v142
	v_cndmask_b32_e64 v22, v22, v2, s7
	v_cndmask_b32_e32 v20, v20, v2, vcc_lo
	v_cndmask_b32_e32 v21, v21, v6, vcc_lo
	v_cmp_eq_u32_e32 vcc_lo, 4, v140
	v_cndmask_b32_e32 v19, v19, v7, vcc_lo
	v_cndmask_b32_e64 v18, v18, v2, s4
	v_cmp_eq_u32_e64 s4, 3, v141
	s_delay_alu instid0(VALU_DEP_2) | instskip(NEXT) | instid1(VALU_DEP_2)
	v_cndmask_b32_e64 v18, v18, v11, s5
	v_cndmask_b32_e64 v21, v21, v15, s4
	v_cmp_eq_u32_e64 s5, 5, v140
	s_delay_alu instid0(VALU_DEP_3) | instskip(SKIP_1) | instid1(VALU_DEP_3)
	v_cndmask_b32_e32 v18, v18, v3, vcc_lo
	v_cmp_eq_u32_e32 vcc_lo, 4, v141
	v_cndmask_b32_e64 v19, v19, v16, s5
	s_delay_alu instid0(VALU_DEP_3) | instskip(SKIP_4) | instid1(VALU_DEP_3)
	v_cndmask_b32_e64 v18, v18, v12, s5
	v_cndmask_b32_e32 v21, v21, v7, vcc_lo
	v_cndmask_b32_e64 v20, v20, v11, s4
	v_cmp_eq_u32_e64 s4, 5, v141
	v_cmp_eq_u32_e64 s5, 6, v140
	v_cndmask_b32_e32 v20, v20, v3, vcc_lo
	s_delay_alu instid0(VALU_DEP_3) | instskip(SKIP_1) | instid1(VALU_DEP_4)
	v_cndmask_b32_e64 v21, v21, v16, s4
	v_cmp_eq_u32_e32 vcc_lo, 6, v141
	v_cndmask_b32_e64 v18, v18, v4, s5
	v_cndmask_b32_e64 v19, v19, v8, s5
	;; [unrolled: 1-line block ×3, first 2 shown]
	v_cmp_eq_u32_e64 s4, 1, v142
	v_cmp_eq_u32_e64 s5, 7, v140
	s_delay_alu instid0(VALU_DEP_3) | instskip(NEXT) | instid1(VALU_DEP_3)
	v_cndmask_b32_e32 v20, v20, v4, vcc_lo
	v_cndmask_b32_e64 v1, v1, v10, s4
	v_cndmask_b32_e64 v5, v5, v14, s4
	v_cmp_eq_u32_e64 s4, 3, v139
	v_cndmask_b32_e64 v14, v23, v6, s7
	v_cmp_eq_u32_e64 s7, 3, v142
	v_cndmask_b32_e64 v1, v1, v2, s3
	v_cndmask_b32_e64 v2, v5, v6, s3
	;; [unrolled: 1-line block ×3, first 2 shown]
	v_cmp_eq_u32_e64 s3, 4, v139
	v_cndmask_b32_e64 v6, v14, v15, s4
	v_cndmask_b32_e64 v1, v1, v11, s7
	v_cmp_eq_u32_e64 s4, 4, v142
	v_cndmask_b32_e64 v2, v2, v15, s7
	v_cndmask_b32_e64 v5, v10, v3, s3
	;; [unrolled: 3-line block ×3, first 2 shown]
	v_cndmask_b32_e64 v2, v2, v7, s4
	v_cmp_eq_u32_e64 s3, 5, v142
	v_cndmask_b32_e64 v5, v5, v12, s7
	v_cndmask_b32_e64 v3, v6, v16, s7
	v_cmp_eq_u32_e64 s7, 6, v142
	v_cmp_eq_u32_e64 s4, 6, v139
	v_cndmask_b32_e64 v1, v1, v12, s3
	v_cndmask_b32_e64 v2, v2, v16, s3
	v_cmp_eq_u32_e64 s3, 7, v142
	v_cndmask_b32_e64 v18, v18, v13, s5
	v_cndmask_b32_e64 v5, v5, v4, s4
	;; [unrolled: 1-line block ×5, first 2 shown]
	v_cmp_eq_u32_e64 s4, 7, v139
	v_cndmask_b32_e32 v4, v21, v8, vcc_lo
	v_cndmask_b32_e64 v1, v1, v13, s3
	v_cndmask_b32_e64 v2, v2, v17, s3
	v_cmp_lt_u32_e32 vcc_lo, 31, v0
	v_cmp_lt_u32_e64 s3, 7, v137
	v_cndmask_b32_e64 v20, v20, v13, s6
	v_cndmask_b32_e64 v5, v5, v13, s4
	;; [unrolled: 1-line block ×5, first 2 shown]
	s_or_b32 s3, vcc_lo, s3
	v_perm_b32 v4, v2, v1, 0x5040100
	v_perm_b32 v3, v3, v5, 0x5040100
	v_perm_b32 v2, v6, v20, 0x5040100
	v_perm_b32 v1, v7, v18, 0x5040100
	s_or_b32 s2, s2, s3
	s_delay_alu instid0(SALU_CYCLE_1)
	s_xor_b32 s2, s2, -1
	ds_store_b128 v9, v[1:4]
	s_waitcnt lgkmcnt(0)
	s_barrier
	buffer_gl0_inv
	s_and_saveexec_b32 s3, s2
	s_cbranch_execz .LBB466_2
; %bb.110:
	s_load_b64 s[0:1], s[0:1], 0x68
	v_lshlrev_b32_e32 v1, 10, v0
	v_and_b32_e32 v0, 1, v0
	v_lshlrev_b32_e32 v2, 6, v138
	s_lshl_b32 s4, s36, 6
	v_lshlrev_b32_e32 v4, 4, v137
	v_and_b32_e32 v1, 0x3800, v1
	v_lshlrev_b32_e32 v0, 4, v0
	s_mul_i32 s2, s4, s34
	s_delay_alu instid0(SALU_CYCLE_1) | instskip(NEXT) | instid1(VALU_DEP_1)
	s_mul_i32 s2, s2, s37
	v_or3_b32 v0, v1, v2, v0
	s_ashr_i32 s3, s2, 31
	s_delay_alu instid0(SALU_CYCLE_1)
	s_lshl_b64 s[2:3], s[2:3], 1
	ds_load_b128 v[0:3], v0
	s_waitcnt lgkmcnt(0)
	s_add_u32 s5, s0, s2
	s_addc_u32 s3, s1, s3
	s_lshl_b32 s0, s14, 6
	s_mul_i32 s2, s4, s15
	s_ashr_i32 s1, s0, 31
	s_delay_alu instid0(SALU_CYCLE_1) | instskip(NEXT) | instid1(SALU_CYCLE_1)
	s_lshl_b64 s[0:1], s[0:1], 1
	s_add_u32 s4, s5, s0
	s_addc_u32 s5, s3, s1
	s_ashr_i32 s3, s2, 31
	s_delay_alu instid0(SALU_CYCLE_1) | instskip(NEXT) | instid1(SALU_CYCLE_1)
	s_lshl_b64 s[0:1], s[2:3], 1
	s_add_u32 s0, s4, s0
	s_addc_u32 s1, s5, s1
	global_store_b128 v4, v[0:3], s[0:1]
	s_nop 0
	s_sendmsg sendmsg(MSG_DEALLOC_VGPRS)
	s_endpgm
	.section	.rodata,"a",@progbits
	.p2align	6, 0x0
	.amdhsa_kernel _Z39paged_attention_ll4mi_QKV_mfma16_kernelI14__hip_bfloat16S0_LN4vllm18Fp8KVCacheDataTypeE0ES0_Li16ELi64ELi256ELb1ELi1EL8MFMAType0EEvPKT_PKT0_S9_ifPKiSB_SB_iPKfiiiPfSE_PS4_PT2_iSD_SD_
		.amdhsa_group_segment_fixed_size 17472
		.amdhsa_private_segment_fixed_size 0
		.amdhsa_kernarg_size 400
		.amdhsa_user_sgpr_count 13
		.amdhsa_user_sgpr_dispatch_ptr 0
		.amdhsa_user_sgpr_queue_ptr 0
		.amdhsa_user_sgpr_kernarg_segment_ptr 1
		.amdhsa_user_sgpr_dispatch_id 0
		.amdhsa_user_sgpr_private_segment_size 0
		.amdhsa_wavefront_size32 1
		.amdhsa_uses_dynamic_stack 0
		.amdhsa_enable_private_segment 0
		.amdhsa_system_sgpr_workgroup_id_x 1
		.amdhsa_system_sgpr_workgroup_id_y 1
		.amdhsa_system_sgpr_workgroup_id_z 1
		.amdhsa_system_sgpr_workgroup_info 0
		.amdhsa_system_vgpr_workitem_id 0
		.amdhsa_next_free_vgpr 193
		.amdhsa_next_free_sgpr 67
		.amdhsa_reserve_vcc 1
		.amdhsa_float_round_mode_32 0
		.amdhsa_float_round_mode_16_64 0
		.amdhsa_float_denorm_mode_32 3
		.amdhsa_float_denorm_mode_16_64 3
		.amdhsa_dx10_clamp 1
		.amdhsa_ieee_mode 1
		.amdhsa_fp16_overflow 0
		.amdhsa_workgroup_processor_mode 1
		.amdhsa_memory_ordered 1
		.amdhsa_forward_progress 0
		.amdhsa_shared_vgpr_count 0
		.amdhsa_exception_fp_ieee_invalid_op 0
		.amdhsa_exception_fp_denorm_src 0
		.amdhsa_exception_fp_ieee_div_zero 0
		.amdhsa_exception_fp_ieee_overflow 0
		.amdhsa_exception_fp_ieee_underflow 0
		.amdhsa_exception_fp_ieee_inexact 0
		.amdhsa_exception_int_div_zero 0
	.end_amdhsa_kernel
	.section	.text._Z39paged_attention_ll4mi_QKV_mfma16_kernelI14__hip_bfloat16S0_LN4vllm18Fp8KVCacheDataTypeE0ES0_Li16ELi64ELi256ELb1ELi1EL8MFMAType0EEvPKT_PKT0_S9_ifPKiSB_SB_iPKfiiiPfSE_PS4_PT2_iSD_SD_,"axG",@progbits,_Z39paged_attention_ll4mi_QKV_mfma16_kernelI14__hip_bfloat16S0_LN4vllm18Fp8KVCacheDataTypeE0ES0_Li16ELi64ELi256ELb1ELi1EL8MFMAType0EEvPKT_PKT0_S9_ifPKiSB_SB_iPKfiiiPfSE_PS4_PT2_iSD_SD_,comdat
.Lfunc_end466:
	.size	_Z39paged_attention_ll4mi_QKV_mfma16_kernelI14__hip_bfloat16S0_LN4vllm18Fp8KVCacheDataTypeE0ES0_Li16ELi64ELi256ELb1ELi1EL8MFMAType0EEvPKT_PKT0_S9_ifPKiSB_SB_iPKfiiiPfSE_PS4_PT2_iSD_SD_, .Lfunc_end466-_Z39paged_attention_ll4mi_QKV_mfma16_kernelI14__hip_bfloat16S0_LN4vllm18Fp8KVCacheDataTypeE0ES0_Li16ELi64ELi256ELb1ELi1EL8MFMAType0EEvPKT_PKT0_S9_ifPKiSB_SB_iPKfiiiPfSE_PS4_PT2_iSD_SD_
                                        ; -- End function
	.section	.AMDGPU.csdata,"",@progbits
; Kernel info:
; codeLenInByte = 9680
; NumSgprs: 69
; NumVgprs: 193
; ScratchSize: 0
; MemoryBound: 1
; FloatMode: 240
; IeeeMode: 1
; LDSByteSize: 17472 bytes/workgroup (compile time only)
; SGPRBlocks: 8
; VGPRBlocks: 24
; NumSGPRsForWavesPerEU: 69
; NumVGPRsForWavesPerEU: 193
; Occupancy: 7
; WaveLimiterHint : 1
; COMPUTE_PGM_RSRC2:SCRATCH_EN: 0
; COMPUTE_PGM_RSRC2:USER_SGPR: 13
; COMPUTE_PGM_RSRC2:TRAP_HANDLER: 0
; COMPUTE_PGM_RSRC2:TGID_X_EN: 1
; COMPUTE_PGM_RSRC2:TGID_Y_EN: 1
; COMPUTE_PGM_RSRC2:TGID_Z_EN: 1
; COMPUTE_PGM_RSRC2:TIDIG_COMP_CNT: 0
	.section	.text._Z39paged_attention_ll4mi_QKV_mfma16_kernelI14__hip_bfloat16S0_LN4vllm18Fp8KVCacheDataTypeE0ES0_Li16ELi64ELi256ELb1ELi2EL8MFMAType0EEvPKT_PKT0_S9_ifPKiSB_SB_iPKfiiiPfSE_PS4_PT2_iSD_SD_,"axG",@progbits,_Z39paged_attention_ll4mi_QKV_mfma16_kernelI14__hip_bfloat16S0_LN4vllm18Fp8KVCacheDataTypeE0ES0_Li16ELi64ELi256ELb1ELi2EL8MFMAType0EEvPKT_PKT0_S9_ifPKiSB_SB_iPKfiiiPfSE_PS4_PT2_iSD_SD_,comdat
	.protected	_Z39paged_attention_ll4mi_QKV_mfma16_kernelI14__hip_bfloat16S0_LN4vllm18Fp8KVCacheDataTypeE0ES0_Li16ELi64ELi256ELb1ELi2EL8MFMAType0EEvPKT_PKT0_S9_ifPKiSB_SB_iPKfiiiPfSE_PS4_PT2_iSD_SD_ ; -- Begin function _Z39paged_attention_ll4mi_QKV_mfma16_kernelI14__hip_bfloat16S0_LN4vllm18Fp8KVCacheDataTypeE0ES0_Li16ELi64ELi256ELb1ELi2EL8MFMAType0EEvPKT_PKT0_S9_ifPKiSB_SB_iPKfiiiPfSE_PS4_PT2_iSD_SD_
	.globl	_Z39paged_attention_ll4mi_QKV_mfma16_kernelI14__hip_bfloat16S0_LN4vllm18Fp8KVCacheDataTypeE0ES0_Li16ELi64ELi256ELb1ELi2EL8MFMAType0EEvPKT_PKT0_S9_ifPKiSB_SB_iPKfiiiPfSE_PS4_PT2_iSD_SD_
	.p2align	8
	.type	_Z39paged_attention_ll4mi_QKV_mfma16_kernelI14__hip_bfloat16S0_LN4vllm18Fp8KVCacheDataTypeE0ES0_Li16ELi64ELi256ELb1ELi2EL8MFMAType0EEvPKT_PKT0_S9_ifPKiSB_SB_iPKfiiiPfSE_PS4_PT2_iSD_SD_,@function
_Z39paged_attention_ll4mi_QKV_mfma16_kernelI14__hip_bfloat16S0_LN4vllm18Fp8KVCacheDataTypeE0ES0_Li16ELi64ELi256ELb1ELi2EL8MFMAType0EEvPKT_PKT0_S9_ifPKiSB_SB_iPKfiiiPfSE_PS4_PT2_iSD_SD_: ; @_Z39paged_attention_ll4mi_QKV_mfma16_kernelI14__hip_bfloat16S0_LN4vllm18Fp8KVCacheDataTypeE0ES0_Li16ELi64ELi256ELb1ELi2EL8MFMAType0EEvPKT_PKT0_S9_ifPKiSB_SB_iPKfiiiPfSE_PS4_PT2_iSD_SD_
; %bb.0:
	s_load_b64 s[2:3], s[0:1], 0x30
	s_mov_b32 s30, s13
	s_waitcnt lgkmcnt(0)
	s_cmp_lg_u64 s[2:3], 0
	s_cselect_b32 s8, -1, 0
	s_ashr_i32 s31, s13, 31
	s_cmp_eq_u64 s[2:3], 0
	s_cbranch_scc1 .LBB467_3
; %bb.1:
	s_lshl_b64 s[4:5], s[30:31], 2
	s_delay_alu instid0(SALU_CYCLE_1) | instskip(SKIP_4) | instid1(SALU_CYCLE_1)
	s_add_u32 s4, s2, s4
	s_addc_u32 s5, s3, s5
	s_load_b64 s[4:5], s[4:5], 0x0
	s_waitcnt lgkmcnt(0)
	s_sub_i32 s4, s5, s4
	s_cmp_eq_u32 s4, 1
	s_cselect_b32 s4, -1, 0
	s_delay_alu instid0(SALU_CYCLE_1)
	s_and_not1_b32 vcc_lo, exec_lo, s4
	s_cbranch_vccz .LBB467_4
.LBB467_2:
	s_endpgm
.LBB467_3:
.LBB467_4:
	s_load_b64 s[4:5], s[0:1], 0x28
	s_lshl_b64 s[6:7], s[30:31], 2
	s_waitcnt lgkmcnt(0)
	s_add_u32 s4, s4, s6
	s_addc_u32 s5, s5, s7
	s_lshl_b32 s33, s14, 8
	s_load_b32 s28, s[4:5], 0x0
	s_waitcnt lgkmcnt(0)
	s_cmp_ge_i32 s33, s28
	s_cbranch_scc1 .LBB467_2
; %bb.5:
	s_clause 0x1
	s_load_b128 s[20:23], s[0:1], 0x8
	s_load_b64 s[4:5], s[0:1], 0x20
	s_and_not1_b32 vcc_lo, exec_lo, s8
	s_cbranch_vccnz .LBB467_7
; %bb.6:
	s_add_u32 s2, s2, s6
	s_addc_u32 s3, s3, s7
	s_load_b32 s3, s[2:3], 0x0
	s_branch .LBB467_8
.LBB467_7:
	s_mov_b32 s3, s30
.LBB467_8:
	s_load_b128 s[16:19], s[0:1], 0x48
	v_and_b32_e32 v142, 15, v0
	v_bfe_u32 v141, v0, 4, 1
	s_lshl_b32 s31, s15, 1
	v_cmp_gt_u32_e32 vcc_lo, 32, v0
	v_and_b32_e32 v143, 31, v0
	v_lshlrev_b32_e32 v1, 3, v142
	v_cmp_gt_u32_e64 s2, 8, v142
	v_and_b32_e32 v140, 1, v0
	v_or_b32_e32 v139, s31, v141
	v_lshlrev_b32_e32 v138, 6, v141
	v_lshlrev_b32_e32 v137, 1, v1
	s_and_b32 s29, vcc_lo, s2
	s_delay_alu instid0(SALU_CYCLE_1)
	s_and_saveexec_b32 s2, s29
	s_cbranch_execz .LBB467_10
; %bb.9:
	s_load_b64 s[6:7], s[0:1], 0x0
	v_lshlrev_b32_e32 v1, 6, v139
	s_waitcnt lgkmcnt(0)
	s_mul_hi_i32 s9, s3, s16
	s_mul_i32 s8, s3, s16
	v_lshlrev_b32_e32 v5, 10, v142
	s_lshl_b64 s[8:9], s[8:9], 1
	v_ashrrev_i32_e32 v2, 31, v1
	v_lshlrev_b32_e32 v6, 10, v140
	s_delay_alu instid0(VALU_DEP_3) | instskip(NEXT) | instid1(VALU_DEP_3)
	v_and_b32_e32 v5, 0x3800, v5
	v_lshlrev_b64 v[1:2], 1, v[1:2]
	s_delay_alu instid0(VALU_DEP_2) | instskip(SKIP_2) | instid1(VALU_DEP_2)
	v_or3_b32 v5, v5, v6, v138
	s_add_u32 s3, s6, s8
	s_addc_u32 s6, s7, s9
	v_add_co_u32 v1, vcc_lo, s3, v1
	s_delay_alu instid0(VALU_DEP_3) | instskip(NEXT) | instid1(VALU_DEP_2)
	v_add_co_ci_u32_e32 v2, vcc_lo, s6, v2, vcc_lo
	v_add_co_u32 v1, vcc_lo, v1, v137
	s_delay_alu instid0(VALU_DEP_2)
	v_add_co_ci_u32_e32 v2, vcc_lo, 0, v2, vcc_lo
	global_load_b128 v[1:4], v[1:2], off
	s_waitcnt vmcnt(0)
	ds_store_b128 v5, v[1:4]
.LBB467_10:
	s_or_b32 exec_lo, exec_lo, s2
	v_and_b32_e32 v1, 0xef, v0
	s_waitcnt lgkmcnt(0)
	s_add_i32 s3, s28, 15
	s_clause 0x1
	s_load_b32 s2, s[0:1], 0x38
	s_load_b32 s34, s[0:1], 0x1c
	s_ashr_i32 s6, s3, 31
	v_add_nc_u32_e32 v1, s33, v1
	s_lshr_b32 s6, s6, 28
	s_waitcnt lgkmcnt(0)
	s_add_i32 s3, s3, s6
	s_barrier
	v_ashrrev_i32_e32 v2, 31, v1
	v_cmp_gt_i32_e32 vcc_lo, s28, v1
	s_ashr_i32 s16, s3, 4
	buffer_gl0_inv
	s_add_i32 s16, s16, -1
	v_lshrrev_b32_e32 v3, 28, v2
	v_or_b32_e32 v2, 16, v1
	v_lshlrev_b32_e32 v145, 6, v140
	v_lshrrev_b32_e32 v144, 5, v0
	v_lshlrev_b32_e32 v49, 5, v142
	v_add_nc_u32_e32 v4, v1, v3
	v_add_nc_u32_e32 v3, v2, v3
	s_mul_i32 s2, s30, s2
	s_delay_alu instid0(SALU_CYCLE_1) | instskip(NEXT) | instid1(VALU_DEP_2)
	s_ashr_i32 s3, s2, 31
	v_ashrrev_i32_e32 v4, 4, v4
	s_delay_alu instid0(VALU_DEP_2)
	v_ashrrev_i32_e32 v3, 4, v3
	s_lshl_b64 s[2:3], s[2:3], 2
	v_lshl_or_b32 v49, v144, 9, v49
	s_add_u32 s35, s4, s2
	v_cndmask_b32_e32 v1, s16, v4, vcc_lo
	v_cmp_gt_i32_e32 vcc_lo, s28, v2
	s_addc_u32 s36, s5, s3
	s_mul_i32 s2, s15, s18
	s_delay_alu instid0(SALU_CYCLE_1) | instskip(SKIP_3) | instid1(SALU_CYCLE_1)
	s_ashr_i32 s3, s2, 31
	v_cndmask_b32_e32 v3, s16, v3, vcc_lo
	v_ashrrev_i32_e32 v2, 31, v1
	s_lshl_b64 s[2:3], s[2:3], 1
	s_add_u32 s24, s20, s2
	s_delay_alu instid0(VALU_DEP_2) | instskip(NEXT) | instid1(VALU_DEP_2)
	v_ashrrev_i32_e32 v4, 31, v3
	v_lshlrev_b64 v[1:2], 2, v[1:2]
	s_addc_u32 s25, s21, s3
	s_lshl_b32 s4, s14, 4
	s_delay_alu instid0(VALU_DEP_2) | instskip(SKIP_1) | instid1(VALU_DEP_2)
	v_lshlrev_b64 v[3:4], 2, v[3:4]
	s_ashr_i32 s5, s4, 31
	v_add_co_u32 v1, vcc_lo, s35, v1
	v_add_co_ci_u32_e32 v2, vcc_lo, s36, v2, vcc_lo
	s_delay_alu instid0(VALU_DEP_3) | instskip(NEXT) | instid1(VALU_DEP_4)
	v_add_co_u32 v3, vcc_lo, s35, v3
	v_add_co_ci_u32_e32 v4, vcc_lo, s36, v4, vcc_lo
	s_lshl_b64 s[4:5], s[4:5], 2
	s_clause 0x1
	global_load_b32 v5, v[1:2], off
	global_load_b32 v6, v[3:4], off
	s_add_u32 s4, s35, s4
	s_addc_u32 s5, s36, s5
	s_or_b32 s6, s33, 16
	v_lshlrev_b32_e32 v3, 4, v0
	s_ashr_i32 s7, s6, 4
	s_cmp_lt_i32 s6, s28
	s_cselect_b32 s6, s7, s16
	s_delay_alu instid0(SALU_CYCLE_1) | instskip(NEXT) | instid1(SALU_CYCLE_1)
	s_ashr_i32 s7, s6, 31
	s_lshl_b64 s[6:7], s[6:7], 2
	s_delay_alu instid0(SALU_CYCLE_1) | instskip(SKIP_2) | instid1(SALU_CYCLE_1)
	s_add_u32 s6, s35, s6
	s_addc_u32 s7, s36, s7
	s_or_b32 s8, s33, 32
	s_ashr_i32 s9, s8, 4
	s_cmp_lt_i32 s8, s28
	s_cselect_b32 s8, s9, s16
	s_delay_alu instid0(SALU_CYCLE_1) | instskip(NEXT) | instid1(SALU_CYCLE_1)
	s_ashr_i32 s9, s8, 31
	s_lshl_b64 s[8:9], s[8:9], 2
	s_delay_alu instid0(SALU_CYCLE_1) | instskip(SKIP_2) | instid1(SALU_CYCLE_1)
	s_add_u32 s8, s35, s8
	s_addc_u32 s9, s36, s9
	s_or_b32 s10, s33, 48
	;; [unrolled: 10-line block ×4, first 2 shown]
	s_ashr_i32 s13, s12, 4
	s_cmp_lt_i32 s12, s28
	s_cselect_b32 s12, s13, s16
	s_delay_alu instid0(SALU_CYCLE_1) | instskip(NEXT) | instid1(SALU_CYCLE_1)
	s_ashr_i32 s13, s12, 31
	s_lshl_b64 s[12:13], s[12:13], 2
	s_delay_alu instid0(SALU_CYCLE_1)
	s_add_u32 s20, s35, s12
	s_addc_u32 s21, s36, s13
	s_clause 0x5
	s_load_b32 s37, s[4:5], 0x0
	s_load_b32 s27, s[6:7], 0x0
	;; [unrolled: 1-line block ×6, first 2 shown]
	s_waitcnt vmcnt(1)
	v_mad_i64_i32 v[1:2], null, v5, s17, 0
	v_and_b32_e32 v5, 0xf0, v3
	s_waitcnt vmcnt(0)
	v_mad_i64_i32 v[3:4], null, v6, s17, 0
	s_delay_alu instid0(VALU_DEP_2) | instskip(NEXT) | instid1(VALU_DEP_4)
	v_add_co_u32 v5, s4, s24, v5
	v_lshlrev_b64 v[1:2], 1, v[1:2]
	v_add_co_ci_u32_e64 v6, null, s25, 0, s4
	s_delay_alu instid0(VALU_DEP_4) | instskip(SKIP_1) | instid1(VALU_DEP_3)
	v_lshlrev_b64 v[3:4], 1, v[3:4]
	s_or_b32 s4, s33, 0x60
	v_add_co_u32 v41, vcc_lo, v5, v1
	s_delay_alu instid0(VALU_DEP_3) | instskip(NEXT) | instid1(VALU_DEP_3)
	v_add_co_ci_u32_e32 v42, vcc_lo, v6, v2, vcc_lo
	v_add_co_u32 v43, vcc_lo, v5, v3
	s_delay_alu instid0(VALU_DEP_4)
	v_add_co_ci_u32_e32 v44, vcc_lo, v6, v4, vcc_lo
	s_clause 0xf
	global_load_b128 v[17:20], v[41:42], off
	global_load_b128 v[21:24], v[41:42], off offset:256
	global_load_b128 v[33:36], v[43:44], off
	global_load_b128 v[37:40], v[43:44], off offset:256
	global_load_b128 v[1:4], v[41:42], off offset:512
	;; [unrolled: 1-line block ×13, first 2 shown]
	s_ashr_i32 s5, s4, 4
	s_cmp_lt_i32 s4, s28
	ds_load_b128 v[41:44], v145
	ds_load_b128 v[45:48], v145 offset:1024
	s_cselect_b32 s4, s5, s16
	ds_load_b128 v[170:173], v145 offset:2048
	ds_load_b128 v[174:177], v145 offset:3072
	s_ashr_i32 s5, s4, 31
	ds_load_b128 v[178:181], v145 offset:4096
	ds_load_b128 v[182:185], v145 offset:5120
	s_lshl_b64 s[4:5], s[4:5], 2
	s_delay_alu instid0(SALU_CYCLE_1) | instskip(SKIP_2) | instid1(SALU_CYCLE_1)
	s_add_u32 s18, s35, s4
	s_addc_u32 s19, s36, s5
	s_or_b32 s4, s33, 0x70
	s_ashr_i32 s5, s4, 4
	s_cmp_lt_i32 s4, s28
	s_cselect_b32 s4, s5, s16
	s_delay_alu instid0(SALU_CYCLE_1) | instskip(NEXT) | instid1(SALU_CYCLE_1)
	s_ashr_i32 s5, s4, 31
	s_lshl_b64 s[6:7], s[4:5], 2
	s_mov_b32 s4, 0
	s_add_u32 s20, s35, s6
	s_addc_u32 s21, s36, s7
	s_or_b32 s5, s33, 0x80
	s_mov_b32 s11, s4
	s_ashr_i32 s6, s5, 4
	s_cmp_lt_i32 s5, s28
	s_mov_b32 s5, s4
	s_cselect_b32 s6, s6, s16
	s_mov_b32 s10, s4
	s_ashr_i32 s7, s6, 31
	s_load_b32 s46, s[20:21], 0x0
	s_lshl_b64 s[8:9], s[6:7], 2
	s_mov_b32 s6, s4
	s_add_u32 s24, s35, s8
	s_addc_u32 s25, s36, s9
	s_or_b32 s8, s33, 0x90
	s_load_b32 s47, s[24:25], 0x0
	s_ashr_i32 s9, s8, 4
	s_cmp_lt_i32 s8, s28
	s_mov_b32 s7, s4
	s_cselect_b32 s38, s9, s16
	s_mov_b32 s8, s4
	s_ashr_i32 s39, s38, 31
	s_mov_b32 s9, s4
	s_lshl_b64 s[38:39], s[38:39], 2
	v_mov_b32_e32 v136, s11
	s_add_u32 s38, s35, s38
	s_addc_u32 s39, s36, s39
	s_or_b32 s40, s33, 0xa0
	v_mov_b32_e32 v135, s10
	s_ashr_i32 s41, s40, 4
	s_cmp_lt_i32 s40, s28
	s_load_b32 s40, s[38:39], 0x0
	v_dual_mov_b32 v134, s9 :: v_dual_mov_b32 v133, s8
	v_dual_mov_b32 v132, s7 :: v_dual_mov_b32 v131, s6
	;; [unrolled: 1-line block ×3, first 2 shown]
	s_cselect_b32 s4, s41, s16
	s_waitcnt lgkmcnt(0)
	s_mul_hi_i32 s7, s27, s17
	s_ashr_i32 s5, s4, 31
	s_load_b32 s41, s[18:19], 0x0
	s_lshl_b64 s[4:5], s[4:5], 2
	s_mul_hi_i32 s19, s15, s17
	s_add_u32 s42, s35, s4
	s_addc_u32 s43, s36, s5
	s_or_b32 s4, s33, 0xb0
	s_mul_hi_i32 s5, s37, s17
	s_ashr_i32 s6, s4, 4
	s_cmp_lt_i32 s4, s28
	s_mul_i32 s4, s37, s17
	s_cselect_b32 s8, s6, s16
	s_mul_i32 s6, s27, s17
	s_ashr_i32 s9, s8, 31
	s_load_b32 s39, s[42:43], 0x0
	s_lshl_b64 s[8:9], s[8:9], 2
	s_mul_hi_i32 s25, s46, s17
	s_add_u32 s44, s35, s8
	s_addc_u32 s45, s36, s9
	s_or_b32 s8, s33, 0xc0
	s_mul_hi_i32 s9, s26, s17
	s_ashr_i32 s10, s8, 4
	s_cmp_lt_i32 s8, s28
	s_mul_i32 s8, s26, s17
	s_cselect_b32 s26, s10, s16
	s_mul_i32 s24, s46, s17
	s_ashr_i32 s27, s26, 31
	s_mul_hi_i32 s11, s13, s17
	s_lshl_b64 s[26:27], s[26:27], 2
	s_mul_i32 s10, s13, s17
	s_add_u32 s26, s35, s26
	s_addc_u32 s27, s36, s27
	s_or_b32 s37, s33, 0xd0
	s_mul_hi_i32 s13, s12, s17
	s_ashr_i32 s18, s37, 4
	s_cmp_lt_i32 s37, s28
	s_mul_i32 s12, s12, s17
	s_cselect_b32 s20, s18, s16
	s_mul_i32 s18, s15, s17
	s_ashr_i32 s21, s20, 31
	s_delay_alu instid0(SALU_CYCLE_1) | instskip(NEXT) | instid1(SALU_CYCLE_1)
	s_lshl_b64 s[20:21], s[20:21], 2
	s_add_u32 s20, s35, s20
	s_addc_u32 s21, s36, s21
	s_or_b32 s42, s33, 0xe0
	s_clause 0x2
	s_load_b32 s38, s[44:45], 0x0
	s_load_b32 s37, s[26:27], 0x0
	;; [unrolled: 1-line block ×3, first 2 shown]
	s_ashr_i32 s43, s42, 4
	s_cmp_lt_i32 s42, s28
	s_mul_hi_i32 s27, s47, s17
	s_cselect_b32 s42, s43, s16
	s_mul_i32 s26, s47, s17
	s_ashr_i32 s43, s42, 31
	s_waitcnt lgkmcnt(0)
	s_mul_hi_i32 s21, s41, s17
	s_lshl_b64 s[42:43], s[42:43], 2
	s_mul_i32 s20, s41, s17
	s_add_u32 s42, s35, s42
	s_addc_u32 s43, s36, s43
	s_or_b32 s46, s33, 0xf0
	s_mul_hi_i32 s41, s40, s17
	s_ashr_i32 s47, s46, 4
	s_cmp_lt_i32 s46, s28
	s_mul_i32 s40, s40, s17
	s_cselect_b32 s46, s47, s16
	s_mul_hi_i32 s45, s39, s17
	s_ashr_i32 s47, s46, 31
	s_mul_hi_i32 s51, s15, s17
	s_lshl_b64 s[46:47], s[46:47], 2
	s_mul_i32 s50, s15, s17
	s_add_u32 s46, s35, s46
	s_addc_u32 s47, s36, s47
	s_add_u32 s15, s22, s2
	s_addc_u32 s16, s23, s3
	v_add_co_u32 v200, s15, s15, v49
	s_delay_alu instid0(VALU_DEP_1) | instskip(SKIP_2) | instid1(VALU_DEP_2)
	v_add_co_ci_u32_e64 v201, null, s16, 0, s15
	s_lshl_b64 s[2:3], s[4:5], 1
	s_lshl_b64 s[4:5], s[6:7], 1
	v_add_co_u32 v49, vcc_lo, v200, s2
	s_delay_alu instid0(VALU_DEP_2)
	v_add_co_ci_u32_e32 v50, vcc_lo, s3, v201, vcc_lo
	v_add_co_u32 v51, vcc_lo, v200, s4
	s_lshl_b64 s[6:7], s[8:9], 1
	v_add_co_ci_u32_e32 v52, vcc_lo, s5, v201, vcc_lo
	v_add_co_u32 v53, vcc_lo, v200, s6
	s_lshl_b64 s[8:9], s[10:11], 1
	;; [unrolled: 3-line block ×7, first 2 shown]
	v_add_co_ci_u32_e32 v64, vcc_lo, s21, v201, vcc_lo
	s_clause 0x1
	s_load_b32 s15, s[42:43], 0x0
	s_load_b32 s16, s[46:47], 0x0
	v_add_co_u32 v69, vcc_lo, v200, s22
	s_lshl_b64 s[24:25], s[40:41], 1
	s_mul_i32 s44, s39, s17
	v_add_co_ci_u32_e32 v70, vcc_lo, s23, v201, vcc_lo
	v_add_co_u32 v194, vcc_lo, v200, s24
	s_lshl_b64 s[26:27], s[44:45], 1
	s_mul_hi_i32 s39, s38, s17
	s_mul_i32 s38, s38, s17
	v_add_co_ci_u32_e32 v195, vcc_lo, s25, v201, vcc_lo
	v_add_co_u32 v196, vcc_lo, v200, s26
	s_mul_hi_i32 s49, s37, s17
	s_mul_i32 s48, s37, s17
	s_lshl_b64 s[36:37], s[38:39], 1
	v_add_co_ci_u32_e32 v197, vcc_lo, s27, v201, vcc_lo
	v_add_co_u32 v198, vcc_lo, v200, s36
	s_lshl_b64 s[38:39], s[48:49], 1
	v_add_co_ci_u32_e32 v199, vcc_lo, s37, v201, vcc_lo
	s_lshl_b64 s[2:3], s[50:51], 1
	s_clause 0x11
	global_load_b128 v[121:124], v[49:50], off
	global_load_b128 v[125:128], v[49:50], off offset:16
	global_load_b128 v[113:116], v[51:52], off
	global_load_b128 v[117:120], v[51:52], off offset:16
	;; [unrolled: 2-line block ×9, first 2 shown]
	s_waitcnt lgkmcnt(0)
	s_mul_hi_i32 s5, s15, s17
	s_mul_i32 s4, s15, s17
	s_waitcnt vmcnt(32)
	v_wmma_f32_16x16x16_bf16 v[186:193], v[17:24], v[41:48], v[129:136]
	s_waitcnt vmcnt(30)
	v_wmma_f32_16x16x16_bf16 v[129:136], v[33:40], v[41:48], v[129:136]
	v_add_co_u32 v33, vcc_lo, v200, s38
	v_add_co_ci_u32_e32 v34, vcc_lo, s39, v201, vcc_lo
	s_clause 0x5
	global_load_b128 v[49:52], v[194:195], off
	global_load_b128 v[53:56], v[194:195], off offset:16
	global_load_b128 v[41:44], v[196:197], off
	global_load_b128 v[45:48], v[196:197], off offset:16
	;; [unrolled: 2-line block ×3, first 2 shown]
	s_waitcnt vmcnt(34)
	v_wmma_f32_16x16x16_bf16 v[186:193], v[1:8], v[170:177], v[186:193]
	s_clause 0x1
	global_load_b128 v[1:4], v[33:34], off
	global_load_b128 v[5:8], v[33:34], off offset:16
	v_add_co_u32 v33, vcc_lo, v200, s2
	v_add_co_ci_u32_e32 v34, vcc_lo, s3, v201, vcc_lo
	s_lshl_b64 s[2:3], s[4:5], 1
	s_mul_hi_i32 s5, s16, s17
	s_mul_i32 s4, s16, s17
	v_add_co_u32 v37, vcc_lo, v200, s2
	v_add_co_ci_u32_e32 v38, vcc_lo, s3, v201, vcc_lo
	s_lshl_b64 s[2:3], s[4:5], 1
	s_waitcnt vmcnt(34)
	v_wmma_f32_16x16x16_bf16 v[129:136], v[25:32], v[170:177], v[129:136]
	v_add_co_u32 v170, vcc_lo, v200, s2
	v_add_co_ci_u32_e32 v171, vcc_lo, s3, v201, vcc_lo
	s_clause 0x3
	global_load_b128 v[25:28], v[33:34], off
	global_load_b128 v[29:32], v[33:34], off offset:16
	global_load_b128 v[33:36], v[37:38], off
	global_load_b128 v[37:40], v[37:38], off offset:16
	s_waitcnt vmcnt(36)
	v_wmma_f32_16x16x16_bf16 v[186:193], v[9:16], v[178:185], v[186:193]
	s_clause 0x1
	global_load_b128 v[9:12], v[170:171], off
	global_load_b128 v[13:16], v[170:171], off offset:16
	s_waitcnt vmcnt(36)
	v_wmma_f32_16x16x16_bf16 v[129:136], v[146:153], v[178:185], v[129:136]
	ds_load_b128 v[146:149], v145 offset:6144
	ds_load_b128 v[150:153], v145 offset:7168
	v_and_b32_e32 v170, 0xe0, v0
	v_mbcnt_lo_u32_b32 v171, -1, 0
	s_waitcnt vmcnt(0) lgkmcnt(0)
	s_barrier
	buffer_gl0_inv
	v_add_nc_u32_e32 v170, s33, v170
	v_xor_b32_e32 v145, 16, v171
	s_delay_alu instid0(VALU_DEP_2) | instskip(NEXT) | instid1(VALU_DEP_2)
	v_or_b32_e32 v170, v170, v141
	v_cmp_gt_i32_e32 vcc_lo, 32, v145
	s_delay_alu instid0(VALU_DEP_2)
	v_or_b32_e32 v172, 4, v170
	v_or_b32_e32 v173, 6, v170
	;; [unrolled: 1-line block ×4, first 2 shown]
	v_wmma_f32_16x16x16_bf16 v[186:193], v[154:161], v[146:153], v[186:193]
	v_wmma_f32_16x16x16_bf16 v[129:136], v[162:169], v[146:153], v[129:136]
	v_cndmask_b32_e32 v145, v171, v145, vcc_lo
	v_or_b32_e32 v171, 2, v170
	v_cmp_gt_i32_e32 vcc_lo, s28, v170
	v_mul_f32_e32 v152, s34, v187
	v_dual_mul_f32 v158, s34, v135 :: v_dual_mul_f32 v153, s34, v186
	s_delay_alu instid0(VALU_DEP_4) | instskip(SKIP_2) | instid1(VALU_DEP_4)
	v_cmp_gt_i32_e64 s2, s28, v171
	v_dual_mul_f32 v150, s34, v189 :: v_dual_mul_f32 v151, s34, v188
	v_mul_f32_e32 v164, s34, v129
	v_cndmask_b32_e32 v153, 0xff7fffff, v153, vcc_lo
	s_delay_alu instid0(VALU_DEP_4)
	v_cndmask_b32_e64 v152, 0xff7fffff, v152, s2
	v_cmp_gt_i32_e64 s3, s28, v172
	v_cmp_gt_i32_e64 s4, s28, v173
	v_or_b32_e32 v176, 12, v170
	v_or_b32_e32 v177, 14, v170
	v_dual_mul_f32 v148, s34, v191 :: v_dual_mul_f32 v149, s34, v190
	v_mul_f32_e32 v162, s34, v131
	v_cndmask_b32_e64 v151, 0xff7fffff, v151, s3
	v_cndmask_b32_e64 v150, 0xff7fffff, v150, s4
	v_max3_f32 v152, v153, 0xff7fffff, v152
	v_cmp_gt_i32_e64 s5, s28, v174
	v_cmp_gt_i32_e64 s6, s28, v175
	v_or_b32_e32 v178, 16, v170
	v_or_b32_e32 v179, 18, v170
	v_dual_mul_f32 v146, s34, v193 :: v_dual_mul_f32 v147, s34, v192
	v_mul_f32_e32 v160, s34, v133
	v_cndmask_b32_e64 v149, 0xff7fffff, v149, s5
	v_cndmask_b32_e64 v148, 0xff7fffff, v148, s6
	v_max3_f32 v150, v152, v151, v150
	v_cmp_gt_i32_e64 s7, s28, v176
	v_cmp_gt_i32_e64 s8, s28, v177
	v_or_b32_e32 v180, 20, v170
	v_or_b32_e32 v181, 22, v170
	v_mul_f32_e32 v163, s34, v130
	v_cndmask_b32_e64 v147, 0xff7fffff, v147, s7
	v_cndmask_b32_e64 v146, 0xff7fffff, v146, s8
	v_max3_f32 v148, v150, v149, v148
	v_cmp_gt_i32_e64 s9, s28, v178
	v_cmp_gt_i32_e64 s10, s28, v179
	v_or_b32_e32 v182, 24, v170
	v_or_b32_e32 v154, 26, v170
	;; [unrolled: 8-line block ×3, first 2 shown]
	v_mul_f32_e32 v159, s34, v134
	v_cndmask_b32_e64 v147, 0xff7fffff, v162, s11
	v_cndmask_b32_e64 v148, 0xff7fffff, v161, s12
	v_max3_f32 v146, v146, v149, v150
	v_cmp_gt_i32_e64 s13, s28, v182
	v_cmp_gt_i32_e64 s15, s28, v154
	v_mul_f32_e32 v157, s34, v136
	v_cmp_gt_i32_e64 s16, s28, v155
	v_max3_f32 v146, v146, v147, v148
	v_cndmask_b32_e64 v149, 0xff7fffff, v160, s13
	v_cndmask_b32_e64 v150, 0xff7fffff, v159, s15
	v_cmp_gt_i32_e64 s17, s28, v156
	v_cndmask_b32_e64 v147, 0xff7fffff, v158, s16
	v_lshlrev_b32_e32 v156, 2, v145
	s_delay_alu instid0(VALU_DEP_4) | instskip(NEXT) | instid1(VALU_DEP_4)
	v_max3_f32 v146, v146, v149, v150
	v_cndmask_b32_e64 v148, 0xff7fffff, v157, s17
	s_delay_alu instid0(VALU_DEP_1) | instskip(SKIP_3) | instid1(VALU_DEP_1)
	v_max3_f32 v145, v146, v147, v148
	ds_bpermute_b32 v146, v156, v145
	s_waitcnt lgkmcnt(0)
	v_max_f32_e32 v146, v146, v146
	v_max_f32_e32 v155, v145, v146
	s_delay_alu instid0(VALU_DEP_1) | instskip(NEXT) | instid1(VALU_DEP_1)
	v_fma_f32 v152, s34, v192, -v155
	v_mul_f32_e32 v152, 0x3fb8aa3b, v152
	v_fma_f32 v149, s34, v190, -v155
	v_fma_f32 v145, s34, v186, -v155
	;; [unrolled: 1-line block ×4, first 2 shown]
	v_exp_f32_e32 v154, v152
	v_mul_f32_e32 v149, 0x3fb8aa3b, v149
	v_fma_f32 v130, s34, v130, -v155
	v_mul_f32_e32 v146, 0x3fb8aa3b, v146
	v_mul_f32_e32 v148, 0x3fb8aa3b, v148
	v_fma_f32 v147, s34, v188, -v155
	v_exp_f32_e32 v153, v149
	v_mul_f32_e32 v130, 0x3fb8aa3b, v130
	v_exp_f32_e32 v146, v146
	v_exp_f32_e32 v151, v148
	v_fma_f32 v150, s34, v191, -v155
	v_fma_f32 v129, s34, v129, -v155
	;; [unrolled: 1-line block ×4, first 2 shown]
	v_exp_f32_e32 v130, v130
	v_mul_f32_e32 v150, 0x3fb8aa3b, v150
	v_cndmask_b32_e64 v152, 0, v153, s5
	v_mul_f32_e32 v145, 0x3fb8aa3b, v145
	v_cndmask_b32_e64 v148, 0, v146, s2
	v_cndmask_b32_e64 v151, 0, v151, s4
	v_exp_f32_e32 v150, v150
	v_dual_mul_f32 v129, 0x3fb8aa3b, v129 :: v_dual_mul_f32 v132, 0x3fb8aa3b, v132
	v_exp_f32_e32 v145, v145
	v_fma_f32 v134, s34, v134, -v155
	v_mul_f32_e32 v131, 0x3fb8aa3b, v131
	s_delay_alu instid0(VALU_DEP_3) | instskip(SKIP_3) | instid1(TRANS32_DEP_3)
	v_exp_f32_e32 v129, v129
	v_fma_f32 v133, s34, v133, -v155
	v_fma_f32 v136, s34, v136, -v155
	v_mul_f32_e32 v134, 0x3fb8aa3b, v134
	v_cndmask_b32_e64 v153, 0, v150, s6
	v_cndmask_b32_e64 v150, 0, v154, s7
	s_mov_b32 s2, exec_lo
	v_cndmask_b32_e32 v145, 0, v145, vcc_lo
	s_delay_alu instid0(VALU_DEP_1) | instskip(NEXT) | instid1(VALU_DEP_1)
	v_add_f32_e32 v146, 0, v145
	v_dual_add_f32 v146, v146, v148 :: v_dual_mul_f32 v147, 0x3fb8aa3b, v147
	s_delay_alu instid0(VALU_DEP_1) | instskip(SKIP_3) | instid1(VALU_DEP_2)
	v_exp_f32_e32 v147, v147
	s_waitcnt_depctr 0xfff
	v_cndmask_b32_e64 v149, 0, v147, s3
	v_fma_f32 v147, s34, v193, -v155
	v_add_f32_e32 v146, v146, v149
	s_delay_alu instid0(VALU_DEP_1) | instskip(NEXT) | instid1(VALU_DEP_1)
	v_add_f32_e32 v146, v146, v151
	v_dual_add_f32 v146, v146, v152 :: v_dual_mul_f32 v147, 0x3fb8aa3b, v147
	s_delay_alu instid0(VALU_DEP_1) | instskip(NEXT) | instid1(VALU_DEP_2)
	v_add_f32_e32 v146, v146, v153
	v_exp_f32_e32 v147, v147
	s_delay_alu instid0(VALU_DEP_1) | instskip(SKIP_4) | instid1(VALU_DEP_2)
	v_add_f32_e32 v146, v146, v150
	s_waitcnt_depctr 0xfff
	v_cndmask_b32_e64 v154, 0, v147, s8
	v_exp_f32_e32 v147, v131
	v_cndmask_b32_e64 v131, 0, v129, s9
	v_add_f32_e32 v129, v146, v154
	v_exp_f32_e32 v146, v132
	v_cndmask_b32_e64 v132, 0, v130, s10
	v_fma_f32 v130, s34, v135, -v155
	s_delay_alu instid0(VALU_DEP_1) | instskip(NEXT) | instid1(VALU_DEP_1)
	v_dual_mul_f32 v133, 0x3fb8aa3b, v133 :: v_dual_mul_f32 v130, 0x3fb8aa3b, v130
	v_exp_f32_e32 v135, v133
	s_delay_alu instid0(TRANS32_DEP_3) | instskip(SKIP_1) | instid1(TRANS32_DEP_3)
	v_cndmask_b32_e64 v133, 0, v147, s11
	v_exp_f32_e32 v147, v134
	v_cndmask_b32_e64 v134, 0, v146, s12
	v_dual_mul_f32 v146, 0x3fb8aa3b, v136 :: v_dual_add_f32 v129, v129, v131
	v_exp_f32_e32 v130, v130
	s_delay_alu instid0(VALU_DEP_1) | instskip(NEXT) | instid1(TRANS32_DEP_3)
	v_add_f32_e32 v129, v129, v132
	v_cndmask_b32_e64 v135, 0, v135, s13
	s_waitcnt_depctr 0xfff
	v_cndmask_b32_e64 v136, 0, v147, s15
	v_exp_f32_e32 v147, v146
	v_add_f32_e32 v129, v129, v133
	v_cndmask_b32_e64 v146, 0, v130, s16
	s_delay_alu instid0(VALU_DEP_2) | instskip(SKIP_3) | instid1(VALU_DEP_1)
	v_add_f32_e32 v129, v129, v134
	s_waitcnt_depctr 0xfff
	v_cndmask_b32_e64 v147, 0, v147, s17
	v_add_f32_e32 v129, v129, v135
	v_add_f32_e32 v129, v129, v136
	s_delay_alu instid0(VALU_DEP_1) | instskip(NEXT) | instid1(VALU_DEP_1)
	v_add_f32_e32 v129, v129, v146
	v_add_f32_e32 v129, v129, v147
	ds_bpermute_b32 v130, v156, v129
	v_cmpx_gt_u32_e32 16, v143
	s_cbranch_execz .LBB467_12
; %bb.11:
	v_mul_u32_u24_e32 v143, 0x44, v144
	s_delay_alu instid0(VALU_DEP_1) | instskip(SKIP_1) | instid1(VALU_DEP_1)
	v_lshl_add_u32 v143, v142, 2, v143
	s_waitcnt lgkmcnt(0)
	v_dual_add_f32 v129, v129, v130 :: v_dual_add_nc_u32 v130, 0x4000, v143
	ds_store_2addr_b32 v130, v155, v129 offset1:136
.LBB467_12:
	s_or_b32 exec_lo, exec_lo, s2
	v_lshlrev_b32_e32 v129, 2, v142
	s_waitcnt lgkmcnt(0)
	s_barrier
	buffer_gl0_inv
	v_cmp_eq_u32_e32 vcc_lo, 1, v144
	v_add_nc_u32_e32 v143, 0x4000, v129
	v_cmp_eq_u32_e64 s2, 2, v144
	v_cmp_eq_u32_e64 s4, 7, v144
	ds_load_2addr_b32 v[155:156], v143 offset1:17
	ds_load_2addr_b32 v[157:158], v143 offset0:34 offset1:51
	ds_load_2addr_b32 v[159:160], v143 offset0:68 offset1:85
	;; [unrolled: 1-line block ×4, first 2 shown]
	s_waitcnt lgkmcnt(4)
	v_max3_f32 v129, v155, 0xff7fffff, v156
	s_waitcnt lgkmcnt(3)
	s_delay_alu instid0(VALU_DEP_1) | instskip(SKIP_1) | instid1(VALU_DEP_1)
	v_max3_f32 v129, v129, v157, v158
	s_waitcnt lgkmcnt(2)
	v_max3_f32 v129, v129, v159, v160
	s_waitcnt lgkmcnt(1)
	s_delay_alu instid0(VALU_DEP_1) | instskip(NEXT) | instid1(VALU_DEP_1)
	v_max3_f32 v129, v129, v161, v162
	v_sub_f32_e32 v159, v159, v129
	s_delay_alu instid0(VALU_DEP_1) | instskip(NEXT) | instid1(VALU_DEP_1)
	v_dual_sub_f32 v130, v155, v129 :: v_dual_mul_f32 v169, 0x3fb8aa3b, v159
	v_dual_sub_f32 v165, v156, v129 :: v_dual_mul_f32 v130, 0x3fb8aa3b, v130
	ds_load_2addr_b32 v[155:156], v143 offset0:170 offset1:187
	v_exp_f32_e32 v166, v130
	v_sub_f32_e32 v130, v158, v129
	s_delay_alu instid0(VALU_DEP_1) | instskip(NEXT) | instid1(VALU_DEP_1)
	v_dual_sub_f32 v157, v157, v129 :: v_dual_mul_f32 v168, 0x3fb8aa3b, v130
	v_mul_f32_e32 v167, 0x3fb8aa3b, v157
	s_waitcnt lgkmcnt(1)
	s_waitcnt_depctr 0xfff
	v_fma_f32 v130, v166, v163, 0
	v_exp_f32_e32 v168, v168
	v_mul_f32_e32 v165, 0x3fb8aa3b, v165
	v_exp_f32_e32 v167, v167
	v_sub_f32_e32 v163, v160, v129
	s_delay_alu instid0(VALU_DEP_2) | instskip(SKIP_3) | instid1(VALU_DEP_1)
	v_exp_f32_e32 v165, v165
	s_waitcnt_depctr 0xfff
	v_fmac_f32_e32 v130, v165, v164
	s_waitcnt lgkmcnt(0)
	v_fmac_f32_e32 v130, v167, v155
	ds_load_2addr_b32 v[157:158], v143 offset0:204 offset1:221
	v_sub_f32_e32 v155, v162, v129
	ds_load_2addr_b32 v[159:160], v143 offset0:238 offset1:255
	s_waitcnt lgkmcnt(0)
	v_fmac_f32_e32 v130, v168, v156
	s_barrier
	v_mul_f32_e32 v155, 0x3fb8aa3b, v155
	buffer_gl0_inv
	v_exp_f32_e32 v155, v155
	v_sub_f32_e32 v143, v161, v129
	v_mul_f32_e32 v161, 0x3fb8aa3b, v163
	v_exp_f32_e32 v163, v169
	s_delay_alu instid0(VALU_DEP_2) | instskip(NEXT) | instid1(VALU_DEP_2)
	v_mul_f32_e32 v143, 0x3fb8aa3b, v143
	v_exp_f32_e32 v161, v161
	s_waitcnt_depctr 0xfff
	v_fmac_f32_e32 v130, v163, v157
	v_exp_f32_e32 v143, v143
	s_delay_alu instid0(VALU_DEP_1) | instskip(SKIP_2) | instid1(VALU_DEP_1)
	v_fmac_f32_e32 v130, v161, v158
	s_waitcnt_depctr 0xfff
	v_fmac_f32_e32 v130, v143, v159
	v_fmac_f32_e32 v130, v155, v160
	s_delay_alu instid0(VALU_DEP_1) | instskip(NEXT) | instid1(VALU_DEP_1)
	v_add_f32_e32 v156, 0x358637bd, v130
	v_div_scale_f32 v157, null, v156, v156, 1.0
	v_div_scale_f32 v160, s3, 1.0, v156, 1.0
	s_delay_alu instid0(VALU_DEP_2) | instskip(SKIP_2) | instid1(VALU_DEP_1)
	v_rcp_f32_e32 v158, v157
	s_waitcnt_depctr 0xfff
	v_fma_f32 v159, -v157, v158, 1.0
	v_fmac_f32_e32 v158, v159, v158
	s_delay_alu instid0(VALU_DEP_1) | instskip(NEXT) | instid1(VALU_DEP_1)
	v_mul_f32_e32 v162, v160, v158
	v_fma_f32 v164, -v157, v162, v160
	v_cndmask_b32_e32 v159, v166, v165, vcc_lo
	v_cmp_eq_u32_e32 vcc_lo, 3, v144
	s_delay_alu instid0(VALU_DEP_3) | instskip(NEXT) | instid1(VALU_DEP_3)
	v_fmac_f32_e32 v162, v164, v158
	v_cndmask_b32_e64 v159, v159, v167, s2
	v_cmp_eq_u32_e64 s2, 4, v144
	s_delay_alu instid0(VALU_DEP_3) | instskip(NEXT) | instid1(VALU_DEP_3)
	v_fma_f32 v157, -v157, v162, v160
	v_cndmask_b32_e32 v159, v159, v168, vcc_lo
	v_cmp_eq_u32_e32 vcc_lo, 5, v144
	s_delay_alu instid0(VALU_DEP_2) | instskip(SKIP_1) | instid1(VALU_DEP_2)
	v_cndmask_b32_e64 v159, v159, v163, s2
	v_cmp_eq_u32_e64 s2, 6, v144
	v_cndmask_b32_e32 v159, v159, v161, vcc_lo
	s_mov_b32 vcc_lo, s3
	v_div_fmas_f32 v157, v157, v158, v162
	s_delay_alu instid0(VALU_DEP_2) | instskip(SKIP_1) | instid1(VALU_DEP_2)
	v_cndmask_b32_e64 v143, v159, v143, s2
	s_mov_b32 s2, exec_lo
	v_div_fixup_f32 v156, v157, v156, 1.0
	s_delay_alu instid0(VALU_DEP_2) | instskip(NEXT) | instid1(VALU_DEP_1)
	v_cndmask_b32_e64 v143, v143, v155, s4
	v_mul_f32_e32 v143, v143, v156
	s_delay_alu instid0(VALU_DEP_1)
	v_mul_f32_e32 v156, v143, v145
	v_mul_f32_e32 v145, v143, v154
	;; [unrolled: 1-line block ×5, first 2 shown]
	v_and_b32_e32 v157, 0x7f800000, v156
	v_mul_f32_e32 v155, v143, v151
	v_mul_f32_e32 v152, v143, v149
	;; [unrolled: 1-line block ×3, first 2 shown]
                                        ; implicit-def: $vgpr148
	s_delay_alu instid0(VALU_DEP_4)
	v_cmpx_ne_u32_e32 0x7f800000, v157
	s_xor_b32 s2, exec_lo, s2
; %bb.13:
	v_bfe_u32 v148, v156, 16, 1
	s_delay_alu instid0(VALU_DEP_1)
	v_add3_u32 v148, v156, v148, 0x7fff
                                        ; implicit-def: $vgpr156
; %bb.14:
	s_and_not1_saveexec_b32 s2, s2
; %bb.15:
	v_and_b32_e32 v148, 0xffff, v156
	v_or_b32_e32 v149, 0x10000, v156
	s_delay_alu instid0(VALU_DEP_2) | instskip(NEXT) | instid1(VALU_DEP_2)
	v_cmp_eq_u32_e32 vcc_lo, 0, v148
	v_cndmask_b32_e32 v148, v149, v156, vcc_lo
; %bb.16:
	s_or_b32 exec_lo, exec_lo, s2
	v_and_b32_e32 v149, 0x7f800000, v151
	s_delay_alu instid0(VALU_DEP_1) | instskip(SKIP_1) | instid1(SALU_CYCLE_1)
	v_cmp_ne_u32_e32 vcc_lo, 0x7f800000, v149
                                        ; implicit-def: $vgpr149
	s_and_saveexec_b32 s2, vcc_lo
	s_xor_b32 s2, exec_lo, s2
; %bb.17:
	v_bfe_u32 v149, v151, 16, 1
	s_delay_alu instid0(VALU_DEP_1)
	v_add3_u32 v149, v151, v149, 0x7fff
                                        ; implicit-def: $vgpr151
; %bb.18:
	s_and_not1_saveexec_b32 s2, s2
; %bb.19:
	v_and_b32_e32 v149, 0xffff, v151
	v_or_b32_e32 v156, 0x10000, v151
	s_delay_alu instid0(VALU_DEP_2) | instskip(NEXT) | instid1(VALU_DEP_2)
	v_cmp_eq_u32_e32 vcc_lo, 0, v149
	v_cndmask_b32_e32 v149, v156, v151, vcc_lo
; %bb.20:
	s_or_b32 exec_lo, exec_lo, s2
	v_and_b32_e32 v151, 0x7f800000, v152
	s_delay_alu instid0(VALU_DEP_1) | instskip(SKIP_1) | instid1(SALU_CYCLE_1)
	v_cmp_ne_u32_e32 vcc_lo, 0x7f800000, v151
                                        ; implicit-def: $vgpr151
	s_and_saveexec_b32 s2, vcc_lo
	s_xor_b32 s2, exec_lo, s2
; %bb.21:
	v_bfe_u32 v151, v152, 16, 1
	s_delay_alu instid0(VALU_DEP_1)
	v_add3_u32 v151, v152, v151, 0x7fff
                                        ; implicit-def: $vgpr152
; %bb.22:
	s_and_not1_saveexec_b32 s2, s2
; %bb.23:
	v_and_b32_e32 v151, 0xffff, v152
	v_or_b32_e32 v156, 0x10000, v152
	s_delay_alu instid0(VALU_DEP_2) | instskip(NEXT) | instid1(VALU_DEP_2)
	v_cmp_eq_u32_e32 vcc_lo, 0, v151
	v_cndmask_b32_e32 v151, v156, v152, vcc_lo
; %bb.24:
	s_or_b32 exec_lo, exec_lo, s2
	v_and_b32_e32 v152, 0x7f800000, v155
	s_delay_alu instid0(VALU_DEP_1) | instskip(SKIP_1) | instid1(SALU_CYCLE_1)
	v_cmp_ne_u32_e32 vcc_lo, 0x7f800000, v152
                                        ; implicit-def: $vgpr152
	s_and_saveexec_b32 s2, vcc_lo
	s_xor_b32 s2, exec_lo, s2
; %bb.25:
	v_bfe_u32 v152, v155, 16, 1
	s_delay_alu instid0(VALU_DEP_1)
	v_add3_u32 v152, v155, v152, 0x7fff
                                        ; implicit-def: $vgpr155
; %bb.26:
	s_and_not1_saveexec_b32 s2, s2
; %bb.27:
	v_and_b32_e32 v152, 0xffff, v155
	v_or_b32_e32 v156, 0x10000, v155
	s_delay_alu instid0(VALU_DEP_2) | instskip(NEXT) | instid1(VALU_DEP_2)
	v_cmp_eq_u32_e32 vcc_lo, 0, v152
	v_cndmask_b32_e32 v152, v156, v155, vcc_lo
; %bb.28:
	s_or_b32 exec_lo, exec_lo, s2
	v_and_b32_e32 v155, 0x7f800000, v154
	s_delay_alu instid0(VALU_DEP_1) | instskip(SKIP_1) | instid1(SALU_CYCLE_1)
	v_cmp_ne_u32_e32 vcc_lo, 0x7f800000, v155
                                        ; implicit-def: $vgpr155
	s_and_saveexec_b32 s2, vcc_lo
	s_xor_b32 s2, exec_lo, s2
; %bb.29:
	v_bfe_u32 v155, v154, 16, 1
	s_delay_alu instid0(VALU_DEP_1)
	v_add3_u32 v155, v154, v155, 0x7fff
                                        ; implicit-def: $vgpr154
; %bb.30:
	s_and_not1_saveexec_b32 s2, s2
; %bb.31:
	v_and_b32_e32 v155, 0xffff, v154
	v_or_b32_e32 v156, 0x10000, v154
	s_delay_alu instid0(VALU_DEP_2) | instskip(NEXT) | instid1(VALU_DEP_2)
	v_cmp_eq_u32_e32 vcc_lo, 0, v155
	v_cndmask_b32_e32 v155, v156, v154, vcc_lo
; %bb.32:
	s_or_b32 exec_lo, exec_lo, s2
	v_and_b32_e32 v154, 0x7f800000, v153
	s_delay_alu instid0(VALU_DEP_1) | instskip(SKIP_1) | instid1(SALU_CYCLE_1)
	v_cmp_ne_u32_e32 vcc_lo, 0x7f800000, v154
                                        ; implicit-def: $vgpr154
	s_and_saveexec_b32 s2, vcc_lo
	s_xor_b32 s2, exec_lo, s2
; %bb.33:
	v_bfe_u32 v154, v153, 16, 1
	s_delay_alu instid0(VALU_DEP_1)
	v_add3_u32 v154, v153, v154, 0x7fff
                                        ; implicit-def: $vgpr153
; %bb.34:
	s_and_not1_saveexec_b32 s2, s2
; %bb.35:
	v_and_b32_e32 v154, 0xffff, v153
	v_or_b32_e32 v156, 0x10000, v153
	s_delay_alu instid0(VALU_DEP_2) | instskip(NEXT) | instid1(VALU_DEP_2)
	v_cmp_eq_u32_e32 vcc_lo, 0, v154
	v_cndmask_b32_e32 v154, v156, v153, vcc_lo
; %bb.36:
	s_or_b32 exec_lo, exec_lo, s2
	v_and_b32_e32 v153, 0x7f800000, v150
	s_delay_alu instid0(VALU_DEP_1) | instskip(SKIP_1) | instid1(SALU_CYCLE_1)
	v_cmp_ne_u32_e32 vcc_lo, 0x7f800000, v153
                                        ; implicit-def: $vgpr153
	s_and_saveexec_b32 s2, vcc_lo
	s_xor_b32 s2, exec_lo, s2
; %bb.37:
	v_bfe_u32 v153, v150, 16, 1
	s_delay_alu instid0(VALU_DEP_1)
	v_add3_u32 v153, v150, v153, 0x7fff
                                        ; implicit-def: $vgpr150
; %bb.38:
	s_and_not1_saveexec_b32 s2, s2
; %bb.39:
	v_and_b32_e32 v153, 0xffff, v150
	v_or_b32_e32 v156, 0x10000, v150
	s_delay_alu instid0(VALU_DEP_2) | instskip(NEXT) | instid1(VALU_DEP_2)
	v_cmp_eq_u32_e32 vcc_lo, 0, v153
	v_cndmask_b32_e32 v153, v156, v150, vcc_lo
; %bb.40:
	s_or_b32 exec_lo, exec_lo, s2
	v_and_b32_e32 v150, 0x7f800000, v145
	s_delay_alu instid0(VALU_DEP_1) | instskip(SKIP_1) | instid1(SALU_CYCLE_1)
	v_cmp_ne_u32_e32 vcc_lo, 0x7f800000, v150
                                        ; implicit-def: $vgpr150
	s_and_saveexec_b32 s2, vcc_lo
	s_xor_b32 s2, exec_lo, s2
; %bb.41:
	v_bfe_u32 v150, v145, 16, 1
	s_delay_alu instid0(VALU_DEP_1)
	v_add3_u32 v150, v145, v150, 0x7fff
                                        ; implicit-def: $vgpr145
; %bb.42:
	s_and_not1_saveexec_b32 s2, s2
; %bb.43:
	v_and_b32_e32 v150, 0xffff, v145
	v_or_b32_e32 v156, 0x10000, v145
	s_delay_alu instid0(VALU_DEP_2) | instskip(NEXT) | instid1(VALU_DEP_2)
	v_cmp_eq_u32_e32 vcc_lo, 0, v150
	v_cndmask_b32_e32 v150, v156, v145, vcc_lo
; %bb.44:
	s_or_b32 exec_lo, exec_lo, s2
	s_load_b64 s[34:35], s[0:1], 0x94
	v_lshlrev_b32_e32 v157, 4, v141
	s_delay_alu instid0(VALU_DEP_2)
	v_perm_b32 v156, v150, v153, 0x7060302
	v_dual_mul_f32 v136, v143, v136 :: v_dual_lshlrev_b32 v145, 6, v142
	v_lshlrev_b32_e32 v142, 11, v144
	v_perm_b32 v153, v149, v148, 0x7060302
	v_mul_f32_e32 v149, v143, v131
	v_perm_b32 v155, v154, v155, 0x7060302
	v_perm_b32 v154, v152, v151, 0x7060302
	v_or3_b32 v131, v157, v142, v145
	v_mul_f32_e32 v142, v143, v147
	v_mul_f32_e32 v146, v143, v146
	v_dual_mul_f32 v135, v143, v135 :: v_dual_and_b32 v150, 0x7f800000, v149
	v_mul_f32_e32 v147, v143, v134
	v_mul_f32_e32 v148, v143, v133
	;; [unrolled: 1-line block ×3, first 2 shown]
	s_mov_b32 s2, exec_lo
	ds_store_b128 v131, v[153:156]
                                        ; implicit-def: $vgpr132
	v_cmpx_ne_u32_e32 0x7f800000, v150
	s_xor_b32 s2, exec_lo, s2
; %bb.45:
	v_bfe_u32 v132, v149, 16, 1
	s_delay_alu instid0(VALU_DEP_1)
	v_add3_u32 v132, v149, v132, 0x7fff
                                        ; implicit-def: $vgpr149
; %bb.46:
	s_and_not1_saveexec_b32 s2, s2
; %bb.47:
	v_and_b32_e32 v132, 0xffff, v149
	v_or_b32_e32 v133, 0x10000, v149
	s_delay_alu instid0(VALU_DEP_2) | instskip(NEXT) | instid1(VALU_DEP_2)
	v_cmp_eq_u32_e32 vcc_lo, 0, v132
	v_cndmask_b32_e32 v132, v133, v149, vcc_lo
; %bb.48:
	s_or_b32 exec_lo, exec_lo, s2
	v_and_b32_e32 v133, 0x7f800000, v134
	s_delay_alu instid0(VALU_DEP_1) | instskip(SKIP_1) | instid1(SALU_CYCLE_1)
	v_cmp_ne_u32_e32 vcc_lo, 0x7f800000, v133
                                        ; implicit-def: $vgpr133
	s_and_saveexec_b32 s2, vcc_lo
	s_xor_b32 s2, exec_lo, s2
; %bb.49:
	v_bfe_u32 v133, v134, 16, 1
	s_delay_alu instid0(VALU_DEP_1)
	v_add3_u32 v133, v134, v133, 0x7fff
                                        ; implicit-def: $vgpr134
; %bb.50:
	s_and_not1_saveexec_b32 s2, s2
; %bb.51:
	v_and_b32_e32 v133, 0xffff, v134
	v_or_b32_e32 v143, 0x10000, v134
	s_delay_alu instid0(VALU_DEP_2) | instskip(NEXT) | instid1(VALU_DEP_2)
	v_cmp_eq_u32_e32 vcc_lo, 0, v133
	v_cndmask_b32_e32 v133, v143, v134, vcc_lo
; %bb.52:
	s_or_b32 exec_lo, exec_lo, s2
	v_and_b32_e32 v134, 0x7f800000, v148
	s_delay_alu instid0(VALU_DEP_1) | instskip(SKIP_1) | instid1(SALU_CYCLE_1)
	v_cmp_ne_u32_e32 vcc_lo, 0x7f800000, v134
                                        ; implicit-def: $vgpr134
	s_and_saveexec_b32 s2, vcc_lo
	s_xor_b32 s2, exec_lo, s2
; %bb.53:
	v_bfe_u32 v134, v148, 16, 1
	s_delay_alu instid0(VALU_DEP_1)
	v_add3_u32 v134, v148, v134, 0x7fff
                                        ; implicit-def: $vgpr148
; %bb.54:
	s_and_not1_saveexec_b32 s2, s2
; %bb.55:
	v_and_b32_e32 v134, 0xffff, v148
	v_or_b32_e32 v143, 0x10000, v148
	s_delay_alu instid0(VALU_DEP_2) | instskip(NEXT) | instid1(VALU_DEP_2)
	v_cmp_eq_u32_e32 vcc_lo, 0, v134
	v_cndmask_b32_e32 v134, v143, v148, vcc_lo
; %bb.56:
	s_or_b32 exec_lo, exec_lo, s2
	v_and_b32_e32 v143, 0x7f800000, v147
	s_delay_alu instid0(VALU_DEP_1) | instskip(SKIP_1) | instid1(SALU_CYCLE_1)
	v_cmp_ne_u32_e32 vcc_lo, 0x7f800000, v143
                                        ; implicit-def: $vgpr143
	s_and_saveexec_b32 s2, vcc_lo
	s_xor_b32 s2, exec_lo, s2
; %bb.57:
	v_bfe_u32 v143, v147, 16, 1
	s_delay_alu instid0(VALU_DEP_1)
	v_add3_u32 v143, v147, v143, 0x7fff
                                        ; implicit-def: $vgpr147
; %bb.58:
	s_and_not1_saveexec_b32 s2, s2
; %bb.59:
	v_and_b32_e32 v143, 0xffff, v147
	v_or_b32_e32 v148, 0x10000, v147
	s_delay_alu instid0(VALU_DEP_2) | instskip(NEXT) | instid1(VALU_DEP_2)
	v_cmp_eq_u32_e32 vcc_lo, 0, v143
	v_cndmask_b32_e32 v143, v148, v147, vcc_lo
; %bb.60:
	s_or_b32 exec_lo, exec_lo, s2
	v_and_b32_e32 v147, 0x7f800000, v135
	s_delay_alu instid0(VALU_DEP_1) | instskip(SKIP_1) | instid1(SALU_CYCLE_1)
	v_cmp_ne_u32_e32 vcc_lo, 0x7f800000, v147
                                        ; implicit-def: $vgpr147
	s_and_saveexec_b32 s2, vcc_lo
	s_xor_b32 s2, exec_lo, s2
; %bb.61:
	v_bfe_u32 v147, v135, 16, 1
	s_delay_alu instid0(VALU_DEP_1)
	v_add3_u32 v147, v135, v147, 0x7fff
                                        ; implicit-def: $vgpr135
; %bb.62:
	s_and_not1_saveexec_b32 s2, s2
; %bb.63:
	v_and_b32_e32 v147, 0xffff, v135
	v_or_b32_e32 v148, 0x10000, v135
	s_delay_alu instid0(VALU_DEP_2) | instskip(NEXT) | instid1(VALU_DEP_2)
	v_cmp_eq_u32_e32 vcc_lo, 0, v147
	v_cndmask_b32_e32 v147, v148, v135, vcc_lo
; %bb.64:
	s_or_b32 exec_lo, exec_lo, s2
	v_and_b32_e32 v135, 0x7f800000, v136
	s_delay_alu instid0(VALU_DEP_1) | instskip(SKIP_1) | instid1(SALU_CYCLE_1)
	v_cmp_ne_u32_e32 vcc_lo, 0x7f800000, v135
                                        ; implicit-def: $vgpr135
	s_and_saveexec_b32 s2, vcc_lo
	s_xor_b32 s2, exec_lo, s2
; %bb.65:
	v_bfe_u32 v135, v136, 16, 1
	s_delay_alu instid0(VALU_DEP_1)
	v_add3_u32 v135, v136, v135, 0x7fff
                                        ; implicit-def: $vgpr136
; %bb.66:
	s_and_not1_saveexec_b32 s2, s2
; %bb.67:
	v_and_b32_e32 v135, 0xffff, v136
	v_or_b32_e32 v148, 0x10000, v136
	s_delay_alu instid0(VALU_DEP_2) | instskip(NEXT) | instid1(VALU_DEP_2)
	v_cmp_eq_u32_e32 vcc_lo, 0, v135
	v_cndmask_b32_e32 v135, v148, v136, vcc_lo
; %bb.68:
	s_or_b32 exec_lo, exec_lo, s2
	v_and_b32_e32 v136, 0x7f800000, v146
	s_delay_alu instid0(VALU_DEP_1) | instskip(SKIP_1) | instid1(SALU_CYCLE_1)
	v_cmp_ne_u32_e32 vcc_lo, 0x7f800000, v136
                                        ; implicit-def: $vgpr136
	s_and_saveexec_b32 s2, vcc_lo
	s_xor_b32 s2, exec_lo, s2
; %bb.69:
	v_bfe_u32 v136, v146, 16, 1
	s_delay_alu instid0(VALU_DEP_1)
	v_add3_u32 v136, v146, v136, 0x7fff
                                        ; implicit-def: $vgpr146
; %bb.70:
	s_and_not1_saveexec_b32 s2, s2
; %bb.71:
	v_and_b32_e32 v136, 0xffff, v146
	v_or_b32_e32 v148, 0x10000, v146
	s_delay_alu instid0(VALU_DEP_2) | instskip(NEXT) | instid1(VALU_DEP_2)
	v_cmp_eq_u32_e32 vcc_lo, 0, v136
	v_cndmask_b32_e32 v136, v148, v146, vcc_lo
; %bb.72:
	s_or_b32 exec_lo, exec_lo, s2
	v_and_b32_e32 v146, 0x7f800000, v142
	s_delay_alu instid0(VALU_DEP_1) | instskip(SKIP_1) | instid1(SALU_CYCLE_1)
	v_cmp_ne_u32_e32 vcc_lo, 0x7f800000, v146
                                        ; implicit-def: $vgpr146
	s_and_saveexec_b32 s2, vcc_lo
	s_xor_b32 s2, exec_lo, s2
; %bb.73:
	v_bfe_u32 v146, v142, 16, 1
	s_delay_alu instid0(VALU_DEP_1)
	v_add3_u32 v146, v142, v146, 0x7fff
                                        ; implicit-def: $vgpr142
; %bb.74:
	s_and_not1_saveexec_b32 s2, s2
; %bb.75:
	v_and_b32_e32 v146, 0xffff, v142
	v_or_b32_e32 v148, 0x10000, v142
	s_delay_alu instid0(VALU_DEP_2) | instskip(NEXT) | instid1(VALU_DEP_2)
	v_cmp_eq_u32_e32 vcc_lo, 0, v146
	v_cndmask_b32_e32 v146, v148, v142, vcc_lo
; %bb.76:
	s_or_b32 exec_lo, exec_lo, s2
	s_delay_alu instid0(VALU_DEP_1)
	v_perm_b32 v136, v146, v136, 0x7060302
	v_perm_b32 v135, v135, v147, 0x7060302
	;; [unrolled: 1-line block ×4, first 2 shown]
	v_lshl_or_b32 v147, v144, 11, v145
	ds_store_b128 v131, v[133:136] offset:1024
	s_waitcnt lgkmcnt(0)
	s_barrier
	buffer_gl0_inv
	ds_load_b128 v[132:135], v147
	ds_load_b128 v[148:151], v147 offset:16
	s_waitcnt lgkmcnt(1)
	v_lshrrev_b32_e32 v136, 16, v132
	v_lshlrev_b32_e32 v143, 2, v141
	s_waitcnt lgkmcnt(0)
	v_lshrrev_b32_e32 v156, 16, v148
	v_lshrrev_b32_e32 v160, 16, v133
	;; [unrolled: 1-line block ×4, first 2 shown]
	v_cmp_eq_u32_e32 vcc_lo, 1, v143
	v_lshrrev_b32_e32 v164, 16, v150
	v_lshrrev_b32_e32 v162, 16, v135
	;; [unrolled: 1-line block ×3, first 2 shown]
	v_cndmask_b32_e32 v146, v132, v136, vcc_lo
	v_or_b32_e32 v144, 1, v143
	v_cmp_eq_u32_e64 s3, 2, v143
	v_cndmask_b32_e32 v152, v148, v156, vcc_lo
	v_cmp_eq_u32_e64 s6, 3, v143
	v_cmp_eq_u32_e64 s8, 4, v143
	;; [unrolled: 1-line block ×3, first 2 shown]
	v_cndmask_b32_e64 v146, v146, v133, s3
	v_cmp_eq_u32_e64 s5, 2, v144
	v_cndmask_b32_e64 v152, v152, v149, s3
	v_cmp_eq_u32_e64 s7, 3, v144
	v_cndmask_b32_e64 v153, v132, v136, s2
	v_cndmask_b32_e64 v146, v146, v160, s6
	v_or_b32_e32 v142, 2, v143
	v_cndmask_b32_e64 v152, v152, v163, s6
	v_cndmask_b32_e64 v154, v148, v156, s2
	;; [unrolled: 1-line block ×4, first 2 shown]
	v_cmp_eq_u32_e64 s9, 5, v143
	v_cndmask_b32_e64 v152, v152, v150, s8
	v_cmp_eq_u32_e64 s10, 4, v144
	v_cndmask_b32_e64 v153, v153, v160, s7
	;; [unrolled: 2-line block ×3, first 2 shown]
	v_cndmask_b32_e64 v146, v146, v161, s9
	v_cmp_eq_u32_e64 s11, 6, v143
	v_cndmask_b32_e64 v153, v153, v134, s10
	v_cndmask_b32_e64 v152, v152, v164, s9
	v_cmp_eq_u32_e64 s12, 5, v144
	v_cndmask_b32_e64 v155, v132, v136, s4
	v_cndmask_b32_e64 v154, v154, v163, s7
	;; [unrolled: 1-line block ×3, first 2 shown]
	v_cmp_eq_u32_e64 s13, 7, v143
	v_cndmask_b32_e64 v153, v153, v161, s12
	v_cndmask_b32_e64 v152, v152, v151, s11
	v_cmp_eq_u32_e64 s15, 6, v144
	v_cmp_eq_u32_e64 s16, 2, v142
	v_cndmask_b32_e64 v154, v154, v150, s10
	v_cndmask_b32_e64 v166, v146, v162, s13
	;; [unrolled: 1-line block ×6, first 2 shown]
	v_cmp_eq_u32_e64 s17, 7, v144
	v_cmp_eq_u32_e64 s18, 3, v142
	;; [unrolled: 1-line block ×4, first 2 shown]
	v_cndmask_b32_e64 v152, v152, v149, s16
	v_cndmask_b32_e64 v168, v153, v162, s17
	;; [unrolled: 1-line block ×4, first 2 shown]
	v_or_b32_e32 v146, 3, v143
	v_cndmask_b32_e64 v158, v152, v163, s18
	v_cmp_eq_u32_e64 s23, 6, v142
	v_cndmask_b32_e64 v169, v153, v151, s15
	v_cndmask_b32_e64 v157, v154, v134, s19
	v_cmp_eq_u32_e64 s20, 1, v146
	ds_load_b128 v[152:155], v147 offset:1024
	v_cmp_eq_u32_e64 s22, 2, v146
	v_cmp_eq_u32_e64 s24, 3, v146
	v_cndmask_b32_e64 v170, v157, v161, s21
	v_cndmask_b32_e64 v132, v132, v136, s20
	;; [unrolled: 1-line block ×4, first 2 shown]
	ds_load_b128 v[156:159], v147 offset:1040
	v_cmp_eq_u32_e64 s25, 4, v146
	v_cndmask_b32_e64 v132, v132, v133, s22
	v_cndmask_b32_e64 v133, v136, v164, s21
	;; [unrolled: 1-line block ×3, first 2 shown]
	v_cmp_eq_u32_e64 s27, 5, v146
	v_cndmask_b32_e64 v149, v170, v135, s23
	v_cndmask_b32_e64 v132, v132, v160, s24
	v_cmp_eq_u32_e64 s26, 7, v142
	v_cndmask_b32_e64 v136, v136, v163, s24
	v_cmp_eq_u32_e64 s28, 6, v146
	v_cndmask_b32_e64 v133, v133, v151, s23
	v_cndmask_b32_e64 v132, v132, v134, s25
	s_waitcnt lgkmcnt(1)
	v_lshrrev_b32_e32 v160, 16, v152
	v_cndmask_b32_e64 v134, v136, v150, s25
	v_cndmask_b32_e64 v136, v149, v162, s26
	;; [unrolled: 1-line block ×4, first 2 shown]
	v_lshrrev_b32_e32 v161, 16, v153
	v_cndmask_b32_e64 v134, v134, v164, s27
	s_waitcnt lgkmcnt(0)
	v_lshrrev_b32_e32 v150, 16, v156
	v_cndmask_b32_e64 v163, v152, v160, s2
	v_cndmask_b32_e64 v132, v132, v135, s28
	;; [unrolled: 1-line block ×4, first 2 shown]
	v_cndmask_b32_e32 v149, v152, v160, vcc_lo
	v_cndmask_b32_e32 v164, v156, v150, vcc_lo
	v_cmp_eq_u32_e32 vcc_lo, 7, v146
	s_delay_alu instid0(VALU_DEP_2)
	v_cndmask_b32_e64 v151, v164, v157, s3
	v_cndmask_b32_e32 v134, v134, v165, vcc_lo
	v_cndmask_b32_e64 v149, v149, v153, s3
	v_lshrrev_b32_e32 v164, 16, v154
	v_cndmask_b32_e32 v132, v132, v162, vcc_lo
	v_lshrrev_b32_e32 v165, 16, v158
	s_delay_alu instid0(VALU_DEP_4) | instskip(SKIP_2) | instid1(VALU_DEP_3)
	v_cndmask_b32_e64 v135, v149, v161, s6
	v_cndmask_b32_e64 v149, v163, v153, s5
	v_lshrrev_b32_e32 v163, 16, v157
	v_cndmask_b32_e64 v135, v135, v154, s8
	s_delay_alu instid0(VALU_DEP_3) | instskip(NEXT) | instid1(VALU_DEP_3)
	v_cndmask_b32_e64 v149, v149, v161, s7
	v_cndmask_b32_e64 v151, v151, v163, s6
	s_delay_alu instid0(VALU_DEP_3) | instskip(NEXT) | instid1(VALU_DEP_3)
	v_cndmask_b32_e64 v162, v135, v164, s9
	v_cndmask_b32_e64 v149, v149, v154, s10
	s_delay_alu instid0(VALU_DEP_3)
	v_cndmask_b32_e64 v151, v151, v158, s8
	v_perm_b32 v135, v134, v132, 0x5040100
	v_perm_b32 v134, v133, v136, 0x5040100
	;; [unrolled: 1-line block ×3, first 2 shown]
	v_cndmask_b32_e64 v132, v149, v164, s12
	v_cndmask_b32_e64 v149, v162, v155, s11
	v_lshrrev_b32_e32 v162, 16, v155
	v_cndmask_b32_e64 v151, v151, v165, s9
	s_delay_alu instid0(VALU_DEP_4) | instskip(NEXT) | instid1(VALU_DEP_3)
	v_cndmask_b32_e64 v132, v132, v155, s15
	v_cndmask_b32_e64 v136, v149, v162, s13
	s_delay_alu instid0(VALU_DEP_3) | instskip(SKIP_1) | instid1(VALU_DEP_4)
	v_cndmask_b32_e64 v148, v151, v159, s11
	v_cndmask_b32_e64 v151, v152, v160, s20
	;; [unrolled: 1-line block ×27, first 2 shown]
	v_lshrrev_b32_e32 v149, 16, v159
	v_cndmask_b32_e64 v132, v132, v155, s23
	v_cndmask_b32_e64 v151, v151, v155, s28
	;; [unrolled: 1-line block ×6, first 2 shown]
	s_delay_alu instid0(VALU_DEP_4) | instskip(NEXT) | instid1(VALU_DEP_4)
	v_dual_cndmask_b32 v151, v151, v162 :: v_dual_cndmask_b32 v152, v152, v149
	v_cndmask_b32_e64 v153, v153, v149, s26
	s_delay_alu instid0(VALU_DEP_4)
	v_cndmask_b32_e64 v155, v150, v149, s17
	v_cndmask_b32_e64 v148, v148, v149, s13
	v_perm_b32 v132, v167, v166, 0x5040100
	v_perm_b32 v151, v152, v151, 0x5040100
	;; [unrolled: 1-line block ×5, first 2 shown]
	s_lshl_b32 s7, s35, 1
	s_mov_b32 s2, exec_lo
	ds_store_b128 v131, v[132:135]
	ds_store_b128 v131, v[148:151] offset:1024
	v_cmpx_gt_u32_e32 2, v0
	s_cbranch_execz .LBB467_78
; %bb.77:
	v_or_b32_e32 v131, s31, v0
	s_load_b128 s[8:11], s[0:1], 0x58
	s_delay_alu instid0(VALU_DEP_1) | instskip(NEXT) | instid1(VALU_DEP_1)
	v_mad_u64_u32 v[132:133], null, s7, s30, v[131:132]
	v_mad_u64_u32 v[133:134], null, v132, s34, s[14:15]
	s_delay_alu instid0(VALU_DEP_1) | instskip(NEXT) | instid1(VALU_DEP_1)
	v_ashrrev_i32_e32 v134, 31, v133
	v_lshlrev_b64 v[131:132], 2, v[133:134]
	s_waitcnt lgkmcnt(0)
	s_delay_alu instid0(VALU_DEP_1) | instskip(NEXT) | instid1(VALU_DEP_2)
	v_add_co_u32 v133, vcc_lo, s10, v131
	v_add_co_ci_u32_e32 v134, vcc_lo, s11, v132, vcc_lo
	v_add_co_u32 v131, vcc_lo, s8, v131
	v_add_co_ci_u32_e32 v132, vcc_lo, s9, v132, vcc_lo
	global_store_b32 v[133:134], v129, off
	global_store_b32 v[131:132], v130, off
.LBB467_78:
	s_or_b32 exec_lo, exec_lo, s2
	s_waitcnt lgkmcnt(0)
	s_waitcnt_vscnt null, 0x0
	s_barrier
	buffer_gl0_inv
	ds_load_b128 v[148:151], v145
	ds_load_b128 v[152:155], v145 offset:16
	ds_load_b128 v[160:163], v145 offset:1040
	;; [unrolled: 1-line block ×3, first 2 shown]
	v_mov_b32_e32 v129, 0
	ds_load_b128 v[168:171], v145 offset:2064
	ds_load_b128 v[164:167], v145 offset:2048
	;; [unrolled: 1-line block ×6, first 2 shown]
	v_mov_b32_e32 v130, v129
	v_mov_b32_e32 v131, v129
	;; [unrolled: 1-line block ×7, first 2 shown]
	s_waitcnt lgkmcnt(8)
	s_delay_alu instid0(VALU_DEP_1)
	v_wmma_f32_16x16x16_bf16 v[129:136], v[121:128], v[148:155], v[129:136]
	ds_load_b128 v[125:128], v145 offset:5136
	ds_load_b128 v[121:124], v145 offset:5120
	s_waitcnt lgkmcnt(8)
	v_wmma_f32_16x16x16_bf16 v[129:136], v[113:120], v[156:163], v[129:136]
	ds_load_b128 v[117:120], v145 offset:6160
	ds_load_b128 v[113:116], v145 offset:6144
	s_waitcnt lgkmcnt(8)
	;; [unrolled: 4-line block ×8, first 2 shown]
	v_wmma_f32_16x16x16_bf16 v[129:136], v[65:72], v[97:104], v[129:136]
	s_waitcnt lgkmcnt(6)
	s_delay_alu instid0(VALU_DEP_1)
	v_wmma_f32_16x16x16_bf16 v[129:136], v[49:56], v[89:96], v[129:136]
	ds_load_b128 v[53:56], v145 offset:13328
	ds_load_b128 v[49:52], v145 offset:13312
	s_waitcnt lgkmcnt(6)
	v_wmma_f32_16x16x16_bf16 v[129:136], v[41:48], v[81:88], v[129:136]
	ds_load_b128 v[45:48], v145 offset:14352
	ds_load_b128 v[41:44], v145 offset:14336
	s_waitcnt lgkmcnt(6)
	;; [unrolled: 4-line block ×3, first 2 shown]
	v_wmma_f32_16x16x16_bf16 v[129:136], v[1:8], v[57:64], v[129:136]
	s_waitcnt lgkmcnt(4)
	s_delay_alu instid0(VALU_DEP_1) | instskip(SKIP_1) | instid1(VALU_DEP_1)
	v_wmma_f32_16x16x16_bf16 v[129:136], v[25:32], v[49:56], v[129:136]
	s_waitcnt lgkmcnt(2)
	v_wmma_f32_16x16x16_bf16 v[129:136], v[33:40], v[41:48], v[129:136]
	s_waitcnt lgkmcnt(0)
	s_delay_alu instid0(VALU_DEP_1) | instskip(NEXT) | instid1(VALU_DEP_1)
	v_wmma_f32_16x16x16_bf16 v[129:136], v[9:16], v[17:24], v[129:136]
	v_and_b32_e32 v1, 0x7f800000, v129
	s_delay_alu instid0(VALU_DEP_1) | instskip(SKIP_1) | instid1(SALU_CYCLE_1)
	v_cmp_ne_u32_e32 vcc_lo, 0x7f800000, v1
                                        ; implicit-def: $vgpr1
	s_and_saveexec_b32 s2, vcc_lo
	s_xor_b32 s2, exec_lo, s2
; %bb.79:
	v_bfe_u32 v1, v129, 16, 1
	s_delay_alu instid0(VALU_DEP_1)
	v_add3_u32 v1, v129, v1, 0x7fff
; %bb.80:
	s_and_not1_saveexec_b32 s2, s2
; %bb.81:
	v_and_b32_e32 v1, 0xffff, v129
	v_or_b32_e32 v2, 0x10000, v129
	s_delay_alu instid0(VALU_DEP_2) | instskip(NEXT) | instid1(VALU_DEP_2)
	v_cmp_eq_u32_e32 vcc_lo, 0, v1
	v_cndmask_b32_e32 v1, v2, v129, vcc_lo
; %bb.82:
	s_or_b32 exec_lo, exec_lo, s2
	v_and_b32_e32 v2, 0x7f800000, v130
	s_delay_alu instid0(VALU_DEP_1) | instskip(SKIP_1) | instid1(SALU_CYCLE_1)
	v_cmp_ne_u32_e32 vcc_lo, 0x7f800000, v2
                                        ; implicit-def: $vgpr2
	s_and_saveexec_b32 s2, vcc_lo
	s_xor_b32 s2, exec_lo, s2
; %bb.83:
	v_bfe_u32 v2, v130, 16, 1
	s_delay_alu instid0(VALU_DEP_1)
	v_add3_u32 v2, v130, v2, 0x7fff
; %bb.84:
	s_and_not1_saveexec_b32 s2, s2
; %bb.85:
	v_and_b32_e32 v2, 0xffff, v130
	v_or_b32_e32 v3, 0x10000, v130
	s_delay_alu instid0(VALU_DEP_2) | instskip(NEXT) | instid1(VALU_DEP_2)
	v_cmp_eq_u32_e32 vcc_lo, 0, v2
	v_cndmask_b32_e32 v2, v3, v130, vcc_lo
; %bb.86:
	s_or_b32 exec_lo, exec_lo, s2
	v_and_b32_e32 v3, 0x7f800000, v131
	s_delay_alu instid0(VALU_DEP_1) | instskip(SKIP_1) | instid1(SALU_CYCLE_1)
	v_cmp_ne_u32_e32 vcc_lo, 0x7f800000, v3
                                        ; implicit-def: $vgpr3
	s_and_saveexec_b32 s2, vcc_lo
	s_xor_b32 s2, exec_lo, s2
; %bb.87:
	v_bfe_u32 v3, v131, 16, 1
	s_delay_alu instid0(VALU_DEP_1)
	v_add3_u32 v3, v131, v3, 0x7fff
; %bb.88:
	s_and_not1_saveexec_b32 s2, s2
; %bb.89:
	v_and_b32_e32 v3, 0xffff, v131
	v_or_b32_e32 v4, 0x10000, v131
	s_delay_alu instid0(VALU_DEP_2) | instskip(NEXT) | instid1(VALU_DEP_2)
	v_cmp_eq_u32_e32 vcc_lo, 0, v3
	v_cndmask_b32_e32 v3, v4, v131, vcc_lo
; %bb.90:
	s_or_b32 exec_lo, exec_lo, s2
	v_and_b32_e32 v4, 0x7f800000, v132
	s_delay_alu instid0(VALU_DEP_1) | instskip(SKIP_1) | instid1(SALU_CYCLE_1)
	v_cmp_ne_u32_e32 vcc_lo, 0x7f800000, v4
                                        ; implicit-def: $vgpr4
	s_and_saveexec_b32 s2, vcc_lo
	s_xor_b32 s2, exec_lo, s2
; %bb.91:
	v_bfe_u32 v4, v132, 16, 1
	s_delay_alu instid0(VALU_DEP_1)
	v_add3_u32 v4, v132, v4, 0x7fff
; %bb.92:
	s_and_not1_saveexec_b32 s2, s2
; %bb.93:
	v_and_b32_e32 v4, 0xffff, v132
	v_or_b32_e32 v5, 0x10000, v132
	s_delay_alu instid0(VALU_DEP_2) | instskip(NEXT) | instid1(VALU_DEP_2)
	v_cmp_eq_u32_e32 vcc_lo, 0, v4
	v_cndmask_b32_e32 v4, v5, v132, vcc_lo
; %bb.94:
	s_or_b32 exec_lo, exec_lo, s2
	v_and_b32_e32 v5, 0x7f800000, v133
	s_delay_alu instid0(VALU_DEP_1) | instskip(SKIP_1) | instid1(SALU_CYCLE_1)
	v_cmp_ne_u32_e32 vcc_lo, 0x7f800000, v5
                                        ; implicit-def: $vgpr5
	s_and_saveexec_b32 s2, vcc_lo
	s_xor_b32 s2, exec_lo, s2
; %bb.95:
	v_bfe_u32 v5, v133, 16, 1
	s_delay_alu instid0(VALU_DEP_1)
	v_add3_u32 v5, v133, v5, 0x7fff
; %bb.96:
	s_and_not1_saveexec_b32 s2, s2
; %bb.97:
	v_and_b32_e32 v5, 0xffff, v133
	v_or_b32_e32 v6, 0x10000, v133
	s_delay_alu instid0(VALU_DEP_2) | instskip(NEXT) | instid1(VALU_DEP_2)
	v_cmp_eq_u32_e32 vcc_lo, 0, v5
	v_cndmask_b32_e32 v5, v6, v133, vcc_lo
; %bb.98:
	s_or_b32 exec_lo, exec_lo, s2
	v_and_b32_e32 v6, 0x7f800000, v134
	s_delay_alu instid0(VALU_DEP_1) | instskip(SKIP_1) | instid1(SALU_CYCLE_1)
	v_cmp_ne_u32_e32 vcc_lo, 0x7f800000, v6
                                        ; implicit-def: $vgpr6
	s_and_saveexec_b32 s2, vcc_lo
	s_xor_b32 s2, exec_lo, s2
; %bb.99:
	v_bfe_u32 v6, v134, 16, 1
	s_delay_alu instid0(VALU_DEP_1)
	v_add3_u32 v6, v134, v6, 0x7fff
; %bb.100:
	s_and_not1_saveexec_b32 s2, s2
; %bb.101:
	v_and_b32_e32 v6, 0xffff, v134
	v_or_b32_e32 v7, 0x10000, v134
	s_delay_alu instid0(VALU_DEP_2) | instskip(NEXT) | instid1(VALU_DEP_2)
	v_cmp_eq_u32_e32 vcc_lo, 0, v6
	v_cndmask_b32_e32 v6, v7, v134, vcc_lo
; %bb.102:
	s_or_b32 exec_lo, exec_lo, s2
	v_and_b32_e32 v7, 0x7f800000, v135
	s_delay_alu instid0(VALU_DEP_1) | instskip(SKIP_1) | instid1(SALU_CYCLE_1)
	v_cmp_ne_u32_e32 vcc_lo, 0x7f800000, v7
                                        ; implicit-def: $vgpr7
	s_and_saveexec_b32 s2, vcc_lo
	s_xor_b32 s2, exec_lo, s2
; %bb.103:
	v_bfe_u32 v7, v135, 16, 1
	s_delay_alu instid0(VALU_DEP_1)
	v_add3_u32 v7, v135, v7, 0x7fff
; %bb.104:
	s_and_not1_saveexec_b32 s2, s2
; %bb.105:
	v_and_b32_e32 v7, 0xffff, v135
	v_or_b32_e32 v8, 0x10000, v135
	s_delay_alu instid0(VALU_DEP_2) | instskip(NEXT) | instid1(VALU_DEP_2)
	v_cmp_eq_u32_e32 vcc_lo, 0, v7
	v_cndmask_b32_e32 v7, v8, v135, vcc_lo
; %bb.106:
	s_or_b32 exec_lo, exec_lo, s2
	v_and_b32_e32 v8, 0x7f800000, v136
	s_delay_alu instid0(VALU_DEP_1) | instskip(SKIP_1) | instid1(SALU_CYCLE_1)
	v_cmp_ne_u32_e32 vcc_lo, 0x7f800000, v8
                                        ; implicit-def: $vgpr8
	s_and_saveexec_b32 s2, vcc_lo
	s_xor_b32 s2, exec_lo, s2
; %bb.107:
	v_bfe_u32 v8, v136, 16, 1
	s_delay_alu instid0(VALU_DEP_1)
	v_add3_u32 v8, v136, v8, 0x7fff
                                        ; implicit-def: $vgpr129_vgpr130_vgpr131_vgpr132_vgpr133_vgpr134_vgpr135_vgpr136
; %bb.108:
	s_and_not1_saveexec_b32 s2, s2
; %bb.109:
	v_and_b32_e32 v8, 0xffff, v136
	v_or_b32_e32 v9, 0x10000, v136
	s_delay_alu instid0(VALU_DEP_2) | instskip(NEXT) | instid1(VALU_DEP_2)
	v_cmp_eq_u32_e32 vcc_lo, 0, v8
	v_cndmask_b32_e32 v8, v9, v136, vcc_lo
; %bb.110:
	s_or_b32 exec_lo, exec_lo, s2
	s_delay_alu instid0(VALU_DEP_1)
	v_perm_b32 v7, v8, v7, 0x7060302
	v_perm_b32 v6, v6, v5, 0x7060302
	;; [unrolled: 1-line block ×4, first 2 shown]
	v_lshl_or_b32 v9, v141, 4, v147
	s_barrier
	buffer_gl0_inv
	v_cmp_eq_u32_e32 vcc_lo, 1, v143
	ds_store_b128 v9, v[4:7]
	s_waitcnt lgkmcnt(0)
	s_barrier
	buffer_gl0_inv
	ds_load_b128 v[1:4], v147
	ds_load_b128 v[5:8], v147 offset:16
	v_cmp_eq_u32_e64 s3, 2, v143
	v_cmp_eq_u32_e64 s2, 1, v144
	v_cmp_eq_u32_e64 s4, 3, v143
	v_cmp_eq_u32_e64 s6, 2, v142
	v_cmp_eq_u32_e64 s5, 7, v144
	s_waitcnt lgkmcnt(1)
	v_lshrrev_b32_e32 v10, 16, v1
	s_waitcnt lgkmcnt(0)
	v_lshrrev_b32_e32 v14, 16, v5
	v_lshrrev_b32_e32 v15, 16, v6
	;; [unrolled: 1-line block ×4, first 2 shown]
	v_cndmask_b32_e64 v20, v1, v10, s2
	v_cndmask_b32_e32 v19, v5, v14, vcc_lo
	v_cndmask_b32_e64 v21, v5, v14, s2
	v_lshrrev_b32_e32 v16, 16, v7
	v_cmp_eq_u32_e64 s2, 1, v142
	v_lshrrev_b32_e32 v13, 16, v4
	v_cndmask_b32_e64 v19, v19, v6, s3
	v_lshrrev_b32_e32 v17, 16, v8
	s_delay_alu instid0(VALU_DEP_4) | instskip(SKIP_1) | instid1(VALU_DEP_4)
	v_cndmask_b32_e64 v22, v1, v10, s2
	v_cndmask_b32_e64 v23, v5, v14, s2
	;; [unrolled: 1-line block ×3, first 2 shown]
	v_cndmask_b32_e32 v18, v1, v10, vcc_lo
	v_cmp_eq_u32_e32 vcc_lo, 2, v144
	v_cmp_eq_u32_e64 s2, 2, v146
	v_cndmask_b32_e64 v22, v22, v2, s6
	v_cndmask_b32_e32 v20, v20, v2, vcc_lo
	v_cndmask_b32_e32 v21, v21, v6, vcc_lo
	v_cmp_eq_u32_e32 vcc_lo, 4, v143
	v_cndmask_b32_e32 v19, v19, v7, vcc_lo
	v_cndmask_b32_e64 v18, v18, v2, s3
	v_cmp_eq_u32_e64 s3, 3, v144
	s_delay_alu instid0(VALU_DEP_2) | instskip(NEXT) | instid1(VALU_DEP_2)
	v_cndmask_b32_e64 v18, v18, v11, s4
	v_cndmask_b32_e64 v21, v21, v15, s3
	v_cmp_eq_u32_e64 s4, 5, v143
	s_delay_alu instid0(VALU_DEP_3) | instskip(SKIP_1) | instid1(VALU_DEP_3)
	v_cndmask_b32_e32 v18, v18, v3, vcc_lo
	v_cmp_eq_u32_e32 vcc_lo, 4, v144
	v_cndmask_b32_e64 v19, v19, v16, s4
	s_delay_alu instid0(VALU_DEP_3) | instskip(SKIP_4) | instid1(VALU_DEP_3)
	v_cndmask_b32_e64 v18, v18, v12, s4
	v_cndmask_b32_e32 v21, v21, v7, vcc_lo
	v_cndmask_b32_e64 v20, v20, v11, s3
	v_cmp_eq_u32_e64 s3, 5, v144
	v_cmp_eq_u32_e64 s4, 6, v143
	v_cndmask_b32_e32 v20, v20, v3, vcc_lo
	s_delay_alu instid0(VALU_DEP_3) | instskip(SKIP_1) | instid1(VALU_DEP_4)
	v_cndmask_b32_e64 v21, v21, v16, s3
	v_cmp_eq_u32_e32 vcc_lo, 6, v144
	v_cndmask_b32_e64 v18, v18, v4, s4
	v_cndmask_b32_e64 v19, v19, v8, s4
	v_cndmask_b32_e64 v20, v20, v12, s3
	v_cmp_eq_u32_e64 s3, 1, v146
	v_cmp_eq_u32_e64 s4, 7, v143
	s_delay_alu instid0(VALU_DEP_3) | instskip(NEXT) | instid1(VALU_DEP_3)
	v_cndmask_b32_e32 v20, v20, v4, vcc_lo
	v_cndmask_b32_e64 v1, v1, v10, s3
	v_cndmask_b32_e64 v5, v5, v14, s3
	v_cmp_eq_u32_e64 s3, 3, v142
	v_cndmask_b32_e64 v14, v23, v6, s6
	v_cmp_eq_u32_e64 s6, 3, v146
	v_cndmask_b32_e64 v1, v1, v2, s2
	v_cndmask_b32_e64 v2, v5, v6, s2
	v_cndmask_b32_e64 v10, v22, v11, s3
	v_cmp_eq_u32_e64 s2, 4, v142
	v_cndmask_b32_e64 v6, v14, v15, s3
	v_cndmask_b32_e64 v1, v1, v11, s6
	v_cmp_eq_u32_e64 s3, 4, v146
	v_cndmask_b32_e64 v2, v2, v15, s6
	v_cndmask_b32_e64 v5, v10, v3, s2
	;; [unrolled: 3-line block ×3, first 2 shown]
	v_cndmask_b32_e64 v2, v2, v7, s3
	v_cmp_eq_u32_e64 s2, 5, v146
	v_cndmask_b32_e64 v5, v5, v12, s6
	v_cmp_eq_u32_e64 s3, 6, v142
	v_cndmask_b32_e64 v3, v6, v16, s6
	v_cmp_eq_u32_e64 s6, 6, v146
	v_cndmask_b32_e64 v1, v1, v12, s2
	v_cndmask_b32_e64 v2, v2, v16, s2
	;; [unrolled: 1-line block ×4, first 2 shown]
	v_cmp_eq_u32_e64 s2, 7, v146
	v_cndmask_b32_e64 v1, v1, v4, s6
	v_cndmask_b32_e64 v2, v2, v8, s6
	v_cmp_eq_u32_e64 s3, 7, v142
	v_cndmask_b32_e32 v4, v21, v8, vcc_lo
	v_cndmask_b32_e64 v18, v18, v13, s4
	v_cndmask_b32_e64 v20, v20, v13, s5
	;; [unrolled: 1-line block ×8, first 2 shown]
	s_delay_alu instid0(VALU_DEP_4) | instskip(NEXT) | instid1(VALU_DEP_4)
	v_perm_b32 v4, v2, v1, 0x5040100
	v_perm_b32 v3, v3, v5, 0x5040100
	s_delay_alu instid0(VALU_DEP_4) | instskip(NEXT) | instid1(VALU_DEP_4)
	v_perm_b32 v2, v6, v20, 0x5040100
	v_perm_b32 v1, v7, v18, 0x5040100
	ds_store_b128 v9, v[1:4]
	s_waitcnt lgkmcnt(0)
	s_barrier
	buffer_gl0_inv
	s_and_saveexec_b32 s2, s29
	s_cbranch_execz .LBB467_2
; %bb.111:
	s_load_b64 s[0:1], s[0:1], 0x68
	v_lshlrev_b32_e32 v0, 10, v0
	s_lshl_b32 s2, s34, 6
	v_lshlrev_b32_e32 v1, 4, v140
	v_mul_lo_u32 v4, s2, v139
	s_mul_i32 s3, s2, s30
	v_and_b32_e32 v0, 0x3800, v0
	s_mul_i32 s2, s3, s7
	s_delay_alu instid0(SALU_CYCLE_1) | instskip(NEXT) | instid1(VALU_DEP_1)
	s_ashr_i32 s3, s2, 31
	v_or3_b32 v0, v0, v138, v1
	s_lshl_b64 s[2:3], s[2:3], 1
	s_delay_alu instid0(VALU_DEP_3)
	v_ashrrev_i32_e32 v5, 31, v4
	ds_load_b128 v[0:3], v0
	v_lshlrev_b64 v[4:5], 1, v[4:5]
	s_waitcnt lgkmcnt(0)
	s_add_u32 s2, s0, s2
	s_addc_u32 s3, s1, s3
	s_lshl_b32 s0, s14, 6
	s_delay_alu instid0(SALU_CYCLE_1) | instskip(NEXT) | instid1(SALU_CYCLE_1)
	s_ashr_i32 s1, s0, 31
	s_lshl_b64 s[0:1], s[0:1], 1
	s_delay_alu instid0(SALU_CYCLE_1) | instskip(SKIP_3) | instid1(VALU_DEP_2)
	s_add_u32 s0, s2, s0
	s_addc_u32 s1, s3, s1
	v_add_co_u32 v4, vcc_lo, s0, v4
	v_add_co_ci_u32_e32 v5, vcc_lo, s1, v5, vcc_lo
	v_add_co_u32 v4, vcc_lo, v4, v137
	s_delay_alu instid0(VALU_DEP_2)
	v_add_co_ci_u32_e32 v5, vcc_lo, 0, v5, vcc_lo
	global_store_b128 v[4:5], v[0:3], off
	s_nop 0
	s_sendmsg sendmsg(MSG_DEALLOC_VGPRS)
	s_endpgm
	.section	.rodata,"a",@progbits
	.p2align	6, 0x0
	.amdhsa_kernel _Z39paged_attention_ll4mi_QKV_mfma16_kernelI14__hip_bfloat16S0_LN4vllm18Fp8KVCacheDataTypeE0ES0_Li16ELi64ELi256ELb1ELi2EL8MFMAType0EEvPKT_PKT0_S9_ifPKiSB_SB_iPKfiiiPfSE_PS4_PT2_iSD_SD_
		.amdhsa_group_segment_fixed_size 17472
		.amdhsa_private_segment_fixed_size 0
		.amdhsa_kernarg_size 400
		.amdhsa_user_sgpr_count 13
		.amdhsa_user_sgpr_dispatch_ptr 0
		.amdhsa_user_sgpr_queue_ptr 0
		.amdhsa_user_sgpr_kernarg_segment_ptr 1
		.amdhsa_user_sgpr_dispatch_id 0
		.amdhsa_user_sgpr_private_segment_size 0
		.amdhsa_wavefront_size32 1
		.amdhsa_uses_dynamic_stack 0
		.amdhsa_enable_private_segment 0
		.amdhsa_system_sgpr_workgroup_id_x 1
		.amdhsa_system_sgpr_workgroup_id_y 1
		.amdhsa_system_sgpr_workgroup_id_z 1
		.amdhsa_system_sgpr_workgroup_info 0
		.amdhsa_system_vgpr_workitem_id 0
		.amdhsa_next_free_vgpr 202
		.amdhsa_next_free_sgpr 52
		.amdhsa_reserve_vcc 1
		.amdhsa_float_round_mode_32 0
		.amdhsa_float_round_mode_16_64 0
		.amdhsa_float_denorm_mode_32 3
		.amdhsa_float_denorm_mode_16_64 3
		.amdhsa_dx10_clamp 1
		.amdhsa_ieee_mode 1
		.amdhsa_fp16_overflow 0
		.amdhsa_workgroup_processor_mode 1
		.amdhsa_memory_ordered 1
		.amdhsa_forward_progress 0
		.amdhsa_shared_vgpr_count 0
		.amdhsa_exception_fp_ieee_invalid_op 0
		.amdhsa_exception_fp_denorm_src 0
		.amdhsa_exception_fp_ieee_div_zero 0
		.amdhsa_exception_fp_ieee_overflow 0
		.amdhsa_exception_fp_ieee_underflow 0
		.amdhsa_exception_fp_ieee_inexact 0
		.amdhsa_exception_int_div_zero 0
	.end_amdhsa_kernel
	.section	.text._Z39paged_attention_ll4mi_QKV_mfma16_kernelI14__hip_bfloat16S0_LN4vllm18Fp8KVCacheDataTypeE0ES0_Li16ELi64ELi256ELb1ELi2EL8MFMAType0EEvPKT_PKT0_S9_ifPKiSB_SB_iPKfiiiPfSE_PS4_PT2_iSD_SD_,"axG",@progbits,_Z39paged_attention_ll4mi_QKV_mfma16_kernelI14__hip_bfloat16S0_LN4vllm18Fp8KVCacheDataTypeE0ES0_Li16ELi64ELi256ELb1ELi2EL8MFMAType0EEvPKT_PKT0_S9_ifPKiSB_SB_iPKfiiiPfSE_PS4_PT2_iSD_SD_,comdat
.Lfunc_end467:
	.size	_Z39paged_attention_ll4mi_QKV_mfma16_kernelI14__hip_bfloat16S0_LN4vllm18Fp8KVCacheDataTypeE0ES0_Li16ELi64ELi256ELb1ELi2EL8MFMAType0EEvPKT_PKT0_S9_ifPKiSB_SB_iPKfiiiPfSE_PS4_PT2_iSD_SD_, .Lfunc_end467-_Z39paged_attention_ll4mi_QKV_mfma16_kernelI14__hip_bfloat16S0_LN4vllm18Fp8KVCacheDataTypeE0ES0_Li16ELi64ELi256ELb1ELi2EL8MFMAType0EEvPKT_PKT0_S9_ifPKiSB_SB_iPKfiiiPfSE_PS4_PT2_iSD_SD_
                                        ; -- End function
	.section	.AMDGPU.csdata,"",@progbits
; Kernel info:
; codeLenInByte = 9784
; NumSgprs: 54
; NumVgprs: 202
; ScratchSize: 0
; MemoryBound: 0
; FloatMode: 240
; IeeeMode: 1
; LDSByteSize: 17472 bytes/workgroup (compile time only)
; SGPRBlocks: 6
; VGPRBlocks: 25
; NumSGPRsForWavesPerEU: 54
; NumVGPRsForWavesPerEU: 202
; Occupancy: 7
; WaveLimiterHint : 1
; COMPUTE_PGM_RSRC2:SCRATCH_EN: 0
; COMPUTE_PGM_RSRC2:USER_SGPR: 13
; COMPUTE_PGM_RSRC2:TRAP_HANDLER: 0
; COMPUTE_PGM_RSRC2:TGID_X_EN: 1
; COMPUTE_PGM_RSRC2:TGID_Y_EN: 1
; COMPUTE_PGM_RSRC2:TGID_Z_EN: 1
; COMPUTE_PGM_RSRC2:TIDIG_COMP_CNT: 0
	.section	.text._Z39paged_attention_ll4mi_QKV_mfma16_kernelI14__hip_bfloat16S0_LN4vllm18Fp8KVCacheDataTypeE0ES0_Li16ELi64ELi256ELb1ELi3EL8MFMAType0EEvPKT_PKT0_S9_ifPKiSB_SB_iPKfiiiPfSE_PS4_PT2_iSD_SD_,"axG",@progbits,_Z39paged_attention_ll4mi_QKV_mfma16_kernelI14__hip_bfloat16S0_LN4vllm18Fp8KVCacheDataTypeE0ES0_Li16ELi64ELi256ELb1ELi3EL8MFMAType0EEvPKT_PKT0_S9_ifPKiSB_SB_iPKfiiiPfSE_PS4_PT2_iSD_SD_,comdat
	.protected	_Z39paged_attention_ll4mi_QKV_mfma16_kernelI14__hip_bfloat16S0_LN4vllm18Fp8KVCacheDataTypeE0ES0_Li16ELi64ELi256ELb1ELi3EL8MFMAType0EEvPKT_PKT0_S9_ifPKiSB_SB_iPKfiiiPfSE_PS4_PT2_iSD_SD_ ; -- Begin function _Z39paged_attention_ll4mi_QKV_mfma16_kernelI14__hip_bfloat16S0_LN4vllm18Fp8KVCacheDataTypeE0ES0_Li16ELi64ELi256ELb1ELi3EL8MFMAType0EEvPKT_PKT0_S9_ifPKiSB_SB_iPKfiiiPfSE_PS4_PT2_iSD_SD_
	.globl	_Z39paged_attention_ll4mi_QKV_mfma16_kernelI14__hip_bfloat16S0_LN4vllm18Fp8KVCacheDataTypeE0ES0_Li16ELi64ELi256ELb1ELi3EL8MFMAType0EEvPKT_PKT0_S9_ifPKiSB_SB_iPKfiiiPfSE_PS4_PT2_iSD_SD_
	.p2align	8
	.type	_Z39paged_attention_ll4mi_QKV_mfma16_kernelI14__hip_bfloat16S0_LN4vllm18Fp8KVCacheDataTypeE0ES0_Li16ELi64ELi256ELb1ELi3EL8MFMAType0EEvPKT_PKT0_S9_ifPKiSB_SB_iPKfiiiPfSE_PS4_PT2_iSD_SD_,@function
_Z39paged_attention_ll4mi_QKV_mfma16_kernelI14__hip_bfloat16S0_LN4vllm18Fp8KVCacheDataTypeE0ES0_Li16ELi64ELi256ELb1ELi3EL8MFMAType0EEvPKT_PKT0_S9_ifPKiSB_SB_iPKfiiiPfSE_PS4_PT2_iSD_SD_: ; @_Z39paged_attention_ll4mi_QKV_mfma16_kernelI14__hip_bfloat16S0_LN4vllm18Fp8KVCacheDataTypeE0ES0_Li16ELi64ELi256ELb1ELi3EL8MFMAType0EEvPKT_PKT0_S9_ifPKiSB_SB_iPKfiiiPfSE_PS4_PT2_iSD_SD_
; %bb.0:
	s_load_b64 s[2:3], s[0:1], 0x30
	s_mov_b32 s34, s13
	s_waitcnt lgkmcnt(0)
	s_cmp_lg_u64 s[2:3], 0
	s_cselect_b32 s8, -1, 0
	s_ashr_i32 s35, s13, 31
	s_cmp_eq_u64 s[2:3], 0
	s_cbranch_scc1 .LBB468_3
; %bb.1:
	s_lshl_b64 s[4:5], s[34:35], 2
	s_delay_alu instid0(SALU_CYCLE_1) | instskip(SKIP_4) | instid1(SALU_CYCLE_1)
	s_add_u32 s4, s2, s4
	s_addc_u32 s5, s3, s5
	s_load_b64 s[4:5], s[4:5], 0x0
	s_waitcnt lgkmcnt(0)
	s_sub_i32 s4, s5, s4
	s_cmp_eq_u32 s4, 1
	s_cselect_b32 s4, -1, 0
	s_delay_alu instid0(SALU_CYCLE_1)
	s_and_not1_b32 vcc_lo, exec_lo, s4
	s_cbranch_vccz .LBB468_4
.LBB468_2:
	s_nop 0
	s_sendmsg sendmsg(MSG_DEALLOC_VGPRS)
	s_endpgm
.LBB468_3:
.LBB468_4:
	s_load_b64 s[4:5], s[0:1], 0x28
	s_lshl_b64 s[6:7], s[34:35], 2
	s_waitcnt lgkmcnt(0)
	s_add_u32 s4, s4, s6
	s_addc_u32 s5, s5, s7
	s_lshl_b32 s33, s14, 8
	s_load_b32 s30, s[4:5], 0x0
	s_waitcnt lgkmcnt(0)
	s_cmp_ge_i32 s33, s30
	s_cbranch_scc1 .LBB468_2
; %bb.5:
	s_clause 0x1
	s_load_b128 s[20:23], s[0:1], 0x8
	s_load_b64 s[4:5], s[0:1], 0x20
	s_and_not1_b32 vcc_lo, exec_lo, s8
	s_cbranch_vccnz .LBB468_7
; %bb.6:
	s_add_u32 s2, s2, s6
	s_addc_u32 s3, s3, s7
	s_load_b32 s3, s[2:3], 0x0
	s_branch .LBB468_8
.LBB468_7:
	s_mov_b32 s3, s34
.LBB468_8:
	s_load_b128 s[16:19], s[0:1], 0x48
	v_lshrrev_b32_e32 v149, 5, v0
	v_bfe_u32 v146, v0, 4, 1
	v_and_b32_e32 v148, 15, v0
	v_and_b32_e32 v150, 31, v0
	;; [unrolled: 1-line block ×3, first 2 shown]
	s_mul_i32 s31, s15, 3
	v_lshl_or_b32 v1, v149, 1, v146
	v_lshlrev_b32_e32 v2, 3, v148
	v_cmp_gt_u32_e64 s2, 8, v148
	s_delay_alu instid0(VALU_DEP_3) | instskip(NEXT) | instid1(VALU_DEP_3)
	v_cmp_gt_u32_e32 vcc_lo, 3, v1
	v_lshlrev_b32_e32 v145, 1, v2
	s_delay_alu instid0(VALU_DEP_3) | instskip(NEXT) | instid1(SALU_CYCLE_1)
	s_and_b32 s7, s2, vcc_lo
	s_and_saveexec_b32 s6, s7
	s_cbranch_execz .LBB468_10
; %bb.9:
	s_load_b64 s[8:9], s[0:1], 0x0
	v_add_lshl_u32 v2, v1, s31, 6
	s_waitcnt lgkmcnt(0)
	s_mul_hi_i32 s11, s3, s16
	s_mul_i32 s10, s3, s16
	v_lshlrev_b32_e32 v6, 10, v148
	s_lshl_b64 s[10:11], s[10:11], 1
	v_ashrrev_i32_e32 v3, 31, v2
	v_lshlrev_b32_e32 v1, 6, v1
	v_lshlrev_b32_e32 v7, 10, v147
	v_and_b32_e32 v6, 0x3800, v6
	s_delay_alu instid0(VALU_DEP_4) | instskip(NEXT) | instid1(VALU_DEP_2)
	v_lshlrev_b64 v[2:3], 1, v[2:3]
	v_or3_b32 v1, v6, v7, v1
	s_add_u32 s3, s8, s10
	s_addc_u32 s7, s9, s11
	s_delay_alu instid0(VALU_DEP_2) | instskip(NEXT) | instid1(VALU_DEP_3)
	v_add_co_u32 v2, vcc_lo, s3, v2
	v_add_co_ci_u32_e32 v3, vcc_lo, s7, v3, vcc_lo
	s_delay_alu instid0(VALU_DEP_2) | instskip(NEXT) | instid1(VALU_DEP_2)
	v_add_co_u32 v2, vcc_lo, v2, v145
	v_add_co_ci_u32_e32 v3, vcc_lo, 0, v3, vcc_lo
	global_load_b128 v[2:5], v[2:3], off
	s_waitcnt vmcnt(0)
	ds_store_b128 v1, v[2:5]
.LBB468_10:
	s_or_b32 exec_lo, exec_lo, s6
	v_and_b32_e32 v1, 0xef, v0
	s_waitcnt lgkmcnt(0)
	s_add_i32 s3, s30, 15
	s_clause 0x1
	s_load_b32 s6, s[0:1], 0x38
	s_load_b32 s35, s[0:1], 0x1c
	s_ashr_i32 s7, s3, 31
	v_add_nc_u32_e32 v1, s33, v1
	s_lshr_b32 s7, s7, 28
	s_waitcnt lgkmcnt(0)
	s_add_i32 s3, s3, s7
	s_barrier
	v_ashrrev_i32_e32 v2, 31, v1
	v_or_b32_e32 v3, 16, v1
	s_ashr_i32 s3, s3, 4
	v_cmp_gt_i32_e32 vcc_lo, s30, v1
	s_add_i32 s3, s3, -1
	v_lshrrev_b32_e32 v2, 28, v2
	buffer_gl0_inv
	v_mul_lo_u16 v21, 0x56, v148
	v_lshlrev_b32_e32 v22, 5, v148
	v_add_nc_u32_e32 v4, v1, v2
	s_mul_i32 s6, s34, s6
	s_delay_alu instid0(VALU_DEP_3) | instskip(SKIP_1) | instid1(VALU_DEP_2)
	v_lshrrev_b16 v21, 8, v21
	s_ashr_i32 s7, s6, 31
	v_ashrrev_i32_e32 v4, 4, v4
	v_add_nc_u32_e32 v2, v3, v2
	s_lshl_b64 s[6:7], s[6:7], 2
	v_mul_lo_u16 v21, v21, 3
	s_add_u32 s16, s4, s6
	v_cndmask_b32_e32 v1, s3, v4, vcc_lo
	v_ashrrev_i32_e32 v2, 4, v2
	v_cmp_gt_i32_e32 vcc_lo, s30, v3
	s_addc_u32 s36, s5, s7
	s_mul_i32 s4, s15, s18
	v_sub_nc_u16 v21, v148, v21
	s_ashr_i32 s5, s4, 31
	v_cndmask_b32_e32 v3, s3, v2, vcc_lo
	v_ashrrev_i32_e32 v2, 31, v1
	s_lshl_b64 s[12:13], s[4:5], 1
	v_and_b32_e32 v21, 0xff, v21
	s_add_u32 s26, s20, s12
	v_ashrrev_i32_e32 v4, 31, v3
	v_lshlrev_b64 v[1:2], 2, v[1:2]
	s_addc_u32 s27, s21, s13
	s_lshl_b32 s4, s14, 4
	v_lshlrev_b32_e32 v197, 6, v21
	v_lshlrev_b64 v[3:4], 2, v[3:4]
	s_ashr_i32 s5, s4, 31
	v_add_co_u32 v1, vcc_lo, s16, v1
	v_add_co_ci_u32_e32 v2, vcc_lo, s36, v2, vcc_lo
	s_delay_alu instid0(VALU_DEP_3) | instskip(NEXT) | instid1(VALU_DEP_4)
	v_add_co_u32 v3, vcc_lo, s16, v3
	v_add_co_ci_u32_e32 v4, vcc_lo, s36, v4, vcc_lo
	s_clause 0x1
	global_load_b32 v5, v[1:2], off
	global_load_b32 v6, v[3:4], off
	s_lshl_b64 s[4:5], s[4:5], 2
	v_lshlrev_b32_e32 v3, 4, v0
	s_add_u32 s4, s16, s4
	s_addc_u32 s5, s36, s5
	s_or_b32 s6, s33, 16
	v_lshl_or_b32 v22, v149, 9, v22
	s_ashr_i32 s7, s6, 4
	s_cmp_lt_i32 s6, s30
	s_cselect_b32 s6, s7, s3
	s_delay_alu instid0(SALU_CYCLE_1) | instskip(NEXT) | instid1(SALU_CYCLE_1)
	s_ashr_i32 s7, s6, 31
	s_lshl_b64 s[6:7], s[6:7], 2
	s_delay_alu instid0(SALU_CYCLE_1) | instskip(SKIP_2) | instid1(SALU_CYCLE_1)
	s_add_u32 s6, s16, s6
	s_addc_u32 s7, s36, s7
	s_or_b32 s8, s33, 32
	s_ashr_i32 s9, s8, 4
	s_cmp_lt_i32 s8, s30
	s_cselect_b32 s8, s9, s3
	s_delay_alu instid0(SALU_CYCLE_1) | instskip(NEXT) | instid1(SALU_CYCLE_1)
	s_ashr_i32 s9, s8, 31
	s_lshl_b64 s[8:9], s[8:9], 2
	s_delay_alu instid0(SALU_CYCLE_1) | instskip(SKIP_2) | instid1(SALU_CYCLE_1)
	s_add_u32 s8, s16, s8
	s_addc_u32 s9, s36, s9
	s_or_b32 s10, s33, 48
	;; [unrolled: 10-line block ×4, first 2 shown]
	s_ashr_i32 s18, s15, 4
	s_cmp_lt_i32 s15, s30
	s_cselect_b32 s18, s18, s3
	s_delay_alu instid0(SALU_CYCLE_1) | instskip(NEXT) | instid1(SALU_CYCLE_1)
	s_ashr_i32 s19, s18, 31
	s_lshl_b64 s[18:19], s[18:19], 2
	s_delay_alu instid0(SALU_CYCLE_1)
	s_add_u32 s24, s16, s18
	s_addc_u32 s25, s36, s19
	s_clause 0x5
	s_load_b32 s37, s[4:5], 0x0
	s_load_b32 s29, s[6:7], 0x0
	;; [unrolled: 1-line block ×6, first 2 shown]
	s_waitcnt vmcnt(1)
	v_mad_i64_i32 v[1:2], null, v5, s17, 0
	v_and_b32_e32 v5, 0xf0, v3
	s_waitcnt vmcnt(0)
	v_mad_i64_i32 v[3:4], null, v6, s17, 0
	s_delay_alu instid0(VALU_DEP_2) | instskip(NEXT) | instid1(VALU_DEP_4)
	v_add_co_u32 v5, s4, s26, v5
	v_lshlrev_b64 v[1:2], 1, v[1:2]
	v_add_co_ci_u32_e64 v6, null, s27, 0, s4
	s_delay_alu instid0(VALU_DEP_4) | instskip(SKIP_1) | instid1(VALU_DEP_3)
	v_lshlrev_b64 v[3:4], 1, v[3:4]
	s_or_b32 s4, s33, 0x60
	v_add_co_u32 v19, vcc_lo, v5, v1
	s_delay_alu instid0(VALU_DEP_3) | instskip(NEXT) | instid1(VALU_DEP_3)
	v_add_co_ci_u32_e32 v20, vcc_lo, v6, v2, vcc_lo
	v_add_co_u32 v17, vcc_lo, v5, v3
	s_delay_alu instid0(VALU_DEP_4)
	v_add_co_ci_u32_e32 v18, vcc_lo, v6, v4, vcc_lo
	s_clause 0xb
	global_load_b128 v[1:4], v[19:20], off
	global_load_b128 v[5:8], v[19:20], off offset:256
	global_load_b128 v[129:132], v[17:18], off
	global_load_b128 v[133:136], v[17:18], off offset:256
	global_load_b128 v[33:36], v[19:20], off offset:512
	;; [unrolled: 1-line block ×9, first 2 shown]
	ds_load_b128 v[159:162], v197
	ds_load_b128 v[163:166], v197 offset:1024
	s_clause 0x3
	global_load_b128 v[167:170], v[19:20], off offset:1536
	global_load_b128 v[171:174], v[19:20], off offset:1792
	;; [unrolled: 1-line block ×4, first 2 shown]
	s_ashr_i32 s5, s4, 4
	s_cmp_lt_i32 s4, s30
	s_cselect_b32 s4, s5, s3
	s_delay_alu instid0(SALU_CYCLE_1) | instskip(NEXT) | instid1(SALU_CYCLE_1)
	s_ashr_i32 s5, s4, 31
	s_lshl_b64 s[4:5], s[4:5], 2
	s_delay_alu instid0(SALU_CYCLE_1) | instskip(SKIP_2) | instid1(SALU_CYCLE_1)
	s_add_u32 s20, s16, s4
	s_addc_u32 s21, s36, s5
	s_or_b32 s4, s33, 0x70
	s_ashr_i32 s5, s4, 4
	s_cmp_lt_i32 s4, s30
	s_cselect_b32 s4, s5, s3
	s_delay_alu instid0(SALU_CYCLE_1) | instskip(NEXT) | instid1(SALU_CYCLE_1)
	s_ashr_i32 s5, s4, 31
	s_lshl_b64 s[6:7], s[4:5], 2
	s_mov_b32 s4, 0
	s_add_u32 s24, s16, s6
	s_addc_u32 s25, s36, s7
	s_or_b32 s5, s33, 0x80
	s_mov_b32 s11, s4
	s_ashr_i32 s6, s5, 4
	s_cmp_lt_i32 s5, s30
	s_mov_b32 s5, s4
	s_cselect_b32 s8, s6, s3
	s_mov_b32 s6, s4
	s_ashr_i32 s9, s8, 31
	s_mov_b32 s7, s4
	s_lshl_b64 s[8:9], s[8:9], 2
	s_load_b32 s46, s[24:25], 0x0
	s_add_u32 s26, s16, s8
	s_addc_u32 s27, s36, s9
	s_or_b32 s9, s33, 0x90
	s_load_b32 s47, s[26:27], 0x0
	s_ashr_i32 s10, s9, 4
	s_cmp_lt_i32 s9, s30
	s_mov_b32 s8, s4
	s_cselect_b32 s38, s10, s3
	s_mov_b32 s9, s4
	s_ashr_i32 s39, s38, 31
	s_mov_b32 s10, s4
	s_lshl_b64 s[38:39], s[38:39], 2
	v_mov_b32_e32 v144, s11
	s_add_u32 s38, s16, s38
	s_addc_u32 s39, s36, s39
	s_or_b32 s40, s33, 0xa0
	v_mov_b32_e32 v143, s10
	s_ashr_i32 s41, s40, 4
	s_cmp_lt_i32 s40, s30
	v_mov_b32_e32 v142, s9
	s_cselect_b32 s40, s41, s3
	v_mov_b32_e32 v141, s8
	s_ashr_i32 s41, s40, 31
	v_dual_mov_b32 v140, s7 :: v_dual_mov_b32 v139, s6
	v_dual_mov_b32 v138, s5 :: v_dual_mov_b32 v137, s4
	s_lshl_b64 s[4:5], s[40:41], 2
	s_waitcnt lgkmcnt(0)
	s_mul_hi_i32 s7, s29, s17
	s_add_u32 s42, s16, s4
	s_addc_u32 s43, s36, s5
	s_or_b32 s4, s33, 0xb0
	s_mul_hi_i32 s5, s37, s17
	s_ashr_i32 s6, s4, 4
	s_cmp_lt_i32 s4, s30
	s_mul_i32 s4, s37, s17
	s_cselect_b32 s8, s6, s3
	s_mul_i32 s6, s29, s17
	s_ashr_i32 s9, s8, 31
	s_load_b32 s41, s[20:21], 0x0
	s_lshl_b64 s[8:9], s[8:9], 2
	s_load_b32 s40, s[38:39], 0x0
	s_add_u32 s44, s16, s8
	s_addc_u32 s45, s36, s9
	s_or_b32 s8, s33, 0xc0
	s_mul_hi_i32 s9, s28, s17
	s_ashr_i32 s10, s8, 4
	s_cmp_lt_i32 s8, s30
	s_mul_i32 s8, s28, s17
	s_cselect_b32 s28, s10, s3
	s_load_b32 s39, s[42:43], 0x0
	s_ashr_i32 s29, s28, 31
	s_mul_hi_i32 s21, s15, s17
	s_lshl_b64 s[28:29], s[28:29], 2
	s_mul_hi_i32 s27, s46, s17
	s_add_u32 s28, s16, s28
	s_addc_u32 s29, s36, s29
	s_or_b32 s37, s33, 0xd0
	s_mul_i32 s26, s46, s17
	s_ashr_i32 s20, s37, 4
	s_cmp_lt_i32 s37, s30
	s_mul_hi_i32 s11, s19, s17
	s_cselect_b32 s24, s20, s3
	s_mul_i32 s20, s15, s17
	s_ashr_i32 s25, s24, 31
	s_mul_i32 s10, s19, s17
	s_lshl_b64 s[24:25], s[24:25], 2
	s_mul_hi_i32 s19, s18, s17
	s_add_u32 s24, s16, s24
	s_addc_u32 s25, s36, s25
	s_or_b32 s42, s33, 0xe0
	s_clause 0x2
	s_load_b32 s38, s[44:45], 0x0
	s_load_b32 s37, s[28:29], 0x0
	;; [unrolled: 1-line block ×3, first 2 shown]
	s_ashr_i32 s43, s42, 4
	s_cmp_lt_i32 s42, s30
	s_mul_hi_i32 s29, s47, s17
	s_cselect_b32 s42, s43, s3
	s_mul_i32 s28, s47, s17
	s_ashr_i32 s43, s42, 31
	s_mul_i32 s18, s18, s17
	s_lshl_b64 s[42:43], s[42:43], 2
	s_waitcnt lgkmcnt(0)
	s_mul_hi_i32 s25, s41, s17
	s_add_u32 s42, s16, s42
	s_addc_u32 s43, s36, s43
	s_or_b32 s46, s33, 0xf0
	s_mul_i32 s24, s41, s17
	s_ashr_i32 s47, s46, 4
	s_cmp_lt_i32 s46, s30
	s_mul_hi_i32 s41, s40, s17
	s_cselect_b32 s46, s47, s3
	s_mul_i32 s40, s40, s17
	s_ashr_i32 s47, s46, 31
	s_mul_hi_i32 s51, s15, s17
	s_lshl_b64 s[46:47], s[46:47], 2
	s_mul_i32 s50, s15, s17
	s_add_u32 s46, s16, s46
	s_addc_u32 s47, s36, s47
	s_add_u32 s3, s22, s12
	s_addc_u32 s15, s23, s13
	v_add_co_u32 v195, s3, s3, v22
	s_delay_alu instid0(VALU_DEP_1) | instskip(SKIP_2) | instid1(VALU_DEP_2)
	v_add_co_ci_u32_e64 v196, null, s15, 0, s3
	s_lshl_b64 s[4:5], s[4:5], 1
	s_lshl_b64 s[6:7], s[6:7], 1
	v_add_co_u32 v17, vcc_lo, v195, s4
	s_delay_alu instid0(VALU_DEP_2)
	v_add_co_ci_u32_e32 v18, vcc_lo, s5, v196, vcc_lo
	v_add_co_u32 v19, vcc_lo, v195, s6
	s_lshl_b64 s[8:9], s[8:9], 1
	v_add_co_ci_u32_e32 v20, vcc_lo, s7, v196, vcc_lo
	v_add_co_u32 v21, vcc_lo, v195, s8
	s_lshl_b64 s[10:11], s[10:11], 1
	v_add_co_ci_u32_e32 v22, vcc_lo, s9, v196, vcc_lo
	v_add_co_u32 v23, vcc_lo, v195, s10
	s_lshl_b64 s[12:13], s[18:19], 1
	v_add_co_ci_u32_e32 v24, vcc_lo, s11, v196, vcc_lo
	v_add_co_u32 v41, vcc_lo, v195, s12
	s_lshl_b64 s[18:19], s[20:21], 1
	v_add_co_ci_u32_e32 v42, vcc_lo, s13, v196, vcc_lo
	v_add_co_u32 v43, vcc_lo, v195, s18
	s_lshl_b64 s[20:21], s[24:25], 1
	v_add_co_ci_u32_e32 v44, vcc_lo, s19, v196, vcc_lo
	v_add_co_u32 v45, vcc_lo, v195, s20
	s_lshl_b64 s[22:23], s[26:27], 1
	v_add_co_ci_u32_e32 v46, vcc_lo, s21, v196, vcc_lo
	v_add_co_u32 v47, vcc_lo, v195, s22
	s_lshl_b64 s[24:25], s[28:29], 1
	v_add_co_ci_u32_e32 v48, vcc_lo, s23, v196, vcc_lo
	v_add_co_u32 v49, vcc_lo, v195, s24
	s_lshl_b64 s[26:27], s[40:41], 1
	s_mul_hi_i32 s45, s39, s17
	s_mul_i32 s44, s39, s17
	v_add_co_ci_u32_e32 v50, vcc_lo, s25, v196, vcc_lo
	v_add_co_u32 v53, vcc_lo, v195, s26
	s_lshl_b64 s[28:29], s[44:45], 1
	s_mul_hi_i32 s39, s38, s17
	s_mul_i32 s38, s38, s17
	v_add_co_ci_u32_e32 v54, vcc_lo, s27, v196, vcc_lo
	v_add_co_u32 v183, vcc_lo, v195, s28
	s_mul_hi_i32 s49, s37, s17
	s_mul_i32 s48, s37, s17
	s_lshl_b64 s[36:37], s[38:39], 1
	v_add_co_ci_u32_e32 v184, vcc_lo, s29, v196, vcc_lo
	v_add_co_u32 v185, vcc_lo, v195, s36
	s_lshl_b64 s[38:39], s[48:49], 1
	s_clause 0x1
	s_load_b32 s3, s[42:43], 0x0
	s_load_b32 s15, s[46:47], 0x0
	v_add_co_ci_u32_e32 v186, vcc_lo, s37, v196, vcc_lo
	v_add_co_u32 v191, vcc_lo, v195, s38
	v_add_co_ci_u32_e32 v192, vcc_lo, s39, v196, vcc_lo
	s_clause 0x17
	global_load_b128 v[121:124], v[17:18], off
	global_load_b128 v[125:128], v[17:18], off offset:16
	global_load_b128 v[113:116], v[19:20], off
	global_load_b128 v[117:120], v[19:20], off offset:16
	global_load_b128 v[105:108], v[21:22], off
	global_load_b128 v[109:112], v[21:22], off offset:16
	global_load_b128 v[97:100], v[23:24], off
	global_load_b128 v[101:104], v[23:24], off offset:16
	global_load_b128 v[89:92], v[41:42], off
	global_load_b128 v[93:96], v[41:42], off offset:16
	global_load_b128 v[81:84], v[43:44], off
	global_load_b128 v[85:88], v[43:44], off offset:16
	global_load_b128 v[73:76], v[45:46], off
	global_load_b128 v[77:80], v[45:46], off offset:16
	global_load_b128 v[57:60], v[47:48], off
	global_load_b128 v[61:64], v[47:48], off offset:16
	global_load_b128 v[65:68], v[49:50], off
	global_load_b128 v[69:72], v[49:50], off offset:16
	global_load_b128 v[49:52], v[53:54], off
	global_load_b128 v[53:56], v[53:54], off offset:16
	global_load_b128 v[41:44], v[183:184], off
	global_load_b128 v[45:48], v[183:184], off offset:16
	global_load_b128 v[17:20], v[185:186], off
	global_load_b128 v[21:24], v[185:186], off offset:16
	s_lshl_b64 s[40:41], s[50:51], 1
	s_delay_alu instid0(SALU_CYCLE_1)
	v_add_co_u32 v193, vcc_lo, v195, s40
	v_add_co_ci_u32_e32 v194, vcc_lo, s41, v196, vcc_lo
	s_waitcnt lgkmcnt(0)
	s_mul_hi_i32 s5, s3, s17
	s_mul_i32 s4, s3, s17
	s_mul_hi_i32 s7, s15, s17
	s_lshl_b64 s[4:5], s[4:5], 1
	s_mul_i32 s6, s15, s17
	s_waitcnt vmcnt(38)
	v_wmma_f32_16x16x16_bf16 v[183:190], v[1:8], v[159:166], v[137:144]
	s_waitcnt vmcnt(36)
	v_wmma_f32_16x16x16_bf16 v[137:144], v[129:136], v[159:166], v[137:144]
	s_clause 0x1
	global_load_b128 v[1:4], v[191:192], off
	global_load_b128 v[5:8], v[191:192], off offset:16
	ds_load_b128 v[129:132], v197 offset:2048
	ds_load_b128 v[133:136], v197 offset:3072
	;; [unrolled: 1-line block ×4, first 2 shown]
	v_add_co_u32 v191, vcc_lo, v195, s4
	v_add_co_ci_u32_e32 v192, vcc_lo, s5, v196, vcc_lo
	s_lshl_b64 s[4:5], s[6:7], 1
	s_delay_alu instid0(SALU_CYCLE_1)
	v_add_co_u32 v195, vcc_lo, v195, s4
	v_add_co_ci_u32_e32 v196, vcc_lo, s5, v196, vcc_lo
	s_waitcnt vmcnt(36) lgkmcnt(2)
	v_wmma_f32_16x16x16_bf16 v[183:190], v[33:40], v[129:136], v[183:190]
	s_waitcnt vmcnt(34)
	v_wmma_f32_16x16x16_bf16 v[137:144], v[25:32], v[129:136], v[137:144]
	s_clause 0x3
	global_load_b128 v[25:28], v[193:194], off
	global_load_b128 v[29:32], v[193:194], off offset:16
	global_load_b128 v[33:36], v[191:192], off
	global_load_b128 v[37:40], v[191:192], off offset:16
	v_and_b32_e32 v129, 0xe0, v0
	v_mbcnt_lo_u32_b32 v191, -1, 0
	s_waitcnt vmcnt(36) lgkmcnt(0)
	v_wmma_f32_16x16x16_bf16 v[183:190], v[9:16], v[159:166], v[183:190]
	s_clause 0x1
	global_load_b128 v[9:12], v[195:196], off
	global_load_b128 v[13:16], v[195:196], off offset:16
	s_waitcnt vmcnt(36)
	v_wmma_f32_16x16x16_bf16 v[137:144], v[151:158], v[159:166], v[137:144]
	v_add_nc_u32_e32 v192, s33, v129
	ds_load_b128 v[129:132], v197 offset:6144
	ds_load_b128 v[133:136], v197 offset:7168
	v_xor_b32_e32 v151, 16, v191
	s_waitcnt vmcnt(0) lgkmcnt(0)
	s_barrier
	v_or_b32_e32 v152, v192, v146
	buffer_gl0_inv
	v_cmp_gt_i32_e32 vcc_lo, 32, v151
	v_or_b32_e32 v153, 2, v152
	v_or_b32_e32 v154, 4, v152
	v_or_b32_e32 v155, 6, v152
	v_or_b32_e32 v156, 8, v152
	v_or_b32_e32 v157, 10, v152
	v_cmp_gt_i32_e64 s3, s30, v153
	v_or_b32_e32 v158, 12, v152
	v_cmp_gt_i32_e64 s4, s30, v154
	v_cmp_gt_i32_e64 s5, s30, v155
	v_or_b32_e32 v159, 14, v152
	v_cmp_gt_i32_e64 s6, s30, v156
	v_wmma_f32_16x16x16_bf16 v[183:190], v[167:174], v[129:136], v[183:190]
	v_wmma_f32_16x16x16_bf16 v[137:144], v[175:182], v[129:136], v[137:144]
	v_cndmask_b32_e32 v151, v191, v151, vcc_lo
	v_cmp_gt_i32_e32 vcc_lo, s30, v152
	v_cmp_gt_i32_e64 s7, s30, v157
	v_dual_mul_f32 v135, s35, v184 :: v_dual_mul_f32 v136, s35, v183
	v_mul_f32_e32 v134, s35, v185
	v_dual_mul_f32 v168, s35, v144 :: v_dual_mul_f32 v133, s35, v186
	s_delay_alu instid0(VALU_DEP_3) | instskip(NEXT) | instid1(VALU_DEP_4)
	v_cndmask_b32_e64 v135, 0xff7fffff, v135, s3
	v_cndmask_b32_e32 v136, 0xff7fffff, v136, vcc_lo
	v_dual_mul_f32 v131, s35, v188 :: v_dual_mul_f32 v174, s35, v138
	v_mul_f32_e32 v132, s35, v187
	v_cndmask_b32_e64 v134, 0xff7fffff, v134, s4
	s_delay_alu instid0(VALU_DEP_4)
	v_max3_f32 v135, v136, 0xff7fffff, v135
	v_cmp_gt_i32_e64 s8, s30, v158
	v_lshlrev_b32_e32 v158, 2, v151
	v_cndmask_b32_e64 v133, 0xff7fffff, v133, s5
	v_or_b32_e32 v160, 16, v152
	v_or_b32_e32 v161, 18, v152
	v_dual_mul_f32 v129, s35, v190 :: v_dual_mul_f32 v172, s35, v140
	v_mul_f32_e32 v130, s35, v189
	v_cndmask_b32_e64 v132, 0xff7fffff, v132, s6
	v_cndmask_b32_e64 v131, 0xff7fffff, v131, s7
	v_max3_f32 v133, v135, v134, v133
	v_cmp_gt_i32_e64 s9, s30, v159
	v_or_b32_e32 v162, 20, v152
	v_or_b32_e32 v163, 22, v152
	v_mul_f32_e32 v175, s35, v137
	v_cndmask_b32_e64 v130, 0xff7fffff, v130, s8
	v_cndmask_b32_e64 v129, 0xff7fffff, v129, s9
	v_max3_f32 v131, v133, v132, v131
	v_cmp_gt_i32_e64 s10, s30, v160
	v_cmp_gt_i32_e64 s11, s30, v161
	v_or_b32_e32 v164, 24, v152
	v_or_b32_e32 v165, 26, v152
	v_mul_f32_e32 v173, s35, v139
	v_cndmask_b32_e64 v132, 0xff7fffff, v175, s10
	v_cndmask_b32_e64 v133, 0xff7fffff, v174, s11
	v_max3_f32 v129, v131, v130, v129
	v_cmp_gt_i32_e64 s12, s30, v162
	v_cmp_gt_i32_e64 s13, s30, v163
	v_or_b32_e32 v166, 28, v152
	v_or_b32_e32 v167, 30, v152
	v_dual_mul_f32 v170, s35, v142 :: v_dual_mul_f32 v171, s35, v141
	v_cndmask_b32_e64 v130, 0xff7fffff, v173, s12
	v_cndmask_b32_e64 v131, 0xff7fffff, v172, s13
	v_max3_f32 v129, v129, v132, v133
	v_cmp_gt_i32_e64 s15, s30, v164
	v_cmp_gt_i32_e64 s16, s30, v165
	v_mul_f32_e32 v169, s35, v143
	v_cmp_gt_i32_e64 s17, s30, v166
	v_max3_f32 v129, v129, v130, v131
	v_cndmask_b32_e64 v132, 0xff7fffff, v171, s15
	v_cndmask_b32_e64 v133, 0xff7fffff, v170, s16
	v_cmp_gt_i32_e64 s18, s30, v167
	v_cndmask_b32_e64 v130, 0xff7fffff, v169, s17
	s_delay_alu instid0(VALU_DEP_3) | instskip(NEXT) | instid1(VALU_DEP_3)
	v_max3_f32 v129, v129, v132, v133
	v_cndmask_b32_e64 v131, 0xff7fffff, v168, s18
	s_delay_alu instid0(VALU_DEP_1) | instskip(SKIP_3) | instid1(VALU_DEP_1)
	v_max3_f32 v129, v129, v130, v131
	ds_bpermute_b32 v130, v158, v129
	s_waitcnt lgkmcnt(0)
	v_max_f32_e32 v130, v130, v130
	v_max_f32_e32 v129, v129, v130
	s_delay_alu instid0(VALU_DEP_1)
	v_fma_f32 v130, s35, v183, -v129
	v_fma_f32 v132, s35, v185, -v129
	;; [unrolled: 1-line block ×5, first 2 shown]
	v_mul_f32_e32 v130, 0x3fb8aa3b, v130
	v_mul_f32_e32 v132, 0x3fb8aa3b, v132
	v_fma_f32 v135, s35, v189, -v129
	v_mul_f32_e32 v134, 0x3fb8aa3b, v134
	s_delay_alu instid0(VALU_DEP_4) | instskip(NEXT) | instid1(VALU_DEP_3)
	v_exp_f32_e32 v130, v130
	v_exp_f32_e32 v132, v132
	s_delay_alu instid0(VALU_DEP_1) | instskip(NEXT) | instid1(TRANS32_DEP_3)
	v_exp_f32_e32 v134, v134
	v_cndmask_b32_e32 v152, 0, v130, vcc_lo
	v_fma_f32 v130, s35, v188, -v129
	v_mul_f32_e32 v131, 0x3fb8aa3b, v131
	s_waitcnt_depctr 0xfff
	v_cndmask_b32_e64 v153, 0, v132, s4
	v_fma_f32 v132, s35, v190, -v129
	v_dual_mul_f32 v133, 0x3fb8aa3b, v133 :: v_dual_mul_f32 v130, 0x3fb8aa3b, v130
	v_exp_f32_e32 v131, v131
	v_cndmask_b32_e64 v155, 0, v134, s6
	s_delay_alu instid0(VALU_DEP_3) | instskip(NEXT) | instid1(VALU_DEP_3)
	v_mul_f32_e32 v132, 0x3fb8aa3b, v132
	v_exp_f32_e32 v133, v133
	v_exp_f32_e32 v130, v130
	v_fma_f32 v134, s35, v138, -v129
	s_delay_alu instid0(VALU_DEP_2) | instskip(SKIP_1) | instid1(VALU_DEP_2)
	v_exp_f32_e32 v132, v132
	v_cndmask_b32_e64 v151, 0, v131, s3
	v_dual_add_f32 v131, 0, v152 :: v_dual_mul_f32 v134, 0x3fb8aa3b, v134
	s_delay_alu instid0(TRANS32_DEP_3)
	v_cndmask_b32_e64 v154, 0, v133, s5
	s_waitcnt_depctr 0xfff
	v_cndmask_b32_e64 v156, 0, v130, s7
	v_fma_f32 v133, s35, v137, -v129
	v_add_f32_e32 v131, v131, v151
	v_exp_f32_e32 v134, v134
	v_cmp_gt_u32_e64 s3, 16, v150
	s_delay_alu instid0(VALU_DEP_2) | instskip(NEXT) | instid1(VALU_DEP_1)
	v_add_f32_e32 v131, v131, v153
	v_add_f32_e32 v131, v131, v154
	s_delay_alu instid0(VALU_DEP_1) | instskip(SKIP_1) | instid1(VALU_DEP_2)
	v_dual_mul_f32 v133, 0x3fb8aa3b, v133 :: v_dual_add_f32 v130, v131, v155
	v_fma_f32 v131, s35, v139, -v129
	v_exp_f32_e32 v133, v133
	v_fma_f32 v139, s35, v144, -v129
	s_delay_alu instid0(VALU_DEP_3) | instskip(NEXT) | instid1(VALU_DEP_1)
	v_dual_add_f32 v130, v130, v156 :: v_dual_mul_f32 v135, 0x3fb8aa3b, v135
	v_exp_f32_e32 v135, v135
	s_waitcnt_depctr 0xfff
	v_cndmask_b32_e64 v157, 0, v135, s8
	v_fma_f32 v135, s35, v140, -v129
	v_cndmask_b32_e64 v140, 0, v132, s9
	v_fma_f32 v132, s35, v141, -v129
	s_delay_alu instid0(VALU_DEP_4) | instskip(NEXT) | instid1(VALU_DEP_1)
	v_add_f32_e32 v130, v130, v157
	v_add_f32_e32 v130, v130, v140
	s_delay_alu instid0(VALU_DEP_3) | instskip(SKIP_4) | instid1(VALU_DEP_3)
	v_mul_f32_e32 v137, 0x3fb8aa3b, v132
	v_cndmask_b32_e64 v132, 0, v134, s11
	v_mul_f32_e32 v131, 0x3fb8aa3b, v131
	v_fma_f32 v134, s35, v143, -v129
	v_mul_f32_e32 v135, 0x3fb8aa3b, v135
	v_exp_f32_e32 v136, v131
	v_cndmask_b32_e64 v131, 0, v133, s10
	v_fma_f32 v133, s35, v142, -v129
	s_delay_alu instid0(VALU_DEP_2) | instskip(NEXT) | instid1(VALU_DEP_2)
	v_add_f32_e32 v130, v130, v131
	v_mul_f32_e32 v138, 0x3fb8aa3b, v133
	v_exp_f32_e32 v137, v137
	s_waitcnt_depctr 0xfff
	v_cndmask_b32_e64 v133, 0, v136, s12
	v_mul_f32_e32 v136, 0x3fb8aa3b, v134
	v_exp_f32_e32 v135, v135
	v_add_f32_e32 v130, v130, v132
	v_exp_f32_e32 v138, v138
	s_delay_alu instid0(VALU_DEP_2) | instskip(NEXT) | instid1(VALU_DEP_1)
	v_exp_f32_e32 v141, v136
	v_add_f32_e32 v130, v130, v133
	s_delay_alu instid0(TRANS32_DEP_3)
	v_cndmask_b32_e64 v134, 0, v135, s13
	v_cndmask_b32_e64 v135, 0, v137, s15
	v_mul_f32_e32 v137, 0x3fb8aa3b, v139
	s_waitcnt_depctr 0xfff
	v_cndmask_b32_e64 v136, 0, v138, s16
	v_add_f32_e32 v130, v130, v134
	v_exp_f32_e32 v138, v137
	v_cndmask_b32_e64 v137, 0, v141, s17
	s_delay_alu instid0(VALU_DEP_2) | instskip(NEXT) | instid1(VALU_DEP_1)
	v_add_f32_e32 v130, v130, v135
	v_add_f32_e32 v130, v130, v136
	s_waitcnt_depctr 0xfff
	v_cndmask_b32_e64 v138, 0, v138, s18
	v_add_f32_e32 v130, v130, v137
	s_delay_alu instid0(VALU_DEP_1)
	v_add_f32_e32 v130, v130, v138
	ds_bpermute_b32 v139, v158, v130
	s_and_saveexec_b32 s4, s3
	s_cbranch_execz .LBB468_12
; %bb.11:
	v_mul_u32_u24_e32 v141, 0x44, v149
	s_delay_alu instid0(VALU_DEP_1) | instskip(SKIP_1) | instid1(VALU_DEP_1)
	v_lshl_add_u32 v141, v148, 2, v141
	s_waitcnt lgkmcnt(0)
	v_dual_add_f32 v130, v130, v139 :: v_dual_add_nc_u32 v139, 0x4000, v141
	ds_store_2addr_b32 v139, v129, v130 offset1:136
.LBB468_12:
	s_or_b32 exec_lo, exec_lo, s4
	v_lshlrev_b32_e32 v129, 2, v148
	s_waitcnt lgkmcnt(0)
	s_barrier
	buffer_gl0_inv
	v_cmp_eq_u32_e64 s4, 1, v149
	v_add_nc_u32_e32 v139, 0x4000, v129
	ds_load_2addr_b32 v[141:142], v139 offset1:17
	ds_load_2addr_b32 v[143:144], v139 offset0:34 offset1:51
	ds_load_2addr_b32 v[158:159], v139 offset0:68 offset1:85
	;; [unrolled: 1-line block ×4, first 2 shown]
	s_waitcnt lgkmcnt(4)
	v_max3_f32 v129, v141, 0xff7fffff, v142
	s_waitcnt lgkmcnt(3)
	s_delay_alu instid0(VALU_DEP_1) | instskip(SKIP_1) | instid1(VALU_DEP_1)
	v_max3_f32 v129, v129, v143, v144
	s_waitcnt lgkmcnt(2)
	v_max3_f32 v129, v129, v158, v159
	s_waitcnt lgkmcnt(1)
	s_delay_alu instid0(VALU_DEP_1) | instskip(NEXT) | instid1(VALU_DEP_1)
	v_max3_f32 v129, v129, v160, v161
	v_sub_f32_e32 v158, v158, v129
	s_delay_alu instid0(VALU_DEP_1) | instskip(NEXT) | instid1(VALU_DEP_1)
	v_dual_sub_f32 v150, v142, v129 :: v_dual_mul_f32 v167, 0x3fb8aa3b, v158
	v_dual_sub_f32 v143, v143, v129 :: v_dual_mul_f32 v150, 0x3fb8aa3b, v150
	s_delay_alu instid0(VALU_DEP_1) | instskip(NEXT) | instid1(VALU_DEP_2)
	v_dual_sub_f32 v130, v141, v129 :: v_dual_mul_f32 v165, 0x3fb8aa3b, v143
	v_exp_f32_e32 v150, v150
	s_delay_alu instid0(VALU_DEP_1) | instskip(NEXT) | instid1(VALU_DEP_2)
	v_mul_f32_e32 v130, 0x3fb8aa3b, v130
	v_exp_f32_e32 v165, v165
	s_delay_alu instid0(VALU_DEP_1) | instskip(SKIP_1) | instid1(VALU_DEP_1)
	v_exp_f32_e32 v164, v130
	v_sub_f32_e32 v130, v144, v129
	v_mul_f32_e32 v166, 0x3fb8aa3b, v130
	s_waitcnt lgkmcnt(0)
	s_waitcnt_depctr 0xfff
	v_fma_f32 v130, v164, v162, 0
	v_sub_f32_e32 v162, v159, v129
	s_delay_alu instid0(VALU_DEP_2)
	v_fmac_f32_e32 v130, v150, v163
	ds_load_2addr_b32 v[141:142], v139 offset0:170 offset1:187
	ds_load_2addr_b32 v[143:144], v139 offset0:204 offset1:221
	ds_load_2addr_b32 v[158:159], v139 offset0:238 offset1:255
	v_sub_f32_e32 v139, v160, v129
	v_exp_f32_e32 v166, v166
	v_mul_f32_e32 v160, 0x3fb8aa3b, v162
	v_exp_f32_e32 v162, v167
	v_cndmask_b32_e64 v150, v164, v150, s4
	v_mul_f32_e32 v139, 0x3fb8aa3b, v139
	v_cmp_eq_u32_e64 s4, 2, v149
	s_waitcnt lgkmcnt(0)
	s_barrier
	buffer_gl0_inv
	v_exp_f32_e32 v139, v139
	v_cndmask_b32_e64 v150, v150, v165, s4
	v_cmp_eq_u32_e64 s4, 3, v149
	v_fmac_f32_e32 v130, v165, v141
	v_sub_f32_e32 v141, v161, v129
	v_exp_f32_e32 v160, v160
	s_delay_alu instid0(VALU_DEP_3) | instskip(SKIP_1) | instid1(VALU_DEP_3)
	v_cndmask_b32_e64 v150, v150, v166, s4
	v_cmp_eq_u32_e64 s4, 4, v149
	v_dual_fmac_f32 v130, v166, v142 :: v_dual_mul_f32 v141, 0x3fb8aa3b, v141
	s_delay_alu instid0(VALU_DEP_2) | instskip(SKIP_1) | instid1(VALU_DEP_3)
	v_cndmask_b32_e64 v150, v150, v162, s4
	v_cmp_eq_u32_e64 s4, 5, v149
	v_exp_f32_e32 v141, v141
	s_delay_alu instid0(VALU_DEP_3)
	v_fmac_f32_e32 v130, v162, v143
	s_delay_alu instid0(TRANS32_DEP_2) | instid1(VALU_DEP_2)
	v_cndmask_b32_e64 v150, v150, v160, s4
	s_delay_alu instid0(VALU_DEP_2) | instskip(NEXT) | instid1(VALU_DEP_1)
	v_fmac_f32_e32 v130, v160, v144
	v_fmac_f32_e32 v130, v139, v158
	s_waitcnt_depctr 0xfff
	v_fmac_f32_e32 v130, v141, v159
	s_delay_alu instid0(VALU_DEP_1) | instskip(NEXT) | instid1(VALU_DEP_1)
	v_add_f32_e32 v142, 0x358637bd, v130
	v_div_scale_f32 v143, null, v142, v142, 1.0
	v_div_scale_f32 v159, vcc_lo, 1.0, v142, 1.0
	s_delay_alu instid0(VALU_DEP_2) | instskip(SKIP_2) | instid1(VALU_DEP_1)
	v_rcp_f32_e32 v144, v143
	s_waitcnt_depctr 0xfff
	v_fma_f32 v158, -v143, v144, 1.0
	v_fmac_f32_e32 v144, v158, v144
	s_delay_alu instid0(VALU_DEP_1) | instskip(NEXT) | instid1(VALU_DEP_1)
	v_mul_f32_e32 v158, v159, v144
	v_fma_f32 v161, -v143, v158, v159
	s_delay_alu instid0(VALU_DEP_1) | instskip(NEXT) | instid1(VALU_DEP_1)
	v_fmac_f32_e32 v158, v161, v144
	v_fma_f32 v143, -v143, v158, v159
	s_delay_alu instid0(VALU_DEP_1) | instskip(SKIP_1) | instid1(VALU_DEP_2)
	v_div_fmas_f32 v143, v143, v144, v158
	v_cmp_eq_u32_e32 vcc_lo, 6, v149
	v_div_fixup_f32 v142, v143, v142, 1.0
	v_cndmask_b32_e32 v139, v150, v139, vcc_lo
	v_cmp_eq_u32_e32 vcc_lo, 7, v149
	s_delay_alu instid0(VALU_DEP_2) | instskip(NEXT) | instid1(VALU_DEP_1)
	v_cndmask_b32_e32 v139, v139, v141, vcc_lo
	v_mul_f32_e32 v139, v139, v142
	s_delay_alu instid0(VALU_DEP_1) | instskip(SKIP_4) | instid1(VALU_DEP_4)
	v_mul_f32_e32 v153, v139, v153
	v_mul_f32_e32 v142, v139, v152
	v_mul_f32_e32 v140, v139, v140
	v_mul_f32_e32 v143, v139, v157
	v_mul_f32_e32 v150, v139, v156
	v_dual_mul_f32 v152, v139, v155 :: v_dual_and_b32 v141, 0x7f800000, v142
	v_mul_f32_e32 v154, v139, v154
	v_mul_f32_e32 v144, v139, v151
	s_delay_alu instid0(VALU_DEP_3) | instskip(SKIP_1) | instid1(SALU_CYCLE_1)
	v_cmp_ne_u32_e32 vcc_lo, 0x7f800000, v141
                                        ; implicit-def: $vgpr141
	s_and_saveexec_b32 s4, vcc_lo
	s_xor_b32 s4, exec_lo, s4
; %bb.13:
	v_bfe_u32 v141, v142, 16, 1
	s_delay_alu instid0(VALU_DEP_1)
	v_add3_u32 v141, v142, v141, 0x7fff
                                        ; implicit-def: $vgpr142
; %bb.14:
	s_and_not1_saveexec_b32 s4, s4
; %bb.15:
	v_and_b32_e32 v141, 0xffff, v142
	v_or_b32_e32 v151, 0x10000, v142
	s_delay_alu instid0(VALU_DEP_2) | instskip(NEXT) | instid1(VALU_DEP_2)
	v_cmp_eq_u32_e32 vcc_lo, 0, v141
	v_cndmask_b32_e32 v141, v151, v142, vcc_lo
; %bb.16:
	s_or_b32 exec_lo, exec_lo, s4
	v_and_b32_e32 v142, 0x7f800000, v144
	s_delay_alu instid0(VALU_DEP_1) | instskip(SKIP_1) | instid1(SALU_CYCLE_1)
	v_cmp_ne_u32_e32 vcc_lo, 0x7f800000, v142
                                        ; implicit-def: $vgpr142
	s_and_saveexec_b32 s4, vcc_lo
	s_xor_b32 s4, exec_lo, s4
; %bb.17:
	v_bfe_u32 v142, v144, 16, 1
	s_delay_alu instid0(VALU_DEP_1)
	v_add3_u32 v142, v144, v142, 0x7fff
                                        ; implicit-def: $vgpr144
; %bb.18:
	s_and_not1_saveexec_b32 s4, s4
; %bb.19:
	v_and_b32_e32 v142, 0xffff, v144
	v_or_b32_e32 v151, 0x10000, v144
	s_delay_alu instid0(VALU_DEP_2) | instskip(NEXT) | instid1(VALU_DEP_2)
	v_cmp_eq_u32_e32 vcc_lo, 0, v142
	v_cndmask_b32_e32 v142, v151, v144, vcc_lo
; %bb.20:
	s_or_b32 exec_lo, exec_lo, s4
	v_and_b32_e32 v144, 0x7f800000, v153
	s_delay_alu instid0(VALU_DEP_1) | instskip(SKIP_1) | instid1(SALU_CYCLE_1)
	v_cmp_ne_u32_e32 vcc_lo, 0x7f800000, v144
                                        ; implicit-def: $vgpr144
	s_and_saveexec_b32 s4, vcc_lo
	s_xor_b32 s4, exec_lo, s4
; %bb.21:
	v_bfe_u32 v144, v153, 16, 1
	s_delay_alu instid0(VALU_DEP_1)
	v_add3_u32 v144, v153, v144, 0x7fff
                                        ; implicit-def: $vgpr153
; %bb.22:
	s_and_not1_saveexec_b32 s4, s4
; %bb.23:
	v_and_b32_e32 v144, 0xffff, v153
	v_or_b32_e32 v151, 0x10000, v153
	s_delay_alu instid0(VALU_DEP_2) | instskip(NEXT) | instid1(VALU_DEP_2)
	v_cmp_eq_u32_e32 vcc_lo, 0, v144
	v_cndmask_b32_e32 v144, v151, v153, vcc_lo
; %bb.24:
	s_or_b32 exec_lo, exec_lo, s4
	v_and_b32_e32 v151, 0x7f800000, v154
	s_delay_alu instid0(VALU_DEP_1) | instskip(SKIP_1) | instid1(SALU_CYCLE_1)
	v_cmp_ne_u32_e32 vcc_lo, 0x7f800000, v151
                                        ; implicit-def: $vgpr151
	s_and_saveexec_b32 s4, vcc_lo
	s_xor_b32 s4, exec_lo, s4
; %bb.25:
	v_bfe_u32 v151, v154, 16, 1
	s_delay_alu instid0(VALU_DEP_1)
	v_add3_u32 v151, v154, v151, 0x7fff
                                        ; implicit-def: $vgpr154
; %bb.26:
	s_and_not1_saveexec_b32 s4, s4
; %bb.27:
	v_and_b32_e32 v151, 0xffff, v154
	v_or_b32_e32 v153, 0x10000, v154
	s_delay_alu instid0(VALU_DEP_2) | instskip(NEXT) | instid1(VALU_DEP_2)
	v_cmp_eq_u32_e32 vcc_lo, 0, v151
	v_cndmask_b32_e32 v151, v153, v154, vcc_lo
; %bb.28:
	s_or_b32 exec_lo, exec_lo, s4
	v_and_b32_e32 v153, 0x7f800000, v152
	s_delay_alu instid0(VALU_DEP_1) | instskip(SKIP_1) | instid1(SALU_CYCLE_1)
	v_cmp_ne_u32_e32 vcc_lo, 0x7f800000, v153
                                        ; implicit-def: $vgpr153
	s_and_saveexec_b32 s4, vcc_lo
	s_xor_b32 s4, exec_lo, s4
; %bb.29:
	v_bfe_u32 v153, v152, 16, 1
	s_delay_alu instid0(VALU_DEP_1)
	v_add3_u32 v153, v152, v153, 0x7fff
                                        ; implicit-def: $vgpr152
; %bb.30:
	s_and_not1_saveexec_b32 s4, s4
; %bb.31:
	v_and_b32_e32 v153, 0xffff, v152
	v_or_b32_e32 v154, 0x10000, v152
	s_delay_alu instid0(VALU_DEP_2) | instskip(NEXT) | instid1(VALU_DEP_2)
	v_cmp_eq_u32_e32 vcc_lo, 0, v153
	v_cndmask_b32_e32 v153, v154, v152, vcc_lo
; %bb.32:
	s_or_b32 exec_lo, exec_lo, s4
	v_and_b32_e32 v152, 0x7f800000, v150
	s_delay_alu instid0(VALU_DEP_1) | instskip(SKIP_1) | instid1(SALU_CYCLE_1)
	v_cmp_ne_u32_e32 vcc_lo, 0x7f800000, v152
                                        ; implicit-def: $vgpr152
	s_and_saveexec_b32 s4, vcc_lo
	s_xor_b32 s4, exec_lo, s4
; %bb.33:
	v_bfe_u32 v152, v150, 16, 1
	s_delay_alu instid0(VALU_DEP_1)
	v_add3_u32 v152, v150, v152, 0x7fff
                                        ; implicit-def: $vgpr150
; %bb.34:
	s_and_not1_saveexec_b32 s4, s4
; %bb.35:
	v_and_b32_e32 v152, 0xffff, v150
	v_or_b32_e32 v154, 0x10000, v150
	s_delay_alu instid0(VALU_DEP_2) | instskip(NEXT) | instid1(VALU_DEP_2)
	v_cmp_eq_u32_e32 vcc_lo, 0, v152
	v_cndmask_b32_e32 v152, v154, v150, vcc_lo
; %bb.36:
	s_or_b32 exec_lo, exec_lo, s4
	v_and_b32_e32 v150, 0x7f800000, v143
	s_delay_alu instid0(VALU_DEP_1) | instskip(SKIP_1) | instid1(SALU_CYCLE_1)
	v_cmp_ne_u32_e32 vcc_lo, 0x7f800000, v150
                                        ; implicit-def: $vgpr150
	s_and_saveexec_b32 s4, vcc_lo
	s_xor_b32 s4, exec_lo, s4
; %bb.37:
	v_bfe_u32 v150, v143, 16, 1
	s_delay_alu instid0(VALU_DEP_1)
	v_add3_u32 v150, v143, v150, 0x7fff
                                        ; implicit-def: $vgpr143
; %bb.38:
	s_and_not1_saveexec_b32 s4, s4
; %bb.39:
	v_and_b32_e32 v150, 0xffff, v143
	v_or_b32_e32 v154, 0x10000, v143
	s_delay_alu instid0(VALU_DEP_2) | instskip(NEXT) | instid1(VALU_DEP_2)
	v_cmp_eq_u32_e32 vcc_lo, 0, v150
	v_cndmask_b32_e32 v150, v154, v143, vcc_lo
; %bb.40:
	s_or_b32 exec_lo, exec_lo, s4
	v_and_b32_e32 v143, 0x7f800000, v140
	s_delay_alu instid0(VALU_DEP_1) | instskip(SKIP_1) | instid1(SALU_CYCLE_1)
	v_cmp_ne_u32_e32 vcc_lo, 0x7f800000, v143
                                        ; implicit-def: $vgpr143
	s_and_saveexec_b32 s4, vcc_lo
	s_xor_b32 s4, exec_lo, s4
; %bb.41:
	v_bfe_u32 v143, v140, 16, 1
	s_delay_alu instid0(VALU_DEP_1)
	v_add3_u32 v143, v140, v143, 0x7fff
                                        ; implicit-def: $vgpr140
; %bb.42:
	s_and_not1_saveexec_b32 s4, s4
; %bb.43:
	v_and_b32_e32 v143, 0xffff, v140
	v_or_b32_e32 v154, 0x10000, v140
	s_delay_alu instid0(VALU_DEP_2) | instskip(NEXT) | instid1(VALU_DEP_2)
	v_cmp_eq_u32_e32 vcc_lo, 0, v143
	v_cndmask_b32_e32 v143, v154, v140, vcc_lo
; %bb.44:
	s_or_b32 exec_lo, exec_lo, s4
	s_load_b64 s[36:37], s[0:1], 0x94
	v_dual_mul_f32 v136, v139, v136 :: v_dual_lshlrev_b32 v155, 4, v146
	s_delay_alu instid0(VALU_DEP_2)
	v_perm_b32 v154, v143, v150, 0x7060302
	v_dual_mul_f32 v143, v139, v131 :: v_dual_lshlrev_b32 v140, 6, v148
	v_dual_mul_f32 v135, v139, v135 :: v_dual_lshlrev_b32 v150, 11, v149
	v_perm_b32 v153, v152, v153, 0x7060302
	v_perm_b32 v152, v151, v144, 0x7060302
	v_perm_b32 v151, v142, v141, 0x7060302
	s_delay_alu instid0(VALU_DEP_4)
	v_or3_b32 v131, v155, v150, v140
	v_mul_f32_e32 v138, v139, v138
	v_dual_mul_f32 v137, v139, v137 :: v_dual_and_b32 v144, 0x7f800000, v143
	v_mul_f32_e32 v141, v139, v134
	v_mul_f32_e32 v142, v139, v133
	;; [unrolled: 1-line block ×3, first 2 shown]
	s_mov_b32 s4, exec_lo
	ds_store_b128 v131, v[151:154]
                                        ; implicit-def: $vgpr132
	v_cmpx_ne_u32_e32 0x7f800000, v144
	s_xor_b32 s4, exec_lo, s4
; %bb.45:
	v_bfe_u32 v132, v143, 16, 1
	s_delay_alu instid0(VALU_DEP_1)
	v_add3_u32 v132, v143, v132, 0x7fff
                                        ; implicit-def: $vgpr143
; %bb.46:
	s_and_not1_saveexec_b32 s4, s4
; %bb.47:
	v_and_b32_e32 v132, 0xffff, v143
	v_or_b32_e32 v133, 0x10000, v143
	s_delay_alu instid0(VALU_DEP_2) | instskip(NEXT) | instid1(VALU_DEP_2)
	v_cmp_eq_u32_e32 vcc_lo, 0, v132
	v_cndmask_b32_e32 v132, v133, v143, vcc_lo
; %bb.48:
	s_or_b32 exec_lo, exec_lo, s4
	v_and_b32_e32 v133, 0x7f800000, v134
	s_delay_alu instid0(VALU_DEP_1) | instskip(SKIP_1) | instid1(SALU_CYCLE_1)
	v_cmp_ne_u32_e32 vcc_lo, 0x7f800000, v133
                                        ; implicit-def: $vgpr133
	s_and_saveexec_b32 s4, vcc_lo
	s_xor_b32 s4, exec_lo, s4
; %bb.49:
	v_bfe_u32 v133, v134, 16, 1
	s_delay_alu instid0(VALU_DEP_1)
	v_add3_u32 v133, v134, v133, 0x7fff
                                        ; implicit-def: $vgpr134
; %bb.50:
	s_and_not1_saveexec_b32 s4, s4
; %bb.51:
	v_and_b32_e32 v133, 0xffff, v134
	v_or_b32_e32 v139, 0x10000, v134
	s_delay_alu instid0(VALU_DEP_2) | instskip(NEXT) | instid1(VALU_DEP_2)
	v_cmp_eq_u32_e32 vcc_lo, 0, v133
	v_cndmask_b32_e32 v133, v139, v134, vcc_lo
; %bb.52:
	s_or_b32 exec_lo, exec_lo, s4
	v_and_b32_e32 v134, 0x7f800000, v142
	s_delay_alu instid0(VALU_DEP_1) | instskip(SKIP_1) | instid1(SALU_CYCLE_1)
	v_cmp_ne_u32_e32 vcc_lo, 0x7f800000, v134
                                        ; implicit-def: $vgpr134
	s_and_saveexec_b32 s4, vcc_lo
	s_xor_b32 s4, exec_lo, s4
; %bb.53:
	v_bfe_u32 v134, v142, 16, 1
	s_delay_alu instid0(VALU_DEP_1)
	v_add3_u32 v134, v142, v134, 0x7fff
                                        ; implicit-def: $vgpr142
; %bb.54:
	s_and_not1_saveexec_b32 s4, s4
; %bb.55:
	v_and_b32_e32 v134, 0xffff, v142
	v_or_b32_e32 v139, 0x10000, v142
	s_delay_alu instid0(VALU_DEP_2) | instskip(NEXT) | instid1(VALU_DEP_2)
	v_cmp_eq_u32_e32 vcc_lo, 0, v134
	v_cndmask_b32_e32 v134, v139, v142, vcc_lo
; %bb.56:
	s_or_b32 exec_lo, exec_lo, s4
	v_and_b32_e32 v139, 0x7f800000, v141
	s_delay_alu instid0(VALU_DEP_1) | instskip(SKIP_1) | instid1(SALU_CYCLE_1)
	v_cmp_ne_u32_e32 vcc_lo, 0x7f800000, v139
                                        ; implicit-def: $vgpr139
	s_and_saveexec_b32 s4, vcc_lo
	s_xor_b32 s4, exec_lo, s4
; %bb.57:
	v_bfe_u32 v139, v141, 16, 1
	s_delay_alu instid0(VALU_DEP_1)
	v_add3_u32 v139, v141, v139, 0x7fff
                                        ; implicit-def: $vgpr141
; %bb.58:
	s_and_not1_saveexec_b32 s4, s4
; %bb.59:
	v_and_b32_e32 v139, 0xffff, v141
	v_or_b32_e32 v142, 0x10000, v141
	s_delay_alu instid0(VALU_DEP_2) | instskip(NEXT) | instid1(VALU_DEP_2)
	v_cmp_eq_u32_e32 vcc_lo, 0, v139
	v_cndmask_b32_e32 v139, v142, v141, vcc_lo
; %bb.60:
	s_or_b32 exec_lo, exec_lo, s4
	v_and_b32_e32 v141, 0x7f800000, v135
	s_delay_alu instid0(VALU_DEP_1) | instskip(SKIP_1) | instid1(SALU_CYCLE_1)
	v_cmp_ne_u32_e32 vcc_lo, 0x7f800000, v141
                                        ; implicit-def: $vgpr141
	s_and_saveexec_b32 s4, vcc_lo
	s_xor_b32 s4, exec_lo, s4
; %bb.61:
	v_bfe_u32 v141, v135, 16, 1
	s_delay_alu instid0(VALU_DEP_1)
	v_add3_u32 v141, v135, v141, 0x7fff
                                        ; implicit-def: $vgpr135
; %bb.62:
	s_and_not1_saveexec_b32 s4, s4
; %bb.63:
	v_and_b32_e32 v141, 0xffff, v135
	v_or_b32_e32 v142, 0x10000, v135
	s_delay_alu instid0(VALU_DEP_2) | instskip(NEXT) | instid1(VALU_DEP_2)
	v_cmp_eq_u32_e32 vcc_lo, 0, v141
	v_cndmask_b32_e32 v141, v142, v135, vcc_lo
; %bb.64:
	s_or_b32 exec_lo, exec_lo, s4
	v_and_b32_e32 v135, 0x7f800000, v136
	s_delay_alu instid0(VALU_DEP_1) | instskip(SKIP_1) | instid1(SALU_CYCLE_1)
	v_cmp_ne_u32_e32 vcc_lo, 0x7f800000, v135
                                        ; implicit-def: $vgpr135
	s_and_saveexec_b32 s4, vcc_lo
	s_xor_b32 s4, exec_lo, s4
; %bb.65:
	v_bfe_u32 v135, v136, 16, 1
	s_delay_alu instid0(VALU_DEP_1)
	v_add3_u32 v135, v136, v135, 0x7fff
                                        ; implicit-def: $vgpr136
; %bb.66:
	s_and_not1_saveexec_b32 s4, s4
; %bb.67:
	v_and_b32_e32 v135, 0xffff, v136
	v_or_b32_e32 v142, 0x10000, v136
	s_delay_alu instid0(VALU_DEP_2) | instskip(NEXT) | instid1(VALU_DEP_2)
	v_cmp_eq_u32_e32 vcc_lo, 0, v135
	v_cndmask_b32_e32 v135, v142, v136, vcc_lo
; %bb.68:
	s_or_b32 exec_lo, exec_lo, s4
	v_and_b32_e32 v136, 0x7f800000, v137
	s_delay_alu instid0(VALU_DEP_1) | instskip(SKIP_1) | instid1(SALU_CYCLE_1)
	v_cmp_ne_u32_e32 vcc_lo, 0x7f800000, v136
                                        ; implicit-def: $vgpr136
	s_and_saveexec_b32 s4, vcc_lo
	s_xor_b32 s4, exec_lo, s4
; %bb.69:
	v_bfe_u32 v136, v137, 16, 1
	s_delay_alu instid0(VALU_DEP_1)
	v_add3_u32 v136, v137, v136, 0x7fff
                                        ; implicit-def: $vgpr137
; %bb.70:
	s_and_not1_saveexec_b32 s4, s4
; %bb.71:
	v_and_b32_e32 v136, 0xffff, v137
	v_or_b32_e32 v142, 0x10000, v137
	s_delay_alu instid0(VALU_DEP_2) | instskip(NEXT) | instid1(VALU_DEP_2)
	v_cmp_eq_u32_e32 vcc_lo, 0, v136
	v_cndmask_b32_e32 v136, v142, v137, vcc_lo
; %bb.72:
	s_or_b32 exec_lo, exec_lo, s4
	v_and_b32_e32 v137, 0x7f800000, v138
	s_delay_alu instid0(VALU_DEP_1) | instskip(SKIP_1) | instid1(SALU_CYCLE_1)
	v_cmp_ne_u32_e32 vcc_lo, 0x7f800000, v137
                                        ; implicit-def: $vgpr137
	s_and_saveexec_b32 s4, vcc_lo
	s_xor_b32 s4, exec_lo, s4
; %bb.73:
	v_bfe_u32 v137, v138, 16, 1
	s_delay_alu instid0(VALU_DEP_1)
	v_add3_u32 v137, v138, v137, 0x7fff
                                        ; implicit-def: $vgpr138
; %bb.74:
	s_and_not1_saveexec_b32 s4, s4
; %bb.75:
	v_and_b32_e32 v137, 0xffff, v138
	v_or_b32_e32 v142, 0x10000, v138
	s_delay_alu instid0(VALU_DEP_2) | instskip(NEXT) | instid1(VALU_DEP_2)
	v_cmp_eq_u32_e32 vcc_lo, 0, v137
	v_cndmask_b32_e32 v137, v142, v138, vcc_lo
; %bb.76:
	s_or_b32 exec_lo, exec_lo, s4
	s_delay_alu instid0(VALU_DEP_1)
	v_perm_b32 v136, v137, v136, 0x7060302
	v_perm_b32 v135, v135, v141, 0x7060302
	;; [unrolled: 1-line block ×4, first 2 shown]
	v_lshl_or_b32 v141, v149, 11, v140
	ds_store_b128 v131, v[133:136] offset:1024
	s_waitcnt lgkmcnt(0)
	s_barrier
	buffer_gl0_inv
	ds_load_b128 v[132:135], v141
	ds_load_b128 v[149:152], v141 offset:16
	s_waitcnt lgkmcnt(1)
	v_lshrrev_b32_e32 v136, 16, v132
	s_waitcnt lgkmcnt(0)
	v_lshrrev_b32_e32 v164, 16, v151
	v_lshlrev_b32_e32 v138, 2, v146
	v_lshrrev_b32_e32 v143, 16, v149
	v_lshrrev_b32_e32 v162, 16, v150
	;; [unrolled: 1-line block ×4, first 2 shown]
	v_or_b32_e32 v139, 1, v138
	v_lshrrev_b32_e32 v165, 16, v152
	v_lshrrev_b32_e32 v163, 16, v135
	s_delay_alu instid0(VALU_DEP_3)
	v_cmp_eq_u32_e64 s8, 1, v139
	v_cmp_eq_u32_e64 s7, 2, v139
	;; [unrolled: 1-line block ×4, first 2 shown]
	v_cmp_eq_u32_e32 vcc_lo, 5, v139
	v_cndmask_b32_e64 v155, v149, v143, s8
	v_cndmask_b32_e64 v154, v132, v136, s8
	v_cmp_eq_u32_e64 s5, 6, v139
	v_cmp_eq_u32_e64 s20, 7, v139
	s_delay_alu instid0(VALU_DEP_4) | instskip(NEXT) | instid1(VALU_DEP_4)
	v_cndmask_b32_e64 v155, v155, v150, s7
	v_cndmask_b32_e64 v154, v154, v133, s7
	s_delay_alu instid0(VALU_DEP_2) | instskip(NEXT) | instid1(VALU_DEP_2)
	v_cndmask_b32_e64 v155, v155, v162, s6
	v_cndmask_b32_e64 v154, v154, v144, s6
	s_delay_alu instid0(VALU_DEP_2) | instskip(NEXT) | instid1(VALU_DEP_2)
	v_cndmask_b32_e64 v155, v155, v151, s4
	v_cndmask_b32_e64 v154, v154, v134, s4
	s_delay_alu instid0(VALU_DEP_2)
	v_cndmask_b32_e32 v157, v155, v164, vcc_lo
	v_cmp_eq_u32_e64 s13, 1, v138
	v_cmp_eq_u32_e64 s12, 2, v138
	;; [unrolled: 1-line block ×3, first 2 shown]
	v_or_b32_e32 v137, 2, v138
	v_cmp_eq_u32_e64 s18, 4, v138
	v_cndmask_b32_e64 v153, v149, v143, s13
	v_cndmask_b32_e64 v142, v132, v136, s13
	v_cmp_eq_u32_e64 s15, 5, v138
	v_cmp_eq_u32_e64 s9, 1, v137
	v_cmp_eq_u32_e64 s16, 6, v138
	v_cndmask_b32_e64 v153, v153, v150, s12
	v_cndmask_b32_e64 v142, v142, v133, s12
	v_cmp_eq_u32_e64 s11, 2, v137
	v_cndmask_b32_e64 v156, v132, v136, s9
	v_cndmask_b32_e32 v154, v154, v161, vcc_lo
	v_cndmask_b32_e64 v153, v153, v162, s17
	v_cndmask_b32_e64 v142, v142, v144, s17
	v_cmp_eq_u32_e64 s10, 7, v138
	v_cndmask_b32_e64 v156, v156, v133, s11
	v_cmp_eq_u32_e64 s19, 3, v137
	v_cndmask_b32_e64 v153, v153, v151, s18
	v_cndmask_b32_e64 v142, v142, v134, s18
	;; [unrolled: 1-line block ×3, first 2 shown]
	v_cmp_eq_u32_e64 s21, 4, v137
	v_cndmask_b32_e64 v156, v156, v144, s19
	v_cndmask_b32_e64 v153, v153, v164, s15
	;; [unrolled: 1-line block ×4, first 2 shown]
	v_cmp_eq_u32_e64 s23, 5, v137
	v_cndmask_b32_e64 v159, v156, v134, s21
	v_cndmask_b32_e64 v153, v153, v152, s16
	;; [unrolled: 1-line block ×3, first 2 shown]
	v_cmp_eq_u32_e64 s26, 6, v137
	v_cmp_eq_u32_e64 s28, 7, v137
	v_cndmask_b32_e64 v169, v159, v161, s23
	v_cndmask_b32_e64 v167, v153, v165, s10
	;; [unrolled: 1-line block ×4, first 2 shown]
	v_or_b32_e32 v142, 3, v138
	s_delay_alu instid0(VALU_DEP_3)
	v_cndmask_b32_e64 v158, v153, v150, s11
	ds_load_b128 v[153:156], v141 offset:1024
	v_cmp_eq_u32_e64 s22, 1, v142
	v_cmp_eq_u32_e64 s24, 2, v142
	;; [unrolled: 1-line block ×3, first 2 shown]
	v_cndmask_b32_e64 v158, v158, v162, s19
	v_cmp_eq_u32_e64 s27, 4, v142
	v_cndmask_b32_e64 v132, v132, v136, s22
	v_cndmask_b32_e64 v136, v157, v152, s5
	;; [unrolled: 1-line block ×4, first 2 shown]
	ds_load_b128 v[157:160], v141 offset:1040
	v_cndmask_b32_e64 v132, v132, v133, s24
	v_cmp_eq_u32_e64 s29, 5, v142
	v_cndmask_b32_e64 v143, v143, v150, s24
	v_cmp_eq_u32_e64 s30, 6, v142
	v_cndmask_b32_e64 v133, v170, v164, s23
	v_cndmask_b32_e64 v132, v132, v144, s25
	;; [unrolled: 1-line block ×5, first 2 shown]
	s_waitcnt lgkmcnt(1)
	v_lshrrev_b32_e32 v149, 16, v153
	v_cndmask_b32_e64 v132, v132, v134, s27
	v_cndmask_b32_e64 v133, v133, v152, s26
	;; [unrolled: 1-line block ×3, first 2 shown]
	v_lshrrev_b32_e32 v151, 16, v154
	v_cndmask_b32_e64 v143, v153, v149, s13
	v_cndmask_b32_e64 v132, v132, v161, s29
	v_cndmask_b32_e64 v161, v153, v149, s8
	v_cndmask_b32_e64 v134, v134, v164, s29
	v_cndmask_b32_e64 v144, v144, v163, s28
	s_waitcnt lgkmcnt(0)
	v_lshrrev_b32_e32 v150, 16, v157
	v_cndmask_b32_e64 v143, v143, v154, s12
	v_cndmask_b32_e64 v132, v132, v135, s30
	;; [unrolled: 1-line block ×3, first 2 shown]
	v_lshrrev_b32_e32 v164, 16, v159
	v_cndmask_b32_e64 v162, v157, v150, s13
	v_cndmask_b32_e64 v135, v143, v151, s17
	;; [unrolled: 1-line block ×3, first 2 shown]
	v_lshrrev_b32_e32 v161, 16, v158
	v_cndmask_b32_e64 v133, v133, v165, s28
	v_cndmask_b32_e64 v152, v162, v158, s12
	v_cmp_eq_u32_e64 s12, 7, v142
	v_cndmask_b32_e64 v143, v143, v151, s6
	v_cndmask_b32_e64 v135, v135, v155, s18
	v_lshrrev_b32_e32 v162, 16, v155
	v_cndmask_b32_e64 v152, v152, v161, s17
	v_cndmask_b32_e64 v132, v132, v163, s12
	;; [unrolled: 1-line block ×6, first 2 shown]
	s_delay_alu instid0(VALU_DEP_4) | instskip(NEXT) | instid1(VALU_DEP_4)
	v_perm_b32 v135, v134, v132, 0x5040100
	v_cndmask_b32_e32 v132, v143, v162, vcc_lo
	s_delay_alu instid0(VALU_DEP_4)
	v_cndmask_b32_e64 v143, v163, v156, s16
	v_lshrrev_b32_e32 v163, 16, v156
	v_cndmask_b32_e64 v152, v152, v164, s15
	v_perm_b32 v134, v133, v144, 0x5040100
	v_cndmask_b32_e64 v132, v132, v156, s5
	v_perm_b32 v133, v136, v168, 0x5040100
	v_cndmask_b32_e64 v136, v143, v163, s10
	v_cndmask_b32_e64 v143, v152, v160, s16
	;; [unrolled: 1-line block ×13, first 2 shown]
	v_lshrrev_b32_e32 v144, 16, v160
	v_cndmask_b32_e64 v132, v132, v151, s19
	v_cndmask_b32_e64 v149, v149, v151, s25
	;; [unrolled: 1-line block ×14, first 2 shown]
	v_cndmask_b32_e32 v150, v150, v164, vcc_lo
	v_cndmask_b32_e64 v132, v132, v156, s26
	v_cndmask_b32_e64 v149, v149, v156, s30
	;; [unrolled: 1-line block ×11, first 2 shown]
	v_perm_b32 v132, v167, v166, 0x5040100
	v_perm_b32 v152, v151, v149, 0x5040100
	;; [unrolled: 1-line block ×5, first 2 shown]
	s_mul_i32 s9, s37, 3
	s_mov_b32 s4, exec_lo
	ds_store_b128 v131, v[132:135]
	ds_store_b128 v131, v[149:152] offset:1024
	v_cmpx_gt_u32_e32 3, v0
	s_cbranch_execz .LBB468_78
; %bb.77:
	s_mul_i32 s5, s9, s34
	s_load_b128 s[16:19], s[0:1], 0x58
	v_add3_u32 v133, s5, s31, v148
	s_delay_alu instid0(VALU_DEP_1) | instskip(NEXT) | instid1(VALU_DEP_1)
	v_mad_u64_u32 v[131:132], null, v133, s36, s[14:15]
	v_ashrrev_i32_e32 v132, 31, v131
	s_delay_alu instid0(VALU_DEP_1) | instskip(SKIP_1) | instid1(VALU_DEP_1)
	v_lshlrev_b64 v[131:132], 2, v[131:132]
	s_waitcnt lgkmcnt(0)
	v_add_co_u32 v133, vcc_lo, s18, v131
	s_delay_alu instid0(VALU_DEP_2)
	v_add_co_ci_u32_e32 v134, vcc_lo, s19, v132, vcc_lo
	v_add_co_u32 v131, vcc_lo, s16, v131
	v_add_co_ci_u32_e32 v132, vcc_lo, s17, v132, vcc_lo
	global_store_b32 v[133:134], v129, off
	global_store_b32 v[131:132], v130, off
.LBB468_78:
	s_or_b32 exec_lo, exec_lo, s4
	s_waitcnt lgkmcnt(0)
	s_waitcnt_vscnt null, 0x0
	s_barrier
	buffer_gl0_inv
	ds_load_b128 v[148:151], v140
	ds_load_b128 v[152:155], v140 offset:16
	ds_load_b128 v[160:163], v140 offset:1040
	;; [unrolled: 1-line block ×3, first 2 shown]
	v_mov_b32_e32 v129, 0
	ds_load_b128 v[168:171], v140 offset:2064
	ds_load_b128 v[164:167], v140 offset:2048
	;; [unrolled: 1-line block ×6, first 2 shown]
	v_mov_b32_e32 v130, v129
	v_mov_b32_e32 v131, v129
	;; [unrolled: 1-line block ×7, first 2 shown]
	s_waitcnt lgkmcnt(8)
	s_delay_alu instid0(VALU_DEP_1)
	v_wmma_f32_16x16x16_bf16 v[129:136], v[121:128], v[148:155], v[129:136]
	ds_load_b128 v[125:128], v140 offset:5136
	ds_load_b128 v[121:124], v140 offset:5120
	s_waitcnt lgkmcnt(8)
	v_wmma_f32_16x16x16_bf16 v[129:136], v[113:120], v[156:163], v[129:136]
	ds_load_b128 v[117:120], v140 offset:6160
	ds_load_b128 v[113:116], v140 offset:6144
	s_waitcnt lgkmcnt(8)
	;; [unrolled: 4-line block ×8, first 2 shown]
	v_wmma_f32_16x16x16_bf16 v[129:136], v[65:72], v[97:104], v[129:136]
	s_waitcnt lgkmcnt(6)
	s_delay_alu instid0(VALU_DEP_1)
	v_wmma_f32_16x16x16_bf16 v[129:136], v[49:56], v[89:96], v[129:136]
	ds_load_b128 v[53:56], v140 offset:13328
	ds_load_b128 v[49:52], v140 offset:13312
	s_waitcnt lgkmcnt(6)
	v_wmma_f32_16x16x16_bf16 v[129:136], v[41:48], v[81:88], v[129:136]
	ds_load_b128 v[45:48], v140 offset:14352
	ds_load_b128 v[41:44], v140 offset:14336
	s_waitcnt lgkmcnt(6)
	;; [unrolled: 4-line block ×3, first 2 shown]
	v_wmma_f32_16x16x16_bf16 v[129:136], v[1:8], v[57:64], v[129:136]
	s_waitcnt lgkmcnt(4)
	s_delay_alu instid0(VALU_DEP_1) | instskip(SKIP_1) | instid1(VALU_DEP_1)
	v_wmma_f32_16x16x16_bf16 v[129:136], v[25:32], v[49:56], v[129:136]
	s_waitcnt lgkmcnt(2)
	v_wmma_f32_16x16x16_bf16 v[129:136], v[33:40], v[41:48], v[129:136]
	s_waitcnt lgkmcnt(0)
	s_delay_alu instid0(VALU_DEP_1) | instskip(NEXT) | instid1(VALU_DEP_1)
	v_wmma_f32_16x16x16_bf16 v[129:136], v[9:16], v[17:24], v[129:136]
	v_and_b32_e32 v1, 0x7f800000, v129
	s_delay_alu instid0(VALU_DEP_1) | instskip(SKIP_1) | instid1(SALU_CYCLE_1)
	v_cmp_ne_u32_e32 vcc_lo, 0x7f800000, v1
                                        ; implicit-def: $vgpr1
	s_and_saveexec_b32 s4, vcc_lo
	s_xor_b32 s4, exec_lo, s4
; %bb.79:
	v_bfe_u32 v1, v129, 16, 1
	s_delay_alu instid0(VALU_DEP_1)
	v_add3_u32 v1, v129, v1, 0x7fff
; %bb.80:
	s_and_not1_saveexec_b32 s4, s4
; %bb.81:
	v_and_b32_e32 v1, 0xffff, v129
	v_or_b32_e32 v2, 0x10000, v129
	s_delay_alu instid0(VALU_DEP_2) | instskip(NEXT) | instid1(VALU_DEP_2)
	v_cmp_eq_u32_e32 vcc_lo, 0, v1
	v_cndmask_b32_e32 v1, v2, v129, vcc_lo
; %bb.82:
	s_or_b32 exec_lo, exec_lo, s4
	v_and_b32_e32 v2, 0x7f800000, v130
	s_delay_alu instid0(VALU_DEP_1) | instskip(SKIP_1) | instid1(SALU_CYCLE_1)
	v_cmp_ne_u32_e32 vcc_lo, 0x7f800000, v2
                                        ; implicit-def: $vgpr2
	s_and_saveexec_b32 s4, vcc_lo
	s_xor_b32 s4, exec_lo, s4
; %bb.83:
	v_bfe_u32 v2, v130, 16, 1
	s_delay_alu instid0(VALU_DEP_1)
	v_add3_u32 v2, v130, v2, 0x7fff
; %bb.84:
	s_and_not1_saveexec_b32 s4, s4
; %bb.85:
	v_and_b32_e32 v2, 0xffff, v130
	v_or_b32_e32 v3, 0x10000, v130
	s_delay_alu instid0(VALU_DEP_2) | instskip(NEXT) | instid1(VALU_DEP_2)
	v_cmp_eq_u32_e32 vcc_lo, 0, v2
	v_cndmask_b32_e32 v2, v3, v130, vcc_lo
; %bb.86:
	s_or_b32 exec_lo, exec_lo, s4
	v_and_b32_e32 v3, 0x7f800000, v131
	s_delay_alu instid0(VALU_DEP_1) | instskip(SKIP_1) | instid1(SALU_CYCLE_1)
	v_cmp_ne_u32_e32 vcc_lo, 0x7f800000, v3
                                        ; implicit-def: $vgpr3
	s_and_saveexec_b32 s4, vcc_lo
	s_xor_b32 s4, exec_lo, s4
; %bb.87:
	v_bfe_u32 v3, v131, 16, 1
	s_delay_alu instid0(VALU_DEP_1)
	v_add3_u32 v3, v131, v3, 0x7fff
; %bb.88:
	s_and_not1_saveexec_b32 s4, s4
; %bb.89:
	v_and_b32_e32 v3, 0xffff, v131
	v_or_b32_e32 v4, 0x10000, v131
	s_delay_alu instid0(VALU_DEP_2) | instskip(NEXT) | instid1(VALU_DEP_2)
	v_cmp_eq_u32_e32 vcc_lo, 0, v3
	v_cndmask_b32_e32 v3, v4, v131, vcc_lo
; %bb.90:
	s_or_b32 exec_lo, exec_lo, s4
	v_and_b32_e32 v4, 0x7f800000, v132
	s_delay_alu instid0(VALU_DEP_1) | instskip(SKIP_1) | instid1(SALU_CYCLE_1)
	v_cmp_ne_u32_e32 vcc_lo, 0x7f800000, v4
                                        ; implicit-def: $vgpr4
	s_and_saveexec_b32 s4, vcc_lo
	s_xor_b32 s4, exec_lo, s4
; %bb.91:
	v_bfe_u32 v4, v132, 16, 1
	s_delay_alu instid0(VALU_DEP_1)
	v_add3_u32 v4, v132, v4, 0x7fff
; %bb.92:
	s_and_not1_saveexec_b32 s4, s4
; %bb.93:
	v_and_b32_e32 v4, 0xffff, v132
	v_or_b32_e32 v5, 0x10000, v132
	s_delay_alu instid0(VALU_DEP_2) | instskip(NEXT) | instid1(VALU_DEP_2)
	v_cmp_eq_u32_e32 vcc_lo, 0, v4
	v_cndmask_b32_e32 v4, v5, v132, vcc_lo
; %bb.94:
	s_or_b32 exec_lo, exec_lo, s4
	v_and_b32_e32 v5, 0x7f800000, v133
	s_delay_alu instid0(VALU_DEP_1) | instskip(SKIP_1) | instid1(SALU_CYCLE_1)
	v_cmp_ne_u32_e32 vcc_lo, 0x7f800000, v5
                                        ; implicit-def: $vgpr5
	s_and_saveexec_b32 s4, vcc_lo
	s_xor_b32 s4, exec_lo, s4
; %bb.95:
	v_bfe_u32 v5, v133, 16, 1
	s_delay_alu instid0(VALU_DEP_1)
	v_add3_u32 v5, v133, v5, 0x7fff
; %bb.96:
	s_and_not1_saveexec_b32 s4, s4
; %bb.97:
	v_and_b32_e32 v5, 0xffff, v133
	v_or_b32_e32 v6, 0x10000, v133
	s_delay_alu instid0(VALU_DEP_2) | instskip(NEXT) | instid1(VALU_DEP_2)
	v_cmp_eq_u32_e32 vcc_lo, 0, v5
	v_cndmask_b32_e32 v5, v6, v133, vcc_lo
; %bb.98:
	s_or_b32 exec_lo, exec_lo, s4
	v_and_b32_e32 v6, 0x7f800000, v134
	s_delay_alu instid0(VALU_DEP_1) | instskip(SKIP_1) | instid1(SALU_CYCLE_1)
	v_cmp_ne_u32_e32 vcc_lo, 0x7f800000, v6
                                        ; implicit-def: $vgpr6
	s_and_saveexec_b32 s4, vcc_lo
	s_xor_b32 s4, exec_lo, s4
; %bb.99:
	v_bfe_u32 v6, v134, 16, 1
	s_delay_alu instid0(VALU_DEP_1)
	v_add3_u32 v6, v134, v6, 0x7fff
; %bb.100:
	s_and_not1_saveexec_b32 s4, s4
; %bb.101:
	v_and_b32_e32 v6, 0xffff, v134
	v_or_b32_e32 v7, 0x10000, v134
	s_delay_alu instid0(VALU_DEP_2) | instskip(NEXT) | instid1(VALU_DEP_2)
	v_cmp_eq_u32_e32 vcc_lo, 0, v6
	v_cndmask_b32_e32 v6, v7, v134, vcc_lo
; %bb.102:
	s_or_b32 exec_lo, exec_lo, s4
	v_and_b32_e32 v7, 0x7f800000, v135
	s_delay_alu instid0(VALU_DEP_1) | instskip(SKIP_1) | instid1(SALU_CYCLE_1)
	v_cmp_ne_u32_e32 vcc_lo, 0x7f800000, v7
                                        ; implicit-def: $vgpr7
	s_and_saveexec_b32 s4, vcc_lo
	s_xor_b32 s4, exec_lo, s4
; %bb.103:
	v_bfe_u32 v7, v135, 16, 1
	s_delay_alu instid0(VALU_DEP_1)
	v_add3_u32 v7, v135, v7, 0x7fff
; %bb.104:
	s_and_not1_saveexec_b32 s4, s4
; %bb.105:
	v_and_b32_e32 v7, 0xffff, v135
	v_or_b32_e32 v8, 0x10000, v135
	s_delay_alu instid0(VALU_DEP_2) | instskip(NEXT) | instid1(VALU_DEP_2)
	v_cmp_eq_u32_e32 vcc_lo, 0, v7
	v_cndmask_b32_e32 v7, v8, v135, vcc_lo
; %bb.106:
	s_or_b32 exec_lo, exec_lo, s4
	v_and_b32_e32 v8, 0x7f800000, v136
	s_delay_alu instid0(VALU_DEP_1) | instskip(SKIP_1) | instid1(SALU_CYCLE_1)
	v_cmp_ne_u32_e32 vcc_lo, 0x7f800000, v8
                                        ; implicit-def: $vgpr8
	s_and_saveexec_b32 s4, vcc_lo
	s_xor_b32 s4, exec_lo, s4
; %bb.107:
	v_bfe_u32 v8, v136, 16, 1
	s_delay_alu instid0(VALU_DEP_1)
	v_add3_u32 v8, v136, v8, 0x7fff
                                        ; implicit-def: $vgpr129_vgpr130_vgpr131_vgpr132_vgpr133_vgpr134_vgpr135_vgpr136
; %bb.108:
	s_and_not1_saveexec_b32 s4, s4
; %bb.109:
	v_and_b32_e32 v8, 0xffff, v136
	v_or_b32_e32 v9, 0x10000, v136
	s_delay_alu instid0(VALU_DEP_2) | instskip(NEXT) | instid1(VALU_DEP_2)
	v_cmp_eq_u32_e32 vcc_lo, 0, v8
	v_cndmask_b32_e32 v8, v9, v136, vcc_lo
; %bb.110:
	s_or_b32 exec_lo, exec_lo, s4
	s_delay_alu instid0(VALU_DEP_1)
	v_perm_b32 v7, v8, v7, 0x7060302
	v_perm_b32 v6, v6, v5, 0x7060302
	;; [unrolled: 1-line block ×4, first 2 shown]
	v_lshl_or_b32 v9, v146, 4, v141
	s_barrier
	buffer_gl0_inv
	v_cmp_eq_u32_e32 vcc_lo, 1, v138
	ds_store_b128 v9, v[4:7]
	s_waitcnt lgkmcnt(0)
	s_barrier
	buffer_gl0_inv
	ds_load_b128 v[1:4], v141
	ds_load_b128 v[5:8], v141 offset:16
	v_cmp_eq_u32_e64 s5, 2, v138
	v_cmp_eq_u32_e64 s4, 1, v139
	;; [unrolled: 1-line block ×5, first 2 shown]
	s_waitcnt lgkmcnt(1)
	v_lshrrev_b32_e32 v10, 16, v1
	s_waitcnt lgkmcnt(0)
	v_lshrrev_b32_e32 v14, 16, v5
	v_lshrrev_b32_e32 v15, 16, v6
	;; [unrolled: 1-line block ×4, first 2 shown]
	v_cndmask_b32_e64 v20, v1, v10, s4
	v_cndmask_b32_e32 v19, v5, v14, vcc_lo
	v_cndmask_b32_e64 v21, v5, v14, s4
	v_lshrrev_b32_e32 v16, 16, v7
	v_cmp_eq_u32_e64 s4, 1, v137
	v_lshrrev_b32_e32 v13, 16, v4
	v_cndmask_b32_e64 v19, v19, v6, s5
	v_lshrrev_b32_e32 v17, 16, v8
	s_delay_alu instid0(VALU_DEP_4) | instskip(SKIP_1) | instid1(VALU_DEP_4)
	v_cndmask_b32_e64 v22, v1, v10, s4
	v_cndmask_b32_e64 v23, v5, v14, s4
	;; [unrolled: 1-line block ×3, first 2 shown]
	v_cndmask_b32_e32 v18, v1, v10, vcc_lo
	v_cmp_eq_u32_e32 vcc_lo, 2, v139
	v_cmp_eq_u32_e64 s4, 2, v142
	v_cndmask_b32_e64 v22, v22, v2, s8
	v_cndmask_b32_e32 v20, v20, v2, vcc_lo
	v_cndmask_b32_e32 v21, v21, v6, vcc_lo
	v_cmp_eq_u32_e32 vcc_lo, 4, v138
	v_cndmask_b32_e32 v19, v19, v7, vcc_lo
	v_cndmask_b32_e64 v18, v18, v2, s5
	v_cmp_eq_u32_e64 s5, 3, v139
	s_delay_alu instid0(VALU_DEP_2) | instskip(NEXT) | instid1(VALU_DEP_2)
	v_cndmask_b32_e64 v18, v18, v11, s6
	v_cndmask_b32_e64 v21, v21, v15, s5
	v_cmp_eq_u32_e64 s6, 5, v138
	s_delay_alu instid0(VALU_DEP_3) | instskip(SKIP_1) | instid1(VALU_DEP_3)
	v_cndmask_b32_e32 v18, v18, v3, vcc_lo
	v_cmp_eq_u32_e32 vcc_lo, 4, v139
	v_cndmask_b32_e64 v19, v19, v16, s6
	s_delay_alu instid0(VALU_DEP_3) | instskip(SKIP_4) | instid1(VALU_DEP_3)
	v_cndmask_b32_e64 v18, v18, v12, s6
	v_cndmask_b32_e32 v21, v21, v7, vcc_lo
	v_cndmask_b32_e64 v20, v20, v11, s5
	v_cmp_eq_u32_e64 s5, 5, v139
	v_cmp_eq_u32_e64 s6, 6, v138
	v_cndmask_b32_e32 v20, v20, v3, vcc_lo
	s_delay_alu instid0(VALU_DEP_3) | instskip(SKIP_1) | instid1(VALU_DEP_4)
	v_cndmask_b32_e64 v21, v21, v16, s5
	v_cmp_eq_u32_e32 vcc_lo, 6, v139
	v_cndmask_b32_e64 v18, v18, v4, s6
	v_cndmask_b32_e64 v19, v19, v8, s6
	;; [unrolled: 1-line block ×3, first 2 shown]
	v_cmp_eq_u32_e64 s5, 1, v142
	v_cmp_eq_u32_e64 s6, 7, v138
	s_delay_alu instid0(VALU_DEP_3) | instskip(NEXT) | instid1(VALU_DEP_3)
	v_cndmask_b32_e32 v20, v20, v4, vcc_lo
	v_cndmask_b32_e64 v1, v1, v10, s5
	v_cndmask_b32_e64 v5, v5, v14, s5
	v_cmp_eq_u32_e64 s5, 3, v137
	v_cndmask_b32_e64 v14, v23, v6, s8
	v_cmp_eq_u32_e64 s8, 3, v142
	v_cndmask_b32_e64 v1, v1, v2, s4
	v_cndmask_b32_e64 v2, v5, v6, s4
	;; [unrolled: 1-line block ×3, first 2 shown]
	v_cmp_eq_u32_e64 s4, 4, v137
	v_cndmask_b32_e64 v6, v14, v15, s5
	v_cndmask_b32_e64 v1, v1, v11, s8
	v_cmp_eq_u32_e64 s5, 4, v142
	v_cndmask_b32_e64 v2, v2, v15, s8
	v_cndmask_b32_e64 v5, v10, v3, s4
	;; [unrolled: 3-line block ×3, first 2 shown]
	v_cndmask_b32_e64 v2, v2, v7, s5
	v_cmp_eq_u32_e64 s4, 5, v142
	v_cndmask_b32_e64 v5, v5, v12, s8
	v_cmp_eq_u32_e64 s5, 6, v137
	;; [unrolled: 2-line block ×3, first 2 shown]
	v_cndmask_b32_e64 v1, v1, v12, s4
	v_cndmask_b32_e64 v2, v2, v16, s4
	;; [unrolled: 1-line block ×4, first 2 shown]
	v_cmp_eq_u32_e64 s4, 7, v142
	v_cndmask_b32_e64 v1, v1, v4, s8
	v_cndmask_b32_e64 v2, v2, v8, s8
	v_cmp_eq_u32_e64 s5, 7, v137
	v_cndmask_b32_e32 v4, v21, v8, vcc_lo
	v_cndmask_b32_e64 v18, v18, v13, s6
	v_cndmask_b32_e64 v20, v20, v13, s7
	;; [unrolled: 1-line block ×8, first 2 shown]
	v_cmp_gt_u32_e32 vcc_lo, 32, v0
	v_perm_b32 v4, v2, v1, 0x5040100
	v_perm_b32 v3, v3, v5, 0x5040100
	;; [unrolled: 1-line block ×4, first 2 shown]
	s_and_b32 s2, vcc_lo, s2
	ds_store_b128 v9, v[1:4]
	s_waitcnt lgkmcnt(0)
	s_barrier
	buffer_gl0_inv
	s_and_saveexec_b32 s4, s2
	s_cbranch_execz .LBB468_2
; %bb.111:
	s_load_b64 s[4:5], s[0:1], 0x68
	v_lshlrev_b32_e32 v0, 10, v0
	v_lshlrev_b32_e32 v2, 4, v147
	v_add_nc_u32_e32 v1, s31, v146
	s_lshl_b32 s0, s36, 6
	s_delay_alu instid0(SALU_CYCLE_1) | instskip(NEXT) | instid1(VALU_DEP_2)
	s_mul_i32 s1, s0, s34
	v_and_or_b32 v0, 0x3800, v0, v2
	s_mul_i32 s6, s1, s9
	v_mul_lo_u32 v1, v1, s0
	s_ashr_i32 s7, s6, 31
	s_delay_alu instid0(VALU_DEP_2) | instskip(SKIP_1) | instid1(VALU_DEP_2)
	v_lshl_or_b32 v3, v146, 6, v0
	s_lshl_b64 s[6:7], s[6:7], 1
	v_ashrrev_i32_e32 v2, 31, v1
	ds_load_b128 v[3:6], v3
	s_waitcnt lgkmcnt(0)
	s_add_u32 s1, s4, s6
	s_addc_u32 s2, s5, s7
	s_lshl_b32 s4, s14, 6
	v_lshlrev_b64 v[7:8], 1, v[1:2]
	s_ashr_i32 s5, s4, 31
	s_delay_alu instid0(SALU_CYCLE_1) | instskip(NEXT) | instid1(SALU_CYCLE_1)
	s_lshl_b64 s[4:5], s[4:5], 1
	s_add_u32 s1, s1, s4
	s_addc_u32 s2, s2, s5
	v_add_co_u32 v1, s1, s1, v145
	s_delay_alu instid0(VALU_DEP_1) | instskip(NEXT) | instid1(VALU_DEP_2)
	v_add_co_ci_u32_e64 v2, null, s2, 0, s1
	v_add_co_u32 v7, vcc_lo, v1, v7
	s_delay_alu instid0(VALU_DEP_2)
	v_add_co_ci_u32_e32 v8, vcc_lo, v2, v8, vcc_lo
	global_store_b128 v[7:8], v[3:6], off
	s_and_b32 exec_lo, exec_lo, s3
	s_cbranch_execz .LBB468_2
; %bb.112:
	ds_load_b128 v[3:6], v0 offset:128
	s_add_i32 s1, s31, 2
	s_delay_alu instid0(SALU_CYCLE_1) | instskip(NEXT) | instid1(SALU_CYCLE_1)
	s_mul_i32 s0, s1, s0
	s_ashr_i32 s1, s0, 31
	s_delay_alu instid0(SALU_CYCLE_1) | instskip(NEXT) | instid1(SALU_CYCLE_1)
	s_lshl_b64 s[0:1], s[0:1], 1
	v_add_co_u32 v0, vcc_lo, v1, s0
	v_add_co_ci_u32_e32 v1, vcc_lo, s1, v2, vcc_lo
	s_waitcnt lgkmcnt(0)
	global_store_b128 v[0:1], v[3:6], off
	s_nop 0
	s_sendmsg sendmsg(MSG_DEALLOC_VGPRS)
	s_endpgm
	.section	.rodata,"a",@progbits
	.p2align	6, 0x0
	.amdhsa_kernel _Z39paged_attention_ll4mi_QKV_mfma16_kernelI14__hip_bfloat16S0_LN4vllm18Fp8KVCacheDataTypeE0ES0_Li16ELi64ELi256ELb1ELi3EL8MFMAType0EEvPKT_PKT0_S9_ifPKiSB_SB_iPKfiiiPfSE_PS4_PT2_iSD_SD_
		.amdhsa_group_segment_fixed_size 17472
		.amdhsa_private_segment_fixed_size 0
		.amdhsa_kernarg_size 400
		.amdhsa_user_sgpr_count 13
		.amdhsa_user_sgpr_dispatch_ptr 0
		.amdhsa_user_sgpr_queue_ptr 0
		.amdhsa_user_sgpr_kernarg_segment_ptr 1
		.amdhsa_user_sgpr_dispatch_id 0
		.amdhsa_user_sgpr_private_segment_size 0
		.amdhsa_wavefront_size32 1
		.amdhsa_uses_dynamic_stack 0
		.amdhsa_enable_private_segment 0
		.amdhsa_system_sgpr_workgroup_id_x 1
		.amdhsa_system_sgpr_workgroup_id_y 1
		.amdhsa_system_sgpr_workgroup_id_z 1
		.amdhsa_system_sgpr_workgroup_info 0
		.amdhsa_system_vgpr_workitem_id 0
		.amdhsa_next_free_vgpr 198
		.amdhsa_next_free_sgpr 52
		.amdhsa_reserve_vcc 1
		.amdhsa_float_round_mode_32 0
		.amdhsa_float_round_mode_16_64 0
		.amdhsa_float_denorm_mode_32 3
		.amdhsa_float_denorm_mode_16_64 3
		.amdhsa_dx10_clamp 1
		.amdhsa_ieee_mode 1
		.amdhsa_fp16_overflow 0
		.amdhsa_workgroup_processor_mode 1
		.amdhsa_memory_ordered 1
		.amdhsa_forward_progress 0
		.amdhsa_shared_vgpr_count 0
		.amdhsa_exception_fp_ieee_invalid_op 0
		.amdhsa_exception_fp_denorm_src 0
		.amdhsa_exception_fp_ieee_div_zero 0
		.amdhsa_exception_fp_ieee_overflow 0
		.amdhsa_exception_fp_ieee_underflow 0
		.amdhsa_exception_fp_ieee_inexact 0
		.amdhsa_exception_int_div_zero 0
	.end_amdhsa_kernel
	.section	.text._Z39paged_attention_ll4mi_QKV_mfma16_kernelI14__hip_bfloat16S0_LN4vllm18Fp8KVCacheDataTypeE0ES0_Li16ELi64ELi256ELb1ELi3EL8MFMAType0EEvPKT_PKT0_S9_ifPKiSB_SB_iPKfiiiPfSE_PS4_PT2_iSD_SD_,"axG",@progbits,_Z39paged_attention_ll4mi_QKV_mfma16_kernelI14__hip_bfloat16S0_LN4vllm18Fp8KVCacheDataTypeE0ES0_Li16ELi64ELi256ELb1ELi3EL8MFMAType0EEvPKT_PKT0_S9_ifPKiSB_SB_iPKfiiiPfSE_PS4_PT2_iSD_SD_,comdat
.Lfunc_end468:
	.size	_Z39paged_attention_ll4mi_QKV_mfma16_kernelI14__hip_bfloat16S0_LN4vllm18Fp8KVCacheDataTypeE0ES0_Li16ELi64ELi256ELb1ELi3EL8MFMAType0EEvPKT_PKT0_S9_ifPKiSB_SB_iPKfiiiPfSE_PS4_PT2_iSD_SD_, .Lfunc_end468-_Z39paged_attention_ll4mi_QKV_mfma16_kernelI14__hip_bfloat16S0_LN4vllm18Fp8KVCacheDataTypeE0ES0_Li16ELi64ELi256ELb1ELi3EL8MFMAType0EEvPKT_PKT0_S9_ifPKiSB_SB_iPKfiiiPfSE_PS4_PT2_iSD_SD_
                                        ; -- End function
	.section	.AMDGPU.csdata,"",@progbits
; Kernel info:
; codeLenInByte = 9960
; NumSgprs: 54
; NumVgprs: 198
; ScratchSize: 0
; MemoryBound: 0
; FloatMode: 240
; IeeeMode: 1
; LDSByteSize: 17472 bytes/workgroup (compile time only)
; SGPRBlocks: 6
; VGPRBlocks: 24
; NumSGPRsForWavesPerEU: 54
; NumVGPRsForWavesPerEU: 198
; Occupancy: 7
; WaveLimiterHint : 1
; COMPUTE_PGM_RSRC2:SCRATCH_EN: 0
; COMPUTE_PGM_RSRC2:USER_SGPR: 13
; COMPUTE_PGM_RSRC2:TRAP_HANDLER: 0
; COMPUTE_PGM_RSRC2:TGID_X_EN: 1
; COMPUTE_PGM_RSRC2:TGID_Y_EN: 1
; COMPUTE_PGM_RSRC2:TGID_Z_EN: 1
; COMPUTE_PGM_RSRC2:TIDIG_COMP_CNT: 0
	.section	.text._Z39paged_attention_ll4mi_QKV_mfma16_kernelI14__hip_bfloat16S0_LN4vllm18Fp8KVCacheDataTypeE0ES0_Li16ELi64ELi256ELb1ELi4EL8MFMAType0EEvPKT_PKT0_S9_ifPKiSB_SB_iPKfiiiPfSE_PS4_PT2_iSD_SD_,"axG",@progbits,_Z39paged_attention_ll4mi_QKV_mfma16_kernelI14__hip_bfloat16S0_LN4vllm18Fp8KVCacheDataTypeE0ES0_Li16ELi64ELi256ELb1ELi4EL8MFMAType0EEvPKT_PKT0_S9_ifPKiSB_SB_iPKfiiiPfSE_PS4_PT2_iSD_SD_,comdat
	.protected	_Z39paged_attention_ll4mi_QKV_mfma16_kernelI14__hip_bfloat16S0_LN4vllm18Fp8KVCacheDataTypeE0ES0_Li16ELi64ELi256ELb1ELi4EL8MFMAType0EEvPKT_PKT0_S9_ifPKiSB_SB_iPKfiiiPfSE_PS4_PT2_iSD_SD_ ; -- Begin function _Z39paged_attention_ll4mi_QKV_mfma16_kernelI14__hip_bfloat16S0_LN4vllm18Fp8KVCacheDataTypeE0ES0_Li16ELi64ELi256ELb1ELi4EL8MFMAType0EEvPKT_PKT0_S9_ifPKiSB_SB_iPKfiiiPfSE_PS4_PT2_iSD_SD_
	.globl	_Z39paged_attention_ll4mi_QKV_mfma16_kernelI14__hip_bfloat16S0_LN4vllm18Fp8KVCacheDataTypeE0ES0_Li16ELi64ELi256ELb1ELi4EL8MFMAType0EEvPKT_PKT0_S9_ifPKiSB_SB_iPKfiiiPfSE_PS4_PT2_iSD_SD_
	.p2align	8
	.type	_Z39paged_attention_ll4mi_QKV_mfma16_kernelI14__hip_bfloat16S0_LN4vllm18Fp8KVCacheDataTypeE0ES0_Li16ELi64ELi256ELb1ELi4EL8MFMAType0EEvPKT_PKT0_S9_ifPKiSB_SB_iPKfiiiPfSE_PS4_PT2_iSD_SD_,@function
_Z39paged_attention_ll4mi_QKV_mfma16_kernelI14__hip_bfloat16S0_LN4vllm18Fp8KVCacheDataTypeE0ES0_Li16ELi64ELi256ELb1ELi4EL8MFMAType0EEvPKT_PKT0_S9_ifPKiSB_SB_iPKfiiiPfSE_PS4_PT2_iSD_SD_: ; @_Z39paged_attention_ll4mi_QKV_mfma16_kernelI14__hip_bfloat16S0_LN4vllm18Fp8KVCacheDataTypeE0ES0_Li16ELi64ELi256ELb1ELi4EL8MFMAType0EEvPKT_PKT0_S9_ifPKiSB_SB_iPKfiiiPfSE_PS4_PT2_iSD_SD_
; %bb.0:
	s_load_b64 s[2:3], s[0:1], 0x30
	s_mov_b32 s30, s13
	s_waitcnt lgkmcnt(0)
	s_cmp_lg_u64 s[2:3], 0
	s_cselect_b32 s6, -1, 0
	s_ashr_i32 s31, s13, 31
	s_cmp_eq_u64 s[2:3], 0
	s_cbranch_scc1 .LBB469_3
; %bb.1:
	s_lshl_b64 s[4:5], s[30:31], 2
	s_delay_alu instid0(SALU_CYCLE_1) | instskip(SKIP_4) | instid1(SALU_CYCLE_1)
	s_add_u32 s4, s2, s4
	s_addc_u32 s5, s3, s5
	s_load_b64 s[4:5], s[4:5], 0x0
	s_waitcnt lgkmcnt(0)
	s_sub_i32 s4, s5, s4
	s_cmp_eq_u32 s4, 1
	s_cselect_b32 s4, -1, 0
	s_delay_alu instid0(SALU_CYCLE_1)
	s_and_not1_b32 vcc_lo, exec_lo, s4
	s_cbranch_vccz .LBB469_4
.LBB469_2:
	s_endpgm
.LBB469_3:
.LBB469_4:
	s_load_b64 s[8:9], s[0:1], 0x28
	s_lshl_b64 s[4:5], s[30:31], 2
	s_waitcnt lgkmcnt(0)
	s_add_u32 s8, s8, s4
	s_addc_u32 s9, s9, s5
	s_lshl_b32 s34, s14, 8
	s_load_b32 s33, s[8:9], 0x0
	s_waitcnt lgkmcnt(0)
	s_cmp_ge_i32 s34, s33
	s_cbranch_scc1 .LBB469_2
; %bb.5:
	s_clause 0x1
	s_load_b128 s[8:11], s[0:1], 0x8
	s_load_b64 s[12:13], s[0:1], 0x20
	s_and_not1_b32 vcc_lo, exec_lo, s6
	s_cbranch_vccnz .LBB469_7
; %bb.6:
	s_add_u32 s2, s2, s4
	s_addc_u32 s3, s3, s5
	s_load_b32 s3, s[2:3], 0x0
	s_branch .LBB469_8
.LBB469_7:
	s_mov_b32 s3, s30
.LBB469_8:
	s_load_b128 s[4:7], s[0:1], 0x48
	v_and_b32_e32 v149, 15, v0
	v_cmp_gt_u32_e32 vcc_lo, 64, v0
	v_lshrrev_b32_e32 v148, 5, v0
	v_and_b32_e32 v150, 31, v0
	v_and_b32_e32 v146, 1, v0
	v_lshlrev_b32_e32 v1, 3, v149
	v_cmp_gt_u32_e64 s2, 8, v149
	v_bfe_u32 v147, v0, 4, 1
	s_lshl_b32 s31, s15, 2
	s_delay_alu instid0(VALU_DEP_3) | instskip(NEXT) | instid1(VALU_DEP_3)
	v_lshlrev_b32_e32 v145, 1, v1
	s_and_b32 s16, vcc_lo, s2
	s_waitcnt lgkmcnt(0)
	s_and_saveexec_b32 s7, s16
	s_cbranch_execz .LBB469_10
; %bb.9:
	v_lshl_or_b32 v5, v148, 1, v147
	s_load_b64 s[16:17], s[0:1], 0x0
	s_mul_hi_i32 s19, s3, s4
	s_mul_i32 s18, s3, s4
	v_lshlrev_b32_e32 v6, 10, v149
	v_or_b32_e32 v1, s31, v5
	s_lshl_b64 s[18:19], s[18:19], 1
	v_lshlrev_b32_e32 v5, 6, v5
	v_lshlrev_b32_e32 v7, 10, v146
	v_and_b32_e32 v6, 0x3800, v6
	v_lshlrev_b32_e32 v1, 6, v1
	s_delay_alu instid0(VALU_DEP_2) | instskip(NEXT) | instid1(VALU_DEP_2)
	v_or3_b32 v5, v6, v7, v5
	v_ashrrev_i32_e32 v2, 31, v1
	s_delay_alu instid0(VALU_DEP_1) | instskip(SKIP_3) | instid1(VALU_DEP_1)
	v_lshlrev_b64 v[1:2], 1, v[1:2]
	s_waitcnt lgkmcnt(0)
	s_add_u32 s3, s16, s18
	s_addc_u32 s4, s17, s19
	v_add_co_u32 v1, vcc_lo, s3, v1
	s_delay_alu instid0(VALU_DEP_2) | instskip(NEXT) | instid1(VALU_DEP_2)
	v_add_co_ci_u32_e32 v2, vcc_lo, s4, v2, vcc_lo
	v_add_co_u32 v1, vcc_lo, v1, v145
	s_delay_alu instid0(VALU_DEP_2)
	v_add_co_ci_u32_e32 v2, vcc_lo, 0, v2, vcc_lo
	global_load_b128 v[1:4], v[1:2], off
	s_waitcnt vmcnt(0)
	ds_store_b128 v5, v[1:4]
.LBB469_10:
	s_or_b32 exec_lo, exec_lo, s7
	s_mov_b32 s40, 0
	s_add_i32 s3, s33, 15
	s_mov_b32 s41, s40
	s_mov_b32 s42, s40
	;; [unrolled: 1-line block ×7, first 2 shown]
	s_delay_alu instid0(SALU_CYCLE_1)
	v_dual_mov_b32 v136, s47 :: v_dual_and_b32 v1, 0xef, v0
	v_mov_b32_e32 v134, s45
	s_clause 0x1
	s_load_b32 s4, s[0:1], 0x38
	s_load_b32 s35, s[0:1], 0x1c
	v_add_nc_u32_e32 v1, s34, v1
	s_ashr_i32 s7, s3, 31
	s_waitcnt lgkmcnt(0)
	s_lshr_b32 s7, s7, 28
	s_barrier
	v_ashrrev_i32_e32 v2, 31, v1
	s_add_i32 s3, s3, s7
	v_cmp_gt_i32_e32 vcc_lo, s33, v1
	v_mov_b32_e32 v135, s46
	s_ashr_i32 s3, s3, 4
	v_lshrrev_b32_e32 v3, 28, v2
	v_or_b32_e32 v2, 16, v1
	s_add_i32 s3, s3, -1
	v_mov_b32_e32 v132, s43
	buffer_gl0_inv
	v_add_nc_u32_e32 v4, v1, v3
	v_add_nc_u32_e32 v3, v2, v3
	s_mul_i32 s6, s15, s6
	v_lshlrev_b32_e32 v22, 5, v149
	s_mul_i32 s16, s30, s4
	v_ashrrev_i32_e32 v4, 4, v4
	v_ashrrev_i32_e32 v3, 4, v3
	s_ashr_i32 s17, s16, 31
	v_and_b32_e32 v21, 3, v0
	s_lshl_b64 s[16:17], s[16:17], 2
	v_cndmask_b32_e32 v1, s3, v4, vcc_lo
	v_cmp_gt_i32_e32 vcc_lo, s33, v2
	s_add_u32 s4, s12, s16
	s_addc_u32 s36, s13, s17
	s_ashr_i32 s7, s6, 31
	v_ashrrev_i32_e32 v2, 31, v1
	v_cndmask_b32_e32 v3, s3, v3, vcc_lo
	s_lshl_b64 s[6:7], s[6:7], 1
	v_lshlrev_b32_e32 v197, 6, v21
	s_add_u32 s24, s8, s6
	v_lshlrev_b64 v[1:2], 2, v[1:2]
	v_ashrrev_i32_e32 v4, 31, v3
	s_addc_u32 s25, s9, s7
	s_lshl_b32 s8, s14, 4
	v_mov_b32_e32 v133, s44
	s_ashr_i32 s9, s8, 31
	v_lshlrev_b64 v[3:4], 2, v[3:4]
	v_add_co_u32 v1, vcc_lo, s4, v1
	v_add_co_ci_u32_e32 v2, vcc_lo, s36, v2, vcc_lo
	s_lshl_b64 s[8:9], s[8:9], 2
	s_delay_alu instid0(VALU_DEP_3) | instskip(NEXT) | instid1(VALU_DEP_4)
	v_add_co_u32 v3, vcc_lo, s4, v3
	v_add_co_ci_u32_e32 v4, vcc_lo, s36, v4, vcc_lo
	s_clause 0x1
	global_load_b32 v5, v[1:2], off
	global_load_b32 v6, v[3:4], off
	s_add_u32 s8, s4, s8
	s_addc_u32 s9, s36, s9
	s_or_b32 s12, s34, 16
	v_dual_mov_b32 v130, s41 :: v_dual_lshlrev_b32 v3, 4, v0
	s_ashr_i32 s13, s12, 4
	s_cmp_lt_i32 s12, s33
	v_mov_b32_e32 v131, s42
	s_cselect_b32 s12, s13, s3
	v_mov_b32_e32 v129, s40
	s_ashr_i32 s13, s12, 31
	v_lshl_or_b32 v21, v148, 9, v22
	s_lshl_b64 s[12:13], s[12:13], 2
	s_delay_alu instid0(SALU_CYCLE_1) | instskip(SKIP_2) | instid1(SALU_CYCLE_1)
	s_add_u32 s12, s4, s12
	s_addc_u32 s13, s36, s13
	s_or_b32 s15, s34, 32
	s_ashr_i32 s16, s15, 4
	s_cmp_lt_i32 s15, s33
	s_cselect_b32 s16, s16, s3
	s_delay_alu instid0(SALU_CYCLE_1) | instskip(NEXT) | instid1(SALU_CYCLE_1)
	s_ashr_i32 s17, s16, 31
	s_lshl_b64 s[16:17], s[16:17], 2
	s_delay_alu instid0(SALU_CYCLE_1) | instskip(SKIP_2) | instid1(SALU_CYCLE_1)
	s_add_u32 s16, s4, s16
	s_addc_u32 s17, s36, s17
	s_or_b32 s15, s34, 48
	s_ashr_i32 s18, s15, 4
	s_cmp_lt_i32 s15, s33
	s_cselect_b32 s18, s18, s3
	s_delay_alu instid0(SALU_CYCLE_1) | instskip(NEXT) | instid1(SALU_CYCLE_1)
	s_ashr_i32 s19, s18, 31
	;; [unrolled: 10-line block ×4, first 2 shown]
	s_lshl_b64 s[22:23], s[22:23], 2
	s_delay_alu instid0(SALU_CYCLE_1)
	s_add_u32 s22, s4, s22
	s_addc_u32 s23, s36, s23
	s_clause 0x5
	s_load_b32 s8, s[8:9], 0x0
	s_load_b32 s12, s[12:13], 0x0
	;; [unrolled: 1-line block ×6, first 2 shown]
	s_waitcnt lgkmcnt(0)
	s_mul_hi_i32 s17, s16, s5
	s_mul_i32 s16, s16, s5
	s_waitcnt vmcnt(1)
	v_mad_i64_i32 v[1:2], null, v5, s5, 0
	v_and_b32_e32 v5, 0xf0, v3
	s_waitcnt vmcnt(0)
	v_mad_i64_i32 v[3:4], null, v6, s5, 0
	s_delay_alu instid0(VALU_DEP_2) | instskip(NEXT) | instid1(VALU_DEP_4)
	v_add_co_u32 v5, s9, s24, v5
	v_lshlrev_b64 v[1:2], 1, v[1:2]
	v_add_co_ci_u32_e64 v6, null, s25, 0, s9
	s_delay_alu instid0(VALU_DEP_4) | instskip(SKIP_1) | instid1(VALU_DEP_3)
	v_lshlrev_b64 v[3:4], 1, v[3:4]
	s_or_b32 s9, s34, 0x60
	v_add_co_u32 v17, vcc_lo, v5, v1
	s_delay_alu instid0(VALU_DEP_3) | instskip(NEXT) | instid1(VALU_DEP_3)
	v_add_co_ci_u32_e32 v18, vcc_lo, v6, v2, vcc_lo
	v_add_co_u32 v19, vcc_lo, v5, v3
	s_delay_alu instid0(VALU_DEP_4)
	v_add_co_ci_u32_e32 v20, vcc_lo, v6, v4, vcc_lo
	s_clause 0xb
	global_load_b128 v[1:4], v[17:18], off
	global_load_b128 v[5:8], v[17:18], off offset:256
	global_load_b128 v[137:140], v[19:20], off
	global_load_b128 v[141:144], v[19:20], off offset:256
	global_load_b128 v[33:36], v[17:18], off offset:512
	;; [unrolled: 1-line block ×9, first 2 shown]
	ds_load_b128 v[159:162], v197
	ds_load_b128 v[163:166], v197 offset:1024
	s_clause 0x3
	global_load_b128 v[167:170], v[17:18], off offset:1536
	global_load_b128 v[171:174], v[17:18], off offset:1792
	;; [unrolled: 1-line block ×4, first 2 shown]
	s_ashr_i32 s13, s9, 4
	s_cmp_lt_i32 s9, s33
	s_cselect_b32 s22, s13, s3
	s_delay_alu instid0(SALU_CYCLE_1) | instskip(NEXT) | instid1(SALU_CYCLE_1)
	s_ashr_i32 s23, s22, 31
	s_lshl_b64 s[22:23], s[22:23], 2
	s_delay_alu instid0(SALU_CYCLE_1) | instskip(SKIP_2) | instid1(SALU_CYCLE_1)
	s_add_u32 s22, s4, s22
	s_addc_u32 s23, s36, s23
	s_or_b32 s9, s34, 0x70
	s_ashr_i32 s13, s9, 4
	s_cmp_lt_i32 s9, s33
	s_cselect_b32 s24, s13, s3
	s_delay_alu instid0(SALU_CYCLE_1) | instskip(NEXT) | instid1(SALU_CYCLE_1)
	s_ashr_i32 s25, s24, 31
	s_lshl_b64 s[24:25], s[24:25], 2
	s_delay_alu instid0(SALU_CYCLE_1)
	s_add_u32 s24, s4, s24
	s_addc_u32 s25, s36, s25
	s_or_b32 s9, s34, 0x80
	s_load_b32 s46, s[24:25], 0x0
	s_ashr_i32 s13, s9, 4
	s_cmp_lt_i32 s9, s33
	s_cselect_b32 s26, s13, s3
	s_delay_alu instid0(SALU_CYCLE_1) | instskip(NEXT) | instid1(SALU_CYCLE_1)
	s_ashr_i32 s27, s26, 31
	s_lshl_b64 s[26:27], s[26:27], 2
	s_delay_alu instid0(SALU_CYCLE_1)
	s_add_u32 s26, s4, s26
	s_addc_u32 s27, s36, s27
	s_or_b32 s9, s34, 0x90
	s_load_b32 s47, s[26:27], 0x0
	s_ashr_i32 s13, s9, 4
	s_cmp_lt_i32 s9, s33
	s_cselect_b32 s28, s13, s3
	s_delay_alu instid0(SALU_CYCLE_1) | instskip(NEXT) | instid1(SALU_CYCLE_1)
	s_ashr_i32 s29, s28, 31
	s_lshl_b64 s[28:29], s[28:29], 2
	s_delay_alu instid0(SALU_CYCLE_1) | instskip(SKIP_2) | instid1(SALU_CYCLE_1)
	s_add_u32 s28, s4, s28
	s_addc_u32 s29, s36, s29
	s_or_b32 s9, s34, 0xa0
	s_ashr_i32 s13, s9, 4
	s_cmp_lt_i32 s9, s33
	s_cselect_b32 s38, s13, s3
	s_delay_alu instid0(SALU_CYCLE_1) | instskip(NEXT) | instid1(SALU_CYCLE_1)
	s_ashr_i32 s39, s38, 31
	s_lshl_b64 s[38:39], s[38:39], 2
	s_delay_alu instid0(SALU_CYCLE_1)
	s_add_u32 s38, s4, s38
	s_addc_u32 s39, s36, s39
	s_or_b32 s9, s34, 0xb0
	s_load_b32 s39, s[38:39], 0x0
	s_ashr_i32 s13, s9, 4
	s_cmp_lt_i32 s9, s33
	s_mul_hi_i32 s9, s8, s5
	s_cselect_b32 s40, s13, s3
	s_mul_i32 s8, s8, s5
	s_ashr_i32 s41, s40, 31
	s_mul_hi_i32 s13, s12, s5
	s_lshl_b64 s[40:41], s[40:41], 2
	s_mul_i32 s12, s12, s5
	s_add_u32 s42, s4, s40
	s_addc_u32 s43, s36, s41
	s_or_b32 s19, s34, 0xc0
	s_delay_alu instid0(SALU_CYCLE_1)
	s_ashr_i32 s21, s19, 4
	s_cmp_lt_i32 s19, s33
	s_mul_hi_i32 s19, s18, s5
	s_cselect_b32 s40, s21, s3
	s_mul_i32 s18, s18, s5
	s_ashr_i32 s41, s40, 31
	s_mul_hi_i32 s21, s20, s5
	s_lshl_b64 s[40:41], s[40:41], 2
	s_mul_i32 s20, s20, s5
	s_add_u32 s44, s4, s40
	s_load_b32 s40, s[28:29], 0x0
	s_addc_u32 s45, s36, s41
	s_or_b32 s37, s34, 0xd0
	s_load_b32 s41, s[22:23], 0x0
	s_ashr_i32 s22, s37, 4
	s_cmp_lt_i32 s37, s33
	s_mul_hi_i32 s23, s15, s5
	s_cselect_b32 s24, s22, s3
	s_mul_i32 s22, s15, s5
	s_ashr_i32 s25, s24, 31
	s_waitcnt lgkmcnt(0)
	s_mul_hi_i32 s27, s46, s5
	s_lshl_b64 s[24:25], s[24:25], 2
	s_mul_i32 s26, s46, s5
	s_add_u32 s24, s4, s24
	s_addc_u32 s25, s36, s25
	s_or_b32 s48, s34, 0xe0
	s_clause 0x2
	s_load_b32 s38, s[42:43], 0x0
	s_load_b32 s37, s[44:45], 0x0
	;; [unrolled: 1-line block ×3, first 2 shown]
	s_ashr_i32 s49, s48, 4
	s_cmp_lt_i32 s48, s33
	s_mul_hi_i32 s29, s47, s5
	s_cselect_b32 s42, s49, s3
	s_mul_i32 s28, s47, s5
	s_ashr_i32 s43, s42, 31
	s_mul_hi_i32 s25, s41, s5
	s_lshl_b64 s[42:43], s[42:43], 2
	s_mul_i32 s24, s41, s5
	s_add_u32 s42, s4, s42
	s_addc_u32 s43, s36, s43
	s_or_b32 s46, s34, 0xf0
	s_mul_hi_i32 s41, s40, s5
	s_ashr_i32 s47, s46, 4
	s_cmp_lt_i32 s46, s33
	s_mul_i32 s40, s40, s5
	s_cselect_b32 s46, s47, s3
	s_mul_hi_i32 s45, s39, s5
	s_ashr_i32 s47, s46, 31
	s_mul_i32 s44, s39, s5
	s_lshl_b64 s[46:47], s[46:47], 2
	s_waitcnt lgkmcnt(0)
	s_mul_hi_i32 s39, s38, s5
	s_add_u32 s46, s4, s46
	s_addc_u32 s47, s36, s47
	s_add_u32 s3, s10, s6
	s_addc_u32 s4, s11, s7
	v_add_co_u32 v195, s3, s3, v21
	s_delay_alu instid0(VALU_DEP_1) | instskip(SKIP_2) | instid1(VALU_DEP_2)
	v_add_co_ci_u32_e64 v196, null, s4, 0, s3
	s_lshl_b64 s[6:7], s[8:9], 1
	s_lshl_b64 s[8:9], s[12:13], 1
	v_add_co_u32 v17, vcc_lo, v195, s6
	s_delay_alu instid0(VALU_DEP_2)
	v_add_co_ci_u32_e32 v18, vcc_lo, s7, v196, vcc_lo
	v_add_co_u32 v19, vcc_lo, v195, s8
	s_lshl_b64 s[10:11], s[16:17], 1
	v_add_co_ci_u32_e32 v20, vcc_lo, s9, v196, vcc_lo
	v_add_co_u32 v21, vcc_lo, v195, s10
	s_lshl_b64 s[12:13], s[18:19], 1
	;; [unrolled: 3-line block ×9, first 2 shown]
	s_mul_i32 s38, s38, s5
	v_add_co_ci_u32_e32 v54, vcc_lo, s27, v196, vcc_lo
	v_add_co_u32 v183, vcc_lo, v195, s28
	s_mul_hi_i32 s49, s37, s5
	s_mul_i32 s48, s37, s5
	s_lshl_b64 s[36:37], s[38:39], 1
	v_add_co_ci_u32_e32 v184, vcc_lo, s29, v196, vcc_lo
	v_add_co_u32 v185, vcc_lo, v195, s36
	s_lshl_b64 s[38:39], s[48:49], 1
	s_clause 0x1
	s_load_b32 s3, s[42:43], 0x0
	s_load_b32 s4, s[46:47], 0x0
	v_add_co_ci_u32_e32 v186, vcc_lo, s37, v196, vcc_lo
	v_add_co_u32 v191, vcc_lo, v195, s38
	v_add_co_ci_u32_e32 v192, vcc_lo, s39, v196, vcc_lo
	s_clause 0x17
	global_load_b128 v[121:124], v[17:18], off
	global_load_b128 v[125:128], v[17:18], off offset:16
	global_load_b128 v[113:116], v[19:20], off
	global_load_b128 v[117:120], v[19:20], off offset:16
	;; [unrolled: 2-line block ×12, first 2 shown]
	s_mul_hi_i32 s51, s15, s5
	s_mul_i32 s50, s15, s5
	s_delay_alu instid0(SALU_CYCLE_1) | instskip(NEXT) | instid1(SALU_CYCLE_1)
	s_lshl_b64 s[40:41], s[50:51], 1
	v_add_co_u32 v193, vcc_lo, v195, s40
	v_add_co_ci_u32_e32 v194, vcc_lo, s41, v196, vcc_lo
	s_waitcnt lgkmcnt(0)
	s_mul_hi_i32 s7, s3, s5
	s_mul_i32 s6, s3, s5
	s_mul_hi_i32 s9, s4, s5
	s_lshl_b64 s[6:7], s[6:7], 1
	s_mul_i32 s8, s4, s5
	s_delay_alu instid0(SALU_CYCLE_1)
	s_lshl_b64 s[4:5], s[8:9], 1
	s_waitcnt vmcnt(38)
	v_wmma_f32_16x16x16_bf16 v[183:190], v[1:8], v[159:166], v[129:136]
	s_waitcnt vmcnt(36)
	v_wmma_f32_16x16x16_bf16 v[129:136], v[137:144], v[159:166], v[129:136]
	s_clause 0x1
	global_load_b128 v[1:4], v[191:192], off
	global_load_b128 v[5:8], v[191:192], off offset:16
	ds_load_b128 v[137:140], v197 offset:2048
	ds_load_b128 v[141:144], v197 offset:3072
	;; [unrolled: 1-line block ×4, first 2 shown]
	v_add_co_u32 v191, vcc_lo, v195, s6
	v_add_co_ci_u32_e32 v192, vcc_lo, s7, v196, vcc_lo
	v_add_co_u32 v195, vcc_lo, v195, s4
	v_add_co_ci_u32_e32 v196, vcc_lo, s5, v196, vcc_lo
	s_waitcnt vmcnt(36) lgkmcnt(2)
	v_wmma_f32_16x16x16_bf16 v[183:190], v[33:40], v[137:144], v[183:190]
	s_waitcnt vmcnt(34)
	v_wmma_f32_16x16x16_bf16 v[129:136], v[25:32], v[137:144], v[129:136]
	s_clause 0x3
	global_load_b128 v[25:28], v[193:194], off
	global_load_b128 v[29:32], v[193:194], off offset:16
	global_load_b128 v[33:36], v[191:192], off
	global_load_b128 v[37:40], v[191:192], off offset:16
	v_and_b32_e32 v137, 0xe0, v0
	v_mbcnt_lo_u32_b32 v191, -1, 0
	s_waitcnt vmcnt(36) lgkmcnt(0)
	v_wmma_f32_16x16x16_bf16 v[183:190], v[9:16], v[159:166], v[183:190]
	s_clause 0x1
	global_load_b128 v[9:12], v[195:196], off
	global_load_b128 v[13:16], v[195:196], off offset:16
	s_waitcnt vmcnt(36)
	v_wmma_f32_16x16x16_bf16 v[129:136], v[151:158], v[159:166], v[129:136]
	v_add_nc_u32_e32 v192, s34, v137
	ds_load_b128 v[137:140], v197 offset:6144
	ds_load_b128 v[141:144], v197 offset:7168
	v_xor_b32_e32 v151, 16, v191
	s_waitcnt vmcnt(0) lgkmcnt(0)
	s_barrier
	v_or_b32_e32 v152, v192, v147
	buffer_gl0_inv
	v_cmp_gt_i32_e32 vcc_lo, 32, v151
	v_or_b32_e32 v153, 2, v152
	v_or_b32_e32 v154, 4, v152
	;; [unrolled: 1-line block ×5, first 2 shown]
	v_cmp_gt_i32_e64 s3, s33, v153
	v_cmp_gt_i32_e64 s4, s33, v154
	;; [unrolled: 1-line block ×3, first 2 shown]
	v_or_b32_e32 v158, 12, v152
	v_or_b32_e32 v159, 14, v152
	v_cmp_gt_i32_e64 s6, s33, v156
	v_wmma_f32_16x16x16_bf16 v[183:190], v[167:174], v[137:144], v[183:190]
	v_wmma_f32_16x16x16_bf16 v[129:136], v[175:182], v[137:144], v[129:136]
	v_cndmask_b32_e32 v151, v191, v151, vcc_lo
	v_cmp_gt_i32_e32 vcc_lo, s33, v152
	v_cmp_gt_i32_e64 s7, s33, v157
	v_dual_mul_f32 v143, s35, v184 :: v_dual_mul_f32 v144, s35, v183
	v_dual_mul_f32 v141, s35, v186 :: v_dual_mul_f32 v142, s35, v185
	;; [unrolled: 1-line block ×3, first 2 shown]
	s_delay_alu instid0(VALU_DEP_3) | instskip(NEXT) | instid1(VALU_DEP_4)
	v_cndmask_b32_e32 v144, 0xff7fffff, v144, vcc_lo
	v_cndmask_b32_e64 v143, 0xff7fffff, v143, s3
	v_mul_f32_e32 v140, s35, v187
	v_cndmask_b32_e64 v142, 0xff7fffff, v142, s4
	v_cndmask_b32_e64 v141, 0xff7fffff, v141, s5
	v_or_b32_e32 v160, 16, v152
	v_max3_f32 v143, v144, 0xff7fffff, v143
	v_or_b32_e32 v161, 18, v152
	v_mul_f32_e32 v138, s35, v189
	v_dual_mul_f32 v172, s35, v132 :: v_dual_mul_f32 v137, s35, v190
	v_lshlrev_b32_e32 v154, 2, v151
	v_cndmask_b32_e64 v140, 0xff7fffff, v140, s6
	v_cndmask_b32_e64 v139, 0xff7fffff, v139, s7
	v_max3_f32 v141, v143, v142, v141
	v_cmp_gt_i32_e64 s8, s33, v158
	v_cmp_gt_i32_e64 s9, s33, v159
	v_or_b32_e32 v162, 20, v152
	v_or_b32_e32 v163, 22, v152
	v_mul_f32_e32 v175, s35, v129
	v_cndmask_b32_e64 v138, 0xff7fffff, v138, s8
	v_cndmask_b32_e64 v137, 0xff7fffff, v137, s9
	v_max3_f32 v139, v141, v140, v139
	v_cmp_gt_i32_e64 s10, s33, v160
	v_cmp_gt_i32_e64 s11, s33, v161
	v_or_b32_e32 v164, 24, v152
	v_or_b32_e32 v165, 26, v152
	v_mul_f32_e32 v173, s35, v131
	v_cndmask_b32_e64 v140, 0xff7fffff, v175, s10
	v_cndmask_b32_e64 v141, 0xff7fffff, v174, s11
	v_max3_f32 v137, v139, v138, v137
	v_cmp_gt_i32_e64 s12, s33, v162
	v_cmp_gt_i32_e64 s13, s33, v163
	v_or_b32_e32 v166, 28, v152
	v_or_b32_e32 v167, 30, v152
	v_dual_mul_f32 v170, s35, v134 :: v_dual_mul_f32 v171, s35, v133
	v_cndmask_b32_e64 v138, 0xff7fffff, v173, s12
	v_cndmask_b32_e64 v139, 0xff7fffff, v172, s13
	v_max3_f32 v137, v137, v140, v141
	v_cmp_gt_i32_e64 s15, s33, v164
	v_cmp_gt_i32_e64 s16, s33, v165
	v_dual_mul_f32 v168, s35, v136 :: v_dual_mul_f32 v169, s35, v135
	s_delay_alu instid0(VALU_DEP_4) | instskip(NEXT) | instid1(VALU_DEP_4)
	v_max3_f32 v137, v137, v138, v139
	v_cndmask_b32_e64 v140, 0xff7fffff, v171, s15
	s_delay_alu instid0(VALU_DEP_4) | instskip(SKIP_2) | instid1(VALU_DEP_3)
	v_cndmask_b32_e64 v141, 0xff7fffff, v170, s16
	v_cmp_gt_i32_e64 s17, s33, v166
	v_cmp_gt_i32_e64 s18, s33, v167
	v_max3_f32 v137, v137, v140, v141
	s_delay_alu instid0(VALU_DEP_3) | instskip(NEXT) | instid1(VALU_DEP_3)
	v_cndmask_b32_e64 v138, 0xff7fffff, v169, s17
	v_cndmask_b32_e64 v139, 0xff7fffff, v168, s18
	s_delay_alu instid0(VALU_DEP_1) | instskip(SKIP_3) | instid1(VALU_DEP_1)
	v_max3_f32 v137, v137, v138, v139
	ds_bpermute_b32 v138, v154, v137
	s_waitcnt lgkmcnt(0)
	v_max_f32_e32 v138, v138, v138
	v_max_f32_e32 v139, v137, v138
	s_delay_alu instid0(VALU_DEP_1) | instskip(SKIP_4) | instid1(VALU_DEP_4)
	v_fma_f32 v141, s35, v186, -v139
	v_fma_f32 v130, s35, v130, -v139
	;; [unrolled: 1-line block ×5, first 2 shown]
	v_dual_mul_f32 v141, 0x3fb8aa3b, v141 :: v_dual_mul_f32 v130, 0x3fb8aa3b, v130
	v_fma_f32 v142, s35, v187, -v139
	s_delay_alu instid0(VALU_DEP_4) | instskip(NEXT) | instid1(VALU_DEP_4)
	v_mul_f32_e32 v138, 0x3fb8aa3b, v138
	v_mul_f32_e32 v140, 0x3fb8aa3b, v140
	s_delay_alu instid0(VALU_DEP_4)
	v_exp_f32_e32 v144, v141
	v_fma_f32 v151, s35, v189, -v139
	v_mul_f32_e32 v142, 0x3fb8aa3b, v142
	v_exp_f32_e32 v138, v138
	v_exp_f32_e32 v143, v140
	v_fma_f32 v132, s35, v132, -v139
	v_mul_f32_e32 v151, 0x3fb8aa3b, v151
	v_exp_f32_e32 v152, v142
	v_fma_f32 v129, s35, v129, -v139
	v_fma_f32 v134, s35, v134, -v139
	v_cndmask_b32_e64 v144, 0, v144, s5
	v_dual_mul_f32 v137, 0x3fb8aa3b, v137 :: v_dual_mul_f32 v132, 0x3fb8aa3b, v132
	s_delay_alu instid0(TRANS32_DEP_3) | instskip(NEXT) | instid1(TRANS32_DEP_2)
	v_cndmask_b32_e64 v141, 0, v138, s3
	v_cndmask_b32_e64 v142, 0, v143, s4
	v_fma_f32 v143, s35, v190, -v139
	s_delay_alu instid0(VALU_DEP_4)
	v_exp_f32_e32 v137, v137
	v_exp_f32_e32 v153, v151
	v_cndmask_b32_e64 v151, 0, v152, s6
	v_mul_f32_e32 v129, 0x3fb8aa3b, v129
	v_dual_mul_f32 v143, 0x3fb8aa3b, v143 :: v_dual_mul_f32 v134, 0x3fb8aa3b, v134
	v_fma_f32 v131, s35, v131, -v139
	v_exp_f32_e32 v130, v130
	s_delay_alu instid0(VALU_DEP_3) | instskip(NEXT) | instid1(VALU_DEP_2)
	v_exp_f32_e32 v129, v129
	v_exp_f32_e32 v155, v143
	v_cndmask_b32_e32 v140, 0, v137, vcc_lo
	v_fma_f32 v137, s35, v188, -v139
	v_cndmask_b32_e64 v143, 0, v153, s8
	v_mul_f32_e32 v131, 0x3fb8aa3b, v131
	v_fma_f32 v133, s35, v133, -v139
	s_delay_alu instid0(VALU_DEP_4) | instskip(SKIP_2) | instid1(TRANS32_DEP_1)
	v_dual_add_f32 v138, 0, v140 :: v_dual_mul_f32 v137, 0x3fb8aa3b, v137
	v_fma_f32 v136, s35, v136, -v139
	s_mov_b32 s3, exec_lo
	v_cndmask_b32_e64 v153, 0, v155, s9
	s_delay_alu instid0(VALU_DEP_3) | instskip(SKIP_1) | instid1(VALU_DEP_1)
	v_add_f32_e32 v138, v138, v141
	v_exp_f32_e32 v137, v137
	v_dual_mul_f32 v133, 0x3fb8aa3b, v133 :: v_dual_add_f32 v138, v138, v142
	s_delay_alu instid0(VALU_DEP_1)
	v_add_f32_e32 v138, v138, v144
	s_waitcnt_depctr 0xfff
	v_cndmask_b32_e64 v152, 0, v137, s7
	v_add_f32_e32 v137, v138, v151
	v_exp_f32_e32 v138, v131
	v_cndmask_b32_e64 v131, 0, v129, s10
	s_delay_alu instid0(VALU_DEP_2) | instskip(NEXT) | instid1(VALU_DEP_1)
	v_add_f32_e32 v137, v137, v152
	v_add_f32_e32 v137, v137, v143
	s_delay_alu instid0(VALU_DEP_1)
	v_add_f32_e32 v129, v137, v153
	v_exp_f32_e32 v137, v132
	v_cndmask_b32_e64 v132, 0, v130, s11
	v_fma_f32 v130, s35, v135, -v139
	v_exp_f32_e32 v135, v133
	v_add_f32_e32 v129, v129, v131
	v_cndmask_b32_e64 v133, 0, v138, s12
	v_exp_f32_e32 v138, v134
	s_delay_alu instid0(VALU_DEP_2) | instskip(NEXT) | instid1(TRANS32_DEP_3)
	v_dual_mul_f32 v130, 0x3fb8aa3b, v130 :: v_dual_add_f32 v129, v129, v132
	v_cndmask_b32_e64 v134, 0, v137, s13
	v_mul_f32_e32 v137, 0x3fb8aa3b, v136
	s_delay_alu instid0(VALU_DEP_3) | instskip(NEXT) | instid1(TRANS32_DEP_3)
	v_exp_f32_e32 v130, v130
	v_cndmask_b32_e64 v135, 0, v135, s15
	v_add_f32_e32 v129, v129, v133
	s_delay_alu instid0(TRANS32_DEP_2) | instskip(SKIP_1) | instid1(VALU_DEP_2)
	v_cndmask_b32_e64 v136, 0, v138, s16
	v_exp_f32_e32 v138, v137
	v_add_f32_e32 v129, v129, v134
	s_waitcnt_depctr 0xfff
	v_cndmask_b32_e64 v137, 0, v130, s17
	v_add_f32_e32 v129, v129, v135
	v_cndmask_b32_e64 v138, 0, v138, s18
	s_delay_alu instid0(VALU_DEP_2) | instskip(NEXT) | instid1(VALU_DEP_1)
	v_add_f32_e32 v129, v129, v136
	v_add_f32_e32 v129, v129, v137
	s_delay_alu instid0(VALU_DEP_1)
	v_add_f32_e32 v129, v129, v138
	ds_bpermute_b32 v130, v154, v129
	v_cmpx_gt_u32_e32 16, v150
	s_cbranch_execz .LBB469_12
; %bb.11:
	v_mul_u32_u24_e32 v150, 0x44, v148
	s_waitcnt lgkmcnt(0)
	v_add_f32_e32 v129, v129, v130
	s_delay_alu instid0(VALU_DEP_2) | instskip(NEXT) | instid1(VALU_DEP_1)
	v_lshl_add_u32 v150, v149, 2, v150
	v_add_nc_u32_e32 v130, 0x4000, v150
	ds_store_2addr_b32 v130, v139, v129 offset1:136
.LBB469_12:
	s_or_b32 exec_lo, exec_lo, s3
	v_lshlrev_b32_e32 v129, 2, v149
	s_waitcnt lgkmcnt(0)
	s_barrier
	buffer_gl0_inv
	v_cmp_eq_u32_e64 s3, 1, v148
	v_add_nc_u32_e32 v139, 0x4000, v129
	ds_load_2addr_b32 v[154:155], v139 offset1:17
	ds_load_2addr_b32 v[156:157], v139 offset0:34 offset1:51
	ds_load_2addr_b32 v[158:159], v139 offset0:68 offset1:85
	;; [unrolled: 1-line block ×4, first 2 shown]
	s_waitcnt lgkmcnt(4)
	v_max3_f32 v129, v154, 0xff7fffff, v155
	s_waitcnt lgkmcnt(3)
	s_delay_alu instid0(VALU_DEP_1) | instskip(SKIP_1) | instid1(VALU_DEP_1)
	v_max3_f32 v129, v129, v156, v157
	s_waitcnt lgkmcnt(2)
	v_max3_f32 v129, v129, v158, v159
	s_waitcnt lgkmcnt(1)
	s_delay_alu instid0(VALU_DEP_1) | instskip(NEXT) | instid1(VALU_DEP_1)
	v_max3_f32 v129, v129, v160, v161
	v_sub_f32_e32 v156, v156, v129
	v_sub_f32_e32 v130, v154, v129
	;; [unrolled: 1-line block ×3, first 2 shown]
	s_delay_alu instid0(VALU_DEP_3) | instskip(NEXT) | instid1(VALU_DEP_3)
	v_dual_sub_f32 v150, v155, v129 :: v_dual_mul_f32 v165, 0x3fb8aa3b, v156
	v_mul_f32_e32 v130, 0x3fb8aa3b, v130
	s_delay_alu instid0(VALU_DEP_3) | instskip(NEXT) | instid1(VALU_DEP_3)
	v_mul_f32_e32 v167, 0x3fb8aa3b, v158
	v_mul_f32_e32 v150, 0x3fb8aa3b, v150
	s_delay_alu instid0(VALU_DEP_4) | instskip(NEXT) | instid1(VALU_DEP_3)
	v_exp_f32_e32 v165, v165
	v_exp_f32_e32 v164, v130
	v_sub_f32_e32 v130, v157, v129
	s_delay_alu instid0(VALU_DEP_2) | instskip(NEXT) | instid1(VALU_DEP_1)
	v_exp_f32_e32 v150, v150
	v_mul_f32_e32 v166, 0x3fb8aa3b, v130
	s_waitcnt lgkmcnt(0)
	s_waitcnt_depctr 0xfff
	v_fma_f32 v130, v164, v162, 0
	v_sub_f32_e32 v162, v159, v129
	v_exp_f32_e32 v166, v166
	s_delay_alu instid0(VALU_DEP_2)
	v_fmac_f32_e32 v130, v150, v163
	ds_load_2addr_b32 v[154:155], v139 offset0:170 offset1:187
	ds_load_2addr_b32 v[156:157], v139 offset0:204 offset1:221
	;; [unrolled: 1-line block ×3, first 2 shown]
	v_dual_sub_f32 v139, v160, v129 :: v_dual_mul_f32 v160, 0x3fb8aa3b, v162
	v_exp_f32_e32 v162, v167
	v_cndmask_b32_e64 v150, v164, v150, s3
	v_cmp_eq_u32_e64 s3, 2, v148
	s_delay_alu instid0(VALU_DEP_3)
	v_mul_f32_e32 v139, 0x3fb8aa3b, v139
	v_exp_f32_e32 v160, v160
	s_waitcnt lgkmcnt(0)
	s_barrier
	v_cndmask_b32_e64 v150, v150, v165, s3
	v_exp_f32_e32 v139, v139
	v_cmp_eq_u32_e64 s3, 3, v148
	buffer_gl0_inv
	v_cndmask_b32_e64 v150, v150, v166, s3
	v_fmac_f32_e32 v130, v165, v154
	v_sub_f32_e32 v154, v161, v129
	v_cmp_eq_u32_e64 s3, 4, v148
	s_delay_alu instid0(VALU_DEP_2) | instskip(NEXT) | instid1(VALU_DEP_2)
	v_mul_f32_e32 v154, 0x3fb8aa3b, v154
	v_cndmask_b32_e64 v150, v150, v162, s3
	v_cmp_eq_u32_e64 s3, 5, v148
	s_delay_alu instid0(VALU_DEP_3) | instskip(SKIP_1) | instid1(VALU_DEP_2)
	v_exp_f32_e32 v154, v154
	v_fmac_f32_e32 v130, v166, v155
	v_cndmask_b32_e64 v150, v150, v160, s3
	s_mov_b32 s3, exec_lo
	s_delay_alu instid0(VALU_DEP_2) | instskip(NEXT) | instid1(VALU_DEP_1)
	v_fmac_f32_e32 v130, v162, v156
	v_fmac_f32_e32 v130, v160, v157
	s_delay_alu instid0(VALU_DEP_1) | instskip(SKIP_2) | instid1(VALU_DEP_1)
	v_fmac_f32_e32 v130, v139, v158
	s_waitcnt_depctr 0xfff
	v_fmac_f32_e32 v130, v154, v159
	v_add_f32_e32 v155, 0x358637bd, v130
	s_delay_alu instid0(VALU_DEP_1) | instskip(SKIP_1) | instid1(VALU_DEP_2)
	v_div_scale_f32 v156, null, v155, v155, 1.0
	v_div_scale_f32 v159, vcc_lo, 1.0, v155, 1.0
	v_rcp_f32_e32 v157, v156
	s_waitcnt_depctr 0xfff
	v_fma_f32 v158, -v156, v157, 1.0
	s_delay_alu instid0(VALU_DEP_1) | instskip(NEXT) | instid1(VALU_DEP_1)
	v_fmac_f32_e32 v157, v158, v157
	v_mul_f32_e32 v158, v159, v157
	s_delay_alu instid0(VALU_DEP_1) | instskip(NEXT) | instid1(VALU_DEP_1)
	v_fma_f32 v161, -v156, v158, v159
	v_fmac_f32_e32 v158, v161, v157
	s_delay_alu instid0(VALU_DEP_1) | instskip(NEXT) | instid1(VALU_DEP_1)
	v_fma_f32 v156, -v156, v158, v159
	v_div_fmas_f32 v156, v156, v157, v158
	v_cmp_eq_u32_e32 vcc_lo, 6, v148
	v_cndmask_b32_e32 v139, v150, v139, vcc_lo
	v_cmp_eq_u32_e32 vcc_lo, 7, v148
	s_delay_alu instid0(VALU_DEP_4) | instskip(NEXT) | instid1(VALU_DEP_3)
	v_div_fixup_f32 v150, v156, v155, 1.0
	v_cndmask_b32_e32 v139, v139, v154, vcc_lo
	s_delay_alu instid0(VALU_DEP_1) | instskip(NEXT) | instid1(VALU_DEP_1)
	v_mul_f32_e32 v139, v139, v150
	v_mul_f32_e32 v154, v139, v140
	;; [unrolled: 1-line block ×7, first 2 shown]
	v_and_b32_e32 v155, 0x7f800000, v154
	v_mul_f32_e32 v153, v139, v144
	v_mul_f32_e32 v144, v139, v141
                                        ; implicit-def: $vgpr141
	s_delay_alu instid0(VALU_DEP_3)
	v_cmpx_ne_u32_e32 0x7f800000, v155
	s_xor_b32 s3, exec_lo, s3
; %bb.13:
	v_bfe_u32 v141, v154, 16, 1
	s_delay_alu instid0(VALU_DEP_1)
	v_add3_u32 v141, v154, v141, 0x7fff
                                        ; implicit-def: $vgpr154
; %bb.14:
	s_and_not1_saveexec_b32 s3, s3
; %bb.15:
	v_and_b32_e32 v141, 0xffff, v154
	v_or_b32_e32 v142, 0x10000, v154
	s_delay_alu instid0(VALU_DEP_2) | instskip(NEXT) | instid1(VALU_DEP_2)
	v_cmp_eq_u32_e32 vcc_lo, 0, v141
	v_cndmask_b32_e32 v141, v142, v154, vcc_lo
; %bb.16:
	s_or_b32 exec_lo, exec_lo, s3
	v_and_b32_e32 v142, 0x7f800000, v144
	s_delay_alu instid0(VALU_DEP_1) | instskip(SKIP_1) | instid1(SALU_CYCLE_1)
	v_cmp_ne_u32_e32 vcc_lo, 0x7f800000, v142
                                        ; implicit-def: $vgpr142
	s_and_saveexec_b32 s3, vcc_lo
	s_xor_b32 s3, exec_lo, s3
; %bb.17:
	v_bfe_u32 v142, v144, 16, 1
	s_delay_alu instid0(VALU_DEP_1)
	v_add3_u32 v142, v144, v142, 0x7fff
                                        ; implicit-def: $vgpr144
; %bb.18:
	s_and_not1_saveexec_b32 s3, s3
; %bb.19:
	v_and_b32_e32 v142, 0xffff, v144
	v_or_b32_e32 v154, 0x10000, v144
	s_delay_alu instid0(VALU_DEP_2) | instskip(NEXT) | instid1(VALU_DEP_2)
	v_cmp_eq_u32_e32 vcc_lo, 0, v142
	v_cndmask_b32_e32 v142, v154, v144, vcc_lo
; %bb.20:
	s_or_b32 exec_lo, exec_lo, s3
	v_and_b32_e32 v144, 0x7f800000, v151
	s_delay_alu instid0(VALU_DEP_1) | instskip(SKIP_1) | instid1(SALU_CYCLE_1)
	v_cmp_ne_u32_e32 vcc_lo, 0x7f800000, v144
                                        ; implicit-def: $vgpr144
	s_and_saveexec_b32 s3, vcc_lo
	s_xor_b32 s3, exec_lo, s3
; %bb.21:
	v_bfe_u32 v144, v151, 16, 1
	s_delay_alu instid0(VALU_DEP_1)
	v_add3_u32 v144, v151, v144, 0x7fff
                                        ; implicit-def: $vgpr151
; %bb.22:
	s_and_not1_saveexec_b32 s3, s3
; %bb.23:
	v_and_b32_e32 v144, 0xffff, v151
	v_or_b32_e32 v154, 0x10000, v151
	s_delay_alu instid0(VALU_DEP_2) | instskip(NEXT) | instid1(VALU_DEP_2)
	v_cmp_eq_u32_e32 vcc_lo, 0, v144
	v_cndmask_b32_e32 v144, v154, v151, vcc_lo
; %bb.24:
	s_or_b32 exec_lo, exec_lo, s3
	v_and_b32_e32 v151, 0x7f800000, v153
	s_delay_alu instid0(VALU_DEP_1) | instskip(SKIP_1) | instid1(SALU_CYCLE_1)
	v_cmp_ne_u32_e32 vcc_lo, 0x7f800000, v151
                                        ; implicit-def: $vgpr151
	s_and_saveexec_b32 s3, vcc_lo
	s_xor_b32 s3, exec_lo, s3
; %bb.25:
	v_bfe_u32 v151, v153, 16, 1
	s_delay_alu instid0(VALU_DEP_1)
	v_add3_u32 v151, v153, v151, 0x7fff
                                        ; implicit-def: $vgpr153
; %bb.26:
	s_and_not1_saveexec_b32 s3, s3
; %bb.27:
	v_and_b32_e32 v151, 0xffff, v153
	v_or_b32_e32 v154, 0x10000, v153
	s_delay_alu instid0(VALU_DEP_2) | instskip(NEXT) | instid1(VALU_DEP_2)
	v_cmp_eq_u32_e32 vcc_lo, 0, v151
	v_cndmask_b32_e32 v151, v154, v153, vcc_lo
; %bb.28:
	s_or_b32 exec_lo, exec_lo, s3
	v_and_b32_e32 v153, 0x7f800000, v152
	s_delay_alu instid0(VALU_DEP_1) | instskip(SKIP_1) | instid1(SALU_CYCLE_1)
	v_cmp_ne_u32_e32 vcc_lo, 0x7f800000, v153
                                        ; implicit-def: $vgpr153
	s_and_saveexec_b32 s3, vcc_lo
	s_xor_b32 s3, exec_lo, s3
; %bb.29:
	v_bfe_u32 v153, v152, 16, 1
	s_delay_alu instid0(VALU_DEP_1)
	v_add3_u32 v153, v152, v153, 0x7fff
                                        ; implicit-def: $vgpr152
; %bb.30:
	s_and_not1_saveexec_b32 s3, s3
; %bb.31:
	v_and_b32_e32 v153, 0xffff, v152
	v_or_b32_e32 v154, 0x10000, v152
	s_delay_alu instid0(VALU_DEP_2) | instskip(NEXT) | instid1(VALU_DEP_2)
	v_cmp_eq_u32_e32 vcc_lo, 0, v153
	v_cndmask_b32_e32 v153, v154, v152, vcc_lo
; %bb.32:
	s_or_b32 exec_lo, exec_lo, s3
	v_and_b32_e32 v152, 0x7f800000, v150
	s_delay_alu instid0(VALU_DEP_1) | instskip(SKIP_1) | instid1(SALU_CYCLE_1)
	v_cmp_ne_u32_e32 vcc_lo, 0x7f800000, v152
                                        ; implicit-def: $vgpr152
	s_and_saveexec_b32 s3, vcc_lo
	s_xor_b32 s3, exec_lo, s3
; %bb.33:
	v_bfe_u32 v152, v150, 16, 1
	s_delay_alu instid0(VALU_DEP_1)
	v_add3_u32 v152, v150, v152, 0x7fff
                                        ; implicit-def: $vgpr150
; %bb.34:
	s_and_not1_saveexec_b32 s3, s3
; %bb.35:
	v_and_b32_e32 v152, 0xffff, v150
	v_or_b32_e32 v154, 0x10000, v150
	s_delay_alu instid0(VALU_DEP_2) | instskip(NEXT) | instid1(VALU_DEP_2)
	v_cmp_eq_u32_e32 vcc_lo, 0, v152
	v_cndmask_b32_e32 v152, v154, v150, vcc_lo
; %bb.36:
	s_or_b32 exec_lo, exec_lo, s3
	v_and_b32_e32 v150, 0x7f800000, v143
	s_delay_alu instid0(VALU_DEP_1) | instskip(SKIP_1) | instid1(SALU_CYCLE_1)
	v_cmp_ne_u32_e32 vcc_lo, 0x7f800000, v150
                                        ; implicit-def: $vgpr150
	s_and_saveexec_b32 s3, vcc_lo
	s_xor_b32 s3, exec_lo, s3
; %bb.37:
	v_bfe_u32 v150, v143, 16, 1
	s_delay_alu instid0(VALU_DEP_1)
	v_add3_u32 v150, v143, v150, 0x7fff
                                        ; implicit-def: $vgpr143
; %bb.38:
	s_and_not1_saveexec_b32 s3, s3
; %bb.39:
	v_and_b32_e32 v150, 0xffff, v143
	v_or_b32_e32 v154, 0x10000, v143
	s_delay_alu instid0(VALU_DEP_2) | instskip(NEXT) | instid1(VALU_DEP_2)
	v_cmp_eq_u32_e32 vcc_lo, 0, v150
	v_cndmask_b32_e32 v150, v154, v143, vcc_lo
; %bb.40:
	s_or_b32 exec_lo, exec_lo, s3
	v_and_b32_e32 v143, 0x7f800000, v140
	s_delay_alu instid0(VALU_DEP_1) | instskip(SKIP_1) | instid1(SALU_CYCLE_1)
	v_cmp_ne_u32_e32 vcc_lo, 0x7f800000, v143
                                        ; implicit-def: $vgpr143
	s_and_saveexec_b32 s3, vcc_lo
	s_xor_b32 s3, exec_lo, s3
; %bb.41:
	v_bfe_u32 v143, v140, 16, 1
	s_delay_alu instid0(VALU_DEP_1)
	v_add3_u32 v143, v140, v143, 0x7fff
                                        ; implicit-def: $vgpr140
; %bb.42:
	s_and_not1_saveexec_b32 s3, s3
; %bb.43:
	v_and_b32_e32 v143, 0xffff, v140
	v_or_b32_e32 v154, 0x10000, v140
	s_delay_alu instid0(VALU_DEP_2) | instskip(NEXT) | instid1(VALU_DEP_2)
	v_cmp_eq_u32_e32 vcc_lo, 0, v143
	v_cndmask_b32_e32 v143, v154, v140, vcc_lo
; %bb.44:
	s_or_b32 exec_lo, exec_lo, s3
	s_load_b64 s[34:35], s[0:1], 0x94
	v_dual_mul_f32 v138, v139, v138 :: v_dual_lshlrev_b32 v155, 4, v147
	s_delay_alu instid0(VALU_DEP_2)
	v_perm_b32 v154, v143, v150, 0x7060302
	v_dual_mul_f32 v143, v139, v131 :: v_dual_lshlrev_b32 v140, 6, v149
	v_lshlrev_b32_e32 v149, 11, v148
	v_perm_b32 v153, v152, v153, 0x7060302
	v_perm_b32 v152, v151, v144, 0x7060302
	;; [unrolled: 1-line block ×3, first 2 shown]
	v_mul_f32_e32 v142, v139, v133
	v_or3_b32 v131, v155, v149, v140
	v_dual_mul_f32 v137, v139, v137 :: v_dual_and_b32 v144, 0x7f800000, v143
	v_mul_f32_e32 v136, v139, v136
	v_mul_f32_e32 v135, v139, v135
	;; [unrolled: 1-line block ×4, first 2 shown]
	s_mov_b32 s3, exec_lo
	ds_store_b128 v131, v[151:154]
                                        ; implicit-def: $vgpr132
	v_cmpx_ne_u32_e32 0x7f800000, v144
	s_xor_b32 s3, exec_lo, s3
; %bb.45:
	v_bfe_u32 v132, v143, 16, 1
	s_delay_alu instid0(VALU_DEP_1)
	v_add3_u32 v132, v143, v132, 0x7fff
                                        ; implicit-def: $vgpr143
; %bb.46:
	s_and_not1_saveexec_b32 s3, s3
; %bb.47:
	v_and_b32_e32 v132, 0xffff, v143
	v_or_b32_e32 v133, 0x10000, v143
	s_delay_alu instid0(VALU_DEP_2) | instskip(NEXT) | instid1(VALU_DEP_2)
	v_cmp_eq_u32_e32 vcc_lo, 0, v132
	v_cndmask_b32_e32 v132, v133, v143, vcc_lo
; %bb.48:
	s_or_b32 exec_lo, exec_lo, s3
	v_and_b32_e32 v133, 0x7f800000, v134
	s_delay_alu instid0(VALU_DEP_1) | instskip(SKIP_1) | instid1(SALU_CYCLE_1)
	v_cmp_ne_u32_e32 vcc_lo, 0x7f800000, v133
                                        ; implicit-def: $vgpr133
	s_and_saveexec_b32 s3, vcc_lo
	s_xor_b32 s3, exec_lo, s3
; %bb.49:
	v_bfe_u32 v133, v134, 16, 1
	s_delay_alu instid0(VALU_DEP_1)
	v_add3_u32 v133, v134, v133, 0x7fff
                                        ; implicit-def: $vgpr134
; %bb.50:
	s_and_not1_saveexec_b32 s3, s3
; %bb.51:
	v_and_b32_e32 v133, 0xffff, v134
	v_or_b32_e32 v139, 0x10000, v134
	s_delay_alu instid0(VALU_DEP_2) | instskip(NEXT) | instid1(VALU_DEP_2)
	v_cmp_eq_u32_e32 vcc_lo, 0, v133
	v_cndmask_b32_e32 v133, v139, v134, vcc_lo
; %bb.52:
	s_or_b32 exec_lo, exec_lo, s3
	v_and_b32_e32 v134, 0x7f800000, v142
	s_delay_alu instid0(VALU_DEP_1) | instskip(SKIP_1) | instid1(SALU_CYCLE_1)
	v_cmp_ne_u32_e32 vcc_lo, 0x7f800000, v134
                                        ; implicit-def: $vgpr134
	s_and_saveexec_b32 s3, vcc_lo
	s_xor_b32 s3, exec_lo, s3
; %bb.53:
	v_bfe_u32 v134, v142, 16, 1
	s_delay_alu instid0(VALU_DEP_1)
	v_add3_u32 v134, v142, v134, 0x7fff
                                        ; implicit-def: $vgpr142
; %bb.54:
	s_and_not1_saveexec_b32 s3, s3
; %bb.55:
	v_and_b32_e32 v134, 0xffff, v142
	v_or_b32_e32 v139, 0x10000, v142
	s_delay_alu instid0(VALU_DEP_2) | instskip(NEXT) | instid1(VALU_DEP_2)
	v_cmp_eq_u32_e32 vcc_lo, 0, v134
	v_cndmask_b32_e32 v134, v139, v142, vcc_lo
; %bb.56:
	s_or_b32 exec_lo, exec_lo, s3
	v_and_b32_e32 v139, 0x7f800000, v141
	s_delay_alu instid0(VALU_DEP_1) | instskip(SKIP_1) | instid1(SALU_CYCLE_1)
	v_cmp_ne_u32_e32 vcc_lo, 0x7f800000, v139
                                        ; implicit-def: $vgpr139
	s_and_saveexec_b32 s3, vcc_lo
	s_xor_b32 s3, exec_lo, s3
; %bb.57:
	v_bfe_u32 v139, v141, 16, 1
	s_delay_alu instid0(VALU_DEP_1)
	v_add3_u32 v139, v141, v139, 0x7fff
                                        ; implicit-def: $vgpr141
; %bb.58:
	s_and_not1_saveexec_b32 s3, s3
; %bb.59:
	v_and_b32_e32 v139, 0xffff, v141
	v_or_b32_e32 v142, 0x10000, v141
	s_delay_alu instid0(VALU_DEP_2) | instskip(NEXT) | instid1(VALU_DEP_2)
	v_cmp_eq_u32_e32 vcc_lo, 0, v139
	v_cndmask_b32_e32 v139, v142, v141, vcc_lo
; %bb.60:
	s_or_b32 exec_lo, exec_lo, s3
	v_and_b32_e32 v141, 0x7f800000, v135
	s_delay_alu instid0(VALU_DEP_1) | instskip(SKIP_1) | instid1(SALU_CYCLE_1)
	v_cmp_ne_u32_e32 vcc_lo, 0x7f800000, v141
                                        ; implicit-def: $vgpr141
	s_and_saveexec_b32 s3, vcc_lo
	s_xor_b32 s3, exec_lo, s3
; %bb.61:
	v_bfe_u32 v141, v135, 16, 1
	s_delay_alu instid0(VALU_DEP_1)
	v_add3_u32 v141, v135, v141, 0x7fff
                                        ; implicit-def: $vgpr135
; %bb.62:
	s_and_not1_saveexec_b32 s3, s3
; %bb.63:
	v_and_b32_e32 v141, 0xffff, v135
	v_or_b32_e32 v142, 0x10000, v135
	s_delay_alu instid0(VALU_DEP_2) | instskip(NEXT) | instid1(VALU_DEP_2)
	v_cmp_eq_u32_e32 vcc_lo, 0, v141
	v_cndmask_b32_e32 v141, v142, v135, vcc_lo
; %bb.64:
	s_or_b32 exec_lo, exec_lo, s3
	v_and_b32_e32 v135, 0x7f800000, v136
	s_delay_alu instid0(VALU_DEP_1) | instskip(SKIP_1) | instid1(SALU_CYCLE_1)
	v_cmp_ne_u32_e32 vcc_lo, 0x7f800000, v135
                                        ; implicit-def: $vgpr135
	s_and_saveexec_b32 s3, vcc_lo
	s_xor_b32 s3, exec_lo, s3
; %bb.65:
	v_bfe_u32 v135, v136, 16, 1
	s_delay_alu instid0(VALU_DEP_1)
	v_add3_u32 v135, v136, v135, 0x7fff
                                        ; implicit-def: $vgpr136
; %bb.66:
	s_and_not1_saveexec_b32 s3, s3
; %bb.67:
	v_and_b32_e32 v135, 0xffff, v136
	v_or_b32_e32 v142, 0x10000, v136
	s_delay_alu instid0(VALU_DEP_2) | instskip(NEXT) | instid1(VALU_DEP_2)
	v_cmp_eq_u32_e32 vcc_lo, 0, v135
	v_cndmask_b32_e32 v135, v142, v136, vcc_lo
; %bb.68:
	s_or_b32 exec_lo, exec_lo, s3
	v_and_b32_e32 v136, 0x7f800000, v137
	s_delay_alu instid0(VALU_DEP_1) | instskip(SKIP_1) | instid1(SALU_CYCLE_1)
	v_cmp_ne_u32_e32 vcc_lo, 0x7f800000, v136
                                        ; implicit-def: $vgpr136
	s_and_saveexec_b32 s3, vcc_lo
	s_xor_b32 s3, exec_lo, s3
; %bb.69:
	v_bfe_u32 v136, v137, 16, 1
	s_delay_alu instid0(VALU_DEP_1)
	v_add3_u32 v136, v137, v136, 0x7fff
                                        ; implicit-def: $vgpr137
; %bb.70:
	s_and_not1_saveexec_b32 s3, s3
; %bb.71:
	v_and_b32_e32 v136, 0xffff, v137
	v_or_b32_e32 v142, 0x10000, v137
	s_delay_alu instid0(VALU_DEP_2) | instskip(NEXT) | instid1(VALU_DEP_2)
	v_cmp_eq_u32_e32 vcc_lo, 0, v136
	v_cndmask_b32_e32 v136, v142, v137, vcc_lo
; %bb.72:
	s_or_b32 exec_lo, exec_lo, s3
	v_and_b32_e32 v137, 0x7f800000, v138
	s_delay_alu instid0(VALU_DEP_1) | instskip(SKIP_1) | instid1(SALU_CYCLE_1)
	v_cmp_ne_u32_e32 vcc_lo, 0x7f800000, v137
                                        ; implicit-def: $vgpr137
	s_and_saveexec_b32 s3, vcc_lo
	s_xor_b32 s3, exec_lo, s3
; %bb.73:
	v_bfe_u32 v137, v138, 16, 1
	s_delay_alu instid0(VALU_DEP_1)
	v_add3_u32 v137, v138, v137, 0x7fff
                                        ; implicit-def: $vgpr138
; %bb.74:
	s_and_not1_saveexec_b32 s3, s3
; %bb.75:
	v_and_b32_e32 v137, 0xffff, v138
	v_or_b32_e32 v142, 0x10000, v138
	s_delay_alu instid0(VALU_DEP_2) | instskip(NEXT) | instid1(VALU_DEP_2)
	v_cmp_eq_u32_e32 vcc_lo, 0, v137
	v_cndmask_b32_e32 v137, v142, v138, vcc_lo
; %bb.76:
	s_or_b32 exec_lo, exec_lo, s3
	s_delay_alu instid0(VALU_DEP_1)
	v_perm_b32 v136, v137, v136, 0x7060302
	v_perm_b32 v135, v135, v141, 0x7060302
	;; [unrolled: 1-line block ×4, first 2 shown]
	v_lshl_or_b32 v141, v148, 11, v140
	ds_store_b128 v131, v[133:136] offset:1024
	s_waitcnt lgkmcnt(0)
	s_barrier
	buffer_gl0_inv
	ds_load_b128 v[132:135], v141
	ds_load_b128 v[148:151], v141 offset:16
	s_waitcnt lgkmcnt(1)
	v_lshrrev_b32_e32 v160, 16, v134
	v_lshlrev_b32_e32 v138, 2, v147
	v_lshrrev_b32_e32 v136, 16, v132
	v_lshrrev_b32_e32 v144, 16, v133
	s_waitcnt lgkmcnt(0)
	v_lshrrev_b32_e32 v143, 16, v148
	v_lshrrev_b32_e32 v161, 16, v149
	v_or_b32_e32 v139, 1, v138
	v_lshrrev_b32_e32 v163, 16, v150
	v_lshrrev_b32_e32 v164, 16, v151
	v_lshrrev_b32_e32 v162, 16, v135
	s_delay_alu instid0(VALU_DEP_4)
	v_cmp_eq_u32_e64 s7, 1, v139
	v_cmp_eq_u32_e64 s6, 2, v139
	;; [unrolled: 1-line block ×4, first 2 shown]
	v_cmp_eq_u32_e32 vcc_lo, 5, v139
	v_cndmask_b32_e64 v153, v132, v136, s7
	v_cndmask_b32_e64 v154, v148, v143, s7
	v_cmp_eq_u32_e64 s4, 6, v139
	v_cmp_eq_u32_e64 s19, 7, v139
	s_delay_alu instid0(VALU_DEP_4) | instskip(NEXT) | instid1(VALU_DEP_4)
	v_cndmask_b32_e64 v153, v153, v133, s6
	v_cndmask_b32_e64 v154, v154, v149, s6
	s_delay_alu instid0(VALU_DEP_2) | instskip(NEXT) | instid1(VALU_DEP_2)
	v_cndmask_b32_e64 v153, v153, v144, s5
	v_cndmask_b32_e64 v154, v154, v161, s5
	s_delay_alu instid0(VALU_DEP_2) | instskip(NEXT) | instid1(VALU_DEP_2)
	v_cndmask_b32_e64 v153, v153, v134, s3
	v_cndmask_b32_e64 v154, v154, v150, s3
	s_delay_alu instid0(VALU_DEP_2)
	v_cndmask_b32_e32 v153, v153, v160, vcc_lo
	v_cmp_eq_u32_e64 s12, 1, v138
	v_cmp_eq_u32_e64 s11, 2, v138
	;; [unrolled: 1-line block ×3, first 2 shown]
	v_or_b32_e32 v137, 2, v138
	v_cmp_eq_u32_e64 s17, 4, v138
	v_cndmask_b32_e64 v152, v148, v143, s12
	v_cndmask_b32_e64 v142, v132, v136, s12
	v_cmp_eq_u32_e64 s13, 5, v138
	v_cmp_eq_u32_e64 s8, 1, v137
	;; [unrolled: 1-line block ×3, first 2 shown]
	v_cndmask_b32_e64 v152, v152, v149, s11
	v_cndmask_b32_e64 v142, v142, v133, s11
	v_cmp_eq_u32_e64 s10, 2, v137
	v_cndmask_b32_e64 v155, v132, v136, s8
	v_cmp_eq_u32_e64 s9, 7, v138
	v_cndmask_b32_e64 v152, v152, v161, s16
	v_cndmask_b32_e64 v142, v142, v144, s16
	v_cmp_eq_u32_e64 s18, 3, v137
	v_cndmask_b32_e64 v155, v155, v133, s10
	v_cndmask_b32_e64 v153, v153, v135, s4
	;; [unrolled: 1-line block ×4, first 2 shown]
	v_cmp_eq_u32_e64 s20, 4, v137
	v_cndmask_b32_e64 v155, v155, v144, s18
	v_cndmask_b32_e64 v167, v153, v162, s19
	;; [unrolled: 1-line block ×4, first 2 shown]
	v_cndmask_b32_e32 v156, v154, v163, vcc_lo
	v_cndmask_b32_e64 v158, v155, v134, s20
	v_cmp_eq_u32_e64 s22, 5, v137
	v_cndmask_b32_e64 v152, v152, v151, s15
	v_cndmask_b32_e64 v142, v142, v135, s15
	v_cmp_eq_u32_e64 s25, 6, v137
	v_cmp_eq_u32_e64 s27, 7, v137
	v_cndmask_b32_e64 v168, v158, v160, s22
	v_cndmask_b32_e64 v166, v152, v164, s9
	;; [unrolled: 1-line block ×4, first 2 shown]
	v_or_b32_e32 v142, 3, v138
	s_delay_alu instid0(VALU_DEP_3)
	v_cndmask_b32_e64 v157, v152, v149, s10
	ds_load_b128 v[152:155], v141 offset:1024
	v_cmp_eq_u32_e64 s21, 1, v142
	v_cmp_eq_u32_e64 s23, 2, v142
	v_cmp_eq_u32_e64 s24, 3, v142
	v_cndmask_b32_e64 v157, v157, v161, s18
	v_cmp_eq_u32_e64 s26, 4, v142
	v_cndmask_b32_e64 v132, v132, v136, s21
	v_cndmask_b32_e64 v136, v156, v151, s4
	;; [unrolled: 1-line block ×4, first 2 shown]
	ds_load_b128 v[156:159], v141 offset:1040
	v_cndmask_b32_e64 v132, v132, v133, s23
	v_cmp_eq_u32_e64 s28, 5, v142
	v_cndmask_b32_e64 v143, v143, v149, s23
	v_cmp_eq_u32_e64 s29, 6, v142
	v_cndmask_b32_e64 v133, v169, v163, s22
	v_cndmask_b32_e64 v132, v132, v144, s24
	;; [unrolled: 1-line block ×5, first 2 shown]
	s_waitcnt lgkmcnt(1)
	v_lshrrev_b32_e32 v148, 16, v152
	v_cndmask_b32_e64 v132, v132, v134, s26
	v_cndmask_b32_e64 v133, v133, v151, s25
	;; [unrolled: 1-line block ×3, first 2 shown]
	v_lshrrev_b32_e32 v150, 16, v153
	v_cndmask_b32_e64 v143, v152, v148, s12
	v_cndmask_b32_e64 v132, v132, v160, s28
	;; [unrolled: 1-line block ×5, first 2 shown]
	s_waitcnt lgkmcnt(0)
	v_lshrrev_b32_e32 v149, 16, v156
	v_cndmask_b32_e64 v143, v143, v153, s11
	v_cndmask_b32_e64 v132, v132, v135, s29
	;; [unrolled: 1-line block ×3, first 2 shown]
	v_lshrrev_b32_e32 v163, 16, v158
	v_cndmask_b32_e64 v161, v156, v149, s12
	v_cndmask_b32_e64 v135, v143, v150, s16
	;; [unrolled: 1-line block ×3, first 2 shown]
	v_lshrrev_b32_e32 v160, 16, v157
	v_cndmask_b32_e64 v133, v133, v164, s27
	v_cndmask_b32_e64 v151, v161, v157, s11
	v_cmp_eq_u32_e64 s11, 7, v142
	v_cndmask_b32_e64 v143, v143, v150, s5
	v_cndmask_b32_e64 v135, v135, v154, s17
	v_lshrrev_b32_e32 v161, 16, v154
	v_cndmask_b32_e64 v151, v151, v160, s16
	v_cndmask_b32_e64 v132, v132, v162, s11
	;; [unrolled: 1-line block ×6, first 2 shown]
	s_delay_alu instid0(VALU_DEP_4) | instskip(NEXT) | instid1(VALU_DEP_4)
	v_perm_b32 v135, v134, v132, 0x5040100
	v_cndmask_b32_e32 v132, v143, v161, vcc_lo
	s_delay_alu instid0(VALU_DEP_4)
	v_cndmask_b32_e64 v143, v162, v155, s15
	v_lshrrev_b32_e32 v162, 16, v155
	v_cndmask_b32_e64 v151, v151, v163, s13
	v_perm_b32 v134, v133, v144, 0x5040100
	v_cndmask_b32_e64 v132, v132, v155, s4
	v_perm_b32 v133, v136, v167, 0x5040100
	v_cndmask_b32_e64 v136, v143, v162, s9
	v_cndmask_b32_e64 v143, v151, v159, s15
	v_cndmask_b32_e64 v151, v156, v149, s21
	v_cndmask_b32_e64 v164, v132, v162, s19
	v_cndmask_b32_e64 v132, v152, v148, s8
	v_cndmask_b32_e64 v148, v152, v148, s21
	v_cndmask_b32_e64 v152, v156, v149, s8
	v_cndmask_b32_e64 v149, v156, v149, s7
	v_cndmask_b32_e64 v151, v151, v157, s23
	v_cndmask_b32_e64 v132, v132, v153, s10
	v_cndmask_b32_e64 v148, v148, v153, s23
	v_cndmask_b32_e64 v152, v152, v157, s10
	v_cndmask_b32_e64 v149, v149, v157, s6
	v_lshrrev_b32_e32 v144, 16, v159
	v_cndmask_b32_e64 v132, v132, v150, s18
	v_cndmask_b32_e64 v148, v148, v150, s24
	;; [unrolled: 1-line block ×14, first 2 shown]
	v_cndmask_b32_e32 v149, v149, v163, vcc_lo
	v_cndmask_b32_e64 v132, v132, v155, s25
	v_cndmask_b32_e64 v148, v148, v155, s29
	;; [unrolled: 1-line block ×11, first 2 shown]
	v_perm_b32 v132, v166, v165, 0x5040100
	v_perm_b32 v151, v150, v148, 0x5040100
	;; [unrolled: 1-line block ×5, first 2 shown]
	s_lshl_b32 s8, s35, 2
	s_mov_b32 s3, exec_lo
	ds_store_b128 v131, v[132:135]
	ds_store_b128 v131, v[148:151] offset:1024
	v_cmpx_gt_u32_e32 4, v0
	s_cbranch_execz .LBB469_78
; %bb.77:
	v_or_b32_e32 v131, s31, v0
	s_load_b128 s[4:7], s[0:1], 0x58
	s_delay_alu instid0(VALU_DEP_1) | instskip(NEXT) | instid1(VALU_DEP_1)
	v_mad_u64_u32 v[132:133], null, s8, s30, v[131:132]
	v_mad_u64_u32 v[133:134], null, v132, s34, s[14:15]
	s_delay_alu instid0(VALU_DEP_1) | instskip(NEXT) | instid1(VALU_DEP_1)
	v_ashrrev_i32_e32 v134, 31, v133
	v_lshlrev_b64 v[131:132], 2, v[133:134]
	s_waitcnt lgkmcnt(0)
	s_delay_alu instid0(VALU_DEP_1) | instskip(NEXT) | instid1(VALU_DEP_2)
	v_add_co_u32 v133, vcc_lo, s6, v131
	v_add_co_ci_u32_e32 v134, vcc_lo, s7, v132, vcc_lo
	v_add_co_u32 v131, vcc_lo, s4, v131
	v_add_co_ci_u32_e32 v132, vcc_lo, s5, v132, vcc_lo
	global_store_b32 v[133:134], v129, off
	global_store_b32 v[131:132], v130, off
.LBB469_78:
	s_or_b32 exec_lo, exec_lo, s3
	s_waitcnt lgkmcnt(0)
	s_waitcnt_vscnt null, 0x0
	s_barrier
	buffer_gl0_inv
	ds_load_b128 v[148:151], v140
	ds_load_b128 v[152:155], v140 offset:16
	ds_load_b128 v[160:163], v140 offset:1040
	;; [unrolled: 1-line block ×3, first 2 shown]
	v_mov_b32_e32 v129, 0
	ds_load_b128 v[168:171], v140 offset:2064
	ds_load_b128 v[164:167], v140 offset:2048
	;; [unrolled: 1-line block ×6, first 2 shown]
	v_mov_b32_e32 v130, v129
	v_mov_b32_e32 v131, v129
	;; [unrolled: 1-line block ×7, first 2 shown]
	s_waitcnt lgkmcnt(8)
	s_delay_alu instid0(VALU_DEP_1)
	v_wmma_f32_16x16x16_bf16 v[129:136], v[121:128], v[148:155], v[129:136]
	ds_load_b128 v[125:128], v140 offset:5136
	ds_load_b128 v[121:124], v140 offset:5120
	s_waitcnt lgkmcnt(8)
	v_wmma_f32_16x16x16_bf16 v[129:136], v[113:120], v[156:163], v[129:136]
	ds_load_b128 v[117:120], v140 offset:6160
	ds_load_b128 v[113:116], v140 offset:6144
	s_waitcnt lgkmcnt(8)
	;; [unrolled: 4-line block ×8, first 2 shown]
	v_wmma_f32_16x16x16_bf16 v[129:136], v[65:72], v[97:104], v[129:136]
	s_waitcnt lgkmcnt(6)
	s_delay_alu instid0(VALU_DEP_1)
	v_wmma_f32_16x16x16_bf16 v[129:136], v[49:56], v[89:96], v[129:136]
	ds_load_b128 v[53:56], v140 offset:13328
	ds_load_b128 v[49:52], v140 offset:13312
	s_waitcnt lgkmcnt(6)
	v_wmma_f32_16x16x16_bf16 v[129:136], v[41:48], v[81:88], v[129:136]
	ds_load_b128 v[45:48], v140 offset:14352
	ds_load_b128 v[41:44], v140 offset:14336
	s_waitcnt lgkmcnt(6)
	v_wmma_f32_16x16x16_bf16 v[129:136], v[17:24], v[73:80], v[129:136]
	ds_load_b128 v[21:24], v140 offset:15376
	ds_load_b128 v[17:20], v140 offset:15360
	s_waitcnt lgkmcnt(6)
	v_wmma_f32_16x16x16_bf16 v[129:136], v[1:8], v[57:64], v[129:136]
	s_waitcnt lgkmcnt(4)
	s_delay_alu instid0(VALU_DEP_1) | instskip(SKIP_1) | instid1(VALU_DEP_1)
	v_wmma_f32_16x16x16_bf16 v[129:136], v[25:32], v[49:56], v[129:136]
	s_waitcnt lgkmcnt(2)
	v_wmma_f32_16x16x16_bf16 v[129:136], v[33:40], v[41:48], v[129:136]
	s_waitcnt lgkmcnt(0)
	s_delay_alu instid0(VALU_DEP_1) | instskip(NEXT) | instid1(VALU_DEP_1)
	v_wmma_f32_16x16x16_bf16 v[129:136], v[9:16], v[17:24], v[129:136]
	v_and_b32_e32 v1, 0x7f800000, v129
	s_delay_alu instid0(VALU_DEP_1) | instskip(SKIP_1) | instid1(SALU_CYCLE_1)
	v_cmp_ne_u32_e32 vcc_lo, 0x7f800000, v1
                                        ; implicit-def: $vgpr1
	s_and_saveexec_b32 s3, vcc_lo
	s_xor_b32 s3, exec_lo, s3
; %bb.79:
	v_bfe_u32 v1, v129, 16, 1
	s_delay_alu instid0(VALU_DEP_1)
	v_add3_u32 v1, v129, v1, 0x7fff
; %bb.80:
	s_and_not1_saveexec_b32 s3, s3
; %bb.81:
	v_and_b32_e32 v1, 0xffff, v129
	v_or_b32_e32 v2, 0x10000, v129
	s_delay_alu instid0(VALU_DEP_2) | instskip(NEXT) | instid1(VALU_DEP_2)
	v_cmp_eq_u32_e32 vcc_lo, 0, v1
	v_cndmask_b32_e32 v1, v2, v129, vcc_lo
; %bb.82:
	s_or_b32 exec_lo, exec_lo, s3
	v_and_b32_e32 v2, 0x7f800000, v130
	s_delay_alu instid0(VALU_DEP_1) | instskip(SKIP_1) | instid1(SALU_CYCLE_1)
	v_cmp_ne_u32_e32 vcc_lo, 0x7f800000, v2
                                        ; implicit-def: $vgpr2
	s_and_saveexec_b32 s3, vcc_lo
	s_xor_b32 s3, exec_lo, s3
; %bb.83:
	v_bfe_u32 v2, v130, 16, 1
	s_delay_alu instid0(VALU_DEP_1)
	v_add3_u32 v2, v130, v2, 0x7fff
; %bb.84:
	s_and_not1_saveexec_b32 s3, s3
; %bb.85:
	v_and_b32_e32 v2, 0xffff, v130
	v_or_b32_e32 v3, 0x10000, v130
	s_delay_alu instid0(VALU_DEP_2) | instskip(NEXT) | instid1(VALU_DEP_2)
	v_cmp_eq_u32_e32 vcc_lo, 0, v2
	v_cndmask_b32_e32 v2, v3, v130, vcc_lo
; %bb.86:
	s_or_b32 exec_lo, exec_lo, s3
	v_and_b32_e32 v3, 0x7f800000, v131
	s_delay_alu instid0(VALU_DEP_1) | instskip(SKIP_1) | instid1(SALU_CYCLE_1)
	v_cmp_ne_u32_e32 vcc_lo, 0x7f800000, v3
                                        ; implicit-def: $vgpr3
	s_and_saveexec_b32 s3, vcc_lo
	s_xor_b32 s3, exec_lo, s3
; %bb.87:
	v_bfe_u32 v3, v131, 16, 1
	s_delay_alu instid0(VALU_DEP_1)
	v_add3_u32 v3, v131, v3, 0x7fff
; %bb.88:
	s_and_not1_saveexec_b32 s3, s3
; %bb.89:
	v_and_b32_e32 v3, 0xffff, v131
	v_or_b32_e32 v4, 0x10000, v131
	s_delay_alu instid0(VALU_DEP_2) | instskip(NEXT) | instid1(VALU_DEP_2)
	v_cmp_eq_u32_e32 vcc_lo, 0, v3
	v_cndmask_b32_e32 v3, v4, v131, vcc_lo
; %bb.90:
	s_or_b32 exec_lo, exec_lo, s3
	v_and_b32_e32 v4, 0x7f800000, v132
	s_delay_alu instid0(VALU_DEP_1) | instskip(SKIP_1) | instid1(SALU_CYCLE_1)
	v_cmp_ne_u32_e32 vcc_lo, 0x7f800000, v4
                                        ; implicit-def: $vgpr4
	s_and_saveexec_b32 s3, vcc_lo
	s_xor_b32 s3, exec_lo, s3
; %bb.91:
	v_bfe_u32 v4, v132, 16, 1
	s_delay_alu instid0(VALU_DEP_1)
	v_add3_u32 v4, v132, v4, 0x7fff
; %bb.92:
	s_and_not1_saveexec_b32 s3, s3
; %bb.93:
	v_and_b32_e32 v4, 0xffff, v132
	v_or_b32_e32 v5, 0x10000, v132
	s_delay_alu instid0(VALU_DEP_2) | instskip(NEXT) | instid1(VALU_DEP_2)
	v_cmp_eq_u32_e32 vcc_lo, 0, v4
	v_cndmask_b32_e32 v4, v5, v132, vcc_lo
; %bb.94:
	s_or_b32 exec_lo, exec_lo, s3
	v_and_b32_e32 v5, 0x7f800000, v133
	s_delay_alu instid0(VALU_DEP_1) | instskip(SKIP_1) | instid1(SALU_CYCLE_1)
	v_cmp_ne_u32_e32 vcc_lo, 0x7f800000, v5
                                        ; implicit-def: $vgpr5
	s_and_saveexec_b32 s3, vcc_lo
	s_xor_b32 s3, exec_lo, s3
; %bb.95:
	v_bfe_u32 v5, v133, 16, 1
	s_delay_alu instid0(VALU_DEP_1)
	v_add3_u32 v5, v133, v5, 0x7fff
; %bb.96:
	s_and_not1_saveexec_b32 s3, s3
; %bb.97:
	v_and_b32_e32 v5, 0xffff, v133
	v_or_b32_e32 v6, 0x10000, v133
	s_delay_alu instid0(VALU_DEP_2) | instskip(NEXT) | instid1(VALU_DEP_2)
	v_cmp_eq_u32_e32 vcc_lo, 0, v5
	v_cndmask_b32_e32 v5, v6, v133, vcc_lo
; %bb.98:
	s_or_b32 exec_lo, exec_lo, s3
	v_and_b32_e32 v6, 0x7f800000, v134
	s_delay_alu instid0(VALU_DEP_1) | instskip(SKIP_1) | instid1(SALU_CYCLE_1)
	v_cmp_ne_u32_e32 vcc_lo, 0x7f800000, v6
                                        ; implicit-def: $vgpr6
	s_and_saveexec_b32 s3, vcc_lo
	s_xor_b32 s3, exec_lo, s3
; %bb.99:
	v_bfe_u32 v6, v134, 16, 1
	s_delay_alu instid0(VALU_DEP_1)
	v_add3_u32 v6, v134, v6, 0x7fff
; %bb.100:
	s_and_not1_saveexec_b32 s3, s3
; %bb.101:
	v_and_b32_e32 v6, 0xffff, v134
	v_or_b32_e32 v7, 0x10000, v134
	s_delay_alu instid0(VALU_DEP_2) | instskip(NEXT) | instid1(VALU_DEP_2)
	v_cmp_eq_u32_e32 vcc_lo, 0, v6
	v_cndmask_b32_e32 v6, v7, v134, vcc_lo
; %bb.102:
	s_or_b32 exec_lo, exec_lo, s3
	v_and_b32_e32 v7, 0x7f800000, v135
	s_delay_alu instid0(VALU_DEP_1) | instskip(SKIP_1) | instid1(SALU_CYCLE_1)
	v_cmp_ne_u32_e32 vcc_lo, 0x7f800000, v7
                                        ; implicit-def: $vgpr7
	s_and_saveexec_b32 s3, vcc_lo
	s_xor_b32 s3, exec_lo, s3
; %bb.103:
	v_bfe_u32 v7, v135, 16, 1
	s_delay_alu instid0(VALU_DEP_1)
	v_add3_u32 v7, v135, v7, 0x7fff
; %bb.104:
	s_and_not1_saveexec_b32 s3, s3
; %bb.105:
	v_and_b32_e32 v7, 0xffff, v135
	v_or_b32_e32 v8, 0x10000, v135
	s_delay_alu instid0(VALU_DEP_2) | instskip(NEXT) | instid1(VALU_DEP_2)
	v_cmp_eq_u32_e32 vcc_lo, 0, v7
	v_cndmask_b32_e32 v7, v8, v135, vcc_lo
; %bb.106:
	s_or_b32 exec_lo, exec_lo, s3
	v_and_b32_e32 v8, 0x7f800000, v136
	s_delay_alu instid0(VALU_DEP_1) | instskip(SKIP_1) | instid1(SALU_CYCLE_1)
	v_cmp_ne_u32_e32 vcc_lo, 0x7f800000, v8
                                        ; implicit-def: $vgpr8
	s_and_saveexec_b32 s3, vcc_lo
	s_xor_b32 s3, exec_lo, s3
; %bb.107:
	v_bfe_u32 v8, v136, 16, 1
	s_delay_alu instid0(VALU_DEP_1)
	v_add3_u32 v8, v136, v8, 0x7fff
                                        ; implicit-def: $vgpr129_vgpr130_vgpr131_vgpr132_vgpr133_vgpr134_vgpr135_vgpr136
; %bb.108:
	s_and_not1_saveexec_b32 s3, s3
; %bb.109:
	v_and_b32_e32 v8, 0xffff, v136
	v_or_b32_e32 v9, 0x10000, v136
	s_delay_alu instid0(VALU_DEP_2) | instskip(NEXT) | instid1(VALU_DEP_2)
	v_cmp_eq_u32_e32 vcc_lo, 0, v8
	v_cndmask_b32_e32 v8, v9, v136, vcc_lo
; %bb.110:
	s_or_b32 exec_lo, exec_lo, s3
	s_delay_alu instid0(VALU_DEP_1)
	v_perm_b32 v7, v8, v7, 0x7060302
	v_perm_b32 v6, v6, v5, 0x7060302
	v_perm_b32 v5, v4, v3, 0x7060302
	v_perm_b32 v4, v2, v1, 0x7060302
	v_lshl_or_b32 v9, v147, 4, v141
	s_barrier
	buffer_gl0_inv
	v_cmp_eq_u32_e32 vcc_lo, 1, v138
	ds_store_b128 v9, v[4:7]
	s_waitcnt lgkmcnt(0)
	s_barrier
	buffer_gl0_inv
	ds_load_b128 v[1:4], v141
	ds_load_b128 v[5:8], v141 offset:16
	v_cmp_eq_u32_e64 s4, 2, v138
	v_cmp_eq_u32_e64 s3, 1, v139
	;; [unrolled: 1-line block ×5, first 2 shown]
	s_waitcnt lgkmcnt(1)
	v_lshrrev_b32_e32 v10, 16, v1
	s_waitcnt lgkmcnt(0)
	v_lshrrev_b32_e32 v14, 16, v5
	v_lshrrev_b32_e32 v15, 16, v6
	;; [unrolled: 1-line block ×4, first 2 shown]
	v_cndmask_b32_e64 v20, v1, v10, s3
	v_cndmask_b32_e32 v19, v5, v14, vcc_lo
	v_cndmask_b32_e64 v21, v5, v14, s3
	v_lshrrev_b32_e32 v16, 16, v7
	v_cmp_eq_u32_e64 s3, 1, v137
	v_lshrrev_b32_e32 v13, 16, v4
	v_cndmask_b32_e64 v19, v19, v6, s4
	v_lshrrev_b32_e32 v17, 16, v8
	s_delay_alu instid0(VALU_DEP_4) | instskip(SKIP_1) | instid1(VALU_DEP_4)
	v_cndmask_b32_e64 v22, v1, v10, s3
	v_cndmask_b32_e64 v23, v5, v14, s3
	;; [unrolled: 1-line block ×3, first 2 shown]
	v_cndmask_b32_e32 v18, v1, v10, vcc_lo
	v_cmp_eq_u32_e32 vcc_lo, 2, v139
	v_cmp_eq_u32_e64 s3, 2, v142
	v_cndmask_b32_e64 v22, v22, v2, s7
	v_cndmask_b32_e32 v20, v20, v2, vcc_lo
	v_cndmask_b32_e32 v21, v21, v6, vcc_lo
	v_cmp_eq_u32_e32 vcc_lo, 4, v138
	v_cndmask_b32_e32 v19, v19, v7, vcc_lo
	v_cndmask_b32_e64 v18, v18, v2, s4
	v_cmp_eq_u32_e64 s4, 3, v139
	s_delay_alu instid0(VALU_DEP_2) | instskip(NEXT) | instid1(VALU_DEP_2)
	v_cndmask_b32_e64 v18, v18, v11, s5
	v_cndmask_b32_e64 v21, v21, v15, s4
	v_cmp_eq_u32_e64 s5, 5, v138
	s_delay_alu instid0(VALU_DEP_3) | instskip(SKIP_1) | instid1(VALU_DEP_3)
	v_cndmask_b32_e32 v18, v18, v3, vcc_lo
	v_cmp_eq_u32_e32 vcc_lo, 4, v139
	v_cndmask_b32_e64 v19, v19, v16, s5
	s_delay_alu instid0(VALU_DEP_3) | instskip(SKIP_4) | instid1(VALU_DEP_3)
	v_cndmask_b32_e64 v18, v18, v12, s5
	v_cndmask_b32_e32 v21, v21, v7, vcc_lo
	v_cndmask_b32_e64 v20, v20, v11, s4
	v_cmp_eq_u32_e64 s4, 5, v139
	v_cmp_eq_u32_e64 s5, 6, v138
	v_cndmask_b32_e32 v20, v20, v3, vcc_lo
	s_delay_alu instid0(VALU_DEP_3) | instskip(SKIP_1) | instid1(VALU_DEP_4)
	v_cndmask_b32_e64 v21, v21, v16, s4
	v_cmp_eq_u32_e32 vcc_lo, 6, v139
	v_cndmask_b32_e64 v18, v18, v4, s5
	v_cndmask_b32_e64 v19, v19, v8, s5
	;; [unrolled: 1-line block ×3, first 2 shown]
	v_cmp_eq_u32_e64 s4, 1, v142
	v_cmp_eq_u32_e64 s5, 7, v138
	s_delay_alu instid0(VALU_DEP_3) | instskip(NEXT) | instid1(VALU_DEP_3)
	v_cndmask_b32_e32 v20, v20, v4, vcc_lo
	v_cndmask_b32_e64 v1, v1, v10, s4
	v_cndmask_b32_e64 v5, v5, v14, s4
	v_cmp_eq_u32_e64 s4, 3, v137
	v_cndmask_b32_e64 v14, v23, v6, s7
	v_cmp_eq_u32_e64 s7, 3, v142
	v_cndmask_b32_e64 v1, v1, v2, s3
	v_cndmask_b32_e64 v2, v5, v6, s3
	;; [unrolled: 1-line block ×3, first 2 shown]
	v_cmp_eq_u32_e64 s3, 4, v137
	v_cndmask_b32_e64 v6, v14, v15, s4
	v_cndmask_b32_e64 v1, v1, v11, s7
	v_cmp_eq_u32_e64 s4, 4, v142
	v_cndmask_b32_e64 v2, v2, v15, s7
	v_cndmask_b32_e64 v5, v10, v3, s3
	;; [unrolled: 3-line block ×3, first 2 shown]
	v_cndmask_b32_e64 v2, v2, v7, s4
	v_cmp_eq_u32_e64 s3, 5, v142
	v_cndmask_b32_e64 v5, v5, v12, s7
	v_cmp_eq_u32_e64 s4, 6, v137
	;; [unrolled: 2-line block ×3, first 2 shown]
	v_cndmask_b32_e64 v1, v1, v12, s3
	v_cndmask_b32_e64 v2, v2, v16, s3
	;; [unrolled: 1-line block ×4, first 2 shown]
	v_cmp_eq_u32_e64 s3, 7, v142
	v_cndmask_b32_e64 v1, v1, v4, s7
	v_cndmask_b32_e64 v2, v2, v8, s7
	v_cmp_eq_u32_e64 s4, 7, v137
	v_cndmask_b32_e32 v4, v21, v8, vcc_lo
	v_cndmask_b32_e64 v18, v18, v13, s5
	v_cndmask_b32_e64 v20, v20, v13, s6
	;; [unrolled: 1-line block ×8, first 2 shown]
	v_cmp_gt_u32_e32 vcc_lo, 32, v0
	v_perm_b32 v4, v2, v1, 0x5040100
	v_perm_b32 v3, v3, v5, 0x5040100
	;; [unrolled: 1-line block ×4, first 2 shown]
	s_and_b32 s2, vcc_lo, s2
	ds_store_b128 v9, v[1:4]
	s_waitcnt lgkmcnt(0)
	s_barrier
	buffer_gl0_inv
	s_and_saveexec_b32 s3, s2
	s_cbranch_execz .LBB469_2
; %bb.111:
	s_load_b64 s[0:1], s[0:1], 0x68
	v_lshlrev_b32_e32 v0, 10, v0
	v_or_b32_e32 v1, s31, v147
	s_lshl_b32 s4, s34, 6
	v_lshlrev_b32_e32 v2, 4, v146
	s_mul_i32 s2, s4, s30
	v_lshlrev_b32_e32 v3, 6, v147
	v_mul_lo_u32 v8, v1, s4
	v_and_b32_e32 v0, 0x3800, v0
	v_or_b32_e32 v1, 2, v1
	s_mul_i32 s2, s2, s8
	s_delay_alu instid0(SALU_CYCLE_1) | instskip(NEXT) | instid1(VALU_DEP_2)
	s_ashr_i32 s3, s2, 31
	v_or3_b32 v4, v0, v2, v3
	s_lshl_b64 s[2:3], s[2:3], 1
	v_mul_lo_u32 v10, v1, s4
	v_ashrrev_i32_e32 v9, 31, v8
	ds_load_b128 v[0:3], v4
	ds_load_b128 v[4:7], v4 offset:128
	s_waitcnt lgkmcnt(0)
	s_add_u32 s2, s0, s2
	s_addc_u32 s3, s1, s3
	s_lshl_b32 s0, s14, 6
	v_ashrrev_i32_e32 v11, 31, v10
	s_ashr_i32 s1, s0, 31
	v_lshlrev_b64 v[8:9], 1, v[8:9]
	s_lshl_b64 s[0:1], s[0:1], 1
	s_delay_alu instid0(SALU_CYCLE_1) | instskip(SKIP_2) | instid1(VALU_DEP_1)
	s_add_u32 s0, s2, s0
	s_addc_u32 s1, s3, s1
	v_add_co_u32 v12, s0, s0, v145
	v_add_co_ci_u32_e64 v13, null, s1, 0, s0
	v_lshlrev_b64 v[10:11], 1, v[10:11]
	s_delay_alu instid0(VALU_DEP_3) | instskip(NEXT) | instid1(VALU_DEP_3)
	v_add_co_u32 v8, vcc_lo, v12, v8
	v_add_co_ci_u32_e32 v9, vcc_lo, v13, v9, vcc_lo
	s_delay_alu instid0(VALU_DEP_3) | instskip(NEXT) | instid1(VALU_DEP_4)
	v_add_co_u32 v10, vcc_lo, v12, v10
	v_add_co_ci_u32_e32 v11, vcc_lo, v13, v11, vcc_lo
	s_clause 0x1
	global_store_b128 v[8:9], v[0:3], off
	global_store_b128 v[10:11], v[4:7], off
	s_nop 0
	s_sendmsg sendmsg(MSG_DEALLOC_VGPRS)
	s_endpgm
	.section	.rodata,"a",@progbits
	.p2align	6, 0x0
	.amdhsa_kernel _Z39paged_attention_ll4mi_QKV_mfma16_kernelI14__hip_bfloat16S0_LN4vllm18Fp8KVCacheDataTypeE0ES0_Li16ELi64ELi256ELb1ELi4EL8MFMAType0EEvPKT_PKT0_S9_ifPKiSB_SB_iPKfiiiPfSE_PS4_PT2_iSD_SD_
		.amdhsa_group_segment_fixed_size 17472
		.amdhsa_private_segment_fixed_size 0
		.amdhsa_kernarg_size 400
		.amdhsa_user_sgpr_count 13
		.amdhsa_user_sgpr_dispatch_ptr 0
		.amdhsa_user_sgpr_queue_ptr 0
		.amdhsa_user_sgpr_kernarg_segment_ptr 1
		.amdhsa_user_sgpr_dispatch_id 0
		.amdhsa_user_sgpr_private_segment_size 0
		.amdhsa_wavefront_size32 1
		.amdhsa_uses_dynamic_stack 0
		.amdhsa_enable_private_segment 0
		.amdhsa_system_sgpr_workgroup_id_x 1
		.amdhsa_system_sgpr_workgroup_id_y 1
		.amdhsa_system_sgpr_workgroup_id_z 1
		.amdhsa_system_sgpr_workgroup_info 0
		.amdhsa_system_vgpr_workitem_id 0
		.amdhsa_next_free_vgpr 198
		.amdhsa_next_free_sgpr 52
		.amdhsa_reserve_vcc 1
		.amdhsa_float_round_mode_32 0
		.amdhsa_float_round_mode_16_64 0
		.amdhsa_float_denorm_mode_32 3
		.amdhsa_float_denorm_mode_16_64 3
		.amdhsa_dx10_clamp 1
		.amdhsa_ieee_mode 1
		.amdhsa_fp16_overflow 0
		.amdhsa_workgroup_processor_mode 1
		.amdhsa_memory_ordered 1
		.amdhsa_forward_progress 0
		.amdhsa_shared_vgpr_count 0
		.amdhsa_exception_fp_ieee_invalid_op 0
		.amdhsa_exception_fp_denorm_src 0
		.amdhsa_exception_fp_ieee_div_zero 0
		.amdhsa_exception_fp_ieee_overflow 0
		.amdhsa_exception_fp_ieee_underflow 0
		.amdhsa_exception_fp_ieee_inexact 0
		.amdhsa_exception_int_div_zero 0
	.end_amdhsa_kernel
	.section	.text._Z39paged_attention_ll4mi_QKV_mfma16_kernelI14__hip_bfloat16S0_LN4vllm18Fp8KVCacheDataTypeE0ES0_Li16ELi64ELi256ELb1ELi4EL8MFMAType0EEvPKT_PKT0_S9_ifPKiSB_SB_iPKfiiiPfSE_PS4_PT2_iSD_SD_,"axG",@progbits,_Z39paged_attention_ll4mi_QKV_mfma16_kernelI14__hip_bfloat16S0_LN4vllm18Fp8KVCacheDataTypeE0ES0_Li16ELi64ELi256ELb1ELi4EL8MFMAType0EEvPKT_PKT0_S9_ifPKiSB_SB_iPKfiiiPfSE_PS4_PT2_iSD_SD_,comdat
.Lfunc_end469:
	.size	_Z39paged_attention_ll4mi_QKV_mfma16_kernelI14__hip_bfloat16S0_LN4vllm18Fp8KVCacheDataTypeE0ES0_Li16ELi64ELi256ELb1ELi4EL8MFMAType0EEvPKT_PKT0_S9_ifPKiSB_SB_iPKfiiiPfSE_PS4_PT2_iSD_SD_, .Lfunc_end469-_Z39paged_attention_ll4mi_QKV_mfma16_kernelI14__hip_bfloat16S0_LN4vllm18Fp8KVCacheDataTypeE0ES0_Li16ELi64ELi256ELb1ELi4EL8MFMAType0EEvPKT_PKT0_S9_ifPKiSB_SB_iPKfiiiPfSE_PS4_PT2_iSD_SD_
                                        ; -- End function
	.section	.AMDGPU.csdata,"",@progbits
; Kernel info:
; codeLenInByte = 9900
; NumSgprs: 54
; NumVgprs: 198
; ScratchSize: 0
; MemoryBound: 0
; FloatMode: 240
; IeeeMode: 1
; LDSByteSize: 17472 bytes/workgroup (compile time only)
; SGPRBlocks: 6
; VGPRBlocks: 24
; NumSGPRsForWavesPerEU: 54
; NumVGPRsForWavesPerEU: 198
; Occupancy: 7
; WaveLimiterHint : 1
; COMPUTE_PGM_RSRC2:SCRATCH_EN: 0
; COMPUTE_PGM_RSRC2:USER_SGPR: 13
; COMPUTE_PGM_RSRC2:TRAP_HANDLER: 0
; COMPUTE_PGM_RSRC2:TGID_X_EN: 1
; COMPUTE_PGM_RSRC2:TGID_Y_EN: 1
; COMPUTE_PGM_RSRC2:TGID_Z_EN: 1
; COMPUTE_PGM_RSRC2:TIDIG_COMP_CNT: 0
	.section	.text._Z35paged_attention_ll4mi_reduce_kernelI14__hip_bfloat16S0_Li64ELi64ELi256ELi9EEvPT0_PKfS4_PKT_PKiS9_iS4_,"axG",@progbits,_Z35paged_attention_ll4mi_reduce_kernelI14__hip_bfloat16S0_Li64ELi64ELi256ELi9EEvPT0_PKfS4_PKT_PKiS9_iS4_,comdat
	.protected	_Z35paged_attention_ll4mi_reduce_kernelI14__hip_bfloat16S0_Li64ELi64ELi256ELi9EEvPT0_PKfS4_PKT_PKiS9_iS4_ ; -- Begin function _Z35paged_attention_ll4mi_reduce_kernelI14__hip_bfloat16S0_Li64ELi64ELi256ELi9EEvPT0_PKfS4_PKT_PKiS9_iS4_
	.globl	_Z35paged_attention_ll4mi_reduce_kernelI14__hip_bfloat16S0_Li64ELi64ELi256ELi9EEvPT0_PKfS4_PKT_PKiS9_iS4_
	.p2align	8
	.type	_Z35paged_attention_ll4mi_reduce_kernelI14__hip_bfloat16S0_Li64ELi64ELi256ELi9EEvPT0_PKfS4_PKT_PKiS9_iS4_,@function
_Z35paged_attention_ll4mi_reduce_kernelI14__hip_bfloat16S0_Li64ELi64ELi256ELi9EEvPT0_PKfS4_PKT_PKiS9_iS4_: ; @_Z35paged_attention_ll4mi_reduce_kernelI14__hip_bfloat16S0_Li64ELi64ELi256ELi9EEvPT0_PKfS4_PKT_PKiS9_iS4_
; %bb.0:
	s_load_b64 s[12:13], s[0:1], 0x28
	s_mov_b32 s2, s15
	s_waitcnt lgkmcnt(0)
	s_cmp_lg_u64 s[12:13], 0
	s_cselect_b32 s15, -1, 0
	s_delay_alu instid0(SALU_CYCLE_1)
	s_and_b32 vcc_lo, exec_lo, s15
	s_cbranch_vccz .LBB470_24
; %bb.1:
	s_add_i32 s4, s2, 1
	s_mov_b32 s5, 0
	s_delay_alu instid0(SALU_CYCLE_1) | instskip(SKIP_4) | instid1(SALU_CYCLE_1)
	s_lshl_b64 s[6:7], s[4:5], 2
	s_mov_b32 s3, s5
	s_add_u32 s6, s12, s6
	s_addc_u32 s7, s13, s7
	s_lshl_b64 s[8:9], s[2:3], 2
	s_add_u32 s8, s12, s8
	s_addc_u32 s9, s13, s9
	s_clause 0x1
	s_load_b32 s4, s[6:7], 0x0
	s_load_b32 s6, s[8:9], 0x0
	s_waitcnt lgkmcnt(0)
	s_sub_i32 s4, s4, s6
	s_delay_alu instid0(SALU_CYCLE_1)
	s_cmp_eq_u32 s4, 1
	s_cselect_b32 s4, -1, 0
	s_cbranch_execnz .LBB470_3
.LBB470_2:
	s_mov_b32 s3, 0
	s_mov_b32 s4, -1
.LBB470_3:
	s_delay_alu instid0(SALU_CYCLE_1)
	s_and_not1_b32 vcc_lo, exec_lo, s4
	s_cbranch_vccz .LBB470_5
; %bb.4:
	s_endpgm
.LBB470_5:
	s_clause 0x1
	s_load_b128 s[4:7], s[0:1], 0x18
	s_load_b32 s9, s[0:1], 0x30
	s_lshl_b64 s[16:17], s[2:3], 2
	s_waitcnt lgkmcnt(0)
	s_add_u32 s6, s6, s16
	s_addc_u32 s7, s7, s17
	s_load_b32 s23, s[6:7], 0x0
	s_load_b32 s33, s[0:1], 0x40
	s_mul_i32 s7, s2, s9
	s_waitcnt lgkmcnt(0)
	s_add_i32 s22, s23, 0xff
	s_delay_alu instid0(SALU_CYCLE_1) | instskip(NEXT) | instid1(SALU_CYCLE_1)
	s_ashr_i32 s6, s22, 31
	s_lshr_b32 s6, s6, 24
	s_delay_alu instid0(SALU_CYCLE_1) | instskip(SKIP_4) | instid1(SALU_CYCLE_1)
	s_add_i32 s8, s22, s6
	s_mul_i32 s6, s14, s9
	s_mov_b32 s9, exec_lo
	v_cmpx_lt_u32_e32 31, v0
	s_xor_b32 s9, exec_lo, s9
	s_or_saveexec_b32 s24, s9
	v_mov_b32_e32 v1, s6
	s_ashr_i32 s40, s8, 8
	s_mul_i32 s18, s7, s33
	s_xor_b32 exec_lo, exec_lo, s24
	s_cbranch_execz .LBB470_9
; %bb.6:
	v_or_b32_e32 v2, 32, v0
	v_cmp_gt_i32_e32 vcc_lo, s40, v0
	s_add_i32 s20, s40, -1
	v_or_b32_e32 v4, 64, v0
	v_or_b32_e32 v6, 0x60, v0
	s_load_b128 s[8:11], s[0:1], 0x8
	v_cndmask_b32_e32 v1, s20, v0, vcc_lo
	v_cmp_gt_i32_e32 vcc_lo, s40, v2
	s_mov_b32 s19, 0
	s_delay_alu instid0(SALU_CYCLE_1)
	s_mov_b32 s7, s19
	v_cndmask_b32_e32 v3, s20, v2, vcc_lo
	v_cmp_gt_i32_e32 vcc_lo, s40, v4
	v_or_b32_e32 v2, 0x80, v0
	v_cndmask_b32_e32 v5, s20, v4, vcc_lo
	v_cmp_gt_i32_e32 vcc_lo, s40, v6
	v_or_b32_e32 v4, 0xa0, v0
	;; [unrolled: 3-line block ×3, first 2 shown]
	s_delay_alu instid0(VALU_DEP_3) | instskip(SKIP_3) | instid1(VALU_DEP_4)
	v_ashrrev_i32_e32 v8, 31, v7
	v_cndmask_b32_e32 v9, s20, v2, vcc_lo
	v_or_b32_e32 v2, 0xc0, v0
	v_cmp_gt_i32_e32 vcc_lo, s40, v4
	v_lshlrev_b64 v[7:8], 2, v[7:8]
	s_delay_alu instid0(VALU_DEP_4) | instskip(SKIP_3) | instid1(VALU_DEP_4)
	v_ashrrev_i32_e32 v10, 31, v9
	v_cndmask_b32_e32 v11, s20, v4, vcc_lo
	v_cmp_gt_i32_e32 vcc_lo, s40, v2
	v_or_b32_e32 v4, 0x100, v0
	v_lshlrev_b64 v[9:10], 2, v[9:10]
	s_delay_alu instid0(VALU_DEP_4) | instskip(SKIP_3) | instid1(VALU_DEP_4)
	v_ashrrev_i32_e32 v12, 31, v11
	v_cndmask_b32_e32 v13, s20, v2, vcc_lo
	v_cmp_gt_i32_e32 vcc_lo, s40, v6
	v_ashrrev_i32_e32 v2, 31, v1
	v_lshlrev_b64 v[11:12], 2, v[11:12]
	s_delay_alu instid0(VALU_DEP_4)
	v_ashrrev_i32_e32 v14, 31, v13
	v_cndmask_b32_e32 v15, s20, v6, vcc_lo
	v_cmp_gt_i32_e32 vcc_lo, s40, v4
	v_lshlrev_b64 v[1:2], 2, v[1:2]
	v_ashrrev_i32_e32 v6, 31, v5
	v_lshlrev_b64 v[13:14], 2, v[13:14]
	v_ashrrev_i32_e32 v16, 31, v15
	v_cndmask_b32_e32 v17, s20, v4, vcc_lo
	v_ashrrev_i32_e32 v4, 31, v3
	s_lshl_b64 s[20:21], s[18:19], 2
	v_lshlrev_b64 v[5:6], 2, v[5:6]
	s_waitcnt lgkmcnt(0)
	s_add_u32 s19, s10, s20
	s_addc_u32 s25, s11, s21
	s_lshl_b64 s[10:11], s[6:7], 2
	v_lshlrev_b64 v[3:4], 2, v[3:4]
	s_add_u32 s7, s19, s10
	s_addc_u32 s19, s25, s11
	v_add_co_u32 v18, vcc_lo, s7, v1
	v_add_co_ci_u32_e32 v19, vcc_lo, s19, v2, vcc_lo
	s_delay_alu instid0(VALU_DEP_3)
	v_add_co_u32 v20, vcc_lo, s7, v3
	v_add_co_ci_u32_e32 v21, vcc_lo, s19, v4, vcc_lo
	v_add_co_u32 v22, vcc_lo, s7, v5
	v_add_co_ci_u32_e32 v23, vcc_lo, s19, v6, vcc_lo
	;; [unrolled: 2-line block ×4, first 2 shown]
	s_clause 0x4
	global_load_b32 v28, v[18:19], off
	global_load_b32 v29, v[20:21], off
	;; [unrolled: 1-line block ×5, first 2 shown]
	v_ashrrev_i32_e32 v18, 31, v17
	v_add_co_u32 v19, vcc_lo, s7, v11
	v_lshlrev_b64 v[15:16], 2, v[15:16]
	v_add_co_ci_u32_e32 v20, vcc_lo, s19, v12, vcc_lo
	v_add_co_u32 v21, vcc_lo, s7, v13
	v_lshlrev_b64 v[17:18], 2, v[17:18]
	v_add_co_ci_u32_e32 v22, vcc_lo, s19, v14, vcc_lo
	v_add_co_u32 v23, vcc_lo, s7, v15
	v_add_co_ci_u32_e32 v24, vcc_lo, s19, v16, vcc_lo
	s_delay_alu instid0(VALU_DEP_4)
	v_add_co_u32 v25, vcc_lo, s7, v17
	v_add_co_ci_u32_e32 v26, vcc_lo, s19, v18, vcc_lo
	s_clause 0x3
	global_load_b32 v19, v[19:20], off
	global_load_b32 v20, v[21:22], off
	;; [unrolled: 1-line block ×4, first 2 shown]
	s_add_u32 s7, s8, s20
	s_addc_u32 s8, s9, s21
	s_add_u32 s7, s7, s10
	s_addc_u32 s8, s8, s11
	v_add_co_u32 v1, vcc_lo, s7, v1
	v_add_co_ci_u32_e32 v2, vcc_lo, s8, v2, vcc_lo
	v_add_co_u32 v3, vcc_lo, s7, v3
	v_add_co_ci_u32_e32 v4, vcc_lo, s8, v4, vcc_lo
	;; [unrolled: 2-line block ×6, first 2 shown]
	s_clause 0x5
	global_load_b32 v23, v[1:2], off
	global_load_b32 v3, v[3:4], off
	;; [unrolled: 1-line block ×6, first 2 shown]
	v_add_co_u32 v1, vcc_lo, s7, v13
	v_add_co_ci_u32_e32 v2, vcc_lo, s8, v14, vcc_lo
	v_mbcnt_lo_u32_b32 v9, -1, 0
	global_load_b32 v8, v[1:2], off
	v_add_co_u32 v1, vcc_lo, s7, v15
	v_add_co_ci_u32_e32 v2, vcc_lo, s8, v16, vcc_lo
	v_xor_b32_e32 v11, 16, v9
	v_xor_b32_e32 v13, 8, v9
	;; [unrolled: 1-line block ×3, first 2 shown]
	global_load_b32 v12, v[1:2], off
	v_add_co_u32 v1, vcc_lo, s7, v17
	v_add_co_ci_u32_e32 v2, vcc_lo, s8, v18, vcc_lo
	v_cmp_gt_i32_e32 vcc_lo, 32, v11
	v_xor_b32_e32 v15, 2, v9
	v_xor_b32_e32 v16, 1, v9
	global_load_b32 v1, v[1:2], off
	s_mov_b32 s7, exec_lo
	v_cndmask_b32_e32 v11, v9, v11, vcc_lo
	v_cmp_gt_i32_e32 vcc_lo, 32, v13
	s_delay_alu instid0(VALU_DEP_2) | instskip(SKIP_1) | instid1(VALU_DEP_2)
	v_dual_cndmask_b32 v13, v9, v13 :: v_dual_lshlrev_b32 v2, 2, v11
	v_cmp_gt_i32_e32 vcc_lo, 32, v14
	v_dual_cndmask_b32 v14, v9, v14 :: v_dual_lshlrev_b32 v13, 2, v13
	v_cmp_gt_i32_e32 vcc_lo, 32, v15
	s_delay_alu instid0(VALU_DEP_2) | instskip(SKIP_1) | instid1(VALU_DEP_2)
	v_dual_cndmask_b32 v15, v9, v15 :: v_dual_lshlrev_b32 v14, 2, v14
	v_cmp_gt_i32_e32 vcc_lo, 32, v16
	v_lshlrev_b32_e32 v15, 2, v15
	v_cndmask_b32_e32 v9, v9, v16, vcc_lo
	s_delay_alu instid0(VALU_DEP_1) | instskip(SKIP_3) | instid1(VALU_DEP_1)
	v_lshlrev_b32_e32 v9, 2, v9
	s_waitcnt vmcnt(15)
	v_max3_f32 v10, v28, v29, v30
	s_waitcnt vmcnt(13)
	v_max3_f32 v10, v10, v31, v27
	s_waitcnt vmcnt(11)
	s_delay_alu instid0(VALU_DEP_1) | instskip(SKIP_1) | instid1(VALU_DEP_1)
	v_max3_f32 v10, v10, v19, v20
	s_waitcnt vmcnt(9)
	v_max3_f32 v10, v10, v21, v22
	ds_bpermute_b32 v11, v2, v10
	s_waitcnt lgkmcnt(0)
	v_max_f32_e32 v11, v11, v11
	s_delay_alu instid0(VALU_DEP_1) | instskip(SKIP_3) | instid1(VALU_DEP_1)
	v_max_f32_e32 v10, v10, v11
	ds_bpermute_b32 v11, v13, v10
	s_waitcnt lgkmcnt(0)
	v_max_f32_e32 v11, v11, v11
	v_max_f32_e32 v10, v10, v11
	ds_bpermute_b32 v11, v14, v10
	s_waitcnt lgkmcnt(0)
	v_max_f32_e32 v11, v11, v11
	s_delay_alu instid0(VALU_DEP_1) | instskip(SKIP_3) | instid1(VALU_DEP_1)
	v_max_f32_e32 v10, v10, v11
	ds_bpermute_b32 v11, v15, v10
	s_waitcnt lgkmcnt(0)
	v_max_f32_e32 v11, v11, v11
	v_max_f32_e32 v10, v10, v11
	ds_bpermute_b32 v11, v9, v10
	s_waitcnt lgkmcnt(0)
	v_max_f32_e32 v11, v11, v11
	s_delay_alu instid0(VALU_DEP_1) | instskip(SKIP_1) | instid1(VALU_DEP_2)
	v_max_f32_e32 v10, v10, v11
	v_sub_nc_u32_e32 v11, s40, v0
	v_sub_f32_e32 v24, v31, v10
	v_sub_f32_e32 v16, v28, v10
	;; [unrolled: 1-line block ×5, first 2 shown]
	v_mul_f32_e32 v28, 0x3fb8aa3b, v24
	v_cmp_ngt_f32_e32 vcc_lo, 0xc2ce8ed0, v16
	v_mul_f32_e32 v26, 0x3fb8aa3b, v17
	s_delay_alu instid0(VALU_DEP_3)
	v_fma_f32 v40, 0x3fb8aa3b, v24, -v28
	v_sub_f32_e32 v25, v27, v10
	v_rndne_f32_e32 v41, v28
	v_sub_f32_e32 v19, v19, v10
	v_fma_f32 v36, 0x3fb8aa3b, v17, -v26
	v_fmac_f32_e32 v40, 0x32a5705f, v24
	v_mul_f32_e32 v29, 0x3fb8aa3b, v25
	v_sub_f32_e32 v28, v28, v41
	v_mul_f32_e32 v30, 0x3fb8aa3b, v19
	v_rndne_f32_e32 v37, v26
	v_cvt_i32_f32_e32 v41, v41
	v_fma_f32 v42, 0x3fb8aa3b, v25, -v29
	v_sub_f32_e32 v21, v21, v10
	v_sub_f32_e32 v10, v22, v10
	v_mul_f32_e32 v22, 0x3fb8aa3b, v16
	v_rndne_f32_e32 v45, v30
	v_fmac_f32_e32 v42, 0x32a5705f, v25
	v_dual_mul_f32 v27, 0x3fb8aa3b, v18 :: v_dual_mul_f32 v32, 0x3fb8aa3b, v21
	s_delay_alu instid0(VALU_DEP_4)
	v_fma_f32 v34, 0x3fb8aa3b, v16, -v22
	v_rndne_f32_e32 v35, v22
	v_fma_f32 v44, 0x3fb8aa3b, v19, -v30
	v_sub_f32_e32 v30, v30, v45
	v_fma_f32 v38, 0x3fb8aa3b, v18, -v27
	v_rndne_f32_e32 v39, v27
	v_fmac_f32_e32 v34, 0x32a5705f, v16
	v_sub_f32_e32 v22, v22, v35
	v_rndne_f32_e32 v49, v32
	v_dual_mul_f32 v31, 0x3fb8aa3b, v20 :: v_dual_sub_f32 v26, v26, v37
	v_fmac_f32_e32 v36, 0x32a5705f, v17
	v_dual_fmac_f32 v38, 0x32a5705f, v18 :: v_dual_sub_f32 v27, v27, v39
	v_add_f32_e32 v22, v22, v34
	v_rndne_f32_e32 v43, v29
	s_delay_alu instid0(VALU_DEP_4)
	v_dual_mul_f32 v33, 0x3fb8aa3b, v10 :: v_dual_add_f32 v26, v26, v36
	v_fma_f32 v48, 0x3fb8aa3b, v21, -v32
	v_dual_fmac_f32 v44, 0x32a5705f, v19 :: v_dual_add_f32 v27, v27, v38
	v_sub_f32_e32 v32, v32, v49
	v_fma_f32 v46, 0x3fb8aa3b, v20, -v31
	v_sub_f32_e32 v29, v29, v43
	v_exp_f32_e32 v22, v22
	v_rndne_f32_e32 v47, v31
	v_cvt_i32_f32_e32 v35, v35
	v_fmac_f32_e32 v46, 0x32a5705f, v20
	v_dual_add_f32 v28, v28, v40 :: v_dual_add_f32 v29, v29, v42
	v_exp_f32_e32 v26, v26
	v_exp_f32_e32 v27, v27
	v_cvt_i32_f32_e32 v37, v37
	v_cvt_i32_f32_e32 v39, v39
	v_dual_sub_f32 v31, v31, v47 :: v_dual_fmac_f32 v48, 0x32a5705f, v21
	v_exp_f32_e32 v29, v29
	v_ldexp_f32 v22, v22, v35
	v_cvt_i32_f32_e32 v43, v43
	s_delay_alu instid0(VALU_DEP_3)
	v_dual_add_f32 v30, v30, v44 :: v_dual_add_f32 v31, v31, v46
	v_exp_f32_e32 v28, v28
	v_ldexp_f32 v26, v26, v37
	v_ldexp_f32 v27, v27, v39
	v_cndmask_b32_e32 v22, 0, v22, vcc_lo
	v_cmp_ngt_f32_e32 vcc_lo, 0xc2ce8ed0, v17
	v_exp_f32_e32 v31, v31
	v_ldexp_f32 v29, v29, v43
	v_exp_f32_e32 v30, v30
	v_cvt_i32_f32_e32 v34, v47
	v_cndmask_b32_e32 v26, 0, v26, vcc_lo
	v_cmp_ngt_f32_e32 vcc_lo, 0xc2ce8ed0, v18
	v_ldexp_f32 v28, v28, v41
	v_cvt_i32_f32_e32 v45, v45
	v_fma_f32 v50, 0x3fb8aa3b, v10, -v33
	v_rndne_f32_e32 v51, v33
	v_cndmask_b32_e32 v27, 0, v27, vcc_lo
	v_cmp_ngt_f32_e32 vcc_lo, 0xc2ce8ed0, v24
	v_ldexp_f32 v31, v31, v34
	v_ldexp_f32 v30, v30, v45
	v_dual_fmac_f32 v50, 0x32a5705f, v10 :: v_dual_sub_f32 v33, v33, v51
	v_cndmask_b32_e32 v28, 0, v28, vcc_lo
	v_cmp_ngt_f32_e32 vcc_lo, 0xc2ce8ed0, v25
	s_delay_alu instid0(VALU_DEP_3) | instskip(SKIP_2) | instid1(VALU_DEP_3)
	v_dual_add_f32 v32, v32, v48 :: v_dual_add_f32 v33, v33, v50
	v_cndmask_b32_e32 v29, 0, v29, vcc_lo
	v_cmp_ngt_f32_e32 vcc_lo, 0xc2ce8ed0, v19
	v_exp_f32_e32 v32, v32
	v_cndmask_b32_e32 v30, 0, v30, vcc_lo
	v_cmp_ngt_f32_e32 vcc_lo, 0xc2ce8ed0, v20
	v_cndmask_b32_e32 v31, 0, v31, vcc_lo
	v_cmp_nlt_f32_e32 vcc_lo, 0x42b17218, v16
	v_cndmask_b32_e32 v16, 0x7f800000, v22, vcc_lo
	v_cmp_nlt_f32_e32 vcc_lo, 0x42b17218, v17
	;; [unrolled: 2-line block ×6, first 2 shown]
	v_cndmask_b32_e32 v19, 0x7f800000, v30, vcc_lo
	v_cmp_lt_i32_e32 vcc_lo, 0, v11
	v_cndmask_b32_e32 v16, 0, v16, vcc_lo
	v_cmp_lt_i32_e32 vcc_lo, 32, v11
	s_waitcnt vmcnt(8)
	s_delay_alu instid0(VALU_DEP_2) | instskip(SKIP_2) | instid1(VALU_DEP_2)
	v_dual_mul_f32 v16, v23, v16 :: v_dual_cndmask_b32 v17, 0, v17
	v_cmp_lt_i32_e32 vcc_lo, 64, v11
	s_waitcnt vmcnt(7)
	v_mul_f32_e32 v3, v3, v17
	v_cvt_i32_f32_e32 v17, v49
	s_delay_alu instid0(VALU_DEP_1) | instskip(SKIP_3) | instid1(VALU_DEP_2)
	v_ldexp_f32 v17, v32, v17
	v_cndmask_b32_e32 v18, 0, v18, vcc_lo
	v_cmp_lt_i32_e32 vcc_lo, 0x60, v11
	s_waitcnt vmcnt(6)
	v_mul_f32_e32 v4, v4, v18
	v_cndmask_b32_e32 v22, 0, v22, vcc_lo
	v_cmp_lt_i32_e32 vcc_lo, 0x80, v11
	s_waitcnt vmcnt(5)
	s_delay_alu instid0(VALU_DEP_2) | instskip(SKIP_3) | instid1(VALU_DEP_3)
	v_dual_mul_f32 v5, v5, v22 :: v_dual_cndmask_b32 v24, 0, v24
	v_cmp_lt_i32_e32 vcc_lo, 0xa0, v11
	v_cvt_i32_f32_e32 v22, v51
	s_waitcnt vmcnt(4)
	v_dual_mul_f32 v6, v6, v24 :: v_dual_cndmask_b32 v19, 0, v19
	v_cmp_nlt_f32_e32 vcc_lo, 0x42b17218, v20
	s_waitcnt vmcnt(3)
	s_delay_alu instid0(VALU_DEP_2) | instskip(SKIP_3) | instid1(VALU_DEP_2)
	v_mul_f32_e32 v7, v7, v19
	v_cndmask_b32_e32 v18, 0x7f800000, v31, vcc_lo
	v_cmp_lt_i32_e32 vcc_lo, 0xc0, v11
	v_exp_f32_e32 v19, v33
	v_cndmask_b32_e32 v18, 0, v18, vcc_lo
	v_cmp_ngt_f32_e32 vcc_lo, 0xc2ce8ed0, v21
	s_waitcnt vmcnt(2)
	s_delay_alu instid0(VALU_DEP_2)
	v_dual_mul_f32 v8, v8, v18 :: v_dual_cndmask_b32 v17, 0, v17
	v_cmp_nlt_f32_e32 vcc_lo, 0x42b17218, v21
	s_waitcnt_depctr 0xfff
	v_ldexp_f32 v18, v19, v22
	v_dual_add_f32 v20, v16, v3 :: v_dual_cndmask_b32 v17, 0x7f800000, v17
	v_cmp_ngt_f32_e32 vcc_lo, 0xc2ce8ed0, v10
	s_delay_alu instid0(VALU_DEP_3) | instskip(SKIP_1) | instid1(VALU_DEP_4)
	v_cndmask_b32_e32 v18, 0, v18, vcc_lo
	v_cmp_lt_i32_e32 vcc_lo, 0xe0, v11
	v_cndmask_b32_e32 v17, 0, v17, vcc_lo
	v_cmp_nlt_f32_e32 vcc_lo, 0x42b17218, v10
	s_waitcnt vmcnt(1)
	s_delay_alu instid0(VALU_DEP_2) | instskip(SKIP_2) | instid1(VALU_DEP_2)
	v_mul_f32_e32 v12, v12, v17
	v_cndmask_b32_e32 v10, 0x7f800000, v18, vcc_lo
	v_cmp_lt_i32_e32 vcc_lo, 0x100, v11
	v_cndmask_b32_e32 v10, 0, v10, vcc_lo
	s_waitcnt vmcnt(0)
	s_delay_alu instid0(VALU_DEP_1) | instskip(SKIP_1) | instid1(VALU_DEP_1)
	v_mul_f32_e32 v10, v1, v10
	v_add_f32_e32 v20, v20, v4
	v_add_f32_e32 v19, v20, v5
	s_delay_alu instid0(VALU_DEP_1) | instskip(NEXT) | instid1(VALU_DEP_1)
	v_add_f32_e32 v19, v19, v6
	v_add_f32_e32 v18, v19, v7
	s_delay_alu instid0(VALU_DEP_1) | instskip(NEXT) | instid1(VALU_DEP_1)
	v_add_f32_e32 v11, v18, v8
	v_add_f32_e32 v1, v11, v12
	s_delay_alu instid0(VALU_DEP_1)
	v_add_f32_e32 v1, v1, v10
	ds_bpermute_b32 v2, v2, v1
	s_waitcnt lgkmcnt(0)
	v_add_f32_e32 v1, v1, v2
	ds_bpermute_b32 v2, v13, v1
	s_waitcnt lgkmcnt(0)
	;; [unrolled: 3-line block ×4, first 2 shown]
	v_add_f32_e32 v1, v1, v2
	ds_bpermute_b32 v2, v9, v1
	v_lshlrev_b32_e32 v9, 2, v0
	ds_store_2addr_b32 v9, v16, v3 offset1:32
	ds_store_2addr_b32 v9, v4, v5 offset0:64 offset1:96
	ds_store_2addr_b32 v9, v6, v7 offset0:128 offset1:160
	;; [unrolled: 1-line block ×3, first 2 shown]
	ds_store_b32 v9, v10 offset:1024
	v_cmpx_eq_u32_e32 0, v0
	s_cbranch_execz .LBB470_8
; %bb.7:
	s_waitcnt lgkmcnt(5)
	v_dual_add_f32 v1, v1, v2 :: v_dual_mov_b32 v2, 0
	ds_store_b32 v2, v1 offset:1152
.LBB470_8:
	s_or_b32 exec_lo, exec_lo, s7
	v_mov_b32_e32 v1, s6
.LBB470_9:
	s_or_b32 exec_lo, exec_lo, s24
	s_lshl_b32 s6, s18, 6
	s_mov_b32 s7, 0
	s_waitcnt lgkmcnt(5)
	v_dual_mov_b32 v2, 0 :: v_dual_lshlrev_b32 v1, 6, v1
	s_lshl_b64 s[6:7], s[6:7], 1
	v_lshlrev_b32_e32 v0, 1, v0
	s_add_u32 s34, s4, s6
	s_addc_u32 s35, s5, s7
	s_lshl_b32 s41, s40, 6
	v_lshlrev_b64 v[3:4], 1, v[1:2]
	s_sub_i32 s42, s41, 64
	s_cmpk_lt_i32 s22, 0x100
	v_dual_mov_b32 v30, 0 :: v_dual_mov_b32 v33, 0
	s_cselect_b32 s4, s42, 0
	s_delay_alu instid0(VALU_DEP_2)
	v_add_co_u32 v1, vcc_lo, s34, v3
	s_ashr_i32 s5, s4, 31
	v_add_co_ci_u32_e32 v3, vcc_lo, s35, v4, vcc_lo
	s_lshl_b64 s[4:5], s[4:5], 1
	s_cmpk_lt_i32 s22, 0x200
	v_add_co_u32 v1, vcc_lo, v1, v0
	s_cselect_b32 s6, s42, 64
	v_add_co_ci_u32_e32 v3, vcc_lo, 0, v3, vcc_lo
	s_ashr_i32 s7, s6, 31
	s_delay_alu instid0(VALU_DEP_2)
	v_add_co_u32 v4, vcc_lo, v1, s4
	s_lshl_b64 s[6:7], s[6:7], 1
	s_cmpk_lt_i32 s22, 0x300
	v_add_co_ci_u32_e32 v5, vcc_lo, s5, v3, vcc_lo
	s_cselect_b32 s8, s42, 0x80
	v_add_co_u32 v6, vcc_lo, v1, s6
	s_ashr_i32 s9, s8, 31
	v_add_co_ci_u32_e32 v7, vcc_lo, s7, v3, vcc_lo
	s_lshl_b64 s[8:9], s[8:9], 1
	s_cmpk_lt_i32 s22, 0x400
	v_add_co_u32 v8, vcc_lo, v1, s8
	s_cselect_b32 s10, s42, 0xc0
	v_add_co_ci_u32_e32 v9, vcc_lo, s9, v3, vcc_lo
	s_ashr_i32 s11, s10, 31
	v_dual_mov_b32 v32, 0 :: v_dual_mov_b32 v35, 0
	s_lshl_b64 s[10:11], s[10:11], 1
	s_cmpk_lt_i32 s22, 0x500
	v_add_co_u32 v11, vcc_lo, v1, s10
	s_cselect_b32 s18, s42, 0x100
	v_add_co_ci_u32_e32 v12, vcc_lo, s11, v3, vcc_lo
	s_ashr_i32 s19, s18, 31
	v_mov_b32_e32 v34, 0
	s_lshl_b64 s[18:19], s[18:19], 1
	s_cmpk_lt_i32 s22, 0x600
	v_add_co_u32 v14, vcc_lo, v1, s18
	s_cselect_b32 s20, s42, 0x140
	v_add_co_ci_u32_e32 v15, vcc_lo, s19, v3, vcc_lo
	s_ashr_i32 s21, s20, 31
	v_mov_b32_e32 v31, 0
	s_lshl_b64 s[20:21], s[20:21], 1
	s_cmpk_lt_i32 s22, 0x700
	v_add_co_u32 v16, vcc_lo, v1, s20
	s_cselect_b32 s24, s42, 0x180
	v_add_co_ci_u32_e32 v17, vcc_lo, s21, v3, vcc_lo
	s_ashr_i32 s25, s24, 31
	s_delay_alu instid0(SALU_CYCLE_1)
	s_lshl_b64 s[24:25], s[24:25], 1
	s_cmpk_lt_i32 s22, 0x800
	v_add_co_u32 v18, vcc_lo, v1, s24
	s_cselect_b32 s26, s42, 0x1c0
	v_add_co_ci_u32_e32 v19, vcc_lo, s25, v3, vcc_lo
	s_ashr_i32 s27, s26, 31
	s_delay_alu instid0(SALU_CYCLE_1)
	s_lshl_b64 s[26:27], s[26:27], 1
	s_cmpk_lt_i32 s22, 0x900
	v_add_co_u32 v20, vcc_lo, v1, s26
	s_cselect_b32 s28, s42, 0x200
	v_add_co_ci_u32_e32 v21, vcc_lo, s27, v3, vcc_lo
	s_ashr_i32 s29, s28, 31
	s_clause 0x7
	global_load_u16 v13, v[4:5], off
	global_load_u16 v4, v[6:7], off
	;; [unrolled: 1-line block ×8, first 2 shown]
	s_lshl_b64 s[28:29], s[28:29], 1
	s_cmpk_lt_i32 s22, 0xa00
	v_add_co_u32 v11, vcc_lo, v1, s28
	s_cselect_b32 s30, s42, 0x240
	v_add_co_ci_u32_e32 v12, vcc_lo, s29, v3, vcc_lo
	s_ashr_i32 s31, s30, 31
	s_delay_alu instid0(SALU_CYCLE_1)
	s_lshl_b64 s[30:31], s[30:31], 1
	s_cmpk_lt_i32 s22, 0xb00
	v_add_co_u32 v14, vcc_lo, v1, s30
	s_cselect_b32 s34, s42, 0x280
	v_add_co_ci_u32_e32 v15, vcc_lo, s31, v3, vcc_lo
	s_ashr_i32 s35, s34, 31
	s_delay_alu instid0(SALU_CYCLE_1)
	;; [unrolled: 7-line block ×7, first 2 shown]
	s_lshl_b64 s[4:5], s[6:7], 1
	s_cmpk_gt_i32 s23, 0x1000
	v_add_co_u32 v28, vcc_lo, v1, s4
	v_add_co_ci_u32_e32 v29, vcc_lo, s5, v3, vcc_lo
	s_clause 0x7
	global_load_u16 v19, v[11:12], off
	global_load_u16 v18, v[14:15], off
	;; [unrolled: 1-line block ×8, first 2 shown]
	v_dual_mov_b32 v20, 0 :: v_dual_mov_b32 v23, 0
	v_dual_mov_b32 v21, 0 :: v_dual_mov_b32 v22, 0
	;; [unrolled: 1-line block ×5, first 2 shown]
	s_cselect_b32 s6, -1, 0
	s_cmpk_lt_i32 s23, 0x1001
	s_waitcnt vmcnt(0) lgkmcnt(0)
	s_barrier
	buffer_gl0_inv
	s_cbranch_scc1 .LBB470_11
; %bb.10:
	s_cmpk_lt_i32 s22, 0x1100
	s_cselect_b32 s4, s42, 0x400
	s_delay_alu instid0(SALU_CYCLE_1) | instskip(NEXT) | instid1(SALU_CYCLE_1)
	s_ashr_i32 s5, s4, 31
	s_lshl_b64 s[4:5], s[4:5], 1
	s_cmpk_lt_i32 s22, 0x1200
	v_add_co_u32 v20, vcc_lo, v1, s4
	s_cselect_b32 s8, s42, 0x440
	v_add_co_ci_u32_e32 v21, vcc_lo, s5, v3, vcc_lo
	s_ashr_i32 s9, s8, 31
	s_delay_alu instid0(SALU_CYCLE_1)
	s_lshl_b64 s[8:9], s[8:9], 1
	s_cmpk_lt_i32 s22, 0x1300
	v_add_co_u32 v22, vcc_lo, v1, s8
	s_cselect_b32 s10, s42, 0x480
	v_add_co_ci_u32_e32 v23, vcc_lo, s9, v3, vcc_lo
	s_ashr_i32 s11, s10, 31
	s_delay_alu instid0(SALU_CYCLE_1)
	;; [unrolled: 7-line block ×14, first 2 shown]
	s_lshl_b64 s[4:5], s[18:19], 1
	s_cmpk_lt_i32 s22, 0x2000
	v_add_co_u32 v48, vcc_lo, v1, s4
	s_cselect_b32 s8, s42, 0x7c0
	v_add_co_ci_u32_e32 v49, vcc_lo, s5, v3, vcc_lo
	s_ashr_i32 s9, s8, 31
	s_delay_alu instid0(SALU_CYCLE_1) | instskip(NEXT) | instid1(SALU_CYCLE_1)
	s_lshl_b64 s[4:5], s[8:9], 1
	v_add_co_u32 v50, vcc_lo, v1, s4
	v_add_co_ci_u32_e32 v51, vcc_lo, s5, v3, vcc_lo
	s_clause 0xf
	global_load_u16 v20, v[20:21], off
	global_load_u16 v21, v[22:23], off
	;; [unrolled: 1-line block ×16, first 2 shown]
	s_waitcnt vmcnt(15)
	v_lshlrev_b32_e32 v35, 16, v20
	s_waitcnt vmcnt(14)
	v_lshlrev_b32_e32 v34, 16, v21
	s_waitcnt vmcnt(13)
	v_lshlrev_b32_e32 v33, 16, v22
	s_waitcnt vmcnt(12)
	v_lshlrev_b32_e32 v32, 16, v23
	s_waitcnt vmcnt(11)
	v_lshlrev_b32_e32 v31, 16, v24
	s_waitcnt vmcnt(10)
	v_lshlrev_b32_e32 v30, 16, v25
	s_waitcnt vmcnt(9)
	v_lshlrev_b32_e32 v29, 16, v26
	s_waitcnt vmcnt(8)
	v_lshlrev_b32_e32 v28, 16, v27
	s_waitcnt vmcnt(7)
	v_lshlrev_b32_e32 v27, 16, v36
	s_waitcnt vmcnt(6)
	v_lshlrev_b32_e32 v26, 16, v37
	s_waitcnt vmcnt(5)
	v_lshlrev_b32_e32 v25, 16, v38
	s_waitcnt vmcnt(4)
	v_lshlrev_b32_e32 v24, 16, v39
	s_waitcnt vmcnt(3)
	v_lshlrev_b32_e32 v23, 16, v40
	s_waitcnt vmcnt(2)
	v_lshlrev_b32_e32 v22, 16, v41
	s_waitcnt vmcnt(1)
	v_lshlrev_b32_e32 v21, 16, v42
	s_waitcnt vmcnt(0)
	v_lshlrev_b32_e32 v20, 16, v43
.LBB470_11:
	ds_load_b128 v[36:39], v2
	ds_load_b128 v[40:43], v2 offset:16
	v_lshlrev_b32_e32 v44, 16, v4
	v_lshlrev_b32_e32 v13, 16, v13
	;; [unrolled: 1-line block ×5, first 2 shown]
	s_load_b64 s[0:1], s[0:1], 0x0
	s_and_b32 vcc_lo, exec_lo, s6
	v_lshlrev_b32_e32 v5, 16, v5
	s_waitcnt lgkmcnt(0)
	v_fma_f32 v4, v36, v13, 0
	s_delay_alu instid0(VALU_DEP_1) | instskip(NEXT) | instid1(VALU_DEP_1)
	v_dual_fmac_f32 v4, v37, v44 :: v_dual_lshlrev_b32 v13, 16, v7
	v_dual_fmac_f32 v4, v38, v10 :: v_dual_lshlrev_b32 v9, 16, v9
	s_delay_alu instid0(VALU_DEP_1) | instskip(SKIP_4) | instid1(VALU_DEP_1)
	v_fmac_f32_e32 v4, v39, v9
	ds_load_b128 v[36:39], v2 offset:48
	v_fmac_f32_e32 v4, v40, v8
	ds_load_b128 v[7:10], v2 offset:32
	v_fmac_f32_e32 v4, v41, v13
	v_fmac_f32_e32 v4, v42, v6
	v_lshlrev_b32_e32 v6, 16, v19
	s_delay_alu instid0(VALU_DEP_2) | instskip(SKIP_1) | instid1(VALU_DEP_1)
	v_dual_fmac_f32 v4, v43, v5 :: v_dual_lshlrev_b32 v5, 16, v18
	s_waitcnt lgkmcnt(0)
	v_fmac_f32_e32 v4, v7, v6
	v_lshlrev_b32_e32 v6, 16, v17
	s_delay_alu instid0(VALU_DEP_2) | instskip(NEXT) | instid1(VALU_DEP_1)
	v_dual_fmac_f32 v4, v8, v5 :: v_dual_lshlrev_b32 v5, 16, v16
	v_fmac_f32_e32 v4, v9, v6
	v_lshlrev_b32_e32 v6, 16, v15
	s_delay_alu instid0(VALU_DEP_2) | instskip(NEXT) | instid1(VALU_DEP_1)
	v_dual_fmac_f32 v4, v10, v5 :: v_dual_lshlrev_b32 v5, 16, v14
	;; [unrolled: 4-line block ×3, first 2 shown]
	v_fmac_f32_e32 v4, v38, v6
	s_delay_alu instid0(VALU_DEP_1)
	v_fmac_f32_e32 v4, v39, v5
	s_cbranch_vccz .LBB470_13
; %bb.12:
	ds_load_b128 v[5:8], v2 offset:64
	ds_load_b128 v[9:12], v2 offset:80
	s_waitcnt lgkmcnt(1)
	v_fmac_f32_e32 v4, v5, v35
	s_delay_alu instid0(VALU_DEP_1) | instskip(NEXT) | instid1(VALU_DEP_1)
	v_fmac_f32_e32 v4, v6, v34
	v_fmac_f32_e32 v4, v7, v33
	s_delay_alu instid0(VALU_DEP_1) | instskip(SKIP_3) | instid1(VALU_DEP_1)
	v_fmac_f32_e32 v4, v8, v32
	ds_load_b128 v[5:8], v2 offset:96
	s_waitcnt lgkmcnt(1)
	v_fmac_f32_e32 v4, v9, v31
	v_fmac_f32_e32 v4, v10, v30
	s_delay_alu instid0(VALU_DEP_1) | instskip(NEXT) | instid1(VALU_DEP_1)
	v_fmac_f32_e32 v4, v11, v29
	v_fmac_f32_e32 v4, v12, v28
	ds_load_b128 v[9:12], v2 offset:112
	s_waitcnt lgkmcnt(1)
	v_fmac_f32_e32 v4, v5, v27
	s_delay_alu instid0(VALU_DEP_1) | instskip(NEXT) | instid1(VALU_DEP_1)
	v_fmac_f32_e32 v4, v6, v26
	v_fmac_f32_e32 v4, v7, v25
	s_delay_alu instid0(VALU_DEP_1) | instskip(SKIP_1) | instid1(VALU_DEP_1)
	v_fmac_f32_e32 v4, v8, v24
	s_waitcnt lgkmcnt(0)
	v_fmac_f32_e32 v4, v9, v23
	s_delay_alu instid0(VALU_DEP_1) | instskip(NEXT) | instid1(VALU_DEP_1)
	v_fmac_f32_e32 v4, v10, v22
	v_fmac_f32_e32 v4, v11, v21
	s_delay_alu instid0(VALU_DEP_1)
	v_fmac_f32_e32 v4, v12, v20
.LBB470_13:
	s_movk_i32 s43, 0xfc0
	s_movk_i32 s44, 0x80
	s_mov_b32 s45, 32
	s_branch .LBB470_15
.LBB470_14:                             ;   in Loop: Header=BB470_15 Depth=1
	s_addk_i32 s43, 0x800
	s_addk_i32 s44, 0x80
	s_add_i32 s45, s45, 32
	s_cmpk_eq_i32 s43, 0x4fc0
	s_cbranch_scc1 .LBB470_17
.LBB470_15:                             ; =>This Inner Loop Header: Depth=1
	s_cmp_le_i32 s40, s45
	s_cbranch_scc1 .LBB470_14
; %bb.16:                               ;   in Loop: Header=BB470_15 Depth=1
	s_add_i32 s4, s43, 0xfffff840
	v_mov_b32_e32 v44, s44
	s_cmp_lt_i32 s4, s41
	s_cselect_b32 s4, s4, s42
	s_add_i32 s6, s43, 0xfffff880
	s_ashr_i32 s5, s4, 31
	s_delay_alu instid0(SALU_CYCLE_1)
	s_lshl_b64 s[38:39], s[4:5], 1
	s_cmp_lt_i32 s6, s41
	v_add_co_u32 v5, vcc_lo, v1, s38
	s_cselect_b32 s4, s6, s42
	s_add_i32 s6, s43, 0xfffff8c0
	s_ashr_i32 s5, s4, 31
	v_add_co_ci_u32_e32 v6, vcc_lo, s39, v3, vcc_lo
	s_lshl_b64 s[4:5], s[4:5], 1
	s_cmp_lt_i32 s6, s41
	s_cselect_b32 s6, s6, s42
	s_add_i32 s8, s43, 0xfffff900
	s_ashr_i32 s7, s6, 31
	global_load_u16 v2, v[5:6], off
	s_lshl_b64 s[6:7], s[6:7], 1
	s_cmp_lt_i32 s8, s41
	v_add_co_u32 v5, vcc_lo, v1, s4
	s_cselect_b32 s8, s8, s42
	s_add_i32 s10, s43, 0xfffff940
	s_ashr_i32 s9, s8, 31
	v_add_co_ci_u32_e32 v6, vcc_lo, s5, v3, vcc_lo
	s_lshl_b64 s[8:9], s[8:9], 1
	s_cmp_lt_i32 s10, s41
	v_add_co_u32 v7, vcc_lo, v1, s6
	s_cselect_b32 s10, s10, s42
	s_add_i32 s18, s43, 0xfffff980
	s_ashr_i32 s11, s10, 31
	v_add_co_ci_u32_e32 v8, vcc_lo, s7, v3, vcc_lo
	s_lshl_b64 s[10:11], s[10:11], 1
	s_cmp_lt_i32 s18, s41
	v_add_co_u32 v9, vcc_lo, v1, s8
	s_cselect_b32 s18, s18, s42
	s_add_i32 s20, s43, 0xfffff9c0
	s_ashr_i32 s19, s18, 31
	s_clause 0x1
	global_load_u16 v23, v[5:6], off
	global_load_u16 v24, v[7:8], off
	s_lshl_b64 s[18:19], s[18:19], 1
	s_cmp_lt_i32 s20, s41
	v_add_co_ci_u32_e32 v10, vcc_lo, s9, v3, vcc_lo
	s_cselect_b32 s20, s20, s42
	s_add_i32 s22, s43, 0xfffffa00
	s_ashr_i32 s21, s20, 31
	global_load_u16 v25, v[9:10], off
	s_lshl_b64 s[20:21], s[20:21], 1
	s_cmp_lt_i32 s22, s41
	v_add_co_u32 v11, vcc_lo, v1, s10
	s_cselect_b32 s22, s22, s42
	s_add_i32 s24, s43, 0xfffffa40
	s_ashr_i32 s23, s22, 31
	v_add_co_ci_u32_e32 v12, vcc_lo, s11, v3, vcc_lo
	s_lshl_b64 s[22:23], s[22:23], 1
	s_cmp_lt_i32 s24, s41
	v_add_co_u32 v13, vcc_lo, v1, s18
	global_load_u16 v26, v[11:12], off
	s_cselect_b32 s24, s24, s42
	s_add_i32 s26, s43, 0xfffffa80
	s_ashr_i32 s25, s24, 31
	v_add_co_ci_u32_e32 v14, vcc_lo, s19, v3, vcc_lo
	s_lshl_b64 s[24:25], s[24:25], 1
	s_cmp_lt_i32 s26, s41
	v_add_co_u32 v15, vcc_lo, v1, s20
	global_load_u16 v27, v[13:14], off
	s_cselect_b32 s26, s26, s42
	s_add_i32 s28, s43, 0xfffffac0
	s_ashr_i32 s27, s26, 31
	v_add_co_ci_u32_e32 v16, vcc_lo, s21, v3, vcc_lo
	s_lshl_b64 s[36:37], s[26:27], 1
	s_cmp_lt_i32 s28, s41
	v_add_co_u32 v17, vcc_lo, v1, s22
	s_cselect_b32 s26, s28, s42
	s_add_i32 s30, s43, 0xfffffb00
	s_ashr_i32 s27, s26, 31
	v_add_co_ci_u32_e32 v18, vcc_lo, s23, v3, vcc_lo
	s_lshl_b64 s[28:29], s[26:27], 1
	s_cmp_lt_i32 s30, s41
	v_add_co_u32 v19, vcc_lo, v1, s24
	global_load_u16 v17, v[17:18], off
	s_cselect_b32 s26, s30, s42
	s_add_i32 s30, s43, 0xfffffb40
	s_ashr_i32 s27, s26, 31
	v_add_co_ci_u32_e32 v20, vcc_lo, s25, v3, vcc_lo
	s_lshl_b64 s[26:27], s[26:27], 1
	s_cmp_lt_i32 s30, s41
	v_add_co_u32 v21, vcc_lo, v1, s36
	s_cselect_b32 s30, s30, s42
	s_add_i32 s46, s43, 0xfffffb80
	s_ashr_i32 s31, s30, 31
	v_add_co_ci_u32_e32 v22, vcc_lo, s37, v3, vcc_lo
	s_lshl_b64 s[34:35], s[30:31], 1
	s_cmp_lt_i32 s46, s41
	v_add_co_u32 v5, vcc_lo, v1, s28
	;; [unrolled: 7-line block ×3, first 2 shown]
	s_cselect_b32 s46, s46, s42
	s_add_i32 s48, s43, 0xfffffc00
	s_ashr_i32 s47, s46, 31
	global_load_u16 v28, v[15:16], off
	s_lshl_b64 s[38:39], s[46:47], 1
	s_cmp_lt_i32 s48, s41
	v_add_co_ci_u32_e32 v8, vcc_lo, s27, v3, vcc_lo
	s_cselect_b32 s46, s48, s42
	v_add_co_u32 v9, vcc_lo, v1, s34
	s_ashr_i32 s47, s46, 31
	s_add_i32 s4, s43, 0xfffffc40
	s_lshl_b64 s[46:47], s[46:47], 1
	v_add_co_ci_u32_e32 v10, vcc_lo, s35, v3, vcc_lo
	s_cmp_lt_i32 s4, s41
	v_add_co_u32 v11, vcc_lo, v1, s30
	s_cselect_b32 s4, s4, s42
	v_add_co_ci_u32_e32 v12, vcc_lo, s31, v3, vcc_lo
	v_add_co_u32 v13, vcc_lo, v1, s38
	s_ashr_i32 s5, s4, 31
	s_add_i32 s6, s43, 0xfffffc80
	v_add_co_ci_u32_e32 v14, vcc_lo, s39, v3, vcc_lo
	global_load_u16 v18, v[19:20], off
	s_lshl_b64 s[8:9], s[4:5], 1
	s_cmp_lt_i32 s6, s41
	global_load_u16 v30, v[13:14], off
	s_cselect_b32 s4, s6, s42
	global_load_u16 v19, v[21:22], off
	s_ashr_i32 s5, s4, 31
	s_add_i32 s6, s43, 0xfffffcc0
	s_lshl_b64 s[10:11], s[4:5], 1
	s_cmp_lt_i32 s6, s41
	s_clause 0x3
	global_load_u16 v20, v[5:6], off
	global_load_u16 v21, v[7:8], off
	;; [unrolled: 1-line block ×4, first 2 shown]
	s_cselect_b32 s4, s6, s42
	s_add_i32 s6, s43, 0xfffffd00
	s_ashr_i32 s5, s4, 31
	v_add_co_u32 v15, vcc_lo, v1, s46
	s_lshl_b64 s[4:5], s[4:5], 1
	s_cmp_lt_i32 s6, s41
	v_add_co_ci_u32_e32 v16, vcc_lo, s47, v3, vcc_lo
	s_cselect_b32 s6, s6, s42
	s_add_i32 s18, s43, 0xfffffd40
	s_ashr_i32 s7, s6, 31
	v_add_co_u32 v5, vcc_lo, v1, s8
	s_lshl_b64 s[6:7], s[6:7], 1
	s_cmp_lt_i32 s18, s41
	v_add_co_ci_u32_e32 v6, vcc_lo, s9, v3, vcc_lo
	s_cselect_b32 s18, s18, s42
	v_add_co_u32 v7, vcc_lo, v1, s10
	s_ashr_i32 s19, s18, 31
	s_add_i32 s20, s43, 0xfffffd80
	s_lshl_b64 s[18:19], s[18:19], 1
	v_add_co_ci_u32_e32 v8, vcc_lo, s11, v3, vcc_lo
	s_cmp_lt_i32 s20, s41
	v_add_co_u32 v9, vcc_lo, v1, s4
	s_cselect_b32 s20, s20, s42
	v_add_co_ci_u32_e32 v10, vcc_lo, s5, v3, vcc_lo
	v_add_co_u32 v11, vcc_lo, v1, s6
	s_ashr_i32 s21, s20, 31
	s_add_i32 s22, s43, 0xfffffdc0
	v_add_co_ci_u32_e32 v12, vcc_lo, s7, v3, vcc_lo
	global_load_u16 v15, v[15:16], off
	s_lshl_b64 s[20:21], s[20:21], 1
	s_cmp_lt_i32 s22, s41
	global_load_u16 v33, v[11:12], off
	s_cselect_b32 s22, s22, s42
	s_clause 0x2
	global_load_u16 v16, v[5:6], off
	global_load_u16 v31, v[7:8], off
	;; [unrolled: 1-line block ×3, first 2 shown]
	s_ashr_i32 s23, s22, 31
	s_add_i32 s24, s43, 0xfffffe00
	s_lshl_b64 s[22:23], s[22:23], 1
	s_cmp_lt_i32 s24, s41
	v_add_co_u32 v13, vcc_lo, v1, s18
	s_cselect_b32 s24, s24, s42
	s_add_i32 s26, s43, 0xfffffe40
	s_ashr_i32 s25, s24, 31
	v_add_co_ci_u32_e32 v14, vcc_lo, s19, v3, vcc_lo
	s_lshl_b64 s[24:25], s[24:25], 1
	s_cmp_lt_i32 s26, s41
	v_add_co_u32 v5, vcc_lo, v1, s20
	s_cselect_b32 s8, s26, s42
	v_add_co_ci_u32_e32 v6, vcc_lo, s21, v3, vcc_lo
	s_ashr_i32 s9, s8, 31
	v_add_co_u32 v7, vcc_lo, v1, s22
	s_add_i32 s10, s43, 0xfffffe80
	s_lshl_b64 s[8:9], s[8:9], 1
	v_add_co_ci_u32_e32 v8, vcc_lo, s23, v3, vcc_lo
	s_cmp_lt_i32 s10, s41
	v_add_co_u32 v9, vcc_lo, v1, s24
	s_cselect_b32 s4, s10, s42
	global_load_u16 v13, v[13:14], off
	v_add_co_ci_u32_e32 v10, vcc_lo, s25, v3, vcc_lo
	s_ashr_i32 s5, s4, 31
	s_add_i32 s6, s43, 0xfffffec0
	s_lshl_b64 s[4:5], s[4:5], 1
	global_load_u16 v35, v[9:10], off
	s_cmp_lt_i32 s6, s41
	s_clause 0x1
	global_load_u16 v14, v[5:6], off
	global_load_u16 v34, v[7:8], off
	s_cselect_b32 s6, s6, s42
	s_add_i32 s10, s43, 0xffffff00
	s_ashr_i32 s7, s6, 31
	v_add_co_u32 v5, vcc_lo, v1, s8
	s_lshl_b64 s[6:7], s[6:7], 1
	s_cmp_lt_i32 s10, s41
	v_add_co_ci_u32_e32 v6, vcc_lo, s9, v3, vcc_lo
	s_cselect_b32 s10, s10, s42
	v_add_co_u32 v7, vcc_lo, v1, s4
	s_ashr_i32 s11, s10, 31
	v_add_co_ci_u32_e32 v8, vcc_lo, s5, v3, vcc_lo
	s_add_i32 s18, s43, 0xffffff40
	s_lshl_b64 s[10:11], s[10:11], 1
	s_cmp_lt_i32 s18, s41
	s_clause 0x1
	global_load_u16 v36, v[5:6], off
	global_load_u16 v37, v[7:8], off
	s_cselect_b32 s18, s18, s42
	v_add_co_u32 v5, vcc_lo, v1, s6
	s_ashr_i32 s19, s18, 31
	v_add_co_ci_u32_e32 v6, vcc_lo, s7, v3, vcc_lo
	s_add_i32 s20, s43, 0xffffff80
	v_add_co_u32 v7, vcc_lo, v1, s10
	s_lshl_b64 s[8:9], s[18:19], 1
	s_cmp_lt_i32 s20, s41
	v_add_co_ci_u32_e32 v8, vcc_lo, s11, v3, vcc_lo
	s_cselect_b32 s4, s20, s42
	global_load_u16 v38, v[5:6], off
	s_ashr_i32 s5, s4, 31
	global_load_u16 v39, v[7:8], off
	s_sub_i32 s18, s43, 64
	v_add_co_u32 v5, vcc_lo, v1, s8
	s_lshl_b64 s[4:5], s[4:5], 1
	s_cmp_lt_i32 s18, s41
	v_add_co_ci_u32_e32 v6, vcc_lo, s9, v3, vcc_lo
	v_add_co_u32 v7, vcc_lo, v1, s4
	s_cselect_b32 s6, s18, s42
	v_add_co_ci_u32_e32 v8, vcc_lo, s5, v3, vcc_lo
	s_ashr_i32 s7, s6, 31
	global_load_u16 v40, v[5:6], off
	s_lshl_b64 s[6:7], s[6:7], 1
	global_load_u16 v41, v[7:8], off
	s_cmp_lt_i32 s43, s41
	v_add_co_u32 v5, vcc_lo, v1, s6
	s_cselect_b32 s4, s43, s42
	v_add_co_ci_u32_e32 v6, vcc_lo, s7, v3, vcc_lo
	s_ashr_i32 s5, s4, 31
	s_delay_alu instid0(SALU_CYCLE_1)
	s_lshl_b64 s[4:5], s[4:5], 1
	global_load_u16 v42, v[5:6], off
	v_add_co_u32 v5, vcc_lo, v1, s4
	v_add_co_ci_u32_e32 v6, vcc_lo, s5, v3, vcc_lo
	global_load_u16 v43, v[5:6], off
	ds_load_b128 v[5:8], v44
	ds_load_b128 v[9:12], v44 offset:16
	s_waitcnt vmcnt(31)
	v_lshlrev_b32_e32 v2, 16, v2
	s_waitcnt lgkmcnt(1)
	s_delay_alu instid0(VALU_DEP_1) | instskip(SKIP_2) | instid1(VALU_DEP_1)
	v_fmac_f32_e32 v4, v5, v2
	s_waitcnt vmcnt(30)
	v_lshlrev_b32_e32 v2, 16, v23
	v_fmac_f32_e32 v4, v6, v2
	s_waitcnt vmcnt(29)
	v_lshlrev_b32_e32 v2, 16, v24
	s_delay_alu instid0(VALU_DEP_1) | instskip(SKIP_2) | instid1(VALU_DEP_1)
	v_fmac_f32_e32 v4, v7, v2
	s_waitcnt vmcnt(28)
	v_lshlrev_b32_e32 v2, 16, v25
	v_fmac_f32_e32 v4, v8, v2
	ds_load_b128 v[5:8], v44 offset:32
	s_waitcnt vmcnt(27)
	v_lshlrev_b32_e32 v2, 16, v26
	s_waitcnt lgkmcnt(1)
	s_delay_alu instid0(VALU_DEP_1) | instskip(SKIP_2) | instid1(VALU_DEP_1)
	v_fmac_f32_e32 v4, v9, v2
	s_waitcnt vmcnt(26)
	v_lshlrev_b32_e32 v2, 16, v27
	v_fmac_f32_e32 v4, v10, v2
	s_waitcnt vmcnt(24)
	v_lshlrev_b32_e32 v2, 16, v28
	s_delay_alu instid0(VALU_DEP_1) | instskip(SKIP_1) | instid1(VALU_DEP_1)
	v_fmac_f32_e32 v4, v11, v2
	v_lshlrev_b32_e32 v2, 16, v17
	v_fmac_f32_e32 v4, v12, v2
	ds_load_b128 v[9:12], v44 offset:48
	s_waitcnt vmcnt(23)
	v_lshlrev_b32_e32 v2, 16, v18
	s_waitcnt lgkmcnt(1)
	s_delay_alu instid0(VALU_DEP_1) | instskip(SKIP_2) | instid1(VALU_DEP_1)
	v_fmac_f32_e32 v4, v5, v2
	s_waitcnt vmcnt(21)
	v_lshlrev_b32_e32 v2, 16, v19
	v_fmac_f32_e32 v4, v6, v2
	s_waitcnt vmcnt(20)
	v_lshlrev_b32_e32 v2, 16, v20
	s_delay_alu instid0(VALU_DEP_1) | instskip(SKIP_2) | instid1(VALU_DEP_1)
	v_fmac_f32_e32 v4, v7, v2
	s_waitcnt vmcnt(19)
	v_lshlrev_b32_e32 v2, 16, v21
	v_fmac_f32_e32 v4, v8, v2
	s_waitcnt vmcnt(18)
	v_lshlrev_b32_e32 v2, 16, v22
	ds_load_b128 v[5:8], v44 offset:64
	s_waitcnt lgkmcnt(1)
	v_fmac_f32_e32 v4, v9, v2
	s_waitcnt vmcnt(17)
	v_lshlrev_b32_e32 v2, 16, v29
	s_delay_alu instid0(VALU_DEP_1) | instskip(SKIP_1) | instid1(VALU_DEP_1)
	v_fmac_f32_e32 v4, v10, v2
	v_lshlrev_b32_e32 v2, 16, v30
	v_fmac_f32_e32 v4, v11, v2
	s_waitcnt vmcnt(16)
	v_lshlrev_b32_e32 v2, 16, v15
	s_delay_alu instid0(VALU_DEP_1) | instskip(SKIP_4) | instid1(VALU_DEP_1)
	v_fmac_f32_e32 v4, v12, v2
	ds_load_b128 v[9:12], v44 offset:80
	s_waitcnt vmcnt(14)
	v_lshlrev_b32_e32 v2, 16, v16
	s_waitcnt lgkmcnt(1)
	v_fmac_f32_e32 v4, v5, v2
	s_waitcnt vmcnt(13)
	v_lshlrev_b32_e32 v2, 16, v31
	s_delay_alu instid0(VALU_DEP_1) | instskip(SKIP_2) | instid1(VALU_DEP_1)
	v_fmac_f32_e32 v4, v6, v2
	s_waitcnt vmcnt(12)
	v_lshlrev_b32_e32 v2, 16, v32
	v_fmac_f32_e32 v4, v7, v2
	v_lshlrev_b32_e32 v2, 16, v33
	s_delay_alu instid0(VALU_DEP_1) | instskip(SKIP_4) | instid1(VALU_DEP_1)
	v_fmac_f32_e32 v4, v8, v2
	ds_load_b128 v[5:8], v44 offset:96
	s_waitcnt vmcnt(11)
	v_lshlrev_b32_e32 v2, 16, v13
	s_waitcnt lgkmcnt(1)
	v_fmac_f32_e32 v4, v9, v2
	s_waitcnt vmcnt(9)
	v_lshlrev_b32_e32 v2, 16, v14
	s_delay_alu instid0(VALU_DEP_1) | instskip(SKIP_2) | instid1(VALU_DEP_1)
	v_fmac_f32_e32 v4, v10, v2
	s_waitcnt vmcnt(8)
	v_lshlrev_b32_e32 v2, 16, v34
	v_fmac_f32_e32 v4, v11, v2
	;; [unrolled: 15-line block ×3, first 2 shown]
	s_waitcnt vmcnt(4)
	v_lshlrev_b32_e32 v2, 16, v39
	s_delay_alu instid0(VALU_DEP_1) | instskip(SKIP_3) | instid1(VALU_DEP_1)
	v_fmac_f32_e32 v4, v8, v2
	s_waitcnt vmcnt(3)
	v_lshlrev_b32_e32 v2, 16, v40
	s_waitcnt lgkmcnt(0)
	v_fmac_f32_e32 v4, v9, v2
	s_waitcnt vmcnt(2)
	v_lshlrev_b32_e32 v2, 16, v41
	s_delay_alu instid0(VALU_DEP_1) | instskip(SKIP_2) | instid1(VALU_DEP_1)
	v_fmac_f32_e32 v4, v10, v2
	s_waitcnt vmcnt(1)
	v_lshlrev_b32_e32 v2, 16, v42
	v_fmac_f32_e32 v4, v11, v2
	s_waitcnt vmcnt(0)
	v_lshlrev_b32_e32 v2, 16, v43
	s_delay_alu instid0(VALU_DEP_1)
	v_fmac_f32_e32 v4, v12, v2
	s_branch .LBB470_14
.LBB470_17:
	v_mov_b32_e32 v1, 0
	s_and_b32 vcc_lo, exec_lo, s15
	ds_load_b32 v1, v1 offset:1152
	s_cbranch_vccz .LBB470_19
; %bb.18:
	s_add_u32 s2, s12, s16
	s_addc_u32 s3, s13, s17
	s_load_b32 s2, s[2:3], 0x0
	s_mov_b32 s3, 0
.LBB470_19:
	s_waitcnt lgkmcnt(0)
	v_add_f32_e32 v1, 0x358637bd, v1
	s_delay_alu instid0(VALU_DEP_1) | instskip(NEXT) | instid1(VALU_DEP_1)
	v_div_scale_f32 v2, null, v1, v1, 1.0
	v_rcp_f32_e32 v3, v2
	s_waitcnt_depctr 0xfff
	v_fma_f32 v5, -v2, v3, 1.0
	s_delay_alu instid0(VALU_DEP_1) | instskip(SKIP_1) | instid1(VALU_DEP_1)
	v_fmac_f32_e32 v3, v5, v3
	v_div_scale_f32 v5, vcc_lo, 1.0, v1, 1.0
	v_mul_f32_e32 v6, v5, v3
	s_delay_alu instid0(VALU_DEP_1) | instskip(NEXT) | instid1(VALU_DEP_1)
	v_fma_f32 v7, -v2, v6, v5
	v_fmac_f32_e32 v6, v7, v3
	s_delay_alu instid0(VALU_DEP_1) | instskip(NEXT) | instid1(VALU_DEP_1)
	v_fma_f32 v2, -v2, v6, v5
	v_div_fmas_f32 v2, v2, v3, v6
	s_delay_alu instid0(VALU_DEP_1) | instskip(NEXT) | instid1(VALU_DEP_1)
	v_div_fixup_f32 v1, v2, v1, 1.0
	v_mul_f32_e32 v2, v4, v1
	s_delay_alu instid0(VALU_DEP_1) | instskip(NEXT) | instid1(VALU_DEP_1)
	v_and_b32_e32 v1, 0x7f800000, v2
	v_cmp_ne_u32_e32 vcc_lo, 0x7f800000, v1
                                        ; implicit-def: $vgpr1
	s_and_saveexec_b32 s4, vcc_lo
	s_delay_alu instid0(SALU_CYCLE_1)
	s_xor_b32 s4, exec_lo, s4
; %bb.20:
	v_bfe_u32 v1, v2, 16, 1
	s_delay_alu instid0(VALU_DEP_1)
	v_add3_u32 v1, v2, v1, 0x7fff
                                        ; implicit-def: $vgpr2
; %bb.21:
	s_and_not1_saveexec_b32 s4, s4
; %bb.22:
	v_and_b32_e32 v1, 0xffff, v2
	v_or_b32_e32 v3, 0x10000, v2
	s_delay_alu instid0(VALU_DEP_2) | instskip(NEXT) | instid1(VALU_DEP_2)
	v_cmp_eq_u32_e32 vcc_lo, 0, v1
	v_cndmask_b32_e32 v1, v3, v2, vcc_lo
; %bb.23:
	s_or_b32 exec_lo, exec_lo, s4
	s_mul_i32 s3, s33, s3
	s_mul_hi_u32 s4, s33, s2
	s_mul_i32 s2, s33, s2
	s_add_i32 s3, s4, s3
	s_mov_b32 s15, 0
	s_lshl_b64 s[2:3], s[2:3], 7
	s_delay_alu instid0(SALU_CYCLE_1) | instskip(SKIP_2) | instid1(SALU_CYCLE_1)
	s_add_u32 s2, s0, s2
	s_addc_u32 s3, s1, s3
	s_lshl_b64 s[0:1], s[14:15], 7
	s_add_u32 s0, s2, s0
	s_addc_u32 s1, s3, s1
	global_store_d16_hi_b16 v0, v1, s[0:1]
	s_nop 0
	s_sendmsg sendmsg(MSG_DEALLOC_VGPRS)
	s_endpgm
.LBB470_24:
	s_mov_b32 s4, 0
	s_branch .LBB470_2
	.section	.rodata,"a",@progbits
	.p2align	6, 0x0
	.amdhsa_kernel _Z35paged_attention_ll4mi_reduce_kernelI14__hip_bfloat16S0_Li64ELi64ELi256ELi9EEvPT0_PKfS4_PKT_PKiS9_iS4_
		.amdhsa_group_segment_fixed_size 1156
		.amdhsa_private_segment_fixed_size 0
		.amdhsa_kernarg_size 320
		.amdhsa_user_sgpr_count 14
		.amdhsa_user_sgpr_dispatch_ptr 0
		.amdhsa_user_sgpr_queue_ptr 0
		.amdhsa_user_sgpr_kernarg_segment_ptr 1
		.amdhsa_user_sgpr_dispatch_id 0
		.amdhsa_user_sgpr_private_segment_size 0
		.amdhsa_wavefront_size32 1
		.amdhsa_uses_dynamic_stack 0
		.amdhsa_enable_private_segment 0
		.amdhsa_system_sgpr_workgroup_id_x 1
		.amdhsa_system_sgpr_workgroup_id_y 1
		.amdhsa_system_sgpr_workgroup_id_z 0
		.amdhsa_system_sgpr_workgroup_info 0
		.amdhsa_system_vgpr_workitem_id 0
		.amdhsa_next_free_vgpr 52
		.amdhsa_next_free_sgpr 49
		.amdhsa_reserve_vcc 1
		.amdhsa_float_round_mode_32 0
		.amdhsa_float_round_mode_16_64 0
		.amdhsa_float_denorm_mode_32 3
		.amdhsa_float_denorm_mode_16_64 3
		.amdhsa_dx10_clamp 1
		.amdhsa_ieee_mode 1
		.amdhsa_fp16_overflow 0
		.amdhsa_workgroup_processor_mode 1
		.amdhsa_memory_ordered 1
		.amdhsa_forward_progress 0
		.amdhsa_shared_vgpr_count 0
		.amdhsa_exception_fp_ieee_invalid_op 0
		.amdhsa_exception_fp_denorm_src 0
		.amdhsa_exception_fp_ieee_div_zero 0
		.amdhsa_exception_fp_ieee_overflow 0
		.amdhsa_exception_fp_ieee_underflow 0
		.amdhsa_exception_fp_ieee_inexact 0
		.amdhsa_exception_int_div_zero 0
	.end_amdhsa_kernel
	.section	.text._Z35paged_attention_ll4mi_reduce_kernelI14__hip_bfloat16S0_Li64ELi64ELi256ELi9EEvPT0_PKfS4_PKT_PKiS9_iS4_,"axG",@progbits,_Z35paged_attention_ll4mi_reduce_kernelI14__hip_bfloat16S0_Li64ELi64ELi256ELi9EEvPT0_PKfS4_PKT_PKiS9_iS4_,comdat
.Lfunc_end470:
	.size	_Z35paged_attention_ll4mi_reduce_kernelI14__hip_bfloat16S0_Li64ELi64ELi256ELi9EEvPT0_PKfS4_PKT_PKiS9_iS4_, .Lfunc_end470-_Z35paged_attention_ll4mi_reduce_kernelI14__hip_bfloat16S0_Li64ELi64ELi256ELi9EEvPT0_PKfS4_PKT_PKiS9_iS4_
                                        ; -- End function
	.section	.AMDGPU.csdata,"",@progbits
; Kernel info:
; codeLenInByte = 6828
; NumSgprs: 51
; NumVgprs: 52
; ScratchSize: 0
; MemoryBound: 0
; FloatMode: 240
; IeeeMode: 1
; LDSByteSize: 1156 bytes/workgroup (compile time only)
; SGPRBlocks: 6
; VGPRBlocks: 6
; NumSGPRsForWavesPerEU: 51
; NumVGPRsForWavesPerEU: 52
; Occupancy: 16
; WaveLimiterHint : 0
; COMPUTE_PGM_RSRC2:SCRATCH_EN: 0
; COMPUTE_PGM_RSRC2:USER_SGPR: 14
; COMPUTE_PGM_RSRC2:TRAP_HANDLER: 0
; COMPUTE_PGM_RSRC2:TGID_X_EN: 1
; COMPUTE_PGM_RSRC2:TGID_Y_EN: 1
; COMPUTE_PGM_RSRC2:TGID_Z_EN: 0
; COMPUTE_PGM_RSRC2:TIDIG_COMP_CNT: 0
	.section	.text._Z35paged_attention_ll4mi_reduce_kernelI14__hip_bfloat16S0_Li64ELi64ELi256ELi10EEvPT0_PKfS4_PKT_PKiS9_iS4_,"axG",@progbits,_Z35paged_attention_ll4mi_reduce_kernelI14__hip_bfloat16S0_Li64ELi64ELi256ELi10EEvPT0_PKfS4_PKT_PKiS9_iS4_,comdat
	.protected	_Z35paged_attention_ll4mi_reduce_kernelI14__hip_bfloat16S0_Li64ELi64ELi256ELi10EEvPT0_PKfS4_PKT_PKiS9_iS4_ ; -- Begin function _Z35paged_attention_ll4mi_reduce_kernelI14__hip_bfloat16S0_Li64ELi64ELi256ELi10EEvPT0_PKfS4_PKT_PKiS9_iS4_
	.globl	_Z35paged_attention_ll4mi_reduce_kernelI14__hip_bfloat16S0_Li64ELi64ELi256ELi10EEvPT0_PKfS4_PKT_PKiS9_iS4_
	.p2align	8
	.type	_Z35paged_attention_ll4mi_reduce_kernelI14__hip_bfloat16S0_Li64ELi64ELi256ELi10EEvPT0_PKfS4_PKT_PKiS9_iS4_,@function
_Z35paged_attention_ll4mi_reduce_kernelI14__hip_bfloat16S0_Li64ELi64ELi256ELi10EEvPT0_PKfS4_PKT_PKiS9_iS4_: ; @_Z35paged_attention_ll4mi_reduce_kernelI14__hip_bfloat16S0_Li64ELi64ELi256ELi10EEvPT0_PKfS4_PKT_PKiS9_iS4_
; %bb.0:
	s_load_b64 s[12:13], s[0:1], 0x28
	s_mov_b32 s2, s15
	s_waitcnt lgkmcnt(0)
	s_cmp_lg_u64 s[12:13], 0
	s_cselect_b32 s15, -1, 0
	s_delay_alu instid0(SALU_CYCLE_1)
	s_and_b32 vcc_lo, exec_lo, s15
	s_cbranch_vccz .LBB471_24
; %bb.1:
	s_add_i32 s4, s2, 1
	s_mov_b32 s5, 0
	s_delay_alu instid0(SALU_CYCLE_1) | instskip(SKIP_4) | instid1(SALU_CYCLE_1)
	s_lshl_b64 s[6:7], s[4:5], 2
	s_mov_b32 s3, s5
	s_add_u32 s6, s12, s6
	s_addc_u32 s7, s13, s7
	s_lshl_b64 s[8:9], s[2:3], 2
	s_add_u32 s8, s12, s8
	s_addc_u32 s9, s13, s9
	s_clause 0x1
	s_load_b32 s4, s[6:7], 0x0
	s_load_b32 s6, s[8:9], 0x0
	s_waitcnt lgkmcnt(0)
	s_sub_i32 s4, s4, s6
	s_delay_alu instid0(SALU_CYCLE_1)
	s_cmp_eq_u32 s4, 1
	s_cselect_b32 s4, -1, 0
	s_cbranch_execnz .LBB471_3
.LBB471_2:
	s_mov_b32 s3, 0
	s_mov_b32 s4, -1
.LBB471_3:
	s_delay_alu instid0(SALU_CYCLE_1)
	s_and_not1_b32 vcc_lo, exec_lo, s4
	s_cbranch_vccz .LBB471_5
; %bb.4:
	s_endpgm
.LBB471_5:
	s_clause 0x1
	s_load_b128 s[4:7], s[0:1], 0x18
	s_load_b32 s9, s[0:1], 0x30
	s_lshl_b64 s[16:17], s[2:3], 2
	s_waitcnt lgkmcnt(0)
	s_add_u32 s6, s6, s16
	s_addc_u32 s7, s7, s17
	s_load_b32 s23, s[6:7], 0x0
	s_load_b32 s33, s[0:1], 0x40
	s_mul_i32 s7, s2, s9
	s_waitcnt lgkmcnt(0)
	s_add_i32 s22, s23, 0xff
	s_delay_alu instid0(SALU_CYCLE_1) | instskip(NEXT) | instid1(SALU_CYCLE_1)
	s_ashr_i32 s6, s22, 31
	s_lshr_b32 s6, s6, 24
	s_delay_alu instid0(SALU_CYCLE_1) | instskip(SKIP_4) | instid1(SALU_CYCLE_1)
	s_add_i32 s8, s22, s6
	s_mul_i32 s6, s14, s9
	s_mov_b32 s9, exec_lo
	v_cmpx_lt_u32_e32 31, v0
	s_xor_b32 s9, exec_lo, s9
	s_or_saveexec_b32 s24, s9
	v_mov_b32_e32 v1, s6
	s_ashr_i32 s40, s8, 8
	s_mul_i32 s18, s7, s33
	s_xor_b32 exec_lo, exec_lo, s24
	s_cbranch_execz .LBB471_9
; %bb.6:
	v_or_b32_e32 v2, 32, v0
	v_cmp_gt_i32_e32 vcc_lo, s40, v0
	s_add_i32 s25, s40, -1
	v_or_b32_e32 v4, 64, v0
	v_or_b32_e32 v6, 0x60, v0
	s_load_b128 s[8:11], s[0:1], 0x8
	v_cndmask_b32_e32 v1, s25, v0, vcc_lo
	v_cmp_gt_i32_e32 vcc_lo, s40, v2
	s_mov_b32 s19, 0
	v_or_b32_e32 v10, 0x120, v0
	s_lshl_b64 s[20:21], s[18:19], 2
	s_mov_b32 s7, s19
	v_cndmask_b32_e32 v3, s25, v2, vcc_lo
	v_cmp_gt_i32_e32 vcc_lo, s40, v4
	v_or_b32_e32 v2, 0x80, v0
	v_cndmask_b32_e32 v5, s25, v4, vcc_lo
	v_cmp_gt_i32_e32 vcc_lo, s40, v6
	v_or_b32_e32 v4, 0xa0, v0
	;; [unrolled: 3-line block ×3, first 2 shown]
	s_waitcnt lgkmcnt(0)
	s_add_u32 s19, s10, s20
	s_addc_u32 s26, s11, s21
	s_lshl_b64 s[10:11], s[6:7], 2
	v_cndmask_b32_e32 v9, s25, v2, vcc_lo
	v_or_b32_e32 v2, 0xc0, v0
	v_cmp_gt_i32_e32 vcc_lo, s40, v4
	s_add_u32 s7, s19, s10
	s_addc_u32 s19, s26, s11
	v_ashrrev_i32_e32 v8, 31, v7
	v_cndmask_b32_e32 v11, s25, v4, vcc_lo
	v_cmp_gt_i32_e32 vcc_lo, s40, v2
	v_or_b32_e32 v4, 0x100, v0
	s_delay_alu instid0(VALU_DEP_4) | instskip(NEXT) | instid1(VALU_DEP_4)
	v_lshlrev_b64 v[7:8], 2, v[7:8]
	v_ashrrev_i32_e32 v12, 31, v11
	v_cndmask_b32_e32 v13, s25, v2, vcc_lo
	v_cmp_gt_i32_e32 vcc_lo, s40, v6
	v_ashrrev_i32_e32 v2, 31, v1
	s_delay_alu instid0(VALU_DEP_4) | instskip(NEXT) | instid1(VALU_DEP_4)
	v_lshlrev_b64 v[11:12], 2, v[11:12]
	v_ashrrev_i32_e32 v14, 31, v13
	v_cndmask_b32_e32 v15, s25, v6, vcc_lo
	v_cmp_gt_i32_e32 vcc_lo, s40, v4
	v_lshlrev_b64 v[1:2], 2, v[1:2]
	v_ashrrev_i32_e32 v6, 31, v5
	v_lshlrev_b64 v[13:14], 2, v[13:14]
	v_ashrrev_i32_e32 v16, 31, v15
	v_cndmask_b32_e32 v17, s25, v4, vcc_lo
	v_ashrrev_i32_e32 v4, 31, v3
	v_add_co_u32 v18, vcc_lo, s7, v1
	v_add_co_ci_u32_e32 v19, vcc_lo, s19, v2, vcc_lo
	s_delay_alu instid0(VALU_DEP_3) | instskip(SKIP_2) | instid1(VALU_DEP_3)
	v_lshlrev_b64 v[3:4], 2, v[3:4]
	v_lshlrev_b64 v[5:6], 2, v[5:6]
	;; [unrolled: 1-line block ×3, first 2 shown]
	v_add_co_u32 v20, vcc_lo, s7, v3
	s_delay_alu instid0(VALU_DEP_4)
	v_add_co_ci_u32_e32 v21, vcc_lo, s19, v4, vcc_lo
	v_cmp_gt_i32_e32 vcc_lo, s40, v10
	s_clause 0x1
	global_load_b32 v34, v[18:19], off
	global_load_b32 v35, v[20:21], off
	v_ashrrev_i32_e32 v18, 31, v17
	v_cndmask_b32_e32 v22, s25, v10, vcc_lo
	v_ashrrev_i32_e32 v10, 31, v9
	v_add_co_u32 v19, vcc_lo, s7, v5
	v_add_co_ci_u32_e32 v20, vcc_lo, s19, v6, vcc_lo
	s_delay_alu instid0(VALU_DEP_3) | instskip(SKIP_3) | instid1(VALU_DEP_4)
	v_lshlrev_b64 v[9:10], 2, v[9:10]
	v_add_co_u32 v24, vcc_lo, s7, v7
	v_add_co_ci_u32_e32 v25, vcc_lo, s19, v8, vcc_lo
	v_ashrrev_i32_e32 v23, 31, v22
	v_add_co_u32 v26, vcc_lo, s7, v9
	v_add_co_ci_u32_e32 v27, vcc_lo, s19, v10, vcc_lo
	v_add_co_u32 v28, vcc_lo, s7, v11
	v_add_co_ci_u32_e32 v29, vcc_lo, s19, v12, vcc_lo
	;; [unrolled: 2-line block ×3, first 2 shown]
	v_lshlrev_b64 v[17:18], 2, v[17:18]
	v_add_co_u32 v32, vcc_lo, s7, v15
	v_add_co_ci_u32_e32 v33, vcc_lo, s19, v16, vcc_lo
	s_clause 0x5
	global_load_b32 v36, v[19:20], off
	global_load_b32 v25, v[24:25], off
	;; [unrolled: 1-line block ×6, first 2 shown]
	v_lshlrev_b64 v[19:20], 2, v[22:23]
	v_add_co_u32 v21, vcc_lo, s7, v17
	v_add_co_ci_u32_e32 v22, vcc_lo, s19, v18, vcc_lo
	s_delay_alu instid0(VALU_DEP_3) | instskip(NEXT) | instid1(VALU_DEP_4)
	v_add_co_u32 v23, vcc_lo, s7, v19
	v_add_co_ci_u32_e32 v24, vcc_lo, s19, v20, vcc_lo
	s_clause 0x1
	global_load_b32 v21, v[21:22], off
	global_load_b32 v22, v[23:24], off
	s_add_u32 s7, s8, s20
	s_addc_u32 s8, s9, s21
	s_add_u32 s7, s7, s10
	s_addc_u32 s8, s8, s11
	v_add_co_u32 v1, vcc_lo, s7, v1
	v_add_co_ci_u32_e32 v2, vcc_lo, s8, v2, vcc_lo
	v_add_co_u32 v3, vcc_lo, s7, v3
	v_add_co_ci_u32_e32 v4, vcc_lo, s8, v4, vcc_lo
	;; [unrolled: 2-line block ×4, first 2 shown]
	s_clause 0x1
	global_load_b32 v30, v[1:2], off
	global_load_b32 v31, v[3:4], off
	v_add_co_u32 v9, vcc_lo, s7, v9
	v_mbcnt_lo_u32_b32 v23, -1, 0
	s_clause 0x1
	global_load_b32 v5, v[5:6], off
	global_load_b32 v7, v[7:8], off
	v_add_co_ci_u32_e32 v10, vcc_lo, s8, v10, vcc_lo
	v_add_co_u32 v1, vcc_lo, s7, v11
	v_add_co_ci_u32_e32 v2, vcc_lo, s8, v12, vcc_lo
	v_xor_b32_e32 v24, 16, v23
	s_waitcnt vmcnt(12)
	v_dual_max_f32 v4, v34, v34 :: v_dual_max_f32 v3, v35, v35
	s_delay_alu instid0(VALU_DEP_1)
	v_max_f32_e32 v6, v4, v3
	v_add_co_u32 v3, vcc_lo, s7, v13
	v_add_co_ci_u32_e32 v4, vcc_lo, s8, v14, vcc_lo
	v_cmp_gt_i32_e32 vcc_lo, 32, v24
	s_clause 0x2
	global_load_b32 v9, v[9:10], off
	global_load_b32 v10, v[1:2], off
	;; [unrolled: 1-line block ×3, first 2 shown]
	v_xor_b32_e32 v13, 8, v23
	v_cndmask_b32_e32 v8, v23, v24, vcc_lo
	v_add_co_u32 v1, vcc_lo, s7, v15
	v_add_co_ci_u32_e32 v2, vcc_lo, s8, v16, vcc_lo
	v_xor_b32_e32 v15, 1, v23
	s_waitcnt vmcnt(13)
	v_max3_f32 v6, v6, v36, v25
	s_waitcnt vmcnt(11)
	s_delay_alu instid0(VALU_DEP_1)
	v_max3_f32 v4, v6, v26, v27
	v_lshlrev_b32_e32 v6, 2, v8
	global_load_b32 v8, v[1:2], off
	v_add_co_u32 v1, vcc_lo, s7, v17
	s_waitcnt vmcnt(10)
	v_max3_f32 v4, v4, v28, v29
	v_add_co_ci_u32_e32 v2, vcc_lo, s8, v18, vcc_lo
	global_load_b32 v12, v[1:2], off
	s_waitcnt vmcnt(9)
	v_max3_f32 v4, v4, v21, v22
	v_add_co_u32 v1, vcc_lo, s7, v19
	v_add_co_ci_u32_e32 v2, vcc_lo, s8, v20, vcc_lo
	ds_bpermute_b32 v11, v6, v4
	v_cmp_gt_i32_e32 vcc_lo, 32, v13
	s_mov_b32 s7, exec_lo
	global_load_b32 v14, v[1:2], off
	v_cndmask_b32_e32 v1, v23, v13, vcc_lo
	v_xor_b32_e32 v13, 2, v23
	s_waitcnt lgkmcnt(0)
	s_delay_alu instid0(VALU_DEP_2) | instskip(SKIP_1) | instid1(VALU_DEP_2)
	v_dual_max_f32 v2, v11, v11 :: v_dual_lshlrev_b32 v1, 2, v1
	v_xor_b32_e32 v11, 4, v23
	v_max_f32_e32 v2, v4, v2
	s_delay_alu instid0(VALU_DEP_2) | instskip(SKIP_3) | instid1(VALU_DEP_2)
	v_cmp_gt_i32_e32 vcc_lo, 32, v11
	ds_bpermute_b32 v4, v1, v2
	v_cndmask_b32_e32 v11, v23, v11, vcc_lo
	v_cmp_gt_i32_e32 vcc_lo, 32, v13
	v_lshlrev_b32_e32 v11, 2, v11
	v_cndmask_b32_e32 v13, v23, v13, vcc_lo
	v_cmp_gt_i32_e32 vcc_lo, 32, v15
	s_delay_alu instid0(VALU_DEP_2) | instskip(SKIP_2) | instid1(VALU_DEP_1)
	v_lshlrev_b32_e32 v13, 2, v13
	v_cndmask_b32_e32 v15, v23, v15, vcc_lo
	s_waitcnt lgkmcnt(0)
	v_dual_max_f32 v4, v4, v4 :: v_dual_lshlrev_b32 v15, 2, v15
	s_delay_alu instid0(VALU_DEP_1) | instskip(SKIP_3) | instid1(VALU_DEP_1)
	v_max_f32_e32 v2, v2, v4
	ds_bpermute_b32 v4, v11, v2
	s_waitcnt lgkmcnt(0)
	v_max_f32_e32 v4, v4, v4
	v_max_f32_e32 v2, v2, v4
	ds_bpermute_b32 v4, v13, v2
	s_waitcnt lgkmcnt(0)
	v_max_f32_e32 v4, v4, v4
	s_delay_alu instid0(VALU_DEP_1) | instskip(SKIP_3) | instid1(VALU_DEP_1)
	v_max_f32_e32 v2, v2, v4
	ds_bpermute_b32 v4, v15, v2
	s_waitcnt lgkmcnt(0)
	v_max_f32_e32 v4, v4, v4
	v_max_f32_e32 v2, v2, v4
	v_sub_nc_u32_e32 v4, s40, v0
	s_delay_alu instid0(VALU_DEP_2)
	v_sub_f32_e32 v20, v26, v2
	v_sub_f32_e32 v16, v34, v2
	;; [unrolled: 1-line block ×9, first 2 shown]
	v_dual_mul_f32 v29, 0x3fb8aa3b, v20 :: v_dual_sub_f32 v2, v22, v2
	s_delay_alu instid0(VALU_DEP_4)
	v_mul_f32_e32 v33, 0x3fb8aa3b, v24
	v_mul_f32_e32 v22, 0x3fb8aa3b, v16
	;; [unrolled: 1-line block ×4, first 2 shown]
	v_fma_f32 v45, 0x3fb8aa3b, v20, -v29
	v_rndne_f32_e32 v46, v29
	v_fma_f32 v37, 0x3fb8aa3b, v16, -v22
	v_rndne_f32_e32 v38, v22
	;; [unrolled: 2-line block ×3, first 2 shown]
	v_mul_f32_e32 v27, 0x3fb8aa3b, v18
	s_delay_alu instid0(VALU_DEP_4) | instskip(SKIP_1) | instid1(VALU_DEP_4)
	v_dual_fmac_f32 v37, 0x32a5705f, v16 :: v_dual_sub_f32 v22, v22, v38
	v_rndne_f32_e32 v44, v28
	v_dual_fmac_f32 v39, 0x32a5705f, v17 :: v_dual_sub_f32 v26, v26, v40
	s_delay_alu instid0(VALU_DEP_3) | instskip(SKIP_1) | instid1(VALU_DEP_4)
	v_dual_fmac_f32 v45, 0x32a5705f, v20 :: v_dual_add_f32 v22, v22, v37
	v_fma_f32 v43, 0x3fb8aa3b, v19, -v28
	v_dual_sub_f32 v28, v28, v44 :: v_dual_sub_f32 v29, v29, v46
	s_delay_alu instid0(VALU_DEP_4) | instskip(NEXT) | instid1(VALU_DEP_4)
	v_add_f32_e32 v26, v26, v39
	v_exp_f32_e32 v22, v22
	v_mul_f32_e32 v32, 0x3fb8aa3b, v23
	v_mul_f32_e32 v34, 0x3fb8aa3b, v25
	v_fma_f32 v41, 0x3fb8aa3b, v18, -v27
	v_rndne_f32_e32 v42, v27
	v_cvt_i32_f32_e32 v38, v38
	v_exp_f32_e32 v26, v26
	v_dual_mul_f32 v35, 0x3fb8aa3b, v21 :: v_dual_mul_f32 v36, 0x3fb8aa3b, v2
	v_fma_f32 v47, 0x3fb8aa3b, v23, -v32
	v_rndne_f32_e32 v48, v32
	v_rndne_f32_e32 v52, v34
	v_cvt_i32_f32_e32 v40, v40
	v_fmac_f32_e32 v41, 0x32a5705f, v18
	v_sub_f32_e32 v27, v27, v42
	v_ldexp_f32 v22, v22, v38
	v_cmp_ngt_f32_e32 vcc_lo, 0xc2ce8ed0, v16
	v_fma_f32 v49, 0x3fb8aa3b, v24, -v33
	v_fma_f32 v51, 0x3fb8aa3b, v25, -v34
	v_sub_f32_e32 v34, v34, v52
	v_rndne_f32_e32 v56, v36
	v_fmac_f32_e32 v43, 0x32a5705f, v19
	v_dual_fmac_f32 v47, 0x32a5705f, v23 :: v_dual_cndmask_b32 v22, 0, v22
	v_sub_f32_e32 v32, v32, v48
	v_ldexp_f32 v26, v26, v40
	v_cmp_ngt_f32_e32 vcc_lo, 0xc2ce8ed0, v17
	v_add_f32_e32 v27, v27, v41
	v_fma_f32 v55, 0x3fb8aa3b, v2, -v36
	v_sub_f32_e32 v36, v36, v56
	v_dual_fmac_f32 v49, 0x32a5705f, v24 :: v_dual_add_f32 v28, v28, v43
	v_cndmask_b32_e32 v26, 0, v26, vcc_lo
	v_exp_f32_e32 v27, v27
	v_rndne_f32_e32 v50, v33
	v_cvt_i32_f32_e32 v42, v42
	v_add_f32_e32 v29, v29, v45
	v_exp_f32_e32 v28, v28
	v_cvt_i32_f32_e32 v44, v44
	v_dual_sub_f32 v33, v33, v50 :: v_dual_add_f32 v32, v32, v47
	s_delay_alu instid0(VALU_DEP_3) | instskip(SKIP_1) | instid1(TRANS32_DEP_3)
	v_exp_f32_e32 v29, v29
	v_cmp_ngt_f32_e32 vcc_lo, 0xc2ce8ed0, v18
	v_ldexp_f32 v27, v27, v42
	v_rndne_f32_e32 v54, v35
	v_cvt_i32_f32_e32 v46, v46
	v_exp_f32_e32 v32, v32
	s_delay_alu instid0(TRANS32_DEP_3)
	v_ldexp_f32 v28, v28, v44
	v_cndmask_b32_e32 v27, 0, v27, vcc_lo
	v_cmp_ngt_f32_e32 vcc_lo, 0xc2ce8ed0, v19
	v_fma_f32 v53, 0x3fb8aa3b, v21, -v35
	v_cvt_i32_f32_e32 v48, v48
	v_sub_f32_e32 v35, v35, v54
	v_ldexp_f32 v29, v29, v46
	v_cndmask_b32_e32 v28, 0, v28, vcc_lo
	v_cmp_ngt_f32_e32 vcc_lo, 0xc2ce8ed0, v20
	v_ldexp_f32 v32, v32, v48
	v_add_f32_e32 v33, v33, v49
	v_cvt_i32_f32_e32 v50, v50
	v_cvt_i32_f32_e32 v52, v52
	v_cndmask_b32_e32 v29, 0, v29, vcc_lo
	v_cmp_ngt_f32_e32 vcc_lo, 0xc2ce8ed0, v23
	v_fmac_f32_e32 v55, 0x32a5705f, v2
	v_exp_f32_e32 v33, v33
	v_cvt_i32_f32_e32 v54, v54
	v_dual_cndmask_b32 v32, 0, v32 :: v_dual_fmac_f32 v51, 0x32a5705f, v25
	s_delay_alu instid0(VALU_DEP_3) | instskip(SKIP_1) | instid1(VALU_DEP_3)
	v_dual_add_f32 v36, v36, v55 :: v_dual_fmac_f32 v53, 0x32a5705f, v21
	v_cmp_ngt_f32_e32 vcc_lo, 0xc2ce8ed0, v24
	v_add_f32_e32 v34, v34, v51
	s_waitcnt_depctr 0xfff
	v_ldexp_f32 v33, v33, v50
	v_exp_f32_e32 v36, v36
	v_exp_f32_e32 v34, v34
	s_delay_alu instid0(VALU_DEP_1) | instskip(SKIP_3) | instid1(VALU_DEP_1)
	v_cndmask_b32_e32 v33, 0, v33, vcc_lo
	v_cmp_ngt_f32_e32 vcc_lo, 0xc2ce8ed0, v25
	s_waitcnt_depctr 0xfff
	v_ldexp_f32 v34, v34, v52
	v_cndmask_b32_e32 v34, 0, v34, vcc_lo
	v_cmp_nlt_f32_e32 vcc_lo, 0x42b17218, v16
	v_cndmask_b32_e32 v16, 0x7f800000, v22, vcc_lo
	v_cmp_nlt_f32_e32 vcc_lo, 0x42b17218, v17
	;; [unrolled: 2-line block ×3, first 2 shown]
	v_dual_add_f32 v35, v35, v53 :: v_dual_cndmask_b32 v18, 0x7f800000, v27
	v_cmp_nlt_f32_e32 vcc_lo, 0x42b17218, v19
	s_delay_alu instid0(VALU_DEP_2)
	v_exp_f32_e32 v35, v35
	v_cndmask_b32_e32 v19, 0x7f800000, v28, vcc_lo
	v_cmp_nlt_f32_e32 vcc_lo, 0x42b17218, v20
	v_cndmask_b32_e32 v20, 0x7f800000, v29, vcc_lo
	v_cmp_nlt_f32_e32 vcc_lo, 0x42b17218, v23
	s_waitcnt_depctr 0xfff
	v_ldexp_f32 v35, v35, v54
	v_cndmask_b32_e32 v22, 0x7f800000, v32, vcc_lo
	v_cmp_lt_i32_e32 vcc_lo, 0, v4
	v_cndmask_b32_e32 v16, 0, v16, vcc_lo
	v_cmp_lt_i32_e32 vcc_lo, 32, v4
	s_waitcnt vmcnt(9)
	s_delay_alu instid0(VALU_DEP_2) | instskip(SKIP_2) | instid1(VALU_DEP_2)
	v_dual_mul_f32 v16, v30, v16 :: v_dual_cndmask_b32 v17, 0, v17
	v_cmp_nlt_f32_e32 vcc_lo, 0x42b17218, v24
	s_waitcnt vmcnt(8)
	v_mul_f32_e32 v17, v31, v17
	v_cndmask_b32_e32 v23, 0x7f800000, v33, vcc_lo
	v_cmp_lt_i32_e32 vcc_lo, 64, v4
	v_cndmask_b32_e32 v18, 0, v18, vcc_lo
	v_cmp_lt_i32_e32 vcc_lo, 0x60, v4
	s_waitcnt vmcnt(7)
	s_delay_alu instid0(VALU_DEP_2) | instskip(SKIP_2) | instid1(VALU_DEP_3)
	v_dual_mul_f32 v5, v5, v18 :: v_dual_add_f32 v18, v16, v17
	v_cndmask_b32_e32 v19, 0, v19, vcc_lo
	v_cmp_lt_i32_e32 vcc_lo, 0x80, v4
	v_add_f32_e32 v18, v18, v5
	v_cndmask_b32_e32 v20, 0, v20, vcc_lo
	v_cmp_lt_i32_e32 vcc_lo, 0xa0, v4
	s_waitcnt vmcnt(6)
	v_dual_cndmask_b32 v22, 0, v22 :: v_dual_mul_f32 v7, v7, v19
	v_cmp_lt_i32_e32 vcc_lo, 0xc0, v4
	s_waitcnt vmcnt(4)
	s_delay_alu instid0(VALU_DEP_2) | instskip(NEXT) | instid1(VALU_DEP_3)
	v_dual_mul_f32 v9, v9, v20 :: v_dual_mul_f32 v10, v10, v22
	v_add_f32_e32 v18, v18, v7
	v_cndmask_b32_e32 v23, 0, v23, vcc_lo
	v_cmp_nlt_f32_e32 vcc_lo, 0x42b17218, v25
	v_cvt_i32_f32_e32 v22, v56
	s_waitcnt vmcnt(3)
	s_delay_alu instid0(VALU_DEP_3) | instskip(NEXT) | instid1(VALU_DEP_1)
	v_dual_add_f32 v18, v18, v9 :: v_dual_mul_f32 v3, v3, v23
	v_add_f32_e32 v18, v18, v10
	v_cndmask_b32_e32 v19, 0x7f800000, v34, vcc_lo
	v_cmp_ngt_f32_e32 vcc_lo, 0xc2ce8ed0, v21
	s_delay_alu instid0(VALU_DEP_3) | instskip(SKIP_4) | instid1(VALU_DEP_4)
	v_add_f32_e32 v18, v18, v3
	v_cndmask_b32_e32 v20, 0, v35, vcc_lo
	v_cmp_lt_i32_e32 vcc_lo, 0xe0, v4
	v_cndmask_b32_e32 v19, 0, v19, vcc_lo
	v_cmp_nlt_f32_e32 vcc_lo, 0x42b17218, v21
	v_cndmask_b32_e32 v20, 0x7f800000, v20, vcc_lo
	v_cmp_lt_i32_e32 vcc_lo, 0x100, v4
	s_delay_alu instid0(VALU_DEP_2)
	v_cndmask_b32_e32 v20, 0, v20, vcc_lo
	s_waitcnt vmcnt(2)
	v_mul_f32_e32 v8, v8, v19
	v_ldexp_f32 v19, v36, v22
	v_cmp_ngt_f32_e32 vcc_lo, 0xc2ce8ed0, v2
	s_waitcnt vmcnt(1)
	v_mul_f32_e32 v12, v12, v20
	s_delay_alu instid0(VALU_DEP_3) | instskip(SKIP_1) | instid1(VALU_DEP_2)
	v_dual_add_f32 v18, v18, v8 :: v_dual_cndmask_b32 v19, 0, v19
	v_cmp_nlt_f32_e32 vcc_lo, 0x42b17218, v2
	v_cndmask_b32_e32 v2, 0x7f800000, v19, vcc_lo
	v_cmp_lt_i32_e32 vcc_lo, 0x120, v4
	s_delay_alu instid0(VALU_DEP_2) | instskip(SKIP_2) | instid1(VALU_DEP_1)
	v_cndmask_b32_e32 v4, 0, v2, vcc_lo
	v_add_f32_e32 v2, v18, v12
	s_waitcnt vmcnt(0)
	v_fmac_f32_e32 v2, v14, v4
	v_mul_f32_e32 v4, v14, v4
	ds_bpermute_b32 v6, v6, v2
	s_waitcnt lgkmcnt(0)
	v_add_f32_e32 v2, v2, v6
	v_lshlrev_b32_e32 v6, 2, v0
	ds_bpermute_b32 v1, v1, v2
	ds_store_2addr_b32 v6, v16, v17 offset1:32
	s_waitcnt lgkmcnt(1)
	v_add_f32_e32 v1, v2, v1
	ds_bpermute_b32 v2, v11, v1
	v_add_nc_u32_e32 v11, 0x400, v6
	s_waitcnt lgkmcnt(0)
	v_add_f32_e32 v1, v1, v2
	ds_store_2addr_b32 v6, v5, v7 offset0:64 offset1:96
	ds_store_2addr_b32 v6, v9, v10 offset0:128 offset1:160
	;; [unrolled: 1-line block ×3, first 2 shown]
	ds_store_2addr_b32 v11, v12, v4 offset1:32
	ds_bpermute_b32 v2, v13, v1
	s_waitcnt lgkmcnt(0)
	v_add_f32_e32 v1, v1, v2
	ds_bpermute_b32 v2, v15, v1
	v_cmpx_eq_u32_e32 0, v0
	s_cbranch_execz .LBB471_8
; %bb.7:
	s_waitcnt lgkmcnt(0)
	v_dual_add_f32 v1, v1, v2 :: v_dual_mov_b32 v2, 0
	ds_store_b32 v2, v1 offset:1280
.LBB471_8:
	s_or_b32 exec_lo, exec_lo, s7
	v_mov_b32_e32 v1, s6
.LBB471_9:
	s_or_b32 exec_lo, exec_lo, s24
	s_lshl_b32 s6, s18, 6
	s_mov_b32 s7, 0
	s_waitcnt lgkmcnt(0)
	v_dual_mov_b32 v2, 0 :: v_dual_lshlrev_b32 v1, 6, v1
	s_lshl_b64 s[6:7], s[6:7], 1
	v_lshlrev_b32_e32 v0, 1, v0
	s_add_u32 s34, s4, s6
	s_addc_u32 s35, s5, s7
	s_lshl_b32 s41, s40, 6
	v_lshlrev_b64 v[3:4], 1, v[1:2]
	s_sub_i32 s42, s41, 64
	s_cmpk_lt_i32 s22, 0x100
	v_dual_mov_b32 v30, 0 :: v_dual_mov_b32 v33, 0
	s_cselect_b32 s4, s42, 0
	s_delay_alu instid0(VALU_DEP_2)
	v_add_co_u32 v1, vcc_lo, s34, v3
	s_ashr_i32 s5, s4, 31
	v_add_co_ci_u32_e32 v3, vcc_lo, s35, v4, vcc_lo
	s_lshl_b64 s[4:5], s[4:5], 1
	s_cmpk_lt_i32 s22, 0x200
	v_add_co_u32 v1, vcc_lo, v1, v0
	s_cselect_b32 s6, s42, 64
	v_add_co_ci_u32_e32 v3, vcc_lo, 0, v3, vcc_lo
	s_ashr_i32 s7, s6, 31
	s_delay_alu instid0(VALU_DEP_2)
	v_add_co_u32 v4, vcc_lo, v1, s4
	s_lshl_b64 s[6:7], s[6:7], 1
	s_cmpk_lt_i32 s22, 0x300
	v_add_co_ci_u32_e32 v5, vcc_lo, s5, v3, vcc_lo
	s_cselect_b32 s8, s42, 0x80
	v_add_co_u32 v6, vcc_lo, v1, s6
	s_ashr_i32 s9, s8, 31
	v_add_co_ci_u32_e32 v7, vcc_lo, s7, v3, vcc_lo
	s_lshl_b64 s[8:9], s[8:9], 1
	s_cmpk_lt_i32 s22, 0x400
	v_add_co_u32 v8, vcc_lo, v1, s8
	s_cselect_b32 s10, s42, 0xc0
	v_add_co_ci_u32_e32 v9, vcc_lo, s9, v3, vcc_lo
	s_ashr_i32 s11, s10, 31
	v_dual_mov_b32 v32, 0 :: v_dual_mov_b32 v35, 0
	s_lshl_b64 s[10:11], s[10:11], 1
	s_cmpk_lt_i32 s22, 0x500
	v_add_co_u32 v11, vcc_lo, v1, s10
	s_cselect_b32 s18, s42, 0x100
	v_add_co_ci_u32_e32 v12, vcc_lo, s11, v3, vcc_lo
	s_ashr_i32 s19, s18, 31
	v_mov_b32_e32 v34, 0
	s_lshl_b64 s[18:19], s[18:19], 1
	s_cmpk_lt_i32 s22, 0x600
	v_add_co_u32 v14, vcc_lo, v1, s18
	s_cselect_b32 s20, s42, 0x140
	v_add_co_ci_u32_e32 v15, vcc_lo, s19, v3, vcc_lo
	s_ashr_i32 s21, s20, 31
	v_mov_b32_e32 v31, 0
	s_lshl_b64 s[20:21], s[20:21], 1
	s_cmpk_lt_i32 s22, 0x700
	v_add_co_u32 v16, vcc_lo, v1, s20
	s_cselect_b32 s24, s42, 0x180
	v_add_co_ci_u32_e32 v17, vcc_lo, s21, v3, vcc_lo
	s_ashr_i32 s25, s24, 31
	s_delay_alu instid0(SALU_CYCLE_1)
	s_lshl_b64 s[24:25], s[24:25], 1
	s_cmpk_lt_i32 s22, 0x800
	v_add_co_u32 v18, vcc_lo, v1, s24
	s_cselect_b32 s26, s42, 0x1c0
	v_add_co_ci_u32_e32 v19, vcc_lo, s25, v3, vcc_lo
	s_ashr_i32 s27, s26, 31
	s_delay_alu instid0(SALU_CYCLE_1)
	s_lshl_b64 s[26:27], s[26:27], 1
	s_cmpk_lt_i32 s22, 0x900
	v_add_co_u32 v20, vcc_lo, v1, s26
	s_cselect_b32 s28, s42, 0x200
	v_add_co_ci_u32_e32 v21, vcc_lo, s27, v3, vcc_lo
	s_ashr_i32 s29, s28, 31
	s_clause 0x7
	global_load_u16 v13, v[4:5], off
	global_load_u16 v4, v[6:7], off
	;; [unrolled: 1-line block ×8, first 2 shown]
	s_lshl_b64 s[28:29], s[28:29], 1
	s_cmpk_lt_i32 s22, 0xa00
	v_add_co_u32 v11, vcc_lo, v1, s28
	s_cselect_b32 s30, s42, 0x240
	v_add_co_ci_u32_e32 v12, vcc_lo, s29, v3, vcc_lo
	s_ashr_i32 s31, s30, 31
	s_delay_alu instid0(SALU_CYCLE_1)
	s_lshl_b64 s[30:31], s[30:31], 1
	s_cmpk_lt_i32 s22, 0xb00
	v_add_co_u32 v14, vcc_lo, v1, s30
	s_cselect_b32 s34, s42, 0x280
	v_add_co_ci_u32_e32 v15, vcc_lo, s31, v3, vcc_lo
	s_ashr_i32 s35, s34, 31
	s_delay_alu instid0(SALU_CYCLE_1)
	;; [unrolled: 7-line block ×7, first 2 shown]
	s_lshl_b64 s[4:5], s[6:7], 1
	s_cmpk_gt_i32 s23, 0x1000
	v_add_co_u32 v28, vcc_lo, v1, s4
	v_add_co_ci_u32_e32 v29, vcc_lo, s5, v3, vcc_lo
	s_clause 0x7
	global_load_u16 v19, v[11:12], off
	global_load_u16 v18, v[14:15], off
	;; [unrolled: 1-line block ×8, first 2 shown]
	v_dual_mov_b32 v20, 0 :: v_dual_mov_b32 v23, 0
	v_dual_mov_b32 v21, 0 :: v_dual_mov_b32 v22, 0
	;; [unrolled: 1-line block ×5, first 2 shown]
	s_cselect_b32 s6, -1, 0
	s_cmpk_lt_i32 s23, 0x1001
	s_waitcnt vmcnt(0)
	s_barrier
	buffer_gl0_inv
	s_cbranch_scc1 .LBB471_11
; %bb.10:
	s_cmpk_lt_i32 s22, 0x1100
	s_cselect_b32 s4, s42, 0x400
	s_delay_alu instid0(SALU_CYCLE_1) | instskip(NEXT) | instid1(SALU_CYCLE_1)
	s_ashr_i32 s5, s4, 31
	s_lshl_b64 s[4:5], s[4:5], 1
	s_cmpk_lt_i32 s22, 0x1200
	v_add_co_u32 v20, vcc_lo, v1, s4
	s_cselect_b32 s8, s42, 0x440
	v_add_co_ci_u32_e32 v21, vcc_lo, s5, v3, vcc_lo
	s_ashr_i32 s9, s8, 31
	s_delay_alu instid0(SALU_CYCLE_1)
	s_lshl_b64 s[8:9], s[8:9], 1
	s_cmpk_lt_i32 s22, 0x1300
	v_add_co_u32 v22, vcc_lo, v1, s8
	s_cselect_b32 s10, s42, 0x480
	v_add_co_ci_u32_e32 v23, vcc_lo, s9, v3, vcc_lo
	s_ashr_i32 s11, s10, 31
	s_delay_alu instid0(SALU_CYCLE_1)
	s_lshl_b64 s[10:11], s[10:11], 1
	s_cmpk_lt_i32 s22, 0x1400
	v_add_co_u32 v24, vcc_lo, v1, s10
	s_cselect_b32 s18, s42, 0x4c0
	v_add_co_ci_u32_e32 v25, vcc_lo, s11, v3, vcc_lo
	s_ashr_i32 s19, s18, 31
	s_delay_alu instid0(SALU_CYCLE_1)
	s_lshl_b64 s[18:19], s[18:19], 1
	s_cmpk_lt_i32 s22, 0x1500
	v_add_co_u32 v26, vcc_lo, v1, s18
	s_cselect_b32 s20, s42, 0x500
	v_add_co_ci_u32_e32 v27, vcc_lo, s19, v3, vcc_lo
	s_ashr_i32 s21, s20, 31
	s_delay_alu instid0(SALU_CYCLE_1)
	s_lshl_b64 s[20:21], s[20:21], 1
	s_cmpk_lt_i32 s22, 0x1600
	v_add_co_u32 v28, vcc_lo, v1, s20
	s_cselect_b32 s24, s42, 0x540
	v_add_co_ci_u32_e32 v29, vcc_lo, s21, v3, vcc_lo
	s_ashr_i32 s25, s24, 31
	s_delay_alu instid0(SALU_CYCLE_1)
	s_lshl_b64 s[24:25], s[24:25], 1
	s_cmpk_lt_i32 s22, 0x1700
	v_add_co_u32 v30, vcc_lo, v1, s24
	s_cselect_b32 s26, s42, 0x580
	v_add_co_ci_u32_e32 v31, vcc_lo, s25, v3, vcc_lo
	s_ashr_i32 s27, s26, 31
	s_delay_alu instid0(SALU_CYCLE_1)
	s_lshl_b64 s[26:27], s[26:27], 1
	s_cmpk_lt_i32 s22, 0x1800
	v_add_co_u32 v32, vcc_lo, v1, s26
	s_cselect_b32 s28, s42, 0x5c0
	v_add_co_ci_u32_e32 v33, vcc_lo, s27, v3, vcc_lo
	s_ashr_i32 s29, s28, 31
	s_delay_alu instid0(SALU_CYCLE_1)
	s_lshl_b64 s[28:29], s[28:29], 1
	s_cmpk_lt_i32 s22, 0x1900
	v_add_co_u32 v34, vcc_lo, v1, s28
	s_cselect_b32 s30, s42, 0x600
	v_add_co_ci_u32_e32 v35, vcc_lo, s29, v3, vcc_lo
	s_ashr_i32 s31, s30, 31
	s_delay_alu instid0(SALU_CYCLE_1)
	s_lshl_b64 s[30:31], s[30:31], 1
	s_cmpk_lt_i32 s22, 0x1a00
	v_add_co_u32 v36, vcc_lo, v1, s30
	s_cselect_b32 s34, s42, 0x640
	v_add_co_ci_u32_e32 v37, vcc_lo, s31, v3, vcc_lo
	s_ashr_i32 s35, s34, 31
	s_delay_alu instid0(SALU_CYCLE_1)
	s_lshl_b64 s[34:35], s[34:35], 1
	s_cmpk_lt_i32 s22, 0x1b00
	v_add_co_u32 v38, vcc_lo, v1, s34
	s_cselect_b32 s36, s42, 0x680
	v_add_co_ci_u32_e32 v39, vcc_lo, s35, v3, vcc_lo
	s_ashr_i32 s37, s36, 31
	s_delay_alu instid0(SALU_CYCLE_1)
	s_lshl_b64 s[36:37], s[36:37], 1
	s_cmpk_lt_i32 s22, 0x1c00
	v_add_co_u32 v40, vcc_lo, v1, s36
	s_cselect_b32 s4, s42, 0x6c0
	v_add_co_ci_u32_e32 v41, vcc_lo, s37, v3, vcc_lo
	s_ashr_i32 s5, s4, 31
	s_delay_alu instid0(SALU_CYCLE_1)
	s_lshl_b64 s[4:5], s[4:5], 1
	s_cmpk_lt_i32 s22, 0x1d00
	v_add_co_u32 v42, vcc_lo, v1, s4
	s_cselect_b32 s8, s42, 0x700
	v_add_co_ci_u32_e32 v43, vcc_lo, s5, v3, vcc_lo
	s_ashr_i32 s9, s8, 31
	s_delay_alu instid0(SALU_CYCLE_1)
	s_lshl_b64 s[8:9], s[8:9], 1
	s_cmpk_lt_i32 s22, 0x1e00
	v_add_co_u32 v44, vcc_lo, v1, s8
	s_cselect_b32 s10, s42, 0x740
	v_add_co_ci_u32_e32 v45, vcc_lo, s9, v3, vcc_lo
	s_ashr_i32 s11, s10, 31
	s_delay_alu instid0(SALU_CYCLE_1)
	s_lshl_b64 s[10:11], s[10:11], 1
	s_cmpk_lt_i32 s22, 0x1f00
	v_add_co_u32 v46, vcc_lo, v1, s10
	s_cselect_b32 s18, s42, 0x780
	v_add_co_ci_u32_e32 v47, vcc_lo, s11, v3, vcc_lo
	s_ashr_i32 s19, s18, 31
	s_delay_alu instid0(SALU_CYCLE_1)
	s_lshl_b64 s[4:5], s[18:19], 1
	s_cmpk_lt_i32 s22, 0x2000
	v_add_co_u32 v48, vcc_lo, v1, s4
	s_cselect_b32 s8, s42, 0x7c0
	v_add_co_ci_u32_e32 v49, vcc_lo, s5, v3, vcc_lo
	s_ashr_i32 s9, s8, 31
	s_delay_alu instid0(SALU_CYCLE_1) | instskip(NEXT) | instid1(SALU_CYCLE_1)
	s_lshl_b64 s[4:5], s[8:9], 1
	v_add_co_u32 v50, vcc_lo, v1, s4
	v_add_co_ci_u32_e32 v51, vcc_lo, s5, v3, vcc_lo
	s_clause 0xf
	global_load_u16 v20, v[20:21], off
	global_load_u16 v21, v[22:23], off
	;; [unrolled: 1-line block ×16, first 2 shown]
	s_waitcnt vmcnt(15)
	v_lshlrev_b32_e32 v35, 16, v20
	s_waitcnt vmcnt(14)
	v_lshlrev_b32_e32 v34, 16, v21
	;; [unrolled: 2-line block ×16, first 2 shown]
.LBB471_11:
	ds_load_b128 v[36:39], v2
	ds_load_b128 v[40:43], v2 offset:16
	v_lshlrev_b32_e32 v44, 16, v4
	v_lshlrev_b32_e32 v13, 16, v13
	;; [unrolled: 1-line block ×5, first 2 shown]
	s_load_b64 s[0:1], s[0:1], 0x0
	s_and_b32 vcc_lo, exec_lo, s6
	v_lshlrev_b32_e32 v5, 16, v5
	s_waitcnt lgkmcnt(0)
	v_fma_f32 v4, v36, v13, 0
	s_delay_alu instid0(VALU_DEP_1) | instskip(NEXT) | instid1(VALU_DEP_1)
	v_dual_fmac_f32 v4, v37, v44 :: v_dual_lshlrev_b32 v13, 16, v7
	v_dual_fmac_f32 v4, v38, v10 :: v_dual_lshlrev_b32 v9, 16, v9
	s_delay_alu instid0(VALU_DEP_1) | instskip(SKIP_4) | instid1(VALU_DEP_1)
	v_fmac_f32_e32 v4, v39, v9
	ds_load_b128 v[36:39], v2 offset:48
	v_fmac_f32_e32 v4, v40, v8
	ds_load_b128 v[7:10], v2 offset:32
	v_fmac_f32_e32 v4, v41, v13
	v_fmac_f32_e32 v4, v42, v6
	v_lshlrev_b32_e32 v6, 16, v19
	s_delay_alu instid0(VALU_DEP_2) | instskip(SKIP_1) | instid1(VALU_DEP_1)
	v_dual_fmac_f32 v4, v43, v5 :: v_dual_lshlrev_b32 v5, 16, v18
	s_waitcnt lgkmcnt(0)
	v_fmac_f32_e32 v4, v7, v6
	v_lshlrev_b32_e32 v6, 16, v17
	s_delay_alu instid0(VALU_DEP_2) | instskip(NEXT) | instid1(VALU_DEP_1)
	v_dual_fmac_f32 v4, v8, v5 :: v_dual_lshlrev_b32 v5, 16, v16
	v_fmac_f32_e32 v4, v9, v6
	v_lshlrev_b32_e32 v6, 16, v15
	s_delay_alu instid0(VALU_DEP_2) | instskip(NEXT) | instid1(VALU_DEP_1)
	v_dual_fmac_f32 v4, v10, v5 :: v_dual_lshlrev_b32 v5, 16, v14
	;; [unrolled: 4-line block ×3, first 2 shown]
	v_fmac_f32_e32 v4, v38, v6
	s_delay_alu instid0(VALU_DEP_1)
	v_fmac_f32_e32 v4, v39, v5
	s_cbranch_vccz .LBB471_13
; %bb.12:
	ds_load_b128 v[5:8], v2 offset:64
	ds_load_b128 v[9:12], v2 offset:80
	s_waitcnt lgkmcnt(1)
	v_fmac_f32_e32 v4, v5, v35
	s_delay_alu instid0(VALU_DEP_1) | instskip(NEXT) | instid1(VALU_DEP_1)
	v_fmac_f32_e32 v4, v6, v34
	v_fmac_f32_e32 v4, v7, v33
	s_delay_alu instid0(VALU_DEP_1) | instskip(SKIP_3) | instid1(VALU_DEP_1)
	v_fmac_f32_e32 v4, v8, v32
	ds_load_b128 v[5:8], v2 offset:96
	s_waitcnt lgkmcnt(1)
	v_fmac_f32_e32 v4, v9, v31
	v_fmac_f32_e32 v4, v10, v30
	s_delay_alu instid0(VALU_DEP_1) | instskip(NEXT) | instid1(VALU_DEP_1)
	v_fmac_f32_e32 v4, v11, v29
	v_fmac_f32_e32 v4, v12, v28
	ds_load_b128 v[9:12], v2 offset:112
	s_waitcnt lgkmcnt(1)
	v_fmac_f32_e32 v4, v5, v27
	s_delay_alu instid0(VALU_DEP_1) | instskip(NEXT) | instid1(VALU_DEP_1)
	v_fmac_f32_e32 v4, v6, v26
	v_fmac_f32_e32 v4, v7, v25
	s_delay_alu instid0(VALU_DEP_1) | instskip(SKIP_1) | instid1(VALU_DEP_1)
	v_fmac_f32_e32 v4, v8, v24
	s_waitcnt lgkmcnt(0)
	v_fmac_f32_e32 v4, v9, v23
	s_delay_alu instid0(VALU_DEP_1) | instskip(NEXT) | instid1(VALU_DEP_1)
	v_fmac_f32_e32 v4, v10, v22
	v_fmac_f32_e32 v4, v11, v21
	s_delay_alu instid0(VALU_DEP_1)
	v_fmac_f32_e32 v4, v12, v20
.LBB471_13:
	s_movk_i32 s43, 0xfc0
	s_movk_i32 s44, 0x80
	s_mov_b32 s45, 32
	s_branch .LBB471_15
.LBB471_14:                             ;   in Loop: Header=BB471_15 Depth=1
	s_addk_i32 s43, 0x800
	s_addk_i32 s44, 0x80
	s_add_i32 s45, s45, 32
	s_cmpk_eq_i32 s43, 0x57c0
	s_cbranch_scc1 .LBB471_17
.LBB471_15:                             ; =>This Inner Loop Header: Depth=1
	s_cmp_le_i32 s40, s45
	s_cbranch_scc1 .LBB471_14
; %bb.16:                               ;   in Loop: Header=BB471_15 Depth=1
	s_add_i32 s4, s43, 0xfffff840
	v_mov_b32_e32 v44, s44
	s_cmp_lt_i32 s4, s41
	s_cselect_b32 s4, s4, s42
	s_add_i32 s6, s43, 0xfffff880
	s_ashr_i32 s5, s4, 31
	s_delay_alu instid0(SALU_CYCLE_1)
	s_lshl_b64 s[38:39], s[4:5], 1
	s_cmp_lt_i32 s6, s41
	v_add_co_u32 v5, vcc_lo, v1, s38
	s_cselect_b32 s4, s6, s42
	s_add_i32 s6, s43, 0xfffff8c0
	s_ashr_i32 s5, s4, 31
	v_add_co_ci_u32_e32 v6, vcc_lo, s39, v3, vcc_lo
	s_lshl_b64 s[4:5], s[4:5], 1
	s_cmp_lt_i32 s6, s41
	s_cselect_b32 s6, s6, s42
	s_add_i32 s8, s43, 0xfffff900
	s_ashr_i32 s7, s6, 31
	global_load_u16 v2, v[5:6], off
	s_lshl_b64 s[6:7], s[6:7], 1
	s_cmp_lt_i32 s8, s41
	v_add_co_u32 v5, vcc_lo, v1, s4
	s_cselect_b32 s8, s8, s42
	s_add_i32 s10, s43, 0xfffff940
	s_ashr_i32 s9, s8, 31
	v_add_co_ci_u32_e32 v6, vcc_lo, s5, v3, vcc_lo
	s_lshl_b64 s[8:9], s[8:9], 1
	s_cmp_lt_i32 s10, s41
	v_add_co_u32 v7, vcc_lo, v1, s6
	s_cselect_b32 s10, s10, s42
	s_add_i32 s18, s43, 0xfffff980
	s_ashr_i32 s11, s10, 31
	v_add_co_ci_u32_e32 v8, vcc_lo, s7, v3, vcc_lo
	s_lshl_b64 s[10:11], s[10:11], 1
	s_cmp_lt_i32 s18, s41
	v_add_co_u32 v9, vcc_lo, v1, s8
	s_cselect_b32 s18, s18, s42
	s_add_i32 s20, s43, 0xfffff9c0
	s_ashr_i32 s19, s18, 31
	s_clause 0x1
	global_load_u16 v23, v[5:6], off
	global_load_u16 v24, v[7:8], off
	s_lshl_b64 s[18:19], s[18:19], 1
	s_cmp_lt_i32 s20, s41
	v_add_co_ci_u32_e32 v10, vcc_lo, s9, v3, vcc_lo
	s_cselect_b32 s20, s20, s42
	s_add_i32 s22, s43, 0xfffffa00
	s_ashr_i32 s21, s20, 31
	global_load_u16 v25, v[9:10], off
	s_lshl_b64 s[20:21], s[20:21], 1
	s_cmp_lt_i32 s22, s41
	v_add_co_u32 v11, vcc_lo, v1, s10
	s_cselect_b32 s22, s22, s42
	s_add_i32 s24, s43, 0xfffffa40
	s_ashr_i32 s23, s22, 31
	v_add_co_ci_u32_e32 v12, vcc_lo, s11, v3, vcc_lo
	s_lshl_b64 s[22:23], s[22:23], 1
	s_cmp_lt_i32 s24, s41
	v_add_co_u32 v13, vcc_lo, v1, s18
	global_load_u16 v26, v[11:12], off
	s_cselect_b32 s24, s24, s42
	s_add_i32 s26, s43, 0xfffffa80
	s_ashr_i32 s25, s24, 31
	v_add_co_ci_u32_e32 v14, vcc_lo, s19, v3, vcc_lo
	s_lshl_b64 s[24:25], s[24:25], 1
	s_cmp_lt_i32 s26, s41
	v_add_co_u32 v15, vcc_lo, v1, s20
	global_load_u16 v27, v[13:14], off
	s_cselect_b32 s26, s26, s42
	s_add_i32 s28, s43, 0xfffffac0
	s_ashr_i32 s27, s26, 31
	v_add_co_ci_u32_e32 v16, vcc_lo, s21, v3, vcc_lo
	s_lshl_b64 s[36:37], s[26:27], 1
	s_cmp_lt_i32 s28, s41
	v_add_co_u32 v17, vcc_lo, v1, s22
	s_cselect_b32 s26, s28, s42
	s_add_i32 s30, s43, 0xfffffb00
	s_ashr_i32 s27, s26, 31
	v_add_co_ci_u32_e32 v18, vcc_lo, s23, v3, vcc_lo
	s_lshl_b64 s[28:29], s[26:27], 1
	s_cmp_lt_i32 s30, s41
	v_add_co_u32 v19, vcc_lo, v1, s24
	global_load_u16 v17, v[17:18], off
	s_cselect_b32 s26, s30, s42
	s_add_i32 s30, s43, 0xfffffb40
	s_ashr_i32 s27, s26, 31
	v_add_co_ci_u32_e32 v20, vcc_lo, s25, v3, vcc_lo
	s_lshl_b64 s[26:27], s[26:27], 1
	s_cmp_lt_i32 s30, s41
	v_add_co_u32 v21, vcc_lo, v1, s36
	s_cselect_b32 s30, s30, s42
	s_add_i32 s46, s43, 0xfffffb80
	s_ashr_i32 s31, s30, 31
	v_add_co_ci_u32_e32 v22, vcc_lo, s37, v3, vcc_lo
	s_lshl_b64 s[34:35], s[30:31], 1
	s_cmp_lt_i32 s46, s41
	v_add_co_u32 v5, vcc_lo, v1, s28
	;; [unrolled: 7-line block ×3, first 2 shown]
	s_cselect_b32 s46, s46, s42
	s_add_i32 s48, s43, 0xfffffc00
	s_ashr_i32 s47, s46, 31
	global_load_u16 v28, v[15:16], off
	s_lshl_b64 s[38:39], s[46:47], 1
	s_cmp_lt_i32 s48, s41
	v_add_co_ci_u32_e32 v8, vcc_lo, s27, v3, vcc_lo
	s_cselect_b32 s46, s48, s42
	v_add_co_u32 v9, vcc_lo, v1, s34
	s_ashr_i32 s47, s46, 31
	s_add_i32 s4, s43, 0xfffffc40
	s_lshl_b64 s[46:47], s[46:47], 1
	v_add_co_ci_u32_e32 v10, vcc_lo, s35, v3, vcc_lo
	s_cmp_lt_i32 s4, s41
	v_add_co_u32 v11, vcc_lo, v1, s30
	s_cselect_b32 s4, s4, s42
	v_add_co_ci_u32_e32 v12, vcc_lo, s31, v3, vcc_lo
	v_add_co_u32 v13, vcc_lo, v1, s38
	s_ashr_i32 s5, s4, 31
	s_add_i32 s6, s43, 0xfffffc80
	v_add_co_ci_u32_e32 v14, vcc_lo, s39, v3, vcc_lo
	global_load_u16 v18, v[19:20], off
	s_lshl_b64 s[8:9], s[4:5], 1
	s_cmp_lt_i32 s6, s41
	global_load_u16 v30, v[13:14], off
	s_cselect_b32 s4, s6, s42
	global_load_u16 v19, v[21:22], off
	s_ashr_i32 s5, s4, 31
	s_add_i32 s6, s43, 0xfffffcc0
	s_lshl_b64 s[10:11], s[4:5], 1
	s_cmp_lt_i32 s6, s41
	s_clause 0x3
	global_load_u16 v20, v[5:6], off
	global_load_u16 v21, v[7:8], off
	;; [unrolled: 1-line block ×4, first 2 shown]
	s_cselect_b32 s4, s6, s42
	s_add_i32 s6, s43, 0xfffffd00
	s_ashr_i32 s5, s4, 31
	v_add_co_u32 v15, vcc_lo, v1, s46
	s_lshl_b64 s[4:5], s[4:5], 1
	s_cmp_lt_i32 s6, s41
	v_add_co_ci_u32_e32 v16, vcc_lo, s47, v3, vcc_lo
	s_cselect_b32 s6, s6, s42
	s_add_i32 s18, s43, 0xfffffd40
	s_ashr_i32 s7, s6, 31
	v_add_co_u32 v5, vcc_lo, v1, s8
	s_lshl_b64 s[6:7], s[6:7], 1
	s_cmp_lt_i32 s18, s41
	v_add_co_ci_u32_e32 v6, vcc_lo, s9, v3, vcc_lo
	s_cselect_b32 s18, s18, s42
	v_add_co_u32 v7, vcc_lo, v1, s10
	s_ashr_i32 s19, s18, 31
	s_add_i32 s20, s43, 0xfffffd80
	s_lshl_b64 s[18:19], s[18:19], 1
	v_add_co_ci_u32_e32 v8, vcc_lo, s11, v3, vcc_lo
	s_cmp_lt_i32 s20, s41
	v_add_co_u32 v9, vcc_lo, v1, s4
	s_cselect_b32 s20, s20, s42
	v_add_co_ci_u32_e32 v10, vcc_lo, s5, v3, vcc_lo
	v_add_co_u32 v11, vcc_lo, v1, s6
	s_ashr_i32 s21, s20, 31
	s_add_i32 s22, s43, 0xfffffdc0
	v_add_co_ci_u32_e32 v12, vcc_lo, s7, v3, vcc_lo
	global_load_u16 v15, v[15:16], off
	s_lshl_b64 s[20:21], s[20:21], 1
	s_cmp_lt_i32 s22, s41
	global_load_u16 v33, v[11:12], off
	s_cselect_b32 s22, s22, s42
	s_clause 0x2
	global_load_u16 v16, v[5:6], off
	global_load_u16 v31, v[7:8], off
	;; [unrolled: 1-line block ×3, first 2 shown]
	s_ashr_i32 s23, s22, 31
	s_add_i32 s24, s43, 0xfffffe00
	s_lshl_b64 s[22:23], s[22:23], 1
	s_cmp_lt_i32 s24, s41
	v_add_co_u32 v13, vcc_lo, v1, s18
	s_cselect_b32 s24, s24, s42
	s_add_i32 s26, s43, 0xfffffe40
	s_ashr_i32 s25, s24, 31
	v_add_co_ci_u32_e32 v14, vcc_lo, s19, v3, vcc_lo
	s_lshl_b64 s[24:25], s[24:25], 1
	s_cmp_lt_i32 s26, s41
	v_add_co_u32 v5, vcc_lo, v1, s20
	s_cselect_b32 s8, s26, s42
	v_add_co_ci_u32_e32 v6, vcc_lo, s21, v3, vcc_lo
	s_ashr_i32 s9, s8, 31
	v_add_co_u32 v7, vcc_lo, v1, s22
	s_add_i32 s10, s43, 0xfffffe80
	s_lshl_b64 s[8:9], s[8:9], 1
	v_add_co_ci_u32_e32 v8, vcc_lo, s23, v3, vcc_lo
	s_cmp_lt_i32 s10, s41
	v_add_co_u32 v9, vcc_lo, v1, s24
	s_cselect_b32 s4, s10, s42
	global_load_u16 v13, v[13:14], off
	v_add_co_ci_u32_e32 v10, vcc_lo, s25, v3, vcc_lo
	s_ashr_i32 s5, s4, 31
	s_add_i32 s6, s43, 0xfffffec0
	s_lshl_b64 s[4:5], s[4:5], 1
	global_load_u16 v35, v[9:10], off
	s_cmp_lt_i32 s6, s41
	s_clause 0x1
	global_load_u16 v14, v[5:6], off
	global_load_u16 v34, v[7:8], off
	s_cselect_b32 s6, s6, s42
	s_add_i32 s10, s43, 0xffffff00
	s_ashr_i32 s7, s6, 31
	v_add_co_u32 v5, vcc_lo, v1, s8
	s_lshl_b64 s[6:7], s[6:7], 1
	s_cmp_lt_i32 s10, s41
	v_add_co_ci_u32_e32 v6, vcc_lo, s9, v3, vcc_lo
	s_cselect_b32 s10, s10, s42
	v_add_co_u32 v7, vcc_lo, v1, s4
	s_ashr_i32 s11, s10, 31
	v_add_co_ci_u32_e32 v8, vcc_lo, s5, v3, vcc_lo
	s_add_i32 s18, s43, 0xffffff40
	s_lshl_b64 s[10:11], s[10:11], 1
	s_cmp_lt_i32 s18, s41
	s_clause 0x1
	global_load_u16 v36, v[5:6], off
	global_load_u16 v37, v[7:8], off
	s_cselect_b32 s18, s18, s42
	v_add_co_u32 v5, vcc_lo, v1, s6
	s_ashr_i32 s19, s18, 31
	v_add_co_ci_u32_e32 v6, vcc_lo, s7, v3, vcc_lo
	s_add_i32 s20, s43, 0xffffff80
	v_add_co_u32 v7, vcc_lo, v1, s10
	s_lshl_b64 s[8:9], s[18:19], 1
	s_cmp_lt_i32 s20, s41
	v_add_co_ci_u32_e32 v8, vcc_lo, s11, v3, vcc_lo
	s_cselect_b32 s4, s20, s42
	global_load_u16 v38, v[5:6], off
	s_ashr_i32 s5, s4, 31
	global_load_u16 v39, v[7:8], off
	s_sub_i32 s18, s43, 64
	v_add_co_u32 v5, vcc_lo, v1, s8
	s_lshl_b64 s[4:5], s[4:5], 1
	s_cmp_lt_i32 s18, s41
	v_add_co_ci_u32_e32 v6, vcc_lo, s9, v3, vcc_lo
	v_add_co_u32 v7, vcc_lo, v1, s4
	s_cselect_b32 s6, s18, s42
	v_add_co_ci_u32_e32 v8, vcc_lo, s5, v3, vcc_lo
	s_ashr_i32 s7, s6, 31
	global_load_u16 v40, v[5:6], off
	s_lshl_b64 s[6:7], s[6:7], 1
	global_load_u16 v41, v[7:8], off
	s_cmp_lt_i32 s43, s41
	v_add_co_u32 v5, vcc_lo, v1, s6
	s_cselect_b32 s4, s43, s42
	v_add_co_ci_u32_e32 v6, vcc_lo, s7, v3, vcc_lo
	s_ashr_i32 s5, s4, 31
	s_delay_alu instid0(SALU_CYCLE_1)
	s_lshl_b64 s[4:5], s[4:5], 1
	global_load_u16 v42, v[5:6], off
	v_add_co_u32 v5, vcc_lo, v1, s4
	v_add_co_ci_u32_e32 v6, vcc_lo, s5, v3, vcc_lo
	global_load_u16 v43, v[5:6], off
	ds_load_b128 v[5:8], v44
	ds_load_b128 v[9:12], v44 offset:16
	s_waitcnt vmcnt(31)
	v_lshlrev_b32_e32 v2, 16, v2
	s_waitcnt lgkmcnt(1)
	s_delay_alu instid0(VALU_DEP_1) | instskip(SKIP_2) | instid1(VALU_DEP_1)
	v_fmac_f32_e32 v4, v5, v2
	s_waitcnt vmcnt(30)
	v_lshlrev_b32_e32 v2, 16, v23
	v_fmac_f32_e32 v4, v6, v2
	s_waitcnt vmcnt(29)
	v_lshlrev_b32_e32 v2, 16, v24
	s_delay_alu instid0(VALU_DEP_1) | instskip(SKIP_2) | instid1(VALU_DEP_1)
	v_fmac_f32_e32 v4, v7, v2
	s_waitcnt vmcnt(28)
	v_lshlrev_b32_e32 v2, 16, v25
	v_fmac_f32_e32 v4, v8, v2
	ds_load_b128 v[5:8], v44 offset:32
	s_waitcnt vmcnt(27)
	v_lshlrev_b32_e32 v2, 16, v26
	s_waitcnt lgkmcnt(1)
	s_delay_alu instid0(VALU_DEP_1) | instskip(SKIP_2) | instid1(VALU_DEP_1)
	v_fmac_f32_e32 v4, v9, v2
	s_waitcnt vmcnt(26)
	v_lshlrev_b32_e32 v2, 16, v27
	v_fmac_f32_e32 v4, v10, v2
	s_waitcnt vmcnt(24)
	v_lshlrev_b32_e32 v2, 16, v28
	s_delay_alu instid0(VALU_DEP_1) | instskip(SKIP_1) | instid1(VALU_DEP_1)
	v_fmac_f32_e32 v4, v11, v2
	v_lshlrev_b32_e32 v2, 16, v17
	v_fmac_f32_e32 v4, v12, v2
	ds_load_b128 v[9:12], v44 offset:48
	s_waitcnt vmcnt(23)
	v_lshlrev_b32_e32 v2, 16, v18
	s_waitcnt lgkmcnt(1)
	s_delay_alu instid0(VALU_DEP_1) | instskip(SKIP_2) | instid1(VALU_DEP_1)
	v_fmac_f32_e32 v4, v5, v2
	s_waitcnt vmcnt(21)
	v_lshlrev_b32_e32 v2, 16, v19
	v_fmac_f32_e32 v4, v6, v2
	s_waitcnt vmcnt(20)
	v_lshlrev_b32_e32 v2, 16, v20
	s_delay_alu instid0(VALU_DEP_1) | instskip(SKIP_2) | instid1(VALU_DEP_1)
	v_fmac_f32_e32 v4, v7, v2
	s_waitcnt vmcnt(19)
	v_lshlrev_b32_e32 v2, 16, v21
	v_fmac_f32_e32 v4, v8, v2
	s_waitcnt vmcnt(18)
	v_lshlrev_b32_e32 v2, 16, v22
	ds_load_b128 v[5:8], v44 offset:64
	s_waitcnt lgkmcnt(1)
	v_fmac_f32_e32 v4, v9, v2
	s_waitcnt vmcnt(17)
	v_lshlrev_b32_e32 v2, 16, v29
	s_delay_alu instid0(VALU_DEP_1) | instskip(SKIP_1) | instid1(VALU_DEP_1)
	v_fmac_f32_e32 v4, v10, v2
	v_lshlrev_b32_e32 v2, 16, v30
	v_fmac_f32_e32 v4, v11, v2
	s_waitcnt vmcnt(16)
	v_lshlrev_b32_e32 v2, 16, v15
	s_delay_alu instid0(VALU_DEP_1) | instskip(SKIP_4) | instid1(VALU_DEP_1)
	v_fmac_f32_e32 v4, v12, v2
	ds_load_b128 v[9:12], v44 offset:80
	s_waitcnt vmcnt(14)
	v_lshlrev_b32_e32 v2, 16, v16
	s_waitcnt lgkmcnt(1)
	v_fmac_f32_e32 v4, v5, v2
	s_waitcnt vmcnt(13)
	v_lshlrev_b32_e32 v2, 16, v31
	s_delay_alu instid0(VALU_DEP_1) | instskip(SKIP_2) | instid1(VALU_DEP_1)
	v_fmac_f32_e32 v4, v6, v2
	s_waitcnt vmcnt(12)
	v_lshlrev_b32_e32 v2, 16, v32
	v_fmac_f32_e32 v4, v7, v2
	v_lshlrev_b32_e32 v2, 16, v33
	s_delay_alu instid0(VALU_DEP_1) | instskip(SKIP_4) | instid1(VALU_DEP_1)
	v_fmac_f32_e32 v4, v8, v2
	ds_load_b128 v[5:8], v44 offset:96
	s_waitcnt vmcnt(11)
	v_lshlrev_b32_e32 v2, 16, v13
	s_waitcnt lgkmcnt(1)
	v_fmac_f32_e32 v4, v9, v2
	s_waitcnt vmcnt(9)
	v_lshlrev_b32_e32 v2, 16, v14
	s_delay_alu instid0(VALU_DEP_1) | instskip(SKIP_2) | instid1(VALU_DEP_1)
	v_fmac_f32_e32 v4, v10, v2
	s_waitcnt vmcnt(8)
	v_lshlrev_b32_e32 v2, 16, v34
	v_fmac_f32_e32 v4, v11, v2
	;; [unrolled: 15-line block ×3, first 2 shown]
	s_waitcnt vmcnt(4)
	v_lshlrev_b32_e32 v2, 16, v39
	s_delay_alu instid0(VALU_DEP_1) | instskip(SKIP_3) | instid1(VALU_DEP_1)
	v_fmac_f32_e32 v4, v8, v2
	s_waitcnt vmcnt(3)
	v_lshlrev_b32_e32 v2, 16, v40
	s_waitcnt lgkmcnt(0)
	v_fmac_f32_e32 v4, v9, v2
	s_waitcnt vmcnt(2)
	v_lshlrev_b32_e32 v2, 16, v41
	s_delay_alu instid0(VALU_DEP_1) | instskip(SKIP_2) | instid1(VALU_DEP_1)
	v_fmac_f32_e32 v4, v10, v2
	s_waitcnt vmcnt(1)
	v_lshlrev_b32_e32 v2, 16, v42
	v_fmac_f32_e32 v4, v11, v2
	s_waitcnt vmcnt(0)
	v_lshlrev_b32_e32 v2, 16, v43
	s_delay_alu instid0(VALU_DEP_1)
	v_fmac_f32_e32 v4, v12, v2
	s_branch .LBB471_14
.LBB471_17:
	v_mov_b32_e32 v1, 0
	s_and_b32 vcc_lo, exec_lo, s15
	ds_load_b32 v1, v1 offset:1280
	s_cbranch_vccz .LBB471_19
; %bb.18:
	s_add_u32 s2, s12, s16
	s_addc_u32 s3, s13, s17
	s_load_b32 s2, s[2:3], 0x0
	s_mov_b32 s3, 0
.LBB471_19:
	s_waitcnt lgkmcnt(0)
	v_add_f32_e32 v1, 0x358637bd, v1
	s_delay_alu instid0(VALU_DEP_1) | instskip(NEXT) | instid1(VALU_DEP_1)
	v_div_scale_f32 v2, null, v1, v1, 1.0
	v_rcp_f32_e32 v3, v2
	s_waitcnt_depctr 0xfff
	v_fma_f32 v5, -v2, v3, 1.0
	s_delay_alu instid0(VALU_DEP_1) | instskip(SKIP_1) | instid1(VALU_DEP_1)
	v_fmac_f32_e32 v3, v5, v3
	v_div_scale_f32 v5, vcc_lo, 1.0, v1, 1.0
	v_mul_f32_e32 v6, v5, v3
	s_delay_alu instid0(VALU_DEP_1) | instskip(NEXT) | instid1(VALU_DEP_1)
	v_fma_f32 v7, -v2, v6, v5
	v_fmac_f32_e32 v6, v7, v3
	s_delay_alu instid0(VALU_DEP_1) | instskip(NEXT) | instid1(VALU_DEP_1)
	v_fma_f32 v2, -v2, v6, v5
	v_div_fmas_f32 v2, v2, v3, v6
	s_delay_alu instid0(VALU_DEP_1) | instskip(NEXT) | instid1(VALU_DEP_1)
	v_div_fixup_f32 v1, v2, v1, 1.0
	v_mul_f32_e32 v2, v4, v1
	s_delay_alu instid0(VALU_DEP_1) | instskip(NEXT) | instid1(VALU_DEP_1)
	v_and_b32_e32 v1, 0x7f800000, v2
	v_cmp_ne_u32_e32 vcc_lo, 0x7f800000, v1
                                        ; implicit-def: $vgpr1
	s_and_saveexec_b32 s4, vcc_lo
	s_delay_alu instid0(SALU_CYCLE_1)
	s_xor_b32 s4, exec_lo, s4
; %bb.20:
	v_bfe_u32 v1, v2, 16, 1
	s_delay_alu instid0(VALU_DEP_1)
	v_add3_u32 v1, v2, v1, 0x7fff
                                        ; implicit-def: $vgpr2
; %bb.21:
	s_and_not1_saveexec_b32 s4, s4
; %bb.22:
	v_and_b32_e32 v1, 0xffff, v2
	v_or_b32_e32 v3, 0x10000, v2
	s_delay_alu instid0(VALU_DEP_2) | instskip(NEXT) | instid1(VALU_DEP_2)
	v_cmp_eq_u32_e32 vcc_lo, 0, v1
	v_cndmask_b32_e32 v1, v3, v2, vcc_lo
; %bb.23:
	s_or_b32 exec_lo, exec_lo, s4
	s_mul_i32 s3, s33, s3
	s_mul_hi_u32 s4, s33, s2
	s_mul_i32 s2, s33, s2
	s_add_i32 s3, s4, s3
	s_mov_b32 s15, 0
	s_lshl_b64 s[2:3], s[2:3], 7
	s_delay_alu instid0(SALU_CYCLE_1) | instskip(SKIP_2) | instid1(SALU_CYCLE_1)
	s_add_u32 s2, s0, s2
	s_addc_u32 s3, s1, s3
	s_lshl_b64 s[0:1], s[14:15], 7
	s_add_u32 s0, s2, s0
	s_addc_u32 s1, s3, s1
	global_store_d16_hi_b16 v0, v1, s[0:1]
	s_nop 0
	s_sendmsg sendmsg(MSG_DEALLOC_VGPRS)
	s_endpgm
.LBB471_24:
	s_mov_b32 s4, 0
	s_branch .LBB471_2
	.section	.rodata,"a",@progbits
	.p2align	6, 0x0
	.amdhsa_kernel _Z35paged_attention_ll4mi_reduce_kernelI14__hip_bfloat16S0_Li64ELi64ELi256ELi10EEvPT0_PKfS4_PKT_PKiS9_iS4_
		.amdhsa_group_segment_fixed_size 1284
		.amdhsa_private_segment_fixed_size 0
		.amdhsa_kernarg_size 320
		.amdhsa_user_sgpr_count 14
		.amdhsa_user_sgpr_dispatch_ptr 0
		.amdhsa_user_sgpr_queue_ptr 0
		.amdhsa_user_sgpr_kernarg_segment_ptr 1
		.amdhsa_user_sgpr_dispatch_id 0
		.amdhsa_user_sgpr_private_segment_size 0
		.amdhsa_wavefront_size32 1
		.amdhsa_uses_dynamic_stack 0
		.amdhsa_enable_private_segment 0
		.amdhsa_system_sgpr_workgroup_id_x 1
		.amdhsa_system_sgpr_workgroup_id_y 1
		.amdhsa_system_sgpr_workgroup_id_z 0
		.amdhsa_system_sgpr_workgroup_info 0
		.amdhsa_system_vgpr_workitem_id 0
		.amdhsa_next_free_vgpr 57
		.amdhsa_next_free_sgpr 49
		.amdhsa_reserve_vcc 1
		.amdhsa_float_round_mode_32 0
		.amdhsa_float_round_mode_16_64 0
		.amdhsa_float_denorm_mode_32 3
		.amdhsa_float_denorm_mode_16_64 3
		.amdhsa_dx10_clamp 1
		.amdhsa_ieee_mode 1
		.amdhsa_fp16_overflow 0
		.amdhsa_workgroup_processor_mode 1
		.amdhsa_memory_ordered 1
		.amdhsa_forward_progress 0
		.amdhsa_shared_vgpr_count 0
		.amdhsa_exception_fp_ieee_invalid_op 0
		.amdhsa_exception_fp_denorm_src 0
		.amdhsa_exception_fp_ieee_div_zero 0
		.amdhsa_exception_fp_ieee_overflow 0
		.amdhsa_exception_fp_ieee_underflow 0
		.amdhsa_exception_fp_ieee_inexact 0
		.amdhsa_exception_int_div_zero 0
	.end_amdhsa_kernel
	.section	.text._Z35paged_attention_ll4mi_reduce_kernelI14__hip_bfloat16S0_Li64ELi64ELi256ELi10EEvPT0_PKfS4_PKT_PKiS9_iS4_,"axG",@progbits,_Z35paged_attention_ll4mi_reduce_kernelI14__hip_bfloat16S0_Li64ELi64ELi256ELi10EEvPT0_PKfS4_PKT_PKiS9_iS4_,comdat
.Lfunc_end471:
	.size	_Z35paged_attention_ll4mi_reduce_kernelI14__hip_bfloat16S0_Li64ELi64ELi256ELi10EEvPT0_PKfS4_PKT_PKiS9_iS4_, .Lfunc_end471-_Z35paged_attention_ll4mi_reduce_kernelI14__hip_bfloat16S0_Li64ELi64ELi256ELi10EEvPT0_PKfS4_PKT_PKiS9_iS4_
                                        ; -- End function
	.section	.AMDGPU.csdata,"",@progbits
; Kernel info:
; codeLenInByte = 7052
; NumSgprs: 51
; NumVgprs: 57
; ScratchSize: 0
; MemoryBound: 0
; FloatMode: 240
; IeeeMode: 1
; LDSByteSize: 1284 bytes/workgroup (compile time only)
; SGPRBlocks: 6
; VGPRBlocks: 7
; NumSGPRsForWavesPerEU: 51
; NumVGPRsForWavesPerEU: 57
; Occupancy: 16
; WaveLimiterHint : 0
; COMPUTE_PGM_RSRC2:SCRATCH_EN: 0
; COMPUTE_PGM_RSRC2:USER_SGPR: 14
; COMPUTE_PGM_RSRC2:TRAP_HANDLER: 0
; COMPUTE_PGM_RSRC2:TGID_X_EN: 1
; COMPUTE_PGM_RSRC2:TGID_Y_EN: 1
; COMPUTE_PGM_RSRC2:TGID_Z_EN: 0
; COMPUTE_PGM_RSRC2:TIDIG_COMP_CNT: 0
	.section	.text._Z35paged_attention_ll4mi_reduce_kernelI14__hip_bfloat16S0_Li64ELi64ELi256ELi11EEvPT0_PKfS4_PKT_PKiS9_iS4_,"axG",@progbits,_Z35paged_attention_ll4mi_reduce_kernelI14__hip_bfloat16S0_Li64ELi64ELi256ELi11EEvPT0_PKfS4_PKT_PKiS9_iS4_,comdat
	.protected	_Z35paged_attention_ll4mi_reduce_kernelI14__hip_bfloat16S0_Li64ELi64ELi256ELi11EEvPT0_PKfS4_PKT_PKiS9_iS4_ ; -- Begin function _Z35paged_attention_ll4mi_reduce_kernelI14__hip_bfloat16S0_Li64ELi64ELi256ELi11EEvPT0_PKfS4_PKT_PKiS9_iS4_
	.globl	_Z35paged_attention_ll4mi_reduce_kernelI14__hip_bfloat16S0_Li64ELi64ELi256ELi11EEvPT0_PKfS4_PKT_PKiS9_iS4_
	.p2align	8
	.type	_Z35paged_attention_ll4mi_reduce_kernelI14__hip_bfloat16S0_Li64ELi64ELi256ELi11EEvPT0_PKfS4_PKT_PKiS9_iS4_,@function
_Z35paged_attention_ll4mi_reduce_kernelI14__hip_bfloat16S0_Li64ELi64ELi256ELi11EEvPT0_PKfS4_PKT_PKiS9_iS4_: ; @_Z35paged_attention_ll4mi_reduce_kernelI14__hip_bfloat16S0_Li64ELi64ELi256ELi11EEvPT0_PKfS4_PKT_PKiS9_iS4_
; %bb.0:
	s_load_b64 s[12:13], s[0:1], 0x28
	s_mov_b32 s2, s15
	s_waitcnt lgkmcnt(0)
	s_cmp_lg_u64 s[12:13], 0
	s_cselect_b32 s15, -1, 0
	s_delay_alu instid0(SALU_CYCLE_1)
	s_and_b32 vcc_lo, exec_lo, s15
	s_cbranch_vccz .LBB472_24
; %bb.1:
	s_add_i32 s4, s2, 1
	s_mov_b32 s5, 0
	s_delay_alu instid0(SALU_CYCLE_1) | instskip(SKIP_4) | instid1(SALU_CYCLE_1)
	s_lshl_b64 s[6:7], s[4:5], 2
	s_mov_b32 s3, s5
	s_add_u32 s6, s12, s6
	s_addc_u32 s7, s13, s7
	s_lshl_b64 s[8:9], s[2:3], 2
	s_add_u32 s8, s12, s8
	s_addc_u32 s9, s13, s9
	s_clause 0x1
	s_load_b32 s4, s[6:7], 0x0
	s_load_b32 s6, s[8:9], 0x0
	s_waitcnt lgkmcnt(0)
	s_sub_i32 s4, s4, s6
	s_delay_alu instid0(SALU_CYCLE_1)
	s_cmp_eq_u32 s4, 1
	s_cselect_b32 s4, -1, 0
	s_cbranch_execnz .LBB472_3
.LBB472_2:
	s_mov_b32 s3, 0
	s_mov_b32 s4, -1
.LBB472_3:
	s_delay_alu instid0(SALU_CYCLE_1)
	s_and_not1_b32 vcc_lo, exec_lo, s4
	s_cbranch_vccz .LBB472_5
; %bb.4:
	s_endpgm
.LBB472_5:
	s_clause 0x1
	s_load_b128 s[4:7], s[0:1], 0x18
	s_load_b32 s9, s[0:1], 0x30
	s_lshl_b64 s[16:17], s[2:3], 2
	s_waitcnt lgkmcnt(0)
	s_add_u32 s6, s6, s16
	s_addc_u32 s7, s7, s17
	s_load_b32 s23, s[6:7], 0x0
	s_load_b32 s33, s[0:1], 0x40
	s_mul_i32 s7, s2, s9
	s_waitcnt lgkmcnt(0)
	s_add_i32 s22, s23, 0xff
	s_delay_alu instid0(SALU_CYCLE_1) | instskip(NEXT) | instid1(SALU_CYCLE_1)
	s_ashr_i32 s6, s22, 31
	s_lshr_b32 s6, s6, 24
	s_delay_alu instid0(SALU_CYCLE_1) | instskip(SKIP_4) | instid1(SALU_CYCLE_1)
	s_add_i32 s8, s22, s6
	s_mul_i32 s6, s14, s9
	s_mov_b32 s9, exec_lo
	v_cmpx_lt_u32_e32 31, v0
	s_xor_b32 s9, exec_lo, s9
	s_or_saveexec_b32 s24, s9
	v_mov_b32_e32 v1, s6
	s_ashr_i32 s40, s8, 8
	s_mul_i32 s18, s7, s33
	s_xor_b32 exec_lo, exec_lo, s24
	s_cbranch_execz .LBB472_9
; %bb.6:
	v_or_b32_e32 v2, 32, v0
	v_cmp_gt_i32_e32 vcc_lo, s40, v0
	s_add_i32 s20, s40, -1
	v_or_b32_e32 v4, 64, v0
	v_or_b32_e32 v6, 0xa0, v0
	s_load_b128 s[8:11], s[0:1], 0x8
	v_cndmask_b32_e32 v1, s20, v0, vcc_lo
	v_cmp_gt_i32_e32 vcc_lo, s40, v2
	s_mov_b32 s19, 0
	s_delay_alu instid0(SALU_CYCLE_1)
	s_mov_b32 s7, s19
	v_cndmask_b32_e32 v3, s20, v2, vcc_lo
	v_or_b32_e32 v2, 0x60, v0
	v_cmp_gt_i32_e32 vcc_lo, s40, v4
	v_cndmask_b32_e32 v5, s20, v4, vcc_lo
	v_or_b32_e32 v4, 0x80, v0
	s_delay_alu instid0(VALU_DEP_4) | instskip(SKIP_1) | instid1(VALU_DEP_3)
	v_cmp_gt_i32_e32 vcc_lo, s40, v2
	v_cndmask_b32_e32 v7, s20, v2, vcc_lo
	v_cmp_gt_i32_e32 vcc_lo, s40, v4
	v_or_b32_e32 v2, 0xc0, v0
	s_delay_alu instid0(VALU_DEP_3) | instskip(SKIP_3) | instid1(VALU_DEP_4)
	v_ashrrev_i32_e32 v8, 31, v7
	v_cndmask_b32_e32 v9, s20, v4, vcc_lo
	v_cmp_gt_i32_e32 vcc_lo, s40, v6
	v_or_b32_e32 v4, 0xe0, v0
	v_lshlrev_b64 v[7:8], 2, v[7:8]
	s_delay_alu instid0(VALU_DEP_4) | instskip(SKIP_3) | instid1(VALU_DEP_4)
	v_ashrrev_i32_e32 v10, 31, v9
	v_cndmask_b32_e32 v11, s20, v6, vcc_lo
	v_cmp_gt_i32_e32 vcc_lo, s40, v2
	v_or_b32_e32 v6, 0x120, v0
	v_lshlrev_b64 v[9:10], 2, v[9:10]
	s_delay_alu instid0(VALU_DEP_4) | instskip(SKIP_3) | instid1(VALU_DEP_4)
	v_ashrrev_i32_e32 v12, 31, v11
	v_cndmask_b32_e32 v13, s20, v2, vcc_lo
	v_or_b32_e32 v2, 0x100, v0
	v_cmp_gt_i32_e32 vcc_lo, s40, v4
	v_lshlrev_b64 v[11:12], 2, v[11:12]
	s_delay_alu instid0(VALU_DEP_4) | instskip(SKIP_3) | instid1(VALU_DEP_4)
	v_ashrrev_i32_e32 v14, 31, v13
	v_cndmask_b32_e32 v15, s20, v4, vcc_lo
	v_cmp_gt_i32_e32 vcc_lo, s40, v2
	v_or_b32_e32 v4, 0x140, v0
	v_lshlrev_b64 v[13:14], 2, v[13:14]
	s_delay_alu instid0(VALU_DEP_4) | instskip(SKIP_3) | instid1(VALU_DEP_4)
	v_ashrrev_i32_e32 v16, 31, v15
	v_cndmask_b32_e32 v17, s20, v2, vcc_lo
	v_cmp_gt_i32_e32 vcc_lo, s40, v6
	v_ashrrev_i32_e32 v2, 31, v1
	v_lshlrev_b64 v[15:16], 2, v[15:16]
	s_delay_alu instid0(VALU_DEP_4)
	v_ashrrev_i32_e32 v18, 31, v17
	v_cndmask_b32_e32 v19, s20, v6, vcc_lo
	v_cmp_gt_i32_e32 vcc_lo, s40, v4
	v_lshlrev_b64 v[1:2], 2, v[1:2]
	v_ashrrev_i32_e32 v6, 31, v5
	v_lshlrev_b64 v[17:18], 2, v[17:18]
	v_ashrrev_i32_e32 v20, 31, v19
	v_cndmask_b32_e32 v21, s20, v4, vcc_lo
	v_ashrrev_i32_e32 v4, 31, v3
	s_lshl_b64 s[20:21], s[18:19], 2
	v_lshlrev_b64 v[5:6], 2, v[5:6]
	s_waitcnt lgkmcnt(0)
	s_add_u32 s19, s10, s20
	s_addc_u32 s25, s11, s21
	s_lshl_b64 s[10:11], s[6:7], 2
	v_lshlrev_b64 v[3:4], 2, v[3:4]
	s_add_u32 s7, s19, s10
	s_addc_u32 s19, s25, s11
	v_add_co_u32 v22, vcc_lo, s7, v1
	v_add_co_ci_u32_e32 v23, vcc_lo, s19, v2, vcc_lo
	s_delay_alu instid0(VALU_DEP_3)
	v_add_co_u32 v24, vcc_lo, s7, v3
	v_add_co_ci_u32_e32 v25, vcc_lo, s19, v4, vcc_lo
	v_add_co_u32 v26, vcc_lo, s7, v5
	v_add_co_ci_u32_e32 v27, vcc_lo, s19, v6, vcc_lo
	;; [unrolled: 2-line block ×5, first 2 shown]
	v_add_co_u32 v34, vcc_lo, s7, v13
	s_clause 0x2
	global_load_b32 v38, v[22:23], off
	global_load_b32 v39, v[24:25], off
	;; [unrolled: 1-line block ×3, first 2 shown]
	v_ashrrev_i32_e32 v22, 31, v21
	v_add_co_ci_u32_e32 v35, vcc_lo, s19, v14, vcc_lo
	v_add_co_u32 v36, vcc_lo, s7, v15
	v_lshlrev_b64 v[19:20], 2, v[19:20]
	v_add_co_ci_u32_e32 v37, vcc_lo, s19, v16, vcc_lo
	v_add_co_u32 v23, vcc_lo, s7, v17
	v_lshlrev_b64 v[21:22], 2, v[21:22]
	s_clause 0x4
	global_load_b32 v29, v[28:29], off
	global_load_b32 v30, v[30:31], off
	;; [unrolled: 1-line block ×5, first 2 shown]
	v_add_co_ci_u32_e32 v24, vcc_lo, s19, v18, vcc_lo
	v_add_co_u32 v25, vcc_lo, s7, v19
	v_add_co_ci_u32_e32 v26, vcc_lo, s19, v20, vcc_lo
	v_add_co_u32 v27, vcc_lo, s7, v21
	v_add_co_ci_u32_e32 v28, vcc_lo, s19, v22, vcc_lo
	s_clause 0x2
	global_load_b32 v23, v[23:24], off
	global_load_b32 v24, v[25:26], off
	;; [unrolled: 1-line block ×3, first 2 shown]
	s_add_u32 s7, s8, s20
	s_addc_u32 s8, s9, s21
	s_add_u32 s7, s7, s10
	s_addc_u32 s8, s8, s11
	v_add_co_u32 v1, vcc_lo, s7, v1
	v_add_co_ci_u32_e32 v2, vcc_lo, s8, v2, vcc_lo
	v_add_co_u32 v3, vcc_lo, s7, v3
	v_add_co_ci_u32_e32 v4, vcc_lo, s8, v4, vcc_lo
	;; [unrolled: 2-line block ×8, first 2 shown]
	s_clause 0x7
	global_load_b32 v34, v[1:2], off
	global_load_b32 v3, v[3:4], off
	;; [unrolled: 1-line block ×8, first 2 shown]
	v_mbcnt_lo_u32_b32 v26, -1, 0
	s_delay_alu instid0(VALU_DEP_1) | instskip(SKIP_2) | instid1(VALU_DEP_3)
	v_xor_b32_e32 v27, 16, v26
	v_xor_b32_e32 v14, 8, v26
	;; [unrolled: 1-line block ×3, first 2 shown]
	v_cmp_gt_i32_e32 vcc_lo, 32, v27
	v_cndmask_b32_e32 v1, v26, v27, vcc_lo
	s_delay_alu instid0(VALU_DEP_1)
	v_lshlrev_b32_e32 v10, 2, v1
	v_add_co_u32 v1, vcc_lo, s7, v17
	v_xor_b32_e32 v17, 1, v26
	s_waitcnt vmcnt(16)
	v_max3_f32 v28, v38, v39, v40
	s_waitcnt vmcnt(14)
	s_delay_alu instid0(VALU_DEP_1) | instskip(SKIP_1) | instid1(VALU_DEP_1)
	v_max3_f32 v28, v28, v29, v30
	s_waitcnt vmcnt(12)
	v_max3_f32 v28, v28, v31, v32
	s_waitcnt vmcnt(10)
	s_delay_alu instid0(VALU_DEP_1) | instskip(SKIP_1) | instid1(VALU_DEP_1)
	v_max3_f32 v2, v28, v33, v23
	s_waitcnt vmcnt(8)
	v_max3_f32 v11, v2, v24, v25
	v_add_co_ci_u32_e32 v2, vcc_lo, s8, v18, vcc_lo
	ds_bpermute_b32 v12, v10, v11
	global_load_b32 v13, v[1:2], off
	v_add_co_u32 v1, vcc_lo, s7, v19
	v_add_co_ci_u32_e32 v2, vcc_lo, s8, v20, vcc_lo
	v_cmp_gt_i32_e32 vcc_lo, 32, v14
	global_load_b32 v15, v[1:2], off
	s_waitcnt lgkmcnt(0)
	v_max_f32_e32 v12, v12, v12
	v_cndmask_b32_e32 v14, v26, v14, vcc_lo
	v_add_co_u32 v1, vcc_lo, s7, v21
	v_add_co_ci_u32_e32 v2, vcc_lo, s8, v22, vcc_lo
	s_delay_alu instid0(VALU_DEP_3)
	v_dual_max_f32 v11, v11, v12 :: v_dual_lshlrev_b32 v14, 2, v14
	v_xor_b32_e32 v12, 4, v26
	global_load_b32 v1, v[1:2], off
	s_mov_b32 s7, exec_lo
	ds_bpermute_b32 v2, v14, v11
	v_cmp_gt_i32_e32 vcc_lo, 32, v12
	v_cndmask_b32_e32 v12, v26, v12, vcc_lo
	v_cmp_gt_i32_e32 vcc_lo, 32, v16
	s_delay_alu instid0(VALU_DEP_2) | instskip(SKIP_2) | instid1(VALU_DEP_2)
	v_lshlrev_b32_e32 v12, 2, v12
	v_cndmask_b32_e32 v16, v26, v16, vcc_lo
	v_cmp_gt_i32_e32 vcc_lo, 32, v17
	v_dual_cndmask_b32 v17, v26, v17 :: v_dual_lshlrev_b32 v16, 2, v16
	s_waitcnt lgkmcnt(0)
	s_delay_alu instid0(VALU_DEP_1) | instskip(NEXT) | instid1(VALU_DEP_1)
	v_dual_max_f32 v2, v2, v2 :: v_dual_lshlrev_b32 v17, 2, v17
	v_max_f32_e32 v2, v11, v2
	ds_bpermute_b32 v11, v12, v2
	s_waitcnt lgkmcnt(0)
	v_max_f32_e32 v11, v11, v11
	s_delay_alu instid0(VALU_DEP_1) | instskip(SKIP_3) | instid1(VALU_DEP_1)
	v_max_f32_e32 v2, v2, v11
	ds_bpermute_b32 v11, v16, v2
	s_waitcnt lgkmcnt(0)
	v_max_f32_e32 v11, v11, v11
	v_max_f32_e32 v2, v2, v11
	ds_bpermute_b32 v11, v17, v2
	s_waitcnt lgkmcnt(0)
	v_max_f32_e32 v11, v11, v11
	s_delay_alu instid0(VALU_DEP_1) | instskip(SKIP_1) | instid1(VALU_DEP_2)
	v_max_f32_e32 v2, v2, v11
	v_sub_nc_u32_e32 v11, s40, v0
	v_sub_f32_e32 v28, v33, v2
	v_sub_f32_e32 v20, v40, v2
	;; [unrolled: 1-line block ×4, first 2 shown]
	s_delay_alu instid0(VALU_DEP_4)
	v_dual_sub_f32 v21, v29, v2 :: v_dual_mul_f32 v36, 0x3fb8aa3b, v28
	v_sub_f32_e32 v22, v30, v2
	v_mul_f32_e32 v30, 0x3fb8aa3b, v20
	v_dual_sub_f32 v24, v24, v2 :: v_dual_mul_f32 v29, 0x3fb8aa3b, v19
	v_sub_f32_e32 v26, v31, v2
	v_sub_f32_e32 v27, v32, v2
	s_delay_alu instid0(VALU_DEP_4) | instskip(NEXT) | instid1(VALU_DEP_4)
	v_fma_f32 v44, 0x3fb8aa3b, v20, -v30
	v_mul_f32_e32 v38, 0x3fb8aa3b, v24
	v_fma_f32 v42, 0x3fb8aa3b, v19, -v29
	v_sub_f32_e32 v23, v23, v2
	v_dual_sub_f32 v2, v25, v2 :: v_dual_mul_f32 v31, 0x3fb8aa3b, v21
	v_rndne_f32_e32 v43, v29
	v_rndne_f32_e32 v45, v30
	v_mul_f32_e32 v25, 0x3fb8aa3b, v18
	v_fmac_f32_e32 v42, 0x32a5705f, v19
	s_delay_alu instid0(VALU_DEP_4) | instskip(NEXT) | instid1(VALU_DEP_4)
	v_dual_fmac_f32 v44, 0x32a5705f, v20 :: v_dual_sub_f32 v29, v29, v43
	v_dual_sub_f32 v30, v30, v45 :: v_dual_mul_f32 v37, 0x3fb8aa3b, v23
	s_delay_alu instid0(VALU_DEP_4) | instskip(SKIP_2) | instid1(VALU_DEP_4)
	v_fma_f32 v40, 0x3fb8aa3b, v18, -v25
	v_rndne_f32_e32 v41, v25
	v_dual_mul_f32 v32, 0x3fb8aa3b, v22 :: v_dual_mul_f32 v35, 0x3fb8aa3b, v27
	v_add_f32_e32 v30, v30, v44
	v_fma_f32 v56, 0x3fb8aa3b, v23, -v37
	s_delay_alu instid0(VALU_DEP_4) | instskip(NEXT) | instid1(VALU_DEP_4)
	v_dual_fmac_f32 v40, 0x32a5705f, v18 :: v_dual_sub_f32 v25, v25, v41
	v_fma_f32 v48, 0x3fb8aa3b, v22, -v32
	v_rndne_f32_e32 v49, v32
	v_mul_f32_e32 v33, 0x3fb8aa3b, v26
	v_fma_f32 v54, 0x3fb8aa3b, v28, -v36
	v_dual_fmac_f32 v56, 0x32a5705f, v23 :: v_dual_add_f32 v25, v25, v40
	v_fma_f32 v46, 0x3fb8aa3b, v21, -v31
	v_rndne_f32_e32 v47, v31
	v_rndne_f32_e32 v53, v35
	v_sub_f32_e32 v32, v32, v49
	v_fma_f32 v50, 0x3fb8aa3b, v26, -v33
	v_rndne_f32_e32 v51, v33
	v_fmac_f32_e32 v48, 0x32a5705f, v22
	v_dual_fmac_f32 v54, 0x32a5705f, v28 :: v_dual_add_f32 v29, v29, v42
	v_exp_f32_e32 v25, v25
	v_fma_f32 v52, 0x3fb8aa3b, v27, -v35
	v_rndne_f32_e32 v55, v36
	v_fma_f32 v58, 0x3fb8aa3b, v24, -v38
	v_cvt_i32_f32_e32 v41, v41
	v_dual_fmac_f32 v46, 0x32a5705f, v21 :: v_dual_sub_f32 v31, v31, v47
	v_dual_fmac_f32 v50, 0x32a5705f, v26 :: v_dual_sub_f32 v35, v35, v53
	v_dual_sub_f32 v33, v33, v51 :: v_dual_add_f32 v32, v32, v48
	v_exp_f32_e32 v29, v29
	v_exp_f32_e32 v30, v30
	v_dual_mul_f32 v39, 0x3fb8aa3b, v2 :: v_dual_sub_f32 v36, v36, v55
	v_rndne_f32_e32 v57, v37
	v_cvt_i32_f32_e32 v43, v43
	v_cvt_i32_f32_e32 v45, v45
	v_fmac_f32_e32 v52, 0x32a5705f, v27
	v_dual_fmac_f32 v58, 0x32a5705f, v24 :: v_dual_add_f32 v31, v31, v46
	v_add_f32_e32 v33, v33, v50
	v_exp_f32_e32 v32, v32
	v_ldexp_f32 v25, v25, v41
	v_cmp_ngt_f32_e32 vcc_lo, 0xc2ce8ed0, v18
	v_cvt_i32_f32_e32 v49, v49
	v_sub_f32_e32 v37, v37, v57
	v_dual_add_f32 v35, v35, v52 :: v_dual_add_f32 v36, v36, v54
	v_exp_f32_e32 v31, v31
	v_ldexp_f32 v29, v29, v43
	v_ldexp_f32 v30, v30, v45
	v_cndmask_b32_e32 v25, 0, v25, vcc_lo
	v_cmp_ngt_f32_e32 vcc_lo, 0xc2ce8ed0, v19
	v_cvt_i32_f32_e32 v47, v47
	v_exp_f32_e32 v36, v36
	v_ldexp_f32 v32, v32, v49
	v_cvt_i32_f32_e32 v55, v55
	v_cndmask_b32_e32 v29, 0, v29, vcc_lo
	v_cmp_ngt_f32_e32 vcc_lo, 0xc2ce8ed0, v20
	v_exp_f32_e32 v33, v33
	v_ldexp_f32 v31, v31, v47
	v_cvt_i32_f32_e32 v51, v51
	v_exp_f32_e32 v35, v35
	v_cndmask_b32_e32 v30, 0, v30, vcc_lo
	v_cmp_ngt_f32_e32 vcc_lo, 0xc2ce8ed0, v21
	v_ldexp_f32 v36, v36, v55
	v_cvt_i32_f32_e32 v53, v53
	v_rndne_f32_e32 v59, v38
	v_add_f32_e32 v37, v37, v56
	v_cndmask_b32_e32 v31, 0, v31, vcc_lo
	v_cmp_ngt_f32_e32 vcc_lo, 0xc2ce8ed0, v22
	v_ldexp_f32 v33, v33, v51
	v_ldexp_f32 v35, v35, v53
	v_sub_f32_e32 v38, v38, v59
	v_fma_f32 v60, 0x3fb8aa3b, v2, -v39
	v_cndmask_b32_e32 v32, 0, v32, vcc_lo
	v_cmp_ngt_f32_e32 vcc_lo, 0xc2ce8ed0, v26
	v_exp_f32_e32 v37, v37
	v_rndne_f32_e32 v61, v39
	v_cvt_i32_f32_e32 v57, v57
	v_dual_fmac_f32 v60, 0x32a5705f, v2 :: v_dual_cndmask_b32 v33, 0, v33
	v_cmp_ngt_f32_e32 vcc_lo, 0xc2ce8ed0, v27
	v_cndmask_b32_e32 v35, 0, v35, vcc_lo
	v_cmp_ngt_f32_e32 vcc_lo, 0xc2ce8ed0, v28
	v_cndmask_b32_e32 v36, 0, v36, vcc_lo
	v_cmp_nlt_f32_e32 vcc_lo, 0x42b17218, v18
	v_cndmask_b32_e32 v18, 0x7f800000, v25, vcc_lo
	v_cmp_nlt_f32_e32 vcc_lo, 0x42b17218, v19
	v_cndmask_b32_e32 v19, 0x7f800000, v29, vcc_lo
	v_cmp_nlt_f32_e32 vcc_lo, 0x42b17218, v20
	v_cndmask_b32_e32 v20, 0x7f800000, v30, vcc_lo
	v_cmp_nlt_f32_e32 vcc_lo, 0x42b17218, v21
	v_cndmask_b32_e32 v21, 0x7f800000, v31, vcc_lo
	v_cmp_nlt_f32_e32 vcc_lo, 0x42b17218, v22
	v_cndmask_b32_e32 v22, 0x7f800000, v32, vcc_lo
	v_cmp_nlt_f32_e32 vcc_lo, 0x42b17218, v26
	v_cndmask_b32_e32 v25, 0x7f800000, v33, vcc_lo
	v_cmp_nlt_f32_e32 vcc_lo, 0x42b17218, v27
	v_cndmask_b32_e32 v26, 0x7f800000, v35, vcc_lo
	v_cmp_nlt_f32_e32 vcc_lo, 0x42b17218, v28
	v_cndmask_b32_e32 v27, 0x7f800000, v36, vcc_lo
	v_cmp_lt_i32_e32 vcc_lo, 0, v11
	v_cndmask_b32_e32 v18, 0, v18, vcc_lo
	v_cmp_lt_i32_e32 vcc_lo, 32, v11
	s_waitcnt vmcnt(10)
	s_delay_alu instid0(VALU_DEP_2) | instskip(SKIP_4) | instid1(VALU_DEP_2)
	v_dual_mul_f32 v18, v34, v18 :: v_dual_cndmask_b32 v19, 0, v19
	v_cmp_lt_i32_e32 vcc_lo, 64, v11
	v_cndmask_b32_e32 v20, 0, v20, vcc_lo
	v_cmp_lt_i32_e32 vcc_lo, 0x60, v11
	s_waitcnt vmcnt(8)
	v_dual_mul_f32 v4, v4, v20 :: v_dual_cndmask_b32 v21, 0, v21
	v_cmp_lt_i32_e32 vcc_lo, 0x80, v11
	v_ldexp_f32 v20, v37, v57
	v_cndmask_b32_e32 v22, 0, v22, vcc_lo
	v_cmp_lt_i32_e32 vcc_lo, 0xa0, v11
	v_mul_f32_e32 v3, v3, v19
	v_add_f32_e32 v19, v38, v58
	s_waitcnt vmcnt(6)
	v_dual_mul_f32 v6, v6, v22 :: v_dual_cndmask_b32 v25, 0, v25
	v_cmp_lt_i32_e32 vcc_lo, 0xc0, v11
	v_add_f32_e32 v22, v18, v3
	v_exp_f32_e32 v19, v19
	s_waitcnt vmcnt(5)
	v_dual_mul_f32 v7, v7, v25 :: v_dual_cndmask_b32 v26, 0, v26
	v_cmp_lt_i32_e32 vcc_lo, 0xe0, v11
	v_mul_f32_e32 v5, v5, v21
	v_dual_sub_f32 v21, v39, v61 :: v_dual_add_f32 v22, v22, v4
	s_waitcnt vmcnt(4)
	v_dual_mul_f32 v8, v8, v26 :: v_dual_cndmask_b32 v27, 0, v27
	v_cmp_ngt_f32_e32 vcc_lo, 0xc2ce8ed0, v23
	s_delay_alu instid0(VALU_DEP_3)
	v_dual_add_f32 v21, v21, v60 :: v_dual_add_f32 v22, v22, v5
	v_cvt_i32_f32_e32 v25, v59
	s_waitcnt vmcnt(3)
	v_dual_cndmask_b32 v20, 0, v20 :: v_dual_mul_f32 v9, v9, v27
	v_cmp_nlt_f32_e32 vcc_lo, 0x42b17218, v23
	v_exp_f32_e32 v21, v21
	v_add_f32_e32 v22, v22, v6
	v_ldexp_f32 v19, v19, v25
	v_cvt_i32_f32_e32 v23, v61
	v_cndmask_b32_e32 v20, 0x7f800000, v20, vcc_lo
	v_cmp_lt_i32_e32 vcc_lo, 0x100, v11
	s_delay_alu instid0(VALU_DEP_2) | instskip(SKIP_3) | instid1(VALU_DEP_3)
	v_cndmask_b32_e32 v20, 0, v20, vcc_lo
	v_cmp_ngt_f32_e32 vcc_lo, 0xc2ce8ed0, v24
	v_cndmask_b32_e32 v19, 0, v19, vcc_lo
	s_waitcnt vmcnt(2)
	v_mul_f32_e32 v13, v13, v20
	v_ldexp_f32 v20, v21, v23
	v_add_f32_e32 v21, v22, v7
	v_cmp_nlt_f32_e32 vcc_lo, 0x42b17218, v24
	s_delay_alu instid0(VALU_DEP_2) | instskip(SKIP_4) | instid1(VALU_DEP_4)
	v_add_f32_e32 v21, v21, v8
	v_cndmask_b32_e32 v19, 0x7f800000, v19, vcc_lo
	v_cmp_ngt_f32_e32 vcc_lo, 0xc2ce8ed0, v2
	v_cndmask_b32_e32 v20, 0, v20, vcc_lo
	v_cmp_lt_i32_e32 vcc_lo, 0x120, v11
	v_cndmask_b32_e32 v19, 0, v19, vcc_lo
	v_cmp_nlt_f32_e32 vcc_lo, 0x42b17218, v2
	s_waitcnt vmcnt(1)
	s_delay_alu instid0(VALU_DEP_2) | instskip(SKIP_1) | instid1(VALU_DEP_2)
	v_dual_mul_f32 v15, v15, v19 :: v_dual_cndmask_b32 v2, 0x7f800000, v20
	v_cmp_lt_i32_e32 vcc_lo, 0x140, v11
	v_cndmask_b32_e32 v2, 0, v2, vcc_lo
	v_add_f32_e32 v20, v21, v9
	s_waitcnt vmcnt(0)
	s_delay_alu instid0(VALU_DEP_2) | instskip(NEXT) | instid1(VALU_DEP_2)
	v_mul_f32_e32 v19, v1, v2
	v_add_f32_e32 v11, v20, v13
	s_delay_alu instid0(VALU_DEP_1) | instskip(NEXT) | instid1(VALU_DEP_1)
	v_add_f32_e32 v1, v11, v15
	v_add_f32_e32 v1, v1, v19
	ds_bpermute_b32 v2, v10, v1
	v_lshlrev_b32_e32 v10, 2, v0
	ds_store_2addr_b32 v10, v18, v3 offset1:32
	v_add_nc_u32_e32 v3, 0x400, v10
	ds_store_2addr_b32 v10, v4, v5 offset0:64 offset1:96
	ds_store_2addr_b32 v10, v6, v7 offset0:128 offset1:160
	;; [unrolled: 1-line block ×3, first 2 shown]
	ds_store_2addr_b32 v3, v13, v15 offset1:32
	ds_store_b32 v10, v19 offset:1280
	s_waitcnt lgkmcnt(6)
	v_add_f32_e32 v1, v1, v2
	ds_bpermute_b32 v2, v14, v1
	s_waitcnt lgkmcnt(0)
	v_add_f32_e32 v1, v1, v2
	ds_bpermute_b32 v2, v12, v1
	;; [unrolled: 3-line block ×4, first 2 shown]
	v_cmpx_eq_u32_e32 0, v0
	s_cbranch_execz .LBB472_8
; %bb.7:
	s_waitcnt lgkmcnt(0)
	v_dual_add_f32 v1, v1, v2 :: v_dual_mov_b32 v2, 0
	ds_store_b32 v2, v1 offset:1408
.LBB472_8:
	s_or_b32 exec_lo, exec_lo, s7
	v_mov_b32_e32 v1, s6
.LBB472_9:
	s_or_b32 exec_lo, exec_lo, s24
	s_lshl_b32 s6, s18, 6
	s_mov_b32 s7, 0
	s_waitcnt lgkmcnt(0)
	v_dual_mov_b32 v2, 0 :: v_dual_lshlrev_b32 v1, 6, v1
	s_lshl_b64 s[6:7], s[6:7], 1
	v_lshlrev_b32_e32 v0, 1, v0
	s_add_u32 s34, s4, s6
	s_addc_u32 s35, s5, s7
	s_lshl_b32 s41, s40, 6
	v_lshlrev_b64 v[3:4], 1, v[1:2]
	s_sub_i32 s42, s41, 64
	s_cmpk_lt_i32 s22, 0x100
	v_dual_mov_b32 v30, 0 :: v_dual_mov_b32 v33, 0
	s_cselect_b32 s4, s42, 0
	s_delay_alu instid0(VALU_DEP_2)
	v_add_co_u32 v1, vcc_lo, s34, v3
	s_ashr_i32 s5, s4, 31
	v_add_co_ci_u32_e32 v3, vcc_lo, s35, v4, vcc_lo
	s_lshl_b64 s[4:5], s[4:5], 1
	s_cmpk_lt_i32 s22, 0x200
	v_add_co_u32 v1, vcc_lo, v1, v0
	s_cselect_b32 s6, s42, 64
	v_add_co_ci_u32_e32 v3, vcc_lo, 0, v3, vcc_lo
	s_ashr_i32 s7, s6, 31
	s_delay_alu instid0(VALU_DEP_2)
	v_add_co_u32 v4, vcc_lo, v1, s4
	s_lshl_b64 s[6:7], s[6:7], 1
	s_cmpk_lt_i32 s22, 0x300
	v_add_co_ci_u32_e32 v5, vcc_lo, s5, v3, vcc_lo
	s_cselect_b32 s8, s42, 0x80
	v_add_co_u32 v6, vcc_lo, v1, s6
	s_ashr_i32 s9, s8, 31
	v_add_co_ci_u32_e32 v7, vcc_lo, s7, v3, vcc_lo
	s_lshl_b64 s[8:9], s[8:9], 1
	s_cmpk_lt_i32 s22, 0x400
	v_add_co_u32 v8, vcc_lo, v1, s8
	s_cselect_b32 s10, s42, 0xc0
	v_add_co_ci_u32_e32 v9, vcc_lo, s9, v3, vcc_lo
	s_ashr_i32 s11, s10, 31
	v_dual_mov_b32 v32, 0 :: v_dual_mov_b32 v35, 0
	s_lshl_b64 s[10:11], s[10:11], 1
	s_cmpk_lt_i32 s22, 0x500
	v_add_co_u32 v11, vcc_lo, v1, s10
	s_cselect_b32 s18, s42, 0x100
	v_add_co_ci_u32_e32 v12, vcc_lo, s11, v3, vcc_lo
	s_ashr_i32 s19, s18, 31
	v_mov_b32_e32 v34, 0
	s_lshl_b64 s[18:19], s[18:19], 1
	s_cmpk_lt_i32 s22, 0x600
	v_add_co_u32 v14, vcc_lo, v1, s18
	s_cselect_b32 s20, s42, 0x140
	v_add_co_ci_u32_e32 v15, vcc_lo, s19, v3, vcc_lo
	s_ashr_i32 s21, s20, 31
	v_mov_b32_e32 v31, 0
	s_lshl_b64 s[20:21], s[20:21], 1
	s_cmpk_lt_i32 s22, 0x700
	v_add_co_u32 v16, vcc_lo, v1, s20
	s_cselect_b32 s24, s42, 0x180
	v_add_co_ci_u32_e32 v17, vcc_lo, s21, v3, vcc_lo
	s_ashr_i32 s25, s24, 31
	s_delay_alu instid0(SALU_CYCLE_1)
	s_lshl_b64 s[24:25], s[24:25], 1
	s_cmpk_lt_i32 s22, 0x800
	v_add_co_u32 v18, vcc_lo, v1, s24
	s_cselect_b32 s26, s42, 0x1c0
	v_add_co_ci_u32_e32 v19, vcc_lo, s25, v3, vcc_lo
	s_ashr_i32 s27, s26, 31
	s_delay_alu instid0(SALU_CYCLE_1)
	s_lshl_b64 s[26:27], s[26:27], 1
	s_cmpk_lt_i32 s22, 0x900
	v_add_co_u32 v20, vcc_lo, v1, s26
	s_cselect_b32 s28, s42, 0x200
	v_add_co_ci_u32_e32 v21, vcc_lo, s27, v3, vcc_lo
	s_ashr_i32 s29, s28, 31
	s_clause 0x7
	global_load_u16 v13, v[4:5], off
	global_load_u16 v4, v[6:7], off
	;; [unrolled: 1-line block ×8, first 2 shown]
	s_lshl_b64 s[28:29], s[28:29], 1
	s_cmpk_lt_i32 s22, 0xa00
	v_add_co_u32 v11, vcc_lo, v1, s28
	s_cselect_b32 s30, s42, 0x240
	v_add_co_ci_u32_e32 v12, vcc_lo, s29, v3, vcc_lo
	s_ashr_i32 s31, s30, 31
	s_delay_alu instid0(SALU_CYCLE_1)
	s_lshl_b64 s[30:31], s[30:31], 1
	s_cmpk_lt_i32 s22, 0xb00
	v_add_co_u32 v14, vcc_lo, v1, s30
	s_cselect_b32 s34, s42, 0x280
	v_add_co_ci_u32_e32 v15, vcc_lo, s31, v3, vcc_lo
	s_ashr_i32 s35, s34, 31
	s_delay_alu instid0(SALU_CYCLE_1)
	;; [unrolled: 7-line block ×7, first 2 shown]
	s_lshl_b64 s[4:5], s[6:7], 1
	s_cmpk_gt_i32 s23, 0x1000
	v_add_co_u32 v28, vcc_lo, v1, s4
	v_add_co_ci_u32_e32 v29, vcc_lo, s5, v3, vcc_lo
	s_clause 0x7
	global_load_u16 v19, v[11:12], off
	global_load_u16 v18, v[14:15], off
	global_load_u16 v17, v[16:17], off
	global_load_u16 v16, v[20:21], off
	global_load_u16 v15, v[22:23], off
	global_load_u16 v14, v[24:25], off
	global_load_u16 v12, v[26:27], off
	global_load_u16 v11, v[28:29], off
	v_dual_mov_b32 v20, 0 :: v_dual_mov_b32 v23, 0
	v_dual_mov_b32 v21, 0 :: v_dual_mov_b32 v22, 0
	;; [unrolled: 1-line block ×5, first 2 shown]
	s_cselect_b32 s6, -1, 0
	s_cmpk_lt_i32 s23, 0x1001
	s_waitcnt vmcnt(0)
	s_barrier
	buffer_gl0_inv
	s_cbranch_scc1 .LBB472_11
; %bb.10:
	s_cmpk_lt_i32 s22, 0x1100
	s_cselect_b32 s4, s42, 0x400
	s_delay_alu instid0(SALU_CYCLE_1) | instskip(NEXT) | instid1(SALU_CYCLE_1)
	s_ashr_i32 s5, s4, 31
	s_lshl_b64 s[4:5], s[4:5], 1
	s_cmpk_lt_i32 s22, 0x1200
	v_add_co_u32 v20, vcc_lo, v1, s4
	s_cselect_b32 s8, s42, 0x440
	v_add_co_ci_u32_e32 v21, vcc_lo, s5, v3, vcc_lo
	s_ashr_i32 s9, s8, 31
	s_delay_alu instid0(SALU_CYCLE_1)
	s_lshl_b64 s[8:9], s[8:9], 1
	s_cmpk_lt_i32 s22, 0x1300
	v_add_co_u32 v22, vcc_lo, v1, s8
	s_cselect_b32 s10, s42, 0x480
	v_add_co_ci_u32_e32 v23, vcc_lo, s9, v3, vcc_lo
	s_ashr_i32 s11, s10, 31
	s_delay_alu instid0(SALU_CYCLE_1)
	;; [unrolled: 7-line block ×14, first 2 shown]
	s_lshl_b64 s[4:5], s[18:19], 1
	s_cmpk_lt_i32 s22, 0x2000
	v_add_co_u32 v48, vcc_lo, v1, s4
	s_cselect_b32 s8, s42, 0x7c0
	v_add_co_ci_u32_e32 v49, vcc_lo, s5, v3, vcc_lo
	s_ashr_i32 s9, s8, 31
	s_delay_alu instid0(SALU_CYCLE_1) | instskip(NEXT) | instid1(SALU_CYCLE_1)
	s_lshl_b64 s[4:5], s[8:9], 1
	v_add_co_u32 v50, vcc_lo, v1, s4
	v_add_co_ci_u32_e32 v51, vcc_lo, s5, v3, vcc_lo
	s_clause 0xf
	global_load_u16 v20, v[20:21], off
	global_load_u16 v21, v[22:23], off
	;; [unrolled: 1-line block ×16, first 2 shown]
	s_waitcnt vmcnt(15)
	v_lshlrev_b32_e32 v35, 16, v20
	s_waitcnt vmcnt(14)
	v_lshlrev_b32_e32 v34, 16, v21
	;; [unrolled: 2-line block ×16, first 2 shown]
.LBB472_11:
	ds_load_b128 v[36:39], v2
	ds_load_b128 v[40:43], v2 offset:16
	v_lshlrev_b32_e32 v44, 16, v4
	v_lshlrev_b32_e32 v13, 16, v13
	;; [unrolled: 1-line block ×5, first 2 shown]
	s_load_b64 s[0:1], s[0:1], 0x0
	s_and_b32 vcc_lo, exec_lo, s6
	v_lshlrev_b32_e32 v5, 16, v5
	s_waitcnt lgkmcnt(0)
	v_fma_f32 v4, v36, v13, 0
	s_delay_alu instid0(VALU_DEP_1) | instskip(NEXT) | instid1(VALU_DEP_1)
	v_dual_fmac_f32 v4, v37, v44 :: v_dual_lshlrev_b32 v13, 16, v7
	v_dual_fmac_f32 v4, v38, v10 :: v_dual_lshlrev_b32 v9, 16, v9
	s_delay_alu instid0(VALU_DEP_1) | instskip(SKIP_4) | instid1(VALU_DEP_1)
	v_fmac_f32_e32 v4, v39, v9
	ds_load_b128 v[36:39], v2 offset:48
	v_fmac_f32_e32 v4, v40, v8
	ds_load_b128 v[7:10], v2 offset:32
	v_fmac_f32_e32 v4, v41, v13
	v_fmac_f32_e32 v4, v42, v6
	v_lshlrev_b32_e32 v6, 16, v19
	s_delay_alu instid0(VALU_DEP_2) | instskip(SKIP_1) | instid1(VALU_DEP_1)
	v_dual_fmac_f32 v4, v43, v5 :: v_dual_lshlrev_b32 v5, 16, v18
	s_waitcnt lgkmcnt(0)
	v_fmac_f32_e32 v4, v7, v6
	v_lshlrev_b32_e32 v6, 16, v17
	s_delay_alu instid0(VALU_DEP_2) | instskip(NEXT) | instid1(VALU_DEP_1)
	v_dual_fmac_f32 v4, v8, v5 :: v_dual_lshlrev_b32 v5, 16, v16
	v_fmac_f32_e32 v4, v9, v6
	v_lshlrev_b32_e32 v6, 16, v15
	s_delay_alu instid0(VALU_DEP_2) | instskip(NEXT) | instid1(VALU_DEP_1)
	v_dual_fmac_f32 v4, v10, v5 :: v_dual_lshlrev_b32 v5, 16, v14
	;; [unrolled: 4-line block ×3, first 2 shown]
	v_fmac_f32_e32 v4, v38, v6
	s_delay_alu instid0(VALU_DEP_1)
	v_fmac_f32_e32 v4, v39, v5
	s_cbranch_vccz .LBB472_13
; %bb.12:
	ds_load_b128 v[5:8], v2 offset:64
	ds_load_b128 v[9:12], v2 offset:80
	s_waitcnt lgkmcnt(1)
	v_fmac_f32_e32 v4, v5, v35
	s_delay_alu instid0(VALU_DEP_1) | instskip(NEXT) | instid1(VALU_DEP_1)
	v_fmac_f32_e32 v4, v6, v34
	v_fmac_f32_e32 v4, v7, v33
	s_delay_alu instid0(VALU_DEP_1) | instskip(SKIP_3) | instid1(VALU_DEP_1)
	v_fmac_f32_e32 v4, v8, v32
	ds_load_b128 v[5:8], v2 offset:96
	s_waitcnt lgkmcnt(1)
	v_fmac_f32_e32 v4, v9, v31
	v_fmac_f32_e32 v4, v10, v30
	s_delay_alu instid0(VALU_DEP_1) | instskip(NEXT) | instid1(VALU_DEP_1)
	v_fmac_f32_e32 v4, v11, v29
	v_fmac_f32_e32 v4, v12, v28
	ds_load_b128 v[9:12], v2 offset:112
	s_waitcnt lgkmcnt(1)
	v_fmac_f32_e32 v4, v5, v27
	s_delay_alu instid0(VALU_DEP_1) | instskip(NEXT) | instid1(VALU_DEP_1)
	v_fmac_f32_e32 v4, v6, v26
	v_fmac_f32_e32 v4, v7, v25
	s_delay_alu instid0(VALU_DEP_1) | instskip(SKIP_1) | instid1(VALU_DEP_1)
	v_fmac_f32_e32 v4, v8, v24
	s_waitcnt lgkmcnt(0)
	v_fmac_f32_e32 v4, v9, v23
	s_delay_alu instid0(VALU_DEP_1) | instskip(NEXT) | instid1(VALU_DEP_1)
	v_fmac_f32_e32 v4, v10, v22
	v_fmac_f32_e32 v4, v11, v21
	s_delay_alu instid0(VALU_DEP_1)
	v_fmac_f32_e32 v4, v12, v20
.LBB472_13:
	s_movk_i32 s43, 0xfc0
	s_movk_i32 s44, 0x80
	s_mov_b32 s45, 32
	s_branch .LBB472_15
.LBB472_14:                             ;   in Loop: Header=BB472_15 Depth=1
	s_addk_i32 s43, 0x800
	s_addk_i32 s44, 0x80
	s_add_i32 s45, s45, 32
	s_cmpk_eq_i32 s43, 0x5fc0
	s_cbranch_scc1 .LBB472_17
.LBB472_15:                             ; =>This Inner Loop Header: Depth=1
	s_cmp_le_i32 s40, s45
	s_cbranch_scc1 .LBB472_14
; %bb.16:                               ;   in Loop: Header=BB472_15 Depth=1
	s_add_i32 s4, s43, 0xfffff840
	v_mov_b32_e32 v44, s44
	s_cmp_lt_i32 s4, s41
	s_cselect_b32 s4, s4, s42
	s_add_i32 s6, s43, 0xfffff880
	s_ashr_i32 s5, s4, 31
	s_delay_alu instid0(SALU_CYCLE_1)
	s_lshl_b64 s[38:39], s[4:5], 1
	s_cmp_lt_i32 s6, s41
	v_add_co_u32 v5, vcc_lo, v1, s38
	s_cselect_b32 s4, s6, s42
	s_add_i32 s6, s43, 0xfffff8c0
	s_ashr_i32 s5, s4, 31
	v_add_co_ci_u32_e32 v6, vcc_lo, s39, v3, vcc_lo
	s_lshl_b64 s[4:5], s[4:5], 1
	s_cmp_lt_i32 s6, s41
	s_cselect_b32 s6, s6, s42
	s_add_i32 s8, s43, 0xfffff900
	s_ashr_i32 s7, s6, 31
	global_load_u16 v2, v[5:6], off
	s_lshl_b64 s[6:7], s[6:7], 1
	s_cmp_lt_i32 s8, s41
	v_add_co_u32 v5, vcc_lo, v1, s4
	s_cselect_b32 s8, s8, s42
	s_add_i32 s10, s43, 0xfffff940
	s_ashr_i32 s9, s8, 31
	v_add_co_ci_u32_e32 v6, vcc_lo, s5, v3, vcc_lo
	s_lshl_b64 s[8:9], s[8:9], 1
	s_cmp_lt_i32 s10, s41
	v_add_co_u32 v7, vcc_lo, v1, s6
	s_cselect_b32 s10, s10, s42
	s_add_i32 s18, s43, 0xfffff980
	s_ashr_i32 s11, s10, 31
	v_add_co_ci_u32_e32 v8, vcc_lo, s7, v3, vcc_lo
	s_lshl_b64 s[10:11], s[10:11], 1
	s_cmp_lt_i32 s18, s41
	v_add_co_u32 v9, vcc_lo, v1, s8
	s_cselect_b32 s18, s18, s42
	s_add_i32 s20, s43, 0xfffff9c0
	s_ashr_i32 s19, s18, 31
	s_clause 0x1
	global_load_u16 v23, v[5:6], off
	global_load_u16 v24, v[7:8], off
	s_lshl_b64 s[18:19], s[18:19], 1
	s_cmp_lt_i32 s20, s41
	v_add_co_ci_u32_e32 v10, vcc_lo, s9, v3, vcc_lo
	s_cselect_b32 s20, s20, s42
	s_add_i32 s22, s43, 0xfffffa00
	s_ashr_i32 s21, s20, 31
	global_load_u16 v25, v[9:10], off
	s_lshl_b64 s[20:21], s[20:21], 1
	s_cmp_lt_i32 s22, s41
	v_add_co_u32 v11, vcc_lo, v1, s10
	s_cselect_b32 s22, s22, s42
	s_add_i32 s24, s43, 0xfffffa40
	s_ashr_i32 s23, s22, 31
	v_add_co_ci_u32_e32 v12, vcc_lo, s11, v3, vcc_lo
	s_lshl_b64 s[22:23], s[22:23], 1
	s_cmp_lt_i32 s24, s41
	v_add_co_u32 v13, vcc_lo, v1, s18
	global_load_u16 v26, v[11:12], off
	s_cselect_b32 s24, s24, s42
	s_add_i32 s26, s43, 0xfffffa80
	s_ashr_i32 s25, s24, 31
	v_add_co_ci_u32_e32 v14, vcc_lo, s19, v3, vcc_lo
	s_lshl_b64 s[24:25], s[24:25], 1
	s_cmp_lt_i32 s26, s41
	v_add_co_u32 v15, vcc_lo, v1, s20
	global_load_u16 v27, v[13:14], off
	s_cselect_b32 s26, s26, s42
	s_add_i32 s28, s43, 0xfffffac0
	s_ashr_i32 s27, s26, 31
	v_add_co_ci_u32_e32 v16, vcc_lo, s21, v3, vcc_lo
	s_lshl_b64 s[36:37], s[26:27], 1
	s_cmp_lt_i32 s28, s41
	v_add_co_u32 v17, vcc_lo, v1, s22
	s_cselect_b32 s26, s28, s42
	s_add_i32 s30, s43, 0xfffffb00
	s_ashr_i32 s27, s26, 31
	v_add_co_ci_u32_e32 v18, vcc_lo, s23, v3, vcc_lo
	s_lshl_b64 s[28:29], s[26:27], 1
	s_cmp_lt_i32 s30, s41
	v_add_co_u32 v19, vcc_lo, v1, s24
	global_load_u16 v17, v[17:18], off
	s_cselect_b32 s26, s30, s42
	s_add_i32 s30, s43, 0xfffffb40
	s_ashr_i32 s27, s26, 31
	v_add_co_ci_u32_e32 v20, vcc_lo, s25, v3, vcc_lo
	s_lshl_b64 s[26:27], s[26:27], 1
	s_cmp_lt_i32 s30, s41
	v_add_co_u32 v21, vcc_lo, v1, s36
	s_cselect_b32 s30, s30, s42
	s_add_i32 s46, s43, 0xfffffb80
	s_ashr_i32 s31, s30, 31
	v_add_co_ci_u32_e32 v22, vcc_lo, s37, v3, vcc_lo
	s_lshl_b64 s[34:35], s[30:31], 1
	s_cmp_lt_i32 s46, s41
	v_add_co_u32 v5, vcc_lo, v1, s28
	;; [unrolled: 7-line block ×3, first 2 shown]
	s_cselect_b32 s46, s46, s42
	s_add_i32 s48, s43, 0xfffffc00
	s_ashr_i32 s47, s46, 31
	global_load_u16 v28, v[15:16], off
	s_lshl_b64 s[38:39], s[46:47], 1
	s_cmp_lt_i32 s48, s41
	v_add_co_ci_u32_e32 v8, vcc_lo, s27, v3, vcc_lo
	s_cselect_b32 s46, s48, s42
	v_add_co_u32 v9, vcc_lo, v1, s34
	s_ashr_i32 s47, s46, 31
	s_add_i32 s4, s43, 0xfffffc40
	s_lshl_b64 s[46:47], s[46:47], 1
	v_add_co_ci_u32_e32 v10, vcc_lo, s35, v3, vcc_lo
	s_cmp_lt_i32 s4, s41
	v_add_co_u32 v11, vcc_lo, v1, s30
	s_cselect_b32 s4, s4, s42
	v_add_co_ci_u32_e32 v12, vcc_lo, s31, v3, vcc_lo
	v_add_co_u32 v13, vcc_lo, v1, s38
	s_ashr_i32 s5, s4, 31
	s_add_i32 s6, s43, 0xfffffc80
	v_add_co_ci_u32_e32 v14, vcc_lo, s39, v3, vcc_lo
	global_load_u16 v18, v[19:20], off
	s_lshl_b64 s[8:9], s[4:5], 1
	s_cmp_lt_i32 s6, s41
	global_load_u16 v30, v[13:14], off
	s_cselect_b32 s4, s6, s42
	global_load_u16 v19, v[21:22], off
	s_ashr_i32 s5, s4, 31
	s_add_i32 s6, s43, 0xfffffcc0
	s_lshl_b64 s[10:11], s[4:5], 1
	s_cmp_lt_i32 s6, s41
	s_clause 0x3
	global_load_u16 v20, v[5:6], off
	global_load_u16 v21, v[7:8], off
	;; [unrolled: 1-line block ×4, first 2 shown]
	s_cselect_b32 s4, s6, s42
	s_add_i32 s6, s43, 0xfffffd00
	s_ashr_i32 s5, s4, 31
	v_add_co_u32 v15, vcc_lo, v1, s46
	s_lshl_b64 s[4:5], s[4:5], 1
	s_cmp_lt_i32 s6, s41
	v_add_co_ci_u32_e32 v16, vcc_lo, s47, v3, vcc_lo
	s_cselect_b32 s6, s6, s42
	s_add_i32 s18, s43, 0xfffffd40
	s_ashr_i32 s7, s6, 31
	v_add_co_u32 v5, vcc_lo, v1, s8
	s_lshl_b64 s[6:7], s[6:7], 1
	s_cmp_lt_i32 s18, s41
	v_add_co_ci_u32_e32 v6, vcc_lo, s9, v3, vcc_lo
	s_cselect_b32 s18, s18, s42
	v_add_co_u32 v7, vcc_lo, v1, s10
	s_ashr_i32 s19, s18, 31
	s_add_i32 s20, s43, 0xfffffd80
	s_lshl_b64 s[18:19], s[18:19], 1
	v_add_co_ci_u32_e32 v8, vcc_lo, s11, v3, vcc_lo
	s_cmp_lt_i32 s20, s41
	v_add_co_u32 v9, vcc_lo, v1, s4
	s_cselect_b32 s20, s20, s42
	v_add_co_ci_u32_e32 v10, vcc_lo, s5, v3, vcc_lo
	v_add_co_u32 v11, vcc_lo, v1, s6
	s_ashr_i32 s21, s20, 31
	s_add_i32 s22, s43, 0xfffffdc0
	v_add_co_ci_u32_e32 v12, vcc_lo, s7, v3, vcc_lo
	global_load_u16 v15, v[15:16], off
	s_lshl_b64 s[20:21], s[20:21], 1
	s_cmp_lt_i32 s22, s41
	global_load_u16 v33, v[11:12], off
	s_cselect_b32 s22, s22, s42
	s_clause 0x2
	global_load_u16 v16, v[5:6], off
	global_load_u16 v31, v[7:8], off
	;; [unrolled: 1-line block ×3, first 2 shown]
	s_ashr_i32 s23, s22, 31
	s_add_i32 s24, s43, 0xfffffe00
	s_lshl_b64 s[22:23], s[22:23], 1
	s_cmp_lt_i32 s24, s41
	v_add_co_u32 v13, vcc_lo, v1, s18
	s_cselect_b32 s24, s24, s42
	s_add_i32 s26, s43, 0xfffffe40
	s_ashr_i32 s25, s24, 31
	v_add_co_ci_u32_e32 v14, vcc_lo, s19, v3, vcc_lo
	s_lshl_b64 s[24:25], s[24:25], 1
	s_cmp_lt_i32 s26, s41
	v_add_co_u32 v5, vcc_lo, v1, s20
	s_cselect_b32 s8, s26, s42
	v_add_co_ci_u32_e32 v6, vcc_lo, s21, v3, vcc_lo
	s_ashr_i32 s9, s8, 31
	v_add_co_u32 v7, vcc_lo, v1, s22
	s_add_i32 s10, s43, 0xfffffe80
	s_lshl_b64 s[8:9], s[8:9], 1
	v_add_co_ci_u32_e32 v8, vcc_lo, s23, v3, vcc_lo
	s_cmp_lt_i32 s10, s41
	v_add_co_u32 v9, vcc_lo, v1, s24
	s_cselect_b32 s4, s10, s42
	global_load_u16 v13, v[13:14], off
	v_add_co_ci_u32_e32 v10, vcc_lo, s25, v3, vcc_lo
	s_ashr_i32 s5, s4, 31
	s_add_i32 s6, s43, 0xfffffec0
	s_lshl_b64 s[4:5], s[4:5], 1
	global_load_u16 v35, v[9:10], off
	s_cmp_lt_i32 s6, s41
	s_clause 0x1
	global_load_u16 v14, v[5:6], off
	global_load_u16 v34, v[7:8], off
	s_cselect_b32 s6, s6, s42
	s_add_i32 s10, s43, 0xffffff00
	s_ashr_i32 s7, s6, 31
	v_add_co_u32 v5, vcc_lo, v1, s8
	s_lshl_b64 s[6:7], s[6:7], 1
	s_cmp_lt_i32 s10, s41
	v_add_co_ci_u32_e32 v6, vcc_lo, s9, v3, vcc_lo
	s_cselect_b32 s10, s10, s42
	v_add_co_u32 v7, vcc_lo, v1, s4
	s_ashr_i32 s11, s10, 31
	v_add_co_ci_u32_e32 v8, vcc_lo, s5, v3, vcc_lo
	s_add_i32 s18, s43, 0xffffff40
	s_lshl_b64 s[10:11], s[10:11], 1
	s_cmp_lt_i32 s18, s41
	s_clause 0x1
	global_load_u16 v36, v[5:6], off
	global_load_u16 v37, v[7:8], off
	s_cselect_b32 s18, s18, s42
	v_add_co_u32 v5, vcc_lo, v1, s6
	s_ashr_i32 s19, s18, 31
	v_add_co_ci_u32_e32 v6, vcc_lo, s7, v3, vcc_lo
	s_add_i32 s20, s43, 0xffffff80
	v_add_co_u32 v7, vcc_lo, v1, s10
	s_lshl_b64 s[8:9], s[18:19], 1
	s_cmp_lt_i32 s20, s41
	v_add_co_ci_u32_e32 v8, vcc_lo, s11, v3, vcc_lo
	s_cselect_b32 s4, s20, s42
	global_load_u16 v38, v[5:6], off
	s_ashr_i32 s5, s4, 31
	global_load_u16 v39, v[7:8], off
	s_sub_i32 s18, s43, 64
	v_add_co_u32 v5, vcc_lo, v1, s8
	s_lshl_b64 s[4:5], s[4:5], 1
	s_cmp_lt_i32 s18, s41
	v_add_co_ci_u32_e32 v6, vcc_lo, s9, v3, vcc_lo
	v_add_co_u32 v7, vcc_lo, v1, s4
	s_cselect_b32 s6, s18, s42
	v_add_co_ci_u32_e32 v8, vcc_lo, s5, v3, vcc_lo
	s_ashr_i32 s7, s6, 31
	global_load_u16 v40, v[5:6], off
	s_lshl_b64 s[6:7], s[6:7], 1
	global_load_u16 v41, v[7:8], off
	s_cmp_lt_i32 s43, s41
	v_add_co_u32 v5, vcc_lo, v1, s6
	s_cselect_b32 s4, s43, s42
	v_add_co_ci_u32_e32 v6, vcc_lo, s7, v3, vcc_lo
	s_ashr_i32 s5, s4, 31
	s_delay_alu instid0(SALU_CYCLE_1)
	s_lshl_b64 s[4:5], s[4:5], 1
	global_load_u16 v42, v[5:6], off
	v_add_co_u32 v5, vcc_lo, v1, s4
	v_add_co_ci_u32_e32 v6, vcc_lo, s5, v3, vcc_lo
	global_load_u16 v43, v[5:6], off
	ds_load_b128 v[5:8], v44
	ds_load_b128 v[9:12], v44 offset:16
	s_waitcnt vmcnt(31)
	v_lshlrev_b32_e32 v2, 16, v2
	s_waitcnt lgkmcnt(1)
	s_delay_alu instid0(VALU_DEP_1) | instskip(SKIP_2) | instid1(VALU_DEP_1)
	v_fmac_f32_e32 v4, v5, v2
	s_waitcnt vmcnt(30)
	v_lshlrev_b32_e32 v2, 16, v23
	v_fmac_f32_e32 v4, v6, v2
	s_waitcnt vmcnt(29)
	v_lshlrev_b32_e32 v2, 16, v24
	s_delay_alu instid0(VALU_DEP_1) | instskip(SKIP_2) | instid1(VALU_DEP_1)
	v_fmac_f32_e32 v4, v7, v2
	s_waitcnt vmcnt(28)
	v_lshlrev_b32_e32 v2, 16, v25
	v_fmac_f32_e32 v4, v8, v2
	ds_load_b128 v[5:8], v44 offset:32
	s_waitcnt vmcnt(27)
	v_lshlrev_b32_e32 v2, 16, v26
	s_waitcnt lgkmcnt(1)
	s_delay_alu instid0(VALU_DEP_1) | instskip(SKIP_2) | instid1(VALU_DEP_1)
	v_fmac_f32_e32 v4, v9, v2
	s_waitcnt vmcnt(26)
	v_lshlrev_b32_e32 v2, 16, v27
	v_fmac_f32_e32 v4, v10, v2
	s_waitcnt vmcnt(24)
	v_lshlrev_b32_e32 v2, 16, v28
	s_delay_alu instid0(VALU_DEP_1) | instskip(SKIP_1) | instid1(VALU_DEP_1)
	v_fmac_f32_e32 v4, v11, v2
	v_lshlrev_b32_e32 v2, 16, v17
	v_fmac_f32_e32 v4, v12, v2
	ds_load_b128 v[9:12], v44 offset:48
	s_waitcnt vmcnt(23)
	v_lshlrev_b32_e32 v2, 16, v18
	s_waitcnt lgkmcnt(1)
	s_delay_alu instid0(VALU_DEP_1) | instskip(SKIP_2) | instid1(VALU_DEP_1)
	v_fmac_f32_e32 v4, v5, v2
	s_waitcnt vmcnt(21)
	v_lshlrev_b32_e32 v2, 16, v19
	v_fmac_f32_e32 v4, v6, v2
	s_waitcnt vmcnt(20)
	v_lshlrev_b32_e32 v2, 16, v20
	s_delay_alu instid0(VALU_DEP_1) | instskip(SKIP_2) | instid1(VALU_DEP_1)
	v_fmac_f32_e32 v4, v7, v2
	s_waitcnt vmcnt(19)
	v_lshlrev_b32_e32 v2, 16, v21
	v_fmac_f32_e32 v4, v8, v2
	s_waitcnt vmcnt(18)
	v_lshlrev_b32_e32 v2, 16, v22
	ds_load_b128 v[5:8], v44 offset:64
	s_waitcnt lgkmcnt(1)
	v_fmac_f32_e32 v4, v9, v2
	s_waitcnt vmcnt(17)
	v_lshlrev_b32_e32 v2, 16, v29
	s_delay_alu instid0(VALU_DEP_1) | instskip(SKIP_1) | instid1(VALU_DEP_1)
	v_fmac_f32_e32 v4, v10, v2
	v_lshlrev_b32_e32 v2, 16, v30
	v_fmac_f32_e32 v4, v11, v2
	s_waitcnt vmcnt(16)
	v_lshlrev_b32_e32 v2, 16, v15
	s_delay_alu instid0(VALU_DEP_1) | instskip(SKIP_4) | instid1(VALU_DEP_1)
	v_fmac_f32_e32 v4, v12, v2
	ds_load_b128 v[9:12], v44 offset:80
	s_waitcnt vmcnt(14)
	v_lshlrev_b32_e32 v2, 16, v16
	s_waitcnt lgkmcnt(1)
	v_fmac_f32_e32 v4, v5, v2
	s_waitcnt vmcnt(13)
	v_lshlrev_b32_e32 v2, 16, v31
	s_delay_alu instid0(VALU_DEP_1) | instskip(SKIP_2) | instid1(VALU_DEP_1)
	v_fmac_f32_e32 v4, v6, v2
	s_waitcnt vmcnt(12)
	v_lshlrev_b32_e32 v2, 16, v32
	v_fmac_f32_e32 v4, v7, v2
	v_lshlrev_b32_e32 v2, 16, v33
	s_delay_alu instid0(VALU_DEP_1) | instskip(SKIP_4) | instid1(VALU_DEP_1)
	v_fmac_f32_e32 v4, v8, v2
	ds_load_b128 v[5:8], v44 offset:96
	s_waitcnt vmcnt(11)
	v_lshlrev_b32_e32 v2, 16, v13
	s_waitcnt lgkmcnt(1)
	v_fmac_f32_e32 v4, v9, v2
	s_waitcnt vmcnt(9)
	v_lshlrev_b32_e32 v2, 16, v14
	s_delay_alu instid0(VALU_DEP_1) | instskip(SKIP_2) | instid1(VALU_DEP_1)
	v_fmac_f32_e32 v4, v10, v2
	s_waitcnt vmcnt(8)
	v_lshlrev_b32_e32 v2, 16, v34
	v_fmac_f32_e32 v4, v11, v2
	;; [unrolled: 15-line block ×3, first 2 shown]
	s_waitcnt vmcnt(4)
	v_lshlrev_b32_e32 v2, 16, v39
	s_delay_alu instid0(VALU_DEP_1) | instskip(SKIP_3) | instid1(VALU_DEP_1)
	v_fmac_f32_e32 v4, v8, v2
	s_waitcnt vmcnt(3)
	v_lshlrev_b32_e32 v2, 16, v40
	s_waitcnt lgkmcnt(0)
	v_fmac_f32_e32 v4, v9, v2
	s_waitcnt vmcnt(2)
	v_lshlrev_b32_e32 v2, 16, v41
	s_delay_alu instid0(VALU_DEP_1) | instskip(SKIP_2) | instid1(VALU_DEP_1)
	v_fmac_f32_e32 v4, v10, v2
	s_waitcnt vmcnt(1)
	v_lshlrev_b32_e32 v2, 16, v42
	v_fmac_f32_e32 v4, v11, v2
	s_waitcnt vmcnt(0)
	v_lshlrev_b32_e32 v2, 16, v43
	s_delay_alu instid0(VALU_DEP_1)
	v_fmac_f32_e32 v4, v12, v2
	s_branch .LBB472_14
.LBB472_17:
	v_mov_b32_e32 v1, 0
	s_and_b32 vcc_lo, exec_lo, s15
	ds_load_b32 v1, v1 offset:1408
	s_cbranch_vccz .LBB472_19
; %bb.18:
	s_add_u32 s2, s12, s16
	s_addc_u32 s3, s13, s17
	s_load_b32 s2, s[2:3], 0x0
	s_mov_b32 s3, 0
.LBB472_19:
	s_waitcnt lgkmcnt(0)
	v_add_f32_e32 v1, 0x358637bd, v1
	s_delay_alu instid0(VALU_DEP_1) | instskip(NEXT) | instid1(VALU_DEP_1)
	v_div_scale_f32 v2, null, v1, v1, 1.0
	v_rcp_f32_e32 v3, v2
	s_waitcnt_depctr 0xfff
	v_fma_f32 v5, -v2, v3, 1.0
	s_delay_alu instid0(VALU_DEP_1) | instskip(SKIP_1) | instid1(VALU_DEP_1)
	v_fmac_f32_e32 v3, v5, v3
	v_div_scale_f32 v5, vcc_lo, 1.0, v1, 1.0
	v_mul_f32_e32 v6, v5, v3
	s_delay_alu instid0(VALU_DEP_1) | instskip(NEXT) | instid1(VALU_DEP_1)
	v_fma_f32 v7, -v2, v6, v5
	v_fmac_f32_e32 v6, v7, v3
	s_delay_alu instid0(VALU_DEP_1) | instskip(NEXT) | instid1(VALU_DEP_1)
	v_fma_f32 v2, -v2, v6, v5
	v_div_fmas_f32 v2, v2, v3, v6
	s_delay_alu instid0(VALU_DEP_1) | instskip(NEXT) | instid1(VALU_DEP_1)
	v_div_fixup_f32 v1, v2, v1, 1.0
	v_mul_f32_e32 v2, v4, v1
	s_delay_alu instid0(VALU_DEP_1) | instskip(NEXT) | instid1(VALU_DEP_1)
	v_and_b32_e32 v1, 0x7f800000, v2
	v_cmp_ne_u32_e32 vcc_lo, 0x7f800000, v1
                                        ; implicit-def: $vgpr1
	s_and_saveexec_b32 s4, vcc_lo
	s_delay_alu instid0(SALU_CYCLE_1)
	s_xor_b32 s4, exec_lo, s4
; %bb.20:
	v_bfe_u32 v1, v2, 16, 1
	s_delay_alu instid0(VALU_DEP_1)
	v_add3_u32 v1, v2, v1, 0x7fff
                                        ; implicit-def: $vgpr2
; %bb.21:
	s_and_not1_saveexec_b32 s4, s4
; %bb.22:
	v_and_b32_e32 v1, 0xffff, v2
	v_or_b32_e32 v3, 0x10000, v2
	s_delay_alu instid0(VALU_DEP_2) | instskip(NEXT) | instid1(VALU_DEP_2)
	v_cmp_eq_u32_e32 vcc_lo, 0, v1
	v_cndmask_b32_e32 v1, v3, v2, vcc_lo
; %bb.23:
	s_or_b32 exec_lo, exec_lo, s4
	s_mul_i32 s3, s33, s3
	s_mul_hi_u32 s4, s33, s2
	s_mul_i32 s2, s33, s2
	s_add_i32 s3, s4, s3
	s_mov_b32 s15, 0
	s_lshl_b64 s[2:3], s[2:3], 7
	s_delay_alu instid0(SALU_CYCLE_1) | instskip(SKIP_2) | instid1(SALU_CYCLE_1)
	s_add_u32 s2, s0, s2
	s_addc_u32 s3, s1, s3
	s_lshl_b64 s[0:1], s[14:15], 7
	s_add_u32 s0, s2, s0
	s_addc_u32 s1, s3, s1
	global_store_d16_hi_b16 v0, v1, s[0:1]
	s_nop 0
	s_sendmsg sendmsg(MSG_DEALLOC_VGPRS)
	s_endpgm
.LBB472_24:
	s_mov_b32 s4, 0
	s_branch .LBB472_2
	.section	.rodata,"a",@progbits
	.p2align	6, 0x0
	.amdhsa_kernel _Z35paged_attention_ll4mi_reduce_kernelI14__hip_bfloat16S0_Li64ELi64ELi256ELi11EEvPT0_PKfS4_PKT_PKiS9_iS4_
		.amdhsa_group_segment_fixed_size 1412
		.amdhsa_private_segment_fixed_size 0
		.amdhsa_kernarg_size 320
		.amdhsa_user_sgpr_count 14
		.amdhsa_user_sgpr_dispatch_ptr 0
		.amdhsa_user_sgpr_queue_ptr 0
		.amdhsa_user_sgpr_kernarg_segment_ptr 1
		.amdhsa_user_sgpr_dispatch_id 0
		.amdhsa_user_sgpr_private_segment_size 0
		.amdhsa_wavefront_size32 1
		.amdhsa_uses_dynamic_stack 0
		.amdhsa_enable_private_segment 0
		.amdhsa_system_sgpr_workgroup_id_x 1
		.amdhsa_system_sgpr_workgroup_id_y 1
		.amdhsa_system_sgpr_workgroup_id_z 0
		.amdhsa_system_sgpr_workgroup_info 0
		.amdhsa_system_vgpr_workitem_id 0
		.amdhsa_next_free_vgpr 62
		.amdhsa_next_free_sgpr 49
		.amdhsa_reserve_vcc 1
		.amdhsa_float_round_mode_32 0
		.amdhsa_float_round_mode_16_64 0
		.amdhsa_float_denorm_mode_32 3
		.amdhsa_float_denorm_mode_16_64 3
		.amdhsa_dx10_clamp 1
		.amdhsa_ieee_mode 1
		.amdhsa_fp16_overflow 0
		.amdhsa_workgroup_processor_mode 1
		.amdhsa_memory_ordered 1
		.amdhsa_forward_progress 0
		.amdhsa_shared_vgpr_count 0
		.amdhsa_exception_fp_ieee_invalid_op 0
		.amdhsa_exception_fp_denorm_src 0
		.amdhsa_exception_fp_ieee_div_zero 0
		.amdhsa_exception_fp_ieee_overflow 0
		.amdhsa_exception_fp_ieee_underflow 0
		.amdhsa_exception_fp_ieee_inexact 0
		.amdhsa_exception_int_div_zero 0
	.end_amdhsa_kernel
	.section	.text._Z35paged_attention_ll4mi_reduce_kernelI14__hip_bfloat16S0_Li64ELi64ELi256ELi11EEvPT0_PKfS4_PKT_PKiS9_iS4_,"axG",@progbits,_Z35paged_attention_ll4mi_reduce_kernelI14__hip_bfloat16S0_Li64ELi64ELi256ELi11EEvPT0_PKfS4_PKT_PKiS9_iS4_,comdat
.Lfunc_end472:
	.size	_Z35paged_attention_ll4mi_reduce_kernelI14__hip_bfloat16S0_Li64ELi64ELi256ELi11EEvPT0_PKfS4_PKT_PKiS9_iS4_, .Lfunc_end472-_Z35paged_attention_ll4mi_reduce_kernelI14__hip_bfloat16S0_Li64ELi64ELi256ELi11EEvPT0_PKfS4_PKT_PKiS9_iS4_
                                        ; -- End function
	.section	.AMDGPU.csdata,"",@progbits
; Kernel info:
; codeLenInByte = 7208
; NumSgprs: 51
; NumVgprs: 62
; ScratchSize: 0
; MemoryBound: 0
; FloatMode: 240
; IeeeMode: 1
; LDSByteSize: 1412 bytes/workgroup (compile time only)
; SGPRBlocks: 6
; VGPRBlocks: 7
; NumSGPRsForWavesPerEU: 51
; NumVGPRsForWavesPerEU: 62
; Occupancy: 16
; WaveLimiterHint : 0
; COMPUTE_PGM_RSRC2:SCRATCH_EN: 0
; COMPUTE_PGM_RSRC2:USER_SGPR: 14
; COMPUTE_PGM_RSRC2:TRAP_HANDLER: 0
; COMPUTE_PGM_RSRC2:TGID_X_EN: 1
; COMPUTE_PGM_RSRC2:TGID_Y_EN: 1
; COMPUTE_PGM_RSRC2:TGID_Z_EN: 0
; COMPUTE_PGM_RSRC2:TIDIG_COMP_CNT: 0
	.section	.text._Z35paged_attention_ll4mi_reduce_kernelI14__hip_bfloat16S0_Li64ELi64ELi256ELi12EEvPT0_PKfS4_PKT_PKiS9_iS4_,"axG",@progbits,_Z35paged_attention_ll4mi_reduce_kernelI14__hip_bfloat16S0_Li64ELi64ELi256ELi12EEvPT0_PKfS4_PKT_PKiS9_iS4_,comdat
	.protected	_Z35paged_attention_ll4mi_reduce_kernelI14__hip_bfloat16S0_Li64ELi64ELi256ELi12EEvPT0_PKfS4_PKT_PKiS9_iS4_ ; -- Begin function _Z35paged_attention_ll4mi_reduce_kernelI14__hip_bfloat16S0_Li64ELi64ELi256ELi12EEvPT0_PKfS4_PKT_PKiS9_iS4_
	.globl	_Z35paged_attention_ll4mi_reduce_kernelI14__hip_bfloat16S0_Li64ELi64ELi256ELi12EEvPT0_PKfS4_PKT_PKiS9_iS4_
	.p2align	8
	.type	_Z35paged_attention_ll4mi_reduce_kernelI14__hip_bfloat16S0_Li64ELi64ELi256ELi12EEvPT0_PKfS4_PKT_PKiS9_iS4_,@function
_Z35paged_attention_ll4mi_reduce_kernelI14__hip_bfloat16S0_Li64ELi64ELi256ELi12EEvPT0_PKfS4_PKT_PKiS9_iS4_: ; @_Z35paged_attention_ll4mi_reduce_kernelI14__hip_bfloat16S0_Li64ELi64ELi256ELi12EEvPT0_PKfS4_PKT_PKiS9_iS4_
; %bb.0:
	s_load_b64 s[12:13], s[0:1], 0x28
	s_mov_b32 s2, s15
	s_waitcnt lgkmcnt(0)
	s_cmp_lg_u64 s[12:13], 0
	s_cselect_b32 s15, -1, 0
	s_delay_alu instid0(SALU_CYCLE_1)
	s_and_b32 vcc_lo, exec_lo, s15
	s_cbranch_vccz .LBB473_24
; %bb.1:
	s_add_i32 s4, s2, 1
	s_mov_b32 s5, 0
	s_delay_alu instid0(SALU_CYCLE_1) | instskip(SKIP_4) | instid1(SALU_CYCLE_1)
	s_lshl_b64 s[6:7], s[4:5], 2
	s_mov_b32 s3, s5
	s_add_u32 s6, s12, s6
	s_addc_u32 s7, s13, s7
	s_lshl_b64 s[8:9], s[2:3], 2
	s_add_u32 s8, s12, s8
	s_addc_u32 s9, s13, s9
	s_clause 0x1
	s_load_b32 s4, s[6:7], 0x0
	s_load_b32 s6, s[8:9], 0x0
	s_waitcnt lgkmcnt(0)
	s_sub_i32 s4, s4, s6
	s_delay_alu instid0(SALU_CYCLE_1)
	s_cmp_eq_u32 s4, 1
	s_cselect_b32 s4, -1, 0
	s_cbranch_execnz .LBB473_3
.LBB473_2:
	s_mov_b32 s3, 0
	s_mov_b32 s4, -1
.LBB473_3:
	s_delay_alu instid0(SALU_CYCLE_1)
	s_and_not1_b32 vcc_lo, exec_lo, s4
	s_cbranch_vccz .LBB473_5
; %bb.4:
	s_endpgm
.LBB473_5:
	s_clause 0x1
	s_load_b128 s[4:7], s[0:1], 0x18
	s_load_b32 s9, s[0:1], 0x30
	s_lshl_b64 s[16:17], s[2:3], 2
	s_waitcnt lgkmcnt(0)
	s_add_u32 s6, s6, s16
	s_addc_u32 s7, s7, s17
	s_load_b32 s23, s[6:7], 0x0
	s_load_b32 s33, s[0:1], 0x40
	s_mul_i32 s7, s2, s9
	s_waitcnt lgkmcnt(0)
	s_add_i32 s22, s23, 0xff
	s_delay_alu instid0(SALU_CYCLE_1) | instskip(NEXT) | instid1(SALU_CYCLE_1)
	s_ashr_i32 s6, s22, 31
	s_lshr_b32 s6, s6, 24
	s_delay_alu instid0(SALU_CYCLE_1) | instskip(SKIP_4) | instid1(SALU_CYCLE_1)
	s_add_i32 s8, s22, s6
	s_mul_i32 s6, s14, s9
	s_mov_b32 s9, exec_lo
	v_cmpx_lt_u32_e32 31, v0
	s_xor_b32 s9, exec_lo, s9
	s_or_saveexec_b32 s24, s9
	v_mov_b32_e32 v1, s6
	s_ashr_i32 s40, s8, 8
	s_mul_i32 s18, s7, s33
	s_xor_b32 exec_lo, exec_lo, s24
	s_cbranch_execz .LBB473_9
; %bb.6:
	v_or_b32_e32 v2, 32, v0
	v_cmp_gt_i32_e32 vcc_lo, s40, v0
	s_add_i32 s20, s40, -1
	v_or_b32_e32 v4, 64, v0
	v_or_b32_e32 v6, 0x60, v0
	s_load_b128 s[8:11], s[0:1], 0x8
	v_cndmask_b32_e32 v1, s20, v0, vcc_lo
	v_cmp_gt_i32_e32 vcc_lo, s40, v2
	s_mov_b32 s19, 0
	s_delay_alu instid0(SALU_CYCLE_1)
	s_mov_b32 s7, s19
	v_cndmask_b32_e32 v3, s20, v2, vcc_lo
	v_cmp_gt_i32_e32 vcc_lo, s40, v4
	v_or_b32_e32 v2, 0x80, v0
	v_cndmask_b32_e32 v5, s20, v4, vcc_lo
	v_cmp_gt_i32_e32 vcc_lo, s40, v6
	v_or_b32_e32 v4, 0xa0, v0
	;; [unrolled: 3-line block ×3, first 2 shown]
	s_delay_alu instid0(VALU_DEP_3) | instskip(SKIP_3) | instid1(VALU_DEP_3)
	v_ashrrev_i32_e32 v8, 31, v7
	v_cndmask_b32_e32 v9, s20, v2, vcc_lo
	v_cmp_gt_i32_e32 vcc_lo, s40, v4
	v_or_b32_e32 v2, 0xe0, v0
	v_ashrrev_i32_e32 v10, 31, v9
	v_cndmask_b32_e32 v11, s20, v4, vcc_lo
	v_cmp_gt_i32_e32 vcc_lo, s40, v6
	v_or_b32_e32 v4, 0x100, v0
	s_delay_alu instid0(VALU_DEP_3) | instskip(SKIP_3) | instid1(VALU_DEP_3)
	v_ashrrev_i32_e32 v12, 31, v11
	v_cndmask_b32_e32 v13, s20, v6, vcc_lo
	v_cmp_gt_i32_e32 vcc_lo, s40, v2
	v_or_b32_e32 v6, 0x140, v0
	v_ashrrev_i32_e32 v14, 31, v13
	v_cndmask_b32_e32 v15, s20, v2, vcc_lo
	v_or_b32_e32 v2, 0x120, v0
	v_cmp_gt_i32_e32 vcc_lo, s40, v4
	s_delay_alu instid0(VALU_DEP_3) | instskip(SKIP_1) | instid1(VALU_DEP_4)
	v_ashrrev_i32_e32 v16, 31, v15
	v_cndmask_b32_e32 v17, s20, v4, vcc_lo
	v_cmp_gt_i32_e32 vcc_lo, s40, v2
	v_or_b32_e32 v4, 0x160, v0
	s_delay_alu instid0(VALU_DEP_3) | instskip(SKIP_3) | instid1(VALU_DEP_3)
	v_ashrrev_i32_e32 v18, 31, v17
	v_cndmask_b32_e32 v19, s20, v2, vcc_lo
	v_cmp_gt_i32_e32 vcc_lo, s40, v6
	v_ashrrev_i32_e32 v2, 31, v1
	v_ashrrev_i32_e32 v20, 31, v19
	v_cndmask_b32_e32 v21, s20, v6, vcc_lo
	v_cmp_gt_i32_e32 vcc_lo, s40, v4
	s_delay_alu instid0(VALU_DEP_4) | instskip(SKIP_1) | instid1(VALU_DEP_4)
	v_lshlrev_b64 v[25:26], 2, v[1:2]
	v_ashrrev_i32_e32 v6, 31, v5
	v_ashrrev_i32_e32 v22, 31, v21
	v_cndmask_b32_e32 v23, s20, v4, vcc_lo
	v_ashrrev_i32_e32 v4, 31, v3
	s_lshl_b64 s[20:21], s[18:19], 2
	s_waitcnt lgkmcnt(0)
	s_add_u32 s19, s10, s20
	s_addc_u32 s25, s11, s21
	s_lshl_b64 s[10:11], s[6:7], 2
	v_lshlrev_b64 v[2:3], 2, v[3:4]
	s_add_u32 s7, s19, s10
	s_addc_u32 s19, s25, s11
	v_add_co_u32 v27, vcc_lo, s7, v25
	v_lshlrev_b64 v[4:5], 2, v[5:6]
	v_add_co_ci_u32_e32 v28, vcc_lo, s19, v26, vcc_lo
	v_add_co_u32 v29, vcc_lo, s7, v2
	v_lshlrev_b64 v[6:7], 2, v[7:8]
	v_add_co_ci_u32_e32 v30, vcc_lo, s19, v3, vcc_lo
	;; [unrolled: 3-line block ×4, first 2 shown]
	s_clause 0x3
	global_load_b32 v39, v[27:28], off
	global_load_b32 v40, v[29:30], off
	;; [unrolled: 1-line block ×4, first 2 shown]
	v_add_co_u32 v27, vcc_lo, s7, v8
	v_lshlrev_b64 v[12:13], 2, v[13:14]
	v_add_co_ci_u32_e32 v28, vcc_lo, s19, v9, vcc_lo
	v_add_co_u32 v29, vcc_lo, s7, v10
	v_lshlrev_b64 v[14:15], 2, v[15:16]
	v_add_co_ci_u32_e32 v30, vcc_lo, s19, v11, vcc_lo
	;; [unrolled: 3-line block ×4, first 2 shown]
	v_ashrrev_i32_e32 v24, 31, v23
	v_add_co_u32 v35, vcc_lo, s7, v16
	v_lshlrev_b64 v[20:21], 2, v[21:22]
	v_add_co_ci_u32_e32 v36, vcc_lo, s19, v17, vcc_lo
	v_add_co_u32 v37, vcc_lo, s7, v18
	v_lshlrev_b64 v[22:23], 2, v[23:24]
	v_add_co_ci_u32_e32 v38, vcc_lo, s19, v19, vcc_lo
	s_clause 0x5
	global_load_b32 v43, v[27:28], off
	global_load_b32 v44, v[29:30], off
	;; [unrolled: 1-line block ×6, first 2 shown]
	v_add_co_u32 v27, vcc_lo, s7, v20
	v_add_co_ci_u32_e32 v28, vcc_lo, s19, v21, vcc_lo
	v_add_co_u32 v29, vcc_lo, s7, v22
	v_add_co_ci_u32_e32 v30, vcc_lo, s19, v23, vcc_lo
	s_clause 0x1
	global_load_b32 v27, v[27:28], off
	global_load_b32 v28, v[29:30], off
	v_mbcnt_lo_u32_b32 v29, -1, 0
	s_add_u32 s7, s8, s20
	s_addc_u32 s8, s9, s21
	s_add_u32 s7, s7, s10
	s_addc_u32 s8, s8, s11
	v_xor_b32_e32 v1, 16, v29
	v_xor_b32_e32 v24, 8, v29
	s_delay_alu instid0(VALU_DEP_2) | instskip(SKIP_1) | instid1(VALU_DEP_3)
	v_cmp_gt_i32_e32 vcc_lo, 32, v1
	v_cndmask_b32_e32 v1, v29, v1, vcc_lo
	v_cmp_gt_i32_e32 vcc_lo, 32, v24
	s_delay_alu instid0(VALU_DEP_2) | instskip(SKIP_2) | instid1(VALU_DEP_1)
	v_dual_cndmask_b32 v30, v29, v24 :: v_dual_lshlrev_b32 v1, 2, v1
	s_waitcnt vmcnt(10)
	v_dual_max_f32 v35, v39, v39 :: v_dual_max_f32 v24, v40, v40
	v_max_f32_e32 v35, v35, v24
	v_add_co_u32 v24, vcc_lo, s7, v25
	v_add_co_ci_u32_e32 v25, vcc_lo, s8, v26, vcc_lo
	s_waitcnt vmcnt(8)
	s_delay_alu instid0(VALU_DEP_3)
	v_max3_f32 v26, v35, v41, v42
	v_add_co_u32 v2, vcc_lo, s7, v2
	v_add_co_ci_u32_e32 v3, vcc_lo, s8, v3, vcc_lo
	v_add_co_u32 v4, vcc_lo, s7, v4
	v_add_co_ci_u32_e32 v5, vcc_lo, s8, v5, vcc_lo
	;; [unrolled: 2-line block ×3, first 2 shown]
	s_clause 0x1
	global_load_b32 v24, v[24:25], off
	global_load_b32 v25, v[2:3], off
	v_add_co_u32 v2, vcc_lo, s7, v8
	v_add_co_ci_u32_e32 v3, vcc_lo, s8, v9, vcc_lo
	global_load_b32 v35, v[4:5], off
	v_add_co_u32 v4, vcc_lo, s7, v10
	s_waitcnt vmcnt(9)
	v_max3_f32 v26, v26, v43, v44
	v_add_co_ci_u32_e32 v5, vcc_lo, s8, v11, vcc_lo
	global_load_b32 v10, v[6:7], off
	v_add_co_u32 v6, vcc_lo, s7, v12
	s_waitcnt vmcnt(8)
	v_max3_f32 v26, v26, v31, v32
	v_add_co_ci_u32_e32 v7, vcc_lo, s8, v13, vcc_lo
	s_clause 0x1
	global_load_b32 v12, v[2:3], off
	global_load_b32 v4, v[4:5], off
	s_waitcnt vmcnt(8)
	v_max3_f32 v26, v26, v33, v34
	v_add_co_u32 v2, vcc_lo, s7, v14
	v_add_co_ci_u32_e32 v3, vcc_lo, s8, v15, vcc_lo
	s_waitcnt vmcnt(6)
	s_delay_alu instid0(VALU_DEP_3)
	v_max3_f32 v26, v26, v27, v28
	v_add_co_u32 v8, vcc_lo, s7, v16
	v_add_co_ci_u32_e32 v9, vcc_lo, s8, v17, vcc_lo
	ds_bpermute_b32 v11, v1, v26
	s_clause 0x2
	global_load_b32 v6, v[6:7], off
	global_load_b32 v7, v[2:3], off
	;; [unrolled: 1-line block ×3, first 2 shown]
	v_lshlrev_b32_e32 v5, 2, v30
	v_add_co_u32 v2, vcc_lo, s7, v18
	v_add_co_ci_u32_e32 v3, vcc_lo, s8, v19, vcc_lo
	v_xor_b32_e32 v15, 4, v29
	v_xor_b32_e32 v16, 1, v29
	s_waitcnt lgkmcnt(0)
	v_max_f32_e32 v9, v11, v11
	global_load_b32 v11, v[2:3], off
	v_add_co_u32 v2, vcc_lo, s7, v20
	v_add_co_ci_u32_e32 v3, vcc_lo, s8, v21, vcc_lo
	v_max_f32_e32 v9, v26, v9
	global_load_b32 v14, v[2:3], off
	v_add_co_u32 v2, vcc_lo, s7, v22
	ds_bpermute_b32 v13, v5, v9
	v_add_co_ci_u32_e32 v3, vcc_lo, s8, v23, vcc_lo
	v_cmp_gt_i32_e32 vcc_lo, 32, v15
	s_mov_b32 s7, exec_lo
	global_load_b32 v3, v[2:3], off
	v_cndmask_b32_e32 v15, v29, v15, vcc_lo
	s_waitcnt lgkmcnt(0)
	s_delay_alu instid0(VALU_DEP_1) | instskip(SKIP_1) | instid1(VALU_DEP_2)
	v_dual_max_f32 v2, v13, v13 :: v_dual_lshlrev_b32 v13, 2, v15
	v_xor_b32_e32 v15, 2, v29
	v_max_f32_e32 v2, v9, v2
	s_delay_alu instid0(VALU_DEP_2) | instskip(SKIP_3) | instid1(VALU_DEP_2)
	v_cmp_gt_i32_e32 vcc_lo, 32, v15
	ds_bpermute_b32 v9, v13, v2
	v_cndmask_b32_e32 v15, v29, v15, vcc_lo
	v_cmp_gt_i32_e32 vcc_lo, 32, v16
	v_dual_cndmask_b32 v16, v29, v16 :: v_dual_lshlrev_b32 v15, 2, v15
	s_waitcnt lgkmcnt(0)
	s_delay_alu instid0(VALU_DEP_1) | instskip(NEXT) | instid1(VALU_DEP_1)
	v_dual_max_f32 v9, v9, v9 :: v_dual_lshlrev_b32 v16, 2, v16
	v_max_f32_e32 v2, v2, v9
	ds_bpermute_b32 v9, v15, v2
	s_waitcnt lgkmcnt(0)
	v_max_f32_e32 v9, v9, v9
	s_delay_alu instid0(VALU_DEP_1) | instskip(SKIP_3) | instid1(VALU_DEP_1)
	v_max_f32_e32 v2, v2, v9
	ds_bpermute_b32 v9, v16, v2
	s_waitcnt lgkmcnt(0)
	v_max_f32_e32 v9, v9, v9
	v_max_f32_e32 v2, v2, v9
	v_sub_nc_u32_e32 v9, s40, v0
	s_delay_alu instid0(VALU_DEP_2)
	v_sub_f32_e32 v21, v43, v2
	v_sub_f32_e32 v30, v34, v2
	;; [unrolled: 1-line block ×5, first 2 shown]
	v_mul_f32_e32 v34, 0x3fb8aa3b, v21
	v_sub_f32_e32 v18, v40, v2
	v_mul_f32_e32 v36, 0x3fb8aa3b, v22
	v_mul_f32_e32 v32, 0x3fb8aa3b, v19
	;; [unrolled: 1-line block ×3, first 2 shown]
	v_fma_f32 v51, 0x3fb8aa3b, v21, -v34
	v_rndne_f32_e32 v52, v34
	v_mul_f32_e32 v40, 0x3fb8aa3b, v30
	v_fma_f32 v53, 0x3fb8aa3b, v22, -v36
	v_rndne_f32_e32 v54, v36
	s_delay_alu instid0(VALU_DEP_4)
	v_dual_fmac_f32 v51, 0x32a5705f, v21 :: v_dual_sub_f32 v34, v34, v52
	v_sub_f32_e32 v20, v42, v2
	v_fma_f32 v47, 0x3fb8aa3b, v19, -v32
	v_rndne_f32_e32 v48, v32
	v_fma_f32 v57, 0x3fb8aa3b, v26, -v38
	v_add_f32_e32 v34, v34, v51
	v_rndne_f32_e32 v58, v38
	v_fma_f32 v61, 0x3fb8aa3b, v30, -v40
	v_rndne_f32_e32 v62, v40
	v_cvt_i32_f32_e32 v52, v52
	v_exp_f32_e32 v34, v34
	v_fmac_f32_e32 v53, 0x32a5705f, v22
	v_sub_f32_e32 v36, v36, v54
	v_sub_f32_e32 v23, v31, v2
	v_dual_sub_f32 v17, v39, v2 :: v_dual_sub_f32 v32, v32, v48
	v_fmac_f32_e32 v57, 0x32a5705f, v26
	v_sub_f32_e32 v38, v38, v58
	v_sub_f32_e32 v29, v33, v2
	v_dual_mul_f32 v33, 0x3fb8aa3b, v20 :: v_dual_sub_f32 v40, v40, v62
	v_fmac_f32_e32 v61, 0x32a5705f, v30
	v_sub_f32_e32 v27, v27, v2
	v_sub_f32_e32 v2, v28, v2
	v_dual_add_f32 v36, v36, v53 :: v_dual_mul_f32 v37, 0x3fb8aa3b, v23
	v_ldexp_f32 v34, v34, v52
	v_fmac_f32_e32 v47, 0x32a5705f, v19
	s_delay_alu instid0(VALU_DEP_4)
	v_mul_f32_e32 v42, 0x3fb8aa3b, v2
	v_mul_f32_e32 v28, 0x3fb8aa3b, v17
	v_add_f32_e32 v40, v40, v61
	v_cvt_i32_f32_e32 v48, v48
	v_add_f32_e32 v32, v32, v47
	v_fma_f32 v65, 0x3fb8aa3b, v2, -v42
	v_rndne_f32_e32 v66, v42
	v_fma_f32 v43, 0x3fb8aa3b, v17, -v28
	v_rndne_f32_e32 v44, v28
	v_exp_f32_e32 v32, v32
	v_fmac_f32_e32 v65, 0x32a5705f, v2
	v_sub_f32_e32 v42, v42, v66
	v_dual_mul_f32 v31, 0x3fb8aa3b, v18 :: v_dual_add_f32 v38, v38, v57
	v_mul_f32_e32 v39, 0x3fb8aa3b, v29
	v_exp_f32_e32 v36, v36
	v_exp_f32_e32 v40, v40
	v_sub_f32_e32 v28, v28, v44
	v_cvt_i32_f32_e32 v54, v54
	v_cvt_i32_f32_e32 v62, v62
	v_add_f32_e32 v42, v42, v65
	v_fma_f32 v45, 0x3fb8aa3b, v18, -v31
	v_rndne_f32_e32 v46, v31
	v_ldexp_f32 v32, v32, v48
	v_fmac_f32_e32 v43, 0x32a5705f, v17
	v_ldexp_f32 v36, v36, v54
	v_fmac_f32_e32 v45, 0x32a5705f, v18
	v_ldexp_f32 v40, v40, v62
	s_delay_alu instid0(VALU_DEP_4) | instskip(SKIP_3) | instid1(VALU_DEP_3)
	v_dual_sub_f32 v31, v31, v46 :: v_dual_add_f32 v28, v28, v43
	v_cvt_i32_f32_e32 v44, v44
	v_cvt_i32_f32_e32 v46, v46
	v_exp_f32_e32 v38, v38
	v_add_f32_e32 v31, v31, v45
	v_exp_f32_e32 v28, v28
	v_cmp_ngt_f32_e32 vcc_lo, 0xc2ce8ed0, v17
	v_fma_f32 v49, 0x3fb8aa3b, v20, -v33
	v_rndne_f32_e32 v50, v33
	v_exp_f32_e32 v31, v31
	v_cvt_i32_f32_e32 v58, v58
	v_fma_f32 v55, 0x3fb8aa3b, v23, -v37
	v_rndne_f32_e32 v56, v37
	v_fma_f32 v59, 0x3fb8aa3b, v29, -v39
	v_rndne_f32_e32 v60, v39
	v_ldexp_f32 v28, v28, v44
	v_mul_f32_e32 v41, 0x3fb8aa3b, v27
	v_ldexp_f32 v38, v38, v58
	v_fmac_f32_e32 v49, 0x32a5705f, v20
	v_ldexp_f32 v31, v31, v46
	v_cndmask_b32_e32 v28, 0, v28, vcc_lo
	v_cmp_ngt_f32_e32 vcc_lo, 0xc2ce8ed0, v18
	v_fmac_f32_e32 v55, 0x32a5705f, v23
	v_fmac_f32_e32 v59, 0x32a5705f, v29
	v_rndne_f32_e32 v64, v41
	v_fma_f32 v63, 0x3fb8aa3b, v27, -v41
	v_cndmask_b32_e32 v31, 0, v31, vcc_lo
	v_sub_f32_e32 v33, v33, v50
	v_cvt_i32_f32_e32 v50, v50
	v_cmp_ngt_f32_e32 vcc_lo, 0xc2ce8ed0, v19
	v_exp_f32_e32 v42, v42
	s_delay_alu instid0(VALU_DEP_3) | instskip(SKIP_1) | instid1(VALU_DEP_2)
	v_dual_add_f32 v33, v33, v49 :: v_dual_cndmask_b32 v32, 0, v32
	v_cmp_ngt_f32_e32 vcc_lo, 0xc2ce8ed0, v20
	v_exp_f32_e32 v33, v33
	s_waitcnt_depctr 0xfff
	v_ldexp_f32 v33, v33, v50
	s_delay_alu instid0(VALU_DEP_1) | instskip(SKIP_3) | instid1(VALU_DEP_3)
	v_cndmask_b32_e32 v33, 0, v33, vcc_lo
	v_sub_f32_e32 v37, v37, v56
	v_cmp_ngt_f32_e32 vcc_lo, 0xc2ce8ed0, v21
	v_cvt_i32_f32_e32 v56, v56
	v_dual_add_f32 v37, v37, v55 :: v_dual_cndmask_b32 v34, 0, v34
	v_cmp_ngt_f32_e32 vcc_lo, 0xc2ce8ed0, v22
	s_delay_alu instid0(VALU_DEP_2) | instskip(SKIP_4) | instid1(VALU_DEP_1)
	v_exp_f32_e32 v37, v37
	v_cndmask_b32_e32 v36, 0, v36, vcc_lo
	v_cmp_ngt_f32_e32 vcc_lo, 0xc2ce8ed0, v23
	s_waitcnt_depctr 0xfff
	v_ldexp_f32 v37, v37, v56
	v_cndmask_b32_e32 v37, 0, v37, vcc_lo
	v_cmp_ngt_f32_e32 vcc_lo, 0xc2ce8ed0, v26
	v_dual_cndmask_b32 v38, 0, v38 :: v_dual_sub_f32 v39, v39, v60
	v_cvt_i32_f32_e32 v60, v60
	v_cmp_ngt_f32_e32 vcc_lo, 0xc2ce8ed0, v29
	s_delay_alu instid0(VALU_DEP_3) | instskip(NEXT) | instid1(VALU_DEP_1)
	v_add_f32_e32 v39, v39, v59
	v_exp_f32_e32 v39, v39
	s_waitcnt_depctr 0xfff
	v_ldexp_f32 v39, v39, v60
	s_delay_alu instid0(VALU_DEP_1)
	v_cndmask_b32_e32 v39, 0, v39, vcc_lo
	v_cmp_ngt_f32_e32 vcc_lo, 0xc2ce8ed0, v30
	v_cndmask_b32_e32 v40, 0, v40, vcc_lo
	v_cmp_nlt_f32_e32 vcc_lo, 0x42b17218, v17
	v_cndmask_b32_e32 v17, 0x7f800000, v28, vcc_lo
	v_cmp_nlt_f32_e32 vcc_lo, 0x42b17218, v18
	;; [unrolled: 2-line block ×6, first 2 shown]
	v_cndmask_b32_e32 v22, 0x7f800000, v36, vcc_lo
	v_cmp_lt_i32_e32 vcc_lo, 0, v9
	v_cndmask_b32_e32 v17, 0, v17, vcc_lo
	v_cmp_lt_i32_e32 vcc_lo, 32, v9
	s_waitcnt vmcnt(11)
	s_delay_alu instid0(VALU_DEP_2) | instskip(SKIP_2) | instid1(VALU_DEP_2)
	v_dual_mul_f32 v17, v24, v17 :: v_dual_cndmask_b32 v18, 0, v18
	v_cmp_nlt_f32_e32 vcc_lo, 0x42b17218, v23
	s_waitcnt vmcnt(10)
	v_dual_mul_f32 v18, v25, v18 :: v_dual_cndmask_b32 v23, 0x7f800000, v37
	v_cmp_lt_i32_e32 vcc_lo, 64, v9
	v_cndmask_b32_e32 v19, 0, v19, vcc_lo
	v_cmp_nlt_f32_e32 vcc_lo, 0x42b17218, v26
	v_cndmask_b32_e32 v24, 0x7f800000, v38, vcc_lo
	v_cmp_lt_i32_e32 vcc_lo, 0x60, v9
	v_cndmask_b32_e32 v20, 0, v20, vcc_lo
	v_cmp_nlt_f32_e32 vcc_lo, 0x42b17218, v29
	v_sub_f32_e32 v41, v41, v64
	v_cvt_i32_f32_e32 v64, v64
	s_waitcnt vmcnt(8)
	v_mul_f32_e32 v10, v10, v20
	v_cndmask_b32_e32 v26, 0x7f800000, v39, vcc_lo
	v_cmp_lt_i32_e32 vcc_lo, 0x80, v9
	v_cndmask_b32_e32 v21, 0, v21, vcc_lo
	v_cmp_lt_i32_e32 vcc_lo, 0xa0, v9
	s_waitcnt vmcnt(7)
	s_delay_alu instid0(VALU_DEP_2) | instskip(SKIP_3) | instid1(VALU_DEP_2)
	v_dual_fmac_f32 v63, 0x32a5705f, v27 :: v_dual_mul_f32 v12, v12, v21
	v_cndmask_b32_e32 v22, 0, v22, vcc_lo
	v_cmp_lt_i32_e32 vcc_lo, 0xc0, v9
	s_waitcnt vmcnt(6)
	v_dual_mul_f32 v4, v4, v22 :: v_dual_cndmask_b32 v23, 0, v23
	v_cmp_lt_i32_e32 vcc_lo, 0xe0, v9
	s_waitcnt vmcnt(5)
	s_delay_alu instid0(VALU_DEP_2) | instskip(SKIP_3) | instid1(VALU_DEP_3)
	v_dual_mul_f32 v6, v6, v23 :: v_dual_cndmask_b32 v21, 0, v24
	v_cmp_lt_i32_e32 vcc_lo, 0x100, v9
	v_cvt_i32_f32_e32 v23, v66
	s_waitcnt vmcnt(4)
	v_dual_mul_f32 v7, v7, v21 :: v_dual_cndmask_b32 v24, 0, v26
	v_cmp_nlt_f32_e32 vcc_lo, 0x42b17218, v30
	s_waitcnt vmcnt(3)
	s_delay_alu instid0(VALU_DEP_2) | instskip(SKIP_1) | instid1(VALU_DEP_2)
	v_dual_add_f32 v41, v41, v63 :: v_dual_mul_f32 v8, v8, v24
	v_cndmask_b32_e32 v22, 0x7f800000, v40, vcc_lo
	v_exp_f32_e32 v41, v41
	v_cmp_ngt_f32_e32 vcc_lo, 0xc2ce8ed0, v27
	s_waitcnt_depctr 0xfff
	v_ldexp_f32 v41, v41, v64
	s_delay_alu instid0(VALU_DEP_1) | instskip(SKIP_4) | instid1(VALU_DEP_2)
	v_cndmask_b32_e32 v21, 0, v41, vcc_lo
	v_cmp_lt_i32_e32 vcc_lo, 0x120, v9
	v_cndmask_b32_e32 v22, 0, v22, vcc_lo
	v_cmp_nlt_f32_e32 vcc_lo, 0x42b17218, v27
	s_waitcnt vmcnt(2)
	v_mul_f32_e32 v11, v11, v22
	v_cndmask_b32_e32 v21, 0x7f800000, v21, vcc_lo
	v_cmp_lt_i32_e32 vcc_lo, 0x140, v9
	v_ldexp_f32 v22, v42, v23
	s_delay_alu instid0(VALU_DEP_3) | instskip(SKIP_2) | instid1(VALU_DEP_2)
	v_cndmask_b32_e32 v21, 0, v21, vcc_lo
	v_cmp_ngt_f32_e32 vcc_lo, 0xc2ce8ed0, v2
	s_waitcnt vmcnt(1)
	v_mul_f32_e32 v14, v14, v21
	v_cndmask_b32_e32 v22, 0, v22, vcc_lo
	v_cmp_nlt_f32_e32 vcc_lo, 0x42b17218, v2
	s_delay_alu instid0(VALU_DEP_2) | instskip(SKIP_1) | instid1(VALU_DEP_2)
	v_dual_mul_f32 v19, v35, v19 :: v_dual_cndmask_b32 v2, 0x7f800000, v22
	v_cmp_lt_i32_e32 vcc_lo, 0x160, v9
	v_cndmask_b32_e32 v9, 0, v2, vcc_lo
	v_add_f32_e32 v25, v17, v18
	s_delay_alu instid0(VALU_DEP_1) | instskip(NEXT) | instid1(VALU_DEP_1)
	v_add_f32_e32 v20, v25, v19
	v_add_f32_e32 v20, v20, v10
	s_delay_alu instid0(VALU_DEP_1) | instskip(NEXT) | instid1(VALU_DEP_1)
	v_add_f32_e32 v20, v20, v12
	;; [unrolled: 3-line block ×4, first 2 shown]
	v_add_f32_e32 v20, v20, v11
	s_delay_alu instid0(VALU_DEP_1) | instskip(SKIP_1) | instid1(VALU_DEP_1)
	v_add_f32_e32 v2, v20, v14
	s_waitcnt vmcnt(0)
	v_fmac_f32_e32 v2, v3, v9
	v_mul_f32_e32 v3, v3, v9
	ds_bpermute_b32 v1, v1, v2
	s_waitcnt lgkmcnt(0)
	v_add_f32_e32 v1, v2, v1
	ds_bpermute_b32 v2, v5, v1
	v_lshlrev_b32_e32 v5, 2, v0
	s_delay_alu instid0(VALU_DEP_1)
	v_add_nc_u32_e32 v9, 0x400, v5
	ds_store_2addr_b32 v5, v17, v18 offset1:32
	ds_store_2addr_b32 v5, v19, v10 offset0:64 offset1:96
	ds_store_2addr_b32 v5, v12, v4 offset0:128 offset1:160
	;; [unrolled: 1-line block ×3, first 2 shown]
	ds_store_2addr_b32 v9, v8, v11 offset1:32
	ds_store_2addr_b32 v9, v14, v3 offset0:64 offset1:96
	s_waitcnt lgkmcnt(6)
	v_add_f32_e32 v1, v1, v2
	ds_bpermute_b32 v2, v13, v1
	s_waitcnt lgkmcnt(0)
	v_add_f32_e32 v1, v1, v2
	ds_bpermute_b32 v2, v15, v1
	;; [unrolled: 3-line block ×3, first 2 shown]
	v_cmpx_eq_u32_e32 0, v0
	s_cbranch_execz .LBB473_8
; %bb.7:
	s_waitcnt lgkmcnt(0)
	v_dual_add_f32 v1, v1, v2 :: v_dual_mov_b32 v2, 0
	ds_store_b32 v2, v1 offset:1536
.LBB473_8:
	s_or_b32 exec_lo, exec_lo, s7
	v_mov_b32_e32 v1, s6
.LBB473_9:
	s_or_b32 exec_lo, exec_lo, s24
	s_lshl_b32 s6, s18, 6
	s_mov_b32 s7, 0
	s_waitcnt lgkmcnt(0)
	v_dual_mov_b32 v2, 0 :: v_dual_lshlrev_b32 v1, 6, v1
	s_lshl_b64 s[6:7], s[6:7], 1
	v_lshlrev_b32_e32 v0, 1, v0
	s_add_u32 s34, s4, s6
	s_addc_u32 s35, s5, s7
	s_lshl_b32 s41, s40, 6
	v_lshlrev_b64 v[3:4], 1, v[1:2]
	s_sub_i32 s42, s41, 64
	s_cmpk_lt_i32 s22, 0x100
	v_dual_mov_b32 v30, 0 :: v_dual_mov_b32 v33, 0
	s_cselect_b32 s4, s42, 0
	s_delay_alu instid0(VALU_DEP_2)
	v_add_co_u32 v1, vcc_lo, s34, v3
	s_ashr_i32 s5, s4, 31
	v_add_co_ci_u32_e32 v3, vcc_lo, s35, v4, vcc_lo
	s_lshl_b64 s[4:5], s[4:5], 1
	s_cmpk_lt_i32 s22, 0x200
	v_add_co_u32 v1, vcc_lo, v1, v0
	s_cselect_b32 s6, s42, 64
	v_add_co_ci_u32_e32 v3, vcc_lo, 0, v3, vcc_lo
	s_ashr_i32 s7, s6, 31
	s_delay_alu instid0(VALU_DEP_2)
	v_add_co_u32 v4, vcc_lo, v1, s4
	s_lshl_b64 s[6:7], s[6:7], 1
	s_cmpk_lt_i32 s22, 0x300
	v_add_co_ci_u32_e32 v5, vcc_lo, s5, v3, vcc_lo
	s_cselect_b32 s8, s42, 0x80
	v_add_co_u32 v6, vcc_lo, v1, s6
	s_ashr_i32 s9, s8, 31
	v_add_co_ci_u32_e32 v7, vcc_lo, s7, v3, vcc_lo
	s_lshl_b64 s[8:9], s[8:9], 1
	s_cmpk_lt_i32 s22, 0x400
	v_add_co_u32 v8, vcc_lo, v1, s8
	s_cselect_b32 s10, s42, 0xc0
	v_add_co_ci_u32_e32 v9, vcc_lo, s9, v3, vcc_lo
	s_ashr_i32 s11, s10, 31
	v_dual_mov_b32 v32, 0 :: v_dual_mov_b32 v35, 0
	s_lshl_b64 s[10:11], s[10:11], 1
	s_cmpk_lt_i32 s22, 0x500
	v_add_co_u32 v11, vcc_lo, v1, s10
	s_cselect_b32 s18, s42, 0x100
	v_add_co_ci_u32_e32 v12, vcc_lo, s11, v3, vcc_lo
	s_ashr_i32 s19, s18, 31
	v_mov_b32_e32 v34, 0
	s_lshl_b64 s[18:19], s[18:19], 1
	s_cmpk_lt_i32 s22, 0x600
	v_add_co_u32 v14, vcc_lo, v1, s18
	s_cselect_b32 s20, s42, 0x140
	v_add_co_ci_u32_e32 v15, vcc_lo, s19, v3, vcc_lo
	s_ashr_i32 s21, s20, 31
	v_mov_b32_e32 v31, 0
	s_lshl_b64 s[20:21], s[20:21], 1
	s_cmpk_lt_i32 s22, 0x700
	v_add_co_u32 v16, vcc_lo, v1, s20
	s_cselect_b32 s24, s42, 0x180
	v_add_co_ci_u32_e32 v17, vcc_lo, s21, v3, vcc_lo
	s_ashr_i32 s25, s24, 31
	s_delay_alu instid0(SALU_CYCLE_1)
	s_lshl_b64 s[24:25], s[24:25], 1
	s_cmpk_lt_i32 s22, 0x800
	v_add_co_u32 v18, vcc_lo, v1, s24
	s_cselect_b32 s26, s42, 0x1c0
	v_add_co_ci_u32_e32 v19, vcc_lo, s25, v3, vcc_lo
	s_ashr_i32 s27, s26, 31
	s_delay_alu instid0(SALU_CYCLE_1)
	s_lshl_b64 s[26:27], s[26:27], 1
	s_cmpk_lt_i32 s22, 0x900
	v_add_co_u32 v20, vcc_lo, v1, s26
	s_cselect_b32 s28, s42, 0x200
	v_add_co_ci_u32_e32 v21, vcc_lo, s27, v3, vcc_lo
	s_ashr_i32 s29, s28, 31
	s_clause 0x7
	global_load_u16 v13, v[4:5], off
	global_load_u16 v4, v[6:7], off
	;; [unrolled: 1-line block ×8, first 2 shown]
	s_lshl_b64 s[28:29], s[28:29], 1
	s_cmpk_lt_i32 s22, 0xa00
	v_add_co_u32 v11, vcc_lo, v1, s28
	s_cselect_b32 s30, s42, 0x240
	v_add_co_ci_u32_e32 v12, vcc_lo, s29, v3, vcc_lo
	s_ashr_i32 s31, s30, 31
	s_delay_alu instid0(SALU_CYCLE_1)
	s_lshl_b64 s[30:31], s[30:31], 1
	s_cmpk_lt_i32 s22, 0xb00
	v_add_co_u32 v14, vcc_lo, v1, s30
	s_cselect_b32 s34, s42, 0x280
	v_add_co_ci_u32_e32 v15, vcc_lo, s31, v3, vcc_lo
	s_ashr_i32 s35, s34, 31
	s_delay_alu instid0(SALU_CYCLE_1)
	;; [unrolled: 7-line block ×7, first 2 shown]
	s_lshl_b64 s[4:5], s[6:7], 1
	s_cmpk_gt_i32 s23, 0x1000
	v_add_co_u32 v28, vcc_lo, v1, s4
	v_add_co_ci_u32_e32 v29, vcc_lo, s5, v3, vcc_lo
	s_clause 0x7
	global_load_u16 v19, v[11:12], off
	global_load_u16 v18, v[14:15], off
	;; [unrolled: 1-line block ×8, first 2 shown]
	v_dual_mov_b32 v20, 0 :: v_dual_mov_b32 v23, 0
	v_dual_mov_b32 v21, 0 :: v_dual_mov_b32 v22, 0
	v_dual_mov_b32 v25, 0 :: v_dual_mov_b32 v24, 0
	v_dual_mov_b32 v27, 0 :: v_dual_mov_b32 v26, 0
	v_dual_mov_b32 v29, 0 :: v_dual_mov_b32 v28, 0
	s_cselect_b32 s6, -1, 0
	s_cmpk_lt_i32 s23, 0x1001
	s_waitcnt vmcnt(0)
	s_barrier
	buffer_gl0_inv
	s_cbranch_scc1 .LBB473_11
; %bb.10:
	s_cmpk_lt_i32 s22, 0x1100
	s_cselect_b32 s4, s42, 0x400
	s_delay_alu instid0(SALU_CYCLE_1) | instskip(NEXT) | instid1(SALU_CYCLE_1)
	s_ashr_i32 s5, s4, 31
	s_lshl_b64 s[4:5], s[4:5], 1
	s_cmpk_lt_i32 s22, 0x1200
	v_add_co_u32 v20, vcc_lo, v1, s4
	s_cselect_b32 s8, s42, 0x440
	v_add_co_ci_u32_e32 v21, vcc_lo, s5, v3, vcc_lo
	s_ashr_i32 s9, s8, 31
	s_delay_alu instid0(SALU_CYCLE_1)
	s_lshl_b64 s[8:9], s[8:9], 1
	s_cmpk_lt_i32 s22, 0x1300
	v_add_co_u32 v22, vcc_lo, v1, s8
	s_cselect_b32 s10, s42, 0x480
	v_add_co_ci_u32_e32 v23, vcc_lo, s9, v3, vcc_lo
	s_ashr_i32 s11, s10, 31
	s_delay_alu instid0(SALU_CYCLE_1)
	s_lshl_b64 s[10:11], s[10:11], 1
	s_cmpk_lt_i32 s22, 0x1400
	v_add_co_u32 v24, vcc_lo, v1, s10
	s_cselect_b32 s18, s42, 0x4c0
	v_add_co_ci_u32_e32 v25, vcc_lo, s11, v3, vcc_lo
	s_ashr_i32 s19, s18, 31
	s_delay_alu instid0(SALU_CYCLE_1)
	s_lshl_b64 s[18:19], s[18:19], 1
	s_cmpk_lt_i32 s22, 0x1500
	v_add_co_u32 v26, vcc_lo, v1, s18
	s_cselect_b32 s20, s42, 0x500
	v_add_co_ci_u32_e32 v27, vcc_lo, s19, v3, vcc_lo
	s_ashr_i32 s21, s20, 31
	s_delay_alu instid0(SALU_CYCLE_1)
	s_lshl_b64 s[20:21], s[20:21], 1
	s_cmpk_lt_i32 s22, 0x1600
	v_add_co_u32 v28, vcc_lo, v1, s20
	s_cselect_b32 s24, s42, 0x540
	v_add_co_ci_u32_e32 v29, vcc_lo, s21, v3, vcc_lo
	s_ashr_i32 s25, s24, 31
	s_delay_alu instid0(SALU_CYCLE_1)
	s_lshl_b64 s[24:25], s[24:25], 1
	s_cmpk_lt_i32 s22, 0x1700
	v_add_co_u32 v30, vcc_lo, v1, s24
	s_cselect_b32 s26, s42, 0x580
	v_add_co_ci_u32_e32 v31, vcc_lo, s25, v3, vcc_lo
	s_ashr_i32 s27, s26, 31
	s_delay_alu instid0(SALU_CYCLE_1)
	s_lshl_b64 s[26:27], s[26:27], 1
	s_cmpk_lt_i32 s22, 0x1800
	v_add_co_u32 v32, vcc_lo, v1, s26
	s_cselect_b32 s28, s42, 0x5c0
	v_add_co_ci_u32_e32 v33, vcc_lo, s27, v3, vcc_lo
	s_ashr_i32 s29, s28, 31
	s_delay_alu instid0(SALU_CYCLE_1)
	s_lshl_b64 s[28:29], s[28:29], 1
	s_cmpk_lt_i32 s22, 0x1900
	v_add_co_u32 v34, vcc_lo, v1, s28
	s_cselect_b32 s30, s42, 0x600
	v_add_co_ci_u32_e32 v35, vcc_lo, s29, v3, vcc_lo
	s_ashr_i32 s31, s30, 31
	s_delay_alu instid0(SALU_CYCLE_1)
	s_lshl_b64 s[30:31], s[30:31], 1
	s_cmpk_lt_i32 s22, 0x1a00
	v_add_co_u32 v36, vcc_lo, v1, s30
	s_cselect_b32 s34, s42, 0x640
	v_add_co_ci_u32_e32 v37, vcc_lo, s31, v3, vcc_lo
	s_ashr_i32 s35, s34, 31
	s_delay_alu instid0(SALU_CYCLE_1)
	s_lshl_b64 s[34:35], s[34:35], 1
	s_cmpk_lt_i32 s22, 0x1b00
	v_add_co_u32 v38, vcc_lo, v1, s34
	s_cselect_b32 s36, s42, 0x680
	v_add_co_ci_u32_e32 v39, vcc_lo, s35, v3, vcc_lo
	s_ashr_i32 s37, s36, 31
	s_delay_alu instid0(SALU_CYCLE_1)
	s_lshl_b64 s[36:37], s[36:37], 1
	s_cmpk_lt_i32 s22, 0x1c00
	v_add_co_u32 v40, vcc_lo, v1, s36
	s_cselect_b32 s4, s42, 0x6c0
	v_add_co_ci_u32_e32 v41, vcc_lo, s37, v3, vcc_lo
	s_ashr_i32 s5, s4, 31
	s_delay_alu instid0(SALU_CYCLE_1)
	s_lshl_b64 s[4:5], s[4:5], 1
	s_cmpk_lt_i32 s22, 0x1d00
	v_add_co_u32 v42, vcc_lo, v1, s4
	s_cselect_b32 s8, s42, 0x700
	v_add_co_ci_u32_e32 v43, vcc_lo, s5, v3, vcc_lo
	s_ashr_i32 s9, s8, 31
	s_delay_alu instid0(SALU_CYCLE_1)
	s_lshl_b64 s[8:9], s[8:9], 1
	s_cmpk_lt_i32 s22, 0x1e00
	v_add_co_u32 v44, vcc_lo, v1, s8
	s_cselect_b32 s10, s42, 0x740
	v_add_co_ci_u32_e32 v45, vcc_lo, s9, v3, vcc_lo
	s_ashr_i32 s11, s10, 31
	s_delay_alu instid0(SALU_CYCLE_1)
	s_lshl_b64 s[10:11], s[10:11], 1
	s_cmpk_lt_i32 s22, 0x1f00
	v_add_co_u32 v46, vcc_lo, v1, s10
	s_cselect_b32 s18, s42, 0x780
	v_add_co_ci_u32_e32 v47, vcc_lo, s11, v3, vcc_lo
	s_ashr_i32 s19, s18, 31
	s_delay_alu instid0(SALU_CYCLE_1)
	s_lshl_b64 s[4:5], s[18:19], 1
	s_cmpk_lt_i32 s22, 0x2000
	v_add_co_u32 v48, vcc_lo, v1, s4
	s_cselect_b32 s8, s42, 0x7c0
	v_add_co_ci_u32_e32 v49, vcc_lo, s5, v3, vcc_lo
	s_ashr_i32 s9, s8, 31
	s_delay_alu instid0(SALU_CYCLE_1) | instskip(NEXT) | instid1(SALU_CYCLE_1)
	s_lshl_b64 s[4:5], s[8:9], 1
	v_add_co_u32 v50, vcc_lo, v1, s4
	v_add_co_ci_u32_e32 v51, vcc_lo, s5, v3, vcc_lo
	s_clause 0xf
	global_load_u16 v20, v[20:21], off
	global_load_u16 v21, v[22:23], off
	;; [unrolled: 1-line block ×16, first 2 shown]
	s_waitcnt vmcnt(15)
	v_lshlrev_b32_e32 v35, 16, v20
	s_waitcnt vmcnt(14)
	v_lshlrev_b32_e32 v34, 16, v21
	;; [unrolled: 2-line block ×16, first 2 shown]
.LBB473_11:
	ds_load_b128 v[36:39], v2
	ds_load_b128 v[40:43], v2 offset:16
	v_lshlrev_b32_e32 v44, 16, v4
	v_lshlrev_b32_e32 v13, 16, v13
	;; [unrolled: 1-line block ×5, first 2 shown]
	s_load_b64 s[0:1], s[0:1], 0x0
	s_and_b32 vcc_lo, exec_lo, s6
	v_lshlrev_b32_e32 v5, 16, v5
	s_waitcnt lgkmcnt(0)
	v_fma_f32 v4, v36, v13, 0
	s_delay_alu instid0(VALU_DEP_1) | instskip(NEXT) | instid1(VALU_DEP_1)
	v_dual_fmac_f32 v4, v37, v44 :: v_dual_lshlrev_b32 v13, 16, v7
	v_dual_fmac_f32 v4, v38, v10 :: v_dual_lshlrev_b32 v9, 16, v9
	s_delay_alu instid0(VALU_DEP_1) | instskip(SKIP_4) | instid1(VALU_DEP_1)
	v_fmac_f32_e32 v4, v39, v9
	ds_load_b128 v[36:39], v2 offset:48
	v_fmac_f32_e32 v4, v40, v8
	ds_load_b128 v[7:10], v2 offset:32
	v_fmac_f32_e32 v4, v41, v13
	v_fmac_f32_e32 v4, v42, v6
	v_lshlrev_b32_e32 v6, 16, v19
	s_delay_alu instid0(VALU_DEP_2) | instskip(SKIP_1) | instid1(VALU_DEP_1)
	v_dual_fmac_f32 v4, v43, v5 :: v_dual_lshlrev_b32 v5, 16, v18
	s_waitcnt lgkmcnt(0)
	v_fmac_f32_e32 v4, v7, v6
	v_lshlrev_b32_e32 v6, 16, v17
	s_delay_alu instid0(VALU_DEP_2) | instskip(NEXT) | instid1(VALU_DEP_1)
	v_dual_fmac_f32 v4, v8, v5 :: v_dual_lshlrev_b32 v5, 16, v16
	v_fmac_f32_e32 v4, v9, v6
	v_lshlrev_b32_e32 v6, 16, v15
	s_delay_alu instid0(VALU_DEP_2) | instskip(NEXT) | instid1(VALU_DEP_1)
	v_dual_fmac_f32 v4, v10, v5 :: v_dual_lshlrev_b32 v5, 16, v14
	;; [unrolled: 4-line block ×3, first 2 shown]
	v_fmac_f32_e32 v4, v38, v6
	s_delay_alu instid0(VALU_DEP_1)
	v_fmac_f32_e32 v4, v39, v5
	s_cbranch_vccz .LBB473_13
; %bb.12:
	ds_load_b128 v[5:8], v2 offset:64
	ds_load_b128 v[9:12], v2 offset:80
	s_waitcnt lgkmcnt(1)
	v_fmac_f32_e32 v4, v5, v35
	s_delay_alu instid0(VALU_DEP_1) | instskip(NEXT) | instid1(VALU_DEP_1)
	v_fmac_f32_e32 v4, v6, v34
	v_fmac_f32_e32 v4, v7, v33
	s_delay_alu instid0(VALU_DEP_1) | instskip(SKIP_3) | instid1(VALU_DEP_1)
	v_fmac_f32_e32 v4, v8, v32
	ds_load_b128 v[5:8], v2 offset:96
	s_waitcnt lgkmcnt(1)
	v_fmac_f32_e32 v4, v9, v31
	v_fmac_f32_e32 v4, v10, v30
	s_delay_alu instid0(VALU_DEP_1) | instskip(NEXT) | instid1(VALU_DEP_1)
	v_fmac_f32_e32 v4, v11, v29
	v_fmac_f32_e32 v4, v12, v28
	ds_load_b128 v[9:12], v2 offset:112
	s_waitcnt lgkmcnt(1)
	v_fmac_f32_e32 v4, v5, v27
	s_delay_alu instid0(VALU_DEP_1) | instskip(NEXT) | instid1(VALU_DEP_1)
	v_fmac_f32_e32 v4, v6, v26
	v_fmac_f32_e32 v4, v7, v25
	s_delay_alu instid0(VALU_DEP_1) | instskip(SKIP_1) | instid1(VALU_DEP_1)
	v_fmac_f32_e32 v4, v8, v24
	s_waitcnt lgkmcnt(0)
	v_fmac_f32_e32 v4, v9, v23
	s_delay_alu instid0(VALU_DEP_1) | instskip(NEXT) | instid1(VALU_DEP_1)
	v_fmac_f32_e32 v4, v10, v22
	v_fmac_f32_e32 v4, v11, v21
	s_delay_alu instid0(VALU_DEP_1)
	v_fmac_f32_e32 v4, v12, v20
.LBB473_13:
	s_movk_i32 s43, 0xfc0
	s_movk_i32 s44, 0x80
	s_mov_b32 s45, 32
	s_branch .LBB473_15
.LBB473_14:                             ;   in Loop: Header=BB473_15 Depth=1
	s_addk_i32 s43, 0x800
	s_addk_i32 s44, 0x80
	s_add_i32 s45, s45, 32
	s_cmpk_eq_i32 s43, 0x67c0
	s_cbranch_scc1 .LBB473_17
.LBB473_15:                             ; =>This Inner Loop Header: Depth=1
	s_cmp_le_i32 s40, s45
	s_cbranch_scc1 .LBB473_14
; %bb.16:                               ;   in Loop: Header=BB473_15 Depth=1
	s_add_i32 s4, s43, 0xfffff840
	v_mov_b32_e32 v44, s44
	s_cmp_lt_i32 s4, s41
	s_cselect_b32 s4, s4, s42
	s_add_i32 s6, s43, 0xfffff880
	s_ashr_i32 s5, s4, 31
	s_delay_alu instid0(SALU_CYCLE_1)
	s_lshl_b64 s[38:39], s[4:5], 1
	s_cmp_lt_i32 s6, s41
	v_add_co_u32 v5, vcc_lo, v1, s38
	s_cselect_b32 s4, s6, s42
	s_add_i32 s6, s43, 0xfffff8c0
	s_ashr_i32 s5, s4, 31
	v_add_co_ci_u32_e32 v6, vcc_lo, s39, v3, vcc_lo
	s_lshl_b64 s[4:5], s[4:5], 1
	s_cmp_lt_i32 s6, s41
	s_cselect_b32 s6, s6, s42
	s_add_i32 s8, s43, 0xfffff900
	s_ashr_i32 s7, s6, 31
	global_load_u16 v2, v[5:6], off
	s_lshl_b64 s[6:7], s[6:7], 1
	s_cmp_lt_i32 s8, s41
	v_add_co_u32 v5, vcc_lo, v1, s4
	s_cselect_b32 s8, s8, s42
	s_add_i32 s10, s43, 0xfffff940
	s_ashr_i32 s9, s8, 31
	v_add_co_ci_u32_e32 v6, vcc_lo, s5, v3, vcc_lo
	s_lshl_b64 s[8:9], s[8:9], 1
	s_cmp_lt_i32 s10, s41
	v_add_co_u32 v7, vcc_lo, v1, s6
	s_cselect_b32 s10, s10, s42
	s_add_i32 s18, s43, 0xfffff980
	s_ashr_i32 s11, s10, 31
	v_add_co_ci_u32_e32 v8, vcc_lo, s7, v3, vcc_lo
	s_lshl_b64 s[10:11], s[10:11], 1
	s_cmp_lt_i32 s18, s41
	v_add_co_u32 v9, vcc_lo, v1, s8
	s_cselect_b32 s18, s18, s42
	s_add_i32 s20, s43, 0xfffff9c0
	s_ashr_i32 s19, s18, 31
	s_clause 0x1
	global_load_u16 v23, v[5:6], off
	global_load_u16 v24, v[7:8], off
	s_lshl_b64 s[18:19], s[18:19], 1
	s_cmp_lt_i32 s20, s41
	v_add_co_ci_u32_e32 v10, vcc_lo, s9, v3, vcc_lo
	s_cselect_b32 s20, s20, s42
	s_add_i32 s22, s43, 0xfffffa00
	s_ashr_i32 s21, s20, 31
	global_load_u16 v25, v[9:10], off
	s_lshl_b64 s[20:21], s[20:21], 1
	s_cmp_lt_i32 s22, s41
	v_add_co_u32 v11, vcc_lo, v1, s10
	s_cselect_b32 s22, s22, s42
	s_add_i32 s24, s43, 0xfffffa40
	s_ashr_i32 s23, s22, 31
	v_add_co_ci_u32_e32 v12, vcc_lo, s11, v3, vcc_lo
	s_lshl_b64 s[22:23], s[22:23], 1
	s_cmp_lt_i32 s24, s41
	v_add_co_u32 v13, vcc_lo, v1, s18
	global_load_u16 v26, v[11:12], off
	s_cselect_b32 s24, s24, s42
	s_add_i32 s26, s43, 0xfffffa80
	s_ashr_i32 s25, s24, 31
	v_add_co_ci_u32_e32 v14, vcc_lo, s19, v3, vcc_lo
	s_lshl_b64 s[24:25], s[24:25], 1
	s_cmp_lt_i32 s26, s41
	v_add_co_u32 v15, vcc_lo, v1, s20
	global_load_u16 v27, v[13:14], off
	s_cselect_b32 s26, s26, s42
	s_add_i32 s28, s43, 0xfffffac0
	s_ashr_i32 s27, s26, 31
	v_add_co_ci_u32_e32 v16, vcc_lo, s21, v3, vcc_lo
	s_lshl_b64 s[36:37], s[26:27], 1
	s_cmp_lt_i32 s28, s41
	v_add_co_u32 v17, vcc_lo, v1, s22
	s_cselect_b32 s26, s28, s42
	s_add_i32 s30, s43, 0xfffffb00
	s_ashr_i32 s27, s26, 31
	v_add_co_ci_u32_e32 v18, vcc_lo, s23, v3, vcc_lo
	s_lshl_b64 s[28:29], s[26:27], 1
	s_cmp_lt_i32 s30, s41
	v_add_co_u32 v19, vcc_lo, v1, s24
	global_load_u16 v17, v[17:18], off
	s_cselect_b32 s26, s30, s42
	s_add_i32 s30, s43, 0xfffffb40
	s_ashr_i32 s27, s26, 31
	v_add_co_ci_u32_e32 v20, vcc_lo, s25, v3, vcc_lo
	s_lshl_b64 s[26:27], s[26:27], 1
	s_cmp_lt_i32 s30, s41
	v_add_co_u32 v21, vcc_lo, v1, s36
	s_cselect_b32 s30, s30, s42
	s_add_i32 s46, s43, 0xfffffb80
	s_ashr_i32 s31, s30, 31
	v_add_co_ci_u32_e32 v22, vcc_lo, s37, v3, vcc_lo
	s_lshl_b64 s[34:35], s[30:31], 1
	s_cmp_lt_i32 s46, s41
	v_add_co_u32 v5, vcc_lo, v1, s28
	;; [unrolled: 7-line block ×3, first 2 shown]
	s_cselect_b32 s46, s46, s42
	s_add_i32 s48, s43, 0xfffffc00
	s_ashr_i32 s47, s46, 31
	global_load_u16 v28, v[15:16], off
	s_lshl_b64 s[38:39], s[46:47], 1
	s_cmp_lt_i32 s48, s41
	v_add_co_ci_u32_e32 v8, vcc_lo, s27, v3, vcc_lo
	s_cselect_b32 s46, s48, s42
	v_add_co_u32 v9, vcc_lo, v1, s34
	s_ashr_i32 s47, s46, 31
	s_add_i32 s4, s43, 0xfffffc40
	s_lshl_b64 s[46:47], s[46:47], 1
	v_add_co_ci_u32_e32 v10, vcc_lo, s35, v3, vcc_lo
	s_cmp_lt_i32 s4, s41
	v_add_co_u32 v11, vcc_lo, v1, s30
	s_cselect_b32 s4, s4, s42
	v_add_co_ci_u32_e32 v12, vcc_lo, s31, v3, vcc_lo
	v_add_co_u32 v13, vcc_lo, v1, s38
	s_ashr_i32 s5, s4, 31
	s_add_i32 s6, s43, 0xfffffc80
	v_add_co_ci_u32_e32 v14, vcc_lo, s39, v3, vcc_lo
	global_load_u16 v18, v[19:20], off
	s_lshl_b64 s[8:9], s[4:5], 1
	s_cmp_lt_i32 s6, s41
	global_load_u16 v30, v[13:14], off
	s_cselect_b32 s4, s6, s42
	global_load_u16 v19, v[21:22], off
	s_ashr_i32 s5, s4, 31
	s_add_i32 s6, s43, 0xfffffcc0
	s_lshl_b64 s[10:11], s[4:5], 1
	s_cmp_lt_i32 s6, s41
	s_clause 0x3
	global_load_u16 v20, v[5:6], off
	global_load_u16 v21, v[7:8], off
	global_load_u16 v22, v[9:10], off
	global_load_u16 v29, v[11:12], off
	s_cselect_b32 s4, s6, s42
	s_add_i32 s6, s43, 0xfffffd00
	s_ashr_i32 s5, s4, 31
	v_add_co_u32 v15, vcc_lo, v1, s46
	s_lshl_b64 s[4:5], s[4:5], 1
	s_cmp_lt_i32 s6, s41
	v_add_co_ci_u32_e32 v16, vcc_lo, s47, v3, vcc_lo
	s_cselect_b32 s6, s6, s42
	s_add_i32 s18, s43, 0xfffffd40
	s_ashr_i32 s7, s6, 31
	v_add_co_u32 v5, vcc_lo, v1, s8
	s_lshl_b64 s[6:7], s[6:7], 1
	s_cmp_lt_i32 s18, s41
	v_add_co_ci_u32_e32 v6, vcc_lo, s9, v3, vcc_lo
	s_cselect_b32 s18, s18, s42
	v_add_co_u32 v7, vcc_lo, v1, s10
	s_ashr_i32 s19, s18, 31
	s_add_i32 s20, s43, 0xfffffd80
	s_lshl_b64 s[18:19], s[18:19], 1
	v_add_co_ci_u32_e32 v8, vcc_lo, s11, v3, vcc_lo
	s_cmp_lt_i32 s20, s41
	v_add_co_u32 v9, vcc_lo, v1, s4
	s_cselect_b32 s20, s20, s42
	v_add_co_ci_u32_e32 v10, vcc_lo, s5, v3, vcc_lo
	v_add_co_u32 v11, vcc_lo, v1, s6
	s_ashr_i32 s21, s20, 31
	s_add_i32 s22, s43, 0xfffffdc0
	v_add_co_ci_u32_e32 v12, vcc_lo, s7, v3, vcc_lo
	global_load_u16 v15, v[15:16], off
	s_lshl_b64 s[20:21], s[20:21], 1
	s_cmp_lt_i32 s22, s41
	global_load_u16 v33, v[11:12], off
	s_cselect_b32 s22, s22, s42
	s_clause 0x2
	global_load_u16 v16, v[5:6], off
	global_load_u16 v31, v[7:8], off
	;; [unrolled: 1-line block ×3, first 2 shown]
	s_ashr_i32 s23, s22, 31
	s_add_i32 s24, s43, 0xfffffe00
	s_lshl_b64 s[22:23], s[22:23], 1
	s_cmp_lt_i32 s24, s41
	v_add_co_u32 v13, vcc_lo, v1, s18
	s_cselect_b32 s24, s24, s42
	s_add_i32 s26, s43, 0xfffffe40
	s_ashr_i32 s25, s24, 31
	v_add_co_ci_u32_e32 v14, vcc_lo, s19, v3, vcc_lo
	s_lshl_b64 s[24:25], s[24:25], 1
	s_cmp_lt_i32 s26, s41
	v_add_co_u32 v5, vcc_lo, v1, s20
	s_cselect_b32 s8, s26, s42
	v_add_co_ci_u32_e32 v6, vcc_lo, s21, v3, vcc_lo
	s_ashr_i32 s9, s8, 31
	v_add_co_u32 v7, vcc_lo, v1, s22
	s_add_i32 s10, s43, 0xfffffe80
	s_lshl_b64 s[8:9], s[8:9], 1
	v_add_co_ci_u32_e32 v8, vcc_lo, s23, v3, vcc_lo
	s_cmp_lt_i32 s10, s41
	v_add_co_u32 v9, vcc_lo, v1, s24
	s_cselect_b32 s4, s10, s42
	global_load_u16 v13, v[13:14], off
	v_add_co_ci_u32_e32 v10, vcc_lo, s25, v3, vcc_lo
	s_ashr_i32 s5, s4, 31
	s_add_i32 s6, s43, 0xfffffec0
	s_lshl_b64 s[4:5], s[4:5], 1
	global_load_u16 v35, v[9:10], off
	s_cmp_lt_i32 s6, s41
	s_clause 0x1
	global_load_u16 v14, v[5:6], off
	global_load_u16 v34, v[7:8], off
	s_cselect_b32 s6, s6, s42
	s_add_i32 s10, s43, 0xffffff00
	s_ashr_i32 s7, s6, 31
	v_add_co_u32 v5, vcc_lo, v1, s8
	s_lshl_b64 s[6:7], s[6:7], 1
	s_cmp_lt_i32 s10, s41
	v_add_co_ci_u32_e32 v6, vcc_lo, s9, v3, vcc_lo
	s_cselect_b32 s10, s10, s42
	v_add_co_u32 v7, vcc_lo, v1, s4
	s_ashr_i32 s11, s10, 31
	v_add_co_ci_u32_e32 v8, vcc_lo, s5, v3, vcc_lo
	s_add_i32 s18, s43, 0xffffff40
	s_lshl_b64 s[10:11], s[10:11], 1
	s_cmp_lt_i32 s18, s41
	s_clause 0x1
	global_load_u16 v36, v[5:6], off
	global_load_u16 v37, v[7:8], off
	s_cselect_b32 s18, s18, s42
	v_add_co_u32 v5, vcc_lo, v1, s6
	s_ashr_i32 s19, s18, 31
	v_add_co_ci_u32_e32 v6, vcc_lo, s7, v3, vcc_lo
	s_add_i32 s20, s43, 0xffffff80
	v_add_co_u32 v7, vcc_lo, v1, s10
	s_lshl_b64 s[8:9], s[18:19], 1
	s_cmp_lt_i32 s20, s41
	v_add_co_ci_u32_e32 v8, vcc_lo, s11, v3, vcc_lo
	s_cselect_b32 s4, s20, s42
	global_load_u16 v38, v[5:6], off
	s_ashr_i32 s5, s4, 31
	global_load_u16 v39, v[7:8], off
	s_sub_i32 s18, s43, 64
	v_add_co_u32 v5, vcc_lo, v1, s8
	s_lshl_b64 s[4:5], s[4:5], 1
	s_cmp_lt_i32 s18, s41
	v_add_co_ci_u32_e32 v6, vcc_lo, s9, v3, vcc_lo
	v_add_co_u32 v7, vcc_lo, v1, s4
	s_cselect_b32 s6, s18, s42
	v_add_co_ci_u32_e32 v8, vcc_lo, s5, v3, vcc_lo
	s_ashr_i32 s7, s6, 31
	global_load_u16 v40, v[5:6], off
	s_lshl_b64 s[6:7], s[6:7], 1
	global_load_u16 v41, v[7:8], off
	s_cmp_lt_i32 s43, s41
	v_add_co_u32 v5, vcc_lo, v1, s6
	s_cselect_b32 s4, s43, s42
	v_add_co_ci_u32_e32 v6, vcc_lo, s7, v3, vcc_lo
	s_ashr_i32 s5, s4, 31
	s_delay_alu instid0(SALU_CYCLE_1)
	s_lshl_b64 s[4:5], s[4:5], 1
	global_load_u16 v42, v[5:6], off
	v_add_co_u32 v5, vcc_lo, v1, s4
	v_add_co_ci_u32_e32 v6, vcc_lo, s5, v3, vcc_lo
	global_load_u16 v43, v[5:6], off
	ds_load_b128 v[5:8], v44
	ds_load_b128 v[9:12], v44 offset:16
	s_waitcnt vmcnt(31)
	v_lshlrev_b32_e32 v2, 16, v2
	s_waitcnt lgkmcnt(1)
	s_delay_alu instid0(VALU_DEP_1) | instskip(SKIP_2) | instid1(VALU_DEP_1)
	v_fmac_f32_e32 v4, v5, v2
	s_waitcnt vmcnt(30)
	v_lshlrev_b32_e32 v2, 16, v23
	v_fmac_f32_e32 v4, v6, v2
	s_waitcnt vmcnt(29)
	v_lshlrev_b32_e32 v2, 16, v24
	s_delay_alu instid0(VALU_DEP_1) | instskip(SKIP_2) | instid1(VALU_DEP_1)
	v_fmac_f32_e32 v4, v7, v2
	s_waitcnt vmcnt(28)
	v_lshlrev_b32_e32 v2, 16, v25
	v_fmac_f32_e32 v4, v8, v2
	ds_load_b128 v[5:8], v44 offset:32
	s_waitcnt vmcnt(27)
	v_lshlrev_b32_e32 v2, 16, v26
	s_waitcnt lgkmcnt(1)
	s_delay_alu instid0(VALU_DEP_1) | instskip(SKIP_2) | instid1(VALU_DEP_1)
	v_fmac_f32_e32 v4, v9, v2
	s_waitcnt vmcnt(26)
	v_lshlrev_b32_e32 v2, 16, v27
	v_fmac_f32_e32 v4, v10, v2
	s_waitcnt vmcnt(24)
	v_lshlrev_b32_e32 v2, 16, v28
	s_delay_alu instid0(VALU_DEP_1) | instskip(SKIP_1) | instid1(VALU_DEP_1)
	v_fmac_f32_e32 v4, v11, v2
	v_lshlrev_b32_e32 v2, 16, v17
	v_fmac_f32_e32 v4, v12, v2
	ds_load_b128 v[9:12], v44 offset:48
	s_waitcnt vmcnt(23)
	v_lshlrev_b32_e32 v2, 16, v18
	s_waitcnt lgkmcnt(1)
	s_delay_alu instid0(VALU_DEP_1) | instskip(SKIP_2) | instid1(VALU_DEP_1)
	v_fmac_f32_e32 v4, v5, v2
	s_waitcnt vmcnt(21)
	v_lshlrev_b32_e32 v2, 16, v19
	v_fmac_f32_e32 v4, v6, v2
	s_waitcnt vmcnt(20)
	v_lshlrev_b32_e32 v2, 16, v20
	s_delay_alu instid0(VALU_DEP_1) | instskip(SKIP_2) | instid1(VALU_DEP_1)
	v_fmac_f32_e32 v4, v7, v2
	s_waitcnt vmcnt(19)
	v_lshlrev_b32_e32 v2, 16, v21
	v_fmac_f32_e32 v4, v8, v2
	s_waitcnt vmcnt(18)
	v_lshlrev_b32_e32 v2, 16, v22
	ds_load_b128 v[5:8], v44 offset:64
	s_waitcnt lgkmcnt(1)
	v_fmac_f32_e32 v4, v9, v2
	s_waitcnt vmcnt(17)
	v_lshlrev_b32_e32 v2, 16, v29
	s_delay_alu instid0(VALU_DEP_1) | instskip(SKIP_1) | instid1(VALU_DEP_1)
	v_fmac_f32_e32 v4, v10, v2
	v_lshlrev_b32_e32 v2, 16, v30
	v_fmac_f32_e32 v4, v11, v2
	s_waitcnt vmcnt(16)
	v_lshlrev_b32_e32 v2, 16, v15
	s_delay_alu instid0(VALU_DEP_1) | instskip(SKIP_4) | instid1(VALU_DEP_1)
	v_fmac_f32_e32 v4, v12, v2
	ds_load_b128 v[9:12], v44 offset:80
	s_waitcnt vmcnt(14)
	v_lshlrev_b32_e32 v2, 16, v16
	s_waitcnt lgkmcnt(1)
	v_fmac_f32_e32 v4, v5, v2
	s_waitcnt vmcnt(13)
	v_lshlrev_b32_e32 v2, 16, v31
	s_delay_alu instid0(VALU_DEP_1) | instskip(SKIP_2) | instid1(VALU_DEP_1)
	v_fmac_f32_e32 v4, v6, v2
	s_waitcnt vmcnt(12)
	v_lshlrev_b32_e32 v2, 16, v32
	v_fmac_f32_e32 v4, v7, v2
	v_lshlrev_b32_e32 v2, 16, v33
	s_delay_alu instid0(VALU_DEP_1) | instskip(SKIP_4) | instid1(VALU_DEP_1)
	v_fmac_f32_e32 v4, v8, v2
	ds_load_b128 v[5:8], v44 offset:96
	s_waitcnt vmcnt(11)
	v_lshlrev_b32_e32 v2, 16, v13
	s_waitcnt lgkmcnt(1)
	v_fmac_f32_e32 v4, v9, v2
	s_waitcnt vmcnt(9)
	v_lshlrev_b32_e32 v2, 16, v14
	s_delay_alu instid0(VALU_DEP_1) | instskip(SKIP_2) | instid1(VALU_DEP_1)
	v_fmac_f32_e32 v4, v10, v2
	s_waitcnt vmcnt(8)
	v_lshlrev_b32_e32 v2, 16, v34
	v_fmac_f32_e32 v4, v11, v2
	;; [unrolled: 15-line block ×3, first 2 shown]
	s_waitcnt vmcnt(4)
	v_lshlrev_b32_e32 v2, 16, v39
	s_delay_alu instid0(VALU_DEP_1) | instskip(SKIP_3) | instid1(VALU_DEP_1)
	v_fmac_f32_e32 v4, v8, v2
	s_waitcnt vmcnt(3)
	v_lshlrev_b32_e32 v2, 16, v40
	s_waitcnt lgkmcnt(0)
	v_fmac_f32_e32 v4, v9, v2
	s_waitcnt vmcnt(2)
	v_lshlrev_b32_e32 v2, 16, v41
	s_delay_alu instid0(VALU_DEP_1) | instskip(SKIP_2) | instid1(VALU_DEP_1)
	v_fmac_f32_e32 v4, v10, v2
	s_waitcnt vmcnt(1)
	v_lshlrev_b32_e32 v2, 16, v42
	v_fmac_f32_e32 v4, v11, v2
	s_waitcnt vmcnt(0)
	v_lshlrev_b32_e32 v2, 16, v43
	s_delay_alu instid0(VALU_DEP_1)
	v_fmac_f32_e32 v4, v12, v2
	s_branch .LBB473_14
.LBB473_17:
	v_mov_b32_e32 v1, 0
	s_and_b32 vcc_lo, exec_lo, s15
	ds_load_b32 v1, v1 offset:1536
	s_cbranch_vccz .LBB473_19
; %bb.18:
	s_add_u32 s2, s12, s16
	s_addc_u32 s3, s13, s17
	s_load_b32 s2, s[2:3], 0x0
	s_mov_b32 s3, 0
.LBB473_19:
	s_waitcnt lgkmcnt(0)
	v_add_f32_e32 v1, 0x358637bd, v1
	s_delay_alu instid0(VALU_DEP_1) | instskip(NEXT) | instid1(VALU_DEP_1)
	v_div_scale_f32 v2, null, v1, v1, 1.0
	v_rcp_f32_e32 v3, v2
	s_waitcnt_depctr 0xfff
	v_fma_f32 v5, -v2, v3, 1.0
	s_delay_alu instid0(VALU_DEP_1) | instskip(SKIP_1) | instid1(VALU_DEP_1)
	v_fmac_f32_e32 v3, v5, v3
	v_div_scale_f32 v5, vcc_lo, 1.0, v1, 1.0
	v_mul_f32_e32 v6, v5, v3
	s_delay_alu instid0(VALU_DEP_1) | instskip(NEXT) | instid1(VALU_DEP_1)
	v_fma_f32 v7, -v2, v6, v5
	v_fmac_f32_e32 v6, v7, v3
	s_delay_alu instid0(VALU_DEP_1) | instskip(NEXT) | instid1(VALU_DEP_1)
	v_fma_f32 v2, -v2, v6, v5
	v_div_fmas_f32 v2, v2, v3, v6
	s_delay_alu instid0(VALU_DEP_1) | instskip(NEXT) | instid1(VALU_DEP_1)
	v_div_fixup_f32 v1, v2, v1, 1.0
	v_mul_f32_e32 v2, v4, v1
	s_delay_alu instid0(VALU_DEP_1) | instskip(NEXT) | instid1(VALU_DEP_1)
	v_and_b32_e32 v1, 0x7f800000, v2
	v_cmp_ne_u32_e32 vcc_lo, 0x7f800000, v1
                                        ; implicit-def: $vgpr1
	s_and_saveexec_b32 s4, vcc_lo
	s_delay_alu instid0(SALU_CYCLE_1)
	s_xor_b32 s4, exec_lo, s4
; %bb.20:
	v_bfe_u32 v1, v2, 16, 1
	s_delay_alu instid0(VALU_DEP_1)
	v_add3_u32 v1, v2, v1, 0x7fff
                                        ; implicit-def: $vgpr2
; %bb.21:
	s_and_not1_saveexec_b32 s4, s4
; %bb.22:
	v_and_b32_e32 v1, 0xffff, v2
	v_or_b32_e32 v3, 0x10000, v2
	s_delay_alu instid0(VALU_DEP_2) | instskip(NEXT) | instid1(VALU_DEP_2)
	v_cmp_eq_u32_e32 vcc_lo, 0, v1
	v_cndmask_b32_e32 v1, v3, v2, vcc_lo
; %bb.23:
	s_or_b32 exec_lo, exec_lo, s4
	s_mul_i32 s3, s33, s3
	s_mul_hi_u32 s4, s33, s2
	s_mul_i32 s2, s33, s2
	s_add_i32 s3, s4, s3
	s_mov_b32 s15, 0
	s_lshl_b64 s[2:3], s[2:3], 7
	s_delay_alu instid0(SALU_CYCLE_1) | instskip(SKIP_2) | instid1(SALU_CYCLE_1)
	s_add_u32 s2, s0, s2
	s_addc_u32 s3, s1, s3
	s_lshl_b64 s[0:1], s[14:15], 7
	s_add_u32 s0, s2, s0
	s_addc_u32 s1, s3, s1
	global_store_d16_hi_b16 v0, v1, s[0:1]
	s_nop 0
	s_sendmsg sendmsg(MSG_DEALLOC_VGPRS)
	s_endpgm
.LBB473_24:
	s_mov_b32 s4, 0
	s_branch .LBB473_2
	.section	.rodata,"a",@progbits
	.p2align	6, 0x0
	.amdhsa_kernel _Z35paged_attention_ll4mi_reduce_kernelI14__hip_bfloat16S0_Li64ELi64ELi256ELi12EEvPT0_PKfS4_PKT_PKiS9_iS4_
		.amdhsa_group_segment_fixed_size 1540
		.amdhsa_private_segment_fixed_size 0
		.amdhsa_kernarg_size 320
		.amdhsa_user_sgpr_count 14
		.amdhsa_user_sgpr_dispatch_ptr 0
		.amdhsa_user_sgpr_queue_ptr 0
		.amdhsa_user_sgpr_kernarg_segment_ptr 1
		.amdhsa_user_sgpr_dispatch_id 0
		.amdhsa_user_sgpr_private_segment_size 0
		.amdhsa_wavefront_size32 1
		.amdhsa_uses_dynamic_stack 0
		.amdhsa_enable_private_segment 0
		.amdhsa_system_sgpr_workgroup_id_x 1
		.amdhsa_system_sgpr_workgroup_id_y 1
		.amdhsa_system_sgpr_workgroup_id_z 0
		.amdhsa_system_sgpr_workgroup_info 0
		.amdhsa_system_vgpr_workitem_id 0
		.amdhsa_next_free_vgpr 67
		.amdhsa_next_free_sgpr 49
		.amdhsa_reserve_vcc 1
		.amdhsa_float_round_mode_32 0
		.amdhsa_float_round_mode_16_64 0
		.amdhsa_float_denorm_mode_32 3
		.amdhsa_float_denorm_mode_16_64 3
		.amdhsa_dx10_clamp 1
		.amdhsa_ieee_mode 1
		.amdhsa_fp16_overflow 0
		.amdhsa_workgroup_processor_mode 1
		.amdhsa_memory_ordered 1
		.amdhsa_forward_progress 0
		.amdhsa_shared_vgpr_count 0
		.amdhsa_exception_fp_ieee_invalid_op 0
		.amdhsa_exception_fp_denorm_src 0
		.amdhsa_exception_fp_ieee_div_zero 0
		.amdhsa_exception_fp_ieee_overflow 0
		.amdhsa_exception_fp_ieee_underflow 0
		.amdhsa_exception_fp_ieee_inexact 0
		.amdhsa_exception_int_div_zero 0
	.end_amdhsa_kernel
	.section	.text._Z35paged_attention_ll4mi_reduce_kernelI14__hip_bfloat16S0_Li64ELi64ELi256ELi12EEvPT0_PKfS4_PKT_PKiS9_iS4_,"axG",@progbits,_Z35paged_attention_ll4mi_reduce_kernelI14__hip_bfloat16S0_Li64ELi64ELi256ELi12EEvPT0_PKfS4_PKT_PKiS9_iS4_,comdat
.Lfunc_end473:
	.size	_Z35paged_attention_ll4mi_reduce_kernelI14__hip_bfloat16S0_Li64ELi64ELi256ELi12EEvPT0_PKfS4_PKT_PKiS9_iS4_, .Lfunc_end473-_Z35paged_attention_ll4mi_reduce_kernelI14__hip_bfloat16S0_Li64ELi64ELi256ELi12EEvPT0_PKfS4_PKT_PKiS9_iS4_
                                        ; -- End function
	.section	.AMDGPU.csdata,"",@progbits
; Kernel info:
; codeLenInByte = 7460
; NumSgprs: 51
; NumVgprs: 67
; ScratchSize: 0
; MemoryBound: 0
; FloatMode: 240
; IeeeMode: 1
; LDSByteSize: 1540 bytes/workgroup (compile time only)
; SGPRBlocks: 6
; VGPRBlocks: 8
; NumSGPRsForWavesPerEU: 51
; NumVGPRsForWavesPerEU: 67
; Occupancy: 16
; WaveLimiterHint : 0
; COMPUTE_PGM_RSRC2:SCRATCH_EN: 0
; COMPUTE_PGM_RSRC2:USER_SGPR: 14
; COMPUTE_PGM_RSRC2:TRAP_HANDLER: 0
; COMPUTE_PGM_RSRC2:TGID_X_EN: 1
; COMPUTE_PGM_RSRC2:TGID_Y_EN: 1
; COMPUTE_PGM_RSRC2:TGID_Z_EN: 0
; COMPUTE_PGM_RSRC2:TIDIG_COMP_CNT: 0
	.section	.text._Z35paged_attention_ll4mi_reduce_kernelI14__hip_bfloat16S0_Li64ELi64ELi256ELi13EEvPT0_PKfS4_PKT_PKiS9_iS4_,"axG",@progbits,_Z35paged_attention_ll4mi_reduce_kernelI14__hip_bfloat16S0_Li64ELi64ELi256ELi13EEvPT0_PKfS4_PKT_PKiS9_iS4_,comdat
	.protected	_Z35paged_attention_ll4mi_reduce_kernelI14__hip_bfloat16S0_Li64ELi64ELi256ELi13EEvPT0_PKfS4_PKT_PKiS9_iS4_ ; -- Begin function _Z35paged_attention_ll4mi_reduce_kernelI14__hip_bfloat16S0_Li64ELi64ELi256ELi13EEvPT0_PKfS4_PKT_PKiS9_iS4_
	.globl	_Z35paged_attention_ll4mi_reduce_kernelI14__hip_bfloat16S0_Li64ELi64ELi256ELi13EEvPT0_PKfS4_PKT_PKiS9_iS4_
	.p2align	8
	.type	_Z35paged_attention_ll4mi_reduce_kernelI14__hip_bfloat16S0_Li64ELi64ELi256ELi13EEvPT0_PKfS4_PKT_PKiS9_iS4_,@function
_Z35paged_attention_ll4mi_reduce_kernelI14__hip_bfloat16S0_Li64ELi64ELi256ELi13EEvPT0_PKfS4_PKT_PKiS9_iS4_: ; @_Z35paged_attention_ll4mi_reduce_kernelI14__hip_bfloat16S0_Li64ELi64ELi256ELi13EEvPT0_PKfS4_PKT_PKiS9_iS4_
; %bb.0:
	s_load_b64 s[12:13], s[0:1], 0x28
	s_mov_b32 s2, s15
	s_waitcnt lgkmcnt(0)
	s_cmp_lg_u64 s[12:13], 0
	s_cselect_b32 s15, -1, 0
	s_delay_alu instid0(SALU_CYCLE_1)
	s_and_b32 vcc_lo, exec_lo, s15
	s_cbranch_vccz .LBB474_24
; %bb.1:
	s_add_i32 s4, s2, 1
	s_mov_b32 s5, 0
	s_delay_alu instid0(SALU_CYCLE_1) | instskip(SKIP_4) | instid1(SALU_CYCLE_1)
	s_lshl_b64 s[6:7], s[4:5], 2
	s_mov_b32 s3, s5
	s_add_u32 s6, s12, s6
	s_addc_u32 s7, s13, s7
	s_lshl_b64 s[8:9], s[2:3], 2
	s_add_u32 s8, s12, s8
	s_addc_u32 s9, s13, s9
	s_clause 0x1
	s_load_b32 s4, s[6:7], 0x0
	s_load_b32 s6, s[8:9], 0x0
	s_waitcnt lgkmcnt(0)
	s_sub_i32 s4, s4, s6
	s_delay_alu instid0(SALU_CYCLE_1)
	s_cmp_eq_u32 s4, 1
	s_cselect_b32 s4, -1, 0
	s_cbranch_execnz .LBB474_3
.LBB474_2:
	s_mov_b32 s3, 0
	s_mov_b32 s4, -1
.LBB474_3:
	s_delay_alu instid0(SALU_CYCLE_1)
	s_and_not1_b32 vcc_lo, exec_lo, s4
	s_cbranch_vccz .LBB474_5
; %bb.4:
	s_endpgm
.LBB474_5:
	s_clause 0x1
	s_load_b128 s[4:7], s[0:1], 0x18
	s_load_b32 s9, s[0:1], 0x30
	s_lshl_b64 s[16:17], s[2:3], 2
	s_waitcnt lgkmcnt(0)
	s_add_u32 s6, s6, s16
	s_addc_u32 s7, s7, s17
	s_load_b32 s23, s[6:7], 0x0
	s_load_b32 s33, s[0:1], 0x40
	s_mul_i32 s7, s2, s9
	s_waitcnt lgkmcnt(0)
	s_add_i32 s22, s23, 0xff
	s_delay_alu instid0(SALU_CYCLE_1) | instskip(NEXT) | instid1(SALU_CYCLE_1)
	s_ashr_i32 s6, s22, 31
	s_lshr_b32 s6, s6, 24
	s_delay_alu instid0(SALU_CYCLE_1) | instskip(SKIP_4) | instid1(SALU_CYCLE_1)
	s_add_i32 s8, s22, s6
	s_mul_i32 s6, s14, s9
	s_mov_b32 s9, exec_lo
	v_cmpx_lt_u32_e32 31, v0
	s_xor_b32 s9, exec_lo, s9
	s_or_saveexec_b32 s24, s9
	v_mov_b32_e32 v1, s6
	s_ashr_i32 s40, s8, 8
	s_mul_i32 s18, s7, s33
	s_xor_b32 exec_lo, exec_lo, s24
	s_cbranch_execz .LBB474_9
; %bb.6:
	v_or_b32_e32 v2, 32, v0
	v_cmp_gt_i32_e32 vcc_lo, s40, v0
	s_add_i32 s20, s40, -1
	v_or_b32_e32 v4, 64, v0
	v_or_b32_e32 v6, 0x60, v0
	s_load_b128 s[8:11], s[0:1], 0x8
	v_cndmask_b32_e32 v1, s20, v0, vcc_lo
	v_cmp_gt_i32_e32 vcc_lo, s40, v2
	s_mov_b32 s19, 0
	s_delay_alu instid0(SALU_CYCLE_1)
	s_mov_b32 s7, s19
	v_cndmask_b32_e32 v3, s20, v2, vcc_lo
	v_cmp_gt_i32_e32 vcc_lo, s40, v4
	v_or_b32_e32 v2, 0x80, v0
	v_cndmask_b32_e32 v5, s20, v4, vcc_lo
	v_cmp_gt_i32_e32 vcc_lo, s40, v6
	v_or_b32_e32 v4, 0xa0, v0
	;; [unrolled: 3-line block ×3, first 2 shown]
	s_delay_alu instid0(VALU_DEP_3) | instskip(SKIP_3) | instid1(VALU_DEP_3)
	v_ashrrev_i32_e32 v8, 31, v7
	v_cndmask_b32_e32 v9, s20, v2, vcc_lo
	v_or_b32_e32 v2, 0xc0, v0
	v_cmp_gt_i32_e32 vcc_lo, s40, v4
	v_ashrrev_i32_e32 v10, 31, v9
	v_cndmask_b32_e32 v11, s20, v4, vcc_lo
	s_delay_alu instid0(VALU_DEP_4) | instskip(SKIP_1) | instid1(VALU_DEP_3)
	v_cmp_gt_i32_e32 vcc_lo, s40, v2
	v_or_b32_e32 v4, 0x100, v0
	v_ashrrev_i32_e32 v12, 31, v11
	v_cndmask_b32_e32 v13, s20, v2, vcc_lo
	v_cmp_gt_i32_e32 vcc_lo, s40, v6
	v_or_b32_e32 v2, 0x120, v0
	s_delay_alu instid0(VALU_DEP_3) | instskip(SKIP_3) | instid1(VALU_DEP_3)
	v_ashrrev_i32_e32 v14, 31, v13
	v_cndmask_b32_e32 v15, s20, v6, vcc_lo
	v_cmp_gt_i32_e32 vcc_lo, s40, v4
	v_or_b32_e32 v6, 0x160, v0
	v_ashrrev_i32_e32 v16, 31, v15
	v_cndmask_b32_e32 v17, s20, v4, vcc_lo
	v_or_b32_e32 v4, 0x140, v0
	v_cmp_gt_i32_e32 vcc_lo, s40, v2
	s_delay_alu instid0(VALU_DEP_3) | instskip(SKIP_1) | instid1(VALU_DEP_4)
	v_ashrrev_i32_e32 v18, 31, v17
	v_cndmask_b32_e32 v19, s20, v2, vcc_lo
	v_cmp_gt_i32_e32 vcc_lo, s40, v4
	v_or_b32_e32 v2, 0x180, v0
	s_delay_alu instid0(VALU_DEP_3) | instskip(SKIP_3) | instid1(VALU_DEP_3)
	v_ashrrev_i32_e32 v20, 31, v19
	v_cndmask_b32_e32 v21, s20, v4, vcc_lo
	v_cmp_gt_i32_e32 vcc_lo, s40, v6
	v_ashrrev_i32_e32 v4, 31, v3
	v_ashrrev_i32_e32 v22, 31, v21
	v_cndmask_b32_e32 v23, s20, v6, vcc_lo
	v_cmp_gt_i32_e32 vcc_lo, s40, v2
	v_ashrrev_i32_e32 v6, 31, v5
	s_delay_alu instid0(VALU_DEP_3)
	v_ashrrev_i32_e32 v24, 31, v23
	v_cndmask_b32_e32 v25, s20, v2, vcc_lo
	v_ashrrev_i32_e32 v2, 31, v1
	s_lshl_b64 s[20:21], s[18:19], 2
	s_waitcnt lgkmcnt(0)
	s_add_u32 s19, s10, s20
	s_addc_u32 s25, s11, s21
	v_lshlrev_b64 v[27:28], 2, v[1:2]
	s_lshl_b64 s[10:11], s[6:7], 2
	v_lshlrev_b64 v[2:3], 2, v[3:4]
	s_add_u32 s7, s19, s10
	s_addc_u32 s19, s25, s11
	v_lshlrev_b64 v[4:5], 2, v[5:6]
	v_add_co_u32 v29, vcc_lo, s7, v27
	v_add_co_ci_u32_e32 v30, vcc_lo, s19, v28, vcc_lo
	v_add_co_u32 v31, vcc_lo, s7, v2
	v_lshlrev_b64 v[6:7], 2, v[7:8]
	v_add_co_ci_u32_e32 v32, vcc_lo, s19, v3, vcc_lo
	v_add_co_u32 v33, vcc_lo, s7, v4
	v_lshlrev_b64 v[8:9], 2, v[9:10]
	;; [unrolled: 3-line block ×6, first 2 shown]
	v_add_co_ci_u32_e32 v42, vcc_lo, s19, v13, vcc_lo
	v_add_co_u32 v43, vcc_lo, s7, v14
	v_add_co_ci_u32_e32 v44, vcc_lo, s19, v15, vcc_lo
	v_lshlrev_b64 v[18:19], 2, v[19:20]
	v_add_co_u32 v45, vcc_lo, s7, v16
	v_add_co_ci_u32_e32 v46, vcc_lo, s19, v17, vcc_lo
	s_clause 0x8
	global_load_b32 v47, v[29:30], off
	global_load_b32 v48, v[31:32], off
	;; [unrolled: 1-line block ×9, first 2 shown]
	v_lshlrev_b64 v[20:21], 2, v[21:22]
	v_ashrrev_i32_e32 v26, 31, v25
	v_add_co_u32 v29, vcc_lo, s7, v18
	v_lshlrev_b64 v[22:23], 2, v[23:24]
	v_add_co_ci_u32_e32 v30, vcc_lo, s19, v19, vcc_lo
	v_add_co_u32 v31, vcc_lo, s7, v20
	v_lshlrev_b64 v[24:25], 2, v[25:26]
	v_add_co_ci_u32_e32 v32, vcc_lo, s19, v21, vcc_lo
	v_add_co_u32 v33, vcc_lo, s7, v22
	v_add_co_ci_u32_e32 v34, vcc_lo, s19, v23, vcc_lo
	s_delay_alu instid0(VALU_DEP_4)
	v_add_co_u32 v35, vcc_lo, s7, v24
	v_add_co_ci_u32_e32 v36, vcc_lo, s19, v25, vcc_lo
	s_clause 0x3
	global_load_b32 v29, v[29:30], off
	global_load_b32 v30, v[31:32], off
	;; [unrolled: 1-line block ×4, first 2 shown]
	v_mbcnt_lo_u32_b32 v33, -1, 0
	s_add_u32 s7, s8, s20
	s_addc_u32 s8, s9, s21
	s_add_u32 s7, s7, s10
	s_addc_u32 s8, s8, s11
	v_xor_b32_e32 v1, 16, v33
	s_delay_alu instid0(VALU_DEP_1)
	v_cmp_gt_i32_e32 vcc_lo, 32, v1
	v_cndmask_b32_e32 v1, v33, v1, vcc_lo
	v_add_co_u32 v26, vcc_lo, s7, v27
	v_add_co_ci_u32_e32 v27, vcc_lo, s8, v28, vcc_lo
	v_add_co_u32 v2, vcc_lo, s7, v2
	v_add_co_ci_u32_e32 v3, vcc_lo, s8, v3, vcc_lo
	;; [unrolled: 2-line block ×10, first 2 shown]
	s_clause 0x9
	global_load_b32 v26, v[26:27], off
	global_load_b32 v27, v[2:3], off
	;; [unrolled: 1-line block ×10, first 2 shown]
	v_xor_b32_e32 v14, 4, v33
	v_lshlrev_b32_e32 v1, 2, v1
	v_xor_b32_e32 v5, 8, v33
	v_xor_b32_e32 v16, 1, v33
	s_delay_alu instid0(VALU_DEP_2) | instskip(SKIP_1) | instid1(VALU_DEP_1)
	v_cmp_gt_i32_e32 vcc_lo, 32, v5
	v_cndmask_b32_e32 v5, v33, v5, vcc_lo
	v_lshlrev_b32_e32 v6, 2, v5
	s_waitcnt vmcnt(20)
	v_max3_f32 v28, v47, v48, v49
	s_waitcnt vmcnt(18)
	s_delay_alu instid0(VALU_DEP_1) | instskip(SKIP_1) | instid1(VALU_DEP_1)
	v_max3_f32 v28, v28, v50, v37
	s_waitcnt vmcnt(16)
	v_max3_f32 v28, v28, v38, v39
	s_waitcnt vmcnt(14)
	s_delay_alu instid0(VALU_DEP_1) | instskip(SKIP_1) | instid1(VALU_DEP_1)
	v_max3_f32 v28, v28, v40, v41
	s_waitcnt vmcnt(12)
	v_max3_f32 v28, v28, v29, v30
	s_waitcnt vmcnt(10)
	s_delay_alu instid0(VALU_DEP_1) | instskip(SKIP_3) | instid1(VALU_DEP_1)
	v_max3_f32 v28, v28, v31, v32
	ds_bpermute_b32 v34, v1, v28
	s_waitcnt lgkmcnt(0)
	v_max_f32_e32 v7, v34, v34
	v_max_f32_e32 v12, v28, v7
	v_add_co_u32 v7, vcc_lo, s7, v20
	v_add_co_ci_u32_e32 v8, vcc_lo, s8, v21, vcc_lo
	ds_bpermute_b32 v13, v6, v12
	v_cmp_gt_i32_e32 vcc_lo, 32, v14
	global_load_b32 v5, v[7:8], off
	v_cndmask_b32_e32 v14, v33, v14, vcc_lo
	v_add_co_u32 v7, vcc_lo, s7, v22
	v_add_co_ci_u32_e32 v8, vcc_lo, s8, v23, vcc_lo
	s_delay_alu instid0(VALU_DEP_3)
	v_lshlrev_b32_e32 v14, 2, v14
	global_load_b32 v15, v[7:8], off
	v_add_co_u32 v7, vcc_lo, s7, v24
	v_add_co_ci_u32_e32 v8, vcc_lo, s8, v25, vcc_lo
	s_mov_b32 s7, exec_lo
	s_waitcnt lgkmcnt(0)
	v_max_f32_e32 v13, v13, v13
	global_load_b32 v7, v[7:8], off
	v_xor_b32_e32 v8, 2, v33
	v_max_f32_e32 v12, v12, v13
	s_delay_alu instid0(VALU_DEP_2) | instskip(SKIP_3) | instid1(VALU_DEP_2)
	v_cmp_gt_i32_e32 vcc_lo, 32, v8
	ds_bpermute_b32 v13, v14, v12
	v_cndmask_b32_e32 v8, v33, v8, vcc_lo
	v_cmp_gt_i32_e32 vcc_lo, 32, v16
	v_lshlrev_b32_e32 v8, 2, v8
	v_cndmask_b32_e32 v16, v33, v16, vcc_lo
	s_waitcnt lgkmcnt(0)
	s_delay_alu instid0(VALU_DEP_1) | instskip(NEXT) | instid1(VALU_DEP_1)
	v_dual_max_f32 v13, v13, v13 :: v_dual_lshlrev_b32 v16, 2, v16
	v_max_f32_e32 v12, v12, v13
	ds_bpermute_b32 v13, v8, v12
	s_waitcnt lgkmcnt(0)
	v_max_f32_e32 v13, v13, v13
	s_delay_alu instid0(VALU_DEP_1) | instskip(SKIP_3) | instid1(VALU_DEP_1)
	v_max_f32_e32 v12, v12, v13
	ds_bpermute_b32 v13, v16, v12
	s_waitcnt lgkmcnt(0)
	v_max_f32_e32 v13, v13, v13
	v_max_f32_e32 v12, v12, v13
	v_sub_nc_u32_e32 v13, s40, v0
	s_delay_alu instid0(VALU_DEP_2) | instskip(SKIP_3) | instid1(VALU_DEP_4)
	v_sub_f32_e32 v20, v50, v12
	v_sub_f32_e32 v22, v38, v12
	;; [unrolled: 1-line block ×4, first 2 shown]
	v_mul_f32_e32 v34, 0x3fb8aa3b, v20
	s_delay_alu instid0(VALU_DEP_4) | instskip(NEXT) | instid1(VALU_DEP_4)
	v_mul_f32_e32 v38, 0x3fb8aa3b, v22
	v_mul_f32_e32 v40, 0x3fb8aa3b, v24
	s_delay_alu instid0(VALU_DEP_3) | instskip(SKIP_1) | instid1(VALU_DEP_4)
	v_fma_f32 v51, 0x3fb8aa3b, v20, -v34
	v_rndne_f32_e32 v52, v34
	v_fma_f32 v55, 0x3fb8aa3b, v22, -v38
	v_rndne_f32_e32 v56, v38
	v_fma_f32 v59, 0x3fb8aa3b, v24, -v40
	v_fmac_f32_e32 v51, 0x32a5705f, v20
	v_sub_f32_e32 v34, v34, v52
	v_sub_f32_e32 v19, v49, v12
	v_cvt_i32_f32_e32 v52, v52
	v_dual_fmac_f32 v55, 0x32a5705f, v22 :: v_dual_sub_f32 v38, v38, v56
	s_delay_alu instid0(VALU_DEP_4) | instskip(NEXT) | instid1(VALU_DEP_4)
	v_add_f32_e32 v34, v34, v51
	v_dual_sub_f32 v28, v29, v12 :: v_dual_mul_f32 v33, 0x3fb8aa3b, v19
	s_delay_alu instid0(VALU_DEP_3) | instskip(NEXT) | instid1(VALU_DEP_3)
	v_dual_sub_f32 v21, v37, v12 :: v_dual_add_f32 v38, v38, v55
	v_exp_f32_e32 v34, v34
	v_rndne_f32_e32 v60, v40
	v_fmac_f32_e32 v59, 0x32a5705f, v24
	s_delay_alu instid0(VALU_DEP_3)
	v_mul_f32_e32 v37, 0x3fb8aa3b, v21
	v_fma_f32 v49, 0x3fb8aa3b, v19, -v33
	v_rndne_f32_e32 v50, v33
	v_sub_f32_e32 v40, v40, v60
	v_sub_f32_e32 v23, v39, v12
	v_mul_f32_e32 v42, 0x3fb8aa3b, v28
	v_cvt_i32_f32_e32 v60, v60
	v_ldexp_f32 v34, v34, v52
	v_dual_add_f32 v40, v40, v59 :: v_dual_sub_f32 v29, v30, v12
	v_sub_f32_e32 v30, v31, v12
	v_sub_f32_e32 v17, v47, v12
	v_mul_f32_e32 v39, 0x3fb8aa3b, v23
	v_fma_f32 v63, 0x3fb8aa3b, v28, -v42
	v_rndne_f32_e32 v64, v42
	s_delay_alu instid0(VALU_DEP_4) | instskip(SKIP_1) | instid1(VALU_DEP_4)
	v_dual_mul_f32 v44, 0x3fb8aa3b, v30 :: v_dual_mul_f32 v31, 0x3fb8aa3b, v17
	v_fmac_f32_e32 v49, 0x32a5705f, v19
	v_fmac_f32_e32 v63, 0x32a5705f, v28
	s_delay_alu instid0(VALU_DEP_4)
	v_sub_f32_e32 v42, v42, v64
	v_sub_f32_e32 v25, v41, v12
	v_fma_f32 v45, 0x3fb8aa3b, v17, -v31
	v_rndne_f32_e32 v46, v31
	v_sub_f32_e32 v12, v32, v12
	v_add_f32_e32 v42, v42, v63
	v_mul_f32_e32 v32, 0x3fb8aa3b, v18
	v_fmac_f32_e32 v45, 0x32a5705f, v17
	v_sub_f32_e32 v31, v31, v46
	v_cvt_i32_f32_e32 v46, v46
	v_cmp_ngt_f32_e32 vcc_lo, 0xc2ce8ed0, v17
	v_fma_f32 v47, 0x3fb8aa3b, v18, -v32
	v_rndne_f32_e32 v48, v32
	v_add_f32_e32 v31, v31, v45
	v_mul_f32_e32 v41, 0x3fb8aa3b, v25
	v_exp_f32_e32 v40, v40
	v_fma_f32 v53, 0x3fb8aa3b, v21, -v37
	v_sub_f32_e32 v32, v32, v48
	v_exp_f32_e32 v31, v31
	v_cvt_i32_f32_e32 v48, v48
	v_rndne_f32_e32 v54, v37
	v_fmac_f32_e32 v53, 0x32a5705f, v21
	v_fma_f32 v57, 0x3fb8aa3b, v23, -v39
	v_rndne_f32_e32 v58, v39
	v_fma_f32 v61, 0x3fb8aa3b, v25, -v41
	v_ldexp_f32 v40, v40, v60
	v_sub_f32_e32 v33, v33, v50
	v_cvt_i32_f32_e32 v50, v50
	v_ldexp_f32 v31, v31, v46
	v_fmac_f32_e32 v57, 0x32a5705f, v23
	v_sub_f32_e32 v39, v39, v58
	v_add_f32_e32 v33, v33, v49
	v_rndne_f32_e32 v62, v41
	v_cndmask_b32_e32 v31, 0, v31, vcc_lo
	v_cmp_ngt_f32_e32 vcc_lo, 0xc2ce8ed0, v18
	v_fmac_f32_e32 v47, 0x32a5705f, v18
	v_exp_f32_e32 v33, v33
	v_add_f32_e32 v39, v39, v57
	v_exp_f32_e32 v38, v38
	v_cvt_i32_f32_e32 v56, v56
	v_dual_add_f32 v32, v32, v47 :: v_dual_fmac_f32 v61, 0x32a5705f, v25
	v_sub_f32_e32 v41, v41, v62
	v_exp_f32_e32 v39, v39
	v_cvt_i32_f32_e32 v58, v58
	s_delay_alu instid0(VALU_DEP_3) | instskip(SKIP_2) | instid1(TRANS32_DEP_3)
	v_exp_f32_e32 v32, v32
	v_ldexp_f32 v33, v33, v50
	v_add_f32_e32 v41, v41, v61
	v_ldexp_f32 v38, v38, v56
	v_cvt_i32_f32_e32 v62, v62
	v_exp_f32_e32 v42, v42
	v_cvt_i32_f32_e32 v64, v64
	v_exp_f32_e32 v41, v41
	v_ldexp_f32 v39, v39, v58
	v_fma_f32 v67, 0x3fb8aa3b, v30, -v44
	v_ldexp_f32 v32, v32, v48
	s_delay_alu instid0(VALU_DEP_1) | instskip(SKIP_3) | instid1(TRANS32_DEP_1)
	v_dual_fmac_f32 v67, 0x32a5705f, v30 :: v_dual_cndmask_b32 v32, 0, v32
	v_sub_f32_e32 v37, v37, v54
	v_cmp_ngt_f32_e32 vcc_lo, 0xc2ce8ed0, v19
	v_cvt_i32_f32_e32 v54, v54
	v_ldexp_f32 v41, v41, v62
	v_ldexp_f32 v42, v42, v64
	v_add_f32_e32 v37, v37, v53
	v_cndmask_b32_e32 v33, 0, v33, vcc_lo
	v_cmp_ngt_f32_e32 vcc_lo, 0xc2ce8ed0, v20
	s_delay_alu instid0(VALU_DEP_3) | instskip(SKIP_4) | instid1(VALU_DEP_1)
	v_exp_f32_e32 v37, v37
	v_cndmask_b32_e32 v34, 0, v34, vcc_lo
	v_cmp_ngt_f32_e32 vcc_lo, 0xc2ce8ed0, v21
	s_waitcnt_depctr 0xfff
	v_ldexp_f32 v37, v37, v54
	v_cndmask_b32_e32 v37, 0, v37, vcc_lo
	v_cmp_ngt_f32_e32 vcc_lo, 0xc2ce8ed0, v22
	v_dual_mul_f32 v43, 0x3fb8aa3b, v29 :: v_dual_cndmask_b32 v38, 0, v38
	v_cmp_ngt_f32_e32 vcc_lo, 0xc2ce8ed0, v23
	s_delay_alu instid0(VALU_DEP_2)
	v_fma_f32 v65, 0x3fb8aa3b, v29, -v43
	v_rndne_f32_e32 v66, v43
	v_cndmask_b32_e32 v39, 0, v39, vcc_lo
	v_cmp_ngt_f32_e32 vcc_lo, 0xc2ce8ed0, v24
	v_cndmask_b32_e32 v40, 0, v40, vcc_lo
	v_cmp_ngt_f32_e32 vcc_lo, 0xc2ce8ed0, v25
	;; [unrolled: 2-line block ×3, first 2 shown]
	v_cndmask_b32_e32 v42, 0, v42, vcc_lo
	v_cmp_nlt_f32_e32 vcc_lo, 0x42b17218, v17
	v_cndmask_b32_e32 v17, 0x7f800000, v31, vcc_lo
	v_cmp_nlt_f32_e32 vcc_lo, 0x42b17218, v18
	;; [unrolled: 2-line block ×10, first 2 shown]
	v_cndmask_b32_e32 v28, 0x7f800000, v42, vcc_lo
	v_cmp_lt_i32_e32 vcc_lo, 0, v13
	v_cndmask_b32_e32 v17, 0, v17, vcc_lo
	v_cmp_lt_i32_e32 vcc_lo, 32, v13
	s_waitcnt vmcnt(12)
	s_delay_alu instid0(VALU_DEP_2) | instskip(SKIP_3) | instid1(VALU_DEP_3)
	v_dual_mul_f32 v17, v26, v17 :: v_dual_cndmask_b32 v18, 0, v18
	v_cmp_lt_i32_e32 vcc_lo, 64, v13
	v_cvt_i32_f32_e32 v26, v66
	s_waitcnt vmcnt(11)
	v_dual_mul_f32 v18, v27, v18 :: v_dual_cndmask_b32 v19, 0, v19
	v_cmp_lt_i32_e32 vcc_lo, 0x60, v13
	v_cndmask_b32_e32 v20, 0, v20, vcc_lo
	v_cmp_lt_i32_e32 vcc_lo, 0x80, v13
	s_waitcnt vmcnt(9)
	s_delay_alu instid0(VALU_DEP_2) | instskip(SKIP_3) | instid1(VALU_DEP_2)
	v_dual_fmac_f32 v65, 0x32a5705f, v29 :: v_dual_mul_f32 v20, v36, v20
	v_cndmask_b32_e32 v21, 0, v21, vcc_lo
	v_cmp_lt_i32_e32 vcc_lo, 0xa0, v13
	s_waitcnt vmcnt(8)
	v_dual_mul_f32 v9, v9, v21 :: v_dual_cndmask_b32 v22, 0, v22
	v_cmp_lt_i32_e32 vcc_lo, 0xc0, v13
	v_rndne_f32_e32 v21, v44
	s_waitcnt vmcnt(7)
	s_delay_alu instid0(VALU_DEP_3) | instskip(SKIP_2) | instid1(VALU_DEP_2)
	v_dual_mul_f32 v10, v10, v22 :: v_dual_cndmask_b32 v23, 0, v23
	v_cmp_lt_i32_e32 vcc_lo, 0xe0, v13
	s_waitcnt vmcnt(6)
	v_dual_mul_f32 v11, v11, v23 :: v_dual_cndmask_b32 v24, 0, v24
	v_sub_f32_e32 v43, v43, v66
	v_cmp_lt_i32_e32 vcc_lo, 0x100, v13
	v_mul_f32_e32 v23, 0x3fb8aa3b, v12
	s_waitcnt vmcnt(5)
	s_delay_alu instid0(VALU_DEP_3) | instskip(SKIP_3) | instid1(VALU_DEP_4)
	v_dual_mul_f32 v2, v2, v24 :: v_dual_add_f32 v43, v43, v65
	v_dual_add_f32 v24, v17, v18 :: v_dual_cndmask_b32 v25, 0, v25
	v_cmp_lt_i32_e32 vcc_lo, 0x120, v13
	v_fma_f32 v27, 0x3fb8aa3b, v12, -v23
	v_exp_f32_e32 v22, v43
	s_waitcnt vmcnt(4)
	v_dual_mul_f32 v3, v3, v25 :: v_dual_cndmask_b32 v28, 0, v28
	v_sub_f32_e32 v25, v44, v21
	v_cmp_ngt_f32_e32 vcc_lo, 0xc2ce8ed0, v29
	v_fmac_f32_e32 v27, 0x32a5705f, v12
	v_cvt_i32_f32_e32 v21, v21
	s_waitcnt vmcnt(3)
	v_mul_f32_e32 v4, v4, v28
	v_rndne_f32_e32 v28, v23
	v_add_f32_e32 v25, v25, v67
	v_ldexp_f32 v22, v22, v26
	s_delay_alu instid0(VALU_DEP_3) | instskip(NEXT) | instid1(VALU_DEP_3)
	v_sub_f32_e32 v23, v23, v28
	v_exp_f32_e32 v25, v25
	s_delay_alu instid0(VALU_DEP_2) | instskip(SKIP_1) | instid1(VALU_DEP_2)
	v_cndmask_b32_e32 v22, 0, v22, vcc_lo
	v_cmp_nlt_f32_e32 vcc_lo, 0x42b17218, v29
	v_dual_add_f32 v23, v23, v27 :: v_dual_cndmask_b32 v22, 0x7f800000, v22
	v_cmp_lt_i32_e32 vcc_lo, 0x140, v13
	s_delay_alu instid0(VALU_DEP_2)
	v_exp_f32_e32 v23, v23
	s_waitcnt_depctr 0xfff
	v_ldexp_f32 v21, v25, v21
	v_cvt_i32_f32_e32 v25, v28
	v_cndmask_b32_e32 v22, 0, v22, vcc_lo
	v_cmp_ngt_f32_e32 vcc_lo, 0xc2ce8ed0, v30
	s_waitcnt vmcnt(2)
	s_delay_alu instid0(VALU_DEP_2) | instskip(SKIP_3) | instid1(VALU_DEP_3)
	v_mul_f32_e32 v5, v5, v22
	v_cndmask_b32_e32 v21, 0, v21, vcc_lo
	v_cmp_nlt_f32_e32 vcc_lo, 0x42b17218, v30
	v_ldexp_f32 v22, v23, v25
	v_cndmask_b32_e32 v21, 0x7f800000, v21, vcc_lo
	v_cmp_ngt_f32_e32 vcc_lo, 0xc2ce8ed0, v12
	s_delay_alu instid0(VALU_DEP_3) | instskip(SKIP_1) | instid1(VALU_DEP_4)
	v_cndmask_b32_e32 v22, 0, v22, vcc_lo
	v_cmp_lt_i32_e32 vcc_lo, 0x160, v13
	v_cndmask_b32_e32 v21, 0, v21, vcc_lo
	v_cmp_nlt_f32_e32 vcc_lo, 0x42b17218, v12
	v_mul_f32_e32 v19, v35, v19
	s_waitcnt vmcnt(1)
	s_delay_alu instid0(VALU_DEP_3) | instskip(NEXT) | instid1(VALU_DEP_2)
	v_dual_mul_f32 v15, v15, v21 :: v_dual_cndmask_b32 v12, 0x7f800000, v22
	v_add_f32_e32 v24, v24, v19
	v_cmp_lt_i32_e32 vcc_lo, 0x180, v13
	s_delay_alu instid0(VALU_DEP_2) | instskip(NEXT) | instid1(VALU_DEP_4)
	v_add_f32_e32 v24, v24, v20
	v_cndmask_b32_e32 v12, 0, v12, vcc_lo
	s_waitcnt vmcnt(0)
	s_delay_alu instid0(VALU_DEP_1) | instskip(NEXT) | instid1(VALU_DEP_1)
	v_dual_add_f32 v24, v24, v9 :: v_dual_mul_f32 v7, v7, v12
	v_add_f32_e32 v24, v24, v10
	s_delay_alu instid0(VALU_DEP_1) | instskip(NEXT) | instid1(VALU_DEP_1)
	v_add_f32_e32 v24, v24, v11
	v_add_f32_e32 v23, v24, v2
	s_delay_alu instid0(VALU_DEP_1) | instskip(NEXT) | instid1(VALU_DEP_1)
	v_add_f32_e32 v23, v23, v3
	;; [unrolled: 3-line block ×3, first 2 shown]
	v_add_f32_e32 v12, v13, v15
	s_delay_alu instid0(VALU_DEP_1)
	v_add_f32_e32 v12, v12, v7
	ds_bpermute_b32 v1, v1, v12
	s_waitcnt lgkmcnt(0)
	v_add_f32_e32 v1, v12, v1
	ds_bpermute_b32 v6, v6, v1
	s_waitcnt lgkmcnt(0)
	;; [unrolled: 3-line block ×3, first 2 shown]
	v_add_f32_e32 v1, v1, v6
	ds_bpermute_b32 v6, v8, v1
	v_lshlrev_b32_e32 v8, 2, v0
	s_delay_alu instid0(VALU_DEP_1)
	v_add_nc_u32_e32 v12, 0x400, v8
	ds_store_2addr_b32 v8, v17, v18 offset1:32
	ds_store_2addr_b32 v8, v19, v20 offset0:64 offset1:96
	ds_store_2addr_b32 v8, v9, v10 offset0:128 offset1:160
	;; [unrolled: 1-line block ×3, first 2 shown]
	ds_store_2addr_b32 v12, v3, v4 offset1:32
	ds_store_2addr_b32 v12, v5, v15 offset0:64 offset1:96
	ds_store_b32 v8, v7 offset:1536
	s_waitcnt lgkmcnt(7)
	v_add_f32_e32 v1, v1, v6
	ds_bpermute_b32 v6, v16, v1
	v_cmpx_eq_u32_e32 0, v0
	s_cbranch_execz .LBB474_8
; %bb.7:
	s_waitcnt lgkmcnt(0)
	v_dual_add_f32 v1, v1, v6 :: v_dual_mov_b32 v2, 0
	ds_store_b32 v2, v1 offset:1664
.LBB474_8:
	s_or_b32 exec_lo, exec_lo, s7
	v_mov_b32_e32 v1, s6
.LBB474_9:
	s_or_b32 exec_lo, exec_lo, s24
	s_lshl_b32 s6, s18, 6
	s_mov_b32 s7, 0
	s_delay_alu instid0(VALU_DEP_1)
	v_dual_mov_b32 v2, 0 :: v_dual_lshlrev_b32 v1, 6, v1
	s_lshl_b64 s[6:7], s[6:7], 1
	v_lshlrev_b32_e32 v0, 1, v0
	s_add_u32 s34, s4, s6
	s_addc_u32 s35, s5, s7
	s_lshl_b32 s41, s40, 6
	v_lshlrev_b64 v[3:4], 1, v[1:2]
	s_sub_i32 s42, s41, 64
	s_cmpk_lt_i32 s22, 0x100
	v_dual_mov_b32 v30, 0 :: v_dual_mov_b32 v33, 0
	s_cselect_b32 s4, s42, 0
	s_delay_alu instid0(VALU_DEP_2)
	v_add_co_u32 v1, vcc_lo, s34, v3
	s_ashr_i32 s5, s4, 31
	v_add_co_ci_u32_e32 v3, vcc_lo, s35, v4, vcc_lo
	s_lshl_b64 s[4:5], s[4:5], 1
	s_cmpk_lt_i32 s22, 0x200
	v_add_co_u32 v1, vcc_lo, v1, v0
	s_cselect_b32 s6, s42, 64
	v_add_co_ci_u32_e32 v3, vcc_lo, 0, v3, vcc_lo
	s_ashr_i32 s7, s6, 31
	s_delay_alu instid0(VALU_DEP_2)
	v_add_co_u32 v4, vcc_lo, v1, s4
	s_lshl_b64 s[6:7], s[6:7], 1
	s_cmpk_lt_i32 s22, 0x300
	v_add_co_ci_u32_e32 v5, vcc_lo, s5, v3, vcc_lo
	s_cselect_b32 s8, s42, 0x80
	s_waitcnt lgkmcnt(0)
	v_add_co_u32 v6, vcc_lo, v1, s6
	s_ashr_i32 s9, s8, 31
	v_add_co_ci_u32_e32 v7, vcc_lo, s7, v3, vcc_lo
	s_lshl_b64 s[8:9], s[8:9], 1
	s_cmpk_lt_i32 s22, 0x400
	v_add_co_u32 v8, vcc_lo, v1, s8
	s_cselect_b32 s10, s42, 0xc0
	v_add_co_ci_u32_e32 v9, vcc_lo, s9, v3, vcc_lo
	s_ashr_i32 s11, s10, 31
	v_dual_mov_b32 v32, 0 :: v_dual_mov_b32 v35, 0
	s_lshl_b64 s[10:11], s[10:11], 1
	s_cmpk_lt_i32 s22, 0x500
	v_add_co_u32 v11, vcc_lo, v1, s10
	s_cselect_b32 s18, s42, 0x100
	v_add_co_ci_u32_e32 v12, vcc_lo, s11, v3, vcc_lo
	s_ashr_i32 s19, s18, 31
	v_mov_b32_e32 v34, 0
	s_lshl_b64 s[18:19], s[18:19], 1
	s_cmpk_lt_i32 s22, 0x600
	v_add_co_u32 v14, vcc_lo, v1, s18
	s_cselect_b32 s20, s42, 0x140
	v_add_co_ci_u32_e32 v15, vcc_lo, s19, v3, vcc_lo
	s_ashr_i32 s21, s20, 31
	v_mov_b32_e32 v31, 0
	s_lshl_b64 s[20:21], s[20:21], 1
	s_cmpk_lt_i32 s22, 0x700
	v_add_co_u32 v16, vcc_lo, v1, s20
	s_cselect_b32 s24, s42, 0x180
	v_add_co_ci_u32_e32 v17, vcc_lo, s21, v3, vcc_lo
	s_ashr_i32 s25, s24, 31
	s_delay_alu instid0(SALU_CYCLE_1)
	s_lshl_b64 s[24:25], s[24:25], 1
	s_cmpk_lt_i32 s22, 0x800
	v_add_co_u32 v18, vcc_lo, v1, s24
	s_cselect_b32 s26, s42, 0x1c0
	v_add_co_ci_u32_e32 v19, vcc_lo, s25, v3, vcc_lo
	s_ashr_i32 s27, s26, 31
	s_delay_alu instid0(SALU_CYCLE_1)
	s_lshl_b64 s[26:27], s[26:27], 1
	s_cmpk_lt_i32 s22, 0x900
	v_add_co_u32 v20, vcc_lo, v1, s26
	s_cselect_b32 s28, s42, 0x200
	v_add_co_ci_u32_e32 v21, vcc_lo, s27, v3, vcc_lo
	s_ashr_i32 s29, s28, 31
	s_clause 0x7
	global_load_u16 v13, v[4:5], off
	global_load_u16 v4, v[6:7], off
	;; [unrolled: 1-line block ×8, first 2 shown]
	s_lshl_b64 s[28:29], s[28:29], 1
	s_cmpk_lt_i32 s22, 0xa00
	v_add_co_u32 v11, vcc_lo, v1, s28
	s_cselect_b32 s30, s42, 0x240
	v_add_co_ci_u32_e32 v12, vcc_lo, s29, v3, vcc_lo
	s_ashr_i32 s31, s30, 31
	s_delay_alu instid0(SALU_CYCLE_1)
	s_lshl_b64 s[30:31], s[30:31], 1
	s_cmpk_lt_i32 s22, 0xb00
	v_add_co_u32 v14, vcc_lo, v1, s30
	s_cselect_b32 s34, s42, 0x280
	v_add_co_ci_u32_e32 v15, vcc_lo, s31, v3, vcc_lo
	s_ashr_i32 s35, s34, 31
	s_delay_alu instid0(SALU_CYCLE_1)
	;; [unrolled: 7-line block ×7, first 2 shown]
	s_lshl_b64 s[4:5], s[6:7], 1
	s_cmpk_gt_i32 s23, 0x1000
	v_add_co_u32 v28, vcc_lo, v1, s4
	v_add_co_ci_u32_e32 v29, vcc_lo, s5, v3, vcc_lo
	s_clause 0x7
	global_load_u16 v19, v[11:12], off
	global_load_u16 v18, v[14:15], off
	global_load_u16 v17, v[16:17], off
	global_load_u16 v16, v[20:21], off
	global_load_u16 v15, v[22:23], off
	global_load_u16 v14, v[24:25], off
	global_load_u16 v12, v[26:27], off
	global_load_u16 v11, v[28:29], off
	v_dual_mov_b32 v20, 0 :: v_dual_mov_b32 v23, 0
	v_dual_mov_b32 v21, 0 :: v_dual_mov_b32 v22, 0
	;; [unrolled: 1-line block ×5, first 2 shown]
	s_cselect_b32 s6, -1, 0
	s_cmpk_lt_i32 s23, 0x1001
	s_waitcnt vmcnt(0)
	s_barrier
	buffer_gl0_inv
	s_cbranch_scc1 .LBB474_11
; %bb.10:
	s_cmpk_lt_i32 s22, 0x1100
	s_cselect_b32 s4, s42, 0x400
	s_delay_alu instid0(SALU_CYCLE_1) | instskip(NEXT) | instid1(SALU_CYCLE_1)
	s_ashr_i32 s5, s4, 31
	s_lshl_b64 s[4:5], s[4:5], 1
	s_cmpk_lt_i32 s22, 0x1200
	v_add_co_u32 v20, vcc_lo, v1, s4
	s_cselect_b32 s8, s42, 0x440
	v_add_co_ci_u32_e32 v21, vcc_lo, s5, v3, vcc_lo
	s_ashr_i32 s9, s8, 31
	s_delay_alu instid0(SALU_CYCLE_1)
	s_lshl_b64 s[8:9], s[8:9], 1
	s_cmpk_lt_i32 s22, 0x1300
	v_add_co_u32 v22, vcc_lo, v1, s8
	s_cselect_b32 s10, s42, 0x480
	v_add_co_ci_u32_e32 v23, vcc_lo, s9, v3, vcc_lo
	s_ashr_i32 s11, s10, 31
	s_delay_alu instid0(SALU_CYCLE_1)
	;; [unrolled: 7-line block ×14, first 2 shown]
	s_lshl_b64 s[4:5], s[18:19], 1
	s_cmpk_lt_i32 s22, 0x2000
	v_add_co_u32 v48, vcc_lo, v1, s4
	s_cselect_b32 s8, s42, 0x7c0
	v_add_co_ci_u32_e32 v49, vcc_lo, s5, v3, vcc_lo
	s_ashr_i32 s9, s8, 31
	s_delay_alu instid0(SALU_CYCLE_1) | instskip(NEXT) | instid1(SALU_CYCLE_1)
	s_lshl_b64 s[4:5], s[8:9], 1
	v_add_co_u32 v50, vcc_lo, v1, s4
	v_add_co_ci_u32_e32 v51, vcc_lo, s5, v3, vcc_lo
	s_clause 0xf
	global_load_u16 v20, v[20:21], off
	global_load_u16 v21, v[22:23], off
	;; [unrolled: 1-line block ×16, first 2 shown]
	s_waitcnt vmcnt(15)
	v_lshlrev_b32_e32 v35, 16, v20
	s_waitcnt vmcnt(14)
	v_lshlrev_b32_e32 v34, 16, v21
	;; [unrolled: 2-line block ×16, first 2 shown]
.LBB474_11:
	ds_load_b128 v[36:39], v2
	ds_load_b128 v[40:43], v2 offset:16
	v_lshlrev_b32_e32 v44, 16, v4
	v_lshlrev_b32_e32 v13, 16, v13
	;; [unrolled: 1-line block ×5, first 2 shown]
	s_load_b64 s[0:1], s[0:1], 0x0
	s_and_b32 vcc_lo, exec_lo, s6
	v_lshlrev_b32_e32 v5, 16, v5
	s_waitcnt lgkmcnt(0)
	v_fma_f32 v4, v36, v13, 0
	s_delay_alu instid0(VALU_DEP_1) | instskip(NEXT) | instid1(VALU_DEP_1)
	v_dual_fmac_f32 v4, v37, v44 :: v_dual_lshlrev_b32 v13, 16, v7
	v_dual_fmac_f32 v4, v38, v10 :: v_dual_lshlrev_b32 v9, 16, v9
	s_delay_alu instid0(VALU_DEP_1) | instskip(SKIP_4) | instid1(VALU_DEP_1)
	v_fmac_f32_e32 v4, v39, v9
	ds_load_b128 v[36:39], v2 offset:48
	v_fmac_f32_e32 v4, v40, v8
	ds_load_b128 v[7:10], v2 offset:32
	v_fmac_f32_e32 v4, v41, v13
	v_fmac_f32_e32 v4, v42, v6
	v_lshlrev_b32_e32 v6, 16, v19
	s_delay_alu instid0(VALU_DEP_2) | instskip(SKIP_1) | instid1(VALU_DEP_1)
	v_dual_fmac_f32 v4, v43, v5 :: v_dual_lshlrev_b32 v5, 16, v18
	s_waitcnt lgkmcnt(0)
	v_fmac_f32_e32 v4, v7, v6
	v_lshlrev_b32_e32 v6, 16, v17
	s_delay_alu instid0(VALU_DEP_2) | instskip(NEXT) | instid1(VALU_DEP_1)
	v_dual_fmac_f32 v4, v8, v5 :: v_dual_lshlrev_b32 v5, 16, v16
	v_fmac_f32_e32 v4, v9, v6
	v_lshlrev_b32_e32 v6, 16, v15
	s_delay_alu instid0(VALU_DEP_2) | instskip(NEXT) | instid1(VALU_DEP_1)
	v_dual_fmac_f32 v4, v10, v5 :: v_dual_lshlrev_b32 v5, 16, v14
	;; [unrolled: 4-line block ×3, first 2 shown]
	v_fmac_f32_e32 v4, v38, v6
	s_delay_alu instid0(VALU_DEP_1)
	v_fmac_f32_e32 v4, v39, v5
	s_cbranch_vccz .LBB474_13
; %bb.12:
	ds_load_b128 v[5:8], v2 offset:64
	ds_load_b128 v[9:12], v2 offset:80
	s_waitcnt lgkmcnt(1)
	v_fmac_f32_e32 v4, v5, v35
	s_delay_alu instid0(VALU_DEP_1) | instskip(NEXT) | instid1(VALU_DEP_1)
	v_fmac_f32_e32 v4, v6, v34
	v_fmac_f32_e32 v4, v7, v33
	s_delay_alu instid0(VALU_DEP_1) | instskip(SKIP_3) | instid1(VALU_DEP_1)
	v_fmac_f32_e32 v4, v8, v32
	ds_load_b128 v[5:8], v2 offset:96
	s_waitcnt lgkmcnt(1)
	v_fmac_f32_e32 v4, v9, v31
	v_fmac_f32_e32 v4, v10, v30
	s_delay_alu instid0(VALU_DEP_1) | instskip(NEXT) | instid1(VALU_DEP_1)
	v_fmac_f32_e32 v4, v11, v29
	v_fmac_f32_e32 v4, v12, v28
	ds_load_b128 v[9:12], v2 offset:112
	s_waitcnt lgkmcnt(1)
	v_fmac_f32_e32 v4, v5, v27
	s_delay_alu instid0(VALU_DEP_1) | instskip(NEXT) | instid1(VALU_DEP_1)
	v_fmac_f32_e32 v4, v6, v26
	v_fmac_f32_e32 v4, v7, v25
	s_delay_alu instid0(VALU_DEP_1) | instskip(SKIP_1) | instid1(VALU_DEP_1)
	v_fmac_f32_e32 v4, v8, v24
	s_waitcnt lgkmcnt(0)
	v_fmac_f32_e32 v4, v9, v23
	s_delay_alu instid0(VALU_DEP_1) | instskip(NEXT) | instid1(VALU_DEP_1)
	v_fmac_f32_e32 v4, v10, v22
	v_fmac_f32_e32 v4, v11, v21
	s_delay_alu instid0(VALU_DEP_1)
	v_fmac_f32_e32 v4, v12, v20
.LBB474_13:
	s_movk_i32 s43, 0xfc0
	s_movk_i32 s44, 0x80
	s_mov_b32 s45, 32
	s_branch .LBB474_15
.LBB474_14:                             ;   in Loop: Header=BB474_15 Depth=1
	s_addk_i32 s43, 0x800
	s_addk_i32 s44, 0x80
	s_add_i32 s45, s45, 32
	s_cmpk_eq_i32 s43, 0x6fc0
	s_cbranch_scc1 .LBB474_17
.LBB474_15:                             ; =>This Inner Loop Header: Depth=1
	s_cmp_le_i32 s40, s45
	s_cbranch_scc1 .LBB474_14
; %bb.16:                               ;   in Loop: Header=BB474_15 Depth=1
	s_add_i32 s4, s43, 0xfffff840
	v_mov_b32_e32 v44, s44
	s_cmp_lt_i32 s4, s41
	s_cselect_b32 s4, s4, s42
	s_add_i32 s6, s43, 0xfffff880
	s_ashr_i32 s5, s4, 31
	s_delay_alu instid0(SALU_CYCLE_1)
	s_lshl_b64 s[38:39], s[4:5], 1
	s_cmp_lt_i32 s6, s41
	v_add_co_u32 v5, vcc_lo, v1, s38
	s_cselect_b32 s4, s6, s42
	s_add_i32 s6, s43, 0xfffff8c0
	s_ashr_i32 s5, s4, 31
	v_add_co_ci_u32_e32 v6, vcc_lo, s39, v3, vcc_lo
	s_lshl_b64 s[4:5], s[4:5], 1
	s_cmp_lt_i32 s6, s41
	s_cselect_b32 s6, s6, s42
	s_add_i32 s8, s43, 0xfffff900
	s_ashr_i32 s7, s6, 31
	global_load_u16 v2, v[5:6], off
	s_lshl_b64 s[6:7], s[6:7], 1
	s_cmp_lt_i32 s8, s41
	v_add_co_u32 v5, vcc_lo, v1, s4
	s_cselect_b32 s8, s8, s42
	s_add_i32 s10, s43, 0xfffff940
	s_ashr_i32 s9, s8, 31
	v_add_co_ci_u32_e32 v6, vcc_lo, s5, v3, vcc_lo
	s_lshl_b64 s[8:9], s[8:9], 1
	s_cmp_lt_i32 s10, s41
	v_add_co_u32 v7, vcc_lo, v1, s6
	s_cselect_b32 s10, s10, s42
	s_add_i32 s18, s43, 0xfffff980
	s_ashr_i32 s11, s10, 31
	v_add_co_ci_u32_e32 v8, vcc_lo, s7, v3, vcc_lo
	s_lshl_b64 s[10:11], s[10:11], 1
	s_cmp_lt_i32 s18, s41
	v_add_co_u32 v9, vcc_lo, v1, s8
	s_cselect_b32 s18, s18, s42
	s_add_i32 s20, s43, 0xfffff9c0
	s_ashr_i32 s19, s18, 31
	s_clause 0x1
	global_load_u16 v23, v[5:6], off
	global_load_u16 v24, v[7:8], off
	s_lshl_b64 s[18:19], s[18:19], 1
	s_cmp_lt_i32 s20, s41
	v_add_co_ci_u32_e32 v10, vcc_lo, s9, v3, vcc_lo
	s_cselect_b32 s20, s20, s42
	s_add_i32 s22, s43, 0xfffffa00
	s_ashr_i32 s21, s20, 31
	global_load_u16 v25, v[9:10], off
	s_lshl_b64 s[20:21], s[20:21], 1
	s_cmp_lt_i32 s22, s41
	v_add_co_u32 v11, vcc_lo, v1, s10
	s_cselect_b32 s22, s22, s42
	s_add_i32 s24, s43, 0xfffffa40
	s_ashr_i32 s23, s22, 31
	v_add_co_ci_u32_e32 v12, vcc_lo, s11, v3, vcc_lo
	s_lshl_b64 s[22:23], s[22:23], 1
	s_cmp_lt_i32 s24, s41
	v_add_co_u32 v13, vcc_lo, v1, s18
	global_load_u16 v26, v[11:12], off
	s_cselect_b32 s24, s24, s42
	s_add_i32 s26, s43, 0xfffffa80
	s_ashr_i32 s25, s24, 31
	v_add_co_ci_u32_e32 v14, vcc_lo, s19, v3, vcc_lo
	s_lshl_b64 s[24:25], s[24:25], 1
	s_cmp_lt_i32 s26, s41
	v_add_co_u32 v15, vcc_lo, v1, s20
	global_load_u16 v27, v[13:14], off
	s_cselect_b32 s26, s26, s42
	s_add_i32 s28, s43, 0xfffffac0
	s_ashr_i32 s27, s26, 31
	v_add_co_ci_u32_e32 v16, vcc_lo, s21, v3, vcc_lo
	s_lshl_b64 s[36:37], s[26:27], 1
	s_cmp_lt_i32 s28, s41
	v_add_co_u32 v17, vcc_lo, v1, s22
	s_cselect_b32 s26, s28, s42
	s_add_i32 s30, s43, 0xfffffb00
	s_ashr_i32 s27, s26, 31
	v_add_co_ci_u32_e32 v18, vcc_lo, s23, v3, vcc_lo
	s_lshl_b64 s[28:29], s[26:27], 1
	s_cmp_lt_i32 s30, s41
	v_add_co_u32 v19, vcc_lo, v1, s24
	global_load_u16 v17, v[17:18], off
	s_cselect_b32 s26, s30, s42
	s_add_i32 s30, s43, 0xfffffb40
	s_ashr_i32 s27, s26, 31
	v_add_co_ci_u32_e32 v20, vcc_lo, s25, v3, vcc_lo
	s_lshl_b64 s[26:27], s[26:27], 1
	s_cmp_lt_i32 s30, s41
	v_add_co_u32 v21, vcc_lo, v1, s36
	s_cselect_b32 s30, s30, s42
	s_add_i32 s46, s43, 0xfffffb80
	s_ashr_i32 s31, s30, 31
	v_add_co_ci_u32_e32 v22, vcc_lo, s37, v3, vcc_lo
	s_lshl_b64 s[34:35], s[30:31], 1
	s_cmp_lt_i32 s46, s41
	v_add_co_u32 v5, vcc_lo, v1, s28
	;; [unrolled: 7-line block ×3, first 2 shown]
	s_cselect_b32 s46, s46, s42
	s_add_i32 s48, s43, 0xfffffc00
	s_ashr_i32 s47, s46, 31
	global_load_u16 v28, v[15:16], off
	s_lshl_b64 s[38:39], s[46:47], 1
	s_cmp_lt_i32 s48, s41
	v_add_co_ci_u32_e32 v8, vcc_lo, s27, v3, vcc_lo
	s_cselect_b32 s46, s48, s42
	v_add_co_u32 v9, vcc_lo, v1, s34
	s_ashr_i32 s47, s46, 31
	s_add_i32 s4, s43, 0xfffffc40
	s_lshl_b64 s[46:47], s[46:47], 1
	v_add_co_ci_u32_e32 v10, vcc_lo, s35, v3, vcc_lo
	s_cmp_lt_i32 s4, s41
	v_add_co_u32 v11, vcc_lo, v1, s30
	s_cselect_b32 s4, s4, s42
	v_add_co_ci_u32_e32 v12, vcc_lo, s31, v3, vcc_lo
	v_add_co_u32 v13, vcc_lo, v1, s38
	s_ashr_i32 s5, s4, 31
	s_add_i32 s6, s43, 0xfffffc80
	v_add_co_ci_u32_e32 v14, vcc_lo, s39, v3, vcc_lo
	global_load_u16 v18, v[19:20], off
	s_lshl_b64 s[8:9], s[4:5], 1
	s_cmp_lt_i32 s6, s41
	global_load_u16 v30, v[13:14], off
	s_cselect_b32 s4, s6, s42
	global_load_u16 v19, v[21:22], off
	s_ashr_i32 s5, s4, 31
	s_add_i32 s6, s43, 0xfffffcc0
	s_lshl_b64 s[10:11], s[4:5], 1
	s_cmp_lt_i32 s6, s41
	s_clause 0x3
	global_load_u16 v20, v[5:6], off
	global_load_u16 v21, v[7:8], off
	;; [unrolled: 1-line block ×4, first 2 shown]
	s_cselect_b32 s4, s6, s42
	s_add_i32 s6, s43, 0xfffffd00
	s_ashr_i32 s5, s4, 31
	v_add_co_u32 v15, vcc_lo, v1, s46
	s_lshl_b64 s[4:5], s[4:5], 1
	s_cmp_lt_i32 s6, s41
	v_add_co_ci_u32_e32 v16, vcc_lo, s47, v3, vcc_lo
	s_cselect_b32 s6, s6, s42
	s_add_i32 s18, s43, 0xfffffd40
	s_ashr_i32 s7, s6, 31
	v_add_co_u32 v5, vcc_lo, v1, s8
	s_lshl_b64 s[6:7], s[6:7], 1
	s_cmp_lt_i32 s18, s41
	v_add_co_ci_u32_e32 v6, vcc_lo, s9, v3, vcc_lo
	s_cselect_b32 s18, s18, s42
	v_add_co_u32 v7, vcc_lo, v1, s10
	s_ashr_i32 s19, s18, 31
	s_add_i32 s20, s43, 0xfffffd80
	s_lshl_b64 s[18:19], s[18:19], 1
	v_add_co_ci_u32_e32 v8, vcc_lo, s11, v3, vcc_lo
	s_cmp_lt_i32 s20, s41
	v_add_co_u32 v9, vcc_lo, v1, s4
	s_cselect_b32 s20, s20, s42
	v_add_co_ci_u32_e32 v10, vcc_lo, s5, v3, vcc_lo
	v_add_co_u32 v11, vcc_lo, v1, s6
	s_ashr_i32 s21, s20, 31
	s_add_i32 s22, s43, 0xfffffdc0
	v_add_co_ci_u32_e32 v12, vcc_lo, s7, v3, vcc_lo
	global_load_u16 v15, v[15:16], off
	s_lshl_b64 s[20:21], s[20:21], 1
	s_cmp_lt_i32 s22, s41
	global_load_u16 v33, v[11:12], off
	s_cselect_b32 s22, s22, s42
	s_clause 0x2
	global_load_u16 v16, v[5:6], off
	global_load_u16 v31, v[7:8], off
	;; [unrolled: 1-line block ×3, first 2 shown]
	s_ashr_i32 s23, s22, 31
	s_add_i32 s24, s43, 0xfffffe00
	s_lshl_b64 s[22:23], s[22:23], 1
	s_cmp_lt_i32 s24, s41
	v_add_co_u32 v13, vcc_lo, v1, s18
	s_cselect_b32 s24, s24, s42
	s_add_i32 s26, s43, 0xfffffe40
	s_ashr_i32 s25, s24, 31
	v_add_co_ci_u32_e32 v14, vcc_lo, s19, v3, vcc_lo
	s_lshl_b64 s[24:25], s[24:25], 1
	s_cmp_lt_i32 s26, s41
	v_add_co_u32 v5, vcc_lo, v1, s20
	s_cselect_b32 s8, s26, s42
	v_add_co_ci_u32_e32 v6, vcc_lo, s21, v3, vcc_lo
	s_ashr_i32 s9, s8, 31
	v_add_co_u32 v7, vcc_lo, v1, s22
	s_add_i32 s10, s43, 0xfffffe80
	s_lshl_b64 s[8:9], s[8:9], 1
	v_add_co_ci_u32_e32 v8, vcc_lo, s23, v3, vcc_lo
	s_cmp_lt_i32 s10, s41
	v_add_co_u32 v9, vcc_lo, v1, s24
	s_cselect_b32 s4, s10, s42
	global_load_u16 v13, v[13:14], off
	v_add_co_ci_u32_e32 v10, vcc_lo, s25, v3, vcc_lo
	s_ashr_i32 s5, s4, 31
	s_add_i32 s6, s43, 0xfffffec0
	s_lshl_b64 s[4:5], s[4:5], 1
	global_load_u16 v35, v[9:10], off
	s_cmp_lt_i32 s6, s41
	s_clause 0x1
	global_load_u16 v14, v[5:6], off
	global_load_u16 v34, v[7:8], off
	s_cselect_b32 s6, s6, s42
	s_add_i32 s10, s43, 0xffffff00
	s_ashr_i32 s7, s6, 31
	v_add_co_u32 v5, vcc_lo, v1, s8
	s_lshl_b64 s[6:7], s[6:7], 1
	s_cmp_lt_i32 s10, s41
	v_add_co_ci_u32_e32 v6, vcc_lo, s9, v3, vcc_lo
	s_cselect_b32 s10, s10, s42
	v_add_co_u32 v7, vcc_lo, v1, s4
	s_ashr_i32 s11, s10, 31
	v_add_co_ci_u32_e32 v8, vcc_lo, s5, v3, vcc_lo
	s_add_i32 s18, s43, 0xffffff40
	s_lshl_b64 s[10:11], s[10:11], 1
	s_cmp_lt_i32 s18, s41
	s_clause 0x1
	global_load_u16 v36, v[5:6], off
	global_load_u16 v37, v[7:8], off
	s_cselect_b32 s18, s18, s42
	v_add_co_u32 v5, vcc_lo, v1, s6
	s_ashr_i32 s19, s18, 31
	v_add_co_ci_u32_e32 v6, vcc_lo, s7, v3, vcc_lo
	s_add_i32 s20, s43, 0xffffff80
	v_add_co_u32 v7, vcc_lo, v1, s10
	s_lshl_b64 s[8:9], s[18:19], 1
	s_cmp_lt_i32 s20, s41
	v_add_co_ci_u32_e32 v8, vcc_lo, s11, v3, vcc_lo
	s_cselect_b32 s4, s20, s42
	global_load_u16 v38, v[5:6], off
	s_ashr_i32 s5, s4, 31
	global_load_u16 v39, v[7:8], off
	s_sub_i32 s18, s43, 64
	v_add_co_u32 v5, vcc_lo, v1, s8
	s_lshl_b64 s[4:5], s[4:5], 1
	s_cmp_lt_i32 s18, s41
	v_add_co_ci_u32_e32 v6, vcc_lo, s9, v3, vcc_lo
	v_add_co_u32 v7, vcc_lo, v1, s4
	s_cselect_b32 s6, s18, s42
	v_add_co_ci_u32_e32 v8, vcc_lo, s5, v3, vcc_lo
	s_ashr_i32 s7, s6, 31
	global_load_u16 v40, v[5:6], off
	s_lshl_b64 s[6:7], s[6:7], 1
	global_load_u16 v41, v[7:8], off
	s_cmp_lt_i32 s43, s41
	v_add_co_u32 v5, vcc_lo, v1, s6
	s_cselect_b32 s4, s43, s42
	v_add_co_ci_u32_e32 v6, vcc_lo, s7, v3, vcc_lo
	s_ashr_i32 s5, s4, 31
	s_delay_alu instid0(SALU_CYCLE_1)
	s_lshl_b64 s[4:5], s[4:5], 1
	global_load_u16 v42, v[5:6], off
	v_add_co_u32 v5, vcc_lo, v1, s4
	v_add_co_ci_u32_e32 v6, vcc_lo, s5, v3, vcc_lo
	global_load_u16 v43, v[5:6], off
	ds_load_b128 v[5:8], v44
	ds_load_b128 v[9:12], v44 offset:16
	s_waitcnt vmcnt(31)
	v_lshlrev_b32_e32 v2, 16, v2
	s_waitcnt lgkmcnt(1)
	s_delay_alu instid0(VALU_DEP_1) | instskip(SKIP_2) | instid1(VALU_DEP_1)
	v_fmac_f32_e32 v4, v5, v2
	s_waitcnt vmcnt(30)
	v_lshlrev_b32_e32 v2, 16, v23
	v_fmac_f32_e32 v4, v6, v2
	s_waitcnt vmcnt(29)
	v_lshlrev_b32_e32 v2, 16, v24
	s_delay_alu instid0(VALU_DEP_1) | instskip(SKIP_2) | instid1(VALU_DEP_1)
	v_fmac_f32_e32 v4, v7, v2
	s_waitcnt vmcnt(28)
	v_lshlrev_b32_e32 v2, 16, v25
	v_fmac_f32_e32 v4, v8, v2
	ds_load_b128 v[5:8], v44 offset:32
	s_waitcnt vmcnt(27)
	v_lshlrev_b32_e32 v2, 16, v26
	s_waitcnt lgkmcnt(1)
	s_delay_alu instid0(VALU_DEP_1) | instskip(SKIP_2) | instid1(VALU_DEP_1)
	v_fmac_f32_e32 v4, v9, v2
	s_waitcnt vmcnt(26)
	v_lshlrev_b32_e32 v2, 16, v27
	v_fmac_f32_e32 v4, v10, v2
	s_waitcnt vmcnt(24)
	v_lshlrev_b32_e32 v2, 16, v28
	s_delay_alu instid0(VALU_DEP_1) | instskip(SKIP_1) | instid1(VALU_DEP_1)
	v_fmac_f32_e32 v4, v11, v2
	v_lshlrev_b32_e32 v2, 16, v17
	v_fmac_f32_e32 v4, v12, v2
	ds_load_b128 v[9:12], v44 offset:48
	s_waitcnt vmcnt(23)
	v_lshlrev_b32_e32 v2, 16, v18
	s_waitcnt lgkmcnt(1)
	s_delay_alu instid0(VALU_DEP_1) | instskip(SKIP_2) | instid1(VALU_DEP_1)
	v_fmac_f32_e32 v4, v5, v2
	s_waitcnt vmcnt(21)
	v_lshlrev_b32_e32 v2, 16, v19
	v_fmac_f32_e32 v4, v6, v2
	s_waitcnt vmcnt(20)
	v_lshlrev_b32_e32 v2, 16, v20
	s_delay_alu instid0(VALU_DEP_1) | instskip(SKIP_2) | instid1(VALU_DEP_1)
	v_fmac_f32_e32 v4, v7, v2
	s_waitcnt vmcnt(19)
	v_lshlrev_b32_e32 v2, 16, v21
	v_fmac_f32_e32 v4, v8, v2
	s_waitcnt vmcnt(18)
	v_lshlrev_b32_e32 v2, 16, v22
	ds_load_b128 v[5:8], v44 offset:64
	s_waitcnt lgkmcnt(1)
	v_fmac_f32_e32 v4, v9, v2
	s_waitcnt vmcnt(17)
	v_lshlrev_b32_e32 v2, 16, v29
	s_delay_alu instid0(VALU_DEP_1) | instskip(SKIP_1) | instid1(VALU_DEP_1)
	v_fmac_f32_e32 v4, v10, v2
	v_lshlrev_b32_e32 v2, 16, v30
	v_fmac_f32_e32 v4, v11, v2
	s_waitcnt vmcnt(16)
	v_lshlrev_b32_e32 v2, 16, v15
	s_delay_alu instid0(VALU_DEP_1) | instskip(SKIP_4) | instid1(VALU_DEP_1)
	v_fmac_f32_e32 v4, v12, v2
	ds_load_b128 v[9:12], v44 offset:80
	s_waitcnt vmcnt(14)
	v_lshlrev_b32_e32 v2, 16, v16
	s_waitcnt lgkmcnt(1)
	v_fmac_f32_e32 v4, v5, v2
	s_waitcnt vmcnt(13)
	v_lshlrev_b32_e32 v2, 16, v31
	s_delay_alu instid0(VALU_DEP_1) | instskip(SKIP_2) | instid1(VALU_DEP_1)
	v_fmac_f32_e32 v4, v6, v2
	s_waitcnt vmcnt(12)
	v_lshlrev_b32_e32 v2, 16, v32
	v_fmac_f32_e32 v4, v7, v2
	v_lshlrev_b32_e32 v2, 16, v33
	s_delay_alu instid0(VALU_DEP_1) | instskip(SKIP_4) | instid1(VALU_DEP_1)
	v_fmac_f32_e32 v4, v8, v2
	ds_load_b128 v[5:8], v44 offset:96
	s_waitcnt vmcnt(11)
	v_lshlrev_b32_e32 v2, 16, v13
	s_waitcnt lgkmcnt(1)
	v_fmac_f32_e32 v4, v9, v2
	s_waitcnt vmcnt(9)
	v_lshlrev_b32_e32 v2, 16, v14
	s_delay_alu instid0(VALU_DEP_1) | instskip(SKIP_2) | instid1(VALU_DEP_1)
	v_fmac_f32_e32 v4, v10, v2
	s_waitcnt vmcnt(8)
	v_lshlrev_b32_e32 v2, 16, v34
	v_fmac_f32_e32 v4, v11, v2
	;; [unrolled: 15-line block ×3, first 2 shown]
	s_waitcnt vmcnt(4)
	v_lshlrev_b32_e32 v2, 16, v39
	s_delay_alu instid0(VALU_DEP_1) | instskip(SKIP_3) | instid1(VALU_DEP_1)
	v_fmac_f32_e32 v4, v8, v2
	s_waitcnt vmcnt(3)
	v_lshlrev_b32_e32 v2, 16, v40
	s_waitcnt lgkmcnt(0)
	v_fmac_f32_e32 v4, v9, v2
	s_waitcnt vmcnt(2)
	v_lshlrev_b32_e32 v2, 16, v41
	s_delay_alu instid0(VALU_DEP_1) | instskip(SKIP_2) | instid1(VALU_DEP_1)
	v_fmac_f32_e32 v4, v10, v2
	s_waitcnt vmcnt(1)
	v_lshlrev_b32_e32 v2, 16, v42
	v_fmac_f32_e32 v4, v11, v2
	s_waitcnt vmcnt(0)
	v_lshlrev_b32_e32 v2, 16, v43
	s_delay_alu instid0(VALU_DEP_1)
	v_fmac_f32_e32 v4, v12, v2
	s_branch .LBB474_14
.LBB474_17:
	v_mov_b32_e32 v1, 0
	s_and_b32 vcc_lo, exec_lo, s15
	ds_load_b32 v1, v1 offset:1664
	s_cbranch_vccz .LBB474_19
; %bb.18:
	s_add_u32 s2, s12, s16
	s_addc_u32 s3, s13, s17
	s_load_b32 s2, s[2:3], 0x0
	s_mov_b32 s3, 0
.LBB474_19:
	s_waitcnt lgkmcnt(0)
	v_add_f32_e32 v1, 0x358637bd, v1
	s_delay_alu instid0(VALU_DEP_1) | instskip(NEXT) | instid1(VALU_DEP_1)
	v_div_scale_f32 v2, null, v1, v1, 1.0
	v_rcp_f32_e32 v3, v2
	s_waitcnt_depctr 0xfff
	v_fma_f32 v5, -v2, v3, 1.0
	s_delay_alu instid0(VALU_DEP_1) | instskip(SKIP_1) | instid1(VALU_DEP_1)
	v_fmac_f32_e32 v3, v5, v3
	v_div_scale_f32 v5, vcc_lo, 1.0, v1, 1.0
	v_mul_f32_e32 v6, v5, v3
	s_delay_alu instid0(VALU_DEP_1) | instskip(NEXT) | instid1(VALU_DEP_1)
	v_fma_f32 v7, -v2, v6, v5
	v_fmac_f32_e32 v6, v7, v3
	s_delay_alu instid0(VALU_DEP_1) | instskip(NEXT) | instid1(VALU_DEP_1)
	v_fma_f32 v2, -v2, v6, v5
	v_div_fmas_f32 v2, v2, v3, v6
	s_delay_alu instid0(VALU_DEP_1) | instskip(NEXT) | instid1(VALU_DEP_1)
	v_div_fixup_f32 v1, v2, v1, 1.0
	v_mul_f32_e32 v2, v4, v1
	s_delay_alu instid0(VALU_DEP_1) | instskip(NEXT) | instid1(VALU_DEP_1)
	v_and_b32_e32 v1, 0x7f800000, v2
	v_cmp_ne_u32_e32 vcc_lo, 0x7f800000, v1
                                        ; implicit-def: $vgpr1
	s_and_saveexec_b32 s4, vcc_lo
	s_delay_alu instid0(SALU_CYCLE_1)
	s_xor_b32 s4, exec_lo, s4
; %bb.20:
	v_bfe_u32 v1, v2, 16, 1
	s_delay_alu instid0(VALU_DEP_1)
	v_add3_u32 v1, v2, v1, 0x7fff
                                        ; implicit-def: $vgpr2
; %bb.21:
	s_and_not1_saveexec_b32 s4, s4
; %bb.22:
	v_and_b32_e32 v1, 0xffff, v2
	v_or_b32_e32 v3, 0x10000, v2
	s_delay_alu instid0(VALU_DEP_2) | instskip(NEXT) | instid1(VALU_DEP_2)
	v_cmp_eq_u32_e32 vcc_lo, 0, v1
	v_cndmask_b32_e32 v1, v3, v2, vcc_lo
; %bb.23:
	s_or_b32 exec_lo, exec_lo, s4
	s_mul_i32 s3, s33, s3
	s_mul_hi_u32 s4, s33, s2
	s_mul_i32 s2, s33, s2
	s_add_i32 s3, s4, s3
	s_mov_b32 s15, 0
	s_lshl_b64 s[2:3], s[2:3], 7
	s_delay_alu instid0(SALU_CYCLE_1) | instskip(SKIP_2) | instid1(SALU_CYCLE_1)
	s_add_u32 s2, s0, s2
	s_addc_u32 s3, s1, s3
	s_lshl_b64 s[0:1], s[14:15], 7
	s_add_u32 s0, s2, s0
	s_addc_u32 s1, s3, s1
	global_store_d16_hi_b16 v0, v1, s[0:1]
	s_nop 0
	s_sendmsg sendmsg(MSG_DEALLOC_VGPRS)
	s_endpgm
.LBB474_24:
	s_mov_b32 s4, 0
	s_branch .LBB474_2
	.section	.rodata,"a",@progbits
	.p2align	6, 0x0
	.amdhsa_kernel _Z35paged_attention_ll4mi_reduce_kernelI14__hip_bfloat16S0_Li64ELi64ELi256ELi13EEvPT0_PKfS4_PKT_PKiS9_iS4_
		.amdhsa_group_segment_fixed_size 1668
		.amdhsa_private_segment_fixed_size 0
		.amdhsa_kernarg_size 320
		.amdhsa_user_sgpr_count 14
		.amdhsa_user_sgpr_dispatch_ptr 0
		.amdhsa_user_sgpr_queue_ptr 0
		.amdhsa_user_sgpr_kernarg_segment_ptr 1
		.amdhsa_user_sgpr_dispatch_id 0
		.amdhsa_user_sgpr_private_segment_size 0
		.amdhsa_wavefront_size32 1
		.amdhsa_uses_dynamic_stack 0
		.amdhsa_enable_private_segment 0
		.amdhsa_system_sgpr_workgroup_id_x 1
		.amdhsa_system_sgpr_workgroup_id_y 1
		.amdhsa_system_sgpr_workgroup_id_z 0
		.amdhsa_system_sgpr_workgroup_info 0
		.amdhsa_system_vgpr_workitem_id 0
		.amdhsa_next_free_vgpr 68
		.amdhsa_next_free_sgpr 49
		.amdhsa_reserve_vcc 1
		.amdhsa_float_round_mode_32 0
		.amdhsa_float_round_mode_16_64 0
		.amdhsa_float_denorm_mode_32 3
		.amdhsa_float_denorm_mode_16_64 3
		.amdhsa_dx10_clamp 1
		.amdhsa_ieee_mode 1
		.amdhsa_fp16_overflow 0
		.amdhsa_workgroup_processor_mode 1
		.amdhsa_memory_ordered 1
		.amdhsa_forward_progress 0
		.amdhsa_shared_vgpr_count 0
		.amdhsa_exception_fp_ieee_invalid_op 0
		.amdhsa_exception_fp_denorm_src 0
		.amdhsa_exception_fp_ieee_div_zero 0
		.amdhsa_exception_fp_ieee_overflow 0
		.amdhsa_exception_fp_ieee_underflow 0
		.amdhsa_exception_fp_ieee_inexact 0
		.amdhsa_exception_int_div_zero 0
	.end_amdhsa_kernel
	.section	.text._Z35paged_attention_ll4mi_reduce_kernelI14__hip_bfloat16S0_Li64ELi64ELi256ELi13EEvPT0_PKfS4_PKT_PKiS9_iS4_,"axG",@progbits,_Z35paged_attention_ll4mi_reduce_kernelI14__hip_bfloat16S0_Li64ELi64ELi256ELi13EEvPT0_PKfS4_PKT_PKiS9_iS4_,comdat
.Lfunc_end474:
	.size	_Z35paged_attention_ll4mi_reduce_kernelI14__hip_bfloat16S0_Li64ELi64ELi256ELi13EEvPT0_PKfS4_PKT_PKiS9_iS4_, .Lfunc_end474-_Z35paged_attention_ll4mi_reduce_kernelI14__hip_bfloat16S0_Li64ELi64ELi256ELi13EEvPT0_PKfS4_PKT_PKiS9_iS4_
                                        ; -- End function
	.section	.AMDGPU.csdata,"",@progbits
; Kernel info:
; codeLenInByte = 7664
; NumSgprs: 51
; NumVgprs: 68
; ScratchSize: 0
; MemoryBound: 0
; FloatMode: 240
; IeeeMode: 1
; LDSByteSize: 1668 bytes/workgroup (compile time only)
; SGPRBlocks: 6
; VGPRBlocks: 8
; NumSGPRsForWavesPerEU: 51
; NumVGPRsForWavesPerEU: 68
; Occupancy: 16
; WaveLimiterHint : 0
; COMPUTE_PGM_RSRC2:SCRATCH_EN: 0
; COMPUTE_PGM_RSRC2:USER_SGPR: 14
; COMPUTE_PGM_RSRC2:TRAP_HANDLER: 0
; COMPUTE_PGM_RSRC2:TGID_X_EN: 1
; COMPUTE_PGM_RSRC2:TGID_Y_EN: 1
; COMPUTE_PGM_RSRC2:TGID_Z_EN: 0
; COMPUTE_PGM_RSRC2:TIDIG_COMP_CNT: 0
	.section	.text._Z35paged_attention_ll4mi_reduce_kernelI14__hip_bfloat16S0_Li64ELi64ELi256ELi14EEvPT0_PKfS4_PKT_PKiS9_iS4_,"axG",@progbits,_Z35paged_attention_ll4mi_reduce_kernelI14__hip_bfloat16S0_Li64ELi64ELi256ELi14EEvPT0_PKfS4_PKT_PKiS9_iS4_,comdat
	.protected	_Z35paged_attention_ll4mi_reduce_kernelI14__hip_bfloat16S0_Li64ELi64ELi256ELi14EEvPT0_PKfS4_PKT_PKiS9_iS4_ ; -- Begin function _Z35paged_attention_ll4mi_reduce_kernelI14__hip_bfloat16S0_Li64ELi64ELi256ELi14EEvPT0_PKfS4_PKT_PKiS9_iS4_
	.globl	_Z35paged_attention_ll4mi_reduce_kernelI14__hip_bfloat16S0_Li64ELi64ELi256ELi14EEvPT0_PKfS4_PKT_PKiS9_iS4_
	.p2align	8
	.type	_Z35paged_attention_ll4mi_reduce_kernelI14__hip_bfloat16S0_Li64ELi64ELi256ELi14EEvPT0_PKfS4_PKT_PKiS9_iS4_,@function
_Z35paged_attention_ll4mi_reduce_kernelI14__hip_bfloat16S0_Li64ELi64ELi256ELi14EEvPT0_PKfS4_PKT_PKiS9_iS4_: ; @_Z35paged_attention_ll4mi_reduce_kernelI14__hip_bfloat16S0_Li64ELi64ELi256ELi14EEvPT0_PKfS4_PKT_PKiS9_iS4_
; %bb.0:
	s_load_b64 s[12:13], s[0:1], 0x28
	s_mov_b32 s2, s15
	s_waitcnt lgkmcnt(0)
	s_cmp_lg_u64 s[12:13], 0
	s_cselect_b32 s15, -1, 0
	s_delay_alu instid0(SALU_CYCLE_1)
	s_and_b32 vcc_lo, exec_lo, s15
	s_cbranch_vccz .LBB475_24
; %bb.1:
	s_add_i32 s4, s2, 1
	s_mov_b32 s5, 0
	s_delay_alu instid0(SALU_CYCLE_1) | instskip(SKIP_4) | instid1(SALU_CYCLE_1)
	s_lshl_b64 s[6:7], s[4:5], 2
	s_mov_b32 s3, s5
	s_add_u32 s6, s12, s6
	s_addc_u32 s7, s13, s7
	s_lshl_b64 s[8:9], s[2:3], 2
	s_add_u32 s8, s12, s8
	s_addc_u32 s9, s13, s9
	s_clause 0x1
	s_load_b32 s4, s[6:7], 0x0
	s_load_b32 s6, s[8:9], 0x0
	s_waitcnt lgkmcnt(0)
	s_sub_i32 s4, s4, s6
	s_delay_alu instid0(SALU_CYCLE_1)
	s_cmp_eq_u32 s4, 1
	s_cselect_b32 s4, -1, 0
	s_cbranch_execnz .LBB475_3
.LBB475_2:
	s_mov_b32 s3, 0
	s_mov_b32 s4, -1
.LBB475_3:
	s_delay_alu instid0(SALU_CYCLE_1)
	s_and_not1_b32 vcc_lo, exec_lo, s4
	s_cbranch_vccz .LBB475_5
; %bb.4:
	s_endpgm
.LBB475_5:
	s_clause 0x1
	s_load_b128 s[4:7], s[0:1], 0x18
	s_load_b32 s9, s[0:1], 0x30
	s_lshl_b64 s[16:17], s[2:3], 2
	s_waitcnt lgkmcnt(0)
	s_add_u32 s6, s6, s16
	s_addc_u32 s7, s7, s17
	s_load_b32 s23, s[6:7], 0x0
	s_load_b32 s33, s[0:1], 0x40
	s_mul_i32 s7, s2, s9
	s_waitcnt lgkmcnt(0)
	s_add_i32 s22, s23, 0xff
	s_delay_alu instid0(SALU_CYCLE_1) | instskip(NEXT) | instid1(SALU_CYCLE_1)
	s_ashr_i32 s6, s22, 31
	s_lshr_b32 s6, s6, 24
	s_delay_alu instid0(SALU_CYCLE_1) | instskip(SKIP_4) | instid1(SALU_CYCLE_1)
	s_add_i32 s8, s22, s6
	s_mul_i32 s6, s14, s9
	s_mov_b32 s9, exec_lo
	v_cmpx_lt_u32_e32 31, v0
	s_xor_b32 s9, exec_lo, s9
	s_or_saveexec_b32 s24, s9
	v_mov_b32_e32 v1, s6
	s_ashr_i32 s40, s8, 8
	s_mul_i32 s18, s7, s33
	s_xor_b32 exec_lo, exec_lo, s24
	s_cbranch_execz .LBB475_9
; %bb.6:
	v_or_b32_e32 v2, 32, v0
	v_cmp_gt_i32_e32 vcc_lo, s40, v0
	s_add_i32 s20, s40, -1
	v_or_b32_e32 v4, 64, v0
	v_or_b32_e32 v6, 0x80, v0
	s_load_b128 s[8:11], s[0:1], 0x8
	v_cndmask_b32_e32 v1, s20, v0, vcc_lo
	v_cmp_gt_i32_e32 vcc_lo, s40, v2
	s_mov_b32 s19, 0
	s_delay_alu instid0(SALU_CYCLE_1) | instskip(SKIP_4) | instid1(VALU_DEP_3)
	s_mov_b32 s7, s19
	v_cndmask_b32_e32 v3, s20, v2, vcc_lo
	v_or_b32_e32 v2, 0x60, v0
	v_cmp_gt_i32_e32 vcc_lo, s40, v4
	v_cndmask_b32_e32 v5, s20, v4, vcc_lo
	v_cmp_gt_i32_e32 vcc_lo, s40, v2
	v_or_b32_e32 v4, 0xa0, v0
	v_cndmask_b32_e32 v7, s20, v2, vcc_lo
	v_cmp_gt_i32_e32 vcc_lo, s40, v6
	v_or_b32_e32 v2, 0xc0, v0
	s_delay_alu instid0(VALU_DEP_3) | instskip(SKIP_3) | instid1(VALU_DEP_3)
	v_ashrrev_i32_e32 v8, 31, v7
	v_cndmask_b32_e32 v9, s20, v6, vcc_lo
	v_cmp_gt_i32_e32 vcc_lo, s40, v4
	v_or_b32_e32 v6, 0x100, v0
	v_ashrrev_i32_e32 v10, 31, v9
	v_cndmask_b32_e32 v11, s20, v4, vcc_lo
	v_or_b32_e32 v4, 0xe0, v0
	v_cmp_gt_i32_e32 vcc_lo, s40, v2
	s_delay_alu instid0(VALU_DEP_3) | instskip(SKIP_1) | instid1(VALU_DEP_4)
	v_ashrrev_i32_e32 v12, 31, v11
	v_cndmask_b32_e32 v13, s20, v2, vcc_lo
	v_cmp_gt_i32_e32 vcc_lo, s40, v4
	v_or_b32_e32 v2, 0x120, v0
	s_delay_alu instid0(VALU_DEP_3) | instskip(SKIP_3) | instid1(VALU_DEP_3)
	v_ashrrev_i32_e32 v14, 31, v13
	v_cndmask_b32_e32 v15, s20, v4, vcc_lo
	v_cmp_gt_i32_e32 vcc_lo, s40, v6
	v_or_b32_e32 v4, 0x140, v0
	v_ashrrev_i32_e32 v16, 31, v15
	v_cndmask_b32_e32 v17, s20, v6, vcc_lo
	v_cmp_gt_i32_e32 vcc_lo, s40, v2
	v_or_b32_e32 v6, 0x180, v0
	s_delay_alu instid0(VALU_DEP_3) | instskip(SKIP_3) | instid1(VALU_DEP_3)
	v_ashrrev_i32_e32 v18, 31, v17
	v_cndmask_b32_e32 v19, s20, v2, vcc_lo
	v_or_b32_e32 v2, 0x160, v0
	v_cmp_gt_i32_e32 vcc_lo, s40, v4
	v_ashrrev_i32_e32 v20, 31, v19
	v_cndmask_b32_e32 v21, s20, v4, vcc_lo
	s_delay_alu instid0(VALU_DEP_4) | instskip(SKIP_1) | instid1(VALU_DEP_3)
	v_cmp_gt_i32_e32 vcc_lo, s40, v2
	v_or_b32_e32 v4, 0x1a0, v0
	v_ashrrev_i32_e32 v22, 31, v21
	v_cndmask_b32_e32 v23, s20, v2, vcc_lo
	v_cmp_gt_i32_e32 vcc_lo, s40, v6
	v_ashrrev_i32_e32 v2, 31, v1
	s_delay_alu instid0(VALU_DEP_3) | instskip(SKIP_2) | instid1(VALU_DEP_4)
	v_ashrrev_i32_e32 v24, 31, v23
	v_cndmask_b32_e32 v25, s20, v6, vcc_lo
	v_cmp_gt_i32_e32 vcc_lo, s40, v4
	v_lshlrev_b64 v[29:30], 2, v[1:2]
	v_ashrrev_i32_e32 v6, 31, v5
	s_delay_alu instid0(VALU_DEP_4)
	v_ashrrev_i32_e32 v26, 31, v25
	v_cndmask_b32_e32 v27, s20, v4, vcc_lo
	v_ashrrev_i32_e32 v4, 31, v3
	s_lshl_b64 s[20:21], s[18:19], 2
	s_waitcnt lgkmcnt(0)
	s_add_u32 s19, s10, s20
	s_addc_u32 s25, s11, s21
	s_lshl_b64 s[10:11], s[6:7], 2
	v_lshlrev_b64 v[31:32], 2, v[3:4]
	s_add_u32 s7, s19, s10
	s_addc_u32 s19, s25, s11
	v_add_co_u32 v1, vcc_lo, s7, v29
	v_lshlrev_b64 v[4:5], 2, v[5:6]
	v_add_co_ci_u32_e32 v2, vcc_lo, s19, v30, vcc_lo
	v_add_co_u32 v33, vcc_lo, s7, v31
	v_lshlrev_b64 v[6:7], 2, v[7:8]
	v_add_co_ci_u32_e32 v34, vcc_lo, s19, v32, vcc_lo
	v_add_co_u32 v35, vcc_lo, s7, v4
	v_lshlrev_b64 v[8:9], 2, v[9:10]
	v_add_co_ci_u32_e32 v36, vcc_lo, s19, v5, vcc_lo
	v_add_co_u32 v37, vcc_lo, s7, v6
	v_lshlrev_b64 v[10:11], 2, v[11:12]
	v_add_co_ci_u32_e32 v38, vcc_lo, s19, v7, vcc_lo
	v_add_co_u32 v39, vcc_lo, s7, v8
	v_lshlrev_b64 v[12:13], 2, v[13:14]
	v_add_co_ci_u32_e32 v40, vcc_lo, s19, v9, vcc_lo
	v_add_co_u32 v41, vcc_lo, s7, v10
	v_lshlrev_b64 v[14:15], 2, v[15:16]
	v_add_co_ci_u32_e32 v42, vcc_lo, s19, v11, vcc_lo
	v_add_co_u32 v43, vcc_lo, s7, v12
	v_add_co_ci_u32_e32 v44, vcc_lo, s19, v13, vcc_lo
	s_delay_alu instid0(VALU_DEP_4)
	v_add_co_u32 v45, vcc_lo, s7, v14
	v_add_co_ci_u32_e32 v46, vcc_lo, s19, v15, vcc_lo
	s_clause 0x7
	global_load_b32 v47, v[1:2], off
	global_load_b32 v48, v[33:34], off
	;; [unrolled: 1-line block ×8, first 2 shown]
	v_lshlrev_b64 v[16:17], 2, v[17:18]
	v_lshlrev_b64 v[18:19], 2, v[19:20]
	;; [unrolled: 1-line block ×4, first 2 shown]
	v_ashrrev_i32_e32 v28, 31, v27
	v_lshlrev_b64 v[24:25], 2, v[25:26]
	v_add_co_u32 v1, vcc_lo, s7, v16
	v_add_co_ci_u32_e32 v2, vcc_lo, s19, v17, vcc_lo
	v_add_co_u32 v33, vcc_lo, s7, v18
	v_add_co_ci_u32_e32 v34, vcc_lo, s19, v19, vcc_lo
	;; [unrolled: 2-line block ×3, first 2 shown]
	v_add_co_u32 v37, vcc_lo, s7, v22
	v_lshlrev_b64 v[26:27], 2, v[27:28]
	v_add_co_ci_u32_e32 v38, vcc_lo, s19, v23, vcc_lo
	s_clause 0x3
	global_load_b32 v43, v[1:2], off
	global_load_b32 v44, v[33:34], off
	;; [unrolled: 1-line block ×4, first 2 shown]
	v_add_co_u32 v1, vcc_lo, s7, v24
	v_add_co_ci_u32_e32 v2, vcc_lo, s19, v25, vcc_lo
	v_add_co_u32 v33, vcc_lo, s7, v26
	v_add_co_ci_u32_e32 v34, vcc_lo, s19, v27, vcc_lo
	s_clause 0x1
	global_load_b32 v37, v[1:2], off
	global_load_b32 v33, v[33:34], off
	v_mbcnt_lo_u32_b32 v34, -1, 0
	s_add_u32 s7, s8, s20
	s_addc_u32 s8, s9, s21
	s_add_u32 s7, s7, s10
	s_addc_u32 s8, s8, s11
	v_xor_b32_e32 v3, 8, v34
	v_xor_b32_e32 v28, 4, v34
	s_waitcnt vmcnt(12)
	v_dual_max_f32 v2, v47, v47 :: v_dual_max_f32 v1, v48, v48
	s_delay_alu instid0(VALU_DEP_1) | instskip(SKIP_2) | instid1(VALU_DEP_2)
	v_max_f32_e32 v1, v2, v1
	v_xor_b32_e32 v2, 16, v34
	s_waitcnt vmcnt(10)
	v_max3_f32 v1, v1, v49, v50
	s_delay_alu instid0(VALU_DEP_2) | instskip(SKIP_1) | instid1(VALU_DEP_2)
	v_cmp_gt_i32_e32 vcc_lo, 32, v2
	s_waitcnt vmcnt(8)
	v_max3_f32 v1, v1, v39, v40
	v_cndmask_b32_e32 v2, v34, v2, vcc_lo
	v_cmp_gt_i32_e32 vcc_lo, 32, v3
	s_waitcnt vmcnt(6)
	s_delay_alu instid0(VALU_DEP_3) | instskip(NEXT) | instid1(VALU_DEP_3)
	v_max3_f32 v1, v1, v41, v42
	v_dual_cndmask_b32 v38, v34, v3 :: v_dual_lshlrev_b32 v3, 2, v2
	v_cmp_gt_i32_e32 vcc_lo, 32, v28
	s_waitcnt vmcnt(4)
	s_delay_alu instid0(VALU_DEP_3) | instskip(SKIP_2) | instid1(VALU_DEP_2)
	v_max3_f32 v1, v1, v43, v44
	v_cndmask_b32_e32 v28, v34, v28, vcc_lo
	s_waitcnt vmcnt(2)
	v_max3_f32 v45, v1, v35, v36
	v_lshlrev_b32_e32 v1, 2, v38
	s_delay_alu instid0(VALU_DEP_3)
	v_lshlrev_b32_e32 v2, 2, v28
	v_add_co_u32 v28, vcc_lo, s7, v29
	v_add_co_ci_u32_e32 v29, vcc_lo, s8, v30, vcc_lo
	v_add_co_u32 v30, vcc_lo, s7, v31
	s_waitcnt vmcnt(0)
	v_max3_f32 v38, v45, v37, v33
	v_add_co_ci_u32_e32 v31, vcc_lo, s8, v32, vcc_lo
	s_clause 0x1
	global_load_b32 v28, v[28:29], off
	global_load_b32 v29, v[30:31], off
	ds_bpermute_b32 v45, v3, v38
	v_add_co_u32 v4, vcc_lo, s7, v4
	v_add_co_ci_u32_e32 v5, vcc_lo, s8, v5, vcc_lo
	v_add_co_u32 v6, vcc_lo, s7, v6
	v_add_co_ci_u32_e32 v7, vcc_lo, s8, v7, vcc_lo
	;; [unrolled: 2-line block ×3, first 2 shown]
	global_load_b32 v31, v[4:5], off
	v_add_co_u32 v4, vcc_lo, s7, v10
	v_add_co_ci_u32_e32 v5, vcc_lo, s8, v11, vcc_lo
	global_load_b32 v11, v[6:7], off
	v_add_co_u32 v6, vcc_lo, s7, v12
	s_waitcnt lgkmcnt(0)
	v_max_f32_e32 v30, v45, v45
	v_add_co_ci_u32_e32 v7, vcc_lo, s8, v13, vcc_lo
	global_load_b32 v12, v[8:9], off
	v_add_co_u32 v8, vcc_lo, s7, v14
	v_max_f32_e32 v30, v38, v30
	s_clause 0x1
	global_load_b32 v13, v[4:5], off
	global_load_b32 v14, v[6:7], off
	v_add_co_ci_u32_e32 v9, vcc_lo, s8, v15, vcc_lo
	ds_bpermute_b32 v10, v1, v30
	v_add_co_u32 v15, vcc_lo, s7, v16
	v_add_co_ci_u32_e32 v16, vcc_lo, s8, v17, vcc_lo
	v_add_co_u32 v6, vcc_lo, s7, v18
	v_add_co_ci_u32_e32 v7, vcc_lo, s8, v19, vcc_lo
	global_load_b32 v4, v[8:9], off
	v_add_co_u32 v8, vcc_lo, s7, v20
	v_add_co_ci_u32_e32 v9, vcc_lo, s8, v21, vcc_lo
	v_xor_b32_e32 v18, 2, v34
	s_waitcnt lgkmcnt(0)
	v_max_f32_e32 v5, v10, v10
	s_delay_alu instid0(VALU_DEP_1)
	v_max_f32_e32 v17, v30, v5
	s_clause 0x2
	global_load_b32 v5, v[15:16], off
	global_load_b32 v6, v[6:7], off
	;; [unrolled: 1-line block ×3, first 2 shown]
	v_add_co_u32 v8, vcc_lo, s7, v22
	v_add_co_ci_u32_e32 v9, vcc_lo, s8, v23, vcc_lo
	ds_bpermute_b32 v10, v2, v17
	global_load_b32 v16, v[8:9], off
	v_add_co_u32 v8, vcc_lo, s7, v24
	v_add_co_ci_u32_e32 v9, vcc_lo, s8, v25, vcc_lo
	v_cmp_gt_i32_e32 vcc_lo, 32, v18
	global_load_b32 v15, v[8:9], off
	v_cndmask_b32_e32 v8, v34, v18, vcc_lo
	v_add_co_u32 v9, vcc_lo, s7, v26
	s_mov_b32 s7, exec_lo
	s_delay_alu instid0(VALU_DEP_2) | instskip(SKIP_3) | instid1(VALU_DEP_2)
	v_lshlrev_b32_e32 v8, 2, v8
	s_waitcnt lgkmcnt(0)
	v_max_f32_e32 v18, v10, v10
	v_add_co_ci_u32_e32 v10, vcc_lo, s8, v27, vcc_lo
	v_max_f32_e32 v17, v17, v18
	global_load_b32 v9, v[9:10], off
	v_xor_b32_e32 v18, 1, v34
	ds_bpermute_b32 v10, v8, v17
	v_cmp_gt_i32_e32 vcc_lo, 32, v18
	v_cndmask_b32_e32 v18, v34, v18, vcc_lo
	s_waitcnt lgkmcnt(0)
	v_max_f32_e32 v19, v10, v10
	s_delay_alu instid0(VALU_DEP_1) | instskip(SKIP_3) | instid1(VALU_DEP_1)
	v_dual_max_f32 v17, v17, v19 :: v_dual_lshlrev_b32 v10, 2, v18
	ds_bpermute_b32 v18, v10, v17
	s_waitcnt lgkmcnt(0)
	v_max_f32_e32 v18, v18, v18
	v_max_f32_e32 v17, v17, v18
	v_sub_nc_u32_e32 v18, s40, v0
	s_delay_alu instid0(VALU_DEP_2) | instskip(NEXT) | instid1(VALU_DEP_1)
	v_sub_f32_e32 v22, v50, v17
	v_mul_f32_e32 v38, 0x3fb8aa3b, v22
	s_delay_alu instid0(VALU_DEP_1) | instskip(SKIP_1) | instid1(VALU_DEP_2)
	v_rndne_f32_e32 v56, v38
	v_fma_f32 v55, 0x3fb8aa3b, v22, -v38
	v_sub_f32_e32 v38, v38, v56
	v_sub_f32_e32 v26, v42, v17
	;; [unrolled: 1-line block ×6, first 2 shown]
	v_mul_f32_e32 v42, 0x3fb8aa3b, v26
	v_mul_f32_e32 v46, 0x3fb8aa3b, v34
	v_sub_f32_e32 v30, v44, v17
	v_sub_f32_e32 v23, v39, v17
	;; [unrolled: 1-line block ×3, first 2 shown]
	v_rndne_f32_e32 v64, v42
	v_sub_f32_e32 v35, v37, v17
	v_fma_f32 v71, 0x3fb8aa3b, v34, -v46
	v_rndne_f32_e32 v72, v46
	v_dual_mul_f32 v37, 0x3fb8aa3b, v21 :: v_dual_mul_f32 v44, 0x3fb8aa3b, v30
	v_sub_f32_e32 v19, v47, v17
	s_delay_alu instid0(VALU_DEP_3) | instskip(NEXT) | instid1(VALU_DEP_3)
	v_dual_fmac_f32 v71, 0x32a5705f, v34 :: v_dual_sub_f32 v46, v46, v72
	v_rndne_f32_e32 v54, v37
	v_fma_f32 v53, 0x3fb8aa3b, v21, -v37
	v_mul_f32_e32 v40, 0x3fb8aa3b, v24
	v_rndne_f32_e32 v68, v44
	s_delay_alu instid0(VALU_DEP_4) | instskip(SKIP_1) | instid1(VALU_DEP_4)
	v_dual_add_f32 v46, v46, v71 :: v_dual_sub_f32 v37, v37, v54
	v_sub_f32_e32 v20, v48, v17
	v_fma_f32 v59, 0x3fb8aa3b, v24, -v40
	v_rndne_f32_e32 v60, v40
	s_delay_alu instid0(VALU_DEP_4)
	v_exp_f32_e32 v46, v46
	v_sub_f32_e32 v27, v43, v17
	v_sub_f32_e32 v17, v33, v17
	v_fma_f32 v67, 0x3fb8aa3b, v30, -v44
	v_dual_sub_f32 v44, v44, v68 :: v_dual_mul_f32 v33, 0x3fb8aa3b, v19
	v_cvt_i32_f32_e32 v72, v72
	s_delay_alu instid0(VALU_DEP_4)
	v_mul_f32_e32 v48, 0x3fb8aa3b, v17
	v_sub_f32_e32 v40, v40, v60
	v_mul_f32_e32 v36, 0x3fb8aa3b, v20
	v_rndne_f32_e32 v50, v33
	v_ldexp_f32 v46, v46, v72
	v_fmac_f32_e32 v59, 0x32a5705f, v24
	v_fma_f32 v49, 0x3fb8aa3b, v19, -v33
	v_fma_f32 v63, 0x3fb8aa3b, v26, -v42
	v_sub_f32_e32 v33, v33, v50
	v_cvt_i32_f32_e32 v60, v60
	v_add_f32_e32 v40, v40, v59
	v_fma_f32 v51, 0x3fb8aa3b, v20, -v36
	v_rndne_f32_e32 v52, v36
	v_dual_fmac_f32 v63, 0x32a5705f, v26 :: v_dual_sub_f32 v42, v42, v64
	s_delay_alu instid0(VALU_DEP_4) | instskip(SKIP_4) | instid1(VALU_DEP_4)
	v_exp_f32_e32 v40, v40
	v_fmac_f32_e32 v67, 0x32a5705f, v30
	v_fmac_f32_e32 v51, 0x32a5705f, v20
	v_sub_f32_e32 v36, v36, v52
	v_dual_add_f32 v42, v42, v63 :: v_dual_fmac_f32 v53, 0x32a5705f, v21
	v_dual_add_f32 v44, v44, v67 :: v_dual_mul_f32 v41, 0x3fb8aa3b, v25
	s_delay_alu instid0(VALU_DEP_3) | instskip(SKIP_1) | instid1(TRANS32_DEP_1)
	v_add_f32_e32 v36, v36, v51
	v_fma_f32 v75, 0x3fb8aa3b, v17, -v48
	v_ldexp_f32 v40, v40, v60
	v_fmac_f32_e32 v49, 0x32a5705f, v19
	v_rndne_f32_e32 v76, v48
	v_mul_f32_e32 v39, 0x3fb8aa3b, v23
	v_exp_f32_e32 v42, v42
	v_exp_f32_e32 v44, v44
	v_add_f32_e32 v33, v33, v49
	v_cvt_i32_f32_e32 v50, v50
	v_cvt_i32_f32_e32 v64, v64
	;; [unrolled: 1-line block ×3, first 2 shown]
	v_fmac_f32_e32 v75, 0x32a5705f, v17
	v_exp_f32_e32 v33, v33
	v_sub_f32_e32 v48, v48, v76
	v_fma_f32 v57, 0x3fb8aa3b, v23, -v39
	v_rndne_f32_e32 v58, v39
	v_fmac_f32_e32 v55, 0x32a5705f, v22
	v_add_f32_e32 v37, v37, v53
	v_exp_f32_e32 v36, v36
	v_cvt_i32_f32_e32 v52, v52
	v_dual_add_f32 v48, v48, v75 :: v_dual_mul_f32 v45, 0x3fb8aa3b, v32
	v_add_f32_e32 v38, v38, v55
	v_exp_f32_e32 v37, v37
	v_ldexp_f32 v33, v33, v50
	v_ldexp_f32 v42, v42, v64
	v_fmac_f32_e32 v57, 0x32a5705f, v23
	v_ldexp_f32 v44, v44, v68
	v_sub_f32_e32 v39, v39, v58
	v_cmp_ngt_f32_e32 vcc_lo, 0xc2ce8ed0, v19
	v_cvt_i32_f32_e32 v54, v54
	v_exp_f32_e32 v38, v38
	v_ldexp_f32 v36, v36, v52
	v_add_f32_e32 v39, v39, v57
	v_cndmask_b32_e32 v33, 0, v33, vcc_lo
	v_cmp_ngt_f32_e32 vcc_lo, 0xc2ce8ed0, v20
	v_mul_f32_e32 v43, 0x3fb8aa3b, v27
	v_cvt_i32_f32_e32 v56, v56
	v_exp_f32_e32 v39, v39
	v_ldexp_f32 v37, v37, v54
	v_cndmask_b32_e32 v36, 0, v36, vcc_lo
	v_cmp_ngt_f32_e32 vcc_lo, 0xc2ce8ed0, v21
	v_fma_f32 v61, 0x3fb8aa3b, v25, -v41
	v_rndne_f32_e32 v62, v41
	v_cvt_i32_f32_e32 v58, v58
	v_ldexp_f32 v38, v38, v56
	v_cndmask_b32_e32 v37, 0, v37, vcc_lo
	v_cmp_ngt_f32_e32 vcc_lo, 0xc2ce8ed0, v22
	v_mul_f32_e32 v47, 0x3fb8aa3b, v35
	v_fmac_f32_e32 v61, 0x32a5705f, v25
	v_sub_f32_e32 v41, v41, v62
	v_ldexp_f32 v39, v39, v58
	v_cndmask_b32_e32 v38, 0, v38, vcc_lo
	v_cmp_ngt_f32_e32 vcc_lo, 0xc2ce8ed0, v23
	v_fma_f32 v65, 0x3fb8aa3b, v27, -v43
	v_rndne_f32_e32 v66, v43
	v_add_f32_e32 v41, v41, v61
	v_cvt_i32_f32_e32 v62, v62
	v_cndmask_b32_e32 v39, 0, v39, vcc_lo
	v_cmp_ngt_f32_e32 vcc_lo, 0xc2ce8ed0, v24
	v_fmac_f32_e32 v65, 0x32a5705f, v27
	v_exp_f32_e32 v41, v41
	v_fma_f32 v69, 0x3fb8aa3b, v32, -v45
	v_rndne_f32_e32 v70, v45
	v_dual_cndmask_b32 v40, 0, v40 :: v_dual_sub_f32 v43, v43, v66
	v_cmp_ngt_f32_e32 vcc_lo, 0xc2ce8ed0, v25
	v_cvt_i32_f32_e32 v66, v66
	v_fmac_f32_e32 v69, 0x32a5705f, v32
	v_rndne_f32_e32 v74, v47
	v_add_f32_e32 v43, v43, v65
	s_delay_alu instid0(TRANS32_DEP_1) | instskip(SKIP_2) | instid1(VALU_DEP_3)
	v_ldexp_f32 v41, v41, v62
	v_fma_f32 v73, 0x3fb8aa3b, v35, -v47
	v_exp_f32_e32 v48, v48
	v_exp_f32_e32 v43, v43
	s_delay_alu instid0(VALU_DEP_2)
	v_cndmask_b32_e32 v41, 0, v41, vcc_lo
	v_cmp_ngt_f32_e32 vcc_lo, 0xc2ce8ed0, v26
	v_cndmask_b32_e32 v42, 0, v42, vcc_lo
	v_cmp_ngt_f32_e32 vcc_lo, 0xc2ce8ed0, v27
	s_waitcnt_depctr 0xfff
	v_ldexp_f32 v43, v43, v66
	s_delay_alu instid0(VALU_DEP_1) | instskip(SKIP_4) | instid1(VALU_DEP_3)
	v_cndmask_b32_e32 v43, 0, v43, vcc_lo
	v_cmp_ngt_f32_e32 vcc_lo, 0xc2ce8ed0, v30
	v_dual_cndmask_b32 v44, 0, v44 :: v_dual_sub_f32 v45, v45, v70
	v_cvt_i32_f32_e32 v70, v70
	v_cmp_ngt_f32_e32 vcc_lo, 0xc2ce8ed0, v32
	v_add_f32_e32 v45, v45, v69
	s_delay_alu instid0(VALU_DEP_1) | instskip(SKIP_2) | instid1(VALU_DEP_1)
	v_exp_f32_e32 v45, v45
	s_waitcnt_depctr 0xfff
	v_ldexp_f32 v45, v45, v70
	v_cndmask_b32_e32 v45, 0, v45, vcc_lo
	v_cmp_ngt_f32_e32 vcc_lo, 0xc2ce8ed0, v34
	v_cndmask_b32_e32 v46, 0, v46, vcc_lo
	v_cmp_nlt_f32_e32 vcc_lo, 0x42b17218, v19
	v_cndmask_b32_e32 v19, 0x7f800000, v33, vcc_lo
	v_cmp_nlt_f32_e32 vcc_lo, 0x42b17218, v20
	v_cndmask_b32_e32 v20, 0x7f800000, v36, vcc_lo
	v_cmp_nlt_f32_e32 vcc_lo, 0x42b17218, v21
	v_cndmask_b32_e32 v21, 0x7f800000, v37, vcc_lo
	v_cmp_nlt_f32_e32 vcc_lo, 0x42b17218, v22
	v_cndmask_b32_e32 v22, 0x7f800000, v38, vcc_lo
	v_cmp_nlt_f32_e32 vcc_lo, 0x42b17218, v23
	v_cndmask_b32_e32 v23, 0x7f800000, v39, vcc_lo
	v_cmp_nlt_f32_e32 vcc_lo, 0x42b17218, v24
	v_cndmask_b32_e32 v24, 0x7f800000, v40, vcc_lo
	v_cmp_lt_i32_e32 vcc_lo, 0, v18
	v_cndmask_b32_e32 v19, 0, v19, vcc_lo
	v_cmp_lt_i32_e32 vcc_lo, 32, v18
	s_waitcnt vmcnt(13)
	s_delay_alu instid0(VALU_DEP_2) | instskip(SKIP_2) | instid1(VALU_DEP_2)
	v_dual_mul_f32 v19, v28, v19 :: v_dual_cndmask_b32 v20, 0, v20
	v_cmp_nlt_f32_e32 vcc_lo, 0x42b17218, v25
	s_waitcnt vmcnt(12)
	v_dual_mul_f32 v20, v29, v20 :: v_dual_cndmask_b32 v25, 0x7f800000, v41
	v_cmp_lt_i32_e32 vcc_lo, 64, v18
	s_delay_alu instid0(VALU_DEP_2) | instskip(SKIP_2) | instid1(VALU_DEP_2)
	v_dual_add_f32 v28, v19, v20 :: v_dual_cndmask_b32 v21, 0, v21
	v_cmp_nlt_f32_e32 vcc_lo, 0x42b17218, v26
	s_waitcnt vmcnt(11)
	v_dual_mul_f32 v21, v31, v21 :: v_dual_cndmask_b32 v26, 0x7f800000, v42
	v_cmp_lt_i32_e32 vcc_lo, 0x60, v18
	v_cndmask_b32_e32 v22, 0, v22, vcc_lo
	v_cmp_nlt_f32_e32 vcc_lo, 0x42b17218, v27
	s_waitcnt vmcnt(10)
	s_delay_alu instid0(VALU_DEP_2) | instskip(SKIP_4) | instid1(VALU_DEP_2)
	v_mul_f32_e32 v11, v11, v22
	v_cndmask_b32_e32 v27, 0x7f800000, v43, vcc_lo
	v_cmp_lt_i32_e32 vcc_lo, 0x80, v18
	v_dual_add_f32 v22, v28, v21 :: v_dual_cndmask_b32 v23, 0, v23
	v_cmp_nlt_f32_e32 vcc_lo, 0x42b17218, v30
	v_dual_sub_f32 v47, v47, v74 :: v_dual_add_f32 v22, v22, v11
	v_cvt_i32_f32_e32 v74, v74
	s_waitcnt vmcnt(9)
	v_mul_f32_e32 v12, v12, v23
	v_cndmask_b32_e32 v28, 0x7f800000, v44, vcc_lo
	v_cmp_lt_i32_e32 vcc_lo, 0xa0, v18
	s_delay_alu instid0(VALU_DEP_3) | instskip(SKIP_3) | instid1(VALU_DEP_2)
	v_dual_fmac_f32 v73, 0x32a5705f, v35 :: v_dual_add_f32 v22, v22, v12
	v_cndmask_b32_e32 v24, 0, v24, vcc_lo
	v_cmp_nlt_f32_e32 vcc_lo, 0x42b17218, v32
	s_waitcnt vmcnt(8)
	v_mul_f32_e32 v13, v13, v24
	v_cndmask_b32_e32 v23, 0x7f800000, v45, vcc_lo
	v_cmp_lt_i32_e32 vcc_lo, 0xc0, v18
	s_delay_alu instid0(VALU_DEP_3) | instskip(SKIP_3) | instid1(VALU_DEP_2)
	v_add_f32_e32 v22, v22, v13
	v_cndmask_b32_e32 v25, 0, v25, vcc_lo
	v_cmp_lt_i32_e32 vcc_lo, 0xe0, v18
	s_waitcnt vmcnt(7)
	v_mul_f32_e32 v14, v14, v25
	v_cndmask_b32_e32 v24, 0, v26, vcc_lo
	v_cmp_lt_i32_e32 vcc_lo, 0x100, v18
	s_delay_alu instid0(VALU_DEP_3) | instskip(SKIP_1) | instid1(VALU_DEP_3)
	v_add_f32_e32 v22, v22, v14
	s_waitcnt vmcnt(6)
	v_mul_f32_e32 v4, v4, v24
	v_cndmask_b32_e32 v26, 0, v27, vcc_lo
	v_cmp_lt_i32_e32 vcc_lo, 0x120, v18
	s_waitcnt vmcnt(5)
	s_delay_alu instid0(VALU_DEP_2) | instskip(SKIP_2) | instid1(VALU_DEP_3)
	v_dual_add_f32 v22, v22, v4 :: v_dual_mul_f32 v5, v5, v26
	v_cndmask_b32_e32 v25, 0, v28, vcc_lo
	v_cmp_lt_i32_e32 vcc_lo, 0x140, v18
	v_add_f32_e32 v22, v22, v5
	s_waitcnt vmcnt(4)
	s_delay_alu instid0(VALU_DEP_3)
	v_dual_mul_f32 v6, v6, v25 :: v_dual_cndmask_b32 v23, 0, v23
	v_cmp_nlt_f32_e32 vcc_lo, 0x42b17218, v34
	v_add_f32_e32 v47, v47, v73
	v_cvt_i32_f32_e32 v25, v76
	s_waitcnt vmcnt(3)
	v_dual_add_f32 v22, v22, v6 :: v_dual_mul_f32 v7, v7, v23
	v_cndmask_b32_e32 v24, 0x7f800000, v46, vcc_lo
	v_exp_f32_e32 v47, v47
	v_cmp_ngt_f32_e32 vcc_lo, 0xc2ce8ed0, v35
	s_delay_alu instid0(VALU_DEP_3) | instskip(SKIP_2) | instid1(VALU_DEP_1)
	v_add_f32_e32 v22, v22, v7
	s_waitcnt_depctr 0xfff
	v_ldexp_f32 v47, v47, v74
	v_cndmask_b32_e32 v23, 0, v47, vcc_lo
	v_cmp_lt_i32_e32 vcc_lo, 0x160, v18
	v_cndmask_b32_e32 v24, 0, v24, vcc_lo
	v_cmp_nlt_f32_e32 vcc_lo, 0x42b17218, v35
	s_waitcnt vmcnt(2)
	s_delay_alu instid0(VALU_DEP_2) | instskip(SKIP_2) | instid1(VALU_DEP_3)
	v_dual_mul_f32 v16, v16, v24 :: v_dual_cndmask_b32 v23, 0x7f800000, v23
	v_cmp_lt_i32_e32 vcc_lo, 0x180, v18
	v_ldexp_f32 v24, v48, v25
	v_dual_add_f32 v22, v22, v16 :: v_dual_cndmask_b32 v23, 0, v23
	v_cmp_ngt_f32_e32 vcc_lo, 0xc2ce8ed0, v17
	s_waitcnt vmcnt(1)
	s_delay_alu instid0(VALU_DEP_2) | instskip(SKIP_1) | instid1(VALU_DEP_2)
	v_dual_mul_f32 v15, v15, v23 :: v_dual_cndmask_b32 v24, 0, v24
	v_cmp_nlt_f32_e32 vcc_lo, 0x42b17218, v17
	v_cndmask_b32_e32 v17, 0x7f800000, v24, vcc_lo
	v_cmp_lt_i32_e32 vcc_lo, 0x1a0, v18
	s_delay_alu instid0(VALU_DEP_2) | instskip(SKIP_1) | instid1(VALU_DEP_1)
	v_dual_add_f32 v18, v22, v15 :: v_dual_cndmask_b32 v17, 0, v17
	s_waitcnt vmcnt(0)
	v_fmac_f32_e32 v18, v9, v17
	ds_bpermute_b32 v3, v3, v18
	s_waitcnt lgkmcnt(0)
	v_add_f32_e32 v3, v18, v3
	ds_bpermute_b32 v1, v1, v3
	s_waitcnt lgkmcnt(0)
	v_add_f32_e32 v1, v3, v1
	v_lshlrev_b32_e32 v3, 2, v0
	ds_bpermute_b32 v2, v2, v1
	ds_store_2addr_b32 v3, v19, v20 offset1:32
	s_waitcnt lgkmcnt(1)
	v_add_f32_e32 v1, v1, v2
	ds_bpermute_b32 v2, v8, v1
	v_dual_mul_f32 v8, v9, v17 :: v_dual_add_nc_u32 v9, 0x400, v3
	ds_store_2addr_b32 v3, v21, v11 offset0:64 offset1:96
	ds_store_2addr_b32 v3, v12, v13 offset0:128 offset1:160
	;; [unrolled: 1-line block ×3, first 2 shown]
	ds_store_2addr_b32 v9, v5, v6 offset1:32
	ds_store_2addr_b32 v9, v7, v16 offset0:64 offset1:96
	ds_store_2addr_b32 v9, v15, v8 offset0:128 offset1:160
	s_waitcnt lgkmcnt(6)
	v_add_f32_e32 v1, v1, v2
	ds_bpermute_b32 v2, v10, v1
	v_cmpx_eq_u32_e32 0, v0
	s_cbranch_execz .LBB475_8
; %bb.7:
	s_waitcnt lgkmcnt(0)
	v_dual_add_f32 v1, v1, v2 :: v_dual_mov_b32 v2, 0
	ds_store_b32 v2, v1 offset:1792
.LBB475_8:
	s_or_b32 exec_lo, exec_lo, s7
	v_mov_b32_e32 v1, s6
.LBB475_9:
	s_or_b32 exec_lo, exec_lo, s24
	s_lshl_b32 s6, s18, 6
	s_mov_b32 s7, 0
	s_waitcnt lgkmcnt(0)
	v_dual_mov_b32 v2, 0 :: v_dual_lshlrev_b32 v1, 6, v1
	s_lshl_b64 s[6:7], s[6:7], 1
	v_lshlrev_b32_e32 v0, 1, v0
	s_add_u32 s34, s4, s6
	s_addc_u32 s35, s5, s7
	s_lshl_b32 s41, s40, 6
	v_lshlrev_b64 v[3:4], 1, v[1:2]
	s_sub_i32 s42, s41, 64
	s_cmpk_lt_i32 s22, 0x100
	v_dual_mov_b32 v30, 0 :: v_dual_mov_b32 v33, 0
	s_cselect_b32 s4, s42, 0
	s_delay_alu instid0(VALU_DEP_2)
	v_add_co_u32 v1, vcc_lo, s34, v3
	s_ashr_i32 s5, s4, 31
	v_add_co_ci_u32_e32 v3, vcc_lo, s35, v4, vcc_lo
	s_lshl_b64 s[4:5], s[4:5], 1
	s_cmpk_lt_i32 s22, 0x200
	v_add_co_u32 v1, vcc_lo, v1, v0
	s_cselect_b32 s6, s42, 64
	v_add_co_ci_u32_e32 v3, vcc_lo, 0, v3, vcc_lo
	s_ashr_i32 s7, s6, 31
	s_delay_alu instid0(VALU_DEP_2)
	v_add_co_u32 v4, vcc_lo, v1, s4
	s_lshl_b64 s[6:7], s[6:7], 1
	s_cmpk_lt_i32 s22, 0x300
	v_add_co_ci_u32_e32 v5, vcc_lo, s5, v3, vcc_lo
	s_cselect_b32 s8, s42, 0x80
	v_add_co_u32 v6, vcc_lo, v1, s6
	s_ashr_i32 s9, s8, 31
	v_add_co_ci_u32_e32 v7, vcc_lo, s7, v3, vcc_lo
	s_lshl_b64 s[8:9], s[8:9], 1
	s_cmpk_lt_i32 s22, 0x400
	v_add_co_u32 v8, vcc_lo, v1, s8
	s_cselect_b32 s10, s42, 0xc0
	v_add_co_ci_u32_e32 v9, vcc_lo, s9, v3, vcc_lo
	s_ashr_i32 s11, s10, 31
	v_dual_mov_b32 v32, 0 :: v_dual_mov_b32 v35, 0
	s_lshl_b64 s[10:11], s[10:11], 1
	s_cmpk_lt_i32 s22, 0x500
	v_add_co_u32 v11, vcc_lo, v1, s10
	s_cselect_b32 s18, s42, 0x100
	v_add_co_ci_u32_e32 v12, vcc_lo, s11, v3, vcc_lo
	s_ashr_i32 s19, s18, 31
	v_mov_b32_e32 v34, 0
	s_lshl_b64 s[18:19], s[18:19], 1
	s_cmpk_lt_i32 s22, 0x600
	v_add_co_u32 v14, vcc_lo, v1, s18
	s_cselect_b32 s20, s42, 0x140
	v_add_co_ci_u32_e32 v15, vcc_lo, s19, v3, vcc_lo
	s_ashr_i32 s21, s20, 31
	v_mov_b32_e32 v31, 0
	s_lshl_b64 s[20:21], s[20:21], 1
	s_cmpk_lt_i32 s22, 0x700
	v_add_co_u32 v16, vcc_lo, v1, s20
	s_cselect_b32 s24, s42, 0x180
	v_add_co_ci_u32_e32 v17, vcc_lo, s21, v3, vcc_lo
	s_ashr_i32 s25, s24, 31
	s_delay_alu instid0(SALU_CYCLE_1)
	s_lshl_b64 s[24:25], s[24:25], 1
	s_cmpk_lt_i32 s22, 0x800
	v_add_co_u32 v18, vcc_lo, v1, s24
	s_cselect_b32 s26, s42, 0x1c0
	v_add_co_ci_u32_e32 v19, vcc_lo, s25, v3, vcc_lo
	s_ashr_i32 s27, s26, 31
	s_delay_alu instid0(SALU_CYCLE_1)
	s_lshl_b64 s[26:27], s[26:27], 1
	s_cmpk_lt_i32 s22, 0x900
	v_add_co_u32 v20, vcc_lo, v1, s26
	s_cselect_b32 s28, s42, 0x200
	v_add_co_ci_u32_e32 v21, vcc_lo, s27, v3, vcc_lo
	s_ashr_i32 s29, s28, 31
	s_clause 0x7
	global_load_u16 v13, v[4:5], off
	global_load_u16 v4, v[6:7], off
	;; [unrolled: 1-line block ×8, first 2 shown]
	s_lshl_b64 s[28:29], s[28:29], 1
	s_cmpk_lt_i32 s22, 0xa00
	v_add_co_u32 v11, vcc_lo, v1, s28
	s_cselect_b32 s30, s42, 0x240
	v_add_co_ci_u32_e32 v12, vcc_lo, s29, v3, vcc_lo
	s_ashr_i32 s31, s30, 31
	s_delay_alu instid0(SALU_CYCLE_1)
	s_lshl_b64 s[30:31], s[30:31], 1
	s_cmpk_lt_i32 s22, 0xb00
	v_add_co_u32 v14, vcc_lo, v1, s30
	s_cselect_b32 s34, s42, 0x280
	v_add_co_ci_u32_e32 v15, vcc_lo, s31, v3, vcc_lo
	s_ashr_i32 s35, s34, 31
	s_delay_alu instid0(SALU_CYCLE_1)
	;; [unrolled: 7-line block ×7, first 2 shown]
	s_lshl_b64 s[4:5], s[6:7], 1
	s_cmpk_gt_i32 s23, 0x1000
	v_add_co_u32 v28, vcc_lo, v1, s4
	v_add_co_ci_u32_e32 v29, vcc_lo, s5, v3, vcc_lo
	s_clause 0x7
	global_load_u16 v19, v[11:12], off
	global_load_u16 v18, v[14:15], off
	;; [unrolled: 1-line block ×8, first 2 shown]
	v_dual_mov_b32 v20, 0 :: v_dual_mov_b32 v23, 0
	v_dual_mov_b32 v21, 0 :: v_dual_mov_b32 v22, 0
	;; [unrolled: 1-line block ×5, first 2 shown]
	s_cselect_b32 s6, -1, 0
	s_cmpk_lt_i32 s23, 0x1001
	s_waitcnt vmcnt(0)
	s_barrier
	buffer_gl0_inv
	s_cbranch_scc1 .LBB475_11
; %bb.10:
	s_cmpk_lt_i32 s22, 0x1100
	s_cselect_b32 s4, s42, 0x400
	s_delay_alu instid0(SALU_CYCLE_1) | instskip(NEXT) | instid1(SALU_CYCLE_1)
	s_ashr_i32 s5, s4, 31
	s_lshl_b64 s[4:5], s[4:5], 1
	s_cmpk_lt_i32 s22, 0x1200
	v_add_co_u32 v20, vcc_lo, v1, s4
	s_cselect_b32 s8, s42, 0x440
	v_add_co_ci_u32_e32 v21, vcc_lo, s5, v3, vcc_lo
	s_ashr_i32 s9, s8, 31
	s_delay_alu instid0(SALU_CYCLE_1)
	s_lshl_b64 s[8:9], s[8:9], 1
	s_cmpk_lt_i32 s22, 0x1300
	v_add_co_u32 v22, vcc_lo, v1, s8
	s_cselect_b32 s10, s42, 0x480
	v_add_co_ci_u32_e32 v23, vcc_lo, s9, v3, vcc_lo
	s_ashr_i32 s11, s10, 31
	s_delay_alu instid0(SALU_CYCLE_1)
	;; [unrolled: 7-line block ×14, first 2 shown]
	s_lshl_b64 s[4:5], s[18:19], 1
	s_cmpk_lt_i32 s22, 0x2000
	v_add_co_u32 v48, vcc_lo, v1, s4
	s_cselect_b32 s8, s42, 0x7c0
	v_add_co_ci_u32_e32 v49, vcc_lo, s5, v3, vcc_lo
	s_ashr_i32 s9, s8, 31
	s_delay_alu instid0(SALU_CYCLE_1) | instskip(NEXT) | instid1(SALU_CYCLE_1)
	s_lshl_b64 s[4:5], s[8:9], 1
	v_add_co_u32 v50, vcc_lo, v1, s4
	v_add_co_ci_u32_e32 v51, vcc_lo, s5, v3, vcc_lo
	s_clause 0xf
	global_load_u16 v20, v[20:21], off
	global_load_u16 v21, v[22:23], off
	;; [unrolled: 1-line block ×16, first 2 shown]
	s_waitcnt vmcnt(15)
	v_lshlrev_b32_e32 v35, 16, v20
	s_waitcnt vmcnt(14)
	v_lshlrev_b32_e32 v34, 16, v21
	s_waitcnt vmcnt(13)
	v_lshlrev_b32_e32 v33, 16, v22
	s_waitcnt vmcnt(12)
	v_lshlrev_b32_e32 v32, 16, v23
	s_waitcnt vmcnt(11)
	v_lshlrev_b32_e32 v31, 16, v24
	s_waitcnt vmcnt(10)
	v_lshlrev_b32_e32 v30, 16, v25
	s_waitcnt vmcnt(9)
	v_lshlrev_b32_e32 v29, 16, v26
	s_waitcnt vmcnt(8)
	v_lshlrev_b32_e32 v28, 16, v27
	s_waitcnt vmcnt(7)
	v_lshlrev_b32_e32 v27, 16, v36
	s_waitcnt vmcnt(6)
	v_lshlrev_b32_e32 v26, 16, v37
	s_waitcnt vmcnt(5)
	v_lshlrev_b32_e32 v25, 16, v38
	s_waitcnt vmcnt(4)
	v_lshlrev_b32_e32 v24, 16, v39
	s_waitcnt vmcnt(3)
	v_lshlrev_b32_e32 v23, 16, v40
	s_waitcnt vmcnt(2)
	v_lshlrev_b32_e32 v22, 16, v41
	s_waitcnt vmcnt(1)
	v_lshlrev_b32_e32 v21, 16, v42
	s_waitcnt vmcnt(0)
	v_lshlrev_b32_e32 v20, 16, v43
.LBB475_11:
	ds_load_b128 v[36:39], v2
	ds_load_b128 v[40:43], v2 offset:16
	v_lshlrev_b32_e32 v44, 16, v4
	v_lshlrev_b32_e32 v13, 16, v13
	;; [unrolled: 1-line block ×5, first 2 shown]
	s_load_b64 s[0:1], s[0:1], 0x0
	s_and_b32 vcc_lo, exec_lo, s6
	v_lshlrev_b32_e32 v5, 16, v5
	s_waitcnt lgkmcnt(0)
	v_fma_f32 v4, v36, v13, 0
	s_delay_alu instid0(VALU_DEP_1) | instskip(NEXT) | instid1(VALU_DEP_1)
	v_dual_fmac_f32 v4, v37, v44 :: v_dual_lshlrev_b32 v13, 16, v7
	v_dual_fmac_f32 v4, v38, v10 :: v_dual_lshlrev_b32 v9, 16, v9
	s_delay_alu instid0(VALU_DEP_1) | instskip(SKIP_4) | instid1(VALU_DEP_1)
	v_fmac_f32_e32 v4, v39, v9
	ds_load_b128 v[36:39], v2 offset:48
	v_fmac_f32_e32 v4, v40, v8
	ds_load_b128 v[7:10], v2 offset:32
	v_fmac_f32_e32 v4, v41, v13
	v_fmac_f32_e32 v4, v42, v6
	v_lshlrev_b32_e32 v6, 16, v19
	s_delay_alu instid0(VALU_DEP_2) | instskip(SKIP_1) | instid1(VALU_DEP_1)
	v_dual_fmac_f32 v4, v43, v5 :: v_dual_lshlrev_b32 v5, 16, v18
	s_waitcnt lgkmcnt(0)
	v_fmac_f32_e32 v4, v7, v6
	v_lshlrev_b32_e32 v6, 16, v17
	s_delay_alu instid0(VALU_DEP_2) | instskip(NEXT) | instid1(VALU_DEP_1)
	v_dual_fmac_f32 v4, v8, v5 :: v_dual_lshlrev_b32 v5, 16, v16
	v_fmac_f32_e32 v4, v9, v6
	v_lshlrev_b32_e32 v6, 16, v15
	s_delay_alu instid0(VALU_DEP_2) | instskip(NEXT) | instid1(VALU_DEP_1)
	v_dual_fmac_f32 v4, v10, v5 :: v_dual_lshlrev_b32 v5, 16, v14
	;; [unrolled: 4-line block ×3, first 2 shown]
	v_fmac_f32_e32 v4, v38, v6
	s_delay_alu instid0(VALU_DEP_1)
	v_fmac_f32_e32 v4, v39, v5
	s_cbranch_vccz .LBB475_13
; %bb.12:
	ds_load_b128 v[5:8], v2 offset:64
	ds_load_b128 v[9:12], v2 offset:80
	s_waitcnt lgkmcnt(1)
	v_fmac_f32_e32 v4, v5, v35
	s_delay_alu instid0(VALU_DEP_1) | instskip(NEXT) | instid1(VALU_DEP_1)
	v_fmac_f32_e32 v4, v6, v34
	v_fmac_f32_e32 v4, v7, v33
	s_delay_alu instid0(VALU_DEP_1) | instskip(SKIP_3) | instid1(VALU_DEP_1)
	v_fmac_f32_e32 v4, v8, v32
	ds_load_b128 v[5:8], v2 offset:96
	s_waitcnt lgkmcnt(1)
	v_fmac_f32_e32 v4, v9, v31
	v_fmac_f32_e32 v4, v10, v30
	s_delay_alu instid0(VALU_DEP_1) | instskip(NEXT) | instid1(VALU_DEP_1)
	v_fmac_f32_e32 v4, v11, v29
	v_fmac_f32_e32 v4, v12, v28
	ds_load_b128 v[9:12], v2 offset:112
	s_waitcnt lgkmcnt(1)
	v_fmac_f32_e32 v4, v5, v27
	s_delay_alu instid0(VALU_DEP_1) | instskip(NEXT) | instid1(VALU_DEP_1)
	v_fmac_f32_e32 v4, v6, v26
	v_fmac_f32_e32 v4, v7, v25
	s_delay_alu instid0(VALU_DEP_1) | instskip(SKIP_1) | instid1(VALU_DEP_1)
	v_fmac_f32_e32 v4, v8, v24
	s_waitcnt lgkmcnt(0)
	v_fmac_f32_e32 v4, v9, v23
	s_delay_alu instid0(VALU_DEP_1) | instskip(NEXT) | instid1(VALU_DEP_1)
	v_fmac_f32_e32 v4, v10, v22
	v_fmac_f32_e32 v4, v11, v21
	s_delay_alu instid0(VALU_DEP_1)
	v_fmac_f32_e32 v4, v12, v20
.LBB475_13:
	s_movk_i32 s43, 0xfc0
	s_movk_i32 s44, 0x80
	s_mov_b32 s45, 32
	s_branch .LBB475_15
.LBB475_14:                             ;   in Loop: Header=BB475_15 Depth=1
	s_addk_i32 s43, 0x800
	s_addk_i32 s44, 0x80
	s_add_i32 s45, s45, 32
	s_cmpk_eq_i32 s43, 0x77c0
	s_cbranch_scc1 .LBB475_17
.LBB475_15:                             ; =>This Inner Loop Header: Depth=1
	s_cmp_le_i32 s40, s45
	s_cbranch_scc1 .LBB475_14
; %bb.16:                               ;   in Loop: Header=BB475_15 Depth=1
	s_add_i32 s4, s43, 0xfffff840
	v_mov_b32_e32 v44, s44
	s_cmp_lt_i32 s4, s41
	s_cselect_b32 s4, s4, s42
	s_add_i32 s6, s43, 0xfffff880
	s_ashr_i32 s5, s4, 31
	s_delay_alu instid0(SALU_CYCLE_1)
	s_lshl_b64 s[38:39], s[4:5], 1
	s_cmp_lt_i32 s6, s41
	v_add_co_u32 v5, vcc_lo, v1, s38
	s_cselect_b32 s4, s6, s42
	s_add_i32 s6, s43, 0xfffff8c0
	s_ashr_i32 s5, s4, 31
	v_add_co_ci_u32_e32 v6, vcc_lo, s39, v3, vcc_lo
	s_lshl_b64 s[4:5], s[4:5], 1
	s_cmp_lt_i32 s6, s41
	s_cselect_b32 s6, s6, s42
	s_add_i32 s8, s43, 0xfffff900
	s_ashr_i32 s7, s6, 31
	global_load_u16 v2, v[5:6], off
	s_lshl_b64 s[6:7], s[6:7], 1
	s_cmp_lt_i32 s8, s41
	v_add_co_u32 v5, vcc_lo, v1, s4
	s_cselect_b32 s8, s8, s42
	s_add_i32 s10, s43, 0xfffff940
	s_ashr_i32 s9, s8, 31
	v_add_co_ci_u32_e32 v6, vcc_lo, s5, v3, vcc_lo
	s_lshl_b64 s[8:9], s[8:9], 1
	s_cmp_lt_i32 s10, s41
	v_add_co_u32 v7, vcc_lo, v1, s6
	s_cselect_b32 s10, s10, s42
	s_add_i32 s18, s43, 0xfffff980
	s_ashr_i32 s11, s10, 31
	v_add_co_ci_u32_e32 v8, vcc_lo, s7, v3, vcc_lo
	s_lshl_b64 s[10:11], s[10:11], 1
	s_cmp_lt_i32 s18, s41
	v_add_co_u32 v9, vcc_lo, v1, s8
	s_cselect_b32 s18, s18, s42
	s_add_i32 s20, s43, 0xfffff9c0
	s_ashr_i32 s19, s18, 31
	s_clause 0x1
	global_load_u16 v23, v[5:6], off
	global_load_u16 v24, v[7:8], off
	s_lshl_b64 s[18:19], s[18:19], 1
	s_cmp_lt_i32 s20, s41
	v_add_co_ci_u32_e32 v10, vcc_lo, s9, v3, vcc_lo
	s_cselect_b32 s20, s20, s42
	s_add_i32 s22, s43, 0xfffffa00
	s_ashr_i32 s21, s20, 31
	global_load_u16 v25, v[9:10], off
	s_lshl_b64 s[20:21], s[20:21], 1
	s_cmp_lt_i32 s22, s41
	v_add_co_u32 v11, vcc_lo, v1, s10
	s_cselect_b32 s22, s22, s42
	s_add_i32 s24, s43, 0xfffffa40
	s_ashr_i32 s23, s22, 31
	v_add_co_ci_u32_e32 v12, vcc_lo, s11, v3, vcc_lo
	s_lshl_b64 s[22:23], s[22:23], 1
	s_cmp_lt_i32 s24, s41
	v_add_co_u32 v13, vcc_lo, v1, s18
	global_load_u16 v26, v[11:12], off
	s_cselect_b32 s24, s24, s42
	s_add_i32 s26, s43, 0xfffffa80
	s_ashr_i32 s25, s24, 31
	v_add_co_ci_u32_e32 v14, vcc_lo, s19, v3, vcc_lo
	s_lshl_b64 s[24:25], s[24:25], 1
	s_cmp_lt_i32 s26, s41
	v_add_co_u32 v15, vcc_lo, v1, s20
	global_load_u16 v27, v[13:14], off
	s_cselect_b32 s26, s26, s42
	s_add_i32 s28, s43, 0xfffffac0
	s_ashr_i32 s27, s26, 31
	v_add_co_ci_u32_e32 v16, vcc_lo, s21, v3, vcc_lo
	s_lshl_b64 s[36:37], s[26:27], 1
	s_cmp_lt_i32 s28, s41
	v_add_co_u32 v17, vcc_lo, v1, s22
	s_cselect_b32 s26, s28, s42
	s_add_i32 s30, s43, 0xfffffb00
	s_ashr_i32 s27, s26, 31
	v_add_co_ci_u32_e32 v18, vcc_lo, s23, v3, vcc_lo
	s_lshl_b64 s[28:29], s[26:27], 1
	s_cmp_lt_i32 s30, s41
	v_add_co_u32 v19, vcc_lo, v1, s24
	global_load_u16 v17, v[17:18], off
	s_cselect_b32 s26, s30, s42
	s_add_i32 s30, s43, 0xfffffb40
	s_ashr_i32 s27, s26, 31
	v_add_co_ci_u32_e32 v20, vcc_lo, s25, v3, vcc_lo
	s_lshl_b64 s[26:27], s[26:27], 1
	s_cmp_lt_i32 s30, s41
	v_add_co_u32 v21, vcc_lo, v1, s36
	s_cselect_b32 s30, s30, s42
	s_add_i32 s46, s43, 0xfffffb80
	s_ashr_i32 s31, s30, 31
	v_add_co_ci_u32_e32 v22, vcc_lo, s37, v3, vcc_lo
	s_lshl_b64 s[34:35], s[30:31], 1
	s_cmp_lt_i32 s46, s41
	v_add_co_u32 v5, vcc_lo, v1, s28
	;; [unrolled: 7-line block ×3, first 2 shown]
	s_cselect_b32 s46, s46, s42
	s_add_i32 s48, s43, 0xfffffc00
	s_ashr_i32 s47, s46, 31
	global_load_u16 v28, v[15:16], off
	s_lshl_b64 s[38:39], s[46:47], 1
	s_cmp_lt_i32 s48, s41
	v_add_co_ci_u32_e32 v8, vcc_lo, s27, v3, vcc_lo
	s_cselect_b32 s46, s48, s42
	v_add_co_u32 v9, vcc_lo, v1, s34
	s_ashr_i32 s47, s46, 31
	s_add_i32 s4, s43, 0xfffffc40
	s_lshl_b64 s[46:47], s[46:47], 1
	v_add_co_ci_u32_e32 v10, vcc_lo, s35, v3, vcc_lo
	s_cmp_lt_i32 s4, s41
	v_add_co_u32 v11, vcc_lo, v1, s30
	s_cselect_b32 s4, s4, s42
	v_add_co_ci_u32_e32 v12, vcc_lo, s31, v3, vcc_lo
	v_add_co_u32 v13, vcc_lo, v1, s38
	s_ashr_i32 s5, s4, 31
	s_add_i32 s6, s43, 0xfffffc80
	v_add_co_ci_u32_e32 v14, vcc_lo, s39, v3, vcc_lo
	global_load_u16 v18, v[19:20], off
	s_lshl_b64 s[8:9], s[4:5], 1
	s_cmp_lt_i32 s6, s41
	global_load_u16 v30, v[13:14], off
	s_cselect_b32 s4, s6, s42
	global_load_u16 v19, v[21:22], off
	s_ashr_i32 s5, s4, 31
	s_add_i32 s6, s43, 0xfffffcc0
	s_lshl_b64 s[10:11], s[4:5], 1
	s_cmp_lt_i32 s6, s41
	s_clause 0x3
	global_load_u16 v20, v[5:6], off
	global_load_u16 v21, v[7:8], off
	;; [unrolled: 1-line block ×4, first 2 shown]
	s_cselect_b32 s4, s6, s42
	s_add_i32 s6, s43, 0xfffffd00
	s_ashr_i32 s5, s4, 31
	v_add_co_u32 v15, vcc_lo, v1, s46
	s_lshl_b64 s[4:5], s[4:5], 1
	s_cmp_lt_i32 s6, s41
	v_add_co_ci_u32_e32 v16, vcc_lo, s47, v3, vcc_lo
	s_cselect_b32 s6, s6, s42
	s_add_i32 s18, s43, 0xfffffd40
	s_ashr_i32 s7, s6, 31
	v_add_co_u32 v5, vcc_lo, v1, s8
	s_lshl_b64 s[6:7], s[6:7], 1
	s_cmp_lt_i32 s18, s41
	v_add_co_ci_u32_e32 v6, vcc_lo, s9, v3, vcc_lo
	s_cselect_b32 s18, s18, s42
	v_add_co_u32 v7, vcc_lo, v1, s10
	s_ashr_i32 s19, s18, 31
	s_add_i32 s20, s43, 0xfffffd80
	s_lshl_b64 s[18:19], s[18:19], 1
	v_add_co_ci_u32_e32 v8, vcc_lo, s11, v3, vcc_lo
	s_cmp_lt_i32 s20, s41
	v_add_co_u32 v9, vcc_lo, v1, s4
	s_cselect_b32 s20, s20, s42
	v_add_co_ci_u32_e32 v10, vcc_lo, s5, v3, vcc_lo
	v_add_co_u32 v11, vcc_lo, v1, s6
	s_ashr_i32 s21, s20, 31
	s_add_i32 s22, s43, 0xfffffdc0
	v_add_co_ci_u32_e32 v12, vcc_lo, s7, v3, vcc_lo
	global_load_u16 v15, v[15:16], off
	s_lshl_b64 s[20:21], s[20:21], 1
	s_cmp_lt_i32 s22, s41
	global_load_u16 v33, v[11:12], off
	s_cselect_b32 s22, s22, s42
	s_clause 0x2
	global_load_u16 v16, v[5:6], off
	global_load_u16 v31, v[7:8], off
	;; [unrolled: 1-line block ×3, first 2 shown]
	s_ashr_i32 s23, s22, 31
	s_add_i32 s24, s43, 0xfffffe00
	s_lshl_b64 s[22:23], s[22:23], 1
	s_cmp_lt_i32 s24, s41
	v_add_co_u32 v13, vcc_lo, v1, s18
	s_cselect_b32 s24, s24, s42
	s_add_i32 s26, s43, 0xfffffe40
	s_ashr_i32 s25, s24, 31
	v_add_co_ci_u32_e32 v14, vcc_lo, s19, v3, vcc_lo
	s_lshl_b64 s[24:25], s[24:25], 1
	s_cmp_lt_i32 s26, s41
	v_add_co_u32 v5, vcc_lo, v1, s20
	s_cselect_b32 s8, s26, s42
	v_add_co_ci_u32_e32 v6, vcc_lo, s21, v3, vcc_lo
	s_ashr_i32 s9, s8, 31
	v_add_co_u32 v7, vcc_lo, v1, s22
	s_add_i32 s10, s43, 0xfffffe80
	s_lshl_b64 s[8:9], s[8:9], 1
	v_add_co_ci_u32_e32 v8, vcc_lo, s23, v3, vcc_lo
	s_cmp_lt_i32 s10, s41
	v_add_co_u32 v9, vcc_lo, v1, s24
	s_cselect_b32 s4, s10, s42
	global_load_u16 v13, v[13:14], off
	v_add_co_ci_u32_e32 v10, vcc_lo, s25, v3, vcc_lo
	s_ashr_i32 s5, s4, 31
	s_add_i32 s6, s43, 0xfffffec0
	s_lshl_b64 s[4:5], s[4:5], 1
	global_load_u16 v35, v[9:10], off
	s_cmp_lt_i32 s6, s41
	s_clause 0x1
	global_load_u16 v14, v[5:6], off
	global_load_u16 v34, v[7:8], off
	s_cselect_b32 s6, s6, s42
	s_add_i32 s10, s43, 0xffffff00
	s_ashr_i32 s7, s6, 31
	v_add_co_u32 v5, vcc_lo, v1, s8
	s_lshl_b64 s[6:7], s[6:7], 1
	s_cmp_lt_i32 s10, s41
	v_add_co_ci_u32_e32 v6, vcc_lo, s9, v3, vcc_lo
	s_cselect_b32 s10, s10, s42
	v_add_co_u32 v7, vcc_lo, v1, s4
	s_ashr_i32 s11, s10, 31
	v_add_co_ci_u32_e32 v8, vcc_lo, s5, v3, vcc_lo
	s_add_i32 s18, s43, 0xffffff40
	s_lshl_b64 s[10:11], s[10:11], 1
	s_cmp_lt_i32 s18, s41
	s_clause 0x1
	global_load_u16 v36, v[5:6], off
	global_load_u16 v37, v[7:8], off
	s_cselect_b32 s18, s18, s42
	v_add_co_u32 v5, vcc_lo, v1, s6
	s_ashr_i32 s19, s18, 31
	v_add_co_ci_u32_e32 v6, vcc_lo, s7, v3, vcc_lo
	s_add_i32 s20, s43, 0xffffff80
	v_add_co_u32 v7, vcc_lo, v1, s10
	s_lshl_b64 s[8:9], s[18:19], 1
	s_cmp_lt_i32 s20, s41
	v_add_co_ci_u32_e32 v8, vcc_lo, s11, v3, vcc_lo
	s_cselect_b32 s4, s20, s42
	global_load_u16 v38, v[5:6], off
	s_ashr_i32 s5, s4, 31
	global_load_u16 v39, v[7:8], off
	s_sub_i32 s18, s43, 64
	v_add_co_u32 v5, vcc_lo, v1, s8
	s_lshl_b64 s[4:5], s[4:5], 1
	s_cmp_lt_i32 s18, s41
	v_add_co_ci_u32_e32 v6, vcc_lo, s9, v3, vcc_lo
	v_add_co_u32 v7, vcc_lo, v1, s4
	s_cselect_b32 s6, s18, s42
	v_add_co_ci_u32_e32 v8, vcc_lo, s5, v3, vcc_lo
	s_ashr_i32 s7, s6, 31
	global_load_u16 v40, v[5:6], off
	s_lshl_b64 s[6:7], s[6:7], 1
	global_load_u16 v41, v[7:8], off
	s_cmp_lt_i32 s43, s41
	v_add_co_u32 v5, vcc_lo, v1, s6
	s_cselect_b32 s4, s43, s42
	v_add_co_ci_u32_e32 v6, vcc_lo, s7, v3, vcc_lo
	s_ashr_i32 s5, s4, 31
	s_delay_alu instid0(SALU_CYCLE_1)
	s_lshl_b64 s[4:5], s[4:5], 1
	global_load_u16 v42, v[5:6], off
	v_add_co_u32 v5, vcc_lo, v1, s4
	v_add_co_ci_u32_e32 v6, vcc_lo, s5, v3, vcc_lo
	global_load_u16 v43, v[5:6], off
	ds_load_b128 v[5:8], v44
	ds_load_b128 v[9:12], v44 offset:16
	s_waitcnt vmcnt(31)
	v_lshlrev_b32_e32 v2, 16, v2
	s_waitcnt lgkmcnt(1)
	s_delay_alu instid0(VALU_DEP_1) | instskip(SKIP_2) | instid1(VALU_DEP_1)
	v_fmac_f32_e32 v4, v5, v2
	s_waitcnt vmcnt(30)
	v_lshlrev_b32_e32 v2, 16, v23
	v_fmac_f32_e32 v4, v6, v2
	s_waitcnt vmcnt(29)
	v_lshlrev_b32_e32 v2, 16, v24
	s_delay_alu instid0(VALU_DEP_1) | instskip(SKIP_2) | instid1(VALU_DEP_1)
	v_fmac_f32_e32 v4, v7, v2
	s_waitcnt vmcnt(28)
	v_lshlrev_b32_e32 v2, 16, v25
	v_fmac_f32_e32 v4, v8, v2
	ds_load_b128 v[5:8], v44 offset:32
	s_waitcnt vmcnt(27)
	v_lshlrev_b32_e32 v2, 16, v26
	s_waitcnt lgkmcnt(1)
	s_delay_alu instid0(VALU_DEP_1) | instskip(SKIP_2) | instid1(VALU_DEP_1)
	v_fmac_f32_e32 v4, v9, v2
	s_waitcnt vmcnt(26)
	v_lshlrev_b32_e32 v2, 16, v27
	v_fmac_f32_e32 v4, v10, v2
	s_waitcnt vmcnt(24)
	v_lshlrev_b32_e32 v2, 16, v28
	s_delay_alu instid0(VALU_DEP_1) | instskip(SKIP_1) | instid1(VALU_DEP_1)
	v_fmac_f32_e32 v4, v11, v2
	v_lshlrev_b32_e32 v2, 16, v17
	v_fmac_f32_e32 v4, v12, v2
	ds_load_b128 v[9:12], v44 offset:48
	s_waitcnt vmcnt(23)
	v_lshlrev_b32_e32 v2, 16, v18
	s_waitcnt lgkmcnt(1)
	s_delay_alu instid0(VALU_DEP_1) | instskip(SKIP_2) | instid1(VALU_DEP_1)
	v_fmac_f32_e32 v4, v5, v2
	s_waitcnt vmcnt(21)
	v_lshlrev_b32_e32 v2, 16, v19
	v_fmac_f32_e32 v4, v6, v2
	s_waitcnt vmcnt(20)
	v_lshlrev_b32_e32 v2, 16, v20
	s_delay_alu instid0(VALU_DEP_1) | instskip(SKIP_2) | instid1(VALU_DEP_1)
	v_fmac_f32_e32 v4, v7, v2
	s_waitcnt vmcnt(19)
	v_lshlrev_b32_e32 v2, 16, v21
	v_fmac_f32_e32 v4, v8, v2
	s_waitcnt vmcnt(18)
	v_lshlrev_b32_e32 v2, 16, v22
	ds_load_b128 v[5:8], v44 offset:64
	s_waitcnt lgkmcnt(1)
	v_fmac_f32_e32 v4, v9, v2
	s_waitcnt vmcnt(17)
	v_lshlrev_b32_e32 v2, 16, v29
	s_delay_alu instid0(VALU_DEP_1) | instskip(SKIP_1) | instid1(VALU_DEP_1)
	v_fmac_f32_e32 v4, v10, v2
	v_lshlrev_b32_e32 v2, 16, v30
	v_fmac_f32_e32 v4, v11, v2
	s_waitcnt vmcnt(16)
	v_lshlrev_b32_e32 v2, 16, v15
	s_delay_alu instid0(VALU_DEP_1) | instskip(SKIP_4) | instid1(VALU_DEP_1)
	v_fmac_f32_e32 v4, v12, v2
	ds_load_b128 v[9:12], v44 offset:80
	s_waitcnt vmcnt(14)
	v_lshlrev_b32_e32 v2, 16, v16
	s_waitcnt lgkmcnt(1)
	v_fmac_f32_e32 v4, v5, v2
	s_waitcnt vmcnt(13)
	v_lshlrev_b32_e32 v2, 16, v31
	s_delay_alu instid0(VALU_DEP_1) | instskip(SKIP_2) | instid1(VALU_DEP_1)
	v_fmac_f32_e32 v4, v6, v2
	s_waitcnt vmcnt(12)
	v_lshlrev_b32_e32 v2, 16, v32
	v_fmac_f32_e32 v4, v7, v2
	v_lshlrev_b32_e32 v2, 16, v33
	s_delay_alu instid0(VALU_DEP_1) | instskip(SKIP_4) | instid1(VALU_DEP_1)
	v_fmac_f32_e32 v4, v8, v2
	ds_load_b128 v[5:8], v44 offset:96
	s_waitcnt vmcnt(11)
	v_lshlrev_b32_e32 v2, 16, v13
	s_waitcnt lgkmcnt(1)
	v_fmac_f32_e32 v4, v9, v2
	s_waitcnt vmcnt(9)
	v_lshlrev_b32_e32 v2, 16, v14
	s_delay_alu instid0(VALU_DEP_1) | instskip(SKIP_2) | instid1(VALU_DEP_1)
	v_fmac_f32_e32 v4, v10, v2
	s_waitcnt vmcnt(8)
	v_lshlrev_b32_e32 v2, 16, v34
	v_fmac_f32_e32 v4, v11, v2
	;; [unrolled: 15-line block ×3, first 2 shown]
	s_waitcnt vmcnt(4)
	v_lshlrev_b32_e32 v2, 16, v39
	s_delay_alu instid0(VALU_DEP_1) | instskip(SKIP_3) | instid1(VALU_DEP_1)
	v_fmac_f32_e32 v4, v8, v2
	s_waitcnt vmcnt(3)
	v_lshlrev_b32_e32 v2, 16, v40
	s_waitcnt lgkmcnt(0)
	v_fmac_f32_e32 v4, v9, v2
	s_waitcnt vmcnt(2)
	v_lshlrev_b32_e32 v2, 16, v41
	s_delay_alu instid0(VALU_DEP_1) | instskip(SKIP_2) | instid1(VALU_DEP_1)
	v_fmac_f32_e32 v4, v10, v2
	s_waitcnt vmcnt(1)
	v_lshlrev_b32_e32 v2, 16, v42
	v_fmac_f32_e32 v4, v11, v2
	s_waitcnt vmcnt(0)
	v_lshlrev_b32_e32 v2, 16, v43
	s_delay_alu instid0(VALU_DEP_1)
	v_fmac_f32_e32 v4, v12, v2
	s_branch .LBB475_14
.LBB475_17:
	v_mov_b32_e32 v1, 0
	s_and_b32 vcc_lo, exec_lo, s15
	ds_load_b32 v1, v1 offset:1792
	s_cbranch_vccz .LBB475_19
; %bb.18:
	s_add_u32 s2, s12, s16
	s_addc_u32 s3, s13, s17
	s_load_b32 s2, s[2:3], 0x0
	s_mov_b32 s3, 0
.LBB475_19:
	s_waitcnt lgkmcnt(0)
	v_add_f32_e32 v1, 0x358637bd, v1
	s_delay_alu instid0(VALU_DEP_1) | instskip(NEXT) | instid1(VALU_DEP_1)
	v_div_scale_f32 v2, null, v1, v1, 1.0
	v_rcp_f32_e32 v3, v2
	s_waitcnt_depctr 0xfff
	v_fma_f32 v5, -v2, v3, 1.0
	s_delay_alu instid0(VALU_DEP_1) | instskip(SKIP_1) | instid1(VALU_DEP_1)
	v_fmac_f32_e32 v3, v5, v3
	v_div_scale_f32 v5, vcc_lo, 1.0, v1, 1.0
	v_mul_f32_e32 v6, v5, v3
	s_delay_alu instid0(VALU_DEP_1) | instskip(NEXT) | instid1(VALU_DEP_1)
	v_fma_f32 v7, -v2, v6, v5
	v_fmac_f32_e32 v6, v7, v3
	s_delay_alu instid0(VALU_DEP_1) | instskip(NEXT) | instid1(VALU_DEP_1)
	v_fma_f32 v2, -v2, v6, v5
	v_div_fmas_f32 v2, v2, v3, v6
	s_delay_alu instid0(VALU_DEP_1) | instskip(NEXT) | instid1(VALU_DEP_1)
	v_div_fixup_f32 v1, v2, v1, 1.0
	v_mul_f32_e32 v2, v4, v1
	s_delay_alu instid0(VALU_DEP_1) | instskip(NEXT) | instid1(VALU_DEP_1)
	v_and_b32_e32 v1, 0x7f800000, v2
	v_cmp_ne_u32_e32 vcc_lo, 0x7f800000, v1
                                        ; implicit-def: $vgpr1
	s_and_saveexec_b32 s4, vcc_lo
	s_delay_alu instid0(SALU_CYCLE_1)
	s_xor_b32 s4, exec_lo, s4
; %bb.20:
	v_bfe_u32 v1, v2, 16, 1
	s_delay_alu instid0(VALU_DEP_1)
	v_add3_u32 v1, v2, v1, 0x7fff
                                        ; implicit-def: $vgpr2
; %bb.21:
	s_and_not1_saveexec_b32 s4, s4
; %bb.22:
	v_and_b32_e32 v1, 0xffff, v2
	v_or_b32_e32 v3, 0x10000, v2
	s_delay_alu instid0(VALU_DEP_2) | instskip(NEXT) | instid1(VALU_DEP_2)
	v_cmp_eq_u32_e32 vcc_lo, 0, v1
	v_cndmask_b32_e32 v1, v3, v2, vcc_lo
; %bb.23:
	s_or_b32 exec_lo, exec_lo, s4
	s_mul_i32 s3, s33, s3
	s_mul_hi_u32 s4, s33, s2
	s_mul_i32 s2, s33, s2
	s_add_i32 s3, s4, s3
	s_mov_b32 s15, 0
	s_lshl_b64 s[2:3], s[2:3], 7
	s_delay_alu instid0(SALU_CYCLE_1) | instskip(SKIP_2) | instid1(SALU_CYCLE_1)
	s_add_u32 s2, s0, s2
	s_addc_u32 s3, s1, s3
	s_lshl_b64 s[0:1], s[14:15], 7
	s_add_u32 s0, s2, s0
	s_addc_u32 s1, s3, s1
	global_store_d16_hi_b16 v0, v1, s[0:1]
	s_nop 0
	s_sendmsg sendmsg(MSG_DEALLOC_VGPRS)
	s_endpgm
.LBB475_24:
	s_mov_b32 s4, 0
	s_branch .LBB475_2
	.section	.rodata,"a",@progbits
	.p2align	6, 0x0
	.amdhsa_kernel _Z35paged_attention_ll4mi_reduce_kernelI14__hip_bfloat16S0_Li64ELi64ELi256ELi14EEvPT0_PKfS4_PKT_PKiS9_iS4_
		.amdhsa_group_segment_fixed_size 1796
		.amdhsa_private_segment_fixed_size 0
		.amdhsa_kernarg_size 320
		.amdhsa_user_sgpr_count 14
		.amdhsa_user_sgpr_dispatch_ptr 0
		.amdhsa_user_sgpr_queue_ptr 0
		.amdhsa_user_sgpr_kernarg_segment_ptr 1
		.amdhsa_user_sgpr_dispatch_id 0
		.amdhsa_user_sgpr_private_segment_size 0
		.amdhsa_wavefront_size32 1
		.amdhsa_uses_dynamic_stack 0
		.amdhsa_enable_private_segment 0
		.amdhsa_system_sgpr_workgroup_id_x 1
		.amdhsa_system_sgpr_workgroup_id_y 1
		.amdhsa_system_sgpr_workgroup_id_z 0
		.amdhsa_system_sgpr_workgroup_info 0
		.amdhsa_system_vgpr_workitem_id 0
		.amdhsa_next_free_vgpr 77
		.amdhsa_next_free_sgpr 49
		.amdhsa_reserve_vcc 1
		.amdhsa_float_round_mode_32 0
		.amdhsa_float_round_mode_16_64 0
		.amdhsa_float_denorm_mode_32 3
		.amdhsa_float_denorm_mode_16_64 3
		.amdhsa_dx10_clamp 1
		.amdhsa_ieee_mode 1
		.amdhsa_fp16_overflow 0
		.amdhsa_workgroup_processor_mode 1
		.amdhsa_memory_ordered 1
		.amdhsa_forward_progress 0
		.amdhsa_shared_vgpr_count 0
		.amdhsa_exception_fp_ieee_invalid_op 0
		.amdhsa_exception_fp_denorm_src 0
		.amdhsa_exception_fp_ieee_div_zero 0
		.amdhsa_exception_fp_ieee_overflow 0
		.amdhsa_exception_fp_ieee_underflow 0
		.amdhsa_exception_fp_ieee_inexact 0
		.amdhsa_exception_int_div_zero 0
	.end_amdhsa_kernel
	.section	.text._Z35paged_attention_ll4mi_reduce_kernelI14__hip_bfloat16S0_Li64ELi64ELi256ELi14EEvPT0_PKfS4_PKT_PKiS9_iS4_,"axG",@progbits,_Z35paged_attention_ll4mi_reduce_kernelI14__hip_bfloat16S0_Li64ELi64ELi256ELi14EEvPT0_PKfS4_PKT_PKiS9_iS4_,comdat
.Lfunc_end475:
	.size	_Z35paged_attention_ll4mi_reduce_kernelI14__hip_bfloat16S0_Li64ELi64ELi256ELi14EEvPT0_PKfS4_PKT_PKiS9_iS4_, .Lfunc_end475-_Z35paged_attention_ll4mi_reduce_kernelI14__hip_bfloat16S0_Li64ELi64ELi256ELi14EEvPT0_PKfS4_PKT_PKiS9_iS4_
                                        ; -- End function
	.section	.AMDGPU.csdata,"",@progbits
; Kernel info:
; codeLenInByte = 7856
; NumSgprs: 51
; NumVgprs: 77
; ScratchSize: 0
; MemoryBound: 0
; FloatMode: 240
; IeeeMode: 1
; LDSByteSize: 1796 bytes/workgroup (compile time only)
; SGPRBlocks: 6
; VGPRBlocks: 9
; NumSGPRsForWavesPerEU: 51
; NumVGPRsForWavesPerEU: 77
; Occupancy: 16
; WaveLimiterHint : 0
; COMPUTE_PGM_RSRC2:SCRATCH_EN: 0
; COMPUTE_PGM_RSRC2:USER_SGPR: 14
; COMPUTE_PGM_RSRC2:TRAP_HANDLER: 0
; COMPUTE_PGM_RSRC2:TGID_X_EN: 1
; COMPUTE_PGM_RSRC2:TGID_Y_EN: 1
; COMPUTE_PGM_RSRC2:TGID_Z_EN: 0
; COMPUTE_PGM_RSRC2:TIDIG_COMP_CNT: 0
	.section	.text._Z35paged_attention_ll4mi_reduce_kernelI14__hip_bfloat16S0_Li64ELi64ELi256ELi15EEvPT0_PKfS4_PKT_PKiS9_iS4_,"axG",@progbits,_Z35paged_attention_ll4mi_reduce_kernelI14__hip_bfloat16S0_Li64ELi64ELi256ELi15EEvPT0_PKfS4_PKT_PKiS9_iS4_,comdat
	.protected	_Z35paged_attention_ll4mi_reduce_kernelI14__hip_bfloat16S0_Li64ELi64ELi256ELi15EEvPT0_PKfS4_PKT_PKiS9_iS4_ ; -- Begin function _Z35paged_attention_ll4mi_reduce_kernelI14__hip_bfloat16S0_Li64ELi64ELi256ELi15EEvPT0_PKfS4_PKT_PKiS9_iS4_
	.globl	_Z35paged_attention_ll4mi_reduce_kernelI14__hip_bfloat16S0_Li64ELi64ELi256ELi15EEvPT0_PKfS4_PKT_PKiS9_iS4_
	.p2align	8
	.type	_Z35paged_attention_ll4mi_reduce_kernelI14__hip_bfloat16S0_Li64ELi64ELi256ELi15EEvPT0_PKfS4_PKT_PKiS9_iS4_,@function
_Z35paged_attention_ll4mi_reduce_kernelI14__hip_bfloat16S0_Li64ELi64ELi256ELi15EEvPT0_PKfS4_PKT_PKiS9_iS4_: ; @_Z35paged_attention_ll4mi_reduce_kernelI14__hip_bfloat16S0_Li64ELi64ELi256ELi15EEvPT0_PKfS4_PKT_PKiS9_iS4_
; %bb.0:
	s_load_b64 s[12:13], s[0:1], 0x28
	s_mov_b32 s2, s15
	s_waitcnt lgkmcnt(0)
	s_cmp_lg_u64 s[12:13], 0
	s_cselect_b32 s15, -1, 0
	s_delay_alu instid0(SALU_CYCLE_1)
	s_and_b32 vcc_lo, exec_lo, s15
	s_cbranch_vccz .LBB476_24
; %bb.1:
	s_add_i32 s4, s2, 1
	s_mov_b32 s5, 0
	s_delay_alu instid0(SALU_CYCLE_1) | instskip(SKIP_4) | instid1(SALU_CYCLE_1)
	s_lshl_b64 s[6:7], s[4:5], 2
	s_mov_b32 s3, s5
	s_add_u32 s6, s12, s6
	s_addc_u32 s7, s13, s7
	s_lshl_b64 s[8:9], s[2:3], 2
	s_add_u32 s8, s12, s8
	s_addc_u32 s9, s13, s9
	s_clause 0x1
	s_load_b32 s4, s[6:7], 0x0
	s_load_b32 s6, s[8:9], 0x0
	s_waitcnt lgkmcnt(0)
	s_sub_i32 s4, s4, s6
	s_delay_alu instid0(SALU_CYCLE_1)
	s_cmp_eq_u32 s4, 1
	s_cselect_b32 s4, -1, 0
	s_cbranch_execnz .LBB476_3
.LBB476_2:
	s_mov_b32 s3, 0
	s_mov_b32 s4, -1
.LBB476_3:
	s_delay_alu instid0(SALU_CYCLE_1)
	s_and_not1_b32 vcc_lo, exec_lo, s4
	s_cbranch_vccz .LBB476_5
; %bb.4:
	s_endpgm
.LBB476_5:
	s_clause 0x1
	s_load_b128 s[4:7], s[0:1], 0x18
	s_load_b32 s9, s[0:1], 0x30
	s_lshl_b64 s[16:17], s[2:3], 2
	s_waitcnt lgkmcnt(0)
	s_add_u32 s6, s6, s16
	s_addc_u32 s7, s7, s17
	s_load_b32 s23, s[6:7], 0x0
	s_load_b32 s33, s[0:1], 0x40
	s_mul_i32 s7, s2, s9
	s_waitcnt lgkmcnt(0)
	s_add_i32 s22, s23, 0xff
	s_delay_alu instid0(SALU_CYCLE_1) | instskip(NEXT) | instid1(SALU_CYCLE_1)
	s_ashr_i32 s6, s22, 31
	s_lshr_b32 s6, s6, 24
	s_delay_alu instid0(SALU_CYCLE_1) | instskip(SKIP_4) | instid1(SALU_CYCLE_1)
	s_add_i32 s8, s22, s6
	s_mul_i32 s6, s14, s9
	s_mov_b32 s9, exec_lo
	v_cmpx_lt_u32_e32 31, v0
	s_xor_b32 s9, exec_lo, s9
	s_or_saveexec_b32 s24, s9
	v_mov_b32_e32 v1, s6
	s_ashr_i32 s40, s8, 8
	s_mul_i32 s18, s7, s33
	s_xor_b32 exec_lo, exec_lo, s24
	s_cbranch_execz .LBB476_9
; %bb.6:
	v_or_b32_e32 v2, 32, v0
	v_cmp_gt_i32_e32 vcc_lo, s40, v0
	s_add_i32 s20, s40, -1
	v_or_b32_e32 v4, 64, v0
	v_or_b32_e32 v6, 0xa0, v0
	s_load_b128 s[8:11], s[0:1], 0x8
	v_cndmask_b32_e32 v1, s20, v0, vcc_lo
	v_cmp_gt_i32_e32 vcc_lo, s40, v2
	s_mov_b32 s19, 0
	s_delay_alu instid0(SALU_CYCLE_1)
	s_mov_b32 s7, s19
	v_cndmask_b32_e32 v3, s20, v2, vcc_lo
	v_or_b32_e32 v2, 0x60, v0
	v_cmp_gt_i32_e32 vcc_lo, s40, v4
	v_cndmask_b32_e32 v5, s20, v4, vcc_lo
	v_or_b32_e32 v4, 0x80, v0
	s_delay_alu instid0(VALU_DEP_4) | instskip(SKIP_1) | instid1(VALU_DEP_3)
	v_cmp_gt_i32_e32 vcc_lo, s40, v2
	v_cndmask_b32_e32 v7, s20, v2, vcc_lo
	v_cmp_gt_i32_e32 vcc_lo, s40, v4
	v_or_b32_e32 v2, 0xc0, v0
	s_delay_alu instid0(VALU_DEP_3) | instskip(SKIP_3) | instid1(VALU_DEP_3)
	v_ashrrev_i32_e32 v8, 31, v7
	v_cndmask_b32_e32 v9, s20, v4, vcc_lo
	v_cmp_gt_i32_e32 vcc_lo, s40, v6
	v_or_b32_e32 v4, 0xe0, v0
	v_ashrrev_i32_e32 v10, 31, v9
	v_cndmask_b32_e32 v11, s20, v6, vcc_lo
	v_cmp_gt_i32_e32 vcc_lo, s40, v2
	v_or_b32_e32 v6, 0x120, v0
	s_delay_alu instid0(VALU_DEP_3) | instskip(SKIP_3) | instid1(VALU_DEP_3)
	v_ashrrev_i32_e32 v12, 31, v11
	v_cndmask_b32_e32 v13, s20, v2, vcc_lo
	v_or_b32_e32 v2, 0x100, v0
	v_cmp_gt_i32_e32 vcc_lo, s40, v4
	v_ashrrev_i32_e32 v14, 31, v13
	v_cndmask_b32_e32 v15, s20, v4, vcc_lo
	s_delay_alu instid0(VALU_DEP_4) | instskip(SKIP_1) | instid1(VALU_DEP_3)
	v_cmp_gt_i32_e32 vcc_lo, s40, v2
	v_or_b32_e32 v4, 0x140, v0
	v_ashrrev_i32_e32 v16, 31, v15
	v_cndmask_b32_e32 v17, s20, v2, vcc_lo
	v_cmp_gt_i32_e32 vcc_lo, s40, v6
	v_or_b32_e32 v2, 0x160, v0
	s_delay_alu instid0(VALU_DEP_3) | instskip(SKIP_3) | instid1(VALU_DEP_3)
	v_ashrrev_i32_e32 v18, 31, v17
	v_cndmask_b32_e32 v19, s20, v6, vcc_lo
	v_cmp_gt_i32_e32 vcc_lo, s40, v4
	v_or_b32_e32 v6, 0x1a0, v0
	v_ashrrev_i32_e32 v20, 31, v19
	v_cndmask_b32_e32 v21, s20, v4, vcc_lo
	v_or_b32_e32 v4, 0x180, v0
	v_cmp_gt_i32_e32 vcc_lo, s40, v2
	s_delay_alu instid0(VALU_DEP_3) | instskip(SKIP_1) | instid1(VALU_DEP_4)
	v_ashrrev_i32_e32 v22, 31, v21
	v_cndmask_b32_e32 v23, s20, v2, vcc_lo
	v_cmp_gt_i32_e32 vcc_lo, s40, v4
	v_or_b32_e32 v2, 0x1c0, v0
	s_delay_alu instid0(VALU_DEP_3) | instskip(SKIP_3) | instid1(VALU_DEP_3)
	v_ashrrev_i32_e32 v24, 31, v23
	v_cndmask_b32_e32 v25, s20, v4, vcc_lo
	v_cmp_gt_i32_e32 vcc_lo, s40, v6
	v_ashrrev_i32_e32 v4, 31, v3
	v_ashrrev_i32_e32 v26, 31, v25
	v_cndmask_b32_e32 v27, s20, v6, vcc_lo
	v_cmp_gt_i32_e32 vcc_lo, s40, v2
	v_ashrrev_i32_e32 v6, 31, v5
	v_lshlrev_b64 v[33:34], 2, v[3:4]
	s_delay_alu instid0(VALU_DEP_4)
	v_ashrrev_i32_e32 v28, 31, v27
	v_cndmask_b32_e32 v29, s20, v2, vcc_lo
	v_ashrrev_i32_e32 v2, 31, v1
	s_lshl_b64 s[20:21], s[18:19], 2
	v_lshlrev_b64 v[4:5], 2, v[5:6]
	s_waitcnt lgkmcnt(0)
	s_add_u32 s19, s10, s20
	s_addc_u32 s25, s11, s21
	v_lshlrev_b64 v[31:32], 2, v[1:2]
	s_lshl_b64 s[10:11], s[6:7], 2
	v_lshlrev_b64 v[6:7], 2, v[7:8]
	s_add_u32 s7, s19, s10
	s_addc_u32 s19, s25, s11
	v_lshlrev_b64 v[8:9], 2, v[9:10]
	v_add_co_u32 v1, vcc_lo, s7, v31
	v_add_co_ci_u32_e32 v2, vcc_lo, s19, v32, vcc_lo
	v_add_co_u32 v35, vcc_lo, s7, v33
	v_add_co_ci_u32_e32 v36, vcc_lo, s19, v34, vcc_lo
	;; [unrolled: 2-line block ×3, first 2 shown]
	v_add_co_u32 v39, vcc_lo, s7, v6
	v_lshlrev_b64 v[10:11], 2, v[11:12]
	v_add_co_ci_u32_e32 v40, vcc_lo, s19, v7, vcc_lo
	v_add_co_u32 v41, vcc_lo, s7, v8
	v_lshlrev_b64 v[12:13], 2, v[13:14]
	v_add_co_ci_u32_e32 v42, vcc_lo, s19, v9, vcc_lo
	;; [unrolled: 3-line block ×5, first 2 shown]
	s_clause 0x7
	global_load_b32 v49, v[1:2], off
	global_load_b32 v50, v[35:36], off
	;; [unrolled: 1-line block ×8, first 2 shown]
	v_add_co_u32 v1, vcc_lo, s7, v16
	v_lshlrev_b64 v[20:21], 2, v[21:22]
	v_add_co_ci_u32_e32 v2, vcc_lo, s19, v17, vcc_lo
	v_add_co_u32 v35, vcc_lo, s7, v18
	v_add_co_ci_u32_e32 v36, vcc_lo, s19, v19, vcc_lo
	v_lshlrev_b64 v[22:23], 2, v[23:24]
	v_add_co_u32 v37, vcc_lo, s7, v20
	v_add_co_ci_u32_e32 v38, vcc_lo, s19, v21, vcc_lo
	v_lshlrev_b64 v[24:25], 2, v[25:26]
	v_ashrrev_i32_e32 v30, 31, v29
	s_clause 0x2
	global_load_b32 v45, v[1:2], off
	global_load_b32 v46, v[35:36], off
	;; [unrolled: 1-line block ×3, first 2 shown]
	v_add_co_u32 v1, vcc_lo, s7, v22
	v_lshlrev_b64 v[26:27], 2, v[27:28]
	v_add_co_ci_u32_e32 v2, vcc_lo, s19, v23, vcc_lo
	v_add_co_u32 v35, vcc_lo, s7, v24
	v_lshlrev_b64 v[28:29], 2, v[29:30]
	v_add_co_ci_u32_e32 v36, vcc_lo, s19, v25, vcc_lo
	v_add_co_u32 v37, vcc_lo, s7, v26
	v_add_co_ci_u32_e32 v38, vcc_lo, s19, v27, vcc_lo
	s_delay_alu instid0(VALU_DEP_4)
	v_add_co_u32 v39, vcc_lo, s7, v28
	v_add_co_ci_u32_e32 v40, vcc_lo, s19, v29, vcc_lo
	s_clause 0x3
	global_load_b32 v48, v[1:2], off
	global_load_b32 v35, v[35:36], off
	;; [unrolled: 1-line block ×4, first 2 shown]
	v_mbcnt_lo_u32_b32 v37, -1, 0
	s_add_u32 s7, s8, s20
	s_addc_u32 s8, s9, s21
	s_add_u32 s7, s7, s10
	s_addc_u32 s8, s8, s11
	v_xor_b32_e32 v1, 16, v37
	v_xor_b32_e32 v2, 8, v37
	s_delay_alu instid0(VALU_DEP_2) | instskip(SKIP_1) | instid1(VALU_DEP_3)
	v_cmp_gt_i32_e32 vcc_lo, 32, v1
	v_cndmask_b32_e32 v1, v37, v1, vcc_lo
	v_cmp_gt_i32_e32 vcc_lo, 32, v2
	v_cndmask_b32_e32 v38, v37, v2, vcc_lo
	s_delay_alu instid0(VALU_DEP_3) | instskip(NEXT) | instid1(VALU_DEP_2)
	v_lshlrev_b32_e32 v2, 2, v1
	v_lshlrev_b32_e32 v1, 2, v38
	s_waitcnt vmcnt(12)
	v_max3_f32 v30, v49, v50, v51
	s_waitcnt vmcnt(10)
	s_delay_alu instid0(VALU_DEP_1) | instskip(SKIP_1) | instid1(VALU_DEP_1)
	v_max3_f32 v30, v30, v52, v41
	s_waitcnt vmcnt(8)
	v_max3_f32 v30, v30, v42, v43
	s_waitcnt vmcnt(6)
	s_delay_alu instid0(VALU_DEP_1) | instskip(SKIP_3) | instid1(VALU_DEP_3)
	v_max3_f32 v38, v30, v44, v45
	v_add_co_u32 v30, vcc_lo, s7, v31
	v_add_co_ci_u32_e32 v31, vcc_lo, s8, v32, vcc_lo
	s_waitcnt vmcnt(4)
	v_max3_f32 v38, v38, v46, v47
	v_add_co_u32 v32, vcc_lo, s7, v33
	v_add_co_ci_u32_e32 v33, vcc_lo, s8, v34, vcc_lo
	v_add_co_u32 v4, vcc_lo, s7, v4
	v_add_co_ci_u32_e32 v5, vcc_lo, s8, v5, vcc_lo
	v_add_co_u32 v6, vcc_lo, s7, v6
	v_add_co_ci_u32_e32 v7, vcc_lo, s8, v7, vcc_lo
	v_add_co_u32 v8, vcc_lo, s7, v8
	s_waitcnt vmcnt(2)
	v_max3_f32 v34, v38, v48, v35
	v_add_co_ci_u32_e32 v9, vcc_lo, s8, v9, vcc_lo
	v_add_co_u32 v10, vcc_lo, s7, v10
	s_waitcnt vmcnt(0)
	s_delay_alu instid0(VALU_DEP_3)
	v_max3_f32 v34, v34, v36, v3
	v_add_co_ci_u32_e32 v11, vcc_lo, s8, v11, vcc_lo
	v_add_co_u32 v12, vcc_lo, s7, v12
	ds_bpermute_b32 v38, v2, v34
	v_add_co_ci_u32_e32 v13, vcc_lo, s8, v13, vcc_lo
	v_add_co_u32 v14, vcc_lo, s7, v14
	v_add_co_ci_u32_e32 v15, vcc_lo, s8, v15, vcc_lo
	v_add_co_u32 v16, vcc_lo, s7, v16
	;; [unrolled: 2-line block ×4, first 2 shown]
	s_clause 0x9
	global_load_b32 v30, v[30:31], off
	global_load_b32 v31, v[32:33], off
	;; [unrolled: 1-line block ×10, first 2 shown]
	v_xor_b32_e32 v10, 4, v37
	v_add_co_ci_u32_e32 v21, vcc_lo, s8, v21, vcc_lo
	s_waitcnt lgkmcnt(0)
	v_max_f32_e32 v38, v38, v38
	v_add_co_u32 v8, vcc_lo, s7, v22
	v_add_co_ci_u32_e32 v9, vcc_lo, s8, v23, vcc_lo
	s_delay_alu instid0(VALU_DEP_3)
	v_max_f32_e32 v34, v34, v38
	v_cmp_gt_i32_e32 vcc_lo, 32, v10
	s_clause 0x1
	global_load_b32 v7, v[20:21], off
	global_load_b32 v8, v[8:9], off
	v_xor_b32_e32 v14, 2, v37
	ds_bpermute_b32 v38, v1, v34
	v_cndmask_b32_e32 v9, v37, v10, vcc_lo
	s_waitcnt lgkmcnt(0)
	s_delay_alu instid0(VALU_DEP_1) | instskip(NEXT) | instid1(VALU_DEP_1)
	v_dual_max_f32 v11, v38, v38 :: v_dual_lshlrev_b32 v10, 2, v9
	v_max_f32_e32 v13, v34, v11
	v_add_co_u32 v11, vcc_lo, s7, v24
	v_add_co_ci_u32_e32 v12, vcc_lo, s8, v25, vcc_lo
	ds_bpermute_b32 v9, v10, v13
	v_cmp_gt_i32_e32 vcc_lo, 32, v14
	s_waitcnt lgkmcnt(0)
	v_max_f32_e32 v15, v9, v9
	global_load_b32 v9, v[11:12], off
	v_max_f32_e32 v16, v13, v15
	v_cndmask_b32_e32 v14, v37, v14, vcc_lo
	v_add_co_u32 v12, vcc_lo, s7, v26
	v_add_co_ci_u32_e32 v13, vcc_lo, s8, v27, vcc_lo
	s_delay_alu instid0(VALU_DEP_3)
	v_lshlrev_b32_e32 v11, 2, v14
	v_add_co_u32 v14, vcc_lo, s7, v28
	v_add_co_ci_u32_e32 v15, vcc_lo, s8, v29, vcc_lo
	ds_bpermute_b32 v17, v11, v16
	global_load_b32 v13, v[12:13], off
	s_mov_b32 s7, exec_lo
	global_load_b32 v14, v[14:15], off
	v_xor_b32_e32 v12, 1, v37
	s_delay_alu instid0(VALU_DEP_1) | instskip(SKIP_2) | instid1(VALU_DEP_1)
	v_cmp_gt_i32_e32 vcc_lo, 32, v12
	v_cndmask_b32_e32 v12, v37, v12, vcc_lo
	s_waitcnt lgkmcnt(0)
	v_dual_max_f32 v15, v17, v17 :: v_dual_lshlrev_b32 v12, 2, v12
	s_delay_alu instid0(VALU_DEP_1) | instskip(SKIP_3) | instid1(VALU_DEP_1)
	v_max_f32_e32 v15, v16, v15
	ds_bpermute_b32 v16, v12, v15
	s_waitcnt lgkmcnt(0)
	v_max_f32_e32 v16, v16, v16
	v_max_f32_e32 v16, v15, v16
	v_sub_nc_u32_e32 v15, s40, v0
	s_delay_alu instid0(VALU_DEP_2)
	v_sub_f32_e32 v20, v52, v16
	v_sub_f32_e32 v26, v46, v16
	;; [unrolled: 1-line block ×5, first 2 shown]
	v_mul_f32_e32 v38, 0x3fb8aa3b, v20
	v_mul_f32_e32 v46, 0x3fb8aa3b, v26
	v_sub_f32_e32 v28, v48, v16
	v_mul_f32_e32 v44, 0x3fb8aa3b, v24
	v_sub_f32_e32 v22, v42, v16
	v_fma_f32 v57, 0x3fb8aa3b, v20, -v38
	v_rndne_f32_e32 v58, v38
	v_mul_f32_e32 v48, 0x3fb8aa3b, v28
	v_rndne_f32_e32 v66, v44
	v_mul_f32_e32 v42, 0x3fb8aa3b, v22
	s_delay_alu instid0(VALU_DEP_4)
	v_dual_fmac_f32 v57, 0x32a5705f, v20 :: v_dual_sub_f32 v38, v38, v58
	v_sub_f32_e32 v29, v35, v16
	v_mul_f32_e32 v35, 0x3fb8aa3b, v17
	v_fma_f32 v73, 0x3fb8aa3b, v28, -v48
	v_rndne_f32_e32 v74, v48
	v_sub_f32_e32 v27, v47, v16
	v_fma_f32 v61, 0x3fb8aa3b, v22, -v42
	v_fma_f32 v50, 0x3fb8aa3b, v17, -v35
	v_sub_f32_e32 v19, v51, v16
	v_dual_fmac_f32 v73, 0x32a5705f, v28 :: v_dual_sub_f32 v48, v48, v74
	v_rndne_f32_e32 v62, v42
	s_delay_alu instid0(VALU_DEP_4) | instskip(NEXT) | instid1(VALU_DEP_4)
	v_fmac_f32_e32 v50, 0x32a5705f, v17
	v_mul_f32_e32 v37, 0x3fb8aa3b, v19
	v_cvt_i32_f32_e32 v74, v74
	v_dual_add_f32 v48, v48, v73 :: v_dual_sub_f32 v23, v43, v16
	v_sub_f32_e32 v42, v42, v62
	s_delay_alu instid0(VALU_DEP_4) | instskip(SKIP_1) | instid1(VALU_DEP_4)
	v_fma_f32 v55, 0x3fb8aa3b, v19, -v37
	v_sub_f32_e32 v34, v36, v16
	v_exp_f32_e32 v48, v48
	v_mul_f32_e32 v36, 0x3fb8aa3b, v18
	v_rndne_f32_e32 v51, v35
	v_fmac_f32_e32 v55, 0x32a5705f, v19
	v_fma_f32 v65, 0x3fb8aa3b, v24, -v44
	v_fma_f32 v69, 0x3fb8aa3b, v26, -v46
	v_rndne_f32_e32 v70, v46
	v_dual_sub_f32 v44, v44, v66 :: v_dual_sub_f32 v25, v45, v16
	v_fma_f32 v52, 0x3fb8aa3b, v18, -v36
	s_delay_alu instid0(TRANS32_DEP_1) | instskip(NEXT) | instid1(VALU_DEP_4)
	v_ldexp_f32 v48, v48, v74
	v_sub_f32_e32 v46, v46, v70
	v_fmac_f32_e32 v61, 0x32a5705f, v22
	v_mul_f32_e32 v43, 0x3fb8aa3b, v23
	v_rndne_f32_e32 v54, v36
	v_fmac_f32_e32 v69, 0x32a5705f, v26
	s_delay_alu instid0(VALU_DEP_4) | instskip(SKIP_3) | instid1(VALU_DEP_4)
	v_dual_sub_f32 v35, v35, v51 :: v_dual_add_f32 v42, v42, v61
	v_dual_sub_f32 v21, v41, v16 :: v_dual_fmac_f32 v52, 0x32a5705f, v18
	v_rndne_f32_e32 v56, v37
	v_sub_f32_e32 v36, v36, v54
	v_exp_f32_e32 v42, v42
	v_cvt_i32_f32_e32 v62, v62
	v_dual_add_f32 v46, v46, v69 :: v_dual_add_f32 v35, v35, v50
	s_delay_alu instid0(VALU_DEP_3) | instskip(SKIP_2) | instid1(VALU_DEP_4)
	v_dual_mul_f32 v41, 0x3fb8aa3b, v21 :: v_dual_add_f32 v36, v36, v52
	v_cvt_i32_f32_e32 v51, v51
	v_cvt_i32_f32_e32 v54, v54
	v_exp_f32_e32 v35, v35
	v_fmac_f32_e32 v65, 0x32a5705f, v24
	s_delay_alu instid0(TRANS32_DEP_2)
	v_ldexp_f32 v42, v42, v62
	v_sub_f32_e32 v37, v37, v56
	v_exp_f32_e32 v36, v36
	v_add_f32_e32 v38, v38, v57
	v_cmp_ngt_f32_e32 vcc_lo, 0xc2ce8ed0, v17
	v_dual_mul_f32 v47, 0x3fb8aa3b, v27 :: v_dual_add_f32 v44, v44, v65
	v_add_f32_e32 v37, v37, v55
	s_delay_alu instid0(TRANS32_DEP_2)
	v_ldexp_f32 v35, v35, v51
	v_cvt_i32_f32_e32 v56, v56
	v_exp_f32_e32 v38, v38
	v_cvt_i32_f32_e32 v58, v58
	v_exp_f32_e32 v37, v37
	v_ldexp_f32 v36, v36, v54
	v_cndmask_b32_e32 v35, 0, v35, vcc_lo
	v_cmp_ngt_f32_e32 vcc_lo, 0xc2ce8ed0, v18
	v_mul_f32_e32 v45, 0x3fb8aa3b, v25
	v_exp_f32_e32 v44, v44
	v_fma_f32 v59, 0x3fb8aa3b, v21, -v41
	v_rndne_f32_e32 v60, v41
	v_cndmask_b32_e32 v36, 0, v36, vcc_lo
	v_cmp_ngt_f32_e32 vcc_lo, 0xc2ce8ed0, v19
	v_ldexp_f32 v37, v37, v56
	v_cvt_i32_f32_e32 v66, v66
	v_ldexp_f32 v38, v38, v58
	v_fma_f32 v63, 0x3fb8aa3b, v23, -v43
	v_rndne_f32_e32 v64, v43
	v_cndmask_b32_e32 v37, 0, v37, vcc_lo
	v_cmp_ngt_f32_e32 vcc_lo, 0xc2ce8ed0, v20
	v_mul_f32_e32 v49, 0x3fb8aa3b, v29
	v_ldexp_f32 v44, v44, v66
	v_fmac_f32_e32 v59, 0x32a5705f, v21
	v_dual_fmac_f32 v63, 0x32a5705f, v23 :: v_dual_cndmask_b32 v38, 0, v38
	v_sub_f32_e32 v41, v41, v60
	v_cvt_i32_f32_e32 v60, v60
	v_cmp_ngt_f32_e32 vcc_lo, 0xc2ce8ed0, v21
	v_fma_f32 v67, 0x3fb8aa3b, v25, -v45
	v_rndne_f32_e32 v68, v45
	v_add_f32_e32 v41, v41, v59
	v_fma_f32 v71, 0x3fb8aa3b, v27, -v47
	v_rndne_f32_e32 v72, v47
	v_fmac_f32_e32 v67, 0x32a5705f, v25
	v_sub_f32_e32 v45, v45, v68
	v_exp_f32_e32 v41, v41
	v_fmac_f32_e32 v71, 0x32a5705f, v27
	v_sub_f32_e32 v47, v47, v72
	v_cvt_i32_f32_e32 v68, v68
	v_add_f32_e32 v45, v45, v67
	v_exp_f32_e32 v46, v46
	v_fma_f32 v75, 0x3fb8aa3b, v29, -v49
	v_add_f32_e32 v47, v47, v71
	v_cvt_i32_f32_e32 v70, v70
	v_exp_f32_e32 v45, v45
	v_ldexp_f32 v41, v41, v60
	v_cvt_i32_f32_e32 v72, v72
	v_exp_f32_e32 v47, v47
	v_fmac_f32_e32 v75, 0x32a5705f, v29
	v_sub_f32_e32 v3, v3, v16
	v_cndmask_b32_e32 v41, 0, v41, vcc_lo
	v_cmp_ngt_f32_e32 vcc_lo, 0xc2ce8ed0, v22
	v_ldexp_f32 v46, v46, v70
	v_rndne_f32_e32 v76, v49
	v_ldexp_f32 v45, v45, v68
	v_dual_cndmask_b32 v42, 0, v42 :: v_dual_sub_f32 v43, v43, v64
	v_cvt_i32_f32_e32 v64, v64
	v_cmp_ngt_f32_e32 vcc_lo, 0xc2ce8ed0, v23
	v_ldexp_f32 v47, v47, v72
	s_delay_alu instid0(VALU_DEP_4) | instskip(NEXT) | instid1(VALU_DEP_1)
	v_add_f32_e32 v43, v43, v63
	v_exp_f32_e32 v43, v43
	s_waitcnt_depctr 0xfff
	v_ldexp_f32 v43, v43, v64
	s_delay_alu instid0(VALU_DEP_1)
	v_cndmask_b32_e32 v43, 0, v43, vcc_lo
	v_cmp_ngt_f32_e32 vcc_lo, 0xc2ce8ed0, v24
	v_cndmask_b32_e32 v44, 0, v44, vcc_lo
	v_cmp_ngt_f32_e32 vcc_lo, 0xc2ce8ed0, v25
	;; [unrolled: 2-line block ×5, first 2 shown]
	v_cndmask_b32_e32 v48, 0, v48, vcc_lo
	v_cmp_nlt_f32_e32 vcc_lo, 0x42b17218, v17
	v_cndmask_b32_e32 v17, 0x7f800000, v35, vcc_lo
	v_cmp_nlt_f32_e32 vcc_lo, 0x42b17218, v18
	;; [unrolled: 2-line block ×12, first 2 shown]
	v_cndmask_b32_e32 v28, 0x7f800000, v48, vcc_lo
	v_cmp_lt_i32_e32 vcc_lo, 0, v15
	v_cndmask_b32_e32 v17, 0, v17, vcc_lo
	v_cmp_lt_i32_e32 vcc_lo, 32, v15
	;; [unrolled: 2-line block ×3, first 2 shown]
	s_waitcnt vmcnt(13)
	s_delay_alu instid0(VALU_DEP_2) | instskip(SKIP_4) | instid1(VALU_DEP_2)
	v_dual_mul_f32 v18, v31, v18 :: v_dual_cndmask_b32 v19, 0, v19
	v_cmp_lt_i32_e32 vcc_lo, 0x60, v15
	v_cndmask_b32_e32 v20, 0, v20, vcc_lo
	v_cmp_lt_i32_e32 vcc_lo, 0x80, v15
	s_waitcnt vmcnt(11)
	v_dual_mul_f32 v20, v33, v20 :: v_dual_cndmask_b32 v21, 0, v21
	v_cmp_lt_i32_e32 vcc_lo, 0xa0, v15
	v_cndmask_b32_e32 v22, 0, v22, vcc_lo
	v_cmp_lt_i32_e32 vcc_lo, 0xc0, v15
	s_waitcnt vmcnt(9)
	s_delay_alu instid0(VALU_DEP_2) | instskip(SKIP_4) | instid1(VALU_DEP_2)
	v_dual_mul_f32 v22, v40, v22 :: v_dual_cndmask_b32 v23, 0, v23
	v_cmp_lt_i32_e32 vcc_lo, 0xe0, v15
	v_cndmask_b32_e32 v24, 0, v24, vcc_lo
	v_cmp_lt_i32_e32 vcc_lo, 0x100, v15
	s_waitcnt vmcnt(7)
	v_mul_f32_e32 v5, v5, v24
	v_cndmask_b32_e32 v25, 0, v25, vcc_lo
	v_cmp_lt_i32_e32 vcc_lo, 0x120, v15
	s_waitcnt vmcnt(6)
	s_delay_alu instid0(VALU_DEP_2) | instskip(SKIP_3) | instid1(VALU_DEP_2)
	v_mul_f32_e32 v4, v4, v25
	v_cndmask_b32_e32 v26, 0, v26, vcc_lo
	v_cmp_lt_i32_e32 vcc_lo, 0x140, v15
	s_waitcnt vmcnt(5)
	v_dual_sub_f32 v25, v49, v76 :: v_dual_mul_f32 v6, v6, v26
	v_cndmask_b32_e32 v27, 0, v27, vcc_lo
	v_cmp_lt_i32_e32 vcc_lo, 0x160, v15
	s_waitcnt vmcnt(4)
	s_delay_alu instid0(VALU_DEP_2)
	v_dual_mul_f32 v26, 0x3fb8aa3b, v34 :: v_dual_mul_f32 v7, v7, v27
	v_cndmask_b32_e32 v24, 0, v28, vcc_lo
	v_dual_mul_f32 v28, 0x3fb8aa3b, v3 :: v_dual_mul_f32 v17, v30, v17
	v_cvt_i32_f32_e32 v30, v76
	v_cmp_ngt_f32_e32 vcc_lo, 0xc2ce8ed0, v29
	s_waitcnt vmcnt(3)
	v_mul_f32_e32 v8, v8, v24
	v_add_f32_e32 v24, v25, v75
	v_fma_f32 v16, 0x3fb8aa3b, v34, -v26
	v_fma_f32 v31, 0x3fb8aa3b, v3, -v28
	s_delay_alu instid0(VALU_DEP_3) | instskip(NEXT) | instid1(VALU_DEP_1)
	v_exp_f32_e32 v24, v24
	v_dual_fmac_f32 v16, 0x32a5705f, v34 :: v_dual_fmac_f32 v31, 0x32a5705f, v3
	s_waitcnt_depctr 0xfff
	v_ldexp_f32 v24, v24, v30
	s_delay_alu instid0(VALU_DEP_1) | instskip(SKIP_3) | instid1(VALU_DEP_4)
	v_cndmask_b32_e32 v24, 0, v24, vcc_lo
	v_cmp_nlt_f32_e32 vcc_lo, 0x42b17218, v29
	v_mul_f32_e32 v19, v32, v19
	v_rndne_f32_e32 v32, v28
	v_dual_cndmask_b32 v24, 0x7f800000, v24 :: v_dual_add_f32 v27, v17, v18
	v_cmp_lt_i32_e32 vcc_lo, 0x180, v15
	s_delay_alu instid0(VALU_DEP_2) | instskip(SKIP_1) | instid1(VALU_DEP_4)
	v_add_f32_e32 v25, v27, v19
	v_rndne_f32_e32 v27, v26
	v_dual_cndmask_b32 v24, 0, v24 :: v_dual_mul_f32 v21, v39, v21
	v_cmp_ngt_f32_e32 vcc_lo, 0xc2ce8ed0, v34
	s_delay_alu instid0(VALU_DEP_3) | instskip(SKIP_3) | instid1(VALU_DEP_3)
	v_dual_add_f32 v25, v25, v20 :: v_dual_sub_f32 v26, v26, v27
	v_cvt_i32_f32_e32 v27, v27
	s_waitcnt vmcnt(2)
	v_mul_f32_e32 v9, v9, v24
	v_dual_add_f32 v25, v25, v21 :: v_dual_add_f32 v16, v26, v16
	s_delay_alu instid0(VALU_DEP_1) | instskip(NEXT) | instid1(VALU_DEP_2)
	v_dual_sub_f32 v26, v28, v32 :: v_dual_add_f32 v25, v25, v22
	v_exp_f32_e32 v16, v16
	s_delay_alu instid0(VALU_DEP_1) | instskip(NEXT) | instid1(VALU_DEP_1)
	v_add_f32_e32 v26, v26, v31
	v_exp_f32_e32 v26, v26
	s_waitcnt_depctr 0xfff
	v_ldexp_f32 v16, v16, v27
	v_cvt_i32_f32_e32 v27, v32
	s_delay_alu instid0(VALU_DEP_2) | instskip(SKIP_1) | instid1(VALU_DEP_3)
	v_dual_cndmask_b32 v16, 0, v16 :: v_dual_mul_f32 v23, v53, v23
	v_cmp_nlt_f32_e32 vcc_lo, 0x42b17218, v34
	v_ldexp_f32 v24, v26, v27
	s_delay_alu instid0(VALU_DEP_3) | instskip(SKIP_1) | instid1(VALU_DEP_2)
	v_dual_add_f32 v25, v25, v23 :: v_dual_cndmask_b32 v16, 0x7f800000, v16
	v_cmp_ngt_f32_e32 vcc_lo, 0xc2ce8ed0, v3
	v_dual_add_f32 v25, v25, v5 :: v_dual_cndmask_b32 v24, 0, v24
	v_cmp_lt_i32_e32 vcc_lo, 0x1a0, v15
	s_delay_alu instid0(VALU_DEP_2) | instskip(SKIP_2) | instid1(VALU_DEP_3)
	v_add_f32_e32 v25, v25, v4
	v_cndmask_b32_e32 v16, 0, v16, vcc_lo
	v_cmp_nlt_f32_e32 vcc_lo, 0x42b17218, v3
	v_add_f32_e32 v25, v25, v6
	s_waitcnt vmcnt(1)
	s_delay_alu instid0(VALU_DEP_3) | instskip(SKIP_1) | instid1(VALU_DEP_3)
	v_mul_f32_e32 v13, v13, v16
	v_cndmask_b32_e32 v3, 0x7f800000, v24, vcc_lo
	v_add_f32_e32 v25, v25, v7
	v_cmp_lt_i32_e32 vcc_lo, 0x1c0, v15
	s_delay_alu instid0(VALU_DEP_2) | instskip(NEXT) | instid1(VALU_DEP_1)
	v_dual_add_f32 v24, v25, v8 :: v_dual_cndmask_b32 v3, 0, v3
	v_add_f32_e32 v15, v24, v9
	s_waitcnt vmcnt(0)
	s_delay_alu instid0(VALU_DEP_1) | instskip(NEXT) | instid1(VALU_DEP_1)
	v_dual_mul_f32 v3, v14, v3 :: v_dual_add_f32 v14, v15, v13
	v_add_f32_e32 v14, v14, v3
	ds_bpermute_b32 v2, v2, v14
	s_waitcnt lgkmcnt(0)
	v_add_f32_e32 v2, v14, v2
	ds_bpermute_b32 v1, v1, v2
	s_waitcnt lgkmcnt(0)
	v_add_f32_e32 v1, v2, v1
	ds_bpermute_b32 v2, v10, v1
	v_lshlrev_b32_e32 v10, 2, v0
	ds_store_2addr_b32 v10, v17, v18 offset1:32
	s_waitcnt lgkmcnt(1)
	v_add_f32_e32 v1, v1, v2
	ds_bpermute_b32 v2, v11, v1
	v_add_nc_u32_e32 v11, 0x400, v10
	ds_store_2addr_b32 v10, v19, v20 offset0:64 offset1:96
	ds_store_2addr_b32 v10, v21, v22 offset0:128 offset1:160
	;; [unrolled: 1-line block ×3, first 2 shown]
	ds_store_2addr_b32 v11, v4, v6 offset1:32
	ds_store_2addr_b32 v11, v7, v8 offset0:64 offset1:96
	ds_store_2addr_b32 v11, v9, v13 offset0:128 offset1:160
	ds_store_b32 v10, v3 offset:1792
	s_waitcnt lgkmcnt(7)
	v_add_f32_e32 v1, v1, v2
	ds_bpermute_b32 v2, v12, v1
	v_cmpx_eq_u32_e32 0, v0
	s_cbranch_execz .LBB476_8
; %bb.7:
	s_waitcnt lgkmcnt(0)
	v_dual_add_f32 v1, v1, v2 :: v_dual_mov_b32 v2, 0
	ds_store_b32 v2, v1 offset:1920
.LBB476_8:
	s_or_b32 exec_lo, exec_lo, s7
	v_mov_b32_e32 v1, s6
.LBB476_9:
	s_or_b32 exec_lo, exec_lo, s24
	s_lshl_b32 s6, s18, 6
	s_mov_b32 s7, 0
	s_waitcnt lgkmcnt(0)
	v_dual_mov_b32 v2, 0 :: v_dual_lshlrev_b32 v1, 6, v1
	s_lshl_b64 s[6:7], s[6:7], 1
	v_lshlrev_b32_e32 v0, 1, v0
	s_add_u32 s34, s4, s6
	s_addc_u32 s35, s5, s7
	s_lshl_b32 s41, s40, 6
	v_lshlrev_b64 v[3:4], 1, v[1:2]
	s_sub_i32 s42, s41, 64
	s_cmpk_lt_i32 s22, 0x100
	v_dual_mov_b32 v30, 0 :: v_dual_mov_b32 v33, 0
	s_cselect_b32 s4, s42, 0
	s_delay_alu instid0(VALU_DEP_2)
	v_add_co_u32 v1, vcc_lo, s34, v3
	s_ashr_i32 s5, s4, 31
	v_add_co_ci_u32_e32 v3, vcc_lo, s35, v4, vcc_lo
	s_lshl_b64 s[4:5], s[4:5], 1
	s_cmpk_lt_i32 s22, 0x200
	v_add_co_u32 v1, vcc_lo, v1, v0
	s_cselect_b32 s6, s42, 64
	v_add_co_ci_u32_e32 v3, vcc_lo, 0, v3, vcc_lo
	s_ashr_i32 s7, s6, 31
	s_delay_alu instid0(VALU_DEP_2)
	v_add_co_u32 v4, vcc_lo, v1, s4
	s_lshl_b64 s[6:7], s[6:7], 1
	s_cmpk_lt_i32 s22, 0x300
	v_add_co_ci_u32_e32 v5, vcc_lo, s5, v3, vcc_lo
	s_cselect_b32 s8, s42, 0x80
	v_add_co_u32 v6, vcc_lo, v1, s6
	s_ashr_i32 s9, s8, 31
	v_add_co_ci_u32_e32 v7, vcc_lo, s7, v3, vcc_lo
	s_lshl_b64 s[8:9], s[8:9], 1
	s_cmpk_lt_i32 s22, 0x400
	v_add_co_u32 v8, vcc_lo, v1, s8
	s_cselect_b32 s10, s42, 0xc0
	v_add_co_ci_u32_e32 v9, vcc_lo, s9, v3, vcc_lo
	s_ashr_i32 s11, s10, 31
	v_dual_mov_b32 v32, 0 :: v_dual_mov_b32 v35, 0
	s_lshl_b64 s[10:11], s[10:11], 1
	s_cmpk_lt_i32 s22, 0x500
	v_add_co_u32 v11, vcc_lo, v1, s10
	s_cselect_b32 s18, s42, 0x100
	v_add_co_ci_u32_e32 v12, vcc_lo, s11, v3, vcc_lo
	s_ashr_i32 s19, s18, 31
	v_mov_b32_e32 v34, 0
	s_lshl_b64 s[18:19], s[18:19], 1
	s_cmpk_lt_i32 s22, 0x600
	v_add_co_u32 v14, vcc_lo, v1, s18
	s_cselect_b32 s20, s42, 0x140
	v_add_co_ci_u32_e32 v15, vcc_lo, s19, v3, vcc_lo
	s_ashr_i32 s21, s20, 31
	v_mov_b32_e32 v31, 0
	s_lshl_b64 s[20:21], s[20:21], 1
	s_cmpk_lt_i32 s22, 0x700
	v_add_co_u32 v16, vcc_lo, v1, s20
	s_cselect_b32 s24, s42, 0x180
	v_add_co_ci_u32_e32 v17, vcc_lo, s21, v3, vcc_lo
	s_ashr_i32 s25, s24, 31
	s_delay_alu instid0(SALU_CYCLE_1)
	s_lshl_b64 s[24:25], s[24:25], 1
	s_cmpk_lt_i32 s22, 0x800
	v_add_co_u32 v18, vcc_lo, v1, s24
	s_cselect_b32 s26, s42, 0x1c0
	v_add_co_ci_u32_e32 v19, vcc_lo, s25, v3, vcc_lo
	s_ashr_i32 s27, s26, 31
	s_delay_alu instid0(SALU_CYCLE_1)
	s_lshl_b64 s[26:27], s[26:27], 1
	s_cmpk_lt_i32 s22, 0x900
	v_add_co_u32 v20, vcc_lo, v1, s26
	s_cselect_b32 s28, s42, 0x200
	v_add_co_ci_u32_e32 v21, vcc_lo, s27, v3, vcc_lo
	s_ashr_i32 s29, s28, 31
	s_clause 0x7
	global_load_u16 v13, v[4:5], off
	global_load_u16 v4, v[6:7], off
	;; [unrolled: 1-line block ×8, first 2 shown]
	s_lshl_b64 s[28:29], s[28:29], 1
	s_cmpk_lt_i32 s22, 0xa00
	v_add_co_u32 v11, vcc_lo, v1, s28
	s_cselect_b32 s30, s42, 0x240
	v_add_co_ci_u32_e32 v12, vcc_lo, s29, v3, vcc_lo
	s_ashr_i32 s31, s30, 31
	s_delay_alu instid0(SALU_CYCLE_1)
	s_lshl_b64 s[30:31], s[30:31], 1
	s_cmpk_lt_i32 s22, 0xb00
	v_add_co_u32 v14, vcc_lo, v1, s30
	s_cselect_b32 s34, s42, 0x280
	v_add_co_ci_u32_e32 v15, vcc_lo, s31, v3, vcc_lo
	s_ashr_i32 s35, s34, 31
	s_delay_alu instid0(SALU_CYCLE_1)
	;; [unrolled: 7-line block ×7, first 2 shown]
	s_lshl_b64 s[4:5], s[6:7], 1
	s_cmpk_gt_i32 s23, 0x1000
	v_add_co_u32 v28, vcc_lo, v1, s4
	v_add_co_ci_u32_e32 v29, vcc_lo, s5, v3, vcc_lo
	s_clause 0x7
	global_load_u16 v19, v[11:12], off
	global_load_u16 v18, v[14:15], off
	;; [unrolled: 1-line block ×8, first 2 shown]
	v_dual_mov_b32 v20, 0 :: v_dual_mov_b32 v23, 0
	v_dual_mov_b32 v21, 0 :: v_dual_mov_b32 v22, 0
	;; [unrolled: 1-line block ×5, first 2 shown]
	s_cselect_b32 s6, -1, 0
	s_cmpk_lt_i32 s23, 0x1001
	s_waitcnt vmcnt(0)
	s_barrier
	buffer_gl0_inv
	s_cbranch_scc1 .LBB476_11
; %bb.10:
	s_cmpk_lt_i32 s22, 0x1100
	s_cselect_b32 s4, s42, 0x400
	s_delay_alu instid0(SALU_CYCLE_1) | instskip(NEXT) | instid1(SALU_CYCLE_1)
	s_ashr_i32 s5, s4, 31
	s_lshl_b64 s[4:5], s[4:5], 1
	s_cmpk_lt_i32 s22, 0x1200
	v_add_co_u32 v20, vcc_lo, v1, s4
	s_cselect_b32 s8, s42, 0x440
	v_add_co_ci_u32_e32 v21, vcc_lo, s5, v3, vcc_lo
	s_ashr_i32 s9, s8, 31
	s_delay_alu instid0(SALU_CYCLE_1)
	s_lshl_b64 s[8:9], s[8:9], 1
	s_cmpk_lt_i32 s22, 0x1300
	v_add_co_u32 v22, vcc_lo, v1, s8
	s_cselect_b32 s10, s42, 0x480
	v_add_co_ci_u32_e32 v23, vcc_lo, s9, v3, vcc_lo
	s_ashr_i32 s11, s10, 31
	s_delay_alu instid0(SALU_CYCLE_1)
	;; [unrolled: 7-line block ×14, first 2 shown]
	s_lshl_b64 s[4:5], s[18:19], 1
	s_cmpk_lt_i32 s22, 0x2000
	v_add_co_u32 v48, vcc_lo, v1, s4
	s_cselect_b32 s8, s42, 0x7c0
	v_add_co_ci_u32_e32 v49, vcc_lo, s5, v3, vcc_lo
	s_ashr_i32 s9, s8, 31
	s_delay_alu instid0(SALU_CYCLE_1) | instskip(NEXT) | instid1(SALU_CYCLE_1)
	s_lshl_b64 s[4:5], s[8:9], 1
	v_add_co_u32 v50, vcc_lo, v1, s4
	v_add_co_ci_u32_e32 v51, vcc_lo, s5, v3, vcc_lo
	s_clause 0xf
	global_load_u16 v20, v[20:21], off
	global_load_u16 v21, v[22:23], off
	;; [unrolled: 1-line block ×16, first 2 shown]
	s_waitcnt vmcnt(15)
	v_lshlrev_b32_e32 v35, 16, v20
	s_waitcnt vmcnt(14)
	v_lshlrev_b32_e32 v34, 16, v21
	;; [unrolled: 2-line block ×16, first 2 shown]
.LBB476_11:
	ds_load_b128 v[36:39], v2
	ds_load_b128 v[40:43], v2 offset:16
	v_lshlrev_b32_e32 v44, 16, v4
	v_lshlrev_b32_e32 v13, 16, v13
	;; [unrolled: 1-line block ×5, first 2 shown]
	s_load_b64 s[0:1], s[0:1], 0x0
	s_and_b32 vcc_lo, exec_lo, s6
	v_lshlrev_b32_e32 v5, 16, v5
	s_waitcnt lgkmcnt(0)
	v_fma_f32 v4, v36, v13, 0
	s_delay_alu instid0(VALU_DEP_1) | instskip(NEXT) | instid1(VALU_DEP_1)
	v_dual_fmac_f32 v4, v37, v44 :: v_dual_lshlrev_b32 v13, 16, v7
	v_dual_fmac_f32 v4, v38, v10 :: v_dual_lshlrev_b32 v9, 16, v9
	s_delay_alu instid0(VALU_DEP_1) | instskip(SKIP_4) | instid1(VALU_DEP_1)
	v_fmac_f32_e32 v4, v39, v9
	ds_load_b128 v[36:39], v2 offset:48
	v_fmac_f32_e32 v4, v40, v8
	ds_load_b128 v[7:10], v2 offset:32
	v_fmac_f32_e32 v4, v41, v13
	v_fmac_f32_e32 v4, v42, v6
	v_lshlrev_b32_e32 v6, 16, v19
	s_delay_alu instid0(VALU_DEP_2) | instskip(SKIP_1) | instid1(VALU_DEP_1)
	v_dual_fmac_f32 v4, v43, v5 :: v_dual_lshlrev_b32 v5, 16, v18
	s_waitcnt lgkmcnt(0)
	v_fmac_f32_e32 v4, v7, v6
	v_lshlrev_b32_e32 v6, 16, v17
	s_delay_alu instid0(VALU_DEP_2) | instskip(NEXT) | instid1(VALU_DEP_1)
	v_dual_fmac_f32 v4, v8, v5 :: v_dual_lshlrev_b32 v5, 16, v16
	v_fmac_f32_e32 v4, v9, v6
	v_lshlrev_b32_e32 v6, 16, v15
	s_delay_alu instid0(VALU_DEP_2) | instskip(NEXT) | instid1(VALU_DEP_1)
	v_dual_fmac_f32 v4, v10, v5 :: v_dual_lshlrev_b32 v5, 16, v14
	;; [unrolled: 4-line block ×3, first 2 shown]
	v_fmac_f32_e32 v4, v38, v6
	s_delay_alu instid0(VALU_DEP_1)
	v_fmac_f32_e32 v4, v39, v5
	s_cbranch_vccz .LBB476_13
; %bb.12:
	ds_load_b128 v[5:8], v2 offset:64
	ds_load_b128 v[9:12], v2 offset:80
	s_waitcnt lgkmcnt(1)
	v_fmac_f32_e32 v4, v5, v35
	s_delay_alu instid0(VALU_DEP_1) | instskip(NEXT) | instid1(VALU_DEP_1)
	v_fmac_f32_e32 v4, v6, v34
	v_fmac_f32_e32 v4, v7, v33
	s_delay_alu instid0(VALU_DEP_1) | instskip(SKIP_3) | instid1(VALU_DEP_1)
	v_fmac_f32_e32 v4, v8, v32
	ds_load_b128 v[5:8], v2 offset:96
	s_waitcnt lgkmcnt(1)
	v_fmac_f32_e32 v4, v9, v31
	v_fmac_f32_e32 v4, v10, v30
	s_delay_alu instid0(VALU_DEP_1) | instskip(NEXT) | instid1(VALU_DEP_1)
	v_fmac_f32_e32 v4, v11, v29
	v_fmac_f32_e32 v4, v12, v28
	ds_load_b128 v[9:12], v2 offset:112
	s_waitcnt lgkmcnt(1)
	v_fmac_f32_e32 v4, v5, v27
	s_delay_alu instid0(VALU_DEP_1) | instskip(NEXT) | instid1(VALU_DEP_1)
	v_fmac_f32_e32 v4, v6, v26
	v_fmac_f32_e32 v4, v7, v25
	s_delay_alu instid0(VALU_DEP_1) | instskip(SKIP_1) | instid1(VALU_DEP_1)
	v_fmac_f32_e32 v4, v8, v24
	s_waitcnt lgkmcnt(0)
	v_fmac_f32_e32 v4, v9, v23
	s_delay_alu instid0(VALU_DEP_1) | instskip(NEXT) | instid1(VALU_DEP_1)
	v_fmac_f32_e32 v4, v10, v22
	v_fmac_f32_e32 v4, v11, v21
	s_delay_alu instid0(VALU_DEP_1)
	v_fmac_f32_e32 v4, v12, v20
.LBB476_13:
	s_movk_i32 s43, 0xfc0
	s_movk_i32 s44, 0x80
	s_mov_b32 s45, 32
	s_branch .LBB476_15
.LBB476_14:                             ;   in Loop: Header=BB476_15 Depth=1
	s_addk_i32 s43, 0x800
	s_addk_i32 s44, 0x80
	s_add_i32 s45, s45, 32
	s_cmpk_eq_i32 s43, 0x7fc0
	s_cbranch_scc1 .LBB476_17
.LBB476_15:                             ; =>This Inner Loop Header: Depth=1
	s_cmp_le_i32 s40, s45
	s_cbranch_scc1 .LBB476_14
; %bb.16:                               ;   in Loop: Header=BB476_15 Depth=1
	s_add_i32 s4, s43, 0xfffff840
	v_mov_b32_e32 v44, s44
	s_cmp_lt_i32 s4, s41
	s_cselect_b32 s4, s4, s42
	s_add_i32 s6, s43, 0xfffff880
	s_ashr_i32 s5, s4, 31
	s_delay_alu instid0(SALU_CYCLE_1)
	s_lshl_b64 s[38:39], s[4:5], 1
	s_cmp_lt_i32 s6, s41
	v_add_co_u32 v5, vcc_lo, v1, s38
	s_cselect_b32 s4, s6, s42
	s_add_i32 s6, s43, 0xfffff8c0
	s_ashr_i32 s5, s4, 31
	v_add_co_ci_u32_e32 v6, vcc_lo, s39, v3, vcc_lo
	s_lshl_b64 s[4:5], s[4:5], 1
	s_cmp_lt_i32 s6, s41
	s_cselect_b32 s6, s6, s42
	s_add_i32 s8, s43, 0xfffff900
	s_ashr_i32 s7, s6, 31
	global_load_u16 v2, v[5:6], off
	s_lshl_b64 s[6:7], s[6:7], 1
	s_cmp_lt_i32 s8, s41
	v_add_co_u32 v5, vcc_lo, v1, s4
	s_cselect_b32 s8, s8, s42
	s_add_i32 s10, s43, 0xfffff940
	s_ashr_i32 s9, s8, 31
	v_add_co_ci_u32_e32 v6, vcc_lo, s5, v3, vcc_lo
	s_lshl_b64 s[8:9], s[8:9], 1
	s_cmp_lt_i32 s10, s41
	v_add_co_u32 v7, vcc_lo, v1, s6
	s_cselect_b32 s10, s10, s42
	s_add_i32 s18, s43, 0xfffff980
	s_ashr_i32 s11, s10, 31
	v_add_co_ci_u32_e32 v8, vcc_lo, s7, v3, vcc_lo
	s_lshl_b64 s[10:11], s[10:11], 1
	s_cmp_lt_i32 s18, s41
	v_add_co_u32 v9, vcc_lo, v1, s8
	s_cselect_b32 s18, s18, s42
	s_add_i32 s20, s43, 0xfffff9c0
	s_ashr_i32 s19, s18, 31
	s_clause 0x1
	global_load_u16 v23, v[5:6], off
	global_load_u16 v24, v[7:8], off
	s_lshl_b64 s[18:19], s[18:19], 1
	s_cmp_lt_i32 s20, s41
	v_add_co_ci_u32_e32 v10, vcc_lo, s9, v3, vcc_lo
	s_cselect_b32 s20, s20, s42
	s_add_i32 s22, s43, 0xfffffa00
	s_ashr_i32 s21, s20, 31
	global_load_u16 v25, v[9:10], off
	s_lshl_b64 s[20:21], s[20:21], 1
	s_cmp_lt_i32 s22, s41
	v_add_co_u32 v11, vcc_lo, v1, s10
	s_cselect_b32 s22, s22, s42
	s_add_i32 s24, s43, 0xfffffa40
	s_ashr_i32 s23, s22, 31
	v_add_co_ci_u32_e32 v12, vcc_lo, s11, v3, vcc_lo
	s_lshl_b64 s[22:23], s[22:23], 1
	s_cmp_lt_i32 s24, s41
	v_add_co_u32 v13, vcc_lo, v1, s18
	global_load_u16 v26, v[11:12], off
	s_cselect_b32 s24, s24, s42
	s_add_i32 s26, s43, 0xfffffa80
	s_ashr_i32 s25, s24, 31
	v_add_co_ci_u32_e32 v14, vcc_lo, s19, v3, vcc_lo
	s_lshl_b64 s[24:25], s[24:25], 1
	s_cmp_lt_i32 s26, s41
	v_add_co_u32 v15, vcc_lo, v1, s20
	global_load_u16 v27, v[13:14], off
	s_cselect_b32 s26, s26, s42
	s_add_i32 s28, s43, 0xfffffac0
	s_ashr_i32 s27, s26, 31
	v_add_co_ci_u32_e32 v16, vcc_lo, s21, v3, vcc_lo
	s_lshl_b64 s[36:37], s[26:27], 1
	s_cmp_lt_i32 s28, s41
	v_add_co_u32 v17, vcc_lo, v1, s22
	s_cselect_b32 s26, s28, s42
	s_add_i32 s30, s43, 0xfffffb00
	s_ashr_i32 s27, s26, 31
	v_add_co_ci_u32_e32 v18, vcc_lo, s23, v3, vcc_lo
	s_lshl_b64 s[28:29], s[26:27], 1
	s_cmp_lt_i32 s30, s41
	v_add_co_u32 v19, vcc_lo, v1, s24
	global_load_u16 v17, v[17:18], off
	s_cselect_b32 s26, s30, s42
	s_add_i32 s30, s43, 0xfffffb40
	s_ashr_i32 s27, s26, 31
	v_add_co_ci_u32_e32 v20, vcc_lo, s25, v3, vcc_lo
	s_lshl_b64 s[26:27], s[26:27], 1
	s_cmp_lt_i32 s30, s41
	v_add_co_u32 v21, vcc_lo, v1, s36
	s_cselect_b32 s30, s30, s42
	s_add_i32 s46, s43, 0xfffffb80
	s_ashr_i32 s31, s30, 31
	v_add_co_ci_u32_e32 v22, vcc_lo, s37, v3, vcc_lo
	s_lshl_b64 s[34:35], s[30:31], 1
	s_cmp_lt_i32 s46, s41
	v_add_co_u32 v5, vcc_lo, v1, s28
	;; [unrolled: 7-line block ×3, first 2 shown]
	s_cselect_b32 s46, s46, s42
	s_add_i32 s48, s43, 0xfffffc00
	s_ashr_i32 s47, s46, 31
	global_load_u16 v28, v[15:16], off
	s_lshl_b64 s[38:39], s[46:47], 1
	s_cmp_lt_i32 s48, s41
	v_add_co_ci_u32_e32 v8, vcc_lo, s27, v3, vcc_lo
	s_cselect_b32 s46, s48, s42
	v_add_co_u32 v9, vcc_lo, v1, s34
	s_ashr_i32 s47, s46, 31
	s_add_i32 s4, s43, 0xfffffc40
	s_lshl_b64 s[46:47], s[46:47], 1
	v_add_co_ci_u32_e32 v10, vcc_lo, s35, v3, vcc_lo
	s_cmp_lt_i32 s4, s41
	v_add_co_u32 v11, vcc_lo, v1, s30
	s_cselect_b32 s4, s4, s42
	v_add_co_ci_u32_e32 v12, vcc_lo, s31, v3, vcc_lo
	v_add_co_u32 v13, vcc_lo, v1, s38
	s_ashr_i32 s5, s4, 31
	s_add_i32 s6, s43, 0xfffffc80
	v_add_co_ci_u32_e32 v14, vcc_lo, s39, v3, vcc_lo
	global_load_u16 v18, v[19:20], off
	s_lshl_b64 s[8:9], s[4:5], 1
	s_cmp_lt_i32 s6, s41
	global_load_u16 v30, v[13:14], off
	s_cselect_b32 s4, s6, s42
	global_load_u16 v19, v[21:22], off
	s_ashr_i32 s5, s4, 31
	s_add_i32 s6, s43, 0xfffffcc0
	s_lshl_b64 s[10:11], s[4:5], 1
	s_cmp_lt_i32 s6, s41
	s_clause 0x3
	global_load_u16 v20, v[5:6], off
	global_load_u16 v21, v[7:8], off
	;; [unrolled: 1-line block ×4, first 2 shown]
	s_cselect_b32 s4, s6, s42
	s_add_i32 s6, s43, 0xfffffd00
	s_ashr_i32 s5, s4, 31
	v_add_co_u32 v15, vcc_lo, v1, s46
	s_lshl_b64 s[4:5], s[4:5], 1
	s_cmp_lt_i32 s6, s41
	v_add_co_ci_u32_e32 v16, vcc_lo, s47, v3, vcc_lo
	s_cselect_b32 s6, s6, s42
	s_add_i32 s18, s43, 0xfffffd40
	s_ashr_i32 s7, s6, 31
	v_add_co_u32 v5, vcc_lo, v1, s8
	s_lshl_b64 s[6:7], s[6:7], 1
	s_cmp_lt_i32 s18, s41
	v_add_co_ci_u32_e32 v6, vcc_lo, s9, v3, vcc_lo
	s_cselect_b32 s18, s18, s42
	v_add_co_u32 v7, vcc_lo, v1, s10
	s_ashr_i32 s19, s18, 31
	s_add_i32 s20, s43, 0xfffffd80
	s_lshl_b64 s[18:19], s[18:19], 1
	v_add_co_ci_u32_e32 v8, vcc_lo, s11, v3, vcc_lo
	s_cmp_lt_i32 s20, s41
	v_add_co_u32 v9, vcc_lo, v1, s4
	s_cselect_b32 s20, s20, s42
	v_add_co_ci_u32_e32 v10, vcc_lo, s5, v3, vcc_lo
	v_add_co_u32 v11, vcc_lo, v1, s6
	s_ashr_i32 s21, s20, 31
	s_add_i32 s22, s43, 0xfffffdc0
	v_add_co_ci_u32_e32 v12, vcc_lo, s7, v3, vcc_lo
	global_load_u16 v15, v[15:16], off
	s_lshl_b64 s[20:21], s[20:21], 1
	s_cmp_lt_i32 s22, s41
	global_load_u16 v33, v[11:12], off
	s_cselect_b32 s22, s22, s42
	s_clause 0x2
	global_load_u16 v16, v[5:6], off
	global_load_u16 v31, v[7:8], off
	;; [unrolled: 1-line block ×3, first 2 shown]
	s_ashr_i32 s23, s22, 31
	s_add_i32 s24, s43, 0xfffffe00
	s_lshl_b64 s[22:23], s[22:23], 1
	s_cmp_lt_i32 s24, s41
	v_add_co_u32 v13, vcc_lo, v1, s18
	s_cselect_b32 s24, s24, s42
	s_add_i32 s26, s43, 0xfffffe40
	s_ashr_i32 s25, s24, 31
	v_add_co_ci_u32_e32 v14, vcc_lo, s19, v3, vcc_lo
	s_lshl_b64 s[24:25], s[24:25], 1
	s_cmp_lt_i32 s26, s41
	v_add_co_u32 v5, vcc_lo, v1, s20
	s_cselect_b32 s8, s26, s42
	v_add_co_ci_u32_e32 v6, vcc_lo, s21, v3, vcc_lo
	s_ashr_i32 s9, s8, 31
	v_add_co_u32 v7, vcc_lo, v1, s22
	s_add_i32 s10, s43, 0xfffffe80
	s_lshl_b64 s[8:9], s[8:9], 1
	v_add_co_ci_u32_e32 v8, vcc_lo, s23, v3, vcc_lo
	s_cmp_lt_i32 s10, s41
	v_add_co_u32 v9, vcc_lo, v1, s24
	s_cselect_b32 s4, s10, s42
	global_load_u16 v13, v[13:14], off
	v_add_co_ci_u32_e32 v10, vcc_lo, s25, v3, vcc_lo
	s_ashr_i32 s5, s4, 31
	s_add_i32 s6, s43, 0xfffffec0
	s_lshl_b64 s[4:5], s[4:5], 1
	global_load_u16 v35, v[9:10], off
	s_cmp_lt_i32 s6, s41
	s_clause 0x1
	global_load_u16 v14, v[5:6], off
	global_load_u16 v34, v[7:8], off
	s_cselect_b32 s6, s6, s42
	s_add_i32 s10, s43, 0xffffff00
	s_ashr_i32 s7, s6, 31
	v_add_co_u32 v5, vcc_lo, v1, s8
	s_lshl_b64 s[6:7], s[6:7], 1
	s_cmp_lt_i32 s10, s41
	v_add_co_ci_u32_e32 v6, vcc_lo, s9, v3, vcc_lo
	s_cselect_b32 s10, s10, s42
	v_add_co_u32 v7, vcc_lo, v1, s4
	s_ashr_i32 s11, s10, 31
	v_add_co_ci_u32_e32 v8, vcc_lo, s5, v3, vcc_lo
	s_add_i32 s18, s43, 0xffffff40
	s_lshl_b64 s[10:11], s[10:11], 1
	s_cmp_lt_i32 s18, s41
	s_clause 0x1
	global_load_u16 v36, v[5:6], off
	global_load_u16 v37, v[7:8], off
	s_cselect_b32 s18, s18, s42
	v_add_co_u32 v5, vcc_lo, v1, s6
	s_ashr_i32 s19, s18, 31
	v_add_co_ci_u32_e32 v6, vcc_lo, s7, v3, vcc_lo
	s_add_i32 s20, s43, 0xffffff80
	v_add_co_u32 v7, vcc_lo, v1, s10
	s_lshl_b64 s[8:9], s[18:19], 1
	s_cmp_lt_i32 s20, s41
	v_add_co_ci_u32_e32 v8, vcc_lo, s11, v3, vcc_lo
	s_cselect_b32 s4, s20, s42
	global_load_u16 v38, v[5:6], off
	s_ashr_i32 s5, s4, 31
	global_load_u16 v39, v[7:8], off
	s_sub_i32 s18, s43, 64
	v_add_co_u32 v5, vcc_lo, v1, s8
	s_lshl_b64 s[4:5], s[4:5], 1
	s_cmp_lt_i32 s18, s41
	v_add_co_ci_u32_e32 v6, vcc_lo, s9, v3, vcc_lo
	v_add_co_u32 v7, vcc_lo, v1, s4
	s_cselect_b32 s6, s18, s42
	v_add_co_ci_u32_e32 v8, vcc_lo, s5, v3, vcc_lo
	s_ashr_i32 s7, s6, 31
	global_load_u16 v40, v[5:6], off
	s_lshl_b64 s[6:7], s[6:7], 1
	global_load_u16 v41, v[7:8], off
	s_cmp_lt_i32 s43, s41
	v_add_co_u32 v5, vcc_lo, v1, s6
	s_cselect_b32 s4, s43, s42
	v_add_co_ci_u32_e32 v6, vcc_lo, s7, v3, vcc_lo
	s_ashr_i32 s5, s4, 31
	s_delay_alu instid0(SALU_CYCLE_1)
	s_lshl_b64 s[4:5], s[4:5], 1
	global_load_u16 v42, v[5:6], off
	v_add_co_u32 v5, vcc_lo, v1, s4
	v_add_co_ci_u32_e32 v6, vcc_lo, s5, v3, vcc_lo
	global_load_u16 v43, v[5:6], off
	ds_load_b128 v[5:8], v44
	ds_load_b128 v[9:12], v44 offset:16
	s_waitcnt vmcnt(31)
	v_lshlrev_b32_e32 v2, 16, v2
	s_waitcnt lgkmcnt(1)
	s_delay_alu instid0(VALU_DEP_1) | instskip(SKIP_2) | instid1(VALU_DEP_1)
	v_fmac_f32_e32 v4, v5, v2
	s_waitcnt vmcnt(30)
	v_lshlrev_b32_e32 v2, 16, v23
	v_fmac_f32_e32 v4, v6, v2
	s_waitcnt vmcnt(29)
	v_lshlrev_b32_e32 v2, 16, v24
	s_delay_alu instid0(VALU_DEP_1) | instskip(SKIP_2) | instid1(VALU_DEP_1)
	v_fmac_f32_e32 v4, v7, v2
	s_waitcnt vmcnt(28)
	v_lshlrev_b32_e32 v2, 16, v25
	v_fmac_f32_e32 v4, v8, v2
	ds_load_b128 v[5:8], v44 offset:32
	s_waitcnt vmcnt(27)
	v_lshlrev_b32_e32 v2, 16, v26
	s_waitcnt lgkmcnt(1)
	s_delay_alu instid0(VALU_DEP_1) | instskip(SKIP_2) | instid1(VALU_DEP_1)
	v_fmac_f32_e32 v4, v9, v2
	s_waitcnt vmcnt(26)
	v_lshlrev_b32_e32 v2, 16, v27
	v_fmac_f32_e32 v4, v10, v2
	s_waitcnt vmcnt(24)
	v_lshlrev_b32_e32 v2, 16, v28
	s_delay_alu instid0(VALU_DEP_1) | instskip(SKIP_1) | instid1(VALU_DEP_1)
	v_fmac_f32_e32 v4, v11, v2
	v_lshlrev_b32_e32 v2, 16, v17
	v_fmac_f32_e32 v4, v12, v2
	ds_load_b128 v[9:12], v44 offset:48
	s_waitcnt vmcnt(23)
	v_lshlrev_b32_e32 v2, 16, v18
	s_waitcnt lgkmcnt(1)
	s_delay_alu instid0(VALU_DEP_1) | instskip(SKIP_2) | instid1(VALU_DEP_1)
	v_fmac_f32_e32 v4, v5, v2
	s_waitcnt vmcnt(21)
	v_lshlrev_b32_e32 v2, 16, v19
	v_fmac_f32_e32 v4, v6, v2
	s_waitcnt vmcnt(20)
	v_lshlrev_b32_e32 v2, 16, v20
	s_delay_alu instid0(VALU_DEP_1) | instskip(SKIP_2) | instid1(VALU_DEP_1)
	v_fmac_f32_e32 v4, v7, v2
	s_waitcnt vmcnt(19)
	v_lshlrev_b32_e32 v2, 16, v21
	v_fmac_f32_e32 v4, v8, v2
	s_waitcnt vmcnt(18)
	v_lshlrev_b32_e32 v2, 16, v22
	ds_load_b128 v[5:8], v44 offset:64
	s_waitcnt lgkmcnt(1)
	v_fmac_f32_e32 v4, v9, v2
	s_waitcnt vmcnt(17)
	v_lshlrev_b32_e32 v2, 16, v29
	s_delay_alu instid0(VALU_DEP_1) | instskip(SKIP_1) | instid1(VALU_DEP_1)
	v_fmac_f32_e32 v4, v10, v2
	v_lshlrev_b32_e32 v2, 16, v30
	v_fmac_f32_e32 v4, v11, v2
	s_waitcnt vmcnt(16)
	v_lshlrev_b32_e32 v2, 16, v15
	s_delay_alu instid0(VALU_DEP_1) | instskip(SKIP_4) | instid1(VALU_DEP_1)
	v_fmac_f32_e32 v4, v12, v2
	ds_load_b128 v[9:12], v44 offset:80
	s_waitcnt vmcnt(14)
	v_lshlrev_b32_e32 v2, 16, v16
	s_waitcnt lgkmcnt(1)
	v_fmac_f32_e32 v4, v5, v2
	s_waitcnt vmcnt(13)
	v_lshlrev_b32_e32 v2, 16, v31
	s_delay_alu instid0(VALU_DEP_1) | instskip(SKIP_2) | instid1(VALU_DEP_1)
	v_fmac_f32_e32 v4, v6, v2
	s_waitcnt vmcnt(12)
	v_lshlrev_b32_e32 v2, 16, v32
	v_fmac_f32_e32 v4, v7, v2
	v_lshlrev_b32_e32 v2, 16, v33
	s_delay_alu instid0(VALU_DEP_1) | instskip(SKIP_4) | instid1(VALU_DEP_1)
	v_fmac_f32_e32 v4, v8, v2
	ds_load_b128 v[5:8], v44 offset:96
	s_waitcnt vmcnt(11)
	v_lshlrev_b32_e32 v2, 16, v13
	s_waitcnt lgkmcnt(1)
	v_fmac_f32_e32 v4, v9, v2
	s_waitcnt vmcnt(9)
	v_lshlrev_b32_e32 v2, 16, v14
	s_delay_alu instid0(VALU_DEP_1) | instskip(SKIP_2) | instid1(VALU_DEP_1)
	v_fmac_f32_e32 v4, v10, v2
	s_waitcnt vmcnt(8)
	v_lshlrev_b32_e32 v2, 16, v34
	v_fmac_f32_e32 v4, v11, v2
	;; [unrolled: 15-line block ×3, first 2 shown]
	s_waitcnt vmcnt(4)
	v_lshlrev_b32_e32 v2, 16, v39
	s_delay_alu instid0(VALU_DEP_1) | instskip(SKIP_3) | instid1(VALU_DEP_1)
	v_fmac_f32_e32 v4, v8, v2
	s_waitcnt vmcnt(3)
	v_lshlrev_b32_e32 v2, 16, v40
	s_waitcnt lgkmcnt(0)
	v_fmac_f32_e32 v4, v9, v2
	s_waitcnt vmcnt(2)
	v_lshlrev_b32_e32 v2, 16, v41
	s_delay_alu instid0(VALU_DEP_1) | instskip(SKIP_2) | instid1(VALU_DEP_1)
	v_fmac_f32_e32 v4, v10, v2
	s_waitcnt vmcnt(1)
	v_lshlrev_b32_e32 v2, 16, v42
	v_fmac_f32_e32 v4, v11, v2
	s_waitcnt vmcnt(0)
	v_lshlrev_b32_e32 v2, 16, v43
	s_delay_alu instid0(VALU_DEP_1)
	v_fmac_f32_e32 v4, v12, v2
	s_branch .LBB476_14
.LBB476_17:
	v_mov_b32_e32 v1, 0
	s_and_b32 vcc_lo, exec_lo, s15
	ds_load_b32 v1, v1 offset:1920
	s_cbranch_vccz .LBB476_19
; %bb.18:
	s_add_u32 s2, s12, s16
	s_addc_u32 s3, s13, s17
	s_load_b32 s2, s[2:3], 0x0
	s_mov_b32 s3, 0
.LBB476_19:
	s_waitcnt lgkmcnt(0)
	v_add_f32_e32 v1, 0x358637bd, v1
	s_delay_alu instid0(VALU_DEP_1) | instskip(NEXT) | instid1(VALU_DEP_1)
	v_div_scale_f32 v2, null, v1, v1, 1.0
	v_rcp_f32_e32 v3, v2
	s_waitcnt_depctr 0xfff
	v_fma_f32 v5, -v2, v3, 1.0
	s_delay_alu instid0(VALU_DEP_1) | instskip(SKIP_1) | instid1(VALU_DEP_1)
	v_fmac_f32_e32 v3, v5, v3
	v_div_scale_f32 v5, vcc_lo, 1.0, v1, 1.0
	v_mul_f32_e32 v6, v5, v3
	s_delay_alu instid0(VALU_DEP_1) | instskip(NEXT) | instid1(VALU_DEP_1)
	v_fma_f32 v7, -v2, v6, v5
	v_fmac_f32_e32 v6, v7, v3
	s_delay_alu instid0(VALU_DEP_1) | instskip(NEXT) | instid1(VALU_DEP_1)
	v_fma_f32 v2, -v2, v6, v5
	v_div_fmas_f32 v2, v2, v3, v6
	s_delay_alu instid0(VALU_DEP_1) | instskip(NEXT) | instid1(VALU_DEP_1)
	v_div_fixup_f32 v1, v2, v1, 1.0
	v_mul_f32_e32 v2, v4, v1
	s_delay_alu instid0(VALU_DEP_1) | instskip(NEXT) | instid1(VALU_DEP_1)
	v_and_b32_e32 v1, 0x7f800000, v2
	v_cmp_ne_u32_e32 vcc_lo, 0x7f800000, v1
                                        ; implicit-def: $vgpr1
	s_and_saveexec_b32 s4, vcc_lo
	s_delay_alu instid0(SALU_CYCLE_1)
	s_xor_b32 s4, exec_lo, s4
; %bb.20:
	v_bfe_u32 v1, v2, 16, 1
	s_delay_alu instid0(VALU_DEP_1)
	v_add3_u32 v1, v2, v1, 0x7fff
                                        ; implicit-def: $vgpr2
; %bb.21:
	s_and_not1_saveexec_b32 s4, s4
; %bb.22:
	v_and_b32_e32 v1, 0xffff, v2
	v_or_b32_e32 v3, 0x10000, v2
	s_delay_alu instid0(VALU_DEP_2) | instskip(NEXT) | instid1(VALU_DEP_2)
	v_cmp_eq_u32_e32 vcc_lo, 0, v1
	v_cndmask_b32_e32 v1, v3, v2, vcc_lo
; %bb.23:
	s_or_b32 exec_lo, exec_lo, s4
	s_mul_i32 s3, s33, s3
	s_mul_hi_u32 s4, s33, s2
	s_mul_i32 s2, s33, s2
	s_add_i32 s3, s4, s3
	s_mov_b32 s15, 0
	s_lshl_b64 s[2:3], s[2:3], 7
	s_delay_alu instid0(SALU_CYCLE_1) | instskip(SKIP_2) | instid1(SALU_CYCLE_1)
	s_add_u32 s2, s0, s2
	s_addc_u32 s3, s1, s3
	s_lshl_b64 s[0:1], s[14:15], 7
	s_add_u32 s0, s2, s0
	s_addc_u32 s1, s3, s1
	global_store_d16_hi_b16 v0, v1, s[0:1]
	s_nop 0
	s_sendmsg sendmsg(MSG_DEALLOC_VGPRS)
	s_endpgm
.LBB476_24:
	s_mov_b32 s4, 0
	s_branch .LBB476_2
	.section	.rodata,"a",@progbits
	.p2align	6, 0x0
	.amdhsa_kernel _Z35paged_attention_ll4mi_reduce_kernelI14__hip_bfloat16S0_Li64ELi64ELi256ELi15EEvPT0_PKfS4_PKT_PKiS9_iS4_
		.amdhsa_group_segment_fixed_size 1924
		.amdhsa_private_segment_fixed_size 0
		.amdhsa_kernarg_size 320
		.amdhsa_user_sgpr_count 14
		.amdhsa_user_sgpr_dispatch_ptr 0
		.amdhsa_user_sgpr_queue_ptr 0
		.amdhsa_user_sgpr_kernarg_segment_ptr 1
		.amdhsa_user_sgpr_dispatch_id 0
		.amdhsa_user_sgpr_private_segment_size 0
		.amdhsa_wavefront_size32 1
		.amdhsa_uses_dynamic_stack 0
		.amdhsa_enable_private_segment 0
		.amdhsa_system_sgpr_workgroup_id_x 1
		.amdhsa_system_sgpr_workgroup_id_y 1
		.amdhsa_system_sgpr_workgroup_id_z 0
		.amdhsa_system_sgpr_workgroup_info 0
		.amdhsa_system_vgpr_workitem_id 0
		.amdhsa_next_free_vgpr 77
		.amdhsa_next_free_sgpr 49
		.amdhsa_reserve_vcc 1
		.amdhsa_float_round_mode_32 0
		.amdhsa_float_round_mode_16_64 0
		.amdhsa_float_denorm_mode_32 3
		.amdhsa_float_denorm_mode_16_64 3
		.amdhsa_dx10_clamp 1
		.amdhsa_ieee_mode 1
		.amdhsa_fp16_overflow 0
		.amdhsa_workgroup_processor_mode 1
		.amdhsa_memory_ordered 1
		.amdhsa_forward_progress 0
		.amdhsa_shared_vgpr_count 0
		.amdhsa_exception_fp_ieee_invalid_op 0
		.amdhsa_exception_fp_denorm_src 0
		.amdhsa_exception_fp_ieee_div_zero 0
		.amdhsa_exception_fp_ieee_overflow 0
		.amdhsa_exception_fp_ieee_underflow 0
		.amdhsa_exception_fp_ieee_inexact 0
		.amdhsa_exception_int_div_zero 0
	.end_amdhsa_kernel
	.section	.text._Z35paged_attention_ll4mi_reduce_kernelI14__hip_bfloat16S0_Li64ELi64ELi256ELi15EEvPT0_PKfS4_PKT_PKiS9_iS4_,"axG",@progbits,_Z35paged_attention_ll4mi_reduce_kernelI14__hip_bfloat16S0_Li64ELi64ELi256ELi15EEvPT0_PKfS4_PKT_PKiS9_iS4_,comdat
.Lfunc_end476:
	.size	_Z35paged_attention_ll4mi_reduce_kernelI14__hip_bfloat16S0_Li64ELi64ELi256ELi15EEvPT0_PKfS4_PKT_PKiS9_iS4_, .Lfunc_end476-_Z35paged_attention_ll4mi_reduce_kernelI14__hip_bfloat16S0_Li64ELi64ELi256ELi15EEvPT0_PKfS4_PKT_PKiS9_iS4_
                                        ; -- End function
	.section	.AMDGPU.csdata,"",@progbits
; Kernel info:
; codeLenInByte = 8044
; NumSgprs: 51
; NumVgprs: 77
; ScratchSize: 0
; MemoryBound: 0
; FloatMode: 240
; IeeeMode: 1
; LDSByteSize: 1924 bytes/workgroup (compile time only)
; SGPRBlocks: 6
; VGPRBlocks: 9
; NumSGPRsForWavesPerEU: 51
; NumVGPRsForWavesPerEU: 77
; Occupancy: 16
; WaveLimiterHint : 0
; COMPUTE_PGM_RSRC2:SCRATCH_EN: 0
; COMPUTE_PGM_RSRC2:USER_SGPR: 14
; COMPUTE_PGM_RSRC2:TRAP_HANDLER: 0
; COMPUTE_PGM_RSRC2:TGID_X_EN: 1
; COMPUTE_PGM_RSRC2:TGID_Y_EN: 1
; COMPUTE_PGM_RSRC2:TGID_Z_EN: 0
; COMPUTE_PGM_RSRC2:TIDIG_COMP_CNT: 0
	.section	.text._Z35paged_attention_ll4mi_reduce_kernelI14__hip_bfloat16S0_Li64ELi64ELi256ELi16EEvPT0_PKfS4_PKT_PKiS9_iS4_,"axG",@progbits,_Z35paged_attention_ll4mi_reduce_kernelI14__hip_bfloat16S0_Li64ELi64ELi256ELi16EEvPT0_PKfS4_PKT_PKiS9_iS4_,comdat
	.protected	_Z35paged_attention_ll4mi_reduce_kernelI14__hip_bfloat16S0_Li64ELi64ELi256ELi16EEvPT0_PKfS4_PKT_PKiS9_iS4_ ; -- Begin function _Z35paged_attention_ll4mi_reduce_kernelI14__hip_bfloat16S0_Li64ELi64ELi256ELi16EEvPT0_PKfS4_PKT_PKiS9_iS4_
	.globl	_Z35paged_attention_ll4mi_reduce_kernelI14__hip_bfloat16S0_Li64ELi64ELi256ELi16EEvPT0_PKfS4_PKT_PKiS9_iS4_
	.p2align	8
	.type	_Z35paged_attention_ll4mi_reduce_kernelI14__hip_bfloat16S0_Li64ELi64ELi256ELi16EEvPT0_PKfS4_PKT_PKiS9_iS4_,@function
_Z35paged_attention_ll4mi_reduce_kernelI14__hip_bfloat16S0_Li64ELi64ELi256ELi16EEvPT0_PKfS4_PKT_PKiS9_iS4_: ; @_Z35paged_attention_ll4mi_reduce_kernelI14__hip_bfloat16S0_Li64ELi64ELi256ELi16EEvPT0_PKfS4_PKT_PKiS9_iS4_
; %bb.0:
	s_load_b64 s[12:13], s[0:1], 0x28
	s_mov_b32 s2, s15
	s_waitcnt lgkmcnt(0)
	s_cmp_lg_u64 s[12:13], 0
	s_cselect_b32 s15, -1, 0
	s_delay_alu instid0(SALU_CYCLE_1)
	s_and_b32 vcc_lo, exec_lo, s15
	s_cbranch_vccz .LBB477_24
; %bb.1:
	s_add_i32 s4, s2, 1
	s_mov_b32 s5, 0
	s_delay_alu instid0(SALU_CYCLE_1) | instskip(SKIP_4) | instid1(SALU_CYCLE_1)
	s_lshl_b64 s[6:7], s[4:5], 2
	s_mov_b32 s3, s5
	s_add_u32 s6, s12, s6
	s_addc_u32 s7, s13, s7
	s_lshl_b64 s[8:9], s[2:3], 2
	s_add_u32 s8, s12, s8
	s_addc_u32 s9, s13, s9
	s_clause 0x1
	s_load_b32 s4, s[6:7], 0x0
	s_load_b32 s6, s[8:9], 0x0
	s_waitcnt lgkmcnt(0)
	s_sub_i32 s4, s4, s6
	s_delay_alu instid0(SALU_CYCLE_1)
	s_cmp_eq_u32 s4, 1
	s_cselect_b32 s4, -1, 0
	s_cbranch_execnz .LBB477_3
.LBB477_2:
	s_mov_b32 s3, 0
	s_mov_b32 s4, -1
.LBB477_3:
	s_delay_alu instid0(SALU_CYCLE_1)
	s_and_not1_b32 vcc_lo, exec_lo, s4
	s_cbranch_vccz .LBB477_5
; %bb.4:
	s_endpgm
.LBB477_5:
	s_clause 0x1
	s_load_b128 s[4:7], s[0:1], 0x18
	s_load_b32 s9, s[0:1], 0x30
	s_lshl_b64 s[16:17], s[2:3], 2
	s_waitcnt lgkmcnt(0)
	s_add_u32 s6, s6, s16
	s_addc_u32 s7, s7, s17
	s_load_b32 s23, s[6:7], 0x0
	s_load_b32 s33, s[0:1], 0x40
	s_mul_i32 s7, s2, s9
	s_waitcnt lgkmcnt(0)
	s_add_i32 s22, s23, 0xff
	s_delay_alu instid0(SALU_CYCLE_1) | instskip(NEXT) | instid1(SALU_CYCLE_1)
	s_ashr_i32 s6, s22, 31
	s_lshr_b32 s6, s6, 24
	s_delay_alu instid0(SALU_CYCLE_1) | instskip(SKIP_4) | instid1(SALU_CYCLE_1)
	s_add_i32 s8, s22, s6
	s_mul_i32 s6, s14, s9
	s_mov_b32 s9, exec_lo
	v_cmpx_lt_u32_e32 31, v0
	s_xor_b32 s9, exec_lo, s9
	s_or_saveexec_b32 s24, s9
	v_mov_b32_e32 v1, s6
	s_ashr_i32 s40, s8, 8
	s_mul_i32 s18, s7, s33
	s_xor_b32 exec_lo, exec_lo, s24
	s_cbranch_execz .LBB477_9
; %bb.6:
	v_or_b32_e32 v2, 32, v0
	v_cmp_gt_i32_e32 vcc_lo, s40, v0
	s_add_i32 s20, s40, -1
	v_or_b32_e32 v4, 64, v0
	v_or_b32_e32 v6, 0x60, v0
	s_load_b128 s[8:11], s[0:1], 0x8
	v_cndmask_b32_e32 v1, s20, v0, vcc_lo
	v_cmp_gt_i32_e32 vcc_lo, s40, v2
	s_mov_b32 s19, 0
	s_delay_alu instid0(SALU_CYCLE_1)
	s_mov_b32 s7, s19
	v_cndmask_b32_e32 v3, s20, v2, vcc_lo
	v_cmp_gt_i32_e32 vcc_lo, s40, v4
	v_or_b32_e32 v2, 0x80, v0
	v_cndmask_b32_e32 v5, s20, v4, vcc_lo
	v_cmp_gt_i32_e32 vcc_lo, s40, v6
	v_or_b32_e32 v4, 0xa0, v0
	;; [unrolled: 3-line block ×3, first 2 shown]
	s_delay_alu instid0(VALU_DEP_3) | instskip(SKIP_3) | instid1(VALU_DEP_4)
	v_ashrrev_i32_e32 v8, 31, v7
	v_cndmask_b32_e32 v9, s20, v2, vcc_lo
	v_cmp_gt_i32_e32 vcc_lo, s40, v4
	v_or_b32_e32 v2, 0xe0, v0
	v_lshlrev_b64 v[7:8], 2, v[7:8]
	s_delay_alu instid0(VALU_DEP_4) | instskip(SKIP_3) | instid1(VALU_DEP_4)
	v_ashrrev_i32_e32 v10, 31, v9
	v_cndmask_b32_e32 v11, s20, v4, vcc_lo
	v_cmp_gt_i32_e32 vcc_lo, s40, v6
	v_or_b32_e32 v4, 0x100, v0
	v_lshlrev_b64 v[9:10], 2, v[9:10]
	s_delay_alu instid0(VALU_DEP_4) | instskip(SKIP_3) | instid1(VALU_DEP_4)
	;; [unrolled: 6-line block ×3, first 2 shown]
	v_ashrrev_i32_e32 v14, 31, v13
	v_cndmask_b32_e32 v15, s20, v2, vcc_lo
	v_or_b32_e32 v2, 0x120, v0
	v_cmp_gt_i32_e32 vcc_lo, s40, v4
	v_lshlrev_b64 v[13:14], 2, v[13:14]
	s_delay_alu instid0(VALU_DEP_4) | instskip(SKIP_3) | instid1(VALU_DEP_4)
	v_ashrrev_i32_e32 v16, 31, v15
	v_cndmask_b32_e32 v17, s20, v4, vcc_lo
	v_cmp_gt_i32_e32 vcc_lo, s40, v2
	v_or_b32_e32 v4, 0x160, v0
	v_lshlrev_b64 v[45:46], 2, v[15:16]
	s_delay_alu instid0(VALU_DEP_4) | instskip(SKIP_3) | instid1(VALU_DEP_4)
	v_ashrrev_i32_e32 v18, 31, v17
	v_cndmask_b32_e32 v19, s20, v2, vcc_lo
	v_cmp_gt_i32_e32 vcc_lo, s40, v6
	v_or_b32_e32 v2, 0x180, v0
	v_lshlrev_b64 v[17:18], 2, v[17:18]
	s_delay_alu instid0(VALU_DEP_4) | instskip(SKIP_3) | instid1(VALU_DEP_3)
	v_ashrrev_i32_e32 v20, 31, v19
	v_cndmask_b32_e32 v21, s20, v6, vcc_lo
	v_cmp_gt_i32_e32 vcc_lo, s40, v4
	v_or_b32_e32 v6, 0x1c0, v0
	v_ashrrev_i32_e32 v22, 31, v21
	v_cndmask_b32_e32 v23, s20, v4, vcc_lo
	v_or_b32_e32 v4, 0x1a0, v0
	v_cmp_gt_i32_e32 vcc_lo, s40, v2
	s_delay_alu instid0(VALU_DEP_3) | instskip(SKIP_1) | instid1(VALU_DEP_4)
	v_ashrrev_i32_e32 v24, 31, v23
	v_cndmask_b32_e32 v25, s20, v2, vcc_lo
	v_cmp_gt_i32_e32 vcc_lo, s40, v4
	v_or_b32_e32 v2, 0x1e0, v0
	s_delay_alu instid0(VALU_DEP_4) | instskip(NEXT) | instid1(VALU_DEP_4)
	v_lshlrev_b64 v[23:24], 2, v[23:24]
	v_ashrrev_i32_e32 v26, 31, v25
	v_cndmask_b32_e32 v27, s20, v4, vcc_lo
	v_cmp_gt_i32_e32 vcc_lo, s40, v6
	v_ashrrev_i32_e32 v4, 31, v3
	s_delay_alu instid0(VALU_DEP_4) | instskip(NEXT) | instid1(VALU_DEP_4)
	v_lshlrev_b64 v[25:26], 2, v[25:26]
	v_ashrrev_i32_e32 v28, 31, v27
	v_cndmask_b32_e32 v29, s20, v6, vcc_lo
	v_cmp_gt_i32_e32 vcc_lo, s40, v2
	v_ashrrev_i32_e32 v6, 31, v5
	v_lshlrev_b64 v[35:36], 2, v[3:4]
	v_lshlrev_b64 v[27:28], 2, v[27:28]
	v_ashrrev_i32_e32 v30, 31, v29
	v_cndmask_b32_e32 v31, s20, v2, vcc_lo
	v_ashrrev_i32_e32 v2, 31, v1
	s_lshl_b64 s[20:21], s[18:19], 2
	v_lshlrev_b64 v[5:6], 2, v[5:6]
	s_waitcnt lgkmcnt(0)
	s_add_u32 s19, s10, s20
	s_addc_u32 s25, s11, s21
	v_lshlrev_b64 v[33:34], 2, v[1:2]
	s_lshl_b64 s[10:11], s[6:7], 2
	v_ashrrev_i32_e32 v32, 31, v31
	s_add_u32 s7, s19, s10
	s_addc_u32 s19, s25, s11
	v_lshlrev_b64 v[29:30], 2, v[29:30]
	v_add_co_u32 v1, vcc_lo, s7, v33
	v_add_co_ci_u32_e32 v2, vcc_lo, s19, v34, vcc_lo
	v_add_co_u32 v3, vcc_lo, s7, v35
	v_add_co_ci_u32_e32 v4, vcc_lo, s19, v36, vcc_lo
	;; [unrolled: 2-line block ×8, first 2 shown]
	s_clause 0x7
	global_load_b32 v49, v[1:2], off
	global_load_b32 v50, v[3:4], off
	;; [unrolled: 1-line block ×8, first 2 shown]
	v_lshlrev_b64 v[37:38], 2, v[19:20]
	v_add_co_u32 v1, vcc_lo, s7, v17
	v_lshlrev_b64 v[39:40], 2, v[21:22]
	v_add_co_ci_u32_e32 v2, vcc_lo, s19, v18, vcc_lo
	s_delay_alu instid0(VALU_DEP_4) | instskip(SKIP_1) | instid1(VALU_DEP_4)
	v_add_co_u32 v3, vcc_lo, s7, v37
	v_add_co_ci_u32_e32 v4, vcc_lo, s19, v38, vcc_lo
	v_add_co_u32 v15, vcc_lo, s7, v39
	v_add_co_ci_u32_e32 v16, vcc_lo, s19, v40, vcc_lo
	;; [unrolled: 2-line block ×3, first 2 shown]
	s_clause 0x3
	global_load_b32 v47, v[1:2], off
	global_load_b32 v48, v[3:4], off
	;; [unrolled: 1-line block ×4, first 2 shown]
	v_add_co_u32 v1, vcc_lo, s7, v25
	v_add_co_ci_u32_e32 v2, vcc_lo, s19, v26, vcc_lo
	v_add_co_u32 v3, vcc_lo, s7, v27
	v_lshlrev_b64 v[31:32], 2, v[31:32]
	v_add_co_ci_u32_e32 v4, vcc_lo, s19, v28, vcc_lo
	v_add_co_u32 v15, vcc_lo, s7, v29
	v_add_co_ci_u32_e32 v16, vcc_lo, s19, v30, vcc_lo
	s_delay_alu instid0(VALU_DEP_4)
	v_add_co_u32 v19, vcc_lo, s7, v31
	v_add_co_ci_u32_e32 v20, vcc_lo, s19, v32, vcc_lo
	s_clause 0x3
	global_load_b32 v55, v[1:2], off
	global_load_b32 v56, v[3:4], off
	;; [unrolled: 1-line block ×4, first 2 shown]
	v_mbcnt_lo_u32_b32 v19, -1, 0
	s_add_u32 s7, s8, s20
	s_addc_u32 s8, s9, s21
	s_add_u32 s7, s7, s10
	s_addc_u32 s8, s8, s11
	v_xor_b32_e32 v4, 2, v19
	s_waitcnt vmcnt(14)
	v_dual_max_f32 v2, v49, v49 :: v_dual_max_f32 v1, v50, v50
	s_delay_alu instid0(VALU_DEP_1) | instskip(SKIP_1) | instid1(VALU_DEP_1)
	v_max_f32_e32 v1, v2, v1
	v_xor_b32_e32 v2, 16, v19
	v_cmp_gt_i32_e32 vcc_lo, 32, v2
	v_cndmask_b32_e32 v2, v19, v2, vcc_lo
	s_waitcnt vmcnt(12)
	v_max3_f32 v1, v1, v51, v52
	s_waitcnt vmcnt(10)
	s_delay_alu instid0(VALU_DEP_1) | instskip(SKIP_1) | instid1(VALU_DEP_1)
	v_max3_f32 v1, v1, v41, v42
	s_waitcnt vmcnt(8)
	v_max3_f32 v1, v1, v43, v44
	s_waitcnt vmcnt(6)
	s_delay_alu instid0(VALU_DEP_1) | instskip(SKIP_1) | instid1(VALU_DEP_1)
	v_max3_f32 v1, v1, v47, v48
	s_waitcnt vmcnt(4)
	v_max3_f32 v1, v1, v53, v54
	s_waitcnt vmcnt(2)
	s_delay_alu instid0(VALU_DEP_1) | instskip(SKIP_3) | instid1(VALU_DEP_3)
	v_max3_f32 v3, v1, v55, v56
	v_lshlrev_b32_e32 v1, 2, v2
	v_xor_b32_e32 v2, 8, v19
	s_waitcnt vmcnt(0)
	v_max3_f32 v15, v3, v57, v58
	v_xor_b32_e32 v3, 4, v19
	s_delay_alu instid0(VALU_DEP_3)
	v_cmp_gt_i32_e32 vcc_lo, 32, v2
	ds_bpermute_b32 v16, v1, v15
	v_cndmask_b32_e32 v2, v19, v2, vcc_lo
	v_cmp_gt_i32_e32 vcc_lo, 32, v3
	v_cndmask_b32_e32 v3, v19, v3, vcc_lo
	v_cmp_gt_i32_e32 vcc_lo, 32, v4
	s_delay_alu instid0(VALU_DEP_2) | instskip(SKIP_1) | instid1(VALU_DEP_2)
	v_dual_cndmask_b32 v20, v19, v4 :: v_dual_lshlrev_b32 v3, 2, v3
	v_lshlrev_b32_e32 v4, 2, v2
	v_lshlrev_b32_e32 v2, 2, v20
	s_waitcnt lgkmcnt(0)
	v_max_f32_e32 v16, v16, v16
	s_delay_alu instid0(VALU_DEP_1)
	v_max_f32_e32 v59, v15, v16
	v_add_co_u32 v15, vcc_lo, s7, v33
	v_add_co_ci_u32_e32 v16, vcc_lo, s8, v34, vcc_lo
	ds_bpermute_b32 v33, v4, v59
	v_add_co_u32 v21, vcc_lo, s7, v35
	v_add_co_ci_u32_e32 v22, vcc_lo, s8, v36, vcc_lo
	s_clause 0x1
	global_load_b32 v20, v[15:16], off
	global_load_b32 v21, v[21:22], off
	v_add_co_u32 v5, vcc_lo, s7, v5
	v_add_co_ci_u32_e32 v6, vcc_lo, s8, v6, vcc_lo
	v_add_co_u32 v7, vcc_lo, s7, v7
	v_add_co_ci_u32_e32 v8, vcc_lo, s8, v8, vcc_lo
	v_add_co_u32 v9, vcc_lo, s7, v9
	v_add_co_ci_u32_e32 v10, vcc_lo, s8, v10, vcc_lo
	s_waitcnt lgkmcnt(0)
	v_max_f32_e32 v16, v33, v33
	s_clause 0x1
	global_load_b32 v22, v[5:6], off
	global_load_b32 v15, v[7:8], off
	v_add_co_u32 v5, vcc_lo, s7, v11
	v_max_f32_e32 v33, v59, v16
	v_add_co_ci_u32_e32 v6, vcc_lo, s8, v12, vcc_lo
	v_add_co_u32 v7, vcc_lo, s7, v13
	ds_bpermute_b32 v34, v3, v33
	v_add_co_ci_u32_e32 v8, vcc_lo, s8, v14, vcc_lo
	s_clause 0x1
	global_load_b32 v16, v[9:10], off
	global_load_b32 v5, v[5:6], off
	v_add_co_u32 v9, vcc_lo, s7, v45
	v_add_co_ci_u32_e32 v10, vcc_lo, s8, v46, vcc_lo
	v_add_co_u32 v11, vcc_lo, s7, v17
	v_add_co_ci_u32_e32 v12, vcc_lo, s8, v18, vcc_lo
	v_add_co_u32 v13, vcc_lo, s7, v37
	s_clause 0x2
	global_load_b32 v6, v[7:8], off
	global_load_b32 v7, v[9:10], off
	;; [unrolled: 1-line block ×3, first 2 shown]
	v_add_co_ci_u32_e32 v14, vcc_lo, s8, v38, vcc_lo
	s_waitcnt lgkmcnt(0)
	v_max_f32_e32 v10, v34, v34
	v_add_co_u32 v17, vcc_lo, s7, v39
	v_add_co_ci_u32_e32 v18, vcc_lo, s8, v40, vcc_lo
	v_add_co_u32 v11, vcc_lo, s7, v23
	s_delay_alu instid0(VALU_DEP_4)
	v_max_f32_e32 v23, v33, v10
	v_add_co_ci_u32_e32 v12, vcc_lo, s8, v24, vcc_lo
	global_load_b32 v9, v[13:14], off
	v_add_co_u32 v13, vcc_lo, s7, v25
	ds_bpermute_b32 v24, v2, v23
	v_add_co_ci_u32_e32 v14, vcc_lo, s8, v26, vcc_lo
	s_clause 0x2
	global_load_b32 v10, v[17:18], off
	global_load_b32 v11, v[11:12], off
	;; [unrolled: 1-line block ×3, first 2 shown]
	v_add_co_u32 v13, vcc_lo, s7, v27
	v_add_co_ci_u32_e32 v14, vcc_lo, s8, v28, vcc_lo
	v_xor_b32_e32 v18, 1, v19
	global_load_b32 v17, v[13:14], off
	v_add_co_u32 v13, vcc_lo, s7, v29
	v_add_co_ci_u32_e32 v14, vcc_lo, s8, v30, vcc_lo
	v_cmp_gt_i32_e32 vcc_lo, 32, v18
	s_waitcnt lgkmcnt(0)
	v_dual_max_f32 v24, v24, v24 :: v_dual_cndmask_b32 v19, v19, v18
	global_load_b32 v18, v[13:14], off
	v_lshlrev_b32_e32 v13, 2, v19
	v_max_f32_e32 v19, v23, v24
	v_add_co_u32 v23, vcc_lo, s7, v31
	v_add_co_ci_u32_e32 v24, vcc_lo, s8, v32, vcc_lo
	ds_bpermute_b32 v25, v13, v19
	s_mov_b32 s7, exec_lo
	global_load_b32 v14, v[23:24], off
	s_waitcnt lgkmcnt(0)
	v_max_f32_e32 v23, v25, v25
	s_delay_alu instid0(VALU_DEP_1) | instskip(SKIP_1) | instid1(VALU_DEP_2)
	v_max_f32_e32 v23, v19, v23
	v_sub_nc_u32_e32 v19, s40, v0
	v_sub_f32_e32 v29, v42, v23
	s_delay_alu instid0(VALU_DEP_1) | instskip(NEXT) | instid1(VALU_DEP_1)
	v_dual_sub_f32 v31, v44, v23 :: v_dual_mul_f32 v44, 0x3fb8aa3b, v29
	v_rndne_f32_e32 v66, v44
	v_fma_f32 v65, 0x3fb8aa3b, v29, -v44
	s_delay_alu instid0(VALU_DEP_2)
	v_sub_f32_e32 v44, v44, v66
	v_sub_f32_e32 v33, v48, v23
	;; [unrolled: 1-line block ×6, first 2 shown]
	v_mul_f32_e32 v48, 0x3fb8aa3b, v33
	v_sub_f32_e32 v30, v43, v23
	v_sub_f32_e32 v32, v47, v23
	;; [unrolled: 1-line block ×4, first 2 shown]
	v_rndne_f32_e32 v74, v48
	v_sub_f32_e32 v25, v50, v23
	v_mul_f32_e32 v50, 0x3fb8aa3b, v35
	v_sub_f32_e32 v38, v57, v23
	v_cmp_ngt_f32_e32 vcc_lo, 0xc2ce8ed0, v24
	v_cvt_i32_f32_e32 v66, v66
	s_delay_alu instid0(VALU_DEP_4) | instskip(SKIP_1) | instid1(VALU_DEP_2)
	v_rndne_f32_e32 v78, v50
	v_fma_f32 v77, 0x3fb8aa3b, v35, -v50
	v_sub_f32_e32 v50, v50, v78
	v_mul_f32_e32 v46, 0x3fb8aa3b, v31
	v_cvt_i32_f32_e32 v78, v78
	s_delay_alu instid0(VALU_DEP_2) | instskip(SKIP_2) | instid1(VALU_DEP_3)
	v_rndne_f32_e32 v70, v46
	v_sub_f32_e32 v27, v52, v23
	v_fma_f32 v69, 0x3fb8aa3b, v31, -v46
	v_sub_f32_e32 v46, v46, v70
	s_delay_alu instid0(VALU_DEP_3) | instskip(NEXT) | instid1(VALU_DEP_3)
	v_mul_f32_e32 v42, 0x3fb8aa3b, v27
	v_fmac_f32_e32 v69, 0x32a5705f, v31
	v_mul_f32_e32 v39, 0x3fb8aa3b, v24
	v_cvt_i32_f32_e32 v70, v70
	s_delay_alu instid0(VALU_DEP_4) | instskip(NEXT) | instid1(VALU_DEP_4)
	v_fma_f32 v61, 0x3fb8aa3b, v27, -v42
	v_add_f32_e32 v46, v46, v69
	v_rndne_f32_e32 v62, v42
	v_fma_f32 v55, 0x3fb8aa3b, v24, -v39
	s_delay_alu instid0(VALU_DEP_4) | instskip(NEXT) | instid1(VALU_DEP_4)
	v_fmac_f32_e32 v61, 0x32a5705f, v27
	v_exp_f32_e32 v46, v46
	s_delay_alu instid0(VALU_DEP_3) | instskip(SKIP_2) | instid1(VALU_DEP_3)
	v_dual_sub_f32 v42, v42, v62 :: v_dual_sub_f32 v37, v56, v23
	v_rndne_f32_e32 v56, v39
	v_cvt_i32_f32_e32 v62, v62
	v_add_f32_e32 v42, v42, v61
	s_delay_alu instid0(VALU_DEP_4)
	v_mul_f32_e32 v52, 0x3fb8aa3b, v37
	s_waitcnt_depctr 0xfff
	v_ldexp_f32 v46, v46, v70
	v_fmac_f32_e32 v55, 0x32a5705f, v24
	v_rndne_f32_e32 v82, v52
	v_fma_f32 v81, 0x3fb8aa3b, v37, -v52
	v_exp_f32_e32 v42, v42
	s_delay_alu instid0(VALU_DEP_2) | instskip(SKIP_1) | instid1(VALU_DEP_3)
	v_dual_sub_f32 v52, v52, v82 :: v_dual_fmac_f32 v65, 0x32a5705f, v29
	v_sub_f32_e32 v23, v58, v23
	v_fmac_f32_e32 v81, 0x32a5705f, v37
	v_mul_f32_e32 v45, 0x3fb8aa3b, v30
	v_cvt_i32_f32_e32 v82, v82
	v_add_f32_e32 v44, v44, v65
	v_mul_f32_e32 v54, 0x3fb8aa3b, v23
	v_add_f32_e32 v52, v52, v81
	s_delay_alu instid0(TRANS32_DEP_1)
	v_ldexp_f32 v42, v42, v62
	v_fma_f32 v67, 0x3fb8aa3b, v30, -v45
	v_rndne_f32_e32 v68, v45
	v_rndne_f32_e32 v86, v54
	v_fma_f32 v85, 0x3fb8aa3b, v23, -v54
	v_exp_f32_e32 v52, v52
	v_fmac_f32_e32 v67, 0x32a5705f, v30
	v_exp_f32_e32 v44, v44
	v_sub_f32_e32 v54, v54, v86
	v_fma_f32 v73, 0x3fb8aa3b, v33, -v48
	v_sub_f32_e32 v48, v48, v74
	v_mul_f32_e32 v40, 0x3fb8aa3b, v25
	v_cvt_i32_f32_e32 v74, v74
	v_fmac_f32_e32 v85, 0x32a5705f, v23
	v_fmac_f32_e32 v73, 0x32a5705f, v33
	v_mul_f32_e32 v41, 0x3fb8aa3b, v26
	v_fma_f32 v57, 0x3fb8aa3b, v25, -v40
	v_rndne_f32_e32 v58, v40
	v_ldexp_f32 v52, v52, v82
	v_add_f32_e32 v48, v48, v73
	v_fma_f32 v59, 0x3fb8aa3b, v26, -v41
	v_rndne_f32_e32 v60, v41
	v_sub_f32_e32 v40, v40, v58
	v_cvt_i32_f32_e32 v58, v58
	v_exp_f32_e32 v48, v48
	v_fmac_f32_e32 v59, 0x32a5705f, v26
	v_dual_mul_f32 v47, 0x3fb8aa3b, v32 :: v_dual_add_f32 v54, v54, v85
	v_ldexp_f32 v44, v44, v66
	s_delay_alu instid0(VALU_DEP_2) | instskip(SKIP_1) | instid1(VALU_DEP_4)
	v_fma_f32 v71, 0x3fb8aa3b, v32, -v47
	v_rndne_f32_e32 v72, v47
	v_exp_f32_e32 v54, v54
	s_delay_alu instid0(TRANS32_DEP_2) | instskip(SKIP_1) | instid1(VALU_DEP_1)
	v_ldexp_f32 v48, v48, v74
	v_fmac_f32_e32 v57, 0x32a5705f, v25
	v_dual_fmac_f32 v71, 0x32a5705f, v32 :: v_dual_add_f32 v40, v40, v57
	v_fmac_f32_e32 v77, 0x32a5705f, v35
	v_mul_f32_e32 v43, 0x3fb8aa3b, v28
	s_delay_alu instid0(VALU_DEP_3) | instskip(NEXT) | instid1(VALU_DEP_2)
	v_exp_f32_e32 v40, v40
	v_add_f32_e32 v50, v50, v77
	s_delay_alu instid0(VALU_DEP_2) | instskip(SKIP_1) | instid1(VALU_DEP_3)
	v_fma_f32 v63, 0x3fb8aa3b, v28, -v43
	v_rndne_f32_e32 v64, v43
	v_exp_f32_e32 v50, v50
	s_delay_alu instid0(VALU_DEP_2)
	v_fmac_f32_e32 v63, 0x32a5705f, v28
	s_waitcnt_depctr 0xfff
	v_ldexp_f32 v40, v40, v58
	v_ldexp_f32 v50, v50, v78
	v_sub_f32_e32 v39, v39, v56
	v_cvt_i32_f32_e32 v56, v56
	s_delay_alu instid0(VALU_DEP_2) | instskip(NEXT) | instid1(VALU_DEP_1)
	v_add_f32_e32 v39, v39, v55
	v_exp_f32_e32 v39, v39
	s_waitcnt_depctr 0xfff
	v_ldexp_f32 v39, v39, v56
	s_delay_alu instid0(VALU_DEP_1) | instskip(SKIP_4) | instid1(VALU_DEP_4)
	v_cndmask_b32_e32 v39, 0, v39, vcc_lo
	v_sub_f32_e32 v41, v41, v60
	v_cvt_i32_f32_e32 v60, v60
	v_cmp_ngt_f32_e32 vcc_lo, 0xc2ce8ed0, v25
	v_mul_f32_e32 v49, 0x3fb8aa3b, v34
	v_dual_add_f32 v41, v41, v59 :: v_dual_cndmask_b32 v40, 0, v40
	v_cmp_ngt_f32_e32 vcc_lo, 0xc2ce8ed0, v26
	s_delay_alu instid0(VALU_DEP_3) | instskip(NEXT) | instid1(VALU_DEP_3)
	v_fma_f32 v75, 0x3fb8aa3b, v34, -v49
	v_exp_f32_e32 v41, v41
	v_rndne_f32_e32 v76, v49
	s_delay_alu instid0(VALU_DEP_2) | instskip(SKIP_2) | instid1(VALU_DEP_1)
	v_fmac_f32_e32 v75, 0x32a5705f, v34
	s_waitcnt_depctr 0xfff
	v_ldexp_f32 v41, v41, v60
	v_cndmask_b32_e32 v41, 0, v41, vcc_lo
	v_sub_f32_e32 v43, v43, v64
	v_cvt_i32_f32_e32 v64, v64
	v_cmp_ngt_f32_e32 vcc_lo, 0xc2ce8ed0, v27
	v_mul_f32_e32 v51, 0x3fb8aa3b, v36
	s_delay_alu instid0(VALU_DEP_4) | instskip(SKIP_1) | instid1(VALU_DEP_3)
	v_dual_add_f32 v43, v43, v63 :: v_dual_cndmask_b32 v42, 0, v42
	v_cmp_ngt_f32_e32 vcc_lo, 0xc2ce8ed0, v28
	v_fma_f32 v79, 0x3fb8aa3b, v36, -v51
	s_delay_alu instid0(VALU_DEP_3) | instskip(SKIP_1) | instid1(VALU_DEP_2)
	v_exp_f32_e32 v43, v43
	v_rndne_f32_e32 v80, v51
	v_fmac_f32_e32 v79, 0x32a5705f, v36
	s_waitcnt_depctr 0xfff
	v_ldexp_f32 v43, v43, v64
	s_delay_alu instid0(VALU_DEP_1) | instskip(SKIP_4) | instid1(VALU_DEP_4)
	v_cndmask_b32_e32 v43, 0, v43, vcc_lo
	v_sub_f32_e32 v45, v45, v68
	v_cvt_i32_f32_e32 v68, v68
	v_cmp_ngt_f32_e32 vcc_lo, 0xc2ce8ed0, v29
	v_mul_f32_e32 v53, 0x3fb8aa3b, v38
	v_dual_add_f32 v45, v45, v67 :: v_dual_cndmask_b32 v44, 0, v44
	v_cmp_ngt_f32_e32 vcc_lo, 0xc2ce8ed0, v30
	s_delay_alu instid0(VALU_DEP_3) | instskip(NEXT) | instid1(VALU_DEP_3)
	v_rndne_f32_e32 v84, v53
	v_exp_f32_e32 v45, v45
	v_fma_f32 v83, 0x3fb8aa3b, v38, -v53
	s_waitcnt_depctr 0xfff
	v_ldexp_f32 v45, v45, v68
	s_delay_alu instid0(VALU_DEP_1) | instskip(SKIP_3) | instid1(VALU_DEP_3)
	v_cndmask_b32_e32 v45, 0, v45, vcc_lo
	v_sub_f32_e32 v47, v47, v72
	v_cmp_ngt_f32_e32 vcc_lo, 0xc2ce8ed0, v31
	v_cvt_i32_f32_e32 v72, v72
	v_dual_add_f32 v47, v47, v71 :: v_dual_cndmask_b32 v46, 0, v46
	v_sub_f32_e32 v49, v49, v76
	v_cmp_ngt_f32_e32 vcc_lo, 0xc2ce8ed0, v32
	v_cvt_i32_f32_e32 v76, v76
	s_delay_alu instid0(VALU_DEP_4) | instskip(NEXT) | instid1(VALU_DEP_3)
	v_exp_f32_e32 v47, v47
	v_add_f32_e32 v49, v49, v75
	s_delay_alu instid0(VALU_DEP_1) | instskip(SKIP_2) | instid1(VALU_DEP_1)
	v_exp_f32_e32 v49, v49
	s_waitcnt_depctr 0xfff
	v_ldexp_f32 v47, v47, v72
	v_cndmask_b32_e32 v47, 0, v47, vcc_lo
	v_cmp_ngt_f32_e32 vcc_lo, 0xc2ce8ed0, v33
	v_ldexp_f32 v49, v49, v76
	v_cndmask_b32_e32 v48, 0, v48, vcc_lo
	v_cmp_ngt_f32_e32 vcc_lo, 0xc2ce8ed0, v34
	s_delay_alu instid0(VALU_DEP_3) | instskip(SKIP_3) | instid1(VALU_DEP_3)
	v_cndmask_b32_e32 v49, 0, v49, vcc_lo
	v_sub_f32_e32 v51, v51, v80
	v_cvt_i32_f32_e32 v80, v80
	v_cmp_ngt_f32_e32 vcc_lo, 0xc2ce8ed0, v35
	v_dual_add_f32 v51, v51, v79 :: v_dual_cndmask_b32 v50, 0, v50
	v_cmp_ngt_f32_e32 vcc_lo, 0xc2ce8ed0, v36
	s_delay_alu instid0(VALU_DEP_2) | instskip(SKIP_2) | instid1(VALU_DEP_1)
	v_exp_f32_e32 v51, v51
	s_waitcnt_depctr 0xfff
	v_ldexp_f32 v51, v51, v80
	v_cndmask_b32_e32 v51, 0, v51, vcc_lo
	v_cmp_ngt_f32_e32 vcc_lo, 0xc2ce8ed0, v37
	v_cndmask_b32_e32 v52, 0, v52, vcc_lo
	v_cmp_nlt_f32_e32 vcc_lo, 0x42b17218, v24
	v_cndmask_b32_e32 v24, 0x7f800000, v39, vcc_lo
	v_cmp_nlt_f32_e32 vcc_lo, 0x42b17218, v25
	;; [unrolled: 2-line block ×6, first 2 shown]
	v_cndmask_b32_e32 v29, 0x7f800000, v44, vcc_lo
	v_cmp_lt_i32_e32 vcc_lo, 0, v19
	v_cndmask_b32_e32 v24, 0, v24, vcc_lo
	v_cmp_lt_i32_e32 vcc_lo, 32, v19
	s_waitcnt vmcnt(15)
	s_delay_alu instid0(VALU_DEP_2) | instskip(SKIP_2) | instid1(VALU_DEP_2)
	v_dual_mul_f32 v20, v20, v24 :: v_dual_cndmask_b32 v25, 0, v25
	v_cmp_nlt_f32_e32 vcc_lo, 0x42b17218, v30
	s_waitcnt vmcnt(14)
	v_mul_f32_e32 v21, v21, v25
	v_cndmask_b32_e32 v30, 0x7f800000, v45, vcc_lo
	v_cmp_lt_i32_e32 vcc_lo, 64, v19
	v_cndmask_b32_e32 v26, 0, v26, vcc_lo
	v_cmp_nlt_f32_e32 vcc_lo, 0x42b17218, v31
	s_waitcnt vmcnt(13)
	s_delay_alu instid0(VALU_DEP_2)
	v_mul_f32_e32 v22, v22, v26
	v_cndmask_b32_e32 v24, 0x7f800000, v46, vcc_lo
	v_cmp_lt_i32_e32 vcc_lo, 0x60, v19
	v_dual_add_f32 v26, v20, v21 :: v_dual_cndmask_b32 v25, 0, v27
	v_cmp_nlt_f32_e32 vcc_lo, 0x42b17218, v32
	s_waitcnt vmcnt(12)
	s_delay_alu instid0(VALU_DEP_2)
	v_mul_f32_e32 v15, v15, v25
	v_cndmask_b32_e32 v27, 0x7f800000, v47, vcc_lo
	v_cmp_lt_i32_e32 vcc_lo, 0x80, v19
	v_dual_add_f32 v25, v26, v22 :: v_dual_cndmask_b32 v28, 0, v28
	v_cmp_nlt_f32_e32 vcc_lo, 0x42b17218, v33
	s_waitcnt vmcnt(11)
	s_delay_alu instid0(VALU_DEP_2) | instskip(SKIP_2) | instid1(VALU_DEP_3)
	v_dual_add_f32 v25, v25, v15 :: v_dual_mul_f32 v16, v16, v28
	v_cndmask_b32_e32 v26, 0x7f800000, v48, vcc_lo
	v_cmp_lt_i32_e32 vcc_lo, 0xa0, v19
	v_add_f32_e32 v25, v25, v16
	v_cndmask_b32_e32 v29, 0, v29, vcc_lo
	v_cmp_nlt_f32_e32 vcc_lo, 0x42b17218, v34
	s_waitcnt vmcnt(10)
	s_delay_alu instid0(VALU_DEP_2) | instskip(SKIP_2) | instid1(VALU_DEP_3)
	v_mul_f32_e32 v5, v5, v29
	v_cndmask_b32_e32 v28, 0x7f800000, v49, vcc_lo
	v_cmp_lt_i32_e32 vcc_lo, 0xc0, v19
	v_dual_add_f32 v25, v25, v5 :: v_dual_cndmask_b32 v30, 0, v30
	v_cmp_nlt_f32_e32 vcc_lo, 0x42b17218, v35
	s_waitcnt vmcnt(9)
	s_delay_alu instid0(VALU_DEP_2)
	v_mul_f32_e32 v6, v6, v30
	v_cndmask_b32_e32 v29, 0x7f800000, v50, vcc_lo
	v_cmp_lt_i32_e32 vcc_lo, 0xe0, v19
	v_cndmask_b32_e32 v24, 0, v24, vcc_lo
	v_cmp_nlt_f32_e32 vcc_lo, 0x42b17218, v36
	v_sub_f32_e32 v53, v53, v84
	v_cvt_i32_f32_e32 v84, v84
	s_waitcnt vmcnt(8)
	v_dual_mul_f32 v7, v7, v24 :: v_dual_cndmask_b32 v30, 0x7f800000, v51
	v_cmp_lt_i32_e32 vcc_lo, 0x100, v19
	v_dual_add_f32 v24, v25, v6 :: v_dual_cndmask_b32 v27, 0, v27
	v_cmp_lt_i32_e32 vcc_lo, 0x120, v19
	s_delay_alu instid0(VALU_DEP_2) | instskip(SKIP_1) | instid1(VALU_DEP_3)
	v_add_f32_e32 v24, v24, v7
	s_waitcnt vmcnt(7)
	v_dual_mul_f32 v8, v8, v27 :: v_dual_cndmask_b32 v25, 0, v26
	v_cmp_lt_i32_e32 vcc_lo, 0x140, v19
	s_delay_alu instid0(VALU_DEP_2) | instskip(SKIP_1) | instid1(VALU_DEP_3)
	v_dual_fmac_f32 v83, 0x32a5705f, v38 :: v_dual_add_f32 v24, v24, v8
	s_waitcnt vmcnt(6)
	v_dual_mul_f32 v9, v9, v25 :: v_dual_cndmask_b32 v26, 0, v28
	s_delay_alu instid0(VALU_DEP_2) | instskip(SKIP_1) | instid1(VALU_DEP_3)
	v_add_f32_e32 v53, v53, v83
	v_cmp_lt_i32_e32 vcc_lo, 0x160, v19
	v_add_f32_e32 v24, v24, v9
	s_waitcnt vmcnt(5)
	v_mul_f32_e32 v10, v10, v26
	v_exp_f32_e32 v53, v53
	v_cndmask_b32_e32 v27, 0, v29, vcc_lo
	v_cmp_lt_i32_e32 vcc_lo, 0x180, v19
	s_waitcnt vmcnt(4)
	s_delay_alu instid0(VALU_DEP_2) | instskip(SKIP_3) | instid1(TRANS32_DEP_1)
	v_dual_add_f32 v24, v24, v10 :: v_dual_mul_f32 v11, v11, v27
	v_cndmask_b32_e32 v28, 0, v30, vcc_lo
	v_cmp_nlt_f32_e32 vcc_lo, 0x42b17218, v37
	v_cvt_i32_f32_e32 v27, v86
	v_ldexp_f32 v53, v53, v84
	v_add_f32_e32 v24, v24, v11
	s_waitcnt vmcnt(3)
	v_mul_f32_e32 v12, v12, v28
	v_cndmask_b32_e32 v25, 0x7f800000, v52, vcc_lo
	v_cmp_ngt_f32_e32 vcc_lo, 0xc2ce8ed0, v38
	s_delay_alu instid0(VALU_DEP_3)
	v_add_f32_e32 v24, v24, v12
	v_cndmask_b32_e32 v26, 0, v53, vcc_lo
	v_cmp_lt_i32_e32 vcc_lo, 0x1a0, v19
	v_cndmask_b32_e32 v25, 0, v25, vcc_lo
	v_cmp_nlt_f32_e32 vcc_lo, 0x42b17218, v38
	s_waitcnt vmcnt(2)
	s_delay_alu instid0(VALU_DEP_2) | instskip(SKIP_2) | instid1(VALU_DEP_3)
	v_dual_mul_f32 v17, v17, v25 :: v_dual_cndmask_b32 v26, 0x7f800000, v26
	v_cmp_lt_i32_e32 vcc_lo, 0x1c0, v19
	v_ldexp_f32 v25, v54, v27
	v_add_f32_e32 v24, v24, v17
	s_delay_alu instid0(VALU_DEP_4) | instskip(SKIP_2) | instid1(VALU_DEP_2)
	v_cndmask_b32_e32 v26, 0, v26, vcc_lo
	v_cmp_ngt_f32_e32 vcc_lo, 0xc2ce8ed0, v23
	s_waitcnt vmcnt(1)
	v_dual_mul_f32 v18, v18, v26 :: v_dual_cndmask_b32 v25, 0, v25
	v_cmp_nlt_f32_e32 vcc_lo, 0x42b17218, v23
	s_delay_alu instid0(VALU_DEP_2) | instskip(SKIP_1) | instid1(VALU_DEP_2)
	v_cndmask_b32_e32 v23, 0x7f800000, v25, vcc_lo
	v_cmp_lt_i32_e32 vcc_lo, 0x1e0, v19
	v_cndmask_b32_e32 v19, 0, v23, vcc_lo
	v_add_f32_e32 v23, v24, v18
	s_waitcnt vmcnt(0)
	s_delay_alu instid0(VALU_DEP_1)
	v_fmac_f32_e32 v23, v14, v19
	ds_bpermute_b32 v1, v1, v23
	s_waitcnt lgkmcnt(0)
	v_add_f32_e32 v1, v23, v1
	ds_bpermute_b32 v4, v4, v1
	s_waitcnt lgkmcnt(0)
	v_dual_add_f32 v1, v1, v4 :: v_dual_mul_f32 v4, v14, v19
	ds_bpermute_b32 v3, v3, v1
	s_waitcnt lgkmcnt(0)
	v_add_f32_e32 v1, v1, v3
	v_lshlrev_b32_e32 v3, 2, v0
	ds_bpermute_b32 v2, v2, v1
	ds_store_2addr_b32 v3, v20, v21 offset1:32
	s_waitcnt lgkmcnt(1)
	v_add_f32_e32 v1, v1, v2
	ds_bpermute_b32 v2, v13, v1
	v_add_nc_u32_e32 v13, 0x400, v3
	ds_store_2addr_b32 v3, v22, v15 offset0:64 offset1:96
	ds_store_2addr_b32 v3, v16, v5 offset0:128 offset1:160
	;; [unrolled: 1-line block ×3, first 2 shown]
	ds_store_2addr_b32 v13, v8, v9 offset1:32
	ds_store_2addr_b32 v13, v10, v11 offset0:64 offset1:96
	ds_store_2addr_b32 v13, v12, v17 offset0:128 offset1:160
	;; [unrolled: 1-line block ×3, first 2 shown]
	v_cmpx_eq_u32_e32 0, v0
	s_cbranch_execz .LBB477_8
; %bb.7:
	s_waitcnt lgkmcnt(7)
	v_dual_add_f32 v1, v1, v2 :: v_dual_mov_b32 v2, 0
	ds_store_b32 v2, v1 offset:2048
.LBB477_8:
	s_or_b32 exec_lo, exec_lo, s7
	v_mov_b32_e32 v1, s6
.LBB477_9:
	s_or_b32 exec_lo, exec_lo, s24
	s_lshl_b32 s6, s18, 6
	s_mov_b32 s7, 0
	s_waitcnt lgkmcnt(7)
	v_dual_mov_b32 v2, 0 :: v_dual_lshlrev_b32 v1, 6, v1
	s_lshl_b64 s[6:7], s[6:7], 1
	v_lshlrev_b32_e32 v0, 1, v0
	s_add_u32 s34, s4, s6
	s_addc_u32 s35, s5, s7
	s_lshl_b32 s41, s40, 6
	v_lshlrev_b64 v[3:4], 1, v[1:2]
	s_sub_i32 s42, s41, 64
	s_cmpk_lt_i32 s22, 0x100
	v_dual_mov_b32 v30, 0 :: v_dual_mov_b32 v33, 0
	s_cselect_b32 s4, s42, 0
	s_delay_alu instid0(VALU_DEP_2)
	v_add_co_u32 v1, vcc_lo, s34, v3
	s_ashr_i32 s5, s4, 31
	v_add_co_ci_u32_e32 v3, vcc_lo, s35, v4, vcc_lo
	s_lshl_b64 s[4:5], s[4:5], 1
	s_cmpk_lt_i32 s22, 0x200
	v_add_co_u32 v1, vcc_lo, v1, v0
	s_cselect_b32 s6, s42, 64
	v_add_co_ci_u32_e32 v3, vcc_lo, 0, v3, vcc_lo
	s_ashr_i32 s7, s6, 31
	s_delay_alu instid0(VALU_DEP_2)
	v_add_co_u32 v4, vcc_lo, v1, s4
	s_lshl_b64 s[6:7], s[6:7], 1
	s_cmpk_lt_i32 s22, 0x300
	v_add_co_ci_u32_e32 v5, vcc_lo, s5, v3, vcc_lo
	s_cselect_b32 s8, s42, 0x80
	v_add_co_u32 v6, vcc_lo, v1, s6
	s_ashr_i32 s9, s8, 31
	v_add_co_ci_u32_e32 v7, vcc_lo, s7, v3, vcc_lo
	s_lshl_b64 s[8:9], s[8:9], 1
	s_cmpk_lt_i32 s22, 0x400
	v_add_co_u32 v8, vcc_lo, v1, s8
	s_cselect_b32 s10, s42, 0xc0
	v_add_co_ci_u32_e32 v9, vcc_lo, s9, v3, vcc_lo
	s_ashr_i32 s11, s10, 31
	v_dual_mov_b32 v32, 0 :: v_dual_mov_b32 v35, 0
	s_lshl_b64 s[10:11], s[10:11], 1
	s_cmpk_lt_i32 s22, 0x500
	v_add_co_u32 v11, vcc_lo, v1, s10
	s_cselect_b32 s18, s42, 0x100
	v_add_co_ci_u32_e32 v12, vcc_lo, s11, v3, vcc_lo
	s_ashr_i32 s19, s18, 31
	v_mov_b32_e32 v34, 0
	s_lshl_b64 s[18:19], s[18:19], 1
	s_cmpk_lt_i32 s22, 0x600
	v_add_co_u32 v14, vcc_lo, v1, s18
	s_cselect_b32 s20, s42, 0x140
	v_add_co_ci_u32_e32 v15, vcc_lo, s19, v3, vcc_lo
	s_ashr_i32 s21, s20, 31
	v_mov_b32_e32 v31, 0
	s_lshl_b64 s[20:21], s[20:21], 1
	s_cmpk_lt_i32 s22, 0x700
	v_add_co_u32 v16, vcc_lo, v1, s20
	s_cselect_b32 s24, s42, 0x180
	v_add_co_ci_u32_e32 v17, vcc_lo, s21, v3, vcc_lo
	s_ashr_i32 s25, s24, 31
	s_delay_alu instid0(SALU_CYCLE_1)
	s_lshl_b64 s[24:25], s[24:25], 1
	s_cmpk_lt_i32 s22, 0x800
	v_add_co_u32 v18, vcc_lo, v1, s24
	s_cselect_b32 s26, s42, 0x1c0
	v_add_co_ci_u32_e32 v19, vcc_lo, s25, v3, vcc_lo
	s_ashr_i32 s27, s26, 31
	s_delay_alu instid0(SALU_CYCLE_1)
	s_lshl_b64 s[26:27], s[26:27], 1
	s_cmpk_lt_i32 s22, 0x900
	v_add_co_u32 v20, vcc_lo, v1, s26
	s_cselect_b32 s28, s42, 0x200
	v_add_co_ci_u32_e32 v21, vcc_lo, s27, v3, vcc_lo
	s_ashr_i32 s29, s28, 31
	s_clause 0x7
	global_load_u16 v13, v[4:5], off
	global_load_u16 v4, v[6:7], off
	;; [unrolled: 1-line block ×8, first 2 shown]
	s_lshl_b64 s[28:29], s[28:29], 1
	s_cmpk_lt_i32 s22, 0xa00
	v_add_co_u32 v11, vcc_lo, v1, s28
	s_cselect_b32 s30, s42, 0x240
	v_add_co_ci_u32_e32 v12, vcc_lo, s29, v3, vcc_lo
	s_ashr_i32 s31, s30, 31
	s_delay_alu instid0(SALU_CYCLE_1)
	s_lshl_b64 s[30:31], s[30:31], 1
	s_cmpk_lt_i32 s22, 0xb00
	v_add_co_u32 v14, vcc_lo, v1, s30
	s_cselect_b32 s34, s42, 0x280
	v_add_co_ci_u32_e32 v15, vcc_lo, s31, v3, vcc_lo
	s_ashr_i32 s35, s34, 31
	s_delay_alu instid0(SALU_CYCLE_1)
	s_lshl_b64 s[4:5], s[34:35], 1
	s_cmpk_lt_i32 s22, 0xc00
	v_add_co_u32 v16, vcc_lo, v1, s4
	s_cselect_b32 s6, s42, 0x2c0
	v_add_co_ci_u32_e32 v17, vcc_lo, s5, v3, vcc_lo
	s_ashr_i32 s7, s6, 31
	s_delay_alu instid0(SALU_CYCLE_1)
	s_lshl_b64 s[6:7], s[6:7], 1
	s_cmpk_lt_i32 s22, 0xd00
	v_add_co_u32 v20, vcc_lo, v1, s6
	s_cselect_b32 s8, s42, 0x300
	v_add_co_ci_u32_e32 v21, vcc_lo, s7, v3, vcc_lo
	s_ashr_i32 s9, s8, 31
	s_delay_alu instid0(SALU_CYCLE_1)
	s_lshl_b64 s[8:9], s[8:9], 1
	s_cmpk_lt_i32 s22, 0xe00
	v_add_co_u32 v22, vcc_lo, v1, s8
	s_cselect_b32 s10, s42, 0x340
	v_add_co_ci_u32_e32 v23, vcc_lo, s9, v3, vcc_lo
	s_ashr_i32 s11, s10, 31
	s_delay_alu instid0(SALU_CYCLE_1)
	s_lshl_b64 s[10:11], s[10:11], 1
	s_cmpk_lt_i32 s22, 0xf00
	v_add_co_u32 v24, vcc_lo, v1, s10
	s_cselect_b32 s18, s42, 0x380
	v_add_co_ci_u32_e32 v25, vcc_lo, s11, v3, vcc_lo
	s_ashr_i32 s19, s18, 31
	s_delay_alu instid0(SALU_CYCLE_1)
	s_lshl_b64 s[4:5], s[18:19], 1
	s_cmpk_lt_i32 s22, 0x1000
	v_add_co_u32 v26, vcc_lo, v1, s4
	s_cselect_b32 s6, s42, 0x3c0
	v_add_co_ci_u32_e32 v27, vcc_lo, s5, v3, vcc_lo
	s_ashr_i32 s7, s6, 31
	s_delay_alu instid0(SALU_CYCLE_1)
	s_lshl_b64 s[4:5], s[6:7], 1
	s_cmpk_gt_i32 s23, 0x1000
	v_add_co_u32 v28, vcc_lo, v1, s4
	v_add_co_ci_u32_e32 v29, vcc_lo, s5, v3, vcc_lo
	s_clause 0x7
	global_load_u16 v19, v[11:12], off
	global_load_u16 v18, v[14:15], off
	;; [unrolled: 1-line block ×8, first 2 shown]
	v_dual_mov_b32 v20, 0 :: v_dual_mov_b32 v23, 0
	v_dual_mov_b32 v21, 0 :: v_dual_mov_b32 v22, 0
	;; [unrolled: 1-line block ×5, first 2 shown]
	s_cselect_b32 s6, -1, 0
	s_cmpk_lt_i32 s23, 0x1001
	s_waitcnt vmcnt(0) lgkmcnt(0)
	s_barrier
	buffer_gl0_inv
	s_cbranch_scc1 .LBB477_11
; %bb.10:
	s_cmpk_lt_i32 s22, 0x1100
	s_cselect_b32 s4, s42, 0x400
	s_delay_alu instid0(SALU_CYCLE_1) | instskip(NEXT) | instid1(SALU_CYCLE_1)
	s_ashr_i32 s5, s4, 31
	s_lshl_b64 s[4:5], s[4:5], 1
	s_cmpk_lt_i32 s22, 0x1200
	v_add_co_u32 v20, vcc_lo, v1, s4
	s_cselect_b32 s8, s42, 0x440
	v_add_co_ci_u32_e32 v21, vcc_lo, s5, v3, vcc_lo
	s_ashr_i32 s9, s8, 31
	s_delay_alu instid0(SALU_CYCLE_1)
	s_lshl_b64 s[8:9], s[8:9], 1
	s_cmpk_lt_i32 s22, 0x1300
	v_add_co_u32 v22, vcc_lo, v1, s8
	s_cselect_b32 s10, s42, 0x480
	v_add_co_ci_u32_e32 v23, vcc_lo, s9, v3, vcc_lo
	s_ashr_i32 s11, s10, 31
	s_delay_alu instid0(SALU_CYCLE_1)
	;; [unrolled: 7-line block ×14, first 2 shown]
	s_lshl_b64 s[4:5], s[18:19], 1
	s_cmpk_lt_i32 s22, 0x2000
	v_add_co_u32 v48, vcc_lo, v1, s4
	s_cselect_b32 s8, s42, 0x7c0
	v_add_co_ci_u32_e32 v49, vcc_lo, s5, v3, vcc_lo
	s_ashr_i32 s9, s8, 31
	s_delay_alu instid0(SALU_CYCLE_1) | instskip(NEXT) | instid1(SALU_CYCLE_1)
	s_lshl_b64 s[4:5], s[8:9], 1
	v_add_co_u32 v50, vcc_lo, v1, s4
	v_add_co_ci_u32_e32 v51, vcc_lo, s5, v3, vcc_lo
	s_clause 0xf
	global_load_u16 v20, v[20:21], off
	global_load_u16 v21, v[22:23], off
	;; [unrolled: 1-line block ×16, first 2 shown]
	s_waitcnt vmcnt(15)
	v_lshlrev_b32_e32 v35, 16, v20
	s_waitcnt vmcnt(14)
	v_lshlrev_b32_e32 v34, 16, v21
	;; [unrolled: 2-line block ×16, first 2 shown]
.LBB477_11:
	ds_load_b128 v[36:39], v2
	ds_load_b128 v[40:43], v2 offset:16
	v_lshlrev_b32_e32 v44, 16, v4
	v_lshlrev_b32_e32 v13, 16, v13
	;; [unrolled: 1-line block ×5, first 2 shown]
	s_load_b64 s[0:1], s[0:1], 0x0
	s_and_b32 vcc_lo, exec_lo, s6
	v_lshlrev_b32_e32 v5, 16, v5
	s_waitcnt lgkmcnt(0)
	v_fma_f32 v4, v36, v13, 0
	s_delay_alu instid0(VALU_DEP_1) | instskip(NEXT) | instid1(VALU_DEP_1)
	v_dual_fmac_f32 v4, v37, v44 :: v_dual_lshlrev_b32 v13, 16, v7
	v_dual_fmac_f32 v4, v38, v10 :: v_dual_lshlrev_b32 v9, 16, v9
	s_delay_alu instid0(VALU_DEP_1) | instskip(SKIP_4) | instid1(VALU_DEP_1)
	v_fmac_f32_e32 v4, v39, v9
	ds_load_b128 v[36:39], v2 offset:48
	v_fmac_f32_e32 v4, v40, v8
	ds_load_b128 v[7:10], v2 offset:32
	v_fmac_f32_e32 v4, v41, v13
	v_fmac_f32_e32 v4, v42, v6
	v_lshlrev_b32_e32 v6, 16, v19
	s_delay_alu instid0(VALU_DEP_2) | instskip(SKIP_1) | instid1(VALU_DEP_1)
	v_dual_fmac_f32 v4, v43, v5 :: v_dual_lshlrev_b32 v5, 16, v18
	s_waitcnt lgkmcnt(0)
	v_fmac_f32_e32 v4, v7, v6
	v_lshlrev_b32_e32 v6, 16, v17
	s_delay_alu instid0(VALU_DEP_2) | instskip(NEXT) | instid1(VALU_DEP_1)
	v_dual_fmac_f32 v4, v8, v5 :: v_dual_lshlrev_b32 v5, 16, v16
	v_fmac_f32_e32 v4, v9, v6
	v_lshlrev_b32_e32 v6, 16, v15
	s_delay_alu instid0(VALU_DEP_2) | instskip(NEXT) | instid1(VALU_DEP_1)
	v_dual_fmac_f32 v4, v10, v5 :: v_dual_lshlrev_b32 v5, 16, v14
	;; [unrolled: 4-line block ×3, first 2 shown]
	v_fmac_f32_e32 v4, v38, v6
	s_delay_alu instid0(VALU_DEP_1)
	v_fmac_f32_e32 v4, v39, v5
	s_cbranch_vccz .LBB477_13
; %bb.12:
	ds_load_b128 v[5:8], v2 offset:64
	ds_load_b128 v[9:12], v2 offset:80
	s_waitcnt lgkmcnt(1)
	v_fmac_f32_e32 v4, v5, v35
	s_delay_alu instid0(VALU_DEP_1) | instskip(NEXT) | instid1(VALU_DEP_1)
	v_fmac_f32_e32 v4, v6, v34
	v_fmac_f32_e32 v4, v7, v33
	s_delay_alu instid0(VALU_DEP_1) | instskip(SKIP_3) | instid1(VALU_DEP_1)
	v_fmac_f32_e32 v4, v8, v32
	ds_load_b128 v[5:8], v2 offset:96
	s_waitcnt lgkmcnt(1)
	v_fmac_f32_e32 v4, v9, v31
	v_fmac_f32_e32 v4, v10, v30
	s_delay_alu instid0(VALU_DEP_1) | instskip(NEXT) | instid1(VALU_DEP_1)
	v_fmac_f32_e32 v4, v11, v29
	v_fmac_f32_e32 v4, v12, v28
	ds_load_b128 v[9:12], v2 offset:112
	s_waitcnt lgkmcnt(1)
	v_fmac_f32_e32 v4, v5, v27
	s_delay_alu instid0(VALU_DEP_1) | instskip(NEXT) | instid1(VALU_DEP_1)
	v_fmac_f32_e32 v4, v6, v26
	v_fmac_f32_e32 v4, v7, v25
	s_delay_alu instid0(VALU_DEP_1) | instskip(SKIP_1) | instid1(VALU_DEP_1)
	v_fmac_f32_e32 v4, v8, v24
	s_waitcnt lgkmcnt(0)
	v_fmac_f32_e32 v4, v9, v23
	s_delay_alu instid0(VALU_DEP_1) | instskip(NEXT) | instid1(VALU_DEP_1)
	v_fmac_f32_e32 v4, v10, v22
	v_fmac_f32_e32 v4, v11, v21
	s_delay_alu instid0(VALU_DEP_1)
	v_fmac_f32_e32 v4, v12, v20
.LBB477_13:
	s_movk_i32 s43, 0xfc0
	s_movk_i32 s44, 0x80
	s_mov_b32 s45, 32
	s_branch .LBB477_15
.LBB477_14:                             ;   in Loop: Header=BB477_15 Depth=1
	s_addk_i32 s43, 0x800
	s_addk_i32 s44, 0x80
	s_add_i32 s45, s45, 32
	s_cmpk_eq_u32 s43, 0x87c0
	s_cbranch_scc1 .LBB477_17
.LBB477_15:                             ; =>This Inner Loop Header: Depth=1
	s_cmp_le_i32 s40, s45
	s_cbranch_scc1 .LBB477_14
; %bb.16:                               ;   in Loop: Header=BB477_15 Depth=1
	s_add_i32 s4, s43, 0xfffff840
	v_mov_b32_e32 v44, s44
	s_cmp_lt_i32 s4, s41
	s_cselect_b32 s4, s4, s42
	s_add_i32 s6, s43, 0xfffff880
	s_ashr_i32 s5, s4, 31
	s_delay_alu instid0(SALU_CYCLE_1)
	s_lshl_b64 s[38:39], s[4:5], 1
	s_cmp_lt_i32 s6, s41
	v_add_co_u32 v5, vcc_lo, v1, s38
	s_cselect_b32 s4, s6, s42
	s_add_i32 s6, s43, 0xfffff8c0
	s_ashr_i32 s5, s4, 31
	v_add_co_ci_u32_e32 v6, vcc_lo, s39, v3, vcc_lo
	s_lshl_b64 s[4:5], s[4:5], 1
	s_cmp_lt_i32 s6, s41
	s_cselect_b32 s6, s6, s42
	s_add_i32 s8, s43, 0xfffff900
	s_ashr_i32 s7, s6, 31
	global_load_u16 v2, v[5:6], off
	s_lshl_b64 s[6:7], s[6:7], 1
	s_cmp_lt_i32 s8, s41
	v_add_co_u32 v5, vcc_lo, v1, s4
	s_cselect_b32 s8, s8, s42
	s_add_i32 s10, s43, 0xfffff940
	s_ashr_i32 s9, s8, 31
	v_add_co_ci_u32_e32 v6, vcc_lo, s5, v3, vcc_lo
	s_lshl_b64 s[8:9], s[8:9], 1
	s_cmp_lt_i32 s10, s41
	v_add_co_u32 v7, vcc_lo, v1, s6
	s_cselect_b32 s10, s10, s42
	s_add_i32 s18, s43, 0xfffff980
	s_ashr_i32 s11, s10, 31
	v_add_co_ci_u32_e32 v8, vcc_lo, s7, v3, vcc_lo
	s_lshl_b64 s[10:11], s[10:11], 1
	s_cmp_lt_i32 s18, s41
	v_add_co_u32 v9, vcc_lo, v1, s8
	s_cselect_b32 s18, s18, s42
	s_add_i32 s20, s43, 0xfffff9c0
	s_ashr_i32 s19, s18, 31
	s_clause 0x1
	global_load_u16 v23, v[5:6], off
	global_load_u16 v24, v[7:8], off
	s_lshl_b64 s[18:19], s[18:19], 1
	s_cmp_lt_i32 s20, s41
	v_add_co_ci_u32_e32 v10, vcc_lo, s9, v3, vcc_lo
	s_cselect_b32 s20, s20, s42
	s_add_i32 s22, s43, 0xfffffa00
	s_ashr_i32 s21, s20, 31
	global_load_u16 v25, v[9:10], off
	s_lshl_b64 s[20:21], s[20:21], 1
	s_cmp_lt_i32 s22, s41
	v_add_co_u32 v11, vcc_lo, v1, s10
	s_cselect_b32 s22, s22, s42
	s_add_i32 s24, s43, 0xfffffa40
	s_ashr_i32 s23, s22, 31
	v_add_co_ci_u32_e32 v12, vcc_lo, s11, v3, vcc_lo
	s_lshl_b64 s[22:23], s[22:23], 1
	s_cmp_lt_i32 s24, s41
	v_add_co_u32 v13, vcc_lo, v1, s18
	global_load_u16 v26, v[11:12], off
	s_cselect_b32 s24, s24, s42
	s_add_i32 s26, s43, 0xfffffa80
	s_ashr_i32 s25, s24, 31
	v_add_co_ci_u32_e32 v14, vcc_lo, s19, v3, vcc_lo
	s_lshl_b64 s[24:25], s[24:25], 1
	s_cmp_lt_i32 s26, s41
	v_add_co_u32 v15, vcc_lo, v1, s20
	global_load_u16 v27, v[13:14], off
	s_cselect_b32 s26, s26, s42
	s_add_i32 s28, s43, 0xfffffac0
	s_ashr_i32 s27, s26, 31
	v_add_co_ci_u32_e32 v16, vcc_lo, s21, v3, vcc_lo
	s_lshl_b64 s[36:37], s[26:27], 1
	s_cmp_lt_i32 s28, s41
	v_add_co_u32 v17, vcc_lo, v1, s22
	s_cselect_b32 s26, s28, s42
	s_add_i32 s30, s43, 0xfffffb00
	s_ashr_i32 s27, s26, 31
	v_add_co_ci_u32_e32 v18, vcc_lo, s23, v3, vcc_lo
	s_lshl_b64 s[28:29], s[26:27], 1
	s_cmp_lt_i32 s30, s41
	v_add_co_u32 v19, vcc_lo, v1, s24
	global_load_u16 v17, v[17:18], off
	s_cselect_b32 s26, s30, s42
	s_add_i32 s30, s43, 0xfffffb40
	s_ashr_i32 s27, s26, 31
	v_add_co_ci_u32_e32 v20, vcc_lo, s25, v3, vcc_lo
	s_lshl_b64 s[26:27], s[26:27], 1
	s_cmp_lt_i32 s30, s41
	v_add_co_u32 v21, vcc_lo, v1, s36
	s_cselect_b32 s30, s30, s42
	s_add_i32 s46, s43, 0xfffffb80
	s_ashr_i32 s31, s30, 31
	v_add_co_ci_u32_e32 v22, vcc_lo, s37, v3, vcc_lo
	s_lshl_b64 s[34:35], s[30:31], 1
	s_cmp_lt_i32 s46, s41
	v_add_co_u32 v5, vcc_lo, v1, s28
	;; [unrolled: 7-line block ×3, first 2 shown]
	s_cselect_b32 s46, s46, s42
	s_add_i32 s48, s43, 0xfffffc00
	s_ashr_i32 s47, s46, 31
	global_load_u16 v28, v[15:16], off
	s_lshl_b64 s[38:39], s[46:47], 1
	s_cmp_lt_i32 s48, s41
	v_add_co_ci_u32_e32 v8, vcc_lo, s27, v3, vcc_lo
	s_cselect_b32 s46, s48, s42
	v_add_co_u32 v9, vcc_lo, v1, s34
	s_ashr_i32 s47, s46, 31
	s_add_i32 s4, s43, 0xfffffc40
	s_lshl_b64 s[46:47], s[46:47], 1
	v_add_co_ci_u32_e32 v10, vcc_lo, s35, v3, vcc_lo
	s_cmp_lt_i32 s4, s41
	v_add_co_u32 v11, vcc_lo, v1, s30
	s_cselect_b32 s4, s4, s42
	v_add_co_ci_u32_e32 v12, vcc_lo, s31, v3, vcc_lo
	v_add_co_u32 v13, vcc_lo, v1, s38
	s_ashr_i32 s5, s4, 31
	s_add_i32 s6, s43, 0xfffffc80
	v_add_co_ci_u32_e32 v14, vcc_lo, s39, v3, vcc_lo
	global_load_u16 v18, v[19:20], off
	s_lshl_b64 s[8:9], s[4:5], 1
	s_cmp_lt_i32 s6, s41
	global_load_u16 v30, v[13:14], off
	s_cselect_b32 s4, s6, s42
	global_load_u16 v19, v[21:22], off
	s_ashr_i32 s5, s4, 31
	s_add_i32 s6, s43, 0xfffffcc0
	s_lshl_b64 s[10:11], s[4:5], 1
	s_cmp_lt_i32 s6, s41
	s_clause 0x3
	global_load_u16 v20, v[5:6], off
	global_load_u16 v21, v[7:8], off
	;; [unrolled: 1-line block ×4, first 2 shown]
	s_cselect_b32 s4, s6, s42
	s_add_i32 s6, s43, 0xfffffd00
	s_ashr_i32 s5, s4, 31
	v_add_co_u32 v15, vcc_lo, v1, s46
	s_lshl_b64 s[4:5], s[4:5], 1
	s_cmp_lt_i32 s6, s41
	v_add_co_ci_u32_e32 v16, vcc_lo, s47, v3, vcc_lo
	s_cselect_b32 s6, s6, s42
	s_add_i32 s18, s43, 0xfffffd40
	s_ashr_i32 s7, s6, 31
	v_add_co_u32 v5, vcc_lo, v1, s8
	s_lshl_b64 s[6:7], s[6:7], 1
	s_cmp_lt_i32 s18, s41
	v_add_co_ci_u32_e32 v6, vcc_lo, s9, v3, vcc_lo
	s_cselect_b32 s18, s18, s42
	v_add_co_u32 v7, vcc_lo, v1, s10
	s_ashr_i32 s19, s18, 31
	s_add_i32 s20, s43, 0xfffffd80
	s_lshl_b64 s[18:19], s[18:19], 1
	v_add_co_ci_u32_e32 v8, vcc_lo, s11, v3, vcc_lo
	s_cmp_lt_i32 s20, s41
	v_add_co_u32 v9, vcc_lo, v1, s4
	s_cselect_b32 s20, s20, s42
	v_add_co_ci_u32_e32 v10, vcc_lo, s5, v3, vcc_lo
	v_add_co_u32 v11, vcc_lo, v1, s6
	s_ashr_i32 s21, s20, 31
	s_add_i32 s22, s43, 0xfffffdc0
	v_add_co_ci_u32_e32 v12, vcc_lo, s7, v3, vcc_lo
	global_load_u16 v15, v[15:16], off
	s_lshl_b64 s[20:21], s[20:21], 1
	s_cmp_lt_i32 s22, s41
	global_load_u16 v33, v[11:12], off
	s_cselect_b32 s22, s22, s42
	s_clause 0x2
	global_load_u16 v16, v[5:6], off
	global_load_u16 v31, v[7:8], off
	;; [unrolled: 1-line block ×3, first 2 shown]
	s_ashr_i32 s23, s22, 31
	s_add_i32 s24, s43, 0xfffffe00
	s_lshl_b64 s[22:23], s[22:23], 1
	s_cmp_lt_i32 s24, s41
	v_add_co_u32 v13, vcc_lo, v1, s18
	s_cselect_b32 s24, s24, s42
	s_add_i32 s26, s43, 0xfffffe40
	s_ashr_i32 s25, s24, 31
	v_add_co_ci_u32_e32 v14, vcc_lo, s19, v3, vcc_lo
	s_lshl_b64 s[24:25], s[24:25], 1
	s_cmp_lt_i32 s26, s41
	v_add_co_u32 v5, vcc_lo, v1, s20
	s_cselect_b32 s8, s26, s42
	v_add_co_ci_u32_e32 v6, vcc_lo, s21, v3, vcc_lo
	s_ashr_i32 s9, s8, 31
	v_add_co_u32 v7, vcc_lo, v1, s22
	s_add_i32 s10, s43, 0xfffffe80
	s_lshl_b64 s[8:9], s[8:9], 1
	v_add_co_ci_u32_e32 v8, vcc_lo, s23, v3, vcc_lo
	s_cmp_lt_i32 s10, s41
	v_add_co_u32 v9, vcc_lo, v1, s24
	s_cselect_b32 s4, s10, s42
	global_load_u16 v13, v[13:14], off
	v_add_co_ci_u32_e32 v10, vcc_lo, s25, v3, vcc_lo
	s_ashr_i32 s5, s4, 31
	s_add_i32 s6, s43, 0xfffffec0
	s_lshl_b64 s[4:5], s[4:5], 1
	global_load_u16 v35, v[9:10], off
	s_cmp_lt_i32 s6, s41
	s_clause 0x1
	global_load_u16 v14, v[5:6], off
	global_load_u16 v34, v[7:8], off
	s_cselect_b32 s6, s6, s42
	s_add_i32 s10, s43, 0xffffff00
	s_ashr_i32 s7, s6, 31
	v_add_co_u32 v5, vcc_lo, v1, s8
	s_lshl_b64 s[6:7], s[6:7], 1
	s_cmp_lt_i32 s10, s41
	v_add_co_ci_u32_e32 v6, vcc_lo, s9, v3, vcc_lo
	s_cselect_b32 s10, s10, s42
	v_add_co_u32 v7, vcc_lo, v1, s4
	s_ashr_i32 s11, s10, 31
	v_add_co_ci_u32_e32 v8, vcc_lo, s5, v3, vcc_lo
	s_add_i32 s18, s43, 0xffffff40
	s_lshl_b64 s[10:11], s[10:11], 1
	s_cmp_lt_i32 s18, s41
	s_clause 0x1
	global_load_u16 v36, v[5:6], off
	global_load_u16 v37, v[7:8], off
	s_cselect_b32 s18, s18, s42
	v_add_co_u32 v5, vcc_lo, v1, s6
	s_ashr_i32 s19, s18, 31
	v_add_co_ci_u32_e32 v6, vcc_lo, s7, v3, vcc_lo
	s_add_i32 s20, s43, 0xffffff80
	v_add_co_u32 v7, vcc_lo, v1, s10
	s_lshl_b64 s[8:9], s[18:19], 1
	s_cmp_lt_i32 s20, s41
	v_add_co_ci_u32_e32 v8, vcc_lo, s11, v3, vcc_lo
	s_cselect_b32 s4, s20, s42
	global_load_u16 v38, v[5:6], off
	s_ashr_i32 s5, s4, 31
	global_load_u16 v39, v[7:8], off
	s_sub_i32 s18, s43, 64
	v_add_co_u32 v5, vcc_lo, v1, s8
	s_lshl_b64 s[4:5], s[4:5], 1
	s_cmp_lt_i32 s18, s41
	v_add_co_ci_u32_e32 v6, vcc_lo, s9, v3, vcc_lo
	v_add_co_u32 v7, vcc_lo, v1, s4
	s_cselect_b32 s6, s18, s42
	v_add_co_ci_u32_e32 v8, vcc_lo, s5, v3, vcc_lo
	s_ashr_i32 s7, s6, 31
	global_load_u16 v40, v[5:6], off
	s_lshl_b64 s[6:7], s[6:7], 1
	global_load_u16 v41, v[7:8], off
	s_cmp_lt_i32 s43, s41
	v_add_co_u32 v5, vcc_lo, v1, s6
	s_cselect_b32 s4, s43, s42
	v_add_co_ci_u32_e32 v6, vcc_lo, s7, v3, vcc_lo
	s_ashr_i32 s5, s4, 31
	s_delay_alu instid0(SALU_CYCLE_1)
	s_lshl_b64 s[4:5], s[4:5], 1
	global_load_u16 v42, v[5:6], off
	v_add_co_u32 v5, vcc_lo, v1, s4
	v_add_co_ci_u32_e32 v6, vcc_lo, s5, v3, vcc_lo
	global_load_u16 v43, v[5:6], off
	ds_load_b128 v[5:8], v44
	ds_load_b128 v[9:12], v44 offset:16
	s_waitcnt vmcnt(31)
	v_lshlrev_b32_e32 v2, 16, v2
	s_waitcnt lgkmcnt(1)
	s_delay_alu instid0(VALU_DEP_1) | instskip(SKIP_2) | instid1(VALU_DEP_1)
	v_fmac_f32_e32 v4, v5, v2
	s_waitcnt vmcnt(30)
	v_lshlrev_b32_e32 v2, 16, v23
	v_fmac_f32_e32 v4, v6, v2
	s_waitcnt vmcnt(29)
	v_lshlrev_b32_e32 v2, 16, v24
	s_delay_alu instid0(VALU_DEP_1) | instskip(SKIP_2) | instid1(VALU_DEP_1)
	v_fmac_f32_e32 v4, v7, v2
	s_waitcnt vmcnt(28)
	v_lshlrev_b32_e32 v2, 16, v25
	v_fmac_f32_e32 v4, v8, v2
	ds_load_b128 v[5:8], v44 offset:32
	s_waitcnt vmcnt(27)
	v_lshlrev_b32_e32 v2, 16, v26
	s_waitcnt lgkmcnt(1)
	s_delay_alu instid0(VALU_DEP_1) | instskip(SKIP_2) | instid1(VALU_DEP_1)
	v_fmac_f32_e32 v4, v9, v2
	s_waitcnt vmcnt(26)
	v_lshlrev_b32_e32 v2, 16, v27
	v_fmac_f32_e32 v4, v10, v2
	s_waitcnt vmcnt(24)
	v_lshlrev_b32_e32 v2, 16, v28
	s_delay_alu instid0(VALU_DEP_1) | instskip(SKIP_1) | instid1(VALU_DEP_1)
	v_fmac_f32_e32 v4, v11, v2
	v_lshlrev_b32_e32 v2, 16, v17
	v_fmac_f32_e32 v4, v12, v2
	ds_load_b128 v[9:12], v44 offset:48
	s_waitcnt vmcnt(23)
	v_lshlrev_b32_e32 v2, 16, v18
	s_waitcnt lgkmcnt(1)
	s_delay_alu instid0(VALU_DEP_1) | instskip(SKIP_2) | instid1(VALU_DEP_1)
	v_fmac_f32_e32 v4, v5, v2
	s_waitcnt vmcnt(21)
	v_lshlrev_b32_e32 v2, 16, v19
	v_fmac_f32_e32 v4, v6, v2
	s_waitcnt vmcnt(20)
	v_lshlrev_b32_e32 v2, 16, v20
	s_delay_alu instid0(VALU_DEP_1) | instskip(SKIP_2) | instid1(VALU_DEP_1)
	v_fmac_f32_e32 v4, v7, v2
	s_waitcnt vmcnt(19)
	v_lshlrev_b32_e32 v2, 16, v21
	v_fmac_f32_e32 v4, v8, v2
	s_waitcnt vmcnt(18)
	v_lshlrev_b32_e32 v2, 16, v22
	ds_load_b128 v[5:8], v44 offset:64
	s_waitcnt lgkmcnt(1)
	v_fmac_f32_e32 v4, v9, v2
	s_waitcnt vmcnt(17)
	v_lshlrev_b32_e32 v2, 16, v29
	s_delay_alu instid0(VALU_DEP_1) | instskip(SKIP_1) | instid1(VALU_DEP_1)
	v_fmac_f32_e32 v4, v10, v2
	v_lshlrev_b32_e32 v2, 16, v30
	v_fmac_f32_e32 v4, v11, v2
	s_waitcnt vmcnt(16)
	v_lshlrev_b32_e32 v2, 16, v15
	s_delay_alu instid0(VALU_DEP_1) | instskip(SKIP_4) | instid1(VALU_DEP_1)
	v_fmac_f32_e32 v4, v12, v2
	ds_load_b128 v[9:12], v44 offset:80
	s_waitcnt vmcnt(14)
	v_lshlrev_b32_e32 v2, 16, v16
	s_waitcnt lgkmcnt(1)
	v_fmac_f32_e32 v4, v5, v2
	s_waitcnt vmcnt(13)
	v_lshlrev_b32_e32 v2, 16, v31
	s_delay_alu instid0(VALU_DEP_1) | instskip(SKIP_2) | instid1(VALU_DEP_1)
	v_fmac_f32_e32 v4, v6, v2
	s_waitcnt vmcnt(12)
	v_lshlrev_b32_e32 v2, 16, v32
	v_fmac_f32_e32 v4, v7, v2
	v_lshlrev_b32_e32 v2, 16, v33
	s_delay_alu instid0(VALU_DEP_1) | instskip(SKIP_4) | instid1(VALU_DEP_1)
	v_fmac_f32_e32 v4, v8, v2
	ds_load_b128 v[5:8], v44 offset:96
	s_waitcnt vmcnt(11)
	v_lshlrev_b32_e32 v2, 16, v13
	s_waitcnt lgkmcnt(1)
	v_fmac_f32_e32 v4, v9, v2
	s_waitcnt vmcnt(9)
	v_lshlrev_b32_e32 v2, 16, v14
	s_delay_alu instid0(VALU_DEP_1) | instskip(SKIP_2) | instid1(VALU_DEP_1)
	v_fmac_f32_e32 v4, v10, v2
	s_waitcnt vmcnt(8)
	v_lshlrev_b32_e32 v2, 16, v34
	v_fmac_f32_e32 v4, v11, v2
	;; [unrolled: 15-line block ×3, first 2 shown]
	s_waitcnt vmcnt(4)
	v_lshlrev_b32_e32 v2, 16, v39
	s_delay_alu instid0(VALU_DEP_1) | instskip(SKIP_3) | instid1(VALU_DEP_1)
	v_fmac_f32_e32 v4, v8, v2
	s_waitcnt vmcnt(3)
	v_lshlrev_b32_e32 v2, 16, v40
	s_waitcnt lgkmcnt(0)
	v_fmac_f32_e32 v4, v9, v2
	s_waitcnt vmcnt(2)
	v_lshlrev_b32_e32 v2, 16, v41
	s_delay_alu instid0(VALU_DEP_1) | instskip(SKIP_2) | instid1(VALU_DEP_1)
	v_fmac_f32_e32 v4, v10, v2
	s_waitcnt vmcnt(1)
	v_lshlrev_b32_e32 v2, 16, v42
	v_fmac_f32_e32 v4, v11, v2
	s_waitcnt vmcnt(0)
	v_lshlrev_b32_e32 v2, 16, v43
	s_delay_alu instid0(VALU_DEP_1)
	v_fmac_f32_e32 v4, v12, v2
	s_branch .LBB477_14
.LBB477_17:
	v_mov_b32_e32 v1, 0
	s_and_b32 vcc_lo, exec_lo, s15
	ds_load_b32 v1, v1 offset:2048
	s_cbranch_vccz .LBB477_19
; %bb.18:
	s_add_u32 s2, s12, s16
	s_addc_u32 s3, s13, s17
	s_load_b32 s2, s[2:3], 0x0
	s_mov_b32 s3, 0
.LBB477_19:
	s_waitcnt lgkmcnt(0)
	v_add_f32_e32 v1, 0x358637bd, v1
	s_delay_alu instid0(VALU_DEP_1) | instskip(NEXT) | instid1(VALU_DEP_1)
	v_div_scale_f32 v2, null, v1, v1, 1.0
	v_rcp_f32_e32 v3, v2
	s_waitcnt_depctr 0xfff
	v_fma_f32 v5, -v2, v3, 1.0
	s_delay_alu instid0(VALU_DEP_1) | instskip(SKIP_1) | instid1(VALU_DEP_1)
	v_fmac_f32_e32 v3, v5, v3
	v_div_scale_f32 v5, vcc_lo, 1.0, v1, 1.0
	v_mul_f32_e32 v6, v5, v3
	s_delay_alu instid0(VALU_DEP_1) | instskip(NEXT) | instid1(VALU_DEP_1)
	v_fma_f32 v7, -v2, v6, v5
	v_fmac_f32_e32 v6, v7, v3
	s_delay_alu instid0(VALU_DEP_1) | instskip(NEXT) | instid1(VALU_DEP_1)
	v_fma_f32 v2, -v2, v6, v5
	v_div_fmas_f32 v2, v2, v3, v6
	s_delay_alu instid0(VALU_DEP_1) | instskip(NEXT) | instid1(VALU_DEP_1)
	v_div_fixup_f32 v1, v2, v1, 1.0
	v_mul_f32_e32 v2, v4, v1
	s_delay_alu instid0(VALU_DEP_1) | instskip(NEXT) | instid1(VALU_DEP_1)
	v_and_b32_e32 v1, 0x7f800000, v2
	v_cmp_ne_u32_e32 vcc_lo, 0x7f800000, v1
                                        ; implicit-def: $vgpr1
	s_and_saveexec_b32 s4, vcc_lo
	s_delay_alu instid0(SALU_CYCLE_1)
	s_xor_b32 s4, exec_lo, s4
; %bb.20:
	v_bfe_u32 v1, v2, 16, 1
	s_delay_alu instid0(VALU_DEP_1)
	v_add3_u32 v1, v2, v1, 0x7fff
                                        ; implicit-def: $vgpr2
; %bb.21:
	s_and_not1_saveexec_b32 s4, s4
; %bb.22:
	v_and_b32_e32 v1, 0xffff, v2
	v_or_b32_e32 v3, 0x10000, v2
	s_delay_alu instid0(VALU_DEP_2) | instskip(NEXT) | instid1(VALU_DEP_2)
	v_cmp_eq_u32_e32 vcc_lo, 0, v1
	v_cndmask_b32_e32 v1, v3, v2, vcc_lo
; %bb.23:
	s_or_b32 exec_lo, exec_lo, s4
	s_mul_i32 s3, s33, s3
	s_mul_hi_u32 s4, s33, s2
	s_mul_i32 s2, s33, s2
	s_add_i32 s3, s4, s3
	s_mov_b32 s15, 0
	s_lshl_b64 s[2:3], s[2:3], 7
	s_delay_alu instid0(SALU_CYCLE_1) | instskip(SKIP_2) | instid1(SALU_CYCLE_1)
	s_add_u32 s2, s0, s2
	s_addc_u32 s3, s1, s3
	s_lshl_b64 s[0:1], s[14:15], 7
	s_add_u32 s0, s2, s0
	s_addc_u32 s1, s3, s1
	global_store_d16_hi_b16 v0, v1, s[0:1]
	s_nop 0
	s_sendmsg sendmsg(MSG_DEALLOC_VGPRS)
	s_endpgm
.LBB477_24:
	s_mov_b32 s4, 0
	s_branch .LBB477_2
	.section	.rodata,"a",@progbits
	.p2align	6, 0x0
	.amdhsa_kernel _Z35paged_attention_ll4mi_reduce_kernelI14__hip_bfloat16S0_Li64ELi64ELi256ELi16EEvPT0_PKfS4_PKT_PKiS9_iS4_
		.amdhsa_group_segment_fixed_size 2052
		.amdhsa_private_segment_fixed_size 0
		.amdhsa_kernarg_size 320
		.amdhsa_user_sgpr_count 14
		.amdhsa_user_sgpr_dispatch_ptr 0
		.amdhsa_user_sgpr_queue_ptr 0
		.amdhsa_user_sgpr_kernarg_segment_ptr 1
		.amdhsa_user_sgpr_dispatch_id 0
		.amdhsa_user_sgpr_private_segment_size 0
		.amdhsa_wavefront_size32 1
		.amdhsa_uses_dynamic_stack 0
		.amdhsa_enable_private_segment 0
		.amdhsa_system_sgpr_workgroup_id_x 1
		.amdhsa_system_sgpr_workgroup_id_y 1
		.amdhsa_system_sgpr_workgroup_id_z 0
		.amdhsa_system_sgpr_workgroup_info 0
		.amdhsa_system_vgpr_workitem_id 0
		.amdhsa_next_free_vgpr 87
		.amdhsa_next_free_sgpr 49
		.amdhsa_reserve_vcc 1
		.amdhsa_float_round_mode_32 0
		.amdhsa_float_round_mode_16_64 0
		.amdhsa_float_denorm_mode_32 3
		.amdhsa_float_denorm_mode_16_64 3
		.amdhsa_dx10_clamp 1
		.amdhsa_ieee_mode 1
		.amdhsa_fp16_overflow 0
		.amdhsa_workgroup_processor_mode 1
		.amdhsa_memory_ordered 1
		.amdhsa_forward_progress 0
		.amdhsa_shared_vgpr_count 0
		.amdhsa_exception_fp_ieee_invalid_op 0
		.amdhsa_exception_fp_denorm_src 0
		.amdhsa_exception_fp_ieee_div_zero 0
		.amdhsa_exception_fp_ieee_overflow 0
		.amdhsa_exception_fp_ieee_underflow 0
		.amdhsa_exception_fp_ieee_inexact 0
		.amdhsa_exception_int_div_zero 0
	.end_amdhsa_kernel
	.section	.text._Z35paged_attention_ll4mi_reduce_kernelI14__hip_bfloat16S0_Li64ELi64ELi256ELi16EEvPT0_PKfS4_PKT_PKiS9_iS4_,"axG",@progbits,_Z35paged_attention_ll4mi_reduce_kernelI14__hip_bfloat16S0_Li64ELi64ELi256ELi16EEvPT0_PKfS4_PKT_PKiS9_iS4_,comdat
.Lfunc_end477:
	.size	_Z35paged_attention_ll4mi_reduce_kernelI14__hip_bfloat16S0_Li64ELi64ELi256ELi16EEvPT0_PKfS4_PKT_PKiS9_iS4_, .Lfunc_end477-_Z35paged_attention_ll4mi_reduce_kernelI14__hip_bfloat16S0_Li64ELi64ELi256ELi16EEvPT0_PKfS4_PKT_PKiS9_iS4_
                                        ; -- End function
	.section	.AMDGPU.csdata,"",@progbits
; Kernel info:
; codeLenInByte = 8368
; NumSgprs: 51
; NumVgprs: 87
; ScratchSize: 0
; MemoryBound: 0
; FloatMode: 240
; IeeeMode: 1
; LDSByteSize: 2052 bytes/workgroup (compile time only)
; SGPRBlocks: 6
; VGPRBlocks: 10
; NumSGPRsForWavesPerEU: 51
; NumVGPRsForWavesPerEU: 87
; Occupancy: 16
; WaveLimiterHint : 0
; COMPUTE_PGM_RSRC2:SCRATCH_EN: 0
; COMPUTE_PGM_RSRC2:USER_SGPR: 14
; COMPUTE_PGM_RSRC2:TRAP_HANDLER: 0
; COMPUTE_PGM_RSRC2:TGID_X_EN: 1
; COMPUTE_PGM_RSRC2:TGID_Y_EN: 1
; COMPUTE_PGM_RSRC2:TGID_Z_EN: 0
; COMPUTE_PGM_RSRC2:TIDIG_COMP_CNT: 0
	.section	.text._Z38paged_attention_ll4mi_QKV_mfma4_kernelI14__hip_bfloat16S0_LN4vllm18Fp8KVCacheDataTypeE0ES0_Li16ELi64ELi256ELb0ELi1EEvPKT_PKT0_S8_ifPKiSA_SA_iPKfiiiPfSD_PS3_PT2_iSC_SC_,"axG",@progbits,_Z38paged_attention_ll4mi_QKV_mfma4_kernelI14__hip_bfloat16S0_LN4vllm18Fp8KVCacheDataTypeE0ES0_Li16ELi64ELi256ELb0ELi1EEvPKT_PKT0_S8_ifPKiSA_SA_iPKfiiiPfSD_PS3_PT2_iSC_SC_,comdat
	.protected	_Z38paged_attention_ll4mi_QKV_mfma4_kernelI14__hip_bfloat16S0_LN4vllm18Fp8KVCacheDataTypeE0ES0_Li16ELi64ELi256ELb0ELi1EEvPKT_PKT0_S8_ifPKiSA_SA_iPKfiiiPfSD_PS3_PT2_iSC_SC_ ; -- Begin function _Z38paged_attention_ll4mi_QKV_mfma4_kernelI14__hip_bfloat16S0_LN4vllm18Fp8KVCacheDataTypeE0ES0_Li16ELi64ELi256ELb0ELi1EEvPKT_PKT0_S8_ifPKiSA_SA_iPKfiiiPfSD_PS3_PT2_iSC_SC_
	.globl	_Z38paged_attention_ll4mi_QKV_mfma4_kernelI14__hip_bfloat16S0_LN4vllm18Fp8KVCacheDataTypeE0ES0_Li16ELi64ELi256ELb0ELi1EEvPKT_PKT0_S8_ifPKiSA_SA_iPKfiiiPfSD_PS3_PT2_iSC_SC_
	.p2align	8
	.type	_Z38paged_attention_ll4mi_QKV_mfma4_kernelI14__hip_bfloat16S0_LN4vllm18Fp8KVCacheDataTypeE0ES0_Li16ELi64ELi256ELb0ELi1EEvPKT_PKT0_S8_ifPKiSA_SA_iPKfiiiPfSD_PS3_PT2_iSC_SC_,@function
_Z38paged_attention_ll4mi_QKV_mfma4_kernelI14__hip_bfloat16S0_LN4vllm18Fp8KVCacheDataTypeE0ES0_Li16ELi64ELi256ELb0ELi1EEvPKT_PKT0_S8_ifPKiSA_SA_iPKfiiiPfSD_PS3_PT2_iSC_SC_: ; @_Z38paged_attention_ll4mi_QKV_mfma4_kernelI14__hip_bfloat16S0_LN4vllm18Fp8KVCacheDataTypeE0ES0_Li16ELi64ELi256ELb0ELi1EEvPKT_PKT0_S8_ifPKiSA_SA_iPKfiiiPfSD_PS3_PT2_iSC_SC_
; %bb.0:
	s_add_u32 s8, s0, 0x90
	s_addc_u32 s9, s1, 0
	s_getpc_b64 s[0:1]
	s_add_u32 s0, s0, __PRETTY_FUNCTION__._Z38paged_attention_ll4mi_QKV_mfma4_kernelI14__hip_bfloat16S0_LN4vllm18Fp8KVCacheDataTypeE0ES0_Li16ELi64ELi256ELb0ELi1EEvPKT_PKT0_S8_ifPKiSA_SA_iPKfiiiPfSD_PS3_PT2_iSC_SC_@rel32@lo+4
	s_addc_u32 s1, s1, __PRETTY_FUNCTION__._Z38paged_attention_ll4mi_QKV_mfma4_kernelI14__hip_bfloat16S0_LN4vllm18Fp8KVCacheDataTypeE0ES0_Li16ELi64ELi256ELb0ELi1EEvPKT_PKT0_S8_ifPKiSA_SA_iPKfiiiPfSD_PS3_PT2_iSC_SC_@rel32@hi+12
	s_delay_alu instid0(SALU_CYCLE_1) | instskip(SKIP_4) | instid1(SALU_CYCLE_1)
	v_dual_mov_b32 v0, s0 :: v_dual_mov_b32 v1, s1
	s_mov_b32 s32, 0
	s_getpc_b64 s[2:3]
	s_add_u32 s2, s2, __assert_fail@rel32@lo+4
	s_addc_u32 s3, s3, __assert_fail@rel32@hi+12
	s_swappc_b64 s[30:31], s[2:3]
	.section	.rodata,"a",@progbits
	.p2align	6, 0x0
	.amdhsa_kernel _Z38paged_attention_ll4mi_QKV_mfma4_kernelI14__hip_bfloat16S0_LN4vllm18Fp8KVCacheDataTypeE0ES0_Li16ELi64ELi256ELb0ELi1EEvPKT_PKT0_S8_ifPKiSA_SA_iPKfiiiPfSD_PS3_PT2_iSC_SC_
		.amdhsa_group_segment_fixed_size 0
		.amdhsa_private_segment_fixed_size 64
		.amdhsa_kernarg_size 400
		.amdhsa_user_sgpr_count 15
		.amdhsa_user_sgpr_dispatch_ptr 0
		.amdhsa_user_sgpr_queue_ptr 0
		.amdhsa_user_sgpr_kernarg_segment_ptr 1
		.amdhsa_user_sgpr_dispatch_id 0
		.amdhsa_user_sgpr_private_segment_size 0
		.amdhsa_wavefront_size32 1
		.amdhsa_uses_dynamic_stack 0
		.amdhsa_enable_private_segment 1
		.amdhsa_system_sgpr_workgroup_id_x 1
		.amdhsa_system_sgpr_workgroup_id_y 0
		.amdhsa_system_sgpr_workgroup_id_z 0
		.amdhsa_system_sgpr_workgroup_info 0
		.amdhsa_system_vgpr_workitem_id 0
		.amdhsa_next_free_vgpr 41
		.amdhsa_next_free_sgpr 34
		.amdhsa_reserve_vcc 1
		.amdhsa_float_round_mode_32 0
		.amdhsa_float_round_mode_16_64 0
		.amdhsa_float_denorm_mode_32 3
		.amdhsa_float_denorm_mode_16_64 3
		.amdhsa_dx10_clamp 1
		.amdhsa_ieee_mode 1
		.amdhsa_fp16_overflow 0
		.amdhsa_workgroup_processor_mode 1
		.amdhsa_memory_ordered 1
		.amdhsa_forward_progress 0
		.amdhsa_shared_vgpr_count 0
		.amdhsa_exception_fp_ieee_invalid_op 0
		.amdhsa_exception_fp_denorm_src 0
		.amdhsa_exception_fp_ieee_div_zero 0
		.amdhsa_exception_fp_ieee_overflow 0
		.amdhsa_exception_fp_ieee_underflow 0
		.amdhsa_exception_fp_ieee_inexact 0
		.amdhsa_exception_int_div_zero 0
	.end_amdhsa_kernel
	.section	.text._Z38paged_attention_ll4mi_QKV_mfma4_kernelI14__hip_bfloat16S0_LN4vllm18Fp8KVCacheDataTypeE0ES0_Li16ELi64ELi256ELb0ELi1EEvPKT_PKT0_S8_ifPKiSA_SA_iPKfiiiPfSD_PS3_PT2_iSC_SC_,"axG",@progbits,_Z38paged_attention_ll4mi_QKV_mfma4_kernelI14__hip_bfloat16S0_LN4vllm18Fp8KVCacheDataTypeE0ES0_Li16ELi64ELi256ELb0ELi1EEvPKT_PKT0_S8_ifPKiSA_SA_iPKfiiiPfSD_PS3_PT2_iSC_SC_,comdat
.Lfunc_end478:
	.size	_Z38paged_attention_ll4mi_QKV_mfma4_kernelI14__hip_bfloat16S0_LN4vllm18Fp8KVCacheDataTypeE0ES0_Li16ELi64ELi256ELb0ELi1EEvPKT_PKT0_S8_ifPKiSA_SA_iPKfiiiPfSD_PS3_PT2_iSC_SC_, .Lfunc_end478-_Z38paged_attention_ll4mi_QKV_mfma4_kernelI14__hip_bfloat16S0_LN4vllm18Fp8KVCacheDataTypeE0ES0_Li16ELi64ELi256ELb0ELi1EEvPKT_PKT0_S8_ifPKiSA_SA_iPKfiiiPfSD_PS3_PT2_iSC_SC_
                                        ; -- End function
	.section	.AMDGPU.csdata,"",@progbits
; Kernel info:
; codeLenInByte = 72
; NumSgprs: 36
; NumVgprs: 41
; ScratchSize: 64
; MemoryBound: 0
; FloatMode: 240
; IeeeMode: 1
; LDSByteSize: 0 bytes/workgroup (compile time only)
; SGPRBlocks: 4
; VGPRBlocks: 5
; NumSGPRsForWavesPerEU: 36
; NumVGPRsForWavesPerEU: 41
; Occupancy: 16
; WaveLimiterHint : 1
; COMPUTE_PGM_RSRC2:SCRATCH_EN: 1
; COMPUTE_PGM_RSRC2:USER_SGPR: 15
; COMPUTE_PGM_RSRC2:TRAP_HANDLER: 0
; COMPUTE_PGM_RSRC2:TGID_X_EN: 1
; COMPUTE_PGM_RSRC2:TGID_Y_EN: 0
; COMPUTE_PGM_RSRC2:TGID_Z_EN: 0
; COMPUTE_PGM_RSRC2:TIDIG_COMP_CNT: 0
	.section	.text._Z38paged_attention_ll4mi_QKV_mfma4_kernelI14__hip_bfloat16S0_LN4vllm18Fp8KVCacheDataTypeE0ES0_Li16ELi64ELi256ELb0ELi2EEvPKT_PKT0_S8_ifPKiSA_SA_iPKfiiiPfSD_PS3_PT2_iSC_SC_,"axG",@progbits,_Z38paged_attention_ll4mi_QKV_mfma4_kernelI14__hip_bfloat16S0_LN4vllm18Fp8KVCacheDataTypeE0ES0_Li16ELi64ELi256ELb0ELi2EEvPKT_PKT0_S8_ifPKiSA_SA_iPKfiiiPfSD_PS3_PT2_iSC_SC_,comdat
	.protected	_Z38paged_attention_ll4mi_QKV_mfma4_kernelI14__hip_bfloat16S0_LN4vllm18Fp8KVCacheDataTypeE0ES0_Li16ELi64ELi256ELb0ELi2EEvPKT_PKT0_S8_ifPKiSA_SA_iPKfiiiPfSD_PS3_PT2_iSC_SC_ ; -- Begin function _Z38paged_attention_ll4mi_QKV_mfma4_kernelI14__hip_bfloat16S0_LN4vllm18Fp8KVCacheDataTypeE0ES0_Li16ELi64ELi256ELb0ELi2EEvPKT_PKT0_S8_ifPKiSA_SA_iPKfiiiPfSD_PS3_PT2_iSC_SC_
	.globl	_Z38paged_attention_ll4mi_QKV_mfma4_kernelI14__hip_bfloat16S0_LN4vllm18Fp8KVCacheDataTypeE0ES0_Li16ELi64ELi256ELb0ELi2EEvPKT_PKT0_S8_ifPKiSA_SA_iPKfiiiPfSD_PS3_PT2_iSC_SC_
	.p2align	8
	.type	_Z38paged_attention_ll4mi_QKV_mfma4_kernelI14__hip_bfloat16S0_LN4vllm18Fp8KVCacheDataTypeE0ES0_Li16ELi64ELi256ELb0ELi2EEvPKT_PKT0_S8_ifPKiSA_SA_iPKfiiiPfSD_PS3_PT2_iSC_SC_,@function
_Z38paged_attention_ll4mi_QKV_mfma4_kernelI14__hip_bfloat16S0_LN4vllm18Fp8KVCacheDataTypeE0ES0_Li16ELi64ELi256ELb0ELi2EEvPKT_PKT0_S8_ifPKiSA_SA_iPKfiiiPfSD_PS3_PT2_iSC_SC_: ; @_Z38paged_attention_ll4mi_QKV_mfma4_kernelI14__hip_bfloat16S0_LN4vllm18Fp8KVCacheDataTypeE0ES0_Li16ELi64ELi256ELb0ELi2EEvPKT_PKT0_S8_ifPKiSA_SA_iPKfiiiPfSD_PS3_PT2_iSC_SC_
; %bb.0:
	s_add_u32 s8, s0, 0x90
	s_addc_u32 s9, s1, 0
	s_getpc_b64 s[0:1]
	s_add_u32 s0, s0, __PRETTY_FUNCTION__._Z38paged_attention_ll4mi_QKV_mfma4_kernelI14__hip_bfloat16S0_LN4vllm18Fp8KVCacheDataTypeE0ES0_Li16ELi64ELi256ELb0ELi2EEvPKT_PKT0_S8_ifPKiSA_SA_iPKfiiiPfSD_PS3_PT2_iSC_SC_@rel32@lo+4
	s_addc_u32 s1, s1, __PRETTY_FUNCTION__._Z38paged_attention_ll4mi_QKV_mfma4_kernelI14__hip_bfloat16S0_LN4vllm18Fp8KVCacheDataTypeE0ES0_Li16ELi64ELi256ELb0ELi2EEvPKT_PKT0_S8_ifPKiSA_SA_iPKfiiiPfSD_PS3_PT2_iSC_SC_@rel32@hi+12
	s_delay_alu instid0(SALU_CYCLE_1) | instskip(SKIP_4) | instid1(SALU_CYCLE_1)
	v_dual_mov_b32 v0, s0 :: v_dual_mov_b32 v1, s1
	s_mov_b32 s32, 0
	s_getpc_b64 s[2:3]
	s_add_u32 s2, s2, __assert_fail@rel32@lo+4
	s_addc_u32 s3, s3, __assert_fail@rel32@hi+12
	s_swappc_b64 s[30:31], s[2:3]
	.section	.rodata,"a",@progbits
	.p2align	6, 0x0
	.amdhsa_kernel _Z38paged_attention_ll4mi_QKV_mfma4_kernelI14__hip_bfloat16S0_LN4vllm18Fp8KVCacheDataTypeE0ES0_Li16ELi64ELi256ELb0ELi2EEvPKT_PKT0_S8_ifPKiSA_SA_iPKfiiiPfSD_PS3_PT2_iSC_SC_
		.amdhsa_group_segment_fixed_size 0
		.amdhsa_private_segment_fixed_size 64
		.amdhsa_kernarg_size 400
		.amdhsa_user_sgpr_count 15
		.amdhsa_user_sgpr_dispatch_ptr 0
		.amdhsa_user_sgpr_queue_ptr 0
		.amdhsa_user_sgpr_kernarg_segment_ptr 1
		.amdhsa_user_sgpr_dispatch_id 0
		.amdhsa_user_sgpr_private_segment_size 0
		.amdhsa_wavefront_size32 1
		.amdhsa_uses_dynamic_stack 0
		.amdhsa_enable_private_segment 1
		.amdhsa_system_sgpr_workgroup_id_x 1
		.amdhsa_system_sgpr_workgroup_id_y 0
		.amdhsa_system_sgpr_workgroup_id_z 0
		.amdhsa_system_sgpr_workgroup_info 0
		.amdhsa_system_vgpr_workitem_id 0
		.amdhsa_next_free_vgpr 41
		.amdhsa_next_free_sgpr 34
		.amdhsa_reserve_vcc 1
		.amdhsa_float_round_mode_32 0
		.amdhsa_float_round_mode_16_64 0
		.amdhsa_float_denorm_mode_32 3
		.amdhsa_float_denorm_mode_16_64 3
		.amdhsa_dx10_clamp 1
		.amdhsa_ieee_mode 1
		.amdhsa_fp16_overflow 0
		.amdhsa_workgroup_processor_mode 1
		.amdhsa_memory_ordered 1
		.amdhsa_forward_progress 0
		.amdhsa_shared_vgpr_count 0
		.amdhsa_exception_fp_ieee_invalid_op 0
		.amdhsa_exception_fp_denorm_src 0
		.amdhsa_exception_fp_ieee_div_zero 0
		.amdhsa_exception_fp_ieee_overflow 0
		.amdhsa_exception_fp_ieee_underflow 0
		.amdhsa_exception_fp_ieee_inexact 0
		.amdhsa_exception_int_div_zero 0
	.end_amdhsa_kernel
	.section	.text._Z38paged_attention_ll4mi_QKV_mfma4_kernelI14__hip_bfloat16S0_LN4vllm18Fp8KVCacheDataTypeE0ES0_Li16ELi64ELi256ELb0ELi2EEvPKT_PKT0_S8_ifPKiSA_SA_iPKfiiiPfSD_PS3_PT2_iSC_SC_,"axG",@progbits,_Z38paged_attention_ll4mi_QKV_mfma4_kernelI14__hip_bfloat16S0_LN4vllm18Fp8KVCacheDataTypeE0ES0_Li16ELi64ELi256ELb0ELi2EEvPKT_PKT0_S8_ifPKiSA_SA_iPKfiiiPfSD_PS3_PT2_iSC_SC_,comdat
.Lfunc_end479:
	.size	_Z38paged_attention_ll4mi_QKV_mfma4_kernelI14__hip_bfloat16S0_LN4vllm18Fp8KVCacheDataTypeE0ES0_Li16ELi64ELi256ELb0ELi2EEvPKT_PKT0_S8_ifPKiSA_SA_iPKfiiiPfSD_PS3_PT2_iSC_SC_, .Lfunc_end479-_Z38paged_attention_ll4mi_QKV_mfma4_kernelI14__hip_bfloat16S0_LN4vllm18Fp8KVCacheDataTypeE0ES0_Li16ELi64ELi256ELb0ELi2EEvPKT_PKT0_S8_ifPKiSA_SA_iPKfiiiPfSD_PS3_PT2_iSC_SC_
                                        ; -- End function
	.section	.AMDGPU.csdata,"",@progbits
; Kernel info:
; codeLenInByte = 72
; NumSgprs: 36
; NumVgprs: 41
; ScratchSize: 64
; MemoryBound: 0
; FloatMode: 240
; IeeeMode: 1
; LDSByteSize: 0 bytes/workgroup (compile time only)
; SGPRBlocks: 4
; VGPRBlocks: 5
; NumSGPRsForWavesPerEU: 36
; NumVGPRsForWavesPerEU: 41
; Occupancy: 16
; WaveLimiterHint : 1
; COMPUTE_PGM_RSRC2:SCRATCH_EN: 1
; COMPUTE_PGM_RSRC2:USER_SGPR: 15
; COMPUTE_PGM_RSRC2:TRAP_HANDLER: 0
; COMPUTE_PGM_RSRC2:TGID_X_EN: 1
; COMPUTE_PGM_RSRC2:TGID_Y_EN: 0
; COMPUTE_PGM_RSRC2:TGID_Z_EN: 0
; COMPUTE_PGM_RSRC2:TIDIG_COMP_CNT: 0
	.section	.text._Z38paged_attention_ll4mi_QKV_mfma4_kernelI14__hip_bfloat16S0_LN4vllm18Fp8KVCacheDataTypeE0ES0_Li16ELi64ELi256ELb0ELi3EEvPKT_PKT0_S8_ifPKiSA_SA_iPKfiiiPfSD_PS3_PT2_iSC_SC_,"axG",@progbits,_Z38paged_attention_ll4mi_QKV_mfma4_kernelI14__hip_bfloat16S0_LN4vllm18Fp8KVCacheDataTypeE0ES0_Li16ELi64ELi256ELb0ELi3EEvPKT_PKT0_S8_ifPKiSA_SA_iPKfiiiPfSD_PS3_PT2_iSC_SC_,comdat
	.protected	_Z38paged_attention_ll4mi_QKV_mfma4_kernelI14__hip_bfloat16S0_LN4vllm18Fp8KVCacheDataTypeE0ES0_Li16ELi64ELi256ELb0ELi3EEvPKT_PKT0_S8_ifPKiSA_SA_iPKfiiiPfSD_PS3_PT2_iSC_SC_ ; -- Begin function _Z38paged_attention_ll4mi_QKV_mfma4_kernelI14__hip_bfloat16S0_LN4vllm18Fp8KVCacheDataTypeE0ES0_Li16ELi64ELi256ELb0ELi3EEvPKT_PKT0_S8_ifPKiSA_SA_iPKfiiiPfSD_PS3_PT2_iSC_SC_
	.globl	_Z38paged_attention_ll4mi_QKV_mfma4_kernelI14__hip_bfloat16S0_LN4vllm18Fp8KVCacheDataTypeE0ES0_Li16ELi64ELi256ELb0ELi3EEvPKT_PKT0_S8_ifPKiSA_SA_iPKfiiiPfSD_PS3_PT2_iSC_SC_
	.p2align	8
	.type	_Z38paged_attention_ll4mi_QKV_mfma4_kernelI14__hip_bfloat16S0_LN4vllm18Fp8KVCacheDataTypeE0ES0_Li16ELi64ELi256ELb0ELi3EEvPKT_PKT0_S8_ifPKiSA_SA_iPKfiiiPfSD_PS3_PT2_iSC_SC_,@function
_Z38paged_attention_ll4mi_QKV_mfma4_kernelI14__hip_bfloat16S0_LN4vllm18Fp8KVCacheDataTypeE0ES0_Li16ELi64ELi256ELb0ELi3EEvPKT_PKT0_S8_ifPKiSA_SA_iPKfiiiPfSD_PS3_PT2_iSC_SC_: ; @_Z38paged_attention_ll4mi_QKV_mfma4_kernelI14__hip_bfloat16S0_LN4vllm18Fp8KVCacheDataTypeE0ES0_Li16ELi64ELi256ELb0ELi3EEvPKT_PKT0_S8_ifPKiSA_SA_iPKfiiiPfSD_PS3_PT2_iSC_SC_
; %bb.0:
	s_add_u32 s8, s0, 0x90
	s_addc_u32 s9, s1, 0
	s_getpc_b64 s[0:1]
	s_add_u32 s0, s0, __PRETTY_FUNCTION__._Z38paged_attention_ll4mi_QKV_mfma4_kernelI14__hip_bfloat16S0_LN4vllm18Fp8KVCacheDataTypeE0ES0_Li16ELi64ELi256ELb0ELi3EEvPKT_PKT0_S8_ifPKiSA_SA_iPKfiiiPfSD_PS3_PT2_iSC_SC_@rel32@lo+4
	s_addc_u32 s1, s1, __PRETTY_FUNCTION__._Z38paged_attention_ll4mi_QKV_mfma4_kernelI14__hip_bfloat16S0_LN4vllm18Fp8KVCacheDataTypeE0ES0_Li16ELi64ELi256ELb0ELi3EEvPKT_PKT0_S8_ifPKiSA_SA_iPKfiiiPfSD_PS3_PT2_iSC_SC_@rel32@hi+12
	s_delay_alu instid0(SALU_CYCLE_1) | instskip(SKIP_4) | instid1(SALU_CYCLE_1)
	v_dual_mov_b32 v0, s0 :: v_dual_mov_b32 v1, s1
	s_mov_b32 s32, 0
	s_getpc_b64 s[2:3]
	s_add_u32 s2, s2, __assert_fail@rel32@lo+4
	s_addc_u32 s3, s3, __assert_fail@rel32@hi+12
	s_swappc_b64 s[30:31], s[2:3]
	.section	.rodata,"a",@progbits
	.p2align	6, 0x0
	.amdhsa_kernel _Z38paged_attention_ll4mi_QKV_mfma4_kernelI14__hip_bfloat16S0_LN4vllm18Fp8KVCacheDataTypeE0ES0_Li16ELi64ELi256ELb0ELi3EEvPKT_PKT0_S8_ifPKiSA_SA_iPKfiiiPfSD_PS3_PT2_iSC_SC_
		.amdhsa_group_segment_fixed_size 0
		.amdhsa_private_segment_fixed_size 64
		.amdhsa_kernarg_size 400
		.amdhsa_user_sgpr_count 15
		.amdhsa_user_sgpr_dispatch_ptr 0
		.amdhsa_user_sgpr_queue_ptr 0
		.amdhsa_user_sgpr_kernarg_segment_ptr 1
		.amdhsa_user_sgpr_dispatch_id 0
		.amdhsa_user_sgpr_private_segment_size 0
		.amdhsa_wavefront_size32 1
		.amdhsa_uses_dynamic_stack 0
		.amdhsa_enable_private_segment 1
		.amdhsa_system_sgpr_workgroup_id_x 1
		.amdhsa_system_sgpr_workgroup_id_y 0
		.amdhsa_system_sgpr_workgroup_id_z 0
		.amdhsa_system_sgpr_workgroup_info 0
		.amdhsa_system_vgpr_workitem_id 0
		.amdhsa_next_free_vgpr 41
		.amdhsa_next_free_sgpr 34
		.amdhsa_reserve_vcc 1
		.amdhsa_float_round_mode_32 0
		.amdhsa_float_round_mode_16_64 0
		.amdhsa_float_denorm_mode_32 3
		.amdhsa_float_denorm_mode_16_64 3
		.amdhsa_dx10_clamp 1
		.amdhsa_ieee_mode 1
		.amdhsa_fp16_overflow 0
		.amdhsa_workgroup_processor_mode 1
		.amdhsa_memory_ordered 1
		.amdhsa_forward_progress 0
		.amdhsa_shared_vgpr_count 0
		.amdhsa_exception_fp_ieee_invalid_op 0
		.amdhsa_exception_fp_denorm_src 0
		.amdhsa_exception_fp_ieee_div_zero 0
		.amdhsa_exception_fp_ieee_overflow 0
		.amdhsa_exception_fp_ieee_underflow 0
		.amdhsa_exception_fp_ieee_inexact 0
		.amdhsa_exception_int_div_zero 0
	.end_amdhsa_kernel
	.section	.text._Z38paged_attention_ll4mi_QKV_mfma4_kernelI14__hip_bfloat16S0_LN4vllm18Fp8KVCacheDataTypeE0ES0_Li16ELi64ELi256ELb0ELi3EEvPKT_PKT0_S8_ifPKiSA_SA_iPKfiiiPfSD_PS3_PT2_iSC_SC_,"axG",@progbits,_Z38paged_attention_ll4mi_QKV_mfma4_kernelI14__hip_bfloat16S0_LN4vllm18Fp8KVCacheDataTypeE0ES0_Li16ELi64ELi256ELb0ELi3EEvPKT_PKT0_S8_ifPKiSA_SA_iPKfiiiPfSD_PS3_PT2_iSC_SC_,comdat
.Lfunc_end480:
	.size	_Z38paged_attention_ll4mi_QKV_mfma4_kernelI14__hip_bfloat16S0_LN4vllm18Fp8KVCacheDataTypeE0ES0_Li16ELi64ELi256ELb0ELi3EEvPKT_PKT0_S8_ifPKiSA_SA_iPKfiiiPfSD_PS3_PT2_iSC_SC_, .Lfunc_end480-_Z38paged_attention_ll4mi_QKV_mfma4_kernelI14__hip_bfloat16S0_LN4vllm18Fp8KVCacheDataTypeE0ES0_Li16ELi64ELi256ELb0ELi3EEvPKT_PKT0_S8_ifPKiSA_SA_iPKfiiiPfSD_PS3_PT2_iSC_SC_
                                        ; -- End function
	.section	.AMDGPU.csdata,"",@progbits
; Kernel info:
; codeLenInByte = 72
; NumSgprs: 36
; NumVgprs: 41
; ScratchSize: 64
; MemoryBound: 0
; FloatMode: 240
; IeeeMode: 1
; LDSByteSize: 0 bytes/workgroup (compile time only)
; SGPRBlocks: 4
; VGPRBlocks: 5
; NumSGPRsForWavesPerEU: 36
; NumVGPRsForWavesPerEU: 41
; Occupancy: 16
; WaveLimiterHint : 1
; COMPUTE_PGM_RSRC2:SCRATCH_EN: 1
; COMPUTE_PGM_RSRC2:USER_SGPR: 15
; COMPUTE_PGM_RSRC2:TRAP_HANDLER: 0
; COMPUTE_PGM_RSRC2:TGID_X_EN: 1
; COMPUTE_PGM_RSRC2:TGID_Y_EN: 0
; COMPUTE_PGM_RSRC2:TGID_Z_EN: 0
; COMPUTE_PGM_RSRC2:TIDIG_COMP_CNT: 0
	.section	.text._Z38paged_attention_ll4mi_QKV_mfma4_kernelI14__hip_bfloat16S0_LN4vllm18Fp8KVCacheDataTypeE0ES0_Li16ELi64ELi256ELb0ELi4EEvPKT_PKT0_S8_ifPKiSA_SA_iPKfiiiPfSD_PS3_PT2_iSC_SC_,"axG",@progbits,_Z38paged_attention_ll4mi_QKV_mfma4_kernelI14__hip_bfloat16S0_LN4vllm18Fp8KVCacheDataTypeE0ES0_Li16ELi64ELi256ELb0ELi4EEvPKT_PKT0_S8_ifPKiSA_SA_iPKfiiiPfSD_PS3_PT2_iSC_SC_,comdat
	.protected	_Z38paged_attention_ll4mi_QKV_mfma4_kernelI14__hip_bfloat16S0_LN4vllm18Fp8KVCacheDataTypeE0ES0_Li16ELi64ELi256ELb0ELi4EEvPKT_PKT0_S8_ifPKiSA_SA_iPKfiiiPfSD_PS3_PT2_iSC_SC_ ; -- Begin function _Z38paged_attention_ll4mi_QKV_mfma4_kernelI14__hip_bfloat16S0_LN4vllm18Fp8KVCacheDataTypeE0ES0_Li16ELi64ELi256ELb0ELi4EEvPKT_PKT0_S8_ifPKiSA_SA_iPKfiiiPfSD_PS3_PT2_iSC_SC_
	.globl	_Z38paged_attention_ll4mi_QKV_mfma4_kernelI14__hip_bfloat16S0_LN4vllm18Fp8KVCacheDataTypeE0ES0_Li16ELi64ELi256ELb0ELi4EEvPKT_PKT0_S8_ifPKiSA_SA_iPKfiiiPfSD_PS3_PT2_iSC_SC_
	.p2align	8
	.type	_Z38paged_attention_ll4mi_QKV_mfma4_kernelI14__hip_bfloat16S0_LN4vllm18Fp8KVCacheDataTypeE0ES0_Li16ELi64ELi256ELb0ELi4EEvPKT_PKT0_S8_ifPKiSA_SA_iPKfiiiPfSD_PS3_PT2_iSC_SC_,@function
_Z38paged_attention_ll4mi_QKV_mfma4_kernelI14__hip_bfloat16S0_LN4vllm18Fp8KVCacheDataTypeE0ES0_Li16ELi64ELi256ELb0ELi4EEvPKT_PKT0_S8_ifPKiSA_SA_iPKfiiiPfSD_PS3_PT2_iSC_SC_: ; @_Z38paged_attention_ll4mi_QKV_mfma4_kernelI14__hip_bfloat16S0_LN4vllm18Fp8KVCacheDataTypeE0ES0_Li16ELi64ELi256ELb0ELi4EEvPKT_PKT0_S8_ifPKiSA_SA_iPKfiiiPfSD_PS3_PT2_iSC_SC_
; %bb.0:
	s_add_u32 s8, s0, 0x90
	s_addc_u32 s9, s1, 0
	s_getpc_b64 s[0:1]
	s_add_u32 s0, s0, __PRETTY_FUNCTION__._Z38paged_attention_ll4mi_QKV_mfma4_kernelI14__hip_bfloat16S0_LN4vllm18Fp8KVCacheDataTypeE0ES0_Li16ELi64ELi256ELb0ELi4EEvPKT_PKT0_S8_ifPKiSA_SA_iPKfiiiPfSD_PS3_PT2_iSC_SC_@rel32@lo+4
	s_addc_u32 s1, s1, __PRETTY_FUNCTION__._Z38paged_attention_ll4mi_QKV_mfma4_kernelI14__hip_bfloat16S0_LN4vllm18Fp8KVCacheDataTypeE0ES0_Li16ELi64ELi256ELb0ELi4EEvPKT_PKT0_S8_ifPKiSA_SA_iPKfiiiPfSD_PS3_PT2_iSC_SC_@rel32@hi+12
	s_delay_alu instid0(SALU_CYCLE_1) | instskip(SKIP_4) | instid1(SALU_CYCLE_1)
	v_dual_mov_b32 v0, s0 :: v_dual_mov_b32 v1, s1
	s_mov_b32 s32, 0
	s_getpc_b64 s[2:3]
	s_add_u32 s2, s2, __assert_fail@rel32@lo+4
	s_addc_u32 s3, s3, __assert_fail@rel32@hi+12
	s_swappc_b64 s[30:31], s[2:3]
	.section	.rodata,"a",@progbits
	.p2align	6, 0x0
	.amdhsa_kernel _Z38paged_attention_ll4mi_QKV_mfma4_kernelI14__hip_bfloat16S0_LN4vllm18Fp8KVCacheDataTypeE0ES0_Li16ELi64ELi256ELb0ELi4EEvPKT_PKT0_S8_ifPKiSA_SA_iPKfiiiPfSD_PS3_PT2_iSC_SC_
		.amdhsa_group_segment_fixed_size 0
		.amdhsa_private_segment_fixed_size 64
		.amdhsa_kernarg_size 400
		.amdhsa_user_sgpr_count 15
		.amdhsa_user_sgpr_dispatch_ptr 0
		.amdhsa_user_sgpr_queue_ptr 0
		.amdhsa_user_sgpr_kernarg_segment_ptr 1
		.amdhsa_user_sgpr_dispatch_id 0
		.amdhsa_user_sgpr_private_segment_size 0
		.amdhsa_wavefront_size32 1
		.amdhsa_uses_dynamic_stack 0
		.amdhsa_enable_private_segment 1
		.amdhsa_system_sgpr_workgroup_id_x 1
		.amdhsa_system_sgpr_workgroup_id_y 0
		.amdhsa_system_sgpr_workgroup_id_z 0
		.amdhsa_system_sgpr_workgroup_info 0
		.amdhsa_system_vgpr_workitem_id 0
		.amdhsa_next_free_vgpr 41
		.amdhsa_next_free_sgpr 34
		.amdhsa_reserve_vcc 1
		.amdhsa_float_round_mode_32 0
		.amdhsa_float_round_mode_16_64 0
		.amdhsa_float_denorm_mode_32 3
		.amdhsa_float_denorm_mode_16_64 3
		.amdhsa_dx10_clamp 1
		.amdhsa_ieee_mode 1
		.amdhsa_fp16_overflow 0
		.amdhsa_workgroup_processor_mode 1
		.amdhsa_memory_ordered 1
		.amdhsa_forward_progress 0
		.amdhsa_shared_vgpr_count 0
		.amdhsa_exception_fp_ieee_invalid_op 0
		.amdhsa_exception_fp_denorm_src 0
		.amdhsa_exception_fp_ieee_div_zero 0
		.amdhsa_exception_fp_ieee_overflow 0
		.amdhsa_exception_fp_ieee_underflow 0
		.amdhsa_exception_fp_ieee_inexact 0
		.amdhsa_exception_int_div_zero 0
	.end_amdhsa_kernel
	.section	.text._Z38paged_attention_ll4mi_QKV_mfma4_kernelI14__hip_bfloat16S0_LN4vllm18Fp8KVCacheDataTypeE0ES0_Li16ELi64ELi256ELb0ELi4EEvPKT_PKT0_S8_ifPKiSA_SA_iPKfiiiPfSD_PS3_PT2_iSC_SC_,"axG",@progbits,_Z38paged_attention_ll4mi_QKV_mfma4_kernelI14__hip_bfloat16S0_LN4vllm18Fp8KVCacheDataTypeE0ES0_Li16ELi64ELi256ELb0ELi4EEvPKT_PKT0_S8_ifPKiSA_SA_iPKfiiiPfSD_PS3_PT2_iSC_SC_,comdat
.Lfunc_end481:
	.size	_Z38paged_attention_ll4mi_QKV_mfma4_kernelI14__hip_bfloat16S0_LN4vllm18Fp8KVCacheDataTypeE0ES0_Li16ELi64ELi256ELb0ELi4EEvPKT_PKT0_S8_ifPKiSA_SA_iPKfiiiPfSD_PS3_PT2_iSC_SC_, .Lfunc_end481-_Z38paged_attention_ll4mi_QKV_mfma4_kernelI14__hip_bfloat16S0_LN4vllm18Fp8KVCacheDataTypeE0ES0_Li16ELi64ELi256ELb0ELi4EEvPKT_PKT0_S8_ifPKiSA_SA_iPKfiiiPfSD_PS3_PT2_iSC_SC_
                                        ; -- End function
	.section	.AMDGPU.csdata,"",@progbits
; Kernel info:
; codeLenInByte = 72
; NumSgprs: 36
; NumVgprs: 41
; ScratchSize: 64
; MemoryBound: 0
; FloatMode: 240
; IeeeMode: 1
; LDSByteSize: 0 bytes/workgroup (compile time only)
; SGPRBlocks: 4
; VGPRBlocks: 5
; NumSGPRsForWavesPerEU: 36
; NumVGPRsForWavesPerEU: 41
; Occupancy: 16
; WaveLimiterHint : 1
; COMPUTE_PGM_RSRC2:SCRATCH_EN: 1
; COMPUTE_PGM_RSRC2:USER_SGPR: 15
; COMPUTE_PGM_RSRC2:TRAP_HANDLER: 0
; COMPUTE_PGM_RSRC2:TGID_X_EN: 1
; COMPUTE_PGM_RSRC2:TGID_Y_EN: 0
; COMPUTE_PGM_RSRC2:TGID_Z_EN: 0
; COMPUTE_PGM_RSRC2:TIDIG_COMP_CNT: 0
	.section	.text._Z39paged_attention_ll4mi_QKV_mfma16_kernelI14__hip_bfloat16S0_LN4vllm18Fp8KVCacheDataTypeE0ES0_Li16ELi64ELi256ELb0ELi5EL8MFMAType0EEvPKT_PKT0_S9_ifPKiSB_SB_iPKfiiiPfSE_PS4_PT2_iSD_SD_,"axG",@progbits,_Z39paged_attention_ll4mi_QKV_mfma16_kernelI14__hip_bfloat16S0_LN4vllm18Fp8KVCacheDataTypeE0ES0_Li16ELi64ELi256ELb0ELi5EL8MFMAType0EEvPKT_PKT0_S9_ifPKiSB_SB_iPKfiiiPfSE_PS4_PT2_iSD_SD_,comdat
	.protected	_Z39paged_attention_ll4mi_QKV_mfma16_kernelI14__hip_bfloat16S0_LN4vllm18Fp8KVCacheDataTypeE0ES0_Li16ELi64ELi256ELb0ELi5EL8MFMAType0EEvPKT_PKT0_S9_ifPKiSB_SB_iPKfiiiPfSE_PS4_PT2_iSD_SD_ ; -- Begin function _Z39paged_attention_ll4mi_QKV_mfma16_kernelI14__hip_bfloat16S0_LN4vllm18Fp8KVCacheDataTypeE0ES0_Li16ELi64ELi256ELb0ELi5EL8MFMAType0EEvPKT_PKT0_S9_ifPKiSB_SB_iPKfiiiPfSE_PS4_PT2_iSD_SD_
	.globl	_Z39paged_attention_ll4mi_QKV_mfma16_kernelI14__hip_bfloat16S0_LN4vllm18Fp8KVCacheDataTypeE0ES0_Li16ELi64ELi256ELb0ELi5EL8MFMAType0EEvPKT_PKT0_S9_ifPKiSB_SB_iPKfiiiPfSE_PS4_PT2_iSD_SD_
	.p2align	8
	.type	_Z39paged_attention_ll4mi_QKV_mfma16_kernelI14__hip_bfloat16S0_LN4vllm18Fp8KVCacheDataTypeE0ES0_Li16ELi64ELi256ELb0ELi5EL8MFMAType0EEvPKT_PKT0_S9_ifPKiSB_SB_iPKfiiiPfSE_PS4_PT2_iSD_SD_,@function
_Z39paged_attention_ll4mi_QKV_mfma16_kernelI14__hip_bfloat16S0_LN4vllm18Fp8KVCacheDataTypeE0ES0_Li16ELi64ELi256ELb0ELi5EL8MFMAType0EEvPKT_PKT0_S9_ifPKiSB_SB_iPKfiiiPfSE_PS4_PT2_iSD_SD_: ; @_Z39paged_attention_ll4mi_QKV_mfma16_kernelI14__hip_bfloat16S0_LN4vllm18Fp8KVCacheDataTypeE0ES0_Li16ELi64ELi256ELb0ELi5EL8MFMAType0EEvPKT_PKT0_S9_ifPKiSB_SB_iPKfiiiPfSE_PS4_PT2_iSD_SD_
; %bb.0:
	s_load_b64 s[2:3], s[0:1], 0x30
	s_mov_b32 s34, s13
	s_waitcnt lgkmcnt(0)
	s_cmp_lg_u64 s[2:3], 0
	s_cselect_b32 s8, -1, 0
	s_ashr_i32 s35, s13, 31
	s_cmp_eq_u64 s[2:3], 0
	s_cbranch_scc1 .LBB482_3
; %bb.1:
	s_lshl_b64 s[4:5], s[34:35], 2
	s_delay_alu instid0(SALU_CYCLE_1) | instskip(SKIP_4) | instid1(SALU_CYCLE_1)
	s_add_u32 s4, s2, s4
	s_addc_u32 s5, s3, s5
	s_load_b64 s[4:5], s[4:5], 0x0
	s_waitcnt lgkmcnt(0)
	s_sub_i32 s4, s5, s4
	s_cmp_eq_u32 s4, 1
	s_cselect_b32 s4, -1, 0
	s_delay_alu instid0(SALU_CYCLE_1)
	s_and_not1_b32 vcc_lo, exec_lo, s4
	s_cbranch_vccz .LBB482_4
.LBB482_2:
	s_nop 0
	s_sendmsg sendmsg(MSG_DEALLOC_VGPRS)
	s_endpgm
.LBB482_3:
.LBB482_4:
	s_load_b64 s[4:5], s[0:1], 0x28
	s_lshl_b64 s[6:7], s[34:35], 2
	s_waitcnt lgkmcnt(0)
	s_add_u32 s4, s4, s6
	s_addc_u32 s5, s5, s7
	s_lshl_b32 s33, s14, 8
	s_load_b32 s30, s[4:5], 0x0
	s_waitcnt lgkmcnt(0)
	s_cmp_ge_i32 s33, s30
	s_cbranch_scc1 .LBB482_2
; %bb.5:
	s_clause 0x1
	s_load_b128 s[20:23], s[0:1], 0x8
	s_load_b64 s[4:5], s[0:1], 0x20
	s_and_not1_b32 vcc_lo, exec_lo, s8
	s_cbranch_vccnz .LBB482_7
; %bb.6:
	s_add_u32 s2, s2, s6
	s_addc_u32 s3, s3, s7
	s_load_b32 s3, s[2:3], 0x0
	s_branch .LBB482_8
.LBB482_7:
	s_mov_b32 s3, s34
.LBB482_8:
	s_load_b128 s[16:19], s[0:1], 0x48
	v_lshrrev_b32_e32 v149, 5, v0
	v_bfe_u32 v146, v0, 4, 1
	v_and_b32_e32 v148, 15, v0
	v_and_b32_e32 v150, 31, v0
	;; [unrolled: 1-line block ×3, first 2 shown]
	s_mul_i32 s31, s15, 5
	v_lshl_or_b32 v1, v149, 1, v146
	v_lshlrev_b32_e32 v2, 3, v148
	v_cmp_gt_u32_e64 s2, 8, v148
	s_delay_alu instid0(VALU_DEP_3) | instskip(NEXT) | instid1(VALU_DEP_3)
	v_cmp_gt_u32_e32 vcc_lo, 5, v1
	v_lshlrev_b32_e32 v145, 1, v2
	s_delay_alu instid0(VALU_DEP_3) | instskip(NEXT) | instid1(SALU_CYCLE_1)
	s_and_b32 s7, s2, vcc_lo
	s_and_saveexec_b32 s6, s7
	s_cbranch_execz .LBB482_10
; %bb.9:
	s_load_b64 s[8:9], s[0:1], 0x0
	v_add_lshl_u32 v2, v1, s31, 6
	s_waitcnt lgkmcnt(0)
	s_mul_hi_i32 s11, s3, s16
	s_mul_i32 s10, s3, s16
	v_lshlrev_b32_e32 v6, 10, v148
	s_lshl_b64 s[10:11], s[10:11], 1
	v_ashrrev_i32_e32 v3, 31, v2
	v_lshlrev_b32_e32 v1, 6, v1
	v_lshlrev_b32_e32 v7, 10, v147
	v_and_b32_e32 v6, 0x3800, v6
	s_delay_alu instid0(VALU_DEP_4) | instskip(NEXT) | instid1(VALU_DEP_2)
	v_lshlrev_b64 v[2:3], 1, v[2:3]
	v_or3_b32 v1, v6, v7, v1
	s_add_u32 s3, s8, s10
	s_addc_u32 s7, s9, s11
	s_delay_alu instid0(VALU_DEP_2) | instskip(NEXT) | instid1(VALU_DEP_3)
	v_add_co_u32 v2, vcc_lo, s3, v2
	v_add_co_ci_u32_e32 v3, vcc_lo, s7, v3, vcc_lo
	s_delay_alu instid0(VALU_DEP_2) | instskip(NEXT) | instid1(VALU_DEP_2)
	v_add_co_u32 v2, vcc_lo, v2, v145
	v_add_co_ci_u32_e32 v3, vcc_lo, 0, v3, vcc_lo
	global_load_b128 v[2:5], v[2:3], off
	s_waitcnt vmcnt(0)
	ds_store_b128 v1, v[2:5]
.LBB482_10:
	s_or_b32 exec_lo, exec_lo, s6
	v_and_b32_e32 v1, 0xef, v0
	s_waitcnt lgkmcnt(0)
	s_add_i32 s3, s30, 15
	s_clause 0x1
	s_load_b32 s6, s[0:1], 0x38
	s_load_b32 s35, s[0:1], 0x1c
	s_ashr_i32 s7, s3, 31
	v_add_nc_u32_e32 v1, s33, v1
	s_lshr_b32 s7, s7, 28
	s_waitcnt lgkmcnt(0)
	s_add_i32 s3, s3, s7
	s_barrier
	v_ashrrev_i32_e32 v2, 31, v1
	v_or_b32_e32 v3, 16, v1
	s_ashr_i32 s3, s3, 4
	v_cmp_gt_i32_e32 vcc_lo, s30, v1
	s_add_i32 s3, s3, -1
	v_lshrrev_b32_e32 v2, 28, v2
	buffer_gl0_inv
	v_mul_lo_u16 v21, v148, 52
	v_lshlrev_b32_e32 v22, 5, v148
	v_add_nc_u32_e32 v4, v1, v2
	s_mul_i32 s6, s34, s6
	s_delay_alu instid0(VALU_DEP_3) | instskip(SKIP_1) | instid1(VALU_DEP_2)
	v_lshrrev_b16 v21, 8, v21
	s_ashr_i32 s7, s6, 31
	v_ashrrev_i32_e32 v4, 4, v4
	v_add_nc_u32_e32 v2, v3, v2
	s_lshl_b64 s[6:7], s[6:7], 2
	v_mul_lo_u16 v21, v21, 5
	s_add_u32 s16, s4, s6
	v_cndmask_b32_e32 v1, s3, v4, vcc_lo
	v_ashrrev_i32_e32 v2, 4, v2
	v_cmp_gt_i32_e32 vcc_lo, s30, v3
	s_addc_u32 s36, s5, s7
	s_mul_i32 s4, s15, s18
	v_sub_nc_u16 v21, v148, v21
	s_ashr_i32 s5, s4, 31
	v_cndmask_b32_e32 v3, s3, v2, vcc_lo
	v_ashrrev_i32_e32 v2, 31, v1
	s_lshl_b64 s[12:13], s[4:5], 1
	v_and_b32_e32 v21, 0xff, v21
	s_add_u32 s26, s20, s12
	v_ashrrev_i32_e32 v4, 31, v3
	v_lshlrev_b64 v[1:2], 2, v[1:2]
	s_addc_u32 s27, s21, s13
	s_lshl_b32 s4, s14, 4
	v_lshlrev_b32_e32 v197, 6, v21
	v_lshlrev_b64 v[3:4], 2, v[3:4]
	s_ashr_i32 s5, s4, 31
	v_add_co_u32 v1, vcc_lo, s16, v1
	v_add_co_ci_u32_e32 v2, vcc_lo, s36, v2, vcc_lo
	s_delay_alu instid0(VALU_DEP_3) | instskip(NEXT) | instid1(VALU_DEP_4)
	v_add_co_u32 v3, vcc_lo, s16, v3
	v_add_co_ci_u32_e32 v4, vcc_lo, s36, v4, vcc_lo
	s_clause 0x1
	global_load_b32 v5, v[1:2], off
	global_load_b32 v6, v[3:4], off
	s_lshl_b64 s[4:5], s[4:5], 2
	v_lshlrev_b32_e32 v3, 4, v0
	s_add_u32 s4, s16, s4
	s_addc_u32 s5, s36, s5
	s_or_b32 s6, s33, 16
	v_lshl_or_b32 v22, v149, 9, v22
	s_ashr_i32 s7, s6, 4
	s_cmp_lt_i32 s6, s30
	s_cselect_b32 s6, s7, s3
	s_delay_alu instid0(SALU_CYCLE_1) | instskip(NEXT) | instid1(SALU_CYCLE_1)
	s_ashr_i32 s7, s6, 31
	s_lshl_b64 s[6:7], s[6:7], 2
	s_delay_alu instid0(SALU_CYCLE_1) | instskip(SKIP_2) | instid1(SALU_CYCLE_1)
	s_add_u32 s6, s16, s6
	s_addc_u32 s7, s36, s7
	s_or_b32 s8, s33, 32
	s_ashr_i32 s9, s8, 4
	s_cmp_lt_i32 s8, s30
	s_cselect_b32 s8, s9, s3
	s_delay_alu instid0(SALU_CYCLE_1) | instskip(NEXT) | instid1(SALU_CYCLE_1)
	s_ashr_i32 s9, s8, 31
	s_lshl_b64 s[8:9], s[8:9], 2
	s_delay_alu instid0(SALU_CYCLE_1) | instskip(SKIP_2) | instid1(SALU_CYCLE_1)
	s_add_u32 s8, s16, s8
	s_addc_u32 s9, s36, s9
	s_or_b32 s10, s33, 48
	;; [unrolled: 10-line block ×4, first 2 shown]
	s_ashr_i32 s18, s15, 4
	s_cmp_lt_i32 s15, s30
	s_cselect_b32 s18, s18, s3
	s_delay_alu instid0(SALU_CYCLE_1) | instskip(NEXT) | instid1(SALU_CYCLE_1)
	s_ashr_i32 s19, s18, 31
	s_lshl_b64 s[18:19], s[18:19], 2
	s_delay_alu instid0(SALU_CYCLE_1)
	s_add_u32 s24, s16, s18
	s_addc_u32 s25, s36, s19
	s_clause 0x5
	s_load_b32 s37, s[4:5], 0x0
	s_load_b32 s29, s[6:7], 0x0
	;; [unrolled: 1-line block ×6, first 2 shown]
	s_waitcnt vmcnt(1)
	v_mad_i64_i32 v[1:2], null, v5, s17, 0
	v_and_b32_e32 v5, 0xf0, v3
	s_waitcnt vmcnt(0)
	v_mad_i64_i32 v[3:4], null, v6, s17, 0
	s_delay_alu instid0(VALU_DEP_2) | instskip(NEXT) | instid1(VALU_DEP_4)
	v_add_co_u32 v5, s4, s26, v5
	v_lshlrev_b64 v[1:2], 1, v[1:2]
	v_add_co_ci_u32_e64 v6, null, s27, 0, s4
	s_delay_alu instid0(VALU_DEP_4) | instskip(SKIP_1) | instid1(VALU_DEP_3)
	v_lshlrev_b64 v[3:4], 1, v[3:4]
	s_or_b32 s4, s33, 0x60
	v_add_co_u32 v19, vcc_lo, v5, v1
	s_delay_alu instid0(VALU_DEP_3) | instskip(NEXT) | instid1(VALU_DEP_3)
	v_add_co_ci_u32_e32 v20, vcc_lo, v6, v2, vcc_lo
	v_add_co_u32 v17, vcc_lo, v5, v3
	s_delay_alu instid0(VALU_DEP_4)
	v_add_co_ci_u32_e32 v18, vcc_lo, v6, v4, vcc_lo
	s_clause 0xb
	global_load_b128 v[1:4], v[19:20], off
	global_load_b128 v[5:8], v[19:20], off offset:256
	global_load_b128 v[129:132], v[17:18], off
	global_load_b128 v[133:136], v[17:18], off offset:256
	global_load_b128 v[33:36], v[19:20], off offset:512
	;; [unrolled: 1-line block ×9, first 2 shown]
	ds_load_b128 v[159:162], v197
	ds_load_b128 v[163:166], v197 offset:1024
	s_clause 0x3
	global_load_b128 v[167:170], v[19:20], off offset:1536
	global_load_b128 v[171:174], v[19:20], off offset:1792
	;; [unrolled: 1-line block ×4, first 2 shown]
	s_ashr_i32 s5, s4, 4
	s_cmp_lt_i32 s4, s30
	s_cselect_b32 s4, s5, s3
	s_delay_alu instid0(SALU_CYCLE_1) | instskip(NEXT) | instid1(SALU_CYCLE_1)
	s_ashr_i32 s5, s4, 31
	s_lshl_b64 s[4:5], s[4:5], 2
	s_delay_alu instid0(SALU_CYCLE_1) | instskip(SKIP_2) | instid1(SALU_CYCLE_1)
	s_add_u32 s20, s16, s4
	s_addc_u32 s21, s36, s5
	s_or_b32 s4, s33, 0x70
	s_ashr_i32 s5, s4, 4
	s_cmp_lt_i32 s4, s30
	s_cselect_b32 s4, s5, s3
	s_delay_alu instid0(SALU_CYCLE_1) | instskip(NEXT) | instid1(SALU_CYCLE_1)
	s_ashr_i32 s5, s4, 31
	s_lshl_b64 s[6:7], s[4:5], 2
	s_mov_b32 s4, 0
	s_add_u32 s24, s16, s6
	s_addc_u32 s25, s36, s7
	s_or_b32 s5, s33, 0x80
	s_mov_b32 s11, s4
	s_ashr_i32 s6, s5, 4
	s_cmp_lt_i32 s5, s30
	s_mov_b32 s5, s4
	s_cselect_b32 s8, s6, s3
	s_mov_b32 s6, s4
	s_ashr_i32 s9, s8, 31
	s_mov_b32 s7, s4
	s_lshl_b64 s[8:9], s[8:9], 2
	s_load_b32 s46, s[24:25], 0x0
	s_add_u32 s26, s16, s8
	s_addc_u32 s27, s36, s9
	s_or_b32 s9, s33, 0x90
	s_load_b32 s47, s[26:27], 0x0
	s_ashr_i32 s10, s9, 4
	s_cmp_lt_i32 s9, s30
	s_mov_b32 s8, s4
	s_cselect_b32 s38, s10, s3
	s_mov_b32 s9, s4
	s_ashr_i32 s39, s38, 31
	s_mov_b32 s10, s4
	s_lshl_b64 s[38:39], s[38:39], 2
	v_mov_b32_e32 v144, s11
	s_add_u32 s38, s16, s38
	s_addc_u32 s39, s36, s39
	s_or_b32 s40, s33, 0xa0
	v_mov_b32_e32 v143, s10
	s_ashr_i32 s41, s40, 4
	s_cmp_lt_i32 s40, s30
	v_mov_b32_e32 v142, s9
	s_cselect_b32 s40, s41, s3
	v_mov_b32_e32 v141, s8
	s_ashr_i32 s41, s40, 31
	v_dual_mov_b32 v140, s7 :: v_dual_mov_b32 v139, s6
	v_dual_mov_b32 v138, s5 :: v_dual_mov_b32 v137, s4
	s_lshl_b64 s[4:5], s[40:41], 2
	s_waitcnt lgkmcnt(0)
	s_mul_hi_i32 s7, s29, s17
	s_add_u32 s42, s16, s4
	s_addc_u32 s43, s36, s5
	s_or_b32 s4, s33, 0xb0
	s_mul_hi_i32 s5, s37, s17
	s_ashr_i32 s6, s4, 4
	s_cmp_lt_i32 s4, s30
	s_mul_i32 s4, s37, s17
	s_cselect_b32 s8, s6, s3
	s_mul_i32 s6, s29, s17
	s_ashr_i32 s9, s8, 31
	s_load_b32 s41, s[20:21], 0x0
	s_lshl_b64 s[8:9], s[8:9], 2
	s_load_b32 s40, s[38:39], 0x0
	s_add_u32 s44, s16, s8
	s_addc_u32 s45, s36, s9
	s_or_b32 s8, s33, 0xc0
	s_mul_hi_i32 s9, s28, s17
	s_ashr_i32 s10, s8, 4
	s_cmp_lt_i32 s8, s30
	s_mul_i32 s8, s28, s17
	s_cselect_b32 s28, s10, s3
	s_load_b32 s39, s[42:43], 0x0
	s_ashr_i32 s29, s28, 31
	s_mul_hi_i32 s21, s15, s17
	s_lshl_b64 s[28:29], s[28:29], 2
	s_mul_hi_i32 s27, s46, s17
	s_add_u32 s28, s16, s28
	s_addc_u32 s29, s36, s29
	s_or_b32 s37, s33, 0xd0
	s_mul_i32 s26, s46, s17
	s_ashr_i32 s20, s37, 4
	s_cmp_lt_i32 s37, s30
	s_mul_hi_i32 s11, s19, s17
	s_cselect_b32 s24, s20, s3
	s_mul_i32 s20, s15, s17
	s_ashr_i32 s25, s24, 31
	s_mul_i32 s10, s19, s17
	s_lshl_b64 s[24:25], s[24:25], 2
	s_mul_hi_i32 s19, s18, s17
	s_add_u32 s24, s16, s24
	s_addc_u32 s25, s36, s25
	s_or_b32 s42, s33, 0xe0
	s_clause 0x2
	s_load_b32 s38, s[44:45], 0x0
	s_load_b32 s37, s[28:29], 0x0
	;; [unrolled: 1-line block ×3, first 2 shown]
	s_ashr_i32 s43, s42, 4
	s_cmp_lt_i32 s42, s30
	s_mul_hi_i32 s29, s47, s17
	s_cselect_b32 s42, s43, s3
	s_mul_i32 s28, s47, s17
	s_ashr_i32 s43, s42, 31
	s_mul_i32 s18, s18, s17
	s_lshl_b64 s[42:43], s[42:43], 2
	s_waitcnt lgkmcnt(0)
	s_mul_hi_i32 s25, s41, s17
	s_add_u32 s42, s16, s42
	s_addc_u32 s43, s36, s43
	s_or_b32 s46, s33, 0xf0
	s_mul_i32 s24, s41, s17
	s_ashr_i32 s47, s46, 4
	s_cmp_lt_i32 s46, s30
	s_mul_hi_i32 s41, s40, s17
	s_cselect_b32 s46, s47, s3
	s_mul_i32 s40, s40, s17
	s_ashr_i32 s47, s46, 31
	s_mul_hi_i32 s51, s15, s17
	s_lshl_b64 s[46:47], s[46:47], 2
	s_mul_i32 s50, s15, s17
	s_add_u32 s46, s16, s46
	s_addc_u32 s47, s36, s47
	s_add_u32 s3, s22, s12
	s_addc_u32 s15, s23, s13
	v_add_co_u32 v195, s3, s3, v22
	s_delay_alu instid0(VALU_DEP_1) | instskip(SKIP_2) | instid1(VALU_DEP_2)
	v_add_co_ci_u32_e64 v196, null, s15, 0, s3
	s_lshl_b64 s[4:5], s[4:5], 1
	s_lshl_b64 s[6:7], s[6:7], 1
	v_add_co_u32 v17, vcc_lo, v195, s4
	s_delay_alu instid0(VALU_DEP_2)
	v_add_co_ci_u32_e32 v18, vcc_lo, s5, v196, vcc_lo
	v_add_co_u32 v19, vcc_lo, v195, s6
	s_lshl_b64 s[8:9], s[8:9], 1
	v_add_co_ci_u32_e32 v20, vcc_lo, s7, v196, vcc_lo
	v_add_co_u32 v21, vcc_lo, v195, s8
	s_lshl_b64 s[10:11], s[10:11], 1
	;; [unrolled: 3-line block ×8, first 2 shown]
	s_mul_hi_i32 s45, s39, s17
	s_mul_i32 s44, s39, s17
	v_add_co_ci_u32_e32 v50, vcc_lo, s25, v196, vcc_lo
	v_add_co_u32 v53, vcc_lo, v195, s26
	s_lshl_b64 s[28:29], s[44:45], 1
	s_mul_hi_i32 s39, s38, s17
	s_mul_i32 s38, s38, s17
	v_add_co_ci_u32_e32 v54, vcc_lo, s27, v196, vcc_lo
	v_add_co_u32 v183, vcc_lo, v195, s28
	s_mul_hi_i32 s49, s37, s17
	s_mul_i32 s48, s37, s17
	s_lshl_b64 s[36:37], s[38:39], 1
	v_add_co_ci_u32_e32 v184, vcc_lo, s29, v196, vcc_lo
	v_add_co_u32 v185, vcc_lo, v195, s36
	s_lshl_b64 s[38:39], s[48:49], 1
	s_clause 0x1
	s_load_b32 s3, s[42:43], 0x0
	s_load_b32 s15, s[46:47], 0x0
	v_add_co_ci_u32_e32 v186, vcc_lo, s37, v196, vcc_lo
	v_add_co_u32 v191, vcc_lo, v195, s38
	v_add_co_ci_u32_e32 v192, vcc_lo, s39, v196, vcc_lo
	s_clause 0x17
	global_load_b128 v[121:124], v[17:18], off
	global_load_b128 v[125:128], v[17:18], off offset:16
	global_load_b128 v[113:116], v[19:20], off
	global_load_b128 v[117:120], v[19:20], off offset:16
	;; [unrolled: 2-line block ×12, first 2 shown]
	s_lshl_b64 s[40:41], s[50:51], 1
	s_delay_alu instid0(SALU_CYCLE_1)
	v_add_co_u32 v193, vcc_lo, v195, s40
	v_add_co_ci_u32_e32 v194, vcc_lo, s41, v196, vcc_lo
	s_waitcnt lgkmcnt(0)
	s_mul_hi_i32 s5, s3, s17
	s_mul_i32 s4, s3, s17
	s_mul_hi_i32 s7, s15, s17
	s_lshl_b64 s[4:5], s[4:5], 1
	s_mul_i32 s6, s15, s17
	s_waitcnt vmcnt(38)
	v_wmma_f32_16x16x16_bf16 v[183:190], v[1:8], v[159:166], v[137:144]
	s_waitcnt vmcnt(36)
	v_wmma_f32_16x16x16_bf16 v[137:144], v[129:136], v[159:166], v[137:144]
	s_clause 0x1
	global_load_b128 v[1:4], v[191:192], off
	global_load_b128 v[5:8], v[191:192], off offset:16
	ds_load_b128 v[129:132], v197 offset:2048
	ds_load_b128 v[133:136], v197 offset:3072
	;; [unrolled: 1-line block ×4, first 2 shown]
	v_add_co_u32 v191, vcc_lo, v195, s4
	v_add_co_ci_u32_e32 v192, vcc_lo, s5, v196, vcc_lo
	s_lshl_b64 s[4:5], s[6:7], 1
	s_delay_alu instid0(SALU_CYCLE_1)
	v_add_co_u32 v195, vcc_lo, v195, s4
	v_add_co_ci_u32_e32 v196, vcc_lo, s5, v196, vcc_lo
	s_waitcnt vmcnt(36) lgkmcnt(2)
	v_wmma_f32_16x16x16_bf16 v[183:190], v[33:40], v[129:136], v[183:190]
	s_waitcnt vmcnt(34)
	v_wmma_f32_16x16x16_bf16 v[137:144], v[25:32], v[129:136], v[137:144]
	s_clause 0x3
	global_load_b128 v[25:28], v[193:194], off
	global_load_b128 v[29:32], v[193:194], off offset:16
	global_load_b128 v[33:36], v[191:192], off
	global_load_b128 v[37:40], v[191:192], off offset:16
	v_and_b32_e32 v129, 0xe0, v0
	v_mbcnt_lo_u32_b32 v191, -1, 0
	s_waitcnt vmcnt(36) lgkmcnt(0)
	v_wmma_f32_16x16x16_bf16 v[183:190], v[9:16], v[159:166], v[183:190]
	s_clause 0x1
	global_load_b128 v[9:12], v[195:196], off
	global_load_b128 v[13:16], v[195:196], off offset:16
	s_waitcnt vmcnt(36)
	v_wmma_f32_16x16x16_bf16 v[137:144], v[151:158], v[159:166], v[137:144]
	v_add_nc_u32_e32 v192, s33, v129
	ds_load_b128 v[129:132], v197 offset:6144
	ds_load_b128 v[133:136], v197 offset:7168
	v_xor_b32_e32 v151, 16, v191
	s_waitcnt vmcnt(0) lgkmcnt(0)
	s_barrier
	v_or_b32_e32 v152, v192, v146
	buffer_gl0_inv
	v_cmp_gt_i32_e32 vcc_lo, 32, v151
	v_or_b32_e32 v153, 2, v152
	v_or_b32_e32 v154, 4, v152
	;; [unrolled: 1-line block ×5, first 2 shown]
	v_cmp_gt_i32_e64 s3, s30, v153
	v_or_b32_e32 v158, 12, v152
	v_cmp_gt_i32_e64 s4, s30, v154
	v_cmp_gt_i32_e64 s5, s30, v155
	v_or_b32_e32 v159, 14, v152
	v_cmp_gt_i32_e64 s6, s30, v156
	v_wmma_f32_16x16x16_bf16 v[183:190], v[167:174], v[129:136], v[183:190]
	v_wmma_f32_16x16x16_bf16 v[137:144], v[175:182], v[129:136], v[137:144]
	v_cndmask_b32_e32 v151, v191, v151, vcc_lo
	v_cmp_gt_i32_e32 vcc_lo, s30, v152
	v_cmp_gt_i32_e64 s7, s30, v157
	v_dual_mul_f32 v135, s35, v184 :: v_dual_mul_f32 v136, s35, v183
	v_mul_f32_e32 v134, s35, v185
	v_dual_mul_f32 v168, s35, v144 :: v_dual_mul_f32 v133, s35, v186
	s_delay_alu instid0(VALU_DEP_3) | instskip(NEXT) | instid1(VALU_DEP_4)
	v_cndmask_b32_e64 v135, 0xff7fffff, v135, s3
	v_cndmask_b32_e32 v136, 0xff7fffff, v136, vcc_lo
	v_dual_mul_f32 v131, s35, v188 :: v_dual_mul_f32 v174, s35, v138
	v_mul_f32_e32 v132, s35, v187
	v_cndmask_b32_e64 v134, 0xff7fffff, v134, s4
	s_delay_alu instid0(VALU_DEP_4)
	v_max3_f32 v135, v136, 0xff7fffff, v135
	v_cmp_gt_i32_e64 s8, s30, v158
	v_lshlrev_b32_e32 v158, 2, v151
	v_cndmask_b32_e64 v133, 0xff7fffff, v133, s5
	v_or_b32_e32 v160, 16, v152
	v_or_b32_e32 v161, 18, v152
	v_dual_mul_f32 v129, s35, v190 :: v_dual_mul_f32 v172, s35, v140
	v_mul_f32_e32 v130, s35, v189
	v_cndmask_b32_e64 v132, 0xff7fffff, v132, s6
	v_cndmask_b32_e64 v131, 0xff7fffff, v131, s7
	v_max3_f32 v133, v135, v134, v133
	v_cmp_gt_i32_e64 s9, s30, v159
	v_or_b32_e32 v162, 20, v152
	v_or_b32_e32 v163, 22, v152
	v_mul_f32_e32 v175, s35, v137
	v_cndmask_b32_e64 v130, 0xff7fffff, v130, s8
	v_cndmask_b32_e64 v129, 0xff7fffff, v129, s9
	v_max3_f32 v131, v133, v132, v131
	v_cmp_gt_i32_e64 s10, s30, v160
	v_cmp_gt_i32_e64 s11, s30, v161
	v_or_b32_e32 v164, 24, v152
	v_or_b32_e32 v165, 26, v152
	v_mul_f32_e32 v173, s35, v139
	v_cndmask_b32_e64 v132, 0xff7fffff, v175, s10
	v_cndmask_b32_e64 v133, 0xff7fffff, v174, s11
	v_max3_f32 v129, v131, v130, v129
	v_cmp_gt_i32_e64 s12, s30, v162
	v_cmp_gt_i32_e64 s13, s30, v163
	v_or_b32_e32 v166, 28, v152
	v_or_b32_e32 v167, 30, v152
	v_dual_mul_f32 v170, s35, v142 :: v_dual_mul_f32 v171, s35, v141
	v_cndmask_b32_e64 v130, 0xff7fffff, v173, s12
	v_cndmask_b32_e64 v131, 0xff7fffff, v172, s13
	v_max3_f32 v129, v129, v132, v133
	v_cmp_gt_i32_e64 s15, s30, v164
	v_cmp_gt_i32_e64 s16, s30, v165
	v_mul_f32_e32 v169, s35, v143
	v_cmp_gt_i32_e64 s17, s30, v166
	v_max3_f32 v129, v129, v130, v131
	v_cndmask_b32_e64 v132, 0xff7fffff, v171, s15
	v_cndmask_b32_e64 v133, 0xff7fffff, v170, s16
	v_cmp_gt_i32_e64 s18, s30, v167
	v_cndmask_b32_e64 v130, 0xff7fffff, v169, s17
	s_delay_alu instid0(VALU_DEP_3) | instskip(NEXT) | instid1(VALU_DEP_3)
	v_max3_f32 v129, v129, v132, v133
	v_cndmask_b32_e64 v131, 0xff7fffff, v168, s18
	s_delay_alu instid0(VALU_DEP_1) | instskip(SKIP_3) | instid1(VALU_DEP_1)
	v_max3_f32 v129, v129, v130, v131
	ds_bpermute_b32 v130, v158, v129
	s_waitcnt lgkmcnt(0)
	v_max_f32_e32 v130, v130, v130
	v_max_f32_e32 v129, v129, v130
	s_delay_alu instid0(VALU_DEP_1)
	v_fma_f32 v130, s35, v183, -v129
	v_fma_f32 v132, s35, v185, -v129
	;; [unrolled: 1-line block ×5, first 2 shown]
	v_mul_f32_e32 v130, 0x3fb8aa3b, v130
	v_mul_f32_e32 v132, 0x3fb8aa3b, v132
	v_fma_f32 v135, s35, v189, -v129
	v_mul_f32_e32 v134, 0x3fb8aa3b, v134
	s_delay_alu instid0(VALU_DEP_4) | instskip(NEXT) | instid1(VALU_DEP_3)
	v_exp_f32_e32 v130, v130
	v_exp_f32_e32 v132, v132
	s_delay_alu instid0(VALU_DEP_1) | instskip(NEXT) | instid1(TRANS32_DEP_3)
	v_exp_f32_e32 v134, v134
	v_cndmask_b32_e32 v152, 0, v130, vcc_lo
	v_fma_f32 v130, s35, v188, -v129
	v_mul_f32_e32 v131, 0x3fb8aa3b, v131
	s_waitcnt_depctr 0xfff
	v_cndmask_b32_e64 v153, 0, v132, s4
	v_fma_f32 v132, s35, v190, -v129
	v_dual_mul_f32 v133, 0x3fb8aa3b, v133 :: v_dual_mul_f32 v130, 0x3fb8aa3b, v130
	v_exp_f32_e32 v131, v131
	v_cndmask_b32_e64 v155, 0, v134, s6
	s_delay_alu instid0(VALU_DEP_3) | instskip(NEXT) | instid1(VALU_DEP_3)
	v_mul_f32_e32 v132, 0x3fb8aa3b, v132
	v_exp_f32_e32 v133, v133
	v_exp_f32_e32 v130, v130
	v_fma_f32 v134, s35, v138, -v129
	s_delay_alu instid0(VALU_DEP_2) | instskip(SKIP_1) | instid1(VALU_DEP_2)
	v_exp_f32_e32 v132, v132
	v_cndmask_b32_e64 v151, 0, v131, s3
	v_dual_add_f32 v131, 0, v152 :: v_dual_mul_f32 v134, 0x3fb8aa3b, v134
	s_delay_alu instid0(TRANS32_DEP_3)
	v_cndmask_b32_e64 v154, 0, v133, s5
	s_waitcnt_depctr 0xfff
	v_cndmask_b32_e64 v156, 0, v130, s7
	v_fma_f32 v133, s35, v137, -v129
	v_add_f32_e32 v131, v131, v151
	v_exp_f32_e32 v134, v134
	v_cmp_gt_u32_e64 s3, 16, v150
	s_delay_alu instid0(VALU_DEP_2) | instskip(NEXT) | instid1(VALU_DEP_1)
	v_add_f32_e32 v131, v131, v153
	v_add_f32_e32 v131, v131, v154
	s_delay_alu instid0(VALU_DEP_1) | instskip(SKIP_1) | instid1(VALU_DEP_2)
	v_dual_mul_f32 v133, 0x3fb8aa3b, v133 :: v_dual_add_f32 v130, v131, v155
	v_fma_f32 v131, s35, v139, -v129
	v_exp_f32_e32 v133, v133
	v_fma_f32 v139, s35, v144, -v129
	s_delay_alu instid0(VALU_DEP_3) | instskip(NEXT) | instid1(VALU_DEP_1)
	v_dual_add_f32 v130, v130, v156 :: v_dual_mul_f32 v135, 0x3fb8aa3b, v135
	v_exp_f32_e32 v135, v135
	s_waitcnt_depctr 0xfff
	v_cndmask_b32_e64 v157, 0, v135, s8
	v_fma_f32 v135, s35, v140, -v129
	v_cndmask_b32_e64 v140, 0, v132, s9
	v_fma_f32 v132, s35, v141, -v129
	s_delay_alu instid0(VALU_DEP_4) | instskip(NEXT) | instid1(VALU_DEP_1)
	v_add_f32_e32 v130, v130, v157
	v_add_f32_e32 v130, v130, v140
	s_delay_alu instid0(VALU_DEP_3) | instskip(SKIP_4) | instid1(VALU_DEP_3)
	v_mul_f32_e32 v137, 0x3fb8aa3b, v132
	v_cndmask_b32_e64 v132, 0, v134, s11
	v_mul_f32_e32 v131, 0x3fb8aa3b, v131
	v_fma_f32 v134, s35, v143, -v129
	v_mul_f32_e32 v135, 0x3fb8aa3b, v135
	v_exp_f32_e32 v136, v131
	v_cndmask_b32_e64 v131, 0, v133, s10
	v_fma_f32 v133, s35, v142, -v129
	s_delay_alu instid0(VALU_DEP_2) | instskip(NEXT) | instid1(VALU_DEP_2)
	v_add_f32_e32 v130, v130, v131
	v_mul_f32_e32 v138, 0x3fb8aa3b, v133
	v_exp_f32_e32 v137, v137
	s_waitcnt_depctr 0xfff
	v_cndmask_b32_e64 v133, 0, v136, s12
	v_mul_f32_e32 v136, 0x3fb8aa3b, v134
	v_exp_f32_e32 v135, v135
	v_add_f32_e32 v130, v130, v132
	v_exp_f32_e32 v138, v138
	s_delay_alu instid0(VALU_DEP_2) | instskip(NEXT) | instid1(VALU_DEP_1)
	v_exp_f32_e32 v141, v136
	v_add_f32_e32 v130, v130, v133
	s_delay_alu instid0(TRANS32_DEP_3)
	v_cndmask_b32_e64 v134, 0, v135, s13
	v_cndmask_b32_e64 v135, 0, v137, s15
	v_mul_f32_e32 v137, 0x3fb8aa3b, v139
	s_waitcnt_depctr 0xfff
	v_cndmask_b32_e64 v136, 0, v138, s16
	v_add_f32_e32 v130, v130, v134
	v_exp_f32_e32 v138, v137
	v_cndmask_b32_e64 v137, 0, v141, s17
	s_delay_alu instid0(VALU_DEP_2) | instskip(NEXT) | instid1(VALU_DEP_1)
	v_add_f32_e32 v130, v130, v135
	v_add_f32_e32 v130, v130, v136
	s_waitcnt_depctr 0xfff
	v_cndmask_b32_e64 v138, 0, v138, s18
	v_add_f32_e32 v130, v130, v137
	s_delay_alu instid0(VALU_DEP_1)
	v_add_f32_e32 v130, v130, v138
	ds_bpermute_b32 v139, v158, v130
	s_and_saveexec_b32 s4, s3
	s_cbranch_execz .LBB482_12
; %bb.11:
	v_mul_u32_u24_e32 v141, 0x44, v149
	s_delay_alu instid0(VALU_DEP_1) | instskip(SKIP_1) | instid1(VALU_DEP_1)
	v_lshl_add_u32 v141, v148, 2, v141
	s_waitcnt lgkmcnt(0)
	v_dual_add_f32 v130, v130, v139 :: v_dual_add_nc_u32 v139, 0x4000, v141
	ds_store_2addr_b32 v139, v129, v130 offset1:136
.LBB482_12:
	s_or_b32 exec_lo, exec_lo, s4
	v_lshlrev_b32_e32 v129, 2, v148
	s_waitcnt lgkmcnt(0)
	s_barrier
	buffer_gl0_inv
	v_cmp_eq_u32_e64 s4, 1, v149
	v_add_nc_u32_e32 v139, 0x4000, v129
	ds_load_2addr_b32 v[141:142], v139 offset1:17
	ds_load_2addr_b32 v[143:144], v139 offset0:34 offset1:51
	ds_load_2addr_b32 v[158:159], v139 offset0:68 offset1:85
	;; [unrolled: 1-line block ×4, first 2 shown]
	s_waitcnt lgkmcnt(4)
	v_max3_f32 v129, v141, 0xff7fffff, v142
	s_waitcnt lgkmcnt(3)
	s_delay_alu instid0(VALU_DEP_1) | instskip(SKIP_1) | instid1(VALU_DEP_1)
	v_max3_f32 v129, v129, v143, v144
	s_waitcnt lgkmcnt(2)
	v_max3_f32 v129, v129, v158, v159
	s_waitcnt lgkmcnt(1)
	s_delay_alu instid0(VALU_DEP_1) | instskip(NEXT) | instid1(VALU_DEP_1)
	v_max3_f32 v129, v129, v160, v161
	v_sub_f32_e32 v158, v158, v129
	s_delay_alu instid0(VALU_DEP_1) | instskip(NEXT) | instid1(VALU_DEP_1)
	v_dual_sub_f32 v150, v142, v129 :: v_dual_mul_f32 v167, 0x3fb8aa3b, v158
	v_dual_sub_f32 v143, v143, v129 :: v_dual_mul_f32 v150, 0x3fb8aa3b, v150
	s_delay_alu instid0(VALU_DEP_1) | instskip(NEXT) | instid1(VALU_DEP_2)
	v_dual_sub_f32 v130, v141, v129 :: v_dual_mul_f32 v165, 0x3fb8aa3b, v143
	v_exp_f32_e32 v150, v150
	s_delay_alu instid0(VALU_DEP_1) | instskip(NEXT) | instid1(VALU_DEP_2)
	v_mul_f32_e32 v130, 0x3fb8aa3b, v130
	v_exp_f32_e32 v165, v165
	s_delay_alu instid0(VALU_DEP_1) | instskip(SKIP_1) | instid1(VALU_DEP_1)
	v_exp_f32_e32 v164, v130
	v_sub_f32_e32 v130, v144, v129
	v_mul_f32_e32 v166, 0x3fb8aa3b, v130
	s_waitcnt lgkmcnt(0)
	s_waitcnt_depctr 0xfff
	v_fma_f32 v130, v164, v162, 0
	v_sub_f32_e32 v162, v159, v129
	s_delay_alu instid0(VALU_DEP_2)
	v_fmac_f32_e32 v130, v150, v163
	ds_load_2addr_b32 v[141:142], v139 offset0:170 offset1:187
	ds_load_2addr_b32 v[143:144], v139 offset0:204 offset1:221
	;; [unrolled: 1-line block ×3, first 2 shown]
	v_sub_f32_e32 v139, v160, v129
	v_exp_f32_e32 v166, v166
	v_mul_f32_e32 v160, 0x3fb8aa3b, v162
	v_exp_f32_e32 v162, v167
	v_cndmask_b32_e64 v150, v164, v150, s4
	v_mul_f32_e32 v139, 0x3fb8aa3b, v139
	v_cmp_eq_u32_e64 s4, 2, v149
	s_waitcnt lgkmcnt(0)
	s_barrier
	buffer_gl0_inv
	v_exp_f32_e32 v139, v139
	v_cndmask_b32_e64 v150, v150, v165, s4
	v_cmp_eq_u32_e64 s4, 3, v149
	v_fmac_f32_e32 v130, v165, v141
	v_sub_f32_e32 v141, v161, v129
	v_exp_f32_e32 v160, v160
	s_delay_alu instid0(VALU_DEP_3) | instskip(SKIP_1) | instid1(VALU_DEP_3)
	v_cndmask_b32_e64 v150, v150, v166, s4
	v_cmp_eq_u32_e64 s4, 4, v149
	v_dual_fmac_f32 v130, v166, v142 :: v_dual_mul_f32 v141, 0x3fb8aa3b, v141
	s_delay_alu instid0(VALU_DEP_2) | instskip(SKIP_1) | instid1(VALU_DEP_3)
	v_cndmask_b32_e64 v150, v150, v162, s4
	v_cmp_eq_u32_e64 s4, 5, v149
	v_exp_f32_e32 v141, v141
	s_delay_alu instid0(VALU_DEP_3)
	v_fmac_f32_e32 v130, v162, v143
	s_delay_alu instid0(TRANS32_DEP_2) | instid1(VALU_DEP_2)
	v_cndmask_b32_e64 v150, v150, v160, s4
	s_delay_alu instid0(VALU_DEP_2) | instskip(NEXT) | instid1(VALU_DEP_1)
	v_fmac_f32_e32 v130, v160, v144
	v_fmac_f32_e32 v130, v139, v158
	s_waitcnt_depctr 0xfff
	v_fmac_f32_e32 v130, v141, v159
	s_delay_alu instid0(VALU_DEP_1) | instskip(NEXT) | instid1(VALU_DEP_1)
	v_add_f32_e32 v142, 0x358637bd, v130
	v_div_scale_f32 v143, null, v142, v142, 1.0
	v_div_scale_f32 v159, vcc_lo, 1.0, v142, 1.0
	s_delay_alu instid0(VALU_DEP_2) | instskip(SKIP_2) | instid1(VALU_DEP_1)
	v_rcp_f32_e32 v144, v143
	s_waitcnt_depctr 0xfff
	v_fma_f32 v158, -v143, v144, 1.0
	v_fmac_f32_e32 v144, v158, v144
	s_delay_alu instid0(VALU_DEP_1) | instskip(NEXT) | instid1(VALU_DEP_1)
	v_mul_f32_e32 v158, v159, v144
	v_fma_f32 v161, -v143, v158, v159
	s_delay_alu instid0(VALU_DEP_1) | instskip(NEXT) | instid1(VALU_DEP_1)
	v_fmac_f32_e32 v158, v161, v144
	v_fma_f32 v143, -v143, v158, v159
	s_delay_alu instid0(VALU_DEP_1) | instskip(SKIP_1) | instid1(VALU_DEP_2)
	v_div_fmas_f32 v143, v143, v144, v158
	v_cmp_eq_u32_e32 vcc_lo, 6, v149
	v_div_fixup_f32 v142, v143, v142, 1.0
	v_cndmask_b32_e32 v139, v150, v139, vcc_lo
	v_cmp_eq_u32_e32 vcc_lo, 7, v149
	s_delay_alu instid0(VALU_DEP_2) | instskip(NEXT) | instid1(VALU_DEP_1)
	v_cndmask_b32_e32 v139, v139, v141, vcc_lo
	v_mul_f32_e32 v139, v139, v142
	s_delay_alu instid0(VALU_DEP_1) | instskip(SKIP_4) | instid1(VALU_DEP_4)
	v_mul_f32_e32 v153, v139, v153
	v_mul_f32_e32 v142, v139, v152
	;; [unrolled: 1-line block ×5, first 2 shown]
	v_dual_mul_f32 v152, v139, v155 :: v_dual_and_b32 v141, 0x7f800000, v142
	v_mul_f32_e32 v154, v139, v154
	v_mul_f32_e32 v144, v139, v151
	s_delay_alu instid0(VALU_DEP_3) | instskip(SKIP_1) | instid1(SALU_CYCLE_1)
	v_cmp_ne_u32_e32 vcc_lo, 0x7f800000, v141
                                        ; implicit-def: $vgpr141
	s_and_saveexec_b32 s4, vcc_lo
	s_xor_b32 s4, exec_lo, s4
; %bb.13:
	v_bfe_u32 v141, v142, 16, 1
	s_delay_alu instid0(VALU_DEP_1)
	v_add3_u32 v141, v142, v141, 0x7fff
                                        ; implicit-def: $vgpr142
; %bb.14:
	s_and_not1_saveexec_b32 s4, s4
; %bb.15:
	v_and_b32_e32 v141, 0xffff, v142
	v_or_b32_e32 v151, 0x10000, v142
	s_delay_alu instid0(VALU_DEP_2) | instskip(NEXT) | instid1(VALU_DEP_2)
	v_cmp_eq_u32_e32 vcc_lo, 0, v141
	v_cndmask_b32_e32 v141, v151, v142, vcc_lo
; %bb.16:
	s_or_b32 exec_lo, exec_lo, s4
	v_and_b32_e32 v142, 0x7f800000, v144
	s_delay_alu instid0(VALU_DEP_1) | instskip(SKIP_1) | instid1(SALU_CYCLE_1)
	v_cmp_ne_u32_e32 vcc_lo, 0x7f800000, v142
                                        ; implicit-def: $vgpr142
	s_and_saveexec_b32 s4, vcc_lo
	s_xor_b32 s4, exec_lo, s4
; %bb.17:
	v_bfe_u32 v142, v144, 16, 1
	s_delay_alu instid0(VALU_DEP_1)
	v_add3_u32 v142, v144, v142, 0x7fff
                                        ; implicit-def: $vgpr144
; %bb.18:
	s_and_not1_saveexec_b32 s4, s4
; %bb.19:
	v_and_b32_e32 v142, 0xffff, v144
	v_or_b32_e32 v151, 0x10000, v144
	s_delay_alu instid0(VALU_DEP_2) | instskip(NEXT) | instid1(VALU_DEP_2)
	v_cmp_eq_u32_e32 vcc_lo, 0, v142
	v_cndmask_b32_e32 v142, v151, v144, vcc_lo
; %bb.20:
	s_or_b32 exec_lo, exec_lo, s4
	v_and_b32_e32 v144, 0x7f800000, v153
	s_delay_alu instid0(VALU_DEP_1) | instskip(SKIP_1) | instid1(SALU_CYCLE_1)
	v_cmp_ne_u32_e32 vcc_lo, 0x7f800000, v144
                                        ; implicit-def: $vgpr144
	s_and_saveexec_b32 s4, vcc_lo
	s_xor_b32 s4, exec_lo, s4
; %bb.21:
	v_bfe_u32 v144, v153, 16, 1
	s_delay_alu instid0(VALU_DEP_1)
	v_add3_u32 v144, v153, v144, 0x7fff
                                        ; implicit-def: $vgpr153
; %bb.22:
	s_and_not1_saveexec_b32 s4, s4
; %bb.23:
	v_and_b32_e32 v144, 0xffff, v153
	v_or_b32_e32 v151, 0x10000, v153
	s_delay_alu instid0(VALU_DEP_2) | instskip(NEXT) | instid1(VALU_DEP_2)
	v_cmp_eq_u32_e32 vcc_lo, 0, v144
	v_cndmask_b32_e32 v144, v151, v153, vcc_lo
; %bb.24:
	s_or_b32 exec_lo, exec_lo, s4
	v_and_b32_e32 v151, 0x7f800000, v154
	s_delay_alu instid0(VALU_DEP_1) | instskip(SKIP_1) | instid1(SALU_CYCLE_1)
	v_cmp_ne_u32_e32 vcc_lo, 0x7f800000, v151
                                        ; implicit-def: $vgpr151
	s_and_saveexec_b32 s4, vcc_lo
	s_xor_b32 s4, exec_lo, s4
; %bb.25:
	v_bfe_u32 v151, v154, 16, 1
	s_delay_alu instid0(VALU_DEP_1)
	v_add3_u32 v151, v154, v151, 0x7fff
                                        ; implicit-def: $vgpr154
; %bb.26:
	s_and_not1_saveexec_b32 s4, s4
; %bb.27:
	v_and_b32_e32 v151, 0xffff, v154
	v_or_b32_e32 v153, 0x10000, v154
	s_delay_alu instid0(VALU_DEP_2) | instskip(NEXT) | instid1(VALU_DEP_2)
	v_cmp_eq_u32_e32 vcc_lo, 0, v151
	v_cndmask_b32_e32 v151, v153, v154, vcc_lo
; %bb.28:
	s_or_b32 exec_lo, exec_lo, s4
	v_and_b32_e32 v153, 0x7f800000, v152
	s_delay_alu instid0(VALU_DEP_1) | instskip(SKIP_1) | instid1(SALU_CYCLE_1)
	v_cmp_ne_u32_e32 vcc_lo, 0x7f800000, v153
                                        ; implicit-def: $vgpr153
	s_and_saveexec_b32 s4, vcc_lo
	s_xor_b32 s4, exec_lo, s4
; %bb.29:
	v_bfe_u32 v153, v152, 16, 1
	s_delay_alu instid0(VALU_DEP_1)
	v_add3_u32 v153, v152, v153, 0x7fff
                                        ; implicit-def: $vgpr152
; %bb.30:
	s_and_not1_saveexec_b32 s4, s4
; %bb.31:
	v_and_b32_e32 v153, 0xffff, v152
	v_or_b32_e32 v154, 0x10000, v152
	s_delay_alu instid0(VALU_DEP_2) | instskip(NEXT) | instid1(VALU_DEP_2)
	v_cmp_eq_u32_e32 vcc_lo, 0, v153
	v_cndmask_b32_e32 v153, v154, v152, vcc_lo
; %bb.32:
	s_or_b32 exec_lo, exec_lo, s4
	v_and_b32_e32 v152, 0x7f800000, v150
	s_delay_alu instid0(VALU_DEP_1) | instskip(SKIP_1) | instid1(SALU_CYCLE_1)
	v_cmp_ne_u32_e32 vcc_lo, 0x7f800000, v152
                                        ; implicit-def: $vgpr152
	s_and_saveexec_b32 s4, vcc_lo
	s_xor_b32 s4, exec_lo, s4
; %bb.33:
	v_bfe_u32 v152, v150, 16, 1
	s_delay_alu instid0(VALU_DEP_1)
	v_add3_u32 v152, v150, v152, 0x7fff
                                        ; implicit-def: $vgpr150
; %bb.34:
	s_and_not1_saveexec_b32 s4, s4
; %bb.35:
	v_and_b32_e32 v152, 0xffff, v150
	v_or_b32_e32 v154, 0x10000, v150
	s_delay_alu instid0(VALU_DEP_2) | instskip(NEXT) | instid1(VALU_DEP_2)
	v_cmp_eq_u32_e32 vcc_lo, 0, v152
	v_cndmask_b32_e32 v152, v154, v150, vcc_lo
; %bb.36:
	s_or_b32 exec_lo, exec_lo, s4
	v_and_b32_e32 v150, 0x7f800000, v143
	s_delay_alu instid0(VALU_DEP_1) | instskip(SKIP_1) | instid1(SALU_CYCLE_1)
	v_cmp_ne_u32_e32 vcc_lo, 0x7f800000, v150
                                        ; implicit-def: $vgpr150
	s_and_saveexec_b32 s4, vcc_lo
	s_xor_b32 s4, exec_lo, s4
; %bb.37:
	v_bfe_u32 v150, v143, 16, 1
	s_delay_alu instid0(VALU_DEP_1)
	v_add3_u32 v150, v143, v150, 0x7fff
                                        ; implicit-def: $vgpr143
; %bb.38:
	s_and_not1_saveexec_b32 s4, s4
; %bb.39:
	v_and_b32_e32 v150, 0xffff, v143
	v_or_b32_e32 v154, 0x10000, v143
	s_delay_alu instid0(VALU_DEP_2) | instskip(NEXT) | instid1(VALU_DEP_2)
	v_cmp_eq_u32_e32 vcc_lo, 0, v150
	v_cndmask_b32_e32 v150, v154, v143, vcc_lo
; %bb.40:
	s_or_b32 exec_lo, exec_lo, s4
	v_and_b32_e32 v143, 0x7f800000, v140
	s_delay_alu instid0(VALU_DEP_1) | instskip(SKIP_1) | instid1(SALU_CYCLE_1)
	v_cmp_ne_u32_e32 vcc_lo, 0x7f800000, v143
                                        ; implicit-def: $vgpr143
	s_and_saveexec_b32 s4, vcc_lo
	s_xor_b32 s4, exec_lo, s4
; %bb.41:
	v_bfe_u32 v143, v140, 16, 1
	s_delay_alu instid0(VALU_DEP_1)
	v_add3_u32 v143, v140, v143, 0x7fff
                                        ; implicit-def: $vgpr140
; %bb.42:
	s_and_not1_saveexec_b32 s4, s4
; %bb.43:
	v_and_b32_e32 v143, 0xffff, v140
	v_or_b32_e32 v154, 0x10000, v140
	s_delay_alu instid0(VALU_DEP_2) | instskip(NEXT) | instid1(VALU_DEP_2)
	v_cmp_eq_u32_e32 vcc_lo, 0, v143
	v_cndmask_b32_e32 v143, v154, v140, vcc_lo
; %bb.44:
	s_or_b32 exec_lo, exec_lo, s4
	s_load_b64 s[36:37], s[0:1], 0x94
	v_dual_mul_f32 v136, v139, v136 :: v_dual_lshlrev_b32 v155, 4, v146
	s_delay_alu instid0(VALU_DEP_2)
	v_perm_b32 v154, v143, v150, 0x7060302
	v_dual_mul_f32 v143, v139, v131 :: v_dual_lshlrev_b32 v140, 6, v148
	v_dual_mul_f32 v135, v139, v135 :: v_dual_lshlrev_b32 v150, 11, v149
	v_perm_b32 v153, v152, v153, 0x7060302
	v_perm_b32 v152, v151, v144, 0x7060302
	;; [unrolled: 1-line block ×3, first 2 shown]
	s_delay_alu instid0(VALU_DEP_4)
	v_or3_b32 v131, v155, v150, v140
	v_mul_f32_e32 v138, v139, v138
	v_dual_mul_f32 v137, v139, v137 :: v_dual_and_b32 v144, 0x7f800000, v143
	v_mul_f32_e32 v141, v139, v134
	v_mul_f32_e32 v142, v139, v133
	;; [unrolled: 1-line block ×3, first 2 shown]
	s_mov_b32 s4, exec_lo
	ds_store_b128 v131, v[151:154]
                                        ; implicit-def: $vgpr132
	v_cmpx_ne_u32_e32 0x7f800000, v144
	s_xor_b32 s4, exec_lo, s4
; %bb.45:
	v_bfe_u32 v132, v143, 16, 1
	s_delay_alu instid0(VALU_DEP_1)
	v_add3_u32 v132, v143, v132, 0x7fff
                                        ; implicit-def: $vgpr143
; %bb.46:
	s_and_not1_saveexec_b32 s4, s4
; %bb.47:
	v_and_b32_e32 v132, 0xffff, v143
	v_or_b32_e32 v133, 0x10000, v143
	s_delay_alu instid0(VALU_DEP_2) | instskip(NEXT) | instid1(VALU_DEP_2)
	v_cmp_eq_u32_e32 vcc_lo, 0, v132
	v_cndmask_b32_e32 v132, v133, v143, vcc_lo
; %bb.48:
	s_or_b32 exec_lo, exec_lo, s4
	v_and_b32_e32 v133, 0x7f800000, v134
	s_delay_alu instid0(VALU_DEP_1) | instskip(SKIP_1) | instid1(SALU_CYCLE_1)
	v_cmp_ne_u32_e32 vcc_lo, 0x7f800000, v133
                                        ; implicit-def: $vgpr133
	s_and_saveexec_b32 s4, vcc_lo
	s_xor_b32 s4, exec_lo, s4
; %bb.49:
	v_bfe_u32 v133, v134, 16, 1
	s_delay_alu instid0(VALU_DEP_1)
	v_add3_u32 v133, v134, v133, 0x7fff
                                        ; implicit-def: $vgpr134
; %bb.50:
	s_and_not1_saveexec_b32 s4, s4
; %bb.51:
	v_and_b32_e32 v133, 0xffff, v134
	v_or_b32_e32 v139, 0x10000, v134
	s_delay_alu instid0(VALU_DEP_2) | instskip(NEXT) | instid1(VALU_DEP_2)
	v_cmp_eq_u32_e32 vcc_lo, 0, v133
	v_cndmask_b32_e32 v133, v139, v134, vcc_lo
; %bb.52:
	s_or_b32 exec_lo, exec_lo, s4
	v_and_b32_e32 v134, 0x7f800000, v142
	s_delay_alu instid0(VALU_DEP_1) | instskip(SKIP_1) | instid1(SALU_CYCLE_1)
	v_cmp_ne_u32_e32 vcc_lo, 0x7f800000, v134
                                        ; implicit-def: $vgpr134
	s_and_saveexec_b32 s4, vcc_lo
	s_xor_b32 s4, exec_lo, s4
; %bb.53:
	v_bfe_u32 v134, v142, 16, 1
	s_delay_alu instid0(VALU_DEP_1)
	v_add3_u32 v134, v142, v134, 0x7fff
                                        ; implicit-def: $vgpr142
; %bb.54:
	s_and_not1_saveexec_b32 s4, s4
; %bb.55:
	v_and_b32_e32 v134, 0xffff, v142
	v_or_b32_e32 v139, 0x10000, v142
	s_delay_alu instid0(VALU_DEP_2) | instskip(NEXT) | instid1(VALU_DEP_2)
	v_cmp_eq_u32_e32 vcc_lo, 0, v134
	v_cndmask_b32_e32 v134, v139, v142, vcc_lo
; %bb.56:
	s_or_b32 exec_lo, exec_lo, s4
	v_and_b32_e32 v139, 0x7f800000, v141
	s_delay_alu instid0(VALU_DEP_1) | instskip(SKIP_1) | instid1(SALU_CYCLE_1)
	v_cmp_ne_u32_e32 vcc_lo, 0x7f800000, v139
                                        ; implicit-def: $vgpr139
	s_and_saveexec_b32 s4, vcc_lo
	s_xor_b32 s4, exec_lo, s4
; %bb.57:
	v_bfe_u32 v139, v141, 16, 1
	s_delay_alu instid0(VALU_DEP_1)
	v_add3_u32 v139, v141, v139, 0x7fff
                                        ; implicit-def: $vgpr141
; %bb.58:
	s_and_not1_saveexec_b32 s4, s4
; %bb.59:
	v_and_b32_e32 v139, 0xffff, v141
	v_or_b32_e32 v142, 0x10000, v141
	s_delay_alu instid0(VALU_DEP_2) | instskip(NEXT) | instid1(VALU_DEP_2)
	v_cmp_eq_u32_e32 vcc_lo, 0, v139
	v_cndmask_b32_e32 v139, v142, v141, vcc_lo
; %bb.60:
	s_or_b32 exec_lo, exec_lo, s4
	v_and_b32_e32 v141, 0x7f800000, v135
	s_delay_alu instid0(VALU_DEP_1) | instskip(SKIP_1) | instid1(SALU_CYCLE_1)
	v_cmp_ne_u32_e32 vcc_lo, 0x7f800000, v141
                                        ; implicit-def: $vgpr141
	s_and_saveexec_b32 s4, vcc_lo
	s_xor_b32 s4, exec_lo, s4
; %bb.61:
	v_bfe_u32 v141, v135, 16, 1
	s_delay_alu instid0(VALU_DEP_1)
	v_add3_u32 v141, v135, v141, 0x7fff
                                        ; implicit-def: $vgpr135
; %bb.62:
	s_and_not1_saveexec_b32 s4, s4
; %bb.63:
	v_and_b32_e32 v141, 0xffff, v135
	v_or_b32_e32 v142, 0x10000, v135
	s_delay_alu instid0(VALU_DEP_2) | instskip(NEXT) | instid1(VALU_DEP_2)
	v_cmp_eq_u32_e32 vcc_lo, 0, v141
	v_cndmask_b32_e32 v141, v142, v135, vcc_lo
; %bb.64:
	s_or_b32 exec_lo, exec_lo, s4
	v_and_b32_e32 v135, 0x7f800000, v136
	s_delay_alu instid0(VALU_DEP_1) | instskip(SKIP_1) | instid1(SALU_CYCLE_1)
	v_cmp_ne_u32_e32 vcc_lo, 0x7f800000, v135
                                        ; implicit-def: $vgpr135
	s_and_saveexec_b32 s4, vcc_lo
	s_xor_b32 s4, exec_lo, s4
; %bb.65:
	v_bfe_u32 v135, v136, 16, 1
	s_delay_alu instid0(VALU_DEP_1)
	v_add3_u32 v135, v136, v135, 0x7fff
                                        ; implicit-def: $vgpr136
; %bb.66:
	s_and_not1_saveexec_b32 s4, s4
; %bb.67:
	v_and_b32_e32 v135, 0xffff, v136
	v_or_b32_e32 v142, 0x10000, v136
	s_delay_alu instid0(VALU_DEP_2) | instskip(NEXT) | instid1(VALU_DEP_2)
	v_cmp_eq_u32_e32 vcc_lo, 0, v135
	v_cndmask_b32_e32 v135, v142, v136, vcc_lo
; %bb.68:
	s_or_b32 exec_lo, exec_lo, s4
	v_and_b32_e32 v136, 0x7f800000, v137
	s_delay_alu instid0(VALU_DEP_1) | instskip(SKIP_1) | instid1(SALU_CYCLE_1)
	v_cmp_ne_u32_e32 vcc_lo, 0x7f800000, v136
                                        ; implicit-def: $vgpr136
	s_and_saveexec_b32 s4, vcc_lo
	s_xor_b32 s4, exec_lo, s4
; %bb.69:
	v_bfe_u32 v136, v137, 16, 1
	s_delay_alu instid0(VALU_DEP_1)
	v_add3_u32 v136, v137, v136, 0x7fff
                                        ; implicit-def: $vgpr137
; %bb.70:
	s_and_not1_saveexec_b32 s4, s4
; %bb.71:
	v_and_b32_e32 v136, 0xffff, v137
	v_or_b32_e32 v142, 0x10000, v137
	s_delay_alu instid0(VALU_DEP_2) | instskip(NEXT) | instid1(VALU_DEP_2)
	v_cmp_eq_u32_e32 vcc_lo, 0, v136
	v_cndmask_b32_e32 v136, v142, v137, vcc_lo
; %bb.72:
	s_or_b32 exec_lo, exec_lo, s4
	v_and_b32_e32 v137, 0x7f800000, v138
	s_delay_alu instid0(VALU_DEP_1) | instskip(SKIP_1) | instid1(SALU_CYCLE_1)
	v_cmp_ne_u32_e32 vcc_lo, 0x7f800000, v137
                                        ; implicit-def: $vgpr137
	s_and_saveexec_b32 s4, vcc_lo
	s_xor_b32 s4, exec_lo, s4
; %bb.73:
	v_bfe_u32 v137, v138, 16, 1
	s_delay_alu instid0(VALU_DEP_1)
	v_add3_u32 v137, v138, v137, 0x7fff
                                        ; implicit-def: $vgpr138
; %bb.74:
	s_and_not1_saveexec_b32 s4, s4
; %bb.75:
	v_and_b32_e32 v137, 0xffff, v138
	v_or_b32_e32 v142, 0x10000, v138
	s_delay_alu instid0(VALU_DEP_2) | instskip(NEXT) | instid1(VALU_DEP_2)
	v_cmp_eq_u32_e32 vcc_lo, 0, v137
	v_cndmask_b32_e32 v137, v142, v138, vcc_lo
; %bb.76:
	s_or_b32 exec_lo, exec_lo, s4
	s_delay_alu instid0(VALU_DEP_1)
	v_perm_b32 v136, v137, v136, 0x7060302
	v_perm_b32 v135, v135, v141, 0x7060302
	v_perm_b32 v134, v139, v134, 0x7060302
	v_perm_b32 v133, v133, v132, 0x7060302
	v_lshl_or_b32 v141, v149, 11, v140
	ds_store_b128 v131, v[133:136] offset:1024
	s_waitcnt lgkmcnt(0)
	s_barrier
	buffer_gl0_inv
	ds_load_b128 v[132:135], v141
	ds_load_b128 v[149:152], v141 offset:16
	s_waitcnt lgkmcnt(1)
	v_lshrrev_b32_e32 v136, 16, v132
	s_waitcnt lgkmcnt(0)
	v_lshrrev_b32_e32 v164, 16, v151
	v_lshlrev_b32_e32 v138, 2, v146
	v_lshrrev_b32_e32 v143, 16, v149
	v_lshrrev_b32_e32 v162, 16, v150
	;; [unrolled: 1-line block ×4, first 2 shown]
	v_or_b32_e32 v139, 1, v138
	v_lshrrev_b32_e32 v165, 16, v152
	v_lshrrev_b32_e32 v163, 16, v135
	s_delay_alu instid0(VALU_DEP_3)
	v_cmp_eq_u32_e64 s8, 1, v139
	v_cmp_eq_u32_e64 s7, 2, v139
	;; [unrolled: 1-line block ×4, first 2 shown]
	v_cmp_eq_u32_e32 vcc_lo, 5, v139
	v_cndmask_b32_e64 v155, v149, v143, s8
	v_cndmask_b32_e64 v154, v132, v136, s8
	v_cmp_eq_u32_e64 s5, 6, v139
	v_cmp_eq_u32_e64 s20, 7, v139
	s_delay_alu instid0(VALU_DEP_4) | instskip(NEXT) | instid1(VALU_DEP_4)
	v_cndmask_b32_e64 v155, v155, v150, s7
	v_cndmask_b32_e64 v154, v154, v133, s7
	s_delay_alu instid0(VALU_DEP_2) | instskip(NEXT) | instid1(VALU_DEP_2)
	v_cndmask_b32_e64 v155, v155, v162, s6
	v_cndmask_b32_e64 v154, v154, v144, s6
	s_delay_alu instid0(VALU_DEP_2) | instskip(NEXT) | instid1(VALU_DEP_2)
	v_cndmask_b32_e64 v155, v155, v151, s4
	v_cndmask_b32_e64 v154, v154, v134, s4
	s_delay_alu instid0(VALU_DEP_2)
	v_cndmask_b32_e32 v157, v155, v164, vcc_lo
	v_cmp_eq_u32_e64 s13, 1, v138
	v_cmp_eq_u32_e64 s12, 2, v138
	v_cmp_eq_u32_e64 s17, 3, v138
	v_or_b32_e32 v137, 2, v138
	v_cmp_eq_u32_e64 s18, 4, v138
	v_cndmask_b32_e64 v153, v149, v143, s13
	v_cndmask_b32_e64 v142, v132, v136, s13
	v_cmp_eq_u32_e64 s15, 5, v138
	v_cmp_eq_u32_e64 s9, 1, v137
	;; [unrolled: 1-line block ×3, first 2 shown]
	v_cndmask_b32_e64 v153, v153, v150, s12
	v_cndmask_b32_e64 v142, v142, v133, s12
	v_cmp_eq_u32_e64 s11, 2, v137
	v_cndmask_b32_e64 v156, v132, v136, s9
	v_cndmask_b32_e32 v154, v154, v161, vcc_lo
	v_cndmask_b32_e64 v153, v153, v162, s17
	v_cndmask_b32_e64 v142, v142, v144, s17
	v_cmp_eq_u32_e64 s10, 7, v138
	v_cndmask_b32_e64 v156, v156, v133, s11
	v_cmp_eq_u32_e64 s19, 3, v137
	v_cndmask_b32_e64 v153, v153, v151, s18
	v_cndmask_b32_e64 v142, v142, v134, s18
	;; [unrolled: 1-line block ×3, first 2 shown]
	v_cmp_eq_u32_e64 s21, 4, v137
	v_cndmask_b32_e64 v156, v156, v144, s19
	v_cndmask_b32_e64 v153, v153, v164, s15
	;; [unrolled: 1-line block ×4, first 2 shown]
	v_cmp_eq_u32_e64 s23, 5, v137
	v_cndmask_b32_e64 v159, v156, v134, s21
	v_cndmask_b32_e64 v153, v153, v152, s16
	;; [unrolled: 1-line block ×3, first 2 shown]
	v_cmp_eq_u32_e64 s26, 6, v137
	v_cmp_eq_u32_e64 s28, 7, v137
	v_cndmask_b32_e64 v169, v159, v161, s23
	v_cndmask_b32_e64 v167, v153, v165, s10
	;; [unrolled: 1-line block ×4, first 2 shown]
	v_or_b32_e32 v142, 3, v138
	s_delay_alu instid0(VALU_DEP_3)
	v_cndmask_b32_e64 v158, v153, v150, s11
	ds_load_b128 v[153:156], v141 offset:1024
	v_cmp_eq_u32_e64 s22, 1, v142
	v_cmp_eq_u32_e64 s24, 2, v142
	;; [unrolled: 1-line block ×3, first 2 shown]
	v_cndmask_b32_e64 v158, v158, v162, s19
	v_cmp_eq_u32_e64 s27, 4, v142
	v_cndmask_b32_e64 v132, v132, v136, s22
	v_cndmask_b32_e64 v136, v157, v152, s5
	;; [unrolled: 1-line block ×4, first 2 shown]
	ds_load_b128 v[157:160], v141 offset:1040
	v_cndmask_b32_e64 v132, v132, v133, s24
	v_cmp_eq_u32_e64 s29, 5, v142
	v_cndmask_b32_e64 v143, v143, v150, s24
	v_cmp_eq_u32_e64 s30, 6, v142
	v_cndmask_b32_e64 v133, v170, v164, s23
	v_cndmask_b32_e64 v132, v132, v144, s25
	;; [unrolled: 1-line block ×5, first 2 shown]
	s_waitcnt lgkmcnt(1)
	v_lshrrev_b32_e32 v149, 16, v153
	v_cndmask_b32_e64 v132, v132, v134, s27
	v_cndmask_b32_e64 v133, v133, v152, s26
	;; [unrolled: 1-line block ×3, first 2 shown]
	v_lshrrev_b32_e32 v151, 16, v154
	v_cndmask_b32_e64 v143, v153, v149, s13
	v_cndmask_b32_e64 v132, v132, v161, s29
	;; [unrolled: 1-line block ×5, first 2 shown]
	s_waitcnt lgkmcnt(0)
	v_lshrrev_b32_e32 v150, 16, v157
	v_cndmask_b32_e64 v143, v143, v154, s12
	v_cndmask_b32_e64 v132, v132, v135, s30
	;; [unrolled: 1-line block ×3, first 2 shown]
	v_lshrrev_b32_e32 v164, 16, v159
	v_cndmask_b32_e64 v162, v157, v150, s13
	v_cndmask_b32_e64 v135, v143, v151, s17
	;; [unrolled: 1-line block ×3, first 2 shown]
	v_lshrrev_b32_e32 v161, 16, v158
	v_cndmask_b32_e64 v133, v133, v165, s28
	v_cndmask_b32_e64 v152, v162, v158, s12
	v_cmp_eq_u32_e64 s12, 7, v142
	v_cndmask_b32_e64 v143, v143, v151, s6
	v_cndmask_b32_e64 v135, v135, v155, s18
	v_lshrrev_b32_e32 v162, 16, v155
	v_cndmask_b32_e64 v152, v152, v161, s17
	v_cndmask_b32_e64 v132, v132, v163, s12
	;; [unrolled: 1-line block ×6, first 2 shown]
	s_delay_alu instid0(VALU_DEP_4) | instskip(NEXT) | instid1(VALU_DEP_4)
	v_perm_b32 v135, v134, v132, 0x5040100
	v_cndmask_b32_e32 v132, v143, v162, vcc_lo
	s_delay_alu instid0(VALU_DEP_4)
	v_cndmask_b32_e64 v143, v163, v156, s16
	v_lshrrev_b32_e32 v163, 16, v156
	v_cndmask_b32_e64 v152, v152, v164, s15
	v_perm_b32 v134, v133, v144, 0x5040100
	v_cndmask_b32_e64 v132, v132, v156, s5
	v_perm_b32 v133, v136, v168, 0x5040100
	v_cndmask_b32_e64 v136, v143, v163, s10
	v_cndmask_b32_e64 v143, v152, v160, s16
	;; [unrolled: 1-line block ×13, first 2 shown]
	v_lshrrev_b32_e32 v144, 16, v160
	v_cndmask_b32_e64 v132, v132, v151, s19
	v_cndmask_b32_e64 v149, v149, v151, s25
	;; [unrolled: 1-line block ×14, first 2 shown]
	v_cndmask_b32_e32 v150, v150, v164, vcc_lo
	v_cndmask_b32_e64 v132, v132, v156, s26
	v_cndmask_b32_e64 v149, v149, v156, s30
	;; [unrolled: 1-line block ×11, first 2 shown]
	v_perm_b32 v132, v167, v166, 0x5040100
	v_perm_b32 v152, v151, v149, 0x5040100
	;; [unrolled: 1-line block ×5, first 2 shown]
	s_mul_i32 s9, s37, 5
	s_mov_b32 s4, exec_lo
	ds_store_b128 v131, v[132:135]
	ds_store_b128 v131, v[149:152] offset:1024
	v_cmpx_gt_u32_e32 5, v0
	s_cbranch_execz .LBB482_78
; %bb.77:
	s_mul_i32 s5, s9, s34
	s_load_b128 s[16:19], s[0:1], 0x58
	v_add3_u32 v133, s5, s31, v148
	s_delay_alu instid0(VALU_DEP_1) | instskip(NEXT) | instid1(VALU_DEP_1)
	v_mad_u64_u32 v[131:132], null, v133, s36, s[14:15]
	v_ashrrev_i32_e32 v132, 31, v131
	s_delay_alu instid0(VALU_DEP_1) | instskip(SKIP_1) | instid1(VALU_DEP_1)
	v_lshlrev_b64 v[131:132], 2, v[131:132]
	s_waitcnt lgkmcnt(0)
	v_add_co_u32 v133, vcc_lo, s18, v131
	s_delay_alu instid0(VALU_DEP_2)
	v_add_co_ci_u32_e32 v134, vcc_lo, s19, v132, vcc_lo
	v_add_co_u32 v131, vcc_lo, s16, v131
	v_add_co_ci_u32_e32 v132, vcc_lo, s17, v132, vcc_lo
	global_store_b32 v[133:134], v129, off
	global_store_b32 v[131:132], v130, off
.LBB482_78:
	s_or_b32 exec_lo, exec_lo, s4
	s_waitcnt lgkmcnt(0)
	s_waitcnt_vscnt null, 0x0
	s_barrier
	buffer_gl0_inv
	ds_load_b128 v[148:151], v140
	ds_load_b128 v[152:155], v140 offset:16
	ds_load_b128 v[160:163], v140 offset:1040
	;; [unrolled: 1-line block ×3, first 2 shown]
	v_mov_b32_e32 v129, 0
	ds_load_b128 v[168:171], v140 offset:2064
	ds_load_b128 v[164:167], v140 offset:2048
	;; [unrolled: 1-line block ×6, first 2 shown]
	v_mov_b32_e32 v130, v129
	v_mov_b32_e32 v131, v129
	;; [unrolled: 1-line block ×7, first 2 shown]
	s_waitcnt lgkmcnt(8)
	s_delay_alu instid0(VALU_DEP_1)
	v_wmma_f32_16x16x16_bf16 v[129:136], v[121:128], v[148:155], v[129:136]
	ds_load_b128 v[125:128], v140 offset:5136
	ds_load_b128 v[121:124], v140 offset:5120
	s_waitcnt lgkmcnt(8)
	v_wmma_f32_16x16x16_bf16 v[129:136], v[113:120], v[156:163], v[129:136]
	ds_load_b128 v[117:120], v140 offset:6160
	ds_load_b128 v[113:116], v140 offset:6144
	s_waitcnt lgkmcnt(8)
	;; [unrolled: 4-line block ×8, first 2 shown]
	v_wmma_f32_16x16x16_bf16 v[129:136], v[65:72], v[97:104], v[129:136]
	s_waitcnt lgkmcnt(6)
	s_delay_alu instid0(VALU_DEP_1)
	v_wmma_f32_16x16x16_bf16 v[129:136], v[49:56], v[89:96], v[129:136]
	ds_load_b128 v[53:56], v140 offset:13328
	ds_load_b128 v[49:52], v140 offset:13312
	s_waitcnt lgkmcnt(6)
	v_wmma_f32_16x16x16_bf16 v[129:136], v[41:48], v[81:88], v[129:136]
	ds_load_b128 v[45:48], v140 offset:14352
	ds_load_b128 v[41:44], v140 offset:14336
	s_waitcnt lgkmcnt(6)
	;; [unrolled: 4-line block ×3, first 2 shown]
	v_wmma_f32_16x16x16_bf16 v[129:136], v[1:8], v[57:64], v[129:136]
	s_waitcnt lgkmcnt(4)
	s_delay_alu instid0(VALU_DEP_1) | instskip(SKIP_1) | instid1(VALU_DEP_1)
	v_wmma_f32_16x16x16_bf16 v[129:136], v[25:32], v[49:56], v[129:136]
	s_waitcnt lgkmcnt(2)
	v_wmma_f32_16x16x16_bf16 v[129:136], v[33:40], v[41:48], v[129:136]
	s_waitcnt lgkmcnt(0)
	s_delay_alu instid0(VALU_DEP_1) | instskip(NEXT) | instid1(VALU_DEP_1)
	v_wmma_f32_16x16x16_bf16 v[129:136], v[9:16], v[17:24], v[129:136]
	v_and_b32_e32 v1, 0x7f800000, v129
	s_delay_alu instid0(VALU_DEP_1) | instskip(SKIP_1) | instid1(SALU_CYCLE_1)
	v_cmp_ne_u32_e32 vcc_lo, 0x7f800000, v1
                                        ; implicit-def: $vgpr1
	s_and_saveexec_b32 s4, vcc_lo
	s_xor_b32 s4, exec_lo, s4
; %bb.79:
	v_bfe_u32 v1, v129, 16, 1
	s_delay_alu instid0(VALU_DEP_1)
	v_add3_u32 v1, v129, v1, 0x7fff
; %bb.80:
	s_and_not1_saveexec_b32 s4, s4
; %bb.81:
	v_and_b32_e32 v1, 0xffff, v129
	v_or_b32_e32 v2, 0x10000, v129
	s_delay_alu instid0(VALU_DEP_2) | instskip(NEXT) | instid1(VALU_DEP_2)
	v_cmp_eq_u32_e32 vcc_lo, 0, v1
	v_cndmask_b32_e32 v1, v2, v129, vcc_lo
; %bb.82:
	s_or_b32 exec_lo, exec_lo, s4
	v_and_b32_e32 v2, 0x7f800000, v130
	s_delay_alu instid0(VALU_DEP_1) | instskip(SKIP_1) | instid1(SALU_CYCLE_1)
	v_cmp_ne_u32_e32 vcc_lo, 0x7f800000, v2
                                        ; implicit-def: $vgpr2
	s_and_saveexec_b32 s4, vcc_lo
	s_xor_b32 s4, exec_lo, s4
; %bb.83:
	v_bfe_u32 v2, v130, 16, 1
	s_delay_alu instid0(VALU_DEP_1)
	v_add3_u32 v2, v130, v2, 0x7fff
; %bb.84:
	s_and_not1_saveexec_b32 s4, s4
; %bb.85:
	v_and_b32_e32 v2, 0xffff, v130
	v_or_b32_e32 v3, 0x10000, v130
	s_delay_alu instid0(VALU_DEP_2) | instskip(NEXT) | instid1(VALU_DEP_2)
	v_cmp_eq_u32_e32 vcc_lo, 0, v2
	v_cndmask_b32_e32 v2, v3, v130, vcc_lo
; %bb.86:
	s_or_b32 exec_lo, exec_lo, s4
	v_and_b32_e32 v3, 0x7f800000, v131
	s_delay_alu instid0(VALU_DEP_1) | instskip(SKIP_1) | instid1(SALU_CYCLE_1)
	v_cmp_ne_u32_e32 vcc_lo, 0x7f800000, v3
                                        ; implicit-def: $vgpr3
	s_and_saveexec_b32 s4, vcc_lo
	s_xor_b32 s4, exec_lo, s4
; %bb.87:
	v_bfe_u32 v3, v131, 16, 1
	s_delay_alu instid0(VALU_DEP_1)
	v_add3_u32 v3, v131, v3, 0x7fff
; %bb.88:
	s_and_not1_saveexec_b32 s4, s4
; %bb.89:
	v_and_b32_e32 v3, 0xffff, v131
	v_or_b32_e32 v4, 0x10000, v131
	s_delay_alu instid0(VALU_DEP_2) | instskip(NEXT) | instid1(VALU_DEP_2)
	v_cmp_eq_u32_e32 vcc_lo, 0, v3
	v_cndmask_b32_e32 v3, v4, v131, vcc_lo
; %bb.90:
	s_or_b32 exec_lo, exec_lo, s4
	v_and_b32_e32 v4, 0x7f800000, v132
	s_delay_alu instid0(VALU_DEP_1) | instskip(SKIP_1) | instid1(SALU_CYCLE_1)
	v_cmp_ne_u32_e32 vcc_lo, 0x7f800000, v4
                                        ; implicit-def: $vgpr4
	s_and_saveexec_b32 s4, vcc_lo
	s_xor_b32 s4, exec_lo, s4
; %bb.91:
	v_bfe_u32 v4, v132, 16, 1
	s_delay_alu instid0(VALU_DEP_1)
	v_add3_u32 v4, v132, v4, 0x7fff
; %bb.92:
	s_and_not1_saveexec_b32 s4, s4
; %bb.93:
	v_and_b32_e32 v4, 0xffff, v132
	v_or_b32_e32 v5, 0x10000, v132
	s_delay_alu instid0(VALU_DEP_2) | instskip(NEXT) | instid1(VALU_DEP_2)
	v_cmp_eq_u32_e32 vcc_lo, 0, v4
	v_cndmask_b32_e32 v4, v5, v132, vcc_lo
; %bb.94:
	s_or_b32 exec_lo, exec_lo, s4
	v_and_b32_e32 v5, 0x7f800000, v133
	s_delay_alu instid0(VALU_DEP_1) | instskip(SKIP_1) | instid1(SALU_CYCLE_1)
	v_cmp_ne_u32_e32 vcc_lo, 0x7f800000, v5
                                        ; implicit-def: $vgpr5
	s_and_saveexec_b32 s4, vcc_lo
	s_xor_b32 s4, exec_lo, s4
; %bb.95:
	v_bfe_u32 v5, v133, 16, 1
	s_delay_alu instid0(VALU_DEP_1)
	v_add3_u32 v5, v133, v5, 0x7fff
; %bb.96:
	s_and_not1_saveexec_b32 s4, s4
; %bb.97:
	v_and_b32_e32 v5, 0xffff, v133
	v_or_b32_e32 v6, 0x10000, v133
	s_delay_alu instid0(VALU_DEP_2) | instskip(NEXT) | instid1(VALU_DEP_2)
	v_cmp_eq_u32_e32 vcc_lo, 0, v5
	v_cndmask_b32_e32 v5, v6, v133, vcc_lo
; %bb.98:
	s_or_b32 exec_lo, exec_lo, s4
	v_and_b32_e32 v6, 0x7f800000, v134
	s_delay_alu instid0(VALU_DEP_1) | instskip(SKIP_1) | instid1(SALU_CYCLE_1)
	v_cmp_ne_u32_e32 vcc_lo, 0x7f800000, v6
                                        ; implicit-def: $vgpr6
	s_and_saveexec_b32 s4, vcc_lo
	s_xor_b32 s4, exec_lo, s4
; %bb.99:
	v_bfe_u32 v6, v134, 16, 1
	s_delay_alu instid0(VALU_DEP_1)
	v_add3_u32 v6, v134, v6, 0x7fff
; %bb.100:
	s_and_not1_saveexec_b32 s4, s4
; %bb.101:
	v_and_b32_e32 v6, 0xffff, v134
	v_or_b32_e32 v7, 0x10000, v134
	s_delay_alu instid0(VALU_DEP_2) | instskip(NEXT) | instid1(VALU_DEP_2)
	v_cmp_eq_u32_e32 vcc_lo, 0, v6
	v_cndmask_b32_e32 v6, v7, v134, vcc_lo
; %bb.102:
	s_or_b32 exec_lo, exec_lo, s4
	v_and_b32_e32 v7, 0x7f800000, v135
	s_delay_alu instid0(VALU_DEP_1) | instskip(SKIP_1) | instid1(SALU_CYCLE_1)
	v_cmp_ne_u32_e32 vcc_lo, 0x7f800000, v7
                                        ; implicit-def: $vgpr7
	s_and_saveexec_b32 s4, vcc_lo
	s_xor_b32 s4, exec_lo, s4
; %bb.103:
	v_bfe_u32 v7, v135, 16, 1
	s_delay_alu instid0(VALU_DEP_1)
	v_add3_u32 v7, v135, v7, 0x7fff
; %bb.104:
	s_and_not1_saveexec_b32 s4, s4
; %bb.105:
	v_and_b32_e32 v7, 0xffff, v135
	v_or_b32_e32 v8, 0x10000, v135
	s_delay_alu instid0(VALU_DEP_2) | instskip(NEXT) | instid1(VALU_DEP_2)
	v_cmp_eq_u32_e32 vcc_lo, 0, v7
	v_cndmask_b32_e32 v7, v8, v135, vcc_lo
; %bb.106:
	s_or_b32 exec_lo, exec_lo, s4
	v_and_b32_e32 v8, 0x7f800000, v136
	s_delay_alu instid0(VALU_DEP_1) | instskip(SKIP_1) | instid1(SALU_CYCLE_1)
	v_cmp_ne_u32_e32 vcc_lo, 0x7f800000, v8
                                        ; implicit-def: $vgpr8
	s_and_saveexec_b32 s4, vcc_lo
	s_xor_b32 s4, exec_lo, s4
; %bb.107:
	v_bfe_u32 v8, v136, 16, 1
	s_delay_alu instid0(VALU_DEP_1)
	v_add3_u32 v8, v136, v8, 0x7fff
                                        ; implicit-def: $vgpr129_vgpr130_vgpr131_vgpr132_vgpr133_vgpr134_vgpr135_vgpr136
; %bb.108:
	s_and_not1_saveexec_b32 s4, s4
; %bb.109:
	v_and_b32_e32 v8, 0xffff, v136
	v_or_b32_e32 v9, 0x10000, v136
	s_delay_alu instid0(VALU_DEP_2) | instskip(NEXT) | instid1(VALU_DEP_2)
	v_cmp_eq_u32_e32 vcc_lo, 0, v8
	v_cndmask_b32_e32 v8, v9, v136, vcc_lo
; %bb.110:
	s_or_b32 exec_lo, exec_lo, s4
	s_delay_alu instid0(VALU_DEP_1)
	v_perm_b32 v7, v8, v7, 0x7060302
	v_perm_b32 v6, v6, v5, 0x7060302
	;; [unrolled: 1-line block ×4, first 2 shown]
	v_lshl_or_b32 v9, v146, 4, v141
	s_barrier
	buffer_gl0_inv
	v_cmp_eq_u32_e32 vcc_lo, 1, v138
	ds_store_b128 v9, v[4:7]
	s_waitcnt lgkmcnt(0)
	s_barrier
	buffer_gl0_inv
	ds_load_b128 v[1:4], v141
	ds_load_b128 v[5:8], v141 offset:16
	v_cmp_eq_u32_e64 s5, 2, v138
	v_cmp_eq_u32_e64 s4, 1, v139
	;; [unrolled: 1-line block ×5, first 2 shown]
	s_waitcnt lgkmcnt(1)
	v_lshrrev_b32_e32 v10, 16, v1
	s_waitcnt lgkmcnt(0)
	v_lshrrev_b32_e32 v14, 16, v5
	v_lshrrev_b32_e32 v15, 16, v6
	;; [unrolled: 1-line block ×4, first 2 shown]
	v_cndmask_b32_e64 v20, v1, v10, s4
	v_cndmask_b32_e32 v19, v5, v14, vcc_lo
	v_cndmask_b32_e64 v21, v5, v14, s4
	v_lshrrev_b32_e32 v16, 16, v7
	v_cmp_eq_u32_e64 s4, 1, v137
	v_lshrrev_b32_e32 v13, 16, v4
	v_cndmask_b32_e64 v19, v19, v6, s5
	v_lshrrev_b32_e32 v17, 16, v8
	s_delay_alu instid0(VALU_DEP_4) | instskip(SKIP_1) | instid1(VALU_DEP_4)
	v_cndmask_b32_e64 v22, v1, v10, s4
	v_cndmask_b32_e64 v23, v5, v14, s4
	;; [unrolled: 1-line block ×3, first 2 shown]
	v_cndmask_b32_e32 v18, v1, v10, vcc_lo
	v_cmp_eq_u32_e32 vcc_lo, 2, v139
	v_cmp_eq_u32_e64 s4, 2, v142
	v_cndmask_b32_e64 v22, v22, v2, s8
	v_cndmask_b32_e32 v20, v20, v2, vcc_lo
	v_cndmask_b32_e32 v21, v21, v6, vcc_lo
	v_cmp_eq_u32_e32 vcc_lo, 4, v138
	v_cndmask_b32_e32 v19, v19, v7, vcc_lo
	v_cndmask_b32_e64 v18, v18, v2, s5
	v_cmp_eq_u32_e64 s5, 3, v139
	s_delay_alu instid0(VALU_DEP_2) | instskip(NEXT) | instid1(VALU_DEP_2)
	v_cndmask_b32_e64 v18, v18, v11, s6
	v_cndmask_b32_e64 v21, v21, v15, s5
	v_cmp_eq_u32_e64 s6, 5, v138
	s_delay_alu instid0(VALU_DEP_3) | instskip(SKIP_1) | instid1(VALU_DEP_3)
	v_cndmask_b32_e32 v18, v18, v3, vcc_lo
	v_cmp_eq_u32_e32 vcc_lo, 4, v139
	v_cndmask_b32_e64 v19, v19, v16, s6
	s_delay_alu instid0(VALU_DEP_3) | instskip(SKIP_4) | instid1(VALU_DEP_3)
	v_cndmask_b32_e64 v18, v18, v12, s6
	v_cndmask_b32_e32 v21, v21, v7, vcc_lo
	v_cndmask_b32_e64 v20, v20, v11, s5
	v_cmp_eq_u32_e64 s5, 5, v139
	v_cmp_eq_u32_e64 s6, 6, v138
	v_cndmask_b32_e32 v20, v20, v3, vcc_lo
	s_delay_alu instid0(VALU_DEP_3) | instskip(SKIP_1) | instid1(VALU_DEP_4)
	v_cndmask_b32_e64 v21, v21, v16, s5
	v_cmp_eq_u32_e32 vcc_lo, 6, v139
	v_cndmask_b32_e64 v18, v18, v4, s6
	v_cndmask_b32_e64 v19, v19, v8, s6
	;; [unrolled: 1-line block ×3, first 2 shown]
	v_cmp_eq_u32_e64 s5, 1, v142
	v_cmp_eq_u32_e64 s6, 7, v138
	s_delay_alu instid0(VALU_DEP_3) | instskip(NEXT) | instid1(VALU_DEP_3)
	v_cndmask_b32_e32 v20, v20, v4, vcc_lo
	v_cndmask_b32_e64 v1, v1, v10, s5
	v_cndmask_b32_e64 v5, v5, v14, s5
	v_cmp_eq_u32_e64 s5, 3, v137
	v_cndmask_b32_e64 v14, v23, v6, s8
	v_cmp_eq_u32_e64 s8, 3, v142
	v_cndmask_b32_e64 v1, v1, v2, s4
	v_cndmask_b32_e64 v2, v5, v6, s4
	;; [unrolled: 1-line block ×3, first 2 shown]
	v_cmp_eq_u32_e64 s4, 4, v137
	v_cndmask_b32_e64 v6, v14, v15, s5
	v_cndmask_b32_e64 v1, v1, v11, s8
	v_cmp_eq_u32_e64 s5, 4, v142
	v_cndmask_b32_e64 v2, v2, v15, s8
	v_cndmask_b32_e64 v5, v10, v3, s4
	v_cmp_eq_u32_e64 s8, 5, v137
	v_cndmask_b32_e64 v6, v6, v7, s4
	v_cndmask_b32_e64 v1, v1, v3, s5
	v_cndmask_b32_e64 v2, v2, v7, s5
	v_cmp_eq_u32_e64 s4, 5, v142
	v_cndmask_b32_e64 v5, v5, v12, s8
	v_cmp_eq_u32_e64 s5, 6, v137
	;; [unrolled: 2-line block ×3, first 2 shown]
	v_cndmask_b32_e64 v1, v1, v12, s4
	v_cndmask_b32_e64 v2, v2, v16, s4
	;; [unrolled: 1-line block ×4, first 2 shown]
	v_cmp_eq_u32_e64 s4, 7, v142
	v_cndmask_b32_e64 v1, v1, v4, s8
	v_cndmask_b32_e64 v2, v2, v8, s8
	v_cmp_eq_u32_e64 s5, 7, v137
	v_cndmask_b32_e32 v4, v21, v8, vcc_lo
	v_cndmask_b32_e64 v18, v18, v13, s6
	v_cndmask_b32_e64 v20, v20, v13, s7
	;; [unrolled: 1-line block ×8, first 2 shown]
	v_cmp_gt_u32_e32 vcc_lo, 32, v0
	v_perm_b32 v4, v2, v1, 0x5040100
	v_perm_b32 v3, v3, v5, 0x5040100
	;; [unrolled: 1-line block ×4, first 2 shown]
	s_and_b32 s2, vcc_lo, s2
	ds_store_b128 v9, v[1:4]
	s_waitcnt lgkmcnt(0)
	s_barrier
	buffer_gl0_inv
	s_and_saveexec_b32 s4, s2
	s_cbranch_execz .LBB482_2
; %bb.111:
	s_load_b64 s[4:5], s[0:1], 0x68
	v_lshlrev_b32_e32 v0, 10, v0
	v_add_nc_u32_e32 v2, s31, v146
	v_lshlrev_b32_e32 v3, 4, v147
	s_lshl_b32 s0, s36, 6
	s_delay_alu instid0(SALU_CYCLE_1) | instskip(NEXT) | instid1(VALU_DEP_2)
	s_mul_i32 s1, s0, s34
	v_mul_lo_u32 v1, v2, s0
	s_delay_alu instid0(VALU_DEP_2) | instskip(SKIP_2) | instid1(SALU_CYCLE_1)
	v_and_or_b32 v0, 0x3800, v0, v3
	v_add_nc_u32_e32 v2, 2, v2
	s_mul_i32 s6, s1, s9
	s_ashr_i32 s7, s6, 31
	s_delay_alu instid0(VALU_DEP_2)
	v_lshl_or_b32 v7, v146, 6, v0
	s_lshl_b64 s[6:7], s[6:7], 1
	v_mul_lo_u32 v11, v2, s0
	v_ashrrev_i32_e32 v2, 31, v1
	ds_load_b128 v[3:6], v7
	ds_load_b128 v[7:10], v7 offset:128
	s_waitcnt lgkmcnt(0)
	s_add_u32 s1, s4, s6
	s_addc_u32 s2, s5, s7
	s_lshl_b32 s4, s14, 6
	v_ashrrev_i32_e32 v12, 31, v11
	s_ashr_i32 s5, s4, 31
	v_lshlrev_b64 v[13:14], 1, v[1:2]
	s_lshl_b64 s[4:5], s[4:5], 1
	s_delay_alu instid0(SALU_CYCLE_1) | instskip(SKIP_2) | instid1(VALU_DEP_1)
	s_add_u32 s1, s1, s4
	s_addc_u32 s2, s2, s5
	v_add_co_u32 v1, s1, s1, v145
	v_add_co_ci_u32_e64 v2, null, s2, 0, s1
	v_lshlrev_b64 v[11:12], 1, v[11:12]
	s_delay_alu instid0(VALU_DEP_3) | instskip(NEXT) | instid1(VALU_DEP_3)
	v_add_co_u32 v13, vcc_lo, v1, v13
	v_add_co_ci_u32_e32 v14, vcc_lo, v2, v14, vcc_lo
	s_delay_alu instid0(VALU_DEP_3) | instskip(NEXT) | instid1(VALU_DEP_4)
	v_add_co_u32 v11, vcc_lo, v1, v11
	v_add_co_ci_u32_e32 v12, vcc_lo, v2, v12, vcc_lo
	s_clause 0x1
	global_store_b128 v[13:14], v[3:6], off
	global_store_b128 v[11:12], v[7:10], off
	s_and_b32 exec_lo, exec_lo, s3
	s_cbranch_execz .LBB482_2
; %bb.112:
	ds_load_b128 v[3:6], v0 offset:256
	s_add_i32 s1, s31, 4
	s_delay_alu instid0(SALU_CYCLE_1) | instskip(NEXT) | instid1(SALU_CYCLE_1)
	s_mul_i32 s0, s1, s0
	s_ashr_i32 s1, s0, 31
	s_delay_alu instid0(SALU_CYCLE_1) | instskip(NEXT) | instid1(SALU_CYCLE_1)
	s_lshl_b64 s[0:1], s[0:1], 1
	v_add_co_u32 v0, vcc_lo, v1, s0
	v_add_co_ci_u32_e32 v1, vcc_lo, s1, v2, vcc_lo
	s_waitcnt lgkmcnt(0)
	global_store_b128 v[0:1], v[3:6], off
	s_nop 0
	s_sendmsg sendmsg(MSG_DEALLOC_VGPRS)
	s_endpgm
	.section	.rodata,"a",@progbits
	.p2align	6, 0x0
	.amdhsa_kernel _Z39paged_attention_ll4mi_QKV_mfma16_kernelI14__hip_bfloat16S0_LN4vllm18Fp8KVCacheDataTypeE0ES0_Li16ELi64ELi256ELb0ELi5EL8MFMAType0EEvPKT_PKT0_S9_ifPKiSB_SB_iPKfiiiPfSE_PS4_PT2_iSD_SD_
		.amdhsa_group_segment_fixed_size 17472
		.amdhsa_private_segment_fixed_size 0
		.amdhsa_kernarg_size 400
		.amdhsa_user_sgpr_count 13
		.amdhsa_user_sgpr_dispatch_ptr 0
		.amdhsa_user_sgpr_queue_ptr 0
		.amdhsa_user_sgpr_kernarg_segment_ptr 1
		.amdhsa_user_sgpr_dispatch_id 0
		.amdhsa_user_sgpr_private_segment_size 0
		.amdhsa_wavefront_size32 1
		.amdhsa_uses_dynamic_stack 0
		.amdhsa_enable_private_segment 0
		.amdhsa_system_sgpr_workgroup_id_x 1
		.amdhsa_system_sgpr_workgroup_id_y 1
		.amdhsa_system_sgpr_workgroup_id_z 1
		.amdhsa_system_sgpr_workgroup_info 0
		.amdhsa_system_vgpr_workitem_id 0
		.amdhsa_next_free_vgpr 198
		.amdhsa_next_free_sgpr 52
		.amdhsa_reserve_vcc 1
		.amdhsa_float_round_mode_32 0
		.amdhsa_float_round_mode_16_64 0
		.amdhsa_float_denorm_mode_32 3
		.amdhsa_float_denorm_mode_16_64 3
		.amdhsa_dx10_clamp 1
		.amdhsa_ieee_mode 1
		.amdhsa_fp16_overflow 0
		.amdhsa_workgroup_processor_mode 1
		.amdhsa_memory_ordered 1
		.amdhsa_forward_progress 0
		.amdhsa_shared_vgpr_count 0
		.amdhsa_exception_fp_ieee_invalid_op 0
		.amdhsa_exception_fp_denorm_src 0
		.amdhsa_exception_fp_ieee_div_zero 0
		.amdhsa_exception_fp_ieee_overflow 0
		.amdhsa_exception_fp_ieee_underflow 0
		.amdhsa_exception_fp_ieee_inexact 0
		.amdhsa_exception_int_div_zero 0
	.end_amdhsa_kernel
	.section	.text._Z39paged_attention_ll4mi_QKV_mfma16_kernelI14__hip_bfloat16S0_LN4vllm18Fp8KVCacheDataTypeE0ES0_Li16ELi64ELi256ELb0ELi5EL8MFMAType0EEvPKT_PKT0_S9_ifPKiSB_SB_iPKfiiiPfSE_PS4_PT2_iSD_SD_,"axG",@progbits,_Z39paged_attention_ll4mi_QKV_mfma16_kernelI14__hip_bfloat16S0_LN4vllm18Fp8KVCacheDataTypeE0ES0_Li16ELi64ELi256ELb0ELi5EL8MFMAType0EEvPKT_PKT0_S9_ifPKiSB_SB_iPKfiiiPfSE_PS4_PT2_iSD_SD_,comdat
.Lfunc_end482:
	.size	_Z39paged_attention_ll4mi_QKV_mfma16_kernelI14__hip_bfloat16S0_LN4vllm18Fp8KVCacheDataTypeE0ES0_Li16ELi64ELi256ELb0ELi5EL8MFMAType0EEvPKT_PKT0_S9_ifPKiSB_SB_iPKfiiiPfSE_PS4_PT2_iSD_SD_, .Lfunc_end482-_Z39paged_attention_ll4mi_QKV_mfma16_kernelI14__hip_bfloat16S0_LN4vllm18Fp8KVCacheDataTypeE0ES0_Li16ELi64ELi256ELb0ELi5EL8MFMAType0EEvPKT_PKT0_S9_ifPKiSB_SB_iPKfiiiPfSE_PS4_PT2_iSD_SD_
                                        ; -- End function
	.section	.AMDGPU.csdata,"",@progbits
; Kernel info:
; codeLenInByte = 10016
; NumSgprs: 54
; NumVgprs: 198
; ScratchSize: 0
; MemoryBound: 0
; FloatMode: 240
; IeeeMode: 1
; LDSByteSize: 17472 bytes/workgroup (compile time only)
; SGPRBlocks: 6
; VGPRBlocks: 24
; NumSGPRsForWavesPerEU: 54
; NumVGPRsForWavesPerEU: 198
; Occupancy: 7
; WaveLimiterHint : 1
; COMPUTE_PGM_RSRC2:SCRATCH_EN: 0
; COMPUTE_PGM_RSRC2:USER_SGPR: 13
; COMPUTE_PGM_RSRC2:TRAP_HANDLER: 0
; COMPUTE_PGM_RSRC2:TGID_X_EN: 1
; COMPUTE_PGM_RSRC2:TGID_Y_EN: 1
; COMPUTE_PGM_RSRC2:TGID_Z_EN: 1
; COMPUTE_PGM_RSRC2:TIDIG_COMP_CNT: 0
	.section	.text._Z39paged_attention_ll4mi_QKV_mfma16_kernelI14__hip_bfloat16S0_LN4vllm18Fp8KVCacheDataTypeE0ES0_Li16ELi64ELi256ELb0ELi6EL8MFMAType0EEvPKT_PKT0_S9_ifPKiSB_SB_iPKfiiiPfSE_PS4_PT2_iSD_SD_,"axG",@progbits,_Z39paged_attention_ll4mi_QKV_mfma16_kernelI14__hip_bfloat16S0_LN4vllm18Fp8KVCacheDataTypeE0ES0_Li16ELi64ELi256ELb0ELi6EL8MFMAType0EEvPKT_PKT0_S9_ifPKiSB_SB_iPKfiiiPfSE_PS4_PT2_iSD_SD_,comdat
	.protected	_Z39paged_attention_ll4mi_QKV_mfma16_kernelI14__hip_bfloat16S0_LN4vllm18Fp8KVCacheDataTypeE0ES0_Li16ELi64ELi256ELb0ELi6EL8MFMAType0EEvPKT_PKT0_S9_ifPKiSB_SB_iPKfiiiPfSE_PS4_PT2_iSD_SD_ ; -- Begin function _Z39paged_attention_ll4mi_QKV_mfma16_kernelI14__hip_bfloat16S0_LN4vllm18Fp8KVCacheDataTypeE0ES0_Li16ELi64ELi256ELb0ELi6EL8MFMAType0EEvPKT_PKT0_S9_ifPKiSB_SB_iPKfiiiPfSE_PS4_PT2_iSD_SD_
	.globl	_Z39paged_attention_ll4mi_QKV_mfma16_kernelI14__hip_bfloat16S0_LN4vllm18Fp8KVCacheDataTypeE0ES0_Li16ELi64ELi256ELb0ELi6EL8MFMAType0EEvPKT_PKT0_S9_ifPKiSB_SB_iPKfiiiPfSE_PS4_PT2_iSD_SD_
	.p2align	8
	.type	_Z39paged_attention_ll4mi_QKV_mfma16_kernelI14__hip_bfloat16S0_LN4vllm18Fp8KVCacheDataTypeE0ES0_Li16ELi64ELi256ELb0ELi6EL8MFMAType0EEvPKT_PKT0_S9_ifPKiSB_SB_iPKfiiiPfSE_PS4_PT2_iSD_SD_,@function
_Z39paged_attention_ll4mi_QKV_mfma16_kernelI14__hip_bfloat16S0_LN4vllm18Fp8KVCacheDataTypeE0ES0_Li16ELi64ELi256ELb0ELi6EL8MFMAType0EEvPKT_PKT0_S9_ifPKiSB_SB_iPKfiiiPfSE_PS4_PT2_iSD_SD_: ; @_Z39paged_attention_ll4mi_QKV_mfma16_kernelI14__hip_bfloat16S0_LN4vllm18Fp8KVCacheDataTypeE0ES0_Li16ELi64ELi256ELb0ELi6EL8MFMAType0EEvPKT_PKT0_S9_ifPKiSB_SB_iPKfiiiPfSE_PS4_PT2_iSD_SD_
; %bb.0:
	s_load_b64 s[2:3], s[0:1], 0x30
	s_mov_b32 s30, s13
	s_waitcnt lgkmcnt(0)
	s_cmp_lg_u64 s[2:3], 0
	s_cselect_b32 s8, -1, 0
	s_ashr_i32 s31, s13, 31
	s_cmp_eq_u64 s[2:3], 0
	s_cbranch_scc1 .LBB483_3
; %bb.1:
	s_lshl_b64 s[4:5], s[30:31], 2
	s_delay_alu instid0(SALU_CYCLE_1) | instskip(SKIP_4) | instid1(SALU_CYCLE_1)
	s_add_u32 s4, s2, s4
	s_addc_u32 s5, s3, s5
	s_load_b64 s[4:5], s[4:5], 0x0
	s_waitcnt lgkmcnt(0)
	s_sub_i32 s4, s5, s4
	s_cmp_eq_u32 s4, 1
	s_cselect_b32 s4, -1, 0
	s_delay_alu instid0(SALU_CYCLE_1)
	s_and_not1_b32 vcc_lo, exec_lo, s4
	s_cbranch_vccz .LBB483_4
.LBB483_2:
	s_endpgm
.LBB483_3:
.LBB483_4:
	s_load_b64 s[4:5], s[0:1], 0x28
	s_lshl_b64 s[6:7], s[30:31], 2
	s_waitcnt lgkmcnt(0)
	s_add_u32 s4, s4, s6
	s_addc_u32 s5, s5, s7
	s_lshl_b32 s34, s14, 8
	s_load_b32 s33, s[4:5], 0x0
	s_waitcnt lgkmcnt(0)
	s_cmp_ge_i32 s34, s33
	s_cbranch_scc1 .LBB483_2
; %bb.5:
	s_clause 0x1
	s_load_b128 s[20:23], s[0:1], 0x8
	s_load_b64 s[4:5], s[0:1], 0x20
	s_and_not1_b32 vcc_lo, exec_lo, s8
	s_cbranch_vccnz .LBB483_7
; %bb.6:
	s_add_u32 s2, s2, s6
	s_addc_u32 s3, s3, s7
	s_load_b32 s3, s[2:3], 0x0
	s_branch .LBB483_8
.LBB483_7:
	s_mov_b32 s3, s30
.LBB483_8:
	s_load_b128 s[16:19], s[0:1], 0x48
	v_and_b32_e32 v148, 15, v0
	v_cmp_gt_u32_e32 vcc_lo, 0x60, v0
	v_lshrrev_b32_e32 v149, 5, v0
	v_and_b32_e32 v150, 31, v0
	v_and_b32_e32 v147, 1, v0
	v_lshlrev_b32_e32 v1, 3, v148
	v_cmp_gt_u32_e64 s2, 8, v148
	v_bfe_u32 v146, v0, 4, 1
	s_mul_i32 s31, s15, 6
	s_delay_alu instid0(VALU_DEP_3) | instskip(NEXT) | instid1(VALU_DEP_3)
	v_lshlrev_b32_e32 v145, 1, v1
	s_and_b32 s7, vcc_lo, s2
	s_delay_alu instid0(SALU_CYCLE_1)
	s_and_saveexec_b32 s6, s7
	s_cbranch_execz .LBB483_10
; %bb.9:
	s_load_b64 s[8:9], s[0:1], 0x0
	v_lshl_or_b32 v5, v149, 1, v146
	s_waitcnt lgkmcnt(0)
	s_mul_hi_i32 s11, s3, s16
	s_mul_i32 s10, s3, s16
	v_lshlrev_b32_e32 v6, 10, v148
	s_lshl_b64 s[10:11], s[10:11], 1
	v_add_lshl_u32 v1, v5, s31, 6
	v_lshlrev_b32_e32 v5, 6, v5
	v_lshlrev_b32_e32 v7, 10, v147
	v_and_b32_e32 v6, 0x3800, v6
	s_delay_alu instid0(VALU_DEP_4) | instskip(NEXT) | instid1(VALU_DEP_2)
	v_ashrrev_i32_e32 v2, 31, v1
	v_or3_b32 v5, v6, v7, v5
	s_delay_alu instid0(VALU_DEP_2) | instskip(SKIP_2) | instid1(VALU_DEP_1)
	v_lshlrev_b64 v[1:2], 1, v[1:2]
	s_add_u32 s3, s8, s10
	s_addc_u32 s7, s9, s11
	v_add_co_u32 v1, vcc_lo, s3, v1
	s_delay_alu instid0(VALU_DEP_2) | instskip(NEXT) | instid1(VALU_DEP_2)
	v_add_co_ci_u32_e32 v2, vcc_lo, s7, v2, vcc_lo
	v_add_co_u32 v1, vcc_lo, v1, v145
	s_delay_alu instid0(VALU_DEP_2)
	v_add_co_ci_u32_e32 v2, vcc_lo, 0, v2, vcc_lo
	global_load_b128 v[1:4], v[1:2], off
	s_waitcnt vmcnt(0)
	ds_store_b128 v5, v[1:4]
.LBB483_10:
	s_or_b32 exec_lo, exec_lo, s6
	v_and_b32_e32 v1, 0xef, v0
	s_waitcnt lgkmcnt(0)
	s_add_i32 s3, s33, 15
	s_clause 0x1
	s_load_b32 s6, s[0:1], 0x38
	s_load_b32 s35, s[0:1], 0x1c
	s_ashr_i32 s7, s3, 31
	v_add_nc_u32_e32 v1, s34, v1
	s_lshr_b32 s7, s7, 28
	s_waitcnt lgkmcnt(0)
	s_add_i32 s3, s3, s7
	s_barrier
	v_ashrrev_i32_e32 v2, 31, v1
	v_or_b32_e32 v3, 16, v1
	s_ashr_i32 s3, s3, 4
	v_cmp_gt_i32_e32 vcc_lo, s33, v1
	s_add_i32 s3, s3, -1
	v_lshrrev_b32_e32 v2, 28, v2
	buffer_gl0_inv
	v_mul_lo_u16 v21, v148, 43
	v_lshlrev_b32_e32 v22, 5, v148
	v_add_nc_u32_e32 v4, v1, v2
	s_mul_i32 s6, s30, s6
	s_delay_alu instid0(VALU_DEP_3) | instskip(SKIP_1) | instid1(VALU_DEP_2)
	v_lshrrev_b16 v21, 8, v21
	s_ashr_i32 s7, s6, 31
	v_ashrrev_i32_e32 v4, 4, v4
	v_add_nc_u32_e32 v2, v3, v2
	s_lshl_b64 s[6:7], s[6:7], 2
	v_mul_lo_u16 v21, v21, 6
	s_add_u32 s16, s4, s6
	v_cndmask_b32_e32 v1, s3, v4, vcc_lo
	v_ashrrev_i32_e32 v2, 4, v2
	v_cmp_gt_i32_e32 vcc_lo, s33, v3
	s_addc_u32 s36, s5, s7
	s_mul_i32 s4, s15, s18
	v_sub_nc_u16 v21, v148, v21
	s_ashr_i32 s5, s4, 31
	v_cndmask_b32_e32 v3, s3, v2, vcc_lo
	v_ashrrev_i32_e32 v2, 31, v1
	s_lshl_b64 s[12:13], s[4:5], 1
	v_and_b32_e32 v21, 0xff, v21
	s_add_u32 s26, s20, s12
	v_ashrrev_i32_e32 v4, 31, v3
	v_lshlrev_b64 v[1:2], 2, v[1:2]
	s_addc_u32 s27, s21, s13
	s_lshl_b32 s4, s14, 4
	v_lshlrev_b32_e32 v197, 6, v21
	v_lshlrev_b64 v[3:4], 2, v[3:4]
	s_ashr_i32 s5, s4, 31
	v_add_co_u32 v1, vcc_lo, s16, v1
	v_add_co_ci_u32_e32 v2, vcc_lo, s36, v2, vcc_lo
	s_delay_alu instid0(VALU_DEP_3) | instskip(NEXT) | instid1(VALU_DEP_4)
	v_add_co_u32 v3, vcc_lo, s16, v3
	v_add_co_ci_u32_e32 v4, vcc_lo, s36, v4, vcc_lo
	s_clause 0x1
	global_load_b32 v5, v[1:2], off
	global_load_b32 v6, v[3:4], off
	s_lshl_b64 s[4:5], s[4:5], 2
	v_lshlrev_b32_e32 v3, 4, v0
	s_add_u32 s4, s16, s4
	s_addc_u32 s5, s36, s5
	s_or_b32 s6, s34, 16
	v_lshl_or_b32 v22, v149, 9, v22
	s_ashr_i32 s7, s6, 4
	s_cmp_lt_i32 s6, s33
	s_cselect_b32 s6, s7, s3
	s_delay_alu instid0(SALU_CYCLE_1) | instskip(NEXT) | instid1(SALU_CYCLE_1)
	s_ashr_i32 s7, s6, 31
	s_lshl_b64 s[6:7], s[6:7], 2
	s_delay_alu instid0(SALU_CYCLE_1) | instskip(SKIP_2) | instid1(SALU_CYCLE_1)
	s_add_u32 s6, s16, s6
	s_addc_u32 s7, s36, s7
	s_or_b32 s8, s34, 32
	s_ashr_i32 s9, s8, 4
	s_cmp_lt_i32 s8, s33
	s_cselect_b32 s8, s9, s3
	s_delay_alu instid0(SALU_CYCLE_1) | instskip(NEXT) | instid1(SALU_CYCLE_1)
	s_ashr_i32 s9, s8, 31
	s_lshl_b64 s[8:9], s[8:9], 2
	s_delay_alu instid0(SALU_CYCLE_1) | instskip(SKIP_2) | instid1(SALU_CYCLE_1)
	s_add_u32 s8, s16, s8
	s_addc_u32 s9, s36, s9
	s_or_b32 s10, s34, 48
	;; [unrolled: 10-line block ×4, first 2 shown]
	s_ashr_i32 s18, s15, 4
	s_cmp_lt_i32 s15, s33
	s_cselect_b32 s18, s18, s3
	s_delay_alu instid0(SALU_CYCLE_1) | instskip(NEXT) | instid1(SALU_CYCLE_1)
	s_ashr_i32 s19, s18, 31
	s_lshl_b64 s[18:19], s[18:19], 2
	s_delay_alu instid0(SALU_CYCLE_1)
	s_add_u32 s24, s16, s18
	s_addc_u32 s25, s36, s19
	s_clause 0x5
	s_load_b32 s37, s[4:5], 0x0
	s_load_b32 s29, s[6:7], 0x0
	;; [unrolled: 1-line block ×6, first 2 shown]
	s_waitcnt vmcnt(1)
	v_mad_i64_i32 v[1:2], null, v5, s17, 0
	v_and_b32_e32 v5, 0xf0, v3
	s_waitcnt vmcnt(0)
	v_mad_i64_i32 v[3:4], null, v6, s17, 0
	s_delay_alu instid0(VALU_DEP_2) | instskip(NEXT) | instid1(VALU_DEP_4)
	v_add_co_u32 v5, s4, s26, v5
	v_lshlrev_b64 v[1:2], 1, v[1:2]
	v_add_co_ci_u32_e64 v6, null, s27, 0, s4
	s_delay_alu instid0(VALU_DEP_4) | instskip(SKIP_1) | instid1(VALU_DEP_3)
	v_lshlrev_b64 v[3:4], 1, v[3:4]
	s_or_b32 s4, s34, 0x60
	v_add_co_u32 v19, vcc_lo, v5, v1
	s_delay_alu instid0(VALU_DEP_3) | instskip(NEXT) | instid1(VALU_DEP_3)
	v_add_co_ci_u32_e32 v20, vcc_lo, v6, v2, vcc_lo
	v_add_co_u32 v17, vcc_lo, v5, v3
	s_delay_alu instid0(VALU_DEP_4)
	v_add_co_ci_u32_e32 v18, vcc_lo, v6, v4, vcc_lo
	s_clause 0xb
	global_load_b128 v[1:4], v[19:20], off
	global_load_b128 v[5:8], v[19:20], off offset:256
	global_load_b128 v[129:132], v[17:18], off
	global_load_b128 v[133:136], v[17:18], off offset:256
	global_load_b128 v[33:36], v[19:20], off offset:512
	;; [unrolled: 1-line block ×9, first 2 shown]
	ds_load_b128 v[159:162], v197
	ds_load_b128 v[163:166], v197 offset:1024
	s_clause 0x3
	global_load_b128 v[167:170], v[19:20], off offset:1536
	global_load_b128 v[171:174], v[19:20], off offset:1792
	;; [unrolled: 1-line block ×4, first 2 shown]
	s_ashr_i32 s5, s4, 4
	s_cmp_lt_i32 s4, s33
	s_cselect_b32 s4, s5, s3
	s_delay_alu instid0(SALU_CYCLE_1) | instskip(NEXT) | instid1(SALU_CYCLE_1)
	s_ashr_i32 s5, s4, 31
	s_lshl_b64 s[4:5], s[4:5], 2
	s_delay_alu instid0(SALU_CYCLE_1) | instskip(SKIP_2) | instid1(SALU_CYCLE_1)
	s_add_u32 s20, s16, s4
	s_addc_u32 s21, s36, s5
	s_or_b32 s4, s34, 0x70
	s_ashr_i32 s5, s4, 4
	s_cmp_lt_i32 s4, s33
	s_cselect_b32 s4, s5, s3
	s_delay_alu instid0(SALU_CYCLE_1) | instskip(NEXT) | instid1(SALU_CYCLE_1)
	s_ashr_i32 s5, s4, 31
	s_lshl_b64 s[6:7], s[4:5], 2
	s_mov_b32 s4, 0
	s_add_u32 s24, s16, s6
	s_addc_u32 s25, s36, s7
	s_or_b32 s5, s34, 0x80
	s_mov_b32 s11, s4
	s_ashr_i32 s6, s5, 4
	s_cmp_lt_i32 s5, s33
	s_mov_b32 s5, s4
	s_cselect_b32 s8, s6, s3
	s_mov_b32 s6, s4
	s_ashr_i32 s9, s8, 31
	s_mov_b32 s7, s4
	s_lshl_b64 s[8:9], s[8:9], 2
	s_load_b32 s46, s[24:25], 0x0
	s_add_u32 s26, s16, s8
	s_addc_u32 s27, s36, s9
	s_or_b32 s9, s34, 0x90
	s_load_b32 s47, s[26:27], 0x0
	s_ashr_i32 s10, s9, 4
	s_cmp_lt_i32 s9, s33
	s_mov_b32 s8, s4
	s_cselect_b32 s38, s10, s3
	s_mov_b32 s9, s4
	s_ashr_i32 s39, s38, 31
	s_mov_b32 s10, s4
	s_lshl_b64 s[38:39], s[38:39], 2
	v_mov_b32_e32 v144, s11
	s_add_u32 s38, s16, s38
	s_addc_u32 s39, s36, s39
	s_or_b32 s40, s34, 0xa0
	v_mov_b32_e32 v143, s10
	s_ashr_i32 s41, s40, 4
	s_cmp_lt_i32 s40, s33
	v_mov_b32_e32 v142, s9
	s_cselect_b32 s40, s41, s3
	v_mov_b32_e32 v141, s8
	s_ashr_i32 s41, s40, 31
	v_dual_mov_b32 v140, s7 :: v_dual_mov_b32 v139, s6
	v_dual_mov_b32 v138, s5 :: v_dual_mov_b32 v137, s4
	s_lshl_b64 s[4:5], s[40:41], 2
	s_waitcnt lgkmcnt(0)
	s_mul_hi_i32 s7, s29, s17
	s_add_u32 s42, s16, s4
	s_addc_u32 s43, s36, s5
	s_or_b32 s4, s34, 0xb0
	s_mul_hi_i32 s5, s37, s17
	s_ashr_i32 s6, s4, 4
	s_cmp_lt_i32 s4, s33
	s_mul_i32 s4, s37, s17
	s_cselect_b32 s8, s6, s3
	s_mul_i32 s6, s29, s17
	s_ashr_i32 s9, s8, 31
	s_load_b32 s41, s[20:21], 0x0
	s_lshl_b64 s[8:9], s[8:9], 2
	s_load_b32 s40, s[38:39], 0x0
	s_add_u32 s44, s16, s8
	s_addc_u32 s45, s36, s9
	s_or_b32 s8, s34, 0xc0
	s_mul_hi_i32 s9, s28, s17
	s_ashr_i32 s10, s8, 4
	s_cmp_lt_i32 s8, s33
	s_mul_i32 s8, s28, s17
	s_cselect_b32 s28, s10, s3
	s_load_b32 s39, s[42:43], 0x0
	s_ashr_i32 s29, s28, 31
	s_mul_hi_i32 s21, s15, s17
	s_lshl_b64 s[28:29], s[28:29], 2
	s_mul_hi_i32 s27, s46, s17
	s_add_u32 s28, s16, s28
	s_addc_u32 s29, s36, s29
	s_or_b32 s37, s34, 0xd0
	s_mul_i32 s26, s46, s17
	s_ashr_i32 s20, s37, 4
	s_cmp_lt_i32 s37, s33
	s_mul_hi_i32 s11, s19, s17
	s_cselect_b32 s24, s20, s3
	s_mul_i32 s20, s15, s17
	s_ashr_i32 s25, s24, 31
	s_mul_i32 s10, s19, s17
	s_lshl_b64 s[24:25], s[24:25], 2
	s_mul_hi_i32 s19, s18, s17
	s_add_u32 s24, s16, s24
	s_addc_u32 s25, s36, s25
	s_or_b32 s42, s34, 0xe0
	s_clause 0x2
	s_load_b32 s38, s[44:45], 0x0
	s_load_b32 s37, s[28:29], 0x0
	;; [unrolled: 1-line block ×3, first 2 shown]
	s_ashr_i32 s43, s42, 4
	s_cmp_lt_i32 s42, s33
	s_mul_hi_i32 s29, s47, s17
	s_cselect_b32 s42, s43, s3
	s_mul_i32 s28, s47, s17
	s_ashr_i32 s43, s42, 31
	s_mul_i32 s18, s18, s17
	s_lshl_b64 s[42:43], s[42:43], 2
	s_waitcnt lgkmcnt(0)
	s_mul_hi_i32 s25, s41, s17
	s_add_u32 s42, s16, s42
	s_addc_u32 s43, s36, s43
	s_or_b32 s46, s34, 0xf0
	s_mul_i32 s24, s41, s17
	s_ashr_i32 s47, s46, 4
	s_cmp_lt_i32 s46, s33
	s_mul_hi_i32 s41, s40, s17
	s_cselect_b32 s46, s47, s3
	s_mul_i32 s40, s40, s17
	s_ashr_i32 s47, s46, 31
	s_mul_hi_i32 s51, s15, s17
	s_lshl_b64 s[46:47], s[46:47], 2
	s_mul_i32 s50, s15, s17
	s_add_u32 s46, s16, s46
	s_addc_u32 s47, s36, s47
	s_add_u32 s3, s22, s12
	s_addc_u32 s15, s23, s13
	v_add_co_u32 v195, s3, s3, v22
	s_delay_alu instid0(VALU_DEP_1) | instskip(SKIP_2) | instid1(VALU_DEP_2)
	v_add_co_ci_u32_e64 v196, null, s15, 0, s3
	s_lshl_b64 s[4:5], s[4:5], 1
	s_lshl_b64 s[6:7], s[6:7], 1
	v_add_co_u32 v17, vcc_lo, v195, s4
	s_delay_alu instid0(VALU_DEP_2)
	v_add_co_ci_u32_e32 v18, vcc_lo, s5, v196, vcc_lo
	v_add_co_u32 v19, vcc_lo, v195, s6
	s_lshl_b64 s[8:9], s[8:9], 1
	v_add_co_ci_u32_e32 v20, vcc_lo, s7, v196, vcc_lo
	v_add_co_u32 v21, vcc_lo, v195, s8
	s_lshl_b64 s[10:11], s[10:11], 1
	;; [unrolled: 3-line block ×8, first 2 shown]
	s_mul_hi_i32 s45, s39, s17
	s_mul_i32 s44, s39, s17
	v_add_co_ci_u32_e32 v50, vcc_lo, s25, v196, vcc_lo
	v_add_co_u32 v53, vcc_lo, v195, s26
	s_lshl_b64 s[28:29], s[44:45], 1
	s_mul_hi_i32 s39, s38, s17
	s_mul_i32 s38, s38, s17
	v_add_co_ci_u32_e32 v54, vcc_lo, s27, v196, vcc_lo
	v_add_co_u32 v183, vcc_lo, v195, s28
	s_mul_hi_i32 s49, s37, s17
	s_mul_i32 s48, s37, s17
	s_lshl_b64 s[36:37], s[38:39], 1
	v_add_co_ci_u32_e32 v184, vcc_lo, s29, v196, vcc_lo
	v_add_co_u32 v185, vcc_lo, v195, s36
	s_lshl_b64 s[38:39], s[48:49], 1
	s_clause 0x1
	s_load_b32 s3, s[42:43], 0x0
	s_load_b32 s15, s[46:47], 0x0
	v_add_co_ci_u32_e32 v186, vcc_lo, s37, v196, vcc_lo
	v_add_co_u32 v191, vcc_lo, v195, s38
	v_add_co_ci_u32_e32 v192, vcc_lo, s39, v196, vcc_lo
	s_clause 0x17
	global_load_b128 v[121:124], v[17:18], off
	global_load_b128 v[125:128], v[17:18], off offset:16
	global_load_b128 v[113:116], v[19:20], off
	global_load_b128 v[117:120], v[19:20], off offset:16
	;; [unrolled: 2-line block ×12, first 2 shown]
	s_lshl_b64 s[40:41], s[50:51], 1
	s_delay_alu instid0(SALU_CYCLE_1)
	v_add_co_u32 v193, vcc_lo, v195, s40
	v_add_co_ci_u32_e32 v194, vcc_lo, s41, v196, vcc_lo
	s_waitcnt lgkmcnt(0)
	s_mul_hi_i32 s5, s3, s17
	s_mul_i32 s4, s3, s17
	s_mul_hi_i32 s7, s15, s17
	s_lshl_b64 s[4:5], s[4:5], 1
	s_mul_i32 s6, s15, s17
	s_waitcnt vmcnt(38)
	v_wmma_f32_16x16x16_bf16 v[183:190], v[1:8], v[159:166], v[137:144]
	s_waitcnt vmcnt(36)
	v_wmma_f32_16x16x16_bf16 v[137:144], v[129:136], v[159:166], v[137:144]
	s_clause 0x1
	global_load_b128 v[1:4], v[191:192], off
	global_load_b128 v[5:8], v[191:192], off offset:16
	ds_load_b128 v[129:132], v197 offset:2048
	ds_load_b128 v[133:136], v197 offset:3072
	;; [unrolled: 1-line block ×4, first 2 shown]
	v_add_co_u32 v191, vcc_lo, v195, s4
	v_add_co_ci_u32_e32 v192, vcc_lo, s5, v196, vcc_lo
	s_lshl_b64 s[4:5], s[6:7], 1
	s_delay_alu instid0(SALU_CYCLE_1)
	v_add_co_u32 v195, vcc_lo, v195, s4
	v_add_co_ci_u32_e32 v196, vcc_lo, s5, v196, vcc_lo
	s_waitcnt vmcnt(36) lgkmcnt(2)
	v_wmma_f32_16x16x16_bf16 v[183:190], v[33:40], v[129:136], v[183:190]
	s_waitcnt vmcnt(34)
	v_wmma_f32_16x16x16_bf16 v[137:144], v[25:32], v[129:136], v[137:144]
	s_clause 0x3
	global_load_b128 v[25:28], v[193:194], off
	global_load_b128 v[29:32], v[193:194], off offset:16
	global_load_b128 v[33:36], v[191:192], off
	global_load_b128 v[37:40], v[191:192], off offset:16
	v_and_b32_e32 v129, 0xe0, v0
	v_mbcnt_lo_u32_b32 v191, -1, 0
	s_waitcnt vmcnt(36) lgkmcnt(0)
	v_wmma_f32_16x16x16_bf16 v[183:190], v[9:16], v[159:166], v[183:190]
	s_clause 0x1
	global_load_b128 v[9:12], v[195:196], off
	global_load_b128 v[13:16], v[195:196], off offset:16
	s_waitcnt vmcnt(36)
	v_wmma_f32_16x16x16_bf16 v[137:144], v[151:158], v[159:166], v[137:144]
	v_add_nc_u32_e32 v192, s34, v129
	ds_load_b128 v[129:132], v197 offset:6144
	ds_load_b128 v[133:136], v197 offset:7168
	v_xor_b32_e32 v151, 16, v191
	s_waitcnt vmcnt(0) lgkmcnt(0)
	s_barrier
	v_or_b32_e32 v152, v192, v146
	buffer_gl0_inv
	v_cmp_gt_i32_e32 vcc_lo, 32, v151
	v_or_b32_e32 v153, 2, v152
	v_or_b32_e32 v154, 4, v152
	;; [unrolled: 1-line block ×5, first 2 shown]
	v_cmp_gt_i32_e64 s3, s33, v153
	v_or_b32_e32 v158, 12, v152
	v_cmp_gt_i32_e64 s4, s33, v154
	v_cmp_gt_i32_e64 s5, s33, v155
	v_or_b32_e32 v159, 14, v152
	v_cmp_gt_i32_e64 s6, s33, v156
	v_wmma_f32_16x16x16_bf16 v[183:190], v[167:174], v[129:136], v[183:190]
	v_wmma_f32_16x16x16_bf16 v[137:144], v[175:182], v[129:136], v[137:144]
	v_cndmask_b32_e32 v151, v191, v151, vcc_lo
	v_cmp_gt_i32_e32 vcc_lo, s33, v152
	v_cmp_gt_i32_e64 s7, s33, v157
	v_dual_mul_f32 v135, s35, v184 :: v_dual_mul_f32 v136, s35, v183
	v_mul_f32_e32 v134, s35, v185
	v_dual_mul_f32 v168, s35, v144 :: v_dual_mul_f32 v133, s35, v186
	s_delay_alu instid0(VALU_DEP_3) | instskip(NEXT) | instid1(VALU_DEP_4)
	v_cndmask_b32_e64 v135, 0xff7fffff, v135, s3
	v_cndmask_b32_e32 v136, 0xff7fffff, v136, vcc_lo
	v_dual_mul_f32 v131, s35, v188 :: v_dual_mul_f32 v174, s35, v138
	v_mul_f32_e32 v132, s35, v187
	v_cndmask_b32_e64 v134, 0xff7fffff, v134, s4
	s_delay_alu instid0(VALU_DEP_4)
	v_max3_f32 v135, v136, 0xff7fffff, v135
	v_cmp_gt_i32_e64 s8, s33, v158
	v_lshlrev_b32_e32 v158, 2, v151
	v_cndmask_b32_e64 v133, 0xff7fffff, v133, s5
	v_or_b32_e32 v160, 16, v152
	v_or_b32_e32 v161, 18, v152
	v_dual_mul_f32 v129, s35, v190 :: v_dual_mul_f32 v172, s35, v140
	v_mul_f32_e32 v130, s35, v189
	v_cndmask_b32_e64 v132, 0xff7fffff, v132, s6
	v_cndmask_b32_e64 v131, 0xff7fffff, v131, s7
	v_max3_f32 v133, v135, v134, v133
	v_cmp_gt_i32_e64 s9, s33, v159
	v_or_b32_e32 v162, 20, v152
	v_or_b32_e32 v163, 22, v152
	v_mul_f32_e32 v175, s35, v137
	v_cndmask_b32_e64 v130, 0xff7fffff, v130, s8
	v_cndmask_b32_e64 v129, 0xff7fffff, v129, s9
	v_max3_f32 v131, v133, v132, v131
	v_cmp_gt_i32_e64 s10, s33, v160
	v_cmp_gt_i32_e64 s11, s33, v161
	v_or_b32_e32 v164, 24, v152
	v_or_b32_e32 v165, 26, v152
	v_mul_f32_e32 v173, s35, v139
	v_cndmask_b32_e64 v132, 0xff7fffff, v175, s10
	v_cndmask_b32_e64 v133, 0xff7fffff, v174, s11
	v_max3_f32 v129, v131, v130, v129
	v_cmp_gt_i32_e64 s12, s33, v162
	v_cmp_gt_i32_e64 s13, s33, v163
	v_or_b32_e32 v166, 28, v152
	v_or_b32_e32 v167, 30, v152
	v_dual_mul_f32 v170, s35, v142 :: v_dual_mul_f32 v171, s35, v141
	v_cndmask_b32_e64 v130, 0xff7fffff, v173, s12
	v_cndmask_b32_e64 v131, 0xff7fffff, v172, s13
	v_max3_f32 v129, v129, v132, v133
	v_cmp_gt_i32_e64 s15, s33, v164
	v_cmp_gt_i32_e64 s16, s33, v165
	v_mul_f32_e32 v169, s35, v143
	v_cmp_gt_i32_e64 s17, s33, v166
	v_max3_f32 v129, v129, v130, v131
	v_cndmask_b32_e64 v132, 0xff7fffff, v171, s15
	v_cndmask_b32_e64 v133, 0xff7fffff, v170, s16
	v_cmp_gt_i32_e64 s18, s33, v167
	v_cndmask_b32_e64 v130, 0xff7fffff, v169, s17
	s_delay_alu instid0(VALU_DEP_3) | instskip(NEXT) | instid1(VALU_DEP_3)
	v_max3_f32 v129, v129, v132, v133
	v_cndmask_b32_e64 v131, 0xff7fffff, v168, s18
	s_delay_alu instid0(VALU_DEP_1) | instskip(SKIP_3) | instid1(VALU_DEP_1)
	v_max3_f32 v129, v129, v130, v131
	ds_bpermute_b32 v130, v158, v129
	s_waitcnt lgkmcnt(0)
	v_max_f32_e32 v130, v130, v130
	v_max_f32_e32 v129, v129, v130
	s_delay_alu instid0(VALU_DEP_1)
	v_fma_f32 v130, s35, v183, -v129
	v_fma_f32 v132, s35, v185, -v129
	;; [unrolled: 1-line block ×5, first 2 shown]
	v_mul_f32_e32 v130, 0x3fb8aa3b, v130
	v_mul_f32_e32 v132, 0x3fb8aa3b, v132
	v_fma_f32 v135, s35, v189, -v129
	v_mul_f32_e32 v134, 0x3fb8aa3b, v134
	s_delay_alu instid0(VALU_DEP_4) | instskip(NEXT) | instid1(VALU_DEP_3)
	v_exp_f32_e32 v130, v130
	v_exp_f32_e32 v132, v132
	s_delay_alu instid0(VALU_DEP_1) | instskip(NEXT) | instid1(TRANS32_DEP_3)
	v_exp_f32_e32 v134, v134
	v_cndmask_b32_e32 v152, 0, v130, vcc_lo
	v_fma_f32 v130, s35, v188, -v129
	v_mul_f32_e32 v131, 0x3fb8aa3b, v131
	s_waitcnt_depctr 0xfff
	v_cndmask_b32_e64 v153, 0, v132, s4
	v_fma_f32 v132, s35, v190, -v129
	v_dual_mul_f32 v133, 0x3fb8aa3b, v133 :: v_dual_mul_f32 v130, 0x3fb8aa3b, v130
	v_exp_f32_e32 v131, v131
	v_cndmask_b32_e64 v155, 0, v134, s6
	s_delay_alu instid0(VALU_DEP_3) | instskip(NEXT) | instid1(VALU_DEP_3)
	v_mul_f32_e32 v132, 0x3fb8aa3b, v132
	v_exp_f32_e32 v133, v133
	v_exp_f32_e32 v130, v130
	v_fma_f32 v134, s35, v138, -v129
	s_delay_alu instid0(VALU_DEP_2) | instskip(SKIP_1) | instid1(VALU_DEP_2)
	v_exp_f32_e32 v132, v132
	v_cndmask_b32_e64 v151, 0, v131, s3
	v_dual_add_f32 v131, 0, v152 :: v_dual_mul_f32 v134, 0x3fb8aa3b, v134
	s_delay_alu instid0(TRANS32_DEP_3)
	v_cndmask_b32_e64 v154, 0, v133, s5
	s_waitcnt_depctr 0xfff
	v_cndmask_b32_e64 v156, 0, v130, s7
	v_fma_f32 v133, s35, v137, -v129
	v_add_f32_e32 v131, v131, v151
	v_exp_f32_e32 v134, v134
	s_mov_b32 s3, exec_lo
	s_delay_alu instid0(VALU_DEP_1) | instskip(NEXT) | instid1(VALU_DEP_1)
	v_add_f32_e32 v131, v131, v153
	v_add_f32_e32 v131, v131, v154
	s_delay_alu instid0(VALU_DEP_1) | instskip(SKIP_1) | instid1(VALU_DEP_2)
	v_dual_mul_f32 v133, 0x3fb8aa3b, v133 :: v_dual_add_f32 v130, v131, v155
	v_fma_f32 v131, s35, v139, -v129
	v_exp_f32_e32 v133, v133
	v_fma_f32 v139, s35, v144, -v129
	s_delay_alu instid0(VALU_DEP_3) | instskip(NEXT) | instid1(VALU_DEP_1)
	v_dual_add_f32 v130, v130, v156 :: v_dual_mul_f32 v135, 0x3fb8aa3b, v135
	v_exp_f32_e32 v135, v135
	s_waitcnt_depctr 0xfff
	v_cndmask_b32_e64 v157, 0, v135, s8
	v_fma_f32 v135, s35, v140, -v129
	v_cndmask_b32_e64 v140, 0, v132, s9
	v_fma_f32 v132, s35, v141, -v129
	s_delay_alu instid0(VALU_DEP_4) | instskip(NEXT) | instid1(VALU_DEP_1)
	v_add_f32_e32 v130, v130, v157
	v_add_f32_e32 v130, v130, v140
	s_delay_alu instid0(VALU_DEP_3) | instskip(SKIP_4) | instid1(VALU_DEP_3)
	v_mul_f32_e32 v137, 0x3fb8aa3b, v132
	v_cndmask_b32_e64 v132, 0, v134, s11
	v_mul_f32_e32 v131, 0x3fb8aa3b, v131
	v_fma_f32 v134, s35, v143, -v129
	v_mul_f32_e32 v135, 0x3fb8aa3b, v135
	v_exp_f32_e32 v136, v131
	v_cndmask_b32_e64 v131, 0, v133, s10
	v_fma_f32 v133, s35, v142, -v129
	s_delay_alu instid0(VALU_DEP_2) | instskip(NEXT) | instid1(VALU_DEP_2)
	v_add_f32_e32 v130, v130, v131
	v_mul_f32_e32 v138, 0x3fb8aa3b, v133
	v_exp_f32_e32 v137, v137
	s_waitcnt_depctr 0xfff
	v_cndmask_b32_e64 v133, 0, v136, s12
	v_mul_f32_e32 v136, 0x3fb8aa3b, v134
	v_exp_f32_e32 v135, v135
	v_add_f32_e32 v130, v130, v132
	v_exp_f32_e32 v138, v138
	s_delay_alu instid0(VALU_DEP_2) | instskip(NEXT) | instid1(VALU_DEP_1)
	v_exp_f32_e32 v141, v136
	v_add_f32_e32 v130, v130, v133
	s_delay_alu instid0(TRANS32_DEP_3)
	v_cndmask_b32_e64 v134, 0, v135, s13
	v_cndmask_b32_e64 v135, 0, v137, s15
	v_mul_f32_e32 v137, 0x3fb8aa3b, v139
	s_waitcnt_depctr 0xfff
	v_cndmask_b32_e64 v136, 0, v138, s16
	v_add_f32_e32 v130, v130, v134
	v_exp_f32_e32 v138, v137
	v_cndmask_b32_e64 v137, 0, v141, s17
	s_delay_alu instid0(VALU_DEP_2) | instskip(NEXT) | instid1(VALU_DEP_1)
	v_add_f32_e32 v130, v130, v135
	v_add_f32_e32 v130, v130, v136
	s_waitcnt_depctr 0xfff
	v_cndmask_b32_e64 v138, 0, v138, s18
	v_add_f32_e32 v130, v130, v137
	s_delay_alu instid0(VALU_DEP_1)
	v_add_f32_e32 v130, v130, v138
	ds_bpermute_b32 v139, v158, v130
	v_cmpx_gt_u32_e32 16, v150
	s_cbranch_execz .LBB483_12
; %bb.11:
	v_mul_u32_u24_e32 v141, 0x44, v149
	s_delay_alu instid0(VALU_DEP_1) | instskip(SKIP_1) | instid1(VALU_DEP_1)
	v_lshl_add_u32 v141, v148, 2, v141
	s_waitcnt lgkmcnt(0)
	v_dual_add_f32 v130, v130, v139 :: v_dual_add_nc_u32 v139, 0x4000, v141
	ds_store_2addr_b32 v139, v129, v130 offset1:136
.LBB483_12:
	s_or_b32 exec_lo, exec_lo, s3
	v_lshlrev_b32_e32 v129, 2, v148
	s_waitcnt lgkmcnt(0)
	s_barrier
	buffer_gl0_inv
	v_cmp_eq_u32_e64 s3, 1, v149
	v_add_nc_u32_e32 v139, 0x4000, v129
	ds_load_2addr_b32 v[141:142], v139 offset1:17
	ds_load_2addr_b32 v[143:144], v139 offset0:34 offset1:51
	ds_load_2addr_b32 v[158:159], v139 offset0:68 offset1:85
	;; [unrolled: 1-line block ×4, first 2 shown]
	s_waitcnt lgkmcnt(4)
	v_max3_f32 v129, v141, 0xff7fffff, v142
	s_waitcnt lgkmcnt(3)
	s_delay_alu instid0(VALU_DEP_1) | instskip(SKIP_1) | instid1(VALU_DEP_1)
	v_max3_f32 v129, v129, v143, v144
	s_waitcnt lgkmcnt(2)
	v_max3_f32 v129, v129, v158, v159
	s_waitcnt lgkmcnt(1)
	s_delay_alu instid0(VALU_DEP_1) | instskip(NEXT) | instid1(VALU_DEP_1)
	v_max3_f32 v129, v129, v160, v161
	v_sub_f32_e32 v158, v158, v129
	s_delay_alu instid0(VALU_DEP_1) | instskip(NEXT) | instid1(VALU_DEP_1)
	v_dual_sub_f32 v150, v142, v129 :: v_dual_mul_f32 v167, 0x3fb8aa3b, v158
	v_dual_sub_f32 v143, v143, v129 :: v_dual_mul_f32 v150, 0x3fb8aa3b, v150
	s_delay_alu instid0(VALU_DEP_1) | instskip(NEXT) | instid1(VALU_DEP_2)
	v_dual_sub_f32 v130, v141, v129 :: v_dual_mul_f32 v165, 0x3fb8aa3b, v143
	v_exp_f32_e32 v150, v150
	s_delay_alu instid0(VALU_DEP_1) | instskip(NEXT) | instid1(VALU_DEP_2)
	v_mul_f32_e32 v130, 0x3fb8aa3b, v130
	v_exp_f32_e32 v165, v165
	s_delay_alu instid0(VALU_DEP_1) | instskip(SKIP_1) | instid1(VALU_DEP_1)
	v_exp_f32_e32 v164, v130
	v_sub_f32_e32 v130, v144, v129
	v_mul_f32_e32 v166, 0x3fb8aa3b, v130
	s_waitcnt lgkmcnt(0)
	s_waitcnt_depctr 0xfff
	v_fma_f32 v130, v164, v162, 0
	v_sub_f32_e32 v162, v159, v129
	s_delay_alu instid0(VALU_DEP_2)
	v_fmac_f32_e32 v130, v150, v163
	ds_load_2addr_b32 v[141:142], v139 offset0:170 offset1:187
	ds_load_2addr_b32 v[143:144], v139 offset0:204 offset1:221
	;; [unrolled: 1-line block ×3, first 2 shown]
	v_sub_f32_e32 v139, v160, v129
	v_exp_f32_e32 v166, v166
	v_mul_f32_e32 v160, 0x3fb8aa3b, v162
	v_exp_f32_e32 v162, v167
	v_cndmask_b32_e64 v150, v164, v150, s3
	v_mul_f32_e32 v139, 0x3fb8aa3b, v139
	v_cmp_eq_u32_e64 s3, 2, v149
	s_waitcnt lgkmcnt(0)
	s_barrier
	buffer_gl0_inv
	v_exp_f32_e32 v139, v139
	v_cndmask_b32_e64 v150, v150, v165, s3
	v_cmp_eq_u32_e64 s3, 3, v149
	v_fmac_f32_e32 v130, v165, v141
	v_sub_f32_e32 v141, v161, v129
	v_exp_f32_e32 v160, v160
	s_delay_alu instid0(VALU_DEP_3) | instskip(SKIP_1) | instid1(VALU_DEP_3)
	v_cndmask_b32_e64 v150, v150, v166, s3
	v_cmp_eq_u32_e64 s3, 4, v149
	v_dual_fmac_f32 v130, v166, v142 :: v_dual_mul_f32 v141, 0x3fb8aa3b, v141
	s_delay_alu instid0(VALU_DEP_2) | instskip(SKIP_1) | instid1(VALU_DEP_3)
	v_cndmask_b32_e64 v150, v150, v162, s3
	v_cmp_eq_u32_e64 s3, 5, v149
	v_exp_f32_e32 v141, v141
	s_delay_alu instid0(VALU_DEP_3)
	v_fmac_f32_e32 v130, v162, v143
	s_delay_alu instid0(TRANS32_DEP_2) | instid1(VALU_DEP_2)
	v_cndmask_b32_e64 v150, v150, v160, s3
	s_delay_alu instid0(VALU_DEP_2) | instskip(NEXT) | instid1(VALU_DEP_1)
	v_fmac_f32_e32 v130, v160, v144
	v_fmac_f32_e32 v130, v139, v158
	s_waitcnt_depctr 0xfff
	v_fmac_f32_e32 v130, v141, v159
	s_delay_alu instid0(VALU_DEP_1) | instskip(NEXT) | instid1(VALU_DEP_1)
	v_add_f32_e32 v142, 0x358637bd, v130
	v_div_scale_f32 v143, null, v142, v142, 1.0
	v_div_scale_f32 v159, vcc_lo, 1.0, v142, 1.0
	s_delay_alu instid0(VALU_DEP_2) | instskip(SKIP_2) | instid1(VALU_DEP_1)
	v_rcp_f32_e32 v144, v143
	s_waitcnt_depctr 0xfff
	v_fma_f32 v158, -v143, v144, 1.0
	v_fmac_f32_e32 v144, v158, v144
	s_delay_alu instid0(VALU_DEP_1) | instskip(NEXT) | instid1(VALU_DEP_1)
	v_mul_f32_e32 v158, v159, v144
	v_fma_f32 v161, -v143, v158, v159
	s_delay_alu instid0(VALU_DEP_1) | instskip(NEXT) | instid1(VALU_DEP_1)
	v_fmac_f32_e32 v158, v161, v144
	v_fma_f32 v143, -v143, v158, v159
	s_delay_alu instid0(VALU_DEP_1) | instskip(SKIP_1) | instid1(VALU_DEP_2)
	v_div_fmas_f32 v143, v143, v144, v158
	v_cmp_eq_u32_e32 vcc_lo, 6, v149
	v_div_fixup_f32 v142, v143, v142, 1.0
	v_cndmask_b32_e32 v139, v150, v139, vcc_lo
	v_cmp_eq_u32_e32 vcc_lo, 7, v149
	s_delay_alu instid0(VALU_DEP_2) | instskip(NEXT) | instid1(VALU_DEP_1)
	v_cndmask_b32_e32 v139, v139, v141, vcc_lo
	v_mul_f32_e32 v139, v139, v142
	s_delay_alu instid0(VALU_DEP_1) | instskip(SKIP_4) | instid1(VALU_DEP_4)
	v_mul_f32_e32 v153, v139, v153
	v_mul_f32_e32 v142, v139, v152
	;; [unrolled: 1-line block ×5, first 2 shown]
	v_dual_mul_f32 v152, v139, v155 :: v_dual_and_b32 v141, 0x7f800000, v142
	v_mul_f32_e32 v154, v139, v154
	v_mul_f32_e32 v144, v139, v151
	s_delay_alu instid0(VALU_DEP_3) | instskip(SKIP_1) | instid1(SALU_CYCLE_1)
	v_cmp_ne_u32_e32 vcc_lo, 0x7f800000, v141
                                        ; implicit-def: $vgpr141
	s_and_saveexec_b32 s3, vcc_lo
	s_xor_b32 s3, exec_lo, s3
; %bb.13:
	v_bfe_u32 v141, v142, 16, 1
	s_delay_alu instid0(VALU_DEP_1)
	v_add3_u32 v141, v142, v141, 0x7fff
                                        ; implicit-def: $vgpr142
; %bb.14:
	s_and_not1_saveexec_b32 s3, s3
; %bb.15:
	v_and_b32_e32 v141, 0xffff, v142
	v_or_b32_e32 v151, 0x10000, v142
	s_delay_alu instid0(VALU_DEP_2) | instskip(NEXT) | instid1(VALU_DEP_2)
	v_cmp_eq_u32_e32 vcc_lo, 0, v141
	v_cndmask_b32_e32 v141, v151, v142, vcc_lo
; %bb.16:
	s_or_b32 exec_lo, exec_lo, s3
	v_and_b32_e32 v142, 0x7f800000, v144
	s_delay_alu instid0(VALU_DEP_1) | instskip(SKIP_1) | instid1(SALU_CYCLE_1)
	v_cmp_ne_u32_e32 vcc_lo, 0x7f800000, v142
                                        ; implicit-def: $vgpr142
	s_and_saveexec_b32 s3, vcc_lo
	s_xor_b32 s3, exec_lo, s3
; %bb.17:
	v_bfe_u32 v142, v144, 16, 1
	s_delay_alu instid0(VALU_DEP_1)
	v_add3_u32 v142, v144, v142, 0x7fff
                                        ; implicit-def: $vgpr144
; %bb.18:
	s_and_not1_saveexec_b32 s3, s3
; %bb.19:
	v_and_b32_e32 v142, 0xffff, v144
	v_or_b32_e32 v151, 0x10000, v144
	s_delay_alu instid0(VALU_DEP_2) | instskip(NEXT) | instid1(VALU_DEP_2)
	v_cmp_eq_u32_e32 vcc_lo, 0, v142
	v_cndmask_b32_e32 v142, v151, v144, vcc_lo
; %bb.20:
	s_or_b32 exec_lo, exec_lo, s3
	v_and_b32_e32 v144, 0x7f800000, v153
	s_delay_alu instid0(VALU_DEP_1) | instskip(SKIP_1) | instid1(SALU_CYCLE_1)
	v_cmp_ne_u32_e32 vcc_lo, 0x7f800000, v144
                                        ; implicit-def: $vgpr144
	s_and_saveexec_b32 s3, vcc_lo
	s_xor_b32 s3, exec_lo, s3
; %bb.21:
	v_bfe_u32 v144, v153, 16, 1
	s_delay_alu instid0(VALU_DEP_1)
	v_add3_u32 v144, v153, v144, 0x7fff
                                        ; implicit-def: $vgpr153
; %bb.22:
	s_and_not1_saveexec_b32 s3, s3
; %bb.23:
	v_and_b32_e32 v144, 0xffff, v153
	v_or_b32_e32 v151, 0x10000, v153
	s_delay_alu instid0(VALU_DEP_2) | instskip(NEXT) | instid1(VALU_DEP_2)
	v_cmp_eq_u32_e32 vcc_lo, 0, v144
	v_cndmask_b32_e32 v144, v151, v153, vcc_lo
; %bb.24:
	s_or_b32 exec_lo, exec_lo, s3
	v_and_b32_e32 v151, 0x7f800000, v154
	s_delay_alu instid0(VALU_DEP_1) | instskip(SKIP_1) | instid1(SALU_CYCLE_1)
	v_cmp_ne_u32_e32 vcc_lo, 0x7f800000, v151
                                        ; implicit-def: $vgpr151
	s_and_saveexec_b32 s3, vcc_lo
	s_xor_b32 s3, exec_lo, s3
; %bb.25:
	v_bfe_u32 v151, v154, 16, 1
	s_delay_alu instid0(VALU_DEP_1)
	v_add3_u32 v151, v154, v151, 0x7fff
                                        ; implicit-def: $vgpr154
; %bb.26:
	s_and_not1_saveexec_b32 s3, s3
; %bb.27:
	v_and_b32_e32 v151, 0xffff, v154
	v_or_b32_e32 v153, 0x10000, v154
	s_delay_alu instid0(VALU_DEP_2) | instskip(NEXT) | instid1(VALU_DEP_2)
	v_cmp_eq_u32_e32 vcc_lo, 0, v151
	v_cndmask_b32_e32 v151, v153, v154, vcc_lo
; %bb.28:
	s_or_b32 exec_lo, exec_lo, s3
	v_and_b32_e32 v153, 0x7f800000, v152
	s_delay_alu instid0(VALU_DEP_1) | instskip(SKIP_1) | instid1(SALU_CYCLE_1)
	v_cmp_ne_u32_e32 vcc_lo, 0x7f800000, v153
                                        ; implicit-def: $vgpr153
	s_and_saveexec_b32 s3, vcc_lo
	s_xor_b32 s3, exec_lo, s3
; %bb.29:
	v_bfe_u32 v153, v152, 16, 1
	s_delay_alu instid0(VALU_DEP_1)
	v_add3_u32 v153, v152, v153, 0x7fff
                                        ; implicit-def: $vgpr152
; %bb.30:
	s_and_not1_saveexec_b32 s3, s3
; %bb.31:
	v_and_b32_e32 v153, 0xffff, v152
	v_or_b32_e32 v154, 0x10000, v152
	s_delay_alu instid0(VALU_DEP_2) | instskip(NEXT) | instid1(VALU_DEP_2)
	v_cmp_eq_u32_e32 vcc_lo, 0, v153
	v_cndmask_b32_e32 v153, v154, v152, vcc_lo
; %bb.32:
	s_or_b32 exec_lo, exec_lo, s3
	v_and_b32_e32 v152, 0x7f800000, v150
	s_delay_alu instid0(VALU_DEP_1) | instskip(SKIP_1) | instid1(SALU_CYCLE_1)
	v_cmp_ne_u32_e32 vcc_lo, 0x7f800000, v152
                                        ; implicit-def: $vgpr152
	s_and_saveexec_b32 s3, vcc_lo
	s_xor_b32 s3, exec_lo, s3
; %bb.33:
	v_bfe_u32 v152, v150, 16, 1
	s_delay_alu instid0(VALU_DEP_1)
	v_add3_u32 v152, v150, v152, 0x7fff
                                        ; implicit-def: $vgpr150
; %bb.34:
	s_and_not1_saveexec_b32 s3, s3
; %bb.35:
	v_and_b32_e32 v152, 0xffff, v150
	v_or_b32_e32 v154, 0x10000, v150
	s_delay_alu instid0(VALU_DEP_2) | instskip(NEXT) | instid1(VALU_DEP_2)
	v_cmp_eq_u32_e32 vcc_lo, 0, v152
	v_cndmask_b32_e32 v152, v154, v150, vcc_lo
; %bb.36:
	s_or_b32 exec_lo, exec_lo, s3
	v_and_b32_e32 v150, 0x7f800000, v143
	s_delay_alu instid0(VALU_DEP_1) | instskip(SKIP_1) | instid1(SALU_CYCLE_1)
	v_cmp_ne_u32_e32 vcc_lo, 0x7f800000, v150
                                        ; implicit-def: $vgpr150
	s_and_saveexec_b32 s3, vcc_lo
	s_xor_b32 s3, exec_lo, s3
; %bb.37:
	v_bfe_u32 v150, v143, 16, 1
	s_delay_alu instid0(VALU_DEP_1)
	v_add3_u32 v150, v143, v150, 0x7fff
                                        ; implicit-def: $vgpr143
; %bb.38:
	s_and_not1_saveexec_b32 s3, s3
; %bb.39:
	v_and_b32_e32 v150, 0xffff, v143
	v_or_b32_e32 v154, 0x10000, v143
	s_delay_alu instid0(VALU_DEP_2) | instskip(NEXT) | instid1(VALU_DEP_2)
	v_cmp_eq_u32_e32 vcc_lo, 0, v150
	v_cndmask_b32_e32 v150, v154, v143, vcc_lo
; %bb.40:
	s_or_b32 exec_lo, exec_lo, s3
	v_and_b32_e32 v143, 0x7f800000, v140
	s_delay_alu instid0(VALU_DEP_1) | instskip(SKIP_1) | instid1(SALU_CYCLE_1)
	v_cmp_ne_u32_e32 vcc_lo, 0x7f800000, v143
                                        ; implicit-def: $vgpr143
	s_and_saveexec_b32 s3, vcc_lo
	s_xor_b32 s3, exec_lo, s3
; %bb.41:
	v_bfe_u32 v143, v140, 16, 1
	s_delay_alu instid0(VALU_DEP_1)
	v_add3_u32 v143, v140, v143, 0x7fff
                                        ; implicit-def: $vgpr140
; %bb.42:
	s_and_not1_saveexec_b32 s3, s3
; %bb.43:
	v_and_b32_e32 v143, 0xffff, v140
	v_or_b32_e32 v154, 0x10000, v140
	s_delay_alu instid0(VALU_DEP_2) | instskip(NEXT) | instid1(VALU_DEP_2)
	v_cmp_eq_u32_e32 vcc_lo, 0, v143
	v_cndmask_b32_e32 v143, v154, v140, vcc_lo
; %bb.44:
	s_or_b32 exec_lo, exec_lo, s3
	s_load_b64 s[34:35], s[0:1], 0x94
	v_dual_mul_f32 v136, v139, v136 :: v_dual_lshlrev_b32 v155, 4, v146
	s_delay_alu instid0(VALU_DEP_2)
	v_perm_b32 v154, v143, v150, 0x7060302
	v_dual_mul_f32 v143, v139, v131 :: v_dual_lshlrev_b32 v140, 6, v148
	v_dual_mul_f32 v135, v139, v135 :: v_dual_lshlrev_b32 v150, 11, v149
	v_perm_b32 v153, v152, v153, 0x7060302
	v_perm_b32 v152, v151, v144, 0x7060302
	;; [unrolled: 1-line block ×3, first 2 shown]
	s_delay_alu instid0(VALU_DEP_4)
	v_or3_b32 v131, v155, v150, v140
	v_mul_f32_e32 v138, v139, v138
	v_dual_mul_f32 v137, v139, v137 :: v_dual_and_b32 v144, 0x7f800000, v143
	v_mul_f32_e32 v141, v139, v134
	v_mul_f32_e32 v142, v139, v133
	v_mul_f32_e32 v134, v139, v132
	s_mov_b32 s3, exec_lo
	ds_store_b128 v131, v[151:154]
                                        ; implicit-def: $vgpr132
	v_cmpx_ne_u32_e32 0x7f800000, v144
	s_xor_b32 s3, exec_lo, s3
; %bb.45:
	v_bfe_u32 v132, v143, 16, 1
	s_delay_alu instid0(VALU_DEP_1)
	v_add3_u32 v132, v143, v132, 0x7fff
                                        ; implicit-def: $vgpr143
; %bb.46:
	s_and_not1_saveexec_b32 s3, s3
; %bb.47:
	v_and_b32_e32 v132, 0xffff, v143
	v_or_b32_e32 v133, 0x10000, v143
	s_delay_alu instid0(VALU_DEP_2) | instskip(NEXT) | instid1(VALU_DEP_2)
	v_cmp_eq_u32_e32 vcc_lo, 0, v132
	v_cndmask_b32_e32 v132, v133, v143, vcc_lo
; %bb.48:
	s_or_b32 exec_lo, exec_lo, s3
	v_and_b32_e32 v133, 0x7f800000, v134
	s_delay_alu instid0(VALU_DEP_1) | instskip(SKIP_1) | instid1(SALU_CYCLE_1)
	v_cmp_ne_u32_e32 vcc_lo, 0x7f800000, v133
                                        ; implicit-def: $vgpr133
	s_and_saveexec_b32 s3, vcc_lo
	s_xor_b32 s3, exec_lo, s3
; %bb.49:
	v_bfe_u32 v133, v134, 16, 1
	s_delay_alu instid0(VALU_DEP_1)
	v_add3_u32 v133, v134, v133, 0x7fff
                                        ; implicit-def: $vgpr134
; %bb.50:
	s_and_not1_saveexec_b32 s3, s3
; %bb.51:
	v_and_b32_e32 v133, 0xffff, v134
	v_or_b32_e32 v139, 0x10000, v134
	s_delay_alu instid0(VALU_DEP_2) | instskip(NEXT) | instid1(VALU_DEP_2)
	v_cmp_eq_u32_e32 vcc_lo, 0, v133
	v_cndmask_b32_e32 v133, v139, v134, vcc_lo
; %bb.52:
	s_or_b32 exec_lo, exec_lo, s3
	v_and_b32_e32 v134, 0x7f800000, v142
	s_delay_alu instid0(VALU_DEP_1) | instskip(SKIP_1) | instid1(SALU_CYCLE_1)
	v_cmp_ne_u32_e32 vcc_lo, 0x7f800000, v134
                                        ; implicit-def: $vgpr134
	s_and_saveexec_b32 s3, vcc_lo
	s_xor_b32 s3, exec_lo, s3
; %bb.53:
	v_bfe_u32 v134, v142, 16, 1
	s_delay_alu instid0(VALU_DEP_1)
	v_add3_u32 v134, v142, v134, 0x7fff
                                        ; implicit-def: $vgpr142
; %bb.54:
	s_and_not1_saveexec_b32 s3, s3
; %bb.55:
	v_and_b32_e32 v134, 0xffff, v142
	v_or_b32_e32 v139, 0x10000, v142
	s_delay_alu instid0(VALU_DEP_2) | instskip(NEXT) | instid1(VALU_DEP_2)
	v_cmp_eq_u32_e32 vcc_lo, 0, v134
	v_cndmask_b32_e32 v134, v139, v142, vcc_lo
; %bb.56:
	s_or_b32 exec_lo, exec_lo, s3
	v_and_b32_e32 v139, 0x7f800000, v141
	s_delay_alu instid0(VALU_DEP_1) | instskip(SKIP_1) | instid1(SALU_CYCLE_1)
	v_cmp_ne_u32_e32 vcc_lo, 0x7f800000, v139
                                        ; implicit-def: $vgpr139
	s_and_saveexec_b32 s3, vcc_lo
	s_xor_b32 s3, exec_lo, s3
; %bb.57:
	v_bfe_u32 v139, v141, 16, 1
	s_delay_alu instid0(VALU_DEP_1)
	v_add3_u32 v139, v141, v139, 0x7fff
                                        ; implicit-def: $vgpr141
; %bb.58:
	s_and_not1_saveexec_b32 s3, s3
; %bb.59:
	v_and_b32_e32 v139, 0xffff, v141
	v_or_b32_e32 v142, 0x10000, v141
	s_delay_alu instid0(VALU_DEP_2) | instskip(NEXT) | instid1(VALU_DEP_2)
	v_cmp_eq_u32_e32 vcc_lo, 0, v139
	v_cndmask_b32_e32 v139, v142, v141, vcc_lo
; %bb.60:
	s_or_b32 exec_lo, exec_lo, s3
	v_and_b32_e32 v141, 0x7f800000, v135
	s_delay_alu instid0(VALU_DEP_1) | instskip(SKIP_1) | instid1(SALU_CYCLE_1)
	v_cmp_ne_u32_e32 vcc_lo, 0x7f800000, v141
                                        ; implicit-def: $vgpr141
	s_and_saveexec_b32 s3, vcc_lo
	s_xor_b32 s3, exec_lo, s3
; %bb.61:
	v_bfe_u32 v141, v135, 16, 1
	s_delay_alu instid0(VALU_DEP_1)
	v_add3_u32 v141, v135, v141, 0x7fff
                                        ; implicit-def: $vgpr135
; %bb.62:
	s_and_not1_saveexec_b32 s3, s3
; %bb.63:
	v_and_b32_e32 v141, 0xffff, v135
	v_or_b32_e32 v142, 0x10000, v135
	s_delay_alu instid0(VALU_DEP_2) | instskip(NEXT) | instid1(VALU_DEP_2)
	v_cmp_eq_u32_e32 vcc_lo, 0, v141
	v_cndmask_b32_e32 v141, v142, v135, vcc_lo
; %bb.64:
	s_or_b32 exec_lo, exec_lo, s3
	v_and_b32_e32 v135, 0x7f800000, v136
	s_delay_alu instid0(VALU_DEP_1) | instskip(SKIP_1) | instid1(SALU_CYCLE_1)
	v_cmp_ne_u32_e32 vcc_lo, 0x7f800000, v135
                                        ; implicit-def: $vgpr135
	s_and_saveexec_b32 s3, vcc_lo
	s_xor_b32 s3, exec_lo, s3
; %bb.65:
	v_bfe_u32 v135, v136, 16, 1
	s_delay_alu instid0(VALU_DEP_1)
	v_add3_u32 v135, v136, v135, 0x7fff
                                        ; implicit-def: $vgpr136
; %bb.66:
	s_and_not1_saveexec_b32 s3, s3
; %bb.67:
	v_and_b32_e32 v135, 0xffff, v136
	v_or_b32_e32 v142, 0x10000, v136
	s_delay_alu instid0(VALU_DEP_2) | instskip(NEXT) | instid1(VALU_DEP_2)
	v_cmp_eq_u32_e32 vcc_lo, 0, v135
	v_cndmask_b32_e32 v135, v142, v136, vcc_lo
; %bb.68:
	s_or_b32 exec_lo, exec_lo, s3
	v_and_b32_e32 v136, 0x7f800000, v137
	s_delay_alu instid0(VALU_DEP_1) | instskip(SKIP_1) | instid1(SALU_CYCLE_1)
	v_cmp_ne_u32_e32 vcc_lo, 0x7f800000, v136
                                        ; implicit-def: $vgpr136
	s_and_saveexec_b32 s3, vcc_lo
	s_xor_b32 s3, exec_lo, s3
; %bb.69:
	v_bfe_u32 v136, v137, 16, 1
	s_delay_alu instid0(VALU_DEP_1)
	v_add3_u32 v136, v137, v136, 0x7fff
                                        ; implicit-def: $vgpr137
; %bb.70:
	s_and_not1_saveexec_b32 s3, s3
; %bb.71:
	v_and_b32_e32 v136, 0xffff, v137
	v_or_b32_e32 v142, 0x10000, v137
	s_delay_alu instid0(VALU_DEP_2) | instskip(NEXT) | instid1(VALU_DEP_2)
	v_cmp_eq_u32_e32 vcc_lo, 0, v136
	v_cndmask_b32_e32 v136, v142, v137, vcc_lo
; %bb.72:
	s_or_b32 exec_lo, exec_lo, s3
	v_and_b32_e32 v137, 0x7f800000, v138
	s_delay_alu instid0(VALU_DEP_1) | instskip(SKIP_1) | instid1(SALU_CYCLE_1)
	v_cmp_ne_u32_e32 vcc_lo, 0x7f800000, v137
                                        ; implicit-def: $vgpr137
	s_and_saveexec_b32 s3, vcc_lo
	s_xor_b32 s3, exec_lo, s3
; %bb.73:
	v_bfe_u32 v137, v138, 16, 1
	s_delay_alu instid0(VALU_DEP_1)
	v_add3_u32 v137, v138, v137, 0x7fff
                                        ; implicit-def: $vgpr138
; %bb.74:
	s_and_not1_saveexec_b32 s3, s3
; %bb.75:
	v_and_b32_e32 v137, 0xffff, v138
	v_or_b32_e32 v142, 0x10000, v138
	s_delay_alu instid0(VALU_DEP_2) | instskip(NEXT) | instid1(VALU_DEP_2)
	v_cmp_eq_u32_e32 vcc_lo, 0, v137
	v_cndmask_b32_e32 v137, v142, v138, vcc_lo
; %bb.76:
	s_or_b32 exec_lo, exec_lo, s3
	s_delay_alu instid0(VALU_DEP_1)
	v_perm_b32 v136, v137, v136, 0x7060302
	v_perm_b32 v135, v135, v141, 0x7060302
	;; [unrolled: 1-line block ×4, first 2 shown]
	v_lshl_or_b32 v141, v149, 11, v140
	ds_store_b128 v131, v[133:136] offset:1024
	s_waitcnt lgkmcnt(0)
	s_barrier
	buffer_gl0_inv
	ds_load_b128 v[132:135], v141
	ds_load_b128 v[149:152], v141 offset:16
	s_waitcnt lgkmcnt(1)
	v_lshrrev_b32_e32 v136, 16, v132
	s_waitcnt lgkmcnt(0)
	v_lshrrev_b32_e32 v164, 16, v151
	v_lshlrev_b32_e32 v138, 2, v146
	v_lshrrev_b32_e32 v143, 16, v149
	v_lshrrev_b32_e32 v162, 16, v150
	;; [unrolled: 1-line block ×4, first 2 shown]
	v_or_b32_e32 v139, 1, v138
	v_lshrrev_b32_e32 v165, 16, v152
	v_lshrrev_b32_e32 v163, 16, v135
	s_delay_alu instid0(VALU_DEP_3)
	v_cmp_eq_u32_e64 s7, 1, v139
	v_cmp_eq_u32_e64 s6, 2, v139
	;; [unrolled: 1-line block ×4, first 2 shown]
	v_cmp_eq_u32_e32 vcc_lo, 5, v139
	v_cndmask_b32_e64 v155, v149, v143, s7
	v_cndmask_b32_e64 v154, v132, v136, s7
	v_cmp_eq_u32_e64 s4, 6, v139
	v_cmp_eq_u32_e64 s19, 7, v139
	s_delay_alu instid0(VALU_DEP_4) | instskip(NEXT) | instid1(VALU_DEP_4)
	v_cndmask_b32_e64 v155, v155, v150, s6
	v_cndmask_b32_e64 v154, v154, v133, s6
	s_delay_alu instid0(VALU_DEP_2) | instskip(NEXT) | instid1(VALU_DEP_2)
	v_cndmask_b32_e64 v155, v155, v162, s5
	v_cndmask_b32_e64 v154, v154, v144, s5
	s_delay_alu instid0(VALU_DEP_2) | instskip(NEXT) | instid1(VALU_DEP_2)
	v_cndmask_b32_e64 v155, v155, v151, s3
	v_cndmask_b32_e64 v154, v154, v134, s3
	s_delay_alu instid0(VALU_DEP_2)
	v_cndmask_b32_e32 v157, v155, v164, vcc_lo
	v_cmp_eq_u32_e64 s12, 1, v138
	v_cmp_eq_u32_e64 s11, 2, v138
	;; [unrolled: 1-line block ×3, first 2 shown]
	v_or_b32_e32 v137, 2, v138
	v_cmp_eq_u32_e64 s17, 4, v138
	v_cndmask_b32_e64 v153, v149, v143, s12
	v_cndmask_b32_e64 v142, v132, v136, s12
	v_cmp_eq_u32_e64 s13, 5, v138
	v_cmp_eq_u32_e64 s8, 1, v137
	;; [unrolled: 1-line block ×3, first 2 shown]
	v_cndmask_b32_e64 v153, v153, v150, s11
	v_cndmask_b32_e64 v142, v142, v133, s11
	v_cmp_eq_u32_e64 s10, 2, v137
	v_cndmask_b32_e64 v156, v132, v136, s8
	v_cndmask_b32_e32 v154, v154, v161, vcc_lo
	v_cndmask_b32_e64 v153, v153, v162, s16
	v_cndmask_b32_e64 v142, v142, v144, s16
	v_cmp_eq_u32_e64 s9, 7, v138
	v_cndmask_b32_e64 v156, v156, v133, s10
	v_cmp_eq_u32_e64 s18, 3, v137
	v_cndmask_b32_e64 v153, v153, v151, s17
	v_cndmask_b32_e64 v142, v142, v134, s17
	;; [unrolled: 1-line block ×3, first 2 shown]
	v_cmp_eq_u32_e64 s20, 4, v137
	v_cndmask_b32_e64 v156, v156, v144, s18
	v_cndmask_b32_e64 v153, v153, v164, s13
	;; [unrolled: 1-line block ×4, first 2 shown]
	v_cmp_eq_u32_e64 s22, 5, v137
	v_cndmask_b32_e64 v159, v156, v134, s20
	v_cndmask_b32_e64 v153, v153, v152, s15
	;; [unrolled: 1-line block ×3, first 2 shown]
	v_cmp_eq_u32_e64 s25, 6, v137
	v_cmp_eq_u32_e64 s27, 7, v137
	v_cndmask_b32_e64 v169, v159, v161, s22
	v_cndmask_b32_e64 v167, v153, v165, s9
	;; [unrolled: 1-line block ×4, first 2 shown]
	v_or_b32_e32 v142, 3, v138
	s_delay_alu instid0(VALU_DEP_3)
	v_cndmask_b32_e64 v158, v153, v150, s10
	ds_load_b128 v[153:156], v141 offset:1024
	v_cmp_eq_u32_e64 s21, 1, v142
	v_cmp_eq_u32_e64 s23, 2, v142
	;; [unrolled: 1-line block ×3, first 2 shown]
	v_cndmask_b32_e64 v158, v158, v162, s18
	v_cmp_eq_u32_e64 s26, 4, v142
	v_cndmask_b32_e64 v132, v132, v136, s21
	v_cndmask_b32_e64 v136, v157, v152, s4
	;; [unrolled: 1-line block ×4, first 2 shown]
	ds_load_b128 v[157:160], v141 offset:1040
	v_cndmask_b32_e64 v132, v132, v133, s23
	v_cmp_eq_u32_e64 s28, 5, v142
	v_cndmask_b32_e64 v143, v143, v150, s23
	v_cmp_eq_u32_e64 s29, 6, v142
	v_cndmask_b32_e64 v133, v170, v164, s22
	v_cndmask_b32_e64 v132, v132, v144, s24
	;; [unrolled: 1-line block ×5, first 2 shown]
	s_waitcnt lgkmcnt(1)
	v_lshrrev_b32_e32 v149, 16, v153
	v_cndmask_b32_e64 v132, v132, v134, s26
	v_cndmask_b32_e64 v133, v133, v152, s25
	v_cndmask_b32_e64 v134, v143, v151, s26
	v_lshrrev_b32_e32 v151, 16, v154
	v_cndmask_b32_e64 v143, v153, v149, s12
	v_cndmask_b32_e64 v132, v132, v161, s28
	;; [unrolled: 1-line block ×5, first 2 shown]
	s_waitcnt lgkmcnt(0)
	v_lshrrev_b32_e32 v150, 16, v157
	v_cndmask_b32_e64 v143, v143, v154, s11
	v_cndmask_b32_e64 v132, v132, v135, s29
	;; [unrolled: 1-line block ×3, first 2 shown]
	v_lshrrev_b32_e32 v164, 16, v159
	v_cndmask_b32_e64 v162, v157, v150, s12
	v_cndmask_b32_e64 v135, v143, v151, s16
	;; [unrolled: 1-line block ×3, first 2 shown]
	v_lshrrev_b32_e32 v161, 16, v158
	v_cndmask_b32_e64 v133, v133, v165, s27
	v_cndmask_b32_e64 v152, v162, v158, s11
	v_cmp_eq_u32_e64 s11, 7, v142
	v_cndmask_b32_e64 v143, v143, v151, s5
	v_cndmask_b32_e64 v135, v135, v155, s17
	v_lshrrev_b32_e32 v162, 16, v155
	v_cndmask_b32_e64 v152, v152, v161, s16
	v_cndmask_b32_e64 v132, v132, v163, s11
	;; [unrolled: 1-line block ×6, first 2 shown]
	s_delay_alu instid0(VALU_DEP_4) | instskip(NEXT) | instid1(VALU_DEP_4)
	v_perm_b32 v135, v134, v132, 0x5040100
	v_cndmask_b32_e32 v132, v143, v162, vcc_lo
	s_delay_alu instid0(VALU_DEP_4)
	v_cndmask_b32_e64 v143, v163, v156, s15
	v_lshrrev_b32_e32 v163, 16, v156
	v_cndmask_b32_e64 v152, v152, v164, s13
	v_perm_b32 v134, v133, v144, 0x5040100
	v_cndmask_b32_e64 v132, v132, v156, s4
	v_perm_b32 v133, v136, v168, 0x5040100
	v_cndmask_b32_e64 v136, v143, v163, s9
	v_cndmask_b32_e64 v143, v152, v160, s15
	;; [unrolled: 1-line block ×13, first 2 shown]
	v_lshrrev_b32_e32 v144, 16, v160
	v_cndmask_b32_e64 v132, v132, v151, s18
	v_cndmask_b32_e64 v149, v149, v151, s24
	;; [unrolled: 1-line block ×14, first 2 shown]
	v_cndmask_b32_e32 v150, v150, v164, vcc_lo
	v_cndmask_b32_e64 v132, v132, v156, s25
	v_cndmask_b32_e64 v149, v149, v156, s29
	;; [unrolled: 1-line block ×11, first 2 shown]
	v_perm_b32 v132, v167, v166, 0x5040100
	v_perm_b32 v152, v151, v149, 0x5040100
	;; [unrolled: 1-line block ×5, first 2 shown]
	s_mul_i32 s8, s35, 6
	s_mov_b32 s3, exec_lo
	ds_store_b128 v131, v[132:135]
	ds_store_b128 v131, v[149:152] offset:1024
	v_cmpx_gt_u32_e32 6, v0
	s_cbranch_execz .LBB483_78
; %bb.77:
	s_mul_i32 s4, s8, s30
	s_delay_alu instid0(SALU_CYCLE_1) | instskip(SKIP_1) | instid1(VALU_DEP_1)
	v_add3_u32 v133, s4, s31, v148
	s_load_b128 s[4:7], s[0:1], 0x58
	v_mad_u64_u32 v[131:132], null, v133, s34, s[14:15]
	s_delay_alu instid0(VALU_DEP_1) | instskip(NEXT) | instid1(VALU_DEP_1)
	v_ashrrev_i32_e32 v132, 31, v131
	v_lshlrev_b64 v[131:132], 2, v[131:132]
	s_waitcnt lgkmcnt(0)
	s_delay_alu instid0(VALU_DEP_1) | instskip(NEXT) | instid1(VALU_DEP_2)
	v_add_co_u32 v133, vcc_lo, s6, v131
	v_add_co_ci_u32_e32 v134, vcc_lo, s7, v132, vcc_lo
	v_add_co_u32 v131, vcc_lo, s4, v131
	v_add_co_ci_u32_e32 v132, vcc_lo, s5, v132, vcc_lo
	global_store_b32 v[133:134], v129, off
	global_store_b32 v[131:132], v130, off
.LBB483_78:
	s_or_b32 exec_lo, exec_lo, s3
	s_waitcnt lgkmcnt(0)
	s_waitcnt_vscnt null, 0x0
	s_barrier
	buffer_gl0_inv
	ds_load_b128 v[148:151], v140
	ds_load_b128 v[152:155], v140 offset:16
	ds_load_b128 v[160:163], v140 offset:1040
	;; [unrolled: 1-line block ×3, first 2 shown]
	v_mov_b32_e32 v129, 0
	ds_load_b128 v[168:171], v140 offset:2064
	ds_load_b128 v[164:167], v140 offset:2048
	ds_load_b128 v[176:179], v140 offset:3088
	ds_load_b128 v[172:175], v140 offset:3072
	ds_load_b128 v[184:187], v140 offset:4112
	ds_load_b128 v[180:183], v140 offset:4096
	v_mov_b32_e32 v130, v129
	v_mov_b32_e32 v131, v129
	;; [unrolled: 1-line block ×7, first 2 shown]
	s_waitcnt lgkmcnt(8)
	s_delay_alu instid0(VALU_DEP_1)
	v_wmma_f32_16x16x16_bf16 v[129:136], v[121:128], v[148:155], v[129:136]
	ds_load_b128 v[125:128], v140 offset:5136
	ds_load_b128 v[121:124], v140 offset:5120
	s_waitcnt lgkmcnt(8)
	v_wmma_f32_16x16x16_bf16 v[129:136], v[113:120], v[156:163], v[129:136]
	ds_load_b128 v[117:120], v140 offset:6160
	ds_load_b128 v[113:116], v140 offset:6144
	s_waitcnt lgkmcnt(8)
	v_wmma_f32_16x16x16_bf16 v[129:136], v[105:112], v[164:171], v[129:136]
	ds_load_b128 v[109:112], v140 offset:7184
	ds_load_b128 v[105:108], v140 offset:7168
	s_waitcnt lgkmcnt(8)
	v_wmma_f32_16x16x16_bf16 v[129:136], v[97:104], v[172:179], v[129:136]
	ds_load_b128 v[101:104], v140 offset:8208
	ds_load_b128 v[97:100], v140 offset:8192
	s_waitcnt lgkmcnt(8)
	v_wmma_f32_16x16x16_bf16 v[129:136], v[89:96], v[180:187], v[129:136]
	ds_load_b128 v[93:96], v140 offset:9232
	ds_load_b128 v[89:92], v140 offset:9216
	s_waitcnt lgkmcnt(8)
	v_wmma_f32_16x16x16_bf16 v[129:136], v[81:88], v[121:128], v[129:136]
	ds_load_b128 v[85:88], v140 offset:10256
	ds_load_b128 v[81:84], v140 offset:10240
	s_waitcnt lgkmcnt(8)
	v_wmma_f32_16x16x16_bf16 v[129:136], v[73:80], v[113:120], v[129:136]
	ds_load_b128 v[77:80], v140 offset:11280
	ds_load_b128 v[73:76], v140 offset:11264
	s_waitcnt lgkmcnt(8)
	v_wmma_f32_16x16x16_bf16 v[129:136], v[57:64], v[105:112], v[129:136]
	ds_load_b128 v[61:64], v140 offset:12304
	ds_load_b128 v[57:60], v140 offset:12288
	s_waitcnt lgkmcnt(8)
	v_wmma_f32_16x16x16_bf16 v[129:136], v[65:72], v[97:104], v[129:136]
	s_waitcnt lgkmcnt(6)
	s_delay_alu instid0(VALU_DEP_1)
	v_wmma_f32_16x16x16_bf16 v[129:136], v[49:56], v[89:96], v[129:136]
	ds_load_b128 v[53:56], v140 offset:13328
	ds_load_b128 v[49:52], v140 offset:13312
	s_waitcnt lgkmcnt(6)
	v_wmma_f32_16x16x16_bf16 v[129:136], v[41:48], v[81:88], v[129:136]
	ds_load_b128 v[45:48], v140 offset:14352
	ds_load_b128 v[41:44], v140 offset:14336
	s_waitcnt lgkmcnt(6)
	;; [unrolled: 4-line block ×3, first 2 shown]
	v_wmma_f32_16x16x16_bf16 v[129:136], v[1:8], v[57:64], v[129:136]
	s_waitcnt lgkmcnt(4)
	s_delay_alu instid0(VALU_DEP_1) | instskip(SKIP_1) | instid1(VALU_DEP_1)
	v_wmma_f32_16x16x16_bf16 v[129:136], v[25:32], v[49:56], v[129:136]
	s_waitcnt lgkmcnt(2)
	v_wmma_f32_16x16x16_bf16 v[129:136], v[33:40], v[41:48], v[129:136]
	s_waitcnt lgkmcnt(0)
	s_delay_alu instid0(VALU_DEP_1) | instskip(NEXT) | instid1(VALU_DEP_1)
	v_wmma_f32_16x16x16_bf16 v[129:136], v[9:16], v[17:24], v[129:136]
	v_and_b32_e32 v1, 0x7f800000, v129
	s_delay_alu instid0(VALU_DEP_1) | instskip(SKIP_1) | instid1(SALU_CYCLE_1)
	v_cmp_ne_u32_e32 vcc_lo, 0x7f800000, v1
                                        ; implicit-def: $vgpr1
	s_and_saveexec_b32 s3, vcc_lo
	s_xor_b32 s3, exec_lo, s3
; %bb.79:
	v_bfe_u32 v1, v129, 16, 1
	s_delay_alu instid0(VALU_DEP_1)
	v_add3_u32 v1, v129, v1, 0x7fff
; %bb.80:
	s_and_not1_saveexec_b32 s3, s3
; %bb.81:
	v_and_b32_e32 v1, 0xffff, v129
	v_or_b32_e32 v2, 0x10000, v129
	s_delay_alu instid0(VALU_DEP_2) | instskip(NEXT) | instid1(VALU_DEP_2)
	v_cmp_eq_u32_e32 vcc_lo, 0, v1
	v_cndmask_b32_e32 v1, v2, v129, vcc_lo
; %bb.82:
	s_or_b32 exec_lo, exec_lo, s3
	v_and_b32_e32 v2, 0x7f800000, v130
	s_delay_alu instid0(VALU_DEP_1) | instskip(SKIP_1) | instid1(SALU_CYCLE_1)
	v_cmp_ne_u32_e32 vcc_lo, 0x7f800000, v2
                                        ; implicit-def: $vgpr2
	s_and_saveexec_b32 s3, vcc_lo
	s_xor_b32 s3, exec_lo, s3
; %bb.83:
	v_bfe_u32 v2, v130, 16, 1
	s_delay_alu instid0(VALU_DEP_1)
	v_add3_u32 v2, v130, v2, 0x7fff
; %bb.84:
	s_and_not1_saveexec_b32 s3, s3
; %bb.85:
	v_and_b32_e32 v2, 0xffff, v130
	v_or_b32_e32 v3, 0x10000, v130
	s_delay_alu instid0(VALU_DEP_2) | instskip(NEXT) | instid1(VALU_DEP_2)
	v_cmp_eq_u32_e32 vcc_lo, 0, v2
	v_cndmask_b32_e32 v2, v3, v130, vcc_lo
; %bb.86:
	s_or_b32 exec_lo, exec_lo, s3
	v_and_b32_e32 v3, 0x7f800000, v131
	s_delay_alu instid0(VALU_DEP_1) | instskip(SKIP_1) | instid1(SALU_CYCLE_1)
	v_cmp_ne_u32_e32 vcc_lo, 0x7f800000, v3
                                        ; implicit-def: $vgpr3
	s_and_saveexec_b32 s3, vcc_lo
	s_xor_b32 s3, exec_lo, s3
; %bb.87:
	v_bfe_u32 v3, v131, 16, 1
	s_delay_alu instid0(VALU_DEP_1)
	v_add3_u32 v3, v131, v3, 0x7fff
; %bb.88:
	s_and_not1_saveexec_b32 s3, s3
; %bb.89:
	v_and_b32_e32 v3, 0xffff, v131
	v_or_b32_e32 v4, 0x10000, v131
	s_delay_alu instid0(VALU_DEP_2) | instskip(NEXT) | instid1(VALU_DEP_2)
	v_cmp_eq_u32_e32 vcc_lo, 0, v3
	v_cndmask_b32_e32 v3, v4, v131, vcc_lo
; %bb.90:
	s_or_b32 exec_lo, exec_lo, s3
	v_and_b32_e32 v4, 0x7f800000, v132
	s_delay_alu instid0(VALU_DEP_1) | instskip(SKIP_1) | instid1(SALU_CYCLE_1)
	v_cmp_ne_u32_e32 vcc_lo, 0x7f800000, v4
                                        ; implicit-def: $vgpr4
	s_and_saveexec_b32 s3, vcc_lo
	s_xor_b32 s3, exec_lo, s3
; %bb.91:
	v_bfe_u32 v4, v132, 16, 1
	s_delay_alu instid0(VALU_DEP_1)
	v_add3_u32 v4, v132, v4, 0x7fff
; %bb.92:
	s_and_not1_saveexec_b32 s3, s3
; %bb.93:
	v_and_b32_e32 v4, 0xffff, v132
	v_or_b32_e32 v5, 0x10000, v132
	s_delay_alu instid0(VALU_DEP_2) | instskip(NEXT) | instid1(VALU_DEP_2)
	v_cmp_eq_u32_e32 vcc_lo, 0, v4
	v_cndmask_b32_e32 v4, v5, v132, vcc_lo
; %bb.94:
	s_or_b32 exec_lo, exec_lo, s3
	v_and_b32_e32 v5, 0x7f800000, v133
	s_delay_alu instid0(VALU_DEP_1) | instskip(SKIP_1) | instid1(SALU_CYCLE_1)
	v_cmp_ne_u32_e32 vcc_lo, 0x7f800000, v5
                                        ; implicit-def: $vgpr5
	s_and_saveexec_b32 s3, vcc_lo
	s_xor_b32 s3, exec_lo, s3
; %bb.95:
	v_bfe_u32 v5, v133, 16, 1
	s_delay_alu instid0(VALU_DEP_1)
	v_add3_u32 v5, v133, v5, 0x7fff
; %bb.96:
	s_and_not1_saveexec_b32 s3, s3
; %bb.97:
	v_and_b32_e32 v5, 0xffff, v133
	v_or_b32_e32 v6, 0x10000, v133
	s_delay_alu instid0(VALU_DEP_2) | instskip(NEXT) | instid1(VALU_DEP_2)
	v_cmp_eq_u32_e32 vcc_lo, 0, v5
	v_cndmask_b32_e32 v5, v6, v133, vcc_lo
; %bb.98:
	s_or_b32 exec_lo, exec_lo, s3
	v_and_b32_e32 v6, 0x7f800000, v134
	s_delay_alu instid0(VALU_DEP_1) | instskip(SKIP_1) | instid1(SALU_CYCLE_1)
	v_cmp_ne_u32_e32 vcc_lo, 0x7f800000, v6
                                        ; implicit-def: $vgpr6
	s_and_saveexec_b32 s3, vcc_lo
	s_xor_b32 s3, exec_lo, s3
; %bb.99:
	v_bfe_u32 v6, v134, 16, 1
	s_delay_alu instid0(VALU_DEP_1)
	v_add3_u32 v6, v134, v6, 0x7fff
; %bb.100:
	s_and_not1_saveexec_b32 s3, s3
; %bb.101:
	v_and_b32_e32 v6, 0xffff, v134
	v_or_b32_e32 v7, 0x10000, v134
	s_delay_alu instid0(VALU_DEP_2) | instskip(NEXT) | instid1(VALU_DEP_2)
	v_cmp_eq_u32_e32 vcc_lo, 0, v6
	v_cndmask_b32_e32 v6, v7, v134, vcc_lo
; %bb.102:
	s_or_b32 exec_lo, exec_lo, s3
	v_and_b32_e32 v7, 0x7f800000, v135
	s_delay_alu instid0(VALU_DEP_1) | instskip(SKIP_1) | instid1(SALU_CYCLE_1)
	v_cmp_ne_u32_e32 vcc_lo, 0x7f800000, v7
                                        ; implicit-def: $vgpr7
	s_and_saveexec_b32 s3, vcc_lo
	s_xor_b32 s3, exec_lo, s3
; %bb.103:
	v_bfe_u32 v7, v135, 16, 1
	s_delay_alu instid0(VALU_DEP_1)
	v_add3_u32 v7, v135, v7, 0x7fff
; %bb.104:
	s_and_not1_saveexec_b32 s3, s3
; %bb.105:
	v_and_b32_e32 v7, 0xffff, v135
	v_or_b32_e32 v8, 0x10000, v135
	s_delay_alu instid0(VALU_DEP_2) | instskip(NEXT) | instid1(VALU_DEP_2)
	v_cmp_eq_u32_e32 vcc_lo, 0, v7
	v_cndmask_b32_e32 v7, v8, v135, vcc_lo
; %bb.106:
	s_or_b32 exec_lo, exec_lo, s3
	v_and_b32_e32 v8, 0x7f800000, v136
	s_delay_alu instid0(VALU_DEP_1) | instskip(SKIP_1) | instid1(SALU_CYCLE_1)
	v_cmp_ne_u32_e32 vcc_lo, 0x7f800000, v8
                                        ; implicit-def: $vgpr8
	s_and_saveexec_b32 s3, vcc_lo
	s_xor_b32 s3, exec_lo, s3
; %bb.107:
	v_bfe_u32 v8, v136, 16, 1
	s_delay_alu instid0(VALU_DEP_1)
	v_add3_u32 v8, v136, v8, 0x7fff
                                        ; implicit-def: $vgpr129_vgpr130_vgpr131_vgpr132_vgpr133_vgpr134_vgpr135_vgpr136
; %bb.108:
	s_and_not1_saveexec_b32 s3, s3
; %bb.109:
	v_and_b32_e32 v8, 0xffff, v136
	v_or_b32_e32 v9, 0x10000, v136
	s_delay_alu instid0(VALU_DEP_2) | instskip(NEXT) | instid1(VALU_DEP_2)
	v_cmp_eq_u32_e32 vcc_lo, 0, v8
	v_cndmask_b32_e32 v8, v9, v136, vcc_lo
; %bb.110:
	s_or_b32 exec_lo, exec_lo, s3
	s_delay_alu instid0(VALU_DEP_1)
	v_perm_b32 v7, v8, v7, 0x7060302
	v_perm_b32 v6, v6, v5, 0x7060302
	;; [unrolled: 1-line block ×4, first 2 shown]
	v_lshl_or_b32 v9, v146, 4, v141
	s_barrier
	buffer_gl0_inv
	v_cmp_eq_u32_e32 vcc_lo, 1, v138
	ds_store_b128 v9, v[4:7]
	s_waitcnt lgkmcnt(0)
	s_barrier
	buffer_gl0_inv
	ds_load_b128 v[1:4], v141
	ds_load_b128 v[5:8], v141 offset:16
	v_cmp_eq_u32_e64 s4, 2, v138
	v_cmp_eq_u32_e64 s3, 1, v139
	;; [unrolled: 1-line block ×5, first 2 shown]
	s_waitcnt lgkmcnt(1)
	v_lshrrev_b32_e32 v10, 16, v1
	s_waitcnt lgkmcnt(0)
	v_lshrrev_b32_e32 v14, 16, v5
	v_lshrrev_b32_e32 v15, 16, v6
	;; [unrolled: 1-line block ×4, first 2 shown]
	v_cndmask_b32_e64 v20, v1, v10, s3
	v_cndmask_b32_e32 v19, v5, v14, vcc_lo
	v_cndmask_b32_e64 v21, v5, v14, s3
	v_lshrrev_b32_e32 v16, 16, v7
	v_cmp_eq_u32_e64 s3, 1, v137
	v_lshrrev_b32_e32 v13, 16, v4
	v_cndmask_b32_e64 v19, v19, v6, s4
	v_lshrrev_b32_e32 v17, 16, v8
	s_delay_alu instid0(VALU_DEP_4) | instskip(SKIP_1) | instid1(VALU_DEP_4)
	v_cndmask_b32_e64 v22, v1, v10, s3
	v_cndmask_b32_e64 v23, v5, v14, s3
	;; [unrolled: 1-line block ×3, first 2 shown]
	v_cndmask_b32_e32 v18, v1, v10, vcc_lo
	v_cmp_eq_u32_e32 vcc_lo, 2, v139
	v_cmp_eq_u32_e64 s3, 2, v142
	v_cndmask_b32_e64 v22, v22, v2, s7
	v_cndmask_b32_e32 v20, v20, v2, vcc_lo
	v_cndmask_b32_e32 v21, v21, v6, vcc_lo
	v_cmp_eq_u32_e32 vcc_lo, 4, v138
	v_cndmask_b32_e32 v19, v19, v7, vcc_lo
	v_cndmask_b32_e64 v18, v18, v2, s4
	v_cmp_eq_u32_e64 s4, 3, v139
	s_delay_alu instid0(VALU_DEP_2) | instskip(NEXT) | instid1(VALU_DEP_2)
	v_cndmask_b32_e64 v18, v18, v11, s5
	v_cndmask_b32_e64 v21, v21, v15, s4
	v_cmp_eq_u32_e64 s5, 5, v138
	s_delay_alu instid0(VALU_DEP_3) | instskip(SKIP_1) | instid1(VALU_DEP_3)
	v_cndmask_b32_e32 v18, v18, v3, vcc_lo
	v_cmp_eq_u32_e32 vcc_lo, 4, v139
	v_cndmask_b32_e64 v19, v19, v16, s5
	s_delay_alu instid0(VALU_DEP_3) | instskip(SKIP_4) | instid1(VALU_DEP_3)
	v_cndmask_b32_e64 v18, v18, v12, s5
	v_cndmask_b32_e32 v21, v21, v7, vcc_lo
	v_cndmask_b32_e64 v20, v20, v11, s4
	v_cmp_eq_u32_e64 s4, 5, v139
	v_cmp_eq_u32_e64 s5, 6, v138
	v_cndmask_b32_e32 v20, v20, v3, vcc_lo
	s_delay_alu instid0(VALU_DEP_3) | instskip(SKIP_1) | instid1(VALU_DEP_4)
	v_cndmask_b32_e64 v21, v21, v16, s4
	v_cmp_eq_u32_e32 vcc_lo, 6, v139
	v_cndmask_b32_e64 v18, v18, v4, s5
	v_cndmask_b32_e64 v19, v19, v8, s5
	;; [unrolled: 1-line block ×3, first 2 shown]
	v_cmp_eq_u32_e64 s4, 1, v142
	v_cmp_eq_u32_e64 s5, 7, v138
	s_delay_alu instid0(VALU_DEP_3) | instskip(NEXT) | instid1(VALU_DEP_3)
	v_cndmask_b32_e32 v20, v20, v4, vcc_lo
	v_cndmask_b32_e64 v1, v1, v10, s4
	v_cndmask_b32_e64 v5, v5, v14, s4
	v_cmp_eq_u32_e64 s4, 3, v137
	v_cndmask_b32_e64 v14, v23, v6, s7
	v_cmp_eq_u32_e64 s7, 3, v142
	v_cndmask_b32_e64 v1, v1, v2, s3
	v_cndmask_b32_e64 v2, v5, v6, s3
	;; [unrolled: 1-line block ×3, first 2 shown]
	v_cmp_eq_u32_e64 s3, 4, v137
	v_cndmask_b32_e64 v6, v14, v15, s4
	v_cndmask_b32_e64 v1, v1, v11, s7
	v_cmp_eq_u32_e64 s4, 4, v142
	v_cndmask_b32_e64 v2, v2, v15, s7
	v_cndmask_b32_e64 v5, v10, v3, s3
	;; [unrolled: 3-line block ×3, first 2 shown]
	v_cndmask_b32_e64 v2, v2, v7, s4
	v_cmp_eq_u32_e64 s3, 5, v142
	v_cndmask_b32_e64 v5, v5, v12, s7
	v_cmp_eq_u32_e64 s4, 6, v137
	;; [unrolled: 2-line block ×3, first 2 shown]
	v_cndmask_b32_e64 v1, v1, v12, s3
	v_cndmask_b32_e64 v2, v2, v16, s3
	;; [unrolled: 1-line block ×4, first 2 shown]
	v_cmp_eq_u32_e64 s3, 7, v142
	v_cndmask_b32_e64 v1, v1, v4, s7
	v_cndmask_b32_e64 v2, v2, v8, s7
	v_cmp_eq_u32_e64 s4, 7, v137
	v_cndmask_b32_e32 v4, v21, v8, vcc_lo
	v_cndmask_b32_e64 v18, v18, v13, s5
	v_cndmask_b32_e64 v20, v20, v13, s6
	;; [unrolled: 1-line block ×8, first 2 shown]
	v_cmp_gt_u32_e32 vcc_lo, 32, v0
	v_perm_b32 v4, v2, v1, 0x5040100
	v_perm_b32 v3, v3, v5, 0x5040100
	;; [unrolled: 1-line block ×4, first 2 shown]
	s_and_b32 s2, vcc_lo, s2
	ds_store_b128 v9, v[1:4]
	s_waitcnt lgkmcnt(0)
	s_barrier
	buffer_gl0_inv
	s_and_saveexec_b32 s3, s2
	s_cbranch_execz .LBB483_2
; %bb.111:
	s_load_b64 s[0:1], s[0:1], 0x68
	s_lshl_b32 s4, s34, 6
	v_or_b32_e32 v3, s31, v146
	s_mul_i32 s2, s4, s30
	v_lshlrev_b32_e32 v0, 10, v0
	s_mul_i32 s2, s2, s8
	v_lshlrev_b32_e32 v1, 4, v147
	s_ashr_i32 s3, s2, 31
	v_mul_lo_u32 v12, v3, s4
	s_lshl_b64 s[2:3], s[2:3], 1
	v_lshlrev_b32_e32 v2, 6, v146
	v_and_b32_e32 v0, 0x3800, v0
	s_delay_alu instid0(VALU_DEP_1) | instskip(NEXT) | instid1(VALU_DEP_4)
	v_or3_b32 v8, v0, v1, v2
	v_ashrrev_i32_e32 v13, 31, v12
	ds_load_b128 v[0:3], v8
	ds_load_b128 v[4:7], v8 offset:128
	ds_load_b128 v[8:11], v8 offset:256
	s_waitcnt lgkmcnt(0)
	s_add_u32 s2, s0, s2
	s_addc_u32 s3, s1, s3
	s_lshl_b32 s0, s14, 6
	s_delay_alu instid0(SALU_CYCLE_1) | instskip(NEXT) | instid1(SALU_CYCLE_1)
	s_ashr_i32 s1, s0, 31
	s_lshl_b64 s[0:1], s[0:1], 1
	s_delay_alu instid0(SALU_CYCLE_1)
	s_add_u32 s0, s2, s0
	s_addc_u32 s1, s3, s1
	s_lshl_b32 s2, s34, 7
	v_add_co_u32 v18, s0, s0, v145
	v_add_nc_u32_e32 v14, s2, v12
	v_lshlrev_b64 v[12:13], 1, v[12:13]
	v_add_co_ci_u32_e64 v19, null, s1, 0, s0
	s_delay_alu instid0(VALU_DEP_3) | instskip(SKIP_1) | instid1(VALU_DEP_4)
	v_add_nc_u32_e32 v16, s2, v14
	v_ashrrev_i32_e32 v15, 31, v14
	v_add_co_u32 v12, vcc_lo, v18, v12
	s_delay_alu instid0(VALU_DEP_4) | instskip(NEXT) | instid1(VALU_DEP_4)
	v_add_co_ci_u32_e32 v13, vcc_lo, v19, v13, vcc_lo
	v_ashrrev_i32_e32 v17, 31, v16
	s_delay_alu instid0(VALU_DEP_4) | instskip(NEXT) | instid1(VALU_DEP_2)
	v_lshlrev_b64 v[14:15], 1, v[14:15]
	v_lshlrev_b64 v[16:17], 1, v[16:17]
	s_delay_alu instid0(VALU_DEP_2) | instskip(NEXT) | instid1(VALU_DEP_3)
	v_add_co_u32 v14, vcc_lo, v18, v14
	v_add_co_ci_u32_e32 v15, vcc_lo, v19, v15, vcc_lo
	s_delay_alu instid0(VALU_DEP_3) | instskip(NEXT) | instid1(VALU_DEP_4)
	v_add_co_u32 v16, vcc_lo, v18, v16
	v_add_co_ci_u32_e32 v17, vcc_lo, v19, v17, vcc_lo
	s_clause 0x2
	global_store_b128 v[12:13], v[0:3], off
	global_store_b128 v[14:15], v[4:7], off
	;; [unrolled: 1-line block ×3, first 2 shown]
	s_nop 0
	s_sendmsg sendmsg(MSG_DEALLOC_VGPRS)
	s_endpgm
	.section	.rodata,"a",@progbits
	.p2align	6, 0x0
	.amdhsa_kernel _Z39paged_attention_ll4mi_QKV_mfma16_kernelI14__hip_bfloat16S0_LN4vllm18Fp8KVCacheDataTypeE0ES0_Li16ELi64ELi256ELb0ELi6EL8MFMAType0EEvPKT_PKT0_S9_ifPKiSB_SB_iPKfiiiPfSE_PS4_PT2_iSD_SD_
		.amdhsa_group_segment_fixed_size 17472
		.amdhsa_private_segment_fixed_size 0
		.amdhsa_kernarg_size 400
		.amdhsa_user_sgpr_count 13
		.amdhsa_user_sgpr_dispatch_ptr 0
		.amdhsa_user_sgpr_queue_ptr 0
		.amdhsa_user_sgpr_kernarg_segment_ptr 1
		.amdhsa_user_sgpr_dispatch_id 0
		.amdhsa_user_sgpr_private_segment_size 0
		.amdhsa_wavefront_size32 1
		.amdhsa_uses_dynamic_stack 0
		.amdhsa_enable_private_segment 0
		.amdhsa_system_sgpr_workgroup_id_x 1
		.amdhsa_system_sgpr_workgroup_id_y 1
		.amdhsa_system_sgpr_workgroup_id_z 1
		.amdhsa_system_sgpr_workgroup_info 0
		.amdhsa_system_vgpr_workitem_id 0
		.amdhsa_next_free_vgpr 198
		.amdhsa_next_free_sgpr 52
		.amdhsa_reserve_vcc 1
		.amdhsa_float_round_mode_32 0
		.amdhsa_float_round_mode_16_64 0
		.amdhsa_float_denorm_mode_32 3
		.amdhsa_float_denorm_mode_16_64 3
		.amdhsa_dx10_clamp 1
		.amdhsa_ieee_mode 1
		.amdhsa_fp16_overflow 0
		.amdhsa_workgroup_processor_mode 1
		.amdhsa_memory_ordered 1
		.amdhsa_forward_progress 0
		.amdhsa_shared_vgpr_count 0
		.amdhsa_exception_fp_ieee_invalid_op 0
		.amdhsa_exception_fp_denorm_src 0
		.amdhsa_exception_fp_ieee_div_zero 0
		.amdhsa_exception_fp_ieee_overflow 0
		.amdhsa_exception_fp_ieee_underflow 0
		.amdhsa_exception_fp_ieee_inexact 0
		.amdhsa_exception_int_div_zero 0
	.end_amdhsa_kernel
	.section	.text._Z39paged_attention_ll4mi_QKV_mfma16_kernelI14__hip_bfloat16S0_LN4vllm18Fp8KVCacheDataTypeE0ES0_Li16ELi64ELi256ELb0ELi6EL8MFMAType0EEvPKT_PKT0_S9_ifPKiSB_SB_iPKfiiiPfSE_PS4_PT2_iSD_SD_,"axG",@progbits,_Z39paged_attention_ll4mi_QKV_mfma16_kernelI14__hip_bfloat16S0_LN4vllm18Fp8KVCacheDataTypeE0ES0_Li16ELi64ELi256ELb0ELi6EL8MFMAType0EEvPKT_PKT0_S9_ifPKiSB_SB_iPKfiiiPfSE_PS4_PT2_iSD_SD_,comdat
.Lfunc_end483:
	.size	_Z39paged_attention_ll4mi_QKV_mfma16_kernelI14__hip_bfloat16S0_LN4vllm18Fp8KVCacheDataTypeE0ES0_Li16ELi64ELi256ELb0ELi6EL8MFMAType0EEvPKT_PKT0_S9_ifPKiSB_SB_iPKfiiiPfSE_PS4_PT2_iSD_SD_, .Lfunc_end483-_Z39paged_attention_ll4mi_QKV_mfma16_kernelI14__hip_bfloat16S0_LN4vllm18Fp8KVCacheDataTypeE0ES0_Li16ELi64ELi256ELb0ELi6EL8MFMAType0EEvPKT_PKT0_S9_ifPKiSB_SB_iPKfiiiPfSE_PS4_PT2_iSD_SD_
                                        ; -- End function
	.section	.AMDGPU.csdata,"",@progbits
; Kernel info:
; codeLenInByte = 9996
; NumSgprs: 54
; NumVgprs: 198
; ScratchSize: 0
; MemoryBound: 0
; FloatMode: 240
; IeeeMode: 1
; LDSByteSize: 17472 bytes/workgroup (compile time only)
; SGPRBlocks: 6
; VGPRBlocks: 24
; NumSGPRsForWavesPerEU: 54
; NumVGPRsForWavesPerEU: 198
; Occupancy: 7
; WaveLimiterHint : 1
; COMPUTE_PGM_RSRC2:SCRATCH_EN: 0
; COMPUTE_PGM_RSRC2:USER_SGPR: 13
; COMPUTE_PGM_RSRC2:TRAP_HANDLER: 0
; COMPUTE_PGM_RSRC2:TGID_X_EN: 1
; COMPUTE_PGM_RSRC2:TGID_Y_EN: 1
; COMPUTE_PGM_RSRC2:TGID_Z_EN: 1
; COMPUTE_PGM_RSRC2:TIDIG_COMP_CNT: 0
	.section	.text._Z39paged_attention_ll4mi_QKV_mfma16_kernelI14__hip_bfloat16S0_LN4vllm18Fp8KVCacheDataTypeE0ES0_Li16ELi64ELi256ELb0ELi7EL8MFMAType0EEvPKT_PKT0_S9_ifPKiSB_SB_iPKfiiiPfSE_PS4_PT2_iSD_SD_,"axG",@progbits,_Z39paged_attention_ll4mi_QKV_mfma16_kernelI14__hip_bfloat16S0_LN4vllm18Fp8KVCacheDataTypeE0ES0_Li16ELi64ELi256ELb0ELi7EL8MFMAType0EEvPKT_PKT0_S9_ifPKiSB_SB_iPKfiiiPfSE_PS4_PT2_iSD_SD_,comdat
	.protected	_Z39paged_attention_ll4mi_QKV_mfma16_kernelI14__hip_bfloat16S0_LN4vllm18Fp8KVCacheDataTypeE0ES0_Li16ELi64ELi256ELb0ELi7EL8MFMAType0EEvPKT_PKT0_S9_ifPKiSB_SB_iPKfiiiPfSE_PS4_PT2_iSD_SD_ ; -- Begin function _Z39paged_attention_ll4mi_QKV_mfma16_kernelI14__hip_bfloat16S0_LN4vllm18Fp8KVCacheDataTypeE0ES0_Li16ELi64ELi256ELb0ELi7EL8MFMAType0EEvPKT_PKT0_S9_ifPKiSB_SB_iPKfiiiPfSE_PS4_PT2_iSD_SD_
	.globl	_Z39paged_attention_ll4mi_QKV_mfma16_kernelI14__hip_bfloat16S0_LN4vllm18Fp8KVCacheDataTypeE0ES0_Li16ELi64ELi256ELb0ELi7EL8MFMAType0EEvPKT_PKT0_S9_ifPKiSB_SB_iPKfiiiPfSE_PS4_PT2_iSD_SD_
	.p2align	8
	.type	_Z39paged_attention_ll4mi_QKV_mfma16_kernelI14__hip_bfloat16S0_LN4vllm18Fp8KVCacheDataTypeE0ES0_Li16ELi64ELi256ELb0ELi7EL8MFMAType0EEvPKT_PKT0_S9_ifPKiSB_SB_iPKfiiiPfSE_PS4_PT2_iSD_SD_,@function
_Z39paged_attention_ll4mi_QKV_mfma16_kernelI14__hip_bfloat16S0_LN4vllm18Fp8KVCacheDataTypeE0ES0_Li16ELi64ELi256ELb0ELi7EL8MFMAType0EEvPKT_PKT0_S9_ifPKiSB_SB_iPKfiiiPfSE_PS4_PT2_iSD_SD_: ; @_Z39paged_attention_ll4mi_QKV_mfma16_kernelI14__hip_bfloat16S0_LN4vllm18Fp8KVCacheDataTypeE0ES0_Li16ELi64ELi256ELb0ELi7EL8MFMAType0EEvPKT_PKT0_S9_ifPKiSB_SB_iPKfiiiPfSE_PS4_PT2_iSD_SD_
; %bb.0:
	s_load_b64 s[2:3], s[0:1], 0x30
	s_mov_b32 s34, s13
	s_waitcnt lgkmcnt(0)
	s_cmp_lg_u64 s[2:3], 0
	s_cselect_b32 s8, -1, 0
	s_ashr_i32 s35, s13, 31
	s_cmp_eq_u64 s[2:3], 0
	s_cbranch_scc1 .LBB484_3
; %bb.1:
	s_lshl_b64 s[4:5], s[34:35], 2
	s_delay_alu instid0(SALU_CYCLE_1) | instskip(SKIP_4) | instid1(SALU_CYCLE_1)
	s_add_u32 s4, s2, s4
	s_addc_u32 s5, s3, s5
	s_load_b64 s[4:5], s[4:5], 0x0
	s_waitcnt lgkmcnt(0)
	s_sub_i32 s4, s5, s4
	s_cmp_eq_u32 s4, 1
	s_cselect_b32 s4, -1, 0
	s_delay_alu instid0(SALU_CYCLE_1)
	s_and_not1_b32 vcc_lo, exec_lo, s4
	s_cbranch_vccz .LBB484_4
.LBB484_2:
	s_nop 0
	s_sendmsg sendmsg(MSG_DEALLOC_VGPRS)
	s_endpgm
.LBB484_3:
.LBB484_4:
	s_load_b64 s[4:5], s[0:1], 0x28
	s_lshl_b64 s[6:7], s[34:35], 2
	s_waitcnt lgkmcnt(0)
	s_add_u32 s4, s4, s6
	s_addc_u32 s5, s5, s7
	s_lshl_b32 s33, s14, 8
	s_load_b32 s30, s[4:5], 0x0
	s_waitcnt lgkmcnt(0)
	s_cmp_ge_i32 s33, s30
	s_cbranch_scc1 .LBB484_2
; %bb.5:
	s_clause 0x1
	s_load_b128 s[20:23], s[0:1], 0x8
	s_load_b64 s[4:5], s[0:1], 0x20
	s_and_not1_b32 vcc_lo, exec_lo, s8
	s_cbranch_vccnz .LBB484_7
; %bb.6:
	s_add_u32 s2, s2, s6
	s_addc_u32 s3, s3, s7
	s_load_b32 s3, s[2:3], 0x0
	s_branch .LBB484_8
.LBB484_7:
	s_mov_b32 s3, s34
.LBB484_8:
	s_load_b128 s[16:19], s[0:1], 0x48
	v_lshrrev_b32_e32 v149, 5, v0
	v_bfe_u32 v146, v0, 4, 1
	v_and_b32_e32 v148, 15, v0
	v_and_b32_e32 v150, 31, v0
	;; [unrolled: 1-line block ×3, first 2 shown]
	s_mul_i32 s31, s15, 7
	v_lshl_or_b32 v1, v149, 1, v146
	v_lshlrev_b32_e32 v2, 3, v148
	v_cmp_gt_u32_e64 s2, 8, v148
	s_delay_alu instid0(VALU_DEP_3) | instskip(NEXT) | instid1(VALU_DEP_3)
	v_cmp_gt_u32_e32 vcc_lo, 7, v1
	v_lshlrev_b32_e32 v145, 1, v2
	s_delay_alu instid0(VALU_DEP_3) | instskip(NEXT) | instid1(SALU_CYCLE_1)
	s_and_b32 s7, s2, vcc_lo
	s_and_saveexec_b32 s6, s7
	s_cbranch_execz .LBB484_10
; %bb.9:
	s_load_b64 s[8:9], s[0:1], 0x0
	v_add_lshl_u32 v2, v1, s31, 6
	s_waitcnt lgkmcnt(0)
	s_mul_hi_i32 s11, s3, s16
	s_mul_i32 s10, s3, s16
	v_lshlrev_b32_e32 v6, 10, v148
	s_lshl_b64 s[10:11], s[10:11], 1
	v_ashrrev_i32_e32 v3, 31, v2
	v_lshlrev_b32_e32 v1, 6, v1
	v_lshlrev_b32_e32 v7, 10, v147
	v_and_b32_e32 v6, 0x3800, v6
	s_delay_alu instid0(VALU_DEP_4) | instskip(NEXT) | instid1(VALU_DEP_2)
	v_lshlrev_b64 v[2:3], 1, v[2:3]
	v_or3_b32 v1, v6, v7, v1
	s_add_u32 s3, s8, s10
	s_addc_u32 s7, s9, s11
	s_delay_alu instid0(VALU_DEP_2) | instskip(NEXT) | instid1(VALU_DEP_3)
	v_add_co_u32 v2, vcc_lo, s3, v2
	v_add_co_ci_u32_e32 v3, vcc_lo, s7, v3, vcc_lo
	s_delay_alu instid0(VALU_DEP_2) | instskip(NEXT) | instid1(VALU_DEP_2)
	v_add_co_u32 v2, vcc_lo, v2, v145
	v_add_co_ci_u32_e32 v3, vcc_lo, 0, v3, vcc_lo
	global_load_b128 v[2:5], v[2:3], off
	s_waitcnt vmcnt(0)
	ds_store_b128 v1, v[2:5]
.LBB484_10:
	s_or_b32 exec_lo, exec_lo, s6
	v_and_b32_e32 v1, 0xef, v0
	s_waitcnt lgkmcnt(0)
	s_add_i32 s3, s30, 15
	s_clause 0x1
	s_load_b32 s6, s[0:1], 0x38
	s_load_b32 s35, s[0:1], 0x1c
	s_ashr_i32 s7, s3, 31
	v_add_nc_u32_e32 v1, s33, v1
	s_lshr_b32 s7, s7, 28
	s_waitcnt lgkmcnt(0)
	s_add_i32 s3, s3, s7
	s_barrier
	v_ashrrev_i32_e32 v2, 31, v1
	v_or_b32_e32 v3, 16, v1
	s_ashr_i32 s3, s3, 4
	v_cmp_gt_i32_e32 vcc_lo, s30, v1
	s_add_i32 s3, s3, -1
	v_lshrrev_b32_e32 v2, 28, v2
	buffer_gl0_inv
	v_mul_lo_u16 v21, v148, 37
	v_lshlrev_b32_e32 v22, 5, v148
	v_add_nc_u32_e32 v4, v1, v2
	s_mul_i32 s6, s34, s6
	s_delay_alu instid0(VALU_DEP_3) | instskip(SKIP_1) | instid1(VALU_DEP_2)
	v_lshrrev_b16 v21, 8, v21
	s_ashr_i32 s7, s6, 31
	v_ashrrev_i32_e32 v4, 4, v4
	v_add_nc_u32_e32 v2, v3, v2
	s_lshl_b64 s[6:7], s[6:7], 2
	v_mul_lo_u16 v21, v21, 7
	s_add_u32 s16, s4, s6
	v_cndmask_b32_e32 v1, s3, v4, vcc_lo
	v_ashrrev_i32_e32 v2, 4, v2
	v_cmp_gt_i32_e32 vcc_lo, s30, v3
	s_addc_u32 s36, s5, s7
	s_mul_i32 s4, s15, s18
	v_sub_nc_u16 v21, v148, v21
	s_ashr_i32 s5, s4, 31
	v_cndmask_b32_e32 v3, s3, v2, vcc_lo
	v_ashrrev_i32_e32 v2, 31, v1
	s_lshl_b64 s[12:13], s[4:5], 1
	v_and_b32_e32 v21, 0xff, v21
	s_add_u32 s26, s20, s12
	v_ashrrev_i32_e32 v4, 31, v3
	v_lshlrev_b64 v[1:2], 2, v[1:2]
	s_addc_u32 s27, s21, s13
	s_lshl_b32 s4, s14, 4
	v_lshlrev_b32_e32 v197, 6, v21
	v_lshlrev_b64 v[3:4], 2, v[3:4]
	s_ashr_i32 s5, s4, 31
	v_add_co_u32 v1, vcc_lo, s16, v1
	v_add_co_ci_u32_e32 v2, vcc_lo, s36, v2, vcc_lo
	s_delay_alu instid0(VALU_DEP_3) | instskip(NEXT) | instid1(VALU_DEP_4)
	v_add_co_u32 v3, vcc_lo, s16, v3
	v_add_co_ci_u32_e32 v4, vcc_lo, s36, v4, vcc_lo
	s_clause 0x1
	global_load_b32 v5, v[1:2], off
	global_load_b32 v6, v[3:4], off
	s_lshl_b64 s[4:5], s[4:5], 2
	v_lshlrev_b32_e32 v3, 4, v0
	s_add_u32 s4, s16, s4
	s_addc_u32 s5, s36, s5
	s_or_b32 s6, s33, 16
	v_lshl_or_b32 v22, v149, 9, v22
	s_ashr_i32 s7, s6, 4
	s_cmp_lt_i32 s6, s30
	s_cselect_b32 s6, s7, s3
	s_delay_alu instid0(SALU_CYCLE_1) | instskip(NEXT) | instid1(SALU_CYCLE_1)
	s_ashr_i32 s7, s6, 31
	s_lshl_b64 s[6:7], s[6:7], 2
	s_delay_alu instid0(SALU_CYCLE_1) | instskip(SKIP_2) | instid1(SALU_CYCLE_1)
	s_add_u32 s6, s16, s6
	s_addc_u32 s7, s36, s7
	s_or_b32 s8, s33, 32
	s_ashr_i32 s9, s8, 4
	s_cmp_lt_i32 s8, s30
	s_cselect_b32 s8, s9, s3
	s_delay_alu instid0(SALU_CYCLE_1) | instskip(NEXT) | instid1(SALU_CYCLE_1)
	s_ashr_i32 s9, s8, 31
	s_lshl_b64 s[8:9], s[8:9], 2
	s_delay_alu instid0(SALU_CYCLE_1) | instskip(SKIP_2) | instid1(SALU_CYCLE_1)
	s_add_u32 s8, s16, s8
	s_addc_u32 s9, s36, s9
	s_or_b32 s10, s33, 48
	;; [unrolled: 10-line block ×4, first 2 shown]
	s_ashr_i32 s18, s15, 4
	s_cmp_lt_i32 s15, s30
	s_cselect_b32 s18, s18, s3
	s_delay_alu instid0(SALU_CYCLE_1) | instskip(NEXT) | instid1(SALU_CYCLE_1)
	s_ashr_i32 s19, s18, 31
	s_lshl_b64 s[18:19], s[18:19], 2
	s_delay_alu instid0(SALU_CYCLE_1)
	s_add_u32 s24, s16, s18
	s_addc_u32 s25, s36, s19
	s_clause 0x5
	s_load_b32 s37, s[4:5], 0x0
	s_load_b32 s29, s[6:7], 0x0
	;; [unrolled: 1-line block ×6, first 2 shown]
	s_waitcnt vmcnt(1)
	v_mad_i64_i32 v[1:2], null, v5, s17, 0
	v_and_b32_e32 v5, 0xf0, v3
	s_waitcnt vmcnt(0)
	v_mad_i64_i32 v[3:4], null, v6, s17, 0
	s_delay_alu instid0(VALU_DEP_2) | instskip(NEXT) | instid1(VALU_DEP_4)
	v_add_co_u32 v5, s4, s26, v5
	v_lshlrev_b64 v[1:2], 1, v[1:2]
	v_add_co_ci_u32_e64 v6, null, s27, 0, s4
	s_delay_alu instid0(VALU_DEP_4) | instskip(SKIP_1) | instid1(VALU_DEP_3)
	v_lshlrev_b64 v[3:4], 1, v[3:4]
	s_or_b32 s4, s33, 0x60
	v_add_co_u32 v19, vcc_lo, v5, v1
	s_delay_alu instid0(VALU_DEP_3) | instskip(NEXT) | instid1(VALU_DEP_3)
	v_add_co_ci_u32_e32 v20, vcc_lo, v6, v2, vcc_lo
	v_add_co_u32 v17, vcc_lo, v5, v3
	s_delay_alu instid0(VALU_DEP_4)
	v_add_co_ci_u32_e32 v18, vcc_lo, v6, v4, vcc_lo
	s_clause 0xb
	global_load_b128 v[1:4], v[19:20], off
	global_load_b128 v[5:8], v[19:20], off offset:256
	global_load_b128 v[129:132], v[17:18], off
	global_load_b128 v[133:136], v[17:18], off offset:256
	global_load_b128 v[33:36], v[19:20], off offset:512
	;; [unrolled: 1-line block ×9, first 2 shown]
	ds_load_b128 v[159:162], v197
	ds_load_b128 v[163:166], v197 offset:1024
	s_clause 0x3
	global_load_b128 v[167:170], v[19:20], off offset:1536
	global_load_b128 v[171:174], v[19:20], off offset:1792
	;; [unrolled: 1-line block ×4, first 2 shown]
	s_ashr_i32 s5, s4, 4
	s_cmp_lt_i32 s4, s30
	s_cselect_b32 s4, s5, s3
	s_delay_alu instid0(SALU_CYCLE_1) | instskip(NEXT) | instid1(SALU_CYCLE_1)
	s_ashr_i32 s5, s4, 31
	s_lshl_b64 s[4:5], s[4:5], 2
	s_delay_alu instid0(SALU_CYCLE_1) | instskip(SKIP_2) | instid1(SALU_CYCLE_1)
	s_add_u32 s20, s16, s4
	s_addc_u32 s21, s36, s5
	s_or_b32 s4, s33, 0x70
	s_ashr_i32 s5, s4, 4
	s_cmp_lt_i32 s4, s30
	s_cselect_b32 s4, s5, s3
	s_delay_alu instid0(SALU_CYCLE_1) | instskip(NEXT) | instid1(SALU_CYCLE_1)
	s_ashr_i32 s5, s4, 31
	s_lshl_b64 s[6:7], s[4:5], 2
	s_mov_b32 s4, 0
	s_add_u32 s24, s16, s6
	s_addc_u32 s25, s36, s7
	s_or_b32 s5, s33, 0x80
	s_mov_b32 s11, s4
	s_ashr_i32 s6, s5, 4
	s_cmp_lt_i32 s5, s30
	s_mov_b32 s5, s4
	s_cselect_b32 s8, s6, s3
	s_mov_b32 s6, s4
	s_ashr_i32 s9, s8, 31
	s_mov_b32 s7, s4
	s_lshl_b64 s[8:9], s[8:9], 2
	s_load_b32 s46, s[24:25], 0x0
	s_add_u32 s26, s16, s8
	s_addc_u32 s27, s36, s9
	s_or_b32 s9, s33, 0x90
	s_load_b32 s47, s[26:27], 0x0
	s_ashr_i32 s10, s9, 4
	s_cmp_lt_i32 s9, s30
	s_mov_b32 s8, s4
	s_cselect_b32 s38, s10, s3
	s_mov_b32 s9, s4
	s_ashr_i32 s39, s38, 31
	s_mov_b32 s10, s4
	s_lshl_b64 s[38:39], s[38:39], 2
	v_mov_b32_e32 v144, s11
	s_add_u32 s38, s16, s38
	s_addc_u32 s39, s36, s39
	s_or_b32 s40, s33, 0xa0
	v_mov_b32_e32 v143, s10
	s_ashr_i32 s41, s40, 4
	s_cmp_lt_i32 s40, s30
	v_mov_b32_e32 v142, s9
	s_cselect_b32 s40, s41, s3
	v_mov_b32_e32 v141, s8
	s_ashr_i32 s41, s40, 31
	v_dual_mov_b32 v140, s7 :: v_dual_mov_b32 v139, s6
	v_dual_mov_b32 v138, s5 :: v_dual_mov_b32 v137, s4
	s_lshl_b64 s[4:5], s[40:41], 2
	s_waitcnt lgkmcnt(0)
	s_mul_hi_i32 s7, s29, s17
	s_add_u32 s42, s16, s4
	s_addc_u32 s43, s36, s5
	s_or_b32 s4, s33, 0xb0
	s_mul_hi_i32 s5, s37, s17
	s_ashr_i32 s6, s4, 4
	s_cmp_lt_i32 s4, s30
	s_mul_i32 s4, s37, s17
	s_cselect_b32 s8, s6, s3
	s_mul_i32 s6, s29, s17
	s_ashr_i32 s9, s8, 31
	s_load_b32 s41, s[20:21], 0x0
	s_lshl_b64 s[8:9], s[8:9], 2
	s_load_b32 s40, s[38:39], 0x0
	s_add_u32 s44, s16, s8
	s_addc_u32 s45, s36, s9
	s_or_b32 s8, s33, 0xc0
	s_mul_hi_i32 s9, s28, s17
	s_ashr_i32 s10, s8, 4
	s_cmp_lt_i32 s8, s30
	s_mul_i32 s8, s28, s17
	s_cselect_b32 s28, s10, s3
	s_load_b32 s39, s[42:43], 0x0
	s_ashr_i32 s29, s28, 31
	s_mul_hi_i32 s21, s15, s17
	s_lshl_b64 s[28:29], s[28:29], 2
	s_mul_hi_i32 s27, s46, s17
	s_add_u32 s28, s16, s28
	s_addc_u32 s29, s36, s29
	s_or_b32 s37, s33, 0xd0
	s_mul_i32 s26, s46, s17
	s_ashr_i32 s20, s37, 4
	s_cmp_lt_i32 s37, s30
	s_mul_hi_i32 s11, s19, s17
	s_cselect_b32 s24, s20, s3
	s_mul_i32 s20, s15, s17
	s_ashr_i32 s25, s24, 31
	s_mul_i32 s10, s19, s17
	s_lshl_b64 s[24:25], s[24:25], 2
	s_mul_hi_i32 s19, s18, s17
	s_add_u32 s24, s16, s24
	s_addc_u32 s25, s36, s25
	s_or_b32 s42, s33, 0xe0
	s_clause 0x2
	s_load_b32 s38, s[44:45], 0x0
	s_load_b32 s37, s[28:29], 0x0
	s_load_b32 s15, s[24:25], 0x0
	s_ashr_i32 s43, s42, 4
	s_cmp_lt_i32 s42, s30
	s_mul_hi_i32 s29, s47, s17
	s_cselect_b32 s42, s43, s3
	s_mul_i32 s28, s47, s17
	s_ashr_i32 s43, s42, 31
	s_mul_i32 s18, s18, s17
	s_lshl_b64 s[42:43], s[42:43], 2
	s_waitcnt lgkmcnt(0)
	s_mul_hi_i32 s25, s41, s17
	s_add_u32 s42, s16, s42
	s_addc_u32 s43, s36, s43
	s_or_b32 s46, s33, 0xf0
	s_mul_i32 s24, s41, s17
	s_ashr_i32 s47, s46, 4
	s_cmp_lt_i32 s46, s30
	s_mul_hi_i32 s41, s40, s17
	s_cselect_b32 s46, s47, s3
	s_mul_i32 s40, s40, s17
	s_ashr_i32 s47, s46, 31
	s_mul_hi_i32 s51, s15, s17
	s_lshl_b64 s[46:47], s[46:47], 2
	s_mul_i32 s50, s15, s17
	s_add_u32 s46, s16, s46
	s_addc_u32 s47, s36, s47
	s_add_u32 s3, s22, s12
	s_addc_u32 s15, s23, s13
	v_add_co_u32 v195, s3, s3, v22
	s_delay_alu instid0(VALU_DEP_1) | instskip(SKIP_2) | instid1(VALU_DEP_2)
	v_add_co_ci_u32_e64 v196, null, s15, 0, s3
	s_lshl_b64 s[4:5], s[4:5], 1
	s_lshl_b64 s[6:7], s[6:7], 1
	v_add_co_u32 v17, vcc_lo, v195, s4
	s_delay_alu instid0(VALU_DEP_2)
	v_add_co_ci_u32_e32 v18, vcc_lo, s5, v196, vcc_lo
	v_add_co_u32 v19, vcc_lo, v195, s6
	s_lshl_b64 s[8:9], s[8:9], 1
	v_add_co_ci_u32_e32 v20, vcc_lo, s7, v196, vcc_lo
	v_add_co_u32 v21, vcc_lo, v195, s8
	s_lshl_b64 s[10:11], s[10:11], 1
	;; [unrolled: 3-line block ×8, first 2 shown]
	s_mul_hi_i32 s45, s39, s17
	s_mul_i32 s44, s39, s17
	v_add_co_ci_u32_e32 v50, vcc_lo, s25, v196, vcc_lo
	v_add_co_u32 v53, vcc_lo, v195, s26
	s_lshl_b64 s[28:29], s[44:45], 1
	s_mul_hi_i32 s39, s38, s17
	s_mul_i32 s38, s38, s17
	v_add_co_ci_u32_e32 v54, vcc_lo, s27, v196, vcc_lo
	v_add_co_u32 v183, vcc_lo, v195, s28
	s_mul_hi_i32 s49, s37, s17
	s_mul_i32 s48, s37, s17
	s_lshl_b64 s[36:37], s[38:39], 1
	v_add_co_ci_u32_e32 v184, vcc_lo, s29, v196, vcc_lo
	v_add_co_u32 v185, vcc_lo, v195, s36
	s_lshl_b64 s[38:39], s[48:49], 1
	s_clause 0x1
	s_load_b32 s3, s[42:43], 0x0
	s_load_b32 s15, s[46:47], 0x0
	v_add_co_ci_u32_e32 v186, vcc_lo, s37, v196, vcc_lo
	v_add_co_u32 v191, vcc_lo, v195, s38
	v_add_co_ci_u32_e32 v192, vcc_lo, s39, v196, vcc_lo
	s_clause 0x17
	global_load_b128 v[121:124], v[17:18], off
	global_load_b128 v[125:128], v[17:18], off offset:16
	global_load_b128 v[113:116], v[19:20], off
	global_load_b128 v[117:120], v[19:20], off offset:16
	;; [unrolled: 2-line block ×12, first 2 shown]
	s_lshl_b64 s[40:41], s[50:51], 1
	s_delay_alu instid0(SALU_CYCLE_1)
	v_add_co_u32 v193, vcc_lo, v195, s40
	v_add_co_ci_u32_e32 v194, vcc_lo, s41, v196, vcc_lo
	s_waitcnt lgkmcnt(0)
	s_mul_hi_i32 s5, s3, s17
	s_mul_i32 s4, s3, s17
	s_mul_hi_i32 s7, s15, s17
	s_lshl_b64 s[4:5], s[4:5], 1
	s_mul_i32 s6, s15, s17
	s_waitcnt vmcnt(38)
	v_wmma_f32_16x16x16_bf16 v[183:190], v[1:8], v[159:166], v[137:144]
	s_waitcnt vmcnt(36)
	v_wmma_f32_16x16x16_bf16 v[137:144], v[129:136], v[159:166], v[137:144]
	s_clause 0x1
	global_load_b128 v[1:4], v[191:192], off
	global_load_b128 v[5:8], v[191:192], off offset:16
	ds_load_b128 v[129:132], v197 offset:2048
	ds_load_b128 v[133:136], v197 offset:3072
	;; [unrolled: 1-line block ×4, first 2 shown]
	v_add_co_u32 v191, vcc_lo, v195, s4
	v_add_co_ci_u32_e32 v192, vcc_lo, s5, v196, vcc_lo
	s_lshl_b64 s[4:5], s[6:7], 1
	s_delay_alu instid0(SALU_CYCLE_1)
	v_add_co_u32 v195, vcc_lo, v195, s4
	v_add_co_ci_u32_e32 v196, vcc_lo, s5, v196, vcc_lo
	s_waitcnt vmcnt(36) lgkmcnt(2)
	v_wmma_f32_16x16x16_bf16 v[183:190], v[33:40], v[129:136], v[183:190]
	s_waitcnt vmcnt(34)
	v_wmma_f32_16x16x16_bf16 v[137:144], v[25:32], v[129:136], v[137:144]
	s_clause 0x3
	global_load_b128 v[25:28], v[193:194], off
	global_load_b128 v[29:32], v[193:194], off offset:16
	global_load_b128 v[33:36], v[191:192], off
	global_load_b128 v[37:40], v[191:192], off offset:16
	v_and_b32_e32 v129, 0xe0, v0
	v_mbcnt_lo_u32_b32 v191, -1, 0
	s_waitcnt vmcnt(36) lgkmcnt(0)
	v_wmma_f32_16x16x16_bf16 v[183:190], v[9:16], v[159:166], v[183:190]
	s_clause 0x1
	global_load_b128 v[9:12], v[195:196], off
	global_load_b128 v[13:16], v[195:196], off offset:16
	s_waitcnt vmcnt(36)
	v_wmma_f32_16x16x16_bf16 v[137:144], v[151:158], v[159:166], v[137:144]
	v_add_nc_u32_e32 v192, s33, v129
	ds_load_b128 v[129:132], v197 offset:6144
	ds_load_b128 v[133:136], v197 offset:7168
	v_xor_b32_e32 v151, 16, v191
	s_waitcnt vmcnt(0) lgkmcnt(0)
	s_barrier
	v_or_b32_e32 v152, v192, v146
	buffer_gl0_inv
	v_cmp_gt_i32_e32 vcc_lo, 32, v151
	v_or_b32_e32 v153, 2, v152
	v_or_b32_e32 v154, 4, v152
	;; [unrolled: 1-line block ×5, first 2 shown]
	v_cmp_gt_i32_e64 s3, s30, v153
	v_or_b32_e32 v158, 12, v152
	v_cmp_gt_i32_e64 s4, s30, v154
	v_cmp_gt_i32_e64 s5, s30, v155
	v_or_b32_e32 v159, 14, v152
	v_cmp_gt_i32_e64 s6, s30, v156
	v_wmma_f32_16x16x16_bf16 v[183:190], v[167:174], v[129:136], v[183:190]
	v_wmma_f32_16x16x16_bf16 v[137:144], v[175:182], v[129:136], v[137:144]
	v_cndmask_b32_e32 v151, v191, v151, vcc_lo
	v_cmp_gt_i32_e32 vcc_lo, s30, v152
	v_cmp_gt_i32_e64 s7, s30, v157
	v_dual_mul_f32 v135, s35, v184 :: v_dual_mul_f32 v136, s35, v183
	v_mul_f32_e32 v134, s35, v185
	v_dual_mul_f32 v168, s35, v144 :: v_dual_mul_f32 v133, s35, v186
	s_delay_alu instid0(VALU_DEP_3) | instskip(NEXT) | instid1(VALU_DEP_4)
	v_cndmask_b32_e64 v135, 0xff7fffff, v135, s3
	v_cndmask_b32_e32 v136, 0xff7fffff, v136, vcc_lo
	v_dual_mul_f32 v131, s35, v188 :: v_dual_mul_f32 v174, s35, v138
	v_mul_f32_e32 v132, s35, v187
	v_cndmask_b32_e64 v134, 0xff7fffff, v134, s4
	s_delay_alu instid0(VALU_DEP_4)
	v_max3_f32 v135, v136, 0xff7fffff, v135
	v_cmp_gt_i32_e64 s8, s30, v158
	v_lshlrev_b32_e32 v158, 2, v151
	v_cndmask_b32_e64 v133, 0xff7fffff, v133, s5
	v_or_b32_e32 v160, 16, v152
	v_or_b32_e32 v161, 18, v152
	v_dual_mul_f32 v129, s35, v190 :: v_dual_mul_f32 v172, s35, v140
	v_mul_f32_e32 v130, s35, v189
	v_cndmask_b32_e64 v132, 0xff7fffff, v132, s6
	v_cndmask_b32_e64 v131, 0xff7fffff, v131, s7
	v_max3_f32 v133, v135, v134, v133
	v_cmp_gt_i32_e64 s9, s30, v159
	v_or_b32_e32 v162, 20, v152
	v_or_b32_e32 v163, 22, v152
	v_mul_f32_e32 v175, s35, v137
	v_cndmask_b32_e64 v130, 0xff7fffff, v130, s8
	v_cndmask_b32_e64 v129, 0xff7fffff, v129, s9
	v_max3_f32 v131, v133, v132, v131
	v_cmp_gt_i32_e64 s10, s30, v160
	v_cmp_gt_i32_e64 s11, s30, v161
	v_or_b32_e32 v164, 24, v152
	v_or_b32_e32 v165, 26, v152
	v_mul_f32_e32 v173, s35, v139
	v_cndmask_b32_e64 v132, 0xff7fffff, v175, s10
	v_cndmask_b32_e64 v133, 0xff7fffff, v174, s11
	v_max3_f32 v129, v131, v130, v129
	v_cmp_gt_i32_e64 s12, s30, v162
	v_cmp_gt_i32_e64 s13, s30, v163
	v_or_b32_e32 v166, 28, v152
	v_or_b32_e32 v167, 30, v152
	v_dual_mul_f32 v170, s35, v142 :: v_dual_mul_f32 v171, s35, v141
	v_cndmask_b32_e64 v130, 0xff7fffff, v173, s12
	v_cndmask_b32_e64 v131, 0xff7fffff, v172, s13
	v_max3_f32 v129, v129, v132, v133
	v_cmp_gt_i32_e64 s15, s30, v164
	v_cmp_gt_i32_e64 s16, s30, v165
	v_mul_f32_e32 v169, s35, v143
	v_cmp_gt_i32_e64 s17, s30, v166
	v_max3_f32 v129, v129, v130, v131
	v_cndmask_b32_e64 v132, 0xff7fffff, v171, s15
	v_cndmask_b32_e64 v133, 0xff7fffff, v170, s16
	v_cmp_gt_i32_e64 s18, s30, v167
	v_cndmask_b32_e64 v130, 0xff7fffff, v169, s17
	s_delay_alu instid0(VALU_DEP_3) | instskip(NEXT) | instid1(VALU_DEP_3)
	v_max3_f32 v129, v129, v132, v133
	v_cndmask_b32_e64 v131, 0xff7fffff, v168, s18
	s_delay_alu instid0(VALU_DEP_1) | instskip(SKIP_3) | instid1(VALU_DEP_1)
	v_max3_f32 v129, v129, v130, v131
	ds_bpermute_b32 v130, v158, v129
	s_waitcnt lgkmcnt(0)
	v_max_f32_e32 v130, v130, v130
	v_max_f32_e32 v129, v129, v130
	s_delay_alu instid0(VALU_DEP_1)
	v_fma_f32 v130, s35, v183, -v129
	v_fma_f32 v132, s35, v185, -v129
	;; [unrolled: 1-line block ×5, first 2 shown]
	v_mul_f32_e32 v130, 0x3fb8aa3b, v130
	v_mul_f32_e32 v132, 0x3fb8aa3b, v132
	v_fma_f32 v135, s35, v189, -v129
	v_mul_f32_e32 v134, 0x3fb8aa3b, v134
	s_delay_alu instid0(VALU_DEP_4) | instskip(NEXT) | instid1(VALU_DEP_3)
	v_exp_f32_e32 v130, v130
	v_exp_f32_e32 v132, v132
	s_delay_alu instid0(VALU_DEP_1) | instskip(NEXT) | instid1(TRANS32_DEP_3)
	v_exp_f32_e32 v134, v134
	v_cndmask_b32_e32 v152, 0, v130, vcc_lo
	v_fma_f32 v130, s35, v188, -v129
	v_mul_f32_e32 v131, 0x3fb8aa3b, v131
	s_waitcnt_depctr 0xfff
	v_cndmask_b32_e64 v153, 0, v132, s4
	v_fma_f32 v132, s35, v190, -v129
	v_dual_mul_f32 v133, 0x3fb8aa3b, v133 :: v_dual_mul_f32 v130, 0x3fb8aa3b, v130
	v_exp_f32_e32 v131, v131
	v_cndmask_b32_e64 v155, 0, v134, s6
	s_delay_alu instid0(VALU_DEP_3) | instskip(NEXT) | instid1(VALU_DEP_3)
	v_mul_f32_e32 v132, 0x3fb8aa3b, v132
	v_exp_f32_e32 v133, v133
	v_exp_f32_e32 v130, v130
	v_fma_f32 v134, s35, v138, -v129
	s_delay_alu instid0(VALU_DEP_2) | instskip(SKIP_1) | instid1(VALU_DEP_2)
	v_exp_f32_e32 v132, v132
	v_cndmask_b32_e64 v151, 0, v131, s3
	v_dual_add_f32 v131, 0, v152 :: v_dual_mul_f32 v134, 0x3fb8aa3b, v134
	s_delay_alu instid0(TRANS32_DEP_3)
	v_cndmask_b32_e64 v154, 0, v133, s5
	s_waitcnt_depctr 0xfff
	v_cndmask_b32_e64 v156, 0, v130, s7
	v_fma_f32 v133, s35, v137, -v129
	v_add_f32_e32 v131, v131, v151
	v_exp_f32_e32 v134, v134
	v_cmp_gt_u32_e64 s3, 16, v150
	s_delay_alu instid0(VALU_DEP_2) | instskip(NEXT) | instid1(VALU_DEP_1)
	v_add_f32_e32 v131, v131, v153
	v_add_f32_e32 v131, v131, v154
	s_delay_alu instid0(VALU_DEP_1) | instskip(SKIP_1) | instid1(VALU_DEP_2)
	v_dual_mul_f32 v133, 0x3fb8aa3b, v133 :: v_dual_add_f32 v130, v131, v155
	v_fma_f32 v131, s35, v139, -v129
	v_exp_f32_e32 v133, v133
	v_fma_f32 v139, s35, v144, -v129
	s_delay_alu instid0(VALU_DEP_3) | instskip(NEXT) | instid1(VALU_DEP_1)
	v_dual_add_f32 v130, v130, v156 :: v_dual_mul_f32 v135, 0x3fb8aa3b, v135
	v_exp_f32_e32 v135, v135
	s_waitcnt_depctr 0xfff
	v_cndmask_b32_e64 v157, 0, v135, s8
	v_fma_f32 v135, s35, v140, -v129
	v_cndmask_b32_e64 v140, 0, v132, s9
	v_fma_f32 v132, s35, v141, -v129
	s_delay_alu instid0(VALU_DEP_4) | instskip(NEXT) | instid1(VALU_DEP_1)
	v_add_f32_e32 v130, v130, v157
	v_add_f32_e32 v130, v130, v140
	s_delay_alu instid0(VALU_DEP_3) | instskip(SKIP_4) | instid1(VALU_DEP_3)
	v_mul_f32_e32 v137, 0x3fb8aa3b, v132
	v_cndmask_b32_e64 v132, 0, v134, s11
	v_mul_f32_e32 v131, 0x3fb8aa3b, v131
	v_fma_f32 v134, s35, v143, -v129
	v_mul_f32_e32 v135, 0x3fb8aa3b, v135
	v_exp_f32_e32 v136, v131
	v_cndmask_b32_e64 v131, 0, v133, s10
	v_fma_f32 v133, s35, v142, -v129
	s_delay_alu instid0(VALU_DEP_2) | instskip(NEXT) | instid1(VALU_DEP_2)
	v_add_f32_e32 v130, v130, v131
	v_mul_f32_e32 v138, 0x3fb8aa3b, v133
	v_exp_f32_e32 v137, v137
	s_waitcnt_depctr 0xfff
	v_cndmask_b32_e64 v133, 0, v136, s12
	v_mul_f32_e32 v136, 0x3fb8aa3b, v134
	v_exp_f32_e32 v135, v135
	v_add_f32_e32 v130, v130, v132
	v_exp_f32_e32 v138, v138
	s_delay_alu instid0(VALU_DEP_2) | instskip(NEXT) | instid1(VALU_DEP_1)
	v_exp_f32_e32 v141, v136
	v_add_f32_e32 v130, v130, v133
	s_delay_alu instid0(TRANS32_DEP_3)
	v_cndmask_b32_e64 v134, 0, v135, s13
	v_cndmask_b32_e64 v135, 0, v137, s15
	v_mul_f32_e32 v137, 0x3fb8aa3b, v139
	s_waitcnt_depctr 0xfff
	v_cndmask_b32_e64 v136, 0, v138, s16
	v_add_f32_e32 v130, v130, v134
	v_exp_f32_e32 v138, v137
	v_cndmask_b32_e64 v137, 0, v141, s17
	s_delay_alu instid0(VALU_DEP_2) | instskip(NEXT) | instid1(VALU_DEP_1)
	v_add_f32_e32 v130, v130, v135
	v_add_f32_e32 v130, v130, v136
	s_waitcnt_depctr 0xfff
	v_cndmask_b32_e64 v138, 0, v138, s18
	v_add_f32_e32 v130, v130, v137
	s_delay_alu instid0(VALU_DEP_1)
	v_add_f32_e32 v130, v130, v138
	ds_bpermute_b32 v139, v158, v130
	s_and_saveexec_b32 s4, s3
	s_cbranch_execz .LBB484_12
; %bb.11:
	v_mul_u32_u24_e32 v141, 0x44, v149
	s_delay_alu instid0(VALU_DEP_1) | instskip(SKIP_1) | instid1(VALU_DEP_1)
	v_lshl_add_u32 v141, v148, 2, v141
	s_waitcnt lgkmcnt(0)
	v_dual_add_f32 v130, v130, v139 :: v_dual_add_nc_u32 v139, 0x4000, v141
	ds_store_2addr_b32 v139, v129, v130 offset1:136
.LBB484_12:
	s_or_b32 exec_lo, exec_lo, s4
	v_lshlrev_b32_e32 v129, 2, v148
	s_waitcnt lgkmcnt(0)
	s_barrier
	buffer_gl0_inv
	v_cmp_eq_u32_e64 s4, 1, v149
	v_add_nc_u32_e32 v139, 0x4000, v129
	ds_load_2addr_b32 v[141:142], v139 offset1:17
	ds_load_2addr_b32 v[143:144], v139 offset0:34 offset1:51
	ds_load_2addr_b32 v[158:159], v139 offset0:68 offset1:85
	;; [unrolled: 1-line block ×4, first 2 shown]
	s_waitcnt lgkmcnt(4)
	v_max3_f32 v129, v141, 0xff7fffff, v142
	s_waitcnt lgkmcnt(3)
	s_delay_alu instid0(VALU_DEP_1) | instskip(SKIP_1) | instid1(VALU_DEP_1)
	v_max3_f32 v129, v129, v143, v144
	s_waitcnt lgkmcnt(2)
	v_max3_f32 v129, v129, v158, v159
	s_waitcnt lgkmcnt(1)
	s_delay_alu instid0(VALU_DEP_1) | instskip(NEXT) | instid1(VALU_DEP_1)
	v_max3_f32 v129, v129, v160, v161
	v_sub_f32_e32 v158, v158, v129
	s_delay_alu instid0(VALU_DEP_1) | instskip(NEXT) | instid1(VALU_DEP_1)
	v_dual_sub_f32 v150, v142, v129 :: v_dual_mul_f32 v167, 0x3fb8aa3b, v158
	v_dual_sub_f32 v143, v143, v129 :: v_dual_mul_f32 v150, 0x3fb8aa3b, v150
	s_delay_alu instid0(VALU_DEP_1) | instskip(NEXT) | instid1(VALU_DEP_2)
	v_dual_sub_f32 v130, v141, v129 :: v_dual_mul_f32 v165, 0x3fb8aa3b, v143
	v_exp_f32_e32 v150, v150
	s_delay_alu instid0(VALU_DEP_1) | instskip(NEXT) | instid1(VALU_DEP_2)
	v_mul_f32_e32 v130, 0x3fb8aa3b, v130
	v_exp_f32_e32 v165, v165
	s_delay_alu instid0(VALU_DEP_1) | instskip(SKIP_1) | instid1(VALU_DEP_1)
	v_exp_f32_e32 v164, v130
	v_sub_f32_e32 v130, v144, v129
	v_mul_f32_e32 v166, 0x3fb8aa3b, v130
	s_waitcnt lgkmcnt(0)
	s_waitcnt_depctr 0xfff
	v_fma_f32 v130, v164, v162, 0
	v_sub_f32_e32 v162, v159, v129
	s_delay_alu instid0(VALU_DEP_2)
	v_fmac_f32_e32 v130, v150, v163
	ds_load_2addr_b32 v[141:142], v139 offset0:170 offset1:187
	ds_load_2addr_b32 v[143:144], v139 offset0:204 offset1:221
	;; [unrolled: 1-line block ×3, first 2 shown]
	v_sub_f32_e32 v139, v160, v129
	v_exp_f32_e32 v166, v166
	v_mul_f32_e32 v160, 0x3fb8aa3b, v162
	v_exp_f32_e32 v162, v167
	v_cndmask_b32_e64 v150, v164, v150, s4
	v_mul_f32_e32 v139, 0x3fb8aa3b, v139
	v_cmp_eq_u32_e64 s4, 2, v149
	s_waitcnt lgkmcnt(0)
	s_barrier
	buffer_gl0_inv
	v_exp_f32_e32 v139, v139
	v_cndmask_b32_e64 v150, v150, v165, s4
	v_cmp_eq_u32_e64 s4, 3, v149
	v_fmac_f32_e32 v130, v165, v141
	v_sub_f32_e32 v141, v161, v129
	v_exp_f32_e32 v160, v160
	s_delay_alu instid0(VALU_DEP_3) | instskip(SKIP_1) | instid1(VALU_DEP_3)
	v_cndmask_b32_e64 v150, v150, v166, s4
	v_cmp_eq_u32_e64 s4, 4, v149
	v_dual_fmac_f32 v130, v166, v142 :: v_dual_mul_f32 v141, 0x3fb8aa3b, v141
	s_delay_alu instid0(VALU_DEP_2) | instskip(SKIP_1) | instid1(VALU_DEP_3)
	v_cndmask_b32_e64 v150, v150, v162, s4
	v_cmp_eq_u32_e64 s4, 5, v149
	v_exp_f32_e32 v141, v141
	s_delay_alu instid0(VALU_DEP_3)
	v_fmac_f32_e32 v130, v162, v143
	s_delay_alu instid0(TRANS32_DEP_2) | instid1(VALU_DEP_2)
	v_cndmask_b32_e64 v150, v150, v160, s4
	s_delay_alu instid0(VALU_DEP_2) | instskip(NEXT) | instid1(VALU_DEP_1)
	v_fmac_f32_e32 v130, v160, v144
	v_fmac_f32_e32 v130, v139, v158
	s_waitcnt_depctr 0xfff
	v_fmac_f32_e32 v130, v141, v159
	s_delay_alu instid0(VALU_DEP_1) | instskip(NEXT) | instid1(VALU_DEP_1)
	v_add_f32_e32 v142, 0x358637bd, v130
	v_div_scale_f32 v143, null, v142, v142, 1.0
	v_div_scale_f32 v159, vcc_lo, 1.0, v142, 1.0
	s_delay_alu instid0(VALU_DEP_2) | instskip(SKIP_2) | instid1(VALU_DEP_1)
	v_rcp_f32_e32 v144, v143
	s_waitcnt_depctr 0xfff
	v_fma_f32 v158, -v143, v144, 1.0
	v_fmac_f32_e32 v144, v158, v144
	s_delay_alu instid0(VALU_DEP_1) | instskip(NEXT) | instid1(VALU_DEP_1)
	v_mul_f32_e32 v158, v159, v144
	v_fma_f32 v161, -v143, v158, v159
	s_delay_alu instid0(VALU_DEP_1) | instskip(NEXT) | instid1(VALU_DEP_1)
	v_fmac_f32_e32 v158, v161, v144
	v_fma_f32 v143, -v143, v158, v159
	s_delay_alu instid0(VALU_DEP_1) | instskip(SKIP_1) | instid1(VALU_DEP_2)
	v_div_fmas_f32 v143, v143, v144, v158
	v_cmp_eq_u32_e32 vcc_lo, 6, v149
	v_div_fixup_f32 v142, v143, v142, 1.0
	v_cndmask_b32_e32 v139, v150, v139, vcc_lo
	v_cmp_eq_u32_e32 vcc_lo, 7, v149
	s_delay_alu instid0(VALU_DEP_2) | instskip(NEXT) | instid1(VALU_DEP_1)
	v_cndmask_b32_e32 v139, v139, v141, vcc_lo
	v_mul_f32_e32 v139, v139, v142
	s_delay_alu instid0(VALU_DEP_1) | instskip(SKIP_4) | instid1(VALU_DEP_4)
	v_mul_f32_e32 v153, v139, v153
	v_mul_f32_e32 v142, v139, v152
	;; [unrolled: 1-line block ×5, first 2 shown]
	v_dual_mul_f32 v152, v139, v155 :: v_dual_and_b32 v141, 0x7f800000, v142
	v_mul_f32_e32 v154, v139, v154
	v_mul_f32_e32 v144, v139, v151
	s_delay_alu instid0(VALU_DEP_3) | instskip(SKIP_1) | instid1(SALU_CYCLE_1)
	v_cmp_ne_u32_e32 vcc_lo, 0x7f800000, v141
                                        ; implicit-def: $vgpr141
	s_and_saveexec_b32 s4, vcc_lo
	s_xor_b32 s4, exec_lo, s4
; %bb.13:
	v_bfe_u32 v141, v142, 16, 1
	s_delay_alu instid0(VALU_DEP_1)
	v_add3_u32 v141, v142, v141, 0x7fff
                                        ; implicit-def: $vgpr142
; %bb.14:
	s_and_not1_saveexec_b32 s4, s4
; %bb.15:
	v_and_b32_e32 v141, 0xffff, v142
	v_or_b32_e32 v151, 0x10000, v142
	s_delay_alu instid0(VALU_DEP_2) | instskip(NEXT) | instid1(VALU_DEP_2)
	v_cmp_eq_u32_e32 vcc_lo, 0, v141
	v_cndmask_b32_e32 v141, v151, v142, vcc_lo
; %bb.16:
	s_or_b32 exec_lo, exec_lo, s4
	v_and_b32_e32 v142, 0x7f800000, v144
	s_delay_alu instid0(VALU_DEP_1) | instskip(SKIP_1) | instid1(SALU_CYCLE_1)
	v_cmp_ne_u32_e32 vcc_lo, 0x7f800000, v142
                                        ; implicit-def: $vgpr142
	s_and_saveexec_b32 s4, vcc_lo
	s_xor_b32 s4, exec_lo, s4
; %bb.17:
	v_bfe_u32 v142, v144, 16, 1
	s_delay_alu instid0(VALU_DEP_1)
	v_add3_u32 v142, v144, v142, 0x7fff
                                        ; implicit-def: $vgpr144
; %bb.18:
	s_and_not1_saveexec_b32 s4, s4
; %bb.19:
	v_and_b32_e32 v142, 0xffff, v144
	v_or_b32_e32 v151, 0x10000, v144
	s_delay_alu instid0(VALU_DEP_2) | instskip(NEXT) | instid1(VALU_DEP_2)
	v_cmp_eq_u32_e32 vcc_lo, 0, v142
	v_cndmask_b32_e32 v142, v151, v144, vcc_lo
; %bb.20:
	s_or_b32 exec_lo, exec_lo, s4
	v_and_b32_e32 v144, 0x7f800000, v153
	s_delay_alu instid0(VALU_DEP_1) | instskip(SKIP_1) | instid1(SALU_CYCLE_1)
	v_cmp_ne_u32_e32 vcc_lo, 0x7f800000, v144
                                        ; implicit-def: $vgpr144
	s_and_saveexec_b32 s4, vcc_lo
	s_xor_b32 s4, exec_lo, s4
; %bb.21:
	v_bfe_u32 v144, v153, 16, 1
	s_delay_alu instid0(VALU_DEP_1)
	v_add3_u32 v144, v153, v144, 0x7fff
                                        ; implicit-def: $vgpr153
; %bb.22:
	s_and_not1_saveexec_b32 s4, s4
; %bb.23:
	v_and_b32_e32 v144, 0xffff, v153
	v_or_b32_e32 v151, 0x10000, v153
	s_delay_alu instid0(VALU_DEP_2) | instskip(NEXT) | instid1(VALU_DEP_2)
	v_cmp_eq_u32_e32 vcc_lo, 0, v144
	v_cndmask_b32_e32 v144, v151, v153, vcc_lo
; %bb.24:
	s_or_b32 exec_lo, exec_lo, s4
	v_and_b32_e32 v151, 0x7f800000, v154
	s_delay_alu instid0(VALU_DEP_1) | instskip(SKIP_1) | instid1(SALU_CYCLE_1)
	v_cmp_ne_u32_e32 vcc_lo, 0x7f800000, v151
                                        ; implicit-def: $vgpr151
	s_and_saveexec_b32 s4, vcc_lo
	s_xor_b32 s4, exec_lo, s4
; %bb.25:
	v_bfe_u32 v151, v154, 16, 1
	s_delay_alu instid0(VALU_DEP_1)
	v_add3_u32 v151, v154, v151, 0x7fff
                                        ; implicit-def: $vgpr154
; %bb.26:
	s_and_not1_saveexec_b32 s4, s4
; %bb.27:
	v_and_b32_e32 v151, 0xffff, v154
	v_or_b32_e32 v153, 0x10000, v154
	s_delay_alu instid0(VALU_DEP_2) | instskip(NEXT) | instid1(VALU_DEP_2)
	v_cmp_eq_u32_e32 vcc_lo, 0, v151
	v_cndmask_b32_e32 v151, v153, v154, vcc_lo
; %bb.28:
	s_or_b32 exec_lo, exec_lo, s4
	v_and_b32_e32 v153, 0x7f800000, v152
	s_delay_alu instid0(VALU_DEP_1) | instskip(SKIP_1) | instid1(SALU_CYCLE_1)
	v_cmp_ne_u32_e32 vcc_lo, 0x7f800000, v153
                                        ; implicit-def: $vgpr153
	s_and_saveexec_b32 s4, vcc_lo
	s_xor_b32 s4, exec_lo, s4
; %bb.29:
	v_bfe_u32 v153, v152, 16, 1
	s_delay_alu instid0(VALU_DEP_1)
	v_add3_u32 v153, v152, v153, 0x7fff
                                        ; implicit-def: $vgpr152
; %bb.30:
	s_and_not1_saveexec_b32 s4, s4
; %bb.31:
	v_and_b32_e32 v153, 0xffff, v152
	v_or_b32_e32 v154, 0x10000, v152
	s_delay_alu instid0(VALU_DEP_2) | instskip(NEXT) | instid1(VALU_DEP_2)
	v_cmp_eq_u32_e32 vcc_lo, 0, v153
	v_cndmask_b32_e32 v153, v154, v152, vcc_lo
; %bb.32:
	s_or_b32 exec_lo, exec_lo, s4
	v_and_b32_e32 v152, 0x7f800000, v150
	s_delay_alu instid0(VALU_DEP_1) | instskip(SKIP_1) | instid1(SALU_CYCLE_1)
	v_cmp_ne_u32_e32 vcc_lo, 0x7f800000, v152
                                        ; implicit-def: $vgpr152
	s_and_saveexec_b32 s4, vcc_lo
	s_xor_b32 s4, exec_lo, s4
; %bb.33:
	v_bfe_u32 v152, v150, 16, 1
	s_delay_alu instid0(VALU_DEP_1)
	v_add3_u32 v152, v150, v152, 0x7fff
                                        ; implicit-def: $vgpr150
; %bb.34:
	s_and_not1_saveexec_b32 s4, s4
; %bb.35:
	v_and_b32_e32 v152, 0xffff, v150
	v_or_b32_e32 v154, 0x10000, v150
	s_delay_alu instid0(VALU_DEP_2) | instskip(NEXT) | instid1(VALU_DEP_2)
	v_cmp_eq_u32_e32 vcc_lo, 0, v152
	v_cndmask_b32_e32 v152, v154, v150, vcc_lo
; %bb.36:
	s_or_b32 exec_lo, exec_lo, s4
	v_and_b32_e32 v150, 0x7f800000, v143
	s_delay_alu instid0(VALU_DEP_1) | instskip(SKIP_1) | instid1(SALU_CYCLE_1)
	v_cmp_ne_u32_e32 vcc_lo, 0x7f800000, v150
                                        ; implicit-def: $vgpr150
	s_and_saveexec_b32 s4, vcc_lo
	s_xor_b32 s4, exec_lo, s4
; %bb.37:
	v_bfe_u32 v150, v143, 16, 1
	s_delay_alu instid0(VALU_DEP_1)
	v_add3_u32 v150, v143, v150, 0x7fff
                                        ; implicit-def: $vgpr143
; %bb.38:
	s_and_not1_saveexec_b32 s4, s4
; %bb.39:
	v_and_b32_e32 v150, 0xffff, v143
	v_or_b32_e32 v154, 0x10000, v143
	s_delay_alu instid0(VALU_DEP_2) | instskip(NEXT) | instid1(VALU_DEP_2)
	v_cmp_eq_u32_e32 vcc_lo, 0, v150
	v_cndmask_b32_e32 v150, v154, v143, vcc_lo
; %bb.40:
	s_or_b32 exec_lo, exec_lo, s4
	v_and_b32_e32 v143, 0x7f800000, v140
	s_delay_alu instid0(VALU_DEP_1) | instskip(SKIP_1) | instid1(SALU_CYCLE_1)
	v_cmp_ne_u32_e32 vcc_lo, 0x7f800000, v143
                                        ; implicit-def: $vgpr143
	s_and_saveexec_b32 s4, vcc_lo
	s_xor_b32 s4, exec_lo, s4
; %bb.41:
	v_bfe_u32 v143, v140, 16, 1
	s_delay_alu instid0(VALU_DEP_1)
	v_add3_u32 v143, v140, v143, 0x7fff
                                        ; implicit-def: $vgpr140
; %bb.42:
	s_and_not1_saveexec_b32 s4, s4
; %bb.43:
	v_and_b32_e32 v143, 0xffff, v140
	v_or_b32_e32 v154, 0x10000, v140
	s_delay_alu instid0(VALU_DEP_2) | instskip(NEXT) | instid1(VALU_DEP_2)
	v_cmp_eq_u32_e32 vcc_lo, 0, v143
	v_cndmask_b32_e32 v143, v154, v140, vcc_lo
; %bb.44:
	s_or_b32 exec_lo, exec_lo, s4
	s_load_b64 s[36:37], s[0:1], 0x94
	v_dual_mul_f32 v136, v139, v136 :: v_dual_lshlrev_b32 v155, 4, v146
	s_delay_alu instid0(VALU_DEP_2)
	v_perm_b32 v154, v143, v150, 0x7060302
	v_dual_mul_f32 v143, v139, v131 :: v_dual_lshlrev_b32 v140, 6, v148
	v_dual_mul_f32 v135, v139, v135 :: v_dual_lshlrev_b32 v150, 11, v149
	v_perm_b32 v153, v152, v153, 0x7060302
	v_perm_b32 v152, v151, v144, 0x7060302
	;; [unrolled: 1-line block ×3, first 2 shown]
	s_delay_alu instid0(VALU_DEP_4)
	v_or3_b32 v131, v155, v150, v140
	v_mul_f32_e32 v138, v139, v138
	v_dual_mul_f32 v137, v139, v137 :: v_dual_and_b32 v144, 0x7f800000, v143
	v_mul_f32_e32 v141, v139, v134
	v_mul_f32_e32 v142, v139, v133
	;; [unrolled: 1-line block ×3, first 2 shown]
	s_mov_b32 s4, exec_lo
	ds_store_b128 v131, v[151:154]
                                        ; implicit-def: $vgpr132
	v_cmpx_ne_u32_e32 0x7f800000, v144
	s_xor_b32 s4, exec_lo, s4
; %bb.45:
	v_bfe_u32 v132, v143, 16, 1
	s_delay_alu instid0(VALU_DEP_1)
	v_add3_u32 v132, v143, v132, 0x7fff
                                        ; implicit-def: $vgpr143
; %bb.46:
	s_and_not1_saveexec_b32 s4, s4
; %bb.47:
	v_and_b32_e32 v132, 0xffff, v143
	v_or_b32_e32 v133, 0x10000, v143
	s_delay_alu instid0(VALU_DEP_2) | instskip(NEXT) | instid1(VALU_DEP_2)
	v_cmp_eq_u32_e32 vcc_lo, 0, v132
	v_cndmask_b32_e32 v132, v133, v143, vcc_lo
; %bb.48:
	s_or_b32 exec_lo, exec_lo, s4
	v_and_b32_e32 v133, 0x7f800000, v134
	s_delay_alu instid0(VALU_DEP_1) | instskip(SKIP_1) | instid1(SALU_CYCLE_1)
	v_cmp_ne_u32_e32 vcc_lo, 0x7f800000, v133
                                        ; implicit-def: $vgpr133
	s_and_saveexec_b32 s4, vcc_lo
	s_xor_b32 s4, exec_lo, s4
; %bb.49:
	v_bfe_u32 v133, v134, 16, 1
	s_delay_alu instid0(VALU_DEP_1)
	v_add3_u32 v133, v134, v133, 0x7fff
                                        ; implicit-def: $vgpr134
; %bb.50:
	s_and_not1_saveexec_b32 s4, s4
; %bb.51:
	v_and_b32_e32 v133, 0xffff, v134
	v_or_b32_e32 v139, 0x10000, v134
	s_delay_alu instid0(VALU_DEP_2) | instskip(NEXT) | instid1(VALU_DEP_2)
	v_cmp_eq_u32_e32 vcc_lo, 0, v133
	v_cndmask_b32_e32 v133, v139, v134, vcc_lo
; %bb.52:
	s_or_b32 exec_lo, exec_lo, s4
	v_and_b32_e32 v134, 0x7f800000, v142
	s_delay_alu instid0(VALU_DEP_1) | instskip(SKIP_1) | instid1(SALU_CYCLE_1)
	v_cmp_ne_u32_e32 vcc_lo, 0x7f800000, v134
                                        ; implicit-def: $vgpr134
	s_and_saveexec_b32 s4, vcc_lo
	s_xor_b32 s4, exec_lo, s4
; %bb.53:
	v_bfe_u32 v134, v142, 16, 1
	s_delay_alu instid0(VALU_DEP_1)
	v_add3_u32 v134, v142, v134, 0x7fff
                                        ; implicit-def: $vgpr142
; %bb.54:
	s_and_not1_saveexec_b32 s4, s4
; %bb.55:
	v_and_b32_e32 v134, 0xffff, v142
	v_or_b32_e32 v139, 0x10000, v142
	s_delay_alu instid0(VALU_DEP_2) | instskip(NEXT) | instid1(VALU_DEP_2)
	v_cmp_eq_u32_e32 vcc_lo, 0, v134
	v_cndmask_b32_e32 v134, v139, v142, vcc_lo
; %bb.56:
	s_or_b32 exec_lo, exec_lo, s4
	v_and_b32_e32 v139, 0x7f800000, v141
	s_delay_alu instid0(VALU_DEP_1) | instskip(SKIP_1) | instid1(SALU_CYCLE_1)
	v_cmp_ne_u32_e32 vcc_lo, 0x7f800000, v139
                                        ; implicit-def: $vgpr139
	s_and_saveexec_b32 s4, vcc_lo
	s_xor_b32 s4, exec_lo, s4
; %bb.57:
	v_bfe_u32 v139, v141, 16, 1
	s_delay_alu instid0(VALU_DEP_1)
	v_add3_u32 v139, v141, v139, 0x7fff
                                        ; implicit-def: $vgpr141
; %bb.58:
	s_and_not1_saveexec_b32 s4, s4
; %bb.59:
	v_and_b32_e32 v139, 0xffff, v141
	v_or_b32_e32 v142, 0x10000, v141
	s_delay_alu instid0(VALU_DEP_2) | instskip(NEXT) | instid1(VALU_DEP_2)
	v_cmp_eq_u32_e32 vcc_lo, 0, v139
	v_cndmask_b32_e32 v139, v142, v141, vcc_lo
; %bb.60:
	s_or_b32 exec_lo, exec_lo, s4
	v_and_b32_e32 v141, 0x7f800000, v135
	s_delay_alu instid0(VALU_DEP_1) | instskip(SKIP_1) | instid1(SALU_CYCLE_1)
	v_cmp_ne_u32_e32 vcc_lo, 0x7f800000, v141
                                        ; implicit-def: $vgpr141
	s_and_saveexec_b32 s4, vcc_lo
	s_xor_b32 s4, exec_lo, s4
; %bb.61:
	v_bfe_u32 v141, v135, 16, 1
	s_delay_alu instid0(VALU_DEP_1)
	v_add3_u32 v141, v135, v141, 0x7fff
                                        ; implicit-def: $vgpr135
; %bb.62:
	s_and_not1_saveexec_b32 s4, s4
; %bb.63:
	v_and_b32_e32 v141, 0xffff, v135
	v_or_b32_e32 v142, 0x10000, v135
	s_delay_alu instid0(VALU_DEP_2) | instskip(NEXT) | instid1(VALU_DEP_2)
	v_cmp_eq_u32_e32 vcc_lo, 0, v141
	v_cndmask_b32_e32 v141, v142, v135, vcc_lo
; %bb.64:
	s_or_b32 exec_lo, exec_lo, s4
	v_and_b32_e32 v135, 0x7f800000, v136
	s_delay_alu instid0(VALU_DEP_1) | instskip(SKIP_1) | instid1(SALU_CYCLE_1)
	v_cmp_ne_u32_e32 vcc_lo, 0x7f800000, v135
                                        ; implicit-def: $vgpr135
	s_and_saveexec_b32 s4, vcc_lo
	s_xor_b32 s4, exec_lo, s4
; %bb.65:
	v_bfe_u32 v135, v136, 16, 1
	s_delay_alu instid0(VALU_DEP_1)
	v_add3_u32 v135, v136, v135, 0x7fff
                                        ; implicit-def: $vgpr136
; %bb.66:
	s_and_not1_saveexec_b32 s4, s4
; %bb.67:
	v_and_b32_e32 v135, 0xffff, v136
	v_or_b32_e32 v142, 0x10000, v136
	s_delay_alu instid0(VALU_DEP_2) | instskip(NEXT) | instid1(VALU_DEP_2)
	v_cmp_eq_u32_e32 vcc_lo, 0, v135
	v_cndmask_b32_e32 v135, v142, v136, vcc_lo
; %bb.68:
	s_or_b32 exec_lo, exec_lo, s4
	v_and_b32_e32 v136, 0x7f800000, v137
	s_delay_alu instid0(VALU_DEP_1) | instskip(SKIP_1) | instid1(SALU_CYCLE_1)
	v_cmp_ne_u32_e32 vcc_lo, 0x7f800000, v136
                                        ; implicit-def: $vgpr136
	s_and_saveexec_b32 s4, vcc_lo
	s_xor_b32 s4, exec_lo, s4
; %bb.69:
	v_bfe_u32 v136, v137, 16, 1
	s_delay_alu instid0(VALU_DEP_1)
	v_add3_u32 v136, v137, v136, 0x7fff
                                        ; implicit-def: $vgpr137
; %bb.70:
	s_and_not1_saveexec_b32 s4, s4
; %bb.71:
	v_and_b32_e32 v136, 0xffff, v137
	v_or_b32_e32 v142, 0x10000, v137
	s_delay_alu instid0(VALU_DEP_2) | instskip(NEXT) | instid1(VALU_DEP_2)
	v_cmp_eq_u32_e32 vcc_lo, 0, v136
	v_cndmask_b32_e32 v136, v142, v137, vcc_lo
; %bb.72:
	s_or_b32 exec_lo, exec_lo, s4
	v_and_b32_e32 v137, 0x7f800000, v138
	s_delay_alu instid0(VALU_DEP_1) | instskip(SKIP_1) | instid1(SALU_CYCLE_1)
	v_cmp_ne_u32_e32 vcc_lo, 0x7f800000, v137
                                        ; implicit-def: $vgpr137
	s_and_saveexec_b32 s4, vcc_lo
	s_xor_b32 s4, exec_lo, s4
; %bb.73:
	v_bfe_u32 v137, v138, 16, 1
	s_delay_alu instid0(VALU_DEP_1)
	v_add3_u32 v137, v138, v137, 0x7fff
                                        ; implicit-def: $vgpr138
; %bb.74:
	s_and_not1_saveexec_b32 s4, s4
; %bb.75:
	v_and_b32_e32 v137, 0xffff, v138
	v_or_b32_e32 v142, 0x10000, v138
	s_delay_alu instid0(VALU_DEP_2) | instskip(NEXT) | instid1(VALU_DEP_2)
	v_cmp_eq_u32_e32 vcc_lo, 0, v137
	v_cndmask_b32_e32 v137, v142, v138, vcc_lo
; %bb.76:
	s_or_b32 exec_lo, exec_lo, s4
	s_delay_alu instid0(VALU_DEP_1)
	v_perm_b32 v136, v137, v136, 0x7060302
	v_perm_b32 v135, v135, v141, 0x7060302
	;; [unrolled: 1-line block ×4, first 2 shown]
	v_lshl_or_b32 v141, v149, 11, v140
	ds_store_b128 v131, v[133:136] offset:1024
	s_waitcnt lgkmcnt(0)
	s_barrier
	buffer_gl0_inv
	ds_load_b128 v[132:135], v141
	ds_load_b128 v[149:152], v141 offset:16
	s_waitcnt lgkmcnt(1)
	v_lshrrev_b32_e32 v136, 16, v132
	s_waitcnt lgkmcnt(0)
	v_lshrrev_b32_e32 v164, 16, v151
	v_lshlrev_b32_e32 v138, 2, v146
	v_lshrrev_b32_e32 v143, 16, v149
	v_lshrrev_b32_e32 v162, 16, v150
	;; [unrolled: 1-line block ×4, first 2 shown]
	v_or_b32_e32 v139, 1, v138
	v_lshrrev_b32_e32 v165, 16, v152
	v_lshrrev_b32_e32 v163, 16, v135
	s_delay_alu instid0(VALU_DEP_3)
	v_cmp_eq_u32_e64 s8, 1, v139
	v_cmp_eq_u32_e64 s7, 2, v139
	v_cmp_eq_u32_e64 s6, 3, v139
	v_cmp_eq_u32_e64 s4, 4, v139
	v_cmp_eq_u32_e32 vcc_lo, 5, v139
	v_cndmask_b32_e64 v155, v149, v143, s8
	v_cndmask_b32_e64 v154, v132, v136, s8
	v_cmp_eq_u32_e64 s5, 6, v139
	v_cmp_eq_u32_e64 s20, 7, v139
	s_delay_alu instid0(VALU_DEP_4) | instskip(NEXT) | instid1(VALU_DEP_4)
	v_cndmask_b32_e64 v155, v155, v150, s7
	v_cndmask_b32_e64 v154, v154, v133, s7
	s_delay_alu instid0(VALU_DEP_2) | instskip(NEXT) | instid1(VALU_DEP_2)
	v_cndmask_b32_e64 v155, v155, v162, s6
	v_cndmask_b32_e64 v154, v154, v144, s6
	s_delay_alu instid0(VALU_DEP_2) | instskip(NEXT) | instid1(VALU_DEP_2)
	v_cndmask_b32_e64 v155, v155, v151, s4
	v_cndmask_b32_e64 v154, v154, v134, s4
	s_delay_alu instid0(VALU_DEP_2)
	v_cndmask_b32_e32 v157, v155, v164, vcc_lo
	v_cmp_eq_u32_e64 s13, 1, v138
	v_cmp_eq_u32_e64 s12, 2, v138
	;; [unrolled: 1-line block ×3, first 2 shown]
	v_or_b32_e32 v137, 2, v138
	v_cmp_eq_u32_e64 s18, 4, v138
	v_cndmask_b32_e64 v153, v149, v143, s13
	v_cndmask_b32_e64 v142, v132, v136, s13
	v_cmp_eq_u32_e64 s15, 5, v138
	v_cmp_eq_u32_e64 s9, 1, v137
	;; [unrolled: 1-line block ×3, first 2 shown]
	v_cndmask_b32_e64 v153, v153, v150, s12
	v_cndmask_b32_e64 v142, v142, v133, s12
	v_cmp_eq_u32_e64 s11, 2, v137
	v_cndmask_b32_e64 v156, v132, v136, s9
	v_cndmask_b32_e32 v154, v154, v161, vcc_lo
	v_cndmask_b32_e64 v153, v153, v162, s17
	v_cndmask_b32_e64 v142, v142, v144, s17
	v_cmp_eq_u32_e64 s10, 7, v138
	v_cndmask_b32_e64 v156, v156, v133, s11
	v_cmp_eq_u32_e64 s19, 3, v137
	v_cndmask_b32_e64 v153, v153, v151, s18
	v_cndmask_b32_e64 v142, v142, v134, s18
	;; [unrolled: 1-line block ×3, first 2 shown]
	v_cmp_eq_u32_e64 s21, 4, v137
	v_cndmask_b32_e64 v156, v156, v144, s19
	v_cndmask_b32_e64 v153, v153, v164, s15
	;; [unrolled: 1-line block ×4, first 2 shown]
	v_cmp_eq_u32_e64 s23, 5, v137
	v_cndmask_b32_e64 v159, v156, v134, s21
	v_cndmask_b32_e64 v153, v153, v152, s16
	;; [unrolled: 1-line block ×3, first 2 shown]
	v_cmp_eq_u32_e64 s26, 6, v137
	v_cmp_eq_u32_e64 s28, 7, v137
	v_cndmask_b32_e64 v169, v159, v161, s23
	v_cndmask_b32_e64 v167, v153, v165, s10
	;; [unrolled: 1-line block ×4, first 2 shown]
	v_or_b32_e32 v142, 3, v138
	s_delay_alu instid0(VALU_DEP_3)
	v_cndmask_b32_e64 v158, v153, v150, s11
	ds_load_b128 v[153:156], v141 offset:1024
	v_cmp_eq_u32_e64 s22, 1, v142
	v_cmp_eq_u32_e64 s24, 2, v142
	;; [unrolled: 1-line block ×3, first 2 shown]
	v_cndmask_b32_e64 v158, v158, v162, s19
	v_cmp_eq_u32_e64 s27, 4, v142
	v_cndmask_b32_e64 v132, v132, v136, s22
	v_cndmask_b32_e64 v136, v157, v152, s5
	;; [unrolled: 1-line block ×4, first 2 shown]
	ds_load_b128 v[157:160], v141 offset:1040
	v_cndmask_b32_e64 v132, v132, v133, s24
	v_cmp_eq_u32_e64 s29, 5, v142
	v_cndmask_b32_e64 v143, v143, v150, s24
	v_cmp_eq_u32_e64 s30, 6, v142
	v_cndmask_b32_e64 v133, v170, v164, s23
	v_cndmask_b32_e64 v132, v132, v144, s25
	;; [unrolled: 1-line block ×5, first 2 shown]
	s_waitcnt lgkmcnt(1)
	v_lshrrev_b32_e32 v149, 16, v153
	v_cndmask_b32_e64 v132, v132, v134, s27
	v_cndmask_b32_e64 v133, v133, v152, s26
	;; [unrolled: 1-line block ×3, first 2 shown]
	v_lshrrev_b32_e32 v151, 16, v154
	v_cndmask_b32_e64 v143, v153, v149, s13
	v_cndmask_b32_e64 v132, v132, v161, s29
	;; [unrolled: 1-line block ×5, first 2 shown]
	s_waitcnt lgkmcnt(0)
	v_lshrrev_b32_e32 v150, 16, v157
	v_cndmask_b32_e64 v143, v143, v154, s12
	v_cndmask_b32_e64 v132, v132, v135, s30
	;; [unrolled: 1-line block ×3, first 2 shown]
	v_lshrrev_b32_e32 v164, 16, v159
	v_cndmask_b32_e64 v162, v157, v150, s13
	v_cndmask_b32_e64 v135, v143, v151, s17
	;; [unrolled: 1-line block ×3, first 2 shown]
	v_lshrrev_b32_e32 v161, 16, v158
	v_cndmask_b32_e64 v133, v133, v165, s28
	v_cndmask_b32_e64 v152, v162, v158, s12
	v_cmp_eq_u32_e64 s12, 7, v142
	v_cndmask_b32_e64 v143, v143, v151, s6
	v_cndmask_b32_e64 v135, v135, v155, s18
	v_lshrrev_b32_e32 v162, 16, v155
	v_cndmask_b32_e64 v152, v152, v161, s17
	v_cndmask_b32_e64 v132, v132, v163, s12
	;; [unrolled: 1-line block ×6, first 2 shown]
	s_delay_alu instid0(VALU_DEP_4) | instskip(NEXT) | instid1(VALU_DEP_4)
	v_perm_b32 v135, v134, v132, 0x5040100
	v_cndmask_b32_e32 v132, v143, v162, vcc_lo
	s_delay_alu instid0(VALU_DEP_4)
	v_cndmask_b32_e64 v143, v163, v156, s16
	v_lshrrev_b32_e32 v163, 16, v156
	v_cndmask_b32_e64 v152, v152, v164, s15
	v_perm_b32 v134, v133, v144, 0x5040100
	v_cndmask_b32_e64 v132, v132, v156, s5
	v_perm_b32 v133, v136, v168, 0x5040100
	v_cndmask_b32_e64 v136, v143, v163, s10
	v_cndmask_b32_e64 v143, v152, v160, s16
	;; [unrolled: 1-line block ×13, first 2 shown]
	v_lshrrev_b32_e32 v144, 16, v160
	v_cndmask_b32_e64 v132, v132, v151, s19
	v_cndmask_b32_e64 v149, v149, v151, s25
	;; [unrolled: 1-line block ×14, first 2 shown]
	v_cndmask_b32_e32 v150, v150, v164, vcc_lo
	v_cndmask_b32_e64 v132, v132, v156, s26
	v_cndmask_b32_e64 v149, v149, v156, s30
	;; [unrolled: 1-line block ×11, first 2 shown]
	v_perm_b32 v132, v167, v166, 0x5040100
	v_perm_b32 v152, v151, v149, 0x5040100
	;; [unrolled: 1-line block ×5, first 2 shown]
	s_mul_i32 s9, s37, 7
	s_mov_b32 s4, exec_lo
	ds_store_b128 v131, v[132:135]
	ds_store_b128 v131, v[149:152] offset:1024
	v_cmpx_gt_u32_e32 7, v0
	s_cbranch_execz .LBB484_78
; %bb.77:
	s_mul_i32 s5, s9, s34
	s_load_b128 s[16:19], s[0:1], 0x58
	v_add3_u32 v133, s5, s31, v148
	s_delay_alu instid0(VALU_DEP_1) | instskip(NEXT) | instid1(VALU_DEP_1)
	v_mad_u64_u32 v[131:132], null, v133, s36, s[14:15]
	v_ashrrev_i32_e32 v132, 31, v131
	s_delay_alu instid0(VALU_DEP_1) | instskip(SKIP_1) | instid1(VALU_DEP_1)
	v_lshlrev_b64 v[131:132], 2, v[131:132]
	s_waitcnt lgkmcnt(0)
	v_add_co_u32 v133, vcc_lo, s18, v131
	s_delay_alu instid0(VALU_DEP_2)
	v_add_co_ci_u32_e32 v134, vcc_lo, s19, v132, vcc_lo
	v_add_co_u32 v131, vcc_lo, s16, v131
	v_add_co_ci_u32_e32 v132, vcc_lo, s17, v132, vcc_lo
	global_store_b32 v[133:134], v129, off
	global_store_b32 v[131:132], v130, off
.LBB484_78:
	s_or_b32 exec_lo, exec_lo, s4
	s_waitcnt lgkmcnt(0)
	s_waitcnt_vscnt null, 0x0
	s_barrier
	buffer_gl0_inv
	ds_load_b128 v[148:151], v140
	ds_load_b128 v[152:155], v140 offset:16
	ds_load_b128 v[160:163], v140 offset:1040
	;; [unrolled: 1-line block ×3, first 2 shown]
	v_mov_b32_e32 v129, 0
	ds_load_b128 v[168:171], v140 offset:2064
	ds_load_b128 v[164:167], v140 offset:2048
	;; [unrolled: 1-line block ×6, first 2 shown]
	v_mov_b32_e32 v130, v129
	v_mov_b32_e32 v131, v129
	;; [unrolled: 1-line block ×7, first 2 shown]
	s_waitcnt lgkmcnt(8)
	s_delay_alu instid0(VALU_DEP_1)
	v_wmma_f32_16x16x16_bf16 v[129:136], v[121:128], v[148:155], v[129:136]
	ds_load_b128 v[125:128], v140 offset:5136
	ds_load_b128 v[121:124], v140 offset:5120
	s_waitcnt lgkmcnt(8)
	v_wmma_f32_16x16x16_bf16 v[129:136], v[113:120], v[156:163], v[129:136]
	ds_load_b128 v[117:120], v140 offset:6160
	ds_load_b128 v[113:116], v140 offset:6144
	s_waitcnt lgkmcnt(8)
	;; [unrolled: 4-line block ×8, first 2 shown]
	v_wmma_f32_16x16x16_bf16 v[129:136], v[65:72], v[97:104], v[129:136]
	s_waitcnt lgkmcnt(6)
	s_delay_alu instid0(VALU_DEP_1)
	v_wmma_f32_16x16x16_bf16 v[129:136], v[49:56], v[89:96], v[129:136]
	ds_load_b128 v[53:56], v140 offset:13328
	ds_load_b128 v[49:52], v140 offset:13312
	s_waitcnt lgkmcnt(6)
	v_wmma_f32_16x16x16_bf16 v[129:136], v[41:48], v[81:88], v[129:136]
	ds_load_b128 v[45:48], v140 offset:14352
	ds_load_b128 v[41:44], v140 offset:14336
	s_waitcnt lgkmcnt(6)
	;; [unrolled: 4-line block ×3, first 2 shown]
	v_wmma_f32_16x16x16_bf16 v[129:136], v[1:8], v[57:64], v[129:136]
	s_waitcnt lgkmcnt(4)
	s_delay_alu instid0(VALU_DEP_1) | instskip(SKIP_1) | instid1(VALU_DEP_1)
	v_wmma_f32_16x16x16_bf16 v[129:136], v[25:32], v[49:56], v[129:136]
	s_waitcnt lgkmcnt(2)
	v_wmma_f32_16x16x16_bf16 v[129:136], v[33:40], v[41:48], v[129:136]
	s_waitcnt lgkmcnt(0)
	s_delay_alu instid0(VALU_DEP_1) | instskip(NEXT) | instid1(VALU_DEP_1)
	v_wmma_f32_16x16x16_bf16 v[129:136], v[9:16], v[17:24], v[129:136]
	v_and_b32_e32 v1, 0x7f800000, v129
	s_delay_alu instid0(VALU_DEP_1) | instskip(SKIP_1) | instid1(SALU_CYCLE_1)
	v_cmp_ne_u32_e32 vcc_lo, 0x7f800000, v1
                                        ; implicit-def: $vgpr1
	s_and_saveexec_b32 s4, vcc_lo
	s_xor_b32 s4, exec_lo, s4
; %bb.79:
	v_bfe_u32 v1, v129, 16, 1
	s_delay_alu instid0(VALU_DEP_1)
	v_add3_u32 v1, v129, v1, 0x7fff
; %bb.80:
	s_and_not1_saveexec_b32 s4, s4
; %bb.81:
	v_and_b32_e32 v1, 0xffff, v129
	v_or_b32_e32 v2, 0x10000, v129
	s_delay_alu instid0(VALU_DEP_2) | instskip(NEXT) | instid1(VALU_DEP_2)
	v_cmp_eq_u32_e32 vcc_lo, 0, v1
	v_cndmask_b32_e32 v1, v2, v129, vcc_lo
; %bb.82:
	s_or_b32 exec_lo, exec_lo, s4
	v_and_b32_e32 v2, 0x7f800000, v130
	s_delay_alu instid0(VALU_DEP_1) | instskip(SKIP_1) | instid1(SALU_CYCLE_1)
	v_cmp_ne_u32_e32 vcc_lo, 0x7f800000, v2
                                        ; implicit-def: $vgpr2
	s_and_saveexec_b32 s4, vcc_lo
	s_xor_b32 s4, exec_lo, s4
; %bb.83:
	v_bfe_u32 v2, v130, 16, 1
	s_delay_alu instid0(VALU_DEP_1)
	v_add3_u32 v2, v130, v2, 0x7fff
; %bb.84:
	s_and_not1_saveexec_b32 s4, s4
; %bb.85:
	v_and_b32_e32 v2, 0xffff, v130
	v_or_b32_e32 v3, 0x10000, v130
	s_delay_alu instid0(VALU_DEP_2) | instskip(NEXT) | instid1(VALU_DEP_2)
	v_cmp_eq_u32_e32 vcc_lo, 0, v2
	v_cndmask_b32_e32 v2, v3, v130, vcc_lo
; %bb.86:
	s_or_b32 exec_lo, exec_lo, s4
	v_and_b32_e32 v3, 0x7f800000, v131
	s_delay_alu instid0(VALU_DEP_1) | instskip(SKIP_1) | instid1(SALU_CYCLE_1)
	v_cmp_ne_u32_e32 vcc_lo, 0x7f800000, v3
                                        ; implicit-def: $vgpr3
	s_and_saveexec_b32 s4, vcc_lo
	s_xor_b32 s4, exec_lo, s4
; %bb.87:
	v_bfe_u32 v3, v131, 16, 1
	s_delay_alu instid0(VALU_DEP_1)
	v_add3_u32 v3, v131, v3, 0x7fff
; %bb.88:
	s_and_not1_saveexec_b32 s4, s4
; %bb.89:
	v_and_b32_e32 v3, 0xffff, v131
	v_or_b32_e32 v4, 0x10000, v131
	s_delay_alu instid0(VALU_DEP_2) | instskip(NEXT) | instid1(VALU_DEP_2)
	v_cmp_eq_u32_e32 vcc_lo, 0, v3
	v_cndmask_b32_e32 v3, v4, v131, vcc_lo
; %bb.90:
	s_or_b32 exec_lo, exec_lo, s4
	v_and_b32_e32 v4, 0x7f800000, v132
	s_delay_alu instid0(VALU_DEP_1) | instskip(SKIP_1) | instid1(SALU_CYCLE_1)
	v_cmp_ne_u32_e32 vcc_lo, 0x7f800000, v4
                                        ; implicit-def: $vgpr4
	s_and_saveexec_b32 s4, vcc_lo
	s_xor_b32 s4, exec_lo, s4
; %bb.91:
	v_bfe_u32 v4, v132, 16, 1
	s_delay_alu instid0(VALU_DEP_1)
	v_add3_u32 v4, v132, v4, 0x7fff
; %bb.92:
	s_and_not1_saveexec_b32 s4, s4
; %bb.93:
	v_and_b32_e32 v4, 0xffff, v132
	v_or_b32_e32 v5, 0x10000, v132
	s_delay_alu instid0(VALU_DEP_2) | instskip(NEXT) | instid1(VALU_DEP_2)
	v_cmp_eq_u32_e32 vcc_lo, 0, v4
	v_cndmask_b32_e32 v4, v5, v132, vcc_lo
; %bb.94:
	s_or_b32 exec_lo, exec_lo, s4
	v_and_b32_e32 v5, 0x7f800000, v133
	s_delay_alu instid0(VALU_DEP_1) | instskip(SKIP_1) | instid1(SALU_CYCLE_1)
	v_cmp_ne_u32_e32 vcc_lo, 0x7f800000, v5
                                        ; implicit-def: $vgpr5
	s_and_saveexec_b32 s4, vcc_lo
	s_xor_b32 s4, exec_lo, s4
; %bb.95:
	v_bfe_u32 v5, v133, 16, 1
	s_delay_alu instid0(VALU_DEP_1)
	v_add3_u32 v5, v133, v5, 0x7fff
; %bb.96:
	s_and_not1_saveexec_b32 s4, s4
; %bb.97:
	v_and_b32_e32 v5, 0xffff, v133
	v_or_b32_e32 v6, 0x10000, v133
	s_delay_alu instid0(VALU_DEP_2) | instskip(NEXT) | instid1(VALU_DEP_2)
	v_cmp_eq_u32_e32 vcc_lo, 0, v5
	v_cndmask_b32_e32 v5, v6, v133, vcc_lo
; %bb.98:
	s_or_b32 exec_lo, exec_lo, s4
	v_and_b32_e32 v6, 0x7f800000, v134
	s_delay_alu instid0(VALU_DEP_1) | instskip(SKIP_1) | instid1(SALU_CYCLE_1)
	v_cmp_ne_u32_e32 vcc_lo, 0x7f800000, v6
                                        ; implicit-def: $vgpr6
	s_and_saveexec_b32 s4, vcc_lo
	s_xor_b32 s4, exec_lo, s4
; %bb.99:
	v_bfe_u32 v6, v134, 16, 1
	s_delay_alu instid0(VALU_DEP_1)
	v_add3_u32 v6, v134, v6, 0x7fff
; %bb.100:
	s_and_not1_saveexec_b32 s4, s4
; %bb.101:
	v_and_b32_e32 v6, 0xffff, v134
	v_or_b32_e32 v7, 0x10000, v134
	s_delay_alu instid0(VALU_DEP_2) | instskip(NEXT) | instid1(VALU_DEP_2)
	v_cmp_eq_u32_e32 vcc_lo, 0, v6
	v_cndmask_b32_e32 v6, v7, v134, vcc_lo
; %bb.102:
	s_or_b32 exec_lo, exec_lo, s4
	v_and_b32_e32 v7, 0x7f800000, v135
	s_delay_alu instid0(VALU_DEP_1) | instskip(SKIP_1) | instid1(SALU_CYCLE_1)
	v_cmp_ne_u32_e32 vcc_lo, 0x7f800000, v7
                                        ; implicit-def: $vgpr7
	s_and_saveexec_b32 s4, vcc_lo
	s_xor_b32 s4, exec_lo, s4
; %bb.103:
	v_bfe_u32 v7, v135, 16, 1
	s_delay_alu instid0(VALU_DEP_1)
	v_add3_u32 v7, v135, v7, 0x7fff
; %bb.104:
	s_and_not1_saveexec_b32 s4, s4
; %bb.105:
	v_and_b32_e32 v7, 0xffff, v135
	v_or_b32_e32 v8, 0x10000, v135
	s_delay_alu instid0(VALU_DEP_2) | instskip(NEXT) | instid1(VALU_DEP_2)
	v_cmp_eq_u32_e32 vcc_lo, 0, v7
	v_cndmask_b32_e32 v7, v8, v135, vcc_lo
; %bb.106:
	s_or_b32 exec_lo, exec_lo, s4
	v_and_b32_e32 v8, 0x7f800000, v136
	s_delay_alu instid0(VALU_DEP_1) | instskip(SKIP_1) | instid1(SALU_CYCLE_1)
	v_cmp_ne_u32_e32 vcc_lo, 0x7f800000, v8
                                        ; implicit-def: $vgpr8
	s_and_saveexec_b32 s4, vcc_lo
	s_xor_b32 s4, exec_lo, s4
; %bb.107:
	v_bfe_u32 v8, v136, 16, 1
	s_delay_alu instid0(VALU_DEP_1)
	v_add3_u32 v8, v136, v8, 0x7fff
                                        ; implicit-def: $vgpr129_vgpr130_vgpr131_vgpr132_vgpr133_vgpr134_vgpr135_vgpr136
; %bb.108:
	s_and_not1_saveexec_b32 s4, s4
; %bb.109:
	v_and_b32_e32 v8, 0xffff, v136
	v_or_b32_e32 v9, 0x10000, v136
	s_delay_alu instid0(VALU_DEP_2) | instskip(NEXT) | instid1(VALU_DEP_2)
	v_cmp_eq_u32_e32 vcc_lo, 0, v8
	v_cndmask_b32_e32 v8, v9, v136, vcc_lo
; %bb.110:
	s_or_b32 exec_lo, exec_lo, s4
	s_delay_alu instid0(VALU_DEP_1)
	v_perm_b32 v7, v8, v7, 0x7060302
	v_perm_b32 v6, v6, v5, 0x7060302
	;; [unrolled: 1-line block ×4, first 2 shown]
	v_lshl_or_b32 v9, v146, 4, v141
	s_barrier
	buffer_gl0_inv
	v_cmp_eq_u32_e32 vcc_lo, 1, v138
	ds_store_b128 v9, v[4:7]
	s_waitcnt lgkmcnt(0)
	s_barrier
	buffer_gl0_inv
	ds_load_b128 v[1:4], v141
	ds_load_b128 v[5:8], v141 offset:16
	v_cmp_eq_u32_e64 s5, 2, v138
	v_cmp_eq_u32_e64 s4, 1, v139
	;; [unrolled: 1-line block ×5, first 2 shown]
	s_waitcnt lgkmcnt(1)
	v_lshrrev_b32_e32 v10, 16, v1
	s_waitcnt lgkmcnt(0)
	v_lshrrev_b32_e32 v14, 16, v5
	v_lshrrev_b32_e32 v15, 16, v6
	;; [unrolled: 1-line block ×4, first 2 shown]
	v_cndmask_b32_e64 v20, v1, v10, s4
	v_cndmask_b32_e32 v19, v5, v14, vcc_lo
	v_cndmask_b32_e64 v21, v5, v14, s4
	v_lshrrev_b32_e32 v16, 16, v7
	v_cmp_eq_u32_e64 s4, 1, v137
	v_lshrrev_b32_e32 v13, 16, v4
	v_cndmask_b32_e64 v19, v19, v6, s5
	v_lshrrev_b32_e32 v17, 16, v8
	s_delay_alu instid0(VALU_DEP_4) | instskip(SKIP_1) | instid1(VALU_DEP_4)
	v_cndmask_b32_e64 v22, v1, v10, s4
	v_cndmask_b32_e64 v23, v5, v14, s4
	;; [unrolled: 1-line block ×3, first 2 shown]
	v_cndmask_b32_e32 v18, v1, v10, vcc_lo
	v_cmp_eq_u32_e32 vcc_lo, 2, v139
	v_cmp_eq_u32_e64 s4, 2, v142
	v_cndmask_b32_e64 v22, v22, v2, s8
	v_cndmask_b32_e32 v20, v20, v2, vcc_lo
	v_cndmask_b32_e32 v21, v21, v6, vcc_lo
	v_cmp_eq_u32_e32 vcc_lo, 4, v138
	v_cndmask_b32_e32 v19, v19, v7, vcc_lo
	v_cndmask_b32_e64 v18, v18, v2, s5
	v_cmp_eq_u32_e64 s5, 3, v139
	s_delay_alu instid0(VALU_DEP_2) | instskip(NEXT) | instid1(VALU_DEP_2)
	v_cndmask_b32_e64 v18, v18, v11, s6
	v_cndmask_b32_e64 v21, v21, v15, s5
	v_cmp_eq_u32_e64 s6, 5, v138
	s_delay_alu instid0(VALU_DEP_3) | instskip(SKIP_1) | instid1(VALU_DEP_3)
	v_cndmask_b32_e32 v18, v18, v3, vcc_lo
	v_cmp_eq_u32_e32 vcc_lo, 4, v139
	v_cndmask_b32_e64 v19, v19, v16, s6
	s_delay_alu instid0(VALU_DEP_3) | instskip(SKIP_4) | instid1(VALU_DEP_3)
	v_cndmask_b32_e64 v18, v18, v12, s6
	v_cndmask_b32_e32 v21, v21, v7, vcc_lo
	v_cndmask_b32_e64 v20, v20, v11, s5
	v_cmp_eq_u32_e64 s5, 5, v139
	v_cmp_eq_u32_e64 s6, 6, v138
	v_cndmask_b32_e32 v20, v20, v3, vcc_lo
	s_delay_alu instid0(VALU_DEP_3) | instskip(SKIP_1) | instid1(VALU_DEP_4)
	v_cndmask_b32_e64 v21, v21, v16, s5
	v_cmp_eq_u32_e32 vcc_lo, 6, v139
	v_cndmask_b32_e64 v18, v18, v4, s6
	v_cndmask_b32_e64 v19, v19, v8, s6
	;; [unrolled: 1-line block ×3, first 2 shown]
	v_cmp_eq_u32_e64 s5, 1, v142
	v_cmp_eq_u32_e64 s6, 7, v138
	s_delay_alu instid0(VALU_DEP_3) | instskip(NEXT) | instid1(VALU_DEP_3)
	v_cndmask_b32_e32 v20, v20, v4, vcc_lo
	v_cndmask_b32_e64 v1, v1, v10, s5
	v_cndmask_b32_e64 v5, v5, v14, s5
	v_cmp_eq_u32_e64 s5, 3, v137
	v_cndmask_b32_e64 v14, v23, v6, s8
	v_cmp_eq_u32_e64 s8, 3, v142
	v_cndmask_b32_e64 v1, v1, v2, s4
	v_cndmask_b32_e64 v2, v5, v6, s4
	;; [unrolled: 1-line block ×3, first 2 shown]
	v_cmp_eq_u32_e64 s4, 4, v137
	v_cndmask_b32_e64 v6, v14, v15, s5
	v_cndmask_b32_e64 v1, v1, v11, s8
	v_cmp_eq_u32_e64 s5, 4, v142
	v_cndmask_b32_e64 v2, v2, v15, s8
	v_cndmask_b32_e64 v5, v10, v3, s4
	;; [unrolled: 3-line block ×3, first 2 shown]
	v_cndmask_b32_e64 v2, v2, v7, s5
	v_cmp_eq_u32_e64 s4, 5, v142
	v_cndmask_b32_e64 v5, v5, v12, s8
	v_cmp_eq_u32_e64 s5, 6, v137
	;; [unrolled: 2-line block ×3, first 2 shown]
	v_cndmask_b32_e64 v1, v1, v12, s4
	v_cndmask_b32_e64 v2, v2, v16, s4
	;; [unrolled: 1-line block ×4, first 2 shown]
	v_cmp_eq_u32_e64 s4, 7, v142
	v_cndmask_b32_e64 v1, v1, v4, s8
	v_cndmask_b32_e64 v2, v2, v8, s8
	v_cmp_eq_u32_e64 s5, 7, v137
	v_cndmask_b32_e32 v4, v21, v8, vcc_lo
	v_cndmask_b32_e64 v18, v18, v13, s6
	v_cndmask_b32_e64 v20, v20, v13, s7
	;; [unrolled: 1-line block ×8, first 2 shown]
	v_cmp_gt_u32_e32 vcc_lo, 32, v0
	v_perm_b32 v4, v2, v1, 0x5040100
	v_perm_b32 v3, v3, v5, 0x5040100
	;; [unrolled: 1-line block ×4, first 2 shown]
	s_and_b32 s2, vcc_lo, s2
	ds_store_b128 v9, v[1:4]
	s_waitcnt lgkmcnt(0)
	s_barrier
	buffer_gl0_inv
	s_and_saveexec_b32 s4, s2
	s_cbranch_execz .LBB484_2
; %bb.111:
	s_load_b64 s[4:5], s[0:1], 0x68
	v_lshlrev_b32_e32 v0, 10, v0
	v_add_nc_u32_e32 v2, s31, v146
	v_lshlrev_b32_e32 v3, 4, v147
	s_lshl_b32 s0, s36, 6
	s_delay_alu instid0(SALU_CYCLE_1) | instskip(NEXT) | instid1(VALU_DEP_2)
	s_mul_i32 s1, s0, s34
	v_mul_lo_u32 v1, v2, s0
	s_delay_alu instid0(VALU_DEP_2)
	v_and_or_b32 v0, 0x3800, v0, v3
	v_add_nc_u32_e32 v3, 2, v2
	s_mul_i32 s6, s1, s9
	v_add_nc_u32_e32 v4, 4, v2
	s_ashr_i32 s7, s6, 31
	v_lshl_or_b32 v11, v146, 6, v0
	s_lshl_b64 s[6:7], s[6:7], 1
	v_mul_lo_u32 v15, v3, s0
	v_mul_lo_u32 v17, v4, s0
	v_ashrrev_i32_e32 v2, 31, v1
	ds_load_b128 v[3:6], v11
	ds_load_b128 v[7:10], v11 offset:128
	ds_load_b128 v[11:14], v11 offset:256
	s_waitcnt lgkmcnt(0)
	s_add_u32 s1, s4, s6
	s_addc_u32 s2, s5, s7
	s_lshl_b32 s4, s14, 6
	v_ashrrev_i32_e32 v16, 31, v15
	s_ashr_i32 s5, s4, 31
	v_lshlrev_b64 v[19:20], 1, v[1:2]
	s_lshl_b64 s[4:5], s[4:5], 1
	v_ashrrev_i32_e32 v18, 31, v17
	s_add_u32 s1, s1, s4
	s_addc_u32 s2, s2, s5
	v_add_co_u32 v1, s1, s1, v145
	s_delay_alu instid0(VALU_DEP_1) | instskip(SKIP_1) | instid1(VALU_DEP_3)
	v_add_co_ci_u32_e64 v2, null, s2, 0, s1
	v_lshlrev_b64 v[15:16], 1, v[15:16]
	v_add_co_u32 v19, vcc_lo, v1, v19
	v_lshlrev_b64 v[17:18], 1, v[17:18]
	s_delay_alu instid0(VALU_DEP_4) | instskip(NEXT) | instid1(VALU_DEP_4)
	v_add_co_ci_u32_e32 v20, vcc_lo, v2, v20, vcc_lo
	v_add_co_u32 v15, vcc_lo, v1, v15
	v_add_co_ci_u32_e32 v16, vcc_lo, v2, v16, vcc_lo
	s_delay_alu instid0(VALU_DEP_4)
	v_add_co_u32 v17, vcc_lo, v1, v17
	v_add_co_ci_u32_e32 v18, vcc_lo, v2, v18, vcc_lo
	s_clause 0x2
	global_store_b128 v[19:20], v[3:6], off
	global_store_b128 v[15:16], v[7:10], off
	;; [unrolled: 1-line block ×3, first 2 shown]
	s_and_b32 exec_lo, exec_lo, s3
	s_cbranch_execz .LBB484_2
; %bb.112:
	ds_load_b128 v[3:6], v0 offset:384
	s_add_i32 s1, s31, 6
	s_delay_alu instid0(SALU_CYCLE_1) | instskip(NEXT) | instid1(SALU_CYCLE_1)
	s_mul_i32 s0, s1, s0
	s_ashr_i32 s1, s0, 31
	s_delay_alu instid0(SALU_CYCLE_1) | instskip(NEXT) | instid1(SALU_CYCLE_1)
	s_lshl_b64 s[0:1], s[0:1], 1
	v_add_co_u32 v0, vcc_lo, v1, s0
	v_add_co_ci_u32_e32 v1, vcc_lo, s1, v2, vcc_lo
	s_waitcnt lgkmcnt(0)
	global_store_b128 v[0:1], v[3:6], off
	s_nop 0
	s_sendmsg sendmsg(MSG_DEALLOC_VGPRS)
	s_endpgm
	.section	.rodata,"a",@progbits
	.p2align	6, 0x0
	.amdhsa_kernel _Z39paged_attention_ll4mi_QKV_mfma16_kernelI14__hip_bfloat16S0_LN4vllm18Fp8KVCacheDataTypeE0ES0_Li16ELi64ELi256ELb0ELi7EL8MFMAType0EEvPKT_PKT0_S9_ifPKiSB_SB_iPKfiiiPfSE_PS4_PT2_iSD_SD_
		.amdhsa_group_segment_fixed_size 17472
		.amdhsa_private_segment_fixed_size 0
		.amdhsa_kernarg_size 400
		.amdhsa_user_sgpr_count 13
		.amdhsa_user_sgpr_dispatch_ptr 0
		.amdhsa_user_sgpr_queue_ptr 0
		.amdhsa_user_sgpr_kernarg_segment_ptr 1
		.amdhsa_user_sgpr_dispatch_id 0
		.amdhsa_user_sgpr_private_segment_size 0
		.amdhsa_wavefront_size32 1
		.amdhsa_uses_dynamic_stack 0
		.amdhsa_enable_private_segment 0
		.amdhsa_system_sgpr_workgroup_id_x 1
		.amdhsa_system_sgpr_workgroup_id_y 1
		.amdhsa_system_sgpr_workgroup_id_z 1
		.amdhsa_system_sgpr_workgroup_info 0
		.amdhsa_system_vgpr_workitem_id 0
		.amdhsa_next_free_vgpr 198
		.amdhsa_next_free_sgpr 52
		.amdhsa_reserve_vcc 1
		.amdhsa_float_round_mode_32 0
		.amdhsa_float_round_mode_16_64 0
		.amdhsa_float_denorm_mode_32 3
		.amdhsa_float_denorm_mode_16_64 3
		.amdhsa_dx10_clamp 1
		.amdhsa_ieee_mode 1
		.amdhsa_fp16_overflow 0
		.amdhsa_workgroup_processor_mode 1
		.amdhsa_memory_ordered 1
		.amdhsa_forward_progress 0
		.amdhsa_shared_vgpr_count 0
		.amdhsa_exception_fp_ieee_invalid_op 0
		.amdhsa_exception_fp_denorm_src 0
		.amdhsa_exception_fp_ieee_div_zero 0
		.amdhsa_exception_fp_ieee_overflow 0
		.amdhsa_exception_fp_ieee_underflow 0
		.amdhsa_exception_fp_ieee_inexact 0
		.amdhsa_exception_int_div_zero 0
	.end_amdhsa_kernel
	.section	.text._Z39paged_attention_ll4mi_QKV_mfma16_kernelI14__hip_bfloat16S0_LN4vllm18Fp8KVCacheDataTypeE0ES0_Li16ELi64ELi256ELb0ELi7EL8MFMAType0EEvPKT_PKT0_S9_ifPKiSB_SB_iPKfiiiPfSE_PS4_PT2_iSD_SD_,"axG",@progbits,_Z39paged_attention_ll4mi_QKV_mfma16_kernelI14__hip_bfloat16S0_LN4vllm18Fp8KVCacheDataTypeE0ES0_Li16ELi64ELi256ELb0ELi7EL8MFMAType0EEvPKT_PKT0_S9_ifPKiSB_SB_iPKfiiiPfSE_PS4_PT2_iSD_SD_,comdat
.Lfunc_end484:
	.size	_Z39paged_attention_ll4mi_QKV_mfma16_kernelI14__hip_bfloat16S0_LN4vllm18Fp8KVCacheDataTypeE0ES0_Li16ELi64ELi256ELb0ELi7EL8MFMAType0EEvPKT_PKT0_S9_ifPKiSB_SB_iPKfiiiPfSE_PS4_PT2_iSD_SD_, .Lfunc_end484-_Z39paged_attention_ll4mi_QKV_mfma16_kernelI14__hip_bfloat16S0_LN4vllm18Fp8KVCacheDataTypeE0ES0_Li16ELi64ELi256ELb0ELi7EL8MFMAType0EEvPKT_PKT0_S9_ifPKiSB_SB_iPKfiiiPfSE_PS4_PT2_iSD_SD_
                                        ; -- End function
	.section	.AMDGPU.csdata,"",@progbits
; Kernel info:
; codeLenInByte = 10064
; NumSgprs: 54
; NumVgprs: 198
; ScratchSize: 0
; MemoryBound: 0
; FloatMode: 240
; IeeeMode: 1
; LDSByteSize: 17472 bytes/workgroup (compile time only)
; SGPRBlocks: 6
; VGPRBlocks: 24
; NumSGPRsForWavesPerEU: 54
; NumVGPRsForWavesPerEU: 198
; Occupancy: 7
; WaveLimiterHint : 1
; COMPUTE_PGM_RSRC2:SCRATCH_EN: 0
; COMPUTE_PGM_RSRC2:USER_SGPR: 13
; COMPUTE_PGM_RSRC2:TRAP_HANDLER: 0
; COMPUTE_PGM_RSRC2:TGID_X_EN: 1
; COMPUTE_PGM_RSRC2:TGID_Y_EN: 1
; COMPUTE_PGM_RSRC2:TGID_Z_EN: 1
; COMPUTE_PGM_RSRC2:TIDIG_COMP_CNT: 0
	.section	.text._Z39paged_attention_ll4mi_QKV_mfma16_kernelI14__hip_bfloat16S0_LN4vllm18Fp8KVCacheDataTypeE0ES0_Li16ELi64ELi256ELb0ELi8EL8MFMAType0EEvPKT_PKT0_S9_ifPKiSB_SB_iPKfiiiPfSE_PS4_PT2_iSD_SD_,"axG",@progbits,_Z39paged_attention_ll4mi_QKV_mfma16_kernelI14__hip_bfloat16S0_LN4vllm18Fp8KVCacheDataTypeE0ES0_Li16ELi64ELi256ELb0ELi8EL8MFMAType0EEvPKT_PKT0_S9_ifPKiSB_SB_iPKfiiiPfSE_PS4_PT2_iSD_SD_,comdat
	.protected	_Z39paged_attention_ll4mi_QKV_mfma16_kernelI14__hip_bfloat16S0_LN4vllm18Fp8KVCacheDataTypeE0ES0_Li16ELi64ELi256ELb0ELi8EL8MFMAType0EEvPKT_PKT0_S9_ifPKiSB_SB_iPKfiiiPfSE_PS4_PT2_iSD_SD_ ; -- Begin function _Z39paged_attention_ll4mi_QKV_mfma16_kernelI14__hip_bfloat16S0_LN4vllm18Fp8KVCacheDataTypeE0ES0_Li16ELi64ELi256ELb0ELi8EL8MFMAType0EEvPKT_PKT0_S9_ifPKiSB_SB_iPKfiiiPfSE_PS4_PT2_iSD_SD_
	.globl	_Z39paged_attention_ll4mi_QKV_mfma16_kernelI14__hip_bfloat16S0_LN4vllm18Fp8KVCacheDataTypeE0ES0_Li16ELi64ELi256ELb0ELi8EL8MFMAType0EEvPKT_PKT0_S9_ifPKiSB_SB_iPKfiiiPfSE_PS4_PT2_iSD_SD_
	.p2align	8
	.type	_Z39paged_attention_ll4mi_QKV_mfma16_kernelI14__hip_bfloat16S0_LN4vllm18Fp8KVCacheDataTypeE0ES0_Li16ELi64ELi256ELb0ELi8EL8MFMAType0EEvPKT_PKT0_S9_ifPKiSB_SB_iPKfiiiPfSE_PS4_PT2_iSD_SD_,@function
_Z39paged_attention_ll4mi_QKV_mfma16_kernelI14__hip_bfloat16S0_LN4vllm18Fp8KVCacheDataTypeE0ES0_Li16ELi64ELi256ELb0ELi8EL8MFMAType0EEvPKT_PKT0_S9_ifPKiSB_SB_iPKfiiiPfSE_PS4_PT2_iSD_SD_: ; @_Z39paged_attention_ll4mi_QKV_mfma16_kernelI14__hip_bfloat16S0_LN4vllm18Fp8KVCacheDataTypeE0ES0_Li16ELi64ELi256ELb0ELi8EL8MFMAType0EEvPKT_PKT0_S9_ifPKiSB_SB_iPKfiiiPfSE_PS4_PT2_iSD_SD_
; %bb.0:
	s_load_b64 s[2:3], s[0:1], 0x30
	s_mov_b32 s30, s13
	s_waitcnt lgkmcnt(0)
	s_cmp_lg_u64 s[2:3], 0
	s_cselect_b32 s6, -1, 0
	s_ashr_i32 s31, s13, 31
	s_cmp_eq_u64 s[2:3], 0
	s_cbranch_scc1 .LBB485_3
; %bb.1:
	s_lshl_b64 s[4:5], s[30:31], 2
	s_delay_alu instid0(SALU_CYCLE_1) | instskip(SKIP_4) | instid1(SALU_CYCLE_1)
	s_add_u32 s4, s2, s4
	s_addc_u32 s5, s3, s5
	s_load_b64 s[4:5], s[4:5], 0x0
	s_waitcnt lgkmcnt(0)
	s_sub_i32 s4, s5, s4
	s_cmp_eq_u32 s4, 1
	s_cselect_b32 s4, -1, 0
	s_delay_alu instid0(SALU_CYCLE_1)
	s_and_not1_b32 vcc_lo, exec_lo, s4
	s_cbranch_vccz .LBB485_4
.LBB485_2:
	s_endpgm
.LBB485_3:
.LBB485_4:
	s_load_b64 s[8:9], s[0:1], 0x28
	s_lshl_b64 s[4:5], s[30:31], 2
	s_waitcnt lgkmcnt(0)
	s_add_u32 s8, s8, s4
	s_addc_u32 s9, s9, s5
	s_lshl_b32 s34, s14, 8
	s_load_b32 s33, s[8:9], 0x0
	s_waitcnt lgkmcnt(0)
	s_cmp_ge_i32 s34, s33
	s_cbranch_scc1 .LBB485_2
; %bb.5:
	s_clause 0x1
	s_load_b128 s[8:11], s[0:1], 0x8
	s_load_b64 s[12:13], s[0:1], 0x20
	s_and_not1_b32 vcc_lo, exec_lo, s6
	s_cbranch_vccnz .LBB485_7
; %bb.6:
	s_add_u32 s2, s2, s4
	s_addc_u32 s3, s3, s5
	s_load_b32 s3, s[2:3], 0x0
	s_branch .LBB485_8
.LBB485_7:
	s_mov_b32 s3, s30
.LBB485_8:
	s_load_b128 s[4:7], s[0:1], 0x48
	v_and_b32_e32 v149, 15, v0
	v_cmp_gt_u32_e32 vcc_lo, 0x80, v0
	v_lshrrev_b32_e32 v148, 5, v0
	v_and_b32_e32 v150, 31, v0
	v_and_b32_e32 v146, 1, v0
	v_lshlrev_b32_e32 v1, 3, v149
	v_cmp_gt_u32_e64 s2, 8, v149
	v_bfe_u32 v147, v0, 4, 1
	s_lshl_b32 s31, s15, 3
	s_delay_alu instid0(VALU_DEP_3) | instskip(NEXT) | instid1(VALU_DEP_3)
	v_lshlrev_b32_e32 v145, 1, v1
	s_and_b32 s16, vcc_lo, s2
	s_waitcnt lgkmcnt(0)
	s_and_saveexec_b32 s7, s16
	s_cbranch_execz .LBB485_10
; %bb.9:
	v_lshl_or_b32 v5, v148, 1, v147
	s_load_b64 s[16:17], s[0:1], 0x0
	s_mul_hi_i32 s19, s3, s4
	s_mul_i32 s18, s3, s4
	v_lshlrev_b32_e32 v6, 10, v149
	v_or_b32_e32 v1, s31, v5
	s_lshl_b64 s[18:19], s[18:19], 1
	v_lshlrev_b32_e32 v5, 6, v5
	v_lshlrev_b32_e32 v7, 10, v146
	v_and_b32_e32 v6, 0x3800, v6
	v_lshlrev_b32_e32 v1, 6, v1
	s_delay_alu instid0(VALU_DEP_2) | instskip(NEXT) | instid1(VALU_DEP_2)
	v_or3_b32 v5, v6, v7, v5
	v_ashrrev_i32_e32 v2, 31, v1
	s_delay_alu instid0(VALU_DEP_1) | instskip(SKIP_3) | instid1(VALU_DEP_1)
	v_lshlrev_b64 v[1:2], 1, v[1:2]
	s_waitcnt lgkmcnt(0)
	s_add_u32 s3, s16, s18
	s_addc_u32 s4, s17, s19
	v_add_co_u32 v1, vcc_lo, s3, v1
	s_delay_alu instid0(VALU_DEP_2) | instskip(NEXT) | instid1(VALU_DEP_2)
	v_add_co_ci_u32_e32 v2, vcc_lo, s4, v2, vcc_lo
	v_add_co_u32 v1, vcc_lo, v1, v145
	s_delay_alu instid0(VALU_DEP_2)
	v_add_co_ci_u32_e32 v2, vcc_lo, 0, v2, vcc_lo
	global_load_b128 v[1:4], v[1:2], off
	s_waitcnt vmcnt(0)
	ds_store_b128 v5, v[1:4]
.LBB485_10:
	s_or_b32 exec_lo, exec_lo, s7
	s_mov_b32 s40, 0
	s_add_i32 s3, s33, 15
	s_mov_b32 s41, s40
	s_mov_b32 s42, s40
	;; [unrolled: 1-line block ×7, first 2 shown]
	s_delay_alu instid0(SALU_CYCLE_1)
	v_dual_mov_b32 v136, s47 :: v_dual_and_b32 v1, 0xef, v0
	v_mov_b32_e32 v134, s45
	s_clause 0x1
	s_load_b32 s4, s[0:1], 0x38
	s_load_b32 s35, s[0:1], 0x1c
	v_add_nc_u32_e32 v1, s34, v1
	s_ashr_i32 s7, s3, 31
	s_waitcnt lgkmcnt(0)
	s_lshr_b32 s7, s7, 28
	s_barrier
	v_ashrrev_i32_e32 v2, 31, v1
	s_add_i32 s3, s3, s7
	v_cmp_gt_i32_e32 vcc_lo, s33, v1
	v_mov_b32_e32 v135, s46
	s_ashr_i32 s3, s3, 4
	v_lshrrev_b32_e32 v3, 28, v2
	v_or_b32_e32 v2, 16, v1
	s_add_i32 s3, s3, -1
	v_mov_b32_e32 v132, s43
	buffer_gl0_inv
	v_add_nc_u32_e32 v4, v1, v3
	v_add_nc_u32_e32 v3, v2, v3
	s_mul_i32 s6, s15, s6
	v_lshlrev_b32_e32 v22, 5, v149
	s_mul_i32 s16, s30, s4
	v_ashrrev_i32_e32 v4, 4, v4
	v_ashrrev_i32_e32 v3, 4, v3
	s_ashr_i32 s17, s16, 31
	v_and_b32_e32 v21, 7, v0
	s_lshl_b64 s[16:17], s[16:17], 2
	v_cndmask_b32_e32 v1, s3, v4, vcc_lo
	v_cmp_gt_i32_e32 vcc_lo, s33, v2
	s_add_u32 s4, s12, s16
	s_addc_u32 s36, s13, s17
	s_ashr_i32 s7, s6, 31
	v_ashrrev_i32_e32 v2, 31, v1
	v_cndmask_b32_e32 v3, s3, v3, vcc_lo
	s_lshl_b64 s[6:7], s[6:7], 1
	v_lshlrev_b32_e32 v197, 6, v21
	s_add_u32 s24, s8, s6
	v_lshlrev_b64 v[1:2], 2, v[1:2]
	v_ashrrev_i32_e32 v4, 31, v3
	s_addc_u32 s25, s9, s7
	s_lshl_b32 s8, s14, 4
	v_mov_b32_e32 v133, s44
	s_ashr_i32 s9, s8, 31
	v_lshlrev_b64 v[3:4], 2, v[3:4]
	v_add_co_u32 v1, vcc_lo, s4, v1
	v_add_co_ci_u32_e32 v2, vcc_lo, s36, v2, vcc_lo
	s_lshl_b64 s[8:9], s[8:9], 2
	s_delay_alu instid0(VALU_DEP_3) | instskip(NEXT) | instid1(VALU_DEP_4)
	v_add_co_u32 v3, vcc_lo, s4, v3
	v_add_co_ci_u32_e32 v4, vcc_lo, s36, v4, vcc_lo
	s_clause 0x1
	global_load_b32 v5, v[1:2], off
	global_load_b32 v6, v[3:4], off
	s_add_u32 s8, s4, s8
	s_addc_u32 s9, s36, s9
	s_or_b32 s12, s34, 16
	v_dual_mov_b32 v130, s41 :: v_dual_lshlrev_b32 v3, 4, v0
	s_ashr_i32 s13, s12, 4
	s_cmp_lt_i32 s12, s33
	v_mov_b32_e32 v131, s42
	s_cselect_b32 s12, s13, s3
	v_mov_b32_e32 v129, s40
	s_ashr_i32 s13, s12, 31
	v_lshl_or_b32 v21, v148, 9, v22
	s_lshl_b64 s[12:13], s[12:13], 2
	s_delay_alu instid0(SALU_CYCLE_1) | instskip(SKIP_2) | instid1(SALU_CYCLE_1)
	s_add_u32 s12, s4, s12
	s_addc_u32 s13, s36, s13
	s_or_b32 s15, s34, 32
	s_ashr_i32 s16, s15, 4
	s_cmp_lt_i32 s15, s33
	s_cselect_b32 s16, s16, s3
	s_delay_alu instid0(SALU_CYCLE_1) | instskip(NEXT) | instid1(SALU_CYCLE_1)
	s_ashr_i32 s17, s16, 31
	s_lshl_b64 s[16:17], s[16:17], 2
	s_delay_alu instid0(SALU_CYCLE_1) | instskip(SKIP_2) | instid1(SALU_CYCLE_1)
	s_add_u32 s16, s4, s16
	s_addc_u32 s17, s36, s17
	s_or_b32 s15, s34, 48
	s_ashr_i32 s18, s15, 4
	s_cmp_lt_i32 s15, s33
	s_cselect_b32 s18, s18, s3
	s_delay_alu instid0(SALU_CYCLE_1) | instskip(NEXT) | instid1(SALU_CYCLE_1)
	s_ashr_i32 s19, s18, 31
	;; [unrolled: 10-line block ×4, first 2 shown]
	s_lshl_b64 s[22:23], s[22:23], 2
	s_delay_alu instid0(SALU_CYCLE_1)
	s_add_u32 s22, s4, s22
	s_addc_u32 s23, s36, s23
	s_clause 0x5
	s_load_b32 s8, s[8:9], 0x0
	s_load_b32 s12, s[12:13], 0x0
	;; [unrolled: 1-line block ×6, first 2 shown]
	s_waitcnt lgkmcnt(0)
	s_mul_hi_i32 s17, s16, s5
	s_mul_i32 s16, s16, s5
	s_waitcnt vmcnt(1)
	v_mad_i64_i32 v[1:2], null, v5, s5, 0
	v_and_b32_e32 v5, 0xf0, v3
	s_waitcnt vmcnt(0)
	v_mad_i64_i32 v[3:4], null, v6, s5, 0
	s_delay_alu instid0(VALU_DEP_2) | instskip(NEXT) | instid1(VALU_DEP_4)
	v_add_co_u32 v5, s9, s24, v5
	v_lshlrev_b64 v[1:2], 1, v[1:2]
	v_add_co_ci_u32_e64 v6, null, s25, 0, s9
	s_delay_alu instid0(VALU_DEP_4) | instskip(SKIP_1) | instid1(VALU_DEP_3)
	v_lshlrev_b64 v[3:4], 1, v[3:4]
	s_or_b32 s9, s34, 0x60
	v_add_co_u32 v17, vcc_lo, v5, v1
	s_delay_alu instid0(VALU_DEP_3) | instskip(NEXT) | instid1(VALU_DEP_3)
	v_add_co_ci_u32_e32 v18, vcc_lo, v6, v2, vcc_lo
	v_add_co_u32 v19, vcc_lo, v5, v3
	s_delay_alu instid0(VALU_DEP_4)
	v_add_co_ci_u32_e32 v20, vcc_lo, v6, v4, vcc_lo
	s_clause 0xb
	global_load_b128 v[1:4], v[17:18], off
	global_load_b128 v[5:8], v[17:18], off offset:256
	global_load_b128 v[137:140], v[19:20], off
	global_load_b128 v[141:144], v[19:20], off offset:256
	global_load_b128 v[33:36], v[17:18], off offset:512
	;; [unrolled: 1-line block ×9, first 2 shown]
	ds_load_b128 v[159:162], v197
	ds_load_b128 v[163:166], v197 offset:1024
	s_clause 0x3
	global_load_b128 v[167:170], v[17:18], off offset:1536
	global_load_b128 v[171:174], v[17:18], off offset:1792
	;; [unrolled: 1-line block ×4, first 2 shown]
	s_ashr_i32 s13, s9, 4
	s_cmp_lt_i32 s9, s33
	s_cselect_b32 s22, s13, s3
	s_delay_alu instid0(SALU_CYCLE_1) | instskip(NEXT) | instid1(SALU_CYCLE_1)
	s_ashr_i32 s23, s22, 31
	s_lshl_b64 s[22:23], s[22:23], 2
	s_delay_alu instid0(SALU_CYCLE_1) | instskip(SKIP_2) | instid1(SALU_CYCLE_1)
	s_add_u32 s22, s4, s22
	s_addc_u32 s23, s36, s23
	s_or_b32 s9, s34, 0x70
	s_ashr_i32 s13, s9, 4
	s_cmp_lt_i32 s9, s33
	s_cselect_b32 s24, s13, s3
	s_delay_alu instid0(SALU_CYCLE_1) | instskip(NEXT) | instid1(SALU_CYCLE_1)
	s_ashr_i32 s25, s24, 31
	s_lshl_b64 s[24:25], s[24:25], 2
	s_delay_alu instid0(SALU_CYCLE_1)
	s_add_u32 s24, s4, s24
	s_addc_u32 s25, s36, s25
	s_or_b32 s9, s34, 0x80
	s_load_b32 s46, s[24:25], 0x0
	s_ashr_i32 s13, s9, 4
	s_cmp_lt_i32 s9, s33
	s_cselect_b32 s26, s13, s3
	s_delay_alu instid0(SALU_CYCLE_1) | instskip(NEXT) | instid1(SALU_CYCLE_1)
	s_ashr_i32 s27, s26, 31
	s_lshl_b64 s[26:27], s[26:27], 2
	s_delay_alu instid0(SALU_CYCLE_1)
	s_add_u32 s26, s4, s26
	s_addc_u32 s27, s36, s27
	s_or_b32 s9, s34, 0x90
	s_load_b32 s47, s[26:27], 0x0
	s_ashr_i32 s13, s9, 4
	s_cmp_lt_i32 s9, s33
	s_cselect_b32 s28, s13, s3
	s_delay_alu instid0(SALU_CYCLE_1) | instskip(NEXT) | instid1(SALU_CYCLE_1)
	s_ashr_i32 s29, s28, 31
	s_lshl_b64 s[28:29], s[28:29], 2
	s_delay_alu instid0(SALU_CYCLE_1) | instskip(SKIP_2) | instid1(SALU_CYCLE_1)
	s_add_u32 s28, s4, s28
	s_addc_u32 s29, s36, s29
	s_or_b32 s9, s34, 0xa0
	s_ashr_i32 s13, s9, 4
	s_cmp_lt_i32 s9, s33
	s_cselect_b32 s38, s13, s3
	s_delay_alu instid0(SALU_CYCLE_1) | instskip(NEXT) | instid1(SALU_CYCLE_1)
	s_ashr_i32 s39, s38, 31
	s_lshl_b64 s[38:39], s[38:39], 2
	s_delay_alu instid0(SALU_CYCLE_1)
	s_add_u32 s38, s4, s38
	s_addc_u32 s39, s36, s39
	s_or_b32 s9, s34, 0xb0
	s_load_b32 s39, s[38:39], 0x0
	s_ashr_i32 s13, s9, 4
	s_cmp_lt_i32 s9, s33
	s_mul_hi_i32 s9, s8, s5
	s_cselect_b32 s40, s13, s3
	s_mul_i32 s8, s8, s5
	s_ashr_i32 s41, s40, 31
	s_mul_hi_i32 s13, s12, s5
	s_lshl_b64 s[40:41], s[40:41], 2
	s_mul_i32 s12, s12, s5
	s_add_u32 s42, s4, s40
	s_addc_u32 s43, s36, s41
	s_or_b32 s19, s34, 0xc0
	s_delay_alu instid0(SALU_CYCLE_1)
	s_ashr_i32 s21, s19, 4
	s_cmp_lt_i32 s19, s33
	s_mul_hi_i32 s19, s18, s5
	s_cselect_b32 s40, s21, s3
	s_mul_i32 s18, s18, s5
	s_ashr_i32 s41, s40, 31
	s_mul_hi_i32 s21, s20, s5
	s_lshl_b64 s[40:41], s[40:41], 2
	s_mul_i32 s20, s20, s5
	s_add_u32 s44, s4, s40
	s_load_b32 s40, s[28:29], 0x0
	s_addc_u32 s45, s36, s41
	s_or_b32 s37, s34, 0xd0
	s_load_b32 s41, s[22:23], 0x0
	s_ashr_i32 s22, s37, 4
	s_cmp_lt_i32 s37, s33
	s_mul_hi_i32 s23, s15, s5
	s_cselect_b32 s24, s22, s3
	s_mul_i32 s22, s15, s5
	s_ashr_i32 s25, s24, 31
	s_waitcnt lgkmcnt(0)
	s_mul_hi_i32 s27, s46, s5
	s_lshl_b64 s[24:25], s[24:25], 2
	s_mul_i32 s26, s46, s5
	s_add_u32 s24, s4, s24
	s_addc_u32 s25, s36, s25
	s_or_b32 s48, s34, 0xe0
	s_clause 0x2
	s_load_b32 s38, s[42:43], 0x0
	s_load_b32 s37, s[44:45], 0x0
	;; [unrolled: 1-line block ×3, first 2 shown]
	s_ashr_i32 s49, s48, 4
	s_cmp_lt_i32 s48, s33
	s_mul_hi_i32 s29, s47, s5
	s_cselect_b32 s42, s49, s3
	s_mul_i32 s28, s47, s5
	s_ashr_i32 s43, s42, 31
	s_mul_hi_i32 s25, s41, s5
	s_lshl_b64 s[42:43], s[42:43], 2
	s_mul_i32 s24, s41, s5
	s_add_u32 s42, s4, s42
	s_addc_u32 s43, s36, s43
	s_or_b32 s46, s34, 0xf0
	s_mul_hi_i32 s41, s40, s5
	s_ashr_i32 s47, s46, 4
	s_cmp_lt_i32 s46, s33
	s_mul_i32 s40, s40, s5
	s_cselect_b32 s46, s47, s3
	s_mul_hi_i32 s45, s39, s5
	s_ashr_i32 s47, s46, 31
	s_mul_i32 s44, s39, s5
	s_lshl_b64 s[46:47], s[46:47], 2
	s_waitcnt lgkmcnt(0)
	s_mul_hi_i32 s39, s38, s5
	s_add_u32 s46, s4, s46
	s_addc_u32 s47, s36, s47
	s_add_u32 s3, s10, s6
	s_addc_u32 s4, s11, s7
	v_add_co_u32 v195, s3, s3, v21
	s_delay_alu instid0(VALU_DEP_1) | instskip(SKIP_2) | instid1(VALU_DEP_2)
	v_add_co_ci_u32_e64 v196, null, s4, 0, s3
	s_lshl_b64 s[6:7], s[8:9], 1
	s_lshl_b64 s[8:9], s[12:13], 1
	v_add_co_u32 v17, vcc_lo, v195, s6
	s_delay_alu instid0(VALU_DEP_2)
	v_add_co_ci_u32_e32 v18, vcc_lo, s7, v196, vcc_lo
	v_add_co_u32 v19, vcc_lo, v195, s8
	s_lshl_b64 s[10:11], s[16:17], 1
	v_add_co_ci_u32_e32 v20, vcc_lo, s9, v196, vcc_lo
	v_add_co_u32 v21, vcc_lo, v195, s10
	s_lshl_b64 s[12:13], s[18:19], 1
	;; [unrolled: 3-line block ×9, first 2 shown]
	s_mul_i32 s38, s38, s5
	v_add_co_ci_u32_e32 v54, vcc_lo, s27, v196, vcc_lo
	v_add_co_u32 v183, vcc_lo, v195, s28
	s_mul_hi_i32 s49, s37, s5
	s_mul_i32 s48, s37, s5
	s_lshl_b64 s[36:37], s[38:39], 1
	v_add_co_ci_u32_e32 v184, vcc_lo, s29, v196, vcc_lo
	v_add_co_u32 v185, vcc_lo, v195, s36
	s_lshl_b64 s[38:39], s[48:49], 1
	s_clause 0x1
	s_load_b32 s3, s[42:43], 0x0
	s_load_b32 s4, s[46:47], 0x0
	v_add_co_ci_u32_e32 v186, vcc_lo, s37, v196, vcc_lo
	v_add_co_u32 v191, vcc_lo, v195, s38
	v_add_co_ci_u32_e32 v192, vcc_lo, s39, v196, vcc_lo
	s_clause 0x17
	global_load_b128 v[121:124], v[17:18], off
	global_load_b128 v[125:128], v[17:18], off offset:16
	global_load_b128 v[113:116], v[19:20], off
	global_load_b128 v[117:120], v[19:20], off offset:16
	;; [unrolled: 2-line block ×12, first 2 shown]
	s_mul_hi_i32 s51, s15, s5
	s_mul_i32 s50, s15, s5
	s_delay_alu instid0(SALU_CYCLE_1) | instskip(NEXT) | instid1(SALU_CYCLE_1)
	s_lshl_b64 s[40:41], s[50:51], 1
	v_add_co_u32 v193, vcc_lo, v195, s40
	v_add_co_ci_u32_e32 v194, vcc_lo, s41, v196, vcc_lo
	s_waitcnt lgkmcnt(0)
	s_mul_hi_i32 s7, s3, s5
	s_mul_i32 s6, s3, s5
	s_mul_hi_i32 s9, s4, s5
	s_lshl_b64 s[6:7], s[6:7], 1
	s_mul_i32 s8, s4, s5
	s_delay_alu instid0(SALU_CYCLE_1)
	s_lshl_b64 s[4:5], s[8:9], 1
	s_waitcnt vmcnt(38)
	v_wmma_f32_16x16x16_bf16 v[183:190], v[1:8], v[159:166], v[129:136]
	s_waitcnt vmcnt(36)
	v_wmma_f32_16x16x16_bf16 v[129:136], v[137:144], v[159:166], v[129:136]
	s_clause 0x1
	global_load_b128 v[1:4], v[191:192], off
	global_load_b128 v[5:8], v[191:192], off offset:16
	ds_load_b128 v[137:140], v197 offset:2048
	ds_load_b128 v[141:144], v197 offset:3072
	;; [unrolled: 1-line block ×4, first 2 shown]
	v_add_co_u32 v191, vcc_lo, v195, s6
	v_add_co_ci_u32_e32 v192, vcc_lo, s7, v196, vcc_lo
	v_add_co_u32 v195, vcc_lo, v195, s4
	v_add_co_ci_u32_e32 v196, vcc_lo, s5, v196, vcc_lo
	s_waitcnt vmcnt(36) lgkmcnt(2)
	v_wmma_f32_16x16x16_bf16 v[183:190], v[33:40], v[137:144], v[183:190]
	s_waitcnt vmcnt(34)
	v_wmma_f32_16x16x16_bf16 v[129:136], v[25:32], v[137:144], v[129:136]
	s_clause 0x3
	global_load_b128 v[25:28], v[193:194], off
	global_load_b128 v[29:32], v[193:194], off offset:16
	global_load_b128 v[33:36], v[191:192], off
	global_load_b128 v[37:40], v[191:192], off offset:16
	v_and_b32_e32 v137, 0xe0, v0
	v_mbcnt_lo_u32_b32 v191, -1, 0
	s_waitcnt vmcnt(36) lgkmcnt(0)
	v_wmma_f32_16x16x16_bf16 v[183:190], v[9:16], v[159:166], v[183:190]
	s_clause 0x1
	global_load_b128 v[9:12], v[195:196], off
	global_load_b128 v[13:16], v[195:196], off offset:16
	s_waitcnt vmcnt(36)
	v_wmma_f32_16x16x16_bf16 v[129:136], v[151:158], v[159:166], v[129:136]
	v_add_nc_u32_e32 v192, s34, v137
	ds_load_b128 v[137:140], v197 offset:6144
	ds_load_b128 v[141:144], v197 offset:7168
	v_xor_b32_e32 v151, 16, v191
	s_waitcnt vmcnt(0) lgkmcnt(0)
	s_barrier
	v_or_b32_e32 v152, v192, v147
	buffer_gl0_inv
	v_cmp_gt_i32_e32 vcc_lo, 32, v151
	v_or_b32_e32 v153, 2, v152
	v_or_b32_e32 v154, 4, v152
	;; [unrolled: 1-line block ×5, first 2 shown]
	v_cmp_gt_i32_e64 s3, s33, v153
	v_cmp_gt_i32_e64 s4, s33, v154
	;; [unrolled: 1-line block ×3, first 2 shown]
	v_or_b32_e32 v158, 12, v152
	v_or_b32_e32 v159, 14, v152
	v_cmp_gt_i32_e64 s6, s33, v156
	v_wmma_f32_16x16x16_bf16 v[183:190], v[167:174], v[137:144], v[183:190]
	v_wmma_f32_16x16x16_bf16 v[129:136], v[175:182], v[137:144], v[129:136]
	v_cndmask_b32_e32 v151, v191, v151, vcc_lo
	v_cmp_gt_i32_e32 vcc_lo, s33, v152
	v_cmp_gt_i32_e64 s7, s33, v157
	v_dual_mul_f32 v143, s35, v184 :: v_dual_mul_f32 v144, s35, v183
	v_dual_mul_f32 v141, s35, v186 :: v_dual_mul_f32 v142, s35, v185
	;; [unrolled: 1-line block ×3, first 2 shown]
	s_delay_alu instid0(VALU_DEP_3) | instskip(NEXT) | instid1(VALU_DEP_4)
	v_cndmask_b32_e32 v144, 0xff7fffff, v144, vcc_lo
	v_cndmask_b32_e64 v143, 0xff7fffff, v143, s3
	v_mul_f32_e32 v140, s35, v187
	v_cndmask_b32_e64 v142, 0xff7fffff, v142, s4
	v_cndmask_b32_e64 v141, 0xff7fffff, v141, s5
	v_or_b32_e32 v160, 16, v152
	v_max3_f32 v143, v144, 0xff7fffff, v143
	v_or_b32_e32 v161, 18, v152
	v_mul_f32_e32 v138, s35, v189
	v_dual_mul_f32 v172, s35, v132 :: v_dual_mul_f32 v137, s35, v190
	v_lshlrev_b32_e32 v154, 2, v151
	v_cndmask_b32_e64 v140, 0xff7fffff, v140, s6
	v_cndmask_b32_e64 v139, 0xff7fffff, v139, s7
	v_max3_f32 v141, v143, v142, v141
	v_cmp_gt_i32_e64 s8, s33, v158
	v_cmp_gt_i32_e64 s9, s33, v159
	v_or_b32_e32 v162, 20, v152
	v_or_b32_e32 v163, 22, v152
	v_mul_f32_e32 v175, s35, v129
	v_cndmask_b32_e64 v138, 0xff7fffff, v138, s8
	v_cndmask_b32_e64 v137, 0xff7fffff, v137, s9
	v_max3_f32 v139, v141, v140, v139
	v_cmp_gt_i32_e64 s10, s33, v160
	v_cmp_gt_i32_e64 s11, s33, v161
	v_or_b32_e32 v164, 24, v152
	v_or_b32_e32 v165, 26, v152
	v_mul_f32_e32 v173, s35, v131
	v_cndmask_b32_e64 v140, 0xff7fffff, v175, s10
	v_cndmask_b32_e64 v141, 0xff7fffff, v174, s11
	v_max3_f32 v137, v139, v138, v137
	v_cmp_gt_i32_e64 s12, s33, v162
	v_cmp_gt_i32_e64 s13, s33, v163
	v_or_b32_e32 v166, 28, v152
	v_or_b32_e32 v167, 30, v152
	v_dual_mul_f32 v170, s35, v134 :: v_dual_mul_f32 v171, s35, v133
	v_cndmask_b32_e64 v138, 0xff7fffff, v173, s12
	v_cndmask_b32_e64 v139, 0xff7fffff, v172, s13
	v_max3_f32 v137, v137, v140, v141
	v_cmp_gt_i32_e64 s15, s33, v164
	v_cmp_gt_i32_e64 s16, s33, v165
	v_dual_mul_f32 v168, s35, v136 :: v_dual_mul_f32 v169, s35, v135
	s_delay_alu instid0(VALU_DEP_4) | instskip(NEXT) | instid1(VALU_DEP_4)
	v_max3_f32 v137, v137, v138, v139
	v_cndmask_b32_e64 v140, 0xff7fffff, v171, s15
	s_delay_alu instid0(VALU_DEP_4) | instskip(SKIP_2) | instid1(VALU_DEP_3)
	v_cndmask_b32_e64 v141, 0xff7fffff, v170, s16
	v_cmp_gt_i32_e64 s17, s33, v166
	v_cmp_gt_i32_e64 s18, s33, v167
	v_max3_f32 v137, v137, v140, v141
	s_delay_alu instid0(VALU_DEP_3) | instskip(NEXT) | instid1(VALU_DEP_3)
	v_cndmask_b32_e64 v138, 0xff7fffff, v169, s17
	v_cndmask_b32_e64 v139, 0xff7fffff, v168, s18
	s_delay_alu instid0(VALU_DEP_1) | instskip(SKIP_3) | instid1(VALU_DEP_1)
	v_max3_f32 v137, v137, v138, v139
	ds_bpermute_b32 v138, v154, v137
	s_waitcnt lgkmcnt(0)
	v_max_f32_e32 v138, v138, v138
	v_max_f32_e32 v139, v137, v138
	s_delay_alu instid0(VALU_DEP_1) | instskip(SKIP_4) | instid1(VALU_DEP_4)
	v_fma_f32 v141, s35, v186, -v139
	v_fma_f32 v130, s35, v130, -v139
	;; [unrolled: 1-line block ×5, first 2 shown]
	v_dual_mul_f32 v141, 0x3fb8aa3b, v141 :: v_dual_mul_f32 v130, 0x3fb8aa3b, v130
	v_fma_f32 v142, s35, v187, -v139
	s_delay_alu instid0(VALU_DEP_4) | instskip(NEXT) | instid1(VALU_DEP_4)
	v_mul_f32_e32 v138, 0x3fb8aa3b, v138
	v_mul_f32_e32 v140, 0x3fb8aa3b, v140
	s_delay_alu instid0(VALU_DEP_4)
	v_exp_f32_e32 v144, v141
	v_fma_f32 v151, s35, v189, -v139
	v_mul_f32_e32 v142, 0x3fb8aa3b, v142
	v_exp_f32_e32 v138, v138
	v_exp_f32_e32 v143, v140
	v_fma_f32 v132, s35, v132, -v139
	v_mul_f32_e32 v151, 0x3fb8aa3b, v151
	v_exp_f32_e32 v152, v142
	v_fma_f32 v129, s35, v129, -v139
	v_fma_f32 v134, s35, v134, -v139
	v_cndmask_b32_e64 v144, 0, v144, s5
	v_dual_mul_f32 v137, 0x3fb8aa3b, v137 :: v_dual_mul_f32 v132, 0x3fb8aa3b, v132
	s_delay_alu instid0(TRANS32_DEP_3) | instskip(NEXT) | instid1(TRANS32_DEP_2)
	v_cndmask_b32_e64 v141, 0, v138, s3
	v_cndmask_b32_e64 v142, 0, v143, s4
	v_fma_f32 v143, s35, v190, -v139
	s_delay_alu instid0(VALU_DEP_4)
	v_exp_f32_e32 v137, v137
	v_exp_f32_e32 v153, v151
	v_cndmask_b32_e64 v151, 0, v152, s6
	v_mul_f32_e32 v129, 0x3fb8aa3b, v129
	v_dual_mul_f32 v143, 0x3fb8aa3b, v143 :: v_dual_mul_f32 v134, 0x3fb8aa3b, v134
	v_fma_f32 v131, s35, v131, -v139
	v_exp_f32_e32 v130, v130
	s_delay_alu instid0(VALU_DEP_3) | instskip(NEXT) | instid1(VALU_DEP_2)
	v_exp_f32_e32 v129, v129
	v_exp_f32_e32 v155, v143
	v_cndmask_b32_e32 v140, 0, v137, vcc_lo
	v_fma_f32 v137, s35, v188, -v139
	v_cndmask_b32_e64 v143, 0, v153, s8
	v_mul_f32_e32 v131, 0x3fb8aa3b, v131
	v_fma_f32 v133, s35, v133, -v139
	s_delay_alu instid0(VALU_DEP_4) | instskip(SKIP_2) | instid1(TRANS32_DEP_1)
	v_dual_add_f32 v138, 0, v140 :: v_dual_mul_f32 v137, 0x3fb8aa3b, v137
	v_fma_f32 v136, s35, v136, -v139
	s_mov_b32 s3, exec_lo
	v_cndmask_b32_e64 v153, 0, v155, s9
	s_delay_alu instid0(VALU_DEP_3) | instskip(SKIP_1) | instid1(VALU_DEP_1)
	v_add_f32_e32 v138, v138, v141
	v_exp_f32_e32 v137, v137
	v_dual_mul_f32 v133, 0x3fb8aa3b, v133 :: v_dual_add_f32 v138, v138, v142
	s_delay_alu instid0(VALU_DEP_1)
	v_add_f32_e32 v138, v138, v144
	s_waitcnt_depctr 0xfff
	v_cndmask_b32_e64 v152, 0, v137, s7
	v_add_f32_e32 v137, v138, v151
	v_exp_f32_e32 v138, v131
	v_cndmask_b32_e64 v131, 0, v129, s10
	s_delay_alu instid0(VALU_DEP_2) | instskip(NEXT) | instid1(VALU_DEP_1)
	v_add_f32_e32 v137, v137, v152
	v_add_f32_e32 v137, v137, v143
	s_delay_alu instid0(VALU_DEP_1)
	v_add_f32_e32 v129, v137, v153
	v_exp_f32_e32 v137, v132
	v_cndmask_b32_e64 v132, 0, v130, s11
	v_fma_f32 v130, s35, v135, -v139
	v_exp_f32_e32 v135, v133
	v_add_f32_e32 v129, v129, v131
	v_cndmask_b32_e64 v133, 0, v138, s12
	v_exp_f32_e32 v138, v134
	s_delay_alu instid0(VALU_DEP_2) | instskip(NEXT) | instid1(TRANS32_DEP_3)
	v_dual_mul_f32 v130, 0x3fb8aa3b, v130 :: v_dual_add_f32 v129, v129, v132
	v_cndmask_b32_e64 v134, 0, v137, s13
	v_mul_f32_e32 v137, 0x3fb8aa3b, v136
	s_delay_alu instid0(VALU_DEP_3) | instskip(NEXT) | instid1(TRANS32_DEP_3)
	v_exp_f32_e32 v130, v130
	v_cndmask_b32_e64 v135, 0, v135, s15
	v_add_f32_e32 v129, v129, v133
	s_delay_alu instid0(TRANS32_DEP_2) | instskip(SKIP_1) | instid1(VALU_DEP_2)
	v_cndmask_b32_e64 v136, 0, v138, s16
	v_exp_f32_e32 v138, v137
	v_add_f32_e32 v129, v129, v134
	s_waitcnt_depctr 0xfff
	v_cndmask_b32_e64 v137, 0, v130, s17
	v_add_f32_e32 v129, v129, v135
	v_cndmask_b32_e64 v138, 0, v138, s18
	s_delay_alu instid0(VALU_DEP_2) | instskip(NEXT) | instid1(VALU_DEP_1)
	v_add_f32_e32 v129, v129, v136
	v_add_f32_e32 v129, v129, v137
	s_delay_alu instid0(VALU_DEP_1)
	v_add_f32_e32 v129, v129, v138
	ds_bpermute_b32 v130, v154, v129
	v_cmpx_gt_u32_e32 16, v150
	s_cbranch_execz .LBB485_12
; %bb.11:
	v_mul_u32_u24_e32 v150, 0x44, v148
	s_waitcnt lgkmcnt(0)
	v_add_f32_e32 v129, v129, v130
	s_delay_alu instid0(VALU_DEP_2) | instskip(NEXT) | instid1(VALU_DEP_1)
	v_lshl_add_u32 v150, v149, 2, v150
	v_add_nc_u32_e32 v130, 0x4000, v150
	ds_store_2addr_b32 v130, v139, v129 offset1:136
.LBB485_12:
	s_or_b32 exec_lo, exec_lo, s3
	v_lshlrev_b32_e32 v129, 2, v149
	s_waitcnt lgkmcnt(0)
	s_barrier
	buffer_gl0_inv
	v_cmp_eq_u32_e64 s3, 1, v148
	v_add_nc_u32_e32 v139, 0x4000, v129
	ds_load_2addr_b32 v[154:155], v139 offset1:17
	ds_load_2addr_b32 v[156:157], v139 offset0:34 offset1:51
	ds_load_2addr_b32 v[158:159], v139 offset0:68 offset1:85
	;; [unrolled: 1-line block ×4, first 2 shown]
	s_waitcnt lgkmcnt(4)
	v_max3_f32 v129, v154, 0xff7fffff, v155
	s_waitcnt lgkmcnt(3)
	s_delay_alu instid0(VALU_DEP_1) | instskip(SKIP_1) | instid1(VALU_DEP_1)
	v_max3_f32 v129, v129, v156, v157
	s_waitcnt lgkmcnt(2)
	v_max3_f32 v129, v129, v158, v159
	s_waitcnt lgkmcnt(1)
	s_delay_alu instid0(VALU_DEP_1) | instskip(NEXT) | instid1(VALU_DEP_1)
	v_max3_f32 v129, v129, v160, v161
	v_sub_f32_e32 v156, v156, v129
	v_sub_f32_e32 v130, v154, v129
	;; [unrolled: 1-line block ×3, first 2 shown]
	s_delay_alu instid0(VALU_DEP_3) | instskip(NEXT) | instid1(VALU_DEP_3)
	v_dual_sub_f32 v150, v155, v129 :: v_dual_mul_f32 v165, 0x3fb8aa3b, v156
	v_mul_f32_e32 v130, 0x3fb8aa3b, v130
	s_delay_alu instid0(VALU_DEP_3) | instskip(NEXT) | instid1(VALU_DEP_3)
	v_mul_f32_e32 v167, 0x3fb8aa3b, v158
	v_mul_f32_e32 v150, 0x3fb8aa3b, v150
	s_delay_alu instid0(VALU_DEP_4) | instskip(NEXT) | instid1(VALU_DEP_3)
	v_exp_f32_e32 v165, v165
	v_exp_f32_e32 v164, v130
	v_sub_f32_e32 v130, v157, v129
	s_delay_alu instid0(VALU_DEP_2) | instskip(NEXT) | instid1(VALU_DEP_1)
	v_exp_f32_e32 v150, v150
	v_mul_f32_e32 v166, 0x3fb8aa3b, v130
	s_waitcnt lgkmcnt(0)
	s_waitcnt_depctr 0xfff
	v_fma_f32 v130, v164, v162, 0
	v_sub_f32_e32 v162, v159, v129
	v_exp_f32_e32 v166, v166
	s_delay_alu instid0(VALU_DEP_2)
	v_fmac_f32_e32 v130, v150, v163
	ds_load_2addr_b32 v[154:155], v139 offset0:170 offset1:187
	ds_load_2addr_b32 v[156:157], v139 offset0:204 offset1:221
	;; [unrolled: 1-line block ×3, first 2 shown]
	v_dual_sub_f32 v139, v160, v129 :: v_dual_mul_f32 v160, 0x3fb8aa3b, v162
	v_exp_f32_e32 v162, v167
	v_cndmask_b32_e64 v150, v164, v150, s3
	v_cmp_eq_u32_e64 s3, 2, v148
	s_delay_alu instid0(VALU_DEP_3)
	v_mul_f32_e32 v139, 0x3fb8aa3b, v139
	v_exp_f32_e32 v160, v160
	s_waitcnt lgkmcnt(0)
	s_barrier
	v_cndmask_b32_e64 v150, v150, v165, s3
	v_exp_f32_e32 v139, v139
	v_cmp_eq_u32_e64 s3, 3, v148
	buffer_gl0_inv
	v_cndmask_b32_e64 v150, v150, v166, s3
	v_fmac_f32_e32 v130, v165, v154
	v_sub_f32_e32 v154, v161, v129
	v_cmp_eq_u32_e64 s3, 4, v148
	s_delay_alu instid0(VALU_DEP_2) | instskip(NEXT) | instid1(VALU_DEP_2)
	v_mul_f32_e32 v154, 0x3fb8aa3b, v154
	v_cndmask_b32_e64 v150, v150, v162, s3
	v_cmp_eq_u32_e64 s3, 5, v148
	s_delay_alu instid0(VALU_DEP_3) | instskip(SKIP_1) | instid1(VALU_DEP_2)
	v_exp_f32_e32 v154, v154
	v_fmac_f32_e32 v130, v166, v155
	v_cndmask_b32_e64 v150, v150, v160, s3
	s_mov_b32 s3, exec_lo
	s_delay_alu instid0(VALU_DEP_2) | instskip(NEXT) | instid1(VALU_DEP_1)
	v_fmac_f32_e32 v130, v162, v156
	v_fmac_f32_e32 v130, v160, v157
	s_delay_alu instid0(VALU_DEP_1) | instskip(SKIP_2) | instid1(VALU_DEP_1)
	v_fmac_f32_e32 v130, v139, v158
	s_waitcnt_depctr 0xfff
	v_fmac_f32_e32 v130, v154, v159
	v_add_f32_e32 v155, 0x358637bd, v130
	s_delay_alu instid0(VALU_DEP_1) | instskip(SKIP_1) | instid1(VALU_DEP_2)
	v_div_scale_f32 v156, null, v155, v155, 1.0
	v_div_scale_f32 v159, vcc_lo, 1.0, v155, 1.0
	v_rcp_f32_e32 v157, v156
	s_waitcnt_depctr 0xfff
	v_fma_f32 v158, -v156, v157, 1.0
	s_delay_alu instid0(VALU_DEP_1) | instskip(NEXT) | instid1(VALU_DEP_1)
	v_fmac_f32_e32 v157, v158, v157
	v_mul_f32_e32 v158, v159, v157
	s_delay_alu instid0(VALU_DEP_1) | instskip(NEXT) | instid1(VALU_DEP_1)
	v_fma_f32 v161, -v156, v158, v159
	v_fmac_f32_e32 v158, v161, v157
	s_delay_alu instid0(VALU_DEP_1) | instskip(NEXT) | instid1(VALU_DEP_1)
	v_fma_f32 v156, -v156, v158, v159
	v_div_fmas_f32 v156, v156, v157, v158
	v_cmp_eq_u32_e32 vcc_lo, 6, v148
	v_cndmask_b32_e32 v139, v150, v139, vcc_lo
	v_cmp_eq_u32_e32 vcc_lo, 7, v148
	s_delay_alu instid0(VALU_DEP_4) | instskip(NEXT) | instid1(VALU_DEP_3)
	v_div_fixup_f32 v150, v156, v155, 1.0
	v_cndmask_b32_e32 v139, v139, v154, vcc_lo
	s_delay_alu instid0(VALU_DEP_1) | instskip(NEXT) | instid1(VALU_DEP_1)
	v_mul_f32_e32 v139, v139, v150
	v_mul_f32_e32 v154, v139, v140
	;; [unrolled: 1-line block ×7, first 2 shown]
	v_and_b32_e32 v155, 0x7f800000, v154
	v_mul_f32_e32 v153, v139, v144
	v_mul_f32_e32 v144, v139, v141
                                        ; implicit-def: $vgpr141
	s_delay_alu instid0(VALU_DEP_3)
	v_cmpx_ne_u32_e32 0x7f800000, v155
	s_xor_b32 s3, exec_lo, s3
; %bb.13:
	v_bfe_u32 v141, v154, 16, 1
	s_delay_alu instid0(VALU_DEP_1)
	v_add3_u32 v141, v154, v141, 0x7fff
                                        ; implicit-def: $vgpr154
; %bb.14:
	s_and_not1_saveexec_b32 s3, s3
; %bb.15:
	v_and_b32_e32 v141, 0xffff, v154
	v_or_b32_e32 v142, 0x10000, v154
	s_delay_alu instid0(VALU_DEP_2) | instskip(NEXT) | instid1(VALU_DEP_2)
	v_cmp_eq_u32_e32 vcc_lo, 0, v141
	v_cndmask_b32_e32 v141, v142, v154, vcc_lo
; %bb.16:
	s_or_b32 exec_lo, exec_lo, s3
	v_and_b32_e32 v142, 0x7f800000, v144
	s_delay_alu instid0(VALU_DEP_1) | instskip(SKIP_1) | instid1(SALU_CYCLE_1)
	v_cmp_ne_u32_e32 vcc_lo, 0x7f800000, v142
                                        ; implicit-def: $vgpr142
	s_and_saveexec_b32 s3, vcc_lo
	s_xor_b32 s3, exec_lo, s3
; %bb.17:
	v_bfe_u32 v142, v144, 16, 1
	s_delay_alu instid0(VALU_DEP_1)
	v_add3_u32 v142, v144, v142, 0x7fff
                                        ; implicit-def: $vgpr144
; %bb.18:
	s_and_not1_saveexec_b32 s3, s3
; %bb.19:
	v_and_b32_e32 v142, 0xffff, v144
	v_or_b32_e32 v154, 0x10000, v144
	s_delay_alu instid0(VALU_DEP_2) | instskip(NEXT) | instid1(VALU_DEP_2)
	v_cmp_eq_u32_e32 vcc_lo, 0, v142
	v_cndmask_b32_e32 v142, v154, v144, vcc_lo
; %bb.20:
	s_or_b32 exec_lo, exec_lo, s3
	v_and_b32_e32 v144, 0x7f800000, v151
	s_delay_alu instid0(VALU_DEP_1) | instskip(SKIP_1) | instid1(SALU_CYCLE_1)
	v_cmp_ne_u32_e32 vcc_lo, 0x7f800000, v144
                                        ; implicit-def: $vgpr144
	s_and_saveexec_b32 s3, vcc_lo
	s_xor_b32 s3, exec_lo, s3
; %bb.21:
	v_bfe_u32 v144, v151, 16, 1
	s_delay_alu instid0(VALU_DEP_1)
	v_add3_u32 v144, v151, v144, 0x7fff
                                        ; implicit-def: $vgpr151
; %bb.22:
	s_and_not1_saveexec_b32 s3, s3
; %bb.23:
	v_and_b32_e32 v144, 0xffff, v151
	v_or_b32_e32 v154, 0x10000, v151
	s_delay_alu instid0(VALU_DEP_2) | instskip(NEXT) | instid1(VALU_DEP_2)
	v_cmp_eq_u32_e32 vcc_lo, 0, v144
	v_cndmask_b32_e32 v144, v154, v151, vcc_lo
; %bb.24:
	s_or_b32 exec_lo, exec_lo, s3
	v_and_b32_e32 v151, 0x7f800000, v153
	s_delay_alu instid0(VALU_DEP_1) | instskip(SKIP_1) | instid1(SALU_CYCLE_1)
	v_cmp_ne_u32_e32 vcc_lo, 0x7f800000, v151
                                        ; implicit-def: $vgpr151
	s_and_saveexec_b32 s3, vcc_lo
	s_xor_b32 s3, exec_lo, s3
; %bb.25:
	v_bfe_u32 v151, v153, 16, 1
	s_delay_alu instid0(VALU_DEP_1)
	v_add3_u32 v151, v153, v151, 0x7fff
                                        ; implicit-def: $vgpr153
; %bb.26:
	s_and_not1_saveexec_b32 s3, s3
; %bb.27:
	v_and_b32_e32 v151, 0xffff, v153
	v_or_b32_e32 v154, 0x10000, v153
	s_delay_alu instid0(VALU_DEP_2) | instskip(NEXT) | instid1(VALU_DEP_2)
	v_cmp_eq_u32_e32 vcc_lo, 0, v151
	v_cndmask_b32_e32 v151, v154, v153, vcc_lo
; %bb.28:
	s_or_b32 exec_lo, exec_lo, s3
	v_and_b32_e32 v153, 0x7f800000, v152
	s_delay_alu instid0(VALU_DEP_1) | instskip(SKIP_1) | instid1(SALU_CYCLE_1)
	v_cmp_ne_u32_e32 vcc_lo, 0x7f800000, v153
                                        ; implicit-def: $vgpr153
	s_and_saveexec_b32 s3, vcc_lo
	s_xor_b32 s3, exec_lo, s3
; %bb.29:
	v_bfe_u32 v153, v152, 16, 1
	s_delay_alu instid0(VALU_DEP_1)
	v_add3_u32 v153, v152, v153, 0x7fff
                                        ; implicit-def: $vgpr152
; %bb.30:
	s_and_not1_saveexec_b32 s3, s3
; %bb.31:
	v_and_b32_e32 v153, 0xffff, v152
	v_or_b32_e32 v154, 0x10000, v152
	s_delay_alu instid0(VALU_DEP_2) | instskip(NEXT) | instid1(VALU_DEP_2)
	v_cmp_eq_u32_e32 vcc_lo, 0, v153
	v_cndmask_b32_e32 v153, v154, v152, vcc_lo
; %bb.32:
	s_or_b32 exec_lo, exec_lo, s3
	v_and_b32_e32 v152, 0x7f800000, v150
	s_delay_alu instid0(VALU_DEP_1) | instskip(SKIP_1) | instid1(SALU_CYCLE_1)
	v_cmp_ne_u32_e32 vcc_lo, 0x7f800000, v152
                                        ; implicit-def: $vgpr152
	s_and_saveexec_b32 s3, vcc_lo
	s_xor_b32 s3, exec_lo, s3
; %bb.33:
	v_bfe_u32 v152, v150, 16, 1
	s_delay_alu instid0(VALU_DEP_1)
	v_add3_u32 v152, v150, v152, 0x7fff
                                        ; implicit-def: $vgpr150
; %bb.34:
	s_and_not1_saveexec_b32 s3, s3
; %bb.35:
	v_and_b32_e32 v152, 0xffff, v150
	v_or_b32_e32 v154, 0x10000, v150
	s_delay_alu instid0(VALU_DEP_2) | instskip(NEXT) | instid1(VALU_DEP_2)
	v_cmp_eq_u32_e32 vcc_lo, 0, v152
	v_cndmask_b32_e32 v152, v154, v150, vcc_lo
; %bb.36:
	s_or_b32 exec_lo, exec_lo, s3
	v_and_b32_e32 v150, 0x7f800000, v143
	s_delay_alu instid0(VALU_DEP_1) | instskip(SKIP_1) | instid1(SALU_CYCLE_1)
	v_cmp_ne_u32_e32 vcc_lo, 0x7f800000, v150
                                        ; implicit-def: $vgpr150
	s_and_saveexec_b32 s3, vcc_lo
	s_xor_b32 s3, exec_lo, s3
; %bb.37:
	v_bfe_u32 v150, v143, 16, 1
	s_delay_alu instid0(VALU_DEP_1)
	v_add3_u32 v150, v143, v150, 0x7fff
                                        ; implicit-def: $vgpr143
; %bb.38:
	s_and_not1_saveexec_b32 s3, s3
; %bb.39:
	v_and_b32_e32 v150, 0xffff, v143
	v_or_b32_e32 v154, 0x10000, v143
	s_delay_alu instid0(VALU_DEP_2) | instskip(NEXT) | instid1(VALU_DEP_2)
	v_cmp_eq_u32_e32 vcc_lo, 0, v150
	v_cndmask_b32_e32 v150, v154, v143, vcc_lo
; %bb.40:
	s_or_b32 exec_lo, exec_lo, s3
	v_and_b32_e32 v143, 0x7f800000, v140
	s_delay_alu instid0(VALU_DEP_1) | instskip(SKIP_1) | instid1(SALU_CYCLE_1)
	v_cmp_ne_u32_e32 vcc_lo, 0x7f800000, v143
                                        ; implicit-def: $vgpr143
	s_and_saveexec_b32 s3, vcc_lo
	s_xor_b32 s3, exec_lo, s3
; %bb.41:
	v_bfe_u32 v143, v140, 16, 1
	s_delay_alu instid0(VALU_DEP_1)
	v_add3_u32 v143, v140, v143, 0x7fff
                                        ; implicit-def: $vgpr140
; %bb.42:
	s_and_not1_saveexec_b32 s3, s3
; %bb.43:
	v_and_b32_e32 v143, 0xffff, v140
	v_or_b32_e32 v154, 0x10000, v140
	s_delay_alu instid0(VALU_DEP_2) | instskip(NEXT) | instid1(VALU_DEP_2)
	v_cmp_eq_u32_e32 vcc_lo, 0, v143
	v_cndmask_b32_e32 v143, v154, v140, vcc_lo
; %bb.44:
	s_or_b32 exec_lo, exec_lo, s3
	s_load_b64 s[34:35], s[0:1], 0x94
	v_dual_mul_f32 v138, v139, v138 :: v_dual_lshlrev_b32 v155, 4, v147
	s_delay_alu instid0(VALU_DEP_2)
	v_perm_b32 v154, v143, v150, 0x7060302
	v_dual_mul_f32 v143, v139, v131 :: v_dual_lshlrev_b32 v140, 6, v149
	v_lshlrev_b32_e32 v149, 11, v148
	v_perm_b32 v153, v152, v153, 0x7060302
	v_perm_b32 v152, v151, v144, 0x7060302
	;; [unrolled: 1-line block ×3, first 2 shown]
	v_mul_f32_e32 v142, v139, v133
	v_or3_b32 v131, v155, v149, v140
	v_dual_mul_f32 v137, v139, v137 :: v_dual_and_b32 v144, 0x7f800000, v143
	v_mul_f32_e32 v136, v139, v136
	v_mul_f32_e32 v135, v139, v135
	;; [unrolled: 1-line block ×4, first 2 shown]
	s_mov_b32 s3, exec_lo
	ds_store_b128 v131, v[151:154]
                                        ; implicit-def: $vgpr132
	v_cmpx_ne_u32_e32 0x7f800000, v144
	s_xor_b32 s3, exec_lo, s3
; %bb.45:
	v_bfe_u32 v132, v143, 16, 1
	s_delay_alu instid0(VALU_DEP_1)
	v_add3_u32 v132, v143, v132, 0x7fff
                                        ; implicit-def: $vgpr143
; %bb.46:
	s_and_not1_saveexec_b32 s3, s3
; %bb.47:
	v_and_b32_e32 v132, 0xffff, v143
	v_or_b32_e32 v133, 0x10000, v143
	s_delay_alu instid0(VALU_DEP_2) | instskip(NEXT) | instid1(VALU_DEP_2)
	v_cmp_eq_u32_e32 vcc_lo, 0, v132
	v_cndmask_b32_e32 v132, v133, v143, vcc_lo
; %bb.48:
	s_or_b32 exec_lo, exec_lo, s3
	v_and_b32_e32 v133, 0x7f800000, v134
	s_delay_alu instid0(VALU_DEP_1) | instskip(SKIP_1) | instid1(SALU_CYCLE_1)
	v_cmp_ne_u32_e32 vcc_lo, 0x7f800000, v133
                                        ; implicit-def: $vgpr133
	s_and_saveexec_b32 s3, vcc_lo
	s_xor_b32 s3, exec_lo, s3
; %bb.49:
	v_bfe_u32 v133, v134, 16, 1
	s_delay_alu instid0(VALU_DEP_1)
	v_add3_u32 v133, v134, v133, 0x7fff
                                        ; implicit-def: $vgpr134
; %bb.50:
	s_and_not1_saveexec_b32 s3, s3
; %bb.51:
	v_and_b32_e32 v133, 0xffff, v134
	v_or_b32_e32 v139, 0x10000, v134
	s_delay_alu instid0(VALU_DEP_2) | instskip(NEXT) | instid1(VALU_DEP_2)
	v_cmp_eq_u32_e32 vcc_lo, 0, v133
	v_cndmask_b32_e32 v133, v139, v134, vcc_lo
; %bb.52:
	s_or_b32 exec_lo, exec_lo, s3
	v_and_b32_e32 v134, 0x7f800000, v142
	s_delay_alu instid0(VALU_DEP_1) | instskip(SKIP_1) | instid1(SALU_CYCLE_1)
	v_cmp_ne_u32_e32 vcc_lo, 0x7f800000, v134
                                        ; implicit-def: $vgpr134
	s_and_saveexec_b32 s3, vcc_lo
	s_xor_b32 s3, exec_lo, s3
; %bb.53:
	v_bfe_u32 v134, v142, 16, 1
	s_delay_alu instid0(VALU_DEP_1)
	v_add3_u32 v134, v142, v134, 0x7fff
                                        ; implicit-def: $vgpr142
; %bb.54:
	s_and_not1_saveexec_b32 s3, s3
; %bb.55:
	v_and_b32_e32 v134, 0xffff, v142
	v_or_b32_e32 v139, 0x10000, v142
	s_delay_alu instid0(VALU_DEP_2) | instskip(NEXT) | instid1(VALU_DEP_2)
	v_cmp_eq_u32_e32 vcc_lo, 0, v134
	v_cndmask_b32_e32 v134, v139, v142, vcc_lo
; %bb.56:
	s_or_b32 exec_lo, exec_lo, s3
	v_and_b32_e32 v139, 0x7f800000, v141
	s_delay_alu instid0(VALU_DEP_1) | instskip(SKIP_1) | instid1(SALU_CYCLE_1)
	v_cmp_ne_u32_e32 vcc_lo, 0x7f800000, v139
                                        ; implicit-def: $vgpr139
	s_and_saveexec_b32 s3, vcc_lo
	s_xor_b32 s3, exec_lo, s3
; %bb.57:
	v_bfe_u32 v139, v141, 16, 1
	s_delay_alu instid0(VALU_DEP_1)
	v_add3_u32 v139, v141, v139, 0x7fff
                                        ; implicit-def: $vgpr141
; %bb.58:
	s_and_not1_saveexec_b32 s3, s3
; %bb.59:
	v_and_b32_e32 v139, 0xffff, v141
	v_or_b32_e32 v142, 0x10000, v141
	s_delay_alu instid0(VALU_DEP_2) | instskip(NEXT) | instid1(VALU_DEP_2)
	v_cmp_eq_u32_e32 vcc_lo, 0, v139
	v_cndmask_b32_e32 v139, v142, v141, vcc_lo
; %bb.60:
	s_or_b32 exec_lo, exec_lo, s3
	v_and_b32_e32 v141, 0x7f800000, v135
	s_delay_alu instid0(VALU_DEP_1) | instskip(SKIP_1) | instid1(SALU_CYCLE_1)
	v_cmp_ne_u32_e32 vcc_lo, 0x7f800000, v141
                                        ; implicit-def: $vgpr141
	s_and_saveexec_b32 s3, vcc_lo
	s_xor_b32 s3, exec_lo, s3
; %bb.61:
	v_bfe_u32 v141, v135, 16, 1
	s_delay_alu instid0(VALU_DEP_1)
	v_add3_u32 v141, v135, v141, 0x7fff
                                        ; implicit-def: $vgpr135
; %bb.62:
	s_and_not1_saveexec_b32 s3, s3
; %bb.63:
	v_and_b32_e32 v141, 0xffff, v135
	v_or_b32_e32 v142, 0x10000, v135
	s_delay_alu instid0(VALU_DEP_2) | instskip(NEXT) | instid1(VALU_DEP_2)
	v_cmp_eq_u32_e32 vcc_lo, 0, v141
	v_cndmask_b32_e32 v141, v142, v135, vcc_lo
; %bb.64:
	s_or_b32 exec_lo, exec_lo, s3
	v_and_b32_e32 v135, 0x7f800000, v136
	s_delay_alu instid0(VALU_DEP_1) | instskip(SKIP_1) | instid1(SALU_CYCLE_1)
	v_cmp_ne_u32_e32 vcc_lo, 0x7f800000, v135
                                        ; implicit-def: $vgpr135
	s_and_saveexec_b32 s3, vcc_lo
	s_xor_b32 s3, exec_lo, s3
; %bb.65:
	v_bfe_u32 v135, v136, 16, 1
	s_delay_alu instid0(VALU_DEP_1)
	v_add3_u32 v135, v136, v135, 0x7fff
                                        ; implicit-def: $vgpr136
; %bb.66:
	s_and_not1_saveexec_b32 s3, s3
; %bb.67:
	v_and_b32_e32 v135, 0xffff, v136
	v_or_b32_e32 v142, 0x10000, v136
	s_delay_alu instid0(VALU_DEP_2) | instskip(NEXT) | instid1(VALU_DEP_2)
	v_cmp_eq_u32_e32 vcc_lo, 0, v135
	v_cndmask_b32_e32 v135, v142, v136, vcc_lo
; %bb.68:
	s_or_b32 exec_lo, exec_lo, s3
	v_and_b32_e32 v136, 0x7f800000, v137
	s_delay_alu instid0(VALU_DEP_1) | instskip(SKIP_1) | instid1(SALU_CYCLE_1)
	v_cmp_ne_u32_e32 vcc_lo, 0x7f800000, v136
                                        ; implicit-def: $vgpr136
	s_and_saveexec_b32 s3, vcc_lo
	s_xor_b32 s3, exec_lo, s3
; %bb.69:
	v_bfe_u32 v136, v137, 16, 1
	s_delay_alu instid0(VALU_DEP_1)
	v_add3_u32 v136, v137, v136, 0x7fff
                                        ; implicit-def: $vgpr137
; %bb.70:
	s_and_not1_saveexec_b32 s3, s3
; %bb.71:
	v_and_b32_e32 v136, 0xffff, v137
	v_or_b32_e32 v142, 0x10000, v137
	s_delay_alu instid0(VALU_DEP_2) | instskip(NEXT) | instid1(VALU_DEP_2)
	v_cmp_eq_u32_e32 vcc_lo, 0, v136
	v_cndmask_b32_e32 v136, v142, v137, vcc_lo
; %bb.72:
	s_or_b32 exec_lo, exec_lo, s3
	v_and_b32_e32 v137, 0x7f800000, v138
	s_delay_alu instid0(VALU_DEP_1) | instskip(SKIP_1) | instid1(SALU_CYCLE_1)
	v_cmp_ne_u32_e32 vcc_lo, 0x7f800000, v137
                                        ; implicit-def: $vgpr137
	s_and_saveexec_b32 s3, vcc_lo
	s_xor_b32 s3, exec_lo, s3
; %bb.73:
	v_bfe_u32 v137, v138, 16, 1
	s_delay_alu instid0(VALU_DEP_1)
	v_add3_u32 v137, v138, v137, 0x7fff
                                        ; implicit-def: $vgpr138
; %bb.74:
	s_and_not1_saveexec_b32 s3, s3
; %bb.75:
	v_and_b32_e32 v137, 0xffff, v138
	v_or_b32_e32 v142, 0x10000, v138
	s_delay_alu instid0(VALU_DEP_2) | instskip(NEXT) | instid1(VALU_DEP_2)
	v_cmp_eq_u32_e32 vcc_lo, 0, v137
	v_cndmask_b32_e32 v137, v142, v138, vcc_lo
; %bb.76:
	s_or_b32 exec_lo, exec_lo, s3
	s_delay_alu instid0(VALU_DEP_1)
	v_perm_b32 v136, v137, v136, 0x7060302
	v_perm_b32 v135, v135, v141, 0x7060302
	;; [unrolled: 1-line block ×4, first 2 shown]
	v_lshl_or_b32 v141, v148, 11, v140
	ds_store_b128 v131, v[133:136] offset:1024
	s_waitcnt lgkmcnt(0)
	s_barrier
	buffer_gl0_inv
	ds_load_b128 v[132:135], v141
	ds_load_b128 v[148:151], v141 offset:16
	s_waitcnt lgkmcnt(1)
	v_lshrrev_b32_e32 v160, 16, v134
	v_lshlrev_b32_e32 v138, 2, v147
	v_lshrrev_b32_e32 v136, 16, v132
	v_lshrrev_b32_e32 v144, 16, v133
	s_waitcnt lgkmcnt(0)
	v_lshrrev_b32_e32 v143, 16, v148
	v_lshrrev_b32_e32 v161, 16, v149
	v_or_b32_e32 v139, 1, v138
	v_lshrrev_b32_e32 v163, 16, v150
	v_lshrrev_b32_e32 v164, 16, v151
	;; [unrolled: 1-line block ×3, first 2 shown]
	s_delay_alu instid0(VALU_DEP_4)
	v_cmp_eq_u32_e64 s7, 1, v139
	v_cmp_eq_u32_e64 s6, 2, v139
	;; [unrolled: 1-line block ×4, first 2 shown]
	v_cmp_eq_u32_e32 vcc_lo, 5, v139
	v_cndmask_b32_e64 v153, v132, v136, s7
	v_cndmask_b32_e64 v154, v148, v143, s7
	v_cmp_eq_u32_e64 s4, 6, v139
	v_cmp_eq_u32_e64 s19, 7, v139
	s_delay_alu instid0(VALU_DEP_4) | instskip(NEXT) | instid1(VALU_DEP_4)
	v_cndmask_b32_e64 v153, v153, v133, s6
	v_cndmask_b32_e64 v154, v154, v149, s6
	s_delay_alu instid0(VALU_DEP_2) | instskip(NEXT) | instid1(VALU_DEP_2)
	v_cndmask_b32_e64 v153, v153, v144, s5
	v_cndmask_b32_e64 v154, v154, v161, s5
	s_delay_alu instid0(VALU_DEP_2) | instskip(NEXT) | instid1(VALU_DEP_2)
	v_cndmask_b32_e64 v153, v153, v134, s3
	v_cndmask_b32_e64 v154, v154, v150, s3
	s_delay_alu instid0(VALU_DEP_2)
	v_cndmask_b32_e32 v153, v153, v160, vcc_lo
	v_cmp_eq_u32_e64 s12, 1, v138
	v_cmp_eq_u32_e64 s11, 2, v138
	;; [unrolled: 1-line block ×3, first 2 shown]
	v_or_b32_e32 v137, 2, v138
	v_cmp_eq_u32_e64 s17, 4, v138
	v_cndmask_b32_e64 v152, v148, v143, s12
	v_cndmask_b32_e64 v142, v132, v136, s12
	v_cmp_eq_u32_e64 s13, 5, v138
	v_cmp_eq_u32_e64 s8, 1, v137
	;; [unrolled: 1-line block ×3, first 2 shown]
	v_cndmask_b32_e64 v152, v152, v149, s11
	v_cndmask_b32_e64 v142, v142, v133, s11
	v_cmp_eq_u32_e64 s10, 2, v137
	v_cndmask_b32_e64 v155, v132, v136, s8
	v_cmp_eq_u32_e64 s9, 7, v138
	v_cndmask_b32_e64 v152, v152, v161, s16
	v_cndmask_b32_e64 v142, v142, v144, s16
	v_cmp_eq_u32_e64 s18, 3, v137
	v_cndmask_b32_e64 v155, v155, v133, s10
	v_cndmask_b32_e64 v153, v153, v135, s4
	v_cndmask_b32_e64 v152, v152, v150, s17
	v_cndmask_b32_e64 v142, v142, v134, s17
	v_cmp_eq_u32_e64 s20, 4, v137
	v_cndmask_b32_e64 v155, v155, v144, s18
	v_cndmask_b32_e64 v167, v153, v162, s19
	;; [unrolled: 1-line block ×4, first 2 shown]
	v_cndmask_b32_e32 v156, v154, v163, vcc_lo
	v_cndmask_b32_e64 v158, v155, v134, s20
	v_cmp_eq_u32_e64 s22, 5, v137
	v_cndmask_b32_e64 v152, v152, v151, s15
	v_cndmask_b32_e64 v142, v142, v135, s15
	v_cmp_eq_u32_e64 s25, 6, v137
	v_cmp_eq_u32_e64 s27, 7, v137
	v_cndmask_b32_e64 v168, v158, v160, s22
	v_cndmask_b32_e64 v166, v152, v164, s9
	;; [unrolled: 1-line block ×4, first 2 shown]
	v_or_b32_e32 v142, 3, v138
	s_delay_alu instid0(VALU_DEP_3)
	v_cndmask_b32_e64 v157, v152, v149, s10
	ds_load_b128 v[152:155], v141 offset:1024
	v_cmp_eq_u32_e64 s21, 1, v142
	v_cmp_eq_u32_e64 s23, 2, v142
	;; [unrolled: 1-line block ×3, first 2 shown]
	v_cndmask_b32_e64 v157, v157, v161, s18
	v_cmp_eq_u32_e64 s26, 4, v142
	v_cndmask_b32_e64 v132, v132, v136, s21
	v_cndmask_b32_e64 v136, v156, v151, s4
	v_cndmask_b32_e64 v143, v148, v143, s21
	v_cndmask_b32_e64 v169, v157, v150, s20
	ds_load_b128 v[156:159], v141 offset:1040
	v_cndmask_b32_e64 v132, v132, v133, s23
	v_cmp_eq_u32_e64 s28, 5, v142
	v_cndmask_b32_e64 v143, v143, v149, s23
	v_cmp_eq_u32_e64 s29, 6, v142
	v_cndmask_b32_e64 v133, v169, v163, s22
	v_cndmask_b32_e64 v132, v132, v144, s24
	;; [unrolled: 1-line block ×5, first 2 shown]
	s_waitcnt lgkmcnt(1)
	v_lshrrev_b32_e32 v148, 16, v152
	v_cndmask_b32_e64 v132, v132, v134, s26
	v_cndmask_b32_e64 v133, v133, v151, s25
	;; [unrolled: 1-line block ×3, first 2 shown]
	v_lshrrev_b32_e32 v150, 16, v153
	v_cndmask_b32_e64 v143, v152, v148, s12
	v_cndmask_b32_e64 v132, v132, v160, s28
	;; [unrolled: 1-line block ×5, first 2 shown]
	s_waitcnt lgkmcnt(0)
	v_lshrrev_b32_e32 v149, 16, v156
	v_cndmask_b32_e64 v143, v143, v153, s11
	v_cndmask_b32_e64 v132, v132, v135, s29
	;; [unrolled: 1-line block ×3, first 2 shown]
	v_lshrrev_b32_e32 v163, 16, v158
	v_cndmask_b32_e64 v161, v156, v149, s12
	v_cndmask_b32_e64 v135, v143, v150, s16
	;; [unrolled: 1-line block ×3, first 2 shown]
	v_lshrrev_b32_e32 v160, 16, v157
	v_cndmask_b32_e64 v133, v133, v164, s27
	v_cndmask_b32_e64 v151, v161, v157, s11
	v_cmp_eq_u32_e64 s11, 7, v142
	v_cndmask_b32_e64 v143, v143, v150, s5
	v_cndmask_b32_e64 v135, v135, v154, s17
	v_lshrrev_b32_e32 v161, 16, v154
	v_cndmask_b32_e64 v151, v151, v160, s16
	v_cndmask_b32_e64 v132, v132, v162, s11
	;; [unrolled: 1-line block ×6, first 2 shown]
	s_delay_alu instid0(VALU_DEP_4) | instskip(NEXT) | instid1(VALU_DEP_4)
	v_perm_b32 v135, v134, v132, 0x5040100
	v_cndmask_b32_e32 v132, v143, v161, vcc_lo
	s_delay_alu instid0(VALU_DEP_4)
	v_cndmask_b32_e64 v143, v162, v155, s15
	v_lshrrev_b32_e32 v162, 16, v155
	v_cndmask_b32_e64 v151, v151, v163, s13
	v_perm_b32 v134, v133, v144, 0x5040100
	v_cndmask_b32_e64 v132, v132, v155, s4
	v_perm_b32 v133, v136, v167, 0x5040100
	v_cndmask_b32_e64 v136, v143, v162, s9
	v_cndmask_b32_e64 v143, v151, v159, s15
	;; [unrolled: 1-line block ×13, first 2 shown]
	v_lshrrev_b32_e32 v144, 16, v159
	v_cndmask_b32_e64 v132, v132, v150, s18
	v_cndmask_b32_e64 v148, v148, v150, s24
	;; [unrolled: 1-line block ×14, first 2 shown]
	v_cndmask_b32_e32 v149, v149, v163, vcc_lo
	v_cndmask_b32_e64 v132, v132, v155, s25
	v_cndmask_b32_e64 v148, v148, v155, s29
	v_cndmask_b32_e64 v150, v150, v159, s29
	v_cndmask_b32_e64 v151, v151, v159, s25
	v_cndmask_b32_e64 v149, v149, v159, s4
	v_cndmask_b32_e64 v152, v132, v162, s27
	v_cndmask_b32_e64 v148, v148, v162, s11
	v_cndmask_b32_e64 v150, v150, v144, s11
	v_cndmask_b32_e64 v153, v151, v144, s27
	v_cndmask_b32_e64 v149, v149, v144, s19
	v_cndmask_b32_e64 v143, v143, v144, s9
	v_perm_b32 v132, v166, v165, 0x5040100
	v_perm_b32 v151, v150, v148, 0x5040100
	;; [unrolled: 1-line block ×5, first 2 shown]
	s_lshl_b32 s8, s35, 3
	s_mov_b32 s3, exec_lo
	ds_store_b128 v131, v[132:135]
	ds_store_b128 v131, v[148:151] offset:1024
	v_cmpx_gt_u32_e32 8, v0
	s_cbranch_execz .LBB485_78
; %bb.77:
	v_or_b32_e32 v131, s31, v0
	s_load_b128 s[4:7], s[0:1], 0x58
	s_delay_alu instid0(VALU_DEP_1) | instskip(NEXT) | instid1(VALU_DEP_1)
	v_mad_u64_u32 v[132:133], null, s8, s30, v[131:132]
	v_mad_u64_u32 v[133:134], null, v132, s34, s[14:15]
	s_delay_alu instid0(VALU_DEP_1) | instskip(NEXT) | instid1(VALU_DEP_1)
	v_ashrrev_i32_e32 v134, 31, v133
	v_lshlrev_b64 v[131:132], 2, v[133:134]
	s_waitcnt lgkmcnt(0)
	s_delay_alu instid0(VALU_DEP_1) | instskip(NEXT) | instid1(VALU_DEP_2)
	v_add_co_u32 v133, vcc_lo, s6, v131
	v_add_co_ci_u32_e32 v134, vcc_lo, s7, v132, vcc_lo
	v_add_co_u32 v131, vcc_lo, s4, v131
	v_add_co_ci_u32_e32 v132, vcc_lo, s5, v132, vcc_lo
	global_store_b32 v[133:134], v129, off
	global_store_b32 v[131:132], v130, off
.LBB485_78:
	s_or_b32 exec_lo, exec_lo, s3
	s_waitcnt lgkmcnt(0)
	s_waitcnt_vscnt null, 0x0
	s_barrier
	buffer_gl0_inv
	ds_load_b128 v[148:151], v140
	ds_load_b128 v[152:155], v140 offset:16
	ds_load_b128 v[160:163], v140 offset:1040
	;; [unrolled: 1-line block ×3, first 2 shown]
	v_mov_b32_e32 v129, 0
	ds_load_b128 v[168:171], v140 offset:2064
	ds_load_b128 v[164:167], v140 offset:2048
	;; [unrolled: 1-line block ×6, first 2 shown]
	v_mov_b32_e32 v130, v129
	v_mov_b32_e32 v131, v129
	;; [unrolled: 1-line block ×7, first 2 shown]
	s_waitcnt lgkmcnt(8)
	s_delay_alu instid0(VALU_DEP_1)
	v_wmma_f32_16x16x16_bf16 v[129:136], v[121:128], v[148:155], v[129:136]
	ds_load_b128 v[125:128], v140 offset:5136
	ds_load_b128 v[121:124], v140 offset:5120
	s_waitcnt lgkmcnt(8)
	v_wmma_f32_16x16x16_bf16 v[129:136], v[113:120], v[156:163], v[129:136]
	ds_load_b128 v[117:120], v140 offset:6160
	ds_load_b128 v[113:116], v140 offset:6144
	s_waitcnt lgkmcnt(8)
	;; [unrolled: 4-line block ×8, first 2 shown]
	v_wmma_f32_16x16x16_bf16 v[129:136], v[65:72], v[97:104], v[129:136]
	s_waitcnt lgkmcnt(6)
	s_delay_alu instid0(VALU_DEP_1)
	v_wmma_f32_16x16x16_bf16 v[129:136], v[49:56], v[89:96], v[129:136]
	ds_load_b128 v[53:56], v140 offset:13328
	ds_load_b128 v[49:52], v140 offset:13312
	s_waitcnt lgkmcnt(6)
	v_wmma_f32_16x16x16_bf16 v[129:136], v[41:48], v[81:88], v[129:136]
	ds_load_b128 v[45:48], v140 offset:14352
	ds_load_b128 v[41:44], v140 offset:14336
	s_waitcnt lgkmcnt(6)
	;; [unrolled: 4-line block ×3, first 2 shown]
	v_wmma_f32_16x16x16_bf16 v[129:136], v[1:8], v[57:64], v[129:136]
	s_waitcnt lgkmcnt(4)
	s_delay_alu instid0(VALU_DEP_1) | instskip(SKIP_1) | instid1(VALU_DEP_1)
	v_wmma_f32_16x16x16_bf16 v[129:136], v[25:32], v[49:56], v[129:136]
	s_waitcnt lgkmcnt(2)
	v_wmma_f32_16x16x16_bf16 v[129:136], v[33:40], v[41:48], v[129:136]
	s_waitcnt lgkmcnt(0)
	s_delay_alu instid0(VALU_DEP_1) | instskip(NEXT) | instid1(VALU_DEP_1)
	v_wmma_f32_16x16x16_bf16 v[129:136], v[9:16], v[17:24], v[129:136]
	v_and_b32_e32 v1, 0x7f800000, v129
	s_delay_alu instid0(VALU_DEP_1) | instskip(SKIP_1) | instid1(SALU_CYCLE_1)
	v_cmp_ne_u32_e32 vcc_lo, 0x7f800000, v1
                                        ; implicit-def: $vgpr1
	s_and_saveexec_b32 s3, vcc_lo
	s_xor_b32 s3, exec_lo, s3
; %bb.79:
	v_bfe_u32 v1, v129, 16, 1
	s_delay_alu instid0(VALU_DEP_1)
	v_add3_u32 v1, v129, v1, 0x7fff
; %bb.80:
	s_and_not1_saveexec_b32 s3, s3
; %bb.81:
	v_and_b32_e32 v1, 0xffff, v129
	v_or_b32_e32 v2, 0x10000, v129
	s_delay_alu instid0(VALU_DEP_2) | instskip(NEXT) | instid1(VALU_DEP_2)
	v_cmp_eq_u32_e32 vcc_lo, 0, v1
	v_cndmask_b32_e32 v1, v2, v129, vcc_lo
; %bb.82:
	s_or_b32 exec_lo, exec_lo, s3
	v_and_b32_e32 v2, 0x7f800000, v130
	s_delay_alu instid0(VALU_DEP_1) | instskip(SKIP_1) | instid1(SALU_CYCLE_1)
	v_cmp_ne_u32_e32 vcc_lo, 0x7f800000, v2
                                        ; implicit-def: $vgpr2
	s_and_saveexec_b32 s3, vcc_lo
	s_xor_b32 s3, exec_lo, s3
; %bb.83:
	v_bfe_u32 v2, v130, 16, 1
	s_delay_alu instid0(VALU_DEP_1)
	v_add3_u32 v2, v130, v2, 0x7fff
; %bb.84:
	s_and_not1_saveexec_b32 s3, s3
; %bb.85:
	v_and_b32_e32 v2, 0xffff, v130
	v_or_b32_e32 v3, 0x10000, v130
	s_delay_alu instid0(VALU_DEP_2) | instskip(NEXT) | instid1(VALU_DEP_2)
	v_cmp_eq_u32_e32 vcc_lo, 0, v2
	v_cndmask_b32_e32 v2, v3, v130, vcc_lo
; %bb.86:
	s_or_b32 exec_lo, exec_lo, s3
	v_and_b32_e32 v3, 0x7f800000, v131
	s_delay_alu instid0(VALU_DEP_1) | instskip(SKIP_1) | instid1(SALU_CYCLE_1)
	v_cmp_ne_u32_e32 vcc_lo, 0x7f800000, v3
                                        ; implicit-def: $vgpr3
	s_and_saveexec_b32 s3, vcc_lo
	s_xor_b32 s3, exec_lo, s3
; %bb.87:
	v_bfe_u32 v3, v131, 16, 1
	s_delay_alu instid0(VALU_DEP_1)
	v_add3_u32 v3, v131, v3, 0x7fff
; %bb.88:
	s_and_not1_saveexec_b32 s3, s3
; %bb.89:
	v_and_b32_e32 v3, 0xffff, v131
	v_or_b32_e32 v4, 0x10000, v131
	s_delay_alu instid0(VALU_DEP_2) | instskip(NEXT) | instid1(VALU_DEP_2)
	v_cmp_eq_u32_e32 vcc_lo, 0, v3
	v_cndmask_b32_e32 v3, v4, v131, vcc_lo
; %bb.90:
	s_or_b32 exec_lo, exec_lo, s3
	v_and_b32_e32 v4, 0x7f800000, v132
	s_delay_alu instid0(VALU_DEP_1) | instskip(SKIP_1) | instid1(SALU_CYCLE_1)
	v_cmp_ne_u32_e32 vcc_lo, 0x7f800000, v4
                                        ; implicit-def: $vgpr4
	s_and_saveexec_b32 s3, vcc_lo
	s_xor_b32 s3, exec_lo, s3
; %bb.91:
	v_bfe_u32 v4, v132, 16, 1
	s_delay_alu instid0(VALU_DEP_1)
	v_add3_u32 v4, v132, v4, 0x7fff
; %bb.92:
	s_and_not1_saveexec_b32 s3, s3
; %bb.93:
	v_and_b32_e32 v4, 0xffff, v132
	v_or_b32_e32 v5, 0x10000, v132
	s_delay_alu instid0(VALU_DEP_2) | instskip(NEXT) | instid1(VALU_DEP_2)
	v_cmp_eq_u32_e32 vcc_lo, 0, v4
	v_cndmask_b32_e32 v4, v5, v132, vcc_lo
; %bb.94:
	s_or_b32 exec_lo, exec_lo, s3
	v_and_b32_e32 v5, 0x7f800000, v133
	s_delay_alu instid0(VALU_DEP_1) | instskip(SKIP_1) | instid1(SALU_CYCLE_1)
	v_cmp_ne_u32_e32 vcc_lo, 0x7f800000, v5
                                        ; implicit-def: $vgpr5
	s_and_saveexec_b32 s3, vcc_lo
	s_xor_b32 s3, exec_lo, s3
; %bb.95:
	v_bfe_u32 v5, v133, 16, 1
	s_delay_alu instid0(VALU_DEP_1)
	v_add3_u32 v5, v133, v5, 0x7fff
; %bb.96:
	s_and_not1_saveexec_b32 s3, s3
; %bb.97:
	v_and_b32_e32 v5, 0xffff, v133
	v_or_b32_e32 v6, 0x10000, v133
	s_delay_alu instid0(VALU_DEP_2) | instskip(NEXT) | instid1(VALU_DEP_2)
	v_cmp_eq_u32_e32 vcc_lo, 0, v5
	v_cndmask_b32_e32 v5, v6, v133, vcc_lo
; %bb.98:
	s_or_b32 exec_lo, exec_lo, s3
	v_and_b32_e32 v6, 0x7f800000, v134
	s_delay_alu instid0(VALU_DEP_1) | instskip(SKIP_1) | instid1(SALU_CYCLE_1)
	v_cmp_ne_u32_e32 vcc_lo, 0x7f800000, v6
                                        ; implicit-def: $vgpr6
	s_and_saveexec_b32 s3, vcc_lo
	s_xor_b32 s3, exec_lo, s3
; %bb.99:
	v_bfe_u32 v6, v134, 16, 1
	s_delay_alu instid0(VALU_DEP_1)
	v_add3_u32 v6, v134, v6, 0x7fff
; %bb.100:
	s_and_not1_saveexec_b32 s3, s3
; %bb.101:
	v_and_b32_e32 v6, 0xffff, v134
	v_or_b32_e32 v7, 0x10000, v134
	s_delay_alu instid0(VALU_DEP_2) | instskip(NEXT) | instid1(VALU_DEP_2)
	v_cmp_eq_u32_e32 vcc_lo, 0, v6
	v_cndmask_b32_e32 v6, v7, v134, vcc_lo
; %bb.102:
	s_or_b32 exec_lo, exec_lo, s3
	v_and_b32_e32 v7, 0x7f800000, v135
	s_delay_alu instid0(VALU_DEP_1) | instskip(SKIP_1) | instid1(SALU_CYCLE_1)
	v_cmp_ne_u32_e32 vcc_lo, 0x7f800000, v7
                                        ; implicit-def: $vgpr7
	s_and_saveexec_b32 s3, vcc_lo
	s_xor_b32 s3, exec_lo, s3
; %bb.103:
	v_bfe_u32 v7, v135, 16, 1
	s_delay_alu instid0(VALU_DEP_1)
	v_add3_u32 v7, v135, v7, 0x7fff
; %bb.104:
	s_and_not1_saveexec_b32 s3, s3
; %bb.105:
	v_and_b32_e32 v7, 0xffff, v135
	v_or_b32_e32 v8, 0x10000, v135
	s_delay_alu instid0(VALU_DEP_2) | instskip(NEXT) | instid1(VALU_DEP_2)
	v_cmp_eq_u32_e32 vcc_lo, 0, v7
	v_cndmask_b32_e32 v7, v8, v135, vcc_lo
; %bb.106:
	s_or_b32 exec_lo, exec_lo, s3
	v_and_b32_e32 v8, 0x7f800000, v136
	s_delay_alu instid0(VALU_DEP_1) | instskip(SKIP_1) | instid1(SALU_CYCLE_1)
	v_cmp_ne_u32_e32 vcc_lo, 0x7f800000, v8
                                        ; implicit-def: $vgpr8
	s_and_saveexec_b32 s3, vcc_lo
	s_xor_b32 s3, exec_lo, s3
; %bb.107:
	v_bfe_u32 v8, v136, 16, 1
	s_delay_alu instid0(VALU_DEP_1)
	v_add3_u32 v8, v136, v8, 0x7fff
                                        ; implicit-def: $vgpr129_vgpr130_vgpr131_vgpr132_vgpr133_vgpr134_vgpr135_vgpr136
; %bb.108:
	s_and_not1_saveexec_b32 s3, s3
; %bb.109:
	v_and_b32_e32 v8, 0xffff, v136
	v_or_b32_e32 v9, 0x10000, v136
	s_delay_alu instid0(VALU_DEP_2) | instskip(NEXT) | instid1(VALU_DEP_2)
	v_cmp_eq_u32_e32 vcc_lo, 0, v8
	v_cndmask_b32_e32 v8, v9, v136, vcc_lo
; %bb.110:
	s_or_b32 exec_lo, exec_lo, s3
	s_delay_alu instid0(VALU_DEP_1)
	v_perm_b32 v7, v8, v7, 0x7060302
	v_perm_b32 v6, v6, v5, 0x7060302
	;; [unrolled: 1-line block ×4, first 2 shown]
	v_lshl_or_b32 v9, v147, 4, v141
	s_barrier
	buffer_gl0_inv
	v_cmp_eq_u32_e32 vcc_lo, 1, v138
	ds_store_b128 v9, v[4:7]
	s_waitcnt lgkmcnt(0)
	s_barrier
	buffer_gl0_inv
	ds_load_b128 v[1:4], v141
	ds_load_b128 v[5:8], v141 offset:16
	v_cmp_eq_u32_e64 s4, 2, v138
	v_cmp_eq_u32_e64 s3, 1, v139
	;; [unrolled: 1-line block ×5, first 2 shown]
	s_waitcnt lgkmcnt(1)
	v_lshrrev_b32_e32 v10, 16, v1
	s_waitcnt lgkmcnt(0)
	v_lshrrev_b32_e32 v14, 16, v5
	v_lshrrev_b32_e32 v15, 16, v6
	;; [unrolled: 1-line block ×4, first 2 shown]
	v_cndmask_b32_e64 v20, v1, v10, s3
	v_cndmask_b32_e32 v19, v5, v14, vcc_lo
	v_cndmask_b32_e64 v21, v5, v14, s3
	v_lshrrev_b32_e32 v16, 16, v7
	v_cmp_eq_u32_e64 s3, 1, v137
	v_lshrrev_b32_e32 v13, 16, v4
	v_cndmask_b32_e64 v19, v19, v6, s4
	v_lshrrev_b32_e32 v17, 16, v8
	s_delay_alu instid0(VALU_DEP_4) | instskip(SKIP_1) | instid1(VALU_DEP_4)
	v_cndmask_b32_e64 v22, v1, v10, s3
	v_cndmask_b32_e64 v23, v5, v14, s3
	;; [unrolled: 1-line block ×3, first 2 shown]
	v_cndmask_b32_e32 v18, v1, v10, vcc_lo
	v_cmp_eq_u32_e32 vcc_lo, 2, v139
	v_cmp_eq_u32_e64 s3, 2, v142
	v_cndmask_b32_e64 v22, v22, v2, s7
	v_cndmask_b32_e32 v20, v20, v2, vcc_lo
	v_cndmask_b32_e32 v21, v21, v6, vcc_lo
	v_cmp_eq_u32_e32 vcc_lo, 4, v138
	v_cndmask_b32_e32 v19, v19, v7, vcc_lo
	v_cndmask_b32_e64 v18, v18, v2, s4
	v_cmp_eq_u32_e64 s4, 3, v139
	s_delay_alu instid0(VALU_DEP_2) | instskip(NEXT) | instid1(VALU_DEP_2)
	v_cndmask_b32_e64 v18, v18, v11, s5
	v_cndmask_b32_e64 v21, v21, v15, s4
	v_cmp_eq_u32_e64 s5, 5, v138
	s_delay_alu instid0(VALU_DEP_3) | instskip(SKIP_1) | instid1(VALU_DEP_3)
	v_cndmask_b32_e32 v18, v18, v3, vcc_lo
	v_cmp_eq_u32_e32 vcc_lo, 4, v139
	v_cndmask_b32_e64 v19, v19, v16, s5
	s_delay_alu instid0(VALU_DEP_3) | instskip(SKIP_4) | instid1(VALU_DEP_3)
	v_cndmask_b32_e64 v18, v18, v12, s5
	v_cndmask_b32_e32 v21, v21, v7, vcc_lo
	v_cndmask_b32_e64 v20, v20, v11, s4
	v_cmp_eq_u32_e64 s4, 5, v139
	v_cmp_eq_u32_e64 s5, 6, v138
	v_cndmask_b32_e32 v20, v20, v3, vcc_lo
	s_delay_alu instid0(VALU_DEP_3) | instskip(SKIP_1) | instid1(VALU_DEP_4)
	v_cndmask_b32_e64 v21, v21, v16, s4
	v_cmp_eq_u32_e32 vcc_lo, 6, v139
	v_cndmask_b32_e64 v18, v18, v4, s5
	v_cndmask_b32_e64 v19, v19, v8, s5
	;; [unrolled: 1-line block ×3, first 2 shown]
	v_cmp_eq_u32_e64 s4, 1, v142
	v_cmp_eq_u32_e64 s5, 7, v138
	s_delay_alu instid0(VALU_DEP_3) | instskip(NEXT) | instid1(VALU_DEP_3)
	v_cndmask_b32_e32 v20, v20, v4, vcc_lo
	v_cndmask_b32_e64 v1, v1, v10, s4
	v_cndmask_b32_e64 v5, v5, v14, s4
	v_cmp_eq_u32_e64 s4, 3, v137
	v_cndmask_b32_e64 v14, v23, v6, s7
	v_cmp_eq_u32_e64 s7, 3, v142
	v_cndmask_b32_e64 v1, v1, v2, s3
	v_cndmask_b32_e64 v2, v5, v6, s3
	;; [unrolled: 1-line block ×3, first 2 shown]
	v_cmp_eq_u32_e64 s3, 4, v137
	v_cndmask_b32_e64 v6, v14, v15, s4
	v_cndmask_b32_e64 v1, v1, v11, s7
	v_cmp_eq_u32_e64 s4, 4, v142
	v_cndmask_b32_e64 v2, v2, v15, s7
	v_cndmask_b32_e64 v5, v10, v3, s3
	v_cmp_eq_u32_e64 s7, 5, v137
	v_cndmask_b32_e64 v6, v6, v7, s3
	v_cndmask_b32_e64 v1, v1, v3, s4
	v_cndmask_b32_e64 v2, v2, v7, s4
	v_cmp_eq_u32_e64 s3, 5, v142
	v_cndmask_b32_e64 v5, v5, v12, s7
	v_cmp_eq_u32_e64 s4, 6, v137
	;; [unrolled: 2-line block ×3, first 2 shown]
	v_cndmask_b32_e64 v1, v1, v12, s3
	v_cndmask_b32_e64 v2, v2, v16, s3
	;; [unrolled: 1-line block ×4, first 2 shown]
	v_cmp_eq_u32_e64 s3, 7, v142
	v_cndmask_b32_e64 v1, v1, v4, s7
	v_cndmask_b32_e64 v2, v2, v8, s7
	v_cmp_eq_u32_e64 s4, 7, v137
	v_cndmask_b32_e32 v4, v21, v8, vcc_lo
	v_cndmask_b32_e64 v18, v18, v13, s5
	v_cndmask_b32_e64 v20, v20, v13, s6
	;; [unrolled: 1-line block ×8, first 2 shown]
	v_cmp_gt_u32_e32 vcc_lo, 32, v0
	v_perm_b32 v4, v2, v1, 0x5040100
	v_perm_b32 v3, v3, v5, 0x5040100
	;; [unrolled: 1-line block ×4, first 2 shown]
	s_and_b32 s2, vcc_lo, s2
	ds_store_b128 v9, v[1:4]
	s_waitcnt lgkmcnt(0)
	s_barrier
	buffer_gl0_inv
	s_and_saveexec_b32 s3, s2
	s_cbranch_execz .LBB485_2
; %bb.111:
	s_load_b64 s[0:1], s[0:1], 0x68
	s_lshl_b32 s4, s34, 6
	v_or_b32_e32 v2, s31, v147
	s_mul_i32 s2, s4, s30
	v_lshlrev_b32_e32 v1, 10, v0
	s_mul_i32 s2, s2, s8
	v_lshlrev_b32_e32 v3, 4, v146
	v_mul_lo_u32 v0, v2, s4
	s_ashr_i32 s3, s2, 31
	v_lshlrev_b32_e32 v4, 6, v147
	v_and_b32_e32 v1, 0x3800, v1
	v_or_b32_e32 v5, 2, v2
	s_lshl_b64 s[2:3], s[2:3], 1
	v_or_b32_e32 v6, 4, v2
	v_or_b32_e32 v7, 6, v2
	v_or3_b32 v12, v1, v3, v4
	v_ashrrev_i32_e32 v1, 31, v0
	v_mul_lo_u32 v2, v5, s4
	v_mul_lo_u32 v16, v6, s4
	;; [unrolled: 1-line block ×3, first 2 shown]
	s_waitcnt lgkmcnt(0)
	s_add_u32 s2, s0, s2
	s_addc_u32 s3, s1, s3
	s_lshl_b32 s0, s14, 6
	v_lshlrev_b64 v[0:1], 1, v[0:1]
	s_ashr_i32 s1, s0, 31
	v_ashrrev_i32_e32 v3, 31, v2
	s_lshl_b64 s[0:1], s[0:1], 1
	v_ashrrev_i32_e32 v17, 31, v16
	s_add_u32 s0, s2, s0
	s_addc_u32 s1, s3, s1
	v_add_co_u32 v24, s0, s0, v145
	s_delay_alu instid0(VALU_DEP_1) | instskip(SKIP_1) | instid1(VALU_DEP_3)
	v_add_co_ci_u32_e64 v25, null, s1, 0, s0
	v_lshlrev_b64 v[22:23], 1, v[2:3]
	v_add_co_u32 v18, vcc_lo, v24, v0
	s_delay_alu instid0(VALU_DEP_3)
	v_add_co_ci_u32_e32 v19, vcc_lo, v25, v1, vcc_lo
	ds_load_b128 v[0:3], v12
	ds_load_b128 v[4:7], v12 offset:128
	ds_load_b128 v[8:11], v12 offset:256
	;; [unrolled: 1-line block ×3, first 2 shown]
	v_ashrrev_i32_e32 v21, 31, v20
	v_lshlrev_b64 v[16:17], 1, v[16:17]
	v_add_co_u32 v22, vcc_lo, v24, v22
	v_add_co_ci_u32_e32 v23, vcc_lo, v25, v23, vcc_lo
	s_delay_alu instid0(VALU_DEP_4) | instskip(NEXT) | instid1(VALU_DEP_4)
	v_lshlrev_b64 v[20:21], 1, v[20:21]
	v_add_co_u32 v16, vcc_lo, v24, v16
	v_add_co_ci_u32_e32 v17, vcc_lo, v25, v17, vcc_lo
	s_delay_alu instid0(VALU_DEP_3) | instskip(NEXT) | instid1(VALU_DEP_4)
	v_add_co_u32 v20, vcc_lo, v24, v20
	v_add_co_ci_u32_e32 v21, vcc_lo, v25, v21, vcc_lo
	s_waitcnt lgkmcnt(3)
	global_store_b128 v[18:19], v[0:3], off
	s_waitcnt lgkmcnt(2)
	global_store_b128 v[22:23], v[4:7], off
	;; [unrolled: 2-line block ×4, first 2 shown]
	s_nop 0
	s_sendmsg sendmsg(MSG_DEALLOC_VGPRS)
	s_endpgm
	.section	.rodata,"a",@progbits
	.p2align	6, 0x0
	.amdhsa_kernel _Z39paged_attention_ll4mi_QKV_mfma16_kernelI14__hip_bfloat16S0_LN4vllm18Fp8KVCacheDataTypeE0ES0_Li16ELi64ELi256ELb0ELi8EL8MFMAType0EEvPKT_PKT0_S9_ifPKiSB_SB_iPKfiiiPfSE_PS4_PT2_iSD_SD_
		.amdhsa_group_segment_fixed_size 17472
		.amdhsa_private_segment_fixed_size 0
		.amdhsa_kernarg_size 400
		.amdhsa_user_sgpr_count 13
		.amdhsa_user_sgpr_dispatch_ptr 0
		.amdhsa_user_sgpr_queue_ptr 0
		.amdhsa_user_sgpr_kernarg_segment_ptr 1
		.amdhsa_user_sgpr_dispatch_id 0
		.amdhsa_user_sgpr_private_segment_size 0
		.amdhsa_wavefront_size32 1
		.amdhsa_uses_dynamic_stack 0
		.amdhsa_enable_private_segment 0
		.amdhsa_system_sgpr_workgroup_id_x 1
		.amdhsa_system_sgpr_workgroup_id_y 1
		.amdhsa_system_sgpr_workgroup_id_z 1
		.amdhsa_system_sgpr_workgroup_info 0
		.amdhsa_system_vgpr_workitem_id 0
		.amdhsa_next_free_vgpr 198
		.amdhsa_next_free_sgpr 52
		.amdhsa_reserve_vcc 1
		.amdhsa_float_round_mode_32 0
		.amdhsa_float_round_mode_16_64 0
		.amdhsa_float_denorm_mode_32 3
		.amdhsa_float_denorm_mode_16_64 3
		.amdhsa_dx10_clamp 1
		.amdhsa_ieee_mode 1
		.amdhsa_fp16_overflow 0
		.amdhsa_workgroup_processor_mode 1
		.amdhsa_memory_ordered 1
		.amdhsa_forward_progress 0
		.amdhsa_shared_vgpr_count 0
		.amdhsa_exception_fp_ieee_invalid_op 0
		.amdhsa_exception_fp_denorm_src 0
		.amdhsa_exception_fp_ieee_div_zero 0
		.amdhsa_exception_fp_ieee_overflow 0
		.amdhsa_exception_fp_ieee_underflow 0
		.amdhsa_exception_fp_ieee_inexact 0
		.amdhsa_exception_int_div_zero 0
	.end_amdhsa_kernel
	.section	.text._Z39paged_attention_ll4mi_QKV_mfma16_kernelI14__hip_bfloat16S0_LN4vllm18Fp8KVCacheDataTypeE0ES0_Li16ELi64ELi256ELb0ELi8EL8MFMAType0EEvPKT_PKT0_S9_ifPKiSB_SB_iPKfiiiPfSE_PS4_PT2_iSD_SD_,"axG",@progbits,_Z39paged_attention_ll4mi_QKV_mfma16_kernelI14__hip_bfloat16S0_LN4vllm18Fp8KVCacheDataTypeE0ES0_Li16ELi64ELi256ELb0ELi8EL8MFMAType0EEvPKT_PKT0_S9_ifPKiSB_SB_iPKfiiiPfSE_PS4_PT2_iSD_SD_,comdat
.Lfunc_end485:
	.size	_Z39paged_attention_ll4mi_QKV_mfma16_kernelI14__hip_bfloat16S0_LN4vllm18Fp8KVCacheDataTypeE0ES0_Li16ELi64ELi256ELb0ELi8EL8MFMAType0EEvPKT_PKT0_S9_ifPKiSB_SB_iPKfiiiPfSE_PS4_PT2_iSD_SD_, .Lfunc_end485-_Z39paged_attention_ll4mi_QKV_mfma16_kernelI14__hip_bfloat16S0_LN4vllm18Fp8KVCacheDataTypeE0ES0_Li16ELi64ELi256ELb0ELi8EL8MFMAType0EEvPKT_PKT0_S9_ifPKiSB_SB_iPKfiiiPfSE_PS4_PT2_iSD_SD_
                                        ; -- End function
	.section	.AMDGPU.csdata,"",@progbits
; Kernel info:
; codeLenInByte = 10020
; NumSgprs: 54
; NumVgprs: 198
; ScratchSize: 0
; MemoryBound: 0
; FloatMode: 240
; IeeeMode: 1
; LDSByteSize: 17472 bytes/workgroup (compile time only)
; SGPRBlocks: 6
; VGPRBlocks: 24
; NumSGPRsForWavesPerEU: 54
; NumVGPRsForWavesPerEU: 198
; Occupancy: 7
; WaveLimiterHint : 1
; COMPUTE_PGM_RSRC2:SCRATCH_EN: 0
; COMPUTE_PGM_RSRC2:USER_SGPR: 13
; COMPUTE_PGM_RSRC2:TRAP_HANDLER: 0
; COMPUTE_PGM_RSRC2:TGID_X_EN: 1
; COMPUTE_PGM_RSRC2:TGID_Y_EN: 1
; COMPUTE_PGM_RSRC2:TGID_Z_EN: 1
; COMPUTE_PGM_RSRC2:TIDIG_COMP_CNT: 0
	.section	.text._Z39paged_attention_ll4mi_QKV_mfma16_kernelI14__hip_bfloat16S0_LN4vllm18Fp8KVCacheDataTypeE0ES0_Li16ELi64ELi256ELb0ELi9EL8MFMAType0EEvPKT_PKT0_S9_ifPKiSB_SB_iPKfiiiPfSE_PS4_PT2_iSD_SD_,"axG",@progbits,_Z39paged_attention_ll4mi_QKV_mfma16_kernelI14__hip_bfloat16S0_LN4vllm18Fp8KVCacheDataTypeE0ES0_Li16ELi64ELi256ELb0ELi9EL8MFMAType0EEvPKT_PKT0_S9_ifPKiSB_SB_iPKfiiiPfSE_PS4_PT2_iSD_SD_,comdat
	.protected	_Z39paged_attention_ll4mi_QKV_mfma16_kernelI14__hip_bfloat16S0_LN4vllm18Fp8KVCacheDataTypeE0ES0_Li16ELi64ELi256ELb0ELi9EL8MFMAType0EEvPKT_PKT0_S9_ifPKiSB_SB_iPKfiiiPfSE_PS4_PT2_iSD_SD_ ; -- Begin function _Z39paged_attention_ll4mi_QKV_mfma16_kernelI14__hip_bfloat16S0_LN4vllm18Fp8KVCacheDataTypeE0ES0_Li16ELi64ELi256ELb0ELi9EL8MFMAType0EEvPKT_PKT0_S9_ifPKiSB_SB_iPKfiiiPfSE_PS4_PT2_iSD_SD_
	.globl	_Z39paged_attention_ll4mi_QKV_mfma16_kernelI14__hip_bfloat16S0_LN4vllm18Fp8KVCacheDataTypeE0ES0_Li16ELi64ELi256ELb0ELi9EL8MFMAType0EEvPKT_PKT0_S9_ifPKiSB_SB_iPKfiiiPfSE_PS4_PT2_iSD_SD_
	.p2align	8
	.type	_Z39paged_attention_ll4mi_QKV_mfma16_kernelI14__hip_bfloat16S0_LN4vllm18Fp8KVCacheDataTypeE0ES0_Li16ELi64ELi256ELb0ELi9EL8MFMAType0EEvPKT_PKT0_S9_ifPKiSB_SB_iPKfiiiPfSE_PS4_PT2_iSD_SD_,@function
_Z39paged_attention_ll4mi_QKV_mfma16_kernelI14__hip_bfloat16S0_LN4vllm18Fp8KVCacheDataTypeE0ES0_Li16ELi64ELi256ELb0ELi9EL8MFMAType0EEvPKT_PKT0_S9_ifPKiSB_SB_iPKfiiiPfSE_PS4_PT2_iSD_SD_: ; @_Z39paged_attention_ll4mi_QKV_mfma16_kernelI14__hip_bfloat16S0_LN4vllm18Fp8KVCacheDataTypeE0ES0_Li16ELi64ELi256ELb0ELi9EL8MFMAType0EEvPKT_PKT0_S9_ifPKiSB_SB_iPKfiiiPfSE_PS4_PT2_iSD_SD_
; %bb.0:
	s_load_b64 s[2:3], s[0:1], 0x30
	s_mov_b32 s34, s13
	s_waitcnt lgkmcnt(0)
	s_cmp_lg_u64 s[2:3], 0
	s_cselect_b32 s6, -1, 0
	s_ashr_i32 s35, s13, 31
	s_cmp_eq_u64 s[2:3], 0
	s_cbranch_scc1 .LBB486_3
; %bb.1:
	s_lshl_b64 s[4:5], s[34:35], 2
	s_delay_alu instid0(SALU_CYCLE_1) | instskip(SKIP_4) | instid1(SALU_CYCLE_1)
	s_add_u32 s4, s2, s4
	s_addc_u32 s5, s3, s5
	s_load_b64 s[4:5], s[4:5], 0x0
	s_waitcnt lgkmcnt(0)
	s_sub_i32 s4, s5, s4
	s_cmp_eq_u32 s4, 1
	s_cselect_b32 s4, -1, 0
	s_delay_alu instid0(SALU_CYCLE_1)
	s_and_not1_b32 vcc_lo, exec_lo, s4
	s_cbranch_vccz .LBB486_4
.LBB486_2:
	s_nop 0
	s_sendmsg sendmsg(MSG_DEALLOC_VGPRS)
	s_endpgm
.LBB486_3:
.LBB486_4:
	s_load_b64 s[8:9], s[0:1], 0x28
	s_lshl_b64 s[4:5], s[34:35], 2
	s_waitcnt lgkmcnt(0)
	s_add_u32 s8, s8, s4
	s_addc_u32 s9, s9, s5
	s_lshl_b32 s33, s14, 8
	s_load_b32 s30, s[8:9], 0x0
	s_waitcnt lgkmcnt(0)
	s_cmp_ge_i32 s33, s30
	s_cbranch_scc1 .LBB486_2
; %bb.5:
	s_clause 0x1
	s_load_b128 s[8:11], s[0:1], 0x8
	s_load_b64 s[12:13], s[0:1], 0x20
	s_and_not1_b32 vcc_lo, exec_lo, s6
	s_cbranch_vccnz .LBB486_7
; %bb.6:
	s_add_u32 s2, s2, s4
	s_addc_u32 s3, s3, s5
	s_load_b32 s3, s[2:3], 0x0
	s_branch .LBB486_8
.LBB486_7:
	s_mov_b32 s3, s34
.LBB486_8:
	s_load_b128 s[4:7], s[0:1], 0x48
	v_lshrrev_b32_e32 v149, 5, v0
	v_bfe_u32 v146, v0, 4, 1
	v_and_b32_e32 v148, 15, v0
	v_and_b32_e32 v150, 31, v0
	;; [unrolled: 1-line block ×3, first 2 shown]
	s_mul_i32 s31, s15, 9
	v_lshl_or_b32 v1, v149, 1, v146
	v_lshlrev_b32_e32 v2, 3, v148
	v_cmp_gt_u32_e64 s2, 8, v148
	s_delay_alu instid0(VALU_DEP_3) | instskip(NEXT) | instid1(VALU_DEP_3)
	v_cmp_gt_u32_e32 vcc_lo, 9, v1
	v_lshlrev_b32_e32 v145, 1, v2
	s_delay_alu instid0(VALU_DEP_3)
	s_and_b32 s16, s2, vcc_lo
	s_waitcnt lgkmcnt(0)
	s_and_saveexec_b32 s7, s16
	s_cbranch_execz .LBB486_10
; %bb.9:
	s_load_b64 s[16:17], s[0:1], 0x0
	v_add_lshl_u32 v2, v1, s31, 6
	s_mul_hi_i32 s19, s3, s4
	s_mul_i32 s18, s3, s4
	v_lshlrev_b32_e32 v6, 10, v148
	s_lshl_b64 s[18:19], s[18:19], 1
	v_ashrrev_i32_e32 v3, 31, v2
	v_lshlrev_b32_e32 v1, 6, v1
	v_lshlrev_b32_e32 v7, 10, v147
	v_and_b32_e32 v6, 0x3800, v6
	s_delay_alu instid0(VALU_DEP_4) | instskip(NEXT) | instid1(VALU_DEP_2)
	v_lshlrev_b64 v[2:3], 1, v[2:3]
	v_or3_b32 v1, v6, v7, v1
	s_waitcnt lgkmcnt(0)
	s_add_u32 s3, s16, s18
	s_addc_u32 s4, s17, s19
	s_delay_alu instid0(VALU_DEP_2) | instskip(SKIP_1) | instid1(VALU_DEP_2)
	v_add_co_u32 v2, vcc_lo, s3, v2
	v_add_co_ci_u32_e32 v3, vcc_lo, s4, v3, vcc_lo
	v_add_co_u32 v2, vcc_lo, v2, v145
	s_delay_alu instid0(VALU_DEP_2)
	v_add_co_ci_u32_e32 v3, vcc_lo, 0, v3, vcc_lo
	global_load_b128 v[2:5], v[2:3], off
	s_waitcnt vmcnt(0)
	ds_store_b128 v1, v[2:5]
.LBB486_10:
	s_or_b32 exec_lo, exec_lo, s7
	s_mov_b32 s40, 0
	s_add_i32 s3, s30, 15
	s_mov_b32 s41, s40
	s_mov_b32 s42, s40
	;; [unrolled: 1-line block ×7, first 2 shown]
	s_delay_alu instid0(SALU_CYCLE_1)
	v_dual_mov_b32 v144, s47 :: v_dual_and_b32 v1, 0xef, v0
	v_mov_b32_e32 v142, s45
	s_ashr_i32 s7, s3, 31
	s_clause 0x1
	s_load_b32 s4, s[0:1], 0x38
	s_load_b32 s35, s[0:1], 0x1c
	v_add_nc_u32_e32 v1, s33, v1
	s_lshr_b32 s7, s7, 28
	s_waitcnt lgkmcnt(0)
	s_add_i32 s3, s3, s7
	s_barrier
	v_ashrrev_i32_e32 v2, 31, v1
	v_or_b32_e32 v3, 16, v1
	s_ashr_i32 s3, s3, 4
	v_cmp_gt_i32_e32 vcc_lo, s30, v1
	s_add_i32 s3, s3, -1
	v_lshrrev_b32_e32 v2, 28, v2
	v_mov_b32_e32 v143, s46
	buffer_gl0_inv
	s_mul_i32 s6, s15, s6
	v_add_nc_u32_e32 v21, -9, v148
	v_dual_mov_b32 v141, s44 :: v_dual_add_nc_u32 v4, v1, v2
	v_mov_b32_e32 v139, s42
	s_mul_i32 s16, s34, s4
	v_mov_b32_e32 v137, s40
	s_delay_alu instid0(VALU_DEP_3)
	v_ashrrev_i32_e32 v4, 4, v4
	v_add_nc_u32_e32 v2, v3, v2
	v_lshlrev_b32_e32 v22, 5, v148
	s_ashr_i32 s17, s16, 31
	v_mov_b32_e32 v140, s43
	v_cndmask_b32_e32 v1, s3, v4, vcc_lo
	v_ashrrev_i32_e32 v2, 4, v2
	v_cmp_gt_i32_e32 vcc_lo, s30, v3
	s_lshl_b64 s[16:17], s[16:17], 2
	v_lshl_or_b32 v22, v149, 9, v22
	s_add_u32 s4, s12, s16
	s_addc_u32 s36, s13, s17
	v_cndmask_b32_e32 v3, s3, v2, vcc_lo
	v_ashrrev_i32_e32 v2, 31, v1
	s_ashr_i32 s7, s6, 31
	v_mov_b32_e32 v138, s41
	s_lshl_b64 s[6:7], s[6:7], 1
	v_ashrrev_i32_e32 v4, 31, v3
	v_lshlrev_b64 v[1:2], 2, v[1:2]
	s_add_u32 s24, s8, s6
	s_addc_u32 s25, s9, s7
	s_lshl_b32 s8, s14, 4
	v_lshlrev_b64 v[3:4], 2, v[3:4]
	s_ashr_i32 s9, s8, 31
	v_add_co_u32 v1, vcc_lo, s4, v1
	v_add_co_ci_u32_e32 v2, vcc_lo, s36, v2, vcc_lo
	s_delay_alu instid0(VALU_DEP_3) | instskip(NEXT) | instid1(VALU_DEP_4)
	v_add_co_u32 v3, vcc_lo, s4, v3
	v_add_co_ci_u32_e32 v4, vcc_lo, s36, v4, vcc_lo
	s_clause 0x1
	global_load_b32 v5, v[1:2], off
	global_load_b32 v6, v[3:4], off
	s_lshl_b64 s[8:9], s[8:9], 2
	v_lshlrev_b32_e32 v3, 4, v0
	s_add_u32 s8, s4, s8
	s_addc_u32 s9, s36, s9
	s_or_b32 s12, s33, 16
	s_delay_alu instid0(SALU_CYCLE_1) | instskip(SKIP_2) | instid1(SALU_CYCLE_1)
	s_ashr_i32 s13, s12, 4
	s_cmp_lt_i32 s12, s30
	s_cselect_b32 s12, s13, s3
	s_ashr_i32 s13, s12, 31
	s_delay_alu instid0(SALU_CYCLE_1) | instskip(NEXT) | instid1(SALU_CYCLE_1)
	s_lshl_b64 s[12:13], s[12:13], 2
	s_add_u32 s12, s4, s12
	s_addc_u32 s13, s36, s13
	s_or_b32 s15, s33, 32
	s_delay_alu instid0(SALU_CYCLE_1) | instskip(SKIP_2) | instid1(SALU_CYCLE_1)
	s_ashr_i32 s16, s15, 4
	s_cmp_lt_i32 s15, s30
	s_cselect_b32 s16, s16, s3
	s_ashr_i32 s17, s16, 31
	s_delay_alu instid0(SALU_CYCLE_1) | instskip(NEXT) | instid1(SALU_CYCLE_1)
	s_lshl_b64 s[16:17], s[16:17], 2
	;; [unrolled: 10-line block ×5, first 2 shown]
	s_add_u32 s22, s4, s22
	s_addc_u32 s23, s36, s23
	s_clause 0x5
	s_load_b32 s8, s[8:9], 0x0
	s_load_b32 s12, s[12:13], 0x0
	;; [unrolled: 1-line block ×6, first 2 shown]
	s_waitcnt lgkmcnt(0)
	s_mul_hi_i32 s17, s16, s5
	s_mul_i32 s16, s16, s5
	s_waitcnt vmcnt(1)
	v_mad_i64_i32 v[1:2], null, v5, s5, 0
	v_and_b32_e32 v5, 0xf0, v3
	s_waitcnt vmcnt(0)
	v_mad_i64_i32 v[3:4], null, v6, s5, 0
	s_delay_alu instid0(VALU_DEP_2) | instskip(NEXT) | instid1(VALU_DEP_4)
	v_add_co_u32 v5, s9, s24, v5
	v_lshlrev_b64 v[1:2], 1, v[1:2]
	v_add_co_ci_u32_e64 v6, null, s25, 0, s9
	s_delay_alu instid0(VALU_DEP_4) | instskip(SKIP_1) | instid1(VALU_DEP_3)
	v_lshlrev_b64 v[3:4], 1, v[3:4]
	s_or_b32 s9, s33, 0x60
	v_add_co_u32 v19, vcc_lo, v5, v1
	s_delay_alu instid0(VALU_DEP_3) | instskip(NEXT) | instid1(VALU_DEP_3)
	v_add_co_ci_u32_e32 v20, vcc_lo, v6, v2, vcc_lo
	v_add_co_u32 v17, vcc_lo, v5, v3
	s_delay_alu instid0(VALU_DEP_4)
	v_add_co_ci_u32_e32 v18, vcc_lo, v6, v4, vcc_lo
	s_clause 0x9
	global_load_b128 v[1:4], v[19:20], off
	global_load_b128 v[5:8], v[19:20], off offset:256
	global_load_b128 v[129:132], v[17:18], off
	global_load_b128 v[133:136], v[17:18], off offset:256
	global_load_b128 v[33:36], v[19:20], off offset:512
	;; [unrolled: 1-line block ×7, first 2 shown]
	v_cmp_gt_u32_e32 vcc_lo, 9, v148
	s_clause 0x1
	global_load_b128 v[151:154], v[17:18], off offset:1024
	global_load_b128 v[155:158], v[17:18], off offset:1280
	s_ashr_i32 s13, s9, 4
	s_cmp_lt_i32 s9, s30
	v_cndmask_b32_e32 v21, v21, v148, vcc_lo
	s_cselect_b32 s22, s13, s3
	s_delay_alu instid0(SALU_CYCLE_1) | instskip(NEXT) | instid1(VALU_DEP_1)
	s_ashr_i32 s23, s22, 31
	v_lshlrev_b32_e32 v197, 6, v21
	ds_load_b128 v[159:162], v197
	ds_load_b128 v[163:166], v197 offset:1024
	s_clause 0x3
	global_load_b128 v[167:170], v[19:20], off offset:1536
	global_load_b128 v[171:174], v[19:20], off offset:1792
	;; [unrolled: 1-line block ×4, first 2 shown]
	s_lshl_b64 s[22:23], s[22:23], 2
	s_delay_alu instid0(SALU_CYCLE_1) | instskip(SKIP_2) | instid1(SALU_CYCLE_1)
	s_add_u32 s22, s4, s22
	s_addc_u32 s23, s36, s23
	s_or_b32 s9, s33, 0x70
	s_ashr_i32 s13, s9, 4
	s_cmp_lt_i32 s9, s30
	s_cselect_b32 s24, s13, s3
	s_delay_alu instid0(SALU_CYCLE_1) | instskip(NEXT) | instid1(SALU_CYCLE_1)
	s_ashr_i32 s25, s24, 31
	s_lshl_b64 s[24:25], s[24:25], 2
	s_delay_alu instid0(SALU_CYCLE_1)
	s_add_u32 s24, s4, s24
	s_addc_u32 s25, s36, s25
	s_or_b32 s9, s33, 0x80
	s_load_b32 s46, s[24:25], 0x0
	s_ashr_i32 s13, s9, 4
	s_cmp_lt_i32 s9, s30
	s_cselect_b32 s26, s13, s3
	s_delay_alu instid0(SALU_CYCLE_1) | instskip(NEXT) | instid1(SALU_CYCLE_1)
	s_ashr_i32 s27, s26, 31
	s_lshl_b64 s[26:27], s[26:27], 2
	s_delay_alu instid0(SALU_CYCLE_1)
	s_add_u32 s26, s4, s26
	s_addc_u32 s27, s36, s27
	s_or_b32 s9, s33, 0x90
	s_load_b32 s47, s[26:27], 0x0
	s_ashr_i32 s13, s9, 4
	s_cmp_lt_i32 s9, s30
	s_cselect_b32 s28, s13, s3
	s_delay_alu instid0(SALU_CYCLE_1) | instskip(NEXT) | instid1(SALU_CYCLE_1)
	s_ashr_i32 s29, s28, 31
	s_lshl_b64 s[28:29], s[28:29], 2
	s_delay_alu instid0(SALU_CYCLE_1) | instskip(SKIP_2) | instid1(SALU_CYCLE_1)
	s_add_u32 s28, s4, s28
	s_addc_u32 s29, s36, s29
	s_or_b32 s9, s33, 0xa0
	s_ashr_i32 s13, s9, 4
	s_cmp_lt_i32 s9, s30
	s_cselect_b32 s38, s13, s3
	s_delay_alu instid0(SALU_CYCLE_1) | instskip(NEXT) | instid1(SALU_CYCLE_1)
	s_ashr_i32 s39, s38, 31
	s_lshl_b64 s[38:39], s[38:39], 2
	s_delay_alu instid0(SALU_CYCLE_1)
	s_add_u32 s38, s4, s38
	s_addc_u32 s39, s36, s39
	s_or_b32 s9, s33, 0xb0
	s_load_b32 s39, s[38:39], 0x0
	s_ashr_i32 s13, s9, 4
	s_cmp_lt_i32 s9, s30
	s_mul_hi_i32 s9, s8, s5
	s_cselect_b32 s40, s13, s3
	s_mul_i32 s8, s8, s5
	s_ashr_i32 s41, s40, 31
	s_mul_hi_i32 s13, s12, s5
	s_lshl_b64 s[40:41], s[40:41], 2
	s_mul_i32 s12, s12, s5
	s_add_u32 s42, s4, s40
	s_addc_u32 s43, s36, s41
	s_or_b32 s19, s33, 0xc0
	s_delay_alu instid0(SALU_CYCLE_1)
	s_ashr_i32 s21, s19, 4
	s_cmp_lt_i32 s19, s30
	s_mul_hi_i32 s19, s18, s5
	s_cselect_b32 s40, s21, s3
	s_mul_i32 s18, s18, s5
	s_ashr_i32 s41, s40, 31
	s_mul_hi_i32 s21, s20, s5
	s_lshl_b64 s[40:41], s[40:41], 2
	s_mul_i32 s20, s20, s5
	s_add_u32 s44, s4, s40
	s_load_b32 s40, s[28:29], 0x0
	s_addc_u32 s45, s36, s41
	s_or_b32 s37, s33, 0xd0
	s_load_b32 s41, s[22:23], 0x0
	s_ashr_i32 s22, s37, 4
	s_cmp_lt_i32 s37, s30
	s_mul_hi_i32 s23, s15, s5
	s_cselect_b32 s24, s22, s3
	s_mul_i32 s22, s15, s5
	s_ashr_i32 s25, s24, 31
	s_waitcnt lgkmcnt(0)
	s_mul_hi_i32 s27, s46, s5
	s_lshl_b64 s[24:25], s[24:25], 2
	s_mul_i32 s26, s46, s5
	s_add_u32 s24, s4, s24
	s_addc_u32 s25, s36, s25
	s_or_b32 s48, s33, 0xe0
	s_clause 0x2
	s_load_b32 s38, s[42:43], 0x0
	s_load_b32 s37, s[44:45], 0x0
	s_load_b32 s15, s[24:25], 0x0
	s_ashr_i32 s49, s48, 4
	s_cmp_lt_i32 s48, s30
	s_mul_hi_i32 s29, s47, s5
	s_cselect_b32 s42, s49, s3
	s_mul_i32 s28, s47, s5
	s_ashr_i32 s43, s42, 31
	s_mul_hi_i32 s25, s41, s5
	s_lshl_b64 s[42:43], s[42:43], 2
	s_mul_i32 s24, s41, s5
	s_add_u32 s42, s4, s42
	s_addc_u32 s43, s36, s43
	s_or_b32 s46, s33, 0xf0
	s_mul_hi_i32 s41, s40, s5
	s_ashr_i32 s47, s46, 4
	s_cmp_lt_i32 s46, s30
	s_mul_i32 s40, s40, s5
	s_cselect_b32 s46, s47, s3
	s_mul_hi_i32 s45, s39, s5
	s_ashr_i32 s47, s46, 31
	s_mul_i32 s44, s39, s5
	s_lshl_b64 s[46:47], s[46:47], 2
	s_waitcnt lgkmcnt(0)
	s_mul_hi_i32 s39, s38, s5
	s_add_u32 s46, s4, s46
	s_addc_u32 s47, s36, s47
	s_add_u32 s3, s10, s6
	s_addc_u32 s4, s11, s7
	v_add_co_u32 v195, s3, s3, v22
	s_delay_alu instid0(VALU_DEP_1) | instskip(SKIP_2) | instid1(VALU_DEP_2)
	v_add_co_ci_u32_e64 v196, null, s4, 0, s3
	s_lshl_b64 s[6:7], s[8:9], 1
	s_lshl_b64 s[8:9], s[12:13], 1
	v_add_co_u32 v17, vcc_lo, v195, s6
	s_delay_alu instid0(VALU_DEP_2)
	v_add_co_ci_u32_e32 v18, vcc_lo, s7, v196, vcc_lo
	v_add_co_u32 v19, vcc_lo, v195, s8
	s_lshl_b64 s[10:11], s[16:17], 1
	v_add_co_ci_u32_e32 v20, vcc_lo, s9, v196, vcc_lo
	v_add_co_u32 v21, vcc_lo, v195, s10
	s_lshl_b64 s[12:13], s[18:19], 1
	;; [unrolled: 3-line block ×9, first 2 shown]
	s_mul_i32 s38, s38, s5
	v_add_co_ci_u32_e32 v54, vcc_lo, s27, v196, vcc_lo
	v_add_co_u32 v183, vcc_lo, v195, s28
	s_mul_hi_i32 s49, s37, s5
	s_mul_i32 s48, s37, s5
	s_lshl_b64 s[36:37], s[38:39], 1
	v_add_co_ci_u32_e32 v184, vcc_lo, s29, v196, vcc_lo
	v_add_co_u32 v185, vcc_lo, v195, s36
	s_lshl_b64 s[38:39], s[48:49], 1
	s_clause 0x1
	s_load_b32 s3, s[42:43], 0x0
	s_load_b32 s4, s[46:47], 0x0
	v_add_co_ci_u32_e32 v186, vcc_lo, s37, v196, vcc_lo
	v_add_co_u32 v191, vcc_lo, v195, s38
	v_add_co_ci_u32_e32 v192, vcc_lo, s39, v196, vcc_lo
	s_clause 0x17
	global_load_b128 v[121:124], v[17:18], off
	global_load_b128 v[125:128], v[17:18], off offset:16
	global_load_b128 v[113:116], v[19:20], off
	global_load_b128 v[117:120], v[19:20], off offset:16
	;; [unrolled: 2-line block ×12, first 2 shown]
	s_mul_hi_i32 s51, s15, s5
	s_mul_i32 s50, s15, s5
	s_delay_alu instid0(SALU_CYCLE_1) | instskip(NEXT) | instid1(SALU_CYCLE_1)
	s_lshl_b64 s[40:41], s[50:51], 1
	v_add_co_u32 v193, vcc_lo, v195, s40
	v_add_co_ci_u32_e32 v194, vcc_lo, s41, v196, vcc_lo
	s_waitcnt lgkmcnt(0)
	s_mul_hi_i32 s7, s3, s5
	s_mul_i32 s6, s3, s5
	s_mul_hi_i32 s9, s4, s5
	s_lshl_b64 s[6:7], s[6:7], 1
	s_mul_i32 s8, s4, s5
	s_delay_alu instid0(SALU_CYCLE_1)
	s_lshl_b64 s[4:5], s[8:9], 1
	s_waitcnt vmcnt(38)
	v_wmma_f32_16x16x16_bf16 v[183:190], v[1:8], v[159:166], v[137:144]
	s_waitcnt vmcnt(36)
	v_wmma_f32_16x16x16_bf16 v[137:144], v[129:136], v[159:166], v[137:144]
	s_clause 0x1
	global_load_b128 v[1:4], v[191:192], off
	global_load_b128 v[5:8], v[191:192], off offset:16
	ds_load_b128 v[129:132], v197 offset:2048
	ds_load_b128 v[133:136], v197 offset:3072
	;; [unrolled: 1-line block ×4, first 2 shown]
	v_add_co_u32 v191, vcc_lo, v195, s6
	v_add_co_ci_u32_e32 v192, vcc_lo, s7, v196, vcc_lo
	v_add_co_u32 v195, vcc_lo, v195, s4
	v_add_co_ci_u32_e32 v196, vcc_lo, s5, v196, vcc_lo
	s_waitcnt vmcnt(36) lgkmcnt(2)
	v_wmma_f32_16x16x16_bf16 v[183:190], v[33:40], v[129:136], v[183:190]
	s_waitcnt vmcnt(34)
	v_wmma_f32_16x16x16_bf16 v[137:144], v[25:32], v[129:136], v[137:144]
	s_clause 0x3
	global_load_b128 v[25:28], v[193:194], off
	global_load_b128 v[29:32], v[193:194], off offset:16
	global_load_b128 v[33:36], v[191:192], off
	global_load_b128 v[37:40], v[191:192], off offset:16
	v_and_b32_e32 v129, 0xe0, v0
	v_mbcnt_lo_u32_b32 v191, -1, 0
	s_waitcnt vmcnt(36) lgkmcnt(0)
	v_wmma_f32_16x16x16_bf16 v[183:190], v[9:16], v[159:166], v[183:190]
	s_clause 0x1
	global_load_b128 v[9:12], v[195:196], off
	global_load_b128 v[13:16], v[195:196], off offset:16
	s_waitcnt vmcnt(36)
	v_wmma_f32_16x16x16_bf16 v[137:144], v[151:158], v[159:166], v[137:144]
	v_add_nc_u32_e32 v192, s33, v129
	ds_load_b128 v[129:132], v197 offset:6144
	ds_load_b128 v[133:136], v197 offset:7168
	v_xor_b32_e32 v151, 16, v191
	s_waitcnt vmcnt(0) lgkmcnt(0)
	s_barrier
	v_or_b32_e32 v152, v192, v146
	buffer_gl0_inv
	v_cmp_gt_i32_e32 vcc_lo, 32, v151
	v_or_b32_e32 v153, 2, v152
	v_or_b32_e32 v154, 4, v152
	;; [unrolled: 1-line block ×5, first 2 shown]
	v_cmp_gt_i32_e64 s3, s30, v153
	v_cmp_gt_i32_e64 s4, s30, v154
	;; [unrolled: 1-line block ×3, first 2 shown]
	v_or_b32_e32 v158, 12, v152
	v_or_b32_e32 v159, 14, v152
	v_cmp_gt_i32_e64 s6, s30, v156
	v_wmma_f32_16x16x16_bf16 v[183:190], v[167:174], v[129:136], v[183:190]
	v_wmma_f32_16x16x16_bf16 v[137:144], v[175:182], v[129:136], v[137:144]
	v_cndmask_b32_e32 v151, v191, v151, vcc_lo
	v_cmp_gt_i32_e32 vcc_lo, s30, v152
	v_cmp_gt_i32_e64 s7, s30, v157
	v_dual_mul_f32 v135, s35, v184 :: v_dual_mul_f32 v136, s35, v183
	v_dual_mul_f32 v133, s35, v186 :: v_dual_mul_f32 v134, s35, v185
	;; [unrolled: 1-line block ×3, first 2 shown]
	s_delay_alu instid0(VALU_DEP_3) | instskip(NEXT) | instid1(VALU_DEP_4)
	v_cndmask_b32_e32 v136, 0xff7fffff, v136, vcc_lo
	v_cndmask_b32_e64 v135, 0xff7fffff, v135, s3
	v_mul_f32_e32 v132, s35, v187
	v_cndmask_b32_e64 v134, 0xff7fffff, v134, s4
	v_cndmask_b32_e64 v133, 0xff7fffff, v133, s5
	v_or_b32_e32 v160, 16, v152
	v_max3_f32 v135, v136, 0xff7fffff, v135
	v_or_b32_e32 v161, 18, v152
	v_mul_f32_e32 v130, s35, v189
	v_dual_mul_f32 v172, s35, v140 :: v_dual_mul_f32 v129, s35, v190
	v_cndmask_b32_e64 v132, 0xff7fffff, v132, s6
	v_cndmask_b32_e64 v131, 0xff7fffff, v131, s7
	v_max3_f32 v133, v135, v134, v133
	v_cmp_gt_i32_e64 s8, s30, v158
	v_lshlrev_b32_e32 v158, 2, v151
	v_cmp_gt_i32_e64 s9, s30, v159
	v_or_b32_e32 v162, 20, v152
	v_or_b32_e32 v163, 22, v152
	v_mul_f32_e32 v175, s35, v137
	v_cndmask_b32_e64 v130, 0xff7fffff, v130, s8
	v_cndmask_b32_e64 v129, 0xff7fffff, v129, s9
	v_max3_f32 v131, v133, v132, v131
	v_cmp_gt_i32_e64 s10, s30, v160
	v_cmp_gt_i32_e64 s11, s30, v161
	v_or_b32_e32 v164, 24, v152
	v_or_b32_e32 v165, 26, v152
	v_mul_f32_e32 v173, s35, v139
	v_cndmask_b32_e64 v132, 0xff7fffff, v175, s10
	v_cndmask_b32_e64 v133, 0xff7fffff, v174, s11
	v_max3_f32 v129, v131, v130, v129
	v_cmp_gt_i32_e64 s12, s30, v162
	v_cmp_gt_i32_e64 s13, s30, v163
	v_or_b32_e32 v166, 28, v152
	v_or_b32_e32 v167, 30, v152
	v_dual_mul_f32 v170, s35, v142 :: v_dual_mul_f32 v171, s35, v141
	v_cndmask_b32_e64 v130, 0xff7fffff, v173, s12
	v_cndmask_b32_e64 v131, 0xff7fffff, v172, s13
	v_max3_f32 v129, v129, v132, v133
	v_cmp_gt_i32_e64 s15, s30, v164
	v_cmp_gt_i32_e64 s16, s30, v165
	v_dual_mul_f32 v168, s35, v144 :: v_dual_mul_f32 v169, s35, v143
	s_delay_alu instid0(VALU_DEP_4) | instskip(NEXT) | instid1(VALU_DEP_4)
	v_max3_f32 v129, v129, v130, v131
	v_cndmask_b32_e64 v132, 0xff7fffff, v171, s15
	s_delay_alu instid0(VALU_DEP_4) | instskip(SKIP_2) | instid1(VALU_DEP_3)
	v_cndmask_b32_e64 v133, 0xff7fffff, v170, s16
	v_cmp_gt_i32_e64 s17, s30, v166
	v_cmp_gt_i32_e64 s18, s30, v167
	v_max3_f32 v129, v129, v132, v133
	s_delay_alu instid0(VALU_DEP_3) | instskip(NEXT) | instid1(VALU_DEP_3)
	v_cndmask_b32_e64 v130, 0xff7fffff, v169, s17
	v_cndmask_b32_e64 v131, 0xff7fffff, v168, s18
	s_delay_alu instid0(VALU_DEP_1) | instskip(SKIP_3) | instid1(VALU_DEP_1)
	v_max3_f32 v129, v129, v130, v131
	ds_bpermute_b32 v130, v158, v129
	s_waitcnt lgkmcnt(0)
	v_max_f32_e32 v130, v130, v130
	v_max_f32_e32 v129, v129, v130
	s_delay_alu instid0(VALU_DEP_1)
	v_fma_f32 v130, s35, v183, -v129
	v_fma_f32 v132, s35, v185, -v129
	;; [unrolled: 1-line block ×5, first 2 shown]
	v_mul_f32_e32 v130, 0x3fb8aa3b, v130
	v_mul_f32_e32 v132, 0x3fb8aa3b, v132
	;; [unrolled: 1-line block ×3, first 2 shown]
	v_fma_f32 v135, s35, v189, -v129
	s_delay_alu instid0(VALU_DEP_4) | instskip(NEXT) | instid1(VALU_DEP_3)
	v_exp_f32_e32 v130, v130
	v_exp_f32_e32 v132, v132
	s_delay_alu instid0(VALU_DEP_2) | instskip(NEXT) | instid1(TRANS32_DEP_3)
	v_exp_f32_e32 v134, v134
	v_cndmask_b32_e32 v152, 0, v130, vcc_lo
	v_fma_f32 v130, s35, v188, -v129
	s_waitcnt_depctr 0xfff
	v_cndmask_b32_e64 v153, 0, v132, s4
	v_fma_f32 v132, s35, v190, -v129
	v_mul_f32_e32 v131, 0x3fb8aa3b, v131
	v_cndmask_b32_e64 v155, 0, v134, s6
	v_dual_mul_f32 v130, 0x3fb8aa3b, v130 :: v_dual_mul_f32 v133, 0x3fb8aa3b, v133
	s_delay_alu instid0(VALU_DEP_4) | instskip(NEXT) | instid1(VALU_DEP_4)
	v_mul_f32_e32 v132, 0x3fb8aa3b, v132
	v_exp_f32_e32 v131, v131
	v_fma_f32 v134, s35, v138, -v129
	s_delay_alu instid0(VALU_DEP_3) | instskip(SKIP_2) | instid1(VALU_DEP_1)
	v_exp_f32_e32 v130, v130
	v_exp_f32_e32 v133, v133
	;; [unrolled: 1-line block ×3, first 2 shown]
	v_mul_f32_e32 v134, 0x3fb8aa3b, v134
	v_cndmask_b32_e64 v151, 0, v131, s3
	v_add_f32_e32 v131, 0, v152
	s_delay_alu instid0(TRANS32_DEP_3)
	v_cndmask_b32_e64 v156, 0, v130, s7
	s_waitcnt_depctr 0xfff
	v_cndmask_b32_e64 v154, 0, v133, s5
	v_fma_f32 v133, s35, v137, -v129
	v_exp_f32_e32 v134, v134
	v_add_f32_e32 v131, v131, v151
	v_cmp_gt_u32_e64 s3, 16, v150
	s_delay_alu instid0(VALU_DEP_2) | instskip(NEXT) | instid1(VALU_DEP_1)
	v_add_f32_e32 v131, v131, v153
	v_add_f32_e32 v131, v131, v154
	s_delay_alu instid0(VALU_DEP_1) | instskip(SKIP_2) | instid1(VALU_DEP_3)
	v_add_f32_e32 v130, v131, v155
	v_fma_f32 v131, s35, v139, -v129
	v_fma_f32 v139, s35, v144, -v129
	v_dual_add_f32 v130, v130, v156 :: v_dual_mul_f32 v135, 0x3fb8aa3b, v135
	s_delay_alu instid0(VALU_DEP_1)
	v_exp_f32_e32 v135, v135
	s_waitcnt_depctr 0xfff
	v_cndmask_b32_e64 v157, 0, v135, s8
	v_fma_f32 v135, s35, v140, -v129
	v_cndmask_b32_e64 v140, 0, v132, s9
	v_fma_f32 v132, s35, v141, -v129
	s_delay_alu instid0(VALU_DEP_1) | instskip(SKIP_1) | instid1(VALU_DEP_2)
	v_dual_add_f32 v130, v130, v157 :: v_dual_mul_f32 v137, 0x3fb8aa3b, v132
	v_cndmask_b32_e64 v132, 0, v134, s11
	v_dual_add_f32 v130, v130, v140 :: v_dual_mul_f32 v133, 0x3fb8aa3b, v133
	v_mul_f32_e32 v131, 0x3fb8aa3b, v131
	v_fma_f32 v134, s35, v143, -v129
	v_mul_f32_e32 v135, 0x3fb8aa3b, v135
	s_delay_alu instid0(VALU_DEP_4) | instskip(NEXT) | instid1(VALU_DEP_3)
	v_exp_f32_e32 v133, v133
	v_exp_f32_e32 v136, v131
	s_waitcnt_depctr 0xfff
	v_cndmask_b32_e64 v131, 0, v133, s10
	v_fma_f32 v133, s35, v142, -v129
	s_delay_alu instid0(VALU_DEP_2) | instskip(NEXT) | instid1(VALU_DEP_2)
	v_add_f32_e32 v130, v130, v131
	v_mul_f32_e32 v138, 0x3fb8aa3b, v133
	v_cndmask_b32_e64 v133, 0, v136, s12
	v_mul_f32_e32 v136, 0x3fb8aa3b, v134
	v_exp_f32_e32 v135, v135
	v_add_f32_e32 v130, v130, v132
	v_exp_f32_e32 v138, v138
	s_delay_alu instid0(VALU_DEP_2) | instskip(NEXT) | instid1(VALU_DEP_1)
	v_exp_f32_e32 v141, v136
	v_add_f32_e32 v130, v130, v133
	v_exp_f32_e32 v137, v137
	v_cndmask_b32_e64 v134, 0, v135, s13
	s_delay_alu instid0(TRANS32_DEP_3) | instskip(NEXT) | instid1(VALU_DEP_2)
	v_cndmask_b32_e64 v136, 0, v138, s16
	v_add_f32_e32 v130, v130, v134
	s_waitcnt_depctr 0xfff
	v_cndmask_b32_e64 v135, 0, v137, s15
	v_mul_f32_e32 v137, 0x3fb8aa3b, v139
	s_delay_alu instid0(VALU_DEP_2) | instskip(NEXT) | instid1(VALU_DEP_2)
	v_add_f32_e32 v130, v130, v135
	v_exp_f32_e32 v138, v137
	v_cndmask_b32_e64 v137, 0, v141, s17
	s_delay_alu instid0(VALU_DEP_2) | instskip(NEXT) | instid1(VALU_DEP_1)
	v_add_f32_e32 v130, v130, v136
	v_add_f32_e32 v130, v130, v137
	s_waitcnt_depctr 0xfff
	v_cndmask_b32_e64 v138, 0, v138, s18
	s_delay_alu instid0(VALU_DEP_1)
	v_add_f32_e32 v130, v130, v138
	ds_bpermute_b32 v139, v158, v130
	s_and_saveexec_b32 s4, s3
	s_cbranch_execz .LBB486_12
; %bb.11:
	v_mul_u32_u24_e32 v141, 0x44, v149
	s_delay_alu instid0(VALU_DEP_1) | instskip(SKIP_1) | instid1(VALU_DEP_1)
	v_lshl_add_u32 v141, v148, 2, v141
	s_waitcnt lgkmcnt(0)
	v_dual_add_f32 v130, v130, v139 :: v_dual_add_nc_u32 v139, 0x4000, v141
	ds_store_2addr_b32 v139, v129, v130 offset1:136
.LBB486_12:
	s_or_b32 exec_lo, exec_lo, s4
	v_lshlrev_b32_e32 v129, 2, v148
	s_waitcnt lgkmcnt(0)
	s_barrier
	buffer_gl0_inv
	v_cmp_eq_u32_e64 s4, 1, v149
	v_add_nc_u32_e32 v139, 0x4000, v129
	ds_load_2addr_b32 v[141:142], v139 offset1:17
	ds_load_2addr_b32 v[143:144], v139 offset0:34 offset1:51
	ds_load_2addr_b32 v[158:159], v139 offset0:68 offset1:85
	;; [unrolled: 1-line block ×4, first 2 shown]
	s_waitcnt lgkmcnt(4)
	v_max3_f32 v129, v141, 0xff7fffff, v142
	s_waitcnt lgkmcnt(3)
	s_delay_alu instid0(VALU_DEP_1) | instskip(SKIP_1) | instid1(VALU_DEP_1)
	v_max3_f32 v129, v129, v143, v144
	s_waitcnt lgkmcnt(2)
	v_max3_f32 v129, v129, v158, v159
	s_waitcnt lgkmcnt(1)
	s_delay_alu instid0(VALU_DEP_1) | instskip(NEXT) | instid1(VALU_DEP_1)
	v_max3_f32 v129, v129, v160, v161
	v_sub_f32_e32 v158, v158, v129
	s_delay_alu instid0(VALU_DEP_1) | instskip(NEXT) | instid1(VALU_DEP_1)
	v_dual_sub_f32 v150, v142, v129 :: v_dual_mul_f32 v167, 0x3fb8aa3b, v158
	v_dual_sub_f32 v143, v143, v129 :: v_dual_mul_f32 v150, 0x3fb8aa3b, v150
	s_delay_alu instid0(VALU_DEP_1) | instskip(NEXT) | instid1(VALU_DEP_2)
	v_dual_sub_f32 v130, v141, v129 :: v_dual_mul_f32 v165, 0x3fb8aa3b, v143
	v_exp_f32_e32 v150, v150
	s_delay_alu instid0(VALU_DEP_1) | instskip(NEXT) | instid1(VALU_DEP_2)
	v_mul_f32_e32 v130, 0x3fb8aa3b, v130
	v_exp_f32_e32 v165, v165
	s_delay_alu instid0(VALU_DEP_1) | instskip(SKIP_1) | instid1(VALU_DEP_1)
	v_exp_f32_e32 v164, v130
	v_sub_f32_e32 v130, v144, v129
	v_mul_f32_e32 v166, 0x3fb8aa3b, v130
	s_waitcnt lgkmcnt(0)
	s_waitcnt_depctr 0xfff
	v_fma_f32 v130, v164, v162, 0
	v_sub_f32_e32 v162, v159, v129
	s_delay_alu instid0(VALU_DEP_2)
	v_fmac_f32_e32 v130, v150, v163
	ds_load_2addr_b32 v[141:142], v139 offset0:170 offset1:187
	ds_load_2addr_b32 v[143:144], v139 offset0:204 offset1:221
	;; [unrolled: 1-line block ×3, first 2 shown]
	v_sub_f32_e32 v139, v160, v129
	v_exp_f32_e32 v166, v166
	v_mul_f32_e32 v160, 0x3fb8aa3b, v162
	v_exp_f32_e32 v162, v167
	v_cndmask_b32_e64 v150, v164, v150, s4
	v_mul_f32_e32 v139, 0x3fb8aa3b, v139
	v_cmp_eq_u32_e64 s4, 2, v149
	s_waitcnt lgkmcnt(0)
	s_barrier
	buffer_gl0_inv
	v_exp_f32_e32 v139, v139
	v_cndmask_b32_e64 v150, v150, v165, s4
	v_cmp_eq_u32_e64 s4, 3, v149
	v_fmac_f32_e32 v130, v165, v141
	v_sub_f32_e32 v141, v161, v129
	v_exp_f32_e32 v160, v160
	s_delay_alu instid0(VALU_DEP_3) | instskip(SKIP_1) | instid1(VALU_DEP_3)
	v_cndmask_b32_e64 v150, v150, v166, s4
	v_cmp_eq_u32_e64 s4, 4, v149
	v_dual_fmac_f32 v130, v166, v142 :: v_dual_mul_f32 v141, 0x3fb8aa3b, v141
	s_delay_alu instid0(VALU_DEP_2) | instskip(SKIP_1) | instid1(VALU_DEP_3)
	v_cndmask_b32_e64 v150, v150, v162, s4
	v_cmp_eq_u32_e64 s4, 5, v149
	v_exp_f32_e32 v141, v141
	s_delay_alu instid0(VALU_DEP_3)
	v_fmac_f32_e32 v130, v162, v143
	s_delay_alu instid0(TRANS32_DEP_2) | instid1(VALU_DEP_2)
	v_cndmask_b32_e64 v150, v150, v160, s4
	s_delay_alu instid0(VALU_DEP_2) | instskip(NEXT) | instid1(VALU_DEP_1)
	v_fmac_f32_e32 v130, v160, v144
	v_fmac_f32_e32 v130, v139, v158
	s_waitcnt_depctr 0xfff
	v_fmac_f32_e32 v130, v141, v159
	s_delay_alu instid0(VALU_DEP_1) | instskip(NEXT) | instid1(VALU_DEP_1)
	v_add_f32_e32 v142, 0x358637bd, v130
	v_div_scale_f32 v143, null, v142, v142, 1.0
	v_div_scale_f32 v159, vcc_lo, 1.0, v142, 1.0
	s_delay_alu instid0(VALU_DEP_2) | instskip(SKIP_2) | instid1(VALU_DEP_1)
	v_rcp_f32_e32 v144, v143
	s_waitcnt_depctr 0xfff
	v_fma_f32 v158, -v143, v144, 1.0
	v_fmac_f32_e32 v144, v158, v144
	s_delay_alu instid0(VALU_DEP_1) | instskip(NEXT) | instid1(VALU_DEP_1)
	v_mul_f32_e32 v158, v159, v144
	v_fma_f32 v161, -v143, v158, v159
	s_delay_alu instid0(VALU_DEP_1) | instskip(NEXT) | instid1(VALU_DEP_1)
	v_fmac_f32_e32 v158, v161, v144
	v_fma_f32 v143, -v143, v158, v159
	s_delay_alu instid0(VALU_DEP_1) | instskip(SKIP_1) | instid1(VALU_DEP_2)
	v_div_fmas_f32 v143, v143, v144, v158
	v_cmp_eq_u32_e32 vcc_lo, 6, v149
	v_div_fixup_f32 v142, v143, v142, 1.0
	v_cndmask_b32_e32 v139, v150, v139, vcc_lo
	v_cmp_eq_u32_e32 vcc_lo, 7, v149
	s_delay_alu instid0(VALU_DEP_2) | instskip(NEXT) | instid1(VALU_DEP_1)
	v_cndmask_b32_e32 v139, v139, v141, vcc_lo
	v_mul_f32_e32 v139, v139, v142
	s_delay_alu instid0(VALU_DEP_1) | instskip(SKIP_4) | instid1(VALU_DEP_4)
	v_mul_f32_e32 v153, v139, v153
	v_mul_f32_e32 v142, v139, v152
	;; [unrolled: 1-line block ×5, first 2 shown]
	v_dual_mul_f32 v152, v139, v155 :: v_dual_and_b32 v141, 0x7f800000, v142
	v_mul_f32_e32 v154, v139, v154
	v_mul_f32_e32 v144, v139, v151
	s_delay_alu instid0(VALU_DEP_3) | instskip(SKIP_1) | instid1(SALU_CYCLE_1)
	v_cmp_ne_u32_e32 vcc_lo, 0x7f800000, v141
                                        ; implicit-def: $vgpr141
	s_and_saveexec_b32 s4, vcc_lo
	s_xor_b32 s4, exec_lo, s4
; %bb.13:
	v_bfe_u32 v141, v142, 16, 1
	s_delay_alu instid0(VALU_DEP_1)
	v_add3_u32 v141, v142, v141, 0x7fff
                                        ; implicit-def: $vgpr142
; %bb.14:
	s_and_not1_saveexec_b32 s4, s4
; %bb.15:
	v_and_b32_e32 v141, 0xffff, v142
	v_or_b32_e32 v151, 0x10000, v142
	s_delay_alu instid0(VALU_DEP_2) | instskip(NEXT) | instid1(VALU_DEP_2)
	v_cmp_eq_u32_e32 vcc_lo, 0, v141
	v_cndmask_b32_e32 v141, v151, v142, vcc_lo
; %bb.16:
	s_or_b32 exec_lo, exec_lo, s4
	v_and_b32_e32 v142, 0x7f800000, v144
	s_delay_alu instid0(VALU_DEP_1) | instskip(SKIP_1) | instid1(SALU_CYCLE_1)
	v_cmp_ne_u32_e32 vcc_lo, 0x7f800000, v142
                                        ; implicit-def: $vgpr142
	s_and_saveexec_b32 s4, vcc_lo
	s_xor_b32 s4, exec_lo, s4
; %bb.17:
	v_bfe_u32 v142, v144, 16, 1
	s_delay_alu instid0(VALU_DEP_1)
	v_add3_u32 v142, v144, v142, 0x7fff
                                        ; implicit-def: $vgpr144
; %bb.18:
	s_and_not1_saveexec_b32 s4, s4
; %bb.19:
	v_and_b32_e32 v142, 0xffff, v144
	v_or_b32_e32 v151, 0x10000, v144
	s_delay_alu instid0(VALU_DEP_2) | instskip(NEXT) | instid1(VALU_DEP_2)
	v_cmp_eq_u32_e32 vcc_lo, 0, v142
	v_cndmask_b32_e32 v142, v151, v144, vcc_lo
; %bb.20:
	s_or_b32 exec_lo, exec_lo, s4
	v_and_b32_e32 v144, 0x7f800000, v153
	s_delay_alu instid0(VALU_DEP_1) | instskip(SKIP_1) | instid1(SALU_CYCLE_1)
	v_cmp_ne_u32_e32 vcc_lo, 0x7f800000, v144
                                        ; implicit-def: $vgpr144
	s_and_saveexec_b32 s4, vcc_lo
	s_xor_b32 s4, exec_lo, s4
; %bb.21:
	v_bfe_u32 v144, v153, 16, 1
	s_delay_alu instid0(VALU_DEP_1)
	v_add3_u32 v144, v153, v144, 0x7fff
                                        ; implicit-def: $vgpr153
; %bb.22:
	s_and_not1_saveexec_b32 s4, s4
; %bb.23:
	v_and_b32_e32 v144, 0xffff, v153
	v_or_b32_e32 v151, 0x10000, v153
	s_delay_alu instid0(VALU_DEP_2) | instskip(NEXT) | instid1(VALU_DEP_2)
	v_cmp_eq_u32_e32 vcc_lo, 0, v144
	v_cndmask_b32_e32 v144, v151, v153, vcc_lo
; %bb.24:
	s_or_b32 exec_lo, exec_lo, s4
	v_and_b32_e32 v151, 0x7f800000, v154
	s_delay_alu instid0(VALU_DEP_1) | instskip(SKIP_1) | instid1(SALU_CYCLE_1)
	v_cmp_ne_u32_e32 vcc_lo, 0x7f800000, v151
                                        ; implicit-def: $vgpr151
	s_and_saveexec_b32 s4, vcc_lo
	s_xor_b32 s4, exec_lo, s4
; %bb.25:
	v_bfe_u32 v151, v154, 16, 1
	s_delay_alu instid0(VALU_DEP_1)
	v_add3_u32 v151, v154, v151, 0x7fff
                                        ; implicit-def: $vgpr154
; %bb.26:
	s_and_not1_saveexec_b32 s4, s4
; %bb.27:
	v_and_b32_e32 v151, 0xffff, v154
	v_or_b32_e32 v153, 0x10000, v154
	s_delay_alu instid0(VALU_DEP_2) | instskip(NEXT) | instid1(VALU_DEP_2)
	v_cmp_eq_u32_e32 vcc_lo, 0, v151
	v_cndmask_b32_e32 v151, v153, v154, vcc_lo
; %bb.28:
	s_or_b32 exec_lo, exec_lo, s4
	v_and_b32_e32 v153, 0x7f800000, v152
	s_delay_alu instid0(VALU_DEP_1) | instskip(SKIP_1) | instid1(SALU_CYCLE_1)
	v_cmp_ne_u32_e32 vcc_lo, 0x7f800000, v153
                                        ; implicit-def: $vgpr153
	s_and_saveexec_b32 s4, vcc_lo
	s_xor_b32 s4, exec_lo, s4
; %bb.29:
	v_bfe_u32 v153, v152, 16, 1
	s_delay_alu instid0(VALU_DEP_1)
	v_add3_u32 v153, v152, v153, 0x7fff
                                        ; implicit-def: $vgpr152
; %bb.30:
	s_and_not1_saveexec_b32 s4, s4
; %bb.31:
	v_and_b32_e32 v153, 0xffff, v152
	v_or_b32_e32 v154, 0x10000, v152
	s_delay_alu instid0(VALU_DEP_2) | instskip(NEXT) | instid1(VALU_DEP_2)
	v_cmp_eq_u32_e32 vcc_lo, 0, v153
	v_cndmask_b32_e32 v153, v154, v152, vcc_lo
; %bb.32:
	s_or_b32 exec_lo, exec_lo, s4
	v_and_b32_e32 v152, 0x7f800000, v150
	s_delay_alu instid0(VALU_DEP_1) | instskip(SKIP_1) | instid1(SALU_CYCLE_1)
	v_cmp_ne_u32_e32 vcc_lo, 0x7f800000, v152
                                        ; implicit-def: $vgpr152
	s_and_saveexec_b32 s4, vcc_lo
	s_xor_b32 s4, exec_lo, s4
; %bb.33:
	v_bfe_u32 v152, v150, 16, 1
	s_delay_alu instid0(VALU_DEP_1)
	v_add3_u32 v152, v150, v152, 0x7fff
                                        ; implicit-def: $vgpr150
; %bb.34:
	s_and_not1_saveexec_b32 s4, s4
; %bb.35:
	v_and_b32_e32 v152, 0xffff, v150
	v_or_b32_e32 v154, 0x10000, v150
	s_delay_alu instid0(VALU_DEP_2) | instskip(NEXT) | instid1(VALU_DEP_2)
	v_cmp_eq_u32_e32 vcc_lo, 0, v152
	v_cndmask_b32_e32 v152, v154, v150, vcc_lo
; %bb.36:
	s_or_b32 exec_lo, exec_lo, s4
	v_and_b32_e32 v150, 0x7f800000, v143
	s_delay_alu instid0(VALU_DEP_1) | instskip(SKIP_1) | instid1(SALU_CYCLE_1)
	v_cmp_ne_u32_e32 vcc_lo, 0x7f800000, v150
                                        ; implicit-def: $vgpr150
	s_and_saveexec_b32 s4, vcc_lo
	s_xor_b32 s4, exec_lo, s4
; %bb.37:
	v_bfe_u32 v150, v143, 16, 1
	s_delay_alu instid0(VALU_DEP_1)
	v_add3_u32 v150, v143, v150, 0x7fff
                                        ; implicit-def: $vgpr143
; %bb.38:
	s_and_not1_saveexec_b32 s4, s4
; %bb.39:
	v_and_b32_e32 v150, 0xffff, v143
	v_or_b32_e32 v154, 0x10000, v143
	s_delay_alu instid0(VALU_DEP_2) | instskip(NEXT) | instid1(VALU_DEP_2)
	v_cmp_eq_u32_e32 vcc_lo, 0, v150
	v_cndmask_b32_e32 v150, v154, v143, vcc_lo
; %bb.40:
	s_or_b32 exec_lo, exec_lo, s4
	v_and_b32_e32 v143, 0x7f800000, v140
	s_delay_alu instid0(VALU_DEP_1) | instskip(SKIP_1) | instid1(SALU_CYCLE_1)
	v_cmp_ne_u32_e32 vcc_lo, 0x7f800000, v143
                                        ; implicit-def: $vgpr143
	s_and_saveexec_b32 s4, vcc_lo
	s_xor_b32 s4, exec_lo, s4
; %bb.41:
	v_bfe_u32 v143, v140, 16, 1
	s_delay_alu instid0(VALU_DEP_1)
	v_add3_u32 v143, v140, v143, 0x7fff
                                        ; implicit-def: $vgpr140
; %bb.42:
	s_and_not1_saveexec_b32 s4, s4
; %bb.43:
	v_and_b32_e32 v143, 0xffff, v140
	v_or_b32_e32 v154, 0x10000, v140
	s_delay_alu instid0(VALU_DEP_2) | instskip(NEXT) | instid1(VALU_DEP_2)
	v_cmp_eq_u32_e32 vcc_lo, 0, v143
	v_cndmask_b32_e32 v143, v154, v140, vcc_lo
; %bb.44:
	s_or_b32 exec_lo, exec_lo, s4
	s_load_b64 s[36:37], s[0:1], 0x94
	v_dual_mul_f32 v136, v139, v136 :: v_dual_lshlrev_b32 v155, 4, v146
	s_delay_alu instid0(VALU_DEP_2)
	v_perm_b32 v154, v143, v150, 0x7060302
	v_dual_mul_f32 v143, v139, v131 :: v_dual_lshlrev_b32 v140, 6, v148
	v_dual_mul_f32 v135, v139, v135 :: v_dual_lshlrev_b32 v150, 11, v149
	v_perm_b32 v153, v152, v153, 0x7060302
	v_perm_b32 v152, v151, v144, 0x7060302
	;; [unrolled: 1-line block ×3, first 2 shown]
	s_delay_alu instid0(VALU_DEP_4)
	v_or3_b32 v131, v155, v150, v140
	v_mul_f32_e32 v138, v139, v138
	v_dual_mul_f32 v137, v139, v137 :: v_dual_and_b32 v144, 0x7f800000, v143
	v_mul_f32_e32 v141, v139, v134
	v_mul_f32_e32 v142, v139, v133
	;; [unrolled: 1-line block ×3, first 2 shown]
	s_mov_b32 s4, exec_lo
	ds_store_b128 v131, v[151:154]
                                        ; implicit-def: $vgpr132
	v_cmpx_ne_u32_e32 0x7f800000, v144
	s_xor_b32 s4, exec_lo, s4
; %bb.45:
	v_bfe_u32 v132, v143, 16, 1
	s_delay_alu instid0(VALU_DEP_1)
	v_add3_u32 v132, v143, v132, 0x7fff
                                        ; implicit-def: $vgpr143
; %bb.46:
	s_and_not1_saveexec_b32 s4, s4
; %bb.47:
	v_and_b32_e32 v132, 0xffff, v143
	v_or_b32_e32 v133, 0x10000, v143
	s_delay_alu instid0(VALU_DEP_2) | instskip(NEXT) | instid1(VALU_DEP_2)
	v_cmp_eq_u32_e32 vcc_lo, 0, v132
	v_cndmask_b32_e32 v132, v133, v143, vcc_lo
; %bb.48:
	s_or_b32 exec_lo, exec_lo, s4
	v_and_b32_e32 v133, 0x7f800000, v134
	s_delay_alu instid0(VALU_DEP_1) | instskip(SKIP_1) | instid1(SALU_CYCLE_1)
	v_cmp_ne_u32_e32 vcc_lo, 0x7f800000, v133
                                        ; implicit-def: $vgpr133
	s_and_saveexec_b32 s4, vcc_lo
	s_xor_b32 s4, exec_lo, s4
; %bb.49:
	v_bfe_u32 v133, v134, 16, 1
	s_delay_alu instid0(VALU_DEP_1)
	v_add3_u32 v133, v134, v133, 0x7fff
                                        ; implicit-def: $vgpr134
; %bb.50:
	s_and_not1_saveexec_b32 s4, s4
; %bb.51:
	v_and_b32_e32 v133, 0xffff, v134
	v_or_b32_e32 v139, 0x10000, v134
	s_delay_alu instid0(VALU_DEP_2) | instskip(NEXT) | instid1(VALU_DEP_2)
	v_cmp_eq_u32_e32 vcc_lo, 0, v133
	v_cndmask_b32_e32 v133, v139, v134, vcc_lo
; %bb.52:
	s_or_b32 exec_lo, exec_lo, s4
	v_and_b32_e32 v134, 0x7f800000, v142
	s_delay_alu instid0(VALU_DEP_1) | instskip(SKIP_1) | instid1(SALU_CYCLE_1)
	v_cmp_ne_u32_e32 vcc_lo, 0x7f800000, v134
                                        ; implicit-def: $vgpr134
	s_and_saveexec_b32 s4, vcc_lo
	s_xor_b32 s4, exec_lo, s4
; %bb.53:
	v_bfe_u32 v134, v142, 16, 1
	s_delay_alu instid0(VALU_DEP_1)
	v_add3_u32 v134, v142, v134, 0x7fff
                                        ; implicit-def: $vgpr142
; %bb.54:
	s_and_not1_saveexec_b32 s4, s4
; %bb.55:
	v_and_b32_e32 v134, 0xffff, v142
	v_or_b32_e32 v139, 0x10000, v142
	s_delay_alu instid0(VALU_DEP_2) | instskip(NEXT) | instid1(VALU_DEP_2)
	v_cmp_eq_u32_e32 vcc_lo, 0, v134
	v_cndmask_b32_e32 v134, v139, v142, vcc_lo
; %bb.56:
	s_or_b32 exec_lo, exec_lo, s4
	v_and_b32_e32 v139, 0x7f800000, v141
	s_delay_alu instid0(VALU_DEP_1) | instskip(SKIP_1) | instid1(SALU_CYCLE_1)
	v_cmp_ne_u32_e32 vcc_lo, 0x7f800000, v139
                                        ; implicit-def: $vgpr139
	s_and_saveexec_b32 s4, vcc_lo
	s_xor_b32 s4, exec_lo, s4
; %bb.57:
	v_bfe_u32 v139, v141, 16, 1
	s_delay_alu instid0(VALU_DEP_1)
	v_add3_u32 v139, v141, v139, 0x7fff
                                        ; implicit-def: $vgpr141
; %bb.58:
	s_and_not1_saveexec_b32 s4, s4
; %bb.59:
	v_and_b32_e32 v139, 0xffff, v141
	v_or_b32_e32 v142, 0x10000, v141
	s_delay_alu instid0(VALU_DEP_2) | instskip(NEXT) | instid1(VALU_DEP_2)
	v_cmp_eq_u32_e32 vcc_lo, 0, v139
	v_cndmask_b32_e32 v139, v142, v141, vcc_lo
; %bb.60:
	s_or_b32 exec_lo, exec_lo, s4
	v_and_b32_e32 v141, 0x7f800000, v135
	s_delay_alu instid0(VALU_DEP_1) | instskip(SKIP_1) | instid1(SALU_CYCLE_1)
	v_cmp_ne_u32_e32 vcc_lo, 0x7f800000, v141
                                        ; implicit-def: $vgpr141
	s_and_saveexec_b32 s4, vcc_lo
	s_xor_b32 s4, exec_lo, s4
; %bb.61:
	v_bfe_u32 v141, v135, 16, 1
	s_delay_alu instid0(VALU_DEP_1)
	v_add3_u32 v141, v135, v141, 0x7fff
                                        ; implicit-def: $vgpr135
; %bb.62:
	s_and_not1_saveexec_b32 s4, s4
; %bb.63:
	v_and_b32_e32 v141, 0xffff, v135
	v_or_b32_e32 v142, 0x10000, v135
	s_delay_alu instid0(VALU_DEP_2) | instskip(NEXT) | instid1(VALU_DEP_2)
	v_cmp_eq_u32_e32 vcc_lo, 0, v141
	v_cndmask_b32_e32 v141, v142, v135, vcc_lo
; %bb.64:
	s_or_b32 exec_lo, exec_lo, s4
	v_and_b32_e32 v135, 0x7f800000, v136
	s_delay_alu instid0(VALU_DEP_1) | instskip(SKIP_1) | instid1(SALU_CYCLE_1)
	v_cmp_ne_u32_e32 vcc_lo, 0x7f800000, v135
                                        ; implicit-def: $vgpr135
	s_and_saveexec_b32 s4, vcc_lo
	s_xor_b32 s4, exec_lo, s4
; %bb.65:
	v_bfe_u32 v135, v136, 16, 1
	s_delay_alu instid0(VALU_DEP_1)
	v_add3_u32 v135, v136, v135, 0x7fff
                                        ; implicit-def: $vgpr136
; %bb.66:
	s_and_not1_saveexec_b32 s4, s4
; %bb.67:
	v_and_b32_e32 v135, 0xffff, v136
	v_or_b32_e32 v142, 0x10000, v136
	s_delay_alu instid0(VALU_DEP_2) | instskip(NEXT) | instid1(VALU_DEP_2)
	v_cmp_eq_u32_e32 vcc_lo, 0, v135
	v_cndmask_b32_e32 v135, v142, v136, vcc_lo
; %bb.68:
	s_or_b32 exec_lo, exec_lo, s4
	v_and_b32_e32 v136, 0x7f800000, v137
	s_delay_alu instid0(VALU_DEP_1) | instskip(SKIP_1) | instid1(SALU_CYCLE_1)
	v_cmp_ne_u32_e32 vcc_lo, 0x7f800000, v136
                                        ; implicit-def: $vgpr136
	s_and_saveexec_b32 s4, vcc_lo
	s_xor_b32 s4, exec_lo, s4
; %bb.69:
	v_bfe_u32 v136, v137, 16, 1
	s_delay_alu instid0(VALU_DEP_1)
	v_add3_u32 v136, v137, v136, 0x7fff
                                        ; implicit-def: $vgpr137
; %bb.70:
	s_and_not1_saveexec_b32 s4, s4
; %bb.71:
	v_and_b32_e32 v136, 0xffff, v137
	v_or_b32_e32 v142, 0x10000, v137
	s_delay_alu instid0(VALU_DEP_2) | instskip(NEXT) | instid1(VALU_DEP_2)
	v_cmp_eq_u32_e32 vcc_lo, 0, v136
	v_cndmask_b32_e32 v136, v142, v137, vcc_lo
; %bb.72:
	s_or_b32 exec_lo, exec_lo, s4
	v_and_b32_e32 v137, 0x7f800000, v138
	s_delay_alu instid0(VALU_DEP_1) | instskip(SKIP_1) | instid1(SALU_CYCLE_1)
	v_cmp_ne_u32_e32 vcc_lo, 0x7f800000, v137
                                        ; implicit-def: $vgpr137
	s_and_saveexec_b32 s4, vcc_lo
	s_xor_b32 s4, exec_lo, s4
; %bb.73:
	v_bfe_u32 v137, v138, 16, 1
	s_delay_alu instid0(VALU_DEP_1)
	v_add3_u32 v137, v138, v137, 0x7fff
                                        ; implicit-def: $vgpr138
; %bb.74:
	s_and_not1_saveexec_b32 s4, s4
; %bb.75:
	v_and_b32_e32 v137, 0xffff, v138
	v_or_b32_e32 v142, 0x10000, v138
	s_delay_alu instid0(VALU_DEP_2) | instskip(NEXT) | instid1(VALU_DEP_2)
	v_cmp_eq_u32_e32 vcc_lo, 0, v137
	v_cndmask_b32_e32 v137, v142, v138, vcc_lo
; %bb.76:
	s_or_b32 exec_lo, exec_lo, s4
	s_delay_alu instid0(VALU_DEP_1)
	v_perm_b32 v136, v137, v136, 0x7060302
	v_perm_b32 v135, v135, v141, 0x7060302
	;; [unrolled: 1-line block ×4, first 2 shown]
	v_lshl_or_b32 v141, v149, 11, v140
	ds_store_b128 v131, v[133:136] offset:1024
	s_waitcnt lgkmcnt(0)
	s_barrier
	buffer_gl0_inv
	ds_load_b128 v[132:135], v141
	ds_load_b128 v[149:152], v141 offset:16
	s_waitcnt lgkmcnt(1)
	v_lshrrev_b32_e32 v136, 16, v132
	s_waitcnt lgkmcnt(0)
	v_lshrrev_b32_e32 v164, 16, v151
	v_lshlrev_b32_e32 v138, 2, v146
	v_lshrrev_b32_e32 v143, 16, v149
	v_lshrrev_b32_e32 v162, 16, v150
	;; [unrolled: 1-line block ×4, first 2 shown]
	v_or_b32_e32 v139, 1, v138
	v_lshrrev_b32_e32 v165, 16, v152
	v_lshrrev_b32_e32 v163, 16, v135
	s_delay_alu instid0(VALU_DEP_3)
	v_cmp_eq_u32_e64 s8, 1, v139
	v_cmp_eq_u32_e64 s7, 2, v139
	v_cmp_eq_u32_e64 s6, 3, v139
	v_cmp_eq_u32_e64 s4, 4, v139
	v_cmp_eq_u32_e32 vcc_lo, 5, v139
	v_cndmask_b32_e64 v155, v149, v143, s8
	v_cndmask_b32_e64 v154, v132, v136, s8
	v_cmp_eq_u32_e64 s5, 6, v139
	v_cmp_eq_u32_e64 s20, 7, v139
	s_delay_alu instid0(VALU_DEP_4) | instskip(NEXT) | instid1(VALU_DEP_4)
	v_cndmask_b32_e64 v155, v155, v150, s7
	v_cndmask_b32_e64 v154, v154, v133, s7
	s_delay_alu instid0(VALU_DEP_2) | instskip(NEXT) | instid1(VALU_DEP_2)
	v_cndmask_b32_e64 v155, v155, v162, s6
	v_cndmask_b32_e64 v154, v154, v144, s6
	s_delay_alu instid0(VALU_DEP_2) | instskip(NEXT) | instid1(VALU_DEP_2)
	v_cndmask_b32_e64 v155, v155, v151, s4
	v_cndmask_b32_e64 v154, v154, v134, s4
	s_delay_alu instid0(VALU_DEP_2)
	v_cndmask_b32_e32 v157, v155, v164, vcc_lo
	v_cmp_eq_u32_e64 s13, 1, v138
	v_cmp_eq_u32_e64 s12, 2, v138
	;; [unrolled: 1-line block ×3, first 2 shown]
	v_or_b32_e32 v137, 2, v138
	v_cmp_eq_u32_e64 s18, 4, v138
	v_cndmask_b32_e64 v153, v149, v143, s13
	v_cndmask_b32_e64 v142, v132, v136, s13
	v_cmp_eq_u32_e64 s15, 5, v138
	v_cmp_eq_u32_e64 s9, 1, v137
	;; [unrolled: 1-line block ×3, first 2 shown]
	v_cndmask_b32_e64 v153, v153, v150, s12
	v_cndmask_b32_e64 v142, v142, v133, s12
	v_cmp_eq_u32_e64 s11, 2, v137
	v_cndmask_b32_e64 v156, v132, v136, s9
	v_cndmask_b32_e32 v154, v154, v161, vcc_lo
	v_cndmask_b32_e64 v153, v153, v162, s17
	v_cndmask_b32_e64 v142, v142, v144, s17
	v_cmp_eq_u32_e64 s10, 7, v138
	v_cndmask_b32_e64 v156, v156, v133, s11
	v_cmp_eq_u32_e64 s19, 3, v137
	v_cndmask_b32_e64 v153, v153, v151, s18
	v_cndmask_b32_e64 v142, v142, v134, s18
	;; [unrolled: 1-line block ×3, first 2 shown]
	v_cmp_eq_u32_e64 s21, 4, v137
	v_cndmask_b32_e64 v156, v156, v144, s19
	v_cndmask_b32_e64 v153, v153, v164, s15
	;; [unrolled: 1-line block ×4, first 2 shown]
	v_cmp_eq_u32_e64 s23, 5, v137
	v_cndmask_b32_e64 v159, v156, v134, s21
	v_cndmask_b32_e64 v153, v153, v152, s16
	;; [unrolled: 1-line block ×3, first 2 shown]
	v_cmp_eq_u32_e64 s26, 6, v137
	v_cmp_eq_u32_e64 s28, 7, v137
	v_cndmask_b32_e64 v169, v159, v161, s23
	v_cndmask_b32_e64 v167, v153, v165, s10
	;; [unrolled: 1-line block ×4, first 2 shown]
	v_or_b32_e32 v142, 3, v138
	s_delay_alu instid0(VALU_DEP_3)
	v_cndmask_b32_e64 v158, v153, v150, s11
	ds_load_b128 v[153:156], v141 offset:1024
	v_cmp_eq_u32_e64 s22, 1, v142
	v_cmp_eq_u32_e64 s24, 2, v142
	;; [unrolled: 1-line block ×3, first 2 shown]
	v_cndmask_b32_e64 v158, v158, v162, s19
	v_cmp_eq_u32_e64 s27, 4, v142
	v_cndmask_b32_e64 v132, v132, v136, s22
	v_cndmask_b32_e64 v136, v157, v152, s5
	;; [unrolled: 1-line block ×4, first 2 shown]
	ds_load_b128 v[157:160], v141 offset:1040
	v_cndmask_b32_e64 v132, v132, v133, s24
	v_cmp_eq_u32_e64 s29, 5, v142
	v_cndmask_b32_e64 v143, v143, v150, s24
	v_cmp_eq_u32_e64 s30, 6, v142
	v_cndmask_b32_e64 v133, v170, v164, s23
	v_cndmask_b32_e64 v132, v132, v144, s25
	;; [unrolled: 1-line block ×5, first 2 shown]
	s_waitcnt lgkmcnt(1)
	v_lshrrev_b32_e32 v149, 16, v153
	v_cndmask_b32_e64 v132, v132, v134, s27
	v_cndmask_b32_e64 v133, v133, v152, s26
	;; [unrolled: 1-line block ×3, first 2 shown]
	v_lshrrev_b32_e32 v151, 16, v154
	v_cndmask_b32_e64 v143, v153, v149, s13
	v_cndmask_b32_e64 v132, v132, v161, s29
	v_cndmask_b32_e64 v161, v153, v149, s8
	v_cndmask_b32_e64 v134, v134, v164, s29
	v_cndmask_b32_e64 v144, v144, v163, s28
	s_waitcnt lgkmcnt(0)
	v_lshrrev_b32_e32 v150, 16, v157
	v_cndmask_b32_e64 v143, v143, v154, s12
	v_cndmask_b32_e64 v132, v132, v135, s30
	;; [unrolled: 1-line block ×3, first 2 shown]
	v_lshrrev_b32_e32 v164, 16, v159
	v_cndmask_b32_e64 v162, v157, v150, s13
	v_cndmask_b32_e64 v135, v143, v151, s17
	;; [unrolled: 1-line block ×3, first 2 shown]
	v_lshrrev_b32_e32 v161, 16, v158
	v_cndmask_b32_e64 v133, v133, v165, s28
	v_cndmask_b32_e64 v152, v162, v158, s12
	v_cmp_eq_u32_e64 s12, 7, v142
	v_cndmask_b32_e64 v143, v143, v151, s6
	v_cndmask_b32_e64 v135, v135, v155, s18
	v_lshrrev_b32_e32 v162, 16, v155
	v_cndmask_b32_e64 v152, v152, v161, s17
	v_cndmask_b32_e64 v132, v132, v163, s12
	;; [unrolled: 1-line block ×6, first 2 shown]
	s_delay_alu instid0(VALU_DEP_4) | instskip(NEXT) | instid1(VALU_DEP_4)
	v_perm_b32 v135, v134, v132, 0x5040100
	v_cndmask_b32_e32 v132, v143, v162, vcc_lo
	s_delay_alu instid0(VALU_DEP_4)
	v_cndmask_b32_e64 v143, v163, v156, s16
	v_lshrrev_b32_e32 v163, 16, v156
	v_cndmask_b32_e64 v152, v152, v164, s15
	v_perm_b32 v134, v133, v144, 0x5040100
	v_cndmask_b32_e64 v132, v132, v156, s5
	v_perm_b32 v133, v136, v168, 0x5040100
	v_cndmask_b32_e64 v136, v143, v163, s10
	v_cndmask_b32_e64 v143, v152, v160, s16
	;; [unrolled: 1-line block ×13, first 2 shown]
	v_lshrrev_b32_e32 v144, 16, v160
	v_cndmask_b32_e64 v132, v132, v151, s19
	v_cndmask_b32_e64 v149, v149, v151, s25
	;; [unrolled: 1-line block ×14, first 2 shown]
	v_cndmask_b32_e32 v150, v150, v164, vcc_lo
	v_cndmask_b32_e64 v132, v132, v156, s26
	v_cndmask_b32_e64 v149, v149, v156, s30
	;; [unrolled: 1-line block ×11, first 2 shown]
	v_perm_b32 v132, v167, v166, 0x5040100
	v_perm_b32 v152, v151, v149, 0x5040100
	;; [unrolled: 1-line block ×5, first 2 shown]
	s_mul_i32 s9, s37, 9
	s_mov_b32 s4, exec_lo
	ds_store_b128 v131, v[132:135]
	ds_store_b128 v131, v[149:152] offset:1024
	v_cmpx_gt_u32_e32 9, v0
	s_cbranch_execz .LBB486_78
; %bb.77:
	s_mul_i32 s5, s9, s34
	s_load_b128 s[16:19], s[0:1], 0x58
	v_add3_u32 v133, s5, s31, v148
	s_delay_alu instid0(VALU_DEP_1) | instskip(NEXT) | instid1(VALU_DEP_1)
	v_mad_u64_u32 v[131:132], null, v133, s36, s[14:15]
	v_ashrrev_i32_e32 v132, 31, v131
	s_delay_alu instid0(VALU_DEP_1) | instskip(SKIP_1) | instid1(VALU_DEP_1)
	v_lshlrev_b64 v[131:132], 2, v[131:132]
	s_waitcnt lgkmcnt(0)
	v_add_co_u32 v133, vcc_lo, s18, v131
	s_delay_alu instid0(VALU_DEP_2)
	v_add_co_ci_u32_e32 v134, vcc_lo, s19, v132, vcc_lo
	v_add_co_u32 v131, vcc_lo, s16, v131
	v_add_co_ci_u32_e32 v132, vcc_lo, s17, v132, vcc_lo
	global_store_b32 v[133:134], v129, off
	global_store_b32 v[131:132], v130, off
.LBB486_78:
	s_or_b32 exec_lo, exec_lo, s4
	s_waitcnt lgkmcnt(0)
	s_waitcnt_vscnt null, 0x0
	s_barrier
	buffer_gl0_inv
	ds_load_b128 v[148:151], v140
	ds_load_b128 v[152:155], v140 offset:16
	ds_load_b128 v[160:163], v140 offset:1040
	;; [unrolled: 1-line block ×3, first 2 shown]
	v_mov_b32_e32 v129, 0
	ds_load_b128 v[168:171], v140 offset:2064
	ds_load_b128 v[164:167], v140 offset:2048
	;; [unrolled: 1-line block ×6, first 2 shown]
	v_mov_b32_e32 v130, v129
	v_mov_b32_e32 v131, v129
	;; [unrolled: 1-line block ×7, first 2 shown]
	s_waitcnt lgkmcnt(8)
	s_delay_alu instid0(VALU_DEP_1)
	v_wmma_f32_16x16x16_bf16 v[129:136], v[121:128], v[148:155], v[129:136]
	ds_load_b128 v[125:128], v140 offset:5136
	ds_load_b128 v[121:124], v140 offset:5120
	s_waitcnt lgkmcnt(8)
	v_wmma_f32_16x16x16_bf16 v[129:136], v[113:120], v[156:163], v[129:136]
	ds_load_b128 v[117:120], v140 offset:6160
	ds_load_b128 v[113:116], v140 offset:6144
	s_waitcnt lgkmcnt(8)
	;; [unrolled: 4-line block ×8, first 2 shown]
	v_wmma_f32_16x16x16_bf16 v[129:136], v[65:72], v[97:104], v[129:136]
	s_waitcnt lgkmcnt(6)
	s_delay_alu instid0(VALU_DEP_1)
	v_wmma_f32_16x16x16_bf16 v[129:136], v[49:56], v[89:96], v[129:136]
	ds_load_b128 v[53:56], v140 offset:13328
	ds_load_b128 v[49:52], v140 offset:13312
	s_waitcnt lgkmcnt(6)
	v_wmma_f32_16x16x16_bf16 v[129:136], v[41:48], v[81:88], v[129:136]
	ds_load_b128 v[45:48], v140 offset:14352
	ds_load_b128 v[41:44], v140 offset:14336
	s_waitcnt lgkmcnt(6)
	;; [unrolled: 4-line block ×3, first 2 shown]
	v_wmma_f32_16x16x16_bf16 v[129:136], v[1:8], v[57:64], v[129:136]
	s_waitcnt lgkmcnt(4)
	s_delay_alu instid0(VALU_DEP_1) | instskip(SKIP_1) | instid1(VALU_DEP_1)
	v_wmma_f32_16x16x16_bf16 v[129:136], v[25:32], v[49:56], v[129:136]
	s_waitcnt lgkmcnt(2)
	v_wmma_f32_16x16x16_bf16 v[129:136], v[33:40], v[41:48], v[129:136]
	s_waitcnt lgkmcnt(0)
	s_delay_alu instid0(VALU_DEP_1) | instskip(NEXT) | instid1(VALU_DEP_1)
	v_wmma_f32_16x16x16_bf16 v[129:136], v[9:16], v[17:24], v[129:136]
	v_and_b32_e32 v1, 0x7f800000, v129
	s_delay_alu instid0(VALU_DEP_1) | instskip(SKIP_1) | instid1(SALU_CYCLE_1)
	v_cmp_ne_u32_e32 vcc_lo, 0x7f800000, v1
                                        ; implicit-def: $vgpr1
	s_and_saveexec_b32 s4, vcc_lo
	s_xor_b32 s4, exec_lo, s4
; %bb.79:
	v_bfe_u32 v1, v129, 16, 1
	s_delay_alu instid0(VALU_DEP_1)
	v_add3_u32 v1, v129, v1, 0x7fff
; %bb.80:
	s_and_not1_saveexec_b32 s4, s4
; %bb.81:
	v_and_b32_e32 v1, 0xffff, v129
	v_or_b32_e32 v2, 0x10000, v129
	s_delay_alu instid0(VALU_DEP_2) | instskip(NEXT) | instid1(VALU_DEP_2)
	v_cmp_eq_u32_e32 vcc_lo, 0, v1
	v_cndmask_b32_e32 v1, v2, v129, vcc_lo
; %bb.82:
	s_or_b32 exec_lo, exec_lo, s4
	v_and_b32_e32 v2, 0x7f800000, v130
	s_delay_alu instid0(VALU_DEP_1) | instskip(SKIP_1) | instid1(SALU_CYCLE_1)
	v_cmp_ne_u32_e32 vcc_lo, 0x7f800000, v2
                                        ; implicit-def: $vgpr2
	s_and_saveexec_b32 s4, vcc_lo
	s_xor_b32 s4, exec_lo, s4
; %bb.83:
	v_bfe_u32 v2, v130, 16, 1
	s_delay_alu instid0(VALU_DEP_1)
	v_add3_u32 v2, v130, v2, 0x7fff
; %bb.84:
	s_and_not1_saveexec_b32 s4, s4
; %bb.85:
	v_and_b32_e32 v2, 0xffff, v130
	v_or_b32_e32 v3, 0x10000, v130
	s_delay_alu instid0(VALU_DEP_2) | instskip(NEXT) | instid1(VALU_DEP_2)
	v_cmp_eq_u32_e32 vcc_lo, 0, v2
	v_cndmask_b32_e32 v2, v3, v130, vcc_lo
; %bb.86:
	s_or_b32 exec_lo, exec_lo, s4
	v_and_b32_e32 v3, 0x7f800000, v131
	s_delay_alu instid0(VALU_DEP_1) | instskip(SKIP_1) | instid1(SALU_CYCLE_1)
	v_cmp_ne_u32_e32 vcc_lo, 0x7f800000, v3
                                        ; implicit-def: $vgpr3
	s_and_saveexec_b32 s4, vcc_lo
	s_xor_b32 s4, exec_lo, s4
; %bb.87:
	v_bfe_u32 v3, v131, 16, 1
	s_delay_alu instid0(VALU_DEP_1)
	v_add3_u32 v3, v131, v3, 0x7fff
; %bb.88:
	s_and_not1_saveexec_b32 s4, s4
; %bb.89:
	v_and_b32_e32 v3, 0xffff, v131
	v_or_b32_e32 v4, 0x10000, v131
	s_delay_alu instid0(VALU_DEP_2) | instskip(NEXT) | instid1(VALU_DEP_2)
	v_cmp_eq_u32_e32 vcc_lo, 0, v3
	v_cndmask_b32_e32 v3, v4, v131, vcc_lo
; %bb.90:
	s_or_b32 exec_lo, exec_lo, s4
	v_and_b32_e32 v4, 0x7f800000, v132
	s_delay_alu instid0(VALU_DEP_1) | instskip(SKIP_1) | instid1(SALU_CYCLE_1)
	v_cmp_ne_u32_e32 vcc_lo, 0x7f800000, v4
                                        ; implicit-def: $vgpr4
	s_and_saveexec_b32 s4, vcc_lo
	s_xor_b32 s4, exec_lo, s4
; %bb.91:
	v_bfe_u32 v4, v132, 16, 1
	s_delay_alu instid0(VALU_DEP_1)
	v_add3_u32 v4, v132, v4, 0x7fff
; %bb.92:
	s_and_not1_saveexec_b32 s4, s4
; %bb.93:
	v_and_b32_e32 v4, 0xffff, v132
	v_or_b32_e32 v5, 0x10000, v132
	s_delay_alu instid0(VALU_DEP_2) | instskip(NEXT) | instid1(VALU_DEP_2)
	v_cmp_eq_u32_e32 vcc_lo, 0, v4
	v_cndmask_b32_e32 v4, v5, v132, vcc_lo
; %bb.94:
	s_or_b32 exec_lo, exec_lo, s4
	v_and_b32_e32 v5, 0x7f800000, v133
	s_delay_alu instid0(VALU_DEP_1) | instskip(SKIP_1) | instid1(SALU_CYCLE_1)
	v_cmp_ne_u32_e32 vcc_lo, 0x7f800000, v5
                                        ; implicit-def: $vgpr5
	s_and_saveexec_b32 s4, vcc_lo
	s_xor_b32 s4, exec_lo, s4
; %bb.95:
	v_bfe_u32 v5, v133, 16, 1
	s_delay_alu instid0(VALU_DEP_1)
	v_add3_u32 v5, v133, v5, 0x7fff
; %bb.96:
	s_and_not1_saveexec_b32 s4, s4
; %bb.97:
	v_and_b32_e32 v5, 0xffff, v133
	v_or_b32_e32 v6, 0x10000, v133
	s_delay_alu instid0(VALU_DEP_2) | instskip(NEXT) | instid1(VALU_DEP_2)
	v_cmp_eq_u32_e32 vcc_lo, 0, v5
	v_cndmask_b32_e32 v5, v6, v133, vcc_lo
; %bb.98:
	s_or_b32 exec_lo, exec_lo, s4
	v_and_b32_e32 v6, 0x7f800000, v134
	s_delay_alu instid0(VALU_DEP_1) | instskip(SKIP_1) | instid1(SALU_CYCLE_1)
	v_cmp_ne_u32_e32 vcc_lo, 0x7f800000, v6
                                        ; implicit-def: $vgpr6
	s_and_saveexec_b32 s4, vcc_lo
	s_xor_b32 s4, exec_lo, s4
; %bb.99:
	v_bfe_u32 v6, v134, 16, 1
	s_delay_alu instid0(VALU_DEP_1)
	v_add3_u32 v6, v134, v6, 0x7fff
; %bb.100:
	s_and_not1_saveexec_b32 s4, s4
; %bb.101:
	v_and_b32_e32 v6, 0xffff, v134
	v_or_b32_e32 v7, 0x10000, v134
	s_delay_alu instid0(VALU_DEP_2) | instskip(NEXT) | instid1(VALU_DEP_2)
	v_cmp_eq_u32_e32 vcc_lo, 0, v6
	v_cndmask_b32_e32 v6, v7, v134, vcc_lo
; %bb.102:
	s_or_b32 exec_lo, exec_lo, s4
	v_and_b32_e32 v7, 0x7f800000, v135
	s_delay_alu instid0(VALU_DEP_1) | instskip(SKIP_1) | instid1(SALU_CYCLE_1)
	v_cmp_ne_u32_e32 vcc_lo, 0x7f800000, v7
                                        ; implicit-def: $vgpr7
	s_and_saveexec_b32 s4, vcc_lo
	s_xor_b32 s4, exec_lo, s4
; %bb.103:
	v_bfe_u32 v7, v135, 16, 1
	s_delay_alu instid0(VALU_DEP_1)
	v_add3_u32 v7, v135, v7, 0x7fff
; %bb.104:
	s_and_not1_saveexec_b32 s4, s4
; %bb.105:
	v_and_b32_e32 v7, 0xffff, v135
	v_or_b32_e32 v8, 0x10000, v135
	s_delay_alu instid0(VALU_DEP_2) | instskip(NEXT) | instid1(VALU_DEP_2)
	v_cmp_eq_u32_e32 vcc_lo, 0, v7
	v_cndmask_b32_e32 v7, v8, v135, vcc_lo
; %bb.106:
	s_or_b32 exec_lo, exec_lo, s4
	v_and_b32_e32 v8, 0x7f800000, v136
	s_delay_alu instid0(VALU_DEP_1) | instskip(SKIP_1) | instid1(SALU_CYCLE_1)
	v_cmp_ne_u32_e32 vcc_lo, 0x7f800000, v8
                                        ; implicit-def: $vgpr8
	s_and_saveexec_b32 s4, vcc_lo
	s_xor_b32 s4, exec_lo, s4
; %bb.107:
	v_bfe_u32 v8, v136, 16, 1
	s_delay_alu instid0(VALU_DEP_1)
	v_add3_u32 v8, v136, v8, 0x7fff
                                        ; implicit-def: $vgpr129_vgpr130_vgpr131_vgpr132_vgpr133_vgpr134_vgpr135_vgpr136
; %bb.108:
	s_and_not1_saveexec_b32 s4, s4
; %bb.109:
	v_and_b32_e32 v8, 0xffff, v136
	v_or_b32_e32 v9, 0x10000, v136
	s_delay_alu instid0(VALU_DEP_2) | instskip(NEXT) | instid1(VALU_DEP_2)
	v_cmp_eq_u32_e32 vcc_lo, 0, v8
	v_cndmask_b32_e32 v8, v9, v136, vcc_lo
; %bb.110:
	s_or_b32 exec_lo, exec_lo, s4
	s_delay_alu instid0(VALU_DEP_1)
	v_perm_b32 v7, v8, v7, 0x7060302
	v_perm_b32 v6, v6, v5, 0x7060302
	;; [unrolled: 1-line block ×4, first 2 shown]
	v_lshl_or_b32 v9, v146, 4, v141
	s_barrier
	buffer_gl0_inv
	v_cmp_eq_u32_e32 vcc_lo, 1, v138
	ds_store_b128 v9, v[4:7]
	s_waitcnt lgkmcnt(0)
	s_barrier
	buffer_gl0_inv
	ds_load_b128 v[1:4], v141
	ds_load_b128 v[5:8], v141 offset:16
	v_cmp_eq_u32_e64 s5, 2, v138
	v_cmp_eq_u32_e64 s4, 1, v139
	;; [unrolled: 1-line block ×5, first 2 shown]
	s_waitcnt lgkmcnt(1)
	v_lshrrev_b32_e32 v10, 16, v1
	s_waitcnt lgkmcnt(0)
	v_lshrrev_b32_e32 v14, 16, v5
	v_lshrrev_b32_e32 v15, 16, v6
	;; [unrolled: 1-line block ×4, first 2 shown]
	v_cndmask_b32_e64 v20, v1, v10, s4
	v_cndmask_b32_e32 v19, v5, v14, vcc_lo
	v_cndmask_b32_e64 v21, v5, v14, s4
	v_lshrrev_b32_e32 v16, 16, v7
	v_cmp_eq_u32_e64 s4, 1, v137
	v_lshrrev_b32_e32 v13, 16, v4
	v_cndmask_b32_e64 v19, v19, v6, s5
	v_lshrrev_b32_e32 v17, 16, v8
	s_delay_alu instid0(VALU_DEP_4) | instskip(SKIP_1) | instid1(VALU_DEP_4)
	v_cndmask_b32_e64 v22, v1, v10, s4
	v_cndmask_b32_e64 v23, v5, v14, s4
	;; [unrolled: 1-line block ×3, first 2 shown]
	v_cndmask_b32_e32 v18, v1, v10, vcc_lo
	v_cmp_eq_u32_e32 vcc_lo, 2, v139
	v_cmp_eq_u32_e64 s4, 2, v142
	v_cndmask_b32_e64 v22, v22, v2, s8
	v_cndmask_b32_e32 v20, v20, v2, vcc_lo
	v_cndmask_b32_e32 v21, v21, v6, vcc_lo
	v_cmp_eq_u32_e32 vcc_lo, 4, v138
	v_cndmask_b32_e32 v19, v19, v7, vcc_lo
	v_cndmask_b32_e64 v18, v18, v2, s5
	v_cmp_eq_u32_e64 s5, 3, v139
	s_delay_alu instid0(VALU_DEP_2) | instskip(NEXT) | instid1(VALU_DEP_2)
	v_cndmask_b32_e64 v18, v18, v11, s6
	v_cndmask_b32_e64 v21, v21, v15, s5
	v_cmp_eq_u32_e64 s6, 5, v138
	s_delay_alu instid0(VALU_DEP_3) | instskip(SKIP_1) | instid1(VALU_DEP_3)
	v_cndmask_b32_e32 v18, v18, v3, vcc_lo
	v_cmp_eq_u32_e32 vcc_lo, 4, v139
	v_cndmask_b32_e64 v19, v19, v16, s6
	s_delay_alu instid0(VALU_DEP_3) | instskip(SKIP_4) | instid1(VALU_DEP_3)
	v_cndmask_b32_e64 v18, v18, v12, s6
	v_cndmask_b32_e32 v21, v21, v7, vcc_lo
	v_cndmask_b32_e64 v20, v20, v11, s5
	v_cmp_eq_u32_e64 s5, 5, v139
	v_cmp_eq_u32_e64 s6, 6, v138
	v_cndmask_b32_e32 v20, v20, v3, vcc_lo
	s_delay_alu instid0(VALU_DEP_3) | instskip(SKIP_1) | instid1(VALU_DEP_4)
	v_cndmask_b32_e64 v21, v21, v16, s5
	v_cmp_eq_u32_e32 vcc_lo, 6, v139
	v_cndmask_b32_e64 v18, v18, v4, s6
	v_cndmask_b32_e64 v19, v19, v8, s6
	;; [unrolled: 1-line block ×3, first 2 shown]
	v_cmp_eq_u32_e64 s5, 1, v142
	v_cmp_eq_u32_e64 s6, 7, v138
	s_delay_alu instid0(VALU_DEP_3) | instskip(NEXT) | instid1(VALU_DEP_3)
	v_cndmask_b32_e32 v20, v20, v4, vcc_lo
	v_cndmask_b32_e64 v1, v1, v10, s5
	v_cndmask_b32_e64 v5, v5, v14, s5
	v_cmp_eq_u32_e64 s5, 3, v137
	v_cndmask_b32_e64 v14, v23, v6, s8
	v_cmp_eq_u32_e64 s8, 3, v142
	v_cndmask_b32_e64 v1, v1, v2, s4
	v_cndmask_b32_e64 v2, v5, v6, s4
	;; [unrolled: 1-line block ×3, first 2 shown]
	v_cmp_eq_u32_e64 s4, 4, v137
	v_cndmask_b32_e64 v6, v14, v15, s5
	v_cndmask_b32_e64 v1, v1, v11, s8
	v_cmp_eq_u32_e64 s5, 4, v142
	v_cndmask_b32_e64 v2, v2, v15, s8
	v_cndmask_b32_e64 v5, v10, v3, s4
	;; [unrolled: 3-line block ×3, first 2 shown]
	v_cndmask_b32_e64 v2, v2, v7, s5
	v_cmp_eq_u32_e64 s4, 5, v142
	v_cndmask_b32_e64 v5, v5, v12, s8
	v_cmp_eq_u32_e64 s5, 6, v137
	v_cndmask_b32_e64 v3, v6, v16, s8
	v_cmp_eq_u32_e64 s8, 6, v142
	v_cndmask_b32_e64 v1, v1, v12, s4
	v_cndmask_b32_e64 v2, v2, v16, s4
	;; [unrolled: 1-line block ×4, first 2 shown]
	v_cmp_eq_u32_e64 s4, 7, v142
	v_cndmask_b32_e64 v1, v1, v4, s8
	v_cndmask_b32_e64 v2, v2, v8, s8
	v_cmp_eq_u32_e64 s5, 7, v137
	v_cndmask_b32_e32 v4, v21, v8, vcc_lo
	v_cndmask_b32_e64 v18, v18, v13, s6
	v_cndmask_b32_e64 v20, v20, v13, s7
	;; [unrolled: 1-line block ×8, first 2 shown]
	v_cmp_gt_u32_e32 vcc_lo, 32, v0
	v_perm_b32 v4, v2, v1, 0x5040100
	v_perm_b32 v3, v3, v5, 0x5040100
	;; [unrolled: 1-line block ×4, first 2 shown]
	s_and_b32 s2, vcc_lo, s2
	ds_store_b128 v9, v[1:4]
	s_waitcnt lgkmcnt(0)
	s_barrier
	buffer_gl0_inv
	s_and_saveexec_b32 s4, s2
	s_cbranch_execz .LBB486_2
; %bb.111:
	s_load_b64 s[4:5], s[0:1], 0x68
	v_lshlrev_b32_e32 v0, 10, v0
	v_lshlrev_b32_e32 v1, 4, v147
	s_lshl_b32 s0, s36, 6
	v_add_nc_u32_e32 v2, s31, v146
	s_mul_i32 s1, s0, s34
	s_delay_alu instid0(SALU_CYCLE_1) | instskip(SKIP_1) | instid1(VALU_DEP_2)
	s_mul_i32 s6, s1, s9
	v_and_or_b32 v0, 0x3800, v0, v1
	v_mul_lo_u32 v1, v2, s0
	s_ashr_i32 s7, s6, 31
	v_add_nc_u32_e32 v3, 2, v2
	s_lshl_b64 s[6:7], s[6:7], 1
	v_add_nc_u32_e32 v4, 4, v2
	v_add_nc_u32_e32 v5, 6, v2
	v_lshl_or_b32 v15, v146, 6, v0
	v_mul_lo_u32 v3, v3, s0
	v_ashrrev_i32_e32 v2, 31, v1
	v_mul_lo_u32 v19, v4, s0
	v_mul_lo_u32 v21, v5, s0
	s_waitcnt lgkmcnt(0)
	s_add_u32 s1, s4, s6
	s_addc_u32 s2, s5, s7
	s_lshl_b32 s4, s14, 6
	v_lshlrev_b64 v[5:6], 1, v[1:2]
	s_ashr_i32 s5, s4, 31
	v_ashrrev_i32_e32 v4, 31, v3
	s_lshl_b64 s[4:5], s[4:5], 1
	v_ashrrev_i32_e32 v20, 31, v19
	s_add_u32 s1, s1, s4
	s_addc_u32 s2, s2, s5
	v_add_co_u32 v1, s1, s1, v145
	s_delay_alu instid0(VALU_DEP_1) | instskip(SKIP_1) | instid1(VALU_DEP_3)
	v_add_co_ci_u32_e64 v2, null, s2, 0, s1
	v_lshlrev_b64 v[25:26], 1, v[3:4]
	v_add_co_u32 v23, vcc_lo, v1, v5
	s_delay_alu instid0(VALU_DEP_3)
	v_add_co_ci_u32_e32 v24, vcc_lo, v2, v6, vcc_lo
	ds_load_b128 v[3:6], v15
	ds_load_b128 v[7:10], v15 offset:128
	ds_load_b128 v[11:14], v15 offset:256
	;; [unrolled: 1-line block ×3, first 2 shown]
	v_ashrrev_i32_e32 v22, 31, v21
	v_lshlrev_b64 v[19:20], 1, v[19:20]
	v_add_co_u32 v25, vcc_lo, v1, v25
	v_add_co_ci_u32_e32 v26, vcc_lo, v2, v26, vcc_lo
	s_delay_alu instid0(VALU_DEP_4) | instskip(NEXT) | instid1(VALU_DEP_4)
	v_lshlrev_b64 v[21:22], 1, v[21:22]
	v_add_co_u32 v19, vcc_lo, v1, v19
	v_add_co_ci_u32_e32 v20, vcc_lo, v2, v20, vcc_lo
	s_delay_alu instid0(VALU_DEP_3) | instskip(NEXT) | instid1(VALU_DEP_4)
	v_add_co_u32 v21, vcc_lo, v1, v21
	v_add_co_ci_u32_e32 v22, vcc_lo, v2, v22, vcc_lo
	s_waitcnt lgkmcnt(3)
	global_store_b128 v[23:24], v[3:6], off
	s_waitcnt lgkmcnt(2)
	global_store_b128 v[25:26], v[7:10], off
	;; [unrolled: 2-line block ×4, first 2 shown]
	s_and_b32 exec_lo, exec_lo, s3
	s_cbranch_execz .LBB486_2
; %bb.112:
	ds_load_b128 v[3:6], v0 offset:512
	s_add_i32 s1, s31, 8
	s_delay_alu instid0(SALU_CYCLE_1) | instskip(NEXT) | instid1(SALU_CYCLE_1)
	s_mul_i32 s0, s1, s0
	s_ashr_i32 s1, s0, 31
	s_delay_alu instid0(SALU_CYCLE_1) | instskip(NEXT) | instid1(SALU_CYCLE_1)
	s_lshl_b64 s[0:1], s[0:1], 1
	v_add_co_u32 v0, vcc_lo, v1, s0
	v_add_co_ci_u32_e32 v1, vcc_lo, s1, v2, vcc_lo
	s_waitcnt lgkmcnt(0)
	global_store_b128 v[0:1], v[3:6], off
	s_nop 0
	s_sendmsg sendmsg(MSG_DEALLOC_VGPRS)
	s_endpgm
	.section	.rodata,"a",@progbits
	.p2align	6, 0x0
	.amdhsa_kernel _Z39paged_attention_ll4mi_QKV_mfma16_kernelI14__hip_bfloat16S0_LN4vllm18Fp8KVCacheDataTypeE0ES0_Li16ELi64ELi256ELb0ELi9EL8MFMAType0EEvPKT_PKT0_S9_ifPKiSB_SB_iPKfiiiPfSE_PS4_PT2_iSD_SD_
		.amdhsa_group_segment_fixed_size 17472
		.amdhsa_private_segment_fixed_size 0
		.amdhsa_kernarg_size 400
		.amdhsa_user_sgpr_count 13
		.amdhsa_user_sgpr_dispatch_ptr 0
		.amdhsa_user_sgpr_queue_ptr 0
		.amdhsa_user_sgpr_kernarg_segment_ptr 1
		.amdhsa_user_sgpr_dispatch_id 0
		.amdhsa_user_sgpr_private_segment_size 0
		.amdhsa_wavefront_size32 1
		.amdhsa_uses_dynamic_stack 0
		.amdhsa_enable_private_segment 0
		.amdhsa_system_sgpr_workgroup_id_x 1
		.amdhsa_system_sgpr_workgroup_id_y 1
		.amdhsa_system_sgpr_workgroup_id_z 1
		.amdhsa_system_sgpr_workgroup_info 0
		.amdhsa_system_vgpr_workitem_id 0
		.amdhsa_next_free_vgpr 198
		.amdhsa_next_free_sgpr 52
		.amdhsa_reserve_vcc 1
		.amdhsa_float_round_mode_32 0
		.amdhsa_float_round_mode_16_64 0
		.amdhsa_float_denorm_mode_32 3
		.amdhsa_float_denorm_mode_16_64 3
		.amdhsa_dx10_clamp 1
		.amdhsa_ieee_mode 1
		.amdhsa_fp16_overflow 0
		.amdhsa_workgroup_processor_mode 1
		.amdhsa_memory_ordered 1
		.amdhsa_forward_progress 0
		.amdhsa_shared_vgpr_count 0
		.amdhsa_exception_fp_ieee_invalid_op 0
		.amdhsa_exception_fp_denorm_src 0
		.amdhsa_exception_fp_ieee_div_zero 0
		.amdhsa_exception_fp_ieee_overflow 0
		.amdhsa_exception_fp_ieee_underflow 0
		.amdhsa_exception_fp_ieee_inexact 0
		.amdhsa_exception_int_div_zero 0
	.end_amdhsa_kernel
	.section	.text._Z39paged_attention_ll4mi_QKV_mfma16_kernelI14__hip_bfloat16S0_LN4vllm18Fp8KVCacheDataTypeE0ES0_Li16ELi64ELi256ELb0ELi9EL8MFMAType0EEvPKT_PKT0_S9_ifPKiSB_SB_iPKfiiiPfSE_PS4_PT2_iSD_SD_,"axG",@progbits,_Z39paged_attention_ll4mi_QKV_mfma16_kernelI14__hip_bfloat16S0_LN4vllm18Fp8KVCacheDataTypeE0ES0_Li16ELi64ELi256ELb0ELi9EL8MFMAType0EEvPKT_PKT0_S9_ifPKiSB_SB_iPKfiiiPfSE_PS4_PT2_iSD_SD_,comdat
.Lfunc_end486:
	.size	_Z39paged_attention_ll4mi_QKV_mfma16_kernelI14__hip_bfloat16S0_LN4vllm18Fp8KVCacheDataTypeE0ES0_Li16ELi64ELi256ELb0ELi9EL8MFMAType0EEvPKT_PKT0_S9_ifPKiSB_SB_iPKfiiiPfSE_PS4_PT2_iSD_SD_, .Lfunc_end486-_Z39paged_attention_ll4mi_QKV_mfma16_kernelI14__hip_bfloat16S0_LN4vllm18Fp8KVCacheDataTypeE0ES0_Li16ELi64ELi256ELb0ELi9EL8MFMAType0EEvPKT_PKT0_S9_ifPKiSB_SB_iPKfiiiPfSE_PS4_PT2_iSD_SD_
                                        ; -- End function
	.section	.AMDGPU.csdata,"",@progbits
; Kernel info:
; codeLenInByte = 10152
; NumSgprs: 54
; NumVgprs: 198
; ScratchSize: 0
; MemoryBound: 0
; FloatMode: 240
; IeeeMode: 1
; LDSByteSize: 17472 bytes/workgroup (compile time only)
; SGPRBlocks: 6
; VGPRBlocks: 24
; NumSGPRsForWavesPerEU: 54
; NumVGPRsForWavesPerEU: 198
; Occupancy: 7
; WaveLimiterHint : 1
; COMPUTE_PGM_RSRC2:SCRATCH_EN: 0
; COMPUTE_PGM_RSRC2:USER_SGPR: 13
; COMPUTE_PGM_RSRC2:TRAP_HANDLER: 0
; COMPUTE_PGM_RSRC2:TGID_X_EN: 1
; COMPUTE_PGM_RSRC2:TGID_Y_EN: 1
; COMPUTE_PGM_RSRC2:TGID_Z_EN: 1
; COMPUTE_PGM_RSRC2:TIDIG_COMP_CNT: 0
	.section	.text._Z39paged_attention_ll4mi_QKV_mfma16_kernelI14__hip_bfloat16S0_LN4vllm18Fp8KVCacheDataTypeE0ES0_Li16ELi64ELi256ELb0ELi10EL8MFMAType0EEvPKT_PKT0_S9_ifPKiSB_SB_iPKfiiiPfSE_PS4_PT2_iSD_SD_,"axG",@progbits,_Z39paged_attention_ll4mi_QKV_mfma16_kernelI14__hip_bfloat16S0_LN4vllm18Fp8KVCacheDataTypeE0ES0_Li16ELi64ELi256ELb0ELi10EL8MFMAType0EEvPKT_PKT0_S9_ifPKiSB_SB_iPKfiiiPfSE_PS4_PT2_iSD_SD_,comdat
	.protected	_Z39paged_attention_ll4mi_QKV_mfma16_kernelI14__hip_bfloat16S0_LN4vllm18Fp8KVCacheDataTypeE0ES0_Li16ELi64ELi256ELb0ELi10EL8MFMAType0EEvPKT_PKT0_S9_ifPKiSB_SB_iPKfiiiPfSE_PS4_PT2_iSD_SD_ ; -- Begin function _Z39paged_attention_ll4mi_QKV_mfma16_kernelI14__hip_bfloat16S0_LN4vllm18Fp8KVCacheDataTypeE0ES0_Li16ELi64ELi256ELb0ELi10EL8MFMAType0EEvPKT_PKT0_S9_ifPKiSB_SB_iPKfiiiPfSE_PS4_PT2_iSD_SD_
	.globl	_Z39paged_attention_ll4mi_QKV_mfma16_kernelI14__hip_bfloat16S0_LN4vllm18Fp8KVCacheDataTypeE0ES0_Li16ELi64ELi256ELb0ELi10EL8MFMAType0EEvPKT_PKT0_S9_ifPKiSB_SB_iPKfiiiPfSE_PS4_PT2_iSD_SD_
	.p2align	8
	.type	_Z39paged_attention_ll4mi_QKV_mfma16_kernelI14__hip_bfloat16S0_LN4vllm18Fp8KVCacheDataTypeE0ES0_Li16ELi64ELi256ELb0ELi10EL8MFMAType0EEvPKT_PKT0_S9_ifPKiSB_SB_iPKfiiiPfSE_PS4_PT2_iSD_SD_,@function
_Z39paged_attention_ll4mi_QKV_mfma16_kernelI14__hip_bfloat16S0_LN4vllm18Fp8KVCacheDataTypeE0ES0_Li16ELi64ELi256ELb0ELi10EL8MFMAType0EEvPKT_PKT0_S9_ifPKiSB_SB_iPKfiiiPfSE_PS4_PT2_iSD_SD_: ; @_Z39paged_attention_ll4mi_QKV_mfma16_kernelI14__hip_bfloat16S0_LN4vllm18Fp8KVCacheDataTypeE0ES0_Li16ELi64ELi256ELb0ELi10EL8MFMAType0EEvPKT_PKT0_S9_ifPKiSB_SB_iPKfiiiPfSE_PS4_PT2_iSD_SD_
; %bb.0:
	s_load_b64 s[2:3], s[0:1], 0x30
	s_mov_b32 s30, s13
	s_waitcnt lgkmcnt(0)
	s_cmp_lg_u64 s[2:3], 0
	s_cselect_b32 s6, -1, 0
	s_ashr_i32 s31, s13, 31
	s_cmp_eq_u64 s[2:3], 0
	s_cbranch_scc1 .LBB487_3
; %bb.1:
	s_lshl_b64 s[4:5], s[30:31], 2
	s_delay_alu instid0(SALU_CYCLE_1) | instskip(SKIP_4) | instid1(SALU_CYCLE_1)
	s_add_u32 s4, s2, s4
	s_addc_u32 s5, s3, s5
	s_load_b64 s[4:5], s[4:5], 0x0
	s_waitcnt lgkmcnt(0)
	s_sub_i32 s4, s5, s4
	s_cmp_eq_u32 s4, 1
	s_cselect_b32 s4, -1, 0
	s_delay_alu instid0(SALU_CYCLE_1)
	s_and_not1_b32 vcc_lo, exec_lo, s4
	s_cbranch_vccz .LBB487_4
.LBB487_2:
	s_endpgm
.LBB487_3:
.LBB487_4:
	s_load_b64 s[8:9], s[0:1], 0x28
	s_lshl_b64 s[4:5], s[30:31], 2
	s_waitcnt lgkmcnt(0)
	s_add_u32 s8, s8, s4
	s_addc_u32 s9, s9, s5
	s_lshl_b32 s34, s14, 8
	s_load_b32 s33, s[8:9], 0x0
	s_waitcnt lgkmcnt(0)
	s_cmp_ge_i32 s34, s33
	s_cbranch_scc1 .LBB487_2
; %bb.5:
	s_clause 0x1
	s_load_b128 s[8:11], s[0:1], 0x8
	s_load_b64 s[12:13], s[0:1], 0x20
	s_and_not1_b32 vcc_lo, exec_lo, s6
	s_cbranch_vccnz .LBB487_7
; %bb.6:
	s_add_u32 s2, s2, s4
	s_addc_u32 s3, s3, s5
	s_load_b32 s3, s[2:3], 0x0
	s_branch .LBB487_8
.LBB487_7:
	s_mov_b32 s3, s30
.LBB487_8:
	s_load_b128 s[4:7], s[0:1], 0x48
	v_and_b32_e32 v148, 15, v0
	v_cmp_gt_u32_e32 vcc_lo, 0xa0, v0
	v_lshrrev_b32_e32 v149, 5, v0
	v_and_b32_e32 v150, 31, v0
	v_and_b32_e32 v147, 1, v0
	v_lshlrev_b32_e32 v1, 3, v148
	v_cmp_gt_u32_e64 s2, 8, v148
	v_bfe_u32 v146, v0, 4, 1
	s_mul_i32 s31, s15, 10
	s_delay_alu instid0(VALU_DEP_3) | instskip(NEXT) | instid1(VALU_DEP_3)
	v_lshlrev_b32_e32 v145, 1, v1
	s_and_b32 s16, vcc_lo, s2
	s_waitcnt lgkmcnt(0)
	s_and_saveexec_b32 s7, s16
	s_cbranch_execz .LBB487_10
; %bb.9:
	s_load_b64 s[16:17], s[0:1], 0x0
	v_lshl_or_b32 v5, v149, 1, v146
	s_mul_hi_i32 s19, s3, s4
	s_mul_i32 s18, s3, s4
	v_lshlrev_b32_e32 v6, 10, v148
	s_lshl_b64 s[18:19], s[18:19], 1
	v_add_lshl_u32 v1, v5, s31, 6
	v_lshlrev_b32_e32 v5, 6, v5
	v_lshlrev_b32_e32 v7, 10, v147
	v_and_b32_e32 v6, 0x3800, v6
	s_delay_alu instid0(VALU_DEP_4) | instskip(NEXT) | instid1(VALU_DEP_2)
	v_ashrrev_i32_e32 v2, 31, v1
	v_or3_b32 v5, v6, v7, v5
	s_delay_alu instid0(VALU_DEP_2) | instskip(SKIP_3) | instid1(VALU_DEP_1)
	v_lshlrev_b64 v[1:2], 1, v[1:2]
	s_waitcnt lgkmcnt(0)
	s_add_u32 s3, s16, s18
	s_addc_u32 s4, s17, s19
	v_add_co_u32 v1, vcc_lo, s3, v1
	s_delay_alu instid0(VALU_DEP_2) | instskip(NEXT) | instid1(VALU_DEP_2)
	v_add_co_ci_u32_e32 v2, vcc_lo, s4, v2, vcc_lo
	v_add_co_u32 v1, vcc_lo, v1, v145
	s_delay_alu instid0(VALU_DEP_2)
	v_add_co_ci_u32_e32 v2, vcc_lo, 0, v2, vcc_lo
	global_load_b128 v[1:4], v[1:2], off
	s_waitcnt vmcnt(0)
	ds_store_b128 v5, v[1:4]
.LBB487_10:
	s_or_b32 exec_lo, exec_lo, s7
	s_mov_b32 s40, 0
	s_add_i32 s3, s33, 15
	s_mov_b32 s41, s40
	s_mov_b32 s42, s40
	;; [unrolled: 1-line block ×7, first 2 shown]
	s_delay_alu instid0(SALU_CYCLE_1)
	v_dual_mov_b32 v144, s47 :: v_dual_and_b32 v1, 0xef, v0
	v_mov_b32_e32 v142, s45
	s_ashr_i32 s7, s3, 31
	s_clause 0x1
	s_load_b32 s4, s[0:1], 0x38
	s_load_b32 s35, s[0:1], 0x1c
	v_add_nc_u32_e32 v1, s34, v1
	s_lshr_b32 s7, s7, 28
	s_waitcnt lgkmcnt(0)
	s_add_i32 s3, s3, s7
	s_barrier
	v_ashrrev_i32_e32 v2, 31, v1
	v_or_b32_e32 v3, 16, v1
	s_ashr_i32 s3, s3, 4
	v_cmp_gt_i32_e32 vcc_lo, s33, v1
	s_add_i32 s3, s3, -1
	v_lshrrev_b32_e32 v2, 28, v2
	v_mov_b32_e32 v143, s46
	buffer_gl0_inv
	s_mul_i32 s6, s15, s6
	v_add_nc_u32_e32 v21, -10, v148
	v_dual_mov_b32 v141, s44 :: v_dual_add_nc_u32 v4, v1, v2
	v_mov_b32_e32 v139, s42
	s_mul_i32 s16, s30, s4
	v_mov_b32_e32 v137, s40
	s_delay_alu instid0(VALU_DEP_3)
	v_ashrrev_i32_e32 v4, 4, v4
	v_add_nc_u32_e32 v2, v3, v2
	v_lshlrev_b32_e32 v22, 5, v148
	s_ashr_i32 s17, s16, 31
	v_mov_b32_e32 v140, s43
	v_cndmask_b32_e32 v1, s3, v4, vcc_lo
	v_ashrrev_i32_e32 v2, 4, v2
	v_cmp_gt_i32_e32 vcc_lo, s33, v3
	s_lshl_b64 s[16:17], s[16:17], 2
	v_lshl_or_b32 v22, v149, 9, v22
	s_add_u32 s4, s12, s16
	s_addc_u32 s36, s13, s17
	v_cndmask_b32_e32 v3, s3, v2, vcc_lo
	v_ashrrev_i32_e32 v2, 31, v1
	s_ashr_i32 s7, s6, 31
	v_mov_b32_e32 v138, s41
	s_lshl_b64 s[6:7], s[6:7], 1
	v_ashrrev_i32_e32 v4, 31, v3
	v_lshlrev_b64 v[1:2], 2, v[1:2]
	s_add_u32 s24, s8, s6
	s_addc_u32 s25, s9, s7
	s_lshl_b32 s8, s14, 4
	v_lshlrev_b64 v[3:4], 2, v[3:4]
	s_ashr_i32 s9, s8, 31
	v_add_co_u32 v1, vcc_lo, s4, v1
	v_add_co_ci_u32_e32 v2, vcc_lo, s36, v2, vcc_lo
	s_delay_alu instid0(VALU_DEP_3) | instskip(NEXT) | instid1(VALU_DEP_4)
	v_add_co_u32 v3, vcc_lo, s4, v3
	v_add_co_ci_u32_e32 v4, vcc_lo, s36, v4, vcc_lo
	s_clause 0x1
	global_load_b32 v5, v[1:2], off
	global_load_b32 v6, v[3:4], off
	s_lshl_b64 s[8:9], s[8:9], 2
	v_lshlrev_b32_e32 v3, 4, v0
	s_add_u32 s8, s4, s8
	s_addc_u32 s9, s36, s9
	s_or_b32 s12, s34, 16
	s_delay_alu instid0(SALU_CYCLE_1) | instskip(SKIP_2) | instid1(SALU_CYCLE_1)
	s_ashr_i32 s13, s12, 4
	s_cmp_lt_i32 s12, s33
	s_cselect_b32 s12, s13, s3
	s_ashr_i32 s13, s12, 31
	s_delay_alu instid0(SALU_CYCLE_1) | instskip(NEXT) | instid1(SALU_CYCLE_1)
	s_lshl_b64 s[12:13], s[12:13], 2
	s_add_u32 s12, s4, s12
	s_addc_u32 s13, s36, s13
	s_or_b32 s15, s34, 32
	s_delay_alu instid0(SALU_CYCLE_1) | instskip(SKIP_2) | instid1(SALU_CYCLE_1)
	s_ashr_i32 s16, s15, 4
	s_cmp_lt_i32 s15, s33
	s_cselect_b32 s16, s16, s3
	s_ashr_i32 s17, s16, 31
	s_delay_alu instid0(SALU_CYCLE_1) | instskip(NEXT) | instid1(SALU_CYCLE_1)
	s_lshl_b64 s[16:17], s[16:17], 2
	;; [unrolled: 10-line block ×5, first 2 shown]
	s_add_u32 s22, s4, s22
	s_addc_u32 s23, s36, s23
	s_clause 0x5
	s_load_b32 s8, s[8:9], 0x0
	s_load_b32 s12, s[12:13], 0x0
	;; [unrolled: 1-line block ×6, first 2 shown]
	s_waitcnt lgkmcnt(0)
	s_mul_hi_i32 s17, s16, s5
	s_mul_i32 s16, s16, s5
	s_waitcnt vmcnt(1)
	v_mad_i64_i32 v[1:2], null, v5, s5, 0
	v_and_b32_e32 v5, 0xf0, v3
	s_waitcnt vmcnt(0)
	v_mad_i64_i32 v[3:4], null, v6, s5, 0
	s_delay_alu instid0(VALU_DEP_2) | instskip(NEXT) | instid1(VALU_DEP_4)
	v_add_co_u32 v5, s9, s24, v5
	v_lshlrev_b64 v[1:2], 1, v[1:2]
	v_add_co_ci_u32_e64 v6, null, s25, 0, s9
	s_delay_alu instid0(VALU_DEP_4) | instskip(SKIP_1) | instid1(VALU_DEP_3)
	v_lshlrev_b64 v[3:4], 1, v[3:4]
	s_or_b32 s9, s34, 0x60
	v_add_co_u32 v19, vcc_lo, v5, v1
	s_delay_alu instid0(VALU_DEP_3) | instskip(NEXT) | instid1(VALU_DEP_3)
	v_add_co_ci_u32_e32 v20, vcc_lo, v6, v2, vcc_lo
	v_add_co_u32 v17, vcc_lo, v5, v3
	s_delay_alu instid0(VALU_DEP_4)
	v_add_co_ci_u32_e32 v18, vcc_lo, v6, v4, vcc_lo
	s_clause 0x9
	global_load_b128 v[1:4], v[19:20], off
	global_load_b128 v[5:8], v[19:20], off offset:256
	global_load_b128 v[129:132], v[17:18], off
	global_load_b128 v[133:136], v[17:18], off offset:256
	global_load_b128 v[33:36], v[19:20], off offset:512
	;; [unrolled: 1-line block ×7, first 2 shown]
	v_cmp_gt_u32_e32 vcc_lo, 10, v148
	s_clause 0x1
	global_load_b128 v[151:154], v[17:18], off offset:1024
	global_load_b128 v[155:158], v[17:18], off offset:1280
	s_ashr_i32 s13, s9, 4
	s_cmp_lt_i32 s9, s33
	v_cndmask_b32_e32 v21, v21, v148, vcc_lo
	s_cselect_b32 s22, s13, s3
	s_delay_alu instid0(SALU_CYCLE_1) | instskip(NEXT) | instid1(VALU_DEP_1)
	s_ashr_i32 s23, s22, 31
	v_lshlrev_b32_e32 v197, 6, v21
	ds_load_b128 v[159:162], v197
	ds_load_b128 v[163:166], v197 offset:1024
	s_clause 0x3
	global_load_b128 v[167:170], v[19:20], off offset:1536
	global_load_b128 v[171:174], v[19:20], off offset:1792
	;; [unrolled: 1-line block ×4, first 2 shown]
	s_lshl_b64 s[22:23], s[22:23], 2
	s_delay_alu instid0(SALU_CYCLE_1) | instskip(SKIP_2) | instid1(SALU_CYCLE_1)
	s_add_u32 s22, s4, s22
	s_addc_u32 s23, s36, s23
	s_or_b32 s9, s34, 0x70
	s_ashr_i32 s13, s9, 4
	s_cmp_lt_i32 s9, s33
	s_cselect_b32 s24, s13, s3
	s_delay_alu instid0(SALU_CYCLE_1) | instskip(NEXT) | instid1(SALU_CYCLE_1)
	s_ashr_i32 s25, s24, 31
	s_lshl_b64 s[24:25], s[24:25], 2
	s_delay_alu instid0(SALU_CYCLE_1)
	s_add_u32 s24, s4, s24
	s_addc_u32 s25, s36, s25
	s_or_b32 s9, s34, 0x80
	s_load_b32 s46, s[24:25], 0x0
	s_ashr_i32 s13, s9, 4
	s_cmp_lt_i32 s9, s33
	s_cselect_b32 s26, s13, s3
	s_delay_alu instid0(SALU_CYCLE_1) | instskip(NEXT) | instid1(SALU_CYCLE_1)
	s_ashr_i32 s27, s26, 31
	s_lshl_b64 s[26:27], s[26:27], 2
	s_delay_alu instid0(SALU_CYCLE_1)
	s_add_u32 s26, s4, s26
	s_addc_u32 s27, s36, s27
	s_or_b32 s9, s34, 0x90
	s_load_b32 s47, s[26:27], 0x0
	s_ashr_i32 s13, s9, 4
	s_cmp_lt_i32 s9, s33
	s_cselect_b32 s28, s13, s3
	s_delay_alu instid0(SALU_CYCLE_1) | instskip(NEXT) | instid1(SALU_CYCLE_1)
	s_ashr_i32 s29, s28, 31
	s_lshl_b64 s[28:29], s[28:29], 2
	s_delay_alu instid0(SALU_CYCLE_1) | instskip(SKIP_2) | instid1(SALU_CYCLE_1)
	s_add_u32 s28, s4, s28
	s_addc_u32 s29, s36, s29
	s_or_b32 s9, s34, 0xa0
	s_ashr_i32 s13, s9, 4
	s_cmp_lt_i32 s9, s33
	s_cselect_b32 s38, s13, s3
	s_delay_alu instid0(SALU_CYCLE_1) | instskip(NEXT) | instid1(SALU_CYCLE_1)
	s_ashr_i32 s39, s38, 31
	s_lshl_b64 s[38:39], s[38:39], 2
	s_delay_alu instid0(SALU_CYCLE_1)
	s_add_u32 s38, s4, s38
	s_addc_u32 s39, s36, s39
	s_or_b32 s9, s34, 0xb0
	s_load_b32 s39, s[38:39], 0x0
	s_ashr_i32 s13, s9, 4
	s_cmp_lt_i32 s9, s33
	s_mul_hi_i32 s9, s8, s5
	s_cselect_b32 s40, s13, s3
	s_mul_i32 s8, s8, s5
	s_ashr_i32 s41, s40, 31
	s_mul_hi_i32 s13, s12, s5
	s_lshl_b64 s[40:41], s[40:41], 2
	s_mul_i32 s12, s12, s5
	s_add_u32 s42, s4, s40
	s_addc_u32 s43, s36, s41
	s_or_b32 s19, s34, 0xc0
	s_delay_alu instid0(SALU_CYCLE_1)
	s_ashr_i32 s21, s19, 4
	s_cmp_lt_i32 s19, s33
	s_mul_hi_i32 s19, s18, s5
	s_cselect_b32 s40, s21, s3
	s_mul_i32 s18, s18, s5
	s_ashr_i32 s41, s40, 31
	s_mul_hi_i32 s21, s20, s5
	s_lshl_b64 s[40:41], s[40:41], 2
	s_mul_i32 s20, s20, s5
	s_add_u32 s44, s4, s40
	s_load_b32 s40, s[28:29], 0x0
	s_addc_u32 s45, s36, s41
	s_or_b32 s37, s34, 0xd0
	s_load_b32 s41, s[22:23], 0x0
	s_ashr_i32 s22, s37, 4
	s_cmp_lt_i32 s37, s33
	s_mul_hi_i32 s23, s15, s5
	s_cselect_b32 s24, s22, s3
	s_mul_i32 s22, s15, s5
	s_ashr_i32 s25, s24, 31
	s_waitcnt lgkmcnt(0)
	s_mul_hi_i32 s27, s46, s5
	s_lshl_b64 s[24:25], s[24:25], 2
	s_mul_i32 s26, s46, s5
	s_add_u32 s24, s4, s24
	s_addc_u32 s25, s36, s25
	s_or_b32 s48, s34, 0xe0
	s_clause 0x2
	s_load_b32 s38, s[42:43], 0x0
	s_load_b32 s37, s[44:45], 0x0
	;; [unrolled: 1-line block ×3, first 2 shown]
	s_ashr_i32 s49, s48, 4
	s_cmp_lt_i32 s48, s33
	s_mul_hi_i32 s29, s47, s5
	s_cselect_b32 s42, s49, s3
	s_mul_i32 s28, s47, s5
	s_ashr_i32 s43, s42, 31
	s_mul_hi_i32 s25, s41, s5
	s_lshl_b64 s[42:43], s[42:43], 2
	s_mul_i32 s24, s41, s5
	s_add_u32 s42, s4, s42
	s_addc_u32 s43, s36, s43
	s_or_b32 s46, s34, 0xf0
	s_mul_hi_i32 s41, s40, s5
	s_ashr_i32 s47, s46, 4
	s_cmp_lt_i32 s46, s33
	s_mul_i32 s40, s40, s5
	s_cselect_b32 s46, s47, s3
	s_mul_hi_i32 s45, s39, s5
	s_ashr_i32 s47, s46, 31
	s_mul_i32 s44, s39, s5
	s_lshl_b64 s[46:47], s[46:47], 2
	s_waitcnt lgkmcnt(0)
	s_mul_hi_i32 s39, s38, s5
	s_add_u32 s46, s4, s46
	s_addc_u32 s47, s36, s47
	s_add_u32 s3, s10, s6
	s_addc_u32 s4, s11, s7
	v_add_co_u32 v195, s3, s3, v22
	s_delay_alu instid0(VALU_DEP_1) | instskip(SKIP_2) | instid1(VALU_DEP_2)
	v_add_co_ci_u32_e64 v196, null, s4, 0, s3
	s_lshl_b64 s[6:7], s[8:9], 1
	s_lshl_b64 s[8:9], s[12:13], 1
	v_add_co_u32 v17, vcc_lo, v195, s6
	s_delay_alu instid0(VALU_DEP_2)
	v_add_co_ci_u32_e32 v18, vcc_lo, s7, v196, vcc_lo
	v_add_co_u32 v19, vcc_lo, v195, s8
	s_lshl_b64 s[10:11], s[16:17], 1
	v_add_co_ci_u32_e32 v20, vcc_lo, s9, v196, vcc_lo
	v_add_co_u32 v21, vcc_lo, v195, s10
	s_lshl_b64 s[12:13], s[18:19], 1
	;; [unrolled: 3-line block ×9, first 2 shown]
	s_mul_i32 s38, s38, s5
	v_add_co_ci_u32_e32 v54, vcc_lo, s27, v196, vcc_lo
	v_add_co_u32 v183, vcc_lo, v195, s28
	s_mul_hi_i32 s49, s37, s5
	s_mul_i32 s48, s37, s5
	s_lshl_b64 s[36:37], s[38:39], 1
	v_add_co_ci_u32_e32 v184, vcc_lo, s29, v196, vcc_lo
	v_add_co_u32 v185, vcc_lo, v195, s36
	s_lshl_b64 s[38:39], s[48:49], 1
	s_clause 0x1
	s_load_b32 s3, s[42:43], 0x0
	s_load_b32 s4, s[46:47], 0x0
	v_add_co_ci_u32_e32 v186, vcc_lo, s37, v196, vcc_lo
	v_add_co_u32 v191, vcc_lo, v195, s38
	v_add_co_ci_u32_e32 v192, vcc_lo, s39, v196, vcc_lo
	s_clause 0x17
	global_load_b128 v[121:124], v[17:18], off
	global_load_b128 v[125:128], v[17:18], off offset:16
	global_load_b128 v[113:116], v[19:20], off
	global_load_b128 v[117:120], v[19:20], off offset:16
	;; [unrolled: 2-line block ×12, first 2 shown]
	s_mul_hi_i32 s51, s15, s5
	s_mul_i32 s50, s15, s5
	s_delay_alu instid0(SALU_CYCLE_1) | instskip(NEXT) | instid1(SALU_CYCLE_1)
	s_lshl_b64 s[40:41], s[50:51], 1
	v_add_co_u32 v193, vcc_lo, v195, s40
	v_add_co_ci_u32_e32 v194, vcc_lo, s41, v196, vcc_lo
	s_waitcnt lgkmcnt(0)
	s_mul_hi_i32 s7, s3, s5
	s_mul_i32 s6, s3, s5
	s_mul_hi_i32 s9, s4, s5
	s_lshl_b64 s[6:7], s[6:7], 1
	s_mul_i32 s8, s4, s5
	s_delay_alu instid0(SALU_CYCLE_1)
	s_lshl_b64 s[4:5], s[8:9], 1
	s_waitcnt vmcnt(38)
	v_wmma_f32_16x16x16_bf16 v[183:190], v[1:8], v[159:166], v[137:144]
	s_waitcnt vmcnt(36)
	v_wmma_f32_16x16x16_bf16 v[137:144], v[129:136], v[159:166], v[137:144]
	s_clause 0x1
	global_load_b128 v[1:4], v[191:192], off
	global_load_b128 v[5:8], v[191:192], off offset:16
	ds_load_b128 v[129:132], v197 offset:2048
	ds_load_b128 v[133:136], v197 offset:3072
	;; [unrolled: 1-line block ×4, first 2 shown]
	v_add_co_u32 v191, vcc_lo, v195, s6
	v_add_co_ci_u32_e32 v192, vcc_lo, s7, v196, vcc_lo
	v_add_co_u32 v195, vcc_lo, v195, s4
	v_add_co_ci_u32_e32 v196, vcc_lo, s5, v196, vcc_lo
	s_waitcnt vmcnt(36) lgkmcnt(2)
	v_wmma_f32_16x16x16_bf16 v[183:190], v[33:40], v[129:136], v[183:190]
	s_waitcnt vmcnt(34)
	v_wmma_f32_16x16x16_bf16 v[137:144], v[25:32], v[129:136], v[137:144]
	s_clause 0x3
	global_load_b128 v[25:28], v[193:194], off
	global_load_b128 v[29:32], v[193:194], off offset:16
	global_load_b128 v[33:36], v[191:192], off
	global_load_b128 v[37:40], v[191:192], off offset:16
	v_and_b32_e32 v129, 0xe0, v0
	v_mbcnt_lo_u32_b32 v191, -1, 0
	s_waitcnt vmcnt(36) lgkmcnt(0)
	v_wmma_f32_16x16x16_bf16 v[183:190], v[9:16], v[159:166], v[183:190]
	s_clause 0x1
	global_load_b128 v[9:12], v[195:196], off
	global_load_b128 v[13:16], v[195:196], off offset:16
	s_waitcnt vmcnt(36)
	v_wmma_f32_16x16x16_bf16 v[137:144], v[151:158], v[159:166], v[137:144]
	v_add_nc_u32_e32 v192, s34, v129
	ds_load_b128 v[129:132], v197 offset:6144
	ds_load_b128 v[133:136], v197 offset:7168
	v_xor_b32_e32 v151, 16, v191
	s_waitcnt vmcnt(0) lgkmcnt(0)
	s_barrier
	v_or_b32_e32 v152, v192, v146
	buffer_gl0_inv
	v_cmp_gt_i32_e32 vcc_lo, 32, v151
	v_or_b32_e32 v153, 2, v152
	v_or_b32_e32 v154, 4, v152
	;; [unrolled: 1-line block ×5, first 2 shown]
	v_cmp_gt_i32_e64 s3, s33, v153
	v_cmp_gt_i32_e64 s4, s33, v154
	;; [unrolled: 1-line block ×3, first 2 shown]
	v_or_b32_e32 v158, 12, v152
	v_or_b32_e32 v159, 14, v152
	v_cmp_gt_i32_e64 s6, s33, v156
	v_wmma_f32_16x16x16_bf16 v[183:190], v[167:174], v[129:136], v[183:190]
	v_wmma_f32_16x16x16_bf16 v[137:144], v[175:182], v[129:136], v[137:144]
	v_cndmask_b32_e32 v151, v191, v151, vcc_lo
	v_cmp_gt_i32_e32 vcc_lo, s33, v152
	v_cmp_gt_i32_e64 s7, s33, v157
	v_dual_mul_f32 v135, s35, v184 :: v_dual_mul_f32 v136, s35, v183
	v_dual_mul_f32 v133, s35, v186 :: v_dual_mul_f32 v134, s35, v185
	;; [unrolled: 1-line block ×3, first 2 shown]
	s_delay_alu instid0(VALU_DEP_3) | instskip(NEXT) | instid1(VALU_DEP_4)
	v_cndmask_b32_e32 v136, 0xff7fffff, v136, vcc_lo
	v_cndmask_b32_e64 v135, 0xff7fffff, v135, s3
	v_mul_f32_e32 v132, s35, v187
	v_cndmask_b32_e64 v134, 0xff7fffff, v134, s4
	v_cndmask_b32_e64 v133, 0xff7fffff, v133, s5
	v_or_b32_e32 v160, 16, v152
	v_max3_f32 v135, v136, 0xff7fffff, v135
	v_or_b32_e32 v161, 18, v152
	v_mul_f32_e32 v130, s35, v189
	v_dual_mul_f32 v172, s35, v140 :: v_dual_mul_f32 v129, s35, v190
	v_cndmask_b32_e64 v132, 0xff7fffff, v132, s6
	v_cndmask_b32_e64 v131, 0xff7fffff, v131, s7
	v_max3_f32 v133, v135, v134, v133
	v_cmp_gt_i32_e64 s8, s33, v158
	v_lshlrev_b32_e32 v158, 2, v151
	v_cmp_gt_i32_e64 s9, s33, v159
	v_or_b32_e32 v162, 20, v152
	v_or_b32_e32 v163, 22, v152
	v_mul_f32_e32 v175, s35, v137
	v_cndmask_b32_e64 v130, 0xff7fffff, v130, s8
	v_cndmask_b32_e64 v129, 0xff7fffff, v129, s9
	v_max3_f32 v131, v133, v132, v131
	v_cmp_gt_i32_e64 s10, s33, v160
	v_cmp_gt_i32_e64 s11, s33, v161
	v_or_b32_e32 v164, 24, v152
	v_or_b32_e32 v165, 26, v152
	v_mul_f32_e32 v173, s35, v139
	v_cndmask_b32_e64 v132, 0xff7fffff, v175, s10
	v_cndmask_b32_e64 v133, 0xff7fffff, v174, s11
	v_max3_f32 v129, v131, v130, v129
	v_cmp_gt_i32_e64 s12, s33, v162
	v_cmp_gt_i32_e64 s13, s33, v163
	v_or_b32_e32 v166, 28, v152
	v_or_b32_e32 v167, 30, v152
	v_dual_mul_f32 v170, s35, v142 :: v_dual_mul_f32 v171, s35, v141
	v_cndmask_b32_e64 v130, 0xff7fffff, v173, s12
	v_cndmask_b32_e64 v131, 0xff7fffff, v172, s13
	v_max3_f32 v129, v129, v132, v133
	v_cmp_gt_i32_e64 s15, s33, v164
	v_cmp_gt_i32_e64 s16, s33, v165
	v_dual_mul_f32 v168, s35, v144 :: v_dual_mul_f32 v169, s35, v143
	s_delay_alu instid0(VALU_DEP_4) | instskip(NEXT) | instid1(VALU_DEP_4)
	v_max3_f32 v129, v129, v130, v131
	v_cndmask_b32_e64 v132, 0xff7fffff, v171, s15
	s_delay_alu instid0(VALU_DEP_4) | instskip(SKIP_2) | instid1(VALU_DEP_3)
	v_cndmask_b32_e64 v133, 0xff7fffff, v170, s16
	v_cmp_gt_i32_e64 s17, s33, v166
	v_cmp_gt_i32_e64 s18, s33, v167
	v_max3_f32 v129, v129, v132, v133
	s_delay_alu instid0(VALU_DEP_3) | instskip(NEXT) | instid1(VALU_DEP_3)
	v_cndmask_b32_e64 v130, 0xff7fffff, v169, s17
	v_cndmask_b32_e64 v131, 0xff7fffff, v168, s18
	s_delay_alu instid0(VALU_DEP_1) | instskip(SKIP_3) | instid1(VALU_DEP_1)
	v_max3_f32 v129, v129, v130, v131
	ds_bpermute_b32 v130, v158, v129
	s_waitcnt lgkmcnt(0)
	v_max_f32_e32 v130, v130, v130
	v_max_f32_e32 v129, v129, v130
	s_delay_alu instid0(VALU_DEP_1)
	v_fma_f32 v130, s35, v183, -v129
	v_fma_f32 v132, s35, v185, -v129
	;; [unrolled: 1-line block ×5, first 2 shown]
	v_mul_f32_e32 v130, 0x3fb8aa3b, v130
	v_mul_f32_e32 v132, 0x3fb8aa3b, v132
	;; [unrolled: 1-line block ×3, first 2 shown]
	v_fma_f32 v135, s35, v189, -v129
	s_delay_alu instid0(VALU_DEP_4) | instskip(NEXT) | instid1(VALU_DEP_3)
	v_exp_f32_e32 v130, v130
	v_exp_f32_e32 v132, v132
	s_delay_alu instid0(VALU_DEP_2) | instskip(NEXT) | instid1(TRANS32_DEP_3)
	v_exp_f32_e32 v134, v134
	v_cndmask_b32_e32 v152, 0, v130, vcc_lo
	v_fma_f32 v130, s35, v188, -v129
	s_waitcnt_depctr 0xfff
	v_cndmask_b32_e64 v153, 0, v132, s4
	v_fma_f32 v132, s35, v190, -v129
	v_mul_f32_e32 v131, 0x3fb8aa3b, v131
	v_cndmask_b32_e64 v155, 0, v134, s6
	v_dual_mul_f32 v130, 0x3fb8aa3b, v130 :: v_dual_mul_f32 v133, 0x3fb8aa3b, v133
	s_delay_alu instid0(VALU_DEP_4) | instskip(NEXT) | instid1(VALU_DEP_4)
	v_mul_f32_e32 v132, 0x3fb8aa3b, v132
	v_exp_f32_e32 v131, v131
	v_fma_f32 v134, s35, v138, -v129
	s_delay_alu instid0(VALU_DEP_3) | instskip(SKIP_2) | instid1(VALU_DEP_1)
	v_exp_f32_e32 v130, v130
	v_exp_f32_e32 v133, v133
	;; [unrolled: 1-line block ×3, first 2 shown]
	v_mul_f32_e32 v134, 0x3fb8aa3b, v134
	v_cndmask_b32_e64 v151, 0, v131, s3
	v_add_f32_e32 v131, 0, v152
	s_delay_alu instid0(TRANS32_DEP_3)
	v_cndmask_b32_e64 v156, 0, v130, s7
	s_waitcnt_depctr 0xfff
	v_cndmask_b32_e64 v154, 0, v133, s5
	v_fma_f32 v133, s35, v137, -v129
	v_exp_f32_e32 v134, v134
	v_add_f32_e32 v131, v131, v151
	s_mov_b32 s3, exec_lo
	s_delay_alu instid0(VALU_DEP_1) | instskip(NEXT) | instid1(VALU_DEP_1)
	v_add_f32_e32 v131, v131, v153
	v_add_f32_e32 v131, v131, v154
	s_delay_alu instid0(VALU_DEP_1) | instskip(SKIP_2) | instid1(VALU_DEP_3)
	v_add_f32_e32 v130, v131, v155
	v_fma_f32 v131, s35, v139, -v129
	v_fma_f32 v139, s35, v144, -v129
	v_dual_add_f32 v130, v130, v156 :: v_dual_mul_f32 v135, 0x3fb8aa3b, v135
	s_delay_alu instid0(VALU_DEP_1)
	v_exp_f32_e32 v135, v135
	s_waitcnt_depctr 0xfff
	v_cndmask_b32_e64 v157, 0, v135, s8
	v_fma_f32 v135, s35, v140, -v129
	v_cndmask_b32_e64 v140, 0, v132, s9
	v_fma_f32 v132, s35, v141, -v129
	s_delay_alu instid0(VALU_DEP_1) | instskip(SKIP_1) | instid1(VALU_DEP_2)
	v_dual_add_f32 v130, v130, v157 :: v_dual_mul_f32 v137, 0x3fb8aa3b, v132
	v_cndmask_b32_e64 v132, 0, v134, s11
	v_dual_add_f32 v130, v130, v140 :: v_dual_mul_f32 v133, 0x3fb8aa3b, v133
	v_mul_f32_e32 v131, 0x3fb8aa3b, v131
	v_fma_f32 v134, s35, v143, -v129
	v_mul_f32_e32 v135, 0x3fb8aa3b, v135
	s_delay_alu instid0(VALU_DEP_4) | instskip(NEXT) | instid1(VALU_DEP_3)
	v_exp_f32_e32 v133, v133
	v_exp_f32_e32 v136, v131
	s_waitcnt_depctr 0xfff
	v_cndmask_b32_e64 v131, 0, v133, s10
	v_fma_f32 v133, s35, v142, -v129
	s_delay_alu instid0(VALU_DEP_2) | instskip(NEXT) | instid1(VALU_DEP_2)
	v_add_f32_e32 v130, v130, v131
	v_mul_f32_e32 v138, 0x3fb8aa3b, v133
	v_cndmask_b32_e64 v133, 0, v136, s12
	v_mul_f32_e32 v136, 0x3fb8aa3b, v134
	v_exp_f32_e32 v135, v135
	v_add_f32_e32 v130, v130, v132
	v_exp_f32_e32 v138, v138
	s_delay_alu instid0(VALU_DEP_2) | instskip(NEXT) | instid1(VALU_DEP_1)
	v_exp_f32_e32 v141, v136
	v_add_f32_e32 v130, v130, v133
	v_exp_f32_e32 v137, v137
	v_cndmask_b32_e64 v134, 0, v135, s13
	s_delay_alu instid0(TRANS32_DEP_3) | instskip(NEXT) | instid1(VALU_DEP_2)
	v_cndmask_b32_e64 v136, 0, v138, s16
	v_add_f32_e32 v130, v130, v134
	s_waitcnt_depctr 0xfff
	v_cndmask_b32_e64 v135, 0, v137, s15
	v_mul_f32_e32 v137, 0x3fb8aa3b, v139
	s_delay_alu instid0(VALU_DEP_2) | instskip(NEXT) | instid1(VALU_DEP_2)
	v_add_f32_e32 v130, v130, v135
	v_exp_f32_e32 v138, v137
	v_cndmask_b32_e64 v137, 0, v141, s17
	s_delay_alu instid0(VALU_DEP_2) | instskip(NEXT) | instid1(VALU_DEP_1)
	v_add_f32_e32 v130, v130, v136
	v_add_f32_e32 v130, v130, v137
	s_waitcnt_depctr 0xfff
	v_cndmask_b32_e64 v138, 0, v138, s18
	s_delay_alu instid0(VALU_DEP_1)
	v_add_f32_e32 v130, v130, v138
	ds_bpermute_b32 v139, v158, v130
	v_cmpx_gt_u32_e32 16, v150
	s_cbranch_execz .LBB487_12
; %bb.11:
	v_mul_u32_u24_e32 v141, 0x44, v149
	s_delay_alu instid0(VALU_DEP_1) | instskip(SKIP_1) | instid1(VALU_DEP_1)
	v_lshl_add_u32 v141, v148, 2, v141
	s_waitcnt lgkmcnt(0)
	v_dual_add_f32 v130, v130, v139 :: v_dual_add_nc_u32 v139, 0x4000, v141
	ds_store_2addr_b32 v139, v129, v130 offset1:136
.LBB487_12:
	s_or_b32 exec_lo, exec_lo, s3
	v_lshlrev_b32_e32 v129, 2, v148
	s_waitcnt lgkmcnt(0)
	s_barrier
	buffer_gl0_inv
	v_cmp_eq_u32_e64 s3, 1, v149
	v_add_nc_u32_e32 v139, 0x4000, v129
	ds_load_2addr_b32 v[141:142], v139 offset1:17
	ds_load_2addr_b32 v[143:144], v139 offset0:34 offset1:51
	ds_load_2addr_b32 v[158:159], v139 offset0:68 offset1:85
	;; [unrolled: 1-line block ×4, first 2 shown]
	s_waitcnt lgkmcnt(4)
	v_max3_f32 v129, v141, 0xff7fffff, v142
	s_waitcnt lgkmcnt(3)
	s_delay_alu instid0(VALU_DEP_1) | instskip(SKIP_1) | instid1(VALU_DEP_1)
	v_max3_f32 v129, v129, v143, v144
	s_waitcnt lgkmcnt(2)
	v_max3_f32 v129, v129, v158, v159
	s_waitcnt lgkmcnt(1)
	s_delay_alu instid0(VALU_DEP_1) | instskip(NEXT) | instid1(VALU_DEP_1)
	v_max3_f32 v129, v129, v160, v161
	v_sub_f32_e32 v158, v158, v129
	s_delay_alu instid0(VALU_DEP_1) | instskip(NEXT) | instid1(VALU_DEP_1)
	v_dual_sub_f32 v150, v142, v129 :: v_dual_mul_f32 v167, 0x3fb8aa3b, v158
	v_dual_sub_f32 v143, v143, v129 :: v_dual_mul_f32 v150, 0x3fb8aa3b, v150
	s_delay_alu instid0(VALU_DEP_1) | instskip(NEXT) | instid1(VALU_DEP_2)
	v_dual_sub_f32 v130, v141, v129 :: v_dual_mul_f32 v165, 0x3fb8aa3b, v143
	v_exp_f32_e32 v150, v150
	s_delay_alu instid0(VALU_DEP_1) | instskip(NEXT) | instid1(VALU_DEP_2)
	v_mul_f32_e32 v130, 0x3fb8aa3b, v130
	v_exp_f32_e32 v165, v165
	s_delay_alu instid0(VALU_DEP_1) | instskip(SKIP_1) | instid1(VALU_DEP_1)
	v_exp_f32_e32 v164, v130
	v_sub_f32_e32 v130, v144, v129
	v_mul_f32_e32 v166, 0x3fb8aa3b, v130
	s_waitcnt lgkmcnt(0)
	s_waitcnt_depctr 0xfff
	v_fma_f32 v130, v164, v162, 0
	v_sub_f32_e32 v162, v159, v129
	s_delay_alu instid0(VALU_DEP_2)
	v_fmac_f32_e32 v130, v150, v163
	ds_load_2addr_b32 v[141:142], v139 offset0:170 offset1:187
	ds_load_2addr_b32 v[143:144], v139 offset0:204 offset1:221
	;; [unrolled: 1-line block ×3, first 2 shown]
	v_sub_f32_e32 v139, v160, v129
	v_exp_f32_e32 v166, v166
	v_mul_f32_e32 v160, 0x3fb8aa3b, v162
	v_exp_f32_e32 v162, v167
	v_cndmask_b32_e64 v150, v164, v150, s3
	v_mul_f32_e32 v139, 0x3fb8aa3b, v139
	v_cmp_eq_u32_e64 s3, 2, v149
	s_waitcnt lgkmcnt(0)
	s_barrier
	buffer_gl0_inv
	v_exp_f32_e32 v139, v139
	v_cndmask_b32_e64 v150, v150, v165, s3
	v_cmp_eq_u32_e64 s3, 3, v149
	v_fmac_f32_e32 v130, v165, v141
	v_sub_f32_e32 v141, v161, v129
	v_exp_f32_e32 v160, v160
	s_delay_alu instid0(VALU_DEP_3) | instskip(SKIP_1) | instid1(VALU_DEP_3)
	v_cndmask_b32_e64 v150, v150, v166, s3
	v_cmp_eq_u32_e64 s3, 4, v149
	v_dual_fmac_f32 v130, v166, v142 :: v_dual_mul_f32 v141, 0x3fb8aa3b, v141
	s_delay_alu instid0(VALU_DEP_2) | instskip(SKIP_1) | instid1(VALU_DEP_3)
	v_cndmask_b32_e64 v150, v150, v162, s3
	v_cmp_eq_u32_e64 s3, 5, v149
	v_exp_f32_e32 v141, v141
	s_delay_alu instid0(VALU_DEP_3)
	v_fmac_f32_e32 v130, v162, v143
	s_delay_alu instid0(TRANS32_DEP_2) | instid1(VALU_DEP_2)
	v_cndmask_b32_e64 v150, v150, v160, s3
	s_delay_alu instid0(VALU_DEP_2) | instskip(NEXT) | instid1(VALU_DEP_1)
	v_fmac_f32_e32 v130, v160, v144
	v_fmac_f32_e32 v130, v139, v158
	s_waitcnt_depctr 0xfff
	v_fmac_f32_e32 v130, v141, v159
	s_delay_alu instid0(VALU_DEP_1) | instskip(NEXT) | instid1(VALU_DEP_1)
	v_add_f32_e32 v142, 0x358637bd, v130
	v_div_scale_f32 v143, null, v142, v142, 1.0
	v_div_scale_f32 v159, vcc_lo, 1.0, v142, 1.0
	s_delay_alu instid0(VALU_DEP_2) | instskip(SKIP_2) | instid1(VALU_DEP_1)
	v_rcp_f32_e32 v144, v143
	s_waitcnt_depctr 0xfff
	v_fma_f32 v158, -v143, v144, 1.0
	v_fmac_f32_e32 v144, v158, v144
	s_delay_alu instid0(VALU_DEP_1) | instskip(NEXT) | instid1(VALU_DEP_1)
	v_mul_f32_e32 v158, v159, v144
	v_fma_f32 v161, -v143, v158, v159
	s_delay_alu instid0(VALU_DEP_1) | instskip(NEXT) | instid1(VALU_DEP_1)
	v_fmac_f32_e32 v158, v161, v144
	v_fma_f32 v143, -v143, v158, v159
	s_delay_alu instid0(VALU_DEP_1) | instskip(SKIP_1) | instid1(VALU_DEP_2)
	v_div_fmas_f32 v143, v143, v144, v158
	v_cmp_eq_u32_e32 vcc_lo, 6, v149
	v_div_fixup_f32 v142, v143, v142, 1.0
	v_cndmask_b32_e32 v139, v150, v139, vcc_lo
	v_cmp_eq_u32_e32 vcc_lo, 7, v149
	s_delay_alu instid0(VALU_DEP_2) | instskip(NEXT) | instid1(VALU_DEP_1)
	v_cndmask_b32_e32 v139, v139, v141, vcc_lo
	v_mul_f32_e32 v139, v139, v142
	s_delay_alu instid0(VALU_DEP_1) | instskip(SKIP_4) | instid1(VALU_DEP_4)
	v_mul_f32_e32 v153, v139, v153
	v_mul_f32_e32 v142, v139, v152
	;; [unrolled: 1-line block ×5, first 2 shown]
	v_dual_mul_f32 v152, v139, v155 :: v_dual_and_b32 v141, 0x7f800000, v142
	v_mul_f32_e32 v154, v139, v154
	v_mul_f32_e32 v144, v139, v151
	s_delay_alu instid0(VALU_DEP_3) | instskip(SKIP_1) | instid1(SALU_CYCLE_1)
	v_cmp_ne_u32_e32 vcc_lo, 0x7f800000, v141
                                        ; implicit-def: $vgpr141
	s_and_saveexec_b32 s3, vcc_lo
	s_xor_b32 s3, exec_lo, s3
; %bb.13:
	v_bfe_u32 v141, v142, 16, 1
	s_delay_alu instid0(VALU_DEP_1)
	v_add3_u32 v141, v142, v141, 0x7fff
                                        ; implicit-def: $vgpr142
; %bb.14:
	s_and_not1_saveexec_b32 s3, s3
; %bb.15:
	v_and_b32_e32 v141, 0xffff, v142
	v_or_b32_e32 v151, 0x10000, v142
	s_delay_alu instid0(VALU_DEP_2) | instskip(NEXT) | instid1(VALU_DEP_2)
	v_cmp_eq_u32_e32 vcc_lo, 0, v141
	v_cndmask_b32_e32 v141, v151, v142, vcc_lo
; %bb.16:
	s_or_b32 exec_lo, exec_lo, s3
	v_and_b32_e32 v142, 0x7f800000, v144
	s_delay_alu instid0(VALU_DEP_1) | instskip(SKIP_1) | instid1(SALU_CYCLE_1)
	v_cmp_ne_u32_e32 vcc_lo, 0x7f800000, v142
                                        ; implicit-def: $vgpr142
	s_and_saveexec_b32 s3, vcc_lo
	s_xor_b32 s3, exec_lo, s3
; %bb.17:
	v_bfe_u32 v142, v144, 16, 1
	s_delay_alu instid0(VALU_DEP_1)
	v_add3_u32 v142, v144, v142, 0x7fff
                                        ; implicit-def: $vgpr144
; %bb.18:
	s_and_not1_saveexec_b32 s3, s3
; %bb.19:
	v_and_b32_e32 v142, 0xffff, v144
	v_or_b32_e32 v151, 0x10000, v144
	s_delay_alu instid0(VALU_DEP_2) | instskip(NEXT) | instid1(VALU_DEP_2)
	v_cmp_eq_u32_e32 vcc_lo, 0, v142
	v_cndmask_b32_e32 v142, v151, v144, vcc_lo
; %bb.20:
	s_or_b32 exec_lo, exec_lo, s3
	v_and_b32_e32 v144, 0x7f800000, v153
	s_delay_alu instid0(VALU_DEP_1) | instskip(SKIP_1) | instid1(SALU_CYCLE_1)
	v_cmp_ne_u32_e32 vcc_lo, 0x7f800000, v144
                                        ; implicit-def: $vgpr144
	s_and_saveexec_b32 s3, vcc_lo
	s_xor_b32 s3, exec_lo, s3
; %bb.21:
	v_bfe_u32 v144, v153, 16, 1
	s_delay_alu instid0(VALU_DEP_1)
	v_add3_u32 v144, v153, v144, 0x7fff
                                        ; implicit-def: $vgpr153
; %bb.22:
	s_and_not1_saveexec_b32 s3, s3
; %bb.23:
	v_and_b32_e32 v144, 0xffff, v153
	v_or_b32_e32 v151, 0x10000, v153
	s_delay_alu instid0(VALU_DEP_2) | instskip(NEXT) | instid1(VALU_DEP_2)
	v_cmp_eq_u32_e32 vcc_lo, 0, v144
	v_cndmask_b32_e32 v144, v151, v153, vcc_lo
; %bb.24:
	s_or_b32 exec_lo, exec_lo, s3
	v_and_b32_e32 v151, 0x7f800000, v154
	s_delay_alu instid0(VALU_DEP_1) | instskip(SKIP_1) | instid1(SALU_CYCLE_1)
	v_cmp_ne_u32_e32 vcc_lo, 0x7f800000, v151
                                        ; implicit-def: $vgpr151
	s_and_saveexec_b32 s3, vcc_lo
	s_xor_b32 s3, exec_lo, s3
; %bb.25:
	v_bfe_u32 v151, v154, 16, 1
	s_delay_alu instid0(VALU_DEP_1)
	v_add3_u32 v151, v154, v151, 0x7fff
                                        ; implicit-def: $vgpr154
; %bb.26:
	s_and_not1_saveexec_b32 s3, s3
; %bb.27:
	v_and_b32_e32 v151, 0xffff, v154
	v_or_b32_e32 v153, 0x10000, v154
	s_delay_alu instid0(VALU_DEP_2) | instskip(NEXT) | instid1(VALU_DEP_2)
	v_cmp_eq_u32_e32 vcc_lo, 0, v151
	v_cndmask_b32_e32 v151, v153, v154, vcc_lo
; %bb.28:
	s_or_b32 exec_lo, exec_lo, s3
	v_and_b32_e32 v153, 0x7f800000, v152
	s_delay_alu instid0(VALU_DEP_1) | instskip(SKIP_1) | instid1(SALU_CYCLE_1)
	v_cmp_ne_u32_e32 vcc_lo, 0x7f800000, v153
                                        ; implicit-def: $vgpr153
	s_and_saveexec_b32 s3, vcc_lo
	s_xor_b32 s3, exec_lo, s3
; %bb.29:
	v_bfe_u32 v153, v152, 16, 1
	s_delay_alu instid0(VALU_DEP_1)
	v_add3_u32 v153, v152, v153, 0x7fff
                                        ; implicit-def: $vgpr152
; %bb.30:
	s_and_not1_saveexec_b32 s3, s3
; %bb.31:
	v_and_b32_e32 v153, 0xffff, v152
	v_or_b32_e32 v154, 0x10000, v152
	s_delay_alu instid0(VALU_DEP_2) | instskip(NEXT) | instid1(VALU_DEP_2)
	v_cmp_eq_u32_e32 vcc_lo, 0, v153
	v_cndmask_b32_e32 v153, v154, v152, vcc_lo
; %bb.32:
	s_or_b32 exec_lo, exec_lo, s3
	v_and_b32_e32 v152, 0x7f800000, v150
	s_delay_alu instid0(VALU_DEP_1) | instskip(SKIP_1) | instid1(SALU_CYCLE_1)
	v_cmp_ne_u32_e32 vcc_lo, 0x7f800000, v152
                                        ; implicit-def: $vgpr152
	s_and_saveexec_b32 s3, vcc_lo
	s_xor_b32 s3, exec_lo, s3
; %bb.33:
	v_bfe_u32 v152, v150, 16, 1
	s_delay_alu instid0(VALU_DEP_1)
	v_add3_u32 v152, v150, v152, 0x7fff
                                        ; implicit-def: $vgpr150
; %bb.34:
	s_and_not1_saveexec_b32 s3, s3
; %bb.35:
	v_and_b32_e32 v152, 0xffff, v150
	v_or_b32_e32 v154, 0x10000, v150
	s_delay_alu instid0(VALU_DEP_2) | instskip(NEXT) | instid1(VALU_DEP_2)
	v_cmp_eq_u32_e32 vcc_lo, 0, v152
	v_cndmask_b32_e32 v152, v154, v150, vcc_lo
; %bb.36:
	s_or_b32 exec_lo, exec_lo, s3
	v_and_b32_e32 v150, 0x7f800000, v143
	s_delay_alu instid0(VALU_DEP_1) | instskip(SKIP_1) | instid1(SALU_CYCLE_1)
	v_cmp_ne_u32_e32 vcc_lo, 0x7f800000, v150
                                        ; implicit-def: $vgpr150
	s_and_saveexec_b32 s3, vcc_lo
	s_xor_b32 s3, exec_lo, s3
; %bb.37:
	v_bfe_u32 v150, v143, 16, 1
	s_delay_alu instid0(VALU_DEP_1)
	v_add3_u32 v150, v143, v150, 0x7fff
                                        ; implicit-def: $vgpr143
; %bb.38:
	s_and_not1_saveexec_b32 s3, s3
; %bb.39:
	v_and_b32_e32 v150, 0xffff, v143
	v_or_b32_e32 v154, 0x10000, v143
	s_delay_alu instid0(VALU_DEP_2) | instskip(NEXT) | instid1(VALU_DEP_2)
	v_cmp_eq_u32_e32 vcc_lo, 0, v150
	v_cndmask_b32_e32 v150, v154, v143, vcc_lo
; %bb.40:
	s_or_b32 exec_lo, exec_lo, s3
	v_and_b32_e32 v143, 0x7f800000, v140
	s_delay_alu instid0(VALU_DEP_1) | instskip(SKIP_1) | instid1(SALU_CYCLE_1)
	v_cmp_ne_u32_e32 vcc_lo, 0x7f800000, v143
                                        ; implicit-def: $vgpr143
	s_and_saveexec_b32 s3, vcc_lo
	s_xor_b32 s3, exec_lo, s3
; %bb.41:
	v_bfe_u32 v143, v140, 16, 1
	s_delay_alu instid0(VALU_DEP_1)
	v_add3_u32 v143, v140, v143, 0x7fff
                                        ; implicit-def: $vgpr140
; %bb.42:
	s_and_not1_saveexec_b32 s3, s3
; %bb.43:
	v_and_b32_e32 v143, 0xffff, v140
	v_or_b32_e32 v154, 0x10000, v140
	s_delay_alu instid0(VALU_DEP_2) | instskip(NEXT) | instid1(VALU_DEP_2)
	v_cmp_eq_u32_e32 vcc_lo, 0, v143
	v_cndmask_b32_e32 v143, v154, v140, vcc_lo
; %bb.44:
	s_or_b32 exec_lo, exec_lo, s3
	s_load_b64 s[34:35], s[0:1], 0x94
	v_dual_mul_f32 v136, v139, v136 :: v_dual_lshlrev_b32 v155, 4, v146
	s_delay_alu instid0(VALU_DEP_2)
	v_perm_b32 v154, v143, v150, 0x7060302
	v_dual_mul_f32 v143, v139, v131 :: v_dual_lshlrev_b32 v140, 6, v148
	v_dual_mul_f32 v135, v139, v135 :: v_dual_lshlrev_b32 v150, 11, v149
	v_perm_b32 v153, v152, v153, 0x7060302
	v_perm_b32 v152, v151, v144, 0x7060302
	;; [unrolled: 1-line block ×3, first 2 shown]
	s_delay_alu instid0(VALU_DEP_4)
	v_or3_b32 v131, v155, v150, v140
	v_mul_f32_e32 v138, v139, v138
	v_dual_mul_f32 v137, v139, v137 :: v_dual_and_b32 v144, 0x7f800000, v143
	v_mul_f32_e32 v141, v139, v134
	v_mul_f32_e32 v142, v139, v133
	;; [unrolled: 1-line block ×3, first 2 shown]
	s_mov_b32 s3, exec_lo
	ds_store_b128 v131, v[151:154]
                                        ; implicit-def: $vgpr132
	v_cmpx_ne_u32_e32 0x7f800000, v144
	s_xor_b32 s3, exec_lo, s3
; %bb.45:
	v_bfe_u32 v132, v143, 16, 1
	s_delay_alu instid0(VALU_DEP_1)
	v_add3_u32 v132, v143, v132, 0x7fff
                                        ; implicit-def: $vgpr143
; %bb.46:
	s_and_not1_saveexec_b32 s3, s3
; %bb.47:
	v_and_b32_e32 v132, 0xffff, v143
	v_or_b32_e32 v133, 0x10000, v143
	s_delay_alu instid0(VALU_DEP_2) | instskip(NEXT) | instid1(VALU_DEP_2)
	v_cmp_eq_u32_e32 vcc_lo, 0, v132
	v_cndmask_b32_e32 v132, v133, v143, vcc_lo
; %bb.48:
	s_or_b32 exec_lo, exec_lo, s3
	v_and_b32_e32 v133, 0x7f800000, v134
	s_delay_alu instid0(VALU_DEP_1) | instskip(SKIP_1) | instid1(SALU_CYCLE_1)
	v_cmp_ne_u32_e32 vcc_lo, 0x7f800000, v133
                                        ; implicit-def: $vgpr133
	s_and_saveexec_b32 s3, vcc_lo
	s_xor_b32 s3, exec_lo, s3
; %bb.49:
	v_bfe_u32 v133, v134, 16, 1
	s_delay_alu instid0(VALU_DEP_1)
	v_add3_u32 v133, v134, v133, 0x7fff
                                        ; implicit-def: $vgpr134
; %bb.50:
	s_and_not1_saveexec_b32 s3, s3
; %bb.51:
	v_and_b32_e32 v133, 0xffff, v134
	v_or_b32_e32 v139, 0x10000, v134
	s_delay_alu instid0(VALU_DEP_2) | instskip(NEXT) | instid1(VALU_DEP_2)
	v_cmp_eq_u32_e32 vcc_lo, 0, v133
	v_cndmask_b32_e32 v133, v139, v134, vcc_lo
; %bb.52:
	s_or_b32 exec_lo, exec_lo, s3
	v_and_b32_e32 v134, 0x7f800000, v142
	s_delay_alu instid0(VALU_DEP_1) | instskip(SKIP_1) | instid1(SALU_CYCLE_1)
	v_cmp_ne_u32_e32 vcc_lo, 0x7f800000, v134
                                        ; implicit-def: $vgpr134
	s_and_saveexec_b32 s3, vcc_lo
	s_xor_b32 s3, exec_lo, s3
; %bb.53:
	v_bfe_u32 v134, v142, 16, 1
	s_delay_alu instid0(VALU_DEP_1)
	v_add3_u32 v134, v142, v134, 0x7fff
                                        ; implicit-def: $vgpr142
; %bb.54:
	s_and_not1_saveexec_b32 s3, s3
; %bb.55:
	v_and_b32_e32 v134, 0xffff, v142
	v_or_b32_e32 v139, 0x10000, v142
	s_delay_alu instid0(VALU_DEP_2) | instskip(NEXT) | instid1(VALU_DEP_2)
	v_cmp_eq_u32_e32 vcc_lo, 0, v134
	v_cndmask_b32_e32 v134, v139, v142, vcc_lo
; %bb.56:
	s_or_b32 exec_lo, exec_lo, s3
	v_and_b32_e32 v139, 0x7f800000, v141
	s_delay_alu instid0(VALU_DEP_1) | instskip(SKIP_1) | instid1(SALU_CYCLE_1)
	v_cmp_ne_u32_e32 vcc_lo, 0x7f800000, v139
                                        ; implicit-def: $vgpr139
	s_and_saveexec_b32 s3, vcc_lo
	s_xor_b32 s3, exec_lo, s3
; %bb.57:
	v_bfe_u32 v139, v141, 16, 1
	s_delay_alu instid0(VALU_DEP_1)
	v_add3_u32 v139, v141, v139, 0x7fff
                                        ; implicit-def: $vgpr141
; %bb.58:
	s_and_not1_saveexec_b32 s3, s3
; %bb.59:
	v_and_b32_e32 v139, 0xffff, v141
	v_or_b32_e32 v142, 0x10000, v141
	s_delay_alu instid0(VALU_DEP_2) | instskip(NEXT) | instid1(VALU_DEP_2)
	v_cmp_eq_u32_e32 vcc_lo, 0, v139
	v_cndmask_b32_e32 v139, v142, v141, vcc_lo
; %bb.60:
	s_or_b32 exec_lo, exec_lo, s3
	v_and_b32_e32 v141, 0x7f800000, v135
	s_delay_alu instid0(VALU_DEP_1) | instskip(SKIP_1) | instid1(SALU_CYCLE_1)
	v_cmp_ne_u32_e32 vcc_lo, 0x7f800000, v141
                                        ; implicit-def: $vgpr141
	s_and_saveexec_b32 s3, vcc_lo
	s_xor_b32 s3, exec_lo, s3
; %bb.61:
	v_bfe_u32 v141, v135, 16, 1
	s_delay_alu instid0(VALU_DEP_1)
	v_add3_u32 v141, v135, v141, 0x7fff
                                        ; implicit-def: $vgpr135
; %bb.62:
	s_and_not1_saveexec_b32 s3, s3
; %bb.63:
	v_and_b32_e32 v141, 0xffff, v135
	v_or_b32_e32 v142, 0x10000, v135
	s_delay_alu instid0(VALU_DEP_2) | instskip(NEXT) | instid1(VALU_DEP_2)
	v_cmp_eq_u32_e32 vcc_lo, 0, v141
	v_cndmask_b32_e32 v141, v142, v135, vcc_lo
; %bb.64:
	s_or_b32 exec_lo, exec_lo, s3
	v_and_b32_e32 v135, 0x7f800000, v136
	s_delay_alu instid0(VALU_DEP_1) | instskip(SKIP_1) | instid1(SALU_CYCLE_1)
	v_cmp_ne_u32_e32 vcc_lo, 0x7f800000, v135
                                        ; implicit-def: $vgpr135
	s_and_saveexec_b32 s3, vcc_lo
	s_xor_b32 s3, exec_lo, s3
; %bb.65:
	v_bfe_u32 v135, v136, 16, 1
	s_delay_alu instid0(VALU_DEP_1)
	v_add3_u32 v135, v136, v135, 0x7fff
                                        ; implicit-def: $vgpr136
; %bb.66:
	s_and_not1_saveexec_b32 s3, s3
; %bb.67:
	v_and_b32_e32 v135, 0xffff, v136
	v_or_b32_e32 v142, 0x10000, v136
	s_delay_alu instid0(VALU_DEP_2) | instskip(NEXT) | instid1(VALU_DEP_2)
	v_cmp_eq_u32_e32 vcc_lo, 0, v135
	v_cndmask_b32_e32 v135, v142, v136, vcc_lo
; %bb.68:
	s_or_b32 exec_lo, exec_lo, s3
	v_and_b32_e32 v136, 0x7f800000, v137
	s_delay_alu instid0(VALU_DEP_1) | instskip(SKIP_1) | instid1(SALU_CYCLE_1)
	v_cmp_ne_u32_e32 vcc_lo, 0x7f800000, v136
                                        ; implicit-def: $vgpr136
	s_and_saveexec_b32 s3, vcc_lo
	s_xor_b32 s3, exec_lo, s3
; %bb.69:
	v_bfe_u32 v136, v137, 16, 1
	s_delay_alu instid0(VALU_DEP_1)
	v_add3_u32 v136, v137, v136, 0x7fff
                                        ; implicit-def: $vgpr137
; %bb.70:
	s_and_not1_saveexec_b32 s3, s3
; %bb.71:
	v_and_b32_e32 v136, 0xffff, v137
	v_or_b32_e32 v142, 0x10000, v137
	s_delay_alu instid0(VALU_DEP_2) | instskip(NEXT) | instid1(VALU_DEP_2)
	v_cmp_eq_u32_e32 vcc_lo, 0, v136
	v_cndmask_b32_e32 v136, v142, v137, vcc_lo
; %bb.72:
	s_or_b32 exec_lo, exec_lo, s3
	v_and_b32_e32 v137, 0x7f800000, v138
	s_delay_alu instid0(VALU_DEP_1) | instskip(SKIP_1) | instid1(SALU_CYCLE_1)
	v_cmp_ne_u32_e32 vcc_lo, 0x7f800000, v137
                                        ; implicit-def: $vgpr137
	s_and_saveexec_b32 s3, vcc_lo
	s_xor_b32 s3, exec_lo, s3
; %bb.73:
	v_bfe_u32 v137, v138, 16, 1
	s_delay_alu instid0(VALU_DEP_1)
	v_add3_u32 v137, v138, v137, 0x7fff
                                        ; implicit-def: $vgpr138
; %bb.74:
	s_and_not1_saveexec_b32 s3, s3
; %bb.75:
	v_and_b32_e32 v137, 0xffff, v138
	v_or_b32_e32 v142, 0x10000, v138
	s_delay_alu instid0(VALU_DEP_2) | instskip(NEXT) | instid1(VALU_DEP_2)
	v_cmp_eq_u32_e32 vcc_lo, 0, v137
	v_cndmask_b32_e32 v137, v142, v138, vcc_lo
; %bb.76:
	s_or_b32 exec_lo, exec_lo, s3
	s_delay_alu instid0(VALU_DEP_1)
	v_perm_b32 v136, v137, v136, 0x7060302
	v_perm_b32 v135, v135, v141, 0x7060302
	;; [unrolled: 1-line block ×4, first 2 shown]
	v_lshl_or_b32 v141, v149, 11, v140
	ds_store_b128 v131, v[133:136] offset:1024
	s_waitcnt lgkmcnt(0)
	s_barrier
	buffer_gl0_inv
	ds_load_b128 v[132:135], v141
	ds_load_b128 v[149:152], v141 offset:16
	s_waitcnt lgkmcnt(1)
	v_lshrrev_b32_e32 v136, 16, v132
	s_waitcnt lgkmcnt(0)
	v_lshrrev_b32_e32 v164, 16, v151
	v_lshlrev_b32_e32 v138, 2, v146
	v_lshrrev_b32_e32 v143, 16, v149
	v_lshrrev_b32_e32 v162, 16, v150
	;; [unrolled: 1-line block ×4, first 2 shown]
	v_or_b32_e32 v139, 1, v138
	v_lshrrev_b32_e32 v165, 16, v152
	v_lshrrev_b32_e32 v163, 16, v135
	s_delay_alu instid0(VALU_DEP_3)
	v_cmp_eq_u32_e64 s7, 1, v139
	v_cmp_eq_u32_e64 s6, 2, v139
	;; [unrolled: 1-line block ×4, first 2 shown]
	v_cmp_eq_u32_e32 vcc_lo, 5, v139
	v_cndmask_b32_e64 v155, v149, v143, s7
	v_cndmask_b32_e64 v154, v132, v136, s7
	v_cmp_eq_u32_e64 s4, 6, v139
	v_cmp_eq_u32_e64 s19, 7, v139
	s_delay_alu instid0(VALU_DEP_4) | instskip(NEXT) | instid1(VALU_DEP_4)
	v_cndmask_b32_e64 v155, v155, v150, s6
	v_cndmask_b32_e64 v154, v154, v133, s6
	s_delay_alu instid0(VALU_DEP_2) | instskip(NEXT) | instid1(VALU_DEP_2)
	v_cndmask_b32_e64 v155, v155, v162, s5
	v_cndmask_b32_e64 v154, v154, v144, s5
	s_delay_alu instid0(VALU_DEP_2) | instskip(NEXT) | instid1(VALU_DEP_2)
	v_cndmask_b32_e64 v155, v155, v151, s3
	v_cndmask_b32_e64 v154, v154, v134, s3
	s_delay_alu instid0(VALU_DEP_2)
	v_cndmask_b32_e32 v157, v155, v164, vcc_lo
	v_cmp_eq_u32_e64 s12, 1, v138
	v_cmp_eq_u32_e64 s11, 2, v138
	;; [unrolled: 1-line block ×3, first 2 shown]
	v_or_b32_e32 v137, 2, v138
	v_cmp_eq_u32_e64 s17, 4, v138
	v_cndmask_b32_e64 v153, v149, v143, s12
	v_cndmask_b32_e64 v142, v132, v136, s12
	v_cmp_eq_u32_e64 s13, 5, v138
	v_cmp_eq_u32_e64 s8, 1, v137
	;; [unrolled: 1-line block ×3, first 2 shown]
	v_cndmask_b32_e64 v153, v153, v150, s11
	v_cndmask_b32_e64 v142, v142, v133, s11
	v_cmp_eq_u32_e64 s10, 2, v137
	v_cndmask_b32_e64 v156, v132, v136, s8
	v_cndmask_b32_e32 v154, v154, v161, vcc_lo
	v_cndmask_b32_e64 v153, v153, v162, s16
	v_cndmask_b32_e64 v142, v142, v144, s16
	v_cmp_eq_u32_e64 s9, 7, v138
	v_cndmask_b32_e64 v156, v156, v133, s10
	v_cmp_eq_u32_e64 s18, 3, v137
	v_cndmask_b32_e64 v153, v153, v151, s17
	v_cndmask_b32_e64 v142, v142, v134, s17
	;; [unrolled: 1-line block ×3, first 2 shown]
	v_cmp_eq_u32_e64 s20, 4, v137
	v_cndmask_b32_e64 v156, v156, v144, s18
	v_cndmask_b32_e64 v153, v153, v164, s13
	;; [unrolled: 1-line block ×4, first 2 shown]
	v_cmp_eq_u32_e64 s22, 5, v137
	v_cndmask_b32_e64 v159, v156, v134, s20
	v_cndmask_b32_e64 v153, v153, v152, s15
	;; [unrolled: 1-line block ×3, first 2 shown]
	v_cmp_eq_u32_e64 s25, 6, v137
	v_cmp_eq_u32_e64 s27, 7, v137
	v_cndmask_b32_e64 v169, v159, v161, s22
	v_cndmask_b32_e64 v167, v153, v165, s9
	v_cndmask_b32_e64 v153, v149, v143, s8
	v_cndmask_b32_e64 v166, v142, v163, s9
	v_or_b32_e32 v142, 3, v138
	s_delay_alu instid0(VALU_DEP_3)
	v_cndmask_b32_e64 v158, v153, v150, s10
	ds_load_b128 v[153:156], v141 offset:1024
	v_cmp_eq_u32_e64 s21, 1, v142
	v_cmp_eq_u32_e64 s23, 2, v142
	;; [unrolled: 1-line block ×3, first 2 shown]
	v_cndmask_b32_e64 v158, v158, v162, s18
	v_cmp_eq_u32_e64 s26, 4, v142
	v_cndmask_b32_e64 v132, v132, v136, s21
	v_cndmask_b32_e64 v136, v157, v152, s4
	;; [unrolled: 1-line block ×4, first 2 shown]
	ds_load_b128 v[157:160], v141 offset:1040
	v_cndmask_b32_e64 v132, v132, v133, s23
	v_cmp_eq_u32_e64 s28, 5, v142
	v_cndmask_b32_e64 v143, v143, v150, s23
	v_cmp_eq_u32_e64 s29, 6, v142
	v_cndmask_b32_e64 v133, v170, v164, s22
	v_cndmask_b32_e64 v132, v132, v144, s24
	;; [unrolled: 1-line block ×5, first 2 shown]
	s_waitcnt lgkmcnt(1)
	v_lshrrev_b32_e32 v149, 16, v153
	v_cndmask_b32_e64 v132, v132, v134, s26
	v_cndmask_b32_e64 v133, v133, v152, s25
	;; [unrolled: 1-line block ×3, first 2 shown]
	v_lshrrev_b32_e32 v151, 16, v154
	v_cndmask_b32_e64 v143, v153, v149, s12
	v_cndmask_b32_e64 v132, v132, v161, s28
	;; [unrolled: 1-line block ×5, first 2 shown]
	s_waitcnt lgkmcnt(0)
	v_lshrrev_b32_e32 v150, 16, v157
	v_cndmask_b32_e64 v143, v143, v154, s11
	v_cndmask_b32_e64 v132, v132, v135, s29
	v_cndmask_b32_e64 v134, v134, v152, s29
	v_lshrrev_b32_e32 v164, 16, v159
	v_cndmask_b32_e64 v162, v157, v150, s12
	v_cndmask_b32_e64 v135, v143, v151, s16
	;; [unrolled: 1-line block ×3, first 2 shown]
	v_lshrrev_b32_e32 v161, 16, v158
	v_cndmask_b32_e64 v133, v133, v165, s27
	v_cndmask_b32_e64 v152, v162, v158, s11
	v_cmp_eq_u32_e64 s11, 7, v142
	v_cndmask_b32_e64 v143, v143, v151, s5
	v_cndmask_b32_e64 v135, v135, v155, s17
	v_lshrrev_b32_e32 v162, 16, v155
	v_cndmask_b32_e64 v152, v152, v161, s16
	v_cndmask_b32_e64 v132, v132, v163, s11
	;; [unrolled: 1-line block ×6, first 2 shown]
	s_delay_alu instid0(VALU_DEP_4) | instskip(NEXT) | instid1(VALU_DEP_4)
	v_perm_b32 v135, v134, v132, 0x5040100
	v_cndmask_b32_e32 v132, v143, v162, vcc_lo
	s_delay_alu instid0(VALU_DEP_4)
	v_cndmask_b32_e64 v143, v163, v156, s15
	v_lshrrev_b32_e32 v163, 16, v156
	v_cndmask_b32_e64 v152, v152, v164, s13
	v_perm_b32 v134, v133, v144, 0x5040100
	v_cndmask_b32_e64 v132, v132, v156, s4
	v_perm_b32 v133, v136, v168, 0x5040100
	v_cndmask_b32_e64 v136, v143, v163, s9
	v_cndmask_b32_e64 v143, v152, v160, s15
	;; [unrolled: 1-line block ×13, first 2 shown]
	v_lshrrev_b32_e32 v144, 16, v160
	v_cndmask_b32_e64 v132, v132, v151, s18
	v_cndmask_b32_e64 v149, v149, v151, s24
	;; [unrolled: 1-line block ×14, first 2 shown]
	v_cndmask_b32_e32 v150, v150, v164, vcc_lo
	v_cndmask_b32_e64 v132, v132, v156, s25
	v_cndmask_b32_e64 v149, v149, v156, s29
	;; [unrolled: 1-line block ×11, first 2 shown]
	v_perm_b32 v132, v167, v166, 0x5040100
	v_perm_b32 v152, v151, v149, 0x5040100
	;; [unrolled: 1-line block ×5, first 2 shown]
	s_mul_i32 s8, s35, 10
	s_mov_b32 s3, exec_lo
	ds_store_b128 v131, v[132:135]
	ds_store_b128 v131, v[149:152] offset:1024
	v_cmpx_gt_u32_e32 10, v0
	s_cbranch_execz .LBB487_78
; %bb.77:
	s_mul_i32 s4, s8, s30
	s_delay_alu instid0(SALU_CYCLE_1) | instskip(SKIP_1) | instid1(VALU_DEP_1)
	v_add3_u32 v133, s4, s31, v148
	s_load_b128 s[4:7], s[0:1], 0x58
	v_mad_u64_u32 v[131:132], null, v133, s34, s[14:15]
	s_delay_alu instid0(VALU_DEP_1) | instskip(NEXT) | instid1(VALU_DEP_1)
	v_ashrrev_i32_e32 v132, 31, v131
	v_lshlrev_b64 v[131:132], 2, v[131:132]
	s_waitcnt lgkmcnt(0)
	s_delay_alu instid0(VALU_DEP_1) | instskip(NEXT) | instid1(VALU_DEP_2)
	v_add_co_u32 v133, vcc_lo, s6, v131
	v_add_co_ci_u32_e32 v134, vcc_lo, s7, v132, vcc_lo
	v_add_co_u32 v131, vcc_lo, s4, v131
	v_add_co_ci_u32_e32 v132, vcc_lo, s5, v132, vcc_lo
	global_store_b32 v[133:134], v129, off
	global_store_b32 v[131:132], v130, off
.LBB487_78:
	s_or_b32 exec_lo, exec_lo, s3
	s_waitcnt lgkmcnt(0)
	s_waitcnt_vscnt null, 0x0
	s_barrier
	buffer_gl0_inv
	ds_load_b128 v[148:151], v140
	ds_load_b128 v[152:155], v140 offset:16
	ds_load_b128 v[160:163], v140 offset:1040
	;; [unrolled: 1-line block ×3, first 2 shown]
	v_mov_b32_e32 v129, 0
	ds_load_b128 v[168:171], v140 offset:2064
	ds_load_b128 v[164:167], v140 offset:2048
	;; [unrolled: 1-line block ×6, first 2 shown]
	v_mov_b32_e32 v130, v129
	v_mov_b32_e32 v131, v129
	;; [unrolled: 1-line block ×7, first 2 shown]
	s_waitcnt lgkmcnt(8)
	s_delay_alu instid0(VALU_DEP_1)
	v_wmma_f32_16x16x16_bf16 v[129:136], v[121:128], v[148:155], v[129:136]
	ds_load_b128 v[125:128], v140 offset:5136
	ds_load_b128 v[121:124], v140 offset:5120
	s_waitcnt lgkmcnt(8)
	v_wmma_f32_16x16x16_bf16 v[129:136], v[113:120], v[156:163], v[129:136]
	ds_load_b128 v[117:120], v140 offset:6160
	ds_load_b128 v[113:116], v140 offset:6144
	s_waitcnt lgkmcnt(8)
	;; [unrolled: 4-line block ×8, first 2 shown]
	v_wmma_f32_16x16x16_bf16 v[129:136], v[65:72], v[97:104], v[129:136]
	s_waitcnt lgkmcnt(6)
	s_delay_alu instid0(VALU_DEP_1)
	v_wmma_f32_16x16x16_bf16 v[129:136], v[49:56], v[89:96], v[129:136]
	ds_load_b128 v[53:56], v140 offset:13328
	ds_load_b128 v[49:52], v140 offset:13312
	s_waitcnt lgkmcnt(6)
	v_wmma_f32_16x16x16_bf16 v[129:136], v[41:48], v[81:88], v[129:136]
	ds_load_b128 v[45:48], v140 offset:14352
	ds_load_b128 v[41:44], v140 offset:14336
	s_waitcnt lgkmcnt(6)
	;; [unrolled: 4-line block ×3, first 2 shown]
	v_wmma_f32_16x16x16_bf16 v[129:136], v[1:8], v[57:64], v[129:136]
	s_waitcnt lgkmcnt(4)
	s_delay_alu instid0(VALU_DEP_1) | instskip(SKIP_1) | instid1(VALU_DEP_1)
	v_wmma_f32_16x16x16_bf16 v[129:136], v[25:32], v[49:56], v[129:136]
	s_waitcnt lgkmcnt(2)
	v_wmma_f32_16x16x16_bf16 v[129:136], v[33:40], v[41:48], v[129:136]
	s_waitcnt lgkmcnt(0)
	s_delay_alu instid0(VALU_DEP_1) | instskip(NEXT) | instid1(VALU_DEP_1)
	v_wmma_f32_16x16x16_bf16 v[129:136], v[9:16], v[17:24], v[129:136]
	v_and_b32_e32 v1, 0x7f800000, v129
	s_delay_alu instid0(VALU_DEP_1) | instskip(SKIP_1) | instid1(SALU_CYCLE_1)
	v_cmp_ne_u32_e32 vcc_lo, 0x7f800000, v1
                                        ; implicit-def: $vgpr1
	s_and_saveexec_b32 s3, vcc_lo
	s_xor_b32 s3, exec_lo, s3
; %bb.79:
	v_bfe_u32 v1, v129, 16, 1
	s_delay_alu instid0(VALU_DEP_1)
	v_add3_u32 v1, v129, v1, 0x7fff
; %bb.80:
	s_and_not1_saveexec_b32 s3, s3
; %bb.81:
	v_and_b32_e32 v1, 0xffff, v129
	v_or_b32_e32 v2, 0x10000, v129
	s_delay_alu instid0(VALU_DEP_2) | instskip(NEXT) | instid1(VALU_DEP_2)
	v_cmp_eq_u32_e32 vcc_lo, 0, v1
	v_cndmask_b32_e32 v1, v2, v129, vcc_lo
; %bb.82:
	s_or_b32 exec_lo, exec_lo, s3
	v_and_b32_e32 v2, 0x7f800000, v130
	s_delay_alu instid0(VALU_DEP_1) | instskip(SKIP_1) | instid1(SALU_CYCLE_1)
	v_cmp_ne_u32_e32 vcc_lo, 0x7f800000, v2
                                        ; implicit-def: $vgpr2
	s_and_saveexec_b32 s3, vcc_lo
	s_xor_b32 s3, exec_lo, s3
; %bb.83:
	v_bfe_u32 v2, v130, 16, 1
	s_delay_alu instid0(VALU_DEP_1)
	v_add3_u32 v2, v130, v2, 0x7fff
; %bb.84:
	s_and_not1_saveexec_b32 s3, s3
; %bb.85:
	v_and_b32_e32 v2, 0xffff, v130
	v_or_b32_e32 v3, 0x10000, v130
	s_delay_alu instid0(VALU_DEP_2) | instskip(NEXT) | instid1(VALU_DEP_2)
	v_cmp_eq_u32_e32 vcc_lo, 0, v2
	v_cndmask_b32_e32 v2, v3, v130, vcc_lo
; %bb.86:
	s_or_b32 exec_lo, exec_lo, s3
	v_and_b32_e32 v3, 0x7f800000, v131
	s_delay_alu instid0(VALU_DEP_1) | instskip(SKIP_1) | instid1(SALU_CYCLE_1)
	v_cmp_ne_u32_e32 vcc_lo, 0x7f800000, v3
                                        ; implicit-def: $vgpr3
	s_and_saveexec_b32 s3, vcc_lo
	s_xor_b32 s3, exec_lo, s3
; %bb.87:
	v_bfe_u32 v3, v131, 16, 1
	s_delay_alu instid0(VALU_DEP_1)
	v_add3_u32 v3, v131, v3, 0x7fff
; %bb.88:
	s_and_not1_saveexec_b32 s3, s3
; %bb.89:
	v_and_b32_e32 v3, 0xffff, v131
	v_or_b32_e32 v4, 0x10000, v131
	s_delay_alu instid0(VALU_DEP_2) | instskip(NEXT) | instid1(VALU_DEP_2)
	v_cmp_eq_u32_e32 vcc_lo, 0, v3
	v_cndmask_b32_e32 v3, v4, v131, vcc_lo
; %bb.90:
	s_or_b32 exec_lo, exec_lo, s3
	v_and_b32_e32 v4, 0x7f800000, v132
	s_delay_alu instid0(VALU_DEP_1) | instskip(SKIP_1) | instid1(SALU_CYCLE_1)
	v_cmp_ne_u32_e32 vcc_lo, 0x7f800000, v4
                                        ; implicit-def: $vgpr4
	s_and_saveexec_b32 s3, vcc_lo
	s_xor_b32 s3, exec_lo, s3
; %bb.91:
	v_bfe_u32 v4, v132, 16, 1
	s_delay_alu instid0(VALU_DEP_1)
	v_add3_u32 v4, v132, v4, 0x7fff
; %bb.92:
	s_and_not1_saveexec_b32 s3, s3
; %bb.93:
	v_and_b32_e32 v4, 0xffff, v132
	v_or_b32_e32 v5, 0x10000, v132
	s_delay_alu instid0(VALU_DEP_2) | instskip(NEXT) | instid1(VALU_DEP_2)
	v_cmp_eq_u32_e32 vcc_lo, 0, v4
	v_cndmask_b32_e32 v4, v5, v132, vcc_lo
; %bb.94:
	s_or_b32 exec_lo, exec_lo, s3
	v_and_b32_e32 v5, 0x7f800000, v133
	s_delay_alu instid0(VALU_DEP_1) | instskip(SKIP_1) | instid1(SALU_CYCLE_1)
	v_cmp_ne_u32_e32 vcc_lo, 0x7f800000, v5
                                        ; implicit-def: $vgpr5
	s_and_saveexec_b32 s3, vcc_lo
	s_xor_b32 s3, exec_lo, s3
; %bb.95:
	v_bfe_u32 v5, v133, 16, 1
	s_delay_alu instid0(VALU_DEP_1)
	v_add3_u32 v5, v133, v5, 0x7fff
; %bb.96:
	s_and_not1_saveexec_b32 s3, s3
; %bb.97:
	v_and_b32_e32 v5, 0xffff, v133
	v_or_b32_e32 v6, 0x10000, v133
	s_delay_alu instid0(VALU_DEP_2) | instskip(NEXT) | instid1(VALU_DEP_2)
	v_cmp_eq_u32_e32 vcc_lo, 0, v5
	v_cndmask_b32_e32 v5, v6, v133, vcc_lo
; %bb.98:
	s_or_b32 exec_lo, exec_lo, s3
	v_and_b32_e32 v6, 0x7f800000, v134
	s_delay_alu instid0(VALU_DEP_1) | instskip(SKIP_1) | instid1(SALU_CYCLE_1)
	v_cmp_ne_u32_e32 vcc_lo, 0x7f800000, v6
                                        ; implicit-def: $vgpr6
	s_and_saveexec_b32 s3, vcc_lo
	s_xor_b32 s3, exec_lo, s3
; %bb.99:
	v_bfe_u32 v6, v134, 16, 1
	s_delay_alu instid0(VALU_DEP_1)
	v_add3_u32 v6, v134, v6, 0x7fff
; %bb.100:
	s_and_not1_saveexec_b32 s3, s3
; %bb.101:
	v_and_b32_e32 v6, 0xffff, v134
	v_or_b32_e32 v7, 0x10000, v134
	s_delay_alu instid0(VALU_DEP_2) | instskip(NEXT) | instid1(VALU_DEP_2)
	v_cmp_eq_u32_e32 vcc_lo, 0, v6
	v_cndmask_b32_e32 v6, v7, v134, vcc_lo
; %bb.102:
	s_or_b32 exec_lo, exec_lo, s3
	v_and_b32_e32 v7, 0x7f800000, v135
	s_delay_alu instid0(VALU_DEP_1) | instskip(SKIP_1) | instid1(SALU_CYCLE_1)
	v_cmp_ne_u32_e32 vcc_lo, 0x7f800000, v7
                                        ; implicit-def: $vgpr7
	s_and_saveexec_b32 s3, vcc_lo
	s_xor_b32 s3, exec_lo, s3
; %bb.103:
	v_bfe_u32 v7, v135, 16, 1
	s_delay_alu instid0(VALU_DEP_1)
	v_add3_u32 v7, v135, v7, 0x7fff
; %bb.104:
	s_and_not1_saveexec_b32 s3, s3
; %bb.105:
	v_and_b32_e32 v7, 0xffff, v135
	v_or_b32_e32 v8, 0x10000, v135
	s_delay_alu instid0(VALU_DEP_2) | instskip(NEXT) | instid1(VALU_DEP_2)
	v_cmp_eq_u32_e32 vcc_lo, 0, v7
	v_cndmask_b32_e32 v7, v8, v135, vcc_lo
; %bb.106:
	s_or_b32 exec_lo, exec_lo, s3
	v_and_b32_e32 v8, 0x7f800000, v136
	s_delay_alu instid0(VALU_DEP_1) | instskip(SKIP_1) | instid1(SALU_CYCLE_1)
	v_cmp_ne_u32_e32 vcc_lo, 0x7f800000, v8
                                        ; implicit-def: $vgpr8
	s_and_saveexec_b32 s3, vcc_lo
	s_xor_b32 s3, exec_lo, s3
; %bb.107:
	v_bfe_u32 v8, v136, 16, 1
	s_delay_alu instid0(VALU_DEP_1)
	v_add3_u32 v8, v136, v8, 0x7fff
                                        ; implicit-def: $vgpr129_vgpr130_vgpr131_vgpr132_vgpr133_vgpr134_vgpr135_vgpr136
; %bb.108:
	s_and_not1_saveexec_b32 s3, s3
; %bb.109:
	v_and_b32_e32 v8, 0xffff, v136
	v_or_b32_e32 v9, 0x10000, v136
	s_delay_alu instid0(VALU_DEP_2) | instskip(NEXT) | instid1(VALU_DEP_2)
	v_cmp_eq_u32_e32 vcc_lo, 0, v8
	v_cndmask_b32_e32 v8, v9, v136, vcc_lo
; %bb.110:
	s_or_b32 exec_lo, exec_lo, s3
	s_delay_alu instid0(VALU_DEP_1)
	v_perm_b32 v7, v8, v7, 0x7060302
	v_perm_b32 v6, v6, v5, 0x7060302
	;; [unrolled: 1-line block ×4, first 2 shown]
	v_lshl_or_b32 v9, v146, 4, v141
	s_barrier
	buffer_gl0_inv
	v_cmp_eq_u32_e32 vcc_lo, 1, v138
	ds_store_b128 v9, v[4:7]
	s_waitcnt lgkmcnt(0)
	s_barrier
	buffer_gl0_inv
	ds_load_b128 v[1:4], v141
	ds_load_b128 v[5:8], v141 offset:16
	v_cmp_eq_u32_e64 s4, 2, v138
	v_cmp_eq_u32_e64 s3, 1, v139
	;; [unrolled: 1-line block ×5, first 2 shown]
	s_waitcnt lgkmcnt(1)
	v_lshrrev_b32_e32 v10, 16, v1
	s_waitcnt lgkmcnt(0)
	v_lshrrev_b32_e32 v14, 16, v5
	v_lshrrev_b32_e32 v15, 16, v6
	;; [unrolled: 1-line block ×4, first 2 shown]
	v_cndmask_b32_e64 v20, v1, v10, s3
	v_cndmask_b32_e32 v19, v5, v14, vcc_lo
	v_cndmask_b32_e64 v21, v5, v14, s3
	v_lshrrev_b32_e32 v16, 16, v7
	v_cmp_eq_u32_e64 s3, 1, v137
	v_lshrrev_b32_e32 v13, 16, v4
	v_cndmask_b32_e64 v19, v19, v6, s4
	v_lshrrev_b32_e32 v17, 16, v8
	s_delay_alu instid0(VALU_DEP_4) | instskip(SKIP_1) | instid1(VALU_DEP_4)
	v_cndmask_b32_e64 v22, v1, v10, s3
	v_cndmask_b32_e64 v23, v5, v14, s3
	;; [unrolled: 1-line block ×3, first 2 shown]
	v_cndmask_b32_e32 v18, v1, v10, vcc_lo
	v_cmp_eq_u32_e32 vcc_lo, 2, v139
	v_cmp_eq_u32_e64 s3, 2, v142
	v_cndmask_b32_e64 v22, v22, v2, s7
	v_cndmask_b32_e32 v20, v20, v2, vcc_lo
	v_cndmask_b32_e32 v21, v21, v6, vcc_lo
	v_cmp_eq_u32_e32 vcc_lo, 4, v138
	v_cndmask_b32_e32 v19, v19, v7, vcc_lo
	v_cndmask_b32_e64 v18, v18, v2, s4
	v_cmp_eq_u32_e64 s4, 3, v139
	s_delay_alu instid0(VALU_DEP_2) | instskip(NEXT) | instid1(VALU_DEP_2)
	v_cndmask_b32_e64 v18, v18, v11, s5
	v_cndmask_b32_e64 v21, v21, v15, s4
	v_cmp_eq_u32_e64 s5, 5, v138
	s_delay_alu instid0(VALU_DEP_3) | instskip(SKIP_1) | instid1(VALU_DEP_3)
	v_cndmask_b32_e32 v18, v18, v3, vcc_lo
	v_cmp_eq_u32_e32 vcc_lo, 4, v139
	v_cndmask_b32_e64 v19, v19, v16, s5
	s_delay_alu instid0(VALU_DEP_3) | instskip(SKIP_4) | instid1(VALU_DEP_3)
	v_cndmask_b32_e64 v18, v18, v12, s5
	v_cndmask_b32_e32 v21, v21, v7, vcc_lo
	v_cndmask_b32_e64 v20, v20, v11, s4
	v_cmp_eq_u32_e64 s4, 5, v139
	v_cmp_eq_u32_e64 s5, 6, v138
	v_cndmask_b32_e32 v20, v20, v3, vcc_lo
	s_delay_alu instid0(VALU_DEP_3) | instskip(SKIP_1) | instid1(VALU_DEP_4)
	v_cndmask_b32_e64 v21, v21, v16, s4
	v_cmp_eq_u32_e32 vcc_lo, 6, v139
	v_cndmask_b32_e64 v18, v18, v4, s5
	v_cndmask_b32_e64 v19, v19, v8, s5
	;; [unrolled: 1-line block ×3, first 2 shown]
	v_cmp_eq_u32_e64 s4, 1, v142
	v_cmp_eq_u32_e64 s5, 7, v138
	s_delay_alu instid0(VALU_DEP_3) | instskip(NEXT) | instid1(VALU_DEP_3)
	v_cndmask_b32_e32 v20, v20, v4, vcc_lo
	v_cndmask_b32_e64 v1, v1, v10, s4
	v_cndmask_b32_e64 v5, v5, v14, s4
	v_cmp_eq_u32_e64 s4, 3, v137
	v_cndmask_b32_e64 v14, v23, v6, s7
	v_cmp_eq_u32_e64 s7, 3, v142
	v_cndmask_b32_e64 v1, v1, v2, s3
	v_cndmask_b32_e64 v2, v5, v6, s3
	;; [unrolled: 1-line block ×3, first 2 shown]
	v_cmp_eq_u32_e64 s3, 4, v137
	v_cndmask_b32_e64 v6, v14, v15, s4
	v_cndmask_b32_e64 v1, v1, v11, s7
	v_cmp_eq_u32_e64 s4, 4, v142
	v_cndmask_b32_e64 v2, v2, v15, s7
	v_cndmask_b32_e64 v5, v10, v3, s3
	;; [unrolled: 3-line block ×3, first 2 shown]
	v_cndmask_b32_e64 v2, v2, v7, s4
	v_cmp_eq_u32_e64 s3, 5, v142
	v_cndmask_b32_e64 v5, v5, v12, s7
	v_cmp_eq_u32_e64 s4, 6, v137
	;; [unrolled: 2-line block ×3, first 2 shown]
	v_cndmask_b32_e64 v1, v1, v12, s3
	v_cndmask_b32_e64 v2, v2, v16, s3
	;; [unrolled: 1-line block ×4, first 2 shown]
	v_cmp_eq_u32_e64 s3, 7, v142
	v_cndmask_b32_e64 v1, v1, v4, s7
	v_cndmask_b32_e64 v2, v2, v8, s7
	v_cmp_eq_u32_e64 s4, 7, v137
	v_cndmask_b32_e32 v4, v21, v8, vcc_lo
	v_cndmask_b32_e64 v18, v18, v13, s5
	v_cndmask_b32_e64 v20, v20, v13, s6
	;; [unrolled: 1-line block ×8, first 2 shown]
	v_cmp_gt_u32_e32 vcc_lo, 32, v0
	v_perm_b32 v4, v2, v1, 0x5040100
	v_perm_b32 v3, v3, v5, 0x5040100
	;; [unrolled: 1-line block ×4, first 2 shown]
	s_and_b32 s2, vcc_lo, s2
	ds_store_b128 v9, v[1:4]
	s_waitcnt lgkmcnt(0)
	s_barrier
	buffer_gl0_inv
	s_and_saveexec_b32 s3, s2
	s_cbranch_execz .LBB487_2
; %bb.111:
	s_load_b64 s[0:1], s[0:1], 0x68
	s_lshl_b32 s4, s34, 6
	v_or_b32_e32 v2, s31, v146
	s_mul_i32 s2, s4, s30
	v_lshlrev_b32_e32 v0, 10, v0
	s_mul_i32 s2, s2, s8
	v_lshlrev_b32_e32 v1, 4, v147
	s_ashr_i32 s3, s2, 31
	v_mul_lo_u32 v20, v2, s4
	s_lshl_b64 s[2:3], s[2:3], 1
	v_lshlrev_b32_e32 v3, 6, v146
	v_and_b32_e32 v0, 0x3800, v0
	s_delay_alu instid0(VALU_DEP_1) | instskip(NEXT) | instid1(VALU_DEP_4)
	v_or3_b32 v16, v0, v1, v3
	v_ashrrev_i32_e32 v21, 31, v20
	ds_load_b128 v[0:3], v16
	ds_load_b128 v[4:7], v16 offset:128
	s_waitcnt lgkmcnt(0)
	s_add_u32 s2, s0, s2
	s_addc_u32 s3, s1, s3
	s_lshl_b32 s0, s14, 6
	ds_load_b128 v[8:11], v16 offset:256
	ds_load_b128 v[12:15], v16 offset:384
	;; [unrolled: 1-line block ×3, first 2 shown]
	s_ashr_i32 s1, s0, 31
	s_delay_alu instid0(SALU_CYCLE_1) | instskip(NEXT) | instid1(SALU_CYCLE_1)
	s_lshl_b64 s[0:1], s[0:1], 1
	s_add_u32 s0, s2, s0
	s_addc_u32 s1, s3, s1
	s_lshl_b32 s2, s34, 7
	v_add_co_u32 v30, s0, s0, v145
	v_add_nc_u32_e32 v22, s2, v20
	v_lshlrev_b64 v[20:21], 1, v[20:21]
	v_add_co_ci_u32_e64 v31, null, s1, 0, s0
	s_delay_alu instid0(VALU_DEP_3) | instskip(SKIP_1) | instid1(VALU_DEP_4)
	v_add_nc_u32_e32 v24, s2, v22
	v_ashrrev_i32_e32 v23, 31, v22
	v_add_co_u32 v20, vcc_lo, v30, v20
	s_delay_alu instid0(VALU_DEP_4) | instskip(NEXT) | instid1(VALU_DEP_4)
	v_add_co_ci_u32_e32 v21, vcc_lo, v31, v21, vcc_lo
	v_add_nc_u32_e32 v26, s2, v24
	v_ashrrev_i32_e32 v25, 31, v24
	v_lshlrev_b64 v[22:23], 1, v[22:23]
	s_delay_alu instid0(VALU_DEP_3) | instskip(SKIP_1) | instid1(VALU_DEP_4)
	v_add_nc_u32_e32 v28, s2, v26
	v_ashrrev_i32_e32 v27, 31, v26
	v_lshlrev_b64 v[24:25], 1, v[24:25]
	s_delay_alu instid0(VALU_DEP_4) | instskip(NEXT) | instid1(VALU_DEP_4)
	v_add_co_u32 v22, vcc_lo, v30, v22
	v_ashrrev_i32_e32 v29, 31, v28
	s_delay_alu instid0(VALU_DEP_4) | instskip(SKIP_2) | instid1(VALU_DEP_4)
	v_lshlrev_b64 v[26:27], 1, v[26:27]
	v_add_co_ci_u32_e32 v23, vcc_lo, v31, v23, vcc_lo
	v_add_co_u32 v24, vcc_lo, v30, v24
	v_lshlrev_b64 v[28:29], 1, v[28:29]
	v_add_co_ci_u32_e32 v25, vcc_lo, v31, v25, vcc_lo
	v_add_co_u32 v26, vcc_lo, v30, v26
	v_add_co_ci_u32_e32 v27, vcc_lo, v31, v27, vcc_lo
	s_delay_alu instid0(VALU_DEP_4)
	v_add_co_u32 v28, vcc_lo, v30, v28
	v_add_co_ci_u32_e32 v29, vcc_lo, v31, v29, vcc_lo
	s_clause 0x1
	global_store_b128 v[20:21], v[0:3], off
	global_store_b128 v[22:23], v[4:7], off
	s_waitcnt lgkmcnt(2)
	global_store_b128 v[24:25], v[8:11], off
	s_waitcnt lgkmcnt(1)
	;; [unrolled: 2-line block ×3, first 2 shown]
	global_store_b128 v[28:29], v[16:19], off
	s_nop 0
	s_sendmsg sendmsg(MSG_DEALLOC_VGPRS)
	s_endpgm
	.section	.rodata,"a",@progbits
	.p2align	6, 0x0
	.amdhsa_kernel _Z39paged_attention_ll4mi_QKV_mfma16_kernelI14__hip_bfloat16S0_LN4vllm18Fp8KVCacheDataTypeE0ES0_Li16ELi64ELi256ELb0ELi10EL8MFMAType0EEvPKT_PKT0_S9_ifPKiSB_SB_iPKfiiiPfSE_PS4_PT2_iSD_SD_
		.amdhsa_group_segment_fixed_size 17472
		.amdhsa_private_segment_fixed_size 0
		.amdhsa_kernarg_size 400
		.amdhsa_user_sgpr_count 13
		.amdhsa_user_sgpr_dispatch_ptr 0
		.amdhsa_user_sgpr_queue_ptr 0
		.amdhsa_user_sgpr_kernarg_segment_ptr 1
		.amdhsa_user_sgpr_dispatch_id 0
		.amdhsa_user_sgpr_private_segment_size 0
		.amdhsa_wavefront_size32 1
		.amdhsa_uses_dynamic_stack 0
		.amdhsa_enable_private_segment 0
		.amdhsa_system_sgpr_workgroup_id_x 1
		.amdhsa_system_sgpr_workgroup_id_y 1
		.amdhsa_system_sgpr_workgroup_id_z 1
		.amdhsa_system_sgpr_workgroup_info 0
		.amdhsa_system_vgpr_workitem_id 0
		.amdhsa_next_free_vgpr 198
		.amdhsa_next_free_sgpr 52
		.amdhsa_reserve_vcc 1
		.amdhsa_float_round_mode_32 0
		.amdhsa_float_round_mode_16_64 0
		.amdhsa_float_denorm_mode_32 3
		.amdhsa_float_denorm_mode_16_64 3
		.amdhsa_dx10_clamp 1
		.amdhsa_ieee_mode 1
		.amdhsa_fp16_overflow 0
		.amdhsa_workgroup_processor_mode 1
		.amdhsa_memory_ordered 1
		.amdhsa_forward_progress 0
		.amdhsa_shared_vgpr_count 0
		.amdhsa_exception_fp_ieee_invalid_op 0
		.amdhsa_exception_fp_denorm_src 0
		.amdhsa_exception_fp_ieee_div_zero 0
		.amdhsa_exception_fp_ieee_overflow 0
		.amdhsa_exception_fp_ieee_underflow 0
		.amdhsa_exception_fp_ieee_inexact 0
		.amdhsa_exception_int_div_zero 0
	.end_amdhsa_kernel
	.section	.text._Z39paged_attention_ll4mi_QKV_mfma16_kernelI14__hip_bfloat16S0_LN4vllm18Fp8KVCacheDataTypeE0ES0_Li16ELi64ELi256ELb0ELi10EL8MFMAType0EEvPKT_PKT0_S9_ifPKiSB_SB_iPKfiiiPfSE_PS4_PT2_iSD_SD_,"axG",@progbits,_Z39paged_attention_ll4mi_QKV_mfma16_kernelI14__hip_bfloat16S0_LN4vllm18Fp8KVCacheDataTypeE0ES0_Li16ELi64ELi256ELb0ELi10EL8MFMAType0EEvPKT_PKT0_S9_ifPKiSB_SB_iPKfiiiPfSE_PS4_PT2_iSD_SD_,comdat
.Lfunc_end487:
	.size	_Z39paged_attention_ll4mi_QKV_mfma16_kernelI14__hip_bfloat16S0_LN4vllm18Fp8KVCacheDataTypeE0ES0_Li16ELi64ELi256ELb0ELi10EL8MFMAType0EEvPKT_PKT0_S9_ifPKiSB_SB_iPKfiiiPfSE_PS4_PT2_iSD_SD_, .Lfunc_end487-_Z39paged_attention_ll4mi_QKV_mfma16_kernelI14__hip_bfloat16S0_LN4vllm18Fp8KVCacheDataTypeE0ES0_Li16ELi64ELi256ELb0ELi10EL8MFMAType0EEvPKT_PKT0_S9_ifPKiSB_SB_iPKfiiiPfSE_PS4_PT2_iSD_SD_
                                        ; -- End function
	.section	.AMDGPU.csdata,"",@progbits
; Kernel info:
; codeLenInByte = 10116
; NumSgprs: 54
; NumVgprs: 198
; ScratchSize: 0
; MemoryBound: 0
; FloatMode: 240
; IeeeMode: 1
; LDSByteSize: 17472 bytes/workgroup (compile time only)
; SGPRBlocks: 6
; VGPRBlocks: 24
; NumSGPRsForWavesPerEU: 54
; NumVGPRsForWavesPerEU: 198
; Occupancy: 7
; WaveLimiterHint : 1
; COMPUTE_PGM_RSRC2:SCRATCH_EN: 0
; COMPUTE_PGM_RSRC2:USER_SGPR: 13
; COMPUTE_PGM_RSRC2:TRAP_HANDLER: 0
; COMPUTE_PGM_RSRC2:TGID_X_EN: 1
; COMPUTE_PGM_RSRC2:TGID_Y_EN: 1
; COMPUTE_PGM_RSRC2:TGID_Z_EN: 1
; COMPUTE_PGM_RSRC2:TIDIG_COMP_CNT: 0
	.section	.text._Z39paged_attention_ll4mi_QKV_mfma16_kernelI14__hip_bfloat16S0_LN4vllm18Fp8KVCacheDataTypeE0ES0_Li16ELi64ELi256ELb0ELi11EL8MFMAType0EEvPKT_PKT0_S9_ifPKiSB_SB_iPKfiiiPfSE_PS4_PT2_iSD_SD_,"axG",@progbits,_Z39paged_attention_ll4mi_QKV_mfma16_kernelI14__hip_bfloat16S0_LN4vllm18Fp8KVCacheDataTypeE0ES0_Li16ELi64ELi256ELb0ELi11EL8MFMAType0EEvPKT_PKT0_S9_ifPKiSB_SB_iPKfiiiPfSE_PS4_PT2_iSD_SD_,comdat
	.protected	_Z39paged_attention_ll4mi_QKV_mfma16_kernelI14__hip_bfloat16S0_LN4vllm18Fp8KVCacheDataTypeE0ES0_Li16ELi64ELi256ELb0ELi11EL8MFMAType0EEvPKT_PKT0_S9_ifPKiSB_SB_iPKfiiiPfSE_PS4_PT2_iSD_SD_ ; -- Begin function _Z39paged_attention_ll4mi_QKV_mfma16_kernelI14__hip_bfloat16S0_LN4vllm18Fp8KVCacheDataTypeE0ES0_Li16ELi64ELi256ELb0ELi11EL8MFMAType0EEvPKT_PKT0_S9_ifPKiSB_SB_iPKfiiiPfSE_PS4_PT2_iSD_SD_
	.globl	_Z39paged_attention_ll4mi_QKV_mfma16_kernelI14__hip_bfloat16S0_LN4vllm18Fp8KVCacheDataTypeE0ES0_Li16ELi64ELi256ELb0ELi11EL8MFMAType0EEvPKT_PKT0_S9_ifPKiSB_SB_iPKfiiiPfSE_PS4_PT2_iSD_SD_
	.p2align	8
	.type	_Z39paged_attention_ll4mi_QKV_mfma16_kernelI14__hip_bfloat16S0_LN4vllm18Fp8KVCacheDataTypeE0ES0_Li16ELi64ELi256ELb0ELi11EL8MFMAType0EEvPKT_PKT0_S9_ifPKiSB_SB_iPKfiiiPfSE_PS4_PT2_iSD_SD_,@function
_Z39paged_attention_ll4mi_QKV_mfma16_kernelI14__hip_bfloat16S0_LN4vllm18Fp8KVCacheDataTypeE0ES0_Li16ELi64ELi256ELb0ELi11EL8MFMAType0EEvPKT_PKT0_S9_ifPKiSB_SB_iPKfiiiPfSE_PS4_PT2_iSD_SD_: ; @_Z39paged_attention_ll4mi_QKV_mfma16_kernelI14__hip_bfloat16S0_LN4vllm18Fp8KVCacheDataTypeE0ES0_Li16ELi64ELi256ELb0ELi11EL8MFMAType0EEvPKT_PKT0_S9_ifPKiSB_SB_iPKfiiiPfSE_PS4_PT2_iSD_SD_
; %bb.0:
	s_load_b64 s[2:3], s[0:1], 0x30
	s_mov_b32 s34, s13
	s_waitcnt lgkmcnt(0)
	s_cmp_lg_u64 s[2:3], 0
	s_cselect_b32 s6, -1, 0
	s_ashr_i32 s35, s13, 31
	s_cmp_eq_u64 s[2:3], 0
	s_cbranch_scc1 .LBB488_3
; %bb.1:
	s_lshl_b64 s[4:5], s[34:35], 2
	s_delay_alu instid0(SALU_CYCLE_1) | instskip(SKIP_4) | instid1(SALU_CYCLE_1)
	s_add_u32 s4, s2, s4
	s_addc_u32 s5, s3, s5
	s_load_b64 s[4:5], s[4:5], 0x0
	s_waitcnt lgkmcnt(0)
	s_sub_i32 s4, s5, s4
	s_cmp_eq_u32 s4, 1
	s_cselect_b32 s4, -1, 0
	s_delay_alu instid0(SALU_CYCLE_1)
	s_and_not1_b32 vcc_lo, exec_lo, s4
	s_cbranch_vccz .LBB488_4
.LBB488_2:
	s_nop 0
	s_sendmsg sendmsg(MSG_DEALLOC_VGPRS)
	s_endpgm
.LBB488_3:
.LBB488_4:
	s_load_b64 s[8:9], s[0:1], 0x28
	s_lshl_b64 s[4:5], s[34:35], 2
	s_waitcnt lgkmcnt(0)
	s_add_u32 s8, s8, s4
	s_addc_u32 s9, s9, s5
	s_lshl_b32 s33, s14, 8
	s_load_b32 s30, s[8:9], 0x0
	s_waitcnt lgkmcnt(0)
	s_cmp_ge_i32 s33, s30
	s_cbranch_scc1 .LBB488_2
; %bb.5:
	s_clause 0x1
	s_load_b128 s[8:11], s[0:1], 0x8
	s_load_b64 s[12:13], s[0:1], 0x20
	s_and_not1_b32 vcc_lo, exec_lo, s6
	s_cbranch_vccnz .LBB488_7
; %bb.6:
	s_add_u32 s2, s2, s4
	s_addc_u32 s3, s3, s5
	s_load_b32 s3, s[2:3], 0x0
	s_branch .LBB488_8
.LBB488_7:
	s_mov_b32 s3, s34
.LBB488_8:
	s_load_b128 s[4:7], s[0:1], 0x48
	v_lshrrev_b32_e32 v149, 5, v0
	v_bfe_u32 v146, v0, 4, 1
	v_and_b32_e32 v148, 15, v0
	v_and_b32_e32 v150, 31, v0
	;; [unrolled: 1-line block ×3, first 2 shown]
	s_mul_i32 s31, s15, 11
	v_lshl_or_b32 v1, v149, 1, v146
	v_lshlrev_b32_e32 v2, 3, v148
	v_cmp_gt_u32_e64 s2, 8, v148
	s_delay_alu instid0(VALU_DEP_3) | instskip(NEXT) | instid1(VALU_DEP_3)
	v_cmp_gt_u32_e32 vcc_lo, 11, v1
	v_lshlrev_b32_e32 v145, 1, v2
	s_delay_alu instid0(VALU_DEP_3)
	s_and_b32 s16, s2, vcc_lo
	s_waitcnt lgkmcnt(0)
	s_and_saveexec_b32 s7, s16
	s_cbranch_execz .LBB488_10
; %bb.9:
	s_load_b64 s[16:17], s[0:1], 0x0
	v_add_lshl_u32 v2, v1, s31, 6
	s_mul_hi_i32 s19, s3, s4
	s_mul_i32 s18, s3, s4
	v_lshlrev_b32_e32 v6, 10, v148
	s_lshl_b64 s[18:19], s[18:19], 1
	v_ashrrev_i32_e32 v3, 31, v2
	v_lshlrev_b32_e32 v1, 6, v1
	v_lshlrev_b32_e32 v7, 10, v147
	v_and_b32_e32 v6, 0x3800, v6
	s_delay_alu instid0(VALU_DEP_4) | instskip(NEXT) | instid1(VALU_DEP_2)
	v_lshlrev_b64 v[2:3], 1, v[2:3]
	v_or3_b32 v1, v6, v7, v1
	s_waitcnt lgkmcnt(0)
	s_add_u32 s3, s16, s18
	s_addc_u32 s4, s17, s19
	s_delay_alu instid0(VALU_DEP_2) | instskip(SKIP_1) | instid1(VALU_DEP_2)
	v_add_co_u32 v2, vcc_lo, s3, v2
	v_add_co_ci_u32_e32 v3, vcc_lo, s4, v3, vcc_lo
	v_add_co_u32 v2, vcc_lo, v2, v145
	s_delay_alu instid0(VALU_DEP_2)
	v_add_co_ci_u32_e32 v3, vcc_lo, 0, v3, vcc_lo
	global_load_b128 v[2:5], v[2:3], off
	s_waitcnt vmcnt(0)
	ds_store_b128 v1, v[2:5]
.LBB488_10:
	s_or_b32 exec_lo, exec_lo, s7
	s_mov_b32 s40, 0
	s_add_i32 s3, s30, 15
	s_mov_b32 s41, s40
	s_mov_b32 s42, s40
	;; [unrolled: 1-line block ×7, first 2 shown]
	s_delay_alu instid0(SALU_CYCLE_1)
	v_dual_mov_b32 v144, s47 :: v_dual_and_b32 v1, 0xef, v0
	v_mov_b32_e32 v142, s45
	s_ashr_i32 s7, s3, 31
	s_clause 0x1
	s_load_b32 s4, s[0:1], 0x38
	s_load_b32 s35, s[0:1], 0x1c
	v_add_nc_u32_e32 v1, s33, v1
	s_lshr_b32 s7, s7, 28
	s_waitcnt lgkmcnt(0)
	s_add_i32 s3, s3, s7
	s_barrier
	v_ashrrev_i32_e32 v2, 31, v1
	v_or_b32_e32 v3, 16, v1
	s_ashr_i32 s3, s3, 4
	v_cmp_gt_i32_e32 vcc_lo, s30, v1
	s_add_i32 s3, s3, -1
	v_lshrrev_b32_e32 v2, 28, v2
	v_mov_b32_e32 v143, s46
	buffer_gl0_inv
	s_mul_i32 s6, s15, s6
	v_add_nc_u32_e32 v21, -11, v148
	v_dual_mov_b32 v141, s44 :: v_dual_add_nc_u32 v4, v1, v2
	v_mov_b32_e32 v139, s42
	s_mul_i32 s16, s34, s4
	v_mov_b32_e32 v137, s40
	s_delay_alu instid0(VALU_DEP_3)
	v_ashrrev_i32_e32 v4, 4, v4
	v_add_nc_u32_e32 v2, v3, v2
	v_lshlrev_b32_e32 v22, 5, v148
	s_ashr_i32 s17, s16, 31
	v_mov_b32_e32 v140, s43
	v_cndmask_b32_e32 v1, s3, v4, vcc_lo
	v_ashrrev_i32_e32 v2, 4, v2
	v_cmp_gt_i32_e32 vcc_lo, s30, v3
	s_lshl_b64 s[16:17], s[16:17], 2
	v_lshl_or_b32 v22, v149, 9, v22
	s_add_u32 s4, s12, s16
	s_addc_u32 s36, s13, s17
	v_cndmask_b32_e32 v3, s3, v2, vcc_lo
	v_ashrrev_i32_e32 v2, 31, v1
	s_ashr_i32 s7, s6, 31
	v_mov_b32_e32 v138, s41
	s_lshl_b64 s[6:7], s[6:7], 1
	v_ashrrev_i32_e32 v4, 31, v3
	v_lshlrev_b64 v[1:2], 2, v[1:2]
	s_add_u32 s24, s8, s6
	s_addc_u32 s25, s9, s7
	s_lshl_b32 s8, s14, 4
	v_lshlrev_b64 v[3:4], 2, v[3:4]
	s_ashr_i32 s9, s8, 31
	v_add_co_u32 v1, vcc_lo, s4, v1
	v_add_co_ci_u32_e32 v2, vcc_lo, s36, v2, vcc_lo
	s_delay_alu instid0(VALU_DEP_3) | instskip(NEXT) | instid1(VALU_DEP_4)
	v_add_co_u32 v3, vcc_lo, s4, v3
	v_add_co_ci_u32_e32 v4, vcc_lo, s36, v4, vcc_lo
	s_clause 0x1
	global_load_b32 v5, v[1:2], off
	global_load_b32 v6, v[3:4], off
	s_lshl_b64 s[8:9], s[8:9], 2
	v_lshlrev_b32_e32 v3, 4, v0
	s_add_u32 s8, s4, s8
	s_addc_u32 s9, s36, s9
	s_or_b32 s12, s33, 16
	s_delay_alu instid0(SALU_CYCLE_1) | instskip(SKIP_2) | instid1(SALU_CYCLE_1)
	s_ashr_i32 s13, s12, 4
	s_cmp_lt_i32 s12, s30
	s_cselect_b32 s12, s13, s3
	s_ashr_i32 s13, s12, 31
	s_delay_alu instid0(SALU_CYCLE_1) | instskip(NEXT) | instid1(SALU_CYCLE_1)
	s_lshl_b64 s[12:13], s[12:13], 2
	s_add_u32 s12, s4, s12
	s_addc_u32 s13, s36, s13
	s_or_b32 s15, s33, 32
	s_delay_alu instid0(SALU_CYCLE_1) | instskip(SKIP_2) | instid1(SALU_CYCLE_1)
	s_ashr_i32 s16, s15, 4
	s_cmp_lt_i32 s15, s30
	s_cselect_b32 s16, s16, s3
	s_ashr_i32 s17, s16, 31
	s_delay_alu instid0(SALU_CYCLE_1) | instskip(NEXT) | instid1(SALU_CYCLE_1)
	s_lshl_b64 s[16:17], s[16:17], 2
	;; [unrolled: 10-line block ×5, first 2 shown]
	s_add_u32 s22, s4, s22
	s_addc_u32 s23, s36, s23
	s_clause 0x5
	s_load_b32 s8, s[8:9], 0x0
	s_load_b32 s12, s[12:13], 0x0
	;; [unrolled: 1-line block ×6, first 2 shown]
	s_waitcnt lgkmcnt(0)
	s_mul_hi_i32 s17, s16, s5
	s_mul_i32 s16, s16, s5
	s_waitcnt vmcnt(1)
	v_mad_i64_i32 v[1:2], null, v5, s5, 0
	v_and_b32_e32 v5, 0xf0, v3
	s_waitcnt vmcnt(0)
	v_mad_i64_i32 v[3:4], null, v6, s5, 0
	s_delay_alu instid0(VALU_DEP_2) | instskip(NEXT) | instid1(VALU_DEP_4)
	v_add_co_u32 v5, s9, s24, v5
	v_lshlrev_b64 v[1:2], 1, v[1:2]
	v_add_co_ci_u32_e64 v6, null, s25, 0, s9
	s_delay_alu instid0(VALU_DEP_4) | instskip(SKIP_1) | instid1(VALU_DEP_3)
	v_lshlrev_b64 v[3:4], 1, v[3:4]
	s_or_b32 s9, s33, 0x60
	v_add_co_u32 v19, vcc_lo, v5, v1
	s_delay_alu instid0(VALU_DEP_3) | instskip(NEXT) | instid1(VALU_DEP_3)
	v_add_co_ci_u32_e32 v20, vcc_lo, v6, v2, vcc_lo
	v_add_co_u32 v17, vcc_lo, v5, v3
	s_delay_alu instid0(VALU_DEP_4)
	v_add_co_ci_u32_e32 v18, vcc_lo, v6, v4, vcc_lo
	s_clause 0x9
	global_load_b128 v[1:4], v[19:20], off
	global_load_b128 v[5:8], v[19:20], off offset:256
	global_load_b128 v[129:132], v[17:18], off
	global_load_b128 v[133:136], v[17:18], off offset:256
	global_load_b128 v[33:36], v[19:20], off offset:512
	;; [unrolled: 1-line block ×7, first 2 shown]
	v_cmp_gt_u32_e32 vcc_lo, 11, v148
	s_clause 0x1
	global_load_b128 v[151:154], v[17:18], off offset:1024
	global_load_b128 v[155:158], v[17:18], off offset:1280
	s_ashr_i32 s13, s9, 4
	s_cmp_lt_i32 s9, s30
	v_cndmask_b32_e32 v21, v21, v148, vcc_lo
	s_cselect_b32 s22, s13, s3
	s_delay_alu instid0(SALU_CYCLE_1) | instskip(NEXT) | instid1(VALU_DEP_1)
	s_ashr_i32 s23, s22, 31
	v_lshlrev_b32_e32 v197, 6, v21
	ds_load_b128 v[159:162], v197
	ds_load_b128 v[163:166], v197 offset:1024
	s_clause 0x3
	global_load_b128 v[167:170], v[19:20], off offset:1536
	global_load_b128 v[171:174], v[19:20], off offset:1792
	;; [unrolled: 1-line block ×4, first 2 shown]
	s_lshl_b64 s[22:23], s[22:23], 2
	s_delay_alu instid0(SALU_CYCLE_1) | instskip(SKIP_2) | instid1(SALU_CYCLE_1)
	s_add_u32 s22, s4, s22
	s_addc_u32 s23, s36, s23
	s_or_b32 s9, s33, 0x70
	s_ashr_i32 s13, s9, 4
	s_cmp_lt_i32 s9, s30
	s_cselect_b32 s24, s13, s3
	s_delay_alu instid0(SALU_CYCLE_1) | instskip(NEXT) | instid1(SALU_CYCLE_1)
	s_ashr_i32 s25, s24, 31
	s_lshl_b64 s[24:25], s[24:25], 2
	s_delay_alu instid0(SALU_CYCLE_1)
	s_add_u32 s24, s4, s24
	s_addc_u32 s25, s36, s25
	s_or_b32 s9, s33, 0x80
	s_load_b32 s46, s[24:25], 0x0
	s_ashr_i32 s13, s9, 4
	s_cmp_lt_i32 s9, s30
	s_cselect_b32 s26, s13, s3
	s_delay_alu instid0(SALU_CYCLE_1) | instskip(NEXT) | instid1(SALU_CYCLE_1)
	s_ashr_i32 s27, s26, 31
	s_lshl_b64 s[26:27], s[26:27], 2
	s_delay_alu instid0(SALU_CYCLE_1)
	s_add_u32 s26, s4, s26
	s_addc_u32 s27, s36, s27
	s_or_b32 s9, s33, 0x90
	s_load_b32 s47, s[26:27], 0x0
	s_ashr_i32 s13, s9, 4
	s_cmp_lt_i32 s9, s30
	s_cselect_b32 s28, s13, s3
	s_delay_alu instid0(SALU_CYCLE_1) | instskip(NEXT) | instid1(SALU_CYCLE_1)
	s_ashr_i32 s29, s28, 31
	s_lshl_b64 s[28:29], s[28:29], 2
	s_delay_alu instid0(SALU_CYCLE_1) | instskip(SKIP_2) | instid1(SALU_CYCLE_1)
	s_add_u32 s28, s4, s28
	s_addc_u32 s29, s36, s29
	s_or_b32 s9, s33, 0xa0
	s_ashr_i32 s13, s9, 4
	s_cmp_lt_i32 s9, s30
	s_cselect_b32 s38, s13, s3
	s_delay_alu instid0(SALU_CYCLE_1) | instskip(NEXT) | instid1(SALU_CYCLE_1)
	s_ashr_i32 s39, s38, 31
	s_lshl_b64 s[38:39], s[38:39], 2
	s_delay_alu instid0(SALU_CYCLE_1)
	s_add_u32 s38, s4, s38
	s_addc_u32 s39, s36, s39
	s_or_b32 s9, s33, 0xb0
	s_load_b32 s39, s[38:39], 0x0
	s_ashr_i32 s13, s9, 4
	s_cmp_lt_i32 s9, s30
	s_mul_hi_i32 s9, s8, s5
	s_cselect_b32 s40, s13, s3
	s_mul_i32 s8, s8, s5
	s_ashr_i32 s41, s40, 31
	s_mul_hi_i32 s13, s12, s5
	s_lshl_b64 s[40:41], s[40:41], 2
	s_mul_i32 s12, s12, s5
	s_add_u32 s42, s4, s40
	s_addc_u32 s43, s36, s41
	s_or_b32 s19, s33, 0xc0
	s_delay_alu instid0(SALU_CYCLE_1)
	s_ashr_i32 s21, s19, 4
	s_cmp_lt_i32 s19, s30
	s_mul_hi_i32 s19, s18, s5
	s_cselect_b32 s40, s21, s3
	s_mul_i32 s18, s18, s5
	s_ashr_i32 s41, s40, 31
	s_mul_hi_i32 s21, s20, s5
	s_lshl_b64 s[40:41], s[40:41], 2
	s_mul_i32 s20, s20, s5
	s_add_u32 s44, s4, s40
	s_load_b32 s40, s[28:29], 0x0
	s_addc_u32 s45, s36, s41
	s_or_b32 s37, s33, 0xd0
	s_load_b32 s41, s[22:23], 0x0
	s_ashr_i32 s22, s37, 4
	s_cmp_lt_i32 s37, s30
	s_mul_hi_i32 s23, s15, s5
	s_cselect_b32 s24, s22, s3
	s_mul_i32 s22, s15, s5
	s_ashr_i32 s25, s24, 31
	s_waitcnt lgkmcnt(0)
	s_mul_hi_i32 s27, s46, s5
	s_lshl_b64 s[24:25], s[24:25], 2
	s_mul_i32 s26, s46, s5
	s_add_u32 s24, s4, s24
	s_addc_u32 s25, s36, s25
	s_or_b32 s48, s33, 0xe0
	s_clause 0x2
	s_load_b32 s38, s[42:43], 0x0
	s_load_b32 s37, s[44:45], 0x0
	;; [unrolled: 1-line block ×3, first 2 shown]
	s_ashr_i32 s49, s48, 4
	s_cmp_lt_i32 s48, s30
	s_mul_hi_i32 s29, s47, s5
	s_cselect_b32 s42, s49, s3
	s_mul_i32 s28, s47, s5
	s_ashr_i32 s43, s42, 31
	s_mul_hi_i32 s25, s41, s5
	s_lshl_b64 s[42:43], s[42:43], 2
	s_mul_i32 s24, s41, s5
	s_add_u32 s42, s4, s42
	s_addc_u32 s43, s36, s43
	s_or_b32 s46, s33, 0xf0
	s_mul_hi_i32 s41, s40, s5
	s_ashr_i32 s47, s46, 4
	s_cmp_lt_i32 s46, s30
	s_mul_i32 s40, s40, s5
	s_cselect_b32 s46, s47, s3
	s_mul_hi_i32 s45, s39, s5
	s_ashr_i32 s47, s46, 31
	s_mul_i32 s44, s39, s5
	s_lshl_b64 s[46:47], s[46:47], 2
	s_waitcnt lgkmcnt(0)
	s_mul_hi_i32 s39, s38, s5
	s_add_u32 s46, s4, s46
	s_addc_u32 s47, s36, s47
	s_add_u32 s3, s10, s6
	s_addc_u32 s4, s11, s7
	v_add_co_u32 v195, s3, s3, v22
	s_delay_alu instid0(VALU_DEP_1) | instskip(SKIP_2) | instid1(VALU_DEP_2)
	v_add_co_ci_u32_e64 v196, null, s4, 0, s3
	s_lshl_b64 s[6:7], s[8:9], 1
	s_lshl_b64 s[8:9], s[12:13], 1
	v_add_co_u32 v17, vcc_lo, v195, s6
	s_delay_alu instid0(VALU_DEP_2)
	v_add_co_ci_u32_e32 v18, vcc_lo, s7, v196, vcc_lo
	v_add_co_u32 v19, vcc_lo, v195, s8
	s_lshl_b64 s[10:11], s[16:17], 1
	v_add_co_ci_u32_e32 v20, vcc_lo, s9, v196, vcc_lo
	v_add_co_u32 v21, vcc_lo, v195, s10
	s_lshl_b64 s[12:13], s[18:19], 1
	;; [unrolled: 3-line block ×9, first 2 shown]
	s_mul_i32 s38, s38, s5
	v_add_co_ci_u32_e32 v54, vcc_lo, s27, v196, vcc_lo
	v_add_co_u32 v183, vcc_lo, v195, s28
	s_mul_hi_i32 s49, s37, s5
	s_mul_i32 s48, s37, s5
	s_lshl_b64 s[36:37], s[38:39], 1
	v_add_co_ci_u32_e32 v184, vcc_lo, s29, v196, vcc_lo
	v_add_co_u32 v185, vcc_lo, v195, s36
	s_lshl_b64 s[38:39], s[48:49], 1
	s_clause 0x1
	s_load_b32 s3, s[42:43], 0x0
	s_load_b32 s4, s[46:47], 0x0
	v_add_co_ci_u32_e32 v186, vcc_lo, s37, v196, vcc_lo
	v_add_co_u32 v191, vcc_lo, v195, s38
	v_add_co_ci_u32_e32 v192, vcc_lo, s39, v196, vcc_lo
	s_clause 0x17
	global_load_b128 v[121:124], v[17:18], off
	global_load_b128 v[125:128], v[17:18], off offset:16
	global_load_b128 v[113:116], v[19:20], off
	global_load_b128 v[117:120], v[19:20], off offset:16
	;; [unrolled: 2-line block ×12, first 2 shown]
	s_mul_hi_i32 s51, s15, s5
	s_mul_i32 s50, s15, s5
	s_delay_alu instid0(SALU_CYCLE_1) | instskip(NEXT) | instid1(SALU_CYCLE_1)
	s_lshl_b64 s[40:41], s[50:51], 1
	v_add_co_u32 v193, vcc_lo, v195, s40
	v_add_co_ci_u32_e32 v194, vcc_lo, s41, v196, vcc_lo
	s_waitcnt lgkmcnt(0)
	s_mul_hi_i32 s7, s3, s5
	s_mul_i32 s6, s3, s5
	s_mul_hi_i32 s9, s4, s5
	s_lshl_b64 s[6:7], s[6:7], 1
	s_mul_i32 s8, s4, s5
	s_delay_alu instid0(SALU_CYCLE_1)
	s_lshl_b64 s[4:5], s[8:9], 1
	s_waitcnt vmcnt(38)
	v_wmma_f32_16x16x16_bf16 v[183:190], v[1:8], v[159:166], v[137:144]
	s_waitcnt vmcnt(36)
	v_wmma_f32_16x16x16_bf16 v[137:144], v[129:136], v[159:166], v[137:144]
	s_clause 0x1
	global_load_b128 v[1:4], v[191:192], off
	global_load_b128 v[5:8], v[191:192], off offset:16
	ds_load_b128 v[129:132], v197 offset:2048
	ds_load_b128 v[133:136], v197 offset:3072
	;; [unrolled: 1-line block ×4, first 2 shown]
	v_add_co_u32 v191, vcc_lo, v195, s6
	v_add_co_ci_u32_e32 v192, vcc_lo, s7, v196, vcc_lo
	v_add_co_u32 v195, vcc_lo, v195, s4
	v_add_co_ci_u32_e32 v196, vcc_lo, s5, v196, vcc_lo
	s_waitcnt vmcnt(36) lgkmcnt(2)
	v_wmma_f32_16x16x16_bf16 v[183:190], v[33:40], v[129:136], v[183:190]
	s_waitcnt vmcnt(34)
	v_wmma_f32_16x16x16_bf16 v[137:144], v[25:32], v[129:136], v[137:144]
	s_clause 0x3
	global_load_b128 v[25:28], v[193:194], off
	global_load_b128 v[29:32], v[193:194], off offset:16
	global_load_b128 v[33:36], v[191:192], off
	global_load_b128 v[37:40], v[191:192], off offset:16
	v_and_b32_e32 v129, 0xe0, v0
	v_mbcnt_lo_u32_b32 v191, -1, 0
	s_waitcnt vmcnt(36) lgkmcnt(0)
	v_wmma_f32_16x16x16_bf16 v[183:190], v[9:16], v[159:166], v[183:190]
	s_clause 0x1
	global_load_b128 v[9:12], v[195:196], off
	global_load_b128 v[13:16], v[195:196], off offset:16
	s_waitcnt vmcnt(36)
	v_wmma_f32_16x16x16_bf16 v[137:144], v[151:158], v[159:166], v[137:144]
	v_add_nc_u32_e32 v192, s33, v129
	ds_load_b128 v[129:132], v197 offset:6144
	ds_load_b128 v[133:136], v197 offset:7168
	v_xor_b32_e32 v151, 16, v191
	s_waitcnt vmcnt(0) lgkmcnt(0)
	s_barrier
	v_or_b32_e32 v152, v192, v146
	buffer_gl0_inv
	v_cmp_gt_i32_e32 vcc_lo, 32, v151
	v_or_b32_e32 v153, 2, v152
	v_or_b32_e32 v154, 4, v152
	;; [unrolled: 1-line block ×5, first 2 shown]
	v_cmp_gt_i32_e64 s3, s30, v153
	v_cmp_gt_i32_e64 s4, s30, v154
	;; [unrolled: 1-line block ×3, first 2 shown]
	v_or_b32_e32 v158, 12, v152
	v_or_b32_e32 v159, 14, v152
	v_cmp_gt_i32_e64 s6, s30, v156
	v_wmma_f32_16x16x16_bf16 v[183:190], v[167:174], v[129:136], v[183:190]
	v_wmma_f32_16x16x16_bf16 v[137:144], v[175:182], v[129:136], v[137:144]
	v_cndmask_b32_e32 v151, v191, v151, vcc_lo
	v_cmp_gt_i32_e32 vcc_lo, s30, v152
	v_cmp_gt_i32_e64 s7, s30, v157
	v_dual_mul_f32 v135, s35, v184 :: v_dual_mul_f32 v136, s35, v183
	v_dual_mul_f32 v133, s35, v186 :: v_dual_mul_f32 v134, s35, v185
	;; [unrolled: 1-line block ×3, first 2 shown]
	s_delay_alu instid0(VALU_DEP_3) | instskip(NEXT) | instid1(VALU_DEP_4)
	v_cndmask_b32_e32 v136, 0xff7fffff, v136, vcc_lo
	v_cndmask_b32_e64 v135, 0xff7fffff, v135, s3
	v_mul_f32_e32 v132, s35, v187
	v_cndmask_b32_e64 v134, 0xff7fffff, v134, s4
	v_cndmask_b32_e64 v133, 0xff7fffff, v133, s5
	v_or_b32_e32 v160, 16, v152
	v_max3_f32 v135, v136, 0xff7fffff, v135
	v_or_b32_e32 v161, 18, v152
	v_mul_f32_e32 v130, s35, v189
	v_dual_mul_f32 v172, s35, v140 :: v_dual_mul_f32 v129, s35, v190
	v_cndmask_b32_e64 v132, 0xff7fffff, v132, s6
	v_cndmask_b32_e64 v131, 0xff7fffff, v131, s7
	v_max3_f32 v133, v135, v134, v133
	v_cmp_gt_i32_e64 s8, s30, v158
	v_lshlrev_b32_e32 v158, 2, v151
	v_cmp_gt_i32_e64 s9, s30, v159
	v_or_b32_e32 v162, 20, v152
	v_or_b32_e32 v163, 22, v152
	v_mul_f32_e32 v175, s35, v137
	v_cndmask_b32_e64 v130, 0xff7fffff, v130, s8
	v_cndmask_b32_e64 v129, 0xff7fffff, v129, s9
	v_max3_f32 v131, v133, v132, v131
	v_cmp_gt_i32_e64 s10, s30, v160
	v_cmp_gt_i32_e64 s11, s30, v161
	v_or_b32_e32 v164, 24, v152
	v_or_b32_e32 v165, 26, v152
	v_mul_f32_e32 v173, s35, v139
	v_cndmask_b32_e64 v132, 0xff7fffff, v175, s10
	v_cndmask_b32_e64 v133, 0xff7fffff, v174, s11
	v_max3_f32 v129, v131, v130, v129
	v_cmp_gt_i32_e64 s12, s30, v162
	v_cmp_gt_i32_e64 s13, s30, v163
	v_or_b32_e32 v166, 28, v152
	v_or_b32_e32 v167, 30, v152
	v_dual_mul_f32 v170, s35, v142 :: v_dual_mul_f32 v171, s35, v141
	v_cndmask_b32_e64 v130, 0xff7fffff, v173, s12
	v_cndmask_b32_e64 v131, 0xff7fffff, v172, s13
	v_max3_f32 v129, v129, v132, v133
	v_cmp_gt_i32_e64 s15, s30, v164
	v_cmp_gt_i32_e64 s16, s30, v165
	v_dual_mul_f32 v168, s35, v144 :: v_dual_mul_f32 v169, s35, v143
	s_delay_alu instid0(VALU_DEP_4) | instskip(NEXT) | instid1(VALU_DEP_4)
	v_max3_f32 v129, v129, v130, v131
	v_cndmask_b32_e64 v132, 0xff7fffff, v171, s15
	s_delay_alu instid0(VALU_DEP_4) | instskip(SKIP_2) | instid1(VALU_DEP_3)
	v_cndmask_b32_e64 v133, 0xff7fffff, v170, s16
	v_cmp_gt_i32_e64 s17, s30, v166
	v_cmp_gt_i32_e64 s18, s30, v167
	v_max3_f32 v129, v129, v132, v133
	s_delay_alu instid0(VALU_DEP_3) | instskip(NEXT) | instid1(VALU_DEP_3)
	v_cndmask_b32_e64 v130, 0xff7fffff, v169, s17
	v_cndmask_b32_e64 v131, 0xff7fffff, v168, s18
	s_delay_alu instid0(VALU_DEP_1) | instskip(SKIP_3) | instid1(VALU_DEP_1)
	v_max3_f32 v129, v129, v130, v131
	ds_bpermute_b32 v130, v158, v129
	s_waitcnt lgkmcnt(0)
	v_max_f32_e32 v130, v130, v130
	v_max_f32_e32 v129, v129, v130
	s_delay_alu instid0(VALU_DEP_1)
	v_fma_f32 v130, s35, v183, -v129
	v_fma_f32 v132, s35, v185, -v129
	;; [unrolled: 1-line block ×5, first 2 shown]
	v_mul_f32_e32 v130, 0x3fb8aa3b, v130
	v_mul_f32_e32 v132, 0x3fb8aa3b, v132
	;; [unrolled: 1-line block ×3, first 2 shown]
	v_fma_f32 v135, s35, v189, -v129
	s_delay_alu instid0(VALU_DEP_4) | instskip(NEXT) | instid1(VALU_DEP_3)
	v_exp_f32_e32 v130, v130
	v_exp_f32_e32 v132, v132
	s_delay_alu instid0(VALU_DEP_2) | instskip(NEXT) | instid1(TRANS32_DEP_3)
	v_exp_f32_e32 v134, v134
	v_cndmask_b32_e32 v152, 0, v130, vcc_lo
	v_fma_f32 v130, s35, v188, -v129
	s_waitcnt_depctr 0xfff
	v_cndmask_b32_e64 v153, 0, v132, s4
	v_fma_f32 v132, s35, v190, -v129
	v_mul_f32_e32 v131, 0x3fb8aa3b, v131
	v_cndmask_b32_e64 v155, 0, v134, s6
	v_dual_mul_f32 v130, 0x3fb8aa3b, v130 :: v_dual_mul_f32 v133, 0x3fb8aa3b, v133
	s_delay_alu instid0(VALU_DEP_4) | instskip(NEXT) | instid1(VALU_DEP_4)
	v_mul_f32_e32 v132, 0x3fb8aa3b, v132
	v_exp_f32_e32 v131, v131
	v_fma_f32 v134, s35, v138, -v129
	s_delay_alu instid0(VALU_DEP_3) | instskip(SKIP_2) | instid1(VALU_DEP_1)
	v_exp_f32_e32 v130, v130
	v_exp_f32_e32 v133, v133
	;; [unrolled: 1-line block ×3, first 2 shown]
	v_mul_f32_e32 v134, 0x3fb8aa3b, v134
	v_cndmask_b32_e64 v151, 0, v131, s3
	v_add_f32_e32 v131, 0, v152
	s_delay_alu instid0(TRANS32_DEP_3)
	v_cndmask_b32_e64 v156, 0, v130, s7
	s_waitcnt_depctr 0xfff
	v_cndmask_b32_e64 v154, 0, v133, s5
	v_fma_f32 v133, s35, v137, -v129
	v_exp_f32_e32 v134, v134
	v_add_f32_e32 v131, v131, v151
	v_cmp_gt_u32_e64 s3, 16, v150
	s_delay_alu instid0(VALU_DEP_2) | instskip(NEXT) | instid1(VALU_DEP_1)
	v_add_f32_e32 v131, v131, v153
	v_add_f32_e32 v131, v131, v154
	s_delay_alu instid0(VALU_DEP_1) | instskip(SKIP_2) | instid1(VALU_DEP_3)
	v_add_f32_e32 v130, v131, v155
	v_fma_f32 v131, s35, v139, -v129
	v_fma_f32 v139, s35, v144, -v129
	v_dual_add_f32 v130, v130, v156 :: v_dual_mul_f32 v135, 0x3fb8aa3b, v135
	s_delay_alu instid0(VALU_DEP_1)
	v_exp_f32_e32 v135, v135
	s_waitcnt_depctr 0xfff
	v_cndmask_b32_e64 v157, 0, v135, s8
	v_fma_f32 v135, s35, v140, -v129
	v_cndmask_b32_e64 v140, 0, v132, s9
	v_fma_f32 v132, s35, v141, -v129
	s_delay_alu instid0(VALU_DEP_1) | instskip(SKIP_1) | instid1(VALU_DEP_2)
	v_dual_add_f32 v130, v130, v157 :: v_dual_mul_f32 v137, 0x3fb8aa3b, v132
	v_cndmask_b32_e64 v132, 0, v134, s11
	v_dual_add_f32 v130, v130, v140 :: v_dual_mul_f32 v133, 0x3fb8aa3b, v133
	v_mul_f32_e32 v131, 0x3fb8aa3b, v131
	v_fma_f32 v134, s35, v143, -v129
	v_mul_f32_e32 v135, 0x3fb8aa3b, v135
	s_delay_alu instid0(VALU_DEP_4) | instskip(NEXT) | instid1(VALU_DEP_3)
	v_exp_f32_e32 v133, v133
	v_exp_f32_e32 v136, v131
	s_waitcnt_depctr 0xfff
	v_cndmask_b32_e64 v131, 0, v133, s10
	v_fma_f32 v133, s35, v142, -v129
	s_delay_alu instid0(VALU_DEP_2) | instskip(NEXT) | instid1(VALU_DEP_2)
	v_add_f32_e32 v130, v130, v131
	v_mul_f32_e32 v138, 0x3fb8aa3b, v133
	v_cndmask_b32_e64 v133, 0, v136, s12
	v_mul_f32_e32 v136, 0x3fb8aa3b, v134
	v_exp_f32_e32 v135, v135
	v_add_f32_e32 v130, v130, v132
	v_exp_f32_e32 v138, v138
	s_delay_alu instid0(VALU_DEP_2) | instskip(NEXT) | instid1(VALU_DEP_1)
	v_exp_f32_e32 v141, v136
	v_add_f32_e32 v130, v130, v133
	v_exp_f32_e32 v137, v137
	v_cndmask_b32_e64 v134, 0, v135, s13
	s_delay_alu instid0(TRANS32_DEP_3) | instskip(NEXT) | instid1(VALU_DEP_2)
	v_cndmask_b32_e64 v136, 0, v138, s16
	v_add_f32_e32 v130, v130, v134
	s_waitcnt_depctr 0xfff
	v_cndmask_b32_e64 v135, 0, v137, s15
	v_mul_f32_e32 v137, 0x3fb8aa3b, v139
	s_delay_alu instid0(VALU_DEP_2) | instskip(NEXT) | instid1(VALU_DEP_2)
	v_add_f32_e32 v130, v130, v135
	v_exp_f32_e32 v138, v137
	v_cndmask_b32_e64 v137, 0, v141, s17
	s_delay_alu instid0(VALU_DEP_2) | instskip(NEXT) | instid1(VALU_DEP_1)
	v_add_f32_e32 v130, v130, v136
	v_add_f32_e32 v130, v130, v137
	s_waitcnt_depctr 0xfff
	v_cndmask_b32_e64 v138, 0, v138, s18
	s_delay_alu instid0(VALU_DEP_1)
	v_add_f32_e32 v130, v130, v138
	ds_bpermute_b32 v139, v158, v130
	s_and_saveexec_b32 s4, s3
	s_cbranch_execz .LBB488_12
; %bb.11:
	v_mul_u32_u24_e32 v141, 0x44, v149
	s_delay_alu instid0(VALU_DEP_1) | instskip(SKIP_1) | instid1(VALU_DEP_1)
	v_lshl_add_u32 v141, v148, 2, v141
	s_waitcnt lgkmcnt(0)
	v_dual_add_f32 v130, v130, v139 :: v_dual_add_nc_u32 v139, 0x4000, v141
	ds_store_2addr_b32 v139, v129, v130 offset1:136
.LBB488_12:
	s_or_b32 exec_lo, exec_lo, s4
	v_lshlrev_b32_e32 v129, 2, v148
	s_waitcnt lgkmcnt(0)
	s_barrier
	buffer_gl0_inv
	v_cmp_eq_u32_e64 s4, 1, v149
	v_add_nc_u32_e32 v139, 0x4000, v129
	ds_load_2addr_b32 v[141:142], v139 offset1:17
	ds_load_2addr_b32 v[143:144], v139 offset0:34 offset1:51
	ds_load_2addr_b32 v[158:159], v139 offset0:68 offset1:85
	;; [unrolled: 1-line block ×4, first 2 shown]
	s_waitcnt lgkmcnt(4)
	v_max3_f32 v129, v141, 0xff7fffff, v142
	s_waitcnt lgkmcnt(3)
	s_delay_alu instid0(VALU_DEP_1) | instskip(SKIP_1) | instid1(VALU_DEP_1)
	v_max3_f32 v129, v129, v143, v144
	s_waitcnt lgkmcnt(2)
	v_max3_f32 v129, v129, v158, v159
	s_waitcnt lgkmcnt(1)
	s_delay_alu instid0(VALU_DEP_1) | instskip(NEXT) | instid1(VALU_DEP_1)
	v_max3_f32 v129, v129, v160, v161
	v_sub_f32_e32 v158, v158, v129
	s_delay_alu instid0(VALU_DEP_1) | instskip(NEXT) | instid1(VALU_DEP_1)
	v_dual_sub_f32 v150, v142, v129 :: v_dual_mul_f32 v167, 0x3fb8aa3b, v158
	v_dual_sub_f32 v143, v143, v129 :: v_dual_mul_f32 v150, 0x3fb8aa3b, v150
	s_delay_alu instid0(VALU_DEP_1) | instskip(NEXT) | instid1(VALU_DEP_2)
	v_dual_sub_f32 v130, v141, v129 :: v_dual_mul_f32 v165, 0x3fb8aa3b, v143
	v_exp_f32_e32 v150, v150
	s_delay_alu instid0(VALU_DEP_1) | instskip(NEXT) | instid1(VALU_DEP_2)
	v_mul_f32_e32 v130, 0x3fb8aa3b, v130
	v_exp_f32_e32 v165, v165
	s_delay_alu instid0(VALU_DEP_1) | instskip(SKIP_1) | instid1(VALU_DEP_1)
	v_exp_f32_e32 v164, v130
	v_sub_f32_e32 v130, v144, v129
	v_mul_f32_e32 v166, 0x3fb8aa3b, v130
	s_waitcnt lgkmcnt(0)
	s_waitcnt_depctr 0xfff
	v_fma_f32 v130, v164, v162, 0
	v_sub_f32_e32 v162, v159, v129
	s_delay_alu instid0(VALU_DEP_2)
	v_fmac_f32_e32 v130, v150, v163
	ds_load_2addr_b32 v[141:142], v139 offset0:170 offset1:187
	ds_load_2addr_b32 v[143:144], v139 offset0:204 offset1:221
	;; [unrolled: 1-line block ×3, first 2 shown]
	v_sub_f32_e32 v139, v160, v129
	v_exp_f32_e32 v166, v166
	v_mul_f32_e32 v160, 0x3fb8aa3b, v162
	v_exp_f32_e32 v162, v167
	v_cndmask_b32_e64 v150, v164, v150, s4
	v_mul_f32_e32 v139, 0x3fb8aa3b, v139
	v_cmp_eq_u32_e64 s4, 2, v149
	s_waitcnt lgkmcnt(0)
	s_barrier
	buffer_gl0_inv
	v_exp_f32_e32 v139, v139
	v_cndmask_b32_e64 v150, v150, v165, s4
	v_cmp_eq_u32_e64 s4, 3, v149
	v_fmac_f32_e32 v130, v165, v141
	v_sub_f32_e32 v141, v161, v129
	v_exp_f32_e32 v160, v160
	s_delay_alu instid0(VALU_DEP_3) | instskip(SKIP_1) | instid1(VALU_DEP_3)
	v_cndmask_b32_e64 v150, v150, v166, s4
	v_cmp_eq_u32_e64 s4, 4, v149
	v_dual_fmac_f32 v130, v166, v142 :: v_dual_mul_f32 v141, 0x3fb8aa3b, v141
	s_delay_alu instid0(VALU_DEP_2) | instskip(SKIP_1) | instid1(VALU_DEP_3)
	v_cndmask_b32_e64 v150, v150, v162, s4
	v_cmp_eq_u32_e64 s4, 5, v149
	v_exp_f32_e32 v141, v141
	s_delay_alu instid0(VALU_DEP_3)
	v_fmac_f32_e32 v130, v162, v143
	s_delay_alu instid0(TRANS32_DEP_2) | instid1(VALU_DEP_2)
	v_cndmask_b32_e64 v150, v150, v160, s4
	s_delay_alu instid0(VALU_DEP_2) | instskip(NEXT) | instid1(VALU_DEP_1)
	v_fmac_f32_e32 v130, v160, v144
	v_fmac_f32_e32 v130, v139, v158
	s_waitcnt_depctr 0xfff
	v_fmac_f32_e32 v130, v141, v159
	s_delay_alu instid0(VALU_DEP_1) | instskip(NEXT) | instid1(VALU_DEP_1)
	v_add_f32_e32 v142, 0x358637bd, v130
	v_div_scale_f32 v143, null, v142, v142, 1.0
	v_div_scale_f32 v159, vcc_lo, 1.0, v142, 1.0
	s_delay_alu instid0(VALU_DEP_2) | instskip(SKIP_2) | instid1(VALU_DEP_1)
	v_rcp_f32_e32 v144, v143
	s_waitcnt_depctr 0xfff
	v_fma_f32 v158, -v143, v144, 1.0
	v_fmac_f32_e32 v144, v158, v144
	s_delay_alu instid0(VALU_DEP_1) | instskip(NEXT) | instid1(VALU_DEP_1)
	v_mul_f32_e32 v158, v159, v144
	v_fma_f32 v161, -v143, v158, v159
	s_delay_alu instid0(VALU_DEP_1) | instskip(NEXT) | instid1(VALU_DEP_1)
	v_fmac_f32_e32 v158, v161, v144
	v_fma_f32 v143, -v143, v158, v159
	s_delay_alu instid0(VALU_DEP_1) | instskip(SKIP_1) | instid1(VALU_DEP_2)
	v_div_fmas_f32 v143, v143, v144, v158
	v_cmp_eq_u32_e32 vcc_lo, 6, v149
	v_div_fixup_f32 v142, v143, v142, 1.0
	v_cndmask_b32_e32 v139, v150, v139, vcc_lo
	v_cmp_eq_u32_e32 vcc_lo, 7, v149
	s_delay_alu instid0(VALU_DEP_2) | instskip(NEXT) | instid1(VALU_DEP_1)
	v_cndmask_b32_e32 v139, v139, v141, vcc_lo
	v_mul_f32_e32 v139, v139, v142
	s_delay_alu instid0(VALU_DEP_1) | instskip(SKIP_4) | instid1(VALU_DEP_4)
	v_mul_f32_e32 v153, v139, v153
	v_mul_f32_e32 v142, v139, v152
	;; [unrolled: 1-line block ×5, first 2 shown]
	v_dual_mul_f32 v152, v139, v155 :: v_dual_and_b32 v141, 0x7f800000, v142
	v_mul_f32_e32 v154, v139, v154
	v_mul_f32_e32 v144, v139, v151
	s_delay_alu instid0(VALU_DEP_3) | instskip(SKIP_1) | instid1(SALU_CYCLE_1)
	v_cmp_ne_u32_e32 vcc_lo, 0x7f800000, v141
                                        ; implicit-def: $vgpr141
	s_and_saveexec_b32 s4, vcc_lo
	s_xor_b32 s4, exec_lo, s4
; %bb.13:
	v_bfe_u32 v141, v142, 16, 1
	s_delay_alu instid0(VALU_DEP_1)
	v_add3_u32 v141, v142, v141, 0x7fff
                                        ; implicit-def: $vgpr142
; %bb.14:
	s_and_not1_saveexec_b32 s4, s4
; %bb.15:
	v_and_b32_e32 v141, 0xffff, v142
	v_or_b32_e32 v151, 0x10000, v142
	s_delay_alu instid0(VALU_DEP_2) | instskip(NEXT) | instid1(VALU_DEP_2)
	v_cmp_eq_u32_e32 vcc_lo, 0, v141
	v_cndmask_b32_e32 v141, v151, v142, vcc_lo
; %bb.16:
	s_or_b32 exec_lo, exec_lo, s4
	v_and_b32_e32 v142, 0x7f800000, v144
	s_delay_alu instid0(VALU_DEP_1) | instskip(SKIP_1) | instid1(SALU_CYCLE_1)
	v_cmp_ne_u32_e32 vcc_lo, 0x7f800000, v142
                                        ; implicit-def: $vgpr142
	s_and_saveexec_b32 s4, vcc_lo
	s_xor_b32 s4, exec_lo, s4
; %bb.17:
	v_bfe_u32 v142, v144, 16, 1
	s_delay_alu instid0(VALU_DEP_1)
	v_add3_u32 v142, v144, v142, 0x7fff
                                        ; implicit-def: $vgpr144
; %bb.18:
	s_and_not1_saveexec_b32 s4, s4
; %bb.19:
	v_and_b32_e32 v142, 0xffff, v144
	v_or_b32_e32 v151, 0x10000, v144
	s_delay_alu instid0(VALU_DEP_2) | instskip(NEXT) | instid1(VALU_DEP_2)
	v_cmp_eq_u32_e32 vcc_lo, 0, v142
	v_cndmask_b32_e32 v142, v151, v144, vcc_lo
; %bb.20:
	s_or_b32 exec_lo, exec_lo, s4
	v_and_b32_e32 v144, 0x7f800000, v153
	s_delay_alu instid0(VALU_DEP_1) | instskip(SKIP_1) | instid1(SALU_CYCLE_1)
	v_cmp_ne_u32_e32 vcc_lo, 0x7f800000, v144
                                        ; implicit-def: $vgpr144
	s_and_saveexec_b32 s4, vcc_lo
	s_xor_b32 s4, exec_lo, s4
; %bb.21:
	v_bfe_u32 v144, v153, 16, 1
	s_delay_alu instid0(VALU_DEP_1)
	v_add3_u32 v144, v153, v144, 0x7fff
                                        ; implicit-def: $vgpr153
; %bb.22:
	s_and_not1_saveexec_b32 s4, s4
; %bb.23:
	v_and_b32_e32 v144, 0xffff, v153
	v_or_b32_e32 v151, 0x10000, v153
	s_delay_alu instid0(VALU_DEP_2) | instskip(NEXT) | instid1(VALU_DEP_2)
	v_cmp_eq_u32_e32 vcc_lo, 0, v144
	v_cndmask_b32_e32 v144, v151, v153, vcc_lo
; %bb.24:
	s_or_b32 exec_lo, exec_lo, s4
	v_and_b32_e32 v151, 0x7f800000, v154
	s_delay_alu instid0(VALU_DEP_1) | instskip(SKIP_1) | instid1(SALU_CYCLE_1)
	v_cmp_ne_u32_e32 vcc_lo, 0x7f800000, v151
                                        ; implicit-def: $vgpr151
	s_and_saveexec_b32 s4, vcc_lo
	s_xor_b32 s4, exec_lo, s4
; %bb.25:
	v_bfe_u32 v151, v154, 16, 1
	s_delay_alu instid0(VALU_DEP_1)
	v_add3_u32 v151, v154, v151, 0x7fff
                                        ; implicit-def: $vgpr154
; %bb.26:
	s_and_not1_saveexec_b32 s4, s4
; %bb.27:
	v_and_b32_e32 v151, 0xffff, v154
	v_or_b32_e32 v153, 0x10000, v154
	s_delay_alu instid0(VALU_DEP_2) | instskip(NEXT) | instid1(VALU_DEP_2)
	v_cmp_eq_u32_e32 vcc_lo, 0, v151
	v_cndmask_b32_e32 v151, v153, v154, vcc_lo
; %bb.28:
	s_or_b32 exec_lo, exec_lo, s4
	v_and_b32_e32 v153, 0x7f800000, v152
	s_delay_alu instid0(VALU_DEP_1) | instskip(SKIP_1) | instid1(SALU_CYCLE_1)
	v_cmp_ne_u32_e32 vcc_lo, 0x7f800000, v153
                                        ; implicit-def: $vgpr153
	s_and_saveexec_b32 s4, vcc_lo
	s_xor_b32 s4, exec_lo, s4
; %bb.29:
	v_bfe_u32 v153, v152, 16, 1
	s_delay_alu instid0(VALU_DEP_1)
	v_add3_u32 v153, v152, v153, 0x7fff
                                        ; implicit-def: $vgpr152
; %bb.30:
	s_and_not1_saveexec_b32 s4, s4
; %bb.31:
	v_and_b32_e32 v153, 0xffff, v152
	v_or_b32_e32 v154, 0x10000, v152
	s_delay_alu instid0(VALU_DEP_2) | instskip(NEXT) | instid1(VALU_DEP_2)
	v_cmp_eq_u32_e32 vcc_lo, 0, v153
	v_cndmask_b32_e32 v153, v154, v152, vcc_lo
; %bb.32:
	s_or_b32 exec_lo, exec_lo, s4
	v_and_b32_e32 v152, 0x7f800000, v150
	s_delay_alu instid0(VALU_DEP_1) | instskip(SKIP_1) | instid1(SALU_CYCLE_1)
	v_cmp_ne_u32_e32 vcc_lo, 0x7f800000, v152
                                        ; implicit-def: $vgpr152
	s_and_saveexec_b32 s4, vcc_lo
	s_xor_b32 s4, exec_lo, s4
; %bb.33:
	v_bfe_u32 v152, v150, 16, 1
	s_delay_alu instid0(VALU_DEP_1)
	v_add3_u32 v152, v150, v152, 0x7fff
                                        ; implicit-def: $vgpr150
; %bb.34:
	s_and_not1_saveexec_b32 s4, s4
; %bb.35:
	v_and_b32_e32 v152, 0xffff, v150
	v_or_b32_e32 v154, 0x10000, v150
	s_delay_alu instid0(VALU_DEP_2) | instskip(NEXT) | instid1(VALU_DEP_2)
	v_cmp_eq_u32_e32 vcc_lo, 0, v152
	v_cndmask_b32_e32 v152, v154, v150, vcc_lo
; %bb.36:
	s_or_b32 exec_lo, exec_lo, s4
	v_and_b32_e32 v150, 0x7f800000, v143
	s_delay_alu instid0(VALU_DEP_1) | instskip(SKIP_1) | instid1(SALU_CYCLE_1)
	v_cmp_ne_u32_e32 vcc_lo, 0x7f800000, v150
                                        ; implicit-def: $vgpr150
	s_and_saveexec_b32 s4, vcc_lo
	s_xor_b32 s4, exec_lo, s4
; %bb.37:
	v_bfe_u32 v150, v143, 16, 1
	s_delay_alu instid0(VALU_DEP_1)
	v_add3_u32 v150, v143, v150, 0x7fff
                                        ; implicit-def: $vgpr143
; %bb.38:
	s_and_not1_saveexec_b32 s4, s4
; %bb.39:
	v_and_b32_e32 v150, 0xffff, v143
	v_or_b32_e32 v154, 0x10000, v143
	s_delay_alu instid0(VALU_DEP_2) | instskip(NEXT) | instid1(VALU_DEP_2)
	v_cmp_eq_u32_e32 vcc_lo, 0, v150
	v_cndmask_b32_e32 v150, v154, v143, vcc_lo
; %bb.40:
	s_or_b32 exec_lo, exec_lo, s4
	v_and_b32_e32 v143, 0x7f800000, v140
	s_delay_alu instid0(VALU_DEP_1) | instskip(SKIP_1) | instid1(SALU_CYCLE_1)
	v_cmp_ne_u32_e32 vcc_lo, 0x7f800000, v143
                                        ; implicit-def: $vgpr143
	s_and_saveexec_b32 s4, vcc_lo
	s_xor_b32 s4, exec_lo, s4
; %bb.41:
	v_bfe_u32 v143, v140, 16, 1
	s_delay_alu instid0(VALU_DEP_1)
	v_add3_u32 v143, v140, v143, 0x7fff
                                        ; implicit-def: $vgpr140
; %bb.42:
	s_and_not1_saveexec_b32 s4, s4
; %bb.43:
	v_and_b32_e32 v143, 0xffff, v140
	v_or_b32_e32 v154, 0x10000, v140
	s_delay_alu instid0(VALU_DEP_2) | instskip(NEXT) | instid1(VALU_DEP_2)
	v_cmp_eq_u32_e32 vcc_lo, 0, v143
	v_cndmask_b32_e32 v143, v154, v140, vcc_lo
; %bb.44:
	s_or_b32 exec_lo, exec_lo, s4
	s_load_b64 s[36:37], s[0:1], 0x94
	v_dual_mul_f32 v136, v139, v136 :: v_dual_lshlrev_b32 v155, 4, v146
	s_delay_alu instid0(VALU_DEP_2)
	v_perm_b32 v154, v143, v150, 0x7060302
	v_dual_mul_f32 v143, v139, v131 :: v_dual_lshlrev_b32 v140, 6, v148
	v_dual_mul_f32 v135, v139, v135 :: v_dual_lshlrev_b32 v150, 11, v149
	v_perm_b32 v153, v152, v153, 0x7060302
	v_perm_b32 v152, v151, v144, 0x7060302
	;; [unrolled: 1-line block ×3, first 2 shown]
	s_delay_alu instid0(VALU_DEP_4)
	v_or3_b32 v131, v155, v150, v140
	v_mul_f32_e32 v138, v139, v138
	v_dual_mul_f32 v137, v139, v137 :: v_dual_and_b32 v144, 0x7f800000, v143
	v_mul_f32_e32 v141, v139, v134
	v_mul_f32_e32 v142, v139, v133
	;; [unrolled: 1-line block ×3, first 2 shown]
	s_mov_b32 s4, exec_lo
	ds_store_b128 v131, v[151:154]
                                        ; implicit-def: $vgpr132
	v_cmpx_ne_u32_e32 0x7f800000, v144
	s_xor_b32 s4, exec_lo, s4
; %bb.45:
	v_bfe_u32 v132, v143, 16, 1
	s_delay_alu instid0(VALU_DEP_1)
	v_add3_u32 v132, v143, v132, 0x7fff
                                        ; implicit-def: $vgpr143
; %bb.46:
	s_and_not1_saveexec_b32 s4, s4
; %bb.47:
	v_and_b32_e32 v132, 0xffff, v143
	v_or_b32_e32 v133, 0x10000, v143
	s_delay_alu instid0(VALU_DEP_2) | instskip(NEXT) | instid1(VALU_DEP_2)
	v_cmp_eq_u32_e32 vcc_lo, 0, v132
	v_cndmask_b32_e32 v132, v133, v143, vcc_lo
; %bb.48:
	s_or_b32 exec_lo, exec_lo, s4
	v_and_b32_e32 v133, 0x7f800000, v134
	s_delay_alu instid0(VALU_DEP_1) | instskip(SKIP_1) | instid1(SALU_CYCLE_1)
	v_cmp_ne_u32_e32 vcc_lo, 0x7f800000, v133
                                        ; implicit-def: $vgpr133
	s_and_saveexec_b32 s4, vcc_lo
	s_xor_b32 s4, exec_lo, s4
; %bb.49:
	v_bfe_u32 v133, v134, 16, 1
	s_delay_alu instid0(VALU_DEP_1)
	v_add3_u32 v133, v134, v133, 0x7fff
                                        ; implicit-def: $vgpr134
; %bb.50:
	s_and_not1_saveexec_b32 s4, s4
; %bb.51:
	v_and_b32_e32 v133, 0xffff, v134
	v_or_b32_e32 v139, 0x10000, v134
	s_delay_alu instid0(VALU_DEP_2) | instskip(NEXT) | instid1(VALU_DEP_2)
	v_cmp_eq_u32_e32 vcc_lo, 0, v133
	v_cndmask_b32_e32 v133, v139, v134, vcc_lo
; %bb.52:
	s_or_b32 exec_lo, exec_lo, s4
	v_and_b32_e32 v134, 0x7f800000, v142
	s_delay_alu instid0(VALU_DEP_1) | instskip(SKIP_1) | instid1(SALU_CYCLE_1)
	v_cmp_ne_u32_e32 vcc_lo, 0x7f800000, v134
                                        ; implicit-def: $vgpr134
	s_and_saveexec_b32 s4, vcc_lo
	s_xor_b32 s4, exec_lo, s4
; %bb.53:
	v_bfe_u32 v134, v142, 16, 1
	s_delay_alu instid0(VALU_DEP_1)
	v_add3_u32 v134, v142, v134, 0x7fff
                                        ; implicit-def: $vgpr142
; %bb.54:
	s_and_not1_saveexec_b32 s4, s4
; %bb.55:
	v_and_b32_e32 v134, 0xffff, v142
	v_or_b32_e32 v139, 0x10000, v142
	s_delay_alu instid0(VALU_DEP_2) | instskip(NEXT) | instid1(VALU_DEP_2)
	v_cmp_eq_u32_e32 vcc_lo, 0, v134
	v_cndmask_b32_e32 v134, v139, v142, vcc_lo
; %bb.56:
	s_or_b32 exec_lo, exec_lo, s4
	v_and_b32_e32 v139, 0x7f800000, v141
	s_delay_alu instid0(VALU_DEP_1) | instskip(SKIP_1) | instid1(SALU_CYCLE_1)
	v_cmp_ne_u32_e32 vcc_lo, 0x7f800000, v139
                                        ; implicit-def: $vgpr139
	s_and_saveexec_b32 s4, vcc_lo
	s_xor_b32 s4, exec_lo, s4
; %bb.57:
	v_bfe_u32 v139, v141, 16, 1
	s_delay_alu instid0(VALU_DEP_1)
	v_add3_u32 v139, v141, v139, 0x7fff
                                        ; implicit-def: $vgpr141
; %bb.58:
	s_and_not1_saveexec_b32 s4, s4
; %bb.59:
	v_and_b32_e32 v139, 0xffff, v141
	v_or_b32_e32 v142, 0x10000, v141
	s_delay_alu instid0(VALU_DEP_2) | instskip(NEXT) | instid1(VALU_DEP_2)
	v_cmp_eq_u32_e32 vcc_lo, 0, v139
	v_cndmask_b32_e32 v139, v142, v141, vcc_lo
; %bb.60:
	s_or_b32 exec_lo, exec_lo, s4
	v_and_b32_e32 v141, 0x7f800000, v135
	s_delay_alu instid0(VALU_DEP_1) | instskip(SKIP_1) | instid1(SALU_CYCLE_1)
	v_cmp_ne_u32_e32 vcc_lo, 0x7f800000, v141
                                        ; implicit-def: $vgpr141
	s_and_saveexec_b32 s4, vcc_lo
	s_xor_b32 s4, exec_lo, s4
; %bb.61:
	v_bfe_u32 v141, v135, 16, 1
	s_delay_alu instid0(VALU_DEP_1)
	v_add3_u32 v141, v135, v141, 0x7fff
                                        ; implicit-def: $vgpr135
; %bb.62:
	s_and_not1_saveexec_b32 s4, s4
; %bb.63:
	v_and_b32_e32 v141, 0xffff, v135
	v_or_b32_e32 v142, 0x10000, v135
	s_delay_alu instid0(VALU_DEP_2) | instskip(NEXT) | instid1(VALU_DEP_2)
	v_cmp_eq_u32_e32 vcc_lo, 0, v141
	v_cndmask_b32_e32 v141, v142, v135, vcc_lo
; %bb.64:
	s_or_b32 exec_lo, exec_lo, s4
	v_and_b32_e32 v135, 0x7f800000, v136
	s_delay_alu instid0(VALU_DEP_1) | instskip(SKIP_1) | instid1(SALU_CYCLE_1)
	v_cmp_ne_u32_e32 vcc_lo, 0x7f800000, v135
                                        ; implicit-def: $vgpr135
	s_and_saveexec_b32 s4, vcc_lo
	s_xor_b32 s4, exec_lo, s4
; %bb.65:
	v_bfe_u32 v135, v136, 16, 1
	s_delay_alu instid0(VALU_DEP_1)
	v_add3_u32 v135, v136, v135, 0x7fff
                                        ; implicit-def: $vgpr136
; %bb.66:
	s_and_not1_saveexec_b32 s4, s4
; %bb.67:
	v_and_b32_e32 v135, 0xffff, v136
	v_or_b32_e32 v142, 0x10000, v136
	s_delay_alu instid0(VALU_DEP_2) | instskip(NEXT) | instid1(VALU_DEP_2)
	v_cmp_eq_u32_e32 vcc_lo, 0, v135
	v_cndmask_b32_e32 v135, v142, v136, vcc_lo
; %bb.68:
	s_or_b32 exec_lo, exec_lo, s4
	v_and_b32_e32 v136, 0x7f800000, v137
	s_delay_alu instid0(VALU_DEP_1) | instskip(SKIP_1) | instid1(SALU_CYCLE_1)
	v_cmp_ne_u32_e32 vcc_lo, 0x7f800000, v136
                                        ; implicit-def: $vgpr136
	s_and_saveexec_b32 s4, vcc_lo
	s_xor_b32 s4, exec_lo, s4
; %bb.69:
	v_bfe_u32 v136, v137, 16, 1
	s_delay_alu instid0(VALU_DEP_1)
	v_add3_u32 v136, v137, v136, 0x7fff
                                        ; implicit-def: $vgpr137
; %bb.70:
	s_and_not1_saveexec_b32 s4, s4
; %bb.71:
	v_and_b32_e32 v136, 0xffff, v137
	v_or_b32_e32 v142, 0x10000, v137
	s_delay_alu instid0(VALU_DEP_2) | instskip(NEXT) | instid1(VALU_DEP_2)
	v_cmp_eq_u32_e32 vcc_lo, 0, v136
	v_cndmask_b32_e32 v136, v142, v137, vcc_lo
; %bb.72:
	s_or_b32 exec_lo, exec_lo, s4
	v_and_b32_e32 v137, 0x7f800000, v138
	s_delay_alu instid0(VALU_DEP_1) | instskip(SKIP_1) | instid1(SALU_CYCLE_1)
	v_cmp_ne_u32_e32 vcc_lo, 0x7f800000, v137
                                        ; implicit-def: $vgpr137
	s_and_saveexec_b32 s4, vcc_lo
	s_xor_b32 s4, exec_lo, s4
; %bb.73:
	v_bfe_u32 v137, v138, 16, 1
	s_delay_alu instid0(VALU_DEP_1)
	v_add3_u32 v137, v138, v137, 0x7fff
                                        ; implicit-def: $vgpr138
; %bb.74:
	s_and_not1_saveexec_b32 s4, s4
; %bb.75:
	v_and_b32_e32 v137, 0xffff, v138
	v_or_b32_e32 v142, 0x10000, v138
	s_delay_alu instid0(VALU_DEP_2) | instskip(NEXT) | instid1(VALU_DEP_2)
	v_cmp_eq_u32_e32 vcc_lo, 0, v137
	v_cndmask_b32_e32 v137, v142, v138, vcc_lo
; %bb.76:
	s_or_b32 exec_lo, exec_lo, s4
	s_delay_alu instid0(VALU_DEP_1)
	v_perm_b32 v136, v137, v136, 0x7060302
	v_perm_b32 v135, v135, v141, 0x7060302
	;; [unrolled: 1-line block ×4, first 2 shown]
	v_lshl_or_b32 v141, v149, 11, v140
	ds_store_b128 v131, v[133:136] offset:1024
	s_waitcnt lgkmcnt(0)
	s_barrier
	buffer_gl0_inv
	ds_load_b128 v[132:135], v141
	ds_load_b128 v[149:152], v141 offset:16
	s_waitcnt lgkmcnt(1)
	v_lshrrev_b32_e32 v136, 16, v132
	s_waitcnt lgkmcnt(0)
	v_lshrrev_b32_e32 v164, 16, v151
	v_lshlrev_b32_e32 v138, 2, v146
	v_lshrrev_b32_e32 v143, 16, v149
	v_lshrrev_b32_e32 v162, 16, v150
	;; [unrolled: 1-line block ×4, first 2 shown]
	v_or_b32_e32 v139, 1, v138
	v_lshrrev_b32_e32 v165, 16, v152
	v_lshrrev_b32_e32 v163, 16, v135
	s_delay_alu instid0(VALU_DEP_3)
	v_cmp_eq_u32_e64 s8, 1, v139
	v_cmp_eq_u32_e64 s7, 2, v139
	;; [unrolled: 1-line block ×4, first 2 shown]
	v_cmp_eq_u32_e32 vcc_lo, 5, v139
	v_cndmask_b32_e64 v155, v149, v143, s8
	v_cndmask_b32_e64 v154, v132, v136, s8
	v_cmp_eq_u32_e64 s5, 6, v139
	v_cmp_eq_u32_e64 s20, 7, v139
	s_delay_alu instid0(VALU_DEP_4) | instskip(NEXT) | instid1(VALU_DEP_4)
	v_cndmask_b32_e64 v155, v155, v150, s7
	v_cndmask_b32_e64 v154, v154, v133, s7
	s_delay_alu instid0(VALU_DEP_2) | instskip(NEXT) | instid1(VALU_DEP_2)
	v_cndmask_b32_e64 v155, v155, v162, s6
	v_cndmask_b32_e64 v154, v154, v144, s6
	s_delay_alu instid0(VALU_DEP_2) | instskip(NEXT) | instid1(VALU_DEP_2)
	v_cndmask_b32_e64 v155, v155, v151, s4
	v_cndmask_b32_e64 v154, v154, v134, s4
	s_delay_alu instid0(VALU_DEP_2)
	v_cndmask_b32_e32 v157, v155, v164, vcc_lo
	v_cmp_eq_u32_e64 s13, 1, v138
	v_cmp_eq_u32_e64 s12, 2, v138
	;; [unrolled: 1-line block ×3, first 2 shown]
	v_or_b32_e32 v137, 2, v138
	v_cmp_eq_u32_e64 s18, 4, v138
	v_cndmask_b32_e64 v153, v149, v143, s13
	v_cndmask_b32_e64 v142, v132, v136, s13
	v_cmp_eq_u32_e64 s15, 5, v138
	v_cmp_eq_u32_e64 s9, 1, v137
	;; [unrolled: 1-line block ×3, first 2 shown]
	v_cndmask_b32_e64 v153, v153, v150, s12
	v_cndmask_b32_e64 v142, v142, v133, s12
	v_cmp_eq_u32_e64 s11, 2, v137
	v_cndmask_b32_e64 v156, v132, v136, s9
	v_cndmask_b32_e32 v154, v154, v161, vcc_lo
	v_cndmask_b32_e64 v153, v153, v162, s17
	v_cndmask_b32_e64 v142, v142, v144, s17
	v_cmp_eq_u32_e64 s10, 7, v138
	v_cndmask_b32_e64 v156, v156, v133, s11
	v_cmp_eq_u32_e64 s19, 3, v137
	v_cndmask_b32_e64 v153, v153, v151, s18
	v_cndmask_b32_e64 v142, v142, v134, s18
	;; [unrolled: 1-line block ×3, first 2 shown]
	v_cmp_eq_u32_e64 s21, 4, v137
	v_cndmask_b32_e64 v156, v156, v144, s19
	v_cndmask_b32_e64 v153, v153, v164, s15
	;; [unrolled: 1-line block ×4, first 2 shown]
	v_cmp_eq_u32_e64 s23, 5, v137
	v_cndmask_b32_e64 v159, v156, v134, s21
	v_cndmask_b32_e64 v153, v153, v152, s16
	;; [unrolled: 1-line block ×3, first 2 shown]
	v_cmp_eq_u32_e64 s26, 6, v137
	v_cmp_eq_u32_e64 s28, 7, v137
	v_cndmask_b32_e64 v169, v159, v161, s23
	v_cndmask_b32_e64 v167, v153, v165, s10
	v_cndmask_b32_e64 v153, v149, v143, s9
	v_cndmask_b32_e64 v166, v142, v163, s10
	v_or_b32_e32 v142, 3, v138
	s_delay_alu instid0(VALU_DEP_3)
	v_cndmask_b32_e64 v158, v153, v150, s11
	ds_load_b128 v[153:156], v141 offset:1024
	v_cmp_eq_u32_e64 s22, 1, v142
	v_cmp_eq_u32_e64 s24, 2, v142
	;; [unrolled: 1-line block ×3, first 2 shown]
	v_cndmask_b32_e64 v158, v158, v162, s19
	v_cmp_eq_u32_e64 s27, 4, v142
	v_cndmask_b32_e64 v132, v132, v136, s22
	v_cndmask_b32_e64 v136, v157, v152, s5
	;; [unrolled: 1-line block ×4, first 2 shown]
	ds_load_b128 v[157:160], v141 offset:1040
	v_cndmask_b32_e64 v132, v132, v133, s24
	v_cmp_eq_u32_e64 s29, 5, v142
	v_cndmask_b32_e64 v143, v143, v150, s24
	v_cmp_eq_u32_e64 s30, 6, v142
	v_cndmask_b32_e64 v133, v170, v164, s23
	v_cndmask_b32_e64 v132, v132, v144, s25
	;; [unrolled: 1-line block ×5, first 2 shown]
	s_waitcnt lgkmcnt(1)
	v_lshrrev_b32_e32 v149, 16, v153
	v_cndmask_b32_e64 v132, v132, v134, s27
	v_cndmask_b32_e64 v133, v133, v152, s26
	;; [unrolled: 1-line block ×3, first 2 shown]
	v_lshrrev_b32_e32 v151, 16, v154
	v_cndmask_b32_e64 v143, v153, v149, s13
	v_cndmask_b32_e64 v132, v132, v161, s29
	;; [unrolled: 1-line block ×5, first 2 shown]
	s_waitcnt lgkmcnt(0)
	v_lshrrev_b32_e32 v150, 16, v157
	v_cndmask_b32_e64 v143, v143, v154, s12
	v_cndmask_b32_e64 v132, v132, v135, s30
	;; [unrolled: 1-line block ×3, first 2 shown]
	v_lshrrev_b32_e32 v164, 16, v159
	v_cndmask_b32_e64 v162, v157, v150, s13
	v_cndmask_b32_e64 v135, v143, v151, s17
	;; [unrolled: 1-line block ×3, first 2 shown]
	v_lshrrev_b32_e32 v161, 16, v158
	v_cndmask_b32_e64 v133, v133, v165, s28
	v_cndmask_b32_e64 v152, v162, v158, s12
	v_cmp_eq_u32_e64 s12, 7, v142
	v_cndmask_b32_e64 v143, v143, v151, s6
	v_cndmask_b32_e64 v135, v135, v155, s18
	v_lshrrev_b32_e32 v162, 16, v155
	v_cndmask_b32_e64 v152, v152, v161, s17
	v_cndmask_b32_e64 v132, v132, v163, s12
	;; [unrolled: 1-line block ×6, first 2 shown]
	s_delay_alu instid0(VALU_DEP_4) | instskip(NEXT) | instid1(VALU_DEP_4)
	v_perm_b32 v135, v134, v132, 0x5040100
	v_cndmask_b32_e32 v132, v143, v162, vcc_lo
	s_delay_alu instid0(VALU_DEP_4)
	v_cndmask_b32_e64 v143, v163, v156, s16
	v_lshrrev_b32_e32 v163, 16, v156
	v_cndmask_b32_e64 v152, v152, v164, s15
	v_perm_b32 v134, v133, v144, 0x5040100
	v_cndmask_b32_e64 v132, v132, v156, s5
	v_perm_b32 v133, v136, v168, 0x5040100
	v_cndmask_b32_e64 v136, v143, v163, s10
	v_cndmask_b32_e64 v143, v152, v160, s16
	;; [unrolled: 1-line block ×13, first 2 shown]
	v_lshrrev_b32_e32 v144, 16, v160
	v_cndmask_b32_e64 v132, v132, v151, s19
	v_cndmask_b32_e64 v149, v149, v151, s25
	;; [unrolled: 1-line block ×14, first 2 shown]
	v_cndmask_b32_e32 v150, v150, v164, vcc_lo
	v_cndmask_b32_e64 v132, v132, v156, s26
	v_cndmask_b32_e64 v149, v149, v156, s30
	;; [unrolled: 1-line block ×11, first 2 shown]
	v_perm_b32 v132, v167, v166, 0x5040100
	v_perm_b32 v152, v151, v149, 0x5040100
	;; [unrolled: 1-line block ×5, first 2 shown]
	s_mul_i32 s9, s37, 11
	s_mov_b32 s4, exec_lo
	ds_store_b128 v131, v[132:135]
	ds_store_b128 v131, v[149:152] offset:1024
	v_cmpx_gt_u32_e32 11, v0
	s_cbranch_execz .LBB488_78
; %bb.77:
	s_mul_i32 s5, s9, s34
	s_load_b128 s[16:19], s[0:1], 0x58
	v_add3_u32 v133, s5, s31, v148
	s_delay_alu instid0(VALU_DEP_1) | instskip(NEXT) | instid1(VALU_DEP_1)
	v_mad_u64_u32 v[131:132], null, v133, s36, s[14:15]
	v_ashrrev_i32_e32 v132, 31, v131
	s_delay_alu instid0(VALU_DEP_1) | instskip(SKIP_1) | instid1(VALU_DEP_1)
	v_lshlrev_b64 v[131:132], 2, v[131:132]
	s_waitcnt lgkmcnt(0)
	v_add_co_u32 v133, vcc_lo, s18, v131
	s_delay_alu instid0(VALU_DEP_2)
	v_add_co_ci_u32_e32 v134, vcc_lo, s19, v132, vcc_lo
	v_add_co_u32 v131, vcc_lo, s16, v131
	v_add_co_ci_u32_e32 v132, vcc_lo, s17, v132, vcc_lo
	global_store_b32 v[133:134], v129, off
	global_store_b32 v[131:132], v130, off
.LBB488_78:
	s_or_b32 exec_lo, exec_lo, s4
	s_waitcnt lgkmcnt(0)
	s_waitcnt_vscnt null, 0x0
	s_barrier
	buffer_gl0_inv
	ds_load_b128 v[148:151], v140
	ds_load_b128 v[152:155], v140 offset:16
	ds_load_b128 v[160:163], v140 offset:1040
	;; [unrolled: 1-line block ×3, first 2 shown]
	v_mov_b32_e32 v129, 0
	ds_load_b128 v[168:171], v140 offset:2064
	ds_load_b128 v[164:167], v140 offset:2048
	;; [unrolled: 1-line block ×6, first 2 shown]
	v_mov_b32_e32 v130, v129
	v_mov_b32_e32 v131, v129
	;; [unrolled: 1-line block ×7, first 2 shown]
	s_waitcnt lgkmcnt(8)
	s_delay_alu instid0(VALU_DEP_1)
	v_wmma_f32_16x16x16_bf16 v[129:136], v[121:128], v[148:155], v[129:136]
	ds_load_b128 v[125:128], v140 offset:5136
	ds_load_b128 v[121:124], v140 offset:5120
	s_waitcnt lgkmcnt(8)
	v_wmma_f32_16x16x16_bf16 v[129:136], v[113:120], v[156:163], v[129:136]
	ds_load_b128 v[117:120], v140 offset:6160
	ds_load_b128 v[113:116], v140 offset:6144
	s_waitcnt lgkmcnt(8)
	;; [unrolled: 4-line block ×8, first 2 shown]
	v_wmma_f32_16x16x16_bf16 v[129:136], v[65:72], v[97:104], v[129:136]
	s_waitcnt lgkmcnt(6)
	s_delay_alu instid0(VALU_DEP_1)
	v_wmma_f32_16x16x16_bf16 v[129:136], v[49:56], v[89:96], v[129:136]
	ds_load_b128 v[53:56], v140 offset:13328
	ds_load_b128 v[49:52], v140 offset:13312
	s_waitcnt lgkmcnt(6)
	v_wmma_f32_16x16x16_bf16 v[129:136], v[41:48], v[81:88], v[129:136]
	ds_load_b128 v[45:48], v140 offset:14352
	ds_load_b128 v[41:44], v140 offset:14336
	s_waitcnt lgkmcnt(6)
	;; [unrolled: 4-line block ×3, first 2 shown]
	v_wmma_f32_16x16x16_bf16 v[129:136], v[1:8], v[57:64], v[129:136]
	s_waitcnt lgkmcnt(4)
	s_delay_alu instid0(VALU_DEP_1) | instskip(SKIP_1) | instid1(VALU_DEP_1)
	v_wmma_f32_16x16x16_bf16 v[129:136], v[25:32], v[49:56], v[129:136]
	s_waitcnt lgkmcnt(2)
	v_wmma_f32_16x16x16_bf16 v[129:136], v[33:40], v[41:48], v[129:136]
	s_waitcnt lgkmcnt(0)
	s_delay_alu instid0(VALU_DEP_1) | instskip(NEXT) | instid1(VALU_DEP_1)
	v_wmma_f32_16x16x16_bf16 v[129:136], v[9:16], v[17:24], v[129:136]
	v_and_b32_e32 v1, 0x7f800000, v129
	s_delay_alu instid0(VALU_DEP_1) | instskip(SKIP_1) | instid1(SALU_CYCLE_1)
	v_cmp_ne_u32_e32 vcc_lo, 0x7f800000, v1
                                        ; implicit-def: $vgpr1
	s_and_saveexec_b32 s4, vcc_lo
	s_xor_b32 s4, exec_lo, s4
; %bb.79:
	v_bfe_u32 v1, v129, 16, 1
	s_delay_alu instid0(VALU_DEP_1)
	v_add3_u32 v1, v129, v1, 0x7fff
; %bb.80:
	s_and_not1_saveexec_b32 s4, s4
; %bb.81:
	v_and_b32_e32 v1, 0xffff, v129
	v_or_b32_e32 v2, 0x10000, v129
	s_delay_alu instid0(VALU_DEP_2) | instskip(NEXT) | instid1(VALU_DEP_2)
	v_cmp_eq_u32_e32 vcc_lo, 0, v1
	v_cndmask_b32_e32 v1, v2, v129, vcc_lo
; %bb.82:
	s_or_b32 exec_lo, exec_lo, s4
	v_and_b32_e32 v2, 0x7f800000, v130
	s_delay_alu instid0(VALU_DEP_1) | instskip(SKIP_1) | instid1(SALU_CYCLE_1)
	v_cmp_ne_u32_e32 vcc_lo, 0x7f800000, v2
                                        ; implicit-def: $vgpr2
	s_and_saveexec_b32 s4, vcc_lo
	s_xor_b32 s4, exec_lo, s4
; %bb.83:
	v_bfe_u32 v2, v130, 16, 1
	s_delay_alu instid0(VALU_DEP_1)
	v_add3_u32 v2, v130, v2, 0x7fff
; %bb.84:
	s_and_not1_saveexec_b32 s4, s4
; %bb.85:
	v_and_b32_e32 v2, 0xffff, v130
	v_or_b32_e32 v3, 0x10000, v130
	s_delay_alu instid0(VALU_DEP_2) | instskip(NEXT) | instid1(VALU_DEP_2)
	v_cmp_eq_u32_e32 vcc_lo, 0, v2
	v_cndmask_b32_e32 v2, v3, v130, vcc_lo
; %bb.86:
	s_or_b32 exec_lo, exec_lo, s4
	v_and_b32_e32 v3, 0x7f800000, v131
	s_delay_alu instid0(VALU_DEP_1) | instskip(SKIP_1) | instid1(SALU_CYCLE_1)
	v_cmp_ne_u32_e32 vcc_lo, 0x7f800000, v3
                                        ; implicit-def: $vgpr3
	s_and_saveexec_b32 s4, vcc_lo
	s_xor_b32 s4, exec_lo, s4
; %bb.87:
	v_bfe_u32 v3, v131, 16, 1
	s_delay_alu instid0(VALU_DEP_1)
	v_add3_u32 v3, v131, v3, 0x7fff
; %bb.88:
	s_and_not1_saveexec_b32 s4, s4
; %bb.89:
	v_and_b32_e32 v3, 0xffff, v131
	v_or_b32_e32 v4, 0x10000, v131
	s_delay_alu instid0(VALU_DEP_2) | instskip(NEXT) | instid1(VALU_DEP_2)
	v_cmp_eq_u32_e32 vcc_lo, 0, v3
	v_cndmask_b32_e32 v3, v4, v131, vcc_lo
; %bb.90:
	s_or_b32 exec_lo, exec_lo, s4
	v_and_b32_e32 v4, 0x7f800000, v132
	s_delay_alu instid0(VALU_DEP_1) | instskip(SKIP_1) | instid1(SALU_CYCLE_1)
	v_cmp_ne_u32_e32 vcc_lo, 0x7f800000, v4
                                        ; implicit-def: $vgpr4
	s_and_saveexec_b32 s4, vcc_lo
	s_xor_b32 s4, exec_lo, s4
; %bb.91:
	v_bfe_u32 v4, v132, 16, 1
	s_delay_alu instid0(VALU_DEP_1)
	v_add3_u32 v4, v132, v4, 0x7fff
; %bb.92:
	s_and_not1_saveexec_b32 s4, s4
; %bb.93:
	v_and_b32_e32 v4, 0xffff, v132
	v_or_b32_e32 v5, 0x10000, v132
	s_delay_alu instid0(VALU_DEP_2) | instskip(NEXT) | instid1(VALU_DEP_2)
	v_cmp_eq_u32_e32 vcc_lo, 0, v4
	v_cndmask_b32_e32 v4, v5, v132, vcc_lo
; %bb.94:
	s_or_b32 exec_lo, exec_lo, s4
	v_and_b32_e32 v5, 0x7f800000, v133
	s_delay_alu instid0(VALU_DEP_1) | instskip(SKIP_1) | instid1(SALU_CYCLE_1)
	v_cmp_ne_u32_e32 vcc_lo, 0x7f800000, v5
                                        ; implicit-def: $vgpr5
	s_and_saveexec_b32 s4, vcc_lo
	s_xor_b32 s4, exec_lo, s4
; %bb.95:
	v_bfe_u32 v5, v133, 16, 1
	s_delay_alu instid0(VALU_DEP_1)
	v_add3_u32 v5, v133, v5, 0x7fff
; %bb.96:
	s_and_not1_saveexec_b32 s4, s4
; %bb.97:
	v_and_b32_e32 v5, 0xffff, v133
	v_or_b32_e32 v6, 0x10000, v133
	s_delay_alu instid0(VALU_DEP_2) | instskip(NEXT) | instid1(VALU_DEP_2)
	v_cmp_eq_u32_e32 vcc_lo, 0, v5
	v_cndmask_b32_e32 v5, v6, v133, vcc_lo
; %bb.98:
	s_or_b32 exec_lo, exec_lo, s4
	v_and_b32_e32 v6, 0x7f800000, v134
	s_delay_alu instid0(VALU_DEP_1) | instskip(SKIP_1) | instid1(SALU_CYCLE_1)
	v_cmp_ne_u32_e32 vcc_lo, 0x7f800000, v6
                                        ; implicit-def: $vgpr6
	s_and_saveexec_b32 s4, vcc_lo
	s_xor_b32 s4, exec_lo, s4
; %bb.99:
	v_bfe_u32 v6, v134, 16, 1
	s_delay_alu instid0(VALU_DEP_1)
	v_add3_u32 v6, v134, v6, 0x7fff
; %bb.100:
	s_and_not1_saveexec_b32 s4, s4
; %bb.101:
	v_and_b32_e32 v6, 0xffff, v134
	v_or_b32_e32 v7, 0x10000, v134
	s_delay_alu instid0(VALU_DEP_2) | instskip(NEXT) | instid1(VALU_DEP_2)
	v_cmp_eq_u32_e32 vcc_lo, 0, v6
	v_cndmask_b32_e32 v6, v7, v134, vcc_lo
; %bb.102:
	s_or_b32 exec_lo, exec_lo, s4
	v_and_b32_e32 v7, 0x7f800000, v135
	s_delay_alu instid0(VALU_DEP_1) | instskip(SKIP_1) | instid1(SALU_CYCLE_1)
	v_cmp_ne_u32_e32 vcc_lo, 0x7f800000, v7
                                        ; implicit-def: $vgpr7
	s_and_saveexec_b32 s4, vcc_lo
	s_xor_b32 s4, exec_lo, s4
; %bb.103:
	v_bfe_u32 v7, v135, 16, 1
	s_delay_alu instid0(VALU_DEP_1)
	v_add3_u32 v7, v135, v7, 0x7fff
; %bb.104:
	s_and_not1_saveexec_b32 s4, s4
; %bb.105:
	v_and_b32_e32 v7, 0xffff, v135
	v_or_b32_e32 v8, 0x10000, v135
	s_delay_alu instid0(VALU_DEP_2) | instskip(NEXT) | instid1(VALU_DEP_2)
	v_cmp_eq_u32_e32 vcc_lo, 0, v7
	v_cndmask_b32_e32 v7, v8, v135, vcc_lo
; %bb.106:
	s_or_b32 exec_lo, exec_lo, s4
	v_and_b32_e32 v8, 0x7f800000, v136
	s_delay_alu instid0(VALU_DEP_1) | instskip(SKIP_1) | instid1(SALU_CYCLE_1)
	v_cmp_ne_u32_e32 vcc_lo, 0x7f800000, v8
                                        ; implicit-def: $vgpr8
	s_and_saveexec_b32 s4, vcc_lo
	s_xor_b32 s4, exec_lo, s4
; %bb.107:
	v_bfe_u32 v8, v136, 16, 1
	s_delay_alu instid0(VALU_DEP_1)
	v_add3_u32 v8, v136, v8, 0x7fff
                                        ; implicit-def: $vgpr129_vgpr130_vgpr131_vgpr132_vgpr133_vgpr134_vgpr135_vgpr136
; %bb.108:
	s_and_not1_saveexec_b32 s4, s4
; %bb.109:
	v_and_b32_e32 v8, 0xffff, v136
	v_or_b32_e32 v9, 0x10000, v136
	s_delay_alu instid0(VALU_DEP_2) | instskip(NEXT) | instid1(VALU_DEP_2)
	v_cmp_eq_u32_e32 vcc_lo, 0, v8
	v_cndmask_b32_e32 v8, v9, v136, vcc_lo
; %bb.110:
	s_or_b32 exec_lo, exec_lo, s4
	s_delay_alu instid0(VALU_DEP_1)
	v_perm_b32 v7, v8, v7, 0x7060302
	v_perm_b32 v6, v6, v5, 0x7060302
	;; [unrolled: 1-line block ×4, first 2 shown]
	v_lshl_or_b32 v9, v146, 4, v141
	s_barrier
	buffer_gl0_inv
	v_cmp_eq_u32_e32 vcc_lo, 1, v138
	ds_store_b128 v9, v[4:7]
	s_waitcnt lgkmcnt(0)
	s_barrier
	buffer_gl0_inv
	ds_load_b128 v[1:4], v141
	ds_load_b128 v[5:8], v141 offset:16
	v_cmp_eq_u32_e64 s5, 2, v138
	v_cmp_eq_u32_e64 s4, 1, v139
	;; [unrolled: 1-line block ×5, first 2 shown]
	s_waitcnt lgkmcnt(1)
	v_lshrrev_b32_e32 v10, 16, v1
	s_waitcnt lgkmcnt(0)
	v_lshrrev_b32_e32 v14, 16, v5
	v_lshrrev_b32_e32 v15, 16, v6
	;; [unrolled: 1-line block ×4, first 2 shown]
	v_cndmask_b32_e64 v20, v1, v10, s4
	v_cndmask_b32_e32 v19, v5, v14, vcc_lo
	v_cndmask_b32_e64 v21, v5, v14, s4
	v_lshrrev_b32_e32 v16, 16, v7
	v_cmp_eq_u32_e64 s4, 1, v137
	v_lshrrev_b32_e32 v13, 16, v4
	v_cndmask_b32_e64 v19, v19, v6, s5
	v_lshrrev_b32_e32 v17, 16, v8
	s_delay_alu instid0(VALU_DEP_4) | instskip(SKIP_1) | instid1(VALU_DEP_4)
	v_cndmask_b32_e64 v22, v1, v10, s4
	v_cndmask_b32_e64 v23, v5, v14, s4
	;; [unrolled: 1-line block ×3, first 2 shown]
	v_cndmask_b32_e32 v18, v1, v10, vcc_lo
	v_cmp_eq_u32_e32 vcc_lo, 2, v139
	v_cmp_eq_u32_e64 s4, 2, v142
	v_cndmask_b32_e64 v22, v22, v2, s8
	v_cndmask_b32_e32 v20, v20, v2, vcc_lo
	v_cndmask_b32_e32 v21, v21, v6, vcc_lo
	v_cmp_eq_u32_e32 vcc_lo, 4, v138
	v_cndmask_b32_e32 v19, v19, v7, vcc_lo
	v_cndmask_b32_e64 v18, v18, v2, s5
	v_cmp_eq_u32_e64 s5, 3, v139
	s_delay_alu instid0(VALU_DEP_2) | instskip(NEXT) | instid1(VALU_DEP_2)
	v_cndmask_b32_e64 v18, v18, v11, s6
	v_cndmask_b32_e64 v21, v21, v15, s5
	v_cmp_eq_u32_e64 s6, 5, v138
	s_delay_alu instid0(VALU_DEP_3) | instskip(SKIP_1) | instid1(VALU_DEP_3)
	v_cndmask_b32_e32 v18, v18, v3, vcc_lo
	v_cmp_eq_u32_e32 vcc_lo, 4, v139
	v_cndmask_b32_e64 v19, v19, v16, s6
	s_delay_alu instid0(VALU_DEP_3) | instskip(SKIP_4) | instid1(VALU_DEP_3)
	v_cndmask_b32_e64 v18, v18, v12, s6
	v_cndmask_b32_e32 v21, v21, v7, vcc_lo
	v_cndmask_b32_e64 v20, v20, v11, s5
	v_cmp_eq_u32_e64 s5, 5, v139
	v_cmp_eq_u32_e64 s6, 6, v138
	v_cndmask_b32_e32 v20, v20, v3, vcc_lo
	s_delay_alu instid0(VALU_DEP_3) | instskip(SKIP_1) | instid1(VALU_DEP_4)
	v_cndmask_b32_e64 v21, v21, v16, s5
	v_cmp_eq_u32_e32 vcc_lo, 6, v139
	v_cndmask_b32_e64 v18, v18, v4, s6
	v_cndmask_b32_e64 v19, v19, v8, s6
	;; [unrolled: 1-line block ×3, first 2 shown]
	v_cmp_eq_u32_e64 s5, 1, v142
	v_cmp_eq_u32_e64 s6, 7, v138
	s_delay_alu instid0(VALU_DEP_3) | instskip(NEXT) | instid1(VALU_DEP_3)
	v_cndmask_b32_e32 v20, v20, v4, vcc_lo
	v_cndmask_b32_e64 v1, v1, v10, s5
	v_cndmask_b32_e64 v5, v5, v14, s5
	v_cmp_eq_u32_e64 s5, 3, v137
	v_cndmask_b32_e64 v14, v23, v6, s8
	v_cmp_eq_u32_e64 s8, 3, v142
	v_cndmask_b32_e64 v1, v1, v2, s4
	v_cndmask_b32_e64 v2, v5, v6, s4
	;; [unrolled: 1-line block ×3, first 2 shown]
	v_cmp_eq_u32_e64 s4, 4, v137
	v_cndmask_b32_e64 v6, v14, v15, s5
	v_cndmask_b32_e64 v1, v1, v11, s8
	v_cmp_eq_u32_e64 s5, 4, v142
	v_cndmask_b32_e64 v2, v2, v15, s8
	v_cndmask_b32_e64 v5, v10, v3, s4
	;; [unrolled: 3-line block ×3, first 2 shown]
	v_cndmask_b32_e64 v2, v2, v7, s5
	v_cmp_eq_u32_e64 s4, 5, v142
	v_cndmask_b32_e64 v5, v5, v12, s8
	v_cmp_eq_u32_e64 s5, 6, v137
	;; [unrolled: 2-line block ×3, first 2 shown]
	v_cndmask_b32_e64 v1, v1, v12, s4
	v_cndmask_b32_e64 v2, v2, v16, s4
	;; [unrolled: 1-line block ×4, first 2 shown]
	v_cmp_eq_u32_e64 s4, 7, v142
	v_cndmask_b32_e64 v1, v1, v4, s8
	v_cndmask_b32_e64 v2, v2, v8, s8
	v_cmp_eq_u32_e64 s5, 7, v137
	v_cndmask_b32_e32 v4, v21, v8, vcc_lo
	v_cndmask_b32_e64 v18, v18, v13, s6
	v_cndmask_b32_e64 v20, v20, v13, s7
	;; [unrolled: 1-line block ×8, first 2 shown]
	v_cmp_gt_u32_e32 vcc_lo, 32, v0
	v_perm_b32 v4, v2, v1, 0x5040100
	v_perm_b32 v3, v3, v5, 0x5040100
	;; [unrolled: 1-line block ×4, first 2 shown]
	s_and_b32 s2, vcc_lo, s2
	ds_store_b128 v9, v[1:4]
	s_waitcnt lgkmcnt(0)
	s_barrier
	buffer_gl0_inv
	s_and_saveexec_b32 s4, s2
	s_cbranch_execz .LBB488_2
; %bb.111:
	s_load_b64 s[4:5], s[0:1], 0x68
	v_lshlrev_b32_e32 v0, 10, v0
	v_lshlrev_b32_e32 v1, 4, v147
	s_lshl_b32 s0, s36, 6
	v_add_nc_u32_e32 v7, s31, v146
	s_mul_i32 s1, s0, s34
	s_delay_alu instid0(SALU_CYCLE_1) | instskip(SKIP_1) | instid1(VALU_DEP_2)
	s_mul_i32 s6, s1, s9
	v_and_or_b32 v0, 0x3800, v0, v1
	v_mul_lo_u32 v1, v7, s0
	v_add_nc_u32_e32 v2, 2, v7
	s_ashr_i32 s7, s6, 31
	v_add_nc_u32_e32 v4, 4, v7
	s_lshl_b64 s[6:7], s[6:7], 1
	v_add_nc_u32_e32 v8, 6, v7
	v_mul_lo_u32 v3, v2, s0
	v_lshl_or_b32 v19, v146, 6, v0
	v_ashrrev_i32_e32 v2, 31, v1
	v_mul_lo_u32 v11, v4, s0
	v_mul_lo_u32 v25, v8, s0
	s_waitcnt lgkmcnt(0)
	s_add_u32 s1, s4, s6
	s_addc_u32 s2, s5, s7
	s_lshl_b32 s4, s14, 6
	v_lshlrev_b64 v[5:6], 1, v[1:2]
	s_ashr_i32 s5, s4, 31
	v_ashrrev_i32_e32 v4, 31, v3
	s_lshl_b64 s[4:5], s[4:5], 1
	v_ashrrev_i32_e32 v12, 31, v11
	s_add_u32 s1, s1, s4
	s_addc_u32 s2, s2, s5
	v_add_co_u32 v1, s1, s1, v145
	s_delay_alu instid0(VALU_DEP_1) | instskip(SKIP_1) | instid1(VALU_DEP_3)
	v_add_co_ci_u32_e64 v2, null, s2, 0, s1
	v_lshlrev_b64 v[3:4], 1, v[3:4]
	v_add_co_u32 v23, vcc_lo, v1, v5
	v_add_nc_u32_e32 v5, 8, v7
	s_delay_alu instid0(VALU_DEP_4) | instskip(NEXT) | instid1(VALU_DEP_4)
	v_add_co_ci_u32_e32 v24, vcc_lo, v2, v6, vcc_lo
	v_add_co_u32 v27, vcc_lo, v1, v3
	s_delay_alu instid0(VALU_DEP_3)
	v_mul_lo_u32 v29, v5, s0
	v_add_co_ci_u32_e32 v28, vcc_lo, v2, v4, vcc_lo
	ds_load_b128 v[3:6], v19
	ds_load_b128 v[7:10], v19 offset:128
	v_lshlrev_b64 v[31:32], 1, v[11:12]
	ds_load_b128 v[11:14], v19 offset:256
	ds_load_b128 v[15:18], v19 offset:384
	;; [unrolled: 1-line block ×3, first 2 shown]
	v_ashrrev_i32_e32 v26, 31, v25
	v_ashrrev_i32_e32 v30, 31, v29
	v_add_co_u32 v31, vcc_lo, v1, v31
	s_delay_alu instid0(VALU_DEP_3) | instskip(NEXT) | instid1(VALU_DEP_3)
	v_lshlrev_b64 v[25:26], 1, v[25:26]
	v_lshlrev_b64 v[29:30], 1, v[29:30]
	v_add_co_ci_u32_e32 v32, vcc_lo, v2, v32, vcc_lo
	s_delay_alu instid0(VALU_DEP_3) | instskip(NEXT) | instid1(VALU_DEP_4)
	v_add_co_u32 v25, vcc_lo, v1, v25
	v_add_co_ci_u32_e32 v26, vcc_lo, v2, v26, vcc_lo
	s_delay_alu instid0(VALU_DEP_4)
	v_add_co_u32 v29, vcc_lo, v1, v29
	v_add_co_ci_u32_e32 v30, vcc_lo, v2, v30, vcc_lo
	s_waitcnt lgkmcnt(4)
	global_store_b128 v[23:24], v[3:6], off
	s_waitcnt lgkmcnt(3)
	global_store_b128 v[27:28], v[7:10], off
	;; [unrolled: 2-line block ×5, first 2 shown]
	s_and_b32 exec_lo, exec_lo, s3
	s_cbranch_execz .LBB488_2
; %bb.112:
	ds_load_b128 v[3:6], v0 offset:640
	s_add_i32 s1, s31, 10
	s_delay_alu instid0(SALU_CYCLE_1) | instskip(NEXT) | instid1(SALU_CYCLE_1)
	s_mul_i32 s0, s1, s0
	s_ashr_i32 s1, s0, 31
	s_delay_alu instid0(SALU_CYCLE_1) | instskip(NEXT) | instid1(SALU_CYCLE_1)
	s_lshl_b64 s[0:1], s[0:1], 1
	v_add_co_u32 v0, vcc_lo, v1, s0
	v_add_co_ci_u32_e32 v1, vcc_lo, s1, v2, vcc_lo
	s_waitcnt lgkmcnt(0)
	global_store_b128 v[0:1], v[3:6], off
	s_nop 0
	s_sendmsg sendmsg(MSG_DEALLOC_VGPRS)
	s_endpgm
	.section	.rodata,"a",@progbits
	.p2align	6, 0x0
	.amdhsa_kernel _Z39paged_attention_ll4mi_QKV_mfma16_kernelI14__hip_bfloat16S0_LN4vllm18Fp8KVCacheDataTypeE0ES0_Li16ELi64ELi256ELb0ELi11EL8MFMAType0EEvPKT_PKT0_S9_ifPKiSB_SB_iPKfiiiPfSE_PS4_PT2_iSD_SD_
		.amdhsa_group_segment_fixed_size 17472
		.amdhsa_private_segment_fixed_size 0
		.amdhsa_kernarg_size 400
		.amdhsa_user_sgpr_count 13
		.amdhsa_user_sgpr_dispatch_ptr 0
		.amdhsa_user_sgpr_queue_ptr 0
		.amdhsa_user_sgpr_kernarg_segment_ptr 1
		.amdhsa_user_sgpr_dispatch_id 0
		.amdhsa_user_sgpr_private_segment_size 0
		.amdhsa_wavefront_size32 1
		.amdhsa_uses_dynamic_stack 0
		.amdhsa_enable_private_segment 0
		.amdhsa_system_sgpr_workgroup_id_x 1
		.amdhsa_system_sgpr_workgroup_id_y 1
		.amdhsa_system_sgpr_workgroup_id_z 1
		.amdhsa_system_sgpr_workgroup_info 0
		.amdhsa_system_vgpr_workitem_id 0
		.amdhsa_next_free_vgpr 198
		.amdhsa_next_free_sgpr 52
		.amdhsa_reserve_vcc 1
		.amdhsa_float_round_mode_32 0
		.amdhsa_float_round_mode_16_64 0
		.amdhsa_float_denorm_mode_32 3
		.amdhsa_float_denorm_mode_16_64 3
		.amdhsa_dx10_clamp 1
		.amdhsa_ieee_mode 1
		.amdhsa_fp16_overflow 0
		.amdhsa_workgroup_processor_mode 1
		.amdhsa_memory_ordered 1
		.amdhsa_forward_progress 0
		.amdhsa_shared_vgpr_count 0
		.amdhsa_exception_fp_ieee_invalid_op 0
		.amdhsa_exception_fp_denorm_src 0
		.amdhsa_exception_fp_ieee_div_zero 0
		.amdhsa_exception_fp_ieee_overflow 0
		.amdhsa_exception_fp_ieee_underflow 0
		.amdhsa_exception_fp_ieee_inexact 0
		.amdhsa_exception_int_div_zero 0
	.end_amdhsa_kernel
	.section	.text._Z39paged_attention_ll4mi_QKV_mfma16_kernelI14__hip_bfloat16S0_LN4vllm18Fp8KVCacheDataTypeE0ES0_Li16ELi64ELi256ELb0ELi11EL8MFMAType0EEvPKT_PKT0_S9_ifPKiSB_SB_iPKfiiiPfSE_PS4_PT2_iSD_SD_,"axG",@progbits,_Z39paged_attention_ll4mi_QKV_mfma16_kernelI14__hip_bfloat16S0_LN4vllm18Fp8KVCacheDataTypeE0ES0_Li16ELi64ELi256ELb0ELi11EL8MFMAType0EEvPKT_PKT0_S9_ifPKiSB_SB_iPKfiiiPfSE_PS4_PT2_iSD_SD_,comdat
.Lfunc_end488:
	.size	_Z39paged_attention_ll4mi_QKV_mfma16_kernelI14__hip_bfloat16S0_LN4vllm18Fp8KVCacheDataTypeE0ES0_Li16ELi64ELi256ELb0ELi11EL8MFMAType0EEvPKT_PKT0_S9_ifPKiSB_SB_iPKfiiiPfSE_PS4_PT2_iSD_SD_, .Lfunc_end488-_Z39paged_attention_ll4mi_QKV_mfma16_kernelI14__hip_bfloat16S0_LN4vllm18Fp8KVCacheDataTypeE0ES0_Li16ELi64ELi256ELb0ELi11EL8MFMAType0EEvPKT_PKT0_S9_ifPKiSB_SB_iPKfiiiPfSE_PS4_PT2_iSD_SD_
                                        ; -- End function
	.section	.AMDGPU.csdata,"",@progbits
; Kernel info:
; codeLenInByte = 10216
; NumSgprs: 54
; NumVgprs: 198
; ScratchSize: 0
; MemoryBound: 0
; FloatMode: 240
; IeeeMode: 1
; LDSByteSize: 17472 bytes/workgroup (compile time only)
; SGPRBlocks: 6
; VGPRBlocks: 24
; NumSGPRsForWavesPerEU: 54
; NumVGPRsForWavesPerEU: 198
; Occupancy: 7
; WaveLimiterHint : 1
; COMPUTE_PGM_RSRC2:SCRATCH_EN: 0
; COMPUTE_PGM_RSRC2:USER_SGPR: 13
; COMPUTE_PGM_RSRC2:TRAP_HANDLER: 0
; COMPUTE_PGM_RSRC2:TGID_X_EN: 1
; COMPUTE_PGM_RSRC2:TGID_Y_EN: 1
; COMPUTE_PGM_RSRC2:TGID_Z_EN: 1
; COMPUTE_PGM_RSRC2:TIDIG_COMP_CNT: 0
	.section	.text._Z39paged_attention_ll4mi_QKV_mfma16_kernelI14__hip_bfloat16S0_LN4vllm18Fp8KVCacheDataTypeE0ES0_Li16ELi64ELi256ELb0ELi12EL8MFMAType0EEvPKT_PKT0_S9_ifPKiSB_SB_iPKfiiiPfSE_PS4_PT2_iSD_SD_,"axG",@progbits,_Z39paged_attention_ll4mi_QKV_mfma16_kernelI14__hip_bfloat16S0_LN4vllm18Fp8KVCacheDataTypeE0ES0_Li16ELi64ELi256ELb0ELi12EL8MFMAType0EEvPKT_PKT0_S9_ifPKiSB_SB_iPKfiiiPfSE_PS4_PT2_iSD_SD_,comdat
	.protected	_Z39paged_attention_ll4mi_QKV_mfma16_kernelI14__hip_bfloat16S0_LN4vllm18Fp8KVCacheDataTypeE0ES0_Li16ELi64ELi256ELb0ELi12EL8MFMAType0EEvPKT_PKT0_S9_ifPKiSB_SB_iPKfiiiPfSE_PS4_PT2_iSD_SD_ ; -- Begin function _Z39paged_attention_ll4mi_QKV_mfma16_kernelI14__hip_bfloat16S0_LN4vllm18Fp8KVCacheDataTypeE0ES0_Li16ELi64ELi256ELb0ELi12EL8MFMAType0EEvPKT_PKT0_S9_ifPKiSB_SB_iPKfiiiPfSE_PS4_PT2_iSD_SD_
	.globl	_Z39paged_attention_ll4mi_QKV_mfma16_kernelI14__hip_bfloat16S0_LN4vllm18Fp8KVCacheDataTypeE0ES0_Li16ELi64ELi256ELb0ELi12EL8MFMAType0EEvPKT_PKT0_S9_ifPKiSB_SB_iPKfiiiPfSE_PS4_PT2_iSD_SD_
	.p2align	8
	.type	_Z39paged_attention_ll4mi_QKV_mfma16_kernelI14__hip_bfloat16S0_LN4vllm18Fp8KVCacheDataTypeE0ES0_Li16ELi64ELi256ELb0ELi12EL8MFMAType0EEvPKT_PKT0_S9_ifPKiSB_SB_iPKfiiiPfSE_PS4_PT2_iSD_SD_,@function
_Z39paged_attention_ll4mi_QKV_mfma16_kernelI14__hip_bfloat16S0_LN4vllm18Fp8KVCacheDataTypeE0ES0_Li16ELi64ELi256ELb0ELi12EL8MFMAType0EEvPKT_PKT0_S9_ifPKiSB_SB_iPKfiiiPfSE_PS4_PT2_iSD_SD_: ; @_Z39paged_attention_ll4mi_QKV_mfma16_kernelI14__hip_bfloat16S0_LN4vllm18Fp8KVCacheDataTypeE0ES0_Li16ELi64ELi256ELb0ELi12EL8MFMAType0EEvPKT_PKT0_S9_ifPKiSB_SB_iPKfiiiPfSE_PS4_PT2_iSD_SD_
; %bb.0:
	s_load_b64 s[2:3], s[0:1], 0x30
	s_mov_b32 s30, s13
	s_waitcnt lgkmcnt(0)
	s_cmp_lg_u64 s[2:3], 0
	s_cselect_b32 s6, -1, 0
	s_ashr_i32 s31, s13, 31
	s_cmp_eq_u64 s[2:3], 0
	s_cbranch_scc1 .LBB489_3
; %bb.1:
	s_lshl_b64 s[4:5], s[30:31], 2
	s_delay_alu instid0(SALU_CYCLE_1) | instskip(SKIP_4) | instid1(SALU_CYCLE_1)
	s_add_u32 s4, s2, s4
	s_addc_u32 s5, s3, s5
	s_load_b64 s[4:5], s[4:5], 0x0
	s_waitcnt lgkmcnt(0)
	s_sub_i32 s4, s5, s4
	s_cmp_eq_u32 s4, 1
	s_cselect_b32 s4, -1, 0
	s_delay_alu instid0(SALU_CYCLE_1)
	s_and_not1_b32 vcc_lo, exec_lo, s4
	s_cbranch_vccz .LBB489_4
.LBB489_2:
	s_endpgm
.LBB489_3:
.LBB489_4:
	s_load_b64 s[8:9], s[0:1], 0x28
	s_lshl_b64 s[4:5], s[30:31], 2
	s_waitcnt lgkmcnt(0)
	s_add_u32 s8, s8, s4
	s_addc_u32 s9, s9, s5
	s_lshl_b32 s34, s14, 8
	s_load_b32 s33, s[8:9], 0x0
	s_waitcnt lgkmcnt(0)
	s_cmp_ge_i32 s34, s33
	s_cbranch_scc1 .LBB489_2
; %bb.5:
	s_clause 0x1
	s_load_b128 s[8:11], s[0:1], 0x8
	s_load_b64 s[12:13], s[0:1], 0x20
	s_and_not1_b32 vcc_lo, exec_lo, s6
	s_cbranch_vccnz .LBB489_7
; %bb.6:
	s_add_u32 s2, s2, s4
	s_addc_u32 s3, s3, s5
	s_load_b32 s3, s[2:3], 0x0
	s_branch .LBB489_8
.LBB489_7:
	s_mov_b32 s3, s30
.LBB489_8:
	s_load_b128 s[4:7], s[0:1], 0x48
	v_and_b32_e32 v148, 15, v0
	v_cmp_gt_u32_e32 vcc_lo, 0xc0, v0
	v_lshrrev_b32_e32 v149, 5, v0
	v_and_b32_e32 v150, 31, v0
	v_and_b32_e32 v147, 1, v0
	v_lshlrev_b32_e32 v1, 3, v148
	v_cmp_gt_u32_e64 s2, 8, v148
	v_bfe_u32 v146, v0, 4, 1
	s_mul_i32 s31, s15, 12
	s_delay_alu instid0(VALU_DEP_3) | instskip(NEXT) | instid1(VALU_DEP_3)
	v_lshlrev_b32_e32 v145, 1, v1
	s_and_b32 s16, vcc_lo, s2
	s_waitcnt lgkmcnt(0)
	s_and_saveexec_b32 s7, s16
	s_cbranch_execz .LBB489_10
; %bb.9:
	s_load_b64 s[16:17], s[0:1], 0x0
	v_lshl_or_b32 v5, v149, 1, v146
	s_mul_hi_i32 s19, s3, s4
	s_mul_i32 s18, s3, s4
	v_lshlrev_b32_e32 v6, 10, v148
	s_lshl_b64 s[18:19], s[18:19], 1
	v_add_lshl_u32 v1, v5, s31, 6
	v_lshlrev_b32_e32 v5, 6, v5
	v_lshlrev_b32_e32 v7, 10, v147
	v_and_b32_e32 v6, 0x3800, v6
	s_delay_alu instid0(VALU_DEP_4) | instskip(NEXT) | instid1(VALU_DEP_2)
	v_ashrrev_i32_e32 v2, 31, v1
	v_or3_b32 v5, v6, v7, v5
	s_delay_alu instid0(VALU_DEP_2) | instskip(SKIP_3) | instid1(VALU_DEP_1)
	v_lshlrev_b64 v[1:2], 1, v[1:2]
	s_waitcnt lgkmcnt(0)
	s_add_u32 s3, s16, s18
	s_addc_u32 s4, s17, s19
	v_add_co_u32 v1, vcc_lo, s3, v1
	s_delay_alu instid0(VALU_DEP_2) | instskip(NEXT) | instid1(VALU_DEP_2)
	v_add_co_ci_u32_e32 v2, vcc_lo, s4, v2, vcc_lo
	v_add_co_u32 v1, vcc_lo, v1, v145
	s_delay_alu instid0(VALU_DEP_2)
	v_add_co_ci_u32_e32 v2, vcc_lo, 0, v2, vcc_lo
	global_load_b128 v[1:4], v[1:2], off
	s_waitcnt vmcnt(0)
	ds_store_b128 v5, v[1:4]
.LBB489_10:
	s_or_b32 exec_lo, exec_lo, s7
	s_mov_b32 s40, 0
	s_add_i32 s3, s33, 15
	s_mov_b32 s41, s40
	s_mov_b32 s42, s40
	;; [unrolled: 1-line block ×7, first 2 shown]
	s_delay_alu instid0(SALU_CYCLE_1)
	v_dual_mov_b32 v144, s47 :: v_dual_and_b32 v1, 0xef, v0
	v_mov_b32_e32 v142, s45
	s_ashr_i32 s7, s3, 31
	s_clause 0x1
	s_load_b32 s4, s[0:1], 0x38
	s_load_b32 s35, s[0:1], 0x1c
	v_add_nc_u32_e32 v1, s34, v1
	s_lshr_b32 s7, s7, 28
	s_waitcnt lgkmcnt(0)
	s_add_i32 s3, s3, s7
	s_barrier
	v_ashrrev_i32_e32 v2, 31, v1
	v_or_b32_e32 v3, 16, v1
	s_ashr_i32 s3, s3, 4
	v_cmp_gt_i32_e32 vcc_lo, s33, v1
	s_add_i32 s3, s3, -1
	v_lshrrev_b32_e32 v2, 28, v2
	v_mov_b32_e32 v143, s46
	buffer_gl0_inv
	s_mul_i32 s6, s15, s6
	v_add_nc_u32_e32 v21, -12, v148
	v_dual_mov_b32 v141, s44 :: v_dual_add_nc_u32 v4, v1, v2
	v_mov_b32_e32 v139, s42
	s_mul_i32 s16, s30, s4
	v_mov_b32_e32 v137, s40
	s_delay_alu instid0(VALU_DEP_3)
	v_ashrrev_i32_e32 v4, 4, v4
	v_add_nc_u32_e32 v2, v3, v2
	v_lshlrev_b32_e32 v22, 5, v148
	s_ashr_i32 s17, s16, 31
	v_mov_b32_e32 v140, s43
	v_cndmask_b32_e32 v1, s3, v4, vcc_lo
	v_ashrrev_i32_e32 v2, 4, v2
	v_cmp_gt_i32_e32 vcc_lo, s33, v3
	s_lshl_b64 s[16:17], s[16:17], 2
	v_lshl_or_b32 v22, v149, 9, v22
	s_add_u32 s4, s12, s16
	s_addc_u32 s36, s13, s17
	v_cndmask_b32_e32 v3, s3, v2, vcc_lo
	v_ashrrev_i32_e32 v2, 31, v1
	s_ashr_i32 s7, s6, 31
	v_mov_b32_e32 v138, s41
	s_lshl_b64 s[6:7], s[6:7], 1
	v_ashrrev_i32_e32 v4, 31, v3
	v_lshlrev_b64 v[1:2], 2, v[1:2]
	s_add_u32 s24, s8, s6
	s_addc_u32 s25, s9, s7
	s_lshl_b32 s8, s14, 4
	v_lshlrev_b64 v[3:4], 2, v[3:4]
	s_ashr_i32 s9, s8, 31
	v_add_co_u32 v1, vcc_lo, s4, v1
	v_add_co_ci_u32_e32 v2, vcc_lo, s36, v2, vcc_lo
	s_delay_alu instid0(VALU_DEP_3) | instskip(NEXT) | instid1(VALU_DEP_4)
	v_add_co_u32 v3, vcc_lo, s4, v3
	v_add_co_ci_u32_e32 v4, vcc_lo, s36, v4, vcc_lo
	s_clause 0x1
	global_load_b32 v5, v[1:2], off
	global_load_b32 v6, v[3:4], off
	s_lshl_b64 s[8:9], s[8:9], 2
	v_lshlrev_b32_e32 v3, 4, v0
	s_add_u32 s8, s4, s8
	s_addc_u32 s9, s36, s9
	s_or_b32 s12, s34, 16
	s_delay_alu instid0(SALU_CYCLE_1) | instskip(SKIP_2) | instid1(SALU_CYCLE_1)
	s_ashr_i32 s13, s12, 4
	s_cmp_lt_i32 s12, s33
	s_cselect_b32 s12, s13, s3
	s_ashr_i32 s13, s12, 31
	s_delay_alu instid0(SALU_CYCLE_1) | instskip(NEXT) | instid1(SALU_CYCLE_1)
	s_lshl_b64 s[12:13], s[12:13], 2
	s_add_u32 s12, s4, s12
	s_addc_u32 s13, s36, s13
	s_or_b32 s15, s34, 32
	s_delay_alu instid0(SALU_CYCLE_1) | instskip(SKIP_2) | instid1(SALU_CYCLE_1)
	s_ashr_i32 s16, s15, 4
	s_cmp_lt_i32 s15, s33
	s_cselect_b32 s16, s16, s3
	s_ashr_i32 s17, s16, 31
	s_delay_alu instid0(SALU_CYCLE_1) | instskip(NEXT) | instid1(SALU_CYCLE_1)
	s_lshl_b64 s[16:17], s[16:17], 2
	s_add_u32 s16, s4, s16
	s_addc_u32 s17, s36, s17
	s_or_b32 s15, s34, 48
	s_delay_alu instid0(SALU_CYCLE_1) | instskip(SKIP_2) | instid1(SALU_CYCLE_1)
	s_ashr_i32 s18, s15, 4
	s_cmp_lt_i32 s15, s33
	s_cselect_b32 s18, s18, s3
	s_ashr_i32 s19, s18, 31
	s_delay_alu instid0(SALU_CYCLE_1) | instskip(NEXT) | instid1(SALU_CYCLE_1)
	s_lshl_b64 s[18:19], s[18:19], 2
	s_add_u32 s18, s4, s18
	s_addc_u32 s19, s36, s19
	s_or_b32 s15, s34, 64
	s_delay_alu instid0(SALU_CYCLE_1) | instskip(SKIP_2) | instid1(SALU_CYCLE_1)
	s_ashr_i32 s20, s15, 4
	s_cmp_lt_i32 s15, s33
	s_cselect_b32 s20, s20, s3
	s_ashr_i32 s21, s20, 31
	s_delay_alu instid0(SALU_CYCLE_1) | instskip(NEXT) | instid1(SALU_CYCLE_1)
	s_lshl_b64 s[20:21], s[20:21], 2
	s_add_u32 s20, s4, s20
	s_addc_u32 s21, s36, s21
	s_or_b32 s15, s34, 0x50
	s_delay_alu instid0(SALU_CYCLE_1) | instskip(SKIP_2) | instid1(SALU_CYCLE_1)
	s_ashr_i32 s22, s15, 4
	s_cmp_lt_i32 s15, s33
	s_cselect_b32 s22, s22, s3
	s_ashr_i32 s23, s22, 31
	s_delay_alu instid0(SALU_CYCLE_1) | instskip(NEXT) | instid1(SALU_CYCLE_1)
	s_lshl_b64 s[22:23], s[22:23], 2
	s_add_u32 s22, s4, s22
	s_addc_u32 s23, s36, s23
	s_clause 0x5
	s_load_b32 s8, s[8:9], 0x0
	s_load_b32 s12, s[12:13], 0x0
	;; [unrolled: 1-line block ×6, first 2 shown]
	s_waitcnt lgkmcnt(0)
	s_mul_hi_i32 s17, s16, s5
	s_mul_i32 s16, s16, s5
	s_waitcnt vmcnt(1)
	v_mad_i64_i32 v[1:2], null, v5, s5, 0
	v_and_b32_e32 v5, 0xf0, v3
	s_waitcnt vmcnt(0)
	v_mad_i64_i32 v[3:4], null, v6, s5, 0
	s_delay_alu instid0(VALU_DEP_2) | instskip(NEXT) | instid1(VALU_DEP_4)
	v_add_co_u32 v5, s9, s24, v5
	v_lshlrev_b64 v[1:2], 1, v[1:2]
	v_add_co_ci_u32_e64 v6, null, s25, 0, s9
	s_delay_alu instid0(VALU_DEP_4) | instskip(SKIP_1) | instid1(VALU_DEP_3)
	v_lshlrev_b64 v[3:4], 1, v[3:4]
	s_or_b32 s9, s34, 0x60
	v_add_co_u32 v19, vcc_lo, v5, v1
	s_delay_alu instid0(VALU_DEP_3) | instskip(NEXT) | instid1(VALU_DEP_3)
	v_add_co_ci_u32_e32 v20, vcc_lo, v6, v2, vcc_lo
	v_add_co_u32 v17, vcc_lo, v5, v3
	s_delay_alu instid0(VALU_DEP_4)
	v_add_co_ci_u32_e32 v18, vcc_lo, v6, v4, vcc_lo
	s_clause 0x9
	global_load_b128 v[1:4], v[19:20], off
	global_load_b128 v[5:8], v[19:20], off offset:256
	global_load_b128 v[129:132], v[17:18], off
	global_load_b128 v[133:136], v[17:18], off offset:256
	global_load_b128 v[33:36], v[19:20], off offset:512
	global_load_b128 v[37:40], v[19:20], off offset:768
	global_load_b128 v[25:28], v[17:18], off offset:512
	global_load_b128 v[29:32], v[17:18], off offset:768
	global_load_b128 v[9:12], v[19:20], off offset:1024
	global_load_b128 v[13:16], v[19:20], off offset:1280
	v_cmp_gt_u32_e32 vcc_lo, 12, v148
	s_clause 0x1
	global_load_b128 v[151:154], v[17:18], off offset:1024
	global_load_b128 v[155:158], v[17:18], off offset:1280
	s_ashr_i32 s13, s9, 4
	s_cmp_lt_i32 s9, s33
	v_cndmask_b32_e32 v21, v21, v148, vcc_lo
	s_cselect_b32 s22, s13, s3
	s_delay_alu instid0(SALU_CYCLE_1) | instskip(NEXT) | instid1(VALU_DEP_1)
	s_ashr_i32 s23, s22, 31
	v_lshlrev_b32_e32 v197, 6, v21
	ds_load_b128 v[159:162], v197
	ds_load_b128 v[163:166], v197 offset:1024
	s_clause 0x3
	global_load_b128 v[167:170], v[19:20], off offset:1536
	global_load_b128 v[171:174], v[19:20], off offset:1792
	;; [unrolled: 1-line block ×4, first 2 shown]
	s_lshl_b64 s[22:23], s[22:23], 2
	s_delay_alu instid0(SALU_CYCLE_1) | instskip(SKIP_2) | instid1(SALU_CYCLE_1)
	s_add_u32 s22, s4, s22
	s_addc_u32 s23, s36, s23
	s_or_b32 s9, s34, 0x70
	s_ashr_i32 s13, s9, 4
	s_cmp_lt_i32 s9, s33
	s_cselect_b32 s24, s13, s3
	s_delay_alu instid0(SALU_CYCLE_1) | instskip(NEXT) | instid1(SALU_CYCLE_1)
	s_ashr_i32 s25, s24, 31
	s_lshl_b64 s[24:25], s[24:25], 2
	s_delay_alu instid0(SALU_CYCLE_1)
	s_add_u32 s24, s4, s24
	s_addc_u32 s25, s36, s25
	s_or_b32 s9, s34, 0x80
	s_load_b32 s46, s[24:25], 0x0
	s_ashr_i32 s13, s9, 4
	s_cmp_lt_i32 s9, s33
	s_cselect_b32 s26, s13, s3
	s_delay_alu instid0(SALU_CYCLE_1) | instskip(NEXT) | instid1(SALU_CYCLE_1)
	s_ashr_i32 s27, s26, 31
	s_lshl_b64 s[26:27], s[26:27], 2
	s_delay_alu instid0(SALU_CYCLE_1)
	s_add_u32 s26, s4, s26
	s_addc_u32 s27, s36, s27
	s_or_b32 s9, s34, 0x90
	s_load_b32 s47, s[26:27], 0x0
	s_ashr_i32 s13, s9, 4
	s_cmp_lt_i32 s9, s33
	s_cselect_b32 s28, s13, s3
	s_delay_alu instid0(SALU_CYCLE_1) | instskip(NEXT) | instid1(SALU_CYCLE_1)
	s_ashr_i32 s29, s28, 31
	s_lshl_b64 s[28:29], s[28:29], 2
	s_delay_alu instid0(SALU_CYCLE_1) | instskip(SKIP_2) | instid1(SALU_CYCLE_1)
	s_add_u32 s28, s4, s28
	s_addc_u32 s29, s36, s29
	s_or_b32 s9, s34, 0xa0
	s_ashr_i32 s13, s9, 4
	s_cmp_lt_i32 s9, s33
	s_cselect_b32 s38, s13, s3
	s_delay_alu instid0(SALU_CYCLE_1) | instskip(NEXT) | instid1(SALU_CYCLE_1)
	s_ashr_i32 s39, s38, 31
	s_lshl_b64 s[38:39], s[38:39], 2
	s_delay_alu instid0(SALU_CYCLE_1)
	s_add_u32 s38, s4, s38
	s_addc_u32 s39, s36, s39
	s_or_b32 s9, s34, 0xb0
	s_load_b32 s39, s[38:39], 0x0
	s_ashr_i32 s13, s9, 4
	s_cmp_lt_i32 s9, s33
	s_mul_hi_i32 s9, s8, s5
	s_cselect_b32 s40, s13, s3
	s_mul_i32 s8, s8, s5
	s_ashr_i32 s41, s40, 31
	s_mul_hi_i32 s13, s12, s5
	s_lshl_b64 s[40:41], s[40:41], 2
	s_mul_i32 s12, s12, s5
	s_add_u32 s42, s4, s40
	s_addc_u32 s43, s36, s41
	s_or_b32 s19, s34, 0xc0
	s_delay_alu instid0(SALU_CYCLE_1)
	s_ashr_i32 s21, s19, 4
	s_cmp_lt_i32 s19, s33
	s_mul_hi_i32 s19, s18, s5
	s_cselect_b32 s40, s21, s3
	s_mul_i32 s18, s18, s5
	s_ashr_i32 s41, s40, 31
	s_mul_hi_i32 s21, s20, s5
	s_lshl_b64 s[40:41], s[40:41], 2
	s_mul_i32 s20, s20, s5
	s_add_u32 s44, s4, s40
	s_load_b32 s40, s[28:29], 0x0
	s_addc_u32 s45, s36, s41
	s_or_b32 s37, s34, 0xd0
	s_load_b32 s41, s[22:23], 0x0
	s_ashr_i32 s22, s37, 4
	s_cmp_lt_i32 s37, s33
	s_mul_hi_i32 s23, s15, s5
	s_cselect_b32 s24, s22, s3
	s_mul_i32 s22, s15, s5
	s_ashr_i32 s25, s24, 31
	s_waitcnt lgkmcnt(0)
	s_mul_hi_i32 s27, s46, s5
	s_lshl_b64 s[24:25], s[24:25], 2
	s_mul_i32 s26, s46, s5
	s_add_u32 s24, s4, s24
	s_addc_u32 s25, s36, s25
	s_or_b32 s48, s34, 0xe0
	s_clause 0x2
	s_load_b32 s38, s[42:43], 0x0
	s_load_b32 s37, s[44:45], 0x0
	;; [unrolled: 1-line block ×3, first 2 shown]
	s_ashr_i32 s49, s48, 4
	s_cmp_lt_i32 s48, s33
	s_mul_hi_i32 s29, s47, s5
	s_cselect_b32 s42, s49, s3
	s_mul_i32 s28, s47, s5
	s_ashr_i32 s43, s42, 31
	s_mul_hi_i32 s25, s41, s5
	s_lshl_b64 s[42:43], s[42:43], 2
	s_mul_i32 s24, s41, s5
	s_add_u32 s42, s4, s42
	s_addc_u32 s43, s36, s43
	s_or_b32 s46, s34, 0xf0
	s_mul_hi_i32 s41, s40, s5
	s_ashr_i32 s47, s46, 4
	s_cmp_lt_i32 s46, s33
	s_mul_i32 s40, s40, s5
	s_cselect_b32 s46, s47, s3
	s_mul_hi_i32 s45, s39, s5
	s_ashr_i32 s47, s46, 31
	s_mul_i32 s44, s39, s5
	s_lshl_b64 s[46:47], s[46:47], 2
	s_waitcnt lgkmcnt(0)
	s_mul_hi_i32 s39, s38, s5
	s_add_u32 s46, s4, s46
	s_addc_u32 s47, s36, s47
	s_add_u32 s3, s10, s6
	s_addc_u32 s4, s11, s7
	v_add_co_u32 v195, s3, s3, v22
	s_delay_alu instid0(VALU_DEP_1) | instskip(SKIP_2) | instid1(VALU_DEP_2)
	v_add_co_ci_u32_e64 v196, null, s4, 0, s3
	s_lshl_b64 s[6:7], s[8:9], 1
	s_lshl_b64 s[8:9], s[12:13], 1
	v_add_co_u32 v17, vcc_lo, v195, s6
	s_delay_alu instid0(VALU_DEP_2)
	v_add_co_ci_u32_e32 v18, vcc_lo, s7, v196, vcc_lo
	v_add_co_u32 v19, vcc_lo, v195, s8
	s_lshl_b64 s[10:11], s[16:17], 1
	v_add_co_ci_u32_e32 v20, vcc_lo, s9, v196, vcc_lo
	v_add_co_u32 v21, vcc_lo, v195, s10
	s_lshl_b64 s[12:13], s[18:19], 1
	;; [unrolled: 3-line block ×9, first 2 shown]
	s_mul_i32 s38, s38, s5
	v_add_co_ci_u32_e32 v54, vcc_lo, s27, v196, vcc_lo
	v_add_co_u32 v183, vcc_lo, v195, s28
	s_mul_hi_i32 s49, s37, s5
	s_mul_i32 s48, s37, s5
	s_lshl_b64 s[36:37], s[38:39], 1
	v_add_co_ci_u32_e32 v184, vcc_lo, s29, v196, vcc_lo
	v_add_co_u32 v185, vcc_lo, v195, s36
	s_lshl_b64 s[38:39], s[48:49], 1
	s_clause 0x1
	s_load_b32 s3, s[42:43], 0x0
	s_load_b32 s4, s[46:47], 0x0
	v_add_co_ci_u32_e32 v186, vcc_lo, s37, v196, vcc_lo
	v_add_co_u32 v191, vcc_lo, v195, s38
	v_add_co_ci_u32_e32 v192, vcc_lo, s39, v196, vcc_lo
	s_clause 0x17
	global_load_b128 v[121:124], v[17:18], off
	global_load_b128 v[125:128], v[17:18], off offset:16
	global_load_b128 v[113:116], v[19:20], off
	global_load_b128 v[117:120], v[19:20], off offset:16
	;; [unrolled: 2-line block ×12, first 2 shown]
	s_mul_hi_i32 s51, s15, s5
	s_mul_i32 s50, s15, s5
	s_delay_alu instid0(SALU_CYCLE_1) | instskip(NEXT) | instid1(SALU_CYCLE_1)
	s_lshl_b64 s[40:41], s[50:51], 1
	v_add_co_u32 v193, vcc_lo, v195, s40
	v_add_co_ci_u32_e32 v194, vcc_lo, s41, v196, vcc_lo
	s_waitcnt lgkmcnt(0)
	s_mul_hi_i32 s7, s3, s5
	s_mul_i32 s6, s3, s5
	s_mul_hi_i32 s9, s4, s5
	s_lshl_b64 s[6:7], s[6:7], 1
	s_mul_i32 s8, s4, s5
	s_delay_alu instid0(SALU_CYCLE_1)
	s_lshl_b64 s[4:5], s[8:9], 1
	s_waitcnt vmcnt(38)
	v_wmma_f32_16x16x16_bf16 v[183:190], v[1:8], v[159:166], v[137:144]
	s_waitcnt vmcnt(36)
	v_wmma_f32_16x16x16_bf16 v[137:144], v[129:136], v[159:166], v[137:144]
	s_clause 0x1
	global_load_b128 v[1:4], v[191:192], off
	global_load_b128 v[5:8], v[191:192], off offset:16
	ds_load_b128 v[129:132], v197 offset:2048
	ds_load_b128 v[133:136], v197 offset:3072
	;; [unrolled: 1-line block ×4, first 2 shown]
	v_add_co_u32 v191, vcc_lo, v195, s6
	v_add_co_ci_u32_e32 v192, vcc_lo, s7, v196, vcc_lo
	v_add_co_u32 v195, vcc_lo, v195, s4
	v_add_co_ci_u32_e32 v196, vcc_lo, s5, v196, vcc_lo
	s_waitcnt vmcnt(36) lgkmcnt(2)
	v_wmma_f32_16x16x16_bf16 v[183:190], v[33:40], v[129:136], v[183:190]
	s_waitcnt vmcnt(34)
	v_wmma_f32_16x16x16_bf16 v[137:144], v[25:32], v[129:136], v[137:144]
	s_clause 0x3
	global_load_b128 v[25:28], v[193:194], off
	global_load_b128 v[29:32], v[193:194], off offset:16
	global_load_b128 v[33:36], v[191:192], off
	global_load_b128 v[37:40], v[191:192], off offset:16
	v_and_b32_e32 v129, 0xe0, v0
	v_mbcnt_lo_u32_b32 v191, -1, 0
	s_waitcnt vmcnt(36) lgkmcnt(0)
	v_wmma_f32_16x16x16_bf16 v[183:190], v[9:16], v[159:166], v[183:190]
	s_clause 0x1
	global_load_b128 v[9:12], v[195:196], off
	global_load_b128 v[13:16], v[195:196], off offset:16
	s_waitcnt vmcnt(36)
	v_wmma_f32_16x16x16_bf16 v[137:144], v[151:158], v[159:166], v[137:144]
	v_add_nc_u32_e32 v192, s34, v129
	ds_load_b128 v[129:132], v197 offset:6144
	ds_load_b128 v[133:136], v197 offset:7168
	v_xor_b32_e32 v151, 16, v191
	s_waitcnt vmcnt(0) lgkmcnt(0)
	s_barrier
	v_or_b32_e32 v152, v192, v146
	buffer_gl0_inv
	v_cmp_gt_i32_e32 vcc_lo, 32, v151
	v_or_b32_e32 v153, 2, v152
	v_or_b32_e32 v154, 4, v152
	;; [unrolled: 1-line block ×5, first 2 shown]
	v_cmp_gt_i32_e64 s3, s33, v153
	v_cmp_gt_i32_e64 s4, s33, v154
	;; [unrolled: 1-line block ×3, first 2 shown]
	v_or_b32_e32 v158, 12, v152
	v_or_b32_e32 v159, 14, v152
	v_cmp_gt_i32_e64 s6, s33, v156
	v_wmma_f32_16x16x16_bf16 v[183:190], v[167:174], v[129:136], v[183:190]
	v_wmma_f32_16x16x16_bf16 v[137:144], v[175:182], v[129:136], v[137:144]
	v_cndmask_b32_e32 v151, v191, v151, vcc_lo
	v_cmp_gt_i32_e32 vcc_lo, s33, v152
	v_cmp_gt_i32_e64 s7, s33, v157
	v_dual_mul_f32 v135, s35, v184 :: v_dual_mul_f32 v136, s35, v183
	v_dual_mul_f32 v133, s35, v186 :: v_dual_mul_f32 v134, s35, v185
	;; [unrolled: 1-line block ×3, first 2 shown]
	s_delay_alu instid0(VALU_DEP_3) | instskip(NEXT) | instid1(VALU_DEP_4)
	v_cndmask_b32_e32 v136, 0xff7fffff, v136, vcc_lo
	v_cndmask_b32_e64 v135, 0xff7fffff, v135, s3
	v_mul_f32_e32 v132, s35, v187
	v_cndmask_b32_e64 v134, 0xff7fffff, v134, s4
	v_cndmask_b32_e64 v133, 0xff7fffff, v133, s5
	v_or_b32_e32 v160, 16, v152
	v_max3_f32 v135, v136, 0xff7fffff, v135
	v_or_b32_e32 v161, 18, v152
	v_mul_f32_e32 v130, s35, v189
	v_dual_mul_f32 v172, s35, v140 :: v_dual_mul_f32 v129, s35, v190
	v_cndmask_b32_e64 v132, 0xff7fffff, v132, s6
	v_cndmask_b32_e64 v131, 0xff7fffff, v131, s7
	v_max3_f32 v133, v135, v134, v133
	v_cmp_gt_i32_e64 s8, s33, v158
	v_lshlrev_b32_e32 v158, 2, v151
	v_cmp_gt_i32_e64 s9, s33, v159
	v_or_b32_e32 v162, 20, v152
	v_or_b32_e32 v163, 22, v152
	v_mul_f32_e32 v175, s35, v137
	v_cndmask_b32_e64 v130, 0xff7fffff, v130, s8
	v_cndmask_b32_e64 v129, 0xff7fffff, v129, s9
	v_max3_f32 v131, v133, v132, v131
	v_cmp_gt_i32_e64 s10, s33, v160
	v_cmp_gt_i32_e64 s11, s33, v161
	v_or_b32_e32 v164, 24, v152
	v_or_b32_e32 v165, 26, v152
	v_mul_f32_e32 v173, s35, v139
	v_cndmask_b32_e64 v132, 0xff7fffff, v175, s10
	v_cndmask_b32_e64 v133, 0xff7fffff, v174, s11
	v_max3_f32 v129, v131, v130, v129
	v_cmp_gt_i32_e64 s12, s33, v162
	v_cmp_gt_i32_e64 s13, s33, v163
	v_or_b32_e32 v166, 28, v152
	v_or_b32_e32 v167, 30, v152
	v_dual_mul_f32 v170, s35, v142 :: v_dual_mul_f32 v171, s35, v141
	v_cndmask_b32_e64 v130, 0xff7fffff, v173, s12
	v_cndmask_b32_e64 v131, 0xff7fffff, v172, s13
	v_max3_f32 v129, v129, v132, v133
	v_cmp_gt_i32_e64 s15, s33, v164
	v_cmp_gt_i32_e64 s16, s33, v165
	v_dual_mul_f32 v168, s35, v144 :: v_dual_mul_f32 v169, s35, v143
	s_delay_alu instid0(VALU_DEP_4) | instskip(NEXT) | instid1(VALU_DEP_4)
	v_max3_f32 v129, v129, v130, v131
	v_cndmask_b32_e64 v132, 0xff7fffff, v171, s15
	s_delay_alu instid0(VALU_DEP_4) | instskip(SKIP_2) | instid1(VALU_DEP_3)
	v_cndmask_b32_e64 v133, 0xff7fffff, v170, s16
	v_cmp_gt_i32_e64 s17, s33, v166
	v_cmp_gt_i32_e64 s18, s33, v167
	v_max3_f32 v129, v129, v132, v133
	s_delay_alu instid0(VALU_DEP_3) | instskip(NEXT) | instid1(VALU_DEP_3)
	v_cndmask_b32_e64 v130, 0xff7fffff, v169, s17
	v_cndmask_b32_e64 v131, 0xff7fffff, v168, s18
	s_delay_alu instid0(VALU_DEP_1) | instskip(SKIP_3) | instid1(VALU_DEP_1)
	v_max3_f32 v129, v129, v130, v131
	ds_bpermute_b32 v130, v158, v129
	s_waitcnt lgkmcnt(0)
	v_max_f32_e32 v130, v130, v130
	v_max_f32_e32 v129, v129, v130
	s_delay_alu instid0(VALU_DEP_1)
	v_fma_f32 v130, s35, v183, -v129
	v_fma_f32 v132, s35, v185, -v129
	;; [unrolled: 1-line block ×5, first 2 shown]
	v_mul_f32_e32 v130, 0x3fb8aa3b, v130
	v_mul_f32_e32 v132, 0x3fb8aa3b, v132
	;; [unrolled: 1-line block ×3, first 2 shown]
	v_fma_f32 v135, s35, v189, -v129
	s_delay_alu instid0(VALU_DEP_4) | instskip(NEXT) | instid1(VALU_DEP_3)
	v_exp_f32_e32 v130, v130
	v_exp_f32_e32 v132, v132
	s_delay_alu instid0(VALU_DEP_2) | instskip(NEXT) | instid1(TRANS32_DEP_3)
	v_exp_f32_e32 v134, v134
	v_cndmask_b32_e32 v152, 0, v130, vcc_lo
	v_fma_f32 v130, s35, v188, -v129
	s_waitcnt_depctr 0xfff
	v_cndmask_b32_e64 v153, 0, v132, s4
	v_fma_f32 v132, s35, v190, -v129
	v_mul_f32_e32 v131, 0x3fb8aa3b, v131
	v_cndmask_b32_e64 v155, 0, v134, s6
	v_dual_mul_f32 v130, 0x3fb8aa3b, v130 :: v_dual_mul_f32 v133, 0x3fb8aa3b, v133
	s_delay_alu instid0(VALU_DEP_4) | instskip(NEXT) | instid1(VALU_DEP_4)
	v_mul_f32_e32 v132, 0x3fb8aa3b, v132
	v_exp_f32_e32 v131, v131
	v_fma_f32 v134, s35, v138, -v129
	s_delay_alu instid0(VALU_DEP_3) | instskip(SKIP_2) | instid1(VALU_DEP_1)
	v_exp_f32_e32 v130, v130
	v_exp_f32_e32 v133, v133
	;; [unrolled: 1-line block ×3, first 2 shown]
	v_mul_f32_e32 v134, 0x3fb8aa3b, v134
	v_cndmask_b32_e64 v151, 0, v131, s3
	v_add_f32_e32 v131, 0, v152
	s_delay_alu instid0(TRANS32_DEP_3)
	v_cndmask_b32_e64 v156, 0, v130, s7
	s_waitcnt_depctr 0xfff
	v_cndmask_b32_e64 v154, 0, v133, s5
	v_fma_f32 v133, s35, v137, -v129
	v_exp_f32_e32 v134, v134
	v_add_f32_e32 v131, v131, v151
	s_mov_b32 s3, exec_lo
	s_delay_alu instid0(VALU_DEP_1) | instskip(NEXT) | instid1(VALU_DEP_1)
	v_add_f32_e32 v131, v131, v153
	v_add_f32_e32 v131, v131, v154
	s_delay_alu instid0(VALU_DEP_1) | instskip(SKIP_2) | instid1(VALU_DEP_3)
	v_add_f32_e32 v130, v131, v155
	v_fma_f32 v131, s35, v139, -v129
	v_fma_f32 v139, s35, v144, -v129
	v_dual_add_f32 v130, v130, v156 :: v_dual_mul_f32 v135, 0x3fb8aa3b, v135
	s_delay_alu instid0(VALU_DEP_1)
	v_exp_f32_e32 v135, v135
	s_waitcnt_depctr 0xfff
	v_cndmask_b32_e64 v157, 0, v135, s8
	v_fma_f32 v135, s35, v140, -v129
	v_cndmask_b32_e64 v140, 0, v132, s9
	v_fma_f32 v132, s35, v141, -v129
	s_delay_alu instid0(VALU_DEP_1) | instskip(SKIP_1) | instid1(VALU_DEP_2)
	v_dual_add_f32 v130, v130, v157 :: v_dual_mul_f32 v137, 0x3fb8aa3b, v132
	v_cndmask_b32_e64 v132, 0, v134, s11
	v_dual_add_f32 v130, v130, v140 :: v_dual_mul_f32 v133, 0x3fb8aa3b, v133
	v_mul_f32_e32 v131, 0x3fb8aa3b, v131
	v_fma_f32 v134, s35, v143, -v129
	v_mul_f32_e32 v135, 0x3fb8aa3b, v135
	s_delay_alu instid0(VALU_DEP_4) | instskip(NEXT) | instid1(VALU_DEP_3)
	v_exp_f32_e32 v133, v133
	v_exp_f32_e32 v136, v131
	s_waitcnt_depctr 0xfff
	v_cndmask_b32_e64 v131, 0, v133, s10
	v_fma_f32 v133, s35, v142, -v129
	s_delay_alu instid0(VALU_DEP_2) | instskip(NEXT) | instid1(VALU_DEP_2)
	v_add_f32_e32 v130, v130, v131
	v_mul_f32_e32 v138, 0x3fb8aa3b, v133
	v_cndmask_b32_e64 v133, 0, v136, s12
	v_mul_f32_e32 v136, 0x3fb8aa3b, v134
	v_exp_f32_e32 v135, v135
	v_add_f32_e32 v130, v130, v132
	v_exp_f32_e32 v138, v138
	s_delay_alu instid0(VALU_DEP_2) | instskip(NEXT) | instid1(VALU_DEP_1)
	v_exp_f32_e32 v141, v136
	v_add_f32_e32 v130, v130, v133
	v_exp_f32_e32 v137, v137
	v_cndmask_b32_e64 v134, 0, v135, s13
	s_delay_alu instid0(TRANS32_DEP_3) | instskip(NEXT) | instid1(VALU_DEP_2)
	v_cndmask_b32_e64 v136, 0, v138, s16
	v_add_f32_e32 v130, v130, v134
	s_waitcnt_depctr 0xfff
	v_cndmask_b32_e64 v135, 0, v137, s15
	v_mul_f32_e32 v137, 0x3fb8aa3b, v139
	s_delay_alu instid0(VALU_DEP_2) | instskip(NEXT) | instid1(VALU_DEP_2)
	v_add_f32_e32 v130, v130, v135
	v_exp_f32_e32 v138, v137
	v_cndmask_b32_e64 v137, 0, v141, s17
	s_delay_alu instid0(VALU_DEP_2) | instskip(NEXT) | instid1(VALU_DEP_1)
	v_add_f32_e32 v130, v130, v136
	v_add_f32_e32 v130, v130, v137
	s_waitcnt_depctr 0xfff
	v_cndmask_b32_e64 v138, 0, v138, s18
	s_delay_alu instid0(VALU_DEP_1)
	v_add_f32_e32 v130, v130, v138
	ds_bpermute_b32 v139, v158, v130
	v_cmpx_gt_u32_e32 16, v150
	s_cbranch_execz .LBB489_12
; %bb.11:
	v_mul_u32_u24_e32 v141, 0x44, v149
	s_delay_alu instid0(VALU_DEP_1) | instskip(SKIP_1) | instid1(VALU_DEP_1)
	v_lshl_add_u32 v141, v148, 2, v141
	s_waitcnt lgkmcnt(0)
	v_dual_add_f32 v130, v130, v139 :: v_dual_add_nc_u32 v139, 0x4000, v141
	ds_store_2addr_b32 v139, v129, v130 offset1:136
.LBB489_12:
	s_or_b32 exec_lo, exec_lo, s3
	v_lshlrev_b32_e32 v129, 2, v148
	s_waitcnt lgkmcnt(0)
	s_barrier
	buffer_gl0_inv
	v_cmp_eq_u32_e64 s3, 1, v149
	v_add_nc_u32_e32 v139, 0x4000, v129
	ds_load_2addr_b32 v[141:142], v139 offset1:17
	ds_load_2addr_b32 v[143:144], v139 offset0:34 offset1:51
	ds_load_2addr_b32 v[158:159], v139 offset0:68 offset1:85
	;; [unrolled: 1-line block ×4, first 2 shown]
	s_waitcnt lgkmcnt(4)
	v_max3_f32 v129, v141, 0xff7fffff, v142
	s_waitcnt lgkmcnt(3)
	s_delay_alu instid0(VALU_DEP_1) | instskip(SKIP_1) | instid1(VALU_DEP_1)
	v_max3_f32 v129, v129, v143, v144
	s_waitcnt lgkmcnt(2)
	v_max3_f32 v129, v129, v158, v159
	s_waitcnt lgkmcnt(1)
	s_delay_alu instid0(VALU_DEP_1) | instskip(NEXT) | instid1(VALU_DEP_1)
	v_max3_f32 v129, v129, v160, v161
	v_sub_f32_e32 v158, v158, v129
	s_delay_alu instid0(VALU_DEP_1) | instskip(NEXT) | instid1(VALU_DEP_1)
	v_dual_sub_f32 v150, v142, v129 :: v_dual_mul_f32 v167, 0x3fb8aa3b, v158
	v_dual_sub_f32 v143, v143, v129 :: v_dual_mul_f32 v150, 0x3fb8aa3b, v150
	s_delay_alu instid0(VALU_DEP_1) | instskip(NEXT) | instid1(VALU_DEP_2)
	v_dual_sub_f32 v130, v141, v129 :: v_dual_mul_f32 v165, 0x3fb8aa3b, v143
	v_exp_f32_e32 v150, v150
	s_delay_alu instid0(VALU_DEP_1) | instskip(NEXT) | instid1(VALU_DEP_2)
	v_mul_f32_e32 v130, 0x3fb8aa3b, v130
	v_exp_f32_e32 v165, v165
	s_delay_alu instid0(VALU_DEP_1) | instskip(SKIP_1) | instid1(VALU_DEP_1)
	v_exp_f32_e32 v164, v130
	v_sub_f32_e32 v130, v144, v129
	v_mul_f32_e32 v166, 0x3fb8aa3b, v130
	s_waitcnt lgkmcnt(0)
	s_waitcnt_depctr 0xfff
	v_fma_f32 v130, v164, v162, 0
	v_sub_f32_e32 v162, v159, v129
	s_delay_alu instid0(VALU_DEP_2)
	v_fmac_f32_e32 v130, v150, v163
	ds_load_2addr_b32 v[141:142], v139 offset0:170 offset1:187
	ds_load_2addr_b32 v[143:144], v139 offset0:204 offset1:221
	ds_load_2addr_b32 v[158:159], v139 offset0:238 offset1:255
	v_sub_f32_e32 v139, v160, v129
	v_exp_f32_e32 v166, v166
	v_mul_f32_e32 v160, 0x3fb8aa3b, v162
	v_exp_f32_e32 v162, v167
	v_cndmask_b32_e64 v150, v164, v150, s3
	v_mul_f32_e32 v139, 0x3fb8aa3b, v139
	v_cmp_eq_u32_e64 s3, 2, v149
	s_waitcnt lgkmcnt(0)
	s_barrier
	buffer_gl0_inv
	v_exp_f32_e32 v139, v139
	v_cndmask_b32_e64 v150, v150, v165, s3
	v_cmp_eq_u32_e64 s3, 3, v149
	v_fmac_f32_e32 v130, v165, v141
	v_sub_f32_e32 v141, v161, v129
	v_exp_f32_e32 v160, v160
	s_delay_alu instid0(VALU_DEP_3) | instskip(SKIP_1) | instid1(VALU_DEP_3)
	v_cndmask_b32_e64 v150, v150, v166, s3
	v_cmp_eq_u32_e64 s3, 4, v149
	v_dual_fmac_f32 v130, v166, v142 :: v_dual_mul_f32 v141, 0x3fb8aa3b, v141
	s_delay_alu instid0(VALU_DEP_2) | instskip(SKIP_1) | instid1(VALU_DEP_3)
	v_cndmask_b32_e64 v150, v150, v162, s3
	v_cmp_eq_u32_e64 s3, 5, v149
	v_exp_f32_e32 v141, v141
	s_delay_alu instid0(VALU_DEP_3)
	v_fmac_f32_e32 v130, v162, v143
	s_delay_alu instid0(TRANS32_DEP_2) | instid1(VALU_DEP_2)
	v_cndmask_b32_e64 v150, v150, v160, s3
	s_delay_alu instid0(VALU_DEP_2) | instskip(NEXT) | instid1(VALU_DEP_1)
	v_fmac_f32_e32 v130, v160, v144
	v_fmac_f32_e32 v130, v139, v158
	s_waitcnt_depctr 0xfff
	v_fmac_f32_e32 v130, v141, v159
	s_delay_alu instid0(VALU_DEP_1) | instskip(NEXT) | instid1(VALU_DEP_1)
	v_add_f32_e32 v142, 0x358637bd, v130
	v_div_scale_f32 v143, null, v142, v142, 1.0
	v_div_scale_f32 v159, vcc_lo, 1.0, v142, 1.0
	s_delay_alu instid0(VALU_DEP_2) | instskip(SKIP_2) | instid1(VALU_DEP_1)
	v_rcp_f32_e32 v144, v143
	s_waitcnt_depctr 0xfff
	v_fma_f32 v158, -v143, v144, 1.0
	v_fmac_f32_e32 v144, v158, v144
	s_delay_alu instid0(VALU_DEP_1) | instskip(NEXT) | instid1(VALU_DEP_1)
	v_mul_f32_e32 v158, v159, v144
	v_fma_f32 v161, -v143, v158, v159
	s_delay_alu instid0(VALU_DEP_1) | instskip(NEXT) | instid1(VALU_DEP_1)
	v_fmac_f32_e32 v158, v161, v144
	v_fma_f32 v143, -v143, v158, v159
	s_delay_alu instid0(VALU_DEP_1) | instskip(SKIP_1) | instid1(VALU_DEP_2)
	v_div_fmas_f32 v143, v143, v144, v158
	v_cmp_eq_u32_e32 vcc_lo, 6, v149
	v_div_fixup_f32 v142, v143, v142, 1.0
	v_cndmask_b32_e32 v139, v150, v139, vcc_lo
	v_cmp_eq_u32_e32 vcc_lo, 7, v149
	s_delay_alu instid0(VALU_DEP_2) | instskip(NEXT) | instid1(VALU_DEP_1)
	v_cndmask_b32_e32 v139, v139, v141, vcc_lo
	v_mul_f32_e32 v139, v139, v142
	s_delay_alu instid0(VALU_DEP_1) | instskip(SKIP_4) | instid1(VALU_DEP_4)
	v_mul_f32_e32 v153, v139, v153
	v_mul_f32_e32 v142, v139, v152
	;; [unrolled: 1-line block ×5, first 2 shown]
	v_dual_mul_f32 v152, v139, v155 :: v_dual_and_b32 v141, 0x7f800000, v142
	v_mul_f32_e32 v154, v139, v154
	v_mul_f32_e32 v144, v139, v151
	s_delay_alu instid0(VALU_DEP_3) | instskip(SKIP_1) | instid1(SALU_CYCLE_1)
	v_cmp_ne_u32_e32 vcc_lo, 0x7f800000, v141
                                        ; implicit-def: $vgpr141
	s_and_saveexec_b32 s3, vcc_lo
	s_xor_b32 s3, exec_lo, s3
; %bb.13:
	v_bfe_u32 v141, v142, 16, 1
	s_delay_alu instid0(VALU_DEP_1)
	v_add3_u32 v141, v142, v141, 0x7fff
                                        ; implicit-def: $vgpr142
; %bb.14:
	s_and_not1_saveexec_b32 s3, s3
; %bb.15:
	v_and_b32_e32 v141, 0xffff, v142
	v_or_b32_e32 v151, 0x10000, v142
	s_delay_alu instid0(VALU_DEP_2) | instskip(NEXT) | instid1(VALU_DEP_2)
	v_cmp_eq_u32_e32 vcc_lo, 0, v141
	v_cndmask_b32_e32 v141, v151, v142, vcc_lo
; %bb.16:
	s_or_b32 exec_lo, exec_lo, s3
	v_and_b32_e32 v142, 0x7f800000, v144
	s_delay_alu instid0(VALU_DEP_1) | instskip(SKIP_1) | instid1(SALU_CYCLE_1)
	v_cmp_ne_u32_e32 vcc_lo, 0x7f800000, v142
                                        ; implicit-def: $vgpr142
	s_and_saveexec_b32 s3, vcc_lo
	s_xor_b32 s3, exec_lo, s3
; %bb.17:
	v_bfe_u32 v142, v144, 16, 1
	s_delay_alu instid0(VALU_DEP_1)
	v_add3_u32 v142, v144, v142, 0x7fff
                                        ; implicit-def: $vgpr144
; %bb.18:
	s_and_not1_saveexec_b32 s3, s3
; %bb.19:
	v_and_b32_e32 v142, 0xffff, v144
	v_or_b32_e32 v151, 0x10000, v144
	s_delay_alu instid0(VALU_DEP_2) | instskip(NEXT) | instid1(VALU_DEP_2)
	v_cmp_eq_u32_e32 vcc_lo, 0, v142
	v_cndmask_b32_e32 v142, v151, v144, vcc_lo
; %bb.20:
	s_or_b32 exec_lo, exec_lo, s3
	v_and_b32_e32 v144, 0x7f800000, v153
	s_delay_alu instid0(VALU_DEP_1) | instskip(SKIP_1) | instid1(SALU_CYCLE_1)
	v_cmp_ne_u32_e32 vcc_lo, 0x7f800000, v144
                                        ; implicit-def: $vgpr144
	s_and_saveexec_b32 s3, vcc_lo
	s_xor_b32 s3, exec_lo, s3
; %bb.21:
	v_bfe_u32 v144, v153, 16, 1
	s_delay_alu instid0(VALU_DEP_1)
	v_add3_u32 v144, v153, v144, 0x7fff
                                        ; implicit-def: $vgpr153
; %bb.22:
	s_and_not1_saveexec_b32 s3, s3
; %bb.23:
	v_and_b32_e32 v144, 0xffff, v153
	v_or_b32_e32 v151, 0x10000, v153
	s_delay_alu instid0(VALU_DEP_2) | instskip(NEXT) | instid1(VALU_DEP_2)
	v_cmp_eq_u32_e32 vcc_lo, 0, v144
	v_cndmask_b32_e32 v144, v151, v153, vcc_lo
; %bb.24:
	s_or_b32 exec_lo, exec_lo, s3
	v_and_b32_e32 v151, 0x7f800000, v154
	s_delay_alu instid0(VALU_DEP_1) | instskip(SKIP_1) | instid1(SALU_CYCLE_1)
	v_cmp_ne_u32_e32 vcc_lo, 0x7f800000, v151
                                        ; implicit-def: $vgpr151
	s_and_saveexec_b32 s3, vcc_lo
	s_xor_b32 s3, exec_lo, s3
; %bb.25:
	v_bfe_u32 v151, v154, 16, 1
	s_delay_alu instid0(VALU_DEP_1)
	v_add3_u32 v151, v154, v151, 0x7fff
                                        ; implicit-def: $vgpr154
; %bb.26:
	s_and_not1_saveexec_b32 s3, s3
; %bb.27:
	v_and_b32_e32 v151, 0xffff, v154
	v_or_b32_e32 v153, 0x10000, v154
	s_delay_alu instid0(VALU_DEP_2) | instskip(NEXT) | instid1(VALU_DEP_2)
	v_cmp_eq_u32_e32 vcc_lo, 0, v151
	v_cndmask_b32_e32 v151, v153, v154, vcc_lo
; %bb.28:
	s_or_b32 exec_lo, exec_lo, s3
	v_and_b32_e32 v153, 0x7f800000, v152
	s_delay_alu instid0(VALU_DEP_1) | instskip(SKIP_1) | instid1(SALU_CYCLE_1)
	v_cmp_ne_u32_e32 vcc_lo, 0x7f800000, v153
                                        ; implicit-def: $vgpr153
	s_and_saveexec_b32 s3, vcc_lo
	s_xor_b32 s3, exec_lo, s3
; %bb.29:
	v_bfe_u32 v153, v152, 16, 1
	s_delay_alu instid0(VALU_DEP_1)
	v_add3_u32 v153, v152, v153, 0x7fff
                                        ; implicit-def: $vgpr152
; %bb.30:
	s_and_not1_saveexec_b32 s3, s3
; %bb.31:
	v_and_b32_e32 v153, 0xffff, v152
	v_or_b32_e32 v154, 0x10000, v152
	s_delay_alu instid0(VALU_DEP_2) | instskip(NEXT) | instid1(VALU_DEP_2)
	v_cmp_eq_u32_e32 vcc_lo, 0, v153
	v_cndmask_b32_e32 v153, v154, v152, vcc_lo
; %bb.32:
	s_or_b32 exec_lo, exec_lo, s3
	v_and_b32_e32 v152, 0x7f800000, v150
	s_delay_alu instid0(VALU_DEP_1) | instskip(SKIP_1) | instid1(SALU_CYCLE_1)
	v_cmp_ne_u32_e32 vcc_lo, 0x7f800000, v152
                                        ; implicit-def: $vgpr152
	s_and_saveexec_b32 s3, vcc_lo
	s_xor_b32 s3, exec_lo, s3
; %bb.33:
	v_bfe_u32 v152, v150, 16, 1
	s_delay_alu instid0(VALU_DEP_1)
	v_add3_u32 v152, v150, v152, 0x7fff
                                        ; implicit-def: $vgpr150
; %bb.34:
	s_and_not1_saveexec_b32 s3, s3
; %bb.35:
	v_and_b32_e32 v152, 0xffff, v150
	v_or_b32_e32 v154, 0x10000, v150
	s_delay_alu instid0(VALU_DEP_2) | instskip(NEXT) | instid1(VALU_DEP_2)
	v_cmp_eq_u32_e32 vcc_lo, 0, v152
	v_cndmask_b32_e32 v152, v154, v150, vcc_lo
; %bb.36:
	s_or_b32 exec_lo, exec_lo, s3
	v_and_b32_e32 v150, 0x7f800000, v143
	s_delay_alu instid0(VALU_DEP_1) | instskip(SKIP_1) | instid1(SALU_CYCLE_1)
	v_cmp_ne_u32_e32 vcc_lo, 0x7f800000, v150
                                        ; implicit-def: $vgpr150
	s_and_saveexec_b32 s3, vcc_lo
	s_xor_b32 s3, exec_lo, s3
; %bb.37:
	v_bfe_u32 v150, v143, 16, 1
	s_delay_alu instid0(VALU_DEP_1)
	v_add3_u32 v150, v143, v150, 0x7fff
                                        ; implicit-def: $vgpr143
; %bb.38:
	s_and_not1_saveexec_b32 s3, s3
; %bb.39:
	v_and_b32_e32 v150, 0xffff, v143
	v_or_b32_e32 v154, 0x10000, v143
	s_delay_alu instid0(VALU_DEP_2) | instskip(NEXT) | instid1(VALU_DEP_2)
	v_cmp_eq_u32_e32 vcc_lo, 0, v150
	v_cndmask_b32_e32 v150, v154, v143, vcc_lo
; %bb.40:
	s_or_b32 exec_lo, exec_lo, s3
	v_and_b32_e32 v143, 0x7f800000, v140
	s_delay_alu instid0(VALU_DEP_1) | instskip(SKIP_1) | instid1(SALU_CYCLE_1)
	v_cmp_ne_u32_e32 vcc_lo, 0x7f800000, v143
                                        ; implicit-def: $vgpr143
	s_and_saveexec_b32 s3, vcc_lo
	s_xor_b32 s3, exec_lo, s3
; %bb.41:
	v_bfe_u32 v143, v140, 16, 1
	s_delay_alu instid0(VALU_DEP_1)
	v_add3_u32 v143, v140, v143, 0x7fff
                                        ; implicit-def: $vgpr140
; %bb.42:
	s_and_not1_saveexec_b32 s3, s3
; %bb.43:
	v_and_b32_e32 v143, 0xffff, v140
	v_or_b32_e32 v154, 0x10000, v140
	s_delay_alu instid0(VALU_DEP_2) | instskip(NEXT) | instid1(VALU_DEP_2)
	v_cmp_eq_u32_e32 vcc_lo, 0, v143
	v_cndmask_b32_e32 v143, v154, v140, vcc_lo
; %bb.44:
	s_or_b32 exec_lo, exec_lo, s3
	s_load_b64 s[34:35], s[0:1], 0x94
	v_dual_mul_f32 v136, v139, v136 :: v_dual_lshlrev_b32 v155, 4, v146
	s_delay_alu instid0(VALU_DEP_2)
	v_perm_b32 v154, v143, v150, 0x7060302
	v_dual_mul_f32 v143, v139, v131 :: v_dual_lshlrev_b32 v140, 6, v148
	v_dual_mul_f32 v135, v139, v135 :: v_dual_lshlrev_b32 v150, 11, v149
	v_perm_b32 v153, v152, v153, 0x7060302
	v_perm_b32 v152, v151, v144, 0x7060302
	;; [unrolled: 1-line block ×3, first 2 shown]
	s_delay_alu instid0(VALU_DEP_4)
	v_or3_b32 v131, v155, v150, v140
	v_mul_f32_e32 v138, v139, v138
	v_dual_mul_f32 v137, v139, v137 :: v_dual_and_b32 v144, 0x7f800000, v143
	v_mul_f32_e32 v141, v139, v134
	v_mul_f32_e32 v142, v139, v133
	;; [unrolled: 1-line block ×3, first 2 shown]
	s_mov_b32 s3, exec_lo
	ds_store_b128 v131, v[151:154]
                                        ; implicit-def: $vgpr132
	v_cmpx_ne_u32_e32 0x7f800000, v144
	s_xor_b32 s3, exec_lo, s3
; %bb.45:
	v_bfe_u32 v132, v143, 16, 1
	s_delay_alu instid0(VALU_DEP_1)
	v_add3_u32 v132, v143, v132, 0x7fff
                                        ; implicit-def: $vgpr143
; %bb.46:
	s_and_not1_saveexec_b32 s3, s3
; %bb.47:
	v_and_b32_e32 v132, 0xffff, v143
	v_or_b32_e32 v133, 0x10000, v143
	s_delay_alu instid0(VALU_DEP_2) | instskip(NEXT) | instid1(VALU_DEP_2)
	v_cmp_eq_u32_e32 vcc_lo, 0, v132
	v_cndmask_b32_e32 v132, v133, v143, vcc_lo
; %bb.48:
	s_or_b32 exec_lo, exec_lo, s3
	v_and_b32_e32 v133, 0x7f800000, v134
	s_delay_alu instid0(VALU_DEP_1) | instskip(SKIP_1) | instid1(SALU_CYCLE_1)
	v_cmp_ne_u32_e32 vcc_lo, 0x7f800000, v133
                                        ; implicit-def: $vgpr133
	s_and_saveexec_b32 s3, vcc_lo
	s_xor_b32 s3, exec_lo, s3
; %bb.49:
	v_bfe_u32 v133, v134, 16, 1
	s_delay_alu instid0(VALU_DEP_1)
	v_add3_u32 v133, v134, v133, 0x7fff
                                        ; implicit-def: $vgpr134
; %bb.50:
	s_and_not1_saveexec_b32 s3, s3
; %bb.51:
	v_and_b32_e32 v133, 0xffff, v134
	v_or_b32_e32 v139, 0x10000, v134
	s_delay_alu instid0(VALU_DEP_2) | instskip(NEXT) | instid1(VALU_DEP_2)
	v_cmp_eq_u32_e32 vcc_lo, 0, v133
	v_cndmask_b32_e32 v133, v139, v134, vcc_lo
; %bb.52:
	s_or_b32 exec_lo, exec_lo, s3
	v_and_b32_e32 v134, 0x7f800000, v142
	s_delay_alu instid0(VALU_DEP_1) | instskip(SKIP_1) | instid1(SALU_CYCLE_1)
	v_cmp_ne_u32_e32 vcc_lo, 0x7f800000, v134
                                        ; implicit-def: $vgpr134
	s_and_saveexec_b32 s3, vcc_lo
	s_xor_b32 s3, exec_lo, s3
; %bb.53:
	v_bfe_u32 v134, v142, 16, 1
	s_delay_alu instid0(VALU_DEP_1)
	v_add3_u32 v134, v142, v134, 0x7fff
                                        ; implicit-def: $vgpr142
; %bb.54:
	s_and_not1_saveexec_b32 s3, s3
; %bb.55:
	v_and_b32_e32 v134, 0xffff, v142
	v_or_b32_e32 v139, 0x10000, v142
	s_delay_alu instid0(VALU_DEP_2) | instskip(NEXT) | instid1(VALU_DEP_2)
	v_cmp_eq_u32_e32 vcc_lo, 0, v134
	v_cndmask_b32_e32 v134, v139, v142, vcc_lo
; %bb.56:
	s_or_b32 exec_lo, exec_lo, s3
	v_and_b32_e32 v139, 0x7f800000, v141
	s_delay_alu instid0(VALU_DEP_1) | instskip(SKIP_1) | instid1(SALU_CYCLE_1)
	v_cmp_ne_u32_e32 vcc_lo, 0x7f800000, v139
                                        ; implicit-def: $vgpr139
	s_and_saveexec_b32 s3, vcc_lo
	s_xor_b32 s3, exec_lo, s3
; %bb.57:
	v_bfe_u32 v139, v141, 16, 1
	s_delay_alu instid0(VALU_DEP_1)
	v_add3_u32 v139, v141, v139, 0x7fff
                                        ; implicit-def: $vgpr141
; %bb.58:
	s_and_not1_saveexec_b32 s3, s3
; %bb.59:
	v_and_b32_e32 v139, 0xffff, v141
	v_or_b32_e32 v142, 0x10000, v141
	s_delay_alu instid0(VALU_DEP_2) | instskip(NEXT) | instid1(VALU_DEP_2)
	v_cmp_eq_u32_e32 vcc_lo, 0, v139
	v_cndmask_b32_e32 v139, v142, v141, vcc_lo
; %bb.60:
	s_or_b32 exec_lo, exec_lo, s3
	v_and_b32_e32 v141, 0x7f800000, v135
	s_delay_alu instid0(VALU_DEP_1) | instskip(SKIP_1) | instid1(SALU_CYCLE_1)
	v_cmp_ne_u32_e32 vcc_lo, 0x7f800000, v141
                                        ; implicit-def: $vgpr141
	s_and_saveexec_b32 s3, vcc_lo
	s_xor_b32 s3, exec_lo, s3
; %bb.61:
	v_bfe_u32 v141, v135, 16, 1
	s_delay_alu instid0(VALU_DEP_1)
	v_add3_u32 v141, v135, v141, 0x7fff
                                        ; implicit-def: $vgpr135
; %bb.62:
	s_and_not1_saveexec_b32 s3, s3
; %bb.63:
	v_and_b32_e32 v141, 0xffff, v135
	v_or_b32_e32 v142, 0x10000, v135
	s_delay_alu instid0(VALU_DEP_2) | instskip(NEXT) | instid1(VALU_DEP_2)
	v_cmp_eq_u32_e32 vcc_lo, 0, v141
	v_cndmask_b32_e32 v141, v142, v135, vcc_lo
; %bb.64:
	s_or_b32 exec_lo, exec_lo, s3
	v_and_b32_e32 v135, 0x7f800000, v136
	s_delay_alu instid0(VALU_DEP_1) | instskip(SKIP_1) | instid1(SALU_CYCLE_1)
	v_cmp_ne_u32_e32 vcc_lo, 0x7f800000, v135
                                        ; implicit-def: $vgpr135
	s_and_saveexec_b32 s3, vcc_lo
	s_xor_b32 s3, exec_lo, s3
; %bb.65:
	v_bfe_u32 v135, v136, 16, 1
	s_delay_alu instid0(VALU_DEP_1)
	v_add3_u32 v135, v136, v135, 0x7fff
                                        ; implicit-def: $vgpr136
; %bb.66:
	s_and_not1_saveexec_b32 s3, s3
; %bb.67:
	v_and_b32_e32 v135, 0xffff, v136
	v_or_b32_e32 v142, 0x10000, v136
	s_delay_alu instid0(VALU_DEP_2) | instskip(NEXT) | instid1(VALU_DEP_2)
	v_cmp_eq_u32_e32 vcc_lo, 0, v135
	v_cndmask_b32_e32 v135, v142, v136, vcc_lo
; %bb.68:
	s_or_b32 exec_lo, exec_lo, s3
	v_and_b32_e32 v136, 0x7f800000, v137
	s_delay_alu instid0(VALU_DEP_1) | instskip(SKIP_1) | instid1(SALU_CYCLE_1)
	v_cmp_ne_u32_e32 vcc_lo, 0x7f800000, v136
                                        ; implicit-def: $vgpr136
	s_and_saveexec_b32 s3, vcc_lo
	s_xor_b32 s3, exec_lo, s3
; %bb.69:
	v_bfe_u32 v136, v137, 16, 1
	s_delay_alu instid0(VALU_DEP_1)
	v_add3_u32 v136, v137, v136, 0x7fff
                                        ; implicit-def: $vgpr137
; %bb.70:
	s_and_not1_saveexec_b32 s3, s3
; %bb.71:
	v_and_b32_e32 v136, 0xffff, v137
	v_or_b32_e32 v142, 0x10000, v137
	s_delay_alu instid0(VALU_DEP_2) | instskip(NEXT) | instid1(VALU_DEP_2)
	v_cmp_eq_u32_e32 vcc_lo, 0, v136
	v_cndmask_b32_e32 v136, v142, v137, vcc_lo
; %bb.72:
	s_or_b32 exec_lo, exec_lo, s3
	v_and_b32_e32 v137, 0x7f800000, v138
	s_delay_alu instid0(VALU_DEP_1) | instskip(SKIP_1) | instid1(SALU_CYCLE_1)
	v_cmp_ne_u32_e32 vcc_lo, 0x7f800000, v137
                                        ; implicit-def: $vgpr137
	s_and_saveexec_b32 s3, vcc_lo
	s_xor_b32 s3, exec_lo, s3
; %bb.73:
	v_bfe_u32 v137, v138, 16, 1
	s_delay_alu instid0(VALU_DEP_1)
	v_add3_u32 v137, v138, v137, 0x7fff
                                        ; implicit-def: $vgpr138
; %bb.74:
	s_and_not1_saveexec_b32 s3, s3
; %bb.75:
	v_and_b32_e32 v137, 0xffff, v138
	v_or_b32_e32 v142, 0x10000, v138
	s_delay_alu instid0(VALU_DEP_2) | instskip(NEXT) | instid1(VALU_DEP_2)
	v_cmp_eq_u32_e32 vcc_lo, 0, v137
	v_cndmask_b32_e32 v137, v142, v138, vcc_lo
; %bb.76:
	s_or_b32 exec_lo, exec_lo, s3
	s_delay_alu instid0(VALU_DEP_1)
	v_perm_b32 v136, v137, v136, 0x7060302
	v_perm_b32 v135, v135, v141, 0x7060302
	;; [unrolled: 1-line block ×4, first 2 shown]
	v_lshl_or_b32 v141, v149, 11, v140
	ds_store_b128 v131, v[133:136] offset:1024
	s_waitcnt lgkmcnt(0)
	s_barrier
	buffer_gl0_inv
	ds_load_b128 v[132:135], v141
	ds_load_b128 v[149:152], v141 offset:16
	s_waitcnt lgkmcnt(1)
	v_lshrrev_b32_e32 v136, 16, v132
	s_waitcnt lgkmcnt(0)
	v_lshrrev_b32_e32 v164, 16, v151
	v_lshlrev_b32_e32 v138, 2, v146
	v_lshrrev_b32_e32 v143, 16, v149
	v_lshrrev_b32_e32 v162, 16, v150
	;; [unrolled: 1-line block ×4, first 2 shown]
	v_or_b32_e32 v139, 1, v138
	v_lshrrev_b32_e32 v165, 16, v152
	v_lshrrev_b32_e32 v163, 16, v135
	s_delay_alu instid0(VALU_DEP_3)
	v_cmp_eq_u32_e64 s7, 1, v139
	v_cmp_eq_u32_e64 s6, 2, v139
	;; [unrolled: 1-line block ×4, first 2 shown]
	v_cmp_eq_u32_e32 vcc_lo, 5, v139
	v_cndmask_b32_e64 v155, v149, v143, s7
	v_cndmask_b32_e64 v154, v132, v136, s7
	v_cmp_eq_u32_e64 s4, 6, v139
	v_cmp_eq_u32_e64 s19, 7, v139
	s_delay_alu instid0(VALU_DEP_4) | instskip(NEXT) | instid1(VALU_DEP_4)
	v_cndmask_b32_e64 v155, v155, v150, s6
	v_cndmask_b32_e64 v154, v154, v133, s6
	s_delay_alu instid0(VALU_DEP_2) | instskip(NEXT) | instid1(VALU_DEP_2)
	v_cndmask_b32_e64 v155, v155, v162, s5
	v_cndmask_b32_e64 v154, v154, v144, s5
	s_delay_alu instid0(VALU_DEP_2) | instskip(NEXT) | instid1(VALU_DEP_2)
	v_cndmask_b32_e64 v155, v155, v151, s3
	v_cndmask_b32_e64 v154, v154, v134, s3
	s_delay_alu instid0(VALU_DEP_2)
	v_cndmask_b32_e32 v157, v155, v164, vcc_lo
	v_cmp_eq_u32_e64 s12, 1, v138
	v_cmp_eq_u32_e64 s11, 2, v138
	;; [unrolled: 1-line block ×3, first 2 shown]
	v_or_b32_e32 v137, 2, v138
	v_cmp_eq_u32_e64 s17, 4, v138
	v_cndmask_b32_e64 v153, v149, v143, s12
	v_cndmask_b32_e64 v142, v132, v136, s12
	v_cmp_eq_u32_e64 s13, 5, v138
	v_cmp_eq_u32_e64 s8, 1, v137
	;; [unrolled: 1-line block ×3, first 2 shown]
	v_cndmask_b32_e64 v153, v153, v150, s11
	v_cndmask_b32_e64 v142, v142, v133, s11
	v_cmp_eq_u32_e64 s10, 2, v137
	v_cndmask_b32_e64 v156, v132, v136, s8
	v_cndmask_b32_e32 v154, v154, v161, vcc_lo
	v_cndmask_b32_e64 v153, v153, v162, s16
	v_cndmask_b32_e64 v142, v142, v144, s16
	v_cmp_eq_u32_e64 s9, 7, v138
	v_cndmask_b32_e64 v156, v156, v133, s10
	v_cmp_eq_u32_e64 s18, 3, v137
	v_cndmask_b32_e64 v153, v153, v151, s17
	v_cndmask_b32_e64 v142, v142, v134, s17
	;; [unrolled: 1-line block ×3, first 2 shown]
	v_cmp_eq_u32_e64 s20, 4, v137
	v_cndmask_b32_e64 v156, v156, v144, s18
	v_cndmask_b32_e64 v153, v153, v164, s13
	;; [unrolled: 1-line block ×4, first 2 shown]
	v_cmp_eq_u32_e64 s22, 5, v137
	v_cndmask_b32_e64 v159, v156, v134, s20
	v_cndmask_b32_e64 v153, v153, v152, s15
	;; [unrolled: 1-line block ×3, first 2 shown]
	v_cmp_eq_u32_e64 s25, 6, v137
	v_cmp_eq_u32_e64 s27, 7, v137
	v_cndmask_b32_e64 v169, v159, v161, s22
	v_cndmask_b32_e64 v167, v153, v165, s9
	;; [unrolled: 1-line block ×4, first 2 shown]
	v_or_b32_e32 v142, 3, v138
	s_delay_alu instid0(VALU_DEP_3)
	v_cndmask_b32_e64 v158, v153, v150, s10
	ds_load_b128 v[153:156], v141 offset:1024
	v_cmp_eq_u32_e64 s21, 1, v142
	v_cmp_eq_u32_e64 s23, 2, v142
	;; [unrolled: 1-line block ×3, first 2 shown]
	v_cndmask_b32_e64 v158, v158, v162, s18
	v_cmp_eq_u32_e64 s26, 4, v142
	v_cndmask_b32_e64 v132, v132, v136, s21
	v_cndmask_b32_e64 v136, v157, v152, s4
	;; [unrolled: 1-line block ×4, first 2 shown]
	ds_load_b128 v[157:160], v141 offset:1040
	v_cndmask_b32_e64 v132, v132, v133, s23
	v_cmp_eq_u32_e64 s28, 5, v142
	v_cndmask_b32_e64 v143, v143, v150, s23
	v_cmp_eq_u32_e64 s29, 6, v142
	v_cndmask_b32_e64 v133, v170, v164, s22
	v_cndmask_b32_e64 v132, v132, v144, s24
	;; [unrolled: 1-line block ×5, first 2 shown]
	s_waitcnt lgkmcnt(1)
	v_lshrrev_b32_e32 v149, 16, v153
	v_cndmask_b32_e64 v132, v132, v134, s26
	v_cndmask_b32_e64 v133, v133, v152, s25
	;; [unrolled: 1-line block ×3, first 2 shown]
	v_lshrrev_b32_e32 v151, 16, v154
	v_cndmask_b32_e64 v143, v153, v149, s12
	v_cndmask_b32_e64 v132, v132, v161, s28
	;; [unrolled: 1-line block ×5, first 2 shown]
	s_waitcnt lgkmcnt(0)
	v_lshrrev_b32_e32 v150, 16, v157
	v_cndmask_b32_e64 v143, v143, v154, s11
	v_cndmask_b32_e64 v132, v132, v135, s29
	;; [unrolled: 1-line block ×3, first 2 shown]
	v_lshrrev_b32_e32 v164, 16, v159
	v_cndmask_b32_e64 v162, v157, v150, s12
	v_cndmask_b32_e64 v135, v143, v151, s16
	;; [unrolled: 1-line block ×3, first 2 shown]
	v_lshrrev_b32_e32 v161, 16, v158
	v_cndmask_b32_e64 v133, v133, v165, s27
	v_cndmask_b32_e64 v152, v162, v158, s11
	v_cmp_eq_u32_e64 s11, 7, v142
	v_cndmask_b32_e64 v143, v143, v151, s5
	v_cndmask_b32_e64 v135, v135, v155, s17
	v_lshrrev_b32_e32 v162, 16, v155
	v_cndmask_b32_e64 v152, v152, v161, s16
	v_cndmask_b32_e64 v132, v132, v163, s11
	;; [unrolled: 1-line block ×6, first 2 shown]
	s_delay_alu instid0(VALU_DEP_4) | instskip(NEXT) | instid1(VALU_DEP_4)
	v_perm_b32 v135, v134, v132, 0x5040100
	v_cndmask_b32_e32 v132, v143, v162, vcc_lo
	s_delay_alu instid0(VALU_DEP_4)
	v_cndmask_b32_e64 v143, v163, v156, s15
	v_lshrrev_b32_e32 v163, 16, v156
	v_cndmask_b32_e64 v152, v152, v164, s13
	v_perm_b32 v134, v133, v144, 0x5040100
	v_cndmask_b32_e64 v132, v132, v156, s4
	v_perm_b32 v133, v136, v168, 0x5040100
	v_cndmask_b32_e64 v136, v143, v163, s9
	v_cndmask_b32_e64 v143, v152, v160, s15
	v_cndmask_b32_e64 v152, v157, v150, s21
	v_cndmask_b32_e64 v165, v132, v163, s19
	v_cndmask_b32_e64 v132, v153, v149, s8
	v_cndmask_b32_e64 v149, v153, v149, s21
	v_cndmask_b32_e64 v153, v157, v150, s8
	v_cndmask_b32_e64 v150, v157, v150, s7
	v_cndmask_b32_e64 v152, v152, v158, s23
	v_cndmask_b32_e64 v132, v132, v154, s10
	v_cndmask_b32_e64 v149, v149, v154, s23
	v_cndmask_b32_e64 v153, v153, v158, s10
	v_cndmask_b32_e64 v150, v150, v158, s6
	v_lshrrev_b32_e32 v144, 16, v160
	v_cndmask_b32_e64 v132, v132, v151, s18
	v_cndmask_b32_e64 v149, v149, v151, s24
	v_cndmask_b32_e64 v151, v152, v161, s24
	v_cndmask_b32_e64 v152, v153, v161, s18
	v_cndmask_b32_e64 v150, v150, v161, s5
	v_cndmask_b32_e64 v132, v132, v155, s20
	v_cndmask_b32_e64 v149, v149, v155, s26
	v_cndmask_b32_e64 v151, v151, v159, s26
	v_cndmask_b32_e64 v152, v152, v159, s20
	v_cndmask_b32_e64 v150, v150, v159, s3
	v_cndmask_b32_e64 v132, v132, v162, s22
	v_cndmask_b32_e64 v149, v149, v162, s28
	v_cndmask_b32_e64 v151, v151, v164, s28
	v_cndmask_b32_e64 v152, v152, v164, s22
	v_cndmask_b32_e32 v150, v150, v164, vcc_lo
	v_cndmask_b32_e64 v132, v132, v156, s25
	v_cndmask_b32_e64 v149, v149, v156, s29
	;; [unrolled: 1-line block ×11, first 2 shown]
	v_perm_b32 v132, v167, v166, 0x5040100
	v_perm_b32 v152, v151, v149, 0x5040100
	;; [unrolled: 1-line block ×5, first 2 shown]
	s_mul_i32 s8, s35, 12
	s_mov_b32 s3, exec_lo
	ds_store_b128 v131, v[132:135]
	ds_store_b128 v131, v[149:152] offset:1024
	v_cmpx_gt_u32_e32 12, v0
	s_cbranch_execz .LBB489_78
; %bb.77:
	s_mul_i32 s4, s8, s30
	s_delay_alu instid0(SALU_CYCLE_1) | instskip(SKIP_1) | instid1(VALU_DEP_1)
	v_add3_u32 v133, s4, s31, v148
	s_load_b128 s[4:7], s[0:1], 0x58
	v_mad_u64_u32 v[131:132], null, v133, s34, s[14:15]
	s_delay_alu instid0(VALU_DEP_1) | instskip(NEXT) | instid1(VALU_DEP_1)
	v_ashrrev_i32_e32 v132, 31, v131
	v_lshlrev_b64 v[131:132], 2, v[131:132]
	s_waitcnt lgkmcnt(0)
	s_delay_alu instid0(VALU_DEP_1) | instskip(NEXT) | instid1(VALU_DEP_2)
	v_add_co_u32 v133, vcc_lo, s6, v131
	v_add_co_ci_u32_e32 v134, vcc_lo, s7, v132, vcc_lo
	v_add_co_u32 v131, vcc_lo, s4, v131
	v_add_co_ci_u32_e32 v132, vcc_lo, s5, v132, vcc_lo
	global_store_b32 v[133:134], v129, off
	global_store_b32 v[131:132], v130, off
.LBB489_78:
	s_or_b32 exec_lo, exec_lo, s3
	s_waitcnt lgkmcnt(0)
	s_waitcnt_vscnt null, 0x0
	s_barrier
	buffer_gl0_inv
	ds_load_b128 v[148:151], v140
	ds_load_b128 v[152:155], v140 offset:16
	ds_load_b128 v[160:163], v140 offset:1040
	;; [unrolled: 1-line block ×3, first 2 shown]
	v_mov_b32_e32 v129, 0
	ds_load_b128 v[168:171], v140 offset:2064
	ds_load_b128 v[164:167], v140 offset:2048
	;; [unrolled: 1-line block ×6, first 2 shown]
	v_mov_b32_e32 v130, v129
	v_mov_b32_e32 v131, v129
	;; [unrolled: 1-line block ×7, first 2 shown]
	s_waitcnt lgkmcnt(8)
	s_delay_alu instid0(VALU_DEP_1)
	v_wmma_f32_16x16x16_bf16 v[129:136], v[121:128], v[148:155], v[129:136]
	ds_load_b128 v[125:128], v140 offset:5136
	ds_load_b128 v[121:124], v140 offset:5120
	s_waitcnt lgkmcnt(8)
	v_wmma_f32_16x16x16_bf16 v[129:136], v[113:120], v[156:163], v[129:136]
	ds_load_b128 v[117:120], v140 offset:6160
	ds_load_b128 v[113:116], v140 offset:6144
	s_waitcnt lgkmcnt(8)
	;; [unrolled: 4-line block ×8, first 2 shown]
	v_wmma_f32_16x16x16_bf16 v[129:136], v[65:72], v[97:104], v[129:136]
	s_waitcnt lgkmcnt(6)
	s_delay_alu instid0(VALU_DEP_1)
	v_wmma_f32_16x16x16_bf16 v[129:136], v[49:56], v[89:96], v[129:136]
	ds_load_b128 v[53:56], v140 offset:13328
	ds_load_b128 v[49:52], v140 offset:13312
	s_waitcnt lgkmcnt(6)
	v_wmma_f32_16x16x16_bf16 v[129:136], v[41:48], v[81:88], v[129:136]
	ds_load_b128 v[45:48], v140 offset:14352
	ds_load_b128 v[41:44], v140 offset:14336
	s_waitcnt lgkmcnt(6)
	;; [unrolled: 4-line block ×3, first 2 shown]
	v_wmma_f32_16x16x16_bf16 v[129:136], v[1:8], v[57:64], v[129:136]
	s_waitcnt lgkmcnt(4)
	s_delay_alu instid0(VALU_DEP_1) | instskip(SKIP_1) | instid1(VALU_DEP_1)
	v_wmma_f32_16x16x16_bf16 v[129:136], v[25:32], v[49:56], v[129:136]
	s_waitcnt lgkmcnt(2)
	v_wmma_f32_16x16x16_bf16 v[129:136], v[33:40], v[41:48], v[129:136]
	s_waitcnt lgkmcnt(0)
	s_delay_alu instid0(VALU_DEP_1) | instskip(NEXT) | instid1(VALU_DEP_1)
	v_wmma_f32_16x16x16_bf16 v[129:136], v[9:16], v[17:24], v[129:136]
	v_and_b32_e32 v1, 0x7f800000, v129
	s_delay_alu instid0(VALU_DEP_1) | instskip(SKIP_1) | instid1(SALU_CYCLE_1)
	v_cmp_ne_u32_e32 vcc_lo, 0x7f800000, v1
                                        ; implicit-def: $vgpr1
	s_and_saveexec_b32 s3, vcc_lo
	s_xor_b32 s3, exec_lo, s3
; %bb.79:
	v_bfe_u32 v1, v129, 16, 1
	s_delay_alu instid0(VALU_DEP_1)
	v_add3_u32 v1, v129, v1, 0x7fff
; %bb.80:
	s_and_not1_saveexec_b32 s3, s3
; %bb.81:
	v_and_b32_e32 v1, 0xffff, v129
	v_or_b32_e32 v2, 0x10000, v129
	s_delay_alu instid0(VALU_DEP_2) | instskip(NEXT) | instid1(VALU_DEP_2)
	v_cmp_eq_u32_e32 vcc_lo, 0, v1
	v_cndmask_b32_e32 v1, v2, v129, vcc_lo
; %bb.82:
	s_or_b32 exec_lo, exec_lo, s3
	v_and_b32_e32 v2, 0x7f800000, v130
	s_delay_alu instid0(VALU_DEP_1) | instskip(SKIP_1) | instid1(SALU_CYCLE_1)
	v_cmp_ne_u32_e32 vcc_lo, 0x7f800000, v2
                                        ; implicit-def: $vgpr2
	s_and_saveexec_b32 s3, vcc_lo
	s_xor_b32 s3, exec_lo, s3
; %bb.83:
	v_bfe_u32 v2, v130, 16, 1
	s_delay_alu instid0(VALU_DEP_1)
	v_add3_u32 v2, v130, v2, 0x7fff
; %bb.84:
	s_and_not1_saveexec_b32 s3, s3
; %bb.85:
	v_and_b32_e32 v2, 0xffff, v130
	v_or_b32_e32 v3, 0x10000, v130
	s_delay_alu instid0(VALU_DEP_2) | instskip(NEXT) | instid1(VALU_DEP_2)
	v_cmp_eq_u32_e32 vcc_lo, 0, v2
	v_cndmask_b32_e32 v2, v3, v130, vcc_lo
; %bb.86:
	s_or_b32 exec_lo, exec_lo, s3
	v_and_b32_e32 v3, 0x7f800000, v131
	s_delay_alu instid0(VALU_DEP_1) | instskip(SKIP_1) | instid1(SALU_CYCLE_1)
	v_cmp_ne_u32_e32 vcc_lo, 0x7f800000, v3
                                        ; implicit-def: $vgpr3
	s_and_saveexec_b32 s3, vcc_lo
	s_xor_b32 s3, exec_lo, s3
; %bb.87:
	v_bfe_u32 v3, v131, 16, 1
	s_delay_alu instid0(VALU_DEP_1)
	v_add3_u32 v3, v131, v3, 0x7fff
; %bb.88:
	s_and_not1_saveexec_b32 s3, s3
; %bb.89:
	v_and_b32_e32 v3, 0xffff, v131
	v_or_b32_e32 v4, 0x10000, v131
	s_delay_alu instid0(VALU_DEP_2) | instskip(NEXT) | instid1(VALU_DEP_2)
	v_cmp_eq_u32_e32 vcc_lo, 0, v3
	v_cndmask_b32_e32 v3, v4, v131, vcc_lo
; %bb.90:
	s_or_b32 exec_lo, exec_lo, s3
	v_and_b32_e32 v4, 0x7f800000, v132
	s_delay_alu instid0(VALU_DEP_1) | instskip(SKIP_1) | instid1(SALU_CYCLE_1)
	v_cmp_ne_u32_e32 vcc_lo, 0x7f800000, v4
                                        ; implicit-def: $vgpr4
	s_and_saveexec_b32 s3, vcc_lo
	s_xor_b32 s3, exec_lo, s3
; %bb.91:
	v_bfe_u32 v4, v132, 16, 1
	s_delay_alu instid0(VALU_DEP_1)
	v_add3_u32 v4, v132, v4, 0x7fff
; %bb.92:
	s_and_not1_saveexec_b32 s3, s3
; %bb.93:
	v_and_b32_e32 v4, 0xffff, v132
	v_or_b32_e32 v5, 0x10000, v132
	s_delay_alu instid0(VALU_DEP_2) | instskip(NEXT) | instid1(VALU_DEP_2)
	v_cmp_eq_u32_e32 vcc_lo, 0, v4
	v_cndmask_b32_e32 v4, v5, v132, vcc_lo
; %bb.94:
	s_or_b32 exec_lo, exec_lo, s3
	v_and_b32_e32 v5, 0x7f800000, v133
	s_delay_alu instid0(VALU_DEP_1) | instskip(SKIP_1) | instid1(SALU_CYCLE_1)
	v_cmp_ne_u32_e32 vcc_lo, 0x7f800000, v5
                                        ; implicit-def: $vgpr5
	s_and_saveexec_b32 s3, vcc_lo
	s_xor_b32 s3, exec_lo, s3
; %bb.95:
	v_bfe_u32 v5, v133, 16, 1
	s_delay_alu instid0(VALU_DEP_1)
	v_add3_u32 v5, v133, v5, 0x7fff
; %bb.96:
	s_and_not1_saveexec_b32 s3, s3
; %bb.97:
	v_and_b32_e32 v5, 0xffff, v133
	v_or_b32_e32 v6, 0x10000, v133
	s_delay_alu instid0(VALU_DEP_2) | instskip(NEXT) | instid1(VALU_DEP_2)
	v_cmp_eq_u32_e32 vcc_lo, 0, v5
	v_cndmask_b32_e32 v5, v6, v133, vcc_lo
; %bb.98:
	s_or_b32 exec_lo, exec_lo, s3
	v_and_b32_e32 v6, 0x7f800000, v134
	s_delay_alu instid0(VALU_DEP_1) | instskip(SKIP_1) | instid1(SALU_CYCLE_1)
	v_cmp_ne_u32_e32 vcc_lo, 0x7f800000, v6
                                        ; implicit-def: $vgpr6
	s_and_saveexec_b32 s3, vcc_lo
	s_xor_b32 s3, exec_lo, s3
; %bb.99:
	v_bfe_u32 v6, v134, 16, 1
	s_delay_alu instid0(VALU_DEP_1)
	v_add3_u32 v6, v134, v6, 0x7fff
; %bb.100:
	s_and_not1_saveexec_b32 s3, s3
; %bb.101:
	v_and_b32_e32 v6, 0xffff, v134
	v_or_b32_e32 v7, 0x10000, v134
	s_delay_alu instid0(VALU_DEP_2) | instskip(NEXT) | instid1(VALU_DEP_2)
	v_cmp_eq_u32_e32 vcc_lo, 0, v6
	v_cndmask_b32_e32 v6, v7, v134, vcc_lo
; %bb.102:
	s_or_b32 exec_lo, exec_lo, s3
	v_and_b32_e32 v7, 0x7f800000, v135
	s_delay_alu instid0(VALU_DEP_1) | instskip(SKIP_1) | instid1(SALU_CYCLE_1)
	v_cmp_ne_u32_e32 vcc_lo, 0x7f800000, v7
                                        ; implicit-def: $vgpr7
	s_and_saveexec_b32 s3, vcc_lo
	s_xor_b32 s3, exec_lo, s3
; %bb.103:
	v_bfe_u32 v7, v135, 16, 1
	s_delay_alu instid0(VALU_DEP_1)
	v_add3_u32 v7, v135, v7, 0x7fff
; %bb.104:
	s_and_not1_saveexec_b32 s3, s3
; %bb.105:
	v_and_b32_e32 v7, 0xffff, v135
	v_or_b32_e32 v8, 0x10000, v135
	s_delay_alu instid0(VALU_DEP_2) | instskip(NEXT) | instid1(VALU_DEP_2)
	v_cmp_eq_u32_e32 vcc_lo, 0, v7
	v_cndmask_b32_e32 v7, v8, v135, vcc_lo
; %bb.106:
	s_or_b32 exec_lo, exec_lo, s3
	v_and_b32_e32 v8, 0x7f800000, v136
	s_delay_alu instid0(VALU_DEP_1) | instskip(SKIP_1) | instid1(SALU_CYCLE_1)
	v_cmp_ne_u32_e32 vcc_lo, 0x7f800000, v8
                                        ; implicit-def: $vgpr8
	s_and_saveexec_b32 s3, vcc_lo
	s_xor_b32 s3, exec_lo, s3
; %bb.107:
	v_bfe_u32 v8, v136, 16, 1
	s_delay_alu instid0(VALU_DEP_1)
	v_add3_u32 v8, v136, v8, 0x7fff
                                        ; implicit-def: $vgpr129_vgpr130_vgpr131_vgpr132_vgpr133_vgpr134_vgpr135_vgpr136
; %bb.108:
	s_and_not1_saveexec_b32 s3, s3
; %bb.109:
	v_and_b32_e32 v8, 0xffff, v136
	v_or_b32_e32 v9, 0x10000, v136
	s_delay_alu instid0(VALU_DEP_2) | instskip(NEXT) | instid1(VALU_DEP_2)
	v_cmp_eq_u32_e32 vcc_lo, 0, v8
	v_cndmask_b32_e32 v8, v9, v136, vcc_lo
; %bb.110:
	s_or_b32 exec_lo, exec_lo, s3
	s_delay_alu instid0(VALU_DEP_1)
	v_perm_b32 v7, v8, v7, 0x7060302
	v_perm_b32 v6, v6, v5, 0x7060302
	;; [unrolled: 1-line block ×4, first 2 shown]
	v_lshl_or_b32 v9, v146, 4, v141
	s_barrier
	buffer_gl0_inv
	v_cmp_eq_u32_e32 vcc_lo, 1, v138
	ds_store_b128 v9, v[4:7]
	s_waitcnt lgkmcnt(0)
	s_barrier
	buffer_gl0_inv
	ds_load_b128 v[1:4], v141
	ds_load_b128 v[5:8], v141 offset:16
	v_cmp_eq_u32_e64 s4, 2, v138
	v_cmp_eq_u32_e64 s3, 1, v139
	v_cmp_eq_u32_e64 s5, 3, v138
	v_cmp_eq_u32_e64 s7, 2, v137
	v_cmp_eq_u32_e64 s6, 7, v139
	s_waitcnt lgkmcnt(1)
	v_lshrrev_b32_e32 v10, 16, v1
	s_waitcnt lgkmcnt(0)
	v_lshrrev_b32_e32 v14, 16, v5
	v_lshrrev_b32_e32 v15, 16, v6
	;; [unrolled: 1-line block ×4, first 2 shown]
	v_cndmask_b32_e64 v20, v1, v10, s3
	v_cndmask_b32_e32 v19, v5, v14, vcc_lo
	v_cndmask_b32_e64 v21, v5, v14, s3
	v_lshrrev_b32_e32 v16, 16, v7
	v_cmp_eq_u32_e64 s3, 1, v137
	v_lshrrev_b32_e32 v13, 16, v4
	v_cndmask_b32_e64 v19, v19, v6, s4
	v_lshrrev_b32_e32 v17, 16, v8
	s_delay_alu instid0(VALU_DEP_4) | instskip(SKIP_1) | instid1(VALU_DEP_4)
	v_cndmask_b32_e64 v22, v1, v10, s3
	v_cndmask_b32_e64 v23, v5, v14, s3
	;; [unrolled: 1-line block ×3, first 2 shown]
	v_cndmask_b32_e32 v18, v1, v10, vcc_lo
	v_cmp_eq_u32_e32 vcc_lo, 2, v139
	v_cmp_eq_u32_e64 s3, 2, v142
	v_cndmask_b32_e64 v22, v22, v2, s7
	v_cndmask_b32_e32 v20, v20, v2, vcc_lo
	v_cndmask_b32_e32 v21, v21, v6, vcc_lo
	v_cmp_eq_u32_e32 vcc_lo, 4, v138
	v_cndmask_b32_e32 v19, v19, v7, vcc_lo
	v_cndmask_b32_e64 v18, v18, v2, s4
	v_cmp_eq_u32_e64 s4, 3, v139
	s_delay_alu instid0(VALU_DEP_2) | instskip(NEXT) | instid1(VALU_DEP_2)
	v_cndmask_b32_e64 v18, v18, v11, s5
	v_cndmask_b32_e64 v21, v21, v15, s4
	v_cmp_eq_u32_e64 s5, 5, v138
	s_delay_alu instid0(VALU_DEP_3) | instskip(SKIP_1) | instid1(VALU_DEP_3)
	v_cndmask_b32_e32 v18, v18, v3, vcc_lo
	v_cmp_eq_u32_e32 vcc_lo, 4, v139
	v_cndmask_b32_e64 v19, v19, v16, s5
	s_delay_alu instid0(VALU_DEP_3) | instskip(SKIP_4) | instid1(VALU_DEP_3)
	v_cndmask_b32_e64 v18, v18, v12, s5
	v_cndmask_b32_e32 v21, v21, v7, vcc_lo
	v_cndmask_b32_e64 v20, v20, v11, s4
	v_cmp_eq_u32_e64 s4, 5, v139
	v_cmp_eq_u32_e64 s5, 6, v138
	v_cndmask_b32_e32 v20, v20, v3, vcc_lo
	s_delay_alu instid0(VALU_DEP_3) | instskip(SKIP_1) | instid1(VALU_DEP_4)
	v_cndmask_b32_e64 v21, v21, v16, s4
	v_cmp_eq_u32_e32 vcc_lo, 6, v139
	v_cndmask_b32_e64 v18, v18, v4, s5
	v_cndmask_b32_e64 v19, v19, v8, s5
	;; [unrolled: 1-line block ×3, first 2 shown]
	v_cmp_eq_u32_e64 s4, 1, v142
	v_cmp_eq_u32_e64 s5, 7, v138
	s_delay_alu instid0(VALU_DEP_3) | instskip(NEXT) | instid1(VALU_DEP_3)
	v_cndmask_b32_e32 v20, v20, v4, vcc_lo
	v_cndmask_b32_e64 v1, v1, v10, s4
	v_cndmask_b32_e64 v5, v5, v14, s4
	v_cmp_eq_u32_e64 s4, 3, v137
	v_cndmask_b32_e64 v14, v23, v6, s7
	v_cmp_eq_u32_e64 s7, 3, v142
	v_cndmask_b32_e64 v1, v1, v2, s3
	v_cndmask_b32_e64 v2, v5, v6, s3
	;; [unrolled: 1-line block ×3, first 2 shown]
	v_cmp_eq_u32_e64 s3, 4, v137
	v_cndmask_b32_e64 v6, v14, v15, s4
	v_cndmask_b32_e64 v1, v1, v11, s7
	v_cmp_eq_u32_e64 s4, 4, v142
	v_cndmask_b32_e64 v2, v2, v15, s7
	v_cndmask_b32_e64 v5, v10, v3, s3
	;; [unrolled: 3-line block ×3, first 2 shown]
	v_cndmask_b32_e64 v2, v2, v7, s4
	v_cmp_eq_u32_e64 s3, 5, v142
	v_cndmask_b32_e64 v5, v5, v12, s7
	v_cmp_eq_u32_e64 s4, 6, v137
	;; [unrolled: 2-line block ×3, first 2 shown]
	v_cndmask_b32_e64 v1, v1, v12, s3
	v_cndmask_b32_e64 v2, v2, v16, s3
	;; [unrolled: 1-line block ×4, first 2 shown]
	v_cmp_eq_u32_e64 s3, 7, v142
	v_cndmask_b32_e64 v1, v1, v4, s7
	v_cndmask_b32_e64 v2, v2, v8, s7
	v_cmp_eq_u32_e64 s4, 7, v137
	v_cndmask_b32_e32 v4, v21, v8, vcc_lo
	v_cndmask_b32_e64 v18, v18, v13, s5
	v_cndmask_b32_e64 v20, v20, v13, s6
	v_cndmask_b32_e64 v1, v1, v13, s3
	v_cndmask_b32_e64 v5, v5, v13, s4
	v_cndmask_b32_e64 v2, v2, v17, s3
	v_cndmask_b32_e64 v3, v3, v17, s4
	v_cndmask_b32_e64 v6, v4, v17, s6
	v_cndmask_b32_e64 v7, v19, v17, s5
	v_cmp_gt_u32_e32 vcc_lo, 32, v0
	v_perm_b32 v4, v2, v1, 0x5040100
	v_perm_b32 v3, v3, v5, 0x5040100
	;; [unrolled: 1-line block ×4, first 2 shown]
	s_and_b32 s2, vcc_lo, s2
	ds_store_b128 v9, v[1:4]
	s_waitcnt lgkmcnt(0)
	s_barrier
	buffer_gl0_inv
	s_and_saveexec_b32 s3, s2
	s_cbranch_execz .LBB489_2
; %bb.111:
	s_load_b64 s[0:1], s[0:1], 0x68
	v_lshlrev_b32_e32 v0, 10, v0
	s_lshl_b32 s4, s34, 6
	v_or_b32_e32 v3, s31, v146
	s_mul_i32 s2, s4, s30
	v_lshlrev_b32_e32 v1, 4, v147
	s_mul_i32 s2, s2, s8
	v_lshlrev_b32_e32 v2, 6, v146
	v_and_b32_e32 v0, 0x3800, v0
	s_ashr_i32 s3, s2, 31
	v_mul_lo_u32 v4, v3, s4
	s_lshl_b64 s[2:3], s[2:3], 1
	s_delay_alu instid0(VALU_DEP_2) | instskip(NEXT) | instid1(VALU_DEP_2)
	v_or3_b32 v16, v0, v1, v2
	v_ashrrev_i32_e32 v5, 31, v4
	ds_load_b128 v[0:3], v16
	s_waitcnt lgkmcnt(0)
	s_add_u32 s2, s0, s2
	s_addc_u32 s3, s1, s3
	s_lshl_b32 s0, s14, 6
	v_lshlrev_b64 v[5:6], 1, v[4:5]
	s_ashr_i32 s1, s0, 31
	s_delay_alu instid0(SALU_CYCLE_1) | instskip(NEXT) | instid1(SALU_CYCLE_1)
	s_lshl_b64 s[0:1], s[0:1], 1
	s_add_u32 s0, s2, s0
	s_addc_u32 s1, s3, s1
	s_lshl_b32 s2, s34, 7
	v_add_co_u32 v30, s0, s0, v145
	v_add_nc_u32_e32 v8, s2, v4
	v_add_co_ci_u32_e64 v31, null, s1, 0, s0
	s_delay_alu instid0(VALU_DEP_3) | instskip(NEXT) | instid1(VALU_DEP_3)
	v_add_co_u32 v12, vcc_lo, v30, v5
	v_add_nc_u32_e32 v10, s2, v8
	v_ashrrev_i32_e32 v9, 31, v8
	s_delay_alu instid0(VALU_DEP_4)
	v_add_co_ci_u32_e32 v13, vcc_lo, v31, v6, vcc_lo
	ds_load_b128 v[4:7], v16 offset:128
	v_ashrrev_i32_e32 v11, 31, v10
	v_lshlrev_b64 v[8:9], 1, v[8:9]
	v_add_nc_u32_e32 v14, s2, v10
	global_store_b128 v[12:13], v[0:3], off
	v_lshlrev_b64 v[0:1], 1, v[10:11]
	v_ashrrev_i32_e32 v15, 31, v14
	v_add_co_u32 v22, vcc_lo, v30, v8
	v_add_nc_u32_e32 v20, s2, v14
	v_add_co_ci_u32_e32 v23, vcc_lo, v31, v9, vcc_lo
	v_add_co_u32 v26, vcc_lo, v30, v0
	v_lshlrev_b64 v[24:25], 1, v[14:15]
	v_add_co_ci_u32_e32 v27, vcc_lo, v31, v1, vcc_lo
	ds_load_b128 v[0:3], v16 offset:256
	ds_load_b128 v[8:11], v16 offset:384
	;; [unrolled: 1-line block ×4, first 2 shown]
	v_add_nc_u32_e32 v28, s2, v20
	v_ashrrev_i32_e32 v21, 31, v20
	v_add_co_u32 v24, vcc_lo, v30, v24
	v_add_co_ci_u32_e32 v25, vcc_lo, v31, v25, vcc_lo
	s_delay_alu instid0(VALU_DEP_4) | instskip(NEXT) | instid1(VALU_DEP_4)
	v_ashrrev_i32_e32 v29, 31, v28
	v_lshlrev_b64 v[20:21], 1, v[20:21]
	s_delay_alu instid0(VALU_DEP_2) | instskip(NEXT) | instid1(VALU_DEP_2)
	v_lshlrev_b64 v[28:29], 1, v[28:29]
	v_add_co_u32 v20, vcc_lo, v30, v20
	s_delay_alu instid0(VALU_DEP_3) | instskip(NEXT) | instid1(VALU_DEP_3)
	v_add_co_ci_u32_e32 v21, vcc_lo, v31, v21, vcc_lo
	v_add_co_u32 v28, vcc_lo, v30, v28
	s_delay_alu instid0(VALU_DEP_4)
	v_add_co_ci_u32_e32 v29, vcc_lo, v31, v29, vcc_lo
	s_waitcnt lgkmcnt(4)
	global_store_b128 v[22:23], v[4:7], off
	s_waitcnt lgkmcnt(3)
	global_store_b128 v[26:27], v[0:3], off
	;; [unrolled: 2-line block ×5, first 2 shown]
	s_nop 0
	s_sendmsg sendmsg(MSG_DEALLOC_VGPRS)
	s_endpgm
	.section	.rodata,"a",@progbits
	.p2align	6, 0x0
	.amdhsa_kernel _Z39paged_attention_ll4mi_QKV_mfma16_kernelI14__hip_bfloat16S0_LN4vllm18Fp8KVCacheDataTypeE0ES0_Li16ELi64ELi256ELb0ELi12EL8MFMAType0EEvPKT_PKT0_S9_ifPKiSB_SB_iPKfiiiPfSE_PS4_PT2_iSD_SD_
		.amdhsa_group_segment_fixed_size 17472
		.amdhsa_private_segment_fixed_size 0
		.amdhsa_kernarg_size 400
		.amdhsa_user_sgpr_count 13
		.amdhsa_user_sgpr_dispatch_ptr 0
		.amdhsa_user_sgpr_queue_ptr 0
		.amdhsa_user_sgpr_kernarg_segment_ptr 1
		.amdhsa_user_sgpr_dispatch_id 0
		.amdhsa_user_sgpr_private_segment_size 0
		.amdhsa_wavefront_size32 1
		.amdhsa_uses_dynamic_stack 0
		.amdhsa_enable_private_segment 0
		.amdhsa_system_sgpr_workgroup_id_x 1
		.amdhsa_system_sgpr_workgroup_id_y 1
		.amdhsa_system_sgpr_workgroup_id_z 1
		.amdhsa_system_sgpr_workgroup_info 0
		.amdhsa_system_vgpr_workitem_id 0
		.amdhsa_next_free_vgpr 198
		.amdhsa_next_free_sgpr 52
		.amdhsa_reserve_vcc 1
		.amdhsa_float_round_mode_32 0
		.amdhsa_float_round_mode_16_64 0
		.amdhsa_float_denorm_mode_32 3
		.amdhsa_float_denorm_mode_16_64 3
		.amdhsa_dx10_clamp 1
		.amdhsa_ieee_mode 1
		.amdhsa_fp16_overflow 0
		.amdhsa_workgroup_processor_mode 1
		.amdhsa_memory_ordered 1
		.amdhsa_forward_progress 0
		.amdhsa_shared_vgpr_count 0
		.amdhsa_exception_fp_ieee_invalid_op 0
		.amdhsa_exception_fp_denorm_src 0
		.amdhsa_exception_fp_ieee_div_zero 0
		.amdhsa_exception_fp_ieee_overflow 0
		.amdhsa_exception_fp_ieee_underflow 0
		.amdhsa_exception_fp_ieee_inexact 0
		.amdhsa_exception_int_div_zero 0
	.end_amdhsa_kernel
	.section	.text._Z39paged_attention_ll4mi_QKV_mfma16_kernelI14__hip_bfloat16S0_LN4vllm18Fp8KVCacheDataTypeE0ES0_Li16ELi64ELi256ELb0ELi12EL8MFMAType0EEvPKT_PKT0_S9_ifPKiSB_SB_iPKfiiiPfSE_PS4_PT2_iSD_SD_,"axG",@progbits,_Z39paged_attention_ll4mi_QKV_mfma16_kernelI14__hip_bfloat16S0_LN4vllm18Fp8KVCacheDataTypeE0ES0_Li16ELi64ELi256ELb0ELi12EL8MFMAType0EEvPKT_PKT0_S9_ifPKiSB_SB_iPKfiiiPfSE_PS4_PT2_iSD_SD_,comdat
.Lfunc_end489:
	.size	_Z39paged_attention_ll4mi_QKV_mfma16_kernelI14__hip_bfloat16S0_LN4vllm18Fp8KVCacheDataTypeE0ES0_Li16ELi64ELi256ELb0ELi12EL8MFMAType0EEvPKT_PKT0_S9_ifPKiSB_SB_iPKfiiiPfSE_PS4_PT2_iSD_SD_, .Lfunc_end489-_Z39paged_attention_ll4mi_QKV_mfma16_kernelI14__hip_bfloat16S0_LN4vllm18Fp8KVCacheDataTypeE0ES0_Li16ELi64ELi256ELb0ELi12EL8MFMAType0EEvPKT_PKT0_S9_ifPKiSB_SB_iPKfiiiPfSE_PS4_PT2_iSD_SD_
                                        ; -- End function
	.section	.AMDGPU.csdata,"",@progbits
; Kernel info:
; codeLenInByte = 10164
; NumSgprs: 54
; NumVgprs: 198
; ScratchSize: 0
; MemoryBound: 0
; FloatMode: 240
; IeeeMode: 1
; LDSByteSize: 17472 bytes/workgroup (compile time only)
; SGPRBlocks: 6
; VGPRBlocks: 24
; NumSGPRsForWavesPerEU: 54
; NumVGPRsForWavesPerEU: 198
; Occupancy: 7
; WaveLimiterHint : 1
; COMPUTE_PGM_RSRC2:SCRATCH_EN: 0
; COMPUTE_PGM_RSRC2:USER_SGPR: 13
; COMPUTE_PGM_RSRC2:TRAP_HANDLER: 0
; COMPUTE_PGM_RSRC2:TGID_X_EN: 1
; COMPUTE_PGM_RSRC2:TGID_Y_EN: 1
; COMPUTE_PGM_RSRC2:TGID_Z_EN: 1
; COMPUTE_PGM_RSRC2:TIDIG_COMP_CNT: 0
	.section	.text._Z39paged_attention_ll4mi_QKV_mfma16_kernelI14__hip_bfloat16S0_LN4vllm18Fp8KVCacheDataTypeE0ES0_Li16ELi64ELi256ELb0ELi13EL8MFMAType0EEvPKT_PKT0_S9_ifPKiSB_SB_iPKfiiiPfSE_PS4_PT2_iSD_SD_,"axG",@progbits,_Z39paged_attention_ll4mi_QKV_mfma16_kernelI14__hip_bfloat16S0_LN4vllm18Fp8KVCacheDataTypeE0ES0_Li16ELi64ELi256ELb0ELi13EL8MFMAType0EEvPKT_PKT0_S9_ifPKiSB_SB_iPKfiiiPfSE_PS4_PT2_iSD_SD_,comdat
	.protected	_Z39paged_attention_ll4mi_QKV_mfma16_kernelI14__hip_bfloat16S0_LN4vllm18Fp8KVCacheDataTypeE0ES0_Li16ELi64ELi256ELb0ELi13EL8MFMAType0EEvPKT_PKT0_S9_ifPKiSB_SB_iPKfiiiPfSE_PS4_PT2_iSD_SD_ ; -- Begin function _Z39paged_attention_ll4mi_QKV_mfma16_kernelI14__hip_bfloat16S0_LN4vllm18Fp8KVCacheDataTypeE0ES0_Li16ELi64ELi256ELb0ELi13EL8MFMAType0EEvPKT_PKT0_S9_ifPKiSB_SB_iPKfiiiPfSE_PS4_PT2_iSD_SD_
	.globl	_Z39paged_attention_ll4mi_QKV_mfma16_kernelI14__hip_bfloat16S0_LN4vllm18Fp8KVCacheDataTypeE0ES0_Li16ELi64ELi256ELb0ELi13EL8MFMAType0EEvPKT_PKT0_S9_ifPKiSB_SB_iPKfiiiPfSE_PS4_PT2_iSD_SD_
	.p2align	8
	.type	_Z39paged_attention_ll4mi_QKV_mfma16_kernelI14__hip_bfloat16S0_LN4vllm18Fp8KVCacheDataTypeE0ES0_Li16ELi64ELi256ELb0ELi13EL8MFMAType0EEvPKT_PKT0_S9_ifPKiSB_SB_iPKfiiiPfSE_PS4_PT2_iSD_SD_,@function
_Z39paged_attention_ll4mi_QKV_mfma16_kernelI14__hip_bfloat16S0_LN4vllm18Fp8KVCacheDataTypeE0ES0_Li16ELi64ELi256ELb0ELi13EL8MFMAType0EEvPKT_PKT0_S9_ifPKiSB_SB_iPKfiiiPfSE_PS4_PT2_iSD_SD_: ; @_Z39paged_attention_ll4mi_QKV_mfma16_kernelI14__hip_bfloat16S0_LN4vllm18Fp8KVCacheDataTypeE0ES0_Li16ELi64ELi256ELb0ELi13EL8MFMAType0EEvPKT_PKT0_S9_ifPKiSB_SB_iPKfiiiPfSE_PS4_PT2_iSD_SD_
; %bb.0:
	s_load_b64 s[2:3], s[0:1], 0x30
	s_mov_b32 s34, s13
	s_waitcnt lgkmcnt(0)
	s_cmp_lg_u64 s[2:3], 0
	s_cselect_b32 s6, -1, 0
	s_ashr_i32 s35, s13, 31
	s_cmp_eq_u64 s[2:3], 0
	s_cbranch_scc1 .LBB490_3
; %bb.1:
	s_lshl_b64 s[4:5], s[34:35], 2
	s_delay_alu instid0(SALU_CYCLE_1) | instskip(SKIP_4) | instid1(SALU_CYCLE_1)
	s_add_u32 s4, s2, s4
	s_addc_u32 s5, s3, s5
	s_load_b64 s[4:5], s[4:5], 0x0
	s_waitcnt lgkmcnt(0)
	s_sub_i32 s4, s5, s4
	s_cmp_eq_u32 s4, 1
	s_cselect_b32 s4, -1, 0
	s_delay_alu instid0(SALU_CYCLE_1)
	s_and_not1_b32 vcc_lo, exec_lo, s4
	s_cbranch_vccz .LBB490_4
.LBB490_2:
	s_nop 0
	s_sendmsg sendmsg(MSG_DEALLOC_VGPRS)
	s_endpgm
.LBB490_3:
.LBB490_4:
	s_load_b64 s[8:9], s[0:1], 0x28
	s_lshl_b64 s[4:5], s[34:35], 2
	s_waitcnt lgkmcnt(0)
	s_add_u32 s8, s8, s4
	s_addc_u32 s9, s9, s5
	s_lshl_b32 s33, s14, 8
	s_load_b32 s30, s[8:9], 0x0
	s_waitcnt lgkmcnt(0)
	s_cmp_ge_i32 s33, s30
	s_cbranch_scc1 .LBB490_2
; %bb.5:
	s_clause 0x1
	s_load_b128 s[8:11], s[0:1], 0x8
	s_load_b64 s[12:13], s[0:1], 0x20
	s_and_not1_b32 vcc_lo, exec_lo, s6
	s_cbranch_vccnz .LBB490_7
; %bb.6:
	s_add_u32 s2, s2, s4
	s_addc_u32 s3, s3, s5
	s_load_b32 s3, s[2:3], 0x0
	s_branch .LBB490_8
.LBB490_7:
	s_mov_b32 s3, s34
.LBB490_8:
	s_load_b128 s[4:7], s[0:1], 0x48
	v_lshrrev_b32_e32 v149, 5, v0
	v_bfe_u32 v146, v0, 4, 1
	v_and_b32_e32 v148, 15, v0
	v_and_b32_e32 v150, 31, v0
	;; [unrolled: 1-line block ×3, first 2 shown]
	s_mul_i32 s31, s15, 13
	v_lshl_or_b32 v1, v149, 1, v146
	v_lshlrev_b32_e32 v2, 3, v148
	v_cmp_gt_u32_e64 s2, 8, v148
	s_delay_alu instid0(VALU_DEP_3) | instskip(NEXT) | instid1(VALU_DEP_3)
	v_cmp_gt_u32_e32 vcc_lo, 13, v1
	v_lshlrev_b32_e32 v145, 1, v2
	s_delay_alu instid0(VALU_DEP_3)
	s_and_b32 s16, s2, vcc_lo
	s_waitcnt lgkmcnt(0)
	s_and_saveexec_b32 s7, s16
	s_cbranch_execz .LBB490_10
; %bb.9:
	s_load_b64 s[16:17], s[0:1], 0x0
	v_add_lshl_u32 v2, v1, s31, 6
	s_mul_hi_i32 s19, s3, s4
	s_mul_i32 s18, s3, s4
	v_lshlrev_b32_e32 v6, 10, v148
	s_lshl_b64 s[18:19], s[18:19], 1
	v_ashrrev_i32_e32 v3, 31, v2
	v_lshlrev_b32_e32 v1, 6, v1
	v_lshlrev_b32_e32 v7, 10, v147
	v_and_b32_e32 v6, 0x3800, v6
	s_delay_alu instid0(VALU_DEP_4) | instskip(NEXT) | instid1(VALU_DEP_2)
	v_lshlrev_b64 v[2:3], 1, v[2:3]
	v_or3_b32 v1, v6, v7, v1
	s_waitcnt lgkmcnt(0)
	s_add_u32 s3, s16, s18
	s_addc_u32 s4, s17, s19
	s_delay_alu instid0(VALU_DEP_2) | instskip(SKIP_1) | instid1(VALU_DEP_2)
	v_add_co_u32 v2, vcc_lo, s3, v2
	v_add_co_ci_u32_e32 v3, vcc_lo, s4, v3, vcc_lo
	v_add_co_u32 v2, vcc_lo, v2, v145
	s_delay_alu instid0(VALU_DEP_2)
	v_add_co_ci_u32_e32 v3, vcc_lo, 0, v3, vcc_lo
	global_load_b128 v[2:5], v[2:3], off
	s_waitcnt vmcnt(0)
	ds_store_b128 v1, v[2:5]
.LBB490_10:
	s_or_b32 exec_lo, exec_lo, s7
	s_mov_b32 s40, 0
	s_add_i32 s3, s30, 15
	s_mov_b32 s41, s40
	s_mov_b32 s42, s40
	;; [unrolled: 1-line block ×7, first 2 shown]
	s_delay_alu instid0(SALU_CYCLE_1)
	v_dual_mov_b32 v144, s47 :: v_dual_and_b32 v1, 0xef, v0
	v_mov_b32_e32 v142, s45
	s_ashr_i32 s7, s3, 31
	s_clause 0x1
	s_load_b32 s4, s[0:1], 0x38
	s_load_b32 s35, s[0:1], 0x1c
	v_add_nc_u32_e32 v1, s33, v1
	s_lshr_b32 s7, s7, 28
	s_waitcnt lgkmcnt(0)
	s_add_i32 s3, s3, s7
	s_barrier
	v_ashrrev_i32_e32 v2, 31, v1
	v_or_b32_e32 v3, 16, v1
	s_ashr_i32 s3, s3, 4
	v_cmp_gt_i32_e32 vcc_lo, s30, v1
	s_add_i32 s3, s3, -1
	v_lshrrev_b32_e32 v2, 28, v2
	v_mov_b32_e32 v143, s46
	buffer_gl0_inv
	s_mul_i32 s6, s15, s6
	v_add_nc_u32_e32 v21, -13, v148
	v_dual_mov_b32 v141, s44 :: v_dual_add_nc_u32 v4, v1, v2
	v_mov_b32_e32 v139, s42
	s_mul_i32 s16, s34, s4
	v_mov_b32_e32 v137, s40
	s_delay_alu instid0(VALU_DEP_3)
	v_ashrrev_i32_e32 v4, 4, v4
	v_add_nc_u32_e32 v2, v3, v2
	v_lshlrev_b32_e32 v22, 5, v148
	s_ashr_i32 s17, s16, 31
	v_mov_b32_e32 v140, s43
	v_cndmask_b32_e32 v1, s3, v4, vcc_lo
	v_ashrrev_i32_e32 v2, 4, v2
	v_cmp_gt_i32_e32 vcc_lo, s30, v3
	s_lshl_b64 s[16:17], s[16:17], 2
	v_lshl_or_b32 v22, v149, 9, v22
	s_add_u32 s4, s12, s16
	s_addc_u32 s36, s13, s17
	v_cndmask_b32_e32 v3, s3, v2, vcc_lo
	v_ashrrev_i32_e32 v2, 31, v1
	s_ashr_i32 s7, s6, 31
	v_mov_b32_e32 v138, s41
	s_lshl_b64 s[6:7], s[6:7], 1
	v_ashrrev_i32_e32 v4, 31, v3
	v_lshlrev_b64 v[1:2], 2, v[1:2]
	s_add_u32 s24, s8, s6
	s_addc_u32 s25, s9, s7
	s_lshl_b32 s8, s14, 4
	v_lshlrev_b64 v[3:4], 2, v[3:4]
	s_ashr_i32 s9, s8, 31
	v_add_co_u32 v1, vcc_lo, s4, v1
	v_add_co_ci_u32_e32 v2, vcc_lo, s36, v2, vcc_lo
	s_delay_alu instid0(VALU_DEP_3) | instskip(NEXT) | instid1(VALU_DEP_4)
	v_add_co_u32 v3, vcc_lo, s4, v3
	v_add_co_ci_u32_e32 v4, vcc_lo, s36, v4, vcc_lo
	s_clause 0x1
	global_load_b32 v5, v[1:2], off
	global_load_b32 v6, v[3:4], off
	s_lshl_b64 s[8:9], s[8:9], 2
	v_lshlrev_b32_e32 v3, 4, v0
	s_add_u32 s8, s4, s8
	s_addc_u32 s9, s36, s9
	s_or_b32 s12, s33, 16
	s_delay_alu instid0(SALU_CYCLE_1) | instskip(SKIP_2) | instid1(SALU_CYCLE_1)
	s_ashr_i32 s13, s12, 4
	s_cmp_lt_i32 s12, s30
	s_cselect_b32 s12, s13, s3
	s_ashr_i32 s13, s12, 31
	s_delay_alu instid0(SALU_CYCLE_1) | instskip(NEXT) | instid1(SALU_CYCLE_1)
	s_lshl_b64 s[12:13], s[12:13], 2
	s_add_u32 s12, s4, s12
	s_addc_u32 s13, s36, s13
	s_or_b32 s15, s33, 32
	s_delay_alu instid0(SALU_CYCLE_1) | instskip(SKIP_2) | instid1(SALU_CYCLE_1)
	s_ashr_i32 s16, s15, 4
	s_cmp_lt_i32 s15, s30
	s_cselect_b32 s16, s16, s3
	s_ashr_i32 s17, s16, 31
	s_delay_alu instid0(SALU_CYCLE_1) | instskip(NEXT) | instid1(SALU_CYCLE_1)
	s_lshl_b64 s[16:17], s[16:17], 2
	;; [unrolled: 10-line block ×5, first 2 shown]
	s_add_u32 s22, s4, s22
	s_addc_u32 s23, s36, s23
	s_clause 0x5
	s_load_b32 s8, s[8:9], 0x0
	s_load_b32 s12, s[12:13], 0x0
	;; [unrolled: 1-line block ×6, first 2 shown]
	s_waitcnt lgkmcnt(0)
	s_mul_hi_i32 s17, s16, s5
	s_mul_i32 s16, s16, s5
	s_waitcnt vmcnt(1)
	v_mad_i64_i32 v[1:2], null, v5, s5, 0
	v_and_b32_e32 v5, 0xf0, v3
	s_waitcnt vmcnt(0)
	v_mad_i64_i32 v[3:4], null, v6, s5, 0
	s_delay_alu instid0(VALU_DEP_2) | instskip(NEXT) | instid1(VALU_DEP_4)
	v_add_co_u32 v5, s9, s24, v5
	v_lshlrev_b64 v[1:2], 1, v[1:2]
	v_add_co_ci_u32_e64 v6, null, s25, 0, s9
	s_delay_alu instid0(VALU_DEP_4) | instskip(SKIP_1) | instid1(VALU_DEP_3)
	v_lshlrev_b64 v[3:4], 1, v[3:4]
	s_or_b32 s9, s33, 0x60
	v_add_co_u32 v19, vcc_lo, v5, v1
	s_delay_alu instid0(VALU_DEP_3) | instskip(NEXT) | instid1(VALU_DEP_3)
	v_add_co_ci_u32_e32 v20, vcc_lo, v6, v2, vcc_lo
	v_add_co_u32 v17, vcc_lo, v5, v3
	s_delay_alu instid0(VALU_DEP_4)
	v_add_co_ci_u32_e32 v18, vcc_lo, v6, v4, vcc_lo
	s_clause 0x9
	global_load_b128 v[1:4], v[19:20], off
	global_load_b128 v[5:8], v[19:20], off offset:256
	global_load_b128 v[129:132], v[17:18], off
	global_load_b128 v[133:136], v[17:18], off offset:256
	global_load_b128 v[33:36], v[19:20], off offset:512
	;; [unrolled: 1-line block ×7, first 2 shown]
	v_cmp_gt_u32_e32 vcc_lo, 13, v148
	s_clause 0x1
	global_load_b128 v[151:154], v[17:18], off offset:1024
	global_load_b128 v[155:158], v[17:18], off offset:1280
	s_ashr_i32 s13, s9, 4
	s_cmp_lt_i32 s9, s30
	v_cndmask_b32_e32 v21, v21, v148, vcc_lo
	s_cselect_b32 s22, s13, s3
	s_delay_alu instid0(SALU_CYCLE_1) | instskip(NEXT) | instid1(VALU_DEP_1)
	s_ashr_i32 s23, s22, 31
	v_lshlrev_b32_e32 v197, 6, v21
	ds_load_b128 v[159:162], v197
	ds_load_b128 v[163:166], v197 offset:1024
	s_clause 0x3
	global_load_b128 v[167:170], v[19:20], off offset:1536
	global_load_b128 v[171:174], v[19:20], off offset:1792
	;; [unrolled: 1-line block ×4, first 2 shown]
	s_lshl_b64 s[22:23], s[22:23], 2
	s_delay_alu instid0(SALU_CYCLE_1) | instskip(SKIP_2) | instid1(SALU_CYCLE_1)
	s_add_u32 s22, s4, s22
	s_addc_u32 s23, s36, s23
	s_or_b32 s9, s33, 0x70
	s_ashr_i32 s13, s9, 4
	s_cmp_lt_i32 s9, s30
	s_cselect_b32 s24, s13, s3
	s_delay_alu instid0(SALU_CYCLE_1) | instskip(NEXT) | instid1(SALU_CYCLE_1)
	s_ashr_i32 s25, s24, 31
	s_lshl_b64 s[24:25], s[24:25], 2
	s_delay_alu instid0(SALU_CYCLE_1)
	s_add_u32 s24, s4, s24
	s_addc_u32 s25, s36, s25
	s_or_b32 s9, s33, 0x80
	s_load_b32 s46, s[24:25], 0x0
	s_ashr_i32 s13, s9, 4
	s_cmp_lt_i32 s9, s30
	s_cselect_b32 s26, s13, s3
	s_delay_alu instid0(SALU_CYCLE_1) | instskip(NEXT) | instid1(SALU_CYCLE_1)
	s_ashr_i32 s27, s26, 31
	s_lshl_b64 s[26:27], s[26:27], 2
	s_delay_alu instid0(SALU_CYCLE_1)
	s_add_u32 s26, s4, s26
	s_addc_u32 s27, s36, s27
	s_or_b32 s9, s33, 0x90
	s_load_b32 s47, s[26:27], 0x0
	s_ashr_i32 s13, s9, 4
	s_cmp_lt_i32 s9, s30
	s_cselect_b32 s28, s13, s3
	s_delay_alu instid0(SALU_CYCLE_1) | instskip(NEXT) | instid1(SALU_CYCLE_1)
	s_ashr_i32 s29, s28, 31
	s_lshl_b64 s[28:29], s[28:29], 2
	s_delay_alu instid0(SALU_CYCLE_1) | instskip(SKIP_2) | instid1(SALU_CYCLE_1)
	s_add_u32 s28, s4, s28
	s_addc_u32 s29, s36, s29
	s_or_b32 s9, s33, 0xa0
	s_ashr_i32 s13, s9, 4
	s_cmp_lt_i32 s9, s30
	s_cselect_b32 s38, s13, s3
	s_delay_alu instid0(SALU_CYCLE_1) | instskip(NEXT) | instid1(SALU_CYCLE_1)
	s_ashr_i32 s39, s38, 31
	s_lshl_b64 s[38:39], s[38:39], 2
	s_delay_alu instid0(SALU_CYCLE_1)
	s_add_u32 s38, s4, s38
	s_addc_u32 s39, s36, s39
	s_or_b32 s9, s33, 0xb0
	s_load_b32 s39, s[38:39], 0x0
	s_ashr_i32 s13, s9, 4
	s_cmp_lt_i32 s9, s30
	s_mul_hi_i32 s9, s8, s5
	s_cselect_b32 s40, s13, s3
	s_mul_i32 s8, s8, s5
	s_ashr_i32 s41, s40, 31
	s_mul_hi_i32 s13, s12, s5
	s_lshl_b64 s[40:41], s[40:41], 2
	s_mul_i32 s12, s12, s5
	s_add_u32 s42, s4, s40
	s_addc_u32 s43, s36, s41
	s_or_b32 s19, s33, 0xc0
	s_delay_alu instid0(SALU_CYCLE_1)
	s_ashr_i32 s21, s19, 4
	s_cmp_lt_i32 s19, s30
	s_mul_hi_i32 s19, s18, s5
	s_cselect_b32 s40, s21, s3
	s_mul_i32 s18, s18, s5
	s_ashr_i32 s41, s40, 31
	s_mul_hi_i32 s21, s20, s5
	s_lshl_b64 s[40:41], s[40:41], 2
	s_mul_i32 s20, s20, s5
	s_add_u32 s44, s4, s40
	s_load_b32 s40, s[28:29], 0x0
	s_addc_u32 s45, s36, s41
	s_or_b32 s37, s33, 0xd0
	s_load_b32 s41, s[22:23], 0x0
	s_ashr_i32 s22, s37, 4
	s_cmp_lt_i32 s37, s30
	s_mul_hi_i32 s23, s15, s5
	s_cselect_b32 s24, s22, s3
	s_mul_i32 s22, s15, s5
	s_ashr_i32 s25, s24, 31
	s_waitcnt lgkmcnt(0)
	s_mul_hi_i32 s27, s46, s5
	s_lshl_b64 s[24:25], s[24:25], 2
	s_mul_i32 s26, s46, s5
	s_add_u32 s24, s4, s24
	s_addc_u32 s25, s36, s25
	s_or_b32 s48, s33, 0xe0
	s_clause 0x2
	s_load_b32 s38, s[42:43], 0x0
	s_load_b32 s37, s[44:45], 0x0
	;; [unrolled: 1-line block ×3, first 2 shown]
	s_ashr_i32 s49, s48, 4
	s_cmp_lt_i32 s48, s30
	s_mul_hi_i32 s29, s47, s5
	s_cselect_b32 s42, s49, s3
	s_mul_i32 s28, s47, s5
	s_ashr_i32 s43, s42, 31
	s_mul_hi_i32 s25, s41, s5
	s_lshl_b64 s[42:43], s[42:43], 2
	s_mul_i32 s24, s41, s5
	s_add_u32 s42, s4, s42
	s_addc_u32 s43, s36, s43
	s_or_b32 s46, s33, 0xf0
	s_mul_hi_i32 s41, s40, s5
	s_ashr_i32 s47, s46, 4
	s_cmp_lt_i32 s46, s30
	s_mul_i32 s40, s40, s5
	s_cselect_b32 s46, s47, s3
	s_mul_hi_i32 s45, s39, s5
	s_ashr_i32 s47, s46, 31
	s_mul_i32 s44, s39, s5
	s_lshl_b64 s[46:47], s[46:47], 2
	s_waitcnt lgkmcnt(0)
	s_mul_hi_i32 s39, s38, s5
	s_add_u32 s46, s4, s46
	s_addc_u32 s47, s36, s47
	s_add_u32 s3, s10, s6
	s_addc_u32 s4, s11, s7
	v_add_co_u32 v195, s3, s3, v22
	s_delay_alu instid0(VALU_DEP_1) | instskip(SKIP_2) | instid1(VALU_DEP_2)
	v_add_co_ci_u32_e64 v196, null, s4, 0, s3
	s_lshl_b64 s[6:7], s[8:9], 1
	s_lshl_b64 s[8:9], s[12:13], 1
	v_add_co_u32 v17, vcc_lo, v195, s6
	s_delay_alu instid0(VALU_DEP_2)
	v_add_co_ci_u32_e32 v18, vcc_lo, s7, v196, vcc_lo
	v_add_co_u32 v19, vcc_lo, v195, s8
	s_lshl_b64 s[10:11], s[16:17], 1
	v_add_co_ci_u32_e32 v20, vcc_lo, s9, v196, vcc_lo
	v_add_co_u32 v21, vcc_lo, v195, s10
	s_lshl_b64 s[12:13], s[18:19], 1
	;; [unrolled: 3-line block ×9, first 2 shown]
	s_mul_i32 s38, s38, s5
	v_add_co_ci_u32_e32 v54, vcc_lo, s27, v196, vcc_lo
	v_add_co_u32 v183, vcc_lo, v195, s28
	s_mul_hi_i32 s49, s37, s5
	s_mul_i32 s48, s37, s5
	s_lshl_b64 s[36:37], s[38:39], 1
	v_add_co_ci_u32_e32 v184, vcc_lo, s29, v196, vcc_lo
	v_add_co_u32 v185, vcc_lo, v195, s36
	s_lshl_b64 s[38:39], s[48:49], 1
	s_clause 0x1
	s_load_b32 s3, s[42:43], 0x0
	s_load_b32 s4, s[46:47], 0x0
	v_add_co_ci_u32_e32 v186, vcc_lo, s37, v196, vcc_lo
	v_add_co_u32 v191, vcc_lo, v195, s38
	v_add_co_ci_u32_e32 v192, vcc_lo, s39, v196, vcc_lo
	s_clause 0x17
	global_load_b128 v[121:124], v[17:18], off
	global_load_b128 v[125:128], v[17:18], off offset:16
	global_load_b128 v[113:116], v[19:20], off
	global_load_b128 v[117:120], v[19:20], off offset:16
	;; [unrolled: 2-line block ×12, first 2 shown]
	s_mul_hi_i32 s51, s15, s5
	s_mul_i32 s50, s15, s5
	s_delay_alu instid0(SALU_CYCLE_1) | instskip(NEXT) | instid1(SALU_CYCLE_1)
	s_lshl_b64 s[40:41], s[50:51], 1
	v_add_co_u32 v193, vcc_lo, v195, s40
	v_add_co_ci_u32_e32 v194, vcc_lo, s41, v196, vcc_lo
	s_waitcnt lgkmcnt(0)
	s_mul_hi_i32 s7, s3, s5
	s_mul_i32 s6, s3, s5
	s_mul_hi_i32 s9, s4, s5
	s_lshl_b64 s[6:7], s[6:7], 1
	s_mul_i32 s8, s4, s5
	s_delay_alu instid0(SALU_CYCLE_1)
	s_lshl_b64 s[4:5], s[8:9], 1
	s_waitcnt vmcnt(38)
	v_wmma_f32_16x16x16_bf16 v[183:190], v[1:8], v[159:166], v[137:144]
	s_waitcnt vmcnt(36)
	v_wmma_f32_16x16x16_bf16 v[137:144], v[129:136], v[159:166], v[137:144]
	s_clause 0x1
	global_load_b128 v[1:4], v[191:192], off
	global_load_b128 v[5:8], v[191:192], off offset:16
	ds_load_b128 v[129:132], v197 offset:2048
	ds_load_b128 v[133:136], v197 offset:3072
	;; [unrolled: 1-line block ×4, first 2 shown]
	v_add_co_u32 v191, vcc_lo, v195, s6
	v_add_co_ci_u32_e32 v192, vcc_lo, s7, v196, vcc_lo
	v_add_co_u32 v195, vcc_lo, v195, s4
	v_add_co_ci_u32_e32 v196, vcc_lo, s5, v196, vcc_lo
	s_waitcnt vmcnt(36) lgkmcnt(2)
	v_wmma_f32_16x16x16_bf16 v[183:190], v[33:40], v[129:136], v[183:190]
	s_waitcnt vmcnt(34)
	v_wmma_f32_16x16x16_bf16 v[137:144], v[25:32], v[129:136], v[137:144]
	s_clause 0x3
	global_load_b128 v[25:28], v[193:194], off
	global_load_b128 v[29:32], v[193:194], off offset:16
	global_load_b128 v[33:36], v[191:192], off
	global_load_b128 v[37:40], v[191:192], off offset:16
	v_and_b32_e32 v129, 0xe0, v0
	v_mbcnt_lo_u32_b32 v191, -1, 0
	s_waitcnt vmcnt(36) lgkmcnt(0)
	v_wmma_f32_16x16x16_bf16 v[183:190], v[9:16], v[159:166], v[183:190]
	s_clause 0x1
	global_load_b128 v[9:12], v[195:196], off
	global_load_b128 v[13:16], v[195:196], off offset:16
	s_waitcnt vmcnt(36)
	v_wmma_f32_16x16x16_bf16 v[137:144], v[151:158], v[159:166], v[137:144]
	v_add_nc_u32_e32 v192, s33, v129
	ds_load_b128 v[129:132], v197 offset:6144
	ds_load_b128 v[133:136], v197 offset:7168
	v_xor_b32_e32 v151, 16, v191
	s_waitcnt vmcnt(0) lgkmcnt(0)
	s_barrier
	v_or_b32_e32 v152, v192, v146
	buffer_gl0_inv
	v_cmp_gt_i32_e32 vcc_lo, 32, v151
	v_or_b32_e32 v153, 2, v152
	v_or_b32_e32 v154, 4, v152
	;; [unrolled: 1-line block ×5, first 2 shown]
	v_cmp_gt_i32_e64 s3, s30, v153
	v_cmp_gt_i32_e64 s4, s30, v154
	;; [unrolled: 1-line block ×3, first 2 shown]
	v_or_b32_e32 v158, 12, v152
	v_or_b32_e32 v159, 14, v152
	v_cmp_gt_i32_e64 s6, s30, v156
	v_wmma_f32_16x16x16_bf16 v[183:190], v[167:174], v[129:136], v[183:190]
	v_wmma_f32_16x16x16_bf16 v[137:144], v[175:182], v[129:136], v[137:144]
	v_cndmask_b32_e32 v151, v191, v151, vcc_lo
	v_cmp_gt_i32_e32 vcc_lo, s30, v152
	v_cmp_gt_i32_e64 s7, s30, v157
	v_dual_mul_f32 v135, s35, v184 :: v_dual_mul_f32 v136, s35, v183
	v_dual_mul_f32 v133, s35, v186 :: v_dual_mul_f32 v134, s35, v185
	v_dual_mul_f32 v131, s35, v188 :: v_dual_mul_f32 v174, s35, v138
	s_delay_alu instid0(VALU_DEP_3) | instskip(NEXT) | instid1(VALU_DEP_4)
	v_cndmask_b32_e32 v136, 0xff7fffff, v136, vcc_lo
	v_cndmask_b32_e64 v135, 0xff7fffff, v135, s3
	v_mul_f32_e32 v132, s35, v187
	v_cndmask_b32_e64 v134, 0xff7fffff, v134, s4
	v_cndmask_b32_e64 v133, 0xff7fffff, v133, s5
	v_or_b32_e32 v160, 16, v152
	v_max3_f32 v135, v136, 0xff7fffff, v135
	v_or_b32_e32 v161, 18, v152
	v_mul_f32_e32 v130, s35, v189
	v_dual_mul_f32 v172, s35, v140 :: v_dual_mul_f32 v129, s35, v190
	v_cndmask_b32_e64 v132, 0xff7fffff, v132, s6
	v_cndmask_b32_e64 v131, 0xff7fffff, v131, s7
	v_max3_f32 v133, v135, v134, v133
	v_cmp_gt_i32_e64 s8, s30, v158
	v_lshlrev_b32_e32 v158, 2, v151
	v_cmp_gt_i32_e64 s9, s30, v159
	v_or_b32_e32 v162, 20, v152
	v_or_b32_e32 v163, 22, v152
	v_mul_f32_e32 v175, s35, v137
	v_cndmask_b32_e64 v130, 0xff7fffff, v130, s8
	v_cndmask_b32_e64 v129, 0xff7fffff, v129, s9
	v_max3_f32 v131, v133, v132, v131
	v_cmp_gt_i32_e64 s10, s30, v160
	v_cmp_gt_i32_e64 s11, s30, v161
	v_or_b32_e32 v164, 24, v152
	v_or_b32_e32 v165, 26, v152
	v_mul_f32_e32 v173, s35, v139
	v_cndmask_b32_e64 v132, 0xff7fffff, v175, s10
	v_cndmask_b32_e64 v133, 0xff7fffff, v174, s11
	v_max3_f32 v129, v131, v130, v129
	v_cmp_gt_i32_e64 s12, s30, v162
	v_cmp_gt_i32_e64 s13, s30, v163
	v_or_b32_e32 v166, 28, v152
	v_or_b32_e32 v167, 30, v152
	v_dual_mul_f32 v170, s35, v142 :: v_dual_mul_f32 v171, s35, v141
	v_cndmask_b32_e64 v130, 0xff7fffff, v173, s12
	v_cndmask_b32_e64 v131, 0xff7fffff, v172, s13
	v_max3_f32 v129, v129, v132, v133
	v_cmp_gt_i32_e64 s15, s30, v164
	v_cmp_gt_i32_e64 s16, s30, v165
	v_dual_mul_f32 v168, s35, v144 :: v_dual_mul_f32 v169, s35, v143
	s_delay_alu instid0(VALU_DEP_4) | instskip(NEXT) | instid1(VALU_DEP_4)
	v_max3_f32 v129, v129, v130, v131
	v_cndmask_b32_e64 v132, 0xff7fffff, v171, s15
	s_delay_alu instid0(VALU_DEP_4) | instskip(SKIP_2) | instid1(VALU_DEP_3)
	v_cndmask_b32_e64 v133, 0xff7fffff, v170, s16
	v_cmp_gt_i32_e64 s17, s30, v166
	v_cmp_gt_i32_e64 s18, s30, v167
	v_max3_f32 v129, v129, v132, v133
	s_delay_alu instid0(VALU_DEP_3) | instskip(NEXT) | instid1(VALU_DEP_3)
	v_cndmask_b32_e64 v130, 0xff7fffff, v169, s17
	v_cndmask_b32_e64 v131, 0xff7fffff, v168, s18
	s_delay_alu instid0(VALU_DEP_1) | instskip(SKIP_3) | instid1(VALU_DEP_1)
	v_max3_f32 v129, v129, v130, v131
	ds_bpermute_b32 v130, v158, v129
	s_waitcnt lgkmcnt(0)
	v_max_f32_e32 v130, v130, v130
	v_max_f32_e32 v129, v129, v130
	s_delay_alu instid0(VALU_DEP_1)
	v_fma_f32 v130, s35, v183, -v129
	v_fma_f32 v132, s35, v185, -v129
	;; [unrolled: 1-line block ×5, first 2 shown]
	v_mul_f32_e32 v130, 0x3fb8aa3b, v130
	v_mul_f32_e32 v132, 0x3fb8aa3b, v132
	v_mul_f32_e32 v134, 0x3fb8aa3b, v134
	v_fma_f32 v135, s35, v189, -v129
	s_delay_alu instid0(VALU_DEP_4) | instskip(NEXT) | instid1(VALU_DEP_3)
	v_exp_f32_e32 v130, v130
	v_exp_f32_e32 v132, v132
	s_delay_alu instid0(VALU_DEP_2) | instskip(NEXT) | instid1(TRANS32_DEP_3)
	v_exp_f32_e32 v134, v134
	v_cndmask_b32_e32 v152, 0, v130, vcc_lo
	v_fma_f32 v130, s35, v188, -v129
	s_waitcnt_depctr 0xfff
	v_cndmask_b32_e64 v153, 0, v132, s4
	v_fma_f32 v132, s35, v190, -v129
	v_mul_f32_e32 v131, 0x3fb8aa3b, v131
	v_cndmask_b32_e64 v155, 0, v134, s6
	v_dual_mul_f32 v130, 0x3fb8aa3b, v130 :: v_dual_mul_f32 v133, 0x3fb8aa3b, v133
	s_delay_alu instid0(VALU_DEP_4) | instskip(NEXT) | instid1(VALU_DEP_4)
	v_mul_f32_e32 v132, 0x3fb8aa3b, v132
	v_exp_f32_e32 v131, v131
	v_fma_f32 v134, s35, v138, -v129
	s_delay_alu instid0(VALU_DEP_3) | instskip(SKIP_2) | instid1(VALU_DEP_1)
	v_exp_f32_e32 v130, v130
	v_exp_f32_e32 v133, v133
	v_exp_f32_e32 v132, v132
	v_mul_f32_e32 v134, 0x3fb8aa3b, v134
	v_cndmask_b32_e64 v151, 0, v131, s3
	v_add_f32_e32 v131, 0, v152
	s_delay_alu instid0(TRANS32_DEP_3)
	v_cndmask_b32_e64 v156, 0, v130, s7
	s_waitcnt_depctr 0xfff
	v_cndmask_b32_e64 v154, 0, v133, s5
	v_fma_f32 v133, s35, v137, -v129
	v_exp_f32_e32 v134, v134
	v_add_f32_e32 v131, v131, v151
	v_cmp_gt_u32_e64 s3, 16, v150
	s_delay_alu instid0(VALU_DEP_2) | instskip(NEXT) | instid1(VALU_DEP_1)
	v_add_f32_e32 v131, v131, v153
	v_add_f32_e32 v131, v131, v154
	s_delay_alu instid0(VALU_DEP_1) | instskip(SKIP_2) | instid1(VALU_DEP_3)
	v_add_f32_e32 v130, v131, v155
	v_fma_f32 v131, s35, v139, -v129
	v_fma_f32 v139, s35, v144, -v129
	v_dual_add_f32 v130, v130, v156 :: v_dual_mul_f32 v135, 0x3fb8aa3b, v135
	s_delay_alu instid0(VALU_DEP_1)
	v_exp_f32_e32 v135, v135
	s_waitcnt_depctr 0xfff
	v_cndmask_b32_e64 v157, 0, v135, s8
	v_fma_f32 v135, s35, v140, -v129
	v_cndmask_b32_e64 v140, 0, v132, s9
	v_fma_f32 v132, s35, v141, -v129
	s_delay_alu instid0(VALU_DEP_1) | instskip(SKIP_1) | instid1(VALU_DEP_2)
	v_dual_add_f32 v130, v130, v157 :: v_dual_mul_f32 v137, 0x3fb8aa3b, v132
	v_cndmask_b32_e64 v132, 0, v134, s11
	v_dual_add_f32 v130, v130, v140 :: v_dual_mul_f32 v133, 0x3fb8aa3b, v133
	v_mul_f32_e32 v131, 0x3fb8aa3b, v131
	v_fma_f32 v134, s35, v143, -v129
	v_mul_f32_e32 v135, 0x3fb8aa3b, v135
	s_delay_alu instid0(VALU_DEP_4) | instskip(NEXT) | instid1(VALU_DEP_3)
	v_exp_f32_e32 v133, v133
	v_exp_f32_e32 v136, v131
	s_waitcnt_depctr 0xfff
	v_cndmask_b32_e64 v131, 0, v133, s10
	v_fma_f32 v133, s35, v142, -v129
	s_delay_alu instid0(VALU_DEP_2) | instskip(NEXT) | instid1(VALU_DEP_2)
	v_add_f32_e32 v130, v130, v131
	v_mul_f32_e32 v138, 0x3fb8aa3b, v133
	v_cndmask_b32_e64 v133, 0, v136, s12
	v_mul_f32_e32 v136, 0x3fb8aa3b, v134
	v_exp_f32_e32 v135, v135
	v_add_f32_e32 v130, v130, v132
	v_exp_f32_e32 v138, v138
	s_delay_alu instid0(VALU_DEP_2) | instskip(NEXT) | instid1(VALU_DEP_1)
	v_exp_f32_e32 v141, v136
	v_add_f32_e32 v130, v130, v133
	v_exp_f32_e32 v137, v137
	v_cndmask_b32_e64 v134, 0, v135, s13
	s_delay_alu instid0(TRANS32_DEP_3) | instskip(NEXT) | instid1(VALU_DEP_2)
	v_cndmask_b32_e64 v136, 0, v138, s16
	v_add_f32_e32 v130, v130, v134
	s_waitcnt_depctr 0xfff
	v_cndmask_b32_e64 v135, 0, v137, s15
	v_mul_f32_e32 v137, 0x3fb8aa3b, v139
	s_delay_alu instid0(VALU_DEP_2) | instskip(NEXT) | instid1(VALU_DEP_2)
	v_add_f32_e32 v130, v130, v135
	v_exp_f32_e32 v138, v137
	v_cndmask_b32_e64 v137, 0, v141, s17
	s_delay_alu instid0(VALU_DEP_2) | instskip(NEXT) | instid1(VALU_DEP_1)
	v_add_f32_e32 v130, v130, v136
	v_add_f32_e32 v130, v130, v137
	s_waitcnt_depctr 0xfff
	v_cndmask_b32_e64 v138, 0, v138, s18
	s_delay_alu instid0(VALU_DEP_1)
	v_add_f32_e32 v130, v130, v138
	ds_bpermute_b32 v139, v158, v130
	s_and_saveexec_b32 s4, s3
	s_cbranch_execz .LBB490_12
; %bb.11:
	v_mul_u32_u24_e32 v141, 0x44, v149
	s_delay_alu instid0(VALU_DEP_1) | instskip(SKIP_1) | instid1(VALU_DEP_1)
	v_lshl_add_u32 v141, v148, 2, v141
	s_waitcnt lgkmcnt(0)
	v_dual_add_f32 v130, v130, v139 :: v_dual_add_nc_u32 v139, 0x4000, v141
	ds_store_2addr_b32 v139, v129, v130 offset1:136
.LBB490_12:
	s_or_b32 exec_lo, exec_lo, s4
	v_lshlrev_b32_e32 v129, 2, v148
	s_waitcnt lgkmcnt(0)
	s_barrier
	buffer_gl0_inv
	v_cmp_eq_u32_e64 s4, 1, v149
	v_add_nc_u32_e32 v139, 0x4000, v129
	ds_load_2addr_b32 v[141:142], v139 offset1:17
	ds_load_2addr_b32 v[143:144], v139 offset0:34 offset1:51
	ds_load_2addr_b32 v[158:159], v139 offset0:68 offset1:85
	;; [unrolled: 1-line block ×4, first 2 shown]
	s_waitcnt lgkmcnt(4)
	v_max3_f32 v129, v141, 0xff7fffff, v142
	s_waitcnt lgkmcnt(3)
	s_delay_alu instid0(VALU_DEP_1) | instskip(SKIP_1) | instid1(VALU_DEP_1)
	v_max3_f32 v129, v129, v143, v144
	s_waitcnt lgkmcnt(2)
	v_max3_f32 v129, v129, v158, v159
	s_waitcnt lgkmcnt(1)
	s_delay_alu instid0(VALU_DEP_1) | instskip(NEXT) | instid1(VALU_DEP_1)
	v_max3_f32 v129, v129, v160, v161
	v_sub_f32_e32 v158, v158, v129
	s_delay_alu instid0(VALU_DEP_1) | instskip(NEXT) | instid1(VALU_DEP_1)
	v_dual_sub_f32 v150, v142, v129 :: v_dual_mul_f32 v167, 0x3fb8aa3b, v158
	v_dual_sub_f32 v143, v143, v129 :: v_dual_mul_f32 v150, 0x3fb8aa3b, v150
	s_delay_alu instid0(VALU_DEP_1) | instskip(NEXT) | instid1(VALU_DEP_2)
	v_dual_sub_f32 v130, v141, v129 :: v_dual_mul_f32 v165, 0x3fb8aa3b, v143
	v_exp_f32_e32 v150, v150
	s_delay_alu instid0(VALU_DEP_1) | instskip(NEXT) | instid1(VALU_DEP_2)
	v_mul_f32_e32 v130, 0x3fb8aa3b, v130
	v_exp_f32_e32 v165, v165
	s_delay_alu instid0(VALU_DEP_1) | instskip(SKIP_1) | instid1(VALU_DEP_1)
	v_exp_f32_e32 v164, v130
	v_sub_f32_e32 v130, v144, v129
	v_mul_f32_e32 v166, 0x3fb8aa3b, v130
	s_waitcnt lgkmcnt(0)
	s_waitcnt_depctr 0xfff
	v_fma_f32 v130, v164, v162, 0
	v_sub_f32_e32 v162, v159, v129
	s_delay_alu instid0(VALU_DEP_2)
	v_fmac_f32_e32 v130, v150, v163
	ds_load_2addr_b32 v[141:142], v139 offset0:170 offset1:187
	ds_load_2addr_b32 v[143:144], v139 offset0:204 offset1:221
	;; [unrolled: 1-line block ×3, first 2 shown]
	v_sub_f32_e32 v139, v160, v129
	v_exp_f32_e32 v166, v166
	v_mul_f32_e32 v160, 0x3fb8aa3b, v162
	v_exp_f32_e32 v162, v167
	v_cndmask_b32_e64 v150, v164, v150, s4
	v_mul_f32_e32 v139, 0x3fb8aa3b, v139
	v_cmp_eq_u32_e64 s4, 2, v149
	s_waitcnt lgkmcnt(0)
	s_barrier
	buffer_gl0_inv
	v_exp_f32_e32 v139, v139
	v_cndmask_b32_e64 v150, v150, v165, s4
	v_cmp_eq_u32_e64 s4, 3, v149
	v_fmac_f32_e32 v130, v165, v141
	v_sub_f32_e32 v141, v161, v129
	v_exp_f32_e32 v160, v160
	s_delay_alu instid0(VALU_DEP_3) | instskip(SKIP_1) | instid1(VALU_DEP_3)
	v_cndmask_b32_e64 v150, v150, v166, s4
	v_cmp_eq_u32_e64 s4, 4, v149
	v_dual_fmac_f32 v130, v166, v142 :: v_dual_mul_f32 v141, 0x3fb8aa3b, v141
	s_delay_alu instid0(VALU_DEP_2) | instskip(SKIP_1) | instid1(VALU_DEP_3)
	v_cndmask_b32_e64 v150, v150, v162, s4
	v_cmp_eq_u32_e64 s4, 5, v149
	v_exp_f32_e32 v141, v141
	s_delay_alu instid0(VALU_DEP_3)
	v_fmac_f32_e32 v130, v162, v143
	s_delay_alu instid0(TRANS32_DEP_2) | instid1(VALU_DEP_2)
	v_cndmask_b32_e64 v150, v150, v160, s4
	s_delay_alu instid0(VALU_DEP_2) | instskip(NEXT) | instid1(VALU_DEP_1)
	v_fmac_f32_e32 v130, v160, v144
	v_fmac_f32_e32 v130, v139, v158
	s_waitcnt_depctr 0xfff
	v_fmac_f32_e32 v130, v141, v159
	s_delay_alu instid0(VALU_DEP_1) | instskip(NEXT) | instid1(VALU_DEP_1)
	v_add_f32_e32 v142, 0x358637bd, v130
	v_div_scale_f32 v143, null, v142, v142, 1.0
	v_div_scale_f32 v159, vcc_lo, 1.0, v142, 1.0
	s_delay_alu instid0(VALU_DEP_2) | instskip(SKIP_2) | instid1(VALU_DEP_1)
	v_rcp_f32_e32 v144, v143
	s_waitcnt_depctr 0xfff
	v_fma_f32 v158, -v143, v144, 1.0
	v_fmac_f32_e32 v144, v158, v144
	s_delay_alu instid0(VALU_DEP_1) | instskip(NEXT) | instid1(VALU_DEP_1)
	v_mul_f32_e32 v158, v159, v144
	v_fma_f32 v161, -v143, v158, v159
	s_delay_alu instid0(VALU_DEP_1) | instskip(NEXT) | instid1(VALU_DEP_1)
	v_fmac_f32_e32 v158, v161, v144
	v_fma_f32 v143, -v143, v158, v159
	s_delay_alu instid0(VALU_DEP_1) | instskip(SKIP_1) | instid1(VALU_DEP_2)
	v_div_fmas_f32 v143, v143, v144, v158
	v_cmp_eq_u32_e32 vcc_lo, 6, v149
	v_div_fixup_f32 v142, v143, v142, 1.0
	v_cndmask_b32_e32 v139, v150, v139, vcc_lo
	v_cmp_eq_u32_e32 vcc_lo, 7, v149
	s_delay_alu instid0(VALU_DEP_2) | instskip(NEXT) | instid1(VALU_DEP_1)
	v_cndmask_b32_e32 v139, v139, v141, vcc_lo
	v_mul_f32_e32 v139, v139, v142
	s_delay_alu instid0(VALU_DEP_1) | instskip(SKIP_4) | instid1(VALU_DEP_4)
	v_mul_f32_e32 v153, v139, v153
	v_mul_f32_e32 v142, v139, v152
	;; [unrolled: 1-line block ×5, first 2 shown]
	v_dual_mul_f32 v152, v139, v155 :: v_dual_and_b32 v141, 0x7f800000, v142
	v_mul_f32_e32 v154, v139, v154
	v_mul_f32_e32 v144, v139, v151
	s_delay_alu instid0(VALU_DEP_3) | instskip(SKIP_1) | instid1(SALU_CYCLE_1)
	v_cmp_ne_u32_e32 vcc_lo, 0x7f800000, v141
                                        ; implicit-def: $vgpr141
	s_and_saveexec_b32 s4, vcc_lo
	s_xor_b32 s4, exec_lo, s4
; %bb.13:
	v_bfe_u32 v141, v142, 16, 1
	s_delay_alu instid0(VALU_DEP_1)
	v_add3_u32 v141, v142, v141, 0x7fff
                                        ; implicit-def: $vgpr142
; %bb.14:
	s_and_not1_saveexec_b32 s4, s4
; %bb.15:
	v_and_b32_e32 v141, 0xffff, v142
	v_or_b32_e32 v151, 0x10000, v142
	s_delay_alu instid0(VALU_DEP_2) | instskip(NEXT) | instid1(VALU_DEP_2)
	v_cmp_eq_u32_e32 vcc_lo, 0, v141
	v_cndmask_b32_e32 v141, v151, v142, vcc_lo
; %bb.16:
	s_or_b32 exec_lo, exec_lo, s4
	v_and_b32_e32 v142, 0x7f800000, v144
	s_delay_alu instid0(VALU_DEP_1) | instskip(SKIP_1) | instid1(SALU_CYCLE_1)
	v_cmp_ne_u32_e32 vcc_lo, 0x7f800000, v142
                                        ; implicit-def: $vgpr142
	s_and_saveexec_b32 s4, vcc_lo
	s_xor_b32 s4, exec_lo, s4
; %bb.17:
	v_bfe_u32 v142, v144, 16, 1
	s_delay_alu instid0(VALU_DEP_1)
	v_add3_u32 v142, v144, v142, 0x7fff
                                        ; implicit-def: $vgpr144
; %bb.18:
	s_and_not1_saveexec_b32 s4, s4
; %bb.19:
	v_and_b32_e32 v142, 0xffff, v144
	v_or_b32_e32 v151, 0x10000, v144
	s_delay_alu instid0(VALU_DEP_2) | instskip(NEXT) | instid1(VALU_DEP_2)
	v_cmp_eq_u32_e32 vcc_lo, 0, v142
	v_cndmask_b32_e32 v142, v151, v144, vcc_lo
; %bb.20:
	s_or_b32 exec_lo, exec_lo, s4
	v_and_b32_e32 v144, 0x7f800000, v153
	s_delay_alu instid0(VALU_DEP_1) | instskip(SKIP_1) | instid1(SALU_CYCLE_1)
	v_cmp_ne_u32_e32 vcc_lo, 0x7f800000, v144
                                        ; implicit-def: $vgpr144
	s_and_saveexec_b32 s4, vcc_lo
	s_xor_b32 s4, exec_lo, s4
; %bb.21:
	v_bfe_u32 v144, v153, 16, 1
	s_delay_alu instid0(VALU_DEP_1)
	v_add3_u32 v144, v153, v144, 0x7fff
                                        ; implicit-def: $vgpr153
; %bb.22:
	s_and_not1_saveexec_b32 s4, s4
; %bb.23:
	v_and_b32_e32 v144, 0xffff, v153
	v_or_b32_e32 v151, 0x10000, v153
	s_delay_alu instid0(VALU_DEP_2) | instskip(NEXT) | instid1(VALU_DEP_2)
	v_cmp_eq_u32_e32 vcc_lo, 0, v144
	v_cndmask_b32_e32 v144, v151, v153, vcc_lo
; %bb.24:
	s_or_b32 exec_lo, exec_lo, s4
	v_and_b32_e32 v151, 0x7f800000, v154
	s_delay_alu instid0(VALU_DEP_1) | instskip(SKIP_1) | instid1(SALU_CYCLE_1)
	v_cmp_ne_u32_e32 vcc_lo, 0x7f800000, v151
                                        ; implicit-def: $vgpr151
	s_and_saveexec_b32 s4, vcc_lo
	s_xor_b32 s4, exec_lo, s4
; %bb.25:
	v_bfe_u32 v151, v154, 16, 1
	s_delay_alu instid0(VALU_DEP_1)
	v_add3_u32 v151, v154, v151, 0x7fff
                                        ; implicit-def: $vgpr154
; %bb.26:
	s_and_not1_saveexec_b32 s4, s4
; %bb.27:
	v_and_b32_e32 v151, 0xffff, v154
	v_or_b32_e32 v153, 0x10000, v154
	s_delay_alu instid0(VALU_DEP_2) | instskip(NEXT) | instid1(VALU_DEP_2)
	v_cmp_eq_u32_e32 vcc_lo, 0, v151
	v_cndmask_b32_e32 v151, v153, v154, vcc_lo
; %bb.28:
	s_or_b32 exec_lo, exec_lo, s4
	v_and_b32_e32 v153, 0x7f800000, v152
	s_delay_alu instid0(VALU_DEP_1) | instskip(SKIP_1) | instid1(SALU_CYCLE_1)
	v_cmp_ne_u32_e32 vcc_lo, 0x7f800000, v153
                                        ; implicit-def: $vgpr153
	s_and_saveexec_b32 s4, vcc_lo
	s_xor_b32 s4, exec_lo, s4
; %bb.29:
	v_bfe_u32 v153, v152, 16, 1
	s_delay_alu instid0(VALU_DEP_1)
	v_add3_u32 v153, v152, v153, 0x7fff
                                        ; implicit-def: $vgpr152
; %bb.30:
	s_and_not1_saveexec_b32 s4, s4
; %bb.31:
	v_and_b32_e32 v153, 0xffff, v152
	v_or_b32_e32 v154, 0x10000, v152
	s_delay_alu instid0(VALU_DEP_2) | instskip(NEXT) | instid1(VALU_DEP_2)
	v_cmp_eq_u32_e32 vcc_lo, 0, v153
	v_cndmask_b32_e32 v153, v154, v152, vcc_lo
; %bb.32:
	s_or_b32 exec_lo, exec_lo, s4
	v_and_b32_e32 v152, 0x7f800000, v150
	s_delay_alu instid0(VALU_DEP_1) | instskip(SKIP_1) | instid1(SALU_CYCLE_1)
	v_cmp_ne_u32_e32 vcc_lo, 0x7f800000, v152
                                        ; implicit-def: $vgpr152
	s_and_saveexec_b32 s4, vcc_lo
	s_xor_b32 s4, exec_lo, s4
; %bb.33:
	v_bfe_u32 v152, v150, 16, 1
	s_delay_alu instid0(VALU_DEP_1)
	v_add3_u32 v152, v150, v152, 0x7fff
                                        ; implicit-def: $vgpr150
; %bb.34:
	s_and_not1_saveexec_b32 s4, s4
; %bb.35:
	v_and_b32_e32 v152, 0xffff, v150
	v_or_b32_e32 v154, 0x10000, v150
	s_delay_alu instid0(VALU_DEP_2) | instskip(NEXT) | instid1(VALU_DEP_2)
	v_cmp_eq_u32_e32 vcc_lo, 0, v152
	v_cndmask_b32_e32 v152, v154, v150, vcc_lo
; %bb.36:
	s_or_b32 exec_lo, exec_lo, s4
	v_and_b32_e32 v150, 0x7f800000, v143
	s_delay_alu instid0(VALU_DEP_1) | instskip(SKIP_1) | instid1(SALU_CYCLE_1)
	v_cmp_ne_u32_e32 vcc_lo, 0x7f800000, v150
                                        ; implicit-def: $vgpr150
	s_and_saveexec_b32 s4, vcc_lo
	s_xor_b32 s4, exec_lo, s4
; %bb.37:
	v_bfe_u32 v150, v143, 16, 1
	s_delay_alu instid0(VALU_DEP_1)
	v_add3_u32 v150, v143, v150, 0x7fff
                                        ; implicit-def: $vgpr143
; %bb.38:
	s_and_not1_saveexec_b32 s4, s4
; %bb.39:
	v_and_b32_e32 v150, 0xffff, v143
	v_or_b32_e32 v154, 0x10000, v143
	s_delay_alu instid0(VALU_DEP_2) | instskip(NEXT) | instid1(VALU_DEP_2)
	v_cmp_eq_u32_e32 vcc_lo, 0, v150
	v_cndmask_b32_e32 v150, v154, v143, vcc_lo
; %bb.40:
	s_or_b32 exec_lo, exec_lo, s4
	v_and_b32_e32 v143, 0x7f800000, v140
	s_delay_alu instid0(VALU_DEP_1) | instskip(SKIP_1) | instid1(SALU_CYCLE_1)
	v_cmp_ne_u32_e32 vcc_lo, 0x7f800000, v143
                                        ; implicit-def: $vgpr143
	s_and_saveexec_b32 s4, vcc_lo
	s_xor_b32 s4, exec_lo, s4
; %bb.41:
	v_bfe_u32 v143, v140, 16, 1
	s_delay_alu instid0(VALU_DEP_1)
	v_add3_u32 v143, v140, v143, 0x7fff
                                        ; implicit-def: $vgpr140
; %bb.42:
	s_and_not1_saveexec_b32 s4, s4
; %bb.43:
	v_and_b32_e32 v143, 0xffff, v140
	v_or_b32_e32 v154, 0x10000, v140
	s_delay_alu instid0(VALU_DEP_2) | instskip(NEXT) | instid1(VALU_DEP_2)
	v_cmp_eq_u32_e32 vcc_lo, 0, v143
	v_cndmask_b32_e32 v143, v154, v140, vcc_lo
; %bb.44:
	s_or_b32 exec_lo, exec_lo, s4
	s_load_b64 s[36:37], s[0:1], 0x94
	v_dual_mul_f32 v136, v139, v136 :: v_dual_lshlrev_b32 v155, 4, v146
	s_delay_alu instid0(VALU_DEP_2)
	v_perm_b32 v154, v143, v150, 0x7060302
	v_dual_mul_f32 v143, v139, v131 :: v_dual_lshlrev_b32 v140, 6, v148
	v_dual_mul_f32 v135, v139, v135 :: v_dual_lshlrev_b32 v150, 11, v149
	v_perm_b32 v153, v152, v153, 0x7060302
	v_perm_b32 v152, v151, v144, 0x7060302
	;; [unrolled: 1-line block ×3, first 2 shown]
	s_delay_alu instid0(VALU_DEP_4)
	v_or3_b32 v131, v155, v150, v140
	v_mul_f32_e32 v138, v139, v138
	v_dual_mul_f32 v137, v139, v137 :: v_dual_and_b32 v144, 0x7f800000, v143
	v_mul_f32_e32 v141, v139, v134
	v_mul_f32_e32 v142, v139, v133
	;; [unrolled: 1-line block ×3, first 2 shown]
	s_mov_b32 s4, exec_lo
	ds_store_b128 v131, v[151:154]
                                        ; implicit-def: $vgpr132
	v_cmpx_ne_u32_e32 0x7f800000, v144
	s_xor_b32 s4, exec_lo, s4
; %bb.45:
	v_bfe_u32 v132, v143, 16, 1
	s_delay_alu instid0(VALU_DEP_1)
	v_add3_u32 v132, v143, v132, 0x7fff
                                        ; implicit-def: $vgpr143
; %bb.46:
	s_and_not1_saveexec_b32 s4, s4
; %bb.47:
	v_and_b32_e32 v132, 0xffff, v143
	v_or_b32_e32 v133, 0x10000, v143
	s_delay_alu instid0(VALU_DEP_2) | instskip(NEXT) | instid1(VALU_DEP_2)
	v_cmp_eq_u32_e32 vcc_lo, 0, v132
	v_cndmask_b32_e32 v132, v133, v143, vcc_lo
; %bb.48:
	s_or_b32 exec_lo, exec_lo, s4
	v_and_b32_e32 v133, 0x7f800000, v134
	s_delay_alu instid0(VALU_DEP_1) | instskip(SKIP_1) | instid1(SALU_CYCLE_1)
	v_cmp_ne_u32_e32 vcc_lo, 0x7f800000, v133
                                        ; implicit-def: $vgpr133
	s_and_saveexec_b32 s4, vcc_lo
	s_xor_b32 s4, exec_lo, s4
; %bb.49:
	v_bfe_u32 v133, v134, 16, 1
	s_delay_alu instid0(VALU_DEP_1)
	v_add3_u32 v133, v134, v133, 0x7fff
                                        ; implicit-def: $vgpr134
; %bb.50:
	s_and_not1_saveexec_b32 s4, s4
; %bb.51:
	v_and_b32_e32 v133, 0xffff, v134
	v_or_b32_e32 v139, 0x10000, v134
	s_delay_alu instid0(VALU_DEP_2) | instskip(NEXT) | instid1(VALU_DEP_2)
	v_cmp_eq_u32_e32 vcc_lo, 0, v133
	v_cndmask_b32_e32 v133, v139, v134, vcc_lo
; %bb.52:
	s_or_b32 exec_lo, exec_lo, s4
	v_and_b32_e32 v134, 0x7f800000, v142
	s_delay_alu instid0(VALU_DEP_1) | instskip(SKIP_1) | instid1(SALU_CYCLE_1)
	v_cmp_ne_u32_e32 vcc_lo, 0x7f800000, v134
                                        ; implicit-def: $vgpr134
	s_and_saveexec_b32 s4, vcc_lo
	s_xor_b32 s4, exec_lo, s4
; %bb.53:
	v_bfe_u32 v134, v142, 16, 1
	s_delay_alu instid0(VALU_DEP_1)
	v_add3_u32 v134, v142, v134, 0x7fff
                                        ; implicit-def: $vgpr142
; %bb.54:
	s_and_not1_saveexec_b32 s4, s4
; %bb.55:
	v_and_b32_e32 v134, 0xffff, v142
	v_or_b32_e32 v139, 0x10000, v142
	s_delay_alu instid0(VALU_DEP_2) | instskip(NEXT) | instid1(VALU_DEP_2)
	v_cmp_eq_u32_e32 vcc_lo, 0, v134
	v_cndmask_b32_e32 v134, v139, v142, vcc_lo
; %bb.56:
	s_or_b32 exec_lo, exec_lo, s4
	v_and_b32_e32 v139, 0x7f800000, v141
	s_delay_alu instid0(VALU_DEP_1) | instskip(SKIP_1) | instid1(SALU_CYCLE_1)
	v_cmp_ne_u32_e32 vcc_lo, 0x7f800000, v139
                                        ; implicit-def: $vgpr139
	s_and_saveexec_b32 s4, vcc_lo
	s_xor_b32 s4, exec_lo, s4
; %bb.57:
	v_bfe_u32 v139, v141, 16, 1
	s_delay_alu instid0(VALU_DEP_1)
	v_add3_u32 v139, v141, v139, 0x7fff
                                        ; implicit-def: $vgpr141
; %bb.58:
	s_and_not1_saveexec_b32 s4, s4
; %bb.59:
	v_and_b32_e32 v139, 0xffff, v141
	v_or_b32_e32 v142, 0x10000, v141
	s_delay_alu instid0(VALU_DEP_2) | instskip(NEXT) | instid1(VALU_DEP_2)
	v_cmp_eq_u32_e32 vcc_lo, 0, v139
	v_cndmask_b32_e32 v139, v142, v141, vcc_lo
; %bb.60:
	s_or_b32 exec_lo, exec_lo, s4
	v_and_b32_e32 v141, 0x7f800000, v135
	s_delay_alu instid0(VALU_DEP_1) | instskip(SKIP_1) | instid1(SALU_CYCLE_1)
	v_cmp_ne_u32_e32 vcc_lo, 0x7f800000, v141
                                        ; implicit-def: $vgpr141
	s_and_saveexec_b32 s4, vcc_lo
	s_xor_b32 s4, exec_lo, s4
; %bb.61:
	v_bfe_u32 v141, v135, 16, 1
	s_delay_alu instid0(VALU_DEP_1)
	v_add3_u32 v141, v135, v141, 0x7fff
                                        ; implicit-def: $vgpr135
; %bb.62:
	s_and_not1_saveexec_b32 s4, s4
; %bb.63:
	v_and_b32_e32 v141, 0xffff, v135
	v_or_b32_e32 v142, 0x10000, v135
	s_delay_alu instid0(VALU_DEP_2) | instskip(NEXT) | instid1(VALU_DEP_2)
	v_cmp_eq_u32_e32 vcc_lo, 0, v141
	v_cndmask_b32_e32 v141, v142, v135, vcc_lo
; %bb.64:
	s_or_b32 exec_lo, exec_lo, s4
	v_and_b32_e32 v135, 0x7f800000, v136
	s_delay_alu instid0(VALU_DEP_1) | instskip(SKIP_1) | instid1(SALU_CYCLE_1)
	v_cmp_ne_u32_e32 vcc_lo, 0x7f800000, v135
                                        ; implicit-def: $vgpr135
	s_and_saveexec_b32 s4, vcc_lo
	s_xor_b32 s4, exec_lo, s4
; %bb.65:
	v_bfe_u32 v135, v136, 16, 1
	s_delay_alu instid0(VALU_DEP_1)
	v_add3_u32 v135, v136, v135, 0x7fff
                                        ; implicit-def: $vgpr136
; %bb.66:
	s_and_not1_saveexec_b32 s4, s4
; %bb.67:
	v_and_b32_e32 v135, 0xffff, v136
	v_or_b32_e32 v142, 0x10000, v136
	s_delay_alu instid0(VALU_DEP_2) | instskip(NEXT) | instid1(VALU_DEP_2)
	v_cmp_eq_u32_e32 vcc_lo, 0, v135
	v_cndmask_b32_e32 v135, v142, v136, vcc_lo
; %bb.68:
	s_or_b32 exec_lo, exec_lo, s4
	v_and_b32_e32 v136, 0x7f800000, v137
	s_delay_alu instid0(VALU_DEP_1) | instskip(SKIP_1) | instid1(SALU_CYCLE_1)
	v_cmp_ne_u32_e32 vcc_lo, 0x7f800000, v136
                                        ; implicit-def: $vgpr136
	s_and_saveexec_b32 s4, vcc_lo
	s_xor_b32 s4, exec_lo, s4
; %bb.69:
	v_bfe_u32 v136, v137, 16, 1
	s_delay_alu instid0(VALU_DEP_1)
	v_add3_u32 v136, v137, v136, 0x7fff
                                        ; implicit-def: $vgpr137
; %bb.70:
	s_and_not1_saveexec_b32 s4, s4
; %bb.71:
	v_and_b32_e32 v136, 0xffff, v137
	v_or_b32_e32 v142, 0x10000, v137
	s_delay_alu instid0(VALU_DEP_2) | instskip(NEXT) | instid1(VALU_DEP_2)
	v_cmp_eq_u32_e32 vcc_lo, 0, v136
	v_cndmask_b32_e32 v136, v142, v137, vcc_lo
; %bb.72:
	s_or_b32 exec_lo, exec_lo, s4
	v_and_b32_e32 v137, 0x7f800000, v138
	s_delay_alu instid0(VALU_DEP_1) | instskip(SKIP_1) | instid1(SALU_CYCLE_1)
	v_cmp_ne_u32_e32 vcc_lo, 0x7f800000, v137
                                        ; implicit-def: $vgpr137
	s_and_saveexec_b32 s4, vcc_lo
	s_xor_b32 s4, exec_lo, s4
; %bb.73:
	v_bfe_u32 v137, v138, 16, 1
	s_delay_alu instid0(VALU_DEP_1)
	v_add3_u32 v137, v138, v137, 0x7fff
                                        ; implicit-def: $vgpr138
; %bb.74:
	s_and_not1_saveexec_b32 s4, s4
; %bb.75:
	v_and_b32_e32 v137, 0xffff, v138
	v_or_b32_e32 v142, 0x10000, v138
	s_delay_alu instid0(VALU_DEP_2) | instskip(NEXT) | instid1(VALU_DEP_2)
	v_cmp_eq_u32_e32 vcc_lo, 0, v137
	v_cndmask_b32_e32 v137, v142, v138, vcc_lo
; %bb.76:
	s_or_b32 exec_lo, exec_lo, s4
	s_delay_alu instid0(VALU_DEP_1)
	v_perm_b32 v136, v137, v136, 0x7060302
	v_perm_b32 v135, v135, v141, 0x7060302
	;; [unrolled: 1-line block ×4, first 2 shown]
	v_lshl_or_b32 v141, v149, 11, v140
	ds_store_b128 v131, v[133:136] offset:1024
	s_waitcnt lgkmcnt(0)
	s_barrier
	buffer_gl0_inv
	ds_load_b128 v[132:135], v141
	ds_load_b128 v[149:152], v141 offset:16
	s_waitcnt lgkmcnt(1)
	v_lshrrev_b32_e32 v136, 16, v132
	s_waitcnt lgkmcnt(0)
	v_lshrrev_b32_e32 v164, 16, v151
	v_lshlrev_b32_e32 v138, 2, v146
	v_lshrrev_b32_e32 v143, 16, v149
	v_lshrrev_b32_e32 v162, 16, v150
	;; [unrolled: 1-line block ×4, first 2 shown]
	v_or_b32_e32 v139, 1, v138
	v_lshrrev_b32_e32 v165, 16, v152
	v_lshrrev_b32_e32 v163, 16, v135
	s_delay_alu instid0(VALU_DEP_3)
	v_cmp_eq_u32_e64 s8, 1, v139
	v_cmp_eq_u32_e64 s7, 2, v139
	;; [unrolled: 1-line block ×4, first 2 shown]
	v_cmp_eq_u32_e32 vcc_lo, 5, v139
	v_cndmask_b32_e64 v155, v149, v143, s8
	v_cndmask_b32_e64 v154, v132, v136, s8
	v_cmp_eq_u32_e64 s5, 6, v139
	v_cmp_eq_u32_e64 s20, 7, v139
	s_delay_alu instid0(VALU_DEP_4) | instskip(NEXT) | instid1(VALU_DEP_4)
	v_cndmask_b32_e64 v155, v155, v150, s7
	v_cndmask_b32_e64 v154, v154, v133, s7
	s_delay_alu instid0(VALU_DEP_2) | instskip(NEXT) | instid1(VALU_DEP_2)
	v_cndmask_b32_e64 v155, v155, v162, s6
	v_cndmask_b32_e64 v154, v154, v144, s6
	s_delay_alu instid0(VALU_DEP_2) | instskip(NEXT) | instid1(VALU_DEP_2)
	v_cndmask_b32_e64 v155, v155, v151, s4
	v_cndmask_b32_e64 v154, v154, v134, s4
	s_delay_alu instid0(VALU_DEP_2)
	v_cndmask_b32_e32 v157, v155, v164, vcc_lo
	v_cmp_eq_u32_e64 s13, 1, v138
	v_cmp_eq_u32_e64 s12, 2, v138
	;; [unrolled: 1-line block ×3, first 2 shown]
	v_or_b32_e32 v137, 2, v138
	v_cmp_eq_u32_e64 s18, 4, v138
	v_cndmask_b32_e64 v153, v149, v143, s13
	v_cndmask_b32_e64 v142, v132, v136, s13
	v_cmp_eq_u32_e64 s15, 5, v138
	v_cmp_eq_u32_e64 s9, 1, v137
	;; [unrolled: 1-line block ×3, first 2 shown]
	v_cndmask_b32_e64 v153, v153, v150, s12
	v_cndmask_b32_e64 v142, v142, v133, s12
	v_cmp_eq_u32_e64 s11, 2, v137
	v_cndmask_b32_e64 v156, v132, v136, s9
	v_cndmask_b32_e32 v154, v154, v161, vcc_lo
	v_cndmask_b32_e64 v153, v153, v162, s17
	v_cndmask_b32_e64 v142, v142, v144, s17
	v_cmp_eq_u32_e64 s10, 7, v138
	v_cndmask_b32_e64 v156, v156, v133, s11
	v_cmp_eq_u32_e64 s19, 3, v137
	v_cndmask_b32_e64 v153, v153, v151, s18
	v_cndmask_b32_e64 v142, v142, v134, s18
	;; [unrolled: 1-line block ×3, first 2 shown]
	v_cmp_eq_u32_e64 s21, 4, v137
	v_cndmask_b32_e64 v156, v156, v144, s19
	v_cndmask_b32_e64 v153, v153, v164, s15
	;; [unrolled: 1-line block ×4, first 2 shown]
	v_cmp_eq_u32_e64 s23, 5, v137
	v_cndmask_b32_e64 v159, v156, v134, s21
	v_cndmask_b32_e64 v153, v153, v152, s16
	v_cndmask_b32_e64 v142, v142, v135, s16
	v_cmp_eq_u32_e64 s26, 6, v137
	v_cmp_eq_u32_e64 s28, 7, v137
	v_cndmask_b32_e64 v169, v159, v161, s23
	v_cndmask_b32_e64 v167, v153, v165, s10
	;; [unrolled: 1-line block ×4, first 2 shown]
	v_or_b32_e32 v142, 3, v138
	s_delay_alu instid0(VALU_DEP_3)
	v_cndmask_b32_e64 v158, v153, v150, s11
	ds_load_b128 v[153:156], v141 offset:1024
	v_cmp_eq_u32_e64 s22, 1, v142
	v_cmp_eq_u32_e64 s24, 2, v142
	;; [unrolled: 1-line block ×3, first 2 shown]
	v_cndmask_b32_e64 v158, v158, v162, s19
	v_cmp_eq_u32_e64 s27, 4, v142
	v_cndmask_b32_e64 v132, v132, v136, s22
	v_cndmask_b32_e64 v136, v157, v152, s5
	;; [unrolled: 1-line block ×4, first 2 shown]
	ds_load_b128 v[157:160], v141 offset:1040
	v_cndmask_b32_e64 v132, v132, v133, s24
	v_cmp_eq_u32_e64 s29, 5, v142
	v_cndmask_b32_e64 v143, v143, v150, s24
	v_cmp_eq_u32_e64 s30, 6, v142
	v_cndmask_b32_e64 v133, v170, v164, s23
	v_cndmask_b32_e64 v132, v132, v144, s25
	;; [unrolled: 1-line block ×5, first 2 shown]
	s_waitcnt lgkmcnt(1)
	v_lshrrev_b32_e32 v149, 16, v153
	v_cndmask_b32_e64 v132, v132, v134, s27
	v_cndmask_b32_e64 v133, v133, v152, s26
	;; [unrolled: 1-line block ×3, first 2 shown]
	v_lshrrev_b32_e32 v151, 16, v154
	v_cndmask_b32_e64 v143, v153, v149, s13
	v_cndmask_b32_e64 v132, v132, v161, s29
	;; [unrolled: 1-line block ×5, first 2 shown]
	s_waitcnt lgkmcnt(0)
	v_lshrrev_b32_e32 v150, 16, v157
	v_cndmask_b32_e64 v143, v143, v154, s12
	v_cndmask_b32_e64 v132, v132, v135, s30
	;; [unrolled: 1-line block ×3, first 2 shown]
	v_lshrrev_b32_e32 v164, 16, v159
	v_cndmask_b32_e64 v162, v157, v150, s13
	v_cndmask_b32_e64 v135, v143, v151, s17
	;; [unrolled: 1-line block ×3, first 2 shown]
	v_lshrrev_b32_e32 v161, 16, v158
	v_cndmask_b32_e64 v133, v133, v165, s28
	v_cndmask_b32_e64 v152, v162, v158, s12
	v_cmp_eq_u32_e64 s12, 7, v142
	v_cndmask_b32_e64 v143, v143, v151, s6
	v_cndmask_b32_e64 v135, v135, v155, s18
	v_lshrrev_b32_e32 v162, 16, v155
	v_cndmask_b32_e64 v152, v152, v161, s17
	v_cndmask_b32_e64 v132, v132, v163, s12
	;; [unrolled: 1-line block ×6, first 2 shown]
	s_delay_alu instid0(VALU_DEP_4) | instskip(NEXT) | instid1(VALU_DEP_4)
	v_perm_b32 v135, v134, v132, 0x5040100
	v_cndmask_b32_e32 v132, v143, v162, vcc_lo
	s_delay_alu instid0(VALU_DEP_4)
	v_cndmask_b32_e64 v143, v163, v156, s16
	v_lshrrev_b32_e32 v163, 16, v156
	v_cndmask_b32_e64 v152, v152, v164, s15
	v_perm_b32 v134, v133, v144, 0x5040100
	v_cndmask_b32_e64 v132, v132, v156, s5
	v_perm_b32 v133, v136, v168, 0x5040100
	v_cndmask_b32_e64 v136, v143, v163, s10
	v_cndmask_b32_e64 v143, v152, v160, s16
	;; [unrolled: 1-line block ×13, first 2 shown]
	v_lshrrev_b32_e32 v144, 16, v160
	v_cndmask_b32_e64 v132, v132, v151, s19
	v_cndmask_b32_e64 v149, v149, v151, s25
	;; [unrolled: 1-line block ×14, first 2 shown]
	v_cndmask_b32_e32 v150, v150, v164, vcc_lo
	v_cndmask_b32_e64 v132, v132, v156, s26
	v_cndmask_b32_e64 v149, v149, v156, s30
	;; [unrolled: 1-line block ×11, first 2 shown]
	v_perm_b32 v132, v167, v166, 0x5040100
	v_perm_b32 v152, v151, v149, 0x5040100
	;; [unrolled: 1-line block ×5, first 2 shown]
	s_mul_i32 s9, s37, 13
	s_mov_b32 s4, exec_lo
	ds_store_b128 v131, v[132:135]
	ds_store_b128 v131, v[149:152] offset:1024
	v_cmpx_gt_u32_e32 13, v0
	s_cbranch_execz .LBB490_78
; %bb.77:
	s_mul_i32 s5, s9, s34
	s_load_b128 s[16:19], s[0:1], 0x58
	v_add3_u32 v133, s5, s31, v148
	s_delay_alu instid0(VALU_DEP_1) | instskip(NEXT) | instid1(VALU_DEP_1)
	v_mad_u64_u32 v[131:132], null, v133, s36, s[14:15]
	v_ashrrev_i32_e32 v132, 31, v131
	s_delay_alu instid0(VALU_DEP_1) | instskip(SKIP_1) | instid1(VALU_DEP_1)
	v_lshlrev_b64 v[131:132], 2, v[131:132]
	s_waitcnt lgkmcnt(0)
	v_add_co_u32 v133, vcc_lo, s18, v131
	s_delay_alu instid0(VALU_DEP_2)
	v_add_co_ci_u32_e32 v134, vcc_lo, s19, v132, vcc_lo
	v_add_co_u32 v131, vcc_lo, s16, v131
	v_add_co_ci_u32_e32 v132, vcc_lo, s17, v132, vcc_lo
	global_store_b32 v[133:134], v129, off
	global_store_b32 v[131:132], v130, off
.LBB490_78:
	s_or_b32 exec_lo, exec_lo, s4
	s_waitcnt lgkmcnt(0)
	s_waitcnt_vscnt null, 0x0
	s_barrier
	buffer_gl0_inv
	ds_load_b128 v[148:151], v140
	ds_load_b128 v[152:155], v140 offset:16
	ds_load_b128 v[160:163], v140 offset:1040
	;; [unrolled: 1-line block ×3, first 2 shown]
	v_mov_b32_e32 v129, 0
	ds_load_b128 v[168:171], v140 offset:2064
	ds_load_b128 v[164:167], v140 offset:2048
	;; [unrolled: 1-line block ×6, first 2 shown]
	v_mov_b32_e32 v130, v129
	v_mov_b32_e32 v131, v129
	;; [unrolled: 1-line block ×7, first 2 shown]
	s_waitcnt lgkmcnt(8)
	s_delay_alu instid0(VALU_DEP_1)
	v_wmma_f32_16x16x16_bf16 v[129:136], v[121:128], v[148:155], v[129:136]
	ds_load_b128 v[125:128], v140 offset:5136
	ds_load_b128 v[121:124], v140 offset:5120
	s_waitcnt lgkmcnt(8)
	v_wmma_f32_16x16x16_bf16 v[129:136], v[113:120], v[156:163], v[129:136]
	ds_load_b128 v[117:120], v140 offset:6160
	ds_load_b128 v[113:116], v140 offset:6144
	s_waitcnt lgkmcnt(8)
	;; [unrolled: 4-line block ×8, first 2 shown]
	v_wmma_f32_16x16x16_bf16 v[129:136], v[65:72], v[97:104], v[129:136]
	s_waitcnt lgkmcnt(6)
	s_delay_alu instid0(VALU_DEP_1)
	v_wmma_f32_16x16x16_bf16 v[129:136], v[49:56], v[89:96], v[129:136]
	ds_load_b128 v[53:56], v140 offset:13328
	ds_load_b128 v[49:52], v140 offset:13312
	s_waitcnt lgkmcnt(6)
	v_wmma_f32_16x16x16_bf16 v[129:136], v[41:48], v[81:88], v[129:136]
	ds_load_b128 v[45:48], v140 offset:14352
	ds_load_b128 v[41:44], v140 offset:14336
	s_waitcnt lgkmcnt(6)
	;; [unrolled: 4-line block ×3, first 2 shown]
	v_wmma_f32_16x16x16_bf16 v[129:136], v[1:8], v[57:64], v[129:136]
	s_waitcnt lgkmcnt(4)
	s_delay_alu instid0(VALU_DEP_1) | instskip(SKIP_1) | instid1(VALU_DEP_1)
	v_wmma_f32_16x16x16_bf16 v[129:136], v[25:32], v[49:56], v[129:136]
	s_waitcnt lgkmcnt(2)
	v_wmma_f32_16x16x16_bf16 v[129:136], v[33:40], v[41:48], v[129:136]
	s_waitcnt lgkmcnt(0)
	s_delay_alu instid0(VALU_DEP_1) | instskip(NEXT) | instid1(VALU_DEP_1)
	v_wmma_f32_16x16x16_bf16 v[129:136], v[9:16], v[17:24], v[129:136]
	v_and_b32_e32 v1, 0x7f800000, v129
	s_delay_alu instid0(VALU_DEP_1) | instskip(SKIP_1) | instid1(SALU_CYCLE_1)
	v_cmp_ne_u32_e32 vcc_lo, 0x7f800000, v1
                                        ; implicit-def: $vgpr1
	s_and_saveexec_b32 s4, vcc_lo
	s_xor_b32 s4, exec_lo, s4
; %bb.79:
	v_bfe_u32 v1, v129, 16, 1
	s_delay_alu instid0(VALU_DEP_1)
	v_add3_u32 v1, v129, v1, 0x7fff
; %bb.80:
	s_and_not1_saveexec_b32 s4, s4
; %bb.81:
	v_and_b32_e32 v1, 0xffff, v129
	v_or_b32_e32 v2, 0x10000, v129
	s_delay_alu instid0(VALU_DEP_2) | instskip(NEXT) | instid1(VALU_DEP_2)
	v_cmp_eq_u32_e32 vcc_lo, 0, v1
	v_cndmask_b32_e32 v1, v2, v129, vcc_lo
; %bb.82:
	s_or_b32 exec_lo, exec_lo, s4
	v_and_b32_e32 v2, 0x7f800000, v130
	s_delay_alu instid0(VALU_DEP_1) | instskip(SKIP_1) | instid1(SALU_CYCLE_1)
	v_cmp_ne_u32_e32 vcc_lo, 0x7f800000, v2
                                        ; implicit-def: $vgpr2
	s_and_saveexec_b32 s4, vcc_lo
	s_xor_b32 s4, exec_lo, s4
; %bb.83:
	v_bfe_u32 v2, v130, 16, 1
	s_delay_alu instid0(VALU_DEP_1)
	v_add3_u32 v2, v130, v2, 0x7fff
; %bb.84:
	s_and_not1_saveexec_b32 s4, s4
; %bb.85:
	v_and_b32_e32 v2, 0xffff, v130
	v_or_b32_e32 v3, 0x10000, v130
	s_delay_alu instid0(VALU_DEP_2) | instskip(NEXT) | instid1(VALU_DEP_2)
	v_cmp_eq_u32_e32 vcc_lo, 0, v2
	v_cndmask_b32_e32 v2, v3, v130, vcc_lo
; %bb.86:
	s_or_b32 exec_lo, exec_lo, s4
	v_and_b32_e32 v3, 0x7f800000, v131
	s_delay_alu instid0(VALU_DEP_1) | instskip(SKIP_1) | instid1(SALU_CYCLE_1)
	v_cmp_ne_u32_e32 vcc_lo, 0x7f800000, v3
                                        ; implicit-def: $vgpr3
	s_and_saveexec_b32 s4, vcc_lo
	s_xor_b32 s4, exec_lo, s4
; %bb.87:
	v_bfe_u32 v3, v131, 16, 1
	s_delay_alu instid0(VALU_DEP_1)
	v_add3_u32 v3, v131, v3, 0x7fff
; %bb.88:
	s_and_not1_saveexec_b32 s4, s4
; %bb.89:
	v_and_b32_e32 v3, 0xffff, v131
	v_or_b32_e32 v4, 0x10000, v131
	s_delay_alu instid0(VALU_DEP_2) | instskip(NEXT) | instid1(VALU_DEP_2)
	v_cmp_eq_u32_e32 vcc_lo, 0, v3
	v_cndmask_b32_e32 v3, v4, v131, vcc_lo
; %bb.90:
	s_or_b32 exec_lo, exec_lo, s4
	v_and_b32_e32 v4, 0x7f800000, v132
	s_delay_alu instid0(VALU_DEP_1) | instskip(SKIP_1) | instid1(SALU_CYCLE_1)
	v_cmp_ne_u32_e32 vcc_lo, 0x7f800000, v4
                                        ; implicit-def: $vgpr4
	s_and_saveexec_b32 s4, vcc_lo
	s_xor_b32 s4, exec_lo, s4
; %bb.91:
	v_bfe_u32 v4, v132, 16, 1
	s_delay_alu instid0(VALU_DEP_1)
	v_add3_u32 v4, v132, v4, 0x7fff
; %bb.92:
	s_and_not1_saveexec_b32 s4, s4
; %bb.93:
	v_and_b32_e32 v4, 0xffff, v132
	v_or_b32_e32 v5, 0x10000, v132
	s_delay_alu instid0(VALU_DEP_2) | instskip(NEXT) | instid1(VALU_DEP_2)
	v_cmp_eq_u32_e32 vcc_lo, 0, v4
	v_cndmask_b32_e32 v4, v5, v132, vcc_lo
; %bb.94:
	s_or_b32 exec_lo, exec_lo, s4
	v_and_b32_e32 v5, 0x7f800000, v133
	s_delay_alu instid0(VALU_DEP_1) | instskip(SKIP_1) | instid1(SALU_CYCLE_1)
	v_cmp_ne_u32_e32 vcc_lo, 0x7f800000, v5
                                        ; implicit-def: $vgpr5
	s_and_saveexec_b32 s4, vcc_lo
	s_xor_b32 s4, exec_lo, s4
; %bb.95:
	v_bfe_u32 v5, v133, 16, 1
	s_delay_alu instid0(VALU_DEP_1)
	v_add3_u32 v5, v133, v5, 0x7fff
; %bb.96:
	s_and_not1_saveexec_b32 s4, s4
; %bb.97:
	v_and_b32_e32 v5, 0xffff, v133
	v_or_b32_e32 v6, 0x10000, v133
	s_delay_alu instid0(VALU_DEP_2) | instskip(NEXT) | instid1(VALU_DEP_2)
	v_cmp_eq_u32_e32 vcc_lo, 0, v5
	v_cndmask_b32_e32 v5, v6, v133, vcc_lo
; %bb.98:
	s_or_b32 exec_lo, exec_lo, s4
	v_and_b32_e32 v6, 0x7f800000, v134
	s_delay_alu instid0(VALU_DEP_1) | instskip(SKIP_1) | instid1(SALU_CYCLE_1)
	v_cmp_ne_u32_e32 vcc_lo, 0x7f800000, v6
                                        ; implicit-def: $vgpr6
	s_and_saveexec_b32 s4, vcc_lo
	s_xor_b32 s4, exec_lo, s4
; %bb.99:
	v_bfe_u32 v6, v134, 16, 1
	s_delay_alu instid0(VALU_DEP_1)
	v_add3_u32 v6, v134, v6, 0x7fff
; %bb.100:
	s_and_not1_saveexec_b32 s4, s4
; %bb.101:
	v_and_b32_e32 v6, 0xffff, v134
	v_or_b32_e32 v7, 0x10000, v134
	s_delay_alu instid0(VALU_DEP_2) | instskip(NEXT) | instid1(VALU_DEP_2)
	v_cmp_eq_u32_e32 vcc_lo, 0, v6
	v_cndmask_b32_e32 v6, v7, v134, vcc_lo
; %bb.102:
	s_or_b32 exec_lo, exec_lo, s4
	v_and_b32_e32 v7, 0x7f800000, v135
	s_delay_alu instid0(VALU_DEP_1) | instskip(SKIP_1) | instid1(SALU_CYCLE_1)
	v_cmp_ne_u32_e32 vcc_lo, 0x7f800000, v7
                                        ; implicit-def: $vgpr7
	s_and_saveexec_b32 s4, vcc_lo
	s_xor_b32 s4, exec_lo, s4
; %bb.103:
	v_bfe_u32 v7, v135, 16, 1
	s_delay_alu instid0(VALU_DEP_1)
	v_add3_u32 v7, v135, v7, 0x7fff
; %bb.104:
	s_and_not1_saveexec_b32 s4, s4
; %bb.105:
	v_and_b32_e32 v7, 0xffff, v135
	v_or_b32_e32 v8, 0x10000, v135
	s_delay_alu instid0(VALU_DEP_2) | instskip(NEXT) | instid1(VALU_DEP_2)
	v_cmp_eq_u32_e32 vcc_lo, 0, v7
	v_cndmask_b32_e32 v7, v8, v135, vcc_lo
; %bb.106:
	s_or_b32 exec_lo, exec_lo, s4
	v_and_b32_e32 v8, 0x7f800000, v136
	s_delay_alu instid0(VALU_DEP_1) | instskip(SKIP_1) | instid1(SALU_CYCLE_1)
	v_cmp_ne_u32_e32 vcc_lo, 0x7f800000, v8
                                        ; implicit-def: $vgpr8
	s_and_saveexec_b32 s4, vcc_lo
	s_xor_b32 s4, exec_lo, s4
; %bb.107:
	v_bfe_u32 v8, v136, 16, 1
	s_delay_alu instid0(VALU_DEP_1)
	v_add3_u32 v8, v136, v8, 0x7fff
                                        ; implicit-def: $vgpr129_vgpr130_vgpr131_vgpr132_vgpr133_vgpr134_vgpr135_vgpr136
; %bb.108:
	s_and_not1_saveexec_b32 s4, s4
; %bb.109:
	v_and_b32_e32 v8, 0xffff, v136
	v_or_b32_e32 v9, 0x10000, v136
	s_delay_alu instid0(VALU_DEP_2) | instskip(NEXT) | instid1(VALU_DEP_2)
	v_cmp_eq_u32_e32 vcc_lo, 0, v8
	v_cndmask_b32_e32 v8, v9, v136, vcc_lo
; %bb.110:
	s_or_b32 exec_lo, exec_lo, s4
	s_delay_alu instid0(VALU_DEP_1)
	v_perm_b32 v7, v8, v7, 0x7060302
	v_perm_b32 v6, v6, v5, 0x7060302
	;; [unrolled: 1-line block ×4, first 2 shown]
	v_lshl_or_b32 v9, v146, 4, v141
	s_barrier
	buffer_gl0_inv
	v_cmp_eq_u32_e32 vcc_lo, 1, v138
	ds_store_b128 v9, v[4:7]
	s_waitcnt lgkmcnt(0)
	s_barrier
	buffer_gl0_inv
	ds_load_b128 v[1:4], v141
	ds_load_b128 v[5:8], v141 offset:16
	v_cmp_eq_u32_e64 s5, 2, v138
	v_cmp_eq_u32_e64 s4, 1, v139
	;; [unrolled: 1-line block ×5, first 2 shown]
	s_waitcnt lgkmcnt(1)
	v_lshrrev_b32_e32 v10, 16, v1
	s_waitcnt lgkmcnt(0)
	v_lshrrev_b32_e32 v14, 16, v5
	v_lshrrev_b32_e32 v15, 16, v6
	;; [unrolled: 1-line block ×4, first 2 shown]
	v_cndmask_b32_e64 v20, v1, v10, s4
	v_cndmask_b32_e32 v19, v5, v14, vcc_lo
	v_cndmask_b32_e64 v21, v5, v14, s4
	v_lshrrev_b32_e32 v16, 16, v7
	v_cmp_eq_u32_e64 s4, 1, v137
	v_lshrrev_b32_e32 v13, 16, v4
	v_cndmask_b32_e64 v19, v19, v6, s5
	v_lshrrev_b32_e32 v17, 16, v8
	s_delay_alu instid0(VALU_DEP_4) | instskip(SKIP_1) | instid1(VALU_DEP_4)
	v_cndmask_b32_e64 v22, v1, v10, s4
	v_cndmask_b32_e64 v23, v5, v14, s4
	;; [unrolled: 1-line block ×3, first 2 shown]
	v_cndmask_b32_e32 v18, v1, v10, vcc_lo
	v_cmp_eq_u32_e32 vcc_lo, 2, v139
	v_cmp_eq_u32_e64 s4, 2, v142
	v_cndmask_b32_e64 v22, v22, v2, s8
	v_cndmask_b32_e32 v20, v20, v2, vcc_lo
	v_cndmask_b32_e32 v21, v21, v6, vcc_lo
	v_cmp_eq_u32_e32 vcc_lo, 4, v138
	v_cndmask_b32_e32 v19, v19, v7, vcc_lo
	v_cndmask_b32_e64 v18, v18, v2, s5
	v_cmp_eq_u32_e64 s5, 3, v139
	s_delay_alu instid0(VALU_DEP_2) | instskip(NEXT) | instid1(VALU_DEP_2)
	v_cndmask_b32_e64 v18, v18, v11, s6
	v_cndmask_b32_e64 v21, v21, v15, s5
	v_cmp_eq_u32_e64 s6, 5, v138
	s_delay_alu instid0(VALU_DEP_3) | instskip(SKIP_1) | instid1(VALU_DEP_3)
	v_cndmask_b32_e32 v18, v18, v3, vcc_lo
	v_cmp_eq_u32_e32 vcc_lo, 4, v139
	v_cndmask_b32_e64 v19, v19, v16, s6
	s_delay_alu instid0(VALU_DEP_3) | instskip(SKIP_4) | instid1(VALU_DEP_3)
	v_cndmask_b32_e64 v18, v18, v12, s6
	v_cndmask_b32_e32 v21, v21, v7, vcc_lo
	v_cndmask_b32_e64 v20, v20, v11, s5
	v_cmp_eq_u32_e64 s5, 5, v139
	v_cmp_eq_u32_e64 s6, 6, v138
	v_cndmask_b32_e32 v20, v20, v3, vcc_lo
	s_delay_alu instid0(VALU_DEP_3) | instskip(SKIP_1) | instid1(VALU_DEP_4)
	v_cndmask_b32_e64 v21, v21, v16, s5
	v_cmp_eq_u32_e32 vcc_lo, 6, v139
	v_cndmask_b32_e64 v18, v18, v4, s6
	v_cndmask_b32_e64 v19, v19, v8, s6
	;; [unrolled: 1-line block ×3, first 2 shown]
	v_cmp_eq_u32_e64 s5, 1, v142
	v_cmp_eq_u32_e64 s6, 7, v138
	s_delay_alu instid0(VALU_DEP_3) | instskip(NEXT) | instid1(VALU_DEP_3)
	v_cndmask_b32_e32 v20, v20, v4, vcc_lo
	v_cndmask_b32_e64 v1, v1, v10, s5
	v_cndmask_b32_e64 v5, v5, v14, s5
	v_cmp_eq_u32_e64 s5, 3, v137
	v_cndmask_b32_e64 v14, v23, v6, s8
	v_cmp_eq_u32_e64 s8, 3, v142
	v_cndmask_b32_e64 v1, v1, v2, s4
	v_cndmask_b32_e64 v2, v5, v6, s4
	;; [unrolled: 1-line block ×3, first 2 shown]
	v_cmp_eq_u32_e64 s4, 4, v137
	v_cndmask_b32_e64 v6, v14, v15, s5
	v_cndmask_b32_e64 v1, v1, v11, s8
	v_cmp_eq_u32_e64 s5, 4, v142
	v_cndmask_b32_e64 v2, v2, v15, s8
	v_cndmask_b32_e64 v5, v10, v3, s4
	;; [unrolled: 3-line block ×3, first 2 shown]
	v_cndmask_b32_e64 v2, v2, v7, s5
	v_cmp_eq_u32_e64 s4, 5, v142
	v_cndmask_b32_e64 v5, v5, v12, s8
	v_cmp_eq_u32_e64 s5, 6, v137
	v_cndmask_b32_e64 v3, v6, v16, s8
	v_cmp_eq_u32_e64 s8, 6, v142
	v_cndmask_b32_e64 v1, v1, v12, s4
	v_cndmask_b32_e64 v2, v2, v16, s4
	;; [unrolled: 1-line block ×4, first 2 shown]
	v_cmp_eq_u32_e64 s4, 7, v142
	v_cndmask_b32_e64 v1, v1, v4, s8
	v_cndmask_b32_e64 v2, v2, v8, s8
	v_cmp_eq_u32_e64 s5, 7, v137
	v_cndmask_b32_e32 v4, v21, v8, vcc_lo
	v_cndmask_b32_e64 v18, v18, v13, s6
	v_cndmask_b32_e64 v20, v20, v13, s7
	;; [unrolled: 1-line block ×8, first 2 shown]
	v_cmp_gt_u32_e32 vcc_lo, 32, v0
	v_perm_b32 v4, v2, v1, 0x5040100
	v_perm_b32 v3, v3, v5, 0x5040100
	;; [unrolled: 1-line block ×4, first 2 shown]
	s_and_b32 s2, vcc_lo, s2
	ds_store_b128 v9, v[1:4]
	s_waitcnt lgkmcnt(0)
	s_barrier
	buffer_gl0_inv
	s_and_saveexec_b32 s4, s2
	s_cbranch_execz .LBB490_2
; %bb.111:
	s_load_b64 s[4:5], s[0:1], 0x68
	v_lshlrev_b32_e32 v0, 10, v0
	v_lshlrev_b32_e32 v1, 4, v147
	s_lshl_b32 s0, s36, 6
	v_add_nc_u32_e32 v18, s31, v146
	s_mul_i32 s1, s0, s34
	s_delay_alu instid0(VALU_DEP_2) | instskip(SKIP_1) | instid1(VALU_DEP_2)
	v_and_or_b32 v0, 0x3800, v0, v1
	s_mul_i32 s6, s1, s9
	v_mul_lo_u32 v1, v18, s0
	s_ashr_i32 s7, s6, 31
	v_add_nc_u32_e32 v2, 2, v18
	v_lshl_or_b32 v19, v146, 6, v0
	s_lshl_b64 s[6:7], s[6:7], 1
	v_add_nc_u32_e32 v8, 4, v18
	v_add_nc_u32_e32 v15, 6, v18
	v_mul_lo_u32 v7, v2, s0
	ds_load_b128 v[3:6], v19
	v_ashrrev_i32_e32 v2, 31, v1
	v_mul_lo_u32 v11, v8, s0
	s_waitcnt lgkmcnt(0)
	s_add_u32 s1, s4, s6
	s_addc_u32 s2, s5, s7
	s_lshl_b32 s4, s14, 6
	v_lshlrev_b64 v[9:10], 1, v[1:2]
	s_ashr_i32 s5, s4, 31
	v_ashrrev_i32_e32 v8, 31, v7
	s_lshl_b64 s[4:5], s[4:5], 1
	v_ashrrev_i32_e32 v12, 31, v11
	s_add_u32 s1, s1, s4
	s_addc_u32 s2, s2, s5
	v_add_co_u32 v1, s1, s1, v145
	s_delay_alu instid0(VALU_DEP_1) | instskip(SKIP_1) | instid1(VALU_DEP_3)
	v_add_co_ci_u32_e64 v2, null, s2, 0, s1
	v_mul_lo_u32 v15, v15, s0
	v_add_co_u32 v13, vcc_lo, v1, v9
	s_delay_alu instid0(VALU_DEP_3)
	v_add_co_ci_u32_e32 v14, vcc_lo, v2, v10, vcc_lo
	v_lshlrev_b64 v[16:17], 1, v[7:8]
	ds_load_b128 v[7:10], v19 offset:128
	global_store_b128 v[13:14], v[3:6], off
	v_add_nc_u32_e32 v5, 8, v18
	v_lshlrev_b64 v[3:4], 1, v[11:12]
	v_add_co_u32 v23, vcc_lo, v1, v16
	v_ashrrev_i32_e32 v16, 31, v15
	s_delay_alu instid0(VALU_DEP_4) | instskip(SKIP_3) | instid1(VALU_DEP_3)
	v_mul_lo_u32 v25, v5, s0
	v_add_nc_u32_e32 v5, 10, v18
	v_add_co_ci_u32_e32 v24, vcc_lo, v2, v17, vcc_lo
	v_add_co_u32 v27, vcc_lo, v1, v3
	v_mul_lo_u32 v29, v5, s0
	v_add_co_ci_u32_e32 v28, vcc_lo, v2, v4, vcc_lo
	v_lshlrev_b64 v[31:32], 1, v[15:16]
	ds_load_b128 v[3:6], v19 offset:256
	ds_load_b128 v[11:14], v19 offset:384
	;; [unrolled: 1-line block ×4, first 2 shown]
	v_ashrrev_i32_e32 v26, 31, v25
	v_ashrrev_i32_e32 v30, 31, v29
	v_add_co_u32 v31, vcc_lo, v1, v31
	s_delay_alu instid0(VALU_DEP_3) | instskip(SKIP_1) | instid1(VALU_DEP_4)
	v_lshlrev_b64 v[25:26], 1, v[25:26]
	v_add_co_ci_u32_e32 v32, vcc_lo, v2, v32, vcc_lo
	v_lshlrev_b64 v[29:30], 1, v[29:30]
	s_delay_alu instid0(VALU_DEP_3) | instskip(NEXT) | instid1(VALU_DEP_4)
	v_add_co_u32 v25, vcc_lo, v1, v25
	v_add_co_ci_u32_e32 v26, vcc_lo, v2, v26, vcc_lo
	s_delay_alu instid0(VALU_DEP_3) | instskip(NEXT) | instid1(VALU_DEP_4)
	v_add_co_u32 v29, vcc_lo, v1, v29
	v_add_co_ci_u32_e32 v30, vcc_lo, v2, v30, vcc_lo
	s_waitcnt lgkmcnt(4)
	global_store_b128 v[23:24], v[7:10], off
	s_waitcnt lgkmcnt(3)
	global_store_b128 v[27:28], v[3:6], off
	;; [unrolled: 2-line block ×5, first 2 shown]
	s_and_b32 exec_lo, exec_lo, s3
	s_cbranch_execz .LBB490_2
; %bb.112:
	ds_load_b128 v[3:6], v0 offset:768
	s_add_i32 s1, s31, 12
	s_delay_alu instid0(SALU_CYCLE_1) | instskip(NEXT) | instid1(SALU_CYCLE_1)
	s_mul_i32 s0, s1, s0
	s_ashr_i32 s1, s0, 31
	s_delay_alu instid0(SALU_CYCLE_1) | instskip(NEXT) | instid1(SALU_CYCLE_1)
	s_lshl_b64 s[0:1], s[0:1], 1
	v_add_co_u32 v0, vcc_lo, v1, s0
	v_add_co_ci_u32_e32 v1, vcc_lo, s1, v2, vcc_lo
	s_waitcnt lgkmcnt(0)
	global_store_b128 v[0:1], v[3:6], off
	s_nop 0
	s_sendmsg sendmsg(MSG_DEALLOC_VGPRS)
	s_endpgm
	.section	.rodata,"a",@progbits
	.p2align	6, 0x0
	.amdhsa_kernel _Z39paged_attention_ll4mi_QKV_mfma16_kernelI14__hip_bfloat16S0_LN4vllm18Fp8KVCacheDataTypeE0ES0_Li16ELi64ELi256ELb0ELi13EL8MFMAType0EEvPKT_PKT0_S9_ifPKiSB_SB_iPKfiiiPfSE_PS4_PT2_iSD_SD_
		.amdhsa_group_segment_fixed_size 17472
		.amdhsa_private_segment_fixed_size 0
		.amdhsa_kernarg_size 400
		.amdhsa_user_sgpr_count 13
		.amdhsa_user_sgpr_dispatch_ptr 0
		.amdhsa_user_sgpr_queue_ptr 0
		.amdhsa_user_sgpr_kernarg_segment_ptr 1
		.amdhsa_user_sgpr_dispatch_id 0
		.amdhsa_user_sgpr_private_segment_size 0
		.amdhsa_wavefront_size32 1
		.amdhsa_uses_dynamic_stack 0
		.amdhsa_enable_private_segment 0
		.amdhsa_system_sgpr_workgroup_id_x 1
		.amdhsa_system_sgpr_workgroup_id_y 1
		.amdhsa_system_sgpr_workgroup_id_z 1
		.amdhsa_system_sgpr_workgroup_info 0
		.amdhsa_system_vgpr_workitem_id 0
		.amdhsa_next_free_vgpr 198
		.amdhsa_next_free_sgpr 52
		.amdhsa_reserve_vcc 1
		.amdhsa_float_round_mode_32 0
		.amdhsa_float_round_mode_16_64 0
		.amdhsa_float_denorm_mode_32 3
		.amdhsa_float_denorm_mode_16_64 3
		.amdhsa_dx10_clamp 1
		.amdhsa_ieee_mode 1
		.amdhsa_fp16_overflow 0
		.amdhsa_workgroup_processor_mode 1
		.amdhsa_memory_ordered 1
		.amdhsa_forward_progress 0
		.amdhsa_shared_vgpr_count 0
		.amdhsa_exception_fp_ieee_invalid_op 0
		.amdhsa_exception_fp_denorm_src 0
		.amdhsa_exception_fp_ieee_div_zero 0
		.amdhsa_exception_fp_ieee_overflow 0
		.amdhsa_exception_fp_ieee_underflow 0
		.amdhsa_exception_fp_ieee_inexact 0
		.amdhsa_exception_int_div_zero 0
	.end_amdhsa_kernel
	.section	.text._Z39paged_attention_ll4mi_QKV_mfma16_kernelI14__hip_bfloat16S0_LN4vllm18Fp8KVCacheDataTypeE0ES0_Li16ELi64ELi256ELb0ELi13EL8MFMAType0EEvPKT_PKT0_S9_ifPKiSB_SB_iPKfiiiPfSE_PS4_PT2_iSD_SD_,"axG",@progbits,_Z39paged_attention_ll4mi_QKV_mfma16_kernelI14__hip_bfloat16S0_LN4vllm18Fp8KVCacheDataTypeE0ES0_Li16ELi64ELi256ELb0ELi13EL8MFMAType0EEvPKT_PKT0_S9_ifPKiSB_SB_iPKfiiiPfSE_PS4_PT2_iSD_SD_,comdat
.Lfunc_end490:
	.size	_Z39paged_attention_ll4mi_QKV_mfma16_kernelI14__hip_bfloat16S0_LN4vllm18Fp8KVCacheDataTypeE0ES0_Li16ELi64ELi256ELb0ELi13EL8MFMAType0EEvPKT_PKT0_S9_ifPKiSB_SB_iPKfiiiPfSE_PS4_PT2_iSD_SD_, .Lfunc_end490-_Z39paged_attention_ll4mi_QKV_mfma16_kernelI14__hip_bfloat16S0_LN4vllm18Fp8KVCacheDataTypeE0ES0_Li16ELi64ELi256ELb0ELi13EL8MFMAType0EEvPKT_PKT0_S9_ifPKiSB_SB_iPKfiiiPfSE_PS4_PT2_iSD_SD_
                                        ; -- End function
	.section	.AMDGPU.csdata,"",@progbits
; Kernel info:
; codeLenInByte = 10268
; NumSgprs: 54
; NumVgprs: 198
; ScratchSize: 0
; MemoryBound: 0
; FloatMode: 240
; IeeeMode: 1
; LDSByteSize: 17472 bytes/workgroup (compile time only)
; SGPRBlocks: 6
; VGPRBlocks: 24
; NumSGPRsForWavesPerEU: 54
; NumVGPRsForWavesPerEU: 198
; Occupancy: 7
; WaveLimiterHint : 1
; COMPUTE_PGM_RSRC2:SCRATCH_EN: 0
; COMPUTE_PGM_RSRC2:USER_SGPR: 13
; COMPUTE_PGM_RSRC2:TRAP_HANDLER: 0
; COMPUTE_PGM_RSRC2:TGID_X_EN: 1
; COMPUTE_PGM_RSRC2:TGID_Y_EN: 1
; COMPUTE_PGM_RSRC2:TGID_Z_EN: 1
; COMPUTE_PGM_RSRC2:TIDIG_COMP_CNT: 0
	.section	.text._Z39paged_attention_ll4mi_QKV_mfma16_kernelI14__hip_bfloat16S0_LN4vllm18Fp8KVCacheDataTypeE0ES0_Li16ELi64ELi256ELb0ELi14EL8MFMAType0EEvPKT_PKT0_S9_ifPKiSB_SB_iPKfiiiPfSE_PS4_PT2_iSD_SD_,"axG",@progbits,_Z39paged_attention_ll4mi_QKV_mfma16_kernelI14__hip_bfloat16S0_LN4vllm18Fp8KVCacheDataTypeE0ES0_Li16ELi64ELi256ELb0ELi14EL8MFMAType0EEvPKT_PKT0_S9_ifPKiSB_SB_iPKfiiiPfSE_PS4_PT2_iSD_SD_,comdat
	.protected	_Z39paged_attention_ll4mi_QKV_mfma16_kernelI14__hip_bfloat16S0_LN4vllm18Fp8KVCacheDataTypeE0ES0_Li16ELi64ELi256ELb0ELi14EL8MFMAType0EEvPKT_PKT0_S9_ifPKiSB_SB_iPKfiiiPfSE_PS4_PT2_iSD_SD_ ; -- Begin function _Z39paged_attention_ll4mi_QKV_mfma16_kernelI14__hip_bfloat16S0_LN4vllm18Fp8KVCacheDataTypeE0ES0_Li16ELi64ELi256ELb0ELi14EL8MFMAType0EEvPKT_PKT0_S9_ifPKiSB_SB_iPKfiiiPfSE_PS4_PT2_iSD_SD_
	.globl	_Z39paged_attention_ll4mi_QKV_mfma16_kernelI14__hip_bfloat16S0_LN4vllm18Fp8KVCacheDataTypeE0ES0_Li16ELi64ELi256ELb0ELi14EL8MFMAType0EEvPKT_PKT0_S9_ifPKiSB_SB_iPKfiiiPfSE_PS4_PT2_iSD_SD_
	.p2align	8
	.type	_Z39paged_attention_ll4mi_QKV_mfma16_kernelI14__hip_bfloat16S0_LN4vllm18Fp8KVCacheDataTypeE0ES0_Li16ELi64ELi256ELb0ELi14EL8MFMAType0EEvPKT_PKT0_S9_ifPKiSB_SB_iPKfiiiPfSE_PS4_PT2_iSD_SD_,@function
_Z39paged_attention_ll4mi_QKV_mfma16_kernelI14__hip_bfloat16S0_LN4vllm18Fp8KVCacheDataTypeE0ES0_Li16ELi64ELi256ELb0ELi14EL8MFMAType0EEvPKT_PKT0_S9_ifPKiSB_SB_iPKfiiiPfSE_PS4_PT2_iSD_SD_: ; @_Z39paged_attention_ll4mi_QKV_mfma16_kernelI14__hip_bfloat16S0_LN4vllm18Fp8KVCacheDataTypeE0ES0_Li16ELi64ELi256ELb0ELi14EL8MFMAType0EEvPKT_PKT0_S9_ifPKiSB_SB_iPKfiiiPfSE_PS4_PT2_iSD_SD_
; %bb.0:
	s_load_b64 s[2:3], s[0:1], 0x30
	s_mov_b32 s30, s13
	s_waitcnt lgkmcnt(0)
	s_cmp_lg_u64 s[2:3], 0
	s_cselect_b32 s6, -1, 0
	s_ashr_i32 s31, s13, 31
	s_cmp_eq_u64 s[2:3], 0
	s_cbranch_scc1 .LBB491_3
; %bb.1:
	s_lshl_b64 s[4:5], s[30:31], 2
	s_delay_alu instid0(SALU_CYCLE_1) | instskip(SKIP_4) | instid1(SALU_CYCLE_1)
	s_add_u32 s4, s2, s4
	s_addc_u32 s5, s3, s5
	s_load_b64 s[4:5], s[4:5], 0x0
	s_waitcnt lgkmcnt(0)
	s_sub_i32 s4, s5, s4
	s_cmp_eq_u32 s4, 1
	s_cselect_b32 s4, -1, 0
	s_delay_alu instid0(SALU_CYCLE_1)
	s_and_not1_b32 vcc_lo, exec_lo, s4
	s_cbranch_vccz .LBB491_4
.LBB491_2:
	s_endpgm
.LBB491_3:
.LBB491_4:
	s_load_b64 s[8:9], s[0:1], 0x28
	s_lshl_b64 s[4:5], s[30:31], 2
	s_waitcnt lgkmcnt(0)
	s_add_u32 s8, s8, s4
	s_addc_u32 s9, s9, s5
	s_lshl_b32 s34, s14, 8
	s_load_b32 s33, s[8:9], 0x0
	s_waitcnt lgkmcnt(0)
	s_cmp_ge_i32 s34, s33
	s_cbranch_scc1 .LBB491_2
; %bb.5:
	s_clause 0x1
	s_load_b128 s[8:11], s[0:1], 0x8
	s_load_b64 s[12:13], s[0:1], 0x20
	s_and_not1_b32 vcc_lo, exec_lo, s6
	s_cbranch_vccnz .LBB491_7
; %bb.6:
	s_add_u32 s2, s2, s4
	s_addc_u32 s3, s3, s5
	s_load_b32 s3, s[2:3], 0x0
	s_branch .LBB491_8
.LBB491_7:
	s_mov_b32 s3, s30
.LBB491_8:
	s_load_b128 s[4:7], s[0:1], 0x48
	v_and_b32_e32 v148, 15, v0
	v_cmp_gt_u32_e32 vcc_lo, 0xe0, v0
	v_lshrrev_b32_e32 v149, 5, v0
	v_and_b32_e32 v150, 31, v0
	v_and_b32_e32 v147, 1, v0
	v_lshlrev_b32_e32 v1, 3, v148
	v_cmp_gt_u32_e64 s2, 8, v148
	v_bfe_u32 v146, v0, 4, 1
	s_mul_i32 s31, s15, 14
	s_delay_alu instid0(VALU_DEP_3) | instskip(NEXT) | instid1(VALU_DEP_3)
	v_lshlrev_b32_e32 v145, 1, v1
	s_and_b32 s16, vcc_lo, s2
	s_waitcnt lgkmcnt(0)
	s_and_saveexec_b32 s7, s16
	s_cbranch_execz .LBB491_10
; %bb.9:
	s_load_b64 s[16:17], s[0:1], 0x0
	v_lshl_or_b32 v5, v149, 1, v146
	s_mul_hi_i32 s19, s3, s4
	s_mul_i32 s18, s3, s4
	v_lshlrev_b32_e32 v6, 10, v148
	s_lshl_b64 s[18:19], s[18:19], 1
	v_add_lshl_u32 v1, v5, s31, 6
	v_lshlrev_b32_e32 v5, 6, v5
	v_lshlrev_b32_e32 v7, 10, v147
	v_and_b32_e32 v6, 0x3800, v6
	s_delay_alu instid0(VALU_DEP_4) | instskip(NEXT) | instid1(VALU_DEP_2)
	v_ashrrev_i32_e32 v2, 31, v1
	v_or3_b32 v5, v6, v7, v5
	s_delay_alu instid0(VALU_DEP_2) | instskip(SKIP_3) | instid1(VALU_DEP_1)
	v_lshlrev_b64 v[1:2], 1, v[1:2]
	s_waitcnt lgkmcnt(0)
	s_add_u32 s3, s16, s18
	s_addc_u32 s4, s17, s19
	v_add_co_u32 v1, vcc_lo, s3, v1
	s_delay_alu instid0(VALU_DEP_2) | instskip(NEXT) | instid1(VALU_DEP_2)
	v_add_co_ci_u32_e32 v2, vcc_lo, s4, v2, vcc_lo
	v_add_co_u32 v1, vcc_lo, v1, v145
	s_delay_alu instid0(VALU_DEP_2)
	v_add_co_ci_u32_e32 v2, vcc_lo, 0, v2, vcc_lo
	global_load_b128 v[1:4], v[1:2], off
	s_waitcnt vmcnt(0)
	ds_store_b128 v5, v[1:4]
.LBB491_10:
	s_or_b32 exec_lo, exec_lo, s7
	s_mov_b32 s40, 0
	s_add_i32 s3, s33, 15
	s_mov_b32 s41, s40
	s_mov_b32 s42, s40
	;; [unrolled: 1-line block ×7, first 2 shown]
	s_delay_alu instid0(SALU_CYCLE_1)
	v_dual_mov_b32 v144, s47 :: v_dual_and_b32 v1, 0xef, v0
	v_mov_b32_e32 v142, s45
	s_ashr_i32 s7, s3, 31
	s_clause 0x1
	s_load_b32 s4, s[0:1], 0x38
	s_load_b32 s35, s[0:1], 0x1c
	v_add_nc_u32_e32 v1, s34, v1
	s_lshr_b32 s7, s7, 28
	s_waitcnt lgkmcnt(0)
	s_add_i32 s3, s3, s7
	s_barrier
	v_ashrrev_i32_e32 v2, 31, v1
	v_or_b32_e32 v3, 16, v1
	s_ashr_i32 s3, s3, 4
	v_cmp_gt_i32_e32 vcc_lo, s33, v1
	s_add_i32 s3, s3, -1
	v_lshrrev_b32_e32 v2, 28, v2
	v_mov_b32_e32 v143, s46
	buffer_gl0_inv
	s_mul_i32 s6, s15, s6
	v_add_nc_u32_e32 v21, -14, v148
	v_dual_mov_b32 v141, s44 :: v_dual_add_nc_u32 v4, v1, v2
	v_mov_b32_e32 v139, s42
	s_mul_i32 s16, s30, s4
	v_mov_b32_e32 v137, s40
	s_delay_alu instid0(VALU_DEP_3)
	v_ashrrev_i32_e32 v4, 4, v4
	v_add_nc_u32_e32 v2, v3, v2
	v_lshlrev_b32_e32 v22, 5, v148
	s_ashr_i32 s17, s16, 31
	v_mov_b32_e32 v140, s43
	v_cndmask_b32_e32 v1, s3, v4, vcc_lo
	v_ashrrev_i32_e32 v2, 4, v2
	v_cmp_gt_i32_e32 vcc_lo, s33, v3
	s_lshl_b64 s[16:17], s[16:17], 2
	v_lshl_or_b32 v22, v149, 9, v22
	s_add_u32 s4, s12, s16
	s_addc_u32 s36, s13, s17
	v_cndmask_b32_e32 v3, s3, v2, vcc_lo
	v_ashrrev_i32_e32 v2, 31, v1
	s_ashr_i32 s7, s6, 31
	v_mov_b32_e32 v138, s41
	s_lshl_b64 s[6:7], s[6:7], 1
	v_ashrrev_i32_e32 v4, 31, v3
	v_lshlrev_b64 v[1:2], 2, v[1:2]
	s_add_u32 s24, s8, s6
	s_addc_u32 s25, s9, s7
	s_lshl_b32 s8, s14, 4
	v_lshlrev_b64 v[3:4], 2, v[3:4]
	s_ashr_i32 s9, s8, 31
	v_add_co_u32 v1, vcc_lo, s4, v1
	v_add_co_ci_u32_e32 v2, vcc_lo, s36, v2, vcc_lo
	s_delay_alu instid0(VALU_DEP_3) | instskip(NEXT) | instid1(VALU_DEP_4)
	v_add_co_u32 v3, vcc_lo, s4, v3
	v_add_co_ci_u32_e32 v4, vcc_lo, s36, v4, vcc_lo
	s_clause 0x1
	global_load_b32 v5, v[1:2], off
	global_load_b32 v6, v[3:4], off
	s_lshl_b64 s[8:9], s[8:9], 2
	v_lshlrev_b32_e32 v3, 4, v0
	s_add_u32 s8, s4, s8
	s_addc_u32 s9, s36, s9
	s_or_b32 s12, s34, 16
	s_delay_alu instid0(SALU_CYCLE_1) | instskip(SKIP_2) | instid1(SALU_CYCLE_1)
	s_ashr_i32 s13, s12, 4
	s_cmp_lt_i32 s12, s33
	s_cselect_b32 s12, s13, s3
	s_ashr_i32 s13, s12, 31
	s_delay_alu instid0(SALU_CYCLE_1) | instskip(NEXT) | instid1(SALU_CYCLE_1)
	s_lshl_b64 s[12:13], s[12:13], 2
	s_add_u32 s12, s4, s12
	s_addc_u32 s13, s36, s13
	s_or_b32 s15, s34, 32
	s_delay_alu instid0(SALU_CYCLE_1) | instskip(SKIP_2) | instid1(SALU_CYCLE_1)
	s_ashr_i32 s16, s15, 4
	s_cmp_lt_i32 s15, s33
	s_cselect_b32 s16, s16, s3
	s_ashr_i32 s17, s16, 31
	s_delay_alu instid0(SALU_CYCLE_1) | instskip(NEXT) | instid1(SALU_CYCLE_1)
	s_lshl_b64 s[16:17], s[16:17], 2
	;; [unrolled: 10-line block ×5, first 2 shown]
	s_add_u32 s22, s4, s22
	s_addc_u32 s23, s36, s23
	s_clause 0x5
	s_load_b32 s8, s[8:9], 0x0
	s_load_b32 s12, s[12:13], 0x0
	;; [unrolled: 1-line block ×6, first 2 shown]
	s_waitcnt lgkmcnt(0)
	s_mul_hi_i32 s17, s16, s5
	s_mul_i32 s16, s16, s5
	s_waitcnt vmcnt(1)
	v_mad_i64_i32 v[1:2], null, v5, s5, 0
	v_and_b32_e32 v5, 0xf0, v3
	s_waitcnt vmcnt(0)
	v_mad_i64_i32 v[3:4], null, v6, s5, 0
	s_delay_alu instid0(VALU_DEP_2) | instskip(NEXT) | instid1(VALU_DEP_4)
	v_add_co_u32 v5, s9, s24, v5
	v_lshlrev_b64 v[1:2], 1, v[1:2]
	v_add_co_ci_u32_e64 v6, null, s25, 0, s9
	s_delay_alu instid0(VALU_DEP_4) | instskip(SKIP_1) | instid1(VALU_DEP_3)
	v_lshlrev_b64 v[3:4], 1, v[3:4]
	s_or_b32 s9, s34, 0x60
	v_add_co_u32 v19, vcc_lo, v5, v1
	s_delay_alu instid0(VALU_DEP_3) | instskip(NEXT) | instid1(VALU_DEP_3)
	v_add_co_ci_u32_e32 v20, vcc_lo, v6, v2, vcc_lo
	v_add_co_u32 v17, vcc_lo, v5, v3
	s_delay_alu instid0(VALU_DEP_4)
	v_add_co_ci_u32_e32 v18, vcc_lo, v6, v4, vcc_lo
	s_clause 0x9
	global_load_b128 v[1:4], v[19:20], off
	global_load_b128 v[5:8], v[19:20], off offset:256
	global_load_b128 v[129:132], v[17:18], off
	global_load_b128 v[133:136], v[17:18], off offset:256
	global_load_b128 v[33:36], v[19:20], off offset:512
	;; [unrolled: 1-line block ×7, first 2 shown]
	v_cmp_gt_u32_e32 vcc_lo, 14, v148
	s_clause 0x1
	global_load_b128 v[151:154], v[17:18], off offset:1024
	global_load_b128 v[155:158], v[17:18], off offset:1280
	s_ashr_i32 s13, s9, 4
	s_cmp_lt_i32 s9, s33
	v_cndmask_b32_e32 v21, v21, v148, vcc_lo
	s_cselect_b32 s22, s13, s3
	s_delay_alu instid0(SALU_CYCLE_1) | instskip(NEXT) | instid1(VALU_DEP_1)
	s_ashr_i32 s23, s22, 31
	v_lshlrev_b32_e32 v197, 6, v21
	ds_load_b128 v[159:162], v197
	ds_load_b128 v[163:166], v197 offset:1024
	s_clause 0x3
	global_load_b128 v[167:170], v[19:20], off offset:1536
	global_load_b128 v[171:174], v[19:20], off offset:1792
	;; [unrolled: 1-line block ×4, first 2 shown]
	s_lshl_b64 s[22:23], s[22:23], 2
	s_delay_alu instid0(SALU_CYCLE_1) | instskip(SKIP_2) | instid1(SALU_CYCLE_1)
	s_add_u32 s22, s4, s22
	s_addc_u32 s23, s36, s23
	s_or_b32 s9, s34, 0x70
	s_ashr_i32 s13, s9, 4
	s_cmp_lt_i32 s9, s33
	s_cselect_b32 s24, s13, s3
	s_delay_alu instid0(SALU_CYCLE_1) | instskip(NEXT) | instid1(SALU_CYCLE_1)
	s_ashr_i32 s25, s24, 31
	s_lshl_b64 s[24:25], s[24:25], 2
	s_delay_alu instid0(SALU_CYCLE_1)
	s_add_u32 s24, s4, s24
	s_addc_u32 s25, s36, s25
	s_or_b32 s9, s34, 0x80
	s_load_b32 s46, s[24:25], 0x0
	s_ashr_i32 s13, s9, 4
	s_cmp_lt_i32 s9, s33
	s_cselect_b32 s26, s13, s3
	s_delay_alu instid0(SALU_CYCLE_1) | instskip(NEXT) | instid1(SALU_CYCLE_1)
	s_ashr_i32 s27, s26, 31
	s_lshl_b64 s[26:27], s[26:27], 2
	s_delay_alu instid0(SALU_CYCLE_1)
	s_add_u32 s26, s4, s26
	s_addc_u32 s27, s36, s27
	s_or_b32 s9, s34, 0x90
	s_load_b32 s47, s[26:27], 0x0
	s_ashr_i32 s13, s9, 4
	s_cmp_lt_i32 s9, s33
	s_cselect_b32 s28, s13, s3
	s_delay_alu instid0(SALU_CYCLE_1) | instskip(NEXT) | instid1(SALU_CYCLE_1)
	s_ashr_i32 s29, s28, 31
	s_lshl_b64 s[28:29], s[28:29], 2
	s_delay_alu instid0(SALU_CYCLE_1) | instskip(SKIP_2) | instid1(SALU_CYCLE_1)
	s_add_u32 s28, s4, s28
	s_addc_u32 s29, s36, s29
	s_or_b32 s9, s34, 0xa0
	s_ashr_i32 s13, s9, 4
	s_cmp_lt_i32 s9, s33
	s_cselect_b32 s38, s13, s3
	s_delay_alu instid0(SALU_CYCLE_1) | instskip(NEXT) | instid1(SALU_CYCLE_1)
	s_ashr_i32 s39, s38, 31
	s_lshl_b64 s[38:39], s[38:39], 2
	s_delay_alu instid0(SALU_CYCLE_1)
	s_add_u32 s38, s4, s38
	s_addc_u32 s39, s36, s39
	s_or_b32 s9, s34, 0xb0
	s_load_b32 s39, s[38:39], 0x0
	s_ashr_i32 s13, s9, 4
	s_cmp_lt_i32 s9, s33
	s_mul_hi_i32 s9, s8, s5
	s_cselect_b32 s40, s13, s3
	s_mul_i32 s8, s8, s5
	s_ashr_i32 s41, s40, 31
	s_mul_hi_i32 s13, s12, s5
	s_lshl_b64 s[40:41], s[40:41], 2
	s_mul_i32 s12, s12, s5
	s_add_u32 s42, s4, s40
	s_addc_u32 s43, s36, s41
	s_or_b32 s19, s34, 0xc0
	s_delay_alu instid0(SALU_CYCLE_1)
	s_ashr_i32 s21, s19, 4
	s_cmp_lt_i32 s19, s33
	s_mul_hi_i32 s19, s18, s5
	s_cselect_b32 s40, s21, s3
	s_mul_i32 s18, s18, s5
	s_ashr_i32 s41, s40, 31
	s_mul_hi_i32 s21, s20, s5
	s_lshl_b64 s[40:41], s[40:41], 2
	s_mul_i32 s20, s20, s5
	s_add_u32 s44, s4, s40
	s_load_b32 s40, s[28:29], 0x0
	s_addc_u32 s45, s36, s41
	s_or_b32 s37, s34, 0xd0
	s_load_b32 s41, s[22:23], 0x0
	s_ashr_i32 s22, s37, 4
	s_cmp_lt_i32 s37, s33
	s_mul_hi_i32 s23, s15, s5
	s_cselect_b32 s24, s22, s3
	s_mul_i32 s22, s15, s5
	s_ashr_i32 s25, s24, 31
	s_waitcnt lgkmcnt(0)
	s_mul_hi_i32 s27, s46, s5
	s_lshl_b64 s[24:25], s[24:25], 2
	s_mul_i32 s26, s46, s5
	s_add_u32 s24, s4, s24
	s_addc_u32 s25, s36, s25
	s_or_b32 s48, s34, 0xe0
	s_clause 0x2
	s_load_b32 s38, s[42:43], 0x0
	s_load_b32 s37, s[44:45], 0x0
	;; [unrolled: 1-line block ×3, first 2 shown]
	s_ashr_i32 s49, s48, 4
	s_cmp_lt_i32 s48, s33
	s_mul_hi_i32 s29, s47, s5
	s_cselect_b32 s42, s49, s3
	s_mul_i32 s28, s47, s5
	s_ashr_i32 s43, s42, 31
	s_mul_hi_i32 s25, s41, s5
	s_lshl_b64 s[42:43], s[42:43], 2
	s_mul_i32 s24, s41, s5
	s_add_u32 s42, s4, s42
	s_addc_u32 s43, s36, s43
	s_or_b32 s46, s34, 0xf0
	s_mul_hi_i32 s41, s40, s5
	s_ashr_i32 s47, s46, 4
	s_cmp_lt_i32 s46, s33
	s_mul_i32 s40, s40, s5
	s_cselect_b32 s46, s47, s3
	s_mul_hi_i32 s45, s39, s5
	s_ashr_i32 s47, s46, 31
	s_mul_i32 s44, s39, s5
	s_lshl_b64 s[46:47], s[46:47], 2
	s_waitcnt lgkmcnt(0)
	s_mul_hi_i32 s39, s38, s5
	s_add_u32 s46, s4, s46
	s_addc_u32 s47, s36, s47
	s_add_u32 s3, s10, s6
	s_addc_u32 s4, s11, s7
	v_add_co_u32 v195, s3, s3, v22
	s_delay_alu instid0(VALU_DEP_1) | instskip(SKIP_2) | instid1(VALU_DEP_2)
	v_add_co_ci_u32_e64 v196, null, s4, 0, s3
	s_lshl_b64 s[6:7], s[8:9], 1
	s_lshl_b64 s[8:9], s[12:13], 1
	v_add_co_u32 v17, vcc_lo, v195, s6
	s_delay_alu instid0(VALU_DEP_2)
	v_add_co_ci_u32_e32 v18, vcc_lo, s7, v196, vcc_lo
	v_add_co_u32 v19, vcc_lo, v195, s8
	s_lshl_b64 s[10:11], s[16:17], 1
	v_add_co_ci_u32_e32 v20, vcc_lo, s9, v196, vcc_lo
	v_add_co_u32 v21, vcc_lo, v195, s10
	s_lshl_b64 s[12:13], s[18:19], 1
	;; [unrolled: 3-line block ×9, first 2 shown]
	s_mul_i32 s38, s38, s5
	v_add_co_ci_u32_e32 v54, vcc_lo, s27, v196, vcc_lo
	v_add_co_u32 v183, vcc_lo, v195, s28
	s_mul_hi_i32 s49, s37, s5
	s_mul_i32 s48, s37, s5
	s_lshl_b64 s[36:37], s[38:39], 1
	v_add_co_ci_u32_e32 v184, vcc_lo, s29, v196, vcc_lo
	v_add_co_u32 v185, vcc_lo, v195, s36
	s_lshl_b64 s[38:39], s[48:49], 1
	s_clause 0x1
	s_load_b32 s3, s[42:43], 0x0
	s_load_b32 s4, s[46:47], 0x0
	v_add_co_ci_u32_e32 v186, vcc_lo, s37, v196, vcc_lo
	v_add_co_u32 v191, vcc_lo, v195, s38
	v_add_co_ci_u32_e32 v192, vcc_lo, s39, v196, vcc_lo
	s_clause 0x17
	global_load_b128 v[121:124], v[17:18], off
	global_load_b128 v[125:128], v[17:18], off offset:16
	global_load_b128 v[113:116], v[19:20], off
	global_load_b128 v[117:120], v[19:20], off offset:16
	global_load_b128 v[105:108], v[21:22], off
	global_load_b128 v[109:112], v[21:22], off offset:16
	global_load_b128 v[97:100], v[23:24], off
	global_load_b128 v[101:104], v[23:24], off offset:16
	global_load_b128 v[89:92], v[41:42], off
	global_load_b128 v[93:96], v[41:42], off offset:16
	global_load_b128 v[81:84], v[43:44], off
	global_load_b128 v[85:88], v[43:44], off offset:16
	global_load_b128 v[73:76], v[45:46], off
	global_load_b128 v[77:80], v[45:46], off offset:16
	global_load_b128 v[57:60], v[47:48], off
	global_load_b128 v[61:64], v[47:48], off offset:16
	global_load_b128 v[65:68], v[49:50], off
	global_load_b128 v[69:72], v[49:50], off offset:16
	global_load_b128 v[49:52], v[53:54], off
	global_load_b128 v[53:56], v[53:54], off offset:16
	global_load_b128 v[41:44], v[183:184], off
	global_load_b128 v[45:48], v[183:184], off offset:16
	global_load_b128 v[17:20], v[185:186], off
	global_load_b128 v[21:24], v[185:186], off offset:16
	s_mul_hi_i32 s51, s15, s5
	s_mul_i32 s50, s15, s5
	s_delay_alu instid0(SALU_CYCLE_1) | instskip(NEXT) | instid1(SALU_CYCLE_1)
	s_lshl_b64 s[40:41], s[50:51], 1
	v_add_co_u32 v193, vcc_lo, v195, s40
	v_add_co_ci_u32_e32 v194, vcc_lo, s41, v196, vcc_lo
	s_waitcnt lgkmcnt(0)
	s_mul_hi_i32 s7, s3, s5
	s_mul_i32 s6, s3, s5
	s_mul_hi_i32 s9, s4, s5
	s_lshl_b64 s[6:7], s[6:7], 1
	s_mul_i32 s8, s4, s5
	s_delay_alu instid0(SALU_CYCLE_1)
	s_lshl_b64 s[4:5], s[8:9], 1
	s_waitcnt vmcnt(38)
	v_wmma_f32_16x16x16_bf16 v[183:190], v[1:8], v[159:166], v[137:144]
	s_waitcnt vmcnt(36)
	v_wmma_f32_16x16x16_bf16 v[137:144], v[129:136], v[159:166], v[137:144]
	s_clause 0x1
	global_load_b128 v[1:4], v[191:192], off
	global_load_b128 v[5:8], v[191:192], off offset:16
	ds_load_b128 v[129:132], v197 offset:2048
	ds_load_b128 v[133:136], v197 offset:3072
	;; [unrolled: 1-line block ×4, first 2 shown]
	v_add_co_u32 v191, vcc_lo, v195, s6
	v_add_co_ci_u32_e32 v192, vcc_lo, s7, v196, vcc_lo
	v_add_co_u32 v195, vcc_lo, v195, s4
	v_add_co_ci_u32_e32 v196, vcc_lo, s5, v196, vcc_lo
	s_waitcnt vmcnt(36) lgkmcnt(2)
	v_wmma_f32_16x16x16_bf16 v[183:190], v[33:40], v[129:136], v[183:190]
	s_waitcnt vmcnt(34)
	v_wmma_f32_16x16x16_bf16 v[137:144], v[25:32], v[129:136], v[137:144]
	s_clause 0x3
	global_load_b128 v[25:28], v[193:194], off
	global_load_b128 v[29:32], v[193:194], off offset:16
	global_load_b128 v[33:36], v[191:192], off
	global_load_b128 v[37:40], v[191:192], off offset:16
	v_and_b32_e32 v129, 0xe0, v0
	v_mbcnt_lo_u32_b32 v191, -1, 0
	s_waitcnt vmcnt(36) lgkmcnt(0)
	v_wmma_f32_16x16x16_bf16 v[183:190], v[9:16], v[159:166], v[183:190]
	s_clause 0x1
	global_load_b128 v[9:12], v[195:196], off
	global_load_b128 v[13:16], v[195:196], off offset:16
	s_waitcnt vmcnt(36)
	v_wmma_f32_16x16x16_bf16 v[137:144], v[151:158], v[159:166], v[137:144]
	v_add_nc_u32_e32 v192, s34, v129
	ds_load_b128 v[129:132], v197 offset:6144
	ds_load_b128 v[133:136], v197 offset:7168
	v_xor_b32_e32 v151, 16, v191
	s_waitcnt vmcnt(0) lgkmcnt(0)
	s_barrier
	v_or_b32_e32 v152, v192, v146
	buffer_gl0_inv
	v_cmp_gt_i32_e32 vcc_lo, 32, v151
	v_or_b32_e32 v153, 2, v152
	v_or_b32_e32 v154, 4, v152
	v_or_b32_e32 v155, 6, v152
	v_or_b32_e32 v156, 8, v152
	v_or_b32_e32 v157, 10, v152
	v_cmp_gt_i32_e64 s3, s33, v153
	v_cmp_gt_i32_e64 s4, s33, v154
	;; [unrolled: 1-line block ×3, first 2 shown]
	v_or_b32_e32 v158, 12, v152
	v_or_b32_e32 v159, 14, v152
	v_cmp_gt_i32_e64 s6, s33, v156
	v_wmma_f32_16x16x16_bf16 v[183:190], v[167:174], v[129:136], v[183:190]
	v_wmma_f32_16x16x16_bf16 v[137:144], v[175:182], v[129:136], v[137:144]
	v_cndmask_b32_e32 v151, v191, v151, vcc_lo
	v_cmp_gt_i32_e32 vcc_lo, s33, v152
	v_cmp_gt_i32_e64 s7, s33, v157
	v_dual_mul_f32 v135, s35, v184 :: v_dual_mul_f32 v136, s35, v183
	v_dual_mul_f32 v133, s35, v186 :: v_dual_mul_f32 v134, s35, v185
	;; [unrolled: 1-line block ×3, first 2 shown]
	s_delay_alu instid0(VALU_DEP_3) | instskip(NEXT) | instid1(VALU_DEP_4)
	v_cndmask_b32_e32 v136, 0xff7fffff, v136, vcc_lo
	v_cndmask_b32_e64 v135, 0xff7fffff, v135, s3
	v_mul_f32_e32 v132, s35, v187
	v_cndmask_b32_e64 v134, 0xff7fffff, v134, s4
	v_cndmask_b32_e64 v133, 0xff7fffff, v133, s5
	v_or_b32_e32 v160, 16, v152
	v_max3_f32 v135, v136, 0xff7fffff, v135
	v_or_b32_e32 v161, 18, v152
	v_mul_f32_e32 v130, s35, v189
	v_dual_mul_f32 v172, s35, v140 :: v_dual_mul_f32 v129, s35, v190
	v_cndmask_b32_e64 v132, 0xff7fffff, v132, s6
	v_cndmask_b32_e64 v131, 0xff7fffff, v131, s7
	v_max3_f32 v133, v135, v134, v133
	v_cmp_gt_i32_e64 s8, s33, v158
	v_lshlrev_b32_e32 v158, 2, v151
	v_cmp_gt_i32_e64 s9, s33, v159
	v_or_b32_e32 v162, 20, v152
	v_or_b32_e32 v163, 22, v152
	v_mul_f32_e32 v175, s35, v137
	v_cndmask_b32_e64 v130, 0xff7fffff, v130, s8
	v_cndmask_b32_e64 v129, 0xff7fffff, v129, s9
	v_max3_f32 v131, v133, v132, v131
	v_cmp_gt_i32_e64 s10, s33, v160
	v_cmp_gt_i32_e64 s11, s33, v161
	v_or_b32_e32 v164, 24, v152
	v_or_b32_e32 v165, 26, v152
	v_mul_f32_e32 v173, s35, v139
	v_cndmask_b32_e64 v132, 0xff7fffff, v175, s10
	v_cndmask_b32_e64 v133, 0xff7fffff, v174, s11
	v_max3_f32 v129, v131, v130, v129
	v_cmp_gt_i32_e64 s12, s33, v162
	v_cmp_gt_i32_e64 s13, s33, v163
	v_or_b32_e32 v166, 28, v152
	v_or_b32_e32 v167, 30, v152
	v_dual_mul_f32 v170, s35, v142 :: v_dual_mul_f32 v171, s35, v141
	v_cndmask_b32_e64 v130, 0xff7fffff, v173, s12
	v_cndmask_b32_e64 v131, 0xff7fffff, v172, s13
	v_max3_f32 v129, v129, v132, v133
	v_cmp_gt_i32_e64 s15, s33, v164
	v_cmp_gt_i32_e64 s16, s33, v165
	v_dual_mul_f32 v168, s35, v144 :: v_dual_mul_f32 v169, s35, v143
	s_delay_alu instid0(VALU_DEP_4) | instskip(NEXT) | instid1(VALU_DEP_4)
	v_max3_f32 v129, v129, v130, v131
	v_cndmask_b32_e64 v132, 0xff7fffff, v171, s15
	s_delay_alu instid0(VALU_DEP_4) | instskip(SKIP_2) | instid1(VALU_DEP_3)
	v_cndmask_b32_e64 v133, 0xff7fffff, v170, s16
	v_cmp_gt_i32_e64 s17, s33, v166
	v_cmp_gt_i32_e64 s18, s33, v167
	v_max3_f32 v129, v129, v132, v133
	s_delay_alu instid0(VALU_DEP_3) | instskip(NEXT) | instid1(VALU_DEP_3)
	v_cndmask_b32_e64 v130, 0xff7fffff, v169, s17
	v_cndmask_b32_e64 v131, 0xff7fffff, v168, s18
	s_delay_alu instid0(VALU_DEP_1) | instskip(SKIP_3) | instid1(VALU_DEP_1)
	v_max3_f32 v129, v129, v130, v131
	ds_bpermute_b32 v130, v158, v129
	s_waitcnt lgkmcnt(0)
	v_max_f32_e32 v130, v130, v130
	v_max_f32_e32 v129, v129, v130
	s_delay_alu instid0(VALU_DEP_1)
	v_fma_f32 v130, s35, v183, -v129
	v_fma_f32 v132, s35, v185, -v129
	;; [unrolled: 1-line block ×5, first 2 shown]
	v_mul_f32_e32 v130, 0x3fb8aa3b, v130
	v_mul_f32_e32 v132, 0x3fb8aa3b, v132
	v_mul_f32_e32 v134, 0x3fb8aa3b, v134
	v_fma_f32 v135, s35, v189, -v129
	s_delay_alu instid0(VALU_DEP_4) | instskip(NEXT) | instid1(VALU_DEP_3)
	v_exp_f32_e32 v130, v130
	v_exp_f32_e32 v132, v132
	s_delay_alu instid0(VALU_DEP_2) | instskip(NEXT) | instid1(TRANS32_DEP_3)
	v_exp_f32_e32 v134, v134
	v_cndmask_b32_e32 v152, 0, v130, vcc_lo
	v_fma_f32 v130, s35, v188, -v129
	s_waitcnt_depctr 0xfff
	v_cndmask_b32_e64 v153, 0, v132, s4
	v_fma_f32 v132, s35, v190, -v129
	v_mul_f32_e32 v131, 0x3fb8aa3b, v131
	v_cndmask_b32_e64 v155, 0, v134, s6
	v_dual_mul_f32 v130, 0x3fb8aa3b, v130 :: v_dual_mul_f32 v133, 0x3fb8aa3b, v133
	s_delay_alu instid0(VALU_DEP_4) | instskip(NEXT) | instid1(VALU_DEP_4)
	v_mul_f32_e32 v132, 0x3fb8aa3b, v132
	v_exp_f32_e32 v131, v131
	v_fma_f32 v134, s35, v138, -v129
	s_delay_alu instid0(VALU_DEP_3) | instskip(SKIP_2) | instid1(VALU_DEP_1)
	v_exp_f32_e32 v130, v130
	v_exp_f32_e32 v133, v133
	;; [unrolled: 1-line block ×3, first 2 shown]
	v_mul_f32_e32 v134, 0x3fb8aa3b, v134
	v_cndmask_b32_e64 v151, 0, v131, s3
	v_add_f32_e32 v131, 0, v152
	s_delay_alu instid0(TRANS32_DEP_3)
	v_cndmask_b32_e64 v156, 0, v130, s7
	s_waitcnt_depctr 0xfff
	v_cndmask_b32_e64 v154, 0, v133, s5
	v_fma_f32 v133, s35, v137, -v129
	v_exp_f32_e32 v134, v134
	v_add_f32_e32 v131, v131, v151
	s_mov_b32 s3, exec_lo
	s_delay_alu instid0(VALU_DEP_1) | instskip(NEXT) | instid1(VALU_DEP_1)
	v_add_f32_e32 v131, v131, v153
	v_add_f32_e32 v131, v131, v154
	s_delay_alu instid0(VALU_DEP_1) | instskip(SKIP_2) | instid1(VALU_DEP_3)
	v_add_f32_e32 v130, v131, v155
	v_fma_f32 v131, s35, v139, -v129
	v_fma_f32 v139, s35, v144, -v129
	v_dual_add_f32 v130, v130, v156 :: v_dual_mul_f32 v135, 0x3fb8aa3b, v135
	s_delay_alu instid0(VALU_DEP_1)
	v_exp_f32_e32 v135, v135
	s_waitcnt_depctr 0xfff
	v_cndmask_b32_e64 v157, 0, v135, s8
	v_fma_f32 v135, s35, v140, -v129
	v_cndmask_b32_e64 v140, 0, v132, s9
	v_fma_f32 v132, s35, v141, -v129
	s_delay_alu instid0(VALU_DEP_1) | instskip(SKIP_1) | instid1(VALU_DEP_2)
	v_dual_add_f32 v130, v130, v157 :: v_dual_mul_f32 v137, 0x3fb8aa3b, v132
	v_cndmask_b32_e64 v132, 0, v134, s11
	v_dual_add_f32 v130, v130, v140 :: v_dual_mul_f32 v133, 0x3fb8aa3b, v133
	v_mul_f32_e32 v131, 0x3fb8aa3b, v131
	v_fma_f32 v134, s35, v143, -v129
	v_mul_f32_e32 v135, 0x3fb8aa3b, v135
	s_delay_alu instid0(VALU_DEP_4) | instskip(NEXT) | instid1(VALU_DEP_3)
	v_exp_f32_e32 v133, v133
	v_exp_f32_e32 v136, v131
	s_waitcnt_depctr 0xfff
	v_cndmask_b32_e64 v131, 0, v133, s10
	v_fma_f32 v133, s35, v142, -v129
	s_delay_alu instid0(VALU_DEP_2) | instskip(NEXT) | instid1(VALU_DEP_2)
	v_add_f32_e32 v130, v130, v131
	v_mul_f32_e32 v138, 0x3fb8aa3b, v133
	v_cndmask_b32_e64 v133, 0, v136, s12
	v_mul_f32_e32 v136, 0x3fb8aa3b, v134
	v_exp_f32_e32 v135, v135
	v_add_f32_e32 v130, v130, v132
	v_exp_f32_e32 v138, v138
	s_delay_alu instid0(VALU_DEP_2) | instskip(NEXT) | instid1(VALU_DEP_1)
	v_exp_f32_e32 v141, v136
	v_add_f32_e32 v130, v130, v133
	v_exp_f32_e32 v137, v137
	v_cndmask_b32_e64 v134, 0, v135, s13
	s_delay_alu instid0(TRANS32_DEP_3) | instskip(NEXT) | instid1(VALU_DEP_2)
	v_cndmask_b32_e64 v136, 0, v138, s16
	v_add_f32_e32 v130, v130, v134
	s_waitcnt_depctr 0xfff
	v_cndmask_b32_e64 v135, 0, v137, s15
	v_mul_f32_e32 v137, 0x3fb8aa3b, v139
	s_delay_alu instid0(VALU_DEP_2) | instskip(NEXT) | instid1(VALU_DEP_2)
	v_add_f32_e32 v130, v130, v135
	v_exp_f32_e32 v138, v137
	v_cndmask_b32_e64 v137, 0, v141, s17
	s_delay_alu instid0(VALU_DEP_2) | instskip(NEXT) | instid1(VALU_DEP_1)
	v_add_f32_e32 v130, v130, v136
	v_add_f32_e32 v130, v130, v137
	s_waitcnt_depctr 0xfff
	v_cndmask_b32_e64 v138, 0, v138, s18
	s_delay_alu instid0(VALU_DEP_1)
	v_add_f32_e32 v130, v130, v138
	ds_bpermute_b32 v139, v158, v130
	v_cmpx_gt_u32_e32 16, v150
	s_cbranch_execz .LBB491_12
; %bb.11:
	v_mul_u32_u24_e32 v141, 0x44, v149
	s_delay_alu instid0(VALU_DEP_1) | instskip(SKIP_1) | instid1(VALU_DEP_1)
	v_lshl_add_u32 v141, v148, 2, v141
	s_waitcnt lgkmcnt(0)
	v_dual_add_f32 v130, v130, v139 :: v_dual_add_nc_u32 v139, 0x4000, v141
	ds_store_2addr_b32 v139, v129, v130 offset1:136
.LBB491_12:
	s_or_b32 exec_lo, exec_lo, s3
	v_lshlrev_b32_e32 v129, 2, v148
	s_waitcnt lgkmcnt(0)
	s_barrier
	buffer_gl0_inv
	v_cmp_eq_u32_e64 s3, 1, v149
	v_add_nc_u32_e32 v139, 0x4000, v129
	ds_load_2addr_b32 v[141:142], v139 offset1:17
	ds_load_2addr_b32 v[143:144], v139 offset0:34 offset1:51
	ds_load_2addr_b32 v[158:159], v139 offset0:68 offset1:85
	;; [unrolled: 1-line block ×4, first 2 shown]
	s_waitcnt lgkmcnt(4)
	v_max3_f32 v129, v141, 0xff7fffff, v142
	s_waitcnt lgkmcnt(3)
	s_delay_alu instid0(VALU_DEP_1) | instskip(SKIP_1) | instid1(VALU_DEP_1)
	v_max3_f32 v129, v129, v143, v144
	s_waitcnt lgkmcnt(2)
	v_max3_f32 v129, v129, v158, v159
	s_waitcnt lgkmcnt(1)
	s_delay_alu instid0(VALU_DEP_1) | instskip(NEXT) | instid1(VALU_DEP_1)
	v_max3_f32 v129, v129, v160, v161
	v_sub_f32_e32 v158, v158, v129
	s_delay_alu instid0(VALU_DEP_1) | instskip(NEXT) | instid1(VALU_DEP_1)
	v_dual_sub_f32 v150, v142, v129 :: v_dual_mul_f32 v167, 0x3fb8aa3b, v158
	v_dual_sub_f32 v143, v143, v129 :: v_dual_mul_f32 v150, 0x3fb8aa3b, v150
	s_delay_alu instid0(VALU_DEP_1) | instskip(NEXT) | instid1(VALU_DEP_2)
	v_dual_sub_f32 v130, v141, v129 :: v_dual_mul_f32 v165, 0x3fb8aa3b, v143
	v_exp_f32_e32 v150, v150
	s_delay_alu instid0(VALU_DEP_1) | instskip(NEXT) | instid1(VALU_DEP_2)
	v_mul_f32_e32 v130, 0x3fb8aa3b, v130
	v_exp_f32_e32 v165, v165
	s_delay_alu instid0(VALU_DEP_1) | instskip(SKIP_1) | instid1(VALU_DEP_1)
	v_exp_f32_e32 v164, v130
	v_sub_f32_e32 v130, v144, v129
	v_mul_f32_e32 v166, 0x3fb8aa3b, v130
	s_waitcnt lgkmcnt(0)
	s_waitcnt_depctr 0xfff
	v_fma_f32 v130, v164, v162, 0
	v_sub_f32_e32 v162, v159, v129
	s_delay_alu instid0(VALU_DEP_2)
	v_fmac_f32_e32 v130, v150, v163
	ds_load_2addr_b32 v[141:142], v139 offset0:170 offset1:187
	ds_load_2addr_b32 v[143:144], v139 offset0:204 offset1:221
	;; [unrolled: 1-line block ×3, first 2 shown]
	v_sub_f32_e32 v139, v160, v129
	v_exp_f32_e32 v166, v166
	v_mul_f32_e32 v160, 0x3fb8aa3b, v162
	v_exp_f32_e32 v162, v167
	v_cndmask_b32_e64 v150, v164, v150, s3
	v_mul_f32_e32 v139, 0x3fb8aa3b, v139
	v_cmp_eq_u32_e64 s3, 2, v149
	s_waitcnt lgkmcnt(0)
	s_barrier
	buffer_gl0_inv
	v_exp_f32_e32 v139, v139
	v_cndmask_b32_e64 v150, v150, v165, s3
	v_cmp_eq_u32_e64 s3, 3, v149
	v_fmac_f32_e32 v130, v165, v141
	v_sub_f32_e32 v141, v161, v129
	v_exp_f32_e32 v160, v160
	s_delay_alu instid0(VALU_DEP_3) | instskip(SKIP_1) | instid1(VALU_DEP_3)
	v_cndmask_b32_e64 v150, v150, v166, s3
	v_cmp_eq_u32_e64 s3, 4, v149
	v_dual_fmac_f32 v130, v166, v142 :: v_dual_mul_f32 v141, 0x3fb8aa3b, v141
	s_delay_alu instid0(VALU_DEP_2) | instskip(SKIP_1) | instid1(VALU_DEP_3)
	v_cndmask_b32_e64 v150, v150, v162, s3
	v_cmp_eq_u32_e64 s3, 5, v149
	v_exp_f32_e32 v141, v141
	s_delay_alu instid0(VALU_DEP_3)
	v_fmac_f32_e32 v130, v162, v143
	s_delay_alu instid0(TRANS32_DEP_2) | instid1(VALU_DEP_2)
	v_cndmask_b32_e64 v150, v150, v160, s3
	s_delay_alu instid0(VALU_DEP_2) | instskip(NEXT) | instid1(VALU_DEP_1)
	v_fmac_f32_e32 v130, v160, v144
	v_fmac_f32_e32 v130, v139, v158
	s_waitcnt_depctr 0xfff
	v_fmac_f32_e32 v130, v141, v159
	s_delay_alu instid0(VALU_DEP_1) | instskip(NEXT) | instid1(VALU_DEP_1)
	v_add_f32_e32 v142, 0x358637bd, v130
	v_div_scale_f32 v143, null, v142, v142, 1.0
	v_div_scale_f32 v159, vcc_lo, 1.0, v142, 1.0
	s_delay_alu instid0(VALU_DEP_2) | instskip(SKIP_2) | instid1(VALU_DEP_1)
	v_rcp_f32_e32 v144, v143
	s_waitcnt_depctr 0xfff
	v_fma_f32 v158, -v143, v144, 1.0
	v_fmac_f32_e32 v144, v158, v144
	s_delay_alu instid0(VALU_DEP_1) | instskip(NEXT) | instid1(VALU_DEP_1)
	v_mul_f32_e32 v158, v159, v144
	v_fma_f32 v161, -v143, v158, v159
	s_delay_alu instid0(VALU_DEP_1) | instskip(NEXT) | instid1(VALU_DEP_1)
	v_fmac_f32_e32 v158, v161, v144
	v_fma_f32 v143, -v143, v158, v159
	s_delay_alu instid0(VALU_DEP_1) | instskip(SKIP_1) | instid1(VALU_DEP_2)
	v_div_fmas_f32 v143, v143, v144, v158
	v_cmp_eq_u32_e32 vcc_lo, 6, v149
	v_div_fixup_f32 v142, v143, v142, 1.0
	v_cndmask_b32_e32 v139, v150, v139, vcc_lo
	v_cmp_eq_u32_e32 vcc_lo, 7, v149
	s_delay_alu instid0(VALU_DEP_2) | instskip(NEXT) | instid1(VALU_DEP_1)
	v_cndmask_b32_e32 v139, v139, v141, vcc_lo
	v_mul_f32_e32 v139, v139, v142
	s_delay_alu instid0(VALU_DEP_1) | instskip(SKIP_4) | instid1(VALU_DEP_4)
	v_mul_f32_e32 v153, v139, v153
	v_mul_f32_e32 v142, v139, v152
	v_mul_f32_e32 v140, v139, v140
	v_mul_f32_e32 v143, v139, v157
	v_mul_f32_e32 v150, v139, v156
	v_dual_mul_f32 v152, v139, v155 :: v_dual_and_b32 v141, 0x7f800000, v142
	v_mul_f32_e32 v154, v139, v154
	v_mul_f32_e32 v144, v139, v151
	s_delay_alu instid0(VALU_DEP_3) | instskip(SKIP_1) | instid1(SALU_CYCLE_1)
	v_cmp_ne_u32_e32 vcc_lo, 0x7f800000, v141
                                        ; implicit-def: $vgpr141
	s_and_saveexec_b32 s3, vcc_lo
	s_xor_b32 s3, exec_lo, s3
; %bb.13:
	v_bfe_u32 v141, v142, 16, 1
	s_delay_alu instid0(VALU_DEP_1)
	v_add3_u32 v141, v142, v141, 0x7fff
                                        ; implicit-def: $vgpr142
; %bb.14:
	s_and_not1_saveexec_b32 s3, s3
; %bb.15:
	v_and_b32_e32 v141, 0xffff, v142
	v_or_b32_e32 v151, 0x10000, v142
	s_delay_alu instid0(VALU_DEP_2) | instskip(NEXT) | instid1(VALU_DEP_2)
	v_cmp_eq_u32_e32 vcc_lo, 0, v141
	v_cndmask_b32_e32 v141, v151, v142, vcc_lo
; %bb.16:
	s_or_b32 exec_lo, exec_lo, s3
	v_and_b32_e32 v142, 0x7f800000, v144
	s_delay_alu instid0(VALU_DEP_1) | instskip(SKIP_1) | instid1(SALU_CYCLE_1)
	v_cmp_ne_u32_e32 vcc_lo, 0x7f800000, v142
                                        ; implicit-def: $vgpr142
	s_and_saveexec_b32 s3, vcc_lo
	s_xor_b32 s3, exec_lo, s3
; %bb.17:
	v_bfe_u32 v142, v144, 16, 1
	s_delay_alu instid0(VALU_DEP_1)
	v_add3_u32 v142, v144, v142, 0x7fff
                                        ; implicit-def: $vgpr144
; %bb.18:
	s_and_not1_saveexec_b32 s3, s3
; %bb.19:
	v_and_b32_e32 v142, 0xffff, v144
	v_or_b32_e32 v151, 0x10000, v144
	s_delay_alu instid0(VALU_DEP_2) | instskip(NEXT) | instid1(VALU_DEP_2)
	v_cmp_eq_u32_e32 vcc_lo, 0, v142
	v_cndmask_b32_e32 v142, v151, v144, vcc_lo
; %bb.20:
	s_or_b32 exec_lo, exec_lo, s3
	v_and_b32_e32 v144, 0x7f800000, v153
	s_delay_alu instid0(VALU_DEP_1) | instskip(SKIP_1) | instid1(SALU_CYCLE_1)
	v_cmp_ne_u32_e32 vcc_lo, 0x7f800000, v144
                                        ; implicit-def: $vgpr144
	s_and_saveexec_b32 s3, vcc_lo
	s_xor_b32 s3, exec_lo, s3
; %bb.21:
	v_bfe_u32 v144, v153, 16, 1
	s_delay_alu instid0(VALU_DEP_1)
	v_add3_u32 v144, v153, v144, 0x7fff
                                        ; implicit-def: $vgpr153
; %bb.22:
	s_and_not1_saveexec_b32 s3, s3
; %bb.23:
	v_and_b32_e32 v144, 0xffff, v153
	v_or_b32_e32 v151, 0x10000, v153
	s_delay_alu instid0(VALU_DEP_2) | instskip(NEXT) | instid1(VALU_DEP_2)
	v_cmp_eq_u32_e32 vcc_lo, 0, v144
	v_cndmask_b32_e32 v144, v151, v153, vcc_lo
; %bb.24:
	s_or_b32 exec_lo, exec_lo, s3
	v_and_b32_e32 v151, 0x7f800000, v154
	s_delay_alu instid0(VALU_DEP_1) | instskip(SKIP_1) | instid1(SALU_CYCLE_1)
	v_cmp_ne_u32_e32 vcc_lo, 0x7f800000, v151
                                        ; implicit-def: $vgpr151
	s_and_saveexec_b32 s3, vcc_lo
	s_xor_b32 s3, exec_lo, s3
; %bb.25:
	v_bfe_u32 v151, v154, 16, 1
	s_delay_alu instid0(VALU_DEP_1)
	v_add3_u32 v151, v154, v151, 0x7fff
                                        ; implicit-def: $vgpr154
; %bb.26:
	s_and_not1_saveexec_b32 s3, s3
; %bb.27:
	v_and_b32_e32 v151, 0xffff, v154
	v_or_b32_e32 v153, 0x10000, v154
	s_delay_alu instid0(VALU_DEP_2) | instskip(NEXT) | instid1(VALU_DEP_2)
	v_cmp_eq_u32_e32 vcc_lo, 0, v151
	v_cndmask_b32_e32 v151, v153, v154, vcc_lo
; %bb.28:
	s_or_b32 exec_lo, exec_lo, s3
	v_and_b32_e32 v153, 0x7f800000, v152
	s_delay_alu instid0(VALU_DEP_1) | instskip(SKIP_1) | instid1(SALU_CYCLE_1)
	v_cmp_ne_u32_e32 vcc_lo, 0x7f800000, v153
                                        ; implicit-def: $vgpr153
	s_and_saveexec_b32 s3, vcc_lo
	s_xor_b32 s3, exec_lo, s3
; %bb.29:
	v_bfe_u32 v153, v152, 16, 1
	s_delay_alu instid0(VALU_DEP_1)
	v_add3_u32 v153, v152, v153, 0x7fff
                                        ; implicit-def: $vgpr152
; %bb.30:
	s_and_not1_saveexec_b32 s3, s3
; %bb.31:
	v_and_b32_e32 v153, 0xffff, v152
	v_or_b32_e32 v154, 0x10000, v152
	s_delay_alu instid0(VALU_DEP_2) | instskip(NEXT) | instid1(VALU_DEP_2)
	v_cmp_eq_u32_e32 vcc_lo, 0, v153
	v_cndmask_b32_e32 v153, v154, v152, vcc_lo
; %bb.32:
	s_or_b32 exec_lo, exec_lo, s3
	v_and_b32_e32 v152, 0x7f800000, v150
	s_delay_alu instid0(VALU_DEP_1) | instskip(SKIP_1) | instid1(SALU_CYCLE_1)
	v_cmp_ne_u32_e32 vcc_lo, 0x7f800000, v152
                                        ; implicit-def: $vgpr152
	s_and_saveexec_b32 s3, vcc_lo
	s_xor_b32 s3, exec_lo, s3
; %bb.33:
	v_bfe_u32 v152, v150, 16, 1
	s_delay_alu instid0(VALU_DEP_1)
	v_add3_u32 v152, v150, v152, 0x7fff
                                        ; implicit-def: $vgpr150
; %bb.34:
	s_and_not1_saveexec_b32 s3, s3
; %bb.35:
	v_and_b32_e32 v152, 0xffff, v150
	v_or_b32_e32 v154, 0x10000, v150
	s_delay_alu instid0(VALU_DEP_2) | instskip(NEXT) | instid1(VALU_DEP_2)
	v_cmp_eq_u32_e32 vcc_lo, 0, v152
	v_cndmask_b32_e32 v152, v154, v150, vcc_lo
; %bb.36:
	s_or_b32 exec_lo, exec_lo, s3
	v_and_b32_e32 v150, 0x7f800000, v143
	s_delay_alu instid0(VALU_DEP_1) | instskip(SKIP_1) | instid1(SALU_CYCLE_1)
	v_cmp_ne_u32_e32 vcc_lo, 0x7f800000, v150
                                        ; implicit-def: $vgpr150
	s_and_saveexec_b32 s3, vcc_lo
	s_xor_b32 s3, exec_lo, s3
; %bb.37:
	v_bfe_u32 v150, v143, 16, 1
	s_delay_alu instid0(VALU_DEP_1)
	v_add3_u32 v150, v143, v150, 0x7fff
                                        ; implicit-def: $vgpr143
; %bb.38:
	s_and_not1_saveexec_b32 s3, s3
; %bb.39:
	v_and_b32_e32 v150, 0xffff, v143
	v_or_b32_e32 v154, 0x10000, v143
	s_delay_alu instid0(VALU_DEP_2) | instskip(NEXT) | instid1(VALU_DEP_2)
	v_cmp_eq_u32_e32 vcc_lo, 0, v150
	v_cndmask_b32_e32 v150, v154, v143, vcc_lo
; %bb.40:
	s_or_b32 exec_lo, exec_lo, s3
	v_and_b32_e32 v143, 0x7f800000, v140
	s_delay_alu instid0(VALU_DEP_1) | instskip(SKIP_1) | instid1(SALU_CYCLE_1)
	v_cmp_ne_u32_e32 vcc_lo, 0x7f800000, v143
                                        ; implicit-def: $vgpr143
	s_and_saveexec_b32 s3, vcc_lo
	s_xor_b32 s3, exec_lo, s3
; %bb.41:
	v_bfe_u32 v143, v140, 16, 1
	s_delay_alu instid0(VALU_DEP_1)
	v_add3_u32 v143, v140, v143, 0x7fff
                                        ; implicit-def: $vgpr140
; %bb.42:
	s_and_not1_saveexec_b32 s3, s3
; %bb.43:
	v_and_b32_e32 v143, 0xffff, v140
	v_or_b32_e32 v154, 0x10000, v140
	s_delay_alu instid0(VALU_DEP_2) | instskip(NEXT) | instid1(VALU_DEP_2)
	v_cmp_eq_u32_e32 vcc_lo, 0, v143
	v_cndmask_b32_e32 v143, v154, v140, vcc_lo
; %bb.44:
	s_or_b32 exec_lo, exec_lo, s3
	s_load_b64 s[34:35], s[0:1], 0x94
	v_dual_mul_f32 v136, v139, v136 :: v_dual_lshlrev_b32 v155, 4, v146
	s_delay_alu instid0(VALU_DEP_2)
	v_perm_b32 v154, v143, v150, 0x7060302
	v_dual_mul_f32 v143, v139, v131 :: v_dual_lshlrev_b32 v140, 6, v148
	v_dual_mul_f32 v135, v139, v135 :: v_dual_lshlrev_b32 v150, 11, v149
	v_perm_b32 v153, v152, v153, 0x7060302
	v_perm_b32 v152, v151, v144, 0x7060302
	;; [unrolled: 1-line block ×3, first 2 shown]
	s_delay_alu instid0(VALU_DEP_4)
	v_or3_b32 v131, v155, v150, v140
	v_mul_f32_e32 v138, v139, v138
	v_dual_mul_f32 v137, v139, v137 :: v_dual_and_b32 v144, 0x7f800000, v143
	v_mul_f32_e32 v141, v139, v134
	v_mul_f32_e32 v142, v139, v133
	;; [unrolled: 1-line block ×3, first 2 shown]
	s_mov_b32 s3, exec_lo
	ds_store_b128 v131, v[151:154]
                                        ; implicit-def: $vgpr132
	v_cmpx_ne_u32_e32 0x7f800000, v144
	s_xor_b32 s3, exec_lo, s3
; %bb.45:
	v_bfe_u32 v132, v143, 16, 1
	s_delay_alu instid0(VALU_DEP_1)
	v_add3_u32 v132, v143, v132, 0x7fff
                                        ; implicit-def: $vgpr143
; %bb.46:
	s_and_not1_saveexec_b32 s3, s3
; %bb.47:
	v_and_b32_e32 v132, 0xffff, v143
	v_or_b32_e32 v133, 0x10000, v143
	s_delay_alu instid0(VALU_DEP_2) | instskip(NEXT) | instid1(VALU_DEP_2)
	v_cmp_eq_u32_e32 vcc_lo, 0, v132
	v_cndmask_b32_e32 v132, v133, v143, vcc_lo
; %bb.48:
	s_or_b32 exec_lo, exec_lo, s3
	v_and_b32_e32 v133, 0x7f800000, v134
	s_delay_alu instid0(VALU_DEP_1) | instskip(SKIP_1) | instid1(SALU_CYCLE_1)
	v_cmp_ne_u32_e32 vcc_lo, 0x7f800000, v133
                                        ; implicit-def: $vgpr133
	s_and_saveexec_b32 s3, vcc_lo
	s_xor_b32 s3, exec_lo, s3
; %bb.49:
	v_bfe_u32 v133, v134, 16, 1
	s_delay_alu instid0(VALU_DEP_1)
	v_add3_u32 v133, v134, v133, 0x7fff
                                        ; implicit-def: $vgpr134
; %bb.50:
	s_and_not1_saveexec_b32 s3, s3
; %bb.51:
	v_and_b32_e32 v133, 0xffff, v134
	v_or_b32_e32 v139, 0x10000, v134
	s_delay_alu instid0(VALU_DEP_2) | instskip(NEXT) | instid1(VALU_DEP_2)
	v_cmp_eq_u32_e32 vcc_lo, 0, v133
	v_cndmask_b32_e32 v133, v139, v134, vcc_lo
; %bb.52:
	s_or_b32 exec_lo, exec_lo, s3
	v_and_b32_e32 v134, 0x7f800000, v142
	s_delay_alu instid0(VALU_DEP_1) | instskip(SKIP_1) | instid1(SALU_CYCLE_1)
	v_cmp_ne_u32_e32 vcc_lo, 0x7f800000, v134
                                        ; implicit-def: $vgpr134
	s_and_saveexec_b32 s3, vcc_lo
	s_xor_b32 s3, exec_lo, s3
; %bb.53:
	v_bfe_u32 v134, v142, 16, 1
	s_delay_alu instid0(VALU_DEP_1)
	v_add3_u32 v134, v142, v134, 0x7fff
                                        ; implicit-def: $vgpr142
; %bb.54:
	s_and_not1_saveexec_b32 s3, s3
; %bb.55:
	v_and_b32_e32 v134, 0xffff, v142
	v_or_b32_e32 v139, 0x10000, v142
	s_delay_alu instid0(VALU_DEP_2) | instskip(NEXT) | instid1(VALU_DEP_2)
	v_cmp_eq_u32_e32 vcc_lo, 0, v134
	v_cndmask_b32_e32 v134, v139, v142, vcc_lo
; %bb.56:
	s_or_b32 exec_lo, exec_lo, s3
	v_and_b32_e32 v139, 0x7f800000, v141
	s_delay_alu instid0(VALU_DEP_1) | instskip(SKIP_1) | instid1(SALU_CYCLE_1)
	v_cmp_ne_u32_e32 vcc_lo, 0x7f800000, v139
                                        ; implicit-def: $vgpr139
	s_and_saveexec_b32 s3, vcc_lo
	s_xor_b32 s3, exec_lo, s3
; %bb.57:
	v_bfe_u32 v139, v141, 16, 1
	s_delay_alu instid0(VALU_DEP_1)
	v_add3_u32 v139, v141, v139, 0x7fff
                                        ; implicit-def: $vgpr141
; %bb.58:
	s_and_not1_saveexec_b32 s3, s3
; %bb.59:
	v_and_b32_e32 v139, 0xffff, v141
	v_or_b32_e32 v142, 0x10000, v141
	s_delay_alu instid0(VALU_DEP_2) | instskip(NEXT) | instid1(VALU_DEP_2)
	v_cmp_eq_u32_e32 vcc_lo, 0, v139
	v_cndmask_b32_e32 v139, v142, v141, vcc_lo
; %bb.60:
	s_or_b32 exec_lo, exec_lo, s3
	v_and_b32_e32 v141, 0x7f800000, v135
	s_delay_alu instid0(VALU_DEP_1) | instskip(SKIP_1) | instid1(SALU_CYCLE_1)
	v_cmp_ne_u32_e32 vcc_lo, 0x7f800000, v141
                                        ; implicit-def: $vgpr141
	s_and_saveexec_b32 s3, vcc_lo
	s_xor_b32 s3, exec_lo, s3
; %bb.61:
	v_bfe_u32 v141, v135, 16, 1
	s_delay_alu instid0(VALU_DEP_1)
	v_add3_u32 v141, v135, v141, 0x7fff
                                        ; implicit-def: $vgpr135
; %bb.62:
	s_and_not1_saveexec_b32 s3, s3
; %bb.63:
	v_and_b32_e32 v141, 0xffff, v135
	v_or_b32_e32 v142, 0x10000, v135
	s_delay_alu instid0(VALU_DEP_2) | instskip(NEXT) | instid1(VALU_DEP_2)
	v_cmp_eq_u32_e32 vcc_lo, 0, v141
	v_cndmask_b32_e32 v141, v142, v135, vcc_lo
; %bb.64:
	s_or_b32 exec_lo, exec_lo, s3
	v_and_b32_e32 v135, 0x7f800000, v136
	s_delay_alu instid0(VALU_DEP_1) | instskip(SKIP_1) | instid1(SALU_CYCLE_1)
	v_cmp_ne_u32_e32 vcc_lo, 0x7f800000, v135
                                        ; implicit-def: $vgpr135
	s_and_saveexec_b32 s3, vcc_lo
	s_xor_b32 s3, exec_lo, s3
; %bb.65:
	v_bfe_u32 v135, v136, 16, 1
	s_delay_alu instid0(VALU_DEP_1)
	v_add3_u32 v135, v136, v135, 0x7fff
                                        ; implicit-def: $vgpr136
; %bb.66:
	s_and_not1_saveexec_b32 s3, s3
; %bb.67:
	v_and_b32_e32 v135, 0xffff, v136
	v_or_b32_e32 v142, 0x10000, v136
	s_delay_alu instid0(VALU_DEP_2) | instskip(NEXT) | instid1(VALU_DEP_2)
	v_cmp_eq_u32_e32 vcc_lo, 0, v135
	v_cndmask_b32_e32 v135, v142, v136, vcc_lo
; %bb.68:
	s_or_b32 exec_lo, exec_lo, s3
	v_and_b32_e32 v136, 0x7f800000, v137
	s_delay_alu instid0(VALU_DEP_1) | instskip(SKIP_1) | instid1(SALU_CYCLE_1)
	v_cmp_ne_u32_e32 vcc_lo, 0x7f800000, v136
                                        ; implicit-def: $vgpr136
	s_and_saveexec_b32 s3, vcc_lo
	s_xor_b32 s3, exec_lo, s3
; %bb.69:
	v_bfe_u32 v136, v137, 16, 1
	s_delay_alu instid0(VALU_DEP_1)
	v_add3_u32 v136, v137, v136, 0x7fff
                                        ; implicit-def: $vgpr137
; %bb.70:
	s_and_not1_saveexec_b32 s3, s3
; %bb.71:
	v_and_b32_e32 v136, 0xffff, v137
	v_or_b32_e32 v142, 0x10000, v137
	s_delay_alu instid0(VALU_DEP_2) | instskip(NEXT) | instid1(VALU_DEP_2)
	v_cmp_eq_u32_e32 vcc_lo, 0, v136
	v_cndmask_b32_e32 v136, v142, v137, vcc_lo
; %bb.72:
	s_or_b32 exec_lo, exec_lo, s3
	v_and_b32_e32 v137, 0x7f800000, v138
	s_delay_alu instid0(VALU_DEP_1) | instskip(SKIP_1) | instid1(SALU_CYCLE_1)
	v_cmp_ne_u32_e32 vcc_lo, 0x7f800000, v137
                                        ; implicit-def: $vgpr137
	s_and_saveexec_b32 s3, vcc_lo
	s_xor_b32 s3, exec_lo, s3
; %bb.73:
	v_bfe_u32 v137, v138, 16, 1
	s_delay_alu instid0(VALU_DEP_1)
	v_add3_u32 v137, v138, v137, 0x7fff
                                        ; implicit-def: $vgpr138
; %bb.74:
	s_and_not1_saveexec_b32 s3, s3
; %bb.75:
	v_and_b32_e32 v137, 0xffff, v138
	v_or_b32_e32 v142, 0x10000, v138
	s_delay_alu instid0(VALU_DEP_2) | instskip(NEXT) | instid1(VALU_DEP_2)
	v_cmp_eq_u32_e32 vcc_lo, 0, v137
	v_cndmask_b32_e32 v137, v142, v138, vcc_lo
; %bb.76:
	s_or_b32 exec_lo, exec_lo, s3
	s_delay_alu instid0(VALU_DEP_1)
	v_perm_b32 v136, v137, v136, 0x7060302
	v_perm_b32 v135, v135, v141, 0x7060302
	;; [unrolled: 1-line block ×4, first 2 shown]
	v_lshl_or_b32 v141, v149, 11, v140
	ds_store_b128 v131, v[133:136] offset:1024
	s_waitcnt lgkmcnt(0)
	s_barrier
	buffer_gl0_inv
	ds_load_b128 v[132:135], v141
	ds_load_b128 v[149:152], v141 offset:16
	s_waitcnt lgkmcnt(1)
	v_lshrrev_b32_e32 v136, 16, v132
	s_waitcnt lgkmcnt(0)
	v_lshrrev_b32_e32 v164, 16, v151
	v_lshlrev_b32_e32 v138, 2, v146
	v_lshrrev_b32_e32 v143, 16, v149
	v_lshrrev_b32_e32 v162, 16, v150
	;; [unrolled: 1-line block ×4, first 2 shown]
	v_or_b32_e32 v139, 1, v138
	v_lshrrev_b32_e32 v165, 16, v152
	v_lshrrev_b32_e32 v163, 16, v135
	s_delay_alu instid0(VALU_DEP_3)
	v_cmp_eq_u32_e64 s7, 1, v139
	v_cmp_eq_u32_e64 s6, 2, v139
	;; [unrolled: 1-line block ×4, first 2 shown]
	v_cmp_eq_u32_e32 vcc_lo, 5, v139
	v_cndmask_b32_e64 v155, v149, v143, s7
	v_cndmask_b32_e64 v154, v132, v136, s7
	v_cmp_eq_u32_e64 s4, 6, v139
	v_cmp_eq_u32_e64 s19, 7, v139
	s_delay_alu instid0(VALU_DEP_4) | instskip(NEXT) | instid1(VALU_DEP_4)
	v_cndmask_b32_e64 v155, v155, v150, s6
	v_cndmask_b32_e64 v154, v154, v133, s6
	s_delay_alu instid0(VALU_DEP_2) | instskip(NEXT) | instid1(VALU_DEP_2)
	v_cndmask_b32_e64 v155, v155, v162, s5
	v_cndmask_b32_e64 v154, v154, v144, s5
	s_delay_alu instid0(VALU_DEP_2) | instskip(NEXT) | instid1(VALU_DEP_2)
	v_cndmask_b32_e64 v155, v155, v151, s3
	v_cndmask_b32_e64 v154, v154, v134, s3
	s_delay_alu instid0(VALU_DEP_2)
	v_cndmask_b32_e32 v157, v155, v164, vcc_lo
	v_cmp_eq_u32_e64 s12, 1, v138
	v_cmp_eq_u32_e64 s11, 2, v138
	;; [unrolled: 1-line block ×3, first 2 shown]
	v_or_b32_e32 v137, 2, v138
	v_cmp_eq_u32_e64 s17, 4, v138
	v_cndmask_b32_e64 v153, v149, v143, s12
	v_cndmask_b32_e64 v142, v132, v136, s12
	v_cmp_eq_u32_e64 s13, 5, v138
	v_cmp_eq_u32_e64 s8, 1, v137
	;; [unrolled: 1-line block ×3, first 2 shown]
	v_cndmask_b32_e64 v153, v153, v150, s11
	v_cndmask_b32_e64 v142, v142, v133, s11
	v_cmp_eq_u32_e64 s10, 2, v137
	v_cndmask_b32_e64 v156, v132, v136, s8
	v_cndmask_b32_e32 v154, v154, v161, vcc_lo
	v_cndmask_b32_e64 v153, v153, v162, s16
	v_cndmask_b32_e64 v142, v142, v144, s16
	v_cmp_eq_u32_e64 s9, 7, v138
	v_cndmask_b32_e64 v156, v156, v133, s10
	v_cmp_eq_u32_e64 s18, 3, v137
	v_cndmask_b32_e64 v153, v153, v151, s17
	v_cndmask_b32_e64 v142, v142, v134, s17
	;; [unrolled: 1-line block ×3, first 2 shown]
	v_cmp_eq_u32_e64 s20, 4, v137
	v_cndmask_b32_e64 v156, v156, v144, s18
	v_cndmask_b32_e64 v153, v153, v164, s13
	;; [unrolled: 1-line block ×4, first 2 shown]
	v_cmp_eq_u32_e64 s22, 5, v137
	v_cndmask_b32_e64 v159, v156, v134, s20
	v_cndmask_b32_e64 v153, v153, v152, s15
	;; [unrolled: 1-line block ×3, first 2 shown]
	v_cmp_eq_u32_e64 s25, 6, v137
	v_cmp_eq_u32_e64 s27, 7, v137
	v_cndmask_b32_e64 v169, v159, v161, s22
	v_cndmask_b32_e64 v167, v153, v165, s9
	;; [unrolled: 1-line block ×4, first 2 shown]
	v_or_b32_e32 v142, 3, v138
	s_delay_alu instid0(VALU_DEP_3)
	v_cndmask_b32_e64 v158, v153, v150, s10
	ds_load_b128 v[153:156], v141 offset:1024
	v_cmp_eq_u32_e64 s21, 1, v142
	v_cmp_eq_u32_e64 s23, 2, v142
	;; [unrolled: 1-line block ×3, first 2 shown]
	v_cndmask_b32_e64 v158, v158, v162, s18
	v_cmp_eq_u32_e64 s26, 4, v142
	v_cndmask_b32_e64 v132, v132, v136, s21
	v_cndmask_b32_e64 v136, v157, v152, s4
	;; [unrolled: 1-line block ×4, first 2 shown]
	ds_load_b128 v[157:160], v141 offset:1040
	v_cndmask_b32_e64 v132, v132, v133, s23
	v_cmp_eq_u32_e64 s28, 5, v142
	v_cndmask_b32_e64 v143, v143, v150, s23
	v_cmp_eq_u32_e64 s29, 6, v142
	v_cndmask_b32_e64 v133, v170, v164, s22
	v_cndmask_b32_e64 v132, v132, v144, s24
	;; [unrolled: 1-line block ×5, first 2 shown]
	s_waitcnt lgkmcnt(1)
	v_lshrrev_b32_e32 v149, 16, v153
	v_cndmask_b32_e64 v132, v132, v134, s26
	v_cndmask_b32_e64 v133, v133, v152, s25
	;; [unrolled: 1-line block ×3, first 2 shown]
	v_lshrrev_b32_e32 v151, 16, v154
	v_cndmask_b32_e64 v143, v153, v149, s12
	v_cndmask_b32_e64 v132, v132, v161, s28
	;; [unrolled: 1-line block ×5, first 2 shown]
	s_waitcnt lgkmcnt(0)
	v_lshrrev_b32_e32 v150, 16, v157
	v_cndmask_b32_e64 v143, v143, v154, s11
	v_cndmask_b32_e64 v132, v132, v135, s29
	;; [unrolled: 1-line block ×3, first 2 shown]
	v_lshrrev_b32_e32 v164, 16, v159
	v_cndmask_b32_e64 v162, v157, v150, s12
	v_cndmask_b32_e64 v135, v143, v151, s16
	;; [unrolled: 1-line block ×3, first 2 shown]
	v_lshrrev_b32_e32 v161, 16, v158
	v_cndmask_b32_e64 v133, v133, v165, s27
	v_cndmask_b32_e64 v152, v162, v158, s11
	v_cmp_eq_u32_e64 s11, 7, v142
	v_cndmask_b32_e64 v143, v143, v151, s5
	v_cndmask_b32_e64 v135, v135, v155, s17
	v_lshrrev_b32_e32 v162, 16, v155
	v_cndmask_b32_e64 v152, v152, v161, s16
	v_cndmask_b32_e64 v132, v132, v163, s11
	;; [unrolled: 1-line block ×6, first 2 shown]
	s_delay_alu instid0(VALU_DEP_4) | instskip(NEXT) | instid1(VALU_DEP_4)
	v_perm_b32 v135, v134, v132, 0x5040100
	v_cndmask_b32_e32 v132, v143, v162, vcc_lo
	s_delay_alu instid0(VALU_DEP_4)
	v_cndmask_b32_e64 v143, v163, v156, s15
	v_lshrrev_b32_e32 v163, 16, v156
	v_cndmask_b32_e64 v152, v152, v164, s13
	v_perm_b32 v134, v133, v144, 0x5040100
	v_cndmask_b32_e64 v132, v132, v156, s4
	v_perm_b32 v133, v136, v168, 0x5040100
	v_cndmask_b32_e64 v136, v143, v163, s9
	v_cndmask_b32_e64 v143, v152, v160, s15
	;; [unrolled: 1-line block ×13, first 2 shown]
	v_lshrrev_b32_e32 v144, 16, v160
	v_cndmask_b32_e64 v132, v132, v151, s18
	v_cndmask_b32_e64 v149, v149, v151, s24
	;; [unrolled: 1-line block ×14, first 2 shown]
	v_cndmask_b32_e32 v150, v150, v164, vcc_lo
	v_cndmask_b32_e64 v132, v132, v156, s25
	v_cndmask_b32_e64 v149, v149, v156, s29
	;; [unrolled: 1-line block ×11, first 2 shown]
	v_perm_b32 v132, v167, v166, 0x5040100
	v_perm_b32 v152, v151, v149, 0x5040100
	;; [unrolled: 1-line block ×5, first 2 shown]
	s_mul_i32 s8, s35, 14
	s_mov_b32 s3, exec_lo
	ds_store_b128 v131, v[132:135]
	ds_store_b128 v131, v[149:152] offset:1024
	v_cmpx_gt_u32_e32 14, v0
	s_cbranch_execz .LBB491_78
; %bb.77:
	s_mul_i32 s4, s8, s30
	s_delay_alu instid0(SALU_CYCLE_1) | instskip(SKIP_1) | instid1(VALU_DEP_1)
	v_add3_u32 v133, s4, s31, v148
	s_load_b128 s[4:7], s[0:1], 0x58
	v_mad_u64_u32 v[131:132], null, v133, s34, s[14:15]
	s_delay_alu instid0(VALU_DEP_1) | instskip(NEXT) | instid1(VALU_DEP_1)
	v_ashrrev_i32_e32 v132, 31, v131
	v_lshlrev_b64 v[131:132], 2, v[131:132]
	s_waitcnt lgkmcnt(0)
	s_delay_alu instid0(VALU_DEP_1) | instskip(NEXT) | instid1(VALU_DEP_2)
	v_add_co_u32 v133, vcc_lo, s6, v131
	v_add_co_ci_u32_e32 v134, vcc_lo, s7, v132, vcc_lo
	v_add_co_u32 v131, vcc_lo, s4, v131
	v_add_co_ci_u32_e32 v132, vcc_lo, s5, v132, vcc_lo
	global_store_b32 v[133:134], v129, off
	global_store_b32 v[131:132], v130, off
.LBB491_78:
	s_or_b32 exec_lo, exec_lo, s3
	s_waitcnt lgkmcnt(0)
	s_waitcnt_vscnt null, 0x0
	s_barrier
	buffer_gl0_inv
	ds_load_b128 v[148:151], v140
	ds_load_b128 v[152:155], v140 offset:16
	ds_load_b128 v[160:163], v140 offset:1040
	;; [unrolled: 1-line block ×3, first 2 shown]
	v_mov_b32_e32 v129, 0
	ds_load_b128 v[168:171], v140 offset:2064
	ds_load_b128 v[164:167], v140 offset:2048
	;; [unrolled: 1-line block ×6, first 2 shown]
	v_mov_b32_e32 v130, v129
	v_mov_b32_e32 v131, v129
	;; [unrolled: 1-line block ×7, first 2 shown]
	s_waitcnt lgkmcnt(8)
	s_delay_alu instid0(VALU_DEP_1)
	v_wmma_f32_16x16x16_bf16 v[129:136], v[121:128], v[148:155], v[129:136]
	ds_load_b128 v[125:128], v140 offset:5136
	ds_load_b128 v[121:124], v140 offset:5120
	s_waitcnt lgkmcnt(8)
	v_wmma_f32_16x16x16_bf16 v[129:136], v[113:120], v[156:163], v[129:136]
	ds_load_b128 v[117:120], v140 offset:6160
	ds_load_b128 v[113:116], v140 offset:6144
	s_waitcnt lgkmcnt(8)
	;; [unrolled: 4-line block ×8, first 2 shown]
	v_wmma_f32_16x16x16_bf16 v[129:136], v[65:72], v[97:104], v[129:136]
	s_waitcnt lgkmcnt(6)
	s_delay_alu instid0(VALU_DEP_1)
	v_wmma_f32_16x16x16_bf16 v[129:136], v[49:56], v[89:96], v[129:136]
	ds_load_b128 v[53:56], v140 offset:13328
	ds_load_b128 v[49:52], v140 offset:13312
	s_waitcnt lgkmcnt(6)
	v_wmma_f32_16x16x16_bf16 v[129:136], v[41:48], v[81:88], v[129:136]
	ds_load_b128 v[45:48], v140 offset:14352
	ds_load_b128 v[41:44], v140 offset:14336
	s_waitcnt lgkmcnt(6)
	;; [unrolled: 4-line block ×3, first 2 shown]
	v_wmma_f32_16x16x16_bf16 v[129:136], v[1:8], v[57:64], v[129:136]
	s_waitcnt lgkmcnt(4)
	s_delay_alu instid0(VALU_DEP_1) | instskip(SKIP_1) | instid1(VALU_DEP_1)
	v_wmma_f32_16x16x16_bf16 v[129:136], v[25:32], v[49:56], v[129:136]
	s_waitcnt lgkmcnt(2)
	v_wmma_f32_16x16x16_bf16 v[129:136], v[33:40], v[41:48], v[129:136]
	s_waitcnt lgkmcnt(0)
	s_delay_alu instid0(VALU_DEP_1) | instskip(NEXT) | instid1(VALU_DEP_1)
	v_wmma_f32_16x16x16_bf16 v[129:136], v[9:16], v[17:24], v[129:136]
	v_and_b32_e32 v1, 0x7f800000, v129
	s_delay_alu instid0(VALU_DEP_1) | instskip(SKIP_1) | instid1(SALU_CYCLE_1)
	v_cmp_ne_u32_e32 vcc_lo, 0x7f800000, v1
                                        ; implicit-def: $vgpr1
	s_and_saveexec_b32 s3, vcc_lo
	s_xor_b32 s3, exec_lo, s3
; %bb.79:
	v_bfe_u32 v1, v129, 16, 1
	s_delay_alu instid0(VALU_DEP_1)
	v_add3_u32 v1, v129, v1, 0x7fff
; %bb.80:
	s_and_not1_saveexec_b32 s3, s3
; %bb.81:
	v_and_b32_e32 v1, 0xffff, v129
	v_or_b32_e32 v2, 0x10000, v129
	s_delay_alu instid0(VALU_DEP_2) | instskip(NEXT) | instid1(VALU_DEP_2)
	v_cmp_eq_u32_e32 vcc_lo, 0, v1
	v_cndmask_b32_e32 v1, v2, v129, vcc_lo
; %bb.82:
	s_or_b32 exec_lo, exec_lo, s3
	v_and_b32_e32 v2, 0x7f800000, v130
	s_delay_alu instid0(VALU_DEP_1) | instskip(SKIP_1) | instid1(SALU_CYCLE_1)
	v_cmp_ne_u32_e32 vcc_lo, 0x7f800000, v2
                                        ; implicit-def: $vgpr2
	s_and_saveexec_b32 s3, vcc_lo
	s_xor_b32 s3, exec_lo, s3
; %bb.83:
	v_bfe_u32 v2, v130, 16, 1
	s_delay_alu instid0(VALU_DEP_1)
	v_add3_u32 v2, v130, v2, 0x7fff
; %bb.84:
	s_and_not1_saveexec_b32 s3, s3
; %bb.85:
	v_and_b32_e32 v2, 0xffff, v130
	v_or_b32_e32 v3, 0x10000, v130
	s_delay_alu instid0(VALU_DEP_2) | instskip(NEXT) | instid1(VALU_DEP_2)
	v_cmp_eq_u32_e32 vcc_lo, 0, v2
	v_cndmask_b32_e32 v2, v3, v130, vcc_lo
; %bb.86:
	s_or_b32 exec_lo, exec_lo, s3
	v_and_b32_e32 v3, 0x7f800000, v131
	s_delay_alu instid0(VALU_DEP_1) | instskip(SKIP_1) | instid1(SALU_CYCLE_1)
	v_cmp_ne_u32_e32 vcc_lo, 0x7f800000, v3
                                        ; implicit-def: $vgpr3
	s_and_saveexec_b32 s3, vcc_lo
	s_xor_b32 s3, exec_lo, s3
; %bb.87:
	v_bfe_u32 v3, v131, 16, 1
	s_delay_alu instid0(VALU_DEP_1)
	v_add3_u32 v3, v131, v3, 0x7fff
; %bb.88:
	s_and_not1_saveexec_b32 s3, s3
; %bb.89:
	v_and_b32_e32 v3, 0xffff, v131
	v_or_b32_e32 v4, 0x10000, v131
	s_delay_alu instid0(VALU_DEP_2) | instskip(NEXT) | instid1(VALU_DEP_2)
	v_cmp_eq_u32_e32 vcc_lo, 0, v3
	v_cndmask_b32_e32 v3, v4, v131, vcc_lo
; %bb.90:
	s_or_b32 exec_lo, exec_lo, s3
	v_and_b32_e32 v4, 0x7f800000, v132
	s_delay_alu instid0(VALU_DEP_1) | instskip(SKIP_1) | instid1(SALU_CYCLE_1)
	v_cmp_ne_u32_e32 vcc_lo, 0x7f800000, v4
                                        ; implicit-def: $vgpr4
	s_and_saveexec_b32 s3, vcc_lo
	s_xor_b32 s3, exec_lo, s3
; %bb.91:
	v_bfe_u32 v4, v132, 16, 1
	s_delay_alu instid0(VALU_DEP_1)
	v_add3_u32 v4, v132, v4, 0x7fff
; %bb.92:
	s_and_not1_saveexec_b32 s3, s3
; %bb.93:
	v_and_b32_e32 v4, 0xffff, v132
	v_or_b32_e32 v5, 0x10000, v132
	s_delay_alu instid0(VALU_DEP_2) | instskip(NEXT) | instid1(VALU_DEP_2)
	v_cmp_eq_u32_e32 vcc_lo, 0, v4
	v_cndmask_b32_e32 v4, v5, v132, vcc_lo
; %bb.94:
	s_or_b32 exec_lo, exec_lo, s3
	v_and_b32_e32 v5, 0x7f800000, v133
	s_delay_alu instid0(VALU_DEP_1) | instskip(SKIP_1) | instid1(SALU_CYCLE_1)
	v_cmp_ne_u32_e32 vcc_lo, 0x7f800000, v5
                                        ; implicit-def: $vgpr5
	s_and_saveexec_b32 s3, vcc_lo
	s_xor_b32 s3, exec_lo, s3
; %bb.95:
	v_bfe_u32 v5, v133, 16, 1
	s_delay_alu instid0(VALU_DEP_1)
	v_add3_u32 v5, v133, v5, 0x7fff
; %bb.96:
	s_and_not1_saveexec_b32 s3, s3
; %bb.97:
	v_and_b32_e32 v5, 0xffff, v133
	v_or_b32_e32 v6, 0x10000, v133
	s_delay_alu instid0(VALU_DEP_2) | instskip(NEXT) | instid1(VALU_DEP_2)
	v_cmp_eq_u32_e32 vcc_lo, 0, v5
	v_cndmask_b32_e32 v5, v6, v133, vcc_lo
; %bb.98:
	s_or_b32 exec_lo, exec_lo, s3
	v_and_b32_e32 v6, 0x7f800000, v134
	s_delay_alu instid0(VALU_DEP_1) | instskip(SKIP_1) | instid1(SALU_CYCLE_1)
	v_cmp_ne_u32_e32 vcc_lo, 0x7f800000, v6
                                        ; implicit-def: $vgpr6
	s_and_saveexec_b32 s3, vcc_lo
	s_xor_b32 s3, exec_lo, s3
; %bb.99:
	v_bfe_u32 v6, v134, 16, 1
	s_delay_alu instid0(VALU_DEP_1)
	v_add3_u32 v6, v134, v6, 0x7fff
; %bb.100:
	s_and_not1_saveexec_b32 s3, s3
; %bb.101:
	v_and_b32_e32 v6, 0xffff, v134
	v_or_b32_e32 v7, 0x10000, v134
	s_delay_alu instid0(VALU_DEP_2) | instskip(NEXT) | instid1(VALU_DEP_2)
	v_cmp_eq_u32_e32 vcc_lo, 0, v6
	v_cndmask_b32_e32 v6, v7, v134, vcc_lo
; %bb.102:
	s_or_b32 exec_lo, exec_lo, s3
	v_and_b32_e32 v7, 0x7f800000, v135
	s_delay_alu instid0(VALU_DEP_1) | instskip(SKIP_1) | instid1(SALU_CYCLE_1)
	v_cmp_ne_u32_e32 vcc_lo, 0x7f800000, v7
                                        ; implicit-def: $vgpr7
	s_and_saveexec_b32 s3, vcc_lo
	s_xor_b32 s3, exec_lo, s3
; %bb.103:
	v_bfe_u32 v7, v135, 16, 1
	s_delay_alu instid0(VALU_DEP_1)
	v_add3_u32 v7, v135, v7, 0x7fff
; %bb.104:
	s_and_not1_saveexec_b32 s3, s3
; %bb.105:
	v_and_b32_e32 v7, 0xffff, v135
	v_or_b32_e32 v8, 0x10000, v135
	s_delay_alu instid0(VALU_DEP_2) | instskip(NEXT) | instid1(VALU_DEP_2)
	v_cmp_eq_u32_e32 vcc_lo, 0, v7
	v_cndmask_b32_e32 v7, v8, v135, vcc_lo
; %bb.106:
	s_or_b32 exec_lo, exec_lo, s3
	v_and_b32_e32 v8, 0x7f800000, v136
	s_delay_alu instid0(VALU_DEP_1) | instskip(SKIP_1) | instid1(SALU_CYCLE_1)
	v_cmp_ne_u32_e32 vcc_lo, 0x7f800000, v8
                                        ; implicit-def: $vgpr8
	s_and_saveexec_b32 s3, vcc_lo
	s_xor_b32 s3, exec_lo, s3
; %bb.107:
	v_bfe_u32 v8, v136, 16, 1
	s_delay_alu instid0(VALU_DEP_1)
	v_add3_u32 v8, v136, v8, 0x7fff
                                        ; implicit-def: $vgpr129_vgpr130_vgpr131_vgpr132_vgpr133_vgpr134_vgpr135_vgpr136
; %bb.108:
	s_and_not1_saveexec_b32 s3, s3
; %bb.109:
	v_and_b32_e32 v8, 0xffff, v136
	v_or_b32_e32 v9, 0x10000, v136
	s_delay_alu instid0(VALU_DEP_2) | instskip(NEXT) | instid1(VALU_DEP_2)
	v_cmp_eq_u32_e32 vcc_lo, 0, v8
	v_cndmask_b32_e32 v8, v9, v136, vcc_lo
; %bb.110:
	s_or_b32 exec_lo, exec_lo, s3
	s_delay_alu instid0(VALU_DEP_1)
	v_perm_b32 v7, v8, v7, 0x7060302
	v_perm_b32 v6, v6, v5, 0x7060302
	;; [unrolled: 1-line block ×4, first 2 shown]
	v_lshl_or_b32 v9, v146, 4, v141
	s_barrier
	buffer_gl0_inv
	v_cmp_eq_u32_e32 vcc_lo, 1, v138
	ds_store_b128 v9, v[4:7]
	s_waitcnt lgkmcnt(0)
	s_barrier
	buffer_gl0_inv
	ds_load_b128 v[1:4], v141
	ds_load_b128 v[5:8], v141 offset:16
	v_cmp_eq_u32_e64 s4, 2, v138
	v_cmp_eq_u32_e64 s3, 1, v139
	;; [unrolled: 1-line block ×5, first 2 shown]
	s_waitcnt lgkmcnt(1)
	v_lshrrev_b32_e32 v10, 16, v1
	s_waitcnt lgkmcnt(0)
	v_lshrrev_b32_e32 v14, 16, v5
	v_lshrrev_b32_e32 v15, 16, v6
	;; [unrolled: 1-line block ×4, first 2 shown]
	v_cndmask_b32_e64 v20, v1, v10, s3
	v_cndmask_b32_e32 v19, v5, v14, vcc_lo
	v_cndmask_b32_e64 v21, v5, v14, s3
	v_lshrrev_b32_e32 v16, 16, v7
	v_cmp_eq_u32_e64 s3, 1, v137
	v_lshrrev_b32_e32 v13, 16, v4
	v_cndmask_b32_e64 v19, v19, v6, s4
	v_lshrrev_b32_e32 v17, 16, v8
	s_delay_alu instid0(VALU_DEP_4) | instskip(SKIP_1) | instid1(VALU_DEP_4)
	v_cndmask_b32_e64 v22, v1, v10, s3
	v_cndmask_b32_e64 v23, v5, v14, s3
	v_cndmask_b32_e64 v19, v19, v15, s5
	v_cndmask_b32_e32 v18, v1, v10, vcc_lo
	v_cmp_eq_u32_e32 vcc_lo, 2, v139
	v_cmp_eq_u32_e64 s3, 2, v142
	v_cndmask_b32_e64 v22, v22, v2, s7
	v_cndmask_b32_e32 v20, v20, v2, vcc_lo
	v_cndmask_b32_e32 v21, v21, v6, vcc_lo
	v_cmp_eq_u32_e32 vcc_lo, 4, v138
	v_cndmask_b32_e32 v19, v19, v7, vcc_lo
	v_cndmask_b32_e64 v18, v18, v2, s4
	v_cmp_eq_u32_e64 s4, 3, v139
	s_delay_alu instid0(VALU_DEP_2) | instskip(NEXT) | instid1(VALU_DEP_2)
	v_cndmask_b32_e64 v18, v18, v11, s5
	v_cndmask_b32_e64 v21, v21, v15, s4
	v_cmp_eq_u32_e64 s5, 5, v138
	s_delay_alu instid0(VALU_DEP_3) | instskip(SKIP_1) | instid1(VALU_DEP_3)
	v_cndmask_b32_e32 v18, v18, v3, vcc_lo
	v_cmp_eq_u32_e32 vcc_lo, 4, v139
	v_cndmask_b32_e64 v19, v19, v16, s5
	s_delay_alu instid0(VALU_DEP_3) | instskip(SKIP_4) | instid1(VALU_DEP_3)
	v_cndmask_b32_e64 v18, v18, v12, s5
	v_cndmask_b32_e32 v21, v21, v7, vcc_lo
	v_cndmask_b32_e64 v20, v20, v11, s4
	v_cmp_eq_u32_e64 s4, 5, v139
	v_cmp_eq_u32_e64 s5, 6, v138
	v_cndmask_b32_e32 v20, v20, v3, vcc_lo
	s_delay_alu instid0(VALU_DEP_3) | instskip(SKIP_1) | instid1(VALU_DEP_4)
	v_cndmask_b32_e64 v21, v21, v16, s4
	v_cmp_eq_u32_e32 vcc_lo, 6, v139
	v_cndmask_b32_e64 v18, v18, v4, s5
	v_cndmask_b32_e64 v19, v19, v8, s5
	;; [unrolled: 1-line block ×3, first 2 shown]
	v_cmp_eq_u32_e64 s4, 1, v142
	v_cmp_eq_u32_e64 s5, 7, v138
	s_delay_alu instid0(VALU_DEP_3) | instskip(NEXT) | instid1(VALU_DEP_3)
	v_cndmask_b32_e32 v20, v20, v4, vcc_lo
	v_cndmask_b32_e64 v1, v1, v10, s4
	v_cndmask_b32_e64 v5, v5, v14, s4
	v_cmp_eq_u32_e64 s4, 3, v137
	v_cndmask_b32_e64 v14, v23, v6, s7
	v_cmp_eq_u32_e64 s7, 3, v142
	v_cndmask_b32_e64 v1, v1, v2, s3
	v_cndmask_b32_e64 v2, v5, v6, s3
	;; [unrolled: 1-line block ×3, first 2 shown]
	v_cmp_eq_u32_e64 s3, 4, v137
	v_cndmask_b32_e64 v6, v14, v15, s4
	v_cndmask_b32_e64 v1, v1, v11, s7
	v_cmp_eq_u32_e64 s4, 4, v142
	v_cndmask_b32_e64 v2, v2, v15, s7
	v_cndmask_b32_e64 v5, v10, v3, s3
	;; [unrolled: 3-line block ×3, first 2 shown]
	v_cndmask_b32_e64 v2, v2, v7, s4
	v_cmp_eq_u32_e64 s3, 5, v142
	v_cndmask_b32_e64 v5, v5, v12, s7
	v_cmp_eq_u32_e64 s4, 6, v137
	;; [unrolled: 2-line block ×3, first 2 shown]
	v_cndmask_b32_e64 v1, v1, v12, s3
	v_cndmask_b32_e64 v2, v2, v16, s3
	;; [unrolled: 1-line block ×4, first 2 shown]
	v_cmp_eq_u32_e64 s3, 7, v142
	v_cndmask_b32_e64 v1, v1, v4, s7
	v_cndmask_b32_e64 v2, v2, v8, s7
	v_cmp_eq_u32_e64 s4, 7, v137
	v_cndmask_b32_e32 v4, v21, v8, vcc_lo
	v_cndmask_b32_e64 v18, v18, v13, s5
	v_cndmask_b32_e64 v20, v20, v13, s6
	;; [unrolled: 1-line block ×8, first 2 shown]
	v_cmp_gt_u32_e32 vcc_lo, 32, v0
	v_perm_b32 v4, v2, v1, 0x5040100
	v_perm_b32 v3, v3, v5, 0x5040100
	;; [unrolled: 1-line block ×4, first 2 shown]
	s_and_b32 s2, vcc_lo, s2
	ds_store_b128 v9, v[1:4]
	s_waitcnt lgkmcnt(0)
	s_barrier
	buffer_gl0_inv
	s_and_saveexec_b32 s3, s2
	s_cbranch_execz .LBB491_2
; %bb.111:
	s_load_b64 s[0:1], s[0:1], 0x68
	v_lshlrev_b32_e32 v0, 10, v0
	s_lshl_b32 s4, s34, 6
	v_or_b32_e32 v3, s31, v146
	s_mul_i32 s2, s4, s30
	v_lshlrev_b32_e32 v1, 4, v147
	v_lshlrev_b32_e32 v2, 6, v146
	v_and_b32_e32 v0, 0x3800, v0
	s_mul_i32 s2, s2, s8
	v_mul_lo_u32 v8, v3, s4
	s_ashr_i32 s3, s2, 31
	s_delay_alu instid0(SALU_CYCLE_1)
	s_lshl_b64 s[2:3], s[2:3], 1
	v_or3_b32 v16, v0, v1, v2
	ds_load_b128 v[0:3], v16
	ds_load_b128 v[4:7], v16 offset:128
	v_ashrrev_i32_e32 v9, 31, v8
	s_waitcnt lgkmcnt(0)
	s_add_u32 s2, s0, s2
	s_addc_u32 s3, s1, s3
	s_lshl_b32 s0, s14, 6
	s_delay_alu instid0(SALU_CYCLE_1) | instskip(SKIP_2) | instid1(SALU_CYCLE_1)
	s_ashr_i32 s1, s0, 31
	v_lshlrev_b64 v[9:10], 1, v[8:9]
	s_lshl_b64 s[0:1], s[0:1], 1
	s_add_u32 s0, s2, s0
	s_addc_u32 s1, s3, s1
	s_lshl_b32 s2, s34, 7
	v_add_co_u32 v30, s0, s0, v145
	v_add_nc_u32_e32 v11, s2, v8
	v_add_co_ci_u32_e64 v31, null, s1, 0, s0
	s_delay_alu instid0(VALU_DEP_3) | instskip(NEXT) | instid1(VALU_DEP_3)
	v_add_co_u32 v9, vcc_lo, v30, v9
	v_add_nc_u32_e32 v8, s2, v11
	s_delay_alu instid0(VALU_DEP_3) | instskip(SKIP_1) | instid1(VALU_DEP_3)
	v_add_co_ci_u32_e32 v10, vcc_lo, v31, v10, vcc_lo
	v_ashrrev_i32_e32 v12, 31, v11
	v_add_nc_u32_e32 v13, s2, v8
	global_store_b128 v[9:10], v[0:3], off
	v_ashrrev_i32_e32 v9, 31, v8
	v_lshlrev_b64 v[11:12], 1, v[11:12]
	v_ashrrev_i32_e32 v14, 31, v13
	v_add_nc_u32_e32 v10, s2, v13
	s_delay_alu instid0(VALU_DEP_4) | instskip(NEXT) | instid1(VALU_DEP_4)
	v_lshlrev_b64 v[2:3], 1, v[8:9]
	v_add_co_u32 v0, vcc_lo, v30, v11
	s_delay_alu instid0(VALU_DEP_4)
	v_lshlrev_b64 v[8:9], 1, v[13:14]
	v_add_co_ci_u32_e32 v1, vcc_lo, v31, v12, vcc_lo
	v_ashrrev_i32_e32 v11, 31, v10
	v_add_co_u32 v22, vcc_lo, v30, v2
	v_add_nc_u32_e32 v20, s2, v10
	v_add_co_ci_u32_e32 v23, vcc_lo, v31, v3, vcc_lo
	v_add_co_u32 v24, vcc_lo, v30, v8
	global_store_b128 v[0:1], v[4:7], off
	v_add_co_ci_u32_e32 v25, vcc_lo, v31, v9, vcc_lo
	ds_load_b128 v[0:3], v16 offset:256
	ds_load_b128 v[4:7], v16 offset:384
	v_lshlrev_b64 v[26:27], 1, v[10:11]
	ds_load_b128 v[8:11], v16 offset:512
	ds_load_b128 v[12:15], v16 offset:640
	;; [unrolled: 1-line block ×3, first 2 shown]
	v_add_nc_u32_e32 v28, s2, v20
	v_ashrrev_i32_e32 v21, 31, v20
	v_add_co_u32 v26, vcc_lo, v30, v26
	s_delay_alu instid0(VALU_DEP_3) | instskip(NEXT) | instid1(VALU_DEP_3)
	v_ashrrev_i32_e32 v29, 31, v28
	v_lshlrev_b64 v[20:21], 1, v[20:21]
	v_add_co_ci_u32_e32 v27, vcc_lo, v31, v27, vcc_lo
	s_delay_alu instid0(VALU_DEP_3) | instskip(NEXT) | instid1(VALU_DEP_3)
	v_lshlrev_b64 v[28:29], 1, v[28:29]
	v_add_co_u32 v20, vcc_lo, v30, v20
	s_delay_alu instid0(VALU_DEP_4) | instskip(NEXT) | instid1(VALU_DEP_3)
	v_add_co_ci_u32_e32 v21, vcc_lo, v31, v21, vcc_lo
	v_add_co_u32 v28, vcc_lo, v30, v28
	s_delay_alu instid0(VALU_DEP_4)
	v_add_co_ci_u32_e32 v29, vcc_lo, v31, v29, vcc_lo
	s_waitcnt lgkmcnt(4)
	global_store_b128 v[22:23], v[0:3], off
	s_waitcnt lgkmcnt(3)
	global_store_b128 v[24:25], v[4:7], off
	;; [unrolled: 2-line block ×5, first 2 shown]
	s_nop 0
	s_sendmsg sendmsg(MSG_DEALLOC_VGPRS)
	s_endpgm
	.section	.rodata,"a",@progbits
	.p2align	6, 0x0
	.amdhsa_kernel _Z39paged_attention_ll4mi_QKV_mfma16_kernelI14__hip_bfloat16S0_LN4vllm18Fp8KVCacheDataTypeE0ES0_Li16ELi64ELi256ELb0ELi14EL8MFMAType0EEvPKT_PKT0_S9_ifPKiSB_SB_iPKfiiiPfSE_PS4_PT2_iSD_SD_
		.amdhsa_group_segment_fixed_size 17472
		.amdhsa_private_segment_fixed_size 0
		.amdhsa_kernarg_size 400
		.amdhsa_user_sgpr_count 13
		.amdhsa_user_sgpr_dispatch_ptr 0
		.amdhsa_user_sgpr_queue_ptr 0
		.amdhsa_user_sgpr_kernarg_segment_ptr 1
		.amdhsa_user_sgpr_dispatch_id 0
		.amdhsa_user_sgpr_private_segment_size 0
		.amdhsa_wavefront_size32 1
		.amdhsa_uses_dynamic_stack 0
		.amdhsa_enable_private_segment 0
		.amdhsa_system_sgpr_workgroup_id_x 1
		.amdhsa_system_sgpr_workgroup_id_y 1
		.amdhsa_system_sgpr_workgroup_id_z 1
		.amdhsa_system_sgpr_workgroup_info 0
		.amdhsa_system_vgpr_workitem_id 0
		.amdhsa_next_free_vgpr 198
		.amdhsa_next_free_sgpr 52
		.amdhsa_reserve_vcc 1
		.amdhsa_float_round_mode_32 0
		.amdhsa_float_round_mode_16_64 0
		.amdhsa_float_denorm_mode_32 3
		.amdhsa_float_denorm_mode_16_64 3
		.amdhsa_dx10_clamp 1
		.amdhsa_ieee_mode 1
		.amdhsa_fp16_overflow 0
		.amdhsa_workgroup_processor_mode 1
		.amdhsa_memory_ordered 1
		.amdhsa_forward_progress 0
		.amdhsa_shared_vgpr_count 0
		.amdhsa_exception_fp_ieee_invalid_op 0
		.amdhsa_exception_fp_denorm_src 0
		.amdhsa_exception_fp_ieee_div_zero 0
		.amdhsa_exception_fp_ieee_overflow 0
		.amdhsa_exception_fp_ieee_underflow 0
		.amdhsa_exception_fp_ieee_inexact 0
		.amdhsa_exception_int_div_zero 0
	.end_amdhsa_kernel
	.section	.text._Z39paged_attention_ll4mi_QKV_mfma16_kernelI14__hip_bfloat16S0_LN4vllm18Fp8KVCacheDataTypeE0ES0_Li16ELi64ELi256ELb0ELi14EL8MFMAType0EEvPKT_PKT0_S9_ifPKiSB_SB_iPKfiiiPfSE_PS4_PT2_iSD_SD_,"axG",@progbits,_Z39paged_attention_ll4mi_QKV_mfma16_kernelI14__hip_bfloat16S0_LN4vllm18Fp8KVCacheDataTypeE0ES0_Li16ELi64ELi256ELb0ELi14EL8MFMAType0EEvPKT_PKT0_S9_ifPKiSB_SB_iPKfiiiPfSE_PS4_PT2_iSD_SD_,comdat
.Lfunc_end491:
	.size	_Z39paged_attention_ll4mi_QKV_mfma16_kernelI14__hip_bfloat16S0_LN4vllm18Fp8KVCacheDataTypeE0ES0_Li16ELi64ELi256ELb0ELi14EL8MFMAType0EEvPKT_PKT0_S9_ifPKiSB_SB_iPKfiiiPfSE_PS4_PT2_iSD_SD_, .Lfunc_end491-_Z39paged_attention_ll4mi_QKV_mfma16_kernelI14__hip_bfloat16S0_LN4vllm18Fp8KVCacheDataTypeE0ES0_Li16ELi64ELi256ELb0ELi14EL8MFMAType0EEvPKT_PKT0_S9_ifPKiSB_SB_iPKfiiiPfSE_PS4_PT2_iSD_SD_
                                        ; -- End function
	.section	.AMDGPU.csdata,"",@progbits
; Kernel info:
; codeLenInByte = 10216
; NumSgprs: 54
; NumVgprs: 198
; ScratchSize: 0
; MemoryBound: 0
; FloatMode: 240
; IeeeMode: 1
; LDSByteSize: 17472 bytes/workgroup (compile time only)
; SGPRBlocks: 6
; VGPRBlocks: 24
; NumSGPRsForWavesPerEU: 54
; NumVGPRsForWavesPerEU: 198
; Occupancy: 7
; WaveLimiterHint : 1
; COMPUTE_PGM_RSRC2:SCRATCH_EN: 0
; COMPUTE_PGM_RSRC2:USER_SGPR: 13
; COMPUTE_PGM_RSRC2:TRAP_HANDLER: 0
; COMPUTE_PGM_RSRC2:TGID_X_EN: 1
; COMPUTE_PGM_RSRC2:TGID_Y_EN: 1
; COMPUTE_PGM_RSRC2:TGID_Z_EN: 1
; COMPUTE_PGM_RSRC2:TIDIG_COMP_CNT: 0
	.section	.text._Z39paged_attention_ll4mi_QKV_mfma16_kernelI14__hip_bfloat16S0_LN4vllm18Fp8KVCacheDataTypeE0ES0_Li16ELi64ELi256ELb0ELi15EL8MFMAType0EEvPKT_PKT0_S9_ifPKiSB_SB_iPKfiiiPfSE_PS4_PT2_iSD_SD_,"axG",@progbits,_Z39paged_attention_ll4mi_QKV_mfma16_kernelI14__hip_bfloat16S0_LN4vllm18Fp8KVCacheDataTypeE0ES0_Li16ELi64ELi256ELb0ELi15EL8MFMAType0EEvPKT_PKT0_S9_ifPKiSB_SB_iPKfiiiPfSE_PS4_PT2_iSD_SD_,comdat
	.protected	_Z39paged_attention_ll4mi_QKV_mfma16_kernelI14__hip_bfloat16S0_LN4vllm18Fp8KVCacheDataTypeE0ES0_Li16ELi64ELi256ELb0ELi15EL8MFMAType0EEvPKT_PKT0_S9_ifPKiSB_SB_iPKfiiiPfSE_PS4_PT2_iSD_SD_ ; -- Begin function _Z39paged_attention_ll4mi_QKV_mfma16_kernelI14__hip_bfloat16S0_LN4vllm18Fp8KVCacheDataTypeE0ES0_Li16ELi64ELi256ELb0ELi15EL8MFMAType0EEvPKT_PKT0_S9_ifPKiSB_SB_iPKfiiiPfSE_PS4_PT2_iSD_SD_
	.globl	_Z39paged_attention_ll4mi_QKV_mfma16_kernelI14__hip_bfloat16S0_LN4vllm18Fp8KVCacheDataTypeE0ES0_Li16ELi64ELi256ELb0ELi15EL8MFMAType0EEvPKT_PKT0_S9_ifPKiSB_SB_iPKfiiiPfSE_PS4_PT2_iSD_SD_
	.p2align	8
	.type	_Z39paged_attention_ll4mi_QKV_mfma16_kernelI14__hip_bfloat16S0_LN4vllm18Fp8KVCacheDataTypeE0ES0_Li16ELi64ELi256ELb0ELi15EL8MFMAType0EEvPKT_PKT0_S9_ifPKiSB_SB_iPKfiiiPfSE_PS4_PT2_iSD_SD_,@function
_Z39paged_attention_ll4mi_QKV_mfma16_kernelI14__hip_bfloat16S0_LN4vllm18Fp8KVCacheDataTypeE0ES0_Li16ELi64ELi256ELb0ELi15EL8MFMAType0EEvPKT_PKT0_S9_ifPKiSB_SB_iPKfiiiPfSE_PS4_PT2_iSD_SD_: ; @_Z39paged_attention_ll4mi_QKV_mfma16_kernelI14__hip_bfloat16S0_LN4vllm18Fp8KVCacheDataTypeE0ES0_Li16ELi64ELi256ELb0ELi15EL8MFMAType0EEvPKT_PKT0_S9_ifPKiSB_SB_iPKfiiiPfSE_PS4_PT2_iSD_SD_
; %bb.0:
	s_load_b64 s[2:3], s[0:1], 0x30
	s_mov_b32 s34, s13
	s_waitcnt lgkmcnt(0)
	s_cmp_lg_u64 s[2:3], 0
	s_cselect_b32 s6, -1, 0
	s_ashr_i32 s35, s13, 31
	s_cmp_eq_u64 s[2:3], 0
	s_cbranch_scc1 .LBB492_3
; %bb.1:
	s_lshl_b64 s[4:5], s[34:35], 2
	s_delay_alu instid0(SALU_CYCLE_1) | instskip(SKIP_4) | instid1(SALU_CYCLE_1)
	s_add_u32 s4, s2, s4
	s_addc_u32 s5, s3, s5
	s_load_b64 s[4:5], s[4:5], 0x0
	s_waitcnt lgkmcnt(0)
	s_sub_i32 s4, s5, s4
	s_cmp_eq_u32 s4, 1
	s_cselect_b32 s4, -1, 0
	s_delay_alu instid0(SALU_CYCLE_1)
	s_and_not1_b32 vcc_lo, exec_lo, s4
	s_cbranch_vccz .LBB492_4
.LBB492_2:
	s_nop 0
	s_sendmsg sendmsg(MSG_DEALLOC_VGPRS)
	s_endpgm
.LBB492_3:
.LBB492_4:
	s_load_b64 s[8:9], s[0:1], 0x28
	s_lshl_b64 s[4:5], s[34:35], 2
	s_waitcnt lgkmcnt(0)
	s_add_u32 s8, s8, s4
	s_addc_u32 s9, s9, s5
	s_lshl_b32 s33, s14, 8
	s_load_b32 s30, s[8:9], 0x0
	s_waitcnt lgkmcnt(0)
	s_cmp_ge_i32 s33, s30
	s_cbranch_scc1 .LBB492_2
; %bb.5:
	s_clause 0x1
	s_load_b128 s[8:11], s[0:1], 0x8
	s_load_b64 s[12:13], s[0:1], 0x20
	s_and_not1_b32 vcc_lo, exec_lo, s6
	s_cbranch_vccnz .LBB492_7
; %bb.6:
	s_add_u32 s2, s2, s4
	s_addc_u32 s3, s3, s5
	s_load_b32 s3, s[2:3], 0x0
	s_branch .LBB492_8
.LBB492_7:
	s_mov_b32 s3, s34
.LBB492_8:
	s_load_b128 s[4:7], s[0:1], 0x48
	v_lshrrev_b32_e32 v149, 5, v0
	v_bfe_u32 v146, v0, 4, 1
	v_and_b32_e32 v148, 15, v0
	v_and_b32_e32 v150, 31, v0
	;; [unrolled: 1-line block ×3, first 2 shown]
	s_mul_i32 s31, s15, 15
	v_lshl_or_b32 v1, v149, 1, v146
	v_lshlrev_b32_e32 v2, 3, v148
	v_cmp_gt_u32_e64 s2, 8, v148
	s_delay_alu instid0(VALU_DEP_3) | instskip(NEXT) | instid1(VALU_DEP_3)
	v_cmp_gt_u32_e32 vcc_lo, 15, v1
	v_lshlrev_b32_e32 v145, 1, v2
	s_delay_alu instid0(VALU_DEP_3)
	s_and_b32 s16, s2, vcc_lo
	s_waitcnt lgkmcnt(0)
	s_and_saveexec_b32 s7, s16
	s_cbranch_execz .LBB492_10
; %bb.9:
	s_load_b64 s[16:17], s[0:1], 0x0
	v_add_lshl_u32 v2, v1, s31, 6
	s_mul_hi_i32 s19, s3, s4
	s_mul_i32 s18, s3, s4
	v_lshlrev_b32_e32 v6, 10, v148
	s_lshl_b64 s[18:19], s[18:19], 1
	v_ashrrev_i32_e32 v3, 31, v2
	v_lshlrev_b32_e32 v1, 6, v1
	v_lshlrev_b32_e32 v7, 10, v147
	v_and_b32_e32 v6, 0x3800, v6
	s_delay_alu instid0(VALU_DEP_4) | instskip(NEXT) | instid1(VALU_DEP_2)
	v_lshlrev_b64 v[2:3], 1, v[2:3]
	v_or3_b32 v1, v6, v7, v1
	s_waitcnt lgkmcnt(0)
	s_add_u32 s3, s16, s18
	s_addc_u32 s4, s17, s19
	s_delay_alu instid0(VALU_DEP_2) | instskip(SKIP_1) | instid1(VALU_DEP_2)
	v_add_co_u32 v2, vcc_lo, s3, v2
	v_add_co_ci_u32_e32 v3, vcc_lo, s4, v3, vcc_lo
	v_add_co_u32 v2, vcc_lo, v2, v145
	s_delay_alu instid0(VALU_DEP_2)
	v_add_co_ci_u32_e32 v3, vcc_lo, 0, v3, vcc_lo
	global_load_b128 v[2:5], v[2:3], off
	s_waitcnt vmcnt(0)
	ds_store_b128 v1, v[2:5]
.LBB492_10:
	s_or_b32 exec_lo, exec_lo, s7
	s_mov_b32 s40, 0
	s_add_i32 s3, s30, 15
	s_mov_b32 s41, s40
	s_mov_b32 s42, s40
	;; [unrolled: 1-line block ×7, first 2 shown]
	s_delay_alu instid0(SALU_CYCLE_1)
	v_dual_mov_b32 v136, s47 :: v_dual_and_b32 v1, 0xef, v0
	v_mov_b32_e32 v134, s45
	s_clause 0x1
	s_load_b32 s4, s[0:1], 0x38
	s_load_b32 s35, s[0:1], 0x1c
	v_add_nc_u32_e32 v1, s33, v1
	s_ashr_i32 s7, s3, 31
	s_waitcnt lgkmcnt(0)
	s_lshr_b32 s7, s7, 28
	s_barrier
	v_ashrrev_i32_e32 v2, 31, v1
	s_add_i32 s3, s3, s7
	v_cmp_gt_i32_e32 vcc_lo, s30, v1
	s_ashr_i32 s3, s3, 4
	v_mov_b32_e32 v132, s43
	v_lshrrev_b32_e32 v3, 28, v2
	v_or_b32_e32 v2, 16, v1
	s_add_i32 s3, s3, -1
	buffer_gl0_inv
	s_mul_i32 s6, s15, s6
	v_add_nc_u32_e32 v4, v1, v3
	v_add_nc_u32_e32 v3, v2, v3
	v_mov_b32_e32 v135, s46
	s_mul_i32 s16, s34, s4
	v_mov_b32_e32 v133, s44
	v_ashrrev_i32_e32 v4, 4, v4
	v_ashrrev_i32_e32 v3, 4, v3
	s_ashr_i32 s17, s16, 31
	v_lshlrev_b32_e32 v22, 5, v148
	s_lshl_b64 s[16:17], s[16:17], 2
	v_cndmask_b32_e32 v1, s3, v4, vcc_lo
	v_cmp_gt_i32_e32 vcc_lo, s30, v2
	s_add_u32 s4, s12, s16
	s_addc_u32 s36, s13, s17
	s_ashr_i32 s7, s6, 31
	v_ashrrev_i32_e32 v2, 31, v1
	v_cndmask_b32_e32 v3, s3, v3, vcc_lo
	s_lshl_b64 s[6:7], s[6:7], 1
	v_mov_b32_e32 v131, s42
	s_add_u32 s24, s8, s6
	v_lshlrev_b64 v[1:2], 2, v[1:2]
	v_ashrrev_i32_e32 v4, 31, v3
	s_addc_u32 s25, s9, s7
	s_lshl_b32 s8, s14, 4
	v_mov_b32_e32 v129, s40
	s_ashr_i32 s9, s8, 31
	v_lshlrev_b64 v[3:4], 2, v[3:4]
	v_add_co_u32 v1, vcc_lo, s4, v1
	v_add_co_ci_u32_e32 v2, vcc_lo, s36, v2, vcc_lo
	s_lshl_b64 s[8:9], s[8:9], 2
	s_delay_alu instid0(VALU_DEP_3) | instskip(NEXT) | instid1(VALU_DEP_4)
	v_add_co_u32 v3, vcc_lo, s4, v3
	v_add_co_ci_u32_e32 v4, vcc_lo, s36, v4, vcc_lo
	s_clause 0x1
	global_load_b32 v5, v[1:2], off
	global_load_b32 v6, v[3:4], off
	s_add_u32 s8, s4, s8
	s_addc_u32 s9, s36, s9
	s_or_b32 s12, s33, 16
	v_dual_mov_b32 v130, s41 :: v_dual_lshlrev_b32 v3, 4, v0
	s_ashr_i32 s13, s12, 4
	s_cmp_lt_i32 s12, s30
	s_cselect_b32 s12, s13, s3
	s_delay_alu instid0(SALU_CYCLE_1) | instskip(NEXT) | instid1(SALU_CYCLE_1)
	s_ashr_i32 s13, s12, 31
	s_lshl_b64 s[12:13], s[12:13], 2
	s_delay_alu instid0(SALU_CYCLE_1) | instskip(SKIP_2) | instid1(SALU_CYCLE_1)
	s_add_u32 s12, s4, s12
	s_addc_u32 s13, s36, s13
	s_or_b32 s15, s33, 32
	s_ashr_i32 s16, s15, 4
	s_cmp_lt_i32 s15, s30
	s_cselect_b32 s16, s16, s3
	s_delay_alu instid0(SALU_CYCLE_1) | instskip(NEXT) | instid1(SALU_CYCLE_1)
	s_ashr_i32 s17, s16, 31
	s_lshl_b64 s[16:17], s[16:17], 2
	s_delay_alu instid0(SALU_CYCLE_1) | instskip(SKIP_2) | instid1(SALU_CYCLE_1)
	s_add_u32 s16, s4, s16
	s_addc_u32 s17, s36, s17
	s_or_b32 s15, s33, 48
	;; [unrolled: 10-line block ×4, first 2 shown]
	s_ashr_i32 s22, s15, 4
	s_cmp_lt_i32 s15, s30
	s_cselect_b32 s22, s22, s3
	s_delay_alu instid0(SALU_CYCLE_1) | instskip(NEXT) | instid1(SALU_CYCLE_1)
	s_ashr_i32 s23, s22, 31
	s_lshl_b64 s[22:23], s[22:23], 2
	s_delay_alu instid0(SALU_CYCLE_1)
	s_add_u32 s22, s4, s22
	s_addc_u32 s23, s36, s23
	s_clause 0x5
	s_load_b32 s8, s[8:9], 0x0
	s_load_b32 s12, s[12:13], 0x0
	;; [unrolled: 1-line block ×6, first 2 shown]
	s_waitcnt lgkmcnt(0)
	s_mul_hi_i32 s17, s16, s5
	s_mul_i32 s16, s16, s5
	s_waitcnt vmcnt(1)
	v_mad_i64_i32 v[1:2], null, v5, s5, 0
	v_and_b32_e32 v5, 0xf0, v3
	s_waitcnt vmcnt(0)
	v_mad_i64_i32 v[3:4], null, v6, s5, 0
	s_delay_alu instid0(VALU_DEP_2) | instskip(NEXT) | instid1(VALU_DEP_4)
	v_add_co_u32 v5, s9, s24, v5
	v_lshlrev_b64 v[1:2], 1, v[1:2]
	v_add_co_ci_u32_e64 v6, null, s25, 0, s9
	s_delay_alu instid0(VALU_DEP_4) | instskip(SKIP_1) | instid1(VALU_DEP_3)
	v_lshlrev_b64 v[3:4], 1, v[3:4]
	s_or_b32 s9, s33, 0x60
	v_add_co_u32 v17, vcc_lo, v5, v1
	s_delay_alu instid0(VALU_DEP_3) | instskip(NEXT) | instid1(VALU_DEP_3)
	v_add_co_ci_u32_e32 v18, vcc_lo, v6, v2, vcc_lo
	v_add_co_u32 v19, vcc_lo, v5, v3
	s_delay_alu instid0(VALU_DEP_4)
	v_add_co_ci_u32_e32 v20, vcc_lo, v6, v4, vcc_lo
	s_clause 0x9
	global_load_b128 v[1:4], v[17:18], off
	global_load_b128 v[5:8], v[17:18], off offset:256
	global_load_b128 v[137:140], v[19:20], off
	global_load_b128 v[141:144], v[19:20], off offset:256
	global_load_b128 v[33:36], v[17:18], off offset:512
	;; [unrolled: 1-line block ×7, first 2 shown]
	v_cmp_ne_u32_e32 vcc_lo, 15, v148
	s_clause 0x1
	global_load_b128 v[151:154], v[19:20], off offset:1024
	global_load_b128 v[155:158], v[19:20], off offset:1280
	s_ashr_i32 s13, s9, 4
	s_cmp_lt_i32 s9, s30
	v_cndmask_b32_e32 v21, 0, v148, vcc_lo
	s_cselect_b32 s22, s13, s3
	s_delay_alu instid0(SALU_CYCLE_1) | instskip(NEXT) | instid1(VALU_DEP_1)
	s_ashr_i32 s23, s22, 31
	v_lshlrev_b32_e32 v197, 6, v21
	ds_load_b128 v[159:162], v197
	ds_load_b128 v[163:166], v197 offset:1024
	s_clause 0x3
	global_load_b128 v[167:170], v[17:18], off offset:1536
	global_load_b128 v[171:174], v[17:18], off offset:1792
	;; [unrolled: 1-line block ×4, first 2 shown]
	s_lshl_b64 s[22:23], s[22:23], 2
	v_lshl_or_b32 v21, v149, 9, v22
	s_add_u32 s22, s4, s22
	s_addc_u32 s23, s36, s23
	s_or_b32 s9, s33, 0x70
	s_delay_alu instid0(SALU_CYCLE_1) | instskip(SKIP_2) | instid1(SALU_CYCLE_1)
	s_ashr_i32 s13, s9, 4
	s_cmp_lt_i32 s9, s30
	s_cselect_b32 s24, s13, s3
	s_ashr_i32 s25, s24, 31
	s_delay_alu instid0(SALU_CYCLE_1) | instskip(NEXT) | instid1(SALU_CYCLE_1)
	s_lshl_b64 s[24:25], s[24:25], 2
	s_add_u32 s24, s4, s24
	s_addc_u32 s25, s36, s25
	s_or_b32 s9, s33, 0x80
	s_load_b32 s46, s[24:25], 0x0
	s_ashr_i32 s13, s9, 4
	s_cmp_lt_i32 s9, s30
	s_cselect_b32 s26, s13, s3
	s_delay_alu instid0(SALU_CYCLE_1) | instskip(NEXT) | instid1(SALU_CYCLE_1)
	s_ashr_i32 s27, s26, 31
	s_lshl_b64 s[26:27], s[26:27], 2
	s_delay_alu instid0(SALU_CYCLE_1)
	s_add_u32 s26, s4, s26
	s_addc_u32 s27, s36, s27
	s_or_b32 s9, s33, 0x90
	s_load_b32 s47, s[26:27], 0x0
	s_ashr_i32 s13, s9, 4
	s_cmp_lt_i32 s9, s30
	s_cselect_b32 s28, s13, s3
	s_delay_alu instid0(SALU_CYCLE_1) | instskip(NEXT) | instid1(SALU_CYCLE_1)
	s_ashr_i32 s29, s28, 31
	s_lshl_b64 s[28:29], s[28:29], 2
	s_delay_alu instid0(SALU_CYCLE_1) | instskip(SKIP_2) | instid1(SALU_CYCLE_1)
	s_add_u32 s28, s4, s28
	s_addc_u32 s29, s36, s29
	s_or_b32 s9, s33, 0xa0
	s_ashr_i32 s13, s9, 4
	s_cmp_lt_i32 s9, s30
	s_cselect_b32 s38, s13, s3
	s_delay_alu instid0(SALU_CYCLE_1) | instskip(NEXT) | instid1(SALU_CYCLE_1)
	s_ashr_i32 s39, s38, 31
	s_lshl_b64 s[38:39], s[38:39], 2
	s_delay_alu instid0(SALU_CYCLE_1)
	s_add_u32 s38, s4, s38
	s_addc_u32 s39, s36, s39
	s_or_b32 s9, s33, 0xb0
	s_load_b32 s39, s[38:39], 0x0
	s_ashr_i32 s13, s9, 4
	s_cmp_lt_i32 s9, s30
	s_mul_hi_i32 s9, s8, s5
	s_cselect_b32 s40, s13, s3
	s_mul_i32 s8, s8, s5
	s_ashr_i32 s41, s40, 31
	s_mul_hi_i32 s13, s12, s5
	s_lshl_b64 s[40:41], s[40:41], 2
	s_mul_i32 s12, s12, s5
	s_add_u32 s42, s4, s40
	s_addc_u32 s43, s36, s41
	s_or_b32 s19, s33, 0xc0
	s_delay_alu instid0(SALU_CYCLE_1)
	s_ashr_i32 s21, s19, 4
	s_cmp_lt_i32 s19, s30
	s_mul_hi_i32 s19, s18, s5
	s_cselect_b32 s40, s21, s3
	s_mul_i32 s18, s18, s5
	s_ashr_i32 s41, s40, 31
	s_mul_hi_i32 s21, s20, s5
	s_lshl_b64 s[40:41], s[40:41], 2
	s_mul_i32 s20, s20, s5
	s_add_u32 s44, s4, s40
	s_load_b32 s40, s[28:29], 0x0
	s_addc_u32 s45, s36, s41
	s_or_b32 s37, s33, 0xd0
	s_load_b32 s41, s[22:23], 0x0
	s_ashr_i32 s22, s37, 4
	s_cmp_lt_i32 s37, s30
	s_mul_hi_i32 s23, s15, s5
	s_cselect_b32 s24, s22, s3
	s_mul_i32 s22, s15, s5
	s_ashr_i32 s25, s24, 31
	s_waitcnt lgkmcnt(0)
	s_mul_hi_i32 s27, s46, s5
	s_lshl_b64 s[24:25], s[24:25], 2
	s_mul_i32 s26, s46, s5
	s_add_u32 s24, s4, s24
	s_addc_u32 s25, s36, s25
	s_or_b32 s48, s33, 0xe0
	s_clause 0x2
	s_load_b32 s38, s[42:43], 0x0
	s_load_b32 s37, s[44:45], 0x0
	;; [unrolled: 1-line block ×3, first 2 shown]
	s_ashr_i32 s49, s48, 4
	s_cmp_lt_i32 s48, s30
	s_mul_hi_i32 s29, s47, s5
	s_cselect_b32 s42, s49, s3
	s_mul_i32 s28, s47, s5
	s_ashr_i32 s43, s42, 31
	s_mul_hi_i32 s25, s41, s5
	s_lshl_b64 s[42:43], s[42:43], 2
	s_mul_i32 s24, s41, s5
	s_add_u32 s42, s4, s42
	s_addc_u32 s43, s36, s43
	s_or_b32 s46, s33, 0xf0
	s_mul_hi_i32 s41, s40, s5
	s_ashr_i32 s47, s46, 4
	s_cmp_lt_i32 s46, s30
	s_mul_i32 s40, s40, s5
	s_cselect_b32 s46, s47, s3
	s_mul_hi_i32 s45, s39, s5
	s_ashr_i32 s47, s46, 31
	s_mul_i32 s44, s39, s5
	s_lshl_b64 s[46:47], s[46:47], 2
	s_waitcnt lgkmcnt(0)
	s_mul_hi_i32 s39, s38, s5
	s_add_u32 s46, s4, s46
	s_addc_u32 s47, s36, s47
	s_add_u32 s3, s10, s6
	s_addc_u32 s4, s11, s7
	v_add_co_u32 v195, s3, s3, v21
	s_delay_alu instid0(VALU_DEP_1) | instskip(SKIP_2) | instid1(VALU_DEP_2)
	v_add_co_ci_u32_e64 v196, null, s4, 0, s3
	s_lshl_b64 s[6:7], s[8:9], 1
	s_lshl_b64 s[8:9], s[12:13], 1
	v_add_co_u32 v17, vcc_lo, v195, s6
	s_delay_alu instid0(VALU_DEP_2)
	v_add_co_ci_u32_e32 v18, vcc_lo, s7, v196, vcc_lo
	v_add_co_u32 v19, vcc_lo, v195, s8
	s_lshl_b64 s[10:11], s[16:17], 1
	v_add_co_ci_u32_e32 v20, vcc_lo, s9, v196, vcc_lo
	v_add_co_u32 v21, vcc_lo, v195, s10
	s_lshl_b64 s[12:13], s[18:19], 1
	;; [unrolled: 3-line block ×9, first 2 shown]
	s_mul_i32 s38, s38, s5
	v_add_co_ci_u32_e32 v54, vcc_lo, s27, v196, vcc_lo
	v_add_co_u32 v183, vcc_lo, v195, s28
	s_mul_hi_i32 s49, s37, s5
	s_mul_i32 s48, s37, s5
	s_lshl_b64 s[36:37], s[38:39], 1
	v_add_co_ci_u32_e32 v184, vcc_lo, s29, v196, vcc_lo
	v_add_co_u32 v185, vcc_lo, v195, s36
	s_lshl_b64 s[38:39], s[48:49], 1
	s_clause 0x1
	s_load_b32 s3, s[42:43], 0x0
	s_load_b32 s4, s[46:47], 0x0
	v_add_co_ci_u32_e32 v186, vcc_lo, s37, v196, vcc_lo
	v_add_co_u32 v191, vcc_lo, v195, s38
	v_add_co_ci_u32_e32 v192, vcc_lo, s39, v196, vcc_lo
	s_clause 0x17
	global_load_b128 v[121:124], v[17:18], off
	global_load_b128 v[125:128], v[17:18], off offset:16
	global_load_b128 v[113:116], v[19:20], off
	global_load_b128 v[117:120], v[19:20], off offset:16
	;; [unrolled: 2-line block ×12, first 2 shown]
	s_mul_hi_i32 s51, s15, s5
	s_mul_i32 s50, s15, s5
	s_delay_alu instid0(SALU_CYCLE_1) | instskip(NEXT) | instid1(SALU_CYCLE_1)
	s_lshl_b64 s[40:41], s[50:51], 1
	v_add_co_u32 v193, vcc_lo, v195, s40
	v_add_co_ci_u32_e32 v194, vcc_lo, s41, v196, vcc_lo
	s_waitcnt lgkmcnt(0)
	s_mul_hi_i32 s7, s3, s5
	s_mul_i32 s6, s3, s5
	s_mul_hi_i32 s9, s4, s5
	s_lshl_b64 s[6:7], s[6:7], 1
	s_mul_i32 s8, s4, s5
	s_delay_alu instid0(SALU_CYCLE_1)
	s_lshl_b64 s[4:5], s[8:9], 1
	s_waitcnt vmcnt(38)
	v_wmma_f32_16x16x16_bf16 v[183:190], v[1:8], v[159:166], v[129:136]
	s_waitcnt vmcnt(36)
	v_wmma_f32_16x16x16_bf16 v[129:136], v[137:144], v[159:166], v[129:136]
	s_clause 0x1
	global_load_b128 v[1:4], v[191:192], off
	global_load_b128 v[5:8], v[191:192], off offset:16
	ds_load_b128 v[137:140], v197 offset:2048
	ds_load_b128 v[141:144], v197 offset:3072
	;; [unrolled: 1-line block ×4, first 2 shown]
	v_add_co_u32 v191, vcc_lo, v195, s6
	v_add_co_ci_u32_e32 v192, vcc_lo, s7, v196, vcc_lo
	v_add_co_u32 v195, vcc_lo, v195, s4
	v_add_co_ci_u32_e32 v196, vcc_lo, s5, v196, vcc_lo
	s_waitcnt vmcnt(36) lgkmcnt(2)
	v_wmma_f32_16x16x16_bf16 v[183:190], v[33:40], v[137:144], v[183:190]
	s_waitcnt vmcnt(34)
	v_wmma_f32_16x16x16_bf16 v[129:136], v[25:32], v[137:144], v[129:136]
	s_clause 0x3
	global_load_b128 v[25:28], v[193:194], off
	global_load_b128 v[29:32], v[193:194], off offset:16
	global_load_b128 v[33:36], v[191:192], off
	global_load_b128 v[37:40], v[191:192], off offset:16
	v_and_b32_e32 v137, 0xe0, v0
	v_mbcnt_lo_u32_b32 v191, -1, 0
	s_waitcnt vmcnt(36) lgkmcnt(0)
	v_wmma_f32_16x16x16_bf16 v[183:190], v[9:16], v[159:166], v[183:190]
	s_clause 0x1
	global_load_b128 v[9:12], v[195:196], off
	global_load_b128 v[13:16], v[195:196], off offset:16
	s_waitcnt vmcnt(36)
	v_wmma_f32_16x16x16_bf16 v[129:136], v[151:158], v[159:166], v[129:136]
	v_add_nc_u32_e32 v192, s33, v137
	ds_load_b128 v[137:140], v197 offset:6144
	ds_load_b128 v[141:144], v197 offset:7168
	v_xor_b32_e32 v151, 16, v191
	s_waitcnt vmcnt(0) lgkmcnt(0)
	s_barrier
	v_or_b32_e32 v152, v192, v146
	buffer_gl0_inv
	v_cmp_gt_i32_e32 vcc_lo, 32, v151
	v_or_b32_e32 v153, 2, v152
	v_or_b32_e32 v154, 4, v152
	;; [unrolled: 1-line block ×5, first 2 shown]
	v_cmp_gt_i32_e64 s3, s30, v153
	v_cmp_gt_i32_e64 s4, s30, v154
	;; [unrolled: 1-line block ×3, first 2 shown]
	v_or_b32_e32 v158, 12, v152
	v_or_b32_e32 v159, 14, v152
	v_cmp_gt_i32_e64 s6, s30, v156
	v_wmma_f32_16x16x16_bf16 v[183:190], v[167:174], v[137:144], v[183:190]
	v_wmma_f32_16x16x16_bf16 v[129:136], v[175:182], v[137:144], v[129:136]
	v_cndmask_b32_e32 v151, v191, v151, vcc_lo
	v_cmp_gt_i32_e32 vcc_lo, s30, v152
	v_cmp_gt_i32_e64 s7, s30, v157
	v_dual_mul_f32 v143, s35, v184 :: v_dual_mul_f32 v144, s35, v183
	v_dual_mul_f32 v141, s35, v186 :: v_dual_mul_f32 v142, s35, v185
	;; [unrolled: 1-line block ×3, first 2 shown]
	s_delay_alu instid0(VALU_DEP_3) | instskip(NEXT) | instid1(VALU_DEP_4)
	v_cndmask_b32_e32 v144, 0xff7fffff, v144, vcc_lo
	v_cndmask_b32_e64 v143, 0xff7fffff, v143, s3
	v_mul_f32_e32 v140, s35, v187
	v_cndmask_b32_e64 v142, 0xff7fffff, v142, s4
	v_cndmask_b32_e64 v141, 0xff7fffff, v141, s5
	v_or_b32_e32 v160, 16, v152
	v_max3_f32 v143, v144, 0xff7fffff, v143
	v_or_b32_e32 v161, 18, v152
	v_dual_mul_f32 v137, s35, v190 :: v_dual_mul_f32 v138, s35, v189
	v_cndmask_b32_e64 v140, 0xff7fffff, v140, s6
	v_cndmask_b32_e64 v139, 0xff7fffff, v139, s7
	v_max3_f32 v141, v143, v142, v141
	v_cmp_gt_i32_e64 s8, s30, v158
	v_cmp_gt_i32_e64 s9, s30, v159
	v_or_b32_e32 v162, 20, v152
	v_or_b32_e32 v163, 22, v152
	v_mul_f32_e32 v175, s35, v129
	v_cndmask_b32_e64 v138, 0xff7fffff, v138, s8
	v_cndmask_b32_e64 v137, 0xff7fffff, v137, s9
	v_max3_f32 v139, v141, v140, v139
	v_cmp_gt_i32_e64 s10, s30, v160
	v_cmp_gt_i32_e64 s11, s30, v161
	v_or_b32_e32 v164, 24, v152
	v_or_b32_e32 v165, 26, v152
	v_dual_mul_f32 v172, s35, v132 :: v_dual_mul_f32 v173, s35, v131
	v_cndmask_b32_e64 v140, 0xff7fffff, v175, s10
	v_cndmask_b32_e64 v141, 0xff7fffff, v174, s11
	v_max3_f32 v137, v139, v138, v137
	v_cmp_gt_i32_e64 s12, s30, v162
	v_cmp_gt_i32_e64 s13, s30, v163
	v_or_b32_e32 v166, 28, v152
	v_or_b32_e32 v167, 30, v152
	v_dual_mul_f32 v170, s35, v134 :: v_dual_mul_f32 v171, s35, v133
	v_cndmask_b32_e64 v138, 0xff7fffff, v173, s12
	v_cndmask_b32_e64 v139, 0xff7fffff, v172, s13
	v_max3_f32 v137, v137, v140, v141
	v_cmp_gt_i32_e64 s15, s30, v164
	v_cmp_gt_i32_e64 s16, s30, v165
	v_dual_mul_f32 v168, s35, v136 :: v_dual_mul_f32 v169, s35, v135
	s_delay_alu instid0(VALU_DEP_4) | instskip(NEXT) | instid1(VALU_DEP_4)
	v_max3_f32 v137, v137, v138, v139
	v_cndmask_b32_e64 v140, 0xff7fffff, v171, s15
	s_delay_alu instid0(VALU_DEP_4) | instskip(SKIP_3) | instid1(VALU_DEP_4)
	v_cndmask_b32_e64 v141, 0xff7fffff, v170, s16
	v_cmp_gt_i32_e64 s17, s30, v166
	v_cmp_gt_i32_e64 s18, s30, v167
	v_lshlrev_b32_e32 v154, 2, v151
	v_max3_f32 v137, v137, v140, v141
	s_delay_alu instid0(VALU_DEP_4) | instskip(NEXT) | instid1(VALU_DEP_4)
	v_cndmask_b32_e64 v138, 0xff7fffff, v169, s17
	v_cndmask_b32_e64 v139, 0xff7fffff, v168, s18
	s_delay_alu instid0(VALU_DEP_1) | instskip(SKIP_3) | instid1(VALU_DEP_1)
	v_max3_f32 v137, v137, v138, v139
	ds_bpermute_b32 v138, v154, v137
	s_waitcnt lgkmcnt(0)
	v_max_f32_e32 v138, v138, v138
	v_max_f32_e32 v139, v137, v138
	s_delay_alu instid0(VALU_DEP_1) | instskip(SKIP_4) | instid1(VALU_DEP_4)
	v_fma_f32 v141, s35, v186, -v139
	v_fma_f32 v130, s35, v130, -v139
	;; [unrolled: 1-line block ×5, first 2 shown]
	v_dual_mul_f32 v141, 0x3fb8aa3b, v141 :: v_dual_mul_f32 v130, 0x3fb8aa3b, v130
	v_fma_f32 v142, s35, v187, -v139
	s_delay_alu instid0(VALU_DEP_4) | instskip(NEXT) | instid1(VALU_DEP_4)
	v_mul_f32_e32 v138, 0x3fb8aa3b, v138
	v_mul_f32_e32 v140, 0x3fb8aa3b, v140
	s_delay_alu instid0(VALU_DEP_4)
	v_exp_f32_e32 v144, v141
	v_fma_f32 v151, s35, v189, -v139
	v_mul_f32_e32 v142, 0x3fb8aa3b, v142
	v_exp_f32_e32 v138, v138
	v_exp_f32_e32 v143, v140
	v_fma_f32 v132, s35, v132, -v139
	v_mul_f32_e32 v151, 0x3fb8aa3b, v151
	v_exp_f32_e32 v152, v142
	v_fma_f32 v129, s35, v129, -v139
	v_fma_f32 v134, s35, v134, -v139
	v_cndmask_b32_e64 v144, 0, v144, s5
	v_dual_mul_f32 v137, 0x3fb8aa3b, v137 :: v_dual_mul_f32 v132, 0x3fb8aa3b, v132
	s_delay_alu instid0(TRANS32_DEP_3) | instskip(NEXT) | instid1(TRANS32_DEP_2)
	v_cndmask_b32_e64 v141, 0, v138, s3
	v_cndmask_b32_e64 v142, 0, v143, s4
	v_fma_f32 v143, s35, v190, -v139
	s_delay_alu instid0(VALU_DEP_4)
	v_exp_f32_e32 v137, v137
	v_exp_f32_e32 v153, v151
	v_cndmask_b32_e64 v151, 0, v152, s6
	v_mul_f32_e32 v129, 0x3fb8aa3b, v129
	v_dual_mul_f32 v143, 0x3fb8aa3b, v143 :: v_dual_mul_f32 v134, 0x3fb8aa3b, v134
	v_fma_f32 v131, s35, v131, -v139
	v_exp_f32_e32 v130, v130
	s_delay_alu instid0(VALU_DEP_3) | instskip(NEXT) | instid1(VALU_DEP_2)
	v_exp_f32_e32 v129, v129
	v_exp_f32_e32 v155, v143
	v_cndmask_b32_e32 v140, 0, v137, vcc_lo
	v_fma_f32 v137, s35, v188, -v139
	v_cndmask_b32_e64 v143, 0, v153, s8
	v_mul_f32_e32 v131, 0x3fb8aa3b, v131
	v_fma_f32 v133, s35, v133, -v139
	s_delay_alu instid0(VALU_DEP_4) | instskip(SKIP_2) | instid1(TRANS32_DEP_1)
	v_dual_add_f32 v138, 0, v140 :: v_dual_mul_f32 v137, 0x3fb8aa3b, v137
	v_fma_f32 v136, s35, v136, -v139
	v_cmp_gt_u32_e64 s3, 16, v150
	v_cndmask_b32_e64 v153, 0, v155, s9
	s_delay_alu instid0(VALU_DEP_4) | instskip(SKIP_1) | instid1(VALU_DEP_1)
	v_add_f32_e32 v138, v138, v141
	v_exp_f32_e32 v137, v137
	v_dual_mul_f32 v133, 0x3fb8aa3b, v133 :: v_dual_add_f32 v138, v138, v142
	s_delay_alu instid0(VALU_DEP_1)
	v_add_f32_e32 v138, v138, v144
	s_waitcnt_depctr 0xfff
	v_cndmask_b32_e64 v152, 0, v137, s7
	v_add_f32_e32 v137, v138, v151
	v_exp_f32_e32 v138, v131
	v_cndmask_b32_e64 v131, 0, v129, s10
	s_delay_alu instid0(VALU_DEP_2) | instskip(NEXT) | instid1(VALU_DEP_1)
	v_add_f32_e32 v137, v137, v152
	v_add_f32_e32 v137, v137, v143
	s_delay_alu instid0(VALU_DEP_1)
	v_add_f32_e32 v129, v137, v153
	v_exp_f32_e32 v137, v132
	v_cndmask_b32_e64 v132, 0, v130, s11
	v_fma_f32 v130, s35, v135, -v139
	v_exp_f32_e32 v135, v133
	v_add_f32_e32 v129, v129, v131
	v_cndmask_b32_e64 v133, 0, v138, s12
	v_exp_f32_e32 v138, v134
	s_delay_alu instid0(VALU_DEP_2) | instskip(NEXT) | instid1(TRANS32_DEP_3)
	v_dual_mul_f32 v130, 0x3fb8aa3b, v130 :: v_dual_add_f32 v129, v129, v132
	v_cndmask_b32_e64 v134, 0, v137, s13
	v_mul_f32_e32 v137, 0x3fb8aa3b, v136
	s_delay_alu instid0(VALU_DEP_3) | instskip(NEXT) | instid1(TRANS32_DEP_3)
	v_exp_f32_e32 v130, v130
	v_cndmask_b32_e64 v135, 0, v135, s15
	v_add_f32_e32 v129, v129, v133
	s_delay_alu instid0(TRANS32_DEP_2) | instskip(SKIP_1) | instid1(VALU_DEP_2)
	v_cndmask_b32_e64 v136, 0, v138, s16
	v_exp_f32_e32 v138, v137
	v_add_f32_e32 v129, v129, v134
	s_waitcnt_depctr 0xfff
	v_cndmask_b32_e64 v137, 0, v130, s17
	v_add_f32_e32 v129, v129, v135
	v_cndmask_b32_e64 v138, 0, v138, s18
	s_delay_alu instid0(VALU_DEP_2) | instskip(NEXT) | instid1(VALU_DEP_1)
	v_add_f32_e32 v129, v129, v136
	v_add_f32_e32 v129, v129, v137
	s_delay_alu instid0(VALU_DEP_1)
	v_add_f32_e32 v129, v129, v138
	ds_bpermute_b32 v130, v154, v129
	s_and_saveexec_b32 s4, s3
	s_cbranch_execz .LBB492_12
; %bb.11:
	v_mul_u32_u24_e32 v150, 0x44, v149
	s_waitcnt lgkmcnt(0)
	v_add_f32_e32 v129, v129, v130
	s_delay_alu instid0(VALU_DEP_2) | instskip(NEXT) | instid1(VALU_DEP_1)
	v_lshl_add_u32 v150, v148, 2, v150
	v_add_nc_u32_e32 v130, 0x4000, v150
	ds_store_2addr_b32 v130, v139, v129 offset1:136
.LBB492_12:
	s_or_b32 exec_lo, exec_lo, s4
	v_lshlrev_b32_e32 v129, 2, v148
	s_waitcnt lgkmcnt(0)
	s_barrier
	buffer_gl0_inv
	v_cmp_eq_u32_e64 s4, 1, v149
	v_add_nc_u32_e32 v139, 0x4000, v129
	ds_load_2addr_b32 v[154:155], v139 offset1:17
	ds_load_2addr_b32 v[156:157], v139 offset0:34 offset1:51
	ds_load_2addr_b32 v[158:159], v139 offset0:68 offset1:85
	;; [unrolled: 1-line block ×4, first 2 shown]
	s_waitcnt lgkmcnt(4)
	v_max3_f32 v129, v154, 0xff7fffff, v155
	s_waitcnt lgkmcnt(3)
	s_delay_alu instid0(VALU_DEP_1) | instskip(SKIP_1) | instid1(VALU_DEP_1)
	v_max3_f32 v129, v129, v156, v157
	s_waitcnt lgkmcnt(2)
	v_max3_f32 v129, v129, v158, v159
	s_waitcnt lgkmcnt(1)
	s_delay_alu instid0(VALU_DEP_1) | instskip(NEXT) | instid1(VALU_DEP_1)
	v_max3_f32 v129, v129, v160, v161
	v_sub_f32_e32 v156, v156, v129
	v_sub_f32_e32 v130, v154, v129
	;; [unrolled: 1-line block ×3, first 2 shown]
	s_delay_alu instid0(VALU_DEP_3) | instskip(NEXT) | instid1(VALU_DEP_3)
	v_dual_sub_f32 v150, v155, v129 :: v_dual_mul_f32 v165, 0x3fb8aa3b, v156
	v_mul_f32_e32 v130, 0x3fb8aa3b, v130
	s_delay_alu instid0(VALU_DEP_3) | instskip(NEXT) | instid1(VALU_DEP_3)
	v_mul_f32_e32 v167, 0x3fb8aa3b, v158
	v_mul_f32_e32 v150, 0x3fb8aa3b, v150
	s_delay_alu instid0(VALU_DEP_4) | instskip(NEXT) | instid1(VALU_DEP_3)
	v_exp_f32_e32 v165, v165
	v_exp_f32_e32 v164, v130
	v_sub_f32_e32 v130, v157, v129
	s_delay_alu instid0(VALU_DEP_2) | instskip(NEXT) | instid1(VALU_DEP_1)
	v_exp_f32_e32 v150, v150
	v_mul_f32_e32 v166, 0x3fb8aa3b, v130
	s_waitcnt lgkmcnt(0)
	s_waitcnt_depctr 0xfff
	v_fma_f32 v130, v164, v162, 0
	v_sub_f32_e32 v162, v159, v129
	v_exp_f32_e32 v166, v166
	s_delay_alu instid0(VALU_DEP_2)
	v_fmac_f32_e32 v130, v150, v163
	ds_load_2addr_b32 v[154:155], v139 offset0:170 offset1:187
	ds_load_2addr_b32 v[156:157], v139 offset0:204 offset1:221
	;; [unrolled: 1-line block ×3, first 2 shown]
	v_dual_sub_f32 v139, v160, v129 :: v_dual_mul_f32 v160, 0x3fb8aa3b, v162
	v_exp_f32_e32 v162, v167
	v_cndmask_b32_e64 v150, v164, v150, s4
	v_cmp_eq_u32_e64 s4, 2, v149
	s_delay_alu instid0(VALU_DEP_3)
	v_mul_f32_e32 v139, 0x3fb8aa3b, v139
	v_exp_f32_e32 v160, v160
	s_waitcnt lgkmcnt(0)
	s_barrier
	v_cndmask_b32_e64 v150, v150, v165, s4
	v_exp_f32_e32 v139, v139
	v_cmp_eq_u32_e64 s4, 3, v149
	buffer_gl0_inv
	v_cndmask_b32_e64 v150, v150, v166, s4
	v_fmac_f32_e32 v130, v165, v154
	v_sub_f32_e32 v154, v161, v129
	v_cmp_eq_u32_e64 s4, 4, v149
	s_delay_alu instid0(VALU_DEP_2) | instskip(NEXT) | instid1(VALU_DEP_2)
	v_mul_f32_e32 v154, 0x3fb8aa3b, v154
	v_cndmask_b32_e64 v150, v150, v162, s4
	v_cmp_eq_u32_e64 s4, 5, v149
	s_delay_alu instid0(VALU_DEP_3) | instskip(SKIP_1) | instid1(VALU_DEP_2)
	v_exp_f32_e32 v154, v154
	v_fmac_f32_e32 v130, v166, v155
	v_cndmask_b32_e64 v150, v150, v160, s4
	s_mov_b32 s4, exec_lo
	s_delay_alu instid0(VALU_DEP_2) | instskip(NEXT) | instid1(VALU_DEP_1)
	v_fmac_f32_e32 v130, v162, v156
	v_fmac_f32_e32 v130, v160, v157
	s_delay_alu instid0(VALU_DEP_1) | instskip(SKIP_2) | instid1(VALU_DEP_1)
	v_fmac_f32_e32 v130, v139, v158
	s_waitcnt_depctr 0xfff
	v_fmac_f32_e32 v130, v154, v159
	v_add_f32_e32 v155, 0x358637bd, v130
	s_delay_alu instid0(VALU_DEP_1) | instskip(SKIP_1) | instid1(VALU_DEP_2)
	v_div_scale_f32 v156, null, v155, v155, 1.0
	v_div_scale_f32 v159, vcc_lo, 1.0, v155, 1.0
	v_rcp_f32_e32 v157, v156
	s_waitcnt_depctr 0xfff
	v_fma_f32 v158, -v156, v157, 1.0
	s_delay_alu instid0(VALU_DEP_1) | instskip(NEXT) | instid1(VALU_DEP_1)
	v_fmac_f32_e32 v157, v158, v157
	v_mul_f32_e32 v158, v159, v157
	s_delay_alu instid0(VALU_DEP_1) | instskip(NEXT) | instid1(VALU_DEP_1)
	v_fma_f32 v161, -v156, v158, v159
	v_fmac_f32_e32 v158, v161, v157
	s_delay_alu instid0(VALU_DEP_1) | instskip(NEXT) | instid1(VALU_DEP_1)
	v_fma_f32 v156, -v156, v158, v159
	v_div_fmas_f32 v156, v156, v157, v158
	v_cmp_eq_u32_e32 vcc_lo, 6, v149
	v_cndmask_b32_e32 v139, v150, v139, vcc_lo
	v_cmp_eq_u32_e32 vcc_lo, 7, v149
	s_delay_alu instid0(VALU_DEP_4) | instskip(NEXT) | instid1(VALU_DEP_3)
	v_div_fixup_f32 v150, v156, v155, 1.0
	v_cndmask_b32_e32 v139, v139, v154, vcc_lo
	s_delay_alu instid0(VALU_DEP_1) | instskip(NEXT) | instid1(VALU_DEP_1)
	v_mul_f32_e32 v139, v139, v150
	v_mul_f32_e32 v154, v139, v140
	;; [unrolled: 1-line block ×7, first 2 shown]
	v_and_b32_e32 v155, 0x7f800000, v154
	v_mul_f32_e32 v153, v139, v144
	v_mul_f32_e32 v144, v139, v141
                                        ; implicit-def: $vgpr141
	s_delay_alu instid0(VALU_DEP_3)
	v_cmpx_ne_u32_e32 0x7f800000, v155
	s_xor_b32 s4, exec_lo, s4
; %bb.13:
	v_bfe_u32 v141, v154, 16, 1
	s_delay_alu instid0(VALU_DEP_1)
	v_add3_u32 v141, v154, v141, 0x7fff
                                        ; implicit-def: $vgpr154
; %bb.14:
	s_and_not1_saveexec_b32 s4, s4
; %bb.15:
	v_and_b32_e32 v141, 0xffff, v154
	v_or_b32_e32 v142, 0x10000, v154
	s_delay_alu instid0(VALU_DEP_2) | instskip(NEXT) | instid1(VALU_DEP_2)
	v_cmp_eq_u32_e32 vcc_lo, 0, v141
	v_cndmask_b32_e32 v141, v142, v154, vcc_lo
; %bb.16:
	s_or_b32 exec_lo, exec_lo, s4
	v_and_b32_e32 v142, 0x7f800000, v144
	s_delay_alu instid0(VALU_DEP_1) | instskip(SKIP_1) | instid1(SALU_CYCLE_1)
	v_cmp_ne_u32_e32 vcc_lo, 0x7f800000, v142
                                        ; implicit-def: $vgpr142
	s_and_saveexec_b32 s4, vcc_lo
	s_xor_b32 s4, exec_lo, s4
; %bb.17:
	v_bfe_u32 v142, v144, 16, 1
	s_delay_alu instid0(VALU_DEP_1)
	v_add3_u32 v142, v144, v142, 0x7fff
                                        ; implicit-def: $vgpr144
; %bb.18:
	s_and_not1_saveexec_b32 s4, s4
; %bb.19:
	v_and_b32_e32 v142, 0xffff, v144
	v_or_b32_e32 v154, 0x10000, v144
	s_delay_alu instid0(VALU_DEP_2) | instskip(NEXT) | instid1(VALU_DEP_2)
	v_cmp_eq_u32_e32 vcc_lo, 0, v142
	v_cndmask_b32_e32 v142, v154, v144, vcc_lo
; %bb.20:
	s_or_b32 exec_lo, exec_lo, s4
	v_and_b32_e32 v144, 0x7f800000, v151
	s_delay_alu instid0(VALU_DEP_1) | instskip(SKIP_1) | instid1(SALU_CYCLE_1)
	v_cmp_ne_u32_e32 vcc_lo, 0x7f800000, v144
                                        ; implicit-def: $vgpr144
	s_and_saveexec_b32 s4, vcc_lo
	s_xor_b32 s4, exec_lo, s4
; %bb.21:
	v_bfe_u32 v144, v151, 16, 1
	s_delay_alu instid0(VALU_DEP_1)
	v_add3_u32 v144, v151, v144, 0x7fff
                                        ; implicit-def: $vgpr151
; %bb.22:
	s_and_not1_saveexec_b32 s4, s4
; %bb.23:
	v_and_b32_e32 v144, 0xffff, v151
	v_or_b32_e32 v154, 0x10000, v151
	s_delay_alu instid0(VALU_DEP_2) | instskip(NEXT) | instid1(VALU_DEP_2)
	v_cmp_eq_u32_e32 vcc_lo, 0, v144
	v_cndmask_b32_e32 v144, v154, v151, vcc_lo
; %bb.24:
	s_or_b32 exec_lo, exec_lo, s4
	v_and_b32_e32 v151, 0x7f800000, v153
	s_delay_alu instid0(VALU_DEP_1) | instskip(SKIP_1) | instid1(SALU_CYCLE_1)
	v_cmp_ne_u32_e32 vcc_lo, 0x7f800000, v151
                                        ; implicit-def: $vgpr151
	s_and_saveexec_b32 s4, vcc_lo
	s_xor_b32 s4, exec_lo, s4
; %bb.25:
	v_bfe_u32 v151, v153, 16, 1
	s_delay_alu instid0(VALU_DEP_1)
	v_add3_u32 v151, v153, v151, 0x7fff
                                        ; implicit-def: $vgpr153
; %bb.26:
	s_and_not1_saveexec_b32 s4, s4
; %bb.27:
	v_and_b32_e32 v151, 0xffff, v153
	v_or_b32_e32 v154, 0x10000, v153
	s_delay_alu instid0(VALU_DEP_2) | instskip(NEXT) | instid1(VALU_DEP_2)
	v_cmp_eq_u32_e32 vcc_lo, 0, v151
	v_cndmask_b32_e32 v151, v154, v153, vcc_lo
; %bb.28:
	s_or_b32 exec_lo, exec_lo, s4
	v_and_b32_e32 v153, 0x7f800000, v152
	s_delay_alu instid0(VALU_DEP_1) | instskip(SKIP_1) | instid1(SALU_CYCLE_1)
	v_cmp_ne_u32_e32 vcc_lo, 0x7f800000, v153
                                        ; implicit-def: $vgpr153
	s_and_saveexec_b32 s4, vcc_lo
	s_xor_b32 s4, exec_lo, s4
; %bb.29:
	v_bfe_u32 v153, v152, 16, 1
	s_delay_alu instid0(VALU_DEP_1)
	v_add3_u32 v153, v152, v153, 0x7fff
                                        ; implicit-def: $vgpr152
; %bb.30:
	s_and_not1_saveexec_b32 s4, s4
; %bb.31:
	v_and_b32_e32 v153, 0xffff, v152
	v_or_b32_e32 v154, 0x10000, v152
	s_delay_alu instid0(VALU_DEP_2) | instskip(NEXT) | instid1(VALU_DEP_2)
	v_cmp_eq_u32_e32 vcc_lo, 0, v153
	v_cndmask_b32_e32 v153, v154, v152, vcc_lo
; %bb.32:
	s_or_b32 exec_lo, exec_lo, s4
	v_and_b32_e32 v152, 0x7f800000, v150
	s_delay_alu instid0(VALU_DEP_1) | instskip(SKIP_1) | instid1(SALU_CYCLE_1)
	v_cmp_ne_u32_e32 vcc_lo, 0x7f800000, v152
                                        ; implicit-def: $vgpr152
	s_and_saveexec_b32 s4, vcc_lo
	s_xor_b32 s4, exec_lo, s4
; %bb.33:
	v_bfe_u32 v152, v150, 16, 1
	s_delay_alu instid0(VALU_DEP_1)
	v_add3_u32 v152, v150, v152, 0x7fff
                                        ; implicit-def: $vgpr150
; %bb.34:
	s_and_not1_saveexec_b32 s4, s4
; %bb.35:
	v_and_b32_e32 v152, 0xffff, v150
	v_or_b32_e32 v154, 0x10000, v150
	s_delay_alu instid0(VALU_DEP_2) | instskip(NEXT) | instid1(VALU_DEP_2)
	v_cmp_eq_u32_e32 vcc_lo, 0, v152
	v_cndmask_b32_e32 v152, v154, v150, vcc_lo
; %bb.36:
	s_or_b32 exec_lo, exec_lo, s4
	v_and_b32_e32 v150, 0x7f800000, v143
	s_delay_alu instid0(VALU_DEP_1) | instskip(SKIP_1) | instid1(SALU_CYCLE_1)
	v_cmp_ne_u32_e32 vcc_lo, 0x7f800000, v150
                                        ; implicit-def: $vgpr150
	s_and_saveexec_b32 s4, vcc_lo
	s_xor_b32 s4, exec_lo, s4
; %bb.37:
	v_bfe_u32 v150, v143, 16, 1
	s_delay_alu instid0(VALU_DEP_1)
	v_add3_u32 v150, v143, v150, 0x7fff
                                        ; implicit-def: $vgpr143
; %bb.38:
	s_and_not1_saveexec_b32 s4, s4
; %bb.39:
	v_and_b32_e32 v150, 0xffff, v143
	v_or_b32_e32 v154, 0x10000, v143
	s_delay_alu instid0(VALU_DEP_2) | instskip(NEXT) | instid1(VALU_DEP_2)
	v_cmp_eq_u32_e32 vcc_lo, 0, v150
	v_cndmask_b32_e32 v150, v154, v143, vcc_lo
; %bb.40:
	s_or_b32 exec_lo, exec_lo, s4
	v_and_b32_e32 v143, 0x7f800000, v140
	s_delay_alu instid0(VALU_DEP_1) | instskip(SKIP_1) | instid1(SALU_CYCLE_1)
	v_cmp_ne_u32_e32 vcc_lo, 0x7f800000, v143
                                        ; implicit-def: $vgpr143
	s_and_saveexec_b32 s4, vcc_lo
	s_xor_b32 s4, exec_lo, s4
; %bb.41:
	v_bfe_u32 v143, v140, 16, 1
	s_delay_alu instid0(VALU_DEP_1)
	v_add3_u32 v143, v140, v143, 0x7fff
                                        ; implicit-def: $vgpr140
; %bb.42:
	s_and_not1_saveexec_b32 s4, s4
; %bb.43:
	v_and_b32_e32 v143, 0xffff, v140
	v_or_b32_e32 v154, 0x10000, v140
	s_delay_alu instid0(VALU_DEP_2) | instskip(NEXT) | instid1(VALU_DEP_2)
	v_cmp_eq_u32_e32 vcc_lo, 0, v143
	v_cndmask_b32_e32 v143, v154, v140, vcc_lo
; %bb.44:
	s_or_b32 exec_lo, exec_lo, s4
	s_load_b64 s[36:37], s[0:1], 0x94
	v_dual_mul_f32 v136, v139, v136 :: v_dual_lshlrev_b32 v155, 4, v146
	s_delay_alu instid0(VALU_DEP_2)
	v_perm_b32 v154, v143, v150, 0x7060302
	v_dual_mul_f32 v143, v139, v131 :: v_dual_lshlrev_b32 v140, 6, v148
	v_dual_mul_f32 v135, v139, v135 :: v_dual_lshlrev_b32 v150, 11, v149
	v_perm_b32 v153, v152, v153, 0x7060302
	v_perm_b32 v152, v151, v144, 0x7060302
	;; [unrolled: 1-line block ×3, first 2 shown]
	s_delay_alu instid0(VALU_DEP_4)
	v_or3_b32 v131, v155, v150, v140
	v_mul_f32_e32 v138, v139, v138
	v_dual_mul_f32 v137, v139, v137 :: v_dual_and_b32 v144, 0x7f800000, v143
	v_mul_f32_e32 v141, v139, v134
	v_mul_f32_e32 v142, v139, v133
	;; [unrolled: 1-line block ×3, first 2 shown]
	s_mov_b32 s4, exec_lo
	ds_store_b128 v131, v[151:154]
                                        ; implicit-def: $vgpr132
	v_cmpx_ne_u32_e32 0x7f800000, v144
	s_xor_b32 s4, exec_lo, s4
; %bb.45:
	v_bfe_u32 v132, v143, 16, 1
	s_delay_alu instid0(VALU_DEP_1)
	v_add3_u32 v132, v143, v132, 0x7fff
                                        ; implicit-def: $vgpr143
; %bb.46:
	s_and_not1_saveexec_b32 s4, s4
; %bb.47:
	v_and_b32_e32 v132, 0xffff, v143
	v_or_b32_e32 v133, 0x10000, v143
	s_delay_alu instid0(VALU_DEP_2) | instskip(NEXT) | instid1(VALU_DEP_2)
	v_cmp_eq_u32_e32 vcc_lo, 0, v132
	v_cndmask_b32_e32 v132, v133, v143, vcc_lo
; %bb.48:
	s_or_b32 exec_lo, exec_lo, s4
	v_and_b32_e32 v133, 0x7f800000, v134
	s_delay_alu instid0(VALU_DEP_1) | instskip(SKIP_1) | instid1(SALU_CYCLE_1)
	v_cmp_ne_u32_e32 vcc_lo, 0x7f800000, v133
                                        ; implicit-def: $vgpr133
	s_and_saveexec_b32 s4, vcc_lo
	s_xor_b32 s4, exec_lo, s4
; %bb.49:
	v_bfe_u32 v133, v134, 16, 1
	s_delay_alu instid0(VALU_DEP_1)
	v_add3_u32 v133, v134, v133, 0x7fff
                                        ; implicit-def: $vgpr134
; %bb.50:
	s_and_not1_saveexec_b32 s4, s4
; %bb.51:
	v_and_b32_e32 v133, 0xffff, v134
	v_or_b32_e32 v139, 0x10000, v134
	s_delay_alu instid0(VALU_DEP_2) | instskip(NEXT) | instid1(VALU_DEP_2)
	v_cmp_eq_u32_e32 vcc_lo, 0, v133
	v_cndmask_b32_e32 v133, v139, v134, vcc_lo
; %bb.52:
	s_or_b32 exec_lo, exec_lo, s4
	v_and_b32_e32 v134, 0x7f800000, v142
	s_delay_alu instid0(VALU_DEP_1) | instskip(SKIP_1) | instid1(SALU_CYCLE_1)
	v_cmp_ne_u32_e32 vcc_lo, 0x7f800000, v134
                                        ; implicit-def: $vgpr134
	s_and_saveexec_b32 s4, vcc_lo
	s_xor_b32 s4, exec_lo, s4
; %bb.53:
	v_bfe_u32 v134, v142, 16, 1
	s_delay_alu instid0(VALU_DEP_1)
	v_add3_u32 v134, v142, v134, 0x7fff
                                        ; implicit-def: $vgpr142
; %bb.54:
	s_and_not1_saveexec_b32 s4, s4
; %bb.55:
	v_and_b32_e32 v134, 0xffff, v142
	v_or_b32_e32 v139, 0x10000, v142
	s_delay_alu instid0(VALU_DEP_2) | instskip(NEXT) | instid1(VALU_DEP_2)
	v_cmp_eq_u32_e32 vcc_lo, 0, v134
	v_cndmask_b32_e32 v134, v139, v142, vcc_lo
; %bb.56:
	s_or_b32 exec_lo, exec_lo, s4
	v_and_b32_e32 v139, 0x7f800000, v141
	s_delay_alu instid0(VALU_DEP_1) | instskip(SKIP_1) | instid1(SALU_CYCLE_1)
	v_cmp_ne_u32_e32 vcc_lo, 0x7f800000, v139
                                        ; implicit-def: $vgpr139
	s_and_saveexec_b32 s4, vcc_lo
	s_xor_b32 s4, exec_lo, s4
; %bb.57:
	v_bfe_u32 v139, v141, 16, 1
	s_delay_alu instid0(VALU_DEP_1)
	v_add3_u32 v139, v141, v139, 0x7fff
                                        ; implicit-def: $vgpr141
; %bb.58:
	s_and_not1_saveexec_b32 s4, s4
; %bb.59:
	v_and_b32_e32 v139, 0xffff, v141
	v_or_b32_e32 v142, 0x10000, v141
	s_delay_alu instid0(VALU_DEP_2) | instskip(NEXT) | instid1(VALU_DEP_2)
	v_cmp_eq_u32_e32 vcc_lo, 0, v139
	v_cndmask_b32_e32 v139, v142, v141, vcc_lo
; %bb.60:
	s_or_b32 exec_lo, exec_lo, s4
	v_and_b32_e32 v141, 0x7f800000, v135
	s_delay_alu instid0(VALU_DEP_1) | instskip(SKIP_1) | instid1(SALU_CYCLE_1)
	v_cmp_ne_u32_e32 vcc_lo, 0x7f800000, v141
                                        ; implicit-def: $vgpr141
	s_and_saveexec_b32 s4, vcc_lo
	s_xor_b32 s4, exec_lo, s4
; %bb.61:
	v_bfe_u32 v141, v135, 16, 1
	s_delay_alu instid0(VALU_DEP_1)
	v_add3_u32 v141, v135, v141, 0x7fff
                                        ; implicit-def: $vgpr135
; %bb.62:
	s_and_not1_saveexec_b32 s4, s4
; %bb.63:
	v_and_b32_e32 v141, 0xffff, v135
	v_or_b32_e32 v142, 0x10000, v135
	s_delay_alu instid0(VALU_DEP_2) | instskip(NEXT) | instid1(VALU_DEP_2)
	v_cmp_eq_u32_e32 vcc_lo, 0, v141
	v_cndmask_b32_e32 v141, v142, v135, vcc_lo
; %bb.64:
	s_or_b32 exec_lo, exec_lo, s4
	v_and_b32_e32 v135, 0x7f800000, v136
	s_delay_alu instid0(VALU_DEP_1) | instskip(SKIP_1) | instid1(SALU_CYCLE_1)
	v_cmp_ne_u32_e32 vcc_lo, 0x7f800000, v135
                                        ; implicit-def: $vgpr135
	s_and_saveexec_b32 s4, vcc_lo
	s_xor_b32 s4, exec_lo, s4
; %bb.65:
	v_bfe_u32 v135, v136, 16, 1
	s_delay_alu instid0(VALU_DEP_1)
	v_add3_u32 v135, v136, v135, 0x7fff
                                        ; implicit-def: $vgpr136
; %bb.66:
	s_and_not1_saveexec_b32 s4, s4
; %bb.67:
	v_and_b32_e32 v135, 0xffff, v136
	v_or_b32_e32 v142, 0x10000, v136
	s_delay_alu instid0(VALU_DEP_2) | instskip(NEXT) | instid1(VALU_DEP_2)
	v_cmp_eq_u32_e32 vcc_lo, 0, v135
	v_cndmask_b32_e32 v135, v142, v136, vcc_lo
; %bb.68:
	s_or_b32 exec_lo, exec_lo, s4
	v_and_b32_e32 v136, 0x7f800000, v137
	s_delay_alu instid0(VALU_DEP_1) | instskip(SKIP_1) | instid1(SALU_CYCLE_1)
	v_cmp_ne_u32_e32 vcc_lo, 0x7f800000, v136
                                        ; implicit-def: $vgpr136
	s_and_saveexec_b32 s4, vcc_lo
	s_xor_b32 s4, exec_lo, s4
; %bb.69:
	v_bfe_u32 v136, v137, 16, 1
	s_delay_alu instid0(VALU_DEP_1)
	v_add3_u32 v136, v137, v136, 0x7fff
                                        ; implicit-def: $vgpr137
; %bb.70:
	s_and_not1_saveexec_b32 s4, s4
; %bb.71:
	v_and_b32_e32 v136, 0xffff, v137
	v_or_b32_e32 v142, 0x10000, v137
	s_delay_alu instid0(VALU_DEP_2) | instskip(NEXT) | instid1(VALU_DEP_2)
	v_cmp_eq_u32_e32 vcc_lo, 0, v136
	v_cndmask_b32_e32 v136, v142, v137, vcc_lo
; %bb.72:
	s_or_b32 exec_lo, exec_lo, s4
	v_and_b32_e32 v137, 0x7f800000, v138
	s_delay_alu instid0(VALU_DEP_1) | instskip(SKIP_1) | instid1(SALU_CYCLE_1)
	v_cmp_ne_u32_e32 vcc_lo, 0x7f800000, v137
                                        ; implicit-def: $vgpr137
	s_and_saveexec_b32 s4, vcc_lo
	s_xor_b32 s4, exec_lo, s4
; %bb.73:
	v_bfe_u32 v137, v138, 16, 1
	s_delay_alu instid0(VALU_DEP_1)
	v_add3_u32 v137, v138, v137, 0x7fff
                                        ; implicit-def: $vgpr138
; %bb.74:
	s_and_not1_saveexec_b32 s4, s4
; %bb.75:
	v_and_b32_e32 v137, 0xffff, v138
	v_or_b32_e32 v142, 0x10000, v138
	s_delay_alu instid0(VALU_DEP_2) | instskip(NEXT) | instid1(VALU_DEP_2)
	v_cmp_eq_u32_e32 vcc_lo, 0, v137
	v_cndmask_b32_e32 v137, v142, v138, vcc_lo
; %bb.76:
	s_or_b32 exec_lo, exec_lo, s4
	s_delay_alu instid0(VALU_DEP_1)
	v_perm_b32 v136, v137, v136, 0x7060302
	v_perm_b32 v135, v135, v141, 0x7060302
	;; [unrolled: 1-line block ×4, first 2 shown]
	v_lshl_or_b32 v141, v149, 11, v140
	ds_store_b128 v131, v[133:136] offset:1024
	s_waitcnt lgkmcnt(0)
	s_barrier
	buffer_gl0_inv
	ds_load_b128 v[132:135], v141
	ds_load_b128 v[149:152], v141 offset:16
	s_waitcnt lgkmcnt(1)
	v_lshrrev_b32_e32 v136, 16, v132
	s_waitcnt lgkmcnt(0)
	v_lshrrev_b32_e32 v164, 16, v151
	v_lshlrev_b32_e32 v138, 2, v146
	v_lshrrev_b32_e32 v143, 16, v149
	v_lshrrev_b32_e32 v162, 16, v150
	;; [unrolled: 1-line block ×4, first 2 shown]
	v_or_b32_e32 v139, 1, v138
	v_lshrrev_b32_e32 v165, 16, v152
	v_lshrrev_b32_e32 v163, 16, v135
	s_delay_alu instid0(VALU_DEP_3)
	v_cmp_eq_u32_e64 s8, 1, v139
	v_cmp_eq_u32_e64 s7, 2, v139
	;; [unrolled: 1-line block ×4, first 2 shown]
	v_cmp_eq_u32_e32 vcc_lo, 5, v139
	v_cndmask_b32_e64 v155, v149, v143, s8
	v_cndmask_b32_e64 v154, v132, v136, s8
	v_cmp_eq_u32_e64 s5, 6, v139
	v_cmp_eq_u32_e64 s20, 7, v139
	s_delay_alu instid0(VALU_DEP_4) | instskip(NEXT) | instid1(VALU_DEP_4)
	v_cndmask_b32_e64 v155, v155, v150, s7
	v_cndmask_b32_e64 v154, v154, v133, s7
	s_delay_alu instid0(VALU_DEP_2) | instskip(NEXT) | instid1(VALU_DEP_2)
	v_cndmask_b32_e64 v155, v155, v162, s6
	v_cndmask_b32_e64 v154, v154, v144, s6
	s_delay_alu instid0(VALU_DEP_2) | instskip(NEXT) | instid1(VALU_DEP_2)
	v_cndmask_b32_e64 v155, v155, v151, s4
	v_cndmask_b32_e64 v154, v154, v134, s4
	s_delay_alu instid0(VALU_DEP_2)
	v_cndmask_b32_e32 v157, v155, v164, vcc_lo
	v_cmp_eq_u32_e64 s13, 1, v138
	v_cmp_eq_u32_e64 s12, 2, v138
	;; [unrolled: 1-line block ×3, first 2 shown]
	v_or_b32_e32 v137, 2, v138
	v_cmp_eq_u32_e64 s18, 4, v138
	v_cndmask_b32_e64 v153, v149, v143, s13
	v_cndmask_b32_e64 v142, v132, v136, s13
	v_cmp_eq_u32_e64 s15, 5, v138
	v_cmp_eq_u32_e64 s9, 1, v137
	;; [unrolled: 1-line block ×3, first 2 shown]
	v_cndmask_b32_e64 v153, v153, v150, s12
	v_cndmask_b32_e64 v142, v142, v133, s12
	v_cmp_eq_u32_e64 s11, 2, v137
	v_cndmask_b32_e64 v156, v132, v136, s9
	v_cndmask_b32_e32 v154, v154, v161, vcc_lo
	v_cndmask_b32_e64 v153, v153, v162, s17
	v_cndmask_b32_e64 v142, v142, v144, s17
	v_cmp_eq_u32_e64 s10, 7, v138
	v_cndmask_b32_e64 v156, v156, v133, s11
	v_cmp_eq_u32_e64 s19, 3, v137
	v_cndmask_b32_e64 v153, v153, v151, s18
	v_cndmask_b32_e64 v142, v142, v134, s18
	;; [unrolled: 1-line block ×3, first 2 shown]
	v_cmp_eq_u32_e64 s21, 4, v137
	v_cndmask_b32_e64 v156, v156, v144, s19
	v_cndmask_b32_e64 v153, v153, v164, s15
	;; [unrolled: 1-line block ×4, first 2 shown]
	v_cmp_eq_u32_e64 s23, 5, v137
	v_cndmask_b32_e64 v159, v156, v134, s21
	v_cndmask_b32_e64 v153, v153, v152, s16
	;; [unrolled: 1-line block ×3, first 2 shown]
	v_cmp_eq_u32_e64 s26, 6, v137
	v_cmp_eq_u32_e64 s28, 7, v137
	v_cndmask_b32_e64 v169, v159, v161, s23
	v_cndmask_b32_e64 v167, v153, v165, s10
	;; [unrolled: 1-line block ×4, first 2 shown]
	v_or_b32_e32 v142, 3, v138
	s_delay_alu instid0(VALU_DEP_3)
	v_cndmask_b32_e64 v158, v153, v150, s11
	ds_load_b128 v[153:156], v141 offset:1024
	v_cmp_eq_u32_e64 s22, 1, v142
	v_cmp_eq_u32_e64 s24, 2, v142
	;; [unrolled: 1-line block ×3, first 2 shown]
	v_cndmask_b32_e64 v158, v158, v162, s19
	v_cmp_eq_u32_e64 s27, 4, v142
	v_cndmask_b32_e64 v132, v132, v136, s22
	v_cndmask_b32_e64 v136, v157, v152, s5
	;; [unrolled: 1-line block ×4, first 2 shown]
	ds_load_b128 v[157:160], v141 offset:1040
	v_cndmask_b32_e64 v132, v132, v133, s24
	v_cmp_eq_u32_e64 s29, 5, v142
	v_cndmask_b32_e64 v143, v143, v150, s24
	v_cmp_eq_u32_e64 s30, 6, v142
	v_cndmask_b32_e64 v133, v170, v164, s23
	v_cndmask_b32_e64 v132, v132, v144, s25
	;; [unrolled: 1-line block ×5, first 2 shown]
	s_waitcnt lgkmcnt(1)
	v_lshrrev_b32_e32 v149, 16, v153
	v_cndmask_b32_e64 v132, v132, v134, s27
	v_cndmask_b32_e64 v133, v133, v152, s26
	;; [unrolled: 1-line block ×3, first 2 shown]
	v_lshrrev_b32_e32 v151, 16, v154
	v_cndmask_b32_e64 v143, v153, v149, s13
	v_cndmask_b32_e64 v132, v132, v161, s29
	;; [unrolled: 1-line block ×5, first 2 shown]
	s_waitcnt lgkmcnt(0)
	v_lshrrev_b32_e32 v150, 16, v157
	v_cndmask_b32_e64 v143, v143, v154, s12
	v_cndmask_b32_e64 v132, v132, v135, s30
	;; [unrolled: 1-line block ×3, first 2 shown]
	v_lshrrev_b32_e32 v164, 16, v159
	v_cndmask_b32_e64 v162, v157, v150, s13
	v_cndmask_b32_e64 v135, v143, v151, s17
	v_cndmask_b32_e64 v143, v161, v154, s7
	v_lshrrev_b32_e32 v161, 16, v158
	v_cndmask_b32_e64 v133, v133, v165, s28
	v_cndmask_b32_e64 v152, v162, v158, s12
	v_cmp_eq_u32_e64 s12, 7, v142
	v_cndmask_b32_e64 v143, v143, v151, s6
	v_cndmask_b32_e64 v135, v135, v155, s18
	v_lshrrev_b32_e32 v162, 16, v155
	v_cndmask_b32_e64 v152, v152, v161, s17
	v_cndmask_b32_e64 v132, v132, v163, s12
	v_cndmask_b32_e64 v134, v134, v165, s12
	v_cndmask_b32_e64 v143, v143, v155, s4
	v_cndmask_b32_e64 v163, v135, v162, s15
	v_cndmask_b32_e64 v152, v152, v159, s18
	s_delay_alu instid0(VALU_DEP_4) | instskip(NEXT) | instid1(VALU_DEP_4)
	v_perm_b32 v135, v134, v132, 0x5040100
	v_cndmask_b32_e32 v132, v143, v162, vcc_lo
	s_delay_alu instid0(VALU_DEP_4)
	v_cndmask_b32_e64 v143, v163, v156, s16
	v_lshrrev_b32_e32 v163, 16, v156
	v_cndmask_b32_e64 v152, v152, v164, s15
	v_perm_b32 v134, v133, v144, 0x5040100
	v_cndmask_b32_e64 v132, v132, v156, s5
	v_perm_b32 v133, v136, v168, 0x5040100
	v_cndmask_b32_e64 v136, v143, v163, s10
	v_cndmask_b32_e64 v143, v152, v160, s16
	;; [unrolled: 1-line block ×13, first 2 shown]
	v_lshrrev_b32_e32 v144, 16, v160
	v_cndmask_b32_e64 v132, v132, v151, s19
	v_cndmask_b32_e64 v149, v149, v151, s25
	;; [unrolled: 1-line block ×14, first 2 shown]
	v_cndmask_b32_e32 v150, v150, v164, vcc_lo
	v_cndmask_b32_e64 v132, v132, v156, s26
	v_cndmask_b32_e64 v149, v149, v156, s30
	;; [unrolled: 1-line block ×11, first 2 shown]
	v_perm_b32 v132, v167, v166, 0x5040100
	v_perm_b32 v152, v151, v149, 0x5040100
	;; [unrolled: 1-line block ×5, first 2 shown]
	s_mul_i32 s9, s37, 15
	s_mov_b32 s4, exec_lo
	ds_store_b128 v131, v[132:135]
	ds_store_b128 v131, v[149:152] offset:1024
	v_cmpx_gt_u32_e32 15, v0
	s_cbranch_execz .LBB492_78
; %bb.77:
	s_mul_i32 s5, s9, s34
	s_load_b128 s[16:19], s[0:1], 0x58
	v_add3_u32 v133, s5, s31, v148
	s_delay_alu instid0(VALU_DEP_1) | instskip(NEXT) | instid1(VALU_DEP_1)
	v_mad_u64_u32 v[131:132], null, v133, s36, s[14:15]
	v_ashrrev_i32_e32 v132, 31, v131
	s_delay_alu instid0(VALU_DEP_1) | instskip(SKIP_1) | instid1(VALU_DEP_1)
	v_lshlrev_b64 v[131:132], 2, v[131:132]
	s_waitcnt lgkmcnt(0)
	v_add_co_u32 v133, vcc_lo, s18, v131
	s_delay_alu instid0(VALU_DEP_2)
	v_add_co_ci_u32_e32 v134, vcc_lo, s19, v132, vcc_lo
	v_add_co_u32 v131, vcc_lo, s16, v131
	v_add_co_ci_u32_e32 v132, vcc_lo, s17, v132, vcc_lo
	global_store_b32 v[133:134], v129, off
	global_store_b32 v[131:132], v130, off
.LBB492_78:
	s_or_b32 exec_lo, exec_lo, s4
	s_waitcnt lgkmcnt(0)
	s_waitcnt_vscnt null, 0x0
	s_barrier
	buffer_gl0_inv
	ds_load_b128 v[148:151], v140
	ds_load_b128 v[152:155], v140 offset:16
	ds_load_b128 v[160:163], v140 offset:1040
	ds_load_b128 v[156:159], v140 offset:1024
	v_mov_b32_e32 v129, 0
	ds_load_b128 v[168:171], v140 offset:2064
	ds_load_b128 v[164:167], v140 offset:2048
	;; [unrolled: 1-line block ×6, first 2 shown]
	v_mov_b32_e32 v130, v129
	v_mov_b32_e32 v131, v129
	;; [unrolled: 1-line block ×7, first 2 shown]
	s_waitcnt lgkmcnt(8)
	s_delay_alu instid0(VALU_DEP_1)
	v_wmma_f32_16x16x16_bf16 v[129:136], v[121:128], v[148:155], v[129:136]
	ds_load_b128 v[125:128], v140 offset:5136
	ds_load_b128 v[121:124], v140 offset:5120
	s_waitcnt lgkmcnt(8)
	v_wmma_f32_16x16x16_bf16 v[129:136], v[113:120], v[156:163], v[129:136]
	ds_load_b128 v[117:120], v140 offset:6160
	ds_load_b128 v[113:116], v140 offset:6144
	s_waitcnt lgkmcnt(8)
	;; [unrolled: 4-line block ×8, first 2 shown]
	v_wmma_f32_16x16x16_bf16 v[129:136], v[65:72], v[97:104], v[129:136]
	s_waitcnt lgkmcnt(6)
	s_delay_alu instid0(VALU_DEP_1)
	v_wmma_f32_16x16x16_bf16 v[129:136], v[49:56], v[89:96], v[129:136]
	ds_load_b128 v[53:56], v140 offset:13328
	ds_load_b128 v[49:52], v140 offset:13312
	s_waitcnt lgkmcnt(6)
	v_wmma_f32_16x16x16_bf16 v[129:136], v[41:48], v[81:88], v[129:136]
	ds_load_b128 v[45:48], v140 offset:14352
	ds_load_b128 v[41:44], v140 offset:14336
	s_waitcnt lgkmcnt(6)
	;; [unrolled: 4-line block ×3, first 2 shown]
	v_wmma_f32_16x16x16_bf16 v[129:136], v[1:8], v[57:64], v[129:136]
	s_waitcnt lgkmcnt(4)
	s_delay_alu instid0(VALU_DEP_1) | instskip(SKIP_1) | instid1(VALU_DEP_1)
	v_wmma_f32_16x16x16_bf16 v[129:136], v[25:32], v[49:56], v[129:136]
	s_waitcnt lgkmcnt(2)
	v_wmma_f32_16x16x16_bf16 v[129:136], v[33:40], v[41:48], v[129:136]
	s_waitcnt lgkmcnt(0)
	s_delay_alu instid0(VALU_DEP_1) | instskip(NEXT) | instid1(VALU_DEP_1)
	v_wmma_f32_16x16x16_bf16 v[129:136], v[9:16], v[17:24], v[129:136]
	v_and_b32_e32 v1, 0x7f800000, v129
	s_delay_alu instid0(VALU_DEP_1) | instskip(SKIP_1) | instid1(SALU_CYCLE_1)
	v_cmp_ne_u32_e32 vcc_lo, 0x7f800000, v1
                                        ; implicit-def: $vgpr1
	s_and_saveexec_b32 s4, vcc_lo
	s_xor_b32 s4, exec_lo, s4
; %bb.79:
	v_bfe_u32 v1, v129, 16, 1
	s_delay_alu instid0(VALU_DEP_1)
	v_add3_u32 v1, v129, v1, 0x7fff
; %bb.80:
	s_and_not1_saveexec_b32 s4, s4
; %bb.81:
	v_and_b32_e32 v1, 0xffff, v129
	v_or_b32_e32 v2, 0x10000, v129
	s_delay_alu instid0(VALU_DEP_2) | instskip(NEXT) | instid1(VALU_DEP_2)
	v_cmp_eq_u32_e32 vcc_lo, 0, v1
	v_cndmask_b32_e32 v1, v2, v129, vcc_lo
; %bb.82:
	s_or_b32 exec_lo, exec_lo, s4
	v_and_b32_e32 v2, 0x7f800000, v130
	s_delay_alu instid0(VALU_DEP_1) | instskip(SKIP_1) | instid1(SALU_CYCLE_1)
	v_cmp_ne_u32_e32 vcc_lo, 0x7f800000, v2
                                        ; implicit-def: $vgpr2
	s_and_saveexec_b32 s4, vcc_lo
	s_xor_b32 s4, exec_lo, s4
; %bb.83:
	v_bfe_u32 v2, v130, 16, 1
	s_delay_alu instid0(VALU_DEP_1)
	v_add3_u32 v2, v130, v2, 0x7fff
; %bb.84:
	s_and_not1_saveexec_b32 s4, s4
; %bb.85:
	v_and_b32_e32 v2, 0xffff, v130
	v_or_b32_e32 v3, 0x10000, v130
	s_delay_alu instid0(VALU_DEP_2) | instskip(NEXT) | instid1(VALU_DEP_2)
	v_cmp_eq_u32_e32 vcc_lo, 0, v2
	v_cndmask_b32_e32 v2, v3, v130, vcc_lo
; %bb.86:
	s_or_b32 exec_lo, exec_lo, s4
	v_and_b32_e32 v3, 0x7f800000, v131
	s_delay_alu instid0(VALU_DEP_1) | instskip(SKIP_1) | instid1(SALU_CYCLE_1)
	v_cmp_ne_u32_e32 vcc_lo, 0x7f800000, v3
                                        ; implicit-def: $vgpr3
	s_and_saveexec_b32 s4, vcc_lo
	s_xor_b32 s4, exec_lo, s4
; %bb.87:
	v_bfe_u32 v3, v131, 16, 1
	s_delay_alu instid0(VALU_DEP_1)
	v_add3_u32 v3, v131, v3, 0x7fff
; %bb.88:
	s_and_not1_saveexec_b32 s4, s4
; %bb.89:
	v_and_b32_e32 v3, 0xffff, v131
	v_or_b32_e32 v4, 0x10000, v131
	s_delay_alu instid0(VALU_DEP_2) | instskip(NEXT) | instid1(VALU_DEP_2)
	v_cmp_eq_u32_e32 vcc_lo, 0, v3
	v_cndmask_b32_e32 v3, v4, v131, vcc_lo
; %bb.90:
	s_or_b32 exec_lo, exec_lo, s4
	v_and_b32_e32 v4, 0x7f800000, v132
	s_delay_alu instid0(VALU_DEP_1) | instskip(SKIP_1) | instid1(SALU_CYCLE_1)
	v_cmp_ne_u32_e32 vcc_lo, 0x7f800000, v4
                                        ; implicit-def: $vgpr4
	s_and_saveexec_b32 s4, vcc_lo
	s_xor_b32 s4, exec_lo, s4
; %bb.91:
	v_bfe_u32 v4, v132, 16, 1
	s_delay_alu instid0(VALU_DEP_1)
	v_add3_u32 v4, v132, v4, 0x7fff
; %bb.92:
	s_and_not1_saveexec_b32 s4, s4
; %bb.93:
	v_and_b32_e32 v4, 0xffff, v132
	v_or_b32_e32 v5, 0x10000, v132
	s_delay_alu instid0(VALU_DEP_2) | instskip(NEXT) | instid1(VALU_DEP_2)
	v_cmp_eq_u32_e32 vcc_lo, 0, v4
	v_cndmask_b32_e32 v4, v5, v132, vcc_lo
; %bb.94:
	s_or_b32 exec_lo, exec_lo, s4
	v_and_b32_e32 v5, 0x7f800000, v133
	s_delay_alu instid0(VALU_DEP_1) | instskip(SKIP_1) | instid1(SALU_CYCLE_1)
	v_cmp_ne_u32_e32 vcc_lo, 0x7f800000, v5
                                        ; implicit-def: $vgpr5
	s_and_saveexec_b32 s4, vcc_lo
	s_xor_b32 s4, exec_lo, s4
; %bb.95:
	v_bfe_u32 v5, v133, 16, 1
	s_delay_alu instid0(VALU_DEP_1)
	v_add3_u32 v5, v133, v5, 0x7fff
; %bb.96:
	s_and_not1_saveexec_b32 s4, s4
; %bb.97:
	v_and_b32_e32 v5, 0xffff, v133
	v_or_b32_e32 v6, 0x10000, v133
	s_delay_alu instid0(VALU_DEP_2) | instskip(NEXT) | instid1(VALU_DEP_2)
	v_cmp_eq_u32_e32 vcc_lo, 0, v5
	v_cndmask_b32_e32 v5, v6, v133, vcc_lo
; %bb.98:
	s_or_b32 exec_lo, exec_lo, s4
	v_and_b32_e32 v6, 0x7f800000, v134
	s_delay_alu instid0(VALU_DEP_1) | instskip(SKIP_1) | instid1(SALU_CYCLE_1)
	v_cmp_ne_u32_e32 vcc_lo, 0x7f800000, v6
                                        ; implicit-def: $vgpr6
	s_and_saveexec_b32 s4, vcc_lo
	s_xor_b32 s4, exec_lo, s4
; %bb.99:
	v_bfe_u32 v6, v134, 16, 1
	s_delay_alu instid0(VALU_DEP_1)
	v_add3_u32 v6, v134, v6, 0x7fff
; %bb.100:
	s_and_not1_saveexec_b32 s4, s4
; %bb.101:
	v_and_b32_e32 v6, 0xffff, v134
	v_or_b32_e32 v7, 0x10000, v134
	s_delay_alu instid0(VALU_DEP_2) | instskip(NEXT) | instid1(VALU_DEP_2)
	v_cmp_eq_u32_e32 vcc_lo, 0, v6
	v_cndmask_b32_e32 v6, v7, v134, vcc_lo
; %bb.102:
	s_or_b32 exec_lo, exec_lo, s4
	v_and_b32_e32 v7, 0x7f800000, v135
	s_delay_alu instid0(VALU_DEP_1) | instskip(SKIP_1) | instid1(SALU_CYCLE_1)
	v_cmp_ne_u32_e32 vcc_lo, 0x7f800000, v7
                                        ; implicit-def: $vgpr7
	s_and_saveexec_b32 s4, vcc_lo
	s_xor_b32 s4, exec_lo, s4
; %bb.103:
	v_bfe_u32 v7, v135, 16, 1
	s_delay_alu instid0(VALU_DEP_1)
	v_add3_u32 v7, v135, v7, 0x7fff
; %bb.104:
	s_and_not1_saveexec_b32 s4, s4
; %bb.105:
	v_and_b32_e32 v7, 0xffff, v135
	v_or_b32_e32 v8, 0x10000, v135
	s_delay_alu instid0(VALU_DEP_2) | instskip(NEXT) | instid1(VALU_DEP_2)
	v_cmp_eq_u32_e32 vcc_lo, 0, v7
	v_cndmask_b32_e32 v7, v8, v135, vcc_lo
; %bb.106:
	s_or_b32 exec_lo, exec_lo, s4
	v_and_b32_e32 v8, 0x7f800000, v136
	s_delay_alu instid0(VALU_DEP_1) | instskip(SKIP_1) | instid1(SALU_CYCLE_1)
	v_cmp_ne_u32_e32 vcc_lo, 0x7f800000, v8
                                        ; implicit-def: $vgpr8
	s_and_saveexec_b32 s4, vcc_lo
	s_xor_b32 s4, exec_lo, s4
; %bb.107:
	v_bfe_u32 v8, v136, 16, 1
	s_delay_alu instid0(VALU_DEP_1)
	v_add3_u32 v8, v136, v8, 0x7fff
                                        ; implicit-def: $vgpr129_vgpr130_vgpr131_vgpr132_vgpr133_vgpr134_vgpr135_vgpr136
; %bb.108:
	s_and_not1_saveexec_b32 s4, s4
; %bb.109:
	v_and_b32_e32 v8, 0xffff, v136
	v_or_b32_e32 v9, 0x10000, v136
	s_delay_alu instid0(VALU_DEP_2) | instskip(NEXT) | instid1(VALU_DEP_2)
	v_cmp_eq_u32_e32 vcc_lo, 0, v8
	v_cndmask_b32_e32 v8, v9, v136, vcc_lo
; %bb.110:
	s_or_b32 exec_lo, exec_lo, s4
	s_delay_alu instid0(VALU_DEP_1)
	v_perm_b32 v7, v8, v7, 0x7060302
	v_perm_b32 v6, v6, v5, 0x7060302
	;; [unrolled: 1-line block ×4, first 2 shown]
	v_lshl_or_b32 v9, v146, 4, v141
	s_barrier
	buffer_gl0_inv
	v_cmp_eq_u32_e32 vcc_lo, 1, v138
	ds_store_b128 v9, v[4:7]
	s_waitcnt lgkmcnt(0)
	s_barrier
	buffer_gl0_inv
	ds_load_b128 v[1:4], v141
	ds_load_b128 v[5:8], v141 offset:16
	v_cmp_eq_u32_e64 s5, 2, v138
	v_cmp_eq_u32_e64 s4, 1, v139
	;; [unrolled: 1-line block ×5, first 2 shown]
	s_waitcnt lgkmcnt(1)
	v_lshrrev_b32_e32 v10, 16, v1
	s_waitcnt lgkmcnt(0)
	v_lshrrev_b32_e32 v14, 16, v5
	v_lshrrev_b32_e32 v15, 16, v6
	;; [unrolled: 1-line block ×4, first 2 shown]
	v_cndmask_b32_e64 v20, v1, v10, s4
	v_cndmask_b32_e32 v19, v5, v14, vcc_lo
	v_cndmask_b32_e64 v21, v5, v14, s4
	v_lshrrev_b32_e32 v16, 16, v7
	v_cmp_eq_u32_e64 s4, 1, v137
	v_lshrrev_b32_e32 v13, 16, v4
	v_cndmask_b32_e64 v19, v19, v6, s5
	v_lshrrev_b32_e32 v17, 16, v8
	s_delay_alu instid0(VALU_DEP_4) | instskip(SKIP_1) | instid1(VALU_DEP_4)
	v_cndmask_b32_e64 v22, v1, v10, s4
	v_cndmask_b32_e64 v23, v5, v14, s4
	;; [unrolled: 1-line block ×3, first 2 shown]
	v_cndmask_b32_e32 v18, v1, v10, vcc_lo
	v_cmp_eq_u32_e32 vcc_lo, 2, v139
	v_cmp_eq_u32_e64 s4, 2, v142
	v_cndmask_b32_e64 v22, v22, v2, s8
	v_cndmask_b32_e32 v20, v20, v2, vcc_lo
	v_cndmask_b32_e32 v21, v21, v6, vcc_lo
	v_cmp_eq_u32_e32 vcc_lo, 4, v138
	v_cndmask_b32_e32 v19, v19, v7, vcc_lo
	v_cndmask_b32_e64 v18, v18, v2, s5
	v_cmp_eq_u32_e64 s5, 3, v139
	s_delay_alu instid0(VALU_DEP_2) | instskip(NEXT) | instid1(VALU_DEP_2)
	v_cndmask_b32_e64 v18, v18, v11, s6
	v_cndmask_b32_e64 v21, v21, v15, s5
	v_cmp_eq_u32_e64 s6, 5, v138
	s_delay_alu instid0(VALU_DEP_3) | instskip(SKIP_1) | instid1(VALU_DEP_3)
	v_cndmask_b32_e32 v18, v18, v3, vcc_lo
	v_cmp_eq_u32_e32 vcc_lo, 4, v139
	v_cndmask_b32_e64 v19, v19, v16, s6
	s_delay_alu instid0(VALU_DEP_3) | instskip(SKIP_4) | instid1(VALU_DEP_3)
	v_cndmask_b32_e64 v18, v18, v12, s6
	v_cndmask_b32_e32 v21, v21, v7, vcc_lo
	v_cndmask_b32_e64 v20, v20, v11, s5
	v_cmp_eq_u32_e64 s5, 5, v139
	v_cmp_eq_u32_e64 s6, 6, v138
	v_cndmask_b32_e32 v20, v20, v3, vcc_lo
	s_delay_alu instid0(VALU_DEP_3) | instskip(SKIP_1) | instid1(VALU_DEP_4)
	v_cndmask_b32_e64 v21, v21, v16, s5
	v_cmp_eq_u32_e32 vcc_lo, 6, v139
	v_cndmask_b32_e64 v18, v18, v4, s6
	v_cndmask_b32_e64 v19, v19, v8, s6
	;; [unrolled: 1-line block ×3, first 2 shown]
	v_cmp_eq_u32_e64 s5, 1, v142
	v_cmp_eq_u32_e64 s6, 7, v138
	s_delay_alu instid0(VALU_DEP_3) | instskip(NEXT) | instid1(VALU_DEP_3)
	v_cndmask_b32_e32 v20, v20, v4, vcc_lo
	v_cndmask_b32_e64 v1, v1, v10, s5
	v_cndmask_b32_e64 v5, v5, v14, s5
	v_cmp_eq_u32_e64 s5, 3, v137
	v_cndmask_b32_e64 v14, v23, v6, s8
	v_cmp_eq_u32_e64 s8, 3, v142
	v_cndmask_b32_e64 v1, v1, v2, s4
	v_cndmask_b32_e64 v2, v5, v6, s4
	;; [unrolled: 1-line block ×3, first 2 shown]
	v_cmp_eq_u32_e64 s4, 4, v137
	v_cndmask_b32_e64 v6, v14, v15, s5
	v_cndmask_b32_e64 v1, v1, v11, s8
	v_cmp_eq_u32_e64 s5, 4, v142
	v_cndmask_b32_e64 v2, v2, v15, s8
	v_cndmask_b32_e64 v5, v10, v3, s4
	;; [unrolled: 3-line block ×3, first 2 shown]
	v_cndmask_b32_e64 v2, v2, v7, s5
	v_cmp_eq_u32_e64 s4, 5, v142
	v_cndmask_b32_e64 v5, v5, v12, s8
	v_cmp_eq_u32_e64 s5, 6, v137
	;; [unrolled: 2-line block ×3, first 2 shown]
	v_cndmask_b32_e64 v1, v1, v12, s4
	v_cndmask_b32_e64 v2, v2, v16, s4
	;; [unrolled: 1-line block ×4, first 2 shown]
	v_cmp_eq_u32_e64 s4, 7, v142
	v_cndmask_b32_e64 v1, v1, v4, s8
	v_cndmask_b32_e64 v2, v2, v8, s8
	v_cmp_eq_u32_e64 s5, 7, v137
	v_cndmask_b32_e32 v4, v21, v8, vcc_lo
	v_cndmask_b32_e64 v18, v18, v13, s6
	v_cndmask_b32_e64 v20, v20, v13, s7
	;; [unrolled: 1-line block ×8, first 2 shown]
	v_cmp_gt_u32_e32 vcc_lo, 32, v0
	v_perm_b32 v4, v2, v1, 0x5040100
	v_perm_b32 v3, v3, v5, 0x5040100
	;; [unrolled: 1-line block ×4, first 2 shown]
	s_and_b32 s2, vcc_lo, s2
	ds_store_b128 v9, v[1:4]
	s_waitcnt lgkmcnt(0)
	s_barrier
	buffer_gl0_inv
	s_and_saveexec_b32 s4, s2
	s_cbranch_execz .LBB492_2
; %bb.111:
	s_load_b64 s[4:5], s[0:1], 0x68
	v_add_nc_u32_e32 v20, s31, v146
	v_lshlrev_b32_e32 v0, 10, v0
	v_lshlrev_b32_e32 v1, 4, v147
	s_lshl_b32 s0, s36, 6
	s_delay_alu instid0(SALU_CYCLE_1)
	s_mul_i32 s1, s0, s34
	v_add_nc_u32_e32 v2, 2, v20
	s_mul_i32 s6, s1, s9
	v_and_or_b32 v0, 0x3800, v0, v1
	v_mul_lo_u32 v1, v20, s0
	s_ashr_i32 s7, s6, 31
	v_mul_lo_u32 v11, v2, s0
	s_lshl_b64 s[6:7], s[6:7], 1
	v_add_nc_u32_e32 v3, 4, v20
	v_lshl_or_b32 v21, v146, 6, v0
	v_add_nc_u32_e32 v16, 6, v20
	v_ashrrev_i32_e32 v2, 31, v1
	s_delay_alu instid0(VALU_DEP_4)
	v_mul_lo_u32 v13, v3, s0
	s_waitcnt lgkmcnt(0)
	s_add_u32 s1, s4, s6
	s_addc_u32 s2, s5, s7
	s_lshl_b32 s4, s14, 6
	ds_load_b128 v[3:6], v21
	ds_load_b128 v[7:10], v21 offset:128
	s_ashr_i32 s5, s4, 31
	v_ashrrev_i32_e32 v12, 31, v11
	s_lshl_b64 s[4:5], s[4:5], 1
	v_lshlrev_b64 v[14:15], 1, v[1:2]
	s_add_u32 s1, s1, s4
	s_addc_u32 s2, s2, s5
	v_add_co_u32 v1, s1, s1, v145
	s_delay_alu instid0(VALU_DEP_1) | instskip(SKIP_1) | instid1(VALU_DEP_3)
	v_add_co_ci_u32_e64 v2, null, s2, 0, s1
	v_lshlrev_b64 v[11:12], 1, v[11:12]
	v_add_co_u32 v18, vcc_lo, v1, v14
	v_mul_lo_u32 v16, v16, s0
	s_delay_alu instid0(VALU_DEP_4) | instskip(NEXT) | instid1(VALU_DEP_4)
	v_add_co_ci_u32_e32 v19, vcc_lo, v2, v15, vcc_lo
	v_add_co_u32 v11, vcc_lo, v1, v11
	v_ashrrev_i32_e32 v14, 31, v13
	v_add_co_ci_u32_e32 v12, vcc_lo, v2, v12, vcc_lo
	v_add_nc_u32_e32 v15, 8, v20
	v_ashrrev_i32_e32 v17, 31, v16
	s_waitcnt lgkmcnt(1)
	global_store_b128 v[18:19], v[3:6], off
	v_lshlrev_b64 v[3:4], 1, v[13:14]
	s_waitcnt lgkmcnt(0)
	global_store_b128 v[11:12], v[7:10], off
	v_mul_lo_u32 v11, v15, s0
	v_add_nc_u32_e32 v7, 10, v20
	v_lshlrev_b64 v[5:6], 1, v[16:17]
	v_add_co_u32 v23, vcc_lo, v1, v3
	v_add_nc_u32_e32 v3, 12, v20
	s_delay_alu instid0(VALU_DEP_4)
	v_mul_lo_u32 v25, v7, s0
	v_ashrrev_i32_e32 v12, 31, v11
	v_add_co_ci_u32_e32 v24, vcc_lo, v2, v4, vcc_lo
	v_add_co_u32 v27, vcc_lo, v1, v5
	v_mul_lo_u32 v29, v3, s0
	v_add_co_ci_u32_e32 v28, vcc_lo, v2, v6, vcc_lo
	ds_load_b128 v[3:6], v21 offset:256
	ds_load_b128 v[7:10], v21 offset:384
	v_lshlrev_b64 v[31:32], 1, v[11:12]
	ds_load_b128 v[11:14], v21 offset:512
	ds_load_b128 v[15:18], v21 offset:640
	;; [unrolled: 1-line block ×3, first 2 shown]
	v_ashrrev_i32_e32 v26, 31, v25
	v_ashrrev_i32_e32 v30, 31, v29
	v_add_co_u32 v31, vcc_lo, v1, v31
	s_delay_alu instid0(VALU_DEP_3) | instskip(NEXT) | instid1(VALU_DEP_3)
	v_lshlrev_b64 v[25:26], 1, v[25:26]
	v_lshlrev_b64 v[29:30], 1, v[29:30]
	v_add_co_ci_u32_e32 v32, vcc_lo, v2, v32, vcc_lo
	s_delay_alu instid0(VALU_DEP_3) | instskip(NEXT) | instid1(VALU_DEP_4)
	v_add_co_u32 v25, vcc_lo, v1, v25
	v_add_co_ci_u32_e32 v26, vcc_lo, v2, v26, vcc_lo
	s_delay_alu instid0(VALU_DEP_4)
	v_add_co_u32 v29, vcc_lo, v1, v29
	v_add_co_ci_u32_e32 v30, vcc_lo, v2, v30, vcc_lo
	s_waitcnt lgkmcnt(4)
	global_store_b128 v[23:24], v[3:6], off
	s_waitcnt lgkmcnt(3)
	global_store_b128 v[27:28], v[7:10], off
	;; [unrolled: 2-line block ×5, first 2 shown]
	s_and_b32 exec_lo, exec_lo, s3
	s_cbranch_execz .LBB492_2
; %bb.112:
	ds_load_b128 v[3:6], v0 offset:896
	s_add_i32 s1, s31, 14
	s_delay_alu instid0(SALU_CYCLE_1) | instskip(NEXT) | instid1(SALU_CYCLE_1)
	s_mul_i32 s0, s1, s0
	s_ashr_i32 s1, s0, 31
	s_delay_alu instid0(SALU_CYCLE_1) | instskip(NEXT) | instid1(SALU_CYCLE_1)
	s_lshl_b64 s[0:1], s[0:1], 1
	v_add_co_u32 v0, vcc_lo, v1, s0
	v_add_co_ci_u32_e32 v1, vcc_lo, s1, v2, vcc_lo
	s_waitcnt lgkmcnt(0)
	global_store_b128 v[0:1], v[3:6], off
	s_nop 0
	s_sendmsg sendmsg(MSG_DEALLOC_VGPRS)
	s_endpgm
	.section	.rodata,"a",@progbits
	.p2align	6, 0x0
	.amdhsa_kernel _Z39paged_attention_ll4mi_QKV_mfma16_kernelI14__hip_bfloat16S0_LN4vllm18Fp8KVCacheDataTypeE0ES0_Li16ELi64ELi256ELb0ELi15EL8MFMAType0EEvPKT_PKT0_S9_ifPKiSB_SB_iPKfiiiPfSE_PS4_PT2_iSD_SD_
		.amdhsa_group_segment_fixed_size 17472
		.amdhsa_private_segment_fixed_size 0
		.amdhsa_kernarg_size 400
		.amdhsa_user_sgpr_count 13
		.amdhsa_user_sgpr_dispatch_ptr 0
		.amdhsa_user_sgpr_queue_ptr 0
		.amdhsa_user_sgpr_kernarg_segment_ptr 1
		.amdhsa_user_sgpr_dispatch_id 0
		.amdhsa_user_sgpr_private_segment_size 0
		.amdhsa_wavefront_size32 1
		.amdhsa_uses_dynamic_stack 0
		.amdhsa_enable_private_segment 0
		.amdhsa_system_sgpr_workgroup_id_x 1
		.amdhsa_system_sgpr_workgroup_id_y 1
		.amdhsa_system_sgpr_workgroup_id_z 1
		.amdhsa_system_sgpr_workgroup_info 0
		.amdhsa_system_vgpr_workitem_id 0
		.amdhsa_next_free_vgpr 198
		.amdhsa_next_free_sgpr 52
		.amdhsa_reserve_vcc 1
		.amdhsa_float_round_mode_32 0
		.amdhsa_float_round_mode_16_64 0
		.amdhsa_float_denorm_mode_32 3
		.amdhsa_float_denorm_mode_16_64 3
		.amdhsa_dx10_clamp 1
		.amdhsa_ieee_mode 1
		.amdhsa_fp16_overflow 0
		.amdhsa_workgroup_processor_mode 1
		.amdhsa_memory_ordered 1
		.amdhsa_forward_progress 0
		.amdhsa_shared_vgpr_count 0
		.amdhsa_exception_fp_ieee_invalid_op 0
		.amdhsa_exception_fp_denorm_src 0
		.amdhsa_exception_fp_ieee_div_zero 0
		.amdhsa_exception_fp_ieee_overflow 0
		.amdhsa_exception_fp_ieee_underflow 0
		.amdhsa_exception_fp_ieee_inexact 0
		.amdhsa_exception_int_div_zero 0
	.end_amdhsa_kernel
	.section	.text._Z39paged_attention_ll4mi_QKV_mfma16_kernelI14__hip_bfloat16S0_LN4vllm18Fp8KVCacheDataTypeE0ES0_Li16ELi64ELi256ELb0ELi15EL8MFMAType0EEvPKT_PKT0_S9_ifPKiSB_SB_iPKfiiiPfSE_PS4_PT2_iSD_SD_,"axG",@progbits,_Z39paged_attention_ll4mi_QKV_mfma16_kernelI14__hip_bfloat16S0_LN4vllm18Fp8KVCacheDataTypeE0ES0_Li16ELi64ELi256ELb0ELi15EL8MFMAType0EEvPKT_PKT0_S9_ifPKiSB_SB_iPKfiiiPfSE_PS4_PT2_iSD_SD_,comdat
.Lfunc_end492:
	.size	_Z39paged_attention_ll4mi_QKV_mfma16_kernelI14__hip_bfloat16S0_LN4vllm18Fp8KVCacheDataTypeE0ES0_Li16ELi64ELi256ELb0ELi15EL8MFMAType0EEvPKT_PKT0_S9_ifPKiSB_SB_iPKfiiiPfSE_PS4_PT2_iSD_SD_, .Lfunc_end492-_Z39paged_attention_ll4mi_QKV_mfma16_kernelI14__hip_bfloat16S0_LN4vllm18Fp8KVCacheDataTypeE0ES0_Li16ELi64ELi256ELb0ELi15EL8MFMAType0EEvPKT_PKT0_S9_ifPKiSB_SB_iPKfiiiPfSE_PS4_PT2_iSD_SD_
                                        ; -- End function
	.section	.AMDGPU.csdata,"",@progbits
; Kernel info:
; codeLenInByte = 10288
; NumSgprs: 54
; NumVgprs: 198
; ScratchSize: 0
; MemoryBound: 0
; FloatMode: 240
; IeeeMode: 1
; LDSByteSize: 17472 bytes/workgroup (compile time only)
; SGPRBlocks: 6
; VGPRBlocks: 24
; NumSGPRsForWavesPerEU: 54
; NumVGPRsForWavesPerEU: 198
; Occupancy: 7
; WaveLimiterHint : 1
; COMPUTE_PGM_RSRC2:SCRATCH_EN: 0
; COMPUTE_PGM_RSRC2:USER_SGPR: 13
; COMPUTE_PGM_RSRC2:TRAP_HANDLER: 0
; COMPUTE_PGM_RSRC2:TGID_X_EN: 1
; COMPUTE_PGM_RSRC2:TGID_Y_EN: 1
; COMPUTE_PGM_RSRC2:TGID_Z_EN: 1
; COMPUTE_PGM_RSRC2:TIDIG_COMP_CNT: 0
	.section	.text._Z39paged_attention_ll4mi_QKV_mfma16_kernelI14__hip_bfloat16S0_LN4vllm18Fp8KVCacheDataTypeE0ES0_Li16ELi64ELi256ELb0ELi16EL8MFMAType0EEvPKT_PKT0_S9_ifPKiSB_SB_iPKfiiiPfSE_PS4_PT2_iSD_SD_,"axG",@progbits,_Z39paged_attention_ll4mi_QKV_mfma16_kernelI14__hip_bfloat16S0_LN4vllm18Fp8KVCacheDataTypeE0ES0_Li16ELi64ELi256ELb0ELi16EL8MFMAType0EEvPKT_PKT0_S9_ifPKiSB_SB_iPKfiiiPfSE_PS4_PT2_iSD_SD_,comdat
	.protected	_Z39paged_attention_ll4mi_QKV_mfma16_kernelI14__hip_bfloat16S0_LN4vllm18Fp8KVCacheDataTypeE0ES0_Li16ELi64ELi256ELb0ELi16EL8MFMAType0EEvPKT_PKT0_S9_ifPKiSB_SB_iPKfiiiPfSE_PS4_PT2_iSD_SD_ ; -- Begin function _Z39paged_attention_ll4mi_QKV_mfma16_kernelI14__hip_bfloat16S0_LN4vllm18Fp8KVCacheDataTypeE0ES0_Li16ELi64ELi256ELb0ELi16EL8MFMAType0EEvPKT_PKT0_S9_ifPKiSB_SB_iPKfiiiPfSE_PS4_PT2_iSD_SD_
	.globl	_Z39paged_attention_ll4mi_QKV_mfma16_kernelI14__hip_bfloat16S0_LN4vllm18Fp8KVCacheDataTypeE0ES0_Li16ELi64ELi256ELb0ELi16EL8MFMAType0EEvPKT_PKT0_S9_ifPKiSB_SB_iPKfiiiPfSE_PS4_PT2_iSD_SD_
	.p2align	8
	.type	_Z39paged_attention_ll4mi_QKV_mfma16_kernelI14__hip_bfloat16S0_LN4vllm18Fp8KVCacheDataTypeE0ES0_Li16ELi64ELi256ELb0ELi16EL8MFMAType0EEvPKT_PKT0_S9_ifPKiSB_SB_iPKfiiiPfSE_PS4_PT2_iSD_SD_,@function
_Z39paged_attention_ll4mi_QKV_mfma16_kernelI14__hip_bfloat16S0_LN4vllm18Fp8KVCacheDataTypeE0ES0_Li16ELi64ELi256ELb0ELi16EL8MFMAType0EEvPKT_PKT0_S9_ifPKiSB_SB_iPKfiiiPfSE_PS4_PT2_iSD_SD_: ; @_Z39paged_attention_ll4mi_QKV_mfma16_kernelI14__hip_bfloat16S0_LN4vllm18Fp8KVCacheDataTypeE0ES0_Li16ELi64ELi256ELb0ELi16EL8MFMAType0EEvPKT_PKT0_S9_ifPKiSB_SB_iPKfiiiPfSE_PS4_PT2_iSD_SD_
; %bb.0:
	s_load_b64 s[2:3], s[0:1], 0x30
	s_mov_b32 s30, s13
	s_waitcnt lgkmcnt(0)
	s_cmp_lg_u64 s[2:3], 0
	s_cselect_b32 s6, -1, 0
	s_ashr_i32 s31, s13, 31
	s_cmp_eq_u64 s[2:3], 0
	s_cbranch_scc1 .LBB493_3
; %bb.1:
	s_lshl_b64 s[4:5], s[30:31], 2
	s_delay_alu instid0(SALU_CYCLE_1) | instskip(SKIP_4) | instid1(SALU_CYCLE_1)
	s_add_u32 s4, s2, s4
	s_addc_u32 s5, s3, s5
	s_load_b64 s[4:5], s[4:5], 0x0
	s_waitcnt lgkmcnt(0)
	s_sub_i32 s4, s5, s4
	s_cmp_eq_u32 s4, 1
	s_cselect_b32 s4, -1, 0
	s_delay_alu instid0(SALU_CYCLE_1)
	s_and_not1_b32 vcc_lo, exec_lo, s4
	s_cbranch_vccz .LBB493_4
.LBB493_2:
	s_endpgm
.LBB493_3:
.LBB493_4:
	s_load_b64 s[8:9], s[0:1], 0x28
	s_lshl_b64 s[4:5], s[30:31], 2
	s_waitcnt lgkmcnt(0)
	s_add_u32 s8, s8, s4
	s_addc_u32 s9, s9, s5
	s_lshl_b32 s34, s14, 8
	s_load_b32 s33, s[8:9], 0x0
	s_waitcnt lgkmcnt(0)
	s_cmp_ge_i32 s34, s33
	s_cbranch_scc1 .LBB493_2
; %bb.5:
	s_clause 0x1
	s_load_b128 s[8:11], s[0:1], 0x8
	s_load_b64 s[12:13], s[0:1], 0x20
	s_and_not1_b32 vcc_lo, exec_lo, s6
	s_cbranch_vccnz .LBB493_7
; %bb.6:
	s_add_u32 s2, s2, s4
	s_addc_u32 s3, s3, s5
	s_load_b32 s3, s[2:3], 0x0
	s_branch .LBB493_8
.LBB493_7:
	s_mov_b32 s3, s30
.LBB493_8:
	s_load_b128 s[4:7], s[0:1], 0x48
	v_and_b32_e32 v150, 15, v0
	v_cmp_gt_u32_e32 vcc_lo, 0x100, v0
	v_lshrrev_b32_e32 v148, 5, v0
	v_and_b32_e32 v151, 31, v0
	v_and_b32_e32 v147, 1, v0
	v_lshlrev_b32_e32 v1, 3, v150
	v_cmp_gt_u32_e64 s2, 8, v150
	v_bfe_u32 v146, v0, 4, 1
	s_lshl_b32 s31, s15, 4
	s_delay_alu instid0(VALU_DEP_3) | instskip(NEXT) | instid1(VALU_DEP_3)
	v_lshlrev_b32_e32 v145, 1, v1
	s_and_b32 s16, vcc_lo, s2
	s_waitcnt lgkmcnt(0)
	s_and_saveexec_b32 s7, s16
	s_cbranch_execz .LBB493_10
; %bb.9:
	v_lshl_or_b32 v5, v148, 1, v146
	s_load_b64 s[16:17], s[0:1], 0x0
	s_mul_hi_i32 s19, s3, s4
	s_mul_i32 s18, s3, s4
	v_lshlrev_b32_e32 v6, 10, v150
	v_or_b32_e32 v1, s31, v5
	s_lshl_b64 s[18:19], s[18:19], 1
	v_lshlrev_b32_e32 v5, 6, v5
	v_lshlrev_b32_e32 v7, 10, v147
	v_and_b32_e32 v6, 0x3800, v6
	v_lshlrev_b32_e32 v1, 6, v1
	s_delay_alu instid0(VALU_DEP_2) | instskip(NEXT) | instid1(VALU_DEP_2)
	v_or3_b32 v5, v6, v7, v5
	v_ashrrev_i32_e32 v2, 31, v1
	s_delay_alu instid0(VALU_DEP_1) | instskip(SKIP_3) | instid1(VALU_DEP_1)
	v_lshlrev_b64 v[1:2], 1, v[1:2]
	s_waitcnt lgkmcnt(0)
	s_add_u32 s3, s16, s18
	s_addc_u32 s4, s17, s19
	v_add_co_u32 v1, vcc_lo, s3, v1
	s_delay_alu instid0(VALU_DEP_2) | instskip(NEXT) | instid1(VALU_DEP_2)
	v_add_co_ci_u32_e32 v2, vcc_lo, s4, v2, vcc_lo
	v_add_co_u32 v1, vcc_lo, v1, v145
	s_delay_alu instid0(VALU_DEP_2)
	v_add_co_ci_u32_e32 v2, vcc_lo, 0, v2, vcc_lo
	global_load_b128 v[1:4], v[1:2], off
	s_waitcnt vmcnt(0)
	ds_store_b128 v5, v[1:4]
.LBB493_10:
	s_or_b32 exec_lo, exec_lo, s7
	s_mov_b32 s40, 0
	s_add_i32 s3, s33, 15
	s_mov_b32 s41, s40
	s_mov_b32 s42, s40
	;; [unrolled: 1-line block ×7, first 2 shown]
	s_delay_alu instid0(SALU_CYCLE_1)
	v_dual_mov_b32 v136, s47 :: v_dual_and_b32 v1, 0xef, v0
	v_mov_b32_e32 v134, s45
	s_clause 0x1
	s_load_b32 s4, s[0:1], 0x38
	s_load_b32 s35, s[0:1], 0x1c
	v_add_nc_u32_e32 v1, s34, v1
	s_ashr_i32 s7, s3, 31
	s_waitcnt lgkmcnt(0)
	s_lshr_b32 s7, s7, 28
	s_barrier
	v_ashrrev_i32_e32 v2, 31, v1
	s_add_i32 s3, s3, s7
	v_cmp_gt_i32_e32 vcc_lo, s33, v1
	v_mov_b32_e32 v135, s46
	s_ashr_i32 s3, s3, 4
	v_lshrrev_b32_e32 v3, 28, v2
	v_or_b32_e32 v2, 16, v1
	s_add_i32 s3, s3, -1
	v_mov_b32_e32 v132, s43
	buffer_gl0_inv
	v_add_nc_u32_e32 v4, v1, v3
	v_add_nc_u32_e32 v3, v2, v3
	s_mul_i32 s6, s15, s6
	s_mul_i32 s16, s30, s4
	v_lshlrev_b32_e32 v149, 6, v150
	v_ashrrev_i32_e32 v4, 4, v4
	v_ashrrev_i32_e32 v3, 4, v3
	s_ashr_i32 s17, s16, 31
	v_mov_b32_e32 v133, s44
	s_lshl_b64 s[16:17], s[16:17], 2
	v_cndmask_b32_e32 v1, s3, v4, vcc_lo
	v_cmp_gt_i32_e32 vcc_lo, s33, v2
	s_add_u32 s4, s12, s16
	s_addc_u32 s36, s13, s17
	s_ashr_i32 s7, s6, 31
	v_ashrrev_i32_e32 v2, 31, v1
	v_cndmask_b32_e32 v3, s3, v3, vcc_lo
	s_lshl_b64 s[6:7], s[6:7], 1
	v_mov_b32_e32 v131, s42
	s_add_u32 s24, s8, s6
	v_lshlrev_b64 v[1:2], 2, v[1:2]
	v_ashrrev_i32_e32 v4, 31, v3
	s_addc_u32 s25, s9, s7
	s_lshl_b32 s8, s14, 4
	v_mov_b32_e32 v129, s40
	s_ashr_i32 s9, s8, 31
	v_lshlrev_b64 v[3:4], 2, v[3:4]
	v_add_co_u32 v1, vcc_lo, s4, v1
	v_add_co_ci_u32_e32 v2, vcc_lo, s36, v2, vcc_lo
	s_lshl_b64 s[8:9], s[8:9], 2
	s_delay_alu instid0(VALU_DEP_3) | instskip(NEXT) | instid1(VALU_DEP_4)
	v_add_co_u32 v3, vcc_lo, s4, v3
	v_add_co_ci_u32_e32 v4, vcc_lo, s36, v4, vcc_lo
	s_clause 0x1
	global_load_b32 v5, v[1:2], off
	global_load_b32 v6, v[3:4], off
	s_add_u32 s8, s4, s8
	s_addc_u32 s9, s36, s9
	s_or_b32 s12, s34, 16
	v_dual_mov_b32 v130, s41 :: v_dual_lshlrev_b32 v3, 4, v0
	s_ashr_i32 s13, s12, 4
	s_cmp_lt_i32 s12, s33
	v_lshlrev_b32_e32 v21, 5, v150
	s_cselect_b32 s12, s13, s3
	s_delay_alu instid0(SALU_CYCLE_1) | instskip(NEXT) | instid1(SALU_CYCLE_1)
	s_ashr_i32 s13, s12, 31
	s_lshl_b64 s[12:13], s[12:13], 2
	s_delay_alu instid0(VALU_DEP_1) | instskip(SKIP_3) | instid1(SALU_CYCLE_1)
	v_lshl_or_b32 v21, v148, 9, v21
	s_add_u32 s12, s4, s12
	s_addc_u32 s13, s36, s13
	s_or_b32 s15, s34, 32
	s_ashr_i32 s16, s15, 4
	s_cmp_lt_i32 s15, s33
	s_cselect_b32 s16, s16, s3
	s_delay_alu instid0(SALU_CYCLE_1) | instskip(NEXT) | instid1(SALU_CYCLE_1)
	s_ashr_i32 s17, s16, 31
	s_lshl_b64 s[16:17], s[16:17], 2
	s_delay_alu instid0(SALU_CYCLE_1) | instskip(SKIP_2) | instid1(SALU_CYCLE_1)
	s_add_u32 s16, s4, s16
	s_addc_u32 s17, s36, s17
	s_or_b32 s15, s34, 48
	s_ashr_i32 s18, s15, 4
	s_cmp_lt_i32 s15, s33
	s_cselect_b32 s18, s18, s3
	s_delay_alu instid0(SALU_CYCLE_1) | instskip(NEXT) | instid1(SALU_CYCLE_1)
	s_ashr_i32 s19, s18, 31
	s_lshl_b64 s[18:19], s[18:19], 2
	s_delay_alu instid0(SALU_CYCLE_1) | instskip(SKIP_2) | instid1(SALU_CYCLE_1)
	;; [unrolled: 10-line block ×3, first 2 shown]
	s_add_u32 s20, s4, s20
	s_addc_u32 s21, s36, s21
	s_or_b32 s15, s34, 0x50
	s_ashr_i32 s22, s15, 4
	s_cmp_lt_i32 s15, s33
	s_cselect_b32 s22, s22, s3
	s_delay_alu instid0(SALU_CYCLE_1) | instskip(NEXT) | instid1(SALU_CYCLE_1)
	s_ashr_i32 s23, s22, 31
	s_lshl_b64 s[22:23], s[22:23], 2
	s_delay_alu instid0(SALU_CYCLE_1)
	s_add_u32 s22, s4, s22
	s_addc_u32 s23, s36, s23
	s_clause 0x5
	s_load_b32 s37, s[8:9], 0x0
	s_load_b32 s12, s[12:13], 0x0
	;; [unrolled: 1-line block ×6, first 2 shown]
	s_waitcnt lgkmcnt(0)
	s_mul_hi_i32 s17, s16, s5
	s_mul_i32 s16, s16, s5
	s_waitcnt vmcnt(1)
	v_mad_i64_i32 v[1:2], null, v5, s5, 0
	v_and_b32_e32 v5, 0xf0, v3
	s_waitcnt vmcnt(0)
	v_mad_i64_i32 v[3:4], null, v6, s5, 0
	s_delay_alu instid0(VALU_DEP_2) | instskip(NEXT) | instid1(VALU_DEP_4)
	v_add_co_u32 v5, s8, s24, v5
	v_lshlrev_b64 v[1:2], 1, v[1:2]
	v_add_co_ci_u32_e64 v6, null, s25, 0, s8
	s_delay_alu instid0(VALU_DEP_4) | instskip(SKIP_1) | instid1(VALU_DEP_3)
	v_lshlrev_b64 v[3:4], 1, v[3:4]
	s_or_b32 s8, s34, 0x60
	v_add_co_u32 v17, vcc_lo, v5, v1
	s_delay_alu instid0(VALU_DEP_3) | instskip(NEXT) | instid1(VALU_DEP_3)
	v_add_co_ci_u32_e32 v18, vcc_lo, v6, v2, vcc_lo
	v_add_co_u32 v19, vcc_lo, v5, v3
	s_delay_alu instid0(VALU_DEP_4)
	v_add_co_ci_u32_e32 v20, vcc_lo, v6, v4, vcc_lo
	s_clause 0x9
	global_load_b128 v[1:4], v[17:18], off
	global_load_b128 v[5:8], v[17:18], off offset:256
	global_load_b128 v[137:140], v[19:20], off
	global_load_b128 v[141:144], v[19:20], off offset:256
	global_load_b128 v[33:36], v[17:18], off offset:512
	;; [unrolled: 1-line block ×7, first 2 shown]
	ds_load_b128 v[152:155], v149
	ds_load_b128 v[156:159], v149 offset:1024
	s_clause 0x5
	global_load_b128 v[160:163], v[19:20], off offset:1024
	global_load_b128 v[164:167], v[19:20], off offset:1280
	;; [unrolled: 1-line block ×6, first 2 shown]
	s_ashr_i32 s9, s8, 4
	s_cmp_lt_i32 s8, s33
	s_cselect_b32 s8, s9, s3
	s_delay_alu instid0(SALU_CYCLE_1) | instskip(NEXT) | instid1(SALU_CYCLE_1)
	s_ashr_i32 s9, s8, 31
	s_lshl_b64 s[8:9], s[8:9], 2
	s_delay_alu instid0(SALU_CYCLE_1) | instskip(SKIP_2) | instid1(SALU_CYCLE_1)
	s_add_u32 s22, s4, s8
	s_addc_u32 s23, s36, s9
	s_or_b32 s8, s34, 0x70
	s_ashr_i32 s9, s8, 4
	s_cmp_lt_i32 s8, s33
	s_cselect_b32 s8, s9, s3
	s_delay_alu instid0(SALU_CYCLE_1) | instskip(NEXT) | instid1(SALU_CYCLE_1)
	s_ashr_i32 s9, s8, 31
	s_lshl_b64 s[8:9], s[8:9], 2
	s_delay_alu instid0(SALU_CYCLE_1)
	s_add_u32 s24, s4, s8
	s_addc_u32 s25, s36, s9
	s_or_b32 s8, s34, 0x80
	s_load_b32 s46, s[24:25], 0x0
	s_ashr_i32 s9, s8, 4
	s_cmp_lt_i32 s8, s33
	s_cselect_b32 s8, s9, s3
	s_delay_alu instid0(SALU_CYCLE_1) | instskip(NEXT) | instid1(SALU_CYCLE_1)
	s_ashr_i32 s9, s8, 31
	s_lshl_b64 s[8:9], s[8:9], 2
	s_delay_alu instid0(SALU_CYCLE_1)
	s_add_u32 s26, s4, s8
	s_addc_u32 s27, s36, s9
	s_or_b32 s8, s34, 0x90
	s_load_b32 s47, s[26:27], 0x0
	s_ashr_i32 s9, s8, 4
	s_cmp_lt_i32 s8, s33
	s_cselect_b32 s8, s9, s3
	s_delay_alu instid0(SALU_CYCLE_1) | instskip(NEXT) | instid1(SALU_CYCLE_1)
	s_ashr_i32 s9, s8, 31
	s_lshl_b64 s[8:9], s[8:9], 2
	s_delay_alu instid0(SALU_CYCLE_1) | instskip(SKIP_2) | instid1(SALU_CYCLE_1)
	s_add_u32 s28, s4, s8
	s_addc_u32 s29, s36, s9
	s_or_b32 s8, s34, 0xa0
	s_ashr_i32 s9, s8, 4
	s_cmp_lt_i32 s8, s33
	s_cselect_b32 s8, s9, s3
	s_delay_alu instid0(SALU_CYCLE_1) | instskip(NEXT) | instid1(SALU_CYCLE_1)
	s_ashr_i32 s9, s8, 31
	s_lshl_b64 s[8:9], s[8:9], 2
	s_delay_alu instid0(SALU_CYCLE_1)
	s_add_u32 s38, s4, s8
	s_addc_u32 s39, s36, s9
	s_or_b32 s8, s34, 0xb0
	s_mul_hi_i32 s9, s37, s5
	s_ashr_i32 s13, s8, 4
	s_cmp_lt_i32 s8, s33
	s_mul_i32 s8, s37, s5
	s_cselect_b32 s40, s13, s3
	s_load_b32 s39, s[38:39], 0x0
	s_ashr_i32 s41, s40, 31
	s_mul_hi_i32 s13, s12, s5
	s_lshl_b64 s[40:41], s[40:41], 2
	s_mul_i32 s12, s12, s5
	s_add_u32 s42, s4, s40
	s_addc_u32 s43, s36, s41
	s_or_b32 s19, s34, 0xc0
	s_delay_alu instid0(SALU_CYCLE_1)
	s_ashr_i32 s21, s19, 4
	s_cmp_lt_i32 s19, s33
	s_mul_hi_i32 s19, s18, s5
	s_cselect_b32 s40, s21, s3
	s_mul_i32 s18, s18, s5
	s_ashr_i32 s41, s40, 31
	s_mul_hi_i32 s21, s20, s5
	s_lshl_b64 s[40:41], s[40:41], 2
	s_mul_i32 s20, s20, s5
	s_add_u32 s44, s4, s40
	s_load_b32 s40, s[28:29], 0x0
	s_addc_u32 s45, s36, s41
	s_or_b32 s37, s34, 0xd0
	s_load_b32 s41, s[22:23], 0x0
	s_ashr_i32 s22, s37, 4
	s_cmp_lt_i32 s37, s33
	s_mul_hi_i32 s23, s15, s5
	s_cselect_b32 s24, s22, s3
	s_mul_i32 s22, s15, s5
	s_ashr_i32 s25, s24, 31
	s_waitcnt lgkmcnt(0)
	s_mul_hi_i32 s27, s46, s5
	s_lshl_b64 s[24:25], s[24:25], 2
	s_mul_i32 s26, s46, s5
	s_add_u32 s24, s4, s24
	s_addc_u32 s25, s36, s25
	s_or_b32 s48, s34, 0xe0
	s_clause 0x2
	s_load_b32 s38, s[42:43], 0x0
	s_load_b32 s37, s[44:45], 0x0
	;; [unrolled: 1-line block ×3, first 2 shown]
	s_ashr_i32 s49, s48, 4
	s_cmp_lt_i32 s48, s33
	s_mul_hi_i32 s29, s47, s5
	s_cselect_b32 s42, s49, s3
	s_mul_i32 s28, s47, s5
	s_ashr_i32 s43, s42, 31
	s_mul_hi_i32 s25, s41, s5
	s_lshl_b64 s[42:43], s[42:43], 2
	s_mul_i32 s24, s41, s5
	s_add_u32 s42, s4, s42
	s_addc_u32 s43, s36, s43
	s_or_b32 s46, s34, 0xf0
	s_mul_hi_i32 s41, s40, s5
	s_ashr_i32 s47, s46, 4
	s_cmp_lt_i32 s46, s33
	s_mul_i32 s40, s40, s5
	s_cselect_b32 s46, s47, s3
	s_mul_hi_i32 s45, s39, s5
	s_ashr_i32 s47, s46, 31
	s_mul_i32 s44, s39, s5
	s_lshl_b64 s[46:47], s[46:47], 2
	s_waitcnt lgkmcnt(0)
	s_mul_hi_i32 s39, s38, s5
	s_add_u32 s46, s4, s46
	s_addc_u32 s47, s36, s47
	s_add_u32 s3, s10, s6
	s_addc_u32 s4, s11, s7
	v_add_co_u32 v196, s3, s3, v21
	s_delay_alu instid0(VALU_DEP_1) | instskip(SKIP_2) | instid1(VALU_DEP_2)
	v_add_co_ci_u32_e64 v197, null, s4, 0, s3
	s_lshl_b64 s[6:7], s[8:9], 1
	s_lshl_b64 s[8:9], s[12:13], 1
	v_add_co_u32 v17, vcc_lo, v196, s6
	s_delay_alu instid0(VALU_DEP_2)
	v_add_co_ci_u32_e32 v18, vcc_lo, s7, v197, vcc_lo
	v_add_co_u32 v19, vcc_lo, v196, s8
	s_lshl_b64 s[10:11], s[16:17], 1
	v_add_co_ci_u32_e32 v20, vcc_lo, s9, v197, vcc_lo
	v_add_co_u32 v21, vcc_lo, v196, s10
	s_lshl_b64 s[12:13], s[18:19], 1
	v_add_co_ci_u32_e32 v22, vcc_lo, s11, v197, vcc_lo
	v_add_co_u32 v23, vcc_lo, v196, s12
	s_lshl_b64 s[16:17], s[20:21], 1
	v_add_co_ci_u32_e32 v24, vcc_lo, s13, v197, vcc_lo
	v_add_co_u32 v41, vcc_lo, v196, s16
	s_lshl_b64 s[18:19], s[22:23], 1
	v_add_co_ci_u32_e32 v42, vcc_lo, s17, v197, vcc_lo
	v_add_co_u32 v43, vcc_lo, v196, s18
	s_lshl_b64 s[20:21], s[24:25], 1
	v_add_co_ci_u32_e32 v44, vcc_lo, s19, v197, vcc_lo
	v_add_co_u32 v45, vcc_lo, v196, s20
	s_lshl_b64 s[22:23], s[26:27], 1
	v_add_co_ci_u32_e32 v46, vcc_lo, s21, v197, vcc_lo
	v_add_co_u32 v47, vcc_lo, v196, s22
	s_lshl_b64 s[24:25], s[28:29], 1
	v_add_co_ci_u32_e32 v48, vcc_lo, s23, v197, vcc_lo
	v_add_co_u32 v49, vcc_lo, v196, s24
	s_lshl_b64 s[26:27], s[40:41], 1
	v_add_co_ci_u32_e32 v50, vcc_lo, s25, v197, vcc_lo
	v_add_co_u32 v53, vcc_lo, v196, s26
	s_lshl_b64 s[28:29], s[44:45], 1
	s_mul_i32 s38, s38, s5
	v_add_co_ci_u32_e32 v54, vcc_lo, s27, v197, vcc_lo
	v_add_co_u32 v184, vcc_lo, v196, s28
	s_mul_hi_i32 s49, s37, s5
	s_mul_i32 s48, s37, s5
	s_lshl_b64 s[36:37], s[38:39], 1
	v_add_co_ci_u32_e32 v185, vcc_lo, s29, v197, vcc_lo
	v_add_co_u32 v186, vcc_lo, v196, s36
	s_lshl_b64 s[38:39], s[48:49], 1
	s_clause 0x1
	s_load_b32 s3, s[42:43], 0x0
	s_load_b32 s4, s[46:47], 0x0
	v_add_co_ci_u32_e32 v187, vcc_lo, s37, v197, vcc_lo
	v_add_co_u32 v192, vcc_lo, v196, s38
	v_add_co_ci_u32_e32 v193, vcc_lo, s39, v197, vcc_lo
	s_clause 0x17
	global_load_b128 v[121:124], v[17:18], off
	global_load_b128 v[125:128], v[17:18], off offset:16
	global_load_b128 v[113:116], v[19:20], off
	global_load_b128 v[117:120], v[19:20], off offset:16
	;; [unrolled: 2-line block ×12, first 2 shown]
	s_mul_hi_i32 s51, s15, s5
	s_mul_i32 s50, s15, s5
	s_delay_alu instid0(SALU_CYCLE_1) | instskip(NEXT) | instid1(SALU_CYCLE_1)
	s_lshl_b64 s[40:41], s[50:51], 1
	v_add_co_u32 v194, vcc_lo, v196, s40
	v_add_co_ci_u32_e32 v195, vcc_lo, s41, v197, vcc_lo
	s_waitcnt lgkmcnt(0)
	s_mul_hi_i32 s7, s3, s5
	s_mul_i32 s6, s3, s5
	s_mul_hi_i32 s9, s4, s5
	s_lshl_b64 s[6:7], s[6:7], 1
	s_mul_i32 s8, s4, s5
	s_delay_alu instid0(SALU_CYCLE_1)
	s_lshl_b64 s[4:5], s[8:9], 1
	s_waitcnt vmcnt(38)
	v_wmma_f32_16x16x16_bf16 v[184:191], v[1:8], v[152:159], v[129:136]
	s_waitcnt vmcnt(36)
	v_wmma_f32_16x16x16_bf16 v[129:136], v[137:144], v[152:159], v[129:136]
	s_clause 0x1
	global_load_b128 v[1:4], v[192:193], off
	global_load_b128 v[5:8], v[192:193], off offset:16
	ds_load_b128 v[137:140], v149 offset:2048
	ds_load_b128 v[141:144], v149 offset:3072
	;; [unrolled: 1-line block ×4, first 2 shown]
	v_add_co_u32 v192, vcc_lo, v196, s6
	v_add_co_ci_u32_e32 v193, vcc_lo, s7, v197, vcc_lo
	v_add_co_u32 v196, vcc_lo, v196, s4
	v_add_co_ci_u32_e32 v197, vcc_lo, s5, v197, vcc_lo
	s_waitcnt vmcnt(36) lgkmcnt(2)
	v_wmma_f32_16x16x16_bf16 v[184:191], v[33:40], v[137:144], v[184:191]
	s_waitcnt vmcnt(34)
	v_wmma_f32_16x16x16_bf16 v[129:136], v[25:32], v[137:144], v[129:136]
	s_clause 0x3
	global_load_b128 v[25:28], v[194:195], off
	global_load_b128 v[29:32], v[194:195], off offset:16
	global_load_b128 v[33:36], v[192:193], off
	global_load_b128 v[37:40], v[192:193], off offset:16
	v_and_b32_e32 v137, 0xe0, v0
	v_mbcnt_lo_u32_b32 v192, -1, 0
	s_waitcnt vmcnt(36) lgkmcnt(0)
	v_wmma_f32_16x16x16_bf16 v[184:191], v[9:16], v[152:159], v[184:191]
	s_clause 0x1
	global_load_b128 v[9:12], v[196:197], off
	global_load_b128 v[13:16], v[196:197], off offset:16
	s_waitcnt vmcnt(36)
	v_wmma_f32_16x16x16_bf16 v[129:136], v[160:167], v[152:159], v[129:136]
	v_add_nc_u32_e32 v193, s34, v137
	ds_load_b128 v[137:140], v149 offset:6144
	ds_load_b128 v[141:144], v149 offset:7168
	v_xor_b32_e32 v152, 16, v192
	s_waitcnt vmcnt(0) lgkmcnt(0)
	s_barrier
	buffer_gl0_inv
	v_cmp_gt_i32_e32 vcc_lo, 32, v152
	v_cndmask_b32_e32 v152, v192, v152, vcc_lo
	v_wmma_f32_16x16x16_bf16 v[129:136], v[176:183], v[137:144], v[129:136]
	v_wmma_f32_16x16x16_bf16 v[184:191], v[168:175], v[137:144], v[184:191]
	s_delay_alu instid0(VALU_DEP_2) | instskip(SKIP_1) | instid1(VALU_DEP_3)
	v_mul_f32_e32 v174, s35, v131
	v_or_b32_e32 v153, v193, v146
	v_dual_mul_f32 v143, s35, v185 :: v_dual_mul_f32 v144, s35, v184
	s_delay_alu instid0(VALU_DEP_4) | instskip(NEXT) | instid1(VALU_DEP_3)
	v_dual_mul_f32 v141, s35, v187 :: v_dual_mul_f32 v142, s35, v186
	v_or_b32_e32 v154, 2, v153
	v_or_b32_e32 v155, 4, v153
	;; [unrolled: 1-line block ×3, first 2 shown]
	v_cmp_gt_i32_e32 vcc_lo, s33, v153
	v_or_b32_e32 v157, 8, v153
	v_cmp_gt_i32_e64 s3, s33, v154
	v_or_b32_e32 v158, 10, v153
	v_cmp_gt_i32_e64 s4, s33, v155
	v_cndmask_b32_e32 v144, 0xff7fffff, v144, vcc_lo
	v_cmp_gt_i32_e64 s5, s33, v156
	v_cndmask_b32_e64 v143, 0xff7fffff, v143, s3
	v_or_b32_e32 v159, 12, v153
	v_or_b32_e32 v160, 14, v153
	v_dual_mul_f32 v139, s35, v189 :: v_dual_mul_f32 v140, s35, v188
	v_cndmask_b32_e64 v142, 0xff7fffff, v142, s4
	v_cndmask_b32_e64 v141, 0xff7fffff, v141, s5
	v_max3_f32 v143, v144, 0xff7fffff, v143
	v_cmp_gt_i32_e64 s6, s33, v157
	v_cmp_gt_i32_e64 s7, s33, v158
	v_or_b32_e32 v161, 16, v153
	v_or_b32_e32 v162, 18, v153
	v_dual_mul_f32 v137, s35, v191 :: v_dual_mul_f32 v176, s35, v129
	v_mul_f32_e32 v138, s35, v190
	v_cndmask_b32_e64 v140, 0xff7fffff, v140, s6
	v_cndmask_b32_e64 v139, 0xff7fffff, v139, s7
	v_max3_f32 v141, v143, v142, v141
	v_cmp_gt_i32_e64 s8, s33, v159
	v_cmp_gt_i32_e64 s9, s33, v160
	v_or_b32_e32 v163, 20, v153
	v_or_b32_e32 v164, 22, v153
	v_mul_f32_e32 v175, s35, v130
	v_cndmask_b32_e64 v138, 0xff7fffff, v138, s8
	v_cndmask_b32_e64 v137, 0xff7fffff, v137, s9
	v_max3_f32 v139, v141, v140, v139
	v_cmp_gt_i32_e64 s10, s33, v161
	v_cmp_gt_i32_e64 s11, s33, v162
	v_or_b32_e32 v165, 24, v153
	v_or_b32_e32 v166, 26, v153
	;; [unrolled: 8-line block ×3, first 2 shown]
	v_dual_mul_f32 v171, s35, v134 :: v_dual_mul_f32 v172, s35, v133
	v_cndmask_b32_e64 v138, 0xff7fffff, v174, s12
	v_cndmask_b32_e64 v139, 0xff7fffff, v173, s13
	v_max3_f32 v137, v137, v140, v141
	v_cmp_gt_i32_e64 s15, s33, v165
	v_cmp_gt_i32_e64 s16, s33, v166
	v_dual_mul_f32 v169, s35, v136 :: v_dual_mul_f32 v170, s35, v135
	s_delay_alu instid0(VALU_DEP_4) | instskip(NEXT) | instid1(VALU_DEP_4)
	v_max3_f32 v137, v137, v138, v139
	v_cndmask_b32_e64 v140, 0xff7fffff, v172, s15
	s_delay_alu instid0(VALU_DEP_4) | instskip(SKIP_3) | instid1(VALU_DEP_4)
	v_cndmask_b32_e64 v141, 0xff7fffff, v171, s16
	v_cmp_gt_i32_e64 s17, s33, v167
	v_cmp_gt_i32_e64 s18, s33, v168
	v_lshlrev_b32_e32 v155, 2, v152
	v_max3_f32 v137, v137, v140, v141
	s_delay_alu instid0(VALU_DEP_4) | instskip(NEXT) | instid1(VALU_DEP_4)
	v_cndmask_b32_e64 v138, 0xff7fffff, v170, s17
	v_cndmask_b32_e64 v139, 0xff7fffff, v169, s18
	s_delay_alu instid0(VALU_DEP_1) | instskip(SKIP_3) | instid1(VALU_DEP_1)
	v_max3_f32 v137, v137, v138, v139
	ds_bpermute_b32 v138, v155, v137
	s_waitcnt lgkmcnt(0)
	v_max_f32_e32 v138, v138, v138
	v_max_f32_e32 v139, v137, v138
	s_delay_alu instid0(VALU_DEP_1) | instskip(SKIP_4) | instid1(VALU_DEP_4)
	v_fma_f32 v140, s35, v186, -v139
	v_fma_f32 v141, s35, v187, -v139
	;; [unrolled: 1-line block ×5, first 2 shown]
	v_dual_mul_f32 v140, 0x3fb8aa3b, v140 :: v_dual_mul_f32 v143, 0x3fb8aa3b, v141
	s_delay_alu instid0(VALU_DEP_4) | instskip(NEXT) | instid1(VALU_DEP_4)
	v_mul_f32_e32 v132, 0x3fb8aa3b, v132
	v_mul_f32_e32 v142, 0x3fb8aa3b, v142
	v_fma_f32 v138, s35, v185, -v139
	s_delay_alu instid0(VALU_DEP_4)
	v_exp_f32_e32 v144, v140
	v_exp_f32_e32 v143, v143
	v_fma_f32 v152, s35, v190, -v139
	v_exp_f32_e32 v153, v142
	v_mul_f32_e32 v138, 0x3fb8aa3b, v138
	v_fma_f32 v154, s35, v191, -v139
	v_fma_f32 v129, s35, v129, -v139
	v_mul_f32_e32 v152, 0x3fb8aa3b, v152
	v_fma_f32 v130, s35, v130, -v139
	v_exp_f32_e32 v138, v138
	v_cndmask_b32_e64 v142, 0, v144, s4
	v_cndmask_b32_e64 v144, 0, v143, s5
	v_mul_f32_e32 v137, 0x3fb8aa3b, v137
	v_mul_f32_e32 v143, 0x3fb8aa3b, v154
	v_exp_f32_e32 v154, v152
	v_cndmask_b32_e64 v152, 0, v153, s6
	v_mul_f32_e32 v129, 0x3fb8aa3b, v129
	v_exp_f32_e32 v137, v137
	v_exp_f32_e32 v156, v143
	v_cndmask_b32_e64 v140, 0, v138, s3
	v_fma_f32 v131, s35, v131, -v139
	v_mul_f32_e32 v130, 0x3fb8aa3b, v130
	v_exp_f32_e32 v129, v129
	v_fma_f32 v133, s35, v133, -v139
	v_cndmask_b32_e64 v143, 0, v154, s8
	v_mul_f32_e32 v131, 0x3fb8aa3b, v131
	v_exp_f32_e32 v130, v130
	v_cndmask_b32_e32 v141, 0, v137, vcc_lo
	v_fma_f32 v137, s35, v189, -v139
	v_cndmask_b32_e64 v154, 0, v156, s9
	v_fma_f32 v134, s35, v134, -v139
	v_mul_f32_e32 v133, 0x3fb8aa3b, v133
	v_add_f32_e32 v138, 0, v141
	v_mul_f32_e32 v137, 0x3fb8aa3b, v137
	v_fma_f32 v136, s35, v136, -v139
	v_mul_f32_e32 v134, 0x3fb8aa3b, v134
	s_mov_b32 s3, exec_lo
	v_add_f32_e32 v138, v138, v140
	v_exp_f32_e32 v137, v137
	s_delay_alu instid0(VALU_DEP_1) | instskip(NEXT) | instid1(VALU_DEP_1)
	v_add_f32_e32 v138, v138, v142
	v_add_f32_e32 v138, v138, v144
	s_waitcnt_depctr 0xfff
	v_cndmask_b32_e64 v153, 0, v137, s7
	v_add_f32_e32 v137, v138, v152
	v_exp_f32_e32 v138, v131
	v_cndmask_b32_e64 v131, 0, v129, s10
	s_delay_alu instid0(VALU_DEP_2) | instskip(NEXT) | instid1(VALU_DEP_1)
	v_add_f32_e32 v137, v137, v153
	v_add_f32_e32 v137, v137, v143
	s_delay_alu instid0(VALU_DEP_1)
	v_add_f32_e32 v129, v137, v154
	v_exp_f32_e32 v137, v132
	v_cndmask_b32_e64 v132, 0, v130, s11
	v_fma_f32 v130, s35, v135, -v139
	v_exp_f32_e32 v135, v133
	v_add_f32_e32 v129, v129, v131
	v_cndmask_b32_e64 v133, 0, v138, s12
	v_exp_f32_e32 v138, v134
	s_delay_alu instid0(VALU_DEP_2) | instskip(NEXT) | instid1(TRANS32_DEP_3)
	v_dual_mul_f32 v130, 0x3fb8aa3b, v130 :: v_dual_add_f32 v129, v129, v132
	v_cndmask_b32_e64 v134, 0, v137, s13
	v_mul_f32_e32 v137, 0x3fb8aa3b, v136
	s_delay_alu instid0(VALU_DEP_3) | instskip(NEXT) | instid1(TRANS32_DEP_3)
	v_exp_f32_e32 v130, v130
	v_cndmask_b32_e64 v135, 0, v135, s15
	v_add_f32_e32 v129, v129, v133
	s_delay_alu instid0(TRANS32_DEP_2) | instskip(SKIP_1) | instid1(VALU_DEP_2)
	v_cndmask_b32_e64 v136, 0, v138, s16
	v_exp_f32_e32 v138, v137
	v_add_f32_e32 v129, v129, v134
	s_waitcnt_depctr 0xfff
	v_cndmask_b32_e64 v137, 0, v130, s17
	v_add_f32_e32 v129, v129, v135
	v_cndmask_b32_e64 v138, 0, v138, s18
	s_delay_alu instid0(VALU_DEP_2) | instskip(NEXT) | instid1(VALU_DEP_1)
	v_add_f32_e32 v129, v129, v136
	v_add_f32_e32 v129, v129, v137
	s_delay_alu instid0(VALU_DEP_1)
	v_add_f32_e32 v129, v129, v138
	ds_bpermute_b32 v130, v155, v129
	v_cmpx_gt_u32_e32 16, v151
	s_cbranch_execz .LBB493_12
; %bb.11:
	v_mul_u32_u24_e32 v151, 0x44, v148
	s_delay_alu instid0(VALU_DEP_1) | instskip(SKIP_1) | instid1(VALU_DEP_1)
	v_lshl_add_u32 v151, v150, 2, v151
	s_waitcnt lgkmcnt(0)
	v_dual_add_f32 v129, v129, v130 :: v_dual_add_nc_u32 v130, 0x4000, v151
	ds_store_2addr_b32 v130, v139, v129 offset1:136
.LBB493_12:
	s_or_b32 exec_lo, exec_lo, s3
	v_lshlrev_b32_e32 v129, 2, v150
	s_waitcnt lgkmcnt(0)
	s_barrier
	buffer_gl0_inv
	v_cmp_eq_u32_e64 s3, 1, v148
	v_add_nc_u32_e32 v139, 0x4000, v129
	ds_load_2addr_b32 v[150:151], v139 offset1:17
	ds_load_2addr_b32 v[155:156], v139 offset0:34 offset1:51
	ds_load_2addr_b32 v[157:158], v139 offset0:68 offset1:85
	;; [unrolled: 1-line block ×4, first 2 shown]
	s_waitcnt lgkmcnt(4)
	v_max3_f32 v129, v150, 0xff7fffff, v151
	s_waitcnt lgkmcnt(3)
	s_delay_alu instid0(VALU_DEP_1) | instskip(SKIP_1) | instid1(VALU_DEP_1)
	v_max3_f32 v129, v129, v155, v156
	s_waitcnt lgkmcnt(2)
	v_max3_f32 v129, v129, v157, v158
	s_waitcnt lgkmcnt(1)
	s_delay_alu instid0(VALU_DEP_1) | instskip(NEXT) | instid1(VALU_DEP_1)
	v_max3_f32 v129, v129, v159, v160
	v_sub_f32_e32 v163, v151, v129
	s_delay_alu instid0(VALU_DEP_1) | instskip(NEXT) | instid1(VALU_DEP_1)
	v_dual_sub_f32 v130, v150, v129 :: v_dual_mul_f32 v163, 0x3fb8aa3b, v163
	v_mul_f32_e32 v130, 0x3fb8aa3b, v130
	s_delay_alu instid0(VALU_DEP_2) | instskip(NEXT) | instid1(VALU_DEP_1)
	v_exp_f32_e32 v163, v163
	v_exp_f32_e32 v164, v130
	v_sub_f32_e32 v130, v156, v129
	s_delay_alu instid0(VALU_DEP_1) | instskip(NEXT) | instid1(VALU_DEP_1)
	v_dual_sub_f32 v155, v155, v129 :: v_dual_mul_f32 v166, 0x3fb8aa3b, v130
	v_mul_f32_e32 v165, 0x3fb8aa3b, v155
	s_waitcnt lgkmcnt(0)
	s_waitcnt_depctr 0xfff
	v_fma_f32 v130, v164, v161, 0
	v_exp_f32_e32 v166, v166
	v_exp_f32_e32 v165, v165
	s_delay_alu instid0(VALU_DEP_1)
	v_fmac_f32_e32 v130, v163, v162
	ds_load_2addr_b32 v[150:151], v139 offset0:170 offset1:187
	ds_load_2addr_b32 v[155:156], v139 offset0:204 offset1:221
	s_waitcnt lgkmcnt(1)
	v_dual_sub_f32 v161, v158, v129 :: v_dual_fmac_f32 v130, v165, v150
	v_sub_f32_e32 v150, v160, v129
	s_delay_alu instid0(VALU_DEP_2) | instskip(NEXT) | instid1(VALU_DEP_1)
	v_dual_sub_f32 v157, v157, v129 :: v_dual_fmac_f32 v130, v166, v151
	v_dual_mul_f32 v150, 0x3fb8aa3b, v150 :: v_dual_mul_f32 v167, 0x3fb8aa3b, v157
	ds_load_2addr_b32 v[157:158], v139 offset0:238 offset1:255
	s_waitcnt lgkmcnt(0)
	s_barrier
	v_exp_f32_e32 v150, v150
	v_sub_f32_e32 v139, v159, v129
	v_mul_f32_e32 v159, 0x3fb8aa3b, v161
	v_exp_f32_e32 v161, v167
	buffer_gl0_inv
	v_mul_f32_e32 v139, 0x3fb8aa3b, v139
	v_exp_f32_e32 v159, v159
	s_delay_alu instid0(VALU_DEP_1) | instskip(SKIP_3) | instid1(VALU_DEP_1)
	v_exp_f32_e32 v139, v139
	v_fmac_f32_e32 v130, v161, v155
	s_waitcnt_depctr 0xfff
	v_fmac_f32_e32 v130, v159, v156
	v_fmac_f32_e32 v130, v139, v157
	s_delay_alu instid0(VALU_DEP_1) | instskip(NEXT) | instid1(VALU_DEP_1)
	v_fmac_f32_e32 v130, v150, v158
	v_add_f32_e32 v151, 0x358637bd, v130
	s_delay_alu instid0(VALU_DEP_1) | instskip(SKIP_1) | instid1(VALU_DEP_2)
	v_div_scale_f32 v155, null, v151, v151, 1.0
	v_div_scale_f32 v158, vcc_lo, 1.0, v151, 1.0
	v_rcp_f32_e32 v156, v155
	s_waitcnt_depctr 0xfff
	v_fma_f32 v157, -v155, v156, 1.0
	s_delay_alu instid0(VALU_DEP_1) | instskip(SKIP_2) | instid1(VALU_DEP_3)
	v_fmac_f32_e32 v156, v157, v156
	v_cndmask_b32_e64 v157, v164, v163, s3
	v_cmp_eq_u32_e64 s3, 2, v148
	v_mul_f32_e32 v160, v158, v156
	s_delay_alu instid0(VALU_DEP_2) | instskip(SKIP_1) | instid1(VALU_DEP_3)
	v_cndmask_b32_e64 v157, v157, v165, s3
	v_cmp_eq_u32_e64 s3, 3, v148
	v_fma_f32 v162, -v155, v160, v158
	s_delay_alu instid0(VALU_DEP_2) | instskip(SKIP_1) | instid1(VALU_DEP_3)
	v_cndmask_b32_e64 v157, v157, v166, s3
	v_cmp_eq_u32_e64 s3, 4, v148
	v_fmac_f32_e32 v160, v162, v156
	s_delay_alu instid0(VALU_DEP_2) | instskip(NEXT) | instid1(VALU_DEP_2)
	v_cndmask_b32_e64 v157, v157, v161, s3
	v_fma_f32 v155, -v155, v160, v158
	v_cmp_eq_u32_e64 s3, 5, v148
	s_delay_alu instid0(VALU_DEP_2) | instskip(NEXT) | instid1(VALU_DEP_2)
	v_div_fmas_f32 v155, v155, v156, v160
	v_cndmask_b32_e64 v157, v157, v159, s3
	v_cmp_eq_u32_e32 vcc_lo, 6, v148
	s_mov_b32 s3, exec_lo
	s_delay_alu instid0(VALU_DEP_3) | instskip(NEXT) | instid1(VALU_DEP_3)
	v_div_fixup_f32 v151, v155, v151, 1.0
	v_cndmask_b32_e32 v139, v157, v139, vcc_lo
	v_cmp_eq_u32_e32 vcc_lo, 7, v148
	s_delay_alu instid0(VALU_DEP_2) | instskip(NEXT) | instid1(VALU_DEP_1)
	v_cndmask_b32_e32 v139, v139, v150, vcc_lo
	v_mul_f32_e32 v139, v139, v151
	s_delay_alu instid0(VALU_DEP_1)
	v_mul_f32_e32 v155, v139, v141
	v_mul_f32_e32 v141, v139, v154
	;; [unrolled: 1-line block ×5, first 2 shown]
	v_dual_mul_f32 v153, v139, v144 :: v_dual_and_b32 v154, 0x7f800000, v155
	v_mul_f32_e32 v151, v139, v142
	v_mul_f32_e32 v144, v139, v140
                                        ; implicit-def: $vgpr140
	s_delay_alu instid0(VALU_DEP_3)
	v_cmpx_ne_u32_e32 0x7f800000, v154
	s_xor_b32 s3, exec_lo, s3
; %bb.13:
	v_bfe_u32 v140, v155, 16, 1
	s_delay_alu instid0(VALU_DEP_1)
	v_add3_u32 v140, v155, v140, 0x7fff
                                        ; implicit-def: $vgpr155
; %bb.14:
	s_and_not1_saveexec_b32 s3, s3
; %bb.15:
	v_and_b32_e32 v140, 0xffff, v155
	v_or_b32_e32 v142, 0x10000, v155
	s_delay_alu instid0(VALU_DEP_2) | instskip(NEXT) | instid1(VALU_DEP_2)
	v_cmp_eq_u32_e32 vcc_lo, 0, v140
	v_cndmask_b32_e32 v140, v142, v155, vcc_lo
; %bb.16:
	s_or_b32 exec_lo, exec_lo, s3
	v_and_b32_e32 v142, 0x7f800000, v144
	s_delay_alu instid0(VALU_DEP_1) | instskip(SKIP_1) | instid1(SALU_CYCLE_1)
	v_cmp_ne_u32_e32 vcc_lo, 0x7f800000, v142
                                        ; implicit-def: $vgpr142
	s_and_saveexec_b32 s3, vcc_lo
	s_xor_b32 s3, exec_lo, s3
; %bb.17:
	v_bfe_u32 v142, v144, 16, 1
	s_delay_alu instid0(VALU_DEP_1)
	v_add3_u32 v142, v144, v142, 0x7fff
                                        ; implicit-def: $vgpr144
; %bb.18:
	s_and_not1_saveexec_b32 s3, s3
; %bb.19:
	v_and_b32_e32 v142, 0xffff, v144
	v_or_b32_e32 v154, 0x10000, v144
	s_delay_alu instid0(VALU_DEP_2) | instskip(NEXT) | instid1(VALU_DEP_2)
	v_cmp_eq_u32_e32 vcc_lo, 0, v142
	v_cndmask_b32_e32 v142, v154, v144, vcc_lo
; %bb.20:
	s_or_b32 exec_lo, exec_lo, s3
	v_and_b32_e32 v144, 0x7f800000, v151
	s_delay_alu instid0(VALU_DEP_1) | instskip(SKIP_1) | instid1(SALU_CYCLE_1)
	v_cmp_ne_u32_e32 vcc_lo, 0x7f800000, v144
                                        ; implicit-def: $vgpr144
	s_and_saveexec_b32 s3, vcc_lo
	s_xor_b32 s3, exec_lo, s3
; %bb.21:
	v_bfe_u32 v144, v151, 16, 1
	s_delay_alu instid0(VALU_DEP_1)
	v_add3_u32 v144, v151, v144, 0x7fff
                                        ; implicit-def: $vgpr151
; %bb.22:
	s_and_not1_saveexec_b32 s3, s3
; %bb.23:
	v_and_b32_e32 v144, 0xffff, v151
	v_or_b32_e32 v154, 0x10000, v151
	s_delay_alu instid0(VALU_DEP_2) | instskip(NEXT) | instid1(VALU_DEP_2)
	v_cmp_eq_u32_e32 vcc_lo, 0, v144
	v_cndmask_b32_e32 v144, v154, v151, vcc_lo
; %bb.24:
	s_or_b32 exec_lo, exec_lo, s3
	v_and_b32_e32 v151, 0x7f800000, v153
	s_delay_alu instid0(VALU_DEP_1) | instskip(SKIP_1) | instid1(SALU_CYCLE_1)
	v_cmp_ne_u32_e32 vcc_lo, 0x7f800000, v151
                                        ; implicit-def: $vgpr151
	s_and_saveexec_b32 s3, vcc_lo
	s_xor_b32 s3, exec_lo, s3
; %bb.25:
	v_bfe_u32 v151, v153, 16, 1
	s_delay_alu instid0(VALU_DEP_1)
	v_add3_u32 v151, v153, v151, 0x7fff
                                        ; implicit-def: $vgpr153
; %bb.26:
	s_and_not1_saveexec_b32 s3, s3
; %bb.27:
	v_and_b32_e32 v151, 0xffff, v153
	v_or_b32_e32 v154, 0x10000, v153
	s_delay_alu instid0(VALU_DEP_2) | instskip(NEXT) | instid1(VALU_DEP_2)
	v_cmp_eq_u32_e32 vcc_lo, 0, v151
	v_cndmask_b32_e32 v151, v154, v153, vcc_lo
; %bb.28:
	s_or_b32 exec_lo, exec_lo, s3
	v_and_b32_e32 v153, 0x7f800000, v152
	s_delay_alu instid0(VALU_DEP_1) | instskip(SKIP_1) | instid1(SALU_CYCLE_1)
	v_cmp_ne_u32_e32 vcc_lo, 0x7f800000, v153
                                        ; implicit-def: $vgpr153
	s_and_saveexec_b32 s3, vcc_lo
	s_xor_b32 s3, exec_lo, s3
; %bb.29:
	v_bfe_u32 v153, v152, 16, 1
	s_delay_alu instid0(VALU_DEP_1)
	v_add3_u32 v153, v152, v153, 0x7fff
                                        ; implicit-def: $vgpr152
; %bb.30:
	s_and_not1_saveexec_b32 s3, s3
; %bb.31:
	v_and_b32_e32 v153, 0xffff, v152
	v_or_b32_e32 v154, 0x10000, v152
	s_delay_alu instid0(VALU_DEP_2) | instskip(NEXT) | instid1(VALU_DEP_2)
	v_cmp_eq_u32_e32 vcc_lo, 0, v153
	v_cndmask_b32_e32 v153, v154, v152, vcc_lo
; %bb.32:
	s_or_b32 exec_lo, exec_lo, s3
	v_and_b32_e32 v152, 0x7f800000, v150
	s_delay_alu instid0(VALU_DEP_1) | instskip(SKIP_1) | instid1(SALU_CYCLE_1)
	v_cmp_ne_u32_e32 vcc_lo, 0x7f800000, v152
                                        ; implicit-def: $vgpr152
	s_and_saveexec_b32 s3, vcc_lo
	s_xor_b32 s3, exec_lo, s3
; %bb.33:
	v_bfe_u32 v152, v150, 16, 1
	s_delay_alu instid0(VALU_DEP_1)
	v_add3_u32 v152, v150, v152, 0x7fff
                                        ; implicit-def: $vgpr150
; %bb.34:
	s_and_not1_saveexec_b32 s3, s3
; %bb.35:
	v_and_b32_e32 v152, 0xffff, v150
	v_or_b32_e32 v154, 0x10000, v150
	s_delay_alu instid0(VALU_DEP_2) | instskip(NEXT) | instid1(VALU_DEP_2)
	v_cmp_eq_u32_e32 vcc_lo, 0, v152
	v_cndmask_b32_e32 v152, v154, v150, vcc_lo
; %bb.36:
	s_or_b32 exec_lo, exec_lo, s3
	v_and_b32_e32 v150, 0x7f800000, v143
	s_delay_alu instid0(VALU_DEP_1) | instskip(SKIP_1) | instid1(SALU_CYCLE_1)
	v_cmp_ne_u32_e32 vcc_lo, 0x7f800000, v150
                                        ; implicit-def: $vgpr150
	s_and_saveexec_b32 s3, vcc_lo
	s_xor_b32 s3, exec_lo, s3
; %bb.37:
	v_bfe_u32 v150, v143, 16, 1
	s_delay_alu instid0(VALU_DEP_1)
	v_add3_u32 v150, v143, v150, 0x7fff
                                        ; implicit-def: $vgpr143
; %bb.38:
	s_and_not1_saveexec_b32 s3, s3
; %bb.39:
	v_and_b32_e32 v150, 0xffff, v143
	v_or_b32_e32 v154, 0x10000, v143
	s_delay_alu instid0(VALU_DEP_2) | instskip(NEXT) | instid1(VALU_DEP_2)
	v_cmp_eq_u32_e32 vcc_lo, 0, v150
	v_cndmask_b32_e32 v150, v154, v143, vcc_lo
; %bb.40:
	s_or_b32 exec_lo, exec_lo, s3
	v_and_b32_e32 v143, 0x7f800000, v141
	s_delay_alu instid0(VALU_DEP_1) | instskip(SKIP_1) | instid1(SALU_CYCLE_1)
	v_cmp_ne_u32_e32 vcc_lo, 0x7f800000, v143
                                        ; implicit-def: $vgpr143
	s_and_saveexec_b32 s3, vcc_lo
	s_xor_b32 s3, exec_lo, s3
; %bb.41:
	v_bfe_u32 v143, v141, 16, 1
	s_delay_alu instid0(VALU_DEP_1)
	v_add3_u32 v143, v141, v143, 0x7fff
                                        ; implicit-def: $vgpr141
; %bb.42:
	s_and_not1_saveexec_b32 s3, s3
; %bb.43:
	v_and_b32_e32 v143, 0xffff, v141
	v_or_b32_e32 v154, 0x10000, v141
	s_delay_alu instid0(VALU_DEP_2) | instskip(NEXT) | instid1(VALU_DEP_2)
	v_cmp_eq_u32_e32 vcc_lo, 0, v143
	v_cndmask_b32_e32 v143, v154, v141, vcc_lo
; %bb.44:
	s_or_b32 exec_lo, exec_lo, s3
	s_load_b64 s[34:35], s[0:1], 0x94
	v_lshlrev_b32_e32 v141, 4, v146
	s_delay_alu instid0(VALU_DEP_2)
	v_perm_b32 v154, v143, v150, 0x7060302
	v_dual_mul_f32 v138, v139, v138 :: v_dual_lshlrev_b32 v143, 11, v148
	v_perm_b32 v153, v152, v153, 0x7060302
	v_perm_b32 v152, v151, v144, 0x7060302
	;; [unrolled: 1-line block ×3, first 2 shown]
	v_mul_f32_e32 v142, v139, v131
	v_or3_b32 v131, v141, v143, v149
	v_mul_f32_e32 v137, v139, v137
	v_mul_f32_e32 v136, v139, v136
	;; [unrolled: 1-line block ×3, first 2 shown]
	v_and_b32_e32 v143, 0x7f800000, v142
	v_mul_f32_e32 v140, v139, v134
	v_mul_f32_e32 v141, v139, v133
	;; [unrolled: 1-line block ×3, first 2 shown]
	s_mov_b32 s3, exec_lo
	ds_store_b128 v131, v[151:154]
                                        ; implicit-def: $vgpr132
	v_cmpx_ne_u32_e32 0x7f800000, v143
	s_xor_b32 s3, exec_lo, s3
; %bb.45:
	v_bfe_u32 v132, v142, 16, 1
	s_delay_alu instid0(VALU_DEP_1)
	v_add3_u32 v132, v142, v132, 0x7fff
                                        ; implicit-def: $vgpr142
; %bb.46:
	s_and_not1_saveexec_b32 s3, s3
; %bb.47:
	v_and_b32_e32 v132, 0xffff, v142
	v_or_b32_e32 v133, 0x10000, v142
	s_delay_alu instid0(VALU_DEP_2) | instskip(NEXT) | instid1(VALU_DEP_2)
	v_cmp_eq_u32_e32 vcc_lo, 0, v132
	v_cndmask_b32_e32 v132, v133, v142, vcc_lo
; %bb.48:
	s_or_b32 exec_lo, exec_lo, s3
	v_and_b32_e32 v133, 0x7f800000, v134
	s_delay_alu instid0(VALU_DEP_1) | instskip(SKIP_1) | instid1(SALU_CYCLE_1)
	v_cmp_ne_u32_e32 vcc_lo, 0x7f800000, v133
                                        ; implicit-def: $vgpr133
	s_and_saveexec_b32 s3, vcc_lo
	s_xor_b32 s3, exec_lo, s3
; %bb.49:
	v_bfe_u32 v133, v134, 16, 1
	s_delay_alu instid0(VALU_DEP_1)
	v_add3_u32 v133, v134, v133, 0x7fff
                                        ; implicit-def: $vgpr134
; %bb.50:
	s_and_not1_saveexec_b32 s3, s3
; %bb.51:
	v_and_b32_e32 v133, 0xffff, v134
	v_or_b32_e32 v139, 0x10000, v134
	s_delay_alu instid0(VALU_DEP_2) | instskip(NEXT) | instid1(VALU_DEP_2)
	v_cmp_eq_u32_e32 vcc_lo, 0, v133
	v_cndmask_b32_e32 v133, v139, v134, vcc_lo
; %bb.52:
	s_or_b32 exec_lo, exec_lo, s3
	v_and_b32_e32 v134, 0x7f800000, v141
	s_delay_alu instid0(VALU_DEP_1) | instskip(SKIP_1) | instid1(SALU_CYCLE_1)
	v_cmp_ne_u32_e32 vcc_lo, 0x7f800000, v134
                                        ; implicit-def: $vgpr134
	s_and_saveexec_b32 s3, vcc_lo
	s_xor_b32 s3, exec_lo, s3
; %bb.53:
	v_bfe_u32 v134, v141, 16, 1
	s_delay_alu instid0(VALU_DEP_1)
	v_add3_u32 v134, v141, v134, 0x7fff
                                        ; implicit-def: $vgpr141
; %bb.54:
	s_and_not1_saveexec_b32 s3, s3
; %bb.55:
	v_and_b32_e32 v134, 0xffff, v141
	v_or_b32_e32 v139, 0x10000, v141
	s_delay_alu instid0(VALU_DEP_2) | instskip(NEXT) | instid1(VALU_DEP_2)
	v_cmp_eq_u32_e32 vcc_lo, 0, v134
	v_cndmask_b32_e32 v134, v139, v141, vcc_lo
; %bb.56:
	s_or_b32 exec_lo, exec_lo, s3
	v_and_b32_e32 v139, 0x7f800000, v140
	s_delay_alu instid0(VALU_DEP_1) | instskip(SKIP_1) | instid1(SALU_CYCLE_1)
	v_cmp_ne_u32_e32 vcc_lo, 0x7f800000, v139
                                        ; implicit-def: $vgpr139
	s_and_saveexec_b32 s3, vcc_lo
	s_xor_b32 s3, exec_lo, s3
; %bb.57:
	v_bfe_u32 v139, v140, 16, 1
	s_delay_alu instid0(VALU_DEP_1)
	v_add3_u32 v139, v140, v139, 0x7fff
                                        ; implicit-def: $vgpr140
; %bb.58:
	s_and_not1_saveexec_b32 s3, s3
; %bb.59:
	v_and_b32_e32 v139, 0xffff, v140
	v_or_b32_e32 v141, 0x10000, v140
	s_delay_alu instid0(VALU_DEP_2) | instskip(NEXT) | instid1(VALU_DEP_2)
	v_cmp_eq_u32_e32 vcc_lo, 0, v139
	v_cndmask_b32_e32 v139, v141, v140, vcc_lo
; %bb.60:
	s_or_b32 exec_lo, exec_lo, s3
	v_and_b32_e32 v140, 0x7f800000, v135
	s_delay_alu instid0(VALU_DEP_1) | instskip(SKIP_1) | instid1(SALU_CYCLE_1)
	v_cmp_ne_u32_e32 vcc_lo, 0x7f800000, v140
                                        ; implicit-def: $vgpr140
	s_and_saveexec_b32 s3, vcc_lo
	s_xor_b32 s3, exec_lo, s3
; %bb.61:
	v_bfe_u32 v140, v135, 16, 1
	s_delay_alu instid0(VALU_DEP_1)
	v_add3_u32 v140, v135, v140, 0x7fff
                                        ; implicit-def: $vgpr135
; %bb.62:
	s_and_not1_saveexec_b32 s3, s3
; %bb.63:
	v_and_b32_e32 v140, 0xffff, v135
	v_or_b32_e32 v141, 0x10000, v135
	s_delay_alu instid0(VALU_DEP_2) | instskip(NEXT) | instid1(VALU_DEP_2)
	v_cmp_eq_u32_e32 vcc_lo, 0, v140
	v_cndmask_b32_e32 v140, v141, v135, vcc_lo
; %bb.64:
	s_or_b32 exec_lo, exec_lo, s3
	v_and_b32_e32 v135, 0x7f800000, v136
	s_delay_alu instid0(VALU_DEP_1) | instskip(SKIP_1) | instid1(SALU_CYCLE_1)
	v_cmp_ne_u32_e32 vcc_lo, 0x7f800000, v135
                                        ; implicit-def: $vgpr135
	s_and_saveexec_b32 s3, vcc_lo
	s_xor_b32 s3, exec_lo, s3
; %bb.65:
	v_bfe_u32 v135, v136, 16, 1
	s_delay_alu instid0(VALU_DEP_1)
	v_add3_u32 v135, v136, v135, 0x7fff
                                        ; implicit-def: $vgpr136
; %bb.66:
	s_and_not1_saveexec_b32 s3, s3
; %bb.67:
	v_and_b32_e32 v135, 0xffff, v136
	v_or_b32_e32 v141, 0x10000, v136
	s_delay_alu instid0(VALU_DEP_2) | instskip(NEXT) | instid1(VALU_DEP_2)
	v_cmp_eq_u32_e32 vcc_lo, 0, v135
	v_cndmask_b32_e32 v135, v141, v136, vcc_lo
; %bb.68:
	s_or_b32 exec_lo, exec_lo, s3
	v_and_b32_e32 v136, 0x7f800000, v137
	s_delay_alu instid0(VALU_DEP_1) | instskip(SKIP_1) | instid1(SALU_CYCLE_1)
	v_cmp_ne_u32_e32 vcc_lo, 0x7f800000, v136
                                        ; implicit-def: $vgpr136
	s_and_saveexec_b32 s3, vcc_lo
	s_xor_b32 s3, exec_lo, s3
; %bb.69:
	v_bfe_u32 v136, v137, 16, 1
	s_delay_alu instid0(VALU_DEP_1)
	v_add3_u32 v136, v137, v136, 0x7fff
                                        ; implicit-def: $vgpr137
; %bb.70:
	s_and_not1_saveexec_b32 s3, s3
; %bb.71:
	v_and_b32_e32 v136, 0xffff, v137
	v_or_b32_e32 v141, 0x10000, v137
	s_delay_alu instid0(VALU_DEP_2) | instskip(NEXT) | instid1(VALU_DEP_2)
	v_cmp_eq_u32_e32 vcc_lo, 0, v136
	v_cndmask_b32_e32 v136, v141, v137, vcc_lo
; %bb.72:
	s_or_b32 exec_lo, exec_lo, s3
	v_and_b32_e32 v137, 0x7f800000, v138
	s_delay_alu instid0(VALU_DEP_1) | instskip(SKIP_1) | instid1(SALU_CYCLE_1)
	v_cmp_ne_u32_e32 vcc_lo, 0x7f800000, v137
                                        ; implicit-def: $vgpr137
	s_and_saveexec_b32 s3, vcc_lo
	s_xor_b32 s3, exec_lo, s3
; %bb.73:
	v_bfe_u32 v137, v138, 16, 1
	s_delay_alu instid0(VALU_DEP_1)
	v_add3_u32 v137, v138, v137, 0x7fff
                                        ; implicit-def: $vgpr138
; %bb.74:
	s_and_not1_saveexec_b32 s3, s3
; %bb.75:
	v_and_b32_e32 v137, 0xffff, v138
	v_or_b32_e32 v141, 0x10000, v138
	s_delay_alu instid0(VALU_DEP_2) | instskip(NEXT) | instid1(VALU_DEP_2)
	v_cmp_eq_u32_e32 vcc_lo, 0, v137
	v_cndmask_b32_e32 v137, v141, v138, vcc_lo
; %bb.76:
	s_or_b32 exec_lo, exec_lo, s3
	s_delay_alu instid0(VALU_DEP_1)
	v_perm_b32 v136, v137, v136, 0x7060302
	v_perm_b32 v135, v135, v140, 0x7060302
	v_perm_b32 v134, v139, v134, 0x7060302
	v_perm_b32 v133, v133, v132, 0x7060302
	v_lshl_or_b32 v140, v148, 11, v149
	v_lshlrev_b32_e32 v138, 2, v146
	ds_store_b128 v131, v[133:136] offset:1024
	s_waitcnt lgkmcnt(0)
	s_barrier
	buffer_gl0_inv
	ds_load_b128 v[132:135], v140
	ds_load_b128 v[150:153], v140 offset:16
	v_or_b32_e32 v139, 1, v138
	v_cmp_eq_u32_e64 s12, 1, v138
	v_cmp_eq_u32_e64 s11, 2, v138
	v_or_b32_e32 v137, 2, v138
	v_cmp_eq_u32_e64 s16, 3, v138
	v_cmp_eq_u32_e64 s7, 1, v139
	;; [unrolled: 1-line block ×8, first 2 shown]
	v_cmp_eq_u32_e32 vcc_lo, 5, v139
	v_cmp_eq_u32_e64 s10, 2, v137
	v_cmp_eq_u32_e64 s15, 6, v138
	;; [unrolled: 1-line block ×5, first 2 shown]
	s_waitcnt lgkmcnt(1)
	v_lshrrev_b32_e32 v136, 16, v132
	s_waitcnt lgkmcnt(0)
	v_lshrrev_b32_e32 v142, 16, v150
	v_lshrrev_b32_e32 v143, 16, v133
	v_lshrrev_b32_e32 v148, 16, v134
	v_lshrrev_b32_e32 v162, 16, v151
	v_cndmask_b32_e64 v141, v132, v136, s12
	v_cndmask_b32_e64 v154, v132, v136, s7
	;; [unrolled: 1-line block ×4, first 2 shown]
	v_lshrrev_b32_e32 v163, 16, v135
	v_cndmask_b32_e64 v141, v141, v133, s11
	v_cndmask_b32_e64 v154, v154, v133, s6
	;; [unrolled: 1-line block ×4, first 2 shown]
	v_lshrrev_b32_e32 v164, 16, v152
	v_cndmask_b32_e64 v141, v141, v143, s16
	v_cndmask_b32_e64 v154, v154, v143, s5
	;; [unrolled: 1-line block ×3, first 2 shown]
	v_cmp_eq_u32_e64 s19, 7, v139
	v_cndmask_b32_e64 v157, v150, v142, s8
	v_cndmask_b32_e64 v141, v141, v134, s17
	;; [unrolled: 1-line block ×5, first 2 shown]
	v_cmp_eq_u32_e64 s20, 4, v137
	v_cndmask_b32_e64 v141, v141, v148, s13
	v_cndmask_b32_e32 v154, v154, v148, vcc_lo
	v_cndmask_b32_e32 v158, v155, v164, vcc_lo
	v_cndmask_b32_e64 v159, v157, v151, s10
	v_cndmask_b32_e64 v160, v156, v134, s20
	;; [unrolled: 1-line block ×4, first 2 shown]
	v_cmp_eq_u32_e64 s22, 5, v137
	v_cndmask_b32_e64 v159, v159, v162, s18
	v_cndmask_b32_e64 v144, v150, v142, s12
	v_cndmask_b32_e64 v166, v141, v163, s9
	v_or_b32_e32 v141, 3, v138
	v_cndmask_b32_e64 v167, v154, v163, s19
	ds_load_b128 v[154:157], v140 offset:1024
	v_cndmask_b32_e64 v168, v160, v148, s22
	v_cndmask_b32_e64 v169, v159, v152, s20
	v_cmp_eq_u32_e64 s21, 1, v141
	v_cmp_eq_u32_e64 s23, 2, v141
	;; [unrolled: 1-line block ×3, first 2 shown]
	v_cndmask_b32_e64 v144, v144, v151, s11
	v_cmp_eq_u32_e64 s26, 4, v141
	v_cndmask_b32_e64 v132, v132, v136, s21
	v_cndmask_b32_e64 v136, v158, v153, s4
	ds_load_b128 v[158:161], v140 offset:1040
	v_cndmask_b32_e64 v142, v150, v142, s21
	v_cndmask_b32_e64 v144, v144, v162, s16
	;; [unrolled: 1-line block ×3, first 2 shown]
	v_cmp_eq_u32_e64 s28, 5, v141
	v_cmp_eq_u32_e64 s25, 6, v137
	v_cndmask_b32_e64 v142, v142, v151, s23
	v_cndmask_b32_e64 v144, v144, v152, s17
	;; [unrolled: 1-line block ×3, first 2 shown]
	v_cmp_eq_u32_e64 s29, 6, v141
	s_waitcnt lgkmcnt(1)
	v_lshrrev_b32_e32 v150, 16, v154
	v_cndmask_b32_e64 v142, v142, v162, s24
	v_lshrrev_b32_e32 v151, 16, v155
	v_cndmask_b32_e64 v132, v132, v134, s26
	v_cndmask_b32_e64 v144, v144, v164, s13
	;; [unrolled: 1-line block ×7, first 2 shown]
	s_waitcnt lgkmcnt(0)
	v_lshrrev_b32_e32 v148, 16, v158
	v_cndmask_b32_e64 v143, v168, v135, s25
	v_cndmask_b32_e64 v142, v142, v155, s11
	;; [unrolled: 1-line block ×5, first 2 shown]
	v_lshrrev_b32_e32 v165, 16, v153
	v_cndmask_b32_e64 v135, v142, v151, s16
	v_cndmask_b32_e64 v142, v152, v155, s6
	;; [unrolled: 1-line block ×6, first 2 shown]
	v_lshrrev_b32_e32 v153, 16, v159
	v_cmp_eq_u32_e64 s11, 7, v141
	v_cndmask_b32_e64 v142, v142, v151, s5
	v_cmp_eq_u32_e64 s27, 7, v137
	v_cndmask_b32_e64 v135, v135, v156, s17
	v_lshrrev_b32_e32 v162, 16, v156
	v_cndmask_b32_e64 v152, v152, v153, s16
	v_cndmask_b32_e64 v132, v132, v163, s11
	;; [unrolled: 1-line block ×7, first 2 shown]
	v_lshrrev_b32_e32 v164, 16, v160
	v_perm_b32 v135, v134, v132, 0x5040100
	v_cndmask_b32_e32 v132, v142, v162, vcc_lo
	v_cndmask_b32_e64 v136, v136, v165, s19
	v_cndmask_b32_e64 v133, v133, v165, s27
	;; [unrolled: 1-line block ×3, first 2 shown]
	v_lshrrev_b32_e32 v163, 16, v157
	v_cndmask_b32_e64 v152, v152, v164, s13
	v_cndmask_b32_e64 v132, v132, v157, s4
	;; [unrolled: 1-line block ×3, first 2 shown]
	v_perm_b32 v134, v133, v143, 0x5040100
	v_perm_b32 v133, v136, v167, 0x5040100
	v_cndmask_b32_e64 v136, v142, v163, s9
	v_cndmask_b32_e64 v142, v152, v161, s15
	;; [unrolled: 1-line block ×27, first 2 shown]
	v_cndmask_b32_e32 v148, v148, v164, vcc_lo
	v_lshrrev_b32_e32 v143, 16, v161
	v_cndmask_b32_e64 v132, v132, v157, s25
	v_cndmask_b32_e64 v150, v150, v157, s29
	;; [unrolled: 1-line block ×11, first 2 shown]
	v_perm_b32 v132, v144, v166, 0x5040100
	v_perm_b32 v153, v151, v150, 0x5040100
	;; [unrolled: 1-line block ×5, first 2 shown]
	s_lshl_b32 s8, s35, 4
	s_mov_b32 s3, exec_lo
	ds_store_b128 v131, v[132:135]
	ds_store_b128 v131, v[150:153] offset:1024
	v_cmpx_gt_u32_e32 16, v0
	s_cbranch_execz .LBB493_78
; %bb.77:
	v_or_b32_e32 v131, s31, v0
	s_load_b128 s[4:7], s[0:1], 0x58
	s_delay_alu instid0(VALU_DEP_1) | instskip(NEXT) | instid1(VALU_DEP_1)
	v_mad_u64_u32 v[132:133], null, s8, s30, v[131:132]
	v_mad_u64_u32 v[133:134], null, v132, s34, s[14:15]
	s_delay_alu instid0(VALU_DEP_1) | instskip(NEXT) | instid1(VALU_DEP_1)
	v_ashrrev_i32_e32 v134, 31, v133
	v_lshlrev_b64 v[131:132], 2, v[133:134]
	s_waitcnt lgkmcnt(0)
	s_delay_alu instid0(VALU_DEP_1) | instskip(NEXT) | instid1(VALU_DEP_2)
	v_add_co_u32 v133, vcc_lo, s6, v131
	v_add_co_ci_u32_e32 v134, vcc_lo, s7, v132, vcc_lo
	v_add_co_u32 v131, vcc_lo, s4, v131
	v_add_co_ci_u32_e32 v132, vcc_lo, s5, v132, vcc_lo
	global_store_b32 v[133:134], v129, off
	global_store_b32 v[131:132], v130, off
.LBB493_78:
	s_or_b32 exec_lo, exec_lo, s3
	s_waitcnt lgkmcnt(0)
	s_waitcnt_vscnt null, 0x0
	s_barrier
	buffer_gl0_inv
	ds_load_b128 v[150:153], v149
	ds_load_b128 v[154:157], v149 offset:16
	ds_load_b128 v[162:165], v149 offset:1040
	;; [unrolled: 1-line block ×3, first 2 shown]
	v_mov_b32_e32 v129, 0
	ds_load_b128 v[170:173], v149 offset:2064
	ds_load_b128 v[166:169], v149 offset:2048
	;; [unrolled: 1-line block ×6, first 2 shown]
	v_mov_b32_e32 v130, v129
	v_mov_b32_e32 v131, v129
	v_mov_b32_e32 v132, v129
	v_mov_b32_e32 v133, v129
	v_mov_b32_e32 v134, v129
	v_mov_b32_e32 v135, v129
	v_mov_b32_e32 v136, v129
	s_waitcnt lgkmcnt(8)
	s_delay_alu instid0(VALU_DEP_1)
	v_wmma_f32_16x16x16_bf16 v[129:136], v[121:128], v[150:157], v[129:136]
	ds_load_b128 v[125:128], v149 offset:5136
	ds_load_b128 v[121:124], v149 offset:5120
	s_waitcnt lgkmcnt(8)
	v_wmma_f32_16x16x16_bf16 v[129:136], v[113:120], v[158:165], v[129:136]
	ds_load_b128 v[117:120], v149 offset:6160
	ds_load_b128 v[113:116], v149 offset:6144
	s_waitcnt lgkmcnt(8)
	;; [unrolled: 4-line block ×8, first 2 shown]
	v_wmma_f32_16x16x16_bf16 v[129:136], v[65:72], v[97:104], v[129:136]
	s_waitcnt lgkmcnt(6)
	s_delay_alu instid0(VALU_DEP_1)
	v_wmma_f32_16x16x16_bf16 v[129:136], v[49:56], v[89:96], v[129:136]
	ds_load_b128 v[53:56], v149 offset:13328
	ds_load_b128 v[49:52], v149 offset:13312
	s_waitcnt lgkmcnt(6)
	v_wmma_f32_16x16x16_bf16 v[129:136], v[41:48], v[81:88], v[129:136]
	ds_load_b128 v[45:48], v149 offset:14352
	ds_load_b128 v[41:44], v149 offset:14336
	s_waitcnt lgkmcnt(6)
	;; [unrolled: 4-line block ×3, first 2 shown]
	v_wmma_f32_16x16x16_bf16 v[129:136], v[1:8], v[57:64], v[129:136]
	s_waitcnt lgkmcnt(4)
	s_delay_alu instid0(VALU_DEP_1) | instskip(SKIP_1) | instid1(VALU_DEP_1)
	v_wmma_f32_16x16x16_bf16 v[129:136], v[25:32], v[49:56], v[129:136]
	s_waitcnt lgkmcnt(2)
	v_wmma_f32_16x16x16_bf16 v[129:136], v[33:40], v[41:48], v[129:136]
	s_waitcnt lgkmcnt(0)
	s_delay_alu instid0(VALU_DEP_1) | instskip(NEXT) | instid1(VALU_DEP_1)
	v_wmma_f32_16x16x16_bf16 v[129:136], v[9:16], v[17:24], v[129:136]
	v_and_b32_e32 v1, 0x7f800000, v129
	s_delay_alu instid0(VALU_DEP_1) | instskip(SKIP_1) | instid1(SALU_CYCLE_1)
	v_cmp_ne_u32_e32 vcc_lo, 0x7f800000, v1
                                        ; implicit-def: $vgpr1
	s_and_saveexec_b32 s3, vcc_lo
	s_xor_b32 s3, exec_lo, s3
; %bb.79:
	v_bfe_u32 v1, v129, 16, 1
	s_delay_alu instid0(VALU_DEP_1)
	v_add3_u32 v1, v129, v1, 0x7fff
; %bb.80:
	s_and_not1_saveexec_b32 s3, s3
; %bb.81:
	v_and_b32_e32 v1, 0xffff, v129
	v_or_b32_e32 v2, 0x10000, v129
	s_delay_alu instid0(VALU_DEP_2) | instskip(NEXT) | instid1(VALU_DEP_2)
	v_cmp_eq_u32_e32 vcc_lo, 0, v1
	v_cndmask_b32_e32 v1, v2, v129, vcc_lo
; %bb.82:
	s_or_b32 exec_lo, exec_lo, s3
	v_and_b32_e32 v2, 0x7f800000, v130
	s_delay_alu instid0(VALU_DEP_1) | instskip(SKIP_1) | instid1(SALU_CYCLE_1)
	v_cmp_ne_u32_e32 vcc_lo, 0x7f800000, v2
                                        ; implicit-def: $vgpr2
	s_and_saveexec_b32 s3, vcc_lo
	s_xor_b32 s3, exec_lo, s3
; %bb.83:
	v_bfe_u32 v2, v130, 16, 1
	s_delay_alu instid0(VALU_DEP_1)
	v_add3_u32 v2, v130, v2, 0x7fff
; %bb.84:
	s_and_not1_saveexec_b32 s3, s3
; %bb.85:
	v_and_b32_e32 v2, 0xffff, v130
	v_or_b32_e32 v3, 0x10000, v130
	s_delay_alu instid0(VALU_DEP_2) | instskip(NEXT) | instid1(VALU_DEP_2)
	v_cmp_eq_u32_e32 vcc_lo, 0, v2
	v_cndmask_b32_e32 v2, v3, v130, vcc_lo
; %bb.86:
	s_or_b32 exec_lo, exec_lo, s3
	v_and_b32_e32 v3, 0x7f800000, v131
	s_delay_alu instid0(VALU_DEP_1) | instskip(SKIP_1) | instid1(SALU_CYCLE_1)
	v_cmp_ne_u32_e32 vcc_lo, 0x7f800000, v3
                                        ; implicit-def: $vgpr3
	s_and_saveexec_b32 s3, vcc_lo
	s_xor_b32 s3, exec_lo, s3
; %bb.87:
	v_bfe_u32 v3, v131, 16, 1
	s_delay_alu instid0(VALU_DEP_1)
	v_add3_u32 v3, v131, v3, 0x7fff
; %bb.88:
	s_and_not1_saveexec_b32 s3, s3
; %bb.89:
	v_and_b32_e32 v3, 0xffff, v131
	v_or_b32_e32 v4, 0x10000, v131
	s_delay_alu instid0(VALU_DEP_2) | instskip(NEXT) | instid1(VALU_DEP_2)
	v_cmp_eq_u32_e32 vcc_lo, 0, v3
	v_cndmask_b32_e32 v3, v4, v131, vcc_lo
; %bb.90:
	s_or_b32 exec_lo, exec_lo, s3
	v_and_b32_e32 v4, 0x7f800000, v132
	s_delay_alu instid0(VALU_DEP_1) | instskip(SKIP_1) | instid1(SALU_CYCLE_1)
	v_cmp_ne_u32_e32 vcc_lo, 0x7f800000, v4
                                        ; implicit-def: $vgpr4
	s_and_saveexec_b32 s3, vcc_lo
	s_xor_b32 s3, exec_lo, s3
; %bb.91:
	v_bfe_u32 v4, v132, 16, 1
	s_delay_alu instid0(VALU_DEP_1)
	v_add3_u32 v4, v132, v4, 0x7fff
; %bb.92:
	s_and_not1_saveexec_b32 s3, s3
; %bb.93:
	v_and_b32_e32 v4, 0xffff, v132
	v_or_b32_e32 v5, 0x10000, v132
	s_delay_alu instid0(VALU_DEP_2) | instskip(NEXT) | instid1(VALU_DEP_2)
	v_cmp_eq_u32_e32 vcc_lo, 0, v4
	v_cndmask_b32_e32 v4, v5, v132, vcc_lo
; %bb.94:
	s_or_b32 exec_lo, exec_lo, s3
	v_and_b32_e32 v5, 0x7f800000, v133
	s_delay_alu instid0(VALU_DEP_1) | instskip(SKIP_1) | instid1(SALU_CYCLE_1)
	v_cmp_ne_u32_e32 vcc_lo, 0x7f800000, v5
                                        ; implicit-def: $vgpr5
	s_and_saveexec_b32 s3, vcc_lo
	s_xor_b32 s3, exec_lo, s3
; %bb.95:
	v_bfe_u32 v5, v133, 16, 1
	s_delay_alu instid0(VALU_DEP_1)
	v_add3_u32 v5, v133, v5, 0x7fff
; %bb.96:
	s_and_not1_saveexec_b32 s3, s3
; %bb.97:
	v_and_b32_e32 v5, 0xffff, v133
	v_or_b32_e32 v6, 0x10000, v133
	s_delay_alu instid0(VALU_DEP_2) | instskip(NEXT) | instid1(VALU_DEP_2)
	v_cmp_eq_u32_e32 vcc_lo, 0, v5
	v_cndmask_b32_e32 v5, v6, v133, vcc_lo
; %bb.98:
	s_or_b32 exec_lo, exec_lo, s3
	v_and_b32_e32 v6, 0x7f800000, v134
	s_delay_alu instid0(VALU_DEP_1) | instskip(SKIP_1) | instid1(SALU_CYCLE_1)
	v_cmp_ne_u32_e32 vcc_lo, 0x7f800000, v6
                                        ; implicit-def: $vgpr6
	s_and_saveexec_b32 s3, vcc_lo
	s_xor_b32 s3, exec_lo, s3
; %bb.99:
	v_bfe_u32 v6, v134, 16, 1
	s_delay_alu instid0(VALU_DEP_1)
	v_add3_u32 v6, v134, v6, 0x7fff
; %bb.100:
	s_and_not1_saveexec_b32 s3, s3
; %bb.101:
	v_and_b32_e32 v6, 0xffff, v134
	v_or_b32_e32 v7, 0x10000, v134
	s_delay_alu instid0(VALU_DEP_2) | instskip(NEXT) | instid1(VALU_DEP_2)
	v_cmp_eq_u32_e32 vcc_lo, 0, v6
	v_cndmask_b32_e32 v6, v7, v134, vcc_lo
; %bb.102:
	s_or_b32 exec_lo, exec_lo, s3
	v_and_b32_e32 v7, 0x7f800000, v135
	s_delay_alu instid0(VALU_DEP_1) | instskip(SKIP_1) | instid1(SALU_CYCLE_1)
	v_cmp_ne_u32_e32 vcc_lo, 0x7f800000, v7
                                        ; implicit-def: $vgpr7
	s_and_saveexec_b32 s3, vcc_lo
	s_xor_b32 s3, exec_lo, s3
; %bb.103:
	v_bfe_u32 v7, v135, 16, 1
	s_delay_alu instid0(VALU_DEP_1)
	v_add3_u32 v7, v135, v7, 0x7fff
; %bb.104:
	s_and_not1_saveexec_b32 s3, s3
; %bb.105:
	v_and_b32_e32 v7, 0xffff, v135
	v_or_b32_e32 v8, 0x10000, v135
	s_delay_alu instid0(VALU_DEP_2) | instskip(NEXT) | instid1(VALU_DEP_2)
	v_cmp_eq_u32_e32 vcc_lo, 0, v7
	v_cndmask_b32_e32 v7, v8, v135, vcc_lo
; %bb.106:
	s_or_b32 exec_lo, exec_lo, s3
	v_and_b32_e32 v8, 0x7f800000, v136
	s_delay_alu instid0(VALU_DEP_1) | instskip(SKIP_1) | instid1(SALU_CYCLE_1)
	v_cmp_ne_u32_e32 vcc_lo, 0x7f800000, v8
                                        ; implicit-def: $vgpr8
	s_and_saveexec_b32 s3, vcc_lo
	s_xor_b32 s3, exec_lo, s3
; %bb.107:
	v_bfe_u32 v8, v136, 16, 1
	s_delay_alu instid0(VALU_DEP_1)
	v_add3_u32 v8, v136, v8, 0x7fff
                                        ; implicit-def: $vgpr129_vgpr130_vgpr131_vgpr132_vgpr133_vgpr134_vgpr135_vgpr136
; %bb.108:
	s_and_not1_saveexec_b32 s3, s3
; %bb.109:
	v_and_b32_e32 v8, 0xffff, v136
	v_or_b32_e32 v9, 0x10000, v136
	s_delay_alu instid0(VALU_DEP_2) | instskip(NEXT) | instid1(VALU_DEP_2)
	v_cmp_eq_u32_e32 vcc_lo, 0, v8
	v_cndmask_b32_e32 v8, v9, v136, vcc_lo
; %bb.110:
	s_or_b32 exec_lo, exec_lo, s3
	s_delay_alu instid0(VALU_DEP_1)
	v_perm_b32 v7, v8, v7, 0x7060302
	v_perm_b32 v6, v6, v5, 0x7060302
	;; [unrolled: 1-line block ×4, first 2 shown]
	v_lshl_or_b32 v9, v146, 4, v140
	s_barrier
	buffer_gl0_inv
	v_cmp_eq_u32_e32 vcc_lo, 1, v138
	ds_store_b128 v9, v[4:7]
	s_waitcnt lgkmcnt(0)
	s_barrier
	buffer_gl0_inv
	ds_load_b128 v[1:4], v140
	ds_load_b128 v[5:8], v140 offset:16
	v_cmp_eq_u32_e64 s4, 2, v138
	v_cmp_eq_u32_e64 s3, 1, v139
	;; [unrolled: 1-line block ×5, first 2 shown]
	s_waitcnt lgkmcnt(1)
	v_lshrrev_b32_e32 v10, 16, v1
	s_waitcnt lgkmcnt(0)
	v_lshrrev_b32_e32 v14, 16, v5
	v_lshrrev_b32_e32 v15, 16, v6
	;; [unrolled: 1-line block ×4, first 2 shown]
	v_cndmask_b32_e64 v20, v1, v10, s3
	v_cndmask_b32_e32 v19, v5, v14, vcc_lo
	v_cndmask_b32_e64 v21, v5, v14, s3
	v_lshrrev_b32_e32 v16, 16, v7
	v_cmp_eq_u32_e64 s3, 1, v137
	v_lshrrev_b32_e32 v13, 16, v4
	v_cndmask_b32_e64 v19, v19, v6, s4
	v_lshrrev_b32_e32 v17, 16, v8
	s_delay_alu instid0(VALU_DEP_4) | instskip(SKIP_1) | instid1(VALU_DEP_4)
	v_cndmask_b32_e64 v22, v1, v10, s3
	v_cndmask_b32_e64 v23, v5, v14, s3
	;; [unrolled: 1-line block ×3, first 2 shown]
	v_cndmask_b32_e32 v18, v1, v10, vcc_lo
	v_cmp_eq_u32_e32 vcc_lo, 2, v139
	v_cmp_eq_u32_e64 s3, 2, v141
	v_cndmask_b32_e64 v22, v22, v2, s7
	v_cndmask_b32_e32 v20, v20, v2, vcc_lo
	v_cndmask_b32_e32 v21, v21, v6, vcc_lo
	v_cmp_eq_u32_e32 vcc_lo, 4, v138
	v_cndmask_b32_e32 v19, v19, v7, vcc_lo
	v_cndmask_b32_e64 v18, v18, v2, s4
	v_cmp_eq_u32_e64 s4, 3, v139
	s_delay_alu instid0(VALU_DEP_2) | instskip(NEXT) | instid1(VALU_DEP_2)
	v_cndmask_b32_e64 v18, v18, v11, s5
	v_cndmask_b32_e64 v21, v21, v15, s4
	v_cmp_eq_u32_e64 s5, 5, v138
	s_delay_alu instid0(VALU_DEP_3) | instskip(SKIP_1) | instid1(VALU_DEP_3)
	v_cndmask_b32_e32 v18, v18, v3, vcc_lo
	v_cmp_eq_u32_e32 vcc_lo, 4, v139
	v_cndmask_b32_e64 v19, v19, v16, s5
	s_delay_alu instid0(VALU_DEP_3) | instskip(SKIP_4) | instid1(VALU_DEP_3)
	v_cndmask_b32_e64 v18, v18, v12, s5
	v_cndmask_b32_e32 v21, v21, v7, vcc_lo
	v_cndmask_b32_e64 v20, v20, v11, s4
	v_cmp_eq_u32_e64 s4, 5, v139
	v_cmp_eq_u32_e64 s5, 6, v138
	v_cndmask_b32_e32 v20, v20, v3, vcc_lo
	s_delay_alu instid0(VALU_DEP_3) | instskip(SKIP_1) | instid1(VALU_DEP_4)
	v_cndmask_b32_e64 v21, v21, v16, s4
	v_cmp_eq_u32_e32 vcc_lo, 6, v139
	v_cndmask_b32_e64 v18, v18, v4, s5
	v_cndmask_b32_e64 v19, v19, v8, s5
	v_cndmask_b32_e64 v20, v20, v12, s4
	v_cmp_eq_u32_e64 s4, 1, v141
	v_cmp_eq_u32_e64 s5, 7, v138
	s_delay_alu instid0(VALU_DEP_3) | instskip(NEXT) | instid1(VALU_DEP_3)
	v_cndmask_b32_e32 v20, v20, v4, vcc_lo
	v_cndmask_b32_e64 v1, v1, v10, s4
	v_cndmask_b32_e64 v5, v5, v14, s4
	v_cmp_eq_u32_e64 s4, 3, v137
	v_cndmask_b32_e64 v14, v23, v6, s7
	v_cmp_eq_u32_e64 s7, 3, v141
	v_cndmask_b32_e64 v1, v1, v2, s3
	v_cndmask_b32_e64 v2, v5, v6, s3
	v_cndmask_b32_e64 v10, v22, v11, s4
	v_cmp_eq_u32_e64 s3, 4, v137
	v_cndmask_b32_e64 v6, v14, v15, s4
	v_cndmask_b32_e64 v1, v1, v11, s7
	v_cmp_eq_u32_e64 s4, 4, v141
	v_cndmask_b32_e64 v2, v2, v15, s7
	v_cndmask_b32_e64 v5, v10, v3, s3
	;; [unrolled: 3-line block ×3, first 2 shown]
	v_cndmask_b32_e64 v2, v2, v7, s4
	v_cmp_eq_u32_e64 s3, 5, v141
	v_cndmask_b32_e64 v5, v5, v12, s7
	v_cmp_eq_u32_e64 s4, 6, v137
	;; [unrolled: 2-line block ×3, first 2 shown]
	v_cndmask_b32_e64 v1, v1, v12, s3
	v_cndmask_b32_e64 v2, v2, v16, s3
	;; [unrolled: 1-line block ×4, first 2 shown]
	v_cmp_eq_u32_e64 s3, 7, v141
	v_cndmask_b32_e64 v1, v1, v4, s7
	v_cndmask_b32_e64 v2, v2, v8, s7
	v_cmp_eq_u32_e64 s4, 7, v137
	v_cndmask_b32_e32 v4, v21, v8, vcc_lo
	v_cndmask_b32_e64 v18, v18, v13, s5
	v_cndmask_b32_e64 v20, v20, v13, s6
	;; [unrolled: 1-line block ×8, first 2 shown]
	v_cmp_gt_u32_e32 vcc_lo, 32, v0
	v_perm_b32 v4, v2, v1, 0x5040100
	v_perm_b32 v3, v3, v5, 0x5040100
	;; [unrolled: 1-line block ×4, first 2 shown]
	s_and_b32 s2, vcc_lo, s2
	ds_store_b128 v9, v[1:4]
	s_waitcnt lgkmcnt(0)
	s_barrier
	buffer_gl0_inv
	s_and_saveexec_b32 s3, s2
	s_cbranch_execz .LBB493_2
; %bb.111:
	s_load_b64 s[0:1], s[0:1], 0x68
	v_lshlrev_b32_e32 v0, 10, v0
	s_lshl_b32 s4, s34, 6
	v_or_b32_e32 v23, s31, v146
	s_mul_i32 s2, s4, s30
	v_lshlrev_b32_e32 v1, 4, v147
	v_lshlrev_b32_e32 v2, 6, v146
	s_mul_i32 s2, s2, s8
	v_and_b32_e32 v0, 0x3800, v0
	v_mul_lo_u32 v8, v23, s4
	s_ashr_i32 s3, s2, 31
	v_or_b32_e32 v3, 2, v23
	s_lshl_b64 s[2:3], s[2:3], 1
	v_or3_b32 v27, v0, v1, v2
	v_or_b32_e32 v11, 4, v23
	v_or_b32_e32 v18, 6, v23
	v_mul_lo_u32 v10, v3, s4
	v_ashrrev_i32_e32 v9, 31, v8
	ds_load_b128 v[0:3], v27
	ds_load_b128 v[4:7], v27 offset:128
	v_mul_lo_u32 v12, v11, s4
	s_waitcnt lgkmcnt(0)
	s_add_u32 s2, s0, s2
	s_addc_u32 s3, s1, s3
	s_lshl_b32 s0, s14, 6
	v_lshlrev_b64 v[8:9], 1, v[8:9]
	s_ashr_i32 s1, s0, 31
	v_ashrrev_i32_e32 v11, 31, v10
	s_lshl_b64 s[0:1], s[0:1], 1
	v_ashrrev_i32_e32 v13, 31, v12
	s_add_u32 s0, s2, s0
	s_addc_u32 s1, s3, s1
	v_add_co_u32 v30, s0, s0, v145
	s_delay_alu instid0(VALU_DEP_1) | instskip(SKIP_1) | instid1(VALU_DEP_3)
	v_add_co_ci_u32_e64 v31, null, s1, 0, s0
	v_lshlrev_b64 v[16:17], 1, v[10:11]
	v_add_co_u32 v14, vcc_lo, v30, v8
	s_delay_alu instid0(VALU_DEP_3)
	v_add_co_ci_u32_e32 v15, vcc_lo, v31, v9, vcc_lo
	ds_load_b128 v[8:11], v27 offset:256
	v_mul_lo_u32 v18, v18, s4
	v_or_b32_e32 v19, 8, v23
	v_add_co_u32 v16, vcc_lo, v30, v16
	global_store_b128 v[14:15], v[0:3], off
	v_lshlrev_b64 v[0:1], 1, v[12:13]
	v_add_co_ci_u32_e32 v17, vcc_lo, v31, v17, vcc_lo
	v_mul_lo_u32 v12, v19, s4
	v_ashrrev_i32_e32 v19, 31, v18
	v_or_b32_e32 v14, 10, v23
	global_store_b128 v[16:17], v[4:7], off
	v_add_co_u32 v4, vcc_lo, v30, v0
	v_add_co_ci_u32_e32 v5, vcc_lo, v31, v1, vcc_lo
	ds_load_b128 v[0:3], v27 offset:384
	v_ashrrev_i32_e32 v13, 31, v12
	v_lshlrev_b64 v[6:7], 1, v[18:19]
	v_mul_lo_u32 v14, v14, s4
	s_waitcnt lgkmcnt(1)
	global_store_b128 v[4:5], v[8:11], off
	v_or_b32_e32 v8, 12, v23
	v_lshlrev_b64 v[4:5], 1, v[12:13]
	v_add_co_u32 v20, vcc_lo, v30, v6
	v_or_b32_e32 v6, 14, v23
	v_ashrrev_i32_e32 v15, 31, v14
	v_mul_lo_u32 v22, v8, s4
	v_add_co_ci_u32_e32 v21, vcc_lo, v31, v7, vcc_lo
	v_add_co_u32 v24, vcc_lo, v30, v4
	v_mul_lo_u32 v26, v6, s4
	v_add_co_ci_u32_e32 v25, vcc_lo, v31, v5, vcc_lo
	v_lshlrev_b64 v[28:29], 1, v[14:15]
	ds_load_b128 v[4:7], v27 offset:512
	ds_load_b128 v[8:11], v27 offset:640
	;; [unrolled: 1-line block ×4, first 2 shown]
	v_ashrrev_i32_e32 v23, 31, v22
	v_ashrrev_i32_e32 v27, 31, v26
	v_add_co_u32 v28, vcc_lo, v30, v28
	s_delay_alu instid0(VALU_DEP_3) | instskip(SKIP_1) | instid1(VALU_DEP_4)
	v_lshlrev_b64 v[22:23], 1, v[22:23]
	v_add_co_ci_u32_e32 v29, vcc_lo, v31, v29, vcc_lo
	v_lshlrev_b64 v[26:27], 1, v[26:27]
	s_delay_alu instid0(VALU_DEP_3) | instskip(NEXT) | instid1(VALU_DEP_4)
	v_add_co_u32 v22, vcc_lo, v30, v22
	v_add_co_ci_u32_e32 v23, vcc_lo, v31, v23, vcc_lo
	s_delay_alu instid0(VALU_DEP_3) | instskip(NEXT) | instid1(VALU_DEP_4)
	v_add_co_u32 v26, vcc_lo, v30, v26
	v_add_co_ci_u32_e32 v27, vcc_lo, v31, v27, vcc_lo
	s_waitcnt lgkmcnt(4)
	global_store_b128 v[20:21], v[0:3], off
	s_waitcnt lgkmcnt(3)
	global_store_b128 v[24:25], v[4:7], off
	;; [unrolled: 2-line block ×5, first 2 shown]
	s_nop 0
	s_sendmsg sendmsg(MSG_DEALLOC_VGPRS)
	s_endpgm
	.section	.rodata,"a",@progbits
	.p2align	6, 0x0
	.amdhsa_kernel _Z39paged_attention_ll4mi_QKV_mfma16_kernelI14__hip_bfloat16S0_LN4vllm18Fp8KVCacheDataTypeE0ES0_Li16ELi64ELi256ELb0ELi16EL8MFMAType0EEvPKT_PKT0_S9_ifPKiSB_SB_iPKfiiiPfSE_PS4_PT2_iSD_SD_
		.amdhsa_group_segment_fixed_size 17472
		.amdhsa_private_segment_fixed_size 0
		.amdhsa_kernarg_size 400
		.amdhsa_user_sgpr_count 13
		.amdhsa_user_sgpr_dispatch_ptr 0
		.amdhsa_user_sgpr_queue_ptr 0
		.amdhsa_user_sgpr_kernarg_segment_ptr 1
		.amdhsa_user_sgpr_dispatch_id 0
		.amdhsa_user_sgpr_private_segment_size 0
		.amdhsa_wavefront_size32 1
		.amdhsa_uses_dynamic_stack 0
		.amdhsa_enable_private_segment 0
		.amdhsa_system_sgpr_workgroup_id_x 1
		.amdhsa_system_sgpr_workgroup_id_y 1
		.amdhsa_system_sgpr_workgroup_id_z 1
		.amdhsa_system_sgpr_workgroup_info 0
		.amdhsa_system_vgpr_workitem_id 0
		.amdhsa_next_free_vgpr 198
		.amdhsa_next_free_sgpr 52
		.amdhsa_reserve_vcc 1
		.amdhsa_float_round_mode_32 0
		.amdhsa_float_round_mode_16_64 0
		.amdhsa_float_denorm_mode_32 3
		.amdhsa_float_denorm_mode_16_64 3
		.amdhsa_dx10_clamp 1
		.amdhsa_ieee_mode 1
		.amdhsa_fp16_overflow 0
		.amdhsa_workgroup_processor_mode 1
		.amdhsa_memory_ordered 1
		.amdhsa_forward_progress 0
		.amdhsa_shared_vgpr_count 0
		.amdhsa_exception_fp_ieee_invalid_op 0
		.amdhsa_exception_fp_denorm_src 0
		.amdhsa_exception_fp_ieee_div_zero 0
		.amdhsa_exception_fp_ieee_overflow 0
		.amdhsa_exception_fp_ieee_underflow 0
		.amdhsa_exception_fp_ieee_inexact 0
		.amdhsa_exception_int_div_zero 0
	.end_amdhsa_kernel
	.section	.text._Z39paged_attention_ll4mi_QKV_mfma16_kernelI14__hip_bfloat16S0_LN4vllm18Fp8KVCacheDataTypeE0ES0_Li16ELi64ELi256ELb0ELi16EL8MFMAType0EEvPKT_PKT0_S9_ifPKiSB_SB_iPKfiiiPfSE_PS4_PT2_iSD_SD_,"axG",@progbits,_Z39paged_attention_ll4mi_QKV_mfma16_kernelI14__hip_bfloat16S0_LN4vllm18Fp8KVCacheDataTypeE0ES0_Li16ELi64ELi256ELb0ELi16EL8MFMAType0EEvPKT_PKT0_S9_ifPKiSB_SB_iPKfiiiPfSE_PS4_PT2_iSD_SD_,comdat
.Lfunc_end493:
	.size	_Z39paged_attention_ll4mi_QKV_mfma16_kernelI14__hip_bfloat16S0_LN4vllm18Fp8KVCacheDataTypeE0ES0_Li16ELi64ELi256ELb0ELi16EL8MFMAType0EEvPKT_PKT0_S9_ifPKiSB_SB_iPKfiiiPfSE_PS4_PT2_iSD_SD_, .Lfunc_end493-_Z39paged_attention_ll4mi_QKV_mfma16_kernelI14__hip_bfloat16S0_LN4vllm18Fp8KVCacheDataTypeE0ES0_Li16ELi64ELi256ELb0ELi16EL8MFMAType0EEvPKT_PKT0_S9_ifPKiSB_SB_iPKfiiiPfSE_PS4_PT2_iSD_SD_
                                        ; -- End function
	.section	.AMDGPU.csdata,"",@progbits
; Kernel info:
; codeLenInByte = 10196
; NumSgprs: 54
; NumVgprs: 198
; ScratchSize: 0
; MemoryBound: 0
; FloatMode: 240
; IeeeMode: 1
; LDSByteSize: 17472 bytes/workgroup (compile time only)
; SGPRBlocks: 6
; VGPRBlocks: 24
; NumSGPRsForWavesPerEU: 54
; NumVGPRsForWavesPerEU: 198
; Occupancy: 7
; WaveLimiterHint : 1
; COMPUTE_PGM_RSRC2:SCRATCH_EN: 0
; COMPUTE_PGM_RSRC2:USER_SGPR: 13
; COMPUTE_PGM_RSRC2:TRAP_HANDLER: 0
; COMPUTE_PGM_RSRC2:TGID_X_EN: 1
; COMPUTE_PGM_RSRC2:TGID_Y_EN: 1
; COMPUTE_PGM_RSRC2:TGID_Z_EN: 1
; COMPUTE_PGM_RSRC2:TIDIG_COMP_CNT: 0
	.section	.text._Z39paged_attention_ll4mi_QKV_mfma16_kernelI14__hip_bfloat16S0_LN4vllm18Fp8KVCacheDataTypeE0ES0_Li16ELi64ELi256ELb0ELi1EL8MFMAType0EEvPKT_PKT0_S9_ifPKiSB_SB_iPKfiiiPfSE_PS4_PT2_iSD_SD_,"axG",@progbits,_Z39paged_attention_ll4mi_QKV_mfma16_kernelI14__hip_bfloat16S0_LN4vllm18Fp8KVCacheDataTypeE0ES0_Li16ELi64ELi256ELb0ELi1EL8MFMAType0EEvPKT_PKT0_S9_ifPKiSB_SB_iPKfiiiPfSE_PS4_PT2_iSD_SD_,comdat
	.protected	_Z39paged_attention_ll4mi_QKV_mfma16_kernelI14__hip_bfloat16S0_LN4vllm18Fp8KVCacheDataTypeE0ES0_Li16ELi64ELi256ELb0ELi1EL8MFMAType0EEvPKT_PKT0_S9_ifPKiSB_SB_iPKfiiiPfSE_PS4_PT2_iSD_SD_ ; -- Begin function _Z39paged_attention_ll4mi_QKV_mfma16_kernelI14__hip_bfloat16S0_LN4vllm18Fp8KVCacheDataTypeE0ES0_Li16ELi64ELi256ELb0ELi1EL8MFMAType0EEvPKT_PKT0_S9_ifPKiSB_SB_iPKfiiiPfSE_PS4_PT2_iSD_SD_
	.globl	_Z39paged_attention_ll4mi_QKV_mfma16_kernelI14__hip_bfloat16S0_LN4vllm18Fp8KVCacheDataTypeE0ES0_Li16ELi64ELi256ELb0ELi1EL8MFMAType0EEvPKT_PKT0_S9_ifPKiSB_SB_iPKfiiiPfSE_PS4_PT2_iSD_SD_
	.p2align	8
	.type	_Z39paged_attention_ll4mi_QKV_mfma16_kernelI14__hip_bfloat16S0_LN4vllm18Fp8KVCacheDataTypeE0ES0_Li16ELi64ELi256ELb0ELi1EL8MFMAType0EEvPKT_PKT0_S9_ifPKiSB_SB_iPKfiiiPfSE_PS4_PT2_iSD_SD_,@function
_Z39paged_attention_ll4mi_QKV_mfma16_kernelI14__hip_bfloat16S0_LN4vllm18Fp8KVCacheDataTypeE0ES0_Li16ELi64ELi256ELb0ELi1EL8MFMAType0EEvPKT_PKT0_S9_ifPKiSB_SB_iPKfiiiPfSE_PS4_PT2_iSD_SD_: ; @_Z39paged_attention_ll4mi_QKV_mfma16_kernelI14__hip_bfloat16S0_LN4vllm18Fp8KVCacheDataTypeE0ES0_Li16ELi64ELi256ELb0ELi1EL8MFMAType0EEvPKT_PKT0_S9_ifPKiSB_SB_iPKfiiiPfSE_PS4_PT2_iSD_SD_
; %bb.0:
	s_load_b64 s[4:5], s[0:1], 0x30
	s_mov_b32 s34, s13
	s_waitcnt lgkmcnt(0)
	s_cmp_lg_u64 s[4:5], 0
	s_cselect_b32 s6, -1, 0
	s_ashr_i32 s35, s13, 31
	s_cmp_eq_u64 s[4:5], 0
	s_cbranch_scc1 .LBB494_3
; %bb.1:
	s_lshl_b64 s[2:3], s[34:35], 2
	s_delay_alu instid0(SALU_CYCLE_1) | instskip(SKIP_4) | instid1(SALU_CYCLE_1)
	s_add_u32 s2, s4, s2
	s_addc_u32 s3, s5, s3
	s_load_b64 s[2:3], s[2:3], 0x0
	s_waitcnt lgkmcnt(0)
	s_sub_i32 s2, s3, s2
	s_cmp_eq_u32 s2, 1
	s_cselect_b32 s2, -1, 0
	s_delay_alu instid0(SALU_CYCLE_1)
	s_and_not1_b32 vcc_lo, exec_lo, s2
	s_cbranch_vccz .LBB494_4
.LBB494_2:
	s_endpgm
.LBB494_3:
.LBB494_4:
	s_load_b64 s[2:3], s[0:1], 0x28
	s_lshl_b64 s[8:9], s[34:35], 2
	s_waitcnt lgkmcnt(0)
	s_add_u32 s2, s2, s8
	s_addc_u32 s3, s3, s9
	s_lshl_b32 s60, s14, 8
	s_load_b32 s33, s[2:3], 0x0
	s_waitcnt lgkmcnt(0)
	s_cmp_ge_i32 s60, s33
	s_cbranch_scc1 .LBB494_2
; %bb.5:
	s_clause 0x1
	s_load_b128 s[56:59], s[0:1], 0x8
	s_load_b64 s[2:3], s[0:1], 0x20
	s_and_not1_b32 vcc_lo, exec_lo, s6
	s_mov_b64 s[6:7], s[34:35]
	s_cbranch_vccnz .LBB494_7
; %bb.6:
	s_add_u32 s4, s4, s8
	s_addc_u32 s5, s5, s9
	s_load_b32 s6, s[4:5], 0x0
.LBB494_7:
	s_load_b128 s[52:55], s[0:1], 0x48
	v_and_b32_e32 v137, 15, v0
	s_mov_b32 s12, exec_lo
                                        ; implicit-def: $sgpr4
                                        ; implicit-def: $sgpr16
                                        ; implicit-def: $sgpr24
                                        ; implicit-def: $sgpr36
	s_delay_alu instid0(VALU_DEP_1)
	v_cmpx_eq_u32_e32 0, v137
	s_cbranch_execz .LBB494_9
; %bb.8:
	s_load_b64 s[4:5], s[0:1], 0x0
	s_waitcnt lgkmcnt(0)
	s_mul_hi_i32 s7, s6, s52
	s_mul_i32 s6, s6, s52
	s_delay_alu instid0(SALU_CYCLE_1) | instskip(NEXT) | instid1(SALU_CYCLE_1)
	s_lshl_b64 s[6:7], s[6:7], 1
	s_add_u32 s6, s4, s6
	s_addc_u32 s7, s5, s7
	s_lshl_b32 s4, s15, 6
	s_delay_alu instid0(SALU_CYCLE_1) | instskip(NEXT) | instid1(SALU_CYCLE_1)
	s_ashr_i32 s5, s4, 31
	s_lshl_b64 s[4:5], s[4:5], 1
	s_delay_alu instid0(SALU_CYCLE_1)
	s_add_u32 s36, s6, s4
	s_addc_u32 s37, s7, s5
	s_clause 0x3
	s_load_b256 s[4:11], s[36:37], 0x0
	s_load_b256 s[16:23], s[36:37], 0x20
	;; [unrolled: 1-line block ×4, first 2 shown]
.LBB494_9:
	s_or_b32 exec_lo, exec_lo, s12
	v_and_b32_e32 v1, 0xef, v0
	s_add_i32 s13, s33, 15
	s_load_b32 s12, s[0:1], 0x38
	s_waitcnt lgkmcnt(0)
	s_load_b32 s52, s[0:1], 0x1c
	s_ashr_i32 s35, s13, 31
	v_add_nc_u32_e32 v1, s60, v1
	s_lshr_b32 s35, s35, 28
	v_mov_b32_e32 v155, s23
	s_add_i32 s13, s13, s35
	v_dual_mov_b32 v154, s22 :: v_dual_lshlrev_b32 v65, 5, v137
	v_ashrrev_i32_e32 v2, 31, v1
	v_or_b32_e32 v3, 16, v1
	s_ashr_i32 s35, s13, 4
	v_cmp_gt_i32_e32 vcc_lo, s33, v1
	s_add_i32 s35, s35, -1
	v_lshrrev_b32_e32 v2, 28, v2
	v_mov_b32_e32 v153, s21
	v_mov_b32_e32 v151, s19
	;; [unrolled: 1-line block ×3, first 2 shown]
	s_delay_alu instid0(VALU_DEP_4)
	v_dual_mov_b32 v163, s31 :: v_dual_add_nc_u32 v4, v1, v2
	s_mul_i32 s12, s34, s12
	v_mov_b32_e32 v162, s30
	s_ashr_i32 s13, s12, 31
	v_mov_b32_e32 v161, s29
	v_ashrrev_i32_e32 v4, 4, v4
	v_add_nc_u32_e32 v2, v3, v2
	s_lshl_b64 s[12:13], s[12:13], 2
	v_mov_b32_e32 v160, s28
	s_add_u32 s61, s2, s12
	v_cndmask_b32_e32 v1, s35, v4, vcc_lo
	v_ashrrev_i32_e32 v2, 4, v2
	v_cmp_gt_i32_e32 vcc_lo, s33, v3
	s_addc_u32 s62, s3, s13
	s_mul_i32 s2, s15, s54
	v_mov_b32_e32 v159, s27
	s_ashr_i32 s3, s2, 31
	v_cndmask_b32_e32 v3, s35, v2, vcc_lo
	v_ashrrev_i32_e32 v2, 31, v1
	s_lshl_b64 s[2:3], s[2:3], 1
	v_mov_b32_e32 v158, s26
	s_add_u32 s56, s56, s2
	v_ashrrev_i32_e32 v4, 31, v3
	v_lshlrev_b64 v[1:2], 2, v[1:2]
	s_addc_u32 s57, s57, s3
	s_lshl_b32 s12, s14, 4
	v_mov_b32_e32 v157, s25
	v_lshlrev_b64 v[3:4], 2, v[3:4]
	s_ashr_i32 s13, s12, 31
	v_add_co_u32 v1, vcc_lo, s61, v1
	v_add_co_ci_u32_e32 v2, vcc_lo, s62, v2, vcc_lo
	s_delay_alu instid0(VALU_DEP_3) | instskip(NEXT) | instid1(VALU_DEP_4)
	v_add_co_u32 v3, vcc_lo, s61, v3
	v_add_co_ci_u32_e32 v4, vcc_lo, s62, v4, vcc_lo
	s_clause 0x1
	global_load_b32 v5, v[1:2], off
	global_load_b32 v6, v[3:4], off
	s_lshl_b64 s[12:13], s[12:13], 2
	v_lshlrev_b32_e32 v3, 4, v0
	s_add_u32 s12, s61, s12
	s_addc_u32 s13, s62, s13
	s_or_b32 s44, s60, 16
	v_mov_b32_e32 v156, s24
	s_ashr_i32 s45, s44, 4
	s_cmp_lt_i32 s44, s33
	v_lshrrev_b32_e32 v139, 5, v0
	s_cselect_b32 s44, s45, s35
	v_mov_b32_e32 v152, s20
	s_ashr_i32 s45, s44, 31
	v_mov_b32_e32 v150, s18
	s_lshl_b64 s[44:45], s[44:45], 2
	v_mov_b32_e32 v148, s16
	s_add_u32 s44, s61, s44
	s_addc_u32 s45, s62, s45
	s_or_b32 s46, s60, 32
	v_lshl_or_b32 v65, v139, 9, v65
	s_ashr_i32 s47, s46, 4
	s_cmp_lt_i32 s46, s33
	s_cselect_b32 s46, s47, s35
	s_delay_alu instid0(SALU_CYCLE_1) | instskip(NEXT) | instid1(SALU_CYCLE_1)
	s_ashr_i32 s47, s46, 31
	s_lshl_b64 s[46:47], s[46:47], 2
	s_delay_alu instid0(SALU_CYCLE_1) | instskip(SKIP_2) | instid1(SALU_CYCLE_1)
	s_add_u32 s46, s61, s46
	s_addc_u32 s47, s62, s47
	s_or_b32 s48, s60, 48
	s_ashr_i32 s49, s48, 4
	s_cmp_lt_i32 s48, s33
	s_cselect_b32 s48, s49, s35
	s_delay_alu instid0(SALU_CYCLE_1) | instskip(NEXT) | instid1(SALU_CYCLE_1)
	s_ashr_i32 s49, s48, 31
	s_lshl_b64 s[48:49], s[48:49], 2
	s_delay_alu instid0(SALU_CYCLE_1) | instskip(SKIP_2) | instid1(SALU_CYCLE_1)
	s_add_u32 s48, s61, s48
	s_addc_u32 s49, s62, s49
	s_or_b32 s50, s60, 64
	;; [unrolled: 10-line block ×3, first 2 shown]
	s_ashr_i32 s55, s54, 4
	s_cmp_lt_i32 s54, s33
	s_cselect_b32 s54, s55, s35
	s_delay_alu instid0(SALU_CYCLE_1) | instskip(NEXT) | instid1(SALU_CYCLE_1)
	s_ashr_i32 s55, s54, 31
	s_lshl_b64 s[54:55], s[54:55], 2
	s_delay_alu instid0(SALU_CYCLE_1)
	s_add_u32 s54, s61, s54
	s_addc_u32 s55, s62, s55
	s_clause 0x5
	s_load_b32 s66, s[12:13], 0x0
	s_load_b32 s65, s[44:45], 0x0
	s_load_b32 s64, s[46:47], 0x0
	s_load_b32 s13, s[48:49], 0x0
	s_load_b32 s12, s[50:51], 0x0
	s_load_b32 s63, s[54:55], 0x0
	s_waitcnt vmcnt(1)
	v_mad_i64_i32 v[1:2], null, v5, s53, 0
	v_and_b32_e32 v5, 0xf0, v3
	s_waitcnt vmcnt(0)
	v_mad_i64_i32 v[3:4], null, v6, s53, 0
	s_delay_alu instid0(VALU_DEP_2) | instskip(NEXT) | instid1(VALU_DEP_4)
	v_add_co_u32 v5, s44, s56, v5
	v_lshlrev_b64 v[1:2], 1, v[1:2]
	v_add_co_ci_u32_e64 v6, null, s57, 0, s44
	s_delay_alu instid0(VALU_DEP_4) | instskip(SKIP_1) | instid1(VALU_DEP_3)
	v_lshlrev_b64 v[3:4], 1, v[3:4]
	s_or_b32 s44, s60, 0x60
	v_add_co_u32 v13, vcc_lo, v5, v1
	s_delay_alu instid0(VALU_DEP_3) | instskip(NEXT) | instid1(VALU_DEP_3)
	v_add_co_ci_u32_e32 v14, vcc_lo, v6, v2, vcc_lo
	v_add_co_u32 v57, vcc_lo, v5, v3
	s_delay_alu instid0(VALU_DEP_4)
	v_add_co_ci_u32_e32 v58, vcc_lo, v6, v4, vcc_lo
	s_clause 0xf
	global_load_b128 v[41:44], v[13:14], off
	global_load_b128 v[45:48], v[13:14], off offset:256
	global_load_b128 v[49:52], v[57:58], off
	global_load_b128 v[53:56], v[57:58], off offset:256
	global_load_b128 v[33:36], v[13:14], off offset:512
	;; [unrolled: 1-line block ×13, first 2 shown]
	s_ashr_i32 s45, s44, 4
	s_cmp_lt_i32 s44, s33
	v_mov_b32_e32 v64, s11
	v_mov_b32_e32 v58, s5
	s_cselect_b32 s44, s45, s35
	v_mov_b32_e32 v63, s10
	s_ashr_i32 s45, s44, 31
	v_mov_b32_e32 v62, s9
	s_lshl_b64 s[44:45], s[44:45], 2
	v_mov_b32_e32 v61, s8
	s_add_u32 s54, s61, s44
	s_addc_u32 s55, s62, s45
	s_or_b32 s44, s60, 0x70
	v_mov_b32_e32 v60, s7
	s_ashr_i32 s45, s44, 4
	s_cmp_lt_i32 s44, s33
	v_mov_b32_e32 v59, s6
	s_cselect_b32 s44, s45, s35
	v_mov_b32_e32 v57, s4
	s_ashr_i32 s45, s44, 31
	s_load_b32 s29, s[54:55], 0x0
	s_lshl_b64 s[44:45], s[44:45], 2
	s_waitcnt lgkmcnt(0)
	s_mul_hi_i32 s7, s65, s53
	s_add_u32 s56, s61, s44
	s_addc_u32 s57, s62, s45
	s_or_b32 s44, s60, 0x80
	s_load_b32 s30, s[56:57], 0x0
	s_ashr_i32 s45, s44, 4
	s_cmp_lt_i32 s44, s33
	s_mov_b32 s44, 0
	s_cselect_b32 s46, s45, s35
	s_mov_b32 s45, s44
	s_ashr_i32 s47, s46, 31
	s_mov_b32 s48, s44
	s_lshl_b64 s[4:5], s[46:47], 2
	s_mov_b32 s46, s44
	s_add_u32 s16, s61, s4
	s_addc_u32 s17, s62, s5
	s_or_b32 s4, s60, 0x90
	s_load_b32 s31, s[16:17], 0x0
	s_ashr_i32 s5, s4, 4
	s_cmp_lt_i32 s4, s33
	s_mov_b32 s47, s44
	s_cselect_b32 s4, s5, s35
	s_mov_b32 s49, s44
	s_ashr_i32 s5, s4, 31
	s_mov_b32 s50, s44
	s_lshl_b64 s[4:5], s[4:5], 2
	s_mov_b32 s51, s44
	s_add_u32 s18, s61, s4
	s_addc_u32 s19, s62, s5
	s_or_b32 s4, s60, 0xa0
	s_load_b32 s28, s[18:19], 0x0
	s_ashr_i32 s5, s4, 4
	s_cmp_lt_i32 s4, s33
	v_dual_mov_b32 v171, s43 :: v_dual_mov_b32 v136, s51
	s_cselect_b32 s4, s5, s35
	v_mov_b32_e32 v170, s42
	s_ashr_i32 s5, s4, 31
	v_dual_mov_b32 v169, s41 :: v_dual_mov_b32 v134, s49
	s_lshl_b64 s[4:5], s[4:5], 2
	v_mov_b32_e32 v168, s40
	s_add_u32 s20, s61, s4
	s_addc_u32 s21, s62, s5
	s_or_b32 s4, s60, 0xb0
	v_dual_mov_b32 v167, s39 :: v_dual_mov_b32 v132, s47
	s_ashr_i32 s6, s4, 4
	s_cmp_lt_i32 s4, s33
	v_mov_b32_e32 v166, s38
	s_cselect_b32 s8, s6, s35
	v_dual_mov_b32 v165, s37 :: v_dual_mov_b32 v130, s45
	s_ashr_i32 s9, s8, 31
	v_mov_b32_e32 v164, s36
	s_lshl_b64 s[8:9], s[8:9], 2
	s_mul_hi_i32 s5, s66, s53
	s_add_u32 s22, s61, s8
	s_addc_u32 s23, s62, s9
	s_or_b32 s8, s60, 0xc0
	s_mul_i32 s4, s66, s53
	s_ashr_i32 s10, s8, 4
	s_cmp_lt_i32 s8, s33
	s_mul_i32 s6, s65, s53
	s_cselect_b32 s24, s10, s35
	s_mul_hi_i32 s9, s64, s53
	s_ashr_i32 s25, s24, 31
	s_mul_i32 s8, s64, s53
	s_lshl_b64 s[24:25], s[24:25], 2
	s_mul_hi_i32 s11, s13, s53
	s_add_u32 s24, s61, s24
	s_addc_u32 s25, s62, s25
	s_or_b32 s26, s60, 0xd0
	s_mul_i32 s10, s13, s53
	s_ashr_i32 s27, s26, 4
	s_cmp_lt_i32 s26, s33
	s_mul_hi_i32 s13, s12, s53
	s_cselect_b32 s26, s27, s35
	s_mul_i32 s12, s12, s53
	s_ashr_i32 s27, s26, 31
	s_mul_hi_i32 s17, s63, s53
	s_lshl_b64 s[18:19], s[26:27], 2
	s_load_b32 s27, s[20:21], 0x0
	s_add_u32 s18, s61, s18
	s_addc_u32 s19, s62, s19
	s_or_b32 s36, s60, 0xe0
	s_waitcnt lgkmcnt(0)
	s_mul_hi_i32 s21, s30, s53
	s_ashr_i32 s37, s36, 4
	s_cmp_lt_i32 s36, s33
	s_mul_i32 s20, s30, s53
	s_cselect_b32 s30, s37, s35
	s_clause 0x2
	s_load_b32 s26, s[22:23], 0x0
	s_load_b32 s25, s[24:25], 0x0
	;; [unrolled: 1-line block ×3, first 2 shown]
	s_mul_hi_i32 s23, s31, s53
	s_mul_i32 s22, s31, s53
	s_ashr_i32 s31, s30, 31
	s_mul_i32 s16, s63, s53
	s_lshl_b64 s[30:31], s[30:31], 2
	s_mul_hi_i32 s19, s29, s53
	s_add_u32 s30, s61, s30
	s_addc_u32 s31, s62, s31
	s_or_b32 s38, s60, 0xf0
	s_mul_i32 s18, s29, s53
	s_ashr_i32 s39, s38, 4
	s_cmp_lt_i32 s38, s33
	s_mul_hi_i32 s29, s28, s53
	s_cselect_b32 s38, s39, s35
	s_mul_i32 s28, s28, s53
	s_ashr_i32 s39, s38, 31
	s_mul_hi_i32 s37, s27, s53
	s_lshl_b64 s[38:39], s[38:39], 2
	s_mul_i32 s36, s27, s53
	s_add_u32 s38, s61, s38
	s_addc_u32 s39, s62, s39
	s_add_u32 s35, s58, s2
	s_addc_u32 s42, s59, s3
	v_add_co_u32 v138, s35, s35, v65
	s_delay_alu instid0(VALU_DEP_1) | instskip(SKIP_2) | instid1(VALU_DEP_2)
	v_add_co_ci_u32_e64 v192, null, s42, 0, s35
	s_lshl_b64 s[2:3], s[4:5], 1
	s_lshl_b64 s[4:5], s[6:7], 1
	v_add_co_u32 v65, vcc_lo, v138, s2
	s_delay_alu instid0(VALU_DEP_2)
	v_add_co_ci_u32_e32 v66, vcc_lo, s3, v192, vcc_lo
	v_add_co_u32 v67, vcc_lo, v138, s4
	s_lshl_b64 s[6:7], s[8:9], 1
	v_add_co_ci_u32_e32 v68, vcc_lo, s5, v192, vcc_lo
	v_add_co_u32 v69, vcc_lo, v138, s6
	s_lshl_b64 s[8:9], s[10:11], 1
	v_add_co_ci_u32_e32 v70, vcc_lo, s7, v192, vcc_lo
	v_add_co_u32 v71, vcc_lo, v138, s8
	s_lshl_b64 s[10:11], s[12:13], 1
	v_add_co_ci_u32_e32 v72, vcc_lo, s9, v192, vcc_lo
	v_add_co_u32 v73, vcc_lo, v138, s10
	s_lshl_b64 s[12:13], s[16:17], 1
	v_add_co_ci_u32_e32 v74, vcc_lo, s11, v192, vcc_lo
	v_add_co_u32 v75, vcc_lo, v138, s12
	s_lshl_b64 s[16:17], s[18:19], 1
	v_add_co_ci_u32_e32 v76, vcc_lo, s13, v192, vcc_lo
	v_add_co_u32 v77, vcc_lo, v138, s16
	s_lshl_b64 s[18:19], s[20:21], 1
	s_clause 0x1
	s_load_b32 s30, s[30:31], 0x0
	s_load_b32 s31, s[38:39], 0x0
	v_add_co_ci_u32_e32 v78, vcc_lo, s17, v192, vcc_lo
	v_add_co_u32 v180, vcc_lo, v138, s18
	s_lshl_b64 s[20:21], s[22:23], 1
	v_add_co_ci_u32_e32 v181, vcc_lo, s19, v192, vcc_lo
	v_add_co_u32 v182, vcc_lo, v138, s20
	s_lshl_b64 s[22:23], s[28:29], 1
	;; [unrolled: 3-line block ×3, first 2 shown]
	v_mov_b32_e32 v135, s50
	v_mov_b32_e32 v133, s48
	v_mov_b32_e32 v131, s46
	v_mov_b32_e32 v129, s44
	s_waitcnt lgkmcnt(0)
	s_mul_hi_i32 s27, s26, s53
	s_mul_i32 s26, s26, s53
	v_add_co_ci_u32_e32 v185, vcc_lo, s23, v192, vcc_lo
	v_add_co_u32 v186, vcc_lo, v138, s28
	s_lshl_b64 s[26:27], s[26:27], 1
	s_mul_hi_i32 s41, s25, s53
	s_mul_i32 s40, s25, s53
	v_add_co_ci_u32_e32 v187, vcc_lo, s29, v192, vcc_lo
	v_add_co_u32 v188, vcc_lo, v138, s26
	s_lshl_b64 s[36:37], s[40:41], 1
	;; [unrolled: 5-line block ×3, first 2 shown]
	v_add_co_ci_u32_e32 v191, vcc_lo, s37, v192, vcc_lo
	s_mul_hi_i32 s3, s30, s53
	s_mul_i32 s2, s30, s53
	s_mul_hi_i32 s5, s31, s53
	s_lshl_b64 s[2:3], s[2:3], 1
	s_mul_i32 s4, s31, s53
	s_clause 0xf
	global_load_b128 v[121:124], v[65:66], off
	global_load_b128 v[125:128], v[65:66], off offset:16
	global_load_b128 v[113:116], v[67:68], off
	global_load_b128 v[117:120], v[67:68], off offset:16
	;; [unrolled: 2-line block ×8, first 2 shown]
	s_waitcnt vmcnt(30)
	v_wmma_f32_16x16x16_bf16 v[172:179], v[41:48], v[57:64], v[129:136]
	s_waitcnt vmcnt(28)
	v_wmma_f32_16x16x16_bf16 v[129:136], v[49:56], v[57:64], v[129:136]
	s_clause 0x5
	global_load_b128 v[57:60], v[182:183], off
	global_load_b128 v[61:64], v[182:183], off offset:16
	global_load_b128 v[49:52], v[184:185], off
	global_load_b128 v[53:56], v[184:185], off offset:16
	;; [unrolled: 2-line block ×3, first 2 shown]
	s_waitcnt vmcnt(32)
	v_wmma_f32_16x16x16_bf16 v[172:179], v[33:40], v[148:155], v[172:179]
	s_waitcnt vmcnt(30)
	v_wmma_f32_16x16x16_bf16 v[129:136], v[25:32], v[148:155], v[129:136]
	v_add_co_u32 v29, vcc_lo, v138, s24
	v_add_co_ci_u32_e32 v30, vcc_lo, s25, v192, vcc_lo
	v_add_co_u32 v37, vcc_lo, v138, s2
	v_add_co_ci_u32_e32 v38, vcc_lo, s3, v192, vcc_lo
	s_lshl_b64 s[2:3], s[4:5], 1
	s_waitcnt vmcnt(28)
	v_wmma_f32_16x16x16_bf16 v[172:179], v[17:24], v[156:163], v[172:179]
	v_add_co_u32 v148, vcc_lo, v138, s2
	v_add_co_ci_u32_e32 v149, vcc_lo, s3, v192, vcc_lo
	s_clause 0x1
	global_load_b128 v[17:20], v[188:189], off
	global_load_b128 v[21:24], v[188:189], off offset:16
	s_waitcnt vmcnt(28)
	v_wmma_f32_16x16x16_bf16 v[129:136], v[1:8], v[156:163], v[129:136]
	s_clause 0x3
	global_load_b128 v[1:4], v[190:191], off
	global_load_b128 v[5:8], v[190:191], off offset:16
	global_load_b128 v[25:28], v[29:30], off
	global_load_b128 v[29:32], v[29:30], off offset:16
	s_waitcnt vmcnt(30)
	v_wmma_f32_16x16x16_bf16 v[172:179], v[9:16], v[164:171], v[172:179]
	s_clause 0x3
	global_load_b128 v[33:36], v[37:38], off
	global_load_b128 v[37:40], v[37:38], off offset:16
	global_load_b128 v[9:12], v[148:149], off
	global_load_b128 v[13:16], v[148:149], off offset:16
	v_and_b32_e32 v148, 0xe0, v0
	s_waitcnt vmcnt(32)
	v_wmma_f32_16x16x16_bf16 v[129:136], v[140:147], v[164:171], v[129:136]
	v_mbcnt_lo_u32_b32 v140, -1, 0
	v_bfe_u32 v138, v0, 4, 1
	v_mul_f32_e32 v154, s52, v172
	v_add_nc_u32_e32 v141, s60, v148
	v_mul_f32_e32 v155, s52, v173
	v_xor_b32_e32 v142, 16, v140
	v_mul_f32_e32 v153, s52, v175
	s_waitcnt vmcnt(0)
	v_or_b32_e32 v141, v141, v138
	s_barrier
	v_cmp_gt_i32_e32 vcc_lo, 32, v142
	buffer_gl0_inv
	v_or_b32_e32 v143, 4, v141
	v_or_b32_e32 v144, 6, v141
	v_cndmask_b32_e32 v140, v140, v142, vcc_lo
	v_or_b32_e32 v142, 2, v141
	v_cmp_gt_i32_e64 s2, s33, v141
	v_cmp_gt_i32_e64 s3, s33, v143
	;; [unrolled: 1-line block ×3, first 2 shown]
	v_or_b32_e32 v145, 8, v141
	v_cmp_gt_i32_e32 vcc_lo, s33, v142
	v_mul_f32_e32 v142, s52, v174
	v_cndmask_b32_e64 v154, 0xff7fffff, v154, s2
	v_or_b32_e32 v146, 10, v141
	v_cndmask_b32_e64 v143, 0xff7fffff, v153, s4
	v_cndmask_b32_e32 v155, 0xff7fffff, v155, vcc_lo
	v_cndmask_b32_e64 v142, 0xff7fffff, v142, s3
	v_or_b32_e32 v147, 12, v141
	v_or_b32_e32 v148, 14, v141
	;; [unrolled: 1-line block ×3, first 2 shown]
	v_max3_f32 v144, v154, 0xff7fffff, v155
	v_cmp_gt_i32_e64 s5, s33, v146
	v_cmp_gt_i32_e64 s6, s33, v145
	v_dual_mul_f32 v146, s52, v178 :: v_dual_mul_f32 v145, s52, v179
	s_delay_alu instid0(VALU_DEP_4)
	v_max3_f32 v142, v144, v142, v143
	v_dual_mul_f32 v143, s52, v177 :: v_dual_mul_f32 v144, s52, v176
	v_cmp_gt_i32_e64 s7, s33, v147
	v_cmp_gt_i32_e64 s8, s33, v148
	;; [unrolled: 1-line block ×3, first 2 shown]
	v_mul_f32_e32 v150, s52, v131
	v_cndmask_b32_e64 v144, 0xff7fffff, v144, s6
	v_cndmask_b32_e64 v143, 0xff7fffff, v143, s5
	v_or_b32_e32 v149, 16, v141
	v_cndmask_b32_e64 v146, 0xff7fffff, v146, s7
	v_mul_f32_e32 v148, s52, v133
	v_cndmask_b32_e64 v145, 0xff7fffff, v145, s8
	v_max3_f32 v142, v142, v144, v143
	v_or_b32_e32 v151, 20, v141
	v_or_b32_e32 v152, 22, v141
	v_mul_f32_e32 v143, s52, v136
	v_cmp_gt_i32_e64 s10, s33, v149
	v_max3_f32 v142, v142, v146, v145
	v_dual_mul_f32 v146, s52, v129 :: v_dual_mul_f32 v145, s52, v130
	v_or_b32_e32 v153, 24, v141
	v_or_b32_e32 v154, 26, v141
	v_mul_f32_e32 v149, s52, v132
	s_delay_alu instid0(VALU_DEP_4)
	v_cndmask_b32_e64 v146, 0xff7fffff, v146, s10
	v_cndmask_b32_e64 v145, 0xff7fffff, v145, s9
	v_cmp_gt_i32_e64 s11, s33, v151
	v_cmp_gt_i32_e64 s12, s33, v152
	v_or_b32_e32 v155, 28, v141
	v_or_b32_e32 v141, 30, v141
	v_mul_f32_e32 v147, s52, v134
	v_cndmask_b32_e64 v150, 0xff7fffff, v150, s11
	v_cndmask_b32_e64 v149, 0xff7fffff, v149, s12
	v_max3_f32 v142, v142, v146, v145
	v_cmp_gt_i32_e64 s13, s33, v153
	v_cmp_gt_i32_e64 s16, s33, v154
	v_mul_f32_e32 v144, s52, v135
	v_cmp_gt_i32_e64 s17, s33, v155
	v_max3_f32 v142, v142, v150, v149
	v_cndmask_b32_e64 v145, 0xff7fffff, v148, s13
	v_cndmask_b32_e64 v146, 0xff7fffff, v147, s16
	v_cmp_gt_i32_e64 s18, s33, v141
	v_cndmask_b32_e64 v144, 0xff7fffff, v144, s17
	v_lshlrev_b32_e32 v151, 2, v140
	s_delay_alu instid0(VALU_DEP_4) | instskip(NEXT) | instid1(VALU_DEP_4)
	v_max3_f32 v142, v142, v145, v146
	v_cndmask_b32_e64 v141, 0xff7fffff, v143, s18
	s_delay_alu instid0(VALU_DEP_1) | instskip(SKIP_3) | instid1(VALU_DEP_1)
	v_max3_f32 v140, v142, v144, v141
	ds_bpermute_b32 v141, v151, v140
	s_waitcnt lgkmcnt(0)
	v_max_f32_e32 v141, v141, v141
	v_max_f32_e32 v142, v140, v141
	s_delay_alu instid0(VALU_DEP_1) | instskip(SKIP_4) | instid1(VALU_DEP_4)
	v_fma_f32 v140, s52, v172, -v142
	v_fma_f32 v143, s52, v174, -v142
	;; [unrolled: 1-line block ×5, first 2 shown]
	v_dual_mul_f32 v140, 0x3fb8aa3b, v140 :: v_dual_mul_f32 v143, 0x3fb8aa3b, v143
	s_delay_alu instid0(VALU_DEP_4) | instskip(SKIP_2) | instid1(VALU_DEP_4)
	v_mul_f32_e32 v130, 0x3fb8aa3b, v130
	v_fma_f32 v148, s52, v178, -v142
	v_mul_f32_e32 v141, 0x3fb8aa3b, v141
	v_exp_f32_e32 v140, v140
	v_exp_f32_e32 v146, v143
	v_mul_f32_e32 v145, 0x3fb8aa3b, v145
	v_fma_f32 v144, s52, v175, -v142
	v_mul_f32_e32 v148, 0x3fb8aa3b, v148
	v_exp_f32_e32 v141, v141
	v_fma_f32 v134, s52, v134, -v142
	v_exp_f32_e32 v149, v145
	v_mul_f32_e32 v144, 0x3fb8aa3b, v144
	v_exp_f32_e32 v150, v148
	v_cndmask_b32_e64 v143, 0, v140, s2
	v_fma_f32 v140, s52, v177, -v142
	v_cndmask_b32_e64 v145, 0, v146, s3
	v_exp_f32_e32 v147, v144
	v_fma_f32 v146, s52, v179, -v142
	v_cndmask_b32_e32 v144, 0, v141, vcc_lo
	v_mul_f32_e32 v140, 0x3fb8aa3b, v140
	v_cndmask_b32_e64 v148, 0, v149, s6
	v_fma_f32 v132, s52, v132, -v142
	v_mul_f32_e32 v134, 0x3fb8aa3b, v134
	v_fma_f32 v129, s52, v129, -v142
	v_exp_f32_e32 v140, v140
	v_mul_f32_e32 v146, 0x3fb8aa3b, v146
	v_cndmask_b32_e64 v147, 0, v147, s4
	v_mul_f32_e32 v132, 0x3fb8aa3b, v132
	v_fma_f32 v136, s52, v136, -v142
	v_mul_f32_e32 v129, 0x3fb8aa3b, v129
	v_exp_f32_e32 v152, v146
	v_fma_f32 v131, s52, v131, -v142
	v_cndmask_b32_e64 v146, 0, v150, s7
	v_exp_f32_e32 v130, v130
	v_cndmask_b32_e64 v149, 0, v140, s5
	v_add_f32_e32 v141, 0, v143
	v_exp_f32_e32 v129, v129
	v_mul_f32_e32 v131, 0x3fb8aa3b, v131
	v_fma_f32 v133, s52, v133, -v142
	s_mov_b32 s3, exec_lo
	v_add_f32_e32 v141, v141, v144
	v_cndmask_b32_e64 v150, 0, v152, s8
	s_delay_alu instid0(VALU_DEP_3) | instskip(NEXT) | instid1(VALU_DEP_3)
	v_mul_f32_e32 v133, 0x3fb8aa3b, v133
	v_add_f32_e32 v141, v141, v145
	s_delay_alu instid0(VALU_DEP_1) | instskip(NEXT) | instid1(VALU_DEP_1)
	v_add_f32_e32 v141, v141, v147
	v_add_f32_e32 v140, v141, v148
	v_exp_f32_e32 v141, v131
	v_cndmask_b32_e64 v131, 0, v129, s10
	s_delay_alu instid0(VALU_DEP_2) | instskip(NEXT) | instid1(VALU_DEP_1)
	v_add_f32_e32 v140, v140, v149
	v_add_f32_e32 v140, v140, v146
	s_delay_alu instid0(VALU_DEP_1)
	v_add_f32_e32 v129, v140, v150
	v_exp_f32_e32 v140, v132
	v_cndmask_b32_e64 v132, 0, v130, s9
	v_fma_f32 v130, s52, v135, -v142
	v_exp_f32_e32 v135, v133
	v_add_f32_e32 v129, v129, v131
	v_cndmask_b32_e64 v133, 0, v141, s11
	v_exp_f32_e32 v141, v134
	s_delay_alu instid0(VALU_DEP_2) | instskip(NEXT) | instid1(TRANS32_DEP_3)
	v_dual_mul_f32 v130, 0x3fb8aa3b, v130 :: v_dual_add_f32 v129, v129, v132
	v_cndmask_b32_e64 v134, 0, v140, s12
	v_mul_f32_e32 v140, 0x3fb8aa3b, v136
	s_delay_alu instid0(VALU_DEP_3) | instskip(NEXT) | instid1(TRANS32_DEP_3)
	v_exp_f32_e32 v130, v130
	v_cndmask_b32_e64 v135, 0, v135, s13
	v_add_f32_e32 v129, v129, v133
	s_delay_alu instid0(TRANS32_DEP_2) | instskip(SKIP_1) | instid1(VALU_DEP_2)
	v_cndmask_b32_e64 v136, 0, v141, s16
	v_exp_f32_e32 v141, v140
	v_add_f32_e32 v129, v129, v134
	s_waitcnt_depctr 0xfff
	v_cndmask_b32_e64 v140, 0, v130, s17
	v_add_f32_e32 v129, v129, v135
	v_cndmask_b32_e64 v141, 0, v141, s18
	s_delay_alu instid0(VALU_DEP_2) | instskip(NEXT) | instid1(VALU_DEP_1)
	v_add_f32_e32 v129, v129, v136
	v_add_f32_e32 v129, v129, v140
	s_delay_alu instid0(VALU_DEP_1) | instskip(SKIP_2) | instid1(VALU_DEP_1)
	v_add_f32_e32 v129, v129, v141
	ds_bpermute_b32 v130, v151, v129
	v_and_b32_e32 v151, 31, v0
	v_cmp_lt_u32_e64 s2, 15, v151
	v_cmpx_gt_u32_e32 16, v151
	s_cbranch_execz .LBB494_11
; %bb.10:
	v_mul_u32_u24_e32 v151, 0x44, v139
	s_delay_alu instid0(VALU_DEP_1) | instskip(SKIP_1) | instid1(VALU_DEP_1)
	v_lshl_add_u32 v151, v137, 2, v151
	s_waitcnt lgkmcnt(0)
	v_dual_add_f32 v129, v129, v130 :: v_dual_add_nc_u32 v130, 0x4000, v151
	ds_store_2addr_b32 v130, v142, v129 offset1:136
.LBB494_11:
	s_or_b32 exec_lo, exec_lo, s3
	v_lshlrev_b32_e32 v129, 2, v137
	s_waitcnt lgkmcnt(0)
	s_barrier
	buffer_gl0_inv
	v_cmp_eq_u32_e64 s3, 1, v139
	v_add_nc_u32_e32 v142, 0x4000, v129
	ds_load_2addr_b32 v[151:152], v142 offset1:17
	ds_load_2addr_b32 v[153:154], v142 offset0:34 offset1:51
	ds_load_2addr_b32 v[155:156], v142 offset0:68 offset1:85
	;; [unrolled: 1-line block ×4, first 2 shown]
	s_waitcnt lgkmcnt(4)
	v_max3_f32 v129, v151, 0xff7fffff, v152
	s_waitcnt lgkmcnt(3)
	s_delay_alu instid0(VALU_DEP_1) | instskip(SKIP_1) | instid1(VALU_DEP_1)
	v_max3_f32 v129, v129, v153, v154
	s_waitcnt lgkmcnt(2)
	v_max3_f32 v129, v129, v155, v156
	s_waitcnt lgkmcnt(1)
	s_delay_alu instid0(VALU_DEP_1) | instskip(NEXT) | instid1(VALU_DEP_1)
	v_max3_f32 v129, v129, v157, v158
	v_sub_f32_e32 v155, v155, v129
	s_delay_alu instid0(VALU_DEP_1) | instskip(NEXT) | instid1(VALU_DEP_1)
	v_dual_sub_f32 v130, v151, v129 :: v_dual_mul_f32 v165, 0x3fb8aa3b, v155
	v_mul_f32_e32 v130, 0x3fb8aa3b, v130
	s_delay_alu instid0(VALU_DEP_1)
	v_exp_f32_e32 v162, v130
	v_sub_f32_e32 v130, v154, v129
	v_sub_f32_e32 v161, v152, v129
	ds_load_2addr_b32 v[151:152], v142 offset0:170 offset1:187
	v_dual_mul_f32 v164, 0x3fb8aa3b, v130 :: v_dual_mul_f32 v161, 0x3fb8aa3b, v161
	s_waitcnt lgkmcnt(1)
	v_fma_f32 v130, v162, v159, 0
	s_delay_alu instid0(VALU_DEP_2) | instskip(NEXT) | instid1(VALU_DEP_2)
	v_exp_f32_e32 v164, v164
	v_exp_f32_e32 v161, v161
	s_waitcnt_depctr 0xfff
	v_fmac_f32_e32 v130, v161, v160
	v_sub_f32_e32 v153, v153, v129
	s_delay_alu instid0(VALU_DEP_1)
	v_mul_f32_e32 v163, 0x3fb8aa3b, v153
	ds_load_2addr_b32 v[153:154], v142 offset0:204 offset1:221
	v_sub_f32_e32 v159, v156, v129
	ds_load_2addr_b32 v[155:156], v142 offset0:238 offset1:255
	s_waitcnt lgkmcnt(0)
	v_exp_f32_e32 v163, v163
	s_barrier
	buffer_gl0_inv
	v_dual_fmac_f32 v130, v163, v151 :: v_dual_sub_f32 v151, v158, v129
	v_dual_sub_f32 v142, v157, v129 :: v_dual_mul_f32 v157, 0x3fb8aa3b, v159
	v_exp_f32_e32 v159, v165
	s_delay_alu instid0(VALU_DEP_2) | instskip(NEXT) | instid1(VALU_DEP_2)
	v_dual_fmac_f32 v130, v164, v152 :: v_dual_mul_f32 v151, 0x3fb8aa3b, v151
	v_mul_f32_e32 v142, 0x3fb8aa3b, v142
	s_delay_alu instid0(VALU_DEP_3) | instskip(NEXT) | instid1(VALU_DEP_2)
	v_exp_f32_e32 v157, v157
	v_exp_f32_e32 v151, v151
	s_delay_alu instid0(VALU_DEP_1)
	v_exp_f32_e32 v142, v142
	v_fmac_f32_e32 v130, v159, v153
	s_delay_alu instid0(TRANS32_DEP_3) | instid1(VALU_DEP_1)
	v_fmac_f32_e32 v130, v157, v154
	s_waitcnt_depctr 0xfff
	v_fmac_f32_e32 v130, v142, v155
	s_delay_alu instid0(VALU_DEP_1) | instskip(NEXT) | instid1(VALU_DEP_1)
	v_fmac_f32_e32 v130, v151, v156
	v_add_f32_e32 v152, 0x358637bd, v130
	s_delay_alu instid0(VALU_DEP_1) | instskip(SKIP_1) | instid1(VALU_DEP_2)
	v_div_scale_f32 v153, null, v152, v152, 1.0
	v_div_scale_f32 v156, vcc_lo, 1.0, v152, 1.0
	v_rcp_f32_e32 v154, v153
	s_waitcnt_depctr 0xfff
	v_fma_f32 v155, -v153, v154, 1.0
	s_delay_alu instid0(VALU_DEP_1) | instskip(SKIP_2) | instid1(VALU_DEP_3)
	v_fmac_f32_e32 v154, v155, v154
	v_cndmask_b32_e64 v155, v162, v161, s3
	v_cmp_eq_u32_e64 s3, 2, v139
	v_mul_f32_e32 v158, v156, v154
	s_delay_alu instid0(VALU_DEP_2) | instskip(SKIP_1) | instid1(VALU_DEP_3)
	v_cndmask_b32_e64 v155, v155, v163, s3
	v_cmp_eq_u32_e64 s3, 3, v139
	v_fma_f32 v160, -v153, v158, v156
	s_delay_alu instid0(VALU_DEP_2) | instskip(SKIP_1) | instid1(VALU_DEP_3)
	v_cndmask_b32_e64 v155, v155, v164, s3
	v_cmp_eq_u32_e64 s3, 4, v139
	v_fmac_f32_e32 v158, v160, v154
	s_delay_alu instid0(VALU_DEP_2) | instskip(NEXT) | instid1(VALU_DEP_2)
	v_cndmask_b32_e64 v155, v155, v159, s3
	v_fma_f32 v153, -v153, v158, v156
	v_cmp_eq_u32_e64 s3, 5, v139
	s_delay_alu instid0(VALU_DEP_2) | instskip(NEXT) | instid1(VALU_DEP_2)
	v_div_fmas_f32 v153, v153, v154, v158
	v_cndmask_b32_e64 v155, v155, v157, s3
	v_cmp_eq_u32_e32 vcc_lo, 6, v139
	s_mov_b32 s3, exec_lo
	s_delay_alu instid0(VALU_DEP_3) | instskip(NEXT) | instid1(VALU_DEP_3)
	v_div_fixup_f32 v152, v153, v152, 1.0
	v_cndmask_b32_e32 v142, v155, v142, vcc_lo
	v_cmp_eq_u32_e32 vcc_lo, 7, v139
	s_delay_alu instid0(VALU_DEP_2) | instskip(NEXT) | instid1(VALU_DEP_1)
	v_cndmask_b32_e32 v142, v142, v151, vcc_lo
	v_mul_f32_e32 v142, v142, v152
	s_delay_alu instid0(VALU_DEP_1)
	v_mul_f32_e32 v152, v142, v143
	v_mul_f32_e32 v143, v142, v150
	;; [unrolled: 1-line block ×5, first 2 shown]
	v_and_b32_e32 v153, 0x7f800000, v152
	v_mul_f32_e32 v151, v142, v147
	v_mul_f32_e32 v147, v142, v144
	;; [unrolled: 1-line block ×3, first 2 shown]
                                        ; implicit-def: $vgpr144
	s_delay_alu instid0(VALU_DEP_4)
	v_cmpx_ne_u32_e32 0x7f800000, v153
	s_xor_b32 s3, exec_lo, s3
; %bb.12:
	v_bfe_u32 v144, v152, 16, 1
	s_delay_alu instid0(VALU_DEP_1)
	v_add3_u32 v144, v152, v144, 0x7fff
                                        ; implicit-def: $vgpr152
; %bb.13:
	s_and_not1_saveexec_b32 s3, s3
; %bb.14:
	v_and_b32_e32 v144, 0xffff, v152
	v_or_b32_e32 v145, 0x10000, v152
	s_delay_alu instid0(VALU_DEP_2) | instskip(NEXT) | instid1(VALU_DEP_2)
	v_cmp_eq_u32_e32 vcc_lo, 0, v144
	v_cndmask_b32_e32 v144, v145, v152, vcc_lo
; %bb.15:
	s_or_b32 exec_lo, exec_lo, s3
	v_and_b32_e32 v145, 0x7f800000, v147
	s_delay_alu instid0(VALU_DEP_1) | instskip(SKIP_1) | instid1(SALU_CYCLE_1)
	v_cmp_ne_u32_e32 vcc_lo, 0x7f800000, v145
                                        ; implicit-def: $vgpr145
	s_and_saveexec_b32 s3, vcc_lo
	s_xor_b32 s3, exec_lo, s3
; %bb.16:
	v_bfe_u32 v145, v147, 16, 1
	s_delay_alu instid0(VALU_DEP_1)
	v_add3_u32 v145, v147, v145, 0x7fff
                                        ; implicit-def: $vgpr147
; %bb.17:
	s_and_not1_saveexec_b32 s3, s3
; %bb.18:
	v_and_b32_e32 v145, 0xffff, v147
	v_or_b32_e32 v152, 0x10000, v147
	s_delay_alu instid0(VALU_DEP_2) | instskip(NEXT) | instid1(VALU_DEP_2)
	v_cmp_eq_u32_e32 vcc_lo, 0, v145
	v_cndmask_b32_e32 v145, v152, v147, vcc_lo
; %bb.19:
	s_or_b32 exec_lo, exec_lo, s3
	v_and_b32_e32 v147, 0x7f800000, v148
	s_delay_alu instid0(VALU_DEP_1) | instskip(SKIP_1) | instid1(SALU_CYCLE_1)
	v_cmp_ne_u32_e32 vcc_lo, 0x7f800000, v147
                                        ; implicit-def: $vgpr147
	s_and_saveexec_b32 s3, vcc_lo
	s_xor_b32 s3, exec_lo, s3
; %bb.20:
	v_bfe_u32 v147, v148, 16, 1
	s_delay_alu instid0(VALU_DEP_1)
	v_add3_u32 v147, v148, v147, 0x7fff
                                        ; implicit-def: $vgpr148
; %bb.21:
	s_and_not1_saveexec_b32 s3, s3
; %bb.22:
	v_and_b32_e32 v147, 0xffff, v148
	v_or_b32_e32 v152, 0x10000, v148
	s_delay_alu instid0(VALU_DEP_2) | instskip(NEXT) | instid1(VALU_DEP_2)
	v_cmp_eq_u32_e32 vcc_lo, 0, v147
	v_cndmask_b32_e32 v147, v152, v148, vcc_lo
; %bb.23:
	s_or_b32 exec_lo, exec_lo, s3
	v_and_b32_e32 v148, 0x7f800000, v151
	s_delay_alu instid0(VALU_DEP_1) | instskip(SKIP_1) | instid1(SALU_CYCLE_1)
	v_cmp_ne_u32_e32 vcc_lo, 0x7f800000, v148
                                        ; implicit-def: $vgpr148
	s_and_saveexec_b32 s3, vcc_lo
	s_xor_b32 s3, exec_lo, s3
; %bb.24:
	v_bfe_u32 v148, v151, 16, 1
	s_delay_alu instid0(VALU_DEP_1)
	v_add3_u32 v148, v151, v148, 0x7fff
                                        ; implicit-def: $vgpr151
; %bb.25:
	s_and_not1_saveexec_b32 s3, s3
; %bb.26:
	v_and_b32_e32 v148, 0xffff, v151
	v_or_b32_e32 v152, 0x10000, v151
	s_delay_alu instid0(VALU_DEP_2) | instskip(NEXT) | instid1(VALU_DEP_2)
	v_cmp_eq_u32_e32 vcc_lo, 0, v148
	v_cndmask_b32_e32 v148, v152, v151, vcc_lo
; %bb.27:
	s_or_b32 exec_lo, exec_lo, s3
	v_and_b32_e32 v151, 0x7f800000, v150
	s_delay_alu instid0(VALU_DEP_1) | instskip(SKIP_1) | instid1(SALU_CYCLE_1)
	v_cmp_ne_u32_e32 vcc_lo, 0x7f800000, v151
                                        ; implicit-def: $vgpr151
	s_and_saveexec_b32 s3, vcc_lo
	s_xor_b32 s3, exec_lo, s3
; %bb.28:
	v_bfe_u32 v151, v150, 16, 1
	s_delay_alu instid0(VALU_DEP_1)
	v_add3_u32 v151, v150, v151, 0x7fff
                                        ; implicit-def: $vgpr150
; %bb.29:
	s_and_not1_saveexec_b32 s3, s3
; %bb.30:
	v_and_b32_e32 v151, 0xffff, v150
	v_or_b32_e32 v152, 0x10000, v150
	s_delay_alu instid0(VALU_DEP_2) | instskip(NEXT) | instid1(VALU_DEP_2)
	v_cmp_eq_u32_e32 vcc_lo, 0, v151
	v_cndmask_b32_e32 v151, v152, v150, vcc_lo
; %bb.31:
	s_or_b32 exec_lo, exec_lo, s3
	v_and_b32_e32 v150, 0x7f800000, v149
	s_delay_alu instid0(VALU_DEP_1) | instskip(SKIP_1) | instid1(SALU_CYCLE_1)
	v_cmp_ne_u32_e32 vcc_lo, 0x7f800000, v150
                                        ; implicit-def: $vgpr150
	s_and_saveexec_b32 s3, vcc_lo
	s_xor_b32 s3, exec_lo, s3
; %bb.32:
	v_bfe_u32 v150, v149, 16, 1
	s_delay_alu instid0(VALU_DEP_1)
	v_add3_u32 v150, v149, v150, 0x7fff
                                        ; implicit-def: $vgpr149
; %bb.33:
	s_and_not1_saveexec_b32 s3, s3
; %bb.34:
	v_and_b32_e32 v150, 0xffff, v149
	v_or_b32_e32 v152, 0x10000, v149
	s_delay_alu instid0(VALU_DEP_2) | instskip(NEXT) | instid1(VALU_DEP_2)
	v_cmp_eq_u32_e32 vcc_lo, 0, v150
	v_cndmask_b32_e32 v150, v152, v149, vcc_lo
; %bb.35:
	s_or_b32 exec_lo, exec_lo, s3
	v_and_b32_e32 v149, 0x7f800000, v146
	s_delay_alu instid0(VALU_DEP_1) | instskip(SKIP_1) | instid1(SALU_CYCLE_1)
	v_cmp_ne_u32_e32 vcc_lo, 0x7f800000, v149
                                        ; implicit-def: $vgpr149
	s_and_saveexec_b32 s3, vcc_lo
	s_xor_b32 s3, exec_lo, s3
; %bb.36:
	v_bfe_u32 v149, v146, 16, 1
	s_delay_alu instid0(VALU_DEP_1)
	v_add3_u32 v149, v146, v149, 0x7fff
                                        ; implicit-def: $vgpr146
; %bb.37:
	s_and_not1_saveexec_b32 s3, s3
; %bb.38:
	v_and_b32_e32 v149, 0xffff, v146
	v_or_b32_e32 v152, 0x10000, v146
	s_delay_alu instid0(VALU_DEP_2) | instskip(NEXT) | instid1(VALU_DEP_2)
	v_cmp_eq_u32_e32 vcc_lo, 0, v149
	v_cndmask_b32_e32 v149, v152, v146, vcc_lo
; %bb.39:
	s_or_b32 exec_lo, exec_lo, s3
	v_and_b32_e32 v146, 0x7f800000, v143
	s_delay_alu instid0(VALU_DEP_1) | instskip(SKIP_1) | instid1(SALU_CYCLE_1)
	v_cmp_ne_u32_e32 vcc_lo, 0x7f800000, v146
                                        ; implicit-def: $vgpr146
	s_and_saveexec_b32 s3, vcc_lo
	s_xor_b32 s3, exec_lo, s3
; %bb.40:
	v_bfe_u32 v146, v143, 16, 1
	s_delay_alu instid0(VALU_DEP_1)
	v_add3_u32 v146, v143, v146, 0x7fff
                                        ; implicit-def: $vgpr143
; %bb.41:
	s_and_not1_saveexec_b32 s3, s3
; %bb.42:
	v_and_b32_e32 v146, 0xffff, v143
	v_or_b32_e32 v152, 0x10000, v143
	s_delay_alu instid0(VALU_DEP_2) | instskip(NEXT) | instid1(VALU_DEP_2)
	v_cmp_eq_u32_e32 vcc_lo, 0, v146
	v_cndmask_b32_e32 v146, v152, v143, vcc_lo
; %bb.43:
	s_or_b32 exec_lo, exec_lo, s3
	s_load_b64 s[36:37], s[0:1], 0x94
	v_lshlrev_b32_e32 v153, 4, v138
	s_delay_alu instid0(VALU_DEP_2)
	v_perm_b32 v152, v146, v149, 0x7060302
	v_dual_mul_f32 v146, v142, v131 :: v_dual_lshlrev_b32 v143, 6, v137
	v_mul_f32_e32 v140, v142, v140
	v_dual_mul_f32 v141, v142, v141 :: v_dual_lshlrev_b32 v154, 11, v139
	v_perm_b32 v151, v150, v151, 0x7060302
	v_perm_b32 v150, v148, v147, 0x7060302
	;; [unrolled: 1-line block ×3, first 2 shown]
	s_delay_alu instid0(VALU_DEP_4)
	v_or3_b32 v131, v153, v154, v143
	v_dual_mul_f32 v136, v142, v136 :: v_dual_and_b32 v147, 0x7f800000, v146
	v_mul_f32_e32 v135, v142, v135
	v_mul_f32_e32 v144, v142, v134
	;; [unrolled: 1-line block ×4, first 2 shown]
	s_mov_b32 s3, exec_lo
	ds_store_b128 v131, v[149:152]
                                        ; implicit-def: $vgpr132
	v_cmpx_ne_u32_e32 0x7f800000, v147
	s_xor_b32 s3, exec_lo, s3
; %bb.44:
	v_bfe_u32 v132, v146, 16, 1
	s_delay_alu instid0(VALU_DEP_1)
	v_add3_u32 v132, v146, v132, 0x7fff
                                        ; implicit-def: $vgpr146
; %bb.45:
	s_and_not1_saveexec_b32 s3, s3
; %bb.46:
	v_and_b32_e32 v132, 0xffff, v146
	v_or_b32_e32 v133, 0x10000, v146
	s_delay_alu instid0(VALU_DEP_2) | instskip(NEXT) | instid1(VALU_DEP_2)
	v_cmp_eq_u32_e32 vcc_lo, 0, v132
	v_cndmask_b32_e32 v132, v133, v146, vcc_lo
; %bb.47:
	s_or_b32 exec_lo, exec_lo, s3
	v_and_b32_e32 v133, 0x7f800000, v134
	s_delay_alu instid0(VALU_DEP_1) | instskip(SKIP_1) | instid1(SALU_CYCLE_1)
	v_cmp_ne_u32_e32 vcc_lo, 0x7f800000, v133
                                        ; implicit-def: $vgpr133
	s_and_saveexec_b32 s3, vcc_lo
	s_xor_b32 s3, exec_lo, s3
; %bb.48:
	v_bfe_u32 v133, v134, 16, 1
	s_delay_alu instid0(VALU_DEP_1)
	v_add3_u32 v133, v134, v133, 0x7fff
                                        ; implicit-def: $vgpr134
; %bb.49:
	s_and_not1_saveexec_b32 s3, s3
; %bb.50:
	v_and_b32_e32 v133, 0xffff, v134
	v_or_b32_e32 v142, 0x10000, v134
	s_delay_alu instid0(VALU_DEP_2) | instskip(NEXT) | instid1(VALU_DEP_2)
	v_cmp_eq_u32_e32 vcc_lo, 0, v133
	v_cndmask_b32_e32 v133, v142, v134, vcc_lo
; %bb.51:
	s_or_b32 exec_lo, exec_lo, s3
	v_and_b32_e32 v134, 0x7f800000, v145
	s_delay_alu instid0(VALU_DEP_1) | instskip(SKIP_1) | instid1(SALU_CYCLE_1)
	v_cmp_ne_u32_e32 vcc_lo, 0x7f800000, v134
                                        ; implicit-def: $vgpr134
	s_and_saveexec_b32 s3, vcc_lo
	s_xor_b32 s3, exec_lo, s3
; %bb.52:
	v_bfe_u32 v134, v145, 16, 1
	s_delay_alu instid0(VALU_DEP_1)
	v_add3_u32 v134, v145, v134, 0x7fff
                                        ; implicit-def: $vgpr145
; %bb.53:
	s_and_not1_saveexec_b32 s3, s3
; %bb.54:
	v_and_b32_e32 v134, 0xffff, v145
	v_or_b32_e32 v142, 0x10000, v145
	s_delay_alu instid0(VALU_DEP_2) | instskip(NEXT) | instid1(VALU_DEP_2)
	v_cmp_eq_u32_e32 vcc_lo, 0, v134
	v_cndmask_b32_e32 v134, v142, v145, vcc_lo
; %bb.55:
	s_or_b32 exec_lo, exec_lo, s3
	v_and_b32_e32 v142, 0x7f800000, v144
	s_delay_alu instid0(VALU_DEP_1) | instskip(SKIP_1) | instid1(SALU_CYCLE_1)
	v_cmp_ne_u32_e32 vcc_lo, 0x7f800000, v142
                                        ; implicit-def: $vgpr142
	s_and_saveexec_b32 s3, vcc_lo
	s_xor_b32 s3, exec_lo, s3
; %bb.56:
	v_bfe_u32 v142, v144, 16, 1
	s_delay_alu instid0(VALU_DEP_1)
	v_add3_u32 v142, v144, v142, 0x7fff
                                        ; implicit-def: $vgpr144
; %bb.57:
	s_and_not1_saveexec_b32 s3, s3
; %bb.58:
	v_and_b32_e32 v142, 0xffff, v144
	v_or_b32_e32 v145, 0x10000, v144
	s_delay_alu instid0(VALU_DEP_2) | instskip(NEXT) | instid1(VALU_DEP_2)
	v_cmp_eq_u32_e32 vcc_lo, 0, v142
	v_cndmask_b32_e32 v142, v145, v144, vcc_lo
; %bb.59:
	s_or_b32 exec_lo, exec_lo, s3
	v_and_b32_e32 v144, 0x7f800000, v135
	s_delay_alu instid0(VALU_DEP_1) | instskip(SKIP_1) | instid1(SALU_CYCLE_1)
	v_cmp_ne_u32_e32 vcc_lo, 0x7f800000, v144
                                        ; implicit-def: $vgpr144
	s_and_saveexec_b32 s3, vcc_lo
	s_xor_b32 s3, exec_lo, s3
; %bb.60:
	v_bfe_u32 v144, v135, 16, 1
	s_delay_alu instid0(VALU_DEP_1)
	v_add3_u32 v144, v135, v144, 0x7fff
                                        ; implicit-def: $vgpr135
; %bb.61:
	s_and_not1_saveexec_b32 s3, s3
; %bb.62:
	v_and_b32_e32 v144, 0xffff, v135
	v_or_b32_e32 v145, 0x10000, v135
	s_delay_alu instid0(VALU_DEP_2) | instskip(NEXT) | instid1(VALU_DEP_2)
	v_cmp_eq_u32_e32 vcc_lo, 0, v144
	v_cndmask_b32_e32 v144, v145, v135, vcc_lo
; %bb.63:
	s_or_b32 exec_lo, exec_lo, s3
	v_and_b32_e32 v135, 0x7f800000, v136
	s_delay_alu instid0(VALU_DEP_1) | instskip(SKIP_1) | instid1(SALU_CYCLE_1)
	v_cmp_ne_u32_e32 vcc_lo, 0x7f800000, v135
                                        ; implicit-def: $vgpr135
	s_and_saveexec_b32 s3, vcc_lo
	s_xor_b32 s3, exec_lo, s3
; %bb.64:
	v_bfe_u32 v135, v136, 16, 1
	s_delay_alu instid0(VALU_DEP_1)
	v_add3_u32 v135, v136, v135, 0x7fff
                                        ; implicit-def: $vgpr136
; %bb.65:
	s_and_not1_saveexec_b32 s3, s3
; %bb.66:
	v_and_b32_e32 v135, 0xffff, v136
	v_or_b32_e32 v145, 0x10000, v136
	s_delay_alu instid0(VALU_DEP_2) | instskip(NEXT) | instid1(VALU_DEP_2)
	v_cmp_eq_u32_e32 vcc_lo, 0, v135
	v_cndmask_b32_e32 v135, v145, v136, vcc_lo
; %bb.67:
	s_or_b32 exec_lo, exec_lo, s3
	v_and_b32_e32 v136, 0x7f800000, v140
	s_delay_alu instid0(VALU_DEP_1) | instskip(SKIP_1) | instid1(SALU_CYCLE_1)
	v_cmp_ne_u32_e32 vcc_lo, 0x7f800000, v136
                                        ; implicit-def: $vgpr136
	s_and_saveexec_b32 s3, vcc_lo
	s_xor_b32 s3, exec_lo, s3
; %bb.68:
	v_bfe_u32 v136, v140, 16, 1
	s_delay_alu instid0(VALU_DEP_1)
	v_add3_u32 v136, v140, v136, 0x7fff
                                        ; implicit-def: $vgpr140
; %bb.69:
	s_and_not1_saveexec_b32 s3, s3
; %bb.70:
	v_and_b32_e32 v136, 0xffff, v140
	v_or_b32_e32 v145, 0x10000, v140
	s_delay_alu instid0(VALU_DEP_2) | instskip(NEXT) | instid1(VALU_DEP_2)
	v_cmp_eq_u32_e32 vcc_lo, 0, v136
	v_cndmask_b32_e32 v136, v145, v140, vcc_lo
; %bb.71:
	s_or_b32 exec_lo, exec_lo, s3
	v_and_b32_e32 v140, 0x7f800000, v141
	s_delay_alu instid0(VALU_DEP_1) | instskip(SKIP_1) | instid1(SALU_CYCLE_1)
	v_cmp_ne_u32_e32 vcc_lo, 0x7f800000, v140
                                        ; implicit-def: $vgpr140
	s_and_saveexec_b32 s3, vcc_lo
	s_xor_b32 s3, exec_lo, s3
; %bb.72:
	v_bfe_u32 v140, v141, 16, 1
	s_delay_alu instid0(VALU_DEP_1)
	v_add3_u32 v140, v141, v140, 0x7fff
                                        ; implicit-def: $vgpr141
; %bb.73:
	s_and_not1_saveexec_b32 s3, s3
; %bb.74:
	v_and_b32_e32 v140, 0xffff, v141
	v_or_b32_e32 v145, 0x10000, v141
	s_delay_alu instid0(VALU_DEP_2) | instskip(NEXT) | instid1(VALU_DEP_2)
	v_cmp_eq_u32_e32 vcc_lo, 0, v140
	v_cndmask_b32_e32 v140, v145, v141, vcc_lo
; %bb.75:
	s_or_b32 exec_lo, exec_lo, s3
	s_delay_alu instid0(VALU_DEP_1)
	v_perm_b32 v136, v140, v136, 0x7060302
	v_perm_b32 v135, v135, v144, 0x7060302
	;; [unrolled: 1-line block ×4, first 2 shown]
	v_lshl_or_b32 v144, v139, 11, v143
	ds_store_b128 v131, v[133:136] offset:1024
	s_waitcnt lgkmcnt(0)
	s_barrier
	buffer_gl0_inv
	ds_load_b128 v[132:135], v144
	ds_load_b128 v[145:148], v144 offset:16
	s_waitcnt lgkmcnt(1)
	v_lshrrev_b32_e32 v136, 16, v132
	s_waitcnt lgkmcnt(0)
	v_lshrrev_b32_e32 v153, 16, v145
	v_lshlrev_b32_e32 v140, 2, v138
	v_lshrrev_b32_e32 v157, 16, v133
	v_lshrrev_b32_e32 v160, 16, v146
	;; [unrolled: 1-line block ×4, first 2 shown]
	v_cmp_eq_u32_e32 vcc_lo, 1, v140
	v_lshrrev_b32_e32 v159, 16, v135
	v_lshrrev_b32_e32 v162, 16, v148
	v_cndmask_b32_e32 v149, v145, v153, vcc_lo
	v_or_b32_e32 v141, 1, v140
	v_cndmask_b32_e32 v142, v132, v136, vcc_lo
	v_cmp_eq_u32_e64 s4, 2, v140
	v_cmp_eq_u32_e64 s7, 3, v140
	;; [unrolled: 1-line block ×5, first 2 shown]
	v_cndmask_b32_e64 v142, v142, v133, s4
	v_cndmask_b32_e64 v149, v149, v146, s4
	v_cmp_eq_u32_e64 s8, 3, v141
	v_cndmask_b32_e64 v150, v132, v136, s3
	v_or_b32_e32 v139, 2, v140
	v_cndmask_b32_e64 v142, v142, v157, s7
	v_cndmask_b32_e64 v149, v149, v160, s7
	v_cndmask_b32_e64 v151, v145, v153, s3
	v_cndmask_b32_e64 v150, v150, v133, s6
	v_cmp_eq_u32_e64 s10, 5, v140
	v_cndmask_b32_e64 v142, v142, v134, s9
	v_cndmask_b32_e64 v149, v149, v147, s9
	v_cmp_eq_u32_e64 s11, 4, v141
	v_cndmask_b32_e64 v150, v150, v157, s8
	v_cmp_eq_u32_e64 s5, 1, v139
	v_cndmask_b32_e64 v151, v151, v146, s6
	v_cndmask_b32_e64 v142, v142, v158, s10
	v_cmp_eq_u32_e64 s12, 6, v140
	v_cndmask_b32_e64 v150, v150, v134, s11
	;; [unrolled: 3-line block ×3, first 2 shown]
	v_cndmask_b32_e64 v151, v151, v160, s8
	v_cndmask_b32_e64 v142, v142, v135, s12
	v_cmp_eq_u32_e64 s16, 7, v140
	v_cndmask_b32_e64 v150, v150, v158, s13
	v_cndmask_b32_e64 v149, v149, v148, s12
	v_cmp_eq_u32_e64 s17, 6, v141
	v_cmp_eq_u32_e64 s18, 2, v139
	v_cndmask_b32_e64 v151, v151, v147, s11
	v_cndmask_b32_e64 v163, v142, v159, s16
	;; [unrolled: 1-line block ×6, first 2 shown]
	v_cmp_eq_u32_e64 s19, 7, v141
	v_cmp_eq_u32_e64 s20, 3, v139
	;; [unrolled: 1-line block ×4, first 2 shown]
	v_cndmask_b32_e64 v149, v149, v146, s18
	v_cndmask_b32_e64 v165, v150, v159, s19
	;; [unrolled: 1-line block ×4, first 2 shown]
	v_or_b32_e32 v142, 3, v140
	v_cndmask_b32_e64 v155, v149, v160, s20
	v_cmp_eq_u32_e64 s25, 6, v139
	v_cndmask_b32_e64 v166, v150, v148, s17
	v_cndmask_b32_e64 v154, v151, v134, s21
	ds_load_b128 v[149:152], v144 offset:1024
	v_cmp_eq_u32_e64 s22, 1, v142
	v_cmp_eq_u32_e64 s24, 2, v142
	;; [unrolled: 1-line block ×3, first 2 shown]
	v_cndmask_b32_e64 v167, v154, v158, s23
	v_cmp_eq_u32_e64 s27, 4, v142
	v_cndmask_b32_e64 v132, v132, v136, s22
	v_cndmask_b32_e64 v136, v155, v147, s21
	;; [unrolled: 1-line block ×3, first 2 shown]
	ds_load_b128 v[153:156], v144 offset:1040
	v_cmp_eq_u32_e64 s28, 7, v139
	v_cndmask_b32_e64 v132, v132, v133, s24
	v_cndmask_b32_e64 v133, v136, v161, s23
	;; [unrolled: 1-line block ×4, first 2 shown]
	v_cmp_eq_u32_e64 s29, 5, v142
	v_cndmask_b32_e64 v132, v132, v157, s26
	v_cmp_eq_u32_e64 s30, 6, v142
	v_cndmask_b32_e64 v136, v136, v160, s26
	v_cndmask_b32_e64 v133, v133, v148, s25
	s_waitcnt lgkmcnt(1)
	v_lshrrev_b32_e32 v157, 16, v149
	v_cndmask_b32_e64 v132, v132, v134, s27
	v_cndmask_b32_e64 v145, v166, v162, s19
	;; [unrolled: 1-line block ×4, first 2 shown]
	v_cndmask_b32_e32 v146, v149, v157, vcc_lo
	v_cndmask_b32_e64 v132, v132, v158, s29
	v_lshrrev_b32_e32 v158, 16, v150
	v_cndmask_b32_e64 v160, v149, v157, s3
	s_waitcnt lgkmcnt(0)
	v_lshrrev_b32_e32 v147, 16, v153
	v_cndmask_b32_e64 v146, v146, v150, s4
	v_cndmask_b32_e64 v134, v134, v161, s29
	;; [unrolled: 1-line block ×4, first 2 shown]
	v_cndmask_b32_e32 v161, v153, v147, vcc_lo
	v_cndmask_b32_e64 v135, v146, v158, s7
	v_cndmask_b32_e64 v146, v160, v150, s6
	;; [unrolled: 1-line block ×3, first 2 shown]
	v_lshrrev_b32_e32 v160, 16, v154
	v_cndmask_b32_e64 v148, v161, v154, s4
	v_cmp_eq_u32_e32 vcc_lo, 7, v142
	v_cndmask_b32_e64 v146, v146, v158, s8
	v_cndmask_b32_e64 v135, v135, v151, s9
	v_lshrrev_b32_e32 v161, 16, v151
	v_cndmask_b32_e64 v148, v148, v160, s7
	v_cndmask_b32_e32 v132, v132, v159, vcc_lo
	v_cndmask_b32_e32 v134, v134, v162, vcc_lo
	v_cndmask_b32_e64 v146, v146, v151, s11
	v_cndmask_b32_e64 v159, v135, v161, s10
	;; [unrolled: 1-line block ×3, first 2 shown]
	v_lshrrev_b32_e32 v162, 16, v155
	v_perm_b32 v135, v134, v132, 0x5040100
	v_cndmask_b32_e64 v132, v146, v161, s13
	v_cndmask_b32_e64 v146, v159, v152, s12
	v_lshrrev_b32_e32 v159, 16, v152
	v_cndmask_b32_e64 v148, v148, v162, s10
	v_perm_b32 v134, v133, v136, 0x5040100
	v_cndmask_b32_e64 v132, v132, v152, s17
	v_perm_b32 v133, v145, v165, 0x5040100
	v_cndmask_b32_e64 v136, v146, v159, s16
	v_cndmask_b32_e64 v145, v148, v156, s12
	;; [unrolled: 1-line block ×28, first 2 shown]
	v_lshrrev_b32_e32 v146, 16, v156
	v_cndmask_b32_e64 v132, v132, v152, s25
	v_cndmask_b32_e64 v148, v148, v152, s30
	v_cndmask_b32_e64 v149, v149, v156, s30
	v_cndmask_b32_e64 v150, v150, v156, s25
	v_cndmask_b32_e64 v147, v147, v156, s17
	v_cndmask_b32_e64 v151, v132, v159, s28
	s_delay_alu instid0(VALU_DEP_4) | instskip(NEXT) | instid1(VALU_DEP_4)
	v_dual_cndmask_b32 v148, v148, v159 :: v_dual_cndmask_b32 v149, v149, v146
	v_cndmask_b32_e64 v150, v150, v146, s28
	s_delay_alu instid0(VALU_DEP_4)
	v_cndmask_b32_e64 v152, v147, v146, s19
	v_cndmask_b32_e64 v145, v145, v146, s16
	v_perm_b32 v132, v164, v163, 0x5040100
	v_perm_b32 v148, v149, v148, 0x5040100
	;; [unrolled: 1-line block ×5, first 2 shown]
	s_mov_b32 s3, exec_lo
	ds_store_b128 v131, v[132:135]
	ds_store_b128 v131, v[145:148] offset:1024
	v_cmpx_eq_u32_e32 0, v0
	s_cbranch_execz .LBB494_77
; %bb.76:
	s_load_b128 s[4:7], s[0:1], 0x58
	s_mul_i32 s8, s37, s34
	v_mov_b32_e32 v131, 0
	s_add_i32 s8, s8, s15
	s_delay_alu instid0(SALU_CYCLE_1) | instskip(NEXT) | instid1(SALU_CYCLE_1)
	s_mul_i32 s8, s8, s36
	s_add_i32 s8, s8, s14
	s_delay_alu instid0(SALU_CYCLE_1) | instskip(NEXT) | instid1(SALU_CYCLE_1)
	s_ashr_i32 s9, s8, 31
	s_lshl_b64 s[8:9], s[8:9], 2
	s_waitcnt lgkmcnt(0)
	s_add_u32 s6, s6, s8
	s_addc_u32 s7, s7, s9
	s_add_u32 s4, s4, s8
	s_addc_u32 s5, s5, s9
	s_clause 0x1
	global_store_b32 v131, v129, s[6:7]
	global_store_b32 v131, v130, s[4:5]
.LBB494_77:
	s_or_b32 exec_lo, exec_lo, s3
	s_waitcnt lgkmcnt(0)
	s_waitcnt_vscnt null, 0x0
	s_barrier
	buffer_gl0_inv
	ds_load_b128 v[145:148], v143
	ds_load_b128 v[149:152], v143 offset:16
	ds_load_b128 v[157:160], v143 offset:1040
	;; [unrolled: 1-line block ×3, first 2 shown]
	v_mov_b32_e32 v129, 0
	ds_load_b128 v[165:168], v143 offset:2064
	ds_load_b128 v[161:164], v143 offset:2048
	v_mov_b32_e32 v130, v129
	v_mov_b32_e32 v131, v129
	;; [unrolled: 1-line block ×7, first 2 shown]
	s_waitcnt lgkmcnt(4)
	s_delay_alu instid0(VALU_DEP_1)
	v_wmma_f32_16x16x16_bf16 v[129:136], v[121:128], v[145:152], v[129:136]
	ds_load_b128 v[125:128], v143 offset:3088
	ds_load_b128 v[121:124], v143 offset:3072
	;; [unrolled: 1-line block ×4, first 2 shown]
	s_waitcnt lgkmcnt(6)
	v_wmma_f32_16x16x16_bf16 v[129:136], v[113:120], v[153:160], v[129:136]
	ds_load_b128 v[117:120], v143 offset:5136
	ds_load_b128 v[113:116], v143 offset:5120
	;; [unrolled: 1-line block ×4, first 2 shown]
	s_waitcnt lgkmcnt(8)
	v_wmma_f32_16x16x16_bf16 v[129:136], v[105:112], v[161:168], v[129:136]
	ds_load_b128 v[109:112], v143 offset:7184
	ds_load_b128 v[105:108], v143 offset:7168
	s_waitcnt lgkmcnt(8)
	v_wmma_f32_16x16x16_bf16 v[129:136], v[97:104], v[121:128], v[129:136]
	ds_load_b128 v[101:104], v143 offset:8208
	ds_load_b128 v[97:100], v143 offset:8192
	;; [unrolled: 4-line block ×5, first 2 shown]
	s_waitcnt lgkmcnt(8)
	v_wmma_f32_16x16x16_bf16 v[129:136], v[65:72], v[105:112], v[129:136]
	s_waitcnt lgkmcnt(6)
	s_delay_alu instid0(VALU_DEP_1)
	v_wmma_f32_16x16x16_bf16 v[129:136], v[57:64], v[97:104], v[129:136]
	ds_load_b128 v[61:64], v143 offset:12304
	ds_load_b128 v[57:60], v143 offset:12288
	s_waitcnt lgkmcnt(6)
	v_wmma_f32_16x16x16_bf16 v[129:136], v[49:56], v[89:96], v[129:136]
	ds_load_b128 v[53:56], v143 offset:13328
	ds_load_b128 v[49:52], v143 offset:13312
	s_waitcnt lgkmcnt(6)
	;; [unrolled: 4-line block ×4, first 2 shown]
	v_wmma_f32_16x16x16_bf16 v[129:136], v[1:8], v[57:64], v[129:136]
	s_waitcnt lgkmcnt(4)
	s_delay_alu instid0(VALU_DEP_1) | instskip(SKIP_1) | instid1(VALU_DEP_1)
	v_wmma_f32_16x16x16_bf16 v[129:136], v[25:32], v[49:56], v[129:136]
	s_waitcnt lgkmcnt(2)
	v_wmma_f32_16x16x16_bf16 v[129:136], v[33:40], v[41:48], v[129:136]
	s_waitcnt lgkmcnt(0)
	s_delay_alu instid0(VALU_DEP_1) | instskip(NEXT) | instid1(VALU_DEP_1)
	v_wmma_f32_16x16x16_bf16 v[129:136], v[9:16], v[17:24], v[129:136]
	v_and_b32_e32 v1, 0x7f800000, v129
	s_delay_alu instid0(VALU_DEP_1) | instskip(SKIP_1) | instid1(SALU_CYCLE_1)
	v_cmp_ne_u32_e32 vcc_lo, 0x7f800000, v1
                                        ; implicit-def: $vgpr1
	s_and_saveexec_b32 s3, vcc_lo
	s_xor_b32 s3, exec_lo, s3
; %bb.78:
	v_bfe_u32 v1, v129, 16, 1
	s_delay_alu instid0(VALU_DEP_1)
	v_add3_u32 v1, v129, v1, 0x7fff
; %bb.79:
	s_and_not1_saveexec_b32 s3, s3
; %bb.80:
	v_and_b32_e32 v1, 0xffff, v129
	v_or_b32_e32 v2, 0x10000, v129
	s_delay_alu instid0(VALU_DEP_2) | instskip(NEXT) | instid1(VALU_DEP_2)
	v_cmp_eq_u32_e32 vcc_lo, 0, v1
	v_cndmask_b32_e32 v1, v2, v129, vcc_lo
; %bb.81:
	s_or_b32 exec_lo, exec_lo, s3
	v_and_b32_e32 v2, 0x7f800000, v130
	s_delay_alu instid0(VALU_DEP_1) | instskip(SKIP_1) | instid1(SALU_CYCLE_1)
	v_cmp_ne_u32_e32 vcc_lo, 0x7f800000, v2
                                        ; implicit-def: $vgpr2
	s_and_saveexec_b32 s3, vcc_lo
	s_xor_b32 s3, exec_lo, s3
; %bb.82:
	v_bfe_u32 v2, v130, 16, 1
	s_delay_alu instid0(VALU_DEP_1)
	v_add3_u32 v2, v130, v2, 0x7fff
; %bb.83:
	s_and_not1_saveexec_b32 s3, s3
; %bb.84:
	v_and_b32_e32 v2, 0xffff, v130
	v_or_b32_e32 v3, 0x10000, v130
	s_delay_alu instid0(VALU_DEP_2) | instskip(NEXT) | instid1(VALU_DEP_2)
	v_cmp_eq_u32_e32 vcc_lo, 0, v2
	v_cndmask_b32_e32 v2, v3, v130, vcc_lo
; %bb.85:
	s_or_b32 exec_lo, exec_lo, s3
	v_and_b32_e32 v3, 0x7f800000, v131
	s_delay_alu instid0(VALU_DEP_1) | instskip(SKIP_1) | instid1(SALU_CYCLE_1)
	v_cmp_ne_u32_e32 vcc_lo, 0x7f800000, v3
                                        ; implicit-def: $vgpr3
	s_and_saveexec_b32 s3, vcc_lo
	s_xor_b32 s3, exec_lo, s3
; %bb.86:
	v_bfe_u32 v3, v131, 16, 1
	s_delay_alu instid0(VALU_DEP_1)
	v_add3_u32 v3, v131, v3, 0x7fff
; %bb.87:
	s_and_not1_saveexec_b32 s3, s3
; %bb.88:
	v_and_b32_e32 v3, 0xffff, v131
	v_or_b32_e32 v4, 0x10000, v131
	s_delay_alu instid0(VALU_DEP_2) | instskip(NEXT) | instid1(VALU_DEP_2)
	v_cmp_eq_u32_e32 vcc_lo, 0, v3
	v_cndmask_b32_e32 v3, v4, v131, vcc_lo
; %bb.89:
	s_or_b32 exec_lo, exec_lo, s3
	v_and_b32_e32 v4, 0x7f800000, v132
	s_delay_alu instid0(VALU_DEP_1) | instskip(SKIP_1) | instid1(SALU_CYCLE_1)
	v_cmp_ne_u32_e32 vcc_lo, 0x7f800000, v4
                                        ; implicit-def: $vgpr4
	s_and_saveexec_b32 s3, vcc_lo
	s_xor_b32 s3, exec_lo, s3
; %bb.90:
	v_bfe_u32 v4, v132, 16, 1
	s_delay_alu instid0(VALU_DEP_1)
	v_add3_u32 v4, v132, v4, 0x7fff
; %bb.91:
	s_and_not1_saveexec_b32 s3, s3
; %bb.92:
	v_and_b32_e32 v4, 0xffff, v132
	v_or_b32_e32 v5, 0x10000, v132
	s_delay_alu instid0(VALU_DEP_2) | instskip(NEXT) | instid1(VALU_DEP_2)
	v_cmp_eq_u32_e32 vcc_lo, 0, v4
	v_cndmask_b32_e32 v4, v5, v132, vcc_lo
; %bb.93:
	s_or_b32 exec_lo, exec_lo, s3
	v_and_b32_e32 v5, 0x7f800000, v133
	s_delay_alu instid0(VALU_DEP_1) | instskip(SKIP_1) | instid1(SALU_CYCLE_1)
	v_cmp_ne_u32_e32 vcc_lo, 0x7f800000, v5
                                        ; implicit-def: $vgpr5
	s_and_saveexec_b32 s3, vcc_lo
	s_xor_b32 s3, exec_lo, s3
; %bb.94:
	v_bfe_u32 v5, v133, 16, 1
	s_delay_alu instid0(VALU_DEP_1)
	v_add3_u32 v5, v133, v5, 0x7fff
; %bb.95:
	s_and_not1_saveexec_b32 s3, s3
; %bb.96:
	v_and_b32_e32 v5, 0xffff, v133
	v_or_b32_e32 v6, 0x10000, v133
	s_delay_alu instid0(VALU_DEP_2) | instskip(NEXT) | instid1(VALU_DEP_2)
	v_cmp_eq_u32_e32 vcc_lo, 0, v5
	v_cndmask_b32_e32 v5, v6, v133, vcc_lo
; %bb.97:
	s_or_b32 exec_lo, exec_lo, s3
	v_and_b32_e32 v6, 0x7f800000, v134
	s_delay_alu instid0(VALU_DEP_1) | instskip(SKIP_1) | instid1(SALU_CYCLE_1)
	v_cmp_ne_u32_e32 vcc_lo, 0x7f800000, v6
                                        ; implicit-def: $vgpr6
	s_and_saveexec_b32 s3, vcc_lo
	s_xor_b32 s3, exec_lo, s3
; %bb.98:
	v_bfe_u32 v6, v134, 16, 1
	s_delay_alu instid0(VALU_DEP_1)
	v_add3_u32 v6, v134, v6, 0x7fff
; %bb.99:
	s_and_not1_saveexec_b32 s3, s3
; %bb.100:
	v_and_b32_e32 v6, 0xffff, v134
	v_or_b32_e32 v7, 0x10000, v134
	s_delay_alu instid0(VALU_DEP_2) | instskip(NEXT) | instid1(VALU_DEP_2)
	v_cmp_eq_u32_e32 vcc_lo, 0, v6
	v_cndmask_b32_e32 v6, v7, v134, vcc_lo
; %bb.101:
	s_or_b32 exec_lo, exec_lo, s3
	v_and_b32_e32 v7, 0x7f800000, v135
	s_delay_alu instid0(VALU_DEP_1) | instskip(SKIP_1) | instid1(SALU_CYCLE_1)
	v_cmp_ne_u32_e32 vcc_lo, 0x7f800000, v7
                                        ; implicit-def: $vgpr7
	s_and_saveexec_b32 s3, vcc_lo
	s_xor_b32 s3, exec_lo, s3
; %bb.102:
	v_bfe_u32 v7, v135, 16, 1
	s_delay_alu instid0(VALU_DEP_1)
	v_add3_u32 v7, v135, v7, 0x7fff
; %bb.103:
	s_and_not1_saveexec_b32 s3, s3
; %bb.104:
	v_and_b32_e32 v7, 0xffff, v135
	v_or_b32_e32 v8, 0x10000, v135
	s_delay_alu instid0(VALU_DEP_2) | instskip(NEXT) | instid1(VALU_DEP_2)
	v_cmp_eq_u32_e32 vcc_lo, 0, v7
	v_cndmask_b32_e32 v7, v8, v135, vcc_lo
; %bb.105:
	s_or_b32 exec_lo, exec_lo, s3
	v_and_b32_e32 v8, 0x7f800000, v136
	s_delay_alu instid0(VALU_DEP_1) | instskip(SKIP_1) | instid1(SALU_CYCLE_1)
	v_cmp_ne_u32_e32 vcc_lo, 0x7f800000, v8
                                        ; implicit-def: $vgpr8
	s_and_saveexec_b32 s3, vcc_lo
	s_xor_b32 s3, exec_lo, s3
; %bb.106:
	v_bfe_u32 v8, v136, 16, 1
	s_delay_alu instid0(VALU_DEP_1)
	v_add3_u32 v8, v136, v8, 0x7fff
                                        ; implicit-def: $vgpr129_vgpr130_vgpr131_vgpr132_vgpr133_vgpr134_vgpr135_vgpr136
; %bb.107:
	s_and_not1_saveexec_b32 s3, s3
; %bb.108:
	v_and_b32_e32 v8, 0xffff, v136
	v_or_b32_e32 v9, 0x10000, v136
	s_delay_alu instid0(VALU_DEP_2) | instskip(NEXT) | instid1(VALU_DEP_2)
	v_cmp_eq_u32_e32 vcc_lo, 0, v8
	v_cndmask_b32_e32 v8, v9, v136, vcc_lo
; %bb.109:
	s_or_b32 exec_lo, exec_lo, s3
	s_delay_alu instid0(VALU_DEP_1)
	v_perm_b32 v7, v8, v7, 0x7060302
	v_perm_b32 v6, v6, v5, 0x7060302
	;; [unrolled: 1-line block ×4, first 2 shown]
	v_lshl_or_b32 v9, v138, 4, v144
	s_barrier
	buffer_gl0_inv
	v_cmp_eq_u32_e32 vcc_lo, 1, v140
	ds_store_b128 v9, v[4:7]
	s_waitcnt lgkmcnt(0)
	s_barrier
	buffer_gl0_inv
	ds_load_b128 v[1:4], v144
	ds_load_b128 v[5:8], v144 offset:16
	v_cmp_eq_u32_e64 s4, 2, v140
	v_cmp_eq_u32_e64 s3, 1, v141
	;; [unrolled: 1-line block ×5, first 2 shown]
	s_waitcnt lgkmcnt(1)
	v_lshrrev_b32_e32 v10, 16, v1
	s_waitcnt lgkmcnt(0)
	v_lshrrev_b32_e32 v14, 16, v5
	v_lshrrev_b32_e32 v15, 16, v6
	;; [unrolled: 1-line block ×4, first 2 shown]
	v_cndmask_b32_e64 v20, v1, v10, s3
	v_cndmask_b32_e32 v19, v5, v14, vcc_lo
	v_cndmask_b32_e64 v21, v5, v14, s3
	v_lshrrev_b32_e32 v16, 16, v7
	v_cmp_eq_u32_e64 s3, 1, v139
	v_lshrrev_b32_e32 v13, 16, v4
	v_cndmask_b32_e64 v19, v19, v6, s4
	v_lshrrev_b32_e32 v17, 16, v8
	s_delay_alu instid0(VALU_DEP_4) | instskip(SKIP_1) | instid1(VALU_DEP_4)
	v_cndmask_b32_e64 v22, v1, v10, s3
	v_cndmask_b32_e64 v23, v5, v14, s3
	v_cndmask_b32_e64 v19, v19, v15, s5
	v_cndmask_b32_e32 v18, v1, v10, vcc_lo
	v_cmp_eq_u32_e32 vcc_lo, 2, v141
	v_cmp_eq_u32_e64 s3, 2, v142
	v_cndmask_b32_e64 v22, v22, v2, s7
	v_cndmask_b32_e32 v20, v20, v2, vcc_lo
	v_cndmask_b32_e32 v21, v21, v6, vcc_lo
	v_cmp_eq_u32_e32 vcc_lo, 4, v140
	v_cndmask_b32_e32 v19, v19, v7, vcc_lo
	v_cndmask_b32_e64 v18, v18, v2, s4
	v_cmp_eq_u32_e64 s4, 3, v141
	s_delay_alu instid0(VALU_DEP_2) | instskip(NEXT) | instid1(VALU_DEP_2)
	v_cndmask_b32_e64 v18, v18, v11, s5
	v_cndmask_b32_e64 v21, v21, v15, s4
	v_cmp_eq_u32_e64 s5, 5, v140
	s_delay_alu instid0(VALU_DEP_3) | instskip(SKIP_1) | instid1(VALU_DEP_3)
	v_cndmask_b32_e32 v18, v18, v3, vcc_lo
	v_cmp_eq_u32_e32 vcc_lo, 4, v141
	v_cndmask_b32_e64 v19, v19, v16, s5
	s_delay_alu instid0(VALU_DEP_3) | instskip(SKIP_4) | instid1(VALU_DEP_3)
	v_cndmask_b32_e64 v18, v18, v12, s5
	v_cndmask_b32_e32 v21, v21, v7, vcc_lo
	v_cndmask_b32_e64 v20, v20, v11, s4
	v_cmp_eq_u32_e64 s4, 5, v141
	v_cmp_eq_u32_e64 s5, 6, v140
	v_cndmask_b32_e32 v20, v20, v3, vcc_lo
	s_delay_alu instid0(VALU_DEP_3) | instskip(SKIP_1) | instid1(VALU_DEP_4)
	v_cndmask_b32_e64 v21, v21, v16, s4
	v_cmp_eq_u32_e32 vcc_lo, 6, v141
	v_cndmask_b32_e64 v18, v18, v4, s5
	v_cndmask_b32_e64 v19, v19, v8, s5
	;; [unrolled: 1-line block ×3, first 2 shown]
	v_cmp_eq_u32_e64 s4, 1, v142
	v_cmp_eq_u32_e64 s5, 7, v140
	s_delay_alu instid0(VALU_DEP_3) | instskip(NEXT) | instid1(VALU_DEP_3)
	v_cndmask_b32_e32 v20, v20, v4, vcc_lo
	v_cndmask_b32_e64 v1, v1, v10, s4
	v_cndmask_b32_e64 v5, v5, v14, s4
	v_cmp_eq_u32_e64 s4, 3, v139
	v_cndmask_b32_e64 v14, v23, v6, s7
	v_cmp_eq_u32_e64 s7, 3, v142
	v_cndmask_b32_e64 v1, v1, v2, s3
	v_cndmask_b32_e64 v2, v5, v6, s3
	;; [unrolled: 1-line block ×3, first 2 shown]
	v_cmp_eq_u32_e64 s3, 4, v139
	v_cndmask_b32_e64 v6, v14, v15, s4
	v_cndmask_b32_e64 v1, v1, v11, s7
	v_cmp_eq_u32_e64 s4, 4, v142
	v_cndmask_b32_e64 v2, v2, v15, s7
	v_cndmask_b32_e64 v5, v10, v3, s3
	;; [unrolled: 3-line block ×3, first 2 shown]
	v_cndmask_b32_e64 v2, v2, v7, s4
	v_cmp_eq_u32_e64 s3, 5, v142
	v_cndmask_b32_e64 v5, v5, v12, s7
	v_cndmask_b32_e64 v3, v6, v16, s7
	v_cmp_eq_u32_e64 s7, 6, v142
	v_cmp_eq_u32_e64 s4, 6, v139
	v_cndmask_b32_e64 v1, v1, v12, s3
	v_cndmask_b32_e64 v2, v2, v16, s3
	v_cmp_eq_u32_e64 s3, 7, v142
	v_cndmask_b32_e64 v18, v18, v13, s5
	v_cndmask_b32_e64 v5, v5, v4, s4
	;; [unrolled: 1-line block ×5, first 2 shown]
	v_cmp_eq_u32_e64 s4, 7, v139
	v_cndmask_b32_e32 v4, v21, v8, vcc_lo
	v_cndmask_b32_e64 v1, v1, v13, s3
	v_cndmask_b32_e64 v2, v2, v17, s3
	v_cmp_lt_u32_e32 vcc_lo, 31, v0
	v_cmp_lt_u32_e64 s3, 7, v137
	v_cndmask_b32_e64 v20, v20, v13, s6
	v_cndmask_b32_e64 v5, v5, v13, s4
	;; [unrolled: 1-line block ×5, first 2 shown]
	s_or_b32 s3, vcc_lo, s3
	v_perm_b32 v4, v2, v1, 0x5040100
	v_perm_b32 v3, v3, v5, 0x5040100
	;; [unrolled: 1-line block ×4, first 2 shown]
	s_or_b32 s2, s2, s3
	s_delay_alu instid0(SALU_CYCLE_1)
	s_xor_b32 s2, s2, -1
	ds_store_b128 v9, v[1:4]
	s_waitcnt lgkmcnt(0)
	s_barrier
	buffer_gl0_inv
	s_and_saveexec_b32 s3, s2
	s_cbranch_execz .LBB494_2
; %bb.110:
	s_load_b64 s[0:1], s[0:1], 0x68
	v_lshlrev_b32_e32 v1, 10, v0
	v_and_b32_e32 v0, 1, v0
	v_lshlrev_b32_e32 v2, 6, v138
	s_lshl_b32 s4, s36, 6
	v_lshlrev_b32_e32 v4, 4, v137
	v_and_b32_e32 v1, 0x3800, v1
	v_lshlrev_b32_e32 v0, 4, v0
	s_mul_i32 s2, s4, s34
	s_delay_alu instid0(SALU_CYCLE_1) | instskip(NEXT) | instid1(VALU_DEP_1)
	s_mul_i32 s2, s2, s37
	v_or3_b32 v0, v1, v2, v0
	s_ashr_i32 s3, s2, 31
	s_delay_alu instid0(SALU_CYCLE_1)
	s_lshl_b64 s[2:3], s[2:3], 1
	ds_load_b128 v[0:3], v0
	s_waitcnt lgkmcnt(0)
	s_add_u32 s5, s0, s2
	s_addc_u32 s3, s1, s3
	s_lshl_b32 s0, s14, 6
	s_mul_i32 s2, s4, s15
	s_ashr_i32 s1, s0, 31
	s_delay_alu instid0(SALU_CYCLE_1) | instskip(NEXT) | instid1(SALU_CYCLE_1)
	s_lshl_b64 s[0:1], s[0:1], 1
	s_add_u32 s4, s5, s0
	s_addc_u32 s5, s3, s1
	s_ashr_i32 s3, s2, 31
	s_delay_alu instid0(SALU_CYCLE_1) | instskip(NEXT) | instid1(SALU_CYCLE_1)
	s_lshl_b64 s[0:1], s[2:3], 1
	s_add_u32 s0, s4, s0
	s_addc_u32 s1, s5, s1
	global_store_b128 v4, v[0:3], s[0:1]
	s_nop 0
	s_sendmsg sendmsg(MSG_DEALLOC_VGPRS)
	s_endpgm
	.section	.rodata,"a",@progbits
	.p2align	6, 0x0
	.amdhsa_kernel _Z39paged_attention_ll4mi_QKV_mfma16_kernelI14__hip_bfloat16S0_LN4vllm18Fp8KVCacheDataTypeE0ES0_Li16ELi64ELi256ELb0ELi1EL8MFMAType0EEvPKT_PKT0_S9_ifPKiSB_SB_iPKfiiiPfSE_PS4_PT2_iSD_SD_
		.amdhsa_group_segment_fixed_size 17472
		.amdhsa_private_segment_fixed_size 0
		.amdhsa_kernarg_size 400
		.amdhsa_user_sgpr_count 13
		.amdhsa_user_sgpr_dispatch_ptr 0
		.amdhsa_user_sgpr_queue_ptr 0
		.amdhsa_user_sgpr_kernarg_segment_ptr 1
		.amdhsa_user_sgpr_dispatch_id 0
		.amdhsa_user_sgpr_private_segment_size 0
		.amdhsa_wavefront_size32 1
		.amdhsa_uses_dynamic_stack 0
		.amdhsa_enable_private_segment 0
		.amdhsa_system_sgpr_workgroup_id_x 1
		.amdhsa_system_sgpr_workgroup_id_y 1
		.amdhsa_system_sgpr_workgroup_id_z 1
		.amdhsa_system_sgpr_workgroup_info 0
		.amdhsa_system_vgpr_workitem_id 0
		.amdhsa_next_free_vgpr 193
		.amdhsa_next_free_sgpr 67
		.amdhsa_reserve_vcc 1
		.amdhsa_float_round_mode_32 0
		.amdhsa_float_round_mode_16_64 0
		.amdhsa_float_denorm_mode_32 3
		.amdhsa_float_denorm_mode_16_64 3
		.amdhsa_dx10_clamp 1
		.amdhsa_ieee_mode 1
		.amdhsa_fp16_overflow 0
		.amdhsa_workgroup_processor_mode 1
		.amdhsa_memory_ordered 1
		.amdhsa_forward_progress 0
		.amdhsa_shared_vgpr_count 0
		.amdhsa_exception_fp_ieee_invalid_op 0
		.amdhsa_exception_fp_denorm_src 0
		.amdhsa_exception_fp_ieee_div_zero 0
		.amdhsa_exception_fp_ieee_overflow 0
		.amdhsa_exception_fp_ieee_underflow 0
		.amdhsa_exception_fp_ieee_inexact 0
		.amdhsa_exception_int_div_zero 0
	.end_amdhsa_kernel
	.section	.text._Z39paged_attention_ll4mi_QKV_mfma16_kernelI14__hip_bfloat16S0_LN4vllm18Fp8KVCacheDataTypeE0ES0_Li16ELi64ELi256ELb0ELi1EL8MFMAType0EEvPKT_PKT0_S9_ifPKiSB_SB_iPKfiiiPfSE_PS4_PT2_iSD_SD_,"axG",@progbits,_Z39paged_attention_ll4mi_QKV_mfma16_kernelI14__hip_bfloat16S0_LN4vllm18Fp8KVCacheDataTypeE0ES0_Li16ELi64ELi256ELb0ELi1EL8MFMAType0EEvPKT_PKT0_S9_ifPKiSB_SB_iPKfiiiPfSE_PS4_PT2_iSD_SD_,comdat
.Lfunc_end494:
	.size	_Z39paged_attention_ll4mi_QKV_mfma16_kernelI14__hip_bfloat16S0_LN4vllm18Fp8KVCacheDataTypeE0ES0_Li16ELi64ELi256ELb0ELi1EL8MFMAType0EEvPKT_PKT0_S9_ifPKiSB_SB_iPKfiiiPfSE_PS4_PT2_iSD_SD_, .Lfunc_end494-_Z39paged_attention_ll4mi_QKV_mfma16_kernelI14__hip_bfloat16S0_LN4vllm18Fp8KVCacheDataTypeE0ES0_Li16ELi64ELi256ELb0ELi1EL8MFMAType0EEvPKT_PKT0_S9_ifPKiSB_SB_iPKfiiiPfSE_PS4_PT2_iSD_SD_
                                        ; -- End function
	.section	.AMDGPU.csdata,"",@progbits
; Kernel info:
; codeLenInByte = 9680
; NumSgprs: 69
; NumVgprs: 193
; ScratchSize: 0
; MemoryBound: 1
; FloatMode: 240
; IeeeMode: 1
; LDSByteSize: 17472 bytes/workgroup (compile time only)
; SGPRBlocks: 8
; VGPRBlocks: 24
; NumSGPRsForWavesPerEU: 69
; NumVGPRsForWavesPerEU: 193
; Occupancy: 7
; WaveLimiterHint : 1
; COMPUTE_PGM_RSRC2:SCRATCH_EN: 0
; COMPUTE_PGM_RSRC2:USER_SGPR: 13
; COMPUTE_PGM_RSRC2:TRAP_HANDLER: 0
; COMPUTE_PGM_RSRC2:TGID_X_EN: 1
; COMPUTE_PGM_RSRC2:TGID_Y_EN: 1
; COMPUTE_PGM_RSRC2:TGID_Z_EN: 1
; COMPUTE_PGM_RSRC2:TIDIG_COMP_CNT: 0
	.section	.text._Z39paged_attention_ll4mi_QKV_mfma16_kernelI14__hip_bfloat16S0_LN4vllm18Fp8KVCacheDataTypeE0ES0_Li16ELi64ELi256ELb0ELi2EL8MFMAType0EEvPKT_PKT0_S9_ifPKiSB_SB_iPKfiiiPfSE_PS4_PT2_iSD_SD_,"axG",@progbits,_Z39paged_attention_ll4mi_QKV_mfma16_kernelI14__hip_bfloat16S0_LN4vllm18Fp8KVCacheDataTypeE0ES0_Li16ELi64ELi256ELb0ELi2EL8MFMAType0EEvPKT_PKT0_S9_ifPKiSB_SB_iPKfiiiPfSE_PS4_PT2_iSD_SD_,comdat
	.protected	_Z39paged_attention_ll4mi_QKV_mfma16_kernelI14__hip_bfloat16S0_LN4vllm18Fp8KVCacheDataTypeE0ES0_Li16ELi64ELi256ELb0ELi2EL8MFMAType0EEvPKT_PKT0_S9_ifPKiSB_SB_iPKfiiiPfSE_PS4_PT2_iSD_SD_ ; -- Begin function _Z39paged_attention_ll4mi_QKV_mfma16_kernelI14__hip_bfloat16S0_LN4vllm18Fp8KVCacheDataTypeE0ES0_Li16ELi64ELi256ELb0ELi2EL8MFMAType0EEvPKT_PKT0_S9_ifPKiSB_SB_iPKfiiiPfSE_PS4_PT2_iSD_SD_
	.globl	_Z39paged_attention_ll4mi_QKV_mfma16_kernelI14__hip_bfloat16S0_LN4vllm18Fp8KVCacheDataTypeE0ES0_Li16ELi64ELi256ELb0ELi2EL8MFMAType0EEvPKT_PKT0_S9_ifPKiSB_SB_iPKfiiiPfSE_PS4_PT2_iSD_SD_
	.p2align	8
	.type	_Z39paged_attention_ll4mi_QKV_mfma16_kernelI14__hip_bfloat16S0_LN4vllm18Fp8KVCacheDataTypeE0ES0_Li16ELi64ELi256ELb0ELi2EL8MFMAType0EEvPKT_PKT0_S9_ifPKiSB_SB_iPKfiiiPfSE_PS4_PT2_iSD_SD_,@function
_Z39paged_attention_ll4mi_QKV_mfma16_kernelI14__hip_bfloat16S0_LN4vllm18Fp8KVCacheDataTypeE0ES0_Li16ELi64ELi256ELb0ELi2EL8MFMAType0EEvPKT_PKT0_S9_ifPKiSB_SB_iPKfiiiPfSE_PS4_PT2_iSD_SD_: ; @_Z39paged_attention_ll4mi_QKV_mfma16_kernelI14__hip_bfloat16S0_LN4vllm18Fp8KVCacheDataTypeE0ES0_Li16ELi64ELi256ELb0ELi2EL8MFMAType0EEvPKT_PKT0_S9_ifPKiSB_SB_iPKfiiiPfSE_PS4_PT2_iSD_SD_
; %bb.0:
	s_load_b64 s[2:3], s[0:1], 0x30
	s_mov_b32 s30, s13
	s_waitcnt lgkmcnt(0)
	s_cmp_lg_u64 s[2:3], 0
	s_cselect_b32 s8, -1, 0
	s_ashr_i32 s31, s13, 31
	s_cmp_eq_u64 s[2:3], 0
	s_cbranch_scc1 .LBB495_3
; %bb.1:
	s_lshl_b64 s[4:5], s[30:31], 2
	s_delay_alu instid0(SALU_CYCLE_1) | instskip(SKIP_4) | instid1(SALU_CYCLE_1)
	s_add_u32 s4, s2, s4
	s_addc_u32 s5, s3, s5
	s_load_b64 s[4:5], s[4:5], 0x0
	s_waitcnt lgkmcnt(0)
	s_sub_i32 s4, s5, s4
	s_cmp_eq_u32 s4, 1
	s_cselect_b32 s4, -1, 0
	s_delay_alu instid0(SALU_CYCLE_1)
	s_and_not1_b32 vcc_lo, exec_lo, s4
	s_cbranch_vccz .LBB495_4
.LBB495_2:
	s_endpgm
.LBB495_3:
.LBB495_4:
	s_load_b64 s[4:5], s[0:1], 0x28
	s_lshl_b64 s[6:7], s[30:31], 2
	s_waitcnt lgkmcnt(0)
	s_add_u32 s4, s4, s6
	s_addc_u32 s5, s5, s7
	s_lshl_b32 s33, s14, 8
	s_load_b32 s28, s[4:5], 0x0
	s_waitcnt lgkmcnt(0)
	s_cmp_ge_i32 s33, s28
	s_cbranch_scc1 .LBB495_2
; %bb.5:
	s_clause 0x1
	s_load_b128 s[20:23], s[0:1], 0x8
	s_load_b64 s[4:5], s[0:1], 0x20
	s_and_not1_b32 vcc_lo, exec_lo, s8
	s_cbranch_vccnz .LBB495_7
; %bb.6:
	s_add_u32 s2, s2, s6
	s_addc_u32 s3, s3, s7
	s_load_b32 s3, s[2:3], 0x0
	s_branch .LBB495_8
.LBB495_7:
	s_mov_b32 s3, s30
.LBB495_8:
	s_load_b128 s[16:19], s[0:1], 0x48
	v_and_b32_e32 v142, 15, v0
	v_bfe_u32 v141, v0, 4, 1
	s_lshl_b32 s31, s15, 1
	v_cmp_gt_u32_e32 vcc_lo, 32, v0
	v_and_b32_e32 v143, 31, v0
	v_lshlrev_b32_e32 v1, 3, v142
	v_cmp_gt_u32_e64 s2, 8, v142
	v_and_b32_e32 v140, 1, v0
	v_or_b32_e32 v139, s31, v141
	v_lshlrev_b32_e32 v138, 6, v141
	v_lshlrev_b32_e32 v137, 1, v1
	s_and_b32 s29, vcc_lo, s2
	s_delay_alu instid0(SALU_CYCLE_1)
	s_and_saveexec_b32 s2, s29
	s_cbranch_execz .LBB495_10
; %bb.9:
	s_load_b64 s[6:7], s[0:1], 0x0
	v_lshlrev_b32_e32 v1, 6, v139
	s_waitcnt lgkmcnt(0)
	s_mul_hi_i32 s9, s3, s16
	s_mul_i32 s8, s3, s16
	v_lshlrev_b32_e32 v5, 10, v142
	s_lshl_b64 s[8:9], s[8:9], 1
	v_ashrrev_i32_e32 v2, 31, v1
	v_lshlrev_b32_e32 v6, 10, v140
	s_delay_alu instid0(VALU_DEP_3) | instskip(NEXT) | instid1(VALU_DEP_3)
	v_and_b32_e32 v5, 0x3800, v5
	v_lshlrev_b64 v[1:2], 1, v[1:2]
	s_delay_alu instid0(VALU_DEP_2) | instskip(SKIP_2) | instid1(VALU_DEP_2)
	v_or3_b32 v5, v5, v6, v138
	s_add_u32 s3, s6, s8
	s_addc_u32 s6, s7, s9
	v_add_co_u32 v1, vcc_lo, s3, v1
	s_delay_alu instid0(VALU_DEP_3) | instskip(NEXT) | instid1(VALU_DEP_2)
	v_add_co_ci_u32_e32 v2, vcc_lo, s6, v2, vcc_lo
	v_add_co_u32 v1, vcc_lo, v1, v137
	s_delay_alu instid0(VALU_DEP_2)
	v_add_co_ci_u32_e32 v2, vcc_lo, 0, v2, vcc_lo
	global_load_b128 v[1:4], v[1:2], off
	s_waitcnt vmcnt(0)
	ds_store_b128 v5, v[1:4]
.LBB495_10:
	s_or_b32 exec_lo, exec_lo, s2
	v_and_b32_e32 v1, 0xef, v0
	s_waitcnt lgkmcnt(0)
	s_add_i32 s3, s28, 15
	s_clause 0x1
	s_load_b32 s2, s[0:1], 0x38
	s_load_b32 s34, s[0:1], 0x1c
	s_ashr_i32 s6, s3, 31
	v_add_nc_u32_e32 v1, s33, v1
	s_lshr_b32 s6, s6, 28
	s_waitcnt lgkmcnt(0)
	s_add_i32 s3, s3, s6
	s_barrier
	v_ashrrev_i32_e32 v2, 31, v1
	v_cmp_gt_i32_e32 vcc_lo, s28, v1
	s_ashr_i32 s16, s3, 4
	buffer_gl0_inv
	s_add_i32 s16, s16, -1
	v_lshrrev_b32_e32 v3, 28, v2
	v_or_b32_e32 v2, 16, v1
	v_lshlrev_b32_e32 v145, 6, v140
	v_lshrrev_b32_e32 v144, 5, v0
	v_lshlrev_b32_e32 v49, 5, v142
	v_add_nc_u32_e32 v4, v1, v3
	v_add_nc_u32_e32 v3, v2, v3
	s_mul_i32 s2, s30, s2
	s_delay_alu instid0(SALU_CYCLE_1) | instskip(NEXT) | instid1(VALU_DEP_2)
	s_ashr_i32 s3, s2, 31
	v_ashrrev_i32_e32 v4, 4, v4
	s_delay_alu instid0(VALU_DEP_2)
	v_ashrrev_i32_e32 v3, 4, v3
	s_lshl_b64 s[2:3], s[2:3], 2
	v_lshl_or_b32 v49, v144, 9, v49
	s_add_u32 s35, s4, s2
	v_cndmask_b32_e32 v1, s16, v4, vcc_lo
	v_cmp_gt_i32_e32 vcc_lo, s28, v2
	s_addc_u32 s36, s5, s3
	s_mul_i32 s2, s15, s18
	s_delay_alu instid0(SALU_CYCLE_1) | instskip(SKIP_3) | instid1(SALU_CYCLE_1)
	s_ashr_i32 s3, s2, 31
	v_cndmask_b32_e32 v3, s16, v3, vcc_lo
	v_ashrrev_i32_e32 v2, 31, v1
	s_lshl_b64 s[2:3], s[2:3], 1
	s_add_u32 s24, s20, s2
	s_delay_alu instid0(VALU_DEP_2) | instskip(NEXT) | instid1(VALU_DEP_2)
	v_ashrrev_i32_e32 v4, 31, v3
	v_lshlrev_b64 v[1:2], 2, v[1:2]
	s_addc_u32 s25, s21, s3
	s_lshl_b32 s4, s14, 4
	s_delay_alu instid0(VALU_DEP_2) | instskip(SKIP_1) | instid1(VALU_DEP_2)
	v_lshlrev_b64 v[3:4], 2, v[3:4]
	s_ashr_i32 s5, s4, 31
	v_add_co_u32 v1, vcc_lo, s35, v1
	v_add_co_ci_u32_e32 v2, vcc_lo, s36, v2, vcc_lo
	s_delay_alu instid0(VALU_DEP_3) | instskip(NEXT) | instid1(VALU_DEP_4)
	v_add_co_u32 v3, vcc_lo, s35, v3
	v_add_co_ci_u32_e32 v4, vcc_lo, s36, v4, vcc_lo
	s_lshl_b64 s[4:5], s[4:5], 2
	s_clause 0x1
	global_load_b32 v5, v[1:2], off
	global_load_b32 v6, v[3:4], off
	s_add_u32 s4, s35, s4
	s_addc_u32 s5, s36, s5
	s_or_b32 s6, s33, 16
	v_lshlrev_b32_e32 v3, 4, v0
	s_ashr_i32 s7, s6, 4
	s_cmp_lt_i32 s6, s28
	s_cselect_b32 s6, s7, s16
	s_delay_alu instid0(SALU_CYCLE_1) | instskip(NEXT) | instid1(SALU_CYCLE_1)
	s_ashr_i32 s7, s6, 31
	s_lshl_b64 s[6:7], s[6:7], 2
	s_delay_alu instid0(SALU_CYCLE_1) | instskip(SKIP_2) | instid1(SALU_CYCLE_1)
	s_add_u32 s6, s35, s6
	s_addc_u32 s7, s36, s7
	s_or_b32 s8, s33, 32
	s_ashr_i32 s9, s8, 4
	s_cmp_lt_i32 s8, s28
	s_cselect_b32 s8, s9, s16
	s_delay_alu instid0(SALU_CYCLE_1) | instskip(NEXT) | instid1(SALU_CYCLE_1)
	s_ashr_i32 s9, s8, 31
	s_lshl_b64 s[8:9], s[8:9], 2
	s_delay_alu instid0(SALU_CYCLE_1) | instskip(SKIP_2) | instid1(SALU_CYCLE_1)
	s_add_u32 s8, s35, s8
	s_addc_u32 s9, s36, s9
	s_or_b32 s10, s33, 48
	;; [unrolled: 10-line block ×4, first 2 shown]
	s_ashr_i32 s13, s12, 4
	s_cmp_lt_i32 s12, s28
	s_cselect_b32 s12, s13, s16
	s_delay_alu instid0(SALU_CYCLE_1) | instskip(NEXT) | instid1(SALU_CYCLE_1)
	s_ashr_i32 s13, s12, 31
	s_lshl_b64 s[12:13], s[12:13], 2
	s_delay_alu instid0(SALU_CYCLE_1)
	s_add_u32 s20, s35, s12
	s_addc_u32 s21, s36, s13
	s_clause 0x5
	s_load_b32 s37, s[4:5], 0x0
	s_load_b32 s27, s[6:7], 0x0
	s_load_b32 s26, s[8:9], 0x0
	s_load_b32 s13, s[10:11], 0x0
	s_load_b32 s12, s[18:19], 0x0
	s_load_b32 s15, s[20:21], 0x0
	s_waitcnt vmcnt(1)
	v_mad_i64_i32 v[1:2], null, v5, s17, 0
	v_and_b32_e32 v5, 0xf0, v3
	s_waitcnt vmcnt(0)
	v_mad_i64_i32 v[3:4], null, v6, s17, 0
	s_delay_alu instid0(VALU_DEP_2) | instskip(NEXT) | instid1(VALU_DEP_4)
	v_add_co_u32 v5, s4, s24, v5
	v_lshlrev_b64 v[1:2], 1, v[1:2]
	v_add_co_ci_u32_e64 v6, null, s25, 0, s4
	s_delay_alu instid0(VALU_DEP_4) | instskip(SKIP_1) | instid1(VALU_DEP_3)
	v_lshlrev_b64 v[3:4], 1, v[3:4]
	s_or_b32 s4, s33, 0x60
	v_add_co_u32 v41, vcc_lo, v5, v1
	s_delay_alu instid0(VALU_DEP_3) | instskip(NEXT) | instid1(VALU_DEP_3)
	v_add_co_ci_u32_e32 v42, vcc_lo, v6, v2, vcc_lo
	v_add_co_u32 v43, vcc_lo, v5, v3
	s_delay_alu instid0(VALU_DEP_4)
	v_add_co_ci_u32_e32 v44, vcc_lo, v6, v4, vcc_lo
	s_clause 0xf
	global_load_b128 v[17:20], v[41:42], off
	global_load_b128 v[21:24], v[41:42], off offset:256
	global_load_b128 v[33:36], v[43:44], off
	global_load_b128 v[37:40], v[43:44], off offset:256
	global_load_b128 v[1:4], v[41:42], off offset:512
	;; [unrolled: 1-line block ×13, first 2 shown]
	s_ashr_i32 s5, s4, 4
	s_cmp_lt_i32 s4, s28
	ds_load_b128 v[41:44], v145
	ds_load_b128 v[45:48], v145 offset:1024
	s_cselect_b32 s4, s5, s16
	ds_load_b128 v[170:173], v145 offset:2048
	ds_load_b128 v[174:177], v145 offset:3072
	s_ashr_i32 s5, s4, 31
	ds_load_b128 v[178:181], v145 offset:4096
	ds_load_b128 v[182:185], v145 offset:5120
	s_lshl_b64 s[4:5], s[4:5], 2
	s_delay_alu instid0(SALU_CYCLE_1) | instskip(SKIP_2) | instid1(SALU_CYCLE_1)
	s_add_u32 s18, s35, s4
	s_addc_u32 s19, s36, s5
	s_or_b32 s4, s33, 0x70
	s_ashr_i32 s5, s4, 4
	s_cmp_lt_i32 s4, s28
	s_cselect_b32 s4, s5, s16
	s_delay_alu instid0(SALU_CYCLE_1) | instskip(NEXT) | instid1(SALU_CYCLE_1)
	s_ashr_i32 s5, s4, 31
	s_lshl_b64 s[6:7], s[4:5], 2
	s_mov_b32 s4, 0
	s_add_u32 s20, s35, s6
	s_addc_u32 s21, s36, s7
	s_or_b32 s5, s33, 0x80
	s_mov_b32 s11, s4
	s_ashr_i32 s6, s5, 4
	s_cmp_lt_i32 s5, s28
	s_mov_b32 s5, s4
	s_cselect_b32 s6, s6, s16
	s_mov_b32 s10, s4
	s_ashr_i32 s7, s6, 31
	s_load_b32 s46, s[20:21], 0x0
	s_lshl_b64 s[8:9], s[6:7], 2
	s_mov_b32 s6, s4
	s_add_u32 s24, s35, s8
	s_addc_u32 s25, s36, s9
	s_or_b32 s8, s33, 0x90
	s_load_b32 s47, s[24:25], 0x0
	s_ashr_i32 s9, s8, 4
	s_cmp_lt_i32 s8, s28
	s_mov_b32 s7, s4
	s_cselect_b32 s38, s9, s16
	s_mov_b32 s8, s4
	s_ashr_i32 s39, s38, 31
	s_mov_b32 s9, s4
	s_lshl_b64 s[38:39], s[38:39], 2
	v_mov_b32_e32 v136, s11
	s_add_u32 s38, s35, s38
	s_addc_u32 s39, s36, s39
	s_or_b32 s40, s33, 0xa0
	v_mov_b32_e32 v135, s10
	s_ashr_i32 s41, s40, 4
	s_cmp_lt_i32 s40, s28
	s_load_b32 s40, s[38:39], 0x0
	v_dual_mov_b32 v134, s9 :: v_dual_mov_b32 v133, s8
	v_dual_mov_b32 v132, s7 :: v_dual_mov_b32 v131, s6
	;; [unrolled: 1-line block ×3, first 2 shown]
	s_cselect_b32 s4, s41, s16
	s_waitcnt lgkmcnt(0)
	s_mul_hi_i32 s7, s27, s17
	s_ashr_i32 s5, s4, 31
	s_load_b32 s41, s[18:19], 0x0
	s_lshl_b64 s[4:5], s[4:5], 2
	s_mul_hi_i32 s19, s15, s17
	s_add_u32 s42, s35, s4
	s_addc_u32 s43, s36, s5
	s_or_b32 s4, s33, 0xb0
	s_mul_hi_i32 s5, s37, s17
	s_ashr_i32 s6, s4, 4
	s_cmp_lt_i32 s4, s28
	s_mul_i32 s4, s37, s17
	s_cselect_b32 s8, s6, s16
	s_mul_i32 s6, s27, s17
	s_ashr_i32 s9, s8, 31
	s_load_b32 s39, s[42:43], 0x0
	s_lshl_b64 s[8:9], s[8:9], 2
	s_mul_hi_i32 s25, s46, s17
	s_add_u32 s44, s35, s8
	s_addc_u32 s45, s36, s9
	s_or_b32 s8, s33, 0xc0
	s_mul_hi_i32 s9, s26, s17
	s_ashr_i32 s10, s8, 4
	s_cmp_lt_i32 s8, s28
	s_mul_i32 s8, s26, s17
	s_cselect_b32 s26, s10, s16
	s_mul_i32 s24, s46, s17
	s_ashr_i32 s27, s26, 31
	s_mul_hi_i32 s11, s13, s17
	s_lshl_b64 s[26:27], s[26:27], 2
	s_mul_i32 s10, s13, s17
	s_add_u32 s26, s35, s26
	s_addc_u32 s27, s36, s27
	s_or_b32 s37, s33, 0xd0
	s_mul_hi_i32 s13, s12, s17
	s_ashr_i32 s18, s37, 4
	s_cmp_lt_i32 s37, s28
	s_mul_i32 s12, s12, s17
	s_cselect_b32 s20, s18, s16
	s_mul_i32 s18, s15, s17
	s_ashr_i32 s21, s20, 31
	s_delay_alu instid0(SALU_CYCLE_1) | instskip(NEXT) | instid1(SALU_CYCLE_1)
	s_lshl_b64 s[20:21], s[20:21], 2
	s_add_u32 s20, s35, s20
	s_addc_u32 s21, s36, s21
	s_or_b32 s42, s33, 0xe0
	s_clause 0x2
	s_load_b32 s38, s[44:45], 0x0
	s_load_b32 s37, s[26:27], 0x0
	s_load_b32 s15, s[20:21], 0x0
	s_ashr_i32 s43, s42, 4
	s_cmp_lt_i32 s42, s28
	s_mul_hi_i32 s27, s47, s17
	s_cselect_b32 s42, s43, s16
	s_mul_i32 s26, s47, s17
	s_ashr_i32 s43, s42, 31
	s_waitcnt lgkmcnt(0)
	s_mul_hi_i32 s21, s41, s17
	s_lshl_b64 s[42:43], s[42:43], 2
	s_mul_i32 s20, s41, s17
	s_add_u32 s42, s35, s42
	s_addc_u32 s43, s36, s43
	s_or_b32 s46, s33, 0xf0
	s_mul_hi_i32 s41, s40, s17
	s_ashr_i32 s47, s46, 4
	s_cmp_lt_i32 s46, s28
	s_mul_i32 s40, s40, s17
	s_cselect_b32 s46, s47, s16
	s_mul_hi_i32 s45, s39, s17
	s_ashr_i32 s47, s46, 31
	s_mul_hi_i32 s51, s15, s17
	s_lshl_b64 s[46:47], s[46:47], 2
	s_mul_i32 s50, s15, s17
	s_add_u32 s46, s35, s46
	s_addc_u32 s47, s36, s47
	s_add_u32 s15, s22, s2
	s_addc_u32 s16, s23, s3
	v_add_co_u32 v200, s15, s15, v49
	s_delay_alu instid0(VALU_DEP_1) | instskip(SKIP_2) | instid1(VALU_DEP_2)
	v_add_co_ci_u32_e64 v201, null, s16, 0, s15
	s_lshl_b64 s[2:3], s[4:5], 1
	s_lshl_b64 s[4:5], s[6:7], 1
	v_add_co_u32 v49, vcc_lo, v200, s2
	s_delay_alu instid0(VALU_DEP_2)
	v_add_co_ci_u32_e32 v50, vcc_lo, s3, v201, vcc_lo
	v_add_co_u32 v51, vcc_lo, v200, s4
	s_lshl_b64 s[6:7], s[8:9], 1
	v_add_co_ci_u32_e32 v52, vcc_lo, s5, v201, vcc_lo
	v_add_co_u32 v53, vcc_lo, v200, s6
	s_lshl_b64 s[8:9], s[10:11], 1
	;; [unrolled: 3-line block ×7, first 2 shown]
	v_add_co_ci_u32_e32 v64, vcc_lo, s21, v201, vcc_lo
	s_clause 0x1
	s_load_b32 s15, s[42:43], 0x0
	s_load_b32 s16, s[46:47], 0x0
	v_add_co_u32 v69, vcc_lo, v200, s22
	s_lshl_b64 s[24:25], s[40:41], 1
	s_mul_i32 s44, s39, s17
	v_add_co_ci_u32_e32 v70, vcc_lo, s23, v201, vcc_lo
	v_add_co_u32 v194, vcc_lo, v200, s24
	s_lshl_b64 s[26:27], s[44:45], 1
	s_mul_hi_i32 s39, s38, s17
	s_mul_i32 s38, s38, s17
	v_add_co_ci_u32_e32 v195, vcc_lo, s25, v201, vcc_lo
	v_add_co_u32 v196, vcc_lo, v200, s26
	s_mul_hi_i32 s49, s37, s17
	s_mul_i32 s48, s37, s17
	s_lshl_b64 s[36:37], s[38:39], 1
	v_add_co_ci_u32_e32 v197, vcc_lo, s27, v201, vcc_lo
	v_add_co_u32 v198, vcc_lo, v200, s36
	s_lshl_b64 s[38:39], s[48:49], 1
	v_add_co_ci_u32_e32 v199, vcc_lo, s37, v201, vcc_lo
	s_lshl_b64 s[2:3], s[50:51], 1
	s_clause 0x11
	global_load_b128 v[121:124], v[49:50], off
	global_load_b128 v[125:128], v[49:50], off offset:16
	global_load_b128 v[113:116], v[51:52], off
	global_load_b128 v[117:120], v[51:52], off offset:16
	;; [unrolled: 2-line block ×9, first 2 shown]
	s_waitcnt lgkmcnt(0)
	s_mul_hi_i32 s5, s15, s17
	s_mul_i32 s4, s15, s17
	s_waitcnt vmcnt(32)
	v_wmma_f32_16x16x16_bf16 v[186:193], v[17:24], v[41:48], v[129:136]
	s_waitcnt vmcnt(30)
	v_wmma_f32_16x16x16_bf16 v[129:136], v[33:40], v[41:48], v[129:136]
	v_add_co_u32 v33, vcc_lo, v200, s38
	v_add_co_ci_u32_e32 v34, vcc_lo, s39, v201, vcc_lo
	s_clause 0x5
	global_load_b128 v[49:52], v[194:195], off
	global_load_b128 v[53:56], v[194:195], off offset:16
	global_load_b128 v[41:44], v[196:197], off
	global_load_b128 v[45:48], v[196:197], off offset:16
	;; [unrolled: 2-line block ×3, first 2 shown]
	s_waitcnt vmcnt(34)
	v_wmma_f32_16x16x16_bf16 v[186:193], v[1:8], v[170:177], v[186:193]
	s_clause 0x1
	global_load_b128 v[1:4], v[33:34], off
	global_load_b128 v[5:8], v[33:34], off offset:16
	v_add_co_u32 v33, vcc_lo, v200, s2
	v_add_co_ci_u32_e32 v34, vcc_lo, s3, v201, vcc_lo
	s_lshl_b64 s[2:3], s[4:5], 1
	s_mul_hi_i32 s5, s16, s17
	s_mul_i32 s4, s16, s17
	v_add_co_u32 v37, vcc_lo, v200, s2
	v_add_co_ci_u32_e32 v38, vcc_lo, s3, v201, vcc_lo
	s_lshl_b64 s[2:3], s[4:5], 1
	s_waitcnt vmcnt(34)
	v_wmma_f32_16x16x16_bf16 v[129:136], v[25:32], v[170:177], v[129:136]
	v_add_co_u32 v170, vcc_lo, v200, s2
	v_add_co_ci_u32_e32 v171, vcc_lo, s3, v201, vcc_lo
	s_clause 0x3
	global_load_b128 v[25:28], v[33:34], off
	global_load_b128 v[29:32], v[33:34], off offset:16
	global_load_b128 v[33:36], v[37:38], off
	global_load_b128 v[37:40], v[37:38], off offset:16
	s_waitcnt vmcnt(36)
	v_wmma_f32_16x16x16_bf16 v[186:193], v[9:16], v[178:185], v[186:193]
	s_clause 0x1
	global_load_b128 v[9:12], v[170:171], off
	global_load_b128 v[13:16], v[170:171], off offset:16
	s_waitcnt vmcnt(36)
	v_wmma_f32_16x16x16_bf16 v[129:136], v[146:153], v[178:185], v[129:136]
	ds_load_b128 v[146:149], v145 offset:6144
	ds_load_b128 v[150:153], v145 offset:7168
	v_and_b32_e32 v170, 0xe0, v0
	v_mbcnt_lo_u32_b32 v171, -1, 0
	s_waitcnt vmcnt(0) lgkmcnt(0)
	s_barrier
	buffer_gl0_inv
	v_add_nc_u32_e32 v170, s33, v170
	v_xor_b32_e32 v145, 16, v171
	s_delay_alu instid0(VALU_DEP_2) | instskip(NEXT) | instid1(VALU_DEP_2)
	v_or_b32_e32 v170, v170, v141
	v_cmp_gt_i32_e32 vcc_lo, 32, v145
	s_delay_alu instid0(VALU_DEP_2)
	v_or_b32_e32 v172, 4, v170
	v_or_b32_e32 v173, 6, v170
	;; [unrolled: 1-line block ×4, first 2 shown]
	v_wmma_f32_16x16x16_bf16 v[186:193], v[154:161], v[146:153], v[186:193]
	v_wmma_f32_16x16x16_bf16 v[129:136], v[162:169], v[146:153], v[129:136]
	v_cndmask_b32_e32 v145, v171, v145, vcc_lo
	v_or_b32_e32 v171, 2, v170
	v_cmp_gt_i32_e32 vcc_lo, s28, v170
	v_mul_f32_e32 v152, s34, v187
	v_dual_mul_f32 v158, s34, v135 :: v_dual_mul_f32 v153, s34, v186
	s_delay_alu instid0(VALU_DEP_4) | instskip(SKIP_2) | instid1(VALU_DEP_4)
	v_cmp_gt_i32_e64 s2, s28, v171
	v_dual_mul_f32 v150, s34, v189 :: v_dual_mul_f32 v151, s34, v188
	v_mul_f32_e32 v164, s34, v129
	v_cndmask_b32_e32 v153, 0xff7fffff, v153, vcc_lo
	s_delay_alu instid0(VALU_DEP_4)
	v_cndmask_b32_e64 v152, 0xff7fffff, v152, s2
	v_cmp_gt_i32_e64 s3, s28, v172
	v_cmp_gt_i32_e64 s4, s28, v173
	v_or_b32_e32 v176, 12, v170
	v_or_b32_e32 v177, 14, v170
	v_dual_mul_f32 v148, s34, v191 :: v_dual_mul_f32 v149, s34, v190
	v_mul_f32_e32 v162, s34, v131
	v_cndmask_b32_e64 v151, 0xff7fffff, v151, s3
	v_cndmask_b32_e64 v150, 0xff7fffff, v150, s4
	v_max3_f32 v152, v153, 0xff7fffff, v152
	v_cmp_gt_i32_e64 s5, s28, v174
	v_cmp_gt_i32_e64 s6, s28, v175
	v_or_b32_e32 v178, 16, v170
	v_or_b32_e32 v179, 18, v170
	v_dual_mul_f32 v146, s34, v193 :: v_dual_mul_f32 v147, s34, v192
	v_mul_f32_e32 v160, s34, v133
	v_cndmask_b32_e64 v149, 0xff7fffff, v149, s5
	v_cndmask_b32_e64 v148, 0xff7fffff, v148, s6
	v_max3_f32 v150, v152, v151, v150
	v_cmp_gt_i32_e64 s7, s28, v176
	v_cmp_gt_i32_e64 s8, s28, v177
	v_or_b32_e32 v180, 20, v170
	v_or_b32_e32 v181, 22, v170
	v_mul_f32_e32 v163, s34, v130
	v_cndmask_b32_e64 v147, 0xff7fffff, v147, s7
	v_cndmask_b32_e64 v146, 0xff7fffff, v146, s8
	v_max3_f32 v148, v150, v149, v148
	v_cmp_gt_i32_e64 s9, s28, v178
	v_cmp_gt_i32_e64 s10, s28, v179
	v_or_b32_e32 v182, 24, v170
	v_or_b32_e32 v154, 26, v170
	;; [unrolled: 8-line block ×3, first 2 shown]
	v_mul_f32_e32 v159, s34, v134
	v_cndmask_b32_e64 v147, 0xff7fffff, v162, s11
	v_cndmask_b32_e64 v148, 0xff7fffff, v161, s12
	v_max3_f32 v146, v146, v149, v150
	v_cmp_gt_i32_e64 s13, s28, v182
	v_cmp_gt_i32_e64 s15, s28, v154
	v_mul_f32_e32 v157, s34, v136
	v_cmp_gt_i32_e64 s16, s28, v155
	v_max3_f32 v146, v146, v147, v148
	v_cndmask_b32_e64 v149, 0xff7fffff, v160, s13
	v_cndmask_b32_e64 v150, 0xff7fffff, v159, s15
	v_cmp_gt_i32_e64 s17, s28, v156
	v_cndmask_b32_e64 v147, 0xff7fffff, v158, s16
	v_lshlrev_b32_e32 v156, 2, v145
	s_delay_alu instid0(VALU_DEP_4) | instskip(NEXT) | instid1(VALU_DEP_4)
	v_max3_f32 v146, v146, v149, v150
	v_cndmask_b32_e64 v148, 0xff7fffff, v157, s17
	s_delay_alu instid0(VALU_DEP_1) | instskip(SKIP_3) | instid1(VALU_DEP_1)
	v_max3_f32 v145, v146, v147, v148
	ds_bpermute_b32 v146, v156, v145
	s_waitcnt lgkmcnt(0)
	v_max_f32_e32 v146, v146, v146
	v_max_f32_e32 v155, v145, v146
	s_delay_alu instid0(VALU_DEP_1) | instskip(NEXT) | instid1(VALU_DEP_1)
	v_fma_f32 v152, s34, v192, -v155
	v_mul_f32_e32 v152, 0x3fb8aa3b, v152
	v_fma_f32 v149, s34, v190, -v155
	v_fma_f32 v145, s34, v186, -v155
	;; [unrolled: 1-line block ×4, first 2 shown]
	v_exp_f32_e32 v154, v152
	v_mul_f32_e32 v149, 0x3fb8aa3b, v149
	v_fma_f32 v130, s34, v130, -v155
	v_mul_f32_e32 v146, 0x3fb8aa3b, v146
	v_mul_f32_e32 v148, 0x3fb8aa3b, v148
	v_fma_f32 v147, s34, v188, -v155
	v_exp_f32_e32 v153, v149
	v_mul_f32_e32 v130, 0x3fb8aa3b, v130
	v_exp_f32_e32 v146, v146
	v_exp_f32_e32 v151, v148
	v_fma_f32 v150, s34, v191, -v155
	v_fma_f32 v129, s34, v129, -v155
	;; [unrolled: 1-line block ×4, first 2 shown]
	v_exp_f32_e32 v130, v130
	v_mul_f32_e32 v150, 0x3fb8aa3b, v150
	v_cndmask_b32_e64 v152, 0, v153, s5
	v_mul_f32_e32 v145, 0x3fb8aa3b, v145
	v_cndmask_b32_e64 v148, 0, v146, s2
	v_cndmask_b32_e64 v151, 0, v151, s4
	v_exp_f32_e32 v150, v150
	v_dual_mul_f32 v129, 0x3fb8aa3b, v129 :: v_dual_mul_f32 v132, 0x3fb8aa3b, v132
	v_exp_f32_e32 v145, v145
	v_fma_f32 v134, s34, v134, -v155
	v_mul_f32_e32 v131, 0x3fb8aa3b, v131
	s_delay_alu instid0(VALU_DEP_3) | instskip(SKIP_3) | instid1(TRANS32_DEP_3)
	v_exp_f32_e32 v129, v129
	v_fma_f32 v133, s34, v133, -v155
	v_fma_f32 v136, s34, v136, -v155
	v_mul_f32_e32 v134, 0x3fb8aa3b, v134
	v_cndmask_b32_e64 v153, 0, v150, s6
	v_cndmask_b32_e64 v150, 0, v154, s7
	s_mov_b32 s2, exec_lo
	v_cndmask_b32_e32 v145, 0, v145, vcc_lo
	s_delay_alu instid0(VALU_DEP_1) | instskip(NEXT) | instid1(VALU_DEP_1)
	v_add_f32_e32 v146, 0, v145
	v_dual_add_f32 v146, v146, v148 :: v_dual_mul_f32 v147, 0x3fb8aa3b, v147
	s_delay_alu instid0(VALU_DEP_1) | instskip(SKIP_3) | instid1(VALU_DEP_2)
	v_exp_f32_e32 v147, v147
	s_waitcnt_depctr 0xfff
	v_cndmask_b32_e64 v149, 0, v147, s3
	v_fma_f32 v147, s34, v193, -v155
	v_add_f32_e32 v146, v146, v149
	s_delay_alu instid0(VALU_DEP_1) | instskip(NEXT) | instid1(VALU_DEP_1)
	v_add_f32_e32 v146, v146, v151
	v_dual_add_f32 v146, v146, v152 :: v_dual_mul_f32 v147, 0x3fb8aa3b, v147
	s_delay_alu instid0(VALU_DEP_1) | instskip(NEXT) | instid1(VALU_DEP_2)
	v_add_f32_e32 v146, v146, v153
	v_exp_f32_e32 v147, v147
	s_delay_alu instid0(VALU_DEP_1) | instskip(SKIP_4) | instid1(VALU_DEP_2)
	v_add_f32_e32 v146, v146, v150
	s_waitcnt_depctr 0xfff
	v_cndmask_b32_e64 v154, 0, v147, s8
	v_exp_f32_e32 v147, v131
	v_cndmask_b32_e64 v131, 0, v129, s9
	v_add_f32_e32 v129, v146, v154
	v_exp_f32_e32 v146, v132
	v_cndmask_b32_e64 v132, 0, v130, s10
	v_fma_f32 v130, s34, v135, -v155
	s_delay_alu instid0(VALU_DEP_1) | instskip(NEXT) | instid1(VALU_DEP_1)
	v_dual_mul_f32 v133, 0x3fb8aa3b, v133 :: v_dual_mul_f32 v130, 0x3fb8aa3b, v130
	v_exp_f32_e32 v135, v133
	s_delay_alu instid0(TRANS32_DEP_3) | instskip(SKIP_1) | instid1(TRANS32_DEP_3)
	v_cndmask_b32_e64 v133, 0, v147, s11
	v_exp_f32_e32 v147, v134
	v_cndmask_b32_e64 v134, 0, v146, s12
	v_dual_mul_f32 v146, 0x3fb8aa3b, v136 :: v_dual_add_f32 v129, v129, v131
	v_exp_f32_e32 v130, v130
	s_delay_alu instid0(VALU_DEP_1) | instskip(NEXT) | instid1(TRANS32_DEP_3)
	v_add_f32_e32 v129, v129, v132
	v_cndmask_b32_e64 v135, 0, v135, s13
	s_waitcnt_depctr 0xfff
	v_cndmask_b32_e64 v136, 0, v147, s15
	v_exp_f32_e32 v147, v146
	v_add_f32_e32 v129, v129, v133
	v_cndmask_b32_e64 v146, 0, v130, s16
	s_delay_alu instid0(VALU_DEP_2) | instskip(SKIP_3) | instid1(VALU_DEP_1)
	v_add_f32_e32 v129, v129, v134
	s_waitcnt_depctr 0xfff
	v_cndmask_b32_e64 v147, 0, v147, s17
	v_add_f32_e32 v129, v129, v135
	v_add_f32_e32 v129, v129, v136
	s_delay_alu instid0(VALU_DEP_1) | instskip(NEXT) | instid1(VALU_DEP_1)
	v_add_f32_e32 v129, v129, v146
	v_add_f32_e32 v129, v129, v147
	ds_bpermute_b32 v130, v156, v129
	v_cmpx_gt_u32_e32 16, v143
	s_cbranch_execz .LBB495_12
; %bb.11:
	v_mul_u32_u24_e32 v143, 0x44, v144
	s_delay_alu instid0(VALU_DEP_1) | instskip(SKIP_1) | instid1(VALU_DEP_1)
	v_lshl_add_u32 v143, v142, 2, v143
	s_waitcnt lgkmcnt(0)
	v_dual_add_f32 v129, v129, v130 :: v_dual_add_nc_u32 v130, 0x4000, v143
	ds_store_2addr_b32 v130, v155, v129 offset1:136
.LBB495_12:
	s_or_b32 exec_lo, exec_lo, s2
	v_lshlrev_b32_e32 v129, 2, v142
	s_waitcnt lgkmcnt(0)
	s_barrier
	buffer_gl0_inv
	v_cmp_eq_u32_e32 vcc_lo, 1, v144
	v_add_nc_u32_e32 v143, 0x4000, v129
	v_cmp_eq_u32_e64 s2, 2, v144
	v_cmp_eq_u32_e64 s4, 7, v144
	ds_load_2addr_b32 v[155:156], v143 offset1:17
	ds_load_2addr_b32 v[157:158], v143 offset0:34 offset1:51
	ds_load_2addr_b32 v[159:160], v143 offset0:68 offset1:85
	;; [unrolled: 1-line block ×4, first 2 shown]
	s_waitcnt lgkmcnt(4)
	v_max3_f32 v129, v155, 0xff7fffff, v156
	s_waitcnt lgkmcnt(3)
	s_delay_alu instid0(VALU_DEP_1) | instskip(SKIP_1) | instid1(VALU_DEP_1)
	v_max3_f32 v129, v129, v157, v158
	s_waitcnt lgkmcnt(2)
	v_max3_f32 v129, v129, v159, v160
	s_waitcnt lgkmcnt(1)
	s_delay_alu instid0(VALU_DEP_1) | instskip(NEXT) | instid1(VALU_DEP_1)
	v_max3_f32 v129, v129, v161, v162
	v_sub_f32_e32 v159, v159, v129
	s_delay_alu instid0(VALU_DEP_1) | instskip(NEXT) | instid1(VALU_DEP_1)
	v_dual_sub_f32 v130, v155, v129 :: v_dual_mul_f32 v169, 0x3fb8aa3b, v159
	v_dual_sub_f32 v165, v156, v129 :: v_dual_mul_f32 v130, 0x3fb8aa3b, v130
	ds_load_2addr_b32 v[155:156], v143 offset0:170 offset1:187
	v_exp_f32_e32 v166, v130
	v_sub_f32_e32 v130, v158, v129
	s_delay_alu instid0(VALU_DEP_1) | instskip(NEXT) | instid1(VALU_DEP_1)
	v_dual_sub_f32 v157, v157, v129 :: v_dual_mul_f32 v168, 0x3fb8aa3b, v130
	v_mul_f32_e32 v167, 0x3fb8aa3b, v157
	s_waitcnt lgkmcnt(1)
	s_waitcnt_depctr 0xfff
	v_fma_f32 v130, v166, v163, 0
	v_exp_f32_e32 v168, v168
	v_mul_f32_e32 v165, 0x3fb8aa3b, v165
	v_exp_f32_e32 v167, v167
	v_sub_f32_e32 v163, v160, v129
	s_delay_alu instid0(VALU_DEP_2) | instskip(SKIP_3) | instid1(VALU_DEP_1)
	v_exp_f32_e32 v165, v165
	s_waitcnt_depctr 0xfff
	v_fmac_f32_e32 v130, v165, v164
	s_waitcnt lgkmcnt(0)
	v_fmac_f32_e32 v130, v167, v155
	ds_load_2addr_b32 v[157:158], v143 offset0:204 offset1:221
	v_sub_f32_e32 v155, v162, v129
	ds_load_2addr_b32 v[159:160], v143 offset0:238 offset1:255
	s_waitcnt lgkmcnt(0)
	v_fmac_f32_e32 v130, v168, v156
	s_barrier
	v_mul_f32_e32 v155, 0x3fb8aa3b, v155
	buffer_gl0_inv
	v_exp_f32_e32 v155, v155
	v_sub_f32_e32 v143, v161, v129
	v_mul_f32_e32 v161, 0x3fb8aa3b, v163
	v_exp_f32_e32 v163, v169
	s_delay_alu instid0(VALU_DEP_2) | instskip(NEXT) | instid1(VALU_DEP_2)
	v_mul_f32_e32 v143, 0x3fb8aa3b, v143
	v_exp_f32_e32 v161, v161
	s_waitcnt_depctr 0xfff
	v_fmac_f32_e32 v130, v163, v157
	v_exp_f32_e32 v143, v143
	s_delay_alu instid0(VALU_DEP_1) | instskip(SKIP_2) | instid1(VALU_DEP_1)
	v_fmac_f32_e32 v130, v161, v158
	s_waitcnt_depctr 0xfff
	v_fmac_f32_e32 v130, v143, v159
	v_fmac_f32_e32 v130, v155, v160
	s_delay_alu instid0(VALU_DEP_1) | instskip(NEXT) | instid1(VALU_DEP_1)
	v_add_f32_e32 v156, 0x358637bd, v130
	v_div_scale_f32 v157, null, v156, v156, 1.0
	v_div_scale_f32 v160, s3, 1.0, v156, 1.0
	s_delay_alu instid0(VALU_DEP_2) | instskip(SKIP_2) | instid1(VALU_DEP_1)
	v_rcp_f32_e32 v158, v157
	s_waitcnt_depctr 0xfff
	v_fma_f32 v159, -v157, v158, 1.0
	v_fmac_f32_e32 v158, v159, v158
	s_delay_alu instid0(VALU_DEP_1) | instskip(NEXT) | instid1(VALU_DEP_1)
	v_mul_f32_e32 v162, v160, v158
	v_fma_f32 v164, -v157, v162, v160
	v_cndmask_b32_e32 v159, v166, v165, vcc_lo
	v_cmp_eq_u32_e32 vcc_lo, 3, v144
	s_delay_alu instid0(VALU_DEP_3) | instskip(NEXT) | instid1(VALU_DEP_3)
	v_fmac_f32_e32 v162, v164, v158
	v_cndmask_b32_e64 v159, v159, v167, s2
	v_cmp_eq_u32_e64 s2, 4, v144
	s_delay_alu instid0(VALU_DEP_3) | instskip(NEXT) | instid1(VALU_DEP_3)
	v_fma_f32 v157, -v157, v162, v160
	v_cndmask_b32_e32 v159, v159, v168, vcc_lo
	v_cmp_eq_u32_e32 vcc_lo, 5, v144
	s_delay_alu instid0(VALU_DEP_2) | instskip(SKIP_1) | instid1(VALU_DEP_2)
	v_cndmask_b32_e64 v159, v159, v163, s2
	v_cmp_eq_u32_e64 s2, 6, v144
	v_cndmask_b32_e32 v159, v159, v161, vcc_lo
	s_mov_b32 vcc_lo, s3
	v_div_fmas_f32 v157, v157, v158, v162
	s_delay_alu instid0(VALU_DEP_2) | instskip(SKIP_1) | instid1(VALU_DEP_2)
	v_cndmask_b32_e64 v143, v159, v143, s2
	s_mov_b32 s2, exec_lo
	v_div_fixup_f32 v156, v157, v156, 1.0
	s_delay_alu instid0(VALU_DEP_2) | instskip(NEXT) | instid1(VALU_DEP_1)
	v_cndmask_b32_e64 v143, v143, v155, s4
	v_mul_f32_e32 v143, v143, v156
	s_delay_alu instid0(VALU_DEP_1)
	v_mul_f32_e32 v156, v143, v145
	v_mul_f32_e32 v145, v143, v154
	;; [unrolled: 1-line block ×5, first 2 shown]
	v_and_b32_e32 v157, 0x7f800000, v156
	v_mul_f32_e32 v155, v143, v151
	v_mul_f32_e32 v152, v143, v149
	;; [unrolled: 1-line block ×3, first 2 shown]
                                        ; implicit-def: $vgpr148
	s_delay_alu instid0(VALU_DEP_4)
	v_cmpx_ne_u32_e32 0x7f800000, v157
	s_xor_b32 s2, exec_lo, s2
; %bb.13:
	v_bfe_u32 v148, v156, 16, 1
	s_delay_alu instid0(VALU_DEP_1)
	v_add3_u32 v148, v156, v148, 0x7fff
                                        ; implicit-def: $vgpr156
; %bb.14:
	s_and_not1_saveexec_b32 s2, s2
; %bb.15:
	v_and_b32_e32 v148, 0xffff, v156
	v_or_b32_e32 v149, 0x10000, v156
	s_delay_alu instid0(VALU_DEP_2) | instskip(NEXT) | instid1(VALU_DEP_2)
	v_cmp_eq_u32_e32 vcc_lo, 0, v148
	v_cndmask_b32_e32 v148, v149, v156, vcc_lo
; %bb.16:
	s_or_b32 exec_lo, exec_lo, s2
	v_and_b32_e32 v149, 0x7f800000, v151
	s_delay_alu instid0(VALU_DEP_1) | instskip(SKIP_1) | instid1(SALU_CYCLE_1)
	v_cmp_ne_u32_e32 vcc_lo, 0x7f800000, v149
                                        ; implicit-def: $vgpr149
	s_and_saveexec_b32 s2, vcc_lo
	s_xor_b32 s2, exec_lo, s2
; %bb.17:
	v_bfe_u32 v149, v151, 16, 1
	s_delay_alu instid0(VALU_DEP_1)
	v_add3_u32 v149, v151, v149, 0x7fff
                                        ; implicit-def: $vgpr151
; %bb.18:
	s_and_not1_saveexec_b32 s2, s2
; %bb.19:
	v_and_b32_e32 v149, 0xffff, v151
	v_or_b32_e32 v156, 0x10000, v151
	s_delay_alu instid0(VALU_DEP_2) | instskip(NEXT) | instid1(VALU_DEP_2)
	v_cmp_eq_u32_e32 vcc_lo, 0, v149
	v_cndmask_b32_e32 v149, v156, v151, vcc_lo
; %bb.20:
	s_or_b32 exec_lo, exec_lo, s2
	v_and_b32_e32 v151, 0x7f800000, v152
	s_delay_alu instid0(VALU_DEP_1) | instskip(SKIP_1) | instid1(SALU_CYCLE_1)
	v_cmp_ne_u32_e32 vcc_lo, 0x7f800000, v151
                                        ; implicit-def: $vgpr151
	s_and_saveexec_b32 s2, vcc_lo
	s_xor_b32 s2, exec_lo, s2
; %bb.21:
	v_bfe_u32 v151, v152, 16, 1
	s_delay_alu instid0(VALU_DEP_1)
	v_add3_u32 v151, v152, v151, 0x7fff
                                        ; implicit-def: $vgpr152
; %bb.22:
	s_and_not1_saveexec_b32 s2, s2
; %bb.23:
	v_and_b32_e32 v151, 0xffff, v152
	v_or_b32_e32 v156, 0x10000, v152
	s_delay_alu instid0(VALU_DEP_2) | instskip(NEXT) | instid1(VALU_DEP_2)
	v_cmp_eq_u32_e32 vcc_lo, 0, v151
	v_cndmask_b32_e32 v151, v156, v152, vcc_lo
; %bb.24:
	s_or_b32 exec_lo, exec_lo, s2
	v_and_b32_e32 v152, 0x7f800000, v155
	s_delay_alu instid0(VALU_DEP_1) | instskip(SKIP_1) | instid1(SALU_CYCLE_1)
	v_cmp_ne_u32_e32 vcc_lo, 0x7f800000, v152
                                        ; implicit-def: $vgpr152
	s_and_saveexec_b32 s2, vcc_lo
	s_xor_b32 s2, exec_lo, s2
; %bb.25:
	v_bfe_u32 v152, v155, 16, 1
	s_delay_alu instid0(VALU_DEP_1)
	v_add3_u32 v152, v155, v152, 0x7fff
                                        ; implicit-def: $vgpr155
; %bb.26:
	s_and_not1_saveexec_b32 s2, s2
; %bb.27:
	v_and_b32_e32 v152, 0xffff, v155
	v_or_b32_e32 v156, 0x10000, v155
	s_delay_alu instid0(VALU_DEP_2) | instskip(NEXT) | instid1(VALU_DEP_2)
	v_cmp_eq_u32_e32 vcc_lo, 0, v152
	v_cndmask_b32_e32 v152, v156, v155, vcc_lo
; %bb.28:
	s_or_b32 exec_lo, exec_lo, s2
	v_and_b32_e32 v155, 0x7f800000, v154
	s_delay_alu instid0(VALU_DEP_1) | instskip(SKIP_1) | instid1(SALU_CYCLE_1)
	v_cmp_ne_u32_e32 vcc_lo, 0x7f800000, v155
                                        ; implicit-def: $vgpr155
	s_and_saveexec_b32 s2, vcc_lo
	s_xor_b32 s2, exec_lo, s2
; %bb.29:
	v_bfe_u32 v155, v154, 16, 1
	s_delay_alu instid0(VALU_DEP_1)
	v_add3_u32 v155, v154, v155, 0x7fff
                                        ; implicit-def: $vgpr154
; %bb.30:
	s_and_not1_saveexec_b32 s2, s2
; %bb.31:
	v_and_b32_e32 v155, 0xffff, v154
	v_or_b32_e32 v156, 0x10000, v154
	s_delay_alu instid0(VALU_DEP_2) | instskip(NEXT) | instid1(VALU_DEP_2)
	v_cmp_eq_u32_e32 vcc_lo, 0, v155
	v_cndmask_b32_e32 v155, v156, v154, vcc_lo
; %bb.32:
	s_or_b32 exec_lo, exec_lo, s2
	v_and_b32_e32 v154, 0x7f800000, v153
	s_delay_alu instid0(VALU_DEP_1) | instskip(SKIP_1) | instid1(SALU_CYCLE_1)
	v_cmp_ne_u32_e32 vcc_lo, 0x7f800000, v154
                                        ; implicit-def: $vgpr154
	s_and_saveexec_b32 s2, vcc_lo
	s_xor_b32 s2, exec_lo, s2
; %bb.33:
	v_bfe_u32 v154, v153, 16, 1
	s_delay_alu instid0(VALU_DEP_1)
	v_add3_u32 v154, v153, v154, 0x7fff
                                        ; implicit-def: $vgpr153
; %bb.34:
	s_and_not1_saveexec_b32 s2, s2
; %bb.35:
	v_and_b32_e32 v154, 0xffff, v153
	v_or_b32_e32 v156, 0x10000, v153
	s_delay_alu instid0(VALU_DEP_2) | instskip(NEXT) | instid1(VALU_DEP_2)
	v_cmp_eq_u32_e32 vcc_lo, 0, v154
	v_cndmask_b32_e32 v154, v156, v153, vcc_lo
; %bb.36:
	s_or_b32 exec_lo, exec_lo, s2
	v_and_b32_e32 v153, 0x7f800000, v150
	s_delay_alu instid0(VALU_DEP_1) | instskip(SKIP_1) | instid1(SALU_CYCLE_1)
	v_cmp_ne_u32_e32 vcc_lo, 0x7f800000, v153
                                        ; implicit-def: $vgpr153
	s_and_saveexec_b32 s2, vcc_lo
	s_xor_b32 s2, exec_lo, s2
; %bb.37:
	v_bfe_u32 v153, v150, 16, 1
	s_delay_alu instid0(VALU_DEP_1)
	v_add3_u32 v153, v150, v153, 0x7fff
                                        ; implicit-def: $vgpr150
; %bb.38:
	s_and_not1_saveexec_b32 s2, s2
; %bb.39:
	v_and_b32_e32 v153, 0xffff, v150
	v_or_b32_e32 v156, 0x10000, v150
	s_delay_alu instid0(VALU_DEP_2) | instskip(NEXT) | instid1(VALU_DEP_2)
	v_cmp_eq_u32_e32 vcc_lo, 0, v153
	v_cndmask_b32_e32 v153, v156, v150, vcc_lo
; %bb.40:
	s_or_b32 exec_lo, exec_lo, s2
	v_and_b32_e32 v150, 0x7f800000, v145
	s_delay_alu instid0(VALU_DEP_1) | instskip(SKIP_1) | instid1(SALU_CYCLE_1)
	v_cmp_ne_u32_e32 vcc_lo, 0x7f800000, v150
                                        ; implicit-def: $vgpr150
	s_and_saveexec_b32 s2, vcc_lo
	s_xor_b32 s2, exec_lo, s2
; %bb.41:
	v_bfe_u32 v150, v145, 16, 1
	s_delay_alu instid0(VALU_DEP_1)
	v_add3_u32 v150, v145, v150, 0x7fff
                                        ; implicit-def: $vgpr145
; %bb.42:
	s_and_not1_saveexec_b32 s2, s2
; %bb.43:
	v_and_b32_e32 v150, 0xffff, v145
	v_or_b32_e32 v156, 0x10000, v145
	s_delay_alu instid0(VALU_DEP_2) | instskip(NEXT) | instid1(VALU_DEP_2)
	v_cmp_eq_u32_e32 vcc_lo, 0, v150
	v_cndmask_b32_e32 v150, v156, v145, vcc_lo
; %bb.44:
	s_or_b32 exec_lo, exec_lo, s2
	s_load_b64 s[34:35], s[0:1], 0x94
	v_lshlrev_b32_e32 v157, 4, v141
	s_delay_alu instid0(VALU_DEP_2)
	v_perm_b32 v156, v150, v153, 0x7060302
	v_dual_mul_f32 v136, v143, v136 :: v_dual_lshlrev_b32 v145, 6, v142
	v_lshlrev_b32_e32 v142, 11, v144
	v_perm_b32 v153, v149, v148, 0x7060302
	v_mul_f32_e32 v149, v143, v131
	v_perm_b32 v155, v154, v155, 0x7060302
	v_perm_b32 v154, v152, v151, 0x7060302
	v_or3_b32 v131, v157, v142, v145
	v_mul_f32_e32 v142, v143, v147
	v_mul_f32_e32 v146, v143, v146
	v_dual_mul_f32 v135, v143, v135 :: v_dual_and_b32 v150, 0x7f800000, v149
	v_mul_f32_e32 v147, v143, v134
	v_mul_f32_e32 v148, v143, v133
	v_mul_f32_e32 v134, v143, v132
	s_mov_b32 s2, exec_lo
	ds_store_b128 v131, v[153:156]
                                        ; implicit-def: $vgpr132
	v_cmpx_ne_u32_e32 0x7f800000, v150
	s_xor_b32 s2, exec_lo, s2
; %bb.45:
	v_bfe_u32 v132, v149, 16, 1
	s_delay_alu instid0(VALU_DEP_1)
	v_add3_u32 v132, v149, v132, 0x7fff
                                        ; implicit-def: $vgpr149
; %bb.46:
	s_and_not1_saveexec_b32 s2, s2
; %bb.47:
	v_and_b32_e32 v132, 0xffff, v149
	v_or_b32_e32 v133, 0x10000, v149
	s_delay_alu instid0(VALU_DEP_2) | instskip(NEXT) | instid1(VALU_DEP_2)
	v_cmp_eq_u32_e32 vcc_lo, 0, v132
	v_cndmask_b32_e32 v132, v133, v149, vcc_lo
; %bb.48:
	s_or_b32 exec_lo, exec_lo, s2
	v_and_b32_e32 v133, 0x7f800000, v134
	s_delay_alu instid0(VALU_DEP_1) | instskip(SKIP_1) | instid1(SALU_CYCLE_1)
	v_cmp_ne_u32_e32 vcc_lo, 0x7f800000, v133
                                        ; implicit-def: $vgpr133
	s_and_saveexec_b32 s2, vcc_lo
	s_xor_b32 s2, exec_lo, s2
; %bb.49:
	v_bfe_u32 v133, v134, 16, 1
	s_delay_alu instid0(VALU_DEP_1)
	v_add3_u32 v133, v134, v133, 0x7fff
                                        ; implicit-def: $vgpr134
; %bb.50:
	s_and_not1_saveexec_b32 s2, s2
; %bb.51:
	v_and_b32_e32 v133, 0xffff, v134
	v_or_b32_e32 v143, 0x10000, v134
	s_delay_alu instid0(VALU_DEP_2) | instskip(NEXT) | instid1(VALU_DEP_2)
	v_cmp_eq_u32_e32 vcc_lo, 0, v133
	v_cndmask_b32_e32 v133, v143, v134, vcc_lo
; %bb.52:
	s_or_b32 exec_lo, exec_lo, s2
	v_and_b32_e32 v134, 0x7f800000, v148
	s_delay_alu instid0(VALU_DEP_1) | instskip(SKIP_1) | instid1(SALU_CYCLE_1)
	v_cmp_ne_u32_e32 vcc_lo, 0x7f800000, v134
                                        ; implicit-def: $vgpr134
	s_and_saveexec_b32 s2, vcc_lo
	s_xor_b32 s2, exec_lo, s2
; %bb.53:
	v_bfe_u32 v134, v148, 16, 1
	s_delay_alu instid0(VALU_DEP_1)
	v_add3_u32 v134, v148, v134, 0x7fff
                                        ; implicit-def: $vgpr148
; %bb.54:
	s_and_not1_saveexec_b32 s2, s2
; %bb.55:
	v_and_b32_e32 v134, 0xffff, v148
	v_or_b32_e32 v143, 0x10000, v148
	s_delay_alu instid0(VALU_DEP_2) | instskip(NEXT) | instid1(VALU_DEP_2)
	v_cmp_eq_u32_e32 vcc_lo, 0, v134
	v_cndmask_b32_e32 v134, v143, v148, vcc_lo
; %bb.56:
	s_or_b32 exec_lo, exec_lo, s2
	v_and_b32_e32 v143, 0x7f800000, v147
	s_delay_alu instid0(VALU_DEP_1) | instskip(SKIP_1) | instid1(SALU_CYCLE_1)
	v_cmp_ne_u32_e32 vcc_lo, 0x7f800000, v143
                                        ; implicit-def: $vgpr143
	s_and_saveexec_b32 s2, vcc_lo
	s_xor_b32 s2, exec_lo, s2
; %bb.57:
	v_bfe_u32 v143, v147, 16, 1
	s_delay_alu instid0(VALU_DEP_1)
	v_add3_u32 v143, v147, v143, 0x7fff
                                        ; implicit-def: $vgpr147
; %bb.58:
	s_and_not1_saveexec_b32 s2, s2
; %bb.59:
	v_and_b32_e32 v143, 0xffff, v147
	v_or_b32_e32 v148, 0x10000, v147
	s_delay_alu instid0(VALU_DEP_2) | instskip(NEXT) | instid1(VALU_DEP_2)
	v_cmp_eq_u32_e32 vcc_lo, 0, v143
	v_cndmask_b32_e32 v143, v148, v147, vcc_lo
; %bb.60:
	s_or_b32 exec_lo, exec_lo, s2
	v_and_b32_e32 v147, 0x7f800000, v135
	s_delay_alu instid0(VALU_DEP_1) | instskip(SKIP_1) | instid1(SALU_CYCLE_1)
	v_cmp_ne_u32_e32 vcc_lo, 0x7f800000, v147
                                        ; implicit-def: $vgpr147
	s_and_saveexec_b32 s2, vcc_lo
	s_xor_b32 s2, exec_lo, s2
; %bb.61:
	v_bfe_u32 v147, v135, 16, 1
	s_delay_alu instid0(VALU_DEP_1)
	v_add3_u32 v147, v135, v147, 0x7fff
                                        ; implicit-def: $vgpr135
; %bb.62:
	s_and_not1_saveexec_b32 s2, s2
; %bb.63:
	v_and_b32_e32 v147, 0xffff, v135
	v_or_b32_e32 v148, 0x10000, v135
	s_delay_alu instid0(VALU_DEP_2) | instskip(NEXT) | instid1(VALU_DEP_2)
	v_cmp_eq_u32_e32 vcc_lo, 0, v147
	v_cndmask_b32_e32 v147, v148, v135, vcc_lo
; %bb.64:
	s_or_b32 exec_lo, exec_lo, s2
	v_and_b32_e32 v135, 0x7f800000, v136
	s_delay_alu instid0(VALU_DEP_1) | instskip(SKIP_1) | instid1(SALU_CYCLE_1)
	v_cmp_ne_u32_e32 vcc_lo, 0x7f800000, v135
                                        ; implicit-def: $vgpr135
	s_and_saveexec_b32 s2, vcc_lo
	s_xor_b32 s2, exec_lo, s2
; %bb.65:
	v_bfe_u32 v135, v136, 16, 1
	s_delay_alu instid0(VALU_DEP_1)
	v_add3_u32 v135, v136, v135, 0x7fff
                                        ; implicit-def: $vgpr136
; %bb.66:
	s_and_not1_saveexec_b32 s2, s2
; %bb.67:
	v_and_b32_e32 v135, 0xffff, v136
	v_or_b32_e32 v148, 0x10000, v136
	s_delay_alu instid0(VALU_DEP_2) | instskip(NEXT) | instid1(VALU_DEP_2)
	v_cmp_eq_u32_e32 vcc_lo, 0, v135
	v_cndmask_b32_e32 v135, v148, v136, vcc_lo
; %bb.68:
	s_or_b32 exec_lo, exec_lo, s2
	v_and_b32_e32 v136, 0x7f800000, v146
	s_delay_alu instid0(VALU_DEP_1) | instskip(SKIP_1) | instid1(SALU_CYCLE_1)
	v_cmp_ne_u32_e32 vcc_lo, 0x7f800000, v136
                                        ; implicit-def: $vgpr136
	s_and_saveexec_b32 s2, vcc_lo
	s_xor_b32 s2, exec_lo, s2
; %bb.69:
	v_bfe_u32 v136, v146, 16, 1
	s_delay_alu instid0(VALU_DEP_1)
	v_add3_u32 v136, v146, v136, 0x7fff
                                        ; implicit-def: $vgpr146
; %bb.70:
	s_and_not1_saveexec_b32 s2, s2
; %bb.71:
	v_and_b32_e32 v136, 0xffff, v146
	v_or_b32_e32 v148, 0x10000, v146
	s_delay_alu instid0(VALU_DEP_2) | instskip(NEXT) | instid1(VALU_DEP_2)
	v_cmp_eq_u32_e32 vcc_lo, 0, v136
	v_cndmask_b32_e32 v136, v148, v146, vcc_lo
; %bb.72:
	s_or_b32 exec_lo, exec_lo, s2
	v_and_b32_e32 v146, 0x7f800000, v142
	s_delay_alu instid0(VALU_DEP_1) | instskip(SKIP_1) | instid1(SALU_CYCLE_1)
	v_cmp_ne_u32_e32 vcc_lo, 0x7f800000, v146
                                        ; implicit-def: $vgpr146
	s_and_saveexec_b32 s2, vcc_lo
	s_xor_b32 s2, exec_lo, s2
; %bb.73:
	v_bfe_u32 v146, v142, 16, 1
	s_delay_alu instid0(VALU_DEP_1)
	v_add3_u32 v146, v142, v146, 0x7fff
                                        ; implicit-def: $vgpr142
; %bb.74:
	s_and_not1_saveexec_b32 s2, s2
; %bb.75:
	v_and_b32_e32 v146, 0xffff, v142
	v_or_b32_e32 v148, 0x10000, v142
	s_delay_alu instid0(VALU_DEP_2) | instskip(NEXT) | instid1(VALU_DEP_2)
	v_cmp_eq_u32_e32 vcc_lo, 0, v146
	v_cndmask_b32_e32 v146, v148, v142, vcc_lo
; %bb.76:
	s_or_b32 exec_lo, exec_lo, s2
	s_delay_alu instid0(VALU_DEP_1)
	v_perm_b32 v136, v146, v136, 0x7060302
	v_perm_b32 v135, v135, v147, 0x7060302
	;; [unrolled: 1-line block ×4, first 2 shown]
	v_lshl_or_b32 v147, v144, 11, v145
	ds_store_b128 v131, v[133:136] offset:1024
	s_waitcnt lgkmcnt(0)
	s_barrier
	buffer_gl0_inv
	ds_load_b128 v[132:135], v147
	ds_load_b128 v[148:151], v147 offset:16
	s_waitcnt lgkmcnt(1)
	v_lshrrev_b32_e32 v136, 16, v132
	v_lshlrev_b32_e32 v143, 2, v141
	s_waitcnt lgkmcnt(0)
	v_lshrrev_b32_e32 v156, 16, v148
	v_lshrrev_b32_e32 v160, 16, v133
	;; [unrolled: 1-line block ×4, first 2 shown]
	v_cmp_eq_u32_e32 vcc_lo, 1, v143
	v_lshrrev_b32_e32 v164, 16, v150
	v_lshrrev_b32_e32 v162, 16, v135
	;; [unrolled: 1-line block ×3, first 2 shown]
	v_cndmask_b32_e32 v146, v132, v136, vcc_lo
	v_or_b32_e32 v144, 1, v143
	v_cmp_eq_u32_e64 s3, 2, v143
	v_cndmask_b32_e32 v152, v148, v156, vcc_lo
	v_cmp_eq_u32_e64 s6, 3, v143
	v_cmp_eq_u32_e64 s8, 4, v143
	;; [unrolled: 1-line block ×3, first 2 shown]
	v_cndmask_b32_e64 v146, v146, v133, s3
	v_cmp_eq_u32_e64 s5, 2, v144
	v_cndmask_b32_e64 v152, v152, v149, s3
	v_cmp_eq_u32_e64 s7, 3, v144
	v_cndmask_b32_e64 v153, v132, v136, s2
	v_cndmask_b32_e64 v146, v146, v160, s6
	v_or_b32_e32 v142, 2, v143
	v_cndmask_b32_e64 v152, v152, v163, s6
	v_cndmask_b32_e64 v154, v148, v156, s2
	;; [unrolled: 1-line block ×4, first 2 shown]
	v_cmp_eq_u32_e64 s9, 5, v143
	v_cndmask_b32_e64 v152, v152, v150, s8
	v_cmp_eq_u32_e64 s10, 4, v144
	v_cndmask_b32_e64 v153, v153, v160, s7
	;; [unrolled: 2-line block ×3, first 2 shown]
	v_cndmask_b32_e64 v146, v146, v161, s9
	v_cmp_eq_u32_e64 s11, 6, v143
	v_cndmask_b32_e64 v153, v153, v134, s10
	v_cndmask_b32_e64 v152, v152, v164, s9
	v_cmp_eq_u32_e64 s12, 5, v144
	v_cndmask_b32_e64 v155, v132, v136, s4
	v_cndmask_b32_e64 v154, v154, v163, s7
	;; [unrolled: 1-line block ×3, first 2 shown]
	v_cmp_eq_u32_e64 s13, 7, v143
	v_cndmask_b32_e64 v153, v153, v161, s12
	v_cndmask_b32_e64 v152, v152, v151, s11
	v_cmp_eq_u32_e64 s15, 6, v144
	v_cmp_eq_u32_e64 s16, 2, v142
	v_cndmask_b32_e64 v154, v154, v150, s10
	v_cndmask_b32_e64 v166, v146, v162, s13
	;; [unrolled: 1-line block ×6, first 2 shown]
	v_cmp_eq_u32_e64 s17, 7, v144
	v_cmp_eq_u32_e64 s18, 3, v142
	v_cmp_eq_u32_e64 s19, 4, v142
	v_cmp_eq_u32_e64 s21, 5, v142
	v_cndmask_b32_e64 v152, v152, v149, s16
	v_cndmask_b32_e64 v168, v153, v162, s17
	;; [unrolled: 1-line block ×4, first 2 shown]
	v_or_b32_e32 v146, 3, v143
	v_cndmask_b32_e64 v158, v152, v163, s18
	v_cmp_eq_u32_e64 s23, 6, v142
	v_cndmask_b32_e64 v169, v153, v151, s15
	v_cndmask_b32_e64 v157, v154, v134, s19
	v_cmp_eq_u32_e64 s20, 1, v146
	ds_load_b128 v[152:155], v147 offset:1024
	v_cmp_eq_u32_e64 s22, 2, v146
	v_cmp_eq_u32_e64 s24, 3, v146
	v_cndmask_b32_e64 v170, v157, v161, s21
	v_cndmask_b32_e64 v132, v132, v136, s20
	v_cndmask_b32_e64 v136, v158, v150, s19
	v_cndmask_b32_e64 v148, v148, v156, s20
	ds_load_b128 v[156:159], v147 offset:1040
	v_cmp_eq_u32_e64 s25, 4, v146
	v_cndmask_b32_e64 v132, v132, v133, s22
	v_cndmask_b32_e64 v133, v136, v164, s21
	;; [unrolled: 1-line block ×3, first 2 shown]
	v_cmp_eq_u32_e64 s27, 5, v146
	v_cndmask_b32_e64 v149, v170, v135, s23
	v_cndmask_b32_e64 v132, v132, v160, s24
	v_cmp_eq_u32_e64 s26, 7, v142
	v_cndmask_b32_e64 v136, v136, v163, s24
	v_cmp_eq_u32_e64 s28, 6, v146
	v_cndmask_b32_e64 v133, v133, v151, s23
	v_cndmask_b32_e64 v132, v132, v134, s25
	s_waitcnt lgkmcnt(1)
	v_lshrrev_b32_e32 v160, 16, v152
	v_cndmask_b32_e64 v134, v136, v150, s25
	v_cndmask_b32_e64 v136, v149, v162, s26
	;; [unrolled: 1-line block ×4, first 2 shown]
	v_lshrrev_b32_e32 v161, 16, v153
	v_cndmask_b32_e64 v134, v134, v164, s27
	s_waitcnt lgkmcnt(0)
	v_lshrrev_b32_e32 v150, 16, v156
	v_cndmask_b32_e64 v163, v152, v160, s2
	v_cndmask_b32_e64 v132, v132, v135, s28
	;; [unrolled: 1-line block ×4, first 2 shown]
	v_cndmask_b32_e32 v149, v152, v160, vcc_lo
	v_cndmask_b32_e32 v164, v156, v150, vcc_lo
	v_cmp_eq_u32_e32 vcc_lo, 7, v146
	s_delay_alu instid0(VALU_DEP_2)
	v_cndmask_b32_e64 v151, v164, v157, s3
	v_cndmask_b32_e32 v134, v134, v165, vcc_lo
	v_cndmask_b32_e64 v149, v149, v153, s3
	v_lshrrev_b32_e32 v164, 16, v154
	v_cndmask_b32_e32 v132, v132, v162, vcc_lo
	v_lshrrev_b32_e32 v165, 16, v158
	s_delay_alu instid0(VALU_DEP_4) | instskip(SKIP_2) | instid1(VALU_DEP_3)
	v_cndmask_b32_e64 v135, v149, v161, s6
	v_cndmask_b32_e64 v149, v163, v153, s5
	v_lshrrev_b32_e32 v163, 16, v157
	v_cndmask_b32_e64 v135, v135, v154, s8
	s_delay_alu instid0(VALU_DEP_3) | instskip(NEXT) | instid1(VALU_DEP_3)
	v_cndmask_b32_e64 v149, v149, v161, s7
	v_cndmask_b32_e64 v151, v151, v163, s6
	s_delay_alu instid0(VALU_DEP_3) | instskip(NEXT) | instid1(VALU_DEP_3)
	v_cndmask_b32_e64 v162, v135, v164, s9
	v_cndmask_b32_e64 v149, v149, v154, s10
	s_delay_alu instid0(VALU_DEP_3)
	v_cndmask_b32_e64 v151, v151, v158, s8
	v_perm_b32 v135, v134, v132, 0x5040100
	v_perm_b32 v134, v133, v136, 0x5040100
	;; [unrolled: 1-line block ×3, first 2 shown]
	v_cndmask_b32_e64 v132, v149, v164, s12
	v_cndmask_b32_e64 v149, v162, v155, s11
	v_lshrrev_b32_e32 v162, 16, v155
	v_cndmask_b32_e64 v151, v151, v165, s9
	s_delay_alu instid0(VALU_DEP_4) | instskip(NEXT) | instid1(VALU_DEP_3)
	v_cndmask_b32_e64 v132, v132, v155, s15
	v_cndmask_b32_e64 v136, v149, v162, s13
	s_delay_alu instid0(VALU_DEP_3) | instskip(SKIP_1) | instid1(VALU_DEP_4)
	v_cndmask_b32_e64 v148, v151, v159, s11
	v_cndmask_b32_e64 v151, v152, v160, s20
	;; [unrolled: 1-line block ×27, first 2 shown]
	v_lshrrev_b32_e32 v149, 16, v159
	v_cndmask_b32_e64 v132, v132, v155, s23
	v_cndmask_b32_e64 v151, v151, v155, s28
	;; [unrolled: 1-line block ×6, first 2 shown]
	s_delay_alu instid0(VALU_DEP_4) | instskip(NEXT) | instid1(VALU_DEP_4)
	v_dual_cndmask_b32 v151, v151, v162 :: v_dual_cndmask_b32 v152, v152, v149
	v_cndmask_b32_e64 v153, v153, v149, s26
	s_delay_alu instid0(VALU_DEP_4)
	v_cndmask_b32_e64 v155, v150, v149, s17
	v_cndmask_b32_e64 v148, v148, v149, s13
	v_perm_b32 v132, v167, v166, 0x5040100
	v_perm_b32 v151, v152, v151, 0x5040100
	;; [unrolled: 1-line block ×5, first 2 shown]
	s_lshl_b32 s7, s35, 1
	s_mov_b32 s2, exec_lo
	ds_store_b128 v131, v[132:135]
	ds_store_b128 v131, v[148:151] offset:1024
	v_cmpx_gt_u32_e32 2, v0
	s_cbranch_execz .LBB495_78
; %bb.77:
	v_or_b32_e32 v131, s31, v0
	s_load_b128 s[8:11], s[0:1], 0x58
	s_delay_alu instid0(VALU_DEP_1) | instskip(NEXT) | instid1(VALU_DEP_1)
	v_mad_u64_u32 v[132:133], null, s7, s30, v[131:132]
	v_mad_u64_u32 v[133:134], null, v132, s34, s[14:15]
	s_delay_alu instid0(VALU_DEP_1) | instskip(NEXT) | instid1(VALU_DEP_1)
	v_ashrrev_i32_e32 v134, 31, v133
	v_lshlrev_b64 v[131:132], 2, v[133:134]
	s_waitcnt lgkmcnt(0)
	s_delay_alu instid0(VALU_DEP_1) | instskip(NEXT) | instid1(VALU_DEP_2)
	v_add_co_u32 v133, vcc_lo, s10, v131
	v_add_co_ci_u32_e32 v134, vcc_lo, s11, v132, vcc_lo
	v_add_co_u32 v131, vcc_lo, s8, v131
	v_add_co_ci_u32_e32 v132, vcc_lo, s9, v132, vcc_lo
	global_store_b32 v[133:134], v129, off
	global_store_b32 v[131:132], v130, off
.LBB495_78:
	s_or_b32 exec_lo, exec_lo, s2
	s_waitcnt lgkmcnt(0)
	s_waitcnt_vscnt null, 0x0
	s_barrier
	buffer_gl0_inv
	ds_load_b128 v[148:151], v145
	ds_load_b128 v[152:155], v145 offset:16
	ds_load_b128 v[160:163], v145 offset:1040
	;; [unrolled: 1-line block ×3, first 2 shown]
	v_mov_b32_e32 v129, 0
	ds_load_b128 v[168:171], v145 offset:2064
	ds_load_b128 v[164:167], v145 offset:2048
	;; [unrolled: 1-line block ×6, first 2 shown]
	v_mov_b32_e32 v130, v129
	v_mov_b32_e32 v131, v129
	;; [unrolled: 1-line block ×7, first 2 shown]
	s_waitcnt lgkmcnt(8)
	s_delay_alu instid0(VALU_DEP_1)
	v_wmma_f32_16x16x16_bf16 v[129:136], v[121:128], v[148:155], v[129:136]
	ds_load_b128 v[125:128], v145 offset:5136
	ds_load_b128 v[121:124], v145 offset:5120
	s_waitcnt lgkmcnt(8)
	v_wmma_f32_16x16x16_bf16 v[129:136], v[113:120], v[156:163], v[129:136]
	ds_load_b128 v[117:120], v145 offset:6160
	ds_load_b128 v[113:116], v145 offset:6144
	s_waitcnt lgkmcnt(8)
	;; [unrolled: 4-line block ×8, first 2 shown]
	v_wmma_f32_16x16x16_bf16 v[129:136], v[65:72], v[97:104], v[129:136]
	s_waitcnt lgkmcnt(6)
	s_delay_alu instid0(VALU_DEP_1)
	v_wmma_f32_16x16x16_bf16 v[129:136], v[49:56], v[89:96], v[129:136]
	ds_load_b128 v[53:56], v145 offset:13328
	ds_load_b128 v[49:52], v145 offset:13312
	s_waitcnt lgkmcnt(6)
	v_wmma_f32_16x16x16_bf16 v[129:136], v[41:48], v[81:88], v[129:136]
	ds_load_b128 v[45:48], v145 offset:14352
	ds_load_b128 v[41:44], v145 offset:14336
	s_waitcnt lgkmcnt(6)
	;; [unrolled: 4-line block ×3, first 2 shown]
	v_wmma_f32_16x16x16_bf16 v[129:136], v[1:8], v[57:64], v[129:136]
	s_waitcnt lgkmcnt(4)
	s_delay_alu instid0(VALU_DEP_1) | instskip(SKIP_1) | instid1(VALU_DEP_1)
	v_wmma_f32_16x16x16_bf16 v[129:136], v[25:32], v[49:56], v[129:136]
	s_waitcnt lgkmcnt(2)
	v_wmma_f32_16x16x16_bf16 v[129:136], v[33:40], v[41:48], v[129:136]
	s_waitcnt lgkmcnt(0)
	s_delay_alu instid0(VALU_DEP_1) | instskip(NEXT) | instid1(VALU_DEP_1)
	v_wmma_f32_16x16x16_bf16 v[129:136], v[9:16], v[17:24], v[129:136]
	v_and_b32_e32 v1, 0x7f800000, v129
	s_delay_alu instid0(VALU_DEP_1) | instskip(SKIP_1) | instid1(SALU_CYCLE_1)
	v_cmp_ne_u32_e32 vcc_lo, 0x7f800000, v1
                                        ; implicit-def: $vgpr1
	s_and_saveexec_b32 s2, vcc_lo
	s_xor_b32 s2, exec_lo, s2
; %bb.79:
	v_bfe_u32 v1, v129, 16, 1
	s_delay_alu instid0(VALU_DEP_1)
	v_add3_u32 v1, v129, v1, 0x7fff
; %bb.80:
	s_and_not1_saveexec_b32 s2, s2
; %bb.81:
	v_and_b32_e32 v1, 0xffff, v129
	v_or_b32_e32 v2, 0x10000, v129
	s_delay_alu instid0(VALU_DEP_2) | instskip(NEXT) | instid1(VALU_DEP_2)
	v_cmp_eq_u32_e32 vcc_lo, 0, v1
	v_cndmask_b32_e32 v1, v2, v129, vcc_lo
; %bb.82:
	s_or_b32 exec_lo, exec_lo, s2
	v_and_b32_e32 v2, 0x7f800000, v130
	s_delay_alu instid0(VALU_DEP_1) | instskip(SKIP_1) | instid1(SALU_CYCLE_1)
	v_cmp_ne_u32_e32 vcc_lo, 0x7f800000, v2
                                        ; implicit-def: $vgpr2
	s_and_saveexec_b32 s2, vcc_lo
	s_xor_b32 s2, exec_lo, s2
; %bb.83:
	v_bfe_u32 v2, v130, 16, 1
	s_delay_alu instid0(VALU_DEP_1)
	v_add3_u32 v2, v130, v2, 0x7fff
; %bb.84:
	s_and_not1_saveexec_b32 s2, s2
; %bb.85:
	v_and_b32_e32 v2, 0xffff, v130
	v_or_b32_e32 v3, 0x10000, v130
	s_delay_alu instid0(VALU_DEP_2) | instskip(NEXT) | instid1(VALU_DEP_2)
	v_cmp_eq_u32_e32 vcc_lo, 0, v2
	v_cndmask_b32_e32 v2, v3, v130, vcc_lo
; %bb.86:
	s_or_b32 exec_lo, exec_lo, s2
	v_and_b32_e32 v3, 0x7f800000, v131
	s_delay_alu instid0(VALU_DEP_1) | instskip(SKIP_1) | instid1(SALU_CYCLE_1)
	v_cmp_ne_u32_e32 vcc_lo, 0x7f800000, v3
                                        ; implicit-def: $vgpr3
	s_and_saveexec_b32 s2, vcc_lo
	s_xor_b32 s2, exec_lo, s2
; %bb.87:
	v_bfe_u32 v3, v131, 16, 1
	s_delay_alu instid0(VALU_DEP_1)
	v_add3_u32 v3, v131, v3, 0x7fff
; %bb.88:
	s_and_not1_saveexec_b32 s2, s2
; %bb.89:
	v_and_b32_e32 v3, 0xffff, v131
	v_or_b32_e32 v4, 0x10000, v131
	s_delay_alu instid0(VALU_DEP_2) | instskip(NEXT) | instid1(VALU_DEP_2)
	v_cmp_eq_u32_e32 vcc_lo, 0, v3
	v_cndmask_b32_e32 v3, v4, v131, vcc_lo
; %bb.90:
	s_or_b32 exec_lo, exec_lo, s2
	v_and_b32_e32 v4, 0x7f800000, v132
	s_delay_alu instid0(VALU_DEP_1) | instskip(SKIP_1) | instid1(SALU_CYCLE_1)
	v_cmp_ne_u32_e32 vcc_lo, 0x7f800000, v4
                                        ; implicit-def: $vgpr4
	s_and_saveexec_b32 s2, vcc_lo
	s_xor_b32 s2, exec_lo, s2
; %bb.91:
	v_bfe_u32 v4, v132, 16, 1
	s_delay_alu instid0(VALU_DEP_1)
	v_add3_u32 v4, v132, v4, 0x7fff
; %bb.92:
	s_and_not1_saveexec_b32 s2, s2
; %bb.93:
	v_and_b32_e32 v4, 0xffff, v132
	v_or_b32_e32 v5, 0x10000, v132
	s_delay_alu instid0(VALU_DEP_2) | instskip(NEXT) | instid1(VALU_DEP_2)
	v_cmp_eq_u32_e32 vcc_lo, 0, v4
	v_cndmask_b32_e32 v4, v5, v132, vcc_lo
; %bb.94:
	s_or_b32 exec_lo, exec_lo, s2
	v_and_b32_e32 v5, 0x7f800000, v133
	s_delay_alu instid0(VALU_DEP_1) | instskip(SKIP_1) | instid1(SALU_CYCLE_1)
	v_cmp_ne_u32_e32 vcc_lo, 0x7f800000, v5
                                        ; implicit-def: $vgpr5
	s_and_saveexec_b32 s2, vcc_lo
	s_xor_b32 s2, exec_lo, s2
; %bb.95:
	v_bfe_u32 v5, v133, 16, 1
	s_delay_alu instid0(VALU_DEP_1)
	v_add3_u32 v5, v133, v5, 0x7fff
; %bb.96:
	s_and_not1_saveexec_b32 s2, s2
; %bb.97:
	v_and_b32_e32 v5, 0xffff, v133
	v_or_b32_e32 v6, 0x10000, v133
	s_delay_alu instid0(VALU_DEP_2) | instskip(NEXT) | instid1(VALU_DEP_2)
	v_cmp_eq_u32_e32 vcc_lo, 0, v5
	v_cndmask_b32_e32 v5, v6, v133, vcc_lo
; %bb.98:
	s_or_b32 exec_lo, exec_lo, s2
	v_and_b32_e32 v6, 0x7f800000, v134
	s_delay_alu instid0(VALU_DEP_1) | instskip(SKIP_1) | instid1(SALU_CYCLE_1)
	v_cmp_ne_u32_e32 vcc_lo, 0x7f800000, v6
                                        ; implicit-def: $vgpr6
	s_and_saveexec_b32 s2, vcc_lo
	s_xor_b32 s2, exec_lo, s2
; %bb.99:
	v_bfe_u32 v6, v134, 16, 1
	s_delay_alu instid0(VALU_DEP_1)
	v_add3_u32 v6, v134, v6, 0x7fff
; %bb.100:
	s_and_not1_saveexec_b32 s2, s2
; %bb.101:
	v_and_b32_e32 v6, 0xffff, v134
	v_or_b32_e32 v7, 0x10000, v134
	s_delay_alu instid0(VALU_DEP_2) | instskip(NEXT) | instid1(VALU_DEP_2)
	v_cmp_eq_u32_e32 vcc_lo, 0, v6
	v_cndmask_b32_e32 v6, v7, v134, vcc_lo
; %bb.102:
	s_or_b32 exec_lo, exec_lo, s2
	v_and_b32_e32 v7, 0x7f800000, v135
	s_delay_alu instid0(VALU_DEP_1) | instskip(SKIP_1) | instid1(SALU_CYCLE_1)
	v_cmp_ne_u32_e32 vcc_lo, 0x7f800000, v7
                                        ; implicit-def: $vgpr7
	s_and_saveexec_b32 s2, vcc_lo
	s_xor_b32 s2, exec_lo, s2
; %bb.103:
	v_bfe_u32 v7, v135, 16, 1
	s_delay_alu instid0(VALU_DEP_1)
	v_add3_u32 v7, v135, v7, 0x7fff
; %bb.104:
	s_and_not1_saveexec_b32 s2, s2
; %bb.105:
	v_and_b32_e32 v7, 0xffff, v135
	v_or_b32_e32 v8, 0x10000, v135
	s_delay_alu instid0(VALU_DEP_2) | instskip(NEXT) | instid1(VALU_DEP_2)
	v_cmp_eq_u32_e32 vcc_lo, 0, v7
	v_cndmask_b32_e32 v7, v8, v135, vcc_lo
; %bb.106:
	s_or_b32 exec_lo, exec_lo, s2
	v_and_b32_e32 v8, 0x7f800000, v136
	s_delay_alu instid0(VALU_DEP_1) | instskip(SKIP_1) | instid1(SALU_CYCLE_1)
	v_cmp_ne_u32_e32 vcc_lo, 0x7f800000, v8
                                        ; implicit-def: $vgpr8
	s_and_saveexec_b32 s2, vcc_lo
	s_xor_b32 s2, exec_lo, s2
; %bb.107:
	v_bfe_u32 v8, v136, 16, 1
	s_delay_alu instid0(VALU_DEP_1)
	v_add3_u32 v8, v136, v8, 0x7fff
                                        ; implicit-def: $vgpr129_vgpr130_vgpr131_vgpr132_vgpr133_vgpr134_vgpr135_vgpr136
; %bb.108:
	s_and_not1_saveexec_b32 s2, s2
; %bb.109:
	v_and_b32_e32 v8, 0xffff, v136
	v_or_b32_e32 v9, 0x10000, v136
	s_delay_alu instid0(VALU_DEP_2) | instskip(NEXT) | instid1(VALU_DEP_2)
	v_cmp_eq_u32_e32 vcc_lo, 0, v8
	v_cndmask_b32_e32 v8, v9, v136, vcc_lo
; %bb.110:
	s_or_b32 exec_lo, exec_lo, s2
	s_delay_alu instid0(VALU_DEP_1)
	v_perm_b32 v7, v8, v7, 0x7060302
	v_perm_b32 v6, v6, v5, 0x7060302
	v_perm_b32 v5, v4, v3, 0x7060302
	v_perm_b32 v4, v2, v1, 0x7060302
	v_lshl_or_b32 v9, v141, 4, v147
	s_barrier
	buffer_gl0_inv
	v_cmp_eq_u32_e32 vcc_lo, 1, v143
	ds_store_b128 v9, v[4:7]
	s_waitcnt lgkmcnt(0)
	s_barrier
	buffer_gl0_inv
	ds_load_b128 v[1:4], v147
	ds_load_b128 v[5:8], v147 offset:16
	v_cmp_eq_u32_e64 s3, 2, v143
	v_cmp_eq_u32_e64 s2, 1, v144
	;; [unrolled: 1-line block ×5, first 2 shown]
	s_waitcnt lgkmcnt(1)
	v_lshrrev_b32_e32 v10, 16, v1
	s_waitcnt lgkmcnt(0)
	v_lshrrev_b32_e32 v14, 16, v5
	v_lshrrev_b32_e32 v15, 16, v6
	;; [unrolled: 1-line block ×4, first 2 shown]
	v_cndmask_b32_e64 v20, v1, v10, s2
	v_cndmask_b32_e32 v19, v5, v14, vcc_lo
	v_cndmask_b32_e64 v21, v5, v14, s2
	v_lshrrev_b32_e32 v16, 16, v7
	v_cmp_eq_u32_e64 s2, 1, v142
	v_lshrrev_b32_e32 v13, 16, v4
	v_cndmask_b32_e64 v19, v19, v6, s3
	v_lshrrev_b32_e32 v17, 16, v8
	s_delay_alu instid0(VALU_DEP_4) | instskip(SKIP_1) | instid1(VALU_DEP_4)
	v_cndmask_b32_e64 v22, v1, v10, s2
	v_cndmask_b32_e64 v23, v5, v14, s2
	;; [unrolled: 1-line block ×3, first 2 shown]
	v_cndmask_b32_e32 v18, v1, v10, vcc_lo
	v_cmp_eq_u32_e32 vcc_lo, 2, v144
	v_cmp_eq_u32_e64 s2, 2, v146
	v_cndmask_b32_e64 v22, v22, v2, s6
	v_cndmask_b32_e32 v20, v20, v2, vcc_lo
	v_cndmask_b32_e32 v21, v21, v6, vcc_lo
	v_cmp_eq_u32_e32 vcc_lo, 4, v143
	v_cndmask_b32_e32 v19, v19, v7, vcc_lo
	v_cndmask_b32_e64 v18, v18, v2, s3
	v_cmp_eq_u32_e64 s3, 3, v144
	s_delay_alu instid0(VALU_DEP_2) | instskip(NEXT) | instid1(VALU_DEP_2)
	v_cndmask_b32_e64 v18, v18, v11, s4
	v_cndmask_b32_e64 v21, v21, v15, s3
	v_cmp_eq_u32_e64 s4, 5, v143
	s_delay_alu instid0(VALU_DEP_3) | instskip(SKIP_1) | instid1(VALU_DEP_3)
	v_cndmask_b32_e32 v18, v18, v3, vcc_lo
	v_cmp_eq_u32_e32 vcc_lo, 4, v144
	v_cndmask_b32_e64 v19, v19, v16, s4
	s_delay_alu instid0(VALU_DEP_3) | instskip(SKIP_4) | instid1(VALU_DEP_3)
	v_cndmask_b32_e64 v18, v18, v12, s4
	v_cndmask_b32_e32 v21, v21, v7, vcc_lo
	v_cndmask_b32_e64 v20, v20, v11, s3
	v_cmp_eq_u32_e64 s3, 5, v144
	v_cmp_eq_u32_e64 s4, 6, v143
	v_cndmask_b32_e32 v20, v20, v3, vcc_lo
	s_delay_alu instid0(VALU_DEP_3) | instskip(SKIP_1) | instid1(VALU_DEP_4)
	v_cndmask_b32_e64 v21, v21, v16, s3
	v_cmp_eq_u32_e32 vcc_lo, 6, v144
	v_cndmask_b32_e64 v18, v18, v4, s4
	v_cndmask_b32_e64 v19, v19, v8, s4
	;; [unrolled: 1-line block ×3, first 2 shown]
	v_cmp_eq_u32_e64 s3, 1, v146
	v_cmp_eq_u32_e64 s4, 7, v143
	s_delay_alu instid0(VALU_DEP_3) | instskip(NEXT) | instid1(VALU_DEP_3)
	v_cndmask_b32_e32 v20, v20, v4, vcc_lo
	v_cndmask_b32_e64 v1, v1, v10, s3
	v_cndmask_b32_e64 v5, v5, v14, s3
	v_cmp_eq_u32_e64 s3, 3, v142
	v_cndmask_b32_e64 v14, v23, v6, s6
	v_cmp_eq_u32_e64 s6, 3, v146
	v_cndmask_b32_e64 v1, v1, v2, s2
	v_cndmask_b32_e64 v2, v5, v6, s2
	;; [unrolled: 1-line block ×3, first 2 shown]
	v_cmp_eq_u32_e64 s2, 4, v142
	v_cndmask_b32_e64 v6, v14, v15, s3
	v_cndmask_b32_e64 v1, v1, v11, s6
	v_cmp_eq_u32_e64 s3, 4, v146
	v_cndmask_b32_e64 v2, v2, v15, s6
	v_cndmask_b32_e64 v5, v10, v3, s2
	;; [unrolled: 3-line block ×3, first 2 shown]
	v_cndmask_b32_e64 v2, v2, v7, s3
	v_cmp_eq_u32_e64 s2, 5, v146
	v_cndmask_b32_e64 v5, v5, v12, s6
	v_cmp_eq_u32_e64 s3, 6, v142
	;; [unrolled: 2-line block ×3, first 2 shown]
	v_cndmask_b32_e64 v1, v1, v12, s2
	v_cndmask_b32_e64 v2, v2, v16, s2
	;; [unrolled: 1-line block ×4, first 2 shown]
	v_cmp_eq_u32_e64 s2, 7, v146
	v_cndmask_b32_e64 v1, v1, v4, s6
	v_cndmask_b32_e64 v2, v2, v8, s6
	v_cmp_eq_u32_e64 s3, 7, v142
	v_cndmask_b32_e32 v4, v21, v8, vcc_lo
	v_cndmask_b32_e64 v18, v18, v13, s4
	v_cndmask_b32_e64 v20, v20, v13, s5
	;; [unrolled: 1-line block ×8, first 2 shown]
	s_delay_alu instid0(VALU_DEP_4) | instskip(NEXT) | instid1(VALU_DEP_4)
	v_perm_b32 v4, v2, v1, 0x5040100
	v_perm_b32 v3, v3, v5, 0x5040100
	s_delay_alu instid0(VALU_DEP_4) | instskip(NEXT) | instid1(VALU_DEP_4)
	v_perm_b32 v2, v6, v20, 0x5040100
	v_perm_b32 v1, v7, v18, 0x5040100
	ds_store_b128 v9, v[1:4]
	s_waitcnt lgkmcnt(0)
	s_barrier
	buffer_gl0_inv
	s_and_saveexec_b32 s2, s29
	s_cbranch_execz .LBB495_2
; %bb.111:
	s_load_b64 s[0:1], s[0:1], 0x68
	v_lshlrev_b32_e32 v0, 10, v0
	s_lshl_b32 s2, s34, 6
	v_lshlrev_b32_e32 v1, 4, v140
	v_mul_lo_u32 v4, s2, v139
	s_mul_i32 s3, s2, s30
	v_and_b32_e32 v0, 0x3800, v0
	s_mul_i32 s2, s3, s7
	s_delay_alu instid0(SALU_CYCLE_1) | instskip(NEXT) | instid1(VALU_DEP_1)
	s_ashr_i32 s3, s2, 31
	v_or3_b32 v0, v0, v138, v1
	s_lshl_b64 s[2:3], s[2:3], 1
	s_delay_alu instid0(VALU_DEP_3)
	v_ashrrev_i32_e32 v5, 31, v4
	ds_load_b128 v[0:3], v0
	v_lshlrev_b64 v[4:5], 1, v[4:5]
	s_waitcnt lgkmcnt(0)
	s_add_u32 s2, s0, s2
	s_addc_u32 s3, s1, s3
	s_lshl_b32 s0, s14, 6
	s_delay_alu instid0(SALU_CYCLE_1) | instskip(NEXT) | instid1(SALU_CYCLE_1)
	s_ashr_i32 s1, s0, 31
	s_lshl_b64 s[0:1], s[0:1], 1
	s_delay_alu instid0(SALU_CYCLE_1) | instskip(SKIP_3) | instid1(VALU_DEP_2)
	s_add_u32 s0, s2, s0
	s_addc_u32 s1, s3, s1
	v_add_co_u32 v4, vcc_lo, s0, v4
	v_add_co_ci_u32_e32 v5, vcc_lo, s1, v5, vcc_lo
	v_add_co_u32 v4, vcc_lo, v4, v137
	s_delay_alu instid0(VALU_DEP_2)
	v_add_co_ci_u32_e32 v5, vcc_lo, 0, v5, vcc_lo
	global_store_b128 v[4:5], v[0:3], off
	s_nop 0
	s_sendmsg sendmsg(MSG_DEALLOC_VGPRS)
	s_endpgm
	.section	.rodata,"a",@progbits
	.p2align	6, 0x0
	.amdhsa_kernel _Z39paged_attention_ll4mi_QKV_mfma16_kernelI14__hip_bfloat16S0_LN4vllm18Fp8KVCacheDataTypeE0ES0_Li16ELi64ELi256ELb0ELi2EL8MFMAType0EEvPKT_PKT0_S9_ifPKiSB_SB_iPKfiiiPfSE_PS4_PT2_iSD_SD_
		.amdhsa_group_segment_fixed_size 17472
		.amdhsa_private_segment_fixed_size 0
		.amdhsa_kernarg_size 400
		.amdhsa_user_sgpr_count 13
		.amdhsa_user_sgpr_dispatch_ptr 0
		.amdhsa_user_sgpr_queue_ptr 0
		.amdhsa_user_sgpr_kernarg_segment_ptr 1
		.amdhsa_user_sgpr_dispatch_id 0
		.amdhsa_user_sgpr_private_segment_size 0
		.amdhsa_wavefront_size32 1
		.amdhsa_uses_dynamic_stack 0
		.amdhsa_enable_private_segment 0
		.amdhsa_system_sgpr_workgroup_id_x 1
		.amdhsa_system_sgpr_workgroup_id_y 1
		.amdhsa_system_sgpr_workgroup_id_z 1
		.amdhsa_system_sgpr_workgroup_info 0
		.amdhsa_system_vgpr_workitem_id 0
		.amdhsa_next_free_vgpr 202
		.amdhsa_next_free_sgpr 52
		.amdhsa_reserve_vcc 1
		.amdhsa_float_round_mode_32 0
		.amdhsa_float_round_mode_16_64 0
		.amdhsa_float_denorm_mode_32 3
		.amdhsa_float_denorm_mode_16_64 3
		.amdhsa_dx10_clamp 1
		.amdhsa_ieee_mode 1
		.amdhsa_fp16_overflow 0
		.amdhsa_workgroup_processor_mode 1
		.amdhsa_memory_ordered 1
		.amdhsa_forward_progress 0
		.amdhsa_shared_vgpr_count 0
		.amdhsa_exception_fp_ieee_invalid_op 0
		.amdhsa_exception_fp_denorm_src 0
		.amdhsa_exception_fp_ieee_div_zero 0
		.amdhsa_exception_fp_ieee_overflow 0
		.amdhsa_exception_fp_ieee_underflow 0
		.amdhsa_exception_fp_ieee_inexact 0
		.amdhsa_exception_int_div_zero 0
	.end_amdhsa_kernel
	.section	.text._Z39paged_attention_ll4mi_QKV_mfma16_kernelI14__hip_bfloat16S0_LN4vllm18Fp8KVCacheDataTypeE0ES0_Li16ELi64ELi256ELb0ELi2EL8MFMAType0EEvPKT_PKT0_S9_ifPKiSB_SB_iPKfiiiPfSE_PS4_PT2_iSD_SD_,"axG",@progbits,_Z39paged_attention_ll4mi_QKV_mfma16_kernelI14__hip_bfloat16S0_LN4vllm18Fp8KVCacheDataTypeE0ES0_Li16ELi64ELi256ELb0ELi2EL8MFMAType0EEvPKT_PKT0_S9_ifPKiSB_SB_iPKfiiiPfSE_PS4_PT2_iSD_SD_,comdat
.Lfunc_end495:
	.size	_Z39paged_attention_ll4mi_QKV_mfma16_kernelI14__hip_bfloat16S0_LN4vllm18Fp8KVCacheDataTypeE0ES0_Li16ELi64ELi256ELb0ELi2EL8MFMAType0EEvPKT_PKT0_S9_ifPKiSB_SB_iPKfiiiPfSE_PS4_PT2_iSD_SD_, .Lfunc_end495-_Z39paged_attention_ll4mi_QKV_mfma16_kernelI14__hip_bfloat16S0_LN4vllm18Fp8KVCacheDataTypeE0ES0_Li16ELi64ELi256ELb0ELi2EL8MFMAType0EEvPKT_PKT0_S9_ifPKiSB_SB_iPKfiiiPfSE_PS4_PT2_iSD_SD_
                                        ; -- End function
	.section	.AMDGPU.csdata,"",@progbits
; Kernel info:
; codeLenInByte = 9784
; NumSgprs: 54
; NumVgprs: 202
; ScratchSize: 0
; MemoryBound: 0
; FloatMode: 240
; IeeeMode: 1
; LDSByteSize: 17472 bytes/workgroup (compile time only)
; SGPRBlocks: 6
; VGPRBlocks: 25
; NumSGPRsForWavesPerEU: 54
; NumVGPRsForWavesPerEU: 202
; Occupancy: 7
; WaveLimiterHint : 1
; COMPUTE_PGM_RSRC2:SCRATCH_EN: 0
; COMPUTE_PGM_RSRC2:USER_SGPR: 13
; COMPUTE_PGM_RSRC2:TRAP_HANDLER: 0
; COMPUTE_PGM_RSRC2:TGID_X_EN: 1
; COMPUTE_PGM_RSRC2:TGID_Y_EN: 1
; COMPUTE_PGM_RSRC2:TGID_Z_EN: 1
; COMPUTE_PGM_RSRC2:TIDIG_COMP_CNT: 0
	.section	.text._Z39paged_attention_ll4mi_QKV_mfma16_kernelI14__hip_bfloat16S0_LN4vllm18Fp8KVCacheDataTypeE0ES0_Li16ELi64ELi256ELb0ELi3EL8MFMAType0EEvPKT_PKT0_S9_ifPKiSB_SB_iPKfiiiPfSE_PS4_PT2_iSD_SD_,"axG",@progbits,_Z39paged_attention_ll4mi_QKV_mfma16_kernelI14__hip_bfloat16S0_LN4vllm18Fp8KVCacheDataTypeE0ES0_Li16ELi64ELi256ELb0ELi3EL8MFMAType0EEvPKT_PKT0_S9_ifPKiSB_SB_iPKfiiiPfSE_PS4_PT2_iSD_SD_,comdat
	.protected	_Z39paged_attention_ll4mi_QKV_mfma16_kernelI14__hip_bfloat16S0_LN4vllm18Fp8KVCacheDataTypeE0ES0_Li16ELi64ELi256ELb0ELi3EL8MFMAType0EEvPKT_PKT0_S9_ifPKiSB_SB_iPKfiiiPfSE_PS4_PT2_iSD_SD_ ; -- Begin function _Z39paged_attention_ll4mi_QKV_mfma16_kernelI14__hip_bfloat16S0_LN4vllm18Fp8KVCacheDataTypeE0ES0_Li16ELi64ELi256ELb0ELi3EL8MFMAType0EEvPKT_PKT0_S9_ifPKiSB_SB_iPKfiiiPfSE_PS4_PT2_iSD_SD_
	.globl	_Z39paged_attention_ll4mi_QKV_mfma16_kernelI14__hip_bfloat16S0_LN4vllm18Fp8KVCacheDataTypeE0ES0_Li16ELi64ELi256ELb0ELi3EL8MFMAType0EEvPKT_PKT0_S9_ifPKiSB_SB_iPKfiiiPfSE_PS4_PT2_iSD_SD_
	.p2align	8
	.type	_Z39paged_attention_ll4mi_QKV_mfma16_kernelI14__hip_bfloat16S0_LN4vllm18Fp8KVCacheDataTypeE0ES0_Li16ELi64ELi256ELb0ELi3EL8MFMAType0EEvPKT_PKT0_S9_ifPKiSB_SB_iPKfiiiPfSE_PS4_PT2_iSD_SD_,@function
_Z39paged_attention_ll4mi_QKV_mfma16_kernelI14__hip_bfloat16S0_LN4vllm18Fp8KVCacheDataTypeE0ES0_Li16ELi64ELi256ELb0ELi3EL8MFMAType0EEvPKT_PKT0_S9_ifPKiSB_SB_iPKfiiiPfSE_PS4_PT2_iSD_SD_: ; @_Z39paged_attention_ll4mi_QKV_mfma16_kernelI14__hip_bfloat16S0_LN4vllm18Fp8KVCacheDataTypeE0ES0_Li16ELi64ELi256ELb0ELi3EL8MFMAType0EEvPKT_PKT0_S9_ifPKiSB_SB_iPKfiiiPfSE_PS4_PT2_iSD_SD_
; %bb.0:
	s_load_b64 s[2:3], s[0:1], 0x30
	s_mov_b32 s34, s13
	s_waitcnt lgkmcnt(0)
	s_cmp_lg_u64 s[2:3], 0
	s_cselect_b32 s8, -1, 0
	s_ashr_i32 s35, s13, 31
	s_cmp_eq_u64 s[2:3], 0
	s_cbranch_scc1 .LBB496_3
; %bb.1:
	s_lshl_b64 s[4:5], s[34:35], 2
	s_delay_alu instid0(SALU_CYCLE_1) | instskip(SKIP_4) | instid1(SALU_CYCLE_1)
	s_add_u32 s4, s2, s4
	s_addc_u32 s5, s3, s5
	s_load_b64 s[4:5], s[4:5], 0x0
	s_waitcnt lgkmcnt(0)
	s_sub_i32 s4, s5, s4
	s_cmp_eq_u32 s4, 1
	s_cselect_b32 s4, -1, 0
	s_delay_alu instid0(SALU_CYCLE_1)
	s_and_not1_b32 vcc_lo, exec_lo, s4
	s_cbranch_vccz .LBB496_4
.LBB496_2:
	s_nop 0
	s_sendmsg sendmsg(MSG_DEALLOC_VGPRS)
	s_endpgm
.LBB496_3:
.LBB496_4:
	s_load_b64 s[4:5], s[0:1], 0x28
	s_lshl_b64 s[6:7], s[34:35], 2
	s_waitcnt lgkmcnt(0)
	s_add_u32 s4, s4, s6
	s_addc_u32 s5, s5, s7
	s_lshl_b32 s33, s14, 8
	s_load_b32 s30, s[4:5], 0x0
	s_waitcnt lgkmcnt(0)
	s_cmp_ge_i32 s33, s30
	s_cbranch_scc1 .LBB496_2
; %bb.5:
	s_clause 0x1
	s_load_b128 s[20:23], s[0:1], 0x8
	s_load_b64 s[4:5], s[0:1], 0x20
	s_and_not1_b32 vcc_lo, exec_lo, s8
	s_cbranch_vccnz .LBB496_7
; %bb.6:
	s_add_u32 s2, s2, s6
	s_addc_u32 s3, s3, s7
	s_load_b32 s3, s[2:3], 0x0
	s_branch .LBB496_8
.LBB496_7:
	s_mov_b32 s3, s34
.LBB496_8:
	s_load_b128 s[16:19], s[0:1], 0x48
	v_lshrrev_b32_e32 v149, 5, v0
	v_bfe_u32 v146, v0, 4, 1
	v_and_b32_e32 v148, 15, v0
	v_and_b32_e32 v150, 31, v0
	;; [unrolled: 1-line block ×3, first 2 shown]
	s_mul_i32 s31, s15, 3
	v_lshl_or_b32 v1, v149, 1, v146
	v_lshlrev_b32_e32 v2, 3, v148
	v_cmp_gt_u32_e64 s2, 8, v148
	s_delay_alu instid0(VALU_DEP_3) | instskip(NEXT) | instid1(VALU_DEP_3)
	v_cmp_gt_u32_e32 vcc_lo, 3, v1
	v_lshlrev_b32_e32 v145, 1, v2
	s_delay_alu instid0(VALU_DEP_3) | instskip(NEXT) | instid1(SALU_CYCLE_1)
	s_and_b32 s7, s2, vcc_lo
	s_and_saveexec_b32 s6, s7
	s_cbranch_execz .LBB496_10
; %bb.9:
	s_load_b64 s[8:9], s[0:1], 0x0
	v_add_lshl_u32 v2, v1, s31, 6
	s_waitcnt lgkmcnt(0)
	s_mul_hi_i32 s11, s3, s16
	s_mul_i32 s10, s3, s16
	v_lshlrev_b32_e32 v6, 10, v148
	s_lshl_b64 s[10:11], s[10:11], 1
	v_ashrrev_i32_e32 v3, 31, v2
	v_lshlrev_b32_e32 v1, 6, v1
	v_lshlrev_b32_e32 v7, 10, v147
	v_and_b32_e32 v6, 0x3800, v6
	s_delay_alu instid0(VALU_DEP_4) | instskip(NEXT) | instid1(VALU_DEP_2)
	v_lshlrev_b64 v[2:3], 1, v[2:3]
	v_or3_b32 v1, v6, v7, v1
	s_add_u32 s3, s8, s10
	s_addc_u32 s7, s9, s11
	s_delay_alu instid0(VALU_DEP_2) | instskip(NEXT) | instid1(VALU_DEP_3)
	v_add_co_u32 v2, vcc_lo, s3, v2
	v_add_co_ci_u32_e32 v3, vcc_lo, s7, v3, vcc_lo
	s_delay_alu instid0(VALU_DEP_2) | instskip(NEXT) | instid1(VALU_DEP_2)
	v_add_co_u32 v2, vcc_lo, v2, v145
	v_add_co_ci_u32_e32 v3, vcc_lo, 0, v3, vcc_lo
	global_load_b128 v[2:5], v[2:3], off
	s_waitcnt vmcnt(0)
	ds_store_b128 v1, v[2:5]
.LBB496_10:
	s_or_b32 exec_lo, exec_lo, s6
	v_and_b32_e32 v1, 0xef, v0
	s_waitcnt lgkmcnt(0)
	s_add_i32 s3, s30, 15
	s_clause 0x1
	s_load_b32 s6, s[0:1], 0x38
	s_load_b32 s35, s[0:1], 0x1c
	s_ashr_i32 s7, s3, 31
	v_add_nc_u32_e32 v1, s33, v1
	s_lshr_b32 s7, s7, 28
	s_waitcnt lgkmcnt(0)
	s_add_i32 s3, s3, s7
	s_barrier
	v_ashrrev_i32_e32 v2, 31, v1
	v_or_b32_e32 v3, 16, v1
	s_ashr_i32 s3, s3, 4
	v_cmp_gt_i32_e32 vcc_lo, s30, v1
	s_add_i32 s3, s3, -1
	v_lshrrev_b32_e32 v2, 28, v2
	buffer_gl0_inv
	v_mul_lo_u16 v21, 0x56, v148
	v_lshlrev_b32_e32 v22, 5, v148
	v_add_nc_u32_e32 v4, v1, v2
	s_mul_i32 s6, s34, s6
	s_delay_alu instid0(VALU_DEP_3) | instskip(SKIP_1) | instid1(VALU_DEP_2)
	v_lshrrev_b16 v21, 8, v21
	s_ashr_i32 s7, s6, 31
	v_ashrrev_i32_e32 v4, 4, v4
	v_add_nc_u32_e32 v2, v3, v2
	s_lshl_b64 s[6:7], s[6:7], 2
	v_mul_lo_u16 v21, v21, 3
	s_add_u32 s16, s4, s6
	v_cndmask_b32_e32 v1, s3, v4, vcc_lo
	v_ashrrev_i32_e32 v2, 4, v2
	v_cmp_gt_i32_e32 vcc_lo, s30, v3
	s_addc_u32 s36, s5, s7
	s_mul_i32 s4, s15, s18
	v_sub_nc_u16 v21, v148, v21
	s_ashr_i32 s5, s4, 31
	v_cndmask_b32_e32 v3, s3, v2, vcc_lo
	v_ashrrev_i32_e32 v2, 31, v1
	s_lshl_b64 s[12:13], s[4:5], 1
	v_and_b32_e32 v21, 0xff, v21
	s_add_u32 s26, s20, s12
	v_ashrrev_i32_e32 v4, 31, v3
	v_lshlrev_b64 v[1:2], 2, v[1:2]
	s_addc_u32 s27, s21, s13
	s_lshl_b32 s4, s14, 4
	v_lshlrev_b32_e32 v197, 6, v21
	v_lshlrev_b64 v[3:4], 2, v[3:4]
	s_ashr_i32 s5, s4, 31
	v_add_co_u32 v1, vcc_lo, s16, v1
	v_add_co_ci_u32_e32 v2, vcc_lo, s36, v2, vcc_lo
	s_delay_alu instid0(VALU_DEP_3) | instskip(NEXT) | instid1(VALU_DEP_4)
	v_add_co_u32 v3, vcc_lo, s16, v3
	v_add_co_ci_u32_e32 v4, vcc_lo, s36, v4, vcc_lo
	s_clause 0x1
	global_load_b32 v5, v[1:2], off
	global_load_b32 v6, v[3:4], off
	s_lshl_b64 s[4:5], s[4:5], 2
	v_lshlrev_b32_e32 v3, 4, v0
	s_add_u32 s4, s16, s4
	s_addc_u32 s5, s36, s5
	s_or_b32 s6, s33, 16
	v_lshl_or_b32 v22, v149, 9, v22
	s_ashr_i32 s7, s6, 4
	s_cmp_lt_i32 s6, s30
	s_cselect_b32 s6, s7, s3
	s_delay_alu instid0(SALU_CYCLE_1) | instskip(NEXT) | instid1(SALU_CYCLE_1)
	s_ashr_i32 s7, s6, 31
	s_lshl_b64 s[6:7], s[6:7], 2
	s_delay_alu instid0(SALU_CYCLE_1) | instskip(SKIP_2) | instid1(SALU_CYCLE_1)
	s_add_u32 s6, s16, s6
	s_addc_u32 s7, s36, s7
	s_or_b32 s8, s33, 32
	s_ashr_i32 s9, s8, 4
	s_cmp_lt_i32 s8, s30
	s_cselect_b32 s8, s9, s3
	s_delay_alu instid0(SALU_CYCLE_1) | instskip(NEXT) | instid1(SALU_CYCLE_1)
	s_ashr_i32 s9, s8, 31
	s_lshl_b64 s[8:9], s[8:9], 2
	s_delay_alu instid0(SALU_CYCLE_1) | instskip(SKIP_2) | instid1(SALU_CYCLE_1)
	s_add_u32 s8, s16, s8
	s_addc_u32 s9, s36, s9
	s_or_b32 s10, s33, 48
	;; [unrolled: 10-line block ×4, first 2 shown]
	s_ashr_i32 s18, s15, 4
	s_cmp_lt_i32 s15, s30
	s_cselect_b32 s18, s18, s3
	s_delay_alu instid0(SALU_CYCLE_1) | instskip(NEXT) | instid1(SALU_CYCLE_1)
	s_ashr_i32 s19, s18, 31
	s_lshl_b64 s[18:19], s[18:19], 2
	s_delay_alu instid0(SALU_CYCLE_1)
	s_add_u32 s24, s16, s18
	s_addc_u32 s25, s36, s19
	s_clause 0x5
	s_load_b32 s37, s[4:5], 0x0
	s_load_b32 s29, s[6:7], 0x0
	;; [unrolled: 1-line block ×6, first 2 shown]
	s_waitcnt vmcnt(1)
	v_mad_i64_i32 v[1:2], null, v5, s17, 0
	v_and_b32_e32 v5, 0xf0, v3
	s_waitcnt vmcnt(0)
	v_mad_i64_i32 v[3:4], null, v6, s17, 0
	s_delay_alu instid0(VALU_DEP_2) | instskip(NEXT) | instid1(VALU_DEP_4)
	v_add_co_u32 v5, s4, s26, v5
	v_lshlrev_b64 v[1:2], 1, v[1:2]
	v_add_co_ci_u32_e64 v6, null, s27, 0, s4
	s_delay_alu instid0(VALU_DEP_4) | instskip(SKIP_1) | instid1(VALU_DEP_3)
	v_lshlrev_b64 v[3:4], 1, v[3:4]
	s_or_b32 s4, s33, 0x60
	v_add_co_u32 v19, vcc_lo, v5, v1
	s_delay_alu instid0(VALU_DEP_3) | instskip(NEXT) | instid1(VALU_DEP_3)
	v_add_co_ci_u32_e32 v20, vcc_lo, v6, v2, vcc_lo
	v_add_co_u32 v17, vcc_lo, v5, v3
	s_delay_alu instid0(VALU_DEP_4)
	v_add_co_ci_u32_e32 v18, vcc_lo, v6, v4, vcc_lo
	s_clause 0xb
	global_load_b128 v[1:4], v[19:20], off
	global_load_b128 v[5:8], v[19:20], off offset:256
	global_load_b128 v[129:132], v[17:18], off
	global_load_b128 v[133:136], v[17:18], off offset:256
	global_load_b128 v[33:36], v[19:20], off offset:512
	;; [unrolled: 1-line block ×9, first 2 shown]
	ds_load_b128 v[159:162], v197
	ds_load_b128 v[163:166], v197 offset:1024
	s_clause 0x3
	global_load_b128 v[167:170], v[19:20], off offset:1536
	global_load_b128 v[171:174], v[19:20], off offset:1792
	global_load_b128 v[175:178], v[17:18], off offset:1536
	global_load_b128 v[179:182], v[17:18], off offset:1792
	s_ashr_i32 s5, s4, 4
	s_cmp_lt_i32 s4, s30
	s_cselect_b32 s4, s5, s3
	s_delay_alu instid0(SALU_CYCLE_1) | instskip(NEXT) | instid1(SALU_CYCLE_1)
	s_ashr_i32 s5, s4, 31
	s_lshl_b64 s[4:5], s[4:5], 2
	s_delay_alu instid0(SALU_CYCLE_1) | instskip(SKIP_2) | instid1(SALU_CYCLE_1)
	s_add_u32 s20, s16, s4
	s_addc_u32 s21, s36, s5
	s_or_b32 s4, s33, 0x70
	s_ashr_i32 s5, s4, 4
	s_cmp_lt_i32 s4, s30
	s_cselect_b32 s4, s5, s3
	s_delay_alu instid0(SALU_CYCLE_1) | instskip(NEXT) | instid1(SALU_CYCLE_1)
	s_ashr_i32 s5, s4, 31
	s_lshl_b64 s[6:7], s[4:5], 2
	s_mov_b32 s4, 0
	s_add_u32 s24, s16, s6
	s_addc_u32 s25, s36, s7
	s_or_b32 s5, s33, 0x80
	s_mov_b32 s11, s4
	s_ashr_i32 s6, s5, 4
	s_cmp_lt_i32 s5, s30
	s_mov_b32 s5, s4
	s_cselect_b32 s8, s6, s3
	s_mov_b32 s6, s4
	s_ashr_i32 s9, s8, 31
	s_mov_b32 s7, s4
	s_lshl_b64 s[8:9], s[8:9], 2
	s_load_b32 s46, s[24:25], 0x0
	s_add_u32 s26, s16, s8
	s_addc_u32 s27, s36, s9
	s_or_b32 s9, s33, 0x90
	s_load_b32 s47, s[26:27], 0x0
	s_ashr_i32 s10, s9, 4
	s_cmp_lt_i32 s9, s30
	s_mov_b32 s8, s4
	s_cselect_b32 s38, s10, s3
	s_mov_b32 s9, s4
	s_ashr_i32 s39, s38, 31
	s_mov_b32 s10, s4
	s_lshl_b64 s[38:39], s[38:39], 2
	v_mov_b32_e32 v144, s11
	s_add_u32 s38, s16, s38
	s_addc_u32 s39, s36, s39
	s_or_b32 s40, s33, 0xa0
	v_mov_b32_e32 v143, s10
	s_ashr_i32 s41, s40, 4
	s_cmp_lt_i32 s40, s30
	v_mov_b32_e32 v142, s9
	s_cselect_b32 s40, s41, s3
	v_mov_b32_e32 v141, s8
	s_ashr_i32 s41, s40, 31
	v_dual_mov_b32 v140, s7 :: v_dual_mov_b32 v139, s6
	v_dual_mov_b32 v138, s5 :: v_dual_mov_b32 v137, s4
	s_lshl_b64 s[4:5], s[40:41], 2
	s_waitcnt lgkmcnt(0)
	s_mul_hi_i32 s7, s29, s17
	s_add_u32 s42, s16, s4
	s_addc_u32 s43, s36, s5
	s_or_b32 s4, s33, 0xb0
	s_mul_hi_i32 s5, s37, s17
	s_ashr_i32 s6, s4, 4
	s_cmp_lt_i32 s4, s30
	s_mul_i32 s4, s37, s17
	s_cselect_b32 s8, s6, s3
	s_mul_i32 s6, s29, s17
	s_ashr_i32 s9, s8, 31
	s_load_b32 s41, s[20:21], 0x0
	s_lshl_b64 s[8:9], s[8:9], 2
	s_load_b32 s40, s[38:39], 0x0
	s_add_u32 s44, s16, s8
	s_addc_u32 s45, s36, s9
	s_or_b32 s8, s33, 0xc0
	s_mul_hi_i32 s9, s28, s17
	s_ashr_i32 s10, s8, 4
	s_cmp_lt_i32 s8, s30
	s_mul_i32 s8, s28, s17
	s_cselect_b32 s28, s10, s3
	s_load_b32 s39, s[42:43], 0x0
	s_ashr_i32 s29, s28, 31
	s_mul_hi_i32 s21, s15, s17
	s_lshl_b64 s[28:29], s[28:29], 2
	s_mul_hi_i32 s27, s46, s17
	s_add_u32 s28, s16, s28
	s_addc_u32 s29, s36, s29
	s_or_b32 s37, s33, 0xd0
	s_mul_i32 s26, s46, s17
	s_ashr_i32 s20, s37, 4
	s_cmp_lt_i32 s37, s30
	s_mul_hi_i32 s11, s19, s17
	s_cselect_b32 s24, s20, s3
	s_mul_i32 s20, s15, s17
	s_ashr_i32 s25, s24, 31
	s_mul_i32 s10, s19, s17
	s_lshl_b64 s[24:25], s[24:25], 2
	s_mul_hi_i32 s19, s18, s17
	s_add_u32 s24, s16, s24
	s_addc_u32 s25, s36, s25
	s_or_b32 s42, s33, 0xe0
	s_clause 0x2
	s_load_b32 s38, s[44:45], 0x0
	s_load_b32 s37, s[28:29], 0x0
	;; [unrolled: 1-line block ×3, first 2 shown]
	s_ashr_i32 s43, s42, 4
	s_cmp_lt_i32 s42, s30
	s_mul_hi_i32 s29, s47, s17
	s_cselect_b32 s42, s43, s3
	s_mul_i32 s28, s47, s17
	s_ashr_i32 s43, s42, 31
	s_mul_i32 s18, s18, s17
	s_lshl_b64 s[42:43], s[42:43], 2
	s_waitcnt lgkmcnt(0)
	s_mul_hi_i32 s25, s41, s17
	s_add_u32 s42, s16, s42
	s_addc_u32 s43, s36, s43
	s_or_b32 s46, s33, 0xf0
	s_mul_i32 s24, s41, s17
	s_ashr_i32 s47, s46, 4
	s_cmp_lt_i32 s46, s30
	s_mul_hi_i32 s41, s40, s17
	s_cselect_b32 s46, s47, s3
	s_mul_i32 s40, s40, s17
	s_ashr_i32 s47, s46, 31
	s_mul_hi_i32 s51, s15, s17
	s_lshl_b64 s[46:47], s[46:47], 2
	s_mul_i32 s50, s15, s17
	s_add_u32 s46, s16, s46
	s_addc_u32 s47, s36, s47
	s_add_u32 s3, s22, s12
	s_addc_u32 s15, s23, s13
	v_add_co_u32 v195, s3, s3, v22
	s_delay_alu instid0(VALU_DEP_1) | instskip(SKIP_2) | instid1(VALU_DEP_2)
	v_add_co_ci_u32_e64 v196, null, s15, 0, s3
	s_lshl_b64 s[4:5], s[4:5], 1
	s_lshl_b64 s[6:7], s[6:7], 1
	v_add_co_u32 v17, vcc_lo, v195, s4
	s_delay_alu instid0(VALU_DEP_2)
	v_add_co_ci_u32_e32 v18, vcc_lo, s5, v196, vcc_lo
	v_add_co_u32 v19, vcc_lo, v195, s6
	s_lshl_b64 s[8:9], s[8:9], 1
	v_add_co_ci_u32_e32 v20, vcc_lo, s7, v196, vcc_lo
	v_add_co_u32 v21, vcc_lo, v195, s8
	s_lshl_b64 s[10:11], s[10:11], 1
	;; [unrolled: 3-line block ×8, first 2 shown]
	s_mul_hi_i32 s45, s39, s17
	s_mul_i32 s44, s39, s17
	v_add_co_ci_u32_e32 v50, vcc_lo, s25, v196, vcc_lo
	v_add_co_u32 v53, vcc_lo, v195, s26
	s_lshl_b64 s[28:29], s[44:45], 1
	s_mul_hi_i32 s39, s38, s17
	s_mul_i32 s38, s38, s17
	v_add_co_ci_u32_e32 v54, vcc_lo, s27, v196, vcc_lo
	v_add_co_u32 v183, vcc_lo, v195, s28
	s_mul_hi_i32 s49, s37, s17
	s_mul_i32 s48, s37, s17
	s_lshl_b64 s[36:37], s[38:39], 1
	v_add_co_ci_u32_e32 v184, vcc_lo, s29, v196, vcc_lo
	v_add_co_u32 v185, vcc_lo, v195, s36
	s_lshl_b64 s[38:39], s[48:49], 1
	s_clause 0x1
	s_load_b32 s3, s[42:43], 0x0
	s_load_b32 s15, s[46:47], 0x0
	v_add_co_ci_u32_e32 v186, vcc_lo, s37, v196, vcc_lo
	v_add_co_u32 v191, vcc_lo, v195, s38
	v_add_co_ci_u32_e32 v192, vcc_lo, s39, v196, vcc_lo
	s_clause 0x17
	global_load_b128 v[121:124], v[17:18], off
	global_load_b128 v[125:128], v[17:18], off offset:16
	global_load_b128 v[113:116], v[19:20], off
	global_load_b128 v[117:120], v[19:20], off offset:16
	;; [unrolled: 2-line block ×12, first 2 shown]
	s_lshl_b64 s[40:41], s[50:51], 1
	s_delay_alu instid0(SALU_CYCLE_1)
	v_add_co_u32 v193, vcc_lo, v195, s40
	v_add_co_ci_u32_e32 v194, vcc_lo, s41, v196, vcc_lo
	s_waitcnt lgkmcnt(0)
	s_mul_hi_i32 s5, s3, s17
	s_mul_i32 s4, s3, s17
	s_mul_hi_i32 s7, s15, s17
	s_lshl_b64 s[4:5], s[4:5], 1
	s_mul_i32 s6, s15, s17
	s_waitcnt vmcnt(38)
	v_wmma_f32_16x16x16_bf16 v[183:190], v[1:8], v[159:166], v[137:144]
	s_waitcnt vmcnt(36)
	v_wmma_f32_16x16x16_bf16 v[137:144], v[129:136], v[159:166], v[137:144]
	s_clause 0x1
	global_load_b128 v[1:4], v[191:192], off
	global_load_b128 v[5:8], v[191:192], off offset:16
	ds_load_b128 v[129:132], v197 offset:2048
	ds_load_b128 v[133:136], v197 offset:3072
	;; [unrolled: 1-line block ×4, first 2 shown]
	v_add_co_u32 v191, vcc_lo, v195, s4
	v_add_co_ci_u32_e32 v192, vcc_lo, s5, v196, vcc_lo
	s_lshl_b64 s[4:5], s[6:7], 1
	s_delay_alu instid0(SALU_CYCLE_1)
	v_add_co_u32 v195, vcc_lo, v195, s4
	v_add_co_ci_u32_e32 v196, vcc_lo, s5, v196, vcc_lo
	s_waitcnt vmcnt(36) lgkmcnt(2)
	v_wmma_f32_16x16x16_bf16 v[183:190], v[33:40], v[129:136], v[183:190]
	s_waitcnt vmcnt(34)
	v_wmma_f32_16x16x16_bf16 v[137:144], v[25:32], v[129:136], v[137:144]
	s_clause 0x3
	global_load_b128 v[25:28], v[193:194], off
	global_load_b128 v[29:32], v[193:194], off offset:16
	global_load_b128 v[33:36], v[191:192], off
	global_load_b128 v[37:40], v[191:192], off offset:16
	v_and_b32_e32 v129, 0xe0, v0
	v_mbcnt_lo_u32_b32 v191, -1, 0
	s_waitcnt vmcnt(36) lgkmcnt(0)
	v_wmma_f32_16x16x16_bf16 v[183:190], v[9:16], v[159:166], v[183:190]
	s_clause 0x1
	global_load_b128 v[9:12], v[195:196], off
	global_load_b128 v[13:16], v[195:196], off offset:16
	s_waitcnt vmcnt(36)
	v_wmma_f32_16x16x16_bf16 v[137:144], v[151:158], v[159:166], v[137:144]
	v_add_nc_u32_e32 v192, s33, v129
	ds_load_b128 v[129:132], v197 offset:6144
	ds_load_b128 v[133:136], v197 offset:7168
	v_xor_b32_e32 v151, 16, v191
	s_waitcnt vmcnt(0) lgkmcnt(0)
	s_barrier
	v_or_b32_e32 v152, v192, v146
	buffer_gl0_inv
	v_cmp_gt_i32_e32 vcc_lo, 32, v151
	v_or_b32_e32 v153, 2, v152
	v_or_b32_e32 v154, 4, v152
	;; [unrolled: 1-line block ×5, first 2 shown]
	v_cmp_gt_i32_e64 s3, s30, v153
	v_or_b32_e32 v158, 12, v152
	v_cmp_gt_i32_e64 s4, s30, v154
	v_cmp_gt_i32_e64 s5, s30, v155
	v_or_b32_e32 v159, 14, v152
	v_cmp_gt_i32_e64 s6, s30, v156
	v_wmma_f32_16x16x16_bf16 v[183:190], v[167:174], v[129:136], v[183:190]
	v_wmma_f32_16x16x16_bf16 v[137:144], v[175:182], v[129:136], v[137:144]
	v_cndmask_b32_e32 v151, v191, v151, vcc_lo
	v_cmp_gt_i32_e32 vcc_lo, s30, v152
	v_cmp_gt_i32_e64 s7, s30, v157
	v_dual_mul_f32 v135, s35, v184 :: v_dual_mul_f32 v136, s35, v183
	v_mul_f32_e32 v134, s35, v185
	v_dual_mul_f32 v168, s35, v144 :: v_dual_mul_f32 v133, s35, v186
	s_delay_alu instid0(VALU_DEP_3) | instskip(NEXT) | instid1(VALU_DEP_4)
	v_cndmask_b32_e64 v135, 0xff7fffff, v135, s3
	v_cndmask_b32_e32 v136, 0xff7fffff, v136, vcc_lo
	v_dual_mul_f32 v131, s35, v188 :: v_dual_mul_f32 v174, s35, v138
	v_mul_f32_e32 v132, s35, v187
	v_cndmask_b32_e64 v134, 0xff7fffff, v134, s4
	s_delay_alu instid0(VALU_DEP_4)
	v_max3_f32 v135, v136, 0xff7fffff, v135
	v_cmp_gt_i32_e64 s8, s30, v158
	v_lshlrev_b32_e32 v158, 2, v151
	v_cndmask_b32_e64 v133, 0xff7fffff, v133, s5
	v_or_b32_e32 v160, 16, v152
	v_or_b32_e32 v161, 18, v152
	v_dual_mul_f32 v129, s35, v190 :: v_dual_mul_f32 v172, s35, v140
	v_mul_f32_e32 v130, s35, v189
	v_cndmask_b32_e64 v132, 0xff7fffff, v132, s6
	v_cndmask_b32_e64 v131, 0xff7fffff, v131, s7
	v_max3_f32 v133, v135, v134, v133
	v_cmp_gt_i32_e64 s9, s30, v159
	v_or_b32_e32 v162, 20, v152
	v_or_b32_e32 v163, 22, v152
	v_mul_f32_e32 v175, s35, v137
	v_cndmask_b32_e64 v130, 0xff7fffff, v130, s8
	v_cndmask_b32_e64 v129, 0xff7fffff, v129, s9
	v_max3_f32 v131, v133, v132, v131
	v_cmp_gt_i32_e64 s10, s30, v160
	v_cmp_gt_i32_e64 s11, s30, v161
	v_or_b32_e32 v164, 24, v152
	v_or_b32_e32 v165, 26, v152
	v_mul_f32_e32 v173, s35, v139
	v_cndmask_b32_e64 v132, 0xff7fffff, v175, s10
	v_cndmask_b32_e64 v133, 0xff7fffff, v174, s11
	v_max3_f32 v129, v131, v130, v129
	v_cmp_gt_i32_e64 s12, s30, v162
	v_cmp_gt_i32_e64 s13, s30, v163
	v_or_b32_e32 v166, 28, v152
	v_or_b32_e32 v167, 30, v152
	v_dual_mul_f32 v170, s35, v142 :: v_dual_mul_f32 v171, s35, v141
	v_cndmask_b32_e64 v130, 0xff7fffff, v173, s12
	v_cndmask_b32_e64 v131, 0xff7fffff, v172, s13
	v_max3_f32 v129, v129, v132, v133
	v_cmp_gt_i32_e64 s15, s30, v164
	v_cmp_gt_i32_e64 s16, s30, v165
	v_mul_f32_e32 v169, s35, v143
	v_cmp_gt_i32_e64 s17, s30, v166
	v_max3_f32 v129, v129, v130, v131
	v_cndmask_b32_e64 v132, 0xff7fffff, v171, s15
	v_cndmask_b32_e64 v133, 0xff7fffff, v170, s16
	v_cmp_gt_i32_e64 s18, s30, v167
	v_cndmask_b32_e64 v130, 0xff7fffff, v169, s17
	s_delay_alu instid0(VALU_DEP_3) | instskip(NEXT) | instid1(VALU_DEP_3)
	v_max3_f32 v129, v129, v132, v133
	v_cndmask_b32_e64 v131, 0xff7fffff, v168, s18
	s_delay_alu instid0(VALU_DEP_1) | instskip(SKIP_3) | instid1(VALU_DEP_1)
	v_max3_f32 v129, v129, v130, v131
	ds_bpermute_b32 v130, v158, v129
	s_waitcnt lgkmcnt(0)
	v_max_f32_e32 v130, v130, v130
	v_max_f32_e32 v129, v129, v130
	s_delay_alu instid0(VALU_DEP_1)
	v_fma_f32 v130, s35, v183, -v129
	v_fma_f32 v132, s35, v185, -v129
	;; [unrolled: 1-line block ×5, first 2 shown]
	v_mul_f32_e32 v130, 0x3fb8aa3b, v130
	v_mul_f32_e32 v132, 0x3fb8aa3b, v132
	v_fma_f32 v135, s35, v189, -v129
	v_mul_f32_e32 v134, 0x3fb8aa3b, v134
	s_delay_alu instid0(VALU_DEP_4) | instskip(NEXT) | instid1(VALU_DEP_3)
	v_exp_f32_e32 v130, v130
	v_exp_f32_e32 v132, v132
	s_delay_alu instid0(VALU_DEP_1) | instskip(NEXT) | instid1(TRANS32_DEP_3)
	v_exp_f32_e32 v134, v134
	v_cndmask_b32_e32 v152, 0, v130, vcc_lo
	v_fma_f32 v130, s35, v188, -v129
	v_mul_f32_e32 v131, 0x3fb8aa3b, v131
	s_waitcnt_depctr 0xfff
	v_cndmask_b32_e64 v153, 0, v132, s4
	v_fma_f32 v132, s35, v190, -v129
	v_dual_mul_f32 v133, 0x3fb8aa3b, v133 :: v_dual_mul_f32 v130, 0x3fb8aa3b, v130
	v_exp_f32_e32 v131, v131
	v_cndmask_b32_e64 v155, 0, v134, s6
	s_delay_alu instid0(VALU_DEP_3) | instskip(NEXT) | instid1(VALU_DEP_3)
	v_mul_f32_e32 v132, 0x3fb8aa3b, v132
	v_exp_f32_e32 v133, v133
	v_exp_f32_e32 v130, v130
	v_fma_f32 v134, s35, v138, -v129
	s_delay_alu instid0(VALU_DEP_2) | instskip(SKIP_1) | instid1(VALU_DEP_2)
	v_exp_f32_e32 v132, v132
	v_cndmask_b32_e64 v151, 0, v131, s3
	v_dual_add_f32 v131, 0, v152 :: v_dual_mul_f32 v134, 0x3fb8aa3b, v134
	s_delay_alu instid0(TRANS32_DEP_3)
	v_cndmask_b32_e64 v154, 0, v133, s5
	s_waitcnt_depctr 0xfff
	v_cndmask_b32_e64 v156, 0, v130, s7
	v_fma_f32 v133, s35, v137, -v129
	v_add_f32_e32 v131, v131, v151
	v_exp_f32_e32 v134, v134
	v_cmp_gt_u32_e64 s3, 16, v150
	s_delay_alu instid0(VALU_DEP_2) | instskip(NEXT) | instid1(VALU_DEP_1)
	v_add_f32_e32 v131, v131, v153
	v_add_f32_e32 v131, v131, v154
	s_delay_alu instid0(VALU_DEP_1) | instskip(SKIP_1) | instid1(VALU_DEP_2)
	v_dual_mul_f32 v133, 0x3fb8aa3b, v133 :: v_dual_add_f32 v130, v131, v155
	v_fma_f32 v131, s35, v139, -v129
	v_exp_f32_e32 v133, v133
	v_fma_f32 v139, s35, v144, -v129
	s_delay_alu instid0(VALU_DEP_3) | instskip(NEXT) | instid1(VALU_DEP_1)
	v_dual_add_f32 v130, v130, v156 :: v_dual_mul_f32 v135, 0x3fb8aa3b, v135
	v_exp_f32_e32 v135, v135
	s_waitcnt_depctr 0xfff
	v_cndmask_b32_e64 v157, 0, v135, s8
	v_fma_f32 v135, s35, v140, -v129
	v_cndmask_b32_e64 v140, 0, v132, s9
	v_fma_f32 v132, s35, v141, -v129
	s_delay_alu instid0(VALU_DEP_4) | instskip(NEXT) | instid1(VALU_DEP_1)
	v_add_f32_e32 v130, v130, v157
	v_add_f32_e32 v130, v130, v140
	s_delay_alu instid0(VALU_DEP_3) | instskip(SKIP_4) | instid1(VALU_DEP_3)
	v_mul_f32_e32 v137, 0x3fb8aa3b, v132
	v_cndmask_b32_e64 v132, 0, v134, s11
	v_mul_f32_e32 v131, 0x3fb8aa3b, v131
	v_fma_f32 v134, s35, v143, -v129
	v_mul_f32_e32 v135, 0x3fb8aa3b, v135
	v_exp_f32_e32 v136, v131
	v_cndmask_b32_e64 v131, 0, v133, s10
	v_fma_f32 v133, s35, v142, -v129
	s_delay_alu instid0(VALU_DEP_2) | instskip(NEXT) | instid1(VALU_DEP_2)
	v_add_f32_e32 v130, v130, v131
	v_mul_f32_e32 v138, 0x3fb8aa3b, v133
	v_exp_f32_e32 v137, v137
	s_waitcnt_depctr 0xfff
	v_cndmask_b32_e64 v133, 0, v136, s12
	v_mul_f32_e32 v136, 0x3fb8aa3b, v134
	v_exp_f32_e32 v135, v135
	v_add_f32_e32 v130, v130, v132
	v_exp_f32_e32 v138, v138
	s_delay_alu instid0(VALU_DEP_2) | instskip(NEXT) | instid1(VALU_DEP_1)
	v_exp_f32_e32 v141, v136
	v_add_f32_e32 v130, v130, v133
	s_delay_alu instid0(TRANS32_DEP_3)
	v_cndmask_b32_e64 v134, 0, v135, s13
	v_cndmask_b32_e64 v135, 0, v137, s15
	v_mul_f32_e32 v137, 0x3fb8aa3b, v139
	s_waitcnt_depctr 0xfff
	v_cndmask_b32_e64 v136, 0, v138, s16
	v_add_f32_e32 v130, v130, v134
	v_exp_f32_e32 v138, v137
	v_cndmask_b32_e64 v137, 0, v141, s17
	s_delay_alu instid0(VALU_DEP_2) | instskip(NEXT) | instid1(VALU_DEP_1)
	v_add_f32_e32 v130, v130, v135
	v_add_f32_e32 v130, v130, v136
	s_waitcnt_depctr 0xfff
	v_cndmask_b32_e64 v138, 0, v138, s18
	v_add_f32_e32 v130, v130, v137
	s_delay_alu instid0(VALU_DEP_1)
	v_add_f32_e32 v130, v130, v138
	ds_bpermute_b32 v139, v158, v130
	s_and_saveexec_b32 s4, s3
	s_cbranch_execz .LBB496_12
; %bb.11:
	v_mul_u32_u24_e32 v141, 0x44, v149
	s_delay_alu instid0(VALU_DEP_1) | instskip(SKIP_1) | instid1(VALU_DEP_1)
	v_lshl_add_u32 v141, v148, 2, v141
	s_waitcnt lgkmcnt(0)
	v_dual_add_f32 v130, v130, v139 :: v_dual_add_nc_u32 v139, 0x4000, v141
	ds_store_2addr_b32 v139, v129, v130 offset1:136
.LBB496_12:
	s_or_b32 exec_lo, exec_lo, s4
	v_lshlrev_b32_e32 v129, 2, v148
	s_waitcnt lgkmcnt(0)
	s_barrier
	buffer_gl0_inv
	v_cmp_eq_u32_e64 s4, 1, v149
	v_add_nc_u32_e32 v139, 0x4000, v129
	ds_load_2addr_b32 v[141:142], v139 offset1:17
	ds_load_2addr_b32 v[143:144], v139 offset0:34 offset1:51
	ds_load_2addr_b32 v[158:159], v139 offset0:68 offset1:85
	;; [unrolled: 1-line block ×4, first 2 shown]
	s_waitcnt lgkmcnt(4)
	v_max3_f32 v129, v141, 0xff7fffff, v142
	s_waitcnt lgkmcnt(3)
	s_delay_alu instid0(VALU_DEP_1) | instskip(SKIP_1) | instid1(VALU_DEP_1)
	v_max3_f32 v129, v129, v143, v144
	s_waitcnt lgkmcnt(2)
	v_max3_f32 v129, v129, v158, v159
	s_waitcnt lgkmcnt(1)
	s_delay_alu instid0(VALU_DEP_1) | instskip(NEXT) | instid1(VALU_DEP_1)
	v_max3_f32 v129, v129, v160, v161
	v_sub_f32_e32 v158, v158, v129
	s_delay_alu instid0(VALU_DEP_1) | instskip(NEXT) | instid1(VALU_DEP_1)
	v_dual_sub_f32 v150, v142, v129 :: v_dual_mul_f32 v167, 0x3fb8aa3b, v158
	v_dual_sub_f32 v143, v143, v129 :: v_dual_mul_f32 v150, 0x3fb8aa3b, v150
	s_delay_alu instid0(VALU_DEP_1) | instskip(NEXT) | instid1(VALU_DEP_2)
	v_dual_sub_f32 v130, v141, v129 :: v_dual_mul_f32 v165, 0x3fb8aa3b, v143
	v_exp_f32_e32 v150, v150
	s_delay_alu instid0(VALU_DEP_1) | instskip(NEXT) | instid1(VALU_DEP_2)
	v_mul_f32_e32 v130, 0x3fb8aa3b, v130
	v_exp_f32_e32 v165, v165
	s_delay_alu instid0(VALU_DEP_1) | instskip(SKIP_1) | instid1(VALU_DEP_1)
	v_exp_f32_e32 v164, v130
	v_sub_f32_e32 v130, v144, v129
	v_mul_f32_e32 v166, 0x3fb8aa3b, v130
	s_waitcnt lgkmcnt(0)
	s_waitcnt_depctr 0xfff
	v_fma_f32 v130, v164, v162, 0
	v_sub_f32_e32 v162, v159, v129
	s_delay_alu instid0(VALU_DEP_2)
	v_fmac_f32_e32 v130, v150, v163
	ds_load_2addr_b32 v[141:142], v139 offset0:170 offset1:187
	ds_load_2addr_b32 v[143:144], v139 offset0:204 offset1:221
	;; [unrolled: 1-line block ×3, first 2 shown]
	v_sub_f32_e32 v139, v160, v129
	v_exp_f32_e32 v166, v166
	v_mul_f32_e32 v160, 0x3fb8aa3b, v162
	v_exp_f32_e32 v162, v167
	v_cndmask_b32_e64 v150, v164, v150, s4
	v_mul_f32_e32 v139, 0x3fb8aa3b, v139
	v_cmp_eq_u32_e64 s4, 2, v149
	s_waitcnt lgkmcnt(0)
	s_barrier
	buffer_gl0_inv
	v_exp_f32_e32 v139, v139
	v_cndmask_b32_e64 v150, v150, v165, s4
	v_cmp_eq_u32_e64 s4, 3, v149
	v_fmac_f32_e32 v130, v165, v141
	v_sub_f32_e32 v141, v161, v129
	v_exp_f32_e32 v160, v160
	s_delay_alu instid0(VALU_DEP_3) | instskip(SKIP_1) | instid1(VALU_DEP_3)
	v_cndmask_b32_e64 v150, v150, v166, s4
	v_cmp_eq_u32_e64 s4, 4, v149
	v_dual_fmac_f32 v130, v166, v142 :: v_dual_mul_f32 v141, 0x3fb8aa3b, v141
	s_delay_alu instid0(VALU_DEP_2) | instskip(SKIP_1) | instid1(VALU_DEP_3)
	v_cndmask_b32_e64 v150, v150, v162, s4
	v_cmp_eq_u32_e64 s4, 5, v149
	v_exp_f32_e32 v141, v141
	s_delay_alu instid0(VALU_DEP_3)
	v_fmac_f32_e32 v130, v162, v143
	s_delay_alu instid0(TRANS32_DEP_2) | instid1(VALU_DEP_2)
	v_cndmask_b32_e64 v150, v150, v160, s4
	s_delay_alu instid0(VALU_DEP_2) | instskip(NEXT) | instid1(VALU_DEP_1)
	v_fmac_f32_e32 v130, v160, v144
	v_fmac_f32_e32 v130, v139, v158
	s_waitcnt_depctr 0xfff
	v_fmac_f32_e32 v130, v141, v159
	s_delay_alu instid0(VALU_DEP_1) | instskip(NEXT) | instid1(VALU_DEP_1)
	v_add_f32_e32 v142, 0x358637bd, v130
	v_div_scale_f32 v143, null, v142, v142, 1.0
	v_div_scale_f32 v159, vcc_lo, 1.0, v142, 1.0
	s_delay_alu instid0(VALU_DEP_2) | instskip(SKIP_2) | instid1(VALU_DEP_1)
	v_rcp_f32_e32 v144, v143
	s_waitcnt_depctr 0xfff
	v_fma_f32 v158, -v143, v144, 1.0
	v_fmac_f32_e32 v144, v158, v144
	s_delay_alu instid0(VALU_DEP_1) | instskip(NEXT) | instid1(VALU_DEP_1)
	v_mul_f32_e32 v158, v159, v144
	v_fma_f32 v161, -v143, v158, v159
	s_delay_alu instid0(VALU_DEP_1) | instskip(NEXT) | instid1(VALU_DEP_1)
	v_fmac_f32_e32 v158, v161, v144
	v_fma_f32 v143, -v143, v158, v159
	s_delay_alu instid0(VALU_DEP_1) | instskip(SKIP_1) | instid1(VALU_DEP_2)
	v_div_fmas_f32 v143, v143, v144, v158
	v_cmp_eq_u32_e32 vcc_lo, 6, v149
	v_div_fixup_f32 v142, v143, v142, 1.0
	v_cndmask_b32_e32 v139, v150, v139, vcc_lo
	v_cmp_eq_u32_e32 vcc_lo, 7, v149
	s_delay_alu instid0(VALU_DEP_2) | instskip(NEXT) | instid1(VALU_DEP_1)
	v_cndmask_b32_e32 v139, v139, v141, vcc_lo
	v_mul_f32_e32 v139, v139, v142
	s_delay_alu instid0(VALU_DEP_1) | instskip(SKIP_4) | instid1(VALU_DEP_4)
	v_mul_f32_e32 v153, v139, v153
	v_mul_f32_e32 v142, v139, v152
	;; [unrolled: 1-line block ×5, first 2 shown]
	v_dual_mul_f32 v152, v139, v155 :: v_dual_and_b32 v141, 0x7f800000, v142
	v_mul_f32_e32 v154, v139, v154
	v_mul_f32_e32 v144, v139, v151
	s_delay_alu instid0(VALU_DEP_3) | instskip(SKIP_1) | instid1(SALU_CYCLE_1)
	v_cmp_ne_u32_e32 vcc_lo, 0x7f800000, v141
                                        ; implicit-def: $vgpr141
	s_and_saveexec_b32 s4, vcc_lo
	s_xor_b32 s4, exec_lo, s4
; %bb.13:
	v_bfe_u32 v141, v142, 16, 1
	s_delay_alu instid0(VALU_DEP_1)
	v_add3_u32 v141, v142, v141, 0x7fff
                                        ; implicit-def: $vgpr142
; %bb.14:
	s_and_not1_saveexec_b32 s4, s4
; %bb.15:
	v_and_b32_e32 v141, 0xffff, v142
	v_or_b32_e32 v151, 0x10000, v142
	s_delay_alu instid0(VALU_DEP_2) | instskip(NEXT) | instid1(VALU_DEP_2)
	v_cmp_eq_u32_e32 vcc_lo, 0, v141
	v_cndmask_b32_e32 v141, v151, v142, vcc_lo
; %bb.16:
	s_or_b32 exec_lo, exec_lo, s4
	v_and_b32_e32 v142, 0x7f800000, v144
	s_delay_alu instid0(VALU_DEP_1) | instskip(SKIP_1) | instid1(SALU_CYCLE_1)
	v_cmp_ne_u32_e32 vcc_lo, 0x7f800000, v142
                                        ; implicit-def: $vgpr142
	s_and_saveexec_b32 s4, vcc_lo
	s_xor_b32 s4, exec_lo, s4
; %bb.17:
	v_bfe_u32 v142, v144, 16, 1
	s_delay_alu instid0(VALU_DEP_1)
	v_add3_u32 v142, v144, v142, 0x7fff
                                        ; implicit-def: $vgpr144
; %bb.18:
	s_and_not1_saveexec_b32 s4, s4
; %bb.19:
	v_and_b32_e32 v142, 0xffff, v144
	v_or_b32_e32 v151, 0x10000, v144
	s_delay_alu instid0(VALU_DEP_2) | instskip(NEXT) | instid1(VALU_DEP_2)
	v_cmp_eq_u32_e32 vcc_lo, 0, v142
	v_cndmask_b32_e32 v142, v151, v144, vcc_lo
; %bb.20:
	s_or_b32 exec_lo, exec_lo, s4
	v_and_b32_e32 v144, 0x7f800000, v153
	s_delay_alu instid0(VALU_DEP_1) | instskip(SKIP_1) | instid1(SALU_CYCLE_1)
	v_cmp_ne_u32_e32 vcc_lo, 0x7f800000, v144
                                        ; implicit-def: $vgpr144
	s_and_saveexec_b32 s4, vcc_lo
	s_xor_b32 s4, exec_lo, s4
; %bb.21:
	v_bfe_u32 v144, v153, 16, 1
	s_delay_alu instid0(VALU_DEP_1)
	v_add3_u32 v144, v153, v144, 0x7fff
                                        ; implicit-def: $vgpr153
; %bb.22:
	s_and_not1_saveexec_b32 s4, s4
; %bb.23:
	v_and_b32_e32 v144, 0xffff, v153
	v_or_b32_e32 v151, 0x10000, v153
	s_delay_alu instid0(VALU_DEP_2) | instskip(NEXT) | instid1(VALU_DEP_2)
	v_cmp_eq_u32_e32 vcc_lo, 0, v144
	v_cndmask_b32_e32 v144, v151, v153, vcc_lo
; %bb.24:
	s_or_b32 exec_lo, exec_lo, s4
	v_and_b32_e32 v151, 0x7f800000, v154
	s_delay_alu instid0(VALU_DEP_1) | instskip(SKIP_1) | instid1(SALU_CYCLE_1)
	v_cmp_ne_u32_e32 vcc_lo, 0x7f800000, v151
                                        ; implicit-def: $vgpr151
	s_and_saveexec_b32 s4, vcc_lo
	s_xor_b32 s4, exec_lo, s4
; %bb.25:
	v_bfe_u32 v151, v154, 16, 1
	s_delay_alu instid0(VALU_DEP_1)
	v_add3_u32 v151, v154, v151, 0x7fff
                                        ; implicit-def: $vgpr154
; %bb.26:
	s_and_not1_saveexec_b32 s4, s4
; %bb.27:
	v_and_b32_e32 v151, 0xffff, v154
	v_or_b32_e32 v153, 0x10000, v154
	s_delay_alu instid0(VALU_DEP_2) | instskip(NEXT) | instid1(VALU_DEP_2)
	v_cmp_eq_u32_e32 vcc_lo, 0, v151
	v_cndmask_b32_e32 v151, v153, v154, vcc_lo
; %bb.28:
	s_or_b32 exec_lo, exec_lo, s4
	v_and_b32_e32 v153, 0x7f800000, v152
	s_delay_alu instid0(VALU_DEP_1) | instskip(SKIP_1) | instid1(SALU_CYCLE_1)
	v_cmp_ne_u32_e32 vcc_lo, 0x7f800000, v153
                                        ; implicit-def: $vgpr153
	s_and_saveexec_b32 s4, vcc_lo
	s_xor_b32 s4, exec_lo, s4
; %bb.29:
	v_bfe_u32 v153, v152, 16, 1
	s_delay_alu instid0(VALU_DEP_1)
	v_add3_u32 v153, v152, v153, 0x7fff
                                        ; implicit-def: $vgpr152
; %bb.30:
	s_and_not1_saveexec_b32 s4, s4
; %bb.31:
	v_and_b32_e32 v153, 0xffff, v152
	v_or_b32_e32 v154, 0x10000, v152
	s_delay_alu instid0(VALU_DEP_2) | instskip(NEXT) | instid1(VALU_DEP_2)
	v_cmp_eq_u32_e32 vcc_lo, 0, v153
	v_cndmask_b32_e32 v153, v154, v152, vcc_lo
; %bb.32:
	s_or_b32 exec_lo, exec_lo, s4
	v_and_b32_e32 v152, 0x7f800000, v150
	s_delay_alu instid0(VALU_DEP_1) | instskip(SKIP_1) | instid1(SALU_CYCLE_1)
	v_cmp_ne_u32_e32 vcc_lo, 0x7f800000, v152
                                        ; implicit-def: $vgpr152
	s_and_saveexec_b32 s4, vcc_lo
	s_xor_b32 s4, exec_lo, s4
; %bb.33:
	v_bfe_u32 v152, v150, 16, 1
	s_delay_alu instid0(VALU_DEP_1)
	v_add3_u32 v152, v150, v152, 0x7fff
                                        ; implicit-def: $vgpr150
; %bb.34:
	s_and_not1_saveexec_b32 s4, s4
; %bb.35:
	v_and_b32_e32 v152, 0xffff, v150
	v_or_b32_e32 v154, 0x10000, v150
	s_delay_alu instid0(VALU_DEP_2) | instskip(NEXT) | instid1(VALU_DEP_2)
	v_cmp_eq_u32_e32 vcc_lo, 0, v152
	v_cndmask_b32_e32 v152, v154, v150, vcc_lo
; %bb.36:
	s_or_b32 exec_lo, exec_lo, s4
	v_and_b32_e32 v150, 0x7f800000, v143
	s_delay_alu instid0(VALU_DEP_1) | instskip(SKIP_1) | instid1(SALU_CYCLE_1)
	v_cmp_ne_u32_e32 vcc_lo, 0x7f800000, v150
                                        ; implicit-def: $vgpr150
	s_and_saveexec_b32 s4, vcc_lo
	s_xor_b32 s4, exec_lo, s4
; %bb.37:
	v_bfe_u32 v150, v143, 16, 1
	s_delay_alu instid0(VALU_DEP_1)
	v_add3_u32 v150, v143, v150, 0x7fff
                                        ; implicit-def: $vgpr143
; %bb.38:
	s_and_not1_saveexec_b32 s4, s4
; %bb.39:
	v_and_b32_e32 v150, 0xffff, v143
	v_or_b32_e32 v154, 0x10000, v143
	s_delay_alu instid0(VALU_DEP_2) | instskip(NEXT) | instid1(VALU_DEP_2)
	v_cmp_eq_u32_e32 vcc_lo, 0, v150
	v_cndmask_b32_e32 v150, v154, v143, vcc_lo
; %bb.40:
	s_or_b32 exec_lo, exec_lo, s4
	v_and_b32_e32 v143, 0x7f800000, v140
	s_delay_alu instid0(VALU_DEP_1) | instskip(SKIP_1) | instid1(SALU_CYCLE_1)
	v_cmp_ne_u32_e32 vcc_lo, 0x7f800000, v143
                                        ; implicit-def: $vgpr143
	s_and_saveexec_b32 s4, vcc_lo
	s_xor_b32 s4, exec_lo, s4
; %bb.41:
	v_bfe_u32 v143, v140, 16, 1
	s_delay_alu instid0(VALU_DEP_1)
	v_add3_u32 v143, v140, v143, 0x7fff
                                        ; implicit-def: $vgpr140
; %bb.42:
	s_and_not1_saveexec_b32 s4, s4
; %bb.43:
	v_and_b32_e32 v143, 0xffff, v140
	v_or_b32_e32 v154, 0x10000, v140
	s_delay_alu instid0(VALU_DEP_2) | instskip(NEXT) | instid1(VALU_DEP_2)
	v_cmp_eq_u32_e32 vcc_lo, 0, v143
	v_cndmask_b32_e32 v143, v154, v140, vcc_lo
; %bb.44:
	s_or_b32 exec_lo, exec_lo, s4
	s_load_b64 s[36:37], s[0:1], 0x94
	v_dual_mul_f32 v136, v139, v136 :: v_dual_lshlrev_b32 v155, 4, v146
	s_delay_alu instid0(VALU_DEP_2)
	v_perm_b32 v154, v143, v150, 0x7060302
	v_dual_mul_f32 v143, v139, v131 :: v_dual_lshlrev_b32 v140, 6, v148
	v_dual_mul_f32 v135, v139, v135 :: v_dual_lshlrev_b32 v150, 11, v149
	v_perm_b32 v153, v152, v153, 0x7060302
	v_perm_b32 v152, v151, v144, 0x7060302
	;; [unrolled: 1-line block ×3, first 2 shown]
	s_delay_alu instid0(VALU_DEP_4)
	v_or3_b32 v131, v155, v150, v140
	v_mul_f32_e32 v138, v139, v138
	v_dual_mul_f32 v137, v139, v137 :: v_dual_and_b32 v144, 0x7f800000, v143
	v_mul_f32_e32 v141, v139, v134
	v_mul_f32_e32 v142, v139, v133
	;; [unrolled: 1-line block ×3, first 2 shown]
	s_mov_b32 s4, exec_lo
	ds_store_b128 v131, v[151:154]
                                        ; implicit-def: $vgpr132
	v_cmpx_ne_u32_e32 0x7f800000, v144
	s_xor_b32 s4, exec_lo, s4
; %bb.45:
	v_bfe_u32 v132, v143, 16, 1
	s_delay_alu instid0(VALU_DEP_1)
	v_add3_u32 v132, v143, v132, 0x7fff
                                        ; implicit-def: $vgpr143
; %bb.46:
	s_and_not1_saveexec_b32 s4, s4
; %bb.47:
	v_and_b32_e32 v132, 0xffff, v143
	v_or_b32_e32 v133, 0x10000, v143
	s_delay_alu instid0(VALU_DEP_2) | instskip(NEXT) | instid1(VALU_DEP_2)
	v_cmp_eq_u32_e32 vcc_lo, 0, v132
	v_cndmask_b32_e32 v132, v133, v143, vcc_lo
; %bb.48:
	s_or_b32 exec_lo, exec_lo, s4
	v_and_b32_e32 v133, 0x7f800000, v134
	s_delay_alu instid0(VALU_DEP_1) | instskip(SKIP_1) | instid1(SALU_CYCLE_1)
	v_cmp_ne_u32_e32 vcc_lo, 0x7f800000, v133
                                        ; implicit-def: $vgpr133
	s_and_saveexec_b32 s4, vcc_lo
	s_xor_b32 s4, exec_lo, s4
; %bb.49:
	v_bfe_u32 v133, v134, 16, 1
	s_delay_alu instid0(VALU_DEP_1)
	v_add3_u32 v133, v134, v133, 0x7fff
                                        ; implicit-def: $vgpr134
; %bb.50:
	s_and_not1_saveexec_b32 s4, s4
; %bb.51:
	v_and_b32_e32 v133, 0xffff, v134
	v_or_b32_e32 v139, 0x10000, v134
	s_delay_alu instid0(VALU_DEP_2) | instskip(NEXT) | instid1(VALU_DEP_2)
	v_cmp_eq_u32_e32 vcc_lo, 0, v133
	v_cndmask_b32_e32 v133, v139, v134, vcc_lo
; %bb.52:
	s_or_b32 exec_lo, exec_lo, s4
	v_and_b32_e32 v134, 0x7f800000, v142
	s_delay_alu instid0(VALU_DEP_1) | instskip(SKIP_1) | instid1(SALU_CYCLE_1)
	v_cmp_ne_u32_e32 vcc_lo, 0x7f800000, v134
                                        ; implicit-def: $vgpr134
	s_and_saveexec_b32 s4, vcc_lo
	s_xor_b32 s4, exec_lo, s4
; %bb.53:
	v_bfe_u32 v134, v142, 16, 1
	s_delay_alu instid0(VALU_DEP_1)
	v_add3_u32 v134, v142, v134, 0x7fff
                                        ; implicit-def: $vgpr142
; %bb.54:
	s_and_not1_saveexec_b32 s4, s4
; %bb.55:
	v_and_b32_e32 v134, 0xffff, v142
	v_or_b32_e32 v139, 0x10000, v142
	s_delay_alu instid0(VALU_DEP_2) | instskip(NEXT) | instid1(VALU_DEP_2)
	v_cmp_eq_u32_e32 vcc_lo, 0, v134
	v_cndmask_b32_e32 v134, v139, v142, vcc_lo
; %bb.56:
	s_or_b32 exec_lo, exec_lo, s4
	v_and_b32_e32 v139, 0x7f800000, v141
	s_delay_alu instid0(VALU_DEP_1) | instskip(SKIP_1) | instid1(SALU_CYCLE_1)
	v_cmp_ne_u32_e32 vcc_lo, 0x7f800000, v139
                                        ; implicit-def: $vgpr139
	s_and_saveexec_b32 s4, vcc_lo
	s_xor_b32 s4, exec_lo, s4
; %bb.57:
	v_bfe_u32 v139, v141, 16, 1
	s_delay_alu instid0(VALU_DEP_1)
	v_add3_u32 v139, v141, v139, 0x7fff
                                        ; implicit-def: $vgpr141
; %bb.58:
	s_and_not1_saveexec_b32 s4, s4
; %bb.59:
	v_and_b32_e32 v139, 0xffff, v141
	v_or_b32_e32 v142, 0x10000, v141
	s_delay_alu instid0(VALU_DEP_2) | instskip(NEXT) | instid1(VALU_DEP_2)
	v_cmp_eq_u32_e32 vcc_lo, 0, v139
	v_cndmask_b32_e32 v139, v142, v141, vcc_lo
; %bb.60:
	s_or_b32 exec_lo, exec_lo, s4
	v_and_b32_e32 v141, 0x7f800000, v135
	s_delay_alu instid0(VALU_DEP_1) | instskip(SKIP_1) | instid1(SALU_CYCLE_1)
	v_cmp_ne_u32_e32 vcc_lo, 0x7f800000, v141
                                        ; implicit-def: $vgpr141
	s_and_saveexec_b32 s4, vcc_lo
	s_xor_b32 s4, exec_lo, s4
; %bb.61:
	v_bfe_u32 v141, v135, 16, 1
	s_delay_alu instid0(VALU_DEP_1)
	v_add3_u32 v141, v135, v141, 0x7fff
                                        ; implicit-def: $vgpr135
; %bb.62:
	s_and_not1_saveexec_b32 s4, s4
; %bb.63:
	v_and_b32_e32 v141, 0xffff, v135
	v_or_b32_e32 v142, 0x10000, v135
	s_delay_alu instid0(VALU_DEP_2) | instskip(NEXT) | instid1(VALU_DEP_2)
	v_cmp_eq_u32_e32 vcc_lo, 0, v141
	v_cndmask_b32_e32 v141, v142, v135, vcc_lo
; %bb.64:
	s_or_b32 exec_lo, exec_lo, s4
	v_and_b32_e32 v135, 0x7f800000, v136
	s_delay_alu instid0(VALU_DEP_1) | instskip(SKIP_1) | instid1(SALU_CYCLE_1)
	v_cmp_ne_u32_e32 vcc_lo, 0x7f800000, v135
                                        ; implicit-def: $vgpr135
	s_and_saveexec_b32 s4, vcc_lo
	s_xor_b32 s4, exec_lo, s4
; %bb.65:
	v_bfe_u32 v135, v136, 16, 1
	s_delay_alu instid0(VALU_DEP_1)
	v_add3_u32 v135, v136, v135, 0x7fff
                                        ; implicit-def: $vgpr136
; %bb.66:
	s_and_not1_saveexec_b32 s4, s4
; %bb.67:
	v_and_b32_e32 v135, 0xffff, v136
	v_or_b32_e32 v142, 0x10000, v136
	s_delay_alu instid0(VALU_DEP_2) | instskip(NEXT) | instid1(VALU_DEP_2)
	v_cmp_eq_u32_e32 vcc_lo, 0, v135
	v_cndmask_b32_e32 v135, v142, v136, vcc_lo
; %bb.68:
	s_or_b32 exec_lo, exec_lo, s4
	v_and_b32_e32 v136, 0x7f800000, v137
	s_delay_alu instid0(VALU_DEP_1) | instskip(SKIP_1) | instid1(SALU_CYCLE_1)
	v_cmp_ne_u32_e32 vcc_lo, 0x7f800000, v136
                                        ; implicit-def: $vgpr136
	s_and_saveexec_b32 s4, vcc_lo
	s_xor_b32 s4, exec_lo, s4
; %bb.69:
	v_bfe_u32 v136, v137, 16, 1
	s_delay_alu instid0(VALU_DEP_1)
	v_add3_u32 v136, v137, v136, 0x7fff
                                        ; implicit-def: $vgpr137
; %bb.70:
	s_and_not1_saveexec_b32 s4, s4
; %bb.71:
	v_and_b32_e32 v136, 0xffff, v137
	v_or_b32_e32 v142, 0x10000, v137
	s_delay_alu instid0(VALU_DEP_2) | instskip(NEXT) | instid1(VALU_DEP_2)
	v_cmp_eq_u32_e32 vcc_lo, 0, v136
	v_cndmask_b32_e32 v136, v142, v137, vcc_lo
; %bb.72:
	s_or_b32 exec_lo, exec_lo, s4
	v_and_b32_e32 v137, 0x7f800000, v138
	s_delay_alu instid0(VALU_DEP_1) | instskip(SKIP_1) | instid1(SALU_CYCLE_1)
	v_cmp_ne_u32_e32 vcc_lo, 0x7f800000, v137
                                        ; implicit-def: $vgpr137
	s_and_saveexec_b32 s4, vcc_lo
	s_xor_b32 s4, exec_lo, s4
; %bb.73:
	v_bfe_u32 v137, v138, 16, 1
	s_delay_alu instid0(VALU_DEP_1)
	v_add3_u32 v137, v138, v137, 0x7fff
                                        ; implicit-def: $vgpr138
; %bb.74:
	s_and_not1_saveexec_b32 s4, s4
; %bb.75:
	v_and_b32_e32 v137, 0xffff, v138
	v_or_b32_e32 v142, 0x10000, v138
	s_delay_alu instid0(VALU_DEP_2) | instskip(NEXT) | instid1(VALU_DEP_2)
	v_cmp_eq_u32_e32 vcc_lo, 0, v137
	v_cndmask_b32_e32 v137, v142, v138, vcc_lo
; %bb.76:
	s_or_b32 exec_lo, exec_lo, s4
	s_delay_alu instid0(VALU_DEP_1)
	v_perm_b32 v136, v137, v136, 0x7060302
	v_perm_b32 v135, v135, v141, 0x7060302
	;; [unrolled: 1-line block ×4, first 2 shown]
	v_lshl_or_b32 v141, v149, 11, v140
	ds_store_b128 v131, v[133:136] offset:1024
	s_waitcnt lgkmcnt(0)
	s_barrier
	buffer_gl0_inv
	ds_load_b128 v[132:135], v141
	ds_load_b128 v[149:152], v141 offset:16
	s_waitcnt lgkmcnt(1)
	v_lshrrev_b32_e32 v136, 16, v132
	s_waitcnt lgkmcnt(0)
	v_lshrrev_b32_e32 v164, 16, v151
	v_lshlrev_b32_e32 v138, 2, v146
	v_lshrrev_b32_e32 v143, 16, v149
	v_lshrrev_b32_e32 v162, 16, v150
	;; [unrolled: 1-line block ×4, first 2 shown]
	v_or_b32_e32 v139, 1, v138
	v_lshrrev_b32_e32 v165, 16, v152
	v_lshrrev_b32_e32 v163, 16, v135
	s_delay_alu instid0(VALU_DEP_3)
	v_cmp_eq_u32_e64 s8, 1, v139
	v_cmp_eq_u32_e64 s7, 2, v139
	;; [unrolled: 1-line block ×4, first 2 shown]
	v_cmp_eq_u32_e32 vcc_lo, 5, v139
	v_cndmask_b32_e64 v155, v149, v143, s8
	v_cndmask_b32_e64 v154, v132, v136, s8
	v_cmp_eq_u32_e64 s5, 6, v139
	v_cmp_eq_u32_e64 s20, 7, v139
	s_delay_alu instid0(VALU_DEP_4) | instskip(NEXT) | instid1(VALU_DEP_4)
	v_cndmask_b32_e64 v155, v155, v150, s7
	v_cndmask_b32_e64 v154, v154, v133, s7
	s_delay_alu instid0(VALU_DEP_2) | instskip(NEXT) | instid1(VALU_DEP_2)
	v_cndmask_b32_e64 v155, v155, v162, s6
	v_cndmask_b32_e64 v154, v154, v144, s6
	s_delay_alu instid0(VALU_DEP_2) | instskip(NEXT) | instid1(VALU_DEP_2)
	v_cndmask_b32_e64 v155, v155, v151, s4
	v_cndmask_b32_e64 v154, v154, v134, s4
	s_delay_alu instid0(VALU_DEP_2)
	v_cndmask_b32_e32 v157, v155, v164, vcc_lo
	v_cmp_eq_u32_e64 s13, 1, v138
	v_cmp_eq_u32_e64 s12, 2, v138
	;; [unrolled: 1-line block ×3, first 2 shown]
	v_or_b32_e32 v137, 2, v138
	v_cmp_eq_u32_e64 s18, 4, v138
	v_cndmask_b32_e64 v153, v149, v143, s13
	v_cndmask_b32_e64 v142, v132, v136, s13
	v_cmp_eq_u32_e64 s15, 5, v138
	v_cmp_eq_u32_e64 s9, 1, v137
	;; [unrolled: 1-line block ×3, first 2 shown]
	v_cndmask_b32_e64 v153, v153, v150, s12
	v_cndmask_b32_e64 v142, v142, v133, s12
	v_cmp_eq_u32_e64 s11, 2, v137
	v_cndmask_b32_e64 v156, v132, v136, s9
	v_cndmask_b32_e32 v154, v154, v161, vcc_lo
	v_cndmask_b32_e64 v153, v153, v162, s17
	v_cndmask_b32_e64 v142, v142, v144, s17
	v_cmp_eq_u32_e64 s10, 7, v138
	v_cndmask_b32_e64 v156, v156, v133, s11
	v_cmp_eq_u32_e64 s19, 3, v137
	v_cndmask_b32_e64 v153, v153, v151, s18
	v_cndmask_b32_e64 v142, v142, v134, s18
	;; [unrolled: 1-line block ×3, first 2 shown]
	v_cmp_eq_u32_e64 s21, 4, v137
	v_cndmask_b32_e64 v156, v156, v144, s19
	v_cndmask_b32_e64 v153, v153, v164, s15
	;; [unrolled: 1-line block ×4, first 2 shown]
	v_cmp_eq_u32_e64 s23, 5, v137
	v_cndmask_b32_e64 v159, v156, v134, s21
	v_cndmask_b32_e64 v153, v153, v152, s16
	;; [unrolled: 1-line block ×3, first 2 shown]
	v_cmp_eq_u32_e64 s26, 6, v137
	v_cmp_eq_u32_e64 s28, 7, v137
	v_cndmask_b32_e64 v169, v159, v161, s23
	v_cndmask_b32_e64 v167, v153, v165, s10
	;; [unrolled: 1-line block ×4, first 2 shown]
	v_or_b32_e32 v142, 3, v138
	s_delay_alu instid0(VALU_DEP_3)
	v_cndmask_b32_e64 v158, v153, v150, s11
	ds_load_b128 v[153:156], v141 offset:1024
	v_cmp_eq_u32_e64 s22, 1, v142
	v_cmp_eq_u32_e64 s24, 2, v142
	;; [unrolled: 1-line block ×3, first 2 shown]
	v_cndmask_b32_e64 v158, v158, v162, s19
	v_cmp_eq_u32_e64 s27, 4, v142
	v_cndmask_b32_e64 v132, v132, v136, s22
	v_cndmask_b32_e64 v136, v157, v152, s5
	;; [unrolled: 1-line block ×4, first 2 shown]
	ds_load_b128 v[157:160], v141 offset:1040
	v_cndmask_b32_e64 v132, v132, v133, s24
	v_cmp_eq_u32_e64 s29, 5, v142
	v_cndmask_b32_e64 v143, v143, v150, s24
	v_cmp_eq_u32_e64 s30, 6, v142
	v_cndmask_b32_e64 v133, v170, v164, s23
	v_cndmask_b32_e64 v132, v132, v144, s25
	;; [unrolled: 1-line block ×5, first 2 shown]
	s_waitcnt lgkmcnt(1)
	v_lshrrev_b32_e32 v149, 16, v153
	v_cndmask_b32_e64 v132, v132, v134, s27
	v_cndmask_b32_e64 v133, v133, v152, s26
	;; [unrolled: 1-line block ×3, first 2 shown]
	v_lshrrev_b32_e32 v151, 16, v154
	v_cndmask_b32_e64 v143, v153, v149, s13
	v_cndmask_b32_e64 v132, v132, v161, s29
	;; [unrolled: 1-line block ×5, first 2 shown]
	s_waitcnt lgkmcnt(0)
	v_lshrrev_b32_e32 v150, 16, v157
	v_cndmask_b32_e64 v143, v143, v154, s12
	v_cndmask_b32_e64 v132, v132, v135, s30
	;; [unrolled: 1-line block ×3, first 2 shown]
	v_lshrrev_b32_e32 v164, 16, v159
	v_cndmask_b32_e64 v162, v157, v150, s13
	v_cndmask_b32_e64 v135, v143, v151, s17
	;; [unrolled: 1-line block ×3, first 2 shown]
	v_lshrrev_b32_e32 v161, 16, v158
	v_cndmask_b32_e64 v133, v133, v165, s28
	v_cndmask_b32_e64 v152, v162, v158, s12
	v_cmp_eq_u32_e64 s12, 7, v142
	v_cndmask_b32_e64 v143, v143, v151, s6
	v_cndmask_b32_e64 v135, v135, v155, s18
	v_lshrrev_b32_e32 v162, 16, v155
	v_cndmask_b32_e64 v152, v152, v161, s17
	v_cndmask_b32_e64 v132, v132, v163, s12
	;; [unrolled: 1-line block ×6, first 2 shown]
	s_delay_alu instid0(VALU_DEP_4) | instskip(NEXT) | instid1(VALU_DEP_4)
	v_perm_b32 v135, v134, v132, 0x5040100
	v_cndmask_b32_e32 v132, v143, v162, vcc_lo
	s_delay_alu instid0(VALU_DEP_4)
	v_cndmask_b32_e64 v143, v163, v156, s16
	v_lshrrev_b32_e32 v163, 16, v156
	v_cndmask_b32_e64 v152, v152, v164, s15
	v_perm_b32 v134, v133, v144, 0x5040100
	v_cndmask_b32_e64 v132, v132, v156, s5
	v_perm_b32 v133, v136, v168, 0x5040100
	v_cndmask_b32_e64 v136, v143, v163, s10
	v_cndmask_b32_e64 v143, v152, v160, s16
	;; [unrolled: 1-line block ×13, first 2 shown]
	v_lshrrev_b32_e32 v144, 16, v160
	v_cndmask_b32_e64 v132, v132, v151, s19
	v_cndmask_b32_e64 v149, v149, v151, s25
	;; [unrolled: 1-line block ×14, first 2 shown]
	v_cndmask_b32_e32 v150, v150, v164, vcc_lo
	v_cndmask_b32_e64 v132, v132, v156, s26
	v_cndmask_b32_e64 v149, v149, v156, s30
	;; [unrolled: 1-line block ×11, first 2 shown]
	v_perm_b32 v132, v167, v166, 0x5040100
	v_perm_b32 v152, v151, v149, 0x5040100
	;; [unrolled: 1-line block ×5, first 2 shown]
	s_mul_i32 s9, s37, 3
	s_mov_b32 s4, exec_lo
	ds_store_b128 v131, v[132:135]
	ds_store_b128 v131, v[149:152] offset:1024
	v_cmpx_gt_u32_e32 3, v0
	s_cbranch_execz .LBB496_78
; %bb.77:
	s_mul_i32 s5, s9, s34
	s_load_b128 s[16:19], s[0:1], 0x58
	v_add3_u32 v133, s5, s31, v148
	s_delay_alu instid0(VALU_DEP_1) | instskip(NEXT) | instid1(VALU_DEP_1)
	v_mad_u64_u32 v[131:132], null, v133, s36, s[14:15]
	v_ashrrev_i32_e32 v132, 31, v131
	s_delay_alu instid0(VALU_DEP_1) | instskip(SKIP_1) | instid1(VALU_DEP_1)
	v_lshlrev_b64 v[131:132], 2, v[131:132]
	s_waitcnt lgkmcnt(0)
	v_add_co_u32 v133, vcc_lo, s18, v131
	s_delay_alu instid0(VALU_DEP_2)
	v_add_co_ci_u32_e32 v134, vcc_lo, s19, v132, vcc_lo
	v_add_co_u32 v131, vcc_lo, s16, v131
	v_add_co_ci_u32_e32 v132, vcc_lo, s17, v132, vcc_lo
	global_store_b32 v[133:134], v129, off
	global_store_b32 v[131:132], v130, off
.LBB496_78:
	s_or_b32 exec_lo, exec_lo, s4
	s_waitcnt lgkmcnt(0)
	s_waitcnt_vscnt null, 0x0
	s_barrier
	buffer_gl0_inv
	ds_load_b128 v[148:151], v140
	ds_load_b128 v[152:155], v140 offset:16
	ds_load_b128 v[160:163], v140 offset:1040
	;; [unrolled: 1-line block ×3, first 2 shown]
	v_mov_b32_e32 v129, 0
	ds_load_b128 v[168:171], v140 offset:2064
	ds_load_b128 v[164:167], v140 offset:2048
	;; [unrolled: 1-line block ×6, first 2 shown]
	v_mov_b32_e32 v130, v129
	v_mov_b32_e32 v131, v129
	;; [unrolled: 1-line block ×7, first 2 shown]
	s_waitcnt lgkmcnt(8)
	s_delay_alu instid0(VALU_DEP_1)
	v_wmma_f32_16x16x16_bf16 v[129:136], v[121:128], v[148:155], v[129:136]
	ds_load_b128 v[125:128], v140 offset:5136
	ds_load_b128 v[121:124], v140 offset:5120
	s_waitcnt lgkmcnt(8)
	v_wmma_f32_16x16x16_bf16 v[129:136], v[113:120], v[156:163], v[129:136]
	ds_load_b128 v[117:120], v140 offset:6160
	ds_load_b128 v[113:116], v140 offset:6144
	s_waitcnt lgkmcnt(8)
	;; [unrolled: 4-line block ×8, first 2 shown]
	v_wmma_f32_16x16x16_bf16 v[129:136], v[65:72], v[97:104], v[129:136]
	s_waitcnt lgkmcnt(6)
	s_delay_alu instid0(VALU_DEP_1)
	v_wmma_f32_16x16x16_bf16 v[129:136], v[49:56], v[89:96], v[129:136]
	ds_load_b128 v[53:56], v140 offset:13328
	ds_load_b128 v[49:52], v140 offset:13312
	s_waitcnt lgkmcnt(6)
	v_wmma_f32_16x16x16_bf16 v[129:136], v[41:48], v[81:88], v[129:136]
	ds_load_b128 v[45:48], v140 offset:14352
	ds_load_b128 v[41:44], v140 offset:14336
	s_waitcnt lgkmcnt(6)
	;; [unrolled: 4-line block ×3, first 2 shown]
	v_wmma_f32_16x16x16_bf16 v[129:136], v[1:8], v[57:64], v[129:136]
	s_waitcnt lgkmcnt(4)
	s_delay_alu instid0(VALU_DEP_1) | instskip(SKIP_1) | instid1(VALU_DEP_1)
	v_wmma_f32_16x16x16_bf16 v[129:136], v[25:32], v[49:56], v[129:136]
	s_waitcnt lgkmcnt(2)
	v_wmma_f32_16x16x16_bf16 v[129:136], v[33:40], v[41:48], v[129:136]
	s_waitcnt lgkmcnt(0)
	s_delay_alu instid0(VALU_DEP_1) | instskip(NEXT) | instid1(VALU_DEP_1)
	v_wmma_f32_16x16x16_bf16 v[129:136], v[9:16], v[17:24], v[129:136]
	v_and_b32_e32 v1, 0x7f800000, v129
	s_delay_alu instid0(VALU_DEP_1) | instskip(SKIP_1) | instid1(SALU_CYCLE_1)
	v_cmp_ne_u32_e32 vcc_lo, 0x7f800000, v1
                                        ; implicit-def: $vgpr1
	s_and_saveexec_b32 s4, vcc_lo
	s_xor_b32 s4, exec_lo, s4
; %bb.79:
	v_bfe_u32 v1, v129, 16, 1
	s_delay_alu instid0(VALU_DEP_1)
	v_add3_u32 v1, v129, v1, 0x7fff
; %bb.80:
	s_and_not1_saveexec_b32 s4, s4
; %bb.81:
	v_and_b32_e32 v1, 0xffff, v129
	v_or_b32_e32 v2, 0x10000, v129
	s_delay_alu instid0(VALU_DEP_2) | instskip(NEXT) | instid1(VALU_DEP_2)
	v_cmp_eq_u32_e32 vcc_lo, 0, v1
	v_cndmask_b32_e32 v1, v2, v129, vcc_lo
; %bb.82:
	s_or_b32 exec_lo, exec_lo, s4
	v_and_b32_e32 v2, 0x7f800000, v130
	s_delay_alu instid0(VALU_DEP_1) | instskip(SKIP_1) | instid1(SALU_CYCLE_1)
	v_cmp_ne_u32_e32 vcc_lo, 0x7f800000, v2
                                        ; implicit-def: $vgpr2
	s_and_saveexec_b32 s4, vcc_lo
	s_xor_b32 s4, exec_lo, s4
; %bb.83:
	v_bfe_u32 v2, v130, 16, 1
	s_delay_alu instid0(VALU_DEP_1)
	v_add3_u32 v2, v130, v2, 0x7fff
; %bb.84:
	s_and_not1_saveexec_b32 s4, s4
; %bb.85:
	v_and_b32_e32 v2, 0xffff, v130
	v_or_b32_e32 v3, 0x10000, v130
	s_delay_alu instid0(VALU_DEP_2) | instskip(NEXT) | instid1(VALU_DEP_2)
	v_cmp_eq_u32_e32 vcc_lo, 0, v2
	v_cndmask_b32_e32 v2, v3, v130, vcc_lo
; %bb.86:
	s_or_b32 exec_lo, exec_lo, s4
	v_and_b32_e32 v3, 0x7f800000, v131
	s_delay_alu instid0(VALU_DEP_1) | instskip(SKIP_1) | instid1(SALU_CYCLE_1)
	v_cmp_ne_u32_e32 vcc_lo, 0x7f800000, v3
                                        ; implicit-def: $vgpr3
	s_and_saveexec_b32 s4, vcc_lo
	s_xor_b32 s4, exec_lo, s4
; %bb.87:
	v_bfe_u32 v3, v131, 16, 1
	s_delay_alu instid0(VALU_DEP_1)
	v_add3_u32 v3, v131, v3, 0x7fff
; %bb.88:
	s_and_not1_saveexec_b32 s4, s4
; %bb.89:
	v_and_b32_e32 v3, 0xffff, v131
	v_or_b32_e32 v4, 0x10000, v131
	s_delay_alu instid0(VALU_DEP_2) | instskip(NEXT) | instid1(VALU_DEP_2)
	v_cmp_eq_u32_e32 vcc_lo, 0, v3
	v_cndmask_b32_e32 v3, v4, v131, vcc_lo
; %bb.90:
	s_or_b32 exec_lo, exec_lo, s4
	v_and_b32_e32 v4, 0x7f800000, v132
	s_delay_alu instid0(VALU_DEP_1) | instskip(SKIP_1) | instid1(SALU_CYCLE_1)
	v_cmp_ne_u32_e32 vcc_lo, 0x7f800000, v4
                                        ; implicit-def: $vgpr4
	s_and_saveexec_b32 s4, vcc_lo
	s_xor_b32 s4, exec_lo, s4
; %bb.91:
	v_bfe_u32 v4, v132, 16, 1
	s_delay_alu instid0(VALU_DEP_1)
	v_add3_u32 v4, v132, v4, 0x7fff
; %bb.92:
	s_and_not1_saveexec_b32 s4, s4
; %bb.93:
	v_and_b32_e32 v4, 0xffff, v132
	v_or_b32_e32 v5, 0x10000, v132
	s_delay_alu instid0(VALU_DEP_2) | instskip(NEXT) | instid1(VALU_DEP_2)
	v_cmp_eq_u32_e32 vcc_lo, 0, v4
	v_cndmask_b32_e32 v4, v5, v132, vcc_lo
; %bb.94:
	s_or_b32 exec_lo, exec_lo, s4
	v_and_b32_e32 v5, 0x7f800000, v133
	s_delay_alu instid0(VALU_DEP_1) | instskip(SKIP_1) | instid1(SALU_CYCLE_1)
	v_cmp_ne_u32_e32 vcc_lo, 0x7f800000, v5
                                        ; implicit-def: $vgpr5
	s_and_saveexec_b32 s4, vcc_lo
	s_xor_b32 s4, exec_lo, s4
; %bb.95:
	v_bfe_u32 v5, v133, 16, 1
	s_delay_alu instid0(VALU_DEP_1)
	v_add3_u32 v5, v133, v5, 0x7fff
; %bb.96:
	s_and_not1_saveexec_b32 s4, s4
; %bb.97:
	v_and_b32_e32 v5, 0xffff, v133
	v_or_b32_e32 v6, 0x10000, v133
	s_delay_alu instid0(VALU_DEP_2) | instskip(NEXT) | instid1(VALU_DEP_2)
	v_cmp_eq_u32_e32 vcc_lo, 0, v5
	v_cndmask_b32_e32 v5, v6, v133, vcc_lo
; %bb.98:
	s_or_b32 exec_lo, exec_lo, s4
	v_and_b32_e32 v6, 0x7f800000, v134
	s_delay_alu instid0(VALU_DEP_1) | instskip(SKIP_1) | instid1(SALU_CYCLE_1)
	v_cmp_ne_u32_e32 vcc_lo, 0x7f800000, v6
                                        ; implicit-def: $vgpr6
	s_and_saveexec_b32 s4, vcc_lo
	s_xor_b32 s4, exec_lo, s4
; %bb.99:
	v_bfe_u32 v6, v134, 16, 1
	s_delay_alu instid0(VALU_DEP_1)
	v_add3_u32 v6, v134, v6, 0x7fff
; %bb.100:
	s_and_not1_saveexec_b32 s4, s4
; %bb.101:
	v_and_b32_e32 v6, 0xffff, v134
	v_or_b32_e32 v7, 0x10000, v134
	s_delay_alu instid0(VALU_DEP_2) | instskip(NEXT) | instid1(VALU_DEP_2)
	v_cmp_eq_u32_e32 vcc_lo, 0, v6
	v_cndmask_b32_e32 v6, v7, v134, vcc_lo
; %bb.102:
	s_or_b32 exec_lo, exec_lo, s4
	v_and_b32_e32 v7, 0x7f800000, v135
	s_delay_alu instid0(VALU_DEP_1) | instskip(SKIP_1) | instid1(SALU_CYCLE_1)
	v_cmp_ne_u32_e32 vcc_lo, 0x7f800000, v7
                                        ; implicit-def: $vgpr7
	s_and_saveexec_b32 s4, vcc_lo
	s_xor_b32 s4, exec_lo, s4
; %bb.103:
	v_bfe_u32 v7, v135, 16, 1
	s_delay_alu instid0(VALU_DEP_1)
	v_add3_u32 v7, v135, v7, 0x7fff
; %bb.104:
	s_and_not1_saveexec_b32 s4, s4
; %bb.105:
	v_and_b32_e32 v7, 0xffff, v135
	v_or_b32_e32 v8, 0x10000, v135
	s_delay_alu instid0(VALU_DEP_2) | instskip(NEXT) | instid1(VALU_DEP_2)
	v_cmp_eq_u32_e32 vcc_lo, 0, v7
	v_cndmask_b32_e32 v7, v8, v135, vcc_lo
; %bb.106:
	s_or_b32 exec_lo, exec_lo, s4
	v_and_b32_e32 v8, 0x7f800000, v136
	s_delay_alu instid0(VALU_DEP_1) | instskip(SKIP_1) | instid1(SALU_CYCLE_1)
	v_cmp_ne_u32_e32 vcc_lo, 0x7f800000, v8
                                        ; implicit-def: $vgpr8
	s_and_saveexec_b32 s4, vcc_lo
	s_xor_b32 s4, exec_lo, s4
; %bb.107:
	v_bfe_u32 v8, v136, 16, 1
	s_delay_alu instid0(VALU_DEP_1)
	v_add3_u32 v8, v136, v8, 0x7fff
                                        ; implicit-def: $vgpr129_vgpr130_vgpr131_vgpr132_vgpr133_vgpr134_vgpr135_vgpr136
; %bb.108:
	s_and_not1_saveexec_b32 s4, s4
; %bb.109:
	v_and_b32_e32 v8, 0xffff, v136
	v_or_b32_e32 v9, 0x10000, v136
	s_delay_alu instid0(VALU_DEP_2) | instskip(NEXT) | instid1(VALU_DEP_2)
	v_cmp_eq_u32_e32 vcc_lo, 0, v8
	v_cndmask_b32_e32 v8, v9, v136, vcc_lo
; %bb.110:
	s_or_b32 exec_lo, exec_lo, s4
	s_delay_alu instid0(VALU_DEP_1)
	v_perm_b32 v7, v8, v7, 0x7060302
	v_perm_b32 v6, v6, v5, 0x7060302
	;; [unrolled: 1-line block ×4, first 2 shown]
	v_lshl_or_b32 v9, v146, 4, v141
	s_barrier
	buffer_gl0_inv
	v_cmp_eq_u32_e32 vcc_lo, 1, v138
	ds_store_b128 v9, v[4:7]
	s_waitcnt lgkmcnt(0)
	s_barrier
	buffer_gl0_inv
	ds_load_b128 v[1:4], v141
	ds_load_b128 v[5:8], v141 offset:16
	v_cmp_eq_u32_e64 s5, 2, v138
	v_cmp_eq_u32_e64 s4, 1, v139
	;; [unrolled: 1-line block ×5, first 2 shown]
	s_waitcnt lgkmcnt(1)
	v_lshrrev_b32_e32 v10, 16, v1
	s_waitcnt lgkmcnt(0)
	v_lshrrev_b32_e32 v14, 16, v5
	v_lshrrev_b32_e32 v15, 16, v6
	;; [unrolled: 1-line block ×4, first 2 shown]
	v_cndmask_b32_e64 v20, v1, v10, s4
	v_cndmask_b32_e32 v19, v5, v14, vcc_lo
	v_cndmask_b32_e64 v21, v5, v14, s4
	v_lshrrev_b32_e32 v16, 16, v7
	v_cmp_eq_u32_e64 s4, 1, v137
	v_lshrrev_b32_e32 v13, 16, v4
	v_cndmask_b32_e64 v19, v19, v6, s5
	v_lshrrev_b32_e32 v17, 16, v8
	s_delay_alu instid0(VALU_DEP_4) | instskip(SKIP_1) | instid1(VALU_DEP_4)
	v_cndmask_b32_e64 v22, v1, v10, s4
	v_cndmask_b32_e64 v23, v5, v14, s4
	;; [unrolled: 1-line block ×3, first 2 shown]
	v_cndmask_b32_e32 v18, v1, v10, vcc_lo
	v_cmp_eq_u32_e32 vcc_lo, 2, v139
	v_cmp_eq_u32_e64 s4, 2, v142
	v_cndmask_b32_e64 v22, v22, v2, s8
	v_cndmask_b32_e32 v20, v20, v2, vcc_lo
	v_cndmask_b32_e32 v21, v21, v6, vcc_lo
	v_cmp_eq_u32_e32 vcc_lo, 4, v138
	v_cndmask_b32_e32 v19, v19, v7, vcc_lo
	v_cndmask_b32_e64 v18, v18, v2, s5
	v_cmp_eq_u32_e64 s5, 3, v139
	s_delay_alu instid0(VALU_DEP_2) | instskip(NEXT) | instid1(VALU_DEP_2)
	v_cndmask_b32_e64 v18, v18, v11, s6
	v_cndmask_b32_e64 v21, v21, v15, s5
	v_cmp_eq_u32_e64 s6, 5, v138
	s_delay_alu instid0(VALU_DEP_3) | instskip(SKIP_1) | instid1(VALU_DEP_3)
	v_cndmask_b32_e32 v18, v18, v3, vcc_lo
	v_cmp_eq_u32_e32 vcc_lo, 4, v139
	v_cndmask_b32_e64 v19, v19, v16, s6
	s_delay_alu instid0(VALU_DEP_3) | instskip(SKIP_4) | instid1(VALU_DEP_3)
	v_cndmask_b32_e64 v18, v18, v12, s6
	v_cndmask_b32_e32 v21, v21, v7, vcc_lo
	v_cndmask_b32_e64 v20, v20, v11, s5
	v_cmp_eq_u32_e64 s5, 5, v139
	v_cmp_eq_u32_e64 s6, 6, v138
	v_cndmask_b32_e32 v20, v20, v3, vcc_lo
	s_delay_alu instid0(VALU_DEP_3) | instskip(SKIP_1) | instid1(VALU_DEP_4)
	v_cndmask_b32_e64 v21, v21, v16, s5
	v_cmp_eq_u32_e32 vcc_lo, 6, v139
	v_cndmask_b32_e64 v18, v18, v4, s6
	v_cndmask_b32_e64 v19, v19, v8, s6
	;; [unrolled: 1-line block ×3, first 2 shown]
	v_cmp_eq_u32_e64 s5, 1, v142
	v_cmp_eq_u32_e64 s6, 7, v138
	s_delay_alu instid0(VALU_DEP_3) | instskip(NEXT) | instid1(VALU_DEP_3)
	v_cndmask_b32_e32 v20, v20, v4, vcc_lo
	v_cndmask_b32_e64 v1, v1, v10, s5
	v_cndmask_b32_e64 v5, v5, v14, s5
	v_cmp_eq_u32_e64 s5, 3, v137
	v_cndmask_b32_e64 v14, v23, v6, s8
	v_cmp_eq_u32_e64 s8, 3, v142
	v_cndmask_b32_e64 v1, v1, v2, s4
	v_cndmask_b32_e64 v2, v5, v6, s4
	v_cndmask_b32_e64 v10, v22, v11, s5
	v_cmp_eq_u32_e64 s4, 4, v137
	v_cndmask_b32_e64 v6, v14, v15, s5
	v_cndmask_b32_e64 v1, v1, v11, s8
	v_cmp_eq_u32_e64 s5, 4, v142
	v_cndmask_b32_e64 v2, v2, v15, s8
	v_cndmask_b32_e64 v5, v10, v3, s4
	v_cmp_eq_u32_e64 s8, 5, v137
	v_cndmask_b32_e64 v6, v6, v7, s4
	v_cndmask_b32_e64 v1, v1, v3, s5
	v_cndmask_b32_e64 v2, v2, v7, s5
	v_cmp_eq_u32_e64 s4, 5, v142
	v_cndmask_b32_e64 v5, v5, v12, s8
	v_cmp_eq_u32_e64 s5, 6, v137
	;; [unrolled: 2-line block ×3, first 2 shown]
	v_cndmask_b32_e64 v1, v1, v12, s4
	v_cndmask_b32_e64 v2, v2, v16, s4
	;; [unrolled: 1-line block ×4, first 2 shown]
	v_cmp_eq_u32_e64 s4, 7, v142
	v_cndmask_b32_e64 v1, v1, v4, s8
	v_cndmask_b32_e64 v2, v2, v8, s8
	v_cmp_eq_u32_e64 s5, 7, v137
	v_cndmask_b32_e32 v4, v21, v8, vcc_lo
	v_cndmask_b32_e64 v18, v18, v13, s6
	v_cndmask_b32_e64 v20, v20, v13, s7
	;; [unrolled: 1-line block ×8, first 2 shown]
	v_cmp_gt_u32_e32 vcc_lo, 32, v0
	v_perm_b32 v4, v2, v1, 0x5040100
	v_perm_b32 v3, v3, v5, 0x5040100
	;; [unrolled: 1-line block ×4, first 2 shown]
	s_and_b32 s2, vcc_lo, s2
	ds_store_b128 v9, v[1:4]
	s_waitcnt lgkmcnt(0)
	s_barrier
	buffer_gl0_inv
	s_and_saveexec_b32 s4, s2
	s_cbranch_execz .LBB496_2
; %bb.111:
	s_load_b64 s[4:5], s[0:1], 0x68
	v_lshlrev_b32_e32 v0, 10, v0
	v_lshlrev_b32_e32 v2, 4, v147
	v_add_nc_u32_e32 v1, s31, v146
	s_lshl_b32 s0, s36, 6
	s_delay_alu instid0(SALU_CYCLE_1) | instskip(NEXT) | instid1(VALU_DEP_2)
	s_mul_i32 s1, s0, s34
	v_and_or_b32 v0, 0x3800, v0, v2
	s_mul_i32 s6, s1, s9
	v_mul_lo_u32 v1, v1, s0
	s_ashr_i32 s7, s6, 31
	s_delay_alu instid0(VALU_DEP_2) | instskip(SKIP_1) | instid1(VALU_DEP_2)
	v_lshl_or_b32 v3, v146, 6, v0
	s_lshl_b64 s[6:7], s[6:7], 1
	v_ashrrev_i32_e32 v2, 31, v1
	ds_load_b128 v[3:6], v3
	s_waitcnt lgkmcnt(0)
	s_add_u32 s1, s4, s6
	s_addc_u32 s2, s5, s7
	s_lshl_b32 s4, s14, 6
	v_lshlrev_b64 v[7:8], 1, v[1:2]
	s_ashr_i32 s5, s4, 31
	s_delay_alu instid0(SALU_CYCLE_1) | instskip(NEXT) | instid1(SALU_CYCLE_1)
	s_lshl_b64 s[4:5], s[4:5], 1
	s_add_u32 s1, s1, s4
	s_addc_u32 s2, s2, s5
	v_add_co_u32 v1, s1, s1, v145
	s_delay_alu instid0(VALU_DEP_1) | instskip(NEXT) | instid1(VALU_DEP_2)
	v_add_co_ci_u32_e64 v2, null, s2, 0, s1
	v_add_co_u32 v7, vcc_lo, v1, v7
	s_delay_alu instid0(VALU_DEP_2)
	v_add_co_ci_u32_e32 v8, vcc_lo, v2, v8, vcc_lo
	global_store_b128 v[7:8], v[3:6], off
	s_and_b32 exec_lo, exec_lo, s3
	s_cbranch_execz .LBB496_2
; %bb.112:
	ds_load_b128 v[3:6], v0 offset:128
	s_add_i32 s1, s31, 2
	s_delay_alu instid0(SALU_CYCLE_1) | instskip(NEXT) | instid1(SALU_CYCLE_1)
	s_mul_i32 s0, s1, s0
	s_ashr_i32 s1, s0, 31
	s_delay_alu instid0(SALU_CYCLE_1) | instskip(NEXT) | instid1(SALU_CYCLE_1)
	s_lshl_b64 s[0:1], s[0:1], 1
	v_add_co_u32 v0, vcc_lo, v1, s0
	v_add_co_ci_u32_e32 v1, vcc_lo, s1, v2, vcc_lo
	s_waitcnt lgkmcnt(0)
	global_store_b128 v[0:1], v[3:6], off
	s_nop 0
	s_sendmsg sendmsg(MSG_DEALLOC_VGPRS)
	s_endpgm
	.section	.rodata,"a",@progbits
	.p2align	6, 0x0
	.amdhsa_kernel _Z39paged_attention_ll4mi_QKV_mfma16_kernelI14__hip_bfloat16S0_LN4vllm18Fp8KVCacheDataTypeE0ES0_Li16ELi64ELi256ELb0ELi3EL8MFMAType0EEvPKT_PKT0_S9_ifPKiSB_SB_iPKfiiiPfSE_PS4_PT2_iSD_SD_
		.amdhsa_group_segment_fixed_size 17472
		.amdhsa_private_segment_fixed_size 0
		.amdhsa_kernarg_size 400
		.amdhsa_user_sgpr_count 13
		.amdhsa_user_sgpr_dispatch_ptr 0
		.amdhsa_user_sgpr_queue_ptr 0
		.amdhsa_user_sgpr_kernarg_segment_ptr 1
		.amdhsa_user_sgpr_dispatch_id 0
		.amdhsa_user_sgpr_private_segment_size 0
		.amdhsa_wavefront_size32 1
		.amdhsa_uses_dynamic_stack 0
		.amdhsa_enable_private_segment 0
		.amdhsa_system_sgpr_workgroup_id_x 1
		.amdhsa_system_sgpr_workgroup_id_y 1
		.amdhsa_system_sgpr_workgroup_id_z 1
		.amdhsa_system_sgpr_workgroup_info 0
		.amdhsa_system_vgpr_workitem_id 0
		.amdhsa_next_free_vgpr 198
		.amdhsa_next_free_sgpr 52
		.amdhsa_reserve_vcc 1
		.amdhsa_float_round_mode_32 0
		.amdhsa_float_round_mode_16_64 0
		.amdhsa_float_denorm_mode_32 3
		.amdhsa_float_denorm_mode_16_64 3
		.amdhsa_dx10_clamp 1
		.amdhsa_ieee_mode 1
		.amdhsa_fp16_overflow 0
		.amdhsa_workgroup_processor_mode 1
		.amdhsa_memory_ordered 1
		.amdhsa_forward_progress 0
		.amdhsa_shared_vgpr_count 0
		.amdhsa_exception_fp_ieee_invalid_op 0
		.amdhsa_exception_fp_denorm_src 0
		.amdhsa_exception_fp_ieee_div_zero 0
		.amdhsa_exception_fp_ieee_overflow 0
		.amdhsa_exception_fp_ieee_underflow 0
		.amdhsa_exception_fp_ieee_inexact 0
		.amdhsa_exception_int_div_zero 0
	.end_amdhsa_kernel
	.section	.text._Z39paged_attention_ll4mi_QKV_mfma16_kernelI14__hip_bfloat16S0_LN4vllm18Fp8KVCacheDataTypeE0ES0_Li16ELi64ELi256ELb0ELi3EL8MFMAType0EEvPKT_PKT0_S9_ifPKiSB_SB_iPKfiiiPfSE_PS4_PT2_iSD_SD_,"axG",@progbits,_Z39paged_attention_ll4mi_QKV_mfma16_kernelI14__hip_bfloat16S0_LN4vllm18Fp8KVCacheDataTypeE0ES0_Li16ELi64ELi256ELb0ELi3EL8MFMAType0EEvPKT_PKT0_S9_ifPKiSB_SB_iPKfiiiPfSE_PS4_PT2_iSD_SD_,comdat
.Lfunc_end496:
	.size	_Z39paged_attention_ll4mi_QKV_mfma16_kernelI14__hip_bfloat16S0_LN4vllm18Fp8KVCacheDataTypeE0ES0_Li16ELi64ELi256ELb0ELi3EL8MFMAType0EEvPKT_PKT0_S9_ifPKiSB_SB_iPKfiiiPfSE_PS4_PT2_iSD_SD_, .Lfunc_end496-_Z39paged_attention_ll4mi_QKV_mfma16_kernelI14__hip_bfloat16S0_LN4vllm18Fp8KVCacheDataTypeE0ES0_Li16ELi64ELi256ELb0ELi3EL8MFMAType0EEvPKT_PKT0_S9_ifPKiSB_SB_iPKfiiiPfSE_PS4_PT2_iSD_SD_
                                        ; -- End function
	.section	.AMDGPU.csdata,"",@progbits
; Kernel info:
; codeLenInByte = 9960
; NumSgprs: 54
; NumVgprs: 198
; ScratchSize: 0
; MemoryBound: 0
; FloatMode: 240
; IeeeMode: 1
; LDSByteSize: 17472 bytes/workgroup (compile time only)
; SGPRBlocks: 6
; VGPRBlocks: 24
; NumSGPRsForWavesPerEU: 54
; NumVGPRsForWavesPerEU: 198
; Occupancy: 7
; WaveLimiterHint : 1
; COMPUTE_PGM_RSRC2:SCRATCH_EN: 0
; COMPUTE_PGM_RSRC2:USER_SGPR: 13
; COMPUTE_PGM_RSRC2:TRAP_HANDLER: 0
; COMPUTE_PGM_RSRC2:TGID_X_EN: 1
; COMPUTE_PGM_RSRC2:TGID_Y_EN: 1
; COMPUTE_PGM_RSRC2:TGID_Z_EN: 1
; COMPUTE_PGM_RSRC2:TIDIG_COMP_CNT: 0
	.section	.text._Z39paged_attention_ll4mi_QKV_mfma16_kernelI14__hip_bfloat16S0_LN4vllm18Fp8KVCacheDataTypeE0ES0_Li16ELi64ELi256ELb0ELi4EL8MFMAType0EEvPKT_PKT0_S9_ifPKiSB_SB_iPKfiiiPfSE_PS4_PT2_iSD_SD_,"axG",@progbits,_Z39paged_attention_ll4mi_QKV_mfma16_kernelI14__hip_bfloat16S0_LN4vllm18Fp8KVCacheDataTypeE0ES0_Li16ELi64ELi256ELb0ELi4EL8MFMAType0EEvPKT_PKT0_S9_ifPKiSB_SB_iPKfiiiPfSE_PS4_PT2_iSD_SD_,comdat
	.protected	_Z39paged_attention_ll4mi_QKV_mfma16_kernelI14__hip_bfloat16S0_LN4vllm18Fp8KVCacheDataTypeE0ES0_Li16ELi64ELi256ELb0ELi4EL8MFMAType0EEvPKT_PKT0_S9_ifPKiSB_SB_iPKfiiiPfSE_PS4_PT2_iSD_SD_ ; -- Begin function _Z39paged_attention_ll4mi_QKV_mfma16_kernelI14__hip_bfloat16S0_LN4vllm18Fp8KVCacheDataTypeE0ES0_Li16ELi64ELi256ELb0ELi4EL8MFMAType0EEvPKT_PKT0_S9_ifPKiSB_SB_iPKfiiiPfSE_PS4_PT2_iSD_SD_
	.globl	_Z39paged_attention_ll4mi_QKV_mfma16_kernelI14__hip_bfloat16S0_LN4vllm18Fp8KVCacheDataTypeE0ES0_Li16ELi64ELi256ELb0ELi4EL8MFMAType0EEvPKT_PKT0_S9_ifPKiSB_SB_iPKfiiiPfSE_PS4_PT2_iSD_SD_
	.p2align	8
	.type	_Z39paged_attention_ll4mi_QKV_mfma16_kernelI14__hip_bfloat16S0_LN4vllm18Fp8KVCacheDataTypeE0ES0_Li16ELi64ELi256ELb0ELi4EL8MFMAType0EEvPKT_PKT0_S9_ifPKiSB_SB_iPKfiiiPfSE_PS4_PT2_iSD_SD_,@function
_Z39paged_attention_ll4mi_QKV_mfma16_kernelI14__hip_bfloat16S0_LN4vllm18Fp8KVCacheDataTypeE0ES0_Li16ELi64ELi256ELb0ELi4EL8MFMAType0EEvPKT_PKT0_S9_ifPKiSB_SB_iPKfiiiPfSE_PS4_PT2_iSD_SD_: ; @_Z39paged_attention_ll4mi_QKV_mfma16_kernelI14__hip_bfloat16S0_LN4vllm18Fp8KVCacheDataTypeE0ES0_Li16ELi64ELi256ELb0ELi4EL8MFMAType0EEvPKT_PKT0_S9_ifPKiSB_SB_iPKfiiiPfSE_PS4_PT2_iSD_SD_
; %bb.0:
	s_load_b64 s[2:3], s[0:1], 0x30
	s_mov_b32 s30, s13
	s_waitcnt lgkmcnt(0)
	s_cmp_lg_u64 s[2:3], 0
	s_cselect_b32 s6, -1, 0
	s_ashr_i32 s31, s13, 31
	s_cmp_eq_u64 s[2:3], 0
	s_cbranch_scc1 .LBB497_3
; %bb.1:
	s_lshl_b64 s[4:5], s[30:31], 2
	s_delay_alu instid0(SALU_CYCLE_1) | instskip(SKIP_4) | instid1(SALU_CYCLE_1)
	s_add_u32 s4, s2, s4
	s_addc_u32 s5, s3, s5
	s_load_b64 s[4:5], s[4:5], 0x0
	s_waitcnt lgkmcnt(0)
	s_sub_i32 s4, s5, s4
	s_cmp_eq_u32 s4, 1
	s_cselect_b32 s4, -1, 0
	s_delay_alu instid0(SALU_CYCLE_1)
	s_and_not1_b32 vcc_lo, exec_lo, s4
	s_cbranch_vccz .LBB497_4
.LBB497_2:
	s_endpgm
.LBB497_3:
.LBB497_4:
	s_load_b64 s[8:9], s[0:1], 0x28
	s_lshl_b64 s[4:5], s[30:31], 2
	s_waitcnt lgkmcnt(0)
	s_add_u32 s8, s8, s4
	s_addc_u32 s9, s9, s5
	s_lshl_b32 s34, s14, 8
	s_load_b32 s33, s[8:9], 0x0
	s_waitcnt lgkmcnt(0)
	s_cmp_ge_i32 s34, s33
	s_cbranch_scc1 .LBB497_2
; %bb.5:
	s_clause 0x1
	s_load_b128 s[8:11], s[0:1], 0x8
	s_load_b64 s[12:13], s[0:1], 0x20
	s_and_not1_b32 vcc_lo, exec_lo, s6
	s_cbranch_vccnz .LBB497_7
; %bb.6:
	s_add_u32 s2, s2, s4
	s_addc_u32 s3, s3, s5
	s_load_b32 s3, s[2:3], 0x0
	s_branch .LBB497_8
.LBB497_7:
	s_mov_b32 s3, s30
.LBB497_8:
	s_load_b128 s[4:7], s[0:1], 0x48
	v_and_b32_e32 v149, 15, v0
	v_cmp_gt_u32_e32 vcc_lo, 64, v0
	v_lshrrev_b32_e32 v148, 5, v0
	v_and_b32_e32 v150, 31, v0
	v_and_b32_e32 v146, 1, v0
	v_lshlrev_b32_e32 v1, 3, v149
	v_cmp_gt_u32_e64 s2, 8, v149
	v_bfe_u32 v147, v0, 4, 1
	s_lshl_b32 s31, s15, 2
	s_delay_alu instid0(VALU_DEP_3) | instskip(NEXT) | instid1(VALU_DEP_3)
	v_lshlrev_b32_e32 v145, 1, v1
	s_and_b32 s16, vcc_lo, s2
	s_waitcnt lgkmcnt(0)
	s_and_saveexec_b32 s7, s16
	s_cbranch_execz .LBB497_10
; %bb.9:
	v_lshl_or_b32 v5, v148, 1, v147
	s_load_b64 s[16:17], s[0:1], 0x0
	s_mul_hi_i32 s19, s3, s4
	s_mul_i32 s18, s3, s4
	v_lshlrev_b32_e32 v6, 10, v149
	v_or_b32_e32 v1, s31, v5
	s_lshl_b64 s[18:19], s[18:19], 1
	v_lshlrev_b32_e32 v5, 6, v5
	v_lshlrev_b32_e32 v7, 10, v146
	v_and_b32_e32 v6, 0x3800, v6
	v_lshlrev_b32_e32 v1, 6, v1
	s_delay_alu instid0(VALU_DEP_2) | instskip(NEXT) | instid1(VALU_DEP_2)
	v_or3_b32 v5, v6, v7, v5
	v_ashrrev_i32_e32 v2, 31, v1
	s_delay_alu instid0(VALU_DEP_1) | instskip(SKIP_3) | instid1(VALU_DEP_1)
	v_lshlrev_b64 v[1:2], 1, v[1:2]
	s_waitcnt lgkmcnt(0)
	s_add_u32 s3, s16, s18
	s_addc_u32 s4, s17, s19
	v_add_co_u32 v1, vcc_lo, s3, v1
	s_delay_alu instid0(VALU_DEP_2) | instskip(NEXT) | instid1(VALU_DEP_2)
	v_add_co_ci_u32_e32 v2, vcc_lo, s4, v2, vcc_lo
	v_add_co_u32 v1, vcc_lo, v1, v145
	s_delay_alu instid0(VALU_DEP_2)
	v_add_co_ci_u32_e32 v2, vcc_lo, 0, v2, vcc_lo
	global_load_b128 v[1:4], v[1:2], off
	s_waitcnt vmcnt(0)
	ds_store_b128 v5, v[1:4]
.LBB497_10:
	s_or_b32 exec_lo, exec_lo, s7
	s_mov_b32 s40, 0
	s_add_i32 s3, s33, 15
	s_mov_b32 s41, s40
	s_mov_b32 s42, s40
	s_mov_b32 s43, s40
	s_mov_b32 s44, s40
	s_mov_b32 s45, s40
	s_mov_b32 s46, s40
	s_mov_b32 s47, s40
	s_delay_alu instid0(SALU_CYCLE_1)
	v_dual_mov_b32 v136, s47 :: v_dual_and_b32 v1, 0xef, v0
	v_mov_b32_e32 v134, s45
	s_clause 0x1
	s_load_b32 s4, s[0:1], 0x38
	s_load_b32 s35, s[0:1], 0x1c
	v_add_nc_u32_e32 v1, s34, v1
	s_ashr_i32 s7, s3, 31
	s_waitcnt lgkmcnt(0)
	s_lshr_b32 s7, s7, 28
	s_barrier
	v_ashrrev_i32_e32 v2, 31, v1
	s_add_i32 s3, s3, s7
	v_cmp_gt_i32_e32 vcc_lo, s33, v1
	v_mov_b32_e32 v135, s46
	s_ashr_i32 s3, s3, 4
	v_lshrrev_b32_e32 v3, 28, v2
	v_or_b32_e32 v2, 16, v1
	s_add_i32 s3, s3, -1
	v_mov_b32_e32 v132, s43
	buffer_gl0_inv
	v_add_nc_u32_e32 v4, v1, v3
	v_add_nc_u32_e32 v3, v2, v3
	s_mul_i32 s6, s15, s6
	v_lshlrev_b32_e32 v22, 5, v149
	s_mul_i32 s16, s30, s4
	v_ashrrev_i32_e32 v4, 4, v4
	v_ashrrev_i32_e32 v3, 4, v3
	s_ashr_i32 s17, s16, 31
	v_and_b32_e32 v21, 3, v0
	s_lshl_b64 s[16:17], s[16:17], 2
	v_cndmask_b32_e32 v1, s3, v4, vcc_lo
	v_cmp_gt_i32_e32 vcc_lo, s33, v2
	s_add_u32 s4, s12, s16
	s_addc_u32 s36, s13, s17
	s_ashr_i32 s7, s6, 31
	v_ashrrev_i32_e32 v2, 31, v1
	v_cndmask_b32_e32 v3, s3, v3, vcc_lo
	s_lshl_b64 s[6:7], s[6:7], 1
	v_lshlrev_b32_e32 v197, 6, v21
	s_add_u32 s24, s8, s6
	v_lshlrev_b64 v[1:2], 2, v[1:2]
	v_ashrrev_i32_e32 v4, 31, v3
	s_addc_u32 s25, s9, s7
	s_lshl_b32 s8, s14, 4
	v_mov_b32_e32 v133, s44
	s_ashr_i32 s9, s8, 31
	v_lshlrev_b64 v[3:4], 2, v[3:4]
	v_add_co_u32 v1, vcc_lo, s4, v1
	v_add_co_ci_u32_e32 v2, vcc_lo, s36, v2, vcc_lo
	s_lshl_b64 s[8:9], s[8:9], 2
	s_delay_alu instid0(VALU_DEP_3) | instskip(NEXT) | instid1(VALU_DEP_4)
	v_add_co_u32 v3, vcc_lo, s4, v3
	v_add_co_ci_u32_e32 v4, vcc_lo, s36, v4, vcc_lo
	s_clause 0x1
	global_load_b32 v5, v[1:2], off
	global_load_b32 v6, v[3:4], off
	s_add_u32 s8, s4, s8
	s_addc_u32 s9, s36, s9
	s_or_b32 s12, s34, 16
	v_dual_mov_b32 v130, s41 :: v_dual_lshlrev_b32 v3, 4, v0
	s_ashr_i32 s13, s12, 4
	s_cmp_lt_i32 s12, s33
	v_mov_b32_e32 v131, s42
	s_cselect_b32 s12, s13, s3
	v_mov_b32_e32 v129, s40
	s_ashr_i32 s13, s12, 31
	v_lshl_or_b32 v21, v148, 9, v22
	s_lshl_b64 s[12:13], s[12:13], 2
	s_delay_alu instid0(SALU_CYCLE_1) | instskip(SKIP_2) | instid1(SALU_CYCLE_1)
	s_add_u32 s12, s4, s12
	s_addc_u32 s13, s36, s13
	s_or_b32 s15, s34, 32
	s_ashr_i32 s16, s15, 4
	s_cmp_lt_i32 s15, s33
	s_cselect_b32 s16, s16, s3
	s_delay_alu instid0(SALU_CYCLE_1) | instskip(NEXT) | instid1(SALU_CYCLE_1)
	s_ashr_i32 s17, s16, 31
	s_lshl_b64 s[16:17], s[16:17], 2
	s_delay_alu instid0(SALU_CYCLE_1) | instskip(SKIP_2) | instid1(SALU_CYCLE_1)
	s_add_u32 s16, s4, s16
	s_addc_u32 s17, s36, s17
	s_or_b32 s15, s34, 48
	s_ashr_i32 s18, s15, 4
	s_cmp_lt_i32 s15, s33
	s_cselect_b32 s18, s18, s3
	s_delay_alu instid0(SALU_CYCLE_1) | instskip(NEXT) | instid1(SALU_CYCLE_1)
	s_ashr_i32 s19, s18, 31
	;; [unrolled: 10-line block ×4, first 2 shown]
	s_lshl_b64 s[22:23], s[22:23], 2
	s_delay_alu instid0(SALU_CYCLE_1)
	s_add_u32 s22, s4, s22
	s_addc_u32 s23, s36, s23
	s_clause 0x5
	s_load_b32 s8, s[8:9], 0x0
	s_load_b32 s12, s[12:13], 0x0
	;; [unrolled: 1-line block ×6, first 2 shown]
	s_waitcnt lgkmcnt(0)
	s_mul_hi_i32 s17, s16, s5
	s_mul_i32 s16, s16, s5
	s_waitcnt vmcnt(1)
	v_mad_i64_i32 v[1:2], null, v5, s5, 0
	v_and_b32_e32 v5, 0xf0, v3
	s_waitcnt vmcnt(0)
	v_mad_i64_i32 v[3:4], null, v6, s5, 0
	s_delay_alu instid0(VALU_DEP_2) | instskip(NEXT) | instid1(VALU_DEP_4)
	v_add_co_u32 v5, s9, s24, v5
	v_lshlrev_b64 v[1:2], 1, v[1:2]
	v_add_co_ci_u32_e64 v6, null, s25, 0, s9
	s_delay_alu instid0(VALU_DEP_4) | instskip(SKIP_1) | instid1(VALU_DEP_3)
	v_lshlrev_b64 v[3:4], 1, v[3:4]
	s_or_b32 s9, s34, 0x60
	v_add_co_u32 v17, vcc_lo, v5, v1
	s_delay_alu instid0(VALU_DEP_3) | instskip(NEXT) | instid1(VALU_DEP_3)
	v_add_co_ci_u32_e32 v18, vcc_lo, v6, v2, vcc_lo
	v_add_co_u32 v19, vcc_lo, v5, v3
	s_delay_alu instid0(VALU_DEP_4)
	v_add_co_ci_u32_e32 v20, vcc_lo, v6, v4, vcc_lo
	s_clause 0xb
	global_load_b128 v[1:4], v[17:18], off
	global_load_b128 v[5:8], v[17:18], off offset:256
	global_load_b128 v[137:140], v[19:20], off
	global_load_b128 v[141:144], v[19:20], off offset:256
	global_load_b128 v[33:36], v[17:18], off offset:512
	;; [unrolled: 1-line block ×9, first 2 shown]
	ds_load_b128 v[159:162], v197
	ds_load_b128 v[163:166], v197 offset:1024
	s_clause 0x3
	global_load_b128 v[167:170], v[17:18], off offset:1536
	global_load_b128 v[171:174], v[17:18], off offset:1792
	;; [unrolled: 1-line block ×4, first 2 shown]
	s_ashr_i32 s13, s9, 4
	s_cmp_lt_i32 s9, s33
	s_cselect_b32 s22, s13, s3
	s_delay_alu instid0(SALU_CYCLE_1) | instskip(NEXT) | instid1(SALU_CYCLE_1)
	s_ashr_i32 s23, s22, 31
	s_lshl_b64 s[22:23], s[22:23], 2
	s_delay_alu instid0(SALU_CYCLE_1) | instskip(SKIP_2) | instid1(SALU_CYCLE_1)
	s_add_u32 s22, s4, s22
	s_addc_u32 s23, s36, s23
	s_or_b32 s9, s34, 0x70
	s_ashr_i32 s13, s9, 4
	s_cmp_lt_i32 s9, s33
	s_cselect_b32 s24, s13, s3
	s_delay_alu instid0(SALU_CYCLE_1) | instskip(NEXT) | instid1(SALU_CYCLE_1)
	s_ashr_i32 s25, s24, 31
	s_lshl_b64 s[24:25], s[24:25], 2
	s_delay_alu instid0(SALU_CYCLE_1)
	s_add_u32 s24, s4, s24
	s_addc_u32 s25, s36, s25
	s_or_b32 s9, s34, 0x80
	s_load_b32 s46, s[24:25], 0x0
	s_ashr_i32 s13, s9, 4
	s_cmp_lt_i32 s9, s33
	s_cselect_b32 s26, s13, s3
	s_delay_alu instid0(SALU_CYCLE_1) | instskip(NEXT) | instid1(SALU_CYCLE_1)
	s_ashr_i32 s27, s26, 31
	s_lshl_b64 s[26:27], s[26:27], 2
	s_delay_alu instid0(SALU_CYCLE_1)
	s_add_u32 s26, s4, s26
	s_addc_u32 s27, s36, s27
	s_or_b32 s9, s34, 0x90
	s_load_b32 s47, s[26:27], 0x0
	s_ashr_i32 s13, s9, 4
	s_cmp_lt_i32 s9, s33
	s_cselect_b32 s28, s13, s3
	s_delay_alu instid0(SALU_CYCLE_1) | instskip(NEXT) | instid1(SALU_CYCLE_1)
	s_ashr_i32 s29, s28, 31
	s_lshl_b64 s[28:29], s[28:29], 2
	s_delay_alu instid0(SALU_CYCLE_1) | instskip(SKIP_2) | instid1(SALU_CYCLE_1)
	s_add_u32 s28, s4, s28
	s_addc_u32 s29, s36, s29
	s_or_b32 s9, s34, 0xa0
	s_ashr_i32 s13, s9, 4
	s_cmp_lt_i32 s9, s33
	s_cselect_b32 s38, s13, s3
	s_delay_alu instid0(SALU_CYCLE_1) | instskip(NEXT) | instid1(SALU_CYCLE_1)
	s_ashr_i32 s39, s38, 31
	s_lshl_b64 s[38:39], s[38:39], 2
	s_delay_alu instid0(SALU_CYCLE_1)
	s_add_u32 s38, s4, s38
	s_addc_u32 s39, s36, s39
	s_or_b32 s9, s34, 0xb0
	s_load_b32 s39, s[38:39], 0x0
	s_ashr_i32 s13, s9, 4
	s_cmp_lt_i32 s9, s33
	s_mul_hi_i32 s9, s8, s5
	s_cselect_b32 s40, s13, s3
	s_mul_i32 s8, s8, s5
	s_ashr_i32 s41, s40, 31
	s_mul_hi_i32 s13, s12, s5
	s_lshl_b64 s[40:41], s[40:41], 2
	s_mul_i32 s12, s12, s5
	s_add_u32 s42, s4, s40
	s_addc_u32 s43, s36, s41
	s_or_b32 s19, s34, 0xc0
	s_delay_alu instid0(SALU_CYCLE_1)
	s_ashr_i32 s21, s19, 4
	s_cmp_lt_i32 s19, s33
	s_mul_hi_i32 s19, s18, s5
	s_cselect_b32 s40, s21, s3
	s_mul_i32 s18, s18, s5
	s_ashr_i32 s41, s40, 31
	s_mul_hi_i32 s21, s20, s5
	s_lshl_b64 s[40:41], s[40:41], 2
	s_mul_i32 s20, s20, s5
	s_add_u32 s44, s4, s40
	s_load_b32 s40, s[28:29], 0x0
	s_addc_u32 s45, s36, s41
	s_or_b32 s37, s34, 0xd0
	s_load_b32 s41, s[22:23], 0x0
	s_ashr_i32 s22, s37, 4
	s_cmp_lt_i32 s37, s33
	s_mul_hi_i32 s23, s15, s5
	s_cselect_b32 s24, s22, s3
	s_mul_i32 s22, s15, s5
	s_ashr_i32 s25, s24, 31
	s_waitcnt lgkmcnt(0)
	s_mul_hi_i32 s27, s46, s5
	s_lshl_b64 s[24:25], s[24:25], 2
	s_mul_i32 s26, s46, s5
	s_add_u32 s24, s4, s24
	s_addc_u32 s25, s36, s25
	s_or_b32 s48, s34, 0xe0
	s_clause 0x2
	s_load_b32 s38, s[42:43], 0x0
	s_load_b32 s37, s[44:45], 0x0
	;; [unrolled: 1-line block ×3, first 2 shown]
	s_ashr_i32 s49, s48, 4
	s_cmp_lt_i32 s48, s33
	s_mul_hi_i32 s29, s47, s5
	s_cselect_b32 s42, s49, s3
	s_mul_i32 s28, s47, s5
	s_ashr_i32 s43, s42, 31
	s_mul_hi_i32 s25, s41, s5
	s_lshl_b64 s[42:43], s[42:43], 2
	s_mul_i32 s24, s41, s5
	s_add_u32 s42, s4, s42
	s_addc_u32 s43, s36, s43
	s_or_b32 s46, s34, 0xf0
	s_mul_hi_i32 s41, s40, s5
	s_ashr_i32 s47, s46, 4
	s_cmp_lt_i32 s46, s33
	s_mul_i32 s40, s40, s5
	s_cselect_b32 s46, s47, s3
	s_mul_hi_i32 s45, s39, s5
	s_ashr_i32 s47, s46, 31
	s_mul_i32 s44, s39, s5
	s_lshl_b64 s[46:47], s[46:47], 2
	s_waitcnt lgkmcnt(0)
	s_mul_hi_i32 s39, s38, s5
	s_add_u32 s46, s4, s46
	s_addc_u32 s47, s36, s47
	s_add_u32 s3, s10, s6
	s_addc_u32 s4, s11, s7
	v_add_co_u32 v195, s3, s3, v21
	s_delay_alu instid0(VALU_DEP_1) | instskip(SKIP_2) | instid1(VALU_DEP_2)
	v_add_co_ci_u32_e64 v196, null, s4, 0, s3
	s_lshl_b64 s[6:7], s[8:9], 1
	s_lshl_b64 s[8:9], s[12:13], 1
	v_add_co_u32 v17, vcc_lo, v195, s6
	s_delay_alu instid0(VALU_DEP_2)
	v_add_co_ci_u32_e32 v18, vcc_lo, s7, v196, vcc_lo
	v_add_co_u32 v19, vcc_lo, v195, s8
	s_lshl_b64 s[10:11], s[16:17], 1
	v_add_co_ci_u32_e32 v20, vcc_lo, s9, v196, vcc_lo
	v_add_co_u32 v21, vcc_lo, v195, s10
	s_lshl_b64 s[12:13], s[18:19], 1
	;; [unrolled: 3-line block ×9, first 2 shown]
	s_mul_i32 s38, s38, s5
	v_add_co_ci_u32_e32 v54, vcc_lo, s27, v196, vcc_lo
	v_add_co_u32 v183, vcc_lo, v195, s28
	s_mul_hi_i32 s49, s37, s5
	s_mul_i32 s48, s37, s5
	s_lshl_b64 s[36:37], s[38:39], 1
	v_add_co_ci_u32_e32 v184, vcc_lo, s29, v196, vcc_lo
	v_add_co_u32 v185, vcc_lo, v195, s36
	s_lshl_b64 s[38:39], s[48:49], 1
	s_clause 0x1
	s_load_b32 s3, s[42:43], 0x0
	s_load_b32 s4, s[46:47], 0x0
	v_add_co_ci_u32_e32 v186, vcc_lo, s37, v196, vcc_lo
	v_add_co_u32 v191, vcc_lo, v195, s38
	v_add_co_ci_u32_e32 v192, vcc_lo, s39, v196, vcc_lo
	s_clause 0x17
	global_load_b128 v[121:124], v[17:18], off
	global_load_b128 v[125:128], v[17:18], off offset:16
	global_load_b128 v[113:116], v[19:20], off
	global_load_b128 v[117:120], v[19:20], off offset:16
	;; [unrolled: 2-line block ×12, first 2 shown]
	s_mul_hi_i32 s51, s15, s5
	s_mul_i32 s50, s15, s5
	s_delay_alu instid0(SALU_CYCLE_1) | instskip(NEXT) | instid1(SALU_CYCLE_1)
	s_lshl_b64 s[40:41], s[50:51], 1
	v_add_co_u32 v193, vcc_lo, v195, s40
	v_add_co_ci_u32_e32 v194, vcc_lo, s41, v196, vcc_lo
	s_waitcnt lgkmcnt(0)
	s_mul_hi_i32 s7, s3, s5
	s_mul_i32 s6, s3, s5
	s_mul_hi_i32 s9, s4, s5
	s_lshl_b64 s[6:7], s[6:7], 1
	s_mul_i32 s8, s4, s5
	s_delay_alu instid0(SALU_CYCLE_1)
	s_lshl_b64 s[4:5], s[8:9], 1
	s_waitcnt vmcnt(38)
	v_wmma_f32_16x16x16_bf16 v[183:190], v[1:8], v[159:166], v[129:136]
	s_waitcnt vmcnt(36)
	v_wmma_f32_16x16x16_bf16 v[129:136], v[137:144], v[159:166], v[129:136]
	s_clause 0x1
	global_load_b128 v[1:4], v[191:192], off
	global_load_b128 v[5:8], v[191:192], off offset:16
	ds_load_b128 v[137:140], v197 offset:2048
	ds_load_b128 v[141:144], v197 offset:3072
	;; [unrolled: 1-line block ×4, first 2 shown]
	v_add_co_u32 v191, vcc_lo, v195, s6
	v_add_co_ci_u32_e32 v192, vcc_lo, s7, v196, vcc_lo
	v_add_co_u32 v195, vcc_lo, v195, s4
	v_add_co_ci_u32_e32 v196, vcc_lo, s5, v196, vcc_lo
	s_waitcnt vmcnt(36) lgkmcnt(2)
	v_wmma_f32_16x16x16_bf16 v[183:190], v[33:40], v[137:144], v[183:190]
	s_waitcnt vmcnt(34)
	v_wmma_f32_16x16x16_bf16 v[129:136], v[25:32], v[137:144], v[129:136]
	s_clause 0x3
	global_load_b128 v[25:28], v[193:194], off
	global_load_b128 v[29:32], v[193:194], off offset:16
	global_load_b128 v[33:36], v[191:192], off
	global_load_b128 v[37:40], v[191:192], off offset:16
	v_and_b32_e32 v137, 0xe0, v0
	v_mbcnt_lo_u32_b32 v191, -1, 0
	s_waitcnt vmcnt(36) lgkmcnt(0)
	v_wmma_f32_16x16x16_bf16 v[183:190], v[9:16], v[159:166], v[183:190]
	s_clause 0x1
	global_load_b128 v[9:12], v[195:196], off
	global_load_b128 v[13:16], v[195:196], off offset:16
	s_waitcnt vmcnt(36)
	v_wmma_f32_16x16x16_bf16 v[129:136], v[151:158], v[159:166], v[129:136]
	v_add_nc_u32_e32 v192, s34, v137
	ds_load_b128 v[137:140], v197 offset:6144
	ds_load_b128 v[141:144], v197 offset:7168
	v_xor_b32_e32 v151, 16, v191
	s_waitcnt vmcnt(0) lgkmcnt(0)
	s_barrier
	v_or_b32_e32 v152, v192, v147
	buffer_gl0_inv
	v_cmp_gt_i32_e32 vcc_lo, 32, v151
	v_or_b32_e32 v153, 2, v152
	v_or_b32_e32 v154, 4, v152
	;; [unrolled: 1-line block ×5, first 2 shown]
	v_cmp_gt_i32_e64 s3, s33, v153
	v_cmp_gt_i32_e64 s4, s33, v154
	;; [unrolled: 1-line block ×3, first 2 shown]
	v_or_b32_e32 v158, 12, v152
	v_or_b32_e32 v159, 14, v152
	v_cmp_gt_i32_e64 s6, s33, v156
	v_wmma_f32_16x16x16_bf16 v[183:190], v[167:174], v[137:144], v[183:190]
	v_wmma_f32_16x16x16_bf16 v[129:136], v[175:182], v[137:144], v[129:136]
	v_cndmask_b32_e32 v151, v191, v151, vcc_lo
	v_cmp_gt_i32_e32 vcc_lo, s33, v152
	v_cmp_gt_i32_e64 s7, s33, v157
	v_dual_mul_f32 v143, s35, v184 :: v_dual_mul_f32 v144, s35, v183
	v_dual_mul_f32 v141, s35, v186 :: v_dual_mul_f32 v142, s35, v185
	v_dual_mul_f32 v139, s35, v188 :: v_dual_mul_f32 v174, s35, v130
	s_delay_alu instid0(VALU_DEP_3) | instskip(NEXT) | instid1(VALU_DEP_4)
	v_cndmask_b32_e32 v144, 0xff7fffff, v144, vcc_lo
	v_cndmask_b32_e64 v143, 0xff7fffff, v143, s3
	v_mul_f32_e32 v140, s35, v187
	v_cndmask_b32_e64 v142, 0xff7fffff, v142, s4
	v_cndmask_b32_e64 v141, 0xff7fffff, v141, s5
	v_or_b32_e32 v160, 16, v152
	v_max3_f32 v143, v144, 0xff7fffff, v143
	v_or_b32_e32 v161, 18, v152
	v_mul_f32_e32 v138, s35, v189
	v_dual_mul_f32 v172, s35, v132 :: v_dual_mul_f32 v137, s35, v190
	v_lshlrev_b32_e32 v154, 2, v151
	v_cndmask_b32_e64 v140, 0xff7fffff, v140, s6
	v_cndmask_b32_e64 v139, 0xff7fffff, v139, s7
	v_max3_f32 v141, v143, v142, v141
	v_cmp_gt_i32_e64 s8, s33, v158
	v_cmp_gt_i32_e64 s9, s33, v159
	v_or_b32_e32 v162, 20, v152
	v_or_b32_e32 v163, 22, v152
	v_mul_f32_e32 v175, s35, v129
	v_cndmask_b32_e64 v138, 0xff7fffff, v138, s8
	v_cndmask_b32_e64 v137, 0xff7fffff, v137, s9
	v_max3_f32 v139, v141, v140, v139
	v_cmp_gt_i32_e64 s10, s33, v160
	v_cmp_gt_i32_e64 s11, s33, v161
	v_or_b32_e32 v164, 24, v152
	v_or_b32_e32 v165, 26, v152
	v_mul_f32_e32 v173, s35, v131
	v_cndmask_b32_e64 v140, 0xff7fffff, v175, s10
	v_cndmask_b32_e64 v141, 0xff7fffff, v174, s11
	v_max3_f32 v137, v139, v138, v137
	v_cmp_gt_i32_e64 s12, s33, v162
	v_cmp_gt_i32_e64 s13, s33, v163
	v_or_b32_e32 v166, 28, v152
	v_or_b32_e32 v167, 30, v152
	v_dual_mul_f32 v170, s35, v134 :: v_dual_mul_f32 v171, s35, v133
	v_cndmask_b32_e64 v138, 0xff7fffff, v173, s12
	v_cndmask_b32_e64 v139, 0xff7fffff, v172, s13
	v_max3_f32 v137, v137, v140, v141
	v_cmp_gt_i32_e64 s15, s33, v164
	v_cmp_gt_i32_e64 s16, s33, v165
	v_dual_mul_f32 v168, s35, v136 :: v_dual_mul_f32 v169, s35, v135
	s_delay_alu instid0(VALU_DEP_4) | instskip(NEXT) | instid1(VALU_DEP_4)
	v_max3_f32 v137, v137, v138, v139
	v_cndmask_b32_e64 v140, 0xff7fffff, v171, s15
	s_delay_alu instid0(VALU_DEP_4) | instskip(SKIP_2) | instid1(VALU_DEP_3)
	v_cndmask_b32_e64 v141, 0xff7fffff, v170, s16
	v_cmp_gt_i32_e64 s17, s33, v166
	v_cmp_gt_i32_e64 s18, s33, v167
	v_max3_f32 v137, v137, v140, v141
	s_delay_alu instid0(VALU_DEP_3) | instskip(NEXT) | instid1(VALU_DEP_3)
	v_cndmask_b32_e64 v138, 0xff7fffff, v169, s17
	v_cndmask_b32_e64 v139, 0xff7fffff, v168, s18
	s_delay_alu instid0(VALU_DEP_1) | instskip(SKIP_3) | instid1(VALU_DEP_1)
	v_max3_f32 v137, v137, v138, v139
	ds_bpermute_b32 v138, v154, v137
	s_waitcnt lgkmcnt(0)
	v_max_f32_e32 v138, v138, v138
	v_max_f32_e32 v139, v137, v138
	s_delay_alu instid0(VALU_DEP_1) | instskip(SKIP_4) | instid1(VALU_DEP_4)
	v_fma_f32 v141, s35, v186, -v139
	v_fma_f32 v130, s35, v130, -v139
	;; [unrolled: 1-line block ×5, first 2 shown]
	v_dual_mul_f32 v141, 0x3fb8aa3b, v141 :: v_dual_mul_f32 v130, 0x3fb8aa3b, v130
	v_fma_f32 v142, s35, v187, -v139
	s_delay_alu instid0(VALU_DEP_4) | instskip(NEXT) | instid1(VALU_DEP_4)
	v_mul_f32_e32 v138, 0x3fb8aa3b, v138
	v_mul_f32_e32 v140, 0x3fb8aa3b, v140
	s_delay_alu instid0(VALU_DEP_4)
	v_exp_f32_e32 v144, v141
	v_fma_f32 v151, s35, v189, -v139
	v_mul_f32_e32 v142, 0x3fb8aa3b, v142
	v_exp_f32_e32 v138, v138
	v_exp_f32_e32 v143, v140
	v_fma_f32 v132, s35, v132, -v139
	v_mul_f32_e32 v151, 0x3fb8aa3b, v151
	v_exp_f32_e32 v152, v142
	v_fma_f32 v129, s35, v129, -v139
	v_fma_f32 v134, s35, v134, -v139
	v_cndmask_b32_e64 v144, 0, v144, s5
	v_dual_mul_f32 v137, 0x3fb8aa3b, v137 :: v_dual_mul_f32 v132, 0x3fb8aa3b, v132
	s_delay_alu instid0(TRANS32_DEP_3) | instskip(NEXT) | instid1(TRANS32_DEP_2)
	v_cndmask_b32_e64 v141, 0, v138, s3
	v_cndmask_b32_e64 v142, 0, v143, s4
	v_fma_f32 v143, s35, v190, -v139
	s_delay_alu instid0(VALU_DEP_4)
	v_exp_f32_e32 v137, v137
	v_exp_f32_e32 v153, v151
	v_cndmask_b32_e64 v151, 0, v152, s6
	v_mul_f32_e32 v129, 0x3fb8aa3b, v129
	v_dual_mul_f32 v143, 0x3fb8aa3b, v143 :: v_dual_mul_f32 v134, 0x3fb8aa3b, v134
	v_fma_f32 v131, s35, v131, -v139
	v_exp_f32_e32 v130, v130
	s_delay_alu instid0(VALU_DEP_3) | instskip(NEXT) | instid1(VALU_DEP_2)
	v_exp_f32_e32 v129, v129
	v_exp_f32_e32 v155, v143
	v_cndmask_b32_e32 v140, 0, v137, vcc_lo
	v_fma_f32 v137, s35, v188, -v139
	v_cndmask_b32_e64 v143, 0, v153, s8
	v_mul_f32_e32 v131, 0x3fb8aa3b, v131
	v_fma_f32 v133, s35, v133, -v139
	s_delay_alu instid0(VALU_DEP_4) | instskip(SKIP_2) | instid1(TRANS32_DEP_1)
	v_dual_add_f32 v138, 0, v140 :: v_dual_mul_f32 v137, 0x3fb8aa3b, v137
	v_fma_f32 v136, s35, v136, -v139
	s_mov_b32 s3, exec_lo
	v_cndmask_b32_e64 v153, 0, v155, s9
	s_delay_alu instid0(VALU_DEP_3) | instskip(SKIP_1) | instid1(VALU_DEP_1)
	v_add_f32_e32 v138, v138, v141
	v_exp_f32_e32 v137, v137
	v_dual_mul_f32 v133, 0x3fb8aa3b, v133 :: v_dual_add_f32 v138, v138, v142
	s_delay_alu instid0(VALU_DEP_1)
	v_add_f32_e32 v138, v138, v144
	s_waitcnt_depctr 0xfff
	v_cndmask_b32_e64 v152, 0, v137, s7
	v_add_f32_e32 v137, v138, v151
	v_exp_f32_e32 v138, v131
	v_cndmask_b32_e64 v131, 0, v129, s10
	s_delay_alu instid0(VALU_DEP_2) | instskip(NEXT) | instid1(VALU_DEP_1)
	v_add_f32_e32 v137, v137, v152
	v_add_f32_e32 v137, v137, v143
	s_delay_alu instid0(VALU_DEP_1)
	v_add_f32_e32 v129, v137, v153
	v_exp_f32_e32 v137, v132
	v_cndmask_b32_e64 v132, 0, v130, s11
	v_fma_f32 v130, s35, v135, -v139
	v_exp_f32_e32 v135, v133
	v_add_f32_e32 v129, v129, v131
	v_cndmask_b32_e64 v133, 0, v138, s12
	v_exp_f32_e32 v138, v134
	s_delay_alu instid0(VALU_DEP_2) | instskip(NEXT) | instid1(TRANS32_DEP_3)
	v_dual_mul_f32 v130, 0x3fb8aa3b, v130 :: v_dual_add_f32 v129, v129, v132
	v_cndmask_b32_e64 v134, 0, v137, s13
	v_mul_f32_e32 v137, 0x3fb8aa3b, v136
	s_delay_alu instid0(VALU_DEP_3) | instskip(NEXT) | instid1(TRANS32_DEP_3)
	v_exp_f32_e32 v130, v130
	v_cndmask_b32_e64 v135, 0, v135, s15
	v_add_f32_e32 v129, v129, v133
	s_delay_alu instid0(TRANS32_DEP_2) | instskip(SKIP_1) | instid1(VALU_DEP_2)
	v_cndmask_b32_e64 v136, 0, v138, s16
	v_exp_f32_e32 v138, v137
	v_add_f32_e32 v129, v129, v134
	s_waitcnt_depctr 0xfff
	v_cndmask_b32_e64 v137, 0, v130, s17
	v_add_f32_e32 v129, v129, v135
	v_cndmask_b32_e64 v138, 0, v138, s18
	s_delay_alu instid0(VALU_DEP_2) | instskip(NEXT) | instid1(VALU_DEP_1)
	v_add_f32_e32 v129, v129, v136
	v_add_f32_e32 v129, v129, v137
	s_delay_alu instid0(VALU_DEP_1)
	v_add_f32_e32 v129, v129, v138
	ds_bpermute_b32 v130, v154, v129
	v_cmpx_gt_u32_e32 16, v150
	s_cbranch_execz .LBB497_12
; %bb.11:
	v_mul_u32_u24_e32 v150, 0x44, v148
	s_waitcnt lgkmcnt(0)
	v_add_f32_e32 v129, v129, v130
	s_delay_alu instid0(VALU_DEP_2) | instskip(NEXT) | instid1(VALU_DEP_1)
	v_lshl_add_u32 v150, v149, 2, v150
	v_add_nc_u32_e32 v130, 0x4000, v150
	ds_store_2addr_b32 v130, v139, v129 offset1:136
.LBB497_12:
	s_or_b32 exec_lo, exec_lo, s3
	v_lshlrev_b32_e32 v129, 2, v149
	s_waitcnt lgkmcnt(0)
	s_barrier
	buffer_gl0_inv
	v_cmp_eq_u32_e64 s3, 1, v148
	v_add_nc_u32_e32 v139, 0x4000, v129
	ds_load_2addr_b32 v[154:155], v139 offset1:17
	ds_load_2addr_b32 v[156:157], v139 offset0:34 offset1:51
	ds_load_2addr_b32 v[158:159], v139 offset0:68 offset1:85
	;; [unrolled: 1-line block ×4, first 2 shown]
	s_waitcnt lgkmcnt(4)
	v_max3_f32 v129, v154, 0xff7fffff, v155
	s_waitcnt lgkmcnt(3)
	s_delay_alu instid0(VALU_DEP_1) | instskip(SKIP_1) | instid1(VALU_DEP_1)
	v_max3_f32 v129, v129, v156, v157
	s_waitcnt lgkmcnt(2)
	v_max3_f32 v129, v129, v158, v159
	s_waitcnt lgkmcnt(1)
	s_delay_alu instid0(VALU_DEP_1) | instskip(NEXT) | instid1(VALU_DEP_1)
	v_max3_f32 v129, v129, v160, v161
	v_sub_f32_e32 v156, v156, v129
	v_sub_f32_e32 v130, v154, v129
	;; [unrolled: 1-line block ×3, first 2 shown]
	s_delay_alu instid0(VALU_DEP_3) | instskip(NEXT) | instid1(VALU_DEP_3)
	v_dual_sub_f32 v150, v155, v129 :: v_dual_mul_f32 v165, 0x3fb8aa3b, v156
	v_mul_f32_e32 v130, 0x3fb8aa3b, v130
	s_delay_alu instid0(VALU_DEP_3) | instskip(NEXT) | instid1(VALU_DEP_3)
	v_mul_f32_e32 v167, 0x3fb8aa3b, v158
	v_mul_f32_e32 v150, 0x3fb8aa3b, v150
	s_delay_alu instid0(VALU_DEP_4) | instskip(NEXT) | instid1(VALU_DEP_3)
	v_exp_f32_e32 v165, v165
	v_exp_f32_e32 v164, v130
	v_sub_f32_e32 v130, v157, v129
	s_delay_alu instid0(VALU_DEP_2) | instskip(NEXT) | instid1(VALU_DEP_1)
	v_exp_f32_e32 v150, v150
	v_mul_f32_e32 v166, 0x3fb8aa3b, v130
	s_waitcnt lgkmcnt(0)
	s_waitcnt_depctr 0xfff
	v_fma_f32 v130, v164, v162, 0
	v_sub_f32_e32 v162, v159, v129
	v_exp_f32_e32 v166, v166
	s_delay_alu instid0(VALU_DEP_2)
	v_fmac_f32_e32 v130, v150, v163
	ds_load_2addr_b32 v[154:155], v139 offset0:170 offset1:187
	ds_load_2addr_b32 v[156:157], v139 offset0:204 offset1:221
	;; [unrolled: 1-line block ×3, first 2 shown]
	v_dual_sub_f32 v139, v160, v129 :: v_dual_mul_f32 v160, 0x3fb8aa3b, v162
	v_exp_f32_e32 v162, v167
	v_cndmask_b32_e64 v150, v164, v150, s3
	v_cmp_eq_u32_e64 s3, 2, v148
	s_delay_alu instid0(VALU_DEP_3)
	v_mul_f32_e32 v139, 0x3fb8aa3b, v139
	v_exp_f32_e32 v160, v160
	s_waitcnt lgkmcnt(0)
	s_barrier
	v_cndmask_b32_e64 v150, v150, v165, s3
	v_exp_f32_e32 v139, v139
	v_cmp_eq_u32_e64 s3, 3, v148
	buffer_gl0_inv
	v_cndmask_b32_e64 v150, v150, v166, s3
	v_fmac_f32_e32 v130, v165, v154
	v_sub_f32_e32 v154, v161, v129
	v_cmp_eq_u32_e64 s3, 4, v148
	s_delay_alu instid0(VALU_DEP_2) | instskip(NEXT) | instid1(VALU_DEP_2)
	v_mul_f32_e32 v154, 0x3fb8aa3b, v154
	v_cndmask_b32_e64 v150, v150, v162, s3
	v_cmp_eq_u32_e64 s3, 5, v148
	s_delay_alu instid0(VALU_DEP_3) | instskip(SKIP_1) | instid1(VALU_DEP_2)
	v_exp_f32_e32 v154, v154
	v_fmac_f32_e32 v130, v166, v155
	v_cndmask_b32_e64 v150, v150, v160, s3
	s_mov_b32 s3, exec_lo
	s_delay_alu instid0(VALU_DEP_2) | instskip(NEXT) | instid1(VALU_DEP_1)
	v_fmac_f32_e32 v130, v162, v156
	v_fmac_f32_e32 v130, v160, v157
	s_delay_alu instid0(VALU_DEP_1) | instskip(SKIP_2) | instid1(VALU_DEP_1)
	v_fmac_f32_e32 v130, v139, v158
	s_waitcnt_depctr 0xfff
	v_fmac_f32_e32 v130, v154, v159
	v_add_f32_e32 v155, 0x358637bd, v130
	s_delay_alu instid0(VALU_DEP_1) | instskip(SKIP_1) | instid1(VALU_DEP_2)
	v_div_scale_f32 v156, null, v155, v155, 1.0
	v_div_scale_f32 v159, vcc_lo, 1.0, v155, 1.0
	v_rcp_f32_e32 v157, v156
	s_waitcnt_depctr 0xfff
	v_fma_f32 v158, -v156, v157, 1.0
	s_delay_alu instid0(VALU_DEP_1) | instskip(NEXT) | instid1(VALU_DEP_1)
	v_fmac_f32_e32 v157, v158, v157
	v_mul_f32_e32 v158, v159, v157
	s_delay_alu instid0(VALU_DEP_1) | instskip(NEXT) | instid1(VALU_DEP_1)
	v_fma_f32 v161, -v156, v158, v159
	v_fmac_f32_e32 v158, v161, v157
	s_delay_alu instid0(VALU_DEP_1) | instskip(NEXT) | instid1(VALU_DEP_1)
	v_fma_f32 v156, -v156, v158, v159
	v_div_fmas_f32 v156, v156, v157, v158
	v_cmp_eq_u32_e32 vcc_lo, 6, v148
	v_cndmask_b32_e32 v139, v150, v139, vcc_lo
	v_cmp_eq_u32_e32 vcc_lo, 7, v148
	s_delay_alu instid0(VALU_DEP_4) | instskip(NEXT) | instid1(VALU_DEP_3)
	v_div_fixup_f32 v150, v156, v155, 1.0
	v_cndmask_b32_e32 v139, v139, v154, vcc_lo
	s_delay_alu instid0(VALU_DEP_1) | instskip(NEXT) | instid1(VALU_DEP_1)
	v_mul_f32_e32 v139, v139, v150
	v_mul_f32_e32 v154, v139, v140
	v_mul_f32_e32 v140, v139, v153
	v_mul_f32_e32 v143, v139, v143
	v_mul_f32_e32 v150, v139, v152
	v_mul_f32_e32 v152, v139, v151
	v_mul_f32_e32 v151, v139, v142
	v_and_b32_e32 v155, 0x7f800000, v154
	v_mul_f32_e32 v153, v139, v144
	v_mul_f32_e32 v144, v139, v141
                                        ; implicit-def: $vgpr141
	s_delay_alu instid0(VALU_DEP_3)
	v_cmpx_ne_u32_e32 0x7f800000, v155
	s_xor_b32 s3, exec_lo, s3
; %bb.13:
	v_bfe_u32 v141, v154, 16, 1
	s_delay_alu instid0(VALU_DEP_1)
	v_add3_u32 v141, v154, v141, 0x7fff
                                        ; implicit-def: $vgpr154
; %bb.14:
	s_and_not1_saveexec_b32 s3, s3
; %bb.15:
	v_and_b32_e32 v141, 0xffff, v154
	v_or_b32_e32 v142, 0x10000, v154
	s_delay_alu instid0(VALU_DEP_2) | instskip(NEXT) | instid1(VALU_DEP_2)
	v_cmp_eq_u32_e32 vcc_lo, 0, v141
	v_cndmask_b32_e32 v141, v142, v154, vcc_lo
; %bb.16:
	s_or_b32 exec_lo, exec_lo, s3
	v_and_b32_e32 v142, 0x7f800000, v144
	s_delay_alu instid0(VALU_DEP_1) | instskip(SKIP_1) | instid1(SALU_CYCLE_1)
	v_cmp_ne_u32_e32 vcc_lo, 0x7f800000, v142
                                        ; implicit-def: $vgpr142
	s_and_saveexec_b32 s3, vcc_lo
	s_xor_b32 s3, exec_lo, s3
; %bb.17:
	v_bfe_u32 v142, v144, 16, 1
	s_delay_alu instid0(VALU_DEP_1)
	v_add3_u32 v142, v144, v142, 0x7fff
                                        ; implicit-def: $vgpr144
; %bb.18:
	s_and_not1_saveexec_b32 s3, s3
; %bb.19:
	v_and_b32_e32 v142, 0xffff, v144
	v_or_b32_e32 v154, 0x10000, v144
	s_delay_alu instid0(VALU_DEP_2) | instskip(NEXT) | instid1(VALU_DEP_2)
	v_cmp_eq_u32_e32 vcc_lo, 0, v142
	v_cndmask_b32_e32 v142, v154, v144, vcc_lo
; %bb.20:
	s_or_b32 exec_lo, exec_lo, s3
	v_and_b32_e32 v144, 0x7f800000, v151
	s_delay_alu instid0(VALU_DEP_1) | instskip(SKIP_1) | instid1(SALU_CYCLE_1)
	v_cmp_ne_u32_e32 vcc_lo, 0x7f800000, v144
                                        ; implicit-def: $vgpr144
	s_and_saveexec_b32 s3, vcc_lo
	s_xor_b32 s3, exec_lo, s3
; %bb.21:
	v_bfe_u32 v144, v151, 16, 1
	s_delay_alu instid0(VALU_DEP_1)
	v_add3_u32 v144, v151, v144, 0x7fff
                                        ; implicit-def: $vgpr151
; %bb.22:
	s_and_not1_saveexec_b32 s3, s3
; %bb.23:
	v_and_b32_e32 v144, 0xffff, v151
	v_or_b32_e32 v154, 0x10000, v151
	s_delay_alu instid0(VALU_DEP_2) | instskip(NEXT) | instid1(VALU_DEP_2)
	v_cmp_eq_u32_e32 vcc_lo, 0, v144
	v_cndmask_b32_e32 v144, v154, v151, vcc_lo
; %bb.24:
	s_or_b32 exec_lo, exec_lo, s3
	v_and_b32_e32 v151, 0x7f800000, v153
	s_delay_alu instid0(VALU_DEP_1) | instskip(SKIP_1) | instid1(SALU_CYCLE_1)
	v_cmp_ne_u32_e32 vcc_lo, 0x7f800000, v151
                                        ; implicit-def: $vgpr151
	s_and_saveexec_b32 s3, vcc_lo
	s_xor_b32 s3, exec_lo, s3
; %bb.25:
	v_bfe_u32 v151, v153, 16, 1
	s_delay_alu instid0(VALU_DEP_1)
	v_add3_u32 v151, v153, v151, 0x7fff
                                        ; implicit-def: $vgpr153
; %bb.26:
	s_and_not1_saveexec_b32 s3, s3
; %bb.27:
	v_and_b32_e32 v151, 0xffff, v153
	v_or_b32_e32 v154, 0x10000, v153
	s_delay_alu instid0(VALU_DEP_2) | instskip(NEXT) | instid1(VALU_DEP_2)
	v_cmp_eq_u32_e32 vcc_lo, 0, v151
	v_cndmask_b32_e32 v151, v154, v153, vcc_lo
; %bb.28:
	s_or_b32 exec_lo, exec_lo, s3
	v_and_b32_e32 v153, 0x7f800000, v152
	s_delay_alu instid0(VALU_DEP_1) | instskip(SKIP_1) | instid1(SALU_CYCLE_1)
	v_cmp_ne_u32_e32 vcc_lo, 0x7f800000, v153
                                        ; implicit-def: $vgpr153
	s_and_saveexec_b32 s3, vcc_lo
	s_xor_b32 s3, exec_lo, s3
; %bb.29:
	v_bfe_u32 v153, v152, 16, 1
	s_delay_alu instid0(VALU_DEP_1)
	v_add3_u32 v153, v152, v153, 0x7fff
                                        ; implicit-def: $vgpr152
; %bb.30:
	s_and_not1_saveexec_b32 s3, s3
; %bb.31:
	v_and_b32_e32 v153, 0xffff, v152
	v_or_b32_e32 v154, 0x10000, v152
	s_delay_alu instid0(VALU_DEP_2) | instskip(NEXT) | instid1(VALU_DEP_2)
	v_cmp_eq_u32_e32 vcc_lo, 0, v153
	v_cndmask_b32_e32 v153, v154, v152, vcc_lo
; %bb.32:
	s_or_b32 exec_lo, exec_lo, s3
	v_and_b32_e32 v152, 0x7f800000, v150
	s_delay_alu instid0(VALU_DEP_1) | instskip(SKIP_1) | instid1(SALU_CYCLE_1)
	v_cmp_ne_u32_e32 vcc_lo, 0x7f800000, v152
                                        ; implicit-def: $vgpr152
	s_and_saveexec_b32 s3, vcc_lo
	s_xor_b32 s3, exec_lo, s3
; %bb.33:
	v_bfe_u32 v152, v150, 16, 1
	s_delay_alu instid0(VALU_DEP_1)
	v_add3_u32 v152, v150, v152, 0x7fff
                                        ; implicit-def: $vgpr150
; %bb.34:
	s_and_not1_saveexec_b32 s3, s3
; %bb.35:
	v_and_b32_e32 v152, 0xffff, v150
	v_or_b32_e32 v154, 0x10000, v150
	s_delay_alu instid0(VALU_DEP_2) | instskip(NEXT) | instid1(VALU_DEP_2)
	v_cmp_eq_u32_e32 vcc_lo, 0, v152
	v_cndmask_b32_e32 v152, v154, v150, vcc_lo
; %bb.36:
	s_or_b32 exec_lo, exec_lo, s3
	v_and_b32_e32 v150, 0x7f800000, v143
	s_delay_alu instid0(VALU_DEP_1) | instskip(SKIP_1) | instid1(SALU_CYCLE_1)
	v_cmp_ne_u32_e32 vcc_lo, 0x7f800000, v150
                                        ; implicit-def: $vgpr150
	s_and_saveexec_b32 s3, vcc_lo
	s_xor_b32 s3, exec_lo, s3
; %bb.37:
	v_bfe_u32 v150, v143, 16, 1
	s_delay_alu instid0(VALU_DEP_1)
	v_add3_u32 v150, v143, v150, 0x7fff
                                        ; implicit-def: $vgpr143
; %bb.38:
	s_and_not1_saveexec_b32 s3, s3
; %bb.39:
	v_and_b32_e32 v150, 0xffff, v143
	v_or_b32_e32 v154, 0x10000, v143
	s_delay_alu instid0(VALU_DEP_2) | instskip(NEXT) | instid1(VALU_DEP_2)
	v_cmp_eq_u32_e32 vcc_lo, 0, v150
	v_cndmask_b32_e32 v150, v154, v143, vcc_lo
; %bb.40:
	s_or_b32 exec_lo, exec_lo, s3
	v_and_b32_e32 v143, 0x7f800000, v140
	s_delay_alu instid0(VALU_DEP_1) | instskip(SKIP_1) | instid1(SALU_CYCLE_1)
	v_cmp_ne_u32_e32 vcc_lo, 0x7f800000, v143
                                        ; implicit-def: $vgpr143
	s_and_saveexec_b32 s3, vcc_lo
	s_xor_b32 s3, exec_lo, s3
; %bb.41:
	v_bfe_u32 v143, v140, 16, 1
	s_delay_alu instid0(VALU_DEP_1)
	v_add3_u32 v143, v140, v143, 0x7fff
                                        ; implicit-def: $vgpr140
; %bb.42:
	s_and_not1_saveexec_b32 s3, s3
; %bb.43:
	v_and_b32_e32 v143, 0xffff, v140
	v_or_b32_e32 v154, 0x10000, v140
	s_delay_alu instid0(VALU_DEP_2) | instskip(NEXT) | instid1(VALU_DEP_2)
	v_cmp_eq_u32_e32 vcc_lo, 0, v143
	v_cndmask_b32_e32 v143, v154, v140, vcc_lo
; %bb.44:
	s_or_b32 exec_lo, exec_lo, s3
	s_load_b64 s[34:35], s[0:1], 0x94
	v_dual_mul_f32 v138, v139, v138 :: v_dual_lshlrev_b32 v155, 4, v147
	s_delay_alu instid0(VALU_DEP_2)
	v_perm_b32 v154, v143, v150, 0x7060302
	v_dual_mul_f32 v143, v139, v131 :: v_dual_lshlrev_b32 v140, 6, v149
	v_lshlrev_b32_e32 v149, 11, v148
	v_perm_b32 v153, v152, v153, 0x7060302
	v_perm_b32 v152, v151, v144, 0x7060302
	;; [unrolled: 1-line block ×3, first 2 shown]
	v_mul_f32_e32 v142, v139, v133
	v_or3_b32 v131, v155, v149, v140
	v_dual_mul_f32 v137, v139, v137 :: v_dual_and_b32 v144, 0x7f800000, v143
	v_mul_f32_e32 v136, v139, v136
	v_mul_f32_e32 v135, v139, v135
	;; [unrolled: 1-line block ×4, first 2 shown]
	s_mov_b32 s3, exec_lo
	ds_store_b128 v131, v[151:154]
                                        ; implicit-def: $vgpr132
	v_cmpx_ne_u32_e32 0x7f800000, v144
	s_xor_b32 s3, exec_lo, s3
; %bb.45:
	v_bfe_u32 v132, v143, 16, 1
	s_delay_alu instid0(VALU_DEP_1)
	v_add3_u32 v132, v143, v132, 0x7fff
                                        ; implicit-def: $vgpr143
; %bb.46:
	s_and_not1_saveexec_b32 s3, s3
; %bb.47:
	v_and_b32_e32 v132, 0xffff, v143
	v_or_b32_e32 v133, 0x10000, v143
	s_delay_alu instid0(VALU_DEP_2) | instskip(NEXT) | instid1(VALU_DEP_2)
	v_cmp_eq_u32_e32 vcc_lo, 0, v132
	v_cndmask_b32_e32 v132, v133, v143, vcc_lo
; %bb.48:
	s_or_b32 exec_lo, exec_lo, s3
	v_and_b32_e32 v133, 0x7f800000, v134
	s_delay_alu instid0(VALU_DEP_1) | instskip(SKIP_1) | instid1(SALU_CYCLE_1)
	v_cmp_ne_u32_e32 vcc_lo, 0x7f800000, v133
                                        ; implicit-def: $vgpr133
	s_and_saveexec_b32 s3, vcc_lo
	s_xor_b32 s3, exec_lo, s3
; %bb.49:
	v_bfe_u32 v133, v134, 16, 1
	s_delay_alu instid0(VALU_DEP_1)
	v_add3_u32 v133, v134, v133, 0x7fff
                                        ; implicit-def: $vgpr134
; %bb.50:
	s_and_not1_saveexec_b32 s3, s3
; %bb.51:
	v_and_b32_e32 v133, 0xffff, v134
	v_or_b32_e32 v139, 0x10000, v134
	s_delay_alu instid0(VALU_DEP_2) | instskip(NEXT) | instid1(VALU_DEP_2)
	v_cmp_eq_u32_e32 vcc_lo, 0, v133
	v_cndmask_b32_e32 v133, v139, v134, vcc_lo
; %bb.52:
	s_or_b32 exec_lo, exec_lo, s3
	v_and_b32_e32 v134, 0x7f800000, v142
	s_delay_alu instid0(VALU_DEP_1) | instskip(SKIP_1) | instid1(SALU_CYCLE_1)
	v_cmp_ne_u32_e32 vcc_lo, 0x7f800000, v134
                                        ; implicit-def: $vgpr134
	s_and_saveexec_b32 s3, vcc_lo
	s_xor_b32 s3, exec_lo, s3
; %bb.53:
	v_bfe_u32 v134, v142, 16, 1
	s_delay_alu instid0(VALU_DEP_1)
	v_add3_u32 v134, v142, v134, 0x7fff
                                        ; implicit-def: $vgpr142
; %bb.54:
	s_and_not1_saveexec_b32 s3, s3
; %bb.55:
	v_and_b32_e32 v134, 0xffff, v142
	v_or_b32_e32 v139, 0x10000, v142
	s_delay_alu instid0(VALU_DEP_2) | instskip(NEXT) | instid1(VALU_DEP_2)
	v_cmp_eq_u32_e32 vcc_lo, 0, v134
	v_cndmask_b32_e32 v134, v139, v142, vcc_lo
; %bb.56:
	s_or_b32 exec_lo, exec_lo, s3
	v_and_b32_e32 v139, 0x7f800000, v141
	s_delay_alu instid0(VALU_DEP_1) | instskip(SKIP_1) | instid1(SALU_CYCLE_1)
	v_cmp_ne_u32_e32 vcc_lo, 0x7f800000, v139
                                        ; implicit-def: $vgpr139
	s_and_saveexec_b32 s3, vcc_lo
	s_xor_b32 s3, exec_lo, s3
; %bb.57:
	v_bfe_u32 v139, v141, 16, 1
	s_delay_alu instid0(VALU_DEP_1)
	v_add3_u32 v139, v141, v139, 0x7fff
                                        ; implicit-def: $vgpr141
; %bb.58:
	s_and_not1_saveexec_b32 s3, s3
; %bb.59:
	v_and_b32_e32 v139, 0xffff, v141
	v_or_b32_e32 v142, 0x10000, v141
	s_delay_alu instid0(VALU_DEP_2) | instskip(NEXT) | instid1(VALU_DEP_2)
	v_cmp_eq_u32_e32 vcc_lo, 0, v139
	v_cndmask_b32_e32 v139, v142, v141, vcc_lo
; %bb.60:
	s_or_b32 exec_lo, exec_lo, s3
	v_and_b32_e32 v141, 0x7f800000, v135
	s_delay_alu instid0(VALU_DEP_1) | instskip(SKIP_1) | instid1(SALU_CYCLE_1)
	v_cmp_ne_u32_e32 vcc_lo, 0x7f800000, v141
                                        ; implicit-def: $vgpr141
	s_and_saveexec_b32 s3, vcc_lo
	s_xor_b32 s3, exec_lo, s3
; %bb.61:
	v_bfe_u32 v141, v135, 16, 1
	s_delay_alu instid0(VALU_DEP_1)
	v_add3_u32 v141, v135, v141, 0x7fff
                                        ; implicit-def: $vgpr135
; %bb.62:
	s_and_not1_saveexec_b32 s3, s3
; %bb.63:
	v_and_b32_e32 v141, 0xffff, v135
	v_or_b32_e32 v142, 0x10000, v135
	s_delay_alu instid0(VALU_DEP_2) | instskip(NEXT) | instid1(VALU_DEP_2)
	v_cmp_eq_u32_e32 vcc_lo, 0, v141
	v_cndmask_b32_e32 v141, v142, v135, vcc_lo
; %bb.64:
	s_or_b32 exec_lo, exec_lo, s3
	v_and_b32_e32 v135, 0x7f800000, v136
	s_delay_alu instid0(VALU_DEP_1) | instskip(SKIP_1) | instid1(SALU_CYCLE_1)
	v_cmp_ne_u32_e32 vcc_lo, 0x7f800000, v135
                                        ; implicit-def: $vgpr135
	s_and_saveexec_b32 s3, vcc_lo
	s_xor_b32 s3, exec_lo, s3
; %bb.65:
	v_bfe_u32 v135, v136, 16, 1
	s_delay_alu instid0(VALU_DEP_1)
	v_add3_u32 v135, v136, v135, 0x7fff
                                        ; implicit-def: $vgpr136
; %bb.66:
	s_and_not1_saveexec_b32 s3, s3
; %bb.67:
	v_and_b32_e32 v135, 0xffff, v136
	v_or_b32_e32 v142, 0x10000, v136
	s_delay_alu instid0(VALU_DEP_2) | instskip(NEXT) | instid1(VALU_DEP_2)
	v_cmp_eq_u32_e32 vcc_lo, 0, v135
	v_cndmask_b32_e32 v135, v142, v136, vcc_lo
; %bb.68:
	s_or_b32 exec_lo, exec_lo, s3
	v_and_b32_e32 v136, 0x7f800000, v137
	s_delay_alu instid0(VALU_DEP_1) | instskip(SKIP_1) | instid1(SALU_CYCLE_1)
	v_cmp_ne_u32_e32 vcc_lo, 0x7f800000, v136
                                        ; implicit-def: $vgpr136
	s_and_saveexec_b32 s3, vcc_lo
	s_xor_b32 s3, exec_lo, s3
; %bb.69:
	v_bfe_u32 v136, v137, 16, 1
	s_delay_alu instid0(VALU_DEP_1)
	v_add3_u32 v136, v137, v136, 0x7fff
                                        ; implicit-def: $vgpr137
; %bb.70:
	s_and_not1_saveexec_b32 s3, s3
; %bb.71:
	v_and_b32_e32 v136, 0xffff, v137
	v_or_b32_e32 v142, 0x10000, v137
	s_delay_alu instid0(VALU_DEP_2) | instskip(NEXT) | instid1(VALU_DEP_2)
	v_cmp_eq_u32_e32 vcc_lo, 0, v136
	v_cndmask_b32_e32 v136, v142, v137, vcc_lo
; %bb.72:
	s_or_b32 exec_lo, exec_lo, s3
	v_and_b32_e32 v137, 0x7f800000, v138
	s_delay_alu instid0(VALU_DEP_1) | instskip(SKIP_1) | instid1(SALU_CYCLE_1)
	v_cmp_ne_u32_e32 vcc_lo, 0x7f800000, v137
                                        ; implicit-def: $vgpr137
	s_and_saveexec_b32 s3, vcc_lo
	s_xor_b32 s3, exec_lo, s3
; %bb.73:
	v_bfe_u32 v137, v138, 16, 1
	s_delay_alu instid0(VALU_DEP_1)
	v_add3_u32 v137, v138, v137, 0x7fff
                                        ; implicit-def: $vgpr138
; %bb.74:
	s_and_not1_saveexec_b32 s3, s3
; %bb.75:
	v_and_b32_e32 v137, 0xffff, v138
	v_or_b32_e32 v142, 0x10000, v138
	s_delay_alu instid0(VALU_DEP_2) | instskip(NEXT) | instid1(VALU_DEP_2)
	v_cmp_eq_u32_e32 vcc_lo, 0, v137
	v_cndmask_b32_e32 v137, v142, v138, vcc_lo
; %bb.76:
	s_or_b32 exec_lo, exec_lo, s3
	s_delay_alu instid0(VALU_DEP_1)
	v_perm_b32 v136, v137, v136, 0x7060302
	v_perm_b32 v135, v135, v141, 0x7060302
	v_perm_b32 v134, v139, v134, 0x7060302
	v_perm_b32 v133, v133, v132, 0x7060302
	v_lshl_or_b32 v141, v148, 11, v140
	ds_store_b128 v131, v[133:136] offset:1024
	s_waitcnt lgkmcnt(0)
	s_barrier
	buffer_gl0_inv
	ds_load_b128 v[132:135], v141
	ds_load_b128 v[148:151], v141 offset:16
	s_waitcnt lgkmcnt(1)
	v_lshrrev_b32_e32 v160, 16, v134
	v_lshlrev_b32_e32 v138, 2, v147
	v_lshrrev_b32_e32 v136, 16, v132
	v_lshrrev_b32_e32 v144, 16, v133
	s_waitcnt lgkmcnt(0)
	v_lshrrev_b32_e32 v143, 16, v148
	v_lshrrev_b32_e32 v161, 16, v149
	v_or_b32_e32 v139, 1, v138
	v_lshrrev_b32_e32 v163, 16, v150
	v_lshrrev_b32_e32 v164, 16, v151
	;; [unrolled: 1-line block ×3, first 2 shown]
	s_delay_alu instid0(VALU_DEP_4)
	v_cmp_eq_u32_e64 s7, 1, v139
	v_cmp_eq_u32_e64 s6, 2, v139
	;; [unrolled: 1-line block ×4, first 2 shown]
	v_cmp_eq_u32_e32 vcc_lo, 5, v139
	v_cndmask_b32_e64 v153, v132, v136, s7
	v_cndmask_b32_e64 v154, v148, v143, s7
	v_cmp_eq_u32_e64 s4, 6, v139
	v_cmp_eq_u32_e64 s19, 7, v139
	s_delay_alu instid0(VALU_DEP_4) | instskip(NEXT) | instid1(VALU_DEP_4)
	v_cndmask_b32_e64 v153, v153, v133, s6
	v_cndmask_b32_e64 v154, v154, v149, s6
	s_delay_alu instid0(VALU_DEP_2) | instskip(NEXT) | instid1(VALU_DEP_2)
	v_cndmask_b32_e64 v153, v153, v144, s5
	v_cndmask_b32_e64 v154, v154, v161, s5
	s_delay_alu instid0(VALU_DEP_2) | instskip(NEXT) | instid1(VALU_DEP_2)
	v_cndmask_b32_e64 v153, v153, v134, s3
	v_cndmask_b32_e64 v154, v154, v150, s3
	s_delay_alu instid0(VALU_DEP_2)
	v_cndmask_b32_e32 v153, v153, v160, vcc_lo
	v_cmp_eq_u32_e64 s12, 1, v138
	v_cmp_eq_u32_e64 s11, 2, v138
	;; [unrolled: 1-line block ×3, first 2 shown]
	v_or_b32_e32 v137, 2, v138
	v_cmp_eq_u32_e64 s17, 4, v138
	v_cndmask_b32_e64 v152, v148, v143, s12
	v_cndmask_b32_e64 v142, v132, v136, s12
	v_cmp_eq_u32_e64 s13, 5, v138
	v_cmp_eq_u32_e64 s8, 1, v137
	;; [unrolled: 1-line block ×3, first 2 shown]
	v_cndmask_b32_e64 v152, v152, v149, s11
	v_cndmask_b32_e64 v142, v142, v133, s11
	v_cmp_eq_u32_e64 s10, 2, v137
	v_cndmask_b32_e64 v155, v132, v136, s8
	v_cmp_eq_u32_e64 s9, 7, v138
	v_cndmask_b32_e64 v152, v152, v161, s16
	v_cndmask_b32_e64 v142, v142, v144, s16
	v_cmp_eq_u32_e64 s18, 3, v137
	v_cndmask_b32_e64 v155, v155, v133, s10
	v_cndmask_b32_e64 v153, v153, v135, s4
	;; [unrolled: 1-line block ×4, first 2 shown]
	v_cmp_eq_u32_e64 s20, 4, v137
	v_cndmask_b32_e64 v155, v155, v144, s18
	v_cndmask_b32_e64 v167, v153, v162, s19
	;; [unrolled: 1-line block ×4, first 2 shown]
	v_cndmask_b32_e32 v156, v154, v163, vcc_lo
	v_cndmask_b32_e64 v158, v155, v134, s20
	v_cmp_eq_u32_e64 s22, 5, v137
	v_cndmask_b32_e64 v152, v152, v151, s15
	v_cndmask_b32_e64 v142, v142, v135, s15
	v_cmp_eq_u32_e64 s25, 6, v137
	v_cmp_eq_u32_e64 s27, 7, v137
	v_cndmask_b32_e64 v168, v158, v160, s22
	v_cndmask_b32_e64 v166, v152, v164, s9
	;; [unrolled: 1-line block ×4, first 2 shown]
	v_or_b32_e32 v142, 3, v138
	s_delay_alu instid0(VALU_DEP_3)
	v_cndmask_b32_e64 v157, v152, v149, s10
	ds_load_b128 v[152:155], v141 offset:1024
	v_cmp_eq_u32_e64 s21, 1, v142
	v_cmp_eq_u32_e64 s23, 2, v142
	;; [unrolled: 1-line block ×3, first 2 shown]
	v_cndmask_b32_e64 v157, v157, v161, s18
	v_cmp_eq_u32_e64 s26, 4, v142
	v_cndmask_b32_e64 v132, v132, v136, s21
	v_cndmask_b32_e64 v136, v156, v151, s4
	;; [unrolled: 1-line block ×4, first 2 shown]
	ds_load_b128 v[156:159], v141 offset:1040
	v_cndmask_b32_e64 v132, v132, v133, s23
	v_cmp_eq_u32_e64 s28, 5, v142
	v_cndmask_b32_e64 v143, v143, v149, s23
	v_cmp_eq_u32_e64 s29, 6, v142
	v_cndmask_b32_e64 v133, v169, v163, s22
	v_cndmask_b32_e64 v132, v132, v144, s24
	;; [unrolled: 1-line block ×5, first 2 shown]
	s_waitcnt lgkmcnt(1)
	v_lshrrev_b32_e32 v148, 16, v152
	v_cndmask_b32_e64 v132, v132, v134, s26
	v_cndmask_b32_e64 v133, v133, v151, s25
	v_cndmask_b32_e64 v134, v143, v150, s26
	v_lshrrev_b32_e32 v150, 16, v153
	v_cndmask_b32_e64 v143, v152, v148, s12
	v_cndmask_b32_e64 v132, v132, v160, s28
	;; [unrolled: 1-line block ×5, first 2 shown]
	s_waitcnt lgkmcnt(0)
	v_lshrrev_b32_e32 v149, 16, v156
	v_cndmask_b32_e64 v143, v143, v153, s11
	v_cndmask_b32_e64 v132, v132, v135, s29
	;; [unrolled: 1-line block ×3, first 2 shown]
	v_lshrrev_b32_e32 v163, 16, v158
	v_cndmask_b32_e64 v161, v156, v149, s12
	v_cndmask_b32_e64 v135, v143, v150, s16
	;; [unrolled: 1-line block ×3, first 2 shown]
	v_lshrrev_b32_e32 v160, 16, v157
	v_cndmask_b32_e64 v133, v133, v164, s27
	v_cndmask_b32_e64 v151, v161, v157, s11
	v_cmp_eq_u32_e64 s11, 7, v142
	v_cndmask_b32_e64 v143, v143, v150, s5
	v_cndmask_b32_e64 v135, v135, v154, s17
	v_lshrrev_b32_e32 v161, 16, v154
	v_cndmask_b32_e64 v151, v151, v160, s16
	v_cndmask_b32_e64 v132, v132, v162, s11
	;; [unrolled: 1-line block ×6, first 2 shown]
	s_delay_alu instid0(VALU_DEP_4) | instskip(NEXT) | instid1(VALU_DEP_4)
	v_perm_b32 v135, v134, v132, 0x5040100
	v_cndmask_b32_e32 v132, v143, v161, vcc_lo
	s_delay_alu instid0(VALU_DEP_4)
	v_cndmask_b32_e64 v143, v162, v155, s15
	v_lshrrev_b32_e32 v162, 16, v155
	v_cndmask_b32_e64 v151, v151, v163, s13
	v_perm_b32 v134, v133, v144, 0x5040100
	v_cndmask_b32_e64 v132, v132, v155, s4
	v_perm_b32 v133, v136, v167, 0x5040100
	v_cndmask_b32_e64 v136, v143, v162, s9
	v_cndmask_b32_e64 v143, v151, v159, s15
	;; [unrolled: 1-line block ×13, first 2 shown]
	v_lshrrev_b32_e32 v144, 16, v159
	v_cndmask_b32_e64 v132, v132, v150, s18
	v_cndmask_b32_e64 v148, v148, v150, s24
	;; [unrolled: 1-line block ×14, first 2 shown]
	v_cndmask_b32_e32 v149, v149, v163, vcc_lo
	v_cndmask_b32_e64 v132, v132, v155, s25
	v_cndmask_b32_e64 v148, v148, v155, s29
	;; [unrolled: 1-line block ×11, first 2 shown]
	v_perm_b32 v132, v166, v165, 0x5040100
	v_perm_b32 v151, v150, v148, 0x5040100
	v_perm_b32 v150, v153, v152, 0x5040100
	v_perm_b32 v149, v149, v164, 0x5040100
	v_perm_b32 v148, v143, v136, 0x5040100
	s_lshl_b32 s8, s35, 2
	s_mov_b32 s3, exec_lo
	ds_store_b128 v131, v[132:135]
	ds_store_b128 v131, v[148:151] offset:1024
	v_cmpx_gt_u32_e32 4, v0
	s_cbranch_execz .LBB497_78
; %bb.77:
	v_or_b32_e32 v131, s31, v0
	s_load_b128 s[4:7], s[0:1], 0x58
	s_delay_alu instid0(VALU_DEP_1) | instskip(NEXT) | instid1(VALU_DEP_1)
	v_mad_u64_u32 v[132:133], null, s8, s30, v[131:132]
	v_mad_u64_u32 v[133:134], null, v132, s34, s[14:15]
	s_delay_alu instid0(VALU_DEP_1) | instskip(NEXT) | instid1(VALU_DEP_1)
	v_ashrrev_i32_e32 v134, 31, v133
	v_lshlrev_b64 v[131:132], 2, v[133:134]
	s_waitcnt lgkmcnt(0)
	s_delay_alu instid0(VALU_DEP_1) | instskip(NEXT) | instid1(VALU_DEP_2)
	v_add_co_u32 v133, vcc_lo, s6, v131
	v_add_co_ci_u32_e32 v134, vcc_lo, s7, v132, vcc_lo
	v_add_co_u32 v131, vcc_lo, s4, v131
	v_add_co_ci_u32_e32 v132, vcc_lo, s5, v132, vcc_lo
	global_store_b32 v[133:134], v129, off
	global_store_b32 v[131:132], v130, off
.LBB497_78:
	s_or_b32 exec_lo, exec_lo, s3
	s_waitcnt lgkmcnt(0)
	s_waitcnt_vscnt null, 0x0
	s_barrier
	buffer_gl0_inv
	ds_load_b128 v[148:151], v140
	ds_load_b128 v[152:155], v140 offset:16
	ds_load_b128 v[160:163], v140 offset:1040
	ds_load_b128 v[156:159], v140 offset:1024
	v_mov_b32_e32 v129, 0
	ds_load_b128 v[168:171], v140 offset:2064
	ds_load_b128 v[164:167], v140 offset:2048
	;; [unrolled: 1-line block ×6, first 2 shown]
	v_mov_b32_e32 v130, v129
	v_mov_b32_e32 v131, v129
	;; [unrolled: 1-line block ×7, first 2 shown]
	s_waitcnt lgkmcnt(8)
	s_delay_alu instid0(VALU_DEP_1)
	v_wmma_f32_16x16x16_bf16 v[129:136], v[121:128], v[148:155], v[129:136]
	ds_load_b128 v[125:128], v140 offset:5136
	ds_load_b128 v[121:124], v140 offset:5120
	s_waitcnt lgkmcnt(8)
	v_wmma_f32_16x16x16_bf16 v[129:136], v[113:120], v[156:163], v[129:136]
	ds_load_b128 v[117:120], v140 offset:6160
	ds_load_b128 v[113:116], v140 offset:6144
	s_waitcnt lgkmcnt(8)
	v_wmma_f32_16x16x16_bf16 v[129:136], v[105:112], v[164:171], v[129:136]
	ds_load_b128 v[109:112], v140 offset:7184
	ds_load_b128 v[105:108], v140 offset:7168
	s_waitcnt lgkmcnt(8)
	v_wmma_f32_16x16x16_bf16 v[129:136], v[97:104], v[172:179], v[129:136]
	ds_load_b128 v[101:104], v140 offset:8208
	ds_load_b128 v[97:100], v140 offset:8192
	s_waitcnt lgkmcnt(8)
	v_wmma_f32_16x16x16_bf16 v[129:136], v[89:96], v[180:187], v[129:136]
	ds_load_b128 v[93:96], v140 offset:9232
	ds_load_b128 v[89:92], v140 offset:9216
	s_waitcnt lgkmcnt(8)
	v_wmma_f32_16x16x16_bf16 v[129:136], v[81:88], v[121:128], v[129:136]
	ds_load_b128 v[85:88], v140 offset:10256
	ds_load_b128 v[81:84], v140 offset:10240
	s_waitcnt lgkmcnt(8)
	v_wmma_f32_16x16x16_bf16 v[129:136], v[73:80], v[113:120], v[129:136]
	ds_load_b128 v[77:80], v140 offset:11280
	ds_load_b128 v[73:76], v140 offset:11264
	s_waitcnt lgkmcnt(8)
	v_wmma_f32_16x16x16_bf16 v[129:136], v[57:64], v[105:112], v[129:136]
	ds_load_b128 v[61:64], v140 offset:12304
	ds_load_b128 v[57:60], v140 offset:12288
	s_waitcnt lgkmcnt(8)
	v_wmma_f32_16x16x16_bf16 v[129:136], v[65:72], v[97:104], v[129:136]
	s_waitcnt lgkmcnt(6)
	s_delay_alu instid0(VALU_DEP_1)
	v_wmma_f32_16x16x16_bf16 v[129:136], v[49:56], v[89:96], v[129:136]
	ds_load_b128 v[53:56], v140 offset:13328
	ds_load_b128 v[49:52], v140 offset:13312
	s_waitcnt lgkmcnt(6)
	v_wmma_f32_16x16x16_bf16 v[129:136], v[41:48], v[81:88], v[129:136]
	ds_load_b128 v[45:48], v140 offset:14352
	ds_load_b128 v[41:44], v140 offset:14336
	s_waitcnt lgkmcnt(6)
	v_wmma_f32_16x16x16_bf16 v[129:136], v[17:24], v[73:80], v[129:136]
	ds_load_b128 v[21:24], v140 offset:15376
	ds_load_b128 v[17:20], v140 offset:15360
	s_waitcnt lgkmcnt(6)
	v_wmma_f32_16x16x16_bf16 v[129:136], v[1:8], v[57:64], v[129:136]
	s_waitcnt lgkmcnt(4)
	s_delay_alu instid0(VALU_DEP_1) | instskip(SKIP_1) | instid1(VALU_DEP_1)
	v_wmma_f32_16x16x16_bf16 v[129:136], v[25:32], v[49:56], v[129:136]
	s_waitcnt lgkmcnt(2)
	v_wmma_f32_16x16x16_bf16 v[129:136], v[33:40], v[41:48], v[129:136]
	s_waitcnt lgkmcnt(0)
	s_delay_alu instid0(VALU_DEP_1) | instskip(NEXT) | instid1(VALU_DEP_1)
	v_wmma_f32_16x16x16_bf16 v[129:136], v[9:16], v[17:24], v[129:136]
	v_and_b32_e32 v1, 0x7f800000, v129
	s_delay_alu instid0(VALU_DEP_1) | instskip(SKIP_1) | instid1(SALU_CYCLE_1)
	v_cmp_ne_u32_e32 vcc_lo, 0x7f800000, v1
                                        ; implicit-def: $vgpr1
	s_and_saveexec_b32 s3, vcc_lo
	s_xor_b32 s3, exec_lo, s3
; %bb.79:
	v_bfe_u32 v1, v129, 16, 1
	s_delay_alu instid0(VALU_DEP_1)
	v_add3_u32 v1, v129, v1, 0x7fff
; %bb.80:
	s_and_not1_saveexec_b32 s3, s3
; %bb.81:
	v_and_b32_e32 v1, 0xffff, v129
	v_or_b32_e32 v2, 0x10000, v129
	s_delay_alu instid0(VALU_DEP_2) | instskip(NEXT) | instid1(VALU_DEP_2)
	v_cmp_eq_u32_e32 vcc_lo, 0, v1
	v_cndmask_b32_e32 v1, v2, v129, vcc_lo
; %bb.82:
	s_or_b32 exec_lo, exec_lo, s3
	v_and_b32_e32 v2, 0x7f800000, v130
	s_delay_alu instid0(VALU_DEP_1) | instskip(SKIP_1) | instid1(SALU_CYCLE_1)
	v_cmp_ne_u32_e32 vcc_lo, 0x7f800000, v2
                                        ; implicit-def: $vgpr2
	s_and_saveexec_b32 s3, vcc_lo
	s_xor_b32 s3, exec_lo, s3
; %bb.83:
	v_bfe_u32 v2, v130, 16, 1
	s_delay_alu instid0(VALU_DEP_1)
	v_add3_u32 v2, v130, v2, 0x7fff
; %bb.84:
	s_and_not1_saveexec_b32 s3, s3
; %bb.85:
	v_and_b32_e32 v2, 0xffff, v130
	v_or_b32_e32 v3, 0x10000, v130
	s_delay_alu instid0(VALU_DEP_2) | instskip(NEXT) | instid1(VALU_DEP_2)
	v_cmp_eq_u32_e32 vcc_lo, 0, v2
	v_cndmask_b32_e32 v2, v3, v130, vcc_lo
; %bb.86:
	s_or_b32 exec_lo, exec_lo, s3
	v_and_b32_e32 v3, 0x7f800000, v131
	s_delay_alu instid0(VALU_DEP_1) | instskip(SKIP_1) | instid1(SALU_CYCLE_1)
	v_cmp_ne_u32_e32 vcc_lo, 0x7f800000, v3
                                        ; implicit-def: $vgpr3
	s_and_saveexec_b32 s3, vcc_lo
	s_xor_b32 s3, exec_lo, s3
; %bb.87:
	v_bfe_u32 v3, v131, 16, 1
	s_delay_alu instid0(VALU_DEP_1)
	v_add3_u32 v3, v131, v3, 0x7fff
; %bb.88:
	s_and_not1_saveexec_b32 s3, s3
; %bb.89:
	v_and_b32_e32 v3, 0xffff, v131
	v_or_b32_e32 v4, 0x10000, v131
	s_delay_alu instid0(VALU_DEP_2) | instskip(NEXT) | instid1(VALU_DEP_2)
	v_cmp_eq_u32_e32 vcc_lo, 0, v3
	v_cndmask_b32_e32 v3, v4, v131, vcc_lo
; %bb.90:
	s_or_b32 exec_lo, exec_lo, s3
	v_and_b32_e32 v4, 0x7f800000, v132
	s_delay_alu instid0(VALU_DEP_1) | instskip(SKIP_1) | instid1(SALU_CYCLE_1)
	v_cmp_ne_u32_e32 vcc_lo, 0x7f800000, v4
                                        ; implicit-def: $vgpr4
	s_and_saveexec_b32 s3, vcc_lo
	s_xor_b32 s3, exec_lo, s3
; %bb.91:
	v_bfe_u32 v4, v132, 16, 1
	s_delay_alu instid0(VALU_DEP_1)
	v_add3_u32 v4, v132, v4, 0x7fff
; %bb.92:
	s_and_not1_saveexec_b32 s3, s3
; %bb.93:
	v_and_b32_e32 v4, 0xffff, v132
	v_or_b32_e32 v5, 0x10000, v132
	s_delay_alu instid0(VALU_DEP_2) | instskip(NEXT) | instid1(VALU_DEP_2)
	v_cmp_eq_u32_e32 vcc_lo, 0, v4
	v_cndmask_b32_e32 v4, v5, v132, vcc_lo
; %bb.94:
	s_or_b32 exec_lo, exec_lo, s3
	v_and_b32_e32 v5, 0x7f800000, v133
	s_delay_alu instid0(VALU_DEP_1) | instskip(SKIP_1) | instid1(SALU_CYCLE_1)
	v_cmp_ne_u32_e32 vcc_lo, 0x7f800000, v5
                                        ; implicit-def: $vgpr5
	s_and_saveexec_b32 s3, vcc_lo
	s_xor_b32 s3, exec_lo, s3
; %bb.95:
	v_bfe_u32 v5, v133, 16, 1
	s_delay_alu instid0(VALU_DEP_1)
	v_add3_u32 v5, v133, v5, 0x7fff
; %bb.96:
	s_and_not1_saveexec_b32 s3, s3
; %bb.97:
	v_and_b32_e32 v5, 0xffff, v133
	v_or_b32_e32 v6, 0x10000, v133
	s_delay_alu instid0(VALU_DEP_2) | instskip(NEXT) | instid1(VALU_DEP_2)
	v_cmp_eq_u32_e32 vcc_lo, 0, v5
	v_cndmask_b32_e32 v5, v6, v133, vcc_lo
; %bb.98:
	s_or_b32 exec_lo, exec_lo, s3
	v_and_b32_e32 v6, 0x7f800000, v134
	s_delay_alu instid0(VALU_DEP_1) | instskip(SKIP_1) | instid1(SALU_CYCLE_1)
	v_cmp_ne_u32_e32 vcc_lo, 0x7f800000, v6
                                        ; implicit-def: $vgpr6
	s_and_saveexec_b32 s3, vcc_lo
	s_xor_b32 s3, exec_lo, s3
; %bb.99:
	v_bfe_u32 v6, v134, 16, 1
	s_delay_alu instid0(VALU_DEP_1)
	v_add3_u32 v6, v134, v6, 0x7fff
; %bb.100:
	s_and_not1_saveexec_b32 s3, s3
; %bb.101:
	v_and_b32_e32 v6, 0xffff, v134
	v_or_b32_e32 v7, 0x10000, v134
	s_delay_alu instid0(VALU_DEP_2) | instskip(NEXT) | instid1(VALU_DEP_2)
	v_cmp_eq_u32_e32 vcc_lo, 0, v6
	v_cndmask_b32_e32 v6, v7, v134, vcc_lo
; %bb.102:
	s_or_b32 exec_lo, exec_lo, s3
	v_and_b32_e32 v7, 0x7f800000, v135
	s_delay_alu instid0(VALU_DEP_1) | instskip(SKIP_1) | instid1(SALU_CYCLE_1)
	v_cmp_ne_u32_e32 vcc_lo, 0x7f800000, v7
                                        ; implicit-def: $vgpr7
	s_and_saveexec_b32 s3, vcc_lo
	s_xor_b32 s3, exec_lo, s3
; %bb.103:
	v_bfe_u32 v7, v135, 16, 1
	s_delay_alu instid0(VALU_DEP_1)
	v_add3_u32 v7, v135, v7, 0x7fff
; %bb.104:
	s_and_not1_saveexec_b32 s3, s3
; %bb.105:
	v_and_b32_e32 v7, 0xffff, v135
	v_or_b32_e32 v8, 0x10000, v135
	s_delay_alu instid0(VALU_DEP_2) | instskip(NEXT) | instid1(VALU_DEP_2)
	v_cmp_eq_u32_e32 vcc_lo, 0, v7
	v_cndmask_b32_e32 v7, v8, v135, vcc_lo
; %bb.106:
	s_or_b32 exec_lo, exec_lo, s3
	v_and_b32_e32 v8, 0x7f800000, v136
	s_delay_alu instid0(VALU_DEP_1) | instskip(SKIP_1) | instid1(SALU_CYCLE_1)
	v_cmp_ne_u32_e32 vcc_lo, 0x7f800000, v8
                                        ; implicit-def: $vgpr8
	s_and_saveexec_b32 s3, vcc_lo
	s_xor_b32 s3, exec_lo, s3
; %bb.107:
	v_bfe_u32 v8, v136, 16, 1
	s_delay_alu instid0(VALU_DEP_1)
	v_add3_u32 v8, v136, v8, 0x7fff
                                        ; implicit-def: $vgpr129_vgpr130_vgpr131_vgpr132_vgpr133_vgpr134_vgpr135_vgpr136
; %bb.108:
	s_and_not1_saveexec_b32 s3, s3
; %bb.109:
	v_and_b32_e32 v8, 0xffff, v136
	v_or_b32_e32 v9, 0x10000, v136
	s_delay_alu instid0(VALU_DEP_2) | instskip(NEXT) | instid1(VALU_DEP_2)
	v_cmp_eq_u32_e32 vcc_lo, 0, v8
	v_cndmask_b32_e32 v8, v9, v136, vcc_lo
; %bb.110:
	s_or_b32 exec_lo, exec_lo, s3
	s_delay_alu instid0(VALU_DEP_1)
	v_perm_b32 v7, v8, v7, 0x7060302
	v_perm_b32 v6, v6, v5, 0x7060302
	;; [unrolled: 1-line block ×4, first 2 shown]
	v_lshl_or_b32 v9, v147, 4, v141
	s_barrier
	buffer_gl0_inv
	v_cmp_eq_u32_e32 vcc_lo, 1, v138
	ds_store_b128 v9, v[4:7]
	s_waitcnt lgkmcnt(0)
	s_barrier
	buffer_gl0_inv
	ds_load_b128 v[1:4], v141
	ds_load_b128 v[5:8], v141 offset:16
	v_cmp_eq_u32_e64 s4, 2, v138
	v_cmp_eq_u32_e64 s3, 1, v139
	;; [unrolled: 1-line block ×5, first 2 shown]
	s_waitcnt lgkmcnt(1)
	v_lshrrev_b32_e32 v10, 16, v1
	s_waitcnt lgkmcnt(0)
	v_lshrrev_b32_e32 v14, 16, v5
	v_lshrrev_b32_e32 v15, 16, v6
	;; [unrolled: 1-line block ×4, first 2 shown]
	v_cndmask_b32_e64 v20, v1, v10, s3
	v_cndmask_b32_e32 v19, v5, v14, vcc_lo
	v_cndmask_b32_e64 v21, v5, v14, s3
	v_lshrrev_b32_e32 v16, 16, v7
	v_cmp_eq_u32_e64 s3, 1, v137
	v_lshrrev_b32_e32 v13, 16, v4
	v_cndmask_b32_e64 v19, v19, v6, s4
	v_lshrrev_b32_e32 v17, 16, v8
	s_delay_alu instid0(VALU_DEP_4) | instskip(SKIP_1) | instid1(VALU_DEP_4)
	v_cndmask_b32_e64 v22, v1, v10, s3
	v_cndmask_b32_e64 v23, v5, v14, s3
	;; [unrolled: 1-line block ×3, first 2 shown]
	v_cndmask_b32_e32 v18, v1, v10, vcc_lo
	v_cmp_eq_u32_e32 vcc_lo, 2, v139
	v_cmp_eq_u32_e64 s3, 2, v142
	v_cndmask_b32_e64 v22, v22, v2, s7
	v_cndmask_b32_e32 v20, v20, v2, vcc_lo
	v_cndmask_b32_e32 v21, v21, v6, vcc_lo
	v_cmp_eq_u32_e32 vcc_lo, 4, v138
	v_cndmask_b32_e32 v19, v19, v7, vcc_lo
	v_cndmask_b32_e64 v18, v18, v2, s4
	v_cmp_eq_u32_e64 s4, 3, v139
	s_delay_alu instid0(VALU_DEP_2) | instskip(NEXT) | instid1(VALU_DEP_2)
	v_cndmask_b32_e64 v18, v18, v11, s5
	v_cndmask_b32_e64 v21, v21, v15, s4
	v_cmp_eq_u32_e64 s5, 5, v138
	s_delay_alu instid0(VALU_DEP_3) | instskip(SKIP_1) | instid1(VALU_DEP_3)
	v_cndmask_b32_e32 v18, v18, v3, vcc_lo
	v_cmp_eq_u32_e32 vcc_lo, 4, v139
	v_cndmask_b32_e64 v19, v19, v16, s5
	s_delay_alu instid0(VALU_DEP_3) | instskip(SKIP_4) | instid1(VALU_DEP_3)
	v_cndmask_b32_e64 v18, v18, v12, s5
	v_cndmask_b32_e32 v21, v21, v7, vcc_lo
	v_cndmask_b32_e64 v20, v20, v11, s4
	v_cmp_eq_u32_e64 s4, 5, v139
	v_cmp_eq_u32_e64 s5, 6, v138
	v_cndmask_b32_e32 v20, v20, v3, vcc_lo
	s_delay_alu instid0(VALU_DEP_3) | instskip(SKIP_1) | instid1(VALU_DEP_4)
	v_cndmask_b32_e64 v21, v21, v16, s4
	v_cmp_eq_u32_e32 vcc_lo, 6, v139
	v_cndmask_b32_e64 v18, v18, v4, s5
	v_cndmask_b32_e64 v19, v19, v8, s5
	;; [unrolled: 1-line block ×3, first 2 shown]
	v_cmp_eq_u32_e64 s4, 1, v142
	v_cmp_eq_u32_e64 s5, 7, v138
	s_delay_alu instid0(VALU_DEP_3) | instskip(NEXT) | instid1(VALU_DEP_3)
	v_cndmask_b32_e32 v20, v20, v4, vcc_lo
	v_cndmask_b32_e64 v1, v1, v10, s4
	v_cndmask_b32_e64 v5, v5, v14, s4
	v_cmp_eq_u32_e64 s4, 3, v137
	v_cndmask_b32_e64 v14, v23, v6, s7
	v_cmp_eq_u32_e64 s7, 3, v142
	v_cndmask_b32_e64 v1, v1, v2, s3
	v_cndmask_b32_e64 v2, v5, v6, s3
	;; [unrolled: 1-line block ×3, first 2 shown]
	v_cmp_eq_u32_e64 s3, 4, v137
	v_cndmask_b32_e64 v6, v14, v15, s4
	v_cndmask_b32_e64 v1, v1, v11, s7
	v_cmp_eq_u32_e64 s4, 4, v142
	v_cndmask_b32_e64 v2, v2, v15, s7
	v_cndmask_b32_e64 v5, v10, v3, s3
	;; [unrolled: 3-line block ×3, first 2 shown]
	v_cndmask_b32_e64 v2, v2, v7, s4
	v_cmp_eq_u32_e64 s3, 5, v142
	v_cndmask_b32_e64 v5, v5, v12, s7
	v_cmp_eq_u32_e64 s4, 6, v137
	;; [unrolled: 2-line block ×3, first 2 shown]
	v_cndmask_b32_e64 v1, v1, v12, s3
	v_cndmask_b32_e64 v2, v2, v16, s3
	v_cndmask_b32_e64 v5, v5, v4, s4
	v_cndmask_b32_e64 v3, v3, v8, s4
	v_cmp_eq_u32_e64 s3, 7, v142
	v_cndmask_b32_e64 v1, v1, v4, s7
	v_cndmask_b32_e64 v2, v2, v8, s7
	v_cmp_eq_u32_e64 s4, 7, v137
	v_cndmask_b32_e32 v4, v21, v8, vcc_lo
	v_cndmask_b32_e64 v18, v18, v13, s5
	v_cndmask_b32_e64 v20, v20, v13, s6
	;; [unrolled: 1-line block ×8, first 2 shown]
	v_cmp_gt_u32_e32 vcc_lo, 32, v0
	v_perm_b32 v4, v2, v1, 0x5040100
	v_perm_b32 v3, v3, v5, 0x5040100
	;; [unrolled: 1-line block ×4, first 2 shown]
	s_and_b32 s2, vcc_lo, s2
	ds_store_b128 v9, v[1:4]
	s_waitcnt lgkmcnt(0)
	s_barrier
	buffer_gl0_inv
	s_and_saveexec_b32 s3, s2
	s_cbranch_execz .LBB497_2
; %bb.111:
	s_load_b64 s[0:1], s[0:1], 0x68
	v_lshlrev_b32_e32 v0, 10, v0
	v_or_b32_e32 v1, s31, v147
	s_lshl_b32 s4, s34, 6
	v_lshlrev_b32_e32 v2, 4, v146
	s_mul_i32 s2, s4, s30
	v_lshlrev_b32_e32 v3, 6, v147
	v_mul_lo_u32 v8, v1, s4
	v_and_b32_e32 v0, 0x3800, v0
	v_or_b32_e32 v1, 2, v1
	s_mul_i32 s2, s2, s8
	s_delay_alu instid0(SALU_CYCLE_1) | instskip(NEXT) | instid1(VALU_DEP_2)
	s_ashr_i32 s3, s2, 31
	v_or3_b32 v4, v0, v2, v3
	s_lshl_b64 s[2:3], s[2:3], 1
	v_mul_lo_u32 v10, v1, s4
	v_ashrrev_i32_e32 v9, 31, v8
	ds_load_b128 v[0:3], v4
	ds_load_b128 v[4:7], v4 offset:128
	s_waitcnt lgkmcnt(0)
	s_add_u32 s2, s0, s2
	s_addc_u32 s3, s1, s3
	s_lshl_b32 s0, s14, 6
	v_ashrrev_i32_e32 v11, 31, v10
	s_ashr_i32 s1, s0, 31
	v_lshlrev_b64 v[8:9], 1, v[8:9]
	s_lshl_b64 s[0:1], s[0:1], 1
	s_delay_alu instid0(SALU_CYCLE_1) | instskip(SKIP_2) | instid1(VALU_DEP_1)
	s_add_u32 s0, s2, s0
	s_addc_u32 s1, s3, s1
	v_add_co_u32 v12, s0, s0, v145
	v_add_co_ci_u32_e64 v13, null, s1, 0, s0
	v_lshlrev_b64 v[10:11], 1, v[10:11]
	s_delay_alu instid0(VALU_DEP_3) | instskip(NEXT) | instid1(VALU_DEP_3)
	v_add_co_u32 v8, vcc_lo, v12, v8
	v_add_co_ci_u32_e32 v9, vcc_lo, v13, v9, vcc_lo
	s_delay_alu instid0(VALU_DEP_3) | instskip(NEXT) | instid1(VALU_DEP_4)
	v_add_co_u32 v10, vcc_lo, v12, v10
	v_add_co_ci_u32_e32 v11, vcc_lo, v13, v11, vcc_lo
	s_clause 0x1
	global_store_b128 v[8:9], v[0:3], off
	global_store_b128 v[10:11], v[4:7], off
	s_nop 0
	s_sendmsg sendmsg(MSG_DEALLOC_VGPRS)
	s_endpgm
	.section	.rodata,"a",@progbits
	.p2align	6, 0x0
	.amdhsa_kernel _Z39paged_attention_ll4mi_QKV_mfma16_kernelI14__hip_bfloat16S0_LN4vllm18Fp8KVCacheDataTypeE0ES0_Li16ELi64ELi256ELb0ELi4EL8MFMAType0EEvPKT_PKT0_S9_ifPKiSB_SB_iPKfiiiPfSE_PS4_PT2_iSD_SD_
		.amdhsa_group_segment_fixed_size 17472
		.amdhsa_private_segment_fixed_size 0
		.amdhsa_kernarg_size 400
		.amdhsa_user_sgpr_count 13
		.amdhsa_user_sgpr_dispatch_ptr 0
		.amdhsa_user_sgpr_queue_ptr 0
		.amdhsa_user_sgpr_kernarg_segment_ptr 1
		.amdhsa_user_sgpr_dispatch_id 0
		.amdhsa_user_sgpr_private_segment_size 0
		.amdhsa_wavefront_size32 1
		.amdhsa_uses_dynamic_stack 0
		.amdhsa_enable_private_segment 0
		.amdhsa_system_sgpr_workgroup_id_x 1
		.amdhsa_system_sgpr_workgroup_id_y 1
		.amdhsa_system_sgpr_workgroup_id_z 1
		.amdhsa_system_sgpr_workgroup_info 0
		.amdhsa_system_vgpr_workitem_id 0
		.amdhsa_next_free_vgpr 198
		.amdhsa_next_free_sgpr 52
		.amdhsa_reserve_vcc 1
		.amdhsa_float_round_mode_32 0
		.amdhsa_float_round_mode_16_64 0
		.amdhsa_float_denorm_mode_32 3
		.amdhsa_float_denorm_mode_16_64 3
		.amdhsa_dx10_clamp 1
		.amdhsa_ieee_mode 1
		.amdhsa_fp16_overflow 0
		.amdhsa_workgroup_processor_mode 1
		.amdhsa_memory_ordered 1
		.amdhsa_forward_progress 0
		.amdhsa_shared_vgpr_count 0
		.amdhsa_exception_fp_ieee_invalid_op 0
		.amdhsa_exception_fp_denorm_src 0
		.amdhsa_exception_fp_ieee_div_zero 0
		.amdhsa_exception_fp_ieee_overflow 0
		.amdhsa_exception_fp_ieee_underflow 0
		.amdhsa_exception_fp_ieee_inexact 0
		.amdhsa_exception_int_div_zero 0
	.end_amdhsa_kernel
	.section	.text._Z39paged_attention_ll4mi_QKV_mfma16_kernelI14__hip_bfloat16S0_LN4vllm18Fp8KVCacheDataTypeE0ES0_Li16ELi64ELi256ELb0ELi4EL8MFMAType0EEvPKT_PKT0_S9_ifPKiSB_SB_iPKfiiiPfSE_PS4_PT2_iSD_SD_,"axG",@progbits,_Z39paged_attention_ll4mi_QKV_mfma16_kernelI14__hip_bfloat16S0_LN4vllm18Fp8KVCacheDataTypeE0ES0_Li16ELi64ELi256ELb0ELi4EL8MFMAType0EEvPKT_PKT0_S9_ifPKiSB_SB_iPKfiiiPfSE_PS4_PT2_iSD_SD_,comdat
.Lfunc_end497:
	.size	_Z39paged_attention_ll4mi_QKV_mfma16_kernelI14__hip_bfloat16S0_LN4vllm18Fp8KVCacheDataTypeE0ES0_Li16ELi64ELi256ELb0ELi4EL8MFMAType0EEvPKT_PKT0_S9_ifPKiSB_SB_iPKfiiiPfSE_PS4_PT2_iSD_SD_, .Lfunc_end497-_Z39paged_attention_ll4mi_QKV_mfma16_kernelI14__hip_bfloat16S0_LN4vllm18Fp8KVCacheDataTypeE0ES0_Li16ELi64ELi256ELb0ELi4EL8MFMAType0EEvPKT_PKT0_S9_ifPKiSB_SB_iPKfiiiPfSE_PS4_PT2_iSD_SD_
                                        ; -- End function
	.section	.AMDGPU.csdata,"",@progbits
; Kernel info:
; codeLenInByte = 9900
; NumSgprs: 54
; NumVgprs: 198
; ScratchSize: 0
; MemoryBound: 0
; FloatMode: 240
; IeeeMode: 1
; LDSByteSize: 17472 bytes/workgroup (compile time only)
; SGPRBlocks: 6
; VGPRBlocks: 24
; NumSGPRsForWavesPerEU: 54
; NumVGPRsForWavesPerEU: 198
; Occupancy: 7
; WaveLimiterHint : 1
; COMPUTE_PGM_RSRC2:SCRATCH_EN: 0
; COMPUTE_PGM_RSRC2:USER_SGPR: 13
; COMPUTE_PGM_RSRC2:TRAP_HANDLER: 0
; COMPUTE_PGM_RSRC2:TGID_X_EN: 1
; COMPUTE_PGM_RSRC2:TGID_Y_EN: 1
; COMPUTE_PGM_RSRC2:TGID_Z_EN: 1
; COMPUTE_PGM_RSRC2:TIDIG_COMP_CNT: 0
	.section	.text._Z38paged_attention_ll4mi_QKV_mfma4_kernelI14__hip_bfloat16S0_LN4vllm18Fp8KVCacheDataTypeE0EhLi32ELi64ELi256ELb1ELi1EEvPKT_PKT0_S8_ifPKiSA_SA_iPKfiiiPfSD_PS3_PT2_iSC_SC_,"axG",@progbits,_Z38paged_attention_ll4mi_QKV_mfma4_kernelI14__hip_bfloat16S0_LN4vllm18Fp8KVCacheDataTypeE0EhLi32ELi64ELi256ELb1ELi1EEvPKT_PKT0_S8_ifPKiSA_SA_iPKfiiiPfSD_PS3_PT2_iSC_SC_,comdat
	.protected	_Z38paged_attention_ll4mi_QKV_mfma4_kernelI14__hip_bfloat16S0_LN4vllm18Fp8KVCacheDataTypeE0EhLi32ELi64ELi256ELb1ELi1EEvPKT_PKT0_S8_ifPKiSA_SA_iPKfiiiPfSD_PS3_PT2_iSC_SC_ ; -- Begin function _Z38paged_attention_ll4mi_QKV_mfma4_kernelI14__hip_bfloat16S0_LN4vllm18Fp8KVCacheDataTypeE0EhLi32ELi64ELi256ELb1ELi1EEvPKT_PKT0_S8_ifPKiSA_SA_iPKfiiiPfSD_PS3_PT2_iSC_SC_
	.globl	_Z38paged_attention_ll4mi_QKV_mfma4_kernelI14__hip_bfloat16S0_LN4vllm18Fp8KVCacheDataTypeE0EhLi32ELi64ELi256ELb1ELi1EEvPKT_PKT0_S8_ifPKiSA_SA_iPKfiiiPfSD_PS3_PT2_iSC_SC_
	.p2align	8
	.type	_Z38paged_attention_ll4mi_QKV_mfma4_kernelI14__hip_bfloat16S0_LN4vllm18Fp8KVCacheDataTypeE0EhLi32ELi64ELi256ELb1ELi1EEvPKT_PKT0_S8_ifPKiSA_SA_iPKfiiiPfSD_PS3_PT2_iSC_SC_,@function
_Z38paged_attention_ll4mi_QKV_mfma4_kernelI14__hip_bfloat16S0_LN4vllm18Fp8KVCacheDataTypeE0EhLi32ELi64ELi256ELb1ELi1EEvPKT_PKT0_S8_ifPKiSA_SA_iPKfiiiPfSD_PS3_PT2_iSC_SC_: ; @_Z38paged_attention_ll4mi_QKV_mfma4_kernelI14__hip_bfloat16S0_LN4vllm18Fp8KVCacheDataTypeE0EhLi32ELi64ELi256ELb1ELi1EEvPKT_PKT0_S8_ifPKiSA_SA_iPKfiiiPfSD_PS3_PT2_iSC_SC_
; %bb.0:
	s_add_u32 s8, s0, 0x90
	s_addc_u32 s9, s1, 0
	s_getpc_b64 s[0:1]
	s_add_u32 s0, s0, __PRETTY_FUNCTION__._Z38paged_attention_ll4mi_QKV_mfma4_kernelI14__hip_bfloat16S0_LN4vllm18Fp8KVCacheDataTypeE0EhLi32ELi64ELi256ELb1ELi1EEvPKT_PKT0_S8_ifPKiSA_SA_iPKfiiiPfSD_PS3_PT2_iSC_SC_@rel32@lo+4
	s_addc_u32 s1, s1, __PRETTY_FUNCTION__._Z38paged_attention_ll4mi_QKV_mfma4_kernelI14__hip_bfloat16S0_LN4vllm18Fp8KVCacheDataTypeE0EhLi32ELi64ELi256ELb1ELi1EEvPKT_PKT0_S8_ifPKiSA_SA_iPKfiiiPfSD_PS3_PT2_iSC_SC_@rel32@hi+12
	s_delay_alu instid0(SALU_CYCLE_1) | instskip(SKIP_4) | instid1(SALU_CYCLE_1)
	v_dual_mov_b32 v0, s0 :: v_dual_mov_b32 v1, s1
	s_mov_b32 s32, 0
	s_getpc_b64 s[2:3]
	s_add_u32 s2, s2, __assert_fail@rel32@lo+4
	s_addc_u32 s3, s3, __assert_fail@rel32@hi+12
	s_swappc_b64 s[30:31], s[2:3]
	.section	.rodata,"a",@progbits
	.p2align	6, 0x0
	.amdhsa_kernel _Z38paged_attention_ll4mi_QKV_mfma4_kernelI14__hip_bfloat16S0_LN4vllm18Fp8KVCacheDataTypeE0EhLi32ELi64ELi256ELb1ELi1EEvPKT_PKT0_S8_ifPKiSA_SA_iPKfiiiPfSD_PS3_PT2_iSC_SC_
		.amdhsa_group_segment_fixed_size 0
		.amdhsa_private_segment_fixed_size 64
		.amdhsa_kernarg_size 400
		.amdhsa_user_sgpr_count 15
		.amdhsa_user_sgpr_dispatch_ptr 0
		.amdhsa_user_sgpr_queue_ptr 0
		.amdhsa_user_sgpr_kernarg_segment_ptr 1
		.amdhsa_user_sgpr_dispatch_id 0
		.amdhsa_user_sgpr_private_segment_size 0
		.amdhsa_wavefront_size32 1
		.amdhsa_uses_dynamic_stack 0
		.amdhsa_enable_private_segment 1
		.amdhsa_system_sgpr_workgroup_id_x 1
		.amdhsa_system_sgpr_workgroup_id_y 0
		.amdhsa_system_sgpr_workgroup_id_z 0
		.amdhsa_system_sgpr_workgroup_info 0
		.amdhsa_system_vgpr_workitem_id 0
		.amdhsa_next_free_vgpr 41
		.amdhsa_next_free_sgpr 34
		.amdhsa_reserve_vcc 1
		.amdhsa_float_round_mode_32 0
		.amdhsa_float_round_mode_16_64 0
		.amdhsa_float_denorm_mode_32 3
		.amdhsa_float_denorm_mode_16_64 3
		.amdhsa_dx10_clamp 1
		.amdhsa_ieee_mode 1
		.amdhsa_fp16_overflow 0
		.amdhsa_workgroup_processor_mode 1
		.amdhsa_memory_ordered 1
		.amdhsa_forward_progress 0
		.amdhsa_shared_vgpr_count 0
		.amdhsa_exception_fp_ieee_invalid_op 0
		.amdhsa_exception_fp_denorm_src 0
		.amdhsa_exception_fp_ieee_div_zero 0
		.amdhsa_exception_fp_ieee_overflow 0
		.amdhsa_exception_fp_ieee_underflow 0
		.amdhsa_exception_fp_ieee_inexact 0
		.amdhsa_exception_int_div_zero 0
	.end_amdhsa_kernel
	.section	.text._Z38paged_attention_ll4mi_QKV_mfma4_kernelI14__hip_bfloat16S0_LN4vllm18Fp8KVCacheDataTypeE0EhLi32ELi64ELi256ELb1ELi1EEvPKT_PKT0_S8_ifPKiSA_SA_iPKfiiiPfSD_PS3_PT2_iSC_SC_,"axG",@progbits,_Z38paged_attention_ll4mi_QKV_mfma4_kernelI14__hip_bfloat16S0_LN4vllm18Fp8KVCacheDataTypeE0EhLi32ELi64ELi256ELb1ELi1EEvPKT_PKT0_S8_ifPKiSA_SA_iPKfiiiPfSD_PS3_PT2_iSC_SC_,comdat
.Lfunc_end498:
	.size	_Z38paged_attention_ll4mi_QKV_mfma4_kernelI14__hip_bfloat16S0_LN4vllm18Fp8KVCacheDataTypeE0EhLi32ELi64ELi256ELb1ELi1EEvPKT_PKT0_S8_ifPKiSA_SA_iPKfiiiPfSD_PS3_PT2_iSC_SC_, .Lfunc_end498-_Z38paged_attention_ll4mi_QKV_mfma4_kernelI14__hip_bfloat16S0_LN4vllm18Fp8KVCacheDataTypeE0EhLi32ELi64ELi256ELb1ELi1EEvPKT_PKT0_S8_ifPKiSA_SA_iPKfiiiPfSD_PS3_PT2_iSC_SC_
                                        ; -- End function
	.section	.AMDGPU.csdata,"",@progbits
; Kernel info:
; codeLenInByte = 72
; NumSgprs: 36
; NumVgprs: 41
; ScratchSize: 64
; MemoryBound: 0
; FloatMode: 240
; IeeeMode: 1
; LDSByteSize: 0 bytes/workgroup (compile time only)
; SGPRBlocks: 4
; VGPRBlocks: 5
; NumSGPRsForWavesPerEU: 36
; NumVGPRsForWavesPerEU: 41
; Occupancy: 16
; WaveLimiterHint : 1
; COMPUTE_PGM_RSRC2:SCRATCH_EN: 1
; COMPUTE_PGM_RSRC2:USER_SGPR: 15
; COMPUTE_PGM_RSRC2:TRAP_HANDLER: 0
; COMPUTE_PGM_RSRC2:TGID_X_EN: 1
; COMPUTE_PGM_RSRC2:TGID_Y_EN: 0
; COMPUTE_PGM_RSRC2:TGID_Z_EN: 0
; COMPUTE_PGM_RSRC2:TIDIG_COMP_CNT: 0
	.section	.text._Z38paged_attention_ll4mi_QKV_mfma4_kernelI14__hip_bfloat16S0_LN4vllm18Fp8KVCacheDataTypeE0EhLi32ELi64ELi256ELb1ELi2EEvPKT_PKT0_S8_ifPKiSA_SA_iPKfiiiPfSD_PS3_PT2_iSC_SC_,"axG",@progbits,_Z38paged_attention_ll4mi_QKV_mfma4_kernelI14__hip_bfloat16S0_LN4vllm18Fp8KVCacheDataTypeE0EhLi32ELi64ELi256ELb1ELi2EEvPKT_PKT0_S8_ifPKiSA_SA_iPKfiiiPfSD_PS3_PT2_iSC_SC_,comdat
	.protected	_Z38paged_attention_ll4mi_QKV_mfma4_kernelI14__hip_bfloat16S0_LN4vllm18Fp8KVCacheDataTypeE0EhLi32ELi64ELi256ELb1ELi2EEvPKT_PKT0_S8_ifPKiSA_SA_iPKfiiiPfSD_PS3_PT2_iSC_SC_ ; -- Begin function _Z38paged_attention_ll4mi_QKV_mfma4_kernelI14__hip_bfloat16S0_LN4vllm18Fp8KVCacheDataTypeE0EhLi32ELi64ELi256ELb1ELi2EEvPKT_PKT0_S8_ifPKiSA_SA_iPKfiiiPfSD_PS3_PT2_iSC_SC_
	.globl	_Z38paged_attention_ll4mi_QKV_mfma4_kernelI14__hip_bfloat16S0_LN4vllm18Fp8KVCacheDataTypeE0EhLi32ELi64ELi256ELb1ELi2EEvPKT_PKT0_S8_ifPKiSA_SA_iPKfiiiPfSD_PS3_PT2_iSC_SC_
	.p2align	8
	.type	_Z38paged_attention_ll4mi_QKV_mfma4_kernelI14__hip_bfloat16S0_LN4vllm18Fp8KVCacheDataTypeE0EhLi32ELi64ELi256ELb1ELi2EEvPKT_PKT0_S8_ifPKiSA_SA_iPKfiiiPfSD_PS3_PT2_iSC_SC_,@function
_Z38paged_attention_ll4mi_QKV_mfma4_kernelI14__hip_bfloat16S0_LN4vllm18Fp8KVCacheDataTypeE0EhLi32ELi64ELi256ELb1ELi2EEvPKT_PKT0_S8_ifPKiSA_SA_iPKfiiiPfSD_PS3_PT2_iSC_SC_: ; @_Z38paged_attention_ll4mi_QKV_mfma4_kernelI14__hip_bfloat16S0_LN4vllm18Fp8KVCacheDataTypeE0EhLi32ELi64ELi256ELb1ELi2EEvPKT_PKT0_S8_ifPKiSA_SA_iPKfiiiPfSD_PS3_PT2_iSC_SC_
; %bb.0:
	s_add_u32 s8, s0, 0x90
	s_addc_u32 s9, s1, 0
	s_getpc_b64 s[0:1]
	s_add_u32 s0, s0, __PRETTY_FUNCTION__._Z38paged_attention_ll4mi_QKV_mfma4_kernelI14__hip_bfloat16S0_LN4vllm18Fp8KVCacheDataTypeE0EhLi32ELi64ELi256ELb1ELi2EEvPKT_PKT0_S8_ifPKiSA_SA_iPKfiiiPfSD_PS3_PT2_iSC_SC_@rel32@lo+4
	s_addc_u32 s1, s1, __PRETTY_FUNCTION__._Z38paged_attention_ll4mi_QKV_mfma4_kernelI14__hip_bfloat16S0_LN4vllm18Fp8KVCacheDataTypeE0EhLi32ELi64ELi256ELb1ELi2EEvPKT_PKT0_S8_ifPKiSA_SA_iPKfiiiPfSD_PS3_PT2_iSC_SC_@rel32@hi+12
	s_delay_alu instid0(SALU_CYCLE_1) | instskip(SKIP_4) | instid1(SALU_CYCLE_1)
	v_dual_mov_b32 v0, s0 :: v_dual_mov_b32 v1, s1
	s_mov_b32 s32, 0
	s_getpc_b64 s[2:3]
	s_add_u32 s2, s2, __assert_fail@rel32@lo+4
	s_addc_u32 s3, s3, __assert_fail@rel32@hi+12
	s_swappc_b64 s[30:31], s[2:3]
	.section	.rodata,"a",@progbits
	.p2align	6, 0x0
	.amdhsa_kernel _Z38paged_attention_ll4mi_QKV_mfma4_kernelI14__hip_bfloat16S0_LN4vllm18Fp8KVCacheDataTypeE0EhLi32ELi64ELi256ELb1ELi2EEvPKT_PKT0_S8_ifPKiSA_SA_iPKfiiiPfSD_PS3_PT2_iSC_SC_
		.amdhsa_group_segment_fixed_size 0
		.amdhsa_private_segment_fixed_size 64
		.amdhsa_kernarg_size 400
		.amdhsa_user_sgpr_count 15
		.amdhsa_user_sgpr_dispatch_ptr 0
		.amdhsa_user_sgpr_queue_ptr 0
		.amdhsa_user_sgpr_kernarg_segment_ptr 1
		.amdhsa_user_sgpr_dispatch_id 0
		.amdhsa_user_sgpr_private_segment_size 0
		.amdhsa_wavefront_size32 1
		.amdhsa_uses_dynamic_stack 0
		.amdhsa_enable_private_segment 1
		.amdhsa_system_sgpr_workgroup_id_x 1
		.amdhsa_system_sgpr_workgroup_id_y 0
		.amdhsa_system_sgpr_workgroup_id_z 0
		.amdhsa_system_sgpr_workgroup_info 0
		.amdhsa_system_vgpr_workitem_id 0
		.amdhsa_next_free_vgpr 41
		.amdhsa_next_free_sgpr 34
		.amdhsa_reserve_vcc 1
		.amdhsa_float_round_mode_32 0
		.amdhsa_float_round_mode_16_64 0
		.amdhsa_float_denorm_mode_32 3
		.amdhsa_float_denorm_mode_16_64 3
		.amdhsa_dx10_clamp 1
		.amdhsa_ieee_mode 1
		.amdhsa_fp16_overflow 0
		.amdhsa_workgroup_processor_mode 1
		.amdhsa_memory_ordered 1
		.amdhsa_forward_progress 0
		.amdhsa_shared_vgpr_count 0
		.amdhsa_exception_fp_ieee_invalid_op 0
		.amdhsa_exception_fp_denorm_src 0
		.amdhsa_exception_fp_ieee_div_zero 0
		.amdhsa_exception_fp_ieee_overflow 0
		.amdhsa_exception_fp_ieee_underflow 0
		.amdhsa_exception_fp_ieee_inexact 0
		.amdhsa_exception_int_div_zero 0
	.end_amdhsa_kernel
	.section	.text._Z38paged_attention_ll4mi_QKV_mfma4_kernelI14__hip_bfloat16S0_LN4vllm18Fp8KVCacheDataTypeE0EhLi32ELi64ELi256ELb1ELi2EEvPKT_PKT0_S8_ifPKiSA_SA_iPKfiiiPfSD_PS3_PT2_iSC_SC_,"axG",@progbits,_Z38paged_attention_ll4mi_QKV_mfma4_kernelI14__hip_bfloat16S0_LN4vllm18Fp8KVCacheDataTypeE0EhLi32ELi64ELi256ELb1ELi2EEvPKT_PKT0_S8_ifPKiSA_SA_iPKfiiiPfSD_PS3_PT2_iSC_SC_,comdat
.Lfunc_end499:
	.size	_Z38paged_attention_ll4mi_QKV_mfma4_kernelI14__hip_bfloat16S0_LN4vllm18Fp8KVCacheDataTypeE0EhLi32ELi64ELi256ELb1ELi2EEvPKT_PKT0_S8_ifPKiSA_SA_iPKfiiiPfSD_PS3_PT2_iSC_SC_, .Lfunc_end499-_Z38paged_attention_ll4mi_QKV_mfma4_kernelI14__hip_bfloat16S0_LN4vllm18Fp8KVCacheDataTypeE0EhLi32ELi64ELi256ELb1ELi2EEvPKT_PKT0_S8_ifPKiSA_SA_iPKfiiiPfSD_PS3_PT2_iSC_SC_
                                        ; -- End function
	.section	.AMDGPU.csdata,"",@progbits
; Kernel info:
; codeLenInByte = 72
; NumSgprs: 36
; NumVgprs: 41
; ScratchSize: 64
; MemoryBound: 0
; FloatMode: 240
; IeeeMode: 1
; LDSByteSize: 0 bytes/workgroup (compile time only)
; SGPRBlocks: 4
; VGPRBlocks: 5
; NumSGPRsForWavesPerEU: 36
; NumVGPRsForWavesPerEU: 41
; Occupancy: 16
; WaveLimiterHint : 1
; COMPUTE_PGM_RSRC2:SCRATCH_EN: 1
; COMPUTE_PGM_RSRC2:USER_SGPR: 15
; COMPUTE_PGM_RSRC2:TRAP_HANDLER: 0
; COMPUTE_PGM_RSRC2:TGID_X_EN: 1
; COMPUTE_PGM_RSRC2:TGID_Y_EN: 0
; COMPUTE_PGM_RSRC2:TGID_Z_EN: 0
; COMPUTE_PGM_RSRC2:TIDIG_COMP_CNT: 0
	.section	.text._Z38paged_attention_ll4mi_QKV_mfma4_kernelI14__hip_bfloat16S0_LN4vllm18Fp8KVCacheDataTypeE0EhLi32ELi64ELi256ELb1ELi3EEvPKT_PKT0_S8_ifPKiSA_SA_iPKfiiiPfSD_PS3_PT2_iSC_SC_,"axG",@progbits,_Z38paged_attention_ll4mi_QKV_mfma4_kernelI14__hip_bfloat16S0_LN4vllm18Fp8KVCacheDataTypeE0EhLi32ELi64ELi256ELb1ELi3EEvPKT_PKT0_S8_ifPKiSA_SA_iPKfiiiPfSD_PS3_PT2_iSC_SC_,comdat
	.protected	_Z38paged_attention_ll4mi_QKV_mfma4_kernelI14__hip_bfloat16S0_LN4vllm18Fp8KVCacheDataTypeE0EhLi32ELi64ELi256ELb1ELi3EEvPKT_PKT0_S8_ifPKiSA_SA_iPKfiiiPfSD_PS3_PT2_iSC_SC_ ; -- Begin function _Z38paged_attention_ll4mi_QKV_mfma4_kernelI14__hip_bfloat16S0_LN4vllm18Fp8KVCacheDataTypeE0EhLi32ELi64ELi256ELb1ELi3EEvPKT_PKT0_S8_ifPKiSA_SA_iPKfiiiPfSD_PS3_PT2_iSC_SC_
	.globl	_Z38paged_attention_ll4mi_QKV_mfma4_kernelI14__hip_bfloat16S0_LN4vllm18Fp8KVCacheDataTypeE0EhLi32ELi64ELi256ELb1ELi3EEvPKT_PKT0_S8_ifPKiSA_SA_iPKfiiiPfSD_PS3_PT2_iSC_SC_
	.p2align	8
	.type	_Z38paged_attention_ll4mi_QKV_mfma4_kernelI14__hip_bfloat16S0_LN4vllm18Fp8KVCacheDataTypeE0EhLi32ELi64ELi256ELb1ELi3EEvPKT_PKT0_S8_ifPKiSA_SA_iPKfiiiPfSD_PS3_PT2_iSC_SC_,@function
_Z38paged_attention_ll4mi_QKV_mfma4_kernelI14__hip_bfloat16S0_LN4vllm18Fp8KVCacheDataTypeE0EhLi32ELi64ELi256ELb1ELi3EEvPKT_PKT0_S8_ifPKiSA_SA_iPKfiiiPfSD_PS3_PT2_iSC_SC_: ; @_Z38paged_attention_ll4mi_QKV_mfma4_kernelI14__hip_bfloat16S0_LN4vllm18Fp8KVCacheDataTypeE0EhLi32ELi64ELi256ELb1ELi3EEvPKT_PKT0_S8_ifPKiSA_SA_iPKfiiiPfSD_PS3_PT2_iSC_SC_
; %bb.0:
	s_add_u32 s8, s0, 0x90
	s_addc_u32 s9, s1, 0
	s_getpc_b64 s[0:1]
	s_add_u32 s0, s0, __PRETTY_FUNCTION__._Z38paged_attention_ll4mi_QKV_mfma4_kernelI14__hip_bfloat16S0_LN4vllm18Fp8KVCacheDataTypeE0EhLi32ELi64ELi256ELb1ELi3EEvPKT_PKT0_S8_ifPKiSA_SA_iPKfiiiPfSD_PS3_PT2_iSC_SC_@rel32@lo+4
	s_addc_u32 s1, s1, __PRETTY_FUNCTION__._Z38paged_attention_ll4mi_QKV_mfma4_kernelI14__hip_bfloat16S0_LN4vllm18Fp8KVCacheDataTypeE0EhLi32ELi64ELi256ELb1ELi3EEvPKT_PKT0_S8_ifPKiSA_SA_iPKfiiiPfSD_PS3_PT2_iSC_SC_@rel32@hi+12
	s_delay_alu instid0(SALU_CYCLE_1) | instskip(SKIP_4) | instid1(SALU_CYCLE_1)
	v_dual_mov_b32 v0, s0 :: v_dual_mov_b32 v1, s1
	s_mov_b32 s32, 0
	s_getpc_b64 s[2:3]
	s_add_u32 s2, s2, __assert_fail@rel32@lo+4
	s_addc_u32 s3, s3, __assert_fail@rel32@hi+12
	s_swappc_b64 s[30:31], s[2:3]
	.section	.rodata,"a",@progbits
	.p2align	6, 0x0
	.amdhsa_kernel _Z38paged_attention_ll4mi_QKV_mfma4_kernelI14__hip_bfloat16S0_LN4vllm18Fp8KVCacheDataTypeE0EhLi32ELi64ELi256ELb1ELi3EEvPKT_PKT0_S8_ifPKiSA_SA_iPKfiiiPfSD_PS3_PT2_iSC_SC_
		.amdhsa_group_segment_fixed_size 0
		.amdhsa_private_segment_fixed_size 64
		.amdhsa_kernarg_size 400
		.amdhsa_user_sgpr_count 15
		.amdhsa_user_sgpr_dispatch_ptr 0
		.amdhsa_user_sgpr_queue_ptr 0
		.amdhsa_user_sgpr_kernarg_segment_ptr 1
		.amdhsa_user_sgpr_dispatch_id 0
		.amdhsa_user_sgpr_private_segment_size 0
		.amdhsa_wavefront_size32 1
		.amdhsa_uses_dynamic_stack 0
		.amdhsa_enable_private_segment 1
		.amdhsa_system_sgpr_workgroup_id_x 1
		.amdhsa_system_sgpr_workgroup_id_y 0
		.amdhsa_system_sgpr_workgroup_id_z 0
		.amdhsa_system_sgpr_workgroup_info 0
		.amdhsa_system_vgpr_workitem_id 0
		.amdhsa_next_free_vgpr 41
		.amdhsa_next_free_sgpr 34
		.amdhsa_reserve_vcc 1
		.amdhsa_float_round_mode_32 0
		.amdhsa_float_round_mode_16_64 0
		.amdhsa_float_denorm_mode_32 3
		.amdhsa_float_denorm_mode_16_64 3
		.amdhsa_dx10_clamp 1
		.amdhsa_ieee_mode 1
		.amdhsa_fp16_overflow 0
		.amdhsa_workgroup_processor_mode 1
		.amdhsa_memory_ordered 1
		.amdhsa_forward_progress 0
		.amdhsa_shared_vgpr_count 0
		.amdhsa_exception_fp_ieee_invalid_op 0
		.amdhsa_exception_fp_denorm_src 0
		.amdhsa_exception_fp_ieee_div_zero 0
		.amdhsa_exception_fp_ieee_overflow 0
		.amdhsa_exception_fp_ieee_underflow 0
		.amdhsa_exception_fp_ieee_inexact 0
		.amdhsa_exception_int_div_zero 0
	.end_amdhsa_kernel
	.section	.text._Z38paged_attention_ll4mi_QKV_mfma4_kernelI14__hip_bfloat16S0_LN4vllm18Fp8KVCacheDataTypeE0EhLi32ELi64ELi256ELb1ELi3EEvPKT_PKT0_S8_ifPKiSA_SA_iPKfiiiPfSD_PS3_PT2_iSC_SC_,"axG",@progbits,_Z38paged_attention_ll4mi_QKV_mfma4_kernelI14__hip_bfloat16S0_LN4vllm18Fp8KVCacheDataTypeE0EhLi32ELi64ELi256ELb1ELi3EEvPKT_PKT0_S8_ifPKiSA_SA_iPKfiiiPfSD_PS3_PT2_iSC_SC_,comdat
.Lfunc_end500:
	.size	_Z38paged_attention_ll4mi_QKV_mfma4_kernelI14__hip_bfloat16S0_LN4vllm18Fp8KVCacheDataTypeE0EhLi32ELi64ELi256ELb1ELi3EEvPKT_PKT0_S8_ifPKiSA_SA_iPKfiiiPfSD_PS3_PT2_iSC_SC_, .Lfunc_end500-_Z38paged_attention_ll4mi_QKV_mfma4_kernelI14__hip_bfloat16S0_LN4vllm18Fp8KVCacheDataTypeE0EhLi32ELi64ELi256ELb1ELi3EEvPKT_PKT0_S8_ifPKiSA_SA_iPKfiiiPfSD_PS3_PT2_iSC_SC_
                                        ; -- End function
	.section	.AMDGPU.csdata,"",@progbits
; Kernel info:
; codeLenInByte = 72
; NumSgprs: 36
; NumVgprs: 41
; ScratchSize: 64
; MemoryBound: 0
; FloatMode: 240
; IeeeMode: 1
; LDSByteSize: 0 bytes/workgroup (compile time only)
; SGPRBlocks: 4
; VGPRBlocks: 5
; NumSGPRsForWavesPerEU: 36
; NumVGPRsForWavesPerEU: 41
; Occupancy: 16
; WaveLimiterHint : 1
; COMPUTE_PGM_RSRC2:SCRATCH_EN: 1
; COMPUTE_PGM_RSRC2:USER_SGPR: 15
; COMPUTE_PGM_RSRC2:TRAP_HANDLER: 0
; COMPUTE_PGM_RSRC2:TGID_X_EN: 1
; COMPUTE_PGM_RSRC2:TGID_Y_EN: 0
; COMPUTE_PGM_RSRC2:TGID_Z_EN: 0
; COMPUTE_PGM_RSRC2:TIDIG_COMP_CNT: 0
	.section	.text._Z38paged_attention_ll4mi_QKV_mfma4_kernelI14__hip_bfloat16S0_LN4vllm18Fp8KVCacheDataTypeE0EhLi32ELi64ELi256ELb1ELi4EEvPKT_PKT0_S8_ifPKiSA_SA_iPKfiiiPfSD_PS3_PT2_iSC_SC_,"axG",@progbits,_Z38paged_attention_ll4mi_QKV_mfma4_kernelI14__hip_bfloat16S0_LN4vllm18Fp8KVCacheDataTypeE0EhLi32ELi64ELi256ELb1ELi4EEvPKT_PKT0_S8_ifPKiSA_SA_iPKfiiiPfSD_PS3_PT2_iSC_SC_,comdat
	.protected	_Z38paged_attention_ll4mi_QKV_mfma4_kernelI14__hip_bfloat16S0_LN4vllm18Fp8KVCacheDataTypeE0EhLi32ELi64ELi256ELb1ELi4EEvPKT_PKT0_S8_ifPKiSA_SA_iPKfiiiPfSD_PS3_PT2_iSC_SC_ ; -- Begin function _Z38paged_attention_ll4mi_QKV_mfma4_kernelI14__hip_bfloat16S0_LN4vllm18Fp8KVCacheDataTypeE0EhLi32ELi64ELi256ELb1ELi4EEvPKT_PKT0_S8_ifPKiSA_SA_iPKfiiiPfSD_PS3_PT2_iSC_SC_
	.globl	_Z38paged_attention_ll4mi_QKV_mfma4_kernelI14__hip_bfloat16S0_LN4vllm18Fp8KVCacheDataTypeE0EhLi32ELi64ELi256ELb1ELi4EEvPKT_PKT0_S8_ifPKiSA_SA_iPKfiiiPfSD_PS3_PT2_iSC_SC_
	.p2align	8
	.type	_Z38paged_attention_ll4mi_QKV_mfma4_kernelI14__hip_bfloat16S0_LN4vllm18Fp8KVCacheDataTypeE0EhLi32ELi64ELi256ELb1ELi4EEvPKT_PKT0_S8_ifPKiSA_SA_iPKfiiiPfSD_PS3_PT2_iSC_SC_,@function
_Z38paged_attention_ll4mi_QKV_mfma4_kernelI14__hip_bfloat16S0_LN4vllm18Fp8KVCacheDataTypeE0EhLi32ELi64ELi256ELb1ELi4EEvPKT_PKT0_S8_ifPKiSA_SA_iPKfiiiPfSD_PS3_PT2_iSC_SC_: ; @_Z38paged_attention_ll4mi_QKV_mfma4_kernelI14__hip_bfloat16S0_LN4vllm18Fp8KVCacheDataTypeE0EhLi32ELi64ELi256ELb1ELi4EEvPKT_PKT0_S8_ifPKiSA_SA_iPKfiiiPfSD_PS3_PT2_iSC_SC_
; %bb.0:
	s_add_u32 s8, s0, 0x90
	s_addc_u32 s9, s1, 0
	s_getpc_b64 s[0:1]
	s_add_u32 s0, s0, __PRETTY_FUNCTION__._Z38paged_attention_ll4mi_QKV_mfma4_kernelI14__hip_bfloat16S0_LN4vllm18Fp8KVCacheDataTypeE0EhLi32ELi64ELi256ELb1ELi4EEvPKT_PKT0_S8_ifPKiSA_SA_iPKfiiiPfSD_PS3_PT2_iSC_SC_@rel32@lo+4
	s_addc_u32 s1, s1, __PRETTY_FUNCTION__._Z38paged_attention_ll4mi_QKV_mfma4_kernelI14__hip_bfloat16S0_LN4vllm18Fp8KVCacheDataTypeE0EhLi32ELi64ELi256ELb1ELi4EEvPKT_PKT0_S8_ifPKiSA_SA_iPKfiiiPfSD_PS3_PT2_iSC_SC_@rel32@hi+12
	s_delay_alu instid0(SALU_CYCLE_1) | instskip(SKIP_4) | instid1(SALU_CYCLE_1)
	v_dual_mov_b32 v0, s0 :: v_dual_mov_b32 v1, s1
	s_mov_b32 s32, 0
	s_getpc_b64 s[2:3]
	s_add_u32 s2, s2, __assert_fail@rel32@lo+4
	s_addc_u32 s3, s3, __assert_fail@rel32@hi+12
	s_swappc_b64 s[30:31], s[2:3]
	.section	.rodata,"a",@progbits
	.p2align	6, 0x0
	.amdhsa_kernel _Z38paged_attention_ll4mi_QKV_mfma4_kernelI14__hip_bfloat16S0_LN4vllm18Fp8KVCacheDataTypeE0EhLi32ELi64ELi256ELb1ELi4EEvPKT_PKT0_S8_ifPKiSA_SA_iPKfiiiPfSD_PS3_PT2_iSC_SC_
		.amdhsa_group_segment_fixed_size 0
		.amdhsa_private_segment_fixed_size 64
		.amdhsa_kernarg_size 400
		.amdhsa_user_sgpr_count 15
		.amdhsa_user_sgpr_dispatch_ptr 0
		.amdhsa_user_sgpr_queue_ptr 0
		.amdhsa_user_sgpr_kernarg_segment_ptr 1
		.amdhsa_user_sgpr_dispatch_id 0
		.amdhsa_user_sgpr_private_segment_size 0
		.amdhsa_wavefront_size32 1
		.amdhsa_uses_dynamic_stack 0
		.amdhsa_enable_private_segment 1
		.amdhsa_system_sgpr_workgroup_id_x 1
		.amdhsa_system_sgpr_workgroup_id_y 0
		.amdhsa_system_sgpr_workgroup_id_z 0
		.amdhsa_system_sgpr_workgroup_info 0
		.amdhsa_system_vgpr_workitem_id 0
		.amdhsa_next_free_vgpr 41
		.amdhsa_next_free_sgpr 34
		.amdhsa_reserve_vcc 1
		.amdhsa_float_round_mode_32 0
		.amdhsa_float_round_mode_16_64 0
		.amdhsa_float_denorm_mode_32 3
		.amdhsa_float_denorm_mode_16_64 3
		.amdhsa_dx10_clamp 1
		.amdhsa_ieee_mode 1
		.amdhsa_fp16_overflow 0
		.amdhsa_workgroup_processor_mode 1
		.amdhsa_memory_ordered 1
		.amdhsa_forward_progress 0
		.amdhsa_shared_vgpr_count 0
		.amdhsa_exception_fp_ieee_invalid_op 0
		.amdhsa_exception_fp_denorm_src 0
		.amdhsa_exception_fp_ieee_div_zero 0
		.amdhsa_exception_fp_ieee_overflow 0
		.amdhsa_exception_fp_ieee_underflow 0
		.amdhsa_exception_fp_ieee_inexact 0
		.amdhsa_exception_int_div_zero 0
	.end_amdhsa_kernel
	.section	.text._Z38paged_attention_ll4mi_QKV_mfma4_kernelI14__hip_bfloat16S0_LN4vllm18Fp8KVCacheDataTypeE0EhLi32ELi64ELi256ELb1ELi4EEvPKT_PKT0_S8_ifPKiSA_SA_iPKfiiiPfSD_PS3_PT2_iSC_SC_,"axG",@progbits,_Z38paged_attention_ll4mi_QKV_mfma4_kernelI14__hip_bfloat16S0_LN4vllm18Fp8KVCacheDataTypeE0EhLi32ELi64ELi256ELb1ELi4EEvPKT_PKT0_S8_ifPKiSA_SA_iPKfiiiPfSD_PS3_PT2_iSC_SC_,comdat
.Lfunc_end501:
	.size	_Z38paged_attention_ll4mi_QKV_mfma4_kernelI14__hip_bfloat16S0_LN4vllm18Fp8KVCacheDataTypeE0EhLi32ELi64ELi256ELb1ELi4EEvPKT_PKT0_S8_ifPKiSA_SA_iPKfiiiPfSD_PS3_PT2_iSC_SC_, .Lfunc_end501-_Z38paged_attention_ll4mi_QKV_mfma4_kernelI14__hip_bfloat16S0_LN4vllm18Fp8KVCacheDataTypeE0EhLi32ELi64ELi256ELb1ELi4EEvPKT_PKT0_S8_ifPKiSA_SA_iPKfiiiPfSD_PS3_PT2_iSC_SC_
                                        ; -- End function
	.section	.AMDGPU.csdata,"",@progbits
; Kernel info:
; codeLenInByte = 72
; NumSgprs: 36
; NumVgprs: 41
; ScratchSize: 64
; MemoryBound: 0
; FloatMode: 240
; IeeeMode: 1
; LDSByteSize: 0 bytes/workgroup (compile time only)
; SGPRBlocks: 4
; VGPRBlocks: 5
; NumSGPRsForWavesPerEU: 36
; NumVGPRsForWavesPerEU: 41
; Occupancy: 16
; WaveLimiterHint : 1
; COMPUTE_PGM_RSRC2:SCRATCH_EN: 1
; COMPUTE_PGM_RSRC2:USER_SGPR: 15
; COMPUTE_PGM_RSRC2:TRAP_HANDLER: 0
; COMPUTE_PGM_RSRC2:TGID_X_EN: 1
; COMPUTE_PGM_RSRC2:TGID_Y_EN: 0
; COMPUTE_PGM_RSRC2:TGID_Z_EN: 0
; COMPUTE_PGM_RSRC2:TIDIG_COMP_CNT: 0
	.section	.text._Z39paged_attention_ll4mi_QKV_mfma16_kernelI14__hip_bfloat16S0_LN4vllm18Fp8KVCacheDataTypeE0EhLi32ELi64ELi256ELb1ELi5EL8MFMAType0EEvPKT_PKT0_S9_ifPKiSB_SB_iPKfiiiPfSE_PS4_PT2_iSD_SD_,"axG",@progbits,_Z39paged_attention_ll4mi_QKV_mfma16_kernelI14__hip_bfloat16S0_LN4vllm18Fp8KVCacheDataTypeE0EhLi32ELi64ELi256ELb1ELi5EL8MFMAType0EEvPKT_PKT0_S9_ifPKiSB_SB_iPKfiiiPfSE_PS4_PT2_iSD_SD_,comdat
	.protected	_Z39paged_attention_ll4mi_QKV_mfma16_kernelI14__hip_bfloat16S0_LN4vllm18Fp8KVCacheDataTypeE0EhLi32ELi64ELi256ELb1ELi5EL8MFMAType0EEvPKT_PKT0_S9_ifPKiSB_SB_iPKfiiiPfSE_PS4_PT2_iSD_SD_ ; -- Begin function _Z39paged_attention_ll4mi_QKV_mfma16_kernelI14__hip_bfloat16S0_LN4vllm18Fp8KVCacheDataTypeE0EhLi32ELi64ELi256ELb1ELi5EL8MFMAType0EEvPKT_PKT0_S9_ifPKiSB_SB_iPKfiiiPfSE_PS4_PT2_iSD_SD_
	.globl	_Z39paged_attention_ll4mi_QKV_mfma16_kernelI14__hip_bfloat16S0_LN4vllm18Fp8KVCacheDataTypeE0EhLi32ELi64ELi256ELb1ELi5EL8MFMAType0EEvPKT_PKT0_S9_ifPKiSB_SB_iPKfiiiPfSE_PS4_PT2_iSD_SD_
	.p2align	8
	.type	_Z39paged_attention_ll4mi_QKV_mfma16_kernelI14__hip_bfloat16S0_LN4vllm18Fp8KVCacheDataTypeE0EhLi32ELi64ELi256ELb1ELi5EL8MFMAType0EEvPKT_PKT0_S9_ifPKiSB_SB_iPKfiiiPfSE_PS4_PT2_iSD_SD_,@function
_Z39paged_attention_ll4mi_QKV_mfma16_kernelI14__hip_bfloat16S0_LN4vllm18Fp8KVCacheDataTypeE0EhLi32ELi64ELi256ELb1ELi5EL8MFMAType0EEvPKT_PKT0_S9_ifPKiSB_SB_iPKfiiiPfSE_PS4_PT2_iSD_SD_: ; @_Z39paged_attention_ll4mi_QKV_mfma16_kernelI14__hip_bfloat16S0_LN4vllm18Fp8KVCacheDataTypeE0EhLi32ELi64ELi256ELb1ELi5EL8MFMAType0EEvPKT_PKT0_S9_ifPKiSB_SB_iPKfiiiPfSE_PS4_PT2_iSD_SD_
; %bb.0:
	s_load_b64 s[2:3], s[0:1], 0x30
	s_mov_b32 s34, s13
	s_waitcnt lgkmcnt(0)
	s_cmp_lg_u64 s[2:3], 0
	s_cselect_b32 s6, -1, 0
	s_ashr_i32 s35, s13, 31
	s_cmp_eq_u64 s[2:3], 0
	s_cbranch_scc1 .LBB502_3
; %bb.1:
	s_lshl_b64 s[4:5], s[34:35], 2
	s_delay_alu instid0(SALU_CYCLE_1) | instskip(SKIP_4) | instid1(SALU_CYCLE_1)
	s_add_u32 s4, s2, s4
	s_addc_u32 s5, s3, s5
	s_load_b64 s[4:5], s[4:5], 0x0
	s_waitcnt lgkmcnt(0)
	s_sub_i32 s4, s5, s4
	s_cmp_eq_u32 s4, 1
	s_cselect_b32 s4, -1, 0
	s_delay_alu instid0(SALU_CYCLE_1)
	s_and_not1_b32 vcc_lo, exec_lo, s4
	s_cbranch_vccz .LBB502_4
.LBB502_2:
	s_nop 0
	s_sendmsg sendmsg(MSG_DEALLOC_VGPRS)
	s_endpgm
.LBB502_3:
.LBB502_4:
	s_load_b64 s[8:9], s[0:1], 0x28
	s_lshl_b64 s[4:5], s[34:35], 2
	s_waitcnt lgkmcnt(0)
	s_add_u32 s8, s8, s4
	s_addc_u32 s9, s9, s5
	s_lshl_b32 s16, s14, 8
	s_load_b32 s18, s[8:9], 0x0
	s_waitcnt lgkmcnt(0)
	s_cmp_ge_i32 s16, s18
	s_cbranch_scc1 .LBB502_2
; %bb.5:
	s_and_not1_b32 vcc_lo, exec_lo, s6
	s_cbranch_vccnz .LBB502_7
; %bb.6:
	s_add_u32 s2, s2, s4
	s_addc_u32 s3, s3, s5
	s_load_b32 s17, s[2:3], 0x0
	s_branch .LBB502_8
.LBB502_7:
	s_mov_b32 s17, s34
.LBB502_8:
	s_clause 0x2
	s_load_b128 s[8:11], s[0:1], 0x8
	s_load_b64 s[12:13], s[0:1], 0x20
	s_load_b128 s[4:7], s[0:1], 0x48
	v_lshrrev_b32_e32 v74, 5, v0
	v_bfe_u32 v83, v0, 4, 1
	v_and_b32_e32 v73, 15, v0
	s_delay_alu instid0(VALU_DEP_2) | instskip(NEXT) | instid1(VALU_DEP_2)
	v_lshl_or_b32 v3, v74, 1, v83
	v_cmp_lt_u32_e64 s3, 7, v73
	v_lshlrev_b32_e32 v1, 3, v73
	v_cmp_gt_u32_e64 s2, 8, v73
	s_delay_alu instid0(VALU_DEP_4) | instskip(NEXT) | instid1(VALU_DEP_4)
	v_cmp_lt_u32_e32 vcc_lo, 4, v3
	s_or_b32 s3, s3, vcc_lo
	s_waitcnt lgkmcnt(0)
	s_and_saveexec_b32 s7, s3
	s_delay_alu instid0(SALU_CYCLE_1)
	s_xor_b32 s3, exec_lo, s7
; %bb.9:
	v_mov_b32_e32 v2, 0
                                        ; implicit-def: $vgpr3
; %bb.10:
	s_or_saveexec_b32 s3, s3
	v_and_b32_e32 v75, 31, v0
	v_and_b32_e32 v84, 1, v0
	s_mul_i32 s31, s15, 5
	s_xor_b32 exec_lo, exec_lo, s3
	s_cbranch_execz .LBB502_12
; %bb.11:
	s_load_b64 s[20:21], s[0:1], 0x0
	v_add_lshl_u32 v4, v3, s31, 6
	s_mul_hi_i32 s23, s17, s4
	s_mul_i32 s22, s17, s4
	v_lshlrev_b32_e32 v2, 1, v1
	s_lshl_b64 s[22:23], s[22:23], 1
	v_ashrrev_i32_e32 v5, 31, v4
	v_lshlrev_b32_e32 v3, 6, v3
	v_lshlrev_b32_e32 v8, 10, v84
	s_delay_alu instid0(VALU_DEP_3) | instskip(SKIP_3) | instid1(VALU_DEP_1)
	v_lshlrev_b64 v[4:5], 1, v[4:5]
	s_waitcnt lgkmcnt(0)
	s_add_u32 s4, s20, s22
	s_addc_u32 s7, s21, s23
	v_add_co_u32 v4, vcc_lo, s4, v4
	s_delay_alu instid0(VALU_DEP_2) | instskip(NEXT) | instid1(VALU_DEP_2)
	v_add_co_ci_u32_e32 v5, vcc_lo, s7, v5, vcc_lo
	v_add_co_u32 v4, vcc_lo, v4, v2
	s_delay_alu instid0(VALU_DEP_2) | instskip(SKIP_3) | instid1(VALU_DEP_1)
	v_add_co_ci_u32_e32 v5, vcc_lo, 0, v5, vcc_lo
	v_lshlrev_b32_e32 v2, 10, v73
	global_load_b128 v[4:7], v[4:5], off
	v_and_b32_e32 v2, 0x3800, v2
	v_or3_b32 v3, v2, v8, v3
	v_mov_b32_e32 v2, 0
	s_waitcnt vmcnt(0)
	ds_store_b128 v3, v[4:7]
.LBB502_12:
	s_or_b32 exec_lo, exec_lo, s3
	v_and_b32_e32 v3, 0xef, v0
	s_add_i32 s3, s18, 31
	s_clause 0x1
	s_load_b32 s4, s[0:1], 0x38
	s_load_b32 s19, s[0:1], 0x1c
	s_ashr_i32 s7, s3, 31
	v_add_nc_u32_e32 v3, s16, v3
	s_lshr_b32 s7, s7, 27
	s_waitcnt lgkmcnt(0)
	s_add_i32 s3, s3, s7
	s_barrier
	v_ashrrev_i32_e32 v4, 31, v3
	v_cmp_gt_i32_e32 vcc_lo, s18, v3
	s_ashr_i32 s3, s3, 5
	buffer_gl0_inv
	s_add_i32 s3, s3, -1
	v_lshrrev_b32_e32 v5, 27, v4
	v_or_b32_e32 v4, 16, v3
	s_mul_i32 s6, s15, s6
	v_lshlrev_b64 v[81:82], 1, v[1:2]
	s_delay_alu instid0(VALU_DEP_3) | instskip(NEXT) | instid1(VALU_DEP_3)
	v_add_nc_u32_e32 v6, v3, v5
	v_add_nc_u32_e32 v5, v4, v5
	s_mul_i32 s20, s34, s4
	s_delay_alu instid0(SALU_CYCLE_1) | instskip(NEXT) | instid1(VALU_DEP_2)
	s_ashr_i32 s21, s20, 31
	v_ashrrev_i32_e32 v6, 5, v6
	s_delay_alu instid0(VALU_DEP_2) | instskip(SKIP_1) | instid1(SALU_CYCLE_1)
	v_ashrrev_i32_e32 v5, 5, v5
	s_lshl_b64 s[20:21], s[20:21], 2
	s_add_u32 s4, s12, s20
	s_delay_alu instid0(VALU_DEP_2) | instskip(SKIP_3) | instid1(SALU_CYCLE_1)
	v_cndmask_b32_e32 v3, s3, v6, vcc_lo
	v_cmp_gt_i32_e32 vcc_lo, s18, v4
	s_addc_u32 s17, s13, s21
	s_ashr_i32 s7, s6, 31
	s_lshl_b64 s[6:7], s[6:7], 1
	v_cndmask_b32_e32 v5, s3, v5, vcc_lo
	v_ashrrev_i32_e32 v4, 31, v3
	s_add_u32 s15, s8, s6
	s_addc_u32 s28, s9, s7
	s_lshl_b32 s8, s14, 3
	v_ashrrev_i32_e32 v6, 31, v5
	v_lshlrev_b64 v[3:4], 2, v[3:4]
	s_ashr_i32 s9, s8, 31
	s_delay_alu instid0(SALU_CYCLE_1) | instskip(NEXT) | instid1(VALU_DEP_2)
	s_lshl_b64 s[8:9], s[8:9], 2
	v_lshlrev_b64 v[5:6], 2, v[5:6]
	s_add_u32 s8, s4, s8
	s_delay_alu instid0(VALU_DEP_2) | instskip(SKIP_1) | instid1(VALU_DEP_3)
	v_add_co_u32 v3, vcc_lo, s4, v3
	v_add_co_ci_u32_e32 v4, vcc_lo, s17, v4, vcc_lo
	v_add_co_u32 v5, vcc_lo, s4, v5
	s_delay_alu instid0(VALU_DEP_4)
	v_add_co_ci_u32_e32 v6, vcc_lo, s17, v6, vcc_lo
	s_addc_u32 s9, s17, s9
	s_clause 0x1
	global_load_b32 v7, v[3:4], off
	global_load_b32 v8, v[5:6], off
	s_or_b32 s12, s16, 32
	s_delay_alu instid0(SALU_CYCLE_1) | instskip(SKIP_2) | instid1(SALU_CYCLE_1)
	s_ashr_i32 s13, s12, 5
	s_cmp_lt_i32 s12, s18
	s_cselect_b32 s12, s13, s3
	s_ashr_i32 s13, s12, 31
	s_delay_alu instid0(SALU_CYCLE_1) | instskip(NEXT) | instid1(SALU_CYCLE_1)
	s_lshl_b64 s[12:13], s[12:13], 2
	s_add_u32 s12, s4, s12
	s_addc_u32 s13, s17, s13
	s_or_b32 s20, s16, 64
	s_delay_alu instid0(SALU_CYCLE_1) | instskip(SKIP_2) | instid1(SALU_CYCLE_1)
	s_ashr_i32 s21, s20, 5
	s_cmp_lt_i32 s20, s18
	s_cselect_b32 s20, s21, s3
	s_ashr_i32 s21, s20, 31
	s_delay_alu instid0(SALU_CYCLE_1) | instskip(NEXT) | instid1(SALU_CYCLE_1)
	s_lshl_b64 s[20:21], s[20:21], 2
	s_add_u32 s20, s4, s20
	s_addc_u32 s21, s17, s21
	;; [unrolled: 10-line block ×5, first 2 shown]
	s_clause 0x5
	s_load_b32 s29, s[8:9], 0x0
	s_load_b32 s30, s[12:13], 0x0
	s_load_b32 s33, s[20:21], 0x0
	s_load_b32 s35, s[22:23], 0x0
	s_load_b32 s36, s[24:25], 0x0
	s_load_b32 s38, s[26:27], 0x0
	s_or_b32 s8, s16, 0xc0
	s_mov_b32 s20, 0
	s_ashr_i32 s9, s8, 5
	s_cmp_lt_i32 s8, s18
	s_mov_b32 s27, s20
	s_cselect_b32 s8, s9, s3
	s_mov_b32 s21, s20
	s_ashr_i32 s9, s8, 31
	s_mov_b32 s22, s20
	s_lshl_b64 s[8:9], s[8:9], 2
	s_mov_b32 s23, s20
	s_add_u32 s8, s4, s8
	s_mov_b32 s24, s20
	s_mov_b32 s25, s20
	;; [unrolled: 1-line block ×3, first 2 shown]
	s_addc_u32 s9, s17, s9
	v_mov_b32_e32 v117, s27
	v_dual_mov_b32 v110, s20 :: v_dual_lshlrev_b32 v85, 6, v73
	v_dual_mov_b32 v116, s26 :: v_dual_mov_b32 v115, s25
	v_dual_mov_b32 v114, s24 :: v_dual_mov_b32 v113, s23
	;; [unrolled: 1-line block ×3, first 2 shown]
	s_waitcnt lgkmcnt(0)
	s_mul_hi_i32 s13, s29, s5
	s_mul_i32 s12, s29, s5
	v_lshl_or_b32 v58, v74, 10, v85
	s_mul_hi_i32 s21, s30, s5
	s_mul_i32 s20, s30, s5
	s_mul_hi_i32 s25, s33, s5
	s_mul_i32 s24, s33, s5
	;; [unrolled: 2-line block ×3, first 2 shown]
	s_mul_hi_i32 s37, s38, s5
	s_waitcnt vmcnt(1)
	v_mad_i64_i32 v[3:4], null, v7, s5, 0
	s_waitcnt vmcnt(0)
	v_mad_i64_i32 v[5:6], null, v8, s5, 0
	s_delay_alu instid0(VALU_DEP_2) | instskip(NEXT) | instid1(VALU_DEP_2)
	v_lshlrev_b64 v[3:4], 1, v[3:4]
	v_lshlrev_b64 v[1:2], 1, v[5:6]
	s_delay_alu instid0(VALU_DEP_2) | instskip(NEXT) | instid1(VALU_DEP_3)
	v_add_co_u32 v3, vcc_lo, s15, v3
	v_add_co_ci_u32_e32 v4, vcc_lo, s28, v4, vcc_lo
	s_delay_alu instid0(VALU_DEP_3) | instskip(NEXT) | instid1(VALU_DEP_4)
	v_add_co_u32 v1, vcc_lo, s15, v1
	v_add_co_ci_u32_e32 v2, vcc_lo, s28, v2, vcc_lo
	s_delay_alu instid0(VALU_DEP_4) | instskip(NEXT) | instid1(VALU_DEP_4)
	v_add_co_u32 v41, vcc_lo, v3, v81
	v_add_co_ci_u32_e32 v42, vcc_lo, v4, v82, vcc_lo
	s_delay_alu instid0(VALU_DEP_4) | instskip(NEXT) | instid1(VALU_DEP_4)
	v_add_co_u32 v43, vcc_lo, v1, v81
	v_add_co_ci_u32_e32 v44, vcc_lo, v2, v82, vcc_lo
	s_clause 0xf
	global_load_b128 v[1:4], v[41:42], off
	global_load_b128 v[5:8], v[41:42], off offset:512
	global_load_b128 v[9:12], v[43:44], off offset:256
	;; [unrolled: 1-line block ×15, first 2 shown]
	v_mul_lo_u16 v41, v73, 52
	s_or_b32 s15, s16, 0xe0
	s_delay_alu instid0(SALU_CYCLE_1) | instskip(SKIP_1) | instid1(VALU_DEP_1)
	s_ashr_i32 s22, s15, 5
	s_cmp_lt_i32 s15, s18
	v_lshrrev_b16 v41, 8, v41
	s_cselect_b32 s22, s22, s3
	s_delay_alu instid0(SALU_CYCLE_1) | instskip(NEXT) | instid1(VALU_DEP_1)
	s_ashr_i32 s23, s22, 31
	v_mul_lo_u16 v41, v41, 5
	s_lshl_b64 s[22:23], s[22:23], 2
	s_delay_alu instid0(SALU_CYCLE_1) | instskip(SKIP_1) | instid1(VALU_DEP_1)
	s_add_u32 s22, s4, s22
	s_addc_u32 s23, s17, s23
	v_sub_nc_u16 v41, v73, v41
	s_add_i32 s15, s16, 0x100
	s_delay_alu instid0(SALU_CYCLE_1) | instskip(SKIP_1) | instid1(VALU_DEP_1)
	s_ashr_i32 s28, s15, 5
	s_cmp_lt_i32 s15, s18
	v_and_b32_e32 v41, 0xff, v41
	s_cselect_b32 s28, s28, s3
	s_delay_alu instid0(SALU_CYCLE_1) | instskip(NEXT) | instid1(VALU_DEP_1)
	s_ashr_i32 s29, s28, 31
	v_lshlrev_b32_e32 v57, 6, v41
	ds_load_b128 v[41:44], v57
	ds_load_b128 v[45:48], v57 offset:1024
	ds_load_b128 v[49:52], v57 offset:2048
	ds_load_b128 v[53:56], v57 offset:3072
	ds_load_b128 v[118:121], v57 offset:4096
	ds_load_b128 v[122:125], v57 offset:5120
	ds_load_b128 v[126:129], v57 offset:6144
	ds_load_b128 v[130:133], v57 offset:7168
	s_lshl_b64 s[28:29], s[28:29], 2
	s_load_b32 s15, s[8:9], 0x0
	s_add_u32 s28, s4, s28
	s_addc_u32 s29, s17, s29
	s_add_u32 s3, s10, s6
	s_clause 0x1
	s_load_b32 s4, s[22:23], 0x0
	s_load_b32 s17, s[28:29], 0x0
	s_addc_u32 s28, s11, s7
	v_add_co_u32 v76, s3, s3, v58
	s_delay_alu instid0(VALU_DEP_1) | instskip(SKIP_2) | instid1(VALU_DEP_2)
	v_add_co_ci_u32_e64 v77, null, s28, 0, s3
	s_lshl_b64 s[6:7], s[12:13], 1
	s_lshl_b64 s[10:11], s[20:21], 1
	v_add_co_u32 v57, vcc_lo, v76, s6
	s_delay_alu instid0(VALU_DEP_2)
	v_add_co_ci_u32_e32 v58, vcc_lo, s7, v77, vcc_lo
	s_lshl_b64 s[12:13], s[24:25], 1
	s_lshl_b64 s[20:21], s[26:27], 1
	s_mul_hi_i32 s9, s36, s5
	s_mul_i32 s8, s36, s5
	s_mul_i32 s36, s38, s5
	s_lshl_b64 s[8:9], s[8:9], 1
	s_lshl_b64 s[22:23], s[36:37], 1
	s_waitcnt lgkmcnt(0)
	s_mul_hi_i32 s25, s15, s5
	s_mul_i32 s24, s15, s5
	s_clause 0x1
	global_load_b128 v[65:68], v[57:58], off
	global_load_b128 v[69:72], v[57:58], off offset:16
	s_lshl_b64 s[6:7], s[24:25], 1
	s_waitcnt vmcnt(16)
	v_wmma_f32_16x16x16_bf16 v[134:141], v[1:8], v[41:48], v[110:117]
	v_add_co_u32 v1, vcc_lo, v76, s10
	v_add_co_ci_u32_e32 v2, vcc_lo, s11, v77, vcc_lo
	s_waitcnt vmcnt(12)
	s_delay_alu instid0(VALU_DEP_3) | instskip(SKIP_3) | instid1(VALU_DEP_3)
	v_wmma_f32_16x16x16_bf16 v[134:141], v[17:24], v[49:56], v[134:141]
	v_add_co_u32 v3, vcc_lo, v76, s12
	v_add_co_ci_u32_e32 v4, vcc_lo, s13, v77, vcc_lo
	s_waitcnt vmcnt(8)
	v_wmma_f32_16x16x16_bf16 v[134:141], v[33:40], v[118:125], v[134:141]
	v_add_co_u32 v5, vcc_lo, v76, s20
	v_add_co_ci_u32_e32 v6, vcc_lo, s21, v77, vcc_lo
	s_waitcnt vmcnt(4)
	s_delay_alu instid0(VALU_DEP_3) | instskip(SKIP_2) | instid1(VALU_DEP_3)
	v_wmma_f32_16x16x16_bf16 v[134:141], v[94:101], v[126:133], v[134:141]
	v_add_co_u32 v7, vcc_lo, v76, s8
	v_add_co_ci_u32_e32 v8, vcc_lo, s9, v77, vcc_lo
	v_mul_f32_e32 v100, s19, v141
	v_wmma_f32_16x16x16_bf16 v[110:117], v[9:16], v[41:48], v[110:117]
	s_clause 0x1
	global_load_b128 v[57:60], v[1:2], off
	global_load_b128 v[61:64], v[1:2], off offset:16
	s_mul_hi_i32 s9, s4, s5
	s_mul_i32 s8, s4, s5
	v_wmma_f32_16x16x16_bf16 v[110:117], v[25:32], v[49:56], v[110:117]
	s_clause 0x5
	global_load_b128 v[49:52], v[3:4], off
	global_load_b128 v[53:56], v[3:4], off offset:16
	global_load_b128 v[41:44], v[5:6], off
	global_load_b128 v[45:48], v[5:6], off offset:16
	;; [unrolled: 2-line block ×3, first 2 shown]
	v_add_co_u32 v5, vcc_lo, v76, s22
	v_add_co_ci_u32_e32 v6, vcc_lo, s23, v77, vcc_lo
	v_add_co_u32 v17, vcc_lo, v76, s6
	v_add_co_ci_u32_e32 v18, vcc_lo, s7, v77, vcc_lo
	s_lshl_b64 s[6:7], s[8:9], 1
	s_mul_hi_i32 s9, s17, s5
	s_mul_i32 s8, s17, s5
	v_add_co_u32 v19, vcc_lo, v76, s6
	s_lshl_b64 s[4:5], s[8:9], 1
	v_add_co_ci_u32_e32 v20, vcc_lo, s7, v77, vcc_lo
	v_add_co_u32 v21, vcc_lo, v76, s4
	v_add_co_ci_u32_e32 v22, vcc_lo, s5, v77, vcc_lo
	s_clause 0x7
	global_load_b128 v[1:4], v[5:6], off
	global_load_b128 v[5:8], v[5:6], off offset:16
	global_load_b128 v[33:36], v[17:18], off
	global_load_b128 v[37:40], v[17:18], off offset:16
	;; [unrolled: 2-line block ×4, first 2 shown]
	v_and_b32_e32 v76, 0xe0, v0
	v_mbcnt_lo_u32_b32 v77, -1, 0
	v_wmma_f32_16x16x16_bf16 v[110:117], v[86:93], v[118:125], v[110:117]
	s_waitcnt vmcnt(0)
	s_barrier
	v_add_nc_u32_e32 v76, s16, v76
	v_xor_b32_e32 v78, 16, v77
	v_wmma_f32_16x16x16_bf16 v[110:117], v[102:109], v[126:133], v[110:117]
	v_mul_f32_e32 v97, s19, v134
	v_mul_f32_e32 v99, s19, v135
	v_or_b32_e32 v76, v76, v83
	v_cmp_gt_i32_e32 vcc_lo, 32, v78
	buffer_gl0_inv
	v_or_b32_e32 v79, 4, v76
	v_cndmask_b32_e32 v77, v77, v78, vcc_lo
	v_or_b32_e32 v78, 2, v76
	v_or_b32_e32 v80, 6, v76
	;; [unrolled: 1-line block ×3, first 2 shown]
	v_cmp_gt_i32_e32 vcc_lo, s18, v76
	v_or_b32_e32 v87, 10, v76
	v_cmp_gt_i32_e64 s3, s18, v78
	v_or_b32_e32 v88, 12, v76
	v_or_b32_e32 v89, 14, v76
	;; [unrolled: 1-line block ×10, first 2 shown]
	v_cndmask_b32_e64 v78, 0xff7fffff, v99, s3
	v_mul_f32_e32 v99, s19, v137
	v_cmp_gt_i32_e64 s4, s18, v80
	v_mul_f32_e32 v80, s19, v136
	v_cmp_gt_i32_e64 s5, s18, v79
	v_cmp_gt_i32_e64 s6, s18, v86
	v_mul_f32_e32 v86, s19, v116
	v_cndmask_b32_e32 v76, 0xff7fffff, v97, vcc_lo
	v_mul_f32_e32 v79, s19, v139
	v_cndmask_b32_e64 v80, 0xff7fffff, v80, s5
	v_cndmask_b32_e64 v99, 0xff7fffff, v99, s4
	v_cmp_gt_i32_e64 s7, s18, v87
	v_max3_f32 v76, v76, 0xff7fffff, v78
	v_dual_mul_f32 v78, s19, v138 :: v_dual_mul_f32 v97, s19, v140
	v_cmp_gt_i32_e64 s8, s18, v89
	s_delay_alu instid0(VALU_DEP_4) | instskip(NEXT) | instid1(VALU_DEP_4)
	v_cndmask_b32_e64 v79, 0xff7fffff, v79, s7
	v_max3_f32 v76, v76, v80, v99
	s_delay_alu instid0(VALU_DEP_4) | instskip(SKIP_3) | instid1(VALU_DEP_4)
	v_cndmask_b32_e64 v78, 0xff7fffff, v78, s6
	v_cmp_gt_i32_e64 s9, s18, v88
	v_dual_mul_f32 v88, s19, v111 :: v_dual_mul_f32 v89, s19, v110
	v_cndmask_b32_e64 v100, 0xff7fffff, v100, s8
	v_max3_f32 v76, v76, v78, v79
	s_delay_alu instid0(VALU_DEP_4) | instskip(SKIP_3) | instid1(VALU_DEP_4)
	v_cndmask_b32_e64 v97, 0xff7fffff, v97, s9
	v_cmp_gt_i32_e64 s10, s18, v90
	v_cmp_gt_i32_e64 s11, s18, v91
	v_dual_mul_f32 v78, s19, v113 :: v_dual_mul_f32 v79, s19, v112
	v_max3_f32 v76, v76, v97, v100
	s_delay_alu instid0(VALU_DEP_4) | instskip(NEXT) | instid1(VALU_DEP_4)
	v_cndmask_b32_e64 v89, 0xff7fffff, v89, s10
	v_cndmask_b32_e64 v88, 0xff7fffff, v88, s11
	v_cmp_gt_i32_e64 s12, s18, v92
	v_cmp_gt_i32_e64 s13, s18, v93
	v_mul_f32_e32 v87, s19, v115
	v_mul_f32_e32 v99, s19, v114
	v_max3_f32 v76, v76, v89, v88
	v_cndmask_b32_e64 v79, 0xff7fffff, v79, s12
	v_cndmask_b32_e64 v78, 0xff7fffff, v78, s13
	v_cmp_gt_i32_e64 s15, s18, v94
	v_cmp_gt_i32_e64 s16, s18, v95
	v_mul_f32_e32 v80, s19, v117
	v_cmp_gt_i32_e64 s17, s18, v96
	v_max3_f32 v76, v76, v79, v78
	v_cndmask_b32_e64 v88, 0xff7fffff, v99, s15
	v_cndmask_b32_e64 v87, 0xff7fffff, v87, s16
	v_cmp_gt_i32_e64 s18, s18, v98
	v_cndmask_b32_e64 v78, 0xff7fffff, v86, s17
	v_lshlrev_b32_e32 v99, 2, v77
	s_delay_alu instid0(VALU_DEP_4) | instskip(NEXT) | instid1(VALU_DEP_4)
	v_max3_f32 v76, v76, v88, v87
	v_cndmask_b32_e64 v79, 0xff7fffff, v80, s18
	s_delay_alu instid0(VALU_DEP_1) | instskip(SKIP_3) | instid1(VALU_DEP_1)
	v_max3_f32 v76, v76, v78, v79
	ds_bpermute_b32 v77, v99, v76
	s_waitcnt lgkmcnt(0)
	v_max_f32_e32 v77, v77, v77
	v_max_f32_e32 v76, v76, v77
	s_delay_alu instid0(VALU_DEP_1)
	v_fma_f32 v86, s19, v138, -v76
	v_fma_f32 v77, s19, v134, -v76
	;; [unrolled: 1-line block ×5, first 2 shown]
	v_mul_f32_e32 v86, 0x3fb8aa3b, v86
	v_fma_f32 v88, s19, v114, -v76
	s_delay_alu instid0(VALU_DEP_4) | instskip(NEXT) | instid1(VALU_DEP_4)
	v_dual_mul_f32 v78, 0x3fb8aa3b, v78 :: v_dual_mul_f32 v79, 0x3fb8aa3b, v79
	v_mul_f32_e32 v80, 0x3fb8aa3b, v80
	s_delay_alu instid0(VALU_DEP_4) | instskip(SKIP_1) | instid1(VALU_DEP_3)
	v_exp_f32_e32 v86, v86
	v_fma_f32 v87, s19, v140, -v76
	v_exp_f32_e32 v78, v78
	v_exp_f32_e32 v79, v79
	;; [unrolled: 1-line block ×3, first 2 shown]
	s_delay_alu instid0(VALU_DEP_1)
	v_dual_mul_f32 v88, 0x3fb8aa3b, v88 :: v_dual_mul_f32 v87, 0x3fb8aa3b, v87
	v_fma_f32 v100, s19, v117, -v76
	v_fma_f32 v90, s19, v116, -v76
	v_cndmask_b32_e64 v96, 0, v86, s6
	v_fma_f32 v86, s19, v111, -v76
	v_mul_f32_e32 v77, 0x3fb8aa3b, v77
	s_delay_alu instid0(TRANS32_DEP_3) | instskip(NEXT) | instid1(TRANS32_DEP_2)
	v_cndmask_b32_e64 v91, 0, v78, s3
	v_cndmask_b32_e64 v93, 0, v79, s5
	s_delay_alu instid0(TRANS32_DEP_1)
	v_cndmask_b32_e64 v95, 0, v80, s4
	v_mul_f32_e32 v86, 0x3fb8aa3b, v86
	v_exp_f32_e32 v77, v77
	v_fma_f32 v79, s19, v141, -v76
	v_fma_f32 v80, s19, v110, -v76
	v_exp_f32_e32 v87, v87
	v_exp_f32_e32 v86, v86
	s_delay_alu instid0(VALU_DEP_2) | instskip(NEXT) | instid1(VALU_DEP_2)
	v_dual_mul_f32 v100, 0x3fb8aa3b, v100 :: v_dual_mul_f32 v79, 0x3fb8aa3b, v79
	v_mul_f32_e32 v80, 0x3fb8aa3b, v80
	v_exp_f32_e32 v88, v88
	v_cmp_gt_u32_e64 s3, 16, v75
	v_cndmask_b32_e32 v92, 0, v77, vcc_lo
	v_fma_f32 v77, s19, v139, -v76
	v_exp_f32_e32 v79, v79
	v_exp_f32_e32 v80, v80
	v_cndmask_b32_e64 v94, 0, v87, s9
	s_delay_alu instid0(VALU_DEP_2) | instskip(SKIP_2) | instid1(VALU_DEP_2)
	v_dual_add_f32 v78, 0, v92 :: v_dual_mul_f32 v77, 0x3fb8aa3b, v77
	v_fma_f32 v87, s19, v113, -v76
	v_exp_f32_e32 v100, v100
	v_add_f32_e32 v78, v78, v91
	s_delay_alu instid0(VALU_DEP_3) | instskip(SKIP_1) | instid1(VALU_DEP_2)
	v_exp_f32_e32 v77, v77
	v_cndmask_b32_e64 v98, 0, v79, s8
	v_dual_mul_f32 v87, 0x3fb8aa3b, v87 :: v_dual_add_f32 v78, v78, v93
	s_delay_alu instid0(VALU_DEP_1) | instskip(NEXT) | instid1(VALU_DEP_1)
	v_exp_f32_e32 v87, v87
	v_add_f32_e32 v78, v78, v95
	s_waitcnt_depctr 0xfff
	v_cndmask_b32_e64 v97, 0, v77, s7
	v_add_f32_e32 v77, v78, v96
	v_fma_f32 v78, s19, v112, -v76
	s_delay_alu instid0(VALU_DEP_1) | instskip(NEXT) | instid1(VALU_DEP_1)
	v_mul_f32_e32 v78, 0x3fb8aa3b, v78
	v_exp_f32_e32 v89, v78
	v_cndmask_b32_e64 v78, 0, v86, s11
	v_add_f32_e32 v77, v77, v97
	s_delay_alu instid0(VALU_DEP_1) | instskip(SKIP_2) | instid1(VALU_DEP_1)
	v_add_f32_e32 v79, v77, v94
	v_cndmask_b32_e64 v77, 0, v80, s10
	v_fma_f32 v80, s19, v115, -v76
	v_dual_add_f32 v79, v79, v98 :: v_dual_mul_f32 v80, 0x3fb8aa3b, v80
	s_delay_alu instid0(VALU_DEP_1) | instskip(NEXT) | instid1(TRANS32_DEP_1)
	v_add_f32_e32 v86, v79, v77
	v_cndmask_b32_e64 v79, 0, v89, s12
	v_mul_f32_e32 v89, 0x3fb8aa3b, v90
	s_delay_alu instid0(VALU_DEP_4) | instskip(SKIP_2) | instid1(VALU_DEP_3)
	v_exp_f32_e32 v90, v80
	v_cndmask_b32_e64 v80, 0, v87, s13
	v_add_f32_e32 v86, v86, v78
	v_exp_f32_e32 v89, v89
	s_delay_alu instid0(VALU_DEP_1) | instskip(SKIP_1) | instid1(VALU_DEP_2)
	v_add_f32_e32 v87, v86, v79
	v_cndmask_b32_e64 v86, 0, v88, s15
	v_add_f32_e32 v88, v87, v80
	s_delay_alu instid0(TRANS32_DEP_2) | instskip(NEXT) | instid1(VALU_DEP_2)
	v_cndmask_b32_e64 v87, 0, v90, s16
	v_add_f32_e32 v90, v88, v86
	s_waitcnt_depctr 0xfff
	v_cndmask_b32_e64 v88, 0, v89, s17
	v_add_f32_e32 v89, v90, v87
	s_delay_alu instid0(VALU_DEP_1) | instskip(SKIP_1) | instid1(VALU_DEP_1)
	v_add_f32_e32 v90, v89, v88
	v_cndmask_b32_e64 v89, 0, v100, s18
	v_add_f32_e32 v90, v90, v89
	ds_bpermute_b32 v99, v99, v90
	s_and_saveexec_b32 s4, s3
	s_cbranch_execz .LBB502_14
; %bb.13:
	v_mul_u32_u24_e32 v75, 0x44, v74
	s_waitcnt lgkmcnt(0)
	v_add_f32_e32 v90, v90, v99
	s_delay_alu instid0(VALU_DEP_2) | instskip(NEXT) | instid1(VALU_DEP_1)
	v_lshl_add_u32 v75, v73, 2, v75
	v_add_nc_u32_e32 v75, 0x4000, v75
	ds_store_2addr_b32 v75, v76, v90 offset1:136
.LBB502_14:
	s_or_b32 exec_lo, exec_lo, s4
	v_lshlrev_b32_e32 v75, 2, v73
	s_waitcnt lgkmcnt(0)
	s_barrier
	buffer_gl0_inv
	v_cmp_eq_u32_e64 s4, 1, v74
	v_add_nc_u32_e32 v90, 0x4000, v75
	ds_load_2addr_b32 v[99:100], v90 offset1:17
	ds_load_2addr_b32 v[101:102], v90 offset0:34 offset1:51
	ds_load_2addr_b32 v[103:104], v90 offset0:68 offset1:85
	;; [unrolled: 1-line block ×4, first 2 shown]
	s_waitcnt lgkmcnt(4)
	v_max3_f32 v75, v99, 0xff7fffff, v100
	s_waitcnt lgkmcnt(3)
	s_delay_alu instid0(VALU_DEP_1) | instskip(SKIP_1) | instid1(VALU_DEP_1)
	v_max3_f32 v75, v75, v101, v102
	s_waitcnt lgkmcnt(2)
	v_max3_f32 v75, v75, v103, v104
	s_waitcnt lgkmcnt(1)
	s_delay_alu instid0(VALU_DEP_1) | instskip(NEXT) | instid1(VALU_DEP_1)
	v_max3_f32 v75, v75, v105, v106
	v_sub_f32_e32 v109, v100, v75
	v_sub_f32_e32 v76, v99, v75
	ds_load_2addr_b32 v[99:100], v90 offset0:170 offset1:187
	v_sub_f32_e32 v101, v101, v75
	v_dual_mul_f32 v109, 0x3fb8aa3b, v109 :: v_dual_mul_f32 v76, 0x3fb8aa3b, v76
	s_delay_alu instid0(VALU_DEP_2) | instskip(NEXT) | instid1(VALU_DEP_2)
	v_mul_f32_e32 v111, 0x3fb8aa3b, v101
	v_exp_f32_e32 v109, v109
	s_delay_alu instid0(VALU_DEP_2)
	v_exp_f32_e32 v110, v76
	v_sub_f32_e32 v76, v102, v75
	ds_load_2addr_b32 v[101:102], v90 offset0:204 offset1:221
	v_exp_f32_e32 v111, v111
	v_mul_f32_e32 v112, 0x3fb8aa3b, v76
	s_waitcnt lgkmcnt(2)
	v_fma_f32 v76, v110, v107, 0
	v_sub_f32_e32 v103, v103, v75
	s_delay_alu instid0(VALU_DEP_3) | instskip(NEXT) | instid1(VALU_DEP_2)
	v_exp_f32_e32 v112, v112
	v_dual_sub_f32 v107, v104, v75 :: v_dual_fmac_f32 v76, v109, v108
	s_waitcnt lgkmcnt(1)
	s_waitcnt_depctr 0xfff
	v_fmac_f32_e32 v76, v111, v99
	v_mul_f32_e32 v113, 0x3fb8aa3b, v103
	ds_load_2addr_b32 v[103:104], v90 offset0:238 offset1:255
	v_sub_f32_e32 v90, v105, v75
	v_dual_sub_f32 v99, v106, v75 :: v_dual_fmac_f32 v76, v112, v100
	v_mul_f32_e32 v105, 0x3fb8aa3b, v107
	v_exp_f32_e32 v107, v113
	s_delay_alu instid0(VALU_DEP_2)
	v_dual_mul_f32 v90, 0x3fb8aa3b, v90 :: v_dual_mul_f32 v99, 0x3fb8aa3b, v99
	s_waitcnt lgkmcnt(0)
	s_barrier
	buffer_gl0_inv
	v_exp_f32_e32 v90, v90
	v_exp_f32_e32 v99, v99
	v_fmac_f32_e32 v76, v107, v101
	v_exp_f32_e32 v105, v105
	s_waitcnt_depctr 0xfff
	v_fmac_f32_e32 v76, v105, v102
	s_delay_alu instid0(VALU_DEP_1) | instskip(NEXT) | instid1(VALU_DEP_1)
	v_fmac_f32_e32 v76, v90, v103
	v_fmac_f32_e32 v76, v99, v104
	s_delay_alu instid0(VALU_DEP_1) | instskip(NEXT) | instid1(VALU_DEP_1)
	v_add_f32_e32 v100, 0x358637bd, v76
	v_div_scale_f32 v101, null, v100, v100, 1.0
	v_div_scale_f32 v104, vcc_lo, 1.0, v100, 1.0
	s_delay_alu instid0(VALU_DEP_2) | instskip(SKIP_2) | instid1(VALU_DEP_1)
	v_rcp_f32_e32 v102, v101
	s_waitcnt_depctr 0xfff
	v_fma_f32 v103, -v101, v102, 1.0
	v_fmac_f32_e32 v102, v103, v102
	v_cndmask_b32_e64 v103, v110, v109, s4
	v_cmp_eq_u32_e64 s4, 2, v74
	s_delay_alu instid0(VALU_DEP_3) | instskip(NEXT) | instid1(VALU_DEP_2)
	v_mul_f32_e32 v106, v104, v102
	v_cndmask_b32_e64 v103, v103, v111, s4
	v_cmp_eq_u32_e64 s4, 3, v74
	s_delay_alu instid0(VALU_DEP_3) | instskip(NEXT) | instid1(VALU_DEP_2)
	v_fma_f32 v108, -v101, v106, v104
	v_cndmask_b32_e64 v103, v103, v112, s4
	v_cmp_eq_u32_e64 s4, 4, v74
	s_delay_alu instid0(VALU_DEP_3) | instskip(NEXT) | instid1(VALU_DEP_2)
	v_fmac_f32_e32 v106, v108, v102
	v_cndmask_b32_e64 v103, v103, v107, s4
	s_delay_alu instid0(VALU_DEP_2) | instskip(SKIP_1) | instid1(VALU_DEP_2)
	v_fma_f32 v101, -v101, v106, v104
	v_cmp_eq_u32_e64 s4, 5, v74
	v_div_fmas_f32 v101, v101, v102, v106
	s_delay_alu instid0(VALU_DEP_2) | instskip(SKIP_2) | instid1(VALU_DEP_3)
	v_cndmask_b32_e64 v103, v103, v105, s4
	v_cmp_eq_u32_e32 vcc_lo, 6, v74
	s_mov_b32 s4, exec_lo
	v_div_fixup_f32 v100, v101, v100, 1.0
	s_delay_alu instid0(VALU_DEP_3) | instskip(SKIP_1) | instid1(VALU_DEP_2)
	v_cndmask_b32_e32 v90, v103, v90, vcc_lo
	v_cmp_eq_u32_e32 vcc_lo, 7, v74
	v_cndmask_b32_e32 v90, v90, v99, vcc_lo
	s_delay_alu instid0(VALU_DEP_1) | instskip(NEXT) | instid1(VALU_DEP_1)
	v_mul_f32_e32 v90, v90, v100
	v_mul_f32_e32 v100, v90, v92
	;; [unrolled: 1-line block ×6, first 2 shown]
	v_and_b32_e32 v101, 0x7f800000, v100
	v_mul_f32_e32 v99, v90, v95
	v_mul_f32_e32 v95, v90, v91
	;; [unrolled: 1-line block ×3, first 2 shown]
                                        ; implicit-def: $vgpr91
	s_delay_alu instid0(VALU_DEP_4)
	v_cmpx_ne_u32_e32 0x7f800000, v101
	s_xor_b32 s4, exec_lo, s4
; %bb.15:
	v_bfe_u32 v91, v100, 16, 1
	s_delay_alu instid0(VALU_DEP_1)
	v_add3_u32 v91, v100, v91, 0x7fff
                                        ; implicit-def: $vgpr100
; %bb.16:
	s_and_not1_saveexec_b32 s4, s4
; %bb.17:
	v_and_b32_e32 v91, 0xffff, v100
	v_or_b32_e32 v93, 0x10000, v100
	s_delay_alu instid0(VALU_DEP_2) | instskip(NEXT) | instid1(VALU_DEP_2)
	v_cmp_eq_u32_e32 vcc_lo, 0, v91
	v_cndmask_b32_e32 v91, v93, v100, vcc_lo
; %bb.18:
	s_or_b32 exec_lo, exec_lo, s4
	v_and_b32_e32 v93, 0x7f800000, v95
	s_delay_alu instid0(VALU_DEP_1) | instskip(SKIP_1) | instid1(SALU_CYCLE_1)
	v_cmp_ne_u32_e32 vcc_lo, 0x7f800000, v93
                                        ; implicit-def: $vgpr93
	s_and_saveexec_b32 s4, vcc_lo
	s_xor_b32 s4, exec_lo, s4
; %bb.19:
	v_bfe_u32 v93, v95, 16, 1
	s_delay_alu instid0(VALU_DEP_1)
	v_add3_u32 v93, v95, v93, 0x7fff
                                        ; implicit-def: $vgpr95
; %bb.20:
	s_and_not1_saveexec_b32 s4, s4
; %bb.21:
	v_and_b32_e32 v93, 0xffff, v95
	v_or_b32_e32 v100, 0x10000, v95
	s_delay_alu instid0(VALU_DEP_2) | instskip(NEXT) | instid1(VALU_DEP_2)
	v_cmp_eq_u32_e32 vcc_lo, 0, v93
	v_cndmask_b32_e32 v93, v100, v95, vcc_lo
; %bb.22:
	s_or_b32 exec_lo, exec_lo, s4
	v_and_b32_e32 v95, 0x7f800000, v96
	s_delay_alu instid0(VALU_DEP_1) | instskip(SKIP_1) | instid1(SALU_CYCLE_1)
	v_cmp_ne_u32_e32 vcc_lo, 0x7f800000, v95
                                        ; implicit-def: $vgpr95
	s_and_saveexec_b32 s4, vcc_lo
	s_xor_b32 s4, exec_lo, s4
; %bb.23:
	v_bfe_u32 v95, v96, 16, 1
	s_delay_alu instid0(VALU_DEP_1)
	v_add3_u32 v95, v96, v95, 0x7fff
                                        ; implicit-def: $vgpr96
; %bb.24:
	s_and_not1_saveexec_b32 s4, s4
; %bb.25:
	v_and_b32_e32 v95, 0xffff, v96
	v_or_b32_e32 v100, 0x10000, v96
	s_delay_alu instid0(VALU_DEP_2) | instskip(NEXT) | instid1(VALU_DEP_2)
	v_cmp_eq_u32_e32 vcc_lo, 0, v95
	v_cndmask_b32_e32 v95, v100, v96, vcc_lo
; %bb.26:
	s_or_b32 exec_lo, exec_lo, s4
	v_and_b32_e32 v96, 0x7f800000, v99
	s_delay_alu instid0(VALU_DEP_1) | instskip(SKIP_1) | instid1(SALU_CYCLE_1)
	v_cmp_ne_u32_e32 vcc_lo, 0x7f800000, v96
                                        ; implicit-def: $vgpr96
	s_and_saveexec_b32 s4, vcc_lo
	s_xor_b32 s4, exec_lo, s4
; %bb.27:
	v_bfe_u32 v96, v99, 16, 1
	s_delay_alu instid0(VALU_DEP_1)
	v_add3_u32 v96, v99, v96, 0x7fff
                                        ; implicit-def: $vgpr99
; %bb.28:
	s_and_not1_saveexec_b32 s4, s4
; %bb.29:
	v_and_b32_e32 v96, 0xffff, v99
	v_or_b32_e32 v100, 0x10000, v99
	s_delay_alu instid0(VALU_DEP_2) | instskip(NEXT) | instid1(VALU_DEP_2)
	v_cmp_eq_u32_e32 vcc_lo, 0, v96
	v_cndmask_b32_e32 v96, v100, v99, vcc_lo
; %bb.30:
	s_or_b32 exec_lo, exec_lo, s4
	v_and_b32_e32 v99, 0x7f800000, v98
	s_delay_alu instid0(VALU_DEP_1) | instskip(SKIP_1) | instid1(SALU_CYCLE_1)
	v_cmp_ne_u32_e32 vcc_lo, 0x7f800000, v99
                                        ; implicit-def: $vgpr99
	s_and_saveexec_b32 s4, vcc_lo
	s_xor_b32 s4, exec_lo, s4
; %bb.31:
	v_bfe_u32 v99, v98, 16, 1
	s_delay_alu instid0(VALU_DEP_1)
	v_add3_u32 v99, v98, v99, 0x7fff
                                        ; implicit-def: $vgpr98
; %bb.32:
	s_and_not1_saveexec_b32 s4, s4
; %bb.33:
	v_and_b32_e32 v99, 0xffff, v98
	v_or_b32_e32 v100, 0x10000, v98
	s_delay_alu instid0(VALU_DEP_2) | instskip(NEXT) | instid1(VALU_DEP_2)
	v_cmp_eq_u32_e32 vcc_lo, 0, v99
	v_cndmask_b32_e32 v99, v100, v98, vcc_lo
; %bb.34:
	s_or_b32 exec_lo, exec_lo, s4
	v_and_b32_e32 v98, 0x7f800000, v97
	s_delay_alu instid0(VALU_DEP_1) | instskip(SKIP_1) | instid1(SALU_CYCLE_1)
	v_cmp_ne_u32_e32 vcc_lo, 0x7f800000, v98
                                        ; implicit-def: $vgpr98
	s_and_saveexec_b32 s4, vcc_lo
	s_xor_b32 s4, exec_lo, s4
; %bb.35:
	v_bfe_u32 v98, v97, 16, 1
	s_delay_alu instid0(VALU_DEP_1)
	v_add3_u32 v98, v97, v98, 0x7fff
                                        ; implicit-def: $vgpr97
; %bb.36:
	s_and_not1_saveexec_b32 s4, s4
; %bb.37:
	v_and_b32_e32 v98, 0xffff, v97
	v_or_b32_e32 v100, 0x10000, v97
	s_delay_alu instid0(VALU_DEP_2) | instskip(NEXT) | instid1(VALU_DEP_2)
	v_cmp_eq_u32_e32 vcc_lo, 0, v98
	v_cndmask_b32_e32 v98, v100, v97, vcc_lo
; %bb.38:
	s_or_b32 exec_lo, exec_lo, s4
	v_and_b32_e32 v97, 0x7f800000, v94
	s_delay_alu instid0(VALU_DEP_1) | instskip(SKIP_1) | instid1(SALU_CYCLE_1)
	v_cmp_ne_u32_e32 vcc_lo, 0x7f800000, v97
                                        ; implicit-def: $vgpr97
	s_and_saveexec_b32 s4, vcc_lo
	s_xor_b32 s4, exec_lo, s4
; %bb.39:
	v_bfe_u32 v97, v94, 16, 1
	s_delay_alu instid0(VALU_DEP_1)
	v_add3_u32 v97, v94, v97, 0x7fff
                                        ; implicit-def: $vgpr94
; %bb.40:
	s_and_not1_saveexec_b32 s4, s4
; %bb.41:
	v_and_b32_e32 v97, 0xffff, v94
	v_or_b32_e32 v100, 0x10000, v94
	s_delay_alu instid0(VALU_DEP_2) | instskip(NEXT) | instid1(VALU_DEP_2)
	v_cmp_eq_u32_e32 vcc_lo, 0, v97
	v_cndmask_b32_e32 v97, v100, v94, vcc_lo
; %bb.42:
	s_or_b32 exec_lo, exec_lo, s4
	v_and_b32_e32 v94, 0x7f800000, v92
	s_delay_alu instid0(VALU_DEP_1) | instskip(SKIP_1) | instid1(SALU_CYCLE_1)
	v_cmp_ne_u32_e32 vcc_lo, 0x7f800000, v94
                                        ; implicit-def: $vgpr94
	s_and_saveexec_b32 s4, vcc_lo
	s_xor_b32 s4, exec_lo, s4
; %bb.43:
	v_bfe_u32 v94, v92, 16, 1
	s_delay_alu instid0(VALU_DEP_1)
	v_add3_u32 v94, v92, v94, 0x7fff
                                        ; implicit-def: $vgpr92
; %bb.44:
	s_and_not1_saveexec_b32 s4, s4
; %bb.45:
	v_and_b32_e32 v94, 0xffff, v92
	v_or_b32_e32 v100, 0x10000, v92
	s_delay_alu instid0(VALU_DEP_2) | instskip(NEXT) | instid1(VALU_DEP_2)
	v_cmp_eq_u32_e32 vcc_lo, 0, v94
	v_cndmask_b32_e32 v94, v100, v92, vcc_lo
; %bb.46:
	s_or_b32 exec_lo, exec_lo, s4
	s_load_b64 s[36:37], s[0:1], 0x94
	v_lshlrev_b32_e32 v92, 4, v83
	s_delay_alu instid0(VALU_DEP_2)
	v_perm_b32 v100, v94, v97, 0x7060302
	v_dual_mul_f32 v89, v90, v89 :: v_dual_lshlrev_b32 v94, 11, v74
	v_perm_b32 v97, v93, v91, 0x7060302
	v_mul_f32_e32 v93, v90, v77
	v_perm_b32 v99, v98, v99, 0x7060302
	v_perm_b32 v98, v96, v95, 0x7060302
	v_or3_b32 v77, v92, v94, v85
	v_mul_f32_e32 v88, v90, v88
	v_dual_mul_f32 v87, v90, v87 :: v_dual_and_b32 v94, 0x7f800000, v93
	v_mul_f32_e32 v86, v90, v86
	v_mul_f32_e32 v91, v90, v80
	;; [unrolled: 1-line block ×4, first 2 shown]
	s_mov_b32 s4, exec_lo
	ds_store_b128 v77, v[97:100]
                                        ; implicit-def: $vgpr78
	v_cmpx_ne_u32_e32 0x7f800000, v94
	s_xor_b32 s4, exec_lo, s4
; %bb.47:
	v_bfe_u32 v78, v93, 16, 1
	s_delay_alu instid0(VALU_DEP_1)
	v_add3_u32 v78, v93, v78, 0x7fff
                                        ; implicit-def: $vgpr93
; %bb.48:
	s_and_not1_saveexec_b32 s4, s4
; %bb.49:
	v_and_b32_e32 v78, 0xffff, v93
	v_or_b32_e32 v79, 0x10000, v93
	s_delay_alu instid0(VALU_DEP_2) | instskip(NEXT) | instid1(VALU_DEP_2)
	v_cmp_eq_u32_e32 vcc_lo, 0, v78
	v_cndmask_b32_e32 v78, v79, v93, vcc_lo
; %bb.50:
	s_or_b32 exec_lo, exec_lo, s4
	v_and_b32_e32 v79, 0x7f800000, v80
	s_delay_alu instid0(VALU_DEP_1) | instskip(SKIP_1) | instid1(SALU_CYCLE_1)
	v_cmp_ne_u32_e32 vcc_lo, 0x7f800000, v79
                                        ; implicit-def: $vgpr79
	s_and_saveexec_b32 s4, vcc_lo
	s_xor_b32 s4, exec_lo, s4
; %bb.51:
	v_bfe_u32 v79, v80, 16, 1
	s_delay_alu instid0(VALU_DEP_1)
	v_add3_u32 v79, v80, v79, 0x7fff
                                        ; implicit-def: $vgpr80
; %bb.52:
	s_and_not1_saveexec_b32 s4, s4
; %bb.53:
	v_and_b32_e32 v79, 0xffff, v80
	v_or_b32_e32 v90, 0x10000, v80
	s_delay_alu instid0(VALU_DEP_2) | instskip(NEXT) | instid1(VALU_DEP_2)
	v_cmp_eq_u32_e32 vcc_lo, 0, v79
	v_cndmask_b32_e32 v79, v90, v80, vcc_lo
; %bb.54:
	s_or_b32 exec_lo, exec_lo, s4
	v_and_b32_e32 v80, 0x7f800000, v92
	s_delay_alu instid0(VALU_DEP_1) | instskip(SKIP_1) | instid1(SALU_CYCLE_1)
	v_cmp_ne_u32_e32 vcc_lo, 0x7f800000, v80
                                        ; implicit-def: $vgpr80
	s_and_saveexec_b32 s4, vcc_lo
	s_xor_b32 s4, exec_lo, s4
; %bb.55:
	v_bfe_u32 v80, v92, 16, 1
	s_delay_alu instid0(VALU_DEP_1)
	v_add3_u32 v80, v92, v80, 0x7fff
                                        ; implicit-def: $vgpr92
; %bb.56:
	s_and_not1_saveexec_b32 s4, s4
; %bb.57:
	v_and_b32_e32 v80, 0xffff, v92
	v_or_b32_e32 v90, 0x10000, v92
	s_delay_alu instid0(VALU_DEP_2) | instskip(NEXT) | instid1(VALU_DEP_2)
	v_cmp_eq_u32_e32 vcc_lo, 0, v80
	v_cndmask_b32_e32 v80, v90, v92, vcc_lo
; %bb.58:
	s_or_b32 exec_lo, exec_lo, s4
	v_and_b32_e32 v90, 0x7f800000, v91
	s_delay_alu instid0(VALU_DEP_1) | instskip(SKIP_1) | instid1(SALU_CYCLE_1)
	v_cmp_ne_u32_e32 vcc_lo, 0x7f800000, v90
                                        ; implicit-def: $vgpr90
	s_and_saveexec_b32 s4, vcc_lo
	s_xor_b32 s4, exec_lo, s4
; %bb.59:
	v_bfe_u32 v90, v91, 16, 1
	s_delay_alu instid0(VALU_DEP_1)
	v_add3_u32 v90, v91, v90, 0x7fff
                                        ; implicit-def: $vgpr91
; %bb.60:
	s_and_not1_saveexec_b32 s4, s4
; %bb.61:
	v_and_b32_e32 v90, 0xffff, v91
	v_or_b32_e32 v92, 0x10000, v91
	s_delay_alu instid0(VALU_DEP_2) | instskip(NEXT) | instid1(VALU_DEP_2)
	v_cmp_eq_u32_e32 vcc_lo, 0, v90
	v_cndmask_b32_e32 v90, v92, v91, vcc_lo
; %bb.62:
	s_or_b32 exec_lo, exec_lo, s4
	v_and_b32_e32 v91, 0x7f800000, v86
	s_delay_alu instid0(VALU_DEP_1) | instskip(SKIP_1) | instid1(SALU_CYCLE_1)
	v_cmp_ne_u32_e32 vcc_lo, 0x7f800000, v91
                                        ; implicit-def: $vgpr91
	s_and_saveexec_b32 s4, vcc_lo
	s_xor_b32 s4, exec_lo, s4
; %bb.63:
	v_bfe_u32 v91, v86, 16, 1
	s_delay_alu instid0(VALU_DEP_1)
	v_add3_u32 v91, v86, v91, 0x7fff
                                        ; implicit-def: $vgpr86
; %bb.64:
	s_and_not1_saveexec_b32 s4, s4
; %bb.65:
	v_and_b32_e32 v91, 0xffff, v86
	v_or_b32_e32 v92, 0x10000, v86
	s_delay_alu instid0(VALU_DEP_2) | instskip(NEXT) | instid1(VALU_DEP_2)
	v_cmp_eq_u32_e32 vcc_lo, 0, v91
	v_cndmask_b32_e32 v91, v92, v86, vcc_lo
; %bb.66:
	s_or_b32 exec_lo, exec_lo, s4
	v_and_b32_e32 v86, 0x7f800000, v87
	s_delay_alu instid0(VALU_DEP_1) | instskip(SKIP_1) | instid1(SALU_CYCLE_1)
	v_cmp_ne_u32_e32 vcc_lo, 0x7f800000, v86
                                        ; implicit-def: $vgpr86
	s_and_saveexec_b32 s4, vcc_lo
	s_xor_b32 s4, exec_lo, s4
; %bb.67:
	v_bfe_u32 v86, v87, 16, 1
	s_delay_alu instid0(VALU_DEP_1)
	v_add3_u32 v86, v87, v86, 0x7fff
                                        ; implicit-def: $vgpr87
; %bb.68:
	s_and_not1_saveexec_b32 s4, s4
; %bb.69:
	v_and_b32_e32 v86, 0xffff, v87
	v_or_b32_e32 v92, 0x10000, v87
	s_delay_alu instid0(VALU_DEP_2) | instskip(NEXT) | instid1(VALU_DEP_2)
	v_cmp_eq_u32_e32 vcc_lo, 0, v86
	v_cndmask_b32_e32 v86, v92, v87, vcc_lo
; %bb.70:
	s_or_b32 exec_lo, exec_lo, s4
	v_and_b32_e32 v87, 0x7f800000, v88
	s_delay_alu instid0(VALU_DEP_1) | instskip(SKIP_1) | instid1(SALU_CYCLE_1)
	v_cmp_ne_u32_e32 vcc_lo, 0x7f800000, v87
                                        ; implicit-def: $vgpr87
	s_and_saveexec_b32 s4, vcc_lo
	s_xor_b32 s4, exec_lo, s4
; %bb.71:
	v_bfe_u32 v87, v88, 16, 1
	s_delay_alu instid0(VALU_DEP_1)
	v_add3_u32 v87, v88, v87, 0x7fff
                                        ; implicit-def: $vgpr88
; %bb.72:
	s_and_not1_saveexec_b32 s4, s4
; %bb.73:
	v_and_b32_e32 v87, 0xffff, v88
	v_or_b32_e32 v92, 0x10000, v88
	s_delay_alu instid0(VALU_DEP_2) | instskip(NEXT) | instid1(VALU_DEP_2)
	v_cmp_eq_u32_e32 vcc_lo, 0, v87
	v_cndmask_b32_e32 v87, v92, v88, vcc_lo
; %bb.74:
	s_or_b32 exec_lo, exec_lo, s4
	v_and_b32_e32 v88, 0x7f800000, v89
	s_delay_alu instid0(VALU_DEP_1) | instskip(SKIP_1) | instid1(SALU_CYCLE_1)
	v_cmp_ne_u32_e32 vcc_lo, 0x7f800000, v88
                                        ; implicit-def: $vgpr88
	s_and_saveexec_b32 s4, vcc_lo
	s_xor_b32 s4, exec_lo, s4
; %bb.75:
	v_bfe_u32 v88, v89, 16, 1
	s_delay_alu instid0(VALU_DEP_1)
	v_add3_u32 v88, v89, v88, 0x7fff
                                        ; implicit-def: $vgpr89
; %bb.76:
	s_and_not1_saveexec_b32 s4, s4
; %bb.77:
	v_and_b32_e32 v88, 0xffff, v89
	v_or_b32_e32 v92, 0x10000, v89
	s_delay_alu instid0(VALU_DEP_2) | instskip(NEXT) | instid1(VALU_DEP_2)
	v_cmp_eq_u32_e32 vcc_lo, 0, v88
	v_cndmask_b32_e32 v88, v92, v89, vcc_lo
; %bb.78:
	s_or_b32 exec_lo, exec_lo, s4
	s_delay_alu instid0(VALU_DEP_1)
	v_perm_b32 v89, v88, v87, 0x7060302
	v_perm_b32 v88, v86, v91, 0x7060302
	;; [unrolled: 1-line block ×4, first 2 shown]
	v_lshl_or_b32 v90, v74, 11, v85
	ds_store_b128 v77, v[86:89] offset:1024
	s_waitcnt lgkmcnt(0)
	s_barrier
	buffer_gl0_inv
	ds_load_b128 v[91:94], v90
	ds_load_b128 v[95:98], v90 offset:16
	v_lshlrev_b32_e32 v87, 2, v83
	s_delay_alu instid0(VALU_DEP_1)
	v_or_b32_e32 v88, 1, v87
	v_cmp_eq_u32_e32 vcc_lo, 1, v87
	v_cmp_eq_u32_e64 s5, 2, v87
	v_cmp_eq_u32_e64 s8, 3, v87
	;; [unrolled: 1-line block ×6, first 2 shown]
	v_or_b32_e32 v86, 2, v87
	v_cmp_eq_u32_e64 s11, 5, v87
	v_cmp_eq_u32_e64 s12, 4, v88
	;; [unrolled: 1-line block ×4, first 2 shown]
	s_waitcnt lgkmcnt(1)
	v_lshrrev_b32_e32 v74, 16, v91
	s_waitcnt lgkmcnt(0)
	v_lshrrev_b32_e32 v103, 16, v95
	v_lshrrev_b32_e32 v80, 16, v94
	;; [unrolled: 1-line block ×4, first 2 shown]
	v_cndmask_b32_e32 v89, v91, v74, vcc_lo
	v_cndmask_b32_e32 v99, v95, v103, vcc_lo
	v_cndmask_b32_e64 v100, v91, v74, s4
	v_lshrrev_b32_e32 v79, 16, v93
	v_lshrrev_b32_e32 v108, 16, v97
	v_cndmask_b32_e64 v89, v89, v92, s5
	v_cndmask_b32_e64 v99, v99, v96, s5
	;; [unrolled: 1-line block ×4, first 2 shown]
	v_cmp_eq_u32_e64 s6, 1, v86
	v_cndmask_b32_e64 v89, v89, v78, s8
	v_cndmask_b32_e64 v99, v99, v107, s8
	;; [unrolled: 1-line block ×4, first 2 shown]
	v_lshrrev_b32_e32 v109, 16, v98
	v_cndmask_b32_e64 v89, v89, v93, s10
	v_cndmask_b32_e64 v99, v99, v97, s10
	;; [unrolled: 1-line block ×8, first 2 shown]
	v_cmp_eq_u32_e64 s16, 7, v87
	v_cmp_eq_u32_e64 s17, 6, v88
	v_cndmask_b32_e64 v89, v89, v94, s13
	v_cndmask_b32_e64 v99, v99, v98, s13
	v_cmp_eq_u32_e64 s18, 2, v86
	v_cndmask_b32_e64 v101, v101, v97, s12
	v_cndmask_b32_e64 v100, v100, v94, s17
	;; [unrolled: 1-line block ×6, first 2 shown]
	v_cmp_eq_u32_e64 s19, 7, v88
	v_cmp_eq_u32_e64 s20, 3, v86
	;; [unrolled: 1-line block ×4, first 2 shown]
	v_cndmask_b32_e64 v99, v99, v96, s18
	v_cndmask_b32_e64 v112, v100, v80, s19
	;; [unrolled: 1-line block ×4, first 2 shown]
	v_or_b32_e32 v89, 3, v87
	v_cndmask_b32_e64 v105, v99, v107, s20
	v_cmp_eq_u32_e64 s25, 6, v86
	v_cndmask_b32_e64 v113, v100, v98, s17
	v_cndmask_b32_e64 v104, v101, v93, s21
	ds_load_b128 v[99:102], v90 offset:1024
	v_cmp_eq_u32_e64 s22, 1, v89
	v_cmp_eq_u32_e64 s24, 2, v89
	;; [unrolled: 1-line block ×3, first 2 shown]
	v_cndmask_b32_e64 v114, v104, v79, s23
	v_cmp_eq_u32_e64 s27, 4, v89
	v_cndmask_b32_e64 v74, v91, v74, s22
	v_cndmask_b32_e64 v91, v105, v97, s21
	;; [unrolled: 1-line block ×3, first 2 shown]
	ds_load_b128 v[103:106], v90 offset:1040
	v_cmp_eq_u32_e64 s29, 5, v89
	v_cndmask_b32_e64 v74, v74, v92, s24
	v_cndmask_b32_e64 v91, v91, v108, s23
	v_cndmask_b32_e64 v92, v95, v96, s24
	v_cmp_eq_u32_e64 s30, 6, v89
	v_cndmask_b32_e64 v95, v113, v109, s19
	v_cndmask_b32_e64 v74, v74, v78, s26
	;; [unrolled: 1-line block ×5, first 2 shown]
	s_waitcnt lgkmcnt(1)
	v_lshrrev_b32_e32 v96, 16, v99
	v_cndmask_b32_e64 v74, v74, v93, s27
	v_lshrrev_b32_e32 v107, 16, v100
	v_cndmask_b32_e64 v92, v92, v97, s27
	v_cmp_eq_u32_e64 s28, 7, v86
	v_cndmask_b32_e32 v93, v99, v96, vcc_lo
	v_cndmask_b32_e64 v74, v74, v79, s29
	s_delay_alu instid0(VALU_DEP_4)
	v_cndmask_b32_e64 v79, v92, v108, s29
	s_waitcnt lgkmcnt(0)
	v_lshrrev_b32_e32 v97, 16, v103
	v_cndmask_b32_e64 v92, v93, v100, s5
	v_cndmask_b32_e64 v93, v99, v96, s4
	;; [unrolled: 1-line block ×4, first 2 shown]
	v_cndmask_b32_e32 v108, v103, v97, vcc_lo
	v_cndmask_b32_e64 v92, v92, v107, s8
	v_cndmask_b32_e64 v93, v93, v100, s7
	v_lshrrev_b32_e32 v98, 16, v104
	v_cmp_eq_u32_e32 vcc_lo, 7, v89
	v_cndmask_b32_e64 v94, v108, v104, s5
	v_cndmask_b32_e64 v92, v92, v101, s10
	v_lshrrev_b32_e32 v108, 16, v101
	v_cndmask_b32_e64 v93, v93, v107, s9
	v_cndmask_b32_e32 v74, v74, v80, vcc_lo
	v_cndmask_b32_e64 v94, v94, v98, s8
	v_cndmask_b32_e32 v79, v79, v109, vcc_lo
	v_cndmask_b32_e64 v92, v92, v108, s11
	v_cndmask_b32_e64 v78, v78, v80, s28
	;; [unrolled: 1-line block ×4, first 2 shown]
	v_perm_b32 v94, v79, v74, 0x5040100
	v_cndmask_b32_e64 v79, v92, v102, s13
	v_perm_b32 v92, v95, v112, 0x5040100
	v_cndmask_b32_e64 v95, v99, v96, s6
	v_cndmask_b32_e64 v96, v99, v96, s22
	;; [unrolled: 1-line block ×16, first 2 shown]
	v_lshrrev_b32_e32 v109, 16, v105
	v_cndmask_b32_e64 v95, v95, v101, s21
	v_cndmask_b32_e64 v96, v96, v101, s27
	v_cndmask_b32_e64 v98, v99, v105, s27
	v_cndmask_b32_e64 v99, v100, v105, s21
	v_cndmask_b32_e64 v97, v97, v105, s12
	v_cndmask_b32_e64 v74, v80, v108, s15
	v_lshrrev_b32_e32 v80, 16, v102
	v_cndmask_b32_e64 v113, v93, v109, s11
	v_cndmask_b32_e64 v95, v95, v108, s23
	;; [unrolled: 1-line block ×6, first 2 shown]
	v_perm_b32 v93, v91, v78, 0x5040100
	v_cndmask_b32_e64 v74, v74, v102, s17
	v_cndmask_b32_e64 v78, v79, v80, s16
	;; [unrolled: 1-line block ×3, first 2 shown]
	v_lshrrev_b32_e32 v91, 16, v106
	v_cndmask_b32_e64 v95, v95, v102, s25
	v_cndmask_b32_e64 v96, v96, v102, s30
	;; [unrolled: 1-line block ×7, first 2 shown]
	v_cndmask_b32_e32 v80, v96, v80, vcc_lo
	v_cndmask_b32_e32 v96, v98, v91, vcc_lo
	v_cndmask_b32_e64 v99, v99, v91, s28
	v_cndmask_b32_e64 v100, v97, v91, s19
	;; [unrolled: 1-line block ×3, first 2 shown]
	v_perm_b32 v91, v111, v110, 0x5040100
	v_perm_b32 v98, v96, v80, 0x5040100
	;; [unrolled: 1-line block ×5, first 2 shown]
	s_mul_i32 s9, s37, 5
	s_mov_b32 s4, exec_lo
	ds_store_b128 v77, v[91:94]
	ds_store_b128 v77, v[95:98] offset:1024
	v_cmpx_gt_u32_e32 5, v0
	s_cbranch_execz .LBB502_80
; %bb.79:
	s_mul_i32 s5, s9, s34
	s_load_b128 s[16:19], s[0:1], 0x58
	v_add3_u32 v77, s5, s31, v73
	s_delay_alu instid0(VALU_DEP_1) | instskip(NEXT) | instid1(VALU_DEP_1)
	v_mad_u64_u32 v[73:74], null, v77, s36, s[14:15]
	v_ashrrev_i32_e32 v74, 31, v73
	s_delay_alu instid0(VALU_DEP_1) | instskip(SKIP_1) | instid1(VALU_DEP_1)
	v_lshlrev_b64 v[73:74], 2, v[73:74]
	s_waitcnt lgkmcnt(0)
	v_add_co_u32 v77, vcc_lo, s18, v73
	s_delay_alu instid0(VALU_DEP_2)
	v_add_co_ci_u32_e32 v78, vcc_lo, s19, v74, vcc_lo
	v_add_co_u32 v73, vcc_lo, s16, v73
	v_add_co_ci_u32_e32 v74, vcc_lo, s17, v74, vcc_lo
	global_store_b32 v[77:78], v75, off
	global_store_b32 v[73:74], v76, off
.LBB502_80:
	s_or_b32 exec_lo, exec_lo, s4
	s_waitcnt lgkmcnt(0)
	s_waitcnt_vscnt null, 0x0
	s_barrier
	buffer_gl0_inv
	ds_load_b128 v[91:94], v85
	ds_load_b128 v[95:98], v85 offset:16
	ds_load_b128 v[103:106], v85 offset:1040
	;; [unrolled: 1-line block ×3, first 2 shown]
	v_mov_b32_e32 v73, 0
	ds_load_b128 v[111:114], v85 offset:2064
	ds_load_b128 v[107:110], v85 offset:2048
	;; [unrolled: 1-line block ×6, first 2 shown]
	v_mov_b32_e32 v74, v73
	v_mov_b32_e32 v75, v73
	;; [unrolled: 1-line block ×7, first 2 shown]
	s_waitcnt lgkmcnt(8)
	s_delay_alu instid0(VALU_DEP_1)
	v_wmma_f32_16x16x16_bf16 v[73:80], v[65:72], v[91:98], v[73:80]
	ds_load_b128 v[69:72], v85 offset:5136
	ds_load_b128 v[65:68], v85 offset:5120
	;; [unrolled: 1-line block ×4, first 2 shown]
	s_waitcnt lgkmcnt(10)
	v_wmma_f32_16x16x16_bf16 v[73:80], v[57:64], v[99:106], v[73:80]
	s_waitcnt lgkmcnt(8)
	s_delay_alu instid0(VALU_DEP_1)
	v_wmma_f32_16x16x16_bf16 v[73:80], v[57:64], v[107:114], v[73:80]
	ds_load_b128 v[61:64], v85 offset:7184
	ds_load_b128 v[57:60], v85 offset:7168
	;; [unrolled: 1-line block ×4, first 2 shown]
	s_waitcnt lgkmcnt(10)
	v_wmma_f32_16x16x16_bf16 v[73:80], v[49:56], v[115:122], v[73:80]
	s_waitcnt lgkmcnt(8)
	s_delay_alu instid0(VALU_DEP_1)
	v_wmma_f32_16x16x16_bf16 v[73:80], v[49:56], v[123:130], v[73:80]
	ds_load_b128 v[53:56], v85 offset:9232
	ds_load_b128 v[49:52], v85 offset:9216
	s_waitcnt lgkmcnt(8)
	v_wmma_f32_16x16x16_bf16 v[73:80], v[41:48], v[65:72], v[73:80]
	ds_load_b128 v[69:72], v85 offset:10256
	ds_load_b128 v[65:68], v85 offset:10240
	s_waitcnt lgkmcnt(8)
	v_wmma_f32_16x16x16_bf16 v[73:80], v[41:48], v[91:98], v[73:80]
	ds_load_b128 v[45:48], v85 offset:11280
	ds_load_b128 v[41:44], v85 offset:11264
	s_waitcnt lgkmcnt(8)
	v_wmma_f32_16x16x16_bf16 v[73:80], v[9:16], v[57:64], v[73:80]
	s_waitcnt lgkmcnt(6)
	s_delay_alu instid0(VALU_DEP_1)
	v_wmma_f32_16x16x16_bf16 v[73:80], v[9:16], v[99:106], v[73:80]
	ds_load_b128 v[13:16], v85 offset:12304
	ds_load_b128 v[9:12], v85 offset:12288
	s_waitcnt lgkmcnt(6)
	v_wmma_f32_16x16x16_bf16 v[73:80], v[1:8], v[49:56], v[73:80]
	ds_load_b128 v[53:56], v85 offset:13328
	ds_load_b128 v[49:52], v85 offset:13312
	s_waitcnt lgkmcnt(6)
	;; [unrolled: 4-line block ×4, first 2 shown]
	v_wmma_f32_16x16x16_bf16 v[73:80], v[33:40], v[9:16], v[73:80]
	s_waitcnt lgkmcnt(4)
	s_delay_alu instid0(VALU_DEP_1) | instskip(SKIP_1) | instid1(VALU_DEP_1)
	v_wmma_f32_16x16x16_bf16 v[73:80], v[25:32], v[49:56], v[73:80]
	s_waitcnt lgkmcnt(2)
	v_wmma_f32_16x16x16_bf16 v[73:80], v[25:32], v[1:8], v[73:80]
	s_waitcnt lgkmcnt(0)
	s_delay_alu instid0(VALU_DEP_1) | instskip(NEXT) | instid1(VALU_DEP_1)
	v_wmma_f32_16x16x16_bf16 v[73:80], v[17:24], v[41:48], v[73:80]
	v_and_b32_e32 v1, 0x7f800000, v73
	s_delay_alu instid0(VALU_DEP_1) | instskip(SKIP_1) | instid1(SALU_CYCLE_1)
	v_cmp_ne_u32_e32 vcc_lo, 0x7f800000, v1
                                        ; implicit-def: $vgpr1
	s_and_saveexec_b32 s4, vcc_lo
	s_xor_b32 s4, exec_lo, s4
; %bb.81:
	v_bfe_u32 v1, v73, 16, 1
	s_delay_alu instid0(VALU_DEP_1)
	v_add3_u32 v1, v73, v1, 0x7fff
; %bb.82:
	s_and_not1_saveexec_b32 s4, s4
; %bb.83:
	v_and_b32_e32 v1, 0xffff, v73
	v_or_b32_e32 v2, 0x10000, v73
	s_delay_alu instid0(VALU_DEP_2) | instskip(NEXT) | instid1(VALU_DEP_2)
	v_cmp_eq_u32_e32 vcc_lo, 0, v1
	v_cndmask_b32_e32 v1, v2, v73, vcc_lo
; %bb.84:
	s_or_b32 exec_lo, exec_lo, s4
	v_and_b32_e32 v2, 0x7f800000, v74
	s_delay_alu instid0(VALU_DEP_1) | instskip(SKIP_1) | instid1(SALU_CYCLE_1)
	v_cmp_ne_u32_e32 vcc_lo, 0x7f800000, v2
                                        ; implicit-def: $vgpr2
	s_and_saveexec_b32 s4, vcc_lo
	s_xor_b32 s4, exec_lo, s4
; %bb.85:
	v_bfe_u32 v2, v74, 16, 1
	s_delay_alu instid0(VALU_DEP_1)
	v_add3_u32 v2, v74, v2, 0x7fff
; %bb.86:
	s_and_not1_saveexec_b32 s4, s4
; %bb.87:
	v_and_b32_e32 v2, 0xffff, v74
	v_or_b32_e32 v3, 0x10000, v74
	s_delay_alu instid0(VALU_DEP_2) | instskip(NEXT) | instid1(VALU_DEP_2)
	v_cmp_eq_u32_e32 vcc_lo, 0, v2
	v_cndmask_b32_e32 v2, v3, v74, vcc_lo
; %bb.88:
	s_or_b32 exec_lo, exec_lo, s4
	v_and_b32_e32 v3, 0x7f800000, v75
	s_delay_alu instid0(VALU_DEP_1) | instskip(SKIP_1) | instid1(SALU_CYCLE_1)
	v_cmp_ne_u32_e32 vcc_lo, 0x7f800000, v3
                                        ; implicit-def: $vgpr3
	s_and_saveexec_b32 s4, vcc_lo
	s_xor_b32 s4, exec_lo, s4
; %bb.89:
	v_bfe_u32 v3, v75, 16, 1
	s_delay_alu instid0(VALU_DEP_1)
	v_add3_u32 v3, v75, v3, 0x7fff
; %bb.90:
	s_and_not1_saveexec_b32 s4, s4
; %bb.91:
	v_and_b32_e32 v3, 0xffff, v75
	v_or_b32_e32 v4, 0x10000, v75
	s_delay_alu instid0(VALU_DEP_2) | instskip(NEXT) | instid1(VALU_DEP_2)
	v_cmp_eq_u32_e32 vcc_lo, 0, v3
	v_cndmask_b32_e32 v3, v4, v75, vcc_lo
; %bb.92:
	s_or_b32 exec_lo, exec_lo, s4
	v_and_b32_e32 v4, 0x7f800000, v76
	s_delay_alu instid0(VALU_DEP_1) | instskip(SKIP_1) | instid1(SALU_CYCLE_1)
	v_cmp_ne_u32_e32 vcc_lo, 0x7f800000, v4
                                        ; implicit-def: $vgpr4
	s_and_saveexec_b32 s4, vcc_lo
	s_xor_b32 s4, exec_lo, s4
; %bb.93:
	v_bfe_u32 v4, v76, 16, 1
	s_delay_alu instid0(VALU_DEP_1)
	v_add3_u32 v4, v76, v4, 0x7fff
; %bb.94:
	s_and_not1_saveexec_b32 s4, s4
; %bb.95:
	v_and_b32_e32 v4, 0xffff, v76
	v_or_b32_e32 v5, 0x10000, v76
	s_delay_alu instid0(VALU_DEP_2) | instskip(NEXT) | instid1(VALU_DEP_2)
	v_cmp_eq_u32_e32 vcc_lo, 0, v4
	v_cndmask_b32_e32 v4, v5, v76, vcc_lo
; %bb.96:
	s_or_b32 exec_lo, exec_lo, s4
	v_and_b32_e32 v5, 0x7f800000, v77
	s_delay_alu instid0(VALU_DEP_1) | instskip(SKIP_1) | instid1(SALU_CYCLE_1)
	v_cmp_ne_u32_e32 vcc_lo, 0x7f800000, v5
                                        ; implicit-def: $vgpr5
	s_and_saveexec_b32 s4, vcc_lo
	s_xor_b32 s4, exec_lo, s4
; %bb.97:
	v_bfe_u32 v5, v77, 16, 1
	s_delay_alu instid0(VALU_DEP_1)
	v_add3_u32 v5, v77, v5, 0x7fff
; %bb.98:
	s_and_not1_saveexec_b32 s4, s4
; %bb.99:
	v_and_b32_e32 v5, 0xffff, v77
	v_or_b32_e32 v6, 0x10000, v77
	s_delay_alu instid0(VALU_DEP_2) | instskip(NEXT) | instid1(VALU_DEP_2)
	v_cmp_eq_u32_e32 vcc_lo, 0, v5
	v_cndmask_b32_e32 v5, v6, v77, vcc_lo
; %bb.100:
	s_or_b32 exec_lo, exec_lo, s4
	v_and_b32_e32 v6, 0x7f800000, v78
	s_delay_alu instid0(VALU_DEP_1) | instskip(SKIP_1) | instid1(SALU_CYCLE_1)
	v_cmp_ne_u32_e32 vcc_lo, 0x7f800000, v6
                                        ; implicit-def: $vgpr6
	s_and_saveexec_b32 s4, vcc_lo
	s_xor_b32 s4, exec_lo, s4
; %bb.101:
	v_bfe_u32 v6, v78, 16, 1
	s_delay_alu instid0(VALU_DEP_1)
	v_add3_u32 v6, v78, v6, 0x7fff
; %bb.102:
	s_and_not1_saveexec_b32 s4, s4
; %bb.103:
	v_and_b32_e32 v6, 0xffff, v78
	v_or_b32_e32 v7, 0x10000, v78
	s_delay_alu instid0(VALU_DEP_2) | instskip(NEXT) | instid1(VALU_DEP_2)
	v_cmp_eq_u32_e32 vcc_lo, 0, v6
	v_cndmask_b32_e32 v6, v7, v78, vcc_lo
; %bb.104:
	s_or_b32 exec_lo, exec_lo, s4
	v_and_b32_e32 v7, 0x7f800000, v79
	s_delay_alu instid0(VALU_DEP_1) | instskip(SKIP_1) | instid1(SALU_CYCLE_1)
	v_cmp_ne_u32_e32 vcc_lo, 0x7f800000, v7
                                        ; implicit-def: $vgpr7
	s_and_saveexec_b32 s4, vcc_lo
	s_xor_b32 s4, exec_lo, s4
; %bb.105:
	v_bfe_u32 v7, v79, 16, 1
	s_delay_alu instid0(VALU_DEP_1)
	v_add3_u32 v7, v79, v7, 0x7fff
; %bb.106:
	s_and_not1_saveexec_b32 s4, s4
; %bb.107:
	v_and_b32_e32 v7, 0xffff, v79
	v_or_b32_e32 v8, 0x10000, v79
	s_delay_alu instid0(VALU_DEP_2) | instskip(NEXT) | instid1(VALU_DEP_2)
	v_cmp_eq_u32_e32 vcc_lo, 0, v7
	v_cndmask_b32_e32 v7, v8, v79, vcc_lo
; %bb.108:
	s_or_b32 exec_lo, exec_lo, s4
	v_and_b32_e32 v8, 0x7f800000, v80
	s_delay_alu instid0(VALU_DEP_1) | instskip(SKIP_1) | instid1(SALU_CYCLE_1)
	v_cmp_ne_u32_e32 vcc_lo, 0x7f800000, v8
                                        ; implicit-def: $vgpr8
	s_and_saveexec_b32 s4, vcc_lo
	s_xor_b32 s4, exec_lo, s4
; %bb.109:
	v_bfe_u32 v8, v80, 16, 1
	s_delay_alu instid0(VALU_DEP_1)
	v_add3_u32 v8, v80, v8, 0x7fff
                                        ; implicit-def: $vgpr73_vgpr74_vgpr75_vgpr76_vgpr77_vgpr78_vgpr79_vgpr80
; %bb.110:
	s_and_not1_saveexec_b32 s4, s4
; %bb.111:
	v_and_b32_e32 v8, 0xffff, v80
	v_or_b32_e32 v9, 0x10000, v80
	s_delay_alu instid0(VALU_DEP_2) | instskip(NEXT) | instid1(VALU_DEP_2)
	v_cmp_eq_u32_e32 vcc_lo, 0, v8
	v_cndmask_b32_e32 v8, v9, v80, vcc_lo
; %bb.112:
	s_or_b32 exec_lo, exec_lo, s4
	s_delay_alu instid0(VALU_DEP_1)
	v_perm_b32 v7, v8, v7, 0x7060302
	v_perm_b32 v6, v6, v5, 0x7060302
	;; [unrolled: 1-line block ×4, first 2 shown]
	v_lshl_or_b32 v9, v83, 4, v90
	s_barrier
	buffer_gl0_inv
	v_cmp_eq_u32_e32 vcc_lo, 1, v87
	ds_store_b128 v9, v[4:7]
	s_waitcnt lgkmcnt(0)
	s_barrier
	buffer_gl0_inv
	ds_load_b128 v[1:4], v90
	ds_load_b128 v[5:8], v90 offset:16
	v_cmp_eq_u32_e64 s5, 2, v87
	v_cmp_eq_u32_e64 s4, 1, v88
	;; [unrolled: 1-line block ×5, first 2 shown]
	s_waitcnt lgkmcnt(1)
	v_lshrrev_b32_e32 v10, 16, v1
	s_waitcnt lgkmcnt(0)
	v_lshrrev_b32_e32 v14, 16, v5
	v_lshrrev_b32_e32 v15, 16, v6
	v_lshrrev_b32_e32 v11, 16, v2
	v_lshrrev_b32_e32 v12, 16, v3
	v_cndmask_b32_e64 v20, v1, v10, s4
	v_cndmask_b32_e32 v19, v5, v14, vcc_lo
	v_cndmask_b32_e64 v21, v5, v14, s4
	v_lshrrev_b32_e32 v16, 16, v7
	v_cmp_eq_u32_e64 s4, 1, v86
	v_lshrrev_b32_e32 v13, 16, v4
	v_cndmask_b32_e64 v19, v19, v6, s5
	v_lshrrev_b32_e32 v17, 16, v8
	s_delay_alu instid0(VALU_DEP_4) | instskip(SKIP_1) | instid1(VALU_DEP_4)
	v_cndmask_b32_e64 v22, v1, v10, s4
	v_cndmask_b32_e64 v23, v5, v14, s4
	;; [unrolled: 1-line block ×3, first 2 shown]
	v_cndmask_b32_e32 v18, v1, v10, vcc_lo
	v_cmp_eq_u32_e32 vcc_lo, 2, v88
	v_cmp_eq_u32_e64 s4, 2, v89
	v_cndmask_b32_e64 v22, v22, v2, s8
	v_cndmask_b32_e32 v20, v20, v2, vcc_lo
	v_cndmask_b32_e32 v21, v21, v6, vcc_lo
	v_cmp_eq_u32_e32 vcc_lo, 4, v87
	v_cndmask_b32_e32 v19, v19, v7, vcc_lo
	v_cndmask_b32_e64 v18, v18, v2, s5
	v_cmp_eq_u32_e64 s5, 3, v88
	s_delay_alu instid0(VALU_DEP_2) | instskip(NEXT) | instid1(VALU_DEP_2)
	v_cndmask_b32_e64 v18, v18, v11, s6
	v_cndmask_b32_e64 v21, v21, v15, s5
	v_cmp_eq_u32_e64 s6, 5, v87
	s_delay_alu instid0(VALU_DEP_3) | instskip(SKIP_1) | instid1(VALU_DEP_3)
	v_cndmask_b32_e32 v18, v18, v3, vcc_lo
	v_cmp_eq_u32_e32 vcc_lo, 4, v88
	v_cndmask_b32_e64 v19, v19, v16, s6
	s_delay_alu instid0(VALU_DEP_3) | instskip(SKIP_4) | instid1(VALU_DEP_3)
	v_cndmask_b32_e64 v18, v18, v12, s6
	v_cndmask_b32_e32 v21, v21, v7, vcc_lo
	v_cndmask_b32_e64 v20, v20, v11, s5
	v_cmp_eq_u32_e64 s5, 5, v88
	v_cmp_eq_u32_e64 s6, 6, v87
	v_cndmask_b32_e32 v20, v20, v3, vcc_lo
	s_delay_alu instid0(VALU_DEP_3) | instskip(SKIP_1) | instid1(VALU_DEP_4)
	v_cndmask_b32_e64 v21, v21, v16, s5
	v_cmp_eq_u32_e32 vcc_lo, 6, v88
	v_cndmask_b32_e64 v18, v18, v4, s6
	v_cndmask_b32_e64 v19, v19, v8, s6
	;; [unrolled: 1-line block ×3, first 2 shown]
	v_cmp_eq_u32_e64 s5, 1, v89
	v_cmp_eq_u32_e64 s6, 7, v87
	s_delay_alu instid0(VALU_DEP_3) | instskip(NEXT) | instid1(VALU_DEP_3)
	v_cndmask_b32_e32 v20, v20, v4, vcc_lo
	v_cndmask_b32_e64 v1, v1, v10, s5
	v_cndmask_b32_e64 v5, v5, v14, s5
	v_cmp_eq_u32_e64 s5, 3, v86
	v_cndmask_b32_e64 v14, v23, v6, s8
	v_cmp_eq_u32_e64 s8, 3, v89
	v_cndmask_b32_e64 v1, v1, v2, s4
	v_cndmask_b32_e64 v2, v5, v6, s4
	;; [unrolled: 1-line block ×3, first 2 shown]
	v_cmp_eq_u32_e64 s4, 4, v86
	v_cndmask_b32_e64 v6, v14, v15, s5
	v_cndmask_b32_e64 v1, v1, v11, s8
	v_cmp_eq_u32_e64 s5, 4, v89
	v_cndmask_b32_e64 v2, v2, v15, s8
	v_cndmask_b32_e64 v5, v10, v3, s4
	;; [unrolled: 3-line block ×3, first 2 shown]
	v_cndmask_b32_e64 v2, v2, v7, s5
	v_cmp_eq_u32_e64 s4, 5, v89
	v_cndmask_b32_e64 v5, v5, v12, s8
	v_cmp_eq_u32_e64 s5, 6, v86
	;; [unrolled: 2-line block ×3, first 2 shown]
	v_cndmask_b32_e64 v1, v1, v12, s4
	v_cndmask_b32_e64 v2, v2, v16, s4
	;; [unrolled: 1-line block ×4, first 2 shown]
	v_cmp_eq_u32_e64 s4, 7, v89
	v_cndmask_b32_e64 v1, v1, v4, s8
	v_cndmask_b32_e64 v2, v2, v8, s8
	v_cmp_eq_u32_e64 s5, 7, v86
	v_cndmask_b32_e32 v4, v21, v8, vcc_lo
	v_cndmask_b32_e64 v18, v18, v13, s6
	v_cndmask_b32_e64 v20, v20, v13, s7
	;; [unrolled: 1-line block ×8, first 2 shown]
	v_cmp_gt_u32_e32 vcc_lo, 32, v0
	v_perm_b32 v4, v2, v1, 0x5040100
	v_perm_b32 v3, v3, v5, 0x5040100
	;; [unrolled: 1-line block ×4, first 2 shown]
	s_and_b32 s2, vcc_lo, s2
	ds_store_b128 v9, v[1:4]
	s_waitcnt lgkmcnt(0)
	s_barrier
	buffer_gl0_inv
	s_and_saveexec_b32 s4, s2
	s_cbranch_execz .LBB502_2
; %bb.113:
	s_load_b64 s[4:5], s[0:1], 0x68
	v_lshlrev_b32_e32 v0, 10, v0
	v_add_nc_u32_e32 v2, s31, v83
	v_lshlrev_b32_e32 v3, 4, v84
	s_lshl_b32 s0, s36, 6
	s_delay_alu instid0(SALU_CYCLE_1) | instskip(NEXT) | instid1(VALU_DEP_2)
	s_mul_i32 s1, s0, s34
	v_mul_lo_u32 v1, v2, s0
	s_delay_alu instid0(VALU_DEP_2) | instskip(SKIP_2) | instid1(SALU_CYCLE_1)
	v_and_or_b32 v0, 0x3800, v0, v3
	v_add_nc_u32_e32 v2, 2, v2
	s_mul_i32 s6, s1, s9
	s_ashr_i32 s7, s6, 31
	s_delay_alu instid0(VALU_DEP_2)
	v_lshl_or_b32 v7, v83, 6, v0
	s_lshl_b64 s[6:7], s[6:7], 1
	v_mul_lo_u32 v11, v2, s0
	v_ashrrev_i32_e32 v2, 31, v1
	ds_load_b128 v[3:6], v7
	ds_load_b128 v[7:10], v7 offset:128
	s_waitcnt lgkmcnt(0)
	s_add_u32 s1, s4, s6
	s_addc_u32 s2, s5, s7
	s_lshl_b32 s4, s14, 6
	v_ashrrev_i32_e32 v12, 31, v11
	s_ashr_i32 s5, s4, 31
	v_lshlrev_b64 v[13:14], 1, v[1:2]
	s_lshl_b64 s[4:5], s[4:5], 1
	s_delay_alu instid0(SALU_CYCLE_1) | instskip(SKIP_4) | instid1(VALU_DEP_3)
	s_add_u32 s1, s1, s4
	s_addc_u32 s2, s2, s5
	v_add_co_u32 v1, vcc_lo, s1, v81
	v_add_co_ci_u32_e32 v2, vcc_lo, s2, v82, vcc_lo
	v_lshlrev_b64 v[11:12], 1, v[11:12]
	v_add_co_u32 v13, vcc_lo, v1, v13
	s_delay_alu instid0(VALU_DEP_3) | instskip(NEXT) | instid1(VALU_DEP_3)
	v_add_co_ci_u32_e32 v14, vcc_lo, v2, v14, vcc_lo
	v_add_co_u32 v11, vcc_lo, v1, v11
	s_delay_alu instid0(VALU_DEP_4)
	v_add_co_ci_u32_e32 v12, vcc_lo, v2, v12, vcc_lo
	s_clause 0x1
	global_store_b128 v[13:14], v[3:6], off
	global_store_b128 v[11:12], v[7:10], off
	s_and_b32 exec_lo, exec_lo, s3
	s_cbranch_execz .LBB502_2
; %bb.114:
	ds_load_b128 v[3:6], v0 offset:256
	s_add_i32 s1, s31, 4
	s_delay_alu instid0(SALU_CYCLE_1) | instskip(NEXT) | instid1(SALU_CYCLE_1)
	s_mul_i32 s0, s1, s0
	s_ashr_i32 s1, s0, 31
	s_delay_alu instid0(SALU_CYCLE_1) | instskip(NEXT) | instid1(SALU_CYCLE_1)
	s_lshl_b64 s[0:1], s[0:1], 1
	v_add_co_u32 v0, vcc_lo, v1, s0
	v_add_co_ci_u32_e32 v1, vcc_lo, s1, v2, vcc_lo
	s_waitcnt lgkmcnt(0)
	global_store_b128 v[0:1], v[3:6], off
	s_nop 0
	s_sendmsg sendmsg(MSG_DEALLOC_VGPRS)
	s_endpgm
	.section	.rodata,"a",@progbits
	.p2align	6, 0x0
	.amdhsa_kernel _Z39paged_attention_ll4mi_QKV_mfma16_kernelI14__hip_bfloat16S0_LN4vllm18Fp8KVCacheDataTypeE0EhLi32ELi64ELi256ELb1ELi5EL8MFMAType0EEvPKT_PKT0_S9_ifPKiSB_SB_iPKfiiiPfSE_PS4_PT2_iSD_SD_
		.amdhsa_group_segment_fixed_size 17472
		.amdhsa_private_segment_fixed_size 0
		.amdhsa_kernarg_size 400
		.amdhsa_user_sgpr_count 13
		.amdhsa_user_sgpr_dispatch_ptr 0
		.amdhsa_user_sgpr_queue_ptr 0
		.amdhsa_user_sgpr_kernarg_segment_ptr 1
		.amdhsa_user_sgpr_dispatch_id 0
		.amdhsa_user_sgpr_private_segment_size 0
		.amdhsa_wavefront_size32 1
		.amdhsa_uses_dynamic_stack 0
		.amdhsa_enable_private_segment 0
		.amdhsa_system_sgpr_workgroup_id_x 1
		.amdhsa_system_sgpr_workgroup_id_y 1
		.amdhsa_system_sgpr_workgroup_id_z 1
		.amdhsa_system_sgpr_workgroup_info 0
		.amdhsa_system_vgpr_workitem_id 0
		.amdhsa_next_free_vgpr 142
		.amdhsa_next_free_sgpr 39
		.amdhsa_reserve_vcc 1
		.amdhsa_float_round_mode_32 0
		.amdhsa_float_round_mode_16_64 0
		.amdhsa_float_denorm_mode_32 3
		.amdhsa_float_denorm_mode_16_64 3
		.amdhsa_dx10_clamp 1
		.amdhsa_ieee_mode 1
		.amdhsa_fp16_overflow 0
		.amdhsa_workgroup_processor_mode 1
		.amdhsa_memory_ordered 1
		.amdhsa_forward_progress 0
		.amdhsa_shared_vgpr_count 0
		.amdhsa_exception_fp_ieee_invalid_op 0
		.amdhsa_exception_fp_denorm_src 0
		.amdhsa_exception_fp_ieee_div_zero 0
		.amdhsa_exception_fp_ieee_overflow 0
		.amdhsa_exception_fp_ieee_underflow 0
		.amdhsa_exception_fp_ieee_inexact 0
		.amdhsa_exception_int_div_zero 0
	.end_amdhsa_kernel
	.section	.text._Z39paged_attention_ll4mi_QKV_mfma16_kernelI14__hip_bfloat16S0_LN4vllm18Fp8KVCacheDataTypeE0EhLi32ELi64ELi256ELb1ELi5EL8MFMAType0EEvPKT_PKT0_S9_ifPKiSB_SB_iPKfiiiPfSE_PS4_PT2_iSD_SD_,"axG",@progbits,_Z39paged_attention_ll4mi_QKV_mfma16_kernelI14__hip_bfloat16S0_LN4vllm18Fp8KVCacheDataTypeE0EhLi32ELi64ELi256ELb1ELi5EL8MFMAType0EEvPKT_PKT0_S9_ifPKiSB_SB_iPKfiiiPfSE_PS4_PT2_iSD_SD_,comdat
.Lfunc_end502:
	.size	_Z39paged_attention_ll4mi_QKV_mfma16_kernelI14__hip_bfloat16S0_LN4vllm18Fp8KVCacheDataTypeE0EhLi32ELi64ELi256ELb1ELi5EL8MFMAType0EEvPKT_PKT0_S9_ifPKiSB_SB_iPKfiiiPfSE_PS4_PT2_iSD_SD_, .Lfunc_end502-_Z39paged_attention_ll4mi_QKV_mfma16_kernelI14__hip_bfloat16S0_LN4vllm18Fp8KVCacheDataTypeE0EhLi32ELi64ELi256ELb1ELi5EL8MFMAType0EEvPKT_PKT0_S9_ifPKiSB_SB_iPKfiiiPfSE_PS4_PT2_iSD_SD_
                                        ; -- End function
	.section	.AMDGPU.csdata,"",@progbits
; Kernel info:
; codeLenInByte = 9408
; NumSgprs: 41
; NumVgprs: 142
; ScratchSize: 0
; MemoryBound: 0
; FloatMode: 240
; IeeeMode: 1
; LDSByteSize: 17472 bytes/workgroup (compile time only)
; SGPRBlocks: 5
; VGPRBlocks: 17
; NumSGPRsForWavesPerEU: 41
; NumVGPRsForWavesPerEU: 142
; Occupancy: 10
; WaveLimiterHint : 1
; COMPUTE_PGM_RSRC2:SCRATCH_EN: 0
; COMPUTE_PGM_RSRC2:USER_SGPR: 13
; COMPUTE_PGM_RSRC2:TRAP_HANDLER: 0
; COMPUTE_PGM_RSRC2:TGID_X_EN: 1
; COMPUTE_PGM_RSRC2:TGID_Y_EN: 1
; COMPUTE_PGM_RSRC2:TGID_Z_EN: 1
; COMPUTE_PGM_RSRC2:TIDIG_COMP_CNT: 0
	.section	.text._Z39paged_attention_ll4mi_QKV_mfma16_kernelI14__hip_bfloat16S0_LN4vllm18Fp8KVCacheDataTypeE0EhLi32ELi64ELi256ELb1ELi6EL8MFMAType0EEvPKT_PKT0_S9_ifPKiSB_SB_iPKfiiiPfSE_PS4_PT2_iSD_SD_,"axG",@progbits,_Z39paged_attention_ll4mi_QKV_mfma16_kernelI14__hip_bfloat16S0_LN4vllm18Fp8KVCacheDataTypeE0EhLi32ELi64ELi256ELb1ELi6EL8MFMAType0EEvPKT_PKT0_S9_ifPKiSB_SB_iPKfiiiPfSE_PS4_PT2_iSD_SD_,comdat
	.protected	_Z39paged_attention_ll4mi_QKV_mfma16_kernelI14__hip_bfloat16S0_LN4vllm18Fp8KVCacheDataTypeE0EhLi32ELi64ELi256ELb1ELi6EL8MFMAType0EEvPKT_PKT0_S9_ifPKiSB_SB_iPKfiiiPfSE_PS4_PT2_iSD_SD_ ; -- Begin function _Z39paged_attention_ll4mi_QKV_mfma16_kernelI14__hip_bfloat16S0_LN4vllm18Fp8KVCacheDataTypeE0EhLi32ELi64ELi256ELb1ELi6EL8MFMAType0EEvPKT_PKT0_S9_ifPKiSB_SB_iPKfiiiPfSE_PS4_PT2_iSD_SD_
	.globl	_Z39paged_attention_ll4mi_QKV_mfma16_kernelI14__hip_bfloat16S0_LN4vllm18Fp8KVCacheDataTypeE0EhLi32ELi64ELi256ELb1ELi6EL8MFMAType0EEvPKT_PKT0_S9_ifPKiSB_SB_iPKfiiiPfSE_PS4_PT2_iSD_SD_
	.p2align	8
	.type	_Z39paged_attention_ll4mi_QKV_mfma16_kernelI14__hip_bfloat16S0_LN4vllm18Fp8KVCacheDataTypeE0EhLi32ELi64ELi256ELb1ELi6EL8MFMAType0EEvPKT_PKT0_S9_ifPKiSB_SB_iPKfiiiPfSE_PS4_PT2_iSD_SD_,@function
_Z39paged_attention_ll4mi_QKV_mfma16_kernelI14__hip_bfloat16S0_LN4vllm18Fp8KVCacheDataTypeE0EhLi32ELi64ELi256ELb1ELi6EL8MFMAType0EEvPKT_PKT0_S9_ifPKiSB_SB_iPKfiiiPfSE_PS4_PT2_iSD_SD_: ; @_Z39paged_attention_ll4mi_QKV_mfma16_kernelI14__hip_bfloat16S0_LN4vllm18Fp8KVCacheDataTypeE0EhLi32ELi64ELi256ELb1ELi6EL8MFMAType0EEvPKT_PKT0_S9_ifPKiSB_SB_iPKfiiiPfSE_PS4_PT2_iSD_SD_
; %bb.0:
	s_load_b64 s[2:3], s[0:1], 0x30
	s_mov_b32 s30, s13
	s_waitcnt lgkmcnt(0)
	s_cmp_lg_u64 s[2:3], 0
	s_cselect_b32 s6, -1, 0
	s_ashr_i32 s31, s13, 31
	s_cmp_eq_u64 s[2:3], 0
	s_cbranch_scc1 .LBB503_3
; %bb.1:
	s_lshl_b64 s[4:5], s[30:31], 2
	s_delay_alu instid0(SALU_CYCLE_1) | instskip(SKIP_4) | instid1(SALU_CYCLE_1)
	s_add_u32 s4, s2, s4
	s_addc_u32 s5, s3, s5
	s_load_b64 s[4:5], s[4:5], 0x0
	s_waitcnt lgkmcnt(0)
	s_sub_i32 s4, s5, s4
	s_cmp_eq_u32 s4, 1
	s_cselect_b32 s4, -1, 0
	s_delay_alu instid0(SALU_CYCLE_1)
	s_and_not1_b32 vcc_lo, exec_lo, s4
	s_cbranch_vccz .LBB503_4
.LBB503_2:
	s_endpgm
.LBB503_3:
.LBB503_4:
	s_load_b64 s[8:9], s[0:1], 0x28
	s_lshl_b64 s[4:5], s[30:31], 2
	s_waitcnt lgkmcnt(0)
	s_add_u32 s8, s8, s4
	s_addc_u32 s9, s9, s5
	s_lshl_b32 s16, s14, 8
	s_load_b32 s18, s[8:9], 0x0
	s_waitcnt lgkmcnt(0)
	s_cmp_ge_i32 s16, s18
	s_cbranch_scc1 .LBB503_2
; %bb.5:
	s_and_not1_b32 vcc_lo, exec_lo, s6
	s_cbranch_vccnz .LBB503_7
; %bb.6:
	s_add_u32 s2, s2, s4
	s_addc_u32 s3, s3, s5
	s_load_b32 s17, s[2:3], 0x0
	s_branch .LBB503_8
.LBB503_7:
	s_mov_b32 s17, s30
.LBB503_8:
	s_clause 0x2
	s_load_b128 s[8:11], s[0:1], 0x8
	s_load_b64 s[12:13], s[0:1], 0x20
	s_load_b128 s[4:7], s[0:1], 0x48
	v_and_b32_e32 v73, 15, v0
	v_cmp_lt_u32_e32 vcc_lo, 0x5f, v0
	s_delay_alu instid0(VALU_DEP_2) | instskip(SKIP_2) | instid1(VALU_DEP_3)
	v_cmp_lt_u32_e64 s3, 7, v73
	v_lshlrev_b32_e32 v1, 3, v73
	v_cmp_gt_u32_e64 s2, 8, v73
	s_or_b32 s3, vcc_lo, s3
	s_waitcnt lgkmcnt(0)
	s_and_saveexec_b32 s7, s3
	s_delay_alu instid0(SALU_CYCLE_1)
	s_xor_b32 s3, exec_lo, s7
; %bb.9:
	v_mov_b32_e32 v2, 0
; %bb.10:
	s_or_saveexec_b32 s3, s3
	v_lshrrev_b32_e32 v74, 5, v0
	v_and_b32_e32 v75, 31, v0
	v_and_b32_e32 v84, 1, v0
	v_bfe_u32 v83, v0, 4, 1
	s_mul_i32 s31, s15, 6
	s_xor_b32 exec_lo, exec_lo, s3
	s_cbranch_execz .LBB503_12
; %bb.11:
	s_load_b64 s[20:21], s[0:1], 0x0
	v_lshl_or_b32 v7, v74, 1, v83
	s_mul_hi_i32 s23, s17, s4
	s_mul_i32 s22, s17, s4
	v_lshlrev_b32_e32 v4, 1, v1
	s_lshl_b64 s[22:23], s[22:23], 1
	v_add_lshl_u32 v2, v7, s31, 6
	v_lshlrev_b32_e32 v7, 6, v7
	v_lshlrev_b32_e32 v8, 10, v84
	s_delay_alu instid0(VALU_DEP_3) | instskip(NEXT) | instid1(VALU_DEP_1)
	v_ashrrev_i32_e32 v3, 31, v2
	v_lshlrev_b64 v[2:3], 1, v[2:3]
	s_waitcnt lgkmcnt(0)
	s_add_u32 s4, s20, s22
	s_addc_u32 s7, s21, s23
	s_delay_alu instid0(VALU_DEP_1) | instskip(NEXT) | instid1(VALU_DEP_2)
	v_add_co_u32 v2, vcc_lo, s4, v2
	v_add_co_ci_u32_e32 v3, vcc_lo, s7, v3, vcc_lo
	s_delay_alu instid0(VALU_DEP_2) | instskip(NEXT) | instid1(VALU_DEP_2)
	v_add_co_u32 v2, vcc_lo, v2, v4
	v_add_co_ci_u32_e32 v3, vcc_lo, 0, v3, vcc_lo
	global_load_b128 v[3:6], v[2:3], off
	v_lshlrev_b32_e32 v2, 10, v73
	s_delay_alu instid0(VALU_DEP_1) | instskip(NEXT) | instid1(VALU_DEP_1)
	v_and_b32_e32 v2, 0x3800, v2
	v_or3_b32 v7, v2, v8, v7
	v_mov_b32_e32 v2, 0
	s_waitcnt vmcnt(0)
	ds_store_b128 v7, v[3:6]
.LBB503_12:
	s_or_b32 exec_lo, exec_lo, s3
	v_and_b32_e32 v3, 0xef, v0
	s_add_i32 s3, s18, 31
	s_clause 0x1
	s_load_b32 s4, s[0:1], 0x38
	s_load_b32 s19, s[0:1], 0x1c
	s_ashr_i32 s7, s3, 31
	v_add_nc_u32_e32 v3, s16, v3
	s_lshr_b32 s7, s7, 27
	s_waitcnt lgkmcnt(0)
	s_add_i32 s3, s3, s7
	s_barrier
	v_ashrrev_i32_e32 v4, 31, v3
	v_cmp_gt_i32_e32 vcc_lo, s18, v3
	s_ashr_i32 s3, s3, 5
	buffer_gl0_inv
	s_add_i32 s3, s3, -1
	v_lshrrev_b32_e32 v5, 27, v4
	v_or_b32_e32 v4, 16, v3
	s_mul_i32 s6, s15, s6
	v_lshlrev_b64 v[81:82], 1, v[1:2]
	s_delay_alu instid0(VALU_DEP_3) | instskip(NEXT) | instid1(VALU_DEP_3)
	v_add_nc_u32_e32 v6, v3, v5
	v_add_nc_u32_e32 v5, v4, v5
	s_mul_i32 s20, s30, s4
	s_delay_alu instid0(SALU_CYCLE_1) | instskip(NEXT) | instid1(VALU_DEP_2)
	s_ashr_i32 s21, s20, 31
	v_ashrrev_i32_e32 v6, 5, v6
	s_delay_alu instid0(VALU_DEP_2) | instskip(SKIP_1) | instid1(SALU_CYCLE_1)
	v_ashrrev_i32_e32 v5, 5, v5
	s_lshl_b64 s[20:21], s[20:21], 2
	s_add_u32 s4, s12, s20
	s_delay_alu instid0(VALU_DEP_2) | instskip(SKIP_3) | instid1(SALU_CYCLE_1)
	v_cndmask_b32_e32 v3, s3, v6, vcc_lo
	v_cmp_gt_i32_e32 vcc_lo, s18, v4
	s_addc_u32 s17, s13, s21
	s_ashr_i32 s7, s6, 31
	s_lshl_b64 s[6:7], s[6:7], 1
	v_cndmask_b32_e32 v5, s3, v5, vcc_lo
	v_ashrrev_i32_e32 v4, 31, v3
	s_add_u32 s15, s8, s6
	s_addc_u32 s28, s9, s7
	s_lshl_b32 s8, s14, 3
	v_ashrrev_i32_e32 v6, 31, v5
	v_lshlrev_b64 v[3:4], 2, v[3:4]
	s_ashr_i32 s9, s8, 31
	s_delay_alu instid0(SALU_CYCLE_1) | instskip(NEXT) | instid1(VALU_DEP_2)
	s_lshl_b64 s[8:9], s[8:9], 2
	v_lshlrev_b64 v[5:6], 2, v[5:6]
	s_add_u32 s8, s4, s8
	s_delay_alu instid0(VALU_DEP_2) | instskip(SKIP_1) | instid1(VALU_DEP_3)
	v_add_co_u32 v3, vcc_lo, s4, v3
	v_add_co_ci_u32_e32 v4, vcc_lo, s17, v4, vcc_lo
	v_add_co_u32 v5, vcc_lo, s4, v5
	s_delay_alu instid0(VALU_DEP_4)
	v_add_co_ci_u32_e32 v6, vcc_lo, s17, v6, vcc_lo
	s_addc_u32 s9, s17, s9
	s_clause 0x1
	global_load_b32 v7, v[3:4], off
	global_load_b32 v8, v[5:6], off
	s_or_b32 s12, s16, 32
	s_delay_alu instid0(SALU_CYCLE_1) | instskip(SKIP_2) | instid1(SALU_CYCLE_1)
	s_ashr_i32 s13, s12, 5
	s_cmp_lt_i32 s12, s18
	s_cselect_b32 s12, s13, s3
	s_ashr_i32 s13, s12, 31
	s_delay_alu instid0(SALU_CYCLE_1) | instskip(NEXT) | instid1(SALU_CYCLE_1)
	s_lshl_b64 s[12:13], s[12:13], 2
	s_add_u32 s12, s4, s12
	s_addc_u32 s13, s17, s13
	s_or_b32 s20, s16, 64
	s_delay_alu instid0(SALU_CYCLE_1) | instskip(SKIP_2) | instid1(SALU_CYCLE_1)
	s_ashr_i32 s21, s20, 5
	s_cmp_lt_i32 s20, s18
	s_cselect_b32 s20, s21, s3
	s_ashr_i32 s21, s20, 31
	s_delay_alu instid0(SALU_CYCLE_1) | instskip(NEXT) | instid1(SALU_CYCLE_1)
	s_lshl_b64 s[20:21], s[20:21], 2
	s_add_u32 s20, s4, s20
	s_addc_u32 s21, s17, s21
	;; [unrolled: 10-line block ×5, first 2 shown]
	s_clause 0x5
	s_load_b32 s29, s[8:9], 0x0
	s_load_b32 s33, s[12:13], 0x0
	s_load_b32 s34, s[20:21], 0x0
	s_load_b32 s35, s[22:23], 0x0
	s_load_b32 s36, s[24:25], 0x0
	s_load_b32 s37, s[26:27], 0x0
	s_or_b32 s8, s16, 0xc0
	s_mov_b32 s20, 0
	s_ashr_i32 s9, s8, 5
	s_cmp_lt_i32 s8, s18
	s_mov_b32 s27, s20
	s_cselect_b32 s8, s9, s3
	s_mov_b32 s21, s20
	s_ashr_i32 s9, s8, 31
	s_mov_b32 s22, s20
	s_lshl_b64 s[8:9], s[8:9], 2
	s_mov_b32 s23, s20
	s_add_u32 s8, s4, s8
	s_mov_b32 s24, s20
	s_mov_b32 s25, s20
	s_mov_b32 s26, s20
	s_addc_u32 s9, s17, s9
	v_mov_b32_e32 v117, s27
	v_dual_mov_b32 v110, s20 :: v_dual_lshlrev_b32 v85, 6, v73
	v_dual_mov_b32 v116, s26 :: v_dual_mov_b32 v115, s25
	v_dual_mov_b32 v114, s24 :: v_dual_mov_b32 v113, s23
	;; [unrolled: 1-line block ×3, first 2 shown]
	s_waitcnt lgkmcnt(0)
	s_mul_hi_i32 s13, s29, s5
	s_mul_i32 s12, s29, s5
	v_lshl_or_b32 v58, v74, 10, v85
	s_mul_hi_i32 s21, s33, s5
	s_mul_i32 s20, s33, s5
	s_mul_hi_i32 s25, s34, s5
	s_mul_i32 s24, s34, s5
	s_mul_hi_i32 s27, s35, s5
	s_mul_i32 s26, s35, s5
	s_mul_hi_i32 s35, s37, s5
	s_mul_i32 s34, s37, s5
	s_waitcnt vmcnt(1)
	v_mad_i64_i32 v[3:4], null, v7, s5, 0
	s_waitcnt vmcnt(0)
	v_mad_i64_i32 v[5:6], null, v8, s5, 0
	s_delay_alu instid0(VALU_DEP_2) | instskip(NEXT) | instid1(VALU_DEP_2)
	v_lshlrev_b64 v[3:4], 1, v[3:4]
	v_lshlrev_b64 v[1:2], 1, v[5:6]
	s_delay_alu instid0(VALU_DEP_2) | instskip(NEXT) | instid1(VALU_DEP_3)
	v_add_co_u32 v3, vcc_lo, s15, v3
	v_add_co_ci_u32_e32 v4, vcc_lo, s28, v4, vcc_lo
	s_delay_alu instid0(VALU_DEP_3) | instskip(NEXT) | instid1(VALU_DEP_4)
	v_add_co_u32 v1, vcc_lo, s15, v1
	v_add_co_ci_u32_e32 v2, vcc_lo, s28, v2, vcc_lo
	s_delay_alu instid0(VALU_DEP_4) | instskip(NEXT) | instid1(VALU_DEP_4)
	v_add_co_u32 v41, vcc_lo, v3, v81
	v_add_co_ci_u32_e32 v42, vcc_lo, v4, v82, vcc_lo
	s_delay_alu instid0(VALU_DEP_4) | instskip(NEXT) | instid1(VALU_DEP_4)
	v_add_co_u32 v43, vcc_lo, v1, v81
	v_add_co_ci_u32_e32 v44, vcc_lo, v2, v82, vcc_lo
	s_clause 0xf
	global_load_b128 v[1:4], v[41:42], off
	global_load_b128 v[5:8], v[41:42], off offset:512
	global_load_b128 v[9:12], v[43:44], off offset:256
	;; [unrolled: 1-line block ×15, first 2 shown]
	v_mul_lo_u16 v41, v73, 43
	s_or_b32 s15, s16, 0xe0
	s_delay_alu instid0(SALU_CYCLE_1) | instskip(SKIP_1) | instid1(VALU_DEP_1)
	s_ashr_i32 s22, s15, 5
	s_cmp_lt_i32 s15, s18
	v_lshrrev_b16 v41, 8, v41
	s_cselect_b32 s22, s22, s3
	s_delay_alu instid0(SALU_CYCLE_1) | instskip(NEXT) | instid1(VALU_DEP_1)
	s_ashr_i32 s23, s22, 31
	v_mul_lo_u16 v41, v41, 6
	s_lshl_b64 s[22:23], s[22:23], 2
	s_delay_alu instid0(SALU_CYCLE_1) | instskip(SKIP_1) | instid1(VALU_DEP_1)
	s_add_u32 s22, s4, s22
	s_addc_u32 s23, s17, s23
	v_sub_nc_u16 v41, v73, v41
	s_add_i32 s15, s16, 0x100
	s_delay_alu instid0(SALU_CYCLE_1) | instskip(SKIP_1) | instid1(VALU_DEP_1)
	s_ashr_i32 s28, s15, 5
	s_cmp_lt_i32 s15, s18
	v_and_b32_e32 v41, 0xff, v41
	s_cselect_b32 s28, s28, s3
	s_delay_alu instid0(SALU_CYCLE_1) | instskip(NEXT) | instid1(VALU_DEP_1)
	s_ashr_i32 s29, s28, 31
	v_lshlrev_b32_e32 v57, 6, v41
	ds_load_b128 v[41:44], v57
	ds_load_b128 v[45:48], v57 offset:1024
	ds_load_b128 v[49:52], v57 offset:2048
	;; [unrolled: 1-line block ×7, first 2 shown]
	s_lshl_b64 s[28:29], s[28:29], 2
	s_load_b32 s15, s[8:9], 0x0
	s_add_u32 s28, s4, s28
	s_addc_u32 s29, s17, s29
	s_add_u32 s3, s10, s6
	s_clause 0x1
	s_load_b32 s4, s[22:23], 0x0
	s_load_b32 s17, s[28:29], 0x0
	s_addc_u32 s28, s11, s7
	v_add_co_u32 v76, s3, s3, v58
	s_delay_alu instid0(VALU_DEP_1) | instskip(SKIP_2) | instid1(VALU_DEP_2)
	v_add_co_ci_u32_e64 v77, null, s28, 0, s3
	s_lshl_b64 s[6:7], s[12:13], 1
	s_lshl_b64 s[10:11], s[20:21], 1
	v_add_co_u32 v57, vcc_lo, v76, s6
	s_delay_alu instid0(VALU_DEP_2)
	v_add_co_ci_u32_e32 v58, vcc_lo, s7, v77, vcc_lo
	s_lshl_b64 s[12:13], s[24:25], 1
	s_lshl_b64 s[20:21], s[26:27], 1
	s_mul_hi_i32 s9, s36, s5
	s_mul_i32 s8, s36, s5
	s_lshl_b64 s[22:23], s[34:35], 1
	s_lshl_b64 s[8:9], s[8:9], 1
	s_waitcnt lgkmcnt(0)
	s_mul_hi_i32 s25, s15, s5
	s_mul_i32 s24, s15, s5
	s_clause 0x1
	global_load_b128 v[65:68], v[57:58], off
	global_load_b128 v[69:72], v[57:58], off offset:16
	s_lshl_b64 s[6:7], s[24:25], 1
	s_waitcnt vmcnt(16)
	v_wmma_f32_16x16x16_bf16 v[134:141], v[1:8], v[41:48], v[110:117]
	v_add_co_u32 v1, vcc_lo, v76, s10
	v_add_co_ci_u32_e32 v2, vcc_lo, s11, v77, vcc_lo
	s_waitcnt vmcnt(12)
	s_delay_alu instid0(VALU_DEP_3) | instskip(SKIP_3) | instid1(VALU_DEP_3)
	v_wmma_f32_16x16x16_bf16 v[134:141], v[17:24], v[49:56], v[134:141]
	v_add_co_u32 v3, vcc_lo, v76, s12
	v_add_co_ci_u32_e32 v4, vcc_lo, s13, v77, vcc_lo
	s_waitcnt vmcnt(8)
	v_wmma_f32_16x16x16_bf16 v[134:141], v[33:40], v[118:125], v[134:141]
	v_add_co_u32 v5, vcc_lo, v76, s20
	v_add_co_ci_u32_e32 v6, vcc_lo, s21, v77, vcc_lo
	s_waitcnt vmcnt(4)
	s_delay_alu instid0(VALU_DEP_3) | instskip(SKIP_2) | instid1(VALU_DEP_3)
	v_wmma_f32_16x16x16_bf16 v[134:141], v[94:101], v[126:133], v[134:141]
	v_add_co_u32 v7, vcc_lo, v76, s8
	v_add_co_ci_u32_e32 v8, vcc_lo, s9, v77, vcc_lo
	v_mul_f32_e32 v100, s19, v141
	v_wmma_f32_16x16x16_bf16 v[110:117], v[9:16], v[41:48], v[110:117]
	s_clause 0x1
	global_load_b128 v[57:60], v[1:2], off
	global_load_b128 v[61:64], v[1:2], off offset:16
	s_mul_hi_i32 s9, s4, s5
	s_mul_i32 s8, s4, s5
	v_wmma_f32_16x16x16_bf16 v[110:117], v[25:32], v[49:56], v[110:117]
	s_clause 0x5
	global_load_b128 v[49:52], v[3:4], off
	global_load_b128 v[53:56], v[3:4], off offset:16
	global_load_b128 v[41:44], v[5:6], off
	global_load_b128 v[45:48], v[5:6], off offset:16
	;; [unrolled: 2-line block ×3, first 2 shown]
	v_add_co_u32 v5, vcc_lo, v76, s22
	v_add_co_ci_u32_e32 v6, vcc_lo, s23, v77, vcc_lo
	v_add_co_u32 v17, vcc_lo, v76, s6
	v_add_co_ci_u32_e32 v18, vcc_lo, s7, v77, vcc_lo
	s_lshl_b64 s[6:7], s[8:9], 1
	s_mul_hi_i32 s9, s17, s5
	s_mul_i32 s8, s17, s5
	v_add_co_u32 v19, vcc_lo, v76, s6
	s_lshl_b64 s[4:5], s[8:9], 1
	v_add_co_ci_u32_e32 v20, vcc_lo, s7, v77, vcc_lo
	v_add_co_u32 v21, vcc_lo, v76, s4
	v_add_co_ci_u32_e32 v22, vcc_lo, s5, v77, vcc_lo
	s_clause 0x7
	global_load_b128 v[1:4], v[5:6], off
	global_load_b128 v[5:8], v[5:6], off offset:16
	global_load_b128 v[33:36], v[17:18], off
	global_load_b128 v[37:40], v[17:18], off offset:16
	;; [unrolled: 2-line block ×4, first 2 shown]
	v_and_b32_e32 v76, 0xe0, v0
	v_mbcnt_lo_u32_b32 v77, -1, 0
	v_wmma_f32_16x16x16_bf16 v[110:117], v[86:93], v[118:125], v[110:117]
	s_waitcnt vmcnt(0)
	s_barrier
	v_add_nc_u32_e32 v76, s16, v76
	v_xor_b32_e32 v78, 16, v77
	v_wmma_f32_16x16x16_bf16 v[110:117], v[102:109], v[126:133], v[110:117]
	v_mul_f32_e32 v97, s19, v134
	v_mul_f32_e32 v99, s19, v135
	v_or_b32_e32 v76, v76, v83
	v_cmp_gt_i32_e32 vcc_lo, 32, v78
	buffer_gl0_inv
	v_or_b32_e32 v79, 4, v76
	v_cndmask_b32_e32 v77, v77, v78, vcc_lo
	v_or_b32_e32 v78, 2, v76
	v_or_b32_e32 v80, 6, v76
	;; [unrolled: 1-line block ×3, first 2 shown]
	v_cmp_gt_i32_e32 vcc_lo, s18, v76
	v_or_b32_e32 v87, 10, v76
	v_cmp_gt_i32_e64 s3, s18, v78
	v_or_b32_e32 v88, 12, v76
	v_or_b32_e32 v89, 14, v76
	;; [unrolled: 1-line block ×10, first 2 shown]
	v_cndmask_b32_e64 v78, 0xff7fffff, v99, s3
	v_mul_f32_e32 v99, s19, v137
	v_cmp_gt_i32_e64 s4, s18, v80
	v_mul_f32_e32 v80, s19, v136
	v_cmp_gt_i32_e64 s5, s18, v79
	v_cmp_gt_i32_e64 s6, s18, v86
	v_mul_f32_e32 v86, s19, v116
	v_cndmask_b32_e32 v76, 0xff7fffff, v97, vcc_lo
	v_mul_f32_e32 v79, s19, v139
	v_cndmask_b32_e64 v80, 0xff7fffff, v80, s5
	v_cndmask_b32_e64 v99, 0xff7fffff, v99, s4
	v_cmp_gt_i32_e64 s7, s18, v87
	v_max3_f32 v76, v76, 0xff7fffff, v78
	v_dual_mul_f32 v78, s19, v138 :: v_dual_mul_f32 v97, s19, v140
	v_cmp_gt_i32_e64 s8, s18, v89
	s_delay_alu instid0(VALU_DEP_4) | instskip(NEXT) | instid1(VALU_DEP_4)
	v_cndmask_b32_e64 v79, 0xff7fffff, v79, s7
	v_max3_f32 v76, v76, v80, v99
	s_delay_alu instid0(VALU_DEP_4) | instskip(SKIP_3) | instid1(VALU_DEP_4)
	v_cndmask_b32_e64 v78, 0xff7fffff, v78, s6
	v_cmp_gt_i32_e64 s9, s18, v88
	v_dual_mul_f32 v88, s19, v111 :: v_dual_mul_f32 v89, s19, v110
	v_cndmask_b32_e64 v100, 0xff7fffff, v100, s8
	v_max3_f32 v76, v76, v78, v79
	s_delay_alu instid0(VALU_DEP_4) | instskip(SKIP_3) | instid1(VALU_DEP_4)
	v_cndmask_b32_e64 v97, 0xff7fffff, v97, s9
	v_cmp_gt_i32_e64 s10, s18, v90
	v_cmp_gt_i32_e64 s11, s18, v91
	v_dual_mul_f32 v78, s19, v113 :: v_dual_mul_f32 v79, s19, v112
	v_max3_f32 v76, v76, v97, v100
	s_delay_alu instid0(VALU_DEP_4) | instskip(NEXT) | instid1(VALU_DEP_4)
	v_cndmask_b32_e64 v89, 0xff7fffff, v89, s10
	v_cndmask_b32_e64 v88, 0xff7fffff, v88, s11
	v_cmp_gt_i32_e64 s12, s18, v92
	v_cmp_gt_i32_e64 s13, s18, v93
	v_mul_f32_e32 v87, s19, v115
	v_mul_f32_e32 v99, s19, v114
	v_max3_f32 v76, v76, v89, v88
	v_cndmask_b32_e64 v79, 0xff7fffff, v79, s12
	v_cndmask_b32_e64 v78, 0xff7fffff, v78, s13
	v_cmp_gt_i32_e64 s15, s18, v94
	v_cmp_gt_i32_e64 s16, s18, v95
	v_mul_f32_e32 v80, s19, v117
	v_cmp_gt_i32_e64 s17, s18, v96
	v_max3_f32 v76, v76, v79, v78
	v_cndmask_b32_e64 v88, 0xff7fffff, v99, s15
	v_cndmask_b32_e64 v87, 0xff7fffff, v87, s16
	v_cmp_gt_i32_e64 s18, s18, v98
	v_cndmask_b32_e64 v78, 0xff7fffff, v86, s17
	v_lshlrev_b32_e32 v99, 2, v77
	s_delay_alu instid0(VALU_DEP_4) | instskip(NEXT) | instid1(VALU_DEP_4)
	v_max3_f32 v76, v76, v88, v87
	v_cndmask_b32_e64 v79, 0xff7fffff, v80, s18
	s_delay_alu instid0(VALU_DEP_1) | instskip(SKIP_3) | instid1(VALU_DEP_1)
	v_max3_f32 v76, v76, v78, v79
	ds_bpermute_b32 v77, v99, v76
	s_waitcnt lgkmcnt(0)
	v_max_f32_e32 v77, v77, v77
	v_max_f32_e32 v76, v76, v77
	s_delay_alu instid0(VALU_DEP_1)
	v_fma_f32 v86, s19, v138, -v76
	v_fma_f32 v77, s19, v134, -v76
	;; [unrolled: 1-line block ×5, first 2 shown]
	v_mul_f32_e32 v86, 0x3fb8aa3b, v86
	v_fma_f32 v88, s19, v114, -v76
	s_delay_alu instid0(VALU_DEP_4) | instskip(NEXT) | instid1(VALU_DEP_4)
	v_dual_mul_f32 v78, 0x3fb8aa3b, v78 :: v_dual_mul_f32 v79, 0x3fb8aa3b, v79
	v_mul_f32_e32 v80, 0x3fb8aa3b, v80
	s_delay_alu instid0(VALU_DEP_4) | instskip(SKIP_1) | instid1(VALU_DEP_3)
	v_exp_f32_e32 v86, v86
	v_fma_f32 v87, s19, v140, -v76
	v_exp_f32_e32 v78, v78
	v_exp_f32_e32 v79, v79
	;; [unrolled: 1-line block ×3, first 2 shown]
	s_delay_alu instid0(VALU_DEP_1)
	v_dual_mul_f32 v88, 0x3fb8aa3b, v88 :: v_dual_mul_f32 v87, 0x3fb8aa3b, v87
	v_fma_f32 v100, s19, v117, -v76
	v_fma_f32 v90, s19, v116, -v76
	v_cndmask_b32_e64 v96, 0, v86, s6
	v_fma_f32 v86, s19, v111, -v76
	v_mul_f32_e32 v77, 0x3fb8aa3b, v77
	s_delay_alu instid0(TRANS32_DEP_3) | instskip(NEXT) | instid1(TRANS32_DEP_2)
	v_cndmask_b32_e64 v91, 0, v78, s3
	v_cndmask_b32_e64 v93, 0, v79, s5
	s_delay_alu instid0(TRANS32_DEP_1)
	v_cndmask_b32_e64 v95, 0, v80, s4
	v_mul_f32_e32 v86, 0x3fb8aa3b, v86
	v_exp_f32_e32 v77, v77
	v_fma_f32 v79, s19, v141, -v76
	v_fma_f32 v80, s19, v110, -v76
	v_exp_f32_e32 v87, v87
	v_exp_f32_e32 v86, v86
	s_delay_alu instid0(VALU_DEP_2) | instskip(NEXT) | instid1(VALU_DEP_2)
	v_dual_mul_f32 v100, 0x3fb8aa3b, v100 :: v_dual_mul_f32 v79, 0x3fb8aa3b, v79
	v_mul_f32_e32 v80, 0x3fb8aa3b, v80
	v_exp_f32_e32 v88, v88
	s_mov_b32 s3, exec_lo
	v_cndmask_b32_e32 v92, 0, v77, vcc_lo
	v_fma_f32 v77, s19, v139, -v76
	v_exp_f32_e32 v79, v79
	v_exp_f32_e32 v80, v80
	v_cndmask_b32_e64 v94, 0, v87, s9
	s_delay_alu instid0(VALU_DEP_2) | instskip(SKIP_2) | instid1(VALU_DEP_2)
	v_dual_add_f32 v78, 0, v92 :: v_dual_mul_f32 v77, 0x3fb8aa3b, v77
	v_fma_f32 v87, s19, v113, -v76
	v_exp_f32_e32 v100, v100
	v_add_f32_e32 v78, v78, v91
	s_delay_alu instid0(VALU_DEP_3) | instskip(SKIP_1) | instid1(VALU_DEP_2)
	v_exp_f32_e32 v77, v77
	v_cndmask_b32_e64 v98, 0, v79, s8
	v_dual_mul_f32 v87, 0x3fb8aa3b, v87 :: v_dual_add_f32 v78, v78, v93
	s_delay_alu instid0(VALU_DEP_1) | instskip(NEXT) | instid1(VALU_DEP_1)
	v_exp_f32_e32 v87, v87
	v_add_f32_e32 v78, v78, v95
	s_waitcnt_depctr 0xfff
	v_cndmask_b32_e64 v97, 0, v77, s7
	v_add_f32_e32 v77, v78, v96
	v_fma_f32 v78, s19, v112, -v76
	s_delay_alu instid0(VALU_DEP_1) | instskip(NEXT) | instid1(VALU_DEP_1)
	v_mul_f32_e32 v78, 0x3fb8aa3b, v78
	v_exp_f32_e32 v89, v78
	v_cndmask_b32_e64 v78, 0, v86, s11
	v_add_f32_e32 v77, v77, v97
	s_delay_alu instid0(VALU_DEP_1) | instskip(SKIP_2) | instid1(VALU_DEP_1)
	v_add_f32_e32 v79, v77, v94
	v_cndmask_b32_e64 v77, 0, v80, s10
	v_fma_f32 v80, s19, v115, -v76
	v_dual_add_f32 v79, v79, v98 :: v_dual_mul_f32 v80, 0x3fb8aa3b, v80
	s_delay_alu instid0(VALU_DEP_1) | instskip(NEXT) | instid1(TRANS32_DEP_1)
	v_add_f32_e32 v86, v79, v77
	v_cndmask_b32_e64 v79, 0, v89, s12
	v_mul_f32_e32 v89, 0x3fb8aa3b, v90
	s_delay_alu instid0(VALU_DEP_4) | instskip(SKIP_2) | instid1(VALU_DEP_3)
	v_exp_f32_e32 v90, v80
	v_cndmask_b32_e64 v80, 0, v87, s13
	v_add_f32_e32 v86, v86, v78
	v_exp_f32_e32 v89, v89
	s_delay_alu instid0(VALU_DEP_1) | instskip(SKIP_1) | instid1(VALU_DEP_2)
	v_add_f32_e32 v87, v86, v79
	v_cndmask_b32_e64 v86, 0, v88, s15
	v_add_f32_e32 v88, v87, v80
	s_delay_alu instid0(TRANS32_DEP_2) | instskip(NEXT) | instid1(VALU_DEP_2)
	v_cndmask_b32_e64 v87, 0, v90, s16
	v_add_f32_e32 v90, v88, v86
	s_waitcnt_depctr 0xfff
	v_cndmask_b32_e64 v88, 0, v89, s17
	v_add_f32_e32 v89, v90, v87
	s_delay_alu instid0(VALU_DEP_1) | instskip(SKIP_1) | instid1(VALU_DEP_1)
	v_add_f32_e32 v90, v89, v88
	v_cndmask_b32_e64 v89, 0, v100, s18
	v_add_f32_e32 v90, v90, v89
	ds_bpermute_b32 v99, v99, v90
	v_cmpx_gt_u32_e32 16, v75
	s_cbranch_execz .LBB503_14
; %bb.13:
	v_mul_u32_u24_e32 v75, 0x44, v74
	s_waitcnt lgkmcnt(0)
	v_add_f32_e32 v90, v90, v99
	s_delay_alu instid0(VALU_DEP_2) | instskip(NEXT) | instid1(VALU_DEP_1)
	v_lshl_add_u32 v75, v73, 2, v75
	v_add_nc_u32_e32 v75, 0x4000, v75
	ds_store_2addr_b32 v75, v76, v90 offset1:136
.LBB503_14:
	s_or_b32 exec_lo, exec_lo, s3
	v_lshlrev_b32_e32 v75, 2, v73
	s_waitcnt lgkmcnt(0)
	s_barrier
	buffer_gl0_inv
	v_cmp_eq_u32_e64 s3, 1, v74
	v_add_nc_u32_e32 v90, 0x4000, v75
	ds_load_2addr_b32 v[99:100], v90 offset1:17
	ds_load_2addr_b32 v[101:102], v90 offset0:34 offset1:51
	ds_load_2addr_b32 v[103:104], v90 offset0:68 offset1:85
	;; [unrolled: 1-line block ×4, first 2 shown]
	s_waitcnt lgkmcnt(4)
	v_max3_f32 v75, v99, 0xff7fffff, v100
	s_waitcnt lgkmcnt(3)
	s_delay_alu instid0(VALU_DEP_1) | instskip(SKIP_1) | instid1(VALU_DEP_1)
	v_max3_f32 v75, v75, v101, v102
	s_waitcnt lgkmcnt(2)
	v_max3_f32 v75, v75, v103, v104
	s_waitcnt lgkmcnt(1)
	s_delay_alu instid0(VALU_DEP_1) | instskip(NEXT) | instid1(VALU_DEP_1)
	v_max3_f32 v75, v75, v105, v106
	v_sub_f32_e32 v109, v100, v75
	v_sub_f32_e32 v76, v99, v75
	ds_load_2addr_b32 v[99:100], v90 offset0:170 offset1:187
	v_sub_f32_e32 v101, v101, v75
	v_dual_mul_f32 v109, 0x3fb8aa3b, v109 :: v_dual_mul_f32 v76, 0x3fb8aa3b, v76
	s_delay_alu instid0(VALU_DEP_2) | instskip(NEXT) | instid1(VALU_DEP_2)
	v_mul_f32_e32 v111, 0x3fb8aa3b, v101
	v_exp_f32_e32 v109, v109
	s_delay_alu instid0(VALU_DEP_2)
	v_exp_f32_e32 v110, v76
	v_sub_f32_e32 v76, v102, v75
	ds_load_2addr_b32 v[101:102], v90 offset0:204 offset1:221
	v_exp_f32_e32 v111, v111
	v_mul_f32_e32 v112, 0x3fb8aa3b, v76
	s_waitcnt lgkmcnt(2)
	v_fma_f32 v76, v110, v107, 0
	v_sub_f32_e32 v103, v103, v75
	s_delay_alu instid0(VALU_DEP_3) | instskip(NEXT) | instid1(VALU_DEP_2)
	v_exp_f32_e32 v112, v112
	v_dual_sub_f32 v107, v104, v75 :: v_dual_fmac_f32 v76, v109, v108
	s_waitcnt lgkmcnt(1)
	s_waitcnt_depctr 0xfff
	v_fmac_f32_e32 v76, v111, v99
	v_mul_f32_e32 v113, 0x3fb8aa3b, v103
	ds_load_2addr_b32 v[103:104], v90 offset0:238 offset1:255
	v_sub_f32_e32 v90, v105, v75
	v_dual_sub_f32 v99, v106, v75 :: v_dual_fmac_f32 v76, v112, v100
	v_mul_f32_e32 v105, 0x3fb8aa3b, v107
	v_exp_f32_e32 v107, v113
	s_delay_alu instid0(VALU_DEP_2)
	v_dual_mul_f32 v90, 0x3fb8aa3b, v90 :: v_dual_mul_f32 v99, 0x3fb8aa3b, v99
	s_waitcnt lgkmcnt(0)
	s_barrier
	buffer_gl0_inv
	v_exp_f32_e32 v90, v90
	v_exp_f32_e32 v99, v99
	v_fmac_f32_e32 v76, v107, v101
	v_exp_f32_e32 v105, v105
	s_waitcnt_depctr 0xfff
	v_fmac_f32_e32 v76, v105, v102
	s_delay_alu instid0(VALU_DEP_1) | instskip(NEXT) | instid1(VALU_DEP_1)
	v_fmac_f32_e32 v76, v90, v103
	v_fmac_f32_e32 v76, v99, v104
	s_delay_alu instid0(VALU_DEP_1) | instskip(NEXT) | instid1(VALU_DEP_1)
	v_add_f32_e32 v100, 0x358637bd, v76
	v_div_scale_f32 v101, null, v100, v100, 1.0
	v_div_scale_f32 v104, vcc_lo, 1.0, v100, 1.0
	s_delay_alu instid0(VALU_DEP_2) | instskip(SKIP_2) | instid1(VALU_DEP_1)
	v_rcp_f32_e32 v102, v101
	s_waitcnt_depctr 0xfff
	v_fma_f32 v103, -v101, v102, 1.0
	v_fmac_f32_e32 v102, v103, v102
	v_cndmask_b32_e64 v103, v110, v109, s3
	v_cmp_eq_u32_e64 s3, 2, v74
	s_delay_alu instid0(VALU_DEP_3) | instskip(NEXT) | instid1(VALU_DEP_2)
	v_mul_f32_e32 v106, v104, v102
	v_cndmask_b32_e64 v103, v103, v111, s3
	v_cmp_eq_u32_e64 s3, 3, v74
	s_delay_alu instid0(VALU_DEP_3) | instskip(NEXT) | instid1(VALU_DEP_2)
	v_fma_f32 v108, -v101, v106, v104
	v_cndmask_b32_e64 v103, v103, v112, s3
	v_cmp_eq_u32_e64 s3, 4, v74
	s_delay_alu instid0(VALU_DEP_3) | instskip(NEXT) | instid1(VALU_DEP_2)
	v_fmac_f32_e32 v106, v108, v102
	v_cndmask_b32_e64 v103, v103, v107, s3
	s_delay_alu instid0(VALU_DEP_2) | instskip(SKIP_1) | instid1(VALU_DEP_2)
	v_fma_f32 v101, -v101, v106, v104
	v_cmp_eq_u32_e64 s3, 5, v74
	v_div_fmas_f32 v101, v101, v102, v106
	s_delay_alu instid0(VALU_DEP_2) | instskip(SKIP_2) | instid1(VALU_DEP_3)
	v_cndmask_b32_e64 v103, v103, v105, s3
	v_cmp_eq_u32_e32 vcc_lo, 6, v74
	s_mov_b32 s3, exec_lo
	v_div_fixup_f32 v100, v101, v100, 1.0
	s_delay_alu instid0(VALU_DEP_3) | instskip(SKIP_1) | instid1(VALU_DEP_2)
	v_cndmask_b32_e32 v90, v103, v90, vcc_lo
	v_cmp_eq_u32_e32 vcc_lo, 7, v74
	v_cndmask_b32_e32 v90, v90, v99, vcc_lo
	s_delay_alu instid0(VALU_DEP_1) | instskip(NEXT) | instid1(VALU_DEP_1)
	v_mul_f32_e32 v90, v90, v100
	v_mul_f32_e32 v100, v90, v92
	v_mul_f32_e32 v92, v90, v98
	v_mul_f32_e32 v94, v90, v94
	v_mul_f32_e32 v97, v90, v97
	v_mul_f32_e32 v98, v90, v96
	v_and_b32_e32 v101, 0x7f800000, v100
	v_mul_f32_e32 v99, v90, v95
	v_mul_f32_e32 v95, v90, v91
	;; [unrolled: 1-line block ×3, first 2 shown]
                                        ; implicit-def: $vgpr91
	s_delay_alu instid0(VALU_DEP_4)
	v_cmpx_ne_u32_e32 0x7f800000, v101
	s_xor_b32 s3, exec_lo, s3
; %bb.15:
	v_bfe_u32 v91, v100, 16, 1
	s_delay_alu instid0(VALU_DEP_1)
	v_add3_u32 v91, v100, v91, 0x7fff
                                        ; implicit-def: $vgpr100
; %bb.16:
	s_and_not1_saveexec_b32 s3, s3
; %bb.17:
	v_and_b32_e32 v91, 0xffff, v100
	v_or_b32_e32 v93, 0x10000, v100
	s_delay_alu instid0(VALU_DEP_2) | instskip(NEXT) | instid1(VALU_DEP_2)
	v_cmp_eq_u32_e32 vcc_lo, 0, v91
	v_cndmask_b32_e32 v91, v93, v100, vcc_lo
; %bb.18:
	s_or_b32 exec_lo, exec_lo, s3
	v_and_b32_e32 v93, 0x7f800000, v95
	s_delay_alu instid0(VALU_DEP_1) | instskip(SKIP_1) | instid1(SALU_CYCLE_1)
	v_cmp_ne_u32_e32 vcc_lo, 0x7f800000, v93
                                        ; implicit-def: $vgpr93
	s_and_saveexec_b32 s3, vcc_lo
	s_xor_b32 s3, exec_lo, s3
; %bb.19:
	v_bfe_u32 v93, v95, 16, 1
	s_delay_alu instid0(VALU_DEP_1)
	v_add3_u32 v93, v95, v93, 0x7fff
                                        ; implicit-def: $vgpr95
; %bb.20:
	s_and_not1_saveexec_b32 s3, s3
; %bb.21:
	v_and_b32_e32 v93, 0xffff, v95
	v_or_b32_e32 v100, 0x10000, v95
	s_delay_alu instid0(VALU_DEP_2) | instskip(NEXT) | instid1(VALU_DEP_2)
	v_cmp_eq_u32_e32 vcc_lo, 0, v93
	v_cndmask_b32_e32 v93, v100, v95, vcc_lo
; %bb.22:
	s_or_b32 exec_lo, exec_lo, s3
	v_and_b32_e32 v95, 0x7f800000, v96
	s_delay_alu instid0(VALU_DEP_1) | instskip(SKIP_1) | instid1(SALU_CYCLE_1)
	v_cmp_ne_u32_e32 vcc_lo, 0x7f800000, v95
                                        ; implicit-def: $vgpr95
	s_and_saveexec_b32 s3, vcc_lo
	s_xor_b32 s3, exec_lo, s3
; %bb.23:
	v_bfe_u32 v95, v96, 16, 1
	s_delay_alu instid0(VALU_DEP_1)
	v_add3_u32 v95, v96, v95, 0x7fff
                                        ; implicit-def: $vgpr96
; %bb.24:
	s_and_not1_saveexec_b32 s3, s3
; %bb.25:
	v_and_b32_e32 v95, 0xffff, v96
	v_or_b32_e32 v100, 0x10000, v96
	s_delay_alu instid0(VALU_DEP_2) | instskip(NEXT) | instid1(VALU_DEP_2)
	v_cmp_eq_u32_e32 vcc_lo, 0, v95
	v_cndmask_b32_e32 v95, v100, v96, vcc_lo
; %bb.26:
	s_or_b32 exec_lo, exec_lo, s3
	v_and_b32_e32 v96, 0x7f800000, v99
	s_delay_alu instid0(VALU_DEP_1) | instskip(SKIP_1) | instid1(SALU_CYCLE_1)
	v_cmp_ne_u32_e32 vcc_lo, 0x7f800000, v96
                                        ; implicit-def: $vgpr96
	s_and_saveexec_b32 s3, vcc_lo
	s_xor_b32 s3, exec_lo, s3
; %bb.27:
	v_bfe_u32 v96, v99, 16, 1
	s_delay_alu instid0(VALU_DEP_1)
	v_add3_u32 v96, v99, v96, 0x7fff
                                        ; implicit-def: $vgpr99
; %bb.28:
	s_and_not1_saveexec_b32 s3, s3
; %bb.29:
	v_and_b32_e32 v96, 0xffff, v99
	v_or_b32_e32 v100, 0x10000, v99
	s_delay_alu instid0(VALU_DEP_2) | instskip(NEXT) | instid1(VALU_DEP_2)
	v_cmp_eq_u32_e32 vcc_lo, 0, v96
	v_cndmask_b32_e32 v96, v100, v99, vcc_lo
; %bb.30:
	s_or_b32 exec_lo, exec_lo, s3
	v_and_b32_e32 v99, 0x7f800000, v98
	s_delay_alu instid0(VALU_DEP_1) | instskip(SKIP_1) | instid1(SALU_CYCLE_1)
	v_cmp_ne_u32_e32 vcc_lo, 0x7f800000, v99
                                        ; implicit-def: $vgpr99
	s_and_saveexec_b32 s3, vcc_lo
	s_xor_b32 s3, exec_lo, s3
; %bb.31:
	v_bfe_u32 v99, v98, 16, 1
	s_delay_alu instid0(VALU_DEP_1)
	v_add3_u32 v99, v98, v99, 0x7fff
                                        ; implicit-def: $vgpr98
; %bb.32:
	s_and_not1_saveexec_b32 s3, s3
; %bb.33:
	v_and_b32_e32 v99, 0xffff, v98
	v_or_b32_e32 v100, 0x10000, v98
	s_delay_alu instid0(VALU_DEP_2) | instskip(NEXT) | instid1(VALU_DEP_2)
	v_cmp_eq_u32_e32 vcc_lo, 0, v99
	v_cndmask_b32_e32 v99, v100, v98, vcc_lo
; %bb.34:
	s_or_b32 exec_lo, exec_lo, s3
	v_and_b32_e32 v98, 0x7f800000, v97
	s_delay_alu instid0(VALU_DEP_1) | instskip(SKIP_1) | instid1(SALU_CYCLE_1)
	v_cmp_ne_u32_e32 vcc_lo, 0x7f800000, v98
                                        ; implicit-def: $vgpr98
	s_and_saveexec_b32 s3, vcc_lo
	s_xor_b32 s3, exec_lo, s3
; %bb.35:
	v_bfe_u32 v98, v97, 16, 1
	s_delay_alu instid0(VALU_DEP_1)
	v_add3_u32 v98, v97, v98, 0x7fff
                                        ; implicit-def: $vgpr97
; %bb.36:
	s_and_not1_saveexec_b32 s3, s3
; %bb.37:
	v_and_b32_e32 v98, 0xffff, v97
	v_or_b32_e32 v100, 0x10000, v97
	s_delay_alu instid0(VALU_DEP_2) | instskip(NEXT) | instid1(VALU_DEP_2)
	v_cmp_eq_u32_e32 vcc_lo, 0, v98
	v_cndmask_b32_e32 v98, v100, v97, vcc_lo
; %bb.38:
	s_or_b32 exec_lo, exec_lo, s3
	v_and_b32_e32 v97, 0x7f800000, v94
	s_delay_alu instid0(VALU_DEP_1) | instskip(SKIP_1) | instid1(SALU_CYCLE_1)
	v_cmp_ne_u32_e32 vcc_lo, 0x7f800000, v97
                                        ; implicit-def: $vgpr97
	s_and_saveexec_b32 s3, vcc_lo
	s_xor_b32 s3, exec_lo, s3
; %bb.39:
	v_bfe_u32 v97, v94, 16, 1
	s_delay_alu instid0(VALU_DEP_1)
	v_add3_u32 v97, v94, v97, 0x7fff
                                        ; implicit-def: $vgpr94
; %bb.40:
	s_and_not1_saveexec_b32 s3, s3
; %bb.41:
	v_and_b32_e32 v97, 0xffff, v94
	v_or_b32_e32 v100, 0x10000, v94
	s_delay_alu instid0(VALU_DEP_2) | instskip(NEXT) | instid1(VALU_DEP_2)
	v_cmp_eq_u32_e32 vcc_lo, 0, v97
	v_cndmask_b32_e32 v97, v100, v94, vcc_lo
; %bb.42:
	s_or_b32 exec_lo, exec_lo, s3
	v_and_b32_e32 v94, 0x7f800000, v92
	s_delay_alu instid0(VALU_DEP_1) | instskip(SKIP_1) | instid1(SALU_CYCLE_1)
	v_cmp_ne_u32_e32 vcc_lo, 0x7f800000, v94
                                        ; implicit-def: $vgpr94
	s_and_saveexec_b32 s3, vcc_lo
	s_xor_b32 s3, exec_lo, s3
; %bb.43:
	v_bfe_u32 v94, v92, 16, 1
	s_delay_alu instid0(VALU_DEP_1)
	v_add3_u32 v94, v92, v94, 0x7fff
                                        ; implicit-def: $vgpr92
; %bb.44:
	s_and_not1_saveexec_b32 s3, s3
; %bb.45:
	v_and_b32_e32 v94, 0xffff, v92
	v_or_b32_e32 v100, 0x10000, v92
	s_delay_alu instid0(VALU_DEP_2) | instskip(NEXT) | instid1(VALU_DEP_2)
	v_cmp_eq_u32_e32 vcc_lo, 0, v94
	v_cndmask_b32_e32 v94, v100, v92, vcc_lo
; %bb.46:
	s_or_b32 exec_lo, exec_lo, s3
	s_load_b64 s[34:35], s[0:1], 0x94
	v_lshlrev_b32_e32 v92, 4, v83
	s_delay_alu instid0(VALU_DEP_2)
	v_perm_b32 v100, v94, v97, 0x7060302
	v_dual_mul_f32 v89, v90, v89 :: v_dual_lshlrev_b32 v94, 11, v74
	v_perm_b32 v97, v93, v91, 0x7060302
	v_mul_f32_e32 v93, v90, v77
	v_perm_b32 v99, v98, v99, 0x7060302
	v_perm_b32 v98, v96, v95, 0x7060302
	v_or3_b32 v77, v92, v94, v85
	v_mul_f32_e32 v88, v90, v88
	v_dual_mul_f32 v87, v90, v87 :: v_dual_and_b32 v94, 0x7f800000, v93
	v_mul_f32_e32 v86, v90, v86
	v_mul_f32_e32 v91, v90, v80
	;; [unrolled: 1-line block ×4, first 2 shown]
	s_mov_b32 s3, exec_lo
	ds_store_b128 v77, v[97:100]
                                        ; implicit-def: $vgpr78
	v_cmpx_ne_u32_e32 0x7f800000, v94
	s_xor_b32 s3, exec_lo, s3
; %bb.47:
	v_bfe_u32 v78, v93, 16, 1
	s_delay_alu instid0(VALU_DEP_1)
	v_add3_u32 v78, v93, v78, 0x7fff
                                        ; implicit-def: $vgpr93
; %bb.48:
	s_and_not1_saveexec_b32 s3, s3
; %bb.49:
	v_and_b32_e32 v78, 0xffff, v93
	v_or_b32_e32 v79, 0x10000, v93
	s_delay_alu instid0(VALU_DEP_2) | instskip(NEXT) | instid1(VALU_DEP_2)
	v_cmp_eq_u32_e32 vcc_lo, 0, v78
	v_cndmask_b32_e32 v78, v79, v93, vcc_lo
; %bb.50:
	s_or_b32 exec_lo, exec_lo, s3
	v_and_b32_e32 v79, 0x7f800000, v80
	s_delay_alu instid0(VALU_DEP_1) | instskip(SKIP_1) | instid1(SALU_CYCLE_1)
	v_cmp_ne_u32_e32 vcc_lo, 0x7f800000, v79
                                        ; implicit-def: $vgpr79
	s_and_saveexec_b32 s3, vcc_lo
	s_xor_b32 s3, exec_lo, s3
; %bb.51:
	v_bfe_u32 v79, v80, 16, 1
	s_delay_alu instid0(VALU_DEP_1)
	v_add3_u32 v79, v80, v79, 0x7fff
                                        ; implicit-def: $vgpr80
; %bb.52:
	s_and_not1_saveexec_b32 s3, s3
; %bb.53:
	v_and_b32_e32 v79, 0xffff, v80
	v_or_b32_e32 v90, 0x10000, v80
	s_delay_alu instid0(VALU_DEP_2) | instskip(NEXT) | instid1(VALU_DEP_2)
	v_cmp_eq_u32_e32 vcc_lo, 0, v79
	v_cndmask_b32_e32 v79, v90, v80, vcc_lo
; %bb.54:
	s_or_b32 exec_lo, exec_lo, s3
	v_and_b32_e32 v80, 0x7f800000, v92
	s_delay_alu instid0(VALU_DEP_1) | instskip(SKIP_1) | instid1(SALU_CYCLE_1)
	v_cmp_ne_u32_e32 vcc_lo, 0x7f800000, v80
                                        ; implicit-def: $vgpr80
	s_and_saveexec_b32 s3, vcc_lo
	s_xor_b32 s3, exec_lo, s3
; %bb.55:
	v_bfe_u32 v80, v92, 16, 1
	s_delay_alu instid0(VALU_DEP_1)
	v_add3_u32 v80, v92, v80, 0x7fff
                                        ; implicit-def: $vgpr92
; %bb.56:
	s_and_not1_saveexec_b32 s3, s3
; %bb.57:
	v_and_b32_e32 v80, 0xffff, v92
	v_or_b32_e32 v90, 0x10000, v92
	s_delay_alu instid0(VALU_DEP_2) | instskip(NEXT) | instid1(VALU_DEP_2)
	v_cmp_eq_u32_e32 vcc_lo, 0, v80
	v_cndmask_b32_e32 v80, v90, v92, vcc_lo
; %bb.58:
	s_or_b32 exec_lo, exec_lo, s3
	v_and_b32_e32 v90, 0x7f800000, v91
	s_delay_alu instid0(VALU_DEP_1) | instskip(SKIP_1) | instid1(SALU_CYCLE_1)
	v_cmp_ne_u32_e32 vcc_lo, 0x7f800000, v90
                                        ; implicit-def: $vgpr90
	s_and_saveexec_b32 s3, vcc_lo
	s_xor_b32 s3, exec_lo, s3
; %bb.59:
	v_bfe_u32 v90, v91, 16, 1
	s_delay_alu instid0(VALU_DEP_1)
	v_add3_u32 v90, v91, v90, 0x7fff
                                        ; implicit-def: $vgpr91
; %bb.60:
	s_and_not1_saveexec_b32 s3, s3
; %bb.61:
	v_and_b32_e32 v90, 0xffff, v91
	v_or_b32_e32 v92, 0x10000, v91
	s_delay_alu instid0(VALU_DEP_2) | instskip(NEXT) | instid1(VALU_DEP_2)
	v_cmp_eq_u32_e32 vcc_lo, 0, v90
	v_cndmask_b32_e32 v90, v92, v91, vcc_lo
; %bb.62:
	s_or_b32 exec_lo, exec_lo, s3
	v_and_b32_e32 v91, 0x7f800000, v86
	s_delay_alu instid0(VALU_DEP_1) | instskip(SKIP_1) | instid1(SALU_CYCLE_1)
	v_cmp_ne_u32_e32 vcc_lo, 0x7f800000, v91
                                        ; implicit-def: $vgpr91
	s_and_saveexec_b32 s3, vcc_lo
	s_xor_b32 s3, exec_lo, s3
; %bb.63:
	v_bfe_u32 v91, v86, 16, 1
	s_delay_alu instid0(VALU_DEP_1)
	v_add3_u32 v91, v86, v91, 0x7fff
                                        ; implicit-def: $vgpr86
; %bb.64:
	s_and_not1_saveexec_b32 s3, s3
; %bb.65:
	v_and_b32_e32 v91, 0xffff, v86
	v_or_b32_e32 v92, 0x10000, v86
	s_delay_alu instid0(VALU_DEP_2) | instskip(NEXT) | instid1(VALU_DEP_2)
	v_cmp_eq_u32_e32 vcc_lo, 0, v91
	v_cndmask_b32_e32 v91, v92, v86, vcc_lo
; %bb.66:
	s_or_b32 exec_lo, exec_lo, s3
	v_and_b32_e32 v86, 0x7f800000, v87
	s_delay_alu instid0(VALU_DEP_1) | instskip(SKIP_1) | instid1(SALU_CYCLE_1)
	v_cmp_ne_u32_e32 vcc_lo, 0x7f800000, v86
                                        ; implicit-def: $vgpr86
	s_and_saveexec_b32 s3, vcc_lo
	s_xor_b32 s3, exec_lo, s3
; %bb.67:
	v_bfe_u32 v86, v87, 16, 1
	s_delay_alu instid0(VALU_DEP_1)
	v_add3_u32 v86, v87, v86, 0x7fff
                                        ; implicit-def: $vgpr87
; %bb.68:
	s_and_not1_saveexec_b32 s3, s3
; %bb.69:
	v_and_b32_e32 v86, 0xffff, v87
	v_or_b32_e32 v92, 0x10000, v87
	s_delay_alu instid0(VALU_DEP_2) | instskip(NEXT) | instid1(VALU_DEP_2)
	v_cmp_eq_u32_e32 vcc_lo, 0, v86
	v_cndmask_b32_e32 v86, v92, v87, vcc_lo
; %bb.70:
	s_or_b32 exec_lo, exec_lo, s3
	v_and_b32_e32 v87, 0x7f800000, v88
	s_delay_alu instid0(VALU_DEP_1) | instskip(SKIP_1) | instid1(SALU_CYCLE_1)
	v_cmp_ne_u32_e32 vcc_lo, 0x7f800000, v87
                                        ; implicit-def: $vgpr87
	s_and_saveexec_b32 s3, vcc_lo
	s_xor_b32 s3, exec_lo, s3
; %bb.71:
	v_bfe_u32 v87, v88, 16, 1
	s_delay_alu instid0(VALU_DEP_1)
	v_add3_u32 v87, v88, v87, 0x7fff
                                        ; implicit-def: $vgpr88
; %bb.72:
	s_and_not1_saveexec_b32 s3, s3
; %bb.73:
	v_and_b32_e32 v87, 0xffff, v88
	v_or_b32_e32 v92, 0x10000, v88
	s_delay_alu instid0(VALU_DEP_2) | instskip(NEXT) | instid1(VALU_DEP_2)
	v_cmp_eq_u32_e32 vcc_lo, 0, v87
	v_cndmask_b32_e32 v87, v92, v88, vcc_lo
; %bb.74:
	s_or_b32 exec_lo, exec_lo, s3
	v_and_b32_e32 v88, 0x7f800000, v89
	s_delay_alu instid0(VALU_DEP_1) | instskip(SKIP_1) | instid1(SALU_CYCLE_1)
	v_cmp_ne_u32_e32 vcc_lo, 0x7f800000, v88
                                        ; implicit-def: $vgpr88
	s_and_saveexec_b32 s3, vcc_lo
	s_xor_b32 s3, exec_lo, s3
; %bb.75:
	v_bfe_u32 v88, v89, 16, 1
	s_delay_alu instid0(VALU_DEP_1)
	v_add3_u32 v88, v89, v88, 0x7fff
                                        ; implicit-def: $vgpr89
; %bb.76:
	s_and_not1_saveexec_b32 s3, s3
; %bb.77:
	v_and_b32_e32 v88, 0xffff, v89
	v_or_b32_e32 v92, 0x10000, v89
	s_delay_alu instid0(VALU_DEP_2) | instskip(NEXT) | instid1(VALU_DEP_2)
	v_cmp_eq_u32_e32 vcc_lo, 0, v88
	v_cndmask_b32_e32 v88, v92, v89, vcc_lo
; %bb.78:
	s_or_b32 exec_lo, exec_lo, s3
	s_delay_alu instid0(VALU_DEP_1)
	v_perm_b32 v89, v88, v87, 0x7060302
	v_perm_b32 v88, v86, v91, 0x7060302
	;; [unrolled: 1-line block ×4, first 2 shown]
	v_lshl_or_b32 v90, v74, 11, v85
	ds_store_b128 v77, v[86:89] offset:1024
	s_waitcnt lgkmcnt(0)
	s_barrier
	buffer_gl0_inv
	ds_load_b128 v[91:94], v90
	ds_load_b128 v[95:98], v90 offset:16
	v_lshlrev_b32_e32 v87, 2, v83
	s_delay_alu instid0(VALU_DEP_1)
	v_or_b32_e32 v88, 1, v87
	v_cmp_eq_u32_e32 vcc_lo, 1, v87
	v_cmp_eq_u32_e64 s4, 2, v87
	v_cmp_eq_u32_e64 s7, 3, v87
	v_cmp_eq_u32_e64 s9, 4, v87
	v_cmp_eq_u32_e64 s3, 1, v88
	v_cmp_eq_u32_e64 s6, 2, v88
	v_cmp_eq_u32_e64 s8, 3, v88
	v_or_b32_e32 v86, 2, v87
	v_cmp_eq_u32_e64 s10, 5, v87
	v_cmp_eq_u32_e64 s11, 4, v88
	;; [unrolled: 1-line block ×4, first 2 shown]
	s_waitcnt lgkmcnt(1)
	v_lshrrev_b32_e32 v74, 16, v91
	s_waitcnt lgkmcnt(0)
	v_lshrrev_b32_e32 v103, 16, v95
	v_lshrrev_b32_e32 v80, 16, v94
	;; [unrolled: 1-line block ×4, first 2 shown]
	v_cndmask_b32_e32 v89, v91, v74, vcc_lo
	v_cndmask_b32_e32 v99, v95, v103, vcc_lo
	v_cndmask_b32_e64 v100, v91, v74, s3
	v_lshrrev_b32_e32 v79, 16, v93
	v_lshrrev_b32_e32 v108, 16, v97
	v_cndmask_b32_e64 v89, v89, v92, s4
	v_cndmask_b32_e64 v99, v99, v96, s4
	;; [unrolled: 1-line block ×4, first 2 shown]
	v_cmp_eq_u32_e64 s5, 1, v86
	v_cndmask_b32_e64 v89, v89, v78, s7
	v_cndmask_b32_e64 v99, v99, v107, s7
	;; [unrolled: 1-line block ×4, first 2 shown]
	v_lshrrev_b32_e32 v109, 16, v98
	v_cndmask_b32_e64 v89, v89, v93, s9
	v_cndmask_b32_e64 v99, v99, v97, s9
	;; [unrolled: 1-line block ×8, first 2 shown]
	v_cmp_eq_u32_e64 s15, 7, v87
	v_cmp_eq_u32_e64 s16, 6, v88
	v_cndmask_b32_e64 v89, v89, v94, s12
	v_cndmask_b32_e64 v99, v99, v98, s12
	v_cmp_eq_u32_e64 s17, 2, v86
	v_cndmask_b32_e64 v101, v101, v97, s11
	v_cndmask_b32_e64 v100, v100, v94, s16
	;; [unrolled: 1-line block ×6, first 2 shown]
	v_cmp_eq_u32_e64 s18, 7, v88
	v_cmp_eq_u32_e64 s19, 3, v86
	;; [unrolled: 1-line block ×4, first 2 shown]
	v_cndmask_b32_e64 v99, v99, v96, s17
	v_cndmask_b32_e64 v112, v100, v80, s18
	;; [unrolled: 1-line block ×4, first 2 shown]
	v_or_b32_e32 v89, 3, v87
	v_cndmask_b32_e64 v105, v99, v107, s19
	v_cmp_eq_u32_e64 s24, 6, v86
	v_cndmask_b32_e64 v113, v100, v98, s16
	v_cndmask_b32_e64 v104, v101, v93, s20
	ds_load_b128 v[99:102], v90 offset:1024
	v_cmp_eq_u32_e64 s21, 1, v89
	v_cmp_eq_u32_e64 s23, 2, v89
	;; [unrolled: 1-line block ×3, first 2 shown]
	v_cndmask_b32_e64 v114, v104, v79, s22
	v_cmp_eq_u32_e64 s26, 4, v89
	v_cndmask_b32_e64 v74, v91, v74, s21
	v_cndmask_b32_e64 v91, v105, v97, s20
	;; [unrolled: 1-line block ×3, first 2 shown]
	ds_load_b128 v[103:106], v90 offset:1040
	v_cmp_eq_u32_e64 s28, 5, v89
	v_cndmask_b32_e64 v74, v74, v92, s23
	v_cndmask_b32_e64 v91, v91, v108, s22
	;; [unrolled: 1-line block ×3, first 2 shown]
	v_cmp_eq_u32_e64 s29, 6, v89
	v_cndmask_b32_e64 v95, v113, v109, s18
	v_cndmask_b32_e64 v74, v74, v78, s25
	;; [unrolled: 1-line block ×5, first 2 shown]
	s_waitcnt lgkmcnt(1)
	v_lshrrev_b32_e32 v96, 16, v99
	v_cndmask_b32_e64 v74, v74, v93, s26
	v_lshrrev_b32_e32 v107, 16, v100
	v_cndmask_b32_e64 v92, v92, v97, s26
	v_cmp_eq_u32_e64 s27, 7, v86
	v_cndmask_b32_e32 v93, v99, v96, vcc_lo
	v_cndmask_b32_e64 v74, v74, v79, s28
	s_delay_alu instid0(VALU_DEP_4)
	v_cndmask_b32_e64 v79, v92, v108, s28
	s_waitcnt lgkmcnt(0)
	v_lshrrev_b32_e32 v97, 16, v103
	v_cndmask_b32_e64 v92, v93, v100, s4
	v_cndmask_b32_e64 v93, v99, v96, s3
	;; [unrolled: 1-line block ×4, first 2 shown]
	v_cndmask_b32_e32 v108, v103, v97, vcc_lo
	v_cndmask_b32_e64 v92, v92, v107, s7
	v_cndmask_b32_e64 v93, v93, v100, s6
	v_lshrrev_b32_e32 v98, 16, v104
	v_cmp_eq_u32_e32 vcc_lo, 7, v89
	v_cndmask_b32_e64 v94, v108, v104, s4
	v_cndmask_b32_e64 v92, v92, v101, s9
	v_lshrrev_b32_e32 v108, 16, v101
	v_cndmask_b32_e64 v93, v93, v107, s8
	v_cndmask_b32_e32 v74, v74, v80, vcc_lo
	v_cndmask_b32_e64 v94, v94, v98, s7
	v_cndmask_b32_e32 v79, v79, v109, vcc_lo
	v_cndmask_b32_e64 v92, v92, v108, s10
	v_cndmask_b32_e64 v78, v78, v80, s27
	;; [unrolled: 1-line block ×4, first 2 shown]
	v_perm_b32 v94, v79, v74, 0x5040100
	v_cndmask_b32_e64 v79, v92, v102, s12
	v_perm_b32 v92, v95, v112, 0x5040100
	v_cndmask_b32_e64 v95, v99, v96, s5
	v_cndmask_b32_e64 v96, v99, v96, s21
	;; [unrolled: 1-line block ×16, first 2 shown]
	v_lshrrev_b32_e32 v109, 16, v105
	v_cndmask_b32_e64 v95, v95, v101, s20
	v_cndmask_b32_e64 v96, v96, v101, s26
	;; [unrolled: 1-line block ×6, first 2 shown]
	v_lshrrev_b32_e32 v80, 16, v102
	v_cndmask_b32_e64 v113, v93, v109, s10
	v_cndmask_b32_e64 v95, v95, v108, s22
	;; [unrolled: 1-line block ×6, first 2 shown]
	v_perm_b32 v93, v91, v78, 0x5040100
	v_cndmask_b32_e64 v74, v74, v102, s16
	v_cndmask_b32_e64 v78, v79, v80, s15
	;; [unrolled: 1-line block ×3, first 2 shown]
	v_lshrrev_b32_e32 v91, 16, v106
	v_cndmask_b32_e64 v95, v95, v102, s24
	v_cndmask_b32_e64 v96, v96, v102, s29
	;; [unrolled: 1-line block ×7, first 2 shown]
	v_cndmask_b32_e32 v80, v96, v80, vcc_lo
	v_cndmask_b32_e32 v96, v98, v91, vcc_lo
	v_cndmask_b32_e64 v99, v99, v91, s27
	v_cndmask_b32_e64 v100, v97, v91, s18
	;; [unrolled: 1-line block ×3, first 2 shown]
	v_perm_b32 v91, v111, v110, 0x5040100
	v_perm_b32 v98, v96, v80, 0x5040100
	;; [unrolled: 1-line block ×5, first 2 shown]
	s_mul_i32 s8, s35, 6
	s_mov_b32 s3, exec_lo
	ds_store_b128 v77, v[91:94]
	ds_store_b128 v77, v[95:98] offset:1024
	v_cmpx_gt_u32_e32 6, v0
	s_cbranch_execz .LBB503_80
; %bb.79:
	s_mul_i32 s4, s8, s30
	s_delay_alu instid0(SALU_CYCLE_1) | instskip(SKIP_1) | instid1(VALU_DEP_1)
	v_add3_u32 v77, s4, s31, v73
	s_load_b128 s[4:7], s[0:1], 0x58
	v_mad_u64_u32 v[73:74], null, v77, s34, s[14:15]
	s_delay_alu instid0(VALU_DEP_1) | instskip(NEXT) | instid1(VALU_DEP_1)
	v_ashrrev_i32_e32 v74, 31, v73
	v_lshlrev_b64 v[73:74], 2, v[73:74]
	s_waitcnt lgkmcnt(0)
	s_delay_alu instid0(VALU_DEP_1) | instskip(NEXT) | instid1(VALU_DEP_2)
	v_add_co_u32 v77, vcc_lo, s6, v73
	v_add_co_ci_u32_e32 v78, vcc_lo, s7, v74, vcc_lo
	v_add_co_u32 v73, vcc_lo, s4, v73
	v_add_co_ci_u32_e32 v74, vcc_lo, s5, v74, vcc_lo
	global_store_b32 v[77:78], v75, off
	global_store_b32 v[73:74], v76, off
.LBB503_80:
	s_or_b32 exec_lo, exec_lo, s3
	s_waitcnt lgkmcnt(0)
	s_waitcnt_vscnt null, 0x0
	s_barrier
	buffer_gl0_inv
	ds_load_b128 v[91:94], v85
	ds_load_b128 v[95:98], v85 offset:16
	ds_load_b128 v[103:106], v85 offset:1040
	;; [unrolled: 1-line block ×3, first 2 shown]
	v_mov_b32_e32 v73, 0
	ds_load_b128 v[111:114], v85 offset:2064
	ds_load_b128 v[107:110], v85 offset:2048
	;; [unrolled: 1-line block ×6, first 2 shown]
	v_mov_b32_e32 v74, v73
	v_mov_b32_e32 v75, v73
	;; [unrolled: 1-line block ×7, first 2 shown]
	s_waitcnt lgkmcnt(8)
	s_delay_alu instid0(VALU_DEP_1)
	v_wmma_f32_16x16x16_bf16 v[73:80], v[65:72], v[91:98], v[73:80]
	ds_load_b128 v[69:72], v85 offset:5136
	ds_load_b128 v[65:68], v85 offset:5120
	;; [unrolled: 1-line block ×4, first 2 shown]
	s_waitcnt lgkmcnt(10)
	v_wmma_f32_16x16x16_bf16 v[73:80], v[57:64], v[99:106], v[73:80]
	s_waitcnt lgkmcnt(8)
	s_delay_alu instid0(VALU_DEP_1)
	v_wmma_f32_16x16x16_bf16 v[73:80], v[57:64], v[107:114], v[73:80]
	ds_load_b128 v[61:64], v85 offset:7184
	ds_load_b128 v[57:60], v85 offset:7168
	;; [unrolled: 1-line block ×4, first 2 shown]
	s_waitcnt lgkmcnt(10)
	v_wmma_f32_16x16x16_bf16 v[73:80], v[49:56], v[115:122], v[73:80]
	s_waitcnt lgkmcnt(8)
	s_delay_alu instid0(VALU_DEP_1)
	v_wmma_f32_16x16x16_bf16 v[73:80], v[49:56], v[123:130], v[73:80]
	ds_load_b128 v[53:56], v85 offset:9232
	ds_load_b128 v[49:52], v85 offset:9216
	s_waitcnt lgkmcnt(8)
	v_wmma_f32_16x16x16_bf16 v[73:80], v[41:48], v[65:72], v[73:80]
	ds_load_b128 v[69:72], v85 offset:10256
	ds_load_b128 v[65:68], v85 offset:10240
	s_waitcnt lgkmcnt(8)
	;; [unrolled: 4-line block ×3, first 2 shown]
	v_wmma_f32_16x16x16_bf16 v[73:80], v[9:16], v[57:64], v[73:80]
	s_waitcnt lgkmcnt(6)
	s_delay_alu instid0(VALU_DEP_1)
	v_wmma_f32_16x16x16_bf16 v[73:80], v[9:16], v[99:106], v[73:80]
	ds_load_b128 v[13:16], v85 offset:12304
	ds_load_b128 v[9:12], v85 offset:12288
	s_waitcnt lgkmcnt(6)
	v_wmma_f32_16x16x16_bf16 v[73:80], v[1:8], v[49:56], v[73:80]
	ds_load_b128 v[53:56], v85 offset:13328
	ds_load_b128 v[49:52], v85 offset:13312
	s_waitcnt lgkmcnt(6)
	;; [unrolled: 4-line block ×4, first 2 shown]
	v_wmma_f32_16x16x16_bf16 v[73:80], v[33:40], v[9:16], v[73:80]
	s_waitcnt lgkmcnt(4)
	s_delay_alu instid0(VALU_DEP_1) | instskip(SKIP_1) | instid1(VALU_DEP_1)
	v_wmma_f32_16x16x16_bf16 v[73:80], v[25:32], v[49:56], v[73:80]
	s_waitcnt lgkmcnt(2)
	v_wmma_f32_16x16x16_bf16 v[73:80], v[25:32], v[1:8], v[73:80]
	s_waitcnt lgkmcnt(0)
	s_delay_alu instid0(VALU_DEP_1) | instskip(NEXT) | instid1(VALU_DEP_1)
	v_wmma_f32_16x16x16_bf16 v[73:80], v[17:24], v[41:48], v[73:80]
	v_and_b32_e32 v1, 0x7f800000, v73
	s_delay_alu instid0(VALU_DEP_1) | instskip(SKIP_1) | instid1(SALU_CYCLE_1)
	v_cmp_ne_u32_e32 vcc_lo, 0x7f800000, v1
                                        ; implicit-def: $vgpr1
	s_and_saveexec_b32 s3, vcc_lo
	s_xor_b32 s3, exec_lo, s3
; %bb.81:
	v_bfe_u32 v1, v73, 16, 1
	s_delay_alu instid0(VALU_DEP_1)
	v_add3_u32 v1, v73, v1, 0x7fff
; %bb.82:
	s_and_not1_saveexec_b32 s3, s3
; %bb.83:
	v_and_b32_e32 v1, 0xffff, v73
	v_or_b32_e32 v2, 0x10000, v73
	s_delay_alu instid0(VALU_DEP_2) | instskip(NEXT) | instid1(VALU_DEP_2)
	v_cmp_eq_u32_e32 vcc_lo, 0, v1
	v_cndmask_b32_e32 v1, v2, v73, vcc_lo
; %bb.84:
	s_or_b32 exec_lo, exec_lo, s3
	v_and_b32_e32 v2, 0x7f800000, v74
	s_delay_alu instid0(VALU_DEP_1) | instskip(SKIP_1) | instid1(SALU_CYCLE_1)
	v_cmp_ne_u32_e32 vcc_lo, 0x7f800000, v2
                                        ; implicit-def: $vgpr2
	s_and_saveexec_b32 s3, vcc_lo
	s_xor_b32 s3, exec_lo, s3
; %bb.85:
	v_bfe_u32 v2, v74, 16, 1
	s_delay_alu instid0(VALU_DEP_1)
	v_add3_u32 v2, v74, v2, 0x7fff
; %bb.86:
	s_and_not1_saveexec_b32 s3, s3
; %bb.87:
	v_and_b32_e32 v2, 0xffff, v74
	v_or_b32_e32 v3, 0x10000, v74
	s_delay_alu instid0(VALU_DEP_2) | instskip(NEXT) | instid1(VALU_DEP_2)
	v_cmp_eq_u32_e32 vcc_lo, 0, v2
	v_cndmask_b32_e32 v2, v3, v74, vcc_lo
; %bb.88:
	s_or_b32 exec_lo, exec_lo, s3
	v_and_b32_e32 v3, 0x7f800000, v75
	s_delay_alu instid0(VALU_DEP_1) | instskip(SKIP_1) | instid1(SALU_CYCLE_1)
	v_cmp_ne_u32_e32 vcc_lo, 0x7f800000, v3
                                        ; implicit-def: $vgpr3
	s_and_saveexec_b32 s3, vcc_lo
	s_xor_b32 s3, exec_lo, s3
; %bb.89:
	v_bfe_u32 v3, v75, 16, 1
	s_delay_alu instid0(VALU_DEP_1)
	v_add3_u32 v3, v75, v3, 0x7fff
; %bb.90:
	s_and_not1_saveexec_b32 s3, s3
; %bb.91:
	v_and_b32_e32 v3, 0xffff, v75
	v_or_b32_e32 v4, 0x10000, v75
	s_delay_alu instid0(VALU_DEP_2) | instskip(NEXT) | instid1(VALU_DEP_2)
	v_cmp_eq_u32_e32 vcc_lo, 0, v3
	v_cndmask_b32_e32 v3, v4, v75, vcc_lo
; %bb.92:
	s_or_b32 exec_lo, exec_lo, s3
	v_and_b32_e32 v4, 0x7f800000, v76
	s_delay_alu instid0(VALU_DEP_1) | instskip(SKIP_1) | instid1(SALU_CYCLE_1)
	v_cmp_ne_u32_e32 vcc_lo, 0x7f800000, v4
                                        ; implicit-def: $vgpr4
	s_and_saveexec_b32 s3, vcc_lo
	s_xor_b32 s3, exec_lo, s3
; %bb.93:
	v_bfe_u32 v4, v76, 16, 1
	s_delay_alu instid0(VALU_DEP_1)
	v_add3_u32 v4, v76, v4, 0x7fff
; %bb.94:
	s_and_not1_saveexec_b32 s3, s3
; %bb.95:
	v_and_b32_e32 v4, 0xffff, v76
	v_or_b32_e32 v5, 0x10000, v76
	s_delay_alu instid0(VALU_DEP_2) | instskip(NEXT) | instid1(VALU_DEP_2)
	v_cmp_eq_u32_e32 vcc_lo, 0, v4
	v_cndmask_b32_e32 v4, v5, v76, vcc_lo
; %bb.96:
	s_or_b32 exec_lo, exec_lo, s3
	v_and_b32_e32 v5, 0x7f800000, v77
	s_delay_alu instid0(VALU_DEP_1) | instskip(SKIP_1) | instid1(SALU_CYCLE_1)
	v_cmp_ne_u32_e32 vcc_lo, 0x7f800000, v5
                                        ; implicit-def: $vgpr5
	s_and_saveexec_b32 s3, vcc_lo
	s_xor_b32 s3, exec_lo, s3
; %bb.97:
	v_bfe_u32 v5, v77, 16, 1
	s_delay_alu instid0(VALU_DEP_1)
	v_add3_u32 v5, v77, v5, 0x7fff
; %bb.98:
	s_and_not1_saveexec_b32 s3, s3
; %bb.99:
	v_and_b32_e32 v5, 0xffff, v77
	v_or_b32_e32 v6, 0x10000, v77
	s_delay_alu instid0(VALU_DEP_2) | instskip(NEXT) | instid1(VALU_DEP_2)
	v_cmp_eq_u32_e32 vcc_lo, 0, v5
	v_cndmask_b32_e32 v5, v6, v77, vcc_lo
; %bb.100:
	s_or_b32 exec_lo, exec_lo, s3
	v_and_b32_e32 v6, 0x7f800000, v78
	s_delay_alu instid0(VALU_DEP_1) | instskip(SKIP_1) | instid1(SALU_CYCLE_1)
	v_cmp_ne_u32_e32 vcc_lo, 0x7f800000, v6
                                        ; implicit-def: $vgpr6
	s_and_saveexec_b32 s3, vcc_lo
	s_xor_b32 s3, exec_lo, s3
; %bb.101:
	v_bfe_u32 v6, v78, 16, 1
	s_delay_alu instid0(VALU_DEP_1)
	v_add3_u32 v6, v78, v6, 0x7fff
; %bb.102:
	s_and_not1_saveexec_b32 s3, s3
; %bb.103:
	v_and_b32_e32 v6, 0xffff, v78
	v_or_b32_e32 v7, 0x10000, v78
	s_delay_alu instid0(VALU_DEP_2) | instskip(NEXT) | instid1(VALU_DEP_2)
	v_cmp_eq_u32_e32 vcc_lo, 0, v6
	v_cndmask_b32_e32 v6, v7, v78, vcc_lo
; %bb.104:
	s_or_b32 exec_lo, exec_lo, s3
	v_and_b32_e32 v7, 0x7f800000, v79
	s_delay_alu instid0(VALU_DEP_1) | instskip(SKIP_1) | instid1(SALU_CYCLE_1)
	v_cmp_ne_u32_e32 vcc_lo, 0x7f800000, v7
                                        ; implicit-def: $vgpr7
	s_and_saveexec_b32 s3, vcc_lo
	s_xor_b32 s3, exec_lo, s3
; %bb.105:
	v_bfe_u32 v7, v79, 16, 1
	s_delay_alu instid0(VALU_DEP_1)
	v_add3_u32 v7, v79, v7, 0x7fff
; %bb.106:
	s_and_not1_saveexec_b32 s3, s3
; %bb.107:
	v_and_b32_e32 v7, 0xffff, v79
	v_or_b32_e32 v8, 0x10000, v79
	s_delay_alu instid0(VALU_DEP_2) | instskip(NEXT) | instid1(VALU_DEP_2)
	v_cmp_eq_u32_e32 vcc_lo, 0, v7
	v_cndmask_b32_e32 v7, v8, v79, vcc_lo
; %bb.108:
	s_or_b32 exec_lo, exec_lo, s3
	v_and_b32_e32 v8, 0x7f800000, v80
	s_delay_alu instid0(VALU_DEP_1) | instskip(SKIP_1) | instid1(SALU_CYCLE_1)
	v_cmp_ne_u32_e32 vcc_lo, 0x7f800000, v8
                                        ; implicit-def: $vgpr8
	s_and_saveexec_b32 s3, vcc_lo
	s_xor_b32 s3, exec_lo, s3
; %bb.109:
	v_bfe_u32 v8, v80, 16, 1
	s_delay_alu instid0(VALU_DEP_1)
	v_add3_u32 v8, v80, v8, 0x7fff
                                        ; implicit-def: $vgpr73_vgpr74_vgpr75_vgpr76_vgpr77_vgpr78_vgpr79_vgpr80
; %bb.110:
	s_and_not1_saveexec_b32 s3, s3
; %bb.111:
	v_and_b32_e32 v8, 0xffff, v80
	v_or_b32_e32 v9, 0x10000, v80
	s_delay_alu instid0(VALU_DEP_2) | instskip(NEXT) | instid1(VALU_DEP_2)
	v_cmp_eq_u32_e32 vcc_lo, 0, v8
	v_cndmask_b32_e32 v8, v9, v80, vcc_lo
; %bb.112:
	s_or_b32 exec_lo, exec_lo, s3
	s_delay_alu instid0(VALU_DEP_1)
	v_perm_b32 v7, v8, v7, 0x7060302
	v_perm_b32 v6, v6, v5, 0x7060302
	v_perm_b32 v5, v4, v3, 0x7060302
	v_perm_b32 v4, v2, v1, 0x7060302
	v_lshl_or_b32 v9, v83, 4, v90
	s_barrier
	buffer_gl0_inv
	v_cmp_eq_u32_e32 vcc_lo, 1, v87
	ds_store_b128 v9, v[4:7]
	s_waitcnt lgkmcnt(0)
	s_barrier
	buffer_gl0_inv
	ds_load_b128 v[1:4], v90
	ds_load_b128 v[5:8], v90 offset:16
	v_cmp_eq_u32_e64 s4, 2, v87
	v_cmp_eq_u32_e64 s3, 1, v88
	;; [unrolled: 1-line block ×5, first 2 shown]
	s_waitcnt lgkmcnt(1)
	v_lshrrev_b32_e32 v10, 16, v1
	s_waitcnt lgkmcnt(0)
	v_lshrrev_b32_e32 v14, 16, v5
	v_lshrrev_b32_e32 v15, 16, v6
	;; [unrolled: 1-line block ×4, first 2 shown]
	v_cndmask_b32_e64 v20, v1, v10, s3
	v_cndmask_b32_e32 v19, v5, v14, vcc_lo
	v_cndmask_b32_e64 v21, v5, v14, s3
	v_lshrrev_b32_e32 v16, 16, v7
	v_cmp_eq_u32_e64 s3, 1, v86
	v_lshrrev_b32_e32 v13, 16, v4
	v_cndmask_b32_e64 v19, v19, v6, s4
	v_lshrrev_b32_e32 v17, 16, v8
	s_delay_alu instid0(VALU_DEP_4) | instskip(SKIP_1) | instid1(VALU_DEP_4)
	v_cndmask_b32_e64 v22, v1, v10, s3
	v_cndmask_b32_e64 v23, v5, v14, s3
	;; [unrolled: 1-line block ×3, first 2 shown]
	v_cndmask_b32_e32 v18, v1, v10, vcc_lo
	v_cmp_eq_u32_e32 vcc_lo, 2, v88
	v_cmp_eq_u32_e64 s3, 2, v89
	v_cndmask_b32_e64 v22, v22, v2, s7
	v_cndmask_b32_e32 v20, v20, v2, vcc_lo
	v_cndmask_b32_e32 v21, v21, v6, vcc_lo
	v_cmp_eq_u32_e32 vcc_lo, 4, v87
	v_cndmask_b32_e32 v19, v19, v7, vcc_lo
	v_cndmask_b32_e64 v18, v18, v2, s4
	v_cmp_eq_u32_e64 s4, 3, v88
	s_delay_alu instid0(VALU_DEP_2) | instskip(NEXT) | instid1(VALU_DEP_2)
	v_cndmask_b32_e64 v18, v18, v11, s5
	v_cndmask_b32_e64 v21, v21, v15, s4
	v_cmp_eq_u32_e64 s5, 5, v87
	s_delay_alu instid0(VALU_DEP_3) | instskip(SKIP_1) | instid1(VALU_DEP_3)
	v_cndmask_b32_e32 v18, v18, v3, vcc_lo
	v_cmp_eq_u32_e32 vcc_lo, 4, v88
	v_cndmask_b32_e64 v19, v19, v16, s5
	s_delay_alu instid0(VALU_DEP_3) | instskip(SKIP_4) | instid1(VALU_DEP_3)
	v_cndmask_b32_e64 v18, v18, v12, s5
	v_cndmask_b32_e32 v21, v21, v7, vcc_lo
	v_cndmask_b32_e64 v20, v20, v11, s4
	v_cmp_eq_u32_e64 s4, 5, v88
	v_cmp_eq_u32_e64 s5, 6, v87
	v_cndmask_b32_e32 v20, v20, v3, vcc_lo
	s_delay_alu instid0(VALU_DEP_3) | instskip(SKIP_1) | instid1(VALU_DEP_4)
	v_cndmask_b32_e64 v21, v21, v16, s4
	v_cmp_eq_u32_e32 vcc_lo, 6, v88
	v_cndmask_b32_e64 v18, v18, v4, s5
	v_cndmask_b32_e64 v19, v19, v8, s5
	;; [unrolled: 1-line block ×3, first 2 shown]
	v_cmp_eq_u32_e64 s4, 1, v89
	v_cmp_eq_u32_e64 s5, 7, v87
	s_delay_alu instid0(VALU_DEP_3) | instskip(NEXT) | instid1(VALU_DEP_3)
	v_cndmask_b32_e32 v20, v20, v4, vcc_lo
	v_cndmask_b32_e64 v1, v1, v10, s4
	v_cndmask_b32_e64 v5, v5, v14, s4
	v_cmp_eq_u32_e64 s4, 3, v86
	v_cndmask_b32_e64 v14, v23, v6, s7
	v_cmp_eq_u32_e64 s7, 3, v89
	v_cndmask_b32_e64 v1, v1, v2, s3
	v_cndmask_b32_e64 v2, v5, v6, s3
	;; [unrolled: 1-line block ×3, first 2 shown]
	v_cmp_eq_u32_e64 s3, 4, v86
	v_cndmask_b32_e64 v6, v14, v15, s4
	v_cndmask_b32_e64 v1, v1, v11, s7
	v_cmp_eq_u32_e64 s4, 4, v89
	v_cndmask_b32_e64 v2, v2, v15, s7
	v_cndmask_b32_e64 v5, v10, v3, s3
	;; [unrolled: 3-line block ×3, first 2 shown]
	v_cndmask_b32_e64 v2, v2, v7, s4
	v_cmp_eq_u32_e64 s3, 5, v89
	v_cndmask_b32_e64 v5, v5, v12, s7
	v_cmp_eq_u32_e64 s4, 6, v86
	;; [unrolled: 2-line block ×3, first 2 shown]
	v_cndmask_b32_e64 v1, v1, v12, s3
	v_cndmask_b32_e64 v2, v2, v16, s3
	;; [unrolled: 1-line block ×4, first 2 shown]
	v_cmp_eq_u32_e64 s3, 7, v89
	v_cndmask_b32_e64 v1, v1, v4, s7
	v_cndmask_b32_e64 v2, v2, v8, s7
	v_cmp_eq_u32_e64 s4, 7, v86
	v_cndmask_b32_e32 v4, v21, v8, vcc_lo
	v_cndmask_b32_e64 v18, v18, v13, s5
	v_cndmask_b32_e64 v20, v20, v13, s6
	;; [unrolled: 1-line block ×8, first 2 shown]
	v_cmp_gt_u32_e32 vcc_lo, 32, v0
	v_perm_b32 v4, v2, v1, 0x5040100
	v_perm_b32 v3, v3, v5, 0x5040100
	;; [unrolled: 1-line block ×4, first 2 shown]
	s_and_b32 s2, vcc_lo, s2
	ds_store_b128 v9, v[1:4]
	s_waitcnt lgkmcnt(0)
	s_barrier
	buffer_gl0_inv
	s_and_saveexec_b32 s3, s2
	s_cbranch_execz .LBB503_2
; %bb.113:
	s_load_b64 s[0:1], s[0:1], 0x68
	s_lshl_b32 s4, s34, 6
	v_or_b32_e32 v3, s31, v83
	s_mul_i32 s2, s4, s30
	v_lshlrev_b32_e32 v0, 10, v0
	s_mul_i32 s2, s2, s8
	v_lshlrev_b32_e32 v1, 4, v84
	s_ashr_i32 s3, s2, 31
	v_mul_lo_u32 v12, v3, s4
	s_lshl_b64 s[2:3], s[2:3], 1
	v_lshlrev_b32_e32 v2, 6, v83
	v_and_b32_e32 v0, 0x3800, v0
	s_delay_alu instid0(VALU_DEP_1) | instskip(NEXT) | instid1(VALU_DEP_4)
	v_or3_b32 v8, v0, v1, v2
	v_ashrrev_i32_e32 v13, 31, v12
	ds_load_b128 v[0:3], v8
	ds_load_b128 v[4:7], v8 offset:128
	ds_load_b128 v[8:11], v8 offset:256
	s_waitcnt lgkmcnt(0)
	s_add_u32 s2, s0, s2
	s_addc_u32 s3, s1, s3
	s_lshl_b32 s0, s14, 6
	s_delay_alu instid0(SALU_CYCLE_1) | instskip(NEXT) | instid1(SALU_CYCLE_1)
	s_ashr_i32 s1, s0, 31
	s_lshl_b64 s[0:1], s[0:1], 1
	s_delay_alu instid0(SALU_CYCLE_1)
	s_add_u32 s0, s2, s0
	s_addc_u32 s1, s3, s1
	s_lshl_b32 s2, s34, 7
	v_add_co_u32 v18, vcc_lo, s0, v81
	v_add_nc_u32_e32 v14, s2, v12
	v_lshlrev_b64 v[12:13], 1, v[12:13]
	v_add_co_ci_u32_e32 v19, vcc_lo, s1, v82, vcc_lo
	s_delay_alu instid0(VALU_DEP_3) | instskip(SKIP_1) | instid1(VALU_DEP_4)
	v_add_nc_u32_e32 v16, s2, v14
	v_ashrrev_i32_e32 v15, 31, v14
	v_add_co_u32 v12, vcc_lo, v18, v12
	s_delay_alu instid0(VALU_DEP_4) | instskip(NEXT) | instid1(VALU_DEP_4)
	v_add_co_ci_u32_e32 v13, vcc_lo, v19, v13, vcc_lo
	v_ashrrev_i32_e32 v17, 31, v16
	s_delay_alu instid0(VALU_DEP_4) | instskip(NEXT) | instid1(VALU_DEP_2)
	v_lshlrev_b64 v[14:15], 1, v[14:15]
	v_lshlrev_b64 v[16:17], 1, v[16:17]
	s_delay_alu instid0(VALU_DEP_2) | instskip(NEXT) | instid1(VALU_DEP_3)
	v_add_co_u32 v14, vcc_lo, v18, v14
	v_add_co_ci_u32_e32 v15, vcc_lo, v19, v15, vcc_lo
	s_delay_alu instid0(VALU_DEP_3) | instskip(NEXT) | instid1(VALU_DEP_4)
	v_add_co_u32 v16, vcc_lo, v18, v16
	v_add_co_ci_u32_e32 v17, vcc_lo, v19, v17, vcc_lo
	s_clause 0x2
	global_store_b128 v[12:13], v[0:3], off
	global_store_b128 v[14:15], v[4:7], off
	;; [unrolled: 1-line block ×3, first 2 shown]
	s_nop 0
	s_sendmsg sendmsg(MSG_DEALLOC_VGPRS)
	s_endpgm
	.section	.rodata,"a",@progbits
	.p2align	6, 0x0
	.amdhsa_kernel _Z39paged_attention_ll4mi_QKV_mfma16_kernelI14__hip_bfloat16S0_LN4vllm18Fp8KVCacheDataTypeE0EhLi32ELi64ELi256ELb1ELi6EL8MFMAType0EEvPKT_PKT0_S9_ifPKiSB_SB_iPKfiiiPfSE_PS4_PT2_iSD_SD_
		.amdhsa_group_segment_fixed_size 17472
		.amdhsa_private_segment_fixed_size 0
		.amdhsa_kernarg_size 400
		.amdhsa_user_sgpr_count 13
		.amdhsa_user_sgpr_dispatch_ptr 0
		.amdhsa_user_sgpr_queue_ptr 0
		.amdhsa_user_sgpr_kernarg_segment_ptr 1
		.amdhsa_user_sgpr_dispatch_id 0
		.amdhsa_user_sgpr_private_segment_size 0
		.amdhsa_wavefront_size32 1
		.amdhsa_uses_dynamic_stack 0
		.amdhsa_enable_private_segment 0
		.amdhsa_system_sgpr_workgroup_id_x 1
		.amdhsa_system_sgpr_workgroup_id_y 1
		.amdhsa_system_sgpr_workgroup_id_z 1
		.amdhsa_system_sgpr_workgroup_info 0
		.amdhsa_system_vgpr_workitem_id 0
		.amdhsa_next_free_vgpr 142
		.amdhsa_next_free_sgpr 38
		.amdhsa_reserve_vcc 1
		.amdhsa_float_round_mode_32 0
		.amdhsa_float_round_mode_16_64 0
		.amdhsa_float_denorm_mode_32 3
		.amdhsa_float_denorm_mode_16_64 3
		.amdhsa_dx10_clamp 1
		.amdhsa_ieee_mode 1
		.amdhsa_fp16_overflow 0
		.amdhsa_workgroup_processor_mode 1
		.amdhsa_memory_ordered 1
		.amdhsa_forward_progress 0
		.amdhsa_shared_vgpr_count 0
		.amdhsa_exception_fp_ieee_invalid_op 0
		.amdhsa_exception_fp_denorm_src 0
		.amdhsa_exception_fp_ieee_div_zero 0
		.amdhsa_exception_fp_ieee_overflow 0
		.amdhsa_exception_fp_ieee_underflow 0
		.amdhsa_exception_fp_ieee_inexact 0
		.amdhsa_exception_int_div_zero 0
	.end_amdhsa_kernel
	.section	.text._Z39paged_attention_ll4mi_QKV_mfma16_kernelI14__hip_bfloat16S0_LN4vllm18Fp8KVCacheDataTypeE0EhLi32ELi64ELi256ELb1ELi6EL8MFMAType0EEvPKT_PKT0_S9_ifPKiSB_SB_iPKfiiiPfSE_PS4_PT2_iSD_SD_,"axG",@progbits,_Z39paged_attention_ll4mi_QKV_mfma16_kernelI14__hip_bfloat16S0_LN4vllm18Fp8KVCacheDataTypeE0EhLi32ELi64ELi256ELb1ELi6EL8MFMAType0EEvPKT_PKT0_S9_ifPKiSB_SB_iPKfiiiPfSE_PS4_PT2_iSD_SD_,comdat
.Lfunc_end503:
	.size	_Z39paged_attention_ll4mi_QKV_mfma16_kernelI14__hip_bfloat16S0_LN4vllm18Fp8KVCacheDataTypeE0EhLi32ELi64ELi256ELb1ELi6EL8MFMAType0EEvPKT_PKT0_S9_ifPKiSB_SB_iPKfiiiPfSE_PS4_PT2_iSD_SD_, .Lfunc_end503-_Z39paged_attention_ll4mi_QKV_mfma16_kernelI14__hip_bfloat16S0_LN4vllm18Fp8KVCacheDataTypeE0EhLi32ELi64ELi256ELb1ELi6EL8MFMAType0EEvPKT_PKT0_S9_ifPKiSB_SB_iPKfiiiPfSE_PS4_PT2_iSD_SD_
                                        ; -- End function
	.section	.AMDGPU.csdata,"",@progbits
; Kernel info:
; codeLenInByte = 9384
; NumSgprs: 40
; NumVgprs: 142
; ScratchSize: 0
; MemoryBound: 0
; FloatMode: 240
; IeeeMode: 1
; LDSByteSize: 17472 bytes/workgroup (compile time only)
; SGPRBlocks: 4
; VGPRBlocks: 17
; NumSGPRsForWavesPerEU: 40
; NumVGPRsForWavesPerEU: 142
; Occupancy: 10
; WaveLimiterHint : 1
; COMPUTE_PGM_RSRC2:SCRATCH_EN: 0
; COMPUTE_PGM_RSRC2:USER_SGPR: 13
; COMPUTE_PGM_RSRC2:TRAP_HANDLER: 0
; COMPUTE_PGM_RSRC2:TGID_X_EN: 1
; COMPUTE_PGM_RSRC2:TGID_Y_EN: 1
; COMPUTE_PGM_RSRC2:TGID_Z_EN: 1
; COMPUTE_PGM_RSRC2:TIDIG_COMP_CNT: 0
	.section	.text._Z39paged_attention_ll4mi_QKV_mfma16_kernelI14__hip_bfloat16S0_LN4vllm18Fp8KVCacheDataTypeE0EhLi32ELi64ELi256ELb1ELi7EL8MFMAType0EEvPKT_PKT0_S9_ifPKiSB_SB_iPKfiiiPfSE_PS4_PT2_iSD_SD_,"axG",@progbits,_Z39paged_attention_ll4mi_QKV_mfma16_kernelI14__hip_bfloat16S0_LN4vllm18Fp8KVCacheDataTypeE0EhLi32ELi64ELi256ELb1ELi7EL8MFMAType0EEvPKT_PKT0_S9_ifPKiSB_SB_iPKfiiiPfSE_PS4_PT2_iSD_SD_,comdat
	.protected	_Z39paged_attention_ll4mi_QKV_mfma16_kernelI14__hip_bfloat16S0_LN4vllm18Fp8KVCacheDataTypeE0EhLi32ELi64ELi256ELb1ELi7EL8MFMAType0EEvPKT_PKT0_S9_ifPKiSB_SB_iPKfiiiPfSE_PS4_PT2_iSD_SD_ ; -- Begin function _Z39paged_attention_ll4mi_QKV_mfma16_kernelI14__hip_bfloat16S0_LN4vllm18Fp8KVCacheDataTypeE0EhLi32ELi64ELi256ELb1ELi7EL8MFMAType0EEvPKT_PKT0_S9_ifPKiSB_SB_iPKfiiiPfSE_PS4_PT2_iSD_SD_
	.globl	_Z39paged_attention_ll4mi_QKV_mfma16_kernelI14__hip_bfloat16S0_LN4vllm18Fp8KVCacheDataTypeE0EhLi32ELi64ELi256ELb1ELi7EL8MFMAType0EEvPKT_PKT0_S9_ifPKiSB_SB_iPKfiiiPfSE_PS4_PT2_iSD_SD_
	.p2align	8
	.type	_Z39paged_attention_ll4mi_QKV_mfma16_kernelI14__hip_bfloat16S0_LN4vllm18Fp8KVCacheDataTypeE0EhLi32ELi64ELi256ELb1ELi7EL8MFMAType0EEvPKT_PKT0_S9_ifPKiSB_SB_iPKfiiiPfSE_PS4_PT2_iSD_SD_,@function
_Z39paged_attention_ll4mi_QKV_mfma16_kernelI14__hip_bfloat16S0_LN4vllm18Fp8KVCacheDataTypeE0EhLi32ELi64ELi256ELb1ELi7EL8MFMAType0EEvPKT_PKT0_S9_ifPKiSB_SB_iPKfiiiPfSE_PS4_PT2_iSD_SD_: ; @_Z39paged_attention_ll4mi_QKV_mfma16_kernelI14__hip_bfloat16S0_LN4vllm18Fp8KVCacheDataTypeE0EhLi32ELi64ELi256ELb1ELi7EL8MFMAType0EEvPKT_PKT0_S9_ifPKiSB_SB_iPKfiiiPfSE_PS4_PT2_iSD_SD_
; %bb.0:
	s_load_b64 s[2:3], s[0:1], 0x30
	s_mov_b32 s34, s13
	s_waitcnt lgkmcnt(0)
	s_cmp_lg_u64 s[2:3], 0
	s_cselect_b32 s6, -1, 0
	s_ashr_i32 s35, s13, 31
	s_cmp_eq_u64 s[2:3], 0
	s_cbranch_scc1 .LBB504_3
; %bb.1:
	s_lshl_b64 s[4:5], s[34:35], 2
	s_delay_alu instid0(SALU_CYCLE_1) | instskip(SKIP_4) | instid1(SALU_CYCLE_1)
	s_add_u32 s4, s2, s4
	s_addc_u32 s5, s3, s5
	s_load_b64 s[4:5], s[4:5], 0x0
	s_waitcnt lgkmcnt(0)
	s_sub_i32 s4, s5, s4
	s_cmp_eq_u32 s4, 1
	s_cselect_b32 s4, -1, 0
	s_delay_alu instid0(SALU_CYCLE_1)
	s_and_not1_b32 vcc_lo, exec_lo, s4
	s_cbranch_vccz .LBB504_4
.LBB504_2:
	s_nop 0
	s_sendmsg sendmsg(MSG_DEALLOC_VGPRS)
	s_endpgm
.LBB504_3:
.LBB504_4:
	s_load_b64 s[8:9], s[0:1], 0x28
	s_lshl_b64 s[4:5], s[34:35], 2
	s_waitcnt lgkmcnt(0)
	s_add_u32 s8, s8, s4
	s_addc_u32 s9, s9, s5
	s_lshl_b32 s16, s14, 8
	s_load_b32 s18, s[8:9], 0x0
	s_waitcnt lgkmcnt(0)
	s_cmp_ge_i32 s16, s18
	s_cbranch_scc1 .LBB504_2
; %bb.5:
	s_and_not1_b32 vcc_lo, exec_lo, s6
	s_cbranch_vccnz .LBB504_7
; %bb.6:
	s_add_u32 s2, s2, s4
	s_addc_u32 s3, s3, s5
	s_load_b32 s17, s[2:3], 0x0
	s_branch .LBB504_8
.LBB504_7:
	s_mov_b32 s17, s34
.LBB504_8:
	s_clause 0x2
	s_load_b128 s[8:11], s[0:1], 0x8
	s_load_b64 s[12:13], s[0:1], 0x20
	s_load_b128 s[4:7], s[0:1], 0x48
	v_lshrrev_b32_e32 v74, 5, v0
	v_bfe_u32 v83, v0, 4, 1
	v_and_b32_e32 v73, 15, v0
	s_delay_alu instid0(VALU_DEP_2) | instskip(NEXT) | instid1(VALU_DEP_2)
	v_lshl_or_b32 v3, v74, 1, v83
	v_cmp_lt_u32_e64 s3, 7, v73
	v_lshlrev_b32_e32 v1, 3, v73
	v_cmp_gt_u32_e64 s2, 8, v73
	s_delay_alu instid0(VALU_DEP_4) | instskip(NEXT) | instid1(VALU_DEP_4)
	v_cmp_lt_u32_e32 vcc_lo, 6, v3
	s_or_b32 s3, s3, vcc_lo
	s_waitcnt lgkmcnt(0)
	s_and_saveexec_b32 s7, s3
	s_delay_alu instid0(SALU_CYCLE_1)
	s_xor_b32 s3, exec_lo, s7
; %bb.9:
	v_mov_b32_e32 v2, 0
                                        ; implicit-def: $vgpr3
; %bb.10:
	s_or_saveexec_b32 s3, s3
	v_and_b32_e32 v75, 31, v0
	v_and_b32_e32 v84, 1, v0
	s_mul_i32 s31, s15, 7
	s_xor_b32 exec_lo, exec_lo, s3
	s_cbranch_execz .LBB504_12
; %bb.11:
	s_load_b64 s[20:21], s[0:1], 0x0
	v_add_lshl_u32 v4, v3, s31, 6
	s_mul_hi_i32 s23, s17, s4
	s_mul_i32 s22, s17, s4
	v_lshlrev_b32_e32 v2, 1, v1
	s_lshl_b64 s[22:23], s[22:23], 1
	v_ashrrev_i32_e32 v5, 31, v4
	v_lshlrev_b32_e32 v3, 6, v3
	v_lshlrev_b32_e32 v8, 10, v84
	s_delay_alu instid0(VALU_DEP_3) | instskip(SKIP_3) | instid1(VALU_DEP_1)
	v_lshlrev_b64 v[4:5], 1, v[4:5]
	s_waitcnt lgkmcnt(0)
	s_add_u32 s4, s20, s22
	s_addc_u32 s7, s21, s23
	v_add_co_u32 v4, vcc_lo, s4, v4
	s_delay_alu instid0(VALU_DEP_2) | instskip(NEXT) | instid1(VALU_DEP_2)
	v_add_co_ci_u32_e32 v5, vcc_lo, s7, v5, vcc_lo
	v_add_co_u32 v4, vcc_lo, v4, v2
	s_delay_alu instid0(VALU_DEP_2) | instskip(SKIP_3) | instid1(VALU_DEP_1)
	v_add_co_ci_u32_e32 v5, vcc_lo, 0, v5, vcc_lo
	v_lshlrev_b32_e32 v2, 10, v73
	global_load_b128 v[4:7], v[4:5], off
	v_and_b32_e32 v2, 0x3800, v2
	v_or3_b32 v3, v2, v8, v3
	v_mov_b32_e32 v2, 0
	s_waitcnt vmcnt(0)
	ds_store_b128 v3, v[4:7]
.LBB504_12:
	s_or_b32 exec_lo, exec_lo, s3
	v_and_b32_e32 v3, 0xef, v0
	s_add_i32 s3, s18, 31
	s_clause 0x1
	s_load_b32 s4, s[0:1], 0x38
	s_load_b32 s19, s[0:1], 0x1c
	s_ashr_i32 s7, s3, 31
	v_add_nc_u32_e32 v3, s16, v3
	s_lshr_b32 s7, s7, 27
	s_waitcnt lgkmcnt(0)
	s_add_i32 s3, s3, s7
	s_barrier
	v_ashrrev_i32_e32 v4, 31, v3
	v_cmp_gt_i32_e32 vcc_lo, s18, v3
	s_ashr_i32 s3, s3, 5
	buffer_gl0_inv
	s_add_i32 s3, s3, -1
	v_lshrrev_b32_e32 v5, 27, v4
	v_or_b32_e32 v4, 16, v3
	s_mul_i32 s6, s15, s6
	v_lshlrev_b64 v[81:82], 1, v[1:2]
	s_delay_alu instid0(VALU_DEP_3) | instskip(NEXT) | instid1(VALU_DEP_3)
	v_add_nc_u32_e32 v6, v3, v5
	v_add_nc_u32_e32 v5, v4, v5
	s_mul_i32 s20, s34, s4
	s_delay_alu instid0(SALU_CYCLE_1) | instskip(NEXT) | instid1(VALU_DEP_2)
	s_ashr_i32 s21, s20, 31
	v_ashrrev_i32_e32 v6, 5, v6
	s_delay_alu instid0(VALU_DEP_2) | instskip(SKIP_1) | instid1(SALU_CYCLE_1)
	v_ashrrev_i32_e32 v5, 5, v5
	s_lshl_b64 s[20:21], s[20:21], 2
	s_add_u32 s4, s12, s20
	s_delay_alu instid0(VALU_DEP_2) | instskip(SKIP_3) | instid1(SALU_CYCLE_1)
	v_cndmask_b32_e32 v3, s3, v6, vcc_lo
	v_cmp_gt_i32_e32 vcc_lo, s18, v4
	s_addc_u32 s17, s13, s21
	s_ashr_i32 s7, s6, 31
	s_lshl_b64 s[6:7], s[6:7], 1
	v_cndmask_b32_e32 v5, s3, v5, vcc_lo
	v_ashrrev_i32_e32 v4, 31, v3
	s_add_u32 s15, s8, s6
	s_addc_u32 s28, s9, s7
	s_lshl_b32 s8, s14, 3
	v_ashrrev_i32_e32 v6, 31, v5
	v_lshlrev_b64 v[3:4], 2, v[3:4]
	s_ashr_i32 s9, s8, 31
	s_delay_alu instid0(SALU_CYCLE_1) | instskip(NEXT) | instid1(VALU_DEP_2)
	s_lshl_b64 s[8:9], s[8:9], 2
	v_lshlrev_b64 v[5:6], 2, v[5:6]
	s_add_u32 s8, s4, s8
	s_delay_alu instid0(VALU_DEP_2) | instskip(SKIP_1) | instid1(VALU_DEP_3)
	v_add_co_u32 v3, vcc_lo, s4, v3
	v_add_co_ci_u32_e32 v4, vcc_lo, s17, v4, vcc_lo
	v_add_co_u32 v5, vcc_lo, s4, v5
	s_delay_alu instid0(VALU_DEP_4)
	v_add_co_ci_u32_e32 v6, vcc_lo, s17, v6, vcc_lo
	s_addc_u32 s9, s17, s9
	s_clause 0x1
	global_load_b32 v7, v[3:4], off
	global_load_b32 v8, v[5:6], off
	s_or_b32 s12, s16, 32
	s_delay_alu instid0(SALU_CYCLE_1) | instskip(SKIP_2) | instid1(SALU_CYCLE_1)
	s_ashr_i32 s13, s12, 5
	s_cmp_lt_i32 s12, s18
	s_cselect_b32 s12, s13, s3
	s_ashr_i32 s13, s12, 31
	s_delay_alu instid0(SALU_CYCLE_1) | instskip(NEXT) | instid1(SALU_CYCLE_1)
	s_lshl_b64 s[12:13], s[12:13], 2
	s_add_u32 s12, s4, s12
	s_addc_u32 s13, s17, s13
	s_or_b32 s20, s16, 64
	s_delay_alu instid0(SALU_CYCLE_1) | instskip(SKIP_2) | instid1(SALU_CYCLE_1)
	s_ashr_i32 s21, s20, 5
	s_cmp_lt_i32 s20, s18
	s_cselect_b32 s20, s21, s3
	s_ashr_i32 s21, s20, 31
	s_delay_alu instid0(SALU_CYCLE_1) | instskip(NEXT) | instid1(SALU_CYCLE_1)
	s_lshl_b64 s[20:21], s[20:21], 2
	s_add_u32 s20, s4, s20
	s_addc_u32 s21, s17, s21
	s_or_b32 s22, s16, 0x60
	s_delay_alu instid0(SALU_CYCLE_1) | instskip(SKIP_2) | instid1(SALU_CYCLE_1)
	s_ashr_i32 s23, s22, 5
	s_cmp_lt_i32 s22, s18
	s_cselect_b32 s22, s23, s3
	s_ashr_i32 s23, s22, 31
	s_delay_alu instid0(SALU_CYCLE_1) | instskip(NEXT) | instid1(SALU_CYCLE_1)
	s_lshl_b64 s[22:23], s[22:23], 2
	s_add_u32 s22, s4, s22
	s_addc_u32 s23, s17, s23
	s_or_b32 s24, s16, 0x80
	s_delay_alu instid0(SALU_CYCLE_1) | instskip(SKIP_2) | instid1(SALU_CYCLE_1)
	s_ashr_i32 s25, s24, 5
	s_cmp_lt_i32 s24, s18
	s_cselect_b32 s24, s25, s3
	s_ashr_i32 s25, s24, 31
	s_delay_alu instid0(SALU_CYCLE_1) | instskip(NEXT) | instid1(SALU_CYCLE_1)
	s_lshl_b64 s[24:25], s[24:25], 2
	s_add_u32 s24, s4, s24
	s_addc_u32 s25, s17, s25
	s_or_b32 s26, s16, 0xa0
	s_delay_alu instid0(SALU_CYCLE_1) | instskip(SKIP_2) | instid1(SALU_CYCLE_1)
	s_ashr_i32 s27, s26, 5
	s_cmp_lt_i32 s26, s18
	s_cselect_b32 s26, s27, s3
	s_ashr_i32 s27, s26, 31
	s_delay_alu instid0(SALU_CYCLE_1) | instskip(NEXT) | instid1(SALU_CYCLE_1)
	s_lshl_b64 s[26:27], s[26:27], 2
	s_add_u32 s26, s4, s26
	s_addc_u32 s27, s17, s27
	s_clause 0x5
	s_load_b32 s29, s[8:9], 0x0
	s_load_b32 s30, s[12:13], 0x0
	;; [unrolled: 1-line block ×6, first 2 shown]
	s_or_b32 s8, s16, 0xc0
	s_mov_b32 s20, 0
	s_ashr_i32 s9, s8, 5
	s_cmp_lt_i32 s8, s18
	s_mov_b32 s27, s20
	s_cselect_b32 s8, s9, s3
	s_mov_b32 s21, s20
	s_ashr_i32 s9, s8, 31
	s_mov_b32 s22, s20
	s_lshl_b64 s[8:9], s[8:9], 2
	s_mov_b32 s23, s20
	s_add_u32 s8, s4, s8
	s_mov_b32 s24, s20
	s_mov_b32 s25, s20
	;; [unrolled: 1-line block ×3, first 2 shown]
	s_addc_u32 s9, s17, s9
	v_mov_b32_e32 v117, s27
	v_dual_mov_b32 v110, s20 :: v_dual_lshlrev_b32 v85, 6, v73
	v_dual_mov_b32 v116, s26 :: v_dual_mov_b32 v115, s25
	v_dual_mov_b32 v114, s24 :: v_dual_mov_b32 v113, s23
	;; [unrolled: 1-line block ×3, first 2 shown]
	s_waitcnt lgkmcnt(0)
	s_mul_hi_i32 s13, s29, s5
	s_mul_i32 s12, s29, s5
	v_lshl_or_b32 v58, v74, 10, v85
	s_mul_hi_i32 s21, s30, s5
	s_mul_i32 s20, s30, s5
	s_mul_hi_i32 s25, s33, s5
	s_mul_i32 s24, s33, s5
	;; [unrolled: 2-line block ×3, first 2 shown]
	s_mul_hi_i32 s37, s38, s5
	s_waitcnt vmcnt(1)
	v_mad_i64_i32 v[3:4], null, v7, s5, 0
	s_waitcnt vmcnt(0)
	v_mad_i64_i32 v[5:6], null, v8, s5, 0
	s_delay_alu instid0(VALU_DEP_2) | instskip(NEXT) | instid1(VALU_DEP_2)
	v_lshlrev_b64 v[3:4], 1, v[3:4]
	v_lshlrev_b64 v[1:2], 1, v[5:6]
	s_delay_alu instid0(VALU_DEP_2) | instskip(NEXT) | instid1(VALU_DEP_3)
	v_add_co_u32 v3, vcc_lo, s15, v3
	v_add_co_ci_u32_e32 v4, vcc_lo, s28, v4, vcc_lo
	s_delay_alu instid0(VALU_DEP_3) | instskip(NEXT) | instid1(VALU_DEP_4)
	v_add_co_u32 v1, vcc_lo, s15, v1
	v_add_co_ci_u32_e32 v2, vcc_lo, s28, v2, vcc_lo
	s_delay_alu instid0(VALU_DEP_4) | instskip(NEXT) | instid1(VALU_DEP_4)
	v_add_co_u32 v41, vcc_lo, v3, v81
	v_add_co_ci_u32_e32 v42, vcc_lo, v4, v82, vcc_lo
	s_delay_alu instid0(VALU_DEP_4) | instskip(NEXT) | instid1(VALU_DEP_4)
	v_add_co_u32 v43, vcc_lo, v1, v81
	v_add_co_ci_u32_e32 v44, vcc_lo, v2, v82, vcc_lo
	s_clause 0xf
	global_load_b128 v[1:4], v[41:42], off
	global_load_b128 v[5:8], v[41:42], off offset:512
	global_load_b128 v[9:12], v[43:44], off offset:256
	;; [unrolled: 1-line block ×15, first 2 shown]
	v_mul_lo_u16 v41, v73, 37
	s_or_b32 s15, s16, 0xe0
	s_delay_alu instid0(SALU_CYCLE_1) | instskip(SKIP_1) | instid1(VALU_DEP_1)
	s_ashr_i32 s22, s15, 5
	s_cmp_lt_i32 s15, s18
	v_lshrrev_b16 v41, 8, v41
	s_cselect_b32 s22, s22, s3
	s_delay_alu instid0(SALU_CYCLE_1) | instskip(NEXT) | instid1(VALU_DEP_1)
	s_ashr_i32 s23, s22, 31
	v_mul_lo_u16 v41, v41, 7
	s_lshl_b64 s[22:23], s[22:23], 2
	s_delay_alu instid0(SALU_CYCLE_1) | instskip(SKIP_1) | instid1(VALU_DEP_1)
	s_add_u32 s22, s4, s22
	s_addc_u32 s23, s17, s23
	v_sub_nc_u16 v41, v73, v41
	s_add_i32 s15, s16, 0x100
	s_delay_alu instid0(SALU_CYCLE_1) | instskip(SKIP_1) | instid1(VALU_DEP_1)
	s_ashr_i32 s28, s15, 5
	s_cmp_lt_i32 s15, s18
	v_and_b32_e32 v41, 0xff, v41
	s_cselect_b32 s28, s28, s3
	s_delay_alu instid0(SALU_CYCLE_1) | instskip(NEXT) | instid1(VALU_DEP_1)
	s_ashr_i32 s29, s28, 31
	v_lshlrev_b32_e32 v57, 6, v41
	ds_load_b128 v[41:44], v57
	ds_load_b128 v[45:48], v57 offset:1024
	ds_load_b128 v[49:52], v57 offset:2048
	;; [unrolled: 1-line block ×7, first 2 shown]
	s_lshl_b64 s[28:29], s[28:29], 2
	s_load_b32 s15, s[8:9], 0x0
	s_add_u32 s28, s4, s28
	s_addc_u32 s29, s17, s29
	s_add_u32 s3, s10, s6
	s_clause 0x1
	s_load_b32 s4, s[22:23], 0x0
	s_load_b32 s17, s[28:29], 0x0
	s_addc_u32 s28, s11, s7
	v_add_co_u32 v76, s3, s3, v58
	s_delay_alu instid0(VALU_DEP_1) | instskip(SKIP_2) | instid1(VALU_DEP_2)
	v_add_co_ci_u32_e64 v77, null, s28, 0, s3
	s_lshl_b64 s[6:7], s[12:13], 1
	s_lshl_b64 s[10:11], s[20:21], 1
	v_add_co_u32 v57, vcc_lo, v76, s6
	s_delay_alu instid0(VALU_DEP_2)
	v_add_co_ci_u32_e32 v58, vcc_lo, s7, v77, vcc_lo
	s_lshl_b64 s[12:13], s[24:25], 1
	s_lshl_b64 s[20:21], s[26:27], 1
	s_mul_hi_i32 s9, s36, s5
	s_mul_i32 s8, s36, s5
	s_mul_i32 s36, s38, s5
	s_lshl_b64 s[8:9], s[8:9], 1
	s_lshl_b64 s[22:23], s[36:37], 1
	s_waitcnt lgkmcnt(0)
	s_mul_hi_i32 s25, s15, s5
	s_mul_i32 s24, s15, s5
	s_clause 0x1
	global_load_b128 v[65:68], v[57:58], off
	global_load_b128 v[69:72], v[57:58], off offset:16
	s_lshl_b64 s[6:7], s[24:25], 1
	s_waitcnt vmcnt(16)
	v_wmma_f32_16x16x16_bf16 v[134:141], v[1:8], v[41:48], v[110:117]
	v_add_co_u32 v1, vcc_lo, v76, s10
	v_add_co_ci_u32_e32 v2, vcc_lo, s11, v77, vcc_lo
	s_waitcnt vmcnt(12)
	s_delay_alu instid0(VALU_DEP_3) | instskip(SKIP_3) | instid1(VALU_DEP_3)
	v_wmma_f32_16x16x16_bf16 v[134:141], v[17:24], v[49:56], v[134:141]
	v_add_co_u32 v3, vcc_lo, v76, s12
	v_add_co_ci_u32_e32 v4, vcc_lo, s13, v77, vcc_lo
	s_waitcnt vmcnt(8)
	v_wmma_f32_16x16x16_bf16 v[134:141], v[33:40], v[118:125], v[134:141]
	v_add_co_u32 v5, vcc_lo, v76, s20
	v_add_co_ci_u32_e32 v6, vcc_lo, s21, v77, vcc_lo
	s_waitcnt vmcnt(4)
	s_delay_alu instid0(VALU_DEP_3) | instskip(SKIP_2) | instid1(VALU_DEP_3)
	v_wmma_f32_16x16x16_bf16 v[134:141], v[94:101], v[126:133], v[134:141]
	v_add_co_u32 v7, vcc_lo, v76, s8
	v_add_co_ci_u32_e32 v8, vcc_lo, s9, v77, vcc_lo
	v_mul_f32_e32 v100, s19, v141
	v_wmma_f32_16x16x16_bf16 v[110:117], v[9:16], v[41:48], v[110:117]
	s_clause 0x1
	global_load_b128 v[57:60], v[1:2], off
	global_load_b128 v[61:64], v[1:2], off offset:16
	s_mul_hi_i32 s9, s4, s5
	s_mul_i32 s8, s4, s5
	v_wmma_f32_16x16x16_bf16 v[110:117], v[25:32], v[49:56], v[110:117]
	s_clause 0x5
	global_load_b128 v[49:52], v[3:4], off
	global_load_b128 v[53:56], v[3:4], off offset:16
	global_load_b128 v[41:44], v[5:6], off
	global_load_b128 v[45:48], v[5:6], off offset:16
	;; [unrolled: 2-line block ×3, first 2 shown]
	v_add_co_u32 v5, vcc_lo, v76, s22
	v_add_co_ci_u32_e32 v6, vcc_lo, s23, v77, vcc_lo
	v_add_co_u32 v17, vcc_lo, v76, s6
	v_add_co_ci_u32_e32 v18, vcc_lo, s7, v77, vcc_lo
	s_lshl_b64 s[6:7], s[8:9], 1
	s_mul_hi_i32 s9, s17, s5
	s_mul_i32 s8, s17, s5
	v_add_co_u32 v19, vcc_lo, v76, s6
	s_lshl_b64 s[4:5], s[8:9], 1
	v_add_co_ci_u32_e32 v20, vcc_lo, s7, v77, vcc_lo
	v_add_co_u32 v21, vcc_lo, v76, s4
	v_add_co_ci_u32_e32 v22, vcc_lo, s5, v77, vcc_lo
	s_clause 0x7
	global_load_b128 v[1:4], v[5:6], off
	global_load_b128 v[5:8], v[5:6], off offset:16
	global_load_b128 v[33:36], v[17:18], off
	global_load_b128 v[37:40], v[17:18], off offset:16
	;; [unrolled: 2-line block ×4, first 2 shown]
	v_and_b32_e32 v76, 0xe0, v0
	v_mbcnt_lo_u32_b32 v77, -1, 0
	v_wmma_f32_16x16x16_bf16 v[110:117], v[86:93], v[118:125], v[110:117]
	s_waitcnt vmcnt(0)
	s_barrier
	v_add_nc_u32_e32 v76, s16, v76
	v_xor_b32_e32 v78, 16, v77
	v_wmma_f32_16x16x16_bf16 v[110:117], v[102:109], v[126:133], v[110:117]
	v_mul_f32_e32 v97, s19, v134
	v_mul_f32_e32 v99, s19, v135
	v_or_b32_e32 v76, v76, v83
	v_cmp_gt_i32_e32 vcc_lo, 32, v78
	buffer_gl0_inv
	v_or_b32_e32 v79, 4, v76
	v_cndmask_b32_e32 v77, v77, v78, vcc_lo
	v_or_b32_e32 v78, 2, v76
	v_or_b32_e32 v80, 6, v76
	;; [unrolled: 1-line block ×3, first 2 shown]
	v_cmp_gt_i32_e32 vcc_lo, s18, v76
	v_or_b32_e32 v87, 10, v76
	v_cmp_gt_i32_e64 s3, s18, v78
	v_or_b32_e32 v88, 12, v76
	v_or_b32_e32 v89, 14, v76
	;; [unrolled: 1-line block ×10, first 2 shown]
	v_cndmask_b32_e64 v78, 0xff7fffff, v99, s3
	v_mul_f32_e32 v99, s19, v137
	v_cmp_gt_i32_e64 s4, s18, v80
	v_mul_f32_e32 v80, s19, v136
	v_cmp_gt_i32_e64 s5, s18, v79
	v_cmp_gt_i32_e64 s6, s18, v86
	v_mul_f32_e32 v86, s19, v116
	v_cndmask_b32_e32 v76, 0xff7fffff, v97, vcc_lo
	v_mul_f32_e32 v79, s19, v139
	v_cndmask_b32_e64 v80, 0xff7fffff, v80, s5
	v_cndmask_b32_e64 v99, 0xff7fffff, v99, s4
	v_cmp_gt_i32_e64 s7, s18, v87
	v_max3_f32 v76, v76, 0xff7fffff, v78
	v_dual_mul_f32 v78, s19, v138 :: v_dual_mul_f32 v97, s19, v140
	v_cmp_gt_i32_e64 s8, s18, v89
	s_delay_alu instid0(VALU_DEP_4) | instskip(NEXT) | instid1(VALU_DEP_4)
	v_cndmask_b32_e64 v79, 0xff7fffff, v79, s7
	v_max3_f32 v76, v76, v80, v99
	s_delay_alu instid0(VALU_DEP_4) | instskip(SKIP_3) | instid1(VALU_DEP_4)
	v_cndmask_b32_e64 v78, 0xff7fffff, v78, s6
	v_cmp_gt_i32_e64 s9, s18, v88
	v_dual_mul_f32 v88, s19, v111 :: v_dual_mul_f32 v89, s19, v110
	v_cndmask_b32_e64 v100, 0xff7fffff, v100, s8
	v_max3_f32 v76, v76, v78, v79
	s_delay_alu instid0(VALU_DEP_4) | instskip(SKIP_3) | instid1(VALU_DEP_4)
	v_cndmask_b32_e64 v97, 0xff7fffff, v97, s9
	v_cmp_gt_i32_e64 s10, s18, v90
	v_cmp_gt_i32_e64 s11, s18, v91
	v_dual_mul_f32 v78, s19, v113 :: v_dual_mul_f32 v79, s19, v112
	v_max3_f32 v76, v76, v97, v100
	s_delay_alu instid0(VALU_DEP_4) | instskip(NEXT) | instid1(VALU_DEP_4)
	v_cndmask_b32_e64 v89, 0xff7fffff, v89, s10
	v_cndmask_b32_e64 v88, 0xff7fffff, v88, s11
	v_cmp_gt_i32_e64 s12, s18, v92
	v_cmp_gt_i32_e64 s13, s18, v93
	v_mul_f32_e32 v87, s19, v115
	v_mul_f32_e32 v99, s19, v114
	v_max3_f32 v76, v76, v89, v88
	v_cndmask_b32_e64 v79, 0xff7fffff, v79, s12
	v_cndmask_b32_e64 v78, 0xff7fffff, v78, s13
	v_cmp_gt_i32_e64 s15, s18, v94
	v_cmp_gt_i32_e64 s16, s18, v95
	v_mul_f32_e32 v80, s19, v117
	v_cmp_gt_i32_e64 s17, s18, v96
	v_max3_f32 v76, v76, v79, v78
	v_cndmask_b32_e64 v88, 0xff7fffff, v99, s15
	v_cndmask_b32_e64 v87, 0xff7fffff, v87, s16
	v_cmp_gt_i32_e64 s18, s18, v98
	v_cndmask_b32_e64 v78, 0xff7fffff, v86, s17
	v_lshlrev_b32_e32 v99, 2, v77
	s_delay_alu instid0(VALU_DEP_4) | instskip(NEXT) | instid1(VALU_DEP_4)
	v_max3_f32 v76, v76, v88, v87
	v_cndmask_b32_e64 v79, 0xff7fffff, v80, s18
	s_delay_alu instid0(VALU_DEP_1) | instskip(SKIP_3) | instid1(VALU_DEP_1)
	v_max3_f32 v76, v76, v78, v79
	ds_bpermute_b32 v77, v99, v76
	s_waitcnt lgkmcnt(0)
	v_max_f32_e32 v77, v77, v77
	v_max_f32_e32 v76, v76, v77
	s_delay_alu instid0(VALU_DEP_1)
	v_fma_f32 v86, s19, v138, -v76
	v_fma_f32 v77, s19, v134, -v76
	;; [unrolled: 1-line block ×5, first 2 shown]
	v_mul_f32_e32 v86, 0x3fb8aa3b, v86
	v_fma_f32 v88, s19, v114, -v76
	s_delay_alu instid0(VALU_DEP_4) | instskip(NEXT) | instid1(VALU_DEP_4)
	v_dual_mul_f32 v78, 0x3fb8aa3b, v78 :: v_dual_mul_f32 v79, 0x3fb8aa3b, v79
	v_mul_f32_e32 v80, 0x3fb8aa3b, v80
	s_delay_alu instid0(VALU_DEP_4) | instskip(SKIP_1) | instid1(VALU_DEP_3)
	v_exp_f32_e32 v86, v86
	v_fma_f32 v87, s19, v140, -v76
	v_exp_f32_e32 v78, v78
	v_exp_f32_e32 v79, v79
	;; [unrolled: 1-line block ×3, first 2 shown]
	s_delay_alu instid0(VALU_DEP_1)
	v_dual_mul_f32 v88, 0x3fb8aa3b, v88 :: v_dual_mul_f32 v87, 0x3fb8aa3b, v87
	v_fma_f32 v100, s19, v117, -v76
	v_fma_f32 v90, s19, v116, -v76
	v_cndmask_b32_e64 v96, 0, v86, s6
	v_fma_f32 v86, s19, v111, -v76
	v_mul_f32_e32 v77, 0x3fb8aa3b, v77
	s_delay_alu instid0(TRANS32_DEP_3) | instskip(NEXT) | instid1(TRANS32_DEP_2)
	v_cndmask_b32_e64 v91, 0, v78, s3
	v_cndmask_b32_e64 v93, 0, v79, s5
	s_delay_alu instid0(TRANS32_DEP_1)
	v_cndmask_b32_e64 v95, 0, v80, s4
	v_mul_f32_e32 v86, 0x3fb8aa3b, v86
	v_exp_f32_e32 v77, v77
	v_fma_f32 v79, s19, v141, -v76
	v_fma_f32 v80, s19, v110, -v76
	v_exp_f32_e32 v87, v87
	v_exp_f32_e32 v86, v86
	s_delay_alu instid0(VALU_DEP_2) | instskip(NEXT) | instid1(VALU_DEP_2)
	v_dual_mul_f32 v100, 0x3fb8aa3b, v100 :: v_dual_mul_f32 v79, 0x3fb8aa3b, v79
	v_mul_f32_e32 v80, 0x3fb8aa3b, v80
	v_exp_f32_e32 v88, v88
	v_cmp_gt_u32_e64 s3, 16, v75
	v_cndmask_b32_e32 v92, 0, v77, vcc_lo
	v_fma_f32 v77, s19, v139, -v76
	v_exp_f32_e32 v79, v79
	v_exp_f32_e32 v80, v80
	v_cndmask_b32_e64 v94, 0, v87, s9
	s_delay_alu instid0(VALU_DEP_2) | instskip(SKIP_2) | instid1(VALU_DEP_2)
	v_dual_add_f32 v78, 0, v92 :: v_dual_mul_f32 v77, 0x3fb8aa3b, v77
	v_fma_f32 v87, s19, v113, -v76
	v_exp_f32_e32 v100, v100
	v_add_f32_e32 v78, v78, v91
	s_delay_alu instid0(VALU_DEP_3) | instskip(SKIP_1) | instid1(VALU_DEP_2)
	v_exp_f32_e32 v77, v77
	v_cndmask_b32_e64 v98, 0, v79, s8
	v_dual_mul_f32 v87, 0x3fb8aa3b, v87 :: v_dual_add_f32 v78, v78, v93
	s_delay_alu instid0(VALU_DEP_1) | instskip(NEXT) | instid1(VALU_DEP_1)
	v_exp_f32_e32 v87, v87
	v_add_f32_e32 v78, v78, v95
	s_waitcnt_depctr 0xfff
	v_cndmask_b32_e64 v97, 0, v77, s7
	v_add_f32_e32 v77, v78, v96
	v_fma_f32 v78, s19, v112, -v76
	s_delay_alu instid0(VALU_DEP_1) | instskip(NEXT) | instid1(VALU_DEP_1)
	v_mul_f32_e32 v78, 0x3fb8aa3b, v78
	v_exp_f32_e32 v89, v78
	v_cndmask_b32_e64 v78, 0, v86, s11
	v_add_f32_e32 v77, v77, v97
	s_delay_alu instid0(VALU_DEP_1) | instskip(SKIP_2) | instid1(VALU_DEP_1)
	v_add_f32_e32 v79, v77, v94
	v_cndmask_b32_e64 v77, 0, v80, s10
	v_fma_f32 v80, s19, v115, -v76
	v_dual_add_f32 v79, v79, v98 :: v_dual_mul_f32 v80, 0x3fb8aa3b, v80
	s_delay_alu instid0(VALU_DEP_1) | instskip(NEXT) | instid1(TRANS32_DEP_1)
	v_add_f32_e32 v86, v79, v77
	v_cndmask_b32_e64 v79, 0, v89, s12
	v_mul_f32_e32 v89, 0x3fb8aa3b, v90
	s_delay_alu instid0(VALU_DEP_4) | instskip(SKIP_2) | instid1(VALU_DEP_3)
	v_exp_f32_e32 v90, v80
	v_cndmask_b32_e64 v80, 0, v87, s13
	v_add_f32_e32 v86, v86, v78
	v_exp_f32_e32 v89, v89
	s_delay_alu instid0(VALU_DEP_1) | instskip(SKIP_1) | instid1(VALU_DEP_2)
	v_add_f32_e32 v87, v86, v79
	v_cndmask_b32_e64 v86, 0, v88, s15
	v_add_f32_e32 v88, v87, v80
	s_delay_alu instid0(TRANS32_DEP_2) | instskip(NEXT) | instid1(VALU_DEP_2)
	v_cndmask_b32_e64 v87, 0, v90, s16
	v_add_f32_e32 v90, v88, v86
	s_waitcnt_depctr 0xfff
	v_cndmask_b32_e64 v88, 0, v89, s17
	v_add_f32_e32 v89, v90, v87
	s_delay_alu instid0(VALU_DEP_1) | instskip(SKIP_1) | instid1(VALU_DEP_1)
	v_add_f32_e32 v90, v89, v88
	v_cndmask_b32_e64 v89, 0, v100, s18
	v_add_f32_e32 v90, v90, v89
	ds_bpermute_b32 v99, v99, v90
	s_and_saveexec_b32 s4, s3
	s_cbranch_execz .LBB504_14
; %bb.13:
	v_mul_u32_u24_e32 v75, 0x44, v74
	s_waitcnt lgkmcnt(0)
	v_add_f32_e32 v90, v90, v99
	s_delay_alu instid0(VALU_DEP_2) | instskip(NEXT) | instid1(VALU_DEP_1)
	v_lshl_add_u32 v75, v73, 2, v75
	v_add_nc_u32_e32 v75, 0x4000, v75
	ds_store_2addr_b32 v75, v76, v90 offset1:136
.LBB504_14:
	s_or_b32 exec_lo, exec_lo, s4
	v_lshlrev_b32_e32 v75, 2, v73
	s_waitcnt lgkmcnt(0)
	s_barrier
	buffer_gl0_inv
	v_cmp_eq_u32_e64 s4, 1, v74
	v_add_nc_u32_e32 v90, 0x4000, v75
	ds_load_2addr_b32 v[99:100], v90 offset1:17
	ds_load_2addr_b32 v[101:102], v90 offset0:34 offset1:51
	ds_load_2addr_b32 v[103:104], v90 offset0:68 offset1:85
	;; [unrolled: 1-line block ×4, first 2 shown]
	s_waitcnt lgkmcnt(4)
	v_max3_f32 v75, v99, 0xff7fffff, v100
	s_waitcnt lgkmcnt(3)
	s_delay_alu instid0(VALU_DEP_1) | instskip(SKIP_1) | instid1(VALU_DEP_1)
	v_max3_f32 v75, v75, v101, v102
	s_waitcnt lgkmcnt(2)
	v_max3_f32 v75, v75, v103, v104
	s_waitcnt lgkmcnt(1)
	s_delay_alu instid0(VALU_DEP_1) | instskip(NEXT) | instid1(VALU_DEP_1)
	v_max3_f32 v75, v75, v105, v106
	v_sub_f32_e32 v109, v100, v75
	v_sub_f32_e32 v76, v99, v75
	ds_load_2addr_b32 v[99:100], v90 offset0:170 offset1:187
	v_sub_f32_e32 v101, v101, v75
	v_dual_mul_f32 v109, 0x3fb8aa3b, v109 :: v_dual_mul_f32 v76, 0x3fb8aa3b, v76
	s_delay_alu instid0(VALU_DEP_2) | instskip(NEXT) | instid1(VALU_DEP_2)
	v_mul_f32_e32 v111, 0x3fb8aa3b, v101
	v_exp_f32_e32 v109, v109
	s_delay_alu instid0(VALU_DEP_2)
	v_exp_f32_e32 v110, v76
	v_sub_f32_e32 v76, v102, v75
	ds_load_2addr_b32 v[101:102], v90 offset0:204 offset1:221
	v_exp_f32_e32 v111, v111
	v_mul_f32_e32 v112, 0x3fb8aa3b, v76
	s_waitcnt lgkmcnt(2)
	v_fma_f32 v76, v110, v107, 0
	v_sub_f32_e32 v103, v103, v75
	s_delay_alu instid0(VALU_DEP_3) | instskip(NEXT) | instid1(VALU_DEP_2)
	v_exp_f32_e32 v112, v112
	v_dual_sub_f32 v107, v104, v75 :: v_dual_fmac_f32 v76, v109, v108
	s_waitcnt lgkmcnt(1)
	s_waitcnt_depctr 0xfff
	v_fmac_f32_e32 v76, v111, v99
	v_mul_f32_e32 v113, 0x3fb8aa3b, v103
	ds_load_2addr_b32 v[103:104], v90 offset0:238 offset1:255
	v_sub_f32_e32 v90, v105, v75
	v_dual_sub_f32 v99, v106, v75 :: v_dual_fmac_f32 v76, v112, v100
	v_mul_f32_e32 v105, 0x3fb8aa3b, v107
	v_exp_f32_e32 v107, v113
	s_delay_alu instid0(VALU_DEP_2)
	v_dual_mul_f32 v90, 0x3fb8aa3b, v90 :: v_dual_mul_f32 v99, 0x3fb8aa3b, v99
	s_waitcnt lgkmcnt(0)
	s_barrier
	buffer_gl0_inv
	v_exp_f32_e32 v90, v90
	v_exp_f32_e32 v99, v99
	v_fmac_f32_e32 v76, v107, v101
	v_exp_f32_e32 v105, v105
	s_waitcnt_depctr 0xfff
	v_fmac_f32_e32 v76, v105, v102
	s_delay_alu instid0(VALU_DEP_1) | instskip(NEXT) | instid1(VALU_DEP_1)
	v_fmac_f32_e32 v76, v90, v103
	v_fmac_f32_e32 v76, v99, v104
	s_delay_alu instid0(VALU_DEP_1) | instskip(NEXT) | instid1(VALU_DEP_1)
	v_add_f32_e32 v100, 0x358637bd, v76
	v_div_scale_f32 v101, null, v100, v100, 1.0
	v_div_scale_f32 v104, vcc_lo, 1.0, v100, 1.0
	s_delay_alu instid0(VALU_DEP_2) | instskip(SKIP_2) | instid1(VALU_DEP_1)
	v_rcp_f32_e32 v102, v101
	s_waitcnt_depctr 0xfff
	v_fma_f32 v103, -v101, v102, 1.0
	v_fmac_f32_e32 v102, v103, v102
	v_cndmask_b32_e64 v103, v110, v109, s4
	v_cmp_eq_u32_e64 s4, 2, v74
	s_delay_alu instid0(VALU_DEP_3) | instskip(NEXT) | instid1(VALU_DEP_2)
	v_mul_f32_e32 v106, v104, v102
	v_cndmask_b32_e64 v103, v103, v111, s4
	v_cmp_eq_u32_e64 s4, 3, v74
	s_delay_alu instid0(VALU_DEP_3) | instskip(NEXT) | instid1(VALU_DEP_2)
	v_fma_f32 v108, -v101, v106, v104
	v_cndmask_b32_e64 v103, v103, v112, s4
	v_cmp_eq_u32_e64 s4, 4, v74
	s_delay_alu instid0(VALU_DEP_3) | instskip(NEXT) | instid1(VALU_DEP_2)
	v_fmac_f32_e32 v106, v108, v102
	v_cndmask_b32_e64 v103, v103, v107, s4
	s_delay_alu instid0(VALU_DEP_2) | instskip(SKIP_1) | instid1(VALU_DEP_2)
	v_fma_f32 v101, -v101, v106, v104
	v_cmp_eq_u32_e64 s4, 5, v74
	v_div_fmas_f32 v101, v101, v102, v106
	s_delay_alu instid0(VALU_DEP_2) | instskip(SKIP_2) | instid1(VALU_DEP_3)
	v_cndmask_b32_e64 v103, v103, v105, s4
	v_cmp_eq_u32_e32 vcc_lo, 6, v74
	s_mov_b32 s4, exec_lo
	v_div_fixup_f32 v100, v101, v100, 1.0
	s_delay_alu instid0(VALU_DEP_3) | instskip(SKIP_1) | instid1(VALU_DEP_2)
	v_cndmask_b32_e32 v90, v103, v90, vcc_lo
	v_cmp_eq_u32_e32 vcc_lo, 7, v74
	v_cndmask_b32_e32 v90, v90, v99, vcc_lo
	s_delay_alu instid0(VALU_DEP_1) | instskip(NEXT) | instid1(VALU_DEP_1)
	v_mul_f32_e32 v90, v90, v100
	v_mul_f32_e32 v100, v90, v92
	v_mul_f32_e32 v92, v90, v98
	v_mul_f32_e32 v94, v90, v94
	v_mul_f32_e32 v97, v90, v97
	v_mul_f32_e32 v98, v90, v96
	v_and_b32_e32 v101, 0x7f800000, v100
	v_mul_f32_e32 v99, v90, v95
	v_mul_f32_e32 v95, v90, v91
	v_mul_f32_e32 v96, v90, v93
                                        ; implicit-def: $vgpr91
	s_delay_alu instid0(VALU_DEP_4)
	v_cmpx_ne_u32_e32 0x7f800000, v101
	s_xor_b32 s4, exec_lo, s4
; %bb.15:
	v_bfe_u32 v91, v100, 16, 1
	s_delay_alu instid0(VALU_DEP_1)
	v_add3_u32 v91, v100, v91, 0x7fff
                                        ; implicit-def: $vgpr100
; %bb.16:
	s_and_not1_saveexec_b32 s4, s4
; %bb.17:
	v_and_b32_e32 v91, 0xffff, v100
	v_or_b32_e32 v93, 0x10000, v100
	s_delay_alu instid0(VALU_DEP_2) | instskip(NEXT) | instid1(VALU_DEP_2)
	v_cmp_eq_u32_e32 vcc_lo, 0, v91
	v_cndmask_b32_e32 v91, v93, v100, vcc_lo
; %bb.18:
	s_or_b32 exec_lo, exec_lo, s4
	v_and_b32_e32 v93, 0x7f800000, v95
	s_delay_alu instid0(VALU_DEP_1) | instskip(SKIP_1) | instid1(SALU_CYCLE_1)
	v_cmp_ne_u32_e32 vcc_lo, 0x7f800000, v93
                                        ; implicit-def: $vgpr93
	s_and_saveexec_b32 s4, vcc_lo
	s_xor_b32 s4, exec_lo, s4
; %bb.19:
	v_bfe_u32 v93, v95, 16, 1
	s_delay_alu instid0(VALU_DEP_1)
	v_add3_u32 v93, v95, v93, 0x7fff
                                        ; implicit-def: $vgpr95
; %bb.20:
	s_and_not1_saveexec_b32 s4, s4
; %bb.21:
	v_and_b32_e32 v93, 0xffff, v95
	v_or_b32_e32 v100, 0x10000, v95
	s_delay_alu instid0(VALU_DEP_2) | instskip(NEXT) | instid1(VALU_DEP_2)
	v_cmp_eq_u32_e32 vcc_lo, 0, v93
	v_cndmask_b32_e32 v93, v100, v95, vcc_lo
; %bb.22:
	s_or_b32 exec_lo, exec_lo, s4
	v_and_b32_e32 v95, 0x7f800000, v96
	s_delay_alu instid0(VALU_DEP_1) | instskip(SKIP_1) | instid1(SALU_CYCLE_1)
	v_cmp_ne_u32_e32 vcc_lo, 0x7f800000, v95
                                        ; implicit-def: $vgpr95
	s_and_saveexec_b32 s4, vcc_lo
	s_xor_b32 s4, exec_lo, s4
; %bb.23:
	v_bfe_u32 v95, v96, 16, 1
	s_delay_alu instid0(VALU_DEP_1)
	v_add3_u32 v95, v96, v95, 0x7fff
                                        ; implicit-def: $vgpr96
; %bb.24:
	s_and_not1_saveexec_b32 s4, s4
; %bb.25:
	v_and_b32_e32 v95, 0xffff, v96
	v_or_b32_e32 v100, 0x10000, v96
	s_delay_alu instid0(VALU_DEP_2) | instskip(NEXT) | instid1(VALU_DEP_2)
	v_cmp_eq_u32_e32 vcc_lo, 0, v95
	v_cndmask_b32_e32 v95, v100, v96, vcc_lo
; %bb.26:
	s_or_b32 exec_lo, exec_lo, s4
	v_and_b32_e32 v96, 0x7f800000, v99
	s_delay_alu instid0(VALU_DEP_1) | instskip(SKIP_1) | instid1(SALU_CYCLE_1)
	v_cmp_ne_u32_e32 vcc_lo, 0x7f800000, v96
                                        ; implicit-def: $vgpr96
	s_and_saveexec_b32 s4, vcc_lo
	s_xor_b32 s4, exec_lo, s4
; %bb.27:
	v_bfe_u32 v96, v99, 16, 1
	s_delay_alu instid0(VALU_DEP_1)
	v_add3_u32 v96, v99, v96, 0x7fff
                                        ; implicit-def: $vgpr99
; %bb.28:
	s_and_not1_saveexec_b32 s4, s4
; %bb.29:
	v_and_b32_e32 v96, 0xffff, v99
	v_or_b32_e32 v100, 0x10000, v99
	s_delay_alu instid0(VALU_DEP_2) | instskip(NEXT) | instid1(VALU_DEP_2)
	v_cmp_eq_u32_e32 vcc_lo, 0, v96
	v_cndmask_b32_e32 v96, v100, v99, vcc_lo
; %bb.30:
	s_or_b32 exec_lo, exec_lo, s4
	v_and_b32_e32 v99, 0x7f800000, v98
	s_delay_alu instid0(VALU_DEP_1) | instskip(SKIP_1) | instid1(SALU_CYCLE_1)
	v_cmp_ne_u32_e32 vcc_lo, 0x7f800000, v99
                                        ; implicit-def: $vgpr99
	s_and_saveexec_b32 s4, vcc_lo
	s_xor_b32 s4, exec_lo, s4
; %bb.31:
	v_bfe_u32 v99, v98, 16, 1
	s_delay_alu instid0(VALU_DEP_1)
	v_add3_u32 v99, v98, v99, 0x7fff
                                        ; implicit-def: $vgpr98
; %bb.32:
	s_and_not1_saveexec_b32 s4, s4
; %bb.33:
	v_and_b32_e32 v99, 0xffff, v98
	v_or_b32_e32 v100, 0x10000, v98
	s_delay_alu instid0(VALU_DEP_2) | instskip(NEXT) | instid1(VALU_DEP_2)
	v_cmp_eq_u32_e32 vcc_lo, 0, v99
	v_cndmask_b32_e32 v99, v100, v98, vcc_lo
; %bb.34:
	s_or_b32 exec_lo, exec_lo, s4
	v_and_b32_e32 v98, 0x7f800000, v97
	s_delay_alu instid0(VALU_DEP_1) | instskip(SKIP_1) | instid1(SALU_CYCLE_1)
	v_cmp_ne_u32_e32 vcc_lo, 0x7f800000, v98
                                        ; implicit-def: $vgpr98
	s_and_saveexec_b32 s4, vcc_lo
	s_xor_b32 s4, exec_lo, s4
; %bb.35:
	v_bfe_u32 v98, v97, 16, 1
	s_delay_alu instid0(VALU_DEP_1)
	v_add3_u32 v98, v97, v98, 0x7fff
                                        ; implicit-def: $vgpr97
; %bb.36:
	s_and_not1_saveexec_b32 s4, s4
; %bb.37:
	v_and_b32_e32 v98, 0xffff, v97
	v_or_b32_e32 v100, 0x10000, v97
	s_delay_alu instid0(VALU_DEP_2) | instskip(NEXT) | instid1(VALU_DEP_2)
	v_cmp_eq_u32_e32 vcc_lo, 0, v98
	v_cndmask_b32_e32 v98, v100, v97, vcc_lo
; %bb.38:
	s_or_b32 exec_lo, exec_lo, s4
	v_and_b32_e32 v97, 0x7f800000, v94
	s_delay_alu instid0(VALU_DEP_1) | instskip(SKIP_1) | instid1(SALU_CYCLE_1)
	v_cmp_ne_u32_e32 vcc_lo, 0x7f800000, v97
                                        ; implicit-def: $vgpr97
	s_and_saveexec_b32 s4, vcc_lo
	s_xor_b32 s4, exec_lo, s4
; %bb.39:
	v_bfe_u32 v97, v94, 16, 1
	s_delay_alu instid0(VALU_DEP_1)
	v_add3_u32 v97, v94, v97, 0x7fff
                                        ; implicit-def: $vgpr94
; %bb.40:
	s_and_not1_saveexec_b32 s4, s4
; %bb.41:
	v_and_b32_e32 v97, 0xffff, v94
	v_or_b32_e32 v100, 0x10000, v94
	s_delay_alu instid0(VALU_DEP_2) | instskip(NEXT) | instid1(VALU_DEP_2)
	v_cmp_eq_u32_e32 vcc_lo, 0, v97
	v_cndmask_b32_e32 v97, v100, v94, vcc_lo
; %bb.42:
	s_or_b32 exec_lo, exec_lo, s4
	v_and_b32_e32 v94, 0x7f800000, v92
	s_delay_alu instid0(VALU_DEP_1) | instskip(SKIP_1) | instid1(SALU_CYCLE_1)
	v_cmp_ne_u32_e32 vcc_lo, 0x7f800000, v94
                                        ; implicit-def: $vgpr94
	s_and_saveexec_b32 s4, vcc_lo
	s_xor_b32 s4, exec_lo, s4
; %bb.43:
	v_bfe_u32 v94, v92, 16, 1
	s_delay_alu instid0(VALU_DEP_1)
	v_add3_u32 v94, v92, v94, 0x7fff
                                        ; implicit-def: $vgpr92
; %bb.44:
	s_and_not1_saveexec_b32 s4, s4
; %bb.45:
	v_and_b32_e32 v94, 0xffff, v92
	v_or_b32_e32 v100, 0x10000, v92
	s_delay_alu instid0(VALU_DEP_2) | instskip(NEXT) | instid1(VALU_DEP_2)
	v_cmp_eq_u32_e32 vcc_lo, 0, v94
	v_cndmask_b32_e32 v94, v100, v92, vcc_lo
; %bb.46:
	s_or_b32 exec_lo, exec_lo, s4
	s_load_b64 s[36:37], s[0:1], 0x94
	v_lshlrev_b32_e32 v92, 4, v83
	s_delay_alu instid0(VALU_DEP_2)
	v_perm_b32 v100, v94, v97, 0x7060302
	v_dual_mul_f32 v89, v90, v89 :: v_dual_lshlrev_b32 v94, 11, v74
	v_perm_b32 v97, v93, v91, 0x7060302
	v_mul_f32_e32 v93, v90, v77
	v_perm_b32 v99, v98, v99, 0x7060302
	v_perm_b32 v98, v96, v95, 0x7060302
	v_or3_b32 v77, v92, v94, v85
	v_mul_f32_e32 v88, v90, v88
	v_dual_mul_f32 v87, v90, v87 :: v_dual_and_b32 v94, 0x7f800000, v93
	v_mul_f32_e32 v86, v90, v86
	v_mul_f32_e32 v91, v90, v80
	;; [unrolled: 1-line block ×4, first 2 shown]
	s_mov_b32 s4, exec_lo
	ds_store_b128 v77, v[97:100]
                                        ; implicit-def: $vgpr78
	v_cmpx_ne_u32_e32 0x7f800000, v94
	s_xor_b32 s4, exec_lo, s4
; %bb.47:
	v_bfe_u32 v78, v93, 16, 1
	s_delay_alu instid0(VALU_DEP_1)
	v_add3_u32 v78, v93, v78, 0x7fff
                                        ; implicit-def: $vgpr93
; %bb.48:
	s_and_not1_saveexec_b32 s4, s4
; %bb.49:
	v_and_b32_e32 v78, 0xffff, v93
	v_or_b32_e32 v79, 0x10000, v93
	s_delay_alu instid0(VALU_DEP_2) | instskip(NEXT) | instid1(VALU_DEP_2)
	v_cmp_eq_u32_e32 vcc_lo, 0, v78
	v_cndmask_b32_e32 v78, v79, v93, vcc_lo
; %bb.50:
	s_or_b32 exec_lo, exec_lo, s4
	v_and_b32_e32 v79, 0x7f800000, v80
	s_delay_alu instid0(VALU_DEP_1) | instskip(SKIP_1) | instid1(SALU_CYCLE_1)
	v_cmp_ne_u32_e32 vcc_lo, 0x7f800000, v79
                                        ; implicit-def: $vgpr79
	s_and_saveexec_b32 s4, vcc_lo
	s_xor_b32 s4, exec_lo, s4
; %bb.51:
	v_bfe_u32 v79, v80, 16, 1
	s_delay_alu instid0(VALU_DEP_1)
	v_add3_u32 v79, v80, v79, 0x7fff
                                        ; implicit-def: $vgpr80
; %bb.52:
	s_and_not1_saveexec_b32 s4, s4
; %bb.53:
	v_and_b32_e32 v79, 0xffff, v80
	v_or_b32_e32 v90, 0x10000, v80
	s_delay_alu instid0(VALU_DEP_2) | instskip(NEXT) | instid1(VALU_DEP_2)
	v_cmp_eq_u32_e32 vcc_lo, 0, v79
	v_cndmask_b32_e32 v79, v90, v80, vcc_lo
; %bb.54:
	s_or_b32 exec_lo, exec_lo, s4
	v_and_b32_e32 v80, 0x7f800000, v92
	s_delay_alu instid0(VALU_DEP_1) | instskip(SKIP_1) | instid1(SALU_CYCLE_1)
	v_cmp_ne_u32_e32 vcc_lo, 0x7f800000, v80
                                        ; implicit-def: $vgpr80
	s_and_saveexec_b32 s4, vcc_lo
	s_xor_b32 s4, exec_lo, s4
; %bb.55:
	v_bfe_u32 v80, v92, 16, 1
	s_delay_alu instid0(VALU_DEP_1)
	v_add3_u32 v80, v92, v80, 0x7fff
                                        ; implicit-def: $vgpr92
; %bb.56:
	s_and_not1_saveexec_b32 s4, s4
; %bb.57:
	v_and_b32_e32 v80, 0xffff, v92
	v_or_b32_e32 v90, 0x10000, v92
	s_delay_alu instid0(VALU_DEP_2) | instskip(NEXT) | instid1(VALU_DEP_2)
	v_cmp_eq_u32_e32 vcc_lo, 0, v80
	v_cndmask_b32_e32 v80, v90, v92, vcc_lo
; %bb.58:
	s_or_b32 exec_lo, exec_lo, s4
	v_and_b32_e32 v90, 0x7f800000, v91
	s_delay_alu instid0(VALU_DEP_1) | instskip(SKIP_1) | instid1(SALU_CYCLE_1)
	v_cmp_ne_u32_e32 vcc_lo, 0x7f800000, v90
                                        ; implicit-def: $vgpr90
	s_and_saveexec_b32 s4, vcc_lo
	s_xor_b32 s4, exec_lo, s4
; %bb.59:
	v_bfe_u32 v90, v91, 16, 1
	s_delay_alu instid0(VALU_DEP_1)
	v_add3_u32 v90, v91, v90, 0x7fff
                                        ; implicit-def: $vgpr91
; %bb.60:
	s_and_not1_saveexec_b32 s4, s4
; %bb.61:
	v_and_b32_e32 v90, 0xffff, v91
	v_or_b32_e32 v92, 0x10000, v91
	s_delay_alu instid0(VALU_DEP_2) | instskip(NEXT) | instid1(VALU_DEP_2)
	v_cmp_eq_u32_e32 vcc_lo, 0, v90
	v_cndmask_b32_e32 v90, v92, v91, vcc_lo
; %bb.62:
	s_or_b32 exec_lo, exec_lo, s4
	v_and_b32_e32 v91, 0x7f800000, v86
	s_delay_alu instid0(VALU_DEP_1) | instskip(SKIP_1) | instid1(SALU_CYCLE_1)
	v_cmp_ne_u32_e32 vcc_lo, 0x7f800000, v91
                                        ; implicit-def: $vgpr91
	s_and_saveexec_b32 s4, vcc_lo
	s_xor_b32 s4, exec_lo, s4
; %bb.63:
	v_bfe_u32 v91, v86, 16, 1
	s_delay_alu instid0(VALU_DEP_1)
	v_add3_u32 v91, v86, v91, 0x7fff
                                        ; implicit-def: $vgpr86
; %bb.64:
	s_and_not1_saveexec_b32 s4, s4
; %bb.65:
	v_and_b32_e32 v91, 0xffff, v86
	v_or_b32_e32 v92, 0x10000, v86
	s_delay_alu instid0(VALU_DEP_2) | instskip(NEXT) | instid1(VALU_DEP_2)
	v_cmp_eq_u32_e32 vcc_lo, 0, v91
	v_cndmask_b32_e32 v91, v92, v86, vcc_lo
; %bb.66:
	s_or_b32 exec_lo, exec_lo, s4
	v_and_b32_e32 v86, 0x7f800000, v87
	s_delay_alu instid0(VALU_DEP_1) | instskip(SKIP_1) | instid1(SALU_CYCLE_1)
	v_cmp_ne_u32_e32 vcc_lo, 0x7f800000, v86
                                        ; implicit-def: $vgpr86
	s_and_saveexec_b32 s4, vcc_lo
	s_xor_b32 s4, exec_lo, s4
; %bb.67:
	v_bfe_u32 v86, v87, 16, 1
	s_delay_alu instid0(VALU_DEP_1)
	v_add3_u32 v86, v87, v86, 0x7fff
                                        ; implicit-def: $vgpr87
; %bb.68:
	s_and_not1_saveexec_b32 s4, s4
; %bb.69:
	v_and_b32_e32 v86, 0xffff, v87
	v_or_b32_e32 v92, 0x10000, v87
	s_delay_alu instid0(VALU_DEP_2) | instskip(NEXT) | instid1(VALU_DEP_2)
	v_cmp_eq_u32_e32 vcc_lo, 0, v86
	v_cndmask_b32_e32 v86, v92, v87, vcc_lo
; %bb.70:
	s_or_b32 exec_lo, exec_lo, s4
	v_and_b32_e32 v87, 0x7f800000, v88
	s_delay_alu instid0(VALU_DEP_1) | instskip(SKIP_1) | instid1(SALU_CYCLE_1)
	v_cmp_ne_u32_e32 vcc_lo, 0x7f800000, v87
                                        ; implicit-def: $vgpr87
	s_and_saveexec_b32 s4, vcc_lo
	s_xor_b32 s4, exec_lo, s4
; %bb.71:
	v_bfe_u32 v87, v88, 16, 1
	s_delay_alu instid0(VALU_DEP_1)
	v_add3_u32 v87, v88, v87, 0x7fff
                                        ; implicit-def: $vgpr88
; %bb.72:
	s_and_not1_saveexec_b32 s4, s4
; %bb.73:
	v_and_b32_e32 v87, 0xffff, v88
	v_or_b32_e32 v92, 0x10000, v88
	s_delay_alu instid0(VALU_DEP_2) | instskip(NEXT) | instid1(VALU_DEP_2)
	v_cmp_eq_u32_e32 vcc_lo, 0, v87
	v_cndmask_b32_e32 v87, v92, v88, vcc_lo
; %bb.74:
	s_or_b32 exec_lo, exec_lo, s4
	v_and_b32_e32 v88, 0x7f800000, v89
	s_delay_alu instid0(VALU_DEP_1) | instskip(SKIP_1) | instid1(SALU_CYCLE_1)
	v_cmp_ne_u32_e32 vcc_lo, 0x7f800000, v88
                                        ; implicit-def: $vgpr88
	s_and_saveexec_b32 s4, vcc_lo
	s_xor_b32 s4, exec_lo, s4
; %bb.75:
	v_bfe_u32 v88, v89, 16, 1
	s_delay_alu instid0(VALU_DEP_1)
	v_add3_u32 v88, v89, v88, 0x7fff
                                        ; implicit-def: $vgpr89
; %bb.76:
	s_and_not1_saveexec_b32 s4, s4
; %bb.77:
	v_and_b32_e32 v88, 0xffff, v89
	v_or_b32_e32 v92, 0x10000, v89
	s_delay_alu instid0(VALU_DEP_2) | instskip(NEXT) | instid1(VALU_DEP_2)
	v_cmp_eq_u32_e32 vcc_lo, 0, v88
	v_cndmask_b32_e32 v88, v92, v89, vcc_lo
; %bb.78:
	s_or_b32 exec_lo, exec_lo, s4
	s_delay_alu instid0(VALU_DEP_1)
	v_perm_b32 v89, v88, v87, 0x7060302
	v_perm_b32 v88, v86, v91, 0x7060302
	;; [unrolled: 1-line block ×4, first 2 shown]
	v_lshl_or_b32 v90, v74, 11, v85
	ds_store_b128 v77, v[86:89] offset:1024
	s_waitcnt lgkmcnt(0)
	s_barrier
	buffer_gl0_inv
	ds_load_b128 v[91:94], v90
	ds_load_b128 v[95:98], v90 offset:16
	v_lshlrev_b32_e32 v87, 2, v83
	s_delay_alu instid0(VALU_DEP_1)
	v_or_b32_e32 v88, 1, v87
	v_cmp_eq_u32_e32 vcc_lo, 1, v87
	v_cmp_eq_u32_e64 s5, 2, v87
	v_cmp_eq_u32_e64 s8, 3, v87
	;; [unrolled: 1-line block ×6, first 2 shown]
	v_or_b32_e32 v86, 2, v87
	v_cmp_eq_u32_e64 s11, 5, v87
	v_cmp_eq_u32_e64 s12, 4, v88
	;; [unrolled: 1-line block ×4, first 2 shown]
	s_waitcnt lgkmcnt(1)
	v_lshrrev_b32_e32 v74, 16, v91
	s_waitcnt lgkmcnt(0)
	v_lshrrev_b32_e32 v103, 16, v95
	v_lshrrev_b32_e32 v80, 16, v94
	v_lshrrev_b32_e32 v78, 16, v92
	v_lshrrev_b32_e32 v107, 16, v96
	v_cndmask_b32_e32 v89, v91, v74, vcc_lo
	v_cndmask_b32_e32 v99, v95, v103, vcc_lo
	v_cndmask_b32_e64 v100, v91, v74, s4
	v_lshrrev_b32_e32 v79, 16, v93
	v_lshrrev_b32_e32 v108, 16, v97
	v_cndmask_b32_e64 v89, v89, v92, s5
	v_cndmask_b32_e64 v99, v99, v96, s5
	;; [unrolled: 1-line block ×4, first 2 shown]
	v_cmp_eq_u32_e64 s6, 1, v86
	v_cndmask_b32_e64 v89, v89, v78, s8
	v_cndmask_b32_e64 v99, v99, v107, s8
	;; [unrolled: 1-line block ×4, first 2 shown]
	v_lshrrev_b32_e32 v109, 16, v98
	v_cndmask_b32_e64 v89, v89, v93, s10
	v_cndmask_b32_e64 v99, v99, v97, s10
	;; [unrolled: 1-line block ×8, first 2 shown]
	v_cmp_eq_u32_e64 s16, 7, v87
	v_cmp_eq_u32_e64 s17, 6, v88
	v_cndmask_b32_e64 v89, v89, v94, s13
	v_cndmask_b32_e64 v99, v99, v98, s13
	v_cmp_eq_u32_e64 s18, 2, v86
	v_cndmask_b32_e64 v101, v101, v97, s12
	v_cndmask_b32_e64 v100, v100, v94, s17
	;; [unrolled: 1-line block ×6, first 2 shown]
	v_cmp_eq_u32_e64 s19, 7, v88
	v_cmp_eq_u32_e64 s20, 3, v86
	;; [unrolled: 1-line block ×4, first 2 shown]
	v_cndmask_b32_e64 v99, v99, v96, s18
	v_cndmask_b32_e64 v112, v100, v80, s19
	;; [unrolled: 1-line block ×4, first 2 shown]
	v_or_b32_e32 v89, 3, v87
	v_cndmask_b32_e64 v105, v99, v107, s20
	v_cmp_eq_u32_e64 s25, 6, v86
	v_cndmask_b32_e64 v113, v100, v98, s17
	v_cndmask_b32_e64 v104, v101, v93, s21
	ds_load_b128 v[99:102], v90 offset:1024
	v_cmp_eq_u32_e64 s22, 1, v89
	v_cmp_eq_u32_e64 s24, 2, v89
	;; [unrolled: 1-line block ×3, first 2 shown]
	v_cndmask_b32_e64 v114, v104, v79, s23
	v_cmp_eq_u32_e64 s27, 4, v89
	v_cndmask_b32_e64 v74, v91, v74, s22
	v_cndmask_b32_e64 v91, v105, v97, s21
	;; [unrolled: 1-line block ×3, first 2 shown]
	ds_load_b128 v[103:106], v90 offset:1040
	v_cmp_eq_u32_e64 s29, 5, v89
	v_cndmask_b32_e64 v74, v74, v92, s24
	v_cndmask_b32_e64 v91, v91, v108, s23
	;; [unrolled: 1-line block ×3, first 2 shown]
	v_cmp_eq_u32_e64 s30, 6, v89
	v_cndmask_b32_e64 v95, v113, v109, s19
	v_cndmask_b32_e64 v74, v74, v78, s26
	;; [unrolled: 1-line block ×5, first 2 shown]
	s_waitcnt lgkmcnt(1)
	v_lshrrev_b32_e32 v96, 16, v99
	v_cndmask_b32_e64 v74, v74, v93, s27
	v_lshrrev_b32_e32 v107, 16, v100
	v_cndmask_b32_e64 v92, v92, v97, s27
	v_cmp_eq_u32_e64 s28, 7, v86
	v_cndmask_b32_e32 v93, v99, v96, vcc_lo
	v_cndmask_b32_e64 v74, v74, v79, s29
	s_delay_alu instid0(VALU_DEP_4)
	v_cndmask_b32_e64 v79, v92, v108, s29
	s_waitcnt lgkmcnt(0)
	v_lshrrev_b32_e32 v97, 16, v103
	v_cndmask_b32_e64 v92, v93, v100, s5
	v_cndmask_b32_e64 v93, v99, v96, s4
	v_cndmask_b32_e64 v74, v74, v94, s30
	v_cndmask_b32_e64 v79, v79, v98, s30
	v_cndmask_b32_e32 v108, v103, v97, vcc_lo
	v_cndmask_b32_e64 v92, v92, v107, s8
	v_cndmask_b32_e64 v93, v93, v100, s7
	v_lshrrev_b32_e32 v98, 16, v104
	v_cmp_eq_u32_e32 vcc_lo, 7, v89
	v_cndmask_b32_e64 v94, v108, v104, s5
	v_cndmask_b32_e64 v92, v92, v101, s10
	v_lshrrev_b32_e32 v108, 16, v101
	v_cndmask_b32_e64 v93, v93, v107, s9
	v_cndmask_b32_e32 v74, v74, v80, vcc_lo
	v_cndmask_b32_e64 v94, v94, v98, s8
	v_cndmask_b32_e32 v79, v79, v109, vcc_lo
	v_cndmask_b32_e64 v92, v92, v108, s11
	v_cndmask_b32_e64 v78, v78, v80, s28
	;; [unrolled: 1-line block ×4, first 2 shown]
	v_perm_b32 v94, v79, v74, 0x5040100
	v_cndmask_b32_e64 v79, v92, v102, s13
	v_perm_b32 v92, v95, v112, 0x5040100
	v_cndmask_b32_e64 v95, v99, v96, s6
	v_cndmask_b32_e64 v96, v99, v96, s22
	;; [unrolled: 1-line block ×16, first 2 shown]
	v_lshrrev_b32_e32 v109, 16, v105
	v_cndmask_b32_e64 v95, v95, v101, s21
	v_cndmask_b32_e64 v96, v96, v101, s27
	;; [unrolled: 1-line block ×6, first 2 shown]
	v_lshrrev_b32_e32 v80, 16, v102
	v_cndmask_b32_e64 v113, v93, v109, s11
	v_cndmask_b32_e64 v95, v95, v108, s23
	;; [unrolled: 1-line block ×6, first 2 shown]
	v_perm_b32 v93, v91, v78, 0x5040100
	v_cndmask_b32_e64 v74, v74, v102, s17
	v_cndmask_b32_e64 v78, v79, v80, s16
	;; [unrolled: 1-line block ×3, first 2 shown]
	v_lshrrev_b32_e32 v91, 16, v106
	v_cndmask_b32_e64 v95, v95, v102, s25
	v_cndmask_b32_e64 v96, v96, v102, s30
	;; [unrolled: 1-line block ×7, first 2 shown]
	v_cndmask_b32_e32 v80, v96, v80, vcc_lo
	v_cndmask_b32_e32 v96, v98, v91, vcc_lo
	v_cndmask_b32_e64 v99, v99, v91, s28
	v_cndmask_b32_e64 v100, v97, v91, s19
	v_cndmask_b32_e64 v79, v79, v91, s16
	v_perm_b32 v91, v111, v110, 0x5040100
	v_perm_b32 v98, v96, v80, 0x5040100
	;; [unrolled: 1-line block ×5, first 2 shown]
	s_mul_i32 s9, s37, 7
	s_mov_b32 s4, exec_lo
	ds_store_b128 v77, v[91:94]
	ds_store_b128 v77, v[95:98] offset:1024
	v_cmpx_gt_u32_e32 7, v0
	s_cbranch_execz .LBB504_80
; %bb.79:
	s_mul_i32 s5, s9, s34
	s_load_b128 s[16:19], s[0:1], 0x58
	v_add3_u32 v77, s5, s31, v73
	s_delay_alu instid0(VALU_DEP_1) | instskip(NEXT) | instid1(VALU_DEP_1)
	v_mad_u64_u32 v[73:74], null, v77, s36, s[14:15]
	v_ashrrev_i32_e32 v74, 31, v73
	s_delay_alu instid0(VALU_DEP_1) | instskip(SKIP_1) | instid1(VALU_DEP_1)
	v_lshlrev_b64 v[73:74], 2, v[73:74]
	s_waitcnt lgkmcnt(0)
	v_add_co_u32 v77, vcc_lo, s18, v73
	s_delay_alu instid0(VALU_DEP_2)
	v_add_co_ci_u32_e32 v78, vcc_lo, s19, v74, vcc_lo
	v_add_co_u32 v73, vcc_lo, s16, v73
	v_add_co_ci_u32_e32 v74, vcc_lo, s17, v74, vcc_lo
	global_store_b32 v[77:78], v75, off
	global_store_b32 v[73:74], v76, off
.LBB504_80:
	s_or_b32 exec_lo, exec_lo, s4
	s_waitcnt lgkmcnt(0)
	s_waitcnt_vscnt null, 0x0
	s_barrier
	buffer_gl0_inv
	ds_load_b128 v[91:94], v85
	ds_load_b128 v[95:98], v85 offset:16
	ds_load_b128 v[103:106], v85 offset:1040
	;; [unrolled: 1-line block ×3, first 2 shown]
	v_mov_b32_e32 v73, 0
	ds_load_b128 v[111:114], v85 offset:2064
	ds_load_b128 v[107:110], v85 offset:2048
	;; [unrolled: 1-line block ×6, first 2 shown]
	v_mov_b32_e32 v74, v73
	v_mov_b32_e32 v75, v73
	;; [unrolled: 1-line block ×7, first 2 shown]
	s_waitcnt lgkmcnt(8)
	s_delay_alu instid0(VALU_DEP_1)
	v_wmma_f32_16x16x16_bf16 v[73:80], v[65:72], v[91:98], v[73:80]
	ds_load_b128 v[69:72], v85 offset:5136
	ds_load_b128 v[65:68], v85 offset:5120
	;; [unrolled: 1-line block ×4, first 2 shown]
	s_waitcnt lgkmcnt(10)
	v_wmma_f32_16x16x16_bf16 v[73:80], v[57:64], v[99:106], v[73:80]
	s_waitcnt lgkmcnt(8)
	s_delay_alu instid0(VALU_DEP_1)
	v_wmma_f32_16x16x16_bf16 v[73:80], v[57:64], v[107:114], v[73:80]
	ds_load_b128 v[61:64], v85 offset:7184
	ds_load_b128 v[57:60], v85 offset:7168
	;; [unrolled: 1-line block ×4, first 2 shown]
	s_waitcnt lgkmcnt(10)
	v_wmma_f32_16x16x16_bf16 v[73:80], v[49:56], v[115:122], v[73:80]
	s_waitcnt lgkmcnt(8)
	s_delay_alu instid0(VALU_DEP_1)
	v_wmma_f32_16x16x16_bf16 v[73:80], v[49:56], v[123:130], v[73:80]
	ds_load_b128 v[53:56], v85 offset:9232
	ds_load_b128 v[49:52], v85 offset:9216
	s_waitcnt lgkmcnt(8)
	v_wmma_f32_16x16x16_bf16 v[73:80], v[41:48], v[65:72], v[73:80]
	ds_load_b128 v[69:72], v85 offset:10256
	ds_load_b128 v[65:68], v85 offset:10240
	s_waitcnt lgkmcnt(8)
	;; [unrolled: 4-line block ×3, first 2 shown]
	v_wmma_f32_16x16x16_bf16 v[73:80], v[9:16], v[57:64], v[73:80]
	s_waitcnt lgkmcnt(6)
	s_delay_alu instid0(VALU_DEP_1)
	v_wmma_f32_16x16x16_bf16 v[73:80], v[9:16], v[99:106], v[73:80]
	ds_load_b128 v[13:16], v85 offset:12304
	ds_load_b128 v[9:12], v85 offset:12288
	s_waitcnt lgkmcnt(6)
	v_wmma_f32_16x16x16_bf16 v[73:80], v[1:8], v[49:56], v[73:80]
	ds_load_b128 v[53:56], v85 offset:13328
	ds_load_b128 v[49:52], v85 offset:13312
	s_waitcnt lgkmcnt(6)
	v_wmma_f32_16x16x16_bf16 v[73:80], v[1:8], v[65:72], v[73:80]
	ds_load_b128 v[5:8], v85 offset:14352
	ds_load_b128 v[1:4], v85 offset:14336
	s_waitcnt lgkmcnt(6)
	v_wmma_f32_16x16x16_bf16 v[73:80], v[33:40], v[41:48], v[73:80]
	ds_load_b128 v[45:48], v85 offset:15376
	ds_load_b128 v[41:44], v85 offset:15360
	s_waitcnt lgkmcnt(6)
	v_wmma_f32_16x16x16_bf16 v[73:80], v[33:40], v[9:16], v[73:80]
	s_waitcnt lgkmcnt(4)
	s_delay_alu instid0(VALU_DEP_1) | instskip(SKIP_1) | instid1(VALU_DEP_1)
	v_wmma_f32_16x16x16_bf16 v[73:80], v[25:32], v[49:56], v[73:80]
	s_waitcnt lgkmcnt(2)
	v_wmma_f32_16x16x16_bf16 v[73:80], v[25:32], v[1:8], v[73:80]
	s_waitcnt lgkmcnt(0)
	s_delay_alu instid0(VALU_DEP_1) | instskip(NEXT) | instid1(VALU_DEP_1)
	v_wmma_f32_16x16x16_bf16 v[73:80], v[17:24], v[41:48], v[73:80]
	v_and_b32_e32 v1, 0x7f800000, v73
	s_delay_alu instid0(VALU_DEP_1) | instskip(SKIP_1) | instid1(SALU_CYCLE_1)
	v_cmp_ne_u32_e32 vcc_lo, 0x7f800000, v1
                                        ; implicit-def: $vgpr1
	s_and_saveexec_b32 s4, vcc_lo
	s_xor_b32 s4, exec_lo, s4
; %bb.81:
	v_bfe_u32 v1, v73, 16, 1
	s_delay_alu instid0(VALU_DEP_1)
	v_add3_u32 v1, v73, v1, 0x7fff
; %bb.82:
	s_and_not1_saveexec_b32 s4, s4
; %bb.83:
	v_and_b32_e32 v1, 0xffff, v73
	v_or_b32_e32 v2, 0x10000, v73
	s_delay_alu instid0(VALU_DEP_2) | instskip(NEXT) | instid1(VALU_DEP_2)
	v_cmp_eq_u32_e32 vcc_lo, 0, v1
	v_cndmask_b32_e32 v1, v2, v73, vcc_lo
; %bb.84:
	s_or_b32 exec_lo, exec_lo, s4
	v_and_b32_e32 v2, 0x7f800000, v74
	s_delay_alu instid0(VALU_DEP_1) | instskip(SKIP_1) | instid1(SALU_CYCLE_1)
	v_cmp_ne_u32_e32 vcc_lo, 0x7f800000, v2
                                        ; implicit-def: $vgpr2
	s_and_saveexec_b32 s4, vcc_lo
	s_xor_b32 s4, exec_lo, s4
; %bb.85:
	v_bfe_u32 v2, v74, 16, 1
	s_delay_alu instid0(VALU_DEP_1)
	v_add3_u32 v2, v74, v2, 0x7fff
; %bb.86:
	s_and_not1_saveexec_b32 s4, s4
; %bb.87:
	v_and_b32_e32 v2, 0xffff, v74
	v_or_b32_e32 v3, 0x10000, v74
	s_delay_alu instid0(VALU_DEP_2) | instskip(NEXT) | instid1(VALU_DEP_2)
	v_cmp_eq_u32_e32 vcc_lo, 0, v2
	v_cndmask_b32_e32 v2, v3, v74, vcc_lo
; %bb.88:
	s_or_b32 exec_lo, exec_lo, s4
	v_and_b32_e32 v3, 0x7f800000, v75
	s_delay_alu instid0(VALU_DEP_1) | instskip(SKIP_1) | instid1(SALU_CYCLE_1)
	v_cmp_ne_u32_e32 vcc_lo, 0x7f800000, v3
                                        ; implicit-def: $vgpr3
	s_and_saveexec_b32 s4, vcc_lo
	s_xor_b32 s4, exec_lo, s4
; %bb.89:
	v_bfe_u32 v3, v75, 16, 1
	s_delay_alu instid0(VALU_DEP_1)
	v_add3_u32 v3, v75, v3, 0x7fff
; %bb.90:
	s_and_not1_saveexec_b32 s4, s4
; %bb.91:
	v_and_b32_e32 v3, 0xffff, v75
	v_or_b32_e32 v4, 0x10000, v75
	s_delay_alu instid0(VALU_DEP_2) | instskip(NEXT) | instid1(VALU_DEP_2)
	v_cmp_eq_u32_e32 vcc_lo, 0, v3
	v_cndmask_b32_e32 v3, v4, v75, vcc_lo
; %bb.92:
	s_or_b32 exec_lo, exec_lo, s4
	v_and_b32_e32 v4, 0x7f800000, v76
	s_delay_alu instid0(VALU_DEP_1) | instskip(SKIP_1) | instid1(SALU_CYCLE_1)
	v_cmp_ne_u32_e32 vcc_lo, 0x7f800000, v4
                                        ; implicit-def: $vgpr4
	s_and_saveexec_b32 s4, vcc_lo
	s_xor_b32 s4, exec_lo, s4
; %bb.93:
	v_bfe_u32 v4, v76, 16, 1
	s_delay_alu instid0(VALU_DEP_1)
	v_add3_u32 v4, v76, v4, 0x7fff
; %bb.94:
	s_and_not1_saveexec_b32 s4, s4
; %bb.95:
	v_and_b32_e32 v4, 0xffff, v76
	v_or_b32_e32 v5, 0x10000, v76
	s_delay_alu instid0(VALU_DEP_2) | instskip(NEXT) | instid1(VALU_DEP_2)
	v_cmp_eq_u32_e32 vcc_lo, 0, v4
	v_cndmask_b32_e32 v4, v5, v76, vcc_lo
; %bb.96:
	s_or_b32 exec_lo, exec_lo, s4
	v_and_b32_e32 v5, 0x7f800000, v77
	s_delay_alu instid0(VALU_DEP_1) | instskip(SKIP_1) | instid1(SALU_CYCLE_1)
	v_cmp_ne_u32_e32 vcc_lo, 0x7f800000, v5
                                        ; implicit-def: $vgpr5
	s_and_saveexec_b32 s4, vcc_lo
	s_xor_b32 s4, exec_lo, s4
; %bb.97:
	v_bfe_u32 v5, v77, 16, 1
	s_delay_alu instid0(VALU_DEP_1)
	v_add3_u32 v5, v77, v5, 0x7fff
; %bb.98:
	s_and_not1_saveexec_b32 s4, s4
; %bb.99:
	v_and_b32_e32 v5, 0xffff, v77
	v_or_b32_e32 v6, 0x10000, v77
	s_delay_alu instid0(VALU_DEP_2) | instskip(NEXT) | instid1(VALU_DEP_2)
	v_cmp_eq_u32_e32 vcc_lo, 0, v5
	v_cndmask_b32_e32 v5, v6, v77, vcc_lo
; %bb.100:
	s_or_b32 exec_lo, exec_lo, s4
	v_and_b32_e32 v6, 0x7f800000, v78
	s_delay_alu instid0(VALU_DEP_1) | instskip(SKIP_1) | instid1(SALU_CYCLE_1)
	v_cmp_ne_u32_e32 vcc_lo, 0x7f800000, v6
                                        ; implicit-def: $vgpr6
	s_and_saveexec_b32 s4, vcc_lo
	s_xor_b32 s4, exec_lo, s4
; %bb.101:
	v_bfe_u32 v6, v78, 16, 1
	s_delay_alu instid0(VALU_DEP_1)
	v_add3_u32 v6, v78, v6, 0x7fff
; %bb.102:
	s_and_not1_saveexec_b32 s4, s4
; %bb.103:
	v_and_b32_e32 v6, 0xffff, v78
	v_or_b32_e32 v7, 0x10000, v78
	s_delay_alu instid0(VALU_DEP_2) | instskip(NEXT) | instid1(VALU_DEP_2)
	v_cmp_eq_u32_e32 vcc_lo, 0, v6
	v_cndmask_b32_e32 v6, v7, v78, vcc_lo
; %bb.104:
	s_or_b32 exec_lo, exec_lo, s4
	v_and_b32_e32 v7, 0x7f800000, v79
	s_delay_alu instid0(VALU_DEP_1) | instskip(SKIP_1) | instid1(SALU_CYCLE_1)
	v_cmp_ne_u32_e32 vcc_lo, 0x7f800000, v7
                                        ; implicit-def: $vgpr7
	s_and_saveexec_b32 s4, vcc_lo
	s_xor_b32 s4, exec_lo, s4
; %bb.105:
	v_bfe_u32 v7, v79, 16, 1
	s_delay_alu instid0(VALU_DEP_1)
	v_add3_u32 v7, v79, v7, 0x7fff
; %bb.106:
	s_and_not1_saveexec_b32 s4, s4
; %bb.107:
	v_and_b32_e32 v7, 0xffff, v79
	v_or_b32_e32 v8, 0x10000, v79
	s_delay_alu instid0(VALU_DEP_2) | instskip(NEXT) | instid1(VALU_DEP_2)
	v_cmp_eq_u32_e32 vcc_lo, 0, v7
	v_cndmask_b32_e32 v7, v8, v79, vcc_lo
; %bb.108:
	s_or_b32 exec_lo, exec_lo, s4
	v_and_b32_e32 v8, 0x7f800000, v80
	s_delay_alu instid0(VALU_DEP_1) | instskip(SKIP_1) | instid1(SALU_CYCLE_1)
	v_cmp_ne_u32_e32 vcc_lo, 0x7f800000, v8
                                        ; implicit-def: $vgpr8
	s_and_saveexec_b32 s4, vcc_lo
	s_xor_b32 s4, exec_lo, s4
; %bb.109:
	v_bfe_u32 v8, v80, 16, 1
	s_delay_alu instid0(VALU_DEP_1)
	v_add3_u32 v8, v80, v8, 0x7fff
                                        ; implicit-def: $vgpr73_vgpr74_vgpr75_vgpr76_vgpr77_vgpr78_vgpr79_vgpr80
; %bb.110:
	s_and_not1_saveexec_b32 s4, s4
; %bb.111:
	v_and_b32_e32 v8, 0xffff, v80
	v_or_b32_e32 v9, 0x10000, v80
	s_delay_alu instid0(VALU_DEP_2) | instskip(NEXT) | instid1(VALU_DEP_2)
	v_cmp_eq_u32_e32 vcc_lo, 0, v8
	v_cndmask_b32_e32 v8, v9, v80, vcc_lo
; %bb.112:
	s_or_b32 exec_lo, exec_lo, s4
	s_delay_alu instid0(VALU_DEP_1)
	v_perm_b32 v7, v8, v7, 0x7060302
	v_perm_b32 v6, v6, v5, 0x7060302
	;; [unrolled: 1-line block ×4, first 2 shown]
	v_lshl_or_b32 v9, v83, 4, v90
	s_barrier
	buffer_gl0_inv
	v_cmp_eq_u32_e32 vcc_lo, 1, v87
	ds_store_b128 v9, v[4:7]
	s_waitcnt lgkmcnt(0)
	s_barrier
	buffer_gl0_inv
	ds_load_b128 v[1:4], v90
	ds_load_b128 v[5:8], v90 offset:16
	v_cmp_eq_u32_e64 s5, 2, v87
	v_cmp_eq_u32_e64 s4, 1, v88
	;; [unrolled: 1-line block ×5, first 2 shown]
	s_waitcnt lgkmcnt(1)
	v_lshrrev_b32_e32 v10, 16, v1
	s_waitcnt lgkmcnt(0)
	v_lshrrev_b32_e32 v14, 16, v5
	v_lshrrev_b32_e32 v15, 16, v6
	;; [unrolled: 1-line block ×4, first 2 shown]
	v_cndmask_b32_e64 v20, v1, v10, s4
	v_cndmask_b32_e32 v19, v5, v14, vcc_lo
	v_cndmask_b32_e64 v21, v5, v14, s4
	v_lshrrev_b32_e32 v16, 16, v7
	v_cmp_eq_u32_e64 s4, 1, v86
	v_lshrrev_b32_e32 v13, 16, v4
	v_cndmask_b32_e64 v19, v19, v6, s5
	v_lshrrev_b32_e32 v17, 16, v8
	s_delay_alu instid0(VALU_DEP_4) | instskip(SKIP_1) | instid1(VALU_DEP_4)
	v_cndmask_b32_e64 v22, v1, v10, s4
	v_cndmask_b32_e64 v23, v5, v14, s4
	;; [unrolled: 1-line block ×3, first 2 shown]
	v_cndmask_b32_e32 v18, v1, v10, vcc_lo
	v_cmp_eq_u32_e32 vcc_lo, 2, v88
	v_cmp_eq_u32_e64 s4, 2, v89
	v_cndmask_b32_e64 v22, v22, v2, s8
	v_cndmask_b32_e32 v20, v20, v2, vcc_lo
	v_cndmask_b32_e32 v21, v21, v6, vcc_lo
	v_cmp_eq_u32_e32 vcc_lo, 4, v87
	v_cndmask_b32_e32 v19, v19, v7, vcc_lo
	v_cndmask_b32_e64 v18, v18, v2, s5
	v_cmp_eq_u32_e64 s5, 3, v88
	s_delay_alu instid0(VALU_DEP_2) | instskip(NEXT) | instid1(VALU_DEP_2)
	v_cndmask_b32_e64 v18, v18, v11, s6
	v_cndmask_b32_e64 v21, v21, v15, s5
	v_cmp_eq_u32_e64 s6, 5, v87
	s_delay_alu instid0(VALU_DEP_3) | instskip(SKIP_1) | instid1(VALU_DEP_3)
	v_cndmask_b32_e32 v18, v18, v3, vcc_lo
	v_cmp_eq_u32_e32 vcc_lo, 4, v88
	v_cndmask_b32_e64 v19, v19, v16, s6
	s_delay_alu instid0(VALU_DEP_3) | instskip(SKIP_4) | instid1(VALU_DEP_3)
	v_cndmask_b32_e64 v18, v18, v12, s6
	v_cndmask_b32_e32 v21, v21, v7, vcc_lo
	v_cndmask_b32_e64 v20, v20, v11, s5
	v_cmp_eq_u32_e64 s5, 5, v88
	v_cmp_eq_u32_e64 s6, 6, v87
	v_cndmask_b32_e32 v20, v20, v3, vcc_lo
	s_delay_alu instid0(VALU_DEP_3) | instskip(SKIP_1) | instid1(VALU_DEP_4)
	v_cndmask_b32_e64 v21, v21, v16, s5
	v_cmp_eq_u32_e32 vcc_lo, 6, v88
	v_cndmask_b32_e64 v18, v18, v4, s6
	v_cndmask_b32_e64 v19, v19, v8, s6
	;; [unrolled: 1-line block ×3, first 2 shown]
	v_cmp_eq_u32_e64 s5, 1, v89
	v_cmp_eq_u32_e64 s6, 7, v87
	s_delay_alu instid0(VALU_DEP_3) | instskip(NEXT) | instid1(VALU_DEP_3)
	v_cndmask_b32_e32 v20, v20, v4, vcc_lo
	v_cndmask_b32_e64 v1, v1, v10, s5
	v_cndmask_b32_e64 v5, v5, v14, s5
	v_cmp_eq_u32_e64 s5, 3, v86
	v_cndmask_b32_e64 v14, v23, v6, s8
	v_cmp_eq_u32_e64 s8, 3, v89
	v_cndmask_b32_e64 v1, v1, v2, s4
	v_cndmask_b32_e64 v2, v5, v6, s4
	;; [unrolled: 1-line block ×3, first 2 shown]
	v_cmp_eq_u32_e64 s4, 4, v86
	v_cndmask_b32_e64 v6, v14, v15, s5
	v_cndmask_b32_e64 v1, v1, v11, s8
	v_cmp_eq_u32_e64 s5, 4, v89
	v_cndmask_b32_e64 v2, v2, v15, s8
	v_cndmask_b32_e64 v5, v10, v3, s4
	;; [unrolled: 3-line block ×3, first 2 shown]
	v_cndmask_b32_e64 v2, v2, v7, s5
	v_cmp_eq_u32_e64 s4, 5, v89
	v_cndmask_b32_e64 v5, v5, v12, s8
	v_cmp_eq_u32_e64 s5, 6, v86
	v_cndmask_b32_e64 v3, v6, v16, s8
	v_cmp_eq_u32_e64 s8, 6, v89
	v_cndmask_b32_e64 v1, v1, v12, s4
	v_cndmask_b32_e64 v2, v2, v16, s4
	;; [unrolled: 1-line block ×4, first 2 shown]
	v_cmp_eq_u32_e64 s4, 7, v89
	v_cndmask_b32_e64 v1, v1, v4, s8
	v_cndmask_b32_e64 v2, v2, v8, s8
	v_cmp_eq_u32_e64 s5, 7, v86
	v_cndmask_b32_e32 v4, v21, v8, vcc_lo
	v_cndmask_b32_e64 v18, v18, v13, s6
	v_cndmask_b32_e64 v20, v20, v13, s7
	;; [unrolled: 1-line block ×8, first 2 shown]
	v_cmp_gt_u32_e32 vcc_lo, 32, v0
	v_perm_b32 v4, v2, v1, 0x5040100
	v_perm_b32 v3, v3, v5, 0x5040100
	;; [unrolled: 1-line block ×4, first 2 shown]
	s_and_b32 s2, vcc_lo, s2
	ds_store_b128 v9, v[1:4]
	s_waitcnt lgkmcnt(0)
	s_barrier
	buffer_gl0_inv
	s_and_saveexec_b32 s4, s2
	s_cbranch_execz .LBB504_2
; %bb.113:
	s_load_b64 s[4:5], s[0:1], 0x68
	v_lshlrev_b32_e32 v0, 10, v0
	v_add_nc_u32_e32 v2, s31, v83
	v_lshlrev_b32_e32 v3, 4, v84
	s_lshl_b32 s0, s36, 6
	s_delay_alu instid0(SALU_CYCLE_1) | instskip(NEXT) | instid1(VALU_DEP_2)
	s_mul_i32 s1, s0, s34
	v_mul_lo_u32 v1, v2, s0
	s_delay_alu instid0(VALU_DEP_2)
	v_and_or_b32 v0, 0x3800, v0, v3
	v_add_nc_u32_e32 v3, 2, v2
	s_mul_i32 s6, s1, s9
	v_add_nc_u32_e32 v4, 4, v2
	s_ashr_i32 s7, s6, 31
	v_lshl_or_b32 v11, v83, 6, v0
	s_lshl_b64 s[6:7], s[6:7], 1
	v_mul_lo_u32 v15, v3, s0
	v_mul_lo_u32 v17, v4, s0
	v_ashrrev_i32_e32 v2, 31, v1
	ds_load_b128 v[3:6], v11
	ds_load_b128 v[7:10], v11 offset:128
	ds_load_b128 v[11:14], v11 offset:256
	s_waitcnt lgkmcnt(0)
	s_add_u32 s1, s4, s6
	s_addc_u32 s2, s5, s7
	s_lshl_b32 s4, s14, 6
	v_ashrrev_i32_e32 v16, 31, v15
	s_ashr_i32 s5, s4, 31
	v_lshlrev_b64 v[19:20], 1, v[1:2]
	s_lshl_b64 s[4:5], s[4:5], 1
	v_ashrrev_i32_e32 v18, 31, v17
	s_add_u32 s1, s1, s4
	s_addc_u32 s2, s2, s5
	v_add_co_u32 v1, vcc_lo, s1, v81
	v_add_co_ci_u32_e32 v2, vcc_lo, s2, v82, vcc_lo
	v_lshlrev_b64 v[15:16], 1, v[15:16]
	s_delay_alu instid0(VALU_DEP_3) | instskip(SKIP_1) | instid1(VALU_DEP_4)
	v_add_co_u32 v19, vcc_lo, v1, v19
	v_lshlrev_b64 v[17:18], 1, v[17:18]
	v_add_co_ci_u32_e32 v20, vcc_lo, v2, v20, vcc_lo
	s_delay_alu instid0(VALU_DEP_4) | instskip(SKIP_1) | instid1(VALU_DEP_4)
	v_add_co_u32 v15, vcc_lo, v1, v15
	v_add_co_ci_u32_e32 v16, vcc_lo, v2, v16, vcc_lo
	v_add_co_u32 v17, vcc_lo, v1, v17
	v_add_co_ci_u32_e32 v18, vcc_lo, v2, v18, vcc_lo
	s_clause 0x2
	global_store_b128 v[19:20], v[3:6], off
	global_store_b128 v[15:16], v[7:10], off
	;; [unrolled: 1-line block ×3, first 2 shown]
	s_and_b32 exec_lo, exec_lo, s3
	s_cbranch_execz .LBB504_2
; %bb.114:
	ds_load_b128 v[3:6], v0 offset:384
	s_add_i32 s1, s31, 6
	s_delay_alu instid0(SALU_CYCLE_1) | instskip(NEXT) | instid1(SALU_CYCLE_1)
	s_mul_i32 s0, s1, s0
	s_ashr_i32 s1, s0, 31
	s_delay_alu instid0(SALU_CYCLE_1) | instskip(NEXT) | instid1(SALU_CYCLE_1)
	s_lshl_b64 s[0:1], s[0:1], 1
	v_add_co_u32 v0, vcc_lo, v1, s0
	v_add_co_ci_u32_e32 v1, vcc_lo, s1, v2, vcc_lo
	s_waitcnt lgkmcnt(0)
	global_store_b128 v[0:1], v[3:6], off
	s_nop 0
	s_sendmsg sendmsg(MSG_DEALLOC_VGPRS)
	s_endpgm
	.section	.rodata,"a",@progbits
	.p2align	6, 0x0
	.amdhsa_kernel _Z39paged_attention_ll4mi_QKV_mfma16_kernelI14__hip_bfloat16S0_LN4vllm18Fp8KVCacheDataTypeE0EhLi32ELi64ELi256ELb1ELi7EL8MFMAType0EEvPKT_PKT0_S9_ifPKiSB_SB_iPKfiiiPfSE_PS4_PT2_iSD_SD_
		.amdhsa_group_segment_fixed_size 17472
		.amdhsa_private_segment_fixed_size 0
		.amdhsa_kernarg_size 400
		.amdhsa_user_sgpr_count 13
		.amdhsa_user_sgpr_dispatch_ptr 0
		.amdhsa_user_sgpr_queue_ptr 0
		.amdhsa_user_sgpr_kernarg_segment_ptr 1
		.amdhsa_user_sgpr_dispatch_id 0
		.amdhsa_user_sgpr_private_segment_size 0
		.amdhsa_wavefront_size32 1
		.amdhsa_uses_dynamic_stack 0
		.amdhsa_enable_private_segment 0
		.amdhsa_system_sgpr_workgroup_id_x 1
		.amdhsa_system_sgpr_workgroup_id_y 1
		.amdhsa_system_sgpr_workgroup_id_z 1
		.amdhsa_system_sgpr_workgroup_info 0
		.amdhsa_system_vgpr_workitem_id 0
		.amdhsa_next_free_vgpr 142
		.amdhsa_next_free_sgpr 39
		.amdhsa_reserve_vcc 1
		.amdhsa_float_round_mode_32 0
		.amdhsa_float_round_mode_16_64 0
		.amdhsa_float_denorm_mode_32 3
		.amdhsa_float_denorm_mode_16_64 3
		.amdhsa_dx10_clamp 1
		.amdhsa_ieee_mode 1
		.amdhsa_fp16_overflow 0
		.amdhsa_workgroup_processor_mode 1
		.amdhsa_memory_ordered 1
		.amdhsa_forward_progress 0
		.amdhsa_shared_vgpr_count 0
		.amdhsa_exception_fp_ieee_invalid_op 0
		.amdhsa_exception_fp_denorm_src 0
		.amdhsa_exception_fp_ieee_div_zero 0
		.amdhsa_exception_fp_ieee_overflow 0
		.amdhsa_exception_fp_ieee_underflow 0
		.amdhsa_exception_fp_ieee_inexact 0
		.amdhsa_exception_int_div_zero 0
	.end_amdhsa_kernel
	.section	.text._Z39paged_attention_ll4mi_QKV_mfma16_kernelI14__hip_bfloat16S0_LN4vllm18Fp8KVCacheDataTypeE0EhLi32ELi64ELi256ELb1ELi7EL8MFMAType0EEvPKT_PKT0_S9_ifPKiSB_SB_iPKfiiiPfSE_PS4_PT2_iSD_SD_,"axG",@progbits,_Z39paged_attention_ll4mi_QKV_mfma16_kernelI14__hip_bfloat16S0_LN4vllm18Fp8KVCacheDataTypeE0EhLi32ELi64ELi256ELb1ELi7EL8MFMAType0EEvPKT_PKT0_S9_ifPKiSB_SB_iPKfiiiPfSE_PS4_PT2_iSD_SD_,comdat
.Lfunc_end504:
	.size	_Z39paged_attention_ll4mi_QKV_mfma16_kernelI14__hip_bfloat16S0_LN4vllm18Fp8KVCacheDataTypeE0EhLi32ELi64ELi256ELb1ELi7EL8MFMAType0EEvPKT_PKT0_S9_ifPKiSB_SB_iPKfiiiPfSE_PS4_PT2_iSD_SD_, .Lfunc_end504-_Z39paged_attention_ll4mi_QKV_mfma16_kernelI14__hip_bfloat16S0_LN4vllm18Fp8KVCacheDataTypeE0EhLi32ELi64ELi256ELb1ELi7EL8MFMAType0EEvPKT_PKT0_S9_ifPKiSB_SB_iPKfiiiPfSE_PS4_PT2_iSD_SD_
                                        ; -- End function
	.section	.AMDGPU.csdata,"",@progbits
; Kernel info:
; codeLenInByte = 9452
; NumSgprs: 41
; NumVgprs: 142
; ScratchSize: 0
; MemoryBound: 0
; FloatMode: 240
; IeeeMode: 1
; LDSByteSize: 17472 bytes/workgroup (compile time only)
; SGPRBlocks: 5
; VGPRBlocks: 17
; NumSGPRsForWavesPerEU: 41
; NumVGPRsForWavesPerEU: 142
; Occupancy: 10
; WaveLimiterHint : 1
; COMPUTE_PGM_RSRC2:SCRATCH_EN: 0
; COMPUTE_PGM_RSRC2:USER_SGPR: 13
; COMPUTE_PGM_RSRC2:TRAP_HANDLER: 0
; COMPUTE_PGM_RSRC2:TGID_X_EN: 1
; COMPUTE_PGM_RSRC2:TGID_Y_EN: 1
; COMPUTE_PGM_RSRC2:TGID_Z_EN: 1
; COMPUTE_PGM_RSRC2:TIDIG_COMP_CNT: 0
	.section	.text._Z39paged_attention_ll4mi_QKV_mfma16_kernelI14__hip_bfloat16S0_LN4vllm18Fp8KVCacheDataTypeE0EhLi32ELi64ELi256ELb1ELi8EL8MFMAType0EEvPKT_PKT0_S9_ifPKiSB_SB_iPKfiiiPfSE_PS4_PT2_iSD_SD_,"axG",@progbits,_Z39paged_attention_ll4mi_QKV_mfma16_kernelI14__hip_bfloat16S0_LN4vllm18Fp8KVCacheDataTypeE0EhLi32ELi64ELi256ELb1ELi8EL8MFMAType0EEvPKT_PKT0_S9_ifPKiSB_SB_iPKfiiiPfSE_PS4_PT2_iSD_SD_,comdat
	.protected	_Z39paged_attention_ll4mi_QKV_mfma16_kernelI14__hip_bfloat16S0_LN4vllm18Fp8KVCacheDataTypeE0EhLi32ELi64ELi256ELb1ELi8EL8MFMAType0EEvPKT_PKT0_S9_ifPKiSB_SB_iPKfiiiPfSE_PS4_PT2_iSD_SD_ ; -- Begin function _Z39paged_attention_ll4mi_QKV_mfma16_kernelI14__hip_bfloat16S0_LN4vllm18Fp8KVCacheDataTypeE0EhLi32ELi64ELi256ELb1ELi8EL8MFMAType0EEvPKT_PKT0_S9_ifPKiSB_SB_iPKfiiiPfSE_PS4_PT2_iSD_SD_
	.globl	_Z39paged_attention_ll4mi_QKV_mfma16_kernelI14__hip_bfloat16S0_LN4vllm18Fp8KVCacheDataTypeE0EhLi32ELi64ELi256ELb1ELi8EL8MFMAType0EEvPKT_PKT0_S9_ifPKiSB_SB_iPKfiiiPfSE_PS4_PT2_iSD_SD_
	.p2align	8
	.type	_Z39paged_attention_ll4mi_QKV_mfma16_kernelI14__hip_bfloat16S0_LN4vllm18Fp8KVCacheDataTypeE0EhLi32ELi64ELi256ELb1ELi8EL8MFMAType0EEvPKT_PKT0_S9_ifPKiSB_SB_iPKfiiiPfSE_PS4_PT2_iSD_SD_,@function
_Z39paged_attention_ll4mi_QKV_mfma16_kernelI14__hip_bfloat16S0_LN4vllm18Fp8KVCacheDataTypeE0EhLi32ELi64ELi256ELb1ELi8EL8MFMAType0EEvPKT_PKT0_S9_ifPKiSB_SB_iPKfiiiPfSE_PS4_PT2_iSD_SD_: ; @_Z39paged_attention_ll4mi_QKV_mfma16_kernelI14__hip_bfloat16S0_LN4vllm18Fp8KVCacheDataTypeE0EhLi32ELi64ELi256ELb1ELi8EL8MFMAType0EEvPKT_PKT0_S9_ifPKiSB_SB_iPKfiiiPfSE_PS4_PT2_iSD_SD_
; %bb.0:
	s_load_b64 s[2:3], s[0:1], 0x30
	s_mov_b32 s30, s13
	s_waitcnt lgkmcnt(0)
	s_cmp_lg_u64 s[2:3], 0
	s_cselect_b32 s6, -1, 0
	s_ashr_i32 s31, s13, 31
	s_cmp_eq_u64 s[2:3], 0
	s_cbranch_scc1 .LBB505_3
; %bb.1:
	s_lshl_b64 s[4:5], s[30:31], 2
	s_delay_alu instid0(SALU_CYCLE_1) | instskip(SKIP_4) | instid1(SALU_CYCLE_1)
	s_add_u32 s4, s2, s4
	s_addc_u32 s5, s3, s5
	s_load_b64 s[4:5], s[4:5], 0x0
	s_waitcnt lgkmcnt(0)
	s_sub_i32 s4, s5, s4
	s_cmp_eq_u32 s4, 1
	s_cselect_b32 s4, -1, 0
	s_delay_alu instid0(SALU_CYCLE_1)
	s_and_not1_b32 vcc_lo, exec_lo, s4
	s_cbranch_vccz .LBB505_4
.LBB505_2:
	s_endpgm
.LBB505_3:
.LBB505_4:
	s_load_b64 s[8:9], s[0:1], 0x28
	s_lshl_b64 s[4:5], s[30:31], 2
	s_waitcnt lgkmcnt(0)
	s_add_u32 s8, s8, s4
	s_addc_u32 s9, s9, s5
	s_lshl_b32 s16, s14, 8
	s_load_b32 s18, s[8:9], 0x0
	s_waitcnt lgkmcnt(0)
	s_cmp_ge_i32 s16, s18
	s_cbranch_scc1 .LBB505_2
; %bb.5:
	s_and_not1_b32 vcc_lo, exec_lo, s6
	s_cbranch_vccnz .LBB505_7
; %bb.6:
	s_add_u32 s2, s2, s4
	s_addc_u32 s3, s3, s5
	s_load_b32 s17, s[2:3], 0x0
	s_branch .LBB505_8
.LBB505_7:
	s_mov_b32 s17, s30
.LBB505_8:
	s_clause 0x2
	s_load_b128 s[8:11], s[0:1], 0x8
	s_load_b64 s[12:13], s[0:1], 0x20
	s_load_b128 s[4:7], s[0:1], 0x48
	v_and_b32_e32 v74, 15, v0
	v_cmp_lt_u32_e32 vcc_lo, 0x7f, v0
	s_delay_alu instid0(VALU_DEP_2) | instskip(SKIP_2) | instid1(VALU_DEP_3)
	v_cmp_lt_u32_e64 s3, 7, v74
	v_lshlrev_b32_e32 v1, 3, v74
	v_cmp_gt_u32_e64 s2, 8, v74
	s_or_b32 s3, vcc_lo, s3
	s_waitcnt lgkmcnt(0)
	s_and_saveexec_b32 s7, s3
	s_delay_alu instid0(SALU_CYCLE_1)
	s_xor_b32 s3, exec_lo, s7
; %bb.9:
	v_mov_b32_e32 v2, 0
; %bb.10:
	s_or_saveexec_b32 s3, s3
	v_lshrrev_b32_e32 v73, 5, v0
	v_and_b32_e32 v75, 31, v0
	v_and_b32_e32 v84, 1, v0
	v_bfe_u32 v83, v0, 4, 1
	s_lshl_b32 s31, s15, 3
	s_xor_b32 exec_lo, exec_lo, s3
	s_cbranch_execz .LBB505_12
; %bb.11:
	s_delay_alu instid0(VALU_DEP_1)
	v_lshl_or_b32 v7, v73, 1, v83
	s_load_b64 s[20:21], s[0:1], 0x0
	s_mul_hi_i32 s23, s17, s4
	s_mul_i32 s22, s17, s4
	v_lshlrev_b32_e32 v4, 1, v1
	v_or_b32_e32 v2, s31, v7
	s_lshl_b64 s[22:23], s[22:23], 1
	v_lshlrev_b32_e32 v7, 6, v7
	v_lshlrev_b32_e32 v8, 10, v84
	s_delay_alu instid0(VALU_DEP_3) | instskip(NEXT) | instid1(VALU_DEP_1)
	v_lshlrev_b32_e32 v2, 6, v2
	v_ashrrev_i32_e32 v3, 31, v2
	s_delay_alu instid0(VALU_DEP_1) | instskip(SKIP_3) | instid1(VALU_DEP_1)
	v_lshlrev_b64 v[2:3], 1, v[2:3]
	s_waitcnt lgkmcnt(0)
	s_add_u32 s4, s20, s22
	s_addc_u32 s7, s21, s23
	v_add_co_u32 v2, vcc_lo, s4, v2
	s_delay_alu instid0(VALU_DEP_2) | instskip(NEXT) | instid1(VALU_DEP_2)
	v_add_co_ci_u32_e32 v3, vcc_lo, s7, v3, vcc_lo
	v_add_co_u32 v2, vcc_lo, v2, v4
	s_delay_alu instid0(VALU_DEP_2) | instskip(SKIP_2) | instid1(VALU_DEP_1)
	v_add_co_ci_u32_e32 v3, vcc_lo, 0, v3, vcc_lo
	global_load_b128 v[3:6], v[2:3], off
	v_lshlrev_b32_e32 v2, 10, v74
	v_and_b32_e32 v2, 0x3800, v2
	s_delay_alu instid0(VALU_DEP_1)
	v_or3_b32 v7, v2, v8, v7
	v_mov_b32_e32 v2, 0
	s_waitcnt vmcnt(0)
	ds_store_b128 v7, v[3:6]
.LBB505_12:
	s_or_b32 exec_lo, exec_lo, s3
	v_and_b32_e32 v3, 0xef, v0
	s_add_i32 s3, s18, 31
	s_clause 0x1
	s_load_b32 s4, s[0:1], 0x38
	s_load_b32 s19, s[0:1], 0x1c
	s_ashr_i32 s7, s3, 31
	v_add_nc_u32_e32 v3, s16, v3
	s_lshr_b32 s7, s7, 27
	s_waitcnt lgkmcnt(0)
	s_add_i32 s3, s3, s7
	s_barrier
	v_ashrrev_i32_e32 v4, 31, v3
	v_cmp_gt_i32_e32 vcc_lo, s18, v3
	s_ashr_i32 s3, s3, 5
	buffer_gl0_inv
	s_add_i32 s3, s3, -1
	v_lshrrev_b32_e32 v5, 27, v4
	v_or_b32_e32 v4, 16, v3
	s_mul_i32 s6, s15, s6
	v_lshlrev_b64 v[81:82], 1, v[1:2]
	s_delay_alu instid0(VALU_DEP_3) | instskip(NEXT) | instid1(VALU_DEP_3)
	v_add_nc_u32_e32 v6, v3, v5
	v_add_nc_u32_e32 v5, v4, v5
	s_mul_i32 s20, s30, s4
	s_delay_alu instid0(SALU_CYCLE_1) | instskip(NEXT) | instid1(VALU_DEP_2)
	s_ashr_i32 s21, s20, 31
	v_ashrrev_i32_e32 v6, 5, v6
	s_delay_alu instid0(VALU_DEP_2) | instskip(SKIP_1) | instid1(SALU_CYCLE_1)
	v_ashrrev_i32_e32 v5, 5, v5
	s_lshl_b64 s[20:21], s[20:21], 2
	s_add_u32 s4, s12, s20
	s_delay_alu instid0(VALU_DEP_2) | instskip(SKIP_3) | instid1(SALU_CYCLE_1)
	v_cndmask_b32_e32 v3, s3, v6, vcc_lo
	v_cmp_gt_i32_e32 vcc_lo, s18, v4
	s_addc_u32 s17, s13, s21
	s_ashr_i32 s7, s6, 31
	s_lshl_b64 s[6:7], s[6:7], 1
	v_cndmask_b32_e32 v5, s3, v5, vcc_lo
	v_ashrrev_i32_e32 v4, 31, v3
	s_add_u32 s15, s8, s6
	s_addc_u32 s28, s9, s7
	s_lshl_b32 s8, s14, 3
	v_ashrrev_i32_e32 v6, 31, v5
	v_lshlrev_b64 v[3:4], 2, v[3:4]
	s_ashr_i32 s9, s8, 31
	s_delay_alu instid0(SALU_CYCLE_1) | instskip(NEXT) | instid1(VALU_DEP_2)
	s_lshl_b64 s[8:9], s[8:9], 2
	v_lshlrev_b64 v[5:6], 2, v[5:6]
	s_add_u32 s8, s4, s8
	s_delay_alu instid0(VALU_DEP_2) | instskip(SKIP_1) | instid1(VALU_DEP_3)
	v_add_co_u32 v3, vcc_lo, s4, v3
	v_add_co_ci_u32_e32 v4, vcc_lo, s17, v4, vcc_lo
	v_add_co_u32 v5, vcc_lo, s4, v5
	s_delay_alu instid0(VALU_DEP_4)
	v_add_co_ci_u32_e32 v6, vcc_lo, s17, v6, vcc_lo
	s_addc_u32 s9, s17, s9
	s_clause 0x1
	global_load_b32 v7, v[3:4], off
	global_load_b32 v8, v[5:6], off
	s_or_b32 s12, s16, 32
	s_delay_alu instid0(SALU_CYCLE_1) | instskip(SKIP_2) | instid1(SALU_CYCLE_1)
	s_ashr_i32 s13, s12, 5
	s_cmp_lt_i32 s12, s18
	s_cselect_b32 s12, s13, s3
	s_ashr_i32 s13, s12, 31
	s_delay_alu instid0(SALU_CYCLE_1) | instskip(NEXT) | instid1(SALU_CYCLE_1)
	s_lshl_b64 s[12:13], s[12:13], 2
	s_add_u32 s12, s4, s12
	s_addc_u32 s13, s17, s13
	s_or_b32 s20, s16, 64
	s_delay_alu instid0(SALU_CYCLE_1) | instskip(SKIP_2) | instid1(SALU_CYCLE_1)
	s_ashr_i32 s21, s20, 5
	s_cmp_lt_i32 s20, s18
	s_cselect_b32 s20, s21, s3
	s_ashr_i32 s21, s20, 31
	s_delay_alu instid0(SALU_CYCLE_1) | instskip(NEXT) | instid1(SALU_CYCLE_1)
	s_lshl_b64 s[20:21], s[20:21], 2
	s_add_u32 s20, s4, s20
	s_addc_u32 s21, s17, s21
	;; [unrolled: 10-line block ×5, first 2 shown]
	s_clause 0x5
	s_load_b32 s29, s[8:9], 0x0
	s_load_b32 s33, s[12:13], 0x0
	;; [unrolled: 1-line block ×6, first 2 shown]
	s_mov_b32 s20, 0
	s_or_b32 s8, s16, 0xc0
	s_mov_b32 s21, s20
	s_mov_b32 s22, s20
	;; [unrolled: 1-line block ×7, first 2 shown]
	s_ashr_i32 s9, s8, 5
	v_mov_b32_e32 v117, s27
	s_cmp_lt_i32 s8, s18
	v_mov_b32_e32 v116, s26
	s_cselect_b32 s8, s9, s3
	v_mov_b32_e32 v115, s25
	s_ashr_i32 s9, s8, 31
	v_dual_mov_b32 v114, s24 :: v_dual_mov_b32 v113, s23
	v_dual_mov_b32 v112, s22 :: v_dual_mov_b32 v111, s21
	s_lshl_b64 s[8:9], s[8:9], 2
	s_waitcnt lgkmcnt(0)
	s_mul_hi_i32 s13, s29, s5
	s_add_u32 s8, s4, s8
	s_addc_u32 s9, s17, s9
	s_mul_i32 s12, s29, s5
	v_mov_b32_e32 v110, s20
	s_mul_hi_i32 s21, s33, s5
	s_mul_i32 s20, s33, s5
	s_mul_hi_i32 s25, s34, s5
	s_mul_i32 s24, s34, s5
	;; [unrolled: 2-line block ×4, first 2 shown]
	s_waitcnt vmcnt(1)
	v_mad_i64_i32 v[3:4], null, v7, s5, 0
	s_waitcnt vmcnt(0)
	v_mad_i64_i32 v[5:6], null, v8, s5, 0
	s_delay_alu instid0(VALU_DEP_2) | instskip(NEXT) | instid1(VALU_DEP_2)
	v_lshlrev_b64 v[3:4], 1, v[3:4]
	v_lshlrev_b64 v[1:2], 1, v[5:6]
	s_delay_alu instid0(VALU_DEP_2) | instskip(NEXT) | instid1(VALU_DEP_3)
	v_add_co_u32 v3, vcc_lo, s15, v3
	v_add_co_ci_u32_e32 v4, vcc_lo, s28, v4, vcc_lo
	s_delay_alu instid0(VALU_DEP_3) | instskip(NEXT) | instid1(VALU_DEP_4)
	v_add_co_u32 v1, vcc_lo, s15, v1
	v_add_co_ci_u32_e32 v2, vcc_lo, s28, v2, vcc_lo
	s_delay_alu instid0(VALU_DEP_4) | instskip(NEXT) | instid1(VALU_DEP_4)
	v_add_co_u32 v41, vcc_lo, v3, v81
	v_add_co_ci_u32_e32 v42, vcc_lo, v4, v82, vcc_lo
	s_delay_alu instid0(VALU_DEP_4) | instskip(NEXT) | instid1(VALU_DEP_4)
	v_add_co_u32 v43, vcc_lo, v1, v81
	v_add_co_ci_u32_e32 v44, vcc_lo, v2, v82, vcc_lo
	s_clause 0xf
	global_load_b128 v[1:4], v[41:42], off
	global_load_b128 v[5:8], v[41:42], off offset:512
	global_load_b128 v[9:12], v[43:44], off offset:256
	;; [unrolled: 1-line block ×15, first 2 shown]
	v_and_b32_e32 v41, 7, v0
	s_or_b32 s15, s16, 0xe0
	s_delay_alu instid0(SALU_CYCLE_1) | instskip(SKIP_1) | instid1(VALU_DEP_1)
	s_ashr_i32 s22, s15, 5
	s_cmp_lt_i32 s15, s18
	v_lshlrev_b32_e32 v57, 6, v41
	ds_load_b128 v[41:44], v57
	ds_load_b128 v[45:48], v57 offset:1024
	ds_load_b128 v[49:52], v57 offset:2048
	;; [unrolled: 1-line block ×7, first 2 shown]
	s_cselect_b32 s22, s22, s3
	s_delay_alu instid0(SALU_CYCLE_1) | instskip(NEXT) | instid1(SALU_CYCLE_1)
	s_ashr_i32 s23, s22, 31
	s_lshl_b64 s[22:23], s[22:23], 2
	s_delay_alu instid0(SALU_CYCLE_1) | instskip(SKIP_2) | instid1(SALU_CYCLE_1)
	s_add_u32 s22, s4, s22
	s_addc_u32 s23, s17, s23
	s_add_i32 s15, s16, 0x100
	s_ashr_i32 s28, s15, 5
	s_cmp_lt_i32 s15, s18
	s_load_b32 s15, s[8:9], 0x0
	s_cselect_b32 s28, s28, s3
	s_mul_hi_i32 s9, s36, s5
	s_ashr_i32 s29, s28, 31
	s_mul_i32 s8, s36, s5
	s_lshl_b64 s[28:29], s[28:29], 2
	s_delay_alu instid0(SALU_CYCLE_1)
	s_add_u32 s28, s4, s28
	s_addc_u32 s29, s17, s29
	s_add_u32 s3, s10, s6
	s_clause 0x1
	s_load_b32 s4, s[22:23], 0x0
	s_load_b32 s17, s[28:29], 0x0
	s_addc_u32 s28, s11, s7
	s_lshl_b64 s[6:7], s[12:13], 1
	s_lshl_b64 s[10:11], s[20:21], 1
	;; [unrolled: 1-line block ×6, first 2 shown]
	s_waitcnt lgkmcnt(0)
	s_mul_hi_i32 s25, s15, s5
	s_mul_i32 s24, s15, s5
	s_waitcnt vmcnt(14)
	v_wmma_f32_16x16x16_bf16 v[134:141], v[1:8], v[41:48], v[110:117]
	s_waitcnt vmcnt(12)
	v_wmma_f32_16x16x16_bf16 v[110:117], v[9:16], v[41:48], v[110:117]
	s_waitcnt vmcnt(10)
	s_delay_alu instid0(VALU_DEP_2) | instskip(SKIP_1) | instid1(VALU_DEP_2)
	v_wmma_f32_16x16x16_bf16 v[134:141], v[17:24], v[49:56], v[134:141]
	s_waitcnt vmcnt(8)
	v_wmma_f32_16x16x16_bf16 v[110:117], v[25:32], v[49:56], v[110:117]
	s_waitcnt vmcnt(6)
	s_delay_alu instid0(VALU_DEP_2) | instskip(SKIP_1) | instid1(VALU_DEP_2)
	v_wmma_f32_16x16x16_bf16 v[134:141], v[33:40], v[118:125], v[134:141]
	s_waitcnt vmcnt(4)
	v_wmma_f32_16x16x16_bf16 v[110:117], v[86:93], v[118:125], v[110:117]
	s_waitcnt vmcnt(2)
	s_delay_alu instid0(VALU_DEP_2) | instskip(SKIP_3) | instid1(VALU_DEP_3)
	v_wmma_f32_16x16x16_bf16 v[134:141], v[94:101], v[126:133], v[134:141]
	v_lshlrev_b32_e32 v85, 6, v74
	s_waitcnt vmcnt(0)
	v_wmma_f32_16x16x16_bf16 v[110:117], v[102:109], v[126:133], v[110:117]
	v_mul_f32_e32 v100, s19, v141
	s_delay_alu instid0(VALU_DEP_3) | instskip(SKIP_2) | instid1(VALU_DEP_3)
	v_lshl_or_b32 v58, v73, 10, v85
	v_mul_f32_e32 v97, s19, v134
	v_mul_f32_e32 v99, s19, v135
	v_add_co_u32 v76, s3, s3, v58
	s_delay_alu instid0(VALU_DEP_1) | instskip(NEXT) | instid1(VALU_DEP_2)
	v_add_co_ci_u32_e64 v77, null, s28, 0, s3
	v_add_co_u32 v57, vcc_lo, v76, s6
	s_delay_alu instid0(VALU_DEP_2)
	v_add_co_ci_u32_e32 v58, vcc_lo, s7, v77, vcc_lo
	v_add_co_u32 v1, vcc_lo, v76, s10
	v_add_co_ci_u32_e32 v2, vcc_lo, s11, v77, vcc_lo
	v_add_co_u32 v3, vcc_lo, v76, s12
	;; [unrolled: 2-line block ×4, first 2 shown]
	v_add_co_ci_u32_e32 v8, vcc_lo, s9, v77, vcc_lo
	s_clause 0x9
	global_load_b128 v[65:68], v[57:58], off
	global_load_b128 v[69:72], v[57:58], off offset:16
	global_load_b128 v[57:60], v[1:2], off
	global_load_b128 v[61:64], v[1:2], off offset:16
	;; [unrolled: 2-line block ×5, first 2 shown]
	v_add_co_u32 v5, vcc_lo, v76, s22
	s_lshl_b64 s[6:7], s[24:25], 1
	v_add_co_ci_u32_e32 v6, vcc_lo, s23, v77, vcc_lo
	s_mul_hi_i32 s9, s4, s5
	s_mul_i32 s8, s4, s5
	v_add_co_u32 v17, vcc_lo, v76, s6
	v_add_co_ci_u32_e32 v18, vcc_lo, s7, v77, vcc_lo
	s_lshl_b64 s[6:7], s[8:9], 1
	s_mul_hi_i32 s9, s17, s5
	s_mul_i32 s8, s17, s5
	v_add_co_u32 v19, vcc_lo, v76, s6
	s_lshl_b64 s[4:5], s[8:9], 1
	v_add_co_ci_u32_e32 v20, vcc_lo, s7, v77, vcc_lo
	v_add_co_u32 v21, vcc_lo, v76, s4
	v_add_co_ci_u32_e32 v22, vcc_lo, s5, v77, vcc_lo
	s_clause 0x7
	global_load_b128 v[1:4], v[5:6], off
	global_load_b128 v[5:8], v[5:6], off offset:16
	global_load_b128 v[33:36], v[17:18], off
	global_load_b128 v[37:40], v[17:18], off offset:16
	;; [unrolled: 2-line block ×4, first 2 shown]
	v_and_b32_e32 v76, 0xe0, v0
	v_mbcnt_lo_u32_b32 v77, -1, 0
	s_waitcnt vmcnt(0)
	s_barrier
	buffer_gl0_inv
	v_add_nc_u32_e32 v76, s16, v76
	v_xor_b32_e32 v78, 16, v77
	s_delay_alu instid0(VALU_DEP_2) | instskip(NEXT) | instid1(VALU_DEP_2)
	v_or_b32_e32 v76, v76, v83
	v_cmp_gt_i32_e32 vcc_lo, 32, v78
	s_delay_alu instid0(VALU_DEP_2)
	v_or_b32_e32 v79, 4, v76
	v_cndmask_b32_e32 v77, v77, v78, vcc_lo
	v_or_b32_e32 v78, 2, v76
	v_or_b32_e32 v80, 6, v76
	;; [unrolled: 1-line block ×3, first 2 shown]
	v_cmp_gt_i32_e32 vcc_lo, s18, v76
	v_or_b32_e32 v87, 10, v76
	v_cmp_gt_i32_e64 s3, s18, v78
	v_or_b32_e32 v88, 12, v76
	v_or_b32_e32 v89, 14, v76
	;; [unrolled: 1-line block ×10, first 2 shown]
	v_cndmask_b32_e64 v78, 0xff7fffff, v99, s3
	v_mul_f32_e32 v99, s19, v137
	v_cmp_gt_i32_e64 s4, s18, v80
	v_mul_f32_e32 v80, s19, v136
	v_cmp_gt_i32_e64 s5, s18, v79
	v_cmp_gt_i32_e64 s6, s18, v86
	v_mul_f32_e32 v86, s19, v116
	v_cndmask_b32_e32 v76, 0xff7fffff, v97, vcc_lo
	v_mul_f32_e32 v79, s19, v139
	v_cndmask_b32_e64 v80, 0xff7fffff, v80, s5
	v_cndmask_b32_e64 v99, 0xff7fffff, v99, s4
	v_cmp_gt_i32_e64 s7, s18, v87
	v_max3_f32 v76, v76, 0xff7fffff, v78
	v_dual_mul_f32 v78, s19, v138 :: v_dual_mul_f32 v97, s19, v140
	v_cmp_gt_i32_e64 s8, s18, v89
	s_delay_alu instid0(VALU_DEP_4) | instskip(NEXT) | instid1(VALU_DEP_4)
	v_cndmask_b32_e64 v79, 0xff7fffff, v79, s7
	v_max3_f32 v76, v76, v80, v99
	s_delay_alu instid0(VALU_DEP_4) | instskip(SKIP_3) | instid1(VALU_DEP_4)
	v_cndmask_b32_e64 v78, 0xff7fffff, v78, s6
	v_cmp_gt_i32_e64 s9, s18, v88
	v_dual_mul_f32 v88, s19, v111 :: v_dual_mul_f32 v89, s19, v110
	v_cndmask_b32_e64 v100, 0xff7fffff, v100, s8
	v_max3_f32 v76, v76, v78, v79
	s_delay_alu instid0(VALU_DEP_4) | instskip(SKIP_3) | instid1(VALU_DEP_4)
	v_cndmask_b32_e64 v97, 0xff7fffff, v97, s9
	v_cmp_gt_i32_e64 s10, s18, v90
	v_cmp_gt_i32_e64 s11, s18, v91
	v_dual_mul_f32 v78, s19, v113 :: v_dual_mul_f32 v79, s19, v112
	v_max3_f32 v76, v76, v97, v100
	s_delay_alu instid0(VALU_DEP_4) | instskip(NEXT) | instid1(VALU_DEP_4)
	v_cndmask_b32_e64 v89, 0xff7fffff, v89, s10
	v_cndmask_b32_e64 v88, 0xff7fffff, v88, s11
	v_cmp_gt_i32_e64 s12, s18, v92
	v_cmp_gt_i32_e64 s13, s18, v93
	v_mul_f32_e32 v87, s19, v115
	v_mul_f32_e32 v99, s19, v114
	v_max3_f32 v76, v76, v89, v88
	v_cndmask_b32_e64 v79, 0xff7fffff, v79, s12
	v_cndmask_b32_e64 v78, 0xff7fffff, v78, s13
	v_cmp_gt_i32_e64 s15, s18, v94
	v_cmp_gt_i32_e64 s16, s18, v95
	v_mul_f32_e32 v80, s19, v117
	v_cmp_gt_i32_e64 s17, s18, v96
	v_max3_f32 v76, v76, v79, v78
	v_cndmask_b32_e64 v88, 0xff7fffff, v99, s15
	v_cndmask_b32_e64 v87, 0xff7fffff, v87, s16
	v_cmp_gt_i32_e64 s18, s18, v98
	v_cndmask_b32_e64 v78, 0xff7fffff, v86, s17
	v_lshlrev_b32_e32 v99, 2, v77
	s_delay_alu instid0(VALU_DEP_4) | instskip(NEXT) | instid1(VALU_DEP_4)
	v_max3_f32 v76, v76, v88, v87
	v_cndmask_b32_e64 v79, 0xff7fffff, v80, s18
	s_delay_alu instid0(VALU_DEP_1) | instskip(SKIP_3) | instid1(VALU_DEP_1)
	v_max3_f32 v76, v76, v78, v79
	ds_bpermute_b32 v77, v99, v76
	s_waitcnt lgkmcnt(0)
	v_max_f32_e32 v77, v77, v77
	v_max_f32_e32 v89, v76, v77
	s_delay_alu instid0(VALU_DEP_1)
	v_fma_f32 v78, s19, v136, -v89
	v_fma_f32 v76, s19, v134, -v89
	;; [unrolled: 1-line block ×5, first 2 shown]
	v_mul_f32_e32 v78, 0x3fb8aa3b, v78
	v_mul_f32_e32 v76, 0x3fb8aa3b, v76
	s_delay_alu instid0(VALU_DEP_4) | instskip(SKIP_1) | instid1(VALU_DEP_4)
	v_dual_mul_f32 v86, 0x3fb8aa3b, v86 :: v_dual_mul_f32 v77, 0x3fb8aa3b, v77
	v_fma_f32 v80, s19, v138, -v89
	v_exp_f32_e32 v78, v78
	s_delay_alu instid0(VALU_DEP_3) | instskip(NEXT) | instid1(VALU_DEP_2)
	v_exp_f32_e32 v76, v76
	v_exp_f32_e32 v86, v86
	;; [unrolled: 1-line block ×3, first 2 shown]
	v_mul_f32_e32 v80, 0x3fb8aa3b, v80
	s_delay_alu instid0(VALU_DEP_1) | instskip(SKIP_2) | instid1(TRANS32_DEP_3)
	v_exp_f32_e32 v80, v80
	v_cndmask_b32_e64 v92, 0, v78, s5
	v_fma_f32 v78, s19, v141, -v89
	v_cndmask_b32_e64 v93, 0, v86, s9
	v_mul_f32_e32 v79, 0x3fb8aa3b, v79
	s_delay_alu instid0(TRANS32_DEP_2) | instskip(SKIP_2) | instid1(VALU_DEP_3)
	v_cndmask_b32_e64 v90, 0, v77, s3
	s_mov_b32 s3, exec_lo
	v_mul_f32_e32 v78, 0x3fb8aa3b, v78
	v_exp_f32_e32 v79, v79
	s_delay_alu instid0(TRANS32_DEP_2) | instskip(SKIP_1) | instid1(VALU_DEP_3)
	v_cndmask_b32_e64 v95, 0, v80, s6
	v_fma_f32 v80, s19, v111, -v89
	v_exp_f32_e32 v78, v78
	s_delay_alu instid0(VALU_DEP_1)
	v_mul_f32_e32 v80, 0x3fb8aa3b, v80
	s_waitcnt_depctr 0xfff
	v_cndmask_b32_e64 v94, 0, v79, s4
	v_fma_f32 v79, s19, v110, -v89
	v_exp_f32_e32 v80, v80
	v_cndmask_b32_e64 v97, 0, v78, s8
	v_cndmask_b32_e32 v91, 0, v76, vcc_lo
	v_fma_f32 v76, s19, v139, -v89
	s_delay_alu instid0(VALU_DEP_1) | instskip(NEXT) | instid1(VALU_DEP_1)
	v_dual_add_f32 v77, 0, v91 :: v_dual_mul_f32 v76, 0x3fb8aa3b, v76
	v_add_f32_e32 v77, v77, v90
	s_delay_alu instid0(VALU_DEP_2) | instskip(NEXT) | instid1(VALU_DEP_1)
	v_exp_f32_e32 v76, v76
	v_add_f32_e32 v77, v77, v92
	s_delay_alu instid0(VALU_DEP_1) | instskip(SKIP_4) | instid1(VALU_DEP_1)
	v_add_f32_e32 v77, v77, v94
	s_waitcnt_depctr 0xfff
	v_cndmask_b32_e64 v96, 0, v76, s7
	v_add_f32_e32 v76, v77, v95
	v_fma_f32 v77, s19, v112, -v89
	v_dual_add_f32 v76, v76, v96 :: v_dual_mul_f32 v77, 0x3fb8aa3b, v77
	s_delay_alu instid0(VALU_DEP_1) | instskip(NEXT) | instid1(VALU_DEP_2)
	v_add_f32_e32 v78, v76, v93
	v_exp_f32_e32 v88, v77
	v_cndmask_b32_e64 v77, 0, v80, s11
	s_delay_alu instid0(VALU_DEP_2) | instskip(NEXT) | instid1(VALU_DEP_1)
	v_dual_mul_f32 v79, 0x3fb8aa3b, v79 :: v_dual_add_f32 v78, v78, v97
	v_exp_f32_e32 v79, v79
	s_waitcnt_depctr 0xfff
	v_cndmask_b32_e64 v76, 0, v79, s10
	s_delay_alu instid0(VALU_DEP_1)
	v_add_f32_e32 v80, v78, v76
	v_fma_f32 v86, s19, v113, -v89
	v_fma_f32 v87, s19, v114, -v89
	;; [unrolled: 1-line block ×4, first 2 shown]
	v_add_f32_e32 v80, v80, v77
	s_delay_alu instid0(VALU_DEP_4) | instskip(NEXT) | instid1(VALU_DEP_4)
	v_dual_mul_f32 v86, 0x3fb8aa3b, v86 :: v_dual_mul_f32 v87, 0x3fb8aa3b, v87
	v_mul_f32_e32 v79, 0x3fb8aa3b, v79
	v_cndmask_b32_e64 v78, 0, v88, s12
	v_mul_f32_e32 v88, 0x3fb8aa3b, v98
	s_delay_alu instid0(VALU_DEP_4) | instskip(SKIP_4) | instid1(VALU_DEP_1)
	v_exp_f32_e32 v86, v86
	v_exp_f32_e32 v87, v87
	;; [unrolled: 1-line block ×3, first 2 shown]
	v_fma_f32 v100, s19, v117, -v89
	v_exp_f32_e32 v88, v88
	v_mul_f32_e32 v100, 0x3fb8aa3b, v100
	v_cndmask_b32_e64 v79, 0, v86, s13
	v_add_f32_e32 v86, v80, v78
	s_delay_alu instid0(TRANS32_DEP_3) | instskip(NEXT) | instid1(VALU_DEP_4)
	v_cndmask_b32_e64 v80, 0, v87, s15
	v_exp_f32_e32 v100, v100
	s_delay_alu instid0(VALU_DEP_2) | instskip(NEXT) | instid1(TRANS32_DEP_3)
	v_add_f32_e32 v87, v86, v79
	v_cndmask_b32_e64 v86, 0, v98, s16
	s_delay_alu instid0(VALU_DEP_2) | instskip(NEXT) | instid1(TRANS32_DEP_2)
	v_add_f32_e32 v98, v87, v80
	v_cndmask_b32_e64 v87, 0, v88, s17
	s_delay_alu instid0(VALU_DEP_2) | instskip(NEXT) | instid1(VALU_DEP_1)
	v_add_f32_e32 v88, v98, v86
	v_add_f32_e32 v98, v88, v87
	s_delay_alu instid0(TRANS32_DEP_1) | instskip(NEXT) | instid1(VALU_DEP_1)
	v_cndmask_b32_e64 v88, 0, v100, s18
	v_add_f32_e32 v98, v98, v88
	ds_bpermute_b32 v99, v99, v98
	v_cmpx_gt_u32_e32 16, v75
	s_cbranch_execz .LBB505_14
; %bb.13:
	v_mul_u32_u24_e32 v75, 0x44, v73
	s_waitcnt lgkmcnt(0)
	v_add_f32_e32 v98, v98, v99
	s_delay_alu instid0(VALU_DEP_2) | instskip(NEXT) | instid1(VALU_DEP_1)
	v_lshl_add_u32 v75, v74, 2, v75
	v_add_nc_u32_e32 v75, 0x4000, v75
	ds_store_2addr_b32 v75, v89, v98 offset1:136
.LBB505_14:
	s_or_b32 exec_lo, exec_lo, s3
	v_lshlrev_b32_e32 v74, 2, v74
	s_waitcnt lgkmcnt(0)
	s_barrier
	buffer_gl0_inv
	v_cmp_eq_u32_e64 s3, 1, v73
	v_add_nc_u32_e32 v89, 0x4000, v74
	ds_load_2addr_b32 v[98:99], v89 offset1:17
	ds_load_2addr_b32 v[100:101], v89 offset0:34 offset1:51
	ds_load_2addr_b32 v[102:103], v89 offset0:68 offset1:85
	;; [unrolled: 1-line block ×4, first 2 shown]
	s_waitcnt lgkmcnt(4)
	v_max3_f32 v74, v98, 0xff7fffff, v99
	s_waitcnt lgkmcnt(3)
	s_delay_alu instid0(VALU_DEP_1) | instskip(SKIP_1) | instid1(VALU_DEP_1)
	v_max3_f32 v74, v74, v100, v101
	s_waitcnt lgkmcnt(2)
	v_max3_f32 v74, v74, v102, v103
	s_waitcnt lgkmcnt(1)
	s_delay_alu instid0(VALU_DEP_1) | instskip(NEXT) | instid1(VALU_DEP_1)
	v_max3_f32 v74, v74, v104, v105
	v_sub_f32_e32 v108, v99, v74
	v_sub_f32_e32 v75, v98, v74
	ds_load_2addr_b32 v[98:99], v89 offset0:170 offset1:187
	v_sub_f32_e32 v100, v100, v74
	v_dual_mul_f32 v108, 0x3fb8aa3b, v108 :: v_dual_mul_f32 v75, 0x3fb8aa3b, v75
	s_delay_alu instid0(VALU_DEP_2) | instskip(NEXT) | instid1(VALU_DEP_2)
	v_mul_f32_e32 v110, 0x3fb8aa3b, v100
	v_exp_f32_e32 v108, v108
	s_delay_alu instid0(VALU_DEP_2)
	v_exp_f32_e32 v109, v75
	v_sub_f32_e32 v75, v101, v74
	ds_load_2addr_b32 v[100:101], v89 offset0:204 offset1:221
	v_exp_f32_e32 v110, v110
	v_mul_f32_e32 v111, 0x3fb8aa3b, v75
	s_waitcnt lgkmcnt(2)
	v_fma_f32 v75, v109, v106, 0
	v_sub_f32_e32 v102, v102, v74
	s_delay_alu instid0(VALU_DEP_3) | instskip(NEXT) | instid1(VALU_DEP_2)
	v_exp_f32_e32 v111, v111
	v_dual_sub_f32 v106, v103, v74 :: v_dual_fmac_f32 v75, v108, v107
	s_waitcnt lgkmcnt(1)
	s_waitcnt_depctr 0xfff
	v_fmac_f32_e32 v75, v110, v98
	v_mul_f32_e32 v112, 0x3fb8aa3b, v102
	ds_load_2addr_b32 v[102:103], v89 offset0:238 offset1:255
	v_sub_f32_e32 v89, v104, v74
	v_dual_sub_f32 v98, v105, v74 :: v_dual_fmac_f32 v75, v111, v99
	v_mul_f32_e32 v104, 0x3fb8aa3b, v106
	v_exp_f32_e32 v106, v112
	s_delay_alu instid0(VALU_DEP_2)
	v_dual_mul_f32 v89, 0x3fb8aa3b, v89 :: v_dual_mul_f32 v98, 0x3fb8aa3b, v98
	s_waitcnt lgkmcnt(0)
	s_barrier
	buffer_gl0_inv
	v_exp_f32_e32 v89, v89
	v_exp_f32_e32 v98, v98
	v_fmac_f32_e32 v75, v106, v100
	v_exp_f32_e32 v104, v104
	s_waitcnt_depctr 0xfff
	v_fmac_f32_e32 v75, v104, v101
	s_delay_alu instid0(VALU_DEP_1) | instskip(NEXT) | instid1(VALU_DEP_1)
	v_fmac_f32_e32 v75, v89, v102
	v_fmac_f32_e32 v75, v98, v103
	s_delay_alu instid0(VALU_DEP_1) | instskip(NEXT) | instid1(VALU_DEP_1)
	v_add_f32_e32 v99, 0x358637bd, v75
	v_div_scale_f32 v100, null, v99, v99, 1.0
	v_div_scale_f32 v103, vcc_lo, 1.0, v99, 1.0
	s_delay_alu instid0(VALU_DEP_2) | instskip(SKIP_2) | instid1(VALU_DEP_1)
	v_rcp_f32_e32 v101, v100
	s_waitcnt_depctr 0xfff
	v_fma_f32 v102, -v100, v101, 1.0
	v_fmac_f32_e32 v101, v102, v101
	v_cndmask_b32_e64 v102, v109, v108, s3
	v_cmp_eq_u32_e64 s3, 2, v73
	s_delay_alu instid0(VALU_DEP_3) | instskip(NEXT) | instid1(VALU_DEP_2)
	v_mul_f32_e32 v105, v103, v101
	v_cndmask_b32_e64 v102, v102, v110, s3
	v_cmp_eq_u32_e64 s3, 3, v73
	s_delay_alu instid0(VALU_DEP_3) | instskip(NEXT) | instid1(VALU_DEP_2)
	v_fma_f32 v107, -v100, v105, v103
	v_cndmask_b32_e64 v102, v102, v111, s3
	v_cmp_eq_u32_e64 s3, 4, v73
	s_delay_alu instid0(VALU_DEP_3) | instskip(NEXT) | instid1(VALU_DEP_2)
	v_fmac_f32_e32 v105, v107, v101
	v_cndmask_b32_e64 v102, v102, v106, s3
	s_delay_alu instid0(VALU_DEP_2) | instskip(SKIP_1) | instid1(VALU_DEP_2)
	v_fma_f32 v100, -v100, v105, v103
	v_cmp_eq_u32_e64 s3, 5, v73
	v_div_fmas_f32 v100, v100, v101, v105
	s_delay_alu instid0(VALU_DEP_2) | instskip(SKIP_2) | instid1(VALU_DEP_3)
	v_cndmask_b32_e64 v102, v102, v104, s3
	v_cmp_eq_u32_e32 vcc_lo, 6, v73
	s_mov_b32 s3, exec_lo
	v_div_fixup_f32 v99, v100, v99, 1.0
	s_delay_alu instid0(VALU_DEP_3) | instskip(SKIP_1) | instid1(VALU_DEP_2)
	v_cndmask_b32_e32 v89, v102, v89, vcc_lo
	v_cmp_eq_u32_e32 vcc_lo, 7, v73
	v_cndmask_b32_e32 v89, v89, v98, vcc_lo
	s_delay_alu instid0(VALU_DEP_1) | instskip(NEXT) | instid1(VALU_DEP_1)
	v_mul_f32_e32 v89, v89, v99
	v_mul_f32_e32 v99, v89, v91
	;; [unrolled: 1-line block ×6, first 2 shown]
	v_and_b32_e32 v100, 0x7f800000, v99
	v_mul_f32_e32 v98, v89, v94
	v_mul_f32_e32 v94, v89, v90
	;; [unrolled: 1-line block ×3, first 2 shown]
                                        ; implicit-def: $vgpr90
	s_delay_alu instid0(VALU_DEP_4)
	v_cmpx_ne_u32_e32 0x7f800000, v100
	s_xor_b32 s3, exec_lo, s3
; %bb.15:
	v_bfe_u32 v90, v99, 16, 1
	s_delay_alu instid0(VALU_DEP_1)
	v_add3_u32 v90, v99, v90, 0x7fff
                                        ; implicit-def: $vgpr99
; %bb.16:
	s_and_not1_saveexec_b32 s3, s3
; %bb.17:
	v_and_b32_e32 v90, 0xffff, v99
	v_or_b32_e32 v92, 0x10000, v99
	s_delay_alu instid0(VALU_DEP_2) | instskip(NEXT) | instid1(VALU_DEP_2)
	v_cmp_eq_u32_e32 vcc_lo, 0, v90
	v_cndmask_b32_e32 v90, v92, v99, vcc_lo
; %bb.18:
	s_or_b32 exec_lo, exec_lo, s3
	v_and_b32_e32 v92, 0x7f800000, v94
	s_delay_alu instid0(VALU_DEP_1) | instskip(SKIP_1) | instid1(SALU_CYCLE_1)
	v_cmp_ne_u32_e32 vcc_lo, 0x7f800000, v92
                                        ; implicit-def: $vgpr92
	s_and_saveexec_b32 s3, vcc_lo
	s_xor_b32 s3, exec_lo, s3
; %bb.19:
	v_bfe_u32 v92, v94, 16, 1
	s_delay_alu instid0(VALU_DEP_1)
	v_add3_u32 v92, v94, v92, 0x7fff
                                        ; implicit-def: $vgpr94
; %bb.20:
	s_and_not1_saveexec_b32 s3, s3
; %bb.21:
	v_and_b32_e32 v92, 0xffff, v94
	v_or_b32_e32 v99, 0x10000, v94
	s_delay_alu instid0(VALU_DEP_2) | instskip(NEXT) | instid1(VALU_DEP_2)
	v_cmp_eq_u32_e32 vcc_lo, 0, v92
	v_cndmask_b32_e32 v92, v99, v94, vcc_lo
; %bb.22:
	s_or_b32 exec_lo, exec_lo, s3
	v_and_b32_e32 v94, 0x7f800000, v95
	s_delay_alu instid0(VALU_DEP_1) | instskip(SKIP_1) | instid1(SALU_CYCLE_1)
	v_cmp_ne_u32_e32 vcc_lo, 0x7f800000, v94
                                        ; implicit-def: $vgpr94
	s_and_saveexec_b32 s3, vcc_lo
	s_xor_b32 s3, exec_lo, s3
; %bb.23:
	v_bfe_u32 v94, v95, 16, 1
	s_delay_alu instid0(VALU_DEP_1)
	v_add3_u32 v94, v95, v94, 0x7fff
                                        ; implicit-def: $vgpr95
; %bb.24:
	s_and_not1_saveexec_b32 s3, s3
; %bb.25:
	v_and_b32_e32 v94, 0xffff, v95
	v_or_b32_e32 v99, 0x10000, v95
	s_delay_alu instid0(VALU_DEP_2) | instskip(NEXT) | instid1(VALU_DEP_2)
	v_cmp_eq_u32_e32 vcc_lo, 0, v94
	v_cndmask_b32_e32 v94, v99, v95, vcc_lo
; %bb.26:
	s_or_b32 exec_lo, exec_lo, s3
	v_and_b32_e32 v95, 0x7f800000, v98
	s_delay_alu instid0(VALU_DEP_1) | instskip(SKIP_1) | instid1(SALU_CYCLE_1)
	v_cmp_ne_u32_e32 vcc_lo, 0x7f800000, v95
                                        ; implicit-def: $vgpr95
	s_and_saveexec_b32 s3, vcc_lo
	s_xor_b32 s3, exec_lo, s3
; %bb.27:
	v_bfe_u32 v95, v98, 16, 1
	s_delay_alu instid0(VALU_DEP_1)
	v_add3_u32 v95, v98, v95, 0x7fff
                                        ; implicit-def: $vgpr98
; %bb.28:
	s_and_not1_saveexec_b32 s3, s3
; %bb.29:
	v_and_b32_e32 v95, 0xffff, v98
	v_or_b32_e32 v99, 0x10000, v98
	s_delay_alu instid0(VALU_DEP_2) | instskip(NEXT) | instid1(VALU_DEP_2)
	v_cmp_eq_u32_e32 vcc_lo, 0, v95
	v_cndmask_b32_e32 v95, v99, v98, vcc_lo
; %bb.30:
	s_or_b32 exec_lo, exec_lo, s3
	v_and_b32_e32 v98, 0x7f800000, v97
	s_delay_alu instid0(VALU_DEP_1) | instskip(SKIP_1) | instid1(SALU_CYCLE_1)
	v_cmp_ne_u32_e32 vcc_lo, 0x7f800000, v98
                                        ; implicit-def: $vgpr98
	s_and_saveexec_b32 s3, vcc_lo
	s_xor_b32 s3, exec_lo, s3
; %bb.31:
	v_bfe_u32 v98, v97, 16, 1
	s_delay_alu instid0(VALU_DEP_1)
	v_add3_u32 v98, v97, v98, 0x7fff
                                        ; implicit-def: $vgpr97
; %bb.32:
	s_and_not1_saveexec_b32 s3, s3
; %bb.33:
	v_and_b32_e32 v98, 0xffff, v97
	v_or_b32_e32 v99, 0x10000, v97
	s_delay_alu instid0(VALU_DEP_2) | instskip(NEXT) | instid1(VALU_DEP_2)
	v_cmp_eq_u32_e32 vcc_lo, 0, v98
	v_cndmask_b32_e32 v98, v99, v97, vcc_lo
; %bb.34:
	s_or_b32 exec_lo, exec_lo, s3
	v_and_b32_e32 v97, 0x7f800000, v96
	s_delay_alu instid0(VALU_DEP_1) | instskip(SKIP_1) | instid1(SALU_CYCLE_1)
	v_cmp_ne_u32_e32 vcc_lo, 0x7f800000, v97
                                        ; implicit-def: $vgpr97
	s_and_saveexec_b32 s3, vcc_lo
	s_xor_b32 s3, exec_lo, s3
; %bb.35:
	v_bfe_u32 v97, v96, 16, 1
	s_delay_alu instid0(VALU_DEP_1)
	v_add3_u32 v97, v96, v97, 0x7fff
                                        ; implicit-def: $vgpr96
; %bb.36:
	s_and_not1_saveexec_b32 s3, s3
; %bb.37:
	v_and_b32_e32 v97, 0xffff, v96
	v_or_b32_e32 v99, 0x10000, v96
	s_delay_alu instid0(VALU_DEP_2) | instskip(NEXT) | instid1(VALU_DEP_2)
	v_cmp_eq_u32_e32 vcc_lo, 0, v97
	v_cndmask_b32_e32 v97, v99, v96, vcc_lo
; %bb.38:
	s_or_b32 exec_lo, exec_lo, s3
	v_and_b32_e32 v96, 0x7f800000, v93
	s_delay_alu instid0(VALU_DEP_1) | instskip(SKIP_1) | instid1(SALU_CYCLE_1)
	v_cmp_ne_u32_e32 vcc_lo, 0x7f800000, v96
                                        ; implicit-def: $vgpr96
	s_and_saveexec_b32 s3, vcc_lo
	s_xor_b32 s3, exec_lo, s3
; %bb.39:
	v_bfe_u32 v96, v93, 16, 1
	s_delay_alu instid0(VALU_DEP_1)
	v_add3_u32 v96, v93, v96, 0x7fff
                                        ; implicit-def: $vgpr93
; %bb.40:
	s_and_not1_saveexec_b32 s3, s3
; %bb.41:
	v_and_b32_e32 v96, 0xffff, v93
	v_or_b32_e32 v99, 0x10000, v93
	s_delay_alu instid0(VALU_DEP_2) | instskip(NEXT) | instid1(VALU_DEP_2)
	v_cmp_eq_u32_e32 vcc_lo, 0, v96
	v_cndmask_b32_e32 v96, v99, v93, vcc_lo
; %bb.42:
	s_or_b32 exec_lo, exec_lo, s3
	v_and_b32_e32 v93, 0x7f800000, v91
	s_delay_alu instid0(VALU_DEP_1) | instskip(SKIP_1) | instid1(SALU_CYCLE_1)
	v_cmp_ne_u32_e32 vcc_lo, 0x7f800000, v93
                                        ; implicit-def: $vgpr93
	s_and_saveexec_b32 s3, vcc_lo
	s_xor_b32 s3, exec_lo, s3
; %bb.43:
	v_bfe_u32 v93, v91, 16, 1
	s_delay_alu instid0(VALU_DEP_1)
	v_add3_u32 v93, v91, v93, 0x7fff
                                        ; implicit-def: $vgpr91
; %bb.44:
	s_and_not1_saveexec_b32 s3, s3
; %bb.45:
	v_and_b32_e32 v93, 0xffff, v91
	v_or_b32_e32 v99, 0x10000, v91
	s_delay_alu instid0(VALU_DEP_2) | instskip(NEXT) | instid1(VALU_DEP_2)
	v_cmp_eq_u32_e32 vcc_lo, 0, v93
	v_cndmask_b32_e32 v93, v99, v91, vcc_lo
; %bb.46:
	s_or_b32 exec_lo, exec_lo, s3
	s_load_b64 s[34:35], s[0:1], 0x94
	v_lshlrev_b32_e32 v91, 4, v83
	s_delay_alu instid0(VALU_DEP_2)
	v_perm_b32 v99, v93, v96, 0x7060302
	v_dual_mul_f32 v88, v89, v88 :: v_dual_lshlrev_b32 v93, 11, v73
	v_perm_b32 v96, v92, v90, 0x7060302
	v_mul_f32_e32 v92, v89, v76
	v_perm_b32 v98, v97, v98, 0x7060302
	v_perm_b32 v97, v95, v94, 0x7060302
	v_or3_b32 v76, v91, v93, v85
	v_mul_f32_e32 v87, v89, v87
	v_dual_mul_f32 v86, v89, v86 :: v_dual_and_b32 v93, 0x7f800000, v92
	v_mul_f32_e32 v80, v89, v80
	v_mul_f32_e32 v90, v89, v79
	;; [unrolled: 1-line block ×4, first 2 shown]
	s_mov_b32 s3, exec_lo
	ds_store_b128 v76, v[96:99]
                                        ; implicit-def: $vgpr77
	v_cmpx_ne_u32_e32 0x7f800000, v93
	s_xor_b32 s3, exec_lo, s3
; %bb.47:
	v_bfe_u32 v77, v92, 16, 1
	s_delay_alu instid0(VALU_DEP_1)
	v_add3_u32 v77, v92, v77, 0x7fff
                                        ; implicit-def: $vgpr92
; %bb.48:
	s_and_not1_saveexec_b32 s3, s3
; %bb.49:
	v_and_b32_e32 v77, 0xffff, v92
	v_or_b32_e32 v78, 0x10000, v92
	s_delay_alu instid0(VALU_DEP_2) | instskip(NEXT) | instid1(VALU_DEP_2)
	v_cmp_eq_u32_e32 vcc_lo, 0, v77
	v_cndmask_b32_e32 v77, v78, v92, vcc_lo
; %bb.50:
	s_or_b32 exec_lo, exec_lo, s3
	v_and_b32_e32 v78, 0x7f800000, v79
	s_delay_alu instid0(VALU_DEP_1) | instskip(SKIP_1) | instid1(SALU_CYCLE_1)
	v_cmp_ne_u32_e32 vcc_lo, 0x7f800000, v78
                                        ; implicit-def: $vgpr78
	s_and_saveexec_b32 s3, vcc_lo
	s_xor_b32 s3, exec_lo, s3
; %bb.51:
	v_bfe_u32 v78, v79, 16, 1
	s_delay_alu instid0(VALU_DEP_1)
	v_add3_u32 v78, v79, v78, 0x7fff
                                        ; implicit-def: $vgpr79
; %bb.52:
	s_and_not1_saveexec_b32 s3, s3
; %bb.53:
	v_and_b32_e32 v78, 0xffff, v79
	v_or_b32_e32 v89, 0x10000, v79
	s_delay_alu instid0(VALU_DEP_2) | instskip(NEXT) | instid1(VALU_DEP_2)
	v_cmp_eq_u32_e32 vcc_lo, 0, v78
	v_cndmask_b32_e32 v78, v89, v79, vcc_lo
; %bb.54:
	s_or_b32 exec_lo, exec_lo, s3
	v_and_b32_e32 v79, 0x7f800000, v91
	s_delay_alu instid0(VALU_DEP_1) | instskip(SKIP_1) | instid1(SALU_CYCLE_1)
	v_cmp_ne_u32_e32 vcc_lo, 0x7f800000, v79
                                        ; implicit-def: $vgpr79
	s_and_saveexec_b32 s3, vcc_lo
	s_xor_b32 s3, exec_lo, s3
; %bb.55:
	v_bfe_u32 v79, v91, 16, 1
	s_delay_alu instid0(VALU_DEP_1)
	v_add3_u32 v79, v91, v79, 0x7fff
                                        ; implicit-def: $vgpr91
; %bb.56:
	s_and_not1_saveexec_b32 s3, s3
; %bb.57:
	v_and_b32_e32 v79, 0xffff, v91
	v_or_b32_e32 v89, 0x10000, v91
	s_delay_alu instid0(VALU_DEP_2) | instskip(NEXT) | instid1(VALU_DEP_2)
	v_cmp_eq_u32_e32 vcc_lo, 0, v79
	v_cndmask_b32_e32 v79, v89, v91, vcc_lo
; %bb.58:
	s_or_b32 exec_lo, exec_lo, s3
	v_and_b32_e32 v89, 0x7f800000, v90
	s_delay_alu instid0(VALU_DEP_1) | instskip(SKIP_1) | instid1(SALU_CYCLE_1)
	v_cmp_ne_u32_e32 vcc_lo, 0x7f800000, v89
                                        ; implicit-def: $vgpr89
	s_and_saveexec_b32 s3, vcc_lo
	s_xor_b32 s3, exec_lo, s3
; %bb.59:
	v_bfe_u32 v89, v90, 16, 1
	s_delay_alu instid0(VALU_DEP_1)
	v_add3_u32 v89, v90, v89, 0x7fff
                                        ; implicit-def: $vgpr90
; %bb.60:
	s_and_not1_saveexec_b32 s3, s3
; %bb.61:
	v_and_b32_e32 v89, 0xffff, v90
	v_or_b32_e32 v91, 0x10000, v90
	s_delay_alu instid0(VALU_DEP_2) | instskip(NEXT) | instid1(VALU_DEP_2)
	v_cmp_eq_u32_e32 vcc_lo, 0, v89
	v_cndmask_b32_e32 v89, v91, v90, vcc_lo
; %bb.62:
	s_or_b32 exec_lo, exec_lo, s3
	v_and_b32_e32 v90, 0x7f800000, v80
	s_delay_alu instid0(VALU_DEP_1) | instskip(SKIP_1) | instid1(SALU_CYCLE_1)
	v_cmp_ne_u32_e32 vcc_lo, 0x7f800000, v90
                                        ; implicit-def: $vgpr90
	s_and_saveexec_b32 s3, vcc_lo
	s_xor_b32 s3, exec_lo, s3
; %bb.63:
	v_bfe_u32 v90, v80, 16, 1
	s_delay_alu instid0(VALU_DEP_1)
	v_add3_u32 v90, v80, v90, 0x7fff
                                        ; implicit-def: $vgpr80
; %bb.64:
	s_and_not1_saveexec_b32 s3, s3
; %bb.65:
	v_and_b32_e32 v90, 0xffff, v80
	v_or_b32_e32 v91, 0x10000, v80
	s_delay_alu instid0(VALU_DEP_2) | instskip(NEXT) | instid1(VALU_DEP_2)
	v_cmp_eq_u32_e32 vcc_lo, 0, v90
	v_cndmask_b32_e32 v90, v91, v80, vcc_lo
; %bb.66:
	s_or_b32 exec_lo, exec_lo, s3
	v_and_b32_e32 v80, 0x7f800000, v86
	s_delay_alu instid0(VALU_DEP_1) | instskip(SKIP_1) | instid1(SALU_CYCLE_1)
	v_cmp_ne_u32_e32 vcc_lo, 0x7f800000, v80
                                        ; implicit-def: $vgpr80
	s_and_saveexec_b32 s3, vcc_lo
	s_xor_b32 s3, exec_lo, s3
; %bb.67:
	v_bfe_u32 v80, v86, 16, 1
	s_delay_alu instid0(VALU_DEP_1)
	v_add3_u32 v80, v86, v80, 0x7fff
                                        ; implicit-def: $vgpr86
; %bb.68:
	s_and_not1_saveexec_b32 s3, s3
; %bb.69:
	v_and_b32_e32 v80, 0xffff, v86
	v_or_b32_e32 v91, 0x10000, v86
	s_delay_alu instid0(VALU_DEP_2) | instskip(NEXT) | instid1(VALU_DEP_2)
	v_cmp_eq_u32_e32 vcc_lo, 0, v80
	v_cndmask_b32_e32 v80, v91, v86, vcc_lo
; %bb.70:
	s_or_b32 exec_lo, exec_lo, s3
	v_and_b32_e32 v86, 0x7f800000, v87
	s_delay_alu instid0(VALU_DEP_1) | instskip(SKIP_1) | instid1(SALU_CYCLE_1)
	v_cmp_ne_u32_e32 vcc_lo, 0x7f800000, v86
                                        ; implicit-def: $vgpr86
	s_and_saveexec_b32 s3, vcc_lo
	s_xor_b32 s3, exec_lo, s3
; %bb.71:
	v_bfe_u32 v86, v87, 16, 1
	s_delay_alu instid0(VALU_DEP_1)
	v_add3_u32 v86, v87, v86, 0x7fff
                                        ; implicit-def: $vgpr87
; %bb.72:
	s_and_not1_saveexec_b32 s3, s3
; %bb.73:
	v_and_b32_e32 v86, 0xffff, v87
	v_or_b32_e32 v91, 0x10000, v87
	s_delay_alu instid0(VALU_DEP_2) | instskip(NEXT) | instid1(VALU_DEP_2)
	v_cmp_eq_u32_e32 vcc_lo, 0, v86
	v_cndmask_b32_e32 v86, v91, v87, vcc_lo
; %bb.74:
	s_or_b32 exec_lo, exec_lo, s3
	v_and_b32_e32 v87, 0x7f800000, v88
	s_delay_alu instid0(VALU_DEP_1) | instskip(SKIP_1) | instid1(SALU_CYCLE_1)
	v_cmp_ne_u32_e32 vcc_lo, 0x7f800000, v87
                                        ; implicit-def: $vgpr87
	s_and_saveexec_b32 s3, vcc_lo
	s_xor_b32 s3, exec_lo, s3
; %bb.75:
	v_bfe_u32 v87, v88, 16, 1
	s_delay_alu instid0(VALU_DEP_1)
	v_add3_u32 v87, v88, v87, 0x7fff
                                        ; implicit-def: $vgpr88
; %bb.76:
	s_and_not1_saveexec_b32 s3, s3
; %bb.77:
	v_and_b32_e32 v87, 0xffff, v88
	v_or_b32_e32 v91, 0x10000, v88
	s_delay_alu instid0(VALU_DEP_2) | instskip(NEXT) | instid1(VALU_DEP_2)
	v_cmp_eq_u32_e32 vcc_lo, 0, v87
	v_cndmask_b32_e32 v87, v91, v88, vcc_lo
; %bb.78:
	s_or_b32 exec_lo, exec_lo, s3
	s_delay_alu instid0(VALU_DEP_1)
	v_perm_b32 v94, v87, v86, 0x7060302
	v_perm_b32 v93, v80, v90, 0x7060302
	;; [unrolled: 1-line block ×4, first 2 shown]
	v_lshl_or_b32 v90, v73, 11, v85
	ds_store_b128 v76, v[91:94] offset:1024
	s_waitcnt lgkmcnt(0)
	s_barrier
	buffer_gl0_inv
	ds_load_b128 v[77:80], v90
	ds_load_b128 v[91:94], v90 offset:16
	s_waitcnt lgkmcnt(1)
	v_lshrrev_b32_e32 v73, 16, v77
	s_waitcnt lgkmcnt(0)
	v_lshrrev_b32_e32 v108, 16, v94
	v_lshlrev_b32_e32 v87, 2, v83
	v_lshrrev_b32_e32 v99, 16, v91
	v_lshrrev_b32_e32 v103, 16, v78
	;; [unrolled: 1-line block ×4, first 2 shown]
	v_or_b32_e32 v88, 1, v87
	v_cmp_eq_u32_e32 vcc_lo, 1, v87
	v_cmp_eq_u32_e64 s4, 2, v87
	v_cmp_eq_u32_e64 s7, 3, v87
	v_cmp_eq_u32_e64 s9, 4, v87
	v_cmp_eq_u32_e64 s3, 1, v88
	v_cndmask_b32_e32 v89, v77, v73, vcc_lo
	v_cndmask_b32_e32 v95, v91, v99, vcc_lo
	v_cmp_eq_u32_e64 s6, 2, v88
	v_cmp_eq_u32_e64 s8, 3, v88
	v_cndmask_b32_e64 v96, v77, v73, s3
	v_cndmask_b32_e64 v89, v89, v78, s4
	;; [unrolled: 1-line block ×3, first 2 shown]
	v_or_b32_e32 v86, 2, v87
	v_lshrrev_b32_e32 v107, 16, v93
	v_cndmask_b32_e64 v96, v96, v78, s6
	v_cndmask_b32_e64 v89, v89, v103, s7
	;; [unrolled: 1-line block ×4, first 2 shown]
	v_cmp_eq_u32_e64 s10, 5, v87
	v_cndmask_b32_e64 v96, v96, v103, s8
	v_cndmask_b32_e64 v89, v89, v79, s9
	;; [unrolled: 1-line block ×3, first 2 shown]
	v_cmp_eq_u32_e64 s11, 4, v88
	v_cmp_eq_u32_e64 s5, 1, v86
	v_cndmask_b32_e64 v97, v97, v92, s6
	v_cndmask_b32_e64 v89, v89, v104, s10
	v_cmp_eq_u32_e64 s12, 6, v87
	v_cndmask_b32_e64 v96, v96, v79, s11
	v_cndmask_b32_e64 v95, v95, v107, s10
	v_cmp_eq_u32_e64 s13, 5, v88
	v_lshrrev_b32_e32 v105, 16, v80
	v_cndmask_b32_e64 v98, v77, v73, s5
	v_cndmask_b32_e64 v97, v97, v106, s8
	;; [unrolled: 1-line block ×4, first 2 shown]
	v_cmp_eq_u32_e64 s15, 7, v87
	v_cndmask_b32_e64 v95, v95, v94, s12
	v_cmp_eq_u32_e64 s16, 6, v88
	v_cmp_eq_u32_e64 s17, 2, v86
	v_cndmask_b32_e64 v97, v97, v93, s11
	v_cndmask_b32_e64 v109, v89, v105, s15
	v_cndmask_b32_e64 v110, v95, v108, s15
	v_cndmask_b32_e64 v96, v96, v80, s16
	v_cndmask_b32_e64 v89, v98, v78, s17
	v_cndmask_b32_e64 v95, v91, v99, s5
	v_cmp_eq_u32_e64 s18, 7, v88
	v_cmp_eq_u32_e64 s19, 3, v86
	;; [unrolled: 1-line block ×4, first 2 shown]
	v_cndmask_b32_e64 v95, v95, v92, s17
	v_cndmask_b32_e64 v111, v96, v105, s18
	;; [unrolled: 1-line block ×4, first 2 shown]
	v_or_b32_e32 v89, 3, v87
	v_cndmask_b32_e64 v101, v95, v106, s19
	v_cmp_eq_u32_e64 s24, 6, v86
	v_cndmask_b32_e64 v112, v96, v94, s16
	v_cndmask_b32_e64 v100, v97, v79, s20
	v_cmp_eq_u32_e64 s21, 1, v89
	ds_load_b128 v[95:98], v90 offset:1024
	v_cmp_eq_u32_e64 s23, 2, v89
	v_cmp_eq_u32_e64 s25, 3, v89
	v_cndmask_b32_e64 v113, v100, v104, s22
	v_cndmask_b32_e64 v73, v77, v73, s21
	;; [unrolled: 1-line block ×4, first 2 shown]
	ds_load_b128 v[99:102], v90 offset:1040
	v_cmp_eq_u32_e64 s26, 4, v89
	v_cndmask_b32_e64 v73, v73, v78, s23
	v_cmp_eq_u32_e64 s27, 7, v86
	v_cndmask_b32_e64 v78, v91, v92, s23
	v_cndmask_b32_e64 v92, v113, v80, s24
	v_cmp_eq_u32_e64 s28, 5, v89
	v_cndmask_b32_e64 v73, v73, v103, s25
	v_cndmask_b32_e64 v77, v77, v107, s22
	;; [unrolled: 1-line block ×3, first 2 shown]
	v_cmp_eq_u32_e64 s29, 6, v89
	v_cndmask_b32_e64 v91, v112, v108, s18
	v_cndmask_b32_e64 v73, v73, v79, s26
	s_waitcnt lgkmcnt(1)
	v_lshrrev_b32_e32 v103, 16, v95
	v_cndmask_b32_e64 v78, v78, v93, s26
	v_cndmask_b32_e64 v79, v92, v105, s27
	;; [unrolled: 1-line block ×4, first 2 shown]
	v_cndmask_b32_e32 v92, v95, v103, vcc_lo
	v_cndmask_b32_e64 v78, v78, v107, s28
	s_waitcnt lgkmcnt(0)
	v_lshrrev_b32_e32 v93, 16, v99
	v_lshrrev_b32_e32 v104, 16, v96
	v_cndmask_b32_e64 v106, v95, v103, s3
	v_cndmask_b32_e64 v92, v92, v96, s4
	;; [unrolled: 1-line block ×3, first 2 shown]
	v_cndmask_b32_e32 v107, v99, v93, vcc_lo
	v_cndmask_b32_e64 v78, v78, v94, s29
	v_cmp_eq_u32_e32 vcc_lo, 7, v89
	v_cndmask_b32_e64 v80, v92, v104, s7
	v_cndmask_b32_e64 v92, v106, v96, s6
	;; [unrolled: 1-line block ×3, first 2 shown]
	v_lshrrev_b32_e32 v106, 16, v100
	v_cndmask_b32_e64 v77, v77, v108, s27
	v_cndmask_b32_e32 v78, v78, v108, vcc_lo
	v_lshrrev_b32_e32 v108, 16, v101
	v_cndmask_b32_e64 v80, v80, v97, s9
	v_cndmask_b32_e64 v94, v94, v106, s7
	v_lshrrev_b32_e32 v107, 16, v97
	v_cndmask_b32_e32 v73, v73, v105, vcc_lo
	v_perm_b32 v79, v77, v79, 0x5040100
	v_cndmask_b32_e64 v92, v92, v104, s8
	v_cndmask_b32_e64 v94, v94, v101, s9
	;; [unrolled: 1-line block ×3, first 2 shown]
	v_perm_b32 v80, v78, v73, 0x5040100
	v_perm_b32 v78, v91, v111, 0x5040100
	v_cndmask_b32_e64 v111, v99, v93, s5
	v_cndmask_b32_e64 v94, v94, v108, s10
	;; [unrolled: 1-line block ×3, first 2 shown]
	s_delay_alu instid0(VALU_DEP_2)
	v_cndmask_b32_e64 v77, v94, v102, s12
	v_cndmask_b32_e64 v94, v95, v103, s5
	;; [unrolled: 1-line block ×22, first 2 shown]
	v_lshrrev_b32_e32 v105, 16, v98
	v_cndmask_b32_e64 v94, v94, v107, s22
	v_cndmask_b32_e64 v95, v95, v107, s28
	;; [unrolled: 1-line block ×7, first 2 shown]
	v_lshrrev_b32_e32 v92, 16, v102
	v_cndmask_b32_e64 v94, v94, v98, s24
	v_cndmask_b32_e64 v95, v95, v98, s29
	;; [unrolled: 1-line block ×7, first 2 shown]
	v_dual_cndmask_b32 v94, v95, v105 :: v_dual_cndmask_b32 v95, v96, v92
	v_cndmask_b32_e64 v96, v97, v92, s27
	v_cndmask_b32_e64 v97, v93, v92, s18
	;; [unrolled: 1-line block ×3, first 2 shown]
	v_perm_b32 v77, v110, v109, 0x5040100
	v_perm_b32 v94, v95, v94, 0x5040100
	;; [unrolled: 1-line block ×5, first 2 shown]
	s_lshl_b32 s8, s35, 3
	s_mov_b32 s3, exec_lo
	ds_store_b128 v76, v[77:80]
	ds_store_b128 v76, v[91:94] offset:1024
	v_cmpx_gt_u32_e32 8, v0
	s_cbranch_execz .LBB505_80
; %bb.79:
	v_or_b32_e32 v73, s31, v0
	s_load_b128 s[4:7], s[0:1], 0x58
	s_delay_alu instid0(VALU_DEP_1) | instskip(NEXT) | instid1(VALU_DEP_1)
	v_mad_u64_u32 v[76:77], null, s8, s30, v[73:74]
	v_mad_u64_u32 v[77:78], null, v76, s34, s[14:15]
	s_delay_alu instid0(VALU_DEP_1) | instskip(NEXT) | instid1(VALU_DEP_1)
	v_ashrrev_i32_e32 v78, 31, v77
	v_lshlrev_b64 v[76:77], 2, v[77:78]
	s_waitcnt lgkmcnt(0)
	s_delay_alu instid0(VALU_DEP_1) | instskip(NEXT) | instid1(VALU_DEP_2)
	v_add_co_u32 v78, vcc_lo, s6, v76
	v_add_co_ci_u32_e32 v79, vcc_lo, s7, v77, vcc_lo
	v_add_co_u32 v76, vcc_lo, s4, v76
	v_add_co_ci_u32_e32 v77, vcc_lo, s5, v77, vcc_lo
	global_store_b32 v[78:79], v74, off
	global_store_b32 v[76:77], v75, off
.LBB505_80:
	s_or_b32 exec_lo, exec_lo, s3
	s_waitcnt lgkmcnt(0)
	s_waitcnt_vscnt null, 0x0
	s_barrier
	buffer_gl0_inv
	ds_load_b128 v[91:94], v85
	ds_load_b128 v[95:98], v85 offset:16
	ds_load_b128 v[103:106], v85 offset:1040
	;; [unrolled: 1-line block ×3, first 2 shown]
	v_mov_b32_e32 v73, 0
	ds_load_b128 v[111:114], v85 offset:2064
	ds_load_b128 v[107:110], v85 offset:2048
	ds_load_b128 v[119:122], v85 offset:3088
	ds_load_b128 v[115:118], v85 offset:3072
	ds_load_b128 v[127:130], v85 offset:4112
	ds_load_b128 v[123:126], v85 offset:4096
	v_mov_b32_e32 v74, v73
	v_mov_b32_e32 v75, v73
	;; [unrolled: 1-line block ×7, first 2 shown]
	s_waitcnt lgkmcnt(8)
	s_delay_alu instid0(VALU_DEP_1)
	v_wmma_f32_16x16x16_bf16 v[73:80], v[65:72], v[91:98], v[73:80]
	ds_load_b128 v[69:72], v85 offset:5136
	ds_load_b128 v[65:68], v85 offset:5120
	;; [unrolled: 1-line block ×4, first 2 shown]
	s_waitcnt lgkmcnt(10)
	v_wmma_f32_16x16x16_bf16 v[73:80], v[57:64], v[99:106], v[73:80]
	s_waitcnt lgkmcnt(8)
	s_delay_alu instid0(VALU_DEP_1)
	v_wmma_f32_16x16x16_bf16 v[73:80], v[57:64], v[107:114], v[73:80]
	ds_load_b128 v[61:64], v85 offset:7184
	ds_load_b128 v[57:60], v85 offset:7168
	;; [unrolled: 1-line block ×4, first 2 shown]
	s_waitcnt lgkmcnt(10)
	v_wmma_f32_16x16x16_bf16 v[73:80], v[49:56], v[115:122], v[73:80]
	s_waitcnt lgkmcnt(8)
	s_delay_alu instid0(VALU_DEP_1)
	v_wmma_f32_16x16x16_bf16 v[73:80], v[49:56], v[123:130], v[73:80]
	ds_load_b128 v[53:56], v85 offset:9232
	ds_load_b128 v[49:52], v85 offset:9216
	s_waitcnt lgkmcnt(8)
	v_wmma_f32_16x16x16_bf16 v[73:80], v[41:48], v[65:72], v[73:80]
	ds_load_b128 v[69:72], v85 offset:10256
	ds_load_b128 v[65:68], v85 offset:10240
	s_waitcnt lgkmcnt(8)
	;; [unrolled: 4-line block ×3, first 2 shown]
	v_wmma_f32_16x16x16_bf16 v[73:80], v[9:16], v[57:64], v[73:80]
	s_waitcnt lgkmcnt(6)
	s_delay_alu instid0(VALU_DEP_1)
	v_wmma_f32_16x16x16_bf16 v[73:80], v[9:16], v[99:106], v[73:80]
	ds_load_b128 v[13:16], v85 offset:12304
	ds_load_b128 v[9:12], v85 offset:12288
	s_waitcnt lgkmcnt(6)
	v_wmma_f32_16x16x16_bf16 v[73:80], v[1:8], v[49:56], v[73:80]
	ds_load_b128 v[53:56], v85 offset:13328
	ds_load_b128 v[49:52], v85 offset:13312
	s_waitcnt lgkmcnt(6)
	;; [unrolled: 4-line block ×4, first 2 shown]
	v_wmma_f32_16x16x16_bf16 v[73:80], v[33:40], v[9:16], v[73:80]
	s_waitcnt lgkmcnt(4)
	s_delay_alu instid0(VALU_DEP_1) | instskip(SKIP_1) | instid1(VALU_DEP_1)
	v_wmma_f32_16x16x16_bf16 v[73:80], v[25:32], v[49:56], v[73:80]
	s_waitcnt lgkmcnt(2)
	v_wmma_f32_16x16x16_bf16 v[73:80], v[25:32], v[1:8], v[73:80]
	s_waitcnt lgkmcnt(0)
	s_delay_alu instid0(VALU_DEP_1) | instskip(NEXT) | instid1(VALU_DEP_1)
	v_wmma_f32_16x16x16_bf16 v[73:80], v[17:24], v[41:48], v[73:80]
	v_and_b32_e32 v1, 0x7f800000, v73
	s_delay_alu instid0(VALU_DEP_1) | instskip(SKIP_1) | instid1(SALU_CYCLE_1)
	v_cmp_ne_u32_e32 vcc_lo, 0x7f800000, v1
                                        ; implicit-def: $vgpr1
	s_and_saveexec_b32 s3, vcc_lo
	s_xor_b32 s3, exec_lo, s3
; %bb.81:
	v_bfe_u32 v1, v73, 16, 1
	s_delay_alu instid0(VALU_DEP_1)
	v_add3_u32 v1, v73, v1, 0x7fff
; %bb.82:
	s_and_not1_saveexec_b32 s3, s3
; %bb.83:
	v_and_b32_e32 v1, 0xffff, v73
	v_or_b32_e32 v2, 0x10000, v73
	s_delay_alu instid0(VALU_DEP_2) | instskip(NEXT) | instid1(VALU_DEP_2)
	v_cmp_eq_u32_e32 vcc_lo, 0, v1
	v_cndmask_b32_e32 v1, v2, v73, vcc_lo
; %bb.84:
	s_or_b32 exec_lo, exec_lo, s3
	v_and_b32_e32 v2, 0x7f800000, v74
	s_delay_alu instid0(VALU_DEP_1) | instskip(SKIP_1) | instid1(SALU_CYCLE_1)
	v_cmp_ne_u32_e32 vcc_lo, 0x7f800000, v2
                                        ; implicit-def: $vgpr2
	s_and_saveexec_b32 s3, vcc_lo
	s_xor_b32 s3, exec_lo, s3
; %bb.85:
	v_bfe_u32 v2, v74, 16, 1
	s_delay_alu instid0(VALU_DEP_1)
	v_add3_u32 v2, v74, v2, 0x7fff
; %bb.86:
	s_and_not1_saveexec_b32 s3, s3
; %bb.87:
	v_and_b32_e32 v2, 0xffff, v74
	v_or_b32_e32 v3, 0x10000, v74
	s_delay_alu instid0(VALU_DEP_2) | instskip(NEXT) | instid1(VALU_DEP_2)
	v_cmp_eq_u32_e32 vcc_lo, 0, v2
	v_cndmask_b32_e32 v2, v3, v74, vcc_lo
; %bb.88:
	s_or_b32 exec_lo, exec_lo, s3
	v_and_b32_e32 v3, 0x7f800000, v75
	s_delay_alu instid0(VALU_DEP_1) | instskip(SKIP_1) | instid1(SALU_CYCLE_1)
	v_cmp_ne_u32_e32 vcc_lo, 0x7f800000, v3
                                        ; implicit-def: $vgpr3
	s_and_saveexec_b32 s3, vcc_lo
	s_xor_b32 s3, exec_lo, s3
; %bb.89:
	v_bfe_u32 v3, v75, 16, 1
	s_delay_alu instid0(VALU_DEP_1)
	v_add3_u32 v3, v75, v3, 0x7fff
; %bb.90:
	s_and_not1_saveexec_b32 s3, s3
; %bb.91:
	v_and_b32_e32 v3, 0xffff, v75
	v_or_b32_e32 v4, 0x10000, v75
	s_delay_alu instid0(VALU_DEP_2) | instskip(NEXT) | instid1(VALU_DEP_2)
	v_cmp_eq_u32_e32 vcc_lo, 0, v3
	v_cndmask_b32_e32 v3, v4, v75, vcc_lo
; %bb.92:
	s_or_b32 exec_lo, exec_lo, s3
	v_and_b32_e32 v4, 0x7f800000, v76
	s_delay_alu instid0(VALU_DEP_1) | instskip(SKIP_1) | instid1(SALU_CYCLE_1)
	v_cmp_ne_u32_e32 vcc_lo, 0x7f800000, v4
                                        ; implicit-def: $vgpr4
	s_and_saveexec_b32 s3, vcc_lo
	s_xor_b32 s3, exec_lo, s3
; %bb.93:
	v_bfe_u32 v4, v76, 16, 1
	s_delay_alu instid0(VALU_DEP_1)
	v_add3_u32 v4, v76, v4, 0x7fff
; %bb.94:
	s_and_not1_saveexec_b32 s3, s3
; %bb.95:
	v_and_b32_e32 v4, 0xffff, v76
	v_or_b32_e32 v5, 0x10000, v76
	s_delay_alu instid0(VALU_DEP_2) | instskip(NEXT) | instid1(VALU_DEP_2)
	v_cmp_eq_u32_e32 vcc_lo, 0, v4
	v_cndmask_b32_e32 v4, v5, v76, vcc_lo
; %bb.96:
	s_or_b32 exec_lo, exec_lo, s3
	v_and_b32_e32 v5, 0x7f800000, v77
	s_delay_alu instid0(VALU_DEP_1) | instskip(SKIP_1) | instid1(SALU_CYCLE_1)
	v_cmp_ne_u32_e32 vcc_lo, 0x7f800000, v5
                                        ; implicit-def: $vgpr5
	s_and_saveexec_b32 s3, vcc_lo
	s_xor_b32 s3, exec_lo, s3
; %bb.97:
	v_bfe_u32 v5, v77, 16, 1
	s_delay_alu instid0(VALU_DEP_1)
	v_add3_u32 v5, v77, v5, 0x7fff
; %bb.98:
	s_and_not1_saveexec_b32 s3, s3
; %bb.99:
	v_and_b32_e32 v5, 0xffff, v77
	v_or_b32_e32 v6, 0x10000, v77
	s_delay_alu instid0(VALU_DEP_2) | instskip(NEXT) | instid1(VALU_DEP_2)
	v_cmp_eq_u32_e32 vcc_lo, 0, v5
	v_cndmask_b32_e32 v5, v6, v77, vcc_lo
; %bb.100:
	s_or_b32 exec_lo, exec_lo, s3
	v_and_b32_e32 v6, 0x7f800000, v78
	s_delay_alu instid0(VALU_DEP_1) | instskip(SKIP_1) | instid1(SALU_CYCLE_1)
	v_cmp_ne_u32_e32 vcc_lo, 0x7f800000, v6
                                        ; implicit-def: $vgpr6
	s_and_saveexec_b32 s3, vcc_lo
	s_xor_b32 s3, exec_lo, s3
; %bb.101:
	v_bfe_u32 v6, v78, 16, 1
	s_delay_alu instid0(VALU_DEP_1)
	v_add3_u32 v6, v78, v6, 0x7fff
; %bb.102:
	s_and_not1_saveexec_b32 s3, s3
; %bb.103:
	v_and_b32_e32 v6, 0xffff, v78
	v_or_b32_e32 v7, 0x10000, v78
	s_delay_alu instid0(VALU_DEP_2) | instskip(NEXT) | instid1(VALU_DEP_2)
	v_cmp_eq_u32_e32 vcc_lo, 0, v6
	v_cndmask_b32_e32 v6, v7, v78, vcc_lo
; %bb.104:
	s_or_b32 exec_lo, exec_lo, s3
	v_and_b32_e32 v7, 0x7f800000, v79
	s_delay_alu instid0(VALU_DEP_1) | instskip(SKIP_1) | instid1(SALU_CYCLE_1)
	v_cmp_ne_u32_e32 vcc_lo, 0x7f800000, v7
                                        ; implicit-def: $vgpr7
	s_and_saveexec_b32 s3, vcc_lo
	s_xor_b32 s3, exec_lo, s3
; %bb.105:
	v_bfe_u32 v7, v79, 16, 1
	s_delay_alu instid0(VALU_DEP_1)
	v_add3_u32 v7, v79, v7, 0x7fff
; %bb.106:
	s_and_not1_saveexec_b32 s3, s3
; %bb.107:
	v_and_b32_e32 v7, 0xffff, v79
	v_or_b32_e32 v8, 0x10000, v79
	s_delay_alu instid0(VALU_DEP_2) | instskip(NEXT) | instid1(VALU_DEP_2)
	v_cmp_eq_u32_e32 vcc_lo, 0, v7
	v_cndmask_b32_e32 v7, v8, v79, vcc_lo
; %bb.108:
	s_or_b32 exec_lo, exec_lo, s3
	v_and_b32_e32 v8, 0x7f800000, v80
	s_delay_alu instid0(VALU_DEP_1) | instskip(SKIP_1) | instid1(SALU_CYCLE_1)
	v_cmp_ne_u32_e32 vcc_lo, 0x7f800000, v8
                                        ; implicit-def: $vgpr8
	s_and_saveexec_b32 s3, vcc_lo
	s_xor_b32 s3, exec_lo, s3
; %bb.109:
	v_bfe_u32 v8, v80, 16, 1
	s_delay_alu instid0(VALU_DEP_1)
	v_add3_u32 v8, v80, v8, 0x7fff
                                        ; implicit-def: $vgpr73_vgpr74_vgpr75_vgpr76_vgpr77_vgpr78_vgpr79_vgpr80
; %bb.110:
	s_and_not1_saveexec_b32 s3, s3
; %bb.111:
	v_and_b32_e32 v8, 0xffff, v80
	v_or_b32_e32 v9, 0x10000, v80
	s_delay_alu instid0(VALU_DEP_2) | instskip(NEXT) | instid1(VALU_DEP_2)
	v_cmp_eq_u32_e32 vcc_lo, 0, v8
	v_cndmask_b32_e32 v8, v9, v80, vcc_lo
; %bb.112:
	s_or_b32 exec_lo, exec_lo, s3
	s_delay_alu instid0(VALU_DEP_1)
	v_perm_b32 v7, v8, v7, 0x7060302
	v_perm_b32 v6, v6, v5, 0x7060302
	;; [unrolled: 1-line block ×4, first 2 shown]
	v_lshl_or_b32 v9, v83, 4, v90
	s_barrier
	buffer_gl0_inv
	v_cmp_eq_u32_e32 vcc_lo, 1, v87
	ds_store_b128 v9, v[4:7]
	s_waitcnt lgkmcnt(0)
	s_barrier
	buffer_gl0_inv
	ds_load_b128 v[1:4], v90
	ds_load_b128 v[5:8], v90 offset:16
	v_cmp_eq_u32_e64 s4, 2, v87
	v_cmp_eq_u32_e64 s3, 1, v88
	;; [unrolled: 1-line block ×5, first 2 shown]
	s_waitcnt lgkmcnt(1)
	v_lshrrev_b32_e32 v10, 16, v1
	s_waitcnt lgkmcnt(0)
	v_lshrrev_b32_e32 v14, 16, v5
	v_lshrrev_b32_e32 v15, 16, v6
	;; [unrolled: 1-line block ×4, first 2 shown]
	v_cndmask_b32_e64 v20, v1, v10, s3
	v_cndmask_b32_e32 v19, v5, v14, vcc_lo
	v_cndmask_b32_e64 v21, v5, v14, s3
	v_lshrrev_b32_e32 v16, 16, v7
	v_cmp_eq_u32_e64 s3, 1, v86
	v_lshrrev_b32_e32 v13, 16, v4
	v_cndmask_b32_e64 v19, v19, v6, s4
	v_lshrrev_b32_e32 v17, 16, v8
	s_delay_alu instid0(VALU_DEP_4) | instskip(SKIP_1) | instid1(VALU_DEP_4)
	v_cndmask_b32_e64 v22, v1, v10, s3
	v_cndmask_b32_e64 v23, v5, v14, s3
	;; [unrolled: 1-line block ×3, first 2 shown]
	v_cndmask_b32_e32 v18, v1, v10, vcc_lo
	v_cmp_eq_u32_e32 vcc_lo, 2, v88
	v_cmp_eq_u32_e64 s3, 2, v89
	v_cndmask_b32_e64 v22, v22, v2, s7
	v_cndmask_b32_e32 v20, v20, v2, vcc_lo
	v_cndmask_b32_e32 v21, v21, v6, vcc_lo
	v_cmp_eq_u32_e32 vcc_lo, 4, v87
	v_cndmask_b32_e32 v19, v19, v7, vcc_lo
	v_cndmask_b32_e64 v18, v18, v2, s4
	v_cmp_eq_u32_e64 s4, 3, v88
	s_delay_alu instid0(VALU_DEP_2) | instskip(NEXT) | instid1(VALU_DEP_2)
	v_cndmask_b32_e64 v18, v18, v11, s5
	v_cndmask_b32_e64 v21, v21, v15, s4
	v_cmp_eq_u32_e64 s5, 5, v87
	s_delay_alu instid0(VALU_DEP_3) | instskip(SKIP_1) | instid1(VALU_DEP_3)
	v_cndmask_b32_e32 v18, v18, v3, vcc_lo
	v_cmp_eq_u32_e32 vcc_lo, 4, v88
	v_cndmask_b32_e64 v19, v19, v16, s5
	s_delay_alu instid0(VALU_DEP_3) | instskip(SKIP_4) | instid1(VALU_DEP_3)
	v_cndmask_b32_e64 v18, v18, v12, s5
	v_cndmask_b32_e32 v21, v21, v7, vcc_lo
	v_cndmask_b32_e64 v20, v20, v11, s4
	v_cmp_eq_u32_e64 s4, 5, v88
	v_cmp_eq_u32_e64 s5, 6, v87
	v_cndmask_b32_e32 v20, v20, v3, vcc_lo
	s_delay_alu instid0(VALU_DEP_3) | instskip(SKIP_1) | instid1(VALU_DEP_4)
	v_cndmask_b32_e64 v21, v21, v16, s4
	v_cmp_eq_u32_e32 vcc_lo, 6, v88
	v_cndmask_b32_e64 v18, v18, v4, s5
	v_cndmask_b32_e64 v19, v19, v8, s5
	;; [unrolled: 1-line block ×3, first 2 shown]
	v_cmp_eq_u32_e64 s4, 1, v89
	v_cmp_eq_u32_e64 s5, 7, v87
	s_delay_alu instid0(VALU_DEP_3) | instskip(NEXT) | instid1(VALU_DEP_3)
	v_cndmask_b32_e32 v20, v20, v4, vcc_lo
	v_cndmask_b32_e64 v1, v1, v10, s4
	v_cndmask_b32_e64 v5, v5, v14, s4
	v_cmp_eq_u32_e64 s4, 3, v86
	v_cndmask_b32_e64 v14, v23, v6, s7
	v_cmp_eq_u32_e64 s7, 3, v89
	v_cndmask_b32_e64 v1, v1, v2, s3
	v_cndmask_b32_e64 v2, v5, v6, s3
	;; [unrolled: 1-line block ×3, first 2 shown]
	v_cmp_eq_u32_e64 s3, 4, v86
	v_cndmask_b32_e64 v6, v14, v15, s4
	v_cndmask_b32_e64 v1, v1, v11, s7
	v_cmp_eq_u32_e64 s4, 4, v89
	v_cndmask_b32_e64 v2, v2, v15, s7
	v_cndmask_b32_e64 v5, v10, v3, s3
	;; [unrolled: 3-line block ×3, first 2 shown]
	v_cndmask_b32_e64 v2, v2, v7, s4
	v_cmp_eq_u32_e64 s3, 5, v89
	v_cndmask_b32_e64 v5, v5, v12, s7
	v_cmp_eq_u32_e64 s4, 6, v86
	v_cndmask_b32_e64 v3, v6, v16, s7
	v_cmp_eq_u32_e64 s7, 6, v89
	v_cndmask_b32_e64 v1, v1, v12, s3
	v_cndmask_b32_e64 v2, v2, v16, s3
	;; [unrolled: 1-line block ×4, first 2 shown]
	v_cmp_eq_u32_e64 s3, 7, v89
	v_cndmask_b32_e64 v1, v1, v4, s7
	v_cndmask_b32_e64 v2, v2, v8, s7
	v_cmp_eq_u32_e64 s4, 7, v86
	v_cndmask_b32_e32 v4, v21, v8, vcc_lo
	v_cndmask_b32_e64 v18, v18, v13, s5
	v_cndmask_b32_e64 v20, v20, v13, s6
	;; [unrolled: 1-line block ×8, first 2 shown]
	v_cmp_gt_u32_e32 vcc_lo, 32, v0
	v_perm_b32 v4, v2, v1, 0x5040100
	v_perm_b32 v3, v3, v5, 0x5040100
	v_perm_b32 v2, v6, v20, 0x5040100
	v_perm_b32 v1, v7, v18, 0x5040100
	s_and_b32 s2, vcc_lo, s2
	ds_store_b128 v9, v[1:4]
	s_waitcnt lgkmcnt(0)
	s_barrier
	buffer_gl0_inv
	s_and_saveexec_b32 s3, s2
	s_cbranch_execz .LBB505_2
; %bb.113:
	s_load_b64 s[0:1], s[0:1], 0x68
	s_lshl_b32 s4, s34, 6
	v_or_b32_e32 v2, s31, v83
	s_mul_i32 s2, s4, s30
	v_lshlrev_b32_e32 v1, 10, v0
	s_mul_i32 s2, s2, s8
	v_lshlrev_b32_e32 v3, 4, v84
	v_mul_lo_u32 v0, v2, s4
	s_ashr_i32 s3, s2, 31
	v_lshlrev_b32_e32 v4, 6, v83
	v_and_b32_e32 v1, 0x3800, v1
	v_or_b32_e32 v5, 2, v2
	s_lshl_b64 s[2:3], s[2:3], 1
	v_or_b32_e32 v6, 4, v2
	v_or_b32_e32 v7, 6, v2
	v_or3_b32 v12, v1, v3, v4
	v_ashrrev_i32_e32 v1, 31, v0
	v_mul_lo_u32 v2, v5, s4
	v_mul_lo_u32 v16, v6, s4
	v_mul_lo_u32 v20, v7, s4
	s_waitcnt lgkmcnt(0)
	s_add_u32 s2, s0, s2
	s_addc_u32 s3, s1, s3
	s_lshl_b32 s0, s14, 6
	v_lshlrev_b64 v[0:1], 1, v[0:1]
	s_ashr_i32 s1, s0, 31
	v_ashrrev_i32_e32 v3, 31, v2
	s_lshl_b64 s[0:1], s[0:1], 1
	v_ashrrev_i32_e32 v17, 31, v16
	s_add_u32 s0, s2, s0
	s_addc_u32 s1, s3, s1
	v_add_co_u32 v24, vcc_lo, s0, v81
	v_add_co_ci_u32_e32 v25, vcc_lo, s1, v82, vcc_lo
	v_lshlrev_b64 v[22:23], 1, v[2:3]
	s_delay_alu instid0(VALU_DEP_3) | instskip(NEXT) | instid1(VALU_DEP_3)
	v_add_co_u32 v18, vcc_lo, v24, v0
	v_add_co_ci_u32_e32 v19, vcc_lo, v25, v1, vcc_lo
	ds_load_b128 v[0:3], v12
	ds_load_b128 v[4:7], v12 offset:128
	ds_load_b128 v[8:11], v12 offset:256
	;; [unrolled: 1-line block ×3, first 2 shown]
	v_ashrrev_i32_e32 v21, 31, v20
	v_lshlrev_b64 v[16:17], 1, v[16:17]
	v_add_co_u32 v22, vcc_lo, v24, v22
	v_add_co_ci_u32_e32 v23, vcc_lo, v25, v23, vcc_lo
	s_delay_alu instid0(VALU_DEP_4) | instskip(NEXT) | instid1(VALU_DEP_4)
	v_lshlrev_b64 v[20:21], 1, v[20:21]
	v_add_co_u32 v16, vcc_lo, v24, v16
	v_add_co_ci_u32_e32 v17, vcc_lo, v25, v17, vcc_lo
	s_delay_alu instid0(VALU_DEP_3) | instskip(NEXT) | instid1(VALU_DEP_4)
	v_add_co_u32 v20, vcc_lo, v24, v20
	v_add_co_ci_u32_e32 v21, vcc_lo, v25, v21, vcc_lo
	s_waitcnt lgkmcnt(3)
	global_store_b128 v[18:19], v[0:3], off
	s_waitcnt lgkmcnt(2)
	global_store_b128 v[22:23], v[4:7], off
	;; [unrolled: 2-line block ×4, first 2 shown]
	s_nop 0
	s_sendmsg sendmsg(MSG_DEALLOC_VGPRS)
	s_endpgm
	.section	.rodata,"a",@progbits
	.p2align	6, 0x0
	.amdhsa_kernel _Z39paged_attention_ll4mi_QKV_mfma16_kernelI14__hip_bfloat16S0_LN4vllm18Fp8KVCacheDataTypeE0EhLi32ELi64ELi256ELb1ELi8EL8MFMAType0EEvPKT_PKT0_S9_ifPKiSB_SB_iPKfiiiPfSE_PS4_PT2_iSD_SD_
		.amdhsa_group_segment_fixed_size 17472
		.amdhsa_private_segment_fixed_size 0
		.amdhsa_kernarg_size 400
		.amdhsa_user_sgpr_count 13
		.amdhsa_user_sgpr_dispatch_ptr 0
		.amdhsa_user_sgpr_queue_ptr 0
		.amdhsa_user_sgpr_kernarg_segment_ptr 1
		.amdhsa_user_sgpr_dispatch_id 0
		.amdhsa_user_sgpr_private_segment_size 0
		.amdhsa_wavefront_size32 1
		.amdhsa_uses_dynamic_stack 0
		.amdhsa_enable_private_segment 0
		.amdhsa_system_sgpr_workgroup_id_x 1
		.amdhsa_system_sgpr_workgroup_id_y 1
		.amdhsa_system_sgpr_workgroup_id_z 1
		.amdhsa_system_sgpr_workgroup_info 0
		.amdhsa_system_vgpr_workitem_id 0
		.amdhsa_next_free_vgpr 142
		.amdhsa_next_free_sgpr 38
		.amdhsa_reserve_vcc 1
		.amdhsa_float_round_mode_32 0
		.amdhsa_float_round_mode_16_64 0
		.amdhsa_float_denorm_mode_32 3
		.amdhsa_float_denorm_mode_16_64 3
		.amdhsa_dx10_clamp 1
		.amdhsa_ieee_mode 1
		.amdhsa_fp16_overflow 0
		.amdhsa_workgroup_processor_mode 1
		.amdhsa_memory_ordered 1
		.amdhsa_forward_progress 0
		.amdhsa_shared_vgpr_count 0
		.amdhsa_exception_fp_ieee_invalid_op 0
		.amdhsa_exception_fp_denorm_src 0
		.amdhsa_exception_fp_ieee_div_zero 0
		.amdhsa_exception_fp_ieee_overflow 0
		.amdhsa_exception_fp_ieee_underflow 0
		.amdhsa_exception_fp_ieee_inexact 0
		.amdhsa_exception_int_div_zero 0
	.end_amdhsa_kernel
	.section	.text._Z39paged_attention_ll4mi_QKV_mfma16_kernelI14__hip_bfloat16S0_LN4vllm18Fp8KVCacheDataTypeE0EhLi32ELi64ELi256ELb1ELi8EL8MFMAType0EEvPKT_PKT0_S9_ifPKiSB_SB_iPKfiiiPfSE_PS4_PT2_iSD_SD_,"axG",@progbits,_Z39paged_attention_ll4mi_QKV_mfma16_kernelI14__hip_bfloat16S0_LN4vllm18Fp8KVCacheDataTypeE0EhLi32ELi64ELi256ELb1ELi8EL8MFMAType0EEvPKT_PKT0_S9_ifPKiSB_SB_iPKfiiiPfSE_PS4_PT2_iSD_SD_,comdat
.Lfunc_end505:
	.size	_Z39paged_attention_ll4mi_QKV_mfma16_kernelI14__hip_bfloat16S0_LN4vllm18Fp8KVCacheDataTypeE0EhLi32ELi64ELi256ELb1ELi8EL8MFMAType0EEvPKT_PKT0_S9_ifPKiSB_SB_iPKfiiiPfSE_PS4_PT2_iSD_SD_, .Lfunc_end505-_Z39paged_attention_ll4mi_QKV_mfma16_kernelI14__hip_bfloat16S0_LN4vllm18Fp8KVCacheDataTypeE0EhLi32ELi64ELi256ELb1ELi8EL8MFMAType0EEvPKT_PKT0_S9_ifPKiSB_SB_iPKfiiiPfSE_PS4_PT2_iSD_SD_
                                        ; -- End function
	.section	.AMDGPU.csdata,"",@progbits
; Kernel info:
; codeLenInByte = 9448
; NumSgprs: 40
; NumVgprs: 142
; ScratchSize: 0
; MemoryBound: 0
; FloatMode: 240
; IeeeMode: 1
; LDSByteSize: 17472 bytes/workgroup (compile time only)
; SGPRBlocks: 4
; VGPRBlocks: 17
; NumSGPRsForWavesPerEU: 40
; NumVGPRsForWavesPerEU: 142
; Occupancy: 10
; WaveLimiterHint : 1
; COMPUTE_PGM_RSRC2:SCRATCH_EN: 0
; COMPUTE_PGM_RSRC2:USER_SGPR: 13
; COMPUTE_PGM_RSRC2:TRAP_HANDLER: 0
; COMPUTE_PGM_RSRC2:TGID_X_EN: 1
; COMPUTE_PGM_RSRC2:TGID_Y_EN: 1
; COMPUTE_PGM_RSRC2:TGID_Z_EN: 1
; COMPUTE_PGM_RSRC2:TIDIG_COMP_CNT: 0
	.section	.text._Z39paged_attention_ll4mi_QKV_mfma16_kernelI14__hip_bfloat16S0_LN4vllm18Fp8KVCacheDataTypeE0EhLi32ELi64ELi256ELb1ELi9EL8MFMAType0EEvPKT_PKT0_S9_ifPKiSB_SB_iPKfiiiPfSE_PS4_PT2_iSD_SD_,"axG",@progbits,_Z39paged_attention_ll4mi_QKV_mfma16_kernelI14__hip_bfloat16S0_LN4vllm18Fp8KVCacheDataTypeE0EhLi32ELi64ELi256ELb1ELi9EL8MFMAType0EEvPKT_PKT0_S9_ifPKiSB_SB_iPKfiiiPfSE_PS4_PT2_iSD_SD_,comdat
	.protected	_Z39paged_attention_ll4mi_QKV_mfma16_kernelI14__hip_bfloat16S0_LN4vllm18Fp8KVCacheDataTypeE0EhLi32ELi64ELi256ELb1ELi9EL8MFMAType0EEvPKT_PKT0_S9_ifPKiSB_SB_iPKfiiiPfSE_PS4_PT2_iSD_SD_ ; -- Begin function _Z39paged_attention_ll4mi_QKV_mfma16_kernelI14__hip_bfloat16S0_LN4vllm18Fp8KVCacheDataTypeE0EhLi32ELi64ELi256ELb1ELi9EL8MFMAType0EEvPKT_PKT0_S9_ifPKiSB_SB_iPKfiiiPfSE_PS4_PT2_iSD_SD_
	.globl	_Z39paged_attention_ll4mi_QKV_mfma16_kernelI14__hip_bfloat16S0_LN4vllm18Fp8KVCacheDataTypeE0EhLi32ELi64ELi256ELb1ELi9EL8MFMAType0EEvPKT_PKT0_S9_ifPKiSB_SB_iPKfiiiPfSE_PS4_PT2_iSD_SD_
	.p2align	8
	.type	_Z39paged_attention_ll4mi_QKV_mfma16_kernelI14__hip_bfloat16S0_LN4vllm18Fp8KVCacheDataTypeE0EhLi32ELi64ELi256ELb1ELi9EL8MFMAType0EEvPKT_PKT0_S9_ifPKiSB_SB_iPKfiiiPfSE_PS4_PT2_iSD_SD_,@function
_Z39paged_attention_ll4mi_QKV_mfma16_kernelI14__hip_bfloat16S0_LN4vllm18Fp8KVCacheDataTypeE0EhLi32ELi64ELi256ELb1ELi9EL8MFMAType0EEvPKT_PKT0_S9_ifPKiSB_SB_iPKfiiiPfSE_PS4_PT2_iSD_SD_: ; @_Z39paged_attention_ll4mi_QKV_mfma16_kernelI14__hip_bfloat16S0_LN4vllm18Fp8KVCacheDataTypeE0EhLi32ELi64ELi256ELb1ELi9EL8MFMAType0EEvPKT_PKT0_S9_ifPKiSB_SB_iPKfiiiPfSE_PS4_PT2_iSD_SD_
; %bb.0:
	s_load_b64 s[2:3], s[0:1], 0x30
	s_mov_b32 s34, s13
	s_waitcnt lgkmcnt(0)
	s_cmp_lg_u64 s[2:3], 0
	s_cselect_b32 s6, -1, 0
	s_ashr_i32 s35, s13, 31
	s_cmp_eq_u64 s[2:3], 0
	s_cbranch_scc1 .LBB506_3
; %bb.1:
	s_lshl_b64 s[4:5], s[34:35], 2
	s_delay_alu instid0(SALU_CYCLE_1) | instskip(SKIP_4) | instid1(SALU_CYCLE_1)
	s_add_u32 s4, s2, s4
	s_addc_u32 s5, s3, s5
	s_load_b64 s[4:5], s[4:5], 0x0
	s_waitcnt lgkmcnt(0)
	s_sub_i32 s4, s5, s4
	s_cmp_eq_u32 s4, 1
	s_cselect_b32 s4, -1, 0
	s_delay_alu instid0(SALU_CYCLE_1)
	s_and_not1_b32 vcc_lo, exec_lo, s4
	s_cbranch_vccz .LBB506_4
.LBB506_2:
	s_nop 0
	s_sendmsg sendmsg(MSG_DEALLOC_VGPRS)
	s_endpgm
.LBB506_3:
.LBB506_4:
	s_load_b64 s[8:9], s[0:1], 0x28
	s_lshl_b64 s[4:5], s[34:35], 2
	s_waitcnt lgkmcnt(0)
	s_add_u32 s8, s8, s4
	s_addc_u32 s9, s9, s5
	s_lshl_b32 s16, s14, 8
	s_load_b32 s18, s[8:9], 0x0
	s_waitcnt lgkmcnt(0)
	s_cmp_ge_i32 s16, s18
	s_cbranch_scc1 .LBB506_2
; %bb.5:
	s_and_not1_b32 vcc_lo, exec_lo, s6
	s_cbranch_vccnz .LBB506_7
; %bb.6:
	s_add_u32 s2, s2, s4
	s_addc_u32 s3, s3, s5
	s_load_b32 s17, s[2:3], 0x0
	s_branch .LBB506_8
.LBB506_7:
	s_mov_b32 s17, s34
.LBB506_8:
	s_clause 0x2
	s_load_b128 s[8:11], s[0:1], 0x8
	s_load_b64 s[12:13], s[0:1], 0x20
	s_load_b128 s[4:7], s[0:1], 0x48
	v_lshrrev_b32_e32 v74, 5, v0
	v_bfe_u32 v83, v0, 4, 1
	v_and_b32_e32 v73, 15, v0
	s_delay_alu instid0(VALU_DEP_2) | instskip(NEXT) | instid1(VALU_DEP_2)
	v_lshl_or_b32 v3, v74, 1, v83
	v_cmp_lt_u32_e64 s3, 7, v73
	v_lshlrev_b32_e32 v1, 3, v73
	v_cmp_gt_u32_e64 s2, 8, v73
	s_delay_alu instid0(VALU_DEP_4) | instskip(NEXT) | instid1(VALU_DEP_4)
	v_cmp_lt_u32_e32 vcc_lo, 8, v3
	s_or_b32 s3, s3, vcc_lo
	s_waitcnt lgkmcnt(0)
	s_and_saveexec_b32 s7, s3
	s_delay_alu instid0(SALU_CYCLE_1)
	s_xor_b32 s3, exec_lo, s7
; %bb.9:
	v_mov_b32_e32 v2, 0
                                        ; implicit-def: $vgpr3
; %bb.10:
	s_or_saveexec_b32 s3, s3
	v_and_b32_e32 v75, 31, v0
	v_and_b32_e32 v84, 1, v0
	s_mul_i32 s31, s15, 9
	s_xor_b32 exec_lo, exec_lo, s3
	s_cbranch_execz .LBB506_12
; %bb.11:
	s_load_b64 s[20:21], s[0:1], 0x0
	v_add_lshl_u32 v4, v3, s31, 6
	s_mul_hi_i32 s23, s17, s4
	s_mul_i32 s22, s17, s4
	v_lshlrev_b32_e32 v2, 1, v1
	s_lshl_b64 s[22:23], s[22:23], 1
	v_ashrrev_i32_e32 v5, 31, v4
	v_lshlrev_b32_e32 v3, 6, v3
	v_lshlrev_b32_e32 v8, 10, v84
	s_delay_alu instid0(VALU_DEP_3) | instskip(SKIP_3) | instid1(VALU_DEP_1)
	v_lshlrev_b64 v[4:5], 1, v[4:5]
	s_waitcnt lgkmcnt(0)
	s_add_u32 s4, s20, s22
	s_addc_u32 s7, s21, s23
	v_add_co_u32 v4, vcc_lo, s4, v4
	s_delay_alu instid0(VALU_DEP_2) | instskip(NEXT) | instid1(VALU_DEP_2)
	v_add_co_ci_u32_e32 v5, vcc_lo, s7, v5, vcc_lo
	v_add_co_u32 v4, vcc_lo, v4, v2
	s_delay_alu instid0(VALU_DEP_2) | instskip(SKIP_3) | instid1(VALU_DEP_1)
	v_add_co_ci_u32_e32 v5, vcc_lo, 0, v5, vcc_lo
	v_lshlrev_b32_e32 v2, 10, v73
	global_load_b128 v[4:7], v[4:5], off
	v_and_b32_e32 v2, 0x3800, v2
	v_or3_b32 v3, v2, v8, v3
	v_mov_b32_e32 v2, 0
	s_waitcnt vmcnt(0)
	ds_store_b128 v3, v[4:7]
.LBB506_12:
	s_or_b32 exec_lo, exec_lo, s3
	v_and_b32_e32 v3, 0xef, v0
	s_add_i32 s3, s18, 31
	s_clause 0x1
	s_load_b32 s4, s[0:1], 0x38
	s_load_b32 s19, s[0:1], 0x1c
	s_ashr_i32 s7, s3, 31
	v_add_nc_u32_e32 v3, s16, v3
	s_lshr_b32 s7, s7, 27
	s_waitcnt lgkmcnt(0)
	s_add_i32 s3, s3, s7
	s_barrier
	v_ashrrev_i32_e32 v4, 31, v3
	v_cmp_gt_i32_e32 vcc_lo, s18, v3
	s_ashr_i32 s3, s3, 5
	buffer_gl0_inv
	s_add_i32 s3, s3, -1
	v_lshrrev_b32_e32 v5, 27, v4
	v_or_b32_e32 v4, 16, v3
	s_mul_i32 s6, s15, s6
	v_lshlrev_b64 v[81:82], 1, v[1:2]
	s_delay_alu instid0(VALU_DEP_3) | instskip(NEXT) | instid1(VALU_DEP_3)
	v_add_nc_u32_e32 v6, v3, v5
	v_add_nc_u32_e32 v5, v4, v5
	s_mul_i32 s20, s34, s4
	s_delay_alu instid0(SALU_CYCLE_1) | instskip(NEXT) | instid1(VALU_DEP_2)
	s_ashr_i32 s21, s20, 31
	v_ashrrev_i32_e32 v6, 5, v6
	s_delay_alu instid0(VALU_DEP_2) | instskip(SKIP_1) | instid1(SALU_CYCLE_1)
	v_ashrrev_i32_e32 v5, 5, v5
	s_lshl_b64 s[20:21], s[20:21], 2
	s_add_u32 s4, s12, s20
	s_delay_alu instid0(VALU_DEP_2) | instskip(SKIP_3) | instid1(SALU_CYCLE_1)
	v_cndmask_b32_e32 v3, s3, v6, vcc_lo
	v_cmp_gt_i32_e32 vcc_lo, s18, v4
	s_addc_u32 s17, s13, s21
	s_ashr_i32 s7, s6, 31
	s_lshl_b64 s[6:7], s[6:7], 1
	v_cndmask_b32_e32 v5, s3, v5, vcc_lo
	v_ashrrev_i32_e32 v4, 31, v3
	s_add_u32 s15, s8, s6
	s_addc_u32 s28, s9, s7
	s_lshl_b32 s8, s14, 3
	v_ashrrev_i32_e32 v6, 31, v5
	v_lshlrev_b64 v[3:4], 2, v[3:4]
	s_ashr_i32 s9, s8, 31
	s_delay_alu instid0(SALU_CYCLE_1) | instskip(NEXT) | instid1(VALU_DEP_2)
	s_lshl_b64 s[8:9], s[8:9], 2
	v_lshlrev_b64 v[5:6], 2, v[5:6]
	s_add_u32 s8, s4, s8
	s_delay_alu instid0(VALU_DEP_2) | instskip(SKIP_1) | instid1(VALU_DEP_3)
	v_add_co_u32 v3, vcc_lo, s4, v3
	v_add_co_ci_u32_e32 v4, vcc_lo, s17, v4, vcc_lo
	v_add_co_u32 v5, vcc_lo, s4, v5
	s_delay_alu instid0(VALU_DEP_4)
	v_add_co_ci_u32_e32 v6, vcc_lo, s17, v6, vcc_lo
	s_addc_u32 s9, s17, s9
	s_clause 0x1
	global_load_b32 v7, v[3:4], off
	global_load_b32 v8, v[5:6], off
	s_or_b32 s12, s16, 32
	s_delay_alu instid0(SALU_CYCLE_1) | instskip(SKIP_2) | instid1(SALU_CYCLE_1)
	s_ashr_i32 s13, s12, 5
	s_cmp_lt_i32 s12, s18
	s_cselect_b32 s12, s13, s3
	s_ashr_i32 s13, s12, 31
	s_delay_alu instid0(SALU_CYCLE_1) | instskip(NEXT) | instid1(SALU_CYCLE_1)
	s_lshl_b64 s[12:13], s[12:13], 2
	s_add_u32 s12, s4, s12
	s_addc_u32 s13, s17, s13
	s_or_b32 s20, s16, 64
	s_delay_alu instid0(SALU_CYCLE_1) | instskip(SKIP_2) | instid1(SALU_CYCLE_1)
	s_ashr_i32 s21, s20, 5
	s_cmp_lt_i32 s20, s18
	s_cselect_b32 s20, s21, s3
	s_ashr_i32 s21, s20, 31
	s_delay_alu instid0(SALU_CYCLE_1) | instskip(NEXT) | instid1(SALU_CYCLE_1)
	s_lshl_b64 s[20:21], s[20:21], 2
	s_add_u32 s20, s4, s20
	s_addc_u32 s21, s17, s21
	;; [unrolled: 10-line block ×5, first 2 shown]
	s_clause 0x5
	s_load_b32 s29, s[8:9], 0x0
	s_load_b32 s30, s[12:13], 0x0
	;; [unrolled: 1-line block ×6, first 2 shown]
	s_mov_b32 s20, 0
	s_or_b32 s8, s16, 0xc0
	s_mov_b32 s21, s20
	s_mov_b32 s22, s20
	;; [unrolled: 1-line block ×7, first 2 shown]
	s_ashr_i32 s9, s8, 5
	v_mov_b32_e32 v117, s27
	s_cmp_lt_i32 s8, s18
	v_mov_b32_e32 v116, s26
	s_cselect_b32 s8, s9, s3
	v_mov_b32_e32 v115, s25
	s_ashr_i32 s9, s8, 31
	v_dual_mov_b32 v114, s24 :: v_dual_mov_b32 v113, s23
	v_dual_mov_b32 v112, s22 :: v_dual_mov_b32 v111, s21
	s_lshl_b64 s[8:9], s[8:9], 2
	s_waitcnt lgkmcnt(0)
	s_mul_hi_i32 s13, s29, s5
	s_add_u32 s8, s4, s8
	s_addc_u32 s9, s17, s9
	s_mul_i32 s12, s29, s5
	s_mul_hi_i32 s37, s38, s5
	v_mov_b32_e32 v110, s20
	s_mul_hi_i32 s21, s30, s5
	s_mul_i32 s20, s30, s5
	s_mul_hi_i32 s25, s33, s5
	s_mul_i32 s24, s33, s5
	;; [unrolled: 2-line block ×3, first 2 shown]
	s_waitcnt vmcnt(1)
	v_mad_i64_i32 v[3:4], null, v7, s5, 0
	s_waitcnt vmcnt(0)
	v_mad_i64_i32 v[5:6], null, v8, s5, 0
	s_delay_alu instid0(VALU_DEP_2) | instskip(NEXT) | instid1(VALU_DEP_2)
	v_lshlrev_b64 v[3:4], 1, v[3:4]
	v_lshlrev_b64 v[1:2], 1, v[5:6]
	s_delay_alu instid0(VALU_DEP_2) | instskip(NEXT) | instid1(VALU_DEP_3)
	v_add_co_u32 v3, vcc_lo, s15, v3
	v_add_co_ci_u32_e32 v4, vcc_lo, s28, v4, vcc_lo
	s_delay_alu instid0(VALU_DEP_3) | instskip(NEXT) | instid1(VALU_DEP_4)
	v_add_co_u32 v1, vcc_lo, s15, v1
	v_add_co_ci_u32_e32 v2, vcc_lo, s28, v2, vcc_lo
	s_delay_alu instid0(VALU_DEP_4) | instskip(NEXT) | instid1(VALU_DEP_4)
	v_add_co_u32 v41, vcc_lo, v3, v81
	v_add_co_ci_u32_e32 v42, vcc_lo, v4, v82, vcc_lo
	s_delay_alu instid0(VALU_DEP_4) | instskip(NEXT) | instid1(VALU_DEP_4)
	v_add_co_u32 v43, vcc_lo, v1, v81
	v_add_co_ci_u32_e32 v44, vcc_lo, v2, v82, vcc_lo
	s_clause 0xf
	global_load_b128 v[1:4], v[41:42], off
	global_load_b128 v[5:8], v[41:42], off offset:512
	global_load_b128 v[9:12], v[43:44], off offset:256
	;; [unrolled: 1-line block ×15, first 2 shown]
	v_add_nc_u32_e32 v41, -9, v73
	v_cmp_gt_u32_e32 vcc_lo, 9, v73
	s_or_b32 s15, s16, 0xe0
	s_delay_alu instid0(SALU_CYCLE_1) | instskip(SKIP_3) | instid1(SALU_CYCLE_1)
	s_ashr_i32 s22, s15, 5
	s_cmp_lt_i32 s15, s18
	v_cndmask_b32_e32 v41, v41, v73, vcc_lo
	s_cselect_b32 s22, s22, s3
	s_ashr_i32 s23, s22, 31
	s_delay_alu instid0(VALU_DEP_1)
	v_lshlrev_b32_e32 v57, 6, v41
	ds_load_b128 v[41:44], v57
	ds_load_b128 v[45:48], v57 offset:1024
	ds_load_b128 v[49:52], v57 offset:2048
	ds_load_b128 v[53:56], v57 offset:3072
	ds_load_b128 v[118:121], v57 offset:4096
	ds_load_b128 v[122:125], v57 offset:5120
	ds_load_b128 v[126:129], v57 offset:6144
	ds_load_b128 v[130:133], v57 offset:7168
	s_lshl_b64 s[22:23], s[22:23], 2
	s_delay_alu instid0(SALU_CYCLE_1) | instskip(SKIP_2) | instid1(SALU_CYCLE_1)
	s_add_u32 s22, s4, s22
	s_addc_u32 s23, s17, s23
	s_add_i32 s15, s16, 0x100
	s_ashr_i32 s28, s15, 5
	s_cmp_lt_i32 s15, s18
	s_load_b32 s15, s[8:9], 0x0
	s_cselect_b32 s28, s28, s3
	s_mul_hi_i32 s9, s36, s5
	s_ashr_i32 s29, s28, 31
	s_mul_i32 s8, s36, s5
	s_lshl_b64 s[28:29], s[28:29], 2
	s_mul_i32 s36, s38, s5
	s_add_u32 s28, s4, s28
	s_addc_u32 s29, s17, s29
	s_add_u32 s3, s10, s6
	s_clause 0x1
	s_load_b32 s4, s[22:23], 0x0
	s_load_b32 s17, s[28:29], 0x0
	s_addc_u32 s28, s11, s7
	s_lshl_b64 s[6:7], s[12:13], 1
	s_lshl_b64 s[10:11], s[20:21], 1
	;; [unrolled: 1-line block ×6, first 2 shown]
	s_waitcnt lgkmcnt(0)
	s_mul_hi_i32 s25, s15, s5
	s_mul_i32 s24, s15, s5
	s_waitcnt vmcnt(14)
	v_wmma_f32_16x16x16_bf16 v[134:141], v[1:8], v[41:48], v[110:117]
	s_waitcnt vmcnt(10)
	s_delay_alu instid0(VALU_DEP_1) | instskip(SKIP_1) | instid1(VALU_DEP_1)
	v_wmma_f32_16x16x16_bf16 v[134:141], v[17:24], v[49:56], v[134:141]
	s_waitcnt vmcnt(6)
	v_wmma_f32_16x16x16_bf16 v[134:141], v[33:40], v[118:125], v[134:141]
	s_waitcnt vmcnt(2)
	s_delay_alu instid0(VALU_DEP_1) | instskip(SKIP_1) | instid1(VALU_DEP_2)
	v_wmma_f32_16x16x16_bf16 v[134:141], v[94:101], v[126:133], v[134:141]
	v_lshlrev_b32_e32 v85, 6, v73
	v_mul_f32_e32 v100, s19, v141
	s_delay_alu instid0(VALU_DEP_2) | instskip(SKIP_2) | instid1(VALU_DEP_3)
	v_lshl_or_b32 v58, v74, 10, v85
	v_wmma_f32_16x16x16_bf16 v[110:117], v[9:16], v[41:48], v[110:117]
	v_mul_f32_e32 v99, s19, v135
	v_add_co_u32 v76, s3, s3, v58
	s_delay_alu instid0(VALU_DEP_1) | instskip(NEXT) | instid1(VALU_DEP_4)
	v_add_co_ci_u32_e64 v77, null, s28, 0, s3
	v_wmma_f32_16x16x16_bf16 v[110:117], v[25:32], v[49:56], v[110:117]
	s_delay_alu instid0(VALU_DEP_3) | instskip(NEXT) | instid1(VALU_DEP_3)
	v_add_co_u32 v57, vcc_lo, v76, s6
	v_add_co_ci_u32_e32 v58, vcc_lo, s7, v77, vcc_lo
	v_add_co_u32 v1, vcc_lo, v76, s10
	v_add_co_ci_u32_e32 v2, vcc_lo, s11, v77, vcc_lo
	;; [unrolled: 2-line block ×5, first 2 shown]
	s_clause 0x9
	global_load_b128 v[65:68], v[57:58], off
	global_load_b128 v[69:72], v[57:58], off offset:16
	global_load_b128 v[57:60], v[1:2], off
	global_load_b128 v[61:64], v[1:2], off offset:16
	;; [unrolled: 2-line block ×5, first 2 shown]
	v_add_co_u32 v5, vcc_lo, v76, s22
	s_lshl_b64 s[6:7], s[24:25], 1
	v_add_co_ci_u32_e32 v6, vcc_lo, s23, v77, vcc_lo
	s_mul_hi_i32 s9, s4, s5
	s_mul_i32 s8, s4, s5
	v_add_co_u32 v17, vcc_lo, v76, s6
	v_add_co_ci_u32_e32 v18, vcc_lo, s7, v77, vcc_lo
	s_lshl_b64 s[6:7], s[8:9], 1
	s_mul_hi_i32 s9, s17, s5
	s_mul_i32 s8, s17, s5
	v_add_co_u32 v19, vcc_lo, v76, s6
	s_lshl_b64 s[4:5], s[8:9], 1
	v_add_co_ci_u32_e32 v20, vcc_lo, s7, v77, vcc_lo
	v_add_co_u32 v21, vcc_lo, v76, s4
	v_add_co_ci_u32_e32 v22, vcc_lo, s5, v77, vcc_lo
	s_clause 0x7
	global_load_b128 v[1:4], v[5:6], off
	global_load_b128 v[5:8], v[5:6], off offset:16
	global_load_b128 v[33:36], v[17:18], off
	global_load_b128 v[37:40], v[17:18], off offset:16
	;; [unrolled: 2-line block ×4, first 2 shown]
	v_and_b32_e32 v76, 0xe0, v0
	v_mbcnt_lo_u32_b32 v77, -1, 0
	v_wmma_f32_16x16x16_bf16 v[110:117], v[86:93], v[118:125], v[110:117]
	s_waitcnt vmcnt(0)
	s_barrier
	v_add_nc_u32_e32 v76, s16, v76
	v_xor_b32_e32 v78, 16, v77
	v_wmma_f32_16x16x16_bf16 v[110:117], v[102:109], v[126:133], v[110:117]
	v_mul_f32_e32 v97, s19, v134
	buffer_gl0_inv
	v_or_b32_e32 v76, v76, v83
	v_cmp_gt_i32_e32 vcc_lo, 32, v78
	s_delay_alu instid0(VALU_DEP_2)
	v_or_b32_e32 v79, 4, v76
	v_cndmask_b32_e32 v77, v77, v78, vcc_lo
	v_or_b32_e32 v78, 2, v76
	v_or_b32_e32 v80, 6, v76
	v_cmp_gt_i32_e32 vcc_lo, s18, v76
	v_or_b32_e32 v86, 8, v76
	v_or_b32_e32 v87, 10, v76
	v_cmp_gt_i32_e64 s3, s18, v78
	v_or_b32_e32 v88, 12, v76
	v_or_b32_e32 v89, 14, v76
	v_or_b32_e32 v90, 16, v76
	v_or_b32_e32 v91, 18, v76
	v_or_b32_e32 v92, 20, v76
	v_or_b32_e32 v93, 22, v76
	v_or_b32_e32 v94, 24, v76
	v_or_b32_e32 v95, 26, v76
	v_or_b32_e32 v96, 28, v76
	v_or_b32_e32 v98, 30, v76
	v_cndmask_b32_e32 v76, 0xff7fffff, v97, vcc_lo
	v_cndmask_b32_e64 v78, 0xff7fffff, v99, s3
	v_mul_f32_e32 v99, s19, v137
	v_cmp_gt_i32_e64 s4, s18, v80
	v_mul_f32_e32 v80, s19, v136
	v_cmp_gt_i32_e64 s5, s18, v79
	v_max3_f32 v76, v76, 0xff7fffff, v78
	v_dual_mul_f32 v78, s19, v138 :: v_dual_mul_f32 v79, s19, v139
	v_cndmask_b32_e64 v99, 0xff7fffff, v99, s4
	s_delay_alu instid0(VALU_DEP_4)
	v_cndmask_b32_e64 v80, 0xff7fffff, v80, s5
	v_cmp_gt_i32_e64 s6, s18, v86
	v_cmp_gt_i32_e64 s7, s18, v87
	v_mul_f32_e32 v97, s19, v140
	v_cmp_gt_i32_e64 s8, s18, v89
	v_max3_f32 v76, v76, v80, v99
	v_cndmask_b32_e64 v78, 0xff7fffff, v78, s6
	v_cndmask_b32_e64 v79, 0xff7fffff, v79, s7
	v_cmp_gt_i32_e64 s9, s18, v88
	v_dual_mul_f32 v88, s19, v111 :: v_dual_mul_f32 v89, s19, v110
	v_cndmask_b32_e64 v100, 0xff7fffff, v100, s8
	s_delay_alu instid0(VALU_DEP_4) | instskip(NEXT) | instid1(VALU_DEP_4)
	v_max3_f32 v76, v76, v78, v79
	v_cndmask_b32_e64 v97, 0xff7fffff, v97, s9
	v_cmp_gt_i32_e64 s10, s18, v90
	v_cmp_gt_i32_e64 s11, s18, v91
	v_dual_mul_f32 v78, s19, v113 :: v_dual_mul_f32 v79, s19, v112
	s_delay_alu instid0(VALU_DEP_4) | instskip(NEXT) | instid1(VALU_DEP_4)
	v_max3_f32 v76, v76, v97, v100
	v_cndmask_b32_e64 v89, 0xff7fffff, v89, s10
	s_delay_alu instid0(VALU_DEP_4)
	v_cndmask_b32_e64 v88, 0xff7fffff, v88, s11
	v_cmp_gt_i32_e64 s12, s18, v92
	v_cmp_gt_i32_e64 s13, s18, v93
	v_mul_f32_e32 v87, s19, v115
	v_mul_f32_e32 v99, s19, v114
	v_max3_f32 v76, v76, v89, v88
	v_cndmask_b32_e64 v79, 0xff7fffff, v79, s12
	v_cndmask_b32_e64 v78, 0xff7fffff, v78, s13
	v_cmp_gt_i32_e64 s15, s18, v94
	v_cmp_gt_i32_e64 s16, s18, v95
	v_mul_f32_e32 v80, s19, v117
	v_mul_f32_e32 v86, s19, v116
	v_max3_f32 v76, v76, v79, v78
	v_cndmask_b32_e64 v88, 0xff7fffff, v99, s15
	v_cndmask_b32_e64 v87, 0xff7fffff, v87, s16
	v_cmp_gt_i32_e64 s17, s18, v96
	v_cmp_gt_i32_e64 s18, s18, v98
	v_lshlrev_b32_e32 v99, 2, v77
	s_delay_alu instid0(VALU_DEP_4) | instskip(NEXT) | instid1(VALU_DEP_4)
	v_max3_f32 v76, v76, v88, v87
	v_cndmask_b32_e64 v78, 0xff7fffff, v86, s17
	s_delay_alu instid0(VALU_DEP_4) | instskip(NEXT) | instid1(VALU_DEP_1)
	v_cndmask_b32_e64 v79, 0xff7fffff, v80, s18
	v_max3_f32 v76, v76, v78, v79
	ds_bpermute_b32 v77, v99, v76
	s_waitcnt lgkmcnt(0)
	v_max_f32_e32 v77, v77, v77
	s_delay_alu instid0(VALU_DEP_1) | instskip(NEXT) | instid1(VALU_DEP_1)
	v_max_f32_e32 v76, v76, v77
	v_fma_f32 v77, s19, v134, -v76
	v_fma_f32 v78, s19, v135, -v76
	;; [unrolled: 1-line block ×5, first 2 shown]
	s_delay_alu instid0(VALU_DEP_4) | instskip(SKIP_1) | instid1(VALU_DEP_4)
	v_dual_mul_f32 v77, 0x3fb8aa3b, v77 :: v_dual_mul_f32 v78, 0x3fb8aa3b, v78
	v_fma_f32 v88, s19, v114, -v76
	v_dual_mul_f32 v79, 0x3fb8aa3b, v79 :: v_dual_mul_f32 v80, 0x3fb8aa3b, v80
	s_delay_alu instid0(VALU_DEP_3) | instskip(NEXT) | instid1(VALU_DEP_3)
	v_exp_f32_e32 v77, v77
	v_exp_f32_e32 v78, v78
	s_delay_alu instid0(VALU_DEP_2) | instskip(NEXT) | instid1(VALU_DEP_2)
	v_mul_f32_e32 v88, 0x3fb8aa3b, v88
	v_exp_f32_e32 v79, v79
	v_mul_f32_e32 v86, 0x3fb8aa3b, v86
	v_exp_f32_e32 v80, v80
	v_fma_f32 v87, s19, v140, -v76
	v_fma_f32 v100, s19, v117, -v76
	;; [unrolled: 1-line block ×3, first 2 shown]
	v_exp_f32_e32 v86, v86
	v_cndmask_b32_e32 v92, 0, v77, vcc_lo
	v_fma_f32 v77, s19, v139, -v76
	v_cndmask_b32_e64 v91, 0, v78, s3
	v_cndmask_b32_e64 v93, 0, v79, s5
	v_fma_f32 v79, s19, v141, -v76
	s_delay_alu instid0(VALU_DEP_4) | instskip(SKIP_2) | instid1(TRANS32_DEP_1)
	v_dual_add_f32 v78, 0, v92 :: v_dual_mul_f32 v77, 0x3fb8aa3b, v77
	v_cndmask_b32_e64 v95, 0, v80, s4
	v_mul_f32_e32 v87, 0x3fb8aa3b, v87
	v_cndmask_b32_e64 v96, 0, v86, s6
	s_delay_alu instid0(VALU_DEP_4)
	v_add_f32_e32 v78, v78, v91
	v_exp_f32_e32 v77, v77
	v_fma_f32 v86, s19, v111, -v76
	v_fma_f32 v80, s19, v110, -v76
	v_exp_f32_e32 v87, v87
	v_add_f32_e32 v78, v78, v93
	v_mul_f32_e32 v100, 0x3fb8aa3b, v100
	v_mul_f32_e32 v86, 0x3fb8aa3b, v86
	;; [unrolled: 1-line block ×3, first 2 shown]
	v_exp_f32_e32 v88, v88
	v_add_f32_e32 v78, v78, v95
	v_cndmask_b32_e64 v97, 0, v77, s7
	v_exp_f32_e32 v86, v86
	v_exp_f32_e32 v80, v80
	v_cndmask_b32_e64 v94, 0, v87, s9
	v_add_f32_e32 v77, v78, v96
	v_fma_f32 v78, s19, v112, -v76
	v_fma_f32 v87, s19, v113, -v76
	v_exp_f32_e32 v100, v100
	v_cmp_gt_u32_e64 s3, 16, v75
	s_delay_alu instid0(VALU_DEP_3) | instskip(NEXT) | instid1(VALU_DEP_3)
	v_dual_add_f32 v77, v77, v97 :: v_dual_mul_f32 v78, 0x3fb8aa3b, v78
	v_mul_f32_e32 v87, 0x3fb8aa3b, v87
	s_delay_alu instid0(VALU_DEP_2) | instskip(SKIP_2) | instid1(VALU_DEP_3)
	v_exp_f32_e32 v89, v78
	v_cndmask_b32_e64 v78, 0, v86, s11
	v_mul_f32_e32 v79, 0x3fb8aa3b, v79
	v_exp_f32_e32 v87, v87
	s_delay_alu instid0(VALU_DEP_1)
	v_exp_f32_e32 v79, v79
	s_waitcnt_depctr 0xfff
	v_cndmask_b32_e64 v98, 0, v79, s8
	v_add_f32_e32 v79, v77, v94
	v_cndmask_b32_e64 v77, 0, v80, s10
	v_fma_f32 v80, s19, v115, -v76
	s_delay_alu instid0(VALU_DEP_1) | instskip(NEXT) | instid1(VALU_DEP_1)
	v_dual_add_f32 v79, v79, v98 :: v_dual_mul_f32 v80, 0x3fb8aa3b, v80
	v_add_f32_e32 v86, v79, v77
	v_cndmask_b32_e64 v79, 0, v89, s12
	v_mul_f32_e32 v89, 0x3fb8aa3b, v90
	s_delay_alu instid0(VALU_DEP_4) | instskip(SKIP_2) | instid1(VALU_DEP_3)
	v_exp_f32_e32 v90, v80
	v_cndmask_b32_e64 v80, 0, v87, s13
	v_add_f32_e32 v86, v86, v78
	v_exp_f32_e32 v89, v89
	s_delay_alu instid0(VALU_DEP_1) | instskip(SKIP_1) | instid1(VALU_DEP_2)
	v_add_f32_e32 v87, v86, v79
	v_cndmask_b32_e64 v86, 0, v88, s15
	v_add_f32_e32 v88, v87, v80
	s_delay_alu instid0(TRANS32_DEP_2) | instskip(NEXT) | instid1(VALU_DEP_2)
	v_cndmask_b32_e64 v87, 0, v90, s16
	v_add_f32_e32 v90, v88, v86
	s_waitcnt_depctr 0xfff
	v_cndmask_b32_e64 v88, 0, v89, s17
	v_add_f32_e32 v89, v90, v87
	s_delay_alu instid0(VALU_DEP_1) | instskip(SKIP_1) | instid1(VALU_DEP_1)
	v_add_f32_e32 v90, v89, v88
	v_cndmask_b32_e64 v89, 0, v100, s18
	v_add_f32_e32 v90, v90, v89
	ds_bpermute_b32 v99, v99, v90
	s_and_saveexec_b32 s4, s3
	s_cbranch_execz .LBB506_14
; %bb.13:
	v_mul_u32_u24_e32 v75, 0x44, v74
	s_waitcnt lgkmcnt(0)
	v_add_f32_e32 v90, v90, v99
	s_delay_alu instid0(VALU_DEP_2) | instskip(NEXT) | instid1(VALU_DEP_1)
	v_lshl_add_u32 v75, v73, 2, v75
	v_add_nc_u32_e32 v75, 0x4000, v75
	ds_store_2addr_b32 v75, v76, v90 offset1:136
.LBB506_14:
	s_or_b32 exec_lo, exec_lo, s4
	v_lshlrev_b32_e32 v75, 2, v73
	s_waitcnt lgkmcnt(0)
	s_barrier
	buffer_gl0_inv
	v_cmp_eq_u32_e64 s4, 1, v74
	v_add_nc_u32_e32 v90, 0x4000, v75
	ds_load_2addr_b32 v[99:100], v90 offset1:17
	ds_load_2addr_b32 v[101:102], v90 offset0:34 offset1:51
	ds_load_2addr_b32 v[103:104], v90 offset0:68 offset1:85
	;; [unrolled: 1-line block ×4, first 2 shown]
	s_waitcnt lgkmcnt(4)
	v_max3_f32 v75, v99, 0xff7fffff, v100
	s_waitcnt lgkmcnt(3)
	s_delay_alu instid0(VALU_DEP_1) | instskip(SKIP_1) | instid1(VALU_DEP_1)
	v_max3_f32 v75, v75, v101, v102
	s_waitcnt lgkmcnt(2)
	v_max3_f32 v75, v75, v103, v104
	s_waitcnt lgkmcnt(1)
	s_delay_alu instid0(VALU_DEP_1) | instskip(NEXT) | instid1(VALU_DEP_1)
	v_max3_f32 v75, v75, v105, v106
	v_sub_f32_e32 v109, v100, v75
	v_sub_f32_e32 v76, v99, v75
	ds_load_2addr_b32 v[99:100], v90 offset0:170 offset1:187
	v_sub_f32_e32 v101, v101, v75
	v_dual_mul_f32 v109, 0x3fb8aa3b, v109 :: v_dual_mul_f32 v76, 0x3fb8aa3b, v76
	s_delay_alu instid0(VALU_DEP_2) | instskip(NEXT) | instid1(VALU_DEP_2)
	v_mul_f32_e32 v111, 0x3fb8aa3b, v101
	v_exp_f32_e32 v109, v109
	s_delay_alu instid0(VALU_DEP_2)
	v_exp_f32_e32 v110, v76
	v_sub_f32_e32 v76, v102, v75
	ds_load_2addr_b32 v[101:102], v90 offset0:204 offset1:221
	v_exp_f32_e32 v111, v111
	v_mul_f32_e32 v112, 0x3fb8aa3b, v76
	s_waitcnt lgkmcnt(2)
	v_fma_f32 v76, v110, v107, 0
	v_sub_f32_e32 v103, v103, v75
	s_delay_alu instid0(VALU_DEP_3) | instskip(NEXT) | instid1(VALU_DEP_2)
	v_exp_f32_e32 v112, v112
	v_dual_sub_f32 v107, v104, v75 :: v_dual_fmac_f32 v76, v109, v108
	s_waitcnt lgkmcnt(1)
	s_waitcnt_depctr 0xfff
	v_fmac_f32_e32 v76, v111, v99
	v_mul_f32_e32 v113, 0x3fb8aa3b, v103
	ds_load_2addr_b32 v[103:104], v90 offset0:238 offset1:255
	v_sub_f32_e32 v90, v105, v75
	v_dual_sub_f32 v99, v106, v75 :: v_dual_fmac_f32 v76, v112, v100
	v_mul_f32_e32 v105, 0x3fb8aa3b, v107
	v_exp_f32_e32 v107, v113
	s_delay_alu instid0(VALU_DEP_2)
	v_dual_mul_f32 v90, 0x3fb8aa3b, v90 :: v_dual_mul_f32 v99, 0x3fb8aa3b, v99
	s_waitcnt lgkmcnt(0)
	s_barrier
	buffer_gl0_inv
	v_exp_f32_e32 v90, v90
	v_exp_f32_e32 v99, v99
	v_fmac_f32_e32 v76, v107, v101
	v_exp_f32_e32 v105, v105
	s_waitcnt_depctr 0xfff
	v_fmac_f32_e32 v76, v105, v102
	s_delay_alu instid0(VALU_DEP_1) | instskip(NEXT) | instid1(VALU_DEP_1)
	v_fmac_f32_e32 v76, v90, v103
	v_fmac_f32_e32 v76, v99, v104
	s_delay_alu instid0(VALU_DEP_1) | instskip(NEXT) | instid1(VALU_DEP_1)
	v_add_f32_e32 v100, 0x358637bd, v76
	v_div_scale_f32 v101, null, v100, v100, 1.0
	v_div_scale_f32 v104, vcc_lo, 1.0, v100, 1.0
	s_delay_alu instid0(VALU_DEP_2) | instskip(SKIP_2) | instid1(VALU_DEP_1)
	v_rcp_f32_e32 v102, v101
	s_waitcnt_depctr 0xfff
	v_fma_f32 v103, -v101, v102, 1.0
	v_fmac_f32_e32 v102, v103, v102
	v_cndmask_b32_e64 v103, v110, v109, s4
	v_cmp_eq_u32_e64 s4, 2, v74
	s_delay_alu instid0(VALU_DEP_3) | instskip(NEXT) | instid1(VALU_DEP_2)
	v_mul_f32_e32 v106, v104, v102
	v_cndmask_b32_e64 v103, v103, v111, s4
	v_cmp_eq_u32_e64 s4, 3, v74
	s_delay_alu instid0(VALU_DEP_3) | instskip(NEXT) | instid1(VALU_DEP_2)
	v_fma_f32 v108, -v101, v106, v104
	v_cndmask_b32_e64 v103, v103, v112, s4
	v_cmp_eq_u32_e64 s4, 4, v74
	s_delay_alu instid0(VALU_DEP_3) | instskip(NEXT) | instid1(VALU_DEP_2)
	v_fmac_f32_e32 v106, v108, v102
	v_cndmask_b32_e64 v103, v103, v107, s4
	s_delay_alu instid0(VALU_DEP_2) | instskip(SKIP_1) | instid1(VALU_DEP_2)
	v_fma_f32 v101, -v101, v106, v104
	v_cmp_eq_u32_e64 s4, 5, v74
	v_div_fmas_f32 v101, v101, v102, v106
	s_delay_alu instid0(VALU_DEP_2) | instskip(SKIP_2) | instid1(VALU_DEP_3)
	v_cndmask_b32_e64 v103, v103, v105, s4
	v_cmp_eq_u32_e32 vcc_lo, 6, v74
	s_mov_b32 s4, exec_lo
	v_div_fixup_f32 v100, v101, v100, 1.0
	s_delay_alu instid0(VALU_DEP_3) | instskip(SKIP_1) | instid1(VALU_DEP_2)
	v_cndmask_b32_e32 v90, v103, v90, vcc_lo
	v_cmp_eq_u32_e32 vcc_lo, 7, v74
	v_cndmask_b32_e32 v90, v90, v99, vcc_lo
	s_delay_alu instid0(VALU_DEP_1) | instskip(NEXT) | instid1(VALU_DEP_1)
	v_mul_f32_e32 v90, v90, v100
	v_mul_f32_e32 v100, v90, v92
	;; [unrolled: 1-line block ×6, first 2 shown]
	v_and_b32_e32 v101, 0x7f800000, v100
	v_mul_f32_e32 v99, v90, v95
	v_mul_f32_e32 v95, v90, v91
	;; [unrolled: 1-line block ×3, first 2 shown]
                                        ; implicit-def: $vgpr91
	s_delay_alu instid0(VALU_DEP_4)
	v_cmpx_ne_u32_e32 0x7f800000, v101
	s_xor_b32 s4, exec_lo, s4
; %bb.15:
	v_bfe_u32 v91, v100, 16, 1
	s_delay_alu instid0(VALU_DEP_1)
	v_add3_u32 v91, v100, v91, 0x7fff
                                        ; implicit-def: $vgpr100
; %bb.16:
	s_and_not1_saveexec_b32 s4, s4
; %bb.17:
	v_and_b32_e32 v91, 0xffff, v100
	v_or_b32_e32 v93, 0x10000, v100
	s_delay_alu instid0(VALU_DEP_2) | instskip(NEXT) | instid1(VALU_DEP_2)
	v_cmp_eq_u32_e32 vcc_lo, 0, v91
	v_cndmask_b32_e32 v91, v93, v100, vcc_lo
; %bb.18:
	s_or_b32 exec_lo, exec_lo, s4
	v_and_b32_e32 v93, 0x7f800000, v95
	s_delay_alu instid0(VALU_DEP_1) | instskip(SKIP_1) | instid1(SALU_CYCLE_1)
	v_cmp_ne_u32_e32 vcc_lo, 0x7f800000, v93
                                        ; implicit-def: $vgpr93
	s_and_saveexec_b32 s4, vcc_lo
	s_xor_b32 s4, exec_lo, s4
; %bb.19:
	v_bfe_u32 v93, v95, 16, 1
	s_delay_alu instid0(VALU_DEP_1)
	v_add3_u32 v93, v95, v93, 0x7fff
                                        ; implicit-def: $vgpr95
; %bb.20:
	s_and_not1_saveexec_b32 s4, s4
; %bb.21:
	v_and_b32_e32 v93, 0xffff, v95
	v_or_b32_e32 v100, 0x10000, v95
	s_delay_alu instid0(VALU_DEP_2) | instskip(NEXT) | instid1(VALU_DEP_2)
	v_cmp_eq_u32_e32 vcc_lo, 0, v93
	v_cndmask_b32_e32 v93, v100, v95, vcc_lo
; %bb.22:
	s_or_b32 exec_lo, exec_lo, s4
	v_and_b32_e32 v95, 0x7f800000, v96
	s_delay_alu instid0(VALU_DEP_1) | instskip(SKIP_1) | instid1(SALU_CYCLE_1)
	v_cmp_ne_u32_e32 vcc_lo, 0x7f800000, v95
                                        ; implicit-def: $vgpr95
	s_and_saveexec_b32 s4, vcc_lo
	s_xor_b32 s4, exec_lo, s4
; %bb.23:
	v_bfe_u32 v95, v96, 16, 1
	s_delay_alu instid0(VALU_DEP_1)
	v_add3_u32 v95, v96, v95, 0x7fff
                                        ; implicit-def: $vgpr96
; %bb.24:
	s_and_not1_saveexec_b32 s4, s4
; %bb.25:
	v_and_b32_e32 v95, 0xffff, v96
	v_or_b32_e32 v100, 0x10000, v96
	s_delay_alu instid0(VALU_DEP_2) | instskip(NEXT) | instid1(VALU_DEP_2)
	v_cmp_eq_u32_e32 vcc_lo, 0, v95
	v_cndmask_b32_e32 v95, v100, v96, vcc_lo
; %bb.26:
	s_or_b32 exec_lo, exec_lo, s4
	v_and_b32_e32 v96, 0x7f800000, v99
	s_delay_alu instid0(VALU_DEP_1) | instskip(SKIP_1) | instid1(SALU_CYCLE_1)
	v_cmp_ne_u32_e32 vcc_lo, 0x7f800000, v96
                                        ; implicit-def: $vgpr96
	s_and_saveexec_b32 s4, vcc_lo
	s_xor_b32 s4, exec_lo, s4
; %bb.27:
	v_bfe_u32 v96, v99, 16, 1
	s_delay_alu instid0(VALU_DEP_1)
	v_add3_u32 v96, v99, v96, 0x7fff
                                        ; implicit-def: $vgpr99
; %bb.28:
	s_and_not1_saveexec_b32 s4, s4
; %bb.29:
	v_and_b32_e32 v96, 0xffff, v99
	v_or_b32_e32 v100, 0x10000, v99
	s_delay_alu instid0(VALU_DEP_2) | instskip(NEXT) | instid1(VALU_DEP_2)
	v_cmp_eq_u32_e32 vcc_lo, 0, v96
	v_cndmask_b32_e32 v96, v100, v99, vcc_lo
; %bb.30:
	s_or_b32 exec_lo, exec_lo, s4
	v_and_b32_e32 v99, 0x7f800000, v98
	s_delay_alu instid0(VALU_DEP_1) | instskip(SKIP_1) | instid1(SALU_CYCLE_1)
	v_cmp_ne_u32_e32 vcc_lo, 0x7f800000, v99
                                        ; implicit-def: $vgpr99
	s_and_saveexec_b32 s4, vcc_lo
	s_xor_b32 s4, exec_lo, s4
; %bb.31:
	v_bfe_u32 v99, v98, 16, 1
	s_delay_alu instid0(VALU_DEP_1)
	v_add3_u32 v99, v98, v99, 0x7fff
                                        ; implicit-def: $vgpr98
; %bb.32:
	s_and_not1_saveexec_b32 s4, s4
; %bb.33:
	v_and_b32_e32 v99, 0xffff, v98
	v_or_b32_e32 v100, 0x10000, v98
	s_delay_alu instid0(VALU_DEP_2) | instskip(NEXT) | instid1(VALU_DEP_2)
	v_cmp_eq_u32_e32 vcc_lo, 0, v99
	v_cndmask_b32_e32 v99, v100, v98, vcc_lo
; %bb.34:
	s_or_b32 exec_lo, exec_lo, s4
	v_and_b32_e32 v98, 0x7f800000, v97
	s_delay_alu instid0(VALU_DEP_1) | instskip(SKIP_1) | instid1(SALU_CYCLE_1)
	v_cmp_ne_u32_e32 vcc_lo, 0x7f800000, v98
                                        ; implicit-def: $vgpr98
	s_and_saveexec_b32 s4, vcc_lo
	s_xor_b32 s4, exec_lo, s4
; %bb.35:
	v_bfe_u32 v98, v97, 16, 1
	s_delay_alu instid0(VALU_DEP_1)
	v_add3_u32 v98, v97, v98, 0x7fff
                                        ; implicit-def: $vgpr97
; %bb.36:
	s_and_not1_saveexec_b32 s4, s4
; %bb.37:
	v_and_b32_e32 v98, 0xffff, v97
	v_or_b32_e32 v100, 0x10000, v97
	s_delay_alu instid0(VALU_DEP_2) | instskip(NEXT) | instid1(VALU_DEP_2)
	v_cmp_eq_u32_e32 vcc_lo, 0, v98
	v_cndmask_b32_e32 v98, v100, v97, vcc_lo
; %bb.38:
	s_or_b32 exec_lo, exec_lo, s4
	v_and_b32_e32 v97, 0x7f800000, v94
	s_delay_alu instid0(VALU_DEP_1) | instskip(SKIP_1) | instid1(SALU_CYCLE_1)
	v_cmp_ne_u32_e32 vcc_lo, 0x7f800000, v97
                                        ; implicit-def: $vgpr97
	s_and_saveexec_b32 s4, vcc_lo
	s_xor_b32 s4, exec_lo, s4
; %bb.39:
	v_bfe_u32 v97, v94, 16, 1
	s_delay_alu instid0(VALU_DEP_1)
	v_add3_u32 v97, v94, v97, 0x7fff
                                        ; implicit-def: $vgpr94
; %bb.40:
	s_and_not1_saveexec_b32 s4, s4
; %bb.41:
	v_and_b32_e32 v97, 0xffff, v94
	v_or_b32_e32 v100, 0x10000, v94
	s_delay_alu instid0(VALU_DEP_2) | instskip(NEXT) | instid1(VALU_DEP_2)
	v_cmp_eq_u32_e32 vcc_lo, 0, v97
	v_cndmask_b32_e32 v97, v100, v94, vcc_lo
; %bb.42:
	s_or_b32 exec_lo, exec_lo, s4
	v_and_b32_e32 v94, 0x7f800000, v92
	s_delay_alu instid0(VALU_DEP_1) | instskip(SKIP_1) | instid1(SALU_CYCLE_1)
	v_cmp_ne_u32_e32 vcc_lo, 0x7f800000, v94
                                        ; implicit-def: $vgpr94
	s_and_saveexec_b32 s4, vcc_lo
	s_xor_b32 s4, exec_lo, s4
; %bb.43:
	v_bfe_u32 v94, v92, 16, 1
	s_delay_alu instid0(VALU_DEP_1)
	v_add3_u32 v94, v92, v94, 0x7fff
                                        ; implicit-def: $vgpr92
; %bb.44:
	s_and_not1_saveexec_b32 s4, s4
; %bb.45:
	v_and_b32_e32 v94, 0xffff, v92
	v_or_b32_e32 v100, 0x10000, v92
	s_delay_alu instid0(VALU_DEP_2) | instskip(NEXT) | instid1(VALU_DEP_2)
	v_cmp_eq_u32_e32 vcc_lo, 0, v94
	v_cndmask_b32_e32 v94, v100, v92, vcc_lo
; %bb.46:
	s_or_b32 exec_lo, exec_lo, s4
	s_load_b64 s[36:37], s[0:1], 0x94
	v_lshlrev_b32_e32 v92, 4, v83
	s_delay_alu instid0(VALU_DEP_2)
	v_perm_b32 v100, v94, v97, 0x7060302
	v_dual_mul_f32 v89, v90, v89 :: v_dual_lshlrev_b32 v94, 11, v74
	v_perm_b32 v97, v93, v91, 0x7060302
	v_mul_f32_e32 v93, v90, v77
	v_perm_b32 v99, v98, v99, 0x7060302
	v_perm_b32 v98, v96, v95, 0x7060302
	v_or3_b32 v77, v92, v94, v85
	v_mul_f32_e32 v88, v90, v88
	v_dual_mul_f32 v87, v90, v87 :: v_dual_and_b32 v94, 0x7f800000, v93
	v_mul_f32_e32 v86, v90, v86
	v_mul_f32_e32 v91, v90, v80
	;; [unrolled: 1-line block ×4, first 2 shown]
	s_mov_b32 s4, exec_lo
	ds_store_b128 v77, v[97:100]
                                        ; implicit-def: $vgpr78
	v_cmpx_ne_u32_e32 0x7f800000, v94
	s_xor_b32 s4, exec_lo, s4
; %bb.47:
	v_bfe_u32 v78, v93, 16, 1
	s_delay_alu instid0(VALU_DEP_1)
	v_add3_u32 v78, v93, v78, 0x7fff
                                        ; implicit-def: $vgpr93
; %bb.48:
	s_and_not1_saveexec_b32 s4, s4
; %bb.49:
	v_and_b32_e32 v78, 0xffff, v93
	v_or_b32_e32 v79, 0x10000, v93
	s_delay_alu instid0(VALU_DEP_2) | instskip(NEXT) | instid1(VALU_DEP_2)
	v_cmp_eq_u32_e32 vcc_lo, 0, v78
	v_cndmask_b32_e32 v78, v79, v93, vcc_lo
; %bb.50:
	s_or_b32 exec_lo, exec_lo, s4
	v_and_b32_e32 v79, 0x7f800000, v80
	s_delay_alu instid0(VALU_DEP_1) | instskip(SKIP_1) | instid1(SALU_CYCLE_1)
	v_cmp_ne_u32_e32 vcc_lo, 0x7f800000, v79
                                        ; implicit-def: $vgpr79
	s_and_saveexec_b32 s4, vcc_lo
	s_xor_b32 s4, exec_lo, s4
; %bb.51:
	v_bfe_u32 v79, v80, 16, 1
	s_delay_alu instid0(VALU_DEP_1)
	v_add3_u32 v79, v80, v79, 0x7fff
                                        ; implicit-def: $vgpr80
; %bb.52:
	s_and_not1_saveexec_b32 s4, s4
; %bb.53:
	v_and_b32_e32 v79, 0xffff, v80
	v_or_b32_e32 v90, 0x10000, v80
	s_delay_alu instid0(VALU_DEP_2) | instskip(NEXT) | instid1(VALU_DEP_2)
	v_cmp_eq_u32_e32 vcc_lo, 0, v79
	v_cndmask_b32_e32 v79, v90, v80, vcc_lo
; %bb.54:
	s_or_b32 exec_lo, exec_lo, s4
	v_and_b32_e32 v80, 0x7f800000, v92
	s_delay_alu instid0(VALU_DEP_1) | instskip(SKIP_1) | instid1(SALU_CYCLE_1)
	v_cmp_ne_u32_e32 vcc_lo, 0x7f800000, v80
                                        ; implicit-def: $vgpr80
	s_and_saveexec_b32 s4, vcc_lo
	s_xor_b32 s4, exec_lo, s4
; %bb.55:
	v_bfe_u32 v80, v92, 16, 1
	s_delay_alu instid0(VALU_DEP_1)
	v_add3_u32 v80, v92, v80, 0x7fff
                                        ; implicit-def: $vgpr92
; %bb.56:
	s_and_not1_saveexec_b32 s4, s4
; %bb.57:
	v_and_b32_e32 v80, 0xffff, v92
	v_or_b32_e32 v90, 0x10000, v92
	s_delay_alu instid0(VALU_DEP_2) | instskip(NEXT) | instid1(VALU_DEP_2)
	v_cmp_eq_u32_e32 vcc_lo, 0, v80
	v_cndmask_b32_e32 v80, v90, v92, vcc_lo
; %bb.58:
	s_or_b32 exec_lo, exec_lo, s4
	v_and_b32_e32 v90, 0x7f800000, v91
	s_delay_alu instid0(VALU_DEP_1) | instskip(SKIP_1) | instid1(SALU_CYCLE_1)
	v_cmp_ne_u32_e32 vcc_lo, 0x7f800000, v90
                                        ; implicit-def: $vgpr90
	s_and_saveexec_b32 s4, vcc_lo
	s_xor_b32 s4, exec_lo, s4
; %bb.59:
	v_bfe_u32 v90, v91, 16, 1
	s_delay_alu instid0(VALU_DEP_1)
	v_add3_u32 v90, v91, v90, 0x7fff
                                        ; implicit-def: $vgpr91
; %bb.60:
	s_and_not1_saveexec_b32 s4, s4
; %bb.61:
	v_and_b32_e32 v90, 0xffff, v91
	v_or_b32_e32 v92, 0x10000, v91
	s_delay_alu instid0(VALU_DEP_2) | instskip(NEXT) | instid1(VALU_DEP_2)
	v_cmp_eq_u32_e32 vcc_lo, 0, v90
	v_cndmask_b32_e32 v90, v92, v91, vcc_lo
; %bb.62:
	s_or_b32 exec_lo, exec_lo, s4
	v_and_b32_e32 v91, 0x7f800000, v86
	s_delay_alu instid0(VALU_DEP_1) | instskip(SKIP_1) | instid1(SALU_CYCLE_1)
	v_cmp_ne_u32_e32 vcc_lo, 0x7f800000, v91
                                        ; implicit-def: $vgpr91
	s_and_saveexec_b32 s4, vcc_lo
	s_xor_b32 s4, exec_lo, s4
; %bb.63:
	v_bfe_u32 v91, v86, 16, 1
	s_delay_alu instid0(VALU_DEP_1)
	v_add3_u32 v91, v86, v91, 0x7fff
                                        ; implicit-def: $vgpr86
; %bb.64:
	s_and_not1_saveexec_b32 s4, s4
; %bb.65:
	v_and_b32_e32 v91, 0xffff, v86
	v_or_b32_e32 v92, 0x10000, v86
	s_delay_alu instid0(VALU_DEP_2) | instskip(NEXT) | instid1(VALU_DEP_2)
	v_cmp_eq_u32_e32 vcc_lo, 0, v91
	v_cndmask_b32_e32 v91, v92, v86, vcc_lo
; %bb.66:
	s_or_b32 exec_lo, exec_lo, s4
	v_and_b32_e32 v86, 0x7f800000, v87
	s_delay_alu instid0(VALU_DEP_1) | instskip(SKIP_1) | instid1(SALU_CYCLE_1)
	v_cmp_ne_u32_e32 vcc_lo, 0x7f800000, v86
                                        ; implicit-def: $vgpr86
	s_and_saveexec_b32 s4, vcc_lo
	s_xor_b32 s4, exec_lo, s4
; %bb.67:
	v_bfe_u32 v86, v87, 16, 1
	s_delay_alu instid0(VALU_DEP_1)
	v_add3_u32 v86, v87, v86, 0x7fff
                                        ; implicit-def: $vgpr87
; %bb.68:
	s_and_not1_saveexec_b32 s4, s4
; %bb.69:
	v_and_b32_e32 v86, 0xffff, v87
	v_or_b32_e32 v92, 0x10000, v87
	s_delay_alu instid0(VALU_DEP_2) | instskip(NEXT) | instid1(VALU_DEP_2)
	v_cmp_eq_u32_e32 vcc_lo, 0, v86
	v_cndmask_b32_e32 v86, v92, v87, vcc_lo
; %bb.70:
	s_or_b32 exec_lo, exec_lo, s4
	v_and_b32_e32 v87, 0x7f800000, v88
	s_delay_alu instid0(VALU_DEP_1) | instskip(SKIP_1) | instid1(SALU_CYCLE_1)
	v_cmp_ne_u32_e32 vcc_lo, 0x7f800000, v87
                                        ; implicit-def: $vgpr87
	s_and_saveexec_b32 s4, vcc_lo
	s_xor_b32 s4, exec_lo, s4
; %bb.71:
	v_bfe_u32 v87, v88, 16, 1
	s_delay_alu instid0(VALU_DEP_1)
	v_add3_u32 v87, v88, v87, 0x7fff
                                        ; implicit-def: $vgpr88
; %bb.72:
	s_and_not1_saveexec_b32 s4, s4
; %bb.73:
	v_and_b32_e32 v87, 0xffff, v88
	v_or_b32_e32 v92, 0x10000, v88
	s_delay_alu instid0(VALU_DEP_2) | instskip(NEXT) | instid1(VALU_DEP_2)
	v_cmp_eq_u32_e32 vcc_lo, 0, v87
	v_cndmask_b32_e32 v87, v92, v88, vcc_lo
; %bb.74:
	s_or_b32 exec_lo, exec_lo, s4
	v_and_b32_e32 v88, 0x7f800000, v89
	s_delay_alu instid0(VALU_DEP_1) | instskip(SKIP_1) | instid1(SALU_CYCLE_1)
	v_cmp_ne_u32_e32 vcc_lo, 0x7f800000, v88
                                        ; implicit-def: $vgpr88
	s_and_saveexec_b32 s4, vcc_lo
	s_xor_b32 s4, exec_lo, s4
; %bb.75:
	v_bfe_u32 v88, v89, 16, 1
	s_delay_alu instid0(VALU_DEP_1)
	v_add3_u32 v88, v89, v88, 0x7fff
                                        ; implicit-def: $vgpr89
; %bb.76:
	s_and_not1_saveexec_b32 s4, s4
; %bb.77:
	v_and_b32_e32 v88, 0xffff, v89
	v_or_b32_e32 v92, 0x10000, v89
	s_delay_alu instid0(VALU_DEP_2) | instskip(NEXT) | instid1(VALU_DEP_2)
	v_cmp_eq_u32_e32 vcc_lo, 0, v88
	v_cndmask_b32_e32 v88, v92, v89, vcc_lo
; %bb.78:
	s_or_b32 exec_lo, exec_lo, s4
	s_delay_alu instid0(VALU_DEP_1)
	v_perm_b32 v89, v88, v87, 0x7060302
	v_perm_b32 v88, v86, v91, 0x7060302
	;; [unrolled: 1-line block ×4, first 2 shown]
	v_lshl_or_b32 v90, v74, 11, v85
	ds_store_b128 v77, v[86:89] offset:1024
	s_waitcnt lgkmcnt(0)
	s_barrier
	buffer_gl0_inv
	ds_load_b128 v[91:94], v90
	ds_load_b128 v[95:98], v90 offset:16
	v_lshlrev_b32_e32 v87, 2, v83
	s_delay_alu instid0(VALU_DEP_1)
	v_or_b32_e32 v88, 1, v87
	v_cmp_eq_u32_e32 vcc_lo, 1, v87
	v_cmp_eq_u32_e64 s5, 2, v87
	v_cmp_eq_u32_e64 s8, 3, v87
	;; [unrolled: 1-line block ×6, first 2 shown]
	v_or_b32_e32 v86, 2, v87
	v_cmp_eq_u32_e64 s11, 5, v87
	v_cmp_eq_u32_e64 s12, 4, v88
	;; [unrolled: 1-line block ×4, first 2 shown]
	s_waitcnt lgkmcnt(1)
	v_lshrrev_b32_e32 v74, 16, v91
	s_waitcnt lgkmcnt(0)
	v_lshrrev_b32_e32 v103, 16, v95
	v_lshrrev_b32_e32 v80, 16, v94
	;; [unrolled: 1-line block ×4, first 2 shown]
	v_cndmask_b32_e32 v89, v91, v74, vcc_lo
	v_cndmask_b32_e32 v99, v95, v103, vcc_lo
	v_cndmask_b32_e64 v100, v91, v74, s4
	v_lshrrev_b32_e32 v79, 16, v93
	v_lshrrev_b32_e32 v108, 16, v97
	v_cndmask_b32_e64 v89, v89, v92, s5
	v_cndmask_b32_e64 v99, v99, v96, s5
	;; [unrolled: 1-line block ×4, first 2 shown]
	v_cmp_eq_u32_e64 s6, 1, v86
	v_cndmask_b32_e64 v89, v89, v78, s8
	v_cndmask_b32_e64 v99, v99, v107, s8
	;; [unrolled: 1-line block ×4, first 2 shown]
	v_lshrrev_b32_e32 v109, 16, v98
	v_cndmask_b32_e64 v89, v89, v93, s10
	v_cndmask_b32_e64 v99, v99, v97, s10
	;; [unrolled: 1-line block ×8, first 2 shown]
	v_cmp_eq_u32_e64 s16, 7, v87
	v_cmp_eq_u32_e64 s17, 6, v88
	v_cndmask_b32_e64 v89, v89, v94, s13
	v_cndmask_b32_e64 v99, v99, v98, s13
	v_cmp_eq_u32_e64 s18, 2, v86
	v_cndmask_b32_e64 v101, v101, v97, s12
	v_cndmask_b32_e64 v100, v100, v94, s17
	;; [unrolled: 1-line block ×6, first 2 shown]
	v_cmp_eq_u32_e64 s19, 7, v88
	v_cmp_eq_u32_e64 s20, 3, v86
	;; [unrolled: 1-line block ×4, first 2 shown]
	v_cndmask_b32_e64 v99, v99, v96, s18
	v_cndmask_b32_e64 v112, v100, v80, s19
	v_cndmask_b32_e64 v100, v101, v108, s15
	v_cndmask_b32_e64 v101, v89, v78, s20
	v_or_b32_e32 v89, 3, v87
	v_cndmask_b32_e64 v105, v99, v107, s20
	v_cmp_eq_u32_e64 s25, 6, v86
	v_cndmask_b32_e64 v113, v100, v98, s17
	v_cndmask_b32_e64 v104, v101, v93, s21
	ds_load_b128 v[99:102], v90 offset:1024
	v_cmp_eq_u32_e64 s22, 1, v89
	v_cmp_eq_u32_e64 s24, 2, v89
	;; [unrolled: 1-line block ×3, first 2 shown]
	v_cndmask_b32_e64 v114, v104, v79, s23
	v_cmp_eq_u32_e64 s27, 4, v89
	v_cndmask_b32_e64 v74, v91, v74, s22
	v_cndmask_b32_e64 v91, v105, v97, s21
	v_cndmask_b32_e64 v95, v95, v103, s22
	ds_load_b128 v[103:106], v90 offset:1040
	v_cmp_eq_u32_e64 s29, 5, v89
	v_cndmask_b32_e64 v74, v74, v92, s24
	v_cndmask_b32_e64 v91, v91, v108, s23
	;; [unrolled: 1-line block ×3, first 2 shown]
	v_cmp_eq_u32_e64 s30, 6, v89
	v_cndmask_b32_e64 v95, v113, v109, s19
	v_cndmask_b32_e64 v74, v74, v78, s26
	;; [unrolled: 1-line block ×5, first 2 shown]
	s_waitcnt lgkmcnt(1)
	v_lshrrev_b32_e32 v96, 16, v99
	v_cndmask_b32_e64 v74, v74, v93, s27
	v_lshrrev_b32_e32 v107, 16, v100
	v_cndmask_b32_e64 v92, v92, v97, s27
	v_cmp_eq_u32_e64 s28, 7, v86
	v_cndmask_b32_e32 v93, v99, v96, vcc_lo
	v_cndmask_b32_e64 v74, v74, v79, s29
	s_delay_alu instid0(VALU_DEP_4)
	v_cndmask_b32_e64 v79, v92, v108, s29
	s_waitcnt lgkmcnt(0)
	v_lshrrev_b32_e32 v97, 16, v103
	v_cndmask_b32_e64 v92, v93, v100, s5
	v_cndmask_b32_e64 v93, v99, v96, s4
	;; [unrolled: 1-line block ×4, first 2 shown]
	v_cndmask_b32_e32 v108, v103, v97, vcc_lo
	v_cndmask_b32_e64 v92, v92, v107, s8
	v_cndmask_b32_e64 v93, v93, v100, s7
	v_lshrrev_b32_e32 v98, 16, v104
	v_cmp_eq_u32_e32 vcc_lo, 7, v89
	v_cndmask_b32_e64 v94, v108, v104, s5
	v_cndmask_b32_e64 v92, v92, v101, s10
	v_lshrrev_b32_e32 v108, 16, v101
	v_cndmask_b32_e64 v93, v93, v107, s9
	v_cndmask_b32_e32 v74, v74, v80, vcc_lo
	v_cndmask_b32_e64 v94, v94, v98, s8
	v_cndmask_b32_e32 v79, v79, v109, vcc_lo
	v_cndmask_b32_e64 v92, v92, v108, s11
	v_cndmask_b32_e64 v78, v78, v80, s28
	v_cndmask_b32_e64 v80, v93, v101, s12
	v_cndmask_b32_e64 v93, v94, v105, s10
	v_perm_b32 v94, v79, v74, 0x5040100
	v_cndmask_b32_e64 v79, v92, v102, s13
	v_perm_b32 v92, v95, v112, 0x5040100
	v_cndmask_b32_e64 v95, v99, v96, s6
	v_cndmask_b32_e64 v96, v99, v96, s22
	;; [unrolled: 1-line block ×16, first 2 shown]
	v_lshrrev_b32_e32 v109, 16, v105
	v_cndmask_b32_e64 v95, v95, v101, s21
	v_cndmask_b32_e64 v96, v96, v101, s27
	;; [unrolled: 1-line block ×6, first 2 shown]
	v_lshrrev_b32_e32 v80, 16, v102
	v_cndmask_b32_e64 v113, v93, v109, s11
	v_cndmask_b32_e64 v95, v95, v108, s23
	;; [unrolled: 1-line block ×6, first 2 shown]
	v_perm_b32 v93, v91, v78, 0x5040100
	v_cndmask_b32_e64 v74, v74, v102, s17
	v_cndmask_b32_e64 v78, v79, v80, s16
	;; [unrolled: 1-line block ×3, first 2 shown]
	v_lshrrev_b32_e32 v91, 16, v106
	v_cndmask_b32_e64 v95, v95, v102, s25
	v_cndmask_b32_e64 v96, v96, v102, s30
	;; [unrolled: 1-line block ×7, first 2 shown]
	v_cndmask_b32_e32 v80, v96, v80, vcc_lo
	v_cndmask_b32_e32 v96, v98, v91, vcc_lo
	v_cndmask_b32_e64 v99, v99, v91, s28
	v_cndmask_b32_e64 v100, v97, v91, s19
	;; [unrolled: 1-line block ×3, first 2 shown]
	v_perm_b32 v91, v111, v110, 0x5040100
	v_perm_b32 v98, v96, v80, 0x5040100
	;; [unrolled: 1-line block ×5, first 2 shown]
	s_mul_i32 s9, s37, 9
	s_mov_b32 s4, exec_lo
	ds_store_b128 v77, v[91:94]
	ds_store_b128 v77, v[95:98] offset:1024
	v_cmpx_gt_u32_e32 9, v0
	s_cbranch_execz .LBB506_80
; %bb.79:
	s_mul_i32 s5, s9, s34
	s_load_b128 s[16:19], s[0:1], 0x58
	v_add3_u32 v77, s5, s31, v73
	s_delay_alu instid0(VALU_DEP_1) | instskip(NEXT) | instid1(VALU_DEP_1)
	v_mad_u64_u32 v[73:74], null, v77, s36, s[14:15]
	v_ashrrev_i32_e32 v74, 31, v73
	s_delay_alu instid0(VALU_DEP_1) | instskip(SKIP_1) | instid1(VALU_DEP_1)
	v_lshlrev_b64 v[73:74], 2, v[73:74]
	s_waitcnt lgkmcnt(0)
	v_add_co_u32 v77, vcc_lo, s18, v73
	s_delay_alu instid0(VALU_DEP_2)
	v_add_co_ci_u32_e32 v78, vcc_lo, s19, v74, vcc_lo
	v_add_co_u32 v73, vcc_lo, s16, v73
	v_add_co_ci_u32_e32 v74, vcc_lo, s17, v74, vcc_lo
	global_store_b32 v[77:78], v75, off
	global_store_b32 v[73:74], v76, off
.LBB506_80:
	s_or_b32 exec_lo, exec_lo, s4
	s_waitcnt lgkmcnt(0)
	s_waitcnt_vscnt null, 0x0
	s_barrier
	buffer_gl0_inv
	ds_load_b128 v[91:94], v85
	ds_load_b128 v[95:98], v85 offset:16
	ds_load_b128 v[103:106], v85 offset:1040
	;; [unrolled: 1-line block ×3, first 2 shown]
	v_mov_b32_e32 v73, 0
	ds_load_b128 v[111:114], v85 offset:2064
	ds_load_b128 v[107:110], v85 offset:2048
	;; [unrolled: 1-line block ×6, first 2 shown]
	v_mov_b32_e32 v74, v73
	v_mov_b32_e32 v75, v73
	;; [unrolled: 1-line block ×7, first 2 shown]
	s_waitcnt lgkmcnt(8)
	s_delay_alu instid0(VALU_DEP_1)
	v_wmma_f32_16x16x16_bf16 v[73:80], v[65:72], v[91:98], v[73:80]
	ds_load_b128 v[69:72], v85 offset:5136
	ds_load_b128 v[65:68], v85 offset:5120
	;; [unrolled: 1-line block ×4, first 2 shown]
	s_waitcnt lgkmcnt(10)
	v_wmma_f32_16x16x16_bf16 v[73:80], v[57:64], v[99:106], v[73:80]
	s_waitcnt lgkmcnt(8)
	s_delay_alu instid0(VALU_DEP_1)
	v_wmma_f32_16x16x16_bf16 v[73:80], v[57:64], v[107:114], v[73:80]
	ds_load_b128 v[61:64], v85 offset:7184
	ds_load_b128 v[57:60], v85 offset:7168
	ds_load_b128 v[103:106], v85 offset:8208
	ds_load_b128 v[99:102], v85 offset:8192
	s_waitcnt lgkmcnt(10)
	v_wmma_f32_16x16x16_bf16 v[73:80], v[49:56], v[115:122], v[73:80]
	s_waitcnt lgkmcnt(8)
	s_delay_alu instid0(VALU_DEP_1)
	v_wmma_f32_16x16x16_bf16 v[73:80], v[49:56], v[123:130], v[73:80]
	ds_load_b128 v[53:56], v85 offset:9232
	ds_load_b128 v[49:52], v85 offset:9216
	s_waitcnt lgkmcnt(8)
	v_wmma_f32_16x16x16_bf16 v[73:80], v[41:48], v[65:72], v[73:80]
	ds_load_b128 v[69:72], v85 offset:10256
	ds_load_b128 v[65:68], v85 offset:10240
	s_waitcnt lgkmcnt(8)
	;; [unrolled: 4-line block ×3, first 2 shown]
	v_wmma_f32_16x16x16_bf16 v[73:80], v[9:16], v[57:64], v[73:80]
	s_waitcnt lgkmcnt(6)
	s_delay_alu instid0(VALU_DEP_1)
	v_wmma_f32_16x16x16_bf16 v[73:80], v[9:16], v[99:106], v[73:80]
	ds_load_b128 v[13:16], v85 offset:12304
	ds_load_b128 v[9:12], v85 offset:12288
	s_waitcnt lgkmcnt(6)
	v_wmma_f32_16x16x16_bf16 v[73:80], v[1:8], v[49:56], v[73:80]
	ds_load_b128 v[53:56], v85 offset:13328
	ds_load_b128 v[49:52], v85 offset:13312
	s_waitcnt lgkmcnt(6)
	;; [unrolled: 4-line block ×4, first 2 shown]
	v_wmma_f32_16x16x16_bf16 v[73:80], v[33:40], v[9:16], v[73:80]
	s_waitcnt lgkmcnt(4)
	s_delay_alu instid0(VALU_DEP_1) | instskip(SKIP_1) | instid1(VALU_DEP_1)
	v_wmma_f32_16x16x16_bf16 v[73:80], v[25:32], v[49:56], v[73:80]
	s_waitcnt lgkmcnt(2)
	v_wmma_f32_16x16x16_bf16 v[73:80], v[25:32], v[1:8], v[73:80]
	s_waitcnt lgkmcnt(0)
	s_delay_alu instid0(VALU_DEP_1) | instskip(NEXT) | instid1(VALU_DEP_1)
	v_wmma_f32_16x16x16_bf16 v[73:80], v[17:24], v[41:48], v[73:80]
	v_and_b32_e32 v1, 0x7f800000, v73
	s_delay_alu instid0(VALU_DEP_1) | instskip(SKIP_1) | instid1(SALU_CYCLE_1)
	v_cmp_ne_u32_e32 vcc_lo, 0x7f800000, v1
                                        ; implicit-def: $vgpr1
	s_and_saveexec_b32 s4, vcc_lo
	s_xor_b32 s4, exec_lo, s4
; %bb.81:
	v_bfe_u32 v1, v73, 16, 1
	s_delay_alu instid0(VALU_DEP_1)
	v_add3_u32 v1, v73, v1, 0x7fff
; %bb.82:
	s_and_not1_saveexec_b32 s4, s4
; %bb.83:
	v_and_b32_e32 v1, 0xffff, v73
	v_or_b32_e32 v2, 0x10000, v73
	s_delay_alu instid0(VALU_DEP_2) | instskip(NEXT) | instid1(VALU_DEP_2)
	v_cmp_eq_u32_e32 vcc_lo, 0, v1
	v_cndmask_b32_e32 v1, v2, v73, vcc_lo
; %bb.84:
	s_or_b32 exec_lo, exec_lo, s4
	v_and_b32_e32 v2, 0x7f800000, v74
	s_delay_alu instid0(VALU_DEP_1) | instskip(SKIP_1) | instid1(SALU_CYCLE_1)
	v_cmp_ne_u32_e32 vcc_lo, 0x7f800000, v2
                                        ; implicit-def: $vgpr2
	s_and_saveexec_b32 s4, vcc_lo
	s_xor_b32 s4, exec_lo, s4
; %bb.85:
	v_bfe_u32 v2, v74, 16, 1
	s_delay_alu instid0(VALU_DEP_1)
	v_add3_u32 v2, v74, v2, 0x7fff
; %bb.86:
	s_and_not1_saveexec_b32 s4, s4
; %bb.87:
	v_and_b32_e32 v2, 0xffff, v74
	v_or_b32_e32 v3, 0x10000, v74
	s_delay_alu instid0(VALU_DEP_2) | instskip(NEXT) | instid1(VALU_DEP_2)
	v_cmp_eq_u32_e32 vcc_lo, 0, v2
	v_cndmask_b32_e32 v2, v3, v74, vcc_lo
; %bb.88:
	s_or_b32 exec_lo, exec_lo, s4
	v_and_b32_e32 v3, 0x7f800000, v75
	s_delay_alu instid0(VALU_DEP_1) | instskip(SKIP_1) | instid1(SALU_CYCLE_1)
	v_cmp_ne_u32_e32 vcc_lo, 0x7f800000, v3
                                        ; implicit-def: $vgpr3
	s_and_saveexec_b32 s4, vcc_lo
	s_xor_b32 s4, exec_lo, s4
; %bb.89:
	v_bfe_u32 v3, v75, 16, 1
	s_delay_alu instid0(VALU_DEP_1)
	v_add3_u32 v3, v75, v3, 0x7fff
; %bb.90:
	s_and_not1_saveexec_b32 s4, s4
; %bb.91:
	v_and_b32_e32 v3, 0xffff, v75
	v_or_b32_e32 v4, 0x10000, v75
	s_delay_alu instid0(VALU_DEP_2) | instskip(NEXT) | instid1(VALU_DEP_2)
	v_cmp_eq_u32_e32 vcc_lo, 0, v3
	v_cndmask_b32_e32 v3, v4, v75, vcc_lo
; %bb.92:
	s_or_b32 exec_lo, exec_lo, s4
	v_and_b32_e32 v4, 0x7f800000, v76
	s_delay_alu instid0(VALU_DEP_1) | instskip(SKIP_1) | instid1(SALU_CYCLE_1)
	v_cmp_ne_u32_e32 vcc_lo, 0x7f800000, v4
                                        ; implicit-def: $vgpr4
	s_and_saveexec_b32 s4, vcc_lo
	s_xor_b32 s4, exec_lo, s4
; %bb.93:
	v_bfe_u32 v4, v76, 16, 1
	s_delay_alu instid0(VALU_DEP_1)
	v_add3_u32 v4, v76, v4, 0x7fff
; %bb.94:
	s_and_not1_saveexec_b32 s4, s4
; %bb.95:
	v_and_b32_e32 v4, 0xffff, v76
	v_or_b32_e32 v5, 0x10000, v76
	s_delay_alu instid0(VALU_DEP_2) | instskip(NEXT) | instid1(VALU_DEP_2)
	v_cmp_eq_u32_e32 vcc_lo, 0, v4
	v_cndmask_b32_e32 v4, v5, v76, vcc_lo
; %bb.96:
	s_or_b32 exec_lo, exec_lo, s4
	v_and_b32_e32 v5, 0x7f800000, v77
	s_delay_alu instid0(VALU_DEP_1) | instskip(SKIP_1) | instid1(SALU_CYCLE_1)
	v_cmp_ne_u32_e32 vcc_lo, 0x7f800000, v5
                                        ; implicit-def: $vgpr5
	s_and_saveexec_b32 s4, vcc_lo
	s_xor_b32 s4, exec_lo, s4
; %bb.97:
	v_bfe_u32 v5, v77, 16, 1
	s_delay_alu instid0(VALU_DEP_1)
	v_add3_u32 v5, v77, v5, 0x7fff
; %bb.98:
	s_and_not1_saveexec_b32 s4, s4
; %bb.99:
	v_and_b32_e32 v5, 0xffff, v77
	v_or_b32_e32 v6, 0x10000, v77
	s_delay_alu instid0(VALU_DEP_2) | instskip(NEXT) | instid1(VALU_DEP_2)
	v_cmp_eq_u32_e32 vcc_lo, 0, v5
	v_cndmask_b32_e32 v5, v6, v77, vcc_lo
; %bb.100:
	s_or_b32 exec_lo, exec_lo, s4
	v_and_b32_e32 v6, 0x7f800000, v78
	s_delay_alu instid0(VALU_DEP_1) | instskip(SKIP_1) | instid1(SALU_CYCLE_1)
	v_cmp_ne_u32_e32 vcc_lo, 0x7f800000, v6
                                        ; implicit-def: $vgpr6
	s_and_saveexec_b32 s4, vcc_lo
	s_xor_b32 s4, exec_lo, s4
; %bb.101:
	v_bfe_u32 v6, v78, 16, 1
	s_delay_alu instid0(VALU_DEP_1)
	v_add3_u32 v6, v78, v6, 0x7fff
; %bb.102:
	s_and_not1_saveexec_b32 s4, s4
; %bb.103:
	v_and_b32_e32 v6, 0xffff, v78
	v_or_b32_e32 v7, 0x10000, v78
	s_delay_alu instid0(VALU_DEP_2) | instskip(NEXT) | instid1(VALU_DEP_2)
	v_cmp_eq_u32_e32 vcc_lo, 0, v6
	v_cndmask_b32_e32 v6, v7, v78, vcc_lo
; %bb.104:
	s_or_b32 exec_lo, exec_lo, s4
	v_and_b32_e32 v7, 0x7f800000, v79
	s_delay_alu instid0(VALU_DEP_1) | instskip(SKIP_1) | instid1(SALU_CYCLE_1)
	v_cmp_ne_u32_e32 vcc_lo, 0x7f800000, v7
                                        ; implicit-def: $vgpr7
	s_and_saveexec_b32 s4, vcc_lo
	s_xor_b32 s4, exec_lo, s4
; %bb.105:
	v_bfe_u32 v7, v79, 16, 1
	s_delay_alu instid0(VALU_DEP_1)
	v_add3_u32 v7, v79, v7, 0x7fff
; %bb.106:
	s_and_not1_saveexec_b32 s4, s4
; %bb.107:
	v_and_b32_e32 v7, 0xffff, v79
	v_or_b32_e32 v8, 0x10000, v79
	s_delay_alu instid0(VALU_DEP_2) | instskip(NEXT) | instid1(VALU_DEP_2)
	v_cmp_eq_u32_e32 vcc_lo, 0, v7
	v_cndmask_b32_e32 v7, v8, v79, vcc_lo
; %bb.108:
	s_or_b32 exec_lo, exec_lo, s4
	v_and_b32_e32 v8, 0x7f800000, v80
	s_delay_alu instid0(VALU_DEP_1) | instskip(SKIP_1) | instid1(SALU_CYCLE_1)
	v_cmp_ne_u32_e32 vcc_lo, 0x7f800000, v8
                                        ; implicit-def: $vgpr8
	s_and_saveexec_b32 s4, vcc_lo
	s_xor_b32 s4, exec_lo, s4
; %bb.109:
	v_bfe_u32 v8, v80, 16, 1
	s_delay_alu instid0(VALU_DEP_1)
	v_add3_u32 v8, v80, v8, 0x7fff
                                        ; implicit-def: $vgpr73_vgpr74_vgpr75_vgpr76_vgpr77_vgpr78_vgpr79_vgpr80
; %bb.110:
	s_and_not1_saveexec_b32 s4, s4
; %bb.111:
	v_and_b32_e32 v8, 0xffff, v80
	v_or_b32_e32 v9, 0x10000, v80
	s_delay_alu instid0(VALU_DEP_2) | instskip(NEXT) | instid1(VALU_DEP_2)
	v_cmp_eq_u32_e32 vcc_lo, 0, v8
	v_cndmask_b32_e32 v8, v9, v80, vcc_lo
; %bb.112:
	s_or_b32 exec_lo, exec_lo, s4
	s_delay_alu instid0(VALU_DEP_1)
	v_perm_b32 v7, v8, v7, 0x7060302
	v_perm_b32 v6, v6, v5, 0x7060302
	;; [unrolled: 1-line block ×4, first 2 shown]
	v_lshl_or_b32 v9, v83, 4, v90
	s_barrier
	buffer_gl0_inv
	v_cmp_eq_u32_e32 vcc_lo, 1, v87
	ds_store_b128 v9, v[4:7]
	s_waitcnt lgkmcnt(0)
	s_barrier
	buffer_gl0_inv
	ds_load_b128 v[1:4], v90
	ds_load_b128 v[5:8], v90 offset:16
	v_cmp_eq_u32_e64 s5, 2, v87
	v_cmp_eq_u32_e64 s4, 1, v88
	v_cmp_eq_u32_e64 s6, 3, v87
	v_cmp_eq_u32_e64 s8, 2, v86
	v_cmp_eq_u32_e64 s7, 7, v88
	s_waitcnt lgkmcnt(1)
	v_lshrrev_b32_e32 v10, 16, v1
	s_waitcnt lgkmcnt(0)
	v_lshrrev_b32_e32 v14, 16, v5
	v_lshrrev_b32_e32 v15, 16, v6
	;; [unrolled: 1-line block ×4, first 2 shown]
	v_cndmask_b32_e64 v20, v1, v10, s4
	v_cndmask_b32_e32 v19, v5, v14, vcc_lo
	v_cndmask_b32_e64 v21, v5, v14, s4
	v_lshrrev_b32_e32 v16, 16, v7
	v_cmp_eq_u32_e64 s4, 1, v86
	v_lshrrev_b32_e32 v13, 16, v4
	v_cndmask_b32_e64 v19, v19, v6, s5
	v_lshrrev_b32_e32 v17, 16, v8
	s_delay_alu instid0(VALU_DEP_4) | instskip(SKIP_1) | instid1(VALU_DEP_4)
	v_cndmask_b32_e64 v22, v1, v10, s4
	v_cndmask_b32_e64 v23, v5, v14, s4
	;; [unrolled: 1-line block ×3, first 2 shown]
	v_cndmask_b32_e32 v18, v1, v10, vcc_lo
	v_cmp_eq_u32_e32 vcc_lo, 2, v88
	v_cmp_eq_u32_e64 s4, 2, v89
	v_cndmask_b32_e64 v22, v22, v2, s8
	v_cndmask_b32_e32 v20, v20, v2, vcc_lo
	v_cndmask_b32_e32 v21, v21, v6, vcc_lo
	v_cmp_eq_u32_e32 vcc_lo, 4, v87
	v_cndmask_b32_e32 v19, v19, v7, vcc_lo
	v_cndmask_b32_e64 v18, v18, v2, s5
	v_cmp_eq_u32_e64 s5, 3, v88
	s_delay_alu instid0(VALU_DEP_2) | instskip(NEXT) | instid1(VALU_DEP_2)
	v_cndmask_b32_e64 v18, v18, v11, s6
	v_cndmask_b32_e64 v21, v21, v15, s5
	v_cmp_eq_u32_e64 s6, 5, v87
	s_delay_alu instid0(VALU_DEP_3) | instskip(SKIP_1) | instid1(VALU_DEP_3)
	v_cndmask_b32_e32 v18, v18, v3, vcc_lo
	v_cmp_eq_u32_e32 vcc_lo, 4, v88
	v_cndmask_b32_e64 v19, v19, v16, s6
	s_delay_alu instid0(VALU_DEP_3) | instskip(SKIP_4) | instid1(VALU_DEP_3)
	v_cndmask_b32_e64 v18, v18, v12, s6
	v_cndmask_b32_e32 v21, v21, v7, vcc_lo
	v_cndmask_b32_e64 v20, v20, v11, s5
	v_cmp_eq_u32_e64 s5, 5, v88
	v_cmp_eq_u32_e64 s6, 6, v87
	v_cndmask_b32_e32 v20, v20, v3, vcc_lo
	s_delay_alu instid0(VALU_DEP_3) | instskip(SKIP_1) | instid1(VALU_DEP_4)
	v_cndmask_b32_e64 v21, v21, v16, s5
	v_cmp_eq_u32_e32 vcc_lo, 6, v88
	v_cndmask_b32_e64 v18, v18, v4, s6
	v_cndmask_b32_e64 v19, v19, v8, s6
	;; [unrolled: 1-line block ×3, first 2 shown]
	v_cmp_eq_u32_e64 s5, 1, v89
	v_cmp_eq_u32_e64 s6, 7, v87
	s_delay_alu instid0(VALU_DEP_3) | instskip(NEXT) | instid1(VALU_DEP_3)
	v_cndmask_b32_e32 v20, v20, v4, vcc_lo
	v_cndmask_b32_e64 v1, v1, v10, s5
	v_cndmask_b32_e64 v5, v5, v14, s5
	v_cmp_eq_u32_e64 s5, 3, v86
	v_cndmask_b32_e64 v14, v23, v6, s8
	v_cmp_eq_u32_e64 s8, 3, v89
	v_cndmask_b32_e64 v1, v1, v2, s4
	v_cndmask_b32_e64 v2, v5, v6, s4
	;; [unrolled: 1-line block ×3, first 2 shown]
	v_cmp_eq_u32_e64 s4, 4, v86
	v_cndmask_b32_e64 v6, v14, v15, s5
	v_cndmask_b32_e64 v1, v1, v11, s8
	v_cmp_eq_u32_e64 s5, 4, v89
	v_cndmask_b32_e64 v2, v2, v15, s8
	v_cndmask_b32_e64 v5, v10, v3, s4
	;; [unrolled: 3-line block ×3, first 2 shown]
	v_cndmask_b32_e64 v2, v2, v7, s5
	v_cmp_eq_u32_e64 s4, 5, v89
	v_cndmask_b32_e64 v5, v5, v12, s8
	v_cmp_eq_u32_e64 s5, 6, v86
	;; [unrolled: 2-line block ×3, first 2 shown]
	v_cndmask_b32_e64 v1, v1, v12, s4
	v_cndmask_b32_e64 v2, v2, v16, s4
	;; [unrolled: 1-line block ×4, first 2 shown]
	v_cmp_eq_u32_e64 s4, 7, v89
	v_cndmask_b32_e64 v1, v1, v4, s8
	v_cndmask_b32_e64 v2, v2, v8, s8
	v_cmp_eq_u32_e64 s5, 7, v86
	v_cndmask_b32_e32 v4, v21, v8, vcc_lo
	v_cndmask_b32_e64 v18, v18, v13, s6
	v_cndmask_b32_e64 v20, v20, v13, s7
	;; [unrolled: 1-line block ×8, first 2 shown]
	v_cmp_gt_u32_e32 vcc_lo, 32, v0
	v_perm_b32 v4, v2, v1, 0x5040100
	v_perm_b32 v3, v3, v5, 0x5040100
	;; [unrolled: 1-line block ×4, first 2 shown]
	s_and_b32 s2, vcc_lo, s2
	ds_store_b128 v9, v[1:4]
	s_waitcnt lgkmcnt(0)
	s_barrier
	buffer_gl0_inv
	s_and_saveexec_b32 s4, s2
	s_cbranch_execz .LBB506_2
; %bb.113:
	s_load_b64 s[4:5], s[0:1], 0x68
	v_lshlrev_b32_e32 v0, 10, v0
	v_lshlrev_b32_e32 v1, 4, v84
	s_lshl_b32 s0, s36, 6
	v_add_nc_u32_e32 v2, s31, v83
	s_mul_i32 s1, s0, s34
	s_delay_alu instid0(SALU_CYCLE_1) | instskip(SKIP_1) | instid1(VALU_DEP_2)
	s_mul_i32 s6, s1, s9
	v_and_or_b32 v0, 0x3800, v0, v1
	v_mul_lo_u32 v1, v2, s0
	s_ashr_i32 s7, s6, 31
	v_add_nc_u32_e32 v3, 2, v2
	s_lshl_b64 s[6:7], s[6:7], 1
	v_add_nc_u32_e32 v4, 4, v2
	v_add_nc_u32_e32 v5, 6, v2
	v_lshl_or_b32 v15, v83, 6, v0
	v_mul_lo_u32 v3, v3, s0
	v_ashrrev_i32_e32 v2, 31, v1
	v_mul_lo_u32 v19, v4, s0
	v_mul_lo_u32 v21, v5, s0
	s_waitcnt lgkmcnt(0)
	s_add_u32 s1, s4, s6
	s_addc_u32 s2, s5, s7
	s_lshl_b32 s4, s14, 6
	v_lshlrev_b64 v[5:6], 1, v[1:2]
	s_ashr_i32 s5, s4, 31
	v_ashrrev_i32_e32 v4, 31, v3
	s_lshl_b64 s[4:5], s[4:5], 1
	v_ashrrev_i32_e32 v20, 31, v19
	s_add_u32 s1, s1, s4
	s_addc_u32 s2, s2, s5
	v_add_co_u32 v1, vcc_lo, s1, v81
	v_add_co_ci_u32_e32 v2, vcc_lo, s2, v82, vcc_lo
	v_lshlrev_b64 v[25:26], 1, v[3:4]
	s_delay_alu instid0(VALU_DEP_3) | instskip(NEXT) | instid1(VALU_DEP_3)
	v_add_co_u32 v23, vcc_lo, v1, v5
	v_add_co_ci_u32_e32 v24, vcc_lo, v2, v6, vcc_lo
	ds_load_b128 v[3:6], v15
	ds_load_b128 v[7:10], v15 offset:128
	ds_load_b128 v[11:14], v15 offset:256
	;; [unrolled: 1-line block ×3, first 2 shown]
	v_ashrrev_i32_e32 v22, 31, v21
	v_lshlrev_b64 v[19:20], 1, v[19:20]
	v_add_co_u32 v25, vcc_lo, v1, v25
	v_add_co_ci_u32_e32 v26, vcc_lo, v2, v26, vcc_lo
	s_delay_alu instid0(VALU_DEP_4) | instskip(NEXT) | instid1(VALU_DEP_4)
	v_lshlrev_b64 v[21:22], 1, v[21:22]
	v_add_co_u32 v19, vcc_lo, v1, v19
	v_add_co_ci_u32_e32 v20, vcc_lo, v2, v20, vcc_lo
	s_delay_alu instid0(VALU_DEP_3) | instskip(NEXT) | instid1(VALU_DEP_4)
	v_add_co_u32 v21, vcc_lo, v1, v21
	v_add_co_ci_u32_e32 v22, vcc_lo, v2, v22, vcc_lo
	s_waitcnt lgkmcnt(3)
	global_store_b128 v[23:24], v[3:6], off
	s_waitcnt lgkmcnt(2)
	global_store_b128 v[25:26], v[7:10], off
	;; [unrolled: 2-line block ×4, first 2 shown]
	s_and_b32 exec_lo, exec_lo, s3
	s_cbranch_execz .LBB506_2
; %bb.114:
	ds_load_b128 v[3:6], v0 offset:512
	s_add_i32 s1, s31, 8
	s_delay_alu instid0(SALU_CYCLE_1) | instskip(NEXT) | instid1(SALU_CYCLE_1)
	s_mul_i32 s0, s1, s0
	s_ashr_i32 s1, s0, 31
	s_delay_alu instid0(SALU_CYCLE_1) | instskip(NEXT) | instid1(SALU_CYCLE_1)
	s_lshl_b64 s[0:1], s[0:1], 1
	v_add_co_u32 v0, vcc_lo, v1, s0
	v_add_co_ci_u32_e32 v1, vcc_lo, s1, v2, vcc_lo
	s_waitcnt lgkmcnt(0)
	global_store_b128 v[0:1], v[3:6], off
	s_nop 0
	s_sendmsg sendmsg(MSG_DEALLOC_VGPRS)
	s_endpgm
	.section	.rodata,"a",@progbits
	.p2align	6, 0x0
	.amdhsa_kernel _Z39paged_attention_ll4mi_QKV_mfma16_kernelI14__hip_bfloat16S0_LN4vllm18Fp8KVCacheDataTypeE0EhLi32ELi64ELi256ELb1ELi9EL8MFMAType0EEvPKT_PKT0_S9_ifPKiSB_SB_iPKfiiiPfSE_PS4_PT2_iSD_SD_
		.amdhsa_group_segment_fixed_size 17472
		.amdhsa_private_segment_fixed_size 0
		.amdhsa_kernarg_size 400
		.amdhsa_user_sgpr_count 13
		.amdhsa_user_sgpr_dispatch_ptr 0
		.amdhsa_user_sgpr_queue_ptr 0
		.amdhsa_user_sgpr_kernarg_segment_ptr 1
		.amdhsa_user_sgpr_dispatch_id 0
		.amdhsa_user_sgpr_private_segment_size 0
		.amdhsa_wavefront_size32 1
		.amdhsa_uses_dynamic_stack 0
		.amdhsa_enable_private_segment 0
		.amdhsa_system_sgpr_workgroup_id_x 1
		.amdhsa_system_sgpr_workgroup_id_y 1
		.amdhsa_system_sgpr_workgroup_id_z 1
		.amdhsa_system_sgpr_workgroup_info 0
		.amdhsa_system_vgpr_workitem_id 0
		.amdhsa_next_free_vgpr 142
		.amdhsa_next_free_sgpr 39
		.amdhsa_reserve_vcc 1
		.amdhsa_float_round_mode_32 0
		.amdhsa_float_round_mode_16_64 0
		.amdhsa_float_denorm_mode_32 3
		.amdhsa_float_denorm_mode_16_64 3
		.amdhsa_dx10_clamp 1
		.amdhsa_ieee_mode 1
		.amdhsa_fp16_overflow 0
		.amdhsa_workgroup_processor_mode 1
		.amdhsa_memory_ordered 1
		.amdhsa_forward_progress 0
		.amdhsa_shared_vgpr_count 0
		.amdhsa_exception_fp_ieee_invalid_op 0
		.amdhsa_exception_fp_denorm_src 0
		.amdhsa_exception_fp_ieee_div_zero 0
		.amdhsa_exception_fp_ieee_overflow 0
		.amdhsa_exception_fp_ieee_underflow 0
		.amdhsa_exception_fp_ieee_inexact 0
		.amdhsa_exception_int_div_zero 0
	.end_amdhsa_kernel
	.section	.text._Z39paged_attention_ll4mi_QKV_mfma16_kernelI14__hip_bfloat16S0_LN4vllm18Fp8KVCacheDataTypeE0EhLi32ELi64ELi256ELb1ELi9EL8MFMAType0EEvPKT_PKT0_S9_ifPKiSB_SB_iPKfiiiPfSE_PS4_PT2_iSD_SD_,"axG",@progbits,_Z39paged_attention_ll4mi_QKV_mfma16_kernelI14__hip_bfloat16S0_LN4vllm18Fp8KVCacheDataTypeE0EhLi32ELi64ELi256ELb1ELi9EL8MFMAType0EEvPKT_PKT0_S9_ifPKiSB_SB_iPKfiiiPfSE_PS4_PT2_iSD_SD_,comdat
.Lfunc_end506:
	.size	_Z39paged_attention_ll4mi_QKV_mfma16_kernelI14__hip_bfloat16S0_LN4vllm18Fp8KVCacheDataTypeE0EhLi32ELi64ELi256ELb1ELi9EL8MFMAType0EEvPKT_PKT0_S9_ifPKiSB_SB_iPKfiiiPfSE_PS4_PT2_iSD_SD_, .Lfunc_end506-_Z39paged_attention_ll4mi_QKV_mfma16_kernelI14__hip_bfloat16S0_LN4vllm18Fp8KVCacheDataTypeE0EhLi32ELi64ELi256ELb1ELi9EL8MFMAType0EEvPKT_PKT0_S9_ifPKiSB_SB_iPKfiiiPfSE_PS4_PT2_iSD_SD_
                                        ; -- End function
	.section	.AMDGPU.csdata,"",@progbits
; Kernel info:
; codeLenInByte = 9472
; NumSgprs: 41
; NumVgprs: 142
; ScratchSize: 0
; MemoryBound: 0
; FloatMode: 240
; IeeeMode: 1
; LDSByteSize: 17472 bytes/workgroup (compile time only)
; SGPRBlocks: 5
; VGPRBlocks: 17
; NumSGPRsForWavesPerEU: 41
; NumVGPRsForWavesPerEU: 142
; Occupancy: 10
; WaveLimiterHint : 1
; COMPUTE_PGM_RSRC2:SCRATCH_EN: 0
; COMPUTE_PGM_RSRC2:USER_SGPR: 13
; COMPUTE_PGM_RSRC2:TRAP_HANDLER: 0
; COMPUTE_PGM_RSRC2:TGID_X_EN: 1
; COMPUTE_PGM_RSRC2:TGID_Y_EN: 1
; COMPUTE_PGM_RSRC2:TGID_Z_EN: 1
; COMPUTE_PGM_RSRC2:TIDIG_COMP_CNT: 0
	.section	.text._Z39paged_attention_ll4mi_QKV_mfma16_kernelI14__hip_bfloat16S0_LN4vllm18Fp8KVCacheDataTypeE0EhLi32ELi64ELi256ELb1ELi10EL8MFMAType0EEvPKT_PKT0_S9_ifPKiSB_SB_iPKfiiiPfSE_PS4_PT2_iSD_SD_,"axG",@progbits,_Z39paged_attention_ll4mi_QKV_mfma16_kernelI14__hip_bfloat16S0_LN4vllm18Fp8KVCacheDataTypeE0EhLi32ELi64ELi256ELb1ELi10EL8MFMAType0EEvPKT_PKT0_S9_ifPKiSB_SB_iPKfiiiPfSE_PS4_PT2_iSD_SD_,comdat
	.protected	_Z39paged_attention_ll4mi_QKV_mfma16_kernelI14__hip_bfloat16S0_LN4vllm18Fp8KVCacheDataTypeE0EhLi32ELi64ELi256ELb1ELi10EL8MFMAType0EEvPKT_PKT0_S9_ifPKiSB_SB_iPKfiiiPfSE_PS4_PT2_iSD_SD_ ; -- Begin function _Z39paged_attention_ll4mi_QKV_mfma16_kernelI14__hip_bfloat16S0_LN4vllm18Fp8KVCacheDataTypeE0EhLi32ELi64ELi256ELb1ELi10EL8MFMAType0EEvPKT_PKT0_S9_ifPKiSB_SB_iPKfiiiPfSE_PS4_PT2_iSD_SD_
	.globl	_Z39paged_attention_ll4mi_QKV_mfma16_kernelI14__hip_bfloat16S0_LN4vllm18Fp8KVCacheDataTypeE0EhLi32ELi64ELi256ELb1ELi10EL8MFMAType0EEvPKT_PKT0_S9_ifPKiSB_SB_iPKfiiiPfSE_PS4_PT2_iSD_SD_
	.p2align	8
	.type	_Z39paged_attention_ll4mi_QKV_mfma16_kernelI14__hip_bfloat16S0_LN4vllm18Fp8KVCacheDataTypeE0EhLi32ELi64ELi256ELb1ELi10EL8MFMAType0EEvPKT_PKT0_S9_ifPKiSB_SB_iPKfiiiPfSE_PS4_PT2_iSD_SD_,@function
_Z39paged_attention_ll4mi_QKV_mfma16_kernelI14__hip_bfloat16S0_LN4vllm18Fp8KVCacheDataTypeE0EhLi32ELi64ELi256ELb1ELi10EL8MFMAType0EEvPKT_PKT0_S9_ifPKiSB_SB_iPKfiiiPfSE_PS4_PT2_iSD_SD_: ; @_Z39paged_attention_ll4mi_QKV_mfma16_kernelI14__hip_bfloat16S0_LN4vllm18Fp8KVCacheDataTypeE0EhLi32ELi64ELi256ELb1ELi10EL8MFMAType0EEvPKT_PKT0_S9_ifPKiSB_SB_iPKfiiiPfSE_PS4_PT2_iSD_SD_
; %bb.0:
	s_load_b64 s[2:3], s[0:1], 0x30
	s_mov_b32 s30, s13
	s_waitcnt lgkmcnt(0)
	s_cmp_lg_u64 s[2:3], 0
	s_cselect_b32 s6, -1, 0
	s_ashr_i32 s31, s13, 31
	s_cmp_eq_u64 s[2:3], 0
	s_cbranch_scc1 .LBB507_3
; %bb.1:
	s_lshl_b64 s[4:5], s[30:31], 2
	s_delay_alu instid0(SALU_CYCLE_1) | instskip(SKIP_4) | instid1(SALU_CYCLE_1)
	s_add_u32 s4, s2, s4
	s_addc_u32 s5, s3, s5
	s_load_b64 s[4:5], s[4:5], 0x0
	s_waitcnt lgkmcnt(0)
	s_sub_i32 s4, s5, s4
	s_cmp_eq_u32 s4, 1
	s_cselect_b32 s4, -1, 0
	s_delay_alu instid0(SALU_CYCLE_1)
	s_and_not1_b32 vcc_lo, exec_lo, s4
	s_cbranch_vccz .LBB507_4
.LBB507_2:
	s_endpgm
.LBB507_3:
.LBB507_4:
	s_load_b64 s[8:9], s[0:1], 0x28
	s_lshl_b64 s[4:5], s[30:31], 2
	s_waitcnt lgkmcnt(0)
	s_add_u32 s8, s8, s4
	s_addc_u32 s9, s9, s5
	s_lshl_b32 s16, s14, 8
	s_load_b32 s18, s[8:9], 0x0
	s_waitcnt lgkmcnt(0)
	s_cmp_ge_i32 s16, s18
	s_cbranch_scc1 .LBB507_2
; %bb.5:
	s_and_not1_b32 vcc_lo, exec_lo, s6
	s_cbranch_vccnz .LBB507_7
; %bb.6:
	s_add_u32 s2, s2, s4
	s_addc_u32 s3, s3, s5
	s_load_b32 s17, s[2:3], 0x0
	s_branch .LBB507_8
.LBB507_7:
	s_mov_b32 s17, s30
.LBB507_8:
	s_clause 0x2
	s_load_b128 s[8:11], s[0:1], 0x8
	s_load_b64 s[12:13], s[0:1], 0x20
	s_load_b128 s[4:7], s[0:1], 0x48
	v_and_b32_e32 v73, 15, v0
	v_cmp_lt_u32_e32 vcc_lo, 0x9f, v0
	s_delay_alu instid0(VALU_DEP_2) | instskip(SKIP_2) | instid1(VALU_DEP_3)
	v_cmp_lt_u32_e64 s3, 7, v73
	v_lshlrev_b32_e32 v1, 3, v73
	v_cmp_gt_u32_e64 s2, 8, v73
	s_or_b32 s3, vcc_lo, s3
	s_waitcnt lgkmcnt(0)
	s_and_saveexec_b32 s7, s3
	s_delay_alu instid0(SALU_CYCLE_1)
	s_xor_b32 s3, exec_lo, s7
; %bb.9:
	v_mov_b32_e32 v2, 0
; %bb.10:
	s_or_saveexec_b32 s3, s3
	v_lshrrev_b32_e32 v74, 5, v0
	v_and_b32_e32 v75, 31, v0
	v_and_b32_e32 v84, 1, v0
	v_bfe_u32 v83, v0, 4, 1
	s_mul_i32 s31, s15, 10
	s_xor_b32 exec_lo, exec_lo, s3
	s_cbranch_execz .LBB507_12
; %bb.11:
	s_load_b64 s[20:21], s[0:1], 0x0
	v_lshl_or_b32 v7, v74, 1, v83
	s_mul_hi_i32 s23, s17, s4
	s_mul_i32 s22, s17, s4
	v_lshlrev_b32_e32 v4, 1, v1
	s_lshl_b64 s[22:23], s[22:23], 1
	v_add_lshl_u32 v2, v7, s31, 6
	v_lshlrev_b32_e32 v7, 6, v7
	v_lshlrev_b32_e32 v8, 10, v84
	s_delay_alu instid0(VALU_DEP_3) | instskip(NEXT) | instid1(VALU_DEP_1)
	v_ashrrev_i32_e32 v3, 31, v2
	v_lshlrev_b64 v[2:3], 1, v[2:3]
	s_waitcnt lgkmcnt(0)
	s_add_u32 s4, s20, s22
	s_addc_u32 s7, s21, s23
	s_delay_alu instid0(VALU_DEP_1) | instskip(NEXT) | instid1(VALU_DEP_2)
	v_add_co_u32 v2, vcc_lo, s4, v2
	v_add_co_ci_u32_e32 v3, vcc_lo, s7, v3, vcc_lo
	s_delay_alu instid0(VALU_DEP_2) | instskip(NEXT) | instid1(VALU_DEP_2)
	v_add_co_u32 v2, vcc_lo, v2, v4
	v_add_co_ci_u32_e32 v3, vcc_lo, 0, v3, vcc_lo
	global_load_b128 v[3:6], v[2:3], off
	v_lshlrev_b32_e32 v2, 10, v73
	s_delay_alu instid0(VALU_DEP_1) | instskip(NEXT) | instid1(VALU_DEP_1)
	v_and_b32_e32 v2, 0x3800, v2
	v_or3_b32 v7, v2, v8, v7
	v_mov_b32_e32 v2, 0
	s_waitcnt vmcnt(0)
	ds_store_b128 v7, v[3:6]
.LBB507_12:
	s_or_b32 exec_lo, exec_lo, s3
	v_and_b32_e32 v3, 0xef, v0
	s_add_i32 s3, s18, 31
	s_clause 0x1
	s_load_b32 s4, s[0:1], 0x38
	s_load_b32 s19, s[0:1], 0x1c
	s_ashr_i32 s7, s3, 31
	v_add_nc_u32_e32 v3, s16, v3
	s_lshr_b32 s7, s7, 27
	s_waitcnt lgkmcnt(0)
	s_add_i32 s3, s3, s7
	s_barrier
	v_ashrrev_i32_e32 v4, 31, v3
	v_cmp_gt_i32_e32 vcc_lo, s18, v3
	s_ashr_i32 s3, s3, 5
	buffer_gl0_inv
	s_add_i32 s3, s3, -1
	v_lshrrev_b32_e32 v5, 27, v4
	v_or_b32_e32 v4, 16, v3
	s_mul_i32 s6, s15, s6
	v_lshlrev_b64 v[81:82], 1, v[1:2]
	s_delay_alu instid0(VALU_DEP_3) | instskip(NEXT) | instid1(VALU_DEP_3)
	v_add_nc_u32_e32 v6, v3, v5
	v_add_nc_u32_e32 v5, v4, v5
	s_mul_i32 s20, s30, s4
	s_delay_alu instid0(SALU_CYCLE_1) | instskip(NEXT) | instid1(VALU_DEP_2)
	s_ashr_i32 s21, s20, 31
	v_ashrrev_i32_e32 v6, 5, v6
	s_delay_alu instid0(VALU_DEP_2) | instskip(SKIP_1) | instid1(SALU_CYCLE_1)
	v_ashrrev_i32_e32 v5, 5, v5
	s_lshl_b64 s[20:21], s[20:21], 2
	s_add_u32 s4, s12, s20
	s_delay_alu instid0(VALU_DEP_2) | instskip(SKIP_3) | instid1(SALU_CYCLE_1)
	v_cndmask_b32_e32 v3, s3, v6, vcc_lo
	v_cmp_gt_i32_e32 vcc_lo, s18, v4
	s_addc_u32 s17, s13, s21
	s_ashr_i32 s7, s6, 31
	s_lshl_b64 s[6:7], s[6:7], 1
	v_cndmask_b32_e32 v5, s3, v5, vcc_lo
	v_ashrrev_i32_e32 v4, 31, v3
	s_add_u32 s15, s8, s6
	s_addc_u32 s28, s9, s7
	s_lshl_b32 s8, s14, 3
	v_ashrrev_i32_e32 v6, 31, v5
	v_lshlrev_b64 v[3:4], 2, v[3:4]
	s_ashr_i32 s9, s8, 31
	s_delay_alu instid0(SALU_CYCLE_1) | instskip(NEXT) | instid1(VALU_DEP_2)
	s_lshl_b64 s[8:9], s[8:9], 2
	v_lshlrev_b64 v[5:6], 2, v[5:6]
	s_add_u32 s8, s4, s8
	s_delay_alu instid0(VALU_DEP_2) | instskip(SKIP_1) | instid1(VALU_DEP_3)
	v_add_co_u32 v3, vcc_lo, s4, v3
	v_add_co_ci_u32_e32 v4, vcc_lo, s17, v4, vcc_lo
	v_add_co_u32 v5, vcc_lo, s4, v5
	s_delay_alu instid0(VALU_DEP_4)
	v_add_co_ci_u32_e32 v6, vcc_lo, s17, v6, vcc_lo
	s_addc_u32 s9, s17, s9
	s_clause 0x1
	global_load_b32 v7, v[3:4], off
	global_load_b32 v8, v[5:6], off
	s_or_b32 s12, s16, 32
	s_delay_alu instid0(SALU_CYCLE_1) | instskip(SKIP_2) | instid1(SALU_CYCLE_1)
	s_ashr_i32 s13, s12, 5
	s_cmp_lt_i32 s12, s18
	s_cselect_b32 s12, s13, s3
	s_ashr_i32 s13, s12, 31
	s_delay_alu instid0(SALU_CYCLE_1) | instskip(NEXT) | instid1(SALU_CYCLE_1)
	s_lshl_b64 s[12:13], s[12:13], 2
	s_add_u32 s12, s4, s12
	s_addc_u32 s13, s17, s13
	s_or_b32 s20, s16, 64
	s_delay_alu instid0(SALU_CYCLE_1) | instskip(SKIP_2) | instid1(SALU_CYCLE_1)
	s_ashr_i32 s21, s20, 5
	s_cmp_lt_i32 s20, s18
	s_cselect_b32 s20, s21, s3
	s_ashr_i32 s21, s20, 31
	s_delay_alu instid0(SALU_CYCLE_1) | instskip(NEXT) | instid1(SALU_CYCLE_1)
	s_lshl_b64 s[20:21], s[20:21], 2
	s_add_u32 s20, s4, s20
	s_addc_u32 s21, s17, s21
	;; [unrolled: 10-line block ×5, first 2 shown]
	s_clause 0x5
	s_load_b32 s29, s[8:9], 0x0
	s_load_b32 s33, s[12:13], 0x0
	;; [unrolled: 1-line block ×6, first 2 shown]
	s_mov_b32 s20, 0
	s_or_b32 s8, s16, 0xc0
	s_mov_b32 s21, s20
	s_mov_b32 s22, s20
	;; [unrolled: 1-line block ×7, first 2 shown]
	s_ashr_i32 s9, s8, 5
	v_mov_b32_e32 v117, s27
	s_cmp_lt_i32 s8, s18
	v_mov_b32_e32 v116, s26
	s_cselect_b32 s8, s9, s3
	v_mov_b32_e32 v115, s25
	s_ashr_i32 s9, s8, 31
	v_dual_mov_b32 v114, s24 :: v_dual_mov_b32 v113, s23
	v_dual_mov_b32 v112, s22 :: v_dual_mov_b32 v111, s21
	s_lshl_b64 s[8:9], s[8:9], 2
	s_waitcnt lgkmcnt(0)
	s_mul_hi_i32 s13, s29, s5
	s_add_u32 s8, s4, s8
	s_addc_u32 s9, s17, s9
	s_mul_i32 s12, s29, s5
	v_mov_b32_e32 v110, s20
	s_mul_hi_i32 s21, s33, s5
	s_mul_i32 s20, s33, s5
	s_mul_hi_i32 s25, s34, s5
	s_mul_i32 s24, s34, s5
	;; [unrolled: 2-line block ×4, first 2 shown]
	s_waitcnt vmcnt(1)
	v_mad_i64_i32 v[3:4], null, v7, s5, 0
	s_waitcnt vmcnt(0)
	v_mad_i64_i32 v[5:6], null, v8, s5, 0
	s_delay_alu instid0(VALU_DEP_2) | instskip(NEXT) | instid1(VALU_DEP_2)
	v_lshlrev_b64 v[3:4], 1, v[3:4]
	v_lshlrev_b64 v[1:2], 1, v[5:6]
	s_delay_alu instid0(VALU_DEP_2) | instskip(NEXT) | instid1(VALU_DEP_3)
	v_add_co_u32 v3, vcc_lo, s15, v3
	v_add_co_ci_u32_e32 v4, vcc_lo, s28, v4, vcc_lo
	s_delay_alu instid0(VALU_DEP_3) | instskip(NEXT) | instid1(VALU_DEP_4)
	v_add_co_u32 v1, vcc_lo, s15, v1
	v_add_co_ci_u32_e32 v2, vcc_lo, s28, v2, vcc_lo
	s_delay_alu instid0(VALU_DEP_4) | instskip(NEXT) | instid1(VALU_DEP_4)
	v_add_co_u32 v41, vcc_lo, v3, v81
	v_add_co_ci_u32_e32 v42, vcc_lo, v4, v82, vcc_lo
	s_delay_alu instid0(VALU_DEP_4) | instskip(NEXT) | instid1(VALU_DEP_4)
	v_add_co_u32 v43, vcc_lo, v1, v81
	v_add_co_ci_u32_e32 v44, vcc_lo, v2, v82, vcc_lo
	s_clause 0xf
	global_load_b128 v[1:4], v[41:42], off
	global_load_b128 v[5:8], v[41:42], off offset:512
	global_load_b128 v[9:12], v[43:44], off offset:256
	global_load_b128 v[13:16], v[43:44], off offset:768
	global_load_b128 v[17:20], v[41:42], off offset:1024
	global_load_b128 v[21:24], v[41:42], off offset:1536
	global_load_b128 v[25:28], v[43:44], off offset:1280
	global_load_b128 v[29:32], v[43:44], off offset:1792
	global_load_b128 v[33:36], v[41:42], off offset:2048
	global_load_b128 v[37:40], v[41:42], off offset:2560
	global_load_b128 v[86:89], v[43:44], off offset:2304
	global_load_b128 v[90:93], v[43:44], off offset:2816
	global_load_b128 v[94:97], v[41:42], off offset:3072
	global_load_b128 v[98:101], v[41:42], off offset:3584
	global_load_b128 v[102:105], v[43:44], off offset:3328
	global_load_b128 v[106:109], v[43:44], off offset:3840
	v_add_nc_u32_e32 v41, -10, v73
	v_cmp_gt_u32_e32 vcc_lo, 10, v73
	s_or_b32 s15, s16, 0xe0
	s_delay_alu instid0(SALU_CYCLE_1) | instskip(SKIP_3) | instid1(SALU_CYCLE_1)
	s_ashr_i32 s22, s15, 5
	s_cmp_lt_i32 s15, s18
	v_cndmask_b32_e32 v41, v41, v73, vcc_lo
	s_cselect_b32 s22, s22, s3
	s_ashr_i32 s23, s22, 31
	s_delay_alu instid0(VALU_DEP_1)
	v_lshlrev_b32_e32 v57, 6, v41
	ds_load_b128 v[41:44], v57
	ds_load_b128 v[45:48], v57 offset:1024
	ds_load_b128 v[49:52], v57 offset:2048
	ds_load_b128 v[53:56], v57 offset:3072
	ds_load_b128 v[118:121], v57 offset:4096
	ds_load_b128 v[122:125], v57 offset:5120
	ds_load_b128 v[126:129], v57 offset:6144
	ds_load_b128 v[130:133], v57 offset:7168
	s_lshl_b64 s[22:23], s[22:23], 2
	s_delay_alu instid0(SALU_CYCLE_1) | instskip(SKIP_2) | instid1(SALU_CYCLE_1)
	s_add_u32 s22, s4, s22
	s_addc_u32 s23, s17, s23
	s_add_i32 s15, s16, 0x100
	s_ashr_i32 s28, s15, 5
	s_cmp_lt_i32 s15, s18
	s_load_b32 s15, s[8:9], 0x0
	s_cselect_b32 s28, s28, s3
	s_mul_hi_i32 s9, s36, s5
	s_ashr_i32 s29, s28, 31
	s_mul_i32 s8, s36, s5
	s_lshl_b64 s[28:29], s[28:29], 2
	s_delay_alu instid0(SALU_CYCLE_1)
	s_add_u32 s28, s4, s28
	s_addc_u32 s29, s17, s29
	s_add_u32 s3, s10, s6
	s_clause 0x1
	s_load_b32 s4, s[22:23], 0x0
	s_load_b32 s17, s[28:29], 0x0
	s_addc_u32 s28, s11, s7
	s_lshl_b64 s[6:7], s[12:13], 1
	s_lshl_b64 s[10:11], s[20:21], 1
	s_lshl_b64 s[12:13], s[24:25], 1
	s_lshl_b64 s[20:21], s[26:27], 1
	s_lshl_b64 s[8:9], s[8:9], 1
	s_lshl_b64 s[22:23], s[34:35], 1
	s_waitcnt lgkmcnt(0)
	s_mul_hi_i32 s25, s15, s5
	s_mul_i32 s24, s15, s5
	s_waitcnt vmcnt(14)
	v_wmma_f32_16x16x16_bf16 v[134:141], v[1:8], v[41:48], v[110:117]
	s_waitcnt vmcnt(10)
	s_delay_alu instid0(VALU_DEP_1) | instskip(SKIP_1) | instid1(VALU_DEP_1)
	v_wmma_f32_16x16x16_bf16 v[134:141], v[17:24], v[49:56], v[134:141]
	s_waitcnt vmcnt(6)
	v_wmma_f32_16x16x16_bf16 v[134:141], v[33:40], v[118:125], v[134:141]
	s_waitcnt vmcnt(2)
	s_delay_alu instid0(VALU_DEP_1) | instskip(SKIP_1) | instid1(VALU_DEP_2)
	v_wmma_f32_16x16x16_bf16 v[134:141], v[94:101], v[126:133], v[134:141]
	v_lshlrev_b32_e32 v85, 6, v73
	v_mul_f32_e32 v100, s19, v141
	s_delay_alu instid0(VALU_DEP_2) | instskip(SKIP_2) | instid1(VALU_DEP_3)
	v_lshl_or_b32 v58, v74, 10, v85
	v_wmma_f32_16x16x16_bf16 v[110:117], v[9:16], v[41:48], v[110:117]
	v_mul_f32_e32 v99, s19, v135
	v_add_co_u32 v76, s3, s3, v58
	s_delay_alu instid0(VALU_DEP_1) | instskip(NEXT) | instid1(VALU_DEP_4)
	v_add_co_ci_u32_e64 v77, null, s28, 0, s3
	v_wmma_f32_16x16x16_bf16 v[110:117], v[25:32], v[49:56], v[110:117]
	s_delay_alu instid0(VALU_DEP_3) | instskip(NEXT) | instid1(VALU_DEP_3)
	v_add_co_u32 v57, vcc_lo, v76, s6
	v_add_co_ci_u32_e32 v58, vcc_lo, s7, v77, vcc_lo
	v_add_co_u32 v1, vcc_lo, v76, s10
	v_add_co_ci_u32_e32 v2, vcc_lo, s11, v77, vcc_lo
	;; [unrolled: 2-line block ×5, first 2 shown]
	s_clause 0x9
	global_load_b128 v[65:68], v[57:58], off
	global_load_b128 v[69:72], v[57:58], off offset:16
	global_load_b128 v[57:60], v[1:2], off
	global_load_b128 v[61:64], v[1:2], off offset:16
	;; [unrolled: 2-line block ×5, first 2 shown]
	v_add_co_u32 v5, vcc_lo, v76, s22
	s_lshl_b64 s[6:7], s[24:25], 1
	v_add_co_ci_u32_e32 v6, vcc_lo, s23, v77, vcc_lo
	s_mul_hi_i32 s9, s4, s5
	s_mul_i32 s8, s4, s5
	v_add_co_u32 v17, vcc_lo, v76, s6
	v_add_co_ci_u32_e32 v18, vcc_lo, s7, v77, vcc_lo
	s_lshl_b64 s[6:7], s[8:9], 1
	s_mul_hi_i32 s9, s17, s5
	s_mul_i32 s8, s17, s5
	v_add_co_u32 v19, vcc_lo, v76, s6
	s_lshl_b64 s[4:5], s[8:9], 1
	v_add_co_ci_u32_e32 v20, vcc_lo, s7, v77, vcc_lo
	v_add_co_u32 v21, vcc_lo, v76, s4
	v_add_co_ci_u32_e32 v22, vcc_lo, s5, v77, vcc_lo
	s_clause 0x7
	global_load_b128 v[1:4], v[5:6], off
	global_load_b128 v[5:8], v[5:6], off offset:16
	global_load_b128 v[33:36], v[17:18], off
	global_load_b128 v[37:40], v[17:18], off offset:16
	;; [unrolled: 2-line block ×4, first 2 shown]
	v_and_b32_e32 v76, 0xe0, v0
	v_mbcnt_lo_u32_b32 v77, -1, 0
	v_wmma_f32_16x16x16_bf16 v[110:117], v[86:93], v[118:125], v[110:117]
	s_waitcnt vmcnt(0)
	s_barrier
	v_add_nc_u32_e32 v76, s16, v76
	v_xor_b32_e32 v78, 16, v77
	v_wmma_f32_16x16x16_bf16 v[110:117], v[102:109], v[126:133], v[110:117]
	v_mul_f32_e32 v97, s19, v134
	buffer_gl0_inv
	v_or_b32_e32 v76, v76, v83
	v_cmp_gt_i32_e32 vcc_lo, 32, v78
	s_delay_alu instid0(VALU_DEP_2)
	v_or_b32_e32 v79, 4, v76
	v_cndmask_b32_e32 v77, v77, v78, vcc_lo
	v_or_b32_e32 v78, 2, v76
	v_or_b32_e32 v80, 6, v76
	v_cmp_gt_i32_e32 vcc_lo, s18, v76
	v_or_b32_e32 v86, 8, v76
	v_or_b32_e32 v87, 10, v76
	v_cmp_gt_i32_e64 s3, s18, v78
	v_or_b32_e32 v88, 12, v76
	v_or_b32_e32 v89, 14, v76
	;; [unrolled: 1-line block ×10, first 2 shown]
	v_cndmask_b32_e32 v76, 0xff7fffff, v97, vcc_lo
	v_cndmask_b32_e64 v78, 0xff7fffff, v99, s3
	v_mul_f32_e32 v99, s19, v137
	v_cmp_gt_i32_e64 s4, s18, v80
	v_mul_f32_e32 v80, s19, v136
	v_cmp_gt_i32_e64 s5, s18, v79
	v_max3_f32 v76, v76, 0xff7fffff, v78
	v_dual_mul_f32 v78, s19, v138 :: v_dual_mul_f32 v79, s19, v139
	v_cndmask_b32_e64 v99, 0xff7fffff, v99, s4
	s_delay_alu instid0(VALU_DEP_4)
	v_cndmask_b32_e64 v80, 0xff7fffff, v80, s5
	v_cmp_gt_i32_e64 s6, s18, v86
	v_cmp_gt_i32_e64 s7, s18, v87
	v_mul_f32_e32 v97, s19, v140
	v_cmp_gt_i32_e64 s8, s18, v89
	v_max3_f32 v76, v76, v80, v99
	v_cndmask_b32_e64 v78, 0xff7fffff, v78, s6
	v_cndmask_b32_e64 v79, 0xff7fffff, v79, s7
	v_cmp_gt_i32_e64 s9, s18, v88
	v_dual_mul_f32 v88, s19, v111 :: v_dual_mul_f32 v89, s19, v110
	v_cndmask_b32_e64 v100, 0xff7fffff, v100, s8
	s_delay_alu instid0(VALU_DEP_4) | instskip(NEXT) | instid1(VALU_DEP_4)
	v_max3_f32 v76, v76, v78, v79
	v_cndmask_b32_e64 v97, 0xff7fffff, v97, s9
	v_cmp_gt_i32_e64 s10, s18, v90
	v_cmp_gt_i32_e64 s11, s18, v91
	v_dual_mul_f32 v78, s19, v113 :: v_dual_mul_f32 v79, s19, v112
	s_delay_alu instid0(VALU_DEP_4) | instskip(NEXT) | instid1(VALU_DEP_4)
	v_max3_f32 v76, v76, v97, v100
	v_cndmask_b32_e64 v89, 0xff7fffff, v89, s10
	s_delay_alu instid0(VALU_DEP_4)
	v_cndmask_b32_e64 v88, 0xff7fffff, v88, s11
	v_cmp_gt_i32_e64 s12, s18, v92
	v_cmp_gt_i32_e64 s13, s18, v93
	v_mul_f32_e32 v87, s19, v115
	v_mul_f32_e32 v99, s19, v114
	v_max3_f32 v76, v76, v89, v88
	v_cndmask_b32_e64 v79, 0xff7fffff, v79, s12
	v_cndmask_b32_e64 v78, 0xff7fffff, v78, s13
	v_cmp_gt_i32_e64 s15, s18, v94
	v_cmp_gt_i32_e64 s16, s18, v95
	v_mul_f32_e32 v80, s19, v117
	v_mul_f32_e32 v86, s19, v116
	v_max3_f32 v76, v76, v79, v78
	v_cndmask_b32_e64 v88, 0xff7fffff, v99, s15
	v_cndmask_b32_e64 v87, 0xff7fffff, v87, s16
	v_cmp_gt_i32_e64 s17, s18, v96
	v_cmp_gt_i32_e64 s18, s18, v98
	v_lshlrev_b32_e32 v99, 2, v77
	s_delay_alu instid0(VALU_DEP_4) | instskip(NEXT) | instid1(VALU_DEP_4)
	v_max3_f32 v76, v76, v88, v87
	v_cndmask_b32_e64 v78, 0xff7fffff, v86, s17
	s_delay_alu instid0(VALU_DEP_4) | instskip(NEXT) | instid1(VALU_DEP_1)
	v_cndmask_b32_e64 v79, 0xff7fffff, v80, s18
	v_max3_f32 v76, v76, v78, v79
	ds_bpermute_b32 v77, v99, v76
	s_waitcnt lgkmcnt(0)
	v_max_f32_e32 v77, v77, v77
	s_delay_alu instid0(VALU_DEP_1) | instskip(NEXT) | instid1(VALU_DEP_1)
	v_max_f32_e32 v76, v76, v77
	v_fma_f32 v77, s19, v134, -v76
	v_fma_f32 v78, s19, v135, -v76
	;; [unrolled: 1-line block ×5, first 2 shown]
	s_delay_alu instid0(VALU_DEP_4) | instskip(SKIP_1) | instid1(VALU_DEP_4)
	v_dual_mul_f32 v77, 0x3fb8aa3b, v77 :: v_dual_mul_f32 v78, 0x3fb8aa3b, v78
	v_fma_f32 v88, s19, v114, -v76
	v_dual_mul_f32 v79, 0x3fb8aa3b, v79 :: v_dual_mul_f32 v80, 0x3fb8aa3b, v80
	s_delay_alu instid0(VALU_DEP_3) | instskip(NEXT) | instid1(VALU_DEP_3)
	v_exp_f32_e32 v77, v77
	v_exp_f32_e32 v78, v78
	s_delay_alu instid0(VALU_DEP_2) | instskip(NEXT) | instid1(VALU_DEP_2)
	v_mul_f32_e32 v88, 0x3fb8aa3b, v88
	v_exp_f32_e32 v79, v79
	v_mul_f32_e32 v86, 0x3fb8aa3b, v86
	v_exp_f32_e32 v80, v80
	v_fma_f32 v87, s19, v140, -v76
	v_fma_f32 v100, s19, v117, -v76
	;; [unrolled: 1-line block ×3, first 2 shown]
	v_exp_f32_e32 v86, v86
	v_cndmask_b32_e32 v92, 0, v77, vcc_lo
	v_fma_f32 v77, s19, v139, -v76
	v_cndmask_b32_e64 v91, 0, v78, s3
	v_cndmask_b32_e64 v93, 0, v79, s5
	v_fma_f32 v79, s19, v141, -v76
	s_delay_alu instid0(VALU_DEP_4) | instskip(SKIP_2) | instid1(TRANS32_DEP_1)
	v_dual_add_f32 v78, 0, v92 :: v_dual_mul_f32 v77, 0x3fb8aa3b, v77
	v_cndmask_b32_e64 v95, 0, v80, s4
	v_mul_f32_e32 v87, 0x3fb8aa3b, v87
	v_cndmask_b32_e64 v96, 0, v86, s6
	s_delay_alu instid0(VALU_DEP_4)
	v_add_f32_e32 v78, v78, v91
	v_exp_f32_e32 v77, v77
	v_fma_f32 v86, s19, v111, -v76
	v_fma_f32 v80, s19, v110, -v76
	v_exp_f32_e32 v87, v87
	v_add_f32_e32 v78, v78, v93
	v_mul_f32_e32 v100, 0x3fb8aa3b, v100
	v_mul_f32_e32 v86, 0x3fb8aa3b, v86
	;; [unrolled: 1-line block ×3, first 2 shown]
	v_exp_f32_e32 v88, v88
	v_add_f32_e32 v78, v78, v95
	v_cndmask_b32_e64 v97, 0, v77, s7
	v_exp_f32_e32 v86, v86
	v_exp_f32_e32 v80, v80
	v_cndmask_b32_e64 v94, 0, v87, s9
	v_add_f32_e32 v77, v78, v96
	v_fma_f32 v78, s19, v112, -v76
	v_fma_f32 v87, s19, v113, -v76
	v_exp_f32_e32 v100, v100
	s_mov_b32 s3, exec_lo
	s_delay_alu instid0(VALU_DEP_2) | instskip(NEXT) | instid1(VALU_DEP_2)
	v_dual_add_f32 v77, v77, v97 :: v_dual_mul_f32 v78, 0x3fb8aa3b, v78
	v_mul_f32_e32 v87, 0x3fb8aa3b, v87
	s_delay_alu instid0(VALU_DEP_2) | instskip(SKIP_2) | instid1(VALU_DEP_3)
	v_exp_f32_e32 v89, v78
	v_cndmask_b32_e64 v78, 0, v86, s11
	v_mul_f32_e32 v79, 0x3fb8aa3b, v79
	v_exp_f32_e32 v87, v87
	s_delay_alu instid0(VALU_DEP_1)
	v_exp_f32_e32 v79, v79
	s_waitcnt_depctr 0xfff
	v_cndmask_b32_e64 v98, 0, v79, s8
	v_add_f32_e32 v79, v77, v94
	v_cndmask_b32_e64 v77, 0, v80, s10
	v_fma_f32 v80, s19, v115, -v76
	s_delay_alu instid0(VALU_DEP_1) | instskip(NEXT) | instid1(VALU_DEP_1)
	v_dual_add_f32 v79, v79, v98 :: v_dual_mul_f32 v80, 0x3fb8aa3b, v80
	v_add_f32_e32 v86, v79, v77
	v_cndmask_b32_e64 v79, 0, v89, s12
	v_mul_f32_e32 v89, 0x3fb8aa3b, v90
	s_delay_alu instid0(VALU_DEP_4) | instskip(SKIP_2) | instid1(VALU_DEP_3)
	v_exp_f32_e32 v90, v80
	v_cndmask_b32_e64 v80, 0, v87, s13
	v_add_f32_e32 v86, v86, v78
	v_exp_f32_e32 v89, v89
	s_delay_alu instid0(VALU_DEP_1) | instskip(SKIP_1) | instid1(VALU_DEP_2)
	v_add_f32_e32 v87, v86, v79
	v_cndmask_b32_e64 v86, 0, v88, s15
	v_add_f32_e32 v88, v87, v80
	s_delay_alu instid0(TRANS32_DEP_2) | instskip(NEXT) | instid1(VALU_DEP_2)
	v_cndmask_b32_e64 v87, 0, v90, s16
	v_add_f32_e32 v90, v88, v86
	s_waitcnt_depctr 0xfff
	v_cndmask_b32_e64 v88, 0, v89, s17
	v_add_f32_e32 v89, v90, v87
	s_delay_alu instid0(VALU_DEP_1) | instskip(SKIP_1) | instid1(VALU_DEP_1)
	v_add_f32_e32 v90, v89, v88
	v_cndmask_b32_e64 v89, 0, v100, s18
	v_add_f32_e32 v90, v90, v89
	ds_bpermute_b32 v99, v99, v90
	v_cmpx_gt_u32_e32 16, v75
	s_cbranch_execz .LBB507_14
; %bb.13:
	v_mul_u32_u24_e32 v75, 0x44, v74
	s_waitcnt lgkmcnt(0)
	v_add_f32_e32 v90, v90, v99
	s_delay_alu instid0(VALU_DEP_2) | instskip(NEXT) | instid1(VALU_DEP_1)
	v_lshl_add_u32 v75, v73, 2, v75
	v_add_nc_u32_e32 v75, 0x4000, v75
	ds_store_2addr_b32 v75, v76, v90 offset1:136
.LBB507_14:
	s_or_b32 exec_lo, exec_lo, s3
	v_lshlrev_b32_e32 v75, 2, v73
	s_waitcnt lgkmcnt(0)
	s_barrier
	buffer_gl0_inv
	v_cmp_eq_u32_e64 s3, 1, v74
	v_add_nc_u32_e32 v90, 0x4000, v75
	ds_load_2addr_b32 v[99:100], v90 offset1:17
	ds_load_2addr_b32 v[101:102], v90 offset0:34 offset1:51
	ds_load_2addr_b32 v[103:104], v90 offset0:68 offset1:85
	ds_load_2addr_b32 v[105:106], v90 offset0:102 offset1:119
	ds_load_2addr_b32 v[107:108], v90 offset0:136 offset1:153
	s_waitcnt lgkmcnt(4)
	v_max3_f32 v75, v99, 0xff7fffff, v100
	s_waitcnt lgkmcnt(3)
	s_delay_alu instid0(VALU_DEP_1) | instskip(SKIP_1) | instid1(VALU_DEP_1)
	v_max3_f32 v75, v75, v101, v102
	s_waitcnt lgkmcnt(2)
	v_max3_f32 v75, v75, v103, v104
	s_waitcnt lgkmcnt(1)
	s_delay_alu instid0(VALU_DEP_1) | instskip(NEXT) | instid1(VALU_DEP_1)
	v_max3_f32 v75, v75, v105, v106
	v_sub_f32_e32 v109, v100, v75
	v_sub_f32_e32 v76, v99, v75
	ds_load_2addr_b32 v[99:100], v90 offset0:170 offset1:187
	v_sub_f32_e32 v101, v101, v75
	v_dual_mul_f32 v109, 0x3fb8aa3b, v109 :: v_dual_mul_f32 v76, 0x3fb8aa3b, v76
	s_delay_alu instid0(VALU_DEP_2) | instskip(NEXT) | instid1(VALU_DEP_2)
	v_mul_f32_e32 v111, 0x3fb8aa3b, v101
	v_exp_f32_e32 v109, v109
	s_delay_alu instid0(VALU_DEP_2)
	v_exp_f32_e32 v110, v76
	v_sub_f32_e32 v76, v102, v75
	ds_load_2addr_b32 v[101:102], v90 offset0:204 offset1:221
	v_exp_f32_e32 v111, v111
	v_mul_f32_e32 v112, 0x3fb8aa3b, v76
	s_waitcnt lgkmcnt(2)
	v_fma_f32 v76, v110, v107, 0
	v_sub_f32_e32 v103, v103, v75
	s_delay_alu instid0(VALU_DEP_3) | instskip(NEXT) | instid1(VALU_DEP_2)
	v_exp_f32_e32 v112, v112
	v_dual_sub_f32 v107, v104, v75 :: v_dual_fmac_f32 v76, v109, v108
	s_waitcnt lgkmcnt(1)
	s_waitcnt_depctr 0xfff
	v_fmac_f32_e32 v76, v111, v99
	v_mul_f32_e32 v113, 0x3fb8aa3b, v103
	ds_load_2addr_b32 v[103:104], v90 offset0:238 offset1:255
	v_sub_f32_e32 v90, v105, v75
	v_dual_sub_f32 v99, v106, v75 :: v_dual_fmac_f32 v76, v112, v100
	v_mul_f32_e32 v105, 0x3fb8aa3b, v107
	v_exp_f32_e32 v107, v113
	s_delay_alu instid0(VALU_DEP_2)
	v_dual_mul_f32 v90, 0x3fb8aa3b, v90 :: v_dual_mul_f32 v99, 0x3fb8aa3b, v99
	s_waitcnt lgkmcnt(0)
	s_barrier
	buffer_gl0_inv
	v_exp_f32_e32 v90, v90
	v_exp_f32_e32 v99, v99
	v_fmac_f32_e32 v76, v107, v101
	v_exp_f32_e32 v105, v105
	s_waitcnt_depctr 0xfff
	v_fmac_f32_e32 v76, v105, v102
	s_delay_alu instid0(VALU_DEP_1) | instskip(NEXT) | instid1(VALU_DEP_1)
	v_fmac_f32_e32 v76, v90, v103
	v_fmac_f32_e32 v76, v99, v104
	s_delay_alu instid0(VALU_DEP_1) | instskip(NEXT) | instid1(VALU_DEP_1)
	v_add_f32_e32 v100, 0x358637bd, v76
	v_div_scale_f32 v101, null, v100, v100, 1.0
	v_div_scale_f32 v104, vcc_lo, 1.0, v100, 1.0
	s_delay_alu instid0(VALU_DEP_2) | instskip(SKIP_2) | instid1(VALU_DEP_1)
	v_rcp_f32_e32 v102, v101
	s_waitcnt_depctr 0xfff
	v_fma_f32 v103, -v101, v102, 1.0
	v_fmac_f32_e32 v102, v103, v102
	v_cndmask_b32_e64 v103, v110, v109, s3
	v_cmp_eq_u32_e64 s3, 2, v74
	s_delay_alu instid0(VALU_DEP_3) | instskip(NEXT) | instid1(VALU_DEP_2)
	v_mul_f32_e32 v106, v104, v102
	v_cndmask_b32_e64 v103, v103, v111, s3
	v_cmp_eq_u32_e64 s3, 3, v74
	s_delay_alu instid0(VALU_DEP_3) | instskip(NEXT) | instid1(VALU_DEP_2)
	v_fma_f32 v108, -v101, v106, v104
	v_cndmask_b32_e64 v103, v103, v112, s3
	v_cmp_eq_u32_e64 s3, 4, v74
	s_delay_alu instid0(VALU_DEP_3) | instskip(NEXT) | instid1(VALU_DEP_2)
	v_fmac_f32_e32 v106, v108, v102
	v_cndmask_b32_e64 v103, v103, v107, s3
	s_delay_alu instid0(VALU_DEP_2) | instskip(SKIP_1) | instid1(VALU_DEP_2)
	v_fma_f32 v101, -v101, v106, v104
	v_cmp_eq_u32_e64 s3, 5, v74
	v_div_fmas_f32 v101, v101, v102, v106
	s_delay_alu instid0(VALU_DEP_2) | instskip(SKIP_2) | instid1(VALU_DEP_3)
	v_cndmask_b32_e64 v103, v103, v105, s3
	v_cmp_eq_u32_e32 vcc_lo, 6, v74
	s_mov_b32 s3, exec_lo
	v_div_fixup_f32 v100, v101, v100, 1.0
	s_delay_alu instid0(VALU_DEP_3) | instskip(SKIP_1) | instid1(VALU_DEP_2)
	v_cndmask_b32_e32 v90, v103, v90, vcc_lo
	v_cmp_eq_u32_e32 vcc_lo, 7, v74
	v_cndmask_b32_e32 v90, v90, v99, vcc_lo
	s_delay_alu instid0(VALU_DEP_1) | instskip(NEXT) | instid1(VALU_DEP_1)
	v_mul_f32_e32 v90, v90, v100
	v_mul_f32_e32 v100, v90, v92
	;; [unrolled: 1-line block ×6, first 2 shown]
	v_and_b32_e32 v101, 0x7f800000, v100
	v_mul_f32_e32 v99, v90, v95
	v_mul_f32_e32 v95, v90, v91
	;; [unrolled: 1-line block ×3, first 2 shown]
                                        ; implicit-def: $vgpr91
	s_delay_alu instid0(VALU_DEP_4)
	v_cmpx_ne_u32_e32 0x7f800000, v101
	s_xor_b32 s3, exec_lo, s3
; %bb.15:
	v_bfe_u32 v91, v100, 16, 1
	s_delay_alu instid0(VALU_DEP_1)
	v_add3_u32 v91, v100, v91, 0x7fff
                                        ; implicit-def: $vgpr100
; %bb.16:
	s_and_not1_saveexec_b32 s3, s3
; %bb.17:
	v_and_b32_e32 v91, 0xffff, v100
	v_or_b32_e32 v93, 0x10000, v100
	s_delay_alu instid0(VALU_DEP_2) | instskip(NEXT) | instid1(VALU_DEP_2)
	v_cmp_eq_u32_e32 vcc_lo, 0, v91
	v_cndmask_b32_e32 v91, v93, v100, vcc_lo
; %bb.18:
	s_or_b32 exec_lo, exec_lo, s3
	v_and_b32_e32 v93, 0x7f800000, v95
	s_delay_alu instid0(VALU_DEP_1) | instskip(SKIP_1) | instid1(SALU_CYCLE_1)
	v_cmp_ne_u32_e32 vcc_lo, 0x7f800000, v93
                                        ; implicit-def: $vgpr93
	s_and_saveexec_b32 s3, vcc_lo
	s_xor_b32 s3, exec_lo, s3
; %bb.19:
	v_bfe_u32 v93, v95, 16, 1
	s_delay_alu instid0(VALU_DEP_1)
	v_add3_u32 v93, v95, v93, 0x7fff
                                        ; implicit-def: $vgpr95
; %bb.20:
	s_and_not1_saveexec_b32 s3, s3
; %bb.21:
	v_and_b32_e32 v93, 0xffff, v95
	v_or_b32_e32 v100, 0x10000, v95
	s_delay_alu instid0(VALU_DEP_2) | instskip(NEXT) | instid1(VALU_DEP_2)
	v_cmp_eq_u32_e32 vcc_lo, 0, v93
	v_cndmask_b32_e32 v93, v100, v95, vcc_lo
; %bb.22:
	s_or_b32 exec_lo, exec_lo, s3
	v_and_b32_e32 v95, 0x7f800000, v96
	s_delay_alu instid0(VALU_DEP_1) | instskip(SKIP_1) | instid1(SALU_CYCLE_1)
	v_cmp_ne_u32_e32 vcc_lo, 0x7f800000, v95
                                        ; implicit-def: $vgpr95
	s_and_saveexec_b32 s3, vcc_lo
	s_xor_b32 s3, exec_lo, s3
; %bb.23:
	v_bfe_u32 v95, v96, 16, 1
	s_delay_alu instid0(VALU_DEP_1)
	v_add3_u32 v95, v96, v95, 0x7fff
                                        ; implicit-def: $vgpr96
; %bb.24:
	s_and_not1_saveexec_b32 s3, s3
; %bb.25:
	v_and_b32_e32 v95, 0xffff, v96
	v_or_b32_e32 v100, 0x10000, v96
	s_delay_alu instid0(VALU_DEP_2) | instskip(NEXT) | instid1(VALU_DEP_2)
	v_cmp_eq_u32_e32 vcc_lo, 0, v95
	v_cndmask_b32_e32 v95, v100, v96, vcc_lo
; %bb.26:
	s_or_b32 exec_lo, exec_lo, s3
	v_and_b32_e32 v96, 0x7f800000, v99
	s_delay_alu instid0(VALU_DEP_1) | instskip(SKIP_1) | instid1(SALU_CYCLE_1)
	v_cmp_ne_u32_e32 vcc_lo, 0x7f800000, v96
                                        ; implicit-def: $vgpr96
	s_and_saveexec_b32 s3, vcc_lo
	s_xor_b32 s3, exec_lo, s3
; %bb.27:
	v_bfe_u32 v96, v99, 16, 1
	s_delay_alu instid0(VALU_DEP_1)
	v_add3_u32 v96, v99, v96, 0x7fff
                                        ; implicit-def: $vgpr99
; %bb.28:
	s_and_not1_saveexec_b32 s3, s3
; %bb.29:
	v_and_b32_e32 v96, 0xffff, v99
	v_or_b32_e32 v100, 0x10000, v99
	s_delay_alu instid0(VALU_DEP_2) | instskip(NEXT) | instid1(VALU_DEP_2)
	v_cmp_eq_u32_e32 vcc_lo, 0, v96
	v_cndmask_b32_e32 v96, v100, v99, vcc_lo
; %bb.30:
	s_or_b32 exec_lo, exec_lo, s3
	v_and_b32_e32 v99, 0x7f800000, v98
	s_delay_alu instid0(VALU_DEP_1) | instskip(SKIP_1) | instid1(SALU_CYCLE_1)
	v_cmp_ne_u32_e32 vcc_lo, 0x7f800000, v99
                                        ; implicit-def: $vgpr99
	s_and_saveexec_b32 s3, vcc_lo
	s_xor_b32 s3, exec_lo, s3
; %bb.31:
	v_bfe_u32 v99, v98, 16, 1
	s_delay_alu instid0(VALU_DEP_1)
	v_add3_u32 v99, v98, v99, 0x7fff
                                        ; implicit-def: $vgpr98
; %bb.32:
	s_and_not1_saveexec_b32 s3, s3
; %bb.33:
	v_and_b32_e32 v99, 0xffff, v98
	v_or_b32_e32 v100, 0x10000, v98
	s_delay_alu instid0(VALU_DEP_2) | instskip(NEXT) | instid1(VALU_DEP_2)
	v_cmp_eq_u32_e32 vcc_lo, 0, v99
	v_cndmask_b32_e32 v99, v100, v98, vcc_lo
; %bb.34:
	s_or_b32 exec_lo, exec_lo, s3
	v_and_b32_e32 v98, 0x7f800000, v97
	s_delay_alu instid0(VALU_DEP_1) | instskip(SKIP_1) | instid1(SALU_CYCLE_1)
	v_cmp_ne_u32_e32 vcc_lo, 0x7f800000, v98
                                        ; implicit-def: $vgpr98
	s_and_saveexec_b32 s3, vcc_lo
	s_xor_b32 s3, exec_lo, s3
; %bb.35:
	v_bfe_u32 v98, v97, 16, 1
	s_delay_alu instid0(VALU_DEP_1)
	v_add3_u32 v98, v97, v98, 0x7fff
                                        ; implicit-def: $vgpr97
; %bb.36:
	s_and_not1_saveexec_b32 s3, s3
; %bb.37:
	v_and_b32_e32 v98, 0xffff, v97
	v_or_b32_e32 v100, 0x10000, v97
	s_delay_alu instid0(VALU_DEP_2) | instskip(NEXT) | instid1(VALU_DEP_2)
	v_cmp_eq_u32_e32 vcc_lo, 0, v98
	v_cndmask_b32_e32 v98, v100, v97, vcc_lo
; %bb.38:
	s_or_b32 exec_lo, exec_lo, s3
	v_and_b32_e32 v97, 0x7f800000, v94
	s_delay_alu instid0(VALU_DEP_1) | instskip(SKIP_1) | instid1(SALU_CYCLE_1)
	v_cmp_ne_u32_e32 vcc_lo, 0x7f800000, v97
                                        ; implicit-def: $vgpr97
	s_and_saveexec_b32 s3, vcc_lo
	s_xor_b32 s3, exec_lo, s3
; %bb.39:
	v_bfe_u32 v97, v94, 16, 1
	s_delay_alu instid0(VALU_DEP_1)
	v_add3_u32 v97, v94, v97, 0x7fff
                                        ; implicit-def: $vgpr94
; %bb.40:
	s_and_not1_saveexec_b32 s3, s3
; %bb.41:
	v_and_b32_e32 v97, 0xffff, v94
	v_or_b32_e32 v100, 0x10000, v94
	s_delay_alu instid0(VALU_DEP_2) | instskip(NEXT) | instid1(VALU_DEP_2)
	v_cmp_eq_u32_e32 vcc_lo, 0, v97
	v_cndmask_b32_e32 v97, v100, v94, vcc_lo
; %bb.42:
	s_or_b32 exec_lo, exec_lo, s3
	v_and_b32_e32 v94, 0x7f800000, v92
	s_delay_alu instid0(VALU_DEP_1) | instskip(SKIP_1) | instid1(SALU_CYCLE_1)
	v_cmp_ne_u32_e32 vcc_lo, 0x7f800000, v94
                                        ; implicit-def: $vgpr94
	s_and_saveexec_b32 s3, vcc_lo
	s_xor_b32 s3, exec_lo, s3
; %bb.43:
	v_bfe_u32 v94, v92, 16, 1
	s_delay_alu instid0(VALU_DEP_1)
	v_add3_u32 v94, v92, v94, 0x7fff
                                        ; implicit-def: $vgpr92
; %bb.44:
	s_and_not1_saveexec_b32 s3, s3
; %bb.45:
	v_and_b32_e32 v94, 0xffff, v92
	v_or_b32_e32 v100, 0x10000, v92
	s_delay_alu instid0(VALU_DEP_2) | instskip(NEXT) | instid1(VALU_DEP_2)
	v_cmp_eq_u32_e32 vcc_lo, 0, v94
	v_cndmask_b32_e32 v94, v100, v92, vcc_lo
; %bb.46:
	s_or_b32 exec_lo, exec_lo, s3
	s_load_b64 s[34:35], s[0:1], 0x94
	v_lshlrev_b32_e32 v92, 4, v83
	s_delay_alu instid0(VALU_DEP_2)
	v_perm_b32 v100, v94, v97, 0x7060302
	v_dual_mul_f32 v89, v90, v89 :: v_dual_lshlrev_b32 v94, 11, v74
	v_perm_b32 v97, v93, v91, 0x7060302
	v_mul_f32_e32 v93, v90, v77
	v_perm_b32 v99, v98, v99, 0x7060302
	v_perm_b32 v98, v96, v95, 0x7060302
	v_or3_b32 v77, v92, v94, v85
	v_mul_f32_e32 v88, v90, v88
	v_dual_mul_f32 v87, v90, v87 :: v_dual_and_b32 v94, 0x7f800000, v93
	v_mul_f32_e32 v86, v90, v86
	v_mul_f32_e32 v91, v90, v80
	;; [unrolled: 1-line block ×4, first 2 shown]
	s_mov_b32 s3, exec_lo
	ds_store_b128 v77, v[97:100]
                                        ; implicit-def: $vgpr78
	v_cmpx_ne_u32_e32 0x7f800000, v94
	s_xor_b32 s3, exec_lo, s3
; %bb.47:
	v_bfe_u32 v78, v93, 16, 1
	s_delay_alu instid0(VALU_DEP_1)
	v_add3_u32 v78, v93, v78, 0x7fff
                                        ; implicit-def: $vgpr93
; %bb.48:
	s_and_not1_saveexec_b32 s3, s3
; %bb.49:
	v_and_b32_e32 v78, 0xffff, v93
	v_or_b32_e32 v79, 0x10000, v93
	s_delay_alu instid0(VALU_DEP_2) | instskip(NEXT) | instid1(VALU_DEP_2)
	v_cmp_eq_u32_e32 vcc_lo, 0, v78
	v_cndmask_b32_e32 v78, v79, v93, vcc_lo
; %bb.50:
	s_or_b32 exec_lo, exec_lo, s3
	v_and_b32_e32 v79, 0x7f800000, v80
	s_delay_alu instid0(VALU_DEP_1) | instskip(SKIP_1) | instid1(SALU_CYCLE_1)
	v_cmp_ne_u32_e32 vcc_lo, 0x7f800000, v79
                                        ; implicit-def: $vgpr79
	s_and_saveexec_b32 s3, vcc_lo
	s_xor_b32 s3, exec_lo, s3
; %bb.51:
	v_bfe_u32 v79, v80, 16, 1
	s_delay_alu instid0(VALU_DEP_1)
	v_add3_u32 v79, v80, v79, 0x7fff
                                        ; implicit-def: $vgpr80
; %bb.52:
	s_and_not1_saveexec_b32 s3, s3
; %bb.53:
	v_and_b32_e32 v79, 0xffff, v80
	v_or_b32_e32 v90, 0x10000, v80
	s_delay_alu instid0(VALU_DEP_2) | instskip(NEXT) | instid1(VALU_DEP_2)
	v_cmp_eq_u32_e32 vcc_lo, 0, v79
	v_cndmask_b32_e32 v79, v90, v80, vcc_lo
; %bb.54:
	s_or_b32 exec_lo, exec_lo, s3
	v_and_b32_e32 v80, 0x7f800000, v92
	s_delay_alu instid0(VALU_DEP_1) | instskip(SKIP_1) | instid1(SALU_CYCLE_1)
	v_cmp_ne_u32_e32 vcc_lo, 0x7f800000, v80
                                        ; implicit-def: $vgpr80
	s_and_saveexec_b32 s3, vcc_lo
	s_xor_b32 s3, exec_lo, s3
; %bb.55:
	v_bfe_u32 v80, v92, 16, 1
	s_delay_alu instid0(VALU_DEP_1)
	v_add3_u32 v80, v92, v80, 0x7fff
                                        ; implicit-def: $vgpr92
; %bb.56:
	s_and_not1_saveexec_b32 s3, s3
; %bb.57:
	v_and_b32_e32 v80, 0xffff, v92
	v_or_b32_e32 v90, 0x10000, v92
	s_delay_alu instid0(VALU_DEP_2) | instskip(NEXT) | instid1(VALU_DEP_2)
	v_cmp_eq_u32_e32 vcc_lo, 0, v80
	v_cndmask_b32_e32 v80, v90, v92, vcc_lo
; %bb.58:
	s_or_b32 exec_lo, exec_lo, s3
	v_and_b32_e32 v90, 0x7f800000, v91
	s_delay_alu instid0(VALU_DEP_1) | instskip(SKIP_1) | instid1(SALU_CYCLE_1)
	v_cmp_ne_u32_e32 vcc_lo, 0x7f800000, v90
                                        ; implicit-def: $vgpr90
	s_and_saveexec_b32 s3, vcc_lo
	s_xor_b32 s3, exec_lo, s3
; %bb.59:
	v_bfe_u32 v90, v91, 16, 1
	s_delay_alu instid0(VALU_DEP_1)
	v_add3_u32 v90, v91, v90, 0x7fff
                                        ; implicit-def: $vgpr91
; %bb.60:
	s_and_not1_saveexec_b32 s3, s3
; %bb.61:
	v_and_b32_e32 v90, 0xffff, v91
	v_or_b32_e32 v92, 0x10000, v91
	s_delay_alu instid0(VALU_DEP_2) | instskip(NEXT) | instid1(VALU_DEP_2)
	v_cmp_eq_u32_e32 vcc_lo, 0, v90
	v_cndmask_b32_e32 v90, v92, v91, vcc_lo
; %bb.62:
	s_or_b32 exec_lo, exec_lo, s3
	v_and_b32_e32 v91, 0x7f800000, v86
	s_delay_alu instid0(VALU_DEP_1) | instskip(SKIP_1) | instid1(SALU_CYCLE_1)
	v_cmp_ne_u32_e32 vcc_lo, 0x7f800000, v91
                                        ; implicit-def: $vgpr91
	s_and_saveexec_b32 s3, vcc_lo
	s_xor_b32 s3, exec_lo, s3
; %bb.63:
	v_bfe_u32 v91, v86, 16, 1
	s_delay_alu instid0(VALU_DEP_1)
	v_add3_u32 v91, v86, v91, 0x7fff
                                        ; implicit-def: $vgpr86
; %bb.64:
	s_and_not1_saveexec_b32 s3, s3
; %bb.65:
	v_and_b32_e32 v91, 0xffff, v86
	v_or_b32_e32 v92, 0x10000, v86
	s_delay_alu instid0(VALU_DEP_2) | instskip(NEXT) | instid1(VALU_DEP_2)
	v_cmp_eq_u32_e32 vcc_lo, 0, v91
	v_cndmask_b32_e32 v91, v92, v86, vcc_lo
; %bb.66:
	s_or_b32 exec_lo, exec_lo, s3
	v_and_b32_e32 v86, 0x7f800000, v87
	s_delay_alu instid0(VALU_DEP_1) | instskip(SKIP_1) | instid1(SALU_CYCLE_1)
	v_cmp_ne_u32_e32 vcc_lo, 0x7f800000, v86
                                        ; implicit-def: $vgpr86
	s_and_saveexec_b32 s3, vcc_lo
	s_xor_b32 s3, exec_lo, s3
; %bb.67:
	v_bfe_u32 v86, v87, 16, 1
	s_delay_alu instid0(VALU_DEP_1)
	v_add3_u32 v86, v87, v86, 0x7fff
                                        ; implicit-def: $vgpr87
; %bb.68:
	s_and_not1_saveexec_b32 s3, s3
; %bb.69:
	v_and_b32_e32 v86, 0xffff, v87
	v_or_b32_e32 v92, 0x10000, v87
	s_delay_alu instid0(VALU_DEP_2) | instskip(NEXT) | instid1(VALU_DEP_2)
	v_cmp_eq_u32_e32 vcc_lo, 0, v86
	v_cndmask_b32_e32 v86, v92, v87, vcc_lo
; %bb.70:
	s_or_b32 exec_lo, exec_lo, s3
	v_and_b32_e32 v87, 0x7f800000, v88
	s_delay_alu instid0(VALU_DEP_1) | instskip(SKIP_1) | instid1(SALU_CYCLE_1)
	v_cmp_ne_u32_e32 vcc_lo, 0x7f800000, v87
                                        ; implicit-def: $vgpr87
	s_and_saveexec_b32 s3, vcc_lo
	s_xor_b32 s3, exec_lo, s3
; %bb.71:
	v_bfe_u32 v87, v88, 16, 1
	s_delay_alu instid0(VALU_DEP_1)
	v_add3_u32 v87, v88, v87, 0x7fff
                                        ; implicit-def: $vgpr88
; %bb.72:
	s_and_not1_saveexec_b32 s3, s3
; %bb.73:
	v_and_b32_e32 v87, 0xffff, v88
	v_or_b32_e32 v92, 0x10000, v88
	s_delay_alu instid0(VALU_DEP_2) | instskip(NEXT) | instid1(VALU_DEP_2)
	v_cmp_eq_u32_e32 vcc_lo, 0, v87
	v_cndmask_b32_e32 v87, v92, v88, vcc_lo
; %bb.74:
	s_or_b32 exec_lo, exec_lo, s3
	v_and_b32_e32 v88, 0x7f800000, v89
	s_delay_alu instid0(VALU_DEP_1) | instskip(SKIP_1) | instid1(SALU_CYCLE_1)
	v_cmp_ne_u32_e32 vcc_lo, 0x7f800000, v88
                                        ; implicit-def: $vgpr88
	s_and_saveexec_b32 s3, vcc_lo
	s_xor_b32 s3, exec_lo, s3
; %bb.75:
	v_bfe_u32 v88, v89, 16, 1
	s_delay_alu instid0(VALU_DEP_1)
	v_add3_u32 v88, v89, v88, 0x7fff
                                        ; implicit-def: $vgpr89
; %bb.76:
	s_and_not1_saveexec_b32 s3, s3
; %bb.77:
	v_and_b32_e32 v88, 0xffff, v89
	v_or_b32_e32 v92, 0x10000, v89
	s_delay_alu instid0(VALU_DEP_2) | instskip(NEXT) | instid1(VALU_DEP_2)
	v_cmp_eq_u32_e32 vcc_lo, 0, v88
	v_cndmask_b32_e32 v88, v92, v89, vcc_lo
; %bb.78:
	s_or_b32 exec_lo, exec_lo, s3
	s_delay_alu instid0(VALU_DEP_1)
	v_perm_b32 v89, v88, v87, 0x7060302
	v_perm_b32 v88, v86, v91, 0x7060302
	;; [unrolled: 1-line block ×4, first 2 shown]
	v_lshl_or_b32 v90, v74, 11, v85
	ds_store_b128 v77, v[86:89] offset:1024
	s_waitcnt lgkmcnt(0)
	s_barrier
	buffer_gl0_inv
	ds_load_b128 v[91:94], v90
	ds_load_b128 v[95:98], v90 offset:16
	v_lshlrev_b32_e32 v87, 2, v83
	s_delay_alu instid0(VALU_DEP_1)
	v_or_b32_e32 v88, 1, v87
	v_cmp_eq_u32_e32 vcc_lo, 1, v87
	v_cmp_eq_u32_e64 s4, 2, v87
	v_cmp_eq_u32_e64 s7, 3, v87
	;; [unrolled: 1-line block ×6, first 2 shown]
	v_or_b32_e32 v86, 2, v87
	v_cmp_eq_u32_e64 s10, 5, v87
	v_cmp_eq_u32_e64 s11, 4, v88
	;; [unrolled: 1-line block ×4, first 2 shown]
	s_waitcnt lgkmcnt(1)
	v_lshrrev_b32_e32 v74, 16, v91
	s_waitcnt lgkmcnt(0)
	v_lshrrev_b32_e32 v103, 16, v95
	v_lshrrev_b32_e32 v80, 16, v94
	;; [unrolled: 1-line block ×4, first 2 shown]
	v_cndmask_b32_e32 v89, v91, v74, vcc_lo
	v_cndmask_b32_e32 v99, v95, v103, vcc_lo
	v_cndmask_b32_e64 v100, v91, v74, s3
	v_lshrrev_b32_e32 v79, 16, v93
	v_lshrrev_b32_e32 v108, 16, v97
	v_cndmask_b32_e64 v89, v89, v92, s4
	v_cndmask_b32_e64 v99, v99, v96, s4
	;; [unrolled: 1-line block ×4, first 2 shown]
	v_cmp_eq_u32_e64 s5, 1, v86
	v_cndmask_b32_e64 v89, v89, v78, s7
	v_cndmask_b32_e64 v99, v99, v107, s7
	;; [unrolled: 1-line block ×4, first 2 shown]
	v_lshrrev_b32_e32 v109, 16, v98
	v_cndmask_b32_e64 v89, v89, v93, s9
	v_cndmask_b32_e64 v99, v99, v97, s9
	;; [unrolled: 1-line block ×8, first 2 shown]
	v_cmp_eq_u32_e64 s15, 7, v87
	v_cmp_eq_u32_e64 s16, 6, v88
	v_cndmask_b32_e64 v89, v89, v94, s12
	v_cndmask_b32_e64 v99, v99, v98, s12
	v_cmp_eq_u32_e64 s17, 2, v86
	v_cndmask_b32_e64 v101, v101, v97, s11
	v_cndmask_b32_e64 v100, v100, v94, s16
	;; [unrolled: 1-line block ×6, first 2 shown]
	v_cmp_eq_u32_e64 s18, 7, v88
	v_cmp_eq_u32_e64 s19, 3, v86
	;; [unrolled: 1-line block ×4, first 2 shown]
	v_cndmask_b32_e64 v99, v99, v96, s17
	v_cndmask_b32_e64 v112, v100, v80, s18
	;; [unrolled: 1-line block ×4, first 2 shown]
	v_or_b32_e32 v89, 3, v87
	v_cndmask_b32_e64 v105, v99, v107, s19
	v_cmp_eq_u32_e64 s24, 6, v86
	v_cndmask_b32_e64 v113, v100, v98, s16
	v_cndmask_b32_e64 v104, v101, v93, s20
	ds_load_b128 v[99:102], v90 offset:1024
	v_cmp_eq_u32_e64 s21, 1, v89
	v_cmp_eq_u32_e64 s23, 2, v89
	;; [unrolled: 1-line block ×3, first 2 shown]
	v_cndmask_b32_e64 v114, v104, v79, s22
	v_cmp_eq_u32_e64 s26, 4, v89
	v_cndmask_b32_e64 v74, v91, v74, s21
	v_cndmask_b32_e64 v91, v105, v97, s20
	;; [unrolled: 1-line block ×3, first 2 shown]
	ds_load_b128 v[103:106], v90 offset:1040
	v_cmp_eq_u32_e64 s28, 5, v89
	v_cndmask_b32_e64 v74, v74, v92, s23
	v_cndmask_b32_e64 v91, v91, v108, s22
	;; [unrolled: 1-line block ×3, first 2 shown]
	v_cmp_eq_u32_e64 s29, 6, v89
	v_cndmask_b32_e64 v95, v113, v109, s18
	v_cndmask_b32_e64 v74, v74, v78, s25
	;; [unrolled: 1-line block ×5, first 2 shown]
	s_waitcnt lgkmcnt(1)
	v_lshrrev_b32_e32 v96, 16, v99
	v_cndmask_b32_e64 v74, v74, v93, s26
	v_lshrrev_b32_e32 v107, 16, v100
	v_cndmask_b32_e64 v92, v92, v97, s26
	v_cmp_eq_u32_e64 s27, 7, v86
	v_cndmask_b32_e32 v93, v99, v96, vcc_lo
	v_cndmask_b32_e64 v74, v74, v79, s28
	s_delay_alu instid0(VALU_DEP_4)
	v_cndmask_b32_e64 v79, v92, v108, s28
	s_waitcnt lgkmcnt(0)
	v_lshrrev_b32_e32 v97, 16, v103
	v_cndmask_b32_e64 v92, v93, v100, s4
	v_cndmask_b32_e64 v93, v99, v96, s3
	;; [unrolled: 1-line block ×4, first 2 shown]
	v_cndmask_b32_e32 v108, v103, v97, vcc_lo
	v_cndmask_b32_e64 v92, v92, v107, s7
	v_cndmask_b32_e64 v93, v93, v100, s6
	v_lshrrev_b32_e32 v98, 16, v104
	v_cmp_eq_u32_e32 vcc_lo, 7, v89
	v_cndmask_b32_e64 v94, v108, v104, s4
	v_cndmask_b32_e64 v92, v92, v101, s9
	v_lshrrev_b32_e32 v108, 16, v101
	v_cndmask_b32_e64 v93, v93, v107, s8
	v_cndmask_b32_e32 v74, v74, v80, vcc_lo
	v_cndmask_b32_e64 v94, v94, v98, s7
	v_cndmask_b32_e32 v79, v79, v109, vcc_lo
	v_cndmask_b32_e64 v92, v92, v108, s10
	v_cndmask_b32_e64 v78, v78, v80, s27
	;; [unrolled: 1-line block ×4, first 2 shown]
	v_perm_b32 v94, v79, v74, 0x5040100
	v_cndmask_b32_e64 v79, v92, v102, s12
	v_perm_b32 v92, v95, v112, 0x5040100
	v_cndmask_b32_e64 v95, v99, v96, s5
	v_cndmask_b32_e64 v96, v99, v96, s21
	;; [unrolled: 1-line block ×16, first 2 shown]
	v_lshrrev_b32_e32 v109, 16, v105
	v_cndmask_b32_e64 v95, v95, v101, s20
	v_cndmask_b32_e64 v96, v96, v101, s26
	;; [unrolled: 1-line block ×6, first 2 shown]
	v_lshrrev_b32_e32 v80, 16, v102
	v_cndmask_b32_e64 v113, v93, v109, s10
	v_cndmask_b32_e64 v95, v95, v108, s22
	;; [unrolled: 1-line block ×6, first 2 shown]
	v_perm_b32 v93, v91, v78, 0x5040100
	v_cndmask_b32_e64 v74, v74, v102, s16
	v_cndmask_b32_e64 v78, v79, v80, s15
	;; [unrolled: 1-line block ×3, first 2 shown]
	v_lshrrev_b32_e32 v91, 16, v106
	v_cndmask_b32_e64 v95, v95, v102, s24
	v_cndmask_b32_e64 v96, v96, v102, s29
	;; [unrolled: 1-line block ×7, first 2 shown]
	v_cndmask_b32_e32 v80, v96, v80, vcc_lo
	v_cndmask_b32_e32 v96, v98, v91, vcc_lo
	v_cndmask_b32_e64 v99, v99, v91, s27
	v_cndmask_b32_e64 v100, v97, v91, s18
	;; [unrolled: 1-line block ×3, first 2 shown]
	v_perm_b32 v91, v111, v110, 0x5040100
	v_perm_b32 v98, v96, v80, 0x5040100
	;; [unrolled: 1-line block ×5, first 2 shown]
	s_mul_i32 s8, s35, 10
	s_mov_b32 s3, exec_lo
	ds_store_b128 v77, v[91:94]
	ds_store_b128 v77, v[95:98] offset:1024
	v_cmpx_gt_u32_e32 10, v0
	s_cbranch_execz .LBB507_80
; %bb.79:
	s_mul_i32 s4, s8, s30
	s_delay_alu instid0(SALU_CYCLE_1) | instskip(SKIP_1) | instid1(VALU_DEP_1)
	v_add3_u32 v77, s4, s31, v73
	s_load_b128 s[4:7], s[0:1], 0x58
	v_mad_u64_u32 v[73:74], null, v77, s34, s[14:15]
	s_delay_alu instid0(VALU_DEP_1) | instskip(NEXT) | instid1(VALU_DEP_1)
	v_ashrrev_i32_e32 v74, 31, v73
	v_lshlrev_b64 v[73:74], 2, v[73:74]
	s_waitcnt lgkmcnt(0)
	s_delay_alu instid0(VALU_DEP_1) | instskip(NEXT) | instid1(VALU_DEP_2)
	v_add_co_u32 v77, vcc_lo, s6, v73
	v_add_co_ci_u32_e32 v78, vcc_lo, s7, v74, vcc_lo
	v_add_co_u32 v73, vcc_lo, s4, v73
	v_add_co_ci_u32_e32 v74, vcc_lo, s5, v74, vcc_lo
	global_store_b32 v[77:78], v75, off
	global_store_b32 v[73:74], v76, off
.LBB507_80:
	s_or_b32 exec_lo, exec_lo, s3
	s_waitcnt lgkmcnt(0)
	s_waitcnt_vscnt null, 0x0
	s_barrier
	buffer_gl0_inv
	ds_load_b128 v[91:94], v85
	ds_load_b128 v[95:98], v85 offset:16
	ds_load_b128 v[103:106], v85 offset:1040
	;; [unrolled: 1-line block ×3, first 2 shown]
	v_mov_b32_e32 v73, 0
	ds_load_b128 v[111:114], v85 offset:2064
	ds_load_b128 v[107:110], v85 offset:2048
	;; [unrolled: 1-line block ×6, first 2 shown]
	v_mov_b32_e32 v74, v73
	v_mov_b32_e32 v75, v73
	;; [unrolled: 1-line block ×7, first 2 shown]
	s_waitcnt lgkmcnt(8)
	s_delay_alu instid0(VALU_DEP_1)
	v_wmma_f32_16x16x16_bf16 v[73:80], v[65:72], v[91:98], v[73:80]
	ds_load_b128 v[69:72], v85 offset:5136
	ds_load_b128 v[65:68], v85 offset:5120
	;; [unrolled: 1-line block ×4, first 2 shown]
	s_waitcnt lgkmcnt(10)
	v_wmma_f32_16x16x16_bf16 v[73:80], v[57:64], v[99:106], v[73:80]
	s_waitcnt lgkmcnt(8)
	s_delay_alu instid0(VALU_DEP_1)
	v_wmma_f32_16x16x16_bf16 v[73:80], v[57:64], v[107:114], v[73:80]
	ds_load_b128 v[61:64], v85 offset:7184
	ds_load_b128 v[57:60], v85 offset:7168
	;; [unrolled: 1-line block ×4, first 2 shown]
	s_waitcnt lgkmcnt(10)
	v_wmma_f32_16x16x16_bf16 v[73:80], v[49:56], v[115:122], v[73:80]
	s_waitcnt lgkmcnt(8)
	s_delay_alu instid0(VALU_DEP_1)
	v_wmma_f32_16x16x16_bf16 v[73:80], v[49:56], v[123:130], v[73:80]
	ds_load_b128 v[53:56], v85 offset:9232
	ds_load_b128 v[49:52], v85 offset:9216
	s_waitcnt lgkmcnt(8)
	v_wmma_f32_16x16x16_bf16 v[73:80], v[41:48], v[65:72], v[73:80]
	ds_load_b128 v[69:72], v85 offset:10256
	ds_load_b128 v[65:68], v85 offset:10240
	s_waitcnt lgkmcnt(8)
	;; [unrolled: 4-line block ×3, first 2 shown]
	v_wmma_f32_16x16x16_bf16 v[73:80], v[9:16], v[57:64], v[73:80]
	s_waitcnt lgkmcnt(6)
	s_delay_alu instid0(VALU_DEP_1)
	v_wmma_f32_16x16x16_bf16 v[73:80], v[9:16], v[99:106], v[73:80]
	ds_load_b128 v[13:16], v85 offset:12304
	ds_load_b128 v[9:12], v85 offset:12288
	s_waitcnt lgkmcnt(6)
	v_wmma_f32_16x16x16_bf16 v[73:80], v[1:8], v[49:56], v[73:80]
	ds_load_b128 v[53:56], v85 offset:13328
	ds_load_b128 v[49:52], v85 offset:13312
	s_waitcnt lgkmcnt(6)
	;; [unrolled: 4-line block ×4, first 2 shown]
	v_wmma_f32_16x16x16_bf16 v[73:80], v[33:40], v[9:16], v[73:80]
	s_waitcnt lgkmcnt(4)
	s_delay_alu instid0(VALU_DEP_1) | instskip(SKIP_1) | instid1(VALU_DEP_1)
	v_wmma_f32_16x16x16_bf16 v[73:80], v[25:32], v[49:56], v[73:80]
	s_waitcnt lgkmcnt(2)
	v_wmma_f32_16x16x16_bf16 v[73:80], v[25:32], v[1:8], v[73:80]
	s_waitcnt lgkmcnt(0)
	s_delay_alu instid0(VALU_DEP_1) | instskip(NEXT) | instid1(VALU_DEP_1)
	v_wmma_f32_16x16x16_bf16 v[73:80], v[17:24], v[41:48], v[73:80]
	v_and_b32_e32 v1, 0x7f800000, v73
	s_delay_alu instid0(VALU_DEP_1) | instskip(SKIP_1) | instid1(SALU_CYCLE_1)
	v_cmp_ne_u32_e32 vcc_lo, 0x7f800000, v1
                                        ; implicit-def: $vgpr1
	s_and_saveexec_b32 s3, vcc_lo
	s_xor_b32 s3, exec_lo, s3
; %bb.81:
	v_bfe_u32 v1, v73, 16, 1
	s_delay_alu instid0(VALU_DEP_1)
	v_add3_u32 v1, v73, v1, 0x7fff
; %bb.82:
	s_and_not1_saveexec_b32 s3, s3
; %bb.83:
	v_and_b32_e32 v1, 0xffff, v73
	v_or_b32_e32 v2, 0x10000, v73
	s_delay_alu instid0(VALU_DEP_2) | instskip(NEXT) | instid1(VALU_DEP_2)
	v_cmp_eq_u32_e32 vcc_lo, 0, v1
	v_cndmask_b32_e32 v1, v2, v73, vcc_lo
; %bb.84:
	s_or_b32 exec_lo, exec_lo, s3
	v_and_b32_e32 v2, 0x7f800000, v74
	s_delay_alu instid0(VALU_DEP_1) | instskip(SKIP_1) | instid1(SALU_CYCLE_1)
	v_cmp_ne_u32_e32 vcc_lo, 0x7f800000, v2
                                        ; implicit-def: $vgpr2
	s_and_saveexec_b32 s3, vcc_lo
	s_xor_b32 s3, exec_lo, s3
; %bb.85:
	v_bfe_u32 v2, v74, 16, 1
	s_delay_alu instid0(VALU_DEP_1)
	v_add3_u32 v2, v74, v2, 0x7fff
; %bb.86:
	s_and_not1_saveexec_b32 s3, s3
; %bb.87:
	v_and_b32_e32 v2, 0xffff, v74
	v_or_b32_e32 v3, 0x10000, v74
	s_delay_alu instid0(VALU_DEP_2) | instskip(NEXT) | instid1(VALU_DEP_2)
	v_cmp_eq_u32_e32 vcc_lo, 0, v2
	v_cndmask_b32_e32 v2, v3, v74, vcc_lo
; %bb.88:
	s_or_b32 exec_lo, exec_lo, s3
	v_and_b32_e32 v3, 0x7f800000, v75
	s_delay_alu instid0(VALU_DEP_1) | instskip(SKIP_1) | instid1(SALU_CYCLE_1)
	v_cmp_ne_u32_e32 vcc_lo, 0x7f800000, v3
                                        ; implicit-def: $vgpr3
	s_and_saveexec_b32 s3, vcc_lo
	s_xor_b32 s3, exec_lo, s3
; %bb.89:
	v_bfe_u32 v3, v75, 16, 1
	s_delay_alu instid0(VALU_DEP_1)
	v_add3_u32 v3, v75, v3, 0x7fff
; %bb.90:
	s_and_not1_saveexec_b32 s3, s3
; %bb.91:
	v_and_b32_e32 v3, 0xffff, v75
	v_or_b32_e32 v4, 0x10000, v75
	s_delay_alu instid0(VALU_DEP_2) | instskip(NEXT) | instid1(VALU_DEP_2)
	v_cmp_eq_u32_e32 vcc_lo, 0, v3
	v_cndmask_b32_e32 v3, v4, v75, vcc_lo
; %bb.92:
	s_or_b32 exec_lo, exec_lo, s3
	v_and_b32_e32 v4, 0x7f800000, v76
	s_delay_alu instid0(VALU_DEP_1) | instskip(SKIP_1) | instid1(SALU_CYCLE_1)
	v_cmp_ne_u32_e32 vcc_lo, 0x7f800000, v4
                                        ; implicit-def: $vgpr4
	s_and_saveexec_b32 s3, vcc_lo
	s_xor_b32 s3, exec_lo, s3
; %bb.93:
	v_bfe_u32 v4, v76, 16, 1
	s_delay_alu instid0(VALU_DEP_1)
	v_add3_u32 v4, v76, v4, 0x7fff
; %bb.94:
	s_and_not1_saveexec_b32 s3, s3
; %bb.95:
	v_and_b32_e32 v4, 0xffff, v76
	v_or_b32_e32 v5, 0x10000, v76
	s_delay_alu instid0(VALU_DEP_2) | instskip(NEXT) | instid1(VALU_DEP_2)
	v_cmp_eq_u32_e32 vcc_lo, 0, v4
	v_cndmask_b32_e32 v4, v5, v76, vcc_lo
; %bb.96:
	s_or_b32 exec_lo, exec_lo, s3
	v_and_b32_e32 v5, 0x7f800000, v77
	s_delay_alu instid0(VALU_DEP_1) | instskip(SKIP_1) | instid1(SALU_CYCLE_1)
	v_cmp_ne_u32_e32 vcc_lo, 0x7f800000, v5
                                        ; implicit-def: $vgpr5
	s_and_saveexec_b32 s3, vcc_lo
	s_xor_b32 s3, exec_lo, s3
; %bb.97:
	v_bfe_u32 v5, v77, 16, 1
	s_delay_alu instid0(VALU_DEP_1)
	v_add3_u32 v5, v77, v5, 0x7fff
; %bb.98:
	s_and_not1_saveexec_b32 s3, s3
; %bb.99:
	v_and_b32_e32 v5, 0xffff, v77
	v_or_b32_e32 v6, 0x10000, v77
	s_delay_alu instid0(VALU_DEP_2) | instskip(NEXT) | instid1(VALU_DEP_2)
	v_cmp_eq_u32_e32 vcc_lo, 0, v5
	v_cndmask_b32_e32 v5, v6, v77, vcc_lo
; %bb.100:
	s_or_b32 exec_lo, exec_lo, s3
	v_and_b32_e32 v6, 0x7f800000, v78
	s_delay_alu instid0(VALU_DEP_1) | instskip(SKIP_1) | instid1(SALU_CYCLE_1)
	v_cmp_ne_u32_e32 vcc_lo, 0x7f800000, v6
                                        ; implicit-def: $vgpr6
	s_and_saveexec_b32 s3, vcc_lo
	s_xor_b32 s3, exec_lo, s3
; %bb.101:
	v_bfe_u32 v6, v78, 16, 1
	s_delay_alu instid0(VALU_DEP_1)
	v_add3_u32 v6, v78, v6, 0x7fff
; %bb.102:
	s_and_not1_saveexec_b32 s3, s3
; %bb.103:
	v_and_b32_e32 v6, 0xffff, v78
	v_or_b32_e32 v7, 0x10000, v78
	s_delay_alu instid0(VALU_DEP_2) | instskip(NEXT) | instid1(VALU_DEP_2)
	v_cmp_eq_u32_e32 vcc_lo, 0, v6
	v_cndmask_b32_e32 v6, v7, v78, vcc_lo
; %bb.104:
	s_or_b32 exec_lo, exec_lo, s3
	v_and_b32_e32 v7, 0x7f800000, v79
	s_delay_alu instid0(VALU_DEP_1) | instskip(SKIP_1) | instid1(SALU_CYCLE_1)
	v_cmp_ne_u32_e32 vcc_lo, 0x7f800000, v7
                                        ; implicit-def: $vgpr7
	s_and_saveexec_b32 s3, vcc_lo
	s_xor_b32 s3, exec_lo, s3
; %bb.105:
	v_bfe_u32 v7, v79, 16, 1
	s_delay_alu instid0(VALU_DEP_1)
	v_add3_u32 v7, v79, v7, 0x7fff
; %bb.106:
	s_and_not1_saveexec_b32 s3, s3
; %bb.107:
	v_and_b32_e32 v7, 0xffff, v79
	v_or_b32_e32 v8, 0x10000, v79
	s_delay_alu instid0(VALU_DEP_2) | instskip(NEXT) | instid1(VALU_DEP_2)
	v_cmp_eq_u32_e32 vcc_lo, 0, v7
	v_cndmask_b32_e32 v7, v8, v79, vcc_lo
; %bb.108:
	s_or_b32 exec_lo, exec_lo, s3
	v_and_b32_e32 v8, 0x7f800000, v80
	s_delay_alu instid0(VALU_DEP_1) | instskip(SKIP_1) | instid1(SALU_CYCLE_1)
	v_cmp_ne_u32_e32 vcc_lo, 0x7f800000, v8
                                        ; implicit-def: $vgpr8
	s_and_saveexec_b32 s3, vcc_lo
	s_xor_b32 s3, exec_lo, s3
; %bb.109:
	v_bfe_u32 v8, v80, 16, 1
	s_delay_alu instid0(VALU_DEP_1)
	v_add3_u32 v8, v80, v8, 0x7fff
                                        ; implicit-def: $vgpr73_vgpr74_vgpr75_vgpr76_vgpr77_vgpr78_vgpr79_vgpr80
; %bb.110:
	s_and_not1_saveexec_b32 s3, s3
; %bb.111:
	v_and_b32_e32 v8, 0xffff, v80
	v_or_b32_e32 v9, 0x10000, v80
	s_delay_alu instid0(VALU_DEP_2) | instskip(NEXT) | instid1(VALU_DEP_2)
	v_cmp_eq_u32_e32 vcc_lo, 0, v8
	v_cndmask_b32_e32 v8, v9, v80, vcc_lo
; %bb.112:
	s_or_b32 exec_lo, exec_lo, s3
	s_delay_alu instid0(VALU_DEP_1)
	v_perm_b32 v7, v8, v7, 0x7060302
	v_perm_b32 v6, v6, v5, 0x7060302
	;; [unrolled: 1-line block ×4, first 2 shown]
	v_lshl_or_b32 v9, v83, 4, v90
	s_barrier
	buffer_gl0_inv
	v_cmp_eq_u32_e32 vcc_lo, 1, v87
	ds_store_b128 v9, v[4:7]
	s_waitcnt lgkmcnt(0)
	s_barrier
	buffer_gl0_inv
	ds_load_b128 v[1:4], v90
	ds_load_b128 v[5:8], v90 offset:16
	v_cmp_eq_u32_e64 s4, 2, v87
	v_cmp_eq_u32_e64 s3, 1, v88
	;; [unrolled: 1-line block ×5, first 2 shown]
	s_waitcnt lgkmcnt(1)
	v_lshrrev_b32_e32 v10, 16, v1
	s_waitcnt lgkmcnt(0)
	v_lshrrev_b32_e32 v14, 16, v5
	v_lshrrev_b32_e32 v15, 16, v6
	;; [unrolled: 1-line block ×4, first 2 shown]
	v_cndmask_b32_e64 v20, v1, v10, s3
	v_cndmask_b32_e32 v19, v5, v14, vcc_lo
	v_cndmask_b32_e64 v21, v5, v14, s3
	v_lshrrev_b32_e32 v16, 16, v7
	v_cmp_eq_u32_e64 s3, 1, v86
	v_lshrrev_b32_e32 v13, 16, v4
	v_cndmask_b32_e64 v19, v19, v6, s4
	v_lshrrev_b32_e32 v17, 16, v8
	s_delay_alu instid0(VALU_DEP_4) | instskip(SKIP_1) | instid1(VALU_DEP_4)
	v_cndmask_b32_e64 v22, v1, v10, s3
	v_cndmask_b32_e64 v23, v5, v14, s3
	;; [unrolled: 1-line block ×3, first 2 shown]
	v_cndmask_b32_e32 v18, v1, v10, vcc_lo
	v_cmp_eq_u32_e32 vcc_lo, 2, v88
	v_cmp_eq_u32_e64 s3, 2, v89
	v_cndmask_b32_e64 v22, v22, v2, s7
	v_cndmask_b32_e32 v20, v20, v2, vcc_lo
	v_cndmask_b32_e32 v21, v21, v6, vcc_lo
	v_cmp_eq_u32_e32 vcc_lo, 4, v87
	v_cndmask_b32_e32 v19, v19, v7, vcc_lo
	v_cndmask_b32_e64 v18, v18, v2, s4
	v_cmp_eq_u32_e64 s4, 3, v88
	s_delay_alu instid0(VALU_DEP_2) | instskip(NEXT) | instid1(VALU_DEP_2)
	v_cndmask_b32_e64 v18, v18, v11, s5
	v_cndmask_b32_e64 v21, v21, v15, s4
	v_cmp_eq_u32_e64 s5, 5, v87
	s_delay_alu instid0(VALU_DEP_3) | instskip(SKIP_1) | instid1(VALU_DEP_3)
	v_cndmask_b32_e32 v18, v18, v3, vcc_lo
	v_cmp_eq_u32_e32 vcc_lo, 4, v88
	v_cndmask_b32_e64 v19, v19, v16, s5
	s_delay_alu instid0(VALU_DEP_3) | instskip(SKIP_4) | instid1(VALU_DEP_3)
	v_cndmask_b32_e64 v18, v18, v12, s5
	v_cndmask_b32_e32 v21, v21, v7, vcc_lo
	v_cndmask_b32_e64 v20, v20, v11, s4
	v_cmp_eq_u32_e64 s4, 5, v88
	v_cmp_eq_u32_e64 s5, 6, v87
	v_cndmask_b32_e32 v20, v20, v3, vcc_lo
	s_delay_alu instid0(VALU_DEP_3) | instskip(SKIP_1) | instid1(VALU_DEP_4)
	v_cndmask_b32_e64 v21, v21, v16, s4
	v_cmp_eq_u32_e32 vcc_lo, 6, v88
	v_cndmask_b32_e64 v18, v18, v4, s5
	v_cndmask_b32_e64 v19, v19, v8, s5
	;; [unrolled: 1-line block ×3, first 2 shown]
	v_cmp_eq_u32_e64 s4, 1, v89
	v_cmp_eq_u32_e64 s5, 7, v87
	s_delay_alu instid0(VALU_DEP_3) | instskip(NEXT) | instid1(VALU_DEP_3)
	v_cndmask_b32_e32 v20, v20, v4, vcc_lo
	v_cndmask_b32_e64 v1, v1, v10, s4
	v_cndmask_b32_e64 v5, v5, v14, s4
	v_cmp_eq_u32_e64 s4, 3, v86
	v_cndmask_b32_e64 v14, v23, v6, s7
	v_cmp_eq_u32_e64 s7, 3, v89
	v_cndmask_b32_e64 v1, v1, v2, s3
	v_cndmask_b32_e64 v2, v5, v6, s3
	v_cndmask_b32_e64 v10, v22, v11, s4
	v_cmp_eq_u32_e64 s3, 4, v86
	v_cndmask_b32_e64 v6, v14, v15, s4
	v_cndmask_b32_e64 v1, v1, v11, s7
	v_cmp_eq_u32_e64 s4, 4, v89
	v_cndmask_b32_e64 v2, v2, v15, s7
	v_cndmask_b32_e64 v5, v10, v3, s3
	;; [unrolled: 3-line block ×3, first 2 shown]
	v_cndmask_b32_e64 v2, v2, v7, s4
	v_cmp_eq_u32_e64 s3, 5, v89
	v_cndmask_b32_e64 v5, v5, v12, s7
	v_cmp_eq_u32_e64 s4, 6, v86
	;; [unrolled: 2-line block ×3, first 2 shown]
	v_cndmask_b32_e64 v1, v1, v12, s3
	v_cndmask_b32_e64 v2, v2, v16, s3
	;; [unrolled: 1-line block ×4, first 2 shown]
	v_cmp_eq_u32_e64 s3, 7, v89
	v_cndmask_b32_e64 v1, v1, v4, s7
	v_cndmask_b32_e64 v2, v2, v8, s7
	v_cmp_eq_u32_e64 s4, 7, v86
	v_cndmask_b32_e32 v4, v21, v8, vcc_lo
	v_cndmask_b32_e64 v18, v18, v13, s5
	v_cndmask_b32_e64 v20, v20, v13, s6
	;; [unrolled: 1-line block ×8, first 2 shown]
	v_cmp_gt_u32_e32 vcc_lo, 32, v0
	v_perm_b32 v4, v2, v1, 0x5040100
	v_perm_b32 v3, v3, v5, 0x5040100
	;; [unrolled: 1-line block ×4, first 2 shown]
	s_and_b32 s2, vcc_lo, s2
	ds_store_b128 v9, v[1:4]
	s_waitcnt lgkmcnt(0)
	s_barrier
	buffer_gl0_inv
	s_and_saveexec_b32 s3, s2
	s_cbranch_execz .LBB507_2
; %bb.113:
	s_load_b64 s[0:1], s[0:1], 0x68
	s_lshl_b32 s4, s34, 6
	v_or_b32_e32 v2, s31, v83
	s_mul_i32 s2, s4, s30
	v_lshlrev_b32_e32 v0, 10, v0
	s_mul_i32 s2, s2, s8
	v_lshlrev_b32_e32 v1, 4, v84
	s_ashr_i32 s3, s2, 31
	v_mul_lo_u32 v20, v2, s4
	s_lshl_b64 s[2:3], s[2:3], 1
	v_lshlrev_b32_e32 v3, 6, v83
	v_and_b32_e32 v0, 0x3800, v0
	s_delay_alu instid0(VALU_DEP_1) | instskip(NEXT) | instid1(VALU_DEP_4)
	v_or3_b32 v16, v0, v1, v3
	v_ashrrev_i32_e32 v21, 31, v20
	ds_load_b128 v[0:3], v16
	ds_load_b128 v[4:7], v16 offset:128
	s_waitcnt lgkmcnt(0)
	s_add_u32 s2, s0, s2
	s_addc_u32 s3, s1, s3
	s_lshl_b32 s0, s14, 6
	ds_load_b128 v[8:11], v16 offset:256
	ds_load_b128 v[12:15], v16 offset:384
	;; [unrolled: 1-line block ×3, first 2 shown]
	s_ashr_i32 s1, s0, 31
	s_delay_alu instid0(SALU_CYCLE_1) | instskip(NEXT) | instid1(SALU_CYCLE_1)
	s_lshl_b64 s[0:1], s[0:1], 1
	s_add_u32 s0, s2, s0
	s_addc_u32 s1, s3, s1
	s_lshl_b32 s2, s34, 7
	v_add_co_u32 v30, vcc_lo, s0, v81
	v_add_nc_u32_e32 v22, s2, v20
	v_lshlrev_b64 v[20:21], 1, v[20:21]
	v_add_co_ci_u32_e32 v31, vcc_lo, s1, v82, vcc_lo
	s_delay_alu instid0(VALU_DEP_3) | instskip(SKIP_1) | instid1(VALU_DEP_4)
	v_add_nc_u32_e32 v24, s2, v22
	v_ashrrev_i32_e32 v23, 31, v22
	v_add_co_u32 v20, vcc_lo, v30, v20
	s_delay_alu instid0(VALU_DEP_4) | instskip(NEXT) | instid1(VALU_DEP_4)
	v_add_co_ci_u32_e32 v21, vcc_lo, v31, v21, vcc_lo
	v_add_nc_u32_e32 v26, s2, v24
	v_ashrrev_i32_e32 v25, 31, v24
	v_lshlrev_b64 v[22:23], 1, v[22:23]
	s_delay_alu instid0(VALU_DEP_3) | instskip(SKIP_1) | instid1(VALU_DEP_4)
	v_add_nc_u32_e32 v28, s2, v26
	v_ashrrev_i32_e32 v27, 31, v26
	v_lshlrev_b64 v[24:25], 1, v[24:25]
	s_delay_alu instid0(VALU_DEP_4) | instskip(NEXT) | instid1(VALU_DEP_4)
	v_add_co_u32 v22, vcc_lo, v30, v22
	v_ashrrev_i32_e32 v29, 31, v28
	s_delay_alu instid0(VALU_DEP_4) | instskip(SKIP_2) | instid1(VALU_DEP_4)
	v_lshlrev_b64 v[26:27], 1, v[26:27]
	v_add_co_ci_u32_e32 v23, vcc_lo, v31, v23, vcc_lo
	v_add_co_u32 v24, vcc_lo, v30, v24
	v_lshlrev_b64 v[28:29], 1, v[28:29]
	v_add_co_ci_u32_e32 v25, vcc_lo, v31, v25, vcc_lo
	v_add_co_u32 v26, vcc_lo, v30, v26
	v_add_co_ci_u32_e32 v27, vcc_lo, v31, v27, vcc_lo
	s_delay_alu instid0(VALU_DEP_4)
	v_add_co_u32 v28, vcc_lo, v30, v28
	v_add_co_ci_u32_e32 v29, vcc_lo, v31, v29, vcc_lo
	s_clause 0x1
	global_store_b128 v[20:21], v[0:3], off
	global_store_b128 v[22:23], v[4:7], off
	s_waitcnt lgkmcnt(2)
	global_store_b128 v[24:25], v[8:11], off
	s_waitcnt lgkmcnt(1)
	global_store_b128 v[26:27], v[12:15], off
	s_waitcnt lgkmcnt(0)
	global_store_b128 v[28:29], v[16:19], off
	s_nop 0
	s_sendmsg sendmsg(MSG_DEALLOC_VGPRS)
	s_endpgm
	.section	.rodata,"a",@progbits
	.p2align	6, 0x0
	.amdhsa_kernel _Z39paged_attention_ll4mi_QKV_mfma16_kernelI14__hip_bfloat16S0_LN4vllm18Fp8KVCacheDataTypeE0EhLi32ELi64ELi256ELb1ELi10EL8MFMAType0EEvPKT_PKT0_S9_ifPKiSB_SB_iPKfiiiPfSE_PS4_PT2_iSD_SD_
		.amdhsa_group_segment_fixed_size 17472
		.amdhsa_private_segment_fixed_size 0
		.amdhsa_kernarg_size 400
		.amdhsa_user_sgpr_count 13
		.amdhsa_user_sgpr_dispatch_ptr 0
		.amdhsa_user_sgpr_queue_ptr 0
		.amdhsa_user_sgpr_kernarg_segment_ptr 1
		.amdhsa_user_sgpr_dispatch_id 0
		.amdhsa_user_sgpr_private_segment_size 0
		.amdhsa_wavefront_size32 1
		.amdhsa_uses_dynamic_stack 0
		.amdhsa_enable_private_segment 0
		.amdhsa_system_sgpr_workgroup_id_x 1
		.amdhsa_system_sgpr_workgroup_id_y 1
		.amdhsa_system_sgpr_workgroup_id_z 1
		.amdhsa_system_sgpr_workgroup_info 0
		.amdhsa_system_vgpr_workitem_id 0
		.amdhsa_next_free_vgpr 142
		.amdhsa_next_free_sgpr 38
		.amdhsa_reserve_vcc 1
		.amdhsa_float_round_mode_32 0
		.amdhsa_float_round_mode_16_64 0
		.amdhsa_float_denorm_mode_32 3
		.amdhsa_float_denorm_mode_16_64 3
		.amdhsa_dx10_clamp 1
		.amdhsa_ieee_mode 1
		.amdhsa_fp16_overflow 0
		.amdhsa_workgroup_processor_mode 1
		.amdhsa_memory_ordered 1
		.amdhsa_forward_progress 0
		.amdhsa_shared_vgpr_count 0
		.amdhsa_exception_fp_ieee_invalid_op 0
		.amdhsa_exception_fp_denorm_src 0
		.amdhsa_exception_fp_ieee_div_zero 0
		.amdhsa_exception_fp_ieee_overflow 0
		.amdhsa_exception_fp_ieee_underflow 0
		.amdhsa_exception_fp_ieee_inexact 0
		.amdhsa_exception_int_div_zero 0
	.end_amdhsa_kernel
	.section	.text._Z39paged_attention_ll4mi_QKV_mfma16_kernelI14__hip_bfloat16S0_LN4vllm18Fp8KVCacheDataTypeE0EhLi32ELi64ELi256ELb1ELi10EL8MFMAType0EEvPKT_PKT0_S9_ifPKiSB_SB_iPKfiiiPfSE_PS4_PT2_iSD_SD_,"axG",@progbits,_Z39paged_attention_ll4mi_QKV_mfma16_kernelI14__hip_bfloat16S0_LN4vllm18Fp8KVCacheDataTypeE0EhLi32ELi64ELi256ELb1ELi10EL8MFMAType0EEvPKT_PKT0_S9_ifPKiSB_SB_iPKfiiiPfSE_PS4_PT2_iSD_SD_,comdat
.Lfunc_end507:
	.size	_Z39paged_attention_ll4mi_QKV_mfma16_kernelI14__hip_bfloat16S0_LN4vllm18Fp8KVCacheDataTypeE0EhLi32ELi64ELi256ELb1ELi10EL8MFMAType0EEvPKT_PKT0_S9_ifPKiSB_SB_iPKfiiiPfSE_PS4_PT2_iSD_SD_, .Lfunc_end507-_Z39paged_attention_ll4mi_QKV_mfma16_kernelI14__hip_bfloat16S0_LN4vllm18Fp8KVCacheDataTypeE0EhLi32ELi64ELi256ELb1ELi10EL8MFMAType0EEvPKT_PKT0_S9_ifPKiSB_SB_iPKfiiiPfSE_PS4_PT2_iSD_SD_
                                        ; -- End function
	.section	.AMDGPU.csdata,"",@progbits
; Kernel info:
; codeLenInByte = 9444
; NumSgprs: 40
; NumVgprs: 142
; ScratchSize: 0
; MemoryBound: 0
; FloatMode: 240
; IeeeMode: 1
; LDSByteSize: 17472 bytes/workgroup (compile time only)
; SGPRBlocks: 4
; VGPRBlocks: 17
; NumSGPRsForWavesPerEU: 40
; NumVGPRsForWavesPerEU: 142
; Occupancy: 10
; WaveLimiterHint : 1
; COMPUTE_PGM_RSRC2:SCRATCH_EN: 0
; COMPUTE_PGM_RSRC2:USER_SGPR: 13
; COMPUTE_PGM_RSRC2:TRAP_HANDLER: 0
; COMPUTE_PGM_RSRC2:TGID_X_EN: 1
; COMPUTE_PGM_RSRC2:TGID_Y_EN: 1
; COMPUTE_PGM_RSRC2:TGID_Z_EN: 1
; COMPUTE_PGM_RSRC2:TIDIG_COMP_CNT: 0
	.section	.text._Z39paged_attention_ll4mi_QKV_mfma16_kernelI14__hip_bfloat16S0_LN4vllm18Fp8KVCacheDataTypeE0EhLi32ELi64ELi256ELb1ELi11EL8MFMAType0EEvPKT_PKT0_S9_ifPKiSB_SB_iPKfiiiPfSE_PS4_PT2_iSD_SD_,"axG",@progbits,_Z39paged_attention_ll4mi_QKV_mfma16_kernelI14__hip_bfloat16S0_LN4vllm18Fp8KVCacheDataTypeE0EhLi32ELi64ELi256ELb1ELi11EL8MFMAType0EEvPKT_PKT0_S9_ifPKiSB_SB_iPKfiiiPfSE_PS4_PT2_iSD_SD_,comdat
	.protected	_Z39paged_attention_ll4mi_QKV_mfma16_kernelI14__hip_bfloat16S0_LN4vllm18Fp8KVCacheDataTypeE0EhLi32ELi64ELi256ELb1ELi11EL8MFMAType0EEvPKT_PKT0_S9_ifPKiSB_SB_iPKfiiiPfSE_PS4_PT2_iSD_SD_ ; -- Begin function _Z39paged_attention_ll4mi_QKV_mfma16_kernelI14__hip_bfloat16S0_LN4vllm18Fp8KVCacheDataTypeE0EhLi32ELi64ELi256ELb1ELi11EL8MFMAType0EEvPKT_PKT0_S9_ifPKiSB_SB_iPKfiiiPfSE_PS4_PT2_iSD_SD_
	.globl	_Z39paged_attention_ll4mi_QKV_mfma16_kernelI14__hip_bfloat16S0_LN4vllm18Fp8KVCacheDataTypeE0EhLi32ELi64ELi256ELb1ELi11EL8MFMAType0EEvPKT_PKT0_S9_ifPKiSB_SB_iPKfiiiPfSE_PS4_PT2_iSD_SD_
	.p2align	8
	.type	_Z39paged_attention_ll4mi_QKV_mfma16_kernelI14__hip_bfloat16S0_LN4vllm18Fp8KVCacheDataTypeE0EhLi32ELi64ELi256ELb1ELi11EL8MFMAType0EEvPKT_PKT0_S9_ifPKiSB_SB_iPKfiiiPfSE_PS4_PT2_iSD_SD_,@function
_Z39paged_attention_ll4mi_QKV_mfma16_kernelI14__hip_bfloat16S0_LN4vllm18Fp8KVCacheDataTypeE0EhLi32ELi64ELi256ELb1ELi11EL8MFMAType0EEvPKT_PKT0_S9_ifPKiSB_SB_iPKfiiiPfSE_PS4_PT2_iSD_SD_: ; @_Z39paged_attention_ll4mi_QKV_mfma16_kernelI14__hip_bfloat16S0_LN4vllm18Fp8KVCacheDataTypeE0EhLi32ELi64ELi256ELb1ELi11EL8MFMAType0EEvPKT_PKT0_S9_ifPKiSB_SB_iPKfiiiPfSE_PS4_PT2_iSD_SD_
; %bb.0:
	s_load_b64 s[2:3], s[0:1], 0x30
	s_mov_b32 s34, s13
	s_waitcnt lgkmcnt(0)
	s_cmp_lg_u64 s[2:3], 0
	s_cselect_b32 s6, -1, 0
	s_ashr_i32 s35, s13, 31
	s_cmp_eq_u64 s[2:3], 0
	s_cbranch_scc1 .LBB508_3
; %bb.1:
	s_lshl_b64 s[4:5], s[34:35], 2
	s_delay_alu instid0(SALU_CYCLE_1) | instskip(SKIP_4) | instid1(SALU_CYCLE_1)
	s_add_u32 s4, s2, s4
	s_addc_u32 s5, s3, s5
	s_load_b64 s[4:5], s[4:5], 0x0
	s_waitcnt lgkmcnt(0)
	s_sub_i32 s4, s5, s4
	s_cmp_eq_u32 s4, 1
	s_cselect_b32 s4, -1, 0
	s_delay_alu instid0(SALU_CYCLE_1)
	s_and_not1_b32 vcc_lo, exec_lo, s4
	s_cbranch_vccz .LBB508_4
.LBB508_2:
	s_nop 0
	s_sendmsg sendmsg(MSG_DEALLOC_VGPRS)
	s_endpgm
.LBB508_3:
.LBB508_4:
	s_load_b64 s[8:9], s[0:1], 0x28
	s_lshl_b64 s[4:5], s[34:35], 2
	s_waitcnt lgkmcnt(0)
	s_add_u32 s8, s8, s4
	s_addc_u32 s9, s9, s5
	s_lshl_b32 s16, s14, 8
	s_load_b32 s18, s[8:9], 0x0
	s_waitcnt lgkmcnt(0)
	s_cmp_ge_i32 s16, s18
	s_cbranch_scc1 .LBB508_2
; %bb.5:
	s_and_not1_b32 vcc_lo, exec_lo, s6
	s_cbranch_vccnz .LBB508_7
; %bb.6:
	s_add_u32 s2, s2, s4
	s_addc_u32 s3, s3, s5
	s_load_b32 s17, s[2:3], 0x0
	s_branch .LBB508_8
.LBB508_7:
	s_mov_b32 s17, s34
.LBB508_8:
	s_clause 0x2
	s_load_b128 s[8:11], s[0:1], 0x8
	s_load_b64 s[12:13], s[0:1], 0x20
	s_load_b128 s[4:7], s[0:1], 0x48
	v_lshrrev_b32_e32 v74, 5, v0
	v_bfe_u32 v83, v0, 4, 1
	v_and_b32_e32 v73, 15, v0
	s_delay_alu instid0(VALU_DEP_2) | instskip(NEXT) | instid1(VALU_DEP_2)
	v_lshl_or_b32 v3, v74, 1, v83
	v_cmp_lt_u32_e64 s3, 7, v73
	v_lshlrev_b32_e32 v1, 3, v73
	v_cmp_gt_u32_e64 s2, 8, v73
	s_delay_alu instid0(VALU_DEP_4) | instskip(NEXT) | instid1(VALU_DEP_4)
	v_cmp_lt_u32_e32 vcc_lo, 10, v3
	s_or_b32 s3, s3, vcc_lo
	s_waitcnt lgkmcnt(0)
	s_and_saveexec_b32 s7, s3
	s_delay_alu instid0(SALU_CYCLE_1)
	s_xor_b32 s3, exec_lo, s7
; %bb.9:
	v_mov_b32_e32 v2, 0
                                        ; implicit-def: $vgpr3
; %bb.10:
	s_or_saveexec_b32 s3, s3
	v_and_b32_e32 v75, 31, v0
	v_and_b32_e32 v84, 1, v0
	s_mul_i32 s31, s15, 11
	s_xor_b32 exec_lo, exec_lo, s3
	s_cbranch_execz .LBB508_12
; %bb.11:
	s_load_b64 s[20:21], s[0:1], 0x0
	v_add_lshl_u32 v4, v3, s31, 6
	s_mul_hi_i32 s23, s17, s4
	s_mul_i32 s22, s17, s4
	v_lshlrev_b32_e32 v2, 1, v1
	s_lshl_b64 s[22:23], s[22:23], 1
	v_ashrrev_i32_e32 v5, 31, v4
	v_lshlrev_b32_e32 v3, 6, v3
	v_lshlrev_b32_e32 v8, 10, v84
	s_delay_alu instid0(VALU_DEP_3) | instskip(SKIP_3) | instid1(VALU_DEP_1)
	v_lshlrev_b64 v[4:5], 1, v[4:5]
	s_waitcnt lgkmcnt(0)
	s_add_u32 s4, s20, s22
	s_addc_u32 s7, s21, s23
	v_add_co_u32 v4, vcc_lo, s4, v4
	s_delay_alu instid0(VALU_DEP_2) | instskip(NEXT) | instid1(VALU_DEP_2)
	v_add_co_ci_u32_e32 v5, vcc_lo, s7, v5, vcc_lo
	v_add_co_u32 v4, vcc_lo, v4, v2
	s_delay_alu instid0(VALU_DEP_2) | instskip(SKIP_3) | instid1(VALU_DEP_1)
	v_add_co_ci_u32_e32 v5, vcc_lo, 0, v5, vcc_lo
	v_lshlrev_b32_e32 v2, 10, v73
	global_load_b128 v[4:7], v[4:5], off
	v_and_b32_e32 v2, 0x3800, v2
	v_or3_b32 v3, v2, v8, v3
	v_mov_b32_e32 v2, 0
	s_waitcnt vmcnt(0)
	ds_store_b128 v3, v[4:7]
.LBB508_12:
	s_or_b32 exec_lo, exec_lo, s3
	v_and_b32_e32 v3, 0xef, v0
	s_add_i32 s3, s18, 31
	s_clause 0x1
	s_load_b32 s4, s[0:1], 0x38
	s_load_b32 s19, s[0:1], 0x1c
	s_ashr_i32 s7, s3, 31
	v_add_nc_u32_e32 v3, s16, v3
	s_lshr_b32 s7, s7, 27
	s_waitcnt lgkmcnt(0)
	s_add_i32 s3, s3, s7
	s_barrier
	v_ashrrev_i32_e32 v4, 31, v3
	v_cmp_gt_i32_e32 vcc_lo, s18, v3
	s_ashr_i32 s3, s3, 5
	buffer_gl0_inv
	s_add_i32 s3, s3, -1
	v_lshrrev_b32_e32 v5, 27, v4
	v_or_b32_e32 v4, 16, v3
	s_mul_i32 s6, s15, s6
	v_lshlrev_b64 v[81:82], 1, v[1:2]
	s_delay_alu instid0(VALU_DEP_3) | instskip(NEXT) | instid1(VALU_DEP_3)
	v_add_nc_u32_e32 v6, v3, v5
	v_add_nc_u32_e32 v5, v4, v5
	s_mul_i32 s20, s34, s4
	s_delay_alu instid0(SALU_CYCLE_1) | instskip(NEXT) | instid1(VALU_DEP_2)
	s_ashr_i32 s21, s20, 31
	v_ashrrev_i32_e32 v6, 5, v6
	s_delay_alu instid0(VALU_DEP_2) | instskip(SKIP_1) | instid1(SALU_CYCLE_1)
	v_ashrrev_i32_e32 v5, 5, v5
	s_lshl_b64 s[20:21], s[20:21], 2
	s_add_u32 s4, s12, s20
	s_delay_alu instid0(VALU_DEP_2) | instskip(SKIP_3) | instid1(SALU_CYCLE_1)
	v_cndmask_b32_e32 v3, s3, v6, vcc_lo
	v_cmp_gt_i32_e32 vcc_lo, s18, v4
	s_addc_u32 s17, s13, s21
	s_ashr_i32 s7, s6, 31
	s_lshl_b64 s[6:7], s[6:7], 1
	v_cndmask_b32_e32 v5, s3, v5, vcc_lo
	v_ashrrev_i32_e32 v4, 31, v3
	s_add_u32 s15, s8, s6
	s_addc_u32 s28, s9, s7
	s_lshl_b32 s8, s14, 3
	v_ashrrev_i32_e32 v6, 31, v5
	v_lshlrev_b64 v[3:4], 2, v[3:4]
	s_ashr_i32 s9, s8, 31
	s_delay_alu instid0(SALU_CYCLE_1) | instskip(NEXT) | instid1(VALU_DEP_2)
	s_lshl_b64 s[8:9], s[8:9], 2
	v_lshlrev_b64 v[5:6], 2, v[5:6]
	s_add_u32 s8, s4, s8
	s_delay_alu instid0(VALU_DEP_2) | instskip(SKIP_1) | instid1(VALU_DEP_3)
	v_add_co_u32 v3, vcc_lo, s4, v3
	v_add_co_ci_u32_e32 v4, vcc_lo, s17, v4, vcc_lo
	v_add_co_u32 v5, vcc_lo, s4, v5
	s_delay_alu instid0(VALU_DEP_4)
	v_add_co_ci_u32_e32 v6, vcc_lo, s17, v6, vcc_lo
	s_addc_u32 s9, s17, s9
	s_clause 0x1
	global_load_b32 v7, v[3:4], off
	global_load_b32 v8, v[5:6], off
	s_or_b32 s12, s16, 32
	s_delay_alu instid0(SALU_CYCLE_1) | instskip(SKIP_2) | instid1(SALU_CYCLE_1)
	s_ashr_i32 s13, s12, 5
	s_cmp_lt_i32 s12, s18
	s_cselect_b32 s12, s13, s3
	s_ashr_i32 s13, s12, 31
	s_delay_alu instid0(SALU_CYCLE_1) | instskip(NEXT) | instid1(SALU_CYCLE_1)
	s_lshl_b64 s[12:13], s[12:13], 2
	s_add_u32 s12, s4, s12
	s_addc_u32 s13, s17, s13
	s_or_b32 s20, s16, 64
	s_delay_alu instid0(SALU_CYCLE_1) | instskip(SKIP_2) | instid1(SALU_CYCLE_1)
	s_ashr_i32 s21, s20, 5
	s_cmp_lt_i32 s20, s18
	s_cselect_b32 s20, s21, s3
	s_ashr_i32 s21, s20, 31
	s_delay_alu instid0(SALU_CYCLE_1) | instskip(NEXT) | instid1(SALU_CYCLE_1)
	s_lshl_b64 s[20:21], s[20:21], 2
	s_add_u32 s20, s4, s20
	s_addc_u32 s21, s17, s21
	;; [unrolled: 10-line block ×5, first 2 shown]
	s_clause 0x5
	s_load_b32 s29, s[8:9], 0x0
	s_load_b32 s30, s[12:13], 0x0
	;; [unrolled: 1-line block ×6, first 2 shown]
	s_mov_b32 s20, 0
	s_or_b32 s8, s16, 0xc0
	s_mov_b32 s21, s20
	s_mov_b32 s22, s20
	;; [unrolled: 1-line block ×7, first 2 shown]
	s_ashr_i32 s9, s8, 5
	v_mov_b32_e32 v117, s27
	s_cmp_lt_i32 s8, s18
	v_mov_b32_e32 v116, s26
	s_cselect_b32 s8, s9, s3
	v_mov_b32_e32 v115, s25
	s_ashr_i32 s9, s8, 31
	v_dual_mov_b32 v114, s24 :: v_dual_mov_b32 v113, s23
	v_dual_mov_b32 v112, s22 :: v_dual_mov_b32 v111, s21
	s_lshl_b64 s[8:9], s[8:9], 2
	s_waitcnt lgkmcnt(0)
	s_mul_hi_i32 s13, s29, s5
	s_add_u32 s8, s4, s8
	s_addc_u32 s9, s17, s9
	s_mul_i32 s12, s29, s5
	s_mul_hi_i32 s37, s38, s5
	v_mov_b32_e32 v110, s20
	s_mul_hi_i32 s21, s30, s5
	s_mul_i32 s20, s30, s5
	s_mul_hi_i32 s25, s33, s5
	s_mul_i32 s24, s33, s5
	;; [unrolled: 2-line block ×3, first 2 shown]
	s_waitcnt vmcnt(1)
	v_mad_i64_i32 v[3:4], null, v7, s5, 0
	s_waitcnt vmcnt(0)
	v_mad_i64_i32 v[5:6], null, v8, s5, 0
	s_delay_alu instid0(VALU_DEP_2) | instskip(NEXT) | instid1(VALU_DEP_2)
	v_lshlrev_b64 v[3:4], 1, v[3:4]
	v_lshlrev_b64 v[1:2], 1, v[5:6]
	s_delay_alu instid0(VALU_DEP_2) | instskip(NEXT) | instid1(VALU_DEP_3)
	v_add_co_u32 v3, vcc_lo, s15, v3
	v_add_co_ci_u32_e32 v4, vcc_lo, s28, v4, vcc_lo
	s_delay_alu instid0(VALU_DEP_3) | instskip(NEXT) | instid1(VALU_DEP_4)
	v_add_co_u32 v1, vcc_lo, s15, v1
	v_add_co_ci_u32_e32 v2, vcc_lo, s28, v2, vcc_lo
	s_delay_alu instid0(VALU_DEP_4) | instskip(NEXT) | instid1(VALU_DEP_4)
	v_add_co_u32 v41, vcc_lo, v3, v81
	v_add_co_ci_u32_e32 v42, vcc_lo, v4, v82, vcc_lo
	s_delay_alu instid0(VALU_DEP_4) | instskip(NEXT) | instid1(VALU_DEP_4)
	v_add_co_u32 v43, vcc_lo, v1, v81
	v_add_co_ci_u32_e32 v44, vcc_lo, v2, v82, vcc_lo
	s_clause 0xf
	global_load_b128 v[1:4], v[41:42], off
	global_load_b128 v[5:8], v[41:42], off offset:512
	global_load_b128 v[9:12], v[43:44], off offset:256
	global_load_b128 v[13:16], v[43:44], off offset:768
	global_load_b128 v[17:20], v[41:42], off offset:1024
	global_load_b128 v[21:24], v[41:42], off offset:1536
	global_load_b128 v[25:28], v[43:44], off offset:1280
	global_load_b128 v[29:32], v[43:44], off offset:1792
	global_load_b128 v[33:36], v[41:42], off offset:2048
	global_load_b128 v[37:40], v[41:42], off offset:2560
	global_load_b128 v[86:89], v[43:44], off offset:2304
	global_load_b128 v[90:93], v[43:44], off offset:2816
	global_load_b128 v[94:97], v[41:42], off offset:3072
	global_load_b128 v[98:101], v[41:42], off offset:3584
	global_load_b128 v[102:105], v[43:44], off offset:3328
	global_load_b128 v[106:109], v[43:44], off offset:3840
	v_add_nc_u32_e32 v41, -11, v73
	v_cmp_gt_u32_e32 vcc_lo, 11, v73
	s_or_b32 s15, s16, 0xe0
	s_delay_alu instid0(SALU_CYCLE_1) | instskip(SKIP_3) | instid1(SALU_CYCLE_1)
	s_ashr_i32 s22, s15, 5
	s_cmp_lt_i32 s15, s18
	v_cndmask_b32_e32 v41, v41, v73, vcc_lo
	s_cselect_b32 s22, s22, s3
	s_ashr_i32 s23, s22, 31
	s_delay_alu instid0(VALU_DEP_1)
	v_lshlrev_b32_e32 v57, 6, v41
	ds_load_b128 v[41:44], v57
	ds_load_b128 v[45:48], v57 offset:1024
	ds_load_b128 v[49:52], v57 offset:2048
	;; [unrolled: 1-line block ×7, first 2 shown]
	s_lshl_b64 s[22:23], s[22:23], 2
	s_delay_alu instid0(SALU_CYCLE_1) | instskip(SKIP_2) | instid1(SALU_CYCLE_1)
	s_add_u32 s22, s4, s22
	s_addc_u32 s23, s17, s23
	s_add_i32 s15, s16, 0x100
	s_ashr_i32 s28, s15, 5
	s_cmp_lt_i32 s15, s18
	s_load_b32 s15, s[8:9], 0x0
	s_cselect_b32 s28, s28, s3
	s_mul_hi_i32 s9, s36, s5
	s_ashr_i32 s29, s28, 31
	s_mul_i32 s8, s36, s5
	s_lshl_b64 s[28:29], s[28:29], 2
	s_mul_i32 s36, s38, s5
	s_add_u32 s28, s4, s28
	s_addc_u32 s29, s17, s29
	s_add_u32 s3, s10, s6
	s_clause 0x1
	s_load_b32 s4, s[22:23], 0x0
	s_load_b32 s17, s[28:29], 0x0
	s_addc_u32 s28, s11, s7
	s_lshl_b64 s[6:7], s[12:13], 1
	s_lshl_b64 s[10:11], s[20:21], 1
	;; [unrolled: 1-line block ×6, first 2 shown]
	s_waitcnt lgkmcnt(0)
	s_mul_hi_i32 s25, s15, s5
	s_mul_i32 s24, s15, s5
	s_waitcnt vmcnt(14)
	v_wmma_f32_16x16x16_bf16 v[134:141], v[1:8], v[41:48], v[110:117]
	s_waitcnt vmcnt(10)
	s_delay_alu instid0(VALU_DEP_1) | instskip(SKIP_1) | instid1(VALU_DEP_1)
	v_wmma_f32_16x16x16_bf16 v[134:141], v[17:24], v[49:56], v[134:141]
	s_waitcnt vmcnt(6)
	v_wmma_f32_16x16x16_bf16 v[134:141], v[33:40], v[118:125], v[134:141]
	s_waitcnt vmcnt(2)
	s_delay_alu instid0(VALU_DEP_1) | instskip(SKIP_1) | instid1(VALU_DEP_2)
	v_wmma_f32_16x16x16_bf16 v[134:141], v[94:101], v[126:133], v[134:141]
	v_lshlrev_b32_e32 v85, 6, v73
	v_mul_f32_e32 v100, s19, v141
	s_delay_alu instid0(VALU_DEP_2) | instskip(SKIP_2) | instid1(VALU_DEP_3)
	v_lshl_or_b32 v58, v74, 10, v85
	v_wmma_f32_16x16x16_bf16 v[110:117], v[9:16], v[41:48], v[110:117]
	v_mul_f32_e32 v99, s19, v135
	v_add_co_u32 v76, s3, s3, v58
	s_delay_alu instid0(VALU_DEP_1) | instskip(NEXT) | instid1(VALU_DEP_4)
	v_add_co_ci_u32_e64 v77, null, s28, 0, s3
	v_wmma_f32_16x16x16_bf16 v[110:117], v[25:32], v[49:56], v[110:117]
	s_delay_alu instid0(VALU_DEP_3) | instskip(NEXT) | instid1(VALU_DEP_3)
	v_add_co_u32 v57, vcc_lo, v76, s6
	v_add_co_ci_u32_e32 v58, vcc_lo, s7, v77, vcc_lo
	v_add_co_u32 v1, vcc_lo, v76, s10
	v_add_co_ci_u32_e32 v2, vcc_lo, s11, v77, vcc_lo
	;; [unrolled: 2-line block ×5, first 2 shown]
	s_clause 0x9
	global_load_b128 v[65:68], v[57:58], off
	global_load_b128 v[69:72], v[57:58], off offset:16
	global_load_b128 v[57:60], v[1:2], off
	global_load_b128 v[61:64], v[1:2], off offset:16
	;; [unrolled: 2-line block ×5, first 2 shown]
	v_add_co_u32 v5, vcc_lo, v76, s22
	s_lshl_b64 s[6:7], s[24:25], 1
	v_add_co_ci_u32_e32 v6, vcc_lo, s23, v77, vcc_lo
	s_mul_hi_i32 s9, s4, s5
	s_mul_i32 s8, s4, s5
	v_add_co_u32 v17, vcc_lo, v76, s6
	v_add_co_ci_u32_e32 v18, vcc_lo, s7, v77, vcc_lo
	s_lshl_b64 s[6:7], s[8:9], 1
	s_mul_hi_i32 s9, s17, s5
	s_mul_i32 s8, s17, s5
	v_add_co_u32 v19, vcc_lo, v76, s6
	s_lshl_b64 s[4:5], s[8:9], 1
	v_add_co_ci_u32_e32 v20, vcc_lo, s7, v77, vcc_lo
	v_add_co_u32 v21, vcc_lo, v76, s4
	v_add_co_ci_u32_e32 v22, vcc_lo, s5, v77, vcc_lo
	s_clause 0x7
	global_load_b128 v[1:4], v[5:6], off
	global_load_b128 v[5:8], v[5:6], off offset:16
	global_load_b128 v[33:36], v[17:18], off
	global_load_b128 v[37:40], v[17:18], off offset:16
	;; [unrolled: 2-line block ×4, first 2 shown]
	v_and_b32_e32 v76, 0xe0, v0
	v_mbcnt_lo_u32_b32 v77, -1, 0
	v_wmma_f32_16x16x16_bf16 v[110:117], v[86:93], v[118:125], v[110:117]
	s_waitcnt vmcnt(0)
	s_barrier
	v_add_nc_u32_e32 v76, s16, v76
	v_xor_b32_e32 v78, 16, v77
	v_wmma_f32_16x16x16_bf16 v[110:117], v[102:109], v[126:133], v[110:117]
	v_mul_f32_e32 v97, s19, v134
	buffer_gl0_inv
	v_or_b32_e32 v76, v76, v83
	v_cmp_gt_i32_e32 vcc_lo, 32, v78
	s_delay_alu instid0(VALU_DEP_2)
	v_or_b32_e32 v79, 4, v76
	v_cndmask_b32_e32 v77, v77, v78, vcc_lo
	v_or_b32_e32 v78, 2, v76
	v_or_b32_e32 v80, 6, v76
	v_cmp_gt_i32_e32 vcc_lo, s18, v76
	v_or_b32_e32 v86, 8, v76
	v_or_b32_e32 v87, 10, v76
	v_cmp_gt_i32_e64 s3, s18, v78
	v_or_b32_e32 v88, 12, v76
	v_or_b32_e32 v89, 14, v76
	;; [unrolled: 1-line block ×10, first 2 shown]
	v_cndmask_b32_e32 v76, 0xff7fffff, v97, vcc_lo
	v_cndmask_b32_e64 v78, 0xff7fffff, v99, s3
	v_mul_f32_e32 v99, s19, v137
	v_cmp_gt_i32_e64 s4, s18, v80
	v_mul_f32_e32 v80, s19, v136
	v_cmp_gt_i32_e64 s5, s18, v79
	v_max3_f32 v76, v76, 0xff7fffff, v78
	v_dual_mul_f32 v78, s19, v138 :: v_dual_mul_f32 v79, s19, v139
	v_cndmask_b32_e64 v99, 0xff7fffff, v99, s4
	s_delay_alu instid0(VALU_DEP_4)
	v_cndmask_b32_e64 v80, 0xff7fffff, v80, s5
	v_cmp_gt_i32_e64 s6, s18, v86
	v_cmp_gt_i32_e64 s7, s18, v87
	v_mul_f32_e32 v97, s19, v140
	v_cmp_gt_i32_e64 s8, s18, v89
	v_max3_f32 v76, v76, v80, v99
	v_cndmask_b32_e64 v78, 0xff7fffff, v78, s6
	v_cndmask_b32_e64 v79, 0xff7fffff, v79, s7
	v_cmp_gt_i32_e64 s9, s18, v88
	v_dual_mul_f32 v88, s19, v111 :: v_dual_mul_f32 v89, s19, v110
	v_cndmask_b32_e64 v100, 0xff7fffff, v100, s8
	s_delay_alu instid0(VALU_DEP_4) | instskip(NEXT) | instid1(VALU_DEP_4)
	v_max3_f32 v76, v76, v78, v79
	v_cndmask_b32_e64 v97, 0xff7fffff, v97, s9
	v_cmp_gt_i32_e64 s10, s18, v90
	v_cmp_gt_i32_e64 s11, s18, v91
	v_dual_mul_f32 v78, s19, v113 :: v_dual_mul_f32 v79, s19, v112
	s_delay_alu instid0(VALU_DEP_4) | instskip(NEXT) | instid1(VALU_DEP_4)
	v_max3_f32 v76, v76, v97, v100
	v_cndmask_b32_e64 v89, 0xff7fffff, v89, s10
	s_delay_alu instid0(VALU_DEP_4)
	v_cndmask_b32_e64 v88, 0xff7fffff, v88, s11
	v_cmp_gt_i32_e64 s12, s18, v92
	v_cmp_gt_i32_e64 s13, s18, v93
	v_mul_f32_e32 v87, s19, v115
	v_mul_f32_e32 v99, s19, v114
	v_max3_f32 v76, v76, v89, v88
	v_cndmask_b32_e64 v79, 0xff7fffff, v79, s12
	v_cndmask_b32_e64 v78, 0xff7fffff, v78, s13
	v_cmp_gt_i32_e64 s15, s18, v94
	v_cmp_gt_i32_e64 s16, s18, v95
	v_mul_f32_e32 v80, s19, v117
	v_mul_f32_e32 v86, s19, v116
	v_max3_f32 v76, v76, v79, v78
	v_cndmask_b32_e64 v88, 0xff7fffff, v99, s15
	v_cndmask_b32_e64 v87, 0xff7fffff, v87, s16
	v_cmp_gt_i32_e64 s17, s18, v96
	v_cmp_gt_i32_e64 s18, s18, v98
	v_lshlrev_b32_e32 v99, 2, v77
	s_delay_alu instid0(VALU_DEP_4) | instskip(NEXT) | instid1(VALU_DEP_4)
	v_max3_f32 v76, v76, v88, v87
	v_cndmask_b32_e64 v78, 0xff7fffff, v86, s17
	s_delay_alu instid0(VALU_DEP_4) | instskip(NEXT) | instid1(VALU_DEP_1)
	v_cndmask_b32_e64 v79, 0xff7fffff, v80, s18
	v_max3_f32 v76, v76, v78, v79
	ds_bpermute_b32 v77, v99, v76
	s_waitcnt lgkmcnt(0)
	v_max_f32_e32 v77, v77, v77
	s_delay_alu instid0(VALU_DEP_1) | instskip(NEXT) | instid1(VALU_DEP_1)
	v_max_f32_e32 v76, v76, v77
	v_fma_f32 v77, s19, v134, -v76
	v_fma_f32 v78, s19, v135, -v76
	;; [unrolled: 1-line block ×5, first 2 shown]
	s_delay_alu instid0(VALU_DEP_4) | instskip(SKIP_1) | instid1(VALU_DEP_4)
	v_dual_mul_f32 v77, 0x3fb8aa3b, v77 :: v_dual_mul_f32 v78, 0x3fb8aa3b, v78
	v_fma_f32 v88, s19, v114, -v76
	v_dual_mul_f32 v79, 0x3fb8aa3b, v79 :: v_dual_mul_f32 v80, 0x3fb8aa3b, v80
	s_delay_alu instid0(VALU_DEP_3) | instskip(NEXT) | instid1(VALU_DEP_3)
	v_exp_f32_e32 v77, v77
	v_exp_f32_e32 v78, v78
	s_delay_alu instid0(VALU_DEP_2) | instskip(NEXT) | instid1(VALU_DEP_2)
	v_mul_f32_e32 v88, 0x3fb8aa3b, v88
	v_exp_f32_e32 v79, v79
	v_mul_f32_e32 v86, 0x3fb8aa3b, v86
	v_exp_f32_e32 v80, v80
	v_fma_f32 v87, s19, v140, -v76
	v_fma_f32 v100, s19, v117, -v76
	v_fma_f32 v90, s19, v116, -v76
	v_exp_f32_e32 v86, v86
	v_cndmask_b32_e32 v92, 0, v77, vcc_lo
	v_fma_f32 v77, s19, v139, -v76
	v_cndmask_b32_e64 v91, 0, v78, s3
	v_cndmask_b32_e64 v93, 0, v79, s5
	v_fma_f32 v79, s19, v141, -v76
	s_delay_alu instid0(VALU_DEP_4) | instskip(SKIP_2) | instid1(TRANS32_DEP_1)
	v_dual_add_f32 v78, 0, v92 :: v_dual_mul_f32 v77, 0x3fb8aa3b, v77
	v_cndmask_b32_e64 v95, 0, v80, s4
	v_mul_f32_e32 v87, 0x3fb8aa3b, v87
	v_cndmask_b32_e64 v96, 0, v86, s6
	s_delay_alu instid0(VALU_DEP_4)
	v_add_f32_e32 v78, v78, v91
	v_exp_f32_e32 v77, v77
	v_fma_f32 v86, s19, v111, -v76
	v_fma_f32 v80, s19, v110, -v76
	v_exp_f32_e32 v87, v87
	v_add_f32_e32 v78, v78, v93
	v_mul_f32_e32 v100, 0x3fb8aa3b, v100
	v_mul_f32_e32 v86, 0x3fb8aa3b, v86
	;; [unrolled: 1-line block ×3, first 2 shown]
	v_exp_f32_e32 v88, v88
	v_add_f32_e32 v78, v78, v95
	v_cndmask_b32_e64 v97, 0, v77, s7
	v_exp_f32_e32 v86, v86
	v_exp_f32_e32 v80, v80
	v_cndmask_b32_e64 v94, 0, v87, s9
	v_add_f32_e32 v77, v78, v96
	v_fma_f32 v78, s19, v112, -v76
	v_fma_f32 v87, s19, v113, -v76
	v_exp_f32_e32 v100, v100
	v_cmp_gt_u32_e64 s3, 16, v75
	s_delay_alu instid0(VALU_DEP_3) | instskip(NEXT) | instid1(VALU_DEP_3)
	v_dual_add_f32 v77, v77, v97 :: v_dual_mul_f32 v78, 0x3fb8aa3b, v78
	v_mul_f32_e32 v87, 0x3fb8aa3b, v87
	s_delay_alu instid0(VALU_DEP_2) | instskip(SKIP_2) | instid1(VALU_DEP_3)
	v_exp_f32_e32 v89, v78
	v_cndmask_b32_e64 v78, 0, v86, s11
	v_mul_f32_e32 v79, 0x3fb8aa3b, v79
	v_exp_f32_e32 v87, v87
	s_delay_alu instid0(VALU_DEP_1)
	v_exp_f32_e32 v79, v79
	s_waitcnt_depctr 0xfff
	v_cndmask_b32_e64 v98, 0, v79, s8
	v_add_f32_e32 v79, v77, v94
	v_cndmask_b32_e64 v77, 0, v80, s10
	v_fma_f32 v80, s19, v115, -v76
	s_delay_alu instid0(VALU_DEP_1) | instskip(NEXT) | instid1(VALU_DEP_1)
	v_dual_add_f32 v79, v79, v98 :: v_dual_mul_f32 v80, 0x3fb8aa3b, v80
	v_add_f32_e32 v86, v79, v77
	v_cndmask_b32_e64 v79, 0, v89, s12
	v_mul_f32_e32 v89, 0x3fb8aa3b, v90
	s_delay_alu instid0(VALU_DEP_4) | instskip(SKIP_2) | instid1(VALU_DEP_3)
	v_exp_f32_e32 v90, v80
	v_cndmask_b32_e64 v80, 0, v87, s13
	v_add_f32_e32 v86, v86, v78
	v_exp_f32_e32 v89, v89
	s_delay_alu instid0(VALU_DEP_1) | instskip(SKIP_1) | instid1(VALU_DEP_2)
	v_add_f32_e32 v87, v86, v79
	v_cndmask_b32_e64 v86, 0, v88, s15
	v_add_f32_e32 v88, v87, v80
	s_delay_alu instid0(TRANS32_DEP_2) | instskip(NEXT) | instid1(VALU_DEP_2)
	v_cndmask_b32_e64 v87, 0, v90, s16
	v_add_f32_e32 v90, v88, v86
	s_waitcnt_depctr 0xfff
	v_cndmask_b32_e64 v88, 0, v89, s17
	v_add_f32_e32 v89, v90, v87
	s_delay_alu instid0(VALU_DEP_1) | instskip(SKIP_1) | instid1(VALU_DEP_1)
	v_add_f32_e32 v90, v89, v88
	v_cndmask_b32_e64 v89, 0, v100, s18
	v_add_f32_e32 v90, v90, v89
	ds_bpermute_b32 v99, v99, v90
	s_and_saveexec_b32 s4, s3
	s_cbranch_execz .LBB508_14
; %bb.13:
	v_mul_u32_u24_e32 v75, 0x44, v74
	s_waitcnt lgkmcnt(0)
	v_add_f32_e32 v90, v90, v99
	s_delay_alu instid0(VALU_DEP_2) | instskip(NEXT) | instid1(VALU_DEP_1)
	v_lshl_add_u32 v75, v73, 2, v75
	v_add_nc_u32_e32 v75, 0x4000, v75
	ds_store_2addr_b32 v75, v76, v90 offset1:136
.LBB508_14:
	s_or_b32 exec_lo, exec_lo, s4
	v_lshlrev_b32_e32 v75, 2, v73
	s_waitcnt lgkmcnt(0)
	s_barrier
	buffer_gl0_inv
	v_cmp_eq_u32_e64 s4, 1, v74
	v_add_nc_u32_e32 v90, 0x4000, v75
	ds_load_2addr_b32 v[99:100], v90 offset1:17
	ds_load_2addr_b32 v[101:102], v90 offset0:34 offset1:51
	ds_load_2addr_b32 v[103:104], v90 offset0:68 offset1:85
	;; [unrolled: 1-line block ×4, first 2 shown]
	s_waitcnt lgkmcnt(4)
	v_max3_f32 v75, v99, 0xff7fffff, v100
	s_waitcnt lgkmcnt(3)
	s_delay_alu instid0(VALU_DEP_1) | instskip(SKIP_1) | instid1(VALU_DEP_1)
	v_max3_f32 v75, v75, v101, v102
	s_waitcnt lgkmcnt(2)
	v_max3_f32 v75, v75, v103, v104
	s_waitcnt lgkmcnt(1)
	s_delay_alu instid0(VALU_DEP_1) | instskip(NEXT) | instid1(VALU_DEP_1)
	v_max3_f32 v75, v75, v105, v106
	v_sub_f32_e32 v109, v100, v75
	v_sub_f32_e32 v76, v99, v75
	ds_load_2addr_b32 v[99:100], v90 offset0:170 offset1:187
	v_sub_f32_e32 v101, v101, v75
	v_dual_mul_f32 v109, 0x3fb8aa3b, v109 :: v_dual_mul_f32 v76, 0x3fb8aa3b, v76
	s_delay_alu instid0(VALU_DEP_2) | instskip(NEXT) | instid1(VALU_DEP_2)
	v_mul_f32_e32 v111, 0x3fb8aa3b, v101
	v_exp_f32_e32 v109, v109
	s_delay_alu instid0(VALU_DEP_2)
	v_exp_f32_e32 v110, v76
	v_sub_f32_e32 v76, v102, v75
	ds_load_2addr_b32 v[101:102], v90 offset0:204 offset1:221
	v_exp_f32_e32 v111, v111
	v_mul_f32_e32 v112, 0x3fb8aa3b, v76
	s_waitcnt lgkmcnt(2)
	v_fma_f32 v76, v110, v107, 0
	v_sub_f32_e32 v103, v103, v75
	s_delay_alu instid0(VALU_DEP_3) | instskip(NEXT) | instid1(VALU_DEP_2)
	v_exp_f32_e32 v112, v112
	v_dual_sub_f32 v107, v104, v75 :: v_dual_fmac_f32 v76, v109, v108
	s_waitcnt lgkmcnt(1)
	s_waitcnt_depctr 0xfff
	v_fmac_f32_e32 v76, v111, v99
	v_mul_f32_e32 v113, 0x3fb8aa3b, v103
	ds_load_2addr_b32 v[103:104], v90 offset0:238 offset1:255
	v_sub_f32_e32 v90, v105, v75
	v_dual_sub_f32 v99, v106, v75 :: v_dual_fmac_f32 v76, v112, v100
	v_mul_f32_e32 v105, 0x3fb8aa3b, v107
	v_exp_f32_e32 v107, v113
	s_delay_alu instid0(VALU_DEP_2)
	v_dual_mul_f32 v90, 0x3fb8aa3b, v90 :: v_dual_mul_f32 v99, 0x3fb8aa3b, v99
	s_waitcnt lgkmcnt(0)
	s_barrier
	buffer_gl0_inv
	v_exp_f32_e32 v90, v90
	v_exp_f32_e32 v99, v99
	v_fmac_f32_e32 v76, v107, v101
	v_exp_f32_e32 v105, v105
	s_waitcnt_depctr 0xfff
	v_fmac_f32_e32 v76, v105, v102
	s_delay_alu instid0(VALU_DEP_1) | instskip(NEXT) | instid1(VALU_DEP_1)
	v_fmac_f32_e32 v76, v90, v103
	v_fmac_f32_e32 v76, v99, v104
	s_delay_alu instid0(VALU_DEP_1) | instskip(NEXT) | instid1(VALU_DEP_1)
	v_add_f32_e32 v100, 0x358637bd, v76
	v_div_scale_f32 v101, null, v100, v100, 1.0
	v_div_scale_f32 v104, vcc_lo, 1.0, v100, 1.0
	s_delay_alu instid0(VALU_DEP_2) | instskip(SKIP_2) | instid1(VALU_DEP_1)
	v_rcp_f32_e32 v102, v101
	s_waitcnt_depctr 0xfff
	v_fma_f32 v103, -v101, v102, 1.0
	v_fmac_f32_e32 v102, v103, v102
	v_cndmask_b32_e64 v103, v110, v109, s4
	v_cmp_eq_u32_e64 s4, 2, v74
	s_delay_alu instid0(VALU_DEP_3) | instskip(NEXT) | instid1(VALU_DEP_2)
	v_mul_f32_e32 v106, v104, v102
	v_cndmask_b32_e64 v103, v103, v111, s4
	v_cmp_eq_u32_e64 s4, 3, v74
	s_delay_alu instid0(VALU_DEP_3) | instskip(NEXT) | instid1(VALU_DEP_2)
	v_fma_f32 v108, -v101, v106, v104
	v_cndmask_b32_e64 v103, v103, v112, s4
	v_cmp_eq_u32_e64 s4, 4, v74
	s_delay_alu instid0(VALU_DEP_3) | instskip(NEXT) | instid1(VALU_DEP_2)
	v_fmac_f32_e32 v106, v108, v102
	v_cndmask_b32_e64 v103, v103, v107, s4
	s_delay_alu instid0(VALU_DEP_2) | instskip(SKIP_1) | instid1(VALU_DEP_2)
	v_fma_f32 v101, -v101, v106, v104
	v_cmp_eq_u32_e64 s4, 5, v74
	v_div_fmas_f32 v101, v101, v102, v106
	s_delay_alu instid0(VALU_DEP_2) | instskip(SKIP_2) | instid1(VALU_DEP_3)
	v_cndmask_b32_e64 v103, v103, v105, s4
	v_cmp_eq_u32_e32 vcc_lo, 6, v74
	s_mov_b32 s4, exec_lo
	v_div_fixup_f32 v100, v101, v100, 1.0
	s_delay_alu instid0(VALU_DEP_3) | instskip(SKIP_1) | instid1(VALU_DEP_2)
	v_cndmask_b32_e32 v90, v103, v90, vcc_lo
	v_cmp_eq_u32_e32 vcc_lo, 7, v74
	v_cndmask_b32_e32 v90, v90, v99, vcc_lo
	s_delay_alu instid0(VALU_DEP_1) | instskip(NEXT) | instid1(VALU_DEP_1)
	v_mul_f32_e32 v90, v90, v100
	v_mul_f32_e32 v100, v90, v92
	;; [unrolled: 1-line block ×6, first 2 shown]
	v_and_b32_e32 v101, 0x7f800000, v100
	v_mul_f32_e32 v99, v90, v95
	v_mul_f32_e32 v95, v90, v91
	;; [unrolled: 1-line block ×3, first 2 shown]
                                        ; implicit-def: $vgpr91
	s_delay_alu instid0(VALU_DEP_4)
	v_cmpx_ne_u32_e32 0x7f800000, v101
	s_xor_b32 s4, exec_lo, s4
; %bb.15:
	v_bfe_u32 v91, v100, 16, 1
	s_delay_alu instid0(VALU_DEP_1)
	v_add3_u32 v91, v100, v91, 0x7fff
                                        ; implicit-def: $vgpr100
; %bb.16:
	s_and_not1_saveexec_b32 s4, s4
; %bb.17:
	v_and_b32_e32 v91, 0xffff, v100
	v_or_b32_e32 v93, 0x10000, v100
	s_delay_alu instid0(VALU_DEP_2) | instskip(NEXT) | instid1(VALU_DEP_2)
	v_cmp_eq_u32_e32 vcc_lo, 0, v91
	v_cndmask_b32_e32 v91, v93, v100, vcc_lo
; %bb.18:
	s_or_b32 exec_lo, exec_lo, s4
	v_and_b32_e32 v93, 0x7f800000, v95
	s_delay_alu instid0(VALU_DEP_1) | instskip(SKIP_1) | instid1(SALU_CYCLE_1)
	v_cmp_ne_u32_e32 vcc_lo, 0x7f800000, v93
                                        ; implicit-def: $vgpr93
	s_and_saveexec_b32 s4, vcc_lo
	s_xor_b32 s4, exec_lo, s4
; %bb.19:
	v_bfe_u32 v93, v95, 16, 1
	s_delay_alu instid0(VALU_DEP_1)
	v_add3_u32 v93, v95, v93, 0x7fff
                                        ; implicit-def: $vgpr95
; %bb.20:
	s_and_not1_saveexec_b32 s4, s4
; %bb.21:
	v_and_b32_e32 v93, 0xffff, v95
	v_or_b32_e32 v100, 0x10000, v95
	s_delay_alu instid0(VALU_DEP_2) | instskip(NEXT) | instid1(VALU_DEP_2)
	v_cmp_eq_u32_e32 vcc_lo, 0, v93
	v_cndmask_b32_e32 v93, v100, v95, vcc_lo
; %bb.22:
	s_or_b32 exec_lo, exec_lo, s4
	v_and_b32_e32 v95, 0x7f800000, v96
	s_delay_alu instid0(VALU_DEP_1) | instskip(SKIP_1) | instid1(SALU_CYCLE_1)
	v_cmp_ne_u32_e32 vcc_lo, 0x7f800000, v95
                                        ; implicit-def: $vgpr95
	s_and_saveexec_b32 s4, vcc_lo
	s_xor_b32 s4, exec_lo, s4
; %bb.23:
	v_bfe_u32 v95, v96, 16, 1
	s_delay_alu instid0(VALU_DEP_1)
	v_add3_u32 v95, v96, v95, 0x7fff
                                        ; implicit-def: $vgpr96
; %bb.24:
	s_and_not1_saveexec_b32 s4, s4
; %bb.25:
	v_and_b32_e32 v95, 0xffff, v96
	v_or_b32_e32 v100, 0x10000, v96
	s_delay_alu instid0(VALU_DEP_2) | instskip(NEXT) | instid1(VALU_DEP_2)
	v_cmp_eq_u32_e32 vcc_lo, 0, v95
	v_cndmask_b32_e32 v95, v100, v96, vcc_lo
; %bb.26:
	s_or_b32 exec_lo, exec_lo, s4
	v_and_b32_e32 v96, 0x7f800000, v99
	s_delay_alu instid0(VALU_DEP_1) | instskip(SKIP_1) | instid1(SALU_CYCLE_1)
	v_cmp_ne_u32_e32 vcc_lo, 0x7f800000, v96
                                        ; implicit-def: $vgpr96
	s_and_saveexec_b32 s4, vcc_lo
	s_xor_b32 s4, exec_lo, s4
; %bb.27:
	v_bfe_u32 v96, v99, 16, 1
	s_delay_alu instid0(VALU_DEP_1)
	v_add3_u32 v96, v99, v96, 0x7fff
                                        ; implicit-def: $vgpr99
; %bb.28:
	s_and_not1_saveexec_b32 s4, s4
; %bb.29:
	v_and_b32_e32 v96, 0xffff, v99
	v_or_b32_e32 v100, 0x10000, v99
	s_delay_alu instid0(VALU_DEP_2) | instskip(NEXT) | instid1(VALU_DEP_2)
	v_cmp_eq_u32_e32 vcc_lo, 0, v96
	v_cndmask_b32_e32 v96, v100, v99, vcc_lo
; %bb.30:
	s_or_b32 exec_lo, exec_lo, s4
	v_and_b32_e32 v99, 0x7f800000, v98
	s_delay_alu instid0(VALU_DEP_1) | instskip(SKIP_1) | instid1(SALU_CYCLE_1)
	v_cmp_ne_u32_e32 vcc_lo, 0x7f800000, v99
                                        ; implicit-def: $vgpr99
	s_and_saveexec_b32 s4, vcc_lo
	s_xor_b32 s4, exec_lo, s4
; %bb.31:
	v_bfe_u32 v99, v98, 16, 1
	s_delay_alu instid0(VALU_DEP_1)
	v_add3_u32 v99, v98, v99, 0x7fff
                                        ; implicit-def: $vgpr98
; %bb.32:
	s_and_not1_saveexec_b32 s4, s4
; %bb.33:
	v_and_b32_e32 v99, 0xffff, v98
	v_or_b32_e32 v100, 0x10000, v98
	s_delay_alu instid0(VALU_DEP_2) | instskip(NEXT) | instid1(VALU_DEP_2)
	v_cmp_eq_u32_e32 vcc_lo, 0, v99
	v_cndmask_b32_e32 v99, v100, v98, vcc_lo
; %bb.34:
	s_or_b32 exec_lo, exec_lo, s4
	v_and_b32_e32 v98, 0x7f800000, v97
	s_delay_alu instid0(VALU_DEP_1) | instskip(SKIP_1) | instid1(SALU_CYCLE_1)
	v_cmp_ne_u32_e32 vcc_lo, 0x7f800000, v98
                                        ; implicit-def: $vgpr98
	s_and_saveexec_b32 s4, vcc_lo
	s_xor_b32 s4, exec_lo, s4
; %bb.35:
	v_bfe_u32 v98, v97, 16, 1
	s_delay_alu instid0(VALU_DEP_1)
	v_add3_u32 v98, v97, v98, 0x7fff
                                        ; implicit-def: $vgpr97
; %bb.36:
	s_and_not1_saveexec_b32 s4, s4
; %bb.37:
	v_and_b32_e32 v98, 0xffff, v97
	v_or_b32_e32 v100, 0x10000, v97
	s_delay_alu instid0(VALU_DEP_2) | instskip(NEXT) | instid1(VALU_DEP_2)
	v_cmp_eq_u32_e32 vcc_lo, 0, v98
	v_cndmask_b32_e32 v98, v100, v97, vcc_lo
; %bb.38:
	s_or_b32 exec_lo, exec_lo, s4
	v_and_b32_e32 v97, 0x7f800000, v94
	s_delay_alu instid0(VALU_DEP_1) | instskip(SKIP_1) | instid1(SALU_CYCLE_1)
	v_cmp_ne_u32_e32 vcc_lo, 0x7f800000, v97
                                        ; implicit-def: $vgpr97
	s_and_saveexec_b32 s4, vcc_lo
	s_xor_b32 s4, exec_lo, s4
; %bb.39:
	v_bfe_u32 v97, v94, 16, 1
	s_delay_alu instid0(VALU_DEP_1)
	v_add3_u32 v97, v94, v97, 0x7fff
                                        ; implicit-def: $vgpr94
; %bb.40:
	s_and_not1_saveexec_b32 s4, s4
; %bb.41:
	v_and_b32_e32 v97, 0xffff, v94
	v_or_b32_e32 v100, 0x10000, v94
	s_delay_alu instid0(VALU_DEP_2) | instskip(NEXT) | instid1(VALU_DEP_2)
	v_cmp_eq_u32_e32 vcc_lo, 0, v97
	v_cndmask_b32_e32 v97, v100, v94, vcc_lo
; %bb.42:
	s_or_b32 exec_lo, exec_lo, s4
	v_and_b32_e32 v94, 0x7f800000, v92
	s_delay_alu instid0(VALU_DEP_1) | instskip(SKIP_1) | instid1(SALU_CYCLE_1)
	v_cmp_ne_u32_e32 vcc_lo, 0x7f800000, v94
                                        ; implicit-def: $vgpr94
	s_and_saveexec_b32 s4, vcc_lo
	s_xor_b32 s4, exec_lo, s4
; %bb.43:
	v_bfe_u32 v94, v92, 16, 1
	s_delay_alu instid0(VALU_DEP_1)
	v_add3_u32 v94, v92, v94, 0x7fff
                                        ; implicit-def: $vgpr92
; %bb.44:
	s_and_not1_saveexec_b32 s4, s4
; %bb.45:
	v_and_b32_e32 v94, 0xffff, v92
	v_or_b32_e32 v100, 0x10000, v92
	s_delay_alu instid0(VALU_DEP_2) | instskip(NEXT) | instid1(VALU_DEP_2)
	v_cmp_eq_u32_e32 vcc_lo, 0, v94
	v_cndmask_b32_e32 v94, v100, v92, vcc_lo
; %bb.46:
	s_or_b32 exec_lo, exec_lo, s4
	s_load_b64 s[36:37], s[0:1], 0x94
	v_lshlrev_b32_e32 v92, 4, v83
	s_delay_alu instid0(VALU_DEP_2)
	v_perm_b32 v100, v94, v97, 0x7060302
	v_dual_mul_f32 v89, v90, v89 :: v_dual_lshlrev_b32 v94, 11, v74
	v_perm_b32 v97, v93, v91, 0x7060302
	v_mul_f32_e32 v93, v90, v77
	v_perm_b32 v99, v98, v99, 0x7060302
	v_perm_b32 v98, v96, v95, 0x7060302
	v_or3_b32 v77, v92, v94, v85
	v_mul_f32_e32 v88, v90, v88
	v_dual_mul_f32 v87, v90, v87 :: v_dual_and_b32 v94, 0x7f800000, v93
	v_mul_f32_e32 v86, v90, v86
	v_mul_f32_e32 v91, v90, v80
	;; [unrolled: 1-line block ×4, first 2 shown]
	s_mov_b32 s4, exec_lo
	ds_store_b128 v77, v[97:100]
                                        ; implicit-def: $vgpr78
	v_cmpx_ne_u32_e32 0x7f800000, v94
	s_xor_b32 s4, exec_lo, s4
; %bb.47:
	v_bfe_u32 v78, v93, 16, 1
	s_delay_alu instid0(VALU_DEP_1)
	v_add3_u32 v78, v93, v78, 0x7fff
                                        ; implicit-def: $vgpr93
; %bb.48:
	s_and_not1_saveexec_b32 s4, s4
; %bb.49:
	v_and_b32_e32 v78, 0xffff, v93
	v_or_b32_e32 v79, 0x10000, v93
	s_delay_alu instid0(VALU_DEP_2) | instskip(NEXT) | instid1(VALU_DEP_2)
	v_cmp_eq_u32_e32 vcc_lo, 0, v78
	v_cndmask_b32_e32 v78, v79, v93, vcc_lo
; %bb.50:
	s_or_b32 exec_lo, exec_lo, s4
	v_and_b32_e32 v79, 0x7f800000, v80
	s_delay_alu instid0(VALU_DEP_1) | instskip(SKIP_1) | instid1(SALU_CYCLE_1)
	v_cmp_ne_u32_e32 vcc_lo, 0x7f800000, v79
                                        ; implicit-def: $vgpr79
	s_and_saveexec_b32 s4, vcc_lo
	s_xor_b32 s4, exec_lo, s4
; %bb.51:
	v_bfe_u32 v79, v80, 16, 1
	s_delay_alu instid0(VALU_DEP_1)
	v_add3_u32 v79, v80, v79, 0x7fff
                                        ; implicit-def: $vgpr80
; %bb.52:
	s_and_not1_saveexec_b32 s4, s4
; %bb.53:
	v_and_b32_e32 v79, 0xffff, v80
	v_or_b32_e32 v90, 0x10000, v80
	s_delay_alu instid0(VALU_DEP_2) | instskip(NEXT) | instid1(VALU_DEP_2)
	v_cmp_eq_u32_e32 vcc_lo, 0, v79
	v_cndmask_b32_e32 v79, v90, v80, vcc_lo
; %bb.54:
	s_or_b32 exec_lo, exec_lo, s4
	v_and_b32_e32 v80, 0x7f800000, v92
	s_delay_alu instid0(VALU_DEP_1) | instskip(SKIP_1) | instid1(SALU_CYCLE_1)
	v_cmp_ne_u32_e32 vcc_lo, 0x7f800000, v80
                                        ; implicit-def: $vgpr80
	s_and_saveexec_b32 s4, vcc_lo
	s_xor_b32 s4, exec_lo, s4
; %bb.55:
	v_bfe_u32 v80, v92, 16, 1
	s_delay_alu instid0(VALU_DEP_1)
	v_add3_u32 v80, v92, v80, 0x7fff
                                        ; implicit-def: $vgpr92
; %bb.56:
	s_and_not1_saveexec_b32 s4, s4
; %bb.57:
	v_and_b32_e32 v80, 0xffff, v92
	v_or_b32_e32 v90, 0x10000, v92
	s_delay_alu instid0(VALU_DEP_2) | instskip(NEXT) | instid1(VALU_DEP_2)
	v_cmp_eq_u32_e32 vcc_lo, 0, v80
	v_cndmask_b32_e32 v80, v90, v92, vcc_lo
; %bb.58:
	s_or_b32 exec_lo, exec_lo, s4
	v_and_b32_e32 v90, 0x7f800000, v91
	s_delay_alu instid0(VALU_DEP_1) | instskip(SKIP_1) | instid1(SALU_CYCLE_1)
	v_cmp_ne_u32_e32 vcc_lo, 0x7f800000, v90
                                        ; implicit-def: $vgpr90
	s_and_saveexec_b32 s4, vcc_lo
	s_xor_b32 s4, exec_lo, s4
; %bb.59:
	v_bfe_u32 v90, v91, 16, 1
	s_delay_alu instid0(VALU_DEP_1)
	v_add3_u32 v90, v91, v90, 0x7fff
                                        ; implicit-def: $vgpr91
; %bb.60:
	s_and_not1_saveexec_b32 s4, s4
; %bb.61:
	v_and_b32_e32 v90, 0xffff, v91
	v_or_b32_e32 v92, 0x10000, v91
	s_delay_alu instid0(VALU_DEP_2) | instskip(NEXT) | instid1(VALU_DEP_2)
	v_cmp_eq_u32_e32 vcc_lo, 0, v90
	v_cndmask_b32_e32 v90, v92, v91, vcc_lo
; %bb.62:
	s_or_b32 exec_lo, exec_lo, s4
	v_and_b32_e32 v91, 0x7f800000, v86
	s_delay_alu instid0(VALU_DEP_1) | instskip(SKIP_1) | instid1(SALU_CYCLE_1)
	v_cmp_ne_u32_e32 vcc_lo, 0x7f800000, v91
                                        ; implicit-def: $vgpr91
	s_and_saveexec_b32 s4, vcc_lo
	s_xor_b32 s4, exec_lo, s4
; %bb.63:
	v_bfe_u32 v91, v86, 16, 1
	s_delay_alu instid0(VALU_DEP_1)
	v_add3_u32 v91, v86, v91, 0x7fff
                                        ; implicit-def: $vgpr86
; %bb.64:
	s_and_not1_saveexec_b32 s4, s4
; %bb.65:
	v_and_b32_e32 v91, 0xffff, v86
	v_or_b32_e32 v92, 0x10000, v86
	s_delay_alu instid0(VALU_DEP_2) | instskip(NEXT) | instid1(VALU_DEP_2)
	v_cmp_eq_u32_e32 vcc_lo, 0, v91
	v_cndmask_b32_e32 v91, v92, v86, vcc_lo
; %bb.66:
	s_or_b32 exec_lo, exec_lo, s4
	v_and_b32_e32 v86, 0x7f800000, v87
	s_delay_alu instid0(VALU_DEP_1) | instskip(SKIP_1) | instid1(SALU_CYCLE_1)
	v_cmp_ne_u32_e32 vcc_lo, 0x7f800000, v86
                                        ; implicit-def: $vgpr86
	s_and_saveexec_b32 s4, vcc_lo
	s_xor_b32 s4, exec_lo, s4
; %bb.67:
	v_bfe_u32 v86, v87, 16, 1
	s_delay_alu instid0(VALU_DEP_1)
	v_add3_u32 v86, v87, v86, 0x7fff
                                        ; implicit-def: $vgpr87
; %bb.68:
	s_and_not1_saveexec_b32 s4, s4
; %bb.69:
	v_and_b32_e32 v86, 0xffff, v87
	v_or_b32_e32 v92, 0x10000, v87
	s_delay_alu instid0(VALU_DEP_2) | instskip(NEXT) | instid1(VALU_DEP_2)
	v_cmp_eq_u32_e32 vcc_lo, 0, v86
	v_cndmask_b32_e32 v86, v92, v87, vcc_lo
; %bb.70:
	s_or_b32 exec_lo, exec_lo, s4
	v_and_b32_e32 v87, 0x7f800000, v88
	s_delay_alu instid0(VALU_DEP_1) | instskip(SKIP_1) | instid1(SALU_CYCLE_1)
	v_cmp_ne_u32_e32 vcc_lo, 0x7f800000, v87
                                        ; implicit-def: $vgpr87
	s_and_saveexec_b32 s4, vcc_lo
	s_xor_b32 s4, exec_lo, s4
; %bb.71:
	v_bfe_u32 v87, v88, 16, 1
	s_delay_alu instid0(VALU_DEP_1)
	v_add3_u32 v87, v88, v87, 0x7fff
                                        ; implicit-def: $vgpr88
; %bb.72:
	s_and_not1_saveexec_b32 s4, s4
; %bb.73:
	v_and_b32_e32 v87, 0xffff, v88
	v_or_b32_e32 v92, 0x10000, v88
	s_delay_alu instid0(VALU_DEP_2) | instskip(NEXT) | instid1(VALU_DEP_2)
	v_cmp_eq_u32_e32 vcc_lo, 0, v87
	v_cndmask_b32_e32 v87, v92, v88, vcc_lo
; %bb.74:
	s_or_b32 exec_lo, exec_lo, s4
	v_and_b32_e32 v88, 0x7f800000, v89
	s_delay_alu instid0(VALU_DEP_1) | instskip(SKIP_1) | instid1(SALU_CYCLE_1)
	v_cmp_ne_u32_e32 vcc_lo, 0x7f800000, v88
                                        ; implicit-def: $vgpr88
	s_and_saveexec_b32 s4, vcc_lo
	s_xor_b32 s4, exec_lo, s4
; %bb.75:
	v_bfe_u32 v88, v89, 16, 1
	s_delay_alu instid0(VALU_DEP_1)
	v_add3_u32 v88, v89, v88, 0x7fff
                                        ; implicit-def: $vgpr89
; %bb.76:
	s_and_not1_saveexec_b32 s4, s4
; %bb.77:
	v_and_b32_e32 v88, 0xffff, v89
	v_or_b32_e32 v92, 0x10000, v89
	s_delay_alu instid0(VALU_DEP_2) | instskip(NEXT) | instid1(VALU_DEP_2)
	v_cmp_eq_u32_e32 vcc_lo, 0, v88
	v_cndmask_b32_e32 v88, v92, v89, vcc_lo
; %bb.78:
	s_or_b32 exec_lo, exec_lo, s4
	s_delay_alu instid0(VALU_DEP_1)
	v_perm_b32 v89, v88, v87, 0x7060302
	v_perm_b32 v88, v86, v91, 0x7060302
	;; [unrolled: 1-line block ×4, first 2 shown]
	v_lshl_or_b32 v90, v74, 11, v85
	ds_store_b128 v77, v[86:89] offset:1024
	s_waitcnt lgkmcnt(0)
	s_barrier
	buffer_gl0_inv
	ds_load_b128 v[91:94], v90
	ds_load_b128 v[95:98], v90 offset:16
	v_lshlrev_b32_e32 v87, 2, v83
	s_delay_alu instid0(VALU_DEP_1)
	v_or_b32_e32 v88, 1, v87
	v_cmp_eq_u32_e32 vcc_lo, 1, v87
	v_cmp_eq_u32_e64 s5, 2, v87
	v_cmp_eq_u32_e64 s8, 3, v87
	v_cmp_eq_u32_e64 s10, 4, v87
	v_cmp_eq_u32_e64 s4, 1, v88
	v_cmp_eq_u32_e64 s7, 2, v88
	v_cmp_eq_u32_e64 s9, 3, v88
	v_or_b32_e32 v86, 2, v87
	v_cmp_eq_u32_e64 s11, 5, v87
	v_cmp_eq_u32_e64 s12, 4, v88
	;; [unrolled: 1-line block ×4, first 2 shown]
	s_waitcnt lgkmcnt(1)
	v_lshrrev_b32_e32 v74, 16, v91
	s_waitcnt lgkmcnt(0)
	v_lshrrev_b32_e32 v103, 16, v95
	v_lshrrev_b32_e32 v80, 16, v94
	;; [unrolled: 1-line block ×4, first 2 shown]
	v_cndmask_b32_e32 v89, v91, v74, vcc_lo
	v_cndmask_b32_e32 v99, v95, v103, vcc_lo
	v_cndmask_b32_e64 v100, v91, v74, s4
	v_lshrrev_b32_e32 v79, 16, v93
	v_lshrrev_b32_e32 v108, 16, v97
	v_cndmask_b32_e64 v89, v89, v92, s5
	v_cndmask_b32_e64 v99, v99, v96, s5
	;; [unrolled: 1-line block ×4, first 2 shown]
	v_cmp_eq_u32_e64 s6, 1, v86
	v_cndmask_b32_e64 v89, v89, v78, s8
	v_cndmask_b32_e64 v99, v99, v107, s8
	;; [unrolled: 1-line block ×4, first 2 shown]
	v_lshrrev_b32_e32 v109, 16, v98
	v_cndmask_b32_e64 v89, v89, v93, s10
	v_cndmask_b32_e64 v99, v99, v97, s10
	;; [unrolled: 1-line block ×8, first 2 shown]
	v_cmp_eq_u32_e64 s16, 7, v87
	v_cmp_eq_u32_e64 s17, 6, v88
	v_cndmask_b32_e64 v89, v89, v94, s13
	v_cndmask_b32_e64 v99, v99, v98, s13
	v_cmp_eq_u32_e64 s18, 2, v86
	v_cndmask_b32_e64 v101, v101, v97, s12
	v_cndmask_b32_e64 v100, v100, v94, s17
	v_cndmask_b32_e64 v110, v89, v80, s16
	v_cndmask_b32_e64 v111, v99, v109, s16
	v_cndmask_b32_e64 v89, v102, v92, s18
	v_cndmask_b32_e64 v99, v95, v103, s6
	v_cmp_eq_u32_e64 s19, 7, v88
	v_cmp_eq_u32_e64 s20, 3, v86
	;; [unrolled: 1-line block ×4, first 2 shown]
	v_cndmask_b32_e64 v99, v99, v96, s18
	v_cndmask_b32_e64 v112, v100, v80, s19
	;; [unrolled: 1-line block ×4, first 2 shown]
	v_or_b32_e32 v89, 3, v87
	v_cndmask_b32_e64 v105, v99, v107, s20
	v_cmp_eq_u32_e64 s25, 6, v86
	v_cndmask_b32_e64 v113, v100, v98, s17
	v_cndmask_b32_e64 v104, v101, v93, s21
	ds_load_b128 v[99:102], v90 offset:1024
	v_cmp_eq_u32_e64 s22, 1, v89
	v_cmp_eq_u32_e64 s24, 2, v89
	;; [unrolled: 1-line block ×3, first 2 shown]
	v_cndmask_b32_e64 v114, v104, v79, s23
	v_cmp_eq_u32_e64 s27, 4, v89
	v_cndmask_b32_e64 v74, v91, v74, s22
	v_cndmask_b32_e64 v91, v105, v97, s21
	;; [unrolled: 1-line block ×3, first 2 shown]
	ds_load_b128 v[103:106], v90 offset:1040
	v_cmp_eq_u32_e64 s29, 5, v89
	v_cndmask_b32_e64 v74, v74, v92, s24
	v_cndmask_b32_e64 v91, v91, v108, s23
	;; [unrolled: 1-line block ×3, first 2 shown]
	v_cmp_eq_u32_e64 s30, 6, v89
	v_cndmask_b32_e64 v95, v113, v109, s19
	v_cndmask_b32_e64 v74, v74, v78, s26
	;; [unrolled: 1-line block ×5, first 2 shown]
	s_waitcnt lgkmcnt(1)
	v_lshrrev_b32_e32 v96, 16, v99
	v_cndmask_b32_e64 v74, v74, v93, s27
	v_lshrrev_b32_e32 v107, 16, v100
	v_cndmask_b32_e64 v92, v92, v97, s27
	v_cmp_eq_u32_e64 s28, 7, v86
	v_cndmask_b32_e32 v93, v99, v96, vcc_lo
	v_cndmask_b32_e64 v74, v74, v79, s29
	s_delay_alu instid0(VALU_DEP_4)
	v_cndmask_b32_e64 v79, v92, v108, s29
	s_waitcnt lgkmcnt(0)
	v_lshrrev_b32_e32 v97, 16, v103
	v_cndmask_b32_e64 v92, v93, v100, s5
	v_cndmask_b32_e64 v93, v99, v96, s4
	;; [unrolled: 1-line block ×4, first 2 shown]
	v_cndmask_b32_e32 v108, v103, v97, vcc_lo
	v_cndmask_b32_e64 v92, v92, v107, s8
	v_cndmask_b32_e64 v93, v93, v100, s7
	v_lshrrev_b32_e32 v98, 16, v104
	v_cmp_eq_u32_e32 vcc_lo, 7, v89
	v_cndmask_b32_e64 v94, v108, v104, s5
	v_cndmask_b32_e64 v92, v92, v101, s10
	v_lshrrev_b32_e32 v108, 16, v101
	v_cndmask_b32_e64 v93, v93, v107, s9
	v_cndmask_b32_e32 v74, v74, v80, vcc_lo
	v_cndmask_b32_e64 v94, v94, v98, s8
	v_cndmask_b32_e32 v79, v79, v109, vcc_lo
	v_cndmask_b32_e64 v92, v92, v108, s11
	v_cndmask_b32_e64 v78, v78, v80, s28
	;; [unrolled: 1-line block ×4, first 2 shown]
	v_perm_b32 v94, v79, v74, 0x5040100
	v_cndmask_b32_e64 v79, v92, v102, s13
	v_perm_b32 v92, v95, v112, 0x5040100
	v_cndmask_b32_e64 v95, v99, v96, s6
	v_cndmask_b32_e64 v96, v99, v96, s22
	;; [unrolled: 1-line block ×16, first 2 shown]
	v_lshrrev_b32_e32 v109, 16, v105
	v_cndmask_b32_e64 v95, v95, v101, s21
	v_cndmask_b32_e64 v96, v96, v101, s27
	;; [unrolled: 1-line block ×6, first 2 shown]
	v_lshrrev_b32_e32 v80, 16, v102
	v_cndmask_b32_e64 v113, v93, v109, s11
	v_cndmask_b32_e64 v95, v95, v108, s23
	v_cndmask_b32_e64 v96, v96, v108, s29
	v_cndmask_b32_e64 v98, v98, v109, s29
	v_cndmask_b32_e64 v99, v99, v109, s23
	v_cndmask_b32_e64 v97, v97, v109, s15
	v_perm_b32 v93, v91, v78, 0x5040100
	v_cndmask_b32_e64 v74, v74, v102, s17
	v_cndmask_b32_e64 v78, v79, v80, s16
	;; [unrolled: 1-line block ×3, first 2 shown]
	v_lshrrev_b32_e32 v91, 16, v106
	v_cndmask_b32_e64 v95, v95, v102, s25
	v_cndmask_b32_e64 v96, v96, v102, s30
	;; [unrolled: 1-line block ×7, first 2 shown]
	v_cndmask_b32_e32 v80, v96, v80, vcc_lo
	v_cndmask_b32_e32 v96, v98, v91, vcc_lo
	v_cndmask_b32_e64 v99, v99, v91, s28
	v_cndmask_b32_e64 v100, v97, v91, s19
	;; [unrolled: 1-line block ×3, first 2 shown]
	v_perm_b32 v91, v111, v110, 0x5040100
	v_perm_b32 v98, v96, v80, 0x5040100
	;; [unrolled: 1-line block ×5, first 2 shown]
	s_mul_i32 s9, s37, 11
	s_mov_b32 s4, exec_lo
	ds_store_b128 v77, v[91:94]
	ds_store_b128 v77, v[95:98] offset:1024
	v_cmpx_gt_u32_e32 11, v0
	s_cbranch_execz .LBB508_80
; %bb.79:
	s_mul_i32 s5, s9, s34
	s_load_b128 s[16:19], s[0:1], 0x58
	v_add3_u32 v77, s5, s31, v73
	s_delay_alu instid0(VALU_DEP_1) | instskip(NEXT) | instid1(VALU_DEP_1)
	v_mad_u64_u32 v[73:74], null, v77, s36, s[14:15]
	v_ashrrev_i32_e32 v74, 31, v73
	s_delay_alu instid0(VALU_DEP_1) | instskip(SKIP_1) | instid1(VALU_DEP_1)
	v_lshlrev_b64 v[73:74], 2, v[73:74]
	s_waitcnt lgkmcnt(0)
	v_add_co_u32 v77, vcc_lo, s18, v73
	s_delay_alu instid0(VALU_DEP_2)
	v_add_co_ci_u32_e32 v78, vcc_lo, s19, v74, vcc_lo
	v_add_co_u32 v73, vcc_lo, s16, v73
	v_add_co_ci_u32_e32 v74, vcc_lo, s17, v74, vcc_lo
	global_store_b32 v[77:78], v75, off
	global_store_b32 v[73:74], v76, off
.LBB508_80:
	s_or_b32 exec_lo, exec_lo, s4
	s_waitcnt lgkmcnt(0)
	s_waitcnt_vscnt null, 0x0
	s_barrier
	buffer_gl0_inv
	ds_load_b128 v[91:94], v85
	ds_load_b128 v[95:98], v85 offset:16
	ds_load_b128 v[103:106], v85 offset:1040
	;; [unrolled: 1-line block ×3, first 2 shown]
	v_mov_b32_e32 v73, 0
	ds_load_b128 v[111:114], v85 offset:2064
	ds_load_b128 v[107:110], v85 offset:2048
	;; [unrolled: 1-line block ×6, first 2 shown]
	v_mov_b32_e32 v74, v73
	v_mov_b32_e32 v75, v73
	;; [unrolled: 1-line block ×7, first 2 shown]
	s_waitcnt lgkmcnt(8)
	s_delay_alu instid0(VALU_DEP_1)
	v_wmma_f32_16x16x16_bf16 v[73:80], v[65:72], v[91:98], v[73:80]
	ds_load_b128 v[69:72], v85 offset:5136
	ds_load_b128 v[65:68], v85 offset:5120
	;; [unrolled: 1-line block ×4, first 2 shown]
	s_waitcnt lgkmcnt(10)
	v_wmma_f32_16x16x16_bf16 v[73:80], v[57:64], v[99:106], v[73:80]
	s_waitcnt lgkmcnt(8)
	s_delay_alu instid0(VALU_DEP_1)
	v_wmma_f32_16x16x16_bf16 v[73:80], v[57:64], v[107:114], v[73:80]
	ds_load_b128 v[61:64], v85 offset:7184
	ds_load_b128 v[57:60], v85 offset:7168
	;; [unrolled: 1-line block ×4, first 2 shown]
	s_waitcnt lgkmcnt(10)
	v_wmma_f32_16x16x16_bf16 v[73:80], v[49:56], v[115:122], v[73:80]
	s_waitcnt lgkmcnt(8)
	s_delay_alu instid0(VALU_DEP_1)
	v_wmma_f32_16x16x16_bf16 v[73:80], v[49:56], v[123:130], v[73:80]
	ds_load_b128 v[53:56], v85 offset:9232
	ds_load_b128 v[49:52], v85 offset:9216
	s_waitcnt lgkmcnt(8)
	v_wmma_f32_16x16x16_bf16 v[73:80], v[41:48], v[65:72], v[73:80]
	ds_load_b128 v[69:72], v85 offset:10256
	ds_load_b128 v[65:68], v85 offset:10240
	s_waitcnt lgkmcnt(8)
	;; [unrolled: 4-line block ×3, first 2 shown]
	v_wmma_f32_16x16x16_bf16 v[73:80], v[9:16], v[57:64], v[73:80]
	s_waitcnt lgkmcnt(6)
	s_delay_alu instid0(VALU_DEP_1)
	v_wmma_f32_16x16x16_bf16 v[73:80], v[9:16], v[99:106], v[73:80]
	ds_load_b128 v[13:16], v85 offset:12304
	ds_load_b128 v[9:12], v85 offset:12288
	s_waitcnt lgkmcnt(6)
	v_wmma_f32_16x16x16_bf16 v[73:80], v[1:8], v[49:56], v[73:80]
	ds_load_b128 v[53:56], v85 offset:13328
	ds_load_b128 v[49:52], v85 offset:13312
	s_waitcnt lgkmcnt(6)
	;; [unrolled: 4-line block ×4, first 2 shown]
	v_wmma_f32_16x16x16_bf16 v[73:80], v[33:40], v[9:16], v[73:80]
	s_waitcnt lgkmcnt(4)
	s_delay_alu instid0(VALU_DEP_1) | instskip(SKIP_1) | instid1(VALU_DEP_1)
	v_wmma_f32_16x16x16_bf16 v[73:80], v[25:32], v[49:56], v[73:80]
	s_waitcnt lgkmcnt(2)
	v_wmma_f32_16x16x16_bf16 v[73:80], v[25:32], v[1:8], v[73:80]
	s_waitcnt lgkmcnt(0)
	s_delay_alu instid0(VALU_DEP_1) | instskip(NEXT) | instid1(VALU_DEP_1)
	v_wmma_f32_16x16x16_bf16 v[73:80], v[17:24], v[41:48], v[73:80]
	v_and_b32_e32 v1, 0x7f800000, v73
	s_delay_alu instid0(VALU_DEP_1) | instskip(SKIP_1) | instid1(SALU_CYCLE_1)
	v_cmp_ne_u32_e32 vcc_lo, 0x7f800000, v1
                                        ; implicit-def: $vgpr1
	s_and_saveexec_b32 s4, vcc_lo
	s_xor_b32 s4, exec_lo, s4
; %bb.81:
	v_bfe_u32 v1, v73, 16, 1
	s_delay_alu instid0(VALU_DEP_1)
	v_add3_u32 v1, v73, v1, 0x7fff
; %bb.82:
	s_and_not1_saveexec_b32 s4, s4
; %bb.83:
	v_and_b32_e32 v1, 0xffff, v73
	v_or_b32_e32 v2, 0x10000, v73
	s_delay_alu instid0(VALU_DEP_2) | instskip(NEXT) | instid1(VALU_DEP_2)
	v_cmp_eq_u32_e32 vcc_lo, 0, v1
	v_cndmask_b32_e32 v1, v2, v73, vcc_lo
; %bb.84:
	s_or_b32 exec_lo, exec_lo, s4
	v_and_b32_e32 v2, 0x7f800000, v74
	s_delay_alu instid0(VALU_DEP_1) | instskip(SKIP_1) | instid1(SALU_CYCLE_1)
	v_cmp_ne_u32_e32 vcc_lo, 0x7f800000, v2
                                        ; implicit-def: $vgpr2
	s_and_saveexec_b32 s4, vcc_lo
	s_xor_b32 s4, exec_lo, s4
; %bb.85:
	v_bfe_u32 v2, v74, 16, 1
	s_delay_alu instid0(VALU_DEP_1)
	v_add3_u32 v2, v74, v2, 0x7fff
; %bb.86:
	s_and_not1_saveexec_b32 s4, s4
; %bb.87:
	v_and_b32_e32 v2, 0xffff, v74
	v_or_b32_e32 v3, 0x10000, v74
	s_delay_alu instid0(VALU_DEP_2) | instskip(NEXT) | instid1(VALU_DEP_2)
	v_cmp_eq_u32_e32 vcc_lo, 0, v2
	v_cndmask_b32_e32 v2, v3, v74, vcc_lo
; %bb.88:
	s_or_b32 exec_lo, exec_lo, s4
	v_and_b32_e32 v3, 0x7f800000, v75
	s_delay_alu instid0(VALU_DEP_1) | instskip(SKIP_1) | instid1(SALU_CYCLE_1)
	v_cmp_ne_u32_e32 vcc_lo, 0x7f800000, v3
                                        ; implicit-def: $vgpr3
	s_and_saveexec_b32 s4, vcc_lo
	s_xor_b32 s4, exec_lo, s4
; %bb.89:
	v_bfe_u32 v3, v75, 16, 1
	s_delay_alu instid0(VALU_DEP_1)
	v_add3_u32 v3, v75, v3, 0x7fff
; %bb.90:
	s_and_not1_saveexec_b32 s4, s4
; %bb.91:
	v_and_b32_e32 v3, 0xffff, v75
	v_or_b32_e32 v4, 0x10000, v75
	s_delay_alu instid0(VALU_DEP_2) | instskip(NEXT) | instid1(VALU_DEP_2)
	v_cmp_eq_u32_e32 vcc_lo, 0, v3
	v_cndmask_b32_e32 v3, v4, v75, vcc_lo
; %bb.92:
	s_or_b32 exec_lo, exec_lo, s4
	v_and_b32_e32 v4, 0x7f800000, v76
	s_delay_alu instid0(VALU_DEP_1) | instskip(SKIP_1) | instid1(SALU_CYCLE_1)
	v_cmp_ne_u32_e32 vcc_lo, 0x7f800000, v4
                                        ; implicit-def: $vgpr4
	s_and_saveexec_b32 s4, vcc_lo
	s_xor_b32 s4, exec_lo, s4
; %bb.93:
	v_bfe_u32 v4, v76, 16, 1
	s_delay_alu instid0(VALU_DEP_1)
	v_add3_u32 v4, v76, v4, 0x7fff
; %bb.94:
	s_and_not1_saveexec_b32 s4, s4
; %bb.95:
	v_and_b32_e32 v4, 0xffff, v76
	v_or_b32_e32 v5, 0x10000, v76
	s_delay_alu instid0(VALU_DEP_2) | instskip(NEXT) | instid1(VALU_DEP_2)
	v_cmp_eq_u32_e32 vcc_lo, 0, v4
	v_cndmask_b32_e32 v4, v5, v76, vcc_lo
; %bb.96:
	s_or_b32 exec_lo, exec_lo, s4
	v_and_b32_e32 v5, 0x7f800000, v77
	s_delay_alu instid0(VALU_DEP_1) | instskip(SKIP_1) | instid1(SALU_CYCLE_1)
	v_cmp_ne_u32_e32 vcc_lo, 0x7f800000, v5
                                        ; implicit-def: $vgpr5
	s_and_saveexec_b32 s4, vcc_lo
	s_xor_b32 s4, exec_lo, s4
; %bb.97:
	v_bfe_u32 v5, v77, 16, 1
	s_delay_alu instid0(VALU_DEP_1)
	v_add3_u32 v5, v77, v5, 0x7fff
; %bb.98:
	s_and_not1_saveexec_b32 s4, s4
; %bb.99:
	v_and_b32_e32 v5, 0xffff, v77
	v_or_b32_e32 v6, 0x10000, v77
	s_delay_alu instid0(VALU_DEP_2) | instskip(NEXT) | instid1(VALU_DEP_2)
	v_cmp_eq_u32_e32 vcc_lo, 0, v5
	v_cndmask_b32_e32 v5, v6, v77, vcc_lo
; %bb.100:
	s_or_b32 exec_lo, exec_lo, s4
	v_and_b32_e32 v6, 0x7f800000, v78
	s_delay_alu instid0(VALU_DEP_1) | instskip(SKIP_1) | instid1(SALU_CYCLE_1)
	v_cmp_ne_u32_e32 vcc_lo, 0x7f800000, v6
                                        ; implicit-def: $vgpr6
	s_and_saveexec_b32 s4, vcc_lo
	s_xor_b32 s4, exec_lo, s4
; %bb.101:
	v_bfe_u32 v6, v78, 16, 1
	s_delay_alu instid0(VALU_DEP_1)
	v_add3_u32 v6, v78, v6, 0x7fff
; %bb.102:
	s_and_not1_saveexec_b32 s4, s4
; %bb.103:
	v_and_b32_e32 v6, 0xffff, v78
	v_or_b32_e32 v7, 0x10000, v78
	s_delay_alu instid0(VALU_DEP_2) | instskip(NEXT) | instid1(VALU_DEP_2)
	v_cmp_eq_u32_e32 vcc_lo, 0, v6
	v_cndmask_b32_e32 v6, v7, v78, vcc_lo
; %bb.104:
	s_or_b32 exec_lo, exec_lo, s4
	v_and_b32_e32 v7, 0x7f800000, v79
	s_delay_alu instid0(VALU_DEP_1) | instskip(SKIP_1) | instid1(SALU_CYCLE_1)
	v_cmp_ne_u32_e32 vcc_lo, 0x7f800000, v7
                                        ; implicit-def: $vgpr7
	s_and_saveexec_b32 s4, vcc_lo
	s_xor_b32 s4, exec_lo, s4
; %bb.105:
	v_bfe_u32 v7, v79, 16, 1
	s_delay_alu instid0(VALU_DEP_1)
	v_add3_u32 v7, v79, v7, 0x7fff
; %bb.106:
	s_and_not1_saveexec_b32 s4, s4
; %bb.107:
	v_and_b32_e32 v7, 0xffff, v79
	v_or_b32_e32 v8, 0x10000, v79
	s_delay_alu instid0(VALU_DEP_2) | instskip(NEXT) | instid1(VALU_DEP_2)
	v_cmp_eq_u32_e32 vcc_lo, 0, v7
	v_cndmask_b32_e32 v7, v8, v79, vcc_lo
; %bb.108:
	s_or_b32 exec_lo, exec_lo, s4
	v_and_b32_e32 v8, 0x7f800000, v80
	s_delay_alu instid0(VALU_DEP_1) | instskip(SKIP_1) | instid1(SALU_CYCLE_1)
	v_cmp_ne_u32_e32 vcc_lo, 0x7f800000, v8
                                        ; implicit-def: $vgpr8
	s_and_saveexec_b32 s4, vcc_lo
	s_xor_b32 s4, exec_lo, s4
; %bb.109:
	v_bfe_u32 v8, v80, 16, 1
	s_delay_alu instid0(VALU_DEP_1)
	v_add3_u32 v8, v80, v8, 0x7fff
                                        ; implicit-def: $vgpr73_vgpr74_vgpr75_vgpr76_vgpr77_vgpr78_vgpr79_vgpr80
; %bb.110:
	s_and_not1_saveexec_b32 s4, s4
; %bb.111:
	v_and_b32_e32 v8, 0xffff, v80
	v_or_b32_e32 v9, 0x10000, v80
	s_delay_alu instid0(VALU_DEP_2) | instskip(NEXT) | instid1(VALU_DEP_2)
	v_cmp_eq_u32_e32 vcc_lo, 0, v8
	v_cndmask_b32_e32 v8, v9, v80, vcc_lo
; %bb.112:
	s_or_b32 exec_lo, exec_lo, s4
	s_delay_alu instid0(VALU_DEP_1)
	v_perm_b32 v7, v8, v7, 0x7060302
	v_perm_b32 v6, v6, v5, 0x7060302
	v_perm_b32 v5, v4, v3, 0x7060302
	v_perm_b32 v4, v2, v1, 0x7060302
	v_lshl_or_b32 v9, v83, 4, v90
	s_barrier
	buffer_gl0_inv
	v_cmp_eq_u32_e32 vcc_lo, 1, v87
	ds_store_b128 v9, v[4:7]
	s_waitcnt lgkmcnt(0)
	s_barrier
	buffer_gl0_inv
	ds_load_b128 v[1:4], v90
	ds_load_b128 v[5:8], v90 offset:16
	v_cmp_eq_u32_e64 s5, 2, v87
	v_cmp_eq_u32_e64 s4, 1, v88
	;; [unrolled: 1-line block ×5, first 2 shown]
	s_waitcnt lgkmcnt(1)
	v_lshrrev_b32_e32 v10, 16, v1
	s_waitcnt lgkmcnt(0)
	v_lshrrev_b32_e32 v14, 16, v5
	v_lshrrev_b32_e32 v15, 16, v6
	;; [unrolled: 1-line block ×4, first 2 shown]
	v_cndmask_b32_e64 v20, v1, v10, s4
	v_cndmask_b32_e32 v19, v5, v14, vcc_lo
	v_cndmask_b32_e64 v21, v5, v14, s4
	v_lshrrev_b32_e32 v16, 16, v7
	v_cmp_eq_u32_e64 s4, 1, v86
	v_lshrrev_b32_e32 v13, 16, v4
	v_cndmask_b32_e64 v19, v19, v6, s5
	v_lshrrev_b32_e32 v17, 16, v8
	s_delay_alu instid0(VALU_DEP_4) | instskip(SKIP_1) | instid1(VALU_DEP_4)
	v_cndmask_b32_e64 v22, v1, v10, s4
	v_cndmask_b32_e64 v23, v5, v14, s4
	;; [unrolled: 1-line block ×3, first 2 shown]
	v_cndmask_b32_e32 v18, v1, v10, vcc_lo
	v_cmp_eq_u32_e32 vcc_lo, 2, v88
	v_cmp_eq_u32_e64 s4, 2, v89
	v_cndmask_b32_e64 v22, v22, v2, s8
	v_cndmask_b32_e32 v20, v20, v2, vcc_lo
	v_cndmask_b32_e32 v21, v21, v6, vcc_lo
	v_cmp_eq_u32_e32 vcc_lo, 4, v87
	v_cndmask_b32_e32 v19, v19, v7, vcc_lo
	v_cndmask_b32_e64 v18, v18, v2, s5
	v_cmp_eq_u32_e64 s5, 3, v88
	s_delay_alu instid0(VALU_DEP_2) | instskip(NEXT) | instid1(VALU_DEP_2)
	v_cndmask_b32_e64 v18, v18, v11, s6
	v_cndmask_b32_e64 v21, v21, v15, s5
	v_cmp_eq_u32_e64 s6, 5, v87
	s_delay_alu instid0(VALU_DEP_3) | instskip(SKIP_1) | instid1(VALU_DEP_3)
	v_cndmask_b32_e32 v18, v18, v3, vcc_lo
	v_cmp_eq_u32_e32 vcc_lo, 4, v88
	v_cndmask_b32_e64 v19, v19, v16, s6
	s_delay_alu instid0(VALU_DEP_3) | instskip(SKIP_4) | instid1(VALU_DEP_3)
	v_cndmask_b32_e64 v18, v18, v12, s6
	v_cndmask_b32_e32 v21, v21, v7, vcc_lo
	v_cndmask_b32_e64 v20, v20, v11, s5
	v_cmp_eq_u32_e64 s5, 5, v88
	v_cmp_eq_u32_e64 s6, 6, v87
	v_cndmask_b32_e32 v20, v20, v3, vcc_lo
	s_delay_alu instid0(VALU_DEP_3) | instskip(SKIP_1) | instid1(VALU_DEP_4)
	v_cndmask_b32_e64 v21, v21, v16, s5
	v_cmp_eq_u32_e32 vcc_lo, 6, v88
	v_cndmask_b32_e64 v18, v18, v4, s6
	v_cndmask_b32_e64 v19, v19, v8, s6
	;; [unrolled: 1-line block ×3, first 2 shown]
	v_cmp_eq_u32_e64 s5, 1, v89
	v_cmp_eq_u32_e64 s6, 7, v87
	s_delay_alu instid0(VALU_DEP_3) | instskip(NEXT) | instid1(VALU_DEP_3)
	v_cndmask_b32_e32 v20, v20, v4, vcc_lo
	v_cndmask_b32_e64 v1, v1, v10, s5
	v_cndmask_b32_e64 v5, v5, v14, s5
	v_cmp_eq_u32_e64 s5, 3, v86
	v_cndmask_b32_e64 v14, v23, v6, s8
	v_cmp_eq_u32_e64 s8, 3, v89
	v_cndmask_b32_e64 v1, v1, v2, s4
	v_cndmask_b32_e64 v2, v5, v6, s4
	;; [unrolled: 1-line block ×3, first 2 shown]
	v_cmp_eq_u32_e64 s4, 4, v86
	v_cndmask_b32_e64 v6, v14, v15, s5
	v_cndmask_b32_e64 v1, v1, v11, s8
	v_cmp_eq_u32_e64 s5, 4, v89
	v_cndmask_b32_e64 v2, v2, v15, s8
	v_cndmask_b32_e64 v5, v10, v3, s4
	;; [unrolled: 3-line block ×3, first 2 shown]
	v_cndmask_b32_e64 v2, v2, v7, s5
	v_cmp_eq_u32_e64 s4, 5, v89
	v_cndmask_b32_e64 v5, v5, v12, s8
	v_cmp_eq_u32_e64 s5, 6, v86
	;; [unrolled: 2-line block ×3, first 2 shown]
	v_cndmask_b32_e64 v1, v1, v12, s4
	v_cndmask_b32_e64 v2, v2, v16, s4
	;; [unrolled: 1-line block ×4, first 2 shown]
	v_cmp_eq_u32_e64 s4, 7, v89
	v_cndmask_b32_e64 v1, v1, v4, s8
	v_cndmask_b32_e64 v2, v2, v8, s8
	v_cmp_eq_u32_e64 s5, 7, v86
	v_cndmask_b32_e32 v4, v21, v8, vcc_lo
	v_cndmask_b32_e64 v18, v18, v13, s6
	v_cndmask_b32_e64 v20, v20, v13, s7
	;; [unrolled: 1-line block ×8, first 2 shown]
	v_cmp_gt_u32_e32 vcc_lo, 32, v0
	v_perm_b32 v4, v2, v1, 0x5040100
	v_perm_b32 v3, v3, v5, 0x5040100
	;; [unrolled: 1-line block ×4, first 2 shown]
	s_and_b32 s2, vcc_lo, s2
	ds_store_b128 v9, v[1:4]
	s_waitcnt lgkmcnt(0)
	s_barrier
	buffer_gl0_inv
	s_and_saveexec_b32 s4, s2
	s_cbranch_execz .LBB508_2
; %bb.113:
	s_load_b64 s[4:5], s[0:1], 0x68
	v_lshlrev_b32_e32 v0, 10, v0
	v_lshlrev_b32_e32 v1, 4, v84
	s_lshl_b32 s0, s36, 6
	v_add_nc_u32_e32 v7, s31, v83
	s_mul_i32 s1, s0, s34
	s_delay_alu instid0(SALU_CYCLE_1) | instskip(SKIP_1) | instid1(VALU_DEP_2)
	s_mul_i32 s6, s1, s9
	v_and_or_b32 v0, 0x3800, v0, v1
	v_mul_lo_u32 v1, v7, s0
	v_add_nc_u32_e32 v2, 2, v7
	s_ashr_i32 s7, s6, 31
	v_add_nc_u32_e32 v4, 4, v7
	s_lshl_b64 s[6:7], s[6:7], 1
	v_add_nc_u32_e32 v8, 6, v7
	v_mul_lo_u32 v3, v2, s0
	v_lshl_or_b32 v19, v83, 6, v0
	v_ashrrev_i32_e32 v2, 31, v1
	v_mul_lo_u32 v11, v4, s0
	v_mul_lo_u32 v25, v8, s0
	s_waitcnt lgkmcnt(0)
	s_add_u32 s1, s4, s6
	s_addc_u32 s2, s5, s7
	s_lshl_b32 s4, s14, 6
	v_lshlrev_b64 v[5:6], 1, v[1:2]
	s_ashr_i32 s5, s4, 31
	v_ashrrev_i32_e32 v4, 31, v3
	s_lshl_b64 s[4:5], s[4:5], 1
	v_ashrrev_i32_e32 v12, 31, v11
	s_add_u32 s1, s1, s4
	s_addc_u32 s2, s2, s5
	v_add_co_u32 v1, vcc_lo, s1, v81
	v_add_co_ci_u32_e32 v2, vcc_lo, s2, v82, vcc_lo
	v_lshlrev_b64 v[3:4], 1, v[3:4]
	s_delay_alu instid0(VALU_DEP_3) | instskip(SKIP_1) | instid1(VALU_DEP_4)
	v_add_co_u32 v23, vcc_lo, v1, v5
	v_add_nc_u32_e32 v5, 8, v7
	v_add_co_ci_u32_e32 v24, vcc_lo, v2, v6, vcc_lo
	s_delay_alu instid0(VALU_DEP_4) | instskip(NEXT) | instid1(VALU_DEP_3)
	v_add_co_u32 v27, vcc_lo, v1, v3
	v_mul_lo_u32 v29, v5, s0
	v_add_co_ci_u32_e32 v28, vcc_lo, v2, v4, vcc_lo
	ds_load_b128 v[3:6], v19
	ds_load_b128 v[7:10], v19 offset:128
	v_lshlrev_b64 v[31:32], 1, v[11:12]
	ds_load_b128 v[11:14], v19 offset:256
	ds_load_b128 v[15:18], v19 offset:384
	;; [unrolled: 1-line block ×3, first 2 shown]
	v_ashrrev_i32_e32 v26, 31, v25
	v_ashrrev_i32_e32 v30, 31, v29
	v_add_co_u32 v31, vcc_lo, v1, v31
	s_delay_alu instid0(VALU_DEP_3) | instskip(NEXT) | instid1(VALU_DEP_3)
	v_lshlrev_b64 v[25:26], 1, v[25:26]
	v_lshlrev_b64 v[29:30], 1, v[29:30]
	v_add_co_ci_u32_e32 v32, vcc_lo, v2, v32, vcc_lo
	s_delay_alu instid0(VALU_DEP_3) | instskip(NEXT) | instid1(VALU_DEP_4)
	v_add_co_u32 v25, vcc_lo, v1, v25
	v_add_co_ci_u32_e32 v26, vcc_lo, v2, v26, vcc_lo
	s_delay_alu instid0(VALU_DEP_4)
	v_add_co_u32 v29, vcc_lo, v1, v29
	v_add_co_ci_u32_e32 v30, vcc_lo, v2, v30, vcc_lo
	s_waitcnt lgkmcnt(4)
	global_store_b128 v[23:24], v[3:6], off
	s_waitcnt lgkmcnt(3)
	global_store_b128 v[27:28], v[7:10], off
	;; [unrolled: 2-line block ×5, first 2 shown]
	s_and_b32 exec_lo, exec_lo, s3
	s_cbranch_execz .LBB508_2
; %bb.114:
	ds_load_b128 v[3:6], v0 offset:640
	s_add_i32 s1, s31, 10
	s_delay_alu instid0(SALU_CYCLE_1) | instskip(NEXT) | instid1(SALU_CYCLE_1)
	s_mul_i32 s0, s1, s0
	s_ashr_i32 s1, s0, 31
	s_delay_alu instid0(SALU_CYCLE_1) | instskip(NEXT) | instid1(SALU_CYCLE_1)
	s_lshl_b64 s[0:1], s[0:1], 1
	v_add_co_u32 v0, vcc_lo, v1, s0
	v_add_co_ci_u32_e32 v1, vcc_lo, s1, v2, vcc_lo
	s_waitcnt lgkmcnt(0)
	global_store_b128 v[0:1], v[3:6], off
	s_nop 0
	s_sendmsg sendmsg(MSG_DEALLOC_VGPRS)
	s_endpgm
	.section	.rodata,"a",@progbits
	.p2align	6, 0x0
	.amdhsa_kernel _Z39paged_attention_ll4mi_QKV_mfma16_kernelI14__hip_bfloat16S0_LN4vllm18Fp8KVCacheDataTypeE0EhLi32ELi64ELi256ELb1ELi11EL8MFMAType0EEvPKT_PKT0_S9_ifPKiSB_SB_iPKfiiiPfSE_PS4_PT2_iSD_SD_
		.amdhsa_group_segment_fixed_size 17472
		.amdhsa_private_segment_fixed_size 0
		.amdhsa_kernarg_size 400
		.amdhsa_user_sgpr_count 13
		.amdhsa_user_sgpr_dispatch_ptr 0
		.amdhsa_user_sgpr_queue_ptr 0
		.amdhsa_user_sgpr_kernarg_segment_ptr 1
		.amdhsa_user_sgpr_dispatch_id 0
		.amdhsa_user_sgpr_private_segment_size 0
		.amdhsa_wavefront_size32 1
		.amdhsa_uses_dynamic_stack 0
		.amdhsa_enable_private_segment 0
		.amdhsa_system_sgpr_workgroup_id_x 1
		.amdhsa_system_sgpr_workgroup_id_y 1
		.amdhsa_system_sgpr_workgroup_id_z 1
		.amdhsa_system_sgpr_workgroup_info 0
		.amdhsa_system_vgpr_workitem_id 0
		.amdhsa_next_free_vgpr 142
		.amdhsa_next_free_sgpr 39
		.amdhsa_reserve_vcc 1
		.amdhsa_float_round_mode_32 0
		.amdhsa_float_round_mode_16_64 0
		.amdhsa_float_denorm_mode_32 3
		.amdhsa_float_denorm_mode_16_64 3
		.amdhsa_dx10_clamp 1
		.amdhsa_ieee_mode 1
		.amdhsa_fp16_overflow 0
		.amdhsa_workgroup_processor_mode 1
		.amdhsa_memory_ordered 1
		.amdhsa_forward_progress 0
		.amdhsa_shared_vgpr_count 0
		.amdhsa_exception_fp_ieee_invalid_op 0
		.amdhsa_exception_fp_denorm_src 0
		.amdhsa_exception_fp_ieee_div_zero 0
		.amdhsa_exception_fp_ieee_overflow 0
		.amdhsa_exception_fp_ieee_underflow 0
		.amdhsa_exception_fp_ieee_inexact 0
		.amdhsa_exception_int_div_zero 0
	.end_amdhsa_kernel
	.section	.text._Z39paged_attention_ll4mi_QKV_mfma16_kernelI14__hip_bfloat16S0_LN4vllm18Fp8KVCacheDataTypeE0EhLi32ELi64ELi256ELb1ELi11EL8MFMAType0EEvPKT_PKT0_S9_ifPKiSB_SB_iPKfiiiPfSE_PS4_PT2_iSD_SD_,"axG",@progbits,_Z39paged_attention_ll4mi_QKV_mfma16_kernelI14__hip_bfloat16S0_LN4vllm18Fp8KVCacheDataTypeE0EhLi32ELi64ELi256ELb1ELi11EL8MFMAType0EEvPKT_PKT0_S9_ifPKiSB_SB_iPKfiiiPfSE_PS4_PT2_iSD_SD_,comdat
.Lfunc_end508:
	.size	_Z39paged_attention_ll4mi_QKV_mfma16_kernelI14__hip_bfloat16S0_LN4vllm18Fp8KVCacheDataTypeE0EhLi32ELi64ELi256ELb1ELi11EL8MFMAType0EEvPKT_PKT0_S9_ifPKiSB_SB_iPKfiiiPfSE_PS4_PT2_iSD_SD_, .Lfunc_end508-_Z39paged_attention_ll4mi_QKV_mfma16_kernelI14__hip_bfloat16S0_LN4vllm18Fp8KVCacheDataTypeE0EhLi32ELi64ELi256ELb1ELi11EL8MFMAType0EEvPKT_PKT0_S9_ifPKiSB_SB_iPKfiiiPfSE_PS4_PT2_iSD_SD_
                                        ; -- End function
	.section	.AMDGPU.csdata,"",@progbits
; Kernel info:
; codeLenInByte = 9536
; NumSgprs: 41
; NumVgprs: 142
; ScratchSize: 0
; MemoryBound: 0
; FloatMode: 240
; IeeeMode: 1
; LDSByteSize: 17472 bytes/workgroup (compile time only)
; SGPRBlocks: 5
; VGPRBlocks: 17
; NumSGPRsForWavesPerEU: 41
; NumVGPRsForWavesPerEU: 142
; Occupancy: 10
; WaveLimiterHint : 1
; COMPUTE_PGM_RSRC2:SCRATCH_EN: 0
; COMPUTE_PGM_RSRC2:USER_SGPR: 13
; COMPUTE_PGM_RSRC2:TRAP_HANDLER: 0
; COMPUTE_PGM_RSRC2:TGID_X_EN: 1
; COMPUTE_PGM_RSRC2:TGID_Y_EN: 1
; COMPUTE_PGM_RSRC2:TGID_Z_EN: 1
; COMPUTE_PGM_RSRC2:TIDIG_COMP_CNT: 0
	.section	.text._Z39paged_attention_ll4mi_QKV_mfma16_kernelI14__hip_bfloat16S0_LN4vllm18Fp8KVCacheDataTypeE0EhLi32ELi64ELi256ELb1ELi12EL8MFMAType0EEvPKT_PKT0_S9_ifPKiSB_SB_iPKfiiiPfSE_PS4_PT2_iSD_SD_,"axG",@progbits,_Z39paged_attention_ll4mi_QKV_mfma16_kernelI14__hip_bfloat16S0_LN4vllm18Fp8KVCacheDataTypeE0EhLi32ELi64ELi256ELb1ELi12EL8MFMAType0EEvPKT_PKT0_S9_ifPKiSB_SB_iPKfiiiPfSE_PS4_PT2_iSD_SD_,comdat
	.protected	_Z39paged_attention_ll4mi_QKV_mfma16_kernelI14__hip_bfloat16S0_LN4vllm18Fp8KVCacheDataTypeE0EhLi32ELi64ELi256ELb1ELi12EL8MFMAType0EEvPKT_PKT0_S9_ifPKiSB_SB_iPKfiiiPfSE_PS4_PT2_iSD_SD_ ; -- Begin function _Z39paged_attention_ll4mi_QKV_mfma16_kernelI14__hip_bfloat16S0_LN4vllm18Fp8KVCacheDataTypeE0EhLi32ELi64ELi256ELb1ELi12EL8MFMAType0EEvPKT_PKT0_S9_ifPKiSB_SB_iPKfiiiPfSE_PS4_PT2_iSD_SD_
	.globl	_Z39paged_attention_ll4mi_QKV_mfma16_kernelI14__hip_bfloat16S0_LN4vllm18Fp8KVCacheDataTypeE0EhLi32ELi64ELi256ELb1ELi12EL8MFMAType0EEvPKT_PKT0_S9_ifPKiSB_SB_iPKfiiiPfSE_PS4_PT2_iSD_SD_
	.p2align	8
	.type	_Z39paged_attention_ll4mi_QKV_mfma16_kernelI14__hip_bfloat16S0_LN4vllm18Fp8KVCacheDataTypeE0EhLi32ELi64ELi256ELb1ELi12EL8MFMAType0EEvPKT_PKT0_S9_ifPKiSB_SB_iPKfiiiPfSE_PS4_PT2_iSD_SD_,@function
_Z39paged_attention_ll4mi_QKV_mfma16_kernelI14__hip_bfloat16S0_LN4vllm18Fp8KVCacheDataTypeE0EhLi32ELi64ELi256ELb1ELi12EL8MFMAType0EEvPKT_PKT0_S9_ifPKiSB_SB_iPKfiiiPfSE_PS4_PT2_iSD_SD_: ; @_Z39paged_attention_ll4mi_QKV_mfma16_kernelI14__hip_bfloat16S0_LN4vllm18Fp8KVCacheDataTypeE0EhLi32ELi64ELi256ELb1ELi12EL8MFMAType0EEvPKT_PKT0_S9_ifPKiSB_SB_iPKfiiiPfSE_PS4_PT2_iSD_SD_
; %bb.0:
	s_load_b64 s[2:3], s[0:1], 0x30
	s_mov_b32 s30, s13
	s_waitcnt lgkmcnt(0)
	s_cmp_lg_u64 s[2:3], 0
	s_cselect_b32 s6, -1, 0
	s_ashr_i32 s31, s13, 31
	s_cmp_eq_u64 s[2:3], 0
	s_cbranch_scc1 .LBB509_3
; %bb.1:
	s_lshl_b64 s[4:5], s[30:31], 2
	s_delay_alu instid0(SALU_CYCLE_1) | instskip(SKIP_4) | instid1(SALU_CYCLE_1)
	s_add_u32 s4, s2, s4
	s_addc_u32 s5, s3, s5
	s_load_b64 s[4:5], s[4:5], 0x0
	s_waitcnt lgkmcnt(0)
	s_sub_i32 s4, s5, s4
	s_cmp_eq_u32 s4, 1
	s_cselect_b32 s4, -1, 0
	s_delay_alu instid0(SALU_CYCLE_1)
	s_and_not1_b32 vcc_lo, exec_lo, s4
	s_cbranch_vccz .LBB509_4
.LBB509_2:
	s_endpgm
.LBB509_3:
.LBB509_4:
	s_load_b64 s[8:9], s[0:1], 0x28
	s_lshl_b64 s[4:5], s[30:31], 2
	s_waitcnt lgkmcnt(0)
	s_add_u32 s8, s8, s4
	s_addc_u32 s9, s9, s5
	s_lshl_b32 s16, s14, 8
	s_load_b32 s18, s[8:9], 0x0
	s_waitcnt lgkmcnt(0)
	s_cmp_ge_i32 s16, s18
	s_cbranch_scc1 .LBB509_2
; %bb.5:
	s_and_not1_b32 vcc_lo, exec_lo, s6
	s_cbranch_vccnz .LBB509_7
; %bb.6:
	s_add_u32 s2, s2, s4
	s_addc_u32 s3, s3, s5
	s_load_b32 s17, s[2:3], 0x0
	s_branch .LBB509_8
.LBB509_7:
	s_mov_b32 s17, s30
.LBB509_8:
	s_clause 0x2
	s_load_b128 s[8:11], s[0:1], 0x8
	s_load_b64 s[12:13], s[0:1], 0x20
	s_load_b128 s[4:7], s[0:1], 0x48
	v_and_b32_e32 v73, 15, v0
	v_cmp_lt_u32_e32 vcc_lo, 0xbf, v0
	s_delay_alu instid0(VALU_DEP_2) | instskip(SKIP_2) | instid1(VALU_DEP_3)
	v_cmp_lt_u32_e64 s3, 7, v73
	v_lshlrev_b32_e32 v1, 3, v73
	v_cmp_gt_u32_e64 s2, 8, v73
	s_or_b32 s3, vcc_lo, s3
	s_waitcnt lgkmcnt(0)
	s_and_saveexec_b32 s7, s3
	s_delay_alu instid0(SALU_CYCLE_1)
	s_xor_b32 s3, exec_lo, s7
; %bb.9:
	v_mov_b32_e32 v2, 0
; %bb.10:
	s_or_saveexec_b32 s3, s3
	v_lshrrev_b32_e32 v74, 5, v0
	v_and_b32_e32 v75, 31, v0
	v_and_b32_e32 v84, 1, v0
	v_bfe_u32 v83, v0, 4, 1
	s_mul_i32 s31, s15, 12
	s_xor_b32 exec_lo, exec_lo, s3
	s_cbranch_execz .LBB509_12
; %bb.11:
	s_load_b64 s[20:21], s[0:1], 0x0
	v_lshl_or_b32 v7, v74, 1, v83
	s_mul_hi_i32 s23, s17, s4
	s_mul_i32 s22, s17, s4
	v_lshlrev_b32_e32 v4, 1, v1
	s_lshl_b64 s[22:23], s[22:23], 1
	v_add_lshl_u32 v2, v7, s31, 6
	v_lshlrev_b32_e32 v7, 6, v7
	v_lshlrev_b32_e32 v8, 10, v84
	s_delay_alu instid0(VALU_DEP_3) | instskip(NEXT) | instid1(VALU_DEP_1)
	v_ashrrev_i32_e32 v3, 31, v2
	v_lshlrev_b64 v[2:3], 1, v[2:3]
	s_waitcnt lgkmcnt(0)
	s_add_u32 s4, s20, s22
	s_addc_u32 s7, s21, s23
	s_delay_alu instid0(VALU_DEP_1) | instskip(NEXT) | instid1(VALU_DEP_2)
	v_add_co_u32 v2, vcc_lo, s4, v2
	v_add_co_ci_u32_e32 v3, vcc_lo, s7, v3, vcc_lo
	s_delay_alu instid0(VALU_DEP_2) | instskip(NEXT) | instid1(VALU_DEP_2)
	v_add_co_u32 v2, vcc_lo, v2, v4
	v_add_co_ci_u32_e32 v3, vcc_lo, 0, v3, vcc_lo
	global_load_b128 v[3:6], v[2:3], off
	v_lshlrev_b32_e32 v2, 10, v73
	s_delay_alu instid0(VALU_DEP_1) | instskip(NEXT) | instid1(VALU_DEP_1)
	v_and_b32_e32 v2, 0x3800, v2
	v_or3_b32 v7, v2, v8, v7
	v_mov_b32_e32 v2, 0
	s_waitcnt vmcnt(0)
	ds_store_b128 v7, v[3:6]
.LBB509_12:
	s_or_b32 exec_lo, exec_lo, s3
	v_and_b32_e32 v3, 0xef, v0
	s_add_i32 s3, s18, 31
	s_clause 0x1
	s_load_b32 s4, s[0:1], 0x38
	s_load_b32 s19, s[0:1], 0x1c
	s_ashr_i32 s7, s3, 31
	v_add_nc_u32_e32 v3, s16, v3
	s_lshr_b32 s7, s7, 27
	s_waitcnt lgkmcnt(0)
	s_add_i32 s3, s3, s7
	s_barrier
	v_ashrrev_i32_e32 v4, 31, v3
	v_cmp_gt_i32_e32 vcc_lo, s18, v3
	s_ashr_i32 s3, s3, 5
	buffer_gl0_inv
	s_add_i32 s3, s3, -1
	v_lshrrev_b32_e32 v5, 27, v4
	v_or_b32_e32 v4, 16, v3
	s_mul_i32 s6, s15, s6
	v_lshlrev_b64 v[81:82], 1, v[1:2]
	s_delay_alu instid0(VALU_DEP_3) | instskip(NEXT) | instid1(VALU_DEP_3)
	v_add_nc_u32_e32 v6, v3, v5
	v_add_nc_u32_e32 v5, v4, v5
	s_mul_i32 s20, s30, s4
	s_delay_alu instid0(SALU_CYCLE_1) | instskip(NEXT) | instid1(VALU_DEP_2)
	s_ashr_i32 s21, s20, 31
	v_ashrrev_i32_e32 v6, 5, v6
	s_delay_alu instid0(VALU_DEP_2) | instskip(SKIP_1) | instid1(SALU_CYCLE_1)
	v_ashrrev_i32_e32 v5, 5, v5
	s_lshl_b64 s[20:21], s[20:21], 2
	s_add_u32 s4, s12, s20
	s_delay_alu instid0(VALU_DEP_2) | instskip(SKIP_3) | instid1(SALU_CYCLE_1)
	v_cndmask_b32_e32 v3, s3, v6, vcc_lo
	v_cmp_gt_i32_e32 vcc_lo, s18, v4
	s_addc_u32 s17, s13, s21
	s_ashr_i32 s7, s6, 31
	s_lshl_b64 s[6:7], s[6:7], 1
	v_cndmask_b32_e32 v5, s3, v5, vcc_lo
	v_ashrrev_i32_e32 v4, 31, v3
	s_add_u32 s15, s8, s6
	s_addc_u32 s28, s9, s7
	s_lshl_b32 s8, s14, 3
	v_ashrrev_i32_e32 v6, 31, v5
	v_lshlrev_b64 v[3:4], 2, v[3:4]
	s_ashr_i32 s9, s8, 31
	s_delay_alu instid0(SALU_CYCLE_1) | instskip(NEXT) | instid1(VALU_DEP_2)
	s_lshl_b64 s[8:9], s[8:9], 2
	v_lshlrev_b64 v[5:6], 2, v[5:6]
	s_add_u32 s8, s4, s8
	s_delay_alu instid0(VALU_DEP_2) | instskip(SKIP_1) | instid1(VALU_DEP_3)
	v_add_co_u32 v3, vcc_lo, s4, v3
	v_add_co_ci_u32_e32 v4, vcc_lo, s17, v4, vcc_lo
	v_add_co_u32 v5, vcc_lo, s4, v5
	s_delay_alu instid0(VALU_DEP_4)
	v_add_co_ci_u32_e32 v6, vcc_lo, s17, v6, vcc_lo
	s_addc_u32 s9, s17, s9
	s_clause 0x1
	global_load_b32 v7, v[3:4], off
	global_load_b32 v8, v[5:6], off
	s_or_b32 s12, s16, 32
	s_delay_alu instid0(SALU_CYCLE_1) | instskip(SKIP_2) | instid1(SALU_CYCLE_1)
	s_ashr_i32 s13, s12, 5
	s_cmp_lt_i32 s12, s18
	s_cselect_b32 s12, s13, s3
	s_ashr_i32 s13, s12, 31
	s_delay_alu instid0(SALU_CYCLE_1) | instskip(NEXT) | instid1(SALU_CYCLE_1)
	s_lshl_b64 s[12:13], s[12:13], 2
	s_add_u32 s12, s4, s12
	s_addc_u32 s13, s17, s13
	s_or_b32 s20, s16, 64
	s_delay_alu instid0(SALU_CYCLE_1) | instskip(SKIP_2) | instid1(SALU_CYCLE_1)
	s_ashr_i32 s21, s20, 5
	s_cmp_lt_i32 s20, s18
	s_cselect_b32 s20, s21, s3
	s_ashr_i32 s21, s20, 31
	s_delay_alu instid0(SALU_CYCLE_1) | instskip(NEXT) | instid1(SALU_CYCLE_1)
	s_lshl_b64 s[20:21], s[20:21], 2
	s_add_u32 s20, s4, s20
	s_addc_u32 s21, s17, s21
	;; [unrolled: 10-line block ×5, first 2 shown]
	s_clause 0x5
	s_load_b32 s29, s[8:9], 0x0
	s_load_b32 s33, s[12:13], 0x0
	;; [unrolled: 1-line block ×6, first 2 shown]
	s_mov_b32 s20, 0
	s_or_b32 s8, s16, 0xc0
	s_mov_b32 s21, s20
	s_mov_b32 s22, s20
	;; [unrolled: 1-line block ×7, first 2 shown]
	s_ashr_i32 s9, s8, 5
	v_mov_b32_e32 v117, s27
	s_cmp_lt_i32 s8, s18
	v_mov_b32_e32 v116, s26
	s_cselect_b32 s8, s9, s3
	v_mov_b32_e32 v115, s25
	s_ashr_i32 s9, s8, 31
	v_dual_mov_b32 v114, s24 :: v_dual_mov_b32 v113, s23
	v_dual_mov_b32 v112, s22 :: v_dual_mov_b32 v111, s21
	s_lshl_b64 s[8:9], s[8:9], 2
	s_waitcnt lgkmcnt(0)
	s_mul_hi_i32 s13, s29, s5
	s_add_u32 s8, s4, s8
	s_addc_u32 s9, s17, s9
	s_mul_i32 s12, s29, s5
	v_mov_b32_e32 v110, s20
	s_mul_hi_i32 s21, s33, s5
	s_mul_i32 s20, s33, s5
	s_mul_hi_i32 s25, s34, s5
	s_mul_i32 s24, s34, s5
	;; [unrolled: 2-line block ×4, first 2 shown]
	s_waitcnt vmcnt(1)
	v_mad_i64_i32 v[3:4], null, v7, s5, 0
	s_waitcnt vmcnt(0)
	v_mad_i64_i32 v[5:6], null, v8, s5, 0
	s_delay_alu instid0(VALU_DEP_2) | instskip(NEXT) | instid1(VALU_DEP_2)
	v_lshlrev_b64 v[3:4], 1, v[3:4]
	v_lshlrev_b64 v[1:2], 1, v[5:6]
	s_delay_alu instid0(VALU_DEP_2) | instskip(NEXT) | instid1(VALU_DEP_3)
	v_add_co_u32 v3, vcc_lo, s15, v3
	v_add_co_ci_u32_e32 v4, vcc_lo, s28, v4, vcc_lo
	s_delay_alu instid0(VALU_DEP_3) | instskip(NEXT) | instid1(VALU_DEP_4)
	v_add_co_u32 v1, vcc_lo, s15, v1
	v_add_co_ci_u32_e32 v2, vcc_lo, s28, v2, vcc_lo
	s_delay_alu instid0(VALU_DEP_4) | instskip(NEXT) | instid1(VALU_DEP_4)
	v_add_co_u32 v41, vcc_lo, v3, v81
	v_add_co_ci_u32_e32 v42, vcc_lo, v4, v82, vcc_lo
	s_delay_alu instid0(VALU_DEP_4) | instskip(NEXT) | instid1(VALU_DEP_4)
	v_add_co_u32 v43, vcc_lo, v1, v81
	v_add_co_ci_u32_e32 v44, vcc_lo, v2, v82, vcc_lo
	s_clause 0xf
	global_load_b128 v[1:4], v[41:42], off
	global_load_b128 v[5:8], v[41:42], off offset:512
	global_load_b128 v[9:12], v[43:44], off offset:256
	;; [unrolled: 1-line block ×15, first 2 shown]
	v_add_nc_u32_e32 v41, -12, v73
	v_cmp_gt_u32_e32 vcc_lo, 12, v73
	s_or_b32 s15, s16, 0xe0
	s_delay_alu instid0(SALU_CYCLE_1) | instskip(SKIP_3) | instid1(SALU_CYCLE_1)
	s_ashr_i32 s22, s15, 5
	s_cmp_lt_i32 s15, s18
	v_cndmask_b32_e32 v41, v41, v73, vcc_lo
	s_cselect_b32 s22, s22, s3
	s_ashr_i32 s23, s22, 31
	s_delay_alu instid0(VALU_DEP_1)
	v_lshlrev_b32_e32 v57, 6, v41
	ds_load_b128 v[41:44], v57
	ds_load_b128 v[45:48], v57 offset:1024
	ds_load_b128 v[49:52], v57 offset:2048
	;; [unrolled: 1-line block ×7, first 2 shown]
	s_lshl_b64 s[22:23], s[22:23], 2
	s_delay_alu instid0(SALU_CYCLE_1) | instskip(SKIP_2) | instid1(SALU_CYCLE_1)
	s_add_u32 s22, s4, s22
	s_addc_u32 s23, s17, s23
	s_add_i32 s15, s16, 0x100
	s_ashr_i32 s28, s15, 5
	s_cmp_lt_i32 s15, s18
	s_load_b32 s15, s[8:9], 0x0
	s_cselect_b32 s28, s28, s3
	s_mul_hi_i32 s9, s36, s5
	s_ashr_i32 s29, s28, 31
	s_mul_i32 s8, s36, s5
	s_lshl_b64 s[28:29], s[28:29], 2
	s_delay_alu instid0(SALU_CYCLE_1)
	s_add_u32 s28, s4, s28
	s_addc_u32 s29, s17, s29
	s_add_u32 s3, s10, s6
	s_clause 0x1
	s_load_b32 s4, s[22:23], 0x0
	s_load_b32 s17, s[28:29], 0x0
	s_addc_u32 s28, s11, s7
	s_lshl_b64 s[6:7], s[12:13], 1
	s_lshl_b64 s[10:11], s[20:21], 1
	;; [unrolled: 1-line block ×6, first 2 shown]
	s_waitcnt lgkmcnt(0)
	s_mul_hi_i32 s25, s15, s5
	s_mul_i32 s24, s15, s5
	s_waitcnt vmcnt(14)
	v_wmma_f32_16x16x16_bf16 v[134:141], v[1:8], v[41:48], v[110:117]
	s_waitcnt vmcnt(10)
	s_delay_alu instid0(VALU_DEP_1) | instskip(SKIP_1) | instid1(VALU_DEP_1)
	v_wmma_f32_16x16x16_bf16 v[134:141], v[17:24], v[49:56], v[134:141]
	s_waitcnt vmcnt(6)
	v_wmma_f32_16x16x16_bf16 v[134:141], v[33:40], v[118:125], v[134:141]
	s_waitcnt vmcnt(2)
	s_delay_alu instid0(VALU_DEP_1) | instskip(SKIP_1) | instid1(VALU_DEP_2)
	v_wmma_f32_16x16x16_bf16 v[134:141], v[94:101], v[126:133], v[134:141]
	v_lshlrev_b32_e32 v85, 6, v73
	v_mul_f32_e32 v100, s19, v141
	s_delay_alu instid0(VALU_DEP_2) | instskip(SKIP_2) | instid1(VALU_DEP_3)
	v_lshl_or_b32 v58, v74, 10, v85
	v_wmma_f32_16x16x16_bf16 v[110:117], v[9:16], v[41:48], v[110:117]
	v_mul_f32_e32 v99, s19, v135
	v_add_co_u32 v76, s3, s3, v58
	s_delay_alu instid0(VALU_DEP_1) | instskip(NEXT) | instid1(VALU_DEP_4)
	v_add_co_ci_u32_e64 v77, null, s28, 0, s3
	v_wmma_f32_16x16x16_bf16 v[110:117], v[25:32], v[49:56], v[110:117]
	s_delay_alu instid0(VALU_DEP_3) | instskip(NEXT) | instid1(VALU_DEP_3)
	v_add_co_u32 v57, vcc_lo, v76, s6
	v_add_co_ci_u32_e32 v58, vcc_lo, s7, v77, vcc_lo
	v_add_co_u32 v1, vcc_lo, v76, s10
	v_add_co_ci_u32_e32 v2, vcc_lo, s11, v77, vcc_lo
	;; [unrolled: 2-line block ×5, first 2 shown]
	s_clause 0x9
	global_load_b128 v[65:68], v[57:58], off
	global_load_b128 v[69:72], v[57:58], off offset:16
	global_load_b128 v[57:60], v[1:2], off
	global_load_b128 v[61:64], v[1:2], off offset:16
	;; [unrolled: 2-line block ×5, first 2 shown]
	v_add_co_u32 v5, vcc_lo, v76, s22
	s_lshl_b64 s[6:7], s[24:25], 1
	v_add_co_ci_u32_e32 v6, vcc_lo, s23, v77, vcc_lo
	s_mul_hi_i32 s9, s4, s5
	s_mul_i32 s8, s4, s5
	v_add_co_u32 v17, vcc_lo, v76, s6
	v_add_co_ci_u32_e32 v18, vcc_lo, s7, v77, vcc_lo
	s_lshl_b64 s[6:7], s[8:9], 1
	s_mul_hi_i32 s9, s17, s5
	s_mul_i32 s8, s17, s5
	v_add_co_u32 v19, vcc_lo, v76, s6
	s_lshl_b64 s[4:5], s[8:9], 1
	v_add_co_ci_u32_e32 v20, vcc_lo, s7, v77, vcc_lo
	v_add_co_u32 v21, vcc_lo, v76, s4
	v_add_co_ci_u32_e32 v22, vcc_lo, s5, v77, vcc_lo
	s_clause 0x7
	global_load_b128 v[1:4], v[5:6], off
	global_load_b128 v[5:8], v[5:6], off offset:16
	global_load_b128 v[33:36], v[17:18], off
	global_load_b128 v[37:40], v[17:18], off offset:16
	;; [unrolled: 2-line block ×4, first 2 shown]
	v_and_b32_e32 v76, 0xe0, v0
	v_mbcnt_lo_u32_b32 v77, -1, 0
	v_wmma_f32_16x16x16_bf16 v[110:117], v[86:93], v[118:125], v[110:117]
	s_waitcnt vmcnt(0)
	s_barrier
	v_add_nc_u32_e32 v76, s16, v76
	v_xor_b32_e32 v78, 16, v77
	v_wmma_f32_16x16x16_bf16 v[110:117], v[102:109], v[126:133], v[110:117]
	v_mul_f32_e32 v97, s19, v134
	buffer_gl0_inv
	v_or_b32_e32 v76, v76, v83
	v_cmp_gt_i32_e32 vcc_lo, 32, v78
	s_delay_alu instid0(VALU_DEP_2)
	v_or_b32_e32 v79, 4, v76
	v_cndmask_b32_e32 v77, v77, v78, vcc_lo
	v_or_b32_e32 v78, 2, v76
	v_or_b32_e32 v80, 6, v76
	v_cmp_gt_i32_e32 vcc_lo, s18, v76
	v_or_b32_e32 v86, 8, v76
	v_or_b32_e32 v87, 10, v76
	v_cmp_gt_i32_e64 s3, s18, v78
	v_or_b32_e32 v88, 12, v76
	v_or_b32_e32 v89, 14, v76
	;; [unrolled: 1-line block ×10, first 2 shown]
	v_cndmask_b32_e32 v76, 0xff7fffff, v97, vcc_lo
	v_cndmask_b32_e64 v78, 0xff7fffff, v99, s3
	v_mul_f32_e32 v99, s19, v137
	v_cmp_gt_i32_e64 s4, s18, v80
	v_mul_f32_e32 v80, s19, v136
	v_cmp_gt_i32_e64 s5, s18, v79
	v_max3_f32 v76, v76, 0xff7fffff, v78
	v_dual_mul_f32 v78, s19, v138 :: v_dual_mul_f32 v79, s19, v139
	v_cndmask_b32_e64 v99, 0xff7fffff, v99, s4
	s_delay_alu instid0(VALU_DEP_4)
	v_cndmask_b32_e64 v80, 0xff7fffff, v80, s5
	v_cmp_gt_i32_e64 s6, s18, v86
	v_cmp_gt_i32_e64 s7, s18, v87
	v_mul_f32_e32 v97, s19, v140
	v_cmp_gt_i32_e64 s8, s18, v89
	v_max3_f32 v76, v76, v80, v99
	v_cndmask_b32_e64 v78, 0xff7fffff, v78, s6
	v_cndmask_b32_e64 v79, 0xff7fffff, v79, s7
	v_cmp_gt_i32_e64 s9, s18, v88
	v_dual_mul_f32 v88, s19, v111 :: v_dual_mul_f32 v89, s19, v110
	v_cndmask_b32_e64 v100, 0xff7fffff, v100, s8
	s_delay_alu instid0(VALU_DEP_4) | instskip(NEXT) | instid1(VALU_DEP_4)
	v_max3_f32 v76, v76, v78, v79
	v_cndmask_b32_e64 v97, 0xff7fffff, v97, s9
	v_cmp_gt_i32_e64 s10, s18, v90
	v_cmp_gt_i32_e64 s11, s18, v91
	v_dual_mul_f32 v78, s19, v113 :: v_dual_mul_f32 v79, s19, v112
	s_delay_alu instid0(VALU_DEP_4) | instskip(NEXT) | instid1(VALU_DEP_4)
	v_max3_f32 v76, v76, v97, v100
	v_cndmask_b32_e64 v89, 0xff7fffff, v89, s10
	s_delay_alu instid0(VALU_DEP_4)
	v_cndmask_b32_e64 v88, 0xff7fffff, v88, s11
	v_cmp_gt_i32_e64 s12, s18, v92
	v_cmp_gt_i32_e64 s13, s18, v93
	v_mul_f32_e32 v87, s19, v115
	v_mul_f32_e32 v99, s19, v114
	v_max3_f32 v76, v76, v89, v88
	v_cndmask_b32_e64 v79, 0xff7fffff, v79, s12
	v_cndmask_b32_e64 v78, 0xff7fffff, v78, s13
	v_cmp_gt_i32_e64 s15, s18, v94
	v_cmp_gt_i32_e64 s16, s18, v95
	v_mul_f32_e32 v80, s19, v117
	v_mul_f32_e32 v86, s19, v116
	v_max3_f32 v76, v76, v79, v78
	v_cndmask_b32_e64 v88, 0xff7fffff, v99, s15
	v_cndmask_b32_e64 v87, 0xff7fffff, v87, s16
	v_cmp_gt_i32_e64 s17, s18, v96
	v_cmp_gt_i32_e64 s18, s18, v98
	v_lshlrev_b32_e32 v99, 2, v77
	s_delay_alu instid0(VALU_DEP_4) | instskip(NEXT) | instid1(VALU_DEP_4)
	v_max3_f32 v76, v76, v88, v87
	v_cndmask_b32_e64 v78, 0xff7fffff, v86, s17
	s_delay_alu instid0(VALU_DEP_4) | instskip(NEXT) | instid1(VALU_DEP_1)
	v_cndmask_b32_e64 v79, 0xff7fffff, v80, s18
	v_max3_f32 v76, v76, v78, v79
	ds_bpermute_b32 v77, v99, v76
	s_waitcnt lgkmcnt(0)
	v_max_f32_e32 v77, v77, v77
	s_delay_alu instid0(VALU_DEP_1) | instskip(NEXT) | instid1(VALU_DEP_1)
	v_max_f32_e32 v76, v76, v77
	v_fma_f32 v77, s19, v134, -v76
	v_fma_f32 v78, s19, v135, -v76
	v_fma_f32 v79, s19, v136, -v76
	v_fma_f32 v80, s19, v137, -v76
	v_fma_f32 v86, s19, v138, -v76
	s_delay_alu instid0(VALU_DEP_4) | instskip(SKIP_1) | instid1(VALU_DEP_4)
	v_dual_mul_f32 v77, 0x3fb8aa3b, v77 :: v_dual_mul_f32 v78, 0x3fb8aa3b, v78
	v_fma_f32 v88, s19, v114, -v76
	v_dual_mul_f32 v79, 0x3fb8aa3b, v79 :: v_dual_mul_f32 v80, 0x3fb8aa3b, v80
	s_delay_alu instid0(VALU_DEP_3) | instskip(NEXT) | instid1(VALU_DEP_3)
	v_exp_f32_e32 v77, v77
	v_exp_f32_e32 v78, v78
	s_delay_alu instid0(VALU_DEP_2) | instskip(NEXT) | instid1(VALU_DEP_2)
	v_mul_f32_e32 v88, 0x3fb8aa3b, v88
	v_exp_f32_e32 v79, v79
	v_mul_f32_e32 v86, 0x3fb8aa3b, v86
	v_exp_f32_e32 v80, v80
	v_fma_f32 v87, s19, v140, -v76
	v_fma_f32 v100, s19, v117, -v76
	;; [unrolled: 1-line block ×3, first 2 shown]
	v_exp_f32_e32 v86, v86
	v_cndmask_b32_e32 v92, 0, v77, vcc_lo
	v_fma_f32 v77, s19, v139, -v76
	v_cndmask_b32_e64 v91, 0, v78, s3
	v_cndmask_b32_e64 v93, 0, v79, s5
	v_fma_f32 v79, s19, v141, -v76
	s_delay_alu instid0(VALU_DEP_4) | instskip(SKIP_2) | instid1(TRANS32_DEP_1)
	v_dual_add_f32 v78, 0, v92 :: v_dual_mul_f32 v77, 0x3fb8aa3b, v77
	v_cndmask_b32_e64 v95, 0, v80, s4
	v_mul_f32_e32 v87, 0x3fb8aa3b, v87
	v_cndmask_b32_e64 v96, 0, v86, s6
	s_delay_alu instid0(VALU_DEP_4)
	v_add_f32_e32 v78, v78, v91
	v_exp_f32_e32 v77, v77
	v_fma_f32 v86, s19, v111, -v76
	v_fma_f32 v80, s19, v110, -v76
	v_exp_f32_e32 v87, v87
	v_add_f32_e32 v78, v78, v93
	v_mul_f32_e32 v100, 0x3fb8aa3b, v100
	v_mul_f32_e32 v86, 0x3fb8aa3b, v86
	;; [unrolled: 1-line block ×3, first 2 shown]
	v_exp_f32_e32 v88, v88
	v_add_f32_e32 v78, v78, v95
	v_cndmask_b32_e64 v97, 0, v77, s7
	v_exp_f32_e32 v86, v86
	v_exp_f32_e32 v80, v80
	v_cndmask_b32_e64 v94, 0, v87, s9
	v_add_f32_e32 v77, v78, v96
	v_fma_f32 v78, s19, v112, -v76
	v_fma_f32 v87, s19, v113, -v76
	v_exp_f32_e32 v100, v100
	s_mov_b32 s3, exec_lo
	s_delay_alu instid0(VALU_DEP_2) | instskip(NEXT) | instid1(VALU_DEP_2)
	v_dual_add_f32 v77, v77, v97 :: v_dual_mul_f32 v78, 0x3fb8aa3b, v78
	v_mul_f32_e32 v87, 0x3fb8aa3b, v87
	s_delay_alu instid0(VALU_DEP_2) | instskip(SKIP_2) | instid1(VALU_DEP_3)
	v_exp_f32_e32 v89, v78
	v_cndmask_b32_e64 v78, 0, v86, s11
	v_mul_f32_e32 v79, 0x3fb8aa3b, v79
	v_exp_f32_e32 v87, v87
	s_delay_alu instid0(VALU_DEP_1)
	v_exp_f32_e32 v79, v79
	s_waitcnt_depctr 0xfff
	v_cndmask_b32_e64 v98, 0, v79, s8
	v_add_f32_e32 v79, v77, v94
	v_cndmask_b32_e64 v77, 0, v80, s10
	v_fma_f32 v80, s19, v115, -v76
	s_delay_alu instid0(VALU_DEP_1) | instskip(NEXT) | instid1(VALU_DEP_1)
	v_dual_add_f32 v79, v79, v98 :: v_dual_mul_f32 v80, 0x3fb8aa3b, v80
	v_add_f32_e32 v86, v79, v77
	v_cndmask_b32_e64 v79, 0, v89, s12
	v_mul_f32_e32 v89, 0x3fb8aa3b, v90
	s_delay_alu instid0(VALU_DEP_4) | instskip(SKIP_2) | instid1(VALU_DEP_3)
	v_exp_f32_e32 v90, v80
	v_cndmask_b32_e64 v80, 0, v87, s13
	v_add_f32_e32 v86, v86, v78
	v_exp_f32_e32 v89, v89
	s_delay_alu instid0(VALU_DEP_1) | instskip(SKIP_1) | instid1(VALU_DEP_2)
	v_add_f32_e32 v87, v86, v79
	v_cndmask_b32_e64 v86, 0, v88, s15
	v_add_f32_e32 v88, v87, v80
	s_delay_alu instid0(TRANS32_DEP_2) | instskip(NEXT) | instid1(VALU_DEP_2)
	v_cndmask_b32_e64 v87, 0, v90, s16
	v_add_f32_e32 v90, v88, v86
	s_waitcnt_depctr 0xfff
	v_cndmask_b32_e64 v88, 0, v89, s17
	v_add_f32_e32 v89, v90, v87
	s_delay_alu instid0(VALU_DEP_1) | instskip(SKIP_1) | instid1(VALU_DEP_1)
	v_add_f32_e32 v90, v89, v88
	v_cndmask_b32_e64 v89, 0, v100, s18
	v_add_f32_e32 v90, v90, v89
	ds_bpermute_b32 v99, v99, v90
	v_cmpx_gt_u32_e32 16, v75
	s_cbranch_execz .LBB509_14
; %bb.13:
	v_mul_u32_u24_e32 v75, 0x44, v74
	s_waitcnt lgkmcnt(0)
	v_add_f32_e32 v90, v90, v99
	s_delay_alu instid0(VALU_DEP_2) | instskip(NEXT) | instid1(VALU_DEP_1)
	v_lshl_add_u32 v75, v73, 2, v75
	v_add_nc_u32_e32 v75, 0x4000, v75
	ds_store_2addr_b32 v75, v76, v90 offset1:136
.LBB509_14:
	s_or_b32 exec_lo, exec_lo, s3
	v_lshlrev_b32_e32 v75, 2, v73
	s_waitcnt lgkmcnt(0)
	s_barrier
	buffer_gl0_inv
	v_cmp_eq_u32_e64 s3, 1, v74
	v_add_nc_u32_e32 v90, 0x4000, v75
	ds_load_2addr_b32 v[99:100], v90 offset1:17
	ds_load_2addr_b32 v[101:102], v90 offset0:34 offset1:51
	ds_load_2addr_b32 v[103:104], v90 offset0:68 offset1:85
	;; [unrolled: 1-line block ×4, first 2 shown]
	s_waitcnt lgkmcnt(4)
	v_max3_f32 v75, v99, 0xff7fffff, v100
	s_waitcnt lgkmcnt(3)
	s_delay_alu instid0(VALU_DEP_1) | instskip(SKIP_1) | instid1(VALU_DEP_1)
	v_max3_f32 v75, v75, v101, v102
	s_waitcnt lgkmcnt(2)
	v_max3_f32 v75, v75, v103, v104
	s_waitcnt lgkmcnt(1)
	s_delay_alu instid0(VALU_DEP_1) | instskip(NEXT) | instid1(VALU_DEP_1)
	v_max3_f32 v75, v75, v105, v106
	v_sub_f32_e32 v109, v100, v75
	v_sub_f32_e32 v76, v99, v75
	ds_load_2addr_b32 v[99:100], v90 offset0:170 offset1:187
	v_sub_f32_e32 v101, v101, v75
	v_dual_mul_f32 v109, 0x3fb8aa3b, v109 :: v_dual_mul_f32 v76, 0x3fb8aa3b, v76
	s_delay_alu instid0(VALU_DEP_2) | instskip(NEXT) | instid1(VALU_DEP_2)
	v_mul_f32_e32 v111, 0x3fb8aa3b, v101
	v_exp_f32_e32 v109, v109
	s_delay_alu instid0(VALU_DEP_2)
	v_exp_f32_e32 v110, v76
	v_sub_f32_e32 v76, v102, v75
	ds_load_2addr_b32 v[101:102], v90 offset0:204 offset1:221
	v_exp_f32_e32 v111, v111
	v_mul_f32_e32 v112, 0x3fb8aa3b, v76
	s_waitcnt lgkmcnt(2)
	v_fma_f32 v76, v110, v107, 0
	v_sub_f32_e32 v103, v103, v75
	s_delay_alu instid0(VALU_DEP_3) | instskip(NEXT) | instid1(VALU_DEP_2)
	v_exp_f32_e32 v112, v112
	v_dual_sub_f32 v107, v104, v75 :: v_dual_fmac_f32 v76, v109, v108
	s_waitcnt lgkmcnt(1)
	s_waitcnt_depctr 0xfff
	v_fmac_f32_e32 v76, v111, v99
	v_mul_f32_e32 v113, 0x3fb8aa3b, v103
	ds_load_2addr_b32 v[103:104], v90 offset0:238 offset1:255
	v_sub_f32_e32 v90, v105, v75
	v_dual_sub_f32 v99, v106, v75 :: v_dual_fmac_f32 v76, v112, v100
	v_mul_f32_e32 v105, 0x3fb8aa3b, v107
	v_exp_f32_e32 v107, v113
	s_delay_alu instid0(VALU_DEP_2)
	v_dual_mul_f32 v90, 0x3fb8aa3b, v90 :: v_dual_mul_f32 v99, 0x3fb8aa3b, v99
	s_waitcnt lgkmcnt(0)
	s_barrier
	buffer_gl0_inv
	v_exp_f32_e32 v90, v90
	v_exp_f32_e32 v99, v99
	v_fmac_f32_e32 v76, v107, v101
	v_exp_f32_e32 v105, v105
	s_waitcnt_depctr 0xfff
	v_fmac_f32_e32 v76, v105, v102
	s_delay_alu instid0(VALU_DEP_1) | instskip(NEXT) | instid1(VALU_DEP_1)
	v_fmac_f32_e32 v76, v90, v103
	v_fmac_f32_e32 v76, v99, v104
	s_delay_alu instid0(VALU_DEP_1) | instskip(NEXT) | instid1(VALU_DEP_1)
	v_add_f32_e32 v100, 0x358637bd, v76
	v_div_scale_f32 v101, null, v100, v100, 1.0
	v_div_scale_f32 v104, vcc_lo, 1.0, v100, 1.0
	s_delay_alu instid0(VALU_DEP_2) | instskip(SKIP_2) | instid1(VALU_DEP_1)
	v_rcp_f32_e32 v102, v101
	s_waitcnt_depctr 0xfff
	v_fma_f32 v103, -v101, v102, 1.0
	v_fmac_f32_e32 v102, v103, v102
	v_cndmask_b32_e64 v103, v110, v109, s3
	v_cmp_eq_u32_e64 s3, 2, v74
	s_delay_alu instid0(VALU_DEP_3) | instskip(NEXT) | instid1(VALU_DEP_2)
	v_mul_f32_e32 v106, v104, v102
	v_cndmask_b32_e64 v103, v103, v111, s3
	v_cmp_eq_u32_e64 s3, 3, v74
	s_delay_alu instid0(VALU_DEP_3) | instskip(NEXT) | instid1(VALU_DEP_2)
	v_fma_f32 v108, -v101, v106, v104
	v_cndmask_b32_e64 v103, v103, v112, s3
	v_cmp_eq_u32_e64 s3, 4, v74
	s_delay_alu instid0(VALU_DEP_3) | instskip(NEXT) | instid1(VALU_DEP_2)
	v_fmac_f32_e32 v106, v108, v102
	v_cndmask_b32_e64 v103, v103, v107, s3
	s_delay_alu instid0(VALU_DEP_2) | instskip(SKIP_1) | instid1(VALU_DEP_2)
	v_fma_f32 v101, -v101, v106, v104
	v_cmp_eq_u32_e64 s3, 5, v74
	v_div_fmas_f32 v101, v101, v102, v106
	s_delay_alu instid0(VALU_DEP_2) | instskip(SKIP_2) | instid1(VALU_DEP_3)
	v_cndmask_b32_e64 v103, v103, v105, s3
	v_cmp_eq_u32_e32 vcc_lo, 6, v74
	s_mov_b32 s3, exec_lo
	v_div_fixup_f32 v100, v101, v100, 1.0
	s_delay_alu instid0(VALU_DEP_3) | instskip(SKIP_1) | instid1(VALU_DEP_2)
	v_cndmask_b32_e32 v90, v103, v90, vcc_lo
	v_cmp_eq_u32_e32 vcc_lo, 7, v74
	v_cndmask_b32_e32 v90, v90, v99, vcc_lo
	s_delay_alu instid0(VALU_DEP_1) | instskip(NEXT) | instid1(VALU_DEP_1)
	v_mul_f32_e32 v90, v90, v100
	v_mul_f32_e32 v100, v90, v92
	;; [unrolled: 1-line block ×6, first 2 shown]
	v_and_b32_e32 v101, 0x7f800000, v100
	v_mul_f32_e32 v99, v90, v95
	v_mul_f32_e32 v95, v90, v91
	;; [unrolled: 1-line block ×3, first 2 shown]
                                        ; implicit-def: $vgpr91
	s_delay_alu instid0(VALU_DEP_4)
	v_cmpx_ne_u32_e32 0x7f800000, v101
	s_xor_b32 s3, exec_lo, s3
; %bb.15:
	v_bfe_u32 v91, v100, 16, 1
	s_delay_alu instid0(VALU_DEP_1)
	v_add3_u32 v91, v100, v91, 0x7fff
                                        ; implicit-def: $vgpr100
; %bb.16:
	s_and_not1_saveexec_b32 s3, s3
; %bb.17:
	v_and_b32_e32 v91, 0xffff, v100
	v_or_b32_e32 v93, 0x10000, v100
	s_delay_alu instid0(VALU_DEP_2) | instskip(NEXT) | instid1(VALU_DEP_2)
	v_cmp_eq_u32_e32 vcc_lo, 0, v91
	v_cndmask_b32_e32 v91, v93, v100, vcc_lo
; %bb.18:
	s_or_b32 exec_lo, exec_lo, s3
	v_and_b32_e32 v93, 0x7f800000, v95
	s_delay_alu instid0(VALU_DEP_1) | instskip(SKIP_1) | instid1(SALU_CYCLE_1)
	v_cmp_ne_u32_e32 vcc_lo, 0x7f800000, v93
                                        ; implicit-def: $vgpr93
	s_and_saveexec_b32 s3, vcc_lo
	s_xor_b32 s3, exec_lo, s3
; %bb.19:
	v_bfe_u32 v93, v95, 16, 1
	s_delay_alu instid0(VALU_DEP_1)
	v_add3_u32 v93, v95, v93, 0x7fff
                                        ; implicit-def: $vgpr95
; %bb.20:
	s_and_not1_saveexec_b32 s3, s3
; %bb.21:
	v_and_b32_e32 v93, 0xffff, v95
	v_or_b32_e32 v100, 0x10000, v95
	s_delay_alu instid0(VALU_DEP_2) | instskip(NEXT) | instid1(VALU_DEP_2)
	v_cmp_eq_u32_e32 vcc_lo, 0, v93
	v_cndmask_b32_e32 v93, v100, v95, vcc_lo
; %bb.22:
	s_or_b32 exec_lo, exec_lo, s3
	v_and_b32_e32 v95, 0x7f800000, v96
	s_delay_alu instid0(VALU_DEP_1) | instskip(SKIP_1) | instid1(SALU_CYCLE_1)
	v_cmp_ne_u32_e32 vcc_lo, 0x7f800000, v95
                                        ; implicit-def: $vgpr95
	s_and_saveexec_b32 s3, vcc_lo
	s_xor_b32 s3, exec_lo, s3
; %bb.23:
	v_bfe_u32 v95, v96, 16, 1
	s_delay_alu instid0(VALU_DEP_1)
	v_add3_u32 v95, v96, v95, 0x7fff
                                        ; implicit-def: $vgpr96
; %bb.24:
	s_and_not1_saveexec_b32 s3, s3
; %bb.25:
	v_and_b32_e32 v95, 0xffff, v96
	v_or_b32_e32 v100, 0x10000, v96
	s_delay_alu instid0(VALU_DEP_2) | instskip(NEXT) | instid1(VALU_DEP_2)
	v_cmp_eq_u32_e32 vcc_lo, 0, v95
	v_cndmask_b32_e32 v95, v100, v96, vcc_lo
; %bb.26:
	s_or_b32 exec_lo, exec_lo, s3
	v_and_b32_e32 v96, 0x7f800000, v99
	s_delay_alu instid0(VALU_DEP_1) | instskip(SKIP_1) | instid1(SALU_CYCLE_1)
	v_cmp_ne_u32_e32 vcc_lo, 0x7f800000, v96
                                        ; implicit-def: $vgpr96
	s_and_saveexec_b32 s3, vcc_lo
	s_xor_b32 s3, exec_lo, s3
; %bb.27:
	v_bfe_u32 v96, v99, 16, 1
	s_delay_alu instid0(VALU_DEP_1)
	v_add3_u32 v96, v99, v96, 0x7fff
                                        ; implicit-def: $vgpr99
; %bb.28:
	s_and_not1_saveexec_b32 s3, s3
; %bb.29:
	v_and_b32_e32 v96, 0xffff, v99
	v_or_b32_e32 v100, 0x10000, v99
	s_delay_alu instid0(VALU_DEP_2) | instskip(NEXT) | instid1(VALU_DEP_2)
	v_cmp_eq_u32_e32 vcc_lo, 0, v96
	v_cndmask_b32_e32 v96, v100, v99, vcc_lo
; %bb.30:
	s_or_b32 exec_lo, exec_lo, s3
	v_and_b32_e32 v99, 0x7f800000, v98
	s_delay_alu instid0(VALU_DEP_1) | instskip(SKIP_1) | instid1(SALU_CYCLE_1)
	v_cmp_ne_u32_e32 vcc_lo, 0x7f800000, v99
                                        ; implicit-def: $vgpr99
	s_and_saveexec_b32 s3, vcc_lo
	s_xor_b32 s3, exec_lo, s3
; %bb.31:
	v_bfe_u32 v99, v98, 16, 1
	s_delay_alu instid0(VALU_DEP_1)
	v_add3_u32 v99, v98, v99, 0x7fff
                                        ; implicit-def: $vgpr98
; %bb.32:
	s_and_not1_saveexec_b32 s3, s3
; %bb.33:
	v_and_b32_e32 v99, 0xffff, v98
	v_or_b32_e32 v100, 0x10000, v98
	s_delay_alu instid0(VALU_DEP_2) | instskip(NEXT) | instid1(VALU_DEP_2)
	v_cmp_eq_u32_e32 vcc_lo, 0, v99
	v_cndmask_b32_e32 v99, v100, v98, vcc_lo
; %bb.34:
	s_or_b32 exec_lo, exec_lo, s3
	v_and_b32_e32 v98, 0x7f800000, v97
	s_delay_alu instid0(VALU_DEP_1) | instskip(SKIP_1) | instid1(SALU_CYCLE_1)
	v_cmp_ne_u32_e32 vcc_lo, 0x7f800000, v98
                                        ; implicit-def: $vgpr98
	s_and_saveexec_b32 s3, vcc_lo
	s_xor_b32 s3, exec_lo, s3
; %bb.35:
	v_bfe_u32 v98, v97, 16, 1
	s_delay_alu instid0(VALU_DEP_1)
	v_add3_u32 v98, v97, v98, 0x7fff
                                        ; implicit-def: $vgpr97
; %bb.36:
	s_and_not1_saveexec_b32 s3, s3
; %bb.37:
	v_and_b32_e32 v98, 0xffff, v97
	v_or_b32_e32 v100, 0x10000, v97
	s_delay_alu instid0(VALU_DEP_2) | instskip(NEXT) | instid1(VALU_DEP_2)
	v_cmp_eq_u32_e32 vcc_lo, 0, v98
	v_cndmask_b32_e32 v98, v100, v97, vcc_lo
; %bb.38:
	s_or_b32 exec_lo, exec_lo, s3
	v_and_b32_e32 v97, 0x7f800000, v94
	s_delay_alu instid0(VALU_DEP_1) | instskip(SKIP_1) | instid1(SALU_CYCLE_1)
	v_cmp_ne_u32_e32 vcc_lo, 0x7f800000, v97
                                        ; implicit-def: $vgpr97
	s_and_saveexec_b32 s3, vcc_lo
	s_xor_b32 s3, exec_lo, s3
; %bb.39:
	v_bfe_u32 v97, v94, 16, 1
	s_delay_alu instid0(VALU_DEP_1)
	v_add3_u32 v97, v94, v97, 0x7fff
                                        ; implicit-def: $vgpr94
; %bb.40:
	s_and_not1_saveexec_b32 s3, s3
; %bb.41:
	v_and_b32_e32 v97, 0xffff, v94
	v_or_b32_e32 v100, 0x10000, v94
	s_delay_alu instid0(VALU_DEP_2) | instskip(NEXT) | instid1(VALU_DEP_2)
	v_cmp_eq_u32_e32 vcc_lo, 0, v97
	v_cndmask_b32_e32 v97, v100, v94, vcc_lo
; %bb.42:
	s_or_b32 exec_lo, exec_lo, s3
	v_and_b32_e32 v94, 0x7f800000, v92
	s_delay_alu instid0(VALU_DEP_1) | instskip(SKIP_1) | instid1(SALU_CYCLE_1)
	v_cmp_ne_u32_e32 vcc_lo, 0x7f800000, v94
                                        ; implicit-def: $vgpr94
	s_and_saveexec_b32 s3, vcc_lo
	s_xor_b32 s3, exec_lo, s3
; %bb.43:
	v_bfe_u32 v94, v92, 16, 1
	s_delay_alu instid0(VALU_DEP_1)
	v_add3_u32 v94, v92, v94, 0x7fff
                                        ; implicit-def: $vgpr92
; %bb.44:
	s_and_not1_saveexec_b32 s3, s3
; %bb.45:
	v_and_b32_e32 v94, 0xffff, v92
	v_or_b32_e32 v100, 0x10000, v92
	s_delay_alu instid0(VALU_DEP_2) | instskip(NEXT) | instid1(VALU_DEP_2)
	v_cmp_eq_u32_e32 vcc_lo, 0, v94
	v_cndmask_b32_e32 v94, v100, v92, vcc_lo
; %bb.46:
	s_or_b32 exec_lo, exec_lo, s3
	s_load_b64 s[34:35], s[0:1], 0x94
	v_lshlrev_b32_e32 v92, 4, v83
	s_delay_alu instid0(VALU_DEP_2)
	v_perm_b32 v100, v94, v97, 0x7060302
	v_dual_mul_f32 v89, v90, v89 :: v_dual_lshlrev_b32 v94, 11, v74
	v_perm_b32 v97, v93, v91, 0x7060302
	v_mul_f32_e32 v93, v90, v77
	v_perm_b32 v99, v98, v99, 0x7060302
	v_perm_b32 v98, v96, v95, 0x7060302
	v_or3_b32 v77, v92, v94, v85
	v_mul_f32_e32 v88, v90, v88
	v_dual_mul_f32 v87, v90, v87 :: v_dual_and_b32 v94, 0x7f800000, v93
	v_mul_f32_e32 v86, v90, v86
	v_mul_f32_e32 v91, v90, v80
	v_mul_f32_e32 v92, v90, v79
	v_mul_f32_e32 v80, v90, v78
	s_mov_b32 s3, exec_lo
	ds_store_b128 v77, v[97:100]
                                        ; implicit-def: $vgpr78
	v_cmpx_ne_u32_e32 0x7f800000, v94
	s_xor_b32 s3, exec_lo, s3
; %bb.47:
	v_bfe_u32 v78, v93, 16, 1
	s_delay_alu instid0(VALU_DEP_1)
	v_add3_u32 v78, v93, v78, 0x7fff
                                        ; implicit-def: $vgpr93
; %bb.48:
	s_and_not1_saveexec_b32 s3, s3
; %bb.49:
	v_and_b32_e32 v78, 0xffff, v93
	v_or_b32_e32 v79, 0x10000, v93
	s_delay_alu instid0(VALU_DEP_2) | instskip(NEXT) | instid1(VALU_DEP_2)
	v_cmp_eq_u32_e32 vcc_lo, 0, v78
	v_cndmask_b32_e32 v78, v79, v93, vcc_lo
; %bb.50:
	s_or_b32 exec_lo, exec_lo, s3
	v_and_b32_e32 v79, 0x7f800000, v80
	s_delay_alu instid0(VALU_DEP_1) | instskip(SKIP_1) | instid1(SALU_CYCLE_1)
	v_cmp_ne_u32_e32 vcc_lo, 0x7f800000, v79
                                        ; implicit-def: $vgpr79
	s_and_saveexec_b32 s3, vcc_lo
	s_xor_b32 s3, exec_lo, s3
; %bb.51:
	v_bfe_u32 v79, v80, 16, 1
	s_delay_alu instid0(VALU_DEP_1)
	v_add3_u32 v79, v80, v79, 0x7fff
                                        ; implicit-def: $vgpr80
; %bb.52:
	s_and_not1_saveexec_b32 s3, s3
; %bb.53:
	v_and_b32_e32 v79, 0xffff, v80
	v_or_b32_e32 v90, 0x10000, v80
	s_delay_alu instid0(VALU_DEP_2) | instskip(NEXT) | instid1(VALU_DEP_2)
	v_cmp_eq_u32_e32 vcc_lo, 0, v79
	v_cndmask_b32_e32 v79, v90, v80, vcc_lo
; %bb.54:
	s_or_b32 exec_lo, exec_lo, s3
	v_and_b32_e32 v80, 0x7f800000, v92
	s_delay_alu instid0(VALU_DEP_1) | instskip(SKIP_1) | instid1(SALU_CYCLE_1)
	v_cmp_ne_u32_e32 vcc_lo, 0x7f800000, v80
                                        ; implicit-def: $vgpr80
	s_and_saveexec_b32 s3, vcc_lo
	s_xor_b32 s3, exec_lo, s3
; %bb.55:
	v_bfe_u32 v80, v92, 16, 1
	s_delay_alu instid0(VALU_DEP_1)
	v_add3_u32 v80, v92, v80, 0x7fff
                                        ; implicit-def: $vgpr92
; %bb.56:
	s_and_not1_saveexec_b32 s3, s3
; %bb.57:
	v_and_b32_e32 v80, 0xffff, v92
	v_or_b32_e32 v90, 0x10000, v92
	s_delay_alu instid0(VALU_DEP_2) | instskip(NEXT) | instid1(VALU_DEP_2)
	v_cmp_eq_u32_e32 vcc_lo, 0, v80
	v_cndmask_b32_e32 v80, v90, v92, vcc_lo
; %bb.58:
	s_or_b32 exec_lo, exec_lo, s3
	v_and_b32_e32 v90, 0x7f800000, v91
	s_delay_alu instid0(VALU_DEP_1) | instskip(SKIP_1) | instid1(SALU_CYCLE_1)
	v_cmp_ne_u32_e32 vcc_lo, 0x7f800000, v90
                                        ; implicit-def: $vgpr90
	s_and_saveexec_b32 s3, vcc_lo
	s_xor_b32 s3, exec_lo, s3
; %bb.59:
	v_bfe_u32 v90, v91, 16, 1
	s_delay_alu instid0(VALU_DEP_1)
	v_add3_u32 v90, v91, v90, 0x7fff
                                        ; implicit-def: $vgpr91
; %bb.60:
	s_and_not1_saveexec_b32 s3, s3
; %bb.61:
	v_and_b32_e32 v90, 0xffff, v91
	v_or_b32_e32 v92, 0x10000, v91
	s_delay_alu instid0(VALU_DEP_2) | instskip(NEXT) | instid1(VALU_DEP_2)
	v_cmp_eq_u32_e32 vcc_lo, 0, v90
	v_cndmask_b32_e32 v90, v92, v91, vcc_lo
; %bb.62:
	s_or_b32 exec_lo, exec_lo, s3
	v_and_b32_e32 v91, 0x7f800000, v86
	s_delay_alu instid0(VALU_DEP_1) | instskip(SKIP_1) | instid1(SALU_CYCLE_1)
	v_cmp_ne_u32_e32 vcc_lo, 0x7f800000, v91
                                        ; implicit-def: $vgpr91
	s_and_saveexec_b32 s3, vcc_lo
	s_xor_b32 s3, exec_lo, s3
; %bb.63:
	v_bfe_u32 v91, v86, 16, 1
	s_delay_alu instid0(VALU_DEP_1)
	v_add3_u32 v91, v86, v91, 0x7fff
                                        ; implicit-def: $vgpr86
; %bb.64:
	s_and_not1_saveexec_b32 s3, s3
; %bb.65:
	v_and_b32_e32 v91, 0xffff, v86
	v_or_b32_e32 v92, 0x10000, v86
	s_delay_alu instid0(VALU_DEP_2) | instskip(NEXT) | instid1(VALU_DEP_2)
	v_cmp_eq_u32_e32 vcc_lo, 0, v91
	v_cndmask_b32_e32 v91, v92, v86, vcc_lo
; %bb.66:
	s_or_b32 exec_lo, exec_lo, s3
	v_and_b32_e32 v86, 0x7f800000, v87
	s_delay_alu instid0(VALU_DEP_1) | instskip(SKIP_1) | instid1(SALU_CYCLE_1)
	v_cmp_ne_u32_e32 vcc_lo, 0x7f800000, v86
                                        ; implicit-def: $vgpr86
	s_and_saveexec_b32 s3, vcc_lo
	s_xor_b32 s3, exec_lo, s3
; %bb.67:
	v_bfe_u32 v86, v87, 16, 1
	s_delay_alu instid0(VALU_DEP_1)
	v_add3_u32 v86, v87, v86, 0x7fff
                                        ; implicit-def: $vgpr87
; %bb.68:
	s_and_not1_saveexec_b32 s3, s3
; %bb.69:
	v_and_b32_e32 v86, 0xffff, v87
	v_or_b32_e32 v92, 0x10000, v87
	s_delay_alu instid0(VALU_DEP_2) | instskip(NEXT) | instid1(VALU_DEP_2)
	v_cmp_eq_u32_e32 vcc_lo, 0, v86
	v_cndmask_b32_e32 v86, v92, v87, vcc_lo
; %bb.70:
	s_or_b32 exec_lo, exec_lo, s3
	v_and_b32_e32 v87, 0x7f800000, v88
	s_delay_alu instid0(VALU_DEP_1) | instskip(SKIP_1) | instid1(SALU_CYCLE_1)
	v_cmp_ne_u32_e32 vcc_lo, 0x7f800000, v87
                                        ; implicit-def: $vgpr87
	s_and_saveexec_b32 s3, vcc_lo
	s_xor_b32 s3, exec_lo, s3
; %bb.71:
	v_bfe_u32 v87, v88, 16, 1
	s_delay_alu instid0(VALU_DEP_1)
	v_add3_u32 v87, v88, v87, 0x7fff
                                        ; implicit-def: $vgpr88
; %bb.72:
	s_and_not1_saveexec_b32 s3, s3
; %bb.73:
	v_and_b32_e32 v87, 0xffff, v88
	v_or_b32_e32 v92, 0x10000, v88
	s_delay_alu instid0(VALU_DEP_2) | instskip(NEXT) | instid1(VALU_DEP_2)
	v_cmp_eq_u32_e32 vcc_lo, 0, v87
	v_cndmask_b32_e32 v87, v92, v88, vcc_lo
; %bb.74:
	s_or_b32 exec_lo, exec_lo, s3
	v_and_b32_e32 v88, 0x7f800000, v89
	s_delay_alu instid0(VALU_DEP_1) | instskip(SKIP_1) | instid1(SALU_CYCLE_1)
	v_cmp_ne_u32_e32 vcc_lo, 0x7f800000, v88
                                        ; implicit-def: $vgpr88
	s_and_saveexec_b32 s3, vcc_lo
	s_xor_b32 s3, exec_lo, s3
; %bb.75:
	v_bfe_u32 v88, v89, 16, 1
	s_delay_alu instid0(VALU_DEP_1)
	v_add3_u32 v88, v89, v88, 0x7fff
                                        ; implicit-def: $vgpr89
; %bb.76:
	s_and_not1_saveexec_b32 s3, s3
; %bb.77:
	v_and_b32_e32 v88, 0xffff, v89
	v_or_b32_e32 v92, 0x10000, v89
	s_delay_alu instid0(VALU_DEP_2) | instskip(NEXT) | instid1(VALU_DEP_2)
	v_cmp_eq_u32_e32 vcc_lo, 0, v88
	v_cndmask_b32_e32 v88, v92, v89, vcc_lo
; %bb.78:
	s_or_b32 exec_lo, exec_lo, s3
	s_delay_alu instid0(VALU_DEP_1)
	v_perm_b32 v89, v88, v87, 0x7060302
	v_perm_b32 v88, v86, v91, 0x7060302
	;; [unrolled: 1-line block ×4, first 2 shown]
	v_lshl_or_b32 v90, v74, 11, v85
	ds_store_b128 v77, v[86:89] offset:1024
	s_waitcnt lgkmcnt(0)
	s_barrier
	buffer_gl0_inv
	ds_load_b128 v[91:94], v90
	ds_load_b128 v[95:98], v90 offset:16
	v_lshlrev_b32_e32 v87, 2, v83
	s_delay_alu instid0(VALU_DEP_1)
	v_or_b32_e32 v88, 1, v87
	v_cmp_eq_u32_e32 vcc_lo, 1, v87
	v_cmp_eq_u32_e64 s4, 2, v87
	v_cmp_eq_u32_e64 s7, 3, v87
	;; [unrolled: 1-line block ×6, first 2 shown]
	v_or_b32_e32 v86, 2, v87
	v_cmp_eq_u32_e64 s10, 5, v87
	v_cmp_eq_u32_e64 s11, 4, v88
	;; [unrolled: 1-line block ×4, first 2 shown]
	s_waitcnt lgkmcnt(1)
	v_lshrrev_b32_e32 v74, 16, v91
	s_waitcnt lgkmcnt(0)
	v_lshrrev_b32_e32 v103, 16, v95
	v_lshrrev_b32_e32 v80, 16, v94
	;; [unrolled: 1-line block ×4, first 2 shown]
	v_cndmask_b32_e32 v89, v91, v74, vcc_lo
	v_cndmask_b32_e32 v99, v95, v103, vcc_lo
	v_cndmask_b32_e64 v100, v91, v74, s3
	v_lshrrev_b32_e32 v79, 16, v93
	v_lshrrev_b32_e32 v108, 16, v97
	v_cndmask_b32_e64 v89, v89, v92, s4
	v_cndmask_b32_e64 v99, v99, v96, s4
	v_cndmask_b32_e64 v100, v100, v92, s6
	v_cndmask_b32_e64 v101, v95, v103, s3
	v_cmp_eq_u32_e64 s5, 1, v86
	v_cndmask_b32_e64 v89, v89, v78, s7
	v_cndmask_b32_e64 v99, v99, v107, s7
	;; [unrolled: 1-line block ×4, first 2 shown]
	v_lshrrev_b32_e32 v109, 16, v98
	v_cndmask_b32_e64 v89, v89, v93, s9
	v_cndmask_b32_e64 v99, v99, v97, s9
	;; [unrolled: 1-line block ×8, first 2 shown]
	v_cmp_eq_u32_e64 s15, 7, v87
	v_cmp_eq_u32_e64 s16, 6, v88
	v_cndmask_b32_e64 v89, v89, v94, s12
	v_cndmask_b32_e64 v99, v99, v98, s12
	v_cmp_eq_u32_e64 s17, 2, v86
	v_cndmask_b32_e64 v101, v101, v97, s11
	v_cndmask_b32_e64 v100, v100, v94, s16
	;; [unrolled: 1-line block ×6, first 2 shown]
	v_cmp_eq_u32_e64 s18, 7, v88
	v_cmp_eq_u32_e64 s19, 3, v86
	;; [unrolled: 1-line block ×4, first 2 shown]
	v_cndmask_b32_e64 v99, v99, v96, s17
	v_cndmask_b32_e64 v112, v100, v80, s18
	;; [unrolled: 1-line block ×4, first 2 shown]
	v_or_b32_e32 v89, 3, v87
	v_cndmask_b32_e64 v105, v99, v107, s19
	v_cmp_eq_u32_e64 s24, 6, v86
	v_cndmask_b32_e64 v113, v100, v98, s16
	v_cndmask_b32_e64 v104, v101, v93, s20
	ds_load_b128 v[99:102], v90 offset:1024
	v_cmp_eq_u32_e64 s21, 1, v89
	v_cmp_eq_u32_e64 s23, 2, v89
	;; [unrolled: 1-line block ×3, first 2 shown]
	v_cndmask_b32_e64 v114, v104, v79, s22
	v_cmp_eq_u32_e64 s26, 4, v89
	v_cndmask_b32_e64 v74, v91, v74, s21
	v_cndmask_b32_e64 v91, v105, v97, s20
	;; [unrolled: 1-line block ×3, first 2 shown]
	ds_load_b128 v[103:106], v90 offset:1040
	v_cmp_eq_u32_e64 s28, 5, v89
	v_cndmask_b32_e64 v74, v74, v92, s23
	v_cndmask_b32_e64 v91, v91, v108, s22
	;; [unrolled: 1-line block ×3, first 2 shown]
	v_cmp_eq_u32_e64 s29, 6, v89
	v_cndmask_b32_e64 v95, v113, v109, s18
	v_cndmask_b32_e64 v74, v74, v78, s25
	;; [unrolled: 1-line block ×5, first 2 shown]
	s_waitcnt lgkmcnt(1)
	v_lshrrev_b32_e32 v96, 16, v99
	v_cndmask_b32_e64 v74, v74, v93, s26
	v_lshrrev_b32_e32 v107, 16, v100
	v_cndmask_b32_e64 v92, v92, v97, s26
	v_cmp_eq_u32_e64 s27, 7, v86
	v_cndmask_b32_e32 v93, v99, v96, vcc_lo
	v_cndmask_b32_e64 v74, v74, v79, s28
	s_delay_alu instid0(VALU_DEP_4)
	v_cndmask_b32_e64 v79, v92, v108, s28
	s_waitcnt lgkmcnt(0)
	v_lshrrev_b32_e32 v97, 16, v103
	v_cndmask_b32_e64 v92, v93, v100, s4
	v_cndmask_b32_e64 v93, v99, v96, s3
	;; [unrolled: 1-line block ×4, first 2 shown]
	v_cndmask_b32_e32 v108, v103, v97, vcc_lo
	v_cndmask_b32_e64 v92, v92, v107, s7
	v_cndmask_b32_e64 v93, v93, v100, s6
	v_lshrrev_b32_e32 v98, 16, v104
	v_cmp_eq_u32_e32 vcc_lo, 7, v89
	v_cndmask_b32_e64 v94, v108, v104, s4
	v_cndmask_b32_e64 v92, v92, v101, s9
	v_lshrrev_b32_e32 v108, 16, v101
	v_cndmask_b32_e64 v93, v93, v107, s8
	v_cndmask_b32_e32 v74, v74, v80, vcc_lo
	v_cndmask_b32_e64 v94, v94, v98, s7
	v_cndmask_b32_e32 v79, v79, v109, vcc_lo
	v_cndmask_b32_e64 v92, v92, v108, s10
	v_cndmask_b32_e64 v78, v78, v80, s27
	;; [unrolled: 1-line block ×4, first 2 shown]
	v_perm_b32 v94, v79, v74, 0x5040100
	v_cndmask_b32_e64 v79, v92, v102, s12
	v_perm_b32 v92, v95, v112, 0x5040100
	v_cndmask_b32_e64 v95, v99, v96, s5
	v_cndmask_b32_e64 v96, v99, v96, s21
	;; [unrolled: 1-line block ×16, first 2 shown]
	v_lshrrev_b32_e32 v109, 16, v105
	v_cndmask_b32_e64 v95, v95, v101, s20
	v_cndmask_b32_e64 v96, v96, v101, s26
	;; [unrolled: 1-line block ×6, first 2 shown]
	v_lshrrev_b32_e32 v80, 16, v102
	v_cndmask_b32_e64 v113, v93, v109, s10
	v_cndmask_b32_e64 v95, v95, v108, s22
	;; [unrolled: 1-line block ×6, first 2 shown]
	v_perm_b32 v93, v91, v78, 0x5040100
	v_cndmask_b32_e64 v74, v74, v102, s16
	v_cndmask_b32_e64 v78, v79, v80, s15
	v_cndmask_b32_e64 v79, v113, v106, s12
	v_lshrrev_b32_e32 v91, 16, v106
	v_cndmask_b32_e64 v95, v95, v102, s24
	v_cndmask_b32_e64 v96, v96, v102, s29
	;; [unrolled: 1-line block ×7, first 2 shown]
	v_cndmask_b32_e32 v80, v96, v80, vcc_lo
	v_cndmask_b32_e32 v96, v98, v91, vcc_lo
	v_cndmask_b32_e64 v99, v99, v91, s27
	v_cndmask_b32_e64 v100, v97, v91, s18
	;; [unrolled: 1-line block ×3, first 2 shown]
	v_perm_b32 v91, v111, v110, 0x5040100
	v_perm_b32 v98, v96, v80, 0x5040100
	;; [unrolled: 1-line block ×5, first 2 shown]
	s_mul_i32 s8, s35, 12
	s_mov_b32 s3, exec_lo
	ds_store_b128 v77, v[91:94]
	ds_store_b128 v77, v[95:98] offset:1024
	v_cmpx_gt_u32_e32 12, v0
	s_cbranch_execz .LBB509_80
; %bb.79:
	s_mul_i32 s4, s8, s30
	s_delay_alu instid0(SALU_CYCLE_1) | instskip(SKIP_1) | instid1(VALU_DEP_1)
	v_add3_u32 v77, s4, s31, v73
	s_load_b128 s[4:7], s[0:1], 0x58
	v_mad_u64_u32 v[73:74], null, v77, s34, s[14:15]
	s_delay_alu instid0(VALU_DEP_1) | instskip(NEXT) | instid1(VALU_DEP_1)
	v_ashrrev_i32_e32 v74, 31, v73
	v_lshlrev_b64 v[73:74], 2, v[73:74]
	s_waitcnt lgkmcnt(0)
	s_delay_alu instid0(VALU_DEP_1) | instskip(NEXT) | instid1(VALU_DEP_2)
	v_add_co_u32 v77, vcc_lo, s6, v73
	v_add_co_ci_u32_e32 v78, vcc_lo, s7, v74, vcc_lo
	v_add_co_u32 v73, vcc_lo, s4, v73
	v_add_co_ci_u32_e32 v74, vcc_lo, s5, v74, vcc_lo
	global_store_b32 v[77:78], v75, off
	global_store_b32 v[73:74], v76, off
.LBB509_80:
	s_or_b32 exec_lo, exec_lo, s3
	s_waitcnt lgkmcnt(0)
	s_waitcnt_vscnt null, 0x0
	s_barrier
	buffer_gl0_inv
	ds_load_b128 v[91:94], v85
	ds_load_b128 v[95:98], v85 offset:16
	ds_load_b128 v[103:106], v85 offset:1040
	;; [unrolled: 1-line block ×3, first 2 shown]
	v_mov_b32_e32 v73, 0
	ds_load_b128 v[111:114], v85 offset:2064
	ds_load_b128 v[107:110], v85 offset:2048
	;; [unrolled: 1-line block ×6, first 2 shown]
	v_mov_b32_e32 v74, v73
	v_mov_b32_e32 v75, v73
	;; [unrolled: 1-line block ×7, first 2 shown]
	s_waitcnt lgkmcnt(8)
	s_delay_alu instid0(VALU_DEP_1)
	v_wmma_f32_16x16x16_bf16 v[73:80], v[65:72], v[91:98], v[73:80]
	ds_load_b128 v[69:72], v85 offset:5136
	ds_load_b128 v[65:68], v85 offset:5120
	;; [unrolled: 1-line block ×4, first 2 shown]
	s_waitcnt lgkmcnt(10)
	v_wmma_f32_16x16x16_bf16 v[73:80], v[57:64], v[99:106], v[73:80]
	s_waitcnt lgkmcnt(8)
	s_delay_alu instid0(VALU_DEP_1)
	v_wmma_f32_16x16x16_bf16 v[73:80], v[57:64], v[107:114], v[73:80]
	ds_load_b128 v[61:64], v85 offset:7184
	ds_load_b128 v[57:60], v85 offset:7168
	ds_load_b128 v[103:106], v85 offset:8208
	ds_load_b128 v[99:102], v85 offset:8192
	s_waitcnt lgkmcnt(10)
	v_wmma_f32_16x16x16_bf16 v[73:80], v[49:56], v[115:122], v[73:80]
	s_waitcnt lgkmcnt(8)
	s_delay_alu instid0(VALU_DEP_1)
	v_wmma_f32_16x16x16_bf16 v[73:80], v[49:56], v[123:130], v[73:80]
	ds_load_b128 v[53:56], v85 offset:9232
	ds_load_b128 v[49:52], v85 offset:9216
	s_waitcnt lgkmcnt(8)
	v_wmma_f32_16x16x16_bf16 v[73:80], v[41:48], v[65:72], v[73:80]
	ds_load_b128 v[69:72], v85 offset:10256
	ds_load_b128 v[65:68], v85 offset:10240
	s_waitcnt lgkmcnt(8)
	;; [unrolled: 4-line block ×3, first 2 shown]
	v_wmma_f32_16x16x16_bf16 v[73:80], v[9:16], v[57:64], v[73:80]
	s_waitcnt lgkmcnt(6)
	s_delay_alu instid0(VALU_DEP_1)
	v_wmma_f32_16x16x16_bf16 v[73:80], v[9:16], v[99:106], v[73:80]
	ds_load_b128 v[13:16], v85 offset:12304
	ds_load_b128 v[9:12], v85 offset:12288
	s_waitcnt lgkmcnt(6)
	v_wmma_f32_16x16x16_bf16 v[73:80], v[1:8], v[49:56], v[73:80]
	ds_load_b128 v[53:56], v85 offset:13328
	ds_load_b128 v[49:52], v85 offset:13312
	s_waitcnt lgkmcnt(6)
	;; [unrolled: 4-line block ×4, first 2 shown]
	v_wmma_f32_16x16x16_bf16 v[73:80], v[33:40], v[9:16], v[73:80]
	s_waitcnt lgkmcnt(4)
	s_delay_alu instid0(VALU_DEP_1) | instskip(SKIP_1) | instid1(VALU_DEP_1)
	v_wmma_f32_16x16x16_bf16 v[73:80], v[25:32], v[49:56], v[73:80]
	s_waitcnt lgkmcnt(2)
	v_wmma_f32_16x16x16_bf16 v[73:80], v[25:32], v[1:8], v[73:80]
	s_waitcnt lgkmcnt(0)
	s_delay_alu instid0(VALU_DEP_1) | instskip(NEXT) | instid1(VALU_DEP_1)
	v_wmma_f32_16x16x16_bf16 v[73:80], v[17:24], v[41:48], v[73:80]
	v_and_b32_e32 v1, 0x7f800000, v73
	s_delay_alu instid0(VALU_DEP_1) | instskip(SKIP_1) | instid1(SALU_CYCLE_1)
	v_cmp_ne_u32_e32 vcc_lo, 0x7f800000, v1
                                        ; implicit-def: $vgpr1
	s_and_saveexec_b32 s3, vcc_lo
	s_xor_b32 s3, exec_lo, s3
; %bb.81:
	v_bfe_u32 v1, v73, 16, 1
	s_delay_alu instid0(VALU_DEP_1)
	v_add3_u32 v1, v73, v1, 0x7fff
; %bb.82:
	s_and_not1_saveexec_b32 s3, s3
; %bb.83:
	v_and_b32_e32 v1, 0xffff, v73
	v_or_b32_e32 v2, 0x10000, v73
	s_delay_alu instid0(VALU_DEP_2) | instskip(NEXT) | instid1(VALU_DEP_2)
	v_cmp_eq_u32_e32 vcc_lo, 0, v1
	v_cndmask_b32_e32 v1, v2, v73, vcc_lo
; %bb.84:
	s_or_b32 exec_lo, exec_lo, s3
	v_and_b32_e32 v2, 0x7f800000, v74
	s_delay_alu instid0(VALU_DEP_1) | instskip(SKIP_1) | instid1(SALU_CYCLE_1)
	v_cmp_ne_u32_e32 vcc_lo, 0x7f800000, v2
                                        ; implicit-def: $vgpr2
	s_and_saveexec_b32 s3, vcc_lo
	s_xor_b32 s3, exec_lo, s3
; %bb.85:
	v_bfe_u32 v2, v74, 16, 1
	s_delay_alu instid0(VALU_DEP_1)
	v_add3_u32 v2, v74, v2, 0x7fff
; %bb.86:
	s_and_not1_saveexec_b32 s3, s3
; %bb.87:
	v_and_b32_e32 v2, 0xffff, v74
	v_or_b32_e32 v3, 0x10000, v74
	s_delay_alu instid0(VALU_DEP_2) | instskip(NEXT) | instid1(VALU_DEP_2)
	v_cmp_eq_u32_e32 vcc_lo, 0, v2
	v_cndmask_b32_e32 v2, v3, v74, vcc_lo
; %bb.88:
	s_or_b32 exec_lo, exec_lo, s3
	v_and_b32_e32 v3, 0x7f800000, v75
	s_delay_alu instid0(VALU_DEP_1) | instskip(SKIP_1) | instid1(SALU_CYCLE_1)
	v_cmp_ne_u32_e32 vcc_lo, 0x7f800000, v3
                                        ; implicit-def: $vgpr3
	s_and_saveexec_b32 s3, vcc_lo
	s_xor_b32 s3, exec_lo, s3
; %bb.89:
	v_bfe_u32 v3, v75, 16, 1
	s_delay_alu instid0(VALU_DEP_1)
	v_add3_u32 v3, v75, v3, 0x7fff
; %bb.90:
	s_and_not1_saveexec_b32 s3, s3
; %bb.91:
	v_and_b32_e32 v3, 0xffff, v75
	v_or_b32_e32 v4, 0x10000, v75
	s_delay_alu instid0(VALU_DEP_2) | instskip(NEXT) | instid1(VALU_DEP_2)
	v_cmp_eq_u32_e32 vcc_lo, 0, v3
	v_cndmask_b32_e32 v3, v4, v75, vcc_lo
; %bb.92:
	s_or_b32 exec_lo, exec_lo, s3
	v_and_b32_e32 v4, 0x7f800000, v76
	s_delay_alu instid0(VALU_DEP_1) | instskip(SKIP_1) | instid1(SALU_CYCLE_1)
	v_cmp_ne_u32_e32 vcc_lo, 0x7f800000, v4
                                        ; implicit-def: $vgpr4
	s_and_saveexec_b32 s3, vcc_lo
	s_xor_b32 s3, exec_lo, s3
; %bb.93:
	v_bfe_u32 v4, v76, 16, 1
	s_delay_alu instid0(VALU_DEP_1)
	v_add3_u32 v4, v76, v4, 0x7fff
; %bb.94:
	s_and_not1_saveexec_b32 s3, s3
; %bb.95:
	v_and_b32_e32 v4, 0xffff, v76
	v_or_b32_e32 v5, 0x10000, v76
	s_delay_alu instid0(VALU_DEP_2) | instskip(NEXT) | instid1(VALU_DEP_2)
	v_cmp_eq_u32_e32 vcc_lo, 0, v4
	v_cndmask_b32_e32 v4, v5, v76, vcc_lo
; %bb.96:
	s_or_b32 exec_lo, exec_lo, s3
	v_and_b32_e32 v5, 0x7f800000, v77
	s_delay_alu instid0(VALU_DEP_1) | instskip(SKIP_1) | instid1(SALU_CYCLE_1)
	v_cmp_ne_u32_e32 vcc_lo, 0x7f800000, v5
                                        ; implicit-def: $vgpr5
	s_and_saveexec_b32 s3, vcc_lo
	s_xor_b32 s3, exec_lo, s3
; %bb.97:
	v_bfe_u32 v5, v77, 16, 1
	s_delay_alu instid0(VALU_DEP_1)
	v_add3_u32 v5, v77, v5, 0x7fff
; %bb.98:
	s_and_not1_saveexec_b32 s3, s3
; %bb.99:
	v_and_b32_e32 v5, 0xffff, v77
	v_or_b32_e32 v6, 0x10000, v77
	s_delay_alu instid0(VALU_DEP_2) | instskip(NEXT) | instid1(VALU_DEP_2)
	v_cmp_eq_u32_e32 vcc_lo, 0, v5
	v_cndmask_b32_e32 v5, v6, v77, vcc_lo
; %bb.100:
	s_or_b32 exec_lo, exec_lo, s3
	v_and_b32_e32 v6, 0x7f800000, v78
	s_delay_alu instid0(VALU_DEP_1) | instskip(SKIP_1) | instid1(SALU_CYCLE_1)
	v_cmp_ne_u32_e32 vcc_lo, 0x7f800000, v6
                                        ; implicit-def: $vgpr6
	s_and_saveexec_b32 s3, vcc_lo
	s_xor_b32 s3, exec_lo, s3
; %bb.101:
	v_bfe_u32 v6, v78, 16, 1
	s_delay_alu instid0(VALU_DEP_1)
	v_add3_u32 v6, v78, v6, 0x7fff
; %bb.102:
	s_and_not1_saveexec_b32 s3, s3
; %bb.103:
	v_and_b32_e32 v6, 0xffff, v78
	v_or_b32_e32 v7, 0x10000, v78
	s_delay_alu instid0(VALU_DEP_2) | instskip(NEXT) | instid1(VALU_DEP_2)
	v_cmp_eq_u32_e32 vcc_lo, 0, v6
	v_cndmask_b32_e32 v6, v7, v78, vcc_lo
; %bb.104:
	s_or_b32 exec_lo, exec_lo, s3
	v_and_b32_e32 v7, 0x7f800000, v79
	s_delay_alu instid0(VALU_DEP_1) | instskip(SKIP_1) | instid1(SALU_CYCLE_1)
	v_cmp_ne_u32_e32 vcc_lo, 0x7f800000, v7
                                        ; implicit-def: $vgpr7
	s_and_saveexec_b32 s3, vcc_lo
	s_xor_b32 s3, exec_lo, s3
; %bb.105:
	v_bfe_u32 v7, v79, 16, 1
	s_delay_alu instid0(VALU_DEP_1)
	v_add3_u32 v7, v79, v7, 0x7fff
; %bb.106:
	s_and_not1_saveexec_b32 s3, s3
; %bb.107:
	v_and_b32_e32 v7, 0xffff, v79
	v_or_b32_e32 v8, 0x10000, v79
	s_delay_alu instid0(VALU_DEP_2) | instskip(NEXT) | instid1(VALU_DEP_2)
	v_cmp_eq_u32_e32 vcc_lo, 0, v7
	v_cndmask_b32_e32 v7, v8, v79, vcc_lo
; %bb.108:
	s_or_b32 exec_lo, exec_lo, s3
	v_and_b32_e32 v8, 0x7f800000, v80
	s_delay_alu instid0(VALU_DEP_1) | instskip(SKIP_1) | instid1(SALU_CYCLE_1)
	v_cmp_ne_u32_e32 vcc_lo, 0x7f800000, v8
                                        ; implicit-def: $vgpr8
	s_and_saveexec_b32 s3, vcc_lo
	s_xor_b32 s3, exec_lo, s3
; %bb.109:
	v_bfe_u32 v8, v80, 16, 1
	s_delay_alu instid0(VALU_DEP_1)
	v_add3_u32 v8, v80, v8, 0x7fff
                                        ; implicit-def: $vgpr73_vgpr74_vgpr75_vgpr76_vgpr77_vgpr78_vgpr79_vgpr80
; %bb.110:
	s_and_not1_saveexec_b32 s3, s3
; %bb.111:
	v_and_b32_e32 v8, 0xffff, v80
	v_or_b32_e32 v9, 0x10000, v80
	s_delay_alu instid0(VALU_DEP_2) | instskip(NEXT) | instid1(VALU_DEP_2)
	v_cmp_eq_u32_e32 vcc_lo, 0, v8
	v_cndmask_b32_e32 v8, v9, v80, vcc_lo
; %bb.112:
	s_or_b32 exec_lo, exec_lo, s3
	s_delay_alu instid0(VALU_DEP_1)
	v_perm_b32 v7, v8, v7, 0x7060302
	v_perm_b32 v6, v6, v5, 0x7060302
	;; [unrolled: 1-line block ×4, first 2 shown]
	v_lshl_or_b32 v9, v83, 4, v90
	s_barrier
	buffer_gl0_inv
	v_cmp_eq_u32_e32 vcc_lo, 1, v87
	ds_store_b128 v9, v[4:7]
	s_waitcnt lgkmcnt(0)
	s_barrier
	buffer_gl0_inv
	ds_load_b128 v[1:4], v90
	ds_load_b128 v[5:8], v90 offset:16
	v_cmp_eq_u32_e64 s4, 2, v87
	v_cmp_eq_u32_e64 s3, 1, v88
	;; [unrolled: 1-line block ×5, first 2 shown]
	s_waitcnt lgkmcnt(1)
	v_lshrrev_b32_e32 v10, 16, v1
	s_waitcnt lgkmcnt(0)
	v_lshrrev_b32_e32 v14, 16, v5
	v_lshrrev_b32_e32 v15, 16, v6
	;; [unrolled: 1-line block ×4, first 2 shown]
	v_cndmask_b32_e64 v20, v1, v10, s3
	v_cndmask_b32_e32 v19, v5, v14, vcc_lo
	v_cndmask_b32_e64 v21, v5, v14, s3
	v_lshrrev_b32_e32 v16, 16, v7
	v_cmp_eq_u32_e64 s3, 1, v86
	v_lshrrev_b32_e32 v13, 16, v4
	v_cndmask_b32_e64 v19, v19, v6, s4
	v_lshrrev_b32_e32 v17, 16, v8
	s_delay_alu instid0(VALU_DEP_4) | instskip(SKIP_1) | instid1(VALU_DEP_4)
	v_cndmask_b32_e64 v22, v1, v10, s3
	v_cndmask_b32_e64 v23, v5, v14, s3
	;; [unrolled: 1-line block ×3, first 2 shown]
	v_cndmask_b32_e32 v18, v1, v10, vcc_lo
	v_cmp_eq_u32_e32 vcc_lo, 2, v88
	v_cmp_eq_u32_e64 s3, 2, v89
	v_cndmask_b32_e64 v22, v22, v2, s7
	v_cndmask_b32_e32 v20, v20, v2, vcc_lo
	v_cndmask_b32_e32 v21, v21, v6, vcc_lo
	v_cmp_eq_u32_e32 vcc_lo, 4, v87
	v_cndmask_b32_e32 v19, v19, v7, vcc_lo
	v_cndmask_b32_e64 v18, v18, v2, s4
	v_cmp_eq_u32_e64 s4, 3, v88
	s_delay_alu instid0(VALU_DEP_2) | instskip(NEXT) | instid1(VALU_DEP_2)
	v_cndmask_b32_e64 v18, v18, v11, s5
	v_cndmask_b32_e64 v21, v21, v15, s4
	v_cmp_eq_u32_e64 s5, 5, v87
	s_delay_alu instid0(VALU_DEP_3) | instskip(SKIP_1) | instid1(VALU_DEP_3)
	v_cndmask_b32_e32 v18, v18, v3, vcc_lo
	v_cmp_eq_u32_e32 vcc_lo, 4, v88
	v_cndmask_b32_e64 v19, v19, v16, s5
	s_delay_alu instid0(VALU_DEP_3) | instskip(SKIP_4) | instid1(VALU_DEP_3)
	v_cndmask_b32_e64 v18, v18, v12, s5
	v_cndmask_b32_e32 v21, v21, v7, vcc_lo
	v_cndmask_b32_e64 v20, v20, v11, s4
	v_cmp_eq_u32_e64 s4, 5, v88
	v_cmp_eq_u32_e64 s5, 6, v87
	v_cndmask_b32_e32 v20, v20, v3, vcc_lo
	s_delay_alu instid0(VALU_DEP_3) | instskip(SKIP_1) | instid1(VALU_DEP_4)
	v_cndmask_b32_e64 v21, v21, v16, s4
	v_cmp_eq_u32_e32 vcc_lo, 6, v88
	v_cndmask_b32_e64 v18, v18, v4, s5
	v_cndmask_b32_e64 v19, v19, v8, s5
	;; [unrolled: 1-line block ×3, first 2 shown]
	v_cmp_eq_u32_e64 s4, 1, v89
	v_cmp_eq_u32_e64 s5, 7, v87
	s_delay_alu instid0(VALU_DEP_3) | instskip(NEXT) | instid1(VALU_DEP_3)
	v_cndmask_b32_e32 v20, v20, v4, vcc_lo
	v_cndmask_b32_e64 v1, v1, v10, s4
	v_cndmask_b32_e64 v5, v5, v14, s4
	v_cmp_eq_u32_e64 s4, 3, v86
	v_cndmask_b32_e64 v14, v23, v6, s7
	v_cmp_eq_u32_e64 s7, 3, v89
	v_cndmask_b32_e64 v1, v1, v2, s3
	v_cndmask_b32_e64 v2, v5, v6, s3
	;; [unrolled: 1-line block ×3, first 2 shown]
	v_cmp_eq_u32_e64 s3, 4, v86
	v_cndmask_b32_e64 v6, v14, v15, s4
	v_cndmask_b32_e64 v1, v1, v11, s7
	v_cmp_eq_u32_e64 s4, 4, v89
	v_cndmask_b32_e64 v2, v2, v15, s7
	v_cndmask_b32_e64 v5, v10, v3, s3
	;; [unrolled: 3-line block ×3, first 2 shown]
	v_cndmask_b32_e64 v2, v2, v7, s4
	v_cmp_eq_u32_e64 s3, 5, v89
	v_cndmask_b32_e64 v5, v5, v12, s7
	v_cmp_eq_u32_e64 s4, 6, v86
	;; [unrolled: 2-line block ×3, first 2 shown]
	v_cndmask_b32_e64 v1, v1, v12, s3
	v_cndmask_b32_e64 v2, v2, v16, s3
	;; [unrolled: 1-line block ×4, first 2 shown]
	v_cmp_eq_u32_e64 s3, 7, v89
	v_cndmask_b32_e64 v1, v1, v4, s7
	v_cndmask_b32_e64 v2, v2, v8, s7
	v_cmp_eq_u32_e64 s4, 7, v86
	v_cndmask_b32_e32 v4, v21, v8, vcc_lo
	v_cndmask_b32_e64 v18, v18, v13, s5
	v_cndmask_b32_e64 v20, v20, v13, s6
	;; [unrolled: 1-line block ×8, first 2 shown]
	v_cmp_gt_u32_e32 vcc_lo, 32, v0
	v_perm_b32 v4, v2, v1, 0x5040100
	v_perm_b32 v3, v3, v5, 0x5040100
	;; [unrolled: 1-line block ×4, first 2 shown]
	s_and_b32 s2, vcc_lo, s2
	ds_store_b128 v9, v[1:4]
	s_waitcnt lgkmcnt(0)
	s_barrier
	buffer_gl0_inv
	s_and_saveexec_b32 s3, s2
	s_cbranch_execz .LBB509_2
; %bb.113:
	s_load_b64 s[0:1], s[0:1], 0x68
	v_lshlrev_b32_e32 v0, 10, v0
	s_lshl_b32 s4, s34, 6
	v_or_b32_e32 v3, s31, v83
	s_mul_i32 s2, s4, s30
	v_lshlrev_b32_e32 v1, 4, v84
	s_mul_i32 s2, s2, s8
	v_lshlrev_b32_e32 v2, 6, v83
	v_and_b32_e32 v0, 0x3800, v0
	s_ashr_i32 s3, s2, 31
	v_mul_lo_u32 v4, v3, s4
	s_lshl_b64 s[2:3], s[2:3], 1
	s_delay_alu instid0(VALU_DEP_2) | instskip(NEXT) | instid1(VALU_DEP_2)
	v_or3_b32 v16, v0, v1, v2
	v_ashrrev_i32_e32 v5, 31, v4
	ds_load_b128 v[0:3], v16
	s_waitcnt lgkmcnt(0)
	s_add_u32 s2, s0, s2
	s_addc_u32 s3, s1, s3
	s_lshl_b32 s0, s14, 6
	v_lshlrev_b64 v[5:6], 1, v[4:5]
	s_ashr_i32 s1, s0, 31
	s_delay_alu instid0(SALU_CYCLE_1) | instskip(NEXT) | instid1(SALU_CYCLE_1)
	s_lshl_b64 s[0:1], s[0:1], 1
	s_add_u32 s0, s2, s0
	s_addc_u32 s1, s3, s1
	s_lshl_b32 s2, s34, 7
	v_add_co_u32 v30, vcc_lo, s0, v81
	v_add_nc_u32_e32 v8, s2, v4
	v_add_co_ci_u32_e32 v31, vcc_lo, s1, v82, vcc_lo
	s_delay_alu instid0(VALU_DEP_3) | instskip(NEXT) | instid1(VALU_DEP_3)
	v_add_co_u32 v12, vcc_lo, v30, v5
	v_add_nc_u32_e32 v10, s2, v8
	v_ashrrev_i32_e32 v9, 31, v8
	s_delay_alu instid0(VALU_DEP_4)
	v_add_co_ci_u32_e32 v13, vcc_lo, v31, v6, vcc_lo
	ds_load_b128 v[4:7], v16 offset:128
	v_ashrrev_i32_e32 v11, 31, v10
	v_lshlrev_b64 v[8:9], 1, v[8:9]
	v_add_nc_u32_e32 v14, s2, v10
	global_store_b128 v[12:13], v[0:3], off
	v_lshlrev_b64 v[0:1], 1, v[10:11]
	v_ashrrev_i32_e32 v15, 31, v14
	v_add_co_u32 v22, vcc_lo, v30, v8
	v_add_nc_u32_e32 v20, s2, v14
	v_add_co_ci_u32_e32 v23, vcc_lo, v31, v9, vcc_lo
	v_add_co_u32 v26, vcc_lo, v30, v0
	v_lshlrev_b64 v[24:25], 1, v[14:15]
	v_add_co_ci_u32_e32 v27, vcc_lo, v31, v1, vcc_lo
	ds_load_b128 v[0:3], v16 offset:256
	ds_load_b128 v[8:11], v16 offset:384
	;; [unrolled: 1-line block ×4, first 2 shown]
	v_add_nc_u32_e32 v28, s2, v20
	v_ashrrev_i32_e32 v21, 31, v20
	v_add_co_u32 v24, vcc_lo, v30, v24
	v_add_co_ci_u32_e32 v25, vcc_lo, v31, v25, vcc_lo
	s_delay_alu instid0(VALU_DEP_4) | instskip(NEXT) | instid1(VALU_DEP_4)
	v_ashrrev_i32_e32 v29, 31, v28
	v_lshlrev_b64 v[20:21], 1, v[20:21]
	s_delay_alu instid0(VALU_DEP_2) | instskip(NEXT) | instid1(VALU_DEP_2)
	v_lshlrev_b64 v[28:29], 1, v[28:29]
	v_add_co_u32 v20, vcc_lo, v30, v20
	s_delay_alu instid0(VALU_DEP_3) | instskip(NEXT) | instid1(VALU_DEP_3)
	v_add_co_ci_u32_e32 v21, vcc_lo, v31, v21, vcc_lo
	v_add_co_u32 v28, vcc_lo, v30, v28
	s_delay_alu instid0(VALU_DEP_4)
	v_add_co_ci_u32_e32 v29, vcc_lo, v31, v29, vcc_lo
	s_waitcnt lgkmcnt(4)
	global_store_b128 v[22:23], v[4:7], off
	s_waitcnt lgkmcnt(3)
	global_store_b128 v[26:27], v[0:3], off
	s_waitcnt lgkmcnt(2)
	global_store_b128 v[24:25], v[8:11], off
	s_waitcnt lgkmcnt(1)
	global_store_b128 v[20:21], v[12:15], off
	s_waitcnt lgkmcnt(0)
	global_store_b128 v[28:29], v[16:19], off
	s_nop 0
	s_sendmsg sendmsg(MSG_DEALLOC_VGPRS)
	s_endpgm
	.section	.rodata,"a",@progbits
	.p2align	6, 0x0
	.amdhsa_kernel _Z39paged_attention_ll4mi_QKV_mfma16_kernelI14__hip_bfloat16S0_LN4vllm18Fp8KVCacheDataTypeE0EhLi32ELi64ELi256ELb1ELi12EL8MFMAType0EEvPKT_PKT0_S9_ifPKiSB_SB_iPKfiiiPfSE_PS4_PT2_iSD_SD_
		.amdhsa_group_segment_fixed_size 17472
		.amdhsa_private_segment_fixed_size 0
		.amdhsa_kernarg_size 400
		.amdhsa_user_sgpr_count 13
		.amdhsa_user_sgpr_dispatch_ptr 0
		.amdhsa_user_sgpr_queue_ptr 0
		.amdhsa_user_sgpr_kernarg_segment_ptr 1
		.amdhsa_user_sgpr_dispatch_id 0
		.amdhsa_user_sgpr_private_segment_size 0
		.amdhsa_wavefront_size32 1
		.amdhsa_uses_dynamic_stack 0
		.amdhsa_enable_private_segment 0
		.amdhsa_system_sgpr_workgroup_id_x 1
		.amdhsa_system_sgpr_workgroup_id_y 1
		.amdhsa_system_sgpr_workgroup_id_z 1
		.amdhsa_system_sgpr_workgroup_info 0
		.amdhsa_system_vgpr_workitem_id 0
		.amdhsa_next_free_vgpr 142
		.amdhsa_next_free_sgpr 38
		.amdhsa_reserve_vcc 1
		.amdhsa_float_round_mode_32 0
		.amdhsa_float_round_mode_16_64 0
		.amdhsa_float_denorm_mode_32 3
		.amdhsa_float_denorm_mode_16_64 3
		.amdhsa_dx10_clamp 1
		.amdhsa_ieee_mode 1
		.amdhsa_fp16_overflow 0
		.amdhsa_workgroup_processor_mode 1
		.amdhsa_memory_ordered 1
		.amdhsa_forward_progress 0
		.amdhsa_shared_vgpr_count 0
		.amdhsa_exception_fp_ieee_invalid_op 0
		.amdhsa_exception_fp_denorm_src 0
		.amdhsa_exception_fp_ieee_div_zero 0
		.amdhsa_exception_fp_ieee_overflow 0
		.amdhsa_exception_fp_ieee_underflow 0
		.amdhsa_exception_fp_ieee_inexact 0
		.amdhsa_exception_int_div_zero 0
	.end_amdhsa_kernel
	.section	.text._Z39paged_attention_ll4mi_QKV_mfma16_kernelI14__hip_bfloat16S0_LN4vllm18Fp8KVCacheDataTypeE0EhLi32ELi64ELi256ELb1ELi12EL8MFMAType0EEvPKT_PKT0_S9_ifPKiSB_SB_iPKfiiiPfSE_PS4_PT2_iSD_SD_,"axG",@progbits,_Z39paged_attention_ll4mi_QKV_mfma16_kernelI14__hip_bfloat16S0_LN4vllm18Fp8KVCacheDataTypeE0EhLi32ELi64ELi256ELb1ELi12EL8MFMAType0EEvPKT_PKT0_S9_ifPKiSB_SB_iPKfiiiPfSE_PS4_PT2_iSD_SD_,comdat
.Lfunc_end509:
	.size	_Z39paged_attention_ll4mi_QKV_mfma16_kernelI14__hip_bfloat16S0_LN4vllm18Fp8KVCacheDataTypeE0EhLi32ELi64ELi256ELb1ELi12EL8MFMAType0EEvPKT_PKT0_S9_ifPKiSB_SB_iPKfiiiPfSE_PS4_PT2_iSD_SD_, .Lfunc_end509-_Z39paged_attention_ll4mi_QKV_mfma16_kernelI14__hip_bfloat16S0_LN4vllm18Fp8KVCacheDataTypeE0EhLi32ELi64ELi256ELb1ELi12EL8MFMAType0EEvPKT_PKT0_S9_ifPKiSB_SB_iPKfiiiPfSE_PS4_PT2_iSD_SD_
                                        ; -- End function
	.section	.AMDGPU.csdata,"",@progbits
; Kernel info:
; codeLenInByte = 9492
; NumSgprs: 40
; NumVgprs: 142
; ScratchSize: 0
; MemoryBound: 0
; FloatMode: 240
; IeeeMode: 1
; LDSByteSize: 17472 bytes/workgroup (compile time only)
; SGPRBlocks: 4
; VGPRBlocks: 17
; NumSGPRsForWavesPerEU: 40
; NumVGPRsForWavesPerEU: 142
; Occupancy: 10
; WaveLimiterHint : 1
; COMPUTE_PGM_RSRC2:SCRATCH_EN: 0
; COMPUTE_PGM_RSRC2:USER_SGPR: 13
; COMPUTE_PGM_RSRC2:TRAP_HANDLER: 0
; COMPUTE_PGM_RSRC2:TGID_X_EN: 1
; COMPUTE_PGM_RSRC2:TGID_Y_EN: 1
; COMPUTE_PGM_RSRC2:TGID_Z_EN: 1
; COMPUTE_PGM_RSRC2:TIDIG_COMP_CNT: 0
	.section	.text._Z39paged_attention_ll4mi_QKV_mfma16_kernelI14__hip_bfloat16S0_LN4vllm18Fp8KVCacheDataTypeE0EhLi32ELi64ELi256ELb1ELi13EL8MFMAType0EEvPKT_PKT0_S9_ifPKiSB_SB_iPKfiiiPfSE_PS4_PT2_iSD_SD_,"axG",@progbits,_Z39paged_attention_ll4mi_QKV_mfma16_kernelI14__hip_bfloat16S0_LN4vllm18Fp8KVCacheDataTypeE0EhLi32ELi64ELi256ELb1ELi13EL8MFMAType0EEvPKT_PKT0_S9_ifPKiSB_SB_iPKfiiiPfSE_PS4_PT2_iSD_SD_,comdat
	.protected	_Z39paged_attention_ll4mi_QKV_mfma16_kernelI14__hip_bfloat16S0_LN4vllm18Fp8KVCacheDataTypeE0EhLi32ELi64ELi256ELb1ELi13EL8MFMAType0EEvPKT_PKT0_S9_ifPKiSB_SB_iPKfiiiPfSE_PS4_PT2_iSD_SD_ ; -- Begin function _Z39paged_attention_ll4mi_QKV_mfma16_kernelI14__hip_bfloat16S0_LN4vllm18Fp8KVCacheDataTypeE0EhLi32ELi64ELi256ELb1ELi13EL8MFMAType0EEvPKT_PKT0_S9_ifPKiSB_SB_iPKfiiiPfSE_PS4_PT2_iSD_SD_
	.globl	_Z39paged_attention_ll4mi_QKV_mfma16_kernelI14__hip_bfloat16S0_LN4vllm18Fp8KVCacheDataTypeE0EhLi32ELi64ELi256ELb1ELi13EL8MFMAType0EEvPKT_PKT0_S9_ifPKiSB_SB_iPKfiiiPfSE_PS4_PT2_iSD_SD_
	.p2align	8
	.type	_Z39paged_attention_ll4mi_QKV_mfma16_kernelI14__hip_bfloat16S0_LN4vllm18Fp8KVCacheDataTypeE0EhLi32ELi64ELi256ELb1ELi13EL8MFMAType0EEvPKT_PKT0_S9_ifPKiSB_SB_iPKfiiiPfSE_PS4_PT2_iSD_SD_,@function
_Z39paged_attention_ll4mi_QKV_mfma16_kernelI14__hip_bfloat16S0_LN4vllm18Fp8KVCacheDataTypeE0EhLi32ELi64ELi256ELb1ELi13EL8MFMAType0EEvPKT_PKT0_S9_ifPKiSB_SB_iPKfiiiPfSE_PS4_PT2_iSD_SD_: ; @_Z39paged_attention_ll4mi_QKV_mfma16_kernelI14__hip_bfloat16S0_LN4vllm18Fp8KVCacheDataTypeE0EhLi32ELi64ELi256ELb1ELi13EL8MFMAType0EEvPKT_PKT0_S9_ifPKiSB_SB_iPKfiiiPfSE_PS4_PT2_iSD_SD_
; %bb.0:
	s_load_b64 s[2:3], s[0:1], 0x30
	s_mov_b32 s34, s13
	s_waitcnt lgkmcnt(0)
	s_cmp_lg_u64 s[2:3], 0
	s_cselect_b32 s6, -1, 0
	s_ashr_i32 s35, s13, 31
	s_cmp_eq_u64 s[2:3], 0
	s_cbranch_scc1 .LBB510_3
; %bb.1:
	s_lshl_b64 s[4:5], s[34:35], 2
	s_delay_alu instid0(SALU_CYCLE_1) | instskip(SKIP_4) | instid1(SALU_CYCLE_1)
	s_add_u32 s4, s2, s4
	s_addc_u32 s5, s3, s5
	s_load_b64 s[4:5], s[4:5], 0x0
	s_waitcnt lgkmcnt(0)
	s_sub_i32 s4, s5, s4
	s_cmp_eq_u32 s4, 1
	s_cselect_b32 s4, -1, 0
	s_delay_alu instid0(SALU_CYCLE_1)
	s_and_not1_b32 vcc_lo, exec_lo, s4
	s_cbranch_vccz .LBB510_4
.LBB510_2:
	s_nop 0
	s_sendmsg sendmsg(MSG_DEALLOC_VGPRS)
	s_endpgm
.LBB510_3:
.LBB510_4:
	s_load_b64 s[8:9], s[0:1], 0x28
	s_lshl_b64 s[4:5], s[34:35], 2
	s_waitcnt lgkmcnt(0)
	s_add_u32 s8, s8, s4
	s_addc_u32 s9, s9, s5
	s_lshl_b32 s16, s14, 8
	s_load_b32 s18, s[8:9], 0x0
	s_waitcnt lgkmcnt(0)
	s_cmp_ge_i32 s16, s18
	s_cbranch_scc1 .LBB510_2
; %bb.5:
	s_and_not1_b32 vcc_lo, exec_lo, s6
	s_cbranch_vccnz .LBB510_7
; %bb.6:
	s_add_u32 s2, s2, s4
	s_addc_u32 s3, s3, s5
	s_load_b32 s17, s[2:3], 0x0
	s_branch .LBB510_8
.LBB510_7:
	s_mov_b32 s17, s34
.LBB510_8:
	s_clause 0x2
	s_load_b128 s[8:11], s[0:1], 0x8
	s_load_b64 s[12:13], s[0:1], 0x20
	s_load_b128 s[4:7], s[0:1], 0x48
	v_lshrrev_b32_e32 v74, 5, v0
	v_bfe_u32 v83, v0, 4, 1
	v_and_b32_e32 v73, 15, v0
	s_delay_alu instid0(VALU_DEP_2) | instskip(NEXT) | instid1(VALU_DEP_2)
	v_lshl_or_b32 v3, v74, 1, v83
	v_cmp_lt_u32_e64 s3, 7, v73
	v_lshlrev_b32_e32 v1, 3, v73
	v_cmp_gt_u32_e64 s2, 8, v73
	s_delay_alu instid0(VALU_DEP_4) | instskip(NEXT) | instid1(VALU_DEP_4)
	v_cmp_lt_u32_e32 vcc_lo, 12, v3
	s_or_b32 s3, s3, vcc_lo
	s_waitcnt lgkmcnt(0)
	s_and_saveexec_b32 s7, s3
	s_delay_alu instid0(SALU_CYCLE_1)
	s_xor_b32 s3, exec_lo, s7
; %bb.9:
	v_mov_b32_e32 v2, 0
                                        ; implicit-def: $vgpr3
; %bb.10:
	s_or_saveexec_b32 s3, s3
	v_and_b32_e32 v75, 31, v0
	v_and_b32_e32 v84, 1, v0
	s_mul_i32 s31, s15, 13
	s_xor_b32 exec_lo, exec_lo, s3
	s_cbranch_execz .LBB510_12
; %bb.11:
	s_load_b64 s[20:21], s[0:1], 0x0
	v_add_lshl_u32 v4, v3, s31, 6
	s_mul_hi_i32 s23, s17, s4
	s_mul_i32 s22, s17, s4
	v_lshlrev_b32_e32 v2, 1, v1
	s_lshl_b64 s[22:23], s[22:23], 1
	v_ashrrev_i32_e32 v5, 31, v4
	v_lshlrev_b32_e32 v3, 6, v3
	v_lshlrev_b32_e32 v8, 10, v84
	s_delay_alu instid0(VALU_DEP_3) | instskip(SKIP_3) | instid1(VALU_DEP_1)
	v_lshlrev_b64 v[4:5], 1, v[4:5]
	s_waitcnt lgkmcnt(0)
	s_add_u32 s4, s20, s22
	s_addc_u32 s7, s21, s23
	v_add_co_u32 v4, vcc_lo, s4, v4
	s_delay_alu instid0(VALU_DEP_2) | instskip(NEXT) | instid1(VALU_DEP_2)
	v_add_co_ci_u32_e32 v5, vcc_lo, s7, v5, vcc_lo
	v_add_co_u32 v4, vcc_lo, v4, v2
	s_delay_alu instid0(VALU_DEP_2) | instskip(SKIP_3) | instid1(VALU_DEP_1)
	v_add_co_ci_u32_e32 v5, vcc_lo, 0, v5, vcc_lo
	v_lshlrev_b32_e32 v2, 10, v73
	global_load_b128 v[4:7], v[4:5], off
	v_and_b32_e32 v2, 0x3800, v2
	v_or3_b32 v3, v2, v8, v3
	v_mov_b32_e32 v2, 0
	s_waitcnt vmcnt(0)
	ds_store_b128 v3, v[4:7]
.LBB510_12:
	s_or_b32 exec_lo, exec_lo, s3
	v_and_b32_e32 v3, 0xef, v0
	s_add_i32 s3, s18, 31
	s_clause 0x1
	s_load_b32 s4, s[0:1], 0x38
	s_load_b32 s19, s[0:1], 0x1c
	s_ashr_i32 s7, s3, 31
	v_add_nc_u32_e32 v3, s16, v3
	s_lshr_b32 s7, s7, 27
	s_waitcnt lgkmcnt(0)
	s_add_i32 s3, s3, s7
	s_barrier
	v_ashrrev_i32_e32 v4, 31, v3
	v_cmp_gt_i32_e32 vcc_lo, s18, v3
	s_ashr_i32 s3, s3, 5
	buffer_gl0_inv
	s_add_i32 s3, s3, -1
	v_lshrrev_b32_e32 v5, 27, v4
	v_or_b32_e32 v4, 16, v3
	s_mul_i32 s6, s15, s6
	v_lshlrev_b64 v[81:82], 1, v[1:2]
	s_delay_alu instid0(VALU_DEP_3) | instskip(NEXT) | instid1(VALU_DEP_3)
	v_add_nc_u32_e32 v6, v3, v5
	v_add_nc_u32_e32 v5, v4, v5
	s_mul_i32 s20, s34, s4
	s_delay_alu instid0(SALU_CYCLE_1) | instskip(NEXT) | instid1(VALU_DEP_2)
	s_ashr_i32 s21, s20, 31
	v_ashrrev_i32_e32 v6, 5, v6
	s_delay_alu instid0(VALU_DEP_2) | instskip(SKIP_1) | instid1(SALU_CYCLE_1)
	v_ashrrev_i32_e32 v5, 5, v5
	s_lshl_b64 s[20:21], s[20:21], 2
	s_add_u32 s4, s12, s20
	s_delay_alu instid0(VALU_DEP_2) | instskip(SKIP_3) | instid1(SALU_CYCLE_1)
	v_cndmask_b32_e32 v3, s3, v6, vcc_lo
	v_cmp_gt_i32_e32 vcc_lo, s18, v4
	s_addc_u32 s17, s13, s21
	s_ashr_i32 s7, s6, 31
	s_lshl_b64 s[6:7], s[6:7], 1
	v_cndmask_b32_e32 v5, s3, v5, vcc_lo
	v_ashrrev_i32_e32 v4, 31, v3
	s_add_u32 s15, s8, s6
	s_addc_u32 s28, s9, s7
	s_lshl_b32 s8, s14, 3
	v_ashrrev_i32_e32 v6, 31, v5
	v_lshlrev_b64 v[3:4], 2, v[3:4]
	s_ashr_i32 s9, s8, 31
	s_delay_alu instid0(SALU_CYCLE_1) | instskip(NEXT) | instid1(VALU_DEP_2)
	s_lshl_b64 s[8:9], s[8:9], 2
	v_lshlrev_b64 v[5:6], 2, v[5:6]
	s_add_u32 s8, s4, s8
	s_delay_alu instid0(VALU_DEP_2) | instskip(SKIP_1) | instid1(VALU_DEP_3)
	v_add_co_u32 v3, vcc_lo, s4, v3
	v_add_co_ci_u32_e32 v4, vcc_lo, s17, v4, vcc_lo
	v_add_co_u32 v5, vcc_lo, s4, v5
	s_delay_alu instid0(VALU_DEP_4)
	v_add_co_ci_u32_e32 v6, vcc_lo, s17, v6, vcc_lo
	s_addc_u32 s9, s17, s9
	s_clause 0x1
	global_load_b32 v7, v[3:4], off
	global_load_b32 v8, v[5:6], off
	s_or_b32 s12, s16, 32
	s_delay_alu instid0(SALU_CYCLE_1) | instskip(SKIP_2) | instid1(SALU_CYCLE_1)
	s_ashr_i32 s13, s12, 5
	s_cmp_lt_i32 s12, s18
	s_cselect_b32 s12, s13, s3
	s_ashr_i32 s13, s12, 31
	s_delay_alu instid0(SALU_CYCLE_1) | instskip(NEXT) | instid1(SALU_CYCLE_1)
	s_lshl_b64 s[12:13], s[12:13], 2
	s_add_u32 s12, s4, s12
	s_addc_u32 s13, s17, s13
	s_or_b32 s20, s16, 64
	s_delay_alu instid0(SALU_CYCLE_1) | instskip(SKIP_2) | instid1(SALU_CYCLE_1)
	s_ashr_i32 s21, s20, 5
	s_cmp_lt_i32 s20, s18
	s_cselect_b32 s20, s21, s3
	s_ashr_i32 s21, s20, 31
	s_delay_alu instid0(SALU_CYCLE_1) | instskip(NEXT) | instid1(SALU_CYCLE_1)
	s_lshl_b64 s[20:21], s[20:21], 2
	s_add_u32 s20, s4, s20
	s_addc_u32 s21, s17, s21
	;; [unrolled: 10-line block ×5, first 2 shown]
	s_clause 0x5
	s_load_b32 s29, s[8:9], 0x0
	s_load_b32 s30, s[12:13], 0x0
	;; [unrolled: 1-line block ×6, first 2 shown]
	s_mov_b32 s20, 0
	s_or_b32 s8, s16, 0xc0
	s_mov_b32 s21, s20
	s_mov_b32 s22, s20
	;; [unrolled: 1-line block ×7, first 2 shown]
	s_ashr_i32 s9, s8, 5
	v_mov_b32_e32 v117, s27
	s_cmp_lt_i32 s8, s18
	v_mov_b32_e32 v116, s26
	s_cselect_b32 s8, s9, s3
	v_mov_b32_e32 v115, s25
	s_ashr_i32 s9, s8, 31
	v_dual_mov_b32 v114, s24 :: v_dual_mov_b32 v113, s23
	v_dual_mov_b32 v112, s22 :: v_dual_mov_b32 v111, s21
	s_lshl_b64 s[8:9], s[8:9], 2
	s_waitcnt lgkmcnt(0)
	s_mul_hi_i32 s13, s29, s5
	s_add_u32 s8, s4, s8
	s_addc_u32 s9, s17, s9
	s_mul_i32 s12, s29, s5
	s_mul_hi_i32 s37, s38, s5
	v_mov_b32_e32 v110, s20
	s_mul_hi_i32 s21, s30, s5
	s_mul_i32 s20, s30, s5
	s_mul_hi_i32 s25, s33, s5
	s_mul_i32 s24, s33, s5
	;; [unrolled: 2-line block ×3, first 2 shown]
	s_waitcnt vmcnt(1)
	v_mad_i64_i32 v[3:4], null, v7, s5, 0
	s_waitcnt vmcnt(0)
	v_mad_i64_i32 v[5:6], null, v8, s5, 0
	s_delay_alu instid0(VALU_DEP_2) | instskip(NEXT) | instid1(VALU_DEP_2)
	v_lshlrev_b64 v[3:4], 1, v[3:4]
	v_lshlrev_b64 v[1:2], 1, v[5:6]
	s_delay_alu instid0(VALU_DEP_2) | instskip(NEXT) | instid1(VALU_DEP_3)
	v_add_co_u32 v3, vcc_lo, s15, v3
	v_add_co_ci_u32_e32 v4, vcc_lo, s28, v4, vcc_lo
	s_delay_alu instid0(VALU_DEP_3) | instskip(NEXT) | instid1(VALU_DEP_4)
	v_add_co_u32 v1, vcc_lo, s15, v1
	v_add_co_ci_u32_e32 v2, vcc_lo, s28, v2, vcc_lo
	s_delay_alu instid0(VALU_DEP_4) | instskip(NEXT) | instid1(VALU_DEP_4)
	v_add_co_u32 v41, vcc_lo, v3, v81
	v_add_co_ci_u32_e32 v42, vcc_lo, v4, v82, vcc_lo
	s_delay_alu instid0(VALU_DEP_4) | instskip(NEXT) | instid1(VALU_DEP_4)
	v_add_co_u32 v43, vcc_lo, v1, v81
	v_add_co_ci_u32_e32 v44, vcc_lo, v2, v82, vcc_lo
	s_clause 0xf
	global_load_b128 v[1:4], v[41:42], off
	global_load_b128 v[5:8], v[41:42], off offset:512
	global_load_b128 v[9:12], v[43:44], off offset:256
	;; [unrolled: 1-line block ×15, first 2 shown]
	v_add_nc_u32_e32 v41, -13, v73
	v_cmp_gt_u32_e32 vcc_lo, 13, v73
	s_or_b32 s15, s16, 0xe0
	s_delay_alu instid0(SALU_CYCLE_1) | instskip(SKIP_3) | instid1(SALU_CYCLE_1)
	s_ashr_i32 s22, s15, 5
	s_cmp_lt_i32 s15, s18
	v_cndmask_b32_e32 v41, v41, v73, vcc_lo
	s_cselect_b32 s22, s22, s3
	s_ashr_i32 s23, s22, 31
	s_delay_alu instid0(VALU_DEP_1)
	v_lshlrev_b32_e32 v57, 6, v41
	ds_load_b128 v[41:44], v57
	ds_load_b128 v[45:48], v57 offset:1024
	ds_load_b128 v[49:52], v57 offset:2048
	;; [unrolled: 1-line block ×7, first 2 shown]
	s_lshl_b64 s[22:23], s[22:23], 2
	s_delay_alu instid0(SALU_CYCLE_1) | instskip(SKIP_2) | instid1(SALU_CYCLE_1)
	s_add_u32 s22, s4, s22
	s_addc_u32 s23, s17, s23
	s_add_i32 s15, s16, 0x100
	s_ashr_i32 s28, s15, 5
	s_cmp_lt_i32 s15, s18
	s_load_b32 s15, s[8:9], 0x0
	s_cselect_b32 s28, s28, s3
	s_mul_hi_i32 s9, s36, s5
	s_ashr_i32 s29, s28, 31
	s_mul_i32 s8, s36, s5
	s_lshl_b64 s[28:29], s[28:29], 2
	s_mul_i32 s36, s38, s5
	s_add_u32 s28, s4, s28
	s_addc_u32 s29, s17, s29
	s_add_u32 s3, s10, s6
	s_clause 0x1
	s_load_b32 s4, s[22:23], 0x0
	s_load_b32 s17, s[28:29], 0x0
	s_addc_u32 s28, s11, s7
	s_lshl_b64 s[6:7], s[12:13], 1
	s_lshl_b64 s[10:11], s[20:21], 1
	;; [unrolled: 1-line block ×6, first 2 shown]
	s_waitcnt lgkmcnt(0)
	s_mul_hi_i32 s25, s15, s5
	s_mul_i32 s24, s15, s5
	s_waitcnt vmcnt(14)
	v_wmma_f32_16x16x16_bf16 v[134:141], v[1:8], v[41:48], v[110:117]
	s_waitcnt vmcnt(10)
	s_delay_alu instid0(VALU_DEP_1) | instskip(SKIP_1) | instid1(VALU_DEP_1)
	v_wmma_f32_16x16x16_bf16 v[134:141], v[17:24], v[49:56], v[134:141]
	s_waitcnt vmcnt(6)
	v_wmma_f32_16x16x16_bf16 v[134:141], v[33:40], v[118:125], v[134:141]
	s_waitcnt vmcnt(2)
	s_delay_alu instid0(VALU_DEP_1) | instskip(SKIP_1) | instid1(VALU_DEP_2)
	v_wmma_f32_16x16x16_bf16 v[134:141], v[94:101], v[126:133], v[134:141]
	v_lshlrev_b32_e32 v85, 6, v73
	v_mul_f32_e32 v100, s19, v141
	s_delay_alu instid0(VALU_DEP_2) | instskip(SKIP_2) | instid1(VALU_DEP_3)
	v_lshl_or_b32 v58, v74, 10, v85
	v_wmma_f32_16x16x16_bf16 v[110:117], v[9:16], v[41:48], v[110:117]
	v_mul_f32_e32 v99, s19, v135
	v_add_co_u32 v76, s3, s3, v58
	s_delay_alu instid0(VALU_DEP_1) | instskip(NEXT) | instid1(VALU_DEP_4)
	v_add_co_ci_u32_e64 v77, null, s28, 0, s3
	v_wmma_f32_16x16x16_bf16 v[110:117], v[25:32], v[49:56], v[110:117]
	s_delay_alu instid0(VALU_DEP_3) | instskip(NEXT) | instid1(VALU_DEP_3)
	v_add_co_u32 v57, vcc_lo, v76, s6
	v_add_co_ci_u32_e32 v58, vcc_lo, s7, v77, vcc_lo
	v_add_co_u32 v1, vcc_lo, v76, s10
	v_add_co_ci_u32_e32 v2, vcc_lo, s11, v77, vcc_lo
	v_add_co_u32 v3, vcc_lo, v76, s12
	v_add_co_ci_u32_e32 v4, vcc_lo, s13, v77, vcc_lo
	v_add_co_u32 v5, vcc_lo, v76, s20
	v_add_co_ci_u32_e32 v6, vcc_lo, s21, v77, vcc_lo
	v_add_co_u32 v7, vcc_lo, v76, s8
	v_add_co_ci_u32_e32 v8, vcc_lo, s9, v77, vcc_lo
	s_clause 0x9
	global_load_b128 v[65:68], v[57:58], off
	global_load_b128 v[69:72], v[57:58], off offset:16
	global_load_b128 v[57:60], v[1:2], off
	global_load_b128 v[61:64], v[1:2], off offset:16
	;; [unrolled: 2-line block ×5, first 2 shown]
	v_add_co_u32 v5, vcc_lo, v76, s22
	s_lshl_b64 s[6:7], s[24:25], 1
	v_add_co_ci_u32_e32 v6, vcc_lo, s23, v77, vcc_lo
	s_mul_hi_i32 s9, s4, s5
	s_mul_i32 s8, s4, s5
	v_add_co_u32 v17, vcc_lo, v76, s6
	v_add_co_ci_u32_e32 v18, vcc_lo, s7, v77, vcc_lo
	s_lshl_b64 s[6:7], s[8:9], 1
	s_mul_hi_i32 s9, s17, s5
	s_mul_i32 s8, s17, s5
	v_add_co_u32 v19, vcc_lo, v76, s6
	s_lshl_b64 s[4:5], s[8:9], 1
	v_add_co_ci_u32_e32 v20, vcc_lo, s7, v77, vcc_lo
	v_add_co_u32 v21, vcc_lo, v76, s4
	v_add_co_ci_u32_e32 v22, vcc_lo, s5, v77, vcc_lo
	s_clause 0x7
	global_load_b128 v[1:4], v[5:6], off
	global_load_b128 v[5:8], v[5:6], off offset:16
	global_load_b128 v[33:36], v[17:18], off
	global_load_b128 v[37:40], v[17:18], off offset:16
	;; [unrolled: 2-line block ×4, first 2 shown]
	v_and_b32_e32 v76, 0xe0, v0
	v_mbcnt_lo_u32_b32 v77, -1, 0
	v_wmma_f32_16x16x16_bf16 v[110:117], v[86:93], v[118:125], v[110:117]
	s_waitcnt vmcnt(0)
	s_barrier
	v_add_nc_u32_e32 v76, s16, v76
	v_xor_b32_e32 v78, 16, v77
	v_wmma_f32_16x16x16_bf16 v[110:117], v[102:109], v[126:133], v[110:117]
	v_mul_f32_e32 v97, s19, v134
	buffer_gl0_inv
	v_or_b32_e32 v76, v76, v83
	v_cmp_gt_i32_e32 vcc_lo, 32, v78
	s_delay_alu instid0(VALU_DEP_2)
	v_or_b32_e32 v79, 4, v76
	v_cndmask_b32_e32 v77, v77, v78, vcc_lo
	v_or_b32_e32 v78, 2, v76
	v_or_b32_e32 v80, 6, v76
	v_cmp_gt_i32_e32 vcc_lo, s18, v76
	v_or_b32_e32 v86, 8, v76
	v_or_b32_e32 v87, 10, v76
	v_cmp_gt_i32_e64 s3, s18, v78
	v_or_b32_e32 v88, 12, v76
	v_or_b32_e32 v89, 14, v76
	;; [unrolled: 1-line block ×10, first 2 shown]
	v_cndmask_b32_e32 v76, 0xff7fffff, v97, vcc_lo
	v_cndmask_b32_e64 v78, 0xff7fffff, v99, s3
	v_mul_f32_e32 v99, s19, v137
	v_cmp_gt_i32_e64 s4, s18, v80
	v_mul_f32_e32 v80, s19, v136
	v_cmp_gt_i32_e64 s5, s18, v79
	v_max3_f32 v76, v76, 0xff7fffff, v78
	v_dual_mul_f32 v78, s19, v138 :: v_dual_mul_f32 v79, s19, v139
	v_cndmask_b32_e64 v99, 0xff7fffff, v99, s4
	s_delay_alu instid0(VALU_DEP_4)
	v_cndmask_b32_e64 v80, 0xff7fffff, v80, s5
	v_cmp_gt_i32_e64 s6, s18, v86
	v_cmp_gt_i32_e64 s7, s18, v87
	v_mul_f32_e32 v97, s19, v140
	v_cmp_gt_i32_e64 s8, s18, v89
	v_max3_f32 v76, v76, v80, v99
	v_cndmask_b32_e64 v78, 0xff7fffff, v78, s6
	v_cndmask_b32_e64 v79, 0xff7fffff, v79, s7
	v_cmp_gt_i32_e64 s9, s18, v88
	v_dual_mul_f32 v88, s19, v111 :: v_dual_mul_f32 v89, s19, v110
	v_cndmask_b32_e64 v100, 0xff7fffff, v100, s8
	s_delay_alu instid0(VALU_DEP_4) | instskip(NEXT) | instid1(VALU_DEP_4)
	v_max3_f32 v76, v76, v78, v79
	v_cndmask_b32_e64 v97, 0xff7fffff, v97, s9
	v_cmp_gt_i32_e64 s10, s18, v90
	v_cmp_gt_i32_e64 s11, s18, v91
	v_dual_mul_f32 v78, s19, v113 :: v_dual_mul_f32 v79, s19, v112
	s_delay_alu instid0(VALU_DEP_4) | instskip(NEXT) | instid1(VALU_DEP_4)
	v_max3_f32 v76, v76, v97, v100
	v_cndmask_b32_e64 v89, 0xff7fffff, v89, s10
	s_delay_alu instid0(VALU_DEP_4)
	v_cndmask_b32_e64 v88, 0xff7fffff, v88, s11
	v_cmp_gt_i32_e64 s12, s18, v92
	v_cmp_gt_i32_e64 s13, s18, v93
	v_mul_f32_e32 v87, s19, v115
	v_mul_f32_e32 v99, s19, v114
	v_max3_f32 v76, v76, v89, v88
	v_cndmask_b32_e64 v79, 0xff7fffff, v79, s12
	v_cndmask_b32_e64 v78, 0xff7fffff, v78, s13
	v_cmp_gt_i32_e64 s15, s18, v94
	v_cmp_gt_i32_e64 s16, s18, v95
	v_mul_f32_e32 v80, s19, v117
	v_mul_f32_e32 v86, s19, v116
	v_max3_f32 v76, v76, v79, v78
	v_cndmask_b32_e64 v88, 0xff7fffff, v99, s15
	v_cndmask_b32_e64 v87, 0xff7fffff, v87, s16
	v_cmp_gt_i32_e64 s17, s18, v96
	v_cmp_gt_i32_e64 s18, s18, v98
	v_lshlrev_b32_e32 v99, 2, v77
	s_delay_alu instid0(VALU_DEP_4) | instskip(NEXT) | instid1(VALU_DEP_4)
	v_max3_f32 v76, v76, v88, v87
	v_cndmask_b32_e64 v78, 0xff7fffff, v86, s17
	s_delay_alu instid0(VALU_DEP_4) | instskip(NEXT) | instid1(VALU_DEP_1)
	v_cndmask_b32_e64 v79, 0xff7fffff, v80, s18
	v_max3_f32 v76, v76, v78, v79
	ds_bpermute_b32 v77, v99, v76
	s_waitcnt lgkmcnt(0)
	v_max_f32_e32 v77, v77, v77
	s_delay_alu instid0(VALU_DEP_1) | instskip(NEXT) | instid1(VALU_DEP_1)
	v_max_f32_e32 v76, v76, v77
	v_fma_f32 v77, s19, v134, -v76
	v_fma_f32 v78, s19, v135, -v76
	;; [unrolled: 1-line block ×5, first 2 shown]
	s_delay_alu instid0(VALU_DEP_4) | instskip(SKIP_1) | instid1(VALU_DEP_4)
	v_dual_mul_f32 v77, 0x3fb8aa3b, v77 :: v_dual_mul_f32 v78, 0x3fb8aa3b, v78
	v_fma_f32 v88, s19, v114, -v76
	v_dual_mul_f32 v79, 0x3fb8aa3b, v79 :: v_dual_mul_f32 v80, 0x3fb8aa3b, v80
	s_delay_alu instid0(VALU_DEP_3) | instskip(NEXT) | instid1(VALU_DEP_3)
	v_exp_f32_e32 v77, v77
	v_exp_f32_e32 v78, v78
	s_delay_alu instid0(VALU_DEP_2) | instskip(NEXT) | instid1(VALU_DEP_2)
	v_mul_f32_e32 v88, 0x3fb8aa3b, v88
	v_exp_f32_e32 v79, v79
	v_mul_f32_e32 v86, 0x3fb8aa3b, v86
	v_exp_f32_e32 v80, v80
	v_fma_f32 v87, s19, v140, -v76
	v_fma_f32 v100, s19, v117, -v76
	;; [unrolled: 1-line block ×3, first 2 shown]
	v_exp_f32_e32 v86, v86
	v_cndmask_b32_e32 v92, 0, v77, vcc_lo
	v_fma_f32 v77, s19, v139, -v76
	v_cndmask_b32_e64 v91, 0, v78, s3
	v_cndmask_b32_e64 v93, 0, v79, s5
	v_fma_f32 v79, s19, v141, -v76
	s_delay_alu instid0(VALU_DEP_4) | instskip(SKIP_2) | instid1(TRANS32_DEP_1)
	v_dual_add_f32 v78, 0, v92 :: v_dual_mul_f32 v77, 0x3fb8aa3b, v77
	v_cndmask_b32_e64 v95, 0, v80, s4
	v_mul_f32_e32 v87, 0x3fb8aa3b, v87
	v_cndmask_b32_e64 v96, 0, v86, s6
	s_delay_alu instid0(VALU_DEP_4)
	v_add_f32_e32 v78, v78, v91
	v_exp_f32_e32 v77, v77
	v_fma_f32 v86, s19, v111, -v76
	v_fma_f32 v80, s19, v110, -v76
	v_exp_f32_e32 v87, v87
	v_add_f32_e32 v78, v78, v93
	v_mul_f32_e32 v100, 0x3fb8aa3b, v100
	v_mul_f32_e32 v86, 0x3fb8aa3b, v86
	;; [unrolled: 1-line block ×3, first 2 shown]
	v_exp_f32_e32 v88, v88
	v_add_f32_e32 v78, v78, v95
	v_cndmask_b32_e64 v97, 0, v77, s7
	v_exp_f32_e32 v86, v86
	v_exp_f32_e32 v80, v80
	v_cndmask_b32_e64 v94, 0, v87, s9
	v_add_f32_e32 v77, v78, v96
	v_fma_f32 v78, s19, v112, -v76
	v_fma_f32 v87, s19, v113, -v76
	v_exp_f32_e32 v100, v100
	v_cmp_gt_u32_e64 s3, 16, v75
	s_delay_alu instid0(VALU_DEP_3) | instskip(NEXT) | instid1(VALU_DEP_3)
	v_dual_add_f32 v77, v77, v97 :: v_dual_mul_f32 v78, 0x3fb8aa3b, v78
	v_mul_f32_e32 v87, 0x3fb8aa3b, v87
	s_delay_alu instid0(VALU_DEP_2) | instskip(SKIP_2) | instid1(VALU_DEP_3)
	v_exp_f32_e32 v89, v78
	v_cndmask_b32_e64 v78, 0, v86, s11
	v_mul_f32_e32 v79, 0x3fb8aa3b, v79
	v_exp_f32_e32 v87, v87
	s_delay_alu instid0(VALU_DEP_1)
	v_exp_f32_e32 v79, v79
	s_waitcnt_depctr 0xfff
	v_cndmask_b32_e64 v98, 0, v79, s8
	v_add_f32_e32 v79, v77, v94
	v_cndmask_b32_e64 v77, 0, v80, s10
	v_fma_f32 v80, s19, v115, -v76
	s_delay_alu instid0(VALU_DEP_1) | instskip(NEXT) | instid1(VALU_DEP_1)
	v_dual_add_f32 v79, v79, v98 :: v_dual_mul_f32 v80, 0x3fb8aa3b, v80
	v_add_f32_e32 v86, v79, v77
	v_cndmask_b32_e64 v79, 0, v89, s12
	v_mul_f32_e32 v89, 0x3fb8aa3b, v90
	s_delay_alu instid0(VALU_DEP_4) | instskip(SKIP_2) | instid1(VALU_DEP_3)
	v_exp_f32_e32 v90, v80
	v_cndmask_b32_e64 v80, 0, v87, s13
	v_add_f32_e32 v86, v86, v78
	v_exp_f32_e32 v89, v89
	s_delay_alu instid0(VALU_DEP_1) | instskip(SKIP_1) | instid1(VALU_DEP_2)
	v_add_f32_e32 v87, v86, v79
	v_cndmask_b32_e64 v86, 0, v88, s15
	v_add_f32_e32 v88, v87, v80
	s_delay_alu instid0(TRANS32_DEP_2) | instskip(NEXT) | instid1(VALU_DEP_2)
	v_cndmask_b32_e64 v87, 0, v90, s16
	v_add_f32_e32 v90, v88, v86
	s_waitcnt_depctr 0xfff
	v_cndmask_b32_e64 v88, 0, v89, s17
	v_add_f32_e32 v89, v90, v87
	s_delay_alu instid0(VALU_DEP_1) | instskip(SKIP_1) | instid1(VALU_DEP_1)
	v_add_f32_e32 v90, v89, v88
	v_cndmask_b32_e64 v89, 0, v100, s18
	v_add_f32_e32 v90, v90, v89
	ds_bpermute_b32 v99, v99, v90
	s_and_saveexec_b32 s4, s3
	s_cbranch_execz .LBB510_14
; %bb.13:
	v_mul_u32_u24_e32 v75, 0x44, v74
	s_waitcnt lgkmcnt(0)
	v_add_f32_e32 v90, v90, v99
	s_delay_alu instid0(VALU_DEP_2) | instskip(NEXT) | instid1(VALU_DEP_1)
	v_lshl_add_u32 v75, v73, 2, v75
	v_add_nc_u32_e32 v75, 0x4000, v75
	ds_store_2addr_b32 v75, v76, v90 offset1:136
.LBB510_14:
	s_or_b32 exec_lo, exec_lo, s4
	v_lshlrev_b32_e32 v75, 2, v73
	s_waitcnt lgkmcnt(0)
	s_barrier
	buffer_gl0_inv
	v_cmp_eq_u32_e64 s4, 1, v74
	v_add_nc_u32_e32 v90, 0x4000, v75
	ds_load_2addr_b32 v[99:100], v90 offset1:17
	ds_load_2addr_b32 v[101:102], v90 offset0:34 offset1:51
	ds_load_2addr_b32 v[103:104], v90 offset0:68 offset1:85
	;; [unrolled: 1-line block ×4, first 2 shown]
	s_waitcnt lgkmcnt(4)
	v_max3_f32 v75, v99, 0xff7fffff, v100
	s_waitcnt lgkmcnt(3)
	s_delay_alu instid0(VALU_DEP_1) | instskip(SKIP_1) | instid1(VALU_DEP_1)
	v_max3_f32 v75, v75, v101, v102
	s_waitcnt lgkmcnt(2)
	v_max3_f32 v75, v75, v103, v104
	s_waitcnt lgkmcnt(1)
	s_delay_alu instid0(VALU_DEP_1) | instskip(NEXT) | instid1(VALU_DEP_1)
	v_max3_f32 v75, v75, v105, v106
	v_sub_f32_e32 v109, v100, v75
	v_sub_f32_e32 v76, v99, v75
	ds_load_2addr_b32 v[99:100], v90 offset0:170 offset1:187
	v_sub_f32_e32 v101, v101, v75
	v_dual_mul_f32 v109, 0x3fb8aa3b, v109 :: v_dual_mul_f32 v76, 0x3fb8aa3b, v76
	s_delay_alu instid0(VALU_DEP_2) | instskip(NEXT) | instid1(VALU_DEP_2)
	v_mul_f32_e32 v111, 0x3fb8aa3b, v101
	v_exp_f32_e32 v109, v109
	s_delay_alu instid0(VALU_DEP_2)
	v_exp_f32_e32 v110, v76
	v_sub_f32_e32 v76, v102, v75
	ds_load_2addr_b32 v[101:102], v90 offset0:204 offset1:221
	v_exp_f32_e32 v111, v111
	v_mul_f32_e32 v112, 0x3fb8aa3b, v76
	s_waitcnt lgkmcnt(2)
	v_fma_f32 v76, v110, v107, 0
	v_sub_f32_e32 v103, v103, v75
	s_delay_alu instid0(VALU_DEP_3) | instskip(NEXT) | instid1(VALU_DEP_2)
	v_exp_f32_e32 v112, v112
	v_dual_sub_f32 v107, v104, v75 :: v_dual_fmac_f32 v76, v109, v108
	s_waitcnt lgkmcnt(1)
	s_waitcnt_depctr 0xfff
	v_fmac_f32_e32 v76, v111, v99
	v_mul_f32_e32 v113, 0x3fb8aa3b, v103
	ds_load_2addr_b32 v[103:104], v90 offset0:238 offset1:255
	v_sub_f32_e32 v90, v105, v75
	v_dual_sub_f32 v99, v106, v75 :: v_dual_fmac_f32 v76, v112, v100
	v_mul_f32_e32 v105, 0x3fb8aa3b, v107
	v_exp_f32_e32 v107, v113
	s_delay_alu instid0(VALU_DEP_2)
	v_dual_mul_f32 v90, 0x3fb8aa3b, v90 :: v_dual_mul_f32 v99, 0x3fb8aa3b, v99
	s_waitcnt lgkmcnt(0)
	s_barrier
	buffer_gl0_inv
	v_exp_f32_e32 v90, v90
	v_exp_f32_e32 v99, v99
	v_fmac_f32_e32 v76, v107, v101
	v_exp_f32_e32 v105, v105
	s_waitcnt_depctr 0xfff
	v_fmac_f32_e32 v76, v105, v102
	s_delay_alu instid0(VALU_DEP_1) | instskip(NEXT) | instid1(VALU_DEP_1)
	v_fmac_f32_e32 v76, v90, v103
	v_fmac_f32_e32 v76, v99, v104
	s_delay_alu instid0(VALU_DEP_1) | instskip(NEXT) | instid1(VALU_DEP_1)
	v_add_f32_e32 v100, 0x358637bd, v76
	v_div_scale_f32 v101, null, v100, v100, 1.0
	v_div_scale_f32 v104, vcc_lo, 1.0, v100, 1.0
	s_delay_alu instid0(VALU_DEP_2) | instskip(SKIP_2) | instid1(VALU_DEP_1)
	v_rcp_f32_e32 v102, v101
	s_waitcnt_depctr 0xfff
	v_fma_f32 v103, -v101, v102, 1.0
	v_fmac_f32_e32 v102, v103, v102
	v_cndmask_b32_e64 v103, v110, v109, s4
	v_cmp_eq_u32_e64 s4, 2, v74
	s_delay_alu instid0(VALU_DEP_3) | instskip(NEXT) | instid1(VALU_DEP_2)
	v_mul_f32_e32 v106, v104, v102
	v_cndmask_b32_e64 v103, v103, v111, s4
	v_cmp_eq_u32_e64 s4, 3, v74
	s_delay_alu instid0(VALU_DEP_3) | instskip(NEXT) | instid1(VALU_DEP_2)
	v_fma_f32 v108, -v101, v106, v104
	v_cndmask_b32_e64 v103, v103, v112, s4
	v_cmp_eq_u32_e64 s4, 4, v74
	s_delay_alu instid0(VALU_DEP_3) | instskip(NEXT) | instid1(VALU_DEP_2)
	v_fmac_f32_e32 v106, v108, v102
	v_cndmask_b32_e64 v103, v103, v107, s4
	s_delay_alu instid0(VALU_DEP_2) | instskip(SKIP_1) | instid1(VALU_DEP_2)
	v_fma_f32 v101, -v101, v106, v104
	v_cmp_eq_u32_e64 s4, 5, v74
	v_div_fmas_f32 v101, v101, v102, v106
	s_delay_alu instid0(VALU_DEP_2) | instskip(SKIP_2) | instid1(VALU_DEP_3)
	v_cndmask_b32_e64 v103, v103, v105, s4
	v_cmp_eq_u32_e32 vcc_lo, 6, v74
	s_mov_b32 s4, exec_lo
	v_div_fixup_f32 v100, v101, v100, 1.0
	s_delay_alu instid0(VALU_DEP_3) | instskip(SKIP_1) | instid1(VALU_DEP_2)
	v_cndmask_b32_e32 v90, v103, v90, vcc_lo
	v_cmp_eq_u32_e32 vcc_lo, 7, v74
	v_cndmask_b32_e32 v90, v90, v99, vcc_lo
	s_delay_alu instid0(VALU_DEP_1) | instskip(NEXT) | instid1(VALU_DEP_1)
	v_mul_f32_e32 v90, v90, v100
	v_mul_f32_e32 v100, v90, v92
	;; [unrolled: 1-line block ×6, first 2 shown]
	v_and_b32_e32 v101, 0x7f800000, v100
	v_mul_f32_e32 v99, v90, v95
	v_mul_f32_e32 v95, v90, v91
	;; [unrolled: 1-line block ×3, first 2 shown]
                                        ; implicit-def: $vgpr91
	s_delay_alu instid0(VALU_DEP_4)
	v_cmpx_ne_u32_e32 0x7f800000, v101
	s_xor_b32 s4, exec_lo, s4
; %bb.15:
	v_bfe_u32 v91, v100, 16, 1
	s_delay_alu instid0(VALU_DEP_1)
	v_add3_u32 v91, v100, v91, 0x7fff
                                        ; implicit-def: $vgpr100
; %bb.16:
	s_and_not1_saveexec_b32 s4, s4
; %bb.17:
	v_and_b32_e32 v91, 0xffff, v100
	v_or_b32_e32 v93, 0x10000, v100
	s_delay_alu instid0(VALU_DEP_2) | instskip(NEXT) | instid1(VALU_DEP_2)
	v_cmp_eq_u32_e32 vcc_lo, 0, v91
	v_cndmask_b32_e32 v91, v93, v100, vcc_lo
; %bb.18:
	s_or_b32 exec_lo, exec_lo, s4
	v_and_b32_e32 v93, 0x7f800000, v95
	s_delay_alu instid0(VALU_DEP_1) | instskip(SKIP_1) | instid1(SALU_CYCLE_1)
	v_cmp_ne_u32_e32 vcc_lo, 0x7f800000, v93
                                        ; implicit-def: $vgpr93
	s_and_saveexec_b32 s4, vcc_lo
	s_xor_b32 s4, exec_lo, s4
; %bb.19:
	v_bfe_u32 v93, v95, 16, 1
	s_delay_alu instid0(VALU_DEP_1)
	v_add3_u32 v93, v95, v93, 0x7fff
                                        ; implicit-def: $vgpr95
; %bb.20:
	s_and_not1_saveexec_b32 s4, s4
; %bb.21:
	v_and_b32_e32 v93, 0xffff, v95
	v_or_b32_e32 v100, 0x10000, v95
	s_delay_alu instid0(VALU_DEP_2) | instskip(NEXT) | instid1(VALU_DEP_2)
	v_cmp_eq_u32_e32 vcc_lo, 0, v93
	v_cndmask_b32_e32 v93, v100, v95, vcc_lo
; %bb.22:
	s_or_b32 exec_lo, exec_lo, s4
	v_and_b32_e32 v95, 0x7f800000, v96
	s_delay_alu instid0(VALU_DEP_1) | instskip(SKIP_1) | instid1(SALU_CYCLE_1)
	v_cmp_ne_u32_e32 vcc_lo, 0x7f800000, v95
                                        ; implicit-def: $vgpr95
	s_and_saveexec_b32 s4, vcc_lo
	s_xor_b32 s4, exec_lo, s4
; %bb.23:
	v_bfe_u32 v95, v96, 16, 1
	s_delay_alu instid0(VALU_DEP_1)
	v_add3_u32 v95, v96, v95, 0x7fff
                                        ; implicit-def: $vgpr96
; %bb.24:
	s_and_not1_saveexec_b32 s4, s4
; %bb.25:
	v_and_b32_e32 v95, 0xffff, v96
	v_or_b32_e32 v100, 0x10000, v96
	s_delay_alu instid0(VALU_DEP_2) | instskip(NEXT) | instid1(VALU_DEP_2)
	v_cmp_eq_u32_e32 vcc_lo, 0, v95
	v_cndmask_b32_e32 v95, v100, v96, vcc_lo
; %bb.26:
	s_or_b32 exec_lo, exec_lo, s4
	v_and_b32_e32 v96, 0x7f800000, v99
	s_delay_alu instid0(VALU_DEP_1) | instskip(SKIP_1) | instid1(SALU_CYCLE_1)
	v_cmp_ne_u32_e32 vcc_lo, 0x7f800000, v96
                                        ; implicit-def: $vgpr96
	s_and_saveexec_b32 s4, vcc_lo
	s_xor_b32 s4, exec_lo, s4
; %bb.27:
	v_bfe_u32 v96, v99, 16, 1
	s_delay_alu instid0(VALU_DEP_1)
	v_add3_u32 v96, v99, v96, 0x7fff
                                        ; implicit-def: $vgpr99
; %bb.28:
	s_and_not1_saveexec_b32 s4, s4
; %bb.29:
	v_and_b32_e32 v96, 0xffff, v99
	v_or_b32_e32 v100, 0x10000, v99
	s_delay_alu instid0(VALU_DEP_2) | instskip(NEXT) | instid1(VALU_DEP_2)
	v_cmp_eq_u32_e32 vcc_lo, 0, v96
	v_cndmask_b32_e32 v96, v100, v99, vcc_lo
; %bb.30:
	s_or_b32 exec_lo, exec_lo, s4
	v_and_b32_e32 v99, 0x7f800000, v98
	s_delay_alu instid0(VALU_DEP_1) | instskip(SKIP_1) | instid1(SALU_CYCLE_1)
	v_cmp_ne_u32_e32 vcc_lo, 0x7f800000, v99
                                        ; implicit-def: $vgpr99
	s_and_saveexec_b32 s4, vcc_lo
	s_xor_b32 s4, exec_lo, s4
; %bb.31:
	v_bfe_u32 v99, v98, 16, 1
	s_delay_alu instid0(VALU_DEP_1)
	v_add3_u32 v99, v98, v99, 0x7fff
                                        ; implicit-def: $vgpr98
; %bb.32:
	s_and_not1_saveexec_b32 s4, s4
; %bb.33:
	v_and_b32_e32 v99, 0xffff, v98
	v_or_b32_e32 v100, 0x10000, v98
	s_delay_alu instid0(VALU_DEP_2) | instskip(NEXT) | instid1(VALU_DEP_2)
	v_cmp_eq_u32_e32 vcc_lo, 0, v99
	v_cndmask_b32_e32 v99, v100, v98, vcc_lo
; %bb.34:
	s_or_b32 exec_lo, exec_lo, s4
	v_and_b32_e32 v98, 0x7f800000, v97
	s_delay_alu instid0(VALU_DEP_1) | instskip(SKIP_1) | instid1(SALU_CYCLE_1)
	v_cmp_ne_u32_e32 vcc_lo, 0x7f800000, v98
                                        ; implicit-def: $vgpr98
	s_and_saveexec_b32 s4, vcc_lo
	s_xor_b32 s4, exec_lo, s4
; %bb.35:
	v_bfe_u32 v98, v97, 16, 1
	s_delay_alu instid0(VALU_DEP_1)
	v_add3_u32 v98, v97, v98, 0x7fff
                                        ; implicit-def: $vgpr97
; %bb.36:
	s_and_not1_saveexec_b32 s4, s4
; %bb.37:
	v_and_b32_e32 v98, 0xffff, v97
	v_or_b32_e32 v100, 0x10000, v97
	s_delay_alu instid0(VALU_DEP_2) | instskip(NEXT) | instid1(VALU_DEP_2)
	v_cmp_eq_u32_e32 vcc_lo, 0, v98
	v_cndmask_b32_e32 v98, v100, v97, vcc_lo
; %bb.38:
	s_or_b32 exec_lo, exec_lo, s4
	v_and_b32_e32 v97, 0x7f800000, v94
	s_delay_alu instid0(VALU_DEP_1) | instskip(SKIP_1) | instid1(SALU_CYCLE_1)
	v_cmp_ne_u32_e32 vcc_lo, 0x7f800000, v97
                                        ; implicit-def: $vgpr97
	s_and_saveexec_b32 s4, vcc_lo
	s_xor_b32 s4, exec_lo, s4
; %bb.39:
	v_bfe_u32 v97, v94, 16, 1
	s_delay_alu instid0(VALU_DEP_1)
	v_add3_u32 v97, v94, v97, 0x7fff
                                        ; implicit-def: $vgpr94
; %bb.40:
	s_and_not1_saveexec_b32 s4, s4
; %bb.41:
	v_and_b32_e32 v97, 0xffff, v94
	v_or_b32_e32 v100, 0x10000, v94
	s_delay_alu instid0(VALU_DEP_2) | instskip(NEXT) | instid1(VALU_DEP_2)
	v_cmp_eq_u32_e32 vcc_lo, 0, v97
	v_cndmask_b32_e32 v97, v100, v94, vcc_lo
; %bb.42:
	s_or_b32 exec_lo, exec_lo, s4
	v_and_b32_e32 v94, 0x7f800000, v92
	s_delay_alu instid0(VALU_DEP_1) | instskip(SKIP_1) | instid1(SALU_CYCLE_1)
	v_cmp_ne_u32_e32 vcc_lo, 0x7f800000, v94
                                        ; implicit-def: $vgpr94
	s_and_saveexec_b32 s4, vcc_lo
	s_xor_b32 s4, exec_lo, s4
; %bb.43:
	v_bfe_u32 v94, v92, 16, 1
	s_delay_alu instid0(VALU_DEP_1)
	v_add3_u32 v94, v92, v94, 0x7fff
                                        ; implicit-def: $vgpr92
; %bb.44:
	s_and_not1_saveexec_b32 s4, s4
; %bb.45:
	v_and_b32_e32 v94, 0xffff, v92
	v_or_b32_e32 v100, 0x10000, v92
	s_delay_alu instid0(VALU_DEP_2) | instskip(NEXT) | instid1(VALU_DEP_2)
	v_cmp_eq_u32_e32 vcc_lo, 0, v94
	v_cndmask_b32_e32 v94, v100, v92, vcc_lo
; %bb.46:
	s_or_b32 exec_lo, exec_lo, s4
	s_load_b64 s[36:37], s[0:1], 0x94
	v_lshlrev_b32_e32 v92, 4, v83
	s_delay_alu instid0(VALU_DEP_2)
	v_perm_b32 v100, v94, v97, 0x7060302
	v_dual_mul_f32 v89, v90, v89 :: v_dual_lshlrev_b32 v94, 11, v74
	v_perm_b32 v97, v93, v91, 0x7060302
	v_mul_f32_e32 v93, v90, v77
	v_perm_b32 v99, v98, v99, 0x7060302
	v_perm_b32 v98, v96, v95, 0x7060302
	v_or3_b32 v77, v92, v94, v85
	v_mul_f32_e32 v88, v90, v88
	v_dual_mul_f32 v87, v90, v87 :: v_dual_and_b32 v94, 0x7f800000, v93
	v_mul_f32_e32 v86, v90, v86
	v_mul_f32_e32 v91, v90, v80
	;; [unrolled: 1-line block ×4, first 2 shown]
	s_mov_b32 s4, exec_lo
	ds_store_b128 v77, v[97:100]
                                        ; implicit-def: $vgpr78
	v_cmpx_ne_u32_e32 0x7f800000, v94
	s_xor_b32 s4, exec_lo, s4
; %bb.47:
	v_bfe_u32 v78, v93, 16, 1
	s_delay_alu instid0(VALU_DEP_1)
	v_add3_u32 v78, v93, v78, 0x7fff
                                        ; implicit-def: $vgpr93
; %bb.48:
	s_and_not1_saveexec_b32 s4, s4
; %bb.49:
	v_and_b32_e32 v78, 0xffff, v93
	v_or_b32_e32 v79, 0x10000, v93
	s_delay_alu instid0(VALU_DEP_2) | instskip(NEXT) | instid1(VALU_DEP_2)
	v_cmp_eq_u32_e32 vcc_lo, 0, v78
	v_cndmask_b32_e32 v78, v79, v93, vcc_lo
; %bb.50:
	s_or_b32 exec_lo, exec_lo, s4
	v_and_b32_e32 v79, 0x7f800000, v80
	s_delay_alu instid0(VALU_DEP_1) | instskip(SKIP_1) | instid1(SALU_CYCLE_1)
	v_cmp_ne_u32_e32 vcc_lo, 0x7f800000, v79
                                        ; implicit-def: $vgpr79
	s_and_saveexec_b32 s4, vcc_lo
	s_xor_b32 s4, exec_lo, s4
; %bb.51:
	v_bfe_u32 v79, v80, 16, 1
	s_delay_alu instid0(VALU_DEP_1)
	v_add3_u32 v79, v80, v79, 0x7fff
                                        ; implicit-def: $vgpr80
; %bb.52:
	s_and_not1_saveexec_b32 s4, s4
; %bb.53:
	v_and_b32_e32 v79, 0xffff, v80
	v_or_b32_e32 v90, 0x10000, v80
	s_delay_alu instid0(VALU_DEP_2) | instskip(NEXT) | instid1(VALU_DEP_2)
	v_cmp_eq_u32_e32 vcc_lo, 0, v79
	v_cndmask_b32_e32 v79, v90, v80, vcc_lo
; %bb.54:
	s_or_b32 exec_lo, exec_lo, s4
	v_and_b32_e32 v80, 0x7f800000, v92
	s_delay_alu instid0(VALU_DEP_1) | instskip(SKIP_1) | instid1(SALU_CYCLE_1)
	v_cmp_ne_u32_e32 vcc_lo, 0x7f800000, v80
                                        ; implicit-def: $vgpr80
	s_and_saveexec_b32 s4, vcc_lo
	s_xor_b32 s4, exec_lo, s4
; %bb.55:
	v_bfe_u32 v80, v92, 16, 1
	s_delay_alu instid0(VALU_DEP_1)
	v_add3_u32 v80, v92, v80, 0x7fff
                                        ; implicit-def: $vgpr92
; %bb.56:
	s_and_not1_saveexec_b32 s4, s4
; %bb.57:
	v_and_b32_e32 v80, 0xffff, v92
	v_or_b32_e32 v90, 0x10000, v92
	s_delay_alu instid0(VALU_DEP_2) | instskip(NEXT) | instid1(VALU_DEP_2)
	v_cmp_eq_u32_e32 vcc_lo, 0, v80
	v_cndmask_b32_e32 v80, v90, v92, vcc_lo
; %bb.58:
	s_or_b32 exec_lo, exec_lo, s4
	v_and_b32_e32 v90, 0x7f800000, v91
	s_delay_alu instid0(VALU_DEP_1) | instskip(SKIP_1) | instid1(SALU_CYCLE_1)
	v_cmp_ne_u32_e32 vcc_lo, 0x7f800000, v90
                                        ; implicit-def: $vgpr90
	s_and_saveexec_b32 s4, vcc_lo
	s_xor_b32 s4, exec_lo, s4
; %bb.59:
	v_bfe_u32 v90, v91, 16, 1
	s_delay_alu instid0(VALU_DEP_1)
	v_add3_u32 v90, v91, v90, 0x7fff
                                        ; implicit-def: $vgpr91
; %bb.60:
	s_and_not1_saveexec_b32 s4, s4
; %bb.61:
	v_and_b32_e32 v90, 0xffff, v91
	v_or_b32_e32 v92, 0x10000, v91
	s_delay_alu instid0(VALU_DEP_2) | instskip(NEXT) | instid1(VALU_DEP_2)
	v_cmp_eq_u32_e32 vcc_lo, 0, v90
	v_cndmask_b32_e32 v90, v92, v91, vcc_lo
; %bb.62:
	s_or_b32 exec_lo, exec_lo, s4
	v_and_b32_e32 v91, 0x7f800000, v86
	s_delay_alu instid0(VALU_DEP_1) | instskip(SKIP_1) | instid1(SALU_CYCLE_1)
	v_cmp_ne_u32_e32 vcc_lo, 0x7f800000, v91
                                        ; implicit-def: $vgpr91
	s_and_saveexec_b32 s4, vcc_lo
	s_xor_b32 s4, exec_lo, s4
; %bb.63:
	v_bfe_u32 v91, v86, 16, 1
	s_delay_alu instid0(VALU_DEP_1)
	v_add3_u32 v91, v86, v91, 0x7fff
                                        ; implicit-def: $vgpr86
; %bb.64:
	s_and_not1_saveexec_b32 s4, s4
; %bb.65:
	v_and_b32_e32 v91, 0xffff, v86
	v_or_b32_e32 v92, 0x10000, v86
	s_delay_alu instid0(VALU_DEP_2) | instskip(NEXT) | instid1(VALU_DEP_2)
	v_cmp_eq_u32_e32 vcc_lo, 0, v91
	v_cndmask_b32_e32 v91, v92, v86, vcc_lo
; %bb.66:
	s_or_b32 exec_lo, exec_lo, s4
	v_and_b32_e32 v86, 0x7f800000, v87
	s_delay_alu instid0(VALU_DEP_1) | instskip(SKIP_1) | instid1(SALU_CYCLE_1)
	v_cmp_ne_u32_e32 vcc_lo, 0x7f800000, v86
                                        ; implicit-def: $vgpr86
	s_and_saveexec_b32 s4, vcc_lo
	s_xor_b32 s4, exec_lo, s4
; %bb.67:
	v_bfe_u32 v86, v87, 16, 1
	s_delay_alu instid0(VALU_DEP_1)
	v_add3_u32 v86, v87, v86, 0x7fff
                                        ; implicit-def: $vgpr87
; %bb.68:
	s_and_not1_saveexec_b32 s4, s4
; %bb.69:
	v_and_b32_e32 v86, 0xffff, v87
	v_or_b32_e32 v92, 0x10000, v87
	s_delay_alu instid0(VALU_DEP_2) | instskip(NEXT) | instid1(VALU_DEP_2)
	v_cmp_eq_u32_e32 vcc_lo, 0, v86
	v_cndmask_b32_e32 v86, v92, v87, vcc_lo
; %bb.70:
	s_or_b32 exec_lo, exec_lo, s4
	v_and_b32_e32 v87, 0x7f800000, v88
	s_delay_alu instid0(VALU_DEP_1) | instskip(SKIP_1) | instid1(SALU_CYCLE_1)
	v_cmp_ne_u32_e32 vcc_lo, 0x7f800000, v87
                                        ; implicit-def: $vgpr87
	s_and_saveexec_b32 s4, vcc_lo
	s_xor_b32 s4, exec_lo, s4
; %bb.71:
	v_bfe_u32 v87, v88, 16, 1
	s_delay_alu instid0(VALU_DEP_1)
	v_add3_u32 v87, v88, v87, 0x7fff
                                        ; implicit-def: $vgpr88
; %bb.72:
	s_and_not1_saveexec_b32 s4, s4
; %bb.73:
	v_and_b32_e32 v87, 0xffff, v88
	v_or_b32_e32 v92, 0x10000, v88
	s_delay_alu instid0(VALU_DEP_2) | instskip(NEXT) | instid1(VALU_DEP_2)
	v_cmp_eq_u32_e32 vcc_lo, 0, v87
	v_cndmask_b32_e32 v87, v92, v88, vcc_lo
; %bb.74:
	s_or_b32 exec_lo, exec_lo, s4
	v_and_b32_e32 v88, 0x7f800000, v89
	s_delay_alu instid0(VALU_DEP_1) | instskip(SKIP_1) | instid1(SALU_CYCLE_1)
	v_cmp_ne_u32_e32 vcc_lo, 0x7f800000, v88
                                        ; implicit-def: $vgpr88
	s_and_saveexec_b32 s4, vcc_lo
	s_xor_b32 s4, exec_lo, s4
; %bb.75:
	v_bfe_u32 v88, v89, 16, 1
	s_delay_alu instid0(VALU_DEP_1)
	v_add3_u32 v88, v89, v88, 0x7fff
                                        ; implicit-def: $vgpr89
; %bb.76:
	s_and_not1_saveexec_b32 s4, s4
; %bb.77:
	v_and_b32_e32 v88, 0xffff, v89
	v_or_b32_e32 v92, 0x10000, v89
	s_delay_alu instid0(VALU_DEP_2) | instskip(NEXT) | instid1(VALU_DEP_2)
	v_cmp_eq_u32_e32 vcc_lo, 0, v88
	v_cndmask_b32_e32 v88, v92, v89, vcc_lo
; %bb.78:
	s_or_b32 exec_lo, exec_lo, s4
	s_delay_alu instid0(VALU_DEP_1)
	v_perm_b32 v89, v88, v87, 0x7060302
	v_perm_b32 v88, v86, v91, 0x7060302
	;; [unrolled: 1-line block ×4, first 2 shown]
	v_lshl_or_b32 v90, v74, 11, v85
	ds_store_b128 v77, v[86:89] offset:1024
	s_waitcnt lgkmcnt(0)
	s_barrier
	buffer_gl0_inv
	ds_load_b128 v[91:94], v90
	ds_load_b128 v[95:98], v90 offset:16
	v_lshlrev_b32_e32 v87, 2, v83
	s_delay_alu instid0(VALU_DEP_1)
	v_or_b32_e32 v88, 1, v87
	v_cmp_eq_u32_e32 vcc_lo, 1, v87
	v_cmp_eq_u32_e64 s5, 2, v87
	v_cmp_eq_u32_e64 s8, 3, v87
	;; [unrolled: 1-line block ×6, first 2 shown]
	v_or_b32_e32 v86, 2, v87
	v_cmp_eq_u32_e64 s11, 5, v87
	v_cmp_eq_u32_e64 s12, 4, v88
	v_cmp_eq_u32_e64 s13, 6, v87
	v_cmp_eq_u32_e64 s15, 5, v88
	s_waitcnt lgkmcnt(1)
	v_lshrrev_b32_e32 v74, 16, v91
	s_waitcnt lgkmcnt(0)
	v_lshrrev_b32_e32 v103, 16, v95
	v_lshrrev_b32_e32 v80, 16, v94
	;; [unrolled: 1-line block ×4, first 2 shown]
	v_cndmask_b32_e32 v89, v91, v74, vcc_lo
	v_cndmask_b32_e32 v99, v95, v103, vcc_lo
	v_cndmask_b32_e64 v100, v91, v74, s4
	v_lshrrev_b32_e32 v79, 16, v93
	v_lshrrev_b32_e32 v108, 16, v97
	v_cndmask_b32_e64 v89, v89, v92, s5
	v_cndmask_b32_e64 v99, v99, v96, s5
	;; [unrolled: 1-line block ×4, first 2 shown]
	v_cmp_eq_u32_e64 s6, 1, v86
	v_cndmask_b32_e64 v89, v89, v78, s8
	v_cndmask_b32_e64 v99, v99, v107, s8
	;; [unrolled: 1-line block ×4, first 2 shown]
	v_lshrrev_b32_e32 v109, 16, v98
	v_cndmask_b32_e64 v89, v89, v93, s10
	v_cndmask_b32_e64 v99, v99, v97, s10
	;; [unrolled: 1-line block ×8, first 2 shown]
	v_cmp_eq_u32_e64 s16, 7, v87
	v_cmp_eq_u32_e64 s17, 6, v88
	v_cndmask_b32_e64 v89, v89, v94, s13
	v_cndmask_b32_e64 v99, v99, v98, s13
	v_cmp_eq_u32_e64 s18, 2, v86
	v_cndmask_b32_e64 v101, v101, v97, s12
	v_cndmask_b32_e64 v100, v100, v94, s17
	;; [unrolled: 1-line block ×6, first 2 shown]
	v_cmp_eq_u32_e64 s19, 7, v88
	v_cmp_eq_u32_e64 s20, 3, v86
	;; [unrolled: 1-line block ×4, first 2 shown]
	v_cndmask_b32_e64 v99, v99, v96, s18
	v_cndmask_b32_e64 v112, v100, v80, s19
	;; [unrolled: 1-line block ×4, first 2 shown]
	v_or_b32_e32 v89, 3, v87
	v_cndmask_b32_e64 v105, v99, v107, s20
	v_cmp_eq_u32_e64 s25, 6, v86
	v_cndmask_b32_e64 v113, v100, v98, s17
	v_cndmask_b32_e64 v104, v101, v93, s21
	ds_load_b128 v[99:102], v90 offset:1024
	v_cmp_eq_u32_e64 s22, 1, v89
	v_cmp_eq_u32_e64 s24, 2, v89
	;; [unrolled: 1-line block ×3, first 2 shown]
	v_cndmask_b32_e64 v114, v104, v79, s23
	v_cmp_eq_u32_e64 s27, 4, v89
	v_cndmask_b32_e64 v74, v91, v74, s22
	v_cndmask_b32_e64 v91, v105, v97, s21
	;; [unrolled: 1-line block ×3, first 2 shown]
	ds_load_b128 v[103:106], v90 offset:1040
	v_cmp_eq_u32_e64 s29, 5, v89
	v_cndmask_b32_e64 v74, v74, v92, s24
	v_cndmask_b32_e64 v91, v91, v108, s23
	;; [unrolled: 1-line block ×3, first 2 shown]
	v_cmp_eq_u32_e64 s30, 6, v89
	v_cndmask_b32_e64 v95, v113, v109, s19
	v_cndmask_b32_e64 v74, v74, v78, s26
	;; [unrolled: 1-line block ×5, first 2 shown]
	s_waitcnt lgkmcnt(1)
	v_lshrrev_b32_e32 v96, 16, v99
	v_cndmask_b32_e64 v74, v74, v93, s27
	v_lshrrev_b32_e32 v107, 16, v100
	v_cndmask_b32_e64 v92, v92, v97, s27
	v_cmp_eq_u32_e64 s28, 7, v86
	v_cndmask_b32_e32 v93, v99, v96, vcc_lo
	v_cndmask_b32_e64 v74, v74, v79, s29
	s_delay_alu instid0(VALU_DEP_4)
	v_cndmask_b32_e64 v79, v92, v108, s29
	s_waitcnt lgkmcnt(0)
	v_lshrrev_b32_e32 v97, 16, v103
	v_cndmask_b32_e64 v92, v93, v100, s5
	v_cndmask_b32_e64 v93, v99, v96, s4
	v_cndmask_b32_e64 v74, v74, v94, s30
	v_cndmask_b32_e64 v79, v79, v98, s30
	v_cndmask_b32_e32 v108, v103, v97, vcc_lo
	v_cndmask_b32_e64 v92, v92, v107, s8
	v_cndmask_b32_e64 v93, v93, v100, s7
	v_lshrrev_b32_e32 v98, 16, v104
	v_cmp_eq_u32_e32 vcc_lo, 7, v89
	v_cndmask_b32_e64 v94, v108, v104, s5
	v_cndmask_b32_e64 v92, v92, v101, s10
	v_lshrrev_b32_e32 v108, 16, v101
	v_cndmask_b32_e64 v93, v93, v107, s9
	v_cndmask_b32_e32 v74, v74, v80, vcc_lo
	v_cndmask_b32_e64 v94, v94, v98, s8
	v_cndmask_b32_e32 v79, v79, v109, vcc_lo
	v_cndmask_b32_e64 v92, v92, v108, s11
	v_cndmask_b32_e64 v78, v78, v80, s28
	;; [unrolled: 1-line block ×4, first 2 shown]
	v_perm_b32 v94, v79, v74, 0x5040100
	v_cndmask_b32_e64 v79, v92, v102, s13
	v_perm_b32 v92, v95, v112, 0x5040100
	v_cndmask_b32_e64 v95, v99, v96, s6
	v_cndmask_b32_e64 v96, v99, v96, s22
	;; [unrolled: 1-line block ×16, first 2 shown]
	v_lshrrev_b32_e32 v109, 16, v105
	v_cndmask_b32_e64 v95, v95, v101, s21
	v_cndmask_b32_e64 v96, v96, v101, s27
	;; [unrolled: 1-line block ×6, first 2 shown]
	v_lshrrev_b32_e32 v80, 16, v102
	v_cndmask_b32_e64 v113, v93, v109, s11
	v_cndmask_b32_e64 v95, v95, v108, s23
	;; [unrolled: 1-line block ×6, first 2 shown]
	v_perm_b32 v93, v91, v78, 0x5040100
	v_cndmask_b32_e64 v74, v74, v102, s17
	v_cndmask_b32_e64 v78, v79, v80, s16
	;; [unrolled: 1-line block ×3, first 2 shown]
	v_lshrrev_b32_e32 v91, 16, v106
	v_cndmask_b32_e64 v95, v95, v102, s25
	v_cndmask_b32_e64 v96, v96, v102, s30
	;; [unrolled: 1-line block ×7, first 2 shown]
	v_cndmask_b32_e32 v80, v96, v80, vcc_lo
	v_cndmask_b32_e32 v96, v98, v91, vcc_lo
	v_cndmask_b32_e64 v99, v99, v91, s28
	v_cndmask_b32_e64 v100, v97, v91, s19
	;; [unrolled: 1-line block ×3, first 2 shown]
	v_perm_b32 v91, v111, v110, 0x5040100
	v_perm_b32 v98, v96, v80, 0x5040100
	;; [unrolled: 1-line block ×5, first 2 shown]
	s_mul_i32 s9, s37, 13
	s_mov_b32 s4, exec_lo
	ds_store_b128 v77, v[91:94]
	ds_store_b128 v77, v[95:98] offset:1024
	v_cmpx_gt_u32_e32 13, v0
	s_cbranch_execz .LBB510_80
; %bb.79:
	s_mul_i32 s5, s9, s34
	s_load_b128 s[16:19], s[0:1], 0x58
	v_add3_u32 v77, s5, s31, v73
	s_delay_alu instid0(VALU_DEP_1) | instskip(NEXT) | instid1(VALU_DEP_1)
	v_mad_u64_u32 v[73:74], null, v77, s36, s[14:15]
	v_ashrrev_i32_e32 v74, 31, v73
	s_delay_alu instid0(VALU_DEP_1) | instskip(SKIP_1) | instid1(VALU_DEP_1)
	v_lshlrev_b64 v[73:74], 2, v[73:74]
	s_waitcnt lgkmcnt(0)
	v_add_co_u32 v77, vcc_lo, s18, v73
	s_delay_alu instid0(VALU_DEP_2)
	v_add_co_ci_u32_e32 v78, vcc_lo, s19, v74, vcc_lo
	v_add_co_u32 v73, vcc_lo, s16, v73
	v_add_co_ci_u32_e32 v74, vcc_lo, s17, v74, vcc_lo
	global_store_b32 v[77:78], v75, off
	global_store_b32 v[73:74], v76, off
.LBB510_80:
	s_or_b32 exec_lo, exec_lo, s4
	s_waitcnt lgkmcnt(0)
	s_waitcnt_vscnt null, 0x0
	s_barrier
	buffer_gl0_inv
	ds_load_b128 v[91:94], v85
	ds_load_b128 v[95:98], v85 offset:16
	ds_load_b128 v[103:106], v85 offset:1040
	;; [unrolled: 1-line block ×3, first 2 shown]
	v_mov_b32_e32 v73, 0
	ds_load_b128 v[111:114], v85 offset:2064
	ds_load_b128 v[107:110], v85 offset:2048
	;; [unrolled: 1-line block ×6, first 2 shown]
	v_mov_b32_e32 v74, v73
	v_mov_b32_e32 v75, v73
	;; [unrolled: 1-line block ×7, first 2 shown]
	s_waitcnt lgkmcnt(8)
	s_delay_alu instid0(VALU_DEP_1)
	v_wmma_f32_16x16x16_bf16 v[73:80], v[65:72], v[91:98], v[73:80]
	ds_load_b128 v[69:72], v85 offset:5136
	ds_load_b128 v[65:68], v85 offset:5120
	;; [unrolled: 1-line block ×4, first 2 shown]
	s_waitcnt lgkmcnt(10)
	v_wmma_f32_16x16x16_bf16 v[73:80], v[57:64], v[99:106], v[73:80]
	s_waitcnt lgkmcnt(8)
	s_delay_alu instid0(VALU_DEP_1)
	v_wmma_f32_16x16x16_bf16 v[73:80], v[57:64], v[107:114], v[73:80]
	ds_load_b128 v[61:64], v85 offset:7184
	ds_load_b128 v[57:60], v85 offset:7168
	;; [unrolled: 1-line block ×4, first 2 shown]
	s_waitcnt lgkmcnt(10)
	v_wmma_f32_16x16x16_bf16 v[73:80], v[49:56], v[115:122], v[73:80]
	s_waitcnt lgkmcnt(8)
	s_delay_alu instid0(VALU_DEP_1)
	v_wmma_f32_16x16x16_bf16 v[73:80], v[49:56], v[123:130], v[73:80]
	ds_load_b128 v[53:56], v85 offset:9232
	ds_load_b128 v[49:52], v85 offset:9216
	s_waitcnt lgkmcnt(8)
	v_wmma_f32_16x16x16_bf16 v[73:80], v[41:48], v[65:72], v[73:80]
	ds_load_b128 v[69:72], v85 offset:10256
	ds_load_b128 v[65:68], v85 offset:10240
	s_waitcnt lgkmcnt(8)
	;; [unrolled: 4-line block ×3, first 2 shown]
	v_wmma_f32_16x16x16_bf16 v[73:80], v[9:16], v[57:64], v[73:80]
	s_waitcnt lgkmcnt(6)
	s_delay_alu instid0(VALU_DEP_1)
	v_wmma_f32_16x16x16_bf16 v[73:80], v[9:16], v[99:106], v[73:80]
	ds_load_b128 v[13:16], v85 offset:12304
	ds_load_b128 v[9:12], v85 offset:12288
	s_waitcnt lgkmcnt(6)
	v_wmma_f32_16x16x16_bf16 v[73:80], v[1:8], v[49:56], v[73:80]
	ds_load_b128 v[53:56], v85 offset:13328
	ds_load_b128 v[49:52], v85 offset:13312
	s_waitcnt lgkmcnt(6)
	;; [unrolled: 4-line block ×4, first 2 shown]
	v_wmma_f32_16x16x16_bf16 v[73:80], v[33:40], v[9:16], v[73:80]
	s_waitcnt lgkmcnt(4)
	s_delay_alu instid0(VALU_DEP_1) | instskip(SKIP_1) | instid1(VALU_DEP_1)
	v_wmma_f32_16x16x16_bf16 v[73:80], v[25:32], v[49:56], v[73:80]
	s_waitcnt lgkmcnt(2)
	v_wmma_f32_16x16x16_bf16 v[73:80], v[25:32], v[1:8], v[73:80]
	s_waitcnt lgkmcnt(0)
	s_delay_alu instid0(VALU_DEP_1) | instskip(NEXT) | instid1(VALU_DEP_1)
	v_wmma_f32_16x16x16_bf16 v[73:80], v[17:24], v[41:48], v[73:80]
	v_and_b32_e32 v1, 0x7f800000, v73
	s_delay_alu instid0(VALU_DEP_1) | instskip(SKIP_1) | instid1(SALU_CYCLE_1)
	v_cmp_ne_u32_e32 vcc_lo, 0x7f800000, v1
                                        ; implicit-def: $vgpr1
	s_and_saveexec_b32 s4, vcc_lo
	s_xor_b32 s4, exec_lo, s4
; %bb.81:
	v_bfe_u32 v1, v73, 16, 1
	s_delay_alu instid0(VALU_DEP_1)
	v_add3_u32 v1, v73, v1, 0x7fff
; %bb.82:
	s_and_not1_saveexec_b32 s4, s4
; %bb.83:
	v_and_b32_e32 v1, 0xffff, v73
	v_or_b32_e32 v2, 0x10000, v73
	s_delay_alu instid0(VALU_DEP_2) | instskip(NEXT) | instid1(VALU_DEP_2)
	v_cmp_eq_u32_e32 vcc_lo, 0, v1
	v_cndmask_b32_e32 v1, v2, v73, vcc_lo
; %bb.84:
	s_or_b32 exec_lo, exec_lo, s4
	v_and_b32_e32 v2, 0x7f800000, v74
	s_delay_alu instid0(VALU_DEP_1) | instskip(SKIP_1) | instid1(SALU_CYCLE_1)
	v_cmp_ne_u32_e32 vcc_lo, 0x7f800000, v2
                                        ; implicit-def: $vgpr2
	s_and_saveexec_b32 s4, vcc_lo
	s_xor_b32 s4, exec_lo, s4
; %bb.85:
	v_bfe_u32 v2, v74, 16, 1
	s_delay_alu instid0(VALU_DEP_1)
	v_add3_u32 v2, v74, v2, 0x7fff
; %bb.86:
	s_and_not1_saveexec_b32 s4, s4
; %bb.87:
	v_and_b32_e32 v2, 0xffff, v74
	v_or_b32_e32 v3, 0x10000, v74
	s_delay_alu instid0(VALU_DEP_2) | instskip(NEXT) | instid1(VALU_DEP_2)
	v_cmp_eq_u32_e32 vcc_lo, 0, v2
	v_cndmask_b32_e32 v2, v3, v74, vcc_lo
; %bb.88:
	s_or_b32 exec_lo, exec_lo, s4
	v_and_b32_e32 v3, 0x7f800000, v75
	s_delay_alu instid0(VALU_DEP_1) | instskip(SKIP_1) | instid1(SALU_CYCLE_1)
	v_cmp_ne_u32_e32 vcc_lo, 0x7f800000, v3
                                        ; implicit-def: $vgpr3
	s_and_saveexec_b32 s4, vcc_lo
	s_xor_b32 s4, exec_lo, s4
; %bb.89:
	v_bfe_u32 v3, v75, 16, 1
	s_delay_alu instid0(VALU_DEP_1)
	v_add3_u32 v3, v75, v3, 0x7fff
; %bb.90:
	s_and_not1_saveexec_b32 s4, s4
; %bb.91:
	v_and_b32_e32 v3, 0xffff, v75
	v_or_b32_e32 v4, 0x10000, v75
	s_delay_alu instid0(VALU_DEP_2) | instskip(NEXT) | instid1(VALU_DEP_2)
	v_cmp_eq_u32_e32 vcc_lo, 0, v3
	v_cndmask_b32_e32 v3, v4, v75, vcc_lo
; %bb.92:
	s_or_b32 exec_lo, exec_lo, s4
	v_and_b32_e32 v4, 0x7f800000, v76
	s_delay_alu instid0(VALU_DEP_1) | instskip(SKIP_1) | instid1(SALU_CYCLE_1)
	v_cmp_ne_u32_e32 vcc_lo, 0x7f800000, v4
                                        ; implicit-def: $vgpr4
	s_and_saveexec_b32 s4, vcc_lo
	s_xor_b32 s4, exec_lo, s4
; %bb.93:
	v_bfe_u32 v4, v76, 16, 1
	s_delay_alu instid0(VALU_DEP_1)
	v_add3_u32 v4, v76, v4, 0x7fff
; %bb.94:
	s_and_not1_saveexec_b32 s4, s4
; %bb.95:
	v_and_b32_e32 v4, 0xffff, v76
	v_or_b32_e32 v5, 0x10000, v76
	s_delay_alu instid0(VALU_DEP_2) | instskip(NEXT) | instid1(VALU_DEP_2)
	v_cmp_eq_u32_e32 vcc_lo, 0, v4
	v_cndmask_b32_e32 v4, v5, v76, vcc_lo
; %bb.96:
	s_or_b32 exec_lo, exec_lo, s4
	v_and_b32_e32 v5, 0x7f800000, v77
	s_delay_alu instid0(VALU_DEP_1) | instskip(SKIP_1) | instid1(SALU_CYCLE_1)
	v_cmp_ne_u32_e32 vcc_lo, 0x7f800000, v5
                                        ; implicit-def: $vgpr5
	s_and_saveexec_b32 s4, vcc_lo
	s_xor_b32 s4, exec_lo, s4
; %bb.97:
	v_bfe_u32 v5, v77, 16, 1
	s_delay_alu instid0(VALU_DEP_1)
	v_add3_u32 v5, v77, v5, 0x7fff
; %bb.98:
	s_and_not1_saveexec_b32 s4, s4
; %bb.99:
	v_and_b32_e32 v5, 0xffff, v77
	v_or_b32_e32 v6, 0x10000, v77
	s_delay_alu instid0(VALU_DEP_2) | instskip(NEXT) | instid1(VALU_DEP_2)
	v_cmp_eq_u32_e32 vcc_lo, 0, v5
	v_cndmask_b32_e32 v5, v6, v77, vcc_lo
; %bb.100:
	s_or_b32 exec_lo, exec_lo, s4
	v_and_b32_e32 v6, 0x7f800000, v78
	s_delay_alu instid0(VALU_DEP_1) | instskip(SKIP_1) | instid1(SALU_CYCLE_1)
	v_cmp_ne_u32_e32 vcc_lo, 0x7f800000, v6
                                        ; implicit-def: $vgpr6
	s_and_saveexec_b32 s4, vcc_lo
	s_xor_b32 s4, exec_lo, s4
; %bb.101:
	v_bfe_u32 v6, v78, 16, 1
	s_delay_alu instid0(VALU_DEP_1)
	v_add3_u32 v6, v78, v6, 0x7fff
; %bb.102:
	s_and_not1_saveexec_b32 s4, s4
; %bb.103:
	v_and_b32_e32 v6, 0xffff, v78
	v_or_b32_e32 v7, 0x10000, v78
	s_delay_alu instid0(VALU_DEP_2) | instskip(NEXT) | instid1(VALU_DEP_2)
	v_cmp_eq_u32_e32 vcc_lo, 0, v6
	v_cndmask_b32_e32 v6, v7, v78, vcc_lo
; %bb.104:
	s_or_b32 exec_lo, exec_lo, s4
	v_and_b32_e32 v7, 0x7f800000, v79
	s_delay_alu instid0(VALU_DEP_1) | instskip(SKIP_1) | instid1(SALU_CYCLE_1)
	v_cmp_ne_u32_e32 vcc_lo, 0x7f800000, v7
                                        ; implicit-def: $vgpr7
	s_and_saveexec_b32 s4, vcc_lo
	s_xor_b32 s4, exec_lo, s4
; %bb.105:
	v_bfe_u32 v7, v79, 16, 1
	s_delay_alu instid0(VALU_DEP_1)
	v_add3_u32 v7, v79, v7, 0x7fff
; %bb.106:
	s_and_not1_saveexec_b32 s4, s4
; %bb.107:
	v_and_b32_e32 v7, 0xffff, v79
	v_or_b32_e32 v8, 0x10000, v79
	s_delay_alu instid0(VALU_DEP_2) | instskip(NEXT) | instid1(VALU_DEP_2)
	v_cmp_eq_u32_e32 vcc_lo, 0, v7
	v_cndmask_b32_e32 v7, v8, v79, vcc_lo
; %bb.108:
	s_or_b32 exec_lo, exec_lo, s4
	v_and_b32_e32 v8, 0x7f800000, v80
	s_delay_alu instid0(VALU_DEP_1) | instskip(SKIP_1) | instid1(SALU_CYCLE_1)
	v_cmp_ne_u32_e32 vcc_lo, 0x7f800000, v8
                                        ; implicit-def: $vgpr8
	s_and_saveexec_b32 s4, vcc_lo
	s_xor_b32 s4, exec_lo, s4
; %bb.109:
	v_bfe_u32 v8, v80, 16, 1
	s_delay_alu instid0(VALU_DEP_1)
	v_add3_u32 v8, v80, v8, 0x7fff
                                        ; implicit-def: $vgpr73_vgpr74_vgpr75_vgpr76_vgpr77_vgpr78_vgpr79_vgpr80
; %bb.110:
	s_and_not1_saveexec_b32 s4, s4
; %bb.111:
	v_and_b32_e32 v8, 0xffff, v80
	v_or_b32_e32 v9, 0x10000, v80
	s_delay_alu instid0(VALU_DEP_2) | instskip(NEXT) | instid1(VALU_DEP_2)
	v_cmp_eq_u32_e32 vcc_lo, 0, v8
	v_cndmask_b32_e32 v8, v9, v80, vcc_lo
; %bb.112:
	s_or_b32 exec_lo, exec_lo, s4
	s_delay_alu instid0(VALU_DEP_1)
	v_perm_b32 v7, v8, v7, 0x7060302
	v_perm_b32 v6, v6, v5, 0x7060302
	;; [unrolled: 1-line block ×4, first 2 shown]
	v_lshl_or_b32 v9, v83, 4, v90
	s_barrier
	buffer_gl0_inv
	v_cmp_eq_u32_e32 vcc_lo, 1, v87
	ds_store_b128 v9, v[4:7]
	s_waitcnt lgkmcnt(0)
	s_barrier
	buffer_gl0_inv
	ds_load_b128 v[1:4], v90
	ds_load_b128 v[5:8], v90 offset:16
	v_cmp_eq_u32_e64 s5, 2, v87
	v_cmp_eq_u32_e64 s4, 1, v88
	;; [unrolled: 1-line block ×5, first 2 shown]
	s_waitcnt lgkmcnt(1)
	v_lshrrev_b32_e32 v10, 16, v1
	s_waitcnt lgkmcnt(0)
	v_lshrrev_b32_e32 v14, 16, v5
	v_lshrrev_b32_e32 v15, 16, v6
	;; [unrolled: 1-line block ×4, first 2 shown]
	v_cndmask_b32_e64 v20, v1, v10, s4
	v_cndmask_b32_e32 v19, v5, v14, vcc_lo
	v_cndmask_b32_e64 v21, v5, v14, s4
	v_lshrrev_b32_e32 v16, 16, v7
	v_cmp_eq_u32_e64 s4, 1, v86
	v_lshrrev_b32_e32 v13, 16, v4
	v_cndmask_b32_e64 v19, v19, v6, s5
	v_lshrrev_b32_e32 v17, 16, v8
	s_delay_alu instid0(VALU_DEP_4) | instskip(SKIP_1) | instid1(VALU_DEP_4)
	v_cndmask_b32_e64 v22, v1, v10, s4
	v_cndmask_b32_e64 v23, v5, v14, s4
	;; [unrolled: 1-line block ×3, first 2 shown]
	v_cndmask_b32_e32 v18, v1, v10, vcc_lo
	v_cmp_eq_u32_e32 vcc_lo, 2, v88
	v_cmp_eq_u32_e64 s4, 2, v89
	v_cndmask_b32_e64 v22, v22, v2, s8
	v_cndmask_b32_e32 v20, v20, v2, vcc_lo
	v_cndmask_b32_e32 v21, v21, v6, vcc_lo
	v_cmp_eq_u32_e32 vcc_lo, 4, v87
	v_cndmask_b32_e32 v19, v19, v7, vcc_lo
	v_cndmask_b32_e64 v18, v18, v2, s5
	v_cmp_eq_u32_e64 s5, 3, v88
	s_delay_alu instid0(VALU_DEP_2) | instskip(NEXT) | instid1(VALU_DEP_2)
	v_cndmask_b32_e64 v18, v18, v11, s6
	v_cndmask_b32_e64 v21, v21, v15, s5
	v_cmp_eq_u32_e64 s6, 5, v87
	s_delay_alu instid0(VALU_DEP_3) | instskip(SKIP_1) | instid1(VALU_DEP_3)
	v_cndmask_b32_e32 v18, v18, v3, vcc_lo
	v_cmp_eq_u32_e32 vcc_lo, 4, v88
	v_cndmask_b32_e64 v19, v19, v16, s6
	s_delay_alu instid0(VALU_DEP_3) | instskip(SKIP_4) | instid1(VALU_DEP_3)
	v_cndmask_b32_e64 v18, v18, v12, s6
	v_cndmask_b32_e32 v21, v21, v7, vcc_lo
	v_cndmask_b32_e64 v20, v20, v11, s5
	v_cmp_eq_u32_e64 s5, 5, v88
	v_cmp_eq_u32_e64 s6, 6, v87
	v_cndmask_b32_e32 v20, v20, v3, vcc_lo
	s_delay_alu instid0(VALU_DEP_3) | instskip(SKIP_1) | instid1(VALU_DEP_4)
	v_cndmask_b32_e64 v21, v21, v16, s5
	v_cmp_eq_u32_e32 vcc_lo, 6, v88
	v_cndmask_b32_e64 v18, v18, v4, s6
	v_cndmask_b32_e64 v19, v19, v8, s6
	;; [unrolled: 1-line block ×3, first 2 shown]
	v_cmp_eq_u32_e64 s5, 1, v89
	v_cmp_eq_u32_e64 s6, 7, v87
	s_delay_alu instid0(VALU_DEP_3) | instskip(NEXT) | instid1(VALU_DEP_3)
	v_cndmask_b32_e32 v20, v20, v4, vcc_lo
	v_cndmask_b32_e64 v1, v1, v10, s5
	v_cndmask_b32_e64 v5, v5, v14, s5
	v_cmp_eq_u32_e64 s5, 3, v86
	v_cndmask_b32_e64 v14, v23, v6, s8
	v_cmp_eq_u32_e64 s8, 3, v89
	v_cndmask_b32_e64 v1, v1, v2, s4
	v_cndmask_b32_e64 v2, v5, v6, s4
	;; [unrolled: 1-line block ×3, first 2 shown]
	v_cmp_eq_u32_e64 s4, 4, v86
	v_cndmask_b32_e64 v6, v14, v15, s5
	v_cndmask_b32_e64 v1, v1, v11, s8
	v_cmp_eq_u32_e64 s5, 4, v89
	v_cndmask_b32_e64 v2, v2, v15, s8
	v_cndmask_b32_e64 v5, v10, v3, s4
	;; [unrolled: 3-line block ×3, first 2 shown]
	v_cndmask_b32_e64 v2, v2, v7, s5
	v_cmp_eq_u32_e64 s4, 5, v89
	v_cndmask_b32_e64 v5, v5, v12, s8
	v_cmp_eq_u32_e64 s5, 6, v86
	;; [unrolled: 2-line block ×3, first 2 shown]
	v_cndmask_b32_e64 v1, v1, v12, s4
	v_cndmask_b32_e64 v2, v2, v16, s4
	;; [unrolled: 1-line block ×4, first 2 shown]
	v_cmp_eq_u32_e64 s4, 7, v89
	v_cndmask_b32_e64 v1, v1, v4, s8
	v_cndmask_b32_e64 v2, v2, v8, s8
	v_cmp_eq_u32_e64 s5, 7, v86
	v_cndmask_b32_e32 v4, v21, v8, vcc_lo
	v_cndmask_b32_e64 v18, v18, v13, s6
	v_cndmask_b32_e64 v20, v20, v13, s7
	;; [unrolled: 1-line block ×8, first 2 shown]
	v_cmp_gt_u32_e32 vcc_lo, 32, v0
	v_perm_b32 v4, v2, v1, 0x5040100
	v_perm_b32 v3, v3, v5, 0x5040100
	v_perm_b32 v2, v6, v20, 0x5040100
	v_perm_b32 v1, v7, v18, 0x5040100
	s_and_b32 s2, vcc_lo, s2
	ds_store_b128 v9, v[1:4]
	s_waitcnt lgkmcnt(0)
	s_barrier
	buffer_gl0_inv
	s_and_saveexec_b32 s4, s2
	s_cbranch_execz .LBB510_2
; %bb.113:
	s_load_b64 s[4:5], s[0:1], 0x68
	v_lshlrev_b32_e32 v0, 10, v0
	v_lshlrev_b32_e32 v1, 4, v84
	s_lshl_b32 s0, s36, 6
	v_add_nc_u32_e32 v18, s31, v83
	s_mul_i32 s1, s0, s34
	s_delay_alu instid0(VALU_DEP_2) | instskip(SKIP_1) | instid1(VALU_DEP_2)
	v_and_or_b32 v0, 0x3800, v0, v1
	s_mul_i32 s6, s1, s9
	v_mul_lo_u32 v1, v18, s0
	s_ashr_i32 s7, s6, 31
	v_add_nc_u32_e32 v2, 2, v18
	v_lshl_or_b32 v19, v83, 6, v0
	s_lshl_b64 s[6:7], s[6:7], 1
	v_add_nc_u32_e32 v8, 4, v18
	v_add_nc_u32_e32 v15, 6, v18
	v_mul_lo_u32 v7, v2, s0
	ds_load_b128 v[3:6], v19
	v_ashrrev_i32_e32 v2, 31, v1
	v_mul_lo_u32 v11, v8, s0
	s_waitcnt lgkmcnt(0)
	s_add_u32 s1, s4, s6
	s_addc_u32 s2, s5, s7
	s_lshl_b32 s4, s14, 6
	v_lshlrev_b64 v[9:10], 1, v[1:2]
	s_ashr_i32 s5, s4, 31
	v_ashrrev_i32_e32 v8, 31, v7
	s_lshl_b64 s[4:5], s[4:5], 1
	v_ashrrev_i32_e32 v12, 31, v11
	s_add_u32 s1, s1, s4
	s_addc_u32 s2, s2, s5
	v_add_co_u32 v1, vcc_lo, s1, v81
	v_add_co_ci_u32_e32 v2, vcc_lo, s2, v82, vcc_lo
	v_mul_lo_u32 v15, v15, s0
	s_delay_alu instid0(VALU_DEP_3) | instskip(NEXT) | instid1(VALU_DEP_3)
	v_add_co_u32 v13, vcc_lo, v1, v9
	v_add_co_ci_u32_e32 v14, vcc_lo, v2, v10, vcc_lo
	v_lshlrev_b64 v[16:17], 1, v[7:8]
	ds_load_b128 v[7:10], v19 offset:128
	global_store_b128 v[13:14], v[3:6], off
	v_add_nc_u32_e32 v5, 8, v18
	v_lshlrev_b64 v[3:4], 1, v[11:12]
	v_add_co_u32 v23, vcc_lo, v1, v16
	v_ashrrev_i32_e32 v16, 31, v15
	s_delay_alu instid0(VALU_DEP_4) | instskip(SKIP_3) | instid1(VALU_DEP_3)
	v_mul_lo_u32 v25, v5, s0
	v_add_nc_u32_e32 v5, 10, v18
	v_add_co_ci_u32_e32 v24, vcc_lo, v2, v17, vcc_lo
	v_add_co_u32 v27, vcc_lo, v1, v3
	v_mul_lo_u32 v29, v5, s0
	v_add_co_ci_u32_e32 v28, vcc_lo, v2, v4, vcc_lo
	v_lshlrev_b64 v[31:32], 1, v[15:16]
	ds_load_b128 v[3:6], v19 offset:256
	ds_load_b128 v[11:14], v19 offset:384
	;; [unrolled: 1-line block ×4, first 2 shown]
	v_ashrrev_i32_e32 v26, 31, v25
	v_ashrrev_i32_e32 v30, 31, v29
	v_add_co_u32 v31, vcc_lo, v1, v31
	s_delay_alu instid0(VALU_DEP_3) | instskip(SKIP_1) | instid1(VALU_DEP_4)
	v_lshlrev_b64 v[25:26], 1, v[25:26]
	v_add_co_ci_u32_e32 v32, vcc_lo, v2, v32, vcc_lo
	v_lshlrev_b64 v[29:30], 1, v[29:30]
	s_delay_alu instid0(VALU_DEP_3) | instskip(NEXT) | instid1(VALU_DEP_4)
	v_add_co_u32 v25, vcc_lo, v1, v25
	v_add_co_ci_u32_e32 v26, vcc_lo, v2, v26, vcc_lo
	s_delay_alu instid0(VALU_DEP_3) | instskip(NEXT) | instid1(VALU_DEP_4)
	v_add_co_u32 v29, vcc_lo, v1, v29
	v_add_co_ci_u32_e32 v30, vcc_lo, v2, v30, vcc_lo
	s_waitcnt lgkmcnt(4)
	global_store_b128 v[23:24], v[7:10], off
	s_waitcnt lgkmcnt(3)
	global_store_b128 v[27:28], v[3:6], off
	s_waitcnt lgkmcnt(2)
	global_store_b128 v[31:32], v[11:14], off
	s_waitcnt lgkmcnt(1)
	global_store_b128 v[25:26], v[15:18], off
	s_waitcnt lgkmcnt(0)
	global_store_b128 v[29:30], v[19:22], off
	s_and_b32 exec_lo, exec_lo, s3
	s_cbranch_execz .LBB510_2
; %bb.114:
	ds_load_b128 v[3:6], v0 offset:768
	s_add_i32 s1, s31, 12
	s_delay_alu instid0(SALU_CYCLE_1) | instskip(NEXT) | instid1(SALU_CYCLE_1)
	s_mul_i32 s0, s1, s0
	s_ashr_i32 s1, s0, 31
	s_delay_alu instid0(SALU_CYCLE_1) | instskip(NEXT) | instid1(SALU_CYCLE_1)
	s_lshl_b64 s[0:1], s[0:1], 1
	v_add_co_u32 v0, vcc_lo, v1, s0
	v_add_co_ci_u32_e32 v1, vcc_lo, s1, v2, vcc_lo
	s_waitcnt lgkmcnt(0)
	global_store_b128 v[0:1], v[3:6], off
	s_nop 0
	s_sendmsg sendmsg(MSG_DEALLOC_VGPRS)
	s_endpgm
	.section	.rodata,"a",@progbits
	.p2align	6, 0x0
	.amdhsa_kernel _Z39paged_attention_ll4mi_QKV_mfma16_kernelI14__hip_bfloat16S0_LN4vllm18Fp8KVCacheDataTypeE0EhLi32ELi64ELi256ELb1ELi13EL8MFMAType0EEvPKT_PKT0_S9_ifPKiSB_SB_iPKfiiiPfSE_PS4_PT2_iSD_SD_
		.amdhsa_group_segment_fixed_size 17472
		.amdhsa_private_segment_fixed_size 0
		.amdhsa_kernarg_size 400
		.amdhsa_user_sgpr_count 13
		.amdhsa_user_sgpr_dispatch_ptr 0
		.amdhsa_user_sgpr_queue_ptr 0
		.amdhsa_user_sgpr_kernarg_segment_ptr 1
		.amdhsa_user_sgpr_dispatch_id 0
		.amdhsa_user_sgpr_private_segment_size 0
		.amdhsa_wavefront_size32 1
		.amdhsa_uses_dynamic_stack 0
		.amdhsa_enable_private_segment 0
		.amdhsa_system_sgpr_workgroup_id_x 1
		.amdhsa_system_sgpr_workgroup_id_y 1
		.amdhsa_system_sgpr_workgroup_id_z 1
		.amdhsa_system_sgpr_workgroup_info 0
		.amdhsa_system_vgpr_workitem_id 0
		.amdhsa_next_free_vgpr 142
		.amdhsa_next_free_sgpr 39
		.amdhsa_reserve_vcc 1
		.amdhsa_float_round_mode_32 0
		.amdhsa_float_round_mode_16_64 0
		.amdhsa_float_denorm_mode_32 3
		.amdhsa_float_denorm_mode_16_64 3
		.amdhsa_dx10_clamp 1
		.amdhsa_ieee_mode 1
		.amdhsa_fp16_overflow 0
		.amdhsa_workgroup_processor_mode 1
		.amdhsa_memory_ordered 1
		.amdhsa_forward_progress 0
		.amdhsa_shared_vgpr_count 0
		.amdhsa_exception_fp_ieee_invalid_op 0
		.amdhsa_exception_fp_denorm_src 0
		.amdhsa_exception_fp_ieee_div_zero 0
		.amdhsa_exception_fp_ieee_overflow 0
		.amdhsa_exception_fp_ieee_underflow 0
		.amdhsa_exception_fp_ieee_inexact 0
		.amdhsa_exception_int_div_zero 0
	.end_amdhsa_kernel
	.section	.text._Z39paged_attention_ll4mi_QKV_mfma16_kernelI14__hip_bfloat16S0_LN4vllm18Fp8KVCacheDataTypeE0EhLi32ELi64ELi256ELb1ELi13EL8MFMAType0EEvPKT_PKT0_S9_ifPKiSB_SB_iPKfiiiPfSE_PS4_PT2_iSD_SD_,"axG",@progbits,_Z39paged_attention_ll4mi_QKV_mfma16_kernelI14__hip_bfloat16S0_LN4vllm18Fp8KVCacheDataTypeE0EhLi32ELi64ELi256ELb1ELi13EL8MFMAType0EEvPKT_PKT0_S9_ifPKiSB_SB_iPKfiiiPfSE_PS4_PT2_iSD_SD_,comdat
.Lfunc_end510:
	.size	_Z39paged_attention_ll4mi_QKV_mfma16_kernelI14__hip_bfloat16S0_LN4vllm18Fp8KVCacheDataTypeE0EhLi32ELi64ELi256ELb1ELi13EL8MFMAType0EEvPKT_PKT0_S9_ifPKiSB_SB_iPKfiiiPfSE_PS4_PT2_iSD_SD_, .Lfunc_end510-_Z39paged_attention_ll4mi_QKV_mfma16_kernelI14__hip_bfloat16S0_LN4vllm18Fp8KVCacheDataTypeE0EhLi32ELi64ELi256ELb1ELi13EL8MFMAType0EEvPKT_PKT0_S9_ifPKiSB_SB_iPKfiiiPfSE_PS4_PT2_iSD_SD_
                                        ; -- End function
	.section	.AMDGPU.csdata,"",@progbits
; Kernel info:
; codeLenInByte = 9588
; NumSgprs: 41
; NumVgprs: 142
; ScratchSize: 0
; MemoryBound: 0
; FloatMode: 240
; IeeeMode: 1
; LDSByteSize: 17472 bytes/workgroup (compile time only)
; SGPRBlocks: 5
; VGPRBlocks: 17
; NumSGPRsForWavesPerEU: 41
; NumVGPRsForWavesPerEU: 142
; Occupancy: 10
; WaveLimiterHint : 1
; COMPUTE_PGM_RSRC2:SCRATCH_EN: 0
; COMPUTE_PGM_RSRC2:USER_SGPR: 13
; COMPUTE_PGM_RSRC2:TRAP_HANDLER: 0
; COMPUTE_PGM_RSRC2:TGID_X_EN: 1
; COMPUTE_PGM_RSRC2:TGID_Y_EN: 1
; COMPUTE_PGM_RSRC2:TGID_Z_EN: 1
; COMPUTE_PGM_RSRC2:TIDIG_COMP_CNT: 0
	.section	.text._Z39paged_attention_ll4mi_QKV_mfma16_kernelI14__hip_bfloat16S0_LN4vllm18Fp8KVCacheDataTypeE0EhLi32ELi64ELi256ELb1ELi14EL8MFMAType0EEvPKT_PKT0_S9_ifPKiSB_SB_iPKfiiiPfSE_PS4_PT2_iSD_SD_,"axG",@progbits,_Z39paged_attention_ll4mi_QKV_mfma16_kernelI14__hip_bfloat16S0_LN4vllm18Fp8KVCacheDataTypeE0EhLi32ELi64ELi256ELb1ELi14EL8MFMAType0EEvPKT_PKT0_S9_ifPKiSB_SB_iPKfiiiPfSE_PS4_PT2_iSD_SD_,comdat
	.protected	_Z39paged_attention_ll4mi_QKV_mfma16_kernelI14__hip_bfloat16S0_LN4vllm18Fp8KVCacheDataTypeE0EhLi32ELi64ELi256ELb1ELi14EL8MFMAType0EEvPKT_PKT0_S9_ifPKiSB_SB_iPKfiiiPfSE_PS4_PT2_iSD_SD_ ; -- Begin function _Z39paged_attention_ll4mi_QKV_mfma16_kernelI14__hip_bfloat16S0_LN4vllm18Fp8KVCacheDataTypeE0EhLi32ELi64ELi256ELb1ELi14EL8MFMAType0EEvPKT_PKT0_S9_ifPKiSB_SB_iPKfiiiPfSE_PS4_PT2_iSD_SD_
	.globl	_Z39paged_attention_ll4mi_QKV_mfma16_kernelI14__hip_bfloat16S0_LN4vllm18Fp8KVCacheDataTypeE0EhLi32ELi64ELi256ELb1ELi14EL8MFMAType0EEvPKT_PKT0_S9_ifPKiSB_SB_iPKfiiiPfSE_PS4_PT2_iSD_SD_
	.p2align	8
	.type	_Z39paged_attention_ll4mi_QKV_mfma16_kernelI14__hip_bfloat16S0_LN4vllm18Fp8KVCacheDataTypeE0EhLi32ELi64ELi256ELb1ELi14EL8MFMAType0EEvPKT_PKT0_S9_ifPKiSB_SB_iPKfiiiPfSE_PS4_PT2_iSD_SD_,@function
_Z39paged_attention_ll4mi_QKV_mfma16_kernelI14__hip_bfloat16S0_LN4vllm18Fp8KVCacheDataTypeE0EhLi32ELi64ELi256ELb1ELi14EL8MFMAType0EEvPKT_PKT0_S9_ifPKiSB_SB_iPKfiiiPfSE_PS4_PT2_iSD_SD_: ; @_Z39paged_attention_ll4mi_QKV_mfma16_kernelI14__hip_bfloat16S0_LN4vllm18Fp8KVCacheDataTypeE0EhLi32ELi64ELi256ELb1ELi14EL8MFMAType0EEvPKT_PKT0_S9_ifPKiSB_SB_iPKfiiiPfSE_PS4_PT2_iSD_SD_
; %bb.0:
	s_load_b64 s[2:3], s[0:1], 0x30
	s_mov_b32 s30, s13
	s_waitcnt lgkmcnt(0)
	s_cmp_lg_u64 s[2:3], 0
	s_cselect_b32 s6, -1, 0
	s_ashr_i32 s31, s13, 31
	s_cmp_eq_u64 s[2:3], 0
	s_cbranch_scc1 .LBB511_3
; %bb.1:
	s_lshl_b64 s[4:5], s[30:31], 2
	s_delay_alu instid0(SALU_CYCLE_1) | instskip(SKIP_4) | instid1(SALU_CYCLE_1)
	s_add_u32 s4, s2, s4
	s_addc_u32 s5, s3, s5
	s_load_b64 s[4:5], s[4:5], 0x0
	s_waitcnt lgkmcnt(0)
	s_sub_i32 s4, s5, s4
	s_cmp_eq_u32 s4, 1
	s_cselect_b32 s4, -1, 0
	s_delay_alu instid0(SALU_CYCLE_1)
	s_and_not1_b32 vcc_lo, exec_lo, s4
	s_cbranch_vccz .LBB511_4
.LBB511_2:
	s_endpgm
.LBB511_3:
.LBB511_4:
	s_load_b64 s[8:9], s[0:1], 0x28
	s_lshl_b64 s[4:5], s[30:31], 2
	s_waitcnt lgkmcnt(0)
	s_add_u32 s8, s8, s4
	s_addc_u32 s9, s9, s5
	s_lshl_b32 s16, s14, 8
	s_load_b32 s18, s[8:9], 0x0
	s_waitcnt lgkmcnt(0)
	s_cmp_ge_i32 s16, s18
	s_cbranch_scc1 .LBB511_2
; %bb.5:
	s_and_not1_b32 vcc_lo, exec_lo, s6
	s_cbranch_vccnz .LBB511_7
; %bb.6:
	s_add_u32 s2, s2, s4
	s_addc_u32 s3, s3, s5
	s_load_b32 s17, s[2:3], 0x0
	s_branch .LBB511_8
.LBB511_7:
	s_mov_b32 s17, s30
.LBB511_8:
	s_clause 0x2
	s_load_b128 s[8:11], s[0:1], 0x8
	s_load_b64 s[12:13], s[0:1], 0x20
	s_load_b128 s[4:7], s[0:1], 0x48
	v_and_b32_e32 v73, 15, v0
	v_cmp_lt_u32_e32 vcc_lo, 0xdf, v0
	s_delay_alu instid0(VALU_DEP_2) | instskip(SKIP_2) | instid1(VALU_DEP_3)
	v_cmp_lt_u32_e64 s3, 7, v73
	v_lshlrev_b32_e32 v1, 3, v73
	v_cmp_gt_u32_e64 s2, 8, v73
	s_or_b32 s3, vcc_lo, s3
	s_waitcnt lgkmcnt(0)
	s_and_saveexec_b32 s7, s3
	s_delay_alu instid0(SALU_CYCLE_1)
	s_xor_b32 s3, exec_lo, s7
; %bb.9:
	v_mov_b32_e32 v2, 0
; %bb.10:
	s_or_saveexec_b32 s3, s3
	v_lshrrev_b32_e32 v74, 5, v0
	v_and_b32_e32 v75, 31, v0
	v_and_b32_e32 v84, 1, v0
	v_bfe_u32 v83, v0, 4, 1
	s_mul_i32 s31, s15, 14
	s_xor_b32 exec_lo, exec_lo, s3
	s_cbranch_execz .LBB511_12
; %bb.11:
	s_load_b64 s[20:21], s[0:1], 0x0
	v_lshl_or_b32 v7, v74, 1, v83
	s_mul_hi_i32 s23, s17, s4
	s_mul_i32 s22, s17, s4
	v_lshlrev_b32_e32 v4, 1, v1
	s_lshl_b64 s[22:23], s[22:23], 1
	v_add_lshl_u32 v2, v7, s31, 6
	v_lshlrev_b32_e32 v7, 6, v7
	v_lshlrev_b32_e32 v8, 10, v84
	s_delay_alu instid0(VALU_DEP_3) | instskip(NEXT) | instid1(VALU_DEP_1)
	v_ashrrev_i32_e32 v3, 31, v2
	v_lshlrev_b64 v[2:3], 1, v[2:3]
	s_waitcnt lgkmcnt(0)
	s_add_u32 s4, s20, s22
	s_addc_u32 s7, s21, s23
	s_delay_alu instid0(VALU_DEP_1) | instskip(NEXT) | instid1(VALU_DEP_2)
	v_add_co_u32 v2, vcc_lo, s4, v2
	v_add_co_ci_u32_e32 v3, vcc_lo, s7, v3, vcc_lo
	s_delay_alu instid0(VALU_DEP_2) | instskip(NEXT) | instid1(VALU_DEP_2)
	v_add_co_u32 v2, vcc_lo, v2, v4
	v_add_co_ci_u32_e32 v3, vcc_lo, 0, v3, vcc_lo
	global_load_b128 v[3:6], v[2:3], off
	v_lshlrev_b32_e32 v2, 10, v73
	s_delay_alu instid0(VALU_DEP_1) | instskip(NEXT) | instid1(VALU_DEP_1)
	v_and_b32_e32 v2, 0x3800, v2
	v_or3_b32 v7, v2, v8, v7
	v_mov_b32_e32 v2, 0
	s_waitcnt vmcnt(0)
	ds_store_b128 v7, v[3:6]
.LBB511_12:
	s_or_b32 exec_lo, exec_lo, s3
	v_and_b32_e32 v3, 0xef, v0
	s_add_i32 s3, s18, 31
	s_clause 0x1
	s_load_b32 s4, s[0:1], 0x38
	s_load_b32 s19, s[0:1], 0x1c
	s_ashr_i32 s7, s3, 31
	v_add_nc_u32_e32 v3, s16, v3
	s_lshr_b32 s7, s7, 27
	s_waitcnt lgkmcnt(0)
	s_add_i32 s3, s3, s7
	s_barrier
	v_ashrrev_i32_e32 v4, 31, v3
	v_cmp_gt_i32_e32 vcc_lo, s18, v3
	s_ashr_i32 s3, s3, 5
	buffer_gl0_inv
	s_add_i32 s3, s3, -1
	v_lshrrev_b32_e32 v5, 27, v4
	v_or_b32_e32 v4, 16, v3
	s_mul_i32 s6, s15, s6
	v_lshlrev_b64 v[81:82], 1, v[1:2]
	s_delay_alu instid0(VALU_DEP_3) | instskip(NEXT) | instid1(VALU_DEP_3)
	v_add_nc_u32_e32 v6, v3, v5
	v_add_nc_u32_e32 v5, v4, v5
	s_mul_i32 s20, s30, s4
	s_delay_alu instid0(SALU_CYCLE_1) | instskip(NEXT) | instid1(VALU_DEP_2)
	s_ashr_i32 s21, s20, 31
	v_ashrrev_i32_e32 v6, 5, v6
	s_delay_alu instid0(VALU_DEP_2) | instskip(SKIP_1) | instid1(SALU_CYCLE_1)
	v_ashrrev_i32_e32 v5, 5, v5
	s_lshl_b64 s[20:21], s[20:21], 2
	s_add_u32 s4, s12, s20
	s_delay_alu instid0(VALU_DEP_2) | instskip(SKIP_3) | instid1(SALU_CYCLE_1)
	v_cndmask_b32_e32 v3, s3, v6, vcc_lo
	v_cmp_gt_i32_e32 vcc_lo, s18, v4
	s_addc_u32 s17, s13, s21
	s_ashr_i32 s7, s6, 31
	s_lshl_b64 s[6:7], s[6:7], 1
	v_cndmask_b32_e32 v5, s3, v5, vcc_lo
	v_ashrrev_i32_e32 v4, 31, v3
	s_add_u32 s15, s8, s6
	s_addc_u32 s28, s9, s7
	s_lshl_b32 s8, s14, 3
	v_ashrrev_i32_e32 v6, 31, v5
	v_lshlrev_b64 v[3:4], 2, v[3:4]
	s_ashr_i32 s9, s8, 31
	s_delay_alu instid0(SALU_CYCLE_1) | instskip(NEXT) | instid1(VALU_DEP_2)
	s_lshl_b64 s[8:9], s[8:9], 2
	v_lshlrev_b64 v[5:6], 2, v[5:6]
	s_add_u32 s8, s4, s8
	s_delay_alu instid0(VALU_DEP_2) | instskip(SKIP_1) | instid1(VALU_DEP_3)
	v_add_co_u32 v3, vcc_lo, s4, v3
	v_add_co_ci_u32_e32 v4, vcc_lo, s17, v4, vcc_lo
	v_add_co_u32 v5, vcc_lo, s4, v5
	s_delay_alu instid0(VALU_DEP_4)
	v_add_co_ci_u32_e32 v6, vcc_lo, s17, v6, vcc_lo
	s_addc_u32 s9, s17, s9
	s_clause 0x1
	global_load_b32 v7, v[3:4], off
	global_load_b32 v8, v[5:6], off
	s_or_b32 s12, s16, 32
	s_delay_alu instid0(SALU_CYCLE_1) | instskip(SKIP_2) | instid1(SALU_CYCLE_1)
	s_ashr_i32 s13, s12, 5
	s_cmp_lt_i32 s12, s18
	s_cselect_b32 s12, s13, s3
	s_ashr_i32 s13, s12, 31
	s_delay_alu instid0(SALU_CYCLE_1) | instskip(NEXT) | instid1(SALU_CYCLE_1)
	s_lshl_b64 s[12:13], s[12:13], 2
	s_add_u32 s12, s4, s12
	s_addc_u32 s13, s17, s13
	s_or_b32 s20, s16, 64
	s_delay_alu instid0(SALU_CYCLE_1) | instskip(SKIP_2) | instid1(SALU_CYCLE_1)
	s_ashr_i32 s21, s20, 5
	s_cmp_lt_i32 s20, s18
	s_cselect_b32 s20, s21, s3
	s_ashr_i32 s21, s20, 31
	s_delay_alu instid0(SALU_CYCLE_1) | instskip(NEXT) | instid1(SALU_CYCLE_1)
	s_lshl_b64 s[20:21], s[20:21], 2
	s_add_u32 s20, s4, s20
	s_addc_u32 s21, s17, s21
	;; [unrolled: 10-line block ×5, first 2 shown]
	s_clause 0x5
	s_load_b32 s29, s[8:9], 0x0
	s_load_b32 s33, s[12:13], 0x0
	;; [unrolled: 1-line block ×6, first 2 shown]
	s_mov_b32 s20, 0
	s_or_b32 s8, s16, 0xc0
	s_mov_b32 s21, s20
	s_mov_b32 s22, s20
	;; [unrolled: 1-line block ×7, first 2 shown]
	s_ashr_i32 s9, s8, 5
	v_mov_b32_e32 v117, s27
	s_cmp_lt_i32 s8, s18
	v_mov_b32_e32 v116, s26
	s_cselect_b32 s8, s9, s3
	v_mov_b32_e32 v115, s25
	s_ashr_i32 s9, s8, 31
	v_dual_mov_b32 v114, s24 :: v_dual_mov_b32 v113, s23
	v_dual_mov_b32 v112, s22 :: v_dual_mov_b32 v111, s21
	s_lshl_b64 s[8:9], s[8:9], 2
	s_waitcnt lgkmcnt(0)
	s_mul_hi_i32 s13, s29, s5
	s_add_u32 s8, s4, s8
	s_addc_u32 s9, s17, s9
	s_mul_i32 s12, s29, s5
	v_mov_b32_e32 v110, s20
	s_mul_hi_i32 s21, s33, s5
	s_mul_i32 s20, s33, s5
	s_mul_hi_i32 s25, s34, s5
	s_mul_i32 s24, s34, s5
	s_mul_hi_i32 s27, s35, s5
	s_mul_i32 s26, s35, s5
	s_mul_hi_i32 s35, s37, s5
	s_mul_i32 s34, s37, s5
	s_waitcnt vmcnt(1)
	v_mad_i64_i32 v[3:4], null, v7, s5, 0
	s_waitcnt vmcnt(0)
	v_mad_i64_i32 v[5:6], null, v8, s5, 0
	s_delay_alu instid0(VALU_DEP_2) | instskip(NEXT) | instid1(VALU_DEP_2)
	v_lshlrev_b64 v[3:4], 1, v[3:4]
	v_lshlrev_b64 v[1:2], 1, v[5:6]
	s_delay_alu instid0(VALU_DEP_2) | instskip(NEXT) | instid1(VALU_DEP_3)
	v_add_co_u32 v3, vcc_lo, s15, v3
	v_add_co_ci_u32_e32 v4, vcc_lo, s28, v4, vcc_lo
	s_delay_alu instid0(VALU_DEP_3) | instskip(NEXT) | instid1(VALU_DEP_4)
	v_add_co_u32 v1, vcc_lo, s15, v1
	v_add_co_ci_u32_e32 v2, vcc_lo, s28, v2, vcc_lo
	s_delay_alu instid0(VALU_DEP_4) | instskip(NEXT) | instid1(VALU_DEP_4)
	v_add_co_u32 v41, vcc_lo, v3, v81
	v_add_co_ci_u32_e32 v42, vcc_lo, v4, v82, vcc_lo
	s_delay_alu instid0(VALU_DEP_4) | instskip(NEXT) | instid1(VALU_DEP_4)
	v_add_co_u32 v43, vcc_lo, v1, v81
	v_add_co_ci_u32_e32 v44, vcc_lo, v2, v82, vcc_lo
	s_clause 0xf
	global_load_b128 v[1:4], v[41:42], off
	global_load_b128 v[5:8], v[41:42], off offset:512
	global_load_b128 v[9:12], v[43:44], off offset:256
	global_load_b128 v[13:16], v[43:44], off offset:768
	global_load_b128 v[17:20], v[41:42], off offset:1024
	global_load_b128 v[21:24], v[41:42], off offset:1536
	global_load_b128 v[25:28], v[43:44], off offset:1280
	global_load_b128 v[29:32], v[43:44], off offset:1792
	global_load_b128 v[33:36], v[41:42], off offset:2048
	global_load_b128 v[37:40], v[41:42], off offset:2560
	global_load_b128 v[86:89], v[43:44], off offset:2304
	global_load_b128 v[90:93], v[43:44], off offset:2816
	global_load_b128 v[94:97], v[41:42], off offset:3072
	global_load_b128 v[98:101], v[41:42], off offset:3584
	global_load_b128 v[102:105], v[43:44], off offset:3328
	global_load_b128 v[106:109], v[43:44], off offset:3840
	v_add_nc_u32_e32 v41, -14, v73
	v_cmp_gt_u32_e32 vcc_lo, 14, v73
	s_or_b32 s15, s16, 0xe0
	s_delay_alu instid0(SALU_CYCLE_1) | instskip(SKIP_3) | instid1(SALU_CYCLE_1)
	s_ashr_i32 s22, s15, 5
	s_cmp_lt_i32 s15, s18
	v_cndmask_b32_e32 v41, v41, v73, vcc_lo
	s_cselect_b32 s22, s22, s3
	s_ashr_i32 s23, s22, 31
	s_delay_alu instid0(VALU_DEP_1)
	v_lshlrev_b32_e32 v57, 6, v41
	ds_load_b128 v[41:44], v57
	ds_load_b128 v[45:48], v57 offset:1024
	ds_load_b128 v[49:52], v57 offset:2048
	;; [unrolled: 1-line block ×7, first 2 shown]
	s_lshl_b64 s[22:23], s[22:23], 2
	s_delay_alu instid0(SALU_CYCLE_1) | instskip(SKIP_2) | instid1(SALU_CYCLE_1)
	s_add_u32 s22, s4, s22
	s_addc_u32 s23, s17, s23
	s_add_i32 s15, s16, 0x100
	s_ashr_i32 s28, s15, 5
	s_cmp_lt_i32 s15, s18
	s_load_b32 s15, s[8:9], 0x0
	s_cselect_b32 s28, s28, s3
	s_mul_hi_i32 s9, s36, s5
	s_ashr_i32 s29, s28, 31
	s_mul_i32 s8, s36, s5
	s_lshl_b64 s[28:29], s[28:29], 2
	s_delay_alu instid0(SALU_CYCLE_1)
	s_add_u32 s28, s4, s28
	s_addc_u32 s29, s17, s29
	s_add_u32 s3, s10, s6
	s_clause 0x1
	s_load_b32 s4, s[22:23], 0x0
	s_load_b32 s17, s[28:29], 0x0
	s_addc_u32 s28, s11, s7
	s_lshl_b64 s[6:7], s[12:13], 1
	s_lshl_b64 s[10:11], s[20:21], 1
	;; [unrolled: 1-line block ×6, first 2 shown]
	s_waitcnt lgkmcnt(0)
	s_mul_hi_i32 s25, s15, s5
	s_mul_i32 s24, s15, s5
	s_waitcnt vmcnt(14)
	v_wmma_f32_16x16x16_bf16 v[134:141], v[1:8], v[41:48], v[110:117]
	s_waitcnt vmcnt(10)
	s_delay_alu instid0(VALU_DEP_1) | instskip(SKIP_1) | instid1(VALU_DEP_1)
	v_wmma_f32_16x16x16_bf16 v[134:141], v[17:24], v[49:56], v[134:141]
	s_waitcnt vmcnt(6)
	v_wmma_f32_16x16x16_bf16 v[134:141], v[33:40], v[118:125], v[134:141]
	s_waitcnt vmcnt(2)
	s_delay_alu instid0(VALU_DEP_1) | instskip(SKIP_1) | instid1(VALU_DEP_2)
	v_wmma_f32_16x16x16_bf16 v[134:141], v[94:101], v[126:133], v[134:141]
	v_lshlrev_b32_e32 v85, 6, v73
	v_mul_f32_e32 v100, s19, v141
	s_delay_alu instid0(VALU_DEP_2) | instskip(SKIP_2) | instid1(VALU_DEP_3)
	v_lshl_or_b32 v58, v74, 10, v85
	v_wmma_f32_16x16x16_bf16 v[110:117], v[9:16], v[41:48], v[110:117]
	v_mul_f32_e32 v99, s19, v135
	v_add_co_u32 v76, s3, s3, v58
	s_delay_alu instid0(VALU_DEP_1) | instskip(NEXT) | instid1(VALU_DEP_4)
	v_add_co_ci_u32_e64 v77, null, s28, 0, s3
	v_wmma_f32_16x16x16_bf16 v[110:117], v[25:32], v[49:56], v[110:117]
	s_delay_alu instid0(VALU_DEP_3) | instskip(NEXT) | instid1(VALU_DEP_3)
	v_add_co_u32 v57, vcc_lo, v76, s6
	v_add_co_ci_u32_e32 v58, vcc_lo, s7, v77, vcc_lo
	v_add_co_u32 v1, vcc_lo, v76, s10
	v_add_co_ci_u32_e32 v2, vcc_lo, s11, v77, vcc_lo
	v_add_co_u32 v3, vcc_lo, v76, s12
	v_add_co_ci_u32_e32 v4, vcc_lo, s13, v77, vcc_lo
	v_add_co_u32 v5, vcc_lo, v76, s20
	v_add_co_ci_u32_e32 v6, vcc_lo, s21, v77, vcc_lo
	v_add_co_u32 v7, vcc_lo, v76, s8
	v_add_co_ci_u32_e32 v8, vcc_lo, s9, v77, vcc_lo
	s_clause 0x9
	global_load_b128 v[65:68], v[57:58], off
	global_load_b128 v[69:72], v[57:58], off offset:16
	global_load_b128 v[57:60], v[1:2], off
	global_load_b128 v[61:64], v[1:2], off offset:16
	global_load_b128 v[49:52], v[3:4], off
	global_load_b128 v[53:56], v[3:4], off offset:16
	global_load_b128 v[41:44], v[5:6], off
	global_load_b128 v[45:48], v[5:6], off offset:16
	global_load_b128 v[9:12], v[7:8], off
	global_load_b128 v[13:16], v[7:8], off offset:16
	v_add_co_u32 v5, vcc_lo, v76, s22
	s_lshl_b64 s[6:7], s[24:25], 1
	v_add_co_ci_u32_e32 v6, vcc_lo, s23, v77, vcc_lo
	s_mul_hi_i32 s9, s4, s5
	s_mul_i32 s8, s4, s5
	v_add_co_u32 v17, vcc_lo, v76, s6
	v_add_co_ci_u32_e32 v18, vcc_lo, s7, v77, vcc_lo
	s_lshl_b64 s[6:7], s[8:9], 1
	s_mul_hi_i32 s9, s17, s5
	s_mul_i32 s8, s17, s5
	v_add_co_u32 v19, vcc_lo, v76, s6
	s_lshl_b64 s[4:5], s[8:9], 1
	v_add_co_ci_u32_e32 v20, vcc_lo, s7, v77, vcc_lo
	v_add_co_u32 v21, vcc_lo, v76, s4
	v_add_co_ci_u32_e32 v22, vcc_lo, s5, v77, vcc_lo
	s_clause 0x7
	global_load_b128 v[1:4], v[5:6], off
	global_load_b128 v[5:8], v[5:6], off offset:16
	global_load_b128 v[33:36], v[17:18], off
	global_load_b128 v[37:40], v[17:18], off offset:16
	;; [unrolled: 2-line block ×4, first 2 shown]
	v_and_b32_e32 v76, 0xe0, v0
	v_mbcnt_lo_u32_b32 v77, -1, 0
	v_wmma_f32_16x16x16_bf16 v[110:117], v[86:93], v[118:125], v[110:117]
	s_waitcnt vmcnt(0)
	s_barrier
	v_add_nc_u32_e32 v76, s16, v76
	v_xor_b32_e32 v78, 16, v77
	v_wmma_f32_16x16x16_bf16 v[110:117], v[102:109], v[126:133], v[110:117]
	v_mul_f32_e32 v97, s19, v134
	buffer_gl0_inv
	v_or_b32_e32 v76, v76, v83
	v_cmp_gt_i32_e32 vcc_lo, 32, v78
	s_delay_alu instid0(VALU_DEP_2)
	v_or_b32_e32 v79, 4, v76
	v_cndmask_b32_e32 v77, v77, v78, vcc_lo
	v_or_b32_e32 v78, 2, v76
	v_or_b32_e32 v80, 6, v76
	v_cmp_gt_i32_e32 vcc_lo, s18, v76
	v_or_b32_e32 v86, 8, v76
	v_or_b32_e32 v87, 10, v76
	v_cmp_gt_i32_e64 s3, s18, v78
	v_or_b32_e32 v88, 12, v76
	v_or_b32_e32 v89, 14, v76
	;; [unrolled: 1-line block ×10, first 2 shown]
	v_cndmask_b32_e32 v76, 0xff7fffff, v97, vcc_lo
	v_cndmask_b32_e64 v78, 0xff7fffff, v99, s3
	v_mul_f32_e32 v99, s19, v137
	v_cmp_gt_i32_e64 s4, s18, v80
	v_mul_f32_e32 v80, s19, v136
	v_cmp_gt_i32_e64 s5, s18, v79
	v_max3_f32 v76, v76, 0xff7fffff, v78
	v_dual_mul_f32 v78, s19, v138 :: v_dual_mul_f32 v79, s19, v139
	v_cndmask_b32_e64 v99, 0xff7fffff, v99, s4
	s_delay_alu instid0(VALU_DEP_4)
	v_cndmask_b32_e64 v80, 0xff7fffff, v80, s5
	v_cmp_gt_i32_e64 s6, s18, v86
	v_cmp_gt_i32_e64 s7, s18, v87
	v_mul_f32_e32 v97, s19, v140
	v_cmp_gt_i32_e64 s8, s18, v89
	v_max3_f32 v76, v76, v80, v99
	v_cndmask_b32_e64 v78, 0xff7fffff, v78, s6
	v_cndmask_b32_e64 v79, 0xff7fffff, v79, s7
	v_cmp_gt_i32_e64 s9, s18, v88
	v_dual_mul_f32 v88, s19, v111 :: v_dual_mul_f32 v89, s19, v110
	v_cndmask_b32_e64 v100, 0xff7fffff, v100, s8
	s_delay_alu instid0(VALU_DEP_4) | instskip(NEXT) | instid1(VALU_DEP_4)
	v_max3_f32 v76, v76, v78, v79
	v_cndmask_b32_e64 v97, 0xff7fffff, v97, s9
	v_cmp_gt_i32_e64 s10, s18, v90
	v_cmp_gt_i32_e64 s11, s18, v91
	v_dual_mul_f32 v78, s19, v113 :: v_dual_mul_f32 v79, s19, v112
	s_delay_alu instid0(VALU_DEP_4) | instskip(NEXT) | instid1(VALU_DEP_4)
	v_max3_f32 v76, v76, v97, v100
	v_cndmask_b32_e64 v89, 0xff7fffff, v89, s10
	s_delay_alu instid0(VALU_DEP_4)
	v_cndmask_b32_e64 v88, 0xff7fffff, v88, s11
	v_cmp_gt_i32_e64 s12, s18, v92
	v_cmp_gt_i32_e64 s13, s18, v93
	v_mul_f32_e32 v87, s19, v115
	v_mul_f32_e32 v99, s19, v114
	v_max3_f32 v76, v76, v89, v88
	v_cndmask_b32_e64 v79, 0xff7fffff, v79, s12
	v_cndmask_b32_e64 v78, 0xff7fffff, v78, s13
	v_cmp_gt_i32_e64 s15, s18, v94
	v_cmp_gt_i32_e64 s16, s18, v95
	v_mul_f32_e32 v80, s19, v117
	v_mul_f32_e32 v86, s19, v116
	v_max3_f32 v76, v76, v79, v78
	v_cndmask_b32_e64 v88, 0xff7fffff, v99, s15
	v_cndmask_b32_e64 v87, 0xff7fffff, v87, s16
	v_cmp_gt_i32_e64 s17, s18, v96
	v_cmp_gt_i32_e64 s18, s18, v98
	v_lshlrev_b32_e32 v99, 2, v77
	s_delay_alu instid0(VALU_DEP_4) | instskip(NEXT) | instid1(VALU_DEP_4)
	v_max3_f32 v76, v76, v88, v87
	v_cndmask_b32_e64 v78, 0xff7fffff, v86, s17
	s_delay_alu instid0(VALU_DEP_4) | instskip(NEXT) | instid1(VALU_DEP_1)
	v_cndmask_b32_e64 v79, 0xff7fffff, v80, s18
	v_max3_f32 v76, v76, v78, v79
	ds_bpermute_b32 v77, v99, v76
	s_waitcnt lgkmcnt(0)
	v_max_f32_e32 v77, v77, v77
	s_delay_alu instid0(VALU_DEP_1) | instskip(NEXT) | instid1(VALU_DEP_1)
	v_max_f32_e32 v76, v76, v77
	v_fma_f32 v77, s19, v134, -v76
	v_fma_f32 v78, s19, v135, -v76
	;; [unrolled: 1-line block ×5, first 2 shown]
	s_delay_alu instid0(VALU_DEP_4) | instskip(SKIP_1) | instid1(VALU_DEP_4)
	v_dual_mul_f32 v77, 0x3fb8aa3b, v77 :: v_dual_mul_f32 v78, 0x3fb8aa3b, v78
	v_fma_f32 v88, s19, v114, -v76
	v_dual_mul_f32 v79, 0x3fb8aa3b, v79 :: v_dual_mul_f32 v80, 0x3fb8aa3b, v80
	s_delay_alu instid0(VALU_DEP_3) | instskip(NEXT) | instid1(VALU_DEP_3)
	v_exp_f32_e32 v77, v77
	v_exp_f32_e32 v78, v78
	s_delay_alu instid0(VALU_DEP_2) | instskip(NEXT) | instid1(VALU_DEP_2)
	v_mul_f32_e32 v88, 0x3fb8aa3b, v88
	v_exp_f32_e32 v79, v79
	v_mul_f32_e32 v86, 0x3fb8aa3b, v86
	v_exp_f32_e32 v80, v80
	v_fma_f32 v87, s19, v140, -v76
	v_fma_f32 v100, s19, v117, -v76
	;; [unrolled: 1-line block ×3, first 2 shown]
	v_exp_f32_e32 v86, v86
	v_cndmask_b32_e32 v92, 0, v77, vcc_lo
	v_fma_f32 v77, s19, v139, -v76
	v_cndmask_b32_e64 v91, 0, v78, s3
	v_cndmask_b32_e64 v93, 0, v79, s5
	v_fma_f32 v79, s19, v141, -v76
	s_delay_alu instid0(VALU_DEP_4) | instskip(SKIP_2) | instid1(TRANS32_DEP_1)
	v_dual_add_f32 v78, 0, v92 :: v_dual_mul_f32 v77, 0x3fb8aa3b, v77
	v_cndmask_b32_e64 v95, 0, v80, s4
	v_mul_f32_e32 v87, 0x3fb8aa3b, v87
	v_cndmask_b32_e64 v96, 0, v86, s6
	s_delay_alu instid0(VALU_DEP_4)
	v_add_f32_e32 v78, v78, v91
	v_exp_f32_e32 v77, v77
	v_fma_f32 v86, s19, v111, -v76
	v_fma_f32 v80, s19, v110, -v76
	v_exp_f32_e32 v87, v87
	v_add_f32_e32 v78, v78, v93
	v_mul_f32_e32 v100, 0x3fb8aa3b, v100
	v_mul_f32_e32 v86, 0x3fb8aa3b, v86
	v_mul_f32_e32 v80, 0x3fb8aa3b, v80
	v_exp_f32_e32 v88, v88
	v_add_f32_e32 v78, v78, v95
	v_cndmask_b32_e64 v97, 0, v77, s7
	v_exp_f32_e32 v86, v86
	v_exp_f32_e32 v80, v80
	v_cndmask_b32_e64 v94, 0, v87, s9
	v_add_f32_e32 v77, v78, v96
	v_fma_f32 v78, s19, v112, -v76
	v_fma_f32 v87, s19, v113, -v76
	v_exp_f32_e32 v100, v100
	s_mov_b32 s3, exec_lo
	s_delay_alu instid0(VALU_DEP_2) | instskip(NEXT) | instid1(VALU_DEP_2)
	v_dual_add_f32 v77, v77, v97 :: v_dual_mul_f32 v78, 0x3fb8aa3b, v78
	v_mul_f32_e32 v87, 0x3fb8aa3b, v87
	s_delay_alu instid0(VALU_DEP_2) | instskip(SKIP_2) | instid1(VALU_DEP_3)
	v_exp_f32_e32 v89, v78
	v_cndmask_b32_e64 v78, 0, v86, s11
	v_mul_f32_e32 v79, 0x3fb8aa3b, v79
	v_exp_f32_e32 v87, v87
	s_delay_alu instid0(VALU_DEP_1)
	v_exp_f32_e32 v79, v79
	s_waitcnt_depctr 0xfff
	v_cndmask_b32_e64 v98, 0, v79, s8
	v_add_f32_e32 v79, v77, v94
	v_cndmask_b32_e64 v77, 0, v80, s10
	v_fma_f32 v80, s19, v115, -v76
	s_delay_alu instid0(VALU_DEP_1) | instskip(NEXT) | instid1(VALU_DEP_1)
	v_dual_add_f32 v79, v79, v98 :: v_dual_mul_f32 v80, 0x3fb8aa3b, v80
	v_add_f32_e32 v86, v79, v77
	v_cndmask_b32_e64 v79, 0, v89, s12
	v_mul_f32_e32 v89, 0x3fb8aa3b, v90
	s_delay_alu instid0(VALU_DEP_4) | instskip(SKIP_2) | instid1(VALU_DEP_3)
	v_exp_f32_e32 v90, v80
	v_cndmask_b32_e64 v80, 0, v87, s13
	v_add_f32_e32 v86, v86, v78
	v_exp_f32_e32 v89, v89
	s_delay_alu instid0(VALU_DEP_1) | instskip(SKIP_1) | instid1(VALU_DEP_2)
	v_add_f32_e32 v87, v86, v79
	v_cndmask_b32_e64 v86, 0, v88, s15
	v_add_f32_e32 v88, v87, v80
	s_delay_alu instid0(TRANS32_DEP_2) | instskip(NEXT) | instid1(VALU_DEP_2)
	v_cndmask_b32_e64 v87, 0, v90, s16
	v_add_f32_e32 v90, v88, v86
	s_waitcnt_depctr 0xfff
	v_cndmask_b32_e64 v88, 0, v89, s17
	v_add_f32_e32 v89, v90, v87
	s_delay_alu instid0(VALU_DEP_1) | instskip(SKIP_1) | instid1(VALU_DEP_1)
	v_add_f32_e32 v90, v89, v88
	v_cndmask_b32_e64 v89, 0, v100, s18
	v_add_f32_e32 v90, v90, v89
	ds_bpermute_b32 v99, v99, v90
	v_cmpx_gt_u32_e32 16, v75
	s_cbranch_execz .LBB511_14
; %bb.13:
	v_mul_u32_u24_e32 v75, 0x44, v74
	s_waitcnt lgkmcnt(0)
	v_add_f32_e32 v90, v90, v99
	s_delay_alu instid0(VALU_DEP_2) | instskip(NEXT) | instid1(VALU_DEP_1)
	v_lshl_add_u32 v75, v73, 2, v75
	v_add_nc_u32_e32 v75, 0x4000, v75
	ds_store_2addr_b32 v75, v76, v90 offset1:136
.LBB511_14:
	s_or_b32 exec_lo, exec_lo, s3
	v_lshlrev_b32_e32 v75, 2, v73
	s_waitcnt lgkmcnt(0)
	s_barrier
	buffer_gl0_inv
	v_cmp_eq_u32_e64 s3, 1, v74
	v_add_nc_u32_e32 v90, 0x4000, v75
	ds_load_2addr_b32 v[99:100], v90 offset1:17
	ds_load_2addr_b32 v[101:102], v90 offset0:34 offset1:51
	ds_load_2addr_b32 v[103:104], v90 offset0:68 offset1:85
	;; [unrolled: 1-line block ×4, first 2 shown]
	s_waitcnt lgkmcnt(4)
	v_max3_f32 v75, v99, 0xff7fffff, v100
	s_waitcnt lgkmcnt(3)
	s_delay_alu instid0(VALU_DEP_1) | instskip(SKIP_1) | instid1(VALU_DEP_1)
	v_max3_f32 v75, v75, v101, v102
	s_waitcnt lgkmcnt(2)
	v_max3_f32 v75, v75, v103, v104
	s_waitcnt lgkmcnt(1)
	s_delay_alu instid0(VALU_DEP_1) | instskip(NEXT) | instid1(VALU_DEP_1)
	v_max3_f32 v75, v75, v105, v106
	v_sub_f32_e32 v109, v100, v75
	v_sub_f32_e32 v76, v99, v75
	ds_load_2addr_b32 v[99:100], v90 offset0:170 offset1:187
	v_sub_f32_e32 v101, v101, v75
	v_dual_mul_f32 v109, 0x3fb8aa3b, v109 :: v_dual_mul_f32 v76, 0x3fb8aa3b, v76
	s_delay_alu instid0(VALU_DEP_2) | instskip(NEXT) | instid1(VALU_DEP_2)
	v_mul_f32_e32 v111, 0x3fb8aa3b, v101
	v_exp_f32_e32 v109, v109
	s_delay_alu instid0(VALU_DEP_2)
	v_exp_f32_e32 v110, v76
	v_sub_f32_e32 v76, v102, v75
	ds_load_2addr_b32 v[101:102], v90 offset0:204 offset1:221
	v_exp_f32_e32 v111, v111
	v_mul_f32_e32 v112, 0x3fb8aa3b, v76
	s_waitcnt lgkmcnt(2)
	v_fma_f32 v76, v110, v107, 0
	v_sub_f32_e32 v103, v103, v75
	s_delay_alu instid0(VALU_DEP_3) | instskip(NEXT) | instid1(VALU_DEP_2)
	v_exp_f32_e32 v112, v112
	v_dual_sub_f32 v107, v104, v75 :: v_dual_fmac_f32 v76, v109, v108
	s_waitcnt lgkmcnt(1)
	s_waitcnt_depctr 0xfff
	v_fmac_f32_e32 v76, v111, v99
	v_mul_f32_e32 v113, 0x3fb8aa3b, v103
	ds_load_2addr_b32 v[103:104], v90 offset0:238 offset1:255
	v_sub_f32_e32 v90, v105, v75
	v_dual_sub_f32 v99, v106, v75 :: v_dual_fmac_f32 v76, v112, v100
	v_mul_f32_e32 v105, 0x3fb8aa3b, v107
	v_exp_f32_e32 v107, v113
	s_delay_alu instid0(VALU_DEP_2)
	v_dual_mul_f32 v90, 0x3fb8aa3b, v90 :: v_dual_mul_f32 v99, 0x3fb8aa3b, v99
	s_waitcnt lgkmcnt(0)
	s_barrier
	buffer_gl0_inv
	v_exp_f32_e32 v90, v90
	v_exp_f32_e32 v99, v99
	v_fmac_f32_e32 v76, v107, v101
	v_exp_f32_e32 v105, v105
	s_waitcnt_depctr 0xfff
	v_fmac_f32_e32 v76, v105, v102
	s_delay_alu instid0(VALU_DEP_1) | instskip(NEXT) | instid1(VALU_DEP_1)
	v_fmac_f32_e32 v76, v90, v103
	v_fmac_f32_e32 v76, v99, v104
	s_delay_alu instid0(VALU_DEP_1) | instskip(NEXT) | instid1(VALU_DEP_1)
	v_add_f32_e32 v100, 0x358637bd, v76
	v_div_scale_f32 v101, null, v100, v100, 1.0
	v_div_scale_f32 v104, vcc_lo, 1.0, v100, 1.0
	s_delay_alu instid0(VALU_DEP_2) | instskip(SKIP_2) | instid1(VALU_DEP_1)
	v_rcp_f32_e32 v102, v101
	s_waitcnt_depctr 0xfff
	v_fma_f32 v103, -v101, v102, 1.0
	v_fmac_f32_e32 v102, v103, v102
	v_cndmask_b32_e64 v103, v110, v109, s3
	v_cmp_eq_u32_e64 s3, 2, v74
	s_delay_alu instid0(VALU_DEP_3) | instskip(NEXT) | instid1(VALU_DEP_2)
	v_mul_f32_e32 v106, v104, v102
	v_cndmask_b32_e64 v103, v103, v111, s3
	v_cmp_eq_u32_e64 s3, 3, v74
	s_delay_alu instid0(VALU_DEP_3) | instskip(NEXT) | instid1(VALU_DEP_2)
	v_fma_f32 v108, -v101, v106, v104
	v_cndmask_b32_e64 v103, v103, v112, s3
	v_cmp_eq_u32_e64 s3, 4, v74
	s_delay_alu instid0(VALU_DEP_3) | instskip(NEXT) | instid1(VALU_DEP_2)
	v_fmac_f32_e32 v106, v108, v102
	v_cndmask_b32_e64 v103, v103, v107, s3
	s_delay_alu instid0(VALU_DEP_2) | instskip(SKIP_1) | instid1(VALU_DEP_2)
	v_fma_f32 v101, -v101, v106, v104
	v_cmp_eq_u32_e64 s3, 5, v74
	v_div_fmas_f32 v101, v101, v102, v106
	s_delay_alu instid0(VALU_DEP_2) | instskip(SKIP_2) | instid1(VALU_DEP_3)
	v_cndmask_b32_e64 v103, v103, v105, s3
	v_cmp_eq_u32_e32 vcc_lo, 6, v74
	s_mov_b32 s3, exec_lo
	v_div_fixup_f32 v100, v101, v100, 1.0
	s_delay_alu instid0(VALU_DEP_3) | instskip(SKIP_1) | instid1(VALU_DEP_2)
	v_cndmask_b32_e32 v90, v103, v90, vcc_lo
	v_cmp_eq_u32_e32 vcc_lo, 7, v74
	v_cndmask_b32_e32 v90, v90, v99, vcc_lo
	s_delay_alu instid0(VALU_DEP_1) | instskip(NEXT) | instid1(VALU_DEP_1)
	v_mul_f32_e32 v90, v90, v100
	v_mul_f32_e32 v100, v90, v92
	;; [unrolled: 1-line block ×6, first 2 shown]
	v_and_b32_e32 v101, 0x7f800000, v100
	v_mul_f32_e32 v99, v90, v95
	v_mul_f32_e32 v95, v90, v91
	;; [unrolled: 1-line block ×3, first 2 shown]
                                        ; implicit-def: $vgpr91
	s_delay_alu instid0(VALU_DEP_4)
	v_cmpx_ne_u32_e32 0x7f800000, v101
	s_xor_b32 s3, exec_lo, s3
; %bb.15:
	v_bfe_u32 v91, v100, 16, 1
	s_delay_alu instid0(VALU_DEP_1)
	v_add3_u32 v91, v100, v91, 0x7fff
                                        ; implicit-def: $vgpr100
; %bb.16:
	s_and_not1_saveexec_b32 s3, s3
; %bb.17:
	v_and_b32_e32 v91, 0xffff, v100
	v_or_b32_e32 v93, 0x10000, v100
	s_delay_alu instid0(VALU_DEP_2) | instskip(NEXT) | instid1(VALU_DEP_2)
	v_cmp_eq_u32_e32 vcc_lo, 0, v91
	v_cndmask_b32_e32 v91, v93, v100, vcc_lo
; %bb.18:
	s_or_b32 exec_lo, exec_lo, s3
	v_and_b32_e32 v93, 0x7f800000, v95
	s_delay_alu instid0(VALU_DEP_1) | instskip(SKIP_1) | instid1(SALU_CYCLE_1)
	v_cmp_ne_u32_e32 vcc_lo, 0x7f800000, v93
                                        ; implicit-def: $vgpr93
	s_and_saveexec_b32 s3, vcc_lo
	s_xor_b32 s3, exec_lo, s3
; %bb.19:
	v_bfe_u32 v93, v95, 16, 1
	s_delay_alu instid0(VALU_DEP_1)
	v_add3_u32 v93, v95, v93, 0x7fff
                                        ; implicit-def: $vgpr95
; %bb.20:
	s_and_not1_saveexec_b32 s3, s3
; %bb.21:
	v_and_b32_e32 v93, 0xffff, v95
	v_or_b32_e32 v100, 0x10000, v95
	s_delay_alu instid0(VALU_DEP_2) | instskip(NEXT) | instid1(VALU_DEP_2)
	v_cmp_eq_u32_e32 vcc_lo, 0, v93
	v_cndmask_b32_e32 v93, v100, v95, vcc_lo
; %bb.22:
	s_or_b32 exec_lo, exec_lo, s3
	v_and_b32_e32 v95, 0x7f800000, v96
	s_delay_alu instid0(VALU_DEP_1) | instskip(SKIP_1) | instid1(SALU_CYCLE_1)
	v_cmp_ne_u32_e32 vcc_lo, 0x7f800000, v95
                                        ; implicit-def: $vgpr95
	s_and_saveexec_b32 s3, vcc_lo
	s_xor_b32 s3, exec_lo, s3
; %bb.23:
	v_bfe_u32 v95, v96, 16, 1
	s_delay_alu instid0(VALU_DEP_1)
	v_add3_u32 v95, v96, v95, 0x7fff
                                        ; implicit-def: $vgpr96
; %bb.24:
	s_and_not1_saveexec_b32 s3, s3
; %bb.25:
	v_and_b32_e32 v95, 0xffff, v96
	v_or_b32_e32 v100, 0x10000, v96
	s_delay_alu instid0(VALU_DEP_2) | instskip(NEXT) | instid1(VALU_DEP_2)
	v_cmp_eq_u32_e32 vcc_lo, 0, v95
	v_cndmask_b32_e32 v95, v100, v96, vcc_lo
; %bb.26:
	s_or_b32 exec_lo, exec_lo, s3
	v_and_b32_e32 v96, 0x7f800000, v99
	s_delay_alu instid0(VALU_DEP_1) | instskip(SKIP_1) | instid1(SALU_CYCLE_1)
	v_cmp_ne_u32_e32 vcc_lo, 0x7f800000, v96
                                        ; implicit-def: $vgpr96
	s_and_saveexec_b32 s3, vcc_lo
	s_xor_b32 s3, exec_lo, s3
; %bb.27:
	v_bfe_u32 v96, v99, 16, 1
	s_delay_alu instid0(VALU_DEP_1)
	v_add3_u32 v96, v99, v96, 0x7fff
                                        ; implicit-def: $vgpr99
; %bb.28:
	s_and_not1_saveexec_b32 s3, s3
; %bb.29:
	v_and_b32_e32 v96, 0xffff, v99
	v_or_b32_e32 v100, 0x10000, v99
	s_delay_alu instid0(VALU_DEP_2) | instskip(NEXT) | instid1(VALU_DEP_2)
	v_cmp_eq_u32_e32 vcc_lo, 0, v96
	v_cndmask_b32_e32 v96, v100, v99, vcc_lo
; %bb.30:
	s_or_b32 exec_lo, exec_lo, s3
	v_and_b32_e32 v99, 0x7f800000, v98
	s_delay_alu instid0(VALU_DEP_1) | instskip(SKIP_1) | instid1(SALU_CYCLE_1)
	v_cmp_ne_u32_e32 vcc_lo, 0x7f800000, v99
                                        ; implicit-def: $vgpr99
	s_and_saveexec_b32 s3, vcc_lo
	s_xor_b32 s3, exec_lo, s3
; %bb.31:
	v_bfe_u32 v99, v98, 16, 1
	s_delay_alu instid0(VALU_DEP_1)
	v_add3_u32 v99, v98, v99, 0x7fff
                                        ; implicit-def: $vgpr98
; %bb.32:
	s_and_not1_saveexec_b32 s3, s3
; %bb.33:
	v_and_b32_e32 v99, 0xffff, v98
	v_or_b32_e32 v100, 0x10000, v98
	s_delay_alu instid0(VALU_DEP_2) | instskip(NEXT) | instid1(VALU_DEP_2)
	v_cmp_eq_u32_e32 vcc_lo, 0, v99
	v_cndmask_b32_e32 v99, v100, v98, vcc_lo
; %bb.34:
	s_or_b32 exec_lo, exec_lo, s3
	v_and_b32_e32 v98, 0x7f800000, v97
	s_delay_alu instid0(VALU_DEP_1) | instskip(SKIP_1) | instid1(SALU_CYCLE_1)
	v_cmp_ne_u32_e32 vcc_lo, 0x7f800000, v98
                                        ; implicit-def: $vgpr98
	s_and_saveexec_b32 s3, vcc_lo
	s_xor_b32 s3, exec_lo, s3
; %bb.35:
	v_bfe_u32 v98, v97, 16, 1
	s_delay_alu instid0(VALU_DEP_1)
	v_add3_u32 v98, v97, v98, 0x7fff
                                        ; implicit-def: $vgpr97
; %bb.36:
	s_and_not1_saveexec_b32 s3, s3
; %bb.37:
	v_and_b32_e32 v98, 0xffff, v97
	v_or_b32_e32 v100, 0x10000, v97
	s_delay_alu instid0(VALU_DEP_2) | instskip(NEXT) | instid1(VALU_DEP_2)
	v_cmp_eq_u32_e32 vcc_lo, 0, v98
	v_cndmask_b32_e32 v98, v100, v97, vcc_lo
; %bb.38:
	s_or_b32 exec_lo, exec_lo, s3
	v_and_b32_e32 v97, 0x7f800000, v94
	s_delay_alu instid0(VALU_DEP_1) | instskip(SKIP_1) | instid1(SALU_CYCLE_1)
	v_cmp_ne_u32_e32 vcc_lo, 0x7f800000, v97
                                        ; implicit-def: $vgpr97
	s_and_saveexec_b32 s3, vcc_lo
	s_xor_b32 s3, exec_lo, s3
; %bb.39:
	v_bfe_u32 v97, v94, 16, 1
	s_delay_alu instid0(VALU_DEP_1)
	v_add3_u32 v97, v94, v97, 0x7fff
                                        ; implicit-def: $vgpr94
; %bb.40:
	s_and_not1_saveexec_b32 s3, s3
; %bb.41:
	v_and_b32_e32 v97, 0xffff, v94
	v_or_b32_e32 v100, 0x10000, v94
	s_delay_alu instid0(VALU_DEP_2) | instskip(NEXT) | instid1(VALU_DEP_2)
	v_cmp_eq_u32_e32 vcc_lo, 0, v97
	v_cndmask_b32_e32 v97, v100, v94, vcc_lo
; %bb.42:
	s_or_b32 exec_lo, exec_lo, s3
	v_and_b32_e32 v94, 0x7f800000, v92
	s_delay_alu instid0(VALU_DEP_1) | instskip(SKIP_1) | instid1(SALU_CYCLE_1)
	v_cmp_ne_u32_e32 vcc_lo, 0x7f800000, v94
                                        ; implicit-def: $vgpr94
	s_and_saveexec_b32 s3, vcc_lo
	s_xor_b32 s3, exec_lo, s3
; %bb.43:
	v_bfe_u32 v94, v92, 16, 1
	s_delay_alu instid0(VALU_DEP_1)
	v_add3_u32 v94, v92, v94, 0x7fff
                                        ; implicit-def: $vgpr92
; %bb.44:
	s_and_not1_saveexec_b32 s3, s3
; %bb.45:
	v_and_b32_e32 v94, 0xffff, v92
	v_or_b32_e32 v100, 0x10000, v92
	s_delay_alu instid0(VALU_DEP_2) | instskip(NEXT) | instid1(VALU_DEP_2)
	v_cmp_eq_u32_e32 vcc_lo, 0, v94
	v_cndmask_b32_e32 v94, v100, v92, vcc_lo
; %bb.46:
	s_or_b32 exec_lo, exec_lo, s3
	s_load_b64 s[34:35], s[0:1], 0x94
	v_lshlrev_b32_e32 v92, 4, v83
	s_delay_alu instid0(VALU_DEP_2)
	v_perm_b32 v100, v94, v97, 0x7060302
	v_dual_mul_f32 v89, v90, v89 :: v_dual_lshlrev_b32 v94, 11, v74
	v_perm_b32 v97, v93, v91, 0x7060302
	v_mul_f32_e32 v93, v90, v77
	v_perm_b32 v99, v98, v99, 0x7060302
	v_perm_b32 v98, v96, v95, 0x7060302
	v_or3_b32 v77, v92, v94, v85
	v_mul_f32_e32 v88, v90, v88
	v_dual_mul_f32 v87, v90, v87 :: v_dual_and_b32 v94, 0x7f800000, v93
	v_mul_f32_e32 v86, v90, v86
	v_mul_f32_e32 v91, v90, v80
	;; [unrolled: 1-line block ×4, first 2 shown]
	s_mov_b32 s3, exec_lo
	ds_store_b128 v77, v[97:100]
                                        ; implicit-def: $vgpr78
	v_cmpx_ne_u32_e32 0x7f800000, v94
	s_xor_b32 s3, exec_lo, s3
; %bb.47:
	v_bfe_u32 v78, v93, 16, 1
	s_delay_alu instid0(VALU_DEP_1)
	v_add3_u32 v78, v93, v78, 0x7fff
                                        ; implicit-def: $vgpr93
; %bb.48:
	s_and_not1_saveexec_b32 s3, s3
; %bb.49:
	v_and_b32_e32 v78, 0xffff, v93
	v_or_b32_e32 v79, 0x10000, v93
	s_delay_alu instid0(VALU_DEP_2) | instskip(NEXT) | instid1(VALU_DEP_2)
	v_cmp_eq_u32_e32 vcc_lo, 0, v78
	v_cndmask_b32_e32 v78, v79, v93, vcc_lo
; %bb.50:
	s_or_b32 exec_lo, exec_lo, s3
	v_and_b32_e32 v79, 0x7f800000, v80
	s_delay_alu instid0(VALU_DEP_1) | instskip(SKIP_1) | instid1(SALU_CYCLE_1)
	v_cmp_ne_u32_e32 vcc_lo, 0x7f800000, v79
                                        ; implicit-def: $vgpr79
	s_and_saveexec_b32 s3, vcc_lo
	s_xor_b32 s3, exec_lo, s3
; %bb.51:
	v_bfe_u32 v79, v80, 16, 1
	s_delay_alu instid0(VALU_DEP_1)
	v_add3_u32 v79, v80, v79, 0x7fff
                                        ; implicit-def: $vgpr80
; %bb.52:
	s_and_not1_saveexec_b32 s3, s3
; %bb.53:
	v_and_b32_e32 v79, 0xffff, v80
	v_or_b32_e32 v90, 0x10000, v80
	s_delay_alu instid0(VALU_DEP_2) | instskip(NEXT) | instid1(VALU_DEP_2)
	v_cmp_eq_u32_e32 vcc_lo, 0, v79
	v_cndmask_b32_e32 v79, v90, v80, vcc_lo
; %bb.54:
	s_or_b32 exec_lo, exec_lo, s3
	v_and_b32_e32 v80, 0x7f800000, v92
	s_delay_alu instid0(VALU_DEP_1) | instskip(SKIP_1) | instid1(SALU_CYCLE_1)
	v_cmp_ne_u32_e32 vcc_lo, 0x7f800000, v80
                                        ; implicit-def: $vgpr80
	s_and_saveexec_b32 s3, vcc_lo
	s_xor_b32 s3, exec_lo, s3
; %bb.55:
	v_bfe_u32 v80, v92, 16, 1
	s_delay_alu instid0(VALU_DEP_1)
	v_add3_u32 v80, v92, v80, 0x7fff
                                        ; implicit-def: $vgpr92
; %bb.56:
	s_and_not1_saveexec_b32 s3, s3
; %bb.57:
	v_and_b32_e32 v80, 0xffff, v92
	v_or_b32_e32 v90, 0x10000, v92
	s_delay_alu instid0(VALU_DEP_2) | instskip(NEXT) | instid1(VALU_DEP_2)
	v_cmp_eq_u32_e32 vcc_lo, 0, v80
	v_cndmask_b32_e32 v80, v90, v92, vcc_lo
; %bb.58:
	s_or_b32 exec_lo, exec_lo, s3
	v_and_b32_e32 v90, 0x7f800000, v91
	s_delay_alu instid0(VALU_DEP_1) | instskip(SKIP_1) | instid1(SALU_CYCLE_1)
	v_cmp_ne_u32_e32 vcc_lo, 0x7f800000, v90
                                        ; implicit-def: $vgpr90
	s_and_saveexec_b32 s3, vcc_lo
	s_xor_b32 s3, exec_lo, s3
; %bb.59:
	v_bfe_u32 v90, v91, 16, 1
	s_delay_alu instid0(VALU_DEP_1)
	v_add3_u32 v90, v91, v90, 0x7fff
                                        ; implicit-def: $vgpr91
; %bb.60:
	s_and_not1_saveexec_b32 s3, s3
; %bb.61:
	v_and_b32_e32 v90, 0xffff, v91
	v_or_b32_e32 v92, 0x10000, v91
	s_delay_alu instid0(VALU_DEP_2) | instskip(NEXT) | instid1(VALU_DEP_2)
	v_cmp_eq_u32_e32 vcc_lo, 0, v90
	v_cndmask_b32_e32 v90, v92, v91, vcc_lo
; %bb.62:
	s_or_b32 exec_lo, exec_lo, s3
	v_and_b32_e32 v91, 0x7f800000, v86
	s_delay_alu instid0(VALU_DEP_1) | instskip(SKIP_1) | instid1(SALU_CYCLE_1)
	v_cmp_ne_u32_e32 vcc_lo, 0x7f800000, v91
                                        ; implicit-def: $vgpr91
	s_and_saveexec_b32 s3, vcc_lo
	s_xor_b32 s3, exec_lo, s3
; %bb.63:
	v_bfe_u32 v91, v86, 16, 1
	s_delay_alu instid0(VALU_DEP_1)
	v_add3_u32 v91, v86, v91, 0x7fff
                                        ; implicit-def: $vgpr86
; %bb.64:
	s_and_not1_saveexec_b32 s3, s3
; %bb.65:
	v_and_b32_e32 v91, 0xffff, v86
	v_or_b32_e32 v92, 0x10000, v86
	s_delay_alu instid0(VALU_DEP_2) | instskip(NEXT) | instid1(VALU_DEP_2)
	v_cmp_eq_u32_e32 vcc_lo, 0, v91
	v_cndmask_b32_e32 v91, v92, v86, vcc_lo
; %bb.66:
	s_or_b32 exec_lo, exec_lo, s3
	v_and_b32_e32 v86, 0x7f800000, v87
	s_delay_alu instid0(VALU_DEP_1) | instskip(SKIP_1) | instid1(SALU_CYCLE_1)
	v_cmp_ne_u32_e32 vcc_lo, 0x7f800000, v86
                                        ; implicit-def: $vgpr86
	s_and_saveexec_b32 s3, vcc_lo
	s_xor_b32 s3, exec_lo, s3
; %bb.67:
	v_bfe_u32 v86, v87, 16, 1
	s_delay_alu instid0(VALU_DEP_1)
	v_add3_u32 v86, v87, v86, 0x7fff
                                        ; implicit-def: $vgpr87
; %bb.68:
	s_and_not1_saveexec_b32 s3, s3
; %bb.69:
	v_and_b32_e32 v86, 0xffff, v87
	v_or_b32_e32 v92, 0x10000, v87
	s_delay_alu instid0(VALU_DEP_2) | instskip(NEXT) | instid1(VALU_DEP_2)
	v_cmp_eq_u32_e32 vcc_lo, 0, v86
	v_cndmask_b32_e32 v86, v92, v87, vcc_lo
; %bb.70:
	s_or_b32 exec_lo, exec_lo, s3
	v_and_b32_e32 v87, 0x7f800000, v88
	s_delay_alu instid0(VALU_DEP_1) | instskip(SKIP_1) | instid1(SALU_CYCLE_1)
	v_cmp_ne_u32_e32 vcc_lo, 0x7f800000, v87
                                        ; implicit-def: $vgpr87
	s_and_saveexec_b32 s3, vcc_lo
	s_xor_b32 s3, exec_lo, s3
; %bb.71:
	v_bfe_u32 v87, v88, 16, 1
	s_delay_alu instid0(VALU_DEP_1)
	v_add3_u32 v87, v88, v87, 0x7fff
                                        ; implicit-def: $vgpr88
; %bb.72:
	s_and_not1_saveexec_b32 s3, s3
; %bb.73:
	v_and_b32_e32 v87, 0xffff, v88
	v_or_b32_e32 v92, 0x10000, v88
	s_delay_alu instid0(VALU_DEP_2) | instskip(NEXT) | instid1(VALU_DEP_2)
	v_cmp_eq_u32_e32 vcc_lo, 0, v87
	v_cndmask_b32_e32 v87, v92, v88, vcc_lo
; %bb.74:
	s_or_b32 exec_lo, exec_lo, s3
	v_and_b32_e32 v88, 0x7f800000, v89
	s_delay_alu instid0(VALU_DEP_1) | instskip(SKIP_1) | instid1(SALU_CYCLE_1)
	v_cmp_ne_u32_e32 vcc_lo, 0x7f800000, v88
                                        ; implicit-def: $vgpr88
	s_and_saveexec_b32 s3, vcc_lo
	s_xor_b32 s3, exec_lo, s3
; %bb.75:
	v_bfe_u32 v88, v89, 16, 1
	s_delay_alu instid0(VALU_DEP_1)
	v_add3_u32 v88, v89, v88, 0x7fff
                                        ; implicit-def: $vgpr89
; %bb.76:
	s_and_not1_saveexec_b32 s3, s3
; %bb.77:
	v_and_b32_e32 v88, 0xffff, v89
	v_or_b32_e32 v92, 0x10000, v89
	s_delay_alu instid0(VALU_DEP_2) | instskip(NEXT) | instid1(VALU_DEP_2)
	v_cmp_eq_u32_e32 vcc_lo, 0, v88
	v_cndmask_b32_e32 v88, v92, v89, vcc_lo
; %bb.78:
	s_or_b32 exec_lo, exec_lo, s3
	s_delay_alu instid0(VALU_DEP_1)
	v_perm_b32 v89, v88, v87, 0x7060302
	v_perm_b32 v88, v86, v91, 0x7060302
	;; [unrolled: 1-line block ×4, first 2 shown]
	v_lshl_or_b32 v90, v74, 11, v85
	ds_store_b128 v77, v[86:89] offset:1024
	s_waitcnt lgkmcnt(0)
	s_barrier
	buffer_gl0_inv
	ds_load_b128 v[91:94], v90
	ds_load_b128 v[95:98], v90 offset:16
	v_lshlrev_b32_e32 v87, 2, v83
	s_delay_alu instid0(VALU_DEP_1)
	v_or_b32_e32 v88, 1, v87
	v_cmp_eq_u32_e32 vcc_lo, 1, v87
	v_cmp_eq_u32_e64 s4, 2, v87
	v_cmp_eq_u32_e64 s7, 3, v87
	;; [unrolled: 1-line block ×6, first 2 shown]
	v_or_b32_e32 v86, 2, v87
	v_cmp_eq_u32_e64 s10, 5, v87
	v_cmp_eq_u32_e64 s11, 4, v88
	;; [unrolled: 1-line block ×4, first 2 shown]
	s_waitcnt lgkmcnt(1)
	v_lshrrev_b32_e32 v74, 16, v91
	s_waitcnt lgkmcnt(0)
	v_lshrrev_b32_e32 v103, 16, v95
	v_lshrrev_b32_e32 v80, 16, v94
	;; [unrolled: 1-line block ×4, first 2 shown]
	v_cndmask_b32_e32 v89, v91, v74, vcc_lo
	v_cndmask_b32_e32 v99, v95, v103, vcc_lo
	v_cndmask_b32_e64 v100, v91, v74, s3
	v_lshrrev_b32_e32 v79, 16, v93
	v_lshrrev_b32_e32 v108, 16, v97
	v_cndmask_b32_e64 v89, v89, v92, s4
	v_cndmask_b32_e64 v99, v99, v96, s4
	;; [unrolled: 1-line block ×4, first 2 shown]
	v_cmp_eq_u32_e64 s5, 1, v86
	v_cndmask_b32_e64 v89, v89, v78, s7
	v_cndmask_b32_e64 v99, v99, v107, s7
	;; [unrolled: 1-line block ×4, first 2 shown]
	v_lshrrev_b32_e32 v109, 16, v98
	v_cndmask_b32_e64 v89, v89, v93, s9
	v_cndmask_b32_e64 v99, v99, v97, s9
	v_cndmask_b32_e64 v100, v100, v93, s11
	v_cndmask_b32_e64 v102, v91, v74, s5
	v_cndmask_b32_e64 v101, v101, v107, s8
	v_cndmask_b32_e64 v89, v89, v79, s10
	v_cndmask_b32_e64 v99, v99, v108, s10
	v_cndmask_b32_e64 v100, v100, v79, s13
	v_cmp_eq_u32_e64 s15, 7, v87
	v_cmp_eq_u32_e64 s16, 6, v88
	v_cndmask_b32_e64 v89, v89, v94, s12
	v_cndmask_b32_e64 v99, v99, v98, s12
	v_cmp_eq_u32_e64 s17, 2, v86
	v_cndmask_b32_e64 v101, v101, v97, s11
	v_cndmask_b32_e64 v100, v100, v94, s16
	;; [unrolled: 1-line block ×6, first 2 shown]
	v_cmp_eq_u32_e64 s18, 7, v88
	v_cmp_eq_u32_e64 s19, 3, v86
	;; [unrolled: 1-line block ×4, first 2 shown]
	v_cndmask_b32_e64 v99, v99, v96, s17
	v_cndmask_b32_e64 v112, v100, v80, s18
	;; [unrolled: 1-line block ×4, first 2 shown]
	v_or_b32_e32 v89, 3, v87
	v_cndmask_b32_e64 v105, v99, v107, s19
	v_cmp_eq_u32_e64 s24, 6, v86
	v_cndmask_b32_e64 v113, v100, v98, s16
	v_cndmask_b32_e64 v104, v101, v93, s20
	ds_load_b128 v[99:102], v90 offset:1024
	v_cmp_eq_u32_e64 s21, 1, v89
	v_cmp_eq_u32_e64 s23, 2, v89
	;; [unrolled: 1-line block ×3, first 2 shown]
	v_cndmask_b32_e64 v114, v104, v79, s22
	v_cmp_eq_u32_e64 s26, 4, v89
	v_cndmask_b32_e64 v74, v91, v74, s21
	v_cndmask_b32_e64 v91, v105, v97, s20
	;; [unrolled: 1-line block ×3, first 2 shown]
	ds_load_b128 v[103:106], v90 offset:1040
	v_cmp_eq_u32_e64 s28, 5, v89
	v_cndmask_b32_e64 v74, v74, v92, s23
	v_cndmask_b32_e64 v91, v91, v108, s22
	;; [unrolled: 1-line block ×3, first 2 shown]
	v_cmp_eq_u32_e64 s29, 6, v89
	v_cndmask_b32_e64 v95, v113, v109, s18
	v_cndmask_b32_e64 v74, v74, v78, s25
	;; [unrolled: 1-line block ×5, first 2 shown]
	s_waitcnt lgkmcnt(1)
	v_lshrrev_b32_e32 v96, 16, v99
	v_cndmask_b32_e64 v74, v74, v93, s26
	v_lshrrev_b32_e32 v107, 16, v100
	v_cndmask_b32_e64 v92, v92, v97, s26
	v_cmp_eq_u32_e64 s27, 7, v86
	v_cndmask_b32_e32 v93, v99, v96, vcc_lo
	v_cndmask_b32_e64 v74, v74, v79, s28
	s_delay_alu instid0(VALU_DEP_4)
	v_cndmask_b32_e64 v79, v92, v108, s28
	s_waitcnt lgkmcnt(0)
	v_lshrrev_b32_e32 v97, 16, v103
	v_cndmask_b32_e64 v92, v93, v100, s4
	v_cndmask_b32_e64 v93, v99, v96, s3
	;; [unrolled: 1-line block ×4, first 2 shown]
	v_cndmask_b32_e32 v108, v103, v97, vcc_lo
	v_cndmask_b32_e64 v92, v92, v107, s7
	v_cndmask_b32_e64 v93, v93, v100, s6
	v_lshrrev_b32_e32 v98, 16, v104
	v_cmp_eq_u32_e32 vcc_lo, 7, v89
	v_cndmask_b32_e64 v94, v108, v104, s4
	v_cndmask_b32_e64 v92, v92, v101, s9
	v_lshrrev_b32_e32 v108, 16, v101
	v_cndmask_b32_e64 v93, v93, v107, s8
	v_cndmask_b32_e32 v74, v74, v80, vcc_lo
	v_cndmask_b32_e64 v94, v94, v98, s7
	v_cndmask_b32_e32 v79, v79, v109, vcc_lo
	v_cndmask_b32_e64 v92, v92, v108, s10
	v_cndmask_b32_e64 v78, v78, v80, s27
	;; [unrolled: 1-line block ×4, first 2 shown]
	v_perm_b32 v94, v79, v74, 0x5040100
	v_cndmask_b32_e64 v79, v92, v102, s12
	v_perm_b32 v92, v95, v112, 0x5040100
	v_cndmask_b32_e64 v95, v99, v96, s5
	v_cndmask_b32_e64 v96, v99, v96, s21
	;; [unrolled: 1-line block ×16, first 2 shown]
	v_lshrrev_b32_e32 v109, 16, v105
	v_cndmask_b32_e64 v95, v95, v101, s20
	v_cndmask_b32_e64 v96, v96, v101, s26
	;; [unrolled: 1-line block ×6, first 2 shown]
	v_lshrrev_b32_e32 v80, 16, v102
	v_cndmask_b32_e64 v113, v93, v109, s10
	v_cndmask_b32_e64 v95, v95, v108, s22
	v_cndmask_b32_e64 v96, v96, v108, s28
	v_cndmask_b32_e64 v98, v98, v109, s28
	v_cndmask_b32_e64 v99, v99, v109, s22
	v_cndmask_b32_e64 v97, v97, v109, s13
	v_perm_b32 v93, v91, v78, 0x5040100
	v_cndmask_b32_e64 v74, v74, v102, s16
	v_cndmask_b32_e64 v78, v79, v80, s15
	;; [unrolled: 1-line block ×3, first 2 shown]
	v_lshrrev_b32_e32 v91, 16, v106
	v_cndmask_b32_e64 v95, v95, v102, s24
	v_cndmask_b32_e64 v96, v96, v102, s29
	;; [unrolled: 1-line block ×7, first 2 shown]
	v_cndmask_b32_e32 v80, v96, v80, vcc_lo
	v_cndmask_b32_e32 v96, v98, v91, vcc_lo
	v_cndmask_b32_e64 v99, v99, v91, s27
	v_cndmask_b32_e64 v100, v97, v91, s18
	;; [unrolled: 1-line block ×3, first 2 shown]
	v_perm_b32 v91, v111, v110, 0x5040100
	v_perm_b32 v98, v96, v80, 0x5040100
	;; [unrolled: 1-line block ×5, first 2 shown]
	s_mul_i32 s8, s35, 14
	s_mov_b32 s3, exec_lo
	ds_store_b128 v77, v[91:94]
	ds_store_b128 v77, v[95:98] offset:1024
	v_cmpx_gt_u32_e32 14, v0
	s_cbranch_execz .LBB511_80
; %bb.79:
	s_mul_i32 s4, s8, s30
	s_delay_alu instid0(SALU_CYCLE_1) | instskip(SKIP_1) | instid1(VALU_DEP_1)
	v_add3_u32 v77, s4, s31, v73
	s_load_b128 s[4:7], s[0:1], 0x58
	v_mad_u64_u32 v[73:74], null, v77, s34, s[14:15]
	s_delay_alu instid0(VALU_DEP_1) | instskip(NEXT) | instid1(VALU_DEP_1)
	v_ashrrev_i32_e32 v74, 31, v73
	v_lshlrev_b64 v[73:74], 2, v[73:74]
	s_waitcnt lgkmcnt(0)
	s_delay_alu instid0(VALU_DEP_1) | instskip(NEXT) | instid1(VALU_DEP_2)
	v_add_co_u32 v77, vcc_lo, s6, v73
	v_add_co_ci_u32_e32 v78, vcc_lo, s7, v74, vcc_lo
	v_add_co_u32 v73, vcc_lo, s4, v73
	v_add_co_ci_u32_e32 v74, vcc_lo, s5, v74, vcc_lo
	global_store_b32 v[77:78], v75, off
	global_store_b32 v[73:74], v76, off
.LBB511_80:
	s_or_b32 exec_lo, exec_lo, s3
	s_waitcnt lgkmcnt(0)
	s_waitcnt_vscnt null, 0x0
	s_barrier
	buffer_gl0_inv
	ds_load_b128 v[91:94], v85
	ds_load_b128 v[95:98], v85 offset:16
	ds_load_b128 v[103:106], v85 offset:1040
	;; [unrolled: 1-line block ×3, first 2 shown]
	v_mov_b32_e32 v73, 0
	ds_load_b128 v[111:114], v85 offset:2064
	ds_load_b128 v[107:110], v85 offset:2048
	;; [unrolled: 1-line block ×6, first 2 shown]
	v_mov_b32_e32 v74, v73
	v_mov_b32_e32 v75, v73
	;; [unrolled: 1-line block ×7, first 2 shown]
	s_waitcnt lgkmcnt(8)
	s_delay_alu instid0(VALU_DEP_1)
	v_wmma_f32_16x16x16_bf16 v[73:80], v[65:72], v[91:98], v[73:80]
	ds_load_b128 v[69:72], v85 offset:5136
	ds_load_b128 v[65:68], v85 offset:5120
	ds_load_b128 v[95:98], v85 offset:6160
	ds_load_b128 v[91:94], v85 offset:6144
	s_waitcnt lgkmcnt(10)
	v_wmma_f32_16x16x16_bf16 v[73:80], v[57:64], v[99:106], v[73:80]
	s_waitcnt lgkmcnt(8)
	s_delay_alu instid0(VALU_DEP_1)
	v_wmma_f32_16x16x16_bf16 v[73:80], v[57:64], v[107:114], v[73:80]
	ds_load_b128 v[61:64], v85 offset:7184
	ds_load_b128 v[57:60], v85 offset:7168
	;; [unrolled: 1-line block ×4, first 2 shown]
	s_waitcnt lgkmcnt(10)
	v_wmma_f32_16x16x16_bf16 v[73:80], v[49:56], v[115:122], v[73:80]
	s_waitcnt lgkmcnt(8)
	s_delay_alu instid0(VALU_DEP_1)
	v_wmma_f32_16x16x16_bf16 v[73:80], v[49:56], v[123:130], v[73:80]
	ds_load_b128 v[53:56], v85 offset:9232
	ds_load_b128 v[49:52], v85 offset:9216
	s_waitcnt lgkmcnt(8)
	v_wmma_f32_16x16x16_bf16 v[73:80], v[41:48], v[65:72], v[73:80]
	ds_load_b128 v[69:72], v85 offset:10256
	ds_load_b128 v[65:68], v85 offset:10240
	s_waitcnt lgkmcnt(8)
	;; [unrolled: 4-line block ×3, first 2 shown]
	v_wmma_f32_16x16x16_bf16 v[73:80], v[9:16], v[57:64], v[73:80]
	s_waitcnt lgkmcnt(6)
	s_delay_alu instid0(VALU_DEP_1)
	v_wmma_f32_16x16x16_bf16 v[73:80], v[9:16], v[99:106], v[73:80]
	ds_load_b128 v[13:16], v85 offset:12304
	ds_load_b128 v[9:12], v85 offset:12288
	s_waitcnt lgkmcnt(6)
	v_wmma_f32_16x16x16_bf16 v[73:80], v[1:8], v[49:56], v[73:80]
	ds_load_b128 v[53:56], v85 offset:13328
	ds_load_b128 v[49:52], v85 offset:13312
	s_waitcnt lgkmcnt(6)
	;; [unrolled: 4-line block ×4, first 2 shown]
	v_wmma_f32_16x16x16_bf16 v[73:80], v[33:40], v[9:16], v[73:80]
	s_waitcnt lgkmcnt(4)
	s_delay_alu instid0(VALU_DEP_1) | instskip(SKIP_1) | instid1(VALU_DEP_1)
	v_wmma_f32_16x16x16_bf16 v[73:80], v[25:32], v[49:56], v[73:80]
	s_waitcnt lgkmcnt(2)
	v_wmma_f32_16x16x16_bf16 v[73:80], v[25:32], v[1:8], v[73:80]
	s_waitcnt lgkmcnt(0)
	s_delay_alu instid0(VALU_DEP_1) | instskip(NEXT) | instid1(VALU_DEP_1)
	v_wmma_f32_16x16x16_bf16 v[73:80], v[17:24], v[41:48], v[73:80]
	v_and_b32_e32 v1, 0x7f800000, v73
	s_delay_alu instid0(VALU_DEP_1) | instskip(SKIP_1) | instid1(SALU_CYCLE_1)
	v_cmp_ne_u32_e32 vcc_lo, 0x7f800000, v1
                                        ; implicit-def: $vgpr1
	s_and_saveexec_b32 s3, vcc_lo
	s_xor_b32 s3, exec_lo, s3
; %bb.81:
	v_bfe_u32 v1, v73, 16, 1
	s_delay_alu instid0(VALU_DEP_1)
	v_add3_u32 v1, v73, v1, 0x7fff
; %bb.82:
	s_and_not1_saveexec_b32 s3, s3
; %bb.83:
	v_and_b32_e32 v1, 0xffff, v73
	v_or_b32_e32 v2, 0x10000, v73
	s_delay_alu instid0(VALU_DEP_2) | instskip(NEXT) | instid1(VALU_DEP_2)
	v_cmp_eq_u32_e32 vcc_lo, 0, v1
	v_cndmask_b32_e32 v1, v2, v73, vcc_lo
; %bb.84:
	s_or_b32 exec_lo, exec_lo, s3
	v_and_b32_e32 v2, 0x7f800000, v74
	s_delay_alu instid0(VALU_DEP_1) | instskip(SKIP_1) | instid1(SALU_CYCLE_1)
	v_cmp_ne_u32_e32 vcc_lo, 0x7f800000, v2
                                        ; implicit-def: $vgpr2
	s_and_saveexec_b32 s3, vcc_lo
	s_xor_b32 s3, exec_lo, s3
; %bb.85:
	v_bfe_u32 v2, v74, 16, 1
	s_delay_alu instid0(VALU_DEP_1)
	v_add3_u32 v2, v74, v2, 0x7fff
; %bb.86:
	s_and_not1_saveexec_b32 s3, s3
; %bb.87:
	v_and_b32_e32 v2, 0xffff, v74
	v_or_b32_e32 v3, 0x10000, v74
	s_delay_alu instid0(VALU_DEP_2) | instskip(NEXT) | instid1(VALU_DEP_2)
	v_cmp_eq_u32_e32 vcc_lo, 0, v2
	v_cndmask_b32_e32 v2, v3, v74, vcc_lo
; %bb.88:
	s_or_b32 exec_lo, exec_lo, s3
	v_and_b32_e32 v3, 0x7f800000, v75
	s_delay_alu instid0(VALU_DEP_1) | instskip(SKIP_1) | instid1(SALU_CYCLE_1)
	v_cmp_ne_u32_e32 vcc_lo, 0x7f800000, v3
                                        ; implicit-def: $vgpr3
	s_and_saveexec_b32 s3, vcc_lo
	s_xor_b32 s3, exec_lo, s3
; %bb.89:
	v_bfe_u32 v3, v75, 16, 1
	s_delay_alu instid0(VALU_DEP_1)
	v_add3_u32 v3, v75, v3, 0x7fff
; %bb.90:
	s_and_not1_saveexec_b32 s3, s3
; %bb.91:
	v_and_b32_e32 v3, 0xffff, v75
	v_or_b32_e32 v4, 0x10000, v75
	s_delay_alu instid0(VALU_DEP_2) | instskip(NEXT) | instid1(VALU_DEP_2)
	v_cmp_eq_u32_e32 vcc_lo, 0, v3
	v_cndmask_b32_e32 v3, v4, v75, vcc_lo
; %bb.92:
	s_or_b32 exec_lo, exec_lo, s3
	v_and_b32_e32 v4, 0x7f800000, v76
	s_delay_alu instid0(VALU_DEP_1) | instskip(SKIP_1) | instid1(SALU_CYCLE_1)
	v_cmp_ne_u32_e32 vcc_lo, 0x7f800000, v4
                                        ; implicit-def: $vgpr4
	s_and_saveexec_b32 s3, vcc_lo
	s_xor_b32 s3, exec_lo, s3
; %bb.93:
	v_bfe_u32 v4, v76, 16, 1
	s_delay_alu instid0(VALU_DEP_1)
	v_add3_u32 v4, v76, v4, 0x7fff
; %bb.94:
	s_and_not1_saveexec_b32 s3, s3
; %bb.95:
	v_and_b32_e32 v4, 0xffff, v76
	v_or_b32_e32 v5, 0x10000, v76
	s_delay_alu instid0(VALU_DEP_2) | instskip(NEXT) | instid1(VALU_DEP_2)
	v_cmp_eq_u32_e32 vcc_lo, 0, v4
	v_cndmask_b32_e32 v4, v5, v76, vcc_lo
; %bb.96:
	s_or_b32 exec_lo, exec_lo, s3
	v_and_b32_e32 v5, 0x7f800000, v77
	s_delay_alu instid0(VALU_DEP_1) | instskip(SKIP_1) | instid1(SALU_CYCLE_1)
	v_cmp_ne_u32_e32 vcc_lo, 0x7f800000, v5
                                        ; implicit-def: $vgpr5
	s_and_saveexec_b32 s3, vcc_lo
	s_xor_b32 s3, exec_lo, s3
; %bb.97:
	v_bfe_u32 v5, v77, 16, 1
	s_delay_alu instid0(VALU_DEP_1)
	v_add3_u32 v5, v77, v5, 0x7fff
; %bb.98:
	s_and_not1_saveexec_b32 s3, s3
; %bb.99:
	v_and_b32_e32 v5, 0xffff, v77
	v_or_b32_e32 v6, 0x10000, v77
	s_delay_alu instid0(VALU_DEP_2) | instskip(NEXT) | instid1(VALU_DEP_2)
	v_cmp_eq_u32_e32 vcc_lo, 0, v5
	v_cndmask_b32_e32 v5, v6, v77, vcc_lo
; %bb.100:
	s_or_b32 exec_lo, exec_lo, s3
	v_and_b32_e32 v6, 0x7f800000, v78
	s_delay_alu instid0(VALU_DEP_1) | instskip(SKIP_1) | instid1(SALU_CYCLE_1)
	v_cmp_ne_u32_e32 vcc_lo, 0x7f800000, v6
                                        ; implicit-def: $vgpr6
	s_and_saveexec_b32 s3, vcc_lo
	s_xor_b32 s3, exec_lo, s3
; %bb.101:
	v_bfe_u32 v6, v78, 16, 1
	s_delay_alu instid0(VALU_DEP_1)
	v_add3_u32 v6, v78, v6, 0x7fff
; %bb.102:
	s_and_not1_saveexec_b32 s3, s3
; %bb.103:
	v_and_b32_e32 v6, 0xffff, v78
	v_or_b32_e32 v7, 0x10000, v78
	s_delay_alu instid0(VALU_DEP_2) | instskip(NEXT) | instid1(VALU_DEP_2)
	v_cmp_eq_u32_e32 vcc_lo, 0, v6
	v_cndmask_b32_e32 v6, v7, v78, vcc_lo
; %bb.104:
	s_or_b32 exec_lo, exec_lo, s3
	v_and_b32_e32 v7, 0x7f800000, v79
	s_delay_alu instid0(VALU_DEP_1) | instskip(SKIP_1) | instid1(SALU_CYCLE_1)
	v_cmp_ne_u32_e32 vcc_lo, 0x7f800000, v7
                                        ; implicit-def: $vgpr7
	s_and_saveexec_b32 s3, vcc_lo
	s_xor_b32 s3, exec_lo, s3
; %bb.105:
	v_bfe_u32 v7, v79, 16, 1
	s_delay_alu instid0(VALU_DEP_1)
	v_add3_u32 v7, v79, v7, 0x7fff
; %bb.106:
	s_and_not1_saveexec_b32 s3, s3
; %bb.107:
	v_and_b32_e32 v7, 0xffff, v79
	v_or_b32_e32 v8, 0x10000, v79
	s_delay_alu instid0(VALU_DEP_2) | instskip(NEXT) | instid1(VALU_DEP_2)
	v_cmp_eq_u32_e32 vcc_lo, 0, v7
	v_cndmask_b32_e32 v7, v8, v79, vcc_lo
; %bb.108:
	s_or_b32 exec_lo, exec_lo, s3
	v_and_b32_e32 v8, 0x7f800000, v80
	s_delay_alu instid0(VALU_DEP_1) | instskip(SKIP_1) | instid1(SALU_CYCLE_1)
	v_cmp_ne_u32_e32 vcc_lo, 0x7f800000, v8
                                        ; implicit-def: $vgpr8
	s_and_saveexec_b32 s3, vcc_lo
	s_xor_b32 s3, exec_lo, s3
; %bb.109:
	v_bfe_u32 v8, v80, 16, 1
	s_delay_alu instid0(VALU_DEP_1)
	v_add3_u32 v8, v80, v8, 0x7fff
                                        ; implicit-def: $vgpr73_vgpr74_vgpr75_vgpr76_vgpr77_vgpr78_vgpr79_vgpr80
; %bb.110:
	s_and_not1_saveexec_b32 s3, s3
; %bb.111:
	v_and_b32_e32 v8, 0xffff, v80
	v_or_b32_e32 v9, 0x10000, v80
	s_delay_alu instid0(VALU_DEP_2) | instskip(NEXT) | instid1(VALU_DEP_2)
	v_cmp_eq_u32_e32 vcc_lo, 0, v8
	v_cndmask_b32_e32 v8, v9, v80, vcc_lo
; %bb.112:
	s_or_b32 exec_lo, exec_lo, s3
	s_delay_alu instid0(VALU_DEP_1)
	v_perm_b32 v7, v8, v7, 0x7060302
	v_perm_b32 v6, v6, v5, 0x7060302
	;; [unrolled: 1-line block ×4, first 2 shown]
	v_lshl_or_b32 v9, v83, 4, v90
	s_barrier
	buffer_gl0_inv
	v_cmp_eq_u32_e32 vcc_lo, 1, v87
	ds_store_b128 v9, v[4:7]
	s_waitcnt lgkmcnt(0)
	s_barrier
	buffer_gl0_inv
	ds_load_b128 v[1:4], v90
	ds_load_b128 v[5:8], v90 offset:16
	v_cmp_eq_u32_e64 s4, 2, v87
	v_cmp_eq_u32_e64 s3, 1, v88
	;; [unrolled: 1-line block ×5, first 2 shown]
	s_waitcnt lgkmcnt(1)
	v_lshrrev_b32_e32 v10, 16, v1
	s_waitcnt lgkmcnt(0)
	v_lshrrev_b32_e32 v14, 16, v5
	v_lshrrev_b32_e32 v15, 16, v6
	;; [unrolled: 1-line block ×4, first 2 shown]
	v_cndmask_b32_e64 v20, v1, v10, s3
	v_cndmask_b32_e32 v19, v5, v14, vcc_lo
	v_cndmask_b32_e64 v21, v5, v14, s3
	v_lshrrev_b32_e32 v16, 16, v7
	v_cmp_eq_u32_e64 s3, 1, v86
	v_lshrrev_b32_e32 v13, 16, v4
	v_cndmask_b32_e64 v19, v19, v6, s4
	v_lshrrev_b32_e32 v17, 16, v8
	s_delay_alu instid0(VALU_DEP_4) | instskip(SKIP_1) | instid1(VALU_DEP_4)
	v_cndmask_b32_e64 v22, v1, v10, s3
	v_cndmask_b32_e64 v23, v5, v14, s3
	;; [unrolled: 1-line block ×3, first 2 shown]
	v_cndmask_b32_e32 v18, v1, v10, vcc_lo
	v_cmp_eq_u32_e32 vcc_lo, 2, v88
	v_cmp_eq_u32_e64 s3, 2, v89
	v_cndmask_b32_e64 v22, v22, v2, s7
	v_cndmask_b32_e32 v20, v20, v2, vcc_lo
	v_cndmask_b32_e32 v21, v21, v6, vcc_lo
	v_cmp_eq_u32_e32 vcc_lo, 4, v87
	v_cndmask_b32_e32 v19, v19, v7, vcc_lo
	v_cndmask_b32_e64 v18, v18, v2, s4
	v_cmp_eq_u32_e64 s4, 3, v88
	s_delay_alu instid0(VALU_DEP_2) | instskip(NEXT) | instid1(VALU_DEP_2)
	v_cndmask_b32_e64 v18, v18, v11, s5
	v_cndmask_b32_e64 v21, v21, v15, s4
	v_cmp_eq_u32_e64 s5, 5, v87
	s_delay_alu instid0(VALU_DEP_3) | instskip(SKIP_1) | instid1(VALU_DEP_3)
	v_cndmask_b32_e32 v18, v18, v3, vcc_lo
	v_cmp_eq_u32_e32 vcc_lo, 4, v88
	v_cndmask_b32_e64 v19, v19, v16, s5
	s_delay_alu instid0(VALU_DEP_3) | instskip(SKIP_4) | instid1(VALU_DEP_3)
	v_cndmask_b32_e64 v18, v18, v12, s5
	v_cndmask_b32_e32 v21, v21, v7, vcc_lo
	v_cndmask_b32_e64 v20, v20, v11, s4
	v_cmp_eq_u32_e64 s4, 5, v88
	v_cmp_eq_u32_e64 s5, 6, v87
	v_cndmask_b32_e32 v20, v20, v3, vcc_lo
	s_delay_alu instid0(VALU_DEP_3) | instskip(SKIP_1) | instid1(VALU_DEP_4)
	v_cndmask_b32_e64 v21, v21, v16, s4
	v_cmp_eq_u32_e32 vcc_lo, 6, v88
	v_cndmask_b32_e64 v18, v18, v4, s5
	v_cndmask_b32_e64 v19, v19, v8, s5
	;; [unrolled: 1-line block ×3, first 2 shown]
	v_cmp_eq_u32_e64 s4, 1, v89
	v_cmp_eq_u32_e64 s5, 7, v87
	s_delay_alu instid0(VALU_DEP_3) | instskip(NEXT) | instid1(VALU_DEP_3)
	v_cndmask_b32_e32 v20, v20, v4, vcc_lo
	v_cndmask_b32_e64 v1, v1, v10, s4
	v_cndmask_b32_e64 v5, v5, v14, s4
	v_cmp_eq_u32_e64 s4, 3, v86
	v_cndmask_b32_e64 v14, v23, v6, s7
	v_cmp_eq_u32_e64 s7, 3, v89
	v_cndmask_b32_e64 v1, v1, v2, s3
	v_cndmask_b32_e64 v2, v5, v6, s3
	;; [unrolled: 1-line block ×3, first 2 shown]
	v_cmp_eq_u32_e64 s3, 4, v86
	v_cndmask_b32_e64 v6, v14, v15, s4
	v_cndmask_b32_e64 v1, v1, v11, s7
	v_cmp_eq_u32_e64 s4, 4, v89
	v_cndmask_b32_e64 v2, v2, v15, s7
	v_cndmask_b32_e64 v5, v10, v3, s3
	v_cmp_eq_u32_e64 s7, 5, v86
	v_cndmask_b32_e64 v6, v6, v7, s3
	v_cndmask_b32_e64 v1, v1, v3, s4
	v_cndmask_b32_e64 v2, v2, v7, s4
	v_cmp_eq_u32_e64 s3, 5, v89
	v_cndmask_b32_e64 v5, v5, v12, s7
	v_cmp_eq_u32_e64 s4, 6, v86
	;; [unrolled: 2-line block ×3, first 2 shown]
	v_cndmask_b32_e64 v1, v1, v12, s3
	v_cndmask_b32_e64 v2, v2, v16, s3
	;; [unrolled: 1-line block ×4, first 2 shown]
	v_cmp_eq_u32_e64 s3, 7, v89
	v_cndmask_b32_e64 v1, v1, v4, s7
	v_cndmask_b32_e64 v2, v2, v8, s7
	v_cmp_eq_u32_e64 s4, 7, v86
	v_cndmask_b32_e32 v4, v21, v8, vcc_lo
	v_cndmask_b32_e64 v18, v18, v13, s5
	v_cndmask_b32_e64 v20, v20, v13, s6
	;; [unrolled: 1-line block ×8, first 2 shown]
	v_cmp_gt_u32_e32 vcc_lo, 32, v0
	v_perm_b32 v4, v2, v1, 0x5040100
	v_perm_b32 v3, v3, v5, 0x5040100
	;; [unrolled: 1-line block ×4, first 2 shown]
	s_and_b32 s2, vcc_lo, s2
	ds_store_b128 v9, v[1:4]
	s_waitcnt lgkmcnt(0)
	s_barrier
	buffer_gl0_inv
	s_and_saveexec_b32 s3, s2
	s_cbranch_execz .LBB511_2
; %bb.113:
	s_load_b64 s[0:1], s[0:1], 0x68
	v_lshlrev_b32_e32 v0, 10, v0
	s_lshl_b32 s4, s34, 6
	v_or_b32_e32 v3, s31, v83
	s_mul_i32 s2, s4, s30
	v_lshlrev_b32_e32 v1, 4, v84
	v_lshlrev_b32_e32 v2, 6, v83
	v_and_b32_e32 v0, 0x3800, v0
	s_mul_i32 s2, s2, s8
	v_mul_lo_u32 v8, v3, s4
	s_ashr_i32 s3, s2, 31
	s_delay_alu instid0(SALU_CYCLE_1)
	s_lshl_b64 s[2:3], s[2:3], 1
	v_or3_b32 v16, v0, v1, v2
	ds_load_b128 v[0:3], v16
	ds_load_b128 v[4:7], v16 offset:128
	v_ashrrev_i32_e32 v9, 31, v8
	s_waitcnt lgkmcnt(0)
	s_add_u32 s2, s0, s2
	s_addc_u32 s3, s1, s3
	s_lshl_b32 s0, s14, 6
	s_delay_alu instid0(SALU_CYCLE_1) | instskip(SKIP_2) | instid1(SALU_CYCLE_1)
	s_ashr_i32 s1, s0, 31
	v_lshlrev_b64 v[9:10], 1, v[8:9]
	s_lshl_b64 s[0:1], s[0:1], 1
	s_add_u32 s0, s2, s0
	s_addc_u32 s1, s3, s1
	s_lshl_b32 s2, s34, 7
	v_add_co_u32 v30, vcc_lo, s0, v81
	v_add_nc_u32_e32 v11, s2, v8
	v_add_co_ci_u32_e32 v31, vcc_lo, s1, v82, vcc_lo
	s_delay_alu instid0(VALU_DEP_3) | instskip(NEXT) | instid1(VALU_DEP_3)
	v_add_co_u32 v9, vcc_lo, v30, v9
	v_add_nc_u32_e32 v8, s2, v11
	s_delay_alu instid0(VALU_DEP_3) | instskip(SKIP_1) | instid1(VALU_DEP_3)
	v_add_co_ci_u32_e32 v10, vcc_lo, v31, v10, vcc_lo
	v_ashrrev_i32_e32 v12, 31, v11
	v_add_nc_u32_e32 v13, s2, v8
	global_store_b128 v[9:10], v[0:3], off
	v_ashrrev_i32_e32 v9, 31, v8
	v_lshlrev_b64 v[11:12], 1, v[11:12]
	v_ashrrev_i32_e32 v14, 31, v13
	v_add_nc_u32_e32 v10, s2, v13
	s_delay_alu instid0(VALU_DEP_4) | instskip(NEXT) | instid1(VALU_DEP_4)
	v_lshlrev_b64 v[2:3], 1, v[8:9]
	v_add_co_u32 v0, vcc_lo, v30, v11
	s_delay_alu instid0(VALU_DEP_4)
	v_lshlrev_b64 v[8:9], 1, v[13:14]
	v_add_co_ci_u32_e32 v1, vcc_lo, v31, v12, vcc_lo
	v_ashrrev_i32_e32 v11, 31, v10
	v_add_co_u32 v22, vcc_lo, v30, v2
	v_add_nc_u32_e32 v20, s2, v10
	v_add_co_ci_u32_e32 v23, vcc_lo, v31, v3, vcc_lo
	v_add_co_u32 v24, vcc_lo, v30, v8
	global_store_b128 v[0:1], v[4:7], off
	v_add_co_ci_u32_e32 v25, vcc_lo, v31, v9, vcc_lo
	ds_load_b128 v[0:3], v16 offset:256
	ds_load_b128 v[4:7], v16 offset:384
	v_lshlrev_b64 v[26:27], 1, v[10:11]
	ds_load_b128 v[8:11], v16 offset:512
	ds_load_b128 v[12:15], v16 offset:640
	;; [unrolled: 1-line block ×3, first 2 shown]
	v_add_nc_u32_e32 v28, s2, v20
	v_ashrrev_i32_e32 v21, 31, v20
	v_add_co_u32 v26, vcc_lo, v30, v26
	s_delay_alu instid0(VALU_DEP_3) | instskip(NEXT) | instid1(VALU_DEP_3)
	v_ashrrev_i32_e32 v29, 31, v28
	v_lshlrev_b64 v[20:21], 1, v[20:21]
	v_add_co_ci_u32_e32 v27, vcc_lo, v31, v27, vcc_lo
	s_delay_alu instid0(VALU_DEP_3) | instskip(NEXT) | instid1(VALU_DEP_3)
	v_lshlrev_b64 v[28:29], 1, v[28:29]
	v_add_co_u32 v20, vcc_lo, v30, v20
	s_delay_alu instid0(VALU_DEP_4) | instskip(NEXT) | instid1(VALU_DEP_3)
	v_add_co_ci_u32_e32 v21, vcc_lo, v31, v21, vcc_lo
	v_add_co_u32 v28, vcc_lo, v30, v28
	s_delay_alu instid0(VALU_DEP_4)
	v_add_co_ci_u32_e32 v29, vcc_lo, v31, v29, vcc_lo
	s_waitcnt lgkmcnt(4)
	global_store_b128 v[22:23], v[0:3], off
	s_waitcnt lgkmcnt(3)
	global_store_b128 v[24:25], v[4:7], off
	;; [unrolled: 2-line block ×5, first 2 shown]
	s_nop 0
	s_sendmsg sendmsg(MSG_DEALLOC_VGPRS)
	s_endpgm
	.section	.rodata,"a",@progbits
	.p2align	6, 0x0
	.amdhsa_kernel _Z39paged_attention_ll4mi_QKV_mfma16_kernelI14__hip_bfloat16S0_LN4vllm18Fp8KVCacheDataTypeE0EhLi32ELi64ELi256ELb1ELi14EL8MFMAType0EEvPKT_PKT0_S9_ifPKiSB_SB_iPKfiiiPfSE_PS4_PT2_iSD_SD_
		.amdhsa_group_segment_fixed_size 17472
		.amdhsa_private_segment_fixed_size 0
		.amdhsa_kernarg_size 400
		.amdhsa_user_sgpr_count 13
		.amdhsa_user_sgpr_dispatch_ptr 0
		.amdhsa_user_sgpr_queue_ptr 0
		.amdhsa_user_sgpr_kernarg_segment_ptr 1
		.amdhsa_user_sgpr_dispatch_id 0
		.amdhsa_user_sgpr_private_segment_size 0
		.amdhsa_wavefront_size32 1
		.amdhsa_uses_dynamic_stack 0
		.amdhsa_enable_private_segment 0
		.amdhsa_system_sgpr_workgroup_id_x 1
		.amdhsa_system_sgpr_workgroup_id_y 1
		.amdhsa_system_sgpr_workgroup_id_z 1
		.amdhsa_system_sgpr_workgroup_info 0
		.amdhsa_system_vgpr_workitem_id 0
		.amdhsa_next_free_vgpr 142
		.amdhsa_next_free_sgpr 38
		.amdhsa_reserve_vcc 1
		.amdhsa_float_round_mode_32 0
		.amdhsa_float_round_mode_16_64 0
		.amdhsa_float_denorm_mode_32 3
		.amdhsa_float_denorm_mode_16_64 3
		.amdhsa_dx10_clamp 1
		.amdhsa_ieee_mode 1
		.amdhsa_fp16_overflow 0
		.amdhsa_workgroup_processor_mode 1
		.amdhsa_memory_ordered 1
		.amdhsa_forward_progress 0
		.amdhsa_shared_vgpr_count 0
		.amdhsa_exception_fp_ieee_invalid_op 0
		.amdhsa_exception_fp_denorm_src 0
		.amdhsa_exception_fp_ieee_div_zero 0
		.amdhsa_exception_fp_ieee_overflow 0
		.amdhsa_exception_fp_ieee_underflow 0
		.amdhsa_exception_fp_ieee_inexact 0
		.amdhsa_exception_int_div_zero 0
	.end_amdhsa_kernel
	.section	.text._Z39paged_attention_ll4mi_QKV_mfma16_kernelI14__hip_bfloat16S0_LN4vllm18Fp8KVCacheDataTypeE0EhLi32ELi64ELi256ELb1ELi14EL8MFMAType0EEvPKT_PKT0_S9_ifPKiSB_SB_iPKfiiiPfSE_PS4_PT2_iSD_SD_,"axG",@progbits,_Z39paged_attention_ll4mi_QKV_mfma16_kernelI14__hip_bfloat16S0_LN4vllm18Fp8KVCacheDataTypeE0EhLi32ELi64ELi256ELb1ELi14EL8MFMAType0EEvPKT_PKT0_S9_ifPKiSB_SB_iPKfiiiPfSE_PS4_PT2_iSD_SD_,comdat
.Lfunc_end511:
	.size	_Z39paged_attention_ll4mi_QKV_mfma16_kernelI14__hip_bfloat16S0_LN4vllm18Fp8KVCacheDataTypeE0EhLi32ELi64ELi256ELb1ELi14EL8MFMAType0EEvPKT_PKT0_S9_ifPKiSB_SB_iPKfiiiPfSE_PS4_PT2_iSD_SD_, .Lfunc_end511-_Z39paged_attention_ll4mi_QKV_mfma16_kernelI14__hip_bfloat16S0_LN4vllm18Fp8KVCacheDataTypeE0EhLi32ELi64ELi256ELb1ELi14EL8MFMAType0EEvPKT_PKT0_S9_ifPKiSB_SB_iPKfiiiPfSE_PS4_PT2_iSD_SD_
                                        ; -- End function
	.section	.AMDGPU.csdata,"",@progbits
; Kernel info:
; codeLenInByte = 9544
; NumSgprs: 40
; NumVgprs: 142
; ScratchSize: 0
; MemoryBound: 0
; FloatMode: 240
; IeeeMode: 1
; LDSByteSize: 17472 bytes/workgroup (compile time only)
; SGPRBlocks: 4
; VGPRBlocks: 17
; NumSGPRsForWavesPerEU: 40
; NumVGPRsForWavesPerEU: 142
; Occupancy: 10
; WaveLimiterHint : 1
; COMPUTE_PGM_RSRC2:SCRATCH_EN: 0
; COMPUTE_PGM_RSRC2:USER_SGPR: 13
; COMPUTE_PGM_RSRC2:TRAP_HANDLER: 0
; COMPUTE_PGM_RSRC2:TGID_X_EN: 1
; COMPUTE_PGM_RSRC2:TGID_Y_EN: 1
; COMPUTE_PGM_RSRC2:TGID_Z_EN: 1
; COMPUTE_PGM_RSRC2:TIDIG_COMP_CNT: 0
	.section	.text._Z39paged_attention_ll4mi_QKV_mfma16_kernelI14__hip_bfloat16S0_LN4vllm18Fp8KVCacheDataTypeE0EhLi32ELi64ELi256ELb1ELi15EL8MFMAType0EEvPKT_PKT0_S9_ifPKiSB_SB_iPKfiiiPfSE_PS4_PT2_iSD_SD_,"axG",@progbits,_Z39paged_attention_ll4mi_QKV_mfma16_kernelI14__hip_bfloat16S0_LN4vllm18Fp8KVCacheDataTypeE0EhLi32ELi64ELi256ELb1ELi15EL8MFMAType0EEvPKT_PKT0_S9_ifPKiSB_SB_iPKfiiiPfSE_PS4_PT2_iSD_SD_,comdat
	.protected	_Z39paged_attention_ll4mi_QKV_mfma16_kernelI14__hip_bfloat16S0_LN4vllm18Fp8KVCacheDataTypeE0EhLi32ELi64ELi256ELb1ELi15EL8MFMAType0EEvPKT_PKT0_S9_ifPKiSB_SB_iPKfiiiPfSE_PS4_PT2_iSD_SD_ ; -- Begin function _Z39paged_attention_ll4mi_QKV_mfma16_kernelI14__hip_bfloat16S0_LN4vllm18Fp8KVCacheDataTypeE0EhLi32ELi64ELi256ELb1ELi15EL8MFMAType0EEvPKT_PKT0_S9_ifPKiSB_SB_iPKfiiiPfSE_PS4_PT2_iSD_SD_
	.globl	_Z39paged_attention_ll4mi_QKV_mfma16_kernelI14__hip_bfloat16S0_LN4vllm18Fp8KVCacheDataTypeE0EhLi32ELi64ELi256ELb1ELi15EL8MFMAType0EEvPKT_PKT0_S9_ifPKiSB_SB_iPKfiiiPfSE_PS4_PT2_iSD_SD_
	.p2align	8
	.type	_Z39paged_attention_ll4mi_QKV_mfma16_kernelI14__hip_bfloat16S0_LN4vllm18Fp8KVCacheDataTypeE0EhLi32ELi64ELi256ELb1ELi15EL8MFMAType0EEvPKT_PKT0_S9_ifPKiSB_SB_iPKfiiiPfSE_PS4_PT2_iSD_SD_,@function
_Z39paged_attention_ll4mi_QKV_mfma16_kernelI14__hip_bfloat16S0_LN4vllm18Fp8KVCacheDataTypeE0EhLi32ELi64ELi256ELb1ELi15EL8MFMAType0EEvPKT_PKT0_S9_ifPKiSB_SB_iPKfiiiPfSE_PS4_PT2_iSD_SD_: ; @_Z39paged_attention_ll4mi_QKV_mfma16_kernelI14__hip_bfloat16S0_LN4vllm18Fp8KVCacheDataTypeE0EhLi32ELi64ELi256ELb1ELi15EL8MFMAType0EEvPKT_PKT0_S9_ifPKiSB_SB_iPKfiiiPfSE_PS4_PT2_iSD_SD_
; %bb.0:
	s_load_b64 s[2:3], s[0:1], 0x30
	s_mov_b32 s34, s13
	s_waitcnt lgkmcnt(0)
	s_cmp_lg_u64 s[2:3], 0
	s_cselect_b32 s6, -1, 0
	s_ashr_i32 s35, s13, 31
	s_cmp_eq_u64 s[2:3], 0
	s_cbranch_scc1 .LBB512_3
; %bb.1:
	s_lshl_b64 s[4:5], s[34:35], 2
	s_delay_alu instid0(SALU_CYCLE_1) | instskip(SKIP_4) | instid1(SALU_CYCLE_1)
	s_add_u32 s4, s2, s4
	s_addc_u32 s5, s3, s5
	s_load_b64 s[4:5], s[4:5], 0x0
	s_waitcnt lgkmcnt(0)
	s_sub_i32 s4, s5, s4
	s_cmp_eq_u32 s4, 1
	s_cselect_b32 s4, -1, 0
	s_delay_alu instid0(SALU_CYCLE_1)
	s_and_not1_b32 vcc_lo, exec_lo, s4
	s_cbranch_vccz .LBB512_4
.LBB512_2:
	s_nop 0
	s_sendmsg sendmsg(MSG_DEALLOC_VGPRS)
	s_endpgm
.LBB512_3:
.LBB512_4:
	s_load_b64 s[8:9], s[0:1], 0x28
	s_lshl_b64 s[4:5], s[34:35], 2
	s_waitcnt lgkmcnt(0)
	s_add_u32 s8, s8, s4
	s_addc_u32 s9, s9, s5
	s_lshl_b32 s16, s14, 8
	s_load_b32 s18, s[8:9], 0x0
	s_waitcnt lgkmcnt(0)
	s_cmp_ge_i32 s16, s18
	s_cbranch_scc1 .LBB512_2
; %bb.5:
	s_and_not1_b32 vcc_lo, exec_lo, s6
	s_cbranch_vccnz .LBB512_7
; %bb.6:
	s_add_u32 s2, s2, s4
	s_addc_u32 s3, s3, s5
	s_load_b32 s17, s[2:3], 0x0
	s_branch .LBB512_8
.LBB512_7:
	s_mov_b32 s17, s34
.LBB512_8:
	s_clause 0x2
	s_load_b128 s[8:11], s[0:1], 0x8
	s_load_b64 s[12:13], s[0:1], 0x20
	s_load_b128 s[4:7], s[0:1], 0x48
	v_lshrrev_b32_e32 v74, 5, v0
	v_bfe_u32 v83, v0, 4, 1
	v_and_b32_e32 v73, 15, v0
	s_delay_alu instid0(VALU_DEP_2) | instskip(NEXT) | instid1(VALU_DEP_2)
	v_lshl_or_b32 v3, v74, 1, v83
	v_cmp_lt_u32_e64 s3, 7, v73
	v_lshlrev_b32_e32 v1, 3, v73
	v_cmp_gt_u32_e64 s2, 8, v73
	s_delay_alu instid0(VALU_DEP_4) | instskip(NEXT) | instid1(VALU_DEP_4)
	v_cmp_lt_u32_e32 vcc_lo, 14, v3
	s_or_b32 s3, s3, vcc_lo
	s_waitcnt lgkmcnt(0)
	s_and_saveexec_b32 s7, s3
	s_delay_alu instid0(SALU_CYCLE_1)
	s_xor_b32 s3, exec_lo, s7
; %bb.9:
	v_mov_b32_e32 v2, 0
                                        ; implicit-def: $vgpr3
; %bb.10:
	s_or_saveexec_b32 s3, s3
	v_and_b32_e32 v75, 31, v0
	v_and_b32_e32 v84, 1, v0
	s_mul_i32 s31, s15, 15
	s_xor_b32 exec_lo, exec_lo, s3
	s_cbranch_execz .LBB512_12
; %bb.11:
	s_load_b64 s[20:21], s[0:1], 0x0
	v_add_lshl_u32 v4, v3, s31, 6
	s_mul_hi_i32 s23, s17, s4
	s_mul_i32 s22, s17, s4
	v_lshlrev_b32_e32 v2, 1, v1
	s_lshl_b64 s[22:23], s[22:23], 1
	v_ashrrev_i32_e32 v5, 31, v4
	v_lshlrev_b32_e32 v3, 6, v3
	v_lshlrev_b32_e32 v8, 10, v84
	s_delay_alu instid0(VALU_DEP_3) | instskip(SKIP_3) | instid1(VALU_DEP_1)
	v_lshlrev_b64 v[4:5], 1, v[4:5]
	s_waitcnt lgkmcnt(0)
	s_add_u32 s4, s20, s22
	s_addc_u32 s7, s21, s23
	v_add_co_u32 v4, vcc_lo, s4, v4
	s_delay_alu instid0(VALU_DEP_2) | instskip(NEXT) | instid1(VALU_DEP_2)
	v_add_co_ci_u32_e32 v5, vcc_lo, s7, v5, vcc_lo
	v_add_co_u32 v4, vcc_lo, v4, v2
	s_delay_alu instid0(VALU_DEP_2) | instskip(SKIP_3) | instid1(VALU_DEP_1)
	v_add_co_ci_u32_e32 v5, vcc_lo, 0, v5, vcc_lo
	v_lshlrev_b32_e32 v2, 10, v73
	global_load_b128 v[4:7], v[4:5], off
	v_and_b32_e32 v2, 0x3800, v2
	v_or3_b32 v3, v2, v8, v3
	v_mov_b32_e32 v2, 0
	s_waitcnt vmcnt(0)
	ds_store_b128 v3, v[4:7]
.LBB512_12:
	s_or_b32 exec_lo, exec_lo, s3
	v_and_b32_e32 v3, 0xef, v0
	s_add_i32 s3, s18, 31
	s_clause 0x1
	s_load_b32 s4, s[0:1], 0x38
	s_load_b32 s19, s[0:1], 0x1c
	s_ashr_i32 s7, s3, 31
	v_add_nc_u32_e32 v3, s16, v3
	s_lshr_b32 s7, s7, 27
	s_waitcnt lgkmcnt(0)
	s_add_i32 s3, s3, s7
	s_barrier
	v_ashrrev_i32_e32 v4, 31, v3
	v_cmp_gt_i32_e32 vcc_lo, s18, v3
	s_ashr_i32 s3, s3, 5
	buffer_gl0_inv
	s_add_i32 s3, s3, -1
	v_lshrrev_b32_e32 v5, 27, v4
	v_or_b32_e32 v4, 16, v3
	s_mul_i32 s6, s15, s6
	v_lshlrev_b64 v[81:82], 1, v[1:2]
	s_delay_alu instid0(VALU_DEP_3) | instskip(NEXT) | instid1(VALU_DEP_3)
	v_add_nc_u32_e32 v6, v3, v5
	v_add_nc_u32_e32 v5, v4, v5
	s_mul_i32 s20, s34, s4
	s_delay_alu instid0(SALU_CYCLE_1) | instskip(NEXT) | instid1(VALU_DEP_2)
	s_ashr_i32 s21, s20, 31
	v_ashrrev_i32_e32 v6, 5, v6
	s_delay_alu instid0(VALU_DEP_2) | instskip(SKIP_1) | instid1(SALU_CYCLE_1)
	v_ashrrev_i32_e32 v5, 5, v5
	s_lshl_b64 s[20:21], s[20:21], 2
	s_add_u32 s4, s12, s20
	s_delay_alu instid0(VALU_DEP_2) | instskip(SKIP_3) | instid1(SALU_CYCLE_1)
	v_cndmask_b32_e32 v3, s3, v6, vcc_lo
	v_cmp_gt_i32_e32 vcc_lo, s18, v4
	s_addc_u32 s17, s13, s21
	s_ashr_i32 s7, s6, 31
	s_lshl_b64 s[6:7], s[6:7], 1
	v_cndmask_b32_e32 v5, s3, v5, vcc_lo
	v_ashrrev_i32_e32 v4, 31, v3
	s_add_u32 s15, s8, s6
	s_addc_u32 s28, s9, s7
	s_lshl_b32 s8, s14, 3
	v_ashrrev_i32_e32 v6, 31, v5
	v_lshlrev_b64 v[3:4], 2, v[3:4]
	s_ashr_i32 s9, s8, 31
	s_delay_alu instid0(SALU_CYCLE_1) | instskip(NEXT) | instid1(VALU_DEP_2)
	s_lshl_b64 s[8:9], s[8:9], 2
	v_lshlrev_b64 v[5:6], 2, v[5:6]
	s_add_u32 s8, s4, s8
	s_delay_alu instid0(VALU_DEP_2) | instskip(SKIP_1) | instid1(VALU_DEP_3)
	v_add_co_u32 v3, vcc_lo, s4, v3
	v_add_co_ci_u32_e32 v4, vcc_lo, s17, v4, vcc_lo
	v_add_co_u32 v5, vcc_lo, s4, v5
	s_delay_alu instid0(VALU_DEP_4)
	v_add_co_ci_u32_e32 v6, vcc_lo, s17, v6, vcc_lo
	s_addc_u32 s9, s17, s9
	s_clause 0x1
	global_load_b32 v7, v[3:4], off
	global_load_b32 v8, v[5:6], off
	s_or_b32 s12, s16, 32
	s_delay_alu instid0(SALU_CYCLE_1) | instskip(SKIP_2) | instid1(SALU_CYCLE_1)
	s_ashr_i32 s13, s12, 5
	s_cmp_lt_i32 s12, s18
	s_cselect_b32 s12, s13, s3
	s_ashr_i32 s13, s12, 31
	s_delay_alu instid0(SALU_CYCLE_1) | instskip(NEXT) | instid1(SALU_CYCLE_1)
	s_lshl_b64 s[12:13], s[12:13], 2
	s_add_u32 s12, s4, s12
	s_addc_u32 s13, s17, s13
	s_or_b32 s20, s16, 64
	s_delay_alu instid0(SALU_CYCLE_1) | instskip(SKIP_2) | instid1(SALU_CYCLE_1)
	s_ashr_i32 s21, s20, 5
	s_cmp_lt_i32 s20, s18
	s_cselect_b32 s20, s21, s3
	s_ashr_i32 s21, s20, 31
	s_delay_alu instid0(SALU_CYCLE_1) | instskip(NEXT) | instid1(SALU_CYCLE_1)
	s_lshl_b64 s[20:21], s[20:21], 2
	s_add_u32 s20, s4, s20
	s_addc_u32 s21, s17, s21
	;; [unrolled: 10-line block ×5, first 2 shown]
	s_clause 0x5
	s_load_b32 s29, s[8:9], 0x0
	s_load_b32 s30, s[12:13], 0x0
	;; [unrolled: 1-line block ×6, first 2 shown]
	s_mov_b32 s20, 0
	s_or_b32 s8, s16, 0xc0
	s_mov_b32 s21, s20
	s_mov_b32 s22, s20
	;; [unrolled: 1-line block ×7, first 2 shown]
	s_ashr_i32 s9, s8, 5
	v_mov_b32_e32 v117, s27
	s_cmp_lt_i32 s8, s18
	v_mov_b32_e32 v116, s26
	s_cselect_b32 s8, s9, s3
	v_mov_b32_e32 v115, s25
	s_ashr_i32 s9, s8, 31
	v_dual_mov_b32 v114, s24 :: v_dual_mov_b32 v113, s23
	v_dual_mov_b32 v112, s22 :: v_dual_mov_b32 v111, s21
	s_lshl_b64 s[8:9], s[8:9], 2
	s_waitcnt lgkmcnt(0)
	s_mul_hi_i32 s13, s29, s5
	s_add_u32 s8, s4, s8
	s_addc_u32 s9, s17, s9
	s_mul_i32 s12, s29, s5
	s_mul_hi_i32 s37, s38, s5
	v_mov_b32_e32 v110, s20
	s_mul_hi_i32 s21, s30, s5
	s_mul_i32 s20, s30, s5
	s_mul_hi_i32 s25, s33, s5
	s_mul_i32 s24, s33, s5
	s_mul_hi_i32 s27, s35, s5
	s_mul_i32 s26, s35, s5
	s_waitcnt vmcnt(1)
	v_mad_i64_i32 v[3:4], null, v7, s5, 0
	s_waitcnt vmcnt(0)
	v_mad_i64_i32 v[5:6], null, v8, s5, 0
	s_delay_alu instid0(VALU_DEP_2) | instskip(NEXT) | instid1(VALU_DEP_2)
	v_lshlrev_b64 v[3:4], 1, v[3:4]
	v_lshlrev_b64 v[1:2], 1, v[5:6]
	s_delay_alu instid0(VALU_DEP_2) | instskip(NEXT) | instid1(VALU_DEP_3)
	v_add_co_u32 v3, vcc_lo, s15, v3
	v_add_co_ci_u32_e32 v4, vcc_lo, s28, v4, vcc_lo
	s_delay_alu instid0(VALU_DEP_3) | instskip(NEXT) | instid1(VALU_DEP_4)
	v_add_co_u32 v1, vcc_lo, s15, v1
	v_add_co_ci_u32_e32 v2, vcc_lo, s28, v2, vcc_lo
	s_delay_alu instid0(VALU_DEP_4) | instskip(NEXT) | instid1(VALU_DEP_4)
	v_add_co_u32 v41, vcc_lo, v3, v81
	v_add_co_ci_u32_e32 v42, vcc_lo, v4, v82, vcc_lo
	s_delay_alu instid0(VALU_DEP_4) | instskip(NEXT) | instid1(VALU_DEP_4)
	v_add_co_u32 v43, vcc_lo, v1, v81
	v_add_co_ci_u32_e32 v44, vcc_lo, v2, v82, vcc_lo
	s_clause 0xf
	global_load_b128 v[1:4], v[41:42], off
	global_load_b128 v[5:8], v[41:42], off offset:512
	global_load_b128 v[9:12], v[43:44], off offset:256
	global_load_b128 v[13:16], v[43:44], off offset:768
	global_load_b128 v[17:20], v[41:42], off offset:1024
	global_load_b128 v[21:24], v[41:42], off offset:1536
	global_load_b128 v[25:28], v[43:44], off offset:1280
	global_load_b128 v[29:32], v[43:44], off offset:1792
	global_load_b128 v[33:36], v[41:42], off offset:2048
	global_load_b128 v[37:40], v[41:42], off offset:2560
	global_load_b128 v[86:89], v[43:44], off offset:2304
	global_load_b128 v[90:93], v[43:44], off offset:2816
	global_load_b128 v[94:97], v[41:42], off offset:3072
	global_load_b128 v[98:101], v[41:42], off offset:3584
	global_load_b128 v[102:105], v[43:44], off offset:3328
	global_load_b128 v[106:109], v[43:44], off offset:3840
	v_cmp_ne_u32_e32 vcc_lo, 15, v73
	s_or_b32 s15, s16, 0xe0
	s_delay_alu instid0(SALU_CYCLE_1) | instskip(SKIP_3) | instid1(SALU_CYCLE_1)
	s_ashr_i32 s22, s15, 5
	s_cmp_lt_i32 s15, s18
	v_cndmask_b32_e32 v41, 0, v73, vcc_lo
	s_cselect_b32 s22, s22, s3
	s_ashr_i32 s23, s22, 31
	s_delay_alu instid0(VALU_DEP_1)
	v_lshlrev_b32_e32 v57, 6, v41
	ds_load_b128 v[41:44], v57
	ds_load_b128 v[45:48], v57 offset:1024
	ds_load_b128 v[49:52], v57 offset:2048
	;; [unrolled: 1-line block ×7, first 2 shown]
	s_lshl_b64 s[22:23], s[22:23], 2
	s_delay_alu instid0(SALU_CYCLE_1) | instskip(SKIP_2) | instid1(SALU_CYCLE_1)
	s_add_u32 s22, s4, s22
	s_addc_u32 s23, s17, s23
	s_add_i32 s15, s16, 0x100
	s_ashr_i32 s28, s15, 5
	s_cmp_lt_i32 s15, s18
	s_load_b32 s15, s[8:9], 0x0
	s_cselect_b32 s28, s28, s3
	s_mul_hi_i32 s9, s36, s5
	s_ashr_i32 s29, s28, 31
	s_mul_i32 s8, s36, s5
	s_lshl_b64 s[28:29], s[28:29], 2
	s_mul_i32 s36, s38, s5
	s_add_u32 s28, s4, s28
	s_addc_u32 s29, s17, s29
	s_add_u32 s3, s10, s6
	s_clause 0x1
	s_load_b32 s4, s[22:23], 0x0
	s_load_b32 s17, s[28:29], 0x0
	s_addc_u32 s28, s11, s7
	s_lshl_b64 s[6:7], s[12:13], 1
	s_lshl_b64 s[10:11], s[20:21], 1
	;; [unrolled: 1-line block ×6, first 2 shown]
	s_waitcnt lgkmcnt(0)
	s_mul_hi_i32 s25, s15, s5
	s_mul_i32 s24, s15, s5
	s_waitcnt vmcnt(14)
	v_wmma_f32_16x16x16_bf16 v[134:141], v[1:8], v[41:48], v[110:117]
	s_waitcnt vmcnt(10)
	s_delay_alu instid0(VALU_DEP_1) | instskip(SKIP_1) | instid1(VALU_DEP_1)
	v_wmma_f32_16x16x16_bf16 v[134:141], v[17:24], v[49:56], v[134:141]
	s_waitcnt vmcnt(6)
	v_wmma_f32_16x16x16_bf16 v[134:141], v[33:40], v[118:125], v[134:141]
	s_waitcnt vmcnt(2)
	s_delay_alu instid0(VALU_DEP_1) | instskip(SKIP_1) | instid1(VALU_DEP_2)
	v_wmma_f32_16x16x16_bf16 v[134:141], v[94:101], v[126:133], v[134:141]
	v_lshlrev_b32_e32 v85, 6, v73
	v_mul_f32_e32 v100, s19, v141
	s_delay_alu instid0(VALU_DEP_2) | instskip(SKIP_1) | instid1(VALU_DEP_2)
	v_lshl_or_b32 v58, v74, 10, v85
	v_wmma_f32_16x16x16_bf16 v[110:117], v[9:16], v[41:48], v[110:117]
	v_add_co_u32 v76, s3, s3, v58
	s_delay_alu instid0(VALU_DEP_1) | instskip(NEXT) | instid1(VALU_DEP_3)
	v_add_co_ci_u32_e64 v77, null, s28, 0, s3
	v_wmma_f32_16x16x16_bf16 v[110:117], v[25:32], v[49:56], v[110:117]
	s_delay_alu instid0(VALU_DEP_3) | instskip(NEXT) | instid1(VALU_DEP_3)
	v_add_co_u32 v57, vcc_lo, v76, s6
	v_add_co_ci_u32_e32 v58, vcc_lo, s7, v77, vcc_lo
	v_add_co_u32 v1, vcc_lo, v76, s10
	v_add_co_ci_u32_e32 v2, vcc_lo, s11, v77, vcc_lo
	;; [unrolled: 2-line block ×5, first 2 shown]
	s_clause 0x9
	global_load_b128 v[65:68], v[57:58], off
	global_load_b128 v[69:72], v[57:58], off offset:16
	global_load_b128 v[57:60], v[1:2], off
	global_load_b128 v[61:64], v[1:2], off offset:16
	;; [unrolled: 2-line block ×5, first 2 shown]
	v_add_co_u32 v5, vcc_lo, v76, s22
	s_lshl_b64 s[6:7], s[24:25], 1
	v_add_co_ci_u32_e32 v6, vcc_lo, s23, v77, vcc_lo
	s_mul_hi_i32 s9, s4, s5
	s_mul_i32 s8, s4, s5
	v_add_co_u32 v17, vcc_lo, v76, s6
	v_add_co_ci_u32_e32 v18, vcc_lo, s7, v77, vcc_lo
	s_lshl_b64 s[6:7], s[8:9], 1
	s_mul_hi_i32 s9, s17, s5
	s_mul_i32 s8, s17, s5
	v_add_co_u32 v19, vcc_lo, v76, s6
	s_lshl_b64 s[4:5], s[8:9], 1
	v_add_co_ci_u32_e32 v20, vcc_lo, s7, v77, vcc_lo
	v_add_co_u32 v21, vcc_lo, v76, s4
	v_add_co_ci_u32_e32 v22, vcc_lo, s5, v77, vcc_lo
	s_clause 0x7
	global_load_b128 v[1:4], v[5:6], off
	global_load_b128 v[5:8], v[5:6], off offset:16
	global_load_b128 v[33:36], v[17:18], off
	global_load_b128 v[37:40], v[17:18], off offset:16
	global_load_b128 v[25:28], v[19:20], off
	global_load_b128 v[29:32], v[19:20], off offset:16
	global_load_b128 v[17:20], v[21:22], off
	global_load_b128 v[21:24], v[21:22], off offset:16
	v_and_b32_e32 v76, 0xe0, v0
	v_mbcnt_lo_u32_b32 v77, -1, 0
	v_wmma_f32_16x16x16_bf16 v[110:117], v[86:93], v[118:125], v[110:117]
	s_waitcnt vmcnt(0)
	s_barrier
	v_add_nc_u32_e32 v76, s16, v76
	v_xor_b32_e32 v78, 16, v77
	v_wmma_f32_16x16x16_bf16 v[110:117], v[102:109], v[126:133], v[110:117]
	v_mul_f32_e32 v97, s19, v134
	v_mul_f32_e32 v99, s19, v135
	v_or_b32_e32 v76, v76, v83
	v_cmp_gt_i32_e32 vcc_lo, 32, v78
	buffer_gl0_inv
	v_or_b32_e32 v79, 4, v76
	v_cndmask_b32_e32 v77, v77, v78, vcc_lo
	v_or_b32_e32 v78, 2, v76
	v_or_b32_e32 v80, 6, v76
	;; [unrolled: 1-line block ×3, first 2 shown]
	v_cmp_gt_i32_e32 vcc_lo, s18, v76
	v_or_b32_e32 v87, 10, v76
	v_cmp_gt_i32_e64 s3, s18, v78
	v_or_b32_e32 v88, 12, v76
	v_or_b32_e32 v89, 14, v76
	;; [unrolled: 1-line block ×10, first 2 shown]
	v_cndmask_b32_e64 v78, 0xff7fffff, v99, s3
	v_mul_f32_e32 v99, s19, v137
	v_cmp_gt_i32_e64 s4, s18, v80
	v_mul_f32_e32 v80, s19, v136
	v_cmp_gt_i32_e64 s5, s18, v79
	v_cmp_gt_i32_e64 s6, s18, v86
	v_mul_f32_e32 v86, s19, v116
	v_cndmask_b32_e32 v76, 0xff7fffff, v97, vcc_lo
	v_mul_f32_e32 v79, s19, v139
	v_cndmask_b32_e64 v80, 0xff7fffff, v80, s5
	v_cndmask_b32_e64 v99, 0xff7fffff, v99, s4
	v_cmp_gt_i32_e64 s7, s18, v87
	v_max3_f32 v76, v76, 0xff7fffff, v78
	v_dual_mul_f32 v78, s19, v138 :: v_dual_mul_f32 v97, s19, v140
	v_cmp_gt_i32_e64 s8, s18, v89
	s_delay_alu instid0(VALU_DEP_4) | instskip(NEXT) | instid1(VALU_DEP_4)
	v_cndmask_b32_e64 v79, 0xff7fffff, v79, s7
	v_max3_f32 v76, v76, v80, v99
	s_delay_alu instid0(VALU_DEP_4) | instskip(SKIP_3) | instid1(VALU_DEP_4)
	v_cndmask_b32_e64 v78, 0xff7fffff, v78, s6
	v_cmp_gt_i32_e64 s9, s18, v88
	v_dual_mul_f32 v88, s19, v111 :: v_dual_mul_f32 v89, s19, v110
	v_cndmask_b32_e64 v100, 0xff7fffff, v100, s8
	v_max3_f32 v76, v76, v78, v79
	s_delay_alu instid0(VALU_DEP_4) | instskip(SKIP_3) | instid1(VALU_DEP_4)
	v_cndmask_b32_e64 v97, 0xff7fffff, v97, s9
	v_cmp_gt_i32_e64 s10, s18, v90
	v_cmp_gt_i32_e64 s11, s18, v91
	v_dual_mul_f32 v78, s19, v113 :: v_dual_mul_f32 v79, s19, v112
	v_max3_f32 v76, v76, v97, v100
	s_delay_alu instid0(VALU_DEP_4) | instskip(NEXT) | instid1(VALU_DEP_4)
	v_cndmask_b32_e64 v89, 0xff7fffff, v89, s10
	v_cndmask_b32_e64 v88, 0xff7fffff, v88, s11
	v_cmp_gt_i32_e64 s12, s18, v92
	v_cmp_gt_i32_e64 s13, s18, v93
	v_mul_f32_e32 v87, s19, v115
	v_mul_f32_e32 v99, s19, v114
	v_max3_f32 v76, v76, v89, v88
	v_cndmask_b32_e64 v79, 0xff7fffff, v79, s12
	v_cndmask_b32_e64 v78, 0xff7fffff, v78, s13
	v_cmp_gt_i32_e64 s15, s18, v94
	v_cmp_gt_i32_e64 s16, s18, v95
	v_mul_f32_e32 v80, s19, v117
	v_cmp_gt_i32_e64 s17, s18, v96
	v_max3_f32 v76, v76, v79, v78
	v_cndmask_b32_e64 v88, 0xff7fffff, v99, s15
	v_cndmask_b32_e64 v87, 0xff7fffff, v87, s16
	v_cmp_gt_i32_e64 s18, s18, v98
	v_cndmask_b32_e64 v78, 0xff7fffff, v86, s17
	v_lshlrev_b32_e32 v99, 2, v77
	s_delay_alu instid0(VALU_DEP_4) | instskip(NEXT) | instid1(VALU_DEP_4)
	v_max3_f32 v76, v76, v88, v87
	v_cndmask_b32_e64 v79, 0xff7fffff, v80, s18
	s_delay_alu instid0(VALU_DEP_1) | instskip(SKIP_3) | instid1(VALU_DEP_1)
	v_max3_f32 v76, v76, v78, v79
	ds_bpermute_b32 v77, v99, v76
	s_waitcnt lgkmcnt(0)
	v_max_f32_e32 v77, v77, v77
	v_max_f32_e32 v76, v76, v77
	s_delay_alu instid0(VALU_DEP_1)
	v_fma_f32 v86, s19, v138, -v76
	v_fma_f32 v77, s19, v134, -v76
	;; [unrolled: 1-line block ×5, first 2 shown]
	v_mul_f32_e32 v86, 0x3fb8aa3b, v86
	v_fma_f32 v88, s19, v114, -v76
	s_delay_alu instid0(VALU_DEP_4) | instskip(NEXT) | instid1(VALU_DEP_4)
	v_dual_mul_f32 v78, 0x3fb8aa3b, v78 :: v_dual_mul_f32 v79, 0x3fb8aa3b, v79
	v_mul_f32_e32 v80, 0x3fb8aa3b, v80
	s_delay_alu instid0(VALU_DEP_4) | instskip(SKIP_1) | instid1(VALU_DEP_3)
	v_exp_f32_e32 v86, v86
	v_fma_f32 v87, s19, v140, -v76
	v_exp_f32_e32 v78, v78
	v_exp_f32_e32 v79, v79
	;; [unrolled: 1-line block ×3, first 2 shown]
	s_delay_alu instid0(VALU_DEP_1)
	v_dual_mul_f32 v88, 0x3fb8aa3b, v88 :: v_dual_mul_f32 v87, 0x3fb8aa3b, v87
	v_fma_f32 v100, s19, v117, -v76
	v_fma_f32 v90, s19, v116, -v76
	v_cndmask_b32_e64 v96, 0, v86, s6
	v_fma_f32 v86, s19, v111, -v76
	v_mul_f32_e32 v77, 0x3fb8aa3b, v77
	s_delay_alu instid0(TRANS32_DEP_3) | instskip(NEXT) | instid1(TRANS32_DEP_2)
	v_cndmask_b32_e64 v91, 0, v78, s3
	v_cndmask_b32_e64 v93, 0, v79, s5
	s_delay_alu instid0(TRANS32_DEP_1)
	v_cndmask_b32_e64 v95, 0, v80, s4
	v_mul_f32_e32 v86, 0x3fb8aa3b, v86
	v_exp_f32_e32 v77, v77
	v_fma_f32 v79, s19, v141, -v76
	v_fma_f32 v80, s19, v110, -v76
	v_exp_f32_e32 v87, v87
	v_exp_f32_e32 v86, v86
	s_delay_alu instid0(VALU_DEP_2) | instskip(NEXT) | instid1(VALU_DEP_2)
	v_dual_mul_f32 v100, 0x3fb8aa3b, v100 :: v_dual_mul_f32 v79, 0x3fb8aa3b, v79
	v_mul_f32_e32 v80, 0x3fb8aa3b, v80
	v_exp_f32_e32 v88, v88
	v_cmp_gt_u32_e64 s3, 16, v75
	v_cndmask_b32_e32 v92, 0, v77, vcc_lo
	v_fma_f32 v77, s19, v139, -v76
	v_exp_f32_e32 v79, v79
	v_exp_f32_e32 v80, v80
	v_cndmask_b32_e64 v94, 0, v87, s9
	s_delay_alu instid0(VALU_DEP_2) | instskip(SKIP_2) | instid1(VALU_DEP_2)
	v_dual_add_f32 v78, 0, v92 :: v_dual_mul_f32 v77, 0x3fb8aa3b, v77
	v_fma_f32 v87, s19, v113, -v76
	v_exp_f32_e32 v100, v100
	v_add_f32_e32 v78, v78, v91
	s_delay_alu instid0(VALU_DEP_3) | instskip(SKIP_1) | instid1(VALU_DEP_2)
	v_exp_f32_e32 v77, v77
	v_cndmask_b32_e64 v98, 0, v79, s8
	v_dual_mul_f32 v87, 0x3fb8aa3b, v87 :: v_dual_add_f32 v78, v78, v93
	s_delay_alu instid0(VALU_DEP_1) | instskip(NEXT) | instid1(VALU_DEP_1)
	v_exp_f32_e32 v87, v87
	v_add_f32_e32 v78, v78, v95
	s_waitcnt_depctr 0xfff
	v_cndmask_b32_e64 v97, 0, v77, s7
	v_add_f32_e32 v77, v78, v96
	v_fma_f32 v78, s19, v112, -v76
	s_delay_alu instid0(VALU_DEP_1) | instskip(NEXT) | instid1(VALU_DEP_1)
	v_mul_f32_e32 v78, 0x3fb8aa3b, v78
	v_exp_f32_e32 v89, v78
	v_cndmask_b32_e64 v78, 0, v86, s11
	v_add_f32_e32 v77, v77, v97
	s_delay_alu instid0(VALU_DEP_1) | instskip(SKIP_2) | instid1(VALU_DEP_1)
	v_add_f32_e32 v79, v77, v94
	v_cndmask_b32_e64 v77, 0, v80, s10
	v_fma_f32 v80, s19, v115, -v76
	v_dual_add_f32 v79, v79, v98 :: v_dual_mul_f32 v80, 0x3fb8aa3b, v80
	s_delay_alu instid0(VALU_DEP_1) | instskip(NEXT) | instid1(TRANS32_DEP_1)
	v_add_f32_e32 v86, v79, v77
	v_cndmask_b32_e64 v79, 0, v89, s12
	v_mul_f32_e32 v89, 0x3fb8aa3b, v90
	s_delay_alu instid0(VALU_DEP_4) | instskip(SKIP_2) | instid1(VALU_DEP_3)
	v_exp_f32_e32 v90, v80
	v_cndmask_b32_e64 v80, 0, v87, s13
	v_add_f32_e32 v86, v86, v78
	v_exp_f32_e32 v89, v89
	s_delay_alu instid0(VALU_DEP_1) | instskip(SKIP_1) | instid1(VALU_DEP_2)
	v_add_f32_e32 v87, v86, v79
	v_cndmask_b32_e64 v86, 0, v88, s15
	v_add_f32_e32 v88, v87, v80
	s_delay_alu instid0(TRANS32_DEP_2) | instskip(NEXT) | instid1(VALU_DEP_2)
	v_cndmask_b32_e64 v87, 0, v90, s16
	v_add_f32_e32 v90, v88, v86
	s_waitcnt_depctr 0xfff
	v_cndmask_b32_e64 v88, 0, v89, s17
	v_add_f32_e32 v89, v90, v87
	s_delay_alu instid0(VALU_DEP_1) | instskip(SKIP_1) | instid1(VALU_DEP_1)
	v_add_f32_e32 v90, v89, v88
	v_cndmask_b32_e64 v89, 0, v100, s18
	v_add_f32_e32 v90, v90, v89
	ds_bpermute_b32 v99, v99, v90
	s_and_saveexec_b32 s4, s3
	s_cbranch_execz .LBB512_14
; %bb.13:
	v_mul_u32_u24_e32 v75, 0x44, v74
	s_waitcnt lgkmcnt(0)
	v_add_f32_e32 v90, v90, v99
	s_delay_alu instid0(VALU_DEP_2) | instskip(NEXT) | instid1(VALU_DEP_1)
	v_lshl_add_u32 v75, v73, 2, v75
	v_add_nc_u32_e32 v75, 0x4000, v75
	ds_store_2addr_b32 v75, v76, v90 offset1:136
.LBB512_14:
	s_or_b32 exec_lo, exec_lo, s4
	v_lshlrev_b32_e32 v75, 2, v73
	s_waitcnt lgkmcnt(0)
	s_barrier
	buffer_gl0_inv
	v_cmp_eq_u32_e64 s4, 1, v74
	v_add_nc_u32_e32 v90, 0x4000, v75
	ds_load_2addr_b32 v[99:100], v90 offset1:17
	ds_load_2addr_b32 v[101:102], v90 offset0:34 offset1:51
	ds_load_2addr_b32 v[103:104], v90 offset0:68 offset1:85
	;; [unrolled: 1-line block ×4, first 2 shown]
	s_waitcnt lgkmcnt(4)
	v_max3_f32 v75, v99, 0xff7fffff, v100
	s_waitcnt lgkmcnt(3)
	s_delay_alu instid0(VALU_DEP_1) | instskip(SKIP_1) | instid1(VALU_DEP_1)
	v_max3_f32 v75, v75, v101, v102
	s_waitcnt lgkmcnt(2)
	v_max3_f32 v75, v75, v103, v104
	s_waitcnt lgkmcnt(1)
	s_delay_alu instid0(VALU_DEP_1) | instskip(NEXT) | instid1(VALU_DEP_1)
	v_max3_f32 v75, v75, v105, v106
	v_sub_f32_e32 v109, v100, v75
	v_sub_f32_e32 v76, v99, v75
	ds_load_2addr_b32 v[99:100], v90 offset0:170 offset1:187
	v_sub_f32_e32 v101, v101, v75
	v_dual_mul_f32 v109, 0x3fb8aa3b, v109 :: v_dual_mul_f32 v76, 0x3fb8aa3b, v76
	s_delay_alu instid0(VALU_DEP_2) | instskip(NEXT) | instid1(VALU_DEP_2)
	v_mul_f32_e32 v111, 0x3fb8aa3b, v101
	v_exp_f32_e32 v109, v109
	s_delay_alu instid0(VALU_DEP_2)
	v_exp_f32_e32 v110, v76
	v_sub_f32_e32 v76, v102, v75
	ds_load_2addr_b32 v[101:102], v90 offset0:204 offset1:221
	v_exp_f32_e32 v111, v111
	v_mul_f32_e32 v112, 0x3fb8aa3b, v76
	s_waitcnt lgkmcnt(2)
	v_fma_f32 v76, v110, v107, 0
	v_sub_f32_e32 v103, v103, v75
	s_delay_alu instid0(VALU_DEP_3) | instskip(NEXT) | instid1(VALU_DEP_2)
	v_exp_f32_e32 v112, v112
	v_dual_sub_f32 v107, v104, v75 :: v_dual_fmac_f32 v76, v109, v108
	s_waitcnt lgkmcnt(1)
	s_waitcnt_depctr 0xfff
	v_fmac_f32_e32 v76, v111, v99
	v_mul_f32_e32 v113, 0x3fb8aa3b, v103
	ds_load_2addr_b32 v[103:104], v90 offset0:238 offset1:255
	v_sub_f32_e32 v90, v105, v75
	v_dual_sub_f32 v99, v106, v75 :: v_dual_fmac_f32 v76, v112, v100
	v_mul_f32_e32 v105, 0x3fb8aa3b, v107
	v_exp_f32_e32 v107, v113
	s_delay_alu instid0(VALU_DEP_2)
	v_dual_mul_f32 v90, 0x3fb8aa3b, v90 :: v_dual_mul_f32 v99, 0x3fb8aa3b, v99
	s_waitcnt lgkmcnt(0)
	s_barrier
	buffer_gl0_inv
	v_exp_f32_e32 v90, v90
	v_exp_f32_e32 v99, v99
	v_fmac_f32_e32 v76, v107, v101
	v_exp_f32_e32 v105, v105
	s_waitcnt_depctr 0xfff
	v_fmac_f32_e32 v76, v105, v102
	s_delay_alu instid0(VALU_DEP_1) | instskip(NEXT) | instid1(VALU_DEP_1)
	v_fmac_f32_e32 v76, v90, v103
	v_fmac_f32_e32 v76, v99, v104
	s_delay_alu instid0(VALU_DEP_1) | instskip(NEXT) | instid1(VALU_DEP_1)
	v_add_f32_e32 v100, 0x358637bd, v76
	v_div_scale_f32 v101, null, v100, v100, 1.0
	v_div_scale_f32 v104, vcc_lo, 1.0, v100, 1.0
	s_delay_alu instid0(VALU_DEP_2) | instskip(SKIP_2) | instid1(VALU_DEP_1)
	v_rcp_f32_e32 v102, v101
	s_waitcnt_depctr 0xfff
	v_fma_f32 v103, -v101, v102, 1.0
	v_fmac_f32_e32 v102, v103, v102
	v_cndmask_b32_e64 v103, v110, v109, s4
	v_cmp_eq_u32_e64 s4, 2, v74
	s_delay_alu instid0(VALU_DEP_3) | instskip(NEXT) | instid1(VALU_DEP_2)
	v_mul_f32_e32 v106, v104, v102
	v_cndmask_b32_e64 v103, v103, v111, s4
	v_cmp_eq_u32_e64 s4, 3, v74
	s_delay_alu instid0(VALU_DEP_3) | instskip(NEXT) | instid1(VALU_DEP_2)
	v_fma_f32 v108, -v101, v106, v104
	v_cndmask_b32_e64 v103, v103, v112, s4
	v_cmp_eq_u32_e64 s4, 4, v74
	s_delay_alu instid0(VALU_DEP_3) | instskip(NEXT) | instid1(VALU_DEP_2)
	v_fmac_f32_e32 v106, v108, v102
	v_cndmask_b32_e64 v103, v103, v107, s4
	s_delay_alu instid0(VALU_DEP_2) | instskip(SKIP_1) | instid1(VALU_DEP_2)
	v_fma_f32 v101, -v101, v106, v104
	v_cmp_eq_u32_e64 s4, 5, v74
	v_div_fmas_f32 v101, v101, v102, v106
	s_delay_alu instid0(VALU_DEP_2) | instskip(SKIP_2) | instid1(VALU_DEP_3)
	v_cndmask_b32_e64 v103, v103, v105, s4
	v_cmp_eq_u32_e32 vcc_lo, 6, v74
	s_mov_b32 s4, exec_lo
	v_div_fixup_f32 v100, v101, v100, 1.0
	s_delay_alu instid0(VALU_DEP_3) | instskip(SKIP_1) | instid1(VALU_DEP_2)
	v_cndmask_b32_e32 v90, v103, v90, vcc_lo
	v_cmp_eq_u32_e32 vcc_lo, 7, v74
	v_cndmask_b32_e32 v90, v90, v99, vcc_lo
	s_delay_alu instid0(VALU_DEP_1) | instskip(NEXT) | instid1(VALU_DEP_1)
	v_mul_f32_e32 v90, v90, v100
	v_mul_f32_e32 v100, v90, v92
	;; [unrolled: 1-line block ×6, first 2 shown]
	v_and_b32_e32 v101, 0x7f800000, v100
	v_mul_f32_e32 v99, v90, v95
	v_mul_f32_e32 v95, v90, v91
	;; [unrolled: 1-line block ×3, first 2 shown]
                                        ; implicit-def: $vgpr91
	s_delay_alu instid0(VALU_DEP_4)
	v_cmpx_ne_u32_e32 0x7f800000, v101
	s_xor_b32 s4, exec_lo, s4
; %bb.15:
	v_bfe_u32 v91, v100, 16, 1
	s_delay_alu instid0(VALU_DEP_1)
	v_add3_u32 v91, v100, v91, 0x7fff
                                        ; implicit-def: $vgpr100
; %bb.16:
	s_and_not1_saveexec_b32 s4, s4
; %bb.17:
	v_and_b32_e32 v91, 0xffff, v100
	v_or_b32_e32 v93, 0x10000, v100
	s_delay_alu instid0(VALU_DEP_2) | instskip(NEXT) | instid1(VALU_DEP_2)
	v_cmp_eq_u32_e32 vcc_lo, 0, v91
	v_cndmask_b32_e32 v91, v93, v100, vcc_lo
; %bb.18:
	s_or_b32 exec_lo, exec_lo, s4
	v_and_b32_e32 v93, 0x7f800000, v95
	s_delay_alu instid0(VALU_DEP_1) | instskip(SKIP_1) | instid1(SALU_CYCLE_1)
	v_cmp_ne_u32_e32 vcc_lo, 0x7f800000, v93
                                        ; implicit-def: $vgpr93
	s_and_saveexec_b32 s4, vcc_lo
	s_xor_b32 s4, exec_lo, s4
; %bb.19:
	v_bfe_u32 v93, v95, 16, 1
	s_delay_alu instid0(VALU_DEP_1)
	v_add3_u32 v93, v95, v93, 0x7fff
                                        ; implicit-def: $vgpr95
; %bb.20:
	s_and_not1_saveexec_b32 s4, s4
; %bb.21:
	v_and_b32_e32 v93, 0xffff, v95
	v_or_b32_e32 v100, 0x10000, v95
	s_delay_alu instid0(VALU_DEP_2) | instskip(NEXT) | instid1(VALU_DEP_2)
	v_cmp_eq_u32_e32 vcc_lo, 0, v93
	v_cndmask_b32_e32 v93, v100, v95, vcc_lo
; %bb.22:
	s_or_b32 exec_lo, exec_lo, s4
	v_and_b32_e32 v95, 0x7f800000, v96
	s_delay_alu instid0(VALU_DEP_1) | instskip(SKIP_1) | instid1(SALU_CYCLE_1)
	v_cmp_ne_u32_e32 vcc_lo, 0x7f800000, v95
                                        ; implicit-def: $vgpr95
	s_and_saveexec_b32 s4, vcc_lo
	s_xor_b32 s4, exec_lo, s4
; %bb.23:
	v_bfe_u32 v95, v96, 16, 1
	s_delay_alu instid0(VALU_DEP_1)
	v_add3_u32 v95, v96, v95, 0x7fff
                                        ; implicit-def: $vgpr96
; %bb.24:
	s_and_not1_saveexec_b32 s4, s4
; %bb.25:
	v_and_b32_e32 v95, 0xffff, v96
	v_or_b32_e32 v100, 0x10000, v96
	s_delay_alu instid0(VALU_DEP_2) | instskip(NEXT) | instid1(VALU_DEP_2)
	v_cmp_eq_u32_e32 vcc_lo, 0, v95
	v_cndmask_b32_e32 v95, v100, v96, vcc_lo
; %bb.26:
	s_or_b32 exec_lo, exec_lo, s4
	v_and_b32_e32 v96, 0x7f800000, v99
	s_delay_alu instid0(VALU_DEP_1) | instskip(SKIP_1) | instid1(SALU_CYCLE_1)
	v_cmp_ne_u32_e32 vcc_lo, 0x7f800000, v96
                                        ; implicit-def: $vgpr96
	s_and_saveexec_b32 s4, vcc_lo
	s_xor_b32 s4, exec_lo, s4
; %bb.27:
	v_bfe_u32 v96, v99, 16, 1
	s_delay_alu instid0(VALU_DEP_1)
	v_add3_u32 v96, v99, v96, 0x7fff
                                        ; implicit-def: $vgpr99
; %bb.28:
	s_and_not1_saveexec_b32 s4, s4
; %bb.29:
	v_and_b32_e32 v96, 0xffff, v99
	v_or_b32_e32 v100, 0x10000, v99
	s_delay_alu instid0(VALU_DEP_2) | instskip(NEXT) | instid1(VALU_DEP_2)
	v_cmp_eq_u32_e32 vcc_lo, 0, v96
	v_cndmask_b32_e32 v96, v100, v99, vcc_lo
; %bb.30:
	s_or_b32 exec_lo, exec_lo, s4
	v_and_b32_e32 v99, 0x7f800000, v98
	s_delay_alu instid0(VALU_DEP_1) | instskip(SKIP_1) | instid1(SALU_CYCLE_1)
	v_cmp_ne_u32_e32 vcc_lo, 0x7f800000, v99
                                        ; implicit-def: $vgpr99
	s_and_saveexec_b32 s4, vcc_lo
	s_xor_b32 s4, exec_lo, s4
; %bb.31:
	v_bfe_u32 v99, v98, 16, 1
	s_delay_alu instid0(VALU_DEP_1)
	v_add3_u32 v99, v98, v99, 0x7fff
                                        ; implicit-def: $vgpr98
; %bb.32:
	s_and_not1_saveexec_b32 s4, s4
; %bb.33:
	v_and_b32_e32 v99, 0xffff, v98
	v_or_b32_e32 v100, 0x10000, v98
	s_delay_alu instid0(VALU_DEP_2) | instskip(NEXT) | instid1(VALU_DEP_2)
	v_cmp_eq_u32_e32 vcc_lo, 0, v99
	v_cndmask_b32_e32 v99, v100, v98, vcc_lo
; %bb.34:
	s_or_b32 exec_lo, exec_lo, s4
	v_and_b32_e32 v98, 0x7f800000, v97
	s_delay_alu instid0(VALU_DEP_1) | instskip(SKIP_1) | instid1(SALU_CYCLE_1)
	v_cmp_ne_u32_e32 vcc_lo, 0x7f800000, v98
                                        ; implicit-def: $vgpr98
	s_and_saveexec_b32 s4, vcc_lo
	s_xor_b32 s4, exec_lo, s4
; %bb.35:
	v_bfe_u32 v98, v97, 16, 1
	s_delay_alu instid0(VALU_DEP_1)
	v_add3_u32 v98, v97, v98, 0x7fff
                                        ; implicit-def: $vgpr97
; %bb.36:
	s_and_not1_saveexec_b32 s4, s4
; %bb.37:
	v_and_b32_e32 v98, 0xffff, v97
	v_or_b32_e32 v100, 0x10000, v97
	s_delay_alu instid0(VALU_DEP_2) | instskip(NEXT) | instid1(VALU_DEP_2)
	v_cmp_eq_u32_e32 vcc_lo, 0, v98
	v_cndmask_b32_e32 v98, v100, v97, vcc_lo
; %bb.38:
	s_or_b32 exec_lo, exec_lo, s4
	v_and_b32_e32 v97, 0x7f800000, v94
	s_delay_alu instid0(VALU_DEP_1) | instskip(SKIP_1) | instid1(SALU_CYCLE_1)
	v_cmp_ne_u32_e32 vcc_lo, 0x7f800000, v97
                                        ; implicit-def: $vgpr97
	s_and_saveexec_b32 s4, vcc_lo
	s_xor_b32 s4, exec_lo, s4
; %bb.39:
	v_bfe_u32 v97, v94, 16, 1
	s_delay_alu instid0(VALU_DEP_1)
	v_add3_u32 v97, v94, v97, 0x7fff
                                        ; implicit-def: $vgpr94
; %bb.40:
	s_and_not1_saveexec_b32 s4, s4
; %bb.41:
	v_and_b32_e32 v97, 0xffff, v94
	v_or_b32_e32 v100, 0x10000, v94
	s_delay_alu instid0(VALU_DEP_2) | instskip(NEXT) | instid1(VALU_DEP_2)
	v_cmp_eq_u32_e32 vcc_lo, 0, v97
	v_cndmask_b32_e32 v97, v100, v94, vcc_lo
; %bb.42:
	s_or_b32 exec_lo, exec_lo, s4
	v_and_b32_e32 v94, 0x7f800000, v92
	s_delay_alu instid0(VALU_DEP_1) | instskip(SKIP_1) | instid1(SALU_CYCLE_1)
	v_cmp_ne_u32_e32 vcc_lo, 0x7f800000, v94
                                        ; implicit-def: $vgpr94
	s_and_saveexec_b32 s4, vcc_lo
	s_xor_b32 s4, exec_lo, s4
; %bb.43:
	v_bfe_u32 v94, v92, 16, 1
	s_delay_alu instid0(VALU_DEP_1)
	v_add3_u32 v94, v92, v94, 0x7fff
                                        ; implicit-def: $vgpr92
; %bb.44:
	s_and_not1_saveexec_b32 s4, s4
; %bb.45:
	v_and_b32_e32 v94, 0xffff, v92
	v_or_b32_e32 v100, 0x10000, v92
	s_delay_alu instid0(VALU_DEP_2) | instskip(NEXT) | instid1(VALU_DEP_2)
	v_cmp_eq_u32_e32 vcc_lo, 0, v94
	v_cndmask_b32_e32 v94, v100, v92, vcc_lo
; %bb.46:
	s_or_b32 exec_lo, exec_lo, s4
	s_load_b64 s[36:37], s[0:1], 0x94
	v_lshlrev_b32_e32 v92, 4, v83
	s_delay_alu instid0(VALU_DEP_2)
	v_perm_b32 v100, v94, v97, 0x7060302
	v_dual_mul_f32 v89, v90, v89 :: v_dual_lshlrev_b32 v94, 11, v74
	v_perm_b32 v97, v93, v91, 0x7060302
	v_mul_f32_e32 v93, v90, v77
	v_perm_b32 v99, v98, v99, 0x7060302
	v_perm_b32 v98, v96, v95, 0x7060302
	v_or3_b32 v77, v92, v94, v85
	v_mul_f32_e32 v88, v90, v88
	v_dual_mul_f32 v87, v90, v87 :: v_dual_and_b32 v94, 0x7f800000, v93
	v_mul_f32_e32 v86, v90, v86
	v_mul_f32_e32 v91, v90, v80
	;; [unrolled: 1-line block ×4, first 2 shown]
	s_mov_b32 s4, exec_lo
	ds_store_b128 v77, v[97:100]
                                        ; implicit-def: $vgpr78
	v_cmpx_ne_u32_e32 0x7f800000, v94
	s_xor_b32 s4, exec_lo, s4
; %bb.47:
	v_bfe_u32 v78, v93, 16, 1
	s_delay_alu instid0(VALU_DEP_1)
	v_add3_u32 v78, v93, v78, 0x7fff
                                        ; implicit-def: $vgpr93
; %bb.48:
	s_and_not1_saveexec_b32 s4, s4
; %bb.49:
	v_and_b32_e32 v78, 0xffff, v93
	v_or_b32_e32 v79, 0x10000, v93
	s_delay_alu instid0(VALU_DEP_2) | instskip(NEXT) | instid1(VALU_DEP_2)
	v_cmp_eq_u32_e32 vcc_lo, 0, v78
	v_cndmask_b32_e32 v78, v79, v93, vcc_lo
; %bb.50:
	s_or_b32 exec_lo, exec_lo, s4
	v_and_b32_e32 v79, 0x7f800000, v80
	s_delay_alu instid0(VALU_DEP_1) | instskip(SKIP_1) | instid1(SALU_CYCLE_1)
	v_cmp_ne_u32_e32 vcc_lo, 0x7f800000, v79
                                        ; implicit-def: $vgpr79
	s_and_saveexec_b32 s4, vcc_lo
	s_xor_b32 s4, exec_lo, s4
; %bb.51:
	v_bfe_u32 v79, v80, 16, 1
	s_delay_alu instid0(VALU_DEP_1)
	v_add3_u32 v79, v80, v79, 0x7fff
                                        ; implicit-def: $vgpr80
; %bb.52:
	s_and_not1_saveexec_b32 s4, s4
; %bb.53:
	v_and_b32_e32 v79, 0xffff, v80
	v_or_b32_e32 v90, 0x10000, v80
	s_delay_alu instid0(VALU_DEP_2) | instskip(NEXT) | instid1(VALU_DEP_2)
	v_cmp_eq_u32_e32 vcc_lo, 0, v79
	v_cndmask_b32_e32 v79, v90, v80, vcc_lo
; %bb.54:
	s_or_b32 exec_lo, exec_lo, s4
	v_and_b32_e32 v80, 0x7f800000, v92
	s_delay_alu instid0(VALU_DEP_1) | instskip(SKIP_1) | instid1(SALU_CYCLE_1)
	v_cmp_ne_u32_e32 vcc_lo, 0x7f800000, v80
                                        ; implicit-def: $vgpr80
	s_and_saveexec_b32 s4, vcc_lo
	s_xor_b32 s4, exec_lo, s4
; %bb.55:
	v_bfe_u32 v80, v92, 16, 1
	s_delay_alu instid0(VALU_DEP_1)
	v_add3_u32 v80, v92, v80, 0x7fff
                                        ; implicit-def: $vgpr92
; %bb.56:
	s_and_not1_saveexec_b32 s4, s4
; %bb.57:
	v_and_b32_e32 v80, 0xffff, v92
	v_or_b32_e32 v90, 0x10000, v92
	s_delay_alu instid0(VALU_DEP_2) | instskip(NEXT) | instid1(VALU_DEP_2)
	v_cmp_eq_u32_e32 vcc_lo, 0, v80
	v_cndmask_b32_e32 v80, v90, v92, vcc_lo
; %bb.58:
	s_or_b32 exec_lo, exec_lo, s4
	v_and_b32_e32 v90, 0x7f800000, v91
	s_delay_alu instid0(VALU_DEP_1) | instskip(SKIP_1) | instid1(SALU_CYCLE_1)
	v_cmp_ne_u32_e32 vcc_lo, 0x7f800000, v90
                                        ; implicit-def: $vgpr90
	s_and_saveexec_b32 s4, vcc_lo
	s_xor_b32 s4, exec_lo, s4
; %bb.59:
	v_bfe_u32 v90, v91, 16, 1
	s_delay_alu instid0(VALU_DEP_1)
	v_add3_u32 v90, v91, v90, 0x7fff
                                        ; implicit-def: $vgpr91
; %bb.60:
	s_and_not1_saveexec_b32 s4, s4
; %bb.61:
	v_and_b32_e32 v90, 0xffff, v91
	v_or_b32_e32 v92, 0x10000, v91
	s_delay_alu instid0(VALU_DEP_2) | instskip(NEXT) | instid1(VALU_DEP_2)
	v_cmp_eq_u32_e32 vcc_lo, 0, v90
	v_cndmask_b32_e32 v90, v92, v91, vcc_lo
; %bb.62:
	s_or_b32 exec_lo, exec_lo, s4
	v_and_b32_e32 v91, 0x7f800000, v86
	s_delay_alu instid0(VALU_DEP_1) | instskip(SKIP_1) | instid1(SALU_CYCLE_1)
	v_cmp_ne_u32_e32 vcc_lo, 0x7f800000, v91
                                        ; implicit-def: $vgpr91
	s_and_saveexec_b32 s4, vcc_lo
	s_xor_b32 s4, exec_lo, s4
; %bb.63:
	v_bfe_u32 v91, v86, 16, 1
	s_delay_alu instid0(VALU_DEP_1)
	v_add3_u32 v91, v86, v91, 0x7fff
                                        ; implicit-def: $vgpr86
; %bb.64:
	s_and_not1_saveexec_b32 s4, s4
; %bb.65:
	v_and_b32_e32 v91, 0xffff, v86
	v_or_b32_e32 v92, 0x10000, v86
	s_delay_alu instid0(VALU_DEP_2) | instskip(NEXT) | instid1(VALU_DEP_2)
	v_cmp_eq_u32_e32 vcc_lo, 0, v91
	v_cndmask_b32_e32 v91, v92, v86, vcc_lo
; %bb.66:
	s_or_b32 exec_lo, exec_lo, s4
	v_and_b32_e32 v86, 0x7f800000, v87
	s_delay_alu instid0(VALU_DEP_1) | instskip(SKIP_1) | instid1(SALU_CYCLE_1)
	v_cmp_ne_u32_e32 vcc_lo, 0x7f800000, v86
                                        ; implicit-def: $vgpr86
	s_and_saveexec_b32 s4, vcc_lo
	s_xor_b32 s4, exec_lo, s4
; %bb.67:
	v_bfe_u32 v86, v87, 16, 1
	s_delay_alu instid0(VALU_DEP_1)
	v_add3_u32 v86, v87, v86, 0x7fff
                                        ; implicit-def: $vgpr87
; %bb.68:
	s_and_not1_saveexec_b32 s4, s4
; %bb.69:
	v_and_b32_e32 v86, 0xffff, v87
	v_or_b32_e32 v92, 0x10000, v87
	s_delay_alu instid0(VALU_DEP_2) | instskip(NEXT) | instid1(VALU_DEP_2)
	v_cmp_eq_u32_e32 vcc_lo, 0, v86
	v_cndmask_b32_e32 v86, v92, v87, vcc_lo
; %bb.70:
	s_or_b32 exec_lo, exec_lo, s4
	v_and_b32_e32 v87, 0x7f800000, v88
	s_delay_alu instid0(VALU_DEP_1) | instskip(SKIP_1) | instid1(SALU_CYCLE_1)
	v_cmp_ne_u32_e32 vcc_lo, 0x7f800000, v87
                                        ; implicit-def: $vgpr87
	s_and_saveexec_b32 s4, vcc_lo
	s_xor_b32 s4, exec_lo, s4
; %bb.71:
	v_bfe_u32 v87, v88, 16, 1
	s_delay_alu instid0(VALU_DEP_1)
	v_add3_u32 v87, v88, v87, 0x7fff
                                        ; implicit-def: $vgpr88
; %bb.72:
	s_and_not1_saveexec_b32 s4, s4
; %bb.73:
	v_and_b32_e32 v87, 0xffff, v88
	v_or_b32_e32 v92, 0x10000, v88
	s_delay_alu instid0(VALU_DEP_2) | instskip(NEXT) | instid1(VALU_DEP_2)
	v_cmp_eq_u32_e32 vcc_lo, 0, v87
	v_cndmask_b32_e32 v87, v92, v88, vcc_lo
; %bb.74:
	s_or_b32 exec_lo, exec_lo, s4
	v_and_b32_e32 v88, 0x7f800000, v89
	s_delay_alu instid0(VALU_DEP_1) | instskip(SKIP_1) | instid1(SALU_CYCLE_1)
	v_cmp_ne_u32_e32 vcc_lo, 0x7f800000, v88
                                        ; implicit-def: $vgpr88
	s_and_saveexec_b32 s4, vcc_lo
	s_xor_b32 s4, exec_lo, s4
; %bb.75:
	v_bfe_u32 v88, v89, 16, 1
	s_delay_alu instid0(VALU_DEP_1)
	v_add3_u32 v88, v89, v88, 0x7fff
                                        ; implicit-def: $vgpr89
; %bb.76:
	s_and_not1_saveexec_b32 s4, s4
; %bb.77:
	v_and_b32_e32 v88, 0xffff, v89
	v_or_b32_e32 v92, 0x10000, v89
	s_delay_alu instid0(VALU_DEP_2) | instskip(NEXT) | instid1(VALU_DEP_2)
	v_cmp_eq_u32_e32 vcc_lo, 0, v88
	v_cndmask_b32_e32 v88, v92, v89, vcc_lo
; %bb.78:
	s_or_b32 exec_lo, exec_lo, s4
	s_delay_alu instid0(VALU_DEP_1)
	v_perm_b32 v89, v88, v87, 0x7060302
	v_perm_b32 v88, v86, v91, 0x7060302
	v_perm_b32 v87, v90, v80, 0x7060302
	v_perm_b32 v86, v79, v78, 0x7060302
	v_lshl_or_b32 v90, v74, 11, v85
	ds_store_b128 v77, v[86:89] offset:1024
	s_waitcnt lgkmcnt(0)
	s_barrier
	buffer_gl0_inv
	ds_load_b128 v[91:94], v90
	ds_load_b128 v[95:98], v90 offset:16
	v_lshlrev_b32_e32 v87, 2, v83
	s_delay_alu instid0(VALU_DEP_1)
	v_or_b32_e32 v88, 1, v87
	v_cmp_eq_u32_e32 vcc_lo, 1, v87
	v_cmp_eq_u32_e64 s5, 2, v87
	v_cmp_eq_u32_e64 s8, 3, v87
	;; [unrolled: 1-line block ×6, first 2 shown]
	v_or_b32_e32 v86, 2, v87
	v_cmp_eq_u32_e64 s11, 5, v87
	v_cmp_eq_u32_e64 s12, 4, v88
	;; [unrolled: 1-line block ×4, first 2 shown]
	s_waitcnt lgkmcnt(1)
	v_lshrrev_b32_e32 v74, 16, v91
	s_waitcnt lgkmcnt(0)
	v_lshrrev_b32_e32 v103, 16, v95
	v_lshrrev_b32_e32 v80, 16, v94
	;; [unrolled: 1-line block ×4, first 2 shown]
	v_cndmask_b32_e32 v89, v91, v74, vcc_lo
	v_cndmask_b32_e32 v99, v95, v103, vcc_lo
	v_cndmask_b32_e64 v100, v91, v74, s4
	v_lshrrev_b32_e32 v79, 16, v93
	v_lshrrev_b32_e32 v108, 16, v97
	v_cndmask_b32_e64 v89, v89, v92, s5
	v_cndmask_b32_e64 v99, v99, v96, s5
	;; [unrolled: 1-line block ×4, first 2 shown]
	v_cmp_eq_u32_e64 s6, 1, v86
	v_cndmask_b32_e64 v89, v89, v78, s8
	v_cndmask_b32_e64 v99, v99, v107, s8
	;; [unrolled: 1-line block ×4, first 2 shown]
	v_lshrrev_b32_e32 v109, 16, v98
	v_cndmask_b32_e64 v89, v89, v93, s10
	v_cndmask_b32_e64 v99, v99, v97, s10
	;; [unrolled: 1-line block ×8, first 2 shown]
	v_cmp_eq_u32_e64 s16, 7, v87
	v_cmp_eq_u32_e64 s17, 6, v88
	v_cndmask_b32_e64 v89, v89, v94, s13
	v_cndmask_b32_e64 v99, v99, v98, s13
	v_cmp_eq_u32_e64 s18, 2, v86
	v_cndmask_b32_e64 v101, v101, v97, s12
	v_cndmask_b32_e64 v100, v100, v94, s17
	;; [unrolled: 1-line block ×6, first 2 shown]
	v_cmp_eq_u32_e64 s19, 7, v88
	v_cmp_eq_u32_e64 s20, 3, v86
	v_cmp_eq_u32_e64 s21, 4, v86
	v_cmp_eq_u32_e64 s23, 5, v86
	v_cndmask_b32_e64 v99, v99, v96, s18
	v_cndmask_b32_e64 v112, v100, v80, s19
	;; [unrolled: 1-line block ×4, first 2 shown]
	v_or_b32_e32 v89, 3, v87
	v_cndmask_b32_e64 v105, v99, v107, s20
	v_cmp_eq_u32_e64 s25, 6, v86
	v_cndmask_b32_e64 v113, v100, v98, s17
	v_cndmask_b32_e64 v104, v101, v93, s21
	ds_load_b128 v[99:102], v90 offset:1024
	v_cmp_eq_u32_e64 s22, 1, v89
	v_cmp_eq_u32_e64 s24, 2, v89
	;; [unrolled: 1-line block ×3, first 2 shown]
	v_cndmask_b32_e64 v114, v104, v79, s23
	v_cmp_eq_u32_e64 s27, 4, v89
	v_cndmask_b32_e64 v74, v91, v74, s22
	v_cndmask_b32_e64 v91, v105, v97, s21
	;; [unrolled: 1-line block ×3, first 2 shown]
	ds_load_b128 v[103:106], v90 offset:1040
	v_cmp_eq_u32_e64 s29, 5, v89
	v_cndmask_b32_e64 v74, v74, v92, s24
	v_cndmask_b32_e64 v91, v91, v108, s23
	;; [unrolled: 1-line block ×3, first 2 shown]
	v_cmp_eq_u32_e64 s30, 6, v89
	v_cndmask_b32_e64 v95, v113, v109, s19
	v_cndmask_b32_e64 v74, v74, v78, s26
	;; [unrolled: 1-line block ×5, first 2 shown]
	s_waitcnt lgkmcnt(1)
	v_lshrrev_b32_e32 v96, 16, v99
	v_cndmask_b32_e64 v74, v74, v93, s27
	v_lshrrev_b32_e32 v107, 16, v100
	v_cndmask_b32_e64 v92, v92, v97, s27
	v_cmp_eq_u32_e64 s28, 7, v86
	v_cndmask_b32_e32 v93, v99, v96, vcc_lo
	v_cndmask_b32_e64 v74, v74, v79, s29
	s_delay_alu instid0(VALU_DEP_4)
	v_cndmask_b32_e64 v79, v92, v108, s29
	s_waitcnt lgkmcnt(0)
	v_lshrrev_b32_e32 v97, 16, v103
	v_cndmask_b32_e64 v92, v93, v100, s5
	v_cndmask_b32_e64 v93, v99, v96, s4
	;; [unrolled: 1-line block ×4, first 2 shown]
	v_cndmask_b32_e32 v108, v103, v97, vcc_lo
	v_cndmask_b32_e64 v92, v92, v107, s8
	v_cndmask_b32_e64 v93, v93, v100, s7
	v_lshrrev_b32_e32 v98, 16, v104
	v_cmp_eq_u32_e32 vcc_lo, 7, v89
	v_cndmask_b32_e64 v94, v108, v104, s5
	v_cndmask_b32_e64 v92, v92, v101, s10
	v_lshrrev_b32_e32 v108, 16, v101
	v_cndmask_b32_e64 v93, v93, v107, s9
	v_cndmask_b32_e32 v74, v74, v80, vcc_lo
	v_cndmask_b32_e64 v94, v94, v98, s8
	v_cndmask_b32_e32 v79, v79, v109, vcc_lo
	v_cndmask_b32_e64 v92, v92, v108, s11
	v_cndmask_b32_e64 v78, v78, v80, s28
	;; [unrolled: 1-line block ×4, first 2 shown]
	v_perm_b32 v94, v79, v74, 0x5040100
	v_cndmask_b32_e64 v79, v92, v102, s13
	v_perm_b32 v92, v95, v112, 0x5040100
	v_cndmask_b32_e64 v95, v99, v96, s6
	v_cndmask_b32_e64 v96, v99, v96, s22
	;; [unrolled: 1-line block ×16, first 2 shown]
	v_lshrrev_b32_e32 v109, 16, v105
	v_cndmask_b32_e64 v95, v95, v101, s21
	v_cndmask_b32_e64 v96, v96, v101, s27
	;; [unrolled: 1-line block ×6, first 2 shown]
	v_lshrrev_b32_e32 v80, 16, v102
	v_cndmask_b32_e64 v113, v93, v109, s11
	v_cndmask_b32_e64 v95, v95, v108, s23
	;; [unrolled: 1-line block ×6, first 2 shown]
	v_perm_b32 v93, v91, v78, 0x5040100
	v_cndmask_b32_e64 v74, v74, v102, s17
	v_cndmask_b32_e64 v78, v79, v80, s16
	;; [unrolled: 1-line block ×3, first 2 shown]
	v_lshrrev_b32_e32 v91, 16, v106
	v_cndmask_b32_e64 v95, v95, v102, s25
	v_cndmask_b32_e64 v96, v96, v102, s30
	;; [unrolled: 1-line block ×7, first 2 shown]
	v_cndmask_b32_e32 v80, v96, v80, vcc_lo
	v_cndmask_b32_e32 v96, v98, v91, vcc_lo
	v_cndmask_b32_e64 v99, v99, v91, s28
	v_cndmask_b32_e64 v100, v97, v91, s19
	;; [unrolled: 1-line block ×3, first 2 shown]
	v_perm_b32 v91, v111, v110, 0x5040100
	v_perm_b32 v98, v96, v80, 0x5040100
	;; [unrolled: 1-line block ×5, first 2 shown]
	s_mul_i32 s9, s37, 15
	s_mov_b32 s4, exec_lo
	ds_store_b128 v77, v[91:94]
	ds_store_b128 v77, v[95:98] offset:1024
	v_cmpx_gt_u32_e32 15, v0
	s_cbranch_execz .LBB512_80
; %bb.79:
	s_mul_i32 s5, s9, s34
	s_load_b128 s[16:19], s[0:1], 0x58
	v_add3_u32 v77, s5, s31, v73
	s_delay_alu instid0(VALU_DEP_1) | instskip(NEXT) | instid1(VALU_DEP_1)
	v_mad_u64_u32 v[73:74], null, v77, s36, s[14:15]
	v_ashrrev_i32_e32 v74, 31, v73
	s_delay_alu instid0(VALU_DEP_1) | instskip(SKIP_1) | instid1(VALU_DEP_1)
	v_lshlrev_b64 v[73:74], 2, v[73:74]
	s_waitcnt lgkmcnt(0)
	v_add_co_u32 v77, vcc_lo, s18, v73
	s_delay_alu instid0(VALU_DEP_2)
	v_add_co_ci_u32_e32 v78, vcc_lo, s19, v74, vcc_lo
	v_add_co_u32 v73, vcc_lo, s16, v73
	v_add_co_ci_u32_e32 v74, vcc_lo, s17, v74, vcc_lo
	global_store_b32 v[77:78], v75, off
	global_store_b32 v[73:74], v76, off
.LBB512_80:
	s_or_b32 exec_lo, exec_lo, s4
	s_waitcnt lgkmcnt(0)
	s_waitcnt_vscnt null, 0x0
	s_barrier
	buffer_gl0_inv
	ds_load_b128 v[91:94], v85
	ds_load_b128 v[95:98], v85 offset:16
	ds_load_b128 v[103:106], v85 offset:1040
	;; [unrolled: 1-line block ×3, first 2 shown]
	v_mov_b32_e32 v73, 0
	ds_load_b128 v[111:114], v85 offset:2064
	ds_load_b128 v[107:110], v85 offset:2048
	ds_load_b128 v[119:122], v85 offset:3088
	ds_load_b128 v[115:118], v85 offset:3072
	ds_load_b128 v[127:130], v85 offset:4112
	ds_load_b128 v[123:126], v85 offset:4096
	v_mov_b32_e32 v74, v73
	v_mov_b32_e32 v75, v73
	;; [unrolled: 1-line block ×7, first 2 shown]
	s_waitcnt lgkmcnt(8)
	s_delay_alu instid0(VALU_DEP_1)
	v_wmma_f32_16x16x16_bf16 v[73:80], v[65:72], v[91:98], v[73:80]
	ds_load_b128 v[69:72], v85 offset:5136
	ds_load_b128 v[65:68], v85 offset:5120
	;; [unrolled: 1-line block ×4, first 2 shown]
	s_waitcnt lgkmcnt(10)
	v_wmma_f32_16x16x16_bf16 v[73:80], v[57:64], v[99:106], v[73:80]
	s_waitcnt lgkmcnt(8)
	s_delay_alu instid0(VALU_DEP_1)
	v_wmma_f32_16x16x16_bf16 v[73:80], v[57:64], v[107:114], v[73:80]
	ds_load_b128 v[61:64], v85 offset:7184
	ds_load_b128 v[57:60], v85 offset:7168
	;; [unrolled: 1-line block ×4, first 2 shown]
	s_waitcnt lgkmcnt(10)
	v_wmma_f32_16x16x16_bf16 v[73:80], v[49:56], v[115:122], v[73:80]
	s_waitcnt lgkmcnt(8)
	s_delay_alu instid0(VALU_DEP_1)
	v_wmma_f32_16x16x16_bf16 v[73:80], v[49:56], v[123:130], v[73:80]
	ds_load_b128 v[53:56], v85 offset:9232
	ds_load_b128 v[49:52], v85 offset:9216
	s_waitcnt lgkmcnt(8)
	v_wmma_f32_16x16x16_bf16 v[73:80], v[41:48], v[65:72], v[73:80]
	ds_load_b128 v[69:72], v85 offset:10256
	ds_load_b128 v[65:68], v85 offset:10240
	s_waitcnt lgkmcnt(8)
	;; [unrolled: 4-line block ×3, first 2 shown]
	v_wmma_f32_16x16x16_bf16 v[73:80], v[9:16], v[57:64], v[73:80]
	s_waitcnt lgkmcnt(6)
	s_delay_alu instid0(VALU_DEP_1)
	v_wmma_f32_16x16x16_bf16 v[73:80], v[9:16], v[99:106], v[73:80]
	ds_load_b128 v[13:16], v85 offset:12304
	ds_load_b128 v[9:12], v85 offset:12288
	s_waitcnt lgkmcnt(6)
	v_wmma_f32_16x16x16_bf16 v[73:80], v[1:8], v[49:56], v[73:80]
	ds_load_b128 v[53:56], v85 offset:13328
	ds_load_b128 v[49:52], v85 offset:13312
	s_waitcnt lgkmcnt(6)
	;; [unrolled: 4-line block ×4, first 2 shown]
	v_wmma_f32_16x16x16_bf16 v[73:80], v[33:40], v[9:16], v[73:80]
	s_waitcnt lgkmcnt(4)
	s_delay_alu instid0(VALU_DEP_1) | instskip(SKIP_1) | instid1(VALU_DEP_1)
	v_wmma_f32_16x16x16_bf16 v[73:80], v[25:32], v[49:56], v[73:80]
	s_waitcnt lgkmcnt(2)
	v_wmma_f32_16x16x16_bf16 v[73:80], v[25:32], v[1:8], v[73:80]
	s_waitcnt lgkmcnt(0)
	s_delay_alu instid0(VALU_DEP_1) | instskip(NEXT) | instid1(VALU_DEP_1)
	v_wmma_f32_16x16x16_bf16 v[73:80], v[17:24], v[41:48], v[73:80]
	v_and_b32_e32 v1, 0x7f800000, v73
	s_delay_alu instid0(VALU_DEP_1) | instskip(SKIP_1) | instid1(SALU_CYCLE_1)
	v_cmp_ne_u32_e32 vcc_lo, 0x7f800000, v1
                                        ; implicit-def: $vgpr1
	s_and_saveexec_b32 s4, vcc_lo
	s_xor_b32 s4, exec_lo, s4
; %bb.81:
	v_bfe_u32 v1, v73, 16, 1
	s_delay_alu instid0(VALU_DEP_1)
	v_add3_u32 v1, v73, v1, 0x7fff
; %bb.82:
	s_and_not1_saveexec_b32 s4, s4
; %bb.83:
	v_and_b32_e32 v1, 0xffff, v73
	v_or_b32_e32 v2, 0x10000, v73
	s_delay_alu instid0(VALU_DEP_2) | instskip(NEXT) | instid1(VALU_DEP_2)
	v_cmp_eq_u32_e32 vcc_lo, 0, v1
	v_cndmask_b32_e32 v1, v2, v73, vcc_lo
; %bb.84:
	s_or_b32 exec_lo, exec_lo, s4
	v_and_b32_e32 v2, 0x7f800000, v74
	s_delay_alu instid0(VALU_DEP_1) | instskip(SKIP_1) | instid1(SALU_CYCLE_1)
	v_cmp_ne_u32_e32 vcc_lo, 0x7f800000, v2
                                        ; implicit-def: $vgpr2
	s_and_saveexec_b32 s4, vcc_lo
	s_xor_b32 s4, exec_lo, s4
; %bb.85:
	v_bfe_u32 v2, v74, 16, 1
	s_delay_alu instid0(VALU_DEP_1)
	v_add3_u32 v2, v74, v2, 0x7fff
; %bb.86:
	s_and_not1_saveexec_b32 s4, s4
; %bb.87:
	v_and_b32_e32 v2, 0xffff, v74
	v_or_b32_e32 v3, 0x10000, v74
	s_delay_alu instid0(VALU_DEP_2) | instskip(NEXT) | instid1(VALU_DEP_2)
	v_cmp_eq_u32_e32 vcc_lo, 0, v2
	v_cndmask_b32_e32 v2, v3, v74, vcc_lo
; %bb.88:
	s_or_b32 exec_lo, exec_lo, s4
	v_and_b32_e32 v3, 0x7f800000, v75
	s_delay_alu instid0(VALU_DEP_1) | instskip(SKIP_1) | instid1(SALU_CYCLE_1)
	v_cmp_ne_u32_e32 vcc_lo, 0x7f800000, v3
                                        ; implicit-def: $vgpr3
	s_and_saveexec_b32 s4, vcc_lo
	s_xor_b32 s4, exec_lo, s4
; %bb.89:
	v_bfe_u32 v3, v75, 16, 1
	s_delay_alu instid0(VALU_DEP_1)
	v_add3_u32 v3, v75, v3, 0x7fff
; %bb.90:
	s_and_not1_saveexec_b32 s4, s4
; %bb.91:
	v_and_b32_e32 v3, 0xffff, v75
	v_or_b32_e32 v4, 0x10000, v75
	s_delay_alu instid0(VALU_DEP_2) | instskip(NEXT) | instid1(VALU_DEP_2)
	v_cmp_eq_u32_e32 vcc_lo, 0, v3
	v_cndmask_b32_e32 v3, v4, v75, vcc_lo
; %bb.92:
	s_or_b32 exec_lo, exec_lo, s4
	v_and_b32_e32 v4, 0x7f800000, v76
	s_delay_alu instid0(VALU_DEP_1) | instskip(SKIP_1) | instid1(SALU_CYCLE_1)
	v_cmp_ne_u32_e32 vcc_lo, 0x7f800000, v4
                                        ; implicit-def: $vgpr4
	s_and_saveexec_b32 s4, vcc_lo
	s_xor_b32 s4, exec_lo, s4
; %bb.93:
	v_bfe_u32 v4, v76, 16, 1
	s_delay_alu instid0(VALU_DEP_1)
	v_add3_u32 v4, v76, v4, 0x7fff
; %bb.94:
	s_and_not1_saveexec_b32 s4, s4
; %bb.95:
	v_and_b32_e32 v4, 0xffff, v76
	v_or_b32_e32 v5, 0x10000, v76
	s_delay_alu instid0(VALU_DEP_2) | instskip(NEXT) | instid1(VALU_DEP_2)
	v_cmp_eq_u32_e32 vcc_lo, 0, v4
	v_cndmask_b32_e32 v4, v5, v76, vcc_lo
; %bb.96:
	s_or_b32 exec_lo, exec_lo, s4
	v_and_b32_e32 v5, 0x7f800000, v77
	s_delay_alu instid0(VALU_DEP_1) | instskip(SKIP_1) | instid1(SALU_CYCLE_1)
	v_cmp_ne_u32_e32 vcc_lo, 0x7f800000, v5
                                        ; implicit-def: $vgpr5
	s_and_saveexec_b32 s4, vcc_lo
	s_xor_b32 s4, exec_lo, s4
; %bb.97:
	v_bfe_u32 v5, v77, 16, 1
	s_delay_alu instid0(VALU_DEP_1)
	v_add3_u32 v5, v77, v5, 0x7fff
; %bb.98:
	s_and_not1_saveexec_b32 s4, s4
; %bb.99:
	v_and_b32_e32 v5, 0xffff, v77
	v_or_b32_e32 v6, 0x10000, v77
	s_delay_alu instid0(VALU_DEP_2) | instskip(NEXT) | instid1(VALU_DEP_2)
	v_cmp_eq_u32_e32 vcc_lo, 0, v5
	v_cndmask_b32_e32 v5, v6, v77, vcc_lo
; %bb.100:
	s_or_b32 exec_lo, exec_lo, s4
	v_and_b32_e32 v6, 0x7f800000, v78
	s_delay_alu instid0(VALU_DEP_1) | instskip(SKIP_1) | instid1(SALU_CYCLE_1)
	v_cmp_ne_u32_e32 vcc_lo, 0x7f800000, v6
                                        ; implicit-def: $vgpr6
	s_and_saveexec_b32 s4, vcc_lo
	s_xor_b32 s4, exec_lo, s4
; %bb.101:
	v_bfe_u32 v6, v78, 16, 1
	s_delay_alu instid0(VALU_DEP_1)
	v_add3_u32 v6, v78, v6, 0x7fff
; %bb.102:
	s_and_not1_saveexec_b32 s4, s4
; %bb.103:
	v_and_b32_e32 v6, 0xffff, v78
	v_or_b32_e32 v7, 0x10000, v78
	s_delay_alu instid0(VALU_DEP_2) | instskip(NEXT) | instid1(VALU_DEP_2)
	v_cmp_eq_u32_e32 vcc_lo, 0, v6
	v_cndmask_b32_e32 v6, v7, v78, vcc_lo
; %bb.104:
	s_or_b32 exec_lo, exec_lo, s4
	v_and_b32_e32 v7, 0x7f800000, v79
	s_delay_alu instid0(VALU_DEP_1) | instskip(SKIP_1) | instid1(SALU_CYCLE_1)
	v_cmp_ne_u32_e32 vcc_lo, 0x7f800000, v7
                                        ; implicit-def: $vgpr7
	s_and_saveexec_b32 s4, vcc_lo
	s_xor_b32 s4, exec_lo, s4
; %bb.105:
	v_bfe_u32 v7, v79, 16, 1
	s_delay_alu instid0(VALU_DEP_1)
	v_add3_u32 v7, v79, v7, 0x7fff
; %bb.106:
	s_and_not1_saveexec_b32 s4, s4
; %bb.107:
	v_and_b32_e32 v7, 0xffff, v79
	v_or_b32_e32 v8, 0x10000, v79
	s_delay_alu instid0(VALU_DEP_2) | instskip(NEXT) | instid1(VALU_DEP_2)
	v_cmp_eq_u32_e32 vcc_lo, 0, v7
	v_cndmask_b32_e32 v7, v8, v79, vcc_lo
; %bb.108:
	s_or_b32 exec_lo, exec_lo, s4
	v_and_b32_e32 v8, 0x7f800000, v80
	s_delay_alu instid0(VALU_DEP_1) | instskip(SKIP_1) | instid1(SALU_CYCLE_1)
	v_cmp_ne_u32_e32 vcc_lo, 0x7f800000, v8
                                        ; implicit-def: $vgpr8
	s_and_saveexec_b32 s4, vcc_lo
	s_xor_b32 s4, exec_lo, s4
; %bb.109:
	v_bfe_u32 v8, v80, 16, 1
	s_delay_alu instid0(VALU_DEP_1)
	v_add3_u32 v8, v80, v8, 0x7fff
                                        ; implicit-def: $vgpr73_vgpr74_vgpr75_vgpr76_vgpr77_vgpr78_vgpr79_vgpr80
; %bb.110:
	s_and_not1_saveexec_b32 s4, s4
; %bb.111:
	v_and_b32_e32 v8, 0xffff, v80
	v_or_b32_e32 v9, 0x10000, v80
	s_delay_alu instid0(VALU_DEP_2) | instskip(NEXT) | instid1(VALU_DEP_2)
	v_cmp_eq_u32_e32 vcc_lo, 0, v8
	v_cndmask_b32_e32 v8, v9, v80, vcc_lo
; %bb.112:
	s_or_b32 exec_lo, exec_lo, s4
	s_delay_alu instid0(VALU_DEP_1)
	v_perm_b32 v7, v8, v7, 0x7060302
	v_perm_b32 v6, v6, v5, 0x7060302
	;; [unrolled: 1-line block ×4, first 2 shown]
	v_lshl_or_b32 v9, v83, 4, v90
	s_barrier
	buffer_gl0_inv
	v_cmp_eq_u32_e32 vcc_lo, 1, v87
	ds_store_b128 v9, v[4:7]
	s_waitcnt lgkmcnt(0)
	s_barrier
	buffer_gl0_inv
	ds_load_b128 v[1:4], v90
	ds_load_b128 v[5:8], v90 offset:16
	v_cmp_eq_u32_e64 s5, 2, v87
	v_cmp_eq_u32_e64 s4, 1, v88
	v_cmp_eq_u32_e64 s6, 3, v87
	v_cmp_eq_u32_e64 s8, 2, v86
	v_cmp_eq_u32_e64 s7, 7, v88
	s_waitcnt lgkmcnt(1)
	v_lshrrev_b32_e32 v10, 16, v1
	s_waitcnt lgkmcnt(0)
	v_lshrrev_b32_e32 v14, 16, v5
	v_lshrrev_b32_e32 v15, 16, v6
	;; [unrolled: 1-line block ×4, first 2 shown]
	v_cndmask_b32_e64 v20, v1, v10, s4
	v_cndmask_b32_e32 v19, v5, v14, vcc_lo
	v_cndmask_b32_e64 v21, v5, v14, s4
	v_lshrrev_b32_e32 v16, 16, v7
	v_cmp_eq_u32_e64 s4, 1, v86
	v_lshrrev_b32_e32 v13, 16, v4
	v_cndmask_b32_e64 v19, v19, v6, s5
	v_lshrrev_b32_e32 v17, 16, v8
	s_delay_alu instid0(VALU_DEP_4) | instskip(SKIP_1) | instid1(VALU_DEP_4)
	v_cndmask_b32_e64 v22, v1, v10, s4
	v_cndmask_b32_e64 v23, v5, v14, s4
	;; [unrolled: 1-line block ×3, first 2 shown]
	v_cndmask_b32_e32 v18, v1, v10, vcc_lo
	v_cmp_eq_u32_e32 vcc_lo, 2, v88
	v_cmp_eq_u32_e64 s4, 2, v89
	v_cndmask_b32_e64 v22, v22, v2, s8
	v_cndmask_b32_e32 v20, v20, v2, vcc_lo
	v_cndmask_b32_e32 v21, v21, v6, vcc_lo
	v_cmp_eq_u32_e32 vcc_lo, 4, v87
	v_cndmask_b32_e32 v19, v19, v7, vcc_lo
	v_cndmask_b32_e64 v18, v18, v2, s5
	v_cmp_eq_u32_e64 s5, 3, v88
	s_delay_alu instid0(VALU_DEP_2) | instskip(NEXT) | instid1(VALU_DEP_2)
	v_cndmask_b32_e64 v18, v18, v11, s6
	v_cndmask_b32_e64 v21, v21, v15, s5
	v_cmp_eq_u32_e64 s6, 5, v87
	s_delay_alu instid0(VALU_DEP_3) | instskip(SKIP_1) | instid1(VALU_DEP_3)
	v_cndmask_b32_e32 v18, v18, v3, vcc_lo
	v_cmp_eq_u32_e32 vcc_lo, 4, v88
	v_cndmask_b32_e64 v19, v19, v16, s6
	s_delay_alu instid0(VALU_DEP_3) | instskip(SKIP_4) | instid1(VALU_DEP_3)
	v_cndmask_b32_e64 v18, v18, v12, s6
	v_cndmask_b32_e32 v21, v21, v7, vcc_lo
	v_cndmask_b32_e64 v20, v20, v11, s5
	v_cmp_eq_u32_e64 s5, 5, v88
	v_cmp_eq_u32_e64 s6, 6, v87
	v_cndmask_b32_e32 v20, v20, v3, vcc_lo
	s_delay_alu instid0(VALU_DEP_3) | instskip(SKIP_1) | instid1(VALU_DEP_4)
	v_cndmask_b32_e64 v21, v21, v16, s5
	v_cmp_eq_u32_e32 vcc_lo, 6, v88
	v_cndmask_b32_e64 v18, v18, v4, s6
	v_cndmask_b32_e64 v19, v19, v8, s6
	;; [unrolled: 1-line block ×3, first 2 shown]
	v_cmp_eq_u32_e64 s5, 1, v89
	v_cmp_eq_u32_e64 s6, 7, v87
	s_delay_alu instid0(VALU_DEP_3) | instskip(NEXT) | instid1(VALU_DEP_3)
	v_cndmask_b32_e32 v20, v20, v4, vcc_lo
	v_cndmask_b32_e64 v1, v1, v10, s5
	v_cndmask_b32_e64 v5, v5, v14, s5
	v_cmp_eq_u32_e64 s5, 3, v86
	v_cndmask_b32_e64 v14, v23, v6, s8
	v_cmp_eq_u32_e64 s8, 3, v89
	v_cndmask_b32_e64 v1, v1, v2, s4
	v_cndmask_b32_e64 v2, v5, v6, s4
	;; [unrolled: 1-line block ×3, first 2 shown]
	v_cmp_eq_u32_e64 s4, 4, v86
	v_cndmask_b32_e64 v6, v14, v15, s5
	v_cndmask_b32_e64 v1, v1, v11, s8
	v_cmp_eq_u32_e64 s5, 4, v89
	v_cndmask_b32_e64 v2, v2, v15, s8
	v_cndmask_b32_e64 v5, v10, v3, s4
	;; [unrolled: 3-line block ×3, first 2 shown]
	v_cndmask_b32_e64 v2, v2, v7, s5
	v_cmp_eq_u32_e64 s4, 5, v89
	v_cndmask_b32_e64 v5, v5, v12, s8
	v_cmp_eq_u32_e64 s5, 6, v86
	;; [unrolled: 2-line block ×3, first 2 shown]
	v_cndmask_b32_e64 v1, v1, v12, s4
	v_cndmask_b32_e64 v2, v2, v16, s4
	;; [unrolled: 1-line block ×4, first 2 shown]
	v_cmp_eq_u32_e64 s4, 7, v89
	v_cndmask_b32_e64 v1, v1, v4, s8
	v_cndmask_b32_e64 v2, v2, v8, s8
	v_cmp_eq_u32_e64 s5, 7, v86
	v_cndmask_b32_e32 v4, v21, v8, vcc_lo
	v_cndmask_b32_e64 v18, v18, v13, s6
	v_cndmask_b32_e64 v20, v20, v13, s7
	;; [unrolled: 1-line block ×8, first 2 shown]
	v_cmp_gt_u32_e32 vcc_lo, 32, v0
	v_perm_b32 v4, v2, v1, 0x5040100
	v_perm_b32 v3, v3, v5, 0x5040100
	;; [unrolled: 1-line block ×4, first 2 shown]
	s_and_b32 s2, vcc_lo, s2
	ds_store_b128 v9, v[1:4]
	s_waitcnt lgkmcnt(0)
	s_barrier
	buffer_gl0_inv
	s_and_saveexec_b32 s4, s2
	s_cbranch_execz .LBB512_2
; %bb.113:
	s_load_b64 s[4:5], s[0:1], 0x68
	v_add_nc_u32_e32 v20, s31, v83
	v_lshlrev_b32_e32 v0, 10, v0
	v_lshlrev_b32_e32 v1, 4, v84
	s_lshl_b32 s0, s36, 6
	s_delay_alu instid0(SALU_CYCLE_1)
	s_mul_i32 s1, s0, s34
	v_add_nc_u32_e32 v2, 2, v20
	s_mul_i32 s6, s1, s9
	v_and_or_b32 v0, 0x3800, v0, v1
	v_mul_lo_u32 v1, v20, s0
	s_ashr_i32 s7, s6, 31
	v_mul_lo_u32 v11, v2, s0
	s_lshl_b64 s[6:7], s[6:7], 1
	v_add_nc_u32_e32 v3, 4, v20
	v_lshl_or_b32 v21, v83, 6, v0
	v_add_nc_u32_e32 v16, 6, v20
	v_ashrrev_i32_e32 v2, 31, v1
	s_delay_alu instid0(VALU_DEP_4)
	v_mul_lo_u32 v13, v3, s0
	s_waitcnt lgkmcnt(0)
	s_add_u32 s1, s4, s6
	s_addc_u32 s2, s5, s7
	s_lshl_b32 s4, s14, 6
	ds_load_b128 v[3:6], v21
	ds_load_b128 v[7:10], v21 offset:128
	s_ashr_i32 s5, s4, 31
	v_ashrrev_i32_e32 v12, 31, v11
	s_lshl_b64 s[4:5], s[4:5], 1
	v_lshlrev_b64 v[14:15], 1, v[1:2]
	s_add_u32 s1, s1, s4
	s_addc_u32 s2, s2, s5
	v_add_co_u32 v1, vcc_lo, s1, v81
	v_add_co_ci_u32_e32 v2, vcc_lo, s2, v82, vcc_lo
	v_lshlrev_b64 v[11:12], 1, v[11:12]
	s_delay_alu instid0(VALU_DEP_3) | instskip(SKIP_1) | instid1(VALU_DEP_4)
	v_add_co_u32 v18, vcc_lo, v1, v14
	v_mul_lo_u32 v16, v16, s0
	v_add_co_ci_u32_e32 v19, vcc_lo, v2, v15, vcc_lo
	s_delay_alu instid0(VALU_DEP_4)
	v_add_co_u32 v11, vcc_lo, v1, v11
	v_ashrrev_i32_e32 v14, 31, v13
	v_add_co_ci_u32_e32 v12, vcc_lo, v2, v12, vcc_lo
	v_add_nc_u32_e32 v15, 8, v20
	v_ashrrev_i32_e32 v17, 31, v16
	s_waitcnt lgkmcnt(1)
	global_store_b128 v[18:19], v[3:6], off
	v_lshlrev_b64 v[3:4], 1, v[13:14]
	s_waitcnt lgkmcnt(0)
	global_store_b128 v[11:12], v[7:10], off
	v_mul_lo_u32 v11, v15, s0
	v_add_nc_u32_e32 v7, 10, v20
	v_lshlrev_b64 v[5:6], 1, v[16:17]
	v_add_co_u32 v23, vcc_lo, v1, v3
	v_add_nc_u32_e32 v3, 12, v20
	s_delay_alu instid0(VALU_DEP_4)
	v_mul_lo_u32 v25, v7, s0
	v_ashrrev_i32_e32 v12, 31, v11
	v_add_co_ci_u32_e32 v24, vcc_lo, v2, v4, vcc_lo
	v_add_co_u32 v27, vcc_lo, v1, v5
	v_mul_lo_u32 v29, v3, s0
	v_add_co_ci_u32_e32 v28, vcc_lo, v2, v6, vcc_lo
	ds_load_b128 v[3:6], v21 offset:256
	ds_load_b128 v[7:10], v21 offset:384
	v_lshlrev_b64 v[31:32], 1, v[11:12]
	ds_load_b128 v[11:14], v21 offset:512
	ds_load_b128 v[15:18], v21 offset:640
	;; [unrolled: 1-line block ×3, first 2 shown]
	v_ashrrev_i32_e32 v26, 31, v25
	v_ashrrev_i32_e32 v30, 31, v29
	v_add_co_u32 v31, vcc_lo, v1, v31
	s_delay_alu instid0(VALU_DEP_3) | instskip(NEXT) | instid1(VALU_DEP_3)
	v_lshlrev_b64 v[25:26], 1, v[25:26]
	v_lshlrev_b64 v[29:30], 1, v[29:30]
	v_add_co_ci_u32_e32 v32, vcc_lo, v2, v32, vcc_lo
	s_delay_alu instid0(VALU_DEP_3) | instskip(NEXT) | instid1(VALU_DEP_4)
	v_add_co_u32 v25, vcc_lo, v1, v25
	v_add_co_ci_u32_e32 v26, vcc_lo, v2, v26, vcc_lo
	s_delay_alu instid0(VALU_DEP_4)
	v_add_co_u32 v29, vcc_lo, v1, v29
	v_add_co_ci_u32_e32 v30, vcc_lo, v2, v30, vcc_lo
	s_waitcnt lgkmcnt(4)
	global_store_b128 v[23:24], v[3:6], off
	s_waitcnt lgkmcnt(3)
	global_store_b128 v[27:28], v[7:10], off
	;; [unrolled: 2-line block ×5, first 2 shown]
	s_and_b32 exec_lo, exec_lo, s3
	s_cbranch_execz .LBB512_2
; %bb.114:
	ds_load_b128 v[3:6], v0 offset:896
	s_add_i32 s1, s31, 14
	s_delay_alu instid0(SALU_CYCLE_1) | instskip(NEXT) | instid1(SALU_CYCLE_1)
	s_mul_i32 s0, s1, s0
	s_ashr_i32 s1, s0, 31
	s_delay_alu instid0(SALU_CYCLE_1) | instskip(NEXT) | instid1(SALU_CYCLE_1)
	s_lshl_b64 s[0:1], s[0:1], 1
	v_add_co_u32 v0, vcc_lo, v1, s0
	v_add_co_ci_u32_e32 v1, vcc_lo, s1, v2, vcc_lo
	s_waitcnt lgkmcnt(0)
	global_store_b128 v[0:1], v[3:6], off
	s_nop 0
	s_sendmsg sendmsg(MSG_DEALLOC_VGPRS)
	s_endpgm
	.section	.rodata,"a",@progbits
	.p2align	6, 0x0
	.amdhsa_kernel _Z39paged_attention_ll4mi_QKV_mfma16_kernelI14__hip_bfloat16S0_LN4vllm18Fp8KVCacheDataTypeE0EhLi32ELi64ELi256ELb1ELi15EL8MFMAType0EEvPKT_PKT0_S9_ifPKiSB_SB_iPKfiiiPfSE_PS4_PT2_iSD_SD_
		.amdhsa_group_segment_fixed_size 17472
		.amdhsa_private_segment_fixed_size 0
		.amdhsa_kernarg_size 400
		.amdhsa_user_sgpr_count 13
		.amdhsa_user_sgpr_dispatch_ptr 0
		.amdhsa_user_sgpr_queue_ptr 0
		.amdhsa_user_sgpr_kernarg_segment_ptr 1
		.amdhsa_user_sgpr_dispatch_id 0
		.amdhsa_user_sgpr_private_segment_size 0
		.amdhsa_wavefront_size32 1
		.amdhsa_uses_dynamic_stack 0
		.amdhsa_enable_private_segment 0
		.amdhsa_system_sgpr_workgroup_id_x 1
		.amdhsa_system_sgpr_workgroup_id_y 1
		.amdhsa_system_sgpr_workgroup_id_z 1
		.amdhsa_system_sgpr_workgroup_info 0
		.amdhsa_system_vgpr_workitem_id 0
		.amdhsa_next_free_vgpr 142
		.amdhsa_next_free_sgpr 39
		.amdhsa_reserve_vcc 1
		.amdhsa_float_round_mode_32 0
		.amdhsa_float_round_mode_16_64 0
		.amdhsa_float_denorm_mode_32 3
		.amdhsa_float_denorm_mode_16_64 3
		.amdhsa_dx10_clamp 1
		.amdhsa_ieee_mode 1
		.amdhsa_fp16_overflow 0
		.amdhsa_workgroup_processor_mode 1
		.amdhsa_memory_ordered 1
		.amdhsa_forward_progress 0
		.amdhsa_shared_vgpr_count 0
		.amdhsa_exception_fp_ieee_invalid_op 0
		.amdhsa_exception_fp_denorm_src 0
		.amdhsa_exception_fp_ieee_div_zero 0
		.amdhsa_exception_fp_ieee_overflow 0
		.amdhsa_exception_fp_ieee_underflow 0
		.amdhsa_exception_fp_ieee_inexact 0
		.amdhsa_exception_int_div_zero 0
	.end_amdhsa_kernel
	.section	.text._Z39paged_attention_ll4mi_QKV_mfma16_kernelI14__hip_bfloat16S0_LN4vllm18Fp8KVCacheDataTypeE0EhLi32ELi64ELi256ELb1ELi15EL8MFMAType0EEvPKT_PKT0_S9_ifPKiSB_SB_iPKfiiiPfSE_PS4_PT2_iSD_SD_,"axG",@progbits,_Z39paged_attention_ll4mi_QKV_mfma16_kernelI14__hip_bfloat16S0_LN4vllm18Fp8KVCacheDataTypeE0EhLi32ELi64ELi256ELb1ELi15EL8MFMAType0EEvPKT_PKT0_S9_ifPKiSB_SB_iPKfiiiPfSE_PS4_PT2_iSD_SD_,comdat
.Lfunc_end512:
	.size	_Z39paged_attention_ll4mi_QKV_mfma16_kernelI14__hip_bfloat16S0_LN4vllm18Fp8KVCacheDataTypeE0EhLi32ELi64ELi256ELb1ELi15EL8MFMAType0EEvPKT_PKT0_S9_ifPKiSB_SB_iPKfiiiPfSE_PS4_PT2_iSD_SD_, .Lfunc_end512-_Z39paged_attention_ll4mi_QKV_mfma16_kernelI14__hip_bfloat16S0_LN4vllm18Fp8KVCacheDataTypeE0EhLi32ELi64ELi256ELb1ELi15EL8MFMAType0EEvPKT_PKT0_S9_ifPKiSB_SB_iPKfiiiPfSE_PS4_PT2_iSD_SD_
                                        ; -- End function
	.section	.AMDGPU.csdata,"",@progbits
; Kernel info:
; codeLenInByte = 9656
; NumSgprs: 41
; NumVgprs: 142
; ScratchSize: 0
; MemoryBound: 0
; FloatMode: 240
; IeeeMode: 1
; LDSByteSize: 17472 bytes/workgroup (compile time only)
; SGPRBlocks: 5
; VGPRBlocks: 17
; NumSGPRsForWavesPerEU: 41
; NumVGPRsForWavesPerEU: 142
; Occupancy: 10
; WaveLimiterHint : 1
; COMPUTE_PGM_RSRC2:SCRATCH_EN: 0
; COMPUTE_PGM_RSRC2:USER_SGPR: 13
; COMPUTE_PGM_RSRC2:TRAP_HANDLER: 0
; COMPUTE_PGM_RSRC2:TGID_X_EN: 1
; COMPUTE_PGM_RSRC2:TGID_Y_EN: 1
; COMPUTE_PGM_RSRC2:TGID_Z_EN: 1
; COMPUTE_PGM_RSRC2:TIDIG_COMP_CNT: 0
	.section	.text._Z39paged_attention_ll4mi_QKV_mfma16_kernelI14__hip_bfloat16S0_LN4vllm18Fp8KVCacheDataTypeE0EhLi32ELi64ELi256ELb1ELi16EL8MFMAType0EEvPKT_PKT0_S9_ifPKiSB_SB_iPKfiiiPfSE_PS4_PT2_iSD_SD_,"axG",@progbits,_Z39paged_attention_ll4mi_QKV_mfma16_kernelI14__hip_bfloat16S0_LN4vllm18Fp8KVCacheDataTypeE0EhLi32ELi64ELi256ELb1ELi16EL8MFMAType0EEvPKT_PKT0_S9_ifPKiSB_SB_iPKfiiiPfSE_PS4_PT2_iSD_SD_,comdat
	.protected	_Z39paged_attention_ll4mi_QKV_mfma16_kernelI14__hip_bfloat16S0_LN4vllm18Fp8KVCacheDataTypeE0EhLi32ELi64ELi256ELb1ELi16EL8MFMAType0EEvPKT_PKT0_S9_ifPKiSB_SB_iPKfiiiPfSE_PS4_PT2_iSD_SD_ ; -- Begin function _Z39paged_attention_ll4mi_QKV_mfma16_kernelI14__hip_bfloat16S0_LN4vllm18Fp8KVCacheDataTypeE0EhLi32ELi64ELi256ELb1ELi16EL8MFMAType0EEvPKT_PKT0_S9_ifPKiSB_SB_iPKfiiiPfSE_PS4_PT2_iSD_SD_
	.globl	_Z39paged_attention_ll4mi_QKV_mfma16_kernelI14__hip_bfloat16S0_LN4vllm18Fp8KVCacheDataTypeE0EhLi32ELi64ELi256ELb1ELi16EL8MFMAType0EEvPKT_PKT0_S9_ifPKiSB_SB_iPKfiiiPfSE_PS4_PT2_iSD_SD_
	.p2align	8
	.type	_Z39paged_attention_ll4mi_QKV_mfma16_kernelI14__hip_bfloat16S0_LN4vllm18Fp8KVCacheDataTypeE0EhLi32ELi64ELi256ELb1ELi16EL8MFMAType0EEvPKT_PKT0_S9_ifPKiSB_SB_iPKfiiiPfSE_PS4_PT2_iSD_SD_,@function
_Z39paged_attention_ll4mi_QKV_mfma16_kernelI14__hip_bfloat16S0_LN4vllm18Fp8KVCacheDataTypeE0EhLi32ELi64ELi256ELb1ELi16EL8MFMAType0EEvPKT_PKT0_S9_ifPKiSB_SB_iPKfiiiPfSE_PS4_PT2_iSD_SD_: ; @_Z39paged_attention_ll4mi_QKV_mfma16_kernelI14__hip_bfloat16S0_LN4vllm18Fp8KVCacheDataTypeE0EhLi32ELi64ELi256ELb1ELi16EL8MFMAType0EEvPKT_PKT0_S9_ifPKiSB_SB_iPKfiiiPfSE_PS4_PT2_iSD_SD_
; %bb.0:
	s_load_b64 s[2:3], s[0:1], 0x30
	s_mov_b32 s30, s13
	s_waitcnt lgkmcnt(0)
	s_cmp_lg_u64 s[2:3], 0
	s_cselect_b32 s6, -1, 0
	s_ashr_i32 s31, s13, 31
	s_cmp_eq_u64 s[2:3], 0
	s_cbranch_scc1 .LBB513_3
; %bb.1:
	s_lshl_b64 s[4:5], s[30:31], 2
	s_delay_alu instid0(SALU_CYCLE_1) | instskip(SKIP_4) | instid1(SALU_CYCLE_1)
	s_add_u32 s4, s2, s4
	s_addc_u32 s5, s3, s5
	s_load_b64 s[4:5], s[4:5], 0x0
	s_waitcnt lgkmcnt(0)
	s_sub_i32 s4, s5, s4
	s_cmp_eq_u32 s4, 1
	s_cselect_b32 s4, -1, 0
	s_delay_alu instid0(SALU_CYCLE_1)
	s_and_not1_b32 vcc_lo, exec_lo, s4
	s_cbranch_vccz .LBB513_4
.LBB513_2:
	s_endpgm
.LBB513_3:
.LBB513_4:
	s_load_b64 s[8:9], s[0:1], 0x28
	s_lshl_b64 s[4:5], s[30:31], 2
	s_waitcnt lgkmcnt(0)
	s_add_u32 s8, s8, s4
	s_addc_u32 s9, s9, s5
	s_lshl_b32 s16, s14, 8
	s_load_b32 s18, s[8:9], 0x0
	s_waitcnt lgkmcnt(0)
	s_cmp_ge_i32 s16, s18
	s_cbranch_scc1 .LBB513_2
; %bb.5:
	s_and_not1_b32 vcc_lo, exec_lo, s6
	s_cbranch_vccnz .LBB513_7
; %bb.6:
	s_add_u32 s2, s2, s4
	s_addc_u32 s3, s3, s5
	s_load_b32 s17, s[2:3], 0x0
	s_branch .LBB513_8
.LBB513_7:
	s_mov_b32 s17, s30
.LBB513_8:
	s_clause 0x2
	s_load_b128 s[8:11], s[0:1], 0x8
	s_load_b64 s[12:13], s[0:1], 0x20
	s_load_b128 s[4:7], s[0:1], 0x48
	v_and_b32_e32 v74, 15, v0
	v_cmp_lt_u32_e32 vcc_lo, 0xff, v0
	s_delay_alu instid0(VALU_DEP_2) | instskip(SKIP_2) | instid1(VALU_DEP_3)
	v_cmp_lt_u32_e64 s3, 7, v74
	v_lshlrev_b32_e32 v1, 3, v74
	v_cmp_gt_u32_e64 s2, 8, v74
	s_or_b32 s3, vcc_lo, s3
	s_waitcnt lgkmcnt(0)
	s_and_saveexec_b32 s7, s3
	s_delay_alu instid0(SALU_CYCLE_1)
	s_xor_b32 s3, exec_lo, s7
; %bb.9:
	v_mov_b32_e32 v2, 0
; %bb.10:
	s_or_saveexec_b32 s3, s3
	v_lshrrev_b32_e32 v73, 5, v0
	v_and_b32_e32 v75, 31, v0
	v_and_b32_e32 v84, 1, v0
	v_bfe_u32 v83, v0, 4, 1
	s_lshl_b32 s31, s15, 4
	s_xor_b32 exec_lo, exec_lo, s3
	s_cbranch_execz .LBB513_12
; %bb.11:
	s_delay_alu instid0(VALU_DEP_1)
	v_lshl_or_b32 v7, v73, 1, v83
	s_load_b64 s[20:21], s[0:1], 0x0
	s_mul_hi_i32 s23, s17, s4
	s_mul_i32 s22, s17, s4
	v_lshlrev_b32_e32 v4, 1, v1
	v_or_b32_e32 v2, s31, v7
	s_lshl_b64 s[22:23], s[22:23], 1
	v_lshlrev_b32_e32 v7, 6, v7
	v_lshlrev_b32_e32 v8, 10, v84
	s_delay_alu instid0(VALU_DEP_3) | instskip(NEXT) | instid1(VALU_DEP_1)
	v_lshlrev_b32_e32 v2, 6, v2
	v_ashrrev_i32_e32 v3, 31, v2
	s_delay_alu instid0(VALU_DEP_1) | instskip(SKIP_3) | instid1(VALU_DEP_1)
	v_lshlrev_b64 v[2:3], 1, v[2:3]
	s_waitcnt lgkmcnt(0)
	s_add_u32 s4, s20, s22
	s_addc_u32 s7, s21, s23
	v_add_co_u32 v2, vcc_lo, s4, v2
	s_delay_alu instid0(VALU_DEP_2) | instskip(NEXT) | instid1(VALU_DEP_2)
	v_add_co_ci_u32_e32 v3, vcc_lo, s7, v3, vcc_lo
	v_add_co_u32 v2, vcc_lo, v2, v4
	s_delay_alu instid0(VALU_DEP_2) | instskip(SKIP_2) | instid1(VALU_DEP_1)
	v_add_co_ci_u32_e32 v3, vcc_lo, 0, v3, vcc_lo
	global_load_b128 v[3:6], v[2:3], off
	v_lshlrev_b32_e32 v2, 10, v74
	v_and_b32_e32 v2, 0x3800, v2
	s_delay_alu instid0(VALU_DEP_1)
	v_or3_b32 v7, v2, v8, v7
	v_mov_b32_e32 v2, 0
	s_waitcnt vmcnt(0)
	ds_store_b128 v7, v[3:6]
.LBB513_12:
	s_or_b32 exec_lo, exec_lo, s3
	v_and_b32_e32 v3, 0xef, v0
	s_add_i32 s3, s18, 31
	s_clause 0x1
	s_load_b32 s4, s[0:1], 0x38
	s_load_b32 s19, s[0:1], 0x1c
	s_ashr_i32 s7, s3, 31
	v_add_nc_u32_e32 v3, s16, v3
	s_lshr_b32 s7, s7, 27
	s_waitcnt lgkmcnt(0)
	s_add_i32 s3, s3, s7
	s_barrier
	v_ashrrev_i32_e32 v4, 31, v3
	v_cmp_gt_i32_e32 vcc_lo, s18, v3
	s_ashr_i32 s3, s3, 5
	buffer_gl0_inv
	s_add_i32 s3, s3, -1
	v_lshrrev_b32_e32 v5, 27, v4
	v_or_b32_e32 v4, 16, v3
	s_mul_i32 s6, s15, s6
	v_lshlrev_b64 v[81:82], 1, v[1:2]
	s_delay_alu instid0(VALU_DEP_3) | instskip(NEXT) | instid1(VALU_DEP_3)
	v_add_nc_u32_e32 v6, v3, v5
	v_add_nc_u32_e32 v5, v4, v5
	s_mul_i32 s20, s30, s4
	s_delay_alu instid0(SALU_CYCLE_1) | instskip(NEXT) | instid1(VALU_DEP_2)
	s_ashr_i32 s21, s20, 31
	v_ashrrev_i32_e32 v6, 5, v6
	s_delay_alu instid0(VALU_DEP_2) | instskip(SKIP_1) | instid1(SALU_CYCLE_1)
	v_ashrrev_i32_e32 v5, 5, v5
	s_lshl_b64 s[20:21], s[20:21], 2
	s_add_u32 s4, s12, s20
	s_delay_alu instid0(VALU_DEP_2) | instskip(SKIP_3) | instid1(SALU_CYCLE_1)
	v_cndmask_b32_e32 v3, s3, v6, vcc_lo
	v_cmp_gt_i32_e32 vcc_lo, s18, v4
	s_addc_u32 s17, s13, s21
	s_ashr_i32 s7, s6, 31
	s_lshl_b64 s[6:7], s[6:7], 1
	v_cndmask_b32_e32 v5, s3, v5, vcc_lo
	v_ashrrev_i32_e32 v4, 31, v3
	s_add_u32 s15, s8, s6
	s_addc_u32 s28, s9, s7
	s_lshl_b32 s8, s14, 3
	v_ashrrev_i32_e32 v6, 31, v5
	v_lshlrev_b64 v[3:4], 2, v[3:4]
	s_ashr_i32 s9, s8, 31
	s_delay_alu instid0(SALU_CYCLE_1) | instskip(NEXT) | instid1(VALU_DEP_2)
	s_lshl_b64 s[8:9], s[8:9], 2
	v_lshlrev_b64 v[5:6], 2, v[5:6]
	s_add_u32 s8, s4, s8
	s_delay_alu instid0(VALU_DEP_2) | instskip(SKIP_1) | instid1(VALU_DEP_3)
	v_add_co_u32 v3, vcc_lo, s4, v3
	v_add_co_ci_u32_e32 v4, vcc_lo, s17, v4, vcc_lo
	v_add_co_u32 v5, vcc_lo, s4, v5
	s_delay_alu instid0(VALU_DEP_4)
	v_add_co_ci_u32_e32 v6, vcc_lo, s17, v6, vcc_lo
	s_addc_u32 s9, s17, s9
	s_clause 0x1
	global_load_b32 v7, v[3:4], off
	global_load_b32 v8, v[5:6], off
	s_or_b32 s12, s16, 32
	s_delay_alu instid0(SALU_CYCLE_1) | instskip(SKIP_2) | instid1(SALU_CYCLE_1)
	s_ashr_i32 s13, s12, 5
	s_cmp_lt_i32 s12, s18
	s_cselect_b32 s12, s13, s3
	s_ashr_i32 s13, s12, 31
	s_delay_alu instid0(SALU_CYCLE_1) | instskip(NEXT) | instid1(SALU_CYCLE_1)
	s_lshl_b64 s[12:13], s[12:13], 2
	s_add_u32 s12, s4, s12
	s_addc_u32 s13, s17, s13
	s_or_b32 s20, s16, 64
	s_delay_alu instid0(SALU_CYCLE_1) | instskip(SKIP_2) | instid1(SALU_CYCLE_1)
	s_ashr_i32 s21, s20, 5
	s_cmp_lt_i32 s20, s18
	s_cselect_b32 s20, s21, s3
	s_ashr_i32 s21, s20, 31
	s_delay_alu instid0(SALU_CYCLE_1) | instskip(NEXT) | instid1(SALU_CYCLE_1)
	s_lshl_b64 s[20:21], s[20:21], 2
	s_add_u32 s20, s4, s20
	s_addc_u32 s21, s17, s21
	;; [unrolled: 10-line block ×5, first 2 shown]
	s_clause 0x5
	s_load_b32 s29, s[8:9], 0x0
	s_load_b32 s33, s[12:13], 0x0
	;; [unrolled: 1-line block ×6, first 2 shown]
	s_or_b32 s8, s16, 0xc0
	s_mov_b32 s20, 0
	s_ashr_i32 s9, s8, 5
	s_cmp_lt_i32 s8, s18
	s_mov_b32 s21, s20
	s_cselect_b32 s8, s9, s3
	s_mov_b32 s22, s20
	s_ashr_i32 s9, s8, 31
	s_mov_b32 s23, s20
	s_lshl_b64 s[8:9], s[8:9], 2
	s_mov_b32 s24, s20
	s_mov_b32 s25, s20
	;; [unrolled: 1-line block ×4, first 2 shown]
	v_lshlrev_b32_e32 v85, 6, v74
	s_add_u32 s8, s4, s8
	s_addc_u32 s9, s17, s9
	v_dual_mov_b32 v117, s27 :: v_dual_mov_b32 v110, s20
	v_dual_mov_b32 v116, s26 :: v_dual_mov_b32 v115, s25
	;; [unrolled: 1-line block ×4, first 2 shown]
	s_waitcnt lgkmcnt(0)
	s_mul_hi_i32 s13, s29, s5
	s_mul_i32 s12, s29, s5
	v_lshl_or_b32 v57, v73, 10, v85
	s_mul_hi_i32 s21, s33, s5
	s_mul_i32 s20, s33, s5
	s_mul_hi_i32 s25, s34, s5
	s_mul_i32 s24, s34, s5
	;; [unrolled: 2-line block ×4, first 2 shown]
	s_waitcnt vmcnt(1)
	v_mad_i64_i32 v[3:4], null, v7, s5, 0
	s_waitcnt vmcnt(0)
	v_mad_i64_i32 v[5:6], null, v8, s5, 0
	s_delay_alu instid0(VALU_DEP_2) | instskip(NEXT) | instid1(VALU_DEP_2)
	v_lshlrev_b64 v[3:4], 1, v[3:4]
	v_lshlrev_b64 v[1:2], 1, v[5:6]
	s_delay_alu instid0(VALU_DEP_2) | instskip(NEXT) | instid1(VALU_DEP_3)
	v_add_co_u32 v3, vcc_lo, s15, v3
	v_add_co_ci_u32_e32 v4, vcc_lo, s28, v4, vcc_lo
	s_delay_alu instid0(VALU_DEP_3) | instskip(NEXT) | instid1(VALU_DEP_4)
	v_add_co_u32 v1, vcc_lo, s15, v1
	v_add_co_ci_u32_e32 v2, vcc_lo, s28, v2, vcc_lo
	s_delay_alu instid0(VALU_DEP_4) | instskip(NEXT) | instid1(VALU_DEP_4)
	v_add_co_u32 v41, vcc_lo, v3, v81
	v_add_co_ci_u32_e32 v42, vcc_lo, v4, v82, vcc_lo
	s_delay_alu instid0(VALU_DEP_4) | instskip(NEXT) | instid1(VALU_DEP_4)
	v_add_co_u32 v43, vcc_lo, v1, v81
	v_add_co_ci_u32_e32 v44, vcc_lo, v2, v82, vcc_lo
	s_clause 0xf
	global_load_b128 v[1:4], v[41:42], off
	global_load_b128 v[5:8], v[41:42], off offset:512
	global_load_b128 v[9:12], v[43:44], off offset:256
	global_load_b128 v[13:16], v[43:44], off offset:768
	global_load_b128 v[17:20], v[41:42], off offset:1024
	global_load_b128 v[21:24], v[41:42], off offset:1536
	global_load_b128 v[25:28], v[43:44], off offset:1280
	global_load_b128 v[29:32], v[43:44], off offset:1792
	global_load_b128 v[33:36], v[41:42], off offset:2048
	global_load_b128 v[37:40], v[41:42], off offset:2560
	global_load_b128 v[86:89], v[43:44], off offset:2304
	global_load_b128 v[90:93], v[43:44], off offset:2816
	global_load_b128 v[94:97], v[41:42], off offset:3072
	global_load_b128 v[98:101], v[41:42], off offset:3584
	global_load_b128 v[102:105], v[43:44], off offset:3328
	global_load_b128 v[106:109], v[43:44], off offset:3840
	s_or_b32 s15, s16, 0xe0
	ds_load_b128 v[41:44], v85
	ds_load_b128 v[45:48], v85 offset:1024
	ds_load_b128 v[49:52], v85 offset:2048
	;; [unrolled: 1-line block ×3, first 2 shown]
	s_ashr_i32 s22, s15, 5
	s_cmp_lt_i32 s15, s18
	ds_load_b128 v[118:121], v85 offset:4096
	ds_load_b128 v[122:125], v85 offset:5120
	s_cselect_b32 s22, s22, s3
	ds_load_b128 v[126:129], v85 offset:6144
	ds_load_b128 v[130:133], v85 offset:7168
	s_ashr_i32 s23, s22, 31
	s_delay_alu instid0(SALU_CYCLE_1) | instskip(NEXT) | instid1(SALU_CYCLE_1)
	s_lshl_b64 s[22:23], s[22:23], 2
	s_add_u32 s22, s4, s22
	s_addc_u32 s23, s17, s23
	s_add_i32 s15, s16, 0x100
	s_delay_alu instid0(SALU_CYCLE_1)
	s_ashr_i32 s28, s15, 5
	s_cmp_lt_i32 s15, s18
	s_load_b32 s15, s[8:9], 0x0
	s_cselect_b32 s28, s28, s3
	s_mul_hi_i32 s9, s36, s5
	s_ashr_i32 s29, s28, 31
	s_mul_i32 s8, s36, s5
	s_lshl_b64 s[28:29], s[28:29], 2
	s_delay_alu instid0(SALU_CYCLE_1)
	s_add_u32 s28, s4, s28
	s_addc_u32 s29, s17, s29
	s_add_u32 s3, s10, s6
	s_clause 0x1
	s_load_b32 s4, s[22:23], 0x0
	s_load_b32 s17, s[28:29], 0x0
	s_addc_u32 s28, s11, s7
	v_add_co_u32 v76, s3, s3, v57
	s_delay_alu instid0(VALU_DEP_1) | instskip(SKIP_2) | instid1(VALU_DEP_2)
	v_add_co_ci_u32_e64 v77, null, s28, 0, s3
	s_lshl_b64 s[6:7], s[12:13], 1
	s_lshl_b64 s[10:11], s[20:21], 1
	v_add_co_u32 v57, vcc_lo, v76, s6
	s_delay_alu instid0(VALU_DEP_2)
	v_add_co_ci_u32_e32 v58, vcc_lo, s7, v77, vcc_lo
	s_lshl_b64 s[12:13], s[24:25], 1
	s_lshl_b64 s[20:21], s[26:27], 1
	;; [unrolled: 1-line block ×4, first 2 shown]
	s_waitcnt lgkmcnt(0)
	s_mul_hi_i32 s25, s15, s5
	s_mul_i32 s24, s15, s5
	s_clause 0x1
	global_load_b128 v[65:68], v[57:58], off
	global_load_b128 v[69:72], v[57:58], off offset:16
	s_lshl_b64 s[6:7], s[24:25], 1
	s_waitcnt vmcnt(16)
	v_wmma_f32_16x16x16_bf16 v[134:141], v[1:8], v[41:48], v[110:117]
	v_add_co_u32 v1, vcc_lo, v76, s10
	v_add_co_ci_u32_e32 v2, vcc_lo, s11, v77, vcc_lo
	s_waitcnt vmcnt(12)
	s_delay_alu instid0(VALU_DEP_3) | instskip(SKIP_3) | instid1(VALU_DEP_3)
	v_wmma_f32_16x16x16_bf16 v[134:141], v[17:24], v[49:56], v[134:141]
	v_add_co_u32 v3, vcc_lo, v76, s12
	v_add_co_ci_u32_e32 v4, vcc_lo, s13, v77, vcc_lo
	s_waitcnt vmcnt(8)
	v_wmma_f32_16x16x16_bf16 v[134:141], v[33:40], v[118:125], v[134:141]
	v_add_co_u32 v5, vcc_lo, v76, s20
	v_add_co_ci_u32_e32 v6, vcc_lo, s21, v77, vcc_lo
	s_waitcnt vmcnt(4)
	s_delay_alu instid0(VALU_DEP_3) | instskip(SKIP_2) | instid1(VALU_DEP_3)
	v_wmma_f32_16x16x16_bf16 v[134:141], v[94:101], v[126:133], v[134:141]
	v_add_co_u32 v7, vcc_lo, v76, s8
	v_add_co_ci_u32_e32 v8, vcc_lo, s9, v77, vcc_lo
	v_mul_f32_e32 v100, s19, v141
	v_wmma_f32_16x16x16_bf16 v[110:117], v[9:16], v[41:48], v[110:117]
	s_clause 0x1
	global_load_b128 v[57:60], v[1:2], off
	global_load_b128 v[61:64], v[1:2], off offset:16
	s_mul_hi_i32 s9, s4, s5
	s_mul_i32 s8, s4, s5
	v_mul_f32_e32 v99, s19, v135
	v_wmma_f32_16x16x16_bf16 v[110:117], v[25:32], v[49:56], v[110:117]
	s_clause 0x5
	global_load_b128 v[49:52], v[3:4], off
	global_load_b128 v[53:56], v[3:4], off offset:16
	global_load_b128 v[41:44], v[5:6], off
	global_load_b128 v[45:48], v[5:6], off offset:16
	;; [unrolled: 2-line block ×3, first 2 shown]
	v_add_co_u32 v5, vcc_lo, v76, s22
	v_add_co_ci_u32_e32 v6, vcc_lo, s23, v77, vcc_lo
	v_add_co_u32 v17, vcc_lo, v76, s6
	v_add_co_ci_u32_e32 v18, vcc_lo, s7, v77, vcc_lo
	s_lshl_b64 s[6:7], s[8:9], 1
	s_mul_hi_i32 s9, s17, s5
	s_mul_i32 s8, s17, s5
	v_add_co_u32 v19, vcc_lo, v76, s6
	s_lshl_b64 s[4:5], s[8:9], 1
	v_add_co_ci_u32_e32 v20, vcc_lo, s7, v77, vcc_lo
	v_add_co_u32 v21, vcc_lo, v76, s4
	v_add_co_ci_u32_e32 v22, vcc_lo, s5, v77, vcc_lo
	s_clause 0x7
	global_load_b128 v[1:4], v[5:6], off
	global_load_b128 v[5:8], v[5:6], off offset:16
	global_load_b128 v[33:36], v[17:18], off
	global_load_b128 v[37:40], v[17:18], off offset:16
	;; [unrolled: 2-line block ×4, first 2 shown]
	v_and_b32_e32 v76, 0xe0, v0
	v_mbcnt_lo_u32_b32 v77, -1, 0
	v_wmma_f32_16x16x16_bf16 v[110:117], v[86:93], v[118:125], v[110:117]
	s_waitcnt vmcnt(0)
	s_barrier
	v_add_nc_u32_e32 v76, s16, v76
	v_xor_b32_e32 v78, 16, v77
	v_wmma_f32_16x16x16_bf16 v[110:117], v[102:109], v[126:133], v[110:117]
	v_mul_f32_e32 v97, s19, v134
	buffer_gl0_inv
	v_or_b32_e32 v76, v76, v83
	v_cmp_gt_i32_e32 vcc_lo, 32, v78
	s_delay_alu instid0(VALU_DEP_2)
	v_or_b32_e32 v79, 4, v76
	v_cndmask_b32_e32 v77, v77, v78, vcc_lo
	v_or_b32_e32 v78, 2, v76
	v_or_b32_e32 v80, 6, v76
	v_cmp_gt_i32_e32 vcc_lo, s18, v76
	v_or_b32_e32 v86, 8, v76
	v_or_b32_e32 v87, 10, v76
	v_cmp_gt_i32_e64 s3, s18, v78
	v_or_b32_e32 v88, 12, v76
	v_or_b32_e32 v89, 14, v76
	;; [unrolled: 1-line block ×10, first 2 shown]
	v_cndmask_b32_e32 v76, 0xff7fffff, v97, vcc_lo
	v_cndmask_b32_e64 v78, 0xff7fffff, v99, s3
	v_mul_f32_e32 v99, s19, v137
	v_cmp_gt_i32_e64 s4, s18, v80
	v_mul_f32_e32 v80, s19, v136
	v_cmp_gt_i32_e64 s5, s18, v79
	v_max3_f32 v76, v76, 0xff7fffff, v78
	v_dual_mul_f32 v78, s19, v138 :: v_dual_mul_f32 v79, s19, v139
	v_cmp_gt_i32_e64 s6, s18, v86
	s_delay_alu instid0(VALU_DEP_4)
	v_cndmask_b32_e64 v80, 0xff7fffff, v80, s5
	v_cmp_gt_i32_e64 s7, s18, v87
	v_mul_f32_e32 v86, s19, v116
	v_cndmask_b32_e64 v99, 0xff7fffff, v99, s4
	v_mul_f32_e32 v97, s19, v140
	v_cndmask_b32_e64 v78, 0xff7fffff, v78, s6
	v_cndmask_b32_e64 v79, 0xff7fffff, v79, s7
	v_cmp_gt_i32_e64 s8, s18, v89
	v_max3_f32 v76, v76, v80, v99
	v_cmp_gt_i32_e64 s9, s18, v88
	v_dual_mul_f32 v99, s19, v114 :: v_dual_mul_f32 v88, s19, v111
	v_mul_f32_e32 v89, s19, v110
	s_delay_alu instid0(VALU_DEP_4)
	v_max3_f32 v76, v76, v78, v79
	v_mul_f32_e32 v78, s19, v113
	v_cndmask_b32_e64 v97, 0xff7fffff, v97, s9
	v_cndmask_b32_e64 v100, 0xff7fffff, v100, s8
	v_cmp_gt_i32_e64 s10, s18, v90
	v_cmp_gt_i32_e64 s11, s18, v91
	v_mul_f32_e32 v79, s19, v112
	v_cmp_gt_i32_e64 s12, s18, v92
	v_max3_f32 v76, v76, v97, v100
	v_cndmask_b32_e64 v89, 0xff7fffff, v89, s10
	v_cndmask_b32_e64 v88, 0xff7fffff, v88, s11
	v_cmp_gt_i32_e64 s13, s18, v93
	v_mul_f32_e32 v87, s19, v115
	v_cndmask_b32_e64 v79, 0xff7fffff, v79, s12
	v_cmp_gt_i32_e64 s15, s18, v94
	v_max3_f32 v76, v76, v89, v88
	v_cndmask_b32_e64 v78, 0xff7fffff, v78, s13
	v_cmp_gt_i32_e64 s16, s18, v95
	v_mul_f32_e32 v80, s19, v117
	v_cndmask_b32_e64 v88, 0xff7fffff, v99, s15
	v_cmp_gt_i32_e64 s17, s18, v96
	v_max3_f32 v76, v76, v79, v78
	v_cndmask_b32_e64 v87, 0xff7fffff, v87, s16
	v_cmp_gt_i32_e64 s18, s18, v98
	v_lshlrev_b32_e32 v99, 2, v77
	v_cndmask_b32_e64 v78, 0xff7fffff, v86, s17
	s_delay_alu instid0(VALU_DEP_4) | instskip(NEXT) | instid1(VALU_DEP_4)
	v_max3_f32 v76, v76, v88, v87
	v_cndmask_b32_e64 v79, 0xff7fffff, v80, s18
	s_delay_alu instid0(VALU_DEP_1) | instskip(SKIP_3) | instid1(VALU_DEP_1)
	v_max3_f32 v76, v76, v78, v79
	ds_bpermute_b32 v77, v99, v76
	s_waitcnt lgkmcnt(0)
	v_max_f32_e32 v77, v77, v77
	v_max_f32_e32 v89, v76, v77
	s_delay_alu instid0(VALU_DEP_1) | instskip(NEXT) | instid1(VALU_DEP_1)
	v_fma_f32 v80, s19, v138, -v89
	v_mul_f32_e32 v80, 0x3fb8aa3b, v80
	s_delay_alu instid0(VALU_DEP_1) | instskip(SKIP_3) | instid1(VALU_DEP_1)
	v_exp_f32_e32 v80, v80
	s_waitcnt_depctr 0xfff
	v_cndmask_b32_e64 v95, 0, v80, s6
	v_fma_f32 v80, s19, v111, -v89
	v_mul_f32_e32 v80, 0x3fb8aa3b, v80
	v_fma_f32 v78, s19, v136, -v89
	v_fma_f32 v86, s19, v140, -v89
	;; [unrolled: 1-line block ×5, first 2 shown]
	v_mul_f32_e32 v78, 0x3fb8aa3b, v78
	v_mul_f32_e32 v86, 0x3fb8aa3b, v86
	;; [unrolled: 1-line block ×3, first 2 shown]
	v_fma_f32 v98, s19, v116, -v89
	v_fma_f32 v100, s19, v117, -v89
	v_exp_f32_e32 v78, v78
	v_exp_f32_e32 v86, v86
	;; [unrolled: 1-line block ×4, first 2 shown]
	v_mul_f32_e32 v100, 0x3fb8aa3b, v100
	v_fma_f32 v87, s19, v114, -v89
	s_delay_alu instid0(VALU_DEP_2)
	v_exp_f32_e32 v100, v100
	v_cndmask_b32_e64 v92, 0, v78, s5
	v_fma_f32 v78, s19, v141, -v89
	v_cndmask_b32_e64 v93, 0, v86, s9
	v_fma_f32 v86, s19, v113, -v89
	v_mul_f32_e32 v77, 0x3fb8aa3b, v77
	s_delay_alu instid0(VALU_DEP_4) | instskip(NEXT) | instid1(VALU_DEP_3)
	v_dual_mul_f32 v79, 0x3fb8aa3b, v79 :: v_dual_mul_f32 v78, 0x3fb8aa3b, v78
	v_dual_mul_f32 v87, 0x3fb8aa3b, v87 :: v_dual_mul_f32 v86, 0x3fb8aa3b, v86
	s_delay_alu instid0(VALU_DEP_3) | instskip(NEXT) | instid1(VALU_DEP_2)
	v_exp_f32_e32 v77, v77
	v_exp_f32_e32 v79, v79
	s_delay_alu instid0(VALU_DEP_2) | instskip(NEXT) | instid1(VALU_DEP_1)
	v_exp_f32_e32 v78, v78
	v_exp_f32_e32 v87, v87
	;; [unrolled: 1-line block ×3, first 2 shown]
	v_cndmask_b32_e64 v90, 0, v77, s3
	v_cndmask_b32_e64 v94, 0, v79, s4
	s_delay_alu instid0(TRANS32_DEP_3) | instskip(SKIP_4) | instid1(VALU_DEP_2)
	v_cndmask_b32_e64 v97, 0, v78, s8
	v_cndmask_b32_e32 v91, 0, v76, vcc_lo
	v_fma_f32 v76, s19, v139, -v89
	v_fma_f32 v79, s19, v110, -v89
	s_mov_b32 s3, exec_lo
	v_dual_add_f32 v77, 0, v91 :: v_dual_mul_f32 v76, 0x3fb8aa3b, v76
	s_delay_alu instid0(VALU_DEP_1) | instskip(NEXT) | instid1(VALU_DEP_2)
	v_add_f32_e32 v77, v77, v90
	v_exp_f32_e32 v76, v76
	s_delay_alu instid0(VALU_DEP_1) | instskip(NEXT) | instid1(VALU_DEP_1)
	v_add_f32_e32 v77, v77, v92
	v_add_f32_e32 v77, v77, v94
	s_waitcnt_depctr 0xfff
	v_cndmask_b32_e64 v96, 0, v76, s7
	v_add_f32_e32 v76, v77, v95
	v_fma_f32 v77, s19, v112, -v89
	s_delay_alu instid0(VALU_DEP_1) | instskip(NEXT) | instid1(VALU_DEP_1)
	v_dual_add_f32 v76, v76, v96 :: v_dual_mul_f32 v77, 0x3fb8aa3b, v77
	v_add_f32_e32 v78, v76, v93
	s_delay_alu instid0(VALU_DEP_2) | instskip(SKIP_1) | instid1(VALU_DEP_2)
	v_exp_f32_e32 v88, v77
	v_cndmask_b32_e64 v77, 0, v80, s11
	v_dual_mul_f32 v79, 0x3fb8aa3b, v79 :: v_dual_add_f32 v78, v78, v97
	s_delay_alu instid0(VALU_DEP_1) | instskip(SKIP_3) | instid1(VALU_DEP_1)
	v_exp_f32_e32 v79, v79
	s_waitcnt_depctr 0xfff
	v_cndmask_b32_e64 v76, 0, v79, s10
	v_fma_f32 v79, s19, v115, -v89
	v_dual_add_f32 v80, v78, v76 :: v_dual_mul_f32 v79, 0x3fb8aa3b, v79
	v_cndmask_b32_e64 v78, 0, v88, s12
	v_mul_f32_e32 v88, 0x3fb8aa3b, v98
	s_delay_alu instid0(VALU_DEP_3) | instskip(NEXT) | instid1(VALU_DEP_4)
	v_add_f32_e32 v80, v80, v77
	v_exp_f32_e32 v98, v79
	v_cndmask_b32_e64 v79, 0, v86, s13
	s_delay_alu instid0(VALU_DEP_3) | instskip(NEXT) | instid1(VALU_DEP_2)
	v_exp_f32_e32 v88, v88
	v_add_f32_e32 v86, v80, v78
	v_cndmask_b32_e64 v80, 0, v87, s15
	s_delay_alu instid0(VALU_DEP_2) | instskip(SKIP_4) | instid1(VALU_DEP_2)
	v_add_f32_e32 v87, v86, v79
	s_waitcnt_depctr 0xfff
	v_cndmask_b32_e64 v86, 0, v98, s16
	v_add_f32_e32 v98, v87, v80
	v_cndmask_b32_e64 v87, 0, v88, s17
	v_add_f32_e32 v88, v98, v86
	s_delay_alu instid0(VALU_DEP_1) | instskip(SKIP_1) | instid1(VALU_DEP_1)
	v_add_f32_e32 v98, v88, v87
	v_cndmask_b32_e64 v88, 0, v100, s18
	v_add_f32_e32 v98, v98, v88
	ds_bpermute_b32 v99, v99, v98
	v_cmpx_gt_u32_e32 16, v75
	s_cbranch_execz .LBB513_14
; %bb.13:
	v_mul_u32_u24_e32 v75, 0x44, v73
	s_waitcnt lgkmcnt(0)
	v_add_f32_e32 v98, v98, v99
	s_delay_alu instid0(VALU_DEP_2) | instskip(NEXT) | instid1(VALU_DEP_1)
	v_lshl_add_u32 v75, v74, 2, v75
	v_add_nc_u32_e32 v75, 0x4000, v75
	ds_store_2addr_b32 v75, v89, v98 offset1:136
.LBB513_14:
	s_or_b32 exec_lo, exec_lo, s3
	v_lshlrev_b32_e32 v74, 2, v74
	s_waitcnt lgkmcnt(0)
	s_barrier
	buffer_gl0_inv
	v_cmp_eq_u32_e64 s3, 1, v73
	v_add_nc_u32_e32 v89, 0x4000, v74
	ds_load_2addr_b32 v[98:99], v89 offset1:17
	ds_load_2addr_b32 v[100:101], v89 offset0:34 offset1:51
	ds_load_2addr_b32 v[102:103], v89 offset0:68 offset1:85
	;; [unrolled: 1-line block ×4, first 2 shown]
	s_waitcnt lgkmcnt(4)
	v_max3_f32 v74, v98, 0xff7fffff, v99
	s_waitcnt lgkmcnt(3)
	s_delay_alu instid0(VALU_DEP_1) | instskip(SKIP_1) | instid1(VALU_DEP_1)
	v_max3_f32 v74, v74, v100, v101
	s_waitcnt lgkmcnt(2)
	v_max3_f32 v74, v74, v102, v103
	s_waitcnt lgkmcnt(1)
	s_delay_alu instid0(VALU_DEP_1) | instskip(NEXT) | instid1(VALU_DEP_1)
	v_max3_f32 v74, v74, v104, v105
	v_sub_f32_e32 v108, v99, v74
	v_sub_f32_e32 v75, v98, v74
	ds_load_2addr_b32 v[98:99], v89 offset0:170 offset1:187
	v_sub_f32_e32 v100, v100, v74
	v_dual_mul_f32 v108, 0x3fb8aa3b, v108 :: v_dual_mul_f32 v75, 0x3fb8aa3b, v75
	s_delay_alu instid0(VALU_DEP_2) | instskip(NEXT) | instid1(VALU_DEP_2)
	v_mul_f32_e32 v110, 0x3fb8aa3b, v100
	v_exp_f32_e32 v108, v108
	s_delay_alu instid0(VALU_DEP_2)
	v_exp_f32_e32 v109, v75
	v_sub_f32_e32 v75, v101, v74
	ds_load_2addr_b32 v[100:101], v89 offset0:204 offset1:221
	v_exp_f32_e32 v110, v110
	v_mul_f32_e32 v111, 0x3fb8aa3b, v75
	s_waitcnt lgkmcnt(2)
	v_fma_f32 v75, v109, v106, 0
	v_sub_f32_e32 v102, v102, v74
	s_delay_alu instid0(VALU_DEP_3) | instskip(NEXT) | instid1(VALU_DEP_2)
	v_exp_f32_e32 v111, v111
	v_dual_sub_f32 v106, v103, v74 :: v_dual_fmac_f32 v75, v108, v107
	s_waitcnt lgkmcnt(1)
	s_waitcnt_depctr 0xfff
	v_fmac_f32_e32 v75, v110, v98
	v_mul_f32_e32 v112, 0x3fb8aa3b, v102
	ds_load_2addr_b32 v[102:103], v89 offset0:238 offset1:255
	v_sub_f32_e32 v89, v104, v74
	v_dual_sub_f32 v98, v105, v74 :: v_dual_fmac_f32 v75, v111, v99
	v_mul_f32_e32 v104, 0x3fb8aa3b, v106
	v_exp_f32_e32 v106, v112
	s_delay_alu instid0(VALU_DEP_2)
	v_dual_mul_f32 v89, 0x3fb8aa3b, v89 :: v_dual_mul_f32 v98, 0x3fb8aa3b, v98
	s_waitcnt lgkmcnt(0)
	s_barrier
	buffer_gl0_inv
	v_exp_f32_e32 v89, v89
	v_exp_f32_e32 v98, v98
	v_fmac_f32_e32 v75, v106, v100
	v_exp_f32_e32 v104, v104
	s_waitcnt_depctr 0xfff
	v_fmac_f32_e32 v75, v104, v101
	s_delay_alu instid0(VALU_DEP_1) | instskip(NEXT) | instid1(VALU_DEP_1)
	v_fmac_f32_e32 v75, v89, v102
	v_fmac_f32_e32 v75, v98, v103
	s_delay_alu instid0(VALU_DEP_1) | instskip(NEXT) | instid1(VALU_DEP_1)
	v_add_f32_e32 v99, 0x358637bd, v75
	v_div_scale_f32 v100, null, v99, v99, 1.0
	v_div_scale_f32 v103, vcc_lo, 1.0, v99, 1.0
	s_delay_alu instid0(VALU_DEP_2) | instskip(SKIP_2) | instid1(VALU_DEP_1)
	v_rcp_f32_e32 v101, v100
	s_waitcnt_depctr 0xfff
	v_fma_f32 v102, -v100, v101, 1.0
	v_fmac_f32_e32 v101, v102, v101
	v_cndmask_b32_e64 v102, v109, v108, s3
	v_cmp_eq_u32_e64 s3, 2, v73
	s_delay_alu instid0(VALU_DEP_3) | instskip(NEXT) | instid1(VALU_DEP_2)
	v_mul_f32_e32 v105, v103, v101
	v_cndmask_b32_e64 v102, v102, v110, s3
	v_cmp_eq_u32_e64 s3, 3, v73
	s_delay_alu instid0(VALU_DEP_3) | instskip(NEXT) | instid1(VALU_DEP_2)
	v_fma_f32 v107, -v100, v105, v103
	v_cndmask_b32_e64 v102, v102, v111, s3
	v_cmp_eq_u32_e64 s3, 4, v73
	s_delay_alu instid0(VALU_DEP_3) | instskip(NEXT) | instid1(VALU_DEP_2)
	v_fmac_f32_e32 v105, v107, v101
	v_cndmask_b32_e64 v102, v102, v106, s3
	s_delay_alu instid0(VALU_DEP_2) | instskip(SKIP_1) | instid1(VALU_DEP_2)
	v_fma_f32 v100, -v100, v105, v103
	v_cmp_eq_u32_e64 s3, 5, v73
	v_div_fmas_f32 v100, v100, v101, v105
	s_delay_alu instid0(VALU_DEP_2) | instskip(SKIP_2) | instid1(VALU_DEP_3)
	v_cndmask_b32_e64 v102, v102, v104, s3
	v_cmp_eq_u32_e32 vcc_lo, 6, v73
	s_mov_b32 s3, exec_lo
	v_div_fixup_f32 v99, v100, v99, 1.0
	s_delay_alu instid0(VALU_DEP_3) | instskip(SKIP_1) | instid1(VALU_DEP_2)
	v_cndmask_b32_e32 v89, v102, v89, vcc_lo
	v_cmp_eq_u32_e32 vcc_lo, 7, v73
	v_cndmask_b32_e32 v89, v89, v98, vcc_lo
	s_delay_alu instid0(VALU_DEP_1) | instskip(NEXT) | instid1(VALU_DEP_1)
	v_mul_f32_e32 v89, v89, v99
	v_mul_f32_e32 v99, v89, v91
	;; [unrolled: 1-line block ×6, first 2 shown]
	v_and_b32_e32 v100, 0x7f800000, v99
	v_mul_f32_e32 v98, v89, v94
	v_mul_f32_e32 v94, v89, v90
	;; [unrolled: 1-line block ×3, first 2 shown]
                                        ; implicit-def: $vgpr90
	s_delay_alu instid0(VALU_DEP_4)
	v_cmpx_ne_u32_e32 0x7f800000, v100
	s_xor_b32 s3, exec_lo, s3
; %bb.15:
	v_bfe_u32 v90, v99, 16, 1
	s_delay_alu instid0(VALU_DEP_1)
	v_add3_u32 v90, v99, v90, 0x7fff
                                        ; implicit-def: $vgpr99
; %bb.16:
	s_and_not1_saveexec_b32 s3, s3
; %bb.17:
	v_and_b32_e32 v90, 0xffff, v99
	v_or_b32_e32 v92, 0x10000, v99
	s_delay_alu instid0(VALU_DEP_2) | instskip(NEXT) | instid1(VALU_DEP_2)
	v_cmp_eq_u32_e32 vcc_lo, 0, v90
	v_cndmask_b32_e32 v90, v92, v99, vcc_lo
; %bb.18:
	s_or_b32 exec_lo, exec_lo, s3
	v_and_b32_e32 v92, 0x7f800000, v94
	s_delay_alu instid0(VALU_DEP_1) | instskip(SKIP_1) | instid1(SALU_CYCLE_1)
	v_cmp_ne_u32_e32 vcc_lo, 0x7f800000, v92
                                        ; implicit-def: $vgpr92
	s_and_saveexec_b32 s3, vcc_lo
	s_xor_b32 s3, exec_lo, s3
; %bb.19:
	v_bfe_u32 v92, v94, 16, 1
	s_delay_alu instid0(VALU_DEP_1)
	v_add3_u32 v92, v94, v92, 0x7fff
                                        ; implicit-def: $vgpr94
; %bb.20:
	s_and_not1_saveexec_b32 s3, s3
; %bb.21:
	v_and_b32_e32 v92, 0xffff, v94
	v_or_b32_e32 v99, 0x10000, v94
	s_delay_alu instid0(VALU_DEP_2) | instskip(NEXT) | instid1(VALU_DEP_2)
	v_cmp_eq_u32_e32 vcc_lo, 0, v92
	v_cndmask_b32_e32 v92, v99, v94, vcc_lo
; %bb.22:
	s_or_b32 exec_lo, exec_lo, s3
	v_and_b32_e32 v94, 0x7f800000, v95
	s_delay_alu instid0(VALU_DEP_1) | instskip(SKIP_1) | instid1(SALU_CYCLE_1)
	v_cmp_ne_u32_e32 vcc_lo, 0x7f800000, v94
                                        ; implicit-def: $vgpr94
	s_and_saveexec_b32 s3, vcc_lo
	s_xor_b32 s3, exec_lo, s3
; %bb.23:
	v_bfe_u32 v94, v95, 16, 1
	s_delay_alu instid0(VALU_DEP_1)
	v_add3_u32 v94, v95, v94, 0x7fff
                                        ; implicit-def: $vgpr95
; %bb.24:
	s_and_not1_saveexec_b32 s3, s3
; %bb.25:
	v_and_b32_e32 v94, 0xffff, v95
	v_or_b32_e32 v99, 0x10000, v95
	s_delay_alu instid0(VALU_DEP_2) | instskip(NEXT) | instid1(VALU_DEP_2)
	v_cmp_eq_u32_e32 vcc_lo, 0, v94
	v_cndmask_b32_e32 v94, v99, v95, vcc_lo
; %bb.26:
	s_or_b32 exec_lo, exec_lo, s3
	v_and_b32_e32 v95, 0x7f800000, v98
	s_delay_alu instid0(VALU_DEP_1) | instskip(SKIP_1) | instid1(SALU_CYCLE_1)
	v_cmp_ne_u32_e32 vcc_lo, 0x7f800000, v95
                                        ; implicit-def: $vgpr95
	s_and_saveexec_b32 s3, vcc_lo
	s_xor_b32 s3, exec_lo, s3
; %bb.27:
	v_bfe_u32 v95, v98, 16, 1
	s_delay_alu instid0(VALU_DEP_1)
	v_add3_u32 v95, v98, v95, 0x7fff
                                        ; implicit-def: $vgpr98
; %bb.28:
	s_and_not1_saveexec_b32 s3, s3
; %bb.29:
	v_and_b32_e32 v95, 0xffff, v98
	v_or_b32_e32 v99, 0x10000, v98
	s_delay_alu instid0(VALU_DEP_2) | instskip(NEXT) | instid1(VALU_DEP_2)
	v_cmp_eq_u32_e32 vcc_lo, 0, v95
	v_cndmask_b32_e32 v95, v99, v98, vcc_lo
; %bb.30:
	s_or_b32 exec_lo, exec_lo, s3
	v_and_b32_e32 v98, 0x7f800000, v97
	s_delay_alu instid0(VALU_DEP_1) | instskip(SKIP_1) | instid1(SALU_CYCLE_1)
	v_cmp_ne_u32_e32 vcc_lo, 0x7f800000, v98
                                        ; implicit-def: $vgpr98
	s_and_saveexec_b32 s3, vcc_lo
	s_xor_b32 s3, exec_lo, s3
; %bb.31:
	v_bfe_u32 v98, v97, 16, 1
	s_delay_alu instid0(VALU_DEP_1)
	v_add3_u32 v98, v97, v98, 0x7fff
                                        ; implicit-def: $vgpr97
; %bb.32:
	s_and_not1_saveexec_b32 s3, s3
; %bb.33:
	v_and_b32_e32 v98, 0xffff, v97
	v_or_b32_e32 v99, 0x10000, v97
	s_delay_alu instid0(VALU_DEP_2) | instskip(NEXT) | instid1(VALU_DEP_2)
	v_cmp_eq_u32_e32 vcc_lo, 0, v98
	v_cndmask_b32_e32 v98, v99, v97, vcc_lo
; %bb.34:
	s_or_b32 exec_lo, exec_lo, s3
	v_and_b32_e32 v97, 0x7f800000, v96
	s_delay_alu instid0(VALU_DEP_1) | instskip(SKIP_1) | instid1(SALU_CYCLE_1)
	v_cmp_ne_u32_e32 vcc_lo, 0x7f800000, v97
                                        ; implicit-def: $vgpr97
	s_and_saveexec_b32 s3, vcc_lo
	s_xor_b32 s3, exec_lo, s3
; %bb.35:
	v_bfe_u32 v97, v96, 16, 1
	s_delay_alu instid0(VALU_DEP_1)
	v_add3_u32 v97, v96, v97, 0x7fff
                                        ; implicit-def: $vgpr96
; %bb.36:
	s_and_not1_saveexec_b32 s3, s3
; %bb.37:
	v_and_b32_e32 v97, 0xffff, v96
	v_or_b32_e32 v99, 0x10000, v96
	s_delay_alu instid0(VALU_DEP_2) | instskip(NEXT) | instid1(VALU_DEP_2)
	v_cmp_eq_u32_e32 vcc_lo, 0, v97
	v_cndmask_b32_e32 v97, v99, v96, vcc_lo
; %bb.38:
	s_or_b32 exec_lo, exec_lo, s3
	v_and_b32_e32 v96, 0x7f800000, v93
	s_delay_alu instid0(VALU_DEP_1) | instskip(SKIP_1) | instid1(SALU_CYCLE_1)
	v_cmp_ne_u32_e32 vcc_lo, 0x7f800000, v96
                                        ; implicit-def: $vgpr96
	s_and_saveexec_b32 s3, vcc_lo
	s_xor_b32 s3, exec_lo, s3
; %bb.39:
	v_bfe_u32 v96, v93, 16, 1
	s_delay_alu instid0(VALU_DEP_1)
	v_add3_u32 v96, v93, v96, 0x7fff
                                        ; implicit-def: $vgpr93
; %bb.40:
	s_and_not1_saveexec_b32 s3, s3
; %bb.41:
	v_and_b32_e32 v96, 0xffff, v93
	v_or_b32_e32 v99, 0x10000, v93
	s_delay_alu instid0(VALU_DEP_2) | instskip(NEXT) | instid1(VALU_DEP_2)
	v_cmp_eq_u32_e32 vcc_lo, 0, v96
	v_cndmask_b32_e32 v96, v99, v93, vcc_lo
; %bb.42:
	s_or_b32 exec_lo, exec_lo, s3
	v_and_b32_e32 v93, 0x7f800000, v91
	s_delay_alu instid0(VALU_DEP_1) | instskip(SKIP_1) | instid1(SALU_CYCLE_1)
	v_cmp_ne_u32_e32 vcc_lo, 0x7f800000, v93
                                        ; implicit-def: $vgpr93
	s_and_saveexec_b32 s3, vcc_lo
	s_xor_b32 s3, exec_lo, s3
; %bb.43:
	v_bfe_u32 v93, v91, 16, 1
	s_delay_alu instid0(VALU_DEP_1)
	v_add3_u32 v93, v91, v93, 0x7fff
                                        ; implicit-def: $vgpr91
; %bb.44:
	s_and_not1_saveexec_b32 s3, s3
; %bb.45:
	v_and_b32_e32 v93, 0xffff, v91
	v_or_b32_e32 v99, 0x10000, v91
	s_delay_alu instid0(VALU_DEP_2) | instskip(NEXT) | instid1(VALU_DEP_2)
	v_cmp_eq_u32_e32 vcc_lo, 0, v93
	v_cndmask_b32_e32 v93, v99, v91, vcc_lo
; %bb.46:
	s_or_b32 exec_lo, exec_lo, s3
	s_load_b64 s[34:35], s[0:1], 0x94
	v_lshlrev_b32_e32 v91, 4, v83
	s_delay_alu instid0(VALU_DEP_2)
	v_perm_b32 v99, v93, v96, 0x7060302
	v_dual_mul_f32 v88, v89, v88 :: v_dual_lshlrev_b32 v93, 11, v73
	v_perm_b32 v96, v92, v90, 0x7060302
	v_mul_f32_e32 v92, v89, v76
	v_perm_b32 v98, v97, v98, 0x7060302
	v_perm_b32 v97, v95, v94, 0x7060302
	v_or3_b32 v76, v91, v93, v85
	v_mul_f32_e32 v87, v89, v87
	v_dual_mul_f32 v86, v89, v86 :: v_dual_and_b32 v93, 0x7f800000, v92
	v_mul_f32_e32 v80, v89, v80
	v_mul_f32_e32 v90, v89, v79
	;; [unrolled: 1-line block ×4, first 2 shown]
	s_mov_b32 s3, exec_lo
	ds_store_b128 v76, v[96:99]
                                        ; implicit-def: $vgpr77
	v_cmpx_ne_u32_e32 0x7f800000, v93
	s_xor_b32 s3, exec_lo, s3
; %bb.47:
	v_bfe_u32 v77, v92, 16, 1
	s_delay_alu instid0(VALU_DEP_1)
	v_add3_u32 v77, v92, v77, 0x7fff
                                        ; implicit-def: $vgpr92
; %bb.48:
	s_and_not1_saveexec_b32 s3, s3
; %bb.49:
	v_and_b32_e32 v77, 0xffff, v92
	v_or_b32_e32 v78, 0x10000, v92
	s_delay_alu instid0(VALU_DEP_2) | instskip(NEXT) | instid1(VALU_DEP_2)
	v_cmp_eq_u32_e32 vcc_lo, 0, v77
	v_cndmask_b32_e32 v77, v78, v92, vcc_lo
; %bb.50:
	s_or_b32 exec_lo, exec_lo, s3
	v_and_b32_e32 v78, 0x7f800000, v79
	s_delay_alu instid0(VALU_DEP_1) | instskip(SKIP_1) | instid1(SALU_CYCLE_1)
	v_cmp_ne_u32_e32 vcc_lo, 0x7f800000, v78
                                        ; implicit-def: $vgpr78
	s_and_saveexec_b32 s3, vcc_lo
	s_xor_b32 s3, exec_lo, s3
; %bb.51:
	v_bfe_u32 v78, v79, 16, 1
	s_delay_alu instid0(VALU_DEP_1)
	v_add3_u32 v78, v79, v78, 0x7fff
                                        ; implicit-def: $vgpr79
; %bb.52:
	s_and_not1_saveexec_b32 s3, s3
; %bb.53:
	v_and_b32_e32 v78, 0xffff, v79
	v_or_b32_e32 v89, 0x10000, v79
	s_delay_alu instid0(VALU_DEP_2) | instskip(NEXT) | instid1(VALU_DEP_2)
	v_cmp_eq_u32_e32 vcc_lo, 0, v78
	v_cndmask_b32_e32 v78, v89, v79, vcc_lo
; %bb.54:
	s_or_b32 exec_lo, exec_lo, s3
	v_and_b32_e32 v79, 0x7f800000, v91
	s_delay_alu instid0(VALU_DEP_1) | instskip(SKIP_1) | instid1(SALU_CYCLE_1)
	v_cmp_ne_u32_e32 vcc_lo, 0x7f800000, v79
                                        ; implicit-def: $vgpr79
	s_and_saveexec_b32 s3, vcc_lo
	s_xor_b32 s3, exec_lo, s3
; %bb.55:
	v_bfe_u32 v79, v91, 16, 1
	s_delay_alu instid0(VALU_DEP_1)
	v_add3_u32 v79, v91, v79, 0x7fff
                                        ; implicit-def: $vgpr91
; %bb.56:
	s_and_not1_saveexec_b32 s3, s3
; %bb.57:
	v_and_b32_e32 v79, 0xffff, v91
	v_or_b32_e32 v89, 0x10000, v91
	s_delay_alu instid0(VALU_DEP_2) | instskip(NEXT) | instid1(VALU_DEP_2)
	v_cmp_eq_u32_e32 vcc_lo, 0, v79
	v_cndmask_b32_e32 v79, v89, v91, vcc_lo
; %bb.58:
	s_or_b32 exec_lo, exec_lo, s3
	v_and_b32_e32 v89, 0x7f800000, v90
	s_delay_alu instid0(VALU_DEP_1) | instskip(SKIP_1) | instid1(SALU_CYCLE_1)
	v_cmp_ne_u32_e32 vcc_lo, 0x7f800000, v89
                                        ; implicit-def: $vgpr89
	s_and_saveexec_b32 s3, vcc_lo
	s_xor_b32 s3, exec_lo, s3
; %bb.59:
	v_bfe_u32 v89, v90, 16, 1
	s_delay_alu instid0(VALU_DEP_1)
	v_add3_u32 v89, v90, v89, 0x7fff
                                        ; implicit-def: $vgpr90
; %bb.60:
	s_and_not1_saveexec_b32 s3, s3
; %bb.61:
	v_and_b32_e32 v89, 0xffff, v90
	v_or_b32_e32 v91, 0x10000, v90
	s_delay_alu instid0(VALU_DEP_2) | instskip(NEXT) | instid1(VALU_DEP_2)
	v_cmp_eq_u32_e32 vcc_lo, 0, v89
	v_cndmask_b32_e32 v89, v91, v90, vcc_lo
; %bb.62:
	s_or_b32 exec_lo, exec_lo, s3
	v_and_b32_e32 v90, 0x7f800000, v80
	s_delay_alu instid0(VALU_DEP_1) | instskip(SKIP_1) | instid1(SALU_CYCLE_1)
	v_cmp_ne_u32_e32 vcc_lo, 0x7f800000, v90
                                        ; implicit-def: $vgpr90
	s_and_saveexec_b32 s3, vcc_lo
	s_xor_b32 s3, exec_lo, s3
; %bb.63:
	v_bfe_u32 v90, v80, 16, 1
	s_delay_alu instid0(VALU_DEP_1)
	v_add3_u32 v90, v80, v90, 0x7fff
                                        ; implicit-def: $vgpr80
; %bb.64:
	s_and_not1_saveexec_b32 s3, s3
; %bb.65:
	v_and_b32_e32 v90, 0xffff, v80
	v_or_b32_e32 v91, 0x10000, v80
	s_delay_alu instid0(VALU_DEP_2) | instskip(NEXT) | instid1(VALU_DEP_2)
	v_cmp_eq_u32_e32 vcc_lo, 0, v90
	v_cndmask_b32_e32 v90, v91, v80, vcc_lo
; %bb.66:
	s_or_b32 exec_lo, exec_lo, s3
	v_and_b32_e32 v80, 0x7f800000, v86
	s_delay_alu instid0(VALU_DEP_1) | instskip(SKIP_1) | instid1(SALU_CYCLE_1)
	v_cmp_ne_u32_e32 vcc_lo, 0x7f800000, v80
                                        ; implicit-def: $vgpr80
	s_and_saveexec_b32 s3, vcc_lo
	s_xor_b32 s3, exec_lo, s3
; %bb.67:
	v_bfe_u32 v80, v86, 16, 1
	s_delay_alu instid0(VALU_DEP_1)
	v_add3_u32 v80, v86, v80, 0x7fff
                                        ; implicit-def: $vgpr86
; %bb.68:
	s_and_not1_saveexec_b32 s3, s3
; %bb.69:
	v_and_b32_e32 v80, 0xffff, v86
	v_or_b32_e32 v91, 0x10000, v86
	s_delay_alu instid0(VALU_DEP_2) | instskip(NEXT) | instid1(VALU_DEP_2)
	v_cmp_eq_u32_e32 vcc_lo, 0, v80
	v_cndmask_b32_e32 v80, v91, v86, vcc_lo
; %bb.70:
	s_or_b32 exec_lo, exec_lo, s3
	v_and_b32_e32 v86, 0x7f800000, v87
	s_delay_alu instid0(VALU_DEP_1) | instskip(SKIP_1) | instid1(SALU_CYCLE_1)
	v_cmp_ne_u32_e32 vcc_lo, 0x7f800000, v86
                                        ; implicit-def: $vgpr86
	s_and_saveexec_b32 s3, vcc_lo
	s_xor_b32 s3, exec_lo, s3
; %bb.71:
	v_bfe_u32 v86, v87, 16, 1
	s_delay_alu instid0(VALU_DEP_1)
	v_add3_u32 v86, v87, v86, 0x7fff
                                        ; implicit-def: $vgpr87
; %bb.72:
	s_and_not1_saveexec_b32 s3, s3
; %bb.73:
	v_and_b32_e32 v86, 0xffff, v87
	v_or_b32_e32 v91, 0x10000, v87
	s_delay_alu instid0(VALU_DEP_2) | instskip(NEXT) | instid1(VALU_DEP_2)
	v_cmp_eq_u32_e32 vcc_lo, 0, v86
	v_cndmask_b32_e32 v86, v91, v87, vcc_lo
; %bb.74:
	s_or_b32 exec_lo, exec_lo, s3
	v_and_b32_e32 v87, 0x7f800000, v88
	s_delay_alu instid0(VALU_DEP_1) | instskip(SKIP_1) | instid1(SALU_CYCLE_1)
	v_cmp_ne_u32_e32 vcc_lo, 0x7f800000, v87
                                        ; implicit-def: $vgpr87
	s_and_saveexec_b32 s3, vcc_lo
	s_xor_b32 s3, exec_lo, s3
; %bb.75:
	v_bfe_u32 v87, v88, 16, 1
	s_delay_alu instid0(VALU_DEP_1)
	v_add3_u32 v87, v88, v87, 0x7fff
                                        ; implicit-def: $vgpr88
; %bb.76:
	s_and_not1_saveexec_b32 s3, s3
; %bb.77:
	v_and_b32_e32 v87, 0xffff, v88
	v_or_b32_e32 v91, 0x10000, v88
	s_delay_alu instid0(VALU_DEP_2) | instskip(NEXT) | instid1(VALU_DEP_2)
	v_cmp_eq_u32_e32 vcc_lo, 0, v87
	v_cndmask_b32_e32 v87, v91, v88, vcc_lo
; %bb.78:
	s_or_b32 exec_lo, exec_lo, s3
	s_delay_alu instid0(VALU_DEP_1)
	v_perm_b32 v94, v87, v86, 0x7060302
	v_perm_b32 v93, v80, v90, 0x7060302
	;; [unrolled: 1-line block ×4, first 2 shown]
	v_lshl_or_b32 v90, v73, 11, v85
	ds_store_b128 v76, v[91:94] offset:1024
	s_waitcnt lgkmcnt(0)
	s_barrier
	buffer_gl0_inv
	ds_load_b128 v[77:80], v90
	ds_load_b128 v[91:94], v90 offset:16
	s_waitcnt lgkmcnt(1)
	v_lshrrev_b32_e32 v73, 16, v77
	s_waitcnt lgkmcnt(0)
	v_lshrrev_b32_e32 v108, 16, v94
	v_lshlrev_b32_e32 v87, 2, v83
	v_lshrrev_b32_e32 v99, 16, v91
	v_lshrrev_b32_e32 v103, 16, v78
	;; [unrolled: 1-line block ×4, first 2 shown]
	v_or_b32_e32 v88, 1, v87
	v_cmp_eq_u32_e32 vcc_lo, 1, v87
	v_cmp_eq_u32_e64 s4, 2, v87
	v_cmp_eq_u32_e64 s7, 3, v87
	;; [unrolled: 1-line block ×4, first 2 shown]
	v_cndmask_b32_e32 v89, v77, v73, vcc_lo
	v_cndmask_b32_e32 v95, v91, v99, vcc_lo
	v_cmp_eq_u32_e64 s6, 2, v88
	v_cmp_eq_u32_e64 s8, 3, v88
	v_cndmask_b32_e64 v96, v77, v73, s3
	v_cndmask_b32_e64 v89, v89, v78, s4
	;; [unrolled: 1-line block ×3, first 2 shown]
	v_or_b32_e32 v86, 2, v87
	v_lshrrev_b32_e32 v107, 16, v93
	v_cndmask_b32_e64 v96, v96, v78, s6
	v_cndmask_b32_e64 v89, v89, v103, s7
	;; [unrolled: 1-line block ×4, first 2 shown]
	v_cmp_eq_u32_e64 s10, 5, v87
	v_cndmask_b32_e64 v96, v96, v103, s8
	v_cndmask_b32_e64 v89, v89, v79, s9
	;; [unrolled: 1-line block ×3, first 2 shown]
	v_cmp_eq_u32_e64 s11, 4, v88
	v_cmp_eq_u32_e64 s5, 1, v86
	v_cndmask_b32_e64 v97, v97, v92, s6
	v_cndmask_b32_e64 v89, v89, v104, s10
	v_cmp_eq_u32_e64 s12, 6, v87
	v_cndmask_b32_e64 v96, v96, v79, s11
	v_cndmask_b32_e64 v95, v95, v107, s10
	v_cmp_eq_u32_e64 s13, 5, v88
	v_lshrrev_b32_e32 v105, 16, v80
	v_cndmask_b32_e64 v98, v77, v73, s5
	v_cndmask_b32_e64 v97, v97, v106, s8
	;; [unrolled: 1-line block ×4, first 2 shown]
	v_cmp_eq_u32_e64 s15, 7, v87
	v_cndmask_b32_e64 v95, v95, v94, s12
	v_cmp_eq_u32_e64 s16, 6, v88
	v_cmp_eq_u32_e64 s17, 2, v86
	v_cndmask_b32_e64 v97, v97, v93, s11
	v_cndmask_b32_e64 v109, v89, v105, s15
	;; [unrolled: 1-line block ×6, first 2 shown]
	v_cmp_eq_u32_e64 s18, 7, v88
	v_cmp_eq_u32_e64 s19, 3, v86
	;; [unrolled: 1-line block ×4, first 2 shown]
	v_cndmask_b32_e64 v95, v95, v92, s17
	v_cndmask_b32_e64 v111, v96, v105, s18
	;; [unrolled: 1-line block ×4, first 2 shown]
	v_or_b32_e32 v89, 3, v87
	v_cndmask_b32_e64 v101, v95, v106, s19
	v_cmp_eq_u32_e64 s24, 6, v86
	v_cndmask_b32_e64 v112, v96, v94, s16
	v_cndmask_b32_e64 v100, v97, v79, s20
	v_cmp_eq_u32_e64 s21, 1, v89
	ds_load_b128 v[95:98], v90 offset:1024
	v_cmp_eq_u32_e64 s23, 2, v89
	v_cmp_eq_u32_e64 s25, 3, v89
	v_cndmask_b32_e64 v113, v100, v104, s22
	v_cndmask_b32_e64 v73, v77, v73, s21
	;; [unrolled: 1-line block ×4, first 2 shown]
	ds_load_b128 v[99:102], v90 offset:1040
	v_cmp_eq_u32_e64 s26, 4, v89
	v_cndmask_b32_e64 v73, v73, v78, s23
	v_cmp_eq_u32_e64 s27, 7, v86
	v_cndmask_b32_e64 v78, v91, v92, s23
	v_cndmask_b32_e64 v92, v113, v80, s24
	v_cmp_eq_u32_e64 s28, 5, v89
	v_cndmask_b32_e64 v73, v73, v103, s25
	v_cndmask_b32_e64 v77, v77, v107, s22
	;; [unrolled: 1-line block ×3, first 2 shown]
	v_cmp_eq_u32_e64 s29, 6, v89
	v_cndmask_b32_e64 v91, v112, v108, s18
	v_cndmask_b32_e64 v73, v73, v79, s26
	s_waitcnt lgkmcnt(1)
	v_lshrrev_b32_e32 v103, 16, v95
	v_cndmask_b32_e64 v78, v78, v93, s26
	v_cndmask_b32_e64 v79, v92, v105, s27
	;; [unrolled: 1-line block ×4, first 2 shown]
	v_cndmask_b32_e32 v92, v95, v103, vcc_lo
	v_cndmask_b32_e64 v78, v78, v107, s28
	s_waitcnt lgkmcnt(0)
	v_lshrrev_b32_e32 v93, 16, v99
	v_lshrrev_b32_e32 v104, 16, v96
	v_cndmask_b32_e64 v106, v95, v103, s3
	v_cndmask_b32_e64 v92, v92, v96, s4
	;; [unrolled: 1-line block ×3, first 2 shown]
	v_cndmask_b32_e32 v107, v99, v93, vcc_lo
	v_cndmask_b32_e64 v78, v78, v94, s29
	v_cmp_eq_u32_e32 vcc_lo, 7, v89
	v_cndmask_b32_e64 v80, v92, v104, s7
	v_cndmask_b32_e64 v92, v106, v96, s6
	v_cndmask_b32_e64 v94, v107, v100, s4
	v_lshrrev_b32_e32 v106, 16, v100
	v_cndmask_b32_e64 v77, v77, v108, s27
	v_cndmask_b32_e32 v78, v78, v108, vcc_lo
	v_lshrrev_b32_e32 v108, 16, v101
	v_cndmask_b32_e64 v80, v80, v97, s9
	v_cndmask_b32_e64 v94, v94, v106, s7
	v_lshrrev_b32_e32 v107, 16, v97
	v_cndmask_b32_e32 v73, v73, v105, vcc_lo
	v_perm_b32 v79, v77, v79, 0x5040100
	v_cndmask_b32_e64 v92, v92, v104, s8
	v_cndmask_b32_e64 v94, v94, v101, s9
	;; [unrolled: 1-line block ×3, first 2 shown]
	v_perm_b32 v80, v78, v73, 0x5040100
	v_perm_b32 v78, v91, v111, 0x5040100
	v_cndmask_b32_e64 v111, v99, v93, s5
	v_cndmask_b32_e64 v94, v94, v108, s10
	;; [unrolled: 1-line block ×3, first 2 shown]
	s_delay_alu instid0(VALU_DEP_2)
	v_cndmask_b32_e64 v77, v94, v102, s12
	v_cndmask_b32_e64 v94, v95, v103, s5
	;; [unrolled: 1-line block ×22, first 2 shown]
	v_lshrrev_b32_e32 v105, 16, v98
	v_cndmask_b32_e64 v94, v94, v107, s22
	v_cndmask_b32_e64 v95, v95, v107, s28
	;; [unrolled: 1-line block ×7, first 2 shown]
	v_lshrrev_b32_e32 v92, 16, v102
	v_cndmask_b32_e64 v94, v94, v98, s24
	v_cndmask_b32_e64 v95, v95, v98, s29
	;; [unrolled: 1-line block ×7, first 2 shown]
	v_dual_cndmask_b32 v94, v95, v105 :: v_dual_cndmask_b32 v95, v96, v92
	v_cndmask_b32_e64 v96, v97, v92, s27
	v_cndmask_b32_e64 v97, v93, v92, s18
	;; [unrolled: 1-line block ×3, first 2 shown]
	v_perm_b32 v77, v110, v109, 0x5040100
	v_perm_b32 v94, v95, v94, 0x5040100
	;; [unrolled: 1-line block ×5, first 2 shown]
	s_lshl_b32 s8, s35, 4
	s_mov_b32 s3, exec_lo
	ds_store_b128 v76, v[77:80]
	ds_store_b128 v76, v[91:94] offset:1024
	v_cmpx_gt_u32_e32 16, v0
	s_cbranch_execz .LBB513_80
; %bb.79:
	v_or_b32_e32 v73, s31, v0
	s_load_b128 s[4:7], s[0:1], 0x58
	s_delay_alu instid0(VALU_DEP_1) | instskip(NEXT) | instid1(VALU_DEP_1)
	v_mad_u64_u32 v[76:77], null, s8, s30, v[73:74]
	v_mad_u64_u32 v[77:78], null, v76, s34, s[14:15]
	s_delay_alu instid0(VALU_DEP_1) | instskip(NEXT) | instid1(VALU_DEP_1)
	v_ashrrev_i32_e32 v78, 31, v77
	v_lshlrev_b64 v[76:77], 2, v[77:78]
	s_waitcnt lgkmcnt(0)
	s_delay_alu instid0(VALU_DEP_1) | instskip(NEXT) | instid1(VALU_DEP_2)
	v_add_co_u32 v78, vcc_lo, s6, v76
	v_add_co_ci_u32_e32 v79, vcc_lo, s7, v77, vcc_lo
	v_add_co_u32 v76, vcc_lo, s4, v76
	v_add_co_ci_u32_e32 v77, vcc_lo, s5, v77, vcc_lo
	global_store_b32 v[78:79], v74, off
	global_store_b32 v[76:77], v75, off
.LBB513_80:
	s_or_b32 exec_lo, exec_lo, s3
	s_waitcnt lgkmcnt(0)
	s_waitcnt_vscnt null, 0x0
	s_barrier
	buffer_gl0_inv
	ds_load_b128 v[91:94], v85
	ds_load_b128 v[95:98], v85 offset:16
	ds_load_b128 v[103:106], v85 offset:1040
	;; [unrolled: 1-line block ×3, first 2 shown]
	v_mov_b32_e32 v73, 0
	ds_load_b128 v[111:114], v85 offset:2064
	ds_load_b128 v[107:110], v85 offset:2048
	;; [unrolled: 1-line block ×6, first 2 shown]
	v_mov_b32_e32 v74, v73
	v_mov_b32_e32 v75, v73
	;; [unrolled: 1-line block ×7, first 2 shown]
	s_waitcnt lgkmcnt(8)
	s_delay_alu instid0(VALU_DEP_1)
	v_wmma_f32_16x16x16_bf16 v[73:80], v[65:72], v[91:98], v[73:80]
	ds_load_b128 v[69:72], v85 offset:5136
	ds_load_b128 v[65:68], v85 offset:5120
	;; [unrolled: 1-line block ×4, first 2 shown]
	s_waitcnt lgkmcnt(10)
	v_wmma_f32_16x16x16_bf16 v[73:80], v[57:64], v[99:106], v[73:80]
	s_waitcnt lgkmcnt(8)
	s_delay_alu instid0(VALU_DEP_1)
	v_wmma_f32_16x16x16_bf16 v[73:80], v[57:64], v[107:114], v[73:80]
	ds_load_b128 v[61:64], v85 offset:7184
	ds_load_b128 v[57:60], v85 offset:7168
	;; [unrolled: 1-line block ×4, first 2 shown]
	s_waitcnt lgkmcnt(10)
	v_wmma_f32_16x16x16_bf16 v[73:80], v[49:56], v[115:122], v[73:80]
	s_waitcnt lgkmcnt(8)
	s_delay_alu instid0(VALU_DEP_1)
	v_wmma_f32_16x16x16_bf16 v[73:80], v[49:56], v[123:130], v[73:80]
	ds_load_b128 v[53:56], v85 offset:9232
	ds_load_b128 v[49:52], v85 offset:9216
	s_waitcnt lgkmcnt(8)
	v_wmma_f32_16x16x16_bf16 v[73:80], v[41:48], v[65:72], v[73:80]
	ds_load_b128 v[69:72], v85 offset:10256
	ds_load_b128 v[65:68], v85 offset:10240
	s_waitcnt lgkmcnt(8)
	v_wmma_f32_16x16x16_bf16 v[73:80], v[41:48], v[91:98], v[73:80]
	ds_load_b128 v[45:48], v85 offset:11280
	ds_load_b128 v[41:44], v85 offset:11264
	s_waitcnt lgkmcnt(8)
	v_wmma_f32_16x16x16_bf16 v[73:80], v[9:16], v[57:64], v[73:80]
	s_waitcnt lgkmcnt(6)
	s_delay_alu instid0(VALU_DEP_1)
	v_wmma_f32_16x16x16_bf16 v[73:80], v[9:16], v[99:106], v[73:80]
	ds_load_b128 v[13:16], v85 offset:12304
	ds_load_b128 v[9:12], v85 offset:12288
	s_waitcnt lgkmcnt(6)
	v_wmma_f32_16x16x16_bf16 v[73:80], v[1:8], v[49:56], v[73:80]
	ds_load_b128 v[53:56], v85 offset:13328
	ds_load_b128 v[49:52], v85 offset:13312
	s_waitcnt lgkmcnt(6)
	;; [unrolled: 4-line block ×4, first 2 shown]
	v_wmma_f32_16x16x16_bf16 v[73:80], v[33:40], v[9:16], v[73:80]
	s_waitcnt lgkmcnt(4)
	s_delay_alu instid0(VALU_DEP_1) | instskip(SKIP_1) | instid1(VALU_DEP_1)
	v_wmma_f32_16x16x16_bf16 v[73:80], v[25:32], v[49:56], v[73:80]
	s_waitcnt lgkmcnt(2)
	v_wmma_f32_16x16x16_bf16 v[73:80], v[25:32], v[1:8], v[73:80]
	s_waitcnt lgkmcnt(0)
	s_delay_alu instid0(VALU_DEP_1) | instskip(NEXT) | instid1(VALU_DEP_1)
	v_wmma_f32_16x16x16_bf16 v[73:80], v[17:24], v[41:48], v[73:80]
	v_and_b32_e32 v1, 0x7f800000, v73
	s_delay_alu instid0(VALU_DEP_1) | instskip(SKIP_1) | instid1(SALU_CYCLE_1)
	v_cmp_ne_u32_e32 vcc_lo, 0x7f800000, v1
                                        ; implicit-def: $vgpr1
	s_and_saveexec_b32 s3, vcc_lo
	s_xor_b32 s3, exec_lo, s3
; %bb.81:
	v_bfe_u32 v1, v73, 16, 1
	s_delay_alu instid0(VALU_DEP_1)
	v_add3_u32 v1, v73, v1, 0x7fff
; %bb.82:
	s_and_not1_saveexec_b32 s3, s3
; %bb.83:
	v_and_b32_e32 v1, 0xffff, v73
	v_or_b32_e32 v2, 0x10000, v73
	s_delay_alu instid0(VALU_DEP_2) | instskip(NEXT) | instid1(VALU_DEP_2)
	v_cmp_eq_u32_e32 vcc_lo, 0, v1
	v_cndmask_b32_e32 v1, v2, v73, vcc_lo
; %bb.84:
	s_or_b32 exec_lo, exec_lo, s3
	v_and_b32_e32 v2, 0x7f800000, v74
	s_delay_alu instid0(VALU_DEP_1) | instskip(SKIP_1) | instid1(SALU_CYCLE_1)
	v_cmp_ne_u32_e32 vcc_lo, 0x7f800000, v2
                                        ; implicit-def: $vgpr2
	s_and_saveexec_b32 s3, vcc_lo
	s_xor_b32 s3, exec_lo, s3
; %bb.85:
	v_bfe_u32 v2, v74, 16, 1
	s_delay_alu instid0(VALU_DEP_1)
	v_add3_u32 v2, v74, v2, 0x7fff
; %bb.86:
	s_and_not1_saveexec_b32 s3, s3
; %bb.87:
	v_and_b32_e32 v2, 0xffff, v74
	v_or_b32_e32 v3, 0x10000, v74
	s_delay_alu instid0(VALU_DEP_2) | instskip(NEXT) | instid1(VALU_DEP_2)
	v_cmp_eq_u32_e32 vcc_lo, 0, v2
	v_cndmask_b32_e32 v2, v3, v74, vcc_lo
; %bb.88:
	s_or_b32 exec_lo, exec_lo, s3
	v_and_b32_e32 v3, 0x7f800000, v75
	s_delay_alu instid0(VALU_DEP_1) | instskip(SKIP_1) | instid1(SALU_CYCLE_1)
	v_cmp_ne_u32_e32 vcc_lo, 0x7f800000, v3
                                        ; implicit-def: $vgpr3
	s_and_saveexec_b32 s3, vcc_lo
	s_xor_b32 s3, exec_lo, s3
; %bb.89:
	v_bfe_u32 v3, v75, 16, 1
	s_delay_alu instid0(VALU_DEP_1)
	v_add3_u32 v3, v75, v3, 0x7fff
; %bb.90:
	s_and_not1_saveexec_b32 s3, s3
; %bb.91:
	v_and_b32_e32 v3, 0xffff, v75
	v_or_b32_e32 v4, 0x10000, v75
	s_delay_alu instid0(VALU_DEP_2) | instskip(NEXT) | instid1(VALU_DEP_2)
	v_cmp_eq_u32_e32 vcc_lo, 0, v3
	v_cndmask_b32_e32 v3, v4, v75, vcc_lo
; %bb.92:
	s_or_b32 exec_lo, exec_lo, s3
	v_and_b32_e32 v4, 0x7f800000, v76
	s_delay_alu instid0(VALU_DEP_1) | instskip(SKIP_1) | instid1(SALU_CYCLE_1)
	v_cmp_ne_u32_e32 vcc_lo, 0x7f800000, v4
                                        ; implicit-def: $vgpr4
	s_and_saveexec_b32 s3, vcc_lo
	s_xor_b32 s3, exec_lo, s3
; %bb.93:
	v_bfe_u32 v4, v76, 16, 1
	s_delay_alu instid0(VALU_DEP_1)
	v_add3_u32 v4, v76, v4, 0x7fff
; %bb.94:
	s_and_not1_saveexec_b32 s3, s3
; %bb.95:
	v_and_b32_e32 v4, 0xffff, v76
	v_or_b32_e32 v5, 0x10000, v76
	s_delay_alu instid0(VALU_DEP_2) | instskip(NEXT) | instid1(VALU_DEP_2)
	v_cmp_eq_u32_e32 vcc_lo, 0, v4
	v_cndmask_b32_e32 v4, v5, v76, vcc_lo
; %bb.96:
	s_or_b32 exec_lo, exec_lo, s3
	v_and_b32_e32 v5, 0x7f800000, v77
	s_delay_alu instid0(VALU_DEP_1) | instskip(SKIP_1) | instid1(SALU_CYCLE_1)
	v_cmp_ne_u32_e32 vcc_lo, 0x7f800000, v5
                                        ; implicit-def: $vgpr5
	s_and_saveexec_b32 s3, vcc_lo
	s_xor_b32 s3, exec_lo, s3
; %bb.97:
	v_bfe_u32 v5, v77, 16, 1
	s_delay_alu instid0(VALU_DEP_1)
	v_add3_u32 v5, v77, v5, 0x7fff
; %bb.98:
	s_and_not1_saveexec_b32 s3, s3
; %bb.99:
	v_and_b32_e32 v5, 0xffff, v77
	v_or_b32_e32 v6, 0x10000, v77
	s_delay_alu instid0(VALU_DEP_2) | instskip(NEXT) | instid1(VALU_DEP_2)
	v_cmp_eq_u32_e32 vcc_lo, 0, v5
	v_cndmask_b32_e32 v5, v6, v77, vcc_lo
; %bb.100:
	s_or_b32 exec_lo, exec_lo, s3
	v_and_b32_e32 v6, 0x7f800000, v78
	s_delay_alu instid0(VALU_DEP_1) | instskip(SKIP_1) | instid1(SALU_CYCLE_1)
	v_cmp_ne_u32_e32 vcc_lo, 0x7f800000, v6
                                        ; implicit-def: $vgpr6
	s_and_saveexec_b32 s3, vcc_lo
	s_xor_b32 s3, exec_lo, s3
; %bb.101:
	v_bfe_u32 v6, v78, 16, 1
	s_delay_alu instid0(VALU_DEP_1)
	v_add3_u32 v6, v78, v6, 0x7fff
; %bb.102:
	s_and_not1_saveexec_b32 s3, s3
; %bb.103:
	v_and_b32_e32 v6, 0xffff, v78
	v_or_b32_e32 v7, 0x10000, v78
	s_delay_alu instid0(VALU_DEP_2) | instskip(NEXT) | instid1(VALU_DEP_2)
	v_cmp_eq_u32_e32 vcc_lo, 0, v6
	v_cndmask_b32_e32 v6, v7, v78, vcc_lo
; %bb.104:
	s_or_b32 exec_lo, exec_lo, s3
	v_and_b32_e32 v7, 0x7f800000, v79
	s_delay_alu instid0(VALU_DEP_1) | instskip(SKIP_1) | instid1(SALU_CYCLE_1)
	v_cmp_ne_u32_e32 vcc_lo, 0x7f800000, v7
                                        ; implicit-def: $vgpr7
	s_and_saveexec_b32 s3, vcc_lo
	s_xor_b32 s3, exec_lo, s3
; %bb.105:
	v_bfe_u32 v7, v79, 16, 1
	s_delay_alu instid0(VALU_DEP_1)
	v_add3_u32 v7, v79, v7, 0x7fff
; %bb.106:
	s_and_not1_saveexec_b32 s3, s3
; %bb.107:
	v_and_b32_e32 v7, 0xffff, v79
	v_or_b32_e32 v8, 0x10000, v79
	s_delay_alu instid0(VALU_DEP_2) | instskip(NEXT) | instid1(VALU_DEP_2)
	v_cmp_eq_u32_e32 vcc_lo, 0, v7
	v_cndmask_b32_e32 v7, v8, v79, vcc_lo
; %bb.108:
	s_or_b32 exec_lo, exec_lo, s3
	v_and_b32_e32 v8, 0x7f800000, v80
	s_delay_alu instid0(VALU_DEP_1) | instskip(SKIP_1) | instid1(SALU_CYCLE_1)
	v_cmp_ne_u32_e32 vcc_lo, 0x7f800000, v8
                                        ; implicit-def: $vgpr8
	s_and_saveexec_b32 s3, vcc_lo
	s_xor_b32 s3, exec_lo, s3
; %bb.109:
	v_bfe_u32 v8, v80, 16, 1
	s_delay_alu instid0(VALU_DEP_1)
	v_add3_u32 v8, v80, v8, 0x7fff
                                        ; implicit-def: $vgpr73_vgpr74_vgpr75_vgpr76_vgpr77_vgpr78_vgpr79_vgpr80
; %bb.110:
	s_and_not1_saveexec_b32 s3, s3
; %bb.111:
	v_and_b32_e32 v8, 0xffff, v80
	v_or_b32_e32 v9, 0x10000, v80
	s_delay_alu instid0(VALU_DEP_2) | instskip(NEXT) | instid1(VALU_DEP_2)
	v_cmp_eq_u32_e32 vcc_lo, 0, v8
	v_cndmask_b32_e32 v8, v9, v80, vcc_lo
; %bb.112:
	s_or_b32 exec_lo, exec_lo, s3
	s_delay_alu instid0(VALU_DEP_1)
	v_perm_b32 v7, v8, v7, 0x7060302
	v_perm_b32 v6, v6, v5, 0x7060302
	v_perm_b32 v5, v4, v3, 0x7060302
	v_perm_b32 v4, v2, v1, 0x7060302
	v_lshl_or_b32 v9, v83, 4, v90
	s_barrier
	buffer_gl0_inv
	v_cmp_eq_u32_e32 vcc_lo, 1, v87
	ds_store_b128 v9, v[4:7]
	s_waitcnt lgkmcnt(0)
	s_barrier
	buffer_gl0_inv
	ds_load_b128 v[1:4], v90
	ds_load_b128 v[5:8], v90 offset:16
	v_cmp_eq_u32_e64 s4, 2, v87
	v_cmp_eq_u32_e64 s3, 1, v88
	;; [unrolled: 1-line block ×5, first 2 shown]
	s_waitcnt lgkmcnt(1)
	v_lshrrev_b32_e32 v10, 16, v1
	s_waitcnt lgkmcnt(0)
	v_lshrrev_b32_e32 v14, 16, v5
	v_lshrrev_b32_e32 v15, 16, v6
	;; [unrolled: 1-line block ×4, first 2 shown]
	v_cndmask_b32_e64 v20, v1, v10, s3
	v_cndmask_b32_e32 v19, v5, v14, vcc_lo
	v_cndmask_b32_e64 v21, v5, v14, s3
	v_lshrrev_b32_e32 v16, 16, v7
	v_cmp_eq_u32_e64 s3, 1, v86
	v_lshrrev_b32_e32 v13, 16, v4
	v_cndmask_b32_e64 v19, v19, v6, s4
	v_lshrrev_b32_e32 v17, 16, v8
	s_delay_alu instid0(VALU_DEP_4) | instskip(SKIP_1) | instid1(VALU_DEP_4)
	v_cndmask_b32_e64 v22, v1, v10, s3
	v_cndmask_b32_e64 v23, v5, v14, s3
	;; [unrolled: 1-line block ×3, first 2 shown]
	v_cndmask_b32_e32 v18, v1, v10, vcc_lo
	v_cmp_eq_u32_e32 vcc_lo, 2, v88
	v_cmp_eq_u32_e64 s3, 2, v89
	v_cndmask_b32_e64 v22, v22, v2, s7
	v_cndmask_b32_e32 v20, v20, v2, vcc_lo
	v_cndmask_b32_e32 v21, v21, v6, vcc_lo
	v_cmp_eq_u32_e32 vcc_lo, 4, v87
	v_cndmask_b32_e32 v19, v19, v7, vcc_lo
	v_cndmask_b32_e64 v18, v18, v2, s4
	v_cmp_eq_u32_e64 s4, 3, v88
	s_delay_alu instid0(VALU_DEP_2) | instskip(NEXT) | instid1(VALU_DEP_2)
	v_cndmask_b32_e64 v18, v18, v11, s5
	v_cndmask_b32_e64 v21, v21, v15, s4
	v_cmp_eq_u32_e64 s5, 5, v87
	s_delay_alu instid0(VALU_DEP_3) | instskip(SKIP_1) | instid1(VALU_DEP_3)
	v_cndmask_b32_e32 v18, v18, v3, vcc_lo
	v_cmp_eq_u32_e32 vcc_lo, 4, v88
	v_cndmask_b32_e64 v19, v19, v16, s5
	s_delay_alu instid0(VALU_DEP_3) | instskip(SKIP_4) | instid1(VALU_DEP_3)
	v_cndmask_b32_e64 v18, v18, v12, s5
	v_cndmask_b32_e32 v21, v21, v7, vcc_lo
	v_cndmask_b32_e64 v20, v20, v11, s4
	v_cmp_eq_u32_e64 s4, 5, v88
	v_cmp_eq_u32_e64 s5, 6, v87
	v_cndmask_b32_e32 v20, v20, v3, vcc_lo
	s_delay_alu instid0(VALU_DEP_3) | instskip(SKIP_1) | instid1(VALU_DEP_4)
	v_cndmask_b32_e64 v21, v21, v16, s4
	v_cmp_eq_u32_e32 vcc_lo, 6, v88
	v_cndmask_b32_e64 v18, v18, v4, s5
	v_cndmask_b32_e64 v19, v19, v8, s5
	;; [unrolled: 1-line block ×3, first 2 shown]
	v_cmp_eq_u32_e64 s4, 1, v89
	v_cmp_eq_u32_e64 s5, 7, v87
	s_delay_alu instid0(VALU_DEP_3) | instskip(NEXT) | instid1(VALU_DEP_3)
	v_cndmask_b32_e32 v20, v20, v4, vcc_lo
	v_cndmask_b32_e64 v1, v1, v10, s4
	v_cndmask_b32_e64 v5, v5, v14, s4
	v_cmp_eq_u32_e64 s4, 3, v86
	v_cndmask_b32_e64 v14, v23, v6, s7
	v_cmp_eq_u32_e64 s7, 3, v89
	v_cndmask_b32_e64 v1, v1, v2, s3
	v_cndmask_b32_e64 v2, v5, v6, s3
	;; [unrolled: 1-line block ×3, first 2 shown]
	v_cmp_eq_u32_e64 s3, 4, v86
	v_cndmask_b32_e64 v6, v14, v15, s4
	v_cndmask_b32_e64 v1, v1, v11, s7
	v_cmp_eq_u32_e64 s4, 4, v89
	v_cndmask_b32_e64 v2, v2, v15, s7
	v_cndmask_b32_e64 v5, v10, v3, s3
	;; [unrolled: 3-line block ×3, first 2 shown]
	v_cndmask_b32_e64 v2, v2, v7, s4
	v_cmp_eq_u32_e64 s3, 5, v89
	v_cndmask_b32_e64 v5, v5, v12, s7
	v_cmp_eq_u32_e64 s4, 6, v86
	;; [unrolled: 2-line block ×3, first 2 shown]
	v_cndmask_b32_e64 v1, v1, v12, s3
	v_cndmask_b32_e64 v2, v2, v16, s3
	;; [unrolled: 1-line block ×4, first 2 shown]
	v_cmp_eq_u32_e64 s3, 7, v89
	v_cndmask_b32_e64 v1, v1, v4, s7
	v_cndmask_b32_e64 v2, v2, v8, s7
	v_cmp_eq_u32_e64 s4, 7, v86
	v_cndmask_b32_e32 v4, v21, v8, vcc_lo
	v_cndmask_b32_e64 v18, v18, v13, s5
	v_cndmask_b32_e64 v20, v20, v13, s6
	;; [unrolled: 1-line block ×8, first 2 shown]
	v_cmp_gt_u32_e32 vcc_lo, 32, v0
	v_perm_b32 v4, v2, v1, 0x5040100
	v_perm_b32 v3, v3, v5, 0x5040100
	;; [unrolled: 1-line block ×4, first 2 shown]
	s_and_b32 s2, vcc_lo, s2
	ds_store_b128 v9, v[1:4]
	s_waitcnt lgkmcnt(0)
	s_barrier
	buffer_gl0_inv
	s_and_saveexec_b32 s3, s2
	s_cbranch_execz .LBB513_2
; %bb.113:
	s_load_b64 s[0:1], s[0:1], 0x68
	v_lshlrev_b32_e32 v0, 10, v0
	s_lshl_b32 s4, s34, 6
	v_or_b32_e32 v23, s31, v83
	s_mul_i32 s2, s4, s30
	v_lshlrev_b32_e32 v1, 4, v84
	v_lshlrev_b32_e32 v2, 6, v83
	s_mul_i32 s2, s2, s8
	v_and_b32_e32 v0, 0x3800, v0
	v_mul_lo_u32 v8, v23, s4
	s_ashr_i32 s3, s2, 31
	v_or_b32_e32 v3, 2, v23
	s_lshl_b64 s[2:3], s[2:3], 1
	v_or3_b32 v27, v0, v1, v2
	v_or_b32_e32 v11, 4, v23
	v_or_b32_e32 v18, 6, v23
	v_mul_lo_u32 v10, v3, s4
	v_ashrrev_i32_e32 v9, 31, v8
	ds_load_b128 v[0:3], v27
	ds_load_b128 v[4:7], v27 offset:128
	v_mul_lo_u32 v12, v11, s4
	s_waitcnt lgkmcnt(0)
	s_add_u32 s2, s0, s2
	s_addc_u32 s3, s1, s3
	s_lshl_b32 s0, s14, 6
	v_lshlrev_b64 v[8:9], 1, v[8:9]
	s_ashr_i32 s1, s0, 31
	v_ashrrev_i32_e32 v11, 31, v10
	s_lshl_b64 s[0:1], s[0:1], 1
	v_ashrrev_i32_e32 v13, 31, v12
	s_add_u32 s0, s2, s0
	s_addc_u32 s1, s3, s1
	v_add_co_u32 v30, vcc_lo, s0, v81
	v_add_co_ci_u32_e32 v31, vcc_lo, s1, v82, vcc_lo
	v_lshlrev_b64 v[16:17], 1, v[10:11]
	s_delay_alu instid0(VALU_DEP_3) | instskip(NEXT) | instid1(VALU_DEP_3)
	v_add_co_u32 v14, vcc_lo, v30, v8
	v_add_co_ci_u32_e32 v15, vcc_lo, v31, v9, vcc_lo
	ds_load_b128 v[8:11], v27 offset:256
	v_mul_lo_u32 v18, v18, s4
	v_or_b32_e32 v19, 8, v23
	v_add_co_u32 v16, vcc_lo, v30, v16
	global_store_b128 v[14:15], v[0:3], off
	v_lshlrev_b64 v[0:1], 1, v[12:13]
	v_add_co_ci_u32_e32 v17, vcc_lo, v31, v17, vcc_lo
	v_mul_lo_u32 v12, v19, s4
	v_ashrrev_i32_e32 v19, 31, v18
	v_or_b32_e32 v14, 10, v23
	global_store_b128 v[16:17], v[4:7], off
	v_add_co_u32 v4, vcc_lo, v30, v0
	v_add_co_ci_u32_e32 v5, vcc_lo, v31, v1, vcc_lo
	ds_load_b128 v[0:3], v27 offset:384
	v_ashrrev_i32_e32 v13, 31, v12
	v_lshlrev_b64 v[6:7], 1, v[18:19]
	v_mul_lo_u32 v14, v14, s4
	s_waitcnt lgkmcnt(1)
	global_store_b128 v[4:5], v[8:11], off
	v_or_b32_e32 v8, 12, v23
	v_lshlrev_b64 v[4:5], 1, v[12:13]
	v_add_co_u32 v20, vcc_lo, v30, v6
	v_or_b32_e32 v6, 14, v23
	v_ashrrev_i32_e32 v15, 31, v14
	v_mul_lo_u32 v22, v8, s4
	v_add_co_ci_u32_e32 v21, vcc_lo, v31, v7, vcc_lo
	v_add_co_u32 v24, vcc_lo, v30, v4
	v_mul_lo_u32 v26, v6, s4
	v_add_co_ci_u32_e32 v25, vcc_lo, v31, v5, vcc_lo
	v_lshlrev_b64 v[28:29], 1, v[14:15]
	ds_load_b128 v[4:7], v27 offset:512
	ds_load_b128 v[8:11], v27 offset:640
	;; [unrolled: 1-line block ×4, first 2 shown]
	v_ashrrev_i32_e32 v23, 31, v22
	v_ashrrev_i32_e32 v27, 31, v26
	v_add_co_u32 v28, vcc_lo, v30, v28
	s_delay_alu instid0(VALU_DEP_3) | instskip(SKIP_1) | instid1(VALU_DEP_4)
	v_lshlrev_b64 v[22:23], 1, v[22:23]
	v_add_co_ci_u32_e32 v29, vcc_lo, v31, v29, vcc_lo
	v_lshlrev_b64 v[26:27], 1, v[26:27]
	s_delay_alu instid0(VALU_DEP_3) | instskip(NEXT) | instid1(VALU_DEP_4)
	v_add_co_u32 v22, vcc_lo, v30, v22
	v_add_co_ci_u32_e32 v23, vcc_lo, v31, v23, vcc_lo
	s_delay_alu instid0(VALU_DEP_3) | instskip(NEXT) | instid1(VALU_DEP_4)
	v_add_co_u32 v26, vcc_lo, v30, v26
	v_add_co_ci_u32_e32 v27, vcc_lo, v31, v27, vcc_lo
	s_waitcnt lgkmcnt(4)
	global_store_b128 v[20:21], v[0:3], off
	s_waitcnt lgkmcnt(3)
	global_store_b128 v[24:25], v[4:7], off
	;; [unrolled: 2-line block ×5, first 2 shown]
	s_nop 0
	s_sendmsg sendmsg(MSG_DEALLOC_VGPRS)
	s_endpgm
	.section	.rodata,"a",@progbits
	.p2align	6, 0x0
	.amdhsa_kernel _Z39paged_attention_ll4mi_QKV_mfma16_kernelI14__hip_bfloat16S0_LN4vllm18Fp8KVCacheDataTypeE0EhLi32ELi64ELi256ELb1ELi16EL8MFMAType0EEvPKT_PKT0_S9_ifPKiSB_SB_iPKfiiiPfSE_PS4_PT2_iSD_SD_
		.amdhsa_group_segment_fixed_size 17472
		.amdhsa_private_segment_fixed_size 0
		.amdhsa_kernarg_size 400
		.amdhsa_user_sgpr_count 13
		.amdhsa_user_sgpr_dispatch_ptr 0
		.amdhsa_user_sgpr_queue_ptr 0
		.amdhsa_user_sgpr_kernarg_segment_ptr 1
		.amdhsa_user_sgpr_dispatch_id 0
		.amdhsa_user_sgpr_private_segment_size 0
		.amdhsa_wavefront_size32 1
		.amdhsa_uses_dynamic_stack 0
		.amdhsa_enable_private_segment 0
		.amdhsa_system_sgpr_workgroup_id_x 1
		.amdhsa_system_sgpr_workgroup_id_y 1
		.amdhsa_system_sgpr_workgroup_id_z 1
		.amdhsa_system_sgpr_workgroup_info 0
		.amdhsa_system_vgpr_workitem_id 0
		.amdhsa_next_free_vgpr 142
		.amdhsa_next_free_sgpr 38
		.amdhsa_reserve_vcc 1
		.amdhsa_float_round_mode_32 0
		.amdhsa_float_round_mode_16_64 0
		.amdhsa_float_denorm_mode_32 3
		.amdhsa_float_denorm_mode_16_64 3
		.amdhsa_dx10_clamp 1
		.amdhsa_ieee_mode 1
		.amdhsa_fp16_overflow 0
		.amdhsa_workgroup_processor_mode 1
		.amdhsa_memory_ordered 1
		.amdhsa_forward_progress 0
		.amdhsa_shared_vgpr_count 0
		.amdhsa_exception_fp_ieee_invalid_op 0
		.amdhsa_exception_fp_denorm_src 0
		.amdhsa_exception_fp_ieee_div_zero 0
		.amdhsa_exception_fp_ieee_overflow 0
		.amdhsa_exception_fp_ieee_underflow 0
		.amdhsa_exception_fp_ieee_inexact 0
		.amdhsa_exception_int_div_zero 0
	.end_amdhsa_kernel
	.section	.text._Z39paged_attention_ll4mi_QKV_mfma16_kernelI14__hip_bfloat16S0_LN4vllm18Fp8KVCacheDataTypeE0EhLi32ELi64ELi256ELb1ELi16EL8MFMAType0EEvPKT_PKT0_S9_ifPKiSB_SB_iPKfiiiPfSE_PS4_PT2_iSD_SD_,"axG",@progbits,_Z39paged_attention_ll4mi_QKV_mfma16_kernelI14__hip_bfloat16S0_LN4vllm18Fp8KVCacheDataTypeE0EhLi32ELi64ELi256ELb1ELi16EL8MFMAType0EEvPKT_PKT0_S9_ifPKiSB_SB_iPKfiiiPfSE_PS4_PT2_iSD_SD_,comdat
.Lfunc_end513:
	.size	_Z39paged_attention_ll4mi_QKV_mfma16_kernelI14__hip_bfloat16S0_LN4vllm18Fp8KVCacheDataTypeE0EhLi32ELi64ELi256ELb1ELi16EL8MFMAType0EEvPKT_PKT0_S9_ifPKiSB_SB_iPKfiiiPfSE_PS4_PT2_iSD_SD_, .Lfunc_end513-_Z39paged_attention_ll4mi_QKV_mfma16_kernelI14__hip_bfloat16S0_LN4vllm18Fp8KVCacheDataTypeE0EhLi32ELi64ELi256ELb1ELi16EL8MFMAType0EEvPKT_PKT0_S9_ifPKiSB_SB_iPKfiiiPfSE_PS4_PT2_iSD_SD_
                                        ; -- End function
	.section	.AMDGPU.csdata,"",@progbits
; Kernel info:
; codeLenInByte = 9616
; NumSgprs: 40
; NumVgprs: 142
; ScratchSize: 0
; MemoryBound: 0
; FloatMode: 240
; IeeeMode: 1
; LDSByteSize: 17472 bytes/workgroup (compile time only)
; SGPRBlocks: 4
; VGPRBlocks: 17
; NumSGPRsForWavesPerEU: 40
; NumVGPRsForWavesPerEU: 142
; Occupancy: 10
; WaveLimiterHint : 1
; COMPUTE_PGM_RSRC2:SCRATCH_EN: 0
; COMPUTE_PGM_RSRC2:USER_SGPR: 13
; COMPUTE_PGM_RSRC2:TRAP_HANDLER: 0
; COMPUTE_PGM_RSRC2:TGID_X_EN: 1
; COMPUTE_PGM_RSRC2:TGID_Y_EN: 1
; COMPUTE_PGM_RSRC2:TGID_Z_EN: 1
; COMPUTE_PGM_RSRC2:TIDIG_COMP_CNT: 0
	.section	.text._Z39paged_attention_ll4mi_QKV_mfma16_kernelI14__hip_bfloat16S0_LN4vllm18Fp8KVCacheDataTypeE0EhLi32ELi64ELi256ELb1ELi1EL8MFMAType0EEvPKT_PKT0_S9_ifPKiSB_SB_iPKfiiiPfSE_PS4_PT2_iSD_SD_,"axG",@progbits,_Z39paged_attention_ll4mi_QKV_mfma16_kernelI14__hip_bfloat16S0_LN4vllm18Fp8KVCacheDataTypeE0EhLi32ELi64ELi256ELb1ELi1EL8MFMAType0EEvPKT_PKT0_S9_ifPKiSB_SB_iPKfiiiPfSE_PS4_PT2_iSD_SD_,comdat
	.protected	_Z39paged_attention_ll4mi_QKV_mfma16_kernelI14__hip_bfloat16S0_LN4vllm18Fp8KVCacheDataTypeE0EhLi32ELi64ELi256ELb1ELi1EL8MFMAType0EEvPKT_PKT0_S9_ifPKiSB_SB_iPKfiiiPfSE_PS4_PT2_iSD_SD_ ; -- Begin function _Z39paged_attention_ll4mi_QKV_mfma16_kernelI14__hip_bfloat16S0_LN4vllm18Fp8KVCacheDataTypeE0EhLi32ELi64ELi256ELb1ELi1EL8MFMAType0EEvPKT_PKT0_S9_ifPKiSB_SB_iPKfiiiPfSE_PS4_PT2_iSD_SD_
	.globl	_Z39paged_attention_ll4mi_QKV_mfma16_kernelI14__hip_bfloat16S0_LN4vllm18Fp8KVCacheDataTypeE0EhLi32ELi64ELi256ELb1ELi1EL8MFMAType0EEvPKT_PKT0_S9_ifPKiSB_SB_iPKfiiiPfSE_PS4_PT2_iSD_SD_
	.p2align	8
	.type	_Z39paged_attention_ll4mi_QKV_mfma16_kernelI14__hip_bfloat16S0_LN4vllm18Fp8KVCacheDataTypeE0EhLi32ELi64ELi256ELb1ELi1EL8MFMAType0EEvPKT_PKT0_S9_ifPKiSB_SB_iPKfiiiPfSE_PS4_PT2_iSD_SD_,@function
_Z39paged_attention_ll4mi_QKV_mfma16_kernelI14__hip_bfloat16S0_LN4vllm18Fp8KVCacheDataTypeE0EhLi32ELi64ELi256ELb1ELi1EL8MFMAType0EEvPKT_PKT0_S9_ifPKiSB_SB_iPKfiiiPfSE_PS4_PT2_iSD_SD_: ; @_Z39paged_attention_ll4mi_QKV_mfma16_kernelI14__hip_bfloat16S0_LN4vllm18Fp8KVCacheDataTypeE0EhLi32ELi64ELi256ELb1ELi1EL8MFMAType0EEvPKT_PKT0_S9_ifPKiSB_SB_iPKfiiiPfSE_PS4_PT2_iSD_SD_
; %bb.0:
	s_load_b64 s[4:5], s[0:1], 0x30
	s_mov_b32 s34, s13
	s_waitcnt lgkmcnt(0)
	s_cmp_lg_u64 s[4:5], 0
	s_cselect_b32 s6, -1, 0
	s_ashr_i32 s35, s13, 31
	s_cmp_eq_u64 s[4:5], 0
	s_cbranch_scc1 .LBB514_3
; %bb.1:
	s_lshl_b64 s[2:3], s[34:35], 2
	s_delay_alu instid0(SALU_CYCLE_1) | instskip(SKIP_4) | instid1(SALU_CYCLE_1)
	s_add_u32 s2, s4, s2
	s_addc_u32 s3, s5, s3
	s_load_b64 s[2:3], s[2:3], 0x0
	s_waitcnt lgkmcnt(0)
	s_sub_i32 s2, s3, s2
	s_cmp_eq_u32 s2, 1
	s_cselect_b32 s2, -1, 0
	s_delay_alu instid0(SALU_CYCLE_1)
	s_and_not1_b32 vcc_lo, exec_lo, s2
	s_cbranch_vccz .LBB514_4
.LBB514_2:
	s_endpgm
.LBB514_3:
.LBB514_4:
	s_load_b64 s[2:3], s[0:1], 0x28
	s_lshl_b64 s[8:9], s[34:35], 2
	s_waitcnt lgkmcnt(0)
	s_add_u32 s2, s2, s8
	s_addc_u32 s3, s3, s9
	s_lshl_b32 s12, s14, 8
	s_load_b32 s33, s[2:3], 0x0
	s_waitcnt lgkmcnt(0)
	s_cmp_ge_i32 s12, s33
	s_cbranch_scc1 .LBB514_2
; %bb.5:
	s_clause 0x1
	s_load_b128 s[56:59], s[0:1], 0x8
	s_load_b64 s[2:3], s[0:1], 0x20
	s_and_not1_b32 vcc_lo, exec_lo, s6
	s_mov_b64 s[6:7], s[34:35]
	s_cbranch_vccnz .LBB514_7
; %bb.6:
	s_add_u32 s4, s4, s8
	s_addc_u32 s5, s5, s9
	s_load_b32 s6, s[4:5], 0x0
.LBB514_7:
	s_load_b128 s[52:55], s[0:1], 0x48
	v_and_b32_e32 v89, 15, v0
	s_mov_b32 s13, exec_lo
                                        ; implicit-def: $sgpr36
                                        ; implicit-def: $sgpr16
                                        ; implicit-def: $sgpr24
                                        ; implicit-def: $sgpr4
	s_delay_alu instid0(VALU_DEP_1)
	v_cmpx_eq_u32_e32 0, v89
	s_cbranch_execz .LBB514_9
; %bb.8:
	s_load_b64 s[4:5], s[0:1], 0x0
	s_waitcnt lgkmcnt(0)
	s_mul_hi_i32 s7, s6, s52
	s_mul_i32 s6, s6, s52
	s_delay_alu instid0(SALU_CYCLE_1) | instskip(NEXT) | instid1(SALU_CYCLE_1)
	s_lshl_b64 s[6:7], s[6:7], 1
	s_add_u32 s6, s4, s6
	s_addc_u32 s7, s5, s7
	s_lshl_b32 s4, s15, 6
	s_delay_alu instid0(SALU_CYCLE_1) | instskip(NEXT) | instid1(SALU_CYCLE_1)
	s_ashr_i32 s5, s4, 31
	s_lshl_b64 s[4:5], s[4:5], 1
	s_delay_alu instid0(SALU_CYCLE_1)
	s_add_u32 s4, s6, s4
	s_addc_u32 s5, s7, s5
	s_clause 0x3
	s_load_b256 s[36:43], s[4:5], 0x0
	s_load_b256 s[16:23], s[4:5], 0x20
	;; [unrolled: 1-line block ×4, first 2 shown]
.LBB514_9:
	s_or_b32 exec_lo, exec_lo, s13
	v_and_b32_e32 v1, 0xef, v0
	s_add_i32 s13, s33, 31
	s_load_b32 s44, s[0:1], 0x38
	s_ashr_i32 s35, s13, 31
	s_waitcnt lgkmcnt(0)
	v_dual_mov_b32 v107, s23 :: v_dual_mov_b32 v102, s18
	v_add_nc_u32_e32 v1, s12, v1
	s_lshr_b32 s35, s35, 27
	v_dual_mov_b32 v105, s21 :: v_dual_mov_b32 v100, s16
	s_add_i32 s13, s13, s35
	s_delay_alu instid0(VALU_DEP_2)
	v_ashrrev_i32_e32 v2, 31, v1
	v_or_b32_e32 v3, 16, v1
	s_ashr_i32 s13, s13, 5
	v_cmp_gt_i32_e32 vcc_lo, s33, v1
	s_add_i32 s13, s13, -1
	v_lshrrev_b32_e32 v2, 27, v2
	s_load_b32 s35, s[0:1], 0x1c
	v_mov_b32_e32 v103, s19
	v_mov_b32_e32 v101, s17
	v_dual_mov_b32 v115, s31 :: v_dual_mov_b32 v110, s26
	v_add_nc_u32_e32 v4, v1, v2
	s_mul_i32 s44, s34, s44
	v_mov_b32_e32 v114, s30
	s_ashr_i32 s45, s44, 31
	v_dual_mov_b32 v113, s29 :: v_dual_mov_b32 v108, s24
	v_ashrrev_i32_e32 v4, 5, v4
	v_add_nc_u32_e32 v2, v3, v2
	s_lshl_b64 s[44:45], s[44:45], 2
	v_mov_b32_e32 v112, s28
	s_add_u32 s52, s2, s44
	v_cndmask_b32_e32 v1, s13, v4, vcc_lo
	v_ashrrev_i32_e32 v2, 5, v2
	v_cmp_gt_i32_e32 vcc_lo, s33, v3
	v_lshlrev_b32_e32 v90, 6, v89
	s_addc_u32 s55, s3, s45
	s_mul_i32 s2, s15, s54
	v_lshrrev_b32_e32 v91, 5, v0
	v_cndmask_b32_e32 v3, s13, v2, vcc_lo
	v_ashrrev_i32_e32 v2, 31, v1
	s_ashr_i32 s3, s2, 31
	v_mov_b32_e32 v106, s22
	s_lshl_b64 s[2:3], s[2:3], 1
	v_ashrrev_i32_e32 v4, 31, v3
	v_lshlrev_b64 v[1:2], 2, v[1:2]
	s_add_u32 s63, s56, s2
	s_addc_u32 s68, s57, s3
	s_lshl_b32 s44, s14, 3
	v_lshlrev_b64 v[3:4], 2, v[3:4]
	s_ashr_i32 s45, s44, 31
	v_add_co_u32 v1, vcc_lo, s52, v1
	v_add_co_ci_u32_e32 v2, vcc_lo, s55, v2, vcc_lo
	s_delay_alu instid0(VALU_DEP_3) | instskip(NEXT) | instid1(VALU_DEP_4)
	v_add_co_u32 v3, vcc_lo, s52, v3
	v_add_co_ci_u32_e32 v4, vcc_lo, s55, v4, vcc_lo
	s_clause 0x1
	global_load_b32 v5, v[1:2], off
	global_load_b32 v6, v[3:4], off
	s_lshl_b64 s[44:45], s[44:45], 2
	v_mov_b32_e32 v104, s20
	s_add_u32 s44, s52, s44
	s_addc_u32 s45, s55, s45
	s_or_b32 s46, s12, 32
	v_lshl_or_b32 v49, v91, 10, v90
	s_ashr_i32 s47, s46, 5
	s_cmp_lt_i32 s46, s33
	s_cselect_b32 s46, s47, s13
	s_delay_alu instid0(SALU_CYCLE_1) | instskip(NEXT) | instid1(SALU_CYCLE_1)
	s_ashr_i32 s47, s46, 31
	s_lshl_b64 s[46:47], s[46:47], 2
	s_delay_alu instid0(SALU_CYCLE_1) | instskip(SKIP_2) | instid1(SALU_CYCLE_1)
	s_add_u32 s46, s52, s46
	s_addc_u32 s47, s55, s47
	s_or_b32 s48, s12, 64
	s_ashr_i32 s49, s48, 5
	s_cmp_lt_i32 s48, s33
	s_cselect_b32 s48, s49, s13
	s_delay_alu instid0(SALU_CYCLE_1) | instskip(NEXT) | instid1(SALU_CYCLE_1)
	s_ashr_i32 s49, s48, 31
	s_lshl_b64 s[48:49], s[48:49], 2
	s_delay_alu instid0(SALU_CYCLE_1) | instskip(SKIP_2) | instid1(SALU_CYCLE_1)
	s_add_u32 s48, s52, s48
	s_addc_u32 s49, s55, s49
	s_or_b32 s50, s12, 0x60
	s_ashr_i32 s51, s50, 5
	s_cmp_lt_i32 s50, s33
	s_cselect_b32 s50, s51, s13
	s_delay_alu instid0(SALU_CYCLE_1) | instskip(NEXT) | instid1(SALU_CYCLE_1)
	s_ashr_i32 s51, s50, 31
	s_lshl_b64 s[50:51], s[50:51], 2
	s_delay_alu instid0(SALU_CYCLE_1) | instskip(SKIP_2) | instid1(SALU_CYCLE_1)
	s_add_u32 s50, s52, s50
	s_addc_u32 s51, s55, s51
	s_or_b32 s54, s12, 0x80
	s_ashr_i32 s56, s54, 5
	s_cmp_lt_i32 s54, s33
	s_cselect_b32 s56, s56, s13
	s_delay_alu instid0(SALU_CYCLE_1) | instskip(NEXT) | instid1(SALU_CYCLE_1)
	s_ashr_i32 s57, s56, 31
	s_lshl_b64 s[56:57], s[56:57], 2
	s_delay_alu instid0(SALU_CYCLE_1) | instskip(SKIP_2) | instid1(SALU_CYCLE_1)
	s_add_u32 s64, s52, s56
	s_addc_u32 s65, s55, s57
	s_or_b32 s54, s12, 0xa0
	s_ashr_i32 s56, s54, 5
	s_cmp_lt_i32 s54, s33
	s_cselect_b32 s56, s56, s13
	s_delay_alu instid0(SALU_CYCLE_1) | instskip(NEXT) | instid1(SALU_CYCLE_1)
	s_ashr_i32 s57, s56, 31
	s_lshl_b64 s[56:57], s[56:57], 2
	s_delay_alu instid0(SALU_CYCLE_1)
	s_add_u32 s66, s52, s56
	s_addc_u32 s67, s55, s57
	s_clause 0x5
	s_load_b32 s62, s[44:45], 0x0
	s_load_b32 s61, s[46:47], 0x0
	;; [unrolled: 1-line block ×6, first 2 shown]
	s_or_b32 s16, s12, 0xc0
	s_mov_b32 s44, 0
	s_ashr_i32 s17, s16, 5
	s_mov_b32 s45, s44
	s_mov_b32 s46, s44
	;; [unrolled: 1-line block ×7, first 2 shown]
	v_mov_b32_e32 v111, s27
	v_mov_b32_e32 v109, s25
	v_dual_mov_b32 v123, s51 :: v_dual_mov_b32 v118, s46
	s_waitcnt lgkmcnt(0)
	s_mul_hi_i32 s19, s62, s53
	s_mul_i32 s18, s62, s53
	s_mul_hi_i32 s21, s61, s53
	s_mul_hi_i32 s25, s60, s53
	s_mul_i32 s24, s60, s53
	s_mul_hi_i32 s27, s57, s53
	s_mul_i32 s26, s57, s53
	v_dual_mov_b32 v122, s50 :: v_dual_mov_b32 v121, s49
	v_mov_b32_e32 v116, s44
	v_dual_mov_b32 v120, s48 :: v_dual_mov_b32 v119, s47
	v_mov_b32_e32 v117, s45
	s_mul_hi_i32 s31, s54, s53
	s_mul_i32 s30, s54, s53
	s_cmp_lt_i32 s16, s33
	s_cselect_b32 s16, s17, s13
	s_delay_alu instid0(SALU_CYCLE_1) | instskip(NEXT) | instid1(SALU_CYCLE_1)
	s_ashr_i32 s17, s16, 31
	s_lshl_b64 s[16:17], s[16:17], 2
	s_delay_alu instid0(SALU_CYCLE_1) | instskip(SKIP_2) | instid1(SALU_CYCLE_1)
	s_add_u32 s16, s52, s16
	s_addc_u32 s17, s55, s17
	s_or_b32 s20, s12, 0xe0
	s_ashr_i32 s22, s20, 5
	s_cmp_lt_i32 s20, s33
	s_mul_i32 s20, s61, s53
	s_cselect_b32 s22, s22, s13
	s_delay_alu instid0(SALU_CYCLE_1) | instskip(NEXT) | instid1(SALU_CYCLE_1)
	s_ashr_i32 s23, s22, 31
	s_lshl_b64 s[22:23], s[22:23], 2
	s_delay_alu instid0(SALU_CYCLE_1) | instskip(SKIP_2) | instid1(SALU_CYCLE_1)
	s_add_u32 s22, s52, s22
	s_addc_u32 s23, s55, s23
	s_add_i32 s28, s12, 0x100
	s_ashr_i32 s29, s28, 5
	s_cmp_lt_i32 s28, s33
	s_cselect_b32 s28, s29, s13
	s_delay_alu instid0(SALU_CYCLE_1) | instskip(NEXT) | instid1(SALU_CYCLE_1)
	s_ashr_i32 s29, s28, 31
	s_lshl_b64 s[28:29], s[28:29], 2
	s_delay_alu instid0(SALU_CYCLE_1) | instskip(SKIP_2) | instid1(SALU_CYCLE_1)
	s_add_u32 s28, s52, s28
	s_addc_u32 s29, s55, s29
	s_add_u32 s13, s58, s2
	v_add_co_u32 v136, s13, s13, v49
	s_waitcnt vmcnt(1)
	v_mad_i64_i32 v[1:2], null, v5, s53, 0
	s_waitcnt vmcnt(0)
	v_mad_i64_i32 v[3:4], null, v6, s53, 0
	v_lshlrev_b32_e32 v5, 4, v89
	s_delay_alu instid0(VALU_DEP_3) | instskip(NEXT) | instid1(VALU_DEP_3)
	v_lshlrev_b64 v[1:2], 1, v[1:2]
	v_lshlrev_b64 v[3:4], 1, v[3:4]
	s_delay_alu instid0(VALU_DEP_2) | instskip(NEXT) | instid1(VALU_DEP_3)
	v_add_co_u32 v1, vcc_lo, s63, v1
	v_add_co_ci_u32_e32 v2, vcc_lo, s68, v2, vcc_lo
	s_delay_alu instid0(VALU_DEP_3) | instskip(NEXT) | instid1(VALU_DEP_4)
	v_add_co_u32 v3, vcc_lo, s63, v3
	v_add_co_ci_u32_e32 v4, vcc_lo, s68, v4, vcc_lo
	s_delay_alu instid0(VALU_DEP_4) | instskip(NEXT) | instid1(VALU_DEP_4)
	v_add_co_u32 v41, vcc_lo, v1, v5
	v_add_co_ci_u32_e32 v42, vcc_lo, 0, v2, vcc_lo
	s_delay_alu instid0(VALU_DEP_4) | instskip(NEXT) | instid1(VALU_DEP_4)
	v_add_co_u32 v43, vcc_lo, v3, v5
	v_add_co_ci_u32_e32 v44, vcc_lo, 0, v4, vcc_lo
	s_clause 0xf
	global_load_b128 v[1:4], v[41:42], off
	global_load_b128 v[5:8], v[41:42], off offset:512
	global_load_b128 v[9:12], v[43:44], off offset:256
	global_load_b128 v[13:16], v[43:44], off offset:768
	global_load_b128 v[17:20], v[41:42], off offset:1024
	global_load_b128 v[21:24], v[41:42], off offset:1536
	global_load_b128 v[25:28], v[43:44], off offset:1280
	global_load_b128 v[29:32], v[43:44], off offset:1792
	global_load_b128 v[33:36], v[41:42], off offset:2048
	global_load_b128 v[37:40], v[41:42], off offset:2560
	global_load_b128 v[92:95], v[43:44], off offset:2304
	global_load_b128 v[96:99], v[43:44], off offset:2816
	global_load_b128 v[81:84], v[41:42], off offset:3072
	global_load_b128 v[85:88], v[41:42], off offset:3584
	global_load_b128 v[73:76], v[43:44], off offset:3328
	global_load_b128 v[77:80], v[43:44], off offset:3840
	v_mov_b32_e32 v48, s43
	v_dual_mov_b32 v44, s39 :: v_dual_mov_b32 v43, s38
	v_mov_b32_e32 v41, s36
	v_dual_mov_b32 v47, s42 :: v_dual_mov_b32 v46, s41
	v_dual_mov_b32 v45, s40 :: v_dual_mov_b32 v42, s37
	s_clause 0x2
	s_load_b32 s36, s[16:17], 0x0
	s_load_b32 s37, s[22:23], 0x0
	;; [unrolled: 1-line block ×3, first 2 shown]
	s_addc_u32 s29, s59, s3
	s_lshl_b64 s[2:3], s[18:19], 1
	s_lshl_b64 s[18:19], s[20:21], 1
	;; [unrolled: 1-line block ×4, first 2 shown]
	s_mul_hi_i32 s17, s56, s53
	s_mul_i32 s16, s56, s53
	s_lshl_b64 s[24:25], s[30:31], 1
	s_lshl_b64 s[16:17], s[16:17], 1
	v_add_co_ci_u32_e64 v137, null, s29, 0, s13
	v_add_co_u32 v49, vcc_lo, v136, s2
	s_delay_alu instid0(VALU_DEP_2)
	v_add_co_ci_u32_e32 v50, vcc_lo, s3, v137, vcc_lo
	v_add_co_u32 v51, vcc_lo, v136, s18
	s_waitcnt lgkmcnt(0)
	s_mul_hi_i32 s27, s36, s53
	s_mul_i32 s26, s36, s53
	v_add_co_ci_u32_e32 v52, vcc_lo, s19, v137, vcc_lo
	s_lshl_b64 s[26:27], s[26:27], 1
	v_add_co_u32 v53, vcc_lo, v136, s20
	v_add_co_ci_u32_e32 v54, vcc_lo, s21, v137, vcc_lo
	v_add_co_u32 v132, vcc_lo, v136, s22
	s_clause 0x5
	global_load_b128 v[65:68], v[49:50], off
	global_load_b128 v[69:72], v[49:50], off offset:16
	global_load_b128 v[57:60], v[51:52], off
	global_load_b128 v[61:64], v[51:52], off offset:16
	;; [unrolled: 2-line block ×3, first 2 shown]
	v_add_co_ci_u32_e32 v133, vcc_lo, s23, v137, vcc_lo
	v_add_co_u32 v134, vcc_lo, v136, s16
	s_mul_hi_i32 s3, s37, s53
	s_mul_i32 s2, s37, s53
	s_mul_i32 s16, s28, s53
	v_add_co_ci_u32_e32 v135, vcc_lo, s17, v137, vcc_lo
	s_lshl_b64 s[2:3], s[2:3], 1
	s_mul_hi_i32 s17, s28, s53
	s_waitcnt vmcnt(20)
	v_wmma_f32_16x16x16_bf16 v[124:131], v[1:8], v[41:48], v[116:123]
	v_add_co_u32 v1, vcc_lo, v136, s24
	s_waitcnt vmcnt(18)
	v_wmma_f32_16x16x16_bf16 v[116:123], v[9:16], v[41:48], v[116:123]
	v_add_co_ci_u32_e32 v2, vcc_lo, s25, v137, vcc_lo
	v_add_co_u32 v5, vcc_lo, v136, s26
	v_add_co_ci_u32_e32 v6, vcc_lo, s27, v137, vcc_lo
	s_waitcnt vmcnt(14)
	v_wmma_f32_16x16x16_bf16 v[116:123], v[25:32], v[100:107], v[116:123]
	v_add_co_u32 v25, vcc_lo, v136, s2
	v_add_co_ci_u32_e32 v26, vcc_lo, s3, v137, vcc_lo
	s_lshl_b64 s[2:3], s[16:17], 1
	v_wmma_f32_16x16x16_bf16 v[124:131], v[17:24], v[100:107], v[124:131]
	v_add_co_u32 v29, vcc_lo, v136, s2
	v_add_co_ci_u32_e32 v30, vcc_lo, s3, v137, vcc_lo
	s_clause 0x5
	global_load_b128 v[41:44], v[132:133], off
	global_load_b128 v[45:48], v[132:133], off offset:16
	global_load_b128 v[17:20], v[134:135], off
	global_load_b128 v[21:24], v[134:135], off offset:16
	;; [unrolled: 2-line block ×3, first 2 shown]
	s_waitcnt vmcnt(18)
	v_wmma_f32_16x16x16_bf16 v[124:131], v[33:40], v[108:115], v[124:131]
	s_clause 0x5
	global_load_b128 v[1:4], v[5:6], off
	global_load_b128 v[5:8], v[5:6], off offset:16
	global_load_b128 v[33:36], v[25:26], off
	global_load_b128 v[37:40], v[25:26], off offset:16
	;; [unrolled: 2-line block ×3, first 2 shown]
	s_waitcnt vmcnt(22)
	v_wmma_f32_16x16x16_bf16 v[116:123], v[92:99], v[108:115], v[116:123]
	v_dual_mov_b32 v99, s11 :: v_dual_mov_b32 v94, s6
	v_dual_mov_b32 v98, s10 :: v_dual_mov_b32 v97, s9
	v_mov_b32_e32 v92, s4
	v_dual_mov_b32 v96, s8 :: v_dual_mov_b32 v95, s7
	v_mov_b32_e32 v93, s5
	s_waitcnt vmcnt(0)
	s_barrier
	buffer_gl0_inv
	v_wmma_f32_16x16x16_bf16 v[124:131], v[81:88], v[92:99], v[124:131]
	v_and_b32_e32 v82, 0xe0, v0
	v_mbcnt_lo_u32_b32 v83, -1, 0
	v_bfe_u32 v81, v0, 4, 1
	s_delay_alu instid0(VALU_DEP_3) | instskip(NEXT) | instid1(VALU_DEP_3)
	v_add_nc_u32_e32 v82, s12, v82
	v_xor_b32_e32 v84, 16, v83
	v_wmma_f32_16x16x16_bf16 v[116:123], v[73:80], v[92:99], v[116:123]
	v_dual_mul_f32 v97, s35, v124 :: v_dual_mul_f32 v98, s35, v127
	s_delay_alu instid0(VALU_DEP_4) | instskip(NEXT) | instid1(VALU_DEP_4)
	v_or_b32_e32 v82, v82, v81
	v_cmp_gt_i32_e32 vcc_lo, 32, v84
	v_dual_mul_f32 v99, s35, v125 :: v_dual_mul_f32 v94, s35, v131
	v_dual_mul_f32 v95, s35, v130 :: v_dual_mul_f32 v96, s35, v129
	v_cndmask_b32_e32 v83, v83, v84, vcc_lo
	v_or_b32_e32 v84, 2, v82
	v_or_b32_e32 v85, 4, v82
	;; [unrolled: 1-line block ×3, first 2 shown]
	v_cmp_gt_i32_e32 vcc_lo, s33, v82
	v_or_b32_e32 v87, 8, v82
	v_cmp_gt_i32_e64 s2, s33, v84
	v_or_b32_e32 v88, 10, v82
	v_or_b32_e32 v73, 12, v82
	v_or_b32_e32 v74, 14, v82
	v_or_b32_e32 v75, 16, v82
	v_or_b32_e32 v76, 18, v82
	v_or_b32_e32 v77, 20, v82
	v_or_b32_e32 v78, 22, v82
	v_or_b32_e32 v79, 24, v82
	v_or_b32_e32 v80, 26, v82
	v_or_b32_e32 v92, 28, v82
	v_or_b32_e32 v93, 30, v82
	v_mul_f32_e32 v82, s35, v126
	v_cndmask_b32_e32 v97, 0xff7fffff, v97, vcc_lo
	v_cndmask_b32_e64 v84, 0xff7fffff, v99, s2
	v_cmp_gt_i32_e64 s3, s33, v85
	v_cmp_gt_i32_e64 s4, s33, v86
	v_mul_f32_e32 v86, s35, v128
	v_cmp_gt_i32_e64 s5, s33, v88
	v_max3_f32 v84, v97, 0xff7fffff, v84
	v_mul_f32_e32 v97, s35, v123
	v_cndmask_b32_e64 v82, 0xff7fffff, v82, s3
	v_cndmask_b32_e64 v85, 0xff7fffff, v98, s4
	v_cmp_gt_i32_e64 s6, s33, v87
	v_cndmask_b32_e64 v96, 0xff7fffff, v96, s5
	v_cmp_gt_i32_e64 s7, s33, v73
	v_cmp_gt_i32_e64 s8, s33, v74
	v_max3_f32 v82, v84, v82, v85
	v_cndmask_b32_e64 v86, 0xff7fffff, v86, s6
	v_dual_mul_f32 v88, s35, v118 :: v_dual_mul_f32 v87, s35, v117
	v_mul_f32_e32 v73, s35, v116
	v_cndmask_b32_e64 v95, 0xff7fffff, v95, s7
	v_cndmask_b32_e64 v74, 0xff7fffff, v94, s8
	v_max3_f32 v82, v82, v86, v96
	v_cmp_gt_i32_e64 s9, s33, v75
	v_cmp_gt_i32_e64 s10, s33, v76
	v_dual_mul_f32 v84, s35, v120 :: v_dual_mul_f32 v85, s35, v119
	s_delay_alu instid0(VALU_DEP_4) | instskip(NEXT) | instid1(VALU_DEP_4)
	v_max3_f32 v74, v82, v95, v74
	v_cndmask_b32_e64 v73, 0xff7fffff, v73, s9
	s_delay_alu instid0(VALU_DEP_4) | instskip(SKIP_3) | instid1(VALU_DEP_4)
	v_cndmask_b32_e64 v75, 0xff7fffff, v87, s10
	v_cmp_gt_i32_e64 s11, s33, v77
	v_cmp_gt_i32_e64 s12, s33, v78
	v_dual_mul_f32 v98, s35, v122 :: v_dual_mul_f32 v99, s35, v121
	v_max3_f32 v73, v74, v73, v75
	s_delay_alu instid0(VALU_DEP_4) | instskip(NEXT) | instid1(VALU_DEP_4)
	v_cndmask_b32_e64 v76, 0xff7fffff, v88, s11
	v_cndmask_b32_e64 v77, 0xff7fffff, v85, s12
	v_cmp_gt_i32_e64 s13, s33, v79
	v_cmp_gt_i32_e64 s16, s33, v80
	v_cmp_gt_i32_e64 s17, s33, v92
	v_cmp_gt_i32_e64 s18, s33, v93
	v_max3_f32 v73, v73, v76, v77
	v_cndmask_b32_e64 v74, 0xff7fffff, v84, s13
	v_cndmask_b32_e64 v75, 0xff7fffff, v99, s16
	;; [unrolled: 1-line block ×4, first 2 shown]
	v_lshlrev_b32_e32 v84, 2, v83
	s_delay_alu instid0(VALU_DEP_4) | instskip(NEXT) | instid1(VALU_DEP_1)
	v_max3_f32 v73, v73, v74, v75
	v_max3_f32 v73, v73, v76, v77
	ds_bpermute_b32 v74, v84, v73
	s_waitcnt lgkmcnt(0)
	v_max_f32_e32 v74, v74, v74
	s_delay_alu instid0(VALU_DEP_1) | instskip(NEXT) | instid1(VALU_DEP_1)
	v_max_f32_e32 v73, v73, v74
	v_fma_f32 v76, s35, v126, -v73
	s_delay_alu instid0(VALU_DEP_1)
	v_mul_f32_e32 v76, 0x3fb8aa3b, v76
	v_fma_f32 v74, s35, v124, -v73
	v_fma_f32 v75, s35, v125, -v73
	;; [unrolled: 1-line block ×4, first 2 shown]
	v_exp_f32_e32 v76, v76
	s_delay_alu instid0(VALU_DEP_3) | instskip(SKIP_2) | instid1(VALU_DEP_3)
	v_dual_mul_f32 v74, 0x3fb8aa3b, v74 :: v_dual_mul_f32 v75, 0x3fb8aa3b, v75
	v_fma_f32 v79, s35, v130, -v73
	v_fma_f32 v96, s35, v123, -v73
	v_exp_f32_e32 v74, v74
	s_delay_alu instid0(VALU_DEP_3) | instskip(SKIP_2) | instid1(TRANS32_DEP_3)
	v_exp_f32_e32 v75, v75
	v_mul_f32_e32 v77, 0x3fb8aa3b, v77
	v_mul_f32_e32 v79, 0x3fb8aa3b, v79
	v_cndmask_b32_e64 v87, 0, v76, s3
	v_fma_f32 v76, s35, v131, -v73
	s_mov_b32 s3, exec_lo
	s_delay_alu instid0(VALU_DEP_3) | instskip(NEXT) | instid1(TRANS32_DEP_3)
	v_exp_f32_e32 v79, v79
	v_cndmask_b32_e32 v86, 0, v74, vcc_lo
	v_fma_f32 v74, s35, v129, -v73
	s_delay_alu instid0(TRANS32_DEP_2)
	v_cndmask_b32_e64 v85, 0, v75, s2
	v_mul_f32_e32 v76, 0x3fb8aa3b, v76
	v_exp_f32_e32 v77, v77
	v_add_f32_e32 v75, 0, v86
	v_mul_f32_e32 v78, 0x3fb8aa3b, v78
	v_mul_f32_e32 v74, 0x3fb8aa3b, v74
	v_exp_f32_e32 v76, v76
	v_cndmask_b32_e64 v88, 0, v79, s7
	v_add_f32_e32 v75, v75, v85
	v_exp_f32_e32 v78, v78
	v_exp_f32_e32 v74, v74
	v_fma_f32 v79, s35, v119, -v73
	v_cndmask_b32_e64 v92, 0, v77, s4
	v_fma_f32 v77, s35, v116, -v73
	s_delay_alu instid0(TRANS32_DEP_3) | instskip(SKIP_2) | instid1(TRANS32_DEP_2)
	v_cndmask_b32_e64 v95, 0, v76, s8
	v_fma_f32 v76, s35, v120, -v73
	v_mul_f32_e32 v79, 0x3fb8aa3b, v79
	v_cndmask_b32_e64 v93, 0, v78, s6
	v_fma_f32 v78, s35, v117, -v73
	v_add_f32_e32 v75, v75, v87
	v_cndmask_b32_e64 v94, 0, v74, s5
	v_mul_f32_e32 v82, 0x3fb8aa3b, v76
	v_exp_f32_e32 v79, v79
	s_delay_alu instid0(VALU_DEP_3) | instskip(NEXT) | instid1(VALU_DEP_2)
	v_dual_mul_f32 v78, 0x3fb8aa3b, v78 :: v_dual_add_f32 v75, v75, v92
	v_exp_f32_e32 v82, v82
	s_delay_alu instid0(VALU_DEP_1) | instskip(NEXT) | instid1(VALU_DEP_1)
	v_exp_f32_e32 v78, v78
	v_add_f32_e32 v74, v75, v93
	v_fma_f32 v75, s35, v118, -v73
	s_delay_alu instid0(VALU_DEP_1)
	v_dual_mul_f32 v75, 0x3fb8aa3b, v75 :: v_dual_add_f32 v74, v74, v94
	v_mul_f32_e32 v77, 0x3fb8aa3b, v77
	s_waitcnt_depctr 0xfff
	v_cndmask_b32_e64 v76, 0, v78, s10
	v_fma_f32 v78, s35, v122, -v73
	v_exp_f32_e32 v80, v75
	v_add_f32_e32 v74, v74, v88
	v_exp_f32_e32 v77, v77
	s_waitcnt_depctr 0xfff
	v_cndmask_b32_e64 v75, 0, v77, s9
	v_fma_f32 v77, s35, v121, -v73
	s_delay_alu instid0(VALU_DEP_1) | instskip(NEXT) | instid1(VALU_DEP_1)
	v_dual_add_f32 v74, v74, v95 :: v_dual_mul_f32 v83, 0x3fb8aa3b, v77
	v_add_f32_e32 v74, v74, v75
	v_cndmask_b32_e64 v77, 0, v80, s11
	v_mul_f32_e32 v80, 0x3fb8aa3b, v78
	v_cndmask_b32_e64 v78, 0, v79, s12
	v_exp_f32_e32 v83, v83
	v_add_f32_e32 v74, v74, v76
	v_cndmask_b32_e64 v79, 0, v82, s13
	v_exp_f32_e32 v97, v80
	v_mul_f32_e32 v82, 0x3fb8aa3b, v96
	v_and_b32_e32 v96, 31, v0
	v_add_f32_e32 v74, v74, v77
	s_delay_alu instid0(TRANS32_DEP_2) | instskip(NEXT) | instid1(VALU_DEP_2)
	v_cndmask_b32_e64 v80, 0, v83, s16
	v_add_f32_e32 v74, v74, v78
	v_exp_f32_e32 v83, v82
	s_delay_alu instid0(TRANS32_DEP_2) | instskip(SKIP_1) | instid1(VALU_DEP_3)
	v_cndmask_b32_e64 v82, 0, v97, s17
	v_cmp_lt_u32_e64 s2, 15, v96
	v_add_f32_e32 v74, v74, v79
	s_delay_alu instid0(VALU_DEP_1) | instskip(SKIP_3) | instid1(VALU_DEP_1)
	v_add_f32_e32 v74, v74, v80
	s_waitcnt_depctr 0xfff
	v_cndmask_b32_e64 v83, 0, v83, s18
	v_add_f32_e32 v74, v74, v82
	v_add_f32_e32 v74, v74, v83
	ds_bpermute_b32 v84, v84, v74
	v_cmpx_gt_u32_e32 16, v96
	s_cbranch_execz .LBB514_11
; %bb.10:
	v_mul_u32_u24_e32 v96, 0x44, v91
	s_waitcnt lgkmcnt(0)
	v_add_f32_e32 v74, v74, v84
	s_delay_alu instid0(VALU_DEP_2) | instskip(NEXT) | instid1(VALU_DEP_1)
	v_lshl_add_u32 v96, v89, 2, v96
	v_add_nc_u32_e32 v84, 0x4000, v96
	ds_store_2addr_b32 v84, v73, v74 offset1:136
.LBB514_11:
	s_or_b32 exec_lo, exec_lo, s3
	v_lshlrev_b32_e32 v73, 2, v89
	s_waitcnt lgkmcnt(0)
	s_barrier
	buffer_gl0_inv
	v_cmp_eq_u32_e64 s3, 1, v91
	v_add_nc_u32_e32 v84, 0x4000, v73
	ds_load_2addr_b32 v[96:97], v84 offset1:17
	ds_load_2addr_b32 v[98:99], v84 offset0:34 offset1:51
	ds_load_2addr_b32 v[100:101], v84 offset0:68 offset1:85
	;; [unrolled: 1-line block ×4, first 2 shown]
	s_waitcnt lgkmcnt(4)
	v_max3_f32 v73, v96, 0xff7fffff, v97
	s_waitcnt lgkmcnt(3)
	s_delay_alu instid0(VALU_DEP_1) | instskip(SKIP_1) | instid1(VALU_DEP_1)
	v_max3_f32 v73, v73, v98, v99
	s_waitcnt lgkmcnt(2)
	v_max3_f32 v73, v73, v100, v101
	s_waitcnt lgkmcnt(1)
	s_delay_alu instid0(VALU_DEP_1) | instskip(NEXT) | instid1(VALU_DEP_1)
	v_max3_f32 v73, v73, v102, v103
	v_sub_f32_e32 v74, v96, v73
	v_sub_f32_e32 v98, v98, v73
	;; [unrolled: 1-line block ×3, first 2 shown]
	s_delay_alu instid0(VALU_DEP_3) | instskip(NEXT) | instid1(VALU_DEP_3)
	v_mul_f32_e32 v74, 0x3fb8aa3b, v74
	v_mul_f32_e32 v108, 0x3fb8aa3b, v98
	s_delay_alu instid0(VALU_DEP_3) | instskip(NEXT) | instid1(VALU_DEP_3)
	v_mul_f32_e32 v110, 0x3fb8aa3b, v100
	v_exp_f32_e32 v107, v74
	v_sub_f32_e32 v74, v99, v73
	v_sub_f32_e32 v106, v97, v73
	ds_load_2addr_b32 v[96:97], v84 offset0:170 offset1:187
	ds_load_2addr_b32 v[98:99], v84 offset0:204 offset1:221
	v_exp_f32_e32 v108, v108
	v_mul_f32_e32 v109, 0x3fb8aa3b, v74
	v_mul_f32_e32 v106, 0x3fb8aa3b, v106
	s_waitcnt lgkmcnt(2)
	v_fma_f32 v74, v107, v104, 0
	v_sub_f32_e32 v104, v101, v73
	s_delay_alu instid0(VALU_DEP_3)
	v_exp_f32_e32 v106, v106
	v_exp_f32_e32 v109, v109
	ds_load_2addr_b32 v[100:101], v84 offset0:238 offset1:255
	v_sub_f32_e32 v84, v102, v73
	v_mul_f32_e32 v102, 0x3fb8aa3b, v104
	v_exp_f32_e32 v104, v110
	s_waitcnt lgkmcnt(0)
	s_barrier
	v_mul_f32_e32 v84, 0x3fb8aa3b, v84
	v_exp_f32_e32 v102, v102
	v_fmac_f32_e32 v74, v106, v105
	buffer_gl0_inv
	v_exp_f32_e32 v84, v84
	v_fmac_f32_e32 v74, v108, v96
	v_sub_f32_e32 v96, v103, v73
	s_delay_alu instid0(VALU_DEP_2) | instskip(NEXT) | instid1(VALU_DEP_2)
	v_fmac_f32_e32 v74, v109, v97
	v_mul_f32_e32 v96, 0x3fb8aa3b, v96
	s_delay_alu instid0(VALU_DEP_2) | instskip(NEXT) | instid1(VALU_DEP_2)
	v_fmac_f32_e32 v74, v104, v98
	v_exp_f32_e32 v96, v96
	s_delay_alu instid0(VALU_DEP_1)
	v_fmac_f32_e32 v74, v102, v99
	s_delay_alu instid0(TRANS32_DEP_2) | instid1(VALU_DEP_1)
	v_fmac_f32_e32 v74, v84, v100
	s_waitcnt_depctr 0xfff
	v_fmac_f32_e32 v74, v96, v101
	s_delay_alu instid0(VALU_DEP_1) | instskip(NEXT) | instid1(VALU_DEP_1)
	v_add_f32_e32 v97, 0x358637bd, v74
	v_div_scale_f32 v98, null, v97, v97, 1.0
	v_div_scale_f32 v101, vcc_lo, 1.0, v97, 1.0
	s_delay_alu instid0(VALU_DEP_2) | instskip(SKIP_2) | instid1(VALU_DEP_1)
	v_rcp_f32_e32 v99, v98
	s_waitcnt_depctr 0xfff
	v_fma_f32 v100, -v98, v99, 1.0
	v_fmac_f32_e32 v99, v100, v99
	v_cndmask_b32_e64 v100, v107, v106, s3
	v_cmp_eq_u32_e64 s3, 2, v91
	s_delay_alu instid0(VALU_DEP_3) | instskip(NEXT) | instid1(VALU_DEP_2)
	v_mul_f32_e32 v103, v101, v99
	v_cndmask_b32_e64 v100, v100, v108, s3
	v_cmp_eq_u32_e64 s3, 3, v91
	s_delay_alu instid0(VALU_DEP_3) | instskip(NEXT) | instid1(VALU_DEP_2)
	v_fma_f32 v105, -v98, v103, v101
	v_cndmask_b32_e64 v100, v100, v109, s3
	v_cmp_eq_u32_e64 s3, 4, v91
	s_delay_alu instid0(VALU_DEP_3) | instskip(NEXT) | instid1(VALU_DEP_2)
	v_fmac_f32_e32 v103, v105, v99
	v_cndmask_b32_e64 v100, v100, v104, s3
	s_delay_alu instid0(VALU_DEP_2) | instskip(SKIP_1) | instid1(VALU_DEP_2)
	v_fma_f32 v98, -v98, v103, v101
	v_cmp_eq_u32_e64 s3, 5, v91
	v_div_fmas_f32 v98, v98, v99, v103
	s_delay_alu instid0(VALU_DEP_2) | instskip(SKIP_2) | instid1(VALU_DEP_3)
	v_cndmask_b32_e64 v100, v100, v102, s3
	v_cmp_eq_u32_e32 vcc_lo, 6, v91
	s_mov_b32 s3, exec_lo
	v_div_fixup_f32 v97, v98, v97, 1.0
	s_delay_alu instid0(VALU_DEP_3) | instskip(SKIP_1) | instid1(VALU_DEP_2)
	v_cndmask_b32_e32 v84, v100, v84, vcc_lo
	v_cmp_eq_u32_e32 vcc_lo, 7, v91
	v_cndmask_b32_e32 v84, v84, v96, vcc_lo
	s_delay_alu instid0(VALU_DEP_1) | instskip(NEXT) | instid1(VALU_DEP_1)
	v_mul_f32_e32 v84, v84, v97
	v_mul_f32_e32 v97, v84, v86
	;; [unrolled: 1-line block ×6, first 2 shown]
	v_dual_mul_f32 v93, v84, v87 :: v_dual_and_b32 v98, 0x7f800000, v97
	v_mul_f32_e32 v96, v84, v92
	v_mul_f32_e32 v92, v84, v85
                                        ; implicit-def: $vgpr85
	s_delay_alu instid0(VALU_DEP_3)
	v_cmpx_ne_u32_e32 0x7f800000, v98
	s_xor_b32 s3, exec_lo, s3
; %bb.12:
	v_bfe_u32 v85, v97, 16, 1
	s_delay_alu instid0(VALU_DEP_1)
	v_add3_u32 v85, v97, v85, 0x7fff
                                        ; implicit-def: $vgpr97
; %bb.13:
	s_and_not1_saveexec_b32 s3, s3
; %bb.14:
	v_and_b32_e32 v85, 0xffff, v97
	v_or_b32_e32 v87, 0x10000, v97
	s_delay_alu instid0(VALU_DEP_2) | instskip(NEXT) | instid1(VALU_DEP_2)
	v_cmp_eq_u32_e32 vcc_lo, 0, v85
	v_cndmask_b32_e32 v85, v87, v97, vcc_lo
; %bb.15:
	s_or_b32 exec_lo, exec_lo, s3
	v_and_b32_e32 v87, 0x7f800000, v92
	s_delay_alu instid0(VALU_DEP_1) | instskip(SKIP_1) | instid1(SALU_CYCLE_1)
	v_cmp_ne_u32_e32 vcc_lo, 0x7f800000, v87
                                        ; implicit-def: $vgpr87
	s_and_saveexec_b32 s3, vcc_lo
	s_xor_b32 s3, exec_lo, s3
; %bb.16:
	v_bfe_u32 v87, v92, 16, 1
	s_delay_alu instid0(VALU_DEP_1)
	v_add3_u32 v87, v92, v87, 0x7fff
                                        ; implicit-def: $vgpr92
; %bb.17:
	s_and_not1_saveexec_b32 s3, s3
; %bb.18:
	v_and_b32_e32 v87, 0xffff, v92
	v_or_b32_e32 v97, 0x10000, v92
	s_delay_alu instid0(VALU_DEP_2) | instskip(NEXT) | instid1(VALU_DEP_2)
	v_cmp_eq_u32_e32 vcc_lo, 0, v87
	v_cndmask_b32_e32 v87, v97, v92, vcc_lo
; %bb.19:
	s_or_b32 exec_lo, exec_lo, s3
	v_and_b32_e32 v92, 0x7f800000, v93
	s_delay_alu instid0(VALU_DEP_1) | instskip(SKIP_1) | instid1(SALU_CYCLE_1)
	v_cmp_ne_u32_e32 vcc_lo, 0x7f800000, v92
                                        ; implicit-def: $vgpr92
	s_and_saveexec_b32 s3, vcc_lo
	s_xor_b32 s3, exec_lo, s3
; %bb.20:
	v_bfe_u32 v92, v93, 16, 1
	s_delay_alu instid0(VALU_DEP_1)
	v_add3_u32 v92, v93, v92, 0x7fff
                                        ; implicit-def: $vgpr93
; %bb.21:
	s_and_not1_saveexec_b32 s3, s3
; %bb.22:
	v_and_b32_e32 v92, 0xffff, v93
	v_or_b32_e32 v97, 0x10000, v93
	s_delay_alu instid0(VALU_DEP_2) | instskip(NEXT) | instid1(VALU_DEP_2)
	v_cmp_eq_u32_e32 vcc_lo, 0, v92
	v_cndmask_b32_e32 v92, v97, v93, vcc_lo
; %bb.23:
	s_or_b32 exec_lo, exec_lo, s3
	v_and_b32_e32 v93, 0x7f800000, v96
	s_delay_alu instid0(VALU_DEP_1) | instskip(SKIP_1) | instid1(SALU_CYCLE_1)
	v_cmp_ne_u32_e32 vcc_lo, 0x7f800000, v93
                                        ; implicit-def: $vgpr93
	s_and_saveexec_b32 s3, vcc_lo
	s_xor_b32 s3, exec_lo, s3
; %bb.24:
	v_bfe_u32 v93, v96, 16, 1
	s_delay_alu instid0(VALU_DEP_1)
	v_add3_u32 v93, v96, v93, 0x7fff
                                        ; implicit-def: $vgpr96
; %bb.25:
	s_and_not1_saveexec_b32 s3, s3
; %bb.26:
	v_and_b32_e32 v93, 0xffff, v96
	v_or_b32_e32 v97, 0x10000, v96
	s_delay_alu instid0(VALU_DEP_2) | instskip(NEXT) | instid1(VALU_DEP_2)
	v_cmp_eq_u32_e32 vcc_lo, 0, v93
	v_cndmask_b32_e32 v93, v97, v96, vcc_lo
; %bb.27:
	s_or_b32 exec_lo, exec_lo, s3
	v_and_b32_e32 v96, 0x7f800000, v95
	s_delay_alu instid0(VALU_DEP_1) | instskip(SKIP_1) | instid1(SALU_CYCLE_1)
	v_cmp_ne_u32_e32 vcc_lo, 0x7f800000, v96
                                        ; implicit-def: $vgpr96
	s_and_saveexec_b32 s3, vcc_lo
	s_xor_b32 s3, exec_lo, s3
; %bb.28:
	v_bfe_u32 v96, v95, 16, 1
	s_delay_alu instid0(VALU_DEP_1)
	v_add3_u32 v96, v95, v96, 0x7fff
                                        ; implicit-def: $vgpr95
; %bb.29:
	s_and_not1_saveexec_b32 s3, s3
; %bb.30:
	v_and_b32_e32 v96, 0xffff, v95
	v_or_b32_e32 v97, 0x10000, v95
	s_delay_alu instid0(VALU_DEP_2) | instskip(NEXT) | instid1(VALU_DEP_2)
	v_cmp_eq_u32_e32 vcc_lo, 0, v96
	v_cndmask_b32_e32 v96, v97, v95, vcc_lo
; %bb.31:
	s_or_b32 exec_lo, exec_lo, s3
	v_and_b32_e32 v95, 0x7f800000, v94
	s_delay_alu instid0(VALU_DEP_1) | instskip(SKIP_1) | instid1(SALU_CYCLE_1)
	v_cmp_ne_u32_e32 vcc_lo, 0x7f800000, v95
                                        ; implicit-def: $vgpr95
	s_and_saveexec_b32 s3, vcc_lo
	s_xor_b32 s3, exec_lo, s3
; %bb.32:
	v_bfe_u32 v95, v94, 16, 1
	s_delay_alu instid0(VALU_DEP_1)
	v_add3_u32 v95, v94, v95, 0x7fff
                                        ; implicit-def: $vgpr94
; %bb.33:
	s_and_not1_saveexec_b32 s3, s3
; %bb.34:
	v_and_b32_e32 v95, 0xffff, v94
	v_or_b32_e32 v97, 0x10000, v94
	s_delay_alu instid0(VALU_DEP_2) | instskip(NEXT) | instid1(VALU_DEP_2)
	v_cmp_eq_u32_e32 vcc_lo, 0, v95
	v_cndmask_b32_e32 v95, v97, v94, vcc_lo
; %bb.35:
	s_or_b32 exec_lo, exec_lo, s3
	v_and_b32_e32 v94, 0x7f800000, v88
	s_delay_alu instid0(VALU_DEP_1) | instskip(SKIP_1) | instid1(SALU_CYCLE_1)
	v_cmp_ne_u32_e32 vcc_lo, 0x7f800000, v94
                                        ; implicit-def: $vgpr94
	s_and_saveexec_b32 s3, vcc_lo
	s_xor_b32 s3, exec_lo, s3
; %bb.36:
	v_bfe_u32 v94, v88, 16, 1
	s_delay_alu instid0(VALU_DEP_1)
	v_add3_u32 v94, v88, v94, 0x7fff
                                        ; implicit-def: $vgpr88
; %bb.37:
	s_and_not1_saveexec_b32 s3, s3
; %bb.38:
	v_and_b32_e32 v94, 0xffff, v88
	v_or_b32_e32 v97, 0x10000, v88
	s_delay_alu instid0(VALU_DEP_2) | instskip(NEXT) | instid1(VALU_DEP_2)
	v_cmp_eq_u32_e32 vcc_lo, 0, v94
	v_cndmask_b32_e32 v94, v97, v88, vcc_lo
; %bb.39:
	s_or_b32 exec_lo, exec_lo, s3
	v_and_b32_e32 v88, 0x7f800000, v86
	s_delay_alu instid0(VALU_DEP_1) | instskip(SKIP_1) | instid1(SALU_CYCLE_1)
	v_cmp_ne_u32_e32 vcc_lo, 0x7f800000, v88
                                        ; implicit-def: $vgpr88
	s_and_saveexec_b32 s3, vcc_lo
	s_xor_b32 s3, exec_lo, s3
; %bb.40:
	v_bfe_u32 v88, v86, 16, 1
	s_delay_alu instid0(VALU_DEP_1)
	v_add3_u32 v88, v86, v88, 0x7fff
                                        ; implicit-def: $vgpr86
; %bb.41:
	s_and_not1_saveexec_b32 s3, s3
; %bb.42:
	v_and_b32_e32 v88, 0xffff, v86
	v_or_b32_e32 v97, 0x10000, v86
	s_delay_alu instid0(VALU_DEP_2) | instskip(NEXT) | instid1(VALU_DEP_2)
	v_cmp_eq_u32_e32 vcc_lo, 0, v88
	v_cndmask_b32_e32 v88, v97, v86, vcc_lo
; %bb.43:
	s_or_b32 exec_lo, exec_lo, s3
	s_load_b64 s[36:37], s[0:1], 0x94
	v_lshlrev_b32_e32 v86, 4, v81
	s_delay_alu instid0(VALU_DEP_2)
	v_perm_b32 v97, v88, v94, 0x7060302
	v_lshlrev_b32_e32 v88, 11, v91
	v_perm_b32 v94, v87, v85, 0x7060302
	v_mul_f32_e32 v85, v84, v78
	v_mul_f32_e32 v87, v84, v75
	v_perm_b32 v96, v95, v96, 0x7060302
	v_perm_b32 v95, v93, v92, 0x7060302
	v_or3_b32 v75, v86, v88, v90
	v_mul_f32_e32 v83, v84, v83
	v_mul_f32_e32 v82, v84, v82
	;; [unrolled: 1-line block ×3, first 2 shown]
	v_and_b32_e32 v88, 0x7f800000, v87
	v_mul_f32_e32 v79, v84, v79
	v_mul_f32_e32 v86, v84, v77
	;; [unrolled: 1-line block ×3, first 2 shown]
	s_mov_b32 s3, exec_lo
	ds_store_b128 v75, v[94:97]
                                        ; implicit-def: $vgpr76
	v_cmpx_ne_u32_e32 0x7f800000, v88
	s_xor_b32 s3, exec_lo, s3
; %bb.44:
	v_bfe_u32 v76, v87, 16, 1
	s_delay_alu instid0(VALU_DEP_1)
	v_add3_u32 v76, v87, v76, 0x7fff
                                        ; implicit-def: $vgpr87
; %bb.45:
	s_and_not1_saveexec_b32 s3, s3
; %bb.46:
	v_and_b32_e32 v76, 0xffff, v87
	v_or_b32_e32 v77, 0x10000, v87
	s_delay_alu instid0(VALU_DEP_2) | instskip(NEXT) | instid1(VALU_DEP_2)
	v_cmp_eq_u32_e32 vcc_lo, 0, v76
	v_cndmask_b32_e32 v76, v77, v87, vcc_lo
; %bb.47:
	s_or_b32 exec_lo, exec_lo, s3
	v_and_b32_e32 v77, 0x7f800000, v78
	s_delay_alu instid0(VALU_DEP_1) | instskip(SKIP_1) | instid1(SALU_CYCLE_1)
	v_cmp_ne_u32_e32 vcc_lo, 0x7f800000, v77
                                        ; implicit-def: $vgpr77
	s_and_saveexec_b32 s3, vcc_lo
	s_xor_b32 s3, exec_lo, s3
; %bb.48:
	v_bfe_u32 v77, v78, 16, 1
	s_delay_alu instid0(VALU_DEP_1)
	v_add3_u32 v77, v78, v77, 0x7fff
                                        ; implicit-def: $vgpr78
; %bb.49:
	s_and_not1_saveexec_b32 s3, s3
; %bb.50:
	v_and_b32_e32 v77, 0xffff, v78
	v_or_b32_e32 v84, 0x10000, v78
	s_delay_alu instid0(VALU_DEP_2) | instskip(NEXT) | instid1(VALU_DEP_2)
	v_cmp_eq_u32_e32 vcc_lo, 0, v77
	v_cndmask_b32_e32 v77, v84, v78, vcc_lo
; %bb.51:
	s_or_b32 exec_lo, exec_lo, s3
	v_and_b32_e32 v78, 0x7f800000, v86
	s_delay_alu instid0(VALU_DEP_1) | instskip(SKIP_1) | instid1(SALU_CYCLE_1)
	v_cmp_ne_u32_e32 vcc_lo, 0x7f800000, v78
                                        ; implicit-def: $vgpr78
	s_and_saveexec_b32 s3, vcc_lo
	s_xor_b32 s3, exec_lo, s3
; %bb.52:
	v_bfe_u32 v78, v86, 16, 1
	s_delay_alu instid0(VALU_DEP_1)
	v_add3_u32 v78, v86, v78, 0x7fff
                                        ; implicit-def: $vgpr86
; %bb.53:
	s_and_not1_saveexec_b32 s3, s3
; %bb.54:
	v_and_b32_e32 v78, 0xffff, v86
	v_or_b32_e32 v84, 0x10000, v86
	s_delay_alu instid0(VALU_DEP_2) | instskip(NEXT) | instid1(VALU_DEP_2)
	v_cmp_eq_u32_e32 vcc_lo, 0, v78
	v_cndmask_b32_e32 v78, v84, v86, vcc_lo
; %bb.55:
	s_or_b32 exec_lo, exec_lo, s3
	v_and_b32_e32 v84, 0x7f800000, v85
	s_delay_alu instid0(VALU_DEP_1) | instskip(SKIP_1) | instid1(SALU_CYCLE_1)
	v_cmp_ne_u32_e32 vcc_lo, 0x7f800000, v84
                                        ; implicit-def: $vgpr84
	s_and_saveexec_b32 s3, vcc_lo
	s_xor_b32 s3, exec_lo, s3
; %bb.56:
	v_bfe_u32 v84, v85, 16, 1
	s_delay_alu instid0(VALU_DEP_1)
	v_add3_u32 v84, v85, v84, 0x7fff
                                        ; implicit-def: $vgpr85
; %bb.57:
	s_and_not1_saveexec_b32 s3, s3
; %bb.58:
	v_and_b32_e32 v84, 0xffff, v85
	v_or_b32_e32 v86, 0x10000, v85
	s_delay_alu instid0(VALU_DEP_2) | instskip(NEXT) | instid1(VALU_DEP_2)
	v_cmp_eq_u32_e32 vcc_lo, 0, v84
	v_cndmask_b32_e32 v84, v86, v85, vcc_lo
; %bb.59:
	s_or_b32 exec_lo, exec_lo, s3
	v_and_b32_e32 v85, 0x7f800000, v79
	s_delay_alu instid0(VALU_DEP_1) | instskip(SKIP_1) | instid1(SALU_CYCLE_1)
	v_cmp_ne_u32_e32 vcc_lo, 0x7f800000, v85
                                        ; implicit-def: $vgpr85
	s_and_saveexec_b32 s3, vcc_lo
	s_xor_b32 s3, exec_lo, s3
; %bb.60:
	v_bfe_u32 v85, v79, 16, 1
	s_delay_alu instid0(VALU_DEP_1)
	v_add3_u32 v85, v79, v85, 0x7fff
                                        ; implicit-def: $vgpr79
; %bb.61:
	s_and_not1_saveexec_b32 s3, s3
; %bb.62:
	v_and_b32_e32 v85, 0xffff, v79
	v_or_b32_e32 v86, 0x10000, v79
	s_delay_alu instid0(VALU_DEP_2) | instskip(NEXT) | instid1(VALU_DEP_2)
	v_cmp_eq_u32_e32 vcc_lo, 0, v85
	v_cndmask_b32_e32 v85, v86, v79, vcc_lo
; %bb.63:
	s_or_b32 exec_lo, exec_lo, s3
	v_and_b32_e32 v79, 0x7f800000, v80
	s_delay_alu instid0(VALU_DEP_1) | instskip(SKIP_1) | instid1(SALU_CYCLE_1)
	v_cmp_ne_u32_e32 vcc_lo, 0x7f800000, v79
                                        ; implicit-def: $vgpr79
	s_and_saveexec_b32 s3, vcc_lo
	s_xor_b32 s3, exec_lo, s3
; %bb.64:
	v_bfe_u32 v79, v80, 16, 1
	s_delay_alu instid0(VALU_DEP_1)
	v_add3_u32 v79, v80, v79, 0x7fff
                                        ; implicit-def: $vgpr80
; %bb.65:
	s_and_not1_saveexec_b32 s3, s3
; %bb.66:
	v_and_b32_e32 v79, 0xffff, v80
	v_or_b32_e32 v86, 0x10000, v80
	s_delay_alu instid0(VALU_DEP_2) | instskip(NEXT) | instid1(VALU_DEP_2)
	v_cmp_eq_u32_e32 vcc_lo, 0, v79
	v_cndmask_b32_e32 v79, v86, v80, vcc_lo
; %bb.67:
	s_or_b32 exec_lo, exec_lo, s3
	v_and_b32_e32 v80, 0x7f800000, v82
	s_delay_alu instid0(VALU_DEP_1) | instskip(SKIP_1) | instid1(SALU_CYCLE_1)
	v_cmp_ne_u32_e32 vcc_lo, 0x7f800000, v80
                                        ; implicit-def: $vgpr80
	s_and_saveexec_b32 s3, vcc_lo
	s_xor_b32 s3, exec_lo, s3
; %bb.68:
	v_bfe_u32 v80, v82, 16, 1
	s_delay_alu instid0(VALU_DEP_1)
	v_add3_u32 v80, v82, v80, 0x7fff
                                        ; implicit-def: $vgpr82
; %bb.69:
	s_and_not1_saveexec_b32 s3, s3
; %bb.70:
	v_and_b32_e32 v80, 0xffff, v82
	v_or_b32_e32 v86, 0x10000, v82
	s_delay_alu instid0(VALU_DEP_2) | instskip(NEXT) | instid1(VALU_DEP_2)
	v_cmp_eq_u32_e32 vcc_lo, 0, v80
	v_cndmask_b32_e32 v80, v86, v82, vcc_lo
; %bb.71:
	s_or_b32 exec_lo, exec_lo, s3
	v_and_b32_e32 v82, 0x7f800000, v83
	s_delay_alu instid0(VALU_DEP_1) | instskip(SKIP_1) | instid1(SALU_CYCLE_1)
	v_cmp_ne_u32_e32 vcc_lo, 0x7f800000, v82
                                        ; implicit-def: $vgpr82
	s_and_saveexec_b32 s3, vcc_lo
	s_xor_b32 s3, exec_lo, s3
; %bb.72:
	v_bfe_u32 v82, v83, 16, 1
	s_delay_alu instid0(VALU_DEP_1)
	v_add3_u32 v82, v83, v82, 0x7fff
                                        ; implicit-def: $vgpr83
; %bb.73:
	s_and_not1_saveexec_b32 s3, s3
; %bb.74:
	v_and_b32_e32 v82, 0xffff, v83
	v_or_b32_e32 v86, 0x10000, v83
	s_delay_alu instid0(VALU_DEP_2) | instskip(NEXT) | instid1(VALU_DEP_2)
	v_cmp_eq_u32_e32 vcc_lo, 0, v82
	v_cndmask_b32_e32 v82, v86, v83, vcc_lo
; %bb.75:
	s_or_b32 exec_lo, exec_lo, s3
	s_delay_alu instid0(VALU_DEP_1)
	v_perm_b32 v80, v82, v80, 0x7060302
	v_perm_b32 v79, v79, v85, 0x7060302
	v_perm_b32 v78, v84, v78, 0x7060302
	v_perm_b32 v77, v77, v76, 0x7060302
	v_lshl_or_b32 v86, v91, 11, v90
	ds_store_b128 v75, v[77:80] offset:1024
	s_waitcnt lgkmcnt(0)
	s_barrier
	buffer_gl0_inv
	ds_load_b128 v[76:79], v86
	ds_load_b128 v[91:94], v86 offset:16
	s_waitcnt lgkmcnt(1)
	v_lshrrev_b32_e32 v103, 16, v79
	v_lshlrev_b32_e32 v83, 2, v81
	v_lshrrev_b32_e32 v80, 16, v76
	s_waitcnt lgkmcnt(0)
	v_lshrrev_b32_e32 v99, 16, v91
	v_lshrrev_b32_e32 v106, 16, v94
	;; [unrolled: 1-line block ×3, first 2 shown]
	v_or_b32_e32 v84, 1, v83
	v_cmp_eq_u32_e32 vcc_lo, 1, v83
	v_cmp_eq_u32_e64 s4, 2, v83
	v_lshrrev_b32_e32 v104, 16, v92
	v_cmp_eq_u32_e64 s7, 3, v83
	v_cmp_eq_u32_e64 s3, 1, v84
	v_cndmask_b32_e32 v85, v76, v80, vcc_lo
	v_cndmask_b32_e32 v95, v91, v99, vcc_lo
	v_cmp_eq_u32_e64 s6, 2, v84
	v_cmp_eq_u32_e64 s8, 3, v84
	v_cndmask_b32_e64 v96, v76, v80, s3
	v_cndmask_b32_e64 v85, v85, v77, s4
	;; [unrolled: 1-line block ×3, first 2 shown]
	v_cmp_eq_u32_e64 s9, 4, v83
	v_or_b32_e32 v82, 2, v83
	v_cndmask_b32_e64 v96, v96, v77, s6
	v_cndmask_b32_e64 v85, v85, v87, s7
	;; [unrolled: 1-line block ×3, first 2 shown]
	v_lshrrev_b32_e32 v88, 16, v78
	v_lshrrev_b32_e32 v105, 16, v93
	v_cndmask_b32_e64 v97, v91, v99, s3
	v_cndmask_b32_e64 v96, v96, v87, s8
	;; [unrolled: 1-line block ×3, first 2 shown]
	v_cmp_eq_u32_e64 s10, 5, v83
	v_cndmask_b32_e64 v95, v95, v93, s9
	v_cmp_eq_u32_e64 s11, 4, v84
	v_cmp_eq_u32_e64 s5, 1, v82
	v_cndmask_b32_e64 v97, v97, v92, s6
	v_cndmask_b32_e64 v85, v85, v88, s10
	v_cmp_eq_u32_e64 s12, 6, v83
	v_cndmask_b32_e64 v96, v96, v78, s11
	v_cndmask_b32_e64 v95, v95, v105, s10
	;; [unrolled: 3-line block ×3, first 2 shown]
	v_cndmask_b32_e64 v85, v85, v79, s12
	v_cmp_eq_u32_e64 s16, 7, v83
	v_cndmask_b32_e64 v96, v96, v88, s13
	v_cndmask_b32_e64 v95, v95, v94, s12
	v_cmp_eq_u32_e64 s17, 6, v84
	v_cmp_eq_u32_e64 s18, 2, v82
	v_cndmask_b32_e64 v97, v97, v93, s11
	v_cndmask_b32_e64 v107, v85, v103, s16
	;; [unrolled: 1-line block ×6, first 2 shown]
	v_cmp_eq_u32_e64 s19, 7, v84
	v_cmp_eq_u32_e64 s20, 3, v82
	;; [unrolled: 1-line block ×4, first 2 shown]
	v_cndmask_b32_e64 v95, v95, v92, s18
	v_cndmask_b32_e64 v109, v96, v103, s19
	;; [unrolled: 1-line block ×4, first 2 shown]
	v_or_b32_e32 v85, 3, v83
	v_cndmask_b32_e64 v101, v95, v104, s20
	v_cmp_eq_u32_e64 s25, 6, v82
	v_cndmask_b32_e64 v110, v96, v94, s17
	v_cndmask_b32_e64 v100, v97, v78, s21
	ds_load_b128 v[95:98], v86 offset:1024
	v_cmp_eq_u32_e64 s22, 1, v85
	v_cmp_eq_u32_e64 s24, 2, v85
	;; [unrolled: 1-line block ×3, first 2 shown]
	v_cndmask_b32_e64 v111, v100, v88, s23
	v_cmp_eq_u32_e64 s27, 4, v85
	v_cndmask_b32_e64 v76, v76, v80, s22
	v_cndmask_b32_e64 v80, v101, v93, s21
	;; [unrolled: 1-line block ×3, first 2 shown]
	ds_load_b128 v[99:102], v86 offset:1040
	v_cmp_eq_u32_e64 s28, 7, v82
	v_cndmask_b32_e64 v76, v76, v77, s24
	v_cndmask_b32_e64 v77, v80, v105, s23
	;; [unrolled: 1-line block ×3, first 2 shown]
	v_cmp_eq_u32_e64 s29, 5, v85
	v_cmp_eq_u32_e64 s30, 6, v85
	v_cndmask_b32_e64 v76, v76, v87, s26
	v_cndmask_b32_e64 v87, v111, v79, s25
	;; [unrolled: 1-line block ×4, first 2 shown]
	s_waitcnt lgkmcnt(1)
	v_lshrrev_b32_e32 v92, 16, v95
	v_cndmask_b32_e64 v76, v76, v78, s27
	v_cndmask_b32_e64 v91, v110, v106, s19
	;; [unrolled: 1-line block ×4, first 2 shown]
	v_cndmask_b32_e32 v87, v95, v92, vcc_lo
	v_cndmask_b32_e64 v76, v76, v88, s29
	v_lshrrev_b32_e32 v93, 16, v96
	v_cndmask_b32_e64 v104, v95, v92, s3
	s_waitcnt lgkmcnt(0)
	v_lshrrev_b32_e32 v88, 16, v99
	v_cndmask_b32_e64 v87, v87, v96, s4
	v_cndmask_b32_e64 v78, v78, v105, s29
	;; [unrolled: 1-line block ×4, first 2 shown]
	v_cndmask_b32_e32 v105, v99, v88, vcc_lo
	v_cndmask_b32_e64 v79, v87, v93, s7
	v_cndmask_b32_e64 v87, v104, v96, s6
	;; [unrolled: 1-line block ×3, first 2 shown]
	v_lshrrev_b32_e32 v104, 16, v100
	v_cndmask_b32_e64 v94, v105, v100, s4
	v_cmp_eq_u32_e32 vcc_lo, 7, v85
	v_cndmask_b32_e64 v87, v87, v93, s8
	v_cndmask_b32_e64 v79, v79, v97, s9
	v_lshrrev_b32_e32 v105, 16, v97
	v_cndmask_b32_e64 v94, v94, v104, s7
	v_cndmask_b32_e32 v76, v76, v103, vcc_lo
	v_cndmask_b32_e32 v78, v78, v106, vcc_lo
	v_cndmask_b32_e64 v87, v87, v97, s11
	v_cndmask_b32_e64 v103, v79, v105, s10
	;; [unrolled: 1-line block ×3, first 2 shown]
	v_lshrrev_b32_e32 v106, 16, v101
	v_perm_b32 v79, v78, v76, 0x5040100
	v_cndmask_b32_e64 v76, v87, v105, s13
	v_cndmask_b32_e64 v87, v103, v98, s12
	v_lshrrev_b32_e32 v103, 16, v98
	v_cndmask_b32_e64 v94, v94, v106, s10
	v_perm_b32 v78, v77, v80, 0x5040100
	v_cndmask_b32_e64 v76, v76, v98, s17
	v_perm_b32 v77, v91, v109, 0x5040100
	v_cndmask_b32_e64 v80, v87, v103, s16
	v_cndmask_b32_e64 v87, v94, v102, s12
	v_cndmask_b32_e64 v94, v99, v88, s22
	v_cndmask_b32_e64 v109, v76, v103, s19
	v_cndmask_b32_e64 v76, v95, v92, s5
	v_cndmask_b32_e64 v92, v95, v92, s22
	v_cndmask_b32_e64 v95, v99, v88, s5
	v_cndmask_b32_e64 v88, v99, v88, s3
	v_cndmask_b32_e64 v94, v94, v100, s24
	v_cndmask_b32_e64 v76, v76, v96, s18
	v_cndmask_b32_e64 v92, v92, v96, s24
	v_cndmask_b32_e64 v95, v95, v100, s18
	v_cndmask_b32_e64 v88, v88, v100, s6
	v_lshrrev_b32_e32 v91, 16, v102
	v_cndmask_b32_e64 v76, v76, v93, s20
	v_cndmask_b32_e64 v92, v92, v93, s26
	;; [unrolled: 1-line block ×21, first 2 shown]
	v_cndmask_b32_e32 v92, v92, v103, vcc_lo
	v_cndmask_b32_e32 v93, v93, v91, vcc_lo
	v_cndmask_b32_e64 v96, v94, v91, s28
	v_cndmask_b32_e64 v88, v88, v91, s19
	;; [unrolled: 1-line block ×3, first 2 shown]
	v_perm_b32 v76, v108, v107, 0x5040100
	v_perm_b32 v94, v93, v92, 0x5040100
	v_perm_b32 v93, v96, v95, 0x5040100
	v_perm_b32 v92, v88, v109, 0x5040100
	v_perm_b32 v91, v87, v80, 0x5040100
	s_mov_b32 s3, exec_lo
	ds_store_b128 v75, v[76:79]
	ds_store_b128 v75, v[91:94] offset:1024
	v_cmpx_eq_u32_e32 0, v0
	s_cbranch_execz .LBB514_77
; %bb.76:
	s_load_b128 s[4:7], s[0:1], 0x58
	s_mul_i32 s8, s37, s34
	v_mov_b32_e32 v75, 0
	s_add_i32 s8, s8, s15
	s_delay_alu instid0(SALU_CYCLE_1) | instskip(NEXT) | instid1(SALU_CYCLE_1)
	s_mul_i32 s8, s8, s36
	s_add_i32 s8, s8, s14
	s_delay_alu instid0(SALU_CYCLE_1) | instskip(NEXT) | instid1(SALU_CYCLE_1)
	s_ashr_i32 s9, s8, 31
	s_lshl_b64 s[8:9], s[8:9], 2
	s_waitcnt lgkmcnt(0)
	s_add_u32 s6, s6, s8
	s_addc_u32 s7, s7, s9
	s_add_u32 s4, s4, s8
	s_addc_u32 s5, s5, s9
	s_clause 0x1
	global_store_b32 v75, v73, s[6:7]
	global_store_b32 v75, v74, s[4:5]
.LBB514_77:
	s_or_b32 exec_lo, exec_lo, s3
	s_waitcnt lgkmcnt(0)
	s_waitcnt_vscnt null, 0x0
	s_barrier
	buffer_gl0_inv
	ds_load_b128 v[91:94], v90
	ds_load_b128 v[95:98], v90 offset:16
	ds_load_b128 v[103:106], v90 offset:1040
	;; [unrolled: 1-line block ×3, first 2 shown]
	v_mov_b32_e32 v73, 0
	ds_load_b128 v[111:114], v90 offset:2064
	ds_load_b128 v[107:110], v90 offset:2048
	;; [unrolled: 1-line block ×4, first 2 shown]
	v_mov_b32_e32 v74, v73
	v_mov_b32_e32 v75, v73
	;; [unrolled: 1-line block ×7, first 2 shown]
	s_waitcnt lgkmcnt(6)
	s_delay_alu instid0(VALU_DEP_1)
	v_wmma_f32_16x16x16_bf16 v[73:80], v[65:72], v[91:98], v[73:80]
	ds_load_b128 v[69:72], v90 offset:4112
	ds_load_b128 v[65:68], v90 offset:4096
	;; [unrolled: 1-line block ×4, first 2 shown]
	s_waitcnt lgkmcnt(8)
	v_wmma_f32_16x16x16_bf16 v[73:80], v[57:64], v[99:106], v[73:80]
	ds_load_b128 v[103:106], v90 offset:6160
	ds_load_b128 v[99:102], v90 offset:6144
	s_waitcnt lgkmcnt(8)
	v_wmma_f32_16x16x16_bf16 v[73:80], v[57:64], v[107:114], v[73:80]
	ds_load_b128 v[61:64], v90 offset:7184
	ds_load_b128 v[57:60], v90 offset:7168
	;; [unrolled: 1-line block ×4, first 2 shown]
	s_waitcnt lgkmcnt(10)
	v_wmma_f32_16x16x16_bf16 v[73:80], v[49:56], v[115:122], v[73:80]
	s_waitcnt lgkmcnt(8)
	s_delay_alu instid0(VALU_DEP_1)
	v_wmma_f32_16x16x16_bf16 v[73:80], v[49:56], v[65:72], v[73:80]
	ds_load_b128 v[53:56], v90 offset:9232
	ds_load_b128 v[49:52], v90 offset:9216
	;; [unrolled: 1-line block ×4, first 2 shown]
	s_waitcnt lgkmcnt(10)
	v_wmma_f32_16x16x16_bf16 v[73:80], v[41:48], v[91:98], v[73:80]
	s_waitcnt lgkmcnt(8)
	s_delay_alu instid0(VALU_DEP_1)
	v_wmma_f32_16x16x16_bf16 v[73:80], v[41:48], v[99:106], v[73:80]
	ds_load_b128 v[45:48], v90 offset:11280
	ds_load_b128 v[41:44], v90 offset:11264
	s_waitcnt lgkmcnt(8)
	v_wmma_f32_16x16x16_bf16 v[73:80], v[17:24], v[57:64], v[73:80]
	s_waitcnt lgkmcnt(6)
	s_delay_alu instid0(VALU_DEP_1)
	v_wmma_f32_16x16x16_bf16 v[73:80], v[17:24], v[107:114], v[73:80]
	ds_load_b128 v[21:24], v90 offset:12304
	ds_load_b128 v[17:20], v90 offset:12288
	s_waitcnt lgkmcnt(6)
	v_wmma_f32_16x16x16_bf16 v[73:80], v[9:16], v[49:56], v[73:80]
	ds_load_b128 v[53:56], v90 offset:13328
	ds_load_b128 v[49:52], v90 offset:13312
	s_waitcnt lgkmcnt(6)
	;; [unrolled: 4-line block ×4, first 2 shown]
	v_wmma_f32_16x16x16_bf16 v[73:80], v[1:8], v[17:24], v[73:80]
	s_waitcnt lgkmcnt(4)
	s_delay_alu instid0(VALU_DEP_1) | instskip(SKIP_1) | instid1(VALU_DEP_1)
	v_wmma_f32_16x16x16_bf16 v[73:80], v[33:40], v[49:56], v[73:80]
	s_waitcnt lgkmcnt(2)
	v_wmma_f32_16x16x16_bf16 v[73:80], v[33:40], v[9:16], v[73:80]
	s_waitcnt lgkmcnt(0)
	s_delay_alu instid0(VALU_DEP_1) | instskip(NEXT) | instid1(VALU_DEP_1)
	v_wmma_f32_16x16x16_bf16 v[73:80], v[25:32], v[41:48], v[73:80]
	v_and_b32_e32 v1, 0x7f800000, v73
	s_delay_alu instid0(VALU_DEP_1) | instskip(SKIP_1) | instid1(SALU_CYCLE_1)
	v_cmp_ne_u32_e32 vcc_lo, 0x7f800000, v1
                                        ; implicit-def: $vgpr1
	s_and_saveexec_b32 s3, vcc_lo
	s_xor_b32 s3, exec_lo, s3
; %bb.78:
	v_bfe_u32 v1, v73, 16, 1
	s_delay_alu instid0(VALU_DEP_1)
	v_add3_u32 v1, v73, v1, 0x7fff
; %bb.79:
	s_and_not1_saveexec_b32 s3, s3
; %bb.80:
	v_and_b32_e32 v1, 0xffff, v73
	v_or_b32_e32 v2, 0x10000, v73
	s_delay_alu instid0(VALU_DEP_2) | instskip(NEXT) | instid1(VALU_DEP_2)
	v_cmp_eq_u32_e32 vcc_lo, 0, v1
	v_cndmask_b32_e32 v1, v2, v73, vcc_lo
; %bb.81:
	s_or_b32 exec_lo, exec_lo, s3
	v_and_b32_e32 v2, 0x7f800000, v74
	s_delay_alu instid0(VALU_DEP_1) | instskip(SKIP_1) | instid1(SALU_CYCLE_1)
	v_cmp_ne_u32_e32 vcc_lo, 0x7f800000, v2
                                        ; implicit-def: $vgpr2
	s_and_saveexec_b32 s3, vcc_lo
	s_xor_b32 s3, exec_lo, s3
; %bb.82:
	v_bfe_u32 v2, v74, 16, 1
	s_delay_alu instid0(VALU_DEP_1)
	v_add3_u32 v2, v74, v2, 0x7fff
; %bb.83:
	s_and_not1_saveexec_b32 s3, s3
; %bb.84:
	v_and_b32_e32 v2, 0xffff, v74
	v_or_b32_e32 v3, 0x10000, v74
	s_delay_alu instid0(VALU_DEP_2) | instskip(NEXT) | instid1(VALU_DEP_2)
	v_cmp_eq_u32_e32 vcc_lo, 0, v2
	v_cndmask_b32_e32 v2, v3, v74, vcc_lo
; %bb.85:
	s_or_b32 exec_lo, exec_lo, s3
	v_and_b32_e32 v3, 0x7f800000, v75
	s_delay_alu instid0(VALU_DEP_1) | instskip(SKIP_1) | instid1(SALU_CYCLE_1)
	v_cmp_ne_u32_e32 vcc_lo, 0x7f800000, v3
                                        ; implicit-def: $vgpr3
	s_and_saveexec_b32 s3, vcc_lo
	s_xor_b32 s3, exec_lo, s3
; %bb.86:
	v_bfe_u32 v3, v75, 16, 1
	s_delay_alu instid0(VALU_DEP_1)
	v_add3_u32 v3, v75, v3, 0x7fff
; %bb.87:
	s_and_not1_saveexec_b32 s3, s3
; %bb.88:
	v_and_b32_e32 v3, 0xffff, v75
	v_or_b32_e32 v4, 0x10000, v75
	s_delay_alu instid0(VALU_DEP_2) | instskip(NEXT) | instid1(VALU_DEP_2)
	v_cmp_eq_u32_e32 vcc_lo, 0, v3
	v_cndmask_b32_e32 v3, v4, v75, vcc_lo
; %bb.89:
	s_or_b32 exec_lo, exec_lo, s3
	v_and_b32_e32 v4, 0x7f800000, v76
	s_delay_alu instid0(VALU_DEP_1) | instskip(SKIP_1) | instid1(SALU_CYCLE_1)
	v_cmp_ne_u32_e32 vcc_lo, 0x7f800000, v4
                                        ; implicit-def: $vgpr4
	s_and_saveexec_b32 s3, vcc_lo
	s_xor_b32 s3, exec_lo, s3
; %bb.90:
	v_bfe_u32 v4, v76, 16, 1
	s_delay_alu instid0(VALU_DEP_1)
	v_add3_u32 v4, v76, v4, 0x7fff
; %bb.91:
	s_and_not1_saveexec_b32 s3, s3
; %bb.92:
	v_and_b32_e32 v4, 0xffff, v76
	v_or_b32_e32 v5, 0x10000, v76
	s_delay_alu instid0(VALU_DEP_2) | instskip(NEXT) | instid1(VALU_DEP_2)
	v_cmp_eq_u32_e32 vcc_lo, 0, v4
	v_cndmask_b32_e32 v4, v5, v76, vcc_lo
; %bb.93:
	s_or_b32 exec_lo, exec_lo, s3
	v_and_b32_e32 v5, 0x7f800000, v77
	s_delay_alu instid0(VALU_DEP_1) | instskip(SKIP_1) | instid1(SALU_CYCLE_1)
	v_cmp_ne_u32_e32 vcc_lo, 0x7f800000, v5
                                        ; implicit-def: $vgpr5
	s_and_saveexec_b32 s3, vcc_lo
	s_xor_b32 s3, exec_lo, s3
; %bb.94:
	v_bfe_u32 v5, v77, 16, 1
	s_delay_alu instid0(VALU_DEP_1)
	v_add3_u32 v5, v77, v5, 0x7fff
; %bb.95:
	s_and_not1_saveexec_b32 s3, s3
; %bb.96:
	v_and_b32_e32 v5, 0xffff, v77
	v_or_b32_e32 v6, 0x10000, v77
	s_delay_alu instid0(VALU_DEP_2) | instskip(NEXT) | instid1(VALU_DEP_2)
	v_cmp_eq_u32_e32 vcc_lo, 0, v5
	v_cndmask_b32_e32 v5, v6, v77, vcc_lo
; %bb.97:
	s_or_b32 exec_lo, exec_lo, s3
	v_and_b32_e32 v6, 0x7f800000, v78
	s_delay_alu instid0(VALU_DEP_1) | instskip(SKIP_1) | instid1(SALU_CYCLE_1)
	v_cmp_ne_u32_e32 vcc_lo, 0x7f800000, v6
                                        ; implicit-def: $vgpr6
	s_and_saveexec_b32 s3, vcc_lo
	s_xor_b32 s3, exec_lo, s3
; %bb.98:
	v_bfe_u32 v6, v78, 16, 1
	s_delay_alu instid0(VALU_DEP_1)
	v_add3_u32 v6, v78, v6, 0x7fff
; %bb.99:
	s_and_not1_saveexec_b32 s3, s3
; %bb.100:
	v_and_b32_e32 v6, 0xffff, v78
	v_or_b32_e32 v7, 0x10000, v78
	s_delay_alu instid0(VALU_DEP_2) | instskip(NEXT) | instid1(VALU_DEP_2)
	v_cmp_eq_u32_e32 vcc_lo, 0, v6
	v_cndmask_b32_e32 v6, v7, v78, vcc_lo
; %bb.101:
	s_or_b32 exec_lo, exec_lo, s3
	v_and_b32_e32 v7, 0x7f800000, v79
	s_delay_alu instid0(VALU_DEP_1) | instskip(SKIP_1) | instid1(SALU_CYCLE_1)
	v_cmp_ne_u32_e32 vcc_lo, 0x7f800000, v7
                                        ; implicit-def: $vgpr7
	s_and_saveexec_b32 s3, vcc_lo
	s_xor_b32 s3, exec_lo, s3
; %bb.102:
	v_bfe_u32 v7, v79, 16, 1
	s_delay_alu instid0(VALU_DEP_1)
	v_add3_u32 v7, v79, v7, 0x7fff
; %bb.103:
	s_and_not1_saveexec_b32 s3, s3
; %bb.104:
	v_and_b32_e32 v7, 0xffff, v79
	v_or_b32_e32 v8, 0x10000, v79
	s_delay_alu instid0(VALU_DEP_2) | instskip(NEXT) | instid1(VALU_DEP_2)
	v_cmp_eq_u32_e32 vcc_lo, 0, v7
	v_cndmask_b32_e32 v7, v8, v79, vcc_lo
; %bb.105:
	s_or_b32 exec_lo, exec_lo, s3
	v_and_b32_e32 v8, 0x7f800000, v80
	s_delay_alu instid0(VALU_DEP_1) | instskip(SKIP_1) | instid1(SALU_CYCLE_1)
	v_cmp_ne_u32_e32 vcc_lo, 0x7f800000, v8
                                        ; implicit-def: $vgpr8
	s_and_saveexec_b32 s3, vcc_lo
	s_xor_b32 s3, exec_lo, s3
; %bb.106:
	v_bfe_u32 v8, v80, 16, 1
	s_delay_alu instid0(VALU_DEP_1)
	v_add3_u32 v8, v80, v8, 0x7fff
                                        ; implicit-def: $vgpr73_vgpr74_vgpr75_vgpr76_vgpr77_vgpr78_vgpr79_vgpr80
; %bb.107:
	s_and_not1_saveexec_b32 s3, s3
; %bb.108:
	v_and_b32_e32 v8, 0xffff, v80
	v_or_b32_e32 v9, 0x10000, v80
	s_delay_alu instid0(VALU_DEP_2) | instskip(NEXT) | instid1(VALU_DEP_2)
	v_cmp_eq_u32_e32 vcc_lo, 0, v8
	v_cndmask_b32_e32 v8, v9, v80, vcc_lo
; %bb.109:
	s_or_b32 exec_lo, exec_lo, s3
	s_delay_alu instid0(VALU_DEP_1)
	v_perm_b32 v7, v8, v7, 0x7060302
	v_perm_b32 v6, v6, v5, 0x7060302
	v_perm_b32 v5, v4, v3, 0x7060302
	v_perm_b32 v4, v2, v1, 0x7060302
	v_lshl_or_b32 v9, v81, 4, v86
	s_barrier
	buffer_gl0_inv
	v_cmp_eq_u32_e32 vcc_lo, 1, v83
	ds_store_b128 v9, v[4:7]
	s_waitcnt lgkmcnt(0)
	s_barrier
	buffer_gl0_inv
	ds_load_b128 v[1:4], v86
	ds_load_b128 v[5:8], v86 offset:16
	v_cmp_eq_u32_e64 s4, 2, v83
	v_cmp_eq_u32_e64 s3, 1, v84
	;; [unrolled: 1-line block ×5, first 2 shown]
	s_waitcnt lgkmcnt(1)
	v_lshrrev_b32_e32 v10, 16, v1
	s_waitcnt lgkmcnt(0)
	v_lshrrev_b32_e32 v14, 16, v5
	v_lshrrev_b32_e32 v15, 16, v6
	;; [unrolled: 1-line block ×4, first 2 shown]
	v_cndmask_b32_e64 v20, v1, v10, s3
	v_cndmask_b32_e32 v19, v5, v14, vcc_lo
	v_cndmask_b32_e64 v21, v5, v14, s3
	v_lshrrev_b32_e32 v16, 16, v7
	v_cmp_eq_u32_e64 s3, 1, v82
	v_lshrrev_b32_e32 v13, 16, v4
	v_cndmask_b32_e64 v19, v19, v6, s4
	v_lshrrev_b32_e32 v17, 16, v8
	s_delay_alu instid0(VALU_DEP_4) | instskip(SKIP_1) | instid1(VALU_DEP_4)
	v_cndmask_b32_e64 v22, v1, v10, s3
	v_cndmask_b32_e64 v23, v5, v14, s3
	v_cndmask_b32_e64 v19, v19, v15, s5
	v_cndmask_b32_e32 v18, v1, v10, vcc_lo
	v_cmp_eq_u32_e32 vcc_lo, 2, v84
	v_cmp_eq_u32_e64 s3, 2, v85
	v_cndmask_b32_e64 v22, v22, v2, s7
	v_cndmask_b32_e32 v20, v20, v2, vcc_lo
	v_cndmask_b32_e32 v21, v21, v6, vcc_lo
	v_cmp_eq_u32_e32 vcc_lo, 4, v83
	v_cndmask_b32_e32 v19, v19, v7, vcc_lo
	v_cndmask_b32_e64 v18, v18, v2, s4
	v_cmp_eq_u32_e64 s4, 3, v84
	s_delay_alu instid0(VALU_DEP_2) | instskip(NEXT) | instid1(VALU_DEP_2)
	v_cndmask_b32_e64 v18, v18, v11, s5
	v_cndmask_b32_e64 v21, v21, v15, s4
	v_cmp_eq_u32_e64 s5, 5, v83
	s_delay_alu instid0(VALU_DEP_3) | instskip(SKIP_1) | instid1(VALU_DEP_3)
	v_cndmask_b32_e32 v18, v18, v3, vcc_lo
	v_cmp_eq_u32_e32 vcc_lo, 4, v84
	v_cndmask_b32_e64 v19, v19, v16, s5
	s_delay_alu instid0(VALU_DEP_3) | instskip(SKIP_4) | instid1(VALU_DEP_3)
	v_cndmask_b32_e64 v18, v18, v12, s5
	v_cndmask_b32_e32 v21, v21, v7, vcc_lo
	v_cndmask_b32_e64 v20, v20, v11, s4
	v_cmp_eq_u32_e64 s4, 5, v84
	v_cmp_eq_u32_e64 s5, 6, v83
	v_cndmask_b32_e32 v20, v20, v3, vcc_lo
	s_delay_alu instid0(VALU_DEP_3) | instskip(SKIP_1) | instid1(VALU_DEP_4)
	v_cndmask_b32_e64 v21, v21, v16, s4
	v_cmp_eq_u32_e32 vcc_lo, 6, v84
	v_cndmask_b32_e64 v18, v18, v4, s5
	v_cndmask_b32_e64 v19, v19, v8, s5
	;; [unrolled: 1-line block ×3, first 2 shown]
	v_cmp_eq_u32_e64 s4, 1, v85
	v_cmp_eq_u32_e64 s5, 7, v83
	s_delay_alu instid0(VALU_DEP_3) | instskip(NEXT) | instid1(VALU_DEP_3)
	v_cndmask_b32_e32 v20, v20, v4, vcc_lo
	v_cndmask_b32_e64 v1, v1, v10, s4
	v_cndmask_b32_e64 v5, v5, v14, s4
	v_cmp_eq_u32_e64 s4, 3, v82
	v_cndmask_b32_e64 v14, v23, v6, s7
	v_cmp_eq_u32_e64 s7, 3, v85
	v_cndmask_b32_e64 v1, v1, v2, s3
	v_cndmask_b32_e64 v2, v5, v6, s3
	;; [unrolled: 1-line block ×3, first 2 shown]
	v_cmp_eq_u32_e64 s3, 4, v82
	v_cndmask_b32_e64 v6, v14, v15, s4
	v_cndmask_b32_e64 v1, v1, v11, s7
	v_cmp_eq_u32_e64 s4, 4, v85
	v_cndmask_b32_e64 v2, v2, v15, s7
	v_cndmask_b32_e64 v5, v10, v3, s3
	;; [unrolled: 3-line block ×3, first 2 shown]
	v_cndmask_b32_e64 v2, v2, v7, s4
	v_cmp_eq_u32_e64 s3, 5, v85
	v_cndmask_b32_e64 v5, v5, v12, s7
	v_cndmask_b32_e64 v3, v6, v16, s7
	v_cmp_eq_u32_e64 s7, 6, v85
	v_cmp_eq_u32_e64 s4, 6, v82
	v_cndmask_b32_e64 v1, v1, v12, s3
	v_cndmask_b32_e64 v2, v2, v16, s3
	v_cmp_eq_u32_e64 s3, 7, v85
	v_cndmask_b32_e64 v18, v18, v13, s5
	v_cndmask_b32_e64 v5, v5, v4, s4
	;; [unrolled: 1-line block ×5, first 2 shown]
	v_cmp_eq_u32_e64 s4, 7, v82
	v_cndmask_b32_e32 v4, v21, v8, vcc_lo
	v_cndmask_b32_e64 v1, v1, v13, s3
	v_cndmask_b32_e64 v2, v2, v17, s3
	v_cmp_lt_u32_e32 vcc_lo, 31, v0
	v_cmp_lt_u32_e64 s3, 7, v89
	v_cndmask_b32_e64 v20, v20, v13, s6
	v_cndmask_b32_e64 v5, v5, v13, s4
	;; [unrolled: 1-line block ×5, first 2 shown]
	s_or_b32 s3, vcc_lo, s3
	v_perm_b32 v4, v2, v1, 0x5040100
	v_perm_b32 v3, v3, v5, 0x5040100
	;; [unrolled: 1-line block ×4, first 2 shown]
	s_or_b32 s2, s2, s3
	s_delay_alu instid0(SALU_CYCLE_1)
	s_xor_b32 s2, s2, -1
	ds_store_b128 v9, v[1:4]
	s_waitcnt lgkmcnt(0)
	s_barrier
	buffer_gl0_inv
	s_and_saveexec_b32 s3, s2
	s_cbranch_execz .LBB514_2
; %bb.110:
	s_load_b64 s[0:1], s[0:1], 0x68
	v_lshlrev_b32_e32 v1, 10, v0
	v_and_b32_e32 v0, 1, v0
	v_lshlrev_b32_e32 v2, 6, v81
	s_lshl_b32 s4, s36, 6
	v_lshlrev_b32_e32 v4, 3, v89
	v_and_b32_e32 v1, 0x3800, v1
	v_lshlrev_b32_e32 v0, 4, v0
	s_mul_i32 s2, s4, s34
	s_delay_alu instid0(SALU_CYCLE_1) | instskip(SKIP_1) | instid1(VALU_DEP_2)
	s_mul_i32 s2, s2, s37
	v_lshlrev_b32_e32 v4, 1, v4
	v_or3_b32 v0, v1, v2, v0
	s_ashr_i32 s3, s2, 31
	s_delay_alu instid0(SALU_CYCLE_1)
	s_lshl_b64 s[2:3], s[2:3], 1
	ds_load_b128 v[0:3], v0
	s_waitcnt lgkmcnt(0)
	s_add_u32 s5, s0, s2
	s_addc_u32 s3, s1, s3
	s_lshl_b32 s0, s14, 6
	s_mul_i32 s2, s4, s15
	s_ashr_i32 s1, s0, 31
	s_delay_alu instid0(SALU_CYCLE_1) | instskip(NEXT) | instid1(SALU_CYCLE_1)
	s_lshl_b64 s[0:1], s[0:1], 1
	s_add_u32 s4, s5, s0
	s_addc_u32 s5, s3, s1
	s_ashr_i32 s3, s2, 31
	s_delay_alu instid0(SALU_CYCLE_1) | instskip(NEXT) | instid1(SALU_CYCLE_1)
	s_lshl_b64 s[0:1], s[2:3], 1
	s_add_u32 s0, s4, s0
	s_addc_u32 s1, s5, s1
	global_store_b128 v4, v[0:3], s[0:1]
	s_nop 0
	s_sendmsg sendmsg(MSG_DEALLOC_VGPRS)
	s_endpgm
	.section	.rodata,"a",@progbits
	.p2align	6, 0x0
	.amdhsa_kernel _Z39paged_attention_ll4mi_QKV_mfma16_kernelI14__hip_bfloat16S0_LN4vllm18Fp8KVCacheDataTypeE0EhLi32ELi64ELi256ELb1ELi1EL8MFMAType0EEvPKT_PKT0_S9_ifPKiSB_SB_iPKfiiiPfSE_PS4_PT2_iSD_SD_
		.amdhsa_group_segment_fixed_size 17472
		.amdhsa_private_segment_fixed_size 0
		.amdhsa_kernarg_size 400
		.amdhsa_user_sgpr_count 13
		.amdhsa_user_sgpr_dispatch_ptr 0
		.amdhsa_user_sgpr_queue_ptr 0
		.amdhsa_user_sgpr_kernarg_segment_ptr 1
		.amdhsa_user_sgpr_dispatch_id 0
		.amdhsa_user_sgpr_private_segment_size 0
		.amdhsa_wavefront_size32 1
		.amdhsa_uses_dynamic_stack 0
		.amdhsa_enable_private_segment 0
		.amdhsa_system_sgpr_workgroup_id_x 1
		.amdhsa_system_sgpr_workgroup_id_y 1
		.amdhsa_system_sgpr_workgroup_id_z 1
		.amdhsa_system_sgpr_workgroup_info 0
		.amdhsa_system_vgpr_workitem_id 0
		.amdhsa_next_free_vgpr 138
		.amdhsa_next_free_sgpr 69
		.amdhsa_reserve_vcc 1
		.amdhsa_float_round_mode_32 0
		.amdhsa_float_round_mode_16_64 0
		.amdhsa_float_denorm_mode_32 3
		.amdhsa_float_denorm_mode_16_64 3
		.amdhsa_dx10_clamp 1
		.amdhsa_ieee_mode 1
		.amdhsa_fp16_overflow 0
		.amdhsa_workgroup_processor_mode 1
		.amdhsa_memory_ordered 1
		.amdhsa_forward_progress 0
		.amdhsa_shared_vgpr_count 0
		.amdhsa_exception_fp_ieee_invalid_op 0
		.amdhsa_exception_fp_denorm_src 0
		.amdhsa_exception_fp_ieee_div_zero 0
		.amdhsa_exception_fp_ieee_overflow 0
		.amdhsa_exception_fp_ieee_underflow 0
		.amdhsa_exception_fp_ieee_inexact 0
		.amdhsa_exception_int_div_zero 0
	.end_amdhsa_kernel
	.section	.text._Z39paged_attention_ll4mi_QKV_mfma16_kernelI14__hip_bfloat16S0_LN4vllm18Fp8KVCacheDataTypeE0EhLi32ELi64ELi256ELb1ELi1EL8MFMAType0EEvPKT_PKT0_S9_ifPKiSB_SB_iPKfiiiPfSE_PS4_PT2_iSD_SD_,"axG",@progbits,_Z39paged_attention_ll4mi_QKV_mfma16_kernelI14__hip_bfloat16S0_LN4vllm18Fp8KVCacheDataTypeE0EhLi32ELi64ELi256ELb1ELi1EL8MFMAType0EEvPKT_PKT0_S9_ifPKiSB_SB_iPKfiiiPfSE_PS4_PT2_iSD_SD_,comdat
.Lfunc_end514:
	.size	_Z39paged_attention_ll4mi_QKV_mfma16_kernelI14__hip_bfloat16S0_LN4vllm18Fp8KVCacheDataTypeE0EhLi32ELi64ELi256ELb1ELi1EL8MFMAType0EEvPKT_PKT0_S9_ifPKiSB_SB_iPKfiiiPfSE_PS4_PT2_iSD_SD_, .Lfunc_end514-_Z39paged_attention_ll4mi_QKV_mfma16_kernelI14__hip_bfloat16S0_LN4vllm18Fp8KVCacheDataTypeE0EhLi32ELi64ELi256ELb1ELi1EL8MFMAType0EEvPKT_PKT0_S9_ifPKiSB_SB_iPKfiiiPfSE_PS4_PT2_iSD_SD_
                                        ; -- End function
	.section	.AMDGPU.csdata,"",@progbits
; Kernel info:
; codeLenInByte = 9120
; NumSgprs: 71
; NumVgprs: 138
; ScratchSize: 0
; MemoryBound: 1
; FloatMode: 240
; IeeeMode: 1
; LDSByteSize: 17472 bytes/workgroup (compile time only)
; SGPRBlocks: 8
; VGPRBlocks: 17
; NumSGPRsForWavesPerEU: 71
; NumVGPRsForWavesPerEU: 138
; Occupancy: 10
; WaveLimiterHint : 1
; COMPUTE_PGM_RSRC2:SCRATCH_EN: 0
; COMPUTE_PGM_RSRC2:USER_SGPR: 13
; COMPUTE_PGM_RSRC2:TRAP_HANDLER: 0
; COMPUTE_PGM_RSRC2:TGID_X_EN: 1
; COMPUTE_PGM_RSRC2:TGID_Y_EN: 1
; COMPUTE_PGM_RSRC2:TGID_Z_EN: 1
; COMPUTE_PGM_RSRC2:TIDIG_COMP_CNT: 0
	.section	.text._Z39paged_attention_ll4mi_QKV_mfma16_kernelI14__hip_bfloat16S0_LN4vllm18Fp8KVCacheDataTypeE0EhLi32ELi64ELi256ELb1ELi2EL8MFMAType0EEvPKT_PKT0_S9_ifPKiSB_SB_iPKfiiiPfSE_PS4_PT2_iSD_SD_,"axG",@progbits,_Z39paged_attention_ll4mi_QKV_mfma16_kernelI14__hip_bfloat16S0_LN4vllm18Fp8KVCacheDataTypeE0EhLi32ELi64ELi256ELb1ELi2EL8MFMAType0EEvPKT_PKT0_S9_ifPKiSB_SB_iPKfiiiPfSE_PS4_PT2_iSD_SD_,comdat
	.protected	_Z39paged_attention_ll4mi_QKV_mfma16_kernelI14__hip_bfloat16S0_LN4vllm18Fp8KVCacheDataTypeE0EhLi32ELi64ELi256ELb1ELi2EL8MFMAType0EEvPKT_PKT0_S9_ifPKiSB_SB_iPKfiiiPfSE_PS4_PT2_iSD_SD_ ; -- Begin function _Z39paged_attention_ll4mi_QKV_mfma16_kernelI14__hip_bfloat16S0_LN4vllm18Fp8KVCacheDataTypeE0EhLi32ELi64ELi256ELb1ELi2EL8MFMAType0EEvPKT_PKT0_S9_ifPKiSB_SB_iPKfiiiPfSE_PS4_PT2_iSD_SD_
	.globl	_Z39paged_attention_ll4mi_QKV_mfma16_kernelI14__hip_bfloat16S0_LN4vllm18Fp8KVCacheDataTypeE0EhLi32ELi64ELi256ELb1ELi2EL8MFMAType0EEvPKT_PKT0_S9_ifPKiSB_SB_iPKfiiiPfSE_PS4_PT2_iSD_SD_
	.p2align	8
	.type	_Z39paged_attention_ll4mi_QKV_mfma16_kernelI14__hip_bfloat16S0_LN4vllm18Fp8KVCacheDataTypeE0EhLi32ELi64ELi256ELb1ELi2EL8MFMAType0EEvPKT_PKT0_S9_ifPKiSB_SB_iPKfiiiPfSE_PS4_PT2_iSD_SD_,@function
_Z39paged_attention_ll4mi_QKV_mfma16_kernelI14__hip_bfloat16S0_LN4vllm18Fp8KVCacheDataTypeE0EhLi32ELi64ELi256ELb1ELi2EL8MFMAType0EEvPKT_PKT0_S9_ifPKiSB_SB_iPKfiiiPfSE_PS4_PT2_iSD_SD_: ; @_Z39paged_attention_ll4mi_QKV_mfma16_kernelI14__hip_bfloat16S0_LN4vllm18Fp8KVCacheDataTypeE0EhLi32ELi64ELi256ELb1ELi2EL8MFMAType0EEvPKT_PKT0_S9_ifPKiSB_SB_iPKfiiiPfSE_PS4_PT2_iSD_SD_
; %bb.0:
	s_load_b64 s[2:3], s[0:1], 0x30
	s_mov_b32 s30, s13
	s_waitcnt lgkmcnt(0)
	s_cmp_lg_u64 s[2:3], 0
	s_cselect_b32 s6, -1, 0
	s_ashr_i32 s31, s13, 31
	s_cmp_eq_u64 s[2:3], 0
	s_cbranch_scc1 .LBB515_3
; %bb.1:
	s_lshl_b64 s[4:5], s[30:31], 2
	s_delay_alu instid0(SALU_CYCLE_1) | instskip(SKIP_4) | instid1(SALU_CYCLE_1)
	s_add_u32 s4, s2, s4
	s_addc_u32 s5, s3, s5
	s_load_b64 s[4:5], s[4:5], 0x0
	s_waitcnt lgkmcnt(0)
	s_sub_i32 s4, s5, s4
	s_cmp_eq_u32 s4, 1
	s_cselect_b32 s4, -1, 0
	s_delay_alu instid0(SALU_CYCLE_1)
	s_and_not1_b32 vcc_lo, exec_lo, s4
	s_cbranch_vccz .LBB515_4
.LBB515_2:
	s_endpgm
.LBB515_3:
.LBB515_4:
	s_load_b64 s[8:9], s[0:1], 0x28
	s_lshl_b64 s[4:5], s[30:31], 2
	s_waitcnt lgkmcnt(0)
	s_add_u32 s8, s8, s4
	s_addc_u32 s9, s9, s5
	s_lshl_b32 s16, s14, 8
	s_load_b32 s17, s[8:9], 0x0
	s_waitcnt lgkmcnt(0)
	s_cmp_ge_i32 s16, s17
	s_cbranch_scc1 .LBB515_2
; %bb.5:
	s_and_not1_b32 vcc_lo, exec_lo, s6
	s_cbranch_vccnz .LBB515_7
; %bb.6:
	s_add_u32 s2, s2, s4
	s_addc_u32 s3, s3, s5
	s_load_b32 s3, s[2:3], 0x0
	s_branch .LBB515_8
.LBB515_7:
	s_mov_b32 s3, s30
.LBB515_8:
	s_clause 0x2
	s_load_b128 s[8:11], s[0:1], 0x8
	s_load_b64 s[12:13], s[0:1], 0x20
	s_load_b128 s[4:7], s[0:1], 0x48
	v_and_b32_e32 v73, 15, v0
	v_cmp_gt_u32_e32 vcc_lo, 32, v0
	v_bfe_u32 v86, v0, 4, 1
	s_lshl_b32 s31, s15, 1
	s_delay_alu instid0(VALU_DEP_3) | instskip(SKIP_1) | instid1(VALU_DEP_2)
	v_cmp_gt_u32_e64 s2, 8, v73
	v_lshlrev_b32_e32 v1, 3, v73
	s_and_b32 s29, vcc_lo, s2
	s_delay_alu instid0(SALU_CYCLE_1) | instskip(SKIP_2) | instid1(SALU_CYCLE_1)
	s_xor_b32 s2, s29, -1
	s_waitcnt lgkmcnt(0)
	s_and_saveexec_b32 s7, s2
	s_xor_b32 s2, exec_lo, s7
; %bb.9:
	v_mov_b32_e32 v2, 0
; %bb.10:
	s_or_saveexec_b32 s2, s2
	v_and_b32_e32 v74, 31, v0
	v_and_b32_e32 v85, 1, v0
	v_or_b32_e32 v84, s31, v86
	v_lshlrev_b32_e32 v83, 6, v86
	s_xor_b32 exec_lo, exec_lo, s2
	s_cbranch_execz .LBB515_12
; %bb.11:
	s_load_b64 s[18:19], s[0:1], 0x0
	v_lshlrev_b32_e32 v2, 6, v84
	s_mul_hi_i32 s21, s3, s4
	s_mul_i32 s20, s3, s4
	v_lshlrev_b32_e32 v4, 1, v1
	s_lshl_b64 s[20:21], s[20:21], 1
	v_ashrrev_i32_e32 v3, 31, v2
	v_lshlrev_b32_e32 v7, 10, v85
	s_delay_alu instid0(VALU_DEP_2) | instskip(SKIP_3) | instid1(VALU_DEP_1)
	v_lshlrev_b64 v[2:3], 1, v[2:3]
	s_waitcnt lgkmcnt(0)
	s_add_u32 s3, s18, s20
	s_addc_u32 s4, s19, s21
	v_add_co_u32 v2, vcc_lo, s3, v2
	s_delay_alu instid0(VALU_DEP_2) | instskip(NEXT) | instid1(VALU_DEP_2)
	v_add_co_ci_u32_e32 v3, vcc_lo, s4, v3, vcc_lo
	v_add_co_u32 v2, vcc_lo, v2, v4
	s_delay_alu instid0(VALU_DEP_2) | instskip(SKIP_2) | instid1(VALU_DEP_1)
	v_add_co_ci_u32_e32 v3, vcc_lo, 0, v3, vcc_lo
	global_load_b128 v[3:6], v[2:3], off
	v_lshlrev_b32_e32 v2, 10, v73
	v_and_b32_e32 v2, 0x3800, v2
	s_delay_alu instid0(VALU_DEP_1)
	v_or3_b32 v7, v2, v7, v83
	v_mov_b32_e32 v2, 0
	s_waitcnt vmcnt(0)
	ds_store_b128 v7, v[3:6]
.LBB515_12:
	s_or_b32 exec_lo, exec_lo, s2
	v_and_b32_e32 v3, 0xef, v0
	s_add_i32 s3, s17, 31
	s_clause 0x1
	s_load_b32 s2, s[0:1], 0x38
	s_load_b32 s18, s[0:1], 0x1c
	s_ashr_i32 s4, s3, 31
	v_add_nc_u32_e32 v3, s16, v3
	s_lshr_b32 s4, s4, 27
	s_waitcnt lgkmcnt(0)
	s_add_i32 s3, s3, s4
	s_barrier
	v_ashrrev_i32_e32 v4, 31, v3
	v_cmp_gt_i32_e32 vcc_lo, s17, v3
	s_ashr_i32 s4, s3, 5
	buffer_gl0_inv
	s_add_i32 s4, s4, -1
	v_lshrrev_b32_e32 v5, 27, v4
	v_or_b32_e32 v4, 16, v3
	v_lshlrev_b64 v[81:82], 1, v[1:2]
	v_lshrrev_b32_e32 v75, 5, v0
	v_lshlrev_b32_e32 v78, 6, v85
	v_add_nc_u32_e32 v6, v3, v5
	v_add_nc_u32_e32 v5, v4, v5
	s_mul_i32 s2, s30, s2
	s_delay_alu instid0(SALU_CYCLE_1) | instskip(NEXT) | instid1(VALU_DEP_2)
	s_ashr_i32 s3, s2, 31
	v_ashrrev_i32_e32 v6, 5, v6
	s_delay_alu instid0(VALU_DEP_2) | instskip(SKIP_1) | instid1(SALU_CYCLE_1)
	v_ashrrev_i32_e32 v5, 5, v5
	s_lshl_b64 s[2:3], s[2:3], 2
	s_add_u32 s19, s12, s2
	s_delay_alu instid0(VALU_DEP_2) | instskip(SKIP_3) | instid1(SALU_CYCLE_1)
	v_cndmask_b32_e32 v3, s4, v6, vcc_lo
	v_cmp_gt_i32_e32 vcc_lo, s17, v4
	s_addc_u32 s28, s13, s3
	s_mul_i32 s2, s15, s6
	s_ashr_i32 s3, s2, 31
	v_cndmask_b32_e32 v5, s4, v5, vcc_lo
	v_ashrrev_i32_e32 v4, 31, v3
	s_lshl_b64 s[2:3], s[2:3], 1
	s_delay_alu instid0(SALU_CYCLE_1) | instskip(NEXT) | instid1(VALU_DEP_2)
	s_add_u32 s15, s8, s2
	v_ashrrev_i32_e32 v6, 31, v5
	s_delay_alu instid0(VALU_DEP_2) | instskip(SKIP_2) | instid1(VALU_DEP_2)
	v_lshlrev_b64 v[3:4], 2, v[3:4]
	s_addc_u32 s26, s9, s3
	s_lshl_b32 s6, s14, 3
	v_lshlrev_b64 v[5:6], 2, v[5:6]
	s_ashr_i32 s7, s6, 31
	s_delay_alu instid0(VALU_DEP_2) | instskip(SKIP_1) | instid1(VALU_DEP_3)
	v_add_co_u32 v3, vcc_lo, s19, v3
	v_add_co_ci_u32_e32 v4, vcc_lo, s28, v4, vcc_lo
	v_add_co_u32 v5, vcc_lo, s19, v5
	s_delay_alu instid0(VALU_DEP_4)
	v_add_co_ci_u32_e32 v6, vcc_lo, s28, v6, vcc_lo
	s_lshl_b64 s[6:7], s[6:7], 2
	s_clause 0x1
	global_load_b32 v7, v[3:4], off
	global_load_b32 v8, v[5:6], off
	s_add_u32 s6, s19, s6
	s_addc_u32 s7, s28, s7
	s_or_b32 s8, s16, 32
	s_delay_alu instid0(SALU_CYCLE_1) | instskip(SKIP_2) | instid1(SALU_CYCLE_1)
	s_ashr_i32 s9, s8, 5
	s_cmp_lt_i32 s8, s17
	s_cselect_b32 s8, s9, s4
	s_ashr_i32 s9, s8, 31
	s_delay_alu instid0(SALU_CYCLE_1) | instskip(NEXT) | instid1(SALU_CYCLE_1)
	s_lshl_b64 s[8:9], s[8:9], 2
	s_add_u32 s8, s19, s8
	s_addc_u32 s9, s28, s9
	s_or_b32 s12, s16, 64
	s_delay_alu instid0(SALU_CYCLE_1) | instskip(SKIP_2) | instid1(SALU_CYCLE_1)
	s_ashr_i32 s13, s12, 5
	s_cmp_lt_i32 s12, s17
	s_cselect_b32 s12, s13, s4
	s_ashr_i32 s13, s12, 31
	s_delay_alu instid0(SALU_CYCLE_1) | instskip(NEXT) | instid1(SALU_CYCLE_1)
	s_lshl_b64 s[12:13], s[12:13], 2
	;; [unrolled: 10-line block ×5, first 2 shown]
	s_add_u32 s24, s19, s24
	s_addc_u32 s25, s28, s25
	s_clause 0x5
	s_load_b32 s33, s[6:7], 0x0
	s_load_b32 s34, s[8:9], 0x0
	;; [unrolled: 1-line block ×6, first 2 shown]
	s_or_b32 s6, s16, 0xc0
	s_mov_b32 s20, 0
	s_ashr_i32 s7, s6, 5
	s_cmp_lt_i32 s6, s17
	s_mov_b32 s27, s20
	s_cselect_b32 s6, s7, s4
	s_mov_b32 s21, s20
	s_ashr_i32 s7, s6, 31
	s_mov_b32 s22, s20
	s_lshl_b64 s[6:7], s[6:7], 2
	s_mov_b32 s23, s20
	s_add_u32 s6, s19, s6
	s_addc_u32 s7, s28, s7
	s_or_b32 s12, s16, 0xe0
	s_mov_b32 s24, s20
	s_mov_b32 s25, s20
	s_waitcnt lgkmcnt(0)
	s_mul_hi_i32 s9, s33, s5
	s_mul_i32 s8, s33, s5
	s_mul_hi_i32 s13, s34, s5
	s_waitcnt vmcnt(1)
	v_mad_i64_i32 v[3:4], null, v7, s5, 0
	s_waitcnt vmcnt(0)
	v_mad_i64_i32 v[5:6], null, v8, s5, 0
	s_delay_alu instid0(VALU_DEP_2) | instskip(NEXT) | instid1(VALU_DEP_2)
	v_lshlrev_b64 v[3:4], 1, v[3:4]
	v_lshlrev_b64 v[1:2], 1, v[5:6]
	s_delay_alu instid0(VALU_DEP_2) | instskip(NEXT) | instid1(VALU_DEP_3)
	v_add_co_u32 v3, vcc_lo, s15, v3
	v_add_co_ci_u32_e32 v4, vcc_lo, s26, v4, vcc_lo
	s_delay_alu instid0(VALU_DEP_3) | instskip(NEXT) | instid1(VALU_DEP_4)
	v_add_co_u32 v1, vcc_lo, s15, v1
	v_add_co_ci_u32_e32 v2, vcc_lo, s26, v2, vcc_lo
	s_delay_alu instid0(VALU_DEP_4) | instskip(NEXT) | instid1(VALU_DEP_4)
	v_add_co_u32 v41, vcc_lo, v3, v81
	v_add_co_ci_u32_e32 v42, vcc_lo, v4, v82, vcc_lo
	s_delay_alu instid0(VALU_DEP_4) | instskip(NEXT) | instid1(VALU_DEP_4)
	v_add_co_u32 v43, vcc_lo, v1, v81
	v_add_co_ci_u32_e32 v44, vcc_lo, v2, v82, vcc_lo
	s_clause 0xf
	global_load_b128 v[1:4], v[41:42], off
	global_load_b128 v[5:8], v[41:42], off offset:512
	global_load_b128 v[9:12], v[43:44], off offset:256
	;; [unrolled: 1-line block ×15, first 2 shown]
	s_ashr_i32 s15, s12, 5
	s_mov_b32 s26, s20
	s_cmp_lt_i32 s12, s17
	v_mov_b32_e32 v119, s27
	v_dual_mov_b32 v112, s20 :: v_dual_lshlrev_b32 v87, 6, v73
	v_dual_mov_b32 v118, s26 :: v_dual_mov_b32 v117, s25
	v_dual_mov_b32 v116, s24 :: v_dual_mov_b32 v115, s23
	;; [unrolled: 1-line block ×3, first 2 shown]
	s_cselect_b32 s20, s15, s4
	v_lshl_or_b32 v49, v75, 10, v87
	s_ashr_i32 s21, s20, 31
	ds_load_b128 v[41:44], v78
	ds_load_b128 v[45:48], v78 offset:1024
	s_lshl_b64 s[20:21], s[20:21], 2
	ds_load_b128 v[120:123], v78 offset:2048
	ds_load_b128 v[124:127], v78 offset:3072
	s_add_u32 s20, s19, s20
	s_addc_u32 s21, s28, s21
	s_add_i32 s15, s16, 0x100
	ds_load_b128 v[128:131], v78 offset:4096
	ds_load_b128 v[132:135], v78 offset:5120
	s_ashr_i32 s26, s15, 5
	s_cmp_lt_i32 s15, s17
	s_load_b32 s15, s[6:7], 0x0
	s_cselect_b32 s26, s26, s4
	s_mul_i32 s12, s34, s5
	s_ashr_i32 s27, s26, 31
	s_mul_hi_i32 s23, s35, s5
	s_lshl_b64 s[26:27], s[26:27], 2
	s_mul_i32 s22, s35, s5
	s_add_u32 s26, s19, s26
	s_addc_u32 s27, s28, s27
	s_add_u32 s4, s10, s2
	s_clause 0x1
	s_load_b32 s19, s[20:21], 0x0
	s_load_b32 s26, s[26:27], 0x0
	s_addc_u32 s27, s11, s3
	v_add_co_u32 v79, s4, s4, v49
	s_delay_alu instid0(VALU_DEP_1) | instskip(SKIP_2) | instid1(VALU_DEP_2)
	v_add_co_ci_u32_e64 v80, null, s27, 0, s4
	s_lshl_b64 s[2:3], s[8:9], 1
	s_lshl_b64 s[8:9], s[12:13], 1
	v_add_co_u32 v49, vcc_lo, v79, s2
	s_delay_alu instid0(VALU_DEP_2)
	v_add_co_ci_u32_e32 v50, vcc_lo, s3, v80, vcc_lo
	v_add_co_u32 v51, vcc_lo, v79, s8
	s_lshl_b64 s[10:11], s[22:23], 1
	s_mul_hi_i32 s25, s36, s5
	s_mul_i32 s24, s36, s5
	v_add_co_ci_u32_e32 v52, vcc_lo, s9, v80, vcc_lo
	v_add_co_u32 v53, vcc_lo, v79, s10
	s_lshl_b64 s[12:13], s[24:25], 1
	s_mul_hi_i32 s7, s37, s5
	s_mul_i32 s6, s37, s5
	v_add_co_ci_u32_e32 v54, vcc_lo, s11, v80, vcc_lo
	v_add_co_u32 v76, vcc_lo, v79, s12
	s_lshl_b64 s[6:7], s[6:7], 1
	s_mul_hi_i32 s35, s38, s5
	s_mul_i32 s34, s38, s5
	v_add_co_ci_u32_e32 v77, vcc_lo, s13, v80, vcc_lo
	s_lshl_b64 s[20:21], s[34:35], 1
	s_waitcnt lgkmcnt(0)
	s_mul_hi_i32 s23, s15, s5
	s_mul_i32 s22, s15, s5
	s_mul_hi_i32 s3, s19, s5
	s_lshl_b64 s[22:23], s[22:23], 1
	s_mul_i32 s2, s19, s5
	s_clause 0x3
	global_load_b128 v[65:68], v[49:50], off
	global_load_b128 v[69:72], v[49:50], off offset:16
	global_load_b128 v[57:60], v[51:52], off
	global_load_b128 v[61:64], v[51:52], off offset:16
	s_lshl_b64 s[2:3], s[2:3], 1
	s_clause 0x1
	global_load_b128 v[49:52], v[53:54], off
	global_load_b128 v[53:56], v[53:54], off offset:16
	s_waitcnt vmcnt(20)
	v_wmma_f32_16x16x16_bf16 v[136:143], v[1:8], v[41:48], v[112:119]
	v_add_co_u32 v1, vcc_lo, v79, s6
	v_add_co_ci_u32_e32 v2, vcc_lo, s7, v80, vcc_lo
	v_add_co_u32 v5, vcc_lo, v79, s20
	v_add_co_ci_u32_e32 v6, vcc_lo, s21, v80, vcc_lo
	s_waitcnt vmcnt(16)
	v_wmma_f32_16x16x16_bf16 v[136:143], v[17:24], v[120:127], v[136:143]
	v_add_co_u32 v17, vcc_lo, v79, s22
	v_add_co_ci_u32_e32 v18, vcc_lo, s23, v80, vcc_lo
	v_add_co_u32 v19, vcc_lo, v79, s2
	v_add_co_ci_u32_e32 v20, vcc_lo, s3, v80, vcc_lo
	s_mul_hi_i32 s3, s26, s5
	s_mul_i32 s2, s26, s5
	v_wmma_f32_16x16x16_bf16 v[112:119], v[9:16], v[41:48], v[112:119]
	s_lshl_b64 s[2:3], s[2:3], 1
	s_clause 0x3
	global_load_b128 v[41:44], v[76:77], off
	global_load_b128 v[45:48], v[76:77], off offset:16
	global_load_b128 v[9:12], v[1:2], off
	global_load_b128 v[13:16], v[1:2], off offset:16
	v_add_co_u32 v21, vcc_lo, v79, s2
	s_waitcnt vmcnt(18)
	v_wmma_f32_16x16x16_bf16 v[112:119], v[25:32], v[120:127], v[112:119]
	v_add_co_ci_u32_e32 v22, vcc_lo, s3, v80, vcc_lo
	s_waitcnt vmcnt(16)
	v_wmma_f32_16x16x16_bf16 v[136:143], v[33:40], v[128:135], v[136:143]
	s_clause 0x5
	global_load_b128 v[1:4], v[5:6], off
	global_load_b128 v[5:8], v[5:6], off offset:16
	global_load_b128 v[33:36], v[17:18], off
	global_load_b128 v[37:40], v[17:18], off offset:16
	;; [unrolled: 2-line block ×3, first 2 shown]
	s_waitcnt vmcnt(20)
	v_wmma_f32_16x16x16_bf16 v[112:119], v[88:95], v[128:135], v[112:119]
	ds_load_b128 v[88:91], v78 offset:6144
	ds_load_b128 v[92:95], v78 offset:7168
	s_clause 0x1
	global_load_b128 v[17:20], v[21:22], off
	global_load_b128 v[21:24], v[21:22], off offset:16
	v_and_b32_e32 v76, 0xe0, v0
	v_mbcnt_lo_u32_b32 v77, -1, 0
	s_waitcnt vmcnt(0) lgkmcnt(0)
	s_barrier
	buffer_gl0_inv
	v_add_nc_u32_e32 v76, s16, v76
	v_xor_b32_e32 v78, 16, v77
	s_delay_alu instid0(VALU_DEP_2) | instskip(NEXT) | instid1(VALU_DEP_2)
	v_or_b32_e32 v76, v76, v86
	v_cmp_gt_i32_e32 vcc_lo, 32, v78
	s_delay_alu instid0(VALU_DEP_2)
	v_or_b32_e32 v79, 4, v76
	v_or_b32_e32 v80, 6, v76
	v_wmma_f32_16x16x16_bf16 v[136:143], v[96:103], v[88:95], v[136:143]
	v_cndmask_b32_e32 v77, v77, v78, vcc_lo
	v_or_b32_e32 v78, 2, v76
	v_cmp_gt_i32_e32 vcc_lo, s17, v76
	v_wmma_f32_16x16x16_bf16 v[112:119], v[104:111], v[88:95], v[112:119]
	v_mul_f32_e32 v100, s18, v137
	v_mul_f32_e32 v98, s18, v136
	v_cmp_gt_i32_e64 s2, s17, v78
	v_or_b32_e32 v88, 8, v76
	v_or_b32_e32 v89, 10, v76
	;; [unrolled: 1-line block ×12, first 2 shown]
	v_cndmask_b32_e32 v76, 0xff7fffff, v98, vcc_lo
	v_cndmask_b32_e64 v78, 0xff7fffff, v100, s2
	v_mul_f32_e32 v100, s18, v139
	v_cmp_gt_i32_e64 s3, s17, v80
	v_mul_f32_e32 v80, s18, v138
	v_cmp_gt_i32_e64 s4, s17, v79
	v_dual_mul_f32 v98, s18, v143 :: v_dual_mul_f32 v79, s18, v141
	v_cmp_gt_i32_e64 s5, s17, v88
	v_cmp_gt_i32_e64 s6, s17, v89
	s_delay_alu instid0(VALU_DEP_4)
	v_cndmask_b32_e64 v80, 0xff7fffff, v80, s4
	v_mul_f32_e32 v89, s18, v118
	v_cndmask_b32_e64 v100, 0xff7fffff, v100, s3
	v_cmp_gt_i32_e64 s7, s17, v91
	v_cmp_gt_i32_e64 s8, s17, v90
	;; [unrolled: 1-line block ×10, first 2 shown]
	v_lshlrev_b32_e32 v101, 2, v77
	v_max3_f32 v76, v76, 0xff7fffff, v78
	v_dual_mul_f32 v78, s18, v140 :: v_dual_mul_f32 v91, s18, v113
	v_cndmask_b32_e64 v79, 0xff7fffff, v79, s6
	v_mul_f32_e32 v90, s18, v112
	s_delay_alu instid0(VALU_DEP_4) | instskip(NEXT) | instid1(VALU_DEP_4)
	v_max3_f32 v76, v76, v80, v100
	v_cndmask_b32_e64 v78, 0xff7fffff, v78, s5
	v_mul_f32_e32 v80, s18, v142
	v_cndmask_b32_e64 v98, 0xff7fffff, v98, s7
	v_mul_f32_e32 v92, s18, v114
	v_cndmask_b32_e64 v90, 0xff7fffff, v90, s9
	v_max3_f32 v76, v76, v78, v79
	v_cndmask_b32_e64 v80, 0xff7fffff, v80, s8
	v_mul_f32_e32 v79, s18, v115
	v_cndmask_b32_e64 v91, 0xff7fffff, v91, s10
	v_mul_f32_e32 v100, s18, v117
	v_mul_f32_e32 v78, s18, v116
	v_max3_f32 v76, v76, v80, v98
	v_cndmask_b32_e64 v80, 0xff7fffff, v92, s11
	v_cndmask_b32_e64 v79, 0xff7fffff, v79, s12
	v_mul_f32_e32 v88, s18, v119
	v_cndmask_b32_e64 v78, 0xff7fffff, v78, s13
	v_max3_f32 v76, v76, v90, v91
	v_cndmask_b32_e64 v90, 0xff7fffff, v100, s15
	s_delay_alu instid0(VALU_DEP_2) | instskip(SKIP_2) | instid1(VALU_DEP_3)
	v_max3_f32 v76, v76, v80, v79
	v_cndmask_b32_e64 v79, 0xff7fffff, v89, s16
	v_cndmask_b32_e64 v80, 0xff7fffff, v88, s17
	v_max3_f32 v76, v76, v78, v90
	s_delay_alu instid0(VALU_DEP_1) | instskip(SKIP_3) | instid1(VALU_DEP_1)
	v_max3_f32 v76, v76, v79, v80
	ds_bpermute_b32 v77, v101, v76
	s_waitcnt lgkmcnt(0)
	v_max_f32_e32 v77, v77, v77
	v_max_f32_e32 v91, v76, v77
	s_delay_alu instid0(VALU_DEP_1)
	v_fma_f32 v77, s18, v137, -v91
	v_fma_f32 v78, s18, v138, -v91
	;; [unrolled: 1-line block ×5, first 2 shown]
	v_mul_f32_e32 v77, 0x3fb8aa3b, v77
	v_fma_f32 v88, s18, v142, -v91
	v_fma_f32 v89, s18, v116, -v91
	v_mul_f32_e32 v79, 0x3fb8aa3b, v79
	v_fma_f32 v100, s18, v118, -v91
	v_exp_f32_e32 v77, v77
	s_delay_alu instid0(VALU_DEP_3) | instskip(NEXT) | instid1(VALU_DEP_3)
	v_dual_mul_f32 v88, 0x3fb8aa3b, v88 :: v_dual_mul_f32 v89, 0x3fb8aa3b, v89
	v_exp_f32_e32 v79, v79
	v_fma_f32 v102, s18, v119, -v91
	s_delay_alu instid0(VALU_DEP_2) | instskip(NEXT) | instid1(VALU_DEP_2)
	v_exp_f32_e32 v88, v88
	v_exp_f32_e32 v89, v89
	s_delay_alu instid0(VALU_DEP_1) | instskip(SKIP_3) | instid1(TRANS32_DEP_3)
	v_mul_f32_e32 v102, 0x3fb8aa3b, v102
	v_cndmask_b32_e64 v92, 0, v77, s2
	v_mul_f32_e32 v78, 0x3fb8aa3b, v78
	s_mov_b32 s2, exec_lo
	v_cndmask_b32_e64 v96, 0, v79, s3
	v_fma_f32 v79, s18, v112, -v91
	v_mul_f32_e32 v80, 0x3fb8aa3b, v80
	v_exp_f32_e32 v78, v78
	v_cndmask_b32_e64 v95, 0, v88, s8
	v_fma_f32 v88, s18, v115, -v91
	v_mul_f32_e32 v79, 0x3fb8aa3b, v79
	v_exp_f32_e32 v80, v80
	v_exp_f32_e32 v102, v102
	s_delay_alu instid0(VALU_DEP_2) | instskip(NEXT) | instid1(VALU_DEP_2)
	v_mul_f32_e32 v88, 0x3fb8aa3b, v88
	v_exp_f32_e32 v79, v79
	v_cndmask_b32_e64 v94, 0, v78, s4
	v_mul_f32_e32 v76, 0x3fb8aa3b, v76
	v_fma_f32 v78, s18, v143, -v91
	v_exp_f32_e32 v88, v88
	v_cndmask_b32_e64 v97, 0, v80, s5
	v_fma_f32 v80, s18, v113, -v91
	v_exp_f32_e32 v76, v76
	s_delay_alu instid0(VALU_DEP_1) | instskip(NEXT) | instid1(VALU_DEP_1)
	v_mul_f32_e32 v80, 0x3fb8aa3b, v80
	v_exp_f32_e32 v80, v80
	s_waitcnt_depctr 0xfff
	v_cndmask_b32_e32 v93, 0, v76, vcc_lo
	v_fma_f32 v76, s18, v141, -v91
	s_delay_alu instid0(VALU_DEP_1) | instskip(NEXT) | instid1(VALU_DEP_1)
	v_dual_add_f32 v77, 0, v93 :: v_dual_mul_f32 v76, 0x3fb8aa3b, v76
	v_add_f32_e32 v77, v77, v92
	s_delay_alu instid0(VALU_DEP_2) | instskip(NEXT) | instid1(VALU_DEP_1)
	v_exp_f32_e32 v76, v76
	v_add_f32_e32 v77, v77, v94
	s_delay_alu instid0(VALU_DEP_1) | instskip(NEXT) | instid1(VALU_DEP_1)
	v_dual_mul_f32 v78, 0x3fb8aa3b, v78 :: v_dual_add_f32 v77, v77, v96
	v_exp_f32_e32 v78, v78
	s_waitcnt_depctr 0xfff
	v_cndmask_b32_e64 v98, 0, v76, s6
	v_add_f32_e32 v76, v77, v97
	v_fma_f32 v77, s18, v114, -v91
	s_delay_alu instid0(VALU_DEP_1) | instskip(SKIP_1) | instid1(VALU_DEP_2)
	v_dual_add_f32 v76, v76, v98 :: v_dual_mul_f32 v77, 0x3fb8aa3b, v77
	v_cndmask_b32_e64 v99, 0, v78, s7
	v_add_f32_e32 v78, v76, v95
	s_delay_alu instid0(VALU_DEP_3) | instskip(SKIP_4) | instid1(VALU_DEP_1)
	v_exp_f32_e32 v90, v77
	v_cndmask_b32_e64 v76, 0, v79, s9
	v_fma_f32 v79, s18, v117, -v91
	v_cndmask_b32_e64 v77, 0, v80, s10
	v_add_f32_e32 v78, v78, v99
	v_dual_mul_f32 v79, 0x3fb8aa3b, v79 :: v_dual_add_f32 v80, v78, v76
	s_waitcnt_depctr 0xfff
	v_cndmask_b32_e64 v78, 0, v90, s11
	v_mul_f32_e32 v90, 0x3fb8aa3b, v100
	v_exp_f32_e32 v100, v79
	v_cndmask_b32_e64 v79, 0, v88, s12
	v_add_f32_e32 v80, v80, v77
	s_delay_alu instid0(VALU_DEP_3) | instskip(NEXT) | instid1(VALU_DEP_1)
	v_exp_f32_e32 v90, v90
	v_add_f32_e32 v88, v80, v78
	v_cndmask_b32_e64 v80, 0, v89, s13
	s_delay_alu instid0(VALU_DEP_2) | instskip(NEXT) | instid1(TRANS32_DEP_2)
	v_add_f32_e32 v89, v88, v79
	v_cndmask_b32_e64 v88, 0, v100, s15
	s_delay_alu instid0(VALU_DEP_2) | instskip(SKIP_3) | instid1(VALU_DEP_1)
	v_add_f32_e32 v100, v89, v80
	s_waitcnt_depctr 0xfff
	v_cndmask_b32_e64 v89, 0, v90, s16
	v_add_f32_e32 v90, v100, v88
	v_add_f32_e32 v100, v90, v89
	v_cndmask_b32_e64 v90, 0, v102, s17
	s_delay_alu instid0(VALU_DEP_1)
	v_add_f32_e32 v100, v100, v90
	ds_bpermute_b32 v101, v101, v100
	v_cmpx_gt_u32_e32 16, v74
	s_cbranch_execz .LBB515_14
; %bb.13:
	v_mul_u32_u24_e32 v74, 0x44, v75
	s_waitcnt lgkmcnt(0)
	v_add_f32_e32 v100, v100, v101
	s_delay_alu instid0(VALU_DEP_2) | instskip(NEXT) | instid1(VALU_DEP_1)
	v_lshl_add_u32 v74, v73, 2, v74
	v_add_nc_u32_e32 v74, 0x4000, v74
	ds_store_2addr_b32 v74, v91, v100 offset1:136
.LBB515_14:
	s_or_b32 exec_lo, exec_lo, s2
	v_lshlrev_b32_e32 v73, 2, v73
	s_waitcnt lgkmcnt(0)
	s_barrier
	buffer_gl0_inv
	v_cmp_eq_u32_e64 s2, 1, v75
	v_add_nc_u32_e32 v91, 0x4000, v73
	ds_load_2addr_b32 v[100:101], v91 offset1:17
	ds_load_2addr_b32 v[102:103], v91 offset0:34 offset1:51
	ds_load_2addr_b32 v[104:105], v91 offset0:68 offset1:85
	;; [unrolled: 1-line block ×4, first 2 shown]
	s_waitcnt lgkmcnt(4)
	v_max3_f32 v73, v100, 0xff7fffff, v101
	s_waitcnt lgkmcnt(3)
	s_delay_alu instid0(VALU_DEP_1) | instskip(SKIP_1) | instid1(VALU_DEP_1)
	v_max3_f32 v73, v73, v102, v103
	s_waitcnt lgkmcnt(2)
	v_max3_f32 v73, v73, v104, v105
	s_waitcnt lgkmcnt(1)
	s_delay_alu instid0(VALU_DEP_1) | instskip(NEXT) | instid1(VALU_DEP_1)
	v_max3_f32 v73, v73, v106, v107
	v_sub_f32_e32 v74, v100, v73
	v_sub_f32_e32 v102, v102, v73
	;; [unrolled: 1-line block ×3, first 2 shown]
	s_delay_alu instid0(VALU_DEP_3) | instskip(NEXT) | instid1(VALU_DEP_3)
	v_mul_f32_e32 v74, 0x3fb8aa3b, v74
	v_mul_f32_e32 v112, 0x3fb8aa3b, v102
	s_delay_alu instid0(VALU_DEP_3) | instskip(NEXT) | instid1(VALU_DEP_3)
	v_mul_f32_e32 v114, 0x3fb8aa3b, v104
	v_exp_f32_e32 v111, v74
	v_sub_f32_e32 v74, v103, v73
	v_sub_f32_e32 v110, v101, v73
	ds_load_2addr_b32 v[100:101], v91 offset0:170 offset1:187
	v_exp_f32_e32 v112, v112
	v_mul_f32_e32 v113, 0x3fb8aa3b, v74
	v_mul_f32_e32 v110, 0x3fb8aa3b, v110
	s_waitcnt lgkmcnt(1)
	v_fma_f32 v74, v111, v108, 0
	v_sub_f32_e32 v108, v105, v73
	s_delay_alu instid0(VALU_DEP_3) | instskip(SKIP_4) | instid1(VALU_DEP_1)
	v_exp_f32_e32 v110, v110
	v_exp_f32_e32 v113, v113
	s_waitcnt_depctr 0xfff
	v_fmac_f32_e32 v74, v110, v109
	s_waitcnt lgkmcnt(0)
	v_fmac_f32_e32 v74, v112, v100
	ds_load_2addr_b32 v[102:103], v91 offset0:204 offset1:221
	ds_load_2addr_b32 v[104:105], v91 offset0:238 offset1:255
	v_dual_sub_f32 v91, v106, v73 :: v_dual_mul_f32 v106, 0x3fb8aa3b, v108
	v_exp_f32_e32 v108, v114
	v_sub_f32_e32 v100, v107, v73
	s_delay_alu instid0(VALU_DEP_2) | instskip(NEXT) | instid1(VALU_DEP_3)
	v_dual_fmac_f32 v74, v113, v101 :: v_dual_mul_f32 v91, 0x3fb8aa3b, v91
	v_exp_f32_e32 v106, v106
	s_waitcnt lgkmcnt(0)
	s_delay_alu instid0(VALU_DEP_2)
	v_mul_f32_e32 v100, 0x3fb8aa3b, v100
	s_barrier
	v_exp_f32_e32 v91, v91
	buffer_gl0_inv
	v_exp_f32_e32 v100, v100
	v_fmac_f32_e32 v74, v108, v102
	s_delay_alu instid0(VALU_DEP_1) | instskip(NEXT) | instid1(VALU_DEP_1)
	v_fmac_f32_e32 v74, v106, v103
	v_fmac_f32_e32 v74, v91, v104
	s_waitcnt_depctr 0xfff
	v_fmac_f32_e32 v74, v100, v105
	s_delay_alu instid0(VALU_DEP_1) | instskip(NEXT) | instid1(VALU_DEP_1)
	v_add_f32_e32 v101, 0x358637bd, v74
	v_div_scale_f32 v102, null, v101, v101, 1.0
	v_div_scale_f32 v105, vcc_lo, 1.0, v101, 1.0
	s_delay_alu instid0(VALU_DEP_2) | instskip(SKIP_2) | instid1(VALU_DEP_1)
	v_rcp_f32_e32 v103, v102
	s_waitcnt_depctr 0xfff
	v_fma_f32 v104, -v102, v103, 1.0
	v_fmac_f32_e32 v103, v104, v103
	v_cndmask_b32_e64 v104, v111, v110, s2
	v_cmp_eq_u32_e64 s2, 2, v75
	s_delay_alu instid0(VALU_DEP_3) | instskip(NEXT) | instid1(VALU_DEP_2)
	v_mul_f32_e32 v107, v105, v103
	v_cndmask_b32_e64 v104, v104, v112, s2
	v_cmp_eq_u32_e64 s2, 3, v75
	s_delay_alu instid0(VALU_DEP_3) | instskip(NEXT) | instid1(VALU_DEP_2)
	v_fma_f32 v109, -v102, v107, v105
	v_cndmask_b32_e64 v104, v104, v113, s2
	v_cmp_eq_u32_e64 s2, 4, v75
	s_delay_alu instid0(VALU_DEP_3) | instskip(NEXT) | instid1(VALU_DEP_2)
	v_fmac_f32_e32 v107, v109, v103
	v_cndmask_b32_e64 v104, v104, v108, s2
	s_delay_alu instid0(VALU_DEP_2) | instskip(SKIP_1) | instid1(VALU_DEP_2)
	v_fma_f32 v102, -v102, v107, v105
	v_cmp_eq_u32_e64 s2, 5, v75
	v_div_fmas_f32 v102, v102, v103, v107
	s_delay_alu instid0(VALU_DEP_2) | instskip(SKIP_2) | instid1(VALU_DEP_3)
	v_cndmask_b32_e64 v104, v104, v106, s2
	v_cmp_eq_u32_e32 vcc_lo, 6, v75
	s_mov_b32 s2, exec_lo
	v_div_fixup_f32 v101, v102, v101, 1.0
	s_delay_alu instid0(VALU_DEP_3) | instskip(SKIP_1) | instid1(VALU_DEP_2)
	v_cndmask_b32_e32 v91, v104, v91, vcc_lo
	v_cmp_eq_u32_e32 vcc_lo, 7, v75
	v_cndmask_b32_e32 v91, v91, v100, vcc_lo
	s_delay_alu instid0(VALU_DEP_1) | instskip(NEXT) | instid1(VALU_DEP_1)
	v_mul_f32_e32 v91, v91, v101
	v_mul_f32_e32 v101, v91, v93
	;; [unrolled: 1-line block ×6, first 2 shown]
	v_dual_mul_f32 v97, v91, v94 :: v_dual_and_b32 v102, 0x7f800000, v101
	v_mul_f32_e32 v100, v91, v96
	v_mul_f32_e32 v96, v91, v92
                                        ; implicit-def: $vgpr92
	s_delay_alu instid0(VALU_DEP_3)
	v_cmpx_ne_u32_e32 0x7f800000, v102
	s_xor_b32 s2, exec_lo, s2
; %bb.15:
	v_bfe_u32 v92, v101, 16, 1
	s_delay_alu instid0(VALU_DEP_1)
	v_add3_u32 v92, v101, v92, 0x7fff
                                        ; implicit-def: $vgpr101
; %bb.16:
	s_and_not1_saveexec_b32 s2, s2
; %bb.17:
	v_and_b32_e32 v92, 0xffff, v101
	v_or_b32_e32 v94, 0x10000, v101
	s_delay_alu instid0(VALU_DEP_2) | instskip(NEXT) | instid1(VALU_DEP_2)
	v_cmp_eq_u32_e32 vcc_lo, 0, v92
	v_cndmask_b32_e32 v92, v94, v101, vcc_lo
; %bb.18:
	s_or_b32 exec_lo, exec_lo, s2
	v_and_b32_e32 v94, 0x7f800000, v96
	s_delay_alu instid0(VALU_DEP_1) | instskip(SKIP_1) | instid1(SALU_CYCLE_1)
	v_cmp_ne_u32_e32 vcc_lo, 0x7f800000, v94
                                        ; implicit-def: $vgpr94
	s_and_saveexec_b32 s2, vcc_lo
	s_xor_b32 s2, exec_lo, s2
; %bb.19:
	v_bfe_u32 v94, v96, 16, 1
	s_delay_alu instid0(VALU_DEP_1)
	v_add3_u32 v94, v96, v94, 0x7fff
                                        ; implicit-def: $vgpr96
; %bb.20:
	s_and_not1_saveexec_b32 s2, s2
; %bb.21:
	v_and_b32_e32 v94, 0xffff, v96
	v_or_b32_e32 v101, 0x10000, v96
	s_delay_alu instid0(VALU_DEP_2) | instskip(NEXT) | instid1(VALU_DEP_2)
	v_cmp_eq_u32_e32 vcc_lo, 0, v94
	v_cndmask_b32_e32 v94, v101, v96, vcc_lo
; %bb.22:
	s_or_b32 exec_lo, exec_lo, s2
	v_and_b32_e32 v96, 0x7f800000, v97
	s_delay_alu instid0(VALU_DEP_1) | instskip(SKIP_1) | instid1(SALU_CYCLE_1)
	v_cmp_ne_u32_e32 vcc_lo, 0x7f800000, v96
                                        ; implicit-def: $vgpr96
	s_and_saveexec_b32 s2, vcc_lo
	s_xor_b32 s2, exec_lo, s2
; %bb.23:
	v_bfe_u32 v96, v97, 16, 1
	s_delay_alu instid0(VALU_DEP_1)
	v_add3_u32 v96, v97, v96, 0x7fff
                                        ; implicit-def: $vgpr97
; %bb.24:
	s_and_not1_saveexec_b32 s2, s2
; %bb.25:
	v_and_b32_e32 v96, 0xffff, v97
	v_or_b32_e32 v101, 0x10000, v97
	s_delay_alu instid0(VALU_DEP_2) | instskip(NEXT) | instid1(VALU_DEP_2)
	v_cmp_eq_u32_e32 vcc_lo, 0, v96
	v_cndmask_b32_e32 v96, v101, v97, vcc_lo
; %bb.26:
	s_or_b32 exec_lo, exec_lo, s2
	v_and_b32_e32 v97, 0x7f800000, v100
	s_delay_alu instid0(VALU_DEP_1) | instskip(SKIP_1) | instid1(SALU_CYCLE_1)
	v_cmp_ne_u32_e32 vcc_lo, 0x7f800000, v97
                                        ; implicit-def: $vgpr97
	s_and_saveexec_b32 s2, vcc_lo
	s_xor_b32 s2, exec_lo, s2
; %bb.27:
	v_bfe_u32 v97, v100, 16, 1
	s_delay_alu instid0(VALU_DEP_1)
	v_add3_u32 v97, v100, v97, 0x7fff
                                        ; implicit-def: $vgpr100
; %bb.28:
	s_and_not1_saveexec_b32 s2, s2
; %bb.29:
	v_and_b32_e32 v97, 0xffff, v100
	v_or_b32_e32 v101, 0x10000, v100
	s_delay_alu instid0(VALU_DEP_2) | instskip(NEXT) | instid1(VALU_DEP_2)
	v_cmp_eq_u32_e32 vcc_lo, 0, v97
	v_cndmask_b32_e32 v97, v101, v100, vcc_lo
; %bb.30:
	s_or_b32 exec_lo, exec_lo, s2
	v_and_b32_e32 v100, 0x7f800000, v99
	s_delay_alu instid0(VALU_DEP_1) | instskip(SKIP_1) | instid1(SALU_CYCLE_1)
	v_cmp_ne_u32_e32 vcc_lo, 0x7f800000, v100
                                        ; implicit-def: $vgpr100
	s_and_saveexec_b32 s2, vcc_lo
	s_xor_b32 s2, exec_lo, s2
; %bb.31:
	v_bfe_u32 v100, v99, 16, 1
	s_delay_alu instid0(VALU_DEP_1)
	v_add3_u32 v100, v99, v100, 0x7fff
                                        ; implicit-def: $vgpr99
; %bb.32:
	s_and_not1_saveexec_b32 s2, s2
; %bb.33:
	v_and_b32_e32 v100, 0xffff, v99
	v_or_b32_e32 v101, 0x10000, v99
	s_delay_alu instid0(VALU_DEP_2) | instskip(NEXT) | instid1(VALU_DEP_2)
	v_cmp_eq_u32_e32 vcc_lo, 0, v100
	v_cndmask_b32_e32 v100, v101, v99, vcc_lo
; %bb.34:
	s_or_b32 exec_lo, exec_lo, s2
	v_and_b32_e32 v99, 0x7f800000, v98
	s_delay_alu instid0(VALU_DEP_1) | instskip(SKIP_1) | instid1(SALU_CYCLE_1)
	v_cmp_ne_u32_e32 vcc_lo, 0x7f800000, v99
                                        ; implicit-def: $vgpr99
	s_and_saveexec_b32 s2, vcc_lo
	s_xor_b32 s2, exec_lo, s2
; %bb.35:
	v_bfe_u32 v99, v98, 16, 1
	s_delay_alu instid0(VALU_DEP_1)
	v_add3_u32 v99, v98, v99, 0x7fff
                                        ; implicit-def: $vgpr98
; %bb.36:
	s_and_not1_saveexec_b32 s2, s2
; %bb.37:
	v_and_b32_e32 v99, 0xffff, v98
	v_or_b32_e32 v101, 0x10000, v98
	s_delay_alu instid0(VALU_DEP_2) | instskip(NEXT) | instid1(VALU_DEP_2)
	v_cmp_eq_u32_e32 vcc_lo, 0, v99
	v_cndmask_b32_e32 v99, v101, v98, vcc_lo
; %bb.38:
	s_or_b32 exec_lo, exec_lo, s2
	v_and_b32_e32 v98, 0x7f800000, v95
	s_delay_alu instid0(VALU_DEP_1) | instskip(SKIP_1) | instid1(SALU_CYCLE_1)
	v_cmp_ne_u32_e32 vcc_lo, 0x7f800000, v98
                                        ; implicit-def: $vgpr98
	s_and_saveexec_b32 s2, vcc_lo
	s_xor_b32 s2, exec_lo, s2
; %bb.39:
	v_bfe_u32 v98, v95, 16, 1
	s_delay_alu instid0(VALU_DEP_1)
	v_add3_u32 v98, v95, v98, 0x7fff
                                        ; implicit-def: $vgpr95
; %bb.40:
	s_and_not1_saveexec_b32 s2, s2
; %bb.41:
	v_and_b32_e32 v98, 0xffff, v95
	v_or_b32_e32 v101, 0x10000, v95
	s_delay_alu instid0(VALU_DEP_2) | instskip(NEXT) | instid1(VALU_DEP_2)
	v_cmp_eq_u32_e32 vcc_lo, 0, v98
	v_cndmask_b32_e32 v98, v101, v95, vcc_lo
; %bb.42:
	s_or_b32 exec_lo, exec_lo, s2
	v_and_b32_e32 v95, 0x7f800000, v93
	s_delay_alu instid0(VALU_DEP_1) | instskip(SKIP_1) | instid1(SALU_CYCLE_1)
	v_cmp_ne_u32_e32 vcc_lo, 0x7f800000, v95
                                        ; implicit-def: $vgpr95
	s_and_saveexec_b32 s2, vcc_lo
	s_xor_b32 s2, exec_lo, s2
; %bb.43:
	v_bfe_u32 v95, v93, 16, 1
	s_delay_alu instid0(VALU_DEP_1)
	v_add3_u32 v95, v93, v95, 0x7fff
                                        ; implicit-def: $vgpr93
; %bb.44:
	s_and_not1_saveexec_b32 s2, s2
; %bb.45:
	v_and_b32_e32 v95, 0xffff, v93
	v_or_b32_e32 v101, 0x10000, v93
	s_delay_alu instid0(VALU_DEP_2) | instskip(NEXT) | instid1(VALU_DEP_2)
	v_cmp_eq_u32_e32 vcc_lo, 0, v95
	v_cndmask_b32_e32 v95, v101, v93, vcc_lo
; %bb.46:
	s_or_b32 exec_lo, exec_lo, s2
	s_load_b64 s[34:35], s[0:1], 0x94
	v_lshlrev_b32_e32 v93, 4, v86
	s_delay_alu instid0(VALU_DEP_2)
	v_perm_b32 v101, v95, v98, 0x7060302
	v_dual_mul_f32 v90, v91, v90 :: v_dual_lshlrev_b32 v95, 11, v75
	v_perm_b32 v98, v94, v92, 0x7060302
	v_mul_f32_e32 v94, v91, v76
	v_perm_b32 v100, v99, v100, 0x7060302
	v_perm_b32 v99, v97, v96, 0x7060302
	v_or3_b32 v76, v93, v95, v87
	v_mul_f32_e32 v89, v91, v89
	v_dual_mul_f32 v88, v91, v88 :: v_dual_and_b32 v95, 0x7f800000, v94
	v_mul_f32_e32 v80, v91, v80
	v_mul_f32_e32 v92, v91, v79
	;; [unrolled: 1-line block ×4, first 2 shown]
	s_mov_b32 s2, exec_lo
	ds_store_b128 v76, v[98:101]
                                        ; implicit-def: $vgpr77
	v_cmpx_ne_u32_e32 0x7f800000, v95
	s_xor_b32 s2, exec_lo, s2
; %bb.47:
	v_bfe_u32 v77, v94, 16, 1
	s_delay_alu instid0(VALU_DEP_1)
	v_add3_u32 v77, v94, v77, 0x7fff
                                        ; implicit-def: $vgpr94
; %bb.48:
	s_and_not1_saveexec_b32 s2, s2
; %bb.49:
	v_and_b32_e32 v77, 0xffff, v94
	v_or_b32_e32 v78, 0x10000, v94
	s_delay_alu instid0(VALU_DEP_2) | instskip(NEXT) | instid1(VALU_DEP_2)
	v_cmp_eq_u32_e32 vcc_lo, 0, v77
	v_cndmask_b32_e32 v77, v78, v94, vcc_lo
; %bb.50:
	s_or_b32 exec_lo, exec_lo, s2
	v_and_b32_e32 v78, 0x7f800000, v79
	s_delay_alu instid0(VALU_DEP_1) | instskip(SKIP_1) | instid1(SALU_CYCLE_1)
	v_cmp_ne_u32_e32 vcc_lo, 0x7f800000, v78
                                        ; implicit-def: $vgpr78
	s_and_saveexec_b32 s2, vcc_lo
	s_xor_b32 s2, exec_lo, s2
; %bb.51:
	v_bfe_u32 v78, v79, 16, 1
	s_delay_alu instid0(VALU_DEP_1)
	v_add3_u32 v78, v79, v78, 0x7fff
                                        ; implicit-def: $vgpr79
; %bb.52:
	s_and_not1_saveexec_b32 s2, s2
; %bb.53:
	v_and_b32_e32 v78, 0xffff, v79
	v_or_b32_e32 v91, 0x10000, v79
	s_delay_alu instid0(VALU_DEP_2) | instskip(NEXT) | instid1(VALU_DEP_2)
	v_cmp_eq_u32_e32 vcc_lo, 0, v78
	v_cndmask_b32_e32 v78, v91, v79, vcc_lo
; %bb.54:
	s_or_b32 exec_lo, exec_lo, s2
	v_and_b32_e32 v79, 0x7f800000, v93
	s_delay_alu instid0(VALU_DEP_1) | instskip(SKIP_1) | instid1(SALU_CYCLE_1)
	v_cmp_ne_u32_e32 vcc_lo, 0x7f800000, v79
                                        ; implicit-def: $vgpr79
	s_and_saveexec_b32 s2, vcc_lo
	s_xor_b32 s2, exec_lo, s2
; %bb.55:
	v_bfe_u32 v79, v93, 16, 1
	s_delay_alu instid0(VALU_DEP_1)
	v_add3_u32 v79, v93, v79, 0x7fff
                                        ; implicit-def: $vgpr93
; %bb.56:
	s_and_not1_saveexec_b32 s2, s2
; %bb.57:
	v_and_b32_e32 v79, 0xffff, v93
	v_or_b32_e32 v91, 0x10000, v93
	s_delay_alu instid0(VALU_DEP_2) | instskip(NEXT) | instid1(VALU_DEP_2)
	v_cmp_eq_u32_e32 vcc_lo, 0, v79
	v_cndmask_b32_e32 v79, v91, v93, vcc_lo
; %bb.58:
	s_or_b32 exec_lo, exec_lo, s2
	v_and_b32_e32 v91, 0x7f800000, v92
	s_delay_alu instid0(VALU_DEP_1) | instskip(SKIP_1) | instid1(SALU_CYCLE_1)
	v_cmp_ne_u32_e32 vcc_lo, 0x7f800000, v91
                                        ; implicit-def: $vgpr91
	s_and_saveexec_b32 s2, vcc_lo
	s_xor_b32 s2, exec_lo, s2
; %bb.59:
	v_bfe_u32 v91, v92, 16, 1
	s_delay_alu instid0(VALU_DEP_1)
	v_add3_u32 v91, v92, v91, 0x7fff
                                        ; implicit-def: $vgpr92
; %bb.60:
	s_and_not1_saveexec_b32 s2, s2
; %bb.61:
	v_and_b32_e32 v91, 0xffff, v92
	v_or_b32_e32 v93, 0x10000, v92
	s_delay_alu instid0(VALU_DEP_2) | instskip(NEXT) | instid1(VALU_DEP_2)
	v_cmp_eq_u32_e32 vcc_lo, 0, v91
	v_cndmask_b32_e32 v91, v93, v92, vcc_lo
; %bb.62:
	s_or_b32 exec_lo, exec_lo, s2
	v_and_b32_e32 v92, 0x7f800000, v80
	s_delay_alu instid0(VALU_DEP_1) | instskip(SKIP_1) | instid1(SALU_CYCLE_1)
	v_cmp_ne_u32_e32 vcc_lo, 0x7f800000, v92
                                        ; implicit-def: $vgpr92
	s_and_saveexec_b32 s2, vcc_lo
	s_xor_b32 s2, exec_lo, s2
; %bb.63:
	v_bfe_u32 v92, v80, 16, 1
	s_delay_alu instid0(VALU_DEP_1)
	v_add3_u32 v92, v80, v92, 0x7fff
                                        ; implicit-def: $vgpr80
; %bb.64:
	s_and_not1_saveexec_b32 s2, s2
; %bb.65:
	v_and_b32_e32 v92, 0xffff, v80
	v_or_b32_e32 v93, 0x10000, v80
	s_delay_alu instid0(VALU_DEP_2) | instskip(NEXT) | instid1(VALU_DEP_2)
	v_cmp_eq_u32_e32 vcc_lo, 0, v92
	v_cndmask_b32_e32 v92, v93, v80, vcc_lo
; %bb.66:
	s_or_b32 exec_lo, exec_lo, s2
	v_and_b32_e32 v80, 0x7f800000, v88
	s_delay_alu instid0(VALU_DEP_1) | instskip(SKIP_1) | instid1(SALU_CYCLE_1)
	v_cmp_ne_u32_e32 vcc_lo, 0x7f800000, v80
                                        ; implicit-def: $vgpr80
	s_and_saveexec_b32 s2, vcc_lo
	s_xor_b32 s2, exec_lo, s2
; %bb.67:
	v_bfe_u32 v80, v88, 16, 1
	s_delay_alu instid0(VALU_DEP_1)
	v_add3_u32 v80, v88, v80, 0x7fff
                                        ; implicit-def: $vgpr88
; %bb.68:
	s_and_not1_saveexec_b32 s2, s2
; %bb.69:
	v_and_b32_e32 v80, 0xffff, v88
	v_or_b32_e32 v93, 0x10000, v88
	s_delay_alu instid0(VALU_DEP_2) | instskip(NEXT) | instid1(VALU_DEP_2)
	v_cmp_eq_u32_e32 vcc_lo, 0, v80
	v_cndmask_b32_e32 v80, v93, v88, vcc_lo
; %bb.70:
	s_or_b32 exec_lo, exec_lo, s2
	v_and_b32_e32 v88, 0x7f800000, v89
	s_delay_alu instid0(VALU_DEP_1) | instskip(SKIP_1) | instid1(SALU_CYCLE_1)
	v_cmp_ne_u32_e32 vcc_lo, 0x7f800000, v88
                                        ; implicit-def: $vgpr88
	s_and_saveexec_b32 s2, vcc_lo
	s_xor_b32 s2, exec_lo, s2
; %bb.71:
	v_bfe_u32 v88, v89, 16, 1
	s_delay_alu instid0(VALU_DEP_1)
	v_add3_u32 v88, v89, v88, 0x7fff
                                        ; implicit-def: $vgpr89
; %bb.72:
	s_and_not1_saveexec_b32 s2, s2
; %bb.73:
	v_and_b32_e32 v88, 0xffff, v89
	v_or_b32_e32 v93, 0x10000, v89
	s_delay_alu instid0(VALU_DEP_2) | instskip(NEXT) | instid1(VALU_DEP_2)
	v_cmp_eq_u32_e32 vcc_lo, 0, v88
	v_cndmask_b32_e32 v88, v93, v89, vcc_lo
; %bb.74:
	s_or_b32 exec_lo, exec_lo, s2
	v_and_b32_e32 v89, 0x7f800000, v90
	s_delay_alu instid0(VALU_DEP_1) | instskip(SKIP_1) | instid1(SALU_CYCLE_1)
	v_cmp_ne_u32_e32 vcc_lo, 0x7f800000, v89
                                        ; implicit-def: $vgpr89
	s_and_saveexec_b32 s2, vcc_lo
	s_xor_b32 s2, exec_lo, s2
; %bb.75:
	v_bfe_u32 v89, v90, 16, 1
	s_delay_alu instid0(VALU_DEP_1)
	v_add3_u32 v89, v90, v89, 0x7fff
                                        ; implicit-def: $vgpr90
; %bb.76:
	s_and_not1_saveexec_b32 s2, s2
; %bb.77:
	v_and_b32_e32 v89, 0xffff, v90
	v_or_b32_e32 v93, 0x10000, v90
	s_delay_alu instid0(VALU_DEP_2) | instskip(NEXT) | instid1(VALU_DEP_2)
	v_cmp_eq_u32_e32 vcc_lo, 0, v89
	v_cndmask_b32_e32 v89, v93, v90, vcc_lo
; %bb.78:
	s_or_b32 exec_lo, exec_lo, s2
	s_delay_alu instid0(VALU_DEP_1)
	v_perm_b32 v96, v89, v88, 0x7060302
	v_perm_b32 v95, v80, v92, 0x7060302
	;; [unrolled: 1-line block ×4, first 2 shown]
	v_lshl_or_b32 v92, v75, 11, v87
	v_lshlrev_b32_e32 v89, 2, v86
	ds_store_b128 v76, v[93:96] offset:1024
	s_waitcnt lgkmcnt(0)
	s_barrier
	buffer_gl0_inv
	ds_load_b128 v[77:80], v92
	ds_load_b128 v[93:96], v92 offset:16
	v_or_b32_e32 v90, 1, v89
	v_cmp_eq_u32_e32 vcc_lo, 1, v89
	v_cmp_eq_u32_e64 s3, 2, v89
	v_cmp_eq_u32_e64 s6, 3, v89
	;; [unrolled: 1-line block ×6, first 2 shown]
	v_or_b32_e32 v88, 2, v89
	v_cmp_eq_u32_e64 s9, 5, v89
	v_cmp_eq_u32_e64 s10, 4, v90
	;; [unrolled: 1-line block ×9, first 2 shown]
	s_waitcnt lgkmcnt(1)
	v_lshrrev_b32_e32 v75, 16, v77
	s_waitcnt lgkmcnt(0)
	v_lshrrev_b32_e32 v101, 16, v93
	v_lshrrev_b32_e32 v110, 16, v96
	;; [unrolled: 1-line block ×4, first 2 shown]
	v_cndmask_b32_e32 v91, v77, v75, vcc_lo
	v_cndmask_b32_e32 v97, v93, v101, vcc_lo
	v_cndmask_b32_e64 v98, v77, v75, s2
	v_lshrrev_b32_e32 v106, 16, v79
	v_lshrrev_b32_e32 v109, 16, v95
	v_cndmask_b32_e64 v91, v91, v78, s3
	v_cndmask_b32_e64 v97, v97, v94, s3
	;; [unrolled: 1-line block ×4, first 2 shown]
	v_lshrrev_b32_e32 v107, 16, v80
	v_cndmask_b32_e64 v91, v91, v105, s6
	v_cndmask_b32_e64 v97, v97, v108, s6
	;; [unrolled: 1-line block ×9, first 2 shown]
	v_cmp_eq_u32_e64 s18, 3, v88
	v_cndmask_b32_e64 v91, v91, v106, s9
	v_cndmask_b32_e64 v97, v97, v109, s9
	;; [unrolled: 1-line block ×4, first 2 shown]
	v_cmp_eq_u32_e64 s19, 4, v88
	v_cndmask_b32_e64 v91, v91, v80, s11
	v_cndmask_b32_e64 v97, v97, v96, s11
	;; [unrolled: 1-line block ×3, first 2 shown]
	v_cmp_eq_u32_e64 s21, 5, v88
	v_cmp_eq_u32_e64 s23, 6, v88
	v_cndmask_b32_e64 v111, v91, v107, s13
	v_cndmask_b32_e64 v112, v97, v110, s13
	;; [unrolled: 1-line block ×6, first 2 shown]
	v_cmp_eq_u32_e64 s26, 7, v88
	v_cndmask_b32_e64 v99, v91, v105, s18
	v_cndmask_b32_e64 v97, v97, v94, s16
	v_or_b32_e32 v91, 3, v89
	v_cndmask_b32_e64 v114, v98, v96, s15
	s_delay_alu instid0(VALU_DEP_4) | instskip(NEXT) | instid1(VALU_DEP_4)
	v_cndmask_b32_e64 v102, v99, v79, s19
	v_cndmask_b32_e64 v103, v97, v108, s18
	s_delay_alu instid0(VALU_DEP_4)
	v_cmp_eq_u32_e64 s20, 1, v91
	ds_load_b128 v[97:100], v92 offset:1024
	v_cmp_eq_u32_e64 s22, 2, v91
	v_cndmask_b32_e64 v115, v102, v106, s21
	v_cmp_eq_u32_e64 s24, 3, v91
	v_cndmask_b32_e64 v75, v77, v75, s20
	v_cndmask_b32_e64 v77, v103, v95, s19
	;; [unrolled: 1-line block ×3, first 2 shown]
	ds_load_b128 v[101:104], v92 offset:1040
	v_cmp_eq_u32_e64 s25, 4, v91
	v_cndmask_b32_e64 v75, v75, v78, s22
	v_cmp_eq_u32_e64 s27, 5, v91
	v_cndmask_b32_e64 v78, v93, v94, s22
	v_cndmask_b32_e64 v94, v115, v80, s23
	;; [unrolled: 1-line block ×4, first 2 shown]
	v_cmp_eq_u32_e64 s28, 6, v91
	v_cndmask_b32_e64 v78, v78, v108, s24
	v_cndmask_b32_e64 v93, v114, v110, s17
	;; [unrolled: 1-line block ×4, first 2 shown]
	s_waitcnt lgkmcnt(1)
	v_lshrrev_b32_e32 v105, 16, v97
	v_cndmask_b32_e64 v78, v78, v95, s25
	v_cndmask_b32_e64 v79, v94, v107, s26
	;; [unrolled: 1-line block ×4, first 2 shown]
	v_cndmask_b32_e32 v94, v97, v105, vcc_lo
	v_cndmask_b32_e64 v78, v78, v109, s27
	s_waitcnt lgkmcnt(0)
	v_lshrrev_b32_e32 v95, 16, v101
	v_lshrrev_b32_e32 v106, 16, v98
	v_cndmask_b32_e64 v108, v97, v105, s2
	v_cndmask_b32_e64 v94, v94, v98, s3
	;; [unrolled: 1-line block ×3, first 2 shown]
	v_cndmask_b32_e32 v109, v101, v95, vcc_lo
	v_cndmask_b32_e64 v78, v78, v96, s28
	v_cmp_eq_u32_e32 vcc_lo, 7, v91
	v_cndmask_b32_e64 v80, v94, v106, s6
	v_cndmask_b32_e64 v94, v108, v98, s5
	;; [unrolled: 1-line block ×3, first 2 shown]
	v_lshrrev_b32_e32 v108, 16, v102
	v_cndmask_b32_e32 v78, v78, v110, vcc_lo
	v_lshrrev_b32_e32 v110, 16, v103
	v_cndmask_b32_e64 v80, v80, v99, s8
	v_lshrrev_b32_e32 v109, 16, v99
	v_cndmask_b32_e64 v96, v96, v108, s6
	v_cndmask_b32_e32 v75, v75, v107, vcc_lo
	v_perm_b32 v79, v77, v79, 0x5040100
	v_cndmask_b32_e64 v94, v94, v106, s7
	v_cndmask_b32_e64 v107, v80, v109, s9
	;; [unrolled: 1-line block ×3, first 2 shown]
	v_perm_b32 v80, v78, v75, 0x5040100
	v_perm_b32 v78, v93, v113, 0x5040100
	v_cndmask_b32_e64 v113, v101, v95, s4
	v_cndmask_b32_e64 v94, v94, v99, s10
	;; [unrolled: 1-line block ×3, first 2 shown]
	s_delay_alu instid0(VALU_DEP_2) | instskip(NEXT) | instid1(VALU_DEP_2)
	v_cndmask_b32_e64 v75, v94, v109, s12
	v_cndmask_b32_e64 v77, v96, v104, s11
	v_cndmask_b32_e64 v96, v97, v105, s4
	v_cndmask_b32_e64 v97, v97, v105, s20
	v_cndmask_b32_e64 v105, v101, v95, s20
	v_cndmask_b32_e64 v95, v101, v95, s2
	v_cndmask_b32_e64 v101, v113, v102, s16
	v_cndmask_b32_e64 v96, v96, v98, s16
	v_cndmask_b32_e64 v97, v97, v98, s22
	v_cndmask_b32_e64 v98, v105, v102, s22
	v_cndmask_b32_e64 v95, v95, v102, s5
	v_cndmask_b32_e64 v101, v101, v108, s18
	v_cndmask_b32_e64 v96, v96, v106, s18
	v_cndmask_b32_e64 v97, v97, v106, s24
	v_cndmask_b32_e64 v98, v98, v108, s24
	v_cndmask_b32_e64 v95, v95, v108, s7
	v_cndmask_b32_e64 v94, v107, v100, s11
	v_cndmask_b32_e64 v96, v96, v99, s19
	v_cndmask_b32_e64 v97, v97, v99, s25
	v_cndmask_b32_e64 v98, v98, v103, s25
	v_cndmask_b32_e64 v99, v101, v103, s19
	v_cndmask_b32_e64 v95, v95, v103, s10
	v_lshrrev_b32_e32 v107, 16, v100
	v_cndmask_b32_e64 v96, v96, v109, s21
	v_cndmask_b32_e64 v97, v97, v109, s27
	;; [unrolled: 1-line block ×7, first 2 shown]
	v_lshrrev_b32_e32 v94, 16, v104
	v_cndmask_b32_e64 v96, v96, v100, s23
	v_cndmask_b32_e64 v97, v97, v100, s28
	;; [unrolled: 1-line block ×7, first 2 shown]
	v_dual_cndmask_b32 v96, v97, v107 :: v_dual_cndmask_b32 v97, v98, v94
	v_cndmask_b32_e64 v98, v99, v94, s26
	v_cndmask_b32_e64 v99, v95, v94, s17
	;; [unrolled: 1-line block ×3, first 2 shown]
	v_perm_b32 v77, v112, v111, 0x5040100
	v_perm_b32 v96, v97, v96, 0x5040100
	;; [unrolled: 1-line block ×5, first 2 shown]
	s_lshl_b32 s7, s35, 1
	s_mov_b32 s2, exec_lo
	ds_store_b128 v76, v[77:80]
	ds_store_b128 v76, v[93:96] offset:1024
	v_cmpx_gt_u32_e32 2, v0
	s_cbranch_execz .LBB515_80
; %bb.79:
	v_or_b32_e32 v75, s31, v0
	s_load_b128 s[8:11], s[0:1], 0x58
	s_delay_alu instid0(VALU_DEP_1) | instskip(NEXT) | instid1(VALU_DEP_1)
	v_mad_u64_u32 v[76:77], null, s7, s30, v[75:76]
	v_mad_u64_u32 v[77:78], null, v76, s34, s[14:15]
	s_delay_alu instid0(VALU_DEP_1) | instskip(NEXT) | instid1(VALU_DEP_1)
	v_ashrrev_i32_e32 v78, 31, v77
	v_lshlrev_b64 v[75:76], 2, v[77:78]
	s_waitcnt lgkmcnt(0)
	s_delay_alu instid0(VALU_DEP_1) | instskip(NEXT) | instid1(VALU_DEP_2)
	v_add_co_u32 v77, vcc_lo, s10, v75
	v_add_co_ci_u32_e32 v78, vcc_lo, s11, v76, vcc_lo
	v_add_co_u32 v75, vcc_lo, s8, v75
	v_add_co_ci_u32_e32 v76, vcc_lo, s9, v76, vcc_lo
	global_store_b32 v[77:78], v73, off
	global_store_b32 v[75:76], v74, off
.LBB515_80:
	s_or_b32 exec_lo, exec_lo, s2
	s_waitcnt lgkmcnt(0)
	s_waitcnt_vscnt null, 0x0
	s_barrier
	buffer_gl0_inv
	ds_load_b128 v[93:96], v87
	ds_load_b128 v[97:100], v87 offset:16
	ds_load_b128 v[105:108], v87 offset:1040
	;; [unrolled: 1-line block ×3, first 2 shown]
	v_mov_b32_e32 v73, 0
	ds_load_b128 v[113:116], v87 offset:2064
	ds_load_b128 v[109:112], v87 offset:2048
	;; [unrolled: 1-line block ×6, first 2 shown]
	v_mov_b32_e32 v74, v73
	v_mov_b32_e32 v75, v73
	;; [unrolled: 1-line block ×7, first 2 shown]
	s_waitcnt lgkmcnt(8)
	s_delay_alu instid0(VALU_DEP_1)
	v_wmma_f32_16x16x16_bf16 v[73:80], v[65:72], v[93:100], v[73:80]
	ds_load_b128 v[69:72], v87 offset:5136
	ds_load_b128 v[65:68], v87 offset:5120
	;; [unrolled: 1-line block ×4, first 2 shown]
	s_waitcnt lgkmcnt(10)
	v_wmma_f32_16x16x16_bf16 v[73:80], v[57:64], v[101:108], v[73:80]
	s_waitcnt lgkmcnt(8)
	s_delay_alu instid0(VALU_DEP_1)
	v_wmma_f32_16x16x16_bf16 v[73:80], v[57:64], v[109:116], v[73:80]
	ds_load_b128 v[61:64], v87 offset:7184
	ds_load_b128 v[57:60], v87 offset:7168
	;; [unrolled: 1-line block ×4, first 2 shown]
	s_waitcnt lgkmcnt(10)
	v_wmma_f32_16x16x16_bf16 v[73:80], v[49:56], v[117:124], v[73:80]
	s_waitcnt lgkmcnt(8)
	s_delay_alu instid0(VALU_DEP_1)
	v_wmma_f32_16x16x16_bf16 v[73:80], v[49:56], v[125:132], v[73:80]
	ds_load_b128 v[53:56], v87 offset:9232
	ds_load_b128 v[49:52], v87 offset:9216
	s_waitcnt lgkmcnt(8)
	v_wmma_f32_16x16x16_bf16 v[73:80], v[41:48], v[65:72], v[73:80]
	ds_load_b128 v[69:72], v87 offset:10256
	ds_load_b128 v[65:68], v87 offset:10240
	s_waitcnt lgkmcnt(8)
	v_wmma_f32_16x16x16_bf16 v[73:80], v[41:48], v[93:100], v[73:80]
	ds_load_b128 v[45:48], v87 offset:11280
	ds_load_b128 v[41:44], v87 offset:11264
	s_waitcnt lgkmcnt(8)
	v_wmma_f32_16x16x16_bf16 v[73:80], v[9:16], v[57:64], v[73:80]
	s_waitcnt lgkmcnt(6)
	s_delay_alu instid0(VALU_DEP_1)
	v_wmma_f32_16x16x16_bf16 v[73:80], v[9:16], v[101:108], v[73:80]
	ds_load_b128 v[13:16], v87 offset:12304
	ds_load_b128 v[9:12], v87 offset:12288
	s_waitcnt lgkmcnt(6)
	v_wmma_f32_16x16x16_bf16 v[73:80], v[1:8], v[49:56], v[73:80]
	ds_load_b128 v[53:56], v87 offset:13328
	ds_load_b128 v[49:52], v87 offset:13312
	s_waitcnt lgkmcnt(6)
	;; [unrolled: 4-line block ×4, first 2 shown]
	v_wmma_f32_16x16x16_bf16 v[73:80], v[33:40], v[9:16], v[73:80]
	s_waitcnt lgkmcnt(4)
	s_delay_alu instid0(VALU_DEP_1) | instskip(SKIP_1) | instid1(VALU_DEP_1)
	v_wmma_f32_16x16x16_bf16 v[73:80], v[25:32], v[49:56], v[73:80]
	s_waitcnt lgkmcnt(2)
	v_wmma_f32_16x16x16_bf16 v[73:80], v[25:32], v[1:8], v[73:80]
	s_waitcnt lgkmcnt(0)
	s_delay_alu instid0(VALU_DEP_1) | instskip(NEXT) | instid1(VALU_DEP_1)
	v_wmma_f32_16x16x16_bf16 v[73:80], v[17:24], v[41:48], v[73:80]
	v_and_b32_e32 v1, 0x7f800000, v73
	s_delay_alu instid0(VALU_DEP_1) | instskip(SKIP_1) | instid1(SALU_CYCLE_1)
	v_cmp_ne_u32_e32 vcc_lo, 0x7f800000, v1
                                        ; implicit-def: $vgpr1
	s_and_saveexec_b32 s2, vcc_lo
	s_xor_b32 s2, exec_lo, s2
; %bb.81:
	v_bfe_u32 v1, v73, 16, 1
	s_delay_alu instid0(VALU_DEP_1)
	v_add3_u32 v1, v73, v1, 0x7fff
; %bb.82:
	s_and_not1_saveexec_b32 s2, s2
; %bb.83:
	v_and_b32_e32 v1, 0xffff, v73
	v_or_b32_e32 v2, 0x10000, v73
	s_delay_alu instid0(VALU_DEP_2) | instskip(NEXT) | instid1(VALU_DEP_2)
	v_cmp_eq_u32_e32 vcc_lo, 0, v1
	v_cndmask_b32_e32 v1, v2, v73, vcc_lo
; %bb.84:
	s_or_b32 exec_lo, exec_lo, s2
	v_and_b32_e32 v2, 0x7f800000, v74
	s_delay_alu instid0(VALU_DEP_1) | instskip(SKIP_1) | instid1(SALU_CYCLE_1)
	v_cmp_ne_u32_e32 vcc_lo, 0x7f800000, v2
                                        ; implicit-def: $vgpr2
	s_and_saveexec_b32 s2, vcc_lo
	s_xor_b32 s2, exec_lo, s2
; %bb.85:
	v_bfe_u32 v2, v74, 16, 1
	s_delay_alu instid0(VALU_DEP_1)
	v_add3_u32 v2, v74, v2, 0x7fff
; %bb.86:
	s_and_not1_saveexec_b32 s2, s2
; %bb.87:
	v_and_b32_e32 v2, 0xffff, v74
	v_or_b32_e32 v3, 0x10000, v74
	s_delay_alu instid0(VALU_DEP_2) | instskip(NEXT) | instid1(VALU_DEP_2)
	v_cmp_eq_u32_e32 vcc_lo, 0, v2
	v_cndmask_b32_e32 v2, v3, v74, vcc_lo
; %bb.88:
	s_or_b32 exec_lo, exec_lo, s2
	v_and_b32_e32 v3, 0x7f800000, v75
	s_delay_alu instid0(VALU_DEP_1) | instskip(SKIP_1) | instid1(SALU_CYCLE_1)
	v_cmp_ne_u32_e32 vcc_lo, 0x7f800000, v3
                                        ; implicit-def: $vgpr3
	s_and_saveexec_b32 s2, vcc_lo
	s_xor_b32 s2, exec_lo, s2
; %bb.89:
	v_bfe_u32 v3, v75, 16, 1
	s_delay_alu instid0(VALU_DEP_1)
	v_add3_u32 v3, v75, v3, 0x7fff
; %bb.90:
	s_and_not1_saveexec_b32 s2, s2
; %bb.91:
	v_and_b32_e32 v3, 0xffff, v75
	v_or_b32_e32 v4, 0x10000, v75
	s_delay_alu instid0(VALU_DEP_2) | instskip(NEXT) | instid1(VALU_DEP_2)
	v_cmp_eq_u32_e32 vcc_lo, 0, v3
	v_cndmask_b32_e32 v3, v4, v75, vcc_lo
; %bb.92:
	s_or_b32 exec_lo, exec_lo, s2
	v_and_b32_e32 v4, 0x7f800000, v76
	s_delay_alu instid0(VALU_DEP_1) | instskip(SKIP_1) | instid1(SALU_CYCLE_1)
	v_cmp_ne_u32_e32 vcc_lo, 0x7f800000, v4
                                        ; implicit-def: $vgpr4
	s_and_saveexec_b32 s2, vcc_lo
	s_xor_b32 s2, exec_lo, s2
; %bb.93:
	v_bfe_u32 v4, v76, 16, 1
	s_delay_alu instid0(VALU_DEP_1)
	v_add3_u32 v4, v76, v4, 0x7fff
; %bb.94:
	s_and_not1_saveexec_b32 s2, s2
; %bb.95:
	v_and_b32_e32 v4, 0xffff, v76
	v_or_b32_e32 v5, 0x10000, v76
	s_delay_alu instid0(VALU_DEP_2) | instskip(NEXT) | instid1(VALU_DEP_2)
	v_cmp_eq_u32_e32 vcc_lo, 0, v4
	v_cndmask_b32_e32 v4, v5, v76, vcc_lo
; %bb.96:
	s_or_b32 exec_lo, exec_lo, s2
	v_and_b32_e32 v5, 0x7f800000, v77
	s_delay_alu instid0(VALU_DEP_1) | instskip(SKIP_1) | instid1(SALU_CYCLE_1)
	v_cmp_ne_u32_e32 vcc_lo, 0x7f800000, v5
                                        ; implicit-def: $vgpr5
	s_and_saveexec_b32 s2, vcc_lo
	s_xor_b32 s2, exec_lo, s2
; %bb.97:
	v_bfe_u32 v5, v77, 16, 1
	s_delay_alu instid0(VALU_DEP_1)
	v_add3_u32 v5, v77, v5, 0x7fff
; %bb.98:
	s_and_not1_saveexec_b32 s2, s2
; %bb.99:
	v_and_b32_e32 v5, 0xffff, v77
	v_or_b32_e32 v6, 0x10000, v77
	s_delay_alu instid0(VALU_DEP_2) | instskip(NEXT) | instid1(VALU_DEP_2)
	v_cmp_eq_u32_e32 vcc_lo, 0, v5
	v_cndmask_b32_e32 v5, v6, v77, vcc_lo
; %bb.100:
	s_or_b32 exec_lo, exec_lo, s2
	v_and_b32_e32 v6, 0x7f800000, v78
	s_delay_alu instid0(VALU_DEP_1) | instskip(SKIP_1) | instid1(SALU_CYCLE_1)
	v_cmp_ne_u32_e32 vcc_lo, 0x7f800000, v6
                                        ; implicit-def: $vgpr6
	s_and_saveexec_b32 s2, vcc_lo
	s_xor_b32 s2, exec_lo, s2
; %bb.101:
	v_bfe_u32 v6, v78, 16, 1
	s_delay_alu instid0(VALU_DEP_1)
	v_add3_u32 v6, v78, v6, 0x7fff
; %bb.102:
	s_and_not1_saveexec_b32 s2, s2
; %bb.103:
	v_and_b32_e32 v6, 0xffff, v78
	v_or_b32_e32 v7, 0x10000, v78
	s_delay_alu instid0(VALU_DEP_2) | instskip(NEXT) | instid1(VALU_DEP_2)
	v_cmp_eq_u32_e32 vcc_lo, 0, v6
	v_cndmask_b32_e32 v6, v7, v78, vcc_lo
; %bb.104:
	s_or_b32 exec_lo, exec_lo, s2
	v_and_b32_e32 v7, 0x7f800000, v79
	s_delay_alu instid0(VALU_DEP_1) | instskip(SKIP_1) | instid1(SALU_CYCLE_1)
	v_cmp_ne_u32_e32 vcc_lo, 0x7f800000, v7
                                        ; implicit-def: $vgpr7
	s_and_saveexec_b32 s2, vcc_lo
	s_xor_b32 s2, exec_lo, s2
; %bb.105:
	v_bfe_u32 v7, v79, 16, 1
	s_delay_alu instid0(VALU_DEP_1)
	v_add3_u32 v7, v79, v7, 0x7fff
; %bb.106:
	s_and_not1_saveexec_b32 s2, s2
; %bb.107:
	v_and_b32_e32 v7, 0xffff, v79
	v_or_b32_e32 v8, 0x10000, v79
	s_delay_alu instid0(VALU_DEP_2) | instskip(NEXT) | instid1(VALU_DEP_2)
	v_cmp_eq_u32_e32 vcc_lo, 0, v7
	v_cndmask_b32_e32 v7, v8, v79, vcc_lo
; %bb.108:
	s_or_b32 exec_lo, exec_lo, s2
	v_and_b32_e32 v8, 0x7f800000, v80
	s_delay_alu instid0(VALU_DEP_1) | instskip(SKIP_1) | instid1(SALU_CYCLE_1)
	v_cmp_ne_u32_e32 vcc_lo, 0x7f800000, v8
                                        ; implicit-def: $vgpr8
	s_and_saveexec_b32 s2, vcc_lo
	s_xor_b32 s2, exec_lo, s2
; %bb.109:
	v_bfe_u32 v8, v80, 16, 1
	s_delay_alu instid0(VALU_DEP_1)
	v_add3_u32 v8, v80, v8, 0x7fff
                                        ; implicit-def: $vgpr73_vgpr74_vgpr75_vgpr76_vgpr77_vgpr78_vgpr79_vgpr80
; %bb.110:
	s_and_not1_saveexec_b32 s2, s2
; %bb.111:
	v_and_b32_e32 v8, 0xffff, v80
	v_or_b32_e32 v9, 0x10000, v80
	s_delay_alu instid0(VALU_DEP_2) | instskip(NEXT) | instid1(VALU_DEP_2)
	v_cmp_eq_u32_e32 vcc_lo, 0, v8
	v_cndmask_b32_e32 v8, v9, v80, vcc_lo
; %bb.112:
	s_or_b32 exec_lo, exec_lo, s2
	s_delay_alu instid0(VALU_DEP_1)
	v_perm_b32 v7, v8, v7, 0x7060302
	v_perm_b32 v6, v6, v5, 0x7060302
	;; [unrolled: 1-line block ×4, first 2 shown]
	v_lshl_or_b32 v9, v86, 4, v92
	s_barrier
	buffer_gl0_inv
	v_cmp_eq_u32_e32 vcc_lo, 1, v89
	ds_store_b128 v9, v[4:7]
	s_waitcnt lgkmcnt(0)
	s_barrier
	buffer_gl0_inv
	ds_load_b128 v[1:4], v92
	ds_load_b128 v[5:8], v92 offset:16
	v_cmp_eq_u32_e64 s3, 2, v89
	v_cmp_eq_u32_e64 s2, 1, v90
	;; [unrolled: 1-line block ×5, first 2 shown]
	s_waitcnt lgkmcnt(1)
	v_lshrrev_b32_e32 v10, 16, v1
	s_waitcnt lgkmcnt(0)
	v_lshrrev_b32_e32 v14, 16, v5
	v_lshrrev_b32_e32 v15, 16, v6
	v_lshrrev_b32_e32 v11, 16, v2
	v_lshrrev_b32_e32 v12, 16, v3
	v_cndmask_b32_e64 v20, v1, v10, s2
	v_cndmask_b32_e32 v19, v5, v14, vcc_lo
	v_cndmask_b32_e64 v21, v5, v14, s2
	v_lshrrev_b32_e32 v16, 16, v7
	v_cmp_eq_u32_e64 s2, 1, v88
	v_lshrrev_b32_e32 v13, 16, v4
	v_cndmask_b32_e64 v19, v19, v6, s3
	v_lshrrev_b32_e32 v17, 16, v8
	s_delay_alu instid0(VALU_DEP_4) | instskip(SKIP_1) | instid1(VALU_DEP_4)
	v_cndmask_b32_e64 v22, v1, v10, s2
	v_cndmask_b32_e64 v23, v5, v14, s2
	;; [unrolled: 1-line block ×3, first 2 shown]
	v_cndmask_b32_e32 v18, v1, v10, vcc_lo
	v_cmp_eq_u32_e32 vcc_lo, 2, v90
	v_cmp_eq_u32_e64 s2, 2, v91
	v_cndmask_b32_e64 v22, v22, v2, s6
	v_cndmask_b32_e32 v20, v20, v2, vcc_lo
	v_cndmask_b32_e32 v21, v21, v6, vcc_lo
	v_cmp_eq_u32_e32 vcc_lo, 4, v89
	v_cndmask_b32_e32 v19, v19, v7, vcc_lo
	v_cndmask_b32_e64 v18, v18, v2, s3
	v_cmp_eq_u32_e64 s3, 3, v90
	s_delay_alu instid0(VALU_DEP_2) | instskip(NEXT) | instid1(VALU_DEP_2)
	v_cndmask_b32_e64 v18, v18, v11, s4
	v_cndmask_b32_e64 v21, v21, v15, s3
	v_cmp_eq_u32_e64 s4, 5, v89
	s_delay_alu instid0(VALU_DEP_3) | instskip(SKIP_1) | instid1(VALU_DEP_3)
	v_cndmask_b32_e32 v18, v18, v3, vcc_lo
	v_cmp_eq_u32_e32 vcc_lo, 4, v90
	v_cndmask_b32_e64 v19, v19, v16, s4
	s_delay_alu instid0(VALU_DEP_3) | instskip(SKIP_4) | instid1(VALU_DEP_3)
	v_cndmask_b32_e64 v18, v18, v12, s4
	v_cndmask_b32_e32 v21, v21, v7, vcc_lo
	v_cndmask_b32_e64 v20, v20, v11, s3
	v_cmp_eq_u32_e64 s3, 5, v90
	v_cmp_eq_u32_e64 s4, 6, v89
	v_cndmask_b32_e32 v20, v20, v3, vcc_lo
	s_delay_alu instid0(VALU_DEP_3) | instskip(SKIP_1) | instid1(VALU_DEP_4)
	v_cndmask_b32_e64 v21, v21, v16, s3
	v_cmp_eq_u32_e32 vcc_lo, 6, v90
	v_cndmask_b32_e64 v18, v18, v4, s4
	v_cndmask_b32_e64 v19, v19, v8, s4
	;; [unrolled: 1-line block ×3, first 2 shown]
	v_cmp_eq_u32_e64 s3, 1, v91
	v_cmp_eq_u32_e64 s4, 7, v89
	s_delay_alu instid0(VALU_DEP_3) | instskip(NEXT) | instid1(VALU_DEP_3)
	v_cndmask_b32_e32 v20, v20, v4, vcc_lo
	v_cndmask_b32_e64 v1, v1, v10, s3
	v_cndmask_b32_e64 v5, v5, v14, s3
	v_cmp_eq_u32_e64 s3, 3, v88
	v_cndmask_b32_e64 v14, v23, v6, s6
	v_cmp_eq_u32_e64 s6, 3, v91
	v_cndmask_b32_e64 v1, v1, v2, s2
	v_cndmask_b32_e64 v2, v5, v6, s2
	;; [unrolled: 1-line block ×3, first 2 shown]
	v_cmp_eq_u32_e64 s2, 4, v88
	v_cndmask_b32_e64 v6, v14, v15, s3
	v_cndmask_b32_e64 v1, v1, v11, s6
	v_cmp_eq_u32_e64 s3, 4, v91
	v_cndmask_b32_e64 v2, v2, v15, s6
	v_cndmask_b32_e64 v5, v10, v3, s2
	;; [unrolled: 3-line block ×3, first 2 shown]
	v_cndmask_b32_e64 v2, v2, v7, s3
	v_cmp_eq_u32_e64 s2, 5, v91
	v_cndmask_b32_e64 v5, v5, v12, s6
	v_cmp_eq_u32_e64 s3, 6, v88
	;; [unrolled: 2-line block ×3, first 2 shown]
	v_cndmask_b32_e64 v1, v1, v12, s2
	v_cndmask_b32_e64 v2, v2, v16, s2
	;; [unrolled: 1-line block ×4, first 2 shown]
	v_cmp_eq_u32_e64 s2, 7, v91
	v_cndmask_b32_e64 v1, v1, v4, s6
	v_cndmask_b32_e64 v2, v2, v8, s6
	v_cmp_eq_u32_e64 s3, 7, v88
	v_cndmask_b32_e32 v4, v21, v8, vcc_lo
	v_cndmask_b32_e64 v18, v18, v13, s4
	v_cndmask_b32_e64 v20, v20, v13, s5
	;; [unrolled: 1-line block ×8, first 2 shown]
	s_delay_alu instid0(VALU_DEP_4) | instskip(NEXT) | instid1(VALU_DEP_4)
	v_perm_b32 v4, v2, v1, 0x5040100
	v_perm_b32 v3, v3, v5, 0x5040100
	s_delay_alu instid0(VALU_DEP_4) | instskip(NEXT) | instid1(VALU_DEP_4)
	v_perm_b32 v2, v6, v20, 0x5040100
	v_perm_b32 v1, v7, v18, 0x5040100
	ds_store_b128 v9, v[1:4]
	s_waitcnt lgkmcnt(0)
	s_barrier
	buffer_gl0_inv
	s_and_saveexec_b32 s2, s29
	s_cbranch_execz .LBB515_2
; %bb.113:
	s_load_b64 s[0:1], s[0:1], 0x68
	v_lshlrev_b32_e32 v0, 10, v0
	s_lshl_b32 s2, s34, 6
	v_lshlrev_b32_e32 v1, 4, v85
	v_mul_lo_u32 v4, s2, v84
	s_mul_i32 s3, s2, s30
	v_and_b32_e32 v0, 0x3800, v0
	s_mul_i32 s2, s3, s7
	s_delay_alu instid0(SALU_CYCLE_1) | instskip(NEXT) | instid1(VALU_DEP_1)
	s_ashr_i32 s3, s2, 31
	v_or3_b32 v0, v0, v83, v1
	s_lshl_b64 s[2:3], s[2:3], 1
	s_delay_alu instid0(VALU_DEP_3)
	v_ashrrev_i32_e32 v5, 31, v4
	ds_load_b128 v[0:3], v0
	v_lshlrev_b64 v[4:5], 1, v[4:5]
	s_waitcnt lgkmcnt(0)
	s_add_u32 s2, s0, s2
	s_addc_u32 s3, s1, s3
	s_lshl_b32 s0, s14, 6
	s_delay_alu instid0(SALU_CYCLE_1) | instskip(NEXT) | instid1(SALU_CYCLE_1)
	s_ashr_i32 s1, s0, 31
	s_lshl_b64 s[0:1], s[0:1], 1
	s_delay_alu instid0(SALU_CYCLE_1) | instskip(SKIP_3) | instid1(VALU_DEP_2)
	s_add_u32 s0, s2, s0
	s_addc_u32 s1, s3, s1
	v_add_co_u32 v4, vcc_lo, s0, v4
	v_add_co_ci_u32_e32 v5, vcc_lo, s1, v5, vcc_lo
	v_add_co_u32 v4, vcc_lo, v4, v81
	s_delay_alu instid0(VALU_DEP_2)
	v_add_co_ci_u32_e32 v5, vcc_lo, v5, v82, vcc_lo
	global_store_b128 v[4:5], v[0:3], off
	s_nop 0
	s_sendmsg sendmsg(MSG_DEALLOC_VGPRS)
	s_endpgm
	.section	.rodata,"a",@progbits
	.p2align	6, 0x0
	.amdhsa_kernel _Z39paged_attention_ll4mi_QKV_mfma16_kernelI14__hip_bfloat16S0_LN4vllm18Fp8KVCacheDataTypeE0EhLi32ELi64ELi256ELb1ELi2EL8MFMAType0EEvPKT_PKT0_S9_ifPKiSB_SB_iPKfiiiPfSE_PS4_PT2_iSD_SD_
		.amdhsa_group_segment_fixed_size 17472
		.amdhsa_private_segment_fixed_size 0
		.amdhsa_kernarg_size 400
		.amdhsa_user_sgpr_count 13
		.amdhsa_user_sgpr_dispatch_ptr 0
		.amdhsa_user_sgpr_queue_ptr 0
		.amdhsa_user_sgpr_kernarg_segment_ptr 1
		.amdhsa_user_sgpr_dispatch_id 0
		.amdhsa_user_sgpr_private_segment_size 0
		.amdhsa_wavefront_size32 1
		.amdhsa_uses_dynamic_stack 0
		.amdhsa_enable_private_segment 0
		.amdhsa_system_sgpr_workgroup_id_x 1
		.amdhsa_system_sgpr_workgroup_id_y 1
		.amdhsa_system_sgpr_workgroup_id_z 1
		.amdhsa_system_sgpr_workgroup_info 0
		.amdhsa_system_vgpr_workitem_id 0
		.amdhsa_next_free_vgpr 144
		.amdhsa_next_free_sgpr 39
		.amdhsa_reserve_vcc 1
		.amdhsa_float_round_mode_32 0
		.amdhsa_float_round_mode_16_64 0
		.amdhsa_float_denorm_mode_32 3
		.amdhsa_float_denorm_mode_16_64 3
		.amdhsa_dx10_clamp 1
		.amdhsa_ieee_mode 1
		.amdhsa_fp16_overflow 0
		.amdhsa_workgroup_processor_mode 1
		.amdhsa_memory_ordered 1
		.amdhsa_forward_progress 0
		.amdhsa_shared_vgpr_count 0
		.amdhsa_exception_fp_ieee_invalid_op 0
		.amdhsa_exception_fp_denorm_src 0
		.amdhsa_exception_fp_ieee_div_zero 0
		.amdhsa_exception_fp_ieee_overflow 0
		.amdhsa_exception_fp_ieee_underflow 0
		.amdhsa_exception_fp_ieee_inexact 0
		.amdhsa_exception_int_div_zero 0
	.end_amdhsa_kernel
	.section	.text._Z39paged_attention_ll4mi_QKV_mfma16_kernelI14__hip_bfloat16S0_LN4vllm18Fp8KVCacheDataTypeE0EhLi32ELi64ELi256ELb1ELi2EL8MFMAType0EEvPKT_PKT0_S9_ifPKiSB_SB_iPKfiiiPfSE_PS4_PT2_iSD_SD_,"axG",@progbits,_Z39paged_attention_ll4mi_QKV_mfma16_kernelI14__hip_bfloat16S0_LN4vllm18Fp8KVCacheDataTypeE0EhLi32ELi64ELi256ELb1ELi2EL8MFMAType0EEvPKT_PKT0_S9_ifPKiSB_SB_iPKfiiiPfSE_PS4_PT2_iSD_SD_,comdat
.Lfunc_end515:
	.size	_Z39paged_attention_ll4mi_QKV_mfma16_kernelI14__hip_bfloat16S0_LN4vllm18Fp8KVCacheDataTypeE0EhLi32ELi64ELi256ELb1ELi2EL8MFMAType0EEvPKT_PKT0_S9_ifPKiSB_SB_iPKfiiiPfSE_PS4_PT2_iSD_SD_, .Lfunc_end515-_Z39paged_attention_ll4mi_QKV_mfma16_kernelI14__hip_bfloat16S0_LN4vllm18Fp8KVCacheDataTypeE0EhLi32ELi64ELi256ELb1ELi2EL8MFMAType0EEvPKT_PKT0_S9_ifPKiSB_SB_iPKfiiiPfSE_PS4_PT2_iSD_SD_
                                        ; -- End function
	.section	.AMDGPU.csdata,"",@progbits
; Kernel info:
; codeLenInByte = 9216
; NumSgprs: 41
; NumVgprs: 144
; ScratchSize: 0
; MemoryBound: 0
; FloatMode: 240
; IeeeMode: 1
; LDSByteSize: 17472 bytes/workgroup (compile time only)
; SGPRBlocks: 5
; VGPRBlocks: 17
; NumSGPRsForWavesPerEU: 41
; NumVGPRsForWavesPerEU: 144
; Occupancy: 10
; WaveLimiterHint : 1
; COMPUTE_PGM_RSRC2:SCRATCH_EN: 0
; COMPUTE_PGM_RSRC2:USER_SGPR: 13
; COMPUTE_PGM_RSRC2:TRAP_HANDLER: 0
; COMPUTE_PGM_RSRC2:TGID_X_EN: 1
; COMPUTE_PGM_RSRC2:TGID_Y_EN: 1
; COMPUTE_PGM_RSRC2:TGID_Z_EN: 1
; COMPUTE_PGM_RSRC2:TIDIG_COMP_CNT: 0
	.section	.text._Z39paged_attention_ll4mi_QKV_mfma16_kernelI14__hip_bfloat16S0_LN4vllm18Fp8KVCacheDataTypeE0EhLi32ELi64ELi256ELb1ELi3EL8MFMAType0EEvPKT_PKT0_S9_ifPKiSB_SB_iPKfiiiPfSE_PS4_PT2_iSD_SD_,"axG",@progbits,_Z39paged_attention_ll4mi_QKV_mfma16_kernelI14__hip_bfloat16S0_LN4vllm18Fp8KVCacheDataTypeE0EhLi32ELi64ELi256ELb1ELi3EL8MFMAType0EEvPKT_PKT0_S9_ifPKiSB_SB_iPKfiiiPfSE_PS4_PT2_iSD_SD_,comdat
	.protected	_Z39paged_attention_ll4mi_QKV_mfma16_kernelI14__hip_bfloat16S0_LN4vllm18Fp8KVCacheDataTypeE0EhLi32ELi64ELi256ELb1ELi3EL8MFMAType0EEvPKT_PKT0_S9_ifPKiSB_SB_iPKfiiiPfSE_PS4_PT2_iSD_SD_ ; -- Begin function _Z39paged_attention_ll4mi_QKV_mfma16_kernelI14__hip_bfloat16S0_LN4vllm18Fp8KVCacheDataTypeE0EhLi32ELi64ELi256ELb1ELi3EL8MFMAType0EEvPKT_PKT0_S9_ifPKiSB_SB_iPKfiiiPfSE_PS4_PT2_iSD_SD_
	.globl	_Z39paged_attention_ll4mi_QKV_mfma16_kernelI14__hip_bfloat16S0_LN4vllm18Fp8KVCacheDataTypeE0EhLi32ELi64ELi256ELb1ELi3EL8MFMAType0EEvPKT_PKT0_S9_ifPKiSB_SB_iPKfiiiPfSE_PS4_PT2_iSD_SD_
	.p2align	8
	.type	_Z39paged_attention_ll4mi_QKV_mfma16_kernelI14__hip_bfloat16S0_LN4vllm18Fp8KVCacheDataTypeE0EhLi32ELi64ELi256ELb1ELi3EL8MFMAType0EEvPKT_PKT0_S9_ifPKiSB_SB_iPKfiiiPfSE_PS4_PT2_iSD_SD_,@function
_Z39paged_attention_ll4mi_QKV_mfma16_kernelI14__hip_bfloat16S0_LN4vllm18Fp8KVCacheDataTypeE0EhLi32ELi64ELi256ELb1ELi3EL8MFMAType0EEvPKT_PKT0_S9_ifPKiSB_SB_iPKfiiiPfSE_PS4_PT2_iSD_SD_: ; @_Z39paged_attention_ll4mi_QKV_mfma16_kernelI14__hip_bfloat16S0_LN4vllm18Fp8KVCacheDataTypeE0EhLi32ELi64ELi256ELb1ELi3EL8MFMAType0EEvPKT_PKT0_S9_ifPKiSB_SB_iPKfiiiPfSE_PS4_PT2_iSD_SD_
; %bb.0:
	s_load_b64 s[2:3], s[0:1], 0x30
	s_mov_b32 s34, s13
	s_waitcnt lgkmcnt(0)
	s_cmp_lg_u64 s[2:3], 0
	s_cselect_b32 s6, -1, 0
	s_ashr_i32 s35, s13, 31
	s_cmp_eq_u64 s[2:3], 0
	s_cbranch_scc1 .LBB516_3
; %bb.1:
	s_lshl_b64 s[4:5], s[34:35], 2
	s_delay_alu instid0(SALU_CYCLE_1) | instskip(SKIP_4) | instid1(SALU_CYCLE_1)
	s_add_u32 s4, s2, s4
	s_addc_u32 s5, s3, s5
	s_load_b64 s[4:5], s[4:5], 0x0
	s_waitcnt lgkmcnt(0)
	s_sub_i32 s4, s5, s4
	s_cmp_eq_u32 s4, 1
	s_cselect_b32 s4, -1, 0
	s_delay_alu instid0(SALU_CYCLE_1)
	s_and_not1_b32 vcc_lo, exec_lo, s4
	s_cbranch_vccz .LBB516_4
.LBB516_2:
	s_nop 0
	s_sendmsg sendmsg(MSG_DEALLOC_VGPRS)
	s_endpgm
.LBB516_3:
.LBB516_4:
	s_load_b64 s[8:9], s[0:1], 0x28
	s_lshl_b64 s[4:5], s[34:35], 2
	s_waitcnt lgkmcnt(0)
	s_add_u32 s8, s8, s4
	s_addc_u32 s9, s9, s5
	s_lshl_b32 s16, s14, 8
	s_load_b32 s18, s[8:9], 0x0
	s_waitcnt lgkmcnt(0)
	s_cmp_ge_i32 s16, s18
	s_cbranch_scc1 .LBB516_2
; %bb.5:
	s_and_not1_b32 vcc_lo, exec_lo, s6
	s_cbranch_vccnz .LBB516_7
; %bb.6:
	s_add_u32 s2, s2, s4
	s_addc_u32 s3, s3, s5
	s_load_b32 s17, s[2:3], 0x0
	s_branch .LBB516_8
.LBB516_7:
	s_mov_b32 s17, s34
.LBB516_8:
	s_clause 0x2
	s_load_b128 s[8:11], s[0:1], 0x8
	s_load_b64 s[12:13], s[0:1], 0x20
	s_load_b128 s[4:7], s[0:1], 0x48
	v_lshrrev_b32_e32 v74, 5, v0
	v_bfe_u32 v83, v0, 4, 1
	v_and_b32_e32 v73, 15, v0
	s_delay_alu instid0(VALU_DEP_2) | instskip(NEXT) | instid1(VALU_DEP_2)
	v_lshl_or_b32 v3, v74, 1, v83
	v_cmp_lt_u32_e64 s3, 7, v73
	v_lshlrev_b32_e32 v1, 3, v73
	v_cmp_gt_u32_e64 s2, 8, v73
	s_delay_alu instid0(VALU_DEP_4) | instskip(NEXT) | instid1(VALU_DEP_4)
	v_cmp_lt_u32_e32 vcc_lo, 2, v3
	s_or_b32 s3, s3, vcc_lo
	s_waitcnt lgkmcnt(0)
	s_and_saveexec_b32 s7, s3
	s_delay_alu instid0(SALU_CYCLE_1)
	s_xor_b32 s3, exec_lo, s7
; %bb.9:
	v_mov_b32_e32 v2, 0
                                        ; implicit-def: $vgpr3
; %bb.10:
	s_or_saveexec_b32 s3, s3
	v_and_b32_e32 v75, 31, v0
	v_and_b32_e32 v84, 1, v0
	s_mul_i32 s31, s15, 3
	s_xor_b32 exec_lo, exec_lo, s3
	s_cbranch_execz .LBB516_12
; %bb.11:
	s_load_b64 s[20:21], s[0:1], 0x0
	v_add_lshl_u32 v4, v3, s31, 6
	s_mul_hi_i32 s23, s17, s4
	s_mul_i32 s22, s17, s4
	v_lshlrev_b32_e32 v2, 1, v1
	s_lshl_b64 s[22:23], s[22:23], 1
	v_ashrrev_i32_e32 v5, 31, v4
	v_lshlrev_b32_e32 v3, 6, v3
	v_lshlrev_b32_e32 v8, 10, v84
	s_delay_alu instid0(VALU_DEP_3) | instskip(SKIP_3) | instid1(VALU_DEP_1)
	v_lshlrev_b64 v[4:5], 1, v[4:5]
	s_waitcnt lgkmcnt(0)
	s_add_u32 s4, s20, s22
	s_addc_u32 s7, s21, s23
	v_add_co_u32 v4, vcc_lo, s4, v4
	s_delay_alu instid0(VALU_DEP_2) | instskip(NEXT) | instid1(VALU_DEP_2)
	v_add_co_ci_u32_e32 v5, vcc_lo, s7, v5, vcc_lo
	v_add_co_u32 v4, vcc_lo, v4, v2
	s_delay_alu instid0(VALU_DEP_2) | instskip(SKIP_3) | instid1(VALU_DEP_1)
	v_add_co_ci_u32_e32 v5, vcc_lo, 0, v5, vcc_lo
	v_lshlrev_b32_e32 v2, 10, v73
	global_load_b128 v[4:7], v[4:5], off
	v_and_b32_e32 v2, 0x3800, v2
	v_or3_b32 v3, v2, v8, v3
	v_mov_b32_e32 v2, 0
	s_waitcnt vmcnt(0)
	ds_store_b128 v3, v[4:7]
.LBB516_12:
	s_or_b32 exec_lo, exec_lo, s3
	v_and_b32_e32 v3, 0xef, v0
	s_add_i32 s3, s18, 31
	s_clause 0x1
	s_load_b32 s4, s[0:1], 0x38
	s_load_b32 s19, s[0:1], 0x1c
	s_ashr_i32 s7, s3, 31
	v_add_nc_u32_e32 v3, s16, v3
	s_lshr_b32 s7, s7, 27
	s_waitcnt lgkmcnt(0)
	s_add_i32 s3, s3, s7
	s_barrier
	v_ashrrev_i32_e32 v4, 31, v3
	v_cmp_gt_i32_e32 vcc_lo, s18, v3
	s_ashr_i32 s3, s3, 5
	buffer_gl0_inv
	s_add_i32 s3, s3, -1
	v_lshrrev_b32_e32 v5, 27, v4
	v_or_b32_e32 v4, 16, v3
	s_mul_i32 s6, s15, s6
	v_lshlrev_b64 v[81:82], 1, v[1:2]
	s_delay_alu instid0(VALU_DEP_3) | instskip(NEXT) | instid1(VALU_DEP_3)
	v_add_nc_u32_e32 v6, v3, v5
	v_add_nc_u32_e32 v5, v4, v5
	s_mul_i32 s20, s34, s4
	s_delay_alu instid0(SALU_CYCLE_1) | instskip(NEXT) | instid1(VALU_DEP_2)
	s_ashr_i32 s21, s20, 31
	v_ashrrev_i32_e32 v6, 5, v6
	s_delay_alu instid0(VALU_DEP_2) | instskip(SKIP_1) | instid1(SALU_CYCLE_1)
	v_ashrrev_i32_e32 v5, 5, v5
	s_lshl_b64 s[20:21], s[20:21], 2
	s_add_u32 s4, s12, s20
	s_delay_alu instid0(VALU_DEP_2) | instskip(SKIP_3) | instid1(SALU_CYCLE_1)
	v_cndmask_b32_e32 v3, s3, v6, vcc_lo
	v_cmp_gt_i32_e32 vcc_lo, s18, v4
	s_addc_u32 s17, s13, s21
	s_ashr_i32 s7, s6, 31
	s_lshl_b64 s[6:7], s[6:7], 1
	v_cndmask_b32_e32 v5, s3, v5, vcc_lo
	v_ashrrev_i32_e32 v4, 31, v3
	s_add_u32 s15, s8, s6
	s_addc_u32 s28, s9, s7
	s_lshl_b32 s8, s14, 3
	v_ashrrev_i32_e32 v6, 31, v5
	v_lshlrev_b64 v[3:4], 2, v[3:4]
	s_ashr_i32 s9, s8, 31
	s_delay_alu instid0(SALU_CYCLE_1) | instskip(NEXT) | instid1(VALU_DEP_2)
	s_lshl_b64 s[8:9], s[8:9], 2
	v_lshlrev_b64 v[5:6], 2, v[5:6]
	s_add_u32 s8, s4, s8
	s_delay_alu instid0(VALU_DEP_2) | instskip(SKIP_1) | instid1(VALU_DEP_3)
	v_add_co_u32 v3, vcc_lo, s4, v3
	v_add_co_ci_u32_e32 v4, vcc_lo, s17, v4, vcc_lo
	v_add_co_u32 v5, vcc_lo, s4, v5
	s_delay_alu instid0(VALU_DEP_4)
	v_add_co_ci_u32_e32 v6, vcc_lo, s17, v6, vcc_lo
	s_addc_u32 s9, s17, s9
	s_clause 0x1
	global_load_b32 v7, v[3:4], off
	global_load_b32 v8, v[5:6], off
	s_or_b32 s12, s16, 32
	s_delay_alu instid0(SALU_CYCLE_1) | instskip(SKIP_2) | instid1(SALU_CYCLE_1)
	s_ashr_i32 s13, s12, 5
	s_cmp_lt_i32 s12, s18
	s_cselect_b32 s12, s13, s3
	s_ashr_i32 s13, s12, 31
	s_delay_alu instid0(SALU_CYCLE_1) | instskip(NEXT) | instid1(SALU_CYCLE_1)
	s_lshl_b64 s[12:13], s[12:13], 2
	s_add_u32 s12, s4, s12
	s_addc_u32 s13, s17, s13
	s_or_b32 s20, s16, 64
	s_delay_alu instid0(SALU_CYCLE_1) | instskip(SKIP_2) | instid1(SALU_CYCLE_1)
	s_ashr_i32 s21, s20, 5
	s_cmp_lt_i32 s20, s18
	s_cselect_b32 s20, s21, s3
	s_ashr_i32 s21, s20, 31
	s_delay_alu instid0(SALU_CYCLE_1) | instskip(NEXT) | instid1(SALU_CYCLE_1)
	s_lshl_b64 s[20:21], s[20:21], 2
	s_add_u32 s20, s4, s20
	s_addc_u32 s21, s17, s21
	;; [unrolled: 10-line block ×5, first 2 shown]
	s_clause 0x5
	s_load_b32 s29, s[8:9], 0x0
	s_load_b32 s30, s[12:13], 0x0
	;; [unrolled: 1-line block ×6, first 2 shown]
	s_or_b32 s8, s16, 0xc0
	s_mov_b32 s20, 0
	s_ashr_i32 s9, s8, 5
	s_cmp_lt_i32 s8, s18
	s_mov_b32 s27, s20
	s_cselect_b32 s8, s9, s3
	s_mov_b32 s21, s20
	s_ashr_i32 s9, s8, 31
	s_mov_b32 s22, s20
	s_lshl_b64 s[8:9], s[8:9], 2
	s_mov_b32 s23, s20
	s_add_u32 s8, s4, s8
	s_mov_b32 s24, s20
	s_mov_b32 s25, s20
	;; [unrolled: 1-line block ×3, first 2 shown]
	s_addc_u32 s9, s17, s9
	v_mov_b32_e32 v117, s27
	v_dual_mov_b32 v110, s20 :: v_dual_lshlrev_b32 v85, 6, v73
	v_dual_mov_b32 v116, s26 :: v_dual_mov_b32 v115, s25
	v_dual_mov_b32 v114, s24 :: v_dual_mov_b32 v113, s23
	;; [unrolled: 1-line block ×3, first 2 shown]
	s_waitcnt lgkmcnt(0)
	s_mul_hi_i32 s13, s29, s5
	s_mul_i32 s12, s29, s5
	v_lshl_or_b32 v58, v74, 10, v85
	s_mul_hi_i32 s21, s30, s5
	s_mul_i32 s20, s30, s5
	s_mul_hi_i32 s25, s33, s5
	s_mul_i32 s24, s33, s5
	;; [unrolled: 2-line block ×3, first 2 shown]
	s_mul_hi_i32 s37, s38, s5
	s_waitcnt vmcnt(1)
	v_mad_i64_i32 v[3:4], null, v7, s5, 0
	s_waitcnt vmcnt(0)
	v_mad_i64_i32 v[5:6], null, v8, s5, 0
	s_delay_alu instid0(VALU_DEP_2) | instskip(NEXT) | instid1(VALU_DEP_2)
	v_lshlrev_b64 v[3:4], 1, v[3:4]
	v_lshlrev_b64 v[1:2], 1, v[5:6]
	s_delay_alu instid0(VALU_DEP_2) | instskip(NEXT) | instid1(VALU_DEP_3)
	v_add_co_u32 v3, vcc_lo, s15, v3
	v_add_co_ci_u32_e32 v4, vcc_lo, s28, v4, vcc_lo
	s_delay_alu instid0(VALU_DEP_3) | instskip(NEXT) | instid1(VALU_DEP_4)
	v_add_co_u32 v1, vcc_lo, s15, v1
	v_add_co_ci_u32_e32 v2, vcc_lo, s28, v2, vcc_lo
	s_delay_alu instid0(VALU_DEP_4) | instskip(NEXT) | instid1(VALU_DEP_4)
	v_add_co_u32 v41, vcc_lo, v3, v81
	v_add_co_ci_u32_e32 v42, vcc_lo, v4, v82, vcc_lo
	s_delay_alu instid0(VALU_DEP_4) | instskip(NEXT) | instid1(VALU_DEP_4)
	v_add_co_u32 v43, vcc_lo, v1, v81
	v_add_co_ci_u32_e32 v44, vcc_lo, v2, v82, vcc_lo
	s_clause 0xf
	global_load_b128 v[1:4], v[41:42], off
	global_load_b128 v[5:8], v[41:42], off offset:512
	global_load_b128 v[9:12], v[43:44], off offset:256
	global_load_b128 v[13:16], v[43:44], off offset:768
	global_load_b128 v[17:20], v[41:42], off offset:1024
	global_load_b128 v[21:24], v[41:42], off offset:1536
	global_load_b128 v[25:28], v[43:44], off offset:1280
	global_load_b128 v[29:32], v[43:44], off offset:1792
	global_load_b128 v[33:36], v[41:42], off offset:2048
	global_load_b128 v[37:40], v[41:42], off offset:2560
	global_load_b128 v[86:89], v[43:44], off offset:2304
	global_load_b128 v[90:93], v[43:44], off offset:2816
	global_load_b128 v[94:97], v[41:42], off offset:3072
	global_load_b128 v[98:101], v[41:42], off offset:3584
	global_load_b128 v[102:105], v[43:44], off offset:3328
	global_load_b128 v[106:109], v[43:44], off offset:3840
	v_mul_lo_u16 v41, 0x56, v73
	s_or_b32 s15, s16, 0xe0
	s_delay_alu instid0(SALU_CYCLE_1) | instskip(SKIP_1) | instid1(VALU_DEP_1)
	s_ashr_i32 s22, s15, 5
	s_cmp_lt_i32 s15, s18
	v_lshrrev_b16 v41, 8, v41
	s_cselect_b32 s22, s22, s3
	s_delay_alu instid0(SALU_CYCLE_1) | instskip(NEXT) | instid1(VALU_DEP_1)
	s_ashr_i32 s23, s22, 31
	v_mul_lo_u16 v41, v41, 3
	s_lshl_b64 s[22:23], s[22:23], 2
	s_delay_alu instid0(SALU_CYCLE_1) | instskip(SKIP_1) | instid1(VALU_DEP_1)
	s_add_u32 s22, s4, s22
	s_addc_u32 s23, s17, s23
	v_sub_nc_u16 v41, v73, v41
	s_add_i32 s15, s16, 0x100
	s_delay_alu instid0(SALU_CYCLE_1) | instskip(SKIP_1) | instid1(VALU_DEP_1)
	s_ashr_i32 s28, s15, 5
	s_cmp_lt_i32 s15, s18
	v_and_b32_e32 v41, 0xff, v41
	s_cselect_b32 s28, s28, s3
	s_delay_alu instid0(SALU_CYCLE_1) | instskip(NEXT) | instid1(VALU_DEP_1)
	s_ashr_i32 s29, s28, 31
	v_lshlrev_b32_e32 v57, 6, v41
	ds_load_b128 v[41:44], v57
	ds_load_b128 v[45:48], v57 offset:1024
	ds_load_b128 v[49:52], v57 offset:2048
	;; [unrolled: 1-line block ×7, first 2 shown]
	s_lshl_b64 s[28:29], s[28:29], 2
	s_load_b32 s15, s[8:9], 0x0
	s_add_u32 s28, s4, s28
	s_addc_u32 s29, s17, s29
	s_add_u32 s3, s10, s6
	s_clause 0x1
	s_load_b32 s4, s[22:23], 0x0
	s_load_b32 s17, s[28:29], 0x0
	s_addc_u32 s28, s11, s7
	v_add_co_u32 v76, s3, s3, v58
	s_delay_alu instid0(VALU_DEP_1) | instskip(SKIP_2) | instid1(VALU_DEP_2)
	v_add_co_ci_u32_e64 v77, null, s28, 0, s3
	s_lshl_b64 s[6:7], s[12:13], 1
	s_lshl_b64 s[10:11], s[20:21], 1
	v_add_co_u32 v57, vcc_lo, v76, s6
	s_delay_alu instid0(VALU_DEP_2)
	v_add_co_ci_u32_e32 v58, vcc_lo, s7, v77, vcc_lo
	s_lshl_b64 s[12:13], s[24:25], 1
	s_lshl_b64 s[20:21], s[26:27], 1
	s_mul_hi_i32 s9, s36, s5
	s_mul_i32 s8, s36, s5
	s_mul_i32 s36, s38, s5
	s_lshl_b64 s[8:9], s[8:9], 1
	s_lshl_b64 s[22:23], s[36:37], 1
	s_waitcnt lgkmcnt(0)
	s_mul_hi_i32 s25, s15, s5
	s_mul_i32 s24, s15, s5
	s_clause 0x1
	global_load_b128 v[65:68], v[57:58], off
	global_load_b128 v[69:72], v[57:58], off offset:16
	s_lshl_b64 s[6:7], s[24:25], 1
	s_waitcnt vmcnt(16)
	v_wmma_f32_16x16x16_bf16 v[134:141], v[1:8], v[41:48], v[110:117]
	v_add_co_u32 v1, vcc_lo, v76, s10
	v_add_co_ci_u32_e32 v2, vcc_lo, s11, v77, vcc_lo
	s_waitcnt vmcnt(12)
	s_delay_alu instid0(VALU_DEP_3) | instskip(SKIP_3) | instid1(VALU_DEP_3)
	v_wmma_f32_16x16x16_bf16 v[134:141], v[17:24], v[49:56], v[134:141]
	v_add_co_u32 v3, vcc_lo, v76, s12
	v_add_co_ci_u32_e32 v4, vcc_lo, s13, v77, vcc_lo
	s_waitcnt vmcnt(8)
	v_wmma_f32_16x16x16_bf16 v[134:141], v[33:40], v[118:125], v[134:141]
	v_add_co_u32 v5, vcc_lo, v76, s20
	v_add_co_ci_u32_e32 v6, vcc_lo, s21, v77, vcc_lo
	s_waitcnt vmcnt(4)
	s_delay_alu instid0(VALU_DEP_3) | instskip(SKIP_2) | instid1(VALU_DEP_3)
	v_wmma_f32_16x16x16_bf16 v[134:141], v[94:101], v[126:133], v[134:141]
	v_add_co_u32 v7, vcc_lo, v76, s8
	v_add_co_ci_u32_e32 v8, vcc_lo, s9, v77, vcc_lo
	v_mul_f32_e32 v100, s19, v141
	v_wmma_f32_16x16x16_bf16 v[110:117], v[9:16], v[41:48], v[110:117]
	s_clause 0x1
	global_load_b128 v[57:60], v[1:2], off
	global_load_b128 v[61:64], v[1:2], off offset:16
	s_mul_hi_i32 s9, s4, s5
	s_mul_i32 s8, s4, s5
	v_wmma_f32_16x16x16_bf16 v[110:117], v[25:32], v[49:56], v[110:117]
	s_clause 0x5
	global_load_b128 v[49:52], v[3:4], off
	global_load_b128 v[53:56], v[3:4], off offset:16
	global_load_b128 v[41:44], v[5:6], off
	global_load_b128 v[45:48], v[5:6], off offset:16
	;; [unrolled: 2-line block ×3, first 2 shown]
	v_add_co_u32 v5, vcc_lo, v76, s22
	v_add_co_ci_u32_e32 v6, vcc_lo, s23, v77, vcc_lo
	v_add_co_u32 v17, vcc_lo, v76, s6
	v_add_co_ci_u32_e32 v18, vcc_lo, s7, v77, vcc_lo
	s_lshl_b64 s[6:7], s[8:9], 1
	s_mul_hi_i32 s9, s17, s5
	s_mul_i32 s8, s17, s5
	v_add_co_u32 v19, vcc_lo, v76, s6
	s_lshl_b64 s[4:5], s[8:9], 1
	v_add_co_ci_u32_e32 v20, vcc_lo, s7, v77, vcc_lo
	v_add_co_u32 v21, vcc_lo, v76, s4
	v_add_co_ci_u32_e32 v22, vcc_lo, s5, v77, vcc_lo
	s_clause 0x7
	global_load_b128 v[1:4], v[5:6], off
	global_load_b128 v[5:8], v[5:6], off offset:16
	global_load_b128 v[33:36], v[17:18], off
	global_load_b128 v[37:40], v[17:18], off offset:16
	;; [unrolled: 2-line block ×4, first 2 shown]
	v_and_b32_e32 v76, 0xe0, v0
	v_mbcnt_lo_u32_b32 v77, -1, 0
	v_wmma_f32_16x16x16_bf16 v[110:117], v[86:93], v[118:125], v[110:117]
	s_waitcnt vmcnt(0)
	s_barrier
	v_add_nc_u32_e32 v76, s16, v76
	v_xor_b32_e32 v78, 16, v77
	v_wmma_f32_16x16x16_bf16 v[110:117], v[102:109], v[126:133], v[110:117]
	v_mul_f32_e32 v97, s19, v134
	v_mul_f32_e32 v99, s19, v135
	v_or_b32_e32 v76, v76, v83
	v_cmp_gt_i32_e32 vcc_lo, 32, v78
	buffer_gl0_inv
	v_or_b32_e32 v79, 4, v76
	v_cndmask_b32_e32 v77, v77, v78, vcc_lo
	v_or_b32_e32 v78, 2, v76
	v_or_b32_e32 v80, 6, v76
	;; [unrolled: 1-line block ×3, first 2 shown]
	v_cmp_gt_i32_e32 vcc_lo, s18, v76
	v_or_b32_e32 v87, 10, v76
	v_cmp_gt_i32_e64 s3, s18, v78
	v_or_b32_e32 v88, 12, v76
	v_or_b32_e32 v89, 14, v76
	;; [unrolled: 1-line block ×10, first 2 shown]
	v_cndmask_b32_e64 v78, 0xff7fffff, v99, s3
	v_mul_f32_e32 v99, s19, v137
	v_cmp_gt_i32_e64 s4, s18, v80
	v_mul_f32_e32 v80, s19, v136
	v_cmp_gt_i32_e64 s5, s18, v79
	v_cmp_gt_i32_e64 s6, s18, v86
	v_mul_f32_e32 v86, s19, v116
	v_cndmask_b32_e32 v76, 0xff7fffff, v97, vcc_lo
	v_mul_f32_e32 v79, s19, v139
	v_cndmask_b32_e64 v80, 0xff7fffff, v80, s5
	v_cndmask_b32_e64 v99, 0xff7fffff, v99, s4
	v_cmp_gt_i32_e64 s7, s18, v87
	v_max3_f32 v76, v76, 0xff7fffff, v78
	v_dual_mul_f32 v78, s19, v138 :: v_dual_mul_f32 v97, s19, v140
	v_cmp_gt_i32_e64 s8, s18, v89
	s_delay_alu instid0(VALU_DEP_4) | instskip(NEXT) | instid1(VALU_DEP_4)
	v_cndmask_b32_e64 v79, 0xff7fffff, v79, s7
	v_max3_f32 v76, v76, v80, v99
	s_delay_alu instid0(VALU_DEP_4) | instskip(SKIP_3) | instid1(VALU_DEP_4)
	v_cndmask_b32_e64 v78, 0xff7fffff, v78, s6
	v_cmp_gt_i32_e64 s9, s18, v88
	v_dual_mul_f32 v88, s19, v111 :: v_dual_mul_f32 v89, s19, v110
	v_cndmask_b32_e64 v100, 0xff7fffff, v100, s8
	v_max3_f32 v76, v76, v78, v79
	s_delay_alu instid0(VALU_DEP_4) | instskip(SKIP_3) | instid1(VALU_DEP_4)
	v_cndmask_b32_e64 v97, 0xff7fffff, v97, s9
	v_cmp_gt_i32_e64 s10, s18, v90
	v_cmp_gt_i32_e64 s11, s18, v91
	v_dual_mul_f32 v78, s19, v113 :: v_dual_mul_f32 v79, s19, v112
	v_max3_f32 v76, v76, v97, v100
	s_delay_alu instid0(VALU_DEP_4) | instskip(NEXT) | instid1(VALU_DEP_4)
	v_cndmask_b32_e64 v89, 0xff7fffff, v89, s10
	v_cndmask_b32_e64 v88, 0xff7fffff, v88, s11
	v_cmp_gt_i32_e64 s12, s18, v92
	v_cmp_gt_i32_e64 s13, s18, v93
	v_mul_f32_e32 v87, s19, v115
	v_mul_f32_e32 v99, s19, v114
	v_max3_f32 v76, v76, v89, v88
	v_cndmask_b32_e64 v79, 0xff7fffff, v79, s12
	v_cndmask_b32_e64 v78, 0xff7fffff, v78, s13
	v_cmp_gt_i32_e64 s15, s18, v94
	v_cmp_gt_i32_e64 s16, s18, v95
	v_mul_f32_e32 v80, s19, v117
	v_cmp_gt_i32_e64 s17, s18, v96
	v_max3_f32 v76, v76, v79, v78
	v_cndmask_b32_e64 v88, 0xff7fffff, v99, s15
	v_cndmask_b32_e64 v87, 0xff7fffff, v87, s16
	v_cmp_gt_i32_e64 s18, s18, v98
	v_cndmask_b32_e64 v78, 0xff7fffff, v86, s17
	v_lshlrev_b32_e32 v99, 2, v77
	s_delay_alu instid0(VALU_DEP_4) | instskip(NEXT) | instid1(VALU_DEP_4)
	v_max3_f32 v76, v76, v88, v87
	v_cndmask_b32_e64 v79, 0xff7fffff, v80, s18
	s_delay_alu instid0(VALU_DEP_1) | instskip(SKIP_3) | instid1(VALU_DEP_1)
	v_max3_f32 v76, v76, v78, v79
	ds_bpermute_b32 v77, v99, v76
	s_waitcnt lgkmcnt(0)
	v_max_f32_e32 v77, v77, v77
	v_max_f32_e32 v76, v76, v77
	s_delay_alu instid0(VALU_DEP_1)
	v_fma_f32 v86, s19, v138, -v76
	v_fma_f32 v77, s19, v134, -v76
	;; [unrolled: 1-line block ×5, first 2 shown]
	v_mul_f32_e32 v86, 0x3fb8aa3b, v86
	v_fma_f32 v88, s19, v114, -v76
	s_delay_alu instid0(VALU_DEP_4) | instskip(NEXT) | instid1(VALU_DEP_4)
	v_dual_mul_f32 v78, 0x3fb8aa3b, v78 :: v_dual_mul_f32 v79, 0x3fb8aa3b, v79
	v_mul_f32_e32 v80, 0x3fb8aa3b, v80
	s_delay_alu instid0(VALU_DEP_4) | instskip(SKIP_1) | instid1(VALU_DEP_3)
	v_exp_f32_e32 v86, v86
	v_fma_f32 v87, s19, v140, -v76
	v_exp_f32_e32 v78, v78
	v_exp_f32_e32 v79, v79
	;; [unrolled: 1-line block ×3, first 2 shown]
	s_delay_alu instid0(VALU_DEP_1)
	v_dual_mul_f32 v88, 0x3fb8aa3b, v88 :: v_dual_mul_f32 v87, 0x3fb8aa3b, v87
	v_fma_f32 v100, s19, v117, -v76
	v_fma_f32 v90, s19, v116, -v76
	v_cndmask_b32_e64 v96, 0, v86, s6
	v_fma_f32 v86, s19, v111, -v76
	v_mul_f32_e32 v77, 0x3fb8aa3b, v77
	s_delay_alu instid0(TRANS32_DEP_3) | instskip(NEXT) | instid1(TRANS32_DEP_2)
	v_cndmask_b32_e64 v91, 0, v78, s3
	v_cndmask_b32_e64 v93, 0, v79, s5
	s_delay_alu instid0(TRANS32_DEP_1)
	v_cndmask_b32_e64 v95, 0, v80, s4
	v_mul_f32_e32 v86, 0x3fb8aa3b, v86
	v_exp_f32_e32 v77, v77
	v_fma_f32 v79, s19, v141, -v76
	v_fma_f32 v80, s19, v110, -v76
	v_exp_f32_e32 v87, v87
	v_exp_f32_e32 v86, v86
	s_delay_alu instid0(VALU_DEP_2) | instskip(NEXT) | instid1(VALU_DEP_2)
	v_dual_mul_f32 v100, 0x3fb8aa3b, v100 :: v_dual_mul_f32 v79, 0x3fb8aa3b, v79
	v_mul_f32_e32 v80, 0x3fb8aa3b, v80
	v_exp_f32_e32 v88, v88
	v_cmp_gt_u32_e64 s3, 16, v75
	v_cndmask_b32_e32 v92, 0, v77, vcc_lo
	v_fma_f32 v77, s19, v139, -v76
	v_exp_f32_e32 v79, v79
	v_exp_f32_e32 v80, v80
	v_cndmask_b32_e64 v94, 0, v87, s9
	s_delay_alu instid0(VALU_DEP_2) | instskip(SKIP_2) | instid1(VALU_DEP_2)
	v_dual_add_f32 v78, 0, v92 :: v_dual_mul_f32 v77, 0x3fb8aa3b, v77
	v_fma_f32 v87, s19, v113, -v76
	v_exp_f32_e32 v100, v100
	v_add_f32_e32 v78, v78, v91
	s_delay_alu instid0(VALU_DEP_3) | instskip(SKIP_1) | instid1(VALU_DEP_2)
	v_exp_f32_e32 v77, v77
	v_cndmask_b32_e64 v98, 0, v79, s8
	v_dual_mul_f32 v87, 0x3fb8aa3b, v87 :: v_dual_add_f32 v78, v78, v93
	s_delay_alu instid0(VALU_DEP_1) | instskip(NEXT) | instid1(VALU_DEP_1)
	v_exp_f32_e32 v87, v87
	v_add_f32_e32 v78, v78, v95
	s_waitcnt_depctr 0xfff
	v_cndmask_b32_e64 v97, 0, v77, s7
	v_add_f32_e32 v77, v78, v96
	v_fma_f32 v78, s19, v112, -v76
	s_delay_alu instid0(VALU_DEP_1) | instskip(NEXT) | instid1(VALU_DEP_1)
	v_mul_f32_e32 v78, 0x3fb8aa3b, v78
	v_exp_f32_e32 v89, v78
	v_cndmask_b32_e64 v78, 0, v86, s11
	v_add_f32_e32 v77, v77, v97
	s_delay_alu instid0(VALU_DEP_1) | instskip(SKIP_2) | instid1(VALU_DEP_1)
	v_add_f32_e32 v79, v77, v94
	v_cndmask_b32_e64 v77, 0, v80, s10
	v_fma_f32 v80, s19, v115, -v76
	v_dual_add_f32 v79, v79, v98 :: v_dual_mul_f32 v80, 0x3fb8aa3b, v80
	s_delay_alu instid0(VALU_DEP_1) | instskip(NEXT) | instid1(TRANS32_DEP_1)
	v_add_f32_e32 v86, v79, v77
	v_cndmask_b32_e64 v79, 0, v89, s12
	v_mul_f32_e32 v89, 0x3fb8aa3b, v90
	s_delay_alu instid0(VALU_DEP_4) | instskip(SKIP_2) | instid1(VALU_DEP_3)
	v_exp_f32_e32 v90, v80
	v_cndmask_b32_e64 v80, 0, v87, s13
	v_add_f32_e32 v86, v86, v78
	v_exp_f32_e32 v89, v89
	s_delay_alu instid0(VALU_DEP_1) | instskip(SKIP_1) | instid1(VALU_DEP_2)
	v_add_f32_e32 v87, v86, v79
	v_cndmask_b32_e64 v86, 0, v88, s15
	v_add_f32_e32 v88, v87, v80
	s_delay_alu instid0(TRANS32_DEP_2) | instskip(NEXT) | instid1(VALU_DEP_2)
	v_cndmask_b32_e64 v87, 0, v90, s16
	v_add_f32_e32 v90, v88, v86
	s_waitcnt_depctr 0xfff
	v_cndmask_b32_e64 v88, 0, v89, s17
	v_add_f32_e32 v89, v90, v87
	s_delay_alu instid0(VALU_DEP_1) | instskip(SKIP_1) | instid1(VALU_DEP_1)
	v_add_f32_e32 v90, v89, v88
	v_cndmask_b32_e64 v89, 0, v100, s18
	v_add_f32_e32 v90, v90, v89
	ds_bpermute_b32 v99, v99, v90
	s_and_saveexec_b32 s4, s3
	s_cbranch_execz .LBB516_14
; %bb.13:
	v_mul_u32_u24_e32 v75, 0x44, v74
	s_waitcnt lgkmcnt(0)
	v_add_f32_e32 v90, v90, v99
	s_delay_alu instid0(VALU_DEP_2) | instskip(NEXT) | instid1(VALU_DEP_1)
	v_lshl_add_u32 v75, v73, 2, v75
	v_add_nc_u32_e32 v75, 0x4000, v75
	ds_store_2addr_b32 v75, v76, v90 offset1:136
.LBB516_14:
	s_or_b32 exec_lo, exec_lo, s4
	v_lshlrev_b32_e32 v75, 2, v73
	s_waitcnt lgkmcnt(0)
	s_barrier
	buffer_gl0_inv
	v_cmp_eq_u32_e64 s4, 1, v74
	v_add_nc_u32_e32 v90, 0x4000, v75
	ds_load_2addr_b32 v[99:100], v90 offset1:17
	ds_load_2addr_b32 v[101:102], v90 offset0:34 offset1:51
	ds_load_2addr_b32 v[103:104], v90 offset0:68 offset1:85
	;; [unrolled: 1-line block ×4, first 2 shown]
	s_waitcnt lgkmcnt(4)
	v_max3_f32 v75, v99, 0xff7fffff, v100
	s_waitcnt lgkmcnt(3)
	s_delay_alu instid0(VALU_DEP_1) | instskip(SKIP_1) | instid1(VALU_DEP_1)
	v_max3_f32 v75, v75, v101, v102
	s_waitcnt lgkmcnt(2)
	v_max3_f32 v75, v75, v103, v104
	s_waitcnt lgkmcnt(1)
	s_delay_alu instid0(VALU_DEP_1) | instskip(NEXT) | instid1(VALU_DEP_1)
	v_max3_f32 v75, v75, v105, v106
	v_sub_f32_e32 v109, v100, v75
	v_sub_f32_e32 v76, v99, v75
	ds_load_2addr_b32 v[99:100], v90 offset0:170 offset1:187
	v_sub_f32_e32 v101, v101, v75
	v_dual_mul_f32 v109, 0x3fb8aa3b, v109 :: v_dual_mul_f32 v76, 0x3fb8aa3b, v76
	s_delay_alu instid0(VALU_DEP_2) | instskip(NEXT) | instid1(VALU_DEP_2)
	v_mul_f32_e32 v111, 0x3fb8aa3b, v101
	v_exp_f32_e32 v109, v109
	s_delay_alu instid0(VALU_DEP_2)
	v_exp_f32_e32 v110, v76
	v_sub_f32_e32 v76, v102, v75
	ds_load_2addr_b32 v[101:102], v90 offset0:204 offset1:221
	v_exp_f32_e32 v111, v111
	v_mul_f32_e32 v112, 0x3fb8aa3b, v76
	s_waitcnt lgkmcnt(2)
	v_fma_f32 v76, v110, v107, 0
	v_sub_f32_e32 v103, v103, v75
	s_delay_alu instid0(VALU_DEP_3) | instskip(NEXT) | instid1(VALU_DEP_2)
	v_exp_f32_e32 v112, v112
	v_dual_sub_f32 v107, v104, v75 :: v_dual_fmac_f32 v76, v109, v108
	s_waitcnt lgkmcnt(1)
	s_waitcnt_depctr 0xfff
	v_fmac_f32_e32 v76, v111, v99
	v_mul_f32_e32 v113, 0x3fb8aa3b, v103
	ds_load_2addr_b32 v[103:104], v90 offset0:238 offset1:255
	v_sub_f32_e32 v90, v105, v75
	v_dual_sub_f32 v99, v106, v75 :: v_dual_fmac_f32 v76, v112, v100
	v_mul_f32_e32 v105, 0x3fb8aa3b, v107
	v_exp_f32_e32 v107, v113
	s_delay_alu instid0(VALU_DEP_2)
	v_dual_mul_f32 v90, 0x3fb8aa3b, v90 :: v_dual_mul_f32 v99, 0x3fb8aa3b, v99
	s_waitcnt lgkmcnt(0)
	s_barrier
	buffer_gl0_inv
	v_exp_f32_e32 v90, v90
	v_exp_f32_e32 v99, v99
	v_fmac_f32_e32 v76, v107, v101
	v_exp_f32_e32 v105, v105
	s_waitcnt_depctr 0xfff
	v_fmac_f32_e32 v76, v105, v102
	s_delay_alu instid0(VALU_DEP_1) | instskip(NEXT) | instid1(VALU_DEP_1)
	v_fmac_f32_e32 v76, v90, v103
	v_fmac_f32_e32 v76, v99, v104
	s_delay_alu instid0(VALU_DEP_1) | instskip(NEXT) | instid1(VALU_DEP_1)
	v_add_f32_e32 v100, 0x358637bd, v76
	v_div_scale_f32 v101, null, v100, v100, 1.0
	v_div_scale_f32 v104, vcc_lo, 1.0, v100, 1.0
	s_delay_alu instid0(VALU_DEP_2) | instskip(SKIP_2) | instid1(VALU_DEP_1)
	v_rcp_f32_e32 v102, v101
	s_waitcnt_depctr 0xfff
	v_fma_f32 v103, -v101, v102, 1.0
	v_fmac_f32_e32 v102, v103, v102
	v_cndmask_b32_e64 v103, v110, v109, s4
	v_cmp_eq_u32_e64 s4, 2, v74
	s_delay_alu instid0(VALU_DEP_3) | instskip(NEXT) | instid1(VALU_DEP_2)
	v_mul_f32_e32 v106, v104, v102
	v_cndmask_b32_e64 v103, v103, v111, s4
	v_cmp_eq_u32_e64 s4, 3, v74
	s_delay_alu instid0(VALU_DEP_3) | instskip(NEXT) | instid1(VALU_DEP_2)
	v_fma_f32 v108, -v101, v106, v104
	v_cndmask_b32_e64 v103, v103, v112, s4
	v_cmp_eq_u32_e64 s4, 4, v74
	s_delay_alu instid0(VALU_DEP_3) | instskip(NEXT) | instid1(VALU_DEP_2)
	v_fmac_f32_e32 v106, v108, v102
	v_cndmask_b32_e64 v103, v103, v107, s4
	s_delay_alu instid0(VALU_DEP_2) | instskip(SKIP_1) | instid1(VALU_DEP_2)
	v_fma_f32 v101, -v101, v106, v104
	v_cmp_eq_u32_e64 s4, 5, v74
	v_div_fmas_f32 v101, v101, v102, v106
	s_delay_alu instid0(VALU_DEP_2) | instskip(SKIP_2) | instid1(VALU_DEP_3)
	v_cndmask_b32_e64 v103, v103, v105, s4
	v_cmp_eq_u32_e32 vcc_lo, 6, v74
	s_mov_b32 s4, exec_lo
	v_div_fixup_f32 v100, v101, v100, 1.0
	s_delay_alu instid0(VALU_DEP_3) | instskip(SKIP_1) | instid1(VALU_DEP_2)
	v_cndmask_b32_e32 v90, v103, v90, vcc_lo
	v_cmp_eq_u32_e32 vcc_lo, 7, v74
	v_cndmask_b32_e32 v90, v90, v99, vcc_lo
	s_delay_alu instid0(VALU_DEP_1) | instskip(NEXT) | instid1(VALU_DEP_1)
	v_mul_f32_e32 v90, v90, v100
	v_mul_f32_e32 v100, v90, v92
	v_mul_f32_e32 v92, v90, v98
	v_mul_f32_e32 v94, v90, v94
	v_mul_f32_e32 v97, v90, v97
	v_mul_f32_e32 v98, v90, v96
	v_and_b32_e32 v101, 0x7f800000, v100
	v_mul_f32_e32 v99, v90, v95
	v_mul_f32_e32 v95, v90, v91
	;; [unrolled: 1-line block ×3, first 2 shown]
                                        ; implicit-def: $vgpr91
	s_delay_alu instid0(VALU_DEP_4)
	v_cmpx_ne_u32_e32 0x7f800000, v101
	s_xor_b32 s4, exec_lo, s4
; %bb.15:
	v_bfe_u32 v91, v100, 16, 1
	s_delay_alu instid0(VALU_DEP_1)
	v_add3_u32 v91, v100, v91, 0x7fff
                                        ; implicit-def: $vgpr100
; %bb.16:
	s_and_not1_saveexec_b32 s4, s4
; %bb.17:
	v_and_b32_e32 v91, 0xffff, v100
	v_or_b32_e32 v93, 0x10000, v100
	s_delay_alu instid0(VALU_DEP_2) | instskip(NEXT) | instid1(VALU_DEP_2)
	v_cmp_eq_u32_e32 vcc_lo, 0, v91
	v_cndmask_b32_e32 v91, v93, v100, vcc_lo
; %bb.18:
	s_or_b32 exec_lo, exec_lo, s4
	v_and_b32_e32 v93, 0x7f800000, v95
	s_delay_alu instid0(VALU_DEP_1) | instskip(SKIP_1) | instid1(SALU_CYCLE_1)
	v_cmp_ne_u32_e32 vcc_lo, 0x7f800000, v93
                                        ; implicit-def: $vgpr93
	s_and_saveexec_b32 s4, vcc_lo
	s_xor_b32 s4, exec_lo, s4
; %bb.19:
	v_bfe_u32 v93, v95, 16, 1
	s_delay_alu instid0(VALU_DEP_1)
	v_add3_u32 v93, v95, v93, 0x7fff
                                        ; implicit-def: $vgpr95
; %bb.20:
	s_and_not1_saveexec_b32 s4, s4
; %bb.21:
	v_and_b32_e32 v93, 0xffff, v95
	v_or_b32_e32 v100, 0x10000, v95
	s_delay_alu instid0(VALU_DEP_2) | instskip(NEXT) | instid1(VALU_DEP_2)
	v_cmp_eq_u32_e32 vcc_lo, 0, v93
	v_cndmask_b32_e32 v93, v100, v95, vcc_lo
; %bb.22:
	s_or_b32 exec_lo, exec_lo, s4
	v_and_b32_e32 v95, 0x7f800000, v96
	s_delay_alu instid0(VALU_DEP_1) | instskip(SKIP_1) | instid1(SALU_CYCLE_1)
	v_cmp_ne_u32_e32 vcc_lo, 0x7f800000, v95
                                        ; implicit-def: $vgpr95
	s_and_saveexec_b32 s4, vcc_lo
	s_xor_b32 s4, exec_lo, s4
; %bb.23:
	v_bfe_u32 v95, v96, 16, 1
	s_delay_alu instid0(VALU_DEP_1)
	v_add3_u32 v95, v96, v95, 0x7fff
                                        ; implicit-def: $vgpr96
; %bb.24:
	s_and_not1_saveexec_b32 s4, s4
; %bb.25:
	v_and_b32_e32 v95, 0xffff, v96
	v_or_b32_e32 v100, 0x10000, v96
	s_delay_alu instid0(VALU_DEP_2) | instskip(NEXT) | instid1(VALU_DEP_2)
	v_cmp_eq_u32_e32 vcc_lo, 0, v95
	v_cndmask_b32_e32 v95, v100, v96, vcc_lo
; %bb.26:
	s_or_b32 exec_lo, exec_lo, s4
	v_and_b32_e32 v96, 0x7f800000, v99
	s_delay_alu instid0(VALU_DEP_1) | instskip(SKIP_1) | instid1(SALU_CYCLE_1)
	v_cmp_ne_u32_e32 vcc_lo, 0x7f800000, v96
                                        ; implicit-def: $vgpr96
	s_and_saveexec_b32 s4, vcc_lo
	s_xor_b32 s4, exec_lo, s4
; %bb.27:
	v_bfe_u32 v96, v99, 16, 1
	s_delay_alu instid0(VALU_DEP_1)
	v_add3_u32 v96, v99, v96, 0x7fff
                                        ; implicit-def: $vgpr99
; %bb.28:
	s_and_not1_saveexec_b32 s4, s4
; %bb.29:
	v_and_b32_e32 v96, 0xffff, v99
	v_or_b32_e32 v100, 0x10000, v99
	s_delay_alu instid0(VALU_DEP_2) | instskip(NEXT) | instid1(VALU_DEP_2)
	v_cmp_eq_u32_e32 vcc_lo, 0, v96
	v_cndmask_b32_e32 v96, v100, v99, vcc_lo
; %bb.30:
	s_or_b32 exec_lo, exec_lo, s4
	v_and_b32_e32 v99, 0x7f800000, v98
	s_delay_alu instid0(VALU_DEP_1) | instskip(SKIP_1) | instid1(SALU_CYCLE_1)
	v_cmp_ne_u32_e32 vcc_lo, 0x7f800000, v99
                                        ; implicit-def: $vgpr99
	s_and_saveexec_b32 s4, vcc_lo
	s_xor_b32 s4, exec_lo, s4
; %bb.31:
	v_bfe_u32 v99, v98, 16, 1
	s_delay_alu instid0(VALU_DEP_1)
	v_add3_u32 v99, v98, v99, 0x7fff
                                        ; implicit-def: $vgpr98
; %bb.32:
	s_and_not1_saveexec_b32 s4, s4
; %bb.33:
	v_and_b32_e32 v99, 0xffff, v98
	v_or_b32_e32 v100, 0x10000, v98
	s_delay_alu instid0(VALU_DEP_2) | instskip(NEXT) | instid1(VALU_DEP_2)
	v_cmp_eq_u32_e32 vcc_lo, 0, v99
	v_cndmask_b32_e32 v99, v100, v98, vcc_lo
; %bb.34:
	s_or_b32 exec_lo, exec_lo, s4
	v_and_b32_e32 v98, 0x7f800000, v97
	s_delay_alu instid0(VALU_DEP_1) | instskip(SKIP_1) | instid1(SALU_CYCLE_1)
	v_cmp_ne_u32_e32 vcc_lo, 0x7f800000, v98
                                        ; implicit-def: $vgpr98
	s_and_saveexec_b32 s4, vcc_lo
	s_xor_b32 s4, exec_lo, s4
; %bb.35:
	v_bfe_u32 v98, v97, 16, 1
	s_delay_alu instid0(VALU_DEP_1)
	v_add3_u32 v98, v97, v98, 0x7fff
                                        ; implicit-def: $vgpr97
; %bb.36:
	s_and_not1_saveexec_b32 s4, s4
; %bb.37:
	v_and_b32_e32 v98, 0xffff, v97
	v_or_b32_e32 v100, 0x10000, v97
	s_delay_alu instid0(VALU_DEP_2) | instskip(NEXT) | instid1(VALU_DEP_2)
	v_cmp_eq_u32_e32 vcc_lo, 0, v98
	v_cndmask_b32_e32 v98, v100, v97, vcc_lo
; %bb.38:
	s_or_b32 exec_lo, exec_lo, s4
	v_and_b32_e32 v97, 0x7f800000, v94
	s_delay_alu instid0(VALU_DEP_1) | instskip(SKIP_1) | instid1(SALU_CYCLE_1)
	v_cmp_ne_u32_e32 vcc_lo, 0x7f800000, v97
                                        ; implicit-def: $vgpr97
	s_and_saveexec_b32 s4, vcc_lo
	s_xor_b32 s4, exec_lo, s4
; %bb.39:
	v_bfe_u32 v97, v94, 16, 1
	s_delay_alu instid0(VALU_DEP_1)
	v_add3_u32 v97, v94, v97, 0x7fff
                                        ; implicit-def: $vgpr94
; %bb.40:
	s_and_not1_saveexec_b32 s4, s4
; %bb.41:
	v_and_b32_e32 v97, 0xffff, v94
	v_or_b32_e32 v100, 0x10000, v94
	s_delay_alu instid0(VALU_DEP_2) | instskip(NEXT) | instid1(VALU_DEP_2)
	v_cmp_eq_u32_e32 vcc_lo, 0, v97
	v_cndmask_b32_e32 v97, v100, v94, vcc_lo
; %bb.42:
	s_or_b32 exec_lo, exec_lo, s4
	v_and_b32_e32 v94, 0x7f800000, v92
	s_delay_alu instid0(VALU_DEP_1) | instskip(SKIP_1) | instid1(SALU_CYCLE_1)
	v_cmp_ne_u32_e32 vcc_lo, 0x7f800000, v94
                                        ; implicit-def: $vgpr94
	s_and_saveexec_b32 s4, vcc_lo
	s_xor_b32 s4, exec_lo, s4
; %bb.43:
	v_bfe_u32 v94, v92, 16, 1
	s_delay_alu instid0(VALU_DEP_1)
	v_add3_u32 v94, v92, v94, 0x7fff
                                        ; implicit-def: $vgpr92
; %bb.44:
	s_and_not1_saveexec_b32 s4, s4
; %bb.45:
	v_and_b32_e32 v94, 0xffff, v92
	v_or_b32_e32 v100, 0x10000, v92
	s_delay_alu instid0(VALU_DEP_2) | instskip(NEXT) | instid1(VALU_DEP_2)
	v_cmp_eq_u32_e32 vcc_lo, 0, v94
	v_cndmask_b32_e32 v94, v100, v92, vcc_lo
; %bb.46:
	s_or_b32 exec_lo, exec_lo, s4
	s_load_b64 s[36:37], s[0:1], 0x94
	v_lshlrev_b32_e32 v92, 4, v83
	s_delay_alu instid0(VALU_DEP_2)
	v_perm_b32 v100, v94, v97, 0x7060302
	v_dual_mul_f32 v89, v90, v89 :: v_dual_lshlrev_b32 v94, 11, v74
	v_perm_b32 v97, v93, v91, 0x7060302
	v_mul_f32_e32 v93, v90, v77
	v_perm_b32 v99, v98, v99, 0x7060302
	v_perm_b32 v98, v96, v95, 0x7060302
	v_or3_b32 v77, v92, v94, v85
	v_mul_f32_e32 v88, v90, v88
	v_dual_mul_f32 v87, v90, v87 :: v_dual_and_b32 v94, 0x7f800000, v93
	v_mul_f32_e32 v86, v90, v86
	v_mul_f32_e32 v91, v90, v80
	;; [unrolled: 1-line block ×4, first 2 shown]
	s_mov_b32 s4, exec_lo
	ds_store_b128 v77, v[97:100]
                                        ; implicit-def: $vgpr78
	v_cmpx_ne_u32_e32 0x7f800000, v94
	s_xor_b32 s4, exec_lo, s4
; %bb.47:
	v_bfe_u32 v78, v93, 16, 1
	s_delay_alu instid0(VALU_DEP_1)
	v_add3_u32 v78, v93, v78, 0x7fff
                                        ; implicit-def: $vgpr93
; %bb.48:
	s_and_not1_saveexec_b32 s4, s4
; %bb.49:
	v_and_b32_e32 v78, 0xffff, v93
	v_or_b32_e32 v79, 0x10000, v93
	s_delay_alu instid0(VALU_DEP_2) | instskip(NEXT) | instid1(VALU_DEP_2)
	v_cmp_eq_u32_e32 vcc_lo, 0, v78
	v_cndmask_b32_e32 v78, v79, v93, vcc_lo
; %bb.50:
	s_or_b32 exec_lo, exec_lo, s4
	v_and_b32_e32 v79, 0x7f800000, v80
	s_delay_alu instid0(VALU_DEP_1) | instskip(SKIP_1) | instid1(SALU_CYCLE_1)
	v_cmp_ne_u32_e32 vcc_lo, 0x7f800000, v79
                                        ; implicit-def: $vgpr79
	s_and_saveexec_b32 s4, vcc_lo
	s_xor_b32 s4, exec_lo, s4
; %bb.51:
	v_bfe_u32 v79, v80, 16, 1
	s_delay_alu instid0(VALU_DEP_1)
	v_add3_u32 v79, v80, v79, 0x7fff
                                        ; implicit-def: $vgpr80
; %bb.52:
	s_and_not1_saveexec_b32 s4, s4
; %bb.53:
	v_and_b32_e32 v79, 0xffff, v80
	v_or_b32_e32 v90, 0x10000, v80
	s_delay_alu instid0(VALU_DEP_2) | instskip(NEXT) | instid1(VALU_DEP_2)
	v_cmp_eq_u32_e32 vcc_lo, 0, v79
	v_cndmask_b32_e32 v79, v90, v80, vcc_lo
; %bb.54:
	s_or_b32 exec_lo, exec_lo, s4
	v_and_b32_e32 v80, 0x7f800000, v92
	s_delay_alu instid0(VALU_DEP_1) | instskip(SKIP_1) | instid1(SALU_CYCLE_1)
	v_cmp_ne_u32_e32 vcc_lo, 0x7f800000, v80
                                        ; implicit-def: $vgpr80
	s_and_saveexec_b32 s4, vcc_lo
	s_xor_b32 s4, exec_lo, s4
; %bb.55:
	v_bfe_u32 v80, v92, 16, 1
	s_delay_alu instid0(VALU_DEP_1)
	v_add3_u32 v80, v92, v80, 0x7fff
                                        ; implicit-def: $vgpr92
; %bb.56:
	s_and_not1_saveexec_b32 s4, s4
; %bb.57:
	v_and_b32_e32 v80, 0xffff, v92
	v_or_b32_e32 v90, 0x10000, v92
	s_delay_alu instid0(VALU_DEP_2) | instskip(NEXT) | instid1(VALU_DEP_2)
	v_cmp_eq_u32_e32 vcc_lo, 0, v80
	v_cndmask_b32_e32 v80, v90, v92, vcc_lo
; %bb.58:
	s_or_b32 exec_lo, exec_lo, s4
	v_and_b32_e32 v90, 0x7f800000, v91
	s_delay_alu instid0(VALU_DEP_1) | instskip(SKIP_1) | instid1(SALU_CYCLE_1)
	v_cmp_ne_u32_e32 vcc_lo, 0x7f800000, v90
                                        ; implicit-def: $vgpr90
	s_and_saveexec_b32 s4, vcc_lo
	s_xor_b32 s4, exec_lo, s4
; %bb.59:
	v_bfe_u32 v90, v91, 16, 1
	s_delay_alu instid0(VALU_DEP_1)
	v_add3_u32 v90, v91, v90, 0x7fff
                                        ; implicit-def: $vgpr91
; %bb.60:
	s_and_not1_saveexec_b32 s4, s4
; %bb.61:
	v_and_b32_e32 v90, 0xffff, v91
	v_or_b32_e32 v92, 0x10000, v91
	s_delay_alu instid0(VALU_DEP_2) | instskip(NEXT) | instid1(VALU_DEP_2)
	v_cmp_eq_u32_e32 vcc_lo, 0, v90
	v_cndmask_b32_e32 v90, v92, v91, vcc_lo
; %bb.62:
	s_or_b32 exec_lo, exec_lo, s4
	v_and_b32_e32 v91, 0x7f800000, v86
	s_delay_alu instid0(VALU_DEP_1) | instskip(SKIP_1) | instid1(SALU_CYCLE_1)
	v_cmp_ne_u32_e32 vcc_lo, 0x7f800000, v91
                                        ; implicit-def: $vgpr91
	s_and_saveexec_b32 s4, vcc_lo
	s_xor_b32 s4, exec_lo, s4
; %bb.63:
	v_bfe_u32 v91, v86, 16, 1
	s_delay_alu instid0(VALU_DEP_1)
	v_add3_u32 v91, v86, v91, 0x7fff
                                        ; implicit-def: $vgpr86
; %bb.64:
	s_and_not1_saveexec_b32 s4, s4
; %bb.65:
	v_and_b32_e32 v91, 0xffff, v86
	v_or_b32_e32 v92, 0x10000, v86
	s_delay_alu instid0(VALU_DEP_2) | instskip(NEXT) | instid1(VALU_DEP_2)
	v_cmp_eq_u32_e32 vcc_lo, 0, v91
	v_cndmask_b32_e32 v91, v92, v86, vcc_lo
; %bb.66:
	s_or_b32 exec_lo, exec_lo, s4
	v_and_b32_e32 v86, 0x7f800000, v87
	s_delay_alu instid0(VALU_DEP_1) | instskip(SKIP_1) | instid1(SALU_CYCLE_1)
	v_cmp_ne_u32_e32 vcc_lo, 0x7f800000, v86
                                        ; implicit-def: $vgpr86
	s_and_saveexec_b32 s4, vcc_lo
	s_xor_b32 s4, exec_lo, s4
; %bb.67:
	v_bfe_u32 v86, v87, 16, 1
	s_delay_alu instid0(VALU_DEP_1)
	v_add3_u32 v86, v87, v86, 0x7fff
                                        ; implicit-def: $vgpr87
; %bb.68:
	s_and_not1_saveexec_b32 s4, s4
; %bb.69:
	v_and_b32_e32 v86, 0xffff, v87
	v_or_b32_e32 v92, 0x10000, v87
	s_delay_alu instid0(VALU_DEP_2) | instskip(NEXT) | instid1(VALU_DEP_2)
	v_cmp_eq_u32_e32 vcc_lo, 0, v86
	v_cndmask_b32_e32 v86, v92, v87, vcc_lo
; %bb.70:
	s_or_b32 exec_lo, exec_lo, s4
	v_and_b32_e32 v87, 0x7f800000, v88
	s_delay_alu instid0(VALU_DEP_1) | instskip(SKIP_1) | instid1(SALU_CYCLE_1)
	v_cmp_ne_u32_e32 vcc_lo, 0x7f800000, v87
                                        ; implicit-def: $vgpr87
	s_and_saveexec_b32 s4, vcc_lo
	s_xor_b32 s4, exec_lo, s4
; %bb.71:
	v_bfe_u32 v87, v88, 16, 1
	s_delay_alu instid0(VALU_DEP_1)
	v_add3_u32 v87, v88, v87, 0x7fff
                                        ; implicit-def: $vgpr88
; %bb.72:
	s_and_not1_saveexec_b32 s4, s4
; %bb.73:
	v_and_b32_e32 v87, 0xffff, v88
	v_or_b32_e32 v92, 0x10000, v88
	s_delay_alu instid0(VALU_DEP_2) | instskip(NEXT) | instid1(VALU_DEP_2)
	v_cmp_eq_u32_e32 vcc_lo, 0, v87
	v_cndmask_b32_e32 v87, v92, v88, vcc_lo
; %bb.74:
	s_or_b32 exec_lo, exec_lo, s4
	v_and_b32_e32 v88, 0x7f800000, v89
	s_delay_alu instid0(VALU_DEP_1) | instskip(SKIP_1) | instid1(SALU_CYCLE_1)
	v_cmp_ne_u32_e32 vcc_lo, 0x7f800000, v88
                                        ; implicit-def: $vgpr88
	s_and_saveexec_b32 s4, vcc_lo
	s_xor_b32 s4, exec_lo, s4
; %bb.75:
	v_bfe_u32 v88, v89, 16, 1
	s_delay_alu instid0(VALU_DEP_1)
	v_add3_u32 v88, v89, v88, 0x7fff
                                        ; implicit-def: $vgpr89
; %bb.76:
	s_and_not1_saveexec_b32 s4, s4
; %bb.77:
	v_and_b32_e32 v88, 0xffff, v89
	v_or_b32_e32 v92, 0x10000, v89
	s_delay_alu instid0(VALU_DEP_2) | instskip(NEXT) | instid1(VALU_DEP_2)
	v_cmp_eq_u32_e32 vcc_lo, 0, v88
	v_cndmask_b32_e32 v88, v92, v89, vcc_lo
; %bb.78:
	s_or_b32 exec_lo, exec_lo, s4
	s_delay_alu instid0(VALU_DEP_1)
	v_perm_b32 v89, v88, v87, 0x7060302
	v_perm_b32 v88, v86, v91, 0x7060302
	;; [unrolled: 1-line block ×4, first 2 shown]
	v_lshl_or_b32 v90, v74, 11, v85
	ds_store_b128 v77, v[86:89] offset:1024
	s_waitcnt lgkmcnt(0)
	s_barrier
	buffer_gl0_inv
	ds_load_b128 v[91:94], v90
	ds_load_b128 v[95:98], v90 offset:16
	v_lshlrev_b32_e32 v87, 2, v83
	s_delay_alu instid0(VALU_DEP_1)
	v_or_b32_e32 v88, 1, v87
	v_cmp_eq_u32_e32 vcc_lo, 1, v87
	v_cmp_eq_u32_e64 s5, 2, v87
	v_cmp_eq_u32_e64 s8, 3, v87
	;; [unrolled: 1-line block ×6, first 2 shown]
	v_or_b32_e32 v86, 2, v87
	v_cmp_eq_u32_e64 s11, 5, v87
	v_cmp_eq_u32_e64 s12, 4, v88
	;; [unrolled: 1-line block ×4, first 2 shown]
	s_waitcnt lgkmcnt(1)
	v_lshrrev_b32_e32 v74, 16, v91
	s_waitcnt lgkmcnt(0)
	v_lshrrev_b32_e32 v103, 16, v95
	v_lshrrev_b32_e32 v80, 16, v94
	;; [unrolled: 1-line block ×4, first 2 shown]
	v_cndmask_b32_e32 v89, v91, v74, vcc_lo
	v_cndmask_b32_e32 v99, v95, v103, vcc_lo
	v_cndmask_b32_e64 v100, v91, v74, s4
	v_lshrrev_b32_e32 v79, 16, v93
	v_lshrrev_b32_e32 v108, 16, v97
	v_cndmask_b32_e64 v89, v89, v92, s5
	v_cndmask_b32_e64 v99, v99, v96, s5
	v_cndmask_b32_e64 v100, v100, v92, s7
	v_cndmask_b32_e64 v101, v95, v103, s4
	v_cmp_eq_u32_e64 s6, 1, v86
	v_cndmask_b32_e64 v89, v89, v78, s8
	v_cndmask_b32_e64 v99, v99, v107, s8
	;; [unrolled: 1-line block ×4, first 2 shown]
	v_lshrrev_b32_e32 v109, 16, v98
	v_cndmask_b32_e64 v89, v89, v93, s10
	v_cndmask_b32_e64 v99, v99, v97, s10
	;; [unrolled: 1-line block ×8, first 2 shown]
	v_cmp_eq_u32_e64 s16, 7, v87
	v_cmp_eq_u32_e64 s17, 6, v88
	v_cndmask_b32_e64 v89, v89, v94, s13
	v_cndmask_b32_e64 v99, v99, v98, s13
	v_cmp_eq_u32_e64 s18, 2, v86
	v_cndmask_b32_e64 v101, v101, v97, s12
	v_cndmask_b32_e64 v100, v100, v94, s17
	;; [unrolled: 1-line block ×6, first 2 shown]
	v_cmp_eq_u32_e64 s19, 7, v88
	v_cmp_eq_u32_e64 s20, 3, v86
	;; [unrolled: 1-line block ×4, first 2 shown]
	v_cndmask_b32_e64 v99, v99, v96, s18
	v_cndmask_b32_e64 v112, v100, v80, s19
	;; [unrolled: 1-line block ×4, first 2 shown]
	v_or_b32_e32 v89, 3, v87
	v_cndmask_b32_e64 v105, v99, v107, s20
	v_cmp_eq_u32_e64 s25, 6, v86
	v_cndmask_b32_e64 v113, v100, v98, s17
	v_cndmask_b32_e64 v104, v101, v93, s21
	ds_load_b128 v[99:102], v90 offset:1024
	v_cmp_eq_u32_e64 s22, 1, v89
	v_cmp_eq_u32_e64 s24, 2, v89
	;; [unrolled: 1-line block ×3, first 2 shown]
	v_cndmask_b32_e64 v114, v104, v79, s23
	v_cmp_eq_u32_e64 s27, 4, v89
	v_cndmask_b32_e64 v74, v91, v74, s22
	v_cndmask_b32_e64 v91, v105, v97, s21
	;; [unrolled: 1-line block ×3, first 2 shown]
	ds_load_b128 v[103:106], v90 offset:1040
	v_cmp_eq_u32_e64 s29, 5, v89
	v_cndmask_b32_e64 v74, v74, v92, s24
	v_cndmask_b32_e64 v91, v91, v108, s23
	;; [unrolled: 1-line block ×3, first 2 shown]
	v_cmp_eq_u32_e64 s30, 6, v89
	v_cndmask_b32_e64 v95, v113, v109, s19
	v_cndmask_b32_e64 v74, v74, v78, s26
	;; [unrolled: 1-line block ×5, first 2 shown]
	s_waitcnt lgkmcnt(1)
	v_lshrrev_b32_e32 v96, 16, v99
	v_cndmask_b32_e64 v74, v74, v93, s27
	v_lshrrev_b32_e32 v107, 16, v100
	v_cndmask_b32_e64 v92, v92, v97, s27
	v_cmp_eq_u32_e64 s28, 7, v86
	v_cndmask_b32_e32 v93, v99, v96, vcc_lo
	v_cndmask_b32_e64 v74, v74, v79, s29
	s_delay_alu instid0(VALU_DEP_4)
	v_cndmask_b32_e64 v79, v92, v108, s29
	s_waitcnt lgkmcnt(0)
	v_lshrrev_b32_e32 v97, 16, v103
	v_cndmask_b32_e64 v92, v93, v100, s5
	v_cndmask_b32_e64 v93, v99, v96, s4
	;; [unrolled: 1-line block ×4, first 2 shown]
	v_cndmask_b32_e32 v108, v103, v97, vcc_lo
	v_cndmask_b32_e64 v92, v92, v107, s8
	v_cndmask_b32_e64 v93, v93, v100, s7
	v_lshrrev_b32_e32 v98, 16, v104
	v_cmp_eq_u32_e32 vcc_lo, 7, v89
	v_cndmask_b32_e64 v94, v108, v104, s5
	v_cndmask_b32_e64 v92, v92, v101, s10
	v_lshrrev_b32_e32 v108, 16, v101
	v_cndmask_b32_e64 v93, v93, v107, s9
	v_cndmask_b32_e32 v74, v74, v80, vcc_lo
	v_cndmask_b32_e64 v94, v94, v98, s8
	v_cndmask_b32_e32 v79, v79, v109, vcc_lo
	v_cndmask_b32_e64 v92, v92, v108, s11
	v_cndmask_b32_e64 v78, v78, v80, s28
	;; [unrolled: 1-line block ×4, first 2 shown]
	v_perm_b32 v94, v79, v74, 0x5040100
	v_cndmask_b32_e64 v79, v92, v102, s13
	v_perm_b32 v92, v95, v112, 0x5040100
	v_cndmask_b32_e64 v95, v99, v96, s6
	v_cndmask_b32_e64 v96, v99, v96, s22
	;; [unrolled: 1-line block ×16, first 2 shown]
	v_lshrrev_b32_e32 v109, 16, v105
	v_cndmask_b32_e64 v95, v95, v101, s21
	v_cndmask_b32_e64 v96, v96, v101, s27
	;; [unrolled: 1-line block ×6, first 2 shown]
	v_lshrrev_b32_e32 v80, 16, v102
	v_cndmask_b32_e64 v113, v93, v109, s11
	v_cndmask_b32_e64 v95, v95, v108, s23
	;; [unrolled: 1-line block ×6, first 2 shown]
	v_perm_b32 v93, v91, v78, 0x5040100
	v_cndmask_b32_e64 v74, v74, v102, s17
	v_cndmask_b32_e64 v78, v79, v80, s16
	;; [unrolled: 1-line block ×3, first 2 shown]
	v_lshrrev_b32_e32 v91, 16, v106
	v_cndmask_b32_e64 v95, v95, v102, s25
	v_cndmask_b32_e64 v96, v96, v102, s30
	;; [unrolled: 1-line block ×7, first 2 shown]
	v_cndmask_b32_e32 v80, v96, v80, vcc_lo
	v_cndmask_b32_e32 v96, v98, v91, vcc_lo
	v_cndmask_b32_e64 v99, v99, v91, s28
	v_cndmask_b32_e64 v100, v97, v91, s19
	;; [unrolled: 1-line block ×3, first 2 shown]
	v_perm_b32 v91, v111, v110, 0x5040100
	v_perm_b32 v98, v96, v80, 0x5040100
	;; [unrolled: 1-line block ×5, first 2 shown]
	s_mul_i32 s9, s37, 3
	s_mov_b32 s4, exec_lo
	ds_store_b128 v77, v[91:94]
	ds_store_b128 v77, v[95:98] offset:1024
	v_cmpx_gt_u32_e32 3, v0
	s_cbranch_execz .LBB516_80
; %bb.79:
	s_mul_i32 s5, s9, s34
	s_load_b128 s[16:19], s[0:1], 0x58
	v_add3_u32 v77, s5, s31, v73
	s_delay_alu instid0(VALU_DEP_1) | instskip(NEXT) | instid1(VALU_DEP_1)
	v_mad_u64_u32 v[73:74], null, v77, s36, s[14:15]
	v_ashrrev_i32_e32 v74, 31, v73
	s_delay_alu instid0(VALU_DEP_1) | instskip(SKIP_1) | instid1(VALU_DEP_1)
	v_lshlrev_b64 v[73:74], 2, v[73:74]
	s_waitcnt lgkmcnt(0)
	v_add_co_u32 v77, vcc_lo, s18, v73
	s_delay_alu instid0(VALU_DEP_2)
	v_add_co_ci_u32_e32 v78, vcc_lo, s19, v74, vcc_lo
	v_add_co_u32 v73, vcc_lo, s16, v73
	v_add_co_ci_u32_e32 v74, vcc_lo, s17, v74, vcc_lo
	global_store_b32 v[77:78], v75, off
	global_store_b32 v[73:74], v76, off
.LBB516_80:
	s_or_b32 exec_lo, exec_lo, s4
	s_waitcnt lgkmcnt(0)
	s_waitcnt_vscnt null, 0x0
	s_barrier
	buffer_gl0_inv
	ds_load_b128 v[91:94], v85
	ds_load_b128 v[95:98], v85 offset:16
	ds_load_b128 v[103:106], v85 offset:1040
	;; [unrolled: 1-line block ×3, first 2 shown]
	v_mov_b32_e32 v73, 0
	ds_load_b128 v[111:114], v85 offset:2064
	ds_load_b128 v[107:110], v85 offset:2048
	;; [unrolled: 1-line block ×6, first 2 shown]
	v_mov_b32_e32 v74, v73
	v_mov_b32_e32 v75, v73
	;; [unrolled: 1-line block ×7, first 2 shown]
	s_waitcnt lgkmcnt(8)
	s_delay_alu instid0(VALU_DEP_1)
	v_wmma_f32_16x16x16_bf16 v[73:80], v[65:72], v[91:98], v[73:80]
	ds_load_b128 v[69:72], v85 offset:5136
	ds_load_b128 v[65:68], v85 offset:5120
	;; [unrolled: 1-line block ×4, first 2 shown]
	s_waitcnt lgkmcnt(10)
	v_wmma_f32_16x16x16_bf16 v[73:80], v[57:64], v[99:106], v[73:80]
	s_waitcnt lgkmcnt(8)
	s_delay_alu instid0(VALU_DEP_1)
	v_wmma_f32_16x16x16_bf16 v[73:80], v[57:64], v[107:114], v[73:80]
	ds_load_b128 v[61:64], v85 offset:7184
	ds_load_b128 v[57:60], v85 offset:7168
	;; [unrolled: 1-line block ×4, first 2 shown]
	s_waitcnt lgkmcnt(10)
	v_wmma_f32_16x16x16_bf16 v[73:80], v[49:56], v[115:122], v[73:80]
	s_waitcnt lgkmcnt(8)
	s_delay_alu instid0(VALU_DEP_1)
	v_wmma_f32_16x16x16_bf16 v[73:80], v[49:56], v[123:130], v[73:80]
	ds_load_b128 v[53:56], v85 offset:9232
	ds_load_b128 v[49:52], v85 offset:9216
	s_waitcnt lgkmcnt(8)
	v_wmma_f32_16x16x16_bf16 v[73:80], v[41:48], v[65:72], v[73:80]
	ds_load_b128 v[69:72], v85 offset:10256
	ds_load_b128 v[65:68], v85 offset:10240
	s_waitcnt lgkmcnt(8)
	;; [unrolled: 4-line block ×3, first 2 shown]
	v_wmma_f32_16x16x16_bf16 v[73:80], v[9:16], v[57:64], v[73:80]
	s_waitcnt lgkmcnt(6)
	s_delay_alu instid0(VALU_DEP_1)
	v_wmma_f32_16x16x16_bf16 v[73:80], v[9:16], v[99:106], v[73:80]
	ds_load_b128 v[13:16], v85 offset:12304
	ds_load_b128 v[9:12], v85 offset:12288
	s_waitcnt lgkmcnt(6)
	v_wmma_f32_16x16x16_bf16 v[73:80], v[1:8], v[49:56], v[73:80]
	ds_load_b128 v[53:56], v85 offset:13328
	ds_load_b128 v[49:52], v85 offset:13312
	s_waitcnt lgkmcnt(6)
	v_wmma_f32_16x16x16_bf16 v[73:80], v[1:8], v[65:72], v[73:80]
	ds_load_b128 v[5:8], v85 offset:14352
	ds_load_b128 v[1:4], v85 offset:14336
	s_waitcnt lgkmcnt(6)
	v_wmma_f32_16x16x16_bf16 v[73:80], v[33:40], v[41:48], v[73:80]
	ds_load_b128 v[45:48], v85 offset:15376
	ds_load_b128 v[41:44], v85 offset:15360
	s_waitcnt lgkmcnt(6)
	v_wmma_f32_16x16x16_bf16 v[73:80], v[33:40], v[9:16], v[73:80]
	s_waitcnt lgkmcnt(4)
	s_delay_alu instid0(VALU_DEP_1) | instskip(SKIP_1) | instid1(VALU_DEP_1)
	v_wmma_f32_16x16x16_bf16 v[73:80], v[25:32], v[49:56], v[73:80]
	s_waitcnt lgkmcnt(2)
	v_wmma_f32_16x16x16_bf16 v[73:80], v[25:32], v[1:8], v[73:80]
	s_waitcnt lgkmcnt(0)
	s_delay_alu instid0(VALU_DEP_1) | instskip(NEXT) | instid1(VALU_DEP_1)
	v_wmma_f32_16x16x16_bf16 v[73:80], v[17:24], v[41:48], v[73:80]
	v_and_b32_e32 v1, 0x7f800000, v73
	s_delay_alu instid0(VALU_DEP_1) | instskip(SKIP_1) | instid1(SALU_CYCLE_1)
	v_cmp_ne_u32_e32 vcc_lo, 0x7f800000, v1
                                        ; implicit-def: $vgpr1
	s_and_saveexec_b32 s4, vcc_lo
	s_xor_b32 s4, exec_lo, s4
; %bb.81:
	v_bfe_u32 v1, v73, 16, 1
	s_delay_alu instid0(VALU_DEP_1)
	v_add3_u32 v1, v73, v1, 0x7fff
; %bb.82:
	s_and_not1_saveexec_b32 s4, s4
; %bb.83:
	v_and_b32_e32 v1, 0xffff, v73
	v_or_b32_e32 v2, 0x10000, v73
	s_delay_alu instid0(VALU_DEP_2) | instskip(NEXT) | instid1(VALU_DEP_2)
	v_cmp_eq_u32_e32 vcc_lo, 0, v1
	v_cndmask_b32_e32 v1, v2, v73, vcc_lo
; %bb.84:
	s_or_b32 exec_lo, exec_lo, s4
	v_and_b32_e32 v2, 0x7f800000, v74
	s_delay_alu instid0(VALU_DEP_1) | instskip(SKIP_1) | instid1(SALU_CYCLE_1)
	v_cmp_ne_u32_e32 vcc_lo, 0x7f800000, v2
                                        ; implicit-def: $vgpr2
	s_and_saveexec_b32 s4, vcc_lo
	s_xor_b32 s4, exec_lo, s4
; %bb.85:
	v_bfe_u32 v2, v74, 16, 1
	s_delay_alu instid0(VALU_DEP_1)
	v_add3_u32 v2, v74, v2, 0x7fff
; %bb.86:
	s_and_not1_saveexec_b32 s4, s4
; %bb.87:
	v_and_b32_e32 v2, 0xffff, v74
	v_or_b32_e32 v3, 0x10000, v74
	s_delay_alu instid0(VALU_DEP_2) | instskip(NEXT) | instid1(VALU_DEP_2)
	v_cmp_eq_u32_e32 vcc_lo, 0, v2
	v_cndmask_b32_e32 v2, v3, v74, vcc_lo
; %bb.88:
	s_or_b32 exec_lo, exec_lo, s4
	v_and_b32_e32 v3, 0x7f800000, v75
	s_delay_alu instid0(VALU_DEP_1) | instskip(SKIP_1) | instid1(SALU_CYCLE_1)
	v_cmp_ne_u32_e32 vcc_lo, 0x7f800000, v3
                                        ; implicit-def: $vgpr3
	s_and_saveexec_b32 s4, vcc_lo
	s_xor_b32 s4, exec_lo, s4
; %bb.89:
	v_bfe_u32 v3, v75, 16, 1
	s_delay_alu instid0(VALU_DEP_1)
	v_add3_u32 v3, v75, v3, 0x7fff
; %bb.90:
	s_and_not1_saveexec_b32 s4, s4
; %bb.91:
	v_and_b32_e32 v3, 0xffff, v75
	v_or_b32_e32 v4, 0x10000, v75
	s_delay_alu instid0(VALU_DEP_2) | instskip(NEXT) | instid1(VALU_DEP_2)
	v_cmp_eq_u32_e32 vcc_lo, 0, v3
	v_cndmask_b32_e32 v3, v4, v75, vcc_lo
; %bb.92:
	s_or_b32 exec_lo, exec_lo, s4
	v_and_b32_e32 v4, 0x7f800000, v76
	s_delay_alu instid0(VALU_DEP_1) | instskip(SKIP_1) | instid1(SALU_CYCLE_1)
	v_cmp_ne_u32_e32 vcc_lo, 0x7f800000, v4
                                        ; implicit-def: $vgpr4
	s_and_saveexec_b32 s4, vcc_lo
	s_xor_b32 s4, exec_lo, s4
; %bb.93:
	v_bfe_u32 v4, v76, 16, 1
	s_delay_alu instid0(VALU_DEP_1)
	v_add3_u32 v4, v76, v4, 0x7fff
; %bb.94:
	s_and_not1_saveexec_b32 s4, s4
; %bb.95:
	v_and_b32_e32 v4, 0xffff, v76
	v_or_b32_e32 v5, 0x10000, v76
	s_delay_alu instid0(VALU_DEP_2) | instskip(NEXT) | instid1(VALU_DEP_2)
	v_cmp_eq_u32_e32 vcc_lo, 0, v4
	v_cndmask_b32_e32 v4, v5, v76, vcc_lo
; %bb.96:
	s_or_b32 exec_lo, exec_lo, s4
	v_and_b32_e32 v5, 0x7f800000, v77
	s_delay_alu instid0(VALU_DEP_1) | instskip(SKIP_1) | instid1(SALU_CYCLE_1)
	v_cmp_ne_u32_e32 vcc_lo, 0x7f800000, v5
                                        ; implicit-def: $vgpr5
	s_and_saveexec_b32 s4, vcc_lo
	s_xor_b32 s4, exec_lo, s4
; %bb.97:
	v_bfe_u32 v5, v77, 16, 1
	s_delay_alu instid0(VALU_DEP_1)
	v_add3_u32 v5, v77, v5, 0x7fff
; %bb.98:
	s_and_not1_saveexec_b32 s4, s4
; %bb.99:
	v_and_b32_e32 v5, 0xffff, v77
	v_or_b32_e32 v6, 0x10000, v77
	s_delay_alu instid0(VALU_DEP_2) | instskip(NEXT) | instid1(VALU_DEP_2)
	v_cmp_eq_u32_e32 vcc_lo, 0, v5
	v_cndmask_b32_e32 v5, v6, v77, vcc_lo
; %bb.100:
	s_or_b32 exec_lo, exec_lo, s4
	v_and_b32_e32 v6, 0x7f800000, v78
	s_delay_alu instid0(VALU_DEP_1) | instskip(SKIP_1) | instid1(SALU_CYCLE_1)
	v_cmp_ne_u32_e32 vcc_lo, 0x7f800000, v6
                                        ; implicit-def: $vgpr6
	s_and_saveexec_b32 s4, vcc_lo
	s_xor_b32 s4, exec_lo, s4
; %bb.101:
	v_bfe_u32 v6, v78, 16, 1
	s_delay_alu instid0(VALU_DEP_1)
	v_add3_u32 v6, v78, v6, 0x7fff
; %bb.102:
	s_and_not1_saveexec_b32 s4, s4
; %bb.103:
	v_and_b32_e32 v6, 0xffff, v78
	v_or_b32_e32 v7, 0x10000, v78
	s_delay_alu instid0(VALU_DEP_2) | instskip(NEXT) | instid1(VALU_DEP_2)
	v_cmp_eq_u32_e32 vcc_lo, 0, v6
	v_cndmask_b32_e32 v6, v7, v78, vcc_lo
; %bb.104:
	s_or_b32 exec_lo, exec_lo, s4
	v_and_b32_e32 v7, 0x7f800000, v79
	s_delay_alu instid0(VALU_DEP_1) | instskip(SKIP_1) | instid1(SALU_CYCLE_1)
	v_cmp_ne_u32_e32 vcc_lo, 0x7f800000, v7
                                        ; implicit-def: $vgpr7
	s_and_saveexec_b32 s4, vcc_lo
	s_xor_b32 s4, exec_lo, s4
; %bb.105:
	v_bfe_u32 v7, v79, 16, 1
	s_delay_alu instid0(VALU_DEP_1)
	v_add3_u32 v7, v79, v7, 0x7fff
; %bb.106:
	s_and_not1_saveexec_b32 s4, s4
; %bb.107:
	v_and_b32_e32 v7, 0xffff, v79
	v_or_b32_e32 v8, 0x10000, v79
	s_delay_alu instid0(VALU_DEP_2) | instskip(NEXT) | instid1(VALU_DEP_2)
	v_cmp_eq_u32_e32 vcc_lo, 0, v7
	v_cndmask_b32_e32 v7, v8, v79, vcc_lo
; %bb.108:
	s_or_b32 exec_lo, exec_lo, s4
	v_and_b32_e32 v8, 0x7f800000, v80
	s_delay_alu instid0(VALU_DEP_1) | instskip(SKIP_1) | instid1(SALU_CYCLE_1)
	v_cmp_ne_u32_e32 vcc_lo, 0x7f800000, v8
                                        ; implicit-def: $vgpr8
	s_and_saveexec_b32 s4, vcc_lo
	s_xor_b32 s4, exec_lo, s4
; %bb.109:
	v_bfe_u32 v8, v80, 16, 1
	s_delay_alu instid0(VALU_DEP_1)
	v_add3_u32 v8, v80, v8, 0x7fff
                                        ; implicit-def: $vgpr73_vgpr74_vgpr75_vgpr76_vgpr77_vgpr78_vgpr79_vgpr80
; %bb.110:
	s_and_not1_saveexec_b32 s4, s4
; %bb.111:
	v_and_b32_e32 v8, 0xffff, v80
	v_or_b32_e32 v9, 0x10000, v80
	s_delay_alu instid0(VALU_DEP_2) | instskip(NEXT) | instid1(VALU_DEP_2)
	v_cmp_eq_u32_e32 vcc_lo, 0, v8
	v_cndmask_b32_e32 v8, v9, v80, vcc_lo
; %bb.112:
	s_or_b32 exec_lo, exec_lo, s4
	s_delay_alu instid0(VALU_DEP_1)
	v_perm_b32 v7, v8, v7, 0x7060302
	v_perm_b32 v6, v6, v5, 0x7060302
	;; [unrolled: 1-line block ×4, first 2 shown]
	v_lshl_or_b32 v9, v83, 4, v90
	s_barrier
	buffer_gl0_inv
	v_cmp_eq_u32_e32 vcc_lo, 1, v87
	ds_store_b128 v9, v[4:7]
	s_waitcnt lgkmcnt(0)
	s_barrier
	buffer_gl0_inv
	ds_load_b128 v[1:4], v90
	ds_load_b128 v[5:8], v90 offset:16
	v_cmp_eq_u32_e64 s5, 2, v87
	v_cmp_eq_u32_e64 s4, 1, v88
	;; [unrolled: 1-line block ×5, first 2 shown]
	s_waitcnt lgkmcnt(1)
	v_lshrrev_b32_e32 v10, 16, v1
	s_waitcnt lgkmcnt(0)
	v_lshrrev_b32_e32 v14, 16, v5
	v_lshrrev_b32_e32 v15, 16, v6
	;; [unrolled: 1-line block ×4, first 2 shown]
	v_cndmask_b32_e64 v20, v1, v10, s4
	v_cndmask_b32_e32 v19, v5, v14, vcc_lo
	v_cndmask_b32_e64 v21, v5, v14, s4
	v_lshrrev_b32_e32 v16, 16, v7
	v_cmp_eq_u32_e64 s4, 1, v86
	v_lshrrev_b32_e32 v13, 16, v4
	v_cndmask_b32_e64 v19, v19, v6, s5
	v_lshrrev_b32_e32 v17, 16, v8
	s_delay_alu instid0(VALU_DEP_4) | instskip(SKIP_1) | instid1(VALU_DEP_4)
	v_cndmask_b32_e64 v22, v1, v10, s4
	v_cndmask_b32_e64 v23, v5, v14, s4
	;; [unrolled: 1-line block ×3, first 2 shown]
	v_cndmask_b32_e32 v18, v1, v10, vcc_lo
	v_cmp_eq_u32_e32 vcc_lo, 2, v88
	v_cmp_eq_u32_e64 s4, 2, v89
	v_cndmask_b32_e64 v22, v22, v2, s8
	v_cndmask_b32_e32 v20, v20, v2, vcc_lo
	v_cndmask_b32_e32 v21, v21, v6, vcc_lo
	v_cmp_eq_u32_e32 vcc_lo, 4, v87
	v_cndmask_b32_e32 v19, v19, v7, vcc_lo
	v_cndmask_b32_e64 v18, v18, v2, s5
	v_cmp_eq_u32_e64 s5, 3, v88
	s_delay_alu instid0(VALU_DEP_2) | instskip(NEXT) | instid1(VALU_DEP_2)
	v_cndmask_b32_e64 v18, v18, v11, s6
	v_cndmask_b32_e64 v21, v21, v15, s5
	v_cmp_eq_u32_e64 s6, 5, v87
	s_delay_alu instid0(VALU_DEP_3) | instskip(SKIP_1) | instid1(VALU_DEP_3)
	v_cndmask_b32_e32 v18, v18, v3, vcc_lo
	v_cmp_eq_u32_e32 vcc_lo, 4, v88
	v_cndmask_b32_e64 v19, v19, v16, s6
	s_delay_alu instid0(VALU_DEP_3) | instskip(SKIP_4) | instid1(VALU_DEP_3)
	v_cndmask_b32_e64 v18, v18, v12, s6
	v_cndmask_b32_e32 v21, v21, v7, vcc_lo
	v_cndmask_b32_e64 v20, v20, v11, s5
	v_cmp_eq_u32_e64 s5, 5, v88
	v_cmp_eq_u32_e64 s6, 6, v87
	v_cndmask_b32_e32 v20, v20, v3, vcc_lo
	s_delay_alu instid0(VALU_DEP_3) | instskip(SKIP_1) | instid1(VALU_DEP_4)
	v_cndmask_b32_e64 v21, v21, v16, s5
	v_cmp_eq_u32_e32 vcc_lo, 6, v88
	v_cndmask_b32_e64 v18, v18, v4, s6
	v_cndmask_b32_e64 v19, v19, v8, s6
	;; [unrolled: 1-line block ×3, first 2 shown]
	v_cmp_eq_u32_e64 s5, 1, v89
	v_cmp_eq_u32_e64 s6, 7, v87
	s_delay_alu instid0(VALU_DEP_3) | instskip(NEXT) | instid1(VALU_DEP_3)
	v_cndmask_b32_e32 v20, v20, v4, vcc_lo
	v_cndmask_b32_e64 v1, v1, v10, s5
	v_cndmask_b32_e64 v5, v5, v14, s5
	v_cmp_eq_u32_e64 s5, 3, v86
	v_cndmask_b32_e64 v14, v23, v6, s8
	v_cmp_eq_u32_e64 s8, 3, v89
	v_cndmask_b32_e64 v1, v1, v2, s4
	v_cndmask_b32_e64 v2, v5, v6, s4
	;; [unrolled: 1-line block ×3, first 2 shown]
	v_cmp_eq_u32_e64 s4, 4, v86
	v_cndmask_b32_e64 v6, v14, v15, s5
	v_cndmask_b32_e64 v1, v1, v11, s8
	v_cmp_eq_u32_e64 s5, 4, v89
	v_cndmask_b32_e64 v2, v2, v15, s8
	v_cndmask_b32_e64 v5, v10, v3, s4
	;; [unrolled: 3-line block ×3, first 2 shown]
	v_cndmask_b32_e64 v2, v2, v7, s5
	v_cmp_eq_u32_e64 s4, 5, v89
	v_cndmask_b32_e64 v5, v5, v12, s8
	v_cmp_eq_u32_e64 s5, 6, v86
	;; [unrolled: 2-line block ×3, first 2 shown]
	v_cndmask_b32_e64 v1, v1, v12, s4
	v_cndmask_b32_e64 v2, v2, v16, s4
	;; [unrolled: 1-line block ×4, first 2 shown]
	v_cmp_eq_u32_e64 s4, 7, v89
	v_cndmask_b32_e64 v1, v1, v4, s8
	v_cndmask_b32_e64 v2, v2, v8, s8
	v_cmp_eq_u32_e64 s5, 7, v86
	v_cndmask_b32_e32 v4, v21, v8, vcc_lo
	v_cndmask_b32_e64 v18, v18, v13, s6
	v_cndmask_b32_e64 v20, v20, v13, s7
	;; [unrolled: 1-line block ×8, first 2 shown]
	v_cmp_gt_u32_e32 vcc_lo, 32, v0
	v_perm_b32 v4, v2, v1, 0x5040100
	v_perm_b32 v3, v3, v5, 0x5040100
	;; [unrolled: 1-line block ×4, first 2 shown]
	s_and_b32 s2, vcc_lo, s2
	ds_store_b128 v9, v[1:4]
	s_waitcnt lgkmcnt(0)
	s_barrier
	buffer_gl0_inv
	s_and_saveexec_b32 s4, s2
	s_cbranch_execz .LBB516_2
; %bb.113:
	s_load_b64 s[4:5], s[0:1], 0x68
	v_lshlrev_b32_e32 v0, 10, v0
	v_lshlrev_b32_e32 v2, 4, v84
	v_add_nc_u32_e32 v1, s31, v83
	s_lshl_b32 s0, s36, 6
	s_delay_alu instid0(SALU_CYCLE_1) | instskip(NEXT) | instid1(VALU_DEP_2)
	s_mul_i32 s1, s0, s34
	v_and_or_b32 v0, 0x3800, v0, v2
	s_mul_i32 s6, s1, s9
	v_mul_lo_u32 v1, v1, s0
	s_ashr_i32 s7, s6, 31
	s_delay_alu instid0(VALU_DEP_2) | instskip(SKIP_1) | instid1(VALU_DEP_2)
	v_lshl_or_b32 v3, v83, 6, v0
	s_lshl_b64 s[6:7], s[6:7], 1
	v_ashrrev_i32_e32 v2, 31, v1
	ds_load_b128 v[3:6], v3
	s_waitcnt lgkmcnt(0)
	s_add_u32 s1, s4, s6
	s_addc_u32 s2, s5, s7
	s_lshl_b32 s4, s14, 6
	v_lshlrev_b64 v[7:8], 1, v[1:2]
	s_ashr_i32 s5, s4, 31
	s_delay_alu instid0(SALU_CYCLE_1) | instskip(NEXT) | instid1(SALU_CYCLE_1)
	s_lshl_b64 s[4:5], s[4:5], 1
	s_add_u32 s1, s1, s4
	s_addc_u32 s2, s2, s5
	v_add_co_u32 v1, vcc_lo, s1, v81
	v_add_co_ci_u32_e32 v2, vcc_lo, s2, v82, vcc_lo
	s_delay_alu instid0(VALU_DEP_2) | instskip(NEXT) | instid1(VALU_DEP_2)
	v_add_co_u32 v7, vcc_lo, v1, v7
	v_add_co_ci_u32_e32 v8, vcc_lo, v2, v8, vcc_lo
	global_store_b128 v[7:8], v[3:6], off
	s_and_b32 exec_lo, exec_lo, s3
	s_cbranch_execz .LBB516_2
; %bb.114:
	ds_load_b128 v[3:6], v0 offset:128
	s_add_i32 s1, s31, 2
	s_delay_alu instid0(SALU_CYCLE_1) | instskip(NEXT) | instid1(SALU_CYCLE_1)
	s_mul_i32 s0, s1, s0
	s_ashr_i32 s1, s0, 31
	s_delay_alu instid0(SALU_CYCLE_1) | instskip(NEXT) | instid1(SALU_CYCLE_1)
	s_lshl_b64 s[0:1], s[0:1], 1
	v_add_co_u32 v0, vcc_lo, v1, s0
	v_add_co_ci_u32_e32 v1, vcc_lo, s1, v2, vcc_lo
	s_waitcnt lgkmcnt(0)
	global_store_b128 v[0:1], v[3:6], off
	s_nop 0
	s_sendmsg sendmsg(MSG_DEALLOC_VGPRS)
	s_endpgm
	.section	.rodata,"a",@progbits
	.p2align	6, 0x0
	.amdhsa_kernel _Z39paged_attention_ll4mi_QKV_mfma16_kernelI14__hip_bfloat16S0_LN4vllm18Fp8KVCacheDataTypeE0EhLi32ELi64ELi256ELb1ELi3EL8MFMAType0EEvPKT_PKT0_S9_ifPKiSB_SB_iPKfiiiPfSE_PS4_PT2_iSD_SD_
		.amdhsa_group_segment_fixed_size 17472
		.amdhsa_private_segment_fixed_size 0
		.amdhsa_kernarg_size 400
		.amdhsa_user_sgpr_count 13
		.amdhsa_user_sgpr_dispatch_ptr 0
		.amdhsa_user_sgpr_queue_ptr 0
		.amdhsa_user_sgpr_kernarg_segment_ptr 1
		.amdhsa_user_sgpr_dispatch_id 0
		.amdhsa_user_sgpr_private_segment_size 0
		.amdhsa_wavefront_size32 1
		.amdhsa_uses_dynamic_stack 0
		.amdhsa_enable_private_segment 0
		.amdhsa_system_sgpr_workgroup_id_x 1
		.amdhsa_system_sgpr_workgroup_id_y 1
		.amdhsa_system_sgpr_workgroup_id_z 1
		.amdhsa_system_sgpr_workgroup_info 0
		.amdhsa_system_vgpr_workitem_id 0
		.amdhsa_next_free_vgpr 142
		.amdhsa_next_free_sgpr 39
		.amdhsa_reserve_vcc 1
		.amdhsa_float_round_mode_32 0
		.amdhsa_float_round_mode_16_64 0
		.amdhsa_float_denorm_mode_32 3
		.amdhsa_float_denorm_mode_16_64 3
		.amdhsa_dx10_clamp 1
		.amdhsa_ieee_mode 1
		.amdhsa_fp16_overflow 0
		.amdhsa_workgroup_processor_mode 1
		.amdhsa_memory_ordered 1
		.amdhsa_forward_progress 0
		.amdhsa_shared_vgpr_count 0
		.amdhsa_exception_fp_ieee_invalid_op 0
		.amdhsa_exception_fp_denorm_src 0
		.amdhsa_exception_fp_ieee_div_zero 0
		.amdhsa_exception_fp_ieee_overflow 0
		.amdhsa_exception_fp_ieee_underflow 0
		.amdhsa_exception_fp_ieee_inexact 0
		.amdhsa_exception_int_div_zero 0
	.end_amdhsa_kernel
	.section	.text._Z39paged_attention_ll4mi_QKV_mfma16_kernelI14__hip_bfloat16S0_LN4vllm18Fp8KVCacheDataTypeE0EhLi32ELi64ELi256ELb1ELi3EL8MFMAType0EEvPKT_PKT0_S9_ifPKiSB_SB_iPKfiiiPfSE_PS4_PT2_iSD_SD_,"axG",@progbits,_Z39paged_attention_ll4mi_QKV_mfma16_kernelI14__hip_bfloat16S0_LN4vllm18Fp8KVCacheDataTypeE0EhLi32ELi64ELi256ELb1ELi3EL8MFMAType0EEvPKT_PKT0_S9_ifPKiSB_SB_iPKfiiiPfSE_PS4_PT2_iSD_SD_,comdat
.Lfunc_end516:
	.size	_Z39paged_attention_ll4mi_QKV_mfma16_kernelI14__hip_bfloat16S0_LN4vllm18Fp8KVCacheDataTypeE0EhLi32ELi64ELi256ELb1ELi3EL8MFMAType0EEvPKT_PKT0_S9_ifPKiSB_SB_iPKfiiiPfSE_PS4_PT2_iSD_SD_, .Lfunc_end516-_Z39paged_attention_ll4mi_QKV_mfma16_kernelI14__hip_bfloat16S0_LN4vllm18Fp8KVCacheDataTypeE0EhLi32ELi64ELi256ELb1ELi3EL8MFMAType0EEvPKT_PKT0_S9_ifPKiSB_SB_iPKfiiiPfSE_PS4_PT2_iSD_SD_
                                        ; -- End function
	.section	.AMDGPU.csdata,"",@progbits
; Kernel info:
; codeLenInByte = 9348
; NumSgprs: 41
; NumVgprs: 142
; ScratchSize: 0
; MemoryBound: 0
; FloatMode: 240
; IeeeMode: 1
; LDSByteSize: 17472 bytes/workgroup (compile time only)
; SGPRBlocks: 5
; VGPRBlocks: 17
; NumSGPRsForWavesPerEU: 41
; NumVGPRsForWavesPerEU: 142
; Occupancy: 10
; WaveLimiterHint : 1
; COMPUTE_PGM_RSRC2:SCRATCH_EN: 0
; COMPUTE_PGM_RSRC2:USER_SGPR: 13
; COMPUTE_PGM_RSRC2:TRAP_HANDLER: 0
; COMPUTE_PGM_RSRC2:TGID_X_EN: 1
; COMPUTE_PGM_RSRC2:TGID_Y_EN: 1
; COMPUTE_PGM_RSRC2:TGID_Z_EN: 1
; COMPUTE_PGM_RSRC2:TIDIG_COMP_CNT: 0
	.section	.text._Z39paged_attention_ll4mi_QKV_mfma16_kernelI14__hip_bfloat16S0_LN4vllm18Fp8KVCacheDataTypeE0EhLi32ELi64ELi256ELb1ELi4EL8MFMAType0EEvPKT_PKT0_S9_ifPKiSB_SB_iPKfiiiPfSE_PS4_PT2_iSD_SD_,"axG",@progbits,_Z39paged_attention_ll4mi_QKV_mfma16_kernelI14__hip_bfloat16S0_LN4vllm18Fp8KVCacheDataTypeE0EhLi32ELi64ELi256ELb1ELi4EL8MFMAType0EEvPKT_PKT0_S9_ifPKiSB_SB_iPKfiiiPfSE_PS4_PT2_iSD_SD_,comdat
	.protected	_Z39paged_attention_ll4mi_QKV_mfma16_kernelI14__hip_bfloat16S0_LN4vllm18Fp8KVCacheDataTypeE0EhLi32ELi64ELi256ELb1ELi4EL8MFMAType0EEvPKT_PKT0_S9_ifPKiSB_SB_iPKfiiiPfSE_PS4_PT2_iSD_SD_ ; -- Begin function _Z39paged_attention_ll4mi_QKV_mfma16_kernelI14__hip_bfloat16S0_LN4vllm18Fp8KVCacheDataTypeE0EhLi32ELi64ELi256ELb1ELi4EL8MFMAType0EEvPKT_PKT0_S9_ifPKiSB_SB_iPKfiiiPfSE_PS4_PT2_iSD_SD_
	.globl	_Z39paged_attention_ll4mi_QKV_mfma16_kernelI14__hip_bfloat16S0_LN4vllm18Fp8KVCacheDataTypeE0EhLi32ELi64ELi256ELb1ELi4EL8MFMAType0EEvPKT_PKT0_S9_ifPKiSB_SB_iPKfiiiPfSE_PS4_PT2_iSD_SD_
	.p2align	8
	.type	_Z39paged_attention_ll4mi_QKV_mfma16_kernelI14__hip_bfloat16S0_LN4vllm18Fp8KVCacheDataTypeE0EhLi32ELi64ELi256ELb1ELi4EL8MFMAType0EEvPKT_PKT0_S9_ifPKiSB_SB_iPKfiiiPfSE_PS4_PT2_iSD_SD_,@function
_Z39paged_attention_ll4mi_QKV_mfma16_kernelI14__hip_bfloat16S0_LN4vllm18Fp8KVCacheDataTypeE0EhLi32ELi64ELi256ELb1ELi4EL8MFMAType0EEvPKT_PKT0_S9_ifPKiSB_SB_iPKfiiiPfSE_PS4_PT2_iSD_SD_: ; @_Z39paged_attention_ll4mi_QKV_mfma16_kernelI14__hip_bfloat16S0_LN4vllm18Fp8KVCacheDataTypeE0EhLi32ELi64ELi256ELb1ELi4EL8MFMAType0EEvPKT_PKT0_S9_ifPKiSB_SB_iPKfiiiPfSE_PS4_PT2_iSD_SD_
; %bb.0:
	s_load_b64 s[2:3], s[0:1], 0x30
	s_mov_b32 s30, s13
	s_waitcnt lgkmcnt(0)
	s_cmp_lg_u64 s[2:3], 0
	s_cselect_b32 s6, -1, 0
	s_ashr_i32 s31, s13, 31
	s_cmp_eq_u64 s[2:3], 0
	s_cbranch_scc1 .LBB517_3
; %bb.1:
	s_lshl_b64 s[4:5], s[30:31], 2
	s_delay_alu instid0(SALU_CYCLE_1) | instskip(SKIP_4) | instid1(SALU_CYCLE_1)
	s_add_u32 s4, s2, s4
	s_addc_u32 s5, s3, s5
	s_load_b64 s[4:5], s[4:5], 0x0
	s_waitcnt lgkmcnt(0)
	s_sub_i32 s4, s5, s4
	s_cmp_eq_u32 s4, 1
	s_cselect_b32 s4, -1, 0
	s_delay_alu instid0(SALU_CYCLE_1)
	s_and_not1_b32 vcc_lo, exec_lo, s4
	s_cbranch_vccz .LBB517_4
.LBB517_2:
	s_endpgm
.LBB517_3:
.LBB517_4:
	s_load_b64 s[8:9], s[0:1], 0x28
	s_lshl_b64 s[4:5], s[30:31], 2
	s_waitcnt lgkmcnt(0)
	s_add_u32 s8, s8, s4
	s_addc_u32 s9, s9, s5
	s_lshl_b32 s16, s14, 8
	s_load_b32 s18, s[8:9], 0x0
	s_waitcnt lgkmcnt(0)
	s_cmp_ge_i32 s16, s18
	s_cbranch_scc1 .LBB517_2
; %bb.5:
	s_and_not1_b32 vcc_lo, exec_lo, s6
	s_cbranch_vccnz .LBB517_7
; %bb.6:
	s_add_u32 s2, s2, s4
	s_addc_u32 s3, s3, s5
	s_load_b32 s17, s[2:3], 0x0
	s_branch .LBB517_8
.LBB517_7:
	s_mov_b32 s17, s30
.LBB517_8:
	s_clause 0x2
	s_load_b128 s[8:11], s[0:1], 0x8
	s_load_b64 s[12:13], s[0:1], 0x20
	s_load_b128 s[4:7], s[0:1], 0x48
	v_and_b32_e32 v74, 15, v0
	v_cmp_lt_u32_e32 vcc_lo, 63, v0
	s_delay_alu instid0(VALU_DEP_2) | instskip(SKIP_2) | instid1(VALU_DEP_3)
	v_cmp_lt_u32_e64 s3, 7, v74
	v_lshlrev_b32_e32 v1, 3, v74
	v_cmp_gt_u32_e64 s2, 8, v74
	s_or_b32 s3, vcc_lo, s3
	s_waitcnt lgkmcnt(0)
	s_and_saveexec_b32 s7, s3
	s_delay_alu instid0(SALU_CYCLE_1)
	s_xor_b32 s3, exec_lo, s7
; %bb.9:
	v_mov_b32_e32 v2, 0
; %bb.10:
	s_or_saveexec_b32 s3, s3
	v_lshrrev_b32_e32 v73, 5, v0
	v_and_b32_e32 v75, 31, v0
	v_and_b32_e32 v84, 1, v0
	v_bfe_u32 v83, v0, 4, 1
	s_lshl_b32 s31, s15, 2
	s_xor_b32 exec_lo, exec_lo, s3
	s_cbranch_execz .LBB517_12
; %bb.11:
	s_delay_alu instid0(VALU_DEP_1)
	v_lshl_or_b32 v7, v73, 1, v83
	s_load_b64 s[20:21], s[0:1], 0x0
	s_mul_hi_i32 s23, s17, s4
	s_mul_i32 s22, s17, s4
	v_lshlrev_b32_e32 v4, 1, v1
	v_or_b32_e32 v2, s31, v7
	s_lshl_b64 s[22:23], s[22:23], 1
	v_lshlrev_b32_e32 v7, 6, v7
	v_lshlrev_b32_e32 v8, 10, v84
	s_delay_alu instid0(VALU_DEP_3) | instskip(NEXT) | instid1(VALU_DEP_1)
	v_lshlrev_b32_e32 v2, 6, v2
	v_ashrrev_i32_e32 v3, 31, v2
	s_delay_alu instid0(VALU_DEP_1) | instskip(SKIP_3) | instid1(VALU_DEP_1)
	v_lshlrev_b64 v[2:3], 1, v[2:3]
	s_waitcnt lgkmcnt(0)
	s_add_u32 s4, s20, s22
	s_addc_u32 s7, s21, s23
	v_add_co_u32 v2, vcc_lo, s4, v2
	s_delay_alu instid0(VALU_DEP_2) | instskip(NEXT) | instid1(VALU_DEP_2)
	v_add_co_ci_u32_e32 v3, vcc_lo, s7, v3, vcc_lo
	v_add_co_u32 v2, vcc_lo, v2, v4
	s_delay_alu instid0(VALU_DEP_2) | instskip(SKIP_2) | instid1(VALU_DEP_1)
	v_add_co_ci_u32_e32 v3, vcc_lo, 0, v3, vcc_lo
	global_load_b128 v[3:6], v[2:3], off
	v_lshlrev_b32_e32 v2, 10, v74
	v_and_b32_e32 v2, 0x3800, v2
	s_delay_alu instid0(VALU_DEP_1)
	v_or3_b32 v7, v2, v8, v7
	v_mov_b32_e32 v2, 0
	s_waitcnt vmcnt(0)
	ds_store_b128 v7, v[3:6]
.LBB517_12:
	s_or_b32 exec_lo, exec_lo, s3
	v_and_b32_e32 v3, 0xef, v0
	s_add_i32 s3, s18, 31
	s_clause 0x1
	s_load_b32 s4, s[0:1], 0x38
	s_load_b32 s19, s[0:1], 0x1c
	s_ashr_i32 s7, s3, 31
	v_add_nc_u32_e32 v3, s16, v3
	s_lshr_b32 s7, s7, 27
	s_waitcnt lgkmcnt(0)
	s_add_i32 s3, s3, s7
	s_barrier
	v_ashrrev_i32_e32 v4, 31, v3
	v_cmp_gt_i32_e32 vcc_lo, s18, v3
	s_ashr_i32 s3, s3, 5
	buffer_gl0_inv
	s_add_i32 s3, s3, -1
	v_lshrrev_b32_e32 v5, 27, v4
	v_or_b32_e32 v4, 16, v3
	s_mul_i32 s6, s15, s6
	v_lshlrev_b64 v[81:82], 1, v[1:2]
	s_delay_alu instid0(VALU_DEP_3) | instskip(NEXT) | instid1(VALU_DEP_3)
	v_add_nc_u32_e32 v6, v3, v5
	v_add_nc_u32_e32 v5, v4, v5
	s_mul_i32 s20, s30, s4
	s_delay_alu instid0(SALU_CYCLE_1) | instskip(NEXT) | instid1(VALU_DEP_2)
	s_ashr_i32 s21, s20, 31
	v_ashrrev_i32_e32 v6, 5, v6
	s_delay_alu instid0(VALU_DEP_2) | instskip(SKIP_1) | instid1(SALU_CYCLE_1)
	v_ashrrev_i32_e32 v5, 5, v5
	s_lshl_b64 s[20:21], s[20:21], 2
	s_add_u32 s4, s12, s20
	s_delay_alu instid0(VALU_DEP_2) | instskip(SKIP_3) | instid1(SALU_CYCLE_1)
	v_cndmask_b32_e32 v3, s3, v6, vcc_lo
	v_cmp_gt_i32_e32 vcc_lo, s18, v4
	s_addc_u32 s17, s13, s21
	s_ashr_i32 s7, s6, 31
	s_lshl_b64 s[6:7], s[6:7], 1
	v_cndmask_b32_e32 v5, s3, v5, vcc_lo
	v_ashrrev_i32_e32 v4, 31, v3
	s_add_u32 s15, s8, s6
	s_addc_u32 s28, s9, s7
	s_lshl_b32 s8, s14, 3
	v_ashrrev_i32_e32 v6, 31, v5
	v_lshlrev_b64 v[3:4], 2, v[3:4]
	s_ashr_i32 s9, s8, 31
	s_delay_alu instid0(SALU_CYCLE_1) | instskip(NEXT) | instid1(VALU_DEP_2)
	s_lshl_b64 s[8:9], s[8:9], 2
	v_lshlrev_b64 v[5:6], 2, v[5:6]
	s_add_u32 s8, s4, s8
	s_delay_alu instid0(VALU_DEP_2) | instskip(SKIP_1) | instid1(VALU_DEP_3)
	v_add_co_u32 v3, vcc_lo, s4, v3
	v_add_co_ci_u32_e32 v4, vcc_lo, s17, v4, vcc_lo
	v_add_co_u32 v5, vcc_lo, s4, v5
	s_delay_alu instid0(VALU_DEP_4)
	v_add_co_ci_u32_e32 v6, vcc_lo, s17, v6, vcc_lo
	s_addc_u32 s9, s17, s9
	s_clause 0x1
	global_load_b32 v7, v[3:4], off
	global_load_b32 v8, v[5:6], off
	s_or_b32 s12, s16, 32
	s_delay_alu instid0(SALU_CYCLE_1) | instskip(SKIP_2) | instid1(SALU_CYCLE_1)
	s_ashr_i32 s13, s12, 5
	s_cmp_lt_i32 s12, s18
	s_cselect_b32 s12, s13, s3
	s_ashr_i32 s13, s12, 31
	s_delay_alu instid0(SALU_CYCLE_1) | instskip(NEXT) | instid1(SALU_CYCLE_1)
	s_lshl_b64 s[12:13], s[12:13], 2
	s_add_u32 s12, s4, s12
	s_addc_u32 s13, s17, s13
	s_or_b32 s20, s16, 64
	s_delay_alu instid0(SALU_CYCLE_1) | instskip(SKIP_2) | instid1(SALU_CYCLE_1)
	s_ashr_i32 s21, s20, 5
	s_cmp_lt_i32 s20, s18
	s_cselect_b32 s20, s21, s3
	s_ashr_i32 s21, s20, 31
	s_delay_alu instid0(SALU_CYCLE_1) | instskip(NEXT) | instid1(SALU_CYCLE_1)
	s_lshl_b64 s[20:21], s[20:21], 2
	s_add_u32 s20, s4, s20
	s_addc_u32 s21, s17, s21
	;; [unrolled: 10-line block ×5, first 2 shown]
	s_clause 0x5
	s_load_b32 s29, s[8:9], 0x0
	s_load_b32 s33, s[12:13], 0x0
	;; [unrolled: 1-line block ×6, first 2 shown]
	s_mov_b32 s20, 0
	s_or_b32 s8, s16, 0xc0
	s_mov_b32 s21, s20
	s_mov_b32 s22, s20
	;; [unrolled: 1-line block ×7, first 2 shown]
	s_ashr_i32 s9, s8, 5
	v_mov_b32_e32 v117, s27
	s_cmp_lt_i32 s8, s18
	v_mov_b32_e32 v116, s26
	s_cselect_b32 s8, s9, s3
	v_mov_b32_e32 v115, s25
	s_ashr_i32 s9, s8, 31
	v_dual_mov_b32 v114, s24 :: v_dual_mov_b32 v113, s23
	v_dual_mov_b32 v112, s22 :: v_dual_mov_b32 v111, s21
	s_lshl_b64 s[8:9], s[8:9], 2
	s_waitcnt lgkmcnt(0)
	s_mul_hi_i32 s13, s29, s5
	s_add_u32 s8, s4, s8
	s_addc_u32 s9, s17, s9
	s_mul_i32 s12, s29, s5
	v_mov_b32_e32 v110, s20
	s_mul_hi_i32 s21, s33, s5
	s_mul_i32 s20, s33, s5
	s_mul_hi_i32 s25, s34, s5
	s_mul_i32 s24, s34, s5
	;; [unrolled: 2-line block ×4, first 2 shown]
	s_waitcnt vmcnt(1)
	v_mad_i64_i32 v[3:4], null, v7, s5, 0
	s_waitcnt vmcnt(0)
	v_mad_i64_i32 v[5:6], null, v8, s5, 0
	s_delay_alu instid0(VALU_DEP_2) | instskip(NEXT) | instid1(VALU_DEP_2)
	v_lshlrev_b64 v[3:4], 1, v[3:4]
	v_lshlrev_b64 v[1:2], 1, v[5:6]
	s_delay_alu instid0(VALU_DEP_2) | instskip(NEXT) | instid1(VALU_DEP_3)
	v_add_co_u32 v3, vcc_lo, s15, v3
	v_add_co_ci_u32_e32 v4, vcc_lo, s28, v4, vcc_lo
	s_delay_alu instid0(VALU_DEP_3) | instskip(NEXT) | instid1(VALU_DEP_4)
	v_add_co_u32 v1, vcc_lo, s15, v1
	v_add_co_ci_u32_e32 v2, vcc_lo, s28, v2, vcc_lo
	s_delay_alu instid0(VALU_DEP_4) | instskip(NEXT) | instid1(VALU_DEP_4)
	v_add_co_u32 v41, vcc_lo, v3, v81
	v_add_co_ci_u32_e32 v42, vcc_lo, v4, v82, vcc_lo
	s_delay_alu instid0(VALU_DEP_4) | instskip(NEXT) | instid1(VALU_DEP_4)
	v_add_co_u32 v43, vcc_lo, v1, v81
	v_add_co_ci_u32_e32 v44, vcc_lo, v2, v82, vcc_lo
	s_clause 0xf
	global_load_b128 v[1:4], v[41:42], off
	global_load_b128 v[5:8], v[41:42], off offset:512
	global_load_b128 v[9:12], v[43:44], off offset:256
	;; [unrolled: 1-line block ×15, first 2 shown]
	v_and_b32_e32 v41, 3, v0
	s_or_b32 s15, s16, 0xe0
	s_delay_alu instid0(SALU_CYCLE_1) | instskip(SKIP_1) | instid1(VALU_DEP_1)
	s_ashr_i32 s22, s15, 5
	s_cmp_lt_i32 s15, s18
	v_lshlrev_b32_e32 v57, 6, v41
	ds_load_b128 v[41:44], v57
	ds_load_b128 v[45:48], v57 offset:1024
	ds_load_b128 v[49:52], v57 offset:2048
	;; [unrolled: 1-line block ×7, first 2 shown]
	s_cselect_b32 s22, s22, s3
	s_delay_alu instid0(SALU_CYCLE_1) | instskip(NEXT) | instid1(SALU_CYCLE_1)
	s_ashr_i32 s23, s22, 31
	s_lshl_b64 s[22:23], s[22:23], 2
	s_delay_alu instid0(SALU_CYCLE_1) | instskip(SKIP_2) | instid1(SALU_CYCLE_1)
	s_add_u32 s22, s4, s22
	s_addc_u32 s23, s17, s23
	s_add_i32 s15, s16, 0x100
	s_ashr_i32 s28, s15, 5
	s_cmp_lt_i32 s15, s18
	s_load_b32 s15, s[8:9], 0x0
	s_cselect_b32 s28, s28, s3
	s_mul_hi_i32 s9, s36, s5
	s_ashr_i32 s29, s28, 31
	s_mul_i32 s8, s36, s5
	s_lshl_b64 s[28:29], s[28:29], 2
	s_delay_alu instid0(SALU_CYCLE_1)
	s_add_u32 s28, s4, s28
	s_addc_u32 s29, s17, s29
	s_add_u32 s3, s10, s6
	s_clause 0x1
	s_load_b32 s4, s[22:23], 0x0
	s_load_b32 s17, s[28:29], 0x0
	s_addc_u32 s28, s11, s7
	s_lshl_b64 s[6:7], s[12:13], 1
	s_lshl_b64 s[10:11], s[20:21], 1
	;; [unrolled: 1-line block ×6, first 2 shown]
	s_waitcnt lgkmcnt(0)
	s_mul_hi_i32 s25, s15, s5
	s_mul_i32 s24, s15, s5
	s_waitcnt vmcnt(14)
	v_wmma_f32_16x16x16_bf16 v[134:141], v[1:8], v[41:48], v[110:117]
	s_waitcnt vmcnt(12)
	v_wmma_f32_16x16x16_bf16 v[110:117], v[9:16], v[41:48], v[110:117]
	s_waitcnt vmcnt(10)
	s_delay_alu instid0(VALU_DEP_2) | instskip(SKIP_1) | instid1(VALU_DEP_2)
	v_wmma_f32_16x16x16_bf16 v[134:141], v[17:24], v[49:56], v[134:141]
	s_waitcnt vmcnt(8)
	v_wmma_f32_16x16x16_bf16 v[110:117], v[25:32], v[49:56], v[110:117]
	s_waitcnt vmcnt(6)
	s_delay_alu instid0(VALU_DEP_2) | instskip(SKIP_1) | instid1(VALU_DEP_2)
	v_wmma_f32_16x16x16_bf16 v[134:141], v[33:40], v[118:125], v[134:141]
	s_waitcnt vmcnt(4)
	v_wmma_f32_16x16x16_bf16 v[110:117], v[86:93], v[118:125], v[110:117]
	s_waitcnt vmcnt(2)
	s_delay_alu instid0(VALU_DEP_2) | instskip(SKIP_3) | instid1(VALU_DEP_3)
	v_wmma_f32_16x16x16_bf16 v[134:141], v[94:101], v[126:133], v[134:141]
	v_lshlrev_b32_e32 v85, 6, v74
	s_waitcnt vmcnt(0)
	v_wmma_f32_16x16x16_bf16 v[110:117], v[102:109], v[126:133], v[110:117]
	v_mul_f32_e32 v100, s19, v141
	s_delay_alu instid0(VALU_DEP_3) | instskip(SKIP_2) | instid1(VALU_DEP_3)
	v_lshl_or_b32 v58, v73, 10, v85
	v_mul_f32_e32 v97, s19, v134
	v_mul_f32_e32 v99, s19, v135
	v_add_co_u32 v76, s3, s3, v58
	s_delay_alu instid0(VALU_DEP_1) | instskip(NEXT) | instid1(VALU_DEP_2)
	v_add_co_ci_u32_e64 v77, null, s28, 0, s3
	v_add_co_u32 v57, vcc_lo, v76, s6
	s_delay_alu instid0(VALU_DEP_2)
	v_add_co_ci_u32_e32 v58, vcc_lo, s7, v77, vcc_lo
	v_add_co_u32 v1, vcc_lo, v76, s10
	v_add_co_ci_u32_e32 v2, vcc_lo, s11, v77, vcc_lo
	v_add_co_u32 v3, vcc_lo, v76, s12
	;; [unrolled: 2-line block ×4, first 2 shown]
	v_add_co_ci_u32_e32 v8, vcc_lo, s9, v77, vcc_lo
	s_clause 0x9
	global_load_b128 v[65:68], v[57:58], off
	global_load_b128 v[69:72], v[57:58], off offset:16
	global_load_b128 v[57:60], v[1:2], off
	global_load_b128 v[61:64], v[1:2], off offset:16
	;; [unrolled: 2-line block ×5, first 2 shown]
	v_add_co_u32 v5, vcc_lo, v76, s22
	s_lshl_b64 s[6:7], s[24:25], 1
	v_add_co_ci_u32_e32 v6, vcc_lo, s23, v77, vcc_lo
	s_mul_hi_i32 s9, s4, s5
	s_mul_i32 s8, s4, s5
	v_add_co_u32 v17, vcc_lo, v76, s6
	v_add_co_ci_u32_e32 v18, vcc_lo, s7, v77, vcc_lo
	s_lshl_b64 s[6:7], s[8:9], 1
	s_mul_hi_i32 s9, s17, s5
	s_mul_i32 s8, s17, s5
	v_add_co_u32 v19, vcc_lo, v76, s6
	s_lshl_b64 s[4:5], s[8:9], 1
	v_add_co_ci_u32_e32 v20, vcc_lo, s7, v77, vcc_lo
	v_add_co_u32 v21, vcc_lo, v76, s4
	v_add_co_ci_u32_e32 v22, vcc_lo, s5, v77, vcc_lo
	s_clause 0x7
	global_load_b128 v[1:4], v[5:6], off
	global_load_b128 v[5:8], v[5:6], off offset:16
	global_load_b128 v[33:36], v[17:18], off
	global_load_b128 v[37:40], v[17:18], off offset:16
	;; [unrolled: 2-line block ×4, first 2 shown]
	v_and_b32_e32 v76, 0xe0, v0
	v_mbcnt_lo_u32_b32 v77, -1, 0
	s_waitcnt vmcnt(0)
	s_barrier
	buffer_gl0_inv
	v_add_nc_u32_e32 v76, s16, v76
	v_xor_b32_e32 v78, 16, v77
	s_delay_alu instid0(VALU_DEP_2) | instskip(NEXT) | instid1(VALU_DEP_2)
	v_or_b32_e32 v76, v76, v83
	v_cmp_gt_i32_e32 vcc_lo, 32, v78
	s_delay_alu instid0(VALU_DEP_2)
	v_or_b32_e32 v79, 4, v76
	v_cndmask_b32_e32 v77, v77, v78, vcc_lo
	v_or_b32_e32 v78, 2, v76
	v_or_b32_e32 v80, 6, v76
	;; [unrolled: 1-line block ×3, first 2 shown]
	v_cmp_gt_i32_e32 vcc_lo, s18, v76
	v_or_b32_e32 v87, 10, v76
	v_cmp_gt_i32_e64 s3, s18, v78
	v_or_b32_e32 v88, 12, v76
	v_or_b32_e32 v89, 14, v76
	;; [unrolled: 1-line block ×10, first 2 shown]
	v_cndmask_b32_e64 v78, 0xff7fffff, v99, s3
	v_mul_f32_e32 v99, s19, v137
	v_cmp_gt_i32_e64 s4, s18, v80
	v_mul_f32_e32 v80, s19, v136
	v_cmp_gt_i32_e64 s5, s18, v79
	v_cmp_gt_i32_e64 s6, s18, v86
	v_mul_f32_e32 v86, s19, v116
	v_cndmask_b32_e32 v76, 0xff7fffff, v97, vcc_lo
	v_mul_f32_e32 v79, s19, v139
	v_cndmask_b32_e64 v80, 0xff7fffff, v80, s5
	v_cndmask_b32_e64 v99, 0xff7fffff, v99, s4
	v_cmp_gt_i32_e64 s7, s18, v87
	v_max3_f32 v76, v76, 0xff7fffff, v78
	v_dual_mul_f32 v78, s19, v138 :: v_dual_mul_f32 v97, s19, v140
	v_cmp_gt_i32_e64 s8, s18, v89
	s_delay_alu instid0(VALU_DEP_4) | instskip(NEXT) | instid1(VALU_DEP_4)
	v_cndmask_b32_e64 v79, 0xff7fffff, v79, s7
	v_max3_f32 v76, v76, v80, v99
	s_delay_alu instid0(VALU_DEP_4) | instskip(SKIP_3) | instid1(VALU_DEP_4)
	v_cndmask_b32_e64 v78, 0xff7fffff, v78, s6
	v_cmp_gt_i32_e64 s9, s18, v88
	v_dual_mul_f32 v88, s19, v111 :: v_dual_mul_f32 v89, s19, v110
	v_cndmask_b32_e64 v100, 0xff7fffff, v100, s8
	v_max3_f32 v76, v76, v78, v79
	s_delay_alu instid0(VALU_DEP_4) | instskip(SKIP_3) | instid1(VALU_DEP_4)
	v_cndmask_b32_e64 v97, 0xff7fffff, v97, s9
	v_cmp_gt_i32_e64 s10, s18, v90
	v_cmp_gt_i32_e64 s11, s18, v91
	v_dual_mul_f32 v78, s19, v113 :: v_dual_mul_f32 v79, s19, v112
	v_max3_f32 v76, v76, v97, v100
	s_delay_alu instid0(VALU_DEP_4) | instskip(NEXT) | instid1(VALU_DEP_4)
	v_cndmask_b32_e64 v89, 0xff7fffff, v89, s10
	v_cndmask_b32_e64 v88, 0xff7fffff, v88, s11
	v_cmp_gt_i32_e64 s12, s18, v92
	v_cmp_gt_i32_e64 s13, s18, v93
	v_mul_f32_e32 v87, s19, v115
	v_mul_f32_e32 v99, s19, v114
	v_max3_f32 v76, v76, v89, v88
	v_cndmask_b32_e64 v79, 0xff7fffff, v79, s12
	v_cndmask_b32_e64 v78, 0xff7fffff, v78, s13
	v_cmp_gt_i32_e64 s15, s18, v94
	v_cmp_gt_i32_e64 s16, s18, v95
	v_mul_f32_e32 v80, s19, v117
	v_cmp_gt_i32_e64 s17, s18, v96
	v_max3_f32 v76, v76, v79, v78
	v_cndmask_b32_e64 v88, 0xff7fffff, v99, s15
	v_cndmask_b32_e64 v87, 0xff7fffff, v87, s16
	v_cmp_gt_i32_e64 s18, s18, v98
	v_cndmask_b32_e64 v78, 0xff7fffff, v86, s17
	v_lshlrev_b32_e32 v99, 2, v77
	s_delay_alu instid0(VALU_DEP_4) | instskip(NEXT) | instid1(VALU_DEP_4)
	v_max3_f32 v76, v76, v88, v87
	v_cndmask_b32_e64 v79, 0xff7fffff, v80, s18
	s_delay_alu instid0(VALU_DEP_1) | instskip(SKIP_3) | instid1(VALU_DEP_1)
	v_max3_f32 v76, v76, v78, v79
	ds_bpermute_b32 v77, v99, v76
	s_waitcnt lgkmcnt(0)
	v_max_f32_e32 v77, v77, v77
	v_max_f32_e32 v89, v76, v77
	s_delay_alu instid0(VALU_DEP_1)
	v_fma_f32 v78, s19, v136, -v89
	v_fma_f32 v76, s19, v134, -v89
	;; [unrolled: 1-line block ×5, first 2 shown]
	v_mul_f32_e32 v78, 0x3fb8aa3b, v78
	v_mul_f32_e32 v76, 0x3fb8aa3b, v76
	s_delay_alu instid0(VALU_DEP_4) | instskip(SKIP_1) | instid1(VALU_DEP_4)
	v_dual_mul_f32 v86, 0x3fb8aa3b, v86 :: v_dual_mul_f32 v77, 0x3fb8aa3b, v77
	v_fma_f32 v80, s19, v138, -v89
	v_exp_f32_e32 v78, v78
	s_delay_alu instid0(VALU_DEP_3) | instskip(NEXT) | instid1(VALU_DEP_2)
	v_exp_f32_e32 v76, v76
	v_exp_f32_e32 v86, v86
	;; [unrolled: 1-line block ×3, first 2 shown]
	v_mul_f32_e32 v80, 0x3fb8aa3b, v80
	s_delay_alu instid0(VALU_DEP_1) | instskip(SKIP_2) | instid1(TRANS32_DEP_3)
	v_exp_f32_e32 v80, v80
	v_cndmask_b32_e64 v92, 0, v78, s5
	v_fma_f32 v78, s19, v141, -v89
	v_cndmask_b32_e64 v93, 0, v86, s9
	v_mul_f32_e32 v79, 0x3fb8aa3b, v79
	s_delay_alu instid0(TRANS32_DEP_2) | instskip(SKIP_2) | instid1(VALU_DEP_3)
	v_cndmask_b32_e64 v90, 0, v77, s3
	s_mov_b32 s3, exec_lo
	v_mul_f32_e32 v78, 0x3fb8aa3b, v78
	v_exp_f32_e32 v79, v79
	s_delay_alu instid0(TRANS32_DEP_2) | instskip(SKIP_1) | instid1(VALU_DEP_3)
	v_cndmask_b32_e64 v95, 0, v80, s6
	v_fma_f32 v80, s19, v111, -v89
	v_exp_f32_e32 v78, v78
	s_delay_alu instid0(VALU_DEP_1)
	v_mul_f32_e32 v80, 0x3fb8aa3b, v80
	s_waitcnt_depctr 0xfff
	v_cndmask_b32_e64 v94, 0, v79, s4
	v_fma_f32 v79, s19, v110, -v89
	v_exp_f32_e32 v80, v80
	v_cndmask_b32_e64 v97, 0, v78, s8
	v_cndmask_b32_e32 v91, 0, v76, vcc_lo
	v_fma_f32 v76, s19, v139, -v89
	s_delay_alu instid0(VALU_DEP_1) | instskip(NEXT) | instid1(VALU_DEP_1)
	v_dual_add_f32 v77, 0, v91 :: v_dual_mul_f32 v76, 0x3fb8aa3b, v76
	v_add_f32_e32 v77, v77, v90
	s_delay_alu instid0(VALU_DEP_2) | instskip(NEXT) | instid1(VALU_DEP_1)
	v_exp_f32_e32 v76, v76
	v_add_f32_e32 v77, v77, v92
	s_delay_alu instid0(VALU_DEP_1) | instskip(SKIP_4) | instid1(VALU_DEP_1)
	v_add_f32_e32 v77, v77, v94
	s_waitcnt_depctr 0xfff
	v_cndmask_b32_e64 v96, 0, v76, s7
	v_add_f32_e32 v76, v77, v95
	v_fma_f32 v77, s19, v112, -v89
	v_dual_add_f32 v76, v76, v96 :: v_dual_mul_f32 v77, 0x3fb8aa3b, v77
	s_delay_alu instid0(VALU_DEP_1) | instskip(NEXT) | instid1(VALU_DEP_2)
	v_add_f32_e32 v78, v76, v93
	v_exp_f32_e32 v88, v77
	v_cndmask_b32_e64 v77, 0, v80, s11
	s_delay_alu instid0(VALU_DEP_2) | instskip(NEXT) | instid1(VALU_DEP_1)
	v_dual_mul_f32 v79, 0x3fb8aa3b, v79 :: v_dual_add_f32 v78, v78, v97
	v_exp_f32_e32 v79, v79
	s_waitcnt_depctr 0xfff
	v_cndmask_b32_e64 v76, 0, v79, s10
	s_delay_alu instid0(VALU_DEP_1)
	v_add_f32_e32 v80, v78, v76
	v_fma_f32 v86, s19, v113, -v89
	v_fma_f32 v87, s19, v114, -v89
	;; [unrolled: 1-line block ×4, first 2 shown]
	v_add_f32_e32 v80, v80, v77
	s_delay_alu instid0(VALU_DEP_4) | instskip(NEXT) | instid1(VALU_DEP_4)
	v_dual_mul_f32 v86, 0x3fb8aa3b, v86 :: v_dual_mul_f32 v87, 0x3fb8aa3b, v87
	v_mul_f32_e32 v79, 0x3fb8aa3b, v79
	v_cndmask_b32_e64 v78, 0, v88, s12
	v_mul_f32_e32 v88, 0x3fb8aa3b, v98
	s_delay_alu instid0(VALU_DEP_4) | instskip(SKIP_4) | instid1(VALU_DEP_1)
	v_exp_f32_e32 v86, v86
	v_exp_f32_e32 v87, v87
	;; [unrolled: 1-line block ×3, first 2 shown]
	v_fma_f32 v100, s19, v117, -v89
	v_exp_f32_e32 v88, v88
	v_mul_f32_e32 v100, 0x3fb8aa3b, v100
	v_cndmask_b32_e64 v79, 0, v86, s13
	v_add_f32_e32 v86, v80, v78
	s_delay_alu instid0(TRANS32_DEP_3) | instskip(NEXT) | instid1(VALU_DEP_4)
	v_cndmask_b32_e64 v80, 0, v87, s15
	v_exp_f32_e32 v100, v100
	s_delay_alu instid0(VALU_DEP_2) | instskip(NEXT) | instid1(TRANS32_DEP_3)
	v_add_f32_e32 v87, v86, v79
	v_cndmask_b32_e64 v86, 0, v98, s16
	s_delay_alu instid0(VALU_DEP_2) | instskip(NEXT) | instid1(TRANS32_DEP_2)
	v_add_f32_e32 v98, v87, v80
	v_cndmask_b32_e64 v87, 0, v88, s17
	s_delay_alu instid0(VALU_DEP_2) | instskip(NEXT) | instid1(VALU_DEP_1)
	v_add_f32_e32 v88, v98, v86
	v_add_f32_e32 v98, v88, v87
	s_delay_alu instid0(TRANS32_DEP_1) | instskip(NEXT) | instid1(VALU_DEP_1)
	v_cndmask_b32_e64 v88, 0, v100, s18
	v_add_f32_e32 v98, v98, v88
	ds_bpermute_b32 v99, v99, v98
	v_cmpx_gt_u32_e32 16, v75
	s_cbranch_execz .LBB517_14
; %bb.13:
	v_mul_u32_u24_e32 v75, 0x44, v73
	s_waitcnt lgkmcnt(0)
	v_add_f32_e32 v98, v98, v99
	s_delay_alu instid0(VALU_DEP_2) | instskip(NEXT) | instid1(VALU_DEP_1)
	v_lshl_add_u32 v75, v74, 2, v75
	v_add_nc_u32_e32 v75, 0x4000, v75
	ds_store_2addr_b32 v75, v89, v98 offset1:136
.LBB517_14:
	s_or_b32 exec_lo, exec_lo, s3
	v_lshlrev_b32_e32 v74, 2, v74
	s_waitcnt lgkmcnt(0)
	s_barrier
	buffer_gl0_inv
	v_cmp_eq_u32_e64 s3, 1, v73
	v_add_nc_u32_e32 v89, 0x4000, v74
	ds_load_2addr_b32 v[98:99], v89 offset1:17
	ds_load_2addr_b32 v[100:101], v89 offset0:34 offset1:51
	ds_load_2addr_b32 v[102:103], v89 offset0:68 offset1:85
	;; [unrolled: 1-line block ×4, first 2 shown]
	s_waitcnt lgkmcnt(4)
	v_max3_f32 v74, v98, 0xff7fffff, v99
	s_waitcnt lgkmcnt(3)
	s_delay_alu instid0(VALU_DEP_1) | instskip(SKIP_1) | instid1(VALU_DEP_1)
	v_max3_f32 v74, v74, v100, v101
	s_waitcnt lgkmcnt(2)
	v_max3_f32 v74, v74, v102, v103
	s_waitcnt lgkmcnt(1)
	s_delay_alu instid0(VALU_DEP_1) | instskip(NEXT) | instid1(VALU_DEP_1)
	v_max3_f32 v74, v74, v104, v105
	v_sub_f32_e32 v108, v99, v74
	v_sub_f32_e32 v75, v98, v74
	ds_load_2addr_b32 v[98:99], v89 offset0:170 offset1:187
	v_sub_f32_e32 v100, v100, v74
	v_dual_mul_f32 v108, 0x3fb8aa3b, v108 :: v_dual_mul_f32 v75, 0x3fb8aa3b, v75
	s_delay_alu instid0(VALU_DEP_2) | instskip(NEXT) | instid1(VALU_DEP_2)
	v_mul_f32_e32 v110, 0x3fb8aa3b, v100
	v_exp_f32_e32 v108, v108
	s_delay_alu instid0(VALU_DEP_2)
	v_exp_f32_e32 v109, v75
	v_sub_f32_e32 v75, v101, v74
	ds_load_2addr_b32 v[100:101], v89 offset0:204 offset1:221
	v_exp_f32_e32 v110, v110
	v_mul_f32_e32 v111, 0x3fb8aa3b, v75
	s_waitcnt lgkmcnt(2)
	v_fma_f32 v75, v109, v106, 0
	v_sub_f32_e32 v102, v102, v74
	s_delay_alu instid0(VALU_DEP_3) | instskip(NEXT) | instid1(VALU_DEP_2)
	v_exp_f32_e32 v111, v111
	v_dual_sub_f32 v106, v103, v74 :: v_dual_fmac_f32 v75, v108, v107
	s_waitcnt lgkmcnt(1)
	s_waitcnt_depctr 0xfff
	v_fmac_f32_e32 v75, v110, v98
	v_mul_f32_e32 v112, 0x3fb8aa3b, v102
	ds_load_2addr_b32 v[102:103], v89 offset0:238 offset1:255
	v_sub_f32_e32 v89, v104, v74
	v_dual_sub_f32 v98, v105, v74 :: v_dual_fmac_f32 v75, v111, v99
	v_mul_f32_e32 v104, 0x3fb8aa3b, v106
	v_exp_f32_e32 v106, v112
	s_delay_alu instid0(VALU_DEP_2)
	v_dual_mul_f32 v89, 0x3fb8aa3b, v89 :: v_dual_mul_f32 v98, 0x3fb8aa3b, v98
	s_waitcnt lgkmcnt(0)
	s_barrier
	buffer_gl0_inv
	v_exp_f32_e32 v89, v89
	v_exp_f32_e32 v98, v98
	v_fmac_f32_e32 v75, v106, v100
	v_exp_f32_e32 v104, v104
	s_waitcnt_depctr 0xfff
	v_fmac_f32_e32 v75, v104, v101
	s_delay_alu instid0(VALU_DEP_1) | instskip(NEXT) | instid1(VALU_DEP_1)
	v_fmac_f32_e32 v75, v89, v102
	v_fmac_f32_e32 v75, v98, v103
	s_delay_alu instid0(VALU_DEP_1) | instskip(NEXT) | instid1(VALU_DEP_1)
	v_add_f32_e32 v99, 0x358637bd, v75
	v_div_scale_f32 v100, null, v99, v99, 1.0
	v_div_scale_f32 v103, vcc_lo, 1.0, v99, 1.0
	s_delay_alu instid0(VALU_DEP_2) | instskip(SKIP_2) | instid1(VALU_DEP_1)
	v_rcp_f32_e32 v101, v100
	s_waitcnt_depctr 0xfff
	v_fma_f32 v102, -v100, v101, 1.0
	v_fmac_f32_e32 v101, v102, v101
	v_cndmask_b32_e64 v102, v109, v108, s3
	v_cmp_eq_u32_e64 s3, 2, v73
	s_delay_alu instid0(VALU_DEP_3) | instskip(NEXT) | instid1(VALU_DEP_2)
	v_mul_f32_e32 v105, v103, v101
	v_cndmask_b32_e64 v102, v102, v110, s3
	v_cmp_eq_u32_e64 s3, 3, v73
	s_delay_alu instid0(VALU_DEP_3) | instskip(NEXT) | instid1(VALU_DEP_2)
	v_fma_f32 v107, -v100, v105, v103
	v_cndmask_b32_e64 v102, v102, v111, s3
	v_cmp_eq_u32_e64 s3, 4, v73
	s_delay_alu instid0(VALU_DEP_3) | instskip(NEXT) | instid1(VALU_DEP_2)
	v_fmac_f32_e32 v105, v107, v101
	v_cndmask_b32_e64 v102, v102, v106, s3
	s_delay_alu instid0(VALU_DEP_2) | instskip(SKIP_1) | instid1(VALU_DEP_2)
	v_fma_f32 v100, -v100, v105, v103
	v_cmp_eq_u32_e64 s3, 5, v73
	v_div_fmas_f32 v100, v100, v101, v105
	s_delay_alu instid0(VALU_DEP_2) | instskip(SKIP_2) | instid1(VALU_DEP_3)
	v_cndmask_b32_e64 v102, v102, v104, s3
	v_cmp_eq_u32_e32 vcc_lo, 6, v73
	s_mov_b32 s3, exec_lo
	v_div_fixup_f32 v99, v100, v99, 1.0
	s_delay_alu instid0(VALU_DEP_3) | instskip(SKIP_1) | instid1(VALU_DEP_2)
	v_cndmask_b32_e32 v89, v102, v89, vcc_lo
	v_cmp_eq_u32_e32 vcc_lo, 7, v73
	v_cndmask_b32_e32 v89, v89, v98, vcc_lo
	s_delay_alu instid0(VALU_DEP_1) | instskip(NEXT) | instid1(VALU_DEP_1)
	v_mul_f32_e32 v89, v89, v99
	v_mul_f32_e32 v99, v89, v91
	;; [unrolled: 1-line block ×6, first 2 shown]
	v_and_b32_e32 v100, 0x7f800000, v99
	v_mul_f32_e32 v98, v89, v94
	v_mul_f32_e32 v94, v89, v90
	;; [unrolled: 1-line block ×3, first 2 shown]
                                        ; implicit-def: $vgpr90
	s_delay_alu instid0(VALU_DEP_4)
	v_cmpx_ne_u32_e32 0x7f800000, v100
	s_xor_b32 s3, exec_lo, s3
; %bb.15:
	v_bfe_u32 v90, v99, 16, 1
	s_delay_alu instid0(VALU_DEP_1)
	v_add3_u32 v90, v99, v90, 0x7fff
                                        ; implicit-def: $vgpr99
; %bb.16:
	s_and_not1_saveexec_b32 s3, s3
; %bb.17:
	v_and_b32_e32 v90, 0xffff, v99
	v_or_b32_e32 v92, 0x10000, v99
	s_delay_alu instid0(VALU_DEP_2) | instskip(NEXT) | instid1(VALU_DEP_2)
	v_cmp_eq_u32_e32 vcc_lo, 0, v90
	v_cndmask_b32_e32 v90, v92, v99, vcc_lo
; %bb.18:
	s_or_b32 exec_lo, exec_lo, s3
	v_and_b32_e32 v92, 0x7f800000, v94
	s_delay_alu instid0(VALU_DEP_1) | instskip(SKIP_1) | instid1(SALU_CYCLE_1)
	v_cmp_ne_u32_e32 vcc_lo, 0x7f800000, v92
                                        ; implicit-def: $vgpr92
	s_and_saveexec_b32 s3, vcc_lo
	s_xor_b32 s3, exec_lo, s3
; %bb.19:
	v_bfe_u32 v92, v94, 16, 1
	s_delay_alu instid0(VALU_DEP_1)
	v_add3_u32 v92, v94, v92, 0x7fff
                                        ; implicit-def: $vgpr94
; %bb.20:
	s_and_not1_saveexec_b32 s3, s3
; %bb.21:
	v_and_b32_e32 v92, 0xffff, v94
	v_or_b32_e32 v99, 0x10000, v94
	s_delay_alu instid0(VALU_DEP_2) | instskip(NEXT) | instid1(VALU_DEP_2)
	v_cmp_eq_u32_e32 vcc_lo, 0, v92
	v_cndmask_b32_e32 v92, v99, v94, vcc_lo
; %bb.22:
	s_or_b32 exec_lo, exec_lo, s3
	v_and_b32_e32 v94, 0x7f800000, v95
	s_delay_alu instid0(VALU_DEP_1) | instskip(SKIP_1) | instid1(SALU_CYCLE_1)
	v_cmp_ne_u32_e32 vcc_lo, 0x7f800000, v94
                                        ; implicit-def: $vgpr94
	s_and_saveexec_b32 s3, vcc_lo
	s_xor_b32 s3, exec_lo, s3
; %bb.23:
	v_bfe_u32 v94, v95, 16, 1
	s_delay_alu instid0(VALU_DEP_1)
	v_add3_u32 v94, v95, v94, 0x7fff
                                        ; implicit-def: $vgpr95
; %bb.24:
	s_and_not1_saveexec_b32 s3, s3
; %bb.25:
	v_and_b32_e32 v94, 0xffff, v95
	v_or_b32_e32 v99, 0x10000, v95
	s_delay_alu instid0(VALU_DEP_2) | instskip(NEXT) | instid1(VALU_DEP_2)
	v_cmp_eq_u32_e32 vcc_lo, 0, v94
	v_cndmask_b32_e32 v94, v99, v95, vcc_lo
; %bb.26:
	s_or_b32 exec_lo, exec_lo, s3
	v_and_b32_e32 v95, 0x7f800000, v98
	s_delay_alu instid0(VALU_DEP_1) | instskip(SKIP_1) | instid1(SALU_CYCLE_1)
	v_cmp_ne_u32_e32 vcc_lo, 0x7f800000, v95
                                        ; implicit-def: $vgpr95
	s_and_saveexec_b32 s3, vcc_lo
	s_xor_b32 s3, exec_lo, s3
; %bb.27:
	v_bfe_u32 v95, v98, 16, 1
	s_delay_alu instid0(VALU_DEP_1)
	v_add3_u32 v95, v98, v95, 0x7fff
                                        ; implicit-def: $vgpr98
; %bb.28:
	s_and_not1_saveexec_b32 s3, s3
; %bb.29:
	v_and_b32_e32 v95, 0xffff, v98
	v_or_b32_e32 v99, 0x10000, v98
	s_delay_alu instid0(VALU_DEP_2) | instskip(NEXT) | instid1(VALU_DEP_2)
	v_cmp_eq_u32_e32 vcc_lo, 0, v95
	v_cndmask_b32_e32 v95, v99, v98, vcc_lo
; %bb.30:
	s_or_b32 exec_lo, exec_lo, s3
	v_and_b32_e32 v98, 0x7f800000, v97
	s_delay_alu instid0(VALU_DEP_1) | instskip(SKIP_1) | instid1(SALU_CYCLE_1)
	v_cmp_ne_u32_e32 vcc_lo, 0x7f800000, v98
                                        ; implicit-def: $vgpr98
	s_and_saveexec_b32 s3, vcc_lo
	s_xor_b32 s3, exec_lo, s3
; %bb.31:
	v_bfe_u32 v98, v97, 16, 1
	s_delay_alu instid0(VALU_DEP_1)
	v_add3_u32 v98, v97, v98, 0x7fff
                                        ; implicit-def: $vgpr97
; %bb.32:
	s_and_not1_saveexec_b32 s3, s3
; %bb.33:
	v_and_b32_e32 v98, 0xffff, v97
	v_or_b32_e32 v99, 0x10000, v97
	s_delay_alu instid0(VALU_DEP_2) | instskip(NEXT) | instid1(VALU_DEP_2)
	v_cmp_eq_u32_e32 vcc_lo, 0, v98
	v_cndmask_b32_e32 v98, v99, v97, vcc_lo
; %bb.34:
	s_or_b32 exec_lo, exec_lo, s3
	v_and_b32_e32 v97, 0x7f800000, v96
	s_delay_alu instid0(VALU_DEP_1) | instskip(SKIP_1) | instid1(SALU_CYCLE_1)
	v_cmp_ne_u32_e32 vcc_lo, 0x7f800000, v97
                                        ; implicit-def: $vgpr97
	s_and_saveexec_b32 s3, vcc_lo
	s_xor_b32 s3, exec_lo, s3
; %bb.35:
	v_bfe_u32 v97, v96, 16, 1
	s_delay_alu instid0(VALU_DEP_1)
	v_add3_u32 v97, v96, v97, 0x7fff
                                        ; implicit-def: $vgpr96
; %bb.36:
	s_and_not1_saveexec_b32 s3, s3
; %bb.37:
	v_and_b32_e32 v97, 0xffff, v96
	v_or_b32_e32 v99, 0x10000, v96
	s_delay_alu instid0(VALU_DEP_2) | instskip(NEXT) | instid1(VALU_DEP_2)
	v_cmp_eq_u32_e32 vcc_lo, 0, v97
	v_cndmask_b32_e32 v97, v99, v96, vcc_lo
; %bb.38:
	s_or_b32 exec_lo, exec_lo, s3
	v_and_b32_e32 v96, 0x7f800000, v93
	s_delay_alu instid0(VALU_DEP_1) | instskip(SKIP_1) | instid1(SALU_CYCLE_1)
	v_cmp_ne_u32_e32 vcc_lo, 0x7f800000, v96
                                        ; implicit-def: $vgpr96
	s_and_saveexec_b32 s3, vcc_lo
	s_xor_b32 s3, exec_lo, s3
; %bb.39:
	v_bfe_u32 v96, v93, 16, 1
	s_delay_alu instid0(VALU_DEP_1)
	v_add3_u32 v96, v93, v96, 0x7fff
                                        ; implicit-def: $vgpr93
; %bb.40:
	s_and_not1_saveexec_b32 s3, s3
; %bb.41:
	v_and_b32_e32 v96, 0xffff, v93
	v_or_b32_e32 v99, 0x10000, v93
	s_delay_alu instid0(VALU_DEP_2) | instskip(NEXT) | instid1(VALU_DEP_2)
	v_cmp_eq_u32_e32 vcc_lo, 0, v96
	v_cndmask_b32_e32 v96, v99, v93, vcc_lo
; %bb.42:
	s_or_b32 exec_lo, exec_lo, s3
	v_and_b32_e32 v93, 0x7f800000, v91
	s_delay_alu instid0(VALU_DEP_1) | instskip(SKIP_1) | instid1(SALU_CYCLE_1)
	v_cmp_ne_u32_e32 vcc_lo, 0x7f800000, v93
                                        ; implicit-def: $vgpr93
	s_and_saveexec_b32 s3, vcc_lo
	s_xor_b32 s3, exec_lo, s3
; %bb.43:
	v_bfe_u32 v93, v91, 16, 1
	s_delay_alu instid0(VALU_DEP_1)
	v_add3_u32 v93, v91, v93, 0x7fff
                                        ; implicit-def: $vgpr91
; %bb.44:
	s_and_not1_saveexec_b32 s3, s3
; %bb.45:
	v_and_b32_e32 v93, 0xffff, v91
	v_or_b32_e32 v99, 0x10000, v91
	s_delay_alu instid0(VALU_DEP_2) | instskip(NEXT) | instid1(VALU_DEP_2)
	v_cmp_eq_u32_e32 vcc_lo, 0, v93
	v_cndmask_b32_e32 v93, v99, v91, vcc_lo
; %bb.46:
	s_or_b32 exec_lo, exec_lo, s3
	s_load_b64 s[34:35], s[0:1], 0x94
	v_lshlrev_b32_e32 v91, 4, v83
	s_delay_alu instid0(VALU_DEP_2)
	v_perm_b32 v99, v93, v96, 0x7060302
	v_dual_mul_f32 v88, v89, v88 :: v_dual_lshlrev_b32 v93, 11, v73
	v_perm_b32 v96, v92, v90, 0x7060302
	v_mul_f32_e32 v92, v89, v76
	v_perm_b32 v98, v97, v98, 0x7060302
	v_perm_b32 v97, v95, v94, 0x7060302
	v_or3_b32 v76, v91, v93, v85
	v_mul_f32_e32 v87, v89, v87
	v_dual_mul_f32 v86, v89, v86 :: v_dual_and_b32 v93, 0x7f800000, v92
	v_mul_f32_e32 v80, v89, v80
	v_mul_f32_e32 v90, v89, v79
	;; [unrolled: 1-line block ×4, first 2 shown]
	s_mov_b32 s3, exec_lo
	ds_store_b128 v76, v[96:99]
                                        ; implicit-def: $vgpr77
	v_cmpx_ne_u32_e32 0x7f800000, v93
	s_xor_b32 s3, exec_lo, s3
; %bb.47:
	v_bfe_u32 v77, v92, 16, 1
	s_delay_alu instid0(VALU_DEP_1)
	v_add3_u32 v77, v92, v77, 0x7fff
                                        ; implicit-def: $vgpr92
; %bb.48:
	s_and_not1_saveexec_b32 s3, s3
; %bb.49:
	v_and_b32_e32 v77, 0xffff, v92
	v_or_b32_e32 v78, 0x10000, v92
	s_delay_alu instid0(VALU_DEP_2) | instskip(NEXT) | instid1(VALU_DEP_2)
	v_cmp_eq_u32_e32 vcc_lo, 0, v77
	v_cndmask_b32_e32 v77, v78, v92, vcc_lo
; %bb.50:
	s_or_b32 exec_lo, exec_lo, s3
	v_and_b32_e32 v78, 0x7f800000, v79
	s_delay_alu instid0(VALU_DEP_1) | instskip(SKIP_1) | instid1(SALU_CYCLE_1)
	v_cmp_ne_u32_e32 vcc_lo, 0x7f800000, v78
                                        ; implicit-def: $vgpr78
	s_and_saveexec_b32 s3, vcc_lo
	s_xor_b32 s3, exec_lo, s3
; %bb.51:
	v_bfe_u32 v78, v79, 16, 1
	s_delay_alu instid0(VALU_DEP_1)
	v_add3_u32 v78, v79, v78, 0x7fff
                                        ; implicit-def: $vgpr79
; %bb.52:
	s_and_not1_saveexec_b32 s3, s3
; %bb.53:
	v_and_b32_e32 v78, 0xffff, v79
	v_or_b32_e32 v89, 0x10000, v79
	s_delay_alu instid0(VALU_DEP_2) | instskip(NEXT) | instid1(VALU_DEP_2)
	v_cmp_eq_u32_e32 vcc_lo, 0, v78
	v_cndmask_b32_e32 v78, v89, v79, vcc_lo
; %bb.54:
	s_or_b32 exec_lo, exec_lo, s3
	v_and_b32_e32 v79, 0x7f800000, v91
	s_delay_alu instid0(VALU_DEP_1) | instskip(SKIP_1) | instid1(SALU_CYCLE_1)
	v_cmp_ne_u32_e32 vcc_lo, 0x7f800000, v79
                                        ; implicit-def: $vgpr79
	s_and_saveexec_b32 s3, vcc_lo
	s_xor_b32 s3, exec_lo, s3
; %bb.55:
	v_bfe_u32 v79, v91, 16, 1
	s_delay_alu instid0(VALU_DEP_1)
	v_add3_u32 v79, v91, v79, 0x7fff
                                        ; implicit-def: $vgpr91
; %bb.56:
	s_and_not1_saveexec_b32 s3, s3
; %bb.57:
	v_and_b32_e32 v79, 0xffff, v91
	v_or_b32_e32 v89, 0x10000, v91
	s_delay_alu instid0(VALU_DEP_2) | instskip(NEXT) | instid1(VALU_DEP_2)
	v_cmp_eq_u32_e32 vcc_lo, 0, v79
	v_cndmask_b32_e32 v79, v89, v91, vcc_lo
; %bb.58:
	s_or_b32 exec_lo, exec_lo, s3
	v_and_b32_e32 v89, 0x7f800000, v90
	s_delay_alu instid0(VALU_DEP_1) | instskip(SKIP_1) | instid1(SALU_CYCLE_1)
	v_cmp_ne_u32_e32 vcc_lo, 0x7f800000, v89
                                        ; implicit-def: $vgpr89
	s_and_saveexec_b32 s3, vcc_lo
	s_xor_b32 s3, exec_lo, s3
; %bb.59:
	v_bfe_u32 v89, v90, 16, 1
	s_delay_alu instid0(VALU_DEP_1)
	v_add3_u32 v89, v90, v89, 0x7fff
                                        ; implicit-def: $vgpr90
; %bb.60:
	s_and_not1_saveexec_b32 s3, s3
; %bb.61:
	v_and_b32_e32 v89, 0xffff, v90
	v_or_b32_e32 v91, 0x10000, v90
	s_delay_alu instid0(VALU_DEP_2) | instskip(NEXT) | instid1(VALU_DEP_2)
	v_cmp_eq_u32_e32 vcc_lo, 0, v89
	v_cndmask_b32_e32 v89, v91, v90, vcc_lo
; %bb.62:
	s_or_b32 exec_lo, exec_lo, s3
	v_and_b32_e32 v90, 0x7f800000, v80
	s_delay_alu instid0(VALU_DEP_1) | instskip(SKIP_1) | instid1(SALU_CYCLE_1)
	v_cmp_ne_u32_e32 vcc_lo, 0x7f800000, v90
                                        ; implicit-def: $vgpr90
	s_and_saveexec_b32 s3, vcc_lo
	s_xor_b32 s3, exec_lo, s3
; %bb.63:
	v_bfe_u32 v90, v80, 16, 1
	s_delay_alu instid0(VALU_DEP_1)
	v_add3_u32 v90, v80, v90, 0x7fff
                                        ; implicit-def: $vgpr80
; %bb.64:
	s_and_not1_saveexec_b32 s3, s3
; %bb.65:
	v_and_b32_e32 v90, 0xffff, v80
	v_or_b32_e32 v91, 0x10000, v80
	s_delay_alu instid0(VALU_DEP_2) | instskip(NEXT) | instid1(VALU_DEP_2)
	v_cmp_eq_u32_e32 vcc_lo, 0, v90
	v_cndmask_b32_e32 v90, v91, v80, vcc_lo
; %bb.66:
	s_or_b32 exec_lo, exec_lo, s3
	v_and_b32_e32 v80, 0x7f800000, v86
	s_delay_alu instid0(VALU_DEP_1) | instskip(SKIP_1) | instid1(SALU_CYCLE_1)
	v_cmp_ne_u32_e32 vcc_lo, 0x7f800000, v80
                                        ; implicit-def: $vgpr80
	s_and_saveexec_b32 s3, vcc_lo
	s_xor_b32 s3, exec_lo, s3
; %bb.67:
	v_bfe_u32 v80, v86, 16, 1
	s_delay_alu instid0(VALU_DEP_1)
	v_add3_u32 v80, v86, v80, 0x7fff
                                        ; implicit-def: $vgpr86
; %bb.68:
	s_and_not1_saveexec_b32 s3, s3
; %bb.69:
	v_and_b32_e32 v80, 0xffff, v86
	v_or_b32_e32 v91, 0x10000, v86
	s_delay_alu instid0(VALU_DEP_2) | instskip(NEXT) | instid1(VALU_DEP_2)
	v_cmp_eq_u32_e32 vcc_lo, 0, v80
	v_cndmask_b32_e32 v80, v91, v86, vcc_lo
; %bb.70:
	s_or_b32 exec_lo, exec_lo, s3
	v_and_b32_e32 v86, 0x7f800000, v87
	s_delay_alu instid0(VALU_DEP_1) | instskip(SKIP_1) | instid1(SALU_CYCLE_1)
	v_cmp_ne_u32_e32 vcc_lo, 0x7f800000, v86
                                        ; implicit-def: $vgpr86
	s_and_saveexec_b32 s3, vcc_lo
	s_xor_b32 s3, exec_lo, s3
; %bb.71:
	v_bfe_u32 v86, v87, 16, 1
	s_delay_alu instid0(VALU_DEP_1)
	v_add3_u32 v86, v87, v86, 0x7fff
                                        ; implicit-def: $vgpr87
; %bb.72:
	s_and_not1_saveexec_b32 s3, s3
; %bb.73:
	v_and_b32_e32 v86, 0xffff, v87
	v_or_b32_e32 v91, 0x10000, v87
	s_delay_alu instid0(VALU_DEP_2) | instskip(NEXT) | instid1(VALU_DEP_2)
	v_cmp_eq_u32_e32 vcc_lo, 0, v86
	v_cndmask_b32_e32 v86, v91, v87, vcc_lo
; %bb.74:
	s_or_b32 exec_lo, exec_lo, s3
	v_and_b32_e32 v87, 0x7f800000, v88
	s_delay_alu instid0(VALU_DEP_1) | instskip(SKIP_1) | instid1(SALU_CYCLE_1)
	v_cmp_ne_u32_e32 vcc_lo, 0x7f800000, v87
                                        ; implicit-def: $vgpr87
	s_and_saveexec_b32 s3, vcc_lo
	s_xor_b32 s3, exec_lo, s3
; %bb.75:
	v_bfe_u32 v87, v88, 16, 1
	s_delay_alu instid0(VALU_DEP_1)
	v_add3_u32 v87, v88, v87, 0x7fff
                                        ; implicit-def: $vgpr88
; %bb.76:
	s_and_not1_saveexec_b32 s3, s3
; %bb.77:
	v_and_b32_e32 v87, 0xffff, v88
	v_or_b32_e32 v91, 0x10000, v88
	s_delay_alu instid0(VALU_DEP_2) | instskip(NEXT) | instid1(VALU_DEP_2)
	v_cmp_eq_u32_e32 vcc_lo, 0, v87
	v_cndmask_b32_e32 v87, v91, v88, vcc_lo
; %bb.78:
	s_or_b32 exec_lo, exec_lo, s3
	s_delay_alu instid0(VALU_DEP_1)
	v_perm_b32 v94, v87, v86, 0x7060302
	v_perm_b32 v93, v80, v90, 0x7060302
	;; [unrolled: 1-line block ×4, first 2 shown]
	v_lshl_or_b32 v90, v73, 11, v85
	ds_store_b128 v76, v[91:94] offset:1024
	s_waitcnt lgkmcnt(0)
	s_barrier
	buffer_gl0_inv
	ds_load_b128 v[77:80], v90
	ds_load_b128 v[91:94], v90 offset:16
	s_waitcnt lgkmcnt(1)
	v_lshrrev_b32_e32 v73, 16, v77
	s_waitcnt lgkmcnt(0)
	v_lshrrev_b32_e32 v108, 16, v94
	v_lshlrev_b32_e32 v87, 2, v83
	v_lshrrev_b32_e32 v99, 16, v91
	v_lshrrev_b32_e32 v103, 16, v78
	;; [unrolled: 1-line block ×4, first 2 shown]
	v_or_b32_e32 v88, 1, v87
	v_cmp_eq_u32_e32 vcc_lo, 1, v87
	v_cmp_eq_u32_e64 s4, 2, v87
	v_cmp_eq_u32_e64 s7, 3, v87
	v_cmp_eq_u32_e64 s9, 4, v87
	v_cmp_eq_u32_e64 s3, 1, v88
	v_cndmask_b32_e32 v89, v77, v73, vcc_lo
	v_cndmask_b32_e32 v95, v91, v99, vcc_lo
	v_cmp_eq_u32_e64 s6, 2, v88
	v_cmp_eq_u32_e64 s8, 3, v88
	v_cndmask_b32_e64 v96, v77, v73, s3
	v_cndmask_b32_e64 v89, v89, v78, s4
	;; [unrolled: 1-line block ×3, first 2 shown]
	v_or_b32_e32 v86, 2, v87
	v_lshrrev_b32_e32 v107, 16, v93
	v_cndmask_b32_e64 v96, v96, v78, s6
	v_cndmask_b32_e64 v89, v89, v103, s7
	;; [unrolled: 1-line block ×4, first 2 shown]
	v_cmp_eq_u32_e64 s10, 5, v87
	v_cndmask_b32_e64 v96, v96, v103, s8
	v_cndmask_b32_e64 v89, v89, v79, s9
	;; [unrolled: 1-line block ×3, first 2 shown]
	v_cmp_eq_u32_e64 s11, 4, v88
	v_cmp_eq_u32_e64 s5, 1, v86
	v_cndmask_b32_e64 v97, v97, v92, s6
	v_cndmask_b32_e64 v89, v89, v104, s10
	v_cmp_eq_u32_e64 s12, 6, v87
	v_cndmask_b32_e64 v96, v96, v79, s11
	v_cndmask_b32_e64 v95, v95, v107, s10
	v_cmp_eq_u32_e64 s13, 5, v88
	v_lshrrev_b32_e32 v105, 16, v80
	v_cndmask_b32_e64 v98, v77, v73, s5
	v_cndmask_b32_e64 v97, v97, v106, s8
	v_cndmask_b32_e64 v89, v89, v80, s12
	v_cndmask_b32_e64 v96, v96, v104, s13
	v_cmp_eq_u32_e64 s15, 7, v87
	v_cndmask_b32_e64 v95, v95, v94, s12
	v_cmp_eq_u32_e64 s16, 6, v88
	v_cmp_eq_u32_e64 s17, 2, v86
	v_cndmask_b32_e64 v97, v97, v93, s11
	v_cndmask_b32_e64 v109, v89, v105, s15
	;; [unrolled: 1-line block ×6, first 2 shown]
	v_cmp_eq_u32_e64 s18, 7, v88
	v_cmp_eq_u32_e64 s19, 3, v86
	;; [unrolled: 1-line block ×4, first 2 shown]
	v_cndmask_b32_e64 v95, v95, v92, s17
	v_cndmask_b32_e64 v111, v96, v105, s18
	;; [unrolled: 1-line block ×4, first 2 shown]
	v_or_b32_e32 v89, 3, v87
	v_cndmask_b32_e64 v101, v95, v106, s19
	v_cmp_eq_u32_e64 s24, 6, v86
	v_cndmask_b32_e64 v112, v96, v94, s16
	v_cndmask_b32_e64 v100, v97, v79, s20
	v_cmp_eq_u32_e64 s21, 1, v89
	ds_load_b128 v[95:98], v90 offset:1024
	v_cmp_eq_u32_e64 s23, 2, v89
	v_cmp_eq_u32_e64 s25, 3, v89
	v_cndmask_b32_e64 v113, v100, v104, s22
	v_cndmask_b32_e64 v73, v77, v73, s21
	;; [unrolled: 1-line block ×4, first 2 shown]
	ds_load_b128 v[99:102], v90 offset:1040
	v_cmp_eq_u32_e64 s26, 4, v89
	v_cndmask_b32_e64 v73, v73, v78, s23
	v_cmp_eq_u32_e64 s27, 7, v86
	v_cndmask_b32_e64 v78, v91, v92, s23
	v_cndmask_b32_e64 v92, v113, v80, s24
	v_cmp_eq_u32_e64 s28, 5, v89
	v_cndmask_b32_e64 v73, v73, v103, s25
	v_cndmask_b32_e64 v77, v77, v107, s22
	;; [unrolled: 1-line block ×3, first 2 shown]
	v_cmp_eq_u32_e64 s29, 6, v89
	v_cndmask_b32_e64 v91, v112, v108, s18
	v_cndmask_b32_e64 v73, v73, v79, s26
	s_waitcnt lgkmcnt(1)
	v_lshrrev_b32_e32 v103, 16, v95
	v_cndmask_b32_e64 v78, v78, v93, s26
	v_cndmask_b32_e64 v79, v92, v105, s27
	;; [unrolled: 1-line block ×4, first 2 shown]
	v_cndmask_b32_e32 v92, v95, v103, vcc_lo
	v_cndmask_b32_e64 v78, v78, v107, s28
	s_waitcnt lgkmcnt(0)
	v_lshrrev_b32_e32 v93, 16, v99
	v_lshrrev_b32_e32 v104, 16, v96
	v_cndmask_b32_e64 v106, v95, v103, s3
	v_cndmask_b32_e64 v92, v92, v96, s4
	;; [unrolled: 1-line block ×3, first 2 shown]
	v_cndmask_b32_e32 v107, v99, v93, vcc_lo
	v_cndmask_b32_e64 v78, v78, v94, s29
	v_cmp_eq_u32_e32 vcc_lo, 7, v89
	v_cndmask_b32_e64 v80, v92, v104, s7
	v_cndmask_b32_e64 v92, v106, v96, s6
	;; [unrolled: 1-line block ×3, first 2 shown]
	v_lshrrev_b32_e32 v106, 16, v100
	v_cndmask_b32_e64 v77, v77, v108, s27
	v_cndmask_b32_e32 v78, v78, v108, vcc_lo
	v_lshrrev_b32_e32 v108, 16, v101
	v_cndmask_b32_e64 v80, v80, v97, s9
	v_cndmask_b32_e64 v94, v94, v106, s7
	v_lshrrev_b32_e32 v107, 16, v97
	v_cndmask_b32_e32 v73, v73, v105, vcc_lo
	v_perm_b32 v79, v77, v79, 0x5040100
	v_cndmask_b32_e64 v92, v92, v104, s8
	v_cndmask_b32_e64 v94, v94, v101, s9
	;; [unrolled: 1-line block ×3, first 2 shown]
	v_perm_b32 v80, v78, v73, 0x5040100
	v_perm_b32 v78, v91, v111, 0x5040100
	v_cndmask_b32_e64 v111, v99, v93, s5
	v_cndmask_b32_e64 v94, v94, v108, s10
	;; [unrolled: 1-line block ×3, first 2 shown]
	s_delay_alu instid0(VALU_DEP_2)
	v_cndmask_b32_e64 v77, v94, v102, s12
	v_cndmask_b32_e64 v94, v95, v103, s5
	v_cndmask_b32_e64 v95, v95, v103, s21
	v_cndmask_b32_e64 v103, v99, v93, s21
	v_cndmask_b32_e64 v93, v99, v93, s3
	v_cndmask_b32_e64 v99, v111, v100, s17
	v_cndmask_b32_e64 v94, v94, v96, s17
	v_cndmask_b32_e64 v95, v95, v96, s23
	v_cndmask_b32_e64 v96, v103, v100, s23
	v_cndmask_b32_e64 v93, v93, v100, s6
	v_cndmask_b32_e64 v99, v99, v106, s19
	v_cndmask_b32_e64 v94, v94, v104, s19
	v_cndmask_b32_e64 v95, v95, v104, s25
	v_cndmask_b32_e64 v96, v96, v106, s25
	v_cndmask_b32_e64 v93, v93, v106, s8
	v_cndmask_b32_e64 v73, v92, v107, s13
	v_cndmask_b32_e64 v94, v94, v97, s20
	v_cndmask_b32_e64 v95, v95, v97, s26
	v_cndmask_b32_e64 v96, v96, v101, s26
	v_cndmask_b32_e64 v97, v99, v101, s20
	v_cndmask_b32_e64 v93, v93, v101, s11
	v_cndmask_b32_e64 v92, v105, v98, s12
	v_lshrrev_b32_e32 v105, 16, v98
	v_cndmask_b32_e64 v94, v94, v107, s22
	v_cndmask_b32_e64 v95, v95, v107, s28
	;; [unrolled: 1-line block ×7, first 2 shown]
	v_lshrrev_b32_e32 v92, 16, v102
	v_cndmask_b32_e64 v94, v94, v98, s24
	v_cndmask_b32_e64 v95, v95, v98, s29
	;; [unrolled: 1-line block ×7, first 2 shown]
	v_dual_cndmask_b32 v94, v95, v105 :: v_dual_cndmask_b32 v95, v96, v92
	v_cndmask_b32_e64 v96, v97, v92, s27
	v_cndmask_b32_e64 v97, v93, v92, s18
	;; [unrolled: 1-line block ×3, first 2 shown]
	v_perm_b32 v77, v110, v109, 0x5040100
	v_perm_b32 v94, v95, v94, 0x5040100
	v_perm_b32 v93, v96, v98, 0x5040100
	v_perm_b32 v92, v97, v73, 0x5040100
	v_perm_b32 v91, v99, v91, 0x5040100
	s_lshl_b32 s8, s35, 2
	s_mov_b32 s3, exec_lo
	ds_store_b128 v76, v[77:80]
	ds_store_b128 v76, v[91:94] offset:1024
	v_cmpx_gt_u32_e32 4, v0
	s_cbranch_execz .LBB517_80
; %bb.79:
	v_or_b32_e32 v73, s31, v0
	s_load_b128 s[4:7], s[0:1], 0x58
	s_delay_alu instid0(VALU_DEP_1) | instskip(NEXT) | instid1(VALU_DEP_1)
	v_mad_u64_u32 v[76:77], null, s8, s30, v[73:74]
	v_mad_u64_u32 v[77:78], null, v76, s34, s[14:15]
	s_delay_alu instid0(VALU_DEP_1) | instskip(NEXT) | instid1(VALU_DEP_1)
	v_ashrrev_i32_e32 v78, 31, v77
	v_lshlrev_b64 v[76:77], 2, v[77:78]
	s_waitcnt lgkmcnt(0)
	s_delay_alu instid0(VALU_DEP_1) | instskip(NEXT) | instid1(VALU_DEP_2)
	v_add_co_u32 v78, vcc_lo, s6, v76
	v_add_co_ci_u32_e32 v79, vcc_lo, s7, v77, vcc_lo
	v_add_co_u32 v76, vcc_lo, s4, v76
	v_add_co_ci_u32_e32 v77, vcc_lo, s5, v77, vcc_lo
	global_store_b32 v[78:79], v74, off
	global_store_b32 v[76:77], v75, off
.LBB517_80:
	s_or_b32 exec_lo, exec_lo, s3
	s_waitcnt lgkmcnt(0)
	s_waitcnt_vscnt null, 0x0
	s_barrier
	buffer_gl0_inv
	ds_load_b128 v[91:94], v85
	ds_load_b128 v[95:98], v85 offset:16
	ds_load_b128 v[103:106], v85 offset:1040
	;; [unrolled: 1-line block ×3, first 2 shown]
	v_mov_b32_e32 v73, 0
	ds_load_b128 v[111:114], v85 offset:2064
	ds_load_b128 v[107:110], v85 offset:2048
	;; [unrolled: 1-line block ×6, first 2 shown]
	v_mov_b32_e32 v74, v73
	v_mov_b32_e32 v75, v73
	;; [unrolled: 1-line block ×7, first 2 shown]
	s_waitcnt lgkmcnt(8)
	s_delay_alu instid0(VALU_DEP_1)
	v_wmma_f32_16x16x16_bf16 v[73:80], v[65:72], v[91:98], v[73:80]
	ds_load_b128 v[69:72], v85 offset:5136
	ds_load_b128 v[65:68], v85 offset:5120
	;; [unrolled: 1-line block ×4, first 2 shown]
	s_waitcnt lgkmcnt(10)
	v_wmma_f32_16x16x16_bf16 v[73:80], v[57:64], v[99:106], v[73:80]
	s_waitcnt lgkmcnt(8)
	s_delay_alu instid0(VALU_DEP_1)
	v_wmma_f32_16x16x16_bf16 v[73:80], v[57:64], v[107:114], v[73:80]
	ds_load_b128 v[61:64], v85 offset:7184
	ds_load_b128 v[57:60], v85 offset:7168
	;; [unrolled: 1-line block ×4, first 2 shown]
	s_waitcnt lgkmcnt(10)
	v_wmma_f32_16x16x16_bf16 v[73:80], v[49:56], v[115:122], v[73:80]
	s_waitcnt lgkmcnt(8)
	s_delay_alu instid0(VALU_DEP_1)
	v_wmma_f32_16x16x16_bf16 v[73:80], v[49:56], v[123:130], v[73:80]
	ds_load_b128 v[53:56], v85 offset:9232
	ds_load_b128 v[49:52], v85 offset:9216
	s_waitcnt lgkmcnt(8)
	v_wmma_f32_16x16x16_bf16 v[73:80], v[41:48], v[65:72], v[73:80]
	ds_load_b128 v[69:72], v85 offset:10256
	ds_load_b128 v[65:68], v85 offset:10240
	s_waitcnt lgkmcnt(8)
	;; [unrolled: 4-line block ×3, first 2 shown]
	v_wmma_f32_16x16x16_bf16 v[73:80], v[9:16], v[57:64], v[73:80]
	s_waitcnt lgkmcnt(6)
	s_delay_alu instid0(VALU_DEP_1)
	v_wmma_f32_16x16x16_bf16 v[73:80], v[9:16], v[99:106], v[73:80]
	ds_load_b128 v[13:16], v85 offset:12304
	ds_load_b128 v[9:12], v85 offset:12288
	s_waitcnt lgkmcnt(6)
	v_wmma_f32_16x16x16_bf16 v[73:80], v[1:8], v[49:56], v[73:80]
	ds_load_b128 v[53:56], v85 offset:13328
	ds_load_b128 v[49:52], v85 offset:13312
	s_waitcnt lgkmcnt(6)
	;; [unrolled: 4-line block ×4, first 2 shown]
	v_wmma_f32_16x16x16_bf16 v[73:80], v[33:40], v[9:16], v[73:80]
	s_waitcnt lgkmcnt(4)
	s_delay_alu instid0(VALU_DEP_1) | instskip(SKIP_1) | instid1(VALU_DEP_1)
	v_wmma_f32_16x16x16_bf16 v[73:80], v[25:32], v[49:56], v[73:80]
	s_waitcnt lgkmcnt(2)
	v_wmma_f32_16x16x16_bf16 v[73:80], v[25:32], v[1:8], v[73:80]
	s_waitcnt lgkmcnt(0)
	s_delay_alu instid0(VALU_DEP_1) | instskip(NEXT) | instid1(VALU_DEP_1)
	v_wmma_f32_16x16x16_bf16 v[73:80], v[17:24], v[41:48], v[73:80]
	v_and_b32_e32 v1, 0x7f800000, v73
	s_delay_alu instid0(VALU_DEP_1) | instskip(SKIP_1) | instid1(SALU_CYCLE_1)
	v_cmp_ne_u32_e32 vcc_lo, 0x7f800000, v1
                                        ; implicit-def: $vgpr1
	s_and_saveexec_b32 s3, vcc_lo
	s_xor_b32 s3, exec_lo, s3
; %bb.81:
	v_bfe_u32 v1, v73, 16, 1
	s_delay_alu instid0(VALU_DEP_1)
	v_add3_u32 v1, v73, v1, 0x7fff
; %bb.82:
	s_and_not1_saveexec_b32 s3, s3
; %bb.83:
	v_and_b32_e32 v1, 0xffff, v73
	v_or_b32_e32 v2, 0x10000, v73
	s_delay_alu instid0(VALU_DEP_2) | instskip(NEXT) | instid1(VALU_DEP_2)
	v_cmp_eq_u32_e32 vcc_lo, 0, v1
	v_cndmask_b32_e32 v1, v2, v73, vcc_lo
; %bb.84:
	s_or_b32 exec_lo, exec_lo, s3
	v_and_b32_e32 v2, 0x7f800000, v74
	s_delay_alu instid0(VALU_DEP_1) | instskip(SKIP_1) | instid1(SALU_CYCLE_1)
	v_cmp_ne_u32_e32 vcc_lo, 0x7f800000, v2
                                        ; implicit-def: $vgpr2
	s_and_saveexec_b32 s3, vcc_lo
	s_xor_b32 s3, exec_lo, s3
; %bb.85:
	v_bfe_u32 v2, v74, 16, 1
	s_delay_alu instid0(VALU_DEP_1)
	v_add3_u32 v2, v74, v2, 0x7fff
; %bb.86:
	s_and_not1_saveexec_b32 s3, s3
; %bb.87:
	v_and_b32_e32 v2, 0xffff, v74
	v_or_b32_e32 v3, 0x10000, v74
	s_delay_alu instid0(VALU_DEP_2) | instskip(NEXT) | instid1(VALU_DEP_2)
	v_cmp_eq_u32_e32 vcc_lo, 0, v2
	v_cndmask_b32_e32 v2, v3, v74, vcc_lo
; %bb.88:
	s_or_b32 exec_lo, exec_lo, s3
	v_and_b32_e32 v3, 0x7f800000, v75
	s_delay_alu instid0(VALU_DEP_1) | instskip(SKIP_1) | instid1(SALU_CYCLE_1)
	v_cmp_ne_u32_e32 vcc_lo, 0x7f800000, v3
                                        ; implicit-def: $vgpr3
	s_and_saveexec_b32 s3, vcc_lo
	s_xor_b32 s3, exec_lo, s3
; %bb.89:
	v_bfe_u32 v3, v75, 16, 1
	s_delay_alu instid0(VALU_DEP_1)
	v_add3_u32 v3, v75, v3, 0x7fff
; %bb.90:
	s_and_not1_saveexec_b32 s3, s3
; %bb.91:
	v_and_b32_e32 v3, 0xffff, v75
	v_or_b32_e32 v4, 0x10000, v75
	s_delay_alu instid0(VALU_DEP_2) | instskip(NEXT) | instid1(VALU_DEP_2)
	v_cmp_eq_u32_e32 vcc_lo, 0, v3
	v_cndmask_b32_e32 v3, v4, v75, vcc_lo
; %bb.92:
	s_or_b32 exec_lo, exec_lo, s3
	v_and_b32_e32 v4, 0x7f800000, v76
	s_delay_alu instid0(VALU_DEP_1) | instskip(SKIP_1) | instid1(SALU_CYCLE_1)
	v_cmp_ne_u32_e32 vcc_lo, 0x7f800000, v4
                                        ; implicit-def: $vgpr4
	s_and_saveexec_b32 s3, vcc_lo
	s_xor_b32 s3, exec_lo, s3
; %bb.93:
	v_bfe_u32 v4, v76, 16, 1
	s_delay_alu instid0(VALU_DEP_1)
	v_add3_u32 v4, v76, v4, 0x7fff
; %bb.94:
	s_and_not1_saveexec_b32 s3, s3
; %bb.95:
	v_and_b32_e32 v4, 0xffff, v76
	v_or_b32_e32 v5, 0x10000, v76
	s_delay_alu instid0(VALU_DEP_2) | instskip(NEXT) | instid1(VALU_DEP_2)
	v_cmp_eq_u32_e32 vcc_lo, 0, v4
	v_cndmask_b32_e32 v4, v5, v76, vcc_lo
; %bb.96:
	s_or_b32 exec_lo, exec_lo, s3
	v_and_b32_e32 v5, 0x7f800000, v77
	s_delay_alu instid0(VALU_DEP_1) | instskip(SKIP_1) | instid1(SALU_CYCLE_1)
	v_cmp_ne_u32_e32 vcc_lo, 0x7f800000, v5
                                        ; implicit-def: $vgpr5
	s_and_saveexec_b32 s3, vcc_lo
	s_xor_b32 s3, exec_lo, s3
; %bb.97:
	v_bfe_u32 v5, v77, 16, 1
	s_delay_alu instid0(VALU_DEP_1)
	v_add3_u32 v5, v77, v5, 0x7fff
; %bb.98:
	s_and_not1_saveexec_b32 s3, s3
; %bb.99:
	v_and_b32_e32 v5, 0xffff, v77
	v_or_b32_e32 v6, 0x10000, v77
	s_delay_alu instid0(VALU_DEP_2) | instskip(NEXT) | instid1(VALU_DEP_2)
	v_cmp_eq_u32_e32 vcc_lo, 0, v5
	v_cndmask_b32_e32 v5, v6, v77, vcc_lo
; %bb.100:
	s_or_b32 exec_lo, exec_lo, s3
	v_and_b32_e32 v6, 0x7f800000, v78
	s_delay_alu instid0(VALU_DEP_1) | instskip(SKIP_1) | instid1(SALU_CYCLE_1)
	v_cmp_ne_u32_e32 vcc_lo, 0x7f800000, v6
                                        ; implicit-def: $vgpr6
	s_and_saveexec_b32 s3, vcc_lo
	s_xor_b32 s3, exec_lo, s3
; %bb.101:
	v_bfe_u32 v6, v78, 16, 1
	s_delay_alu instid0(VALU_DEP_1)
	v_add3_u32 v6, v78, v6, 0x7fff
; %bb.102:
	s_and_not1_saveexec_b32 s3, s3
; %bb.103:
	v_and_b32_e32 v6, 0xffff, v78
	v_or_b32_e32 v7, 0x10000, v78
	s_delay_alu instid0(VALU_DEP_2) | instskip(NEXT) | instid1(VALU_DEP_2)
	v_cmp_eq_u32_e32 vcc_lo, 0, v6
	v_cndmask_b32_e32 v6, v7, v78, vcc_lo
; %bb.104:
	s_or_b32 exec_lo, exec_lo, s3
	v_and_b32_e32 v7, 0x7f800000, v79
	s_delay_alu instid0(VALU_DEP_1) | instskip(SKIP_1) | instid1(SALU_CYCLE_1)
	v_cmp_ne_u32_e32 vcc_lo, 0x7f800000, v7
                                        ; implicit-def: $vgpr7
	s_and_saveexec_b32 s3, vcc_lo
	s_xor_b32 s3, exec_lo, s3
; %bb.105:
	v_bfe_u32 v7, v79, 16, 1
	s_delay_alu instid0(VALU_DEP_1)
	v_add3_u32 v7, v79, v7, 0x7fff
; %bb.106:
	s_and_not1_saveexec_b32 s3, s3
; %bb.107:
	v_and_b32_e32 v7, 0xffff, v79
	v_or_b32_e32 v8, 0x10000, v79
	s_delay_alu instid0(VALU_DEP_2) | instskip(NEXT) | instid1(VALU_DEP_2)
	v_cmp_eq_u32_e32 vcc_lo, 0, v7
	v_cndmask_b32_e32 v7, v8, v79, vcc_lo
; %bb.108:
	s_or_b32 exec_lo, exec_lo, s3
	v_and_b32_e32 v8, 0x7f800000, v80
	s_delay_alu instid0(VALU_DEP_1) | instskip(SKIP_1) | instid1(SALU_CYCLE_1)
	v_cmp_ne_u32_e32 vcc_lo, 0x7f800000, v8
                                        ; implicit-def: $vgpr8
	s_and_saveexec_b32 s3, vcc_lo
	s_xor_b32 s3, exec_lo, s3
; %bb.109:
	v_bfe_u32 v8, v80, 16, 1
	s_delay_alu instid0(VALU_DEP_1)
	v_add3_u32 v8, v80, v8, 0x7fff
                                        ; implicit-def: $vgpr73_vgpr74_vgpr75_vgpr76_vgpr77_vgpr78_vgpr79_vgpr80
; %bb.110:
	s_and_not1_saveexec_b32 s3, s3
; %bb.111:
	v_and_b32_e32 v8, 0xffff, v80
	v_or_b32_e32 v9, 0x10000, v80
	s_delay_alu instid0(VALU_DEP_2) | instskip(NEXT) | instid1(VALU_DEP_2)
	v_cmp_eq_u32_e32 vcc_lo, 0, v8
	v_cndmask_b32_e32 v8, v9, v80, vcc_lo
; %bb.112:
	s_or_b32 exec_lo, exec_lo, s3
	s_delay_alu instid0(VALU_DEP_1)
	v_perm_b32 v7, v8, v7, 0x7060302
	v_perm_b32 v6, v6, v5, 0x7060302
	;; [unrolled: 1-line block ×4, first 2 shown]
	v_lshl_or_b32 v9, v83, 4, v90
	s_barrier
	buffer_gl0_inv
	v_cmp_eq_u32_e32 vcc_lo, 1, v87
	ds_store_b128 v9, v[4:7]
	s_waitcnt lgkmcnt(0)
	s_barrier
	buffer_gl0_inv
	ds_load_b128 v[1:4], v90
	ds_load_b128 v[5:8], v90 offset:16
	v_cmp_eq_u32_e64 s4, 2, v87
	v_cmp_eq_u32_e64 s3, 1, v88
	;; [unrolled: 1-line block ×5, first 2 shown]
	s_waitcnt lgkmcnt(1)
	v_lshrrev_b32_e32 v10, 16, v1
	s_waitcnt lgkmcnt(0)
	v_lshrrev_b32_e32 v14, 16, v5
	v_lshrrev_b32_e32 v15, 16, v6
	;; [unrolled: 1-line block ×4, first 2 shown]
	v_cndmask_b32_e64 v20, v1, v10, s3
	v_cndmask_b32_e32 v19, v5, v14, vcc_lo
	v_cndmask_b32_e64 v21, v5, v14, s3
	v_lshrrev_b32_e32 v16, 16, v7
	v_cmp_eq_u32_e64 s3, 1, v86
	v_lshrrev_b32_e32 v13, 16, v4
	v_cndmask_b32_e64 v19, v19, v6, s4
	v_lshrrev_b32_e32 v17, 16, v8
	s_delay_alu instid0(VALU_DEP_4) | instskip(SKIP_1) | instid1(VALU_DEP_4)
	v_cndmask_b32_e64 v22, v1, v10, s3
	v_cndmask_b32_e64 v23, v5, v14, s3
	;; [unrolled: 1-line block ×3, first 2 shown]
	v_cndmask_b32_e32 v18, v1, v10, vcc_lo
	v_cmp_eq_u32_e32 vcc_lo, 2, v88
	v_cmp_eq_u32_e64 s3, 2, v89
	v_cndmask_b32_e64 v22, v22, v2, s7
	v_cndmask_b32_e32 v20, v20, v2, vcc_lo
	v_cndmask_b32_e32 v21, v21, v6, vcc_lo
	v_cmp_eq_u32_e32 vcc_lo, 4, v87
	v_cndmask_b32_e32 v19, v19, v7, vcc_lo
	v_cndmask_b32_e64 v18, v18, v2, s4
	v_cmp_eq_u32_e64 s4, 3, v88
	s_delay_alu instid0(VALU_DEP_2) | instskip(NEXT) | instid1(VALU_DEP_2)
	v_cndmask_b32_e64 v18, v18, v11, s5
	v_cndmask_b32_e64 v21, v21, v15, s4
	v_cmp_eq_u32_e64 s5, 5, v87
	s_delay_alu instid0(VALU_DEP_3) | instskip(SKIP_1) | instid1(VALU_DEP_3)
	v_cndmask_b32_e32 v18, v18, v3, vcc_lo
	v_cmp_eq_u32_e32 vcc_lo, 4, v88
	v_cndmask_b32_e64 v19, v19, v16, s5
	s_delay_alu instid0(VALU_DEP_3) | instskip(SKIP_4) | instid1(VALU_DEP_3)
	v_cndmask_b32_e64 v18, v18, v12, s5
	v_cndmask_b32_e32 v21, v21, v7, vcc_lo
	v_cndmask_b32_e64 v20, v20, v11, s4
	v_cmp_eq_u32_e64 s4, 5, v88
	v_cmp_eq_u32_e64 s5, 6, v87
	v_cndmask_b32_e32 v20, v20, v3, vcc_lo
	s_delay_alu instid0(VALU_DEP_3) | instskip(SKIP_1) | instid1(VALU_DEP_4)
	v_cndmask_b32_e64 v21, v21, v16, s4
	v_cmp_eq_u32_e32 vcc_lo, 6, v88
	v_cndmask_b32_e64 v18, v18, v4, s5
	v_cndmask_b32_e64 v19, v19, v8, s5
	;; [unrolled: 1-line block ×3, first 2 shown]
	v_cmp_eq_u32_e64 s4, 1, v89
	v_cmp_eq_u32_e64 s5, 7, v87
	s_delay_alu instid0(VALU_DEP_3) | instskip(NEXT) | instid1(VALU_DEP_3)
	v_cndmask_b32_e32 v20, v20, v4, vcc_lo
	v_cndmask_b32_e64 v1, v1, v10, s4
	v_cndmask_b32_e64 v5, v5, v14, s4
	v_cmp_eq_u32_e64 s4, 3, v86
	v_cndmask_b32_e64 v14, v23, v6, s7
	v_cmp_eq_u32_e64 s7, 3, v89
	v_cndmask_b32_e64 v1, v1, v2, s3
	v_cndmask_b32_e64 v2, v5, v6, s3
	;; [unrolled: 1-line block ×3, first 2 shown]
	v_cmp_eq_u32_e64 s3, 4, v86
	v_cndmask_b32_e64 v6, v14, v15, s4
	v_cndmask_b32_e64 v1, v1, v11, s7
	v_cmp_eq_u32_e64 s4, 4, v89
	v_cndmask_b32_e64 v2, v2, v15, s7
	v_cndmask_b32_e64 v5, v10, v3, s3
	;; [unrolled: 3-line block ×3, first 2 shown]
	v_cndmask_b32_e64 v2, v2, v7, s4
	v_cmp_eq_u32_e64 s3, 5, v89
	v_cndmask_b32_e64 v5, v5, v12, s7
	v_cmp_eq_u32_e64 s4, 6, v86
	;; [unrolled: 2-line block ×3, first 2 shown]
	v_cndmask_b32_e64 v1, v1, v12, s3
	v_cndmask_b32_e64 v2, v2, v16, s3
	;; [unrolled: 1-line block ×4, first 2 shown]
	v_cmp_eq_u32_e64 s3, 7, v89
	v_cndmask_b32_e64 v1, v1, v4, s7
	v_cndmask_b32_e64 v2, v2, v8, s7
	v_cmp_eq_u32_e64 s4, 7, v86
	v_cndmask_b32_e32 v4, v21, v8, vcc_lo
	v_cndmask_b32_e64 v18, v18, v13, s5
	v_cndmask_b32_e64 v20, v20, v13, s6
	;; [unrolled: 1-line block ×8, first 2 shown]
	v_cmp_gt_u32_e32 vcc_lo, 32, v0
	v_perm_b32 v4, v2, v1, 0x5040100
	v_perm_b32 v3, v3, v5, 0x5040100
	;; [unrolled: 1-line block ×4, first 2 shown]
	s_and_b32 s2, vcc_lo, s2
	ds_store_b128 v9, v[1:4]
	s_waitcnt lgkmcnt(0)
	s_barrier
	buffer_gl0_inv
	s_and_saveexec_b32 s3, s2
	s_cbranch_execz .LBB517_2
; %bb.113:
	s_load_b64 s[0:1], s[0:1], 0x68
	v_lshlrev_b32_e32 v0, 10, v0
	v_or_b32_e32 v1, s31, v83
	s_lshl_b32 s4, s34, 6
	v_lshlrev_b32_e32 v2, 4, v84
	s_mul_i32 s2, s4, s30
	v_lshlrev_b32_e32 v3, 6, v83
	v_mul_lo_u32 v8, v1, s4
	v_and_b32_e32 v0, 0x3800, v0
	v_or_b32_e32 v1, 2, v1
	s_mul_i32 s2, s2, s8
	s_delay_alu instid0(SALU_CYCLE_1) | instskip(NEXT) | instid1(VALU_DEP_2)
	s_ashr_i32 s3, s2, 31
	v_or3_b32 v4, v0, v2, v3
	s_lshl_b64 s[2:3], s[2:3], 1
	v_mul_lo_u32 v10, v1, s4
	v_ashrrev_i32_e32 v9, 31, v8
	ds_load_b128 v[0:3], v4
	ds_load_b128 v[4:7], v4 offset:128
	s_waitcnt lgkmcnt(0)
	s_add_u32 s2, s0, s2
	s_addc_u32 s3, s1, s3
	s_lshl_b32 s0, s14, 6
	v_ashrrev_i32_e32 v11, 31, v10
	s_ashr_i32 s1, s0, 31
	v_lshlrev_b64 v[8:9], 1, v[8:9]
	s_lshl_b64 s[0:1], s[0:1], 1
	s_delay_alu instid0(SALU_CYCLE_1) | instskip(SKIP_4) | instid1(VALU_DEP_3)
	s_add_u32 s0, s2, s0
	s_addc_u32 s1, s3, s1
	v_add_co_u32 v12, vcc_lo, s0, v81
	v_add_co_ci_u32_e32 v13, vcc_lo, s1, v82, vcc_lo
	v_lshlrev_b64 v[10:11], 1, v[10:11]
	v_add_co_u32 v8, vcc_lo, v12, v8
	s_delay_alu instid0(VALU_DEP_3) | instskip(NEXT) | instid1(VALU_DEP_3)
	v_add_co_ci_u32_e32 v9, vcc_lo, v13, v9, vcc_lo
	v_add_co_u32 v10, vcc_lo, v12, v10
	s_delay_alu instid0(VALU_DEP_4)
	v_add_co_ci_u32_e32 v11, vcc_lo, v13, v11, vcc_lo
	s_clause 0x1
	global_store_b128 v[8:9], v[0:3], off
	global_store_b128 v[10:11], v[4:7], off
	s_nop 0
	s_sendmsg sendmsg(MSG_DEALLOC_VGPRS)
	s_endpgm
	.section	.rodata,"a",@progbits
	.p2align	6, 0x0
	.amdhsa_kernel _Z39paged_attention_ll4mi_QKV_mfma16_kernelI14__hip_bfloat16S0_LN4vllm18Fp8KVCacheDataTypeE0EhLi32ELi64ELi256ELb1ELi4EL8MFMAType0EEvPKT_PKT0_S9_ifPKiSB_SB_iPKfiiiPfSE_PS4_PT2_iSD_SD_
		.amdhsa_group_segment_fixed_size 17472
		.amdhsa_private_segment_fixed_size 0
		.amdhsa_kernarg_size 400
		.amdhsa_user_sgpr_count 13
		.amdhsa_user_sgpr_dispatch_ptr 0
		.amdhsa_user_sgpr_queue_ptr 0
		.amdhsa_user_sgpr_kernarg_segment_ptr 1
		.amdhsa_user_sgpr_dispatch_id 0
		.amdhsa_user_sgpr_private_segment_size 0
		.amdhsa_wavefront_size32 1
		.amdhsa_uses_dynamic_stack 0
		.amdhsa_enable_private_segment 0
		.amdhsa_system_sgpr_workgroup_id_x 1
		.amdhsa_system_sgpr_workgroup_id_y 1
		.amdhsa_system_sgpr_workgroup_id_z 1
		.amdhsa_system_sgpr_workgroup_info 0
		.amdhsa_system_vgpr_workitem_id 0
		.amdhsa_next_free_vgpr 142
		.amdhsa_next_free_sgpr 38
		.amdhsa_reserve_vcc 1
		.amdhsa_float_round_mode_32 0
		.amdhsa_float_round_mode_16_64 0
		.amdhsa_float_denorm_mode_32 3
		.amdhsa_float_denorm_mode_16_64 3
		.amdhsa_dx10_clamp 1
		.amdhsa_ieee_mode 1
		.amdhsa_fp16_overflow 0
		.amdhsa_workgroup_processor_mode 1
		.amdhsa_memory_ordered 1
		.amdhsa_forward_progress 0
		.amdhsa_shared_vgpr_count 0
		.amdhsa_exception_fp_ieee_invalid_op 0
		.amdhsa_exception_fp_denorm_src 0
		.amdhsa_exception_fp_ieee_div_zero 0
		.amdhsa_exception_fp_ieee_overflow 0
		.amdhsa_exception_fp_ieee_underflow 0
		.amdhsa_exception_fp_ieee_inexact 0
		.amdhsa_exception_int_div_zero 0
	.end_amdhsa_kernel
	.section	.text._Z39paged_attention_ll4mi_QKV_mfma16_kernelI14__hip_bfloat16S0_LN4vllm18Fp8KVCacheDataTypeE0EhLi32ELi64ELi256ELb1ELi4EL8MFMAType0EEvPKT_PKT0_S9_ifPKiSB_SB_iPKfiiiPfSE_PS4_PT2_iSD_SD_,"axG",@progbits,_Z39paged_attention_ll4mi_QKV_mfma16_kernelI14__hip_bfloat16S0_LN4vllm18Fp8KVCacheDataTypeE0EhLi32ELi64ELi256ELb1ELi4EL8MFMAType0EEvPKT_PKT0_S9_ifPKiSB_SB_iPKfiiiPfSE_PS4_PT2_iSD_SD_,comdat
.Lfunc_end517:
	.size	_Z39paged_attention_ll4mi_QKV_mfma16_kernelI14__hip_bfloat16S0_LN4vllm18Fp8KVCacheDataTypeE0EhLi32ELi64ELi256ELb1ELi4EL8MFMAType0EEvPKT_PKT0_S9_ifPKiSB_SB_iPKfiiiPfSE_PS4_PT2_iSD_SD_, .Lfunc_end517-_Z39paged_attention_ll4mi_QKV_mfma16_kernelI14__hip_bfloat16S0_LN4vllm18Fp8KVCacheDataTypeE0EhLi32ELi64ELi256ELb1ELi4EL8MFMAType0EEvPKT_PKT0_S9_ifPKiSB_SB_iPKfiiiPfSE_PS4_PT2_iSD_SD_
                                        ; -- End function
	.section	.AMDGPU.csdata,"",@progbits
; Kernel info:
; codeLenInByte = 9332
; NumSgprs: 40
; NumVgprs: 142
; ScratchSize: 0
; MemoryBound: 0
; FloatMode: 240
; IeeeMode: 1
; LDSByteSize: 17472 bytes/workgroup (compile time only)
; SGPRBlocks: 4
; VGPRBlocks: 17
; NumSGPRsForWavesPerEU: 40
; NumVGPRsForWavesPerEU: 142
; Occupancy: 10
; WaveLimiterHint : 1
; COMPUTE_PGM_RSRC2:SCRATCH_EN: 0
; COMPUTE_PGM_RSRC2:USER_SGPR: 13
; COMPUTE_PGM_RSRC2:TRAP_HANDLER: 0
; COMPUTE_PGM_RSRC2:TGID_X_EN: 1
; COMPUTE_PGM_RSRC2:TGID_Y_EN: 1
; COMPUTE_PGM_RSRC2:TGID_Z_EN: 1
; COMPUTE_PGM_RSRC2:TIDIG_COMP_CNT: 0
	.section	.text._Z38paged_attention_ll4mi_QKV_mfma4_kernelI14__hip_bfloat16S0_LN4vllm18Fp8KVCacheDataTypeE0EhLi32ELi64ELi256ELb0ELi1EEvPKT_PKT0_S8_ifPKiSA_SA_iPKfiiiPfSD_PS3_PT2_iSC_SC_,"axG",@progbits,_Z38paged_attention_ll4mi_QKV_mfma4_kernelI14__hip_bfloat16S0_LN4vllm18Fp8KVCacheDataTypeE0EhLi32ELi64ELi256ELb0ELi1EEvPKT_PKT0_S8_ifPKiSA_SA_iPKfiiiPfSD_PS3_PT2_iSC_SC_,comdat
	.protected	_Z38paged_attention_ll4mi_QKV_mfma4_kernelI14__hip_bfloat16S0_LN4vllm18Fp8KVCacheDataTypeE0EhLi32ELi64ELi256ELb0ELi1EEvPKT_PKT0_S8_ifPKiSA_SA_iPKfiiiPfSD_PS3_PT2_iSC_SC_ ; -- Begin function _Z38paged_attention_ll4mi_QKV_mfma4_kernelI14__hip_bfloat16S0_LN4vllm18Fp8KVCacheDataTypeE0EhLi32ELi64ELi256ELb0ELi1EEvPKT_PKT0_S8_ifPKiSA_SA_iPKfiiiPfSD_PS3_PT2_iSC_SC_
	.globl	_Z38paged_attention_ll4mi_QKV_mfma4_kernelI14__hip_bfloat16S0_LN4vllm18Fp8KVCacheDataTypeE0EhLi32ELi64ELi256ELb0ELi1EEvPKT_PKT0_S8_ifPKiSA_SA_iPKfiiiPfSD_PS3_PT2_iSC_SC_
	.p2align	8
	.type	_Z38paged_attention_ll4mi_QKV_mfma4_kernelI14__hip_bfloat16S0_LN4vllm18Fp8KVCacheDataTypeE0EhLi32ELi64ELi256ELb0ELi1EEvPKT_PKT0_S8_ifPKiSA_SA_iPKfiiiPfSD_PS3_PT2_iSC_SC_,@function
_Z38paged_attention_ll4mi_QKV_mfma4_kernelI14__hip_bfloat16S0_LN4vllm18Fp8KVCacheDataTypeE0EhLi32ELi64ELi256ELb0ELi1EEvPKT_PKT0_S8_ifPKiSA_SA_iPKfiiiPfSD_PS3_PT2_iSC_SC_: ; @_Z38paged_attention_ll4mi_QKV_mfma4_kernelI14__hip_bfloat16S0_LN4vllm18Fp8KVCacheDataTypeE0EhLi32ELi64ELi256ELb0ELi1EEvPKT_PKT0_S8_ifPKiSA_SA_iPKfiiiPfSD_PS3_PT2_iSC_SC_
; %bb.0:
	s_add_u32 s8, s0, 0x90
	s_addc_u32 s9, s1, 0
	s_getpc_b64 s[0:1]
	s_add_u32 s0, s0, __PRETTY_FUNCTION__._Z38paged_attention_ll4mi_QKV_mfma4_kernelI14__hip_bfloat16S0_LN4vllm18Fp8KVCacheDataTypeE0EhLi32ELi64ELi256ELb0ELi1EEvPKT_PKT0_S8_ifPKiSA_SA_iPKfiiiPfSD_PS3_PT2_iSC_SC_@rel32@lo+4
	s_addc_u32 s1, s1, __PRETTY_FUNCTION__._Z38paged_attention_ll4mi_QKV_mfma4_kernelI14__hip_bfloat16S0_LN4vllm18Fp8KVCacheDataTypeE0EhLi32ELi64ELi256ELb0ELi1EEvPKT_PKT0_S8_ifPKiSA_SA_iPKfiiiPfSD_PS3_PT2_iSC_SC_@rel32@hi+12
	s_delay_alu instid0(SALU_CYCLE_1) | instskip(SKIP_4) | instid1(SALU_CYCLE_1)
	v_dual_mov_b32 v0, s0 :: v_dual_mov_b32 v1, s1
	s_mov_b32 s32, 0
	s_getpc_b64 s[2:3]
	s_add_u32 s2, s2, __assert_fail@rel32@lo+4
	s_addc_u32 s3, s3, __assert_fail@rel32@hi+12
	s_swappc_b64 s[30:31], s[2:3]
	.section	.rodata,"a",@progbits
	.p2align	6, 0x0
	.amdhsa_kernel _Z38paged_attention_ll4mi_QKV_mfma4_kernelI14__hip_bfloat16S0_LN4vllm18Fp8KVCacheDataTypeE0EhLi32ELi64ELi256ELb0ELi1EEvPKT_PKT0_S8_ifPKiSA_SA_iPKfiiiPfSD_PS3_PT2_iSC_SC_
		.amdhsa_group_segment_fixed_size 0
		.amdhsa_private_segment_fixed_size 64
		.amdhsa_kernarg_size 400
		.amdhsa_user_sgpr_count 15
		.amdhsa_user_sgpr_dispatch_ptr 0
		.amdhsa_user_sgpr_queue_ptr 0
		.amdhsa_user_sgpr_kernarg_segment_ptr 1
		.amdhsa_user_sgpr_dispatch_id 0
		.amdhsa_user_sgpr_private_segment_size 0
		.amdhsa_wavefront_size32 1
		.amdhsa_uses_dynamic_stack 0
		.amdhsa_enable_private_segment 1
		.amdhsa_system_sgpr_workgroup_id_x 1
		.amdhsa_system_sgpr_workgroup_id_y 0
		.amdhsa_system_sgpr_workgroup_id_z 0
		.amdhsa_system_sgpr_workgroup_info 0
		.amdhsa_system_vgpr_workitem_id 0
		.amdhsa_next_free_vgpr 41
		.amdhsa_next_free_sgpr 34
		.amdhsa_reserve_vcc 1
		.amdhsa_float_round_mode_32 0
		.amdhsa_float_round_mode_16_64 0
		.amdhsa_float_denorm_mode_32 3
		.amdhsa_float_denorm_mode_16_64 3
		.amdhsa_dx10_clamp 1
		.amdhsa_ieee_mode 1
		.amdhsa_fp16_overflow 0
		.amdhsa_workgroup_processor_mode 1
		.amdhsa_memory_ordered 1
		.amdhsa_forward_progress 0
		.amdhsa_shared_vgpr_count 0
		.amdhsa_exception_fp_ieee_invalid_op 0
		.amdhsa_exception_fp_denorm_src 0
		.amdhsa_exception_fp_ieee_div_zero 0
		.amdhsa_exception_fp_ieee_overflow 0
		.amdhsa_exception_fp_ieee_underflow 0
		.amdhsa_exception_fp_ieee_inexact 0
		.amdhsa_exception_int_div_zero 0
	.end_amdhsa_kernel
	.section	.text._Z38paged_attention_ll4mi_QKV_mfma4_kernelI14__hip_bfloat16S0_LN4vllm18Fp8KVCacheDataTypeE0EhLi32ELi64ELi256ELb0ELi1EEvPKT_PKT0_S8_ifPKiSA_SA_iPKfiiiPfSD_PS3_PT2_iSC_SC_,"axG",@progbits,_Z38paged_attention_ll4mi_QKV_mfma4_kernelI14__hip_bfloat16S0_LN4vllm18Fp8KVCacheDataTypeE0EhLi32ELi64ELi256ELb0ELi1EEvPKT_PKT0_S8_ifPKiSA_SA_iPKfiiiPfSD_PS3_PT2_iSC_SC_,comdat
.Lfunc_end518:
	.size	_Z38paged_attention_ll4mi_QKV_mfma4_kernelI14__hip_bfloat16S0_LN4vllm18Fp8KVCacheDataTypeE0EhLi32ELi64ELi256ELb0ELi1EEvPKT_PKT0_S8_ifPKiSA_SA_iPKfiiiPfSD_PS3_PT2_iSC_SC_, .Lfunc_end518-_Z38paged_attention_ll4mi_QKV_mfma4_kernelI14__hip_bfloat16S0_LN4vllm18Fp8KVCacheDataTypeE0EhLi32ELi64ELi256ELb0ELi1EEvPKT_PKT0_S8_ifPKiSA_SA_iPKfiiiPfSD_PS3_PT2_iSC_SC_
                                        ; -- End function
	.section	.AMDGPU.csdata,"",@progbits
; Kernel info:
; codeLenInByte = 72
; NumSgprs: 36
; NumVgprs: 41
; ScratchSize: 64
; MemoryBound: 0
; FloatMode: 240
; IeeeMode: 1
; LDSByteSize: 0 bytes/workgroup (compile time only)
; SGPRBlocks: 4
; VGPRBlocks: 5
; NumSGPRsForWavesPerEU: 36
; NumVGPRsForWavesPerEU: 41
; Occupancy: 16
; WaveLimiterHint : 1
; COMPUTE_PGM_RSRC2:SCRATCH_EN: 1
; COMPUTE_PGM_RSRC2:USER_SGPR: 15
; COMPUTE_PGM_RSRC2:TRAP_HANDLER: 0
; COMPUTE_PGM_RSRC2:TGID_X_EN: 1
; COMPUTE_PGM_RSRC2:TGID_Y_EN: 0
; COMPUTE_PGM_RSRC2:TGID_Z_EN: 0
; COMPUTE_PGM_RSRC2:TIDIG_COMP_CNT: 0
	.section	.text._Z38paged_attention_ll4mi_QKV_mfma4_kernelI14__hip_bfloat16S0_LN4vllm18Fp8KVCacheDataTypeE0EhLi32ELi64ELi256ELb0ELi2EEvPKT_PKT0_S8_ifPKiSA_SA_iPKfiiiPfSD_PS3_PT2_iSC_SC_,"axG",@progbits,_Z38paged_attention_ll4mi_QKV_mfma4_kernelI14__hip_bfloat16S0_LN4vllm18Fp8KVCacheDataTypeE0EhLi32ELi64ELi256ELb0ELi2EEvPKT_PKT0_S8_ifPKiSA_SA_iPKfiiiPfSD_PS3_PT2_iSC_SC_,comdat
	.protected	_Z38paged_attention_ll4mi_QKV_mfma4_kernelI14__hip_bfloat16S0_LN4vllm18Fp8KVCacheDataTypeE0EhLi32ELi64ELi256ELb0ELi2EEvPKT_PKT0_S8_ifPKiSA_SA_iPKfiiiPfSD_PS3_PT2_iSC_SC_ ; -- Begin function _Z38paged_attention_ll4mi_QKV_mfma4_kernelI14__hip_bfloat16S0_LN4vllm18Fp8KVCacheDataTypeE0EhLi32ELi64ELi256ELb0ELi2EEvPKT_PKT0_S8_ifPKiSA_SA_iPKfiiiPfSD_PS3_PT2_iSC_SC_
	.globl	_Z38paged_attention_ll4mi_QKV_mfma4_kernelI14__hip_bfloat16S0_LN4vllm18Fp8KVCacheDataTypeE0EhLi32ELi64ELi256ELb0ELi2EEvPKT_PKT0_S8_ifPKiSA_SA_iPKfiiiPfSD_PS3_PT2_iSC_SC_
	.p2align	8
	.type	_Z38paged_attention_ll4mi_QKV_mfma4_kernelI14__hip_bfloat16S0_LN4vllm18Fp8KVCacheDataTypeE0EhLi32ELi64ELi256ELb0ELi2EEvPKT_PKT0_S8_ifPKiSA_SA_iPKfiiiPfSD_PS3_PT2_iSC_SC_,@function
_Z38paged_attention_ll4mi_QKV_mfma4_kernelI14__hip_bfloat16S0_LN4vllm18Fp8KVCacheDataTypeE0EhLi32ELi64ELi256ELb0ELi2EEvPKT_PKT0_S8_ifPKiSA_SA_iPKfiiiPfSD_PS3_PT2_iSC_SC_: ; @_Z38paged_attention_ll4mi_QKV_mfma4_kernelI14__hip_bfloat16S0_LN4vllm18Fp8KVCacheDataTypeE0EhLi32ELi64ELi256ELb0ELi2EEvPKT_PKT0_S8_ifPKiSA_SA_iPKfiiiPfSD_PS3_PT2_iSC_SC_
; %bb.0:
	s_add_u32 s8, s0, 0x90
	s_addc_u32 s9, s1, 0
	s_getpc_b64 s[0:1]
	s_add_u32 s0, s0, __PRETTY_FUNCTION__._Z38paged_attention_ll4mi_QKV_mfma4_kernelI14__hip_bfloat16S0_LN4vllm18Fp8KVCacheDataTypeE0EhLi32ELi64ELi256ELb0ELi2EEvPKT_PKT0_S8_ifPKiSA_SA_iPKfiiiPfSD_PS3_PT2_iSC_SC_@rel32@lo+4
	s_addc_u32 s1, s1, __PRETTY_FUNCTION__._Z38paged_attention_ll4mi_QKV_mfma4_kernelI14__hip_bfloat16S0_LN4vllm18Fp8KVCacheDataTypeE0EhLi32ELi64ELi256ELb0ELi2EEvPKT_PKT0_S8_ifPKiSA_SA_iPKfiiiPfSD_PS3_PT2_iSC_SC_@rel32@hi+12
	s_delay_alu instid0(SALU_CYCLE_1) | instskip(SKIP_4) | instid1(SALU_CYCLE_1)
	v_dual_mov_b32 v0, s0 :: v_dual_mov_b32 v1, s1
	s_mov_b32 s32, 0
	s_getpc_b64 s[2:3]
	s_add_u32 s2, s2, __assert_fail@rel32@lo+4
	s_addc_u32 s3, s3, __assert_fail@rel32@hi+12
	s_swappc_b64 s[30:31], s[2:3]
	.section	.rodata,"a",@progbits
	.p2align	6, 0x0
	.amdhsa_kernel _Z38paged_attention_ll4mi_QKV_mfma4_kernelI14__hip_bfloat16S0_LN4vllm18Fp8KVCacheDataTypeE0EhLi32ELi64ELi256ELb0ELi2EEvPKT_PKT0_S8_ifPKiSA_SA_iPKfiiiPfSD_PS3_PT2_iSC_SC_
		.amdhsa_group_segment_fixed_size 0
		.amdhsa_private_segment_fixed_size 64
		.amdhsa_kernarg_size 400
		.amdhsa_user_sgpr_count 15
		.amdhsa_user_sgpr_dispatch_ptr 0
		.amdhsa_user_sgpr_queue_ptr 0
		.amdhsa_user_sgpr_kernarg_segment_ptr 1
		.amdhsa_user_sgpr_dispatch_id 0
		.amdhsa_user_sgpr_private_segment_size 0
		.amdhsa_wavefront_size32 1
		.amdhsa_uses_dynamic_stack 0
		.amdhsa_enable_private_segment 1
		.amdhsa_system_sgpr_workgroup_id_x 1
		.amdhsa_system_sgpr_workgroup_id_y 0
		.amdhsa_system_sgpr_workgroup_id_z 0
		.amdhsa_system_sgpr_workgroup_info 0
		.amdhsa_system_vgpr_workitem_id 0
		.amdhsa_next_free_vgpr 41
		.amdhsa_next_free_sgpr 34
		.amdhsa_reserve_vcc 1
		.amdhsa_float_round_mode_32 0
		.amdhsa_float_round_mode_16_64 0
		.amdhsa_float_denorm_mode_32 3
		.amdhsa_float_denorm_mode_16_64 3
		.amdhsa_dx10_clamp 1
		.amdhsa_ieee_mode 1
		.amdhsa_fp16_overflow 0
		.amdhsa_workgroup_processor_mode 1
		.amdhsa_memory_ordered 1
		.amdhsa_forward_progress 0
		.amdhsa_shared_vgpr_count 0
		.amdhsa_exception_fp_ieee_invalid_op 0
		.amdhsa_exception_fp_denorm_src 0
		.amdhsa_exception_fp_ieee_div_zero 0
		.amdhsa_exception_fp_ieee_overflow 0
		.amdhsa_exception_fp_ieee_underflow 0
		.amdhsa_exception_fp_ieee_inexact 0
		.amdhsa_exception_int_div_zero 0
	.end_amdhsa_kernel
	.section	.text._Z38paged_attention_ll4mi_QKV_mfma4_kernelI14__hip_bfloat16S0_LN4vllm18Fp8KVCacheDataTypeE0EhLi32ELi64ELi256ELb0ELi2EEvPKT_PKT0_S8_ifPKiSA_SA_iPKfiiiPfSD_PS3_PT2_iSC_SC_,"axG",@progbits,_Z38paged_attention_ll4mi_QKV_mfma4_kernelI14__hip_bfloat16S0_LN4vllm18Fp8KVCacheDataTypeE0EhLi32ELi64ELi256ELb0ELi2EEvPKT_PKT0_S8_ifPKiSA_SA_iPKfiiiPfSD_PS3_PT2_iSC_SC_,comdat
.Lfunc_end519:
	.size	_Z38paged_attention_ll4mi_QKV_mfma4_kernelI14__hip_bfloat16S0_LN4vllm18Fp8KVCacheDataTypeE0EhLi32ELi64ELi256ELb0ELi2EEvPKT_PKT0_S8_ifPKiSA_SA_iPKfiiiPfSD_PS3_PT2_iSC_SC_, .Lfunc_end519-_Z38paged_attention_ll4mi_QKV_mfma4_kernelI14__hip_bfloat16S0_LN4vllm18Fp8KVCacheDataTypeE0EhLi32ELi64ELi256ELb0ELi2EEvPKT_PKT0_S8_ifPKiSA_SA_iPKfiiiPfSD_PS3_PT2_iSC_SC_
                                        ; -- End function
	.section	.AMDGPU.csdata,"",@progbits
; Kernel info:
; codeLenInByte = 72
; NumSgprs: 36
; NumVgprs: 41
; ScratchSize: 64
; MemoryBound: 0
; FloatMode: 240
; IeeeMode: 1
; LDSByteSize: 0 bytes/workgroup (compile time only)
; SGPRBlocks: 4
; VGPRBlocks: 5
; NumSGPRsForWavesPerEU: 36
; NumVGPRsForWavesPerEU: 41
; Occupancy: 16
; WaveLimiterHint : 1
; COMPUTE_PGM_RSRC2:SCRATCH_EN: 1
; COMPUTE_PGM_RSRC2:USER_SGPR: 15
; COMPUTE_PGM_RSRC2:TRAP_HANDLER: 0
; COMPUTE_PGM_RSRC2:TGID_X_EN: 1
; COMPUTE_PGM_RSRC2:TGID_Y_EN: 0
; COMPUTE_PGM_RSRC2:TGID_Z_EN: 0
; COMPUTE_PGM_RSRC2:TIDIG_COMP_CNT: 0
	.section	.text._Z38paged_attention_ll4mi_QKV_mfma4_kernelI14__hip_bfloat16S0_LN4vllm18Fp8KVCacheDataTypeE0EhLi32ELi64ELi256ELb0ELi3EEvPKT_PKT0_S8_ifPKiSA_SA_iPKfiiiPfSD_PS3_PT2_iSC_SC_,"axG",@progbits,_Z38paged_attention_ll4mi_QKV_mfma4_kernelI14__hip_bfloat16S0_LN4vllm18Fp8KVCacheDataTypeE0EhLi32ELi64ELi256ELb0ELi3EEvPKT_PKT0_S8_ifPKiSA_SA_iPKfiiiPfSD_PS3_PT2_iSC_SC_,comdat
	.protected	_Z38paged_attention_ll4mi_QKV_mfma4_kernelI14__hip_bfloat16S0_LN4vllm18Fp8KVCacheDataTypeE0EhLi32ELi64ELi256ELb0ELi3EEvPKT_PKT0_S8_ifPKiSA_SA_iPKfiiiPfSD_PS3_PT2_iSC_SC_ ; -- Begin function _Z38paged_attention_ll4mi_QKV_mfma4_kernelI14__hip_bfloat16S0_LN4vllm18Fp8KVCacheDataTypeE0EhLi32ELi64ELi256ELb0ELi3EEvPKT_PKT0_S8_ifPKiSA_SA_iPKfiiiPfSD_PS3_PT2_iSC_SC_
	.globl	_Z38paged_attention_ll4mi_QKV_mfma4_kernelI14__hip_bfloat16S0_LN4vllm18Fp8KVCacheDataTypeE0EhLi32ELi64ELi256ELb0ELi3EEvPKT_PKT0_S8_ifPKiSA_SA_iPKfiiiPfSD_PS3_PT2_iSC_SC_
	.p2align	8
	.type	_Z38paged_attention_ll4mi_QKV_mfma4_kernelI14__hip_bfloat16S0_LN4vllm18Fp8KVCacheDataTypeE0EhLi32ELi64ELi256ELb0ELi3EEvPKT_PKT0_S8_ifPKiSA_SA_iPKfiiiPfSD_PS3_PT2_iSC_SC_,@function
_Z38paged_attention_ll4mi_QKV_mfma4_kernelI14__hip_bfloat16S0_LN4vllm18Fp8KVCacheDataTypeE0EhLi32ELi64ELi256ELb0ELi3EEvPKT_PKT0_S8_ifPKiSA_SA_iPKfiiiPfSD_PS3_PT2_iSC_SC_: ; @_Z38paged_attention_ll4mi_QKV_mfma4_kernelI14__hip_bfloat16S0_LN4vllm18Fp8KVCacheDataTypeE0EhLi32ELi64ELi256ELb0ELi3EEvPKT_PKT0_S8_ifPKiSA_SA_iPKfiiiPfSD_PS3_PT2_iSC_SC_
; %bb.0:
	s_add_u32 s8, s0, 0x90
	s_addc_u32 s9, s1, 0
	s_getpc_b64 s[0:1]
	s_add_u32 s0, s0, __PRETTY_FUNCTION__._Z38paged_attention_ll4mi_QKV_mfma4_kernelI14__hip_bfloat16S0_LN4vllm18Fp8KVCacheDataTypeE0EhLi32ELi64ELi256ELb0ELi3EEvPKT_PKT0_S8_ifPKiSA_SA_iPKfiiiPfSD_PS3_PT2_iSC_SC_@rel32@lo+4
	s_addc_u32 s1, s1, __PRETTY_FUNCTION__._Z38paged_attention_ll4mi_QKV_mfma4_kernelI14__hip_bfloat16S0_LN4vllm18Fp8KVCacheDataTypeE0EhLi32ELi64ELi256ELb0ELi3EEvPKT_PKT0_S8_ifPKiSA_SA_iPKfiiiPfSD_PS3_PT2_iSC_SC_@rel32@hi+12
	s_delay_alu instid0(SALU_CYCLE_1) | instskip(SKIP_4) | instid1(SALU_CYCLE_1)
	v_dual_mov_b32 v0, s0 :: v_dual_mov_b32 v1, s1
	s_mov_b32 s32, 0
	s_getpc_b64 s[2:3]
	s_add_u32 s2, s2, __assert_fail@rel32@lo+4
	s_addc_u32 s3, s3, __assert_fail@rel32@hi+12
	s_swappc_b64 s[30:31], s[2:3]
	.section	.rodata,"a",@progbits
	.p2align	6, 0x0
	.amdhsa_kernel _Z38paged_attention_ll4mi_QKV_mfma4_kernelI14__hip_bfloat16S0_LN4vllm18Fp8KVCacheDataTypeE0EhLi32ELi64ELi256ELb0ELi3EEvPKT_PKT0_S8_ifPKiSA_SA_iPKfiiiPfSD_PS3_PT2_iSC_SC_
		.amdhsa_group_segment_fixed_size 0
		.amdhsa_private_segment_fixed_size 64
		.amdhsa_kernarg_size 400
		.amdhsa_user_sgpr_count 15
		.amdhsa_user_sgpr_dispatch_ptr 0
		.amdhsa_user_sgpr_queue_ptr 0
		.amdhsa_user_sgpr_kernarg_segment_ptr 1
		.amdhsa_user_sgpr_dispatch_id 0
		.amdhsa_user_sgpr_private_segment_size 0
		.amdhsa_wavefront_size32 1
		.amdhsa_uses_dynamic_stack 0
		.amdhsa_enable_private_segment 1
		.amdhsa_system_sgpr_workgroup_id_x 1
		.amdhsa_system_sgpr_workgroup_id_y 0
		.amdhsa_system_sgpr_workgroup_id_z 0
		.amdhsa_system_sgpr_workgroup_info 0
		.amdhsa_system_vgpr_workitem_id 0
		.amdhsa_next_free_vgpr 41
		.amdhsa_next_free_sgpr 34
		.amdhsa_reserve_vcc 1
		.amdhsa_float_round_mode_32 0
		.amdhsa_float_round_mode_16_64 0
		.amdhsa_float_denorm_mode_32 3
		.amdhsa_float_denorm_mode_16_64 3
		.amdhsa_dx10_clamp 1
		.amdhsa_ieee_mode 1
		.amdhsa_fp16_overflow 0
		.amdhsa_workgroup_processor_mode 1
		.amdhsa_memory_ordered 1
		.amdhsa_forward_progress 0
		.amdhsa_shared_vgpr_count 0
		.amdhsa_exception_fp_ieee_invalid_op 0
		.amdhsa_exception_fp_denorm_src 0
		.amdhsa_exception_fp_ieee_div_zero 0
		.amdhsa_exception_fp_ieee_overflow 0
		.amdhsa_exception_fp_ieee_underflow 0
		.amdhsa_exception_fp_ieee_inexact 0
		.amdhsa_exception_int_div_zero 0
	.end_amdhsa_kernel
	.section	.text._Z38paged_attention_ll4mi_QKV_mfma4_kernelI14__hip_bfloat16S0_LN4vllm18Fp8KVCacheDataTypeE0EhLi32ELi64ELi256ELb0ELi3EEvPKT_PKT0_S8_ifPKiSA_SA_iPKfiiiPfSD_PS3_PT2_iSC_SC_,"axG",@progbits,_Z38paged_attention_ll4mi_QKV_mfma4_kernelI14__hip_bfloat16S0_LN4vllm18Fp8KVCacheDataTypeE0EhLi32ELi64ELi256ELb0ELi3EEvPKT_PKT0_S8_ifPKiSA_SA_iPKfiiiPfSD_PS3_PT2_iSC_SC_,comdat
.Lfunc_end520:
	.size	_Z38paged_attention_ll4mi_QKV_mfma4_kernelI14__hip_bfloat16S0_LN4vllm18Fp8KVCacheDataTypeE0EhLi32ELi64ELi256ELb0ELi3EEvPKT_PKT0_S8_ifPKiSA_SA_iPKfiiiPfSD_PS3_PT2_iSC_SC_, .Lfunc_end520-_Z38paged_attention_ll4mi_QKV_mfma4_kernelI14__hip_bfloat16S0_LN4vllm18Fp8KVCacheDataTypeE0EhLi32ELi64ELi256ELb0ELi3EEvPKT_PKT0_S8_ifPKiSA_SA_iPKfiiiPfSD_PS3_PT2_iSC_SC_
                                        ; -- End function
	.section	.AMDGPU.csdata,"",@progbits
; Kernel info:
; codeLenInByte = 72
; NumSgprs: 36
; NumVgprs: 41
; ScratchSize: 64
; MemoryBound: 0
; FloatMode: 240
; IeeeMode: 1
; LDSByteSize: 0 bytes/workgroup (compile time only)
; SGPRBlocks: 4
; VGPRBlocks: 5
; NumSGPRsForWavesPerEU: 36
; NumVGPRsForWavesPerEU: 41
; Occupancy: 16
; WaveLimiterHint : 1
; COMPUTE_PGM_RSRC2:SCRATCH_EN: 1
; COMPUTE_PGM_RSRC2:USER_SGPR: 15
; COMPUTE_PGM_RSRC2:TRAP_HANDLER: 0
; COMPUTE_PGM_RSRC2:TGID_X_EN: 1
; COMPUTE_PGM_RSRC2:TGID_Y_EN: 0
; COMPUTE_PGM_RSRC2:TGID_Z_EN: 0
; COMPUTE_PGM_RSRC2:TIDIG_COMP_CNT: 0
	.section	.text._Z38paged_attention_ll4mi_QKV_mfma4_kernelI14__hip_bfloat16S0_LN4vllm18Fp8KVCacheDataTypeE0EhLi32ELi64ELi256ELb0ELi4EEvPKT_PKT0_S8_ifPKiSA_SA_iPKfiiiPfSD_PS3_PT2_iSC_SC_,"axG",@progbits,_Z38paged_attention_ll4mi_QKV_mfma4_kernelI14__hip_bfloat16S0_LN4vllm18Fp8KVCacheDataTypeE0EhLi32ELi64ELi256ELb0ELi4EEvPKT_PKT0_S8_ifPKiSA_SA_iPKfiiiPfSD_PS3_PT2_iSC_SC_,comdat
	.protected	_Z38paged_attention_ll4mi_QKV_mfma4_kernelI14__hip_bfloat16S0_LN4vllm18Fp8KVCacheDataTypeE0EhLi32ELi64ELi256ELb0ELi4EEvPKT_PKT0_S8_ifPKiSA_SA_iPKfiiiPfSD_PS3_PT2_iSC_SC_ ; -- Begin function _Z38paged_attention_ll4mi_QKV_mfma4_kernelI14__hip_bfloat16S0_LN4vllm18Fp8KVCacheDataTypeE0EhLi32ELi64ELi256ELb0ELi4EEvPKT_PKT0_S8_ifPKiSA_SA_iPKfiiiPfSD_PS3_PT2_iSC_SC_
	.globl	_Z38paged_attention_ll4mi_QKV_mfma4_kernelI14__hip_bfloat16S0_LN4vllm18Fp8KVCacheDataTypeE0EhLi32ELi64ELi256ELb0ELi4EEvPKT_PKT0_S8_ifPKiSA_SA_iPKfiiiPfSD_PS3_PT2_iSC_SC_
	.p2align	8
	.type	_Z38paged_attention_ll4mi_QKV_mfma4_kernelI14__hip_bfloat16S0_LN4vllm18Fp8KVCacheDataTypeE0EhLi32ELi64ELi256ELb0ELi4EEvPKT_PKT0_S8_ifPKiSA_SA_iPKfiiiPfSD_PS3_PT2_iSC_SC_,@function
_Z38paged_attention_ll4mi_QKV_mfma4_kernelI14__hip_bfloat16S0_LN4vllm18Fp8KVCacheDataTypeE0EhLi32ELi64ELi256ELb0ELi4EEvPKT_PKT0_S8_ifPKiSA_SA_iPKfiiiPfSD_PS3_PT2_iSC_SC_: ; @_Z38paged_attention_ll4mi_QKV_mfma4_kernelI14__hip_bfloat16S0_LN4vllm18Fp8KVCacheDataTypeE0EhLi32ELi64ELi256ELb0ELi4EEvPKT_PKT0_S8_ifPKiSA_SA_iPKfiiiPfSD_PS3_PT2_iSC_SC_
; %bb.0:
	s_add_u32 s8, s0, 0x90
	s_addc_u32 s9, s1, 0
	s_getpc_b64 s[0:1]
	s_add_u32 s0, s0, __PRETTY_FUNCTION__._Z38paged_attention_ll4mi_QKV_mfma4_kernelI14__hip_bfloat16S0_LN4vllm18Fp8KVCacheDataTypeE0EhLi32ELi64ELi256ELb0ELi4EEvPKT_PKT0_S8_ifPKiSA_SA_iPKfiiiPfSD_PS3_PT2_iSC_SC_@rel32@lo+4
	s_addc_u32 s1, s1, __PRETTY_FUNCTION__._Z38paged_attention_ll4mi_QKV_mfma4_kernelI14__hip_bfloat16S0_LN4vllm18Fp8KVCacheDataTypeE0EhLi32ELi64ELi256ELb0ELi4EEvPKT_PKT0_S8_ifPKiSA_SA_iPKfiiiPfSD_PS3_PT2_iSC_SC_@rel32@hi+12
	s_delay_alu instid0(SALU_CYCLE_1) | instskip(SKIP_4) | instid1(SALU_CYCLE_1)
	v_dual_mov_b32 v0, s0 :: v_dual_mov_b32 v1, s1
	s_mov_b32 s32, 0
	s_getpc_b64 s[2:3]
	s_add_u32 s2, s2, __assert_fail@rel32@lo+4
	s_addc_u32 s3, s3, __assert_fail@rel32@hi+12
	s_swappc_b64 s[30:31], s[2:3]
	.section	.rodata,"a",@progbits
	.p2align	6, 0x0
	.amdhsa_kernel _Z38paged_attention_ll4mi_QKV_mfma4_kernelI14__hip_bfloat16S0_LN4vllm18Fp8KVCacheDataTypeE0EhLi32ELi64ELi256ELb0ELi4EEvPKT_PKT0_S8_ifPKiSA_SA_iPKfiiiPfSD_PS3_PT2_iSC_SC_
		.amdhsa_group_segment_fixed_size 0
		.amdhsa_private_segment_fixed_size 64
		.amdhsa_kernarg_size 400
		.amdhsa_user_sgpr_count 15
		.amdhsa_user_sgpr_dispatch_ptr 0
		.amdhsa_user_sgpr_queue_ptr 0
		.amdhsa_user_sgpr_kernarg_segment_ptr 1
		.amdhsa_user_sgpr_dispatch_id 0
		.amdhsa_user_sgpr_private_segment_size 0
		.amdhsa_wavefront_size32 1
		.amdhsa_uses_dynamic_stack 0
		.amdhsa_enable_private_segment 1
		.amdhsa_system_sgpr_workgroup_id_x 1
		.amdhsa_system_sgpr_workgroup_id_y 0
		.amdhsa_system_sgpr_workgroup_id_z 0
		.amdhsa_system_sgpr_workgroup_info 0
		.amdhsa_system_vgpr_workitem_id 0
		.amdhsa_next_free_vgpr 41
		.amdhsa_next_free_sgpr 34
		.amdhsa_reserve_vcc 1
		.amdhsa_float_round_mode_32 0
		.amdhsa_float_round_mode_16_64 0
		.amdhsa_float_denorm_mode_32 3
		.amdhsa_float_denorm_mode_16_64 3
		.amdhsa_dx10_clamp 1
		.amdhsa_ieee_mode 1
		.amdhsa_fp16_overflow 0
		.amdhsa_workgroup_processor_mode 1
		.amdhsa_memory_ordered 1
		.amdhsa_forward_progress 0
		.amdhsa_shared_vgpr_count 0
		.amdhsa_exception_fp_ieee_invalid_op 0
		.amdhsa_exception_fp_denorm_src 0
		.amdhsa_exception_fp_ieee_div_zero 0
		.amdhsa_exception_fp_ieee_overflow 0
		.amdhsa_exception_fp_ieee_underflow 0
		.amdhsa_exception_fp_ieee_inexact 0
		.amdhsa_exception_int_div_zero 0
	.end_amdhsa_kernel
	.section	.text._Z38paged_attention_ll4mi_QKV_mfma4_kernelI14__hip_bfloat16S0_LN4vllm18Fp8KVCacheDataTypeE0EhLi32ELi64ELi256ELb0ELi4EEvPKT_PKT0_S8_ifPKiSA_SA_iPKfiiiPfSD_PS3_PT2_iSC_SC_,"axG",@progbits,_Z38paged_attention_ll4mi_QKV_mfma4_kernelI14__hip_bfloat16S0_LN4vllm18Fp8KVCacheDataTypeE0EhLi32ELi64ELi256ELb0ELi4EEvPKT_PKT0_S8_ifPKiSA_SA_iPKfiiiPfSD_PS3_PT2_iSC_SC_,comdat
.Lfunc_end521:
	.size	_Z38paged_attention_ll4mi_QKV_mfma4_kernelI14__hip_bfloat16S0_LN4vllm18Fp8KVCacheDataTypeE0EhLi32ELi64ELi256ELb0ELi4EEvPKT_PKT0_S8_ifPKiSA_SA_iPKfiiiPfSD_PS3_PT2_iSC_SC_, .Lfunc_end521-_Z38paged_attention_ll4mi_QKV_mfma4_kernelI14__hip_bfloat16S0_LN4vllm18Fp8KVCacheDataTypeE0EhLi32ELi64ELi256ELb0ELi4EEvPKT_PKT0_S8_ifPKiSA_SA_iPKfiiiPfSD_PS3_PT2_iSC_SC_
                                        ; -- End function
	.section	.AMDGPU.csdata,"",@progbits
; Kernel info:
; codeLenInByte = 72
; NumSgprs: 36
; NumVgprs: 41
; ScratchSize: 64
; MemoryBound: 0
; FloatMode: 240
; IeeeMode: 1
; LDSByteSize: 0 bytes/workgroup (compile time only)
; SGPRBlocks: 4
; VGPRBlocks: 5
; NumSGPRsForWavesPerEU: 36
; NumVGPRsForWavesPerEU: 41
; Occupancy: 16
; WaveLimiterHint : 1
; COMPUTE_PGM_RSRC2:SCRATCH_EN: 1
; COMPUTE_PGM_RSRC2:USER_SGPR: 15
; COMPUTE_PGM_RSRC2:TRAP_HANDLER: 0
; COMPUTE_PGM_RSRC2:TGID_X_EN: 1
; COMPUTE_PGM_RSRC2:TGID_Y_EN: 0
; COMPUTE_PGM_RSRC2:TGID_Z_EN: 0
; COMPUTE_PGM_RSRC2:TIDIG_COMP_CNT: 0
	.section	.text._Z39paged_attention_ll4mi_QKV_mfma16_kernelI14__hip_bfloat16S0_LN4vllm18Fp8KVCacheDataTypeE0EhLi32ELi64ELi256ELb0ELi5EL8MFMAType0EEvPKT_PKT0_S9_ifPKiSB_SB_iPKfiiiPfSE_PS4_PT2_iSD_SD_,"axG",@progbits,_Z39paged_attention_ll4mi_QKV_mfma16_kernelI14__hip_bfloat16S0_LN4vllm18Fp8KVCacheDataTypeE0EhLi32ELi64ELi256ELb0ELi5EL8MFMAType0EEvPKT_PKT0_S9_ifPKiSB_SB_iPKfiiiPfSE_PS4_PT2_iSD_SD_,comdat
	.protected	_Z39paged_attention_ll4mi_QKV_mfma16_kernelI14__hip_bfloat16S0_LN4vllm18Fp8KVCacheDataTypeE0EhLi32ELi64ELi256ELb0ELi5EL8MFMAType0EEvPKT_PKT0_S9_ifPKiSB_SB_iPKfiiiPfSE_PS4_PT2_iSD_SD_ ; -- Begin function _Z39paged_attention_ll4mi_QKV_mfma16_kernelI14__hip_bfloat16S0_LN4vllm18Fp8KVCacheDataTypeE0EhLi32ELi64ELi256ELb0ELi5EL8MFMAType0EEvPKT_PKT0_S9_ifPKiSB_SB_iPKfiiiPfSE_PS4_PT2_iSD_SD_
	.globl	_Z39paged_attention_ll4mi_QKV_mfma16_kernelI14__hip_bfloat16S0_LN4vllm18Fp8KVCacheDataTypeE0EhLi32ELi64ELi256ELb0ELi5EL8MFMAType0EEvPKT_PKT0_S9_ifPKiSB_SB_iPKfiiiPfSE_PS4_PT2_iSD_SD_
	.p2align	8
	.type	_Z39paged_attention_ll4mi_QKV_mfma16_kernelI14__hip_bfloat16S0_LN4vllm18Fp8KVCacheDataTypeE0EhLi32ELi64ELi256ELb0ELi5EL8MFMAType0EEvPKT_PKT0_S9_ifPKiSB_SB_iPKfiiiPfSE_PS4_PT2_iSD_SD_,@function
_Z39paged_attention_ll4mi_QKV_mfma16_kernelI14__hip_bfloat16S0_LN4vllm18Fp8KVCacheDataTypeE0EhLi32ELi64ELi256ELb0ELi5EL8MFMAType0EEvPKT_PKT0_S9_ifPKiSB_SB_iPKfiiiPfSE_PS4_PT2_iSD_SD_: ; @_Z39paged_attention_ll4mi_QKV_mfma16_kernelI14__hip_bfloat16S0_LN4vllm18Fp8KVCacheDataTypeE0EhLi32ELi64ELi256ELb0ELi5EL8MFMAType0EEvPKT_PKT0_S9_ifPKiSB_SB_iPKfiiiPfSE_PS4_PT2_iSD_SD_
; %bb.0:
	s_load_b64 s[2:3], s[0:1], 0x30
	s_mov_b32 s34, s13
	s_waitcnt lgkmcnt(0)
	s_cmp_lg_u64 s[2:3], 0
	s_cselect_b32 s6, -1, 0
	s_ashr_i32 s35, s13, 31
	s_cmp_eq_u64 s[2:3], 0
	s_cbranch_scc1 .LBB522_3
; %bb.1:
	s_lshl_b64 s[4:5], s[34:35], 2
	s_delay_alu instid0(SALU_CYCLE_1) | instskip(SKIP_4) | instid1(SALU_CYCLE_1)
	s_add_u32 s4, s2, s4
	s_addc_u32 s5, s3, s5
	s_load_b64 s[4:5], s[4:5], 0x0
	s_waitcnt lgkmcnt(0)
	s_sub_i32 s4, s5, s4
	s_cmp_eq_u32 s4, 1
	s_cselect_b32 s4, -1, 0
	s_delay_alu instid0(SALU_CYCLE_1)
	s_and_not1_b32 vcc_lo, exec_lo, s4
	s_cbranch_vccz .LBB522_4
.LBB522_2:
	s_nop 0
	s_sendmsg sendmsg(MSG_DEALLOC_VGPRS)
	s_endpgm
.LBB522_3:
.LBB522_4:
	s_load_b64 s[8:9], s[0:1], 0x28
	s_lshl_b64 s[4:5], s[34:35], 2
	s_waitcnt lgkmcnt(0)
	s_add_u32 s8, s8, s4
	s_addc_u32 s9, s9, s5
	s_lshl_b32 s16, s14, 8
	s_load_b32 s18, s[8:9], 0x0
	s_waitcnt lgkmcnt(0)
	s_cmp_ge_i32 s16, s18
	s_cbranch_scc1 .LBB522_2
; %bb.5:
	s_and_not1_b32 vcc_lo, exec_lo, s6
	s_cbranch_vccnz .LBB522_7
; %bb.6:
	s_add_u32 s2, s2, s4
	s_addc_u32 s3, s3, s5
	s_load_b32 s17, s[2:3], 0x0
	s_branch .LBB522_8
.LBB522_7:
	s_mov_b32 s17, s34
.LBB522_8:
	s_clause 0x2
	s_load_b128 s[8:11], s[0:1], 0x8
	s_load_b64 s[12:13], s[0:1], 0x20
	s_load_b128 s[4:7], s[0:1], 0x48
	v_lshrrev_b32_e32 v74, 5, v0
	v_bfe_u32 v83, v0, 4, 1
	v_and_b32_e32 v73, 15, v0
	s_delay_alu instid0(VALU_DEP_2) | instskip(NEXT) | instid1(VALU_DEP_2)
	v_lshl_or_b32 v3, v74, 1, v83
	v_cmp_lt_u32_e64 s3, 7, v73
	v_lshlrev_b32_e32 v1, 3, v73
	v_cmp_gt_u32_e64 s2, 8, v73
	s_delay_alu instid0(VALU_DEP_4) | instskip(NEXT) | instid1(VALU_DEP_4)
	v_cmp_lt_u32_e32 vcc_lo, 4, v3
	s_or_b32 s3, s3, vcc_lo
	s_waitcnt lgkmcnt(0)
	s_and_saveexec_b32 s7, s3
	s_delay_alu instid0(SALU_CYCLE_1)
	s_xor_b32 s3, exec_lo, s7
; %bb.9:
	v_mov_b32_e32 v2, 0
                                        ; implicit-def: $vgpr3
; %bb.10:
	s_or_saveexec_b32 s3, s3
	v_and_b32_e32 v75, 31, v0
	v_and_b32_e32 v84, 1, v0
	s_mul_i32 s31, s15, 5
	s_xor_b32 exec_lo, exec_lo, s3
	s_cbranch_execz .LBB522_12
; %bb.11:
	s_load_b64 s[20:21], s[0:1], 0x0
	v_add_lshl_u32 v4, v3, s31, 6
	s_mul_hi_i32 s23, s17, s4
	s_mul_i32 s22, s17, s4
	v_lshlrev_b32_e32 v2, 1, v1
	s_lshl_b64 s[22:23], s[22:23], 1
	v_ashrrev_i32_e32 v5, 31, v4
	v_lshlrev_b32_e32 v3, 6, v3
	v_lshlrev_b32_e32 v8, 10, v84
	s_delay_alu instid0(VALU_DEP_3) | instskip(SKIP_3) | instid1(VALU_DEP_1)
	v_lshlrev_b64 v[4:5], 1, v[4:5]
	s_waitcnt lgkmcnt(0)
	s_add_u32 s4, s20, s22
	s_addc_u32 s7, s21, s23
	v_add_co_u32 v4, vcc_lo, s4, v4
	s_delay_alu instid0(VALU_DEP_2) | instskip(NEXT) | instid1(VALU_DEP_2)
	v_add_co_ci_u32_e32 v5, vcc_lo, s7, v5, vcc_lo
	v_add_co_u32 v4, vcc_lo, v4, v2
	s_delay_alu instid0(VALU_DEP_2) | instskip(SKIP_3) | instid1(VALU_DEP_1)
	v_add_co_ci_u32_e32 v5, vcc_lo, 0, v5, vcc_lo
	v_lshlrev_b32_e32 v2, 10, v73
	global_load_b128 v[4:7], v[4:5], off
	v_and_b32_e32 v2, 0x3800, v2
	v_or3_b32 v3, v2, v8, v3
	v_mov_b32_e32 v2, 0
	s_waitcnt vmcnt(0)
	ds_store_b128 v3, v[4:7]
.LBB522_12:
	s_or_b32 exec_lo, exec_lo, s3
	v_and_b32_e32 v3, 0xef, v0
	s_add_i32 s3, s18, 31
	s_clause 0x1
	s_load_b32 s4, s[0:1], 0x38
	s_load_b32 s19, s[0:1], 0x1c
	s_ashr_i32 s7, s3, 31
	v_add_nc_u32_e32 v3, s16, v3
	s_lshr_b32 s7, s7, 27
	s_waitcnt lgkmcnt(0)
	s_add_i32 s3, s3, s7
	s_barrier
	v_ashrrev_i32_e32 v4, 31, v3
	v_cmp_gt_i32_e32 vcc_lo, s18, v3
	s_ashr_i32 s3, s3, 5
	buffer_gl0_inv
	s_add_i32 s3, s3, -1
	v_lshrrev_b32_e32 v5, 27, v4
	v_or_b32_e32 v4, 16, v3
	s_mul_i32 s6, s15, s6
	v_lshlrev_b64 v[81:82], 1, v[1:2]
	s_delay_alu instid0(VALU_DEP_3) | instskip(NEXT) | instid1(VALU_DEP_3)
	v_add_nc_u32_e32 v6, v3, v5
	v_add_nc_u32_e32 v5, v4, v5
	s_mul_i32 s20, s34, s4
	s_delay_alu instid0(SALU_CYCLE_1) | instskip(NEXT) | instid1(VALU_DEP_2)
	s_ashr_i32 s21, s20, 31
	v_ashrrev_i32_e32 v6, 5, v6
	s_delay_alu instid0(VALU_DEP_2) | instskip(SKIP_1) | instid1(SALU_CYCLE_1)
	v_ashrrev_i32_e32 v5, 5, v5
	s_lshl_b64 s[20:21], s[20:21], 2
	s_add_u32 s4, s12, s20
	s_delay_alu instid0(VALU_DEP_2) | instskip(SKIP_3) | instid1(SALU_CYCLE_1)
	v_cndmask_b32_e32 v3, s3, v6, vcc_lo
	v_cmp_gt_i32_e32 vcc_lo, s18, v4
	s_addc_u32 s17, s13, s21
	s_ashr_i32 s7, s6, 31
	s_lshl_b64 s[6:7], s[6:7], 1
	v_cndmask_b32_e32 v5, s3, v5, vcc_lo
	v_ashrrev_i32_e32 v4, 31, v3
	s_add_u32 s15, s8, s6
	s_addc_u32 s28, s9, s7
	s_lshl_b32 s8, s14, 3
	v_ashrrev_i32_e32 v6, 31, v5
	v_lshlrev_b64 v[3:4], 2, v[3:4]
	s_ashr_i32 s9, s8, 31
	s_delay_alu instid0(SALU_CYCLE_1) | instskip(NEXT) | instid1(VALU_DEP_2)
	s_lshl_b64 s[8:9], s[8:9], 2
	v_lshlrev_b64 v[5:6], 2, v[5:6]
	s_add_u32 s8, s4, s8
	s_delay_alu instid0(VALU_DEP_2) | instskip(SKIP_1) | instid1(VALU_DEP_3)
	v_add_co_u32 v3, vcc_lo, s4, v3
	v_add_co_ci_u32_e32 v4, vcc_lo, s17, v4, vcc_lo
	v_add_co_u32 v5, vcc_lo, s4, v5
	s_delay_alu instid0(VALU_DEP_4)
	v_add_co_ci_u32_e32 v6, vcc_lo, s17, v6, vcc_lo
	s_addc_u32 s9, s17, s9
	s_clause 0x1
	global_load_b32 v7, v[3:4], off
	global_load_b32 v8, v[5:6], off
	s_or_b32 s12, s16, 32
	s_delay_alu instid0(SALU_CYCLE_1) | instskip(SKIP_2) | instid1(SALU_CYCLE_1)
	s_ashr_i32 s13, s12, 5
	s_cmp_lt_i32 s12, s18
	s_cselect_b32 s12, s13, s3
	s_ashr_i32 s13, s12, 31
	s_delay_alu instid0(SALU_CYCLE_1) | instskip(NEXT) | instid1(SALU_CYCLE_1)
	s_lshl_b64 s[12:13], s[12:13], 2
	s_add_u32 s12, s4, s12
	s_addc_u32 s13, s17, s13
	s_or_b32 s20, s16, 64
	s_delay_alu instid0(SALU_CYCLE_1) | instskip(SKIP_2) | instid1(SALU_CYCLE_1)
	s_ashr_i32 s21, s20, 5
	s_cmp_lt_i32 s20, s18
	s_cselect_b32 s20, s21, s3
	s_ashr_i32 s21, s20, 31
	s_delay_alu instid0(SALU_CYCLE_1) | instskip(NEXT) | instid1(SALU_CYCLE_1)
	s_lshl_b64 s[20:21], s[20:21], 2
	s_add_u32 s20, s4, s20
	s_addc_u32 s21, s17, s21
	;; [unrolled: 10-line block ×5, first 2 shown]
	s_clause 0x5
	s_load_b32 s29, s[8:9], 0x0
	s_load_b32 s30, s[12:13], 0x0
	;; [unrolled: 1-line block ×6, first 2 shown]
	s_or_b32 s8, s16, 0xc0
	s_mov_b32 s20, 0
	s_ashr_i32 s9, s8, 5
	s_cmp_lt_i32 s8, s18
	s_mov_b32 s27, s20
	s_cselect_b32 s8, s9, s3
	s_mov_b32 s21, s20
	s_ashr_i32 s9, s8, 31
	s_mov_b32 s22, s20
	s_lshl_b64 s[8:9], s[8:9], 2
	s_mov_b32 s23, s20
	s_add_u32 s8, s4, s8
	s_mov_b32 s24, s20
	s_mov_b32 s25, s20
	;; [unrolled: 1-line block ×3, first 2 shown]
	s_addc_u32 s9, s17, s9
	v_mov_b32_e32 v117, s27
	v_dual_mov_b32 v110, s20 :: v_dual_lshlrev_b32 v85, 6, v73
	v_dual_mov_b32 v116, s26 :: v_dual_mov_b32 v115, s25
	v_dual_mov_b32 v114, s24 :: v_dual_mov_b32 v113, s23
	v_dual_mov_b32 v112, s22 :: v_dual_mov_b32 v111, s21
	s_waitcnt lgkmcnt(0)
	s_mul_hi_i32 s13, s29, s5
	s_mul_i32 s12, s29, s5
	v_lshl_or_b32 v58, v74, 10, v85
	s_mul_hi_i32 s21, s30, s5
	s_mul_i32 s20, s30, s5
	s_mul_hi_i32 s25, s33, s5
	s_mul_i32 s24, s33, s5
	;; [unrolled: 2-line block ×3, first 2 shown]
	s_mul_hi_i32 s37, s38, s5
	s_waitcnt vmcnt(1)
	v_mad_i64_i32 v[3:4], null, v7, s5, 0
	s_waitcnt vmcnt(0)
	v_mad_i64_i32 v[5:6], null, v8, s5, 0
	s_delay_alu instid0(VALU_DEP_2) | instskip(NEXT) | instid1(VALU_DEP_2)
	v_lshlrev_b64 v[3:4], 1, v[3:4]
	v_lshlrev_b64 v[1:2], 1, v[5:6]
	s_delay_alu instid0(VALU_DEP_2) | instskip(NEXT) | instid1(VALU_DEP_3)
	v_add_co_u32 v3, vcc_lo, s15, v3
	v_add_co_ci_u32_e32 v4, vcc_lo, s28, v4, vcc_lo
	s_delay_alu instid0(VALU_DEP_3) | instskip(NEXT) | instid1(VALU_DEP_4)
	v_add_co_u32 v1, vcc_lo, s15, v1
	v_add_co_ci_u32_e32 v2, vcc_lo, s28, v2, vcc_lo
	s_delay_alu instid0(VALU_DEP_4) | instskip(NEXT) | instid1(VALU_DEP_4)
	v_add_co_u32 v41, vcc_lo, v3, v81
	v_add_co_ci_u32_e32 v42, vcc_lo, v4, v82, vcc_lo
	s_delay_alu instid0(VALU_DEP_4) | instskip(NEXT) | instid1(VALU_DEP_4)
	v_add_co_u32 v43, vcc_lo, v1, v81
	v_add_co_ci_u32_e32 v44, vcc_lo, v2, v82, vcc_lo
	s_clause 0xf
	global_load_b128 v[1:4], v[41:42], off
	global_load_b128 v[5:8], v[41:42], off offset:512
	global_load_b128 v[9:12], v[43:44], off offset:256
	;; [unrolled: 1-line block ×15, first 2 shown]
	v_mul_lo_u16 v41, v73, 52
	s_or_b32 s15, s16, 0xe0
	s_delay_alu instid0(SALU_CYCLE_1) | instskip(SKIP_1) | instid1(VALU_DEP_1)
	s_ashr_i32 s22, s15, 5
	s_cmp_lt_i32 s15, s18
	v_lshrrev_b16 v41, 8, v41
	s_cselect_b32 s22, s22, s3
	s_delay_alu instid0(SALU_CYCLE_1) | instskip(NEXT) | instid1(VALU_DEP_1)
	s_ashr_i32 s23, s22, 31
	v_mul_lo_u16 v41, v41, 5
	s_lshl_b64 s[22:23], s[22:23], 2
	s_delay_alu instid0(SALU_CYCLE_1) | instskip(SKIP_1) | instid1(VALU_DEP_1)
	s_add_u32 s22, s4, s22
	s_addc_u32 s23, s17, s23
	v_sub_nc_u16 v41, v73, v41
	s_add_i32 s15, s16, 0x100
	s_delay_alu instid0(SALU_CYCLE_1) | instskip(SKIP_1) | instid1(VALU_DEP_1)
	s_ashr_i32 s28, s15, 5
	s_cmp_lt_i32 s15, s18
	v_and_b32_e32 v41, 0xff, v41
	s_cselect_b32 s28, s28, s3
	s_delay_alu instid0(SALU_CYCLE_1) | instskip(NEXT) | instid1(VALU_DEP_1)
	s_ashr_i32 s29, s28, 31
	v_lshlrev_b32_e32 v57, 6, v41
	ds_load_b128 v[41:44], v57
	ds_load_b128 v[45:48], v57 offset:1024
	ds_load_b128 v[49:52], v57 offset:2048
	;; [unrolled: 1-line block ×7, first 2 shown]
	s_lshl_b64 s[28:29], s[28:29], 2
	s_load_b32 s15, s[8:9], 0x0
	s_add_u32 s28, s4, s28
	s_addc_u32 s29, s17, s29
	s_add_u32 s3, s10, s6
	s_clause 0x1
	s_load_b32 s4, s[22:23], 0x0
	s_load_b32 s17, s[28:29], 0x0
	s_addc_u32 s28, s11, s7
	v_add_co_u32 v76, s3, s3, v58
	s_delay_alu instid0(VALU_DEP_1) | instskip(SKIP_2) | instid1(VALU_DEP_2)
	v_add_co_ci_u32_e64 v77, null, s28, 0, s3
	s_lshl_b64 s[6:7], s[12:13], 1
	s_lshl_b64 s[10:11], s[20:21], 1
	v_add_co_u32 v57, vcc_lo, v76, s6
	s_delay_alu instid0(VALU_DEP_2)
	v_add_co_ci_u32_e32 v58, vcc_lo, s7, v77, vcc_lo
	s_lshl_b64 s[12:13], s[24:25], 1
	s_lshl_b64 s[20:21], s[26:27], 1
	s_mul_hi_i32 s9, s36, s5
	s_mul_i32 s8, s36, s5
	s_mul_i32 s36, s38, s5
	s_lshl_b64 s[8:9], s[8:9], 1
	s_lshl_b64 s[22:23], s[36:37], 1
	s_waitcnt lgkmcnt(0)
	s_mul_hi_i32 s25, s15, s5
	s_mul_i32 s24, s15, s5
	s_clause 0x1
	global_load_b128 v[65:68], v[57:58], off
	global_load_b128 v[69:72], v[57:58], off offset:16
	s_lshl_b64 s[6:7], s[24:25], 1
	s_waitcnt vmcnt(16)
	v_wmma_f32_16x16x16_bf16 v[134:141], v[1:8], v[41:48], v[110:117]
	v_add_co_u32 v1, vcc_lo, v76, s10
	v_add_co_ci_u32_e32 v2, vcc_lo, s11, v77, vcc_lo
	s_waitcnt vmcnt(12)
	s_delay_alu instid0(VALU_DEP_3) | instskip(SKIP_3) | instid1(VALU_DEP_3)
	v_wmma_f32_16x16x16_bf16 v[134:141], v[17:24], v[49:56], v[134:141]
	v_add_co_u32 v3, vcc_lo, v76, s12
	v_add_co_ci_u32_e32 v4, vcc_lo, s13, v77, vcc_lo
	s_waitcnt vmcnt(8)
	v_wmma_f32_16x16x16_bf16 v[134:141], v[33:40], v[118:125], v[134:141]
	v_add_co_u32 v5, vcc_lo, v76, s20
	v_add_co_ci_u32_e32 v6, vcc_lo, s21, v77, vcc_lo
	s_waitcnt vmcnt(4)
	s_delay_alu instid0(VALU_DEP_3) | instskip(SKIP_2) | instid1(VALU_DEP_3)
	v_wmma_f32_16x16x16_bf16 v[134:141], v[94:101], v[126:133], v[134:141]
	v_add_co_u32 v7, vcc_lo, v76, s8
	v_add_co_ci_u32_e32 v8, vcc_lo, s9, v77, vcc_lo
	v_mul_f32_e32 v100, s19, v141
	v_wmma_f32_16x16x16_bf16 v[110:117], v[9:16], v[41:48], v[110:117]
	s_clause 0x1
	global_load_b128 v[57:60], v[1:2], off
	global_load_b128 v[61:64], v[1:2], off offset:16
	s_mul_hi_i32 s9, s4, s5
	s_mul_i32 s8, s4, s5
	v_wmma_f32_16x16x16_bf16 v[110:117], v[25:32], v[49:56], v[110:117]
	s_clause 0x5
	global_load_b128 v[49:52], v[3:4], off
	global_load_b128 v[53:56], v[3:4], off offset:16
	global_load_b128 v[41:44], v[5:6], off
	global_load_b128 v[45:48], v[5:6], off offset:16
	;; [unrolled: 2-line block ×3, first 2 shown]
	v_add_co_u32 v5, vcc_lo, v76, s22
	v_add_co_ci_u32_e32 v6, vcc_lo, s23, v77, vcc_lo
	v_add_co_u32 v17, vcc_lo, v76, s6
	v_add_co_ci_u32_e32 v18, vcc_lo, s7, v77, vcc_lo
	s_lshl_b64 s[6:7], s[8:9], 1
	s_mul_hi_i32 s9, s17, s5
	s_mul_i32 s8, s17, s5
	v_add_co_u32 v19, vcc_lo, v76, s6
	s_lshl_b64 s[4:5], s[8:9], 1
	v_add_co_ci_u32_e32 v20, vcc_lo, s7, v77, vcc_lo
	v_add_co_u32 v21, vcc_lo, v76, s4
	v_add_co_ci_u32_e32 v22, vcc_lo, s5, v77, vcc_lo
	s_clause 0x7
	global_load_b128 v[1:4], v[5:6], off
	global_load_b128 v[5:8], v[5:6], off offset:16
	global_load_b128 v[33:36], v[17:18], off
	global_load_b128 v[37:40], v[17:18], off offset:16
	global_load_b128 v[25:28], v[19:20], off
	global_load_b128 v[29:32], v[19:20], off offset:16
	global_load_b128 v[17:20], v[21:22], off
	global_load_b128 v[21:24], v[21:22], off offset:16
	v_and_b32_e32 v76, 0xe0, v0
	v_mbcnt_lo_u32_b32 v77, -1, 0
	v_wmma_f32_16x16x16_bf16 v[110:117], v[86:93], v[118:125], v[110:117]
	s_waitcnt vmcnt(0)
	s_barrier
	v_add_nc_u32_e32 v76, s16, v76
	v_xor_b32_e32 v78, 16, v77
	v_wmma_f32_16x16x16_bf16 v[110:117], v[102:109], v[126:133], v[110:117]
	v_mul_f32_e32 v97, s19, v134
	v_mul_f32_e32 v99, s19, v135
	v_or_b32_e32 v76, v76, v83
	v_cmp_gt_i32_e32 vcc_lo, 32, v78
	buffer_gl0_inv
	v_or_b32_e32 v79, 4, v76
	v_cndmask_b32_e32 v77, v77, v78, vcc_lo
	v_or_b32_e32 v78, 2, v76
	v_or_b32_e32 v80, 6, v76
	;; [unrolled: 1-line block ×3, first 2 shown]
	v_cmp_gt_i32_e32 vcc_lo, s18, v76
	v_or_b32_e32 v87, 10, v76
	v_cmp_gt_i32_e64 s3, s18, v78
	v_or_b32_e32 v88, 12, v76
	v_or_b32_e32 v89, 14, v76
	;; [unrolled: 1-line block ×10, first 2 shown]
	v_cndmask_b32_e64 v78, 0xff7fffff, v99, s3
	v_mul_f32_e32 v99, s19, v137
	v_cmp_gt_i32_e64 s4, s18, v80
	v_mul_f32_e32 v80, s19, v136
	v_cmp_gt_i32_e64 s5, s18, v79
	v_cmp_gt_i32_e64 s6, s18, v86
	v_mul_f32_e32 v86, s19, v116
	v_cndmask_b32_e32 v76, 0xff7fffff, v97, vcc_lo
	v_mul_f32_e32 v79, s19, v139
	v_cndmask_b32_e64 v80, 0xff7fffff, v80, s5
	v_cndmask_b32_e64 v99, 0xff7fffff, v99, s4
	v_cmp_gt_i32_e64 s7, s18, v87
	v_max3_f32 v76, v76, 0xff7fffff, v78
	v_dual_mul_f32 v78, s19, v138 :: v_dual_mul_f32 v97, s19, v140
	v_cmp_gt_i32_e64 s8, s18, v89
	s_delay_alu instid0(VALU_DEP_4) | instskip(NEXT) | instid1(VALU_DEP_4)
	v_cndmask_b32_e64 v79, 0xff7fffff, v79, s7
	v_max3_f32 v76, v76, v80, v99
	s_delay_alu instid0(VALU_DEP_4) | instskip(SKIP_3) | instid1(VALU_DEP_4)
	v_cndmask_b32_e64 v78, 0xff7fffff, v78, s6
	v_cmp_gt_i32_e64 s9, s18, v88
	v_dual_mul_f32 v88, s19, v111 :: v_dual_mul_f32 v89, s19, v110
	v_cndmask_b32_e64 v100, 0xff7fffff, v100, s8
	v_max3_f32 v76, v76, v78, v79
	s_delay_alu instid0(VALU_DEP_4) | instskip(SKIP_3) | instid1(VALU_DEP_4)
	v_cndmask_b32_e64 v97, 0xff7fffff, v97, s9
	v_cmp_gt_i32_e64 s10, s18, v90
	v_cmp_gt_i32_e64 s11, s18, v91
	v_dual_mul_f32 v78, s19, v113 :: v_dual_mul_f32 v79, s19, v112
	v_max3_f32 v76, v76, v97, v100
	s_delay_alu instid0(VALU_DEP_4) | instskip(NEXT) | instid1(VALU_DEP_4)
	v_cndmask_b32_e64 v89, 0xff7fffff, v89, s10
	v_cndmask_b32_e64 v88, 0xff7fffff, v88, s11
	v_cmp_gt_i32_e64 s12, s18, v92
	v_cmp_gt_i32_e64 s13, s18, v93
	v_mul_f32_e32 v87, s19, v115
	v_mul_f32_e32 v99, s19, v114
	v_max3_f32 v76, v76, v89, v88
	v_cndmask_b32_e64 v79, 0xff7fffff, v79, s12
	v_cndmask_b32_e64 v78, 0xff7fffff, v78, s13
	v_cmp_gt_i32_e64 s15, s18, v94
	v_cmp_gt_i32_e64 s16, s18, v95
	v_mul_f32_e32 v80, s19, v117
	v_cmp_gt_i32_e64 s17, s18, v96
	v_max3_f32 v76, v76, v79, v78
	v_cndmask_b32_e64 v88, 0xff7fffff, v99, s15
	v_cndmask_b32_e64 v87, 0xff7fffff, v87, s16
	v_cmp_gt_i32_e64 s18, s18, v98
	v_cndmask_b32_e64 v78, 0xff7fffff, v86, s17
	v_lshlrev_b32_e32 v99, 2, v77
	s_delay_alu instid0(VALU_DEP_4) | instskip(NEXT) | instid1(VALU_DEP_4)
	v_max3_f32 v76, v76, v88, v87
	v_cndmask_b32_e64 v79, 0xff7fffff, v80, s18
	s_delay_alu instid0(VALU_DEP_1) | instskip(SKIP_3) | instid1(VALU_DEP_1)
	v_max3_f32 v76, v76, v78, v79
	ds_bpermute_b32 v77, v99, v76
	s_waitcnt lgkmcnt(0)
	v_max_f32_e32 v77, v77, v77
	v_max_f32_e32 v76, v76, v77
	s_delay_alu instid0(VALU_DEP_1)
	v_fma_f32 v86, s19, v138, -v76
	v_fma_f32 v77, s19, v134, -v76
	;; [unrolled: 1-line block ×5, first 2 shown]
	v_mul_f32_e32 v86, 0x3fb8aa3b, v86
	v_fma_f32 v88, s19, v114, -v76
	s_delay_alu instid0(VALU_DEP_4) | instskip(NEXT) | instid1(VALU_DEP_4)
	v_dual_mul_f32 v78, 0x3fb8aa3b, v78 :: v_dual_mul_f32 v79, 0x3fb8aa3b, v79
	v_mul_f32_e32 v80, 0x3fb8aa3b, v80
	s_delay_alu instid0(VALU_DEP_4) | instskip(SKIP_1) | instid1(VALU_DEP_3)
	v_exp_f32_e32 v86, v86
	v_fma_f32 v87, s19, v140, -v76
	v_exp_f32_e32 v78, v78
	v_exp_f32_e32 v79, v79
	;; [unrolled: 1-line block ×3, first 2 shown]
	s_delay_alu instid0(VALU_DEP_1)
	v_dual_mul_f32 v88, 0x3fb8aa3b, v88 :: v_dual_mul_f32 v87, 0x3fb8aa3b, v87
	v_fma_f32 v100, s19, v117, -v76
	v_fma_f32 v90, s19, v116, -v76
	v_cndmask_b32_e64 v96, 0, v86, s6
	v_fma_f32 v86, s19, v111, -v76
	v_mul_f32_e32 v77, 0x3fb8aa3b, v77
	s_delay_alu instid0(TRANS32_DEP_3) | instskip(NEXT) | instid1(TRANS32_DEP_2)
	v_cndmask_b32_e64 v91, 0, v78, s3
	v_cndmask_b32_e64 v93, 0, v79, s5
	s_delay_alu instid0(TRANS32_DEP_1)
	v_cndmask_b32_e64 v95, 0, v80, s4
	v_mul_f32_e32 v86, 0x3fb8aa3b, v86
	v_exp_f32_e32 v77, v77
	v_fma_f32 v79, s19, v141, -v76
	v_fma_f32 v80, s19, v110, -v76
	v_exp_f32_e32 v87, v87
	v_exp_f32_e32 v86, v86
	s_delay_alu instid0(VALU_DEP_2) | instskip(NEXT) | instid1(VALU_DEP_2)
	v_dual_mul_f32 v100, 0x3fb8aa3b, v100 :: v_dual_mul_f32 v79, 0x3fb8aa3b, v79
	v_mul_f32_e32 v80, 0x3fb8aa3b, v80
	v_exp_f32_e32 v88, v88
	v_cmp_gt_u32_e64 s3, 16, v75
	v_cndmask_b32_e32 v92, 0, v77, vcc_lo
	v_fma_f32 v77, s19, v139, -v76
	v_exp_f32_e32 v79, v79
	v_exp_f32_e32 v80, v80
	v_cndmask_b32_e64 v94, 0, v87, s9
	s_delay_alu instid0(VALU_DEP_2) | instskip(SKIP_2) | instid1(VALU_DEP_2)
	v_dual_add_f32 v78, 0, v92 :: v_dual_mul_f32 v77, 0x3fb8aa3b, v77
	v_fma_f32 v87, s19, v113, -v76
	v_exp_f32_e32 v100, v100
	v_add_f32_e32 v78, v78, v91
	s_delay_alu instid0(VALU_DEP_3) | instskip(SKIP_1) | instid1(VALU_DEP_2)
	v_exp_f32_e32 v77, v77
	v_cndmask_b32_e64 v98, 0, v79, s8
	v_dual_mul_f32 v87, 0x3fb8aa3b, v87 :: v_dual_add_f32 v78, v78, v93
	s_delay_alu instid0(VALU_DEP_1) | instskip(NEXT) | instid1(VALU_DEP_1)
	v_exp_f32_e32 v87, v87
	v_add_f32_e32 v78, v78, v95
	s_waitcnt_depctr 0xfff
	v_cndmask_b32_e64 v97, 0, v77, s7
	v_add_f32_e32 v77, v78, v96
	v_fma_f32 v78, s19, v112, -v76
	s_delay_alu instid0(VALU_DEP_1) | instskip(NEXT) | instid1(VALU_DEP_1)
	v_mul_f32_e32 v78, 0x3fb8aa3b, v78
	v_exp_f32_e32 v89, v78
	v_cndmask_b32_e64 v78, 0, v86, s11
	v_add_f32_e32 v77, v77, v97
	s_delay_alu instid0(VALU_DEP_1) | instskip(SKIP_2) | instid1(VALU_DEP_1)
	v_add_f32_e32 v79, v77, v94
	v_cndmask_b32_e64 v77, 0, v80, s10
	v_fma_f32 v80, s19, v115, -v76
	v_dual_add_f32 v79, v79, v98 :: v_dual_mul_f32 v80, 0x3fb8aa3b, v80
	s_delay_alu instid0(VALU_DEP_1) | instskip(NEXT) | instid1(TRANS32_DEP_1)
	v_add_f32_e32 v86, v79, v77
	v_cndmask_b32_e64 v79, 0, v89, s12
	v_mul_f32_e32 v89, 0x3fb8aa3b, v90
	s_delay_alu instid0(VALU_DEP_4) | instskip(SKIP_2) | instid1(VALU_DEP_3)
	v_exp_f32_e32 v90, v80
	v_cndmask_b32_e64 v80, 0, v87, s13
	v_add_f32_e32 v86, v86, v78
	v_exp_f32_e32 v89, v89
	s_delay_alu instid0(VALU_DEP_1) | instskip(SKIP_1) | instid1(VALU_DEP_2)
	v_add_f32_e32 v87, v86, v79
	v_cndmask_b32_e64 v86, 0, v88, s15
	v_add_f32_e32 v88, v87, v80
	s_delay_alu instid0(TRANS32_DEP_2) | instskip(NEXT) | instid1(VALU_DEP_2)
	v_cndmask_b32_e64 v87, 0, v90, s16
	v_add_f32_e32 v90, v88, v86
	s_waitcnt_depctr 0xfff
	v_cndmask_b32_e64 v88, 0, v89, s17
	v_add_f32_e32 v89, v90, v87
	s_delay_alu instid0(VALU_DEP_1) | instskip(SKIP_1) | instid1(VALU_DEP_1)
	v_add_f32_e32 v90, v89, v88
	v_cndmask_b32_e64 v89, 0, v100, s18
	v_add_f32_e32 v90, v90, v89
	ds_bpermute_b32 v99, v99, v90
	s_and_saveexec_b32 s4, s3
	s_cbranch_execz .LBB522_14
; %bb.13:
	v_mul_u32_u24_e32 v75, 0x44, v74
	s_waitcnt lgkmcnt(0)
	v_add_f32_e32 v90, v90, v99
	s_delay_alu instid0(VALU_DEP_2) | instskip(NEXT) | instid1(VALU_DEP_1)
	v_lshl_add_u32 v75, v73, 2, v75
	v_add_nc_u32_e32 v75, 0x4000, v75
	ds_store_2addr_b32 v75, v76, v90 offset1:136
.LBB522_14:
	s_or_b32 exec_lo, exec_lo, s4
	v_lshlrev_b32_e32 v75, 2, v73
	s_waitcnt lgkmcnt(0)
	s_barrier
	buffer_gl0_inv
	v_cmp_eq_u32_e64 s4, 1, v74
	v_add_nc_u32_e32 v90, 0x4000, v75
	ds_load_2addr_b32 v[99:100], v90 offset1:17
	ds_load_2addr_b32 v[101:102], v90 offset0:34 offset1:51
	ds_load_2addr_b32 v[103:104], v90 offset0:68 offset1:85
	;; [unrolled: 1-line block ×4, first 2 shown]
	s_waitcnt lgkmcnt(4)
	v_max3_f32 v75, v99, 0xff7fffff, v100
	s_waitcnt lgkmcnt(3)
	s_delay_alu instid0(VALU_DEP_1) | instskip(SKIP_1) | instid1(VALU_DEP_1)
	v_max3_f32 v75, v75, v101, v102
	s_waitcnt lgkmcnt(2)
	v_max3_f32 v75, v75, v103, v104
	s_waitcnt lgkmcnt(1)
	s_delay_alu instid0(VALU_DEP_1) | instskip(NEXT) | instid1(VALU_DEP_1)
	v_max3_f32 v75, v75, v105, v106
	v_sub_f32_e32 v109, v100, v75
	v_sub_f32_e32 v76, v99, v75
	ds_load_2addr_b32 v[99:100], v90 offset0:170 offset1:187
	v_sub_f32_e32 v101, v101, v75
	v_dual_mul_f32 v109, 0x3fb8aa3b, v109 :: v_dual_mul_f32 v76, 0x3fb8aa3b, v76
	s_delay_alu instid0(VALU_DEP_2) | instskip(NEXT) | instid1(VALU_DEP_2)
	v_mul_f32_e32 v111, 0x3fb8aa3b, v101
	v_exp_f32_e32 v109, v109
	s_delay_alu instid0(VALU_DEP_2)
	v_exp_f32_e32 v110, v76
	v_sub_f32_e32 v76, v102, v75
	ds_load_2addr_b32 v[101:102], v90 offset0:204 offset1:221
	v_exp_f32_e32 v111, v111
	v_mul_f32_e32 v112, 0x3fb8aa3b, v76
	s_waitcnt lgkmcnt(2)
	v_fma_f32 v76, v110, v107, 0
	v_sub_f32_e32 v103, v103, v75
	s_delay_alu instid0(VALU_DEP_3) | instskip(NEXT) | instid1(VALU_DEP_2)
	v_exp_f32_e32 v112, v112
	v_dual_sub_f32 v107, v104, v75 :: v_dual_fmac_f32 v76, v109, v108
	s_waitcnt lgkmcnt(1)
	s_waitcnt_depctr 0xfff
	v_fmac_f32_e32 v76, v111, v99
	v_mul_f32_e32 v113, 0x3fb8aa3b, v103
	ds_load_2addr_b32 v[103:104], v90 offset0:238 offset1:255
	v_sub_f32_e32 v90, v105, v75
	v_dual_sub_f32 v99, v106, v75 :: v_dual_fmac_f32 v76, v112, v100
	v_mul_f32_e32 v105, 0x3fb8aa3b, v107
	v_exp_f32_e32 v107, v113
	s_delay_alu instid0(VALU_DEP_2)
	v_dual_mul_f32 v90, 0x3fb8aa3b, v90 :: v_dual_mul_f32 v99, 0x3fb8aa3b, v99
	s_waitcnt lgkmcnt(0)
	s_barrier
	buffer_gl0_inv
	v_exp_f32_e32 v90, v90
	v_exp_f32_e32 v99, v99
	v_fmac_f32_e32 v76, v107, v101
	v_exp_f32_e32 v105, v105
	s_waitcnt_depctr 0xfff
	v_fmac_f32_e32 v76, v105, v102
	s_delay_alu instid0(VALU_DEP_1) | instskip(NEXT) | instid1(VALU_DEP_1)
	v_fmac_f32_e32 v76, v90, v103
	v_fmac_f32_e32 v76, v99, v104
	s_delay_alu instid0(VALU_DEP_1) | instskip(NEXT) | instid1(VALU_DEP_1)
	v_add_f32_e32 v100, 0x358637bd, v76
	v_div_scale_f32 v101, null, v100, v100, 1.0
	v_div_scale_f32 v104, vcc_lo, 1.0, v100, 1.0
	s_delay_alu instid0(VALU_DEP_2) | instskip(SKIP_2) | instid1(VALU_DEP_1)
	v_rcp_f32_e32 v102, v101
	s_waitcnt_depctr 0xfff
	v_fma_f32 v103, -v101, v102, 1.0
	v_fmac_f32_e32 v102, v103, v102
	v_cndmask_b32_e64 v103, v110, v109, s4
	v_cmp_eq_u32_e64 s4, 2, v74
	s_delay_alu instid0(VALU_DEP_3) | instskip(NEXT) | instid1(VALU_DEP_2)
	v_mul_f32_e32 v106, v104, v102
	v_cndmask_b32_e64 v103, v103, v111, s4
	v_cmp_eq_u32_e64 s4, 3, v74
	s_delay_alu instid0(VALU_DEP_3) | instskip(NEXT) | instid1(VALU_DEP_2)
	v_fma_f32 v108, -v101, v106, v104
	v_cndmask_b32_e64 v103, v103, v112, s4
	v_cmp_eq_u32_e64 s4, 4, v74
	s_delay_alu instid0(VALU_DEP_3) | instskip(NEXT) | instid1(VALU_DEP_2)
	v_fmac_f32_e32 v106, v108, v102
	v_cndmask_b32_e64 v103, v103, v107, s4
	s_delay_alu instid0(VALU_DEP_2) | instskip(SKIP_1) | instid1(VALU_DEP_2)
	v_fma_f32 v101, -v101, v106, v104
	v_cmp_eq_u32_e64 s4, 5, v74
	v_div_fmas_f32 v101, v101, v102, v106
	s_delay_alu instid0(VALU_DEP_2) | instskip(SKIP_2) | instid1(VALU_DEP_3)
	v_cndmask_b32_e64 v103, v103, v105, s4
	v_cmp_eq_u32_e32 vcc_lo, 6, v74
	s_mov_b32 s4, exec_lo
	v_div_fixup_f32 v100, v101, v100, 1.0
	s_delay_alu instid0(VALU_DEP_3) | instskip(SKIP_1) | instid1(VALU_DEP_2)
	v_cndmask_b32_e32 v90, v103, v90, vcc_lo
	v_cmp_eq_u32_e32 vcc_lo, 7, v74
	v_cndmask_b32_e32 v90, v90, v99, vcc_lo
	s_delay_alu instid0(VALU_DEP_1) | instskip(NEXT) | instid1(VALU_DEP_1)
	v_mul_f32_e32 v90, v90, v100
	v_mul_f32_e32 v100, v90, v92
	;; [unrolled: 1-line block ×6, first 2 shown]
	v_and_b32_e32 v101, 0x7f800000, v100
	v_mul_f32_e32 v99, v90, v95
	v_mul_f32_e32 v95, v90, v91
	;; [unrolled: 1-line block ×3, first 2 shown]
                                        ; implicit-def: $vgpr91
	s_delay_alu instid0(VALU_DEP_4)
	v_cmpx_ne_u32_e32 0x7f800000, v101
	s_xor_b32 s4, exec_lo, s4
; %bb.15:
	v_bfe_u32 v91, v100, 16, 1
	s_delay_alu instid0(VALU_DEP_1)
	v_add3_u32 v91, v100, v91, 0x7fff
                                        ; implicit-def: $vgpr100
; %bb.16:
	s_and_not1_saveexec_b32 s4, s4
; %bb.17:
	v_and_b32_e32 v91, 0xffff, v100
	v_or_b32_e32 v93, 0x10000, v100
	s_delay_alu instid0(VALU_DEP_2) | instskip(NEXT) | instid1(VALU_DEP_2)
	v_cmp_eq_u32_e32 vcc_lo, 0, v91
	v_cndmask_b32_e32 v91, v93, v100, vcc_lo
; %bb.18:
	s_or_b32 exec_lo, exec_lo, s4
	v_and_b32_e32 v93, 0x7f800000, v95
	s_delay_alu instid0(VALU_DEP_1) | instskip(SKIP_1) | instid1(SALU_CYCLE_1)
	v_cmp_ne_u32_e32 vcc_lo, 0x7f800000, v93
                                        ; implicit-def: $vgpr93
	s_and_saveexec_b32 s4, vcc_lo
	s_xor_b32 s4, exec_lo, s4
; %bb.19:
	v_bfe_u32 v93, v95, 16, 1
	s_delay_alu instid0(VALU_DEP_1)
	v_add3_u32 v93, v95, v93, 0x7fff
                                        ; implicit-def: $vgpr95
; %bb.20:
	s_and_not1_saveexec_b32 s4, s4
; %bb.21:
	v_and_b32_e32 v93, 0xffff, v95
	v_or_b32_e32 v100, 0x10000, v95
	s_delay_alu instid0(VALU_DEP_2) | instskip(NEXT) | instid1(VALU_DEP_2)
	v_cmp_eq_u32_e32 vcc_lo, 0, v93
	v_cndmask_b32_e32 v93, v100, v95, vcc_lo
; %bb.22:
	s_or_b32 exec_lo, exec_lo, s4
	v_and_b32_e32 v95, 0x7f800000, v96
	s_delay_alu instid0(VALU_DEP_1) | instskip(SKIP_1) | instid1(SALU_CYCLE_1)
	v_cmp_ne_u32_e32 vcc_lo, 0x7f800000, v95
                                        ; implicit-def: $vgpr95
	s_and_saveexec_b32 s4, vcc_lo
	s_xor_b32 s4, exec_lo, s4
; %bb.23:
	v_bfe_u32 v95, v96, 16, 1
	s_delay_alu instid0(VALU_DEP_1)
	v_add3_u32 v95, v96, v95, 0x7fff
                                        ; implicit-def: $vgpr96
; %bb.24:
	s_and_not1_saveexec_b32 s4, s4
; %bb.25:
	v_and_b32_e32 v95, 0xffff, v96
	v_or_b32_e32 v100, 0x10000, v96
	s_delay_alu instid0(VALU_DEP_2) | instskip(NEXT) | instid1(VALU_DEP_2)
	v_cmp_eq_u32_e32 vcc_lo, 0, v95
	v_cndmask_b32_e32 v95, v100, v96, vcc_lo
; %bb.26:
	s_or_b32 exec_lo, exec_lo, s4
	v_and_b32_e32 v96, 0x7f800000, v99
	s_delay_alu instid0(VALU_DEP_1) | instskip(SKIP_1) | instid1(SALU_CYCLE_1)
	v_cmp_ne_u32_e32 vcc_lo, 0x7f800000, v96
                                        ; implicit-def: $vgpr96
	s_and_saveexec_b32 s4, vcc_lo
	s_xor_b32 s4, exec_lo, s4
; %bb.27:
	v_bfe_u32 v96, v99, 16, 1
	s_delay_alu instid0(VALU_DEP_1)
	v_add3_u32 v96, v99, v96, 0x7fff
                                        ; implicit-def: $vgpr99
; %bb.28:
	s_and_not1_saveexec_b32 s4, s4
; %bb.29:
	v_and_b32_e32 v96, 0xffff, v99
	v_or_b32_e32 v100, 0x10000, v99
	s_delay_alu instid0(VALU_DEP_2) | instskip(NEXT) | instid1(VALU_DEP_2)
	v_cmp_eq_u32_e32 vcc_lo, 0, v96
	v_cndmask_b32_e32 v96, v100, v99, vcc_lo
; %bb.30:
	s_or_b32 exec_lo, exec_lo, s4
	v_and_b32_e32 v99, 0x7f800000, v98
	s_delay_alu instid0(VALU_DEP_1) | instskip(SKIP_1) | instid1(SALU_CYCLE_1)
	v_cmp_ne_u32_e32 vcc_lo, 0x7f800000, v99
                                        ; implicit-def: $vgpr99
	s_and_saveexec_b32 s4, vcc_lo
	s_xor_b32 s4, exec_lo, s4
; %bb.31:
	v_bfe_u32 v99, v98, 16, 1
	s_delay_alu instid0(VALU_DEP_1)
	v_add3_u32 v99, v98, v99, 0x7fff
                                        ; implicit-def: $vgpr98
; %bb.32:
	s_and_not1_saveexec_b32 s4, s4
; %bb.33:
	v_and_b32_e32 v99, 0xffff, v98
	v_or_b32_e32 v100, 0x10000, v98
	s_delay_alu instid0(VALU_DEP_2) | instskip(NEXT) | instid1(VALU_DEP_2)
	v_cmp_eq_u32_e32 vcc_lo, 0, v99
	v_cndmask_b32_e32 v99, v100, v98, vcc_lo
; %bb.34:
	s_or_b32 exec_lo, exec_lo, s4
	v_and_b32_e32 v98, 0x7f800000, v97
	s_delay_alu instid0(VALU_DEP_1) | instskip(SKIP_1) | instid1(SALU_CYCLE_1)
	v_cmp_ne_u32_e32 vcc_lo, 0x7f800000, v98
                                        ; implicit-def: $vgpr98
	s_and_saveexec_b32 s4, vcc_lo
	s_xor_b32 s4, exec_lo, s4
; %bb.35:
	v_bfe_u32 v98, v97, 16, 1
	s_delay_alu instid0(VALU_DEP_1)
	v_add3_u32 v98, v97, v98, 0x7fff
                                        ; implicit-def: $vgpr97
; %bb.36:
	s_and_not1_saveexec_b32 s4, s4
; %bb.37:
	v_and_b32_e32 v98, 0xffff, v97
	v_or_b32_e32 v100, 0x10000, v97
	s_delay_alu instid0(VALU_DEP_2) | instskip(NEXT) | instid1(VALU_DEP_2)
	v_cmp_eq_u32_e32 vcc_lo, 0, v98
	v_cndmask_b32_e32 v98, v100, v97, vcc_lo
; %bb.38:
	s_or_b32 exec_lo, exec_lo, s4
	v_and_b32_e32 v97, 0x7f800000, v94
	s_delay_alu instid0(VALU_DEP_1) | instskip(SKIP_1) | instid1(SALU_CYCLE_1)
	v_cmp_ne_u32_e32 vcc_lo, 0x7f800000, v97
                                        ; implicit-def: $vgpr97
	s_and_saveexec_b32 s4, vcc_lo
	s_xor_b32 s4, exec_lo, s4
; %bb.39:
	v_bfe_u32 v97, v94, 16, 1
	s_delay_alu instid0(VALU_DEP_1)
	v_add3_u32 v97, v94, v97, 0x7fff
                                        ; implicit-def: $vgpr94
; %bb.40:
	s_and_not1_saveexec_b32 s4, s4
; %bb.41:
	v_and_b32_e32 v97, 0xffff, v94
	v_or_b32_e32 v100, 0x10000, v94
	s_delay_alu instid0(VALU_DEP_2) | instskip(NEXT) | instid1(VALU_DEP_2)
	v_cmp_eq_u32_e32 vcc_lo, 0, v97
	v_cndmask_b32_e32 v97, v100, v94, vcc_lo
; %bb.42:
	s_or_b32 exec_lo, exec_lo, s4
	v_and_b32_e32 v94, 0x7f800000, v92
	s_delay_alu instid0(VALU_DEP_1) | instskip(SKIP_1) | instid1(SALU_CYCLE_1)
	v_cmp_ne_u32_e32 vcc_lo, 0x7f800000, v94
                                        ; implicit-def: $vgpr94
	s_and_saveexec_b32 s4, vcc_lo
	s_xor_b32 s4, exec_lo, s4
; %bb.43:
	v_bfe_u32 v94, v92, 16, 1
	s_delay_alu instid0(VALU_DEP_1)
	v_add3_u32 v94, v92, v94, 0x7fff
                                        ; implicit-def: $vgpr92
; %bb.44:
	s_and_not1_saveexec_b32 s4, s4
; %bb.45:
	v_and_b32_e32 v94, 0xffff, v92
	v_or_b32_e32 v100, 0x10000, v92
	s_delay_alu instid0(VALU_DEP_2) | instskip(NEXT) | instid1(VALU_DEP_2)
	v_cmp_eq_u32_e32 vcc_lo, 0, v94
	v_cndmask_b32_e32 v94, v100, v92, vcc_lo
; %bb.46:
	s_or_b32 exec_lo, exec_lo, s4
	s_load_b64 s[36:37], s[0:1], 0x94
	v_lshlrev_b32_e32 v92, 4, v83
	s_delay_alu instid0(VALU_DEP_2)
	v_perm_b32 v100, v94, v97, 0x7060302
	v_dual_mul_f32 v89, v90, v89 :: v_dual_lshlrev_b32 v94, 11, v74
	v_perm_b32 v97, v93, v91, 0x7060302
	v_mul_f32_e32 v93, v90, v77
	v_perm_b32 v99, v98, v99, 0x7060302
	v_perm_b32 v98, v96, v95, 0x7060302
	v_or3_b32 v77, v92, v94, v85
	v_mul_f32_e32 v88, v90, v88
	v_dual_mul_f32 v87, v90, v87 :: v_dual_and_b32 v94, 0x7f800000, v93
	v_mul_f32_e32 v86, v90, v86
	v_mul_f32_e32 v91, v90, v80
	;; [unrolled: 1-line block ×4, first 2 shown]
	s_mov_b32 s4, exec_lo
	ds_store_b128 v77, v[97:100]
                                        ; implicit-def: $vgpr78
	v_cmpx_ne_u32_e32 0x7f800000, v94
	s_xor_b32 s4, exec_lo, s4
; %bb.47:
	v_bfe_u32 v78, v93, 16, 1
	s_delay_alu instid0(VALU_DEP_1)
	v_add3_u32 v78, v93, v78, 0x7fff
                                        ; implicit-def: $vgpr93
; %bb.48:
	s_and_not1_saveexec_b32 s4, s4
; %bb.49:
	v_and_b32_e32 v78, 0xffff, v93
	v_or_b32_e32 v79, 0x10000, v93
	s_delay_alu instid0(VALU_DEP_2) | instskip(NEXT) | instid1(VALU_DEP_2)
	v_cmp_eq_u32_e32 vcc_lo, 0, v78
	v_cndmask_b32_e32 v78, v79, v93, vcc_lo
; %bb.50:
	s_or_b32 exec_lo, exec_lo, s4
	v_and_b32_e32 v79, 0x7f800000, v80
	s_delay_alu instid0(VALU_DEP_1) | instskip(SKIP_1) | instid1(SALU_CYCLE_1)
	v_cmp_ne_u32_e32 vcc_lo, 0x7f800000, v79
                                        ; implicit-def: $vgpr79
	s_and_saveexec_b32 s4, vcc_lo
	s_xor_b32 s4, exec_lo, s4
; %bb.51:
	v_bfe_u32 v79, v80, 16, 1
	s_delay_alu instid0(VALU_DEP_1)
	v_add3_u32 v79, v80, v79, 0x7fff
                                        ; implicit-def: $vgpr80
; %bb.52:
	s_and_not1_saveexec_b32 s4, s4
; %bb.53:
	v_and_b32_e32 v79, 0xffff, v80
	v_or_b32_e32 v90, 0x10000, v80
	s_delay_alu instid0(VALU_DEP_2) | instskip(NEXT) | instid1(VALU_DEP_2)
	v_cmp_eq_u32_e32 vcc_lo, 0, v79
	v_cndmask_b32_e32 v79, v90, v80, vcc_lo
; %bb.54:
	s_or_b32 exec_lo, exec_lo, s4
	v_and_b32_e32 v80, 0x7f800000, v92
	s_delay_alu instid0(VALU_DEP_1) | instskip(SKIP_1) | instid1(SALU_CYCLE_1)
	v_cmp_ne_u32_e32 vcc_lo, 0x7f800000, v80
                                        ; implicit-def: $vgpr80
	s_and_saveexec_b32 s4, vcc_lo
	s_xor_b32 s4, exec_lo, s4
; %bb.55:
	v_bfe_u32 v80, v92, 16, 1
	s_delay_alu instid0(VALU_DEP_1)
	v_add3_u32 v80, v92, v80, 0x7fff
                                        ; implicit-def: $vgpr92
; %bb.56:
	s_and_not1_saveexec_b32 s4, s4
; %bb.57:
	v_and_b32_e32 v80, 0xffff, v92
	v_or_b32_e32 v90, 0x10000, v92
	s_delay_alu instid0(VALU_DEP_2) | instskip(NEXT) | instid1(VALU_DEP_2)
	v_cmp_eq_u32_e32 vcc_lo, 0, v80
	v_cndmask_b32_e32 v80, v90, v92, vcc_lo
; %bb.58:
	s_or_b32 exec_lo, exec_lo, s4
	v_and_b32_e32 v90, 0x7f800000, v91
	s_delay_alu instid0(VALU_DEP_1) | instskip(SKIP_1) | instid1(SALU_CYCLE_1)
	v_cmp_ne_u32_e32 vcc_lo, 0x7f800000, v90
                                        ; implicit-def: $vgpr90
	s_and_saveexec_b32 s4, vcc_lo
	s_xor_b32 s4, exec_lo, s4
; %bb.59:
	v_bfe_u32 v90, v91, 16, 1
	s_delay_alu instid0(VALU_DEP_1)
	v_add3_u32 v90, v91, v90, 0x7fff
                                        ; implicit-def: $vgpr91
; %bb.60:
	s_and_not1_saveexec_b32 s4, s4
; %bb.61:
	v_and_b32_e32 v90, 0xffff, v91
	v_or_b32_e32 v92, 0x10000, v91
	s_delay_alu instid0(VALU_DEP_2) | instskip(NEXT) | instid1(VALU_DEP_2)
	v_cmp_eq_u32_e32 vcc_lo, 0, v90
	v_cndmask_b32_e32 v90, v92, v91, vcc_lo
; %bb.62:
	s_or_b32 exec_lo, exec_lo, s4
	v_and_b32_e32 v91, 0x7f800000, v86
	s_delay_alu instid0(VALU_DEP_1) | instskip(SKIP_1) | instid1(SALU_CYCLE_1)
	v_cmp_ne_u32_e32 vcc_lo, 0x7f800000, v91
                                        ; implicit-def: $vgpr91
	s_and_saveexec_b32 s4, vcc_lo
	s_xor_b32 s4, exec_lo, s4
; %bb.63:
	v_bfe_u32 v91, v86, 16, 1
	s_delay_alu instid0(VALU_DEP_1)
	v_add3_u32 v91, v86, v91, 0x7fff
                                        ; implicit-def: $vgpr86
; %bb.64:
	s_and_not1_saveexec_b32 s4, s4
; %bb.65:
	v_and_b32_e32 v91, 0xffff, v86
	v_or_b32_e32 v92, 0x10000, v86
	s_delay_alu instid0(VALU_DEP_2) | instskip(NEXT) | instid1(VALU_DEP_2)
	v_cmp_eq_u32_e32 vcc_lo, 0, v91
	v_cndmask_b32_e32 v91, v92, v86, vcc_lo
; %bb.66:
	s_or_b32 exec_lo, exec_lo, s4
	v_and_b32_e32 v86, 0x7f800000, v87
	s_delay_alu instid0(VALU_DEP_1) | instskip(SKIP_1) | instid1(SALU_CYCLE_1)
	v_cmp_ne_u32_e32 vcc_lo, 0x7f800000, v86
                                        ; implicit-def: $vgpr86
	s_and_saveexec_b32 s4, vcc_lo
	s_xor_b32 s4, exec_lo, s4
; %bb.67:
	v_bfe_u32 v86, v87, 16, 1
	s_delay_alu instid0(VALU_DEP_1)
	v_add3_u32 v86, v87, v86, 0x7fff
                                        ; implicit-def: $vgpr87
; %bb.68:
	s_and_not1_saveexec_b32 s4, s4
; %bb.69:
	v_and_b32_e32 v86, 0xffff, v87
	v_or_b32_e32 v92, 0x10000, v87
	s_delay_alu instid0(VALU_DEP_2) | instskip(NEXT) | instid1(VALU_DEP_2)
	v_cmp_eq_u32_e32 vcc_lo, 0, v86
	v_cndmask_b32_e32 v86, v92, v87, vcc_lo
; %bb.70:
	s_or_b32 exec_lo, exec_lo, s4
	v_and_b32_e32 v87, 0x7f800000, v88
	s_delay_alu instid0(VALU_DEP_1) | instskip(SKIP_1) | instid1(SALU_CYCLE_1)
	v_cmp_ne_u32_e32 vcc_lo, 0x7f800000, v87
                                        ; implicit-def: $vgpr87
	s_and_saveexec_b32 s4, vcc_lo
	s_xor_b32 s4, exec_lo, s4
; %bb.71:
	v_bfe_u32 v87, v88, 16, 1
	s_delay_alu instid0(VALU_DEP_1)
	v_add3_u32 v87, v88, v87, 0x7fff
                                        ; implicit-def: $vgpr88
; %bb.72:
	s_and_not1_saveexec_b32 s4, s4
; %bb.73:
	v_and_b32_e32 v87, 0xffff, v88
	v_or_b32_e32 v92, 0x10000, v88
	s_delay_alu instid0(VALU_DEP_2) | instskip(NEXT) | instid1(VALU_DEP_2)
	v_cmp_eq_u32_e32 vcc_lo, 0, v87
	v_cndmask_b32_e32 v87, v92, v88, vcc_lo
; %bb.74:
	s_or_b32 exec_lo, exec_lo, s4
	v_and_b32_e32 v88, 0x7f800000, v89
	s_delay_alu instid0(VALU_DEP_1) | instskip(SKIP_1) | instid1(SALU_CYCLE_1)
	v_cmp_ne_u32_e32 vcc_lo, 0x7f800000, v88
                                        ; implicit-def: $vgpr88
	s_and_saveexec_b32 s4, vcc_lo
	s_xor_b32 s4, exec_lo, s4
; %bb.75:
	v_bfe_u32 v88, v89, 16, 1
	s_delay_alu instid0(VALU_DEP_1)
	v_add3_u32 v88, v89, v88, 0x7fff
                                        ; implicit-def: $vgpr89
; %bb.76:
	s_and_not1_saveexec_b32 s4, s4
; %bb.77:
	v_and_b32_e32 v88, 0xffff, v89
	v_or_b32_e32 v92, 0x10000, v89
	s_delay_alu instid0(VALU_DEP_2) | instskip(NEXT) | instid1(VALU_DEP_2)
	v_cmp_eq_u32_e32 vcc_lo, 0, v88
	v_cndmask_b32_e32 v88, v92, v89, vcc_lo
; %bb.78:
	s_or_b32 exec_lo, exec_lo, s4
	s_delay_alu instid0(VALU_DEP_1)
	v_perm_b32 v89, v88, v87, 0x7060302
	v_perm_b32 v88, v86, v91, 0x7060302
	;; [unrolled: 1-line block ×4, first 2 shown]
	v_lshl_or_b32 v90, v74, 11, v85
	ds_store_b128 v77, v[86:89] offset:1024
	s_waitcnt lgkmcnt(0)
	s_barrier
	buffer_gl0_inv
	ds_load_b128 v[91:94], v90
	ds_load_b128 v[95:98], v90 offset:16
	v_lshlrev_b32_e32 v87, 2, v83
	s_delay_alu instid0(VALU_DEP_1)
	v_or_b32_e32 v88, 1, v87
	v_cmp_eq_u32_e32 vcc_lo, 1, v87
	v_cmp_eq_u32_e64 s5, 2, v87
	v_cmp_eq_u32_e64 s8, 3, v87
	;; [unrolled: 1-line block ×6, first 2 shown]
	v_or_b32_e32 v86, 2, v87
	v_cmp_eq_u32_e64 s11, 5, v87
	v_cmp_eq_u32_e64 s12, 4, v88
	;; [unrolled: 1-line block ×4, first 2 shown]
	s_waitcnt lgkmcnt(1)
	v_lshrrev_b32_e32 v74, 16, v91
	s_waitcnt lgkmcnt(0)
	v_lshrrev_b32_e32 v103, 16, v95
	v_lshrrev_b32_e32 v80, 16, v94
	;; [unrolled: 1-line block ×4, first 2 shown]
	v_cndmask_b32_e32 v89, v91, v74, vcc_lo
	v_cndmask_b32_e32 v99, v95, v103, vcc_lo
	v_cndmask_b32_e64 v100, v91, v74, s4
	v_lshrrev_b32_e32 v79, 16, v93
	v_lshrrev_b32_e32 v108, 16, v97
	v_cndmask_b32_e64 v89, v89, v92, s5
	v_cndmask_b32_e64 v99, v99, v96, s5
	;; [unrolled: 1-line block ×4, first 2 shown]
	v_cmp_eq_u32_e64 s6, 1, v86
	v_cndmask_b32_e64 v89, v89, v78, s8
	v_cndmask_b32_e64 v99, v99, v107, s8
	;; [unrolled: 1-line block ×4, first 2 shown]
	v_lshrrev_b32_e32 v109, 16, v98
	v_cndmask_b32_e64 v89, v89, v93, s10
	v_cndmask_b32_e64 v99, v99, v97, s10
	;; [unrolled: 1-line block ×8, first 2 shown]
	v_cmp_eq_u32_e64 s16, 7, v87
	v_cmp_eq_u32_e64 s17, 6, v88
	v_cndmask_b32_e64 v89, v89, v94, s13
	v_cndmask_b32_e64 v99, v99, v98, s13
	v_cmp_eq_u32_e64 s18, 2, v86
	v_cndmask_b32_e64 v101, v101, v97, s12
	v_cndmask_b32_e64 v100, v100, v94, s17
	;; [unrolled: 1-line block ×6, first 2 shown]
	v_cmp_eq_u32_e64 s19, 7, v88
	v_cmp_eq_u32_e64 s20, 3, v86
	v_cmp_eq_u32_e64 s21, 4, v86
	v_cmp_eq_u32_e64 s23, 5, v86
	v_cndmask_b32_e64 v99, v99, v96, s18
	v_cndmask_b32_e64 v112, v100, v80, s19
	;; [unrolled: 1-line block ×4, first 2 shown]
	v_or_b32_e32 v89, 3, v87
	v_cndmask_b32_e64 v105, v99, v107, s20
	v_cmp_eq_u32_e64 s25, 6, v86
	v_cndmask_b32_e64 v113, v100, v98, s17
	v_cndmask_b32_e64 v104, v101, v93, s21
	ds_load_b128 v[99:102], v90 offset:1024
	v_cmp_eq_u32_e64 s22, 1, v89
	v_cmp_eq_u32_e64 s24, 2, v89
	;; [unrolled: 1-line block ×3, first 2 shown]
	v_cndmask_b32_e64 v114, v104, v79, s23
	v_cmp_eq_u32_e64 s27, 4, v89
	v_cndmask_b32_e64 v74, v91, v74, s22
	v_cndmask_b32_e64 v91, v105, v97, s21
	;; [unrolled: 1-line block ×3, first 2 shown]
	ds_load_b128 v[103:106], v90 offset:1040
	v_cmp_eq_u32_e64 s29, 5, v89
	v_cndmask_b32_e64 v74, v74, v92, s24
	v_cndmask_b32_e64 v91, v91, v108, s23
	;; [unrolled: 1-line block ×3, first 2 shown]
	v_cmp_eq_u32_e64 s30, 6, v89
	v_cndmask_b32_e64 v95, v113, v109, s19
	v_cndmask_b32_e64 v74, v74, v78, s26
	;; [unrolled: 1-line block ×5, first 2 shown]
	s_waitcnt lgkmcnt(1)
	v_lshrrev_b32_e32 v96, 16, v99
	v_cndmask_b32_e64 v74, v74, v93, s27
	v_lshrrev_b32_e32 v107, 16, v100
	v_cndmask_b32_e64 v92, v92, v97, s27
	v_cmp_eq_u32_e64 s28, 7, v86
	v_cndmask_b32_e32 v93, v99, v96, vcc_lo
	v_cndmask_b32_e64 v74, v74, v79, s29
	s_delay_alu instid0(VALU_DEP_4)
	v_cndmask_b32_e64 v79, v92, v108, s29
	s_waitcnt lgkmcnt(0)
	v_lshrrev_b32_e32 v97, 16, v103
	v_cndmask_b32_e64 v92, v93, v100, s5
	v_cndmask_b32_e64 v93, v99, v96, s4
	;; [unrolled: 1-line block ×4, first 2 shown]
	v_cndmask_b32_e32 v108, v103, v97, vcc_lo
	v_cndmask_b32_e64 v92, v92, v107, s8
	v_cndmask_b32_e64 v93, v93, v100, s7
	v_lshrrev_b32_e32 v98, 16, v104
	v_cmp_eq_u32_e32 vcc_lo, 7, v89
	v_cndmask_b32_e64 v94, v108, v104, s5
	v_cndmask_b32_e64 v92, v92, v101, s10
	v_lshrrev_b32_e32 v108, 16, v101
	v_cndmask_b32_e64 v93, v93, v107, s9
	v_cndmask_b32_e32 v74, v74, v80, vcc_lo
	v_cndmask_b32_e64 v94, v94, v98, s8
	v_cndmask_b32_e32 v79, v79, v109, vcc_lo
	v_cndmask_b32_e64 v92, v92, v108, s11
	v_cndmask_b32_e64 v78, v78, v80, s28
	;; [unrolled: 1-line block ×4, first 2 shown]
	v_perm_b32 v94, v79, v74, 0x5040100
	v_cndmask_b32_e64 v79, v92, v102, s13
	v_perm_b32 v92, v95, v112, 0x5040100
	v_cndmask_b32_e64 v95, v99, v96, s6
	v_cndmask_b32_e64 v96, v99, v96, s22
	;; [unrolled: 1-line block ×16, first 2 shown]
	v_lshrrev_b32_e32 v109, 16, v105
	v_cndmask_b32_e64 v95, v95, v101, s21
	v_cndmask_b32_e64 v96, v96, v101, s27
	;; [unrolled: 1-line block ×6, first 2 shown]
	v_lshrrev_b32_e32 v80, 16, v102
	v_cndmask_b32_e64 v113, v93, v109, s11
	v_cndmask_b32_e64 v95, v95, v108, s23
	;; [unrolled: 1-line block ×6, first 2 shown]
	v_perm_b32 v93, v91, v78, 0x5040100
	v_cndmask_b32_e64 v74, v74, v102, s17
	v_cndmask_b32_e64 v78, v79, v80, s16
	;; [unrolled: 1-line block ×3, first 2 shown]
	v_lshrrev_b32_e32 v91, 16, v106
	v_cndmask_b32_e64 v95, v95, v102, s25
	v_cndmask_b32_e64 v96, v96, v102, s30
	;; [unrolled: 1-line block ×7, first 2 shown]
	v_cndmask_b32_e32 v80, v96, v80, vcc_lo
	v_cndmask_b32_e32 v96, v98, v91, vcc_lo
	v_cndmask_b32_e64 v99, v99, v91, s28
	v_cndmask_b32_e64 v100, v97, v91, s19
	;; [unrolled: 1-line block ×3, first 2 shown]
	v_perm_b32 v91, v111, v110, 0x5040100
	v_perm_b32 v98, v96, v80, 0x5040100
	;; [unrolled: 1-line block ×5, first 2 shown]
	s_mul_i32 s9, s37, 5
	s_mov_b32 s4, exec_lo
	ds_store_b128 v77, v[91:94]
	ds_store_b128 v77, v[95:98] offset:1024
	v_cmpx_gt_u32_e32 5, v0
	s_cbranch_execz .LBB522_80
; %bb.79:
	s_mul_i32 s5, s9, s34
	s_load_b128 s[16:19], s[0:1], 0x58
	v_add3_u32 v77, s5, s31, v73
	s_delay_alu instid0(VALU_DEP_1) | instskip(NEXT) | instid1(VALU_DEP_1)
	v_mad_u64_u32 v[73:74], null, v77, s36, s[14:15]
	v_ashrrev_i32_e32 v74, 31, v73
	s_delay_alu instid0(VALU_DEP_1) | instskip(SKIP_1) | instid1(VALU_DEP_1)
	v_lshlrev_b64 v[73:74], 2, v[73:74]
	s_waitcnt lgkmcnt(0)
	v_add_co_u32 v77, vcc_lo, s18, v73
	s_delay_alu instid0(VALU_DEP_2)
	v_add_co_ci_u32_e32 v78, vcc_lo, s19, v74, vcc_lo
	v_add_co_u32 v73, vcc_lo, s16, v73
	v_add_co_ci_u32_e32 v74, vcc_lo, s17, v74, vcc_lo
	global_store_b32 v[77:78], v75, off
	global_store_b32 v[73:74], v76, off
.LBB522_80:
	s_or_b32 exec_lo, exec_lo, s4
	s_waitcnt lgkmcnt(0)
	s_waitcnt_vscnt null, 0x0
	s_barrier
	buffer_gl0_inv
	ds_load_b128 v[91:94], v85
	ds_load_b128 v[95:98], v85 offset:16
	ds_load_b128 v[103:106], v85 offset:1040
	;; [unrolled: 1-line block ×3, first 2 shown]
	v_mov_b32_e32 v73, 0
	ds_load_b128 v[111:114], v85 offset:2064
	ds_load_b128 v[107:110], v85 offset:2048
	;; [unrolled: 1-line block ×6, first 2 shown]
	v_mov_b32_e32 v74, v73
	v_mov_b32_e32 v75, v73
	;; [unrolled: 1-line block ×7, first 2 shown]
	s_waitcnt lgkmcnt(8)
	s_delay_alu instid0(VALU_DEP_1)
	v_wmma_f32_16x16x16_bf16 v[73:80], v[65:72], v[91:98], v[73:80]
	ds_load_b128 v[69:72], v85 offset:5136
	ds_load_b128 v[65:68], v85 offset:5120
	;; [unrolled: 1-line block ×4, first 2 shown]
	s_waitcnt lgkmcnt(10)
	v_wmma_f32_16x16x16_bf16 v[73:80], v[57:64], v[99:106], v[73:80]
	s_waitcnt lgkmcnt(8)
	s_delay_alu instid0(VALU_DEP_1)
	v_wmma_f32_16x16x16_bf16 v[73:80], v[57:64], v[107:114], v[73:80]
	ds_load_b128 v[61:64], v85 offset:7184
	ds_load_b128 v[57:60], v85 offset:7168
	;; [unrolled: 1-line block ×4, first 2 shown]
	s_waitcnt lgkmcnt(10)
	v_wmma_f32_16x16x16_bf16 v[73:80], v[49:56], v[115:122], v[73:80]
	s_waitcnt lgkmcnt(8)
	s_delay_alu instid0(VALU_DEP_1)
	v_wmma_f32_16x16x16_bf16 v[73:80], v[49:56], v[123:130], v[73:80]
	ds_load_b128 v[53:56], v85 offset:9232
	ds_load_b128 v[49:52], v85 offset:9216
	s_waitcnt lgkmcnt(8)
	v_wmma_f32_16x16x16_bf16 v[73:80], v[41:48], v[65:72], v[73:80]
	ds_load_b128 v[69:72], v85 offset:10256
	ds_load_b128 v[65:68], v85 offset:10240
	s_waitcnt lgkmcnt(8)
	;; [unrolled: 4-line block ×3, first 2 shown]
	v_wmma_f32_16x16x16_bf16 v[73:80], v[9:16], v[57:64], v[73:80]
	s_waitcnt lgkmcnt(6)
	s_delay_alu instid0(VALU_DEP_1)
	v_wmma_f32_16x16x16_bf16 v[73:80], v[9:16], v[99:106], v[73:80]
	ds_load_b128 v[13:16], v85 offset:12304
	ds_load_b128 v[9:12], v85 offset:12288
	s_waitcnt lgkmcnt(6)
	v_wmma_f32_16x16x16_bf16 v[73:80], v[1:8], v[49:56], v[73:80]
	ds_load_b128 v[53:56], v85 offset:13328
	ds_load_b128 v[49:52], v85 offset:13312
	s_waitcnt lgkmcnt(6)
	v_wmma_f32_16x16x16_bf16 v[73:80], v[1:8], v[65:72], v[73:80]
	ds_load_b128 v[5:8], v85 offset:14352
	ds_load_b128 v[1:4], v85 offset:14336
	s_waitcnt lgkmcnt(6)
	v_wmma_f32_16x16x16_bf16 v[73:80], v[33:40], v[41:48], v[73:80]
	ds_load_b128 v[45:48], v85 offset:15376
	ds_load_b128 v[41:44], v85 offset:15360
	s_waitcnt lgkmcnt(6)
	v_wmma_f32_16x16x16_bf16 v[73:80], v[33:40], v[9:16], v[73:80]
	s_waitcnt lgkmcnt(4)
	s_delay_alu instid0(VALU_DEP_1) | instskip(SKIP_1) | instid1(VALU_DEP_1)
	v_wmma_f32_16x16x16_bf16 v[73:80], v[25:32], v[49:56], v[73:80]
	s_waitcnt lgkmcnt(2)
	v_wmma_f32_16x16x16_bf16 v[73:80], v[25:32], v[1:8], v[73:80]
	s_waitcnt lgkmcnt(0)
	s_delay_alu instid0(VALU_DEP_1) | instskip(NEXT) | instid1(VALU_DEP_1)
	v_wmma_f32_16x16x16_bf16 v[73:80], v[17:24], v[41:48], v[73:80]
	v_and_b32_e32 v1, 0x7f800000, v73
	s_delay_alu instid0(VALU_DEP_1) | instskip(SKIP_1) | instid1(SALU_CYCLE_1)
	v_cmp_ne_u32_e32 vcc_lo, 0x7f800000, v1
                                        ; implicit-def: $vgpr1
	s_and_saveexec_b32 s4, vcc_lo
	s_xor_b32 s4, exec_lo, s4
; %bb.81:
	v_bfe_u32 v1, v73, 16, 1
	s_delay_alu instid0(VALU_DEP_1)
	v_add3_u32 v1, v73, v1, 0x7fff
; %bb.82:
	s_and_not1_saveexec_b32 s4, s4
; %bb.83:
	v_and_b32_e32 v1, 0xffff, v73
	v_or_b32_e32 v2, 0x10000, v73
	s_delay_alu instid0(VALU_DEP_2) | instskip(NEXT) | instid1(VALU_DEP_2)
	v_cmp_eq_u32_e32 vcc_lo, 0, v1
	v_cndmask_b32_e32 v1, v2, v73, vcc_lo
; %bb.84:
	s_or_b32 exec_lo, exec_lo, s4
	v_and_b32_e32 v2, 0x7f800000, v74
	s_delay_alu instid0(VALU_DEP_1) | instskip(SKIP_1) | instid1(SALU_CYCLE_1)
	v_cmp_ne_u32_e32 vcc_lo, 0x7f800000, v2
                                        ; implicit-def: $vgpr2
	s_and_saveexec_b32 s4, vcc_lo
	s_xor_b32 s4, exec_lo, s4
; %bb.85:
	v_bfe_u32 v2, v74, 16, 1
	s_delay_alu instid0(VALU_DEP_1)
	v_add3_u32 v2, v74, v2, 0x7fff
; %bb.86:
	s_and_not1_saveexec_b32 s4, s4
; %bb.87:
	v_and_b32_e32 v2, 0xffff, v74
	v_or_b32_e32 v3, 0x10000, v74
	s_delay_alu instid0(VALU_DEP_2) | instskip(NEXT) | instid1(VALU_DEP_2)
	v_cmp_eq_u32_e32 vcc_lo, 0, v2
	v_cndmask_b32_e32 v2, v3, v74, vcc_lo
; %bb.88:
	s_or_b32 exec_lo, exec_lo, s4
	v_and_b32_e32 v3, 0x7f800000, v75
	s_delay_alu instid0(VALU_DEP_1) | instskip(SKIP_1) | instid1(SALU_CYCLE_1)
	v_cmp_ne_u32_e32 vcc_lo, 0x7f800000, v3
                                        ; implicit-def: $vgpr3
	s_and_saveexec_b32 s4, vcc_lo
	s_xor_b32 s4, exec_lo, s4
; %bb.89:
	v_bfe_u32 v3, v75, 16, 1
	s_delay_alu instid0(VALU_DEP_1)
	v_add3_u32 v3, v75, v3, 0x7fff
; %bb.90:
	s_and_not1_saveexec_b32 s4, s4
; %bb.91:
	v_and_b32_e32 v3, 0xffff, v75
	v_or_b32_e32 v4, 0x10000, v75
	s_delay_alu instid0(VALU_DEP_2) | instskip(NEXT) | instid1(VALU_DEP_2)
	v_cmp_eq_u32_e32 vcc_lo, 0, v3
	v_cndmask_b32_e32 v3, v4, v75, vcc_lo
; %bb.92:
	s_or_b32 exec_lo, exec_lo, s4
	v_and_b32_e32 v4, 0x7f800000, v76
	s_delay_alu instid0(VALU_DEP_1) | instskip(SKIP_1) | instid1(SALU_CYCLE_1)
	v_cmp_ne_u32_e32 vcc_lo, 0x7f800000, v4
                                        ; implicit-def: $vgpr4
	s_and_saveexec_b32 s4, vcc_lo
	s_xor_b32 s4, exec_lo, s4
; %bb.93:
	v_bfe_u32 v4, v76, 16, 1
	s_delay_alu instid0(VALU_DEP_1)
	v_add3_u32 v4, v76, v4, 0x7fff
; %bb.94:
	s_and_not1_saveexec_b32 s4, s4
; %bb.95:
	v_and_b32_e32 v4, 0xffff, v76
	v_or_b32_e32 v5, 0x10000, v76
	s_delay_alu instid0(VALU_DEP_2) | instskip(NEXT) | instid1(VALU_DEP_2)
	v_cmp_eq_u32_e32 vcc_lo, 0, v4
	v_cndmask_b32_e32 v4, v5, v76, vcc_lo
; %bb.96:
	s_or_b32 exec_lo, exec_lo, s4
	v_and_b32_e32 v5, 0x7f800000, v77
	s_delay_alu instid0(VALU_DEP_1) | instskip(SKIP_1) | instid1(SALU_CYCLE_1)
	v_cmp_ne_u32_e32 vcc_lo, 0x7f800000, v5
                                        ; implicit-def: $vgpr5
	s_and_saveexec_b32 s4, vcc_lo
	s_xor_b32 s4, exec_lo, s4
; %bb.97:
	v_bfe_u32 v5, v77, 16, 1
	s_delay_alu instid0(VALU_DEP_1)
	v_add3_u32 v5, v77, v5, 0x7fff
; %bb.98:
	s_and_not1_saveexec_b32 s4, s4
; %bb.99:
	v_and_b32_e32 v5, 0xffff, v77
	v_or_b32_e32 v6, 0x10000, v77
	s_delay_alu instid0(VALU_DEP_2) | instskip(NEXT) | instid1(VALU_DEP_2)
	v_cmp_eq_u32_e32 vcc_lo, 0, v5
	v_cndmask_b32_e32 v5, v6, v77, vcc_lo
; %bb.100:
	s_or_b32 exec_lo, exec_lo, s4
	v_and_b32_e32 v6, 0x7f800000, v78
	s_delay_alu instid0(VALU_DEP_1) | instskip(SKIP_1) | instid1(SALU_CYCLE_1)
	v_cmp_ne_u32_e32 vcc_lo, 0x7f800000, v6
                                        ; implicit-def: $vgpr6
	s_and_saveexec_b32 s4, vcc_lo
	s_xor_b32 s4, exec_lo, s4
; %bb.101:
	v_bfe_u32 v6, v78, 16, 1
	s_delay_alu instid0(VALU_DEP_1)
	v_add3_u32 v6, v78, v6, 0x7fff
; %bb.102:
	s_and_not1_saveexec_b32 s4, s4
; %bb.103:
	v_and_b32_e32 v6, 0xffff, v78
	v_or_b32_e32 v7, 0x10000, v78
	s_delay_alu instid0(VALU_DEP_2) | instskip(NEXT) | instid1(VALU_DEP_2)
	v_cmp_eq_u32_e32 vcc_lo, 0, v6
	v_cndmask_b32_e32 v6, v7, v78, vcc_lo
; %bb.104:
	s_or_b32 exec_lo, exec_lo, s4
	v_and_b32_e32 v7, 0x7f800000, v79
	s_delay_alu instid0(VALU_DEP_1) | instskip(SKIP_1) | instid1(SALU_CYCLE_1)
	v_cmp_ne_u32_e32 vcc_lo, 0x7f800000, v7
                                        ; implicit-def: $vgpr7
	s_and_saveexec_b32 s4, vcc_lo
	s_xor_b32 s4, exec_lo, s4
; %bb.105:
	v_bfe_u32 v7, v79, 16, 1
	s_delay_alu instid0(VALU_DEP_1)
	v_add3_u32 v7, v79, v7, 0x7fff
; %bb.106:
	s_and_not1_saveexec_b32 s4, s4
; %bb.107:
	v_and_b32_e32 v7, 0xffff, v79
	v_or_b32_e32 v8, 0x10000, v79
	s_delay_alu instid0(VALU_DEP_2) | instskip(NEXT) | instid1(VALU_DEP_2)
	v_cmp_eq_u32_e32 vcc_lo, 0, v7
	v_cndmask_b32_e32 v7, v8, v79, vcc_lo
; %bb.108:
	s_or_b32 exec_lo, exec_lo, s4
	v_and_b32_e32 v8, 0x7f800000, v80
	s_delay_alu instid0(VALU_DEP_1) | instskip(SKIP_1) | instid1(SALU_CYCLE_1)
	v_cmp_ne_u32_e32 vcc_lo, 0x7f800000, v8
                                        ; implicit-def: $vgpr8
	s_and_saveexec_b32 s4, vcc_lo
	s_xor_b32 s4, exec_lo, s4
; %bb.109:
	v_bfe_u32 v8, v80, 16, 1
	s_delay_alu instid0(VALU_DEP_1)
	v_add3_u32 v8, v80, v8, 0x7fff
                                        ; implicit-def: $vgpr73_vgpr74_vgpr75_vgpr76_vgpr77_vgpr78_vgpr79_vgpr80
; %bb.110:
	s_and_not1_saveexec_b32 s4, s4
; %bb.111:
	v_and_b32_e32 v8, 0xffff, v80
	v_or_b32_e32 v9, 0x10000, v80
	s_delay_alu instid0(VALU_DEP_2) | instskip(NEXT) | instid1(VALU_DEP_2)
	v_cmp_eq_u32_e32 vcc_lo, 0, v8
	v_cndmask_b32_e32 v8, v9, v80, vcc_lo
; %bb.112:
	s_or_b32 exec_lo, exec_lo, s4
	s_delay_alu instid0(VALU_DEP_1)
	v_perm_b32 v7, v8, v7, 0x7060302
	v_perm_b32 v6, v6, v5, 0x7060302
	;; [unrolled: 1-line block ×4, first 2 shown]
	v_lshl_or_b32 v9, v83, 4, v90
	s_barrier
	buffer_gl0_inv
	v_cmp_eq_u32_e32 vcc_lo, 1, v87
	ds_store_b128 v9, v[4:7]
	s_waitcnt lgkmcnt(0)
	s_barrier
	buffer_gl0_inv
	ds_load_b128 v[1:4], v90
	ds_load_b128 v[5:8], v90 offset:16
	v_cmp_eq_u32_e64 s5, 2, v87
	v_cmp_eq_u32_e64 s4, 1, v88
	v_cmp_eq_u32_e64 s6, 3, v87
	v_cmp_eq_u32_e64 s8, 2, v86
	v_cmp_eq_u32_e64 s7, 7, v88
	s_waitcnt lgkmcnt(1)
	v_lshrrev_b32_e32 v10, 16, v1
	s_waitcnt lgkmcnt(0)
	v_lshrrev_b32_e32 v14, 16, v5
	v_lshrrev_b32_e32 v15, 16, v6
	;; [unrolled: 1-line block ×4, first 2 shown]
	v_cndmask_b32_e64 v20, v1, v10, s4
	v_cndmask_b32_e32 v19, v5, v14, vcc_lo
	v_cndmask_b32_e64 v21, v5, v14, s4
	v_lshrrev_b32_e32 v16, 16, v7
	v_cmp_eq_u32_e64 s4, 1, v86
	v_lshrrev_b32_e32 v13, 16, v4
	v_cndmask_b32_e64 v19, v19, v6, s5
	v_lshrrev_b32_e32 v17, 16, v8
	s_delay_alu instid0(VALU_DEP_4) | instskip(SKIP_1) | instid1(VALU_DEP_4)
	v_cndmask_b32_e64 v22, v1, v10, s4
	v_cndmask_b32_e64 v23, v5, v14, s4
	;; [unrolled: 1-line block ×3, first 2 shown]
	v_cndmask_b32_e32 v18, v1, v10, vcc_lo
	v_cmp_eq_u32_e32 vcc_lo, 2, v88
	v_cmp_eq_u32_e64 s4, 2, v89
	v_cndmask_b32_e64 v22, v22, v2, s8
	v_cndmask_b32_e32 v20, v20, v2, vcc_lo
	v_cndmask_b32_e32 v21, v21, v6, vcc_lo
	v_cmp_eq_u32_e32 vcc_lo, 4, v87
	v_cndmask_b32_e32 v19, v19, v7, vcc_lo
	v_cndmask_b32_e64 v18, v18, v2, s5
	v_cmp_eq_u32_e64 s5, 3, v88
	s_delay_alu instid0(VALU_DEP_2) | instskip(NEXT) | instid1(VALU_DEP_2)
	v_cndmask_b32_e64 v18, v18, v11, s6
	v_cndmask_b32_e64 v21, v21, v15, s5
	v_cmp_eq_u32_e64 s6, 5, v87
	s_delay_alu instid0(VALU_DEP_3) | instskip(SKIP_1) | instid1(VALU_DEP_3)
	v_cndmask_b32_e32 v18, v18, v3, vcc_lo
	v_cmp_eq_u32_e32 vcc_lo, 4, v88
	v_cndmask_b32_e64 v19, v19, v16, s6
	s_delay_alu instid0(VALU_DEP_3) | instskip(SKIP_4) | instid1(VALU_DEP_3)
	v_cndmask_b32_e64 v18, v18, v12, s6
	v_cndmask_b32_e32 v21, v21, v7, vcc_lo
	v_cndmask_b32_e64 v20, v20, v11, s5
	v_cmp_eq_u32_e64 s5, 5, v88
	v_cmp_eq_u32_e64 s6, 6, v87
	v_cndmask_b32_e32 v20, v20, v3, vcc_lo
	s_delay_alu instid0(VALU_DEP_3) | instskip(SKIP_1) | instid1(VALU_DEP_4)
	v_cndmask_b32_e64 v21, v21, v16, s5
	v_cmp_eq_u32_e32 vcc_lo, 6, v88
	v_cndmask_b32_e64 v18, v18, v4, s6
	v_cndmask_b32_e64 v19, v19, v8, s6
	;; [unrolled: 1-line block ×3, first 2 shown]
	v_cmp_eq_u32_e64 s5, 1, v89
	v_cmp_eq_u32_e64 s6, 7, v87
	s_delay_alu instid0(VALU_DEP_3) | instskip(NEXT) | instid1(VALU_DEP_3)
	v_cndmask_b32_e32 v20, v20, v4, vcc_lo
	v_cndmask_b32_e64 v1, v1, v10, s5
	v_cndmask_b32_e64 v5, v5, v14, s5
	v_cmp_eq_u32_e64 s5, 3, v86
	v_cndmask_b32_e64 v14, v23, v6, s8
	v_cmp_eq_u32_e64 s8, 3, v89
	v_cndmask_b32_e64 v1, v1, v2, s4
	v_cndmask_b32_e64 v2, v5, v6, s4
	;; [unrolled: 1-line block ×3, first 2 shown]
	v_cmp_eq_u32_e64 s4, 4, v86
	v_cndmask_b32_e64 v6, v14, v15, s5
	v_cndmask_b32_e64 v1, v1, v11, s8
	v_cmp_eq_u32_e64 s5, 4, v89
	v_cndmask_b32_e64 v2, v2, v15, s8
	v_cndmask_b32_e64 v5, v10, v3, s4
	;; [unrolled: 3-line block ×3, first 2 shown]
	v_cndmask_b32_e64 v2, v2, v7, s5
	v_cmp_eq_u32_e64 s4, 5, v89
	v_cndmask_b32_e64 v5, v5, v12, s8
	v_cmp_eq_u32_e64 s5, 6, v86
	;; [unrolled: 2-line block ×3, first 2 shown]
	v_cndmask_b32_e64 v1, v1, v12, s4
	v_cndmask_b32_e64 v2, v2, v16, s4
	;; [unrolled: 1-line block ×4, first 2 shown]
	v_cmp_eq_u32_e64 s4, 7, v89
	v_cndmask_b32_e64 v1, v1, v4, s8
	v_cndmask_b32_e64 v2, v2, v8, s8
	v_cmp_eq_u32_e64 s5, 7, v86
	v_cndmask_b32_e32 v4, v21, v8, vcc_lo
	v_cndmask_b32_e64 v18, v18, v13, s6
	v_cndmask_b32_e64 v20, v20, v13, s7
	;; [unrolled: 1-line block ×8, first 2 shown]
	v_cmp_gt_u32_e32 vcc_lo, 32, v0
	v_perm_b32 v4, v2, v1, 0x5040100
	v_perm_b32 v3, v3, v5, 0x5040100
	;; [unrolled: 1-line block ×4, first 2 shown]
	s_and_b32 s2, vcc_lo, s2
	ds_store_b128 v9, v[1:4]
	s_waitcnt lgkmcnt(0)
	s_barrier
	buffer_gl0_inv
	s_and_saveexec_b32 s4, s2
	s_cbranch_execz .LBB522_2
; %bb.113:
	s_load_b64 s[4:5], s[0:1], 0x68
	v_lshlrev_b32_e32 v0, 10, v0
	v_add_nc_u32_e32 v2, s31, v83
	v_lshlrev_b32_e32 v3, 4, v84
	s_lshl_b32 s0, s36, 6
	s_delay_alu instid0(SALU_CYCLE_1) | instskip(NEXT) | instid1(VALU_DEP_2)
	s_mul_i32 s1, s0, s34
	v_mul_lo_u32 v1, v2, s0
	s_delay_alu instid0(VALU_DEP_2) | instskip(SKIP_2) | instid1(SALU_CYCLE_1)
	v_and_or_b32 v0, 0x3800, v0, v3
	v_add_nc_u32_e32 v2, 2, v2
	s_mul_i32 s6, s1, s9
	s_ashr_i32 s7, s6, 31
	s_delay_alu instid0(VALU_DEP_2)
	v_lshl_or_b32 v7, v83, 6, v0
	s_lshl_b64 s[6:7], s[6:7], 1
	v_mul_lo_u32 v11, v2, s0
	v_ashrrev_i32_e32 v2, 31, v1
	ds_load_b128 v[3:6], v7
	ds_load_b128 v[7:10], v7 offset:128
	s_waitcnt lgkmcnt(0)
	s_add_u32 s1, s4, s6
	s_addc_u32 s2, s5, s7
	s_lshl_b32 s4, s14, 6
	v_ashrrev_i32_e32 v12, 31, v11
	s_ashr_i32 s5, s4, 31
	v_lshlrev_b64 v[13:14], 1, v[1:2]
	s_lshl_b64 s[4:5], s[4:5], 1
	s_delay_alu instid0(SALU_CYCLE_1) | instskip(SKIP_4) | instid1(VALU_DEP_3)
	s_add_u32 s1, s1, s4
	s_addc_u32 s2, s2, s5
	v_add_co_u32 v1, vcc_lo, s1, v81
	v_add_co_ci_u32_e32 v2, vcc_lo, s2, v82, vcc_lo
	v_lshlrev_b64 v[11:12], 1, v[11:12]
	v_add_co_u32 v13, vcc_lo, v1, v13
	s_delay_alu instid0(VALU_DEP_3) | instskip(NEXT) | instid1(VALU_DEP_3)
	v_add_co_ci_u32_e32 v14, vcc_lo, v2, v14, vcc_lo
	v_add_co_u32 v11, vcc_lo, v1, v11
	s_delay_alu instid0(VALU_DEP_4)
	v_add_co_ci_u32_e32 v12, vcc_lo, v2, v12, vcc_lo
	s_clause 0x1
	global_store_b128 v[13:14], v[3:6], off
	global_store_b128 v[11:12], v[7:10], off
	s_and_b32 exec_lo, exec_lo, s3
	s_cbranch_execz .LBB522_2
; %bb.114:
	ds_load_b128 v[3:6], v0 offset:256
	s_add_i32 s1, s31, 4
	s_delay_alu instid0(SALU_CYCLE_1) | instskip(NEXT) | instid1(SALU_CYCLE_1)
	s_mul_i32 s0, s1, s0
	s_ashr_i32 s1, s0, 31
	s_delay_alu instid0(SALU_CYCLE_1) | instskip(NEXT) | instid1(SALU_CYCLE_1)
	s_lshl_b64 s[0:1], s[0:1], 1
	v_add_co_u32 v0, vcc_lo, v1, s0
	v_add_co_ci_u32_e32 v1, vcc_lo, s1, v2, vcc_lo
	s_waitcnt lgkmcnt(0)
	global_store_b128 v[0:1], v[3:6], off
	s_nop 0
	s_sendmsg sendmsg(MSG_DEALLOC_VGPRS)
	s_endpgm
	.section	.rodata,"a",@progbits
	.p2align	6, 0x0
	.amdhsa_kernel _Z39paged_attention_ll4mi_QKV_mfma16_kernelI14__hip_bfloat16S0_LN4vllm18Fp8KVCacheDataTypeE0EhLi32ELi64ELi256ELb0ELi5EL8MFMAType0EEvPKT_PKT0_S9_ifPKiSB_SB_iPKfiiiPfSE_PS4_PT2_iSD_SD_
		.amdhsa_group_segment_fixed_size 17472
		.amdhsa_private_segment_fixed_size 0
		.amdhsa_kernarg_size 400
		.amdhsa_user_sgpr_count 13
		.amdhsa_user_sgpr_dispatch_ptr 0
		.amdhsa_user_sgpr_queue_ptr 0
		.amdhsa_user_sgpr_kernarg_segment_ptr 1
		.amdhsa_user_sgpr_dispatch_id 0
		.amdhsa_user_sgpr_private_segment_size 0
		.amdhsa_wavefront_size32 1
		.amdhsa_uses_dynamic_stack 0
		.amdhsa_enable_private_segment 0
		.amdhsa_system_sgpr_workgroup_id_x 1
		.amdhsa_system_sgpr_workgroup_id_y 1
		.amdhsa_system_sgpr_workgroup_id_z 1
		.amdhsa_system_sgpr_workgroup_info 0
		.amdhsa_system_vgpr_workitem_id 0
		.amdhsa_next_free_vgpr 142
		.amdhsa_next_free_sgpr 39
		.amdhsa_reserve_vcc 1
		.amdhsa_float_round_mode_32 0
		.amdhsa_float_round_mode_16_64 0
		.amdhsa_float_denorm_mode_32 3
		.amdhsa_float_denorm_mode_16_64 3
		.amdhsa_dx10_clamp 1
		.amdhsa_ieee_mode 1
		.amdhsa_fp16_overflow 0
		.amdhsa_workgroup_processor_mode 1
		.amdhsa_memory_ordered 1
		.amdhsa_forward_progress 0
		.amdhsa_shared_vgpr_count 0
		.amdhsa_exception_fp_ieee_invalid_op 0
		.amdhsa_exception_fp_denorm_src 0
		.amdhsa_exception_fp_ieee_div_zero 0
		.amdhsa_exception_fp_ieee_overflow 0
		.amdhsa_exception_fp_ieee_underflow 0
		.amdhsa_exception_fp_ieee_inexact 0
		.amdhsa_exception_int_div_zero 0
	.end_amdhsa_kernel
	.section	.text._Z39paged_attention_ll4mi_QKV_mfma16_kernelI14__hip_bfloat16S0_LN4vllm18Fp8KVCacheDataTypeE0EhLi32ELi64ELi256ELb0ELi5EL8MFMAType0EEvPKT_PKT0_S9_ifPKiSB_SB_iPKfiiiPfSE_PS4_PT2_iSD_SD_,"axG",@progbits,_Z39paged_attention_ll4mi_QKV_mfma16_kernelI14__hip_bfloat16S0_LN4vllm18Fp8KVCacheDataTypeE0EhLi32ELi64ELi256ELb0ELi5EL8MFMAType0EEvPKT_PKT0_S9_ifPKiSB_SB_iPKfiiiPfSE_PS4_PT2_iSD_SD_,comdat
.Lfunc_end522:
	.size	_Z39paged_attention_ll4mi_QKV_mfma16_kernelI14__hip_bfloat16S0_LN4vllm18Fp8KVCacheDataTypeE0EhLi32ELi64ELi256ELb0ELi5EL8MFMAType0EEvPKT_PKT0_S9_ifPKiSB_SB_iPKfiiiPfSE_PS4_PT2_iSD_SD_, .Lfunc_end522-_Z39paged_attention_ll4mi_QKV_mfma16_kernelI14__hip_bfloat16S0_LN4vllm18Fp8KVCacheDataTypeE0EhLi32ELi64ELi256ELb0ELi5EL8MFMAType0EEvPKT_PKT0_S9_ifPKiSB_SB_iPKfiiiPfSE_PS4_PT2_iSD_SD_
                                        ; -- End function
	.section	.AMDGPU.csdata,"",@progbits
; Kernel info:
; codeLenInByte = 9408
; NumSgprs: 41
; NumVgprs: 142
; ScratchSize: 0
; MemoryBound: 0
; FloatMode: 240
; IeeeMode: 1
; LDSByteSize: 17472 bytes/workgroup (compile time only)
; SGPRBlocks: 5
; VGPRBlocks: 17
; NumSGPRsForWavesPerEU: 41
; NumVGPRsForWavesPerEU: 142
; Occupancy: 10
; WaveLimiterHint : 1
; COMPUTE_PGM_RSRC2:SCRATCH_EN: 0
; COMPUTE_PGM_RSRC2:USER_SGPR: 13
; COMPUTE_PGM_RSRC2:TRAP_HANDLER: 0
; COMPUTE_PGM_RSRC2:TGID_X_EN: 1
; COMPUTE_PGM_RSRC2:TGID_Y_EN: 1
; COMPUTE_PGM_RSRC2:TGID_Z_EN: 1
; COMPUTE_PGM_RSRC2:TIDIG_COMP_CNT: 0
	.section	.text._Z39paged_attention_ll4mi_QKV_mfma16_kernelI14__hip_bfloat16S0_LN4vllm18Fp8KVCacheDataTypeE0EhLi32ELi64ELi256ELb0ELi6EL8MFMAType0EEvPKT_PKT0_S9_ifPKiSB_SB_iPKfiiiPfSE_PS4_PT2_iSD_SD_,"axG",@progbits,_Z39paged_attention_ll4mi_QKV_mfma16_kernelI14__hip_bfloat16S0_LN4vllm18Fp8KVCacheDataTypeE0EhLi32ELi64ELi256ELb0ELi6EL8MFMAType0EEvPKT_PKT0_S9_ifPKiSB_SB_iPKfiiiPfSE_PS4_PT2_iSD_SD_,comdat
	.protected	_Z39paged_attention_ll4mi_QKV_mfma16_kernelI14__hip_bfloat16S0_LN4vllm18Fp8KVCacheDataTypeE0EhLi32ELi64ELi256ELb0ELi6EL8MFMAType0EEvPKT_PKT0_S9_ifPKiSB_SB_iPKfiiiPfSE_PS4_PT2_iSD_SD_ ; -- Begin function _Z39paged_attention_ll4mi_QKV_mfma16_kernelI14__hip_bfloat16S0_LN4vllm18Fp8KVCacheDataTypeE0EhLi32ELi64ELi256ELb0ELi6EL8MFMAType0EEvPKT_PKT0_S9_ifPKiSB_SB_iPKfiiiPfSE_PS4_PT2_iSD_SD_
	.globl	_Z39paged_attention_ll4mi_QKV_mfma16_kernelI14__hip_bfloat16S0_LN4vllm18Fp8KVCacheDataTypeE0EhLi32ELi64ELi256ELb0ELi6EL8MFMAType0EEvPKT_PKT0_S9_ifPKiSB_SB_iPKfiiiPfSE_PS4_PT2_iSD_SD_
	.p2align	8
	.type	_Z39paged_attention_ll4mi_QKV_mfma16_kernelI14__hip_bfloat16S0_LN4vllm18Fp8KVCacheDataTypeE0EhLi32ELi64ELi256ELb0ELi6EL8MFMAType0EEvPKT_PKT0_S9_ifPKiSB_SB_iPKfiiiPfSE_PS4_PT2_iSD_SD_,@function
_Z39paged_attention_ll4mi_QKV_mfma16_kernelI14__hip_bfloat16S0_LN4vllm18Fp8KVCacheDataTypeE0EhLi32ELi64ELi256ELb0ELi6EL8MFMAType0EEvPKT_PKT0_S9_ifPKiSB_SB_iPKfiiiPfSE_PS4_PT2_iSD_SD_: ; @_Z39paged_attention_ll4mi_QKV_mfma16_kernelI14__hip_bfloat16S0_LN4vllm18Fp8KVCacheDataTypeE0EhLi32ELi64ELi256ELb0ELi6EL8MFMAType0EEvPKT_PKT0_S9_ifPKiSB_SB_iPKfiiiPfSE_PS4_PT2_iSD_SD_
; %bb.0:
	s_load_b64 s[2:3], s[0:1], 0x30
	s_mov_b32 s30, s13
	s_waitcnt lgkmcnt(0)
	s_cmp_lg_u64 s[2:3], 0
	s_cselect_b32 s6, -1, 0
	s_ashr_i32 s31, s13, 31
	s_cmp_eq_u64 s[2:3], 0
	s_cbranch_scc1 .LBB523_3
; %bb.1:
	s_lshl_b64 s[4:5], s[30:31], 2
	s_delay_alu instid0(SALU_CYCLE_1) | instskip(SKIP_4) | instid1(SALU_CYCLE_1)
	s_add_u32 s4, s2, s4
	s_addc_u32 s5, s3, s5
	s_load_b64 s[4:5], s[4:5], 0x0
	s_waitcnt lgkmcnt(0)
	s_sub_i32 s4, s5, s4
	s_cmp_eq_u32 s4, 1
	s_cselect_b32 s4, -1, 0
	s_delay_alu instid0(SALU_CYCLE_1)
	s_and_not1_b32 vcc_lo, exec_lo, s4
	s_cbranch_vccz .LBB523_4
.LBB523_2:
	s_endpgm
.LBB523_3:
.LBB523_4:
	s_load_b64 s[8:9], s[0:1], 0x28
	s_lshl_b64 s[4:5], s[30:31], 2
	s_waitcnt lgkmcnt(0)
	s_add_u32 s8, s8, s4
	s_addc_u32 s9, s9, s5
	s_lshl_b32 s16, s14, 8
	s_load_b32 s18, s[8:9], 0x0
	s_waitcnt lgkmcnt(0)
	s_cmp_ge_i32 s16, s18
	s_cbranch_scc1 .LBB523_2
; %bb.5:
	s_and_not1_b32 vcc_lo, exec_lo, s6
	s_cbranch_vccnz .LBB523_7
; %bb.6:
	s_add_u32 s2, s2, s4
	s_addc_u32 s3, s3, s5
	s_load_b32 s17, s[2:3], 0x0
	s_branch .LBB523_8
.LBB523_7:
	s_mov_b32 s17, s30
.LBB523_8:
	s_clause 0x2
	s_load_b128 s[8:11], s[0:1], 0x8
	s_load_b64 s[12:13], s[0:1], 0x20
	s_load_b128 s[4:7], s[0:1], 0x48
	v_and_b32_e32 v73, 15, v0
	v_cmp_lt_u32_e32 vcc_lo, 0x5f, v0
	s_delay_alu instid0(VALU_DEP_2) | instskip(SKIP_2) | instid1(VALU_DEP_3)
	v_cmp_lt_u32_e64 s3, 7, v73
	v_lshlrev_b32_e32 v1, 3, v73
	v_cmp_gt_u32_e64 s2, 8, v73
	s_or_b32 s3, vcc_lo, s3
	s_waitcnt lgkmcnt(0)
	s_and_saveexec_b32 s7, s3
	s_delay_alu instid0(SALU_CYCLE_1)
	s_xor_b32 s3, exec_lo, s7
; %bb.9:
	v_mov_b32_e32 v2, 0
; %bb.10:
	s_or_saveexec_b32 s3, s3
	v_lshrrev_b32_e32 v74, 5, v0
	v_and_b32_e32 v75, 31, v0
	v_and_b32_e32 v84, 1, v0
	v_bfe_u32 v83, v0, 4, 1
	s_mul_i32 s31, s15, 6
	s_xor_b32 exec_lo, exec_lo, s3
	s_cbranch_execz .LBB523_12
; %bb.11:
	s_load_b64 s[20:21], s[0:1], 0x0
	v_lshl_or_b32 v7, v74, 1, v83
	s_mul_hi_i32 s23, s17, s4
	s_mul_i32 s22, s17, s4
	v_lshlrev_b32_e32 v4, 1, v1
	s_lshl_b64 s[22:23], s[22:23], 1
	v_add_lshl_u32 v2, v7, s31, 6
	v_lshlrev_b32_e32 v7, 6, v7
	v_lshlrev_b32_e32 v8, 10, v84
	s_delay_alu instid0(VALU_DEP_3) | instskip(NEXT) | instid1(VALU_DEP_1)
	v_ashrrev_i32_e32 v3, 31, v2
	v_lshlrev_b64 v[2:3], 1, v[2:3]
	s_waitcnt lgkmcnt(0)
	s_add_u32 s4, s20, s22
	s_addc_u32 s7, s21, s23
	s_delay_alu instid0(VALU_DEP_1) | instskip(NEXT) | instid1(VALU_DEP_2)
	v_add_co_u32 v2, vcc_lo, s4, v2
	v_add_co_ci_u32_e32 v3, vcc_lo, s7, v3, vcc_lo
	s_delay_alu instid0(VALU_DEP_2) | instskip(NEXT) | instid1(VALU_DEP_2)
	v_add_co_u32 v2, vcc_lo, v2, v4
	v_add_co_ci_u32_e32 v3, vcc_lo, 0, v3, vcc_lo
	global_load_b128 v[3:6], v[2:3], off
	v_lshlrev_b32_e32 v2, 10, v73
	s_delay_alu instid0(VALU_DEP_1) | instskip(NEXT) | instid1(VALU_DEP_1)
	v_and_b32_e32 v2, 0x3800, v2
	v_or3_b32 v7, v2, v8, v7
	v_mov_b32_e32 v2, 0
	s_waitcnt vmcnt(0)
	ds_store_b128 v7, v[3:6]
.LBB523_12:
	s_or_b32 exec_lo, exec_lo, s3
	v_and_b32_e32 v3, 0xef, v0
	s_add_i32 s3, s18, 31
	s_clause 0x1
	s_load_b32 s4, s[0:1], 0x38
	s_load_b32 s19, s[0:1], 0x1c
	s_ashr_i32 s7, s3, 31
	v_add_nc_u32_e32 v3, s16, v3
	s_lshr_b32 s7, s7, 27
	s_waitcnt lgkmcnt(0)
	s_add_i32 s3, s3, s7
	s_barrier
	v_ashrrev_i32_e32 v4, 31, v3
	v_cmp_gt_i32_e32 vcc_lo, s18, v3
	s_ashr_i32 s3, s3, 5
	buffer_gl0_inv
	s_add_i32 s3, s3, -1
	v_lshrrev_b32_e32 v5, 27, v4
	v_or_b32_e32 v4, 16, v3
	s_mul_i32 s6, s15, s6
	v_lshlrev_b64 v[81:82], 1, v[1:2]
	s_delay_alu instid0(VALU_DEP_3) | instskip(NEXT) | instid1(VALU_DEP_3)
	v_add_nc_u32_e32 v6, v3, v5
	v_add_nc_u32_e32 v5, v4, v5
	s_mul_i32 s20, s30, s4
	s_delay_alu instid0(SALU_CYCLE_1) | instskip(NEXT) | instid1(VALU_DEP_2)
	s_ashr_i32 s21, s20, 31
	v_ashrrev_i32_e32 v6, 5, v6
	s_delay_alu instid0(VALU_DEP_2) | instskip(SKIP_1) | instid1(SALU_CYCLE_1)
	v_ashrrev_i32_e32 v5, 5, v5
	s_lshl_b64 s[20:21], s[20:21], 2
	s_add_u32 s4, s12, s20
	s_delay_alu instid0(VALU_DEP_2) | instskip(SKIP_3) | instid1(SALU_CYCLE_1)
	v_cndmask_b32_e32 v3, s3, v6, vcc_lo
	v_cmp_gt_i32_e32 vcc_lo, s18, v4
	s_addc_u32 s17, s13, s21
	s_ashr_i32 s7, s6, 31
	s_lshl_b64 s[6:7], s[6:7], 1
	v_cndmask_b32_e32 v5, s3, v5, vcc_lo
	v_ashrrev_i32_e32 v4, 31, v3
	s_add_u32 s15, s8, s6
	s_addc_u32 s28, s9, s7
	s_lshl_b32 s8, s14, 3
	v_ashrrev_i32_e32 v6, 31, v5
	v_lshlrev_b64 v[3:4], 2, v[3:4]
	s_ashr_i32 s9, s8, 31
	s_delay_alu instid0(SALU_CYCLE_1) | instskip(NEXT) | instid1(VALU_DEP_2)
	s_lshl_b64 s[8:9], s[8:9], 2
	v_lshlrev_b64 v[5:6], 2, v[5:6]
	s_add_u32 s8, s4, s8
	s_delay_alu instid0(VALU_DEP_2) | instskip(SKIP_1) | instid1(VALU_DEP_3)
	v_add_co_u32 v3, vcc_lo, s4, v3
	v_add_co_ci_u32_e32 v4, vcc_lo, s17, v4, vcc_lo
	v_add_co_u32 v5, vcc_lo, s4, v5
	s_delay_alu instid0(VALU_DEP_4)
	v_add_co_ci_u32_e32 v6, vcc_lo, s17, v6, vcc_lo
	s_addc_u32 s9, s17, s9
	s_clause 0x1
	global_load_b32 v7, v[3:4], off
	global_load_b32 v8, v[5:6], off
	s_or_b32 s12, s16, 32
	s_delay_alu instid0(SALU_CYCLE_1) | instskip(SKIP_2) | instid1(SALU_CYCLE_1)
	s_ashr_i32 s13, s12, 5
	s_cmp_lt_i32 s12, s18
	s_cselect_b32 s12, s13, s3
	s_ashr_i32 s13, s12, 31
	s_delay_alu instid0(SALU_CYCLE_1) | instskip(NEXT) | instid1(SALU_CYCLE_1)
	s_lshl_b64 s[12:13], s[12:13], 2
	s_add_u32 s12, s4, s12
	s_addc_u32 s13, s17, s13
	s_or_b32 s20, s16, 64
	s_delay_alu instid0(SALU_CYCLE_1) | instskip(SKIP_2) | instid1(SALU_CYCLE_1)
	s_ashr_i32 s21, s20, 5
	s_cmp_lt_i32 s20, s18
	s_cselect_b32 s20, s21, s3
	s_ashr_i32 s21, s20, 31
	s_delay_alu instid0(SALU_CYCLE_1) | instskip(NEXT) | instid1(SALU_CYCLE_1)
	s_lshl_b64 s[20:21], s[20:21], 2
	s_add_u32 s20, s4, s20
	s_addc_u32 s21, s17, s21
	;; [unrolled: 10-line block ×5, first 2 shown]
	s_clause 0x5
	s_load_b32 s29, s[8:9], 0x0
	s_load_b32 s33, s[12:13], 0x0
	;; [unrolled: 1-line block ×6, first 2 shown]
	s_or_b32 s8, s16, 0xc0
	s_mov_b32 s20, 0
	s_ashr_i32 s9, s8, 5
	s_cmp_lt_i32 s8, s18
	s_mov_b32 s27, s20
	s_cselect_b32 s8, s9, s3
	s_mov_b32 s21, s20
	s_ashr_i32 s9, s8, 31
	s_mov_b32 s22, s20
	s_lshl_b64 s[8:9], s[8:9], 2
	s_mov_b32 s23, s20
	s_add_u32 s8, s4, s8
	s_mov_b32 s24, s20
	s_mov_b32 s25, s20
	s_mov_b32 s26, s20
	s_addc_u32 s9, s17, s9
	v_mov_b32_e32 v117, s27
	v_dual_mov_b32 v110, s20 :: v_dual_lshlrev_b32 v85, 6, v73
	v_dual_mov_b32 v116, s26 :: v_dual_mov_b32 v115, s25
	v_dual_mov_b32 v114, s24 :: v_dual_mov_b32 v113, s23
	;; [unrolled: 1-line block ×3, first 2 shown]
	s_waitcnt lgkmcnt(0)
	s_mul_hi_i32 s13, s29, s5
	s_mul_i32 s12, s29, s5
	v_lshl_or_b32 v58, v74, 10, v85
	s_mul_hi_i32 s21, s33, s5
	s_mul_i32 s20, s33, s5
	s_mul_hi_i32 s25, s34, s5
	s_mul_i32 s24, s34, s5
	;; [unrolled: 2-line block ×4, first 2 shown]
	s_waitcnt vmcnt(1)
	v_mad_i64_i32 v[3:4], null, v7, s5, 0
	s_waitcnt vmcnt(0)
	v_mad_i64_i32 v[5:6], null, v8, s5, 0
	s_delay_alu instid0(VALU_DEP_2) | instskip(NEXT) | instid1(VALU_DEP_2)
	v_lshlrev_b64 v[3:4], 1, v[3:4]
	v_lshlrev_b64 v[1:2], 1, v[5:6]
	s_delay_alu instid0(VALU_DEP_2) | instskip(NEXT) | instid1(VALU_DEP_3)
	v_add_co_u32 v3, vcc_lo, s15, v3
	v_add_co_ci_u32_e32 v4, vcc_lo, s28, v4, vcc_lo
	s_delay_alu instid0(VALU_DEP_3) | instskip(NEXT) | instid1(VALU_DEP_4)
	v_add_co_u32 v1, vcc_lo, s15, v1
	v_add_co_ci_u32_e32 v2, vcc_lo, s28, v2, vcc_lo
	s_delay_alu instid0(VALU_DEP_4) | instskip(NEXT) | instid1(VALU_DEP_4)
	v_add_co_u32 v41, vcc_lo, v3, v81
	v_add_co_ci_u32_e32 v42, vcc_lo, v4, v82, vcc_lo
	s_delay_alu instid0(VALU_DEP_4) | instskip(NEXT) | instid1(VALU_DEP_4)
	v_add_co_u32 v43, vcc_lo, v1, v81
	v_add_co_ci_u32_e32 v44, vcc_lo, v2, v82, vcc_lo
	s_clause 0xf
	global_load_b128 v[1:4], v[41:42], off
	global_load_b128 v[5:8], v[41:42], off offset:512
	global_load_b128 v[9:12], v[43:44], off offset:256
	;; [unrolled: 1-line block ×15, first 2 shown]
	v_mul_lo_u16 v41, v73, 43
	s_or_b32 s15, s16, 0xe0
	s_delay_alu instid0(SALU_CYCLE_1) | instskip(SKIP_1) | instid1(VALU_DEP_1)
	s_ashr_i32 s22, s15, 5
	s_cmp_lt_i32 s15, s18
	v_lshrrev_b16 v41, 8, v41
	s_cselect_b32 s22, s22, s3
	s_delay_alu instid0(SALU_CYCLE_1) | instskip(NEXT) | instid1(VALU_DEP_1)
	s_ashr_i32 s23, s22, 31
	v_mul_lo_u16 v41, v41, 6
	s_lshl_b64 s[22:23], s[22:23], 2
	s_delay_alu instid0(SALU_CYCLE_1) | instskip(SKIP_1) | instid1(VALU_DEP_1)
	s_add_u32 s22, s4, s22
	s_addc_u32 s23, s17, s23
	v_sub_nc_u16 v41, v73, v41
	s_add_i32 s15, s16, 0x100
	s_delay_alu instid0(SALU_CYCLE_1) | instskip(SKIP_1) | instid1(VALU_DEP_1)
	s_ashr_i32 s28, s15, 5
	s_cmp_lt_i32 s15, s18
	v_and_b32_e32 v41, 0xff, v41
	s_cselect_b32 s28, s28, s3
	s_delay_alu instid0(SALU_CYCLE_1) | instskip(NEXT) | instid1(VALU_DEP_1)
	s_ashr_i32 s29, s28, 31
	v_lshlrev_b32_e32 v57, 6, v41
	ds_load_b128 v[41:44], v57
	ds_load_b128 v[45:48], v57 offset:1024
	ds_load_b128 v[49:52], v57 offset:2048
	;; [unrolled: 1-line block ×7, first 2 shown]
	s_lshl_b64 s[28:29], s[28:29], 2
	s_load_b32 s15, s[8:9], 0x0
	s_add_u32 s28, s4, s28
	s_addc_u32 s29, s17, s29
	s_add_u32 s3, s10, s6
	s_clause 0x1
	s_load_b32 s4, s[22:23], 0x0
	s_load_b32 s17, s[28:29], 0x0
	s_addc_u32 s28, s11, s7
	v_add_co_u32 v76, s3, s3, v58
	s_delay_alu instid0(VALU_DEP_1) | instskip(SKIP_2) | instid1(VALU_DEP_2)
	v_add_co_ci_u32_e64 v77, null, s28, 0, s3
	s_lshl_b64 s[6:7], s[12:13], 1
	s_lshl_b64 s[10:11], s[20:21], 1
	v_add_co_u32 v57, vcc_lo, v76, s6
	s_delay_alu instid0(VALU_DEP_2)
	v_add_co_ci_u32_e32 v58, vcc_lo, s7, v77, vcc_lo
	s_lshl_b64 s[12:13], s[24:25], 1
	s_lshl_b64 s[20:21], s[26:27], 1
	s_mul_hi_i32 s9, s36, s5
	s_mul_i32 s8, s36, s5
	s_lshl_b64 s[22:23], s[34:35], 1
	s_lshl_b64 s[8:9], s[8:9], 1
	s_waitcnt lgkmcnt(0)
	s_mul_hi_i32 s25, s15, s5
	s_mul_i32 s24, s15, s5
	s_clause 0x1
	global_load_b128 v[65:68], v[57:58], off
	global_load_b128 v[69:72], v[57:58], off offset:16
	s_lshl_b64 s[6:7], s[24:25], 1
	s_waitcnt vmcnt(16)
	v_wmma_f32_16x16x16_bf16 v[134:141], v[1:8], v[41:48], v[110:117]
	v_add_co_u32 v1, vcc_lo, v76, s10
	v_add_co_ci_u32_e32 v2, vcc_lo, s11, v77, vcc_lo
	s_waitcnt vmcnt(12)
	s_delay_alu instid0(VALU_DEP_3) | instskip(SKIP_3) | instid1(VALU_DEP_3)
	v_wmma_f32_16x16x16_bf16 v[134:141], v[17:24], v[49:56], v[134:141]
	v_add_co_u32 v3, vcc_lo, v76, s12
	v_add_co_ci_u32_e32 v4, vcc_lo, s13, v77, vcc_lo
	s_waitcnt vmcnt(8)
	v_wmma_f32_16x16x16_bf16 v[134:141], v[33:40], v[118:125], v[134:141]
	v_add_co_u32 v5, vcc_lo, v76, s20
	v_add_co_ci_u32_e32 v6, vcc_lo, s21, v77, vcc_lo
	s_waitcnt vmcnt(4)
	s_delay_alu instid0(VALU_DEP_3) | instskip(SKIP_2) | instid1(VALU_DEP_3)
	v_wmma_f32_16x16x16_bf16 v[134:141], v[94:101], v[126:133], v[134:141]
	v_add_co_u32 v7, vcc_lo, v76, s8
	v_add_co_ci_u32_e32 v8, vcc_lo, s9, v77, vcc_lo
	v_mul_f32_e32 v100, s19, v141
	v_wmma_f32_16x16x16_bf16 v[110:117], v[9:16], v[41:48], v[110:117]
	s_clause 0x1
	global_load_b128 v[57:60], v[1:2], off
	global_load_b128 v[61:64], v[1:2], off offset:16
	s_mul_hi_i32 s9, s4, s5
	s_mul_i32 s8, s4, s5
	v_wmma_f32_16x16x16_bf16 v[110:117], v[25:32], v[49:56], v[110:117]
	s_clause 0x5
	global_load_b128 v[49:52], v[3:4], off
	global_load_b128 v[53:56], v[3:4], off offset:16
	global_load_b128 v[41:44], v[5:6], off
	global_load_b128 v[45:48], v[5:6], off offset:16
	;; [unrolled: 2-line block ×3, first 2 shown]
	v_add_co_u32 v5, vcc_lo, v76, s22
	v_add_co_ci_u32_e32 v6, vcc_lo, s23, v77, vcc_lo
	v_add_co_u32 v17, vcc_lo, v76, s6
	v_add_co_ci_u32_e32 v18, vcc_lo, s7, v77, vcc_lo
	s_lshl_b64 s[6:7], s[8:9], 1
	s_mul_hi_i32 s9, s17, s5
	s_mul_i32 s8, s17, s5
	v_add_co_u32 v19, vcc_lo, v76, s6
	s_lshl_b64 s[4:5], s[8:9], 1
	v_add_co_ci_u32_e32 v20, vcc_lo, s7, v77, vcc_lo
	v_add_co_u32 v21, vcc_lo, v76, s4
	v_add_co_ci_u32_e32 v22, vcc_lo, s5, v77, vcc_lo
	s_clause 0x7
	global_load_b128 v[1:4], v[5:6], off
	global_load_b128 v[5:8], v[5:6], off offset:16
	global_load_b128 v[33:36], v[17:18], off
	global_load_b128 v[37:40], v[17:18], off offset:16
	;; [unrolled: 2-line block ×4, first 2 shown]
	v_and_b32_e32 v76, 0xe0, v0
	v_mbcnt_lo_u32_b32 v77, -1, 0
	v_wmma_f32_16x16x16_bf16 v[110:117], v[86:93], v[118:125], v[110:117]
	s_waitcnt vmcnt(0)
	s_barrier
	v_add_nc_u32_e32 v76, s16, v76
	v_xor_b32_e32 v78, 16, v77
	v_wmma_f32_16x16x16_bf16 v[110:117], v[102:109], v[126:133], v[110:117]
	v_mul_f32_e32 v97, s19, v134
	v_mul_f32_e32 v99, s19, v135
	v_or_b32_e32 v76, v76, v83
	v_cmp_gt_i32_e32 vcc_lo, 32, v78
	buffer_gl0_inv
	v_or_b32_e32 v79, 4, v76
	v_cndmask_b32_e32 v77, v77, v78, vcc_lo
	v_or_b32_e32 v78, 2, v76
	v_or_b32_e32 v80, 6, v76
	;; [unrolled: 1-line block ×3, first 2 shown]
	v_cmp_gt_i32_e32 vcc_lo, s18, v76
	v_or_b32_e32 v87, 10, v76
	v_cmp_gt_i32_e64 s3, s18, v78
	v_or_b32_e32 v88, 12, v76
	v_or_b32_e32 v89, 14, v76
	;; [unrolled: 1-line block ×10, first 2 shown]
	v_cndmask_b32_e64 v78, 0xff7fffff, v99, s3
	v_mul_f32_e32 v99, s19, v137
	v_cmp_gt_i32_e64 s4, s18, v80
	v_mul_f32_e32 v80, s19, v136
	v_cmp_gt_i32_e64 s5, s18, v79
	v_cmp_gt_i32_e64 s6, s18, v86
	v_mul_f32_e32 v86, s19, v116
	v_cndmask_b32_e32 v76, 0xff7fffff, v97, vcc_lo
	v_mul_f32_e32 v79, s19, v139
	v_cndmask_b32_e64 v80, 0xff7fffff, v80, s5
	v_cndmask_b32_e64 v99, 0xff7fffff, v99, s4
	v_cmp_gt_i32_e64 s7, s18, v87
	v_max3_f32 v76, v76, 0xff7fffff, v78
	v_dual_mul_f32 v78, s19, v138 :: v_dual_mul_f32 v97, s19, v140
	v_cmp_gt_i32_e64 s8, s18, v89
	s_delay_alu instid0(VALU_DEP_4) | instskip(NEXT) | instid1(VALU_DEP_4)
	v_cndmask_b32_e64 v79, 0xff7fffff, v79, s7
	v_max3_f32 v76, v76, v80, v99
	s_delay_alu instid0(VALU_DEP_4) | instskip(SKIP_3) | instid1(VALU_DEP_4)
	v_cndmask_b32_e64 v78, 0xff7fffff, v78, s6
	v_cmp_gt_i32_e64 s9, s18, v88
	v_dual_mul_f32 v88, s19, v111 :: v_dual_mul_f32 v89, s19, v110
	v_cndmask_b32_e64 v100, 0xff7fffff, v100, s8
	v_max3_f32 v76, v76, v78, v79
	s_delay_alu instid0(VALU_DEP_4) | instskip(SKIP_3) | instid1(VALU_DEP_4)
	v_cndmask_b32_e64 v97, 0xff7fffff, v97, s9
	v_cmp_gt_i32_e64 s10, s18, v90
	v_cmp_gt_i32_e64 s11, s18, v91
	v_dual_mul_f32 v78, s19, v113 :: v_dual_mul_f32 v79, s19, v112
	v_max3_f32 v76, v76, v97, v100
	s_delay_alu instid0(VALU_DEP_4) | instskip(NEXT) | instid1(VALU_DEP_4)
	v_cndmask_b32_e64 v89, 0xff7fffff, v89, s10
	v_cndmask_b32_e64 v88, 0xff7fffff, v88, s11
	v_cmp_gt_i32_e64 s12, s18, v92
	v_cmp_gt_i32_e64 s13, s18, v93
	v_mul_f32_e32 v87, s19, v115
	v_mul_f32_e32 v99, s19, v114
	v_max3_f32 v76, v76, v89, v88
	v_cndmask_b32_e64 v79, 0xff7fffff, v79, s12
	v_cndmask_b32_e64 v78, 0xff7fffff, v78, s13
	v_cmp_gt_i32_e64 s15, s18, v94
	v_cmp_gt_i32_e64 s16, s18, v95
	v_mul_f32_e32 v80, s19, v117
	v_cmp_gt_i32_e64 s17, s18, v96
	v_max3_f32 v76, v76, v79, v78
	v_cndmask_b32_e64 v88, 0xff7fffff, v99, s15
	v_cndmask_b32_e64 v87, 0xff7fffff, v87, s16
	v_cmp_gt_i32_e64 s18, s18, v98
	v_cndmask_b32_e64 v78, 0xff7fffff, v86, s17
	v_lshlrev_b32_e32 v99, 2, v77
	s_delay_alu instid0(VALU_DEP_4) | instskip(NEXT) | instid1(VALU_DEP_4)
	v_max3_f32 v76, v76, v88, v87
	v_cndmask_b32_e64 v79, 0xff7fffff, v80, s18
	s_delay_alu instid0(VALU_DEP_1) | instskip(SKIP_3) | instid1(VALU_DEP_1)
	v_max3_f32 v76, v76, v78, v79
	ds_bpermute_b32 v77, v99, v76
	s_waitcnt lgkmcnt(0)
	v_max_f32_e32 v77, v77, v77
	v_max_f32_e32 v76, v76, v77
	s_delay_alu instid0(VALU_DEP_1)
	v_fma_f32 v86, s19, v138, -v76
	v_fma_f32 v77, s19, v134, -v76
	;; [unrolled: 1-line block ×5, first 2 shown]
	v_mul_f32_e32 v86, 0x3fb8aa3b, v86
	v_fma_f32 v88, s19, v114, -v76
	s_delay_alu instid0(VALU_DEP_4) | instskip(NEXT) | instid1(VALU_DEP_4)
	v_dual_mul_f32 v78, 0x3fb8aa3b, v78 :: v_dual_mul_f32 v79, 0x3fb8aa3b, v79
	v_mul_f32_e32 v80, 0x3fb8aa3b, v80
	s_delay_alu instid0(VALU_DEP_4) | instskip(SKIP_1) | instid1(VALU_DEP_3)
	v_exp_f32_e32 v86, v86
	v_fma_f32 v87, s19, v140, -v76
	v_exp_f32_e32 v78, v78
	v_exp_f32_e32 v79, v79
	;; [unrolled: 1-line block ×3, first 2 shown]
	s_delay_alu instid0(VALU_DEP_1)
	v_dual_mul_f32 v88, 0x3fb8aa3b, v88 :: v_dual_mul_f32 v87, 0x3fb8aa3b, v87
	v_fma_f32 v100, s19, v117, -v76
	v_fma_f32 v90, s19, v116, -v76
	v_cndmask_b32_e64 v96, 0, v86, s6
	v_fma_f32 v86, s19, v111, -v76
	v_mul_f32_e32 v77, 0x3fb8aa3b, v77
	s_delay_alu instid0(TRANS32_DEP_3) | instskip(NEXT) | instid1(TRANS32_DEP_2)
	v_cndmask_b32_e64 v91, 0, v78, s3
	v_cndmask_b32_e64 v93, 0, v79, s5
	s_delay_alu instid0(TRANS32_DEP_1)
	v_cndmask_b32_e64 v95, 0, v80, s4
	v_mul_f32_e32 v86, 0x3fb8aa3b, v86
	v_exp_f32_e32 v77, v77
	v_fma_f32 v79, s19, v141, -v76
	v_fma_f32 v80, s19, v110, -v76
	v_exp_f32_e32 v87, v87
	v_exp_f32_e32 v86, v86
	s_delay_alu instid0(VALU_DEP_2) | instskip(NEXT) | instid1(VALU_DEP_2)
	v_dual_mul_f32 v100, 0x3fb8aa3b, v100 :: v_dual_mul_f32 v79, 0x3fb8aa3b, v79
	v_mul_f32_e32 v80, 0x3fb8aa3b, v80
	v_exp_f32_e32 v88, v88
	s_mov_b32 s3, exec_lo
	v_cndmask_b32_e32 v92, 0, v77, vcc_lo
	v_fma_f32 v77, s19, v139, -v76
	v_exp_f32_e32 v79, v79
	v_exp_f32_e32 v80, v80
	v_cndmask_b32_e64 v94, 0, v87, s9
	s_delay_alu instid0(VALU_DEP_2) | instskip(SKIP_2) | instid1(VALU_DEP_2)
	v_dual_add_f32 v78, 0, v92 :: v_dual_mul_f32 v77, 0x3fb8aa3b, v77
	v_fma_f32 v87, s19, v113, -v76
	v_exp_f32_e32 v100, v100
	v_add_f32_e32 v78, v78, v91
	s_delay_alu instid0(VALU_DEP_3) | instskip(SKIP_1) | instid1(VALU_DEP_2)
	v_exp_f32_e32 v77, v77
	v_cndmask_b32_e64 v98, 0, v79, s8
	v_dual_mul_f32 v87, 0x3fb8aa3b, v87 :: v_dual_add_f32 v78, v78, v93
	s_delay_alu instid0(VALU_DEP_1) | instskip(NEXT) | instid1(VALU_DEP_1)
	v_exp_f32_e32 v87, v87
	v_add_f32_e32 v78, v78, v95
	s_waitcnt_depctr 0xfff
	v_cndmask_b32_e64 v97, 0, v77, s7
	v_add_f32_e32 v77, v78, v96
	v_fma_f32 v78, s19, v112, -v76
	s_delay_alu instid0(VALU_DEP_1) | instskip(NEXT) | instid1(VALU_DEP_1)
	v_mul_f32_e32 v78, 0x3fb8aa3b, v78
	v_exp_f32_e32 v89, v78
	v_cndmask_b32_e64 v78, 0, v86, s11
	v_add_f32_e32 v77, v77, v97
	s_delay_alu instid0(VALU_DEP_1) | instskip(SKIP_2) | instid1(VALU_DEP_1)
	v_add_f32_e32 v79, v77, v94
	v_cndmask_b32_e64 v77, 0, v80, s10
	v_fma_f32 v80, s19, v115, -v76
	v_dual_add_f32 v79, v79, v98 :: v_dual_mul_f32 v80, 0x3fb8aa3b, v80
	s_delay_alu instid0(VALU_DEP_1) | instskip(NEXT) | instid1(TRANS32_DEP_1)
	v_add_f32_e32 v86, v79, v77
	v_cndmask_b32_e64 v79, 0, v89, s12
	v_mul_f32_e32 v89, 0x3fb8aa3b, v90
	s_delay_alu instid0(VALU_DEP_4) | instskip(SKIP_2) | instid1(VALU_DEP_3)
	v_exp_f32_e32 v90, v80
	v_cndmask_b32_e64 v80, 0, v87, s13
	v_add_f32_e32 v86, v86, v78
	v_exp_f32_e32 v89, v89
	s_delay_alu instid0(VALU_DEP_1) | instskip(SKIP_1) | instid1(VALU_DEP_2)
	v_add_f32_e32 v87, v86, v79
	v_cndmask_b32_e64 v86, 0, v88, s15
	v_add_f32_e32 v88, v87, v80
	s_delay_alu instid0(TRANS32_DEP_2) | instskip(NEXT) | instid1(VALU_DEP_2)
	v_cndmask_b32_e64 v87, 0, v90, s16
	v_add_f32_e32 v90, v88, v86
	s_waitcnt_depctr 0xfff
	v_cndmask_b32_e64 v88, 0, v89, s17
	v_add_f32_e32 v89, v90, v87
	s_delay_alu instid0(VALU_DEP_1) | instskip(SKIP_1) | instid1(VALU_DEP_1)
	v_add_f32_e32 v90, v89, v88
	v_cndmask_b32_e64 v89, 0, v100, s18
	v_add_f32_e32 v90, v90, v89
	ds_bpermute_b32 v99, v99, v90
	v_cmpx_gt_u32_e32 16, v75
	s_cbranch_execz .LBB523_14
; %bb.13:
	v_mul_u32_u24_e32 v75, 0x44, v74
	s_waitcnt lgkmcnt(0)
	v_add_f32_e32 v90, v90, v99
	s_delay_alu instid0(VALU_DEP_2) | instskip(NEXT) | instid1(VALU_DEP_1)
	v_lshl_add_u32 v75, v73, 2, v75
	v_add_nc_u32_e32 v75, 0x4000, v75
	ds_store_2addr_b32 v75, v76, v90 offset1:136
.LBB523_14:
	s_or_b32 exec_lo, exec_lo, s3
	v_lshlrev_b32_e32 v75, 2, v73
	s_waitcnt lgkmcnt(0)
	s_barrier
	buffer_gl0_inv
	v_cmp_eq_u32_e64 s3, 1, v74
	v_add_nc_u32_e32 v90, 0x4000, v75
	ds_load_2addr_b32 v[99:100], v90 offset1:17
	ds_load_2addr_b32 v[101:102], v90 offset0:34 offset1:51
	ds_load_2addr_b32 v[103:104], v90 offset0:68 offset1:85
	;; [unrolled: 1-line block ×4, first 2 shown]
	s_waitcnt lgkmcnt(4)
	v_max3_f32 v75, v99, 0xff7fffff, v100
	s_waitcnt lgkmcnt(3)
	s_delay_alu instid0(VALU_DEP_1) | instskip(SKIP_1) | instid1(VALU_DEP_1)
	v_max3_f32 v75, v75, v101, v102
	s_waitcnt lgkmcnt(2)
	v_max3_f32 v75, v75, v103, v104
	s_waitcnt lgkmcnt(1)
	s_delay_alu instid0(VALU_DEP_1) | instskip(NEXT) | instid1(VALU_DEP_1)
	v_max3_f32 v75, v75, v105, v106
	v_sub_f32_e32 v109, v100, v75
	v_sub_f32_e32 v76, v99, v75
	ds_load_2addr_b32 v[99:100], v90 offset0:170 offset1:187
	v_sub_f32_e32 v101, v101, v75
	v_dual_mul_f32 v109, 0x3fb8aa3b, v109 :: v_dual_mul_f32 v76, 0x3fb8aa3b, v76
	s_delay_alu instid0(VALU_DEP_2) | instskip(NEXT) | instid1(VALU_DEP_2)
	v_mul_f32_e32 v111, 0x3fb8aa3b, v101
	v_exp_f32_e32 v109, v109
	s_delay_alu instid0(VALU_DEP_2)
	v_exp_f32_e32 v110, v76
	v_sub_f32_e32 v76, v102, v75
	ds_load_2addr_b32 v[101:102], v90 offset0:204 offset1:221
	v_exp_f32_e32 v111, v111
	v_mul_f32_e32 v112, 0x3fb8aa3b, v76
	s_waitcnt lgkmcnt(2)
	v_fma_f32 v76, v110, v107, 0
	v_sub_f32_e32 v103, v103, v75
	s_delay_alu instid0(VALU_DEP_3) | instskip(NEXT) | instid1(VALU_DEP_2)
	v_exp_f32_e32 v112, v112
	v_dual_sub_f32 v107, v104, v75 :: v_dual_fmac_f32 v76, v109, v108
	s_waitcnt lgkmcnt(1)
	s_waitcnt_depctr 0xfff
	v_fmac_f32_e32 v76, v111, v99
	v_mul_f32_e32 v113, 0x3fb8aa3b, v103
	ds_load_2addr_b32 v[103:104], v90 offset0:238 offset1:255
	v_sub_f32_e32 v90, v105, v75
	v_dual_sub_f32 v99, v106, v75 :: v_dual_fmac_f32 v76, v112, v100
	v_mul_f32_e32 v105, 0x3fb8aa3b, v107
	v_exp_f32_e32 v107, v113
	s_delay_alu instid0(VALU_DEP_2)
	v_dual_mul_f32 v90, 0x3fb8aa3b, v90 :: v_dual_mul_f32 v99, 0x3fb8aa3b, v99
	s_waitcnt lgkmcnt(0)
	s_barrier
	buffer_gl0_inv
	v_exp_f32_e32 v90, v90
	v_exp_f32_e32 v99, v99
	v_fmac_f32_e32 v76, v107, v101
	v_exp_f32_e32 v105, v105
	s_waitcnt_depctr 0xfff
	v_fmac_f32_e32 v76, v105, v102
	s_delay_alu instid0(VALU_DEP_1) | instskip(NEXT) | instid1(VALU_DEP_1)
	v_fmac_f32_e32 v76, v90, v103
	v_fmac_f32_e32 v76, v99, v104
	s_delay_alu instid0(VALU_DEP_1) | instskip(NEXT) | instid1(VALU_DEP_1)
	v_add_f32_e32 v100, 0x358637bd, v76
	v_div_scale_f32 v101, null, v100, v100, 1.0
	v_div_scale_f32 v104, vcc_lo, 1.0, v100, 1.0
	s_delay_alu instid0(VALU_DEP_2) | instskip(SKIP_2) | instid1(VALU_DEP_1)
	v_rcp_f32_e32 v102, v101
	s_waitcnt_depctr 0xfff
	v_fma_f32 v103, -v101, v102, 1.0
	v_fmac_f32_e32 v102, v103, v102
	v_cndmask_b32_e64 v103, v110, v109, s3
	v_cmp_eq_u32_e64 s3, 2, v74
	s_delay_alu instid0(VALU_DEP_3) | instskip(NEXT) | instid1(VALU_DEP_2)
	v_mul_f32_e32 v106, v104, v102
	v_cndmask_b32_e64 v103, v103, v111, s3
	v_cmp_eq_u32_e64 s3, 3, v74
	s_delay_alu instid0(VALU_DEP_3) | instskip(NEXT) | instid1(VALU_DEP_2)
	v_fma_f32 v108, -v101, v106, v104
	v_cndmask_b32_e64 v103, v103, v112, s3
	v_cmp_eq_u32_e64 s3, 4, v74
	s_delay_alu instid0(VALU_DEP_3) | instskip(NEXT) | instid1(VALU_DEP_2)
	v_fmac_f32_e32 v106, v108, v102
	v_cndmask_b32_e64 v103, v103, v107, s3
	s_delay_alu instid0(VALU_DEP_2) | instskip(SKIP_1) | instid1(VALU_DEP_2)
	v_fma_f32 v101, -v101, v106, v104
	v_cmp_eq_u32_e64 s3, 5, v74
	v_div_fmas_f32 v101, v101, v102, v106
	s_delay_alu instid0(VALU_DEP_2) | instskip(SKIP_2) | instid1(VALU_DEP_3)
	v_cndmask_b32_e64 v103, v103, v105, s3
	v_cmp_eq_u32_e32 vcc_lo, 6, v74
	s_mov_b32 s3, exec_lo
	v_div_fixup_f32 v100, v101, v100, 1.0
	s_delay_alu instid0(VALU_DEP_3) | instskip(SKIP_1) | instid1(VALU_DEP_2)
	v_cndmask_b32_e32 v90, v103, v90, vcc_lo
	v_cmp_eq_u32_e32 vcc_lo, 7, v74
	v_cndmask_b32_e32 v90, v90, v99, vcc_lo
	s_delay_alu instid0(VALU_DEP_1) | instskip(NEXT) | instid1(VALU_DEP_1)
	v_mul_f32_e32 v90, v90, v100
	v_mul_f32_e32 v100, v90, v92
	;; [unrolled: 1-line block ×6, first 2 shown]
	v_and_b32_e32 v101, 0x7f800000, v100
	v_mul_f32_e32 v99, v90, v95
	v_mul_f32_e32 v95, v90, v91
	;; [unrolled: 1-line block ×3, first 2 shown]
                                        ; implicit-def: $vgpr91
	s_delay_alu instid0(VALU_DEP_4)
	v_cmpx_ne_u32_e32 0x7f800000, v101
	s_xor_b32 s3, exec_lo, s3
; %bb.15:
	v_bfe_u32 v91, v100, 16, 1
	s_delay_alu instid0(VALU_DEP_1)
	v_add3_u32 v91, v100, v91, 0x7fff
                                        ; implicit-def: $vgpr100
; %bb.16:
	s_and_not1_saveexec_b32 s3, s3
; %bb.17:
	v_and_b32_e32 v91, 0xffff, v100
	v_or_b32_e32 v93, 0x10000, v100
	s_delay_alu instid0(VALU_DEP_2) | instskip(NEXT) | instid1(VALU_DEP_2)
	v_cmp_eq_u32_e32 vcc_lo, 0, v91
	v_cndmask_b32_e32 v91, v93, v100, vcc_lo
; %bb.18:
	s_or_b32 exec_lo, exec_lo, s3
	v_and_b32_e32 v93, 0x7f800000, v95
	s_delay_alu instid0(VALU_DEP_1) | instskip(SKIP_1) | instid1(SALU_CYCLE_1)
	v_cmp_ne_u32_e32 vcc_lo, 0x7f800000, v93
                                        ; implicit-def: $vgpr93
	s_and_saveexec_b32 s3, vcc_lo
	s_xor_b32 s3, exec_lo, s3
; %bb.19:
	v_bfe_u32 v93, v95, 16, 1
	s_delay_alu instid0(VALU_DEP_1)
	v_add3_u32 v93, v95, v93, 0x7fff
                                        ; implicit-def: $vgpr95
; %bb.20:
	s_and_not1_saveexec_b32 s3, s3
; %bb.21:
	v_and_b32_e32 v93, 0xffff, v95
	v_or_b32_e32 v100, 0x10000, v95
	s_delay_alu instid0(VALU_DEP_2) | instskip(NEXT) | instid1(VALU_DEP_2)
	v_cmp_eq_u32_e32 vcc_lo, 0, v93
	v_cndmask_b32_e32 v93, v100, v95, vcc_lo
; %bb.22:
	s_or_b32 exec_lo, exec_lo, s3
	v_and_b32_e32 v95, 0x7f800000, v96
	s_delay_alu instid0(VALU_DEP_1) | instskip(SKIP_1) | instid1(SALU_CYCLE_1)
	v_cmp_ne_u32_e32 vcc_lo, 0x7f800000, v95
                                        ; implicit-def: $vgpr95
	s_and_saveexec_b32 s3, vcc_lo
	s_xor_b32 s3, exec_lo, s3
; %bb.23:
	v_bfe_u32 v95, v96, 16, 1
	s_delay_alu instid0(VALU_DEP_1)
	v_add3_u32 v95, v96, v95, 0x7fff
                                        ; implicit-def: $vgpr96
; %bb.24:
	s_and_not1_saveexec_b32 s3, s3
; %bb.25:
	v_and_b32_e32 v95, 0xffff, v96
	v_or_b32_e32 v100, 0x10000, v96
	s_delay_alu instid0(VALU_DEP_2) | instskip(NEXT) | instid1(VALU_DEP_2)
	v_cmp_eq_u32_e32 vcc_lo, 0, v95
	v_cndmask_b32_e32 v95, v100, v96, vcc_lo
; %bb.26:
	s_or_b32 exec_lo, exec_lo, s3
	v_and_b32_e32 v96, 0x7f800000, v99
	s_delay_alu instid0(VALU_DEP_1) | instskip(SKIP_1) | instid1(SALU_CYCLE_1)
	v_cmp_ne_u32_e32 vcc_lo, 0x7f800000, v96
                                        ; implicit-def: $vgpr96
	s_and_saveexec_b32 s3, vcc_lo
	s_xor_b32 s3, exec_lo, s3
; %bb.27:
	v_bfe_u32 v96, v99, 16, 1
	s_delay_alu instid0(VALU_DEP_1)
	v_add3_u32 v96, v99, v96, 0x7fff
                                        ; implicit-def: $vgpr99
; %bb.28:
	s_and_not1_saveexec_b32 s3, s3
; %bb.29:
	v_and_b32_e32 v96, 0xffff, v99
	v_or_b32_e32 v100, 0x10000, v99
	s_delay_alu instid0(VALU_DEP_2) | instskip(NEXT) | instid1(VALU_DEP_2)
	v_cmp_eq_u32_e32 vcc_lo, 0, v96
	v_cndmask_b32_e32 v96, v100, v99, vcc_lo
; %bb.30:
	s_or_b32 exec_lo, exec_lo, s3
	v_and_b32_e32 v99, 0x7f800000, v98
	s_delay_alu instid0(VALU_DEP_1) | instskip(SKIP_1) | instid1(SALU_CYCLE_1)
	v_cmp_ne_u32_e32 vcc_lo, 0x7f800000, v99
                                        ; implicit-def: $vgpr99
	s_and_saveexec_b32 s3, vcc_lo
	s_xor_b32 s3, exec_lo, s3
; %bb.31:
	v_bfe_u32 v99, v98, 16, 1
	s_delay_alu instid0(VALU_DEP_1)
	v_add3_u32 v99, v98, v99, 0x7fff
                                        ; implicit-def: $vgpr98
; %bb.32:
	s_and_not1_saveexec_b32 s3, s3
; %bb.33:
	v_and_b32_e32 v99, 0xffff, v98
	v_or_b32_e32 v100, 0x10000, v98
	s_delay_alu instid0(VALU_DEP_2) | instskip(NEXT) | instid1(VALU_DEP_2)
	v_cmp_eq_u32_e32 vcc_lo, 0, v99
	v_cndmask_b32_e32 v99, v100, v98, vcc_lo
; %bb.34:
	s_or_b32 exec_lo, exec_lo, s3
	v_and_b32_e32 v98, 0x7f800000, v97
	s_delay_alu instid0(VALU_DEP_1) | instskip(SKIP_1) | instid1(SALU_CYCLE_1)
	v_cmp_ne_u32_e32 vcc_lo, 0x7f800000, v98
                                        ; implicit-def: $vgpr98
	s_and_saveexec_b32 s3, vcc_lo
	s_xor_b32 s3, exec_lo, s3
; %bb.35:
	v_bfe_u32 v98, v97, 16, 1
	s_delay_alu instid0(VALU_DEP_1)
	v_add3_u32 v98, v97, v98, 0x7fff
                                        ; implicit-def: $vgpr97
; %bb.36:
	s_and_not1_saveexec_b32 s3, s3
; %bb.37:
	v_and_b32_e32 v98, 0xffff, v97
	v_or_b32_e32 v100, 0x10000, v97
	s_delay_alu instid0(VALU_DEP_2) | instskip(NEXT) | instid1(VALU_DEP_2)
	v_cmp_eq_u32_e32 vcc_lo, 0, v98
	v_cndmask_b32_e32 v98, v100, v97, vcc_lo
; %bb.38:
	s_or_b32 exec_lo, exec_lo, s3
	v_and_b32_e32 v97, 0x7f800000, v94
	s_delay_alu instid0(VALU_DEP_1) | instskip(SKIP_1) | instid1(SALU_CYCLE_1)
	v_cmp_ne_u32_e32 vcc_lo, 0x7f800000, v97
                                        ; implicit-def: $vgpr97
	s_and_saveexec_b32 s3, vcc_lo
	s_xor_b32 s3, exec_lo, s3
; %bb.39:
	v_bfe_u32 v97, v94, 16, 1
	s_delay_alu instid0(VALU_DEP_1)
	v_add3_u32 v97, v94, v97, 0x7fff
                                        ; implicit-def: $vgpr94
; %bb.40:
	s_and_not1_saveexec_b32 s3, s3
; %bb.41:
	v_and_b32_e32 v97, 0xffff, v94
	v_or_b32_e32 v100, 0x10000, v94
	s_delay_alu instid0(VALU_DEP_2) | instskip(NEXT) | instid1(VALU_DEP_2)
	v_cmp_eq_u32_e32 vcc_lo, 0, v97
	v_cndmask_b32_e32 v97, v100, v94, vcc_lo
; %bb.42:
	s_or_b32 exec_lo, exec_lo, s3
	v_and_b32_e32 v94, 0x7f800000, v92
	s_delay_alu instid0(VALU_DEP_1) | instskip(SKIP_1) | instid1(SALU_CYCLE_1)
	v_cmp_ne_u32_e32 vcc_lo, 0x7f800000, v94
                                        ; implicit-def: $vgpr94
	s_and_saveexec_b32 s3, vcc_lo
	s_xor_b32 s3, exec_lo, s3
; %bb.43:
	v_bfe_u32 v94, v92, 16, 1
	s_delay_alu instid0(VALU_DEP_1)
	v_add3_u32 v94, v92, v94, 0x7fff
                                        ; implicit-def: $vgpr92
; %bb.44:
	s_and_not1_saveexec_b32 s3, s3
; %bb.45:
	v_and_b32_e32 v94, 0xffff, v92
	v_or_b32_e32 v100, 0x10000, v92
	s_delay_alu instid0(VALU_DEP_2) | instskip(NEXT) | instid1(VALU_DEP_2)
	v_cmp_eq_u32_e32 vcc_lo, 0, v94
	v_cndmask_b32_e32 v94, v100, v92, vcc_lo
; %bb.46:
	s_or_b32 exec_lo, exec_lo, s3
	s_load_b64 s[34:35], s[0:1], 0x94
	v_lshlrev_b32_e32 v92, 4, v83
	s_delay_alu instid0(VALU_DEP_2)
	v_perm_b32 v100, v94, v97, 0x7060302
	v_dual_mul_f32 v89, v90, v89 :: v_dual_lshlrev_b32 v94, 11, v74
	v_perm_b32 v97, v93, v91, 0x7060302
	v_mul_f32_e32 v93, v90, v77
	v_perm_b32 v99, v98, v99, 0x7060302
	v_perm_b32 v98, v96, v95, 0x7060302
	v_or3_b32 v77, v92, v94, v85
	v_mul_f32_e32 v88, v90, v88
	v_dual_mul_f32 v87, v90, v87 :: v_dual_and_b32 v94, 0x7f800000, v93
	v_mul_f32_e32 v86, v90, v86
	v_mul_f32_e32 v91, v90, v80
	;; [unrolled: 1-line block ×4, first 2 shown]
	s_mov_b32 s3, exec_lo
	ds_store_b128 v77, v[97:100]
                                        ; implicit-def: $vgpr78
	v_cmpx_ne_u32_e32 0x7f800000, v94
	s_xor_b32 s3, exec_lo, s3
; %bb.47:
	v_bfe_u32 v78, v93, 16, 1
	s_delay_alu instid0(VALU_DEP_1)
	v_add3_u32 v78, v93, v78, 0x7fff
                                        ; implicit-def: $vgpr93
; %bb.48:
	s_and_not1_saveexec_b32 s3, s3
; %bb.49:
	v_and_b32_e32 v78, 0xffff, v93
	v_or_b32_e32 v79, 0x10000, v93
	s_delay_alu instid0(VALU_DEP_2) | instskip(NEXT) | instid1(VALU_DEP_2)
	v_cmp_eq_u32_e32 vcc_lo, 0, v78
	v_cndmask_b32_e32 v78, v79, v93, vcc_lo
; %bb.50:
	s_or_b32 exec_lo, exec_lo, s3
	v_and_b32_e32 v79, 0x7f800000, v80
	s_delay_alu instid0(VALU_DEP_1) | instskip(SKIP_1) | instid1(SALU_CYCLE_1)
	v_cmp_ne_u32_e32 vcc_lo, 0x7f800000, v79
                                        ; implicit-def: $vgpr79
	s_and_saveexec_b32 s3, vcc_lo
	s_xor_b32 s3, exec_lo, s3
; %bb.51:
	v_bfe_u32 v79, v80, 16, 1
	s_delay_alu instid0(VALU_DEP_1)
	v_add3_u32 v79, v80, v79, 0x7fff
                                        ; implicit-def: $vgpr80
; %bb.52:
	s_and_not1_saveexec_b32 s3, s3
; %bb.53:
	v_and_b32_e32 v79, 0xffff, v80
	v_or_b32_e32 v90, 0x10000, v80
	s_delay_alu instid0(VALU_DEP_2) | instskip(NEXT) | instid1(VALU_DEP_2)
	v_cmp_eq_u32_e32 vcc_lo, 0, v79
	v_cndmask_b32_e32 v79, v90, v80, vcc_lo
; %bb.54:
	s_or_b32 exec_lo, exec_lo, s3
	v_and_b32_e32 v80, 0x7f800000, v92
	s_delay_alu instid0(VALU_DEP_1) | instskip(SKIP_1) | instid1(SALU_CYCLE_1)
	v_cmp_ne_u32_e32 vcc_lo, 0x7f800000, v80
                                        ; implicit-def: $vgpr80
	s_and_saveexec_b32 s3, vcc_lo
	s_xor_b32 s3, exec_lo, s3
; %bb.55:
	v_bfe_u32 v80, v92, 16, 1
	s_delay_alu instid0(VALU_DEP_1)
	v_add3_u32 v80, v92, v80, 0x7fff
                                        ; implicit-def: $vgpr92
; %bb.56:
	s_and_not1_saveexec_b32 s3, s3
; %bb.57:
	v_and_b32_e32 v80, 0xffff, v92
	v_or_b32_e32 v90, 0x10000, v92
	s_delay_alu instid0(VALU_DEP_2) | instskip(NEXT) | instid1(VALU_DEP_2)
	v_cmp_eq_u32_e32 vcc_lo, 0, v80
	v_cndmask_b32_e32 v80, v90, v92, vcc_lo
; %bb.58:
	s_or_b32 exec_lo, exec_lo, s3
	v_and_b32_e32 v90, 0x7f800000, v91
	s_delay_alu instid0(VALU_DEP_1) | instskip(SKIP_1) | instid1(SALU_CYCLE_1)
	v_cmp_ne_u32_e32 vcc_lo, 0x7f800000, v90
                                        ; implicit-def: $vgpr90
	s_and_saveexec_b32 s3, vcc_lo
	s_xor_b32 s3, exec_lo, s3
; %bb.59:
	v_bfe_u32 v90, v91, 16, 1
	s_delay_alu instid0(VALU_DEP_1)
	v_add3_u32 v90, v91, v90, 0x7fff
                                        ; implicit-def: $vgpr91
; %bb.60:
	s_and_not1_saveexec_b32 s3, s3
; %bb.61:
	v_and_b32_e32 v90, 0xffff, v91
	v_or_b32_e32 v92, 0x10000, v91
	s_delay_alu instid0(VALU_DEP_2) | instskip(NEXT) | instid1(VALU_DEP_2)
	v_cmp_eq_u32_e32 vcc_lo, 0, v90
	v_cndmask_b32_e32 v90, v92, v91, vcc_lo
; %bb.62:
	s_or_b32 exec_lo, exec_lo, s3
	v_and_b32_e32 v91, 0x7f800000, v86
	s_delay_alu instid0(VALU_DEP_1) | instskip(SKIP_1) | instid1(SALU_CYCLE_1)
	v_cmp_ne_u32_e32 vcc_lo, 0x7f800000, v91
                                        ; implicit-def: $vgpr91
	s_and_saveexec_b32 s3, vcc_lo
	s_xor_b32 s3, exec_lo, s3
; %bb.63:
	v_bfe_u32 v91, v86, 16, 1
	s_delay_alu instid0(VALU_DEP_1)
	v_add3_u32 v91, v86, v91, 0x7fff
                                        ; implicit-def: $vgpr86
; %bb.64:
	s_and_not1_saveexec_b32 s3, s3
; %bb.65:
	v_and_b32_e32 v91, 0xffff, v86
	v_or_b32_e32 v92, 0x10000, v86
	s_delay_alu instid0(VALU_DEP_2) | instskip(NEXT) | instid1(VALU_DEP_2)
	v_cmp_eq_u32_e32 vcc_lo, 0, v91
	v_cndmask_b32_e32 v91, v92, v86, vcc_lo
; %bb.66:
	s_or_b32 exec_lo, exec_lo, s3
	v_and_b32_e32 v86, 0x7f800000, v87
	s_delay_alu instid0(VALU_DEP_1) | instskip(SKIP_1) | instid1(SALU_CYCLE_1)
	v_cmp_ne_u32_e32 vcc_lo, 0x7f800000, v86
                                        ; implicit-def: $vgpr86
	s_and_saveexec_b32 s3, vcc_lo
	s_xor_b32 s3, exec_lo, s3
; %bb.67:
	v_bfe_u32 v86, v87, 16, 1
	s_delay_alu instid0(VALU_DEP_1)
	v_add3_u32 v86, v87, v86, 0x7fff
                                        ; implicit-def: $vgpr87
; %bb.68:
	s_and_not1_saveexec_b32 s3, s3
; %bb.69:
	v_and_b32_e32 v86, 0xffff, v87
	v_or_b32_e32 v92, 0x10000, v87
	s_delay_alu instid0(VALU_DEP_2) | instskip(NEXT) | instid1(VALU_DEP_2)
	v_cmp_eq_u32_e32 vcc_lo, 0, v86
	v_cndmask_b32_e32 v86, v92, v87, vcc_lo
; %bb.70:
	s_or_b32 exec_lo, exec_lo, s3
	v_and_b32_e32 v87, 0x7f800000, v88
	s_delay_alu instid0(VALU_DEP_1) | instskip(SKIP_1) | instid1(SALU_CYCLE_1)
	v_cmp_ne_u32_e32 vcc_lo, 0x7f800000, v87
                                        ; implicit-def: $vgpr87
	s_and_saveexec_b32 s3, vcc_lo
	s_xor_b32 s3, exec_lo, s3
; %bb.71:
	v_bfe_u32 v87, v88, 16, 1
	s_delay_alu instid0(VALU_DEP_1)
	v_add3_u32 v87, v88, v87, 0x7fff
                                        ; implicit-def: $vgpr88
; %bb.72:
	s_and_not1_saveexec_b32 s3, s3
; %bb.73:
	v_and_b32_e32 v87, 0xffff, v88
	v_or_b32_e32 v92, 0x10000, v88
	s_delay_alu instid0(VALU_DEP_2) | instskip(NEXT) | instid1(VALU_DEP_2)
	v_cmp_eq_u32_e32 vcc_lo, 0, v87
	v_cndmask_b32_e32 v87, v92, v88, vcc_lo
; %bb.74:
	s_or_b32 exec_lo, exec_lo, s3
	v_and_b32_e32 v88, 0x7f800000, v89
	s_delay_alu instid0(VALU_DEP_1) | instskip(SKIP_1) | instid1(SALU_CYCLE_1)
	v_cmp_ne_u32_e32 vcc_lo, 0x7f800000, v88
                                        ; implicit-def: $vgpr88
	s_and_saveexec_b32 s3, vcc_lo
	s_xor_b32 s3, exec_lo, s3
; %bb.75:
	v_bfe_u32 v88, v89, 16, 1
	s_delay_alu instid0(VALU_DEP_1)
	v_add3_u32 v88, v89, v88, 0x7fff
                                        ; implicit-def: $vgpr89
; %bb.76:
	s_and_not1_saveexec_b32 s3, s3
; %bb.77:
	v_and_b32_e32 v88, 0xffff, v89
	v_or_b32_e32 v92, 0x10000, v89
	s_delay_alu instid0(VALU_DEP_2) | instskip(NEXT) | instid1(VALU_DEP_2)
	v_cmp_eq_u32_e32 vcc_lo, 0, v88
	v_cndmask_b32_e32 v88, v92, v89, vcc_lo
; %bb.78:
	s_or_b32 exec_lo, exec_lo, s3
	s_delay_alu instid0(VALU_DEP_1)
	v_perm_b32 v89, v88, v87, 0x7060302
	v_perm_b32 v88, v86, v91, 0x7060302
	v_perm_b32 v87, v90, v80, 0x7060302
	v_perm_b32 v86, v79, v78, 0x7060302
	v_lshl_or_b32 v90, v74, 11, v85
	ds_store_b128 v77, v[86:89] offset:1024
	s_waitcnt lgkmcnt(0)
	s_barrier
	buffer_gl0_inv
	ds_load_b128 v[91:94], v90
	ds_load_b128 v[95:98], v90 offset:16
	v_lshlrev_b32_e32 v87, 2, v83
	s_delay_alu instid0(VALU_DEP_1)
	v_or_b32_e32 v88, 1, v87
	v_cmp_eq_u32_e32 vcc_lo, 1, v87
	v_cmp_eq_u32_e64 s4, 2, v87
	v_cmp_eq_u32_e64 s7, 3, v87
	;; [unrolled: 1-line block ×6, first 2 shown]
	v_or_b32_e32 v86, 2, v87
	v_cmp_eq_u32_e64 s10, 5, v87
	v_cmp_eq_u32_e64 s11, 4, v88
	;; [unrolled: 1-line block ×4, first 2 shown]
	s_waitcnt lgkmcnt(1)
	v_lshrrev_b32_e32 v74, 16, v91
	s_waitcnt lgkmcnt(0)
	v_lshrrev_b32_e32 v103, 16, v95
	v_lshrrev_b32_e32 v80, 16, v94
	;; [unrolled: 1-line block ×4, first 2 shown]
	v_cndmask_b32_e32 v89, v91, v74, vcc_lo
	v_cndmask_b32_e32 v99, v95, v103, vcc_lo
	v_cndmask_b32_e64 v100, v91, v74, s3
	v_lshrrev_b32_e32 v79, 16, v93
	v_lshrrev_b32_e32 v108, 16, v97
	v_cndmask_b32_e64 v89, v89, v92, s4
	v_cndmask_b32_e64 v99, v99, v96, s4
	;; [unrolled: 1-line block ×4, first 2 shown]
	v_cmp_eq_u32_e64 s5, 1, v86
	v_cndmask_b32_e64 v89, v89, v78, s7
	v_cndmask_b32_e64 v99, v99, v107, s7
	v_cndmask_b32_e64 v100, v100, v78, s8
	v_cndmask_b32_e64 v101, v101, v96, s6
	v_lshrrev_b32_e32 v109, 16, v98
	v_cndmask_b32_e64 v89, v89, v93, s9
	v_cndmask_b32_e64 v99, v99, v97, s9
	;; [unrolled: 1-line block ×8, first 2 shown]
	v_cmp_eq_u32_e64 s15, 7, v87
	v_cmp_eq_u32_e64 s16, 6, v88
	v_cndmask_b32_e64 v89, v89, v94, s12
	v_cndmask_b32_e64 v99, v99, v98, s12
	v_cmp_eq_u32_e64 s17, 2, v86
	v_cndmask_b32_e64 v101, v101, v97, s11
	v_cndmask_b32_e64 v100, v100, v94, s16
	;; [unrolled: 1-line block ×6, first 2 shown]
	v_cmp_eq_u32_e64 s18, 7, v88
	v_cmp_eq_u32_e64 s19, 3, v86
	;; [unrolled: 1-line block ×4, first 2 shown]
	v_cndmask_b32_e64 v99, v99, v96, s17
	v_cndmask_b32_e64 v112, v100, v80, s18
	;; [unrolled: 1-line block ×4, first 2 shown]
	v_or_b32_e32 v89, 3, v87
	v_cndmask_b32_e64 v105, v99, v107, s19
	v_cmp_eq_u32_e64 s24, 6, v86
	v_cndmask_b32_e64 v113, v100, v98, s16
	v_cndmask_b32_e64 v104, v101, v93, s20
	ds_load_b128 v[99:102], v90 offset:1024
	v_cmp_eq_u32_e64 s21, 1, v89
	v_cmp_eq_u32_e64 s23, 2, v89
	;; [unrolled: 1-line block ×3, first 2 shown]
	v_cndmask_b32_e64 v114, v104, v79, s22
	v_cmp_eq_u32_e64 s26, 4, v89
	v_cndmask_b32_e64 v74, v91, v74, s21
	v_cndmask_b32_e64 v91, v105, v97, s20
	;; [unrolled: 1-line block ×3, first 2 shown]
	ds_load_b128 v[103:106], v90 offset:1040
	v_cmp_eq_u32_e64 s28, 5, v89
	v_cndmask_b32_e64 v74, v74, v92, s23
	v_cndmask_b32_e64 v91, v91, v108, s22
	;; [unrolled: 1-line block ×3, first 2 shown]
	v_cmp_eq_u32_e64 s29, 6, v89
	v_cndmask_b32_e64 v95, v113, v109, s18
	v_cndmask_b32_e64 v74, v74, v78, s25
	;; [unrolled: 1-line block ×5, first 2 shown]
	s_waitcnt lgkmcnt(1)
	v_lshrrev_b32_e32 v96, 16, v99
	v_cndmask_b32_e64 v74, v74, v93, s26
	v_lshrrev_b32_e32 v107, 16, v100
	v_cndmask_b32_e64 v92, v92, v97, s26
	v_cmp_eq_u32_e64 s27, 7, v86
	v_cndmask_b32_e32 v93, v99, v96, vcc_lo
	v_cndmask_b32_e64 v74, v74, v79, s28
	s_delay_alu instid0(VALU_DEP_4)
	v_cndmask_b32_e64 v79, v92, v108, s28
	s_waitcnt lgkmcnt(0)
	v_lshrrev_b32_e32 v97, 16, v103
	v_cndmask_b32_e64 v92, v93, v100, s4
	v_cndmask_b32_e64 v93, v99, v96, s3
	;; [unrolled: 1-line block ×4, first 2 shown]
	v_cndmask_b32_e32 v108, v103, v97, vcc_lo
	v_cndmask_b32_e64 v92, v92, v107, s7
	v_cndmask_b32_e64 v93, v93, v100, s6
	v_lshrrev_b32_e32 v98, 16, v104
	v_cmp_eq_u32_e32 vcc_lo, 7, v89
	v_cndmask_b32_e64 v94, v108, v104, s4
	v_cndmask_b32_e64 v92, v92, v101, s9
	v_lshrrev_b32_e32 v108, 16, v101
	v_cndmask_b32_e64 v93, v93, v107, s8
	v_cndmask_b32_e32 v74, v74, v80, vcc_lo
	v_cndmask_b32_e64 v94, v94, v98, s7
	v_cndmask_b32_e32 v79, v79, v109, vcc_lo
	v_cndmask_b32_e64 v92, v92, v108, s10
	v_cndmask_b32_e64 v78, v78, v80, s27
	;; [unrolled: 1-line block ×4, first 2 shown]
	v_perm_b32 v94, v79, v74, 0x5040100
	v_cndmask_b32_e64 v79, v92, v102, s12
	v_perm_b32 v92, v95, v112, 0x5040100
	v_cndmask_b32_e64 v95, v99, v96, s5
	v_cndmask_b32_e64 v96, v99, v96, s21
	;; [unrolled: 1-line block ×16, first 2 shown]
	v_lshrrev_b32_e32 v109, 16, v105
	v_cndmask_b32_e64 v95, v95, v101, s20
	v_cndmask_b32_e64 v96, v96, v101, s26
	;; [unrolled: 1-line block ×6, first 2 shown]
	v_lshrrev_b32_e32 v80, 16, v102
	v_cndmask_b32_e64 v113, v93, v109, s10
	v_cndmask_b32_e64 v95, v95, v108, s22
	;; [unrolled: 1-line block ×6, first 2 shown]
	v_perm_b32 v93, v91, v78, 0x5040100
	v_cndmask_b32_e64 v74, v74, v102, s16
	v_cndmask_b32_e64 v78, v79, v80, s15
	;; [unrolled: 1-line block ×3, first 2 shown]
	v_lshrrev_b32_e32 v91, 16, v106
	v_cndmask_b32_e64 v95, v95, v102, s24
	v_cndmask_b32_e64 v96, v96, v102, s29
	;; [unrolled: 1-line block ×7, first 2 shown]
	v_cndmask_b32_e32 v80, v96, v80, vcc_lo
	v_cndmask_b32_e32 v96, v98, v91, vcc_lo
	v_cndmask_b32_e64 v99, v99, v91, s27
	v_cndmask_b32_e64 v100, v97, v91, s18
	v_cndmask_b32_e64 v79, v79, v91, s15
	v_perm_b32 v91, v111, v110, 0x5040100
	v_perm_b32 v98, v96, v80, 0x5040100
	;; [unrolled: 1-line block ×5, first 2 shown]
	s_mul_i32 s8, s35, 6
	s_mov_b32 s3, exec_lo
	ds_store_b128 v77, v[91:94]
	ds_store_b128 v77, v[95:98] offset:1024
	v_cmpx_gt_u32_e32 6, v0
	s_cbranch_execz .LBB523_80
; %bb.79:
	s_mul_i32 s4, s8, s30
	s_delay_alu instid0(SALU_CYCLE_1) | instskip(SKIP_1) | instid1(VALU_DEP_1)
	v_add3_u32 v77, s4, s31, v73
	s_load_b128 s[4:7], s[0:1], 0x58
	v_mad_u64_u32 v[73:74], null, v77, s34, s[14:15]
	s_delay_alu instid0(VALU_DEP_1) | instskip(NEXT) | instid1(VALU_DEP_1)
	v_ashrrev_i32_e32 v74, 31, v73
	v_lshlrev_b64 v[73:74], 2, v[73:74]
	s_waitcnt lgkmcnt(0)
	s_delay_alu instid0(VALU_DEP_1) | instskip(NEXT) | instid1(VALU_DEP_2)
	v_add_co_u32 v77, vcc_lo, s6, v73
	v_add_co_ci_u32_e32 v78, vcc_lo, s7, v74, vcc_lo
	v_add_co_u32 v73, vcc_lo, s4, v73
	v_add_co_ci_u32_e32 v74, vcc_lo, s5, v74, vcc_lo
	global_store_b32 v[77:78], v75, off
	global_store_b32 v[73:74], v76, off
.LBB523_80:
	s_or_b32 exec_lo, exec_lo, s3
	s_waitcnt lgkmcnt(0)
	s_waitcnt_vscnt null, 0x0
	s_barrier
	buffer_gl0_inv
	ds_load_b128 v[91:94], v85
	ds_load_b128 v[95:98], v85 offset:16
	ds_load_b128 v[103:106], v85 offset:1040
	ds_load_b128 v[99:102], v85 offset:1024
	v_mov_b32_e32 v73, 0
	ds_load_b128 v[111:114], v85 offset:2064
	ds_load_b128 v[107:110], v85 offset:2048
	;; [unrolled: 1-line block ×6, first 2 shown]
	v_mov_b32_e32 v74, v73
	v_mov_b32_e32 v75, v73
	v_mov_b32_e32 v76, v73
	v_mov_b32_e32 v77, v73
	v_mov_b32_e32 v78, v73
	v_mov_b32_e32 v79, v73
	v_mov_b32_e32 v80, v73
	s_waitcnt lgkmcnt(8)
	s_delay_alu instid0(VALU_DEP_1)
	v_wmma_f32_16x16x16_bf16 v[73:80], v[65:72], v[91:98], v[73:80]
	ds_load_b128 v[69:72], v85 offset:5136
	ds_load_b128 v[65:68], v85 offset:5120
	ds_load_b128 v[95:98], v85 offset:6160
	ds_load_b128 v[91:94], v85 offset:6144
	s_waitcnt lgkmcnt(10)
	v_wmma_f32_16x16x16_bf16 v[73:80], v[57:64], v[99:106], v[73:80]
	s_waitcnt lgkmcnt(8)
	s_delay_alu instid0(VALU_DEP_1)
	v_wmma_f32_16x16x16_bf16 v[73:80], v[57:64], v[107:114], v[73:80]
	ds_load_b128 v[61:64], v85 offset:7184
	ds_load_b128 v[57:60], v85 offset:7168
	;; [unrolled: 1-line block ×4, first 2 shown]
	s_waitcnt lgkmcnt(10)
	v_wmma_f32_16x16x16_bf16 v[73:80], v[49:56], v[115:122], v[73:80]
	s_waitcnt lgkmcnt(8)
	s_delay_alu instid0(VALU_DEP_1)
	v_wmma_f32_16x16x16_bf16 v[73:80], v[49:56], v[123:130], v[73:80]
	ds_load_b128 v[53:56], v85 offset:9232
	ds_load_b128 v[49:52], v85 offset:9216
	s_waitcnt lgkmcnt(8)
	v_wmma_f32_16x16x16_bf16 v[73:80], v[41:48], v[65:72], v[73:80]
	ds_load_b128 v[69:72], v85 offset:10256
	ds_load_b128 v[65:68], v85 offset:10240
	s_waitcnt lgkmcnt(8)
	;; [unrolled: 4-line block ×3, first 2 shown]
	v_wmma_f32_16x16x16_bf16 v[73:80], v[9:16], v[57:64], v[73:80]
	s_waitcnt lgkmcnt(6)
	s_delay_alu instid0(VALU_DEP_1)
	v_wmma_f32_16x16x16_bf16 v[73:80], v[9:16], v[99:106], v[73:80]
	ds_load_b128 v[13:16], v85 offset:12304
	ds_load_b128 v[9:12], v85 offset:12288
	s_waitcnt lgkmcnt(6)
	v_wmma_f32_16x16x16_bf16 v[73:80], v[1:8], v[49:56], v[73:80]
	ds_load_b128 v[53:56], v85 offset:13328
	ds_load_b128 v[49:52], v85 offset:13312
	s_waitcnt lgkmcnt(6)
	;; [unrolled: 4-line block ×4, first 2 shown]
	v_wmma_f32_16x16x16_bf16 v[73:80], v[33:40], v[9:16], v[73:80]
	s_waitcnt lgkmcnt(4)
	s_delay_alu instid0(VALU_DEP_1) | instskip(SKIP_1) | instid1(VALU_DEP_1)
	v_wmma_f32_16x16x16_bf16 v[73:80], v[25:32], v[49:56], v[73:80]
	s_waitcnt lgkmcnt(2)
	v_wmma_f32_16x16x16_bf16 v[73:80], v[25:32], v[1:8], v[73:80]
	s_waitcnt lgkmcnt(0)
	s_delay_alu instid0(VALU_DEP_1) | instskip(NEXT) | instid1(VALU_DEP_1)
	v_wmma_f32_16x16x16_bf16 v[73:80], v[17:24], v[41:48], v[73:80]
	v_and_b32_e32 v1, 0x7f800000, v73
	s_delay_alu instid0(VALU_DEP_1) | instskip(SKIP_1) | instid1(SALU_CYCLE_1)
	v_cmp_ne_u32_e32 vcc_lo, 0x7f800000, v1
                                        ; implicit-def: $vgpr1
	s_and_saveexec_b32 s3, vcc_lo
	s_xor_b32 s3, exec_lo, s3
; %bb.81:
	v_bfe_u32 v1, v73, 16, 1
	s_delay_alu instid0(VALU_DEP_1)
	v_add3_u32 v1, v73, v1, 0x7fff
; %bb.82:
	s_and_not1_saveexec_b32 s3, s3
; %bb.83:
	v_and_b32_e32 v1, 0xffff, v73
	v_or_b32_e32 v2, 0x10000, v73
	s_delay_alu instid0(VALU_DEP_2) | instskip(NEXT) | instid1(VALU_DEP_2)
	v_cmp_eq_u32_e32 vcc_lo, 0, v1
	v_cndmask_b32_e32 v1, v2, v73, vcc_lo
; %bb.84:
	s_or_b32 exec_lo, exec_lo, s3
	v_and_b32_e32 v2, 0x7f800000, v74
	s_delay_alu instid0(VALU_DEP_1) | instskip(SKIP_1) | instid1(SALU_CYCLE_1)
	v_cmp_ne_u32_e32 vcc_lo, 0x7f800000, v2
                                        ; implicit-def: $vgpr2
	s_and_saveexec_b32 s3, vcc_lo
	s_xor_b32 s3, exec_lo, s3
; %bb.85:
	v_bfe_u32 v2, v74, 16, 1
	s_delay_alu instid0(VALU_DEP_1)
	v_add3_u32 v2, v74, v2, 0x7fff
; %bb.86:
	s_and_not1_saveexec_b32 s3, s3
; %bb.87:
	v_and_b32_e32 v2, 0xffff, v74
	v_or_b32_e32 v3, 0x10000, v74
	s_delay_alu instid0(VALU_DEP_2) | instskip(NEXT) | instid1(VALU_DEP_2)
	v_cmp_eq_u32_e32 vcc_lo, 0, v2
	v_cndmask_b32_e32 v2, v3, v74, vcc_lo
; %bb.88:
	s_or_b32 exec_lo, exec_lo, s3
	v_and_b32_e32 v3, 0x7f800000, v75
	s_delay_alu instid0(VALU_DEP_1) | instskip(SKIP_1) | instid1(SALU_CYCLE_1)
	v_cmp_ne_u32_e32 vcc_lo, 0x7f800000, v3
                                        ; implicit-def: $vgpr3
	s_and_saveexec_b32 s3, vcc_lo
	s_xor_b32 s3, exec_lo, s3
; %bb.89:
	v_bfe_u32 v3, v75, 16, 1
	s_delay_alu instid0(VALU_DEP_1)
	v_add3_u32 v3, v75, v3, 0x7fff
; %bb.90:
	s_and_not1_saveexec_b32 s3, s3
; %bb.91:
	v_and_b32_e32 v3, 0xffff, v75
	v_or_b32_e32 v4, 0x10000, v75
	s_delay_alu instid0(VALU_DEP_2) | instskip(NEXT) | instid1(VALU_DEP_2)
	v_cmp_eq_u32_e32 vcc_lo, 0, v3
	v_cndmask_b32_e32 v3, v4, v75, vcc_lo
; %bb.92:
	s_or_b32 exec_lo, exec_lo, s3
	v_and_b32_e32 v4, 0x7f800000, v76
	s_delay_alu instid0(VALU_DEP_1) | instskip(SKIP_1) | instid1(SALU_CYCLE_1)
	v_cmp_ne_u32_e32 vcc_lo, 0x7f800000, v4
                                        ; implicit-def: $vgpr4
	s_and_saveexec_b32 s3, vcc_lo
	s_xor_b32 s3, exec_lo, s3
; %bb.93:
	v_bfe_u32 v4, v76, 16, 1
	s_delay_alu instid0(VALU_DEP_1)
	v_add3_u32 v4, v76, v4, 0x7fff
; %bb.94:
	s_and_not1_saveexec_b32 s3, s3
; %bb.95:
	v_and_b32_e32 v4, 0xffff, v76
	v_or_b32_e32 v5, 0x10000, v76
	s_delay_alu instid0(VALU_DEP_2) | instskip(NEXT) | instid1(VALU_DEP_2)
	v_cmp_eq_u32_e32 vcc_lo, 0, v4
	v_cndmask_b32_e32 v4, v5, v76, vcc_lo
; %bb.96:
	s_or_b32 exec_lo, exec_lo, s3
	v_and_b32_e32 v5, 0x7f800000, v77
	s_delay_alu instid0(VALU_DEP_1) | instskip(SKIP_1) | instid1(SALU_CYCLE_1)
	v_cmp_ne_u32_e32 vcc_lo, 0x7f800000, v5
                                        ; implicit-def: $vgpr5
	s_and_saveexec_b32 s3, vcc_lo
	s_xor_b32 s3, exec_lo, s3
; %bb.97:
	v_bfe_u32 v5, v77, 16, 1
	s_delay_alu instid0(VALU_DEP_1)
	v_add3_u32 v5, v77, v5, 0x7fff
; %bb.98:
	s_and_not1_saveexec_b32 s3, s3
; %bb.99:
	v_and_b32_e32 v5, 0xffff, v77
	v_or_b32_e32 v6, 0x10000, v77
	s_delay_alu instid0(VALU_DEP_2) | instskip(NEXT) | instid1(VALU_DEP_2)
	v_cmp_eq_u32_e32 vcc_lo, 0, v5
	v_cndmask_b32_e32 v5, v6, v77, vcc_lo
; %bb.100:
	s_or_b32 exec_lo, exec_lo, s3
	v_and_b32_e32 v6, 0x7f800000, v78
	s_delay_alu instid0(VALU_DEP_1) | instskip(SKIP_1) | instid1(SALU_CYCLE_1)
	v_cmp_ne_u32_e32 vcc_lo, 0x7f800000, v6
                                        ; implicit-def: $vgpr6
	s_and_saveexec_b32 s3, vcc_lo
	s_xor_b32 s3, exec_lo, s3
; %bb.101:
	v_bfe_u32 v6, v78, 16, 1
	s_delay_alu instid0(VALU_DEP_1)
	v_add3_u32 v6, v78, v6, 0x7fff
; %bb.102:
	s_and_not1_saveexec_b32 s3, s3
; %bb.103:
	v_and_b32_e32 v6, 0xffff, v78
	v_or_b32_e32 v7, 0x10000, v78
	s_delay_alu instid0(VALU_DEP_2) | instskip(NEXT) | instid1(VALU_DEP_2)
	v_cmp_eq_u32_e32 vcc_lo, 0, v6
	v_cndmask_b32_e32 v6, v7, v78, vcc_lo
; %bb.104:
	s_or_b32 exec_lo, exec_lo, s3
	v_and_b32_e32 v7, 0x7f800000, v79
	s_delay_alu instid0(VALU_DEP_1) | instskip(SKIP_1) | instid1(SALU_CYCLE_1)
	v_cmp_ne_u32_e32 vcc_lo, 0x7f800000, v7
                                        ; implicit-def: $vgpr7
	s_and_saveexec_b32 s3, vcc_lo
	s_xor_b32 s3, exec_lo, s3
; %bb.105:
	v_bfe_u32 v7, v79, 16, 1
	s_delay_alu instid0(VALU_DEP_1)
	v_add3_u32 v7, v79, v7, 0x7fff
; %bb.106:
	s_and_not1_saveexec_b32 s3, s3
; %bb.107:
	v_and_b32_e32 v7, 0xffff, v79
	v_or_b32_e32 v8, 0x10000, v79
	s_delay_alu instid0(VALU_DEP_2) | instskip(NEXT) | instid1(VALU_DEP_2)
	v_cmp_eq_u32_e32 vcc_lo, 0, v7
	v_cndmask_b32_e32 v7, v8, v79, vcc_lo
; %bb.108:
	s_or_b32 exec_lo, exec_lo, s3
	v_and_b32_e32 v8, 0x7f800000, v80
	s_delay_alu instid0(VALU_DEP_1) | instskip(SKIP_1) | instid1(SALU_CYCLE_1)
	v_cmp_ne_u32_e32 vcc_lo, 0x7f800000, v8
                                        ; implicit-def: $vgpr8
	s_and_saveexec_b32 s3, vcc_lo
	s_xor_b32 s3, exec_lo, s3
; %bb.109:
	v_bfe_u32 v8, v80, 16, 1
	s_delay_alu instid0(VALU_DEP_1)
	v_add3_u32 v8, v80, v8, 0x7fff
                                        ; implicit-def: $vgpr73_vgpr74_vgpr75_vgpr76_vgpr77_vgpr78_vgpr79_vgpr80
; %bb.110:
	s_and_not1_saveexec_b32 s3, s3
; %bb.111:
	v_and_b32_e32 v8, 0xffff, v80
	v_or_b32_e32 v9, 0x10000, v80
	s_delay_alu instid0(VALU_DEP_2) | instskip(NEXT) | instid1(VALU_DEP_2)
	v_cmp_eq_u32_e32 vcc_lo, 0, v8
	v_cndmask_b32_e32 v8, v9, v80, vcc_lo
; %bb.112:
	s_or_b32 exec_lo, exec_lo, s3
	s_delay_alu instid0(VALU_DEP_1)
	v_perm_b32 v7, v8, v7, 0x7060302
	v_perm_b32 v6, v6, v5, 0x7060302
	;; [unrolled: 1-line block ×4, first 2 shown]
	v_lshl_or_b32 v9, v83, 4, v90
	s_barrier
	buffer_gl0_inv
	v_cmp_eq_u32_e32 vcc_lo, 1, v87
	ds_store_b128 v9, v[4:7]
	s_waitcnt lgkmcnt(0)
	s_barrier
	buffer_gl0_inv
	ds_load_b128 v[1:4], v90
	ds_load_b128 v[5:8], v90 offset:16
	v_cmp_eq_u32_e64 s4, 2, v87
	v_cmp_eq_u32_e64 s3, 1, v88
	;; [unrolled: 1-line block ×5, first 2 shown]
	s_waitcnt lgkmcnt(1)
	v_lshrrev_b32_e32 v10, 16, v1
	s_waitcnt lgkmcnt(0)
	v_lshrrev_b32_e32 v14, 16, v5
	v_lshrrev_b32_e32 v15, 16, v6
	;; [unrolled: 1-line block ×4, first 2 shown]
	v_cndmask_b32_e64 v20, v1, v10, s3
	v_cndmask_b32_e32 v19, v5, v14, vcc_lo
	v_cndmask_b32_e64 v21, v5, v14, s3
	v_lshrrev_b32_e32 v16, 16, v7
	v_cmp_eq_u32_e64 s3, 1, v86
	v_lshrrev_b32_e32 v13, 16, v4
	v_cndmask_b32_e64 v19, v19, v6, s4
	v_lshrrev_b32_e32 v17, 16, v8
	s_delay_alu instid0(VALU_DEP_4) | instskip(SKIP_1) | instid1(VALU_DEP_4)
	v_cndmask_b32_e64 v22, v1, v10, s3
	v_cndmask_b32_e64 v23, v5, v14, s3
	;; [unrolled: 1-line block ×3, first 2 shown]
	v_cndmask_b32_e32 v18, v1, v10, vcc_lo
	v_cmp_eq_u32_e32 vcc_lo, 2, v88
	v_cmp_eq_u32_e64 s3, 2, v89
	v_cndmask_b32_e64 v22, v22, v2, s7
	v_cndmask_b32_e32 v20, v20, v2, vcc_lo
	v_cndmask_b32_e32 v21, v21, v6, vcc_lo
	v_cmp_eq_u32_e32 vcc_lo, 4, v87
	v_cndmask_b32_e32 v19, v19, v7, vcc_lo
	v_cndmask_b32_e64 v18, v18, v2, s4
	v_cmp_eq_u32_e64 s4, 3, v88
	s_delay_alu instid0(VALU_DEP_2) | instskip(NEXT) | instid1(VALU_DEP_2)
	v_cndmask_b32_e64 v18, v18, v11, s5
	v_cndmask_b32_e64 v21, v21, v15, s4
	v_cmp_eq_u32_e64 s5, 5, v87
	s_delay_alu instid0(VALU_DEP_3) | instskip(SKIP_1) | instid1(VALU_DEP_3)
	v_cndmask_b32_e32 v18, v18, v3, vcc_lo
	v_cmp_eq_u32_e32 vcc_lo, 4, v88
	v_cndmask_b32_e64 v19, v19, v16, s5
	s_delay_alu instid0(VALU_DEP_3) | instskip(SKIP_4) | instid1(VALU_DEP_3)
	v_cndmask_b32_e64 v18, v18, v12, s5
	v_cndmask_b32_e32 v21, v21, v7, vcc_lo
	v_cndmask_b32_e64 v20, v20, v11, s4
	v_cmp_eq_u32_e64 s4, 5, v88
	v_cmp_eq_u32_e64 s5, 6, v87
	v_cndmask_b32_e32 v20, v20, v3, vcc_lo
	s_delay_alu instid0(VALU_DEP_3) | instskip(SKIP_1) | instid1(VALU_DEP_4)
	v_cndmask_b32_e64 v21, v21, v16, s4
	v_cmp_eq_u32_e32 vcc_lo, 6, v88
	v_cndmask_b32_e64 v18, v18, v4, s5
	v_cndmask_b32_e64 v19, v19, v8, s5
	v_cndmask_b32_e64 v20, v20, v12, s4
	v_cmp_eq_u32_e64 s4, 1, v89
	v_cmp_eq_u32_e64 s5, 7, v87
	s_delay_alu instid0(VALU_DEP_3) | instskip(NEXT) | instid1(VALU_DEP_3)
	v_cndmask_b32_e32 v20, v20, v4, vcc_lo
	v_cndmask_b32_e64 v1, v1, v10, s4
	v_cndmask_b32_e64 v5, v5, v14, s4
	v_cmp_eq_u32_e64 s4, 3, v86
	v_cndmask_b32_e64 v14, v23, v6, s7
	v_cmp_eq_u32_e64 s7, 3, v89
	v_cndmask_b32_e64 v1, v1, v2, s3
	v_cndmask_b32_e64 v2, v5, v6, s3
	;; [unrolled: 1-line block ×3, first 2 shown]
	v_cmp_eq_u32_e64 s3, 4, v86
	v_cndmask_b32_e64 v6, v14, v15, s4
	v_cndmask_b32_e64 v1, v1, v11, s7
	v_cmp_eq_u32_e64 s4, 4, v89
	v_cndmask_b32_e64 v2, v2, v15, s7
	v_cndmask_b32_e64 v5, v10, v3, s3
	;; [unrolled: 3-line block ×3, first 2 shown]
	v_cndmask_b32_e64 v2, v2, v7, s4
	v_cmp_eq_u32_e64 s3, 5, v89
	v_cndmask_b32_e64 v5, v5, v12, s7
	v_cmp_eq_u32_e64 s4, 6, v86
	;; [unrolled: 2-line block ×3, first 2 shown]
	v_cndmask_b32_e64 v1, v1, v12, s3
	v_cndmask_b32_e64 v2, v2, v16, s3
	;; [unrolled: 1-line block ×4, first 2 shown]
	v_cmp_eq_u32_e64 s3, 7, v89
	v_cndmask_b32_e64 v1, v1, v4, s7
	v_cndmask_b32_e64 v2, v2, v8, s7
	v_cmp_eq_u32_e64 s4, 7, v86
	v_cndmask_b32_e32 v4, v21, v8, vcc_lo
	v_cndmask_b32_e64 v18, v18, v13, s5
	v_cndmask_b32_e64 v20, v20, v13, s6
	;; [unrolled: 1-line block ×8, first 2 shown]
	v_cmp_gt_u32_e32 vcc_lo, 32, v0
	v_perm_b32 v4, v2, v1, 0x5040100
	v_perm_b32 v3, v3, v5, 0x5040100
	;; [unrolled: 1-line block ×4, first 2 shown]
	s_and_b32 s2, vcc_lo, s2
	ds_store_b128 v9, v[1:4]
	s_waitcnt lgkmcnt(0)
	s_barrier
	buffer_gl0_inv
	s_and_saveexec_b32 s3, s2
	s_cbranch_execz .LBB523_2
; %bb.113:
	s_load_b64 s[0:1], s[0:1], 0x68
	s_lshl_b32 s4, s34, 6
	v_or_b32_e32 v3, s31, v83
	s_mul_i32 s2, s4, s30
	v_lshlrev_b32_e32 v0, 10, v0
	s_mul_i32 s2, s2, s8
	v_lshlrev_b32_e32 v1, 4, v84
	s_ashr_i32 s3, s2, 31
	v_mul_lo_u32 v12, v3, s4
	s_lshl_b64 s[2:3], s[2:3], 1
	v_lshlrev_b32_e32 v2, 6, v83
	v_and_b32_e32 v0, 0x3800, v0
	s_delay_alu instid0(VALU_DEP_1) | instskip(NEXT) | instid1(VALU_DEP_4)
	v_or3_b32 v8, v0, v1, v2
	v_ashrrev_i32_e32 v13, 31, v12
	ds_load_b128 v[0:3], v8
	ds_load_b128 v[4:7], v8 offset:128
	ds_load_b128 v[8:11], v8 offset:256
	s_waitcnt lgkmcnt(0)
	s_add_u32 s2, s0, s2
	s_addc_u32 s3, s1, s3
	s_lshl_b32 s0, s14, 6
	s_delay_alu instid0(SALU_CYCLE_1) | instskip(NEXT) | instid1(SALU_CYCLE_1)
	s_ashr_i32 s1, s0, 31
	s_lshl_b64 s[0:1], s[0:1], 1
	s_delay_alu instid0(SALU_CYCLE_1)
	s_add_u32 s0, s2, s0
	s_addc_u32 s1, s3, s1
	s_lshl_b32 s2, s34, 7
	v_add_co_u32 v18, vcc_lo, s0, v81
	v_add_nc_u32_e32 v14, s2, v12
	v_lshlrev_b64 v[12:13], 1, v[12:13]
	v_add_co_ci_u32_e32 v19, vcc_lo, s1, v82, vcc_lo
	s_delay_alu instid0(VALU_DEP_3) | instskip(SKIP_1) | instid1(VALU_DEP_4)
	v_add_nc_u32_e32 v16, s2, v14
	v_ashrrev_i32_e32 v15, 31, v14
	v_add_co_u32 v12, vcc_lo, v18, v12
	s_delay_alu instid0(VALU_DEP_4) | instskip(NEXT) | instid1(VALU_DEP_4)
	v_add_co_ci_u32_e32 v13, vcc_lo, v19, v13, vcc_lo
	v_ashrrev_i32_e32 v17, 31, v16
	s_delay_alu instid0(VALU_DEP_4) | instskip(NEXT) | instid1(VALU_DEP_2)
	v_lshlrev_b64 v[14:15], 1, v[14:15]
	v_lshlrev_b64 v[16:17], 1, v[16:17]
	s_delay_alu instid0(VALU_DEP_2) | instskip(NEXT) | instid1(VALU_DEP_3)
	v_add_co_u32 v14, vcc_lo, v18, v14
	v_add_co_ci_u32_e32 v15, vcc_lo, v19, v15, vcc_lo
	s_delay_alu instid0(VALU_DEP_3) | instskip(NEXT) | instid1(VALU_DEP_4)
	v_add_co_u32 v16, vcc_lo, v18, v16
	v_add_co_ci_u32_e32 v17, vcc_lo, v19, v17, vcc_lo
	s_clause 0x2
	global_store_b128 v[12:13], v[0:3], off
	global_store_b128 v[14:15], v[4:7], off
	;; [unrolled: 1-line block ×3, first 2 shown]
	s_nop 0
	s_sendmsg sendmsg(MSG_DEALLOC_VGPRS)
	s_endpgm
	.section	.rodata,"a",@progbits
	.p2align	6, 0x0
	.amdhsa_kernel _Z39paged_attention_ll4mi_QKV_mfma16_kernelI14__hip_bfloat16S0_LN4vllm18Fp8KVCacheDataTypeE0EhLi32ELi64ELi256ELb0ELi6EL8MFMAType0EEvPKT_PKT0_S9_ifPKiSB_SB_iPKfiiiPfSE_PS4_PT2_iSD_SD_
		.amdhsa_group_segment_fixed_size 17472
		.amdhsa_private_segment_fixed_size 0
		.amdhsa_kernarg_size 400
		.amdhsa_user_sgpr_count 13
		.amdhsa_user_sgpr_dispatch_ptr 0
		.amdhsa_user_sgpr_queue_ptr 0
		.amdhsa_user_sgpr_kernarg_segment_ptr 1
		.amdhsa_user_sgpr_dispatch_id 0
		.amdhsa_user_sgpr_private_segment_size 0
		.amdhsa_wavefront_size32 1
		.amdhsa_uses_dynamic_stack 0
		.amdhsa_enable_private_segment 0
		.amdhsa_system_sgpr_workgroup_id_x 1
		.amdhsa_system_sgpr_workgroup_id_y 1
		.amdhsa_system_sgpr_workgroup_id_z 1
		.amdhsa_system_sgpr_workgroup_info 0
		.amdhsa_system_vgpr_workitem_id 0
		.amdhsa_next_free_vgpr 142
		.amdhsa_next_free_sgpr 38
		.amdhsa_reserve_vcc 1
		.amdhsa_float_round_mode_32 0
		.amdhsa_float_round_mode_16_64 0
		.amdhsa_float_denorm_mode_32 3
		.amdhsa_float_denorm_mode_16_64 3
		.amdhsa_dx10_clamp 1
		.amdhsa_ieee_mode 1
		.amdhsa_fp16_overflow 0
		.amdhsa_workgroup_processor_mode 1
		.amdhsa_memory_ordered 1
		.amdhsa_forward_progress 0
		.amdhsa_shared_vgpr_count 0
		.amdhsa_exception_fp_ieee_invalid_op 0
		.amdhsa_exception_fp_denorm_src 0
		.amdhsa_exception_fp_ieee_div_zero 0
		.amdhsa_exception_fp_ieee_overflow 0
		.amdhsa_exception_fp_ieee_underflow 0
		.amdhsa_exception_fp_ieee_inexact 0
		.amdhsa_exception_int_div_zero 0
	.end_amdhsa_kernel
	.section	.text._Z39paged_attention_ll4mi_QKV_mfma16_kernelI14__hip_bfloat16S0_LN4vllm18Fp8KVCacheDataTypeE0EhLi32ELi64ELi256ELb0ELi6EL8MFMAType0EEvPKT_PKT0_S9_ifPKiSB_SB_iPKfiiiPfSE_PS4_PT2_iSD_SD_,"axG",@progbits,_Z39paged_attention_ll4mi_QKV_mfma16_kernelI14__hip_bfloat16S0_LN4vllm18Fp8KVCacheDataTypeE0EhLi32ELi64ELi256ELb0ELi6EL8MFMAType0EEvPKT_PKT0_S9_ifPKiSB_SB_iPKfiiiPfSE_PS4_PT2_iSD_SD_,comdat
.Lfunc_end523:
	.size	_Z39paged_attention_ll4mi_QKV_mfma16_kernelI14__hip_bfloat16S0_LN4vllm18Fp8KVCacheDataTypeE0EhLi32ELi64ELi256ELb0ELi6EL8MFMAType0EEvPKT_PKT0_S9_ifPKiSB_SB_iPKfiiiPfSE_PS4_PT2_iSD_SD_, .Lfunc_end523-_Z39paged_attention_ll4mi_QKV_mfma16_kernelI14__hip_bfloat16S0_LN4vllm18Fp8KVCacheDataTypeE0EhLi32ELi64ELi256ELb0ELi6EL8MFMAType0EEvPKT_PKT0_S9_ifPKiSB_SB_iPKfiiiPfSE_PS4_PT2_iSD_SD_
                                        ; -- End function
	.section	.AMDGPU.csdata,"",@progbits
; Kernel info:
; codeLenInByte = 9384
; NumSgprs: 40
; NumVgprs: 142
; ScratchSize: 0
; MemoryBound: 0
; FloatMode: 240
; IeeeMode: 1
; LDSByteSize: 17472 bytes/workgroup (compile time only)
; SGPRBlocks: 4
; VGPRBlocks: 17
; NumSGPRsForWavesPerEU: 40
; NumVGPRsForWavesPerEU: 142
; Occupancy: 10
; WaveLimiterHint : 1
; COMPUTE_PGM_RSRC2:SCRATCH_EN: 0
; COMPUTE_PGM_RSRC2:USER_SGPR: 13
; COMPUTE_PGM_RSRC2:TRAP_HANDLER: 0
; COMPUTE_PGM_RSRC2:TGID_X_EN: 1
; COMPUTE_PGM_RSRC2:TGID_Y_EN: 1
; COMPUTE_PGM_RSRC2:TGID_Z_EN: 1
; COMPUTE_PGM_RSRC2:TIDIG_COMP_CNT: 0
	.section	.text._Z39paged_attention_ll4mi_QKV_mfma16_kernelI14__hip_bfloat16S0_LN4vllm18Fp8KVCacheDataTypeE0EhLi32ELi64ELi256ELb0ELi7EL8MFMAType0EEvPKT_PKT0_S9_ifPKiSB_SB_iPKfiiiPfSE_PS4_PT2_iSD_SD_,"axG",@progbits,_Z39paged_attention_ll4mi_QKV_mfma16_kernelI14__hip_bfloat16S0_LN4vllm18Fp8KVCacheDataTypeE0EhLi32ELi64ELi256ELb0ELi7EL8MFMAType0EEvPKT_PKT0_S9_ifPKiSB_SB_iPKfiiiPfSE_PS4_PT2_iSD_SD_,comdat
	.protected	_Z39paged_attention_ll4mi_QKV_mfma16_kernelI14__hip_bfloat16S0_LN4vllm18Fp8KVCacheDataTypeE0EhLi32ELi64ELi256ELb0ELi7EL8MFMAType0EEvPKT_PKT0_S9_ifPKiSB_SB_iPKfiiiPfSE_PS4_PT2_iSD_SD_ ; -- Begin function _Z39paged_attention_ll4mi_QKV_mfma16_kernelI14__hip_bfloat16S0_LN4vllm18Fp8KVCacheDataTypeE0EhLi32ELi64ELi256ELb0ELi7EL8MFMAType0EEvPKT_PKT0_S9_ifPKiSB_SB_iPKfiiiPfSE_PS4_PT2_iSD_SD_
	.globl	_Z39paged_attention_ll4mi_QKV_mfma16_kernelI14__hip_bfloat16S0_LN4vllm18Fp8KVCacheDataTypeE0EhLi32ELi64ELi256ELb0ELi7EL8MFMAType0EEvPKT_PKT0_S9_ifPKiSB_SB_iPKfiiiPfSE_PS4_PT2_iSD_SD_
	.p2align	8
	.type	_Z39paged_attention_ll4mi_QKV_mfma16_kernelI14__hip_bfloat16S0_LN4vllm18Fp8KVCacheDataTypeE0EhLi32ELi64ELi256ELb0ELi7EL8MFMAType0EEvPKT_PKT0_S9_ifPKiSB_SB_iPKfiiiPfSE_PS4_PT2_iSD_SD_,@function
_Z39paged_attention_ll4mi_QKV_mfma16_kernelI14__hip_bfloat16S0_LN4vllm18Fp8KVCacheDataTypeE0EhLi32ELi64ELi256ELb0ELi7EL8MFMAType0EEvPKT_PKT0_S9_ifPKiSB_SB_iPKfiiiPfSE_PS4_PT2_iSD_SD_: ; @_Z39paged_attention_ll4mi_QKV_mfma16_kernelI14__hip_bfloat16S0_LN4vllm18Fp8KVCacheDataTypeE0EhLi32ELi64ELi256ELb0ELi7EL8MFMAType0EEvPKT_PKT0_S9_ifPKiSB_SB_iPKfiiiPfSE_PS4_PT2_iSD_SD_
; %bb.0:
	s_load_b64 s[2:3], s[0:1], 0x30
	s_mov_b32 s34, s13
	s_waitcnt lgkmcnt(0)
	s_cmp_lg_u64 s[2:3], 0
	s_cselect_b32 s6, -1, 0
	s_ashr_i32 s35, s13, 31
	s_cmp_eq_u64 s[2:3], 0
	s_cbranch_scc1 .LBB524_3
; %bb.1:
	s_lshl_b64 s[4:5], s[34:35], 2
	s_delay_alu instid0(SALU_CYCLE_1) | instskip(SKIP_4) | instid1(SALU_CYCLE_1)
	s_add_u32 s4, s2, s4
	s_addc_u32 s5, s3, s5
	s_load_b64 s[4:5], s[4:5], 0x0
	s_waitcnt lgkmcnt(0)
	s_sub_i32 s4, s5, s4
	s_cmp_eq_u32 s4, 1
	s_cselect_b32 s4, -1, 0
	s_delay_alu instid0(SALU_CYCLE_1)
	s_and_not1_b32 vcc_lo, exec_lo, s4
	s_cbranch_vccz .LBB524_4
.LBB524_2:
	s_nop 0
	s_sendmsg sendmsg(MSG_DEALLOC_VGPRS)
	s_endpgm
.LBB524_3:
.LBB524_4:
	s_load_b64 s[8:9], s[0:1], 0x28
	s_lshl_b64 s[4:5], s[34:35], 2
	s_waitcnt lgkmcnt(0)
	s_add_u32 s8, s8, s4
	s_addc_u32 s9, s9, s5
	s_lshl_b32 s16, s14, 8
	s_load_b32 s18, s[8:9], 0x0
	s_waitcnt lgkmcnt(0)
	s_cmp_ge_i32 s16, s18
	s_cbranch_scc1 .LBB524_2
; %bb.5:
	s_and_not1_b32 vcc_lo, exec_lo, s6
	s_cbranch_vccnz .LBB524_7
; %bb.6:
	s_add_u32 s2, s2, s4
	s_addc_u32 s3, s3, s5
	s_load_b32 s17, s[2:3], 0x0
	s_branch .LBB524_8
.LBB524_7:
	s_mov_b32 s17, s34
.LBB524_8:
	s_clause 0x2
	s_load_b128 s[8:11], s[0:1], 0x8
	s_load_b64 s[12:13], s[0:1], 0x20
	s_load_b128 s[4:7], s[0:1], 0x48
	v_lshrrev_b32_e32 v74, 5, v0
	v_bfe_u32 v83, v0, 4, 1
	v_and_b32_e32 v73, 15, v0
	s_delay_alu instid0(VALU_DEP_2) | instskip(NEXT) | instid1(VALU_DEP_2)
	v_lshl_or_b32 v3, v74, 1, v83
	v_cmp_lt_u32_e64 s3, 7, v73
	v_lshlrev_b32_e32 v1, 3, v73
	v_cmp_gt_u32_e64 s2, 8, v73
	s_delay_alu instid0(VALU_DEP_4) | instskip(NEXT) | instid1(VALU_DEP_4)
	v_cmp_lt_u32_e32 vcc_lo, 6, v3
	s_or_b32 s3, s3, vcc_lo
	s_waitcnt lgkmcnt(0)
	s_and_saveexec_b32 s7, s3
	s_delay_alu instid0(SALU_CYCLE_1)
	s_xor_b32 s3, exec_lo, s7
; %bb.9:
	v_mov_b32_e32 v2, 0
                                        ; implicit-def: $vgpr3
; %bb.10:
	s_or_saveexec_b32 s3, s3
	v_and_b32_e32 v75, 31, v0
	v_and_b32_e32 v84, 1, v0
	s_mul_i32 s31, s15, 7
	s_xor_b32 exec_lo, exec_lo, s3
	s_cbranch_execz .LBB524_12
; %bb.11:
	s_load_b64 s[20:21], s[0:1], 0x0
	v_add_lshl_u32 v4, v3, s31, 6
	s_mul_hi_i32 s23, s17, s4
	s_mul_i32 s22, s17, s4
	v_lshlrev_b32_e32 v2, 1, v1
	s_lshl_b64 s[22:23], s[22:23], 1
	v_ashrrev_i32_e32 v5, 31, v4
	v_lshlrev_b32_e32 v3, 6, v3
	v_lshlrev_b32_e32 v8, 10, v84
	s_delay_alu instid0(VALU_DEP_3) | instskip(SKIP_3) | instid1(VALU_DEP_1)
	v_lshlrev_b64 v[4:5], 1, v[4:5]
	s_waitcnt lgkmcnt(0)
	s_add_u32 s4, s20, s22
	s_addc_u32 s7, s21, s23
	v_add_co_u32 v4, vcc_lo, s4, v4
	s_delay_alu instid0(VALU_DEP_2) | instskip(NEXT) | instid1(VALU_DEP_2)
	v_add_co_ci_u32_e32 v5, vcc_lo, s7, v5, vcc_lo
	v_add_co_u32 v4, vcc_lo, v4, v2
	s_delay_alu instid0(VALU_DEP_2) | instskip(SKIP_3) | instid1(VALU_DEP_1)
	v_add_co_ci_u32_e32 v5, vcc_lo, 0, v5, vcc_lo
	v_lshlrev_b32_e32 v2, 10, v73
	global_load_b128 v[4:7], v[4:5], off
	v_and_b32_e32 v2, 0x3800, v2
	v_or3_b32 v3, v2, v8, v3
	v_mov_b32_e32 v2, 0
	s_waitcnt vmcnt(0)
	ds_store_b128 v3, v[4:7]
.LBB524_12:
	s_or_b32 exec_lo, exec_lo, s3
	v_and_b32_e32 v3, 0xef, v0
	s_add_i32 s3, s18, 31
	s_clause 0x1
	s_load_b32 s4, s[0:1], 0x38
	s_load_b32 s19, s[0:1], 0x1c
	s_ashr_i32 s7, s3, 31
	v_add_nc_u32_e32 v3, s16, v3
	s_lshr_b32 s7, s7, 27
	s_waitcnt lgkmcnt(0)
	s_add_i32 s3, s3, s7
	s_barrier
	v_ashrrev_i32_e32 v4, 31, v3
	v_cmp_gt_i32_e32 vcc_lo, s18, v3
	s_ashr_i32 s3, s3, 5
	buffer_gl0_inv
	s_add_i32 s3, s3, -1
	v_lshrrev_b32_e32 v5, 27, v4
	v_or_b32_e32 v4, 16, v3
	s_mul_i32 s6, s15, s6
	v_lshlrev_b64 v[81:82], 1, v[1:2]
	s_delay_alu instid0(VALU_DEP_3) | instskip(NEXT) | instid1(VALU_DEP_3)
	v_add_nc_u32_e32 v6, v3, v5
	v_add_nc_u32_e32 v5, v4, v5
	s_mul_i32 s20, s34, s4
	s_delay_alu instid0(SALU_CYCLE_1) | instskip(NEXT) | instid1(VALU_DEP_2)
	s_ashr_i32 s21, s20, 31
	v_ashrrev_i32_e32 v6, 5, v6
	s_delay_alu instid0(VALU_DEP_2) | instskip(SKIP_1) | instid1(SALU_CYCLE_1)
	v_ashrrev_i32_e32 v5, 5, v5
	s_lshl_b64 s[20:21], s[20:21], 2
	s_add_u32 s4, s12, s20
	s_delay_alu instid0(VALU_DEP_2) | instskip(SKIP_3) | instid1(SALU_CYCLE_1)
	v_cndmask_b32_e32 v3, s3, v6, vcc_lo
	v_cmp_gt_i32_e32 vcc_lo, s18, v4
	s_addc_u32 s17, s13, s21
	s_ashr_i32 s7, s6, 31
	s_lshl_b64 s[6:7], s[6:7], 1
	v_cndmask_b32_e32 v5, s3, v5, vcc_lo
	v_ashrrev_i32_e32 v4, 31, v3
	s_add_u32 s15, s8, s6
	s_addc_u32 s28, s9, s7
	s_lshl_b32 s8, s14, 3
	v_ashrrev_i32_e32 v6, 31, v5
	v_lshlrev_b64 v[3:4], 2, v[3:4]
	s_ashr_i32 s9, s8, 31
	s_delay_alu instid0(SALU_CYCLE_1) | instskip(NEXT) | instid1(VALU_DEP_2)
	s_lshl_b64 s[8:9], s[8:9], 2
	v_lshlrev_b64 v[5:6], 2, v[5:6]
	s_add_u32 s8, s4, s8
	s_delay_alu instid0(VALU_DEP_2) | instskip(SKIP_1) | instid1(VALU_DEP_3)
	v_add_co_u32 v3, vcc_lo, s4, v3
	v_add_co_ci_u32_e32 v4, vcc_lo, s17, v4, vcc_lo
	v_add_co_u32 v5, vcc_lo, s4, v5
	s_delay_alu instid0(VALU_DEP_4)
	v_add_co_ci_u32_e32 v6, vcc_lo, s17, v6, vcc_lo
	s_addc_u32 s9, s17, s9
	s_clause 0x1
	global_load_b32 v7, v[3:4], off
	global_load_b32 v8, v[5:6], off
	s_or_b32 s12, s16, 32
	s_delay_alu instid0(SALU_CYCLE_1) | instskip(SKIP_2) | instid1(SALU_CYCLE_1)
	s_ashr_i32 s13, s12, 5
	s_cmp_lt_i32 s12, s18
	s_cselect_b32 s12, s13, s3
	s_ashr_i32 s13, s12, 31
	s_delay_alu instid0(SALU_CYCLE_1) | instskip(NEXT) | instid1(SALU_CYCLE_1)
	s_lshl_b64 s[12:13], s[12:13], 2
	s_add_u32 s12, s4, s12
	s_addc_u32 s13, s17, s13
	s_or_b32 s20, s16, 64
	s_delay_alu instid0(SALU_CYCLE_1) | instskip(SKIP_2) | instid1(SALU_CYCLE_1)
	s_ashr_i32 s21, s20, 5
	s_cmp_lt_i32 s20, s18
	s_cselect_b32 s20, s21, s3
	s_ashr_i32 s21, s20, 31
	s_delay_alu instid0(SALU_CYCLE_1) | instskip(NEXT) | instid1(SALU_CYCLE_1)
	s_lshl_b64 s[20:21], s[20:21], 2
	s_add_u32 s20, s4, s20
	s_addc_u32 s21, s17, s21
	;; [unrolled: 10-line block ×5, first 2 shown]
	s_clause 0x5
	s_load_b32 s29, s[8:9], 0x0
	s_load_b32 s30, s[12:13], 0x0
	s_load_b32 s33, s[20:21], 0x0
	s_load_b32 s35, s[22:23], 0x0
	s_load_b32 s36, s[24:25], 0x0
	s_load_b32 s38, s[26:27], 0x0
	s_or_b32 s8, s16, 0xc0
	s_mov_b32 s20, 0
	s_ashr_i32 s9, s8, 5
	s_cmp_lt_i32 s8, s18
	s_mov_b32 s27, s20
	s_cselect_b32 s8, s9, s3
	s_mov_b32 s21, s20
	s_ashr_i32 s9, s8, 31
	s_mov_b32 s22, s20
	s_lshl_b64 s[8:9], s[8:9], 2
	s_mov_b32 s23, s20
	s_add_u32 s8, s4, s8
	s_mov_b32 s24, s20
	s_mov_b32 s25, s20
	;; [unrolled: 1-line block ×3, first 2 shown]
	s_addc_u32 s9, s17, s9
	v_mov_b32_e32 v117, s27
	v_dual_mov_b32 v110, s20 :: v_dual_lshlrev_b32 v85, 6, v73
	v_dual_mov_b32 v116, s26 :: v_dual_mov_b32 v115, s25
	v_dual_mov_b32 v114, s24 :: v_dual_mov_b32 v113, s23
	;; [unrolled: 1-line block ×3, first 2 shown]
	s_waitcnt lgkmcnt(0)
	s_mul_hi_i32 s13, s29, s5
	s_mul_i32 s12, s29, s5
	v_lshl_or_b32 v58, v74, 10, v85
	s_mul_hi_i32 s21, s30, s5
	s_mul_i32 s20, s30, s5
	s_mul_hi_i32 s25, s33, s5
	s_mul_i32 s24, s33, s5
	;; [unrolled: 2-line block ×3, first 2 shown]
	s_mul_hi_i32 s37, s38, s5
	s_waitcnt vmcnt(1)
	v_mad_i64_i32 v[3:4], null, v7, s5, 0
	s_waitcnt vmcnt(0)
	v_mad_i64_i32 v[5:6], null, v8, s5, 0
	s_delay_alu instid0(VALU_DEP_2) | instskip(NEXT) | instid1(VALU_DEP_2)
	v_lshlrev_b64 v[3:4], 1, v[3:4]
	v_lshlrev_b64 v[1:2], 1, v[5:6]
	s_delay_alu instid0(VALU_DEP_2) | instskip(NEXT) | instid1(VALU_DEP_3)
	v_add_co_u32 v3, vcc_lo, s15, v3
	v_add_co_ci_u32_e32 v4, vcc_lo, s28, v4, vcc_lo
	s_delay_alu instid0(VALU_DEP_3) | instskip(NEXT) | instid1(VALU_DEP_4)
	v_add_co_u32 v1, vcc_lo, s15, v1
	v_add_co_ci_u32_e32 v2, vcc_lo, s28, v2, vcc_lo
	s_delay_alu instid0(VALU_DEP_4) | instskip(NEXT) | instid1(VALU_DEP_4)
	v_add_co_u32 v41, vcc_lo, v3, v81
	v_add_co_ci_u32_e32 v42, vcc_lo, v4, v82, vcc_lo
	s_delay_alu instid0(VALU_DEP_4) | instskip(NEXT) | instid1(VALU_DEP_4)
	v_add_co_u32 v43, vcc_lo, v1, v81
	v_add_co_ci_u32_e32 v44, vcc_lo, v2, v82, vcc_lo
	s_clause 0xf
	global_load_b128 v[1:4], v[41:42], off
	global_load_b128 v[5:8], v[41:42], off offset:512
	global_load_b128 v[9:12], v[43:44], off offset:256
	;; [unrolled: 1-line block ×15, first 2 shown]
	v_mul_lo_u16 v41, v73, 37
	s_or_b32 s15, s16, 0xe0
	s_delay_alu instid0(SALU_CYCLE_1) | instskip(SKIP_1) | instid1(VALU_DEP_1)
	s_ashr_i32 s22, s15, 5
	s_cmp_lt_i32 s15, s18
	v_lshrrev_b16 v41, 8, v41
	s_cselect_b32 s22, s22, s3
	s_delay_alu instid0(SALU_CYCLE_1) | instskip(NEXT) | instid1(VALU_DEP_1)
	s_ashr_i32 s23, s22, 31
	v_mul_lo_u16 v41, v41, 7
	s_lshl_b64 s[22:23], s[22:23], 2
	s_delay_alu instid0(SALU_CYCLE_1) | instskip(SKIP_1) | instid1(VALU_DEP_1)
	s_add_u32 s22, s4, s22
	s_addc_u32 s23, s17, s23
	v_sub_nc_u16 v41, v73, v41
	s_add_i32 s15, s16, 0x100
	s_delay_alu instid0(SALU_CYCLE_1) | instskip(SKIP_1) | instid1(VALU_DEP_1)
	s_ashr_i32 s28, s15, 5
	s_cmp_lt_i32 s15, s18
	v_and_b32_e32 v41, 0xff, v41
	s_cselect_b32 s28, s28, s3
	s_delay_alu instid0(SALU_CYCLE_1) | instskip(NEXT) | instid1(VALU_DEP_1)
	s_ashr_i32 s29, s28, 31
	v_lshlrev_b32_e32 v57, 6, v41
	ds_load_b128 v[41:44], v57
	ds_load_b128 v[45:48], v57 offset:1024
	ds_load_b128 v[49:52], v57 offset:2048
	;; [unrolled: 1-line block ×7, first 2 shown]
	s_lshl_b64 s[28:29], s[28:29], 2
	s_load_b32 s15, s[8:9], 0x0
	s_add_u32 s28, s4, s28
	s_addc_u32 s29, s17, s29
	s_add_u32 s3, s10, s6
	s_clause 0x1
	s_load_b32 s4, s[22:23], 0x0
	s_load_b32 s17, s[28:29], 0x0
	s_addc_u32 s28, s11, s7
	v_add_co_u32 v76, s3, s3, v58
	s_delay_alu instid0(VALU_DEP_1) | instskip(SKIP_2) | instid1(VALU_DEP_2)
	v_add_co_ci_u32_e64 v77, null, s28, 0, s3
	s_lshl_b64 s[6:7], s[12:13], 1
	s_lshl_b64 s[10:11], s[20:21], 1
	v_add_co_u32 v57, vcc_lo, v76, s6
	s_delay_alu instid0(VALU_DEP_2)
	v_add_co_ci_u32_e32 v58, vcc_lo, s7, v77, vcc_lo
	s_lshl_b64 s[12:13], s[24:25], 1
	s_lshl_b64 s[20:21], s[26:27], 1
	s_mul_hi_i32 s9, s36, s5
	s_mul_i32 s8, s36, s5
	s_mul_i32 s36, s38, s5
	s_lshl_b64 s[8:9], s[8:9], 1
	s_lshl_b64 s[22:23], s[36:37], 1
	s_waitcnt lgkmcnt(0)
	s_mul_hi_i32 s25, s15, s5
	s_mul_i32 s24, s15, s5
	s_clause 0x1
	global_load_b128 v[65:68], v[57:58], off
	global_load_b128 v[69:72], v[57:58], off offset:16
	s_lshl_b64 s[6:7], s[24:25], 1
	s_waitcnt vmcnt(16)
	v_wmma_f32_16x16x16_bf16 v[134:141], v[1:8], v[41:48], v[110:117]
	v_add_co_u32 v1, vcc_lo, v76, s10
	v_add_co_ci_u32_e32 v2, vcc_lo, s11, v77, vcc_lo
	s_waitcnt vmcnt(12)
	s_delay_alu instid0(VALU_DEP_3) | instskip(SKIP_3) | instid1(VALU_DEP_3)
	v_wmma_f32_16x16x16_bf16 v[134:141], v[17:24], v[49:56], v[134:141]
	v_add_co_u32 v3, vcc_lo, v76, s12
	v_add_co_ci_u32_e32 v4, vcc_lo, s13, v77, vcc_lo
	s_waitcnt vmcnt(8)
	v_wmma_f32_16x16x16_bf16 v[134:141], v[33:40], v[118:125], v[134:141]
	v_add_co_u32 v5, vcc_lo, v76, s20
	v_add_co_ci_u32_e32 v6, vcc_lo, s21, v77, vcc_lo
	s_waitcnt vmcnt(4)
	s_delay_alu instid0(VALU_DEP_3) | instskip(SKIP_2) | instid1(VALU_DEP_3)
	v_wmma_f32_16x16x16_bf16 v[134:141], v[94:101], v[126:133], v[134:141]
	v_add_co_u32 v7, vcc_lo, v76, s8
	v_add_co_ci_u32_e32 v8, vcc_lo, s9, v77, vcc_lo
	v_mul_f32_e32 v100, s19, v141
	v_wmma_f32_16x16x16_bf16 v[110:117], v[9:16], v[41:48], v[110:117]
	s_clause 0x1
	global_load_b128 v[57:60], v[1:2], off
	global_load_b128 v[61:64], v[1:2], off offset:16
	s_mul_hi_i32 s9, s4, s5
	s_mul_i32 s8, s4, s5
	v_wmma_f32_16x16x16_bf16 v[110:117], v[25:32], v[49:56], v[110:117]
	s_clause 0x5
	global_load_b128 v[49:52], v[3:4], off
	global_load_b128 v[53:56], v[3:4], off offset:16
	global_load_b128 v[41:44], v[5:6], off
	global_load_b128 v[45:48], v[5:6], off offset:16
	;; [unrolled: 2-line block ×3, first 2 shown]
	v_add_co_u32 v5, vcc_lo, v76, s22
	v_add_co_ci_u32_e32 v6, vcc_lo, s23, v77, vcc_lo
	v_add_co_u32 v17, vcc_lo, v76, s6
	v_add_co_ci_u32_e32 v18, vcc_lo, s7, v77, vcc_lo
	s_lshl_b64 s[6:7], s[8:9], 1
	s_mul_hi_i32 s9, s17, s5
	s_mul_i32 s8, s17, s5
	v_add_co_u32 v19, vcc_lo, v76, s6
	s_lshl_b64 s[4:5], s[8:9], 1
	v_add_co_ci_u32_e32 v20, vcc_lo, s7, v77, vcc_lo
	v_add_co_u32 v21, vcc_lo, v76, s4
	v_add_co_ci_u32_e32 v22, vcc_lo, s5, v77, vcc_lo
	s_clause 0x7
	global_load_b128 v[1:4], v[5:6], off
	global_load_b128 v[5:8], v[5:6], off offset:16
	global_load_b128 v[33:36], v[17:18], off
	global_load_b128 v[37:40], v[17:18], off offset:16
	;; [unrolled: 2-line block ×4, first 2 shown]
	v_and_b32_e32 v76, 0xe0, v0
	v_mbcnt_lo_u32_b32 v77, -1, 0
	v_wmma_f32_16x16x16_bf16 v[110:117], v[86:93], v[118:125], v[110:117]
	s_waitcnt vmcnt(0)
	s_barrier
	v_add_nc_u32_e32 v76, s16, v76
	v_xor_b32_e32 v78, 16, v77
	v_wmma_f32_16x16x16_bf16 v[110:117], v[102:109], v[126:133], v[110:117]
	v_mul_f32_e32 v97, s19, v134
	v_mul_f32_e32 v99, s19, v135
	v_or_b32_e32 v76, v76, v83
	v_cmp_gt_i32_e32 vcc_lo, 32, v78
	buffer_gl0_inv
	v_or_b32_e32 v79, 4, v76
	v_cndmask_b32_e32 v77, v77, v78, vcc_lo
	v_or_b32_e32 v78, 2, v76
	v_or_b32_e32 v80, 6, v76
	v_or_b32_e32 v86, 8, v76
	v_cmp_gt_i32_e32 vcc_lo, s18, v76
	v_or_b32_e32 v87, 10, v76
	v_cmp_gt_i32_e64 s3, s18, v78
	v_or_b32_e32 v88, 12, v76
	v_or_b32_e32 v89, 14, v76
	;; [unrolled: 1-line block ×10, first 2 shown]
	v_cndmask_b32_e64 v78, 0xff7fffff, v99, s3
	v_mul_f32_e32 v99, s19, v137
	v_cmp_gt_i32_e64 s4, s18, v80
	v_mul_f32_e32 v80, s19, v136
	v_cmp_gt_i32_e64 s5, s18, v79
	v_cmp_gt_i32_e64 s6, s18, v86
	v_mul_f32_e32 v86, s19, v116
	v_cndmask_b32_e32 v76, 0xff7fffff, v97, vcc_lo
	v_mul_f32_e32 v79, s19, v139
	v_cndmask_b32_e64 v80, 0xff7fffff, v80, s5
	v_cndmask_b32_e64 v99, 0xff7fffff, v99, s4
	v_cmp_gt_i32_e64 s7, s18, v87
	v_max3_f32 v76, v76, 0xff7fffff, v78
	v_dual_mul_f32 v78, s19, v138 :: v_dual_mul_f32 v97, s19, v140
	v_cmp_gt_i32_e64 s8, s18, v89
	s_delay_alu instid0(VALU_DEP_4) | instskip(NEXT) | instid1(VALU_DEP_4)
	v_cndmask_b32_e64 v79, 0xff7fffff, v79, s7
	v_max3_f32 v76, v76, v80, v99
	s_delay_alu instid0(VALU_DEP_4) | instskip(SKIP_3) | instid1(VALU_DEP_4)
	v_cndmask_b32_e64 v78, 0xff7fffff, v78, s6
	v_cmp_gt_i32_e64 s9, s18, v88
	v_dual_mul_f32 v88, s19, v111 :: v_dual_mul_f32 v89, s19, v110
	v_cndmask_b32_e64 v100, 0xff7fffff, v100, s8
	v_max3_f32 v76, v76, v78, v79
	s_delay_alu instid0(VALU_DEP_4) | instskip(SKIP_3) | instid1(VALU_DEP_4)
	v_cndmask_b32_e64 v97, 0xff7fffff, v97, s9
	v_cmp_gt_i32_e64 s10, s18, v90
	v_cmp_gt_i32_e64 s11, s18, v91
	v_dual_mul_f32 v78, s19, v113 :: v_dual_mul_f32 v79, s19, v112
	v_max3_f32 v76, v76, v97, v100
	s_delay_alu instid0(VALU_DEP_4) | instskip(NEXT) | instid1(VALU_DEP_4)
	v_cndmask_b32_e64 v89, 0xff7fffff, v89, s10
	v_cndmask_b32_e64 v88, 0xff7fffff, v88, s11
	v_cmp_gt_i32_e64 s12, s18, v92
	v_cmp_gt_i32_e64 s13, s18, v93
	v_mul_f32_e32 v87, s19, v115
	v_mul_f32_e32 v99, s19, v114
	v_max3_f32 v76, v76, v89, v88
	v_cndmask_b32_e64 v79, 0xff7fffff, v79, s12
	v_cndmask_b32_e64 v78, 0xff7fffff, v78, s13
	v_cmp_gt_i32_e64 s15, s18, v94
	v_cmp_gt_i32_e64 s16, s18, v95
	v_mul_f32_e32 v80, s19, v117
	v_cmp_gt_i32_e64 s17, s18, v96
	v_max3_f32 v76, v76, v79, v78
	v_cndmask_b32_e64 v88, 0xff7fffff, v99, s15
	v_cndmask_b32_e64 v87, 0xff7fffff, v87, s16
	v_cmp_gt_i32_e64 s18, s18, v98
	v_cndmask_b32_e64 v78, 0xff7fffff, v86, s17
	v_lshlrev_b32_e32 v99, 2, v77
	s_delay_alu instid0(VALU_DEP_4) | instskip(NEXT) | instid1(VALU_DEP_4)
	v_max3_f32 v76, v76, v88, v87
	v_cndmask_b32_e64 v79, 0xff7fffff, v80, s18
	s_delay_alu instid0(VALU_DEP_1) | instskip(SKIP_3) | instid1(VALU_DEP_1)
	v_max3_f32 v76, v76, v78, v79
	ds_bpermute_b32 v77, v99, v76
	s_waitcnt lgkmcnt(0)
	v_max_f32_e32 v77, v77, v77
	v_max_f32_e32 v76, v76, v77
	s_delay_alu instid0(VALU_DEP_1)
	v_fma_f32 v86, s19, v138, -v76
	v_fma_f32 v77, s19, v134, -v76
	v_fma_f32 v78, s19, v135, -v76
	v_fma_f32 v79, s19, v136, -v76
	v_fma_f32 v80, s19, v137, -v76
	v_mul_f32_e32 v86, 0x3fb8aa3b, v86
	v_fma_f32 v88, s19, v114, -v76
	s_delay_alu instid0(VALU_DEP_4) | instskip(NEXT) | instid1(VALU_DEP_4)
	v_dual_mul_f32 v78, 0x3fb8aa3b, v78 :: v_dual_mul_f32 v79, 0x3fb8aa3b, v79
	v_mul_f32_e32 v80, 0x3fb8aa3b, v80
	s_delay_alu instid0(VALU_DEP_4) | instskip(SKIP_1) | instid1(VALU_DEP_3)
	v_exp_f32_e32 v86, v86
	v_fma_f32 v87, s19, v140, -v76
	v_exp_f32_e32 v78, v78
	v_exp_f32_e32 v79, v79
	;; [unrolled: 1-line block ×3, first 2 shown]
	s_delay_alu instid0(VALU_DEP_1)
	v_dual_mul_f32 v88, 0x3fb8aa3b, v88 :: v_dual_mul_f32 v87, 0x3fb8aa3b, v87
	v_fma_f32 v100, s19, v117, -v76
	v_fma_f32 v90, s19, v116, -v76
	v_cndmask_b32_e64 v96, 0, v86, s6
	v_fma_f32 v86, s19, v111, -v76
	v_mul_f32_e32 v77, 0x3fb8aa3b, v77
	s_delay_alu instid0(TRANS32_DEP_3) | instskip(NEXT) | instid1(TRANS32_DEP_2)
	v_cndmask_b32_e64 v91, 0, v78, s3
	v_cndmask_b32_e64 v93, 0, v79, s5
	s_delay_alu instid0(TRANS32_DEP_1)
	v_cndmask_b32_e64 v95, 0, v80, s4
	v_mul_f32_e32 v86, 0x3fb8aa3b, v86
	v_exp_f32_e32 v77, v77
	v_fma_f32 v79, s19, v141, -v76
	v_fma_f32 v80, s19, v110, -v76
	v_exp_f32_e32 v87, v87
	v_exp_f32_e32 v86, v86
	s_delay_alu instid0(VALU_DEP_2) | instskip(NEXT) | instid1(VALU_DEP_2)
	v_dual_mul_f32 v100, 0x3fb8aa3b, v100 :: v_dual_mul_f32 v79, 0x3fb8aa3b, v79
	v_mul_f32_e32 v80, 0x3fb8aa3b, v80
	v_exp_f32_e32 v88, v88
	v_cmp_gt_u32_e64 s3, 16, v75
	v_cndmask_b32_e32 v92, 0, v77, vcc_lo
	v_fma_f32 v77, s19, v139, -v76
	v_exp_f32_e32 v79, v79
	v_exp_f32_e32 v80, v80
	v_cndmask_b32_e64 v94, 0, v87, s9
	s_delay_alu instid0(VALU_DEP_2) | instskip(SKIP_2) | instid1(VALU_DEP_2)
	v_dual_add_f32 v78, 0, v92 :: v_dual_mul_f32 v77, 0x3fb8aa3b, v77
	v_fma_f32 v87, s19, v113, -v76
	v_exp_f32_e32 v100, v100
	v_add_f32_e32 v78, v78, v91
	s_delay_alu instid0(VALU_DEP_3) | instskip(SKIP_1) | instid1(VALU_DEP_2)
	v_exp_f32_e32 v77, v77
	v_cndmask_b32_e64 v98, 0, v79, s8
	v_dual_mul_f32 v87, 0x3fb8aa3b, v87 :: v_dual_add_f32 v78, v78, v93
	s_delay_alu instid0(VALU_DEP_1) | instskip(NEXT) | instid1(VALU_DEP_1)
	v_exp_f32_e32 v87, v87
	v_add_f32_e32 v78, v78, v95
	s_waitcnt_depctr 0xfff
	v_cndmask_b32_e64 v97, 0, v77, s7
	v_add_f32_e32 v77, v78, v96
	v_fma_f32 v78, s19, v112, -v76
	s_delay_alu instid0(VALU_DEP_1) | instskip(NEXT) | instid1(VALU_DEP_1)
	v_mul_f32_e32 v78, 0x3fb8aa3b, v78
	v_exp_f32_e32 v89, v78
	v_cndmask_b32_e64 v78, 0, v86, s11
	v_add_f32_e32 v77, v77, v97
	s_delay_alu instid0(VALU_DEP_1) | instskip(SKIP_2) | instid1(VALU_DEP_1)
	v_add_f32_e32 v79, v77, v94
	v_cndmask_b32_e64 v77, 0, v80, s10
	v_fma_f32 v80, s19, v115, -v76
	v_dual_add_f32 v79, v79, v98 :: v_dual_mul_f32 v80, 0x3fb8aa3b, v80
	s_delay_alu instid0(VALU_DEP_1) | instskip(NEXT) | instid1(TRANS32_DEP_1)
	v_add_f32_e32 v86, v79, v77
	v_cndmask_b32_e64 v79, 0, v89, s12
	v_mul_f32_e32 v89, 0x3fb8aa3b, v90
	s_delay_alu instid0(VALU_DEP_4) | instskip(SKIP_2) | instid1(VALU_DEP_3)
	v_exp_f32_e32 v90, v80
	v_cndmask_b32_e64 v80, 0, v87, s13
	v_add_f32_e32 v86, v86, v78
	v_exp_f32_e32 v89, v89
	s_delay_alu instid0(VALU_DEP_1) | instskip(SKIP_1) | instid1(VALU_DEP_2)
	v_add_f32_e32 v87, v86, v79
	v_cndmask_b32_e64 v86, 0, v88, s15
	v_add_f32_e32 v88, v87, v80
	s_delay_alu instid0(TRANS32_DEP_2) | instskip(NEXT) | instid1(VALU_DEP_2)
	v_cndmask_b32_e64 v87, 0, v90, s16
	v_add_f32_e32 v90, v88, v86
	s_waitcnt_depctr 0xfff
	v_cndmask_b32_e64 v88, 0, v89, s17
	v_add_f32_e32 v89, v90, v87
	s_delay_alu instid0(VALU_DEP_1) | instskip(SKIP_1) | instid1(VALU_DEP_1)
	v_add_f32_e32 v90, v89, v88
	v_cndmask_b32_e64 v89, 0, v100, s18
	v_add_f32_e32 v90, v90, v89
	ds_bpermute_b32 v99, v99, v90
	s_and_saveexec_b32 s4, s3
	s_cbranch_execz .LBB524_14
; %bb.13:
	v_mul_u32_u24_e32 v75, 0x44, v74
	s_waitcnt lgkmcnt(0)
	v_add_f32_e32 v90, v90, v99
	s_delay_alu instid0(VALU_DEP_2) | instskip(NEXT) | instid1(VALU_DEP_1)
	v_lshl_add_u32 v75, v73, 2, v75
	v_add_nc_u32_e32 v75, 0x4000, v75
	ds_store_2addr_b32 v75, v76, v90 offset1:136
.LBB524_14:
	s_or_b32 exec_lo, exec_lo, s4
	v_lshlrev_b32_e32 v75, 2, v73
	s_waitcnt lgkmcnt(0)
	s_barrier
	buffer_gl0_inv
	v_cmp_eq_u32_e64 s4, 1, v74
	v_add_nc_u32_e32 v90, 0x4000, v75
	ds_load_2addr_b32 v[99:100], v90 offset1:17
	ds_load_2addr_b32 v[101:102], v90 offset0:34 offset1:51
	ds_load_2addr_b32 v[103:104], v90 offset0:68 offset1:85
	;; [unrolled: 1-line block ×4, first 2 shown]
	s_waitcnt lgkmcnt(4)
	v_max3_f32 v75, v99, 0xff7fffff, v100
	s_waitcnt lgkmcnt(3)
	s_delay_alu instid0(VALU_DEP_1) | instskip(SKIP_1) | instid1(VALU_DEP_1)
	v_max3_f32 v75, v75, v101, v102
	s_waitcnt lgkmcnt(2)
	v_max3_f32 v75, v75, v103, v104
	s_waitcnt lgkmcnt(1)
	s_delay_alu instid0(VALU_DEP_1) | instskip(NEXT) | instid1(VALU_DEP_1)
	v_max3_f32 v75, v75, v105, v106
	v_sub_f32_e32 v109, v100, v75
	v_sub_f32_e32 v76, v99, v75
	ds_load_2addr_b32 v[99:100], v90 offset0:170 offset1:187
	v_sub_f32_e32 v101, v101, v75
	v_dual_mul_f32 v109, 0x3fb8aa3b, v109 :: v_dual_mul_f32 v76, 0x3fb8aa3b, v76
	s_delay_alu instid0(VALU_DEP_2) | instskip(NEXT) | instid1(VALU_DEP_2)
	v_mul_f32_e32 v111, 0x3fb8aa3b, v101
	v_exp_f32_e32 v109, v109
	s_delay_alu instid0(VALU_DEP_2)
	v_exp_f32_e32 v110, v76
	v_sub_f32_e32 v76, v102, v75
	ds_load_2addr_b32 v[101:102], v90 offset0:204 offset1:221
	v_exp_f32_e32 v111, v111
	v_mul_f32_e32 v112, 0x3fb8aa3b, v76
	s_waitcnt lgkmcnt(2)
	v_fma_f32 v76, v110, v107, 0
	v_sub_f32_e32 v103, v103, v75
	s_delay_alu instid0(VALU_DEP_3) | instskip(NEXT) | instid1(VALU_DEP_2)
	v_exp_f32_e32 v112, v112
	v_dual_sub_f32 v107, v104, v75 :: v_dual_fmac_f32 v76, v109, v108
	s_waitcnt lgkmcnt(1)
	s_waitcnt_depctr 0xfff
	v_fmac_f32_e32 v76, v111, v99
	v_mul_f32_e32 v113, 0x3fb8aa3b, v103
	ds_load_2addr_b32 v[103:104], v90 offset0:238 offset1:255
	v_sub_f32_e32 v90, v105, v75
	v_dual_sub_f32 v99, v106, v75 :: v_dual_fmac_f32 v76, v112, v100
	v_mul_f32_e32 v105, 0x3fb8aa3b, v107
	v_exp_f32_e32 v107, v113
	s_delay_alu instid0(VALU_DEP_2)
	v_dual_mul_f32 v90, 0x3fb8aa3b, v90 :: v_dual_mul_f32 v99, 0x3fb8aa3b, v99
	s_waitcnt lgkmcnt(0)
	s_barrier
	buffer_gl0_inv
	v_exp_f32_e32 v90, v90
	v_exp_f32_e32 v99, v99
	v_fmac_f32_e32 v76, v107, v101
	v_exp_f32_e32 v105, v105
	s_waitcnt_depctr 0xfff
	v_fmac_f32_e32 v76, v105, v102
	s_delay_alu instid0(VALU_DEP_1) | instskip(NEXT) | instid1(VALU_DEP_1)
	v_fmac_f32_e32 v76, v90, v103
	v_fmac_f32_e32 v76, v99, v104
	s_delay_alu instid0(VALU_DEP_1) | instskip(NEXT) | instid1(VALU_DEP_1)
	v_add_f32_e32 v100, 0x358637bd, v76
	v_div_scale_f32 v101, null, v100, v100, 1.0
	v_div_scale_f32 v104, vcc_lo, 1.0, v100, 1.0
	s_delay_alu instid0(VALU_DEP_2) | instskip(SKIP_2) | instid1(VALU_DEP_1)
	v_rcp_f32_e32 v102, v101
	s_waitcnt_depctr 0xfff
	v_fma_f32 v103, -v101, v102, 1.0
	v_fmac_f32_e32 v102, v103, v102
	v_cndmask_b32_e64 v103, v110, v109, s4
	v_cmp_eq_u32_e64 s4, 2, v74
	s_delay_alu instid0(VALU_DEP_3) | instskip(NEXT) | instid1(VALU_DEP_2)
	v_mul_f32_e32 v106, v104, v102
	v_cndmask_b32_e64 v103, v103, v111, s4
	v_cmp_eq_u32_e64 s4, 3, v74
	s_delay_alu instid0(VALU_DEP_3) | instskip(NEXT) | instid1(VALU_DEP_2)
	v_fma_f32 v108, -v101, v106, v104
	v_cndmask_b32_e64 v103, v103, v112, s4
	v_cmp_eq_u32_e64 s4, 4, v74
	s_delay_alu instid0(VALU_DEP_3) | instskip(NEXT) | instid1(VALU_DEP_2)
	v_fmac_f32_e32 v106, v108, v102
	v_cndmask_b32_e64 v103, v103, v107, s4
	s_delay_alu instid0(VALU_DEP_2) | instskip(SKIP_1) | instid1(VALU_DEP_2)
	v_fma_f32 v101, -v101, v106, v104
	v_cmp_eq_u32_e64 s4, 5, v74
	v_div_fmas_f32 v101, v101, v102, v106
	s_delay_alu instid0(VALU_DEP_2) | instskip(SKIP_2) | instid1(VALU_DEP_3)
	v_cndmask_b32_e64 v103, v103, v105, s4
	v_cmp_eq_u32_e32 vcc_lo, 6, v74
	s_mov_b32 s4, exec_lo
	v_div_fixup_f32 v100, v101, v100, 1.0
	s_delay_alu instid0(VALU_DEP_3) | instskip(SKIP_1) | instid1(VALU_DEP_2)
	v_cndmask_b32_e32 v90, v103, v90, vcc_lo
	v_cmp_eq_u32_e32 vcc_lo, 7, v74
	v_cndmask_b32_e32 v90, v90, v99, vcc_lo
	s_delay_alu instid0(VALU_DEP_1) | instskip(NEXT) | instid1(VALU_DEP_1)
	v_mul_f32_e32 v90, v90, v100
	v_mul_f32_e32 v100, v90, v92
	;; [unrolled: 1-line block ×6, first 2 shown]
	v_and_b32_e32 v101, 0x7f800000, v100
	v_mul_f32_e32 v99, v90, v95
	v_mul_f32_e32 v95, v90, v91
	v_mul_f32_e32 v96, v90, v93
                                        ; implicit-def: $vgpr91
	s_delay_alu instid0(VALU_DEP_4)
	v_cmpx_ne_u32_e32 0x7f800000, v101
	s_xor_b32 s4, exec_lo, s4
; %bb.15:
	v_bfe_u32 v91, v100, 16, 1
	s_delay_alu instid0(VALU_DEP_1)
	v_add3_u32 v91, v100, v91, 0x7fff
                                        ; implicit-def: $vgpr100
; %bb.16:
	s_and_not1_saveexec_b32 s4, s4
; %bb.17:
	v_and_b32_e32 v91, 0xffff, v100
	v_or_b32_e32 v93, 0x10000, v100
	s_delay_alu instid0(VALU_DEP_2) | instskip(NEXT) | instid1(VALU_DEP_2)
	v_cmp_eq_u32_e32 vcc_lo, 0, v91
	v_cndmask_b32_e32 v91, v93, v100, vcc_lo
; %bb.18:
	s_or_b32 exec_lo, exec_lo, s4
	v_and_b32_e32 v93, 0x7f800000, v95
	s_delay_alu instid0(VALU_DEP_1) | instskip(SKIP_1) | instid1(SALU_CYCLE_1)
	v_cmp_ne_u32_e32 vcc_lo, 0x7f800000, v93
                                        ; implicit-def: $vgpr93
	s_and_saveexec_b32 s4, vcc_lo
	s_xor_b32 s4, exec_lo, s4
; %bb.19:
	v_bfe_u32 v93, v95, 16, 1
	s_delay_alu instid0(VALU_DEP_1)
	v_add3_u32 v93, v95, v93, 0x7fff
                                        ; implicit-def: $vgpr95
; %bb.20:
	s_and_not1_saveexec_b32 s4, s4
; %bb.21:
	v_and_b32_e32 v93, 0xffff, v95
	v_or_b32_e32 v100, 0x10000, v95
	s_delay_alu instid0(VALU_DEP_2) | instskip(NEXT) | instid1(VALU_DEP_2)
	v_cmp_eq_u32_e32 vcc_lo, 0, v93
	v_cndmask_b32_e32 v93, v100, v95, vcc_lo
; %bb.22:
	s_or_b32 exec_lo, exec_lo, s4
	v_and_b32_e32 v95, 0x7f800000, v96
	s_delay_alu instid0(VALU_DEP_1) | instskip(SKIP_1) | instid1(SALU_CYCLE_1)
	v_cmp_ne_u32_e32 vcc_lo, 0x7f800000, v95
                                        ; implicit-def: $vgpr95
	s_and_saveexec_b32 s4, vcc_lo
	s_xor_b32 s4, exec_lo, s4
; %bb.23:
	v_bfe_u32 v95, v96, 16, 1
	s_delay_alu instid0(VALU_DEP_1)
	v_add3_u32 v95, v96, v95, 0x7fff
                                        ; implicit-def: $vgpr96
; %bb.24:
	s_and_not1_saveexec_b32 s4, s4
; %bb.25:
	v_and_b32_e32 v95, 0xffff, v96
	v_or_b32_e32 v100, 0x10000, v96
	s_delay_alu instid0(VALU_DEP_2) | instskip(NEXT) | instid1(VALU_DEP_2)
	v_cmp_eq_u32_e32 vcc_lo, 0, v95
	v_cndmask_b32_e32 v95, v100, v96, vcc_lo
; %bb.26:
	s_or_b32 exec_lo, exec_lo, s4
	v_and_b32_e32 v96, 0x7f800000, v99
	s_delay_alu instid0(VALU_DEP_1) | instskip(SKIP_1) | instid1(SALU_CYCLE_1)
	v_cmp_ne_u32_e32 vcc_lo, 0x7f800000, v96
                                        ; implicit-def: $vgpr96
	s_and_saveexec_b32 s4, vcc_lo
	s_xor_b32 s4, exec_lo, s4
; %bb.27:
	v_bfe_u32 v96, v99, 16, 1
	s_delay_alu instid0(VALU_DEP_1)
	v_add3_u32 v96, v99, v96, 0x7fff
                                        ; implicit-def: $vgpr99
; %bb.28:
	s_and_not1_saveexec_b32 s4, s4
; %bb.29:
	v_and_b32_e32 v96, 0xffff, v99
	v_or_b32_e32 v100, 0x10000, v99
	s_delay_alu instid0(VALU_DEP_2) | instskip(NEXT) | instid1(VALU_DEP_2)
	v_cmp_eq_u32_e32 vcc_lo, 0, v96
	v_cndmask_b32_e32 v96, v100, v99, vcc_lo
; %bb.30:
	s_or_b32 exec_lo, exec_lo, s4
	v_and_b32_e32 v99, 0x7f800000, v98
	s_delay_alu instid0(VALU_DEP_1) | instskip(SKIP_1) | instid1(SALU_CYCLE_1)
	v_cmp_ne_u32_e32 vcc_lo, 0x7f800000, v99
                                        ; implicit-def: $vgpr99
	s_and_saveexec_b32 s4, vcc_lo
	s_xor_b32 s4, exec_lo, s4
; %bb.31:
	v_bfe_u32 v99, v98, 16, 1
	s_delay_alu instid0(VALU_DEP_1)
	v_add3_u32 v99, v98, v99, 0x7fff
                                        ; implicit-def: $vgpr98
; %bb.32:
	s_and_not1_saveexec_b32 s4, s4
; %bb.33:
	v_and_b32_e32 v99, 0xffff, v98
	v_or_b32_e32 v100, 0x10000, v98
	s_delay_alu instid0(VALU_DEP_2) | instskip(NEXT) | instid1(VALU_DEP_2)
	v_cmp_eq_u32_e32 vcc_lo, 0, v99
	v_cndmask_b32_e32 v99, v100, v98, vcc_lo
; %bb.34:
	s_or_b32 exec_lo, exec_lo, s4
	v_and_b32_e32 v98, 0x7f800000, v97
	s_delay_alu instid0(VALU_DEP_1) | instskip(SKIP_1) | instid1(SALU_CYCLE_1)
	v_cmp_ne_u32_e32 vcc_lo, 0x7f800000, v98
                                        ; implicit-def: $vgpr98
	s_and_saveexec_b32 s4, vcc_lo
	s_xor_b32 s4, exec_lo, s4
; %bb.35:
	v_bfe_u32 v98, v97, 16, 1
	s_delay_alu instid0(VALU_DEP_1)
	v_add3_u32 v98, v97, v98, 0x7fff
                                        ; implicit-def: $vgpr97
; %bb.36:
	s_and_not1_saveexec_b32 s4, s4
; %bb.37:
	v_and_b32_e32 v98, 0xffff, v97
	v_or_b32_e32 v100, 0x10000, v97
	s_delay_alu instid0(VALU_DEP_2) | instskip(NEXT) | instid1(VALU_DEP_2)
	v_cmp_eq_u32_e32 vcc_lo, 0, v98
	v_cndmask_b32_e32 v98, v100, v97, vcc_lo
; %bb.38:
	s_or_b32 exec_lo, exec_lo, s4
	v_and_b32_e32 v97, 0x7f800000, v94
	s_delay_alu instid0(VALU_DEP_1) | instskip(SKIP_1) | instid1(SALU_CYCLE_1)
	v_cmp_ne_u32_e32 vcc_lo, 0x7f800000, v97
                                        ; implicit-def: $vgpr97
	s_and_saveexec_b32 s4, vcc_lo
	s_xor_b32 s4, exec_lo, s4
; %bb.39:
	v_bfe_u32 v97, v94, 16, 1
	s_delay_alu instid0(VALU_DEP_1)
	v_add3_u32 v97, v94, v97, 0x7fff
                                        ; implicit-def: $vgpr94
; %bb.40:
	s_and_not1_saveexec_b32 s4, s4
; %bb.41:
	v_and_b32_e32 v97, 0xffff, v94
	v_or_b32_e32 v100, 0x10000, v94
	s_delay_alu instid0(VALU_DEP_2) | instskip(NEXT) | instid1(VALU_DEP_2)
	v_cmp_eq_u32_e32 vcc_lo, 0, v97
	v_cndmask_b32_e32 v97, v100, v94, vcc_lo
; %bb.42:
	s_or_b32 exec_lo, exec_lo, s4
	v_and_b32_e32 v94, 0x7f800000, v92
	s_delay_alu instid0(VALU_DEP_1) | instskip(SKIP_1) | instid1(SALU_CYCLE_1)
	v_cmp_ne_u32_e32 vcc_lo, 0x7f800000, v94
                                        ; implicit-def: $vgpr94
	s_and_saveexec_b32 s4, vcc_lo
	s_xor_b32 s4, exec_lo, s4
; %bb.43:
	v_bfe_u32 v94, v92, 16, 1
	s_delay_alu instid0(VALU_DEP_1)
	v_add3_u32 v94, v92, v94, 0x7fff
                                        ; implicit-def: $vgpr92
; %bb.44:
	s_and_not1_saveexec_b32 s4, s4
; %bb.45:
	v_and_b32_e32 v94, 0xffff, v92
	v_or_b32_e32 v100, 0x10000, v92
	s_delay_alu instid0(VALU_DEP_2) | instskip(NEXT) | instid1(VALU_DEP_2)
	v_cmp_eq_u32_e32 vcc_lo, 0, v94
	v_cndmask_b32_e32 v94, v100, v92, vcc_lo
; %bb.46:
	s_or_b32 exec_lo, exec_lo, s4
	s_load_b64 s[36:37], s[0:1], 0x94
	v_lshlrev_b32_e32 v92, 4, v83
	s_delay_alu instid0(VALU_DEP_2)
	v_perm_b32 v100, v94, v97, 0x7060302
	v_dual_mul_f32 v89, v90, v89 :: v_dual_lshlrev_b32 v94, 11, v74
	v_perm_b32 v97, v93, v91, 0x7060302
	v_mul_f32_e32 v93, v90, v77
	v_perm_b32 v99, v98, v99, 0x7060302
	v_perm_b32 v98, v96, v95, 0x7060302
	v_or3_b32 v77, v92, v94, v85
	v_mul_f32_e32 v88, v90, v88
	v_dual_mul_f32 v87, v90, v87 :: v_dual_and_b32 v94, 0x7f800000, v93
	v_mul_f32_e32 v86, v90, v86
	v_mul_f32_e32 v91, v90, v80
	;; [unrolled: 1-line block ×4, first 2 shown]
	s_mov_b32 s4, exec_lo
	ds_store_b128 v77, v[97:100]
                                        ; implicit-def: $vgpr78
	v_cmpx_ne_u32_e32 0x7f800000, v94
	s_xor_b32 s4, exec_lo, s4
; %bb.47:
	v_bfe_u32 v78, v93, 16, 1
	s_delay_alu instid0(VALU_DEP_1)
	v_add3_u32 v78, v93, v78, 0x7fff
                                        ; implicit-def: $vgpr93
; %bb.48:
	s_and_not1_saveexec_b32 s4, s4
; %bb.49:
	v_and_b32_e32 v78, 0xffff, v93
	v_or_b32_e32 v79, 0x10000, v93
	s_delay_alu instid0(VALU_DEP_2) | instskip(NEXT) | instid1(VALU_DEP_2)
	v_cmp_eq_u32_e32 vcc_lo, 0, v78
	v_cndmask_b32_e32 v78, v79, v93, vcc_lo
; %bb.50:
	s_or_b32 exec_lo, exec_lo, s4
	v_and_b32_e32 v79, 0x7f800000, v80
	s_delay_alu instid0(VALU_DEP_1) | instskip(SKIP_1) | instid1(SALU_CYCLE_1)
	v_cmp_ne_u32_e32 vcc_lo, 0x7f800000, v79
                                        ; implicit-def: $vgpr79
	s_and_saveexec_b32 s4, vcc_lo
	s_xor_b32 s4, exec_lo, s4
; %bb.51:
	v_bfe_u32 v79, v80, 16, 1
	s_delay_alu instid0(VALU_DEP_1)
	v_add3_u32 v79, v80, v79, 0x7fff
                                        ; implicit-def: $vgpr80
; %bb.52:
	s_and_not1_saveexec_b32 s4, s4
; %bb.53:
	v_and_b32_e32 v79, 0xffff, v80
	v_or_b32_e32 v90, 0x10000, v80
	s_delay_alu instid0(VALU_DEP_2) | instskip(NEXT) | instid1(VALU_DEP_2)
	v_cmp_eq_u32_e32 vcc_lo, 0, v79
	v_cndmask_b32_e32 v79, v90, v80, vcc_lo
; %bb.54:
	s_or_b32 exec_lo, exec_lo, s4
	v_and_b32_e32 v80, 0x7f800000, v92
	s_delay_alu instid0(VALU_DEP_1) | instskip(SKIP_1) | instid1(SALU_CYCLE_1)
	v_cmp_ne_u32_e32 vcc_lo, 0x7f800000, v80
                                        ; implicit-def: $vgpr80
	s_and_saveexec_b32 s4, vcc_lo
	s_xor_b32 s4, exec_lo, s4
; %bb.55:
	v_bfe_u32 v80, v92, 16, 1
	s_delay_alu instid0(VALU_DEP_1)
	v_add3_u32 v80, v92, v80, 0x7fff
                                        ; implicit-def: $vgpr92
; %bb.56:
	s_and_not1_saveexec_b32 s4, s4
; %bb.57:
	v_and_b32_e32 v80, 0xffff, v92
	v_or_b32_e32 v90, 0x10000, v92
	s_delay_alu instid0(VALU_DEP_2) | instskip(NEXT) | instid1(VALU_DEP_2)
	v_cmp_eq_u32_e32 vcc_lo, 0, v80
	v_cndmask_b32_e32 v80, v90, v92, vcc_lo
; %bb.58:
	s_or_b32 exec_lo, exec_lo, s4
	v_and_b32_e32 v90, 0x7f800000, v91
	s_delay_alu instid0(VALU_DEP_1) | instskip(SKIP_1) | instid1(SALU_CYCLE_1)
	v_cmp_ne_u32_e32 vcc_lo, 0x7f800000, v90
                                        ; implicit-def: $vgpr90
	s_and_saveexec_b32 s4, vcc_lo
	s_xor_b32 s4, exec_lo, s4
; %bb.59:
	v_bfe_u32 v90, v91, 16, 1
	s_delay_alu instid0(VALU_DEP_1)
	v_add3_u32 v90, v91, v90, 0x7fff
                                        ; implicit-def: $vgpr91
; %bb.60:
	s_and_not1_saveexec_b32 s4, s4
; %bb.61:
	v_and_b32_e32 v90, 0xffff, v91
	v_or_b32_e32 v92, 0x10000, v91
	s_delay_alu instid0(VALU_DEP_2) | instskip(NEXT) | instid1(VALU_DEP_2)
	v_cmp_eq_u32_e32 vcc_lo, 0, v90
	v_cndmask_b32_e32 v90, v92, v91, vcc_lo
; %bb.62:
	s_or_b32 exec_lo, exec_lo, s4
	v_and_b32_e32 v91, 0x7f800000, v86
	s_delay_alu instid0(VALU_DEP_1) | instskip(SKIP_1) | instid1(SALU_CYCLE_1)
	v_cmp_ne_u32_e32 vcc_lo, 0x7f800000, v91
                                        ; implicit-def: $vgpr91
	s_and_saveexec_b32 s4, vcc_lo
	s_xor_b32 s4, exec_lo, s4
; %bb.63:
	v_bfe_u32 v91, v86, 16, 1
	s_delay_alu instid0(VALU_DEP_1)
	v_add3_u32 v91, v86, v91, 0x7fff
                                        ; implicit-def: $vgpr86
; %bb.64:
	s_and_not1_saveexec_b32 s4, s4
; %bb.65:
	v_and_b32_e32 v91, 0xffff, v86
	v_or_b32_e32 v92, 0x10000, v86
	s_delay_alu instid0(VALU_DEP_2) | instskip(NEXT) | instid1(VALU_DEP_2)
	v_cmp_eq_u32_e32 vcc_lo, 0, v91
	v_cndmask_b32_e32 v91, v92, v86, vcc_lo
; %bb.66:
	s_or_b32 exec_lo, exec_lo, s4
	v_and_b32_e32 v86, 0x7f800000, v87
	s_delay_alu instid0(VALU_DEP_1) | instskip(SKIP_1) | instid1(SALU_CYCLE_1)
	v_cmp_ne_u32_e32 vcc_lo, 0x7f800000, v86
                                        ; implicit-def: $vgpr86
	s_and_saveexec_b32 s4, vcc_lo
	s_xor_b32 s4, exec_lo, s4
; %bb.67:
	v_bfe_u32 v86, v87, 16, 1
	s_delay_alu instid0(VALU_DEP_1)
	v_add3_u32 v86, v87, v86, 0x7fff
                                        ; implicit-def: $vgpr87
; %bb.68:
	s_and_not1_saveexec_b32 s4, s4
; %bb.69:
	v_and_b32_e32 v86, 0xffff, v87
	v_or_b32_e32 v92, 0x10000, v87
	s_delay_alu instid0(VALU_DEP_2) | instskip(NEXT) | instid1(VALU_DEP_2)
	v_cmp_eq_u32_e32 vcc_lo, 0, v86
	v_cndmask_b32_e32 v86, v92, v87, vcc_lo
; %bb.70:
	s_or_b32 exec_lo, exec_lo, s4
	v_and_b32_e32 v87, 0x7f800000, v88
	s_delay_alu instid0(VALU_DEP_1) | instskip(SKIP_1) | instid1(SALU_CYCLE_1)
	v_cmp_ne_u32_e32 vcc_lo, 0x7f800000, v87
                                        ; implicit-def: $vgpr87
	s_and_saveexec_b32 s4, vcc_lo
	s_xor_b32 s4, exec_lo, s4
; %bb.71:
	v_bfe_u32 v87, v88, 16, 1
	s_delay_alu instid0(VALU_DEP_1)
	v_add3_u32 v87, v88, v87, 0x7fff
                                        ; implicit-def: $vgpr88
; %bb.72:
	s_and_not1_saveexec_b32 s4, s4
; %bb.73:
	v_and_b32_e32 v87, 0xffff, v88
	v_or_b32_e32 v92, 0x10000, v88
	s_delay_alu instid0(VALU_DEP_2) | instskip(NEXT) | instid1(VALU_DEP_2)
	v_cmp_eq_u32_e32 vcc_lo, 0, v87
	v_cndmask_b32_e32 v87, v92, v88, vcc_lo
; %bb.74:
	s_or_b32 exec_lo, exec_lo, s4
	v_and_b32_e32 v88, 0x7f800000, v89
	s_delay_alu instid0(VALU_DEP_1) | instskip(SKIP_1) | instid1(SALU_CYCLE_1)
	v_cmp_ne_u32_e32 vcc_lo, 0x7f800000, v88
                                        ; implicit-def: $vgpr88
	s_and_saveexec_b32 s4, vcc_lo
	s_xor_b32 s4, exec_lo, s4
; %bb.75:
	v_bfe_u32 v88, v89, 16, 1
	s_delay_alu instid0(VALU_DEP_1)
	v_add3_u32 v88, v89, v88, 0x7fff
                                        ; implicit-def: $vgpr89
; %bb.76:
	s_and_not1_saveexec_b32 s4, s4
; %bb.77:
	v_and_b32_e32 v88, 0xffff, v89
	v_or_b32_e32 v92, 0x10000, v89
	s_delay_alu instid0(VALU_DEP_2) | instskip(NEXT) | instid1(VALU_DEP_2)
	v_cmp_eq_u32_e32 vcc_lo, 0, v88
	v_cndmask_b32_e32 v88, v92, v89, vcc_lo
; %bb.78:
	s_or_b32 exec_lo, exec_lo, s4
	s_delay_alu instid0(VALU_DEP_1)
	v_perm_b32 v89, v88, v87, 0x7060302
	v_perm_b32 v88, v86, v91, 0x7060302
	;; [unrolled: 1-line block ×4, first 2 shown]
	v_lshl_or_b32 v90, v74, 11, v85
	ds_store_b128 v77, v[86:89] offset:1024
	s_waitcnt lgkmcnt(0)
	s_barrier
	buffer_gl0_inv
	ds_load_b128 v[91:94], v90
	ds_load_b128 v[95:98], v90 offset:16
	v_lshlrev_b32_e32 v87, 2, v83
	s_delay_alu instid0(VALU_DEP_1)
	v_or_b32_e32 v88, 1, v87
	v_cmp_eq_u32_e32 vcc_lo, 1, v87
	v_cmp_eq_u32_e64 s5, 2, v87
	v_cmp_eq_u32_e64 s8, 3, v87
	;; [unrolled: 1-line block ×6, first 2 shown]
	v_or_b32_e32 v86, 2, v87
	v_cmp_eq_u32_e64 s11, 5, v87
	v_cmp_eq_u32_e64 s12, 4, v88
	;; [unrolled: 1-line block ×4, first 2 shown]
	s_waitcnt lgkmcnt(1)
	v_lshrrev_b32_e32 v74, 16, v91
	s_waitcnt lgkmcnt(0)
	v_lshrrev_b32_e32 v103, 16, v95
	v_lshrrev_b32_e32 v80, 16, v94
	;; [unrolled: 1-line block ×4, first 2 shown]
	v_cndmask_b32_e32 v89, v91, v74, vcc_lo
	v_cndmask_b32_e32 v99, v95, v103, vcc_lo
	v_cndmask_b32_e64 v100, v91, v74, s4
	v_lshrrev_b32_e32 v79, 16, v93
	v_lshrrev_b32_e32 v108, 16, v97
	v_cndmask_b32_e64 v89, v89, v92, s5
	v_cndmask_b32_e64 v99, v99, v96, s5
	v_cndmask_b32_e64 v100, v100, v92, s7
	v_cndmask_b32_e64 v101, v95, v103, s4
	v_cmp_eq_u32_e64 s6, 1, v86
	v_cndmask_b32_e64 v89, v89, v78, s8
	v_cndmask_b32_e64 v99, v99, v107, s8
	;; [unrolled: 1-line block ×4, first 2 shown]
	v_lshrrev_b32_e32 v109, 16, v98
	v_cndmask_b32_e64 v89, v89, v93, s10
	v_cndmask_b32_e64 v99, v99, v97, s10
	;; [unrolled: 1-line block ×8, first 2 shown]
	v_cmp_eq_u32_e64 s16, 7, v87
	v_cmp_eq_u32_e64 s17, 6, v88
	v_cndmask_b32_e64 v89, v89, v94, s13
	v_cndmask_b32_e64 v99, v99, v98, s13
	v_cmp_eq_u32_e64 s18, 2, v86
	v_cndmask_b32_e64 v101, v101, v97, s12
	v_cndmask_b32_e64 v100, v100, v94, s17
	;; [unrolled: 1-line block ×6, first 2 shown]
	v_cmp_eq_u32_e64 s19, 7, v88
	v_cmp_eq_u32_e64 s20, 3, v86
	;; [unrolled: 1-line block ×4, first 2 shown]
	v_cndmask_b32_e64 v99, v99, v96, s18
	v_cndmask_b32_e64 v112, v100, v80, s19
	;; [unrolled: 1-line block ×4, first 2 shown]
	v_or_b32_e32 v89, 3, v87
	v_cndmask_b32_e64 v105, v99, v107, s20
	v_cmp_eq_u32_e64 s25, 6, v86
	v_cndmask_b32_e64 v113, v100, v98, s17
	v_cndmask_b32_e64 v104, v101, v93, s21
	ds_load_b128 v[99:102], v90 offset:1024
	v_cmp_eq_u32_e64 s22, 1, v89
	v_cmp_eq_u32_e64 s24, 2, v89
	;; [unrolled: 1-line block ×3, first 2 shown]
	v_cndmask_b32_e64 v114, v104, v79, s23
	v_cmp_eq_u32_e64 s27, 4, v89
	v_cndmask_b32_e64 v74, v91, v74, s22
	v_cndmask_b32_e64 v91, v105, v97, s21
	;; [unrolled: 1-line block ×3, first 2 shown]
	ds_load_b128 v[103:106], v90 offset:1040
	v_cmp_eq_u32_e64 s29, 5, v89
	v_cndmask_b32_e64 v74, v74, v92, s24
	v_cndmask_b32_e64 v91, v91, v108, s23
	;; [unrolled: 1-line block ×3, first 2 shown]
	v_cmp_eq_u32_e64 s30, 6, v89
	v_cndmask_b32_e64 v95, v113, v109, s19
	v_cndmask_b32_e64 v74, v74, v78, s26
	;; [unrolled: 1-line block ×5, first 2 shown]
	s_waitcnt lgkmcnt(1)
	v_lshrrev_b32_e32 v96, 16, v99
	v_cndmask_b32_e64 v74, v74, v93, s27
	v_lshrrev_b32_e32 v107, 16, v100
	v_cndmask_b32_e64 v92, v92, v97, s27
	v_cmp_eq_u32_e64 s28, 7, v86
	v_cndmask_b32_e32 v93, v99, v96, vcc_lo
	v_cndmask_b32_e64 v74, v74, v79, s29
	s_delay_alu instid0(VALU_DEP_4)
	v_cndmask_b32_e64 v79, v92, v108, s29
	s_waitcnt lgkmcnt(0)
	v_lshrrev_b32_e32 v97, 16, v103
	v_cndmask_b32_e64 v92, v93, v100, s5
	v_cndmask_b32_e64 v93, v99, v96, s4
	;; [unrolled: 1-line block ×4, first 2 shown]
	v_cndmask_b32_e32 v108, v103, v97, vcc_lo
	v_cndmask_b32_e64 v92, v92, v107, s8
	v_cndmask_b32_e64 v93, v93, v100, s7
	v_lshrrev_b32_e32 v98, 16, v104
	v_cmp_eq_u32_e32 vcc_lo, 7, v89
	v_cndmask_b32_e64 v94, v108, v104, s5
	v_cndmask_b32_e64 v92, v92, v101, s10
	v_lshrrev_b32_e32 v108, 16, v101
	v_cndmask_b32_e64 v93, v93, v107, s9
	v_cndmask_b32_e32 v74, v74, v80, vcc_lo
	v_cndmask_b32_e64 v94, v94, v98, s8
	v_cndmask_b32_e32 v79, v79, v109, vcc_lo
	v_cndmask_b32_e64 v92, v92, v108, s11
	v_cndmask_b32_e64 v78, v78, v80, s28
	;; [unrolled: 1-line block ×4, first 2 shown]
	v_perm_b32 v94, v79, v74, 0x5040100
	v_cndmask_b32_e64 v79, v92, v102, s13
	v_perm_b32 v92, v95, v112, 0x5040100
	v_cndmask_b32_e64 v95, v99, v96, s6
	v_cndmask_b32_e64 v96, v99, v96, s22
	;; [unrolled: 1-line block ×16, first 2 shown]
	v_lshrrev_b32_e32 v109, 16, v105
	v_cndmask_b32_e64 v95, v95, v101, s21
	v_cndmask_b32_e64 v96, v96, v101, s27
	;; [unrolled: 1-line block ×6, first 2 shown]
	v_lshrrev_b32_e32 v80, 16, v102
	v_cndmask_b32_e64 v113, v93, v109, s11
	v_cndmask_b32_e64 v95, v95, v108, s23
	;; [unrolled: 1-line block ×6, first 2 shown]
	v_perm_b32 v93, v91, v78, 0x5040100
	v_cndmask_b32_e64 v74, v74, v102, s17
	v_cndmask_b32_e64 v78, v79, v80, s16
	;; [unrolled: 1-line block ×3, first 2 shown]
	v_lshrrev_b32_e32 v91, 16, v106
	v_cndmask_b32_e64 v95, v95, v102, s25
	v_cndmask_b32_e64 v96, v96, v102, s30
	;; [unrolled: 1-line block ×7, first 2 shown]
	v_cndmask_b32_e32 v80, v96, v80, vcc_lo
	v_cndmask_b32_e32 v96, v98, v91, vcc_lo
	v_cndmask_b32_e64 v99, v99, v91, s28
	v_cndmask_b32_e64 v100, v97, v91, s19
	;; [unrolled: 1-line block ×3, first 2 shown]
	v_perm_b32 v91, v111, v110, 0x5040100
	v_perm_b32 v98, v96, v80, 0x5040100
	;; [unrolled: 1-line block ×5, first 2 shown]
	s_mul_i32 s9, s37, 7
	s_mov_b32 s4, exec_lo
	ds_store_b128 v77, v[91:94]
	ds_store_b128 v77, v[95:98] offset:1024
	v_cmpx_gt_u32_e32 7, v0
	s_cbranch_execz .LBB524_80
; %bb.79:
	s_mul_i32 s5, s9, s34
	s_load_b128 s[16:19], s[0:1], 0x58
	v_add3_u32 v77, s5, s31, v73
	s_delay_alu instid0(VALU_DEP_1) | instskip(NEXT) | instid1(VALU_DEP_1)
	v_mad_u64_u32 v[73:74], null, v77, s36, s[14:15]
	v_ashrrev_i32_e32 v74, 31, v73
	s_delay_alu instid0(VALU_DEP_1) | instskip(SKIP_1) | instid1(VALU_DEP_1)
	v_lshlrev_b64 v[73:74], 2, v[73:74]
	s_waitcnt lgkmcnt(0)
	v_add_co_u32 v77, vcc_lo, s18, v73
	s_delay_alu instid0(VALU_DEP_2)
	v_add_co_ci_u32_e32 v78, vcc_lo, s19, v74, vcc_lo
	v_add_co_u32 v73, vcc_lo, s16, v73
	v_add_co_ci_u32_e32 v74, vcc_lo, s17, v74, vcc_lo
	global_store_b32 v[77:78], v75, off
	global_store_b32 v[73:74], v76, off
.LBB524_80:
	s_or_b32 exec_lo, exec_lo, s4
	s_waitcnt lgkmcnt(0)
	s_waitcnt_vscnt null, 0x0
	s_barrier
	buffer_gl0_inv
	ds_load_b128 v[91:94], v85
	ds_load_b128 v[95:98], v85 offset:16
	ds_load_b128 v[103:106], v85 offset:1040
	;; [unrolled: 1-line block ×3, first 2 shown]
	v_mov_b32_e32 v73, 0
	ds_load_b128 v[111:114], v85 offset:2064
	ds_load_b128 v[107:110], v85 offset:2048
	;; [unrolled: 1-line block ×6, first 2 shown]
	v_mov_b32_e32 v74, v73
	v_mov_b32_e32 v75, v73
	;; [unrolled: 1-line block ×7, first 2 shown]
	s_waitcnt lgkmcnt(8)
	s_delay_alu instid0(VALU_DEP_1)
	v_wmma_f32_16x16x16_bf16 v[73:80], v[65:72], v[91:98], v[73:80]
	ds_load_b128 v[69:72], v85 offset:5136
	ds_load_b128 v[65:68], v85 offset:5120
	;; [unrolled: 1-line block ×4, first 2 shown]
	s_waitcnt lgkmcnt(10)
	v_wmma_f32_16x16x16_bf16 v[73:80], v[57:64], v[99:106], v[73:80]
	s_waitcnt lgkmcnt(8)
	s_delay_alu instid0(VALU_DEP_1)
	v_wmma_f32_16x16x16_bf16 v[73:80], v[57:64], v[107:114], v[73:80]
	ds_load_b128 v[61:64], v85 offset:7184
	ds_load_b128 v[57:60], v85 offset:7168
	;; [unrolled: 1-line block ×4, first 2 shown]
	s_waitcnt lgkmcnt(10)
	v_wmma_f32_16x16x16_bf16 v[73:80], v[49:56], v[115:122], v[73:80]
	s_waitcnt lgkmcnt(8)
	s_delay_alu instid0(VALU_DEP_1)
	v_wmma_f32_16x16x16_bf16 v[73:80], v[49:56], v[123:130], v[73:80]
	ds_load_b128 v[53:56], v85 offset:9232
	ds_load_b128 v[49:52], v85 offset:9216
	s_waitcnt lgkmcnt(8)
	v_wmma_f32_16x16x16_bf16 v[73:80], v[41:48], v[65:72], v[73:80]
	ds_load_b128 v[69:72], v85 offset:10256
	ds_load_b128 v[65:68], v85 offset:10240
	s_waitcnt lgkmcnt(8)
	;; [unrolled: 4-line block ×3, first 2 shown]
	v_wmma_f32_16x16x16_bf16 v[73:80], v[9:16], v[57:64], v[73:80]
	s_waitcnt lgkmcnt(6)
	s_delay_alu instid0(VALU_DEP_1)
	v_wmma_f32_16x16x16_bf16 v[73:80], v[9:16], v[99:106], v[73:80]
	ds_load_b128 v[13:16], v85 offset:12304
	ds_load_b128 v[9:12], v85 offset:12288
	s_waitcnt lgkmcnt(6)
	v_wmma_f32_16x16x16_bf16 v[73:80], v[1:8], v[49:56], v[73:80]
	ds_load_b128 v[53:56], v85 offset:13328
	ds_load_b128 v[49:52], v85 offset:13312
	s_waitcnt lgkmcnt(6)
	;; [unrolled: 4-line block ×4, first 2 shown]
	v_wmma_f32_16x16x16_bf16 v[73:80], v[33:40], v[9:16], v[73:80]
	s_waitcnt lgkmcnt(4)
	s_delay_alu instid0(VALU_DEP_1) | instskip(SKIP_1) | instid1(VALU_DEP_1)
	v_wmma_f32_16x16x16_bf16 v[73:80], v[25:32], v[49:56], v[73:80]
	s_waitcnt lgkmcnt(2)
	v_wmma_f32_16x16x16_bf16 v[73:80], v[25:32], v[1:8], v[73:80]
	s_waitcnt lgkmcnt(0)
	s_delay_alu instid0(VALU_DEP_1) | instskip(NEXT) | instid1(VALU_DEP_1)
	v_wmma_f32_16x16x16_bf16 v[73:80], v[17:24], v[41:48], v[73:80]
	v_and_b32_e32 v1, 0x7f800000, v73
	s_delay_alu instid0(VALU_DEP_1) | instskip(SKIP_1) | instid1(SALU_CYCLE_1)
	v_cmp_ne_u32_e32 vcc_lo, 0x7f800000, v1
                                        ; implicit-def: $vgpr1
	s_and_saveexec_b32 s4, vcc_lo
	s_xor_b32 s4, exec_lo, s4
; %bb.81:
	v_bfe_u32 v1, v73, 16, 1
	s_delay_alu instid0(VALU_DEP_1)
	v_add3_u32 v1, v73, v1, 0x7fff
; %bb.82:
	s_and_not1_saveexec_b32 s4, s4
; %bb.83:
	v_and_b32_e32 v1, 0xffff, v73
	v_or_b32_e32 v2, 0x10000, v73
	s_delay_alu instid0(VALU_DEP_2) | instskip(NEXT) | instid1(VALU_DEP_2)
	v_cmp_eq_u32_e32 vcc_lo, 0, v1
	v_cndmask_b32_e32 v1, v2, v73, vcc_lo
; %bb.84:
	s_or_b32 exec_lo, exec_lo, s4
	v_and_b32_e32 v2, 0x7f800000, v74
	s_delay_alu instid0(VALU_DEP_1) | instskip(SKIP_1) | instid1(SALU_CYCLE_1)
	v_cmp_ne_u32_e32 vcc_lo, 0x7f800000, v2
                                        ; implicit-def: $vgpr2
	s_and_saveexec_b32 s4, vcc_lo
	s_xor_b32 s4, exec_lo, s4
; %bb.85:
	v_bfe_u32 v2, v74, 16, 1
	s_delay_alu instid0(VALU_DEP_1)
	v_add3_u32 v2, v74, v2, 0x7fff
; %bb.86:
	s_and_not1_saveexec_b32 s4, s4
; %bb.87:
	v_and_b32_e32 v2, 0xffff, v74
	v_or_b32_e32 v3, 0x10000, v74
	s_delay_alu instid0(VALU_DEP_2) | instskip(NEXT) | instid1(VALU_DEP_2)
	v_cmp_eq_u32_e32 vcc_lo, 0, v2
	v_cndmask_b32_e32 v2, v3, v74, vcc_lo
; %bb.88:
	s_or_b32 exec_lo, exec_lo, s4
	v_and_b32_e32 v3, 0x7f800000, v75
	s_delay_alu instid0(VALU_DEP_1) | instskip(SKIP_1) | instid1(SALU_CYCLE_1)
	v_cmp_ne_u32_e32 vcc_lo, 0x7f800000, v3
                                        ; implicit-def: $vgpr3
	s_and_saveexec_b32 s4, vcc_lo
	s_xor_b32 s4, exec_lo, s4
; %bb.89:
	v_bfe_u32 v3, v75, 16, 1
	s_delay_alu instid0(VALU_DEP_1)
	v_add3_u32 v3, v75, v3, 0x7fff
; %bb.90:
	s_and_not1_saveexec_b32 s4, s4
; %bb.91:
	v_and_b32_e32 v3, 0xffff, v75
	v_or_b32_e32 v4, 0x10000, v75
	s_delay_alu instid0(VALU_DEP_2) | instskip(NEXT) | instid1(VALU_DEP_2)
	v_cmp_eq_u32_e32 vcc_lo, 0, v3
	v_cndmask_b32_e32 v3, v4, v75, vcc_lo
; %bb.92:
	s_or_b32 exec_lo, exec_lo, s4
	v_and_b32_e32 v4, 0x7f800000, v76
	s_delay_alu instid0(VALU_DEP_1) | instskip(SKIP_1) | instid1(SALU_CYCLE_1)
	v_cmp_ne_u32_e32 vcc_lo, 0x7f800000, v4
                                        ; implicit-def: $vgpr4
	s_and_saveexec_b32 s4, vcc_lo
	s_xor_b32 s4, exec_lo, s4
; %bb.93:
	v_bfe_u32 v4, v76, 16, 1
	s_delay_alu instid0(VALU_DEP_1)
	v_add3_u32 v4, v76, v4, 0x7fff
; %bb.94:
	s_and_not1_saveexec_b32 s4, s4
; %bb.95:
	v_and_b32_e32 v4, 0xffff, v76
	v_or_b32_e32 v5, 0x10000, v76
	s_delay_alu instid0(VALU_DEP_2) | instskip(NEXT) | instid1(VALU_DEP_2)
	v_cmp_eq_u32_e32 vcc_lo, 0, v4
	v_cndmask_b32_e32 v4, v5, v76, vcc_lo
; %bb.96:
	s_or_b32 exec_lo, exec_lo, s4
	v_and_b32_e32 v5, 0x7f800000, v77
	s_delay_alu instid0(VALU_DEP_1) | instskip(SKIP_1) | instid1(SALU_CYCLE_1)
	v_cmp_ne_u32_e32 vcc_lo, 0x7f800000, v5
                                        ; implicit-def: $vgpr5
	s_and_saveexec_b32 s4, vcc_lo
	s_xor_b32 s4, exec_lo, s4
; %bb.97:
	v_bfe_u32 v5, v77, 16, 1
	s_delay_alu instid0(VALU_DEP_1)
	v_add3_u32 v5, v77, v5, 0x7fff
; %bb.98:
	s_and_not1_saveexec_b32 s4, s4
; %bb.99:
	v_and_b32_e32 v5, 0xffff, v77
	v_or_b32_e32 v6, 0x10000, v77
	s_delay_alu instid0(VALU_DEP_2) | instskip(NEXT) | instid1(VALU_DEP_2)
	v_cmp_eq_u32_e32 vcc_lo, 0, v5
	v_cndmask_b32_e32 v5, v6, v77, vcc_lo
; %bb.100:
	s_or_b32 exec_lo, exec_lo, s4
	v_and_b32_e32 v6, 0x7f800000, v78
	s_delay_alu instid0(VALU_DEP_1) | instskip(SKIP_1) | instid1(SALU_CYCLE_1)
	v_cmp_ne_u32_e32 vcc_lo, 0x7f800000, v6
                                        ; implicit-def: $vgpr6
	s_and_saveexec_b32 s4, vcc_lo
	s_xor_b32 s4, exec_lo, s4
; %bb.101:
	v_bfe_u32 v6, v78, 16, 1
	s_delay_alu instid0(VALU_DEP_1)
	v_add3_u32 v6, v78, v6, 0x7fff
; %bb.102:
	s_and_not1_saveexec_b32 s4, s4
; %bb.103:
	v_and_b32_e32 v6, 0xffff, v78
	v_or_b32_e32 v7, 0x10000, v78
	s_delay_alu instid0(VALU_DEP_2) | instskip(NEXT) | instid1(VALU_DEP_2)
	v_cmp_eq_u32_e32 vcc_lo, 0, v6
	v_cndmask_b32_e32 v6, v7, v78, vcc_lo
; %bb.104:
	s_or_b32 exec_lo, exec_lo, s4
	v_and_b32_e32 v7, 0x7f800000, v79
	s_delay_alu instid0(VALU_DEP_1) | instskip(SKIP_1) | instid1(SALU_CYCLE_1)
	v_cmp_ne_u32_e32 vcc_lo, 0x7f800000, v7
                                        ; implicit-def: $vgpr7
	s_and_saveexec_b32 s4, vcc_lo
	s_xor_b32 s4, exec_lo, s4
; %bb.105:
	v_bfe_u32 v7, v79, 16, 1
	s_delay_alu instid0(VALU_DEP_1)
	v_add3_u32 v7, v79, v7, 0x7fff
; %bb.106:
	s_and_not1_saveexec_b32 s4, s4
; %bb.107:
	v_and_b32_e32 v7, 0xffff, v79
	v_or_b32_e32 v8, 0x10000, v79
	s_delay_alu instid0(VALU_DEP_2) | instskip(NEXT) | instid1(VALU_DEP_2)
	v_cmp_eq_u32_e32 vcc_lo, 0, v7
	v_cndmask_b32_e32 v7, v8, v79, vcc_lo
; %bb.108:
	s_or_b32 exec_lo, exec_lo, s4
	v_and_b32_e32 v8, 0x7f800000, v80
	s_delay_alu instid0(VALU_DEP_1) | instskip(SKIP_1) | instid1(SALU_CYCLE_1)
	v_cmp_ne_u32_e32 vcc_lo, 0x7f800000, v8
                                        ; implicit-def: $vgpr8
	s_and_saveexec_b32 s4, vcc_lo
	s_xor_b32 s4, exec_lo, s4
; %bb.109:
	v_bfe_u32 v8, v80, 16, 1
	s_delay_alu instid0(VALU_DEP_1)
	v_add3_u32 v8, v80, v8, 0x7fff
                                        ; implicit-def: $vgpr73_vgpr74_vgpr75_vgpr76_vgpr77_vgpr78_vgpr79_vgpr80
; %bb.110:
	s_and_not1_saveexec_b32 s4, s4
; %bb.111:
	v_and_b32_e32 v8, 0xffff, v80
	v_or_b32_e32 v9, 0x10000, v80
	s_delay_alu instid0(VALU_DEP_2) | instskip(NEXT) | instid1(VALU_DEP_2)
	v_cmp_eq_u32_e32 vcc_lo, 0, v8
	v_cndmask_b32_e32 v8, v9, v80, vcc_lo
; %bb.112:
	s_or_b32 exec_lo, exec_lo, s4
	s_delay_alu instid0(VALU_DEP_1)
	v_perm_b32 v7, v8, v7, 0x7060302
	v_perm_b32 v6, v6, v5, 0x7060302
	;; [unrolled: 1-line block ×4, first 2 shown]
	v_lshl_or_b32 v9, v83, 4, v90
	s_barrier
	buffer_gl0_inv
	v_cmp_eq_u32_e32 vcc_lo, 1, v87
	ds_store_b128 v9, v[4:7]
	s_waitcnt lgkmcnt(0)
	s_barrier
	buffer_gl0_inv
	ds_load_b128 v[1:4], v90
	ds_load_b128 v[5:8], v90 offset:16
	v_cmp_eq_u32_e64 s5, 2, v87
	v_cmp_eq_u32_e64 s4, 1, v88
	;; [unrolled: 1-line block ×5, first 2 shown]
	s_waitcnt lgkmcnt(1)
	v_lshrrev_b32_e32 v10, 16, v1
	s_waitcnt lgkmcnt(0)
	v_lshrrev_b32_e32 v14, 16, v5
	v_lshrrev_b32_e32 v15, 16, v6
	;; [unrolled: 1-line block ×4, first 2 shown]
	v_cndmask_b32_e64 v20, v1, v10, s4
	v_cndmask_b32_e32 v19, v5, v14, vcc_lo
	v_cndmask_b32_e64 v21, v5, v14, s4
	v_lshrrev_b32_e32 v16, 16, v7
	v_cmp_eq_u32_e64 s4, 1, v86
	v_lshrrev_b32_e32 v13, 16, v4
	v_cndmask_b32_e64 v19, v19, v6, s5
	v_lshrrev_b32_e32 v17, 16, v8
	s_delay_alu instid0(VALU_DEP_4) | instskip(SKIP_1) | instid1(VALU_DEP_4)
	v_cndmask_b32_e64 v22, v1, v10, s4
	v_cndmask_b32_e64 v23, v5, v14, s4
	;; [unrolled: 1-line block ×3, first 2 shown]
	v_cndmask_b32_e32 v18, v1, v10, vcc_lo
	v_cmp_eq_u32_e32 vcc_lo, 2, v88
	v_cmp_eq_u32_e64 s4, 2, v89
	v_cndmask_b32_e64 v22, v22, v2, s8
	v_cndmask_b32_e32 v20, v20, v2, vcc_lo
	v_cndmask_b32_e32 v21, v21, v6, vcc_lo
	v_cmp_eq_u32_e32 vcc_lo, 4, v87
	v_cndmask_b32_e32 v19, v19, v7, vcc_lo
	v_cndmask_b32_e64 v18, v18, v2, s5
	v_cmp_eq_u32_e64 s5, 3, v88
	s_delay_alu instid0(VALU_DEP_2) | instskip(NEXT) | instid1(VALU_DEP_2)
	v_cndmask_b32_e64 v18, v18, v11, s6
	v_cndmask_b32_e64 v21, v21, v15, s5
	v_cmp_eq_u32_e64 s6, 5, v87
	s_delay_alu instid0(VALU_DEP_3) | instskip(SKIP_1) | instid1(VALU_DEP_3)
	v_cndmask_b32_e32 v18, v18, v3, vcc_lo
	v_cmp_eq_u32_e32 vcc_lo, 4, v88
	v_cndmask_b32_e64 v19, v19, v16, s6
	s_delay_alu instid0(VALU_DEP_3) | instskip(SKIP_4) | instid1(VALU_DEP_3)
	v_cndmask_b32_e64 v18, v18, v12, s6
	v_cndmask_b32_e32 v21, v21, v7, vcc_lo
	v_cndmask_b32_e64 v20, v20, v11, s5
	v_cmp_eq_u32_e64 s5, 5, v88
	v_cmp_eq_u32_e64 s6, 6, v87
	v_cndmask_b32_e32 v20, v20, v3, vcc_lo
	s_delay_alu instid0(VALU_DEP_3) | instskip(SKIP_1) | instid1(VALU_DEP_4)
	v_cndmask_b32_e64 v21, v21, v16, s5
	v_cmp_eq_u32_e32 vcc_lo, 6, v88
	v_cndmask_b32_e64 v18, v18, v4, s6
	v_cndmask_b32_e64 v19, v19, v8, s6
	;; [unrolled: 1-line block ×3, first 2 shown]
	v_cmp_eq_u32_e64 s5, 1, v89
	v_cmp_eq_u32_e64 s6, 7, v87
	s_delay_alu instid0(VALU_DEP_3) | instskip(NEXT) | instid1(VALU_DEP_3)
	v_cndmask_b32_e32 v20, v20, v4, vcc_lo
	v_cndmask_b32_e64 v1, v1, v10, s5
	v_cndmask_b32_e64 v5, v5, v14, s5
	v_cmp_eq_u32_e64 s5, 3, v86
	v_cndmask_b32_e64 v14, v23, v6, s8
	v_cmp_eq_u32_e64 s8, 3, v89
	v_cndmask_b32_e64 v1, v1, v2, s4
	v_cndmask_b32_e64 v2, v5, v6, s4
	;; [unrolled: 1-line block ×3, first 2 shown]
	v_cmp_eq_u32_e64 s4, 4, v86
	v_cndmask_b32_e64 v6, v14, v15, s5
	v_cndmask_b32_e64 v1, v1, v11, s8
	v_cmp_eq_u32_e64 s5, 4, v89
	v_cndmask_b32_e64 v2, v2, v15, s8
	v_cndmask_b32_e64 v5, v10, v3, s4
	;; [unrolled: 3-line block ×3, first 2 shown]
	v_cndmask_b32_e64 v2, v2, v7, s5
	v_cmp_eq_u32_e64 s4, 5, v89
	v_cndmask_b32_e64 v5, v5, v12, s8
	v_cmp_eq_u32_e64 s5, 6, v86
	;; [unrolled: 2-line block ×3, first 2 shown]
	v_cndmask_b32_e64 v1, v1, v12, s4
	v_cndmask_b32_e64 v2, v2, v16, s4
	;; [unrolled: 1-line block ×4, first 2 shown]
	v_cmp_eq_u32_e64 s4, 7, v89
	v_cndmask_b32_e64 v1, v1, v4, s8
	v_cndmask_b32_e64 v2, v2, v8, s8
	v_cmp_eq_u32_e64 s5, 7, v86
	v_cndmask_b32_e32 v4, v21, v8, vcc_lo
	v_cndmask_b32_e64 v18, v18, v13, s6
	v_cndmask_b32_e64 v20, v20, v13, s7
	;; [unrolled: 1-line block ×8, first 2 shown]
	v_cmp_gt_u32_e32 vcc_lo, 32, v0
	v_perm_b32 v4, v2, v1, 0x5040100
	v_perm_b32 v3, v3, v5, 0x5040100
	;; [unrolled: 1-line block ×4, first 2 shown]
	s_and_b32 s2, vcc_lo, s2
	ds_store_b128 v9, v[1:4]
	s_waitcnt lgkmcnt(0)
	s_barrier
	buffer_gl0_inv
	s_and_saveexec_b32 s4, s2
	s_cbranch_execz .LBB524_2
; %bb.113:
	s_load_b64 s[4:5], s[0:1], 0x68
	v_lshlrev_b32_e32 v0, 10, v0
	v_add_nc_u32_e32 v2, s31, v83
	v_lshlrev_b32_e32 v3, 4, v84
	s_lshl_b32 s0, s36, 6
	s_delay_alu instid0(SALU_CYCLE_1) | instskip(NEXT) | instid1(VALU_DEP_2)
	s_mul_i32 s1, s0, s34
	v_mul_lo_u32 v1, v2, s0
	s_delay_alu instid0(VALU_DEP_2)
	v_and_or_b32 v0, 0x3800, v0, v3
	v_add_nc_u32_e32 v3, 2, v2
	s_mul_i32 s6, s1, s9
	v_add_nc_u32_e32 v4, 4, v2
	s_ashr_i32 s7, s6, 31
	v_lshl_or_b32 v11, v83, 6, v0
	s_lshl_b64 s[6:7], s[6:7], 1
	v_mul_lo_u32 v15, v3, s0
	v_mul_lo_u32 v17, v4, s0
	v_ashrrev_i32_e32 v2, 31, v1
	ds_load_b128 v[3:6], v11
	ds_load_b128 v[7:10], v11 offset:128
	ds_load_b128 v[11:14], v11 offset:256
	s_waitcnt lgkmcnt(0)
	s_add_u32 s1, s4, s6
	s_addc_u32 s2, s5, s7
	s_lshl_b32 s4, s14, 6
	v_ashrrev_i32_e32 v16, 31, v15
	s_ashr_i32 s5, s4, 31
	v_lshlrev_b64 v[19:20], 1, v[1:2]
	s_lshl_b64 s[4:5], s[4:5], 1
	v_ashrrev_i32_e32 v18, 31, v17
	s_add_u32 s1, s1, s4
	s_addc_u32 s2, s2, s5
	v_add_co_u32 v1, vcc_lo, s1, v81
	v_add_co_ci_u32_e32 v2, vcc_lo, s2, v82, vcc_lo
	v_lshlrev_b64 v[15:16], 1, v[15:16]
	s_delay_alu instid0(VALU_DEP_3) | instskip(SKIP_1) | instid1(VALU_DEP_4)
	v_add_co_u32 v19, vcc_lo, v1, v19
	v_lshlrev_b64 v[17:18], 1, v[17:18]
	v_add_co_ci_u32_e32 v20, vcc_lo, v2, v20, vcc_lo
	s_delay_alu instid0(VALU_DEP_4) | instskip(SKIP_1) | instid1(VALU_DEP_4)
	v_add_co_u32 v15, vcc_lo, v1, v15
	v_add_co_ci_u32_e32 v16, vcc_lo, v2, v16, vcc_lo
	v_add_co_u32 v17, vcc_lo, v1, v17
	v_add_co_ci_u32_e32 v18, vcc_lo, v2, v18, vcc_lo
	s_clause 0x2
	global_store_b128 v[19:20], v[3:6], off
	global_store_b128 v[15:16], v[7:10], off
	;; [unrolled: 1-line block ×3, first 2 shown]
	s_and_b32 exec_lo, exec_lo, s3
	s_cbranch_execz .LBB524_2
; %bb.114:
	ds_load_b128 v[3:6], v0 offset:384
	s_add_i32 s1, s31, 6
	s_delay_alu instid0(SALU_CYCLE_1) | instskip(NEXT) | instid1(SALU_CYCLE_1)
	s_mul_i32 s0, s1, s0
	s_ashr_i32 s1, s0, 31
	s_delay_alu instid0(SALU_CYCLE_1) | instskip(NEXT) | instid1(SALU_CYCLE_1)
	s_lshl_b64 s[0:1], s[0:1], 1
	v_add_co_u32 v0, vcc_lo, v1, s0
	v_add_co_ci_u32_e32 v1, vcc_lo, s1, v2, vcc_lo
	s_waitcnt lgkmcnt(0)
	global_store_b128 v[0:1], v[3:6], off
	s_nop 0
	s_sendmsg sendmsg(MSG_DEALLOC_VGPRS)
	s_endpgm
	.section	.rodata,"a",@progbits
	.p2align	6, 0x0
	.amdhsa_kernel _Z39paged_attention_ll4mi_QKV_mfma16_kernelI14__hip_bfloat16S0_LN4vllm18Fp8KVCacheDataTypeE0EhLi32ELi64ELi256ELb0ELi7EL8MFMAType0EEvPKT_PKT0_S9_ifPKiSB_SB_iPKfiiiPfSE_PS4_PT2_iSD_SD_
		.amdhsa_group_segment_fixed_size 17472
		.amdhsa_private_segment_fixed_size 0
		.amdhsa_kernarg_size 400
		.amdhsa_user_sgpr_count 13
		.amdhsa_user_sgpr_dispatch_ptr 0
		.amdhsa_user_sgpr_queue_ptr 0
		.amdhsa_user_sgpr_kernarg_segment_ptr 1
		.amdhsa_user_sgpr_dispatch_id 0
		.amdhsa_user_sgpr_private_segment_size 0
		.amdhsa_wavefront_size32 1
		.amdhsa_uses_dynamic_stack 0
		.amdhsa_enable_private_segment 0
		.amdhsa_system_sgpr_workgroup_id_x 1
		.amdhsa_system_sgpr_workgroup_id_y 1
		.amdhsa_system_sgpr_workgroup_id_z 1
		.amdhsa_system_sgpr_workgroup_info 0
		.amdhsa_system_vgpr_workitem_id 0
		.amdhsa_next_free_vgpr 142
		.amdhsa_next_free_sgpr 39
		.amdhsa_reserve_vcc 1
		.amdhsa_float_round_mode_32 0
		.amdhsa_float_round_mode_16_64 0
		.amdhsa_float_denorm_mode_32 3
		.amdhsa_float_denorm_mode_16_64 3
		.amdhsa_dx10_clamp 1
		.amdhsa_ieee_mode 1
		.amdhsa_fp16_overflow 0
		.amdhsa_workgroup_processor_mode 1
		.amdhsa_memory_ordered 1
		.amdhsa_forward_progress 0
		.amdhsa_shared_vgpr_count 0
		.amdhsa_exception_fp_ieee_invalid_op 0
		.amdhsa_exception_fp_denorm_src 0
		.amdhsa_exception_fp_ieee_div_zero 0
		.amdhsa_exception_fp_ieee_overflow 0
		.amdhsa_exception_fp_ieee_underflow 0
		.amdhsa_exception_fp_ieee_inexact 0
		.amdhsa_exception_int_div_zero 0
	.end_amdhsa_kernel
	.section	.text._Z39paged_attention_ll4mi_QKV_mfma16_kernelI14__hip_bfloat16S0_LN4vllm18Fp8KVCacheDataTypeE0EhLi32ELi64ELi256ELb0ELi7EL8MFMAType0EEvPKT_PKT0_S9_ifPKiSB_SB_iPKfiiiPfSE_PS4_PT2_iSD_SD_,"axG",@progbits,_Z39paged_attention_ll4mi_QKV_mfma16_kernelI14__hip_bfloat16S0_LN4vllm18Fp8KVCacheDataTypeE0EhLi32ELi64ELi256ELb0ELi7EL8MFMAType0EEvPKT_PKT0_S9_ifPKiSB_SB_iPKfiiiPfSE_PS4_PT2_iSD_SD_,comdat
.Lfunc_end524:
	.size	_Z39paged_attention_ll4mi_QKV_mfma16_kernelI14__hip_bfloat16S0_LN4vllm18Fp8KVCacheDataTypeE0EhLi32ELi64ELi256ELb0ELi7EL8MFMAType0EEvPKT_PKT0_S9_ifPKiSB_SB_iPKfiiiPfSE_PS4_PT2_iSD_SD_, .Lfunc_end524-_Z39paged_attention_ll4mi_QKV_mfma16_kernelI14__hip_bfloat16S0_LN4vllm18Fp8KVCacheDataTypeE0EhLi32ELi64ELi256ELb0ELi7EL8MFMAType0EEvPKT_PKT0_S9_ifPKiSB_SB_iPKfiiiPfSE_PS4_PT2_iSD_SD_
                                        ; -- End function
	.section	.AMDGPU.csdata,"",@progbits
; Kernel info:
; codeLenInByte = 9452
; NumSgprs: 41
; NumVgprs: 142
; ScratchSize: 0
; MemoryBound: 0
; FloatMode: 240
; IeeeMode: 1
; LDSByteSize: 17472 bytes/workgroup (compile time only)
; SGPRBlocks: 5
; VGPRBlocks: 17
; NumSGPRsForWavesPerEU: 41
; NumVGPRsForWavesPerEU: 142
; Occupancy: 10
; WaveLimiterHint : 1
; COMPUTE_PGM_RSRC2:SCRATCH_EN: 0
; COMPUTE_PGM_RSRC2:USER_SGPR: 13
; COMPUTE_PGM_RSRC2:TRAP_HANDLER: 0
; COMPUTE_PGM_RSRC2:TGID_X_EN: 1
; COMPUTE_PGM_RSRC2:TGID_Y_EN: 1
; COMPUTE_PGM_RSRC2:TGID_Z_EN: 1
; COMPUTE_PGM_RSRC2:TIDIG_COMP_CNT: 0
	.section	.text._Z39paged_attention_ll4mi_QKV_mfma16_kernelI14__hip_bfloat16S0_LN4vllm18Fp8KVCacheDataTypeE0EhLi32ELi64ELi256ELb0ELi8EL8MFMAType0EEvPKT_PKT0_S9_ifPKiSB_SB_iPKfiiiPfSE_PS4_PT2_iSD_SD_,"axG",@progbits,_Z39paged_attention_ll4mi_QKV_mfma16_kernelI14__hip_bfloat16S0_LN4vllm18Fp8KVCacheDataTypeE0EhLi32ELi64ELi256ELb0ELi8EL8MFMAType0EEvPKT_PKT0_S9_ifPKiSB_SB_iPKfiiiPfSE_PS4_PT2_iSD_SD_,comdat
	.protected	_Z39paged_attention_ll4mi_QKV_mfma16_kernelI14__hip_bfloat16S0_LN4vllm18Fp8KVCacheDataTypeE0EhLi32ELi64ELi256ELb0ELi8EL8MFMAType0EEvPKT_PKT0_S9_ifPKiSB_SB_iPKfiiiPfSE_PS4_PT2_iSD_SD_ ; -- Begin function _Z39paged_attention_ll4mi_QKV_mfma16_kernelI14__hip_bfloat16S0_LN4vllm18Fp8KVCacheDataTypeE0EhLi32ELi64ELi256ELb0ELi8EL8MFMAType0EEvPKT_PKT0_S9_ifPKiSB_SB_iPKfiiiPfSE_PS4_PT2_iSD_SD_
	.globl	_Z39paged_attention_ll4mi_QKV_mfma16_kernelI14__hip_bfloat16S0_LN4vllm18Fp8KVCacheDataTypeE0EhLi32ELi64ELi256ELb0ELi8EL8MFMAType0EEvPKT_PKT0_S9_ifPKiSB_SB_iPKfiiiPfSE_PS4_PT2_iSD_SD_
	.p2align	8
	.type	_Z39paged_attention_ll4mi_QKV_mfma16_kernelI14__hip_bfloat16S0_LN4vllm18Fp8KVCacheDataTypeE0EhLi32ELi64ELi256ELb0ELi8EL8MFMAType0EEvPKT_PKT0_S9_ifPKiSB_SB_iPKfiiiPfSE_PS4_PT2_iSD_SD_,@function
_Z39paged_attention_ll4mi_QKV_mfma16_kernelI14__hip_bfloat16S0_LN4vllm18Fp8KVCacheDataTypeE0EhLi32ELi64ELi256ELb0ELi8EL8MFMAType0EEvPKT_PKT0_S9_ifPKiSB_SB_iPKfiiiPfSE_PS4_PT2_iSD_SD_: ; @_Z39paged_attention_ll4mi_QKV_mfma16_kernelI14__hip_bfloat16S0_LN4vllm18Fp8KVCacheDataTypeE0EhLi32ELi64ELi256ELb0ELi8EL8MFMAType0EEvPKT_PKT0_S9_ifPKiSB_SB_iPKfiiiPfSE_PS4_PT2_iSD_SD_
; %bb.0:
	s_load_b64 s[2:3], s[0:1], 0x30
	s_mov_b32 s30, s13
	s_waitcnt lgkmcnt(0)
	s_cmp_lg_u64 s[2:3], 0
	s_cselect_b32 s6, -1, 0
	s_ashr_i32 s31, s13, 31
	s_cmp_eq_u64 s[2:3], 0
	s_cbranch_scc1 .LBB525_3
; %bb.1:
	s_lshl_b64 s[4:5], s[30:31], 2
	s_delay_alu instid0(SALU_CYCLE_1) | instskip(SKIP_4) | instid1(SALU_CYCLE_1)
	s_add_u32 s4, s2, s4
	s_addc_u32 s5, s3, s5
	s_load_b64 s[4:5], s[4:5], 0x0
	s_waitcnt lgkmcnt(0)
	s_sub_i32 s4, s5, s4
	s_cmp_eq_u32 s4, 1
	s_cselect_b32 s4, -1, 0
	s_delay_alu instid0(SALU_CYCLE_1)
	s_and_not1_b32 vcc_lo, exec_lo, s4
	s_cbranch_vccz .LBB525_4
.LBB525_2:
	s_endpgm
.LBB525_3:
.LBB525_4:
	s_load_b64 s[8:9], s[0:1], 0x28
	s_lshl_b64 s[4:5], s[30:31], 2
	s_waitcnt lgkmcnt(0)
	s_add_u32 s8, s8, s4
	s_addc_u32 s9, s9, s5
	s_lshl_b32 s16, s14, 8
	s_load_b32 s18, s[8:9], 0x0
	s_waitcnt lgkmcnt(0)
	s_cmp_ge_i32 s16, s18
	s_cbranch_scc1 .LBB525_2
; %bb.5:
	s_and_not1_b32 vcc_lo, exec_lo, s6
	s_cbranch_vccnz .LBB525_7
; %bb.6:
	s_add_u32 s2, s2, s4
	s_addc_u32 s3, s3, s5
	s_load_b32 s17, s[2:3], 0x0
	s_branch .LBB525_8
.LBB525_7:
	s_mov_b32 s17, s30
.LBB525_8:
	s_clause 0x2
	s_load_b128 s[8:11], s[0:1], 0x8
	s_load_b64 s[12:13], s[0:1], 0x20
	s_load_b128 s[4:7], s[0:1], 0x48
	v_and_b32_e32 v74, 15, v0
	v_cmp_lt_u32_e32 vcc_lo, 0x7f, v0
	s_delay_alu instid0(VALU_DEP_2) | instskip(SKIP_2) | instid1(VALU_DEP_3)
	v_cmp_lt_u32_e64 s3, 7, v74
	v_lshlrev_b32_e32 v1, 3, v74
	v_cmp_gt_u32_e64 s2, 8, v74
	s_or_b32 s3, vcc_lo, s3
	s_waitcnt lgkmcnt(0)
	s_and_saveexec_b32 s7, s3
	s_delay_alu instid0(SALU_CYCLE_1)
	s_xor_b32 s3, exec_lo, s7
; %bb.9:
	v_mov_b32_e32 v2, 0
; %bb.10:
	s_or_saveexec_b32 s3, s3
	v_lshrrev_b32_e32 v73, 5, v0
	v_and_b32_e32 v75, 31, v0
	v_and_b32_e32 v84, 1, v0
	v_bfe_u32 v83, v0, 4, 1
	s_lshl_b32 s31, s15, 3
	s_xor_b32 exec_lo, exec_lo, s3
	s_cbranch_execz .LBB525_12
; %bb.11:
	s_delay_alu instid0(VALU_DEP_1)
	v_lshl_or_b32 v7, v73, 1, v83
	s_load_b64 s[20:21], s[0:1], 0x0
	s_mul_hi_i32 s23, s17, s4
	s_mul_i32 s22, s17, s4
	v_lshlrev_b32_e32 v4, 1, v1
	v_or_b32_e32 v2, s31, v7
	s_lshl_b64 s[22:23], s[22:23], 1
	v_lshlrev_b32_e32 v7, 6, v7
	v_lshlrev_b32_e32 v8, 10, v84
	s_delay_alu instid0(VALU_DEP_3) | instskip(NEXT) | instid1(VALU_DEP_1)
	v_lshlrev_b32_e32 v2, 6, v2
	v_ashrrev_i32_e32 v3, 31, v2
	s_delay_alu instid0(VALU_DEP_1) | instskip(SKIP_3) | instid1(VALU_DEP_1)
	v_lshlrev_b64 v[2:3], 1, v[2:3]
	s_waitcnt lgkmcnt(0)
	s_add_u32 s4, s20, s22
	s_addc_u32 s7, s21, s23
	v_add_co_u32 v2, vcc_lo, s4, v2
	s_delay_alu instid0(VALU_DEP_2) | instskip(NEXT) | instid1(VALU_DEP_2)
	v_add_co_ci_u32_e32 v3, vcc_lo, s7, v3, vcc_lo
	v_add_co_u32 v2, vcc_lo, v2, v4
	s_delay_alu instid0(VALU_DEP_2) | instskip(SKIP_2) | instid1(VALU_DEP_1)
	v_add_co_ci_u32_e32 v3, vcc_lo, 0, v3, vcc_lo
	global_load_b128 v[3:6], v[2:3], off
	v_lshlrev_b32_e32 v2, 10, v74
	v_and_b32_e32 v2, 0x3800, v2
	s_delay_alu instid0(VALU_DEP_1)
	v_or3_b32 v7, v2, v8, v7
	v_mov_b32_e32 v2, 0
	s_waitcnt vmcnt(0)
	ds_store_b128 v7, v[3:6]
.LBB525_12:
	s_or_b32 exec_lo, exec_lo, s3
	v_and_b32_e32 v3, 0xef, v0
	s_add_i32 s3, s18, 31
	s_clause 0x1
	s_load_b32 s4, s[0:1], 0x38
	s_load_b32 s19, s[0:1], 0x1c
	s_ashr_i32 s7, s3, 31
	v_add_nc_u32_e32 v3, s16, v3
	s_lshr_b32 s7, s7, 27
	s_waitcnt lgkmcnt(0)
	s_add_i32 s3, s3, s7
	s_barrier
	v_ashrrev_i32_e32 v4, 31, v3
	v_cmp_gt_i32_e32 vcc_lo, s18, v3
	s_ashr_i32 s3, s3, 5
	buffer_gl0_inv
	s_add_i32 s3, s3, -1
	v_lshrrev_b32_e32 v5, 27, v4
	v_or_b32_e32 v4, 16, v3
	s_mul_i32 s6, s15, s6
	v_lshlrev_b64 v[81:82], 1, v[1:2]
	s_delay_alu instid0(VALU_DEP_3) | instskip(NEXT) | instid1(VALU_DEP_3)
	v_add_nc_u32_e32 v6, v3, v5
	v_add_nc_u32_e32 v5, v4, v5
	s_mul_i32 s20, s30, s4
	s_delay_alu instid0(SALU_CYCLE_1) | instskip(NEXT) | instid1(VALU_DEP_2)
	s_ashr_i32 s21, s20, 31
	v_ashrrev_i32_e32 v6, 5, v6
	s_delay_alu instid0(VALU_DEP_2) | instskip(SKIP_1) | instid1(SALU_CYCLE_1)
	v_ashrrev_i32_e32 v5, 5, v5
	s_lshl_b64 s[20:21], s[20:21], 2
	s_add_u32 s4, s12, s20
	s_delay_alu instid0(VALU_DEP_2) | instskip(SKIP_3) | instid1(SALU_CYCLE_1)
	v_cndmask_b32_e32 v3, s3, v6, vcc_lo
	v_cmp_gt_i32_e32 vcc_lo, s18, v4
	s_addc_u32 s17, s13, s21
	s_ashr_i32 s7, s6, 31
	s_lshl_b64 s[6:7], s[6:7], 1
	v_cndmask_b32_e32 v5, s3, v5, vcc_lo
	v_ashrrev_i32_e32 v4, 31, v3
	s_add_u32 s15, s8, s6
	s_addc_u32 s28, s9, s7
	s_lshl_b32 s8, s14, 3
	v_ashrrev_i32_e32 v6, 31, v5
	v_lshlrev_b64 v[3:4], 2, v[3:4]
	s_ashr_i32 s9, s8, 31
	s_delay_alu instid0(SALU_CYCLE_1) | instskip(NEXT) | instid1(VALU_DEP_2)
	s_lshl_b64 s[8:9], s[8:9], 2
	v_lshlrev_b64 v[5:6], 2, v[5:6]
	s_add_u32 s8, s4, s8
	s_delay_alu instid0(VALU_DEP_2) | instskip(SKIP_1) | instid1(VALU_DEP_3)
	v_add_co_u32 v3, vcc_lo, s4, v3
	v_add_co_ci_u32_e32 v4, vcc_lo, s17, v4, vcc_lo
	v_add_co_u32 v5, vcc_lo, s4, v5
	s_delay_alu instid0(VALU_DEP_4)
	v_add_co_ci_u32_e32 v6, vcc_lo, s17, v6, vcc_lo
	s_addc_u32 s9, s17, s9
	s_clause 0x1
	global_load_b32 v7, v[3:4], off
	global_load_b32 v8, v[5:6], off
	s_or_b32 s12, s16, 32
	s_delay_alu instid0(SALU_CYCLE_1) | instskip(SKIP_2) | instid1(SALU_CYCLE_1)
	s_ashr_i32 s13, s12, 5
	s_cmp_lt_i32 s12, s18
	s_cselect_b32 s12, s13, s3
	s_ashr_i32 s13, s12, 31
	s_delay_alu instid0(SALU_CYCLE_1) | instskip(NEXT) | instid1(SALU_CYCLE_1)
	s_lshl_b64 s[12:13], s[12:13], 2
	s_add_u32 s12, s4, s12
	s_addc_u32 s13, s17, s13
	s_or_b32 s20, s16, 64
	s_delay_alu instid0(SALU_CYCLE_1) | instskip(SKIP_2) | instid1(SALU_CYCLE_1)
	s_ashr_i32 s21, s20, 5
	s_cmp_lt_i32 s20, s18
	s_cselect_b32 s20, s21, s3
	s_ashr_i32 s21, s20, 31
	s_delay_alu instid0(SALU_CYCLE_1) | instskip(NEXT) | instid1(SALU_CYCLE_1)
	s_lshl_b64 s[20:21], s[20:21], 2
	s_add_u32 s20, s4, s20
	s_addc_u32 s21, s17, s21
	;; [unrolled: 10-line block ×5, first 2 shown]
	s_clause 0x5
	s_load_b32 s29, s[8:9], 0x0
	s_load_b32 s33, s[12:13], 0x0
	;; [unrolled: 1-line block ×6, first 2 shown]
	s_mov_b32 s20, 0
	s_or_b32 s8, s16, 0xc0
	s_mov_b32 s21, s20
	s_mov_b32 s22, s20
	;; [unrolled: 1-line block ×7, first 2 shown]
	s_ashr_i32 s9, s8, 5
	v_mov_b32_e32 v117, s27
	s_cmp_lt_i32 s8, s18
	v_mov_b32_e32 v116, s26
	s_cselect_b32 s8, s9, s3
	v_mov_b32_e32 v115, s25
	s_ashr_i32 s9, s8, 31
	v_dual_mov_b32 v114, s24 :: v_dual_mov_b32 v113, s23
	v_dual_mov_b32 v112, s22 :: v_dual_mov_b32 v111, s21
	s_lshl_b64 s[8:9], s[8:9], 2
	s_waitcnt lgkmcnt(0)
	s_mul_hi_i32 s13, s29, s5
	s_add_u32 s8, s4, s8
	s_addc_u32 s9, s17, s9
	s_mul_i32 s12, s29, s5
	v_mov_b32_e32 v110, s20
	s_mul_hi_i32 s21, s33, s5
	s_mul_i32 s20, s33, s5
	s_mul_hi_i32 s25, s34, s5
	s_mul_i32 s24, s34, s5
	;; [unrolled: 2-line block ×4, first 2 shown]
	s_waitcnt vmcnt(1)
	v_mad_i64_i32 v[3:4], null, v7, s5, 0
	s_waitcnt vmcnt(0)
	v_mad_i64_i32 v[5:6], null, v8, s5, 0
	s_delay_alu instid0(VALU_DEP_2) | instskip(NEXT) | instid1(VALU_DEP_2)
	v_lshlrev_b64 v[3:4], 1, v[3:4]
	v_lshlrev_b64 v[1:2], 1, v[5:6]
	s_delay_alu instid0(VALU_DEP_2) | instskip(NEXT) | instid1(VALU_DEP_3)
	v_add_co_u32 v3, vcc_lo, s15, v3
	v_add_co_ci_u32_e32 v4, vcc_lo, s28, v4, vcc_lo
	s_delay_alu instid0(VALU_DEP_3) | instskip(NEXT) | instid1(VALU_DEP_4)
	v_add_co_u32 v1, vcc_lo, s15, v1
	v_add_co_ci_u32_e32 v2, vcc_lo, s28, v2, vcc_lo
	s_delay_alu instid0(VALU_DEP_4) | instskip(NEXT) | instid1(VALU_DEP_4)
	v_add_co_u32 v41, vcc_lo, v3, v81
	v_add_co_ci_u32_e32 v42, vcc_lo, v4, v82, vcc_lo
	s_delay_alu instid0(VALU_DEP_4) | instskip(NEXT) | instid1(VALU_DEP_4)
	v_add_co_u32 v43, vcc_lo, v1, v81
	v_add_co_ci_u32_e32 v44, vcc_lo, v2, v82, vcc_lo
	s_clause 0xf
	global_load_b128 v[1:4], v[41:42], off
	global_load_b128 v[5:8], v[41:42], off offset:512
	global_load_b128 v[9:12], v[43:44], off offset:256
	;; [unrolled: 1-line block ×15, first 2 shown]
	v_and_b32_e32 v41, 7, v0
	s_or_b32 s15, s16, 0xe0
	s_delay_alu instid0(SALU_CYCLE_1) | instskip(SKIP_1) | instid1(VALU_DEP_1)
	s_ashr_i32 s22, s15, 5
	s_cmp_lt_i32 s15, s18
	v_lshlrev_b32_e32 v57, 6, v41
	ds_load_b128 v[41:44], v57
	ds_load_b128 v[45:48], v57 offset:1024
	ds_load_b128 v[49:52], v57 offset:2048
	;; [unrolled: 1-line block ×7, first 2 shown]
	s_cselect_b32 s22, s22, s3
	s_delay_alu instid0(SALU_CYCLE_1) | instskip(NEXT) | instid1(SALU_CYCLE_1)
	s_ashr_i32 s23, s22, 31
	s_lshl_b64 s[22:23], s[22:23], 2
	s_delay_alu instid0(SALU_CYCLE_1) | instskip(SKIP_2) | instid1(SALU_CYCLE_1)
	s_add_u32 s22, s4, s22
	s_addc_u32 s23, s17, s23
	s_add_i32 s15, s16, 0x100
	s_ashr_i32 s28, s15, 5
	s_cmp_lt_i32 s15, s18
	s_load_b32 s15, s[8:9], 0x0
	s_cselect_b32 s28, s28, s3
	s_mul_hi_i32 s9, s36, s5
	s_ashr_i32 s29, s28, 31
	s_mul_i32 s8, s36, s5
	s_lshl_b64 s[28:29], s[28:29], 2
	s_delay_alu instid0(SALU_CYCLE_1)
	s_add_u32 s28, s4, s28
	s_addc_u32 s29, s17, s29
	s_add_u32 s3, s10, s6
	s_clause 0x1
	s_load_b32 s4, s[22:23], 0x0
	s_load_b32 s17, s[28:29], 0x0
	s_addc_u32 s28, s11, s7
	s_lshl_b64 s[6:7], s[12:13], 1
	s_lshl_b64 s[10:11], s[20:21], 1
	;; [unrolled: 1-line block ×6, first 2 shown]
	s_waitcnt lgkmcnt(0)
	s_mul_hi_i32 s25, s15, s5
	s_mul_i32 s24, s15, s5
	s_waitcnt vmcnt(14)
	v_wmma_f32_16x16x16_bf16 v[134:141], v[1:8], v[41:48], v[110:117]
	s_waitcnt vmcnt(12)
	v_wmma_f32_16x16x16_bf16 v[110:117], v[9:16], v[41:48], v[110:117]
	s_waitcnt vmcnt(10)
	s_delay_alu instid0(VALU_DEP_2) | instskip(SKIP_1) | instid1(VALU_DEP_2)
	v_wmma_f32_16x16x16_bf16 v[134:141], v[17:24], v[49:56], v[134:141]
	s_waitcnt vmcnt(8)
	v_wmma_f32_16x16x16_bf16 v[110:117], v[25:32], v[49:56], v[110:117]
	s_waitcnt vmcnt(6)
	s_delay_alu instid0(VALU_DEP_2) | instskip(SKIP_1) | instid1(VALU_DEP_2)
	v_wmma_f32_16x16x16_bf16 v[134:141], v[33:40], v[118:125], v[134:141]
	s_waitcnt vmcnt(4)
	v_wmma_f32_16x16x16_bf16 v[110:117], v[86:93], v[118:125], v[110:117]
	s_waitcnt vmcnt(2)
	s_delay_alu instid0(VALU_DEP_2) | instskip(SKIP_3) | instid1(VALU_DEP_3)
	v_wmma_f32_16x16x16_bf16 v[134:141], v[94:101], v[126:133], v[134:141]
	v_lshlrev_b32_e32 v85, 6, v74
	s_waitcnt vmcnt(0)
	v_wmma_f32_16x16x16_bf16 v[110:117], v[102:109], v[126:133], v[110:117]
	v_mul_f32_e32 v100, s19, v141
	s_delay_alu instid0(VALU_DEP_3) | instskip(SKIP_2) | instid1(VALU_DEP_3)
	v_lshl_or_b32 v58, v73, 10, v85
	v_mul_f32_e32 v97, s19, v134
	v_mul_f32_e32 v99, s19, v135
	v_add_co_u32 v76, s3, s3, v58
	s_delay_alu instid0(VALU_DEP_1) | instskip(NEXT) | instid1(VALU_DEP_2)
	v_add_co_ci_u32_e64 v77, null, s28, 0, s3
	v_add_co_u32 v57, vcc_lo, v76, s6
	s_delay_alu instid0(VALU_DEP_2)
	v_add_co_ci_u32_e32 v58, vcc_lo, s7, v77, vcc_lo
	v_add_co_u32 v1, vcc_lo, v76, s10
	v_add_co_ci_u32_e32 v2, vcc_lo, s11, v77, vcc_lo
	v_add_co_u32 v3, vcc_lo, v76, s12
	;; [unrolled: 2-line block ×4, first 2 shown]
	v_add_co_ci_u32_e32 v8, vcc_lo, s9, v77, vcc_lo
	s_clause 0x9
	global_load_b128 v[65:68], v[57:58], off
	global_load_b128 v[69:72], v[57:58], off offset:16
	global_load_b128 v[57:60], v[1:2], off
	global_load_b128 v[61:64], v[1:2], off offset:16
	;; [unrolled: 2-line block ×5, first 2 shown]
	v_add_co_u32 v5, vcc_lo, v76, s22
	s_lshl_b64 s[6:7], s[24:25], 1
	v_add_co_ci_u32_e32 v6, vcc_lo, s23, v77, vcc_lo
	s_mul_hi_i32 s9, s4, s5
	s_mul_i32 s8, s4, s5
	v_add_co_u32 v17, vcc_lo, v76, s6
	v_add_co_ci_u32_e32 v18, vcc_lo, s7, v77, vcc_lo
	s_lshl_b64 s[6:7], s[8:9], 1
	s_mul_hi_i32 s9, s17, s5
	s_mul_i32 s8, s17, s5
	v_add_co_u32 v19, vcc_lo, v76, s6
	s_lshl_b64 s[4:5], s[8:9], 1
	v_add_co_ci_u32_e32 v20, vcc_lo, s7, v77, vcc_lo
	v_add_co_u32 v21, vcc_lo, v76, s4
	v_add_co_ci_u32_e32 v22, vcc_lo, s5, v77, vcc_lo
	s_clause 0x7
	global_load_b128 v[1:4], v[5:6], off
	global_load_b128 v[5:8], v[5:6], off offset:16
	global_load_b128 v[33:36], v[17:18], off
	global_load_b128 v[37:40], v[17:18], off offset:16
	global_load_b128 v[25:28], v[19:20], off
	global_load_b128 v[29:32], v[19:20], off offset:16
	global_load_b128 v[17:20], v[21:22], off
	global_load_b128 v[21:24], v[21:22], off offset:16
	v_and_b32_e32 v76, 0xe0, v0
	v_mbcnt_lo_u32_b32 v77, -1, 0
	s_waitcnt vmcnt(0)
	s_barrier
	buffer_gl0_inv
	v_add_nc_u32_e32 v76, s16, v76
	v_xor_b32_e32 v78, 16, v77
	s_delay_alu instid0(VALU_DEP_2) | instskip(NEXT) | instid1(VALU_DEP_2)
	v_or_b32_e32 v76, v76, v83
	v_cmp_gt_i32_e32 vcc_lo, 32, v78
	s_delay_alu instid0(VALU_DEP_2)
	v_or_b32_e32 v79, 4, v76
	v_cndmask_b32_e32 v77, v77, v78, vcc_lo
	v_or_b32_e32 v78, 2, v76
	v_or_b32_e32 v80, 6, v76
	;; [unrolled: 1-line block ×3, first 2 shown]
	v_cmp_gt_i32_e32 vcc_lo, s18, v76
	v_or_b32_e32 v87, 10, v76
	v_cmp_gt_i32_e64 s3, s18, v78
	v_or_b32_e32 v88, 12, v76
	v_or_b32_e32 v89, 14, v76
	;; [unrolled: 1-line block ×10, first 2 shown]
	v_cndmask_b32_e64 v78, 0xff7fffff, v99, s3
	v_mul_f32_e32 v99, s19, v137
	v_cmp_gt_i32_e64 s4, s18, v80
	v_mul_f32_e32 v80, s19, v136
	v_cmp_gt_i32_e64 s5, s18, v79
	v_cmp_gt_i32_e64 s6, s18, v86
	v_mul_f32_e32 v86, s19, v116
	v_cndmask_b32_e32 v76, 0xff7fffff, v97, vcc_lo
	v_mul_f32_e32 v79, s19, v139
	v_cndmask_b32_e64 v80, 0xff7fffff, v80, s5
	v_cndmask_b32_e64 v99, 0xff7fffff, v99, s4
	v_cmp_gt_i32_e64 s7, s18, v87
	v_max3_f32 v76, v76, 0xff7fffff, v78
	v_dual_mul_f32 v78, s19, v138 :: v_dual_mul_f32 v97, s19, v140
	v_cmp_gt_i32_e64 s8, s18, v89
	s_delay_alu instid0(VALU_DEP_4) | instskip(NEXT) | instid1(VALU_DEP_4)
	v_cndmask_b32_e64 v79, 0xff7fffff, v79, s7
	v_max3_f32 v76, v76, v80, v99
	s_delay_alu instid0(VALU_DEP_4) | instskip(SKIP_3) | instid1(VALU_DEP_4)
	v_cndmask_b32_e64 v78, 0xff7fffff, v78, s6
	v_cmp_gt_i32_e64 s9, s18, v88
	v_dual_mul_f32 v88, s19, v111 :: v_dual_mul_f32 v89, s19, v110
	v_cndmask_b32_e64 v100, 0xff7fffff, v100, s8
	v_max3_f32 v76, v76, v78, v79
	s_delay_alu instid0(VALU_DEP_4) | instskip(SKIP_3) | instid1(VALU_DEP_4)
	v_cndmask_b32_e64 v97, 0xff7fffff, v97, s9
	v_cmp_gt_i32_e64 s10, s18, v90
	v_cmp_gt_i32_e64 s11, s18, v91
	v_dual_mul_f32 v78, s19, v113 :: v_dual_mul_f32 v79, s19, v112
	v_max3_f32 v76, v76, v97, v100
	s_delay_alu instid0(VALU_DEP_4) | instskip(NEXT) | instid1(VALU_DEP_4)
	v_cndmask_b32_e64 v89, 0xff7fffff, v89, s10
	v_cndmask_b32_e64 v88, 0xff7fffff, v88, s11
	v_cmp_gt_i32_e64 s12, s18, v92
	v_cmp_gt_i32_e64 s13, s18, v93
	v_mul_f32_e32 v87, s19, v115
	v_mul_f32_e32 v99, s19, v114
	v_max3_f32 v76, v76, v89, v88
	v_cndmask_b32_e64 v79, 0xff7fffff, v79, s12
	v_cndmask_b32_e64 v78, 0xff7fffff, v78, s13
	v_cmp_gt_i32_e64 s15, s18, v94
	v_cmp_gt_i32_e64 s16, s18, v95
	v_mul_f32_e32 v80, s19, v117
	v_cmp_gt_i32_e64 s17, s18, v96
	v_max3_f32 v76, v76, v79, v78
	v_cndmask_b32_e64 v88, 0xff7fffff, v99, s15
	v_cndmask_b32_e64 v87, 0xff7fffff, v87, s16
	v_cmp_gt_i32_e64 s18, s18, v98
	v_cndmask_b32_e64 v78, 0xff7fffff, v86, s17
	v_lshlrev_b32_e32 v99, 2, v77
	s_delay_alu instid0(VALU_DEP_4) | instskip(NEXT) | instid1(VALU_DEP_4)
	v_max3_f32 v76, v76, v88, v87
	v_cndmask_b32_e64 v79, 0xff7fffff, v80, s18
	s_delay_alu instid0(VALU_DEP_1) | instskip(SKIP_3) | instid1(VALU_DEP_1)
	v_max3_f32 v76, v76, v78, v79
	ds_bpermute_b32 v77, v99, v76
	s_waitcnt lgkmcnt(0)
	v_max_f32_e32 v77, v77, v77
	v_max_f32_e32 v89, v76, v77
	s_delay_alu instid0(VALU_DEP_1)
	v_fma_f32 v78, s19, v136, -v89
	v_fma_f32 v76, s19, v134, -v89
	;; [unrolled: 1-line block ×5, first 2 shown]
	v_mul_f32_e32 v78, 0x3fb8aa3b, v78
	v_mul_f32_e32 v76, 0x3fb8aa3b, v76
	s_delay_alu instid0(VALU_DEP_4) | instskip(SKIP_1) | instid1(VALU_DEP_4)
	v_dual_mul_f32 v86, 0x3fb8aa3b, v86 :: v_dual_mul_f32 v77, 0x3fb8aa3b, v77
	v_fma_f32 v80, s19, v138, -v89
	v_exp_f32_e32 v78, v78
	s_delay_alu instid0(VALU_DEP_3) | instskip(NEXT) | instid1(VALU_DEP_2)
	v_exp_f32_e32 v76, v76
	v_exp_f32_e32 v86, v86
	;; [unrolled: 1-line block ×3, first 2 shown]
	v_mul_f32_e32 v80, 0x3fb8aa3b, v80
	s_delay_alu instid0(VALU_DEP_1) | instskip(SKIP_2) | instid1(TRANS32_DEP_3)
	v_exp_f32_e32 v80, v80
	v_cndmask_b32_e64 v92, 0, v78, s5
	v_fma_f32 v78, s19, v141, -v89
	v_cndmask_b32_e64 v93, 0, v86, s9
	v_mul_f32_e32 v79, 0x3fb8aa3b, v79
	s_delay_alu instid0(TRANS32_DEP_2) | instskip(SKIP_2) | instid1(VALU_DEP_3)
	v_cndmask_b32_e64 v90, 0, v77, s3
	s_mov_b32 s3, exec_lo
	v_mul_f32_e32 v78, 0x3fb8aa3b, v78
	v_exp_f32_e32 v79, v79
	s_delay_alu instid0(TRANS32_DEP_2) | instskip(SKIP_1) | instid1(VALU_DEP_3)
	v_cndmask_b32_e64 v95, 0, v80, s6
	v_fma_f32 v80, s19, v111, -v89
	v_exp_f32_e32 v78, v78
	s_delay_alu instid0(VALU_DEP_1)
	v_mul_f32_e32 v80, 0x3fb8aa3b, v80
	s_waitcnt_depctr 0xfff
	v_cndmask_b32_e64 v94, 0, v79, s4
	v_fma_f32 v79, s19, v110, -v89
	v_exp_f32_e32 v80, v80
	v_cndmask_b32_e64 v97, 0, v78, s8
	v_cndmask_b32_e32 v91, 0, v76, vcc_lo
	v_fma_f32 v76, s19, v139, -v89
	s_delay_alu instid0(VALU_DEP_1) | instskip(NEXT) | instid1(VALU_DEP_1)
	v_dual_add_f32 v77, 0, v91 :: v_dual_mul_f32 v76, 0x3fb8aa3b, v76
	v_add_f32_e32 v77, v77, v90
	s_delay_alu instid0(VALU_DEP_2) | instskip(NEXT) | instid1(VALU_DEP_1)
	v_exp_f32_e32 v76, v76
	v_add_f32_e32 v77, v77, v92
	s_delay_alu instid0(VALU_DEP_1) | instskip(SKIP_4) | instid1(VALU_DEP_1)
	v_add_f32_e32 v77, v77, v94
	s_waitcnt_depctr 0xfff
	v_cndmask_b32_e64 v96, 0, v76, s7
	v_add_f32_e32 v76, v77, v95
	v_fma_f32 v77, s19, v112, -v89
	v_dual_add_f32 v76, v76, v96 :: v_dual_mul_f32 v77, 0x3fb8aa3b, v77
	s_delay_alu instid0(VALU_DEP_1) | instskip(NEXT) | instid1(VALU_DEP_2)
	v_add_f32_e32 v78, v76, v93
	v_exp_f32_e32 v88, v77
	v_cndmask_b32_e64 v77, 0, v80, s11
	s_delay_alu instid0(VALU_DEP_2) | instskip(NEXT) | instid1(VALU_DEP_1)
	v_dual_mul_f32 v79, 0x3fb8aa3b, v79 :: v_dual_add_f32 v78, v78, v97
	v_exp_f32_e32 v79, v79
	s_waitcnt_depctr 0xfff
	v_cndmask_b32_e64 v76, 0, v79, s10
	s_delay_alu instid0(VALU_DEP_1)
	v_add_f32_e32 v80, v78, v76
	v_fma_f32 v86, s19, v113, -v89
	v_fma_f32 v87, s19, v114, -v89
	;; [unrolled: 1-line block ×4, first 2 shown]
	v_add_f32_e32 v80, v80, v77
	s_delay_alu instid0(VALU_DEP_4) | instskip(NEXT) | instid1(VALU_DEP_4)
	v_dual_mul_f32 v86, 0x3fb8aa3b, v86 :: v_dual_mul_f32 v87, 0x3fb8aa3b, v87
	v_mul_f32_e32 v79, 0x3fb8aa3b, v79
	v_cndmask_b32_e64 v78, 0, v88, s12
	v_mul_f32_e32 v88, 0x3fb8aa3b, v98
	s_delay_alu instid0(VALU_DEP_4) | instskip(SKIP_4) | instid1(VALU_DEP_1)
	v_exp_f32_e32 v86, v86
	v_exp_f32_e32 v87, v87
	v_exp_f32_e32 v98, v79
	v_fma_f32 v100, s19, v117, -v89
	v_exp_f32_e32 v88, v88
	v_mul_f32_e32 v100, 0x3fb8aa3b, v100
	v_cndmask_b32_e64 v79, 0, v86, s13
	v_add_f32_e32 v86, v80, v78
	s_delay_alu instid0(TRANS32_DEP_3) | instskip(NEXT) | instid1(VALU_DEP_4)
	v_cndmask_b32_e64 v80, 0, v87, s15
	v_exp_f32_e32 v100, v100
	s_delay_alu instid0(VALU_DEP_2) | instskip(NEXT) | instid1(TRANS32_DEP_3)
	v_add_f32_e32 v87, v86, v79
	v_cndmask_b32_e64 v86, 0, v98, s16
	s_delay_alu instid0(VALU_DEP_2) | instskip(NEXT) | instid1(TRANS32_DEP_2)
	v_add_f32_e32 v98, v87, v80
	v_cndmask_b32_e64 v87, 0, v88, s17
	s_delay_alu instid0(VALU_DEP_2) | instskip(NEXT) | instid1(VALU_DEP_1)
	v_add_f32_e32 v88, v98, v86
	v_add_f32_e32 v98, v88, v87
	s_delay_alu instid0(TRANS32_DEP_1) | instskip(NEXT) | instid1(VALU_DEP_1)
	v_cndmask_b32_e64 v88, 0, v100, s18
	v_add_f32_e32 v98, v98, v88
	ds_bpermute_b32 v99, v99, v98
	v_cmpx_gt_u32_e32 16, v75
	s_cbranch_execz .LBB525_14
; %bb.13:
	v_mul_u32_u24_e32 v75, 0x44, v73
	s_waitcnt lgkmcnt(0)
	v_add_f32_e32 v98, v98, v99
	s_delay_alu instid0(VALU_DEP_2) | instskip(NEXT) | instid1(VALU_DEP_1)
	v_lshl_add_u32 v75, v74, 2, v75
	v_add_nc_u32_e32 v75, 0x4000, v75
	ds_store_2addr_b32 v75, v89, v98 offset1:136
.LBB525_14:
	s_or_b32 exec_lo, exec_lo, s3
	v_lshlrev_b32_e32 v74, 2, v74
	s_waitcnt lgkmcnt(0)
	s_barrier
	buffer_gl0_inv
	v_cmp_eq_u32_e64 s3, 1, v73
	v_add_nc_u32_e32 v89, 0x4000, v74
	ds_load_2addr_b32 v[98:99], v89 offset1:17
	ds_load_2addr_b32 v[100:101], v89 offset0:34 offset1:51
	ds_load_2addr_b32 v[102:103], v89 offset0:68 offset1:85
	;; [unrolled: 1-line block ×4, first 2 shown]
	s_waitcnt lgkmcnt(4)
	v_max3_f32 v74, v98, 0xff7fffff, v99
	s_waitcnt lgkmcnt(3)
	s_delay_alu instid0(VALU_DEP_1) | instskip(SKIP_1) | instid1(VALU_DEP_1)
	v_max3_f32 v74, v74, v100, v101
	s_waitcnt lgkmcnt(2)
	v_max3_f32 v74, v74, v102, v103
	s_waitcnt lgkmcnt(1)
	s_delay_alu instid0(VALU_DEP_1) | instskip(NEXT) | instid1(VALU_DEP_1)
	v_max3_f32 v74, v74, v104, v105
	v_sub_f32_e32 v108, v99, v74
	v_sub_f32_e32 v75, v98, v74
	ds_load_2addr_b32 v[98:99], v89 offset0:170 offset1:187
	v_sub_f32_e32 v100, v100, v74
	v_dual_mul_f32 v108, 0x3fb8aa3b, v108 :: v_dual_mul_f32 v75, 0x3fb8aa3b, v75
	s_delay_alu instid0(VALU_DEP_2) | instskip(NEXT) | instid1(VALU_DEP_2)
	v_mul_f32_e32 v110, 0x3fb8aa3b, v100
	v_exp_f32_e32 v108, v108
	s_delay_alu instid0(VALU_DEP_2)
	v_exp_f32_e32 v109, v75
	v_sub_f32_e32 v75, v101, v74
	ds_load_2addr_b32 v[100:101], v89 offset0:204 offset1:221
	v_exp_f32_e32 v110, v110
	v_mul_f32_e32 v111, 0x3fb8aa3b, v75
	s_waitcnt lgkmcnt(2)
	v_fma_f32 v75, v109, v106, 0
	v_sub_f32_e32 v102, v102, v74
	s_delay_alu instid0(VALU_DEP_3) | instskip(NEXT) | instid1(VALU_DEP_2)
	v_exp_f32_e32 v111, v111
	v_dual_sub_f32 v106, v103, v74 :: v_dual_fmac_f32 v75, v108, v107
	s_waitcnt lgkmcnt(1)
	s_waitcnt_depctr 0xfff
	v_fmac_f32_e32 v75, v110, v98
	v_mul_f32_e32 v112, 0x3fb8aa3b, v102
	ds_load_2addr_b32 v[102:103], v89 offset0:238 offset1:255
	v_sub_f32_e32 v89, v104, v74
	v_dual_sub_f32 v98, v105, v74 :: v_dual_fmac_f32 v75, v111, v99
	v_mul_f32_e32 v104, 0x3fb8aa3b, v106
	v_exp_f32_e32 v106, v112
	s_delay_alu instid0(VALU_DEP_2)
	v_dual_mul_f32 v89, 0x3fb8aa3b, v89 :: v_dual_mul_f32 v98, 0x3fb8aa3b, v98
	s_waitcnt lgkmcnt(0)
	s_barrier
	buffer_gl0_inv
	v_exp_f32_e32 v89, v89
	v_exp_f32_e32 v98, v98
	v_fmac_f32_e32 v75, v106, v100
	v_exp_f32_e32 v104, v104
	s_waitcnt_depctr 0xfff
	v_fmac_f32_e32 v75, v104, v101
	s_delay_alu instid0(VALU_DEP_1) | instskip(NEXT) | instid1(VALU_DEP_1)
	v_fmac_f32_e32 v75, v89, v102
	v_fmac_f32_e32 v75, v98, v103
	s_delay_alu instid0(VALU_DEP_1) | instskip(NEXT) | instid1(VALU_DEP_1)
	v_add_f32_e32 v99, 0x358637bd, v75
	v_div_scale_f32 v100, null, v99, v99, 1.0
	v_div_scale_f32 v103, vcc_lo, 1.0, v99, 1.0
	s_delay_alu instid0(VALU_DEP_2) | instskip(SKIP_2) | instid1(VALU_DEP_1)
	v_rcp_f32_e32 v101, v100
	s_waitcnt_depctr 0xfff
	v_fma_f32 v102, -v100, v101, 1.0
	v_fmac_f32_e32 v101, v102, v101
	v_cndmask_b32_e64 v102, v109, v108, s3
	v_cmp_eq_u32_e64 s3, 2, v73
	s_delay_alu instid0(VALU_DEP_3) | instskip(NEXT) | instid1(VALU_DEP_2)
	v_mul_f32_e32 v105, v103, v101
	v_cndmask_b32_e64 v102, v102, v110, s3
	v_cmp_eq_u32_e64 s3, 3, v73
	s_delay_alu instid0(VALU_DEP_3) | instskip(NEXT) | instid1(VALU_DEP_2)
	v_fma_f32 v107, -v100, v105, v103
	v_cndmask_b32_e64 v102, v102, v111, s3
	v_cmp_eq_u32_e64 s3, 4, v73
	s_delay_alu instid0(VALU_DEP_3) | instskip(NEXT) | instid1(VALU_DEP_2)
	v_fmac_f32_e32 v105, v107, v101
	v_cndmask_b32_e64 v102, v102, v106, s3
	s_delay_alu instid0(VALU_DEP_2) | instskip(SKIP_1) | instid1(VALU_DEP_2)
	v_fma_f32 v100, -v100, v105, v103
	v_cmp_eq_u32_e64 s3, 5, v73
	v_div_fmas_f32 v100, v100, v101, v105
	s_delay_alu instid0(VALU_DEP_2) | instskip(SKIP_2) | instid1(VALU_DEP_3)
	v_cndmask_b32_e64 v102, v102, v104, s3
	v_cmp_eq_u32_e32 vcc_lo, 6, v73
	s_mov_b32 s3, exec_lo
	v_div_fixup_f32 v99, v100, v99, 1.0
	s_delay_alu instid0(VALU_DEP_3) | instskip(SKIP_1) | instid1(VALU_DEP_2)
	v_cndmask_b32_e32 v89, v102, v89, vcc_lo
	v_cmp_eq_u32_e32 vcc_lo, 7, v73
	v_cndmask_b32_e32 v89, v89, v98, vcc_lo
	s_delay_alu instid0(VALU_DEP_1) | instskip(NEXT) | instid1(VALU_DEP_1)
	v_mul_f32_e32 v89, v89, v99
	v_mul_f32_e32 v99, v89, v91
	;; [unrolled: 1-line block ×6, first 2 shown]
	v_and_b32_e32 v100, 0x7f800000, v99
	v_mul_f32_e32 v98, v89, v94
	v_mul_f32_e32 v94, v89, v90
	;; [unrolled: 1-line block ×3, first 2 shown]
                                        ; implicit-def: $vgpr90
	s_delay_alu instid0(VALU_DEP_4)
	v_cmpx_ne_u32_e32 0x7f800000, v100
	s_xor_b32 s3, exec_lo, s3
; %bb.15:
	v_bfe_u32 v90, v99, 16, 1
	s_delay_alu instid0(VALU_DEP_1)
	v_add3_u32 v90, v99, v90, 0x7fff
                                        ; implicit-def: $vgpr99
; %bb.16:
	s_and_not1_saveexec_b32 s3, s3
; %bb.17:
	v_and_b32_e32 v90, 0xffff, v99
	v_or_b32_e32 v92, 0x10000, v99
	s_delay_alu instid0(VALU_DEP_2) | instskip(NEXT) | instid1(VALU_DEP_2)
	v_cmp_eq_u32_e32 vcc_lo, 0, v90
	v_cndmask_b32_e32 v90, v92, v99, vcc_lo
; %bb.18:
	s_or_b32 exec_lo, exec_lo, s3
	v_and_b32_e32 v92, 0x7f800000, v94
	s_delay_alu instid0(VALU_DEP_1) | instskip(SKIP_1) | instid1(SALU_CYCLE_1)
	v_cmp_ne_u32_e32 vcc_lo, 0x7f800000, v92
                                        ; implicit-def: $vgpr92
	s_and_saveexec_b32 s3, vcc_lo
	s_xor_b32 s3, exec_lo, s3
; %bb.19:
	v_bfe_u32 v92, v94, 16, 1
	s_delay_alu instid0(VALU_DEP_1)
	v_add3_u32 v92, v94, v92, 0x7fff
                                        ; implicit-def: $vgpr94
; %bb.20:
	s_and_not1_saveexec_b32 s3, s3
; %bb.21:
	v_and_b32_e32 v92, 0xffff, v94
	v_or_b32_e32 v99, 0x10000, v94
	s_delay_alu instid0(VALU_DEP_2) | instskip(NEXT) | instid1(VALU_DEP_2)
	v_cmp_eq_u32_e32 vcc_lo, 0, v92
	v_cndmask_b32_e32 v92, v99, v94, vcc_lo
; %bb.22:
	s_or_b32 exec_lo, exec_lo, s3
	v_and_b32_e32 v94, 0x7f800000, v95
	s_delay_alu instid0(VALU_DEP_1) | instskip(SKIP_1) | instid1(SALU_CYCLE_1)
	v_cmp_ne_u32_e32 vcc_lo, 0x7f800000, v94
                                        ; implicit-def: $vgpr94
	s_and_saveexec_b32 s3, vcc_lo
	s_xor_b32 s3, exec_lo, s3
; %bb.23:
	v_bfe_u32 v94, v95, 16, 1
	s_delay_alu instid0(VALU_DEP_1)
	v_add3_u32 v94, v95, v94, 0x7fff
                                        ; implicit-def: $vgpr95
; %bb.24:
	s_and_not1_saveexec_b32 s3, s3
; %bb.25:
	v_and_b32_e32 v94, 0xffff, v95
	v_or_b32_e32 v99, 0x10000, v95
	s_delay_alu instid0(VALU_DEP_2) | instskip(NEXT) | instid1(VALU_DEP_2)
	v_cmp_eq_u32_e32 vcc_lo, 0, v94
	v_cndmask_b32_e32 v94, v99, v95, vcc_lo
; %bb.26:
	s_or_b32 exec_lo, exec_lo, s3
	v_and_b32_e32 v95, 0x7f800000, v98
	s_delay_alu instid0(VALU_DEP_1) | instskip(SKIP_1) | instid1(SALU_CYCLE_1)
	v_cmp_ne_u32_e32 vcc_lo, 0x7f800000, v95
                                        ; implicit-def: $vgpr95
	s_and_saveexec_b32 s3, vcc_lo
	s_xor_b32 s3, exec_lo, s3
; %bb.27:
	v_bfe_u32 v95, v98, 16, 1
	s_delay_alu instid0(VALU_DEP_1)
	v_add3_u32 v95, v98, v95, 0x7fff
                                        ; implicit-def: $vgpr98
; %bb.28:
	s_and_not1_saveexec_b32 s3, s3
; %bb.29:
	v_and_b32_e32 v95, 0xffff, v98
	v_or_b32_e32 v99, 0x10000, v98
	s_delay_alu instid0(VALU_DEP_2) | instskip(NEXT) | instid1(VALU_DEP_2)
	v_cmp_eq_u32_e32 vcc_lo, 0, v95
	v_cndmask_b32_e32 v95, v99, v98, vcc_lo
; %bb.30:
	s_or_b32 exec_lo, exec_lo, s3
	v_and_b32_e32 v98, 0x7f800000, v97
	s_delay_alu instid0(VALU_DEP_1) | instskip(SKIP_1) | instid1(SALU_CYCLE_1)
	v_cmp_ne_u32_e32 vcc_lo, 0x7f800000, v98
                                        ; implicit-def: $vgpr98
	s_and_saveexec_b32 s3, vcc_lo
	s_xor_b32 s3, exec_lo, s3
; %bb.31:
	v_bfe_u32 v98, v97, 16, 1
	s_delay_alu instid0(VALU_DEP_1)
	v_add3_u32 v98, v97, v98, 0x7fff
                                        ; implicit-def: $vgpr97
; %bb.32:
	s_and_not1_saveexec_b32 s3, s3
; %bb.33:
	v_and_b32_e32 v98, 0xffff, v97
	v_or_b32_e32 v99, 0x10000, v97
	s_delay_alu instid0(VALU_DEP_2) | instskip(NEXT) | instid1(VALU_DEP_2)
	v_cmp_eq_u32_e32 vcc_lo, 0, v98
	v_cndmask_b32_e32 v98, v99, v97, vcc_lo
; %bb.34:
	s_or_b32 exec_lo, exec_lo, s3
	v_and_b32_e32 v97, 0x7f800000, v96
	s_delay_alu instid0(VALU_DEP_1) | instskip(SKIP_1) | instid1(SALU_CYCLE_1)
	v_cmp_ne_u32_e32 vcc_lo, 0x7f800000, v97
                                        ; implicit-def: $vgpr97
	s_and_saveexec_b32 s3, vcc_lo
	s_xor_b32 s3, exec_lo, s3
; %bb.35:
	v_bfe_u32 v97, v96, 16, 1
	s_delay_alu instid0(VALU_DEP_1)
	v_add3_u32 v97, v96, v97, 0x7fff
                                        ; implicit-def: $vgpr96
; %bb.36:
	s_and_not1_saveexec_b32 s3, s3
; %bb.37:
	v_and_b32_e32 v97, 0xffff, v96
	v_or_b32_e32 v99, 0x10000, v96
	s_delay_alu instid0(VALU_DEP_2) | instskip(NEXT) | instid1(VALU_DEP_2)
	v_cmp_eq_u32_e32 vcc_lo, 0, v97
	v_cndmask_b32_e32 v97, v99, v96, vcc_lo
; %bb.38:
	s_or_b32 exec_lo, exec_lo, s3
	v_and_b32_e32 v96, 0x7f800000, v93
	s_delay_alu instid0(VALU_DEP_1) | instskip(SKIP_1) | instid1(SALU_CYCLE_1)
	v_cmp_ne_u32_e32 vcc_lo, 0x7f800000, v96
                                        ; implicit-def: $vgpr96
	s_and_saveexec_b32 s3, vcc_lo
	s_xor_b32 s3, exec_lo, s3
; %bb.39:
	v_bfe_u32 v96, v93, 16, 1
	s_delay_alu instid0(VALU_DEP_1)
	v_add3_u32 v96, v93, v96, 0x7fff
                                        ; implicit-def: $vgpr93
; %bb.40:
	s_and_not1_saveexec_b32 s3, s3
; %bb.41:
	v_and_b32_e32 v96, 0xffff, v93
	v_or_b32_e32 v99, 0x10000, v93
	s_delay_alu instid0(VALU_DEP_2) | instskip(NEXT) | instid1(VALU_DEP_2)
	v_cmp_eq_u32_e32 vcc_lo, 0, v96
	v_cndmask_b32_e32 v96, v99, v93, vcc_lo
; %bb.42:
	s_or_b32 exec_lo, exec_lo, s3
	v_and_b32_e32 v93, 0x7f800000, v91
	s_delay_alu instid0(VALU_DEP_1) | instskip(SKIP_1) | instid1(SALU_CYCLE_1)
	v_cmp_ne_u32_e32 vcc_lo, 0x7f800000, v93
                                        ; implicit-def: $vgpr93
	s_and_saveexec_b32 s3, vcc_lo
	s_xor_b32 s3, exec_lo, s3
; %bb.43:
	v_bfe_u32 v93, v91, 16, 1
	s_delay_alu instid0(VALU_DEP_1)
	v_add3_u32 v93, v91, v93, 0x7fff
                                        ; implicit-def: $vgpr91
; %bb.44:
	s_and_not1_saveexec_b32 s3, s3
; %bb.45:
	v_and_b32_e32 v93, 0xffff, v91
	v_or_b32_e32 v99, 0x10000, v91
	s_delay_alu instid0(VALU_DEP_2) | instskip(NEXT) | instid1(VALU_DEP_2)
	v_cmp_eq_u32_e32 vcc_lo, 0, v93
	v_cndmask_b32_e32 v93, v99, v91, vcc_lo
; %bb.46:
	s_or_b32 exec_lo, exec_lo, s3
	s_load_b64 s[34:35], s[0:1], 0x94
	v_lshlrev_b32_e32 v91, 4, v83
	s_delay_alu instid0(VALU_DEP_2)
	v_perm_b32 v99, v93, v96, 0x7060302
	v_dual_mul_f32 v88, v89, v88 :: v_dual_lshlrev_b32 v93, 11, v73
	v_perm_b32 v96, v92, v90, 0x7060302
	v_mul_f32_e32 v92, v89, v76
	v_perm_b32 v98, v97, v98, 0x7060302
	v_perm_b32 v97, v95, v94, 0x7060302
	v_or3_b32 v76, v91, v93, v85
	v_mul_f32_e32 v87, v89, v87
	v_dual_mul_f32 v86, v89, v86 :: v_dual_and_b32 v93, 0x7f800000, v92
	v_mul_f32_e32 v80, v89, v80
	v_mul_f32_e32 v90, v89, v79
	v_mul_f32_e32 v91, v89, v78
	v_mul_f32_e32 v79, v89, v77
	s_mov_b32 s3, exec_lo
	ds_store_b128 v76, v[96:99]
                                        ; implicit-def: $vgpr77
	v_cmpx_ne_u32_e32 0x7f800000, v93
	s_xor_b32 s3, exec_lo, s3
; %bb.47:
	v_bfe_u32 v77, v92, 16, 1
	s_delay_alu instid0(VALU_DEP_1)
	v_add3_u32 v77, v92, v77, 0x7fff
                                        ; implicit-def: $vgpr92
; %bb.48:
	s_and_not1_saveexec_b32 s3, s3
; %bb.49:
	v_and_b32_e32 v77, 0xffff, v92
	v_or_b32_e32 v78, 0x10000, v92
	s_delay_alu instid0(VALU_DEP_2) | instskip(NEXT) | instid1(VALU_DEP_2)
	v_cmp_eq_u32_e32 vcc_lo, 0, v77
	v_cndmask_b32_e32 v77, v78, v92, vcc_lo
; %bb.50:
	s_or_b32 exec_lo, exec_lo, s3
	v_and_b32_e32 v78, 0x7f800000, v79
	s_delay_alu instid0(VALU_DEP_1) | instskip(SKIP_1) | instid1(SALU_CYCLE_1)
	v_cmp_ne_u32_e32 vcc_lo, 0x7f800000, v78
                                        ; implicit-def: $vgpr78
	s_and_saveexec_b32 s3, vcc_lo
	s_xor_b32 s3, exec_lo, s3
; %bb.51:
	v_bfe_u32 v78, v79, 16, 1
	s_delay_alu instid0(VALU_DEP_1)
	v_add3_u32 v78, v79, v78, 0x7fff
                                        ; implicit-def: $vgpr79
; %bb.52:
	s_and_not1_saveexec_b32 s3, s3
; %bb.53:
	v_and_b32_e32 v78, 0xffff, v79
	v_or_b32_e32 v89, 0x10000, v79
	s_delay_alu instid0(VALU_DEP_2) | instskip(NEXT) | instid1(VALU_DEP_2)
	v_cmp_eq_u32_e32 vcc_lo, 0, v78
	v_cndmask_b32_e32 v78, v89, v79, vcc_lo
; %bb.54:
	s_or_b32 exec_lo, exec_lo, s3
	v_and_b32_e32 v79, 0x7f800000, v91
	s_delay_alu instid0(VALU_DEP_1) | instskip(SKIP_1) | instid1(SALU_CYCLE_1)
	v_cmp_ne_u32_e32 vcc_lo, 0x7f800000, v79
                                        ; implicit-def: $vgpr79
	s_and_saveexec_b32 s3, vcc_lo
	s_xor_b32 s3, exec_lo, s3
; %bb.55:
	v_bfe_u32 v79, v91, 16, 1
	s_delay_alu instid0(VALU_DEP_1)
	v_add3_u32 v79, v91, v79, 0x7fff
                                        ; implicit-def: $vgpr91
; %bb.56:
	s_and_not1_saveexec_b32 s3, s3
; %bb.57:
	v_and_b32_e32 v79, 0xffff, v91
	v_or_b32_e32 v89, 0x10000, v91
	s_delay_alu instid0(VALU_DEP_2) | instskip(NEXT) | instid1(VALU_DEP_2)
	v_cmp_eq_u32_e32 vcc_lo, 0, v79
	v_cndmask_b32_e32 v79, v89, v91, vcc_lo
; %bb.58:
	s_or_b32 exec_lo, exec_lo, s3
	v_and_b32_e32 v89, 0x7f800000, v90
	s_delay_alu instid0(VALU_DEP_1) | instskip(SKIP_1) | instid1(SALU_CYCLE_1)
	v_cmp_ne_u32_e32 vcc_lo, 0x7f800000, v89
                                        ; implicit-def: $vgpr89
	s_and_saveexec_b32 s3, vcc_lo
	s_xor_b32 s3, exec_lo, s3
; %bb.59:
	v_bfe_u32 v89, v90, 16, 1
	s_delay_alu instid0(VALU_DEP_1)
	v_add3_u32 v89, v90, v89, 0x7fff
                                        ; implicit-def: $vgpr90
; %bb.60:
	s_and_not1_saveexec_b32 s3, s3
; %bb.61:
	v_and_b32_e32 v89, 0xffff, v90
	v_or_b32_e32 v91, 0x10000, v90
	s_delay_alu instid0(VALU_DEP_2) | instskip(NEXT) | instid1(VALU_DEP_2)
	v_cmp_eq_u32_e32 vcc_lo, 0, v89
	v_cndmask_b32_e32 v89, v91, v90, vcc_lo
; %bb.62:
	s_or_b32 exec_lo, exec_lo, s3
	v_and_b32_e32 v90, 0x7f800000, v80
	s_delay_alu instid0(VALU_DEP_1) | instskip(SKIP_1) | instid1(SALU_CYCLE_1)
	v_cmp_ne_u32_e32 vcc_lo, 0x7f800000, v90
                                        ; implicit-def: $vgpr90
	s_and_saveexec_b32 s3, vcc_lo
	s_xor_b32 s3, exec_lo, s3
; %bb.63:
	v_bfe_u32 v90, v80, 16, 1
	s_delay_alu instid0(VALU_DEP_1)
	v_add3_u32 v90, v80, v90, 0x7fff
                                        ; implicit-def: $vgpr80
; %bb.64:
	s_and_not1_saveexec_b32 s3, s3
; %bb.65:
	v_and_b32_e32 v90, 0xffff, v80
	v_or_b32_e32 v91, 0x10000, v80
	s_delay_alu instid0(VALU_DEP_2) | instskip(NEXT) | instid1(VALU_DEP_2)
	v_cmp_eq_u32_e32 vcc_lo, 0, v90
	v_cndmask_b32_e32 v90, v91, v80, vcc_lo
; %bb.66:
	s_or_b32 exec_lo, exec_lo, s3
	v_and_b32_e32 v80, 0x7f800000, v86
	s_delay_alu instid0(VALU_DEP_1) | instskip(SKIP_1) | instid1(SALU_CYCLE_1)
	v_cmp_ne_u32_e32 vcc_lo, 0x7f800000, v80
                                        ; implicit-def: $vgpr80
	s_and_saveexec_b32 s3, vcc_lo
	s_xor_b32 s3, exec_lo, s3
; %bb.67:
	v_bfe_u32 v80, v86, 16, 1
	s_delay_alu instid0(VALU_DEP_1)
	v_add3_u32 v80, v86, v80, 0x7fff
                                        ; implicit-def: $vgpr86
; %bb.68:
	s_and_not1_saveexec_b32 s3, s3
; %bb.69:
	v_and_b32_e32 v80, 0xffff, v86
	v_or_b32_e32 v91, 0x10000, v86
	s_delay_alu instid0(VALU_DEP_2) | instskip(NEXT) | instid1(VALU_DEP_2)
	v_cmp_eq_u32_e32 vcc_lo, 0, v80
	v_cndmask_b32_e32 v80, v91, v86, vcc_lo
; %bb.70:
	s_or_b32 exec_lo, exec_lo, s3
	v_and_b32_e32 v86, 0x7f800000, v87
	s_delay_alu instid0(VALU_DEP_1) | instskip(SKIP_1) | instid1(SALU_CYCLE_1)
	v_cmp_ne_u32_e32 vcc_lo, 0x7f800000, v86
                                        ; implicit-def: $vgpr86
	s_and_saveexec_b32 s3, vcc_lo
	s_xor_b32 s3, exec_lo, s3
; %bb.71:
	v_bfe_u32 v86, v87, 16, 1
	s_delay_alu instid0(VALU_DEP_1)
	v_add3_u32 v86, v87, v86, 0x7fff
                                        ; implicit-def: $vgpr87
; %bb.72:
	s_and_not1_saveexec_b32 s3, s3
; %bb.73:
	v_and_b32_e32 v86, 0xffff, v87
	v_or_b32_e32 v91, 0x10000, v87
	s_delay_alu instid0(VALU_DEP_2) | instskip(NEXT) | instid1(VALU_DEP_2)
	v_cmp_eq_u32_e32 vcc_lo, 0, v86
	v_cndmask_b32_e32 v86, v91, v87, vcc_lo
; %bb.74:
	s_or_b32 exec_lo, exec_lo, s3
	v_and_b32_e32 v87, 0x7f800000, v88
	s_delay_alu instid0(VALU_DEP_1) | instskip(SKIP_1) | instid1(SALU_CYCLE_1)
	v_cmp_ne_u32_e32 vcc_lo, 0x7f800000, v87
                                        ; implicit-def: $vgpr87
	s_and_saveexec_b32 s3, vcc_lo
	s_xor_b32 s3, exec_lo, s3
; %bb.75:
	v_bfe_u32 v87, v88, 16, 1
	s_delay_alu instid0(VALU_DEP_1)
	v_add3_u32 v87, v88, v87, 0x7fff
                                        ; implicit-def: $vgpr88
; %bb.76:
	s_and_not1_saveexec_b32 s3, s3
; %bb.77:
	v_and_b32_e32 v87, 0xffff, v88
	v_or_b32_e32 v91, 0x10000, v88
	s_delay_alu instid0(VALU_DEP_2) | instskip(NEXT) | instid1(VALU_DEP_2)
	v_cmp_eq_u32_e32 vcc_lo, 0, v87
	v_cndmask_b32_e32 v87, v91, v88, vcc_lo
; %bb.78:
	s_or_b32 exec_lo, exec_lo, s3
	s_delay_alu instid0(VALU_DEP_1)
	v_perm_b32 v94, v87, v86, 0x7060302
	v_perm_b32 v93, v80, v90, 0x7060302
	;; [unrolled: 1-line block ×4, first 2 shown]
	v_lshl_or_b32 v90, v73, 11, v85
	ds_store_b128 v76, v[91:94] offset:1024
	s_waitcnt lgkmcnt(0)
	s_barrier
	buffer_gl0_inv
	ds_load_b128 v[77:80], v90
	ds_load_b128 v[91:94], v90 offset:16
	s_waitcnt lgkmcnt(1)
	v_lshrrev_b32_e32 v73, 16, v77
	s_waitcnt lgkmcnt(0)
	v_lshrrev_b32_e32 v108, 16, v94
	v_lshlrev_b32_e32 v87, 2, v83
	v_lshrrev_b32_e32 v99, 16, v91
	v_lshrrev_b32_e32 v103, 16, v78
	;; [unrolled: 1-line block ×4, first 2 shown]
	v_or_b32_e32 v88, 1, v87
	v_cmp_eq_u32_e32 vcc_lo, 1, v87
	v_cmp_eq_u32_e64 s4, 2, v87
	v_cmp_eq_u32_e64 s7, 3, v87
	;; [unrolled: 1-line block ×4, first 2 shown]
	v_cndmask_b32_e32 v89, v77, v73, vcc_lo
	v_cndmask_b32_e32 v95, v91, v99, vcc_lo
	v_cmp_eq_u32_e64 s6, 2, v88
	v_cmp_eq_u32_e64 s8, 3, v88
	v_cndmask_b32_e64 v96, v77, v73, s3
	v_cndmask_b32_e64 v89, v89, v78, s4
	;; [unrolled: 1-line block ×3, first 2 shown]
	v_or_b32_e32 v86, 2, v87
	v_lshrrev_b32_e32 v107, 16, v93
	v_cndmask_b32_e64 v96, v96, v78, s6
	v_cndmask_b32_e64 v89, v89, v103, s7
	;; [unrolled: 1-line block ×4, first 2 shown]
	v_cmp_eq_u32_e64 s10, 5, v87
	v_cndmask_b32_e64 v96, v96, v103, s8
	v_cndmask_b32_e64 v89, v89, v79, s9
	;; [unrolled: 1-line block ×3, first 2 shown]
	v_cmp_eq_u32_e64 s11, 4, v88
	v_cmp_eq_u32_e64 s5, 1, v86
	v_cndmask_b32_e64 v97, v97, v92, s6
	v_cndmask_b32_e64 v89, v89, v104, s10
	v_cmp_eq_u32_e64 s12, 6, v87
	v_cndmask_b32_e64 v96, v96, v79, s11
	v_cndmask_b32_e64 v95, v95, v107, s10
	v_cmp_eq_u32_e64 s13, 5, v88
	v_lshrrev_b32_e32 v105, 16, v80
	v_cndmask_b32_e64 v98, v77, v73, s5
	v_cndmask_b32_e64 v97, v97, v106, s8
	;; [unrolled: 1-line block ×4, first 2 shown]
	v_cmp_eq_u32_e64 s15, 7, v87
	v_cndmask_b32_e64 v95, v95, v94, s12
	v_cmp_eq_u32_e64 s16, 6, v88
	v_cmp_eq_u32_e64 s17, 2, v86
	v_cndmask_b32_e64 v97, v97, v93, s11
	v_cndmask_b32_e64 v109, v89, v105, s15
	;; [unrolled: 1-line block ×6, first 2 shown]
	v_cmp_eq_u32_e64 s18, 7, v88
	v_cmp_eq_u32_e64 s19, 3, v86
	;; [unrolled: 1-line block ×4, first 2 shown]
	v_cndmask_b32_e64 v95, v95, v92, s17
	v_cndmask_b32_e64 v111, v96, v105, s18
	;; [unrolled: 1-line block ×4, first 2 shown]
	v_or_b32_e32 v89, 3, v87
	v_cndmask_b32_e64 v101, v95, v106, s19
	v_cmp_eq_u32_e64 s24, 6, v86
	v_cndmask_b32_e64 v112, v96, v94, s16
	v_cndmask_b32_e64 v100, v97, v79, s20
	v_cmp_eq_u32_e64 s21, 1, v89
	ds_load_b128 v[95:98], v90 offset:1024
	v_cmp_eq_u32_e64 s23, 2, v89
	v_cmp_eq_u32_e64 s25, 3, v89
	v_cndmask_b32_e64 v113, v100, v104, s22
	v_cndmask_b32_e64 v73, v77, v73, s21
	;; [unrolled: 1-line block ×4, first 2 shown]
	ds_load_b128 v[99:102], v90 offset:1040
	v_cmp_eq_u32_e64 s26, 4, v89
	v_cndmask_b32_e64 v73, v73, v78, s23
	v_cmp_eq_u32_e64 s27, 7, v86
	v_cndmask_b32_e64 v78, v91, v92, s23
	v_cndmask_b32_e64 v92, v113, v80, s24
	v_cmp_eq_u32_e64 s28, 5, v89
	v_cndmask_b32_e64 v73, v73, v103, s25
	v_cndmask_b32_e64 v77, v77, v107, s22
	;; [unrolled: 1-line block ×3, first 2 shown]
	v_cmp_eq_u32_e64 s29, 6, v89
	v_cndmask_b32_e64 v91, v112, v108, s18
	v_cndmask_b32_e64 v73, v73, v79, s26
	s_waitcnt lgkmcnt(1)
	v_lshrrev_b32_e32 v103, 16, v95
	v_cndmask_b32_e64 v78, v78, v93, s26
	v_cndmask_b32_e64 v79, v92, v105, s27
	v_cndmask_b32_e64 v77, v77, v94, s24
	v_cndmask_b32_e64 v73, v73, v104, s28
	v_cndmask_b32_e32 v92, v95, v103, vcc_lo
	v_cndmask_b32_e64 v78, v78, v107, s28
	s_waitcnt lgkmcnt(0)
	v_lshrrev_b32_e32 v93, 16, v99
	v_lshrrev_b32_e32 v104, 16, v96
	v_cndmask_b32_e64 v106, v95, v103, s3
	v_cndmask_b32_e64 v92, v92, v96, s4
	;; [unrolled: 1-line block ×3, first 2 shown]
	v_cndmask_b32_e32 v107, v99, v93, vcc_lo
	v_cndmask_b32_e64 v78, v78, v94, s29
	v_cmp_eq_u32_e32 vcc_lo, 7, v89
	v_cndmask_b32_e64 v80, v92, v104, s7
	v_cndmask_b32_e64 v92, v106, v96, s6
	;; [unrolled: 1-line block ×3, first 2 shown]
	v_lshrrev_b32_e32 v106, 16, v100
	v_cndmask_b32_e64 v77, v77, v108, s27
	v_cndmask_b32_e32 v78, v78, v108, vcc_lo
	v_lshrrev_b32_e32 v108, 16, v101
	v_cndmask_b32_e64 v80, v80, v97, s9
	v_cndmask_b32_e64 v94, v94, v106, s7
	v_lshrrev_b32_e32 v107, 16, v97
	v_cndmask_b32_e32 v73, v73, v105, vcc_lo
	v_perm_b32 v79, v77, v79, 0x5040100
	v_cndmask_b32_e64 v92, v92, v104, s8
	v_cndmask_b32_e64 v94, v94, v101, s9
	;; [unrolled: 1-line block ×3, first 2 shown]
	v_perm_b32 v80, v78, v73, 0x5040100
	v_perm_b32 v78, v91, v111, 0x5040100
	v_cndmask_b32_e64 v111, v99, v93, s5
	v_cndmask_b32_e64 v94, v94, v108, s10
	;; [unrolled: 1-line block ×3, first 2 shown]
	s_delay_alu instid0(VALU_DEP_2)
	v_cndmask_b32_e64 v77, v94, v102, s12
	v_cndmask_b32_e64 v94, v95, v103, s5
	;; [unrolled: 1-line block ×22, first 2 shown]
	v_lshrrev_b32_e32 v105, 16, v98
	v_cndmask_b32_e64 v94, v94, v107, s22
	v_cndmask_b32_e64 v95, v95, v107, s28
	;; [unrolled: 1-line block ×7, first 2 shown]
	v_lshrrev_b32_e32 v92, 16, v102
	v_cndmask_b32_e64 v94, v94, v98, s24
	v_cndmask_b32_e64 v95, v95, v98, s29
	;; [unrolled: 1-line block ×7, first 2 shown]
	v_dual_cndmask_b32 v94, v95, v105 :: v_dual_cndmask_b32 v95, v96, v92
	v_cndmask_b32_e64 v96, v97, v92, s27
	v_cndmask_b32_e64 v97, v93, v92, s18
	;; [unrolled: 1-line block ×3, first 2 shown]
	v_perm_b32 v77, v110, v109, 0x5040100
	v_perm_b32 v94, v95, v94, 0x5040100
	;; [unrolled: 1-line block ×5, first 2 shown]
	s_lshl_b32 s8, s35, 3
	s_mov_b32 s3, exec_lo
	ds_store_b128 v76, v[77:80]
	ds_store_b128 v76, v[91:94] offset:1024
	v_cmpx_gt_u32_e32 8, v0
	s_cbranch_execz .LBB525_80
; %bb.79:
	v_or_b32_e32 v73, s31, v0
	s_load_b128 s[4:7], s[0:1], 0x58
	s_delay_alu instid0(VALU_DEP_1) | instskip(NEXT) | instid1(VALU_DEP_1)
	v_mad_u64_u32 v[76:77], null, s8, s30, v[73:74]
	v_mad_u64_u32 v[77:78], null, v76, s34, s[14:15]
	s_delay_alu instid0(VALU_DEP_1) | instskip(NEXT) | instid1(VALU_DEP_1)
	v_ashrrev_i32_e32 v78, 31, v77
	v_lshlrev_b64 v[76:77], 2, v[77:78]
	s_waitcnt lgkmcnt(0)
	s_delay_alu instid0(VALU_DEP_1) | instskip(NEXT) | instid1(VALU_DEP_2)
	v_add_co_u32 v78, vcc_lo, s6, v76
	v_add_co_ci_u32_e32 v79, vcc_lo, s7, v77, vcc_lo
	v_add_co_u32 v76, vcc_lo, s4, v76
	v_add_co_ci_u32_e32 v77, vcc_lo, s5, v77, vcc_lo
	global_store_b32 v[78:79], v74, off
	global_store_b32 v[76:77], v75, off
.LBB525_80:
	s_or_b32 exec_lo, exec_lo, s3
	s_waitcnt lgkmcnt(0)
	s_waitcnt_vscnt null, 0x0
	s_barrier
	buffer_gl0_inv
	ds_load_b128 v[91:94], v85
	ds_load_b128 v[95:98], v85 offset:16
	ds_load_b128 v[103:106], v85 offset:1040
	;; [unrolled: 1-line block ×3, first 2 shown]
	v_mov_b32_e32 v73, 0
	ds_load_b128 v[111:114], v85 offset:2064
	ds_load_b128 v[107:110], v85 offset:2048
	ds_load_b128 v[119:122], v85 offset:3088
	ds_load_b128 v[115:118], v85 offset:3072
	ds_load_b128 v[127:130], v85 offset:4112
	ds_load_b128 v[123:126], v85 offset:4096
	v_mov_b32_e32 v74, v73
	v_mov_b32_e32 v75, v73
	;; [unrolled: 1-line block ×7, first 2 shown]
	s_waitcnt lgkmcnt(8)
	s_delay_alu instid0(VALU_DEP_1)
	v_wmma_f32_16x16x16_bf16 v[73:80], v[65:72], v[91:98], v[73:80]
	ds_load_b128 v[69:72], v85 offset:5136
	ds_load_b128 v[65:68], v85 offset:5120
	;; [unrolled: 1-line block ×4, first 2 shown]
	s_waitcnt lgkmcnt(10)
	v_wmma_f32_16x16x16_bf16 v[73:80], v[57:64], v[99:106], v[73:80]
	s_waitcnt lgkmcnt(8)
	s_delay_alu instid0(VALU_DEP_1)
	v_wmma_f32_16x16x16_bf16 v[73:80], v[57:64], v[107:114], v[73:80]
	ds_load_b128 v[61:64], v85 offset:7184
	ds_load_b128 v[57:60], v85 offset:7168
	;; [unrolled: 1-line block ×4, first 2 shown]
	s_waitcnt lgkmcnt(10)
	v_wmma_f32_16x16x16_bf16 v[73:80], v[49:56], v[115:122], v[73:80]
	s_waitcnt lgkmcnt(8)
	s_delay_alu instid0(VALU_DEP_1)
	v_wmma_f32_16x16x16_bf16 v[73:80], v[49:56], v[123:130], v[73:80]
	ds_load_b128 v[53:56], v85 offset:9232
	ds_load_b128 v[49:52], v85 offset:9216
	s_waitcnt lgkmcnt(8)
	v_wmma_f32_16x16x16_bf16 v[73:80], v[41:48], v[65:72], v[73:80]
	ds_load_b128 v[69:72], v85 offset:10256
	ds_load_b128 v[65:68], v85 offset:10240
	s_waitcnt lgkmcnt(8)
	;; [unrolled: 4-line block ×3, first 2 shown]
	v_wmma_f32_16x16x16_bf16 v[73:80], v[9:16], v[57:64], v[73:80]
	s_waitcnt lgkmcnt(6)
	s_delay_alu instid0(VALU_DEP_1)
	v_wmma_f32_16x16x16_bf16 v[73:80], v[9:16], v[99:106], v[73:80]
	ds_load_b128 v[13:16], v85 offset:12304
	ds_load_b128 v[9:12], v85 offset:12288
	s_waitcnt lgkmcnt(6)
	v_wmma_f32_16x16x16_bf16 v[73:80], v[1:8], v[49:56], v[73:80]
	ds_load_b128 v[53:56], v85 offset:13328
	ds_load_b128 v[49:52], v85 offset:13312
	s_waitcnt lgkmcnt(6)
	;; [unrolled: 4-line block ×4, first 2 shown]
	v_wmma_f32_16x16x16_bf16 v[73:80], v[33:40], v[9:16], v[73:80]
	s_waitcnt lgkmcnt(4)
	s_delay_alu instid0(VALU_DEP_1) | instskip(SKIP_1) | instid1(VALU_DEP_1)
	v_wmma_f32_16x16x16_bf16 v[73:80], v[25:32], v[49:56], v[73:80]
	s_waitcnt lgkmcnt(2)
	v_wmma_f32_16x16x16_bf16 v[73:80], v[25:32], v[1:8], v[73:80]
	s_waitcnt lgkmcnt(0)
	s_delay_alu instid0(VALU_DEP_1) | instskip(NEXT) | instid1(VALU_DEP_1)
	v_wmma_f32_16x16x16_bf16 v[73:80], v[17:24], v[41:48], v[73:80]
	v_and_b32_e32 v1, 0x7f800000, v73
	s_delay_alu instid0(VALU_DEP_1) | instskip(SKIP_1) | instid1(SALU_CYCLE_1)
	v_cmp_ne_u32_e32 vcc_lo, 0x7f800000, v1
                                        ; implicit-def: $vgpr1
	s_and_saveexec_b32 s3, vcc_lo
	s_xor_b32 s3, exec_lo, s3
; %bb.81:
	v_bfe_u32 v1, v73, 16, 1
	s_delay_alu instid0(VALU_DEP_1)
	v_add3_u32 v1, v73, v1, 0x7fff
; %bb.82:
	s_and_not1_saveexec_b32 s3, s3
; %bb.83:
	v_and_b32_e32 v1, 0xffff, v73
	v_or_b32_e32 v2, 0x10000, v73
	s_delay_alu instid0(VALU_DEP_2) | instskip(NEXT) | instid1(VALU_DEP_2)
	v_cmp_eq_u32_e32 vcc_lo, 0, v1
	v_cndmask_b32_e32 v1, v2, v73, vcc_lo
; %bb.84:
	s_or_b32 exec_lo, exec_lo, s3
	v_and_b32_e32 v2, 0x7f800000, v74
	s_delay_alu instid0(VALU_DEP_1) | instskip(SKIP_1) | instid1(SALU_CYCLE_1)
	v_cmp_ne_u32_e32 vcc_lo, 0x7f800000, v2
                                        ; implicit-def: $vgpr2
	s_and_saveexec_b32 s3, vcc_lo
	s_xor_b32 s3, exec_lo, s3
; %bb.85:
	v_bfe_u32 v2, v74, 16, 1
	s_delay_alu instid0(VALU_DEP_1)
	v_add3_u32 v2, v74, v2, 0x7fff
; %bb.86:
	s_and_not1_saveexec_b32 s3, s3
; %bb.87:
	v_and_b32_e32 v2, 0xffff, v74
	v_or_b32_e32 v3, 0x10000, v74
	s_delay_alu instid0(VALU_DEP_2) | instskip(NEXT) | instid1(VALU_DEP_2)
	v_cmp_eq_u32_e32 vcc_lo, 0, v2
	v_cndmask_b32_e32 v2, v3, v74, vcc_lo
; %bb.88:
	s_or_b32 exec_lo, exec_lo, s3
	v_and_b32_e32 v3, 0x7f800000, v75
	s_delay_alu instid0(VALU_DEP_1) | instskip(SKIP_1) | instid1(SALU_CYCLE_1)
	v_cmp_ne_u32_e32 vcc_lo, 0x7f800000, v3
                                        ; implicit-def: $vgpr3
	s_and_saveexec_b32 s3, vcc_lo
	s_xor_b32 s3, exec_lo, s3
; %bb.89:
	v_bfe_u32 v3, v75, 16, 1
	s_delay_alu instid0(VALU_DEP_1)
	v_add3_u32 v3, v75, v3, 0x7fff
; %bb.90:
	s_and_not1_saveexec_b32 s3, s3
; %bb.91:
	v_and_b32_e32 v3, 0xffff, v75
	v_or_b32_e32 v4, 0x10000, v75
	s_delay_alu instid0(VALU_DEP_2) | instskip(NEXT) | instid1(VALU_DEP_2)
	v_cmp_eq_u32_e32 vcc_lo, 0, v3
	v_cndmask_b32_e32 v3, v4, v75, vcc_lo
; %bb.92:
	s_or_b32 exec_lo, exec_lo, s3
	v_and_b32_e32 v4, 0x7f800000, v76
	s_delay_alu instid0(VALU_DEP_1) | instskip(SKIP_1) | instid1(SALU_CYCLE_1)
	v_cmp_ne_u32_e32 vcc_lo, 0x7f800000, v4
                                        ; implicit-def: $vgpr4
	s_and_saveexec_b32 s3, vcc_lo
	s_xor_b32 s3, exec_lo, s3
; %bb.93:
	v_bfe_u32 v4, v76, 16, 1
	s_delay_alu instid0(VALU_DEP_1)
	v_add3_u32 v4, v76, v4, 0x7fff
; %bb.94:
	s_and_not1_saveexec_b32 s3, s3
; %bb.95:
	v_and_b32_e32 v4, 0xffff, v76
	v_or_b32_e32 v5, 0x10000, v76
	s_delay_alu instid0(VALU_DEP_2) | instskip(NEXT) | instid1(VALU_DEP_2)
	v_cmp_eq_u32_e32 vcc_lo, 0, v4
	v_cndmask_b32_e32 v4, v5, v76, vcc_lo
; %bb.96:
	s_or_b32 exec_lo, exec_lo, s3
	v_and_b32_e32 v5, 0x7f800000, v77
	s_delay_alu instid0(VALU_DEP_1) | instskip(SKIP_1) | instid1(SALU_CYCLE_1)
	v_cmp_ne_u32_e32 vcc_lo, 0x7f800000, v5
                                        ; implicit-def: $vgpr5
	s_and_saveexec_b32 s3, vcc_lo
	s_xor_b32 s3, exec_lo, s3
; %bb.97:
	v_bfe_u32 v5, v77, 16, 1
	s_delay_alu instid0(VALU_DEP_1)
	v_add3_u32 v5, v77, v5, 0x7fff
; %bb.98:
	s_and_not1_saveexec_b32 s3, s3
; %bb.99:
	v_and_b32_e32 v5, 0xffff, v77
	v_or_b32_e32 v6, 0x10000, v77
	s_delay_alu instid0(VALU_DEP_2) | instskip(NEXT) | instid1(VALU_DEP_2)
	v_cmp_eq_u32_e32 vcc_lo, 0, v5
	v_cndmask_b32_e32 v5, v6, v77, vcc_lo
; %bb.100:
	s_or_b32 exec_lo, exec_lo, s3
	v_and_b32_e32 v6, 0x7f800000, v78
	s_delay_alu instid0(VALU_DEP_1) | instskip(SKIP_1) | instid1(SALU_CYCLE_1)
	v_cmp_ne_u32_e32 vcc_lo, 0x7f800000, v6
                                        ; implicit-def: $vgpr6
	s_and_saveexec_b32 s3, vcc_lo
	s_xor_b32 s3, exec_lo, s3
; %bb.101:
	v_bfe_u32 v6, v78, 16, 1
	s_delay_alu instid0(VALU_DEP_1)
	v_add3_u32 v6, v78, v6, 0x7fff
; %bb.102:
	s_and_not1_saveexec_b32 s3, s3
; %bb.103:
	v_and_b32_e32 v6, 0xffff, v78
	v_or_b32_e32 v7, 0x10000, v78
	s_delay_alu instid0(VALU_DEP_2) | instskip(NEXT) | instid1(VALU_DEP_2)
	v_cmp_eq_u32_e32 vcc_lo, 0, v6
	v_cndmask_b32_e32 v6, v7, v78, vcc_lo
; %bb.104:
	s_or_b32 exec_lo, exec_lo, s3
	v_and_b32_e32 v7, 0x7f800000, v79
	s_delay_alu instid0(VALU_DEP_1) | instskip(SKIP_1) | instid1(SALU_CYCLE_1)
	v_cmp_ne_u32_e32 vcc_lo, 0x7f800000, v7
                                        ; implicit-def: $vgpr7
	s_and_saveexec_b32 s3, vcc_lo
	s_xor_b32 s3, exec_lo, s3
; %bb.105:
	v_bfe_u32 v7, v79, 16, 1
	s_delay_alu instid0(VALU_DEP_1)
	v_add3_u32 v7, v79, v7, 0x7fff
; %bb.106:
	s_and_not1_saveexec_b32 s3, s3
; %bb.107:
	v_and_b32_e32 v7, 0xffff, v79
	v_or_b32_e32 v8, 0x10000, v79
	s_delay_alu instid0(VALU_DEP_2) | instskip(NEXT) | instid1(VALU_DEP_2)
	v_cmp_eq_u32_e32 vcc_lo, 0, v7
	v_cndmask_b32_e32 v7, v8, v79, vcc_lo
; %bb.108:
	s_or_b32 exec_lo, exec_lo, s3
	v_and_b32_e32 v8, 0x7f800000, v80
	s_delay_alu instid0(VALU_DEP_1) | instskip(SKIP_1) | instid1(SALU_CYCLE_1)
	v_cmp_ne_u32_e32 vcc_lo, 0x7f800000, v8
                                        ; implicit-def: $vgpr8
	s_and_saveexec_b32 s3, vcc_lo
	s_xor_b32 s3, exec_lo, s3
; %bb.109:
	v_bfe_u32 v8, v80, 16, 1
	s_delay_alu instid0(VALU_DEP_1)
	v_add3_u32 v8, v80, v8, 0x7fff
                                        ; implicit-def: $vgpr73_vgpr74_vgpr75_vgpr76_vgpr77_vgpr78_vgpr79_vgpr80
; %bb.110:
	s_and_not1_saveexec_b32 s3, s3
; %bb.111:
	v_and_b32_e32 v8, 0xffff, v80
	v_or_b32_e32 v9, 0x10000, v80
	s_delay_alu instid0(VALU_DEP_2) | instskip(NEXT) | instid1(VALU_DEP_2)
	v_cmp_eq_u32_e32 vcc_lo, 0, v8
	v_cndmask_b32_e32 v8, v9, v80, vcc_lo
; %bb.112:
	s_or_b32 exec_lo, exec_lo, s3
	s_delay_alu instid0(VALU_DEP_1)
	v_perm_b32 v7, v8, v7, 0x7060302
	v_perm_b32 v6, v6, v5, 0x7060302
	;; [unrolled: 1-line block ×4, first 2 shown]
	v_lshl_or_b32 v9, v83, 4, v90
	s_barrier
	buffer_gl0_inv
	v_cmp_eq_u32_e32 vcc_lo, 1, v87
	ds_store_b128 v9, v[4:7]
	s_waitcnt lgkmcnt(0)
	s_barrier
	buffer_gl0_inv
	ds_load_b128 v[1:4], v90
	ds_load_b128 v[5:8], v90 offset:16
	v_cmp_eq_u32_e64 s4, 2, v87
	v_cmp_eq_u32_e64 s3, 1, v88
	;; [unrolled: 1-line block ×5, first 2 shown]
	s_waitcnt lgkmcnt(1)
	v_lshrrev_b32_e32 v10, 16, v1
	s_waitcnt lgkmcnt(0)
	v_lshrrev_b32_e32 v14, 16, v5
	v_lshrrev_b32_e32 v15, 16, v6
	;; [unrolled: 1-line block ×4, first 2 shown]
	v_cndmask_b32_e64 v20, v1, v10, s3
	v_cndmask_b32_e32 v19, v5, v14, vcc_lo
	v_cndmask_b32_e64 v21, v5, v14, s3
	v_lshrrev_b32_e32 v16, 16, v7
	v_cmp_eq_u32_e64 s3, 1, v86
	v_lshrrev_b32_e32 v13, 16, v4
	v_cndmask_b32_e64 v19, v19, v6, s4
	v_lshrrev_b32_e32 v17, 16, v8
	s_delay_alu instid0(VALU_DEP_4) | instskip(SKIP_1) | instid1(VALU_DEP_4)
	v_cndmask_b32_e64 v22, v1, v10, s3
	v_cndmask_b32_e64 v23, v5, v14, s3
	v_cndmask_b32_e64 v19, v19, v15, s5
	v_cndmask_b32_e32 v18, v1, v10, vcc_lo
	v_cmp_eq_u32_e32 vcc_lo, 2, v88
	v_cmp_eq_u32_e64 s3, 2, v89
	v_cndmask_b32_e64 v22, v22, v2, s7
	v_cndmask_b32_e32 v20, v20, v2, vcc_lo
	v_cndmask_b32_e32 v21, v21, v6, vcc_lo
	v_cmp_eq_u32_e32 vcc_lo, 4, v87
	v_cndmask_b32_e32 v19, v19, v7, vcc_lo
	v_cndmask_b32_e64 v18, v18, v2, s4
	v_cmp_eq_u32_e64 s4, 3, v88
	s_delay_alu instid0(VALU_DEP_2) | instskip(NEXT) | instid1(VALU_DEP_2)
	v_cndmask_b32_e64 v18, v18, v11, s5
	v_cndmask_b32_e64 v21, v21, v15, s4
	v_cmp_eq_u32_e64 s5, 5, v87
	s_delay_alu instid0(VALU_DEP_3) | instskip(SKIP_1) | instid1(VALU_DEP_3)
	v_cndmask_b32_e32 v18, v18, v3, vcc_lo
	v_cmp_eq_u32_e32 vcc_lo, 4, v88
	v_cndmask_b32_e64 v19, v19, v16, s5
	s_delay_alu instid0(VALU_DEP_3) | instskip(SKIP_4) | instid1(VALU_DEP_3)
	v_cndmask_b32_e64 v18, v18, v12, s5
	v_cndmask_b32_e32 v21, v21, v7, vcc_lo
	v_cndmask_b32_e64 v20, v20, v11, s4
	v_cmp_eq_u32_e64 s4, 5, v88
	v_cmp_eq_u32_e64 s5, 6, v87
	v_cndmask_b32_e32 v20, v20, v3, vcc_lo
	s_delay_alu instid0(VALU_DEP_3) | instskip(SKIP_1) | instid1(VALU_DEP_4)
	v_cndmask_b32_e64 v21, v21, v16, s4
	v_cmp_eq_u32_e32 vcc_lo, 6, v88
	v_cndmask_b32_e64 v18, v18, v4, s5
	v_cndmask_b32_e64 v19, v19, v8, s5
	;; [unrolled: 1-line block ×3, first 2 shown]
	v_cmp_eq_u32_e64 s4, 1, v89
	v_cmp_eq_u32_e64 s5, 7, v87
	s_delay_alu instid0(VALU_DEP_3) | instskip(NEXT) | instid1(VALU_DEP_3)
	v_cndmask_b32_e32 v20, v20, v4, vcc_lo
	v_cndmask_b32_e64 v1, v1, v10, s4
	v_cndmask_b32_e64 v5, v5, v14, s4
	v_cmp_eq_u32_e64 s4, 3, v86
	v_cndmask_b32_e64 v14, v23, v6, s7
	v_cmp_eq_u32_e64 s7, 3, v89
	v_cndmask_b32_e64 v1, v1, v2, s3
	v_cndmask_b32_e64 v2, v5, v6, s3
	;; [unrolled: 1-line block ×3, first 2 shown]
	v_cmp_eq_u32_e64 s3, 4, v86
	v_cndmask_b32_e64 v6, v14, v15, s4
	v_cndmask_b32_e64 v1, v1, v11, s7
	v_cmp_eq_u32_e64 s4, 4, v89
	v_cndmask_b32_e64 v2, v2, v15, s7
	v_cndmask_b32_e64 v5, v10, v3, s3
	;; [unrolled: 3-line block ×3, first 2 shown]
	v_cndmask_b32_e64 v2, v2, v7, s4
	v_cmp_eq_u32_e64 s3, 5, v89
	v_cndmask_b32_e64 v5, v5, v12, s7
	v_cmp_eq_u32_e64 s4, 6, v86
	;; [unrolled: 2-line block ×3, first 2 shown]
	v_cndmask_b32_e64 v1, v1, v12, s3
	v_cndmask_b32_e64 v2, v2, v16, s3
	;; [unrolled: 1-line block ×4, first 2 shown]
	v_cmp_eq_u32_e64 s3, 7, v89
	v_cndmask_b32_e64 v1, v1, v4, s7
	v_cndmask_b32_e64 v2, v2, v8, s7
	v_cmp_eq_u32_e64 s4, 7, v86
	v_cndmask_b32_e32 v4, v21, v8, vcc_lo
	v_cndmask_b32_e64 v18, v18, v13, s5
	v_cndmask_b32_e64 v20, v20, v13, s6
	;; [unrolled: 1-line block ×8, first 2 shown]
	v_cmp_gt_u32_e32 vcc_lo, 32, v0
	v_perm_b32 v4, v2, v1, 0x5040100
	v_perm_b32 v3, v3, v5, 0x5040100
	;; [unrolled: 1-line block ×4, first 2 shown]
	s_and_b32 s2, vcc_lo, s2
	ds_store_b128 v9, v[1:4]
	s_waitcnt lgkmcnt(0)
	s_barrier
	buffer_gl0_inv
	s_and_saveexec_b32 s3, s2
	s_cbranch_execz .LBB525_2
; %bb.113:
	s_load_b64 s[0:1], s[0:1], 0x68
	s_lshl_b32 s4, s34, 6
	v_or_b32_e32 v2, s31, v83
	s_mul_i32 s2, s4, s30
	v_lshlrev_b32_e32 v1, 10, v0
	s_mul_i32 s2, s2, s8
	v_lshlrev_b32_e32 v3, 4, v84
	v_mul_lo_u32 v0, v2, s4
	s_ashr_i32 s3, s2, 31
	v_lshlrev_b32_e32 v4, 6, v83
	v_and_b32_e32 v1, 0x3800, v1
	v_or_b32_e32 v5, 2, v2
	s_lshl_b64 s[2:3], s[2:3], 1
	v_or_b32_e32 v6, 4, v2
	v_or_b32_e32 v7, 6, v2
	v_or3_b32 v12, v1, v3, v4
	v_ashrrev_i32_e32 v1, 31, v0
	v_mul_lo_u32 v2, v5, s4
	v_mul_lo_u32 v16, v6, s4
	;; [unrolled: 1-line block ×3, first 2 shown]
	s_waitcnt lgkmcnt(0)
	s_add_u32 s2, s0, s2
	s_addc_u32 s3, s1, s3
	s_lshl_b32 s0, s14, 6
	v_lshlrev_b64 v[0:1], 1, v[0:1]
	s_ashr_i32 s1, s0, 31
	v_ashrrev_i32_e32 v3, 31, v2
	s_lshl_b64 s[0:1], s[0:1], 1
	v_ashrrev_i32_e32 v17, 31, v16
	s_add_u32 s0, s2, s0
	s_addc_u32 s1, s3, s1
	v_add_co_u32 v24, vcc_lo, s0, v81
	v_add_co_ci_u32_e32 v25, vcc_lo, s1, v82, vcc_lo
	v_lshlrev_b64 v[22:23], 1, v[2:3]
	s_delay_alu instid0(VALU_DEP_3) | instskip(NEXT) | instid1(VALU_DEP_3)
	v_add_co_u32 v18, vcc_lo, v24, v0
	v_add_co_ci_u32_e32 v19, vcc_lo, v25, v1, vcc_lo
	ds_load_b128 v[0:3], v12
	ds_load_b128 v[4:7], v12 offset:128
	ds_load_b128 v[8:11], v12 offset:256
	;; [unrolled: 1-line block ×3, first 2 shown]
	v_ashrrev_i32_e32 v21, 31, v20
	v_lshlrev_b64 v[16:17], 1, v[16:17]
	v_add_co_u32 v22, vcc_lo, v24, v22
	v_add_co_ci_u32_e32 v23, vcc_lo, v25, v23, vcc_lo
	s_delay_alu instid0(VALU_DEP_4) | instskip(NEXT) | instid1(VALU_DEP_4)
	v_lshlrev_b64 v[20:21], 1, v[20:21]
	v_add_co_u32 v16, vcc_lo, v24, v16
	v_add_co_ci_u32_e32 v17, vcc_lo, v25, v17, vcc_lo
	s_delay_alu instid0(VALU_DEP_3) | instskip(NEXT) | instid1(VALU_DEP_4)
	v_add_co_u32 v20, vcc_lo, v24, v20
	v_add_co_ci_u32_e32 v21, vcc_lo, v25, v21, vcc_lo
	s_waitcnt lgkmcnt(3)
	global_store_b128 v[18:19], v[0:3], off
	s_waitcnt lgkmcnt(2)
	global_store_b128 v[22:23], v[4:7], off
	;; [unrolled: 2-line block ×4, first 2 shown]
	s_nop 0
	s_sendmsg sendmsg(MSG_DEALLOC_VGPRS)
	s_endpgm
	.section	.rodata,"a",@progbits
	.p2align	6, 0x0
	.amdhsa_kernel _Z39paged_attention_ll4mi_QKV_mfma16_kernelI14__hip_bfloat16S0_LN4vllm18Fp8KVCacheDataTypeE0EhLi32ELi64ELi256ELb0ELi8EL8MFMAType0EEvPKT_PKT0_S9_ifPKiSB_SB_iPKfiiiPfSE_PS4_PT2_iSD_SD_
		.amdhsa_group_segment_fixed_size 17472
		.amdhsa_private_segment_fixed_size 0
		.amdhsa_kernarg_size 400
		.amdhsa_user_sgpr_count 13
		.amdhsa_user_sgpr_dispatch_ptr 0
		.amdhsa_user_sgpr_queue_ptr 0
		.amdhsa_user_sgpr_kernarg_segment_ptr 1
		.amdhsa_user_sgpr_dispatch_id 0
		.amdhsa_user_sgpr_private_segment_size 0
		.amdhsa_wavefront_size32 1
		.amdhsa_uses_dynamic_stack 0
		.amdhsa_enable_private_segment 0
		.amdhsa_system_sgpr_workgroup_id_x 1
		.amdhsa_system_sgpr_workgroup_id_y 1
		.amdhsa_system_sgpr_workgroup_id_z 1
		.amdhsa_system_sgpr_workgroup_info 0
		.amdhsa_system_vgpr_workitem_id 0
		.amdhsa_next_free_vgpr 142
		.amdhsa_next_free_sgpr 38
		.amdhsa_reserve_vcc 1
		.amdhsa_float_round_mode_32 0
		.amdhsa_float_round_mode_16_64 0
		.amdhsa_float_denorm_mode_32 3
		.amdhsa_float_denorm_mode_16_64 3
		.amdhsa_dx10_clamp 1
		.amdhsa_ieee_mode 1
		.amdhsa_fp16_overflow 0
		.amdhsa_workgroup_processor_mode 1
		.amdhsa_memory_ordered 1
		.amdhsa_forward_progress 0
		.amdhsa_shared_vgpr_count 0
		.amdhsa_exception_fp_ieee_invalid_op 0
		.amdhsa_exception_fp_denorm_src 0
		.amdhsa_exception_fp_ieee_div_zero 0
		.amdhsa_exception_fp_ieee_overflow 0
		.amdhsa_exception_fp_ieee_underflow 0
		.amdhsa_exception_fp_ieee_inexact 0
		.amdhsa_exception_int_div_zero 0
	.end_amdhsa_kernel
	.section	.text._Z39paged_attention_ll4mi_QKV_mfma16_kernelI14__hip_bfloat16S0_LN4vllm18Fp8KVCacheDataTypeE0EhLi32ELi64ELi256ELb0ELi8EL8MFMAType0EEvPKT_PKT0_S9_ifPKiSB_SB_iPKfiiiPfSE_PS4_PT2_iSD_SD_,"axG",@progbits,_Z39paged_attention_ll4mi_QKV_mfma16_kernelI14__hip_bfloat16S0_LN4vllm18Fp8KVCacheDataTypeE0EhLi32ELi64ELi256ELb0ELi8EL8MFMAType0EEvPKT_PKT0_S9_ifPKiSB_SB_iPKfiiiPfSE_PS4_PT2_iSD_SD_,comdat
.Lfunc_end525:
	.size	_Z39paged_attention_ll4mi_QKV_mfma16_kernelI14__hip_bfloat16S0_LN4vllm18Fp8KVCacheDataTypeE0EhLi32ELi64ELi256ELb0ELi8EL8MFMAType0EEvPKT_PKT0_S9_ifPKiSB_SB_iPKfiiiPfSE_PS4_PT2_iSD_SD_, .Lfunc_end525-_Z39paged_attention_ll4mi_QKV_mfma16_kernelI14__hip_bfloat16S0_LN4vllm18Fp8KVCacheDataTypeE0EhLi32ELi64ELi256ELb0ELi8EL8MFMAType0EEvPKT_PKT0_S9_ifPKiSB_SB_iPKfiiiPfSE_PS4_PT2_iSD_SD_
                                        ; -- End function
	.section	.AMDGPU.csdata,"",@progbits
; Kernel info:
; codeLenInByte = 9448
; NumSgprs: 40
; NumVgprs: 142
; ScratchSize: 0
; MemoryBound: 0
; FloatMode: 240
; IeeeMode: 1
; LDSByteSize: 17472 bytes/workgroup (compile time only)
; SGPRBlocks: 4
; VGPRBlocks: 17
; NumSGPRsForWavesPerEU: 40
; NumVGPRsForWavesPerEU: 142
; Occupancy: 10
; WaveLimiterHint : 1
; COMPUTE_PGM_RSRC2:SCRATCH_EN: 0
; COMPUTE_PGM_RSRC2:USER_SGPR: 13
; COMPUTE_PGM_RSRC2:TRAP_HANDLER: 0
; COMPUTE_PGM_RSRC2:TGID_X_EN: 1
; COMPUTE_PGM_RSRC2:TGID_Y_EN: 1
; COMPUTE_PGM_RSRC2:TGID_Z_EN: 1
; COMPUTE_PGM_RSRC2:TIDIG_COMP_CNT: 0
	.section	.text._Z39paged_attention_ll4mi_QKV_mfma16_kernelI14__hip_bfloat16S0_LN4vllm18Fp8KVCacheDataTypeE0EhLi32ELi64ELi256ELb0ELi9EL8MFMAType0EEvPKT_PKT0_S9_ifPKiSB_SB_iPKfiiiPfSE_PS4_PT2_iSD_SD_,"axG",@progbits,_Z39paged_attention_ll4mi_QKV_mfma16_kernelI14__hip_bfloat16S0_LN4vllm18Fp8KVCacheDataTypeE0EhLi32ELi64ELi256ELb0ELi9EL8MFMAType0EEvPKT_PKT0_S9_ifPKiSB_SB_iPKfiiiPfSE_PS4_PT2_iSD_SD_,comdat
	.protected	_Z39paged_attention_ll4mi_QKV_mfma16_kernelI14__hip_bfloat16S0_LN4vllm18Fp8KVCacheDataTypeE0EhLi32ELi64ELi256ELb0ELi9EL8MFMAType0EEvPKT_PKT0_S9_ifPKiSB_SB_iPKfiiiPfSE_PS4_PT2_iSD_SD_ ; -- Begin function _Z39paged_attention_ll4mi_QKV_mfma16_kernelI14__hip_bfloat16S0_LN4vllm18Fp8KVCacheDataTypeE0EhLi32ELi64ELi256ELb0ELi9EL8MFMAType0EEvPKT_PKT0_S9_ifPKiSB_SB_iPKfiiiPfSE_PS4_PT2_iSD_SD_
	.globl	_Z39paged_attention_ll4mi_QKV_mfma16_kernelI14__hip_bfloat16S0_LN4vllm18Fp8KVCacheDataTypeE0EhLi32ELi64ELi256ELb0ELi9EL8MFMAType0EEvPKT_PKT0_S9_ifPKiSB_SB_iPKfiiiPfSE_PS4_PT2_iSD_SD_
	.p2align	8
	.type	_Z39paged_attention_ll4mi_QKV_mfma16_kernelI14__hip_bfloat16S0_LN4vllm18Fp8KVCacheDataTypeE0EhLi32ELi64ELi256ELb0ELi9EL8MFMAType0EEvPKT_PKT0_S9_ifPKiSB_SB_iPKfiiiPfSE_PS4_PT2_iSD_SD_,@function
_Z39paged_attention_ll4mi_QKV_mfma16_kernelI14__hip_bfloat16S0_LN4vllm18Fp8KVCacheDataTypeE0EhLi32ELi64ELi256ELb0ELi9EL8MFMAType0EEvPKT_PKT0_S9_ifPKiSB_SB_iPKfiiiPfSE_PS4_PT2_iSD_SD_: ; @_Z39paged_attention_ll4mi_QKV_mfma16_kernelI14__hip_bfloat16S0_LN4vllm18Fp8KVCacheDataTypeE0EhLi32ELi64ELi256ELb0ELi9EL8MFMAType0EEvPKT_PKT0_S9_ifPKiSB_SB_iPKfiiiPfSE_PS4_PT2_iSD_SD_
; %bb.0:
	s_load_b64 s[2:3], s[0:1], 0x30
	s_mov_b32 s34, s13
	s_waitcnt lgkmcnt(0)
	s_cmp_lg_u64 s[2:3], 0
	s_cselect_b32 s6, -1, 0
	s_ashr_i32 s35, s13, 31
	s_cmp_eq_u64 s[2:3], 0
	s_cbranch_scc1 .LBB526_3
; %bb.1:
	s_lshl_b64 s[4:5], s[34:35], 2
	s_delay_alu instid0(SALU_CYCLE_1) | instskip(SKIP_4) | instid1(SALU_CYCLE_1)
	s_add_u32 s4, s2, s4
	s_addc_u32 s5, s3, s5
	s_load_b64 s[4:5], s[4:5], 0x0
	s_waitcnt lgkmcnt(0)
	s_sub_i32 s4, s5, s4
	s_cmp_eq_u32 s4, 1
	s_cselect_b32 s4, -1, 0
	s_delay_alu instid0(SALU_CYCLE_1)
	s_and_not1_b32 vcc_lo, exec_lo, s4
	s_cbranch_vccz .LBB526_4
.LBB526_2:
	s_nop 0
	s_sendmsg sendmsg(MSG_DEALLOC_VGPRS)
	s_endpgm
.LBB526_3:
.LBB526_4:
	s_load_b64 s[8:9], s[0:1], 0x28
	s_lshl_b64 s[4:5], s[34:35], 2
	s_waitcnt lgkmcnt(0)
	s_add_u32 s8, s8, s4
	s_addc_u32 s9, s9, s5
	s_lshl_b32 s16, s14, 8
	s_load_b32 s18, s[8:9], 0x0
	s_waitcnt lgkmcnt(0)
	s_cmp_ge_i32 s16, s18
	s_cbranch_scc1 .LBB526_2
; %bb.5:
	s_and_not1_b32 vcc_lo, exec_lo, s6
	s_cbranch_vccnz .LBB526_7
; %bb.6:
	s_add_u32 s2, s2, s4
	s_addc_u32 s3, s3, s5
	s_load_b32 s17, s[2:3], 0x0
	s_branch .LBB526_8
.LBB526_7:
	s_mov_b32 s17, s34
.LBB526_8:
	s_clause 0x2
	s_load_b128 s[8:11], s[0:1], 0x8
	s_load_b64 s[12:13], s[0:1], 0x20
	s_load_b128 s[4:7], s[0:1], 0x48
	v_lshrrev_b32_e32 v74, 5, v0
	v_bfe_u32 v83, v0, 4, 1
	v_and_b32_e32 v73, 15, v0
	s_delay_alu instid0(VALU_DEP_2) | instskip(NEXT) | instid1(VALU_DEP_2)
	v_lshl_or_b32 v3, v74, 1, v83
	v_cmp_lt_u32_e64 s3, 7, v73
	v_lshlrev_b32_e32 v1, 3, v73
	v_cmp_gt_u32_e64 s2, 8, v73
	s_delay_alu instid0(VALU_DEP_4) | instskip(NEXT) | instid1(VALU_DEP_4)
	v_cmp_lt_u32_e32 vcc_lo, 8, v3
	s_or_b32 s3, s3, vcc_lo
	s_waitcnt lgkmcnt(0)
	s_and_saveexec_b32 s7, s3
	s_delay_alu instid0(SALU_CYCLE_1)
	s_xor_b32 s3, exec_lo, s7
; %bb.9:
	v_mov_b32_e32 v2, 0
                                        ; implicit-def: $vgpr3
; %bb.10:
	s_or_saveexec_b32 s3, s3
	v_and_b32_e32 v75, 31, v0
	v_and_b32_e32 v84, 1, v0
	s_mul_i32 s31, s15, 9
	s_xor_b32 exec_lo, exec_lo, s3
	s_cbranch_execz .LBB526_12
; %bb.11:
	s_load_b64 s[20:21], s[0:1], 0x0
	v_add_lshl_u32 v4, v3, s31, 6
	s_mul_hi_i32 s23, s17, s4
	s_mul_i32 s22, s17, s4
	v_lshlrev_b32_e32 v2, 1, v1
	s_lshl_b64 s[22:23], s[22:23], 1
	v_ashrrev_i32_e32 v5, 31, v4
	v_lshlrev_b32_e32 v3, 6, v3
	v_lshlrev_b32_e32 v8, 10, v84
	s_delay_alu instid0(VALU_DEP_3) | instskip(SKIP_3) | instid1(VALU_DEP_1)
	v_lshlrev_b64 v[4:5], 1, v[4:5]
	s_waitcnt lgkmcnt(0)
	s_add_u32 s4, s20, s22
	s_addc_u32 s7, s21, s23
	v_add_co_u32 v4, vcc_lo, s4, v4
	s_delay_alu instid0(VALU_DEP_2) | instskip(NEXT) | instid1(VALU_DEP_2)
	v_add_co_ci_u32_e32 v5, vcc_lo, s7, v5, vcc_lo
	v_add_co_u32 v4, vcc_lo, v4, v2
	s_delay_alu instid0(VALU_DEP_2) | instskip(SKIP_3) | instid1(VALU_DEP_1)
	v_add_co_ci_u32_e32 v5, vcc_lo, 0, v5, vcc_lo
	v_lshlrev_b32_e32 v2, 10, v73
	global_load_b128 v[4:7], v[4:5], off
	v_and_b32_e32 v2, 0x3800, v2
	v_or3_b32 v3, v2, v8, v3
	v_mov_b32_e32 v2, 0
	s_waitcnt vmcnt(0)
	ds_store_b128 v3, v[4:7]
.LBB526_12:
	s_or_b32 exec_lo, exec_lo, s3
	v_and_b32_e32 v3, 0xef, v0
	s_add_i32 s3, s18, 31
	s_clause 0x1
	s_load_b32 s4, s[0:1], 0x38
	s_load_b32 s19, s[0:1], 0x1c
	s_ashr_i32 s7, s3, 31
	v_add_nc_u32_e32 v3, s16, v3
	s_lshr_b32 s7, s7, 27
	s_waitcnt lgkmcnt(0)
	s_add_i32 s3, s3, s7
	s_barrier
	v_ashrrev_i32_e32 v4, 31, v3
	v_cmp_gt_i32_e32 vcc_lo, s18, v3
	s_ashr_i32 s3, s3, 5
	buffer_gl0_inv
	s_add_i32 s3, s3, -1
	v_lshrrev_b32_e32 v5, 27, v4
	v_or_b32_e32 v4, 16, v3
	s_mul_i32 s6, s15, s6
	v_lshlrev_b64 v[81:82], 1, v[1:2]
	s_delay_alu instid0(VALU_DEP_3) | instskip(NEXT) | instid1(VALU_DEP_3)
	v_add_nc_u32_e32 v6, v3, v5
	v_add_nc_u32_e32 v5, v4, v5
	s_mul_i32 s20, s34, s4
	s_delay_alu instid0(SALU_CYCLE_1) | instskip(NEXT) | instid1(VALU_DEP_2)
	s_ashr_i32 s21, s20, 31
	v_ashrrev_i32_e32 v6, 5, v6
	s_delay_alu instid0(VALU_DEP_2) | instskip(SKIP_1) | instid1(SALU_CYCLE_1)
	v_ashrrev_i32_e32 v5, 5, v5
	s_lshl_b64 s[20:21], s[20:21], 2
	s_add_u32 s4, s12, s20
	s_delay_alu instid0(VALU_DEP_2) | instskip(SKIP_3) | instid1(SALU_CYCLE_1)
	v_cndmask_b32_e32 v3, s3, v6, vcc_lo
	v_cmp_gt_i32_e32 vcc_lo, s18, v4
	s_addc_u32 s17, s13, s21
	s_ashr_i32 s7, s6, 31
	s_lshl_b64 s[6:7], s[6:7], 1
	v_cndmask_b32_e32 v5, s3, v5, vcc_lo
	v_ashrrev_i32_e32 v4, 31, v3
	s_add_u32 s15, s8, s6
	s_addc_u32 s28, s9, s7
	s_lshl_b32 s8, s14, 3
	v_ashrrev_i32_e32 v6, 31, v5
	v_lshlrev_b64 v[3:4], 2, v[3:4]
	s_ashr_i32 s9, s8, 31
	s_delay_alu instid0(SALU_CYCLE_1) | instskip(NEXT) | instid1(VALU_DEP_2)
	s_lshl_b64 s[8:9], s[8:9], 2
	v_lshlrev_b64 v[5:6], 2, v[5:6]
	s_add_u32 s8, s4, s8
	s_delay_alu instid0(VALU_DEP_2) | instskip(SKIP_1) | instid1(VALU_DEP_3)
	v_add_co_u32 v3, vcc_lo, s4, v3
	v_add_co_ci_u32_e32 v4, vcc_lo, s17, v4, vcc_lo
	v_add_co_u32 v5, vcc_lo, s4, v5
	s_delay_alu instid0(VALU_DEP_4)
	v_add_co_ci_u32_e32 v6, vcc_lo, s17, v6, vcc_lo
	s_addc_u32 s9, s17, s9
	s_clause 0x1
	global_load_b32 v7, v[3:4], off
	global_load_b32 v8, v[5:6], off
	s_or_b32 s12, s16, 32
	s_delay_alu instid0(SALU_CYCLE_1) | instskip(SKIP_2) | instid1(SALU_CYCLE_1)
	s_ashr_i32 s13, s12, 5
	s_cmp_lt_i32 s12, s18
	s_cselect_b32 s12, s13, s3
	s_ashr_i32 s13, s12, 31
	s_delay_alu instid0(SALU_CYCLE_1) | instskip(NEXT) | instid1(SALU_CYCLE_1)
	s_lshl_b64 s[12:13], s[12:13], 2
	s_add_u32 s12, s4, s12
	s_addc_u32 s13, s17, s13
	s_or_b32 s20, s16, 64
	s_delay_alu instid0(SALU_CYCLE_1) | instskip(SKIP_2) | instid1(SALU_CYCLE_1)
	s_ashr_i32 s21, s20, 5
	s_cmp_lt_i32 s20, s18
	s_cselect_b32 s20, s21, s3
	s_ashr_i32 s21, s20, 31
	s_delay_alu instid0(SALU_CYCLE_1) | instskip(NEXT) | instid1(SALU_CYCLE_1)
	s_lshl_b64 s[20:21], s[20:21], 2
	s_add_u32 s20, s4, s20
	s_addc_u32 s21, s17, s21
	;; [unrolled: 10-line block ×5, first 2 shown]
	s_clause 0x5
	s_load_b32 s29, s[8:9], 0x0
	s_load_b32 s30, s[12:13], 0x0
	;; [unrolled: 1-line block ×6, first 2 shown]
	s_mov_b32 s20, 0
	s_or_b32 s8, s16, 0xc0
	s_mov_b32 s21, s20
	s_mov_b32 s22, s20
	s_mov_b32 s23, s20
	s_mov_b32 s24, s20
	s_mov_b32 s25, s20
	s_mov_b32 s26, s20
	s_mov_b32 s27, s20
	s_ashr_i32 s9, s8, 5
	v_mov_b32_e32 v117, s27
	s_cmp_lt_i32 s8, s18
	v_mov_b32_e32 v116, s26
	s_cselect_b32 s8, s9, s3
	v_mov_b32_e32 v115, s25
	s_ashr_i32 s9, s8, 31
	v_dual_mov_b32 v114, s24 :: v_dual_mov_b32 v113, s23
	v_dual_mov_b32 v112, s22 :: v_dual_mov_b32 v111, s21
	s_lshl_b64 s[8:9], s[8:9], 2
	s_waitcnt lgkmcnt(0)
	s_mul_hi_i32 s13, s29, s5
	s_add_u32 s8, s4, s8
	s_addc_u32 s9, s17, s9
	s_mul_i32 s12, s29, s5
	s_mul_hi_i32 s37, s38, s5
	v_mov_b32_e32 v110, s20
	s_mul_hi_i32 s21, s30, s5
	s_mul_i32 s20, s30, s5
	s_mul_hi_i32 s25, s33, s5
	s_mul_i32 s24, s33, s5
	;; [unrolled: 2-line block ×3, first 2 shown]
	s_waitcnt vmcnt(1)
	v_mad_i64_i32 v[3:4], null, v7, s5, 0
	s_waitcnt vmcnt(0)
	v_mad_i64_i32 v[5:6], null, v8, s5, 0
	s_delay_alu instid0(VALU_DEP_2) | instskip(NEXT) | instid1(VALU_DEP_2)
	v_lshlrev_b64 v[3:4], 1, v[3:4]
	v_lshlrev_b64 v[1:2], 1, v[5:6]
	s_delay_alu instid0(VALU_DEP_2) | instskip(NEXT) | instid1(VALU_DEP_3)
	v_add_co_u32 v3, vcc_lo, s15, v3
	v_add_co_ci_u32_e32 v4, vcc_lo, s28, v4, vcc_lo
	s_delay_alu instid0(VALU_DEP_3) | instskip(NEXT) | instid1(VALU_DEP_4)
	v_add_co_u32 v1, vcc_lo, s15, v1
	v_add_co_ci_u32_e32 v2, vcc_lo, s28, v2, vcc_lo
	s_delay_alu instid0(VALU_DEP_4) | instskip(NEXT) | instid1(VALU_DEP_4)
	v_add_co_u32 v41, vcc_lo, v3, v81
	v_add_co_ci_u32_e32 v42, vcc_lo, v4, v82, vcc_lo
	s_delay_alu instid0(VALU_DEP_4) | instskip(NEXT) | instid1(VALU_DEP_4)
	v_add_co_u32 v43, vcc_lo, v1, v81
	v_add_co_ci_u32_e32 v44, vcc_lo, v2, v82, vcc_lo
	s_clause 0xf
	global_load_b128 v[1:4], v[41:42], off
	global_load_b128 v[5:8], v[41:42], off offset:512
	global_load_b128 v[9:12], v[43:44], off offset:256
	;; [unrolled: 1-line block ×15, first 2 shown]
	v_add_nc_u32_e32 v41, -9, v73
	v_cmp_gt_u32_e32 vcc_lo, 9, v73
	s_or_b32 s15, s16, 0xe0
	s_delay_alu instid0(SALU_CYCLE_1) | instskip(SKIP_3) | instid1(SALU_CYCLE_1)
	s_ashr_i32 s22, s15, 5
	s_cmp_lt_i32 s15, s18
	v_cndmask_b32_e32 v41, v41, v73, vcc_lo
	s_cselect_b32 s22, s22, s3
	s_ashr_i32 s23, s22, 31
	s_delay_alu instid0(VALU_DEP_1)
	v_lshlrev_b32_e32 v57, 6, v41
	ds_load_b128 v[41:44], v57
	ds_load_b128 v[45:48], v57 offset:1024
	ds_load_b128 v[49:52], v57 offset:2048
	;; [unrolled: 1-line block ×7, first 2 shown]
	s_lshl_b64 s[22:23], s[22:23], 2
	s_delay_alu instid0(SALU_CYCLE_1) | instskip(SKIP_2) | instid1(SALU_CYCLE_1)
	s_add_u32 s22, s4, s22
	s_addc_u32 s23, s17, s23
	s_add_i32 s15, s16, 0x100
	s_ashr_i32 s28, s15, 5
	s_cmp_lt_i32 s15, s18
	s_load_b32 s15, s[8:9], 0x0
	s_cselect_b32 s28, s28, s3
	s_mul_hi_i32 s9, s36, s5
	s_ashr_i32 s29, s28, 31
	s_mul_i32 s8, s36, s5
	s_lshl_b64 s[28:29], s[28:29], 2
	s_mul_i32 s36, s38, s5
	s_add_u32 s28, s4, s28
	s_addc_u32 s29, s17, s29
	s_add_u32 s3, s10, s6
	s_clause 0x1
	s_load_b32 s4, s[22:23], 0x0
	s_load_b32 s17, s[28:29], 0x0
	s_addc_u32 s28, s11, s7
	s_lshl_b64 s[6:7], s[12:13], 1
	s_lshl_b64 s[10:11], s[20:21], 1
	;; [unrolled: 1-line block ×6, first 2 shown]
	s_waitcnt lgkmcnt(0)
	s_mul_hi_i32 s25, s15, s5
	s_mul_i32 s24, s15, s5
	s_waitcnt vmcnt(14)
	v_wmma_f32_16x16x16_bf16 v[134:141], v[1:8], v[41:48], v[110:117]
	s_waitcnt vmcnt(10)
	s_delay_alu instid0(VALU_DEP_1) | instskip(SKIP_1) | instid1(VALU_DEP_1)
	v_wmma_f32_16x16x16_bf16 v[134:141], v[17:24], v[49:56], v[134:141]
	s_waitcnt vmcnt(6)
	v_wmma_f32_16x16x16_bf16 v[134:141], v[33:40], v[118:125], v[134:141]
	s_waitcnt vmcnt(2)
	s_delay_alu instid0(VALU_DEP_1) | instskip(SKIP_1) | instid1(VALU_DEP_2)
	v_wmma_f32_16x16x16_bf16 v[134:141], v[94:101], v[126:133], v[134:141]
	v_lshlrev_b32_e32 v85, 6, v73
	v_mul_f32_e32 v100, s19, v141
	s_delay_alu instid0(VALU_DEP_2) | instskip(SKIP_2) | instid1(VALU_DEP_3)
	v_lshl_or_b32 v58, v74, 10, v85
	v_wmma_f32_16x16x16_bf16 v[110:117], v[9:16], v[41:48], v[110:117]
	v_mul_f32_e32 v99, s19, v135
	v_add_co_u32 v76, s3, s3, v58
	s_delay_alu instid0(VALU_DEP_1) | instskip(NEXT) | instid1(VALU_DEP_4)
	v_add_co_ci_u32_e64 v77, null, s28, 0, s3
	v_wmma_f32_16x16x16_bf16 v[110:117], v[25:32], v[49:56], v[110:117]
	s_delay_alu instid0(VALU_DEP_3) | instskip(NEXT) | instid1(VALU_DEP_3)
	v_add_co_u32 v57, vcc_lo, v76, s6
	v_add_co_ci_u32_e32 v58, vcc_lo, s7, v77, vcc_lo
	v_add_co_u32 v1, vcc_lo, v76, s10
	v_add_co_ci_u32_e32 v2, vcc_lo, s11, v77, vcc_lo
	;; [unrolled: 2-line block ×5, first 2 shown]
	s_clause 0x9
	global_load_b128 v[65:68], v[57:58], off
	global_load_b128 v[69:72], v[57:58], off offset:16
	global_load_b128 v[57:60], v[1:2], off
	global_load_b128 v[61:64], v[1:2], off offset:16
	;; [unrolled: 2-line block ×5, first 2 shown]
	v_add_co_u32 v5, vcc_lo, v76, s22
	s_lshl_b64 s[6:7], s[24:25], 1
	v_add_co_ci_u32_e32 v6, vcc_lo, s23, v77, vcc_lo
	s_mul_hi_i32 s9, s4, s5
	s_mul_i32 s8, s4, s5
	v_add_co_u32 v17, vcc_lo, v76, s6
	v_add_co_ci_u32_e32 v18, vcc_lo, s7, v77, vcc_lo
	s_lshl_b64 s[6:7], s[8:9], 1
	s_mul_hi_i32 s9, s17, s5
	s_mul_i32 s8, s17, s5
	v_add_co_u32 v19, vcc_lo, v76, s6
	s_lshl_b64 s[4:5], s[8:9], 1
	v_add_co_ci_u32_e32 v20, vcc_lo, s7, v77, vcc_lo
	v_add_co_u32 v21, vcc_lo, v76, s4
	v_add_co_ci_u32_e32 v22, vcc_lo, s5, v77, vcc_lo
	s_clause 0x7
	global_load_b128 v[1:4], v[5:6], off
	global_load_b128 v[5:8], v[5:6], off offset:16
	global_load_b128 v[33:36], v[17:18], off
	global_load_b128 v[37:40], v[17:18], off offset:16
	;; [unrolled: 2-line block ×4, first 2 shown]
	v_and_b32_e32 v76, 0xe0, v0
	v_mbcnt_lo_u32_b32 v77, -1, 0
	v_wmma_f32_16x16x16_bf16 v[110:117], v[86:93], v[118:125], v[110:117]
	s_waitcnt vmcnt(0)
	s_barrier
	v_add_nc_u32_e32 v76, s16, v76
	v_xor_b32_e32 v78, 16, v77
	v_wmma_f32_16x16x16_bf16 v[110:117], v[102:109], v[126:133], v[110:117]
	v_mul_f32_e32 v97, s19, v134
	buffer_gl0_inv
	v_or_b32_e32 v76, v76, v83
	v_cmp_gt_i32_e32 vcc_lo, 32, v78
	s_delay_alu instid0(VALU_DEP_2)
	v_or_b32_e32 v79, 4, v76
	v_cndmask_b32_e32 v77, v77, v78, vcc_lo
	v_or_b32_e32 v78, 2, v76
	v_or_b32_e32 v80, 6, v76
	v_cmp_gt_i32_e32 vcc_lo, s18, v76
	v_or_b32_e32 v86, 8, v76
	v_or_b32_e32 v87, 10, v76
	v_cmp_gt_i32_e64 s3, s18, v78
	v_or_b32_e32 v88, 12, v76
	v_or_b32_e32 v89, 14, v76
	;; [unrolled: 1-line block ×10, first 2 shown]
	v_cndmask_b32_e32 v76, 0xff7fffff, v97, vcc_lo
	v_cndmask_b32_e64 v78, 0xff7fffff, v99, s3
	v_mul_f32_e32 v99, s19, v137
	v_cmp_gt_i32_e64 s4, s18, v80
	v_mul_f32_e32 v80, s19, v136
	v_cmp_gt_i32_e64 s5, s18, v79
	v_max3_f32 v76, v76, 0xff7fffff, v78
	v_dual_mul_f32 v78, s19, v138 :: v_dual_mul_f32 v79, s19, v139
	v_cndmask_b32_e64 v99, 0xff7fffff, v99, s4
	s_delay_alu instid0(VALU_DEP_4)
	v_cndmask_b32_e64 v80, 0xff7fffff, v80, s5
	v_cmp_gt_i32_e64 s6, s18, v86
	v_cmp_gt_i32_e64 s7, s18, v87
	v_mul_f32_e32 v97, s19, v140
	v_cmp_gt_i32_e64 s8, s18, v89
	v_max3_f32 v76, v76, v80, v99
	v_cndmask_b32_e64 v78, 0xff7fffff, v78, s6
	v_cndmask_b32_e64 v79, 0xff7fffff, v79, s7
	v_cmp_gt_i32_e64 s9, s18, v88
	v_dual_mul_f32 v88, s19, v111 :: v_dual_mul_f32 v89, s19, v110
	v_cndmask_b32_e64 v100, 0xff7fffff, v100, s8
	s_delay_alu instid0(VALU_DEP_4) | instskip(NEXT) | instid1(VALU_DEP_4)
	v_max3_f32 v76, v76, v78, v79
	v_cndmask_b32_e64 v97, 0xff7fffff, v97, s9
	v_cmp_gt_i32_e64 s10, s18, v90
	v_cmp_gt_i32_e64 s11, s18, v91
	v_dual_mul_f32 v78, s19, v113 :: v_dual_mul_f32 v79, s19, v112
	s_delay_alu instid0(VALU_DEP_4) | instskip(NEXT) | instid1(VALU_DEP_4)
	v_max3_f32 v76, v76, v97, v100
	v_cndmask_b32_e64 v89, 0xff7fffff, v89, s10
	s_delay_alu instid0(VALU_DEP_4)
	v_cndmask_b32_e64 v88, 0xff7fffff, v88, s11
	v_cmp_gt_i32_e64 s12, s18, v92
	v_cmp_gt_i32_e64 s13, s18, v93
	v_mul_f32_e32 v87, s19, v115
	v_mul_f32_e32 v99, s19, v114
	v_max3_f32 v76, v76, v89, v88
	v_cndmask_b32_e64 v79, 0xff7fffff, v79, s12
	v_cndmask_b32_e64 v78, 0xff7fffff, v78, s13
	v_cmp_gt_i32_e64 s15, s18, v94
	v_cmp_gt_i32_e64 s16, s18, v95
	v_mul_f32_e32 v80, s19, v117
	v_mul_f32_e32 v86, s19, v116
	v_max3_f32 v76, v76, v79, v78
	v_cndmask_b32_e64 v88, 0xff7fffff, v99, s15
	v_cndmask_b32_e64 v87, 0xff7fffff, v87, s16
	v_cmp_gt_i32_e64 s17, s18, v96
	v_cmp_gt_i32_e64 s18, s18, v98
	v_lshlrev_b32_e32 v99, 2, v77
	s_delay_alu instid0(VALU_DEP_4) | instskip(NEXT) | instid1(VALU_DEP_4)
	v_max3_f32 v76, v76, v88, v87
	v_cndmask_b32_e64 v78, 0xff7fffff, v86, s17
	s_delay_alu instid0(VALU_DEP_4) | instskip(NEXT) | instid1(VALU_DEP_1)
	v_cndmask_b32_e64 v79, 0xff7fffff, v80, s18
	v_max3_f32 v76, v76, v78, v79
	ds_bpermute_b32 v77, v99, v76
	s_waitcnt lgkmcnt(0)
	v_max_f32_e32 v77, v77, v77
	s_delay_alu instid0(VALU_DEP_1) | instskip(NEXT) | instid1(VALU_DEP_1)
	v_max_f32_e32 v76, v76, v77
	v_fma_f32 v77, s19, v134, -v76
	v_fma_f32 v78, s19, v135, -v76
	;; [unrolled: 1-line block ×5, first 2 shown]
	s_delay_alu instid0(VALU_DEP_4) | instskip(SKIP_1) | instid1(VALU_DEP_4)
	v_dual_mul_f32 v77, 0x3fb8aa3b, v77 :: v_dual_mul_f32 v78, 0x3fb8aa3b, v78
	v_fma_f32 v88, s19, v114, -v76
	v_dual_mul_f32 v79, 0x3fb8aa3b, v79 :: v_dual_mul_f32 v80, 0x3fb8aa3b, v80
	s_delay_alu instid0(VALU_DEP_3) | instskip(NEXT) | instid1(VALU_DEP_3)
	v_exp_f32_e32 v77, v77
	v_exp_f32_e32 v78, v78
	s_delay_alu instid0(VALU_DEP_2) | instskip(NEXT) | instid1(VALU_DEP_2)
	v_mul_f32_e32 v88, 0x3fb8aa3b, v88
	v_exp_f32_e32 v79, v79
	v_mul_f32_e32 v86, 0x3fb8aa3b, v86
	v_exp_f32_e32 v80, v80
	v_fma_f32 v87, s19, v140, -v76
	v_fma_f32 v100, s19, v117, -v76
	;; [unrolled: 1-line block ×3, first 2 shown]
	v_exp_f32_e32 v86, v86
	v_cndmask_b32_e32 v92, 0, v77, vcc_lo
	v_fma_f32 v77, s19, v139, -v76
	v_cndmask_b32_e64 v91, 0, v78, s3
	v_cndmask_b32_e64 v93, 0, v79, s5
	v_fma_f32 v79, s19, v141, -v76
	s_delay_alu instid0(VALU_DEP_4) | instskip(SKIP_2) | instid1(TRANS32_DEP_1)
	v_dual_add_f32 v78, 0, v92 :: v_dual_mul_f32 v77, 0x3fb8aa3b, v77
	v_cndmask_b32_e64 v95, 0, v80, s4
	v_mul_f32_e32 v87, 0x3fb8aa3b, v87
	v_cndmask_b32_e64 v96, 0, v86, s6
	s_delay_alu instid0(VALU_DEP_4)
	v_add_f32_e32 v78, v78, v91
	v_exp_f32_e32 v77, v77
	v_fma_f32 v86, s19, v111, -v76
	v_fma_f32 v80, s19, v110, -v76
	v_exp_f32_e32 v87, v87
	v_add_f32_e32 v78, v78, v93
	v_mul_f32_e32 v100, 0x3fb8aa3b, v100
	v_mul_f32_e32 v86, 0x3fb8aa3b, v86
	;; [unrolled: 1-line block ×3, first 2 shown]
	v_exp_f32_e32 v88, v88
	v_add_f32_e32 v78, v78, v95
	v_cndmask_b32_e64 v97, 0, v77, s7
	v_exp_f32_e32 v86, v86
	v_exp_f32_e32 v80, v80
	v_cndmask_b32_e64 v94, 0, v87, s9
	v_add_f32_e32 v77, v78, v96
	v_fma_f32 v78, s19, v112, -v76
	v_fma_f32 v87, s19, v113, -v76
	v_exp_f32_e32 v100, v100
	v_cmp_gt_u32_e64 s3, 16, v75
	s_delay_alu instid0(VALU_DEP_3) | instskip(NEXT) | instid1(VALU_DEP_3)
	v_dual_add_f32 v77, v77, v97 :: v_dual_mul_f32 v78, 0x3fb8aa3b, v78
	v_mul_f32_e32 v87, 0x3fb8aa3b, v87
	s_delay_alu instid0(VALU_DEP_2) | instskip(SKIP_2) | instid1(VALU_DEP_3)
	v_exp_f32_e32 v89, v78
	v_cndmask_b32_e64 v78, 0, v86, s11
	v_mul_f32_e32 v79, 0x3fb8aa3b, v79
	v_exp_f32_e32 v87, v87
	s_delay_alu instid0(VALU_DEP_1)
	v_exp_f32_e32 v79, v79
	s_waitcnt_depctr 0xfff
	v_cndmask_b32_e64 v98, 0, v79, s8
	v_add_f32_e32 v79, v77, v94
	v_cndmask_b32_e64 v77, 0, v80, s10
	v_fma_f32 v80, s19, v115, -v76
	s_delay_alu instid0(VALU_DEP_1) | instskip(NEXT) | instid1(VALU_DEP_1)
	v_dual_add_f32 v79, v79, v98 :: v_dual_mul_f32 v80, 0x3fb8aa3b, v80
	v_add_f32_e32 v86, v79, v77
	v_cndmask_b32_e64 v79, 0, v89, s12
	v_mul_f32_e32 v89, 0x3fb8aa3b, v90
	s_delay_alu instid0(VALU_DEP_4) | instskip(SKIP_2) | instid1(VALU_DEP_3)
	v_exp_f32_e32 v90, v80
	v_cndmask_b32_e64 v80, 0, v87, s13
	v_add_f32_e32 v86, v86, v78
	v_exp_f32_e32 v89, v89
	s_delay_alu instid0(VALU_DEP_1) | instskip(SKIP_1) | instid1(VALU_DEP_2)
	v_add_f32_e32 v87, v86, v79
	v_cndmask_b32_e64 v86, 0, v88, s15
	v_add_f32_e32 v88, v87, v80
	s_delay_alu instid0(TRANS32_DEP_2) | instskip(NEXT) | instid1(VALU_DEP_2)
	v_cndmask_b32_e64 v87, 0, v90, s16
	v_add_f32_e32 v90, v88, v86
	s_waitcnt_depctr 0xfff
	v_cndmask_b32_e64 v88, 0, v89, s17
	v_add_f32_e32 v89, v90, v87
	s_delay_alu instid0(VALU_DEP_1) | instskip(SKIP_1) | instid1(VALU_DEP_1)
	v_add_f32_e32 v90, v89, v88
	v_cndmask_b32_e64 v89, 0, v100, s18
	v_add_f32_e32 v90, v90, v89
	ds_bpermute_b32 v99, v99, v90
	s_and_saveexec_b32 s4, s3
	s_cbranch_execz .LBB526_14
; %bb.13:
	v_mul_u32_u24_e32 v75, 0x44, v74
	s_waitcnt lgkmcnt(0)
	v_add_f32_e32 v90, v90, v99
	s_delay_alu instid0(VALU_DEP_2) | instskip(NEXT) | instid1(VALU_DEP_1)
	v_lshl_add_u32 v75, v73, 2, v75
	v_add_nc_u32_e32 v75, 0x4000, v75
	ds_store_2addr_b32 v75, v76, v90 offset1:136
.LBB526_14:
	s_or_b32 exec_lo, exec_lo, s4
	v_lshlrev_b32_e32 v75, 2, v73
	s_waitcnt lgkmcnt(0)
	s_barrier
	buffer_gl0_inv
	v_cmp_eq_u32_e64 s4, 1, v74
	v_add_nc_u32_e32 v90, 0x4000, v75
	ds_load_2addr_b32 v[99:100], v90 offset1:17
	ds_load_2addr_b32 v[101:102], v90 offset0:34 offset1:51
	ds_load_2addr_b32 v[103:104], v90 offset0:68 offset1:85
	;; [unrolled: 1-line block ×4, first 2 shown]
	s_waitcnt lgkmcnt(4)
	v_max3_f32 v75, v99, 0xff7fffff, v100
	s_waitcnt lgkmcnt(3)
	s_delay_alu instid0(VALU_DEP_1) | instskip(SKIP_1) | instid1(VALU_DEP_1)
	v_max3_f32 v75, v75, v101, v102
	s_waitcnt lgkmcnt(2)
	v_max3_f32 v75, v75, v103, v104
	s_waitcnt lgkmcnt(1)
	s_delay_alu instid0(VALU_DEP_1) | instskip(NEXT) | instid1(VALU_DEP_1)
	v_max3_f32 v75, v75, v105, v106
	v_sub_f32_e32 v109, v100, v75
	v_sub_f32_e32 v76, v99, v75
	ds_load_2addr_b32 v[99:100], v90 offset0:170 offset1:187
	v_sub_f32_e32 v101, v101, v75
	v_dual_mul_f32 v109, 0x3fb8aa3b, v109 :: v_dual_mul_f32 v76, 0x3fb8aa3b, v76
	s_delay_alu instid0(VALU_DEP_2) | instskip(NEXT) | instid1(VALU_DEP_2)
	v_mul_f32_e32 v111, 0x3fb8aa3b, v101
	v_exp_f32_e32 v109, v109
	s_delay_alu instid0(VALU_DEP_2)
	v_exp_f32_e32 v110, v76
	v_sub_f32_e32 v76, v102, v75
	ds_load_2addr_b32 v[101:102], v90 offset0:204 offset1:221
	v_exp_f32_e32 v111, v111
	v_mul_f32_e32 v112, 0x3fb8aa3b, v76
	s_waitcnt lgkmcnt(2)
	v_fma_f32 v76, v110, v107, 0
	v_sub_f32_e32 v103, v103, v75
	s_delay_alu instid0(VALU_DEP_3) | instskip(NEXT) | instid1(VALU_DEP_2)
	v_exp_f32_e32 v112, v112
	v_dual_sub_f32 v107, v104, v75 :: v_dual_fmac_f32 v76, v109, v108
	s_waitcnt lgkmcnt(1)
	s_waitcnt_depctr 0xfff
	v_fmac_f32_e32 v76, v111, v99
	v_mul_f32_e32 v113, 0x3fb8aa3b, v103
	ds_load_2addr_b32 v[103:104], v90 offset0:238 offset1:255
	v_sub_f32_e32 v90, v105, v75
	v_dual_sub_f32 v99, v106, v75 :: v_dual_fmac_f32 v76, v112, v100
	v_mul_f32_e32 v105, 0x3fb8aa3b, v107
	v_exp_f32_e32 v107, v113
	s_delay_alu instid0(VALU_DEP_2)
	v_dual_mul_f32 v90, 0x3fb8aa3b, v90 :: v_dual_mul_f32 v99, 0x3fb8aa3b, v99
	s_waitcnt lgkmcnt(0)
	s_barrier
	buffer_gl0_inv
	v_exp_f32_e32 v90, v90
	v_exp_f32_e32 v99, v99
	v_fmac_f32_e32 v76, v107, v101
	v_exp_f32_e32 v105, v105
	s_waitcnt_depctr 0xfff
	v_fmac_f32_e32 v76, v105, v102
	s_delay_alu instid0(VALU_DEP_1) | instskip(NEXT) | instid1(VALU_DEP_1)
	v_fmac_f32_e32 v76, v90, v103
	v_fmac_f32_e32 v76, v99, v104
	s_delay_alu instid0(VALU_DEP_1) | instskip(NEXT) | instid1(VALU_DEP_1)
	v_add_f32_e32 v100, 0x358637bd, v76
	v_div_scale_f32 v101, null, v100, v100, 1.0
	v_div_scale_f32 v104, vcc_lo, 1.0, v100, 1.0
	s_delay_alu instid0(VALU_DEP_2) | instskip(SKIP_2) | instid1(VALU_DEP_1)
	v_rcp_f32_e32 v102, v101
	s_waitcnt_depctr 0xfff
	v_fma_f32 v103, -v101, v102, 1.0
	v_fmac_f32_e32 v102, v103, v102
	v_cndmask_b32_e64 v103, v110, v109, s4
	v_cmp_eq_u32_e64 s4, 2, v74
	s_delay_alu instid0(VALU_DEP_3) | instskip(NEXT) | instid1(VALU_DEP_2)
	v_mul_f32_e32 v106, v104, v102
	v_cndmask_b32_e64 v103, v103, v111, s4
	v_cmp_eq_u32_e64 s4, 3, v74
	s_delay_alu instid0(VALU_DEP_3) | instskip(NEXT) | instid1(VALU_DEP_2)
	v_fma_f32 v108, -v101, v106, v104
	v_cndmask_b32_e64 v103, v103, v112, s4
	v_cmp_eq_u32_e64 s4, 4, v74
	s_delay_alu instid0(VALU_DEP_3) | instskip(NEXT) | instid1(VALU_DEP_2)
	v_fmac_f32_e32 v106, v108, v102
	v_cndmask_b32_e64 v103, v103, v107, s4
	s_delay_alu instid0(VALU_DEP_2) | instskip(SKIP_1) | instid1(VALU_DEP_2)
	v_fma_f32 v101, -v101, v106, v104
	v_cmp_eq_u32_e64 s4, 5, v74
	v_div_fmas_f32 v101, v101, v102, v106
	s_delay_alu instid0(VALU_DEP_2) | instskip(SKIP_2) | instid1(VALU_DEP_3)
	v_cndmask_b32_e64 v103, v103, v105, s4
	v_cmp_eq_u32_e32 vcc_lo, 6, v74
	s_mov_b32 s4, exec_lo
	v_div_fixup_f32 v100, v101, v100, 1.0
	s_delay_alu instid0(VALU_DEP_3) | instskip(SKIP_1) | instid1(VALU_DEP_2)
	v_cndmask_b32_e32 v90, v103, v90, vcc_lo
	v_cmp_eq_u32_e32 vcc_lo, 7, v74
	v_cndmask_b32_e32 v90, v90, v99, vcc_lo
	s_delay_alu instid0(VALU_DEP_1) | instskip(NEXT) | instid1(VALU_DEP_1)
	v_mul_f32_e32 v90, v90, v100
	v_mul_f32_e32 v100, v90, v92
	v_mul_f32_e32 v92, v90, v98
	v_mul_f32_e32 v94, v90, v94
	v_mul_f32_e32 v97, v90, v97
	v_mul_f32_e32 v98, v90, v96
	v_and_b32_e32 v101, 0x7f800000, v100
	v_mul_f32_e32 v99, v90, v95
	v_mul_f32_e32 v95, v90, v91
	;; [unrolled: 1-line block ×3, first 2 shown]
                                        ; implicit-def: $vgpr91
	s_delay_alu instid0(VALU_DEP_4)
	v_cmpx_ne_u32_e32 0x7f800000, v101
	s_xor_b32 s4, exec_lo, s4
; %bb.15:
	v_bfe_u32 v91, v100, 16, 1
	s_delay_alu instid0(VALU_DEP_1)
	v_add3_u32 v91, v100, v91, 0x7fff
                                        ; implicit-def: $vgpr100
; %bb.16:
	s_and_not1_saveexec_b32 s4, s4
; %bb.17:
	v_and_b32_e32 v91, 0xffff, v100
	v_or_b32_e32 v93, 0x10000, v100
	s_delay_alu instid0(VALU_DEP_2) | instskip(NEXT) | instid1(VALU_DEP_2)
	v_cmp_eq_u32_e32 vcc_lo, 0, v91
	v_cndmask_b32_e32 v91, v93, v100, vcc_lo
; %bb.18:
	s_or_b32 exec_lo, exec_lo, s4
	v_and_b32_e32 v93, 0x7f800000, v95
	s_delay_alu instid0(VALU_DEP_1) | instskip(SKIP_1) | instid1(SALU_CYCLE_1)
	v_cmp_ne_u32_e32 vcc_lo, 0x7f800000, v93
                                        ; implicit-def: $vgpr93
	s_and_saveexec_b32 s4, vcc_lo
	s_xor_b32 s4, exec_lo, s4
; %bb.19:
	v_bfe_u32 v93, v95, 16, 1
	s_delay_alu instid0(VALU_DEP_1)
	v_add3_u32 v93, v95, v93, 0x7fff
                                        ; implicit-def: $vgpr95
; %bb.20:
	s_and_not1_saveexec_b32 s4, s4
; %bb.21:
	v_and_b32_e32 v93, 0xffff, v95
	v_or_b32_e32 v100, 0x10000, v95
	s_delay_alu instid0(VALU_DEP_2) | instskip(NEXT) | instid1(VALU_DEP_2)
	v_cmp_eq_u32_e32 vcc_lo, 0, v93
	v_cndmask_b32_e32 v93, v100, v95, vcc_lo
; %bb.22:
	s_or_b32 exec_lo, exec_lo, s4
	v_and_b32_e32 v95, 0x7f800000, v96
	s_delay_alu instid0(VALU_DEP_1) | instskip(SKIP_1) | instid1(SALU_CYCLE_1)
	v_cmp_ne_u32_e32 vcc_lo, 0x7f800000, v95
                                        ; implicit-def: $vgpr95
	s_and_saveexec_b32 s4, vcc_lo
	s_xor_b32 s4, exec_lo, s4
; %bb.23:
	v_bfe_u32 v95, v96, 16, 1
	s_delay_alu instid0(VALU_DEP_1)
	v_add3_u32 v95, v96, v95, 0x7fff
                                        ; implicit-def: $vgpr96
; %bb.24:
	s_and_not1_saveexec_b32 s4, s4
; %bb.25:
	v_and_b32_e32 v95, 0xffff, v96
	v_or_b32_e32 v100, 0x10000, v96
	s_delay_alu instid0(VALU_DEP_2) | instskip(NEXT) | instid1(VALU_DEP_2)
	v_cmp_eq_u32_e32 vcc_lo, 0, v95
	v_cndmask_b32_e32 v95, v100, v96, vcc_lo
; %bb.26:
	s_or_b32 exec_lo, exec_lo, s4
	v_and_b32_e32 v96, 0x7f800000, v99
	s_delay_alu instid0(VALU_DEP_1) | instskip(SKIP_1) | instid1(SALU_CYCLE_1)
	v_cmp_ne_u32_e32 vcc_lo, 0x7f800000, v96
                                        ; implicit-def: $vgpr96
	s_and_saveexec_b32 s4, vcc_lo
	s_xor_b32 s4, exec_lo, s4
; %bb.27:
	v_bfe_u32 v96, v99, 16, 1
	s_delay_alu instid0(VALU_DEP_1)
	v_add3_u32 v96, v99, v96, 0x7fff
                                        ; implicit-def: $vgpr99
; %bb.28:
	s_and_not1_saveexec_b32 s4, s4
; %bb.29:
	v_and_b32_e32 v96, 0xffff, v99
	v_or_b32_e32 v100, 0x10000, v99
	s_delay_alu instid0(VALU_DEP_2) | instskip(NEXT) | instid1(VALU_DEP_2)
	v_cmp_eq_u32_e32 vcc_lo, 0, v96
	v_cndmask_b32_e32 v96, v100, v99, vcc_lo
; %bb.30:
	s_or_b32 exec_lo, exec_lo, s4
	v_and_b32_e32 v99, 0x7f800000, v98
	s_delay_alu instid0(VALU_DEP_1) | instskip(SKIP_1) | instid1(SALU_CYCLE_1)
	v_cmp_ne_u32_e32 vcc_lo, 0x7f800000, v99
                                        ; implicit-def: $vgpr99
	s_and_saveexec_b32 s4, vcc_lo
	s_xor_b32 s4, exec_lo, s4
; %bb.31:
	v_bfe_u32 v99, v98, 16, 1
	s_delay_alu instid0(VALU_DEP_1)
	v_add3_u32 v99, v98, v99, 0x7fff
                                        ; implicit-def: $vgpr98
; %bb.32:
	s_and_not1_saveexec_b32 s4, s4
; %bb.33:
	v_and_b32_e32 v99, 0xffff, v98
	v_or_b32_e32 v100, 0x10000, v98
	s_delay_alu instid0(VALU_DEP_2) | instskip(NEXT) | instid1(VALU_DEP_2)
	v_cmp_eq_u32_e32 vcc_lo, 0, v99
	v_cndmask_b32_e32 v99, v100, v98, vcc_lo
; %bb.34:
	s_or_b32 exec_lo, exec_lo, s4
	v_and_b32_e32 v98, 0x7f800000, v97
	s_delay_alu instid0(VALU_DEP_1) | instskip(SKIP_1) | instid1(SALU_CYCLE_1)
	v_cmp_ne_u32_e32 vcc_lo, 0x7f800000, v98
                                        ; implicit-def: $vgpr98
	s_and_saveexec_b32 s4, vcc_lo
	s_xor_b32 s4, exec_lo, s4
; %bb.35:
	v_bfe_u32 v98, v97, 16, 1
	s_delay_alu instid0(VALU_DEP_1)
	v_add3_u32 v98, v97, v98, 0x7fff
                                        ; implicit-def: $vgpr97
; %bb.36:
	s_and_not1_saveexec_b32 s4, s4
; %bb.37:
	v_and_b32_e32 v98, 0xffff, v97
	v_or_b32_e32 v100, 0x10000, v97
	s_delay_alu instid0(VALU_DEP_2) | instskip(NEXT) | instid1(VALU_DEP_2)
	v_cmp_eq_u32_e32 vcc_lo, 0, v98
	v_cndmask_b32_e32 v98, v100, v97, vcc_lo
; %bb.38:
	s_or_b32 exec_lo, exec_lo, s4
	v_and_b32_e32 v97, 0x7f800000, v94
	s_delay_alu instid0(VALU_DEP_1) | instskip(SKIP_1) | instid1(SALU_CYCLE_1)
	v_cmp_ne_u32_e32 vcc_lo, 0x7f800000, v97
                                        ; implicit-def: $vgpr97
	s_and_saveexec_b32 s4, vcc_lo
	s_xor_b32 s4, exec_lo, s4
; %bb.39:
	v_bfe_u32 v97, v94, 16, 1
	s_delay_alu instid0(VALU_DEP_1)
	v_add3_u32 v97, v94, v97, 0x7fff
                                        ; implicit-def: $vgpr94
; %bb.40:
	s_and_not1_saveexec_b32 s4, s4
; %bb.41:
	v_and_b32_e32 v97, 0xffff, v94
	v_or_b32_e32 v100, 0x10000, v94
	s_delay_alu instid0(VALU_DEP_2) | instskip(NEXT) | instid1(VALU_DEP_2)
	v_cmp_eq_u32_e32 vcc_lo, 0, v97
	v_cndmask_b32_e32 v97, v100, v94, vcc_lo
; %bb.42:
	s_or_b32 exec_lo, exec_lo, s4
	v_and_b32_e32 v94, 0x7f800000, v92
	s_delay_alu instid0(VALU_DEP_1) | instskip(SKIP_1) | instid1(SALU_CYCLE_1)
	v_cmp_ne_u32_e32 vcc_lo, 0x7f800000, v94
                                        ; implicit-def: $vgpr94
	s_and_saveexec_b32 s4, vcc_lo
	s_xor_b32 s4, exec_lo, s4
; %bb.43:
	v_bfe_u32 v94, v92, 16, 1
	s_delay_alu instid0(VALU_DEP_1)
	v_add3_u32 v94, v92, v94, 0x7fff
                                        ; implicit-def: $vgpr92
; %bb.44:
	s_and_not1_saveexec_b32 s4, s4
; %bb.45:
	v_and_b32_e32 v94, 0xffff, v92
	v_or_b32_e32 v100, 0x10000, v92
	s_delay_alu instid0(VALU_DEP_2) | instskip(NEXT) | instid1(VALU_DEP_2)
	v_cmp_eq_u32_e32 vcc_lo, 0, v94
	v_cndmask_b32_e32 v94, v100, v92, vcc_lo
; %bb.46:
	s_or_b32 exec_lo, exec_lo, s4
	s_load_b64 s[36:37], s[0:1], 0x94
	v_lshlrev_b32_e32 v92, 4, v83
	s_delay_alu instid0(VALU_DEP_2)
	v_perm_b32 v100, v94, v97, 0x7060302
	v_dual_mul_f32 v89, v90, v89 :: v_dual_lshlrev_b32 v94, 11, v74
	v_perm_b32 v97, v93, v91, 0x7060302
	v_mul_f32_e32 v93, v90, v77
	v_perm_b32 v99, v98, v99, 0x7060302
	v_perm_b32 v98, v96, v95, 0x7060302
	v_or3_b32 v77, v92, v94, v85
	v_mul_f32_e32 v88, v90, v88
	v_dual_mul_f32 v87, v90, v87 :: v_dual_and_b32 v94, 0x7f800000, v93
	v_mul_f32_e32 v86, v90, v86
	v_mul_f32_e32 v91, v90, v80
	;; [unrolled: 1-line block ×4, first 2 shown]
	s_mov_b32 s4, exec_lo
	ds_store_b128 v77, v[97:100]
                                        ; implicit-def: $vgpr78
	v_cmpx_ne_u32_e32 0x7f800000, v94
	s_xor_b32 s4, exec_lo, s4
; %bb.47:
	v_bfe_u32 v78, v93, 16, 1
	s_delay_alu instid0(VALU_DEP_1)
	v_add3_u32 v78, v93, v78, 0x7fff
                                        ; implicit-def: $vgpr93
; %bb.48:
	s_and_not1_saveexec_b32 s4, s4
; %bb.49:
	v_and_b32_e32 v78, 0xffff, v93
	v_or_b32_e32 v79, 0x10000, v93
	s_delay_alu instid0(VALU_DEP_2) | instskip(NEXT) | instid1(VALU_DEP_2)
	v_cmp_eq_u32_e32 vcc_lo, 0, v78
	v_cndmask_b32_e32 v78, v79, v93, vcc_lo
; %bb.50:
	s_or_b32 exec_lo, exec_lo, s4
	v_and_b32_e32 v79, 0x7f800000, v80
	s_delay_alu instid0(VALU_DEP_1) | instskip(SKIP_1) | instid1(SALU_CYCLE_1)
	v_cmp_ne_u32_e32 vcc_lo, 0x7f800000, v79
                                        ; implicit-def: $vgpr79
	s_and_saveexec_b32 s4, vcc_lo
	s_xor_b32 s4, exec_lo, s4
; %bb.51:
	v_bfe_u32 v79, v80, 16, 1
	s_delay_alu instid0(VALU_DEP_1)
	v_add3_u32 v79, v80, v79, 0x7fff
                                        ; implicit-def: $vgpr80
; %bb.52:
	s_and_not1_saveexec_b32 s4, s4
; %bb.53:
	v_and_b32_e32 v79, 0xffff, v80
	v_or_b32_e32 v90, 0x10000, v80
	s_delay_alu instid0(VALU_DEP_2) | instskip(NEXT) | instid1(VALU_DEP_2)
	v_cmp_eq_u32_e32 vcc_lo, 0, v79
	v_cndmask_b32_e32 v79, v90, v80, vcc_lo
; %bb.54:
	s_or_b32 exec_lo, exec_lo, s4
	v_and_b32_e32 v80, 0x7f800000, v92
	s_delay_alu instid0(VALU_DEP_1) | instskip(SKIP_1) | instid1(SALU_CYCLE_1)
	v_cmp_ne_u32_e32 vcc_lo, 0x7f800000, v80
                                        ; implicit-def: $vgpr80
	s_and_saveexec_b32 s4, vcc_lo
	s_xor_b32 s4, exec_lo, s4
; %bb.55:
	v_bfe_u32 v80, v92, 16, 1
	s_delay_alu instid0(VALU_DEP_1)
	v_add3_u32 v80, v92, v80, 0x7fff
                                        ; implicit-def: $vgpr92
; %bb.56:
	s_and_not1_saveexec_b32 s4, s4
; %bb.57:
	v_and_b32_e32 v80, 0xffff, v92
	v_or_b32_e32 v90, 0x10000, v92
	s_delay_alu instid0(VALU_DEP_2) | instskip(NEXT) | instid1(VALU_DEP_2)
	v_cmp_eq_u32_e32 vcc_lo, 0, v80
	v_cndmask_b32_e32 v80, v90, v92, vcc_lo
; %bb.58:
	s_or_b32 exec_lo, exec_lo, s4
	v_and_b32_e32 v90, 0x7f800000, v91
	s_delay_alu instid0(VALU_DEP_1) | instskip(SKIP_1) | instid1(SALU_CYCLE_1)
	v_cmp_ne_u32_e32 vcc_lo, 0x7f800000, v90
                                        ; implicit-def: $vgpr90
	s_and_saveexec_b32 s4, vcc_lo
	s_xor_b32 s4, exec_lo, s4
; %bb.59:
	v_bfe_u32 v90, v91, 16, 1
	s_delay_alu instid0(VALU_DEP_1)
	v_add3_u32 v90, v91, v90, 0x7fff
                                        ; implicit-def: $vgpr91
; %bb.60:
	s_and_not1_saveexec_b32 s4, s4
; %bb.61:
	v_and_b32_e32 v90, 0xffff, v91
	v_or_b32_e32 v92, 0x10000, v91
	s_delay_alu instid0(VALU_DEP_2) | instskip(NEXT) | instid1(VALU_DEP_2)
	v_cmp_eq_u32_e32 vcc_lo, 0, v90
	v_cndmask_b32_e32 v90, v92, v91, vcc_lo
; %bb.62:
	s_or_b32 exec_lo, exec_lo, s4
	v_and_b32_e32 v91, 0x7f800000, v86
	s_delay_alu instid0(VALU_DEP_1) | instskip(SKIP_1) | instid1(SALU_CYCLE_1)
	v_cmp_ne_u32_e32 vcc_lo, 0x7f800000, v91
                                        ; implicit-def: $vgpr91
	s_and_saveexec_b32 s4, vcc_lo
	s_xor_b32 s4, exec_lo, s4
; %bb.63:
	v_bfe_u32 v91, v86, 16, 1
	s_delay_alu instid0(VALU_DEP_1)
	v_add3_u32 v91, v86, v91, 0x7fff
                                        ; implicit-def: $vgpr86
; %bb.64:
	s_and_not1_saveexec_b32 s4, s4
; %bb.65:
	v_and_b32_e32 v91, 0xffff, v86
	v_or_b32_e32 v92, 0x10000, v86
	s_delay_alu instid0(VALU_DEP_2) | instskip(NEXT) | instid1(VALU_DEP_2)
	v_cmp_eq_u32_e32 vcc_lo, 0, v91
	v_cndmask_b32_e32 v91, v92, v86, vcc_lo
; %bb.66:
	s_or_b32 exec_lo, exec_lo, s4
	v_and_b32_e32 v86, 0x7f800000, v87
	s_delay_alu instid0(VALU_DEP_1) | instskip(SKIP_1) | instid1(SALU_CYCLE_1)
	v_cmp_ne_u32_e32 vcc_lo, 0x7f800000, v86
                                        ; implicit-def: $vgpr86
	s_and_saveexec_b32 s4, vcc_lo
	s_xor_b32 s4, exec_lo, s4
; %bb.67:
	v_bfe_u32 v86, v87, 16, 1
	s_delay_alu instid0(VALU_DEP_1)
	v_add3_u32 v86, v87, v86, 0x7fff
                                        ; implicit-def: $vgpr87
; %bb.68:
	s_and_not1_saveexec_b32 s4, s4
; %bb.69:
	v_and_b32_e32 v86, 0xffff, v87
	v_or_b32_e32 v92, 0x10000, v87
	s_delay_alu instid0(VALU_DEP_2) | instskip(NEXT) | instid1(VALU_DEP_2)
	v_cmp_eq_u32_e32 vcc_lo, 0, v86
	v_cndmask_b32_e32 v86, v92, v87, vcc_lo
; %bb.70:
	s_or_b32 exec_lo, exec_lo, s4
	v_and_b32_e32 v87, 0x7f800000, v88
	s_delay_alu instid0(VALU_DEP_1) | instskip(SKIP_1) | instid1(SALU_CYCLE_1)
	v_cmp_ne_u32_e32 vcc_lo, 0x7f800000, v87
                                        ; implicit-def: $vgpr87
	s_and_saveexec_b32 s4, vcc_lo
	s_xor_b32 s4, exec_lo, s4
; %bb.71:
	v_bfe_u32 v87, v88, 16, 1
	s_delay_alu instid0(VALU_DEP_1)
	v_add3_u32 v87, v88, v87, 0x7fff
                                        ; implicit-def: $vgpr88
; %bb.72:
	s_and_not1_saveexec_b32 s4, s4
; %bb.73:
	v_and_b32_e32 v87, 0xffff, v88
	v_or_b32_e32 v92, 0x10000, v88
	s_delay_alu instid0(VALU_DEP_2) | instskip(NEXT) | instid1(VALU_DEP_2)
	v_cmp_eq_u32_e32 vcc_lo, 0, v87
	v_cndmask_b32_e32 v87, v92, v88, vcc_lo
; %bb.74:
	s_or_b32 exec_lo, exec_lo, s4
	v_and_b32_e32 v88, 0x7f800000, v89
	s_delay_alu instid0(VALU_DEP_1) | instskip(SKIP_1) | instid1(SALU_CYCLE_1)
	v_cmp_ne_u32_e32 vcc_lo, 0x7f800000, v88
                                        ; implicit-def: $vgpr88
	s_and_saveexec_b32 s4, vcc_lo
	s_xor_b32 s4, exec_lo, s4
; %bb.75:
	v_bfe_u32 v88, v89, 16, 1
	s_delay_alu instid0(VALU_DEP_1)
	v_add3_u32 v88, v89, v88, 0x7fff
                                        ; implicit-def: $vgpr89
; %bb.76:
	s_and_not1_saveexec_b32 s4, s4
; %bb.77:
	v_and_b32_e32 v88, 0xffff, v89
	v_or_b32_e32 v92, 0x10000, v89
	s_delay_alu instid0(VALU_DEP_2) | instskip(NEXT) | instid1(VALU_DEP_2)
	v_cmp_eq_u32_e32 vcc_lo, 0, v88
	v_cndmask_b32_e32 v88, v92, v89, vcc_lo
; %bb.78:
	s_or_b32 exec_lo, exec_lo, s4
	s_delay_alu instid0(VALU_DEP_1)
	v_perm_b32 v89, v88, v87, 0x7060302
	v_perm_b32 v88, v86, v91, 0x7060302
	;; [unrolled: 1-line block ×4, first 2 shown]
	v_lshl_or_b32 v90, v74, 11, v85
	ds_store_b128 v77, v[86:89] offset:1024
	s_waitcnt lgkmcnt(0)
	s_barrier
	buffer_gl0_inv
	ds_load_b128 v[91:94], v90
	ds_load_b128 v[95:98], v90 offset:16
	v_lshlrev_b32_e32 v87, 2, v83
	s_delay_alu instid0(VALU_DEP_1)
	v_or_b32_e32 v88, 1, v87
	v_cmp_eq_u32_e32 vcc_lo, 1, v87
	v_cmp_eq_u32_e64 s5, 2, v87
	v_cmp_eq_u32_e64 s8, 3, v87
	v_cmp_eq_u32_e64 s10, 4, v87
	v_cmp_eq_u32_e64 s4, 1, v88
	v_cmp_eq_u32_e64 s7, 2, v88
	v_cmp_eq_u32_e64 s9, 3, v88
	v_or_b32_e32 v86, 2, v87
	v_cmp_eq_u32_e64 s11, 5, v87
	v_cmp_eq_u32_e64 s12, 4, v88
	;; [unrolled: 1-line block ×4, first 2 shown]
	s_waitcnt lgkmcnt(1)
	v_lshrrev_b32_e32 v74, 16, v91
	s_waitcnt lgkmcnt(0)
	v_lshrrev_b32_e32 v103, 16, v95
	v_lshrrev_b32_e32 v80, 16, v94
	;; [unrolled: 1-line block ×4, first 2 shown]
	v_cndmask_b32_e32 v89, v91, v74, vcc_lo
	v_cndmask_b32_e32 v99, v95, v103, vcc_lo
	v_cndmask_b32_e64 v100, v91, v74, s4
	v_lshrrev_b32_e32 v79, 16, v93
	v_lshrrev_b32_e32 v108, 16, v97
	v_cndmask_b32_e64 v89, v89, v92, s5
	v_cndmask_b32_e64 v99, v99, v96, s5
	;; [unrolled: 1-line block ×4, first 2 shown]
	v_cmp_eq_u32_e64 s6, 1, v86
	v_cndmask_b32_e64 v89, v89, v78, s8
	v_cndmask_b32_e64 v99, v99, v107, s8
	;; [unrolled: 1-line block ×4, first 2 shown]
	v_lshrrev_b32_e32 v109, 16, v98
	v_cndmask_b32_e64 v89, v89, v93, s10
	v_cndmask_b32_e64 v99, v99, v97, s10
	;; [unrolled: 1-line block ×8, first 2 shown]
	v_cmp_eq_u32_e64 s16, 7, v87
	v_cmp_eq_u32_e64 s17, 6, v88
	v_cndmask_b32_e64 v89, v89, v94, s13
	v_cndmask_b32_e64 v99, v99, v98, s13
	v_cmp_eq_u32_e64 s18, 2, v86
	v_cndmask_b32_e64 v101, v101, v97, s12
	v_cndmask_b32_e64 v100, v100, v94, s17
	;; [unrolled: 1-line block ×6, first 2 shown]
	v_cmp_eq_u32_e64 s19, 7, v88
	v_cmp_eq_u32_e64 s20, 3, v86
	;; [unrolled: 1-line block ×4, first 2 shown]
	v_cndmask_b32_e64 v99, v99, v96, s18
	v_cndmask_b32_e64 v112, v100, v80, s19
	;; [unrolled: 1-line block ×4, first 2 shown]
	v_or_b32_e32 v89, 3, v87
	v_cndmask_b32_e64 v105, v99, v107, s20
	v_cmp_eq_u32_e64 s25, 6, v86
	v_cndmask_b32_e64 v113, v100, v98, s17
	v_cndmask_b32_e64 v104, v101, v93, s21
	ds_load_b128 v[99:102], v90 offset:1024
	v_cmp_eq_u32_e64 s22, 1, v89
	v_cmp_eq_u32_e64 s24, 2, v89
	v_cmp_eq_u32_e64 s26, 3, v89
	v_cndmask_b32_e64 v114, v104, v79, s23
	v_cmp_eq_u32_e64 s27, 4, v89
	v_cndmask_b32_e64 v74, v91, v74, s22
	v_cndmask_b32_e64 v91, v105, v97, s21
	;; [unrolled: 1-line block ×3, first 2 shown]
	ds_load_b128 v[103:106], v90 offset:1040
	v_cmp_eq_u32_e64 s29, 5, v89
	v_cndmask_b32_e64 v74, v74, v92, s24
	v_cndmask_b32_e64 v91, v91, v108, s23
	;; [unrolled: 1-line block ×3, first 2 shown]
	v_cmp_eq_u32_e64 s30, 6, v89
	v_cndmask_b32_e64 v95, v113, v109, s19
	v_cndmask_b32_e64 v74, v74, v78, s26
	;; [unrolled: 1-line block ×5, first 2 shown]
	s_waitcnt lgkmcnt(1)
	v_lshrrev_b32_e32 v96, 16, v99
	v_cndmask_b32_e64 v74, v74, v93, s27
	v_lshrrev_b32_e32 v107, 16, v100
	v_cndmask_b32_e64 v92, v92, v97, s27
	v_cmp_eq_u32_e64 s28, 7, v86
	v_cndmask_b32_e32 v93, v99, v96, vcc_lo
	v_cndmask_b32_e64 v74, v74, v79, s29
	s_delay_alu instid0(VALU_DEP_4)
	v_cndmask_b32_e64 v79, v92, v108, s29
	s_waitcnt lgkmcnt(0)
	v_lshrrev_b32_e32 v97, 16, v103
	v_cndmask_b32_e64 v92, v93, v100, s5
	v_cndmask_b32_e64 v93, v99, v96, s4
	;; [unrolled: 1-line block ×4, first 2 shown]
	v_cndmask_b32_e32 v108, v103, v97, vcc_lo
	v_cndmask_b32_e64 v92, v92, v107, s8
	v_cndmask_b32_e64 v93, v93, v100, s7
	v_lshrrev_b32_e32 v98, 16, v104
	v_cmp_eq_u32_e32 vcc_lo, 7, v89
	v_cndmask_b32_e64 v94, v108, v104, s5
	v_cndmask_b32_e64 v92, v92, v101, s10
	v_lshrrev_b32_e32 v108, 16, v101
	v_cndmask_b32_e64 v93, v93, v107, s9
	v_cndmask_b32_e32 v74, v74, v80, vcc_lo
	v_cndmask_b32_e64 v94, v94, v98, s8
	v_cndmask_b32_e32 v79, v79, v109, vcc_lo
	v_cndmask_b32_e64 v92, v92, v108, s11
	v_cndmask_b32_e64 v78, v78, v80, s28
	v_cndmask_b32_e64 v80, v93, v101, s12
	v_cndmask_b32_e64 v93, v94, v105, s10
	v_perm_b32 v94, v79, v74, 0x5040100
	v_cndmask_b32_e64 v79, v92, v102, s13
	v_perm_b32 v92, v95, v112, 0x5040100
	v_cndmask_b32_e64 v95, v99, v96, s6
	v_cndmask_b32_e64 v96, v99, v96, s22
	;; [unrolled: 1-line block ×16, first 2 shown]
	v_lshrrev_b32_e32 v109, 16, v105
	v_cndmask_b32_e64 v95, v95, v101, s21
	v_cndmask_b32_e64 v96, v96, v101, s27
	v_cndmask_b32_e64 v98, v99, v105, s27
	v_cndmask_b32_e64 v99, v100, v105, s21
	v_cndmask_b32_e64 v97, v97, v105, s12
	v_cndmask_b32_e64 v74, v80, v108, s15
	v_lshrrev_b32_e32 v80, 16, v102
	v_cndmask_b32_e64 v113, v93, v109, s11
	v_cndmask_b32_e64 v95, v95, v108, s23
	;; [unrolled: 1-line block ×6, first 2 shown]
	v_perm_b32 v93, v91, v78, 0x5040100
	v_cndmask_b32_e64 v74, v74, v102, s17
	v_cndmask_b32_e64 v78, v79, v80, s16
	;; [unrolled: 1-line block ×3, first 2 shown]
	v_lshrrev_b32_e32 v91, 16, v106
	v_cndmask_b32_e64 v95, v95, v102, s25
	v_cndmask_b32_e64 v96, v96, v102, s30
	;; [unrolled: 1-line block ×7, first 2 shown]
	v_cndmask_b32_e32 v80, v96, v80, vcc_lo
	v_cndmask_b32_e32 v96, v98, v91, vcc_lo
	v_cndmask_b32_e64 v99, v99, v91, s28
	v_cndmask_b32_e64 v100, v97, v91, s19
	;; [unrolled: 1-line block ×3, first 2 shown]
	v_perm_b32 v91, v111, v110, 0x5040100
	v_perm_b32 v98, v96, v80, 0x5040100
	;; [unrolled: 1-line block ×5, first 2 shown]
	s_mul_i32 s9, s37, 9
	s_mov_b32 s4, exec_lo
	ds_store_b128 v77, v[91:94]
	ds_store_b128 v77, v[95:98] offset:1024
	v_cmpx_gt_u32_e32 9, v0
	s_cbranch_execz .LBB526_80
; %bb.79:
	s_mul_i32 s5, s9, s34
	s_load_b128 s[16:19], s[0:1], 0x58
	v_add3_u32 v77, s5, s31, v73
	s_delay_alu instid0(VALU_DEP_1) | instskip(NEXT) | instid1(VALU_DEP_1)
	v_mad_u64_u32 v[73:74], null, v77, s36, s[14:15]
	v_ashrrev_i32_e32 v74, 31, v73
	s_delay_alu instid0(VALU_DEP_1) | instskip(SKIP_1) | instid1(VALU_DEP_1)
	v_lshlrev_b64 v[73:74], 2, v[73:74]
	s_waitcnt lgkmcnt(0)
	v_add_co_u32 v77, vcc_lo, s18, v73
	s_delay_alu instid0(VALU_DEP_2)
	v_add_co_ci_u32_e32 v78, vcc_lo, s19, v74, vcc_lo
	v_add_co_u32 v73, vcc_lo, s16, v73
	v_add_co_ci_u32_e32 v74, vcc_lo, s17, v74, vcc_lo
	global_store_b32 v[77:78], v75, off
	global_store_b32 v[73:74], v76, off
.LBB526_80:
	s_or_b32 exec_lo, exec_lo, s4
	s_waitcnt lgkmcnt(0)
	s_waitcnt_vscnt null, 0x0
	s_barrier
	buffer_gl0_inv
	ds_load_b128 v[91:94], v85
	ds_load_b128 v[95:98], v85 offset:16
	ds_load_b128 v[103:106], v85 offset:1040
	;; [unrolled: 1-line block ×3, first 2 shown]
	v_mov_b32_e32 v73, 0
	ds_load_b128 v[111:114], v85 offset:2064
	ds_load_b128 v[107:110], v85 offset:2048
	;; [unrolled: 1-line block ×6, first 2 shown]
	v_mov_b32_e32 v74, v73
	v_mov_b32_e32 v75, v73
	;; [unrolled: 1-line block ×7, first 2 shown]
	s_waitcnt lgkmcnt(8)
	s_delay_alu instid0(VALU_DEP_1)
	v_wmma_f32_16x16x16_bf16 v[73:80], v[65:72], v[91:98], v[73:80]
	ds_load_b128 v[69:72], v85 offset:5136
	ds_load_b128 v[65:68], v85 offset:5120
	;; [unrolled: 1-line block ×4, first 2 shown]
	s_waitcnt lgkmcnt(10)
	v_wmma_f32_16x16x16_bf16 v[73:80], v[57:64], v[99:106], v[73:80]
	s_waitcnt lgkmcnt(8)
	s_delay_alu instid0(VALU_DEP_1)
	v_wmma_f32_16x16x16_bf16 v[73:80], v[57:64], v[107:114], v[73:80]
	ds_load_b128 v[61:64], v85 offset:7184
	ds_load_b128 v[57:60], v85 offset:7168
	;; [unrolled: 1-line block ×4, first 2 shown]
	s_waitcnt lgkmcnt(10)
	v_wmma_f32_16x16x16_bf16 v[73:80], v[49:56], v[115:122], v[73:80]
	s_waitcnt lgkmcnt(8)
	s_delay_alu instid0(VALU_DEP_1)
	v_wmma_f32_16x16x16_bf16 v[73:80], v[49:56], v[123:130], v[73:80]
	ds_load_b128 v[53:56], v85 offset:9232
	ds_load_b128 v[49:52], v85 offset:9216
	s_waitcnt lgkmcnt(8)
	v_wmma_f32_16x16x16_bf16 v[73:80], v[41:48], v[65:72], v[73:80]
	ds_load_b128 v[69:72], v85 offset:10256
	ds_load_b128 v[65:68], v85 offset:10240
	s_waitcnt lgkmcnt(8)
	;; [unrolled: 4-line block ×3, first 2 shown]
	v_wmma_f32_16x16x16_bf16 v[73:80], v[9:16], v[57:64], v[73:80]
	s_waitcnt lgkmcnt(6)
	s_delay_alu instid0(VALU_DEP_1)
	v_wmma_f32_16x16x16_bf16 v[73:80], v[9:16], v[99:106], v[73:80]
	ds_load_b128 v[13:16], v85 offset:12304
	ds_load_b128 v[9:12], v85 offset:12288
	s_waitcnt lgkmcnt(6)
	v_wmma_f32_16x16x16_bf16 v[73:80], v[1:8], v[49:56], v[73:80]
	ds_load_b128 v[53:56], v85 offset:13328
	ds_load_b128 v[49:52], v85 offset:13312
	s_waitcnt lgkmcnt(6)
	;; [unrolled: 4-line block ×4, first 2 shown]
	v_wmma_f32_16x16x16_bf16 v[73:80], v[33:40], v[9:16], v[73:80]
	s_waitcnt lgkmcnt(4)
	s_delay_alu instid0(VALU_DEP_1) | instskip(SKIP_1) | instid1(VALU_DEP_1)
	v_wmma_f32_16x16x16_bf16 v[73:80], v[25:32], v[49:56], v[73:80]
	s_waitcnt lgkmcnt(2)
	v_wmma_f32_16x16x16_bf16 v[73:80], v[25:32], v[1:8], v[73:80]
	s_waitcnt lgkmcnt(0)
	s_delay_alu instid0(VALU_DEP_1) | instskip(NEXT) | instid1(VALU_DEP_1)
	v_wmma_f32_16x16x16_bf16 v[73:80], v[17:24], v[41:48], v[73:80]
	v_and_b32_e32 v1, 0x7f800000, v73
	s_delay_alu instid0(VALU_DEP_1) | instskip(SKIP_1) | instid1(SALU_CYCLE_1)
	v_cmp_ne_u32_e32 vcc_lo, 0x7f800000, v1
                                        ; implicit-def: $vgpr1
	s_and_saveexec_b32 s4, vcc_lo
	s_xor_b32 s4, exec_lo, s4
; %bb.81:
	v_bfe_u32 v1, v73, 16, 1
	s_delay_alu instid0(VALU_DEP_1)
	v_add3_u32 v1, v73, v1, 0x7fff
; %bb.82:
	s_and_not1_saveexec_b32 s4, s4
; %bb.83:
	v_and_b32_e32 v1, 0xffff, v73
	v_or_b32_e32 v2, 0x10000, v73
	s_delay_alu instid0(VALU_DEP_2) | instskip(NEXT) | instid1(VALU_DEP_2)
	v_cmp_eq_u32_e32 vcc_lo, 0, v1
	v_cndmask_b32_e32 v1, v2, v73, vcc_lo
; %bb.84:
	s_or_b32 exec_lo, exec_lo, s4
	v_and_b32_e32 v2, 0x7f800000, v74
	s_delay_alu instid0(VALU_DEP_1) | instskip(SKIP_1) | instid1(SALU_CYCLE_1)
	v_cmp_ne_u32_e32 vcc_lo, 0x7f800000, v2
                                        ; implicit-def: $vgpr2
	s_and_saveexec_b32 s4, vcc_lo
	s_xor_b32 s4, exec_lo, s4
; %bb.85:
	v_bfe_u32 v2, v74, 16, 1
	s_delay_alu instid0(VALU_DEP_1)
	v_add3_u32 v2, v74, v2, 0x7fff
; %bb.86:
	s_and_not1_saveexec_b32 s4, s4
; %bb.87:
	v_and_b32_e32 v2, 0xffff, v74
	v_or_b32_e32 v3, 0x10000, v74
	s_delay_alu instid0(VALU_DEP_2) | instskip(NEXT) | instid1(VALU_DEP_2)
	v_cmp_eq_u32_e32 vcc_lo, 0, v2
	v_cndmask_b32_e32 v2, v3, v74, vcc_lo
; %bb.88:
	s_or_b32 exec_lo, exec_lo, s4
	v_and_b32_e32 v3, 0x7f800000, v75
	s_delay_alu instid0(VALU_DEP_1) | instskip(SKIP_1) | instid1(SALU_CYCLE_1)
	v_cmp_ne_u32_e32 vcc_lo, 0x7f800000, v3
                                        ; implicit-def: $vgpr3
	s_and_saveexec_b32 s4, vcc_lo
	s_xor_b32 s4, exec_lo, s4
; %bb.89:
	v_bfe_u32 v3, v75, 16, 1
	s_delay_alu instid0(VALU_DEP_1)
	v_add3_u32 v3, v75, v3, 0x7fff
; %bb.90:
	s_and_not1_saveexec_b32 s4, s4
; %bb.91:
	v_and_b32_e32 v3, 0xffff, v75
	v_or_b32_e32 v4, 0x10000, v75
	s_delay_alu instid0(VALU_DEP_2) | instskip(NEXT) | instid1(VALU_DEP_2)
	v_cmp_eq_u32_e32 vcc_lo, 0, v3
	v_cndmask_b32_e32 v3, v4, v75, vcc_lo
; %bb.92:
	s_or_b32 exec_lo, exec_lo, s4
	v_and_b32_e32 v4, 0x7f800000, v76
	s_delay_alu instid0(VALU_DEP_1) | instskip(SKIP_1) | instid1(SALU_CYCLE_1)
	v_cmp_ne_u32_e32 vcc_lo, 0x7f800000, v4
                                        ; implicit-def: $vgpr4
	s_and_saveexec_b32 s4, vcc_lo
	s_xor_b32 s4, exec_lo, s4
; %bb.93:
	v_bfe_u32 v4, v76, 16, 1
	s_delay_alu instid0(VALU_DEP_1)
	v_add3_u32 v4, v76, v4, 0x7fff
; %bb.94:
	s_and_not1_saveexec_b32 s4, s4
; %bb.95:
	v_and_b32_e32 v4, 0xffff, v76
	v_or_b32_e32 v5, 0x10000, v76
	s_delay_alu instid0(VALU_DEP_2) | instskip(NEXT) | instid1(VALU_DEP_2)
	v_cmp_eq_u32_e32 vcc_lo, 0, v4
	v_cndmask_b32_e32 v4, v5, v76, vcc_lo
; %bb.96:
	s_or_b32 exec_lo, exec_lo, s4
	v_and_b32_e32 v5, 0x7f800000, v77
	s_delay_alu instid0(VALU_DEP_1) | instskip(SKIP_1) | instid1(SALU_CYCLE_1)
	v_cmp_ne_u32_e32 vcc_lo, 0x7f800000, v5
                                        ; implicit-def: $vgpr5
	s_and_saveexec_b32 s4, vcc_lo
	s_xor_b32 s4, exec_lo, s4
; %bb.97:
	v_bfe_u32 v5, v77, 16, 1
	s_delay_alu instid0(VALU_DEP_1)
	v_add3_u32 v5, v77, v5, 0x7fff
; %bb.98:
	s_and_not1_saveexec_b32 s4, s4
; %bb.99:
	v_and_b32_e32 v5, 0xffff, v77
	v_or_b32_e32 v6, 0x10000, v77
	s_delay_alu instid0(VALU_DEP_2) | instskip(NEXT) | instid1(VALU_DEP_2)
	v_cmp_eq_u32_e32 vcc_lo, 0, v5
	v_cndmask_b32_e32 v5, v6, v77, vcc_lo
; %bb.100:
	s_or_b32 exec_lo, exec_lo, s4
	v_and_b32_e32 v6, 0x7f800000, v78
	s_delay_alu instid0(VALU_DEP_1) | instskip(SKIP_1) | instid1(SALU_CYCLE_1)
	v_cmp_ne_u32_e32 vcc_lo, 0x7f800000, v6
                                        ; implicit-def: $vgpr6
	s_and_saveexec_b32 s4, vcc_lo
	s_xor_b32 s4, exec_lo, s4
; %bb.101:
	v_bfe_u32 v6, v78, 16, 1
	s_delay_alu instid0(VALU_DEP_1)
	v_add3_u32 v6, v78, v6, 0x7fff
; %bb.102:
	s_and_not1_saveexec_b32 s4, s4
; %bb.103:
	v_and_b32_e32 v6, 0xffff, v78
	v_or_b32_e32 v7, 0x10000, v78
	s_delay_alu instid0(VALU_DEP_2) | instskip(NEXT) | instid1(VALU_DEP_2)
	v_cmp_eq_u32_e32 vcc_lo, 0, v6
	v_cndmask_b32_e32 v6, v7, v78, vcc_lo
; %bb.104:
	s_or_b32 exec_lo, exec_lo, s4
	v_and_b32_e32 v7, 0x7f800000, v79
	s_delay_alu instid0(VALU_DEP_1) | instskip(SKIP_1) | instid1(SALU_CYCLE_1)
	v_cmp_ne_u32_e32 vcc_lo, 0x7f800000, v7
                                        ; implicit-def: $vgpr7
	s_and_saveexec_b32 s4, vcc_lo
	s_xor_b32 s4, exec_lo, s4
; %bb.105:
	v_bfe_u32 v7, v79, 16, 1
	s_delay_alu instid0(VALU_DEP_1)
	v_add3_u32 v7, v79, v7, 0x7fff
; %bb.106:
	s_and_not1_saveexec_b32 s4, s4
; %bb.107:
	v_and_b32_e32 v7, 0xffff, v79
	v_or_b32_e32 v8, 0x10000, v79
	s_delay_alu instid0(VALU_DEP_2) | instskip(NEXT) | instid1(VALU_DEP_2)
	v_cmp_eq_u32_e32 vcc_lo, 0, v7
	v_cndmask_b32_e32 v7, v8, v79, vcc_lo
; %bb.108:
	s_or_b32 exec_lo, exec_lo, s4
	v_and_b32_e32 v8, 0x7f800000, v80
	s_delay_alu instid0(VALU_DEP_1) | instskip(SKIP_1) | instid1(SALU_CYCLE_1)
	v_cmp_ne_u32_e32 vcc_lo, 0x7f800000, v8
                                        ; implicit-def: $vgpr8
	s_and_saveexec_b32 s4, vcc_lo
	s_xor_b32 s4, exec_lo, s4
; %bb.109:
	v_bfe_u32 v8, v80, 16, 1
	s_delay_alu instid0(VALU_DEP_1)
	v_add3_u32 v8, v80, v8, 0x7fff
                                        ; implicit-def: $vgpr73_vgpr74_vgpr75_vgpr76_vgpr77_vgpr78_vgpr79_vgpr80
; %bb.110:
	s_and_not1_saveexec_b32 s4, s4
; %bb.111:
	v_and_b32_e32 v8, 0xffff, v80
	v_or_b32_e32 v9, 0x10000, v80
	s_delay_alu instid0(VALU_DEP_2) | instskip(NEXT) | instid1(VALU_DEP_2)
	v_cmp_eq_u32_e32 vcc_lo, 0, v8
	v_cndmask_b32_e32 v8, v9, v80, vcc_lo
; %bb.112:
	s_or_b32 exec_lo, exec_lo, s4
	s_delay_alu instid0(VALU_DEP_1)
	v_perm_b32 v7, v8, v7, 0x7060302
	v_perm_b32 v6, v6, v5, 0x7060302
	;; [unrolled: 1-line block ×4, first 2 shown]
	v_lshl_or_b32 v9, v83, 4, v90
	s_barrier
	buffer_gl0_inv
	v_cmp_eq_u32_e32 vcc_lo, 1, v87
	ds_store_b128 v9, v[4:7]
	s_waitcnt lgkmcnt(0)
	s_barrier
	buffer_gl0_inv
	ds_load_b128 v[1:4], v90
	ds_load_b128 v[5:8], v90 offset:16
	v_cmp_eq_u32_e64 s5, 2, v87
	v_cmp_eq_u32_e64 s4, 1, v88
	;; [unrolled: 1-line block ×5, first 2 shown]
	s_waitcnt lgkmcnt(1)
	v_lshrrev_b32_e32 v10, 16, v1
	s_waitcnt lgkmcnt(0)
	v_lshrrev_b32_e32 v14, 16, v5
	v_lshrrev_b32_e32 v15, 16, v6
	;; [unrolled: 1-line block ×4, first 2 shown]
	v_cndmask_b32_e64 v20, v1, v10, s4
	v_cndmask_b32_e32 v19, v5, v14, vcc_lo
	v_cndmask_b32_e64 v21, v5, v14, s4
	v_lshrrev_b32_e32 v16, 16, v7
	v_cmp_eq_u32_e64 s4, 1, v86
	v_lshrrev_b32_e32 v13, 16, v4
	v_cndmask_b32_e64 v19, v19, v6, s5
	v_lshrrev_b32_e32 v17, 16, v8
	s_delay_alu instid0(VALU_DEP_4) | instskip(SKIP_1) | instid1(VALU_DEP_4)
	v_cndmask_b32_e64 v22, v1, v10, s4
	v_cndmask_b32_e64 v23, v5, v14, s4
	v_cndmask_b32_e64 v19, v19, v15, s6
	v_cndmask_b32_e32 v18, v1, v10, vcc_lo
	v_cmp_eq_u32_e32 vcc_lo, 2, v88
	v_cmp_eq_u32_e64 s4, 2, v89
	v_cndmask_b32_e64 v22, v22, v2, s8
	v_cndmask_b32_e32 v20, v20, v2, vcc_lo
	v_cndmask_b32_e32 v21, v21, v6, vcc_lo
	v_cmp_eq_u32_e32 vcc_lo, 4, v87
	v_cndmask_b32_e32 v19, v19, v7, vcc_lo
	v_cndmask_b32_e64 v18, v18, v2, s5
	v_cmp_eq_u32_e64 s5, 3, v88
	s_delay_alu instid0(VALU_DEP_2) | instskip(NEXT) | instid1(VALU_DEP_2)
	v_cndmask_b32_e64 v18, v18, v11, s6
	v_cndmask_b32_e64 v21, v21, v15, s5
	v_cmp_eq_u32_e64 s6, 5, v87
	s_delay_alu instid0(VALU_DEP_3) | instskip(SKIP_1) | instid1(VALU_DEP_3)
	v_cndmask_b32_e32 v18, v18, v3, vcc_lo
	v_cmp_eq_u32_e32 vcc_lo, 4, v88
	v_cndmask_b32_e64 v19, v19, v16, s6
	s_delay_alu instid0(VALU_DEP_3) | instskip(SKIP_4) | instid1(VALU_DEP_3)
	v_cndmask_b32_e64 v18, v18, v12, s6
	v_cndmask_b32_e32 v21, v21, v7, vcc_lo
	v_cndmask_b32_e64 v20, v20, v11, s5
	v_cmp_eq_u32_e64 s5, 5, v88
	v_cmp_eq_u32_e64 s6, 6, v87
	v_cndmask_b32_e32 v20, v20, v3, vcc_lo
	s_delay_alu instid0(VALU_DEP_3) | instskip(SKIP_1) | instid1(VALU_DEP_4)
	v_cndmask_b32_e64 v21, v21, v16, s5
	v_cmp_eq_u32_e32 vcc_lo, 6, v88
	v_cndmask_b32_e64 v18, v18, v4, s6
	v_cndmask_b32_e64 v19, v19, v8, s6
	;; [unrolled: 1-line block ×3, first 2 shown]
	v_cmp_eq_u32_e64 s5, 1, v89
	v_cmp_eq_u32_e64 s6, 7, v87
	s_delay_alu instid0(VALU_DEP_3) | instskip(NEXT) | instid1(VALU_DEP_3)
	v_cndmask_b32_e32 v20, v20, v4, vcc_lo
	v_cndmask_b32_e64 v1, v1, v10, s5
	v_cndmask_b32_e64 v5, v5, v14, s5
	v_cmp_eq_u32_e64 s5, 3, v86
	v_cndmask_b32_e64 v14, v23, v6, s8
	v_cmp_eq_u32_e64 s8, 3, v89
	v_cndmask_b32_e64 v1, v1, v2, s4
	v_cndmask_b32_e64 v2, v5, v6, s4
	;; [unrolled: 1-line block ×3, first 2 shown]
	v_cmp_eq_u32_e64 s4, 4, v86
	v_cndmask_b32_e64 v6, v14, v15, s5
	v_cndmask_b32_e64 v1, v1, v11, s8
	v_cmp_eq_u32_e64 s5, 4, v89
	v_cndmask_b32_e64 v2, v2, v15, s8
	v_cndmask_b32_e64 v5, v10, v3, s4
	;; [unrolled: 3-line block ×3, first 2 shown]
	v_cndmask_b32_e64 v2, v2, v7, s5
	v_cmp_eq_u32_e64 s4, 5, v89
	v_cndmask_b32_e64 v5, v5, v12, s8
	v_cmp_eq_u32_e64 s5, 6, v86
	;; [unrolled: 2-line block ×3, first 2 shown]
	v_cndmask_b32_e64 v1, v1, v12, s4
	v_cndmask_b32_e64 v2, v2, v16, s4
	v_cndmask_b32_e64 v5, v5, v4, s5
	v_cndmask_b32_e64 v3, v3, v8, s5
	v_cmp_eq_u32_e64 s4, 7, v89
	v_cndmask_b32_e64 v1, v1, v4, s8
	v_cndmask_b32_e64 v2, v2, v8, s8
	v_cmp_eq_u32_e64 s5, 7, v86
	v_cndmask_b32_e32 v4, v21, v8, vcc_lo
	v_cndmask_b32_e64 v18, v18, v13, s6
	v_cndmask_b32_e64 v20, v20, v13, s7
	;; [unrolled: 1-line block ×8, first 2 shown]
	v_cmp_gt_u32_e32 vcc_lo, 32, v0
	v_perm_b32 v4, v2, v1, 0x5040100
	v_perm_b32 v3, v3, v5, 0x5040100
	;; [unrolled: 1-line block ×4, first 2 shown]
	s_and_b32 s2, vcc_lo, s2
	ds_store_b128 v9, v[1:4]
	s_waitcnt lgkmcnt(0)
	s_barrier
	buffer_gl0_inv
	s_and_saveexec_b32 s4, s2
	s_cbranch_execz .LBB526_2
; %bb.113:
	s_load_b64 s[4:5], s[0:1], 0x68
	v_lshlrev_b32_e32 v0, 10, v0
	v_lshlrev_b32_e32 v1, 4, v84
	s_lshl_b32 s0, s36, 6
	v_add_nc_u32_e32 v2, s31, v83
	s_mul_i32 s1, s0, s34
	s_delay_alu instid0(SALU_CYCLE_1) | instskip(SKIP_1) | instid1(VALU_DEP_2)
	s_mul_i32 s6, s1, s9
	v_and_or_b32 v0, 0x3800, v0, v1
	v_mul_lo_u32 v1, v2, s0
	s_ashr_i32 s7, s6, 31
	v_add_nc_u32_e32 v3, 2, v2
	s_lshl_b64 s[6:7], s[6:7], 1
	v_add_nc_u32_e32 v4, 4, v2
	v_add_nc_u32_e32 v5, 6, v2
	v_lshl_or_b32 v15, v83, 6, v0
	v_mul_lo_u32 v3, v3, s0
	v_ashrrev_i32_e32 v2, 31, v1
	v_mul_lo_u32 v19, v4, s0
	v_mul_lo_u32 v21, v5, s0
	s_waitcnt lgkmcnt(0)
	s_add_u32 s1, s4, s6
	s_addc_u32 s2, s5, s7
	s_lshl_b32 s4, s14, 6
	v_lshlrev_b64 v[5:6], 1, v[1:2]
	s_ashr_i32 s5, s4, 31
	v_ashrrev_i32_e32 v4, 31, v3
	s_lshl_b64 s[4:5], s[4:5], 1
	v_ashrrev_i32_e32 v20, 31, v19
	s_add_u32 s1, s1, s4
	s_addc_u32 s2, s2, s5
	v_add_co_u32 v1, vcc_lo, s1, v81
	v_add_co_ci_u32_e32 v2, vcc_lo, s2, v82, vcc_lo
	v_lshlrev_b64 v[25:26], 1, v[3:4]
	s_delay_alu instid0(VALU_DEP_3) | instskip(NEXT) | instid1(VALU_DEP_3)
	v_add_co_u32 v23, vcc_lo, v1, v5
	v_add_co_ci_u32_e32 v24, vcc_lo, v2, v6, vcc_lo
	ds_load_b128 v[3:6], v15
	ds_load_b128 v[7:10], v15 offset:128
	ds_load_b128 v[11:14], v15 offset:256
	;; [unrolled: 1-line block ×3, first 2 shown]
	v_ashrrev_i32_e32 v22, 31, v21
	v_lshlrev_b64 v[19:20], 1, v[19:20]
	v_add_co_u32 v25, vcc_lo, v1, v25
	v_add_co_ci_u32_e32 v26, vcc_lo, v2, v26, vcc_lo
	s_delay_alu instid0(VALU_DEP_4) | instskip(NEXT) | instid1(VALU_DEP_4)
	v_lshlrev_b64 v[21:22], 1, v[21:22]
	v_add_co_u32 v19, vcc_lo, v1, v19
	v_add_co_ci_u32_e32 v20, vcc_lo, v2, v20, vcc_lo
	s_delay_alu instid0(VALU_DEP_3) | instskip(NEXT) | instid1(VALU_DEP_4)
	v_add_co_u32 v21, vcc_lo, v1, v21
	v_add_co_ci_u32_e32 v22, vcc_lo, v2, v22, vcc_lo
	s_waitcnt lgkmcnt(3)
	global_store_b128 v[23:24], v[3:6], off
	s_waitcnt lgkmcnt(2)
	global_store_b128 v[25:26], v[7:10], off
	;; [unrolled: 2-line block ×4, first 2 shown]
	s_and_b32 exec_lo, exec_lo, s3
	s_cbranch_execz .LBB526_2
; %bb.114:
	ds_load_b128 v[3:6], v0 offset:512
	s_add_i32 s1, s31, 8
	s_delay_alu instid0(SALU_CYCLE_1) | instskip(NEXT) | instid1(SALU_CYCLE_1)
	s_mul_i32 s0, s1, s0
	s_ashr_i32 s1, s0, 31
	s_delay_alu instid0(SALU_CYCLE_1) | instskip(NEXT) | instid1(SALU_CYCLE_1)
	s_lshl_b64 s[0:1], s[0:1], 1
	v_add_co_u32 v0, vcc_lo, v1, s0
	v_add_co_ci_u32_e32 v1, vcc_lo, s1, v2, vcc_lo
	s_waitcnt lgkmcnt(0)
	global_store_b128 v[0:1], v[3:6], off
	s_nop 0
	s_sendmsg sendmsg(MSG_DEALLOC_VGPRS)
	s_endpgm
	.section	.rodata,"a",@progbits
	.p2align	6, 0x0
	.amdhsa_kernel _Z39paged_attention_ll4mi_QKV_mfma16_kernelI14__hip_bfloat16S0_LN4vllm18Fp8KVCacheDataTypeE0EhLi32ELi64ELi256ELb0ELi9EL8MFMAType0EEvPKT_PKT0_S9_ifPKiSB_SB_iPKfiiiPfSE_PS4_PT2_iSD_SD_
		.amdhsa_group_segment_fixed_size 17472
		.amdhsa_private_segment_fixed_size 0
		.amdhsa_kernarg_size 400
		.amdhsa_user_sgpr_count 13
		.amdhsa_user_sgpr_dispatch_ptr 0
		.amdhsa_user_sgpr_queue_ptr 0
		.amdhsa_user_sgpr_kernarg_segment_ptr 1
		.amdhsa_user_sgpr_dispatch_id 0
		.amdhsa_user_sgpr_private_segment_size 0
		.amdhsa_wavefront_size32 1
		.amdhsa_uses_dynamic_stack 0
		.amdhsa_enable_private_segment 0
		.amdhsa_system_sgpr_workgroup_id_x 1
		.amdhsa_system_sgpr_workgroup_id_y 1
		.amdhsa_system_sgpr_workgroup_id_z 1
		.amdhsa_system_sgpr_workgroup_info 0
		.amdhsa_system_vgpr_workitem_id 0
		.amdhsa_next_free_vgpr 142
		.amdhsa_next_free_sgpr 39
		.amdhsa_reserve_vcc 1
		.amdhsa_float_round_mode_32 0
		.amdhsa_float_round_mode_16_64 0
		.amdhsa_float_denorm_mode_32 3
		.amdhsa_float_denorm_mode_16_64 3
		.amdhsa_dx10_clamp 1
		.amdhsa_ieee_mode 1
		.amdhsa_fp16_overflow 0
		.amdhsa_workgroup_processor_mode 1
		.amdhsa_memory_ordered 1
		.amdhsa_forward_progress 0
		.amdhsa_shared_vgpr_count 0
		.amdhsa_exception_fp_ieee_invalid_op 0
		.amdhsa_exception_fp_denorm_src 0
		.amdhsa_exception_fp_ieee_div_zero 0
		.amdhsa_exception_fp_ieee_overflow 0
		.amdhsa_exception_fp_ieee_underflow 0
		.amdhsa_exception_fp_ieee_inexact 0
		.amdhsa_exception_int_div_zero 0
	.end_amdhsa_kernel
	.section	.text._Z39paged_attention_ll4mi_QKV_mfma16_kernelI14__hip_bfloat16S0_LN4vllm18Fp8KVCacheDataTypeE0EhLi32ELi64ELi256ELb0ELi9EL8MFMAType0EEvPKT_PKT0_S9_ifPKiSB_SB_iPKfiiiPfSE_PS4_PT2_iSD_SD_,"axG",@progbits,_Z39paged_attention_ll4mi_QKV_mfma16_kernelI14__hip_bfloat16S0_LN4vllm18Fp8KVCacheDataTypeE0EhLi32ELi64ELi256ELb0ELi9EL8MFMAType0EEvPKT_PKT0_S9_ifPKiSB_SB_iPKfiiiPfSE_PS4_PT2_iSD_SD_,comdat
.Lfunc_end526:
	.size	_Z39paged_attention_ll4mi_QKV_mfma16_kernelI14__hip_bfloat16S0_LN4vllm18Fp8KVCacheDataTypeE0EhLi32ELi64ELi256ELb0ELi9EL8MFMAType0EEvPKT_PKT0_S9_ifPKiSB_SB_iPKfiiiPfSE_PS4_PT2_iSD_SD_, .Lfunc_end526-_Z39paged_attention_ll4mi_QKV_mfma16_kernelI14__hip_bfloat16S0_LN4vllm18Fp8KVCacheDataTypeE0EhLi32ELi64ELi256ELb0ELi9EL8MFMAType0EEvPKT_PKT0_S9_ifPKiSB_SB_iPKfiiiPfSE_PS4_PT2_iSD_SD_
                                        ; -- End function
	.section	.AMDGPU.csdata,"",@progbits
; Kernel info:
; codeLenInByte = 9472
; NumSgprs: 41
; NumVgprs: 142
; ScratchSize: 0
; MemoryBound: 0
; FloatMode: 240
; IeeeMode: 1
; LDSByteSize: 17472 bytes/workgroup (compile time only)
; SGPRBlocks: 5
; VGPRBlocks: 17
; NumSGPRsForWavesPerEU: 41
; NumVGPRsForWavesPerEU: 142
; Occupancy: 10
; WaveLimiterHint : 1
; COMPUTE_PGM_RSRC2:SCRATCH_EN: 0
; COMPUTE_PGM_RSRC2:USER_SGPR: 13
; COMPUTE_PGM_RSRC2:TRAP_HANDLER: 0
; COMPUTE_PGM_RSRC2:TGID_X_EN: 1
; COMPUTE_PGM_RSRC2:TGID_Y_EN: 1
; COMPUTE_PGM_RSRC2:TGID_Z_EN: 1
; COMPUTE_PGM_RSRC2:TIDIG_COMP_CNT: 0
	.section	.text._Z39paged_attention_ll4mi_QKV_mfma16_kernelI14__hip_bfloat16S0_LN4vllm18Fp8KVCacheDataTypeE0EhLi32ELi64ELi256ELb0ELi10EL8MFMAType0EEvPKT_PKT0_S9_ifPKiSB_SB_iPKfiiiPfSE_PS4_PT2_iSD_SD_,"axG",@progbits,_Z39paged_attention_ll4mi_QKV_mfma16_kernelI14__hip_bfloat16S0_LN4vllm18Fp8KVCacheDataTypeE0EhLi32ELi64ELi256ELb0ELi10EL8MFMAType0EEvPKT_PKT0_S9_ifPKiSB_SB_iPKfiiiPfSE_PS4_PT2_iSD_SD_,comdat
	.protected	_Z39paged_attention_ll4mi_QKV_mfma16_kernelI14__hip_bfloat16S0_LN4vllm18Fp8KVCacheDataTypeE0EhLi32ELi64ELi256ELb0ELi10EL8MFMAType0EEvPKT_PKT0_S9_ifPKiSB_SB_iPKfiiiPfSE_PS4_PT2_iSD_SD_ ; -- Begin function _Z39paged_attention_ll4mi_QKV_mfma16_kernelI14__hip_bfloat16S0_LN4vllm18Fp8KVCacheDataTypeE0EhLi32ELi64ELi256ELb0ELi10EL8MFMAType0EEvPKT_PKT0_S9_ifPKiSB_SB_iPKfiiiPfSE_PS4_PT2_iSD_SD_
	.globl	_Z39paged_attention_ll4mi_QKV_mfma16_kernelI14__hip_bfloat16S0_LN4vllm18Fp8KVCacheDataTypeE0EhLi32ELi64ELi256ELb0ELi10EL8MFMAType0EEvPKT_PKT0_S9_ifPKiSB_SB_iPKfiiiPfSE_PS4_PT2_iSD_SD_
	.p2align	8
	.type	_Z39paged_attention_ll4mi_QKV_mfma16_kernelI14__hip_bfloat16S0_LN4vllm18Fp8KVCacheDataTypeE0EhLi32ELi64ELi256ELb0ELi10EL8MFMAType0EEvPKT_PKT0_S9_ifPKiSB_SB_iPKfiiiPfSE_PS4_PT2_iSD_SD_,@function
_Z39paged_attention_ll4mi_QKV_mfma16_kernelI14__hip_bfloat16S0_LN4vllm18Fp8KVCacheDataTypeE0EhLi32ELi64ELi256ELb0ELi10EL8MFMAType0EEvPKT_PKT0_S9_ifPKiSB_SB_iPKfiiiPfSE_PS4_PT2_iSD_SD_: ; @_Z39paged_attention_ll4mi_QKV_mfma16_kernelI14__hip_bfloat16S0_LN4vllm18Fp8KVCacheDataTypeE0EhLi32ELi64ELi256ELb0ELi10EL8MFMAType0EEvPKT_PKT0_S9_ifPKiSB_SB_iPKfiiiPfSE_PS4_PT2_iSD_SD_
; %bb.0:
	s_load_b64 s[2:3], s[0:1], 0x30
	s_mov_b32 s30, s13
	s_waitcnt lgkmcnt(0)
	s_cmp_lg_u64 s[2:3], 0
	s_cselect_b32 s6, -1, 0
	s_ashr_i32 s31, s13, 31
	s_cmp_eq_u64 s[2:3], 0
	s_cbranch_scc1 .LBB527_3
; %bb.1:
	s_lshl_b64 s[4:5], s[30:31], 2
	s_delay_alu instid0(SALU_CYCLE_1) | instskip(SKIP_4) | instid1(SALU_CYCLE_1)
	s_add_u32 s4, s2, s4
	s_addc_u32 s5, s3, s5
	s_load_b64 s[4:5], s[4:5], 0x0
	s_waitcnt lgkmcnt(0)
	s_sub_i32 s4, s5, s4
	s_cmp_eq_u32 s4, 1
	s_cselect_b32 s4, -1, 0
	s_delay_alu instid0(SALU_CYCLE_1)
	s_and_not1_b32 vcc_lo, exec_lo, s4
	s_cbranch_vccz .LBB527_4
.LBB527_2:
	s_endpgm
.LBB527_3:
.LBB527_4:
	s_load_b64 s[8:9], s[0:1], 0x28
	s_lshl_b64 s[4:5], s[30:31], 2
	s_waitcnt lgkmcnt(0)
	s_add_u32 s8, s8, s4
	s_addc_u32 s9, s9, s5
	s_lshl_b32 s16, s14, 8
	s_load_b32 s18, s[8:9], 0x0
	s_waitcnt lgkmcnt(0)
	s_cmp_ge_i32 s16, s18
	s_cbranch_scc1 .LBB527_2
; %bb.5:
	s_and_not1_b32 vcc_lo, exec_lo, s6
	s_cbranch_vccnz .LBB527_7
; %bb.6:
	s_add_u32 s2, s2, s4
	s_addc_u32 s3, s3, s5
	s_load_b32 s17, s[2:3], 0x0
	s_branch .LBB527_8
.LBB527_7:
	s_mov_b32 s17, s30
.LBB527_8:
	s_clause 0x2
	s_load_b128 s[8:11], s[0:1], 0x8
	s_load_b64 s[12:13], s[0:1], 0x20
	s_load_b128 s[4:7], s[0:1], 0x48
	v_and_b32_e32 v73, 15, v0
	v_cmp_lt_u32_e32 vcc_lo, 0x9f, v0
	s_delay_alu instid0(VALU_DEP_2) | instskip(SKIP_2) | instid1(VALU_DEP_3)
	v_cmp_lt_u32_e64 s3, 7, v73
	v_lshlrev_b32_e32 v1, 3, v73
	v_cmp_gt_u32_e64 s2, 8, v73
	s_or_b32 s3, vcc_lo, s3
	s_waitcnt lgkmcnt(0)
	s_and_saveexec_b32 s7, s3
	s_delay_alu instid0(SALU_CYCLE_1)
	s_xor_b32 s3, exec_lo, s7
; %bb.9:
	v_mov_b32_e32 v2, 0
; %bb.10:
	s_or_saveexec_b32 s3, s3
	v_lshrrev_b32_e32 v74, 5, v0
	v_and_b32_e32 v75, 31, v0
	v_and_b32_e32 v84, 1, v0
	v_bfe_u32 v83, v0, 4, 1
	s_mul_i32 s31, s15, 10
	s_xor_b32 exec_lo, exec_lo, s3
	s_cbranch_execz .LBB527_12
; %bb.11:
	s_load_b64 s[20:21], s[0:1], 0x0
	v_lshl_or_b32 v7, v74, 1, v83
	s_mul_hi_i32 s23, s17, s4
	s_mul_i32 s22, s17, s4
	v_lshlrev_b32_e32 v4, 1, v1
	s_lshl_b64 s[22:23], s[22:23], 1
	v_add_lshl_u32 v2, v7, s31, 6
	v_lshlrev_b32_e32 v7, 6, v7
	v_lshlrev_b32_e32 v8, 10, v84
	s_delay_alu instid0(VALU_DEP_3) | instskip(NEXT) | instid1(VALU_DEP_1)
	v_ashrrev_i32_e32 v3, 31, v2
	v_lshlrev_b64 v[2:3], 1, v[2:3]
	s_waitcnt lgkmcnt(0)
	s_add_u32 s4, s20, s22
	s_addc_u32 s7, s21, s23
	s_delay_alu instid0(VALU_DEP_1) | instskip(NEXT) | instid1(VALU_DEP_2)
	v_add_co_u32 v2, vcc_lo, s4, v2
	v_add_co_ci_u32_e32 v3, vcc_lo, s7, v3, vcc_lo
	s_delay_alu instid0(VALU_DEP_2) | instskip(NEXT) | instid1(VALU_DEP_2)
	v_add_co_u32 v2, vcc_lo, v2, v4
	v_add_co_ci_u32_e32 v3, vcc_lo, 0, v3, vcc_lo
	global_load_b128 v[3:6], v[2:3], off
	v_lshlrev_b32_e32 v2, 10, v73
	s_delay_alu instid0(VALU_DEP_1) | instskip(NEXT) | instid1(VALU_DEP_1)
	v_and_b32_e32 v2, 0x3800, v2
	v_or3_b32 v7, v2, v8, v7
	v_mov_b32_e32 v2, 0
	s_waitcnt vmcnt(0)
	ds_store_b128 v7, v[3:6]
.LBB527_12:
	s_or_b32 exec_lo, exec_lo, s3
	v_and_b32_e32 v3, 0xef, v0
	s_add_i32 s3, s18, 31
	s_clause 0x1
	s_load_b32 s4, s[0:1], 0x38
	s_load_b32 s19, s[0:1], 0x1c
	s_ashr_i32 s7, s3, 31
	v_add_nc_u32_e32 v3, s16, v3
	s_lshr_b32 s7, s7, 27
	s_waitcnt lgkmcnt(0)
	s_add_i32 s3, s3, s7
	s_barrier
	v_ashrrev_i32_e32 v4, 31, v3
	v_cmp_gt_i32_e32 vcc_lo, s18, v3
	s_ashr_i32 s3, s3, 5
	buffer_gl0_inv
	s_add_i32 s3, s3, -1
	v_lshrrev_b32_e32 v5, 27, v4
	v_or_b32_e32 v4, 16, v3
	s_mul_i32 s6, s15, s6
	v_lshlrev_b64 v[81:82], 1, v[1:2]
	s_delay_alu instid0(VALU_DEP_3) | instskip(NEXT) | instid1(VALU_DEP_3)
	v_add_nc_u32_e32 v6, v3, v5
	v_add_nc_u32_e32 v5, v4, v5
	s_mul_i32 s20, s30, s4
	s_delay_alu instid0(SALU_CYCLE_1) | instskip(NEXT) | instid1(VALU_DEP_2)
	s_ashr_i32 s21, s20, 31
	v_ashrrev_i32_e32 v6, 5, v6
	s_delay_alu instid0(VALU_DEP_2) | instskip(SKIP_1) | instid1(SALU_CYCLE_1)
	v_ashrrev_i32_e32 v5, 5, v5
	s_lshl_b64 s[20:21], s[20:21], 2
	s_add_u32 s4, s12, s20
	s_delay_alu instid0(VALU_DEP_2) | instskip(SKIP_3) | instid1(SALU_CYCLE_1)
	v_cndmask_b32_e32 v3, s3, v6, vcc_lo
	v_cmp_gt_i32_e32 vcc_lo, s18, v4
	s_addc_u32 s17, s13, s21
	s_ashr_i32 s7, s6, 31
	s_lshl_b64 s[6:7], s[6:7], 1
	v_cndmask_b32_e32 v5, s3, v5, vcc_lo
	v_ashrrev_i32_e32 v4, 31, v3
	s_add_u32 s15, s8, s6
	s_addc_u32 s28, s9, s7
	s_lshl_b32 s8, s14, 3
	v_ashrrev_i32_e32 v6, 31, v5
	v_lshlrev_b64 v[3:4], 2, v[3:4]
	s_ashr_i32 s9, s8, 31
	s_delay_alu instid0(SALU_CYCLE_1) | instskip(NEXT) | instid1(VALU_DEP_2)
	s_lshl_b64 s[8:9], s[8:9], 2
	v_lshlrev_b64 v[5:6], 2, v[5:6]
	s_add_u32 s8, s4, s8
	s_delay_alu instid0(VALU_DEP_2) | instskip(SKIP_1) | instid1(VALU_DEP_3)
	v_add_co_u32 v3, vcc_lo, s4, v3
	v_add_co_ci_u32_e32 v4, vcc_lo, s17, v4, vcc_lo
	v_add_co_u32 v5, vcc_lo, s4, v5
	s_delay_alu instid0(VALU_DEP_4)
	v_add_co_ci_u32_e32 v6, vcc_lo, s17, v6, vcc_lo
	s_addc_u32 s9, s17, s9
	s_clause 0x1
	global_load_b32 v7, v[3:4], off
	global_load_b32 v8, v[5:6], off
	s_or_b32 s12, s16, 32
	s_delay_alu instid0(SALU_CYCLE_1) | instskip(SKIP_2) | instid1(SALU_CYCLE_1)
	s_ashr_i32 s13, s12, 5
	s_cmp_lt_i32 s12, s18
	s_cselect_b32 s12, s13, s3
	s_ashr_i32 s13, s12, 31
	s_delay_alu instid0(SALU_CYCLE_1) | instskip(NEXT) | instid1(SALU_CYCLE_1)
	s_lshl_b64 s[12:13], s[12:13], 2
	s_add_u32 s12, s4, s12
	s_addc_u32 s13, s17, s13
	s_or_b32 s20, s16, 64
	s_delay_alu instid0(SALU_CYCLE_1) | instskip(SKIP_2) | instid1(SALU_CYCLE_1)
	s_ashr_i32 s21, s20, 5
	s_cmp_lt_i32 s20, s18
	s_cselect_b32 s20, s21, s3
	s_ashr_i32 s21, s20, 31
	s_delay_alu instid0(SALU_CYCLE_1) | instskip(NEXT) | instid1(SALU_CYCLE_1)
	s_lshl_b64 s[20:21], s[20:21], 2
	s_add_u32 s20, s4, s20
	s_addc_u32 s21, s17, s21
	;; [unrolled: 10-line block ×5, first 2 shown]
	s_clause 0x5
	s_load_b32 s29, s[8:9], 0x0
	s_load_b32 s33, s[12:13], 0x0
	;; [unrolled: 1-line block ×6, first 2 shown]
	s_mov_b32 s20, 0
	s_or_b32 s8, s16, 0xc0
	s_mov_b32 s21, s20
	s_mov_b32 s22, s20
	;; [unrolled: 1-line block ×7, first 2 shown]
	s_ashr_i32 s9, s8, 5
	v_mov_b32_e32 v117, s27
	s_cmp_lt_i32 s8, s18
	v_mov_b32_e32 v116, s26
	s_cselect_b32 s8, s9, s3
	v_mov_b32_e32 v115, s25
	s_ashr_i32 s9, s8, 31
	v_dual_mov_b32 v114, s24 :: v_dual_mov_b32 v113, s23
	v_dual_mov_b32 v112, s22 :: v_dual_mov_b32 v111, s21
	s_lshl_b64 s[8:9], s[8:9], 2
	s_waitcnt lgkmcnt(0)
	s_mul_hi_i32 s13, s29, s5
	s_add_u32 s8, s4, s8
	s_addc_u32 s9, s17, s9
	s_mul_i32 s12, s29, s5
	v_mov_b32_e32 v110, s20
	s_mul_hi_i32 s21, s33, s5
	s_mul_i32 s20, s33, s5
	s_mul_hi_i32 s25, s34, s5
	s_mul_i32 s24, s34, s5
	;; [unrolled: 2-line block ×4, first 2 shown]
	s_waitcnt vmcnt(1)
	v_mad_i64_i32 v[3:4], null, v7, s5, 0
	s_waitcnt vmcnt(0)
	v_mad_i64_i32 v[5:6], null, v8, s5, 0
	s_delay_alu instid0(VALU_DEP_2) | instskip(NEXT) | instid1(VALU_DEP_2)
	v_lshlrev_b64 v[3:4], 1, v[3:4]
	v_lshlrev_b64 v[1:2], 1, v[5:6]
	s_delay_alu instid0(VALU_DEP_2) | instskip(NEXT) | instid1(VALU_DEP_3)
	v_add_co_u32 v3, vcc_lo, s15, v3
	v_add_co_ci_u32_e32 v4, vcc_lo, s28, v4, vcc_lo
	s_delay_alu instid0(VALU_DEP_3) | instskip(NEXT) | instid1(VALU_DEP_4)
	v_add_co_u32 v1, vcc_lo, s15, v1
	v_add_co_ci_u32_e32 v2, vcc_lo, s28, v2, vcc_lo
	s_delay_alu instid0(VALU_DEP_4) | instskip(NEXT) | instid1(VALU_DEP_4)
	v_add_co_u32 v41, vcc_lo, v3, v81
	v_add_co_ci_u32_e32 v42, vcc_lo, v4, v82, vcc_lo
	s_delay_alu instid0(VALU_DEP_4) | instskip(NEXT) | instid1(VALU_DEP_4)
	v_add_co_u32 v43, vcc_lo, v1, v81
	v_add_co_ci_u32_e32 v44, vcc_lo, v2, v82, vcc_lo
	s_clause 0xf
	global_load_b128 v[1:4], v[41:42], off
	global_load_b128 v[5:8], v[41:42], off offset:512
	global_load_b128 v[9:12], v[43:44], off offset:256
	;; [unrolled: 1-line block ×15, first 2 shown]
	v_add_nc_u32_e32 v41, -10, v73
	v_cmp_gt_u32_e32 vcc_lo, 10, v73
	s_or_b32 s15, s16, 0xe0
	s_delay_alu instid0(SALU_CYCLE_1) | instskip(SKIP_3) | instid1(SALU_CYCLE_1)
	s_ashr_i32 s22, s15, 5
	s_cmp_lt_i32 s15, s18
	v_cndmask_b32_e32 v41, v41, v73, vcc_lo
	s_cselect_b32 s22, s22, s3
	s_ashr_i32 s23, s22, 31
	s_delay_alu instid0(VALU_DEP_1)
	v_lshlrev_b32_e32 v57, 6, v41
	ds_load_b128 v[41:44], v57
	ds_load_b128 v[45:48], v57 offset:1024
	ds_load_b128 v[49:52], v57 offset:2048
	;; [unrolled: 1-line block ×7, first 2 shown]
	s_lshl_b64 s[22:23], s[22:23], 2
	s_delay_alu instid0(SALU_CYCLE_1) | instskip(SKIP_2) | instid1(SALU_CYCLE_1)
	s_add_u32 s22, s4, s22
	s_addc_u32 s23, s17, s23
	s_add_i32 s15, s16, 0x100
	s_ashr_i32 s28, s15, 5
	s_cmp_lt_i32 s15, s18
	s_load_b32 s15, s[8:9], 0x0
	s_cselect_b32 s28, s28, s3
	s_mul_hi_i32 s9, s36, s5
	s_ashr_i32 s29, s28, 31
	s_mul_i32 s8, s36, s5
	s_lshl_b64 s[28:29], s[28:29], 2
	s_delay_alu instid0(SALU_CYCLE_1)
	s_add_u32 s28, s4, s28
	s_addc_u32 s29, s17, s29
	s_add_u32 s3, s10, s6
	s_clause 0x1
	s_load_b32 s4, s[22:23], 0x0
	s_load_b32 s17, s[28:29], 0x0
	s_addc_u32 s28, s11, s7
	s_lshl_b64 s[6:7], s[12:13], 1
	s_lshl_b64 s[10:11], s[20:21], 1
	;; [unrolled: 1-line block ×6, first 2 shown]
	s_waitcnt lgkmcnt(0)
	s_mul_hi_i32 s25, s15, s5
	s_mul_i32 s24, s15, s5
	s_waitcnt vmcnt(14)
	v_wmma_f32_16x16x16_bf16 v[134:141], v[1:8], v[41:48], v[110:117]
	s_waitcnt vmcnt(10)
	s_delay_alu instid0(VALU_DEP_1) | instskip(SKIP_1) | instid1(VALU_DEP_1)
	v_wmma_f32_16x16x16_bf16 v[134:141], v[17:24], v[49:56], v[134:141]
	s_waitcnt vmcnt(6)
	v_wmma_f32_16x16x16_bf16 v[134:141], v[33:40], v[118:125], v[134:141]
	s_waitcnt vmcnt(2)
	s_delay_alu instid0(VALU_DEP_1) | instskip(SKIP_1) | instid1(VALU_DEP_2)
	v_wmma_f32_16x16x16_bf16 v[134:141], v[94:101], v[126:133], v[134:141]
	v_lshlrev_b32_e32 v85, 6, v73
	v_mul_f32_e32 v100, s19, v141
	s_delay_alu instid0(VALU_DEP_2) | instskip(SKIP_2) | instid1(VALU_DEP_3)
	v_lshl_or_b32 v58, v74, 10, v85
	v_wmma_f32_16x16x16_bf16 v[110:117], v[9:16], v[41:48], v[110:117]
	v_mul_f32_e32 v99, s19, v135
	v_add_co_u32 v76, s3, s3, v58
	s_delay_alu instid0(VALU_DEP_1) | instskip(NEXT) | instid1(VALU_DEP_4)
	v_add_co_ci_u32_e64 v77, null, s28, 0, s3
	v_wmma_f32_16x16x16_bf16 v[110:117], v[25:32], v[49:56], v[110:117]
	s_delay_alu instid0(VALU_DEP_3) | instskip(NEXT) | instid1(VALU_DEP_3)
	v_add_co_u32 v57, vcc_lo, v76, s6
	v_add_co_ci_u32_e32 v58, vcc_lo, s7, v77, vcc_lo
	v_add_co_u32 v1, vcc_lo, v76, s10
	v_add_co_ci_u32_e32 v2, vcc_lo, s11, v77, vcc_lo
	;; [unrolled: 2-line block ×5, first 2 shown]
	s_clause 0x9
	global_load_b128 v[65:68], v[57:58], off
	global_load_b128 v[69:72], v[57:58], off offset:16
	global_load_b128 v[57:60], v[1:2], off
	global_load_b128 v[61:64], v[1:2], off offset:16
	;; [unrolled: 2-line block ×5, first 2 shown]
	v_add_co_u32 v5, vcc_lo, v76, s22
	s_lshl_b64 s[6:7], s[24:25], 1
	v_add_co_ci_u32_e32 v6, vcc_lo, s23, v77, vcc_lo
	s_mul_hi_i32 s9, s4, s5
	s_mul_i32 s8, s4, s5
	v_add_co_u32 v17, vcc_lo, v76, s6
	v_add_co_ci_u32_e32 v18, vcc_lo, s7, v77, vcc_lo
	s_lshl_b64 s[6:7], s[8:9], 1
	s_mul_hi_i32 s9, s17, s5
	s_mul_i32 s8, s17, s5
	v_add_co_u32 v19, vcc_lo, v76, s6
	s_lshl_b64 s[4:5], s[8:9], 1
	v_add_co_ci_u32_e32 v20, vcc_lo, s7, v77, vcc_lo
	v_add_co_u32 v21, vcc_lo, v76, s4
	v_add_co_ci_u32_e32 v22, vcc_lo, s5, v77, vcc_lo
	s_clause 0x7
	global_load_b128 v[1:4], v[5:6], off
	global_load_b128 v[5:8], v[5:6], off offset:16
	global_load_b128 v[33:36], v[17:18], off
	global_load_b128 v[37:40], v[17:18], off offset:16
	;; [unrolled: 2-line block ×4, first 2 shown]
	v_and_b32_e32 v76, 0xe0, v0
	v_mbcnt_lo_u32_b32 v77, -1, 0
	v_wmma_f32_16x16x16_bf16 v[110:117], v[86:93], v[118:125], v[110:117]
	s_waitcnt vmcnt(0)
	s_barrier
	v_add_nc_u32_e32 v76, s16, v76
	v_xor_b32_e32 v78, 16, v77
	v_wmma_f32_16x16x16_bf16 v[110:117], v[102:109], v[126:133], v[110:117]
	v_mul_f32_e32 v97, s19, v134
	buffer_gl0_inv
	v_or_b32_e32 v76, v76, v83
	v_cmp_gt_i32_e32 vcc_lo, 32, v78
	s_delay_alu instid0(VALU_DEP_2)
	v_or_b32_e32 v79, 4, v76
	v_cndmask_b32_e32 v77, v77, v78, vcc_lo
	v_or_b32_e32 v78, 2, v76
	v_or_b32_e32 v80, 6, v76
	v_cmp_gt_i32_e32 vcc_lo, s18, v76
	v_or_b32_e32 v86, 8, v76
	v_or_b32_e32 v87, 10, v76
	v_cmp_gt_i32_e64 s3, s18, v78
	v_or_b32_e32 v88, 12, v76
	v_or_b32_e32 v89, 14, v76
	;; [unrolled: 1-line block ×10, first 2 shown]
	v_cndmask_b32_e32 v76, 0xff7fffff, v97, vcc_lo
	v_cndmask_b32_e64 v78, 0xff7fffff, v99, s3
	v_mul_f32_e32 v99, s19, v137
	v_cmp_gt_i32_e64 s4, s18, v80
	v_mul_f32_e32 v80, s19, v136
	v_cmp_gt_i32_e64 s5, s18, v79
	v_max3_f32 v76, v76, 0xff7fffff, v78
	v_dual_mul_f32 v78, s19, v138 :: v_dual_mul_f32 v79, s19, v139
	v_cndmask_b32_e64 v99, 0xff7fffff, v99, s4
	s_delay_alu instid0(VALU_DEP_4)
	v_cndmask_b32_e64 v80, 0xff7fffff, v80, s5
	v_cmp_gt_i32_e64 s6, s18, v86
	v_cmp_gt_i32_e64 s7, s18, v87
	v_mul_f32_e32 v97, s19, v140
	v_cmp_gt_i32_e64 s8, s18, v89
	v_max3_f32 v76, v76, v80, v99
	v_cndmask_b32_e64 v78, 0xff7fffff, v78, s6
	v_cndmask_b32_e64 v79, 0xff7fffff, v79, s7
	v_cmp_gt_i32_e64 s9, s18, v88
	v_dual_mul_f32 v88, s19, v111 :: v_dual_mul_f32 v89, s19, v110
	v_cndmask_b32_e64 v100, 0xff7fffff, v100, s8
	s_delay_alu instid0(VALU_DEP_4) | instskip(NEXT) | instid1(VALU_DEP_4)
	v_max3_f32 v76, v76, v78, v79
	v_cndmask_b32_e64 v97, 0xff7fffff, v97, s9
	v_cmp_gt_i32_e64 s10, s18, v90
	v_cmp_gt_i32_e64 s11, s18, v91
	v_dual_mul_f32 v78, s19, v113 :: v_dual_mul_f32 v79, s19, v112
	s_delay_alu instid0(VALU_DEP_4) | instskip(NEXT) | instid1(VALU_DEP_4)
	v_max3_f32 v76, v76, v97, v100
	v_cndmask_b32_e64 v89, 0xff7fffff, v89, s10
	s_delay_alu instid0(VALU_DEP_4)
	v_cndmask_b32_e64 v88, 0xff7fffff, v88, s11
	v_cmp_gt_i32_e64 s12, s18, v92
	v_cmp_gt_i32_e64 s13, s18, v93
	v_mul_f32_e32 v87, s19, v115
	v_mul_f32_e32 v99, s19, v114
	v_max3_f32 v76, v76, v89, v88
	v_cndmask_b32_e64 v79, 0xff7fffff, v79, s12
	v_cndmask_b32_e64 v78, 0xff7fffff, v78, s13
	v_cmp_gt_i32_e64 s15, s18, v94
	v_cmp_gt_i32_e64 s16, s18, v95
	v_mul_f32_e32 v80, s19, v117
	v_mul_f32_e32 v86, s19, v116
	v_max3_f32 v76, v76, v79, v78
	v_cndmask_b32_e64 v88, 0xff7fffff, v99, s15
	v_cndmask_b32_e64 v87, 0xff7fffff, v87, s16
	v_cmp_gt_i32_e64 s17, s18, v96
	v_cmp_gt_i32_e64 s18, s18, v98
	v_lshlrev_b32_e32 v99, 2, v77
	s_delay_alu instid0(VALU_DEP_4) | instskip(NEXT) | instid1(VALU_DEP_4)
	v_max3_f32 v76, v76, v88, v87
	v_cndmask_b32_e64 v78, 0xff7fffff, v86, s17
	s_delay_alu instid0(VALU_DEP_4) | instskip(NEXT) | instid1(VALU_DEP_1)
	v_cndmask_b32_e64 v79, 0xff7fffff, v80, s18
	v_max3_f32 v76, v76, v78, v79
	ds_bpermute_b32 v77, v99, v76
	s_waitcnt lgkmcnt(0)
	v_max_f32_e32 v77, v77, v77
	s_delay_alu instid0(VALU_DEP_1) | instskip(NEXT) | instid1(VALU_DEP_1)
	v_max_f32_e32 v76, v76, v77
	v_fma_f32 v77, s19, v134, -v76
	v_fma_f32 v78, s19, v135, -v76
	;; [unrolled: 1-line block ×5, first 2 shown]
	s_delay_alu instid0(VALU_DEP_4) | instskip(SKIP_1) | instid1(VALU_DEP_4)
	v_dual_mul_f32 v77, 0x3fb8aa3b, v77 :: v_dual_mul_f32 v78, 0x3fb8aa3b, v78
	v_fma_f32 v88, s19, v114, -v76
	v_dual_mul_f32 v79, 0x3fb8aa3b, v79 :: v_dual_mul_f32 v80, 0x3fb8aa3b, v80
	s_delay_alu instid0(VALU_DEP_3) | instskip(NEXT) | instid1(VALU_DEP_3)
	v_exp_f32_e32 v77, v77
	v_exp_f32_e32 v78, v78
	s_delay_alu instid0(VALU_DEP_2) | instskip(NEXT) | instid1(VALU_DEP_2)
	v_mul_f32_e32 v88, 0x3fb8aa3b, v88
	v_exp_f32_e32 v79, v79
	v_mul_f32_e32 v86, 0x3fb8aa3b, v86
	v_exp_f32_e32 v80, v80
	v_fma_f32 v87, s19, v140, -v76
	v_fma_f32 v100, s19, v117, -v76
	;; [unrolled: 1-line block ×3, first 2 shown]
	v_exp_f32_e32 v86, v86
	v_cndmask_b32_e32 v92, 0, v77, vcc_lo
	v_fma_f32 v77, s19, v139, -v76
	v_cndmask_b32_e64 v91, 0, v78, s3
	v_cndmask_b32_e64 v93, 0, v79, s5
	v_fma_f32 v79, s19, v141, -v76
	s_delay_alu instid0(VALU_DEP_4) | instskip(SKIP_2) | instid1(TRANS32_DEP_1)
	v_dual_add_f32 v78, 0, v92 :: v_dual_mul_f32 v77, 0x3fb8aa3b, v77
	v_cndmask_b32_e64 v95, 0, v80, s4
	v_mul_f32_e32 v87, 0x3fb8aa3b, v87
	v_cndmask_b32_e64 v96, 0, v86, s6
	s_delay_alu instid0(VALU_DEP_4)
	v_add_f32_e32 v78, v78, v91
	v_exp_f32_e32 v77, v77
	v_fma_f32 v86, s19, v111, -v76
	v_fma_f32 v80, s19, v110, -v76
	v_exp_f32_e32 v87, v87
	v_add_f32_e32 v78, v78, v93
	v_mul_f32_e32 v100, 0x3fb8aa3b, v100
	v_mul_f32_e32 v86, 0x3fb8aa3b, v86
	;; [unrolled: 1-line block ×3, first 2 shown]
	v_exp_f32_e32 v88, v88
	v_add_f32_e32 v78, v78, v95
	v_cndmask_b32_e64 v97, 0, v77, s7
	v_exp_f32_e32 v86, v86
	v_exp_f32_e32 v80, v80
	v_cndmask_b32_e64 v94, 0, v87, s9
	v_add_f32_e32 v77, v78, v96
	v_fma_f32 v78, s19, v112, -v76
	v_fma_f32 v87, s19, v113, -v76
	v_exp_f32_e32 v100, v100
	s_mov_b32 s3, exec_lo
	s_delay_alu instid0(VALU_DEP_2) | instskip(NEXT) | instid1(VALU_DEP_2)
	v_dual_add_f32 v77, v77, v97 :: v_dual_mul_f32 v78, 0x3fb8aa3b, v78
	v_mul_f32_e32 v87, 0x3fb8aa3b, v87
	s_delay_alu instid0(VALU_DEP_2) | instskip(SKIP_2) | instid1(VALU_DEP_3)
	v_exp_f32_e32 v89, v78
	v_cndmask_b32_e64 v78, 0, v86, s11
	v_mul_f32_e32 v79, 0x3fb8aa3b, v79
	v_exp_f32_e32 v87, v87
	s_delay_alu instid0(VALU_DEP_1)
	v_exp_f32_e32 v79, v79
	s_waitcnt_depctr 0xfff
	v_cndmask_b32_e64 v98, 0, v79, s8
	v_add_f32_e32 v79, v77, v94
	v_cndmask_b32_e64 v77, 0, v80, s10
	v_fma_f32 v80, s19, v115, -v76
	s_delay_alu instid0(VALU_DEP_1) | instskip(NEXT) | instid1(VALU_DEP_1)
	v_dual_add_f32 v79, v79, v98 :: v_dual_mul_f32 v80, 0x3fb8aa3b, v80
	v_add_f32_e32 v86, v79, v77
	v_cndmask_b32_e64 v79, 0, v89, s12
	v_mul_f32_e32 v89, 0x3fb8aa3b, v90
	s_delay_alu instid0(VALU_DEP_4) | instskip(SKIP_2) | instid1(VALU_DEP_3)
	v_exp_f32_e32 v90, v80
	v_cndmask_b32_e64 v80, 0, v87, s13
	v_add_f32_e32 v86, v86, v78
	v_exp_f32_e32 v89, v89
	s_delay_alu instid0(VALU_DEP_1) | instskip(SKIP_1) | instid1(VALU_DEP_2)
	v_add_f32_e32 v87, v86, v79
	v_cndmask_b32_e64 v86, 0, v88, s15
	v_add_f32_e32 v88, v87, v80
	s_delay_alu instid0(TRANS32_DEP_2) | instskip(NEXT) | instid1(VALU_DEP_2)
	v_cndmask_b32_e64 v87, 0, v90, s16
	v_add_f32_e32 v90, v88, v86
	s_waitcnt_depctr 0xfff
	v_cndmask_b32_e64 v88, 0, v89, s17
	v_add_f32_e32 v89, v90, v87
	s_delay_alu instid0(VALU_DEP_1) | instskip(SKIP_1) | instid1(VALU_DEP_1)
	v_add_f32_e32 v90, v89, v88
	v_cndmask_b32_e64 v89, 0, v100, s18
	v_add_f32_e32 v90, v90, v89
	ds_bpermute_b32 v99, v99, v90
	v_cmpx_gt_u32_e32 16, v75
	s_cbranch_execz .LBB527_14
; %bb.13:
	v_mul_u32_u24_e32 v75, 0x44, v74
	s_waitcnt lgkmcnt(0)
	v_add_f32_e32 v90, v90, v99
	s_delay_alu instid0(VALU_DEP_2) | instskip(NEXT) | instid1(VALU_DEP_1)
	v_lshl_add_u32 v75, v73, 2, v75
	v_add_nc_u32_e32 v75, 0x4000, v75
	ds_store_2addr_b32 v75, v76, v90 offset1:136
.LBB527_14:
	s_or_b32 exec_lo, exec_lo, s3
	v_lshlrev_b32_e32 v75, 2, v73
	s_waitcnt lgkmcnt(0)
	s_barrier
	buffer_gl0_inv
	v_cmp_eq_u32_e64 s3, 1, v74
	v_add_nc_u32_e32 v90, 0x4000, v75
	ds_load_2addr_b32 v[99:100], v90 offset1:17
	ds_load_2addr_b32 v[101:102], v90 offset0:34 offset1:51
	ds_load_2addr_b32 v[103:104], v90 offset0:68 offset1:85
	;; [unrolled: 1-line block ×4, first 2 shown]
	s_waitcnt lgkmcnt(4)
	v_max3_f32 v75, v99, 0xff7fffff, v100
	s_waitcnt lgkmcnt(3)
	s_delay_alu instid0(VALU_DEP_1) | instskip(SKIP_1) | instid1(VALU_DEP_1)
	v_max3_f32 v75, v75, v101, v102
	s_waitcnt lgkmcnt(2)
	v_max3_f32 v75, v75, v103, v104
	s_waitcnt lgkmcnt(1)
	s_delay_alu instid0(VALU_DEP_1) | instskip(NEXT) | instid1(VALU_DEP_1)
	v_max3_f32 v75, v75, v105, v106
	v_sub_f32_e32 v109, v100, v75
	v_sub_f32_e32 v76, v99, v75
	ds_load_2addr_b32 v[99:100], v90 offset0:170 offset1:187
	v_sub_f32_e32 v101, v101, v75
	v_dual_mul_f32 v109, 0x3fb8aa3b, v109 :: v_dual_mul_f32 v76, 0x3fb8aa3b, v76
	s_delay_alu instid0(VALU_DEP_2) | instskip(NEXT) | instid1(VALU_DEP_2)
	v_mul_f32_e32 v111, 0x3fb8aa3b, v101
	v_exp_f32_e32 v109, v109
	s_delay_alu instid0(VALU_DEP_2)
	v_exp_f32_e32 v110, v76
	v_sub_f32_e32 v76, v102, v75
	ds_load_2addr_b32 v[101:102], v90 offset0:204 offset1:221
	v_exp_f32_e32 v111, v111
	v_mul_f32_e32 v112, 0x3fb8aa3b, v76
	s_waitcnt lgkmcnt(2)
	v_fma_f32 v76, v110, v107, 0
	v_sub_f32_e32 v103, v103, v75
	s_delay_alu instid0(VALU_DEP_3) | instskip(NEXT) | instid1(VALU_DEP_2)
	v_exp_f32_e32 v112, v112
	v_dual_sub_f32 v107, v104, v75 :: v_dual_fmac_f32 v76, v109, v108
	s_waitcnt lgkmcnt(1)
	s_waitcnt_depctr 0xfff
	v_fmac_f32_e32 v76, v111, v99
	v_mul_f32_e32 v113, 0x3fb8aa3b, v103
	ds_load_2addr_b32 v[103:104], v90 offset0:238 offset1:255
	v_sub_f32_e32 v90, v105, v75
	v_dual_sub_f32 v99, v106, v75 :: v_dual_fmac_f32 v76, v112, v100
	v_mul_f32_e32 v105, 0x3fb8aa3b, v107
	v_exp_f32_e32 v107, v113
	s_delay_alu instid0(VALU_DEP_2)
	v_dual_mul_f32 v90, 0x3fb8aa3b, v90 :: v_dual_mul_f32 v99, 0x3fb8aa3b, v99
	s_waitcnt lgkmcnt(0)
	s_barrier
	buffer_gl0_inv
	v_exp_f32_e32 v90, v90
	v_exp_f32_e32 v99, v99
	v_fmac_f32_e32 v76, v107, v101
	v_exp_f32_e32 v105, v105
	s_waitcnt_depctr 0xfff
	v_fmac_f32_e32 v76, v105, v102
	s_delay_alu instid0(VALU_DEP_1) | instskip(NEXT) | instid1(VALU_DEP_1)
	v_fmac_f32_e32 v76, v90, v103
	v_fmac_f32_e32 v76, v99, v104
	s_delay_alu instid0(VALU_DEP_1) | instskip(NEXT) | instid1(VALU_DEP_1)
	v_add_f32_e32 v100, 0x358637bd, v76
	v_div_scale_f32 v101, null, v100, v100, 1.0
	v_div_scale_f32 v104, vcc_lo, 1.0, v100, 1.0
	s_delay_alu instid0(VALU_DEP_2) | instskip(SKIP_2) | instid1(VALU_DEP_1)
	v_rcp_f32_e32 v102, v101
	s_waitcnt_depctr 0xfff
	v_fma_f32 v103, -v101, v102, 1.0
	v_fmac_f32_e32 v102, v103, v102
	v_cndmask_b32_e64 v103, v110, v109, s3
	v_cmp_eq_u32_e64 s3, 2, v74
	s_delay_alu instid0(VALU_DEP_3) | instskip(NEXT) | instid1(VALU_DEP_2)
	v_mul_f32_e32 v106, v104, v102
	v_cndmask_b32_e64 v103, v103, v111, s3
	v_cmp_eq_u32_e64 s3, 3, v74
	s_delay_alu instid0(VALU_DEP_3) | instskip(NEXT) | instid1(VALU_DEP_2)
	v_fma_f32 v108, -v101, v106, v104
	v_cndmask_b32_e64 v103, v103, v112, s3
	v_cmp_eq_u32_e64 s3, 4, v74
	s_delay_alu instid0(VALU_DEP_3) | instskip(NEXT) | instid1(VALU_DEP_2)
	v_fmac_f32_e32 v106, v108, v102
	v_cndmask_b32_e64 v103, v103, v107, s3
	s_delay_alu instid0(VALU_DEP_2) | instskip(SKIP_1) | instid1(VALU_DEP_2)
	v_fma_f32 v101, -v101, v106, v104
	v_cmp_eq_u32_e64 s3, 5, v74
	v_div_fmas_f32 v101, v101, v102, v106
	s_delay_alu instid0(VALU_DEP_2) | instskip(SKIP_2) | instid1(VALU_DEP_3)
	v_cndmask_b32_e64 v103, v103, v105, s3
	v_cmp_eq_u32_e32 vcc_lo, 6, v74
	s_mov_b32 s3, exec_lo
	v_div_fixup_f32 v100, v101, v100, 1.0
	s_delay_alu instid0(VALU_DEP_3) | instskip(SKIP_1) | instid1(VALU_DEP_2)
	v_cndmask_b32_e32 v90, v103, v90, vcc_lo
	v_cmp_eq_u32_e32 vcc_lo, 7, v74
	v_cndmask_b32_e32 v90, v90, v99, vcc_lo
	s_delay_alu instid0(VALU_DEP_1) | instskip(NEXT) | instid1(VALU_DEP_1)
	v_mul_f32_e32 v90, v90, v100
	v_mul_f32_e32 v100, v90, v92
	v_mul_f32_e32 v92, v90, v98
	v_mul_f32_e32 v94, v90, v94
	v_mul_f32_e32 v97, v90, v97
	v_mul_f32_e32 v98, v90, v96
	v_and_b32_e32 v101, 0x7f800000, v100
	v_mul_f32_e32 v99, v90, v95
	v_mul_f32_e32 v95, v90, v91
	v_mul_f32_e32 v96, v90, v93
                                        ; implicit-def: $vgpr91
	s_delay_alu instid0(VALU_DEP_4)
	v_cmpx_ne_u32_e32 0x7f800000, v101
	s_xor_b32 s3, exec_lo, s3
; %bb.15:
	v_bfe_u32 v91, v100, 16, 1
	s_delay_alu instid0(VALU_DEP_1)
	v_add3_u32 v91, v100, v91, 0x7fff
                                        ; implicit-def: $vgpr100
; %bb.16:
	s_and_not1_saveexec_b32 s3, s3
; %bb.17:
	v_and_b32_e32 v91, 0xffff, v100
	v_or_b32_e32 v93, 0x10000, v100
	s_delay_alu instid0(VALU_DEP_2) | instskip(NEXT) | instid1(VALU_DEP_2)
	v_cmp_eq_u32_e32 vcc_lo, 0, v91
	v_cndmask_b32_e32 v91, v93, v100, vcc_lo
; %bb.18:
	s_or_b32 exec_lo, exec_lo, s3
	v_and_b32_e32 v93, 0x7f800000, v95
	s_delay_alu instid0(VALU_DEP_1) | instskip(SKIP_1) | instid1(SALU_CYCLE_1)
	v_cmp_ne_u32_e32 vcc_lo, 0x7f800000, v93
                                        ; implicit-def: $vgpr93
	s_and_saveexec_b32 s3, vcc_lo
	s_xor_b32 s3, exec_lo, s3
; %bb.19:
	v_bfe_u32 v93, v95, 16, 1
	s_delay_alu instid0(VALU_DEP_1)
	v_add3_u32 v93, v95, v93, 0x7fff
                                        ; implicit-def: $vgpr95
; %bb.20:
	s_and_not1_saveexec_b32 s3, s3
; %bb.21:
	v_and_b32_e32 v93, 0xffff, v95
	v_or_b32_e32 v100, 0x10000, v95
	s_delay_alu instid0(VALU_DEP_2) | instskip(NEXT) | instid1(VALU_DEP_2)
	v_cmp_eq_u32_e32 vcc_lo, 0, v93
	v_cndmask_b32_e32 v93, v100, v95, vcc_lo
; %bb.22:
	s_or_b32 exec_lo, exec_lo, s3
	v_and_b32_e32 v95, 0x7f800000, v96
	s_delay_alu instid0(VALU_DEP_1) | instskip(SKIP_1) | instid1(SALU_CYCLE_1)
	v_cmp_ne_u32_e32 vcc_lo, 0x7f800000, v95
                                        ; implicit-def: $vgpr95
	s_and_saveexec_b32 s3, vcc_lo
	s_xor_b32 s3, exec_lo, s3
; %bb.23:
	v_bfe_u32 v95, v96, 16, 1
	s_delay_alu instid0(VALU_DEP_1)
	v_add3_u32 v95, v96, v95, 0x7fff
                                        ; implicit-def: $vgpr96
; %bb.24:
	s_and_not1_saveexec_b32 s3, s3
; %bb.25:
	v_and_b32_e32 v95, 0xffff, v96
	v_or_b32_e32 v100, 0x10000, v96
	s_delay_alu instid0(VALU_DEP_2) | instskip(NEXT) | instid1(VALU_DEP_2)
	v_cmp_eq_u32_e32 vcc_lo, 0, v95
	v_cndmask_b32_e32 v95, v100, v96, vcc_lo
; %bb.26:
	s_or_b32 exec_lo, exec_lo, s3
	v_and_b32_e32 v96, 0x7f800000, v99
	s_delay_alu instid0(VALU_DEP_1) | instskip(SKIP_1) | instid1(SALU_CYCLE_1)
	v_cmp_ne_u32_e32 vcc_lo, 0x7f800000, v96
                                        ; implicit-def: $vgpr96
	s_and_saveexec_b32 s3, vcc_lo
	s_xor_b32 s3, exec_lo, s3
; %bb.27:
	v_bfe_u32 v96, v99, 16, 1
	s_delay_alu instid0(VALU_DEP_1)
	v_add3_u32 v96, v99, v96, 0x7fff
                                        ; implicit-def: $vgpr99
; %bb.28:
	s_and_not1_saveexec_b32 s3, s3
; %bb.29:
	v_and_b32_e32 v96, 0xffff, v99
	v_or_b32_e32 v100, 0x10000, v99
	s_delay_alu instid0(VALU_DEP_2) | instskip(NEXT) | instid1(VALU_DEP_2)
	v_cmp_eq_u32_e32 vcc_lo, 0, v96
	v_cndmask_b32_e32 v96, v100, v99, vcc_lo
; %bb.30:
	s_or_b32 exec_lo, exec_lo, s3
	v_and_b32_e32 v99, 0x7f800000, v98
	s_delay_alu instid0(VALU_DEP_1) | instskip(SKIP_1) | instid1(SALU_CYCLE_1)
	v_cmp_ne_u32_e32 vcc_lo, 0x7f800000, v99
                                        ; implicit-def: $vgpr99
	s_and_saveexec_b32 s3, vcc_lo
	s_xor_b32 s3, exec_lo, s3
; %bb.31:
	v_bfe_u32 v99, v98, 16, 1
	s_delay_alu instid0(VALU_DEP_1)
	v_add3_u32 v99, v98, v99, 0x7fff
                                        ; implicit-def: $vgpr98
; %bb.32:
	s_and_not1_saveexec_b32 s3, s3
; %bb.33:
	v_and_b32_e32 v99, 0xffff, v98
	v_or_b32_e32 v100, 0x10000, v98
	s_delay_alu instid0(VALU_DEP_2) | instskip(NEXT) | instid1(VALU_DEP_2)
	v_cmp_eq_u32_e32 vcc_lo, 0, v99
	v_cndmask_b32_e32 v99, v100, v98, vcc_lo
; %bb.34:
	s_or_b32 exec_lo, exec_lo, s3
	v_and_b32_e32 v98, 0x7f800000, v97
	s_delay_alu instid0(VALU_DEP_1) | instskip(SKIP_1) | instid1(SALU_CYCLE_1)
	v_cmp_ne_u32_e32 vcc_lo, 0x7f800000, v98
                                        ; implicit-def: $vgpr98
	s_and_saveexec_b32 s3, vcc_lo
	s_xor_b32 s3, exec_lo, s3
; %bb.35:
	v_bfe_u32 v98, v97, 16, 1
	s_delay_alu instid0(VALU_DEP_1)
	v_add3_u32 v98, v97, v98, 0x7fff
                                        ; implicit-def: $vgpr97
; %bb.36:
	s_and_not1_saveexec_b32 s3, s3
; %bb.37:
	v_and_b32_e32 v98, 0xffff, v97
	v_or_b32_e32 v100, 0x10000, v97
	s_delay_alu instid0(VALU_DEP_2) | instskip(NEXT) | instid1(VALU_DEP_2)
	v_cmp_eq_u32_e32 vcc_lo, 0, v98
	v_cndmask_b32_e32 v98, v100, v97, vcc_lo
; %bb.38:
	s_or_b32 exec_lo, exec_lo, s3
	v_and_b32_e32 v97, 0x7f800000, v94
	s_delay_alu instid0(VALU_DEP_1) | instskip(SKIP_1) | instid1(SALU_CYCLE_1)
	v_cmp_ne_u32_e32 vcc_lo, 0x7f800000, v97
                                        ; implicit-def: $vgpr97
	s_and_saveexec_b32 s3, vcc_lo
	s_xor_b32 s3, exec_lo, s3
; %bb.39:
	v_bfe_u32 v97, v94, 16, 1
	s_delay_alu instid0(VALU_DEP_1)
	v_add3_u32 v97, v94, v97, 0x7fff
                                        ; implicit-def: $vgpr94
; %bb.40:
	s_and_not1_saveexec_b32 s3, s3
; %bb.41:
	v_and_b32_e32 v97, 0xffff, v94
	v_or_b32_e32 v100, 0x10000, v94
	s_delay_alu instid0(VALU_DEP_2) | instskip(NEXT) | instid1(VALU_DEP_2)
	v_cmp_eq_u32_e32 vcc_lo, 0, v97
	v_cndmask_b32_e32 v97, v100, v94, vcc_lo
; %bb.42:
	s_or_b32 exec_lo, exec_lo, s3
	v_and_b32_e32 v94, 0x7f800000, v92
	s_delay_alu instid0(VALU_DEP_1) | instskip(SKIP_1) | instid1(SALU_CYCLE_1)
	v_cmp_ne_u32_e32 vcc_lo, 0x7f800000, v94
                                        ; implicit-def: $vgpr94
	s_and_saveexec_b32 s3, vcc_lo
	s_xor_b32 s3, exec_lo, s3
; %bb.43:
	v_bfe_u32 v94, v92, 16, 1
	s_delay_alu instid0(VALU_DEP_1)
	v_add3_u32 v94, v92, v94, 0x7fff
                                        ; implicit-def: $vgpr92
; %bb.44:
	s_and_not1_saveexec_b32 s3, s3
; %bb.45:
	v_and_b32_e32 v94, 0xffff, v92
	v_or_b32_e32 v100, 0x10000, v92
	s_delay_alu instid0(VALU_DEP_2) | instskip(NEXT) | instid1(VALU_DEP_2)
	v_cmp_eq_u32_e32 vcc_lo, 0, v94
	v_cndmask_b32_e32 v94, v100, v92, vcc_lo
; %bb.46:
	s_or_b32 exec_lo, exec_lo, s3
	s_load_b64 s[34:35], s[0:1], 0x94
	v_lshlrev_b32_e32 v92, 4, v83
	s_delay_alu instid0(VALU_DEP_2)
	v_perm_b32 v100, v94, v97, 0x7060302
	v_dual_mul_f32 v89, v90, v89 :: v_dual_lshlrev_b32 v94, 11, v74
	v_perm_b32 v97, v93, v91, 0x7060302
	v_mul_f32_e32 v93, v90, v77
	v_perm_b32 v99, v98, v99, 0x7060302
	v_perm_b32 v98, v96, v95, 0x7060302
	v_or3_b32 v77, v92, v94, v85
	v_mul_f32_e32 v88, v90, v88
	v_dual_mul_f32 v87, v90, v87 :: v_dual_and_b32 v94, 0x7f800000, v93
	v_mul_f32_e32 v86, v90, v86
	v_mul_f32_e32 v91, v90, v80
	;; [unrolled: 1-line block ×4, first 2 shown]
	s_mov_b32 s3, exec_lo
	ds_store_b128 v77, v[97:100]
                                        ; implicit-def: $vgpr78
	v_cmpx_ne_u32_e32 0x7f800000, v94
	s_xor_b32 s3, exec_lo, s3
; %bb.47:
	v_bfe_u32 v78, v93, 16, 1
	s_delay_alu instid0(VALU_DEP_1)
	v_add3_u32 v78, v93, v78, 0x7fff
                                        ; implicit-def: $vgpr93
; %bb.48:
	s_and_not1_saveexec_b32 s3, s3
; %bb.49:
	v_and_b32_e32 v78, 0xffff, v93
	v_or_b32_e32 v79, 0x10000, v93
	s_delay_alu instid0(VALU_DEP_2) | instskip(NEXT) | instid1(VALU_DEP_2)
	v_cmp_eq_u32_e32 vcc_lo, 0, v78
	v_cndmask_b32_e32 v78, v79, v93, vcc_lo
; %bb.50:
	s_or_b32 exec_lo, exec_lo, s3
	v_and_b32_e32 v79, 0x7f800000, v80
	s_delay_alu instid0(VALU_DEP_1) | instskip(SKIP_1) | instid1(SALU_CYCLE_1)
	v_cmp_ne_u32_e32 vcc_lo, 0x7f800000, v79
                                        ; implicit-def: $vgpr79
	s_and_saveexec_b32 s3, vcc_lo
	s_xor_b32 s3, exec_lo, s3
; %bb.51:
	v_bfe_u32 v79, v80, 16, 1
	s_delay_alu instid0(VALU_DEP_1)
	v_add3_u32 v79, v80, v79, 0x7fff
                                        ; implicit-def: $vgpr80
; %bb.52:
	s_and_not1_saveexec_b32 s3, s3
; %bb.53:
	v_and_b32_e32 v79, 0xffff, v80
	v_or_b32_e32 v90, 0x10000, v80
	s_delay_alu instid0(VALU_DEP_2) | instskip(NEXT) | instid1(VALU_DEP_2)
	v_cmp_eq_u32_e32 vcc_lo, 0, v79
	v_cndmask_b32_e32 v79, v90, v80, vcc_lo
; %bb.54:
	s_or_b32 exec_lo, exec_lo, s3
	v_and_b32_e32 v80, 0x7f800000, v92
	s_delay_alu instid0(VALU_DEP_1) | instskip(SKIP_1) | instid1(SALU_CYCLE_1)
	v_cmp_ne_u32_e32 vcc_lo, 0x7f800000, v80
                                        ; implicit-def: $vgpr80
	s_and_saveexec_b32 s3, vcc_lo
	s_xor_b32 s3, exec_lo, s3
; %bb.55:
	v_bfe_u32 v80, v92, 16, 1
	s_delay_alu instid0(VALU_DEP_1)
	v_add3_u32 v80, v92, v80, 0x7fff
                                        ; implicit-def: $vgpr92
; %bb.56:
	s_and_not1_saveexec_b32 s3, s3
; %bb.57:
	v_and_b32_e32 v80, 0xffff, v92
	v_or_b32_e32 v90, 0x10000, v92
	s_delay_alu instid0(VALU_DEP_2) | instskip(NEXT) | instid1(VALU_DEP_2)
	v_cmp_eq_u32_e32 vcc_lo, 0, v80
	v_cndmask_b32_e32 v80, v90, v92, vcc_lo
; %bb.58:
	s_or_b32 exec_lo, exec_lo, s3
	v_and_b32_e32 v90, 0x7f800000, v91
	s_delay_alu instid0(VALU_DEP_1) | instskip(SKIP_1) | instid1(SALU_CYCLE_1)
	v_cmp_ne_u32_e32 vcc_lo, 0x7f800000, v90
                                        ; implicit-def: $vgpr90
	s_and_saveexec_b32 s3, vcc_lo
	s_xor_b32 s3, exec_lo, s3
; %bb.59:
	v_bfe_u32 v90, v91, 16, 1
	s_delay_alu instid0(VALU_DEP_1)
	v_add3_u32 v90, v91, v90, 0x7fff
                                        ; implicit-def: $vgpr91
; %bb.60:
	s_and_not1_saveexec_b32 s3, s3
; %bb.61:
	v_and_b32_e32 v90, 0xffff, v91
	v_or_b32_e32 v92, 0x10000, v91
	s_delay_alu instid0(VALU_DEP_2) | instskip(NEXT) | instid1(VALU_DEP_2)
	v_cmp_eq_u32_e32 vcc_lo, 0, v90
	v_cndmask_b32_e32 v90, v92, v91, vcc_lo
; %bb.62:
	s_or_b32 exec_lo, exec_lo, s3
	v_and_b32_e32 v91, 0x7f800000, v86
	s_delay_alu instid0(VALU_DEP_1) | instskip(SKIP_1) | instid1(SALU_CYCLE_1)
	v_cmp_ne_u32_e32 vcc_lo, 0x7f800000, v91
                                        ; implicit-def: $vgpr91
	s_and_saveexec_b32 s3, vcc_lo
	s_xor_b32 s3, exec_lo, s3
; %bb.63:
	v_bfe_u32 v91, v86, 16, 1
	s_delay_alu instid0(VALU_DEP_1)
	v_add3_u32 v91, v86, v91, 0x7fff
                                        ; implicit-def: $vgpr86
; %bb.64:
	s_and_not1_saveexec_b32 s3, s3
; %bb.65:
	v_and_b32_e32 v91, 0xffff, v86
	v_or_b32_e32 v92, 0x10000, v86
	s_delay_alu instid0(VALU_DEP_2) | instskip(NEXT) | instid1(VALU_DEP_2)
	v_cmp_eq_u32_e32 vcc_lo, 0, v91
	v_cndmask_b32_e32 v91, v92, v86, vcc_lo
; %bb.66:
	s_or_b32 exec_lo, exec_lo, s3
	v_and_b32_e32 v86, 0x7f800000, v87
	s_delay_alu instid0(VALU_DEP_1) | instskip(SKIP_1) | instid1(SALU_CYCLE_1)
	v_cmp_ne_u32_e32 vcc_lo, 0x7f800000, v86
                                        ; implicit-def: $vgpr86
	s_and_saveexec_b32 s3, vcc_lo
	s_xor_b32 s3, exec_lo, s3
; %bb.67:
	v_bfe_u32 v86, v87, 16, 1
	s_delay_alu instid0(VALU_DEP_1)
	v_add3_u32 v86, v87, v86, 0x7fff
                                        ; implicit-def: $vgpr87
; %bb.68:
	s_and_not1_saveexec_b32 s3, s3
; %bb.69:
	v_and_b32_e32 v86, 0xffff, v87
	v_or_b32_e32 v92, 0x10000, v87
	s_delay_alu instid0(VALU_DEP_2) | instskip(NEXT) | instid1(VALU_DEP_2)
	v_cmp_eq_u32_e32 vcc_lo, 0, v86
	v_cndmask_b32_e32 v86, v92, v87, vcc_lo
; %bb.70:
	s_or_b32 exec_lo, exec_lo, s3
	v_and_b32_e32 v87, 0x7f800000, v88
	s_delay_alu instid0(VALU_DEP_1) | instskip(SKIP_1) | instid1(SALU_CYCLE_1)
	v_cmp_ne_u32_e32 vcc_lo, 0x7f800000, v87
                                        ; implicit-def: $vgpr87
	s_and_saveexec_b32 s3, vcc_lo
	s_xor_b32 s3, exec_lo, s3
; %bb.71:
	v_bfe_u32 v87, v88, 16, 1
	s_delay_alu instid0(VALU_DEP_1)
	v_add3_u32 v87, v88, v87, 0x7fff
                                        ; implicit-def: $vgpr88
; %bb.72:
	s_and_not1_saveexec_b32 s3, s3
; %bb.73:
	v_and_b32_e32 v87, 0xffff, v88
	v_or_b32_e32 v92, 0x10000, v88
	s_delay_alu instid0(VALU_DEP_2) | instskip(NEXT) | instid1(VALU_DEP_2)
	v_cmp_eq_u32_e32 vcc_lo, 0, v87
	v_cndmask_b32_e32 v87, v92, v88, vcc_lo
; %bb.74:
	s_or_b32 exec_lo, exec_lo, s3
	v_and_b32_e32 v88, 0x7f800000, v89
	s_delay_alu instid0(VALU_DEP_1) | instskip(SKIP_1) | instid1(SALU_CYCLE_1)
	v_cmp_ne_u32_e32 vcc_lo, 0x7f800000, v88
                                        ; implicit-def: $vgpr88
	s_and_saveexec_b32 s3, vcc_lo
	s_xor_b32 s3, exec_lo, s3
; %bb.75:
	v_bfe_u32 v88, v89, 16, 1
	s_delay_alu instid0(VALU_DEP_1)
	v_add3_u32 v88, v89, v88, 0x7fff
                                        ; implicit-def: $vgpr89
; %bb.76:
	s_and_not1_saveexec_b32 s3, s3
; %bb.77:
	v_and_b32_e32 v88, 0xffff, v89
	v_or_b32_e32 v92, 0x10000, v89
	s_delay_alu instid0(VALU_DEP_2) | instskip(NEXT) | instid1(VALU_DEP_2)
	v_cmp_eq_u32_e32 vcc_lo, 0, v88
	v_cndmask_b32_e32 v88, v92, v89, vcc_lo
; %bb.78:
	s_or_b32 exec_lo, exec_lo, s3
	s_delay_alu instid0(VALU_DEP_1)
	v_perm_b32 v89, v88, v87, 0x7060302
	v_perm_b32 v88, v86, v91, 0x7060302
	;; [unrolled: 1-line block ×4, first 2 shown]
	v_lshl_or_b32 v90, v74, 11, v85
	ds_store_b128 v77, v[86:89] offset:1024
	s_waitcnt lgkmcnt(0)
	s_barrier
	buffer_gl0_inv
	ds_load_b128 v[91:94], v90
	ds_load_b128 v[95:98], v90 offset:16
	v_lshlrev_b32_e32 v87, 2, v83
	s_delay_alu instid0(VALU_DEP_1)
	v_or_b32_e32 v88, 1, v87
	v_cmp_eq_u32_e32 vcc_lo, 1, v87
	v_cmp_eq_u32_e64 s4, 2, v87
	v_cmp_eq_u32_e64 s7, 3, v87
	;; [unrolled: 1-line block ×6, first 2 shown]
	v_or_b32_e32 v86, 2, v87
	v_cmp_eq_u32_e64 s10, 5, v87
	v_cmp_eq_u32_e64 s11, 4, v88
	;; [unrolled: 1-line block ×4, first 2 shown]
	s_waitcnt lgkmcnt(1)
	v_lshrrev_b32_e32 v74, 16, v91
	s_waitcnt lgkmcnt(0)
	v_lshrrev_b32_e32 v103, 16, v95
	v_lshrrev_b32_e32 v80, 16, v94
	;; [unrolled: 1-line block ×4, first 2 shown]
	v_cndmask_b32_e32 v89, v91, v74, vcc_lo
	v_cndmask_b32_e32 v99, v95, v103, vcc_lo
	v_cndmask_b32_e64 v100, v91, v74, s3
	v_lshrrev_b32_e32 v79, 16, v93
	v_lshrrev_b32_e32 v108, 16, v97
	v_cndmask_b32_e64 v89, v89, v92, s4
	v_cndmask_b32_e64 v99, v99, v96, s4
	;; [unrolled: 1-line block ×4, first 2 shown]
	v_cmp_eq_u32_e64 s5, 1, v86
	v_cndmask_b32_e64 v89, v89, v78, s7
	v_cndmask_b32_e64 v99, v99, v107, s7
	;; [unrolled: 1-line block ×4, first 2 shown]
	v_lshrrev_b32_e32 v109, 16, v98
	v_cndmask_b32_e64 v89, v89, v93, s9
	v_cndmask_b32_e64 v99, v99, v97, s9
	;; [unrolled: 1-line block ×8, first 2 shown]
	v_cmp_eq_u32_e64 s15, 7, v87
	v_cmp_eq_u32_e64 s16, 6, v88
	v_cndmask_b32_e64 v89, v89, v94, s12
	v_cndmask_b32_e64 v99, v99, v98, s12
	v_cmp_eq_u32_e64 s17, 2, v86
	v_cndmask_b32_e64 v101, v101, v97, s11
	v_cndmask_b32_e64 v100, v100, v94, s16
	v_cndmask_b32_e64 v110, v89, v80, s15
	v_cndmask_b32_e64 v111, v99, v109, s15
	v_cndmask_b32_e64 v89, v102, v92, s17
	v_cndmask_b32_e64 v99, v95, v103, s5
	v_cmp_eq_u32_e64 s18, 7, v88
	v_cmp_eq_u32_e64 s19, 3, v86
	;; [unrolled: 1-line block ×4, first 2 shown]
	v_cndmask_b32_e64 v99, v99, v96, s17
	v_cndmask_b32_e64 v112, v100, v80, s18
	;; [unrolled: 1-line block ×4, first 2 shown]
	v_or_b32_e32 v89, 3, v87
	v_cndmask_b32_e64 v105, v99, v107, s19
	v_cmp_eq_u32_e64 s24, 6, v86
	v_cndmask_b32_e64 v113, v100, v98, s16
	v_cndmask_b32_e64 v104, v101, v93, s20
	ds_load_b128 v[99:102], v90 offset:1024
	v_cmp_eq_u32_e64 s21, 1, v89
	v_cmp_eq_u32_e64 s23, 2, v89
	;; [unrolled: 1-line block ×3, first 2 shown]
	v_cndmask_b32_e64 v114, v104, v79, s22
	v_cmp_eq_u32_e64 s26, 4, v89
	v_cndmask_b32_e64 v74, v91, v74, s21
	v_cndmask_b32_e64 v91, v105, v97, s20
	;; [unrolled: 1-line block ×3, first 2 shown]
	ds_load_b128 v[103:106], v90 offset:1040
	v_cmp_eq_u32_e64 s28, 5, v89
	v_cndmask_b32_e64 v74, v74, v92, s23
	v_cndmask_b32_e64 v91, v91, v108, s22
	;; [unrolled: 1-line block ×3, first 2 shown]
	v_cmp_eq_u32_e64 s29, 6, v89
	v_cndmask_b32_e64 v95, v113, v109, s18
	v_cndmask_b32_e64 v74, v74, v78, s25
	;; [unrolled: 1-line block ×5, first 2 shown]
	s_waitcnt lgkmcnt(1)
	v_lshrrev_b32_e32 v96, 16, v99
	v_cndmask_b32_e64 v74, v74, v93, s26
	v_lshrrev_b32_e32 v107, 16, v100
	v_cndmask_b32_e64 v92, v92, v97, s26
	v_cmp_eq_u32_e64 s27, 7, v86
	v_cndmask_b32_e32 v93, v99, v96, vcc_lo
	v_cndmask_b32_e64 v74, v74, v79, s28
	s_delay_alu instid0(VALU_DEP_4)
	v_cndmask_b32_e64 v79, v92, v108, s28
	s_waitcnt lgkmcnt(0)
	v_lshrrev_b32_e32 v97, 16, v103
	v_cndmask_b32_e64 v92, v93, v100, s4
	v_cndmask_b32_e64 v93, v99, v96, s3
	;; [unrolled: 1-line block ×4, first 2 shown]
	v_cndmask_b32_e32 v108, v103, v97, vcc_lo
	v_cndmask_b32_e64 v92, v92, v107, s7
	v_cndmask_b32_e64 v93, v93, v100, s6
	v_lshrrev_b32_e32 v98, 16, v104
	v_cmp_eq_u32_e32 vcc_lo, 7, v89
	v_cndmask_b32_e64 v94, v108, v104, s4
	v_cndmask_b32_e64 v92, v92, v101, s9
	v_lshrrev_b32_e32 v108, 16, v101
	v_cndmask_b32_e64 v93, v93, v107, s8
	v_cndmask_b32_e32 v74, v74, v80, vcc_lo
	v_cndmask_b32_e64 v94, v94, v98, s7
	v_cndmask_b32_e32 v79, v79, v109, vcc_lo
	v_cndmask_b32_e64 v92, v92, v108, s10
	v_cndmask_b32_e64 v78, v78, v80, s27
	;; [unrolled: 1-line block ×4, first 2 shown]
	v_perm_b32 v94, v79, v74, 0x5040100
	v_cndmask_b32_e64 v79, v92, v102, s12
	v_perm_b32 v92, v95, v112, 0x5040100
	v_cndmask_b32_e64 v95, v99, v96, s5
	v_cndmask_b32_e64 v96, v99, v96, s21
	;; [unrolled: 1-line block ×16, first 2 shown]
	v_lshrrev_b32_e32 v109, 16, v105
	v_cndmask_b32_e64 v95, v95, v101, s20
	v_cndmask_b32_e64 v96, v96, v101, s26
	;; [unrolled: 1-line block ×6, first 2 shown]
	v_lshrrev_b32_e32 v80, 16, v102
	v_cndmask_b32_e64 v113, v93, v109, s10
	v_cndmask_b32_e64 v95, v95, v108, s22
	;; [unrolled: 1-line block ×6, first 2 shown]
	v_perm_b32 v93, v91, v78, 0x5040100
	v_cndmask_b32_e64 v74, v74, v102, s16
	v_cndmask_b32_e64 v78, v79, v80, s15
	;; [unrolled: 1-line block ×3, first 2 shown]
	v_lshrrev_b32_e32 v91, 16, v106
	v_cndmask_b32_e64 v95, v95, v102, s24
	v_cndmask_b32_e64 v96, v96, v102, s29
	v_cndmask_b32_e64 v98, v98, v106, s29
	v_cndmask_b32_e64 v99, v99, v106, s24
	v_cndmask_b32_e64 v97, v97, v106, s16
	v_cndmask_b32_e64 v74, v74, v80, s18
	v_cndmask_b32_e64 v95, v95, v80, s27
	v_cndmask_b32_e32 v80, v96, v80, vcc_lo
	v_cndmask_b32_e32 v96, v98, v91, vcc_lo
	v_cndmask_b32_e64 v99, v99, v91, s27
	v_cndmask_b32_e64 v100, v97, v91, s18
	v_cndmask_b32_e64 v79, v79, v91, s15
	v_perm_b32 v91, v111, v110, 0x5040100
	v_perm_b32 v98, v96, v80, 0x5040100
	;; [unrolled: 1-line block ×5, first 2 shown]
	s_mul_i32 s8, s35, 10
	s_mov_b32 s3, exec_lo
	ds_store_b128 v77, v[91:94]
	ds_store_b128 v77, v[95:98] offset:1024
	v_cmpx_gt_u32_e32 10, v0
	s_cbranch_execz .LBB527_80
; %bb.79:
	s_mul_i32 s4, s8, s30
	s_delay_alu instid0(SALU_CYCLE_1) | instskip(SKIP_1) | instid1(VALU_DEP_1)
	v_add3_u32 v77, s4, s31, v73
	s_load_b128 s[4:7], s[0:1], 0x58
	v_mad_u64_u32 v[73:74], null, v77, s34, s[14:15]
	s_delay_alu instid0(VALU_DEP_1) | instskip(NEXT) | instid1(VALU_DEP_1)
	v_ashrrev_i32_e32 v74, 31, v73
	v_lshlrev_b64 v[73:74], 2, v[73:74]
	s_waitcnt lgkmcnt(0)
	s_delay_alu instid0(VALU_DEP_1) | instskip(NEXT) | instid1(VALU_DEP_2)
	v_add_co_u32 v77, vcc_lo, s6, v73
	v_add_co_ci_u32_e32 v78, vcc_lo, s7, v74, vcc_lo
	v_add_co_u32 v73, vcc_lo, s4, v73
	v_add_co_ci_u32_e32 v74, vcc_lo, s5, v74, vcc_lo
	global_store_b32 v[77:78], v75, off
	global_store_b32 v[73:74], v76, off
.LBB527_80:
	s_or_b32 exec_lo, exec_lo, s3
	s_waitcnt lgkmcnt(0)
	s_waitcnt_vscnt null, 0x0
	s_barrier
	buffer_gl0_inv
	ds_load_b128 v[91:94], v85
	ds_load_b128 v[95:98], v85 offset:16
	ds_load_b128 v[103:106], v85 offset:1040
	;; [unrolled: 1-line block ×3, first 2 shown]
	v_mov_b32_e32 v73, 0
	ds_load_b128 v[111:114], v85 offset:2064
	ds_load_b128 v[107:110], v85 offset:2048
	;; [unrolled: 1-line block ×6, first 2 shown]
	v_mov_b32_e32 v74, v73
	v_mov_b32_e32 v75, v73
	;; [unrolled: 1-line block ×7, first 2 shown]
	s_waitcnt lgkmcnt(8)
	s_delay_alu instid0(VALU_DEP_1)
	v_wmma_f32_16x16x16_bf16 v[73:80], v[65:72], v[91:98], v[73:80]
	ds_load_b128 v[69:72], v85 offset:5136
	ds_load_b128 v[65:68], v85 offset:5120
	;; [unrolled: 1-line block ×4, first 2 shown]
	s_waitcnt lgkmcnt(10)
	v_wmma_f32_16x16x16_bf16 v[73:80], v[57:64], v[99:106], v[73:80]
	s_waitcnt lgkmcnt(8)
	s_delay_alu instid0(VALU_DEP_1)
	v_wmma_f32_16x16x16_bf16 v[73:80], v[57:64], v[107:114], v[73:80]
	ds_load_b128 v[61:64], v85 offset:7184
	ds_load_b128 v[57:60], v85 offset:7168
	;; [unrolled: 1-line block ×4, first 2 shown]
	s_waitcnt lgkmcnt(10)
	v_wmma_f32_16x16x16_bf16 v[73:80], v[49:56], v[115:122], v[73:80]
	s_waitcnt lgkmcnt(8)
	s_delay_alu instid0(VALU_DEP_1)
	v_wmma_f32_16x16x16_bf16 v[73:80], v[49:56], v[123:130], v[73:80]
	ds_load_b128 v[53:56], v85 offset:9232
	ds_load_b128 v[49:52], v85 offset:9216
	s_waitcnt lgkmcnt(8)
	v_wmma_f32_16x16x16_bf16 v[73:80], v[41:48], v[65:72], v[73:80]
	ds_load_b128 v[69:72], v85 offset:10256
	ds_load_b128 v[65:68], v85 offset:10240
	s_waitcnt lgkmcnt(8)
	;; [unrolled: 4-line block ×3, first 2 shown]
	v_wmma_f32_16x16x16_bf16 v[73:80], v[9:16], v[57:64], v[73:80]
	s_waitcnt lgkmcnt(6)
	s_delay_alu instid0(VALU_DEP_1)
	v_wmma_f32_16x16x16_bf16 v[73:80], v[9:16], v[99:106], v[73:80]
	ds_load_b128 v[13:16], v85 offset:12304
	ds_load_b128 v[9:12], v85 offset:12288
	s_waitcnt lgkmcnt(6)
	v_wmma_f32_16x16x16_bf16 v[73:80], v[1:8], v[49:56], v[73:80]
	ds_load_b128 v[53:56], v85 offset:13328
	ds_load_b128 v[49:52], v85 offset:13312
	s_waitcnt lgkmcnt(6)
	;; [unrolled: 4-line block ×4, first 2 shown]
	v_wmma_f32_16x16x16_bf16 v[73:80], v[33:40], v[9:16], v[73:80]
	s_waitcnt lgkmcnt(4)
	s_delay_alu instid0(VALU_DEP_1) | instskip(SKIP_1) | instid1(VALU_DEP_1)
	v_wmma_f32_16x16x16_bf16 v[73:80], v[25:32], v[49:56], v[73:80]
	s_waitcnt lgkmcnt(2)
	v_wmma_f32_16x16x16_bf16 v[73:80], v[25:32], v[1:8], v[73:80]
	s_waitcnt lgkmcnt(0)
	s_delay_alu instid0(VALU_DEP_1) | instskip(NEXT) | instid1(VALU_DEP_1)
	v_wmma_f32_16x16x16_bf16 v[73:80], v[17:24], v[41:48], v[73:80]
	v_and_b32_e32 v1, 0x7f800000, v73
	s_delay_alu instid0(VALU_DEP_1) | instskip(SKIP_1) | instid1(SALU_CYCLE_1)
	v_cmp_ne_u32_e32 vcc_lo, 0x7f800000, v1
                                        ; implicit-def: $vgpr1
	s_and_saveexec_b32 s3, vcc_lo
	s_xor_b32 s3, exec_lo, s3
; %bb.81:
	v_bfe_u32 v1, v73, 16, 1
	s_delay_alu instid0(VALU_DEP_1)
	v_add3_u32 v1, v73, v1, 0x7fff
; %bb.82:
	s_and_not1_saveexec_b32 s3, s3
; %bb.83:
	v_and_b32_e32 v1, 0xffff, v73
	v_or_b32_e32 v2, 0x10000, v73
	s_delay_alu instid0(VALU_DEP_2) | instskip(NEXT) | instid1(VALU_DEP_2)
	v_cmp_eq_u32_e32 vcc_lo, 0, v1
	v_cndmask_b32_e32 v1, v2, v73, vcc_lo
; %bb.84:
	s_or_b32 exec_lo, exec_lo, s3
	v_and_b32_e32 v2, 0x7f800000, v74
	s_delay_alu instid0(VALU_DEP_1) | instskip(SKIP_1) | instid1(SALU_CYCLE_1)
	v_cmp_ne_u32_e32 vcc_lo, 0x7f800000, v2
                                        ; implicit-def: $vgpr2
	s_and_saveexec_b32 s3, vcc_lo
	s_xor_b32 s3, exec_lo, s3
; %bb.85:
	v_bfe_u32 v2, v74, 16, 1
	s_delay_alu instid0(VALU_DEP_1)
	v_add3_u32 v2, v74, v2, 0x7fff
; %bb.86:
	s_and_not1_saveexec_b32 s3, s3
; %bb.87:
	v_and_b32_e32 v2, 0xffff, v74
	v_or_b32_e32 v3, 0x10000, v74
	s_delay_alu instid0(VALU_DEP_2) | instskip(NEXT) | instid1(VALU_DEP_2)
	v_cmp_eq_u32_e32 vcc_lo, 0, v2
	v_cndmask_b32_e32 v2, v3, v74, vcc_lo
; %bb.88:
	s_or_b32 exec_lo, exec_lo, s3
	v_and_b32_e32 v3, 0x7f800000, v75
	s_delay_alu instid0(VALU_DEP_1) | instskip(SKIP_1) | instid1(SALU_CYCLE_1)
	v_cmp_ne_u32_e32 vcc_lo, 0x7f800000, v3
                                        ; implicit-def: $vgpr3
	s_and_saveexec_b32 s3, vcc_lo
	s_xor_b32 s3, exec_lo, s3
; %bb.89:
	v_bfe_u32 v3, v75, 16, 1
	s_delay_alu instid0(VALU_DEP_1)
	v_add3_u32 v3, v75, v3, 0x7fff
; %bb.90:
	s_and_not1_saveexec_b32 s3, s3
; %bb.91:
	v_and_b32_e32 v3, 0xffff, v75
	v_or_b32_e32 v4, 0x10000, v75
	s_delay_alu instid0(VALU_DEP_2) | instskip(NEXT) | instid1(VALU_DEP_2)
	v_cmp_eq_u32_e32 vcc_lo, 0, v3
	v_cndmask_b32_e32 v3, v4, v75, vcc_lo
; %bb.92:
	s_or_b32 exec_lo, exec_lo, s3
	v_and_b32_e32 v4, 0x7f800000, v76
	s_delay_alu instid0(VALU_DEP_1) | instskip(SKIP_1) | instid1(SALU_CYCLE_1)
	v_cmp_ne_u32_e32 vcc_lo, 0x7f800000, v4
                                        ; implicit-def: $vgpr4
	s_and_saveexec_b32 s3, vcc_lo
	s_xor_b32 s3, exec_lo, s3
; %bb.93:
	v_bfe_u32 v4, v76, 16, 1
	s_delay_alu instid0(VALU_DEP_1)
	v_add3_u32 v4, v76, v4, 0x7fff
; %bb.94:
	s_and_not1_saveexec_b32 s3, s3
; %bb.95:
	v_and_b32_e32 v4, 0xffff, v76
	v_or_b32_e32 v5, 0x10000, v76
	s_delay_alu instid0(VALU_DEP_2) | instskip(NEXT) | instid1(VALU_DEP_2)
	v_cmp_eq_u32_e32 vcc_lo, 0, v4
	v_cndmask_b32_e32 v4, v5, v76, vcc_lo
; %bb.96:
	s_or_b32 exec_lo, exec_lo, s3
	v_and_b32_e32 v5, 0x7f800000, v77
	s_delay_alu instid0(VALU_DEP_1) | instskip(SKIP_1) | instid1(SALU_CYCLE_1)
	v_cmp_ne_u32_e32 vcc_lo, 0x7f800000, v5
                                        ; implicit-def: $vgpr5
	s_and_saveexec_b32 s3, vcc_lo
	s_xor_b32 s3, exec_lo, s3
; %bb.97:
	v_bfe_u32 v5, v77, 16, 1
	s_delay_alu instid0(VALU_DEP_1)
	v_add3_u32 v5, v77, v5, 0x7fff
; %bb.98:
	s_and_not1_saveexec_b32 s3, s3
; %bb.99:
	v_and_b32_e32 v5, 0xffff, v77
	v_or_b32_e32 v6, 0x10000, v77
	s_delay_alu instid0(VALU_DEP_2) | instskip(NEXT) | instid1(VALU_DEP_2)
	v_cmp_eq_u32_e32 vcc_lo, 0, v5
	v_cndmask_b32_e32 v5, v6, v77, vcc_lo
; %bb.100:
	s_or_b32 exec_lo, exec_lo, s3
	v_and_b32_e32 v6, 0x7f800000, v78
	s_delay_alu instid0(VALU_DEP_1) | instskip(SKIP_1) | instid1(SALU_CYCLE_1)
	v_cmp_ne_u32_e32 vcc_lo, 0x7f800000, v6
                                        ; implicit-def: $vgpr6
	s_and_saveexec_b32 s3, vcc_lo
	s_xor_b32 s3, exec_lo, s3
; %bb.101:
	v_bfe_u32 v6, v78, 16, 1
	s_delay_alu instid0(VALU_DEP_1)
	v_add3_u32 v6, v78, v6, 0x7fff
; %bb.102:
	s_and_not1_saveexec_b32 s3, s3
; %bb.103:
	v_and_b32_e32 v6, 0xffff, v78
	v_or_b32_e32 v7, 0x10000, v78
	s_delay_alu instid0(VALU_DEP_2) | instskip(NEXT) | instid1(VALU_DEP_2)
	v_cmp_eq_u32_e32 vcc_lo, 0, v6
	v_cndmask_b32_e32 v6, v7, v78, vcc_lo
; %bb.104:
	s_or_b32 exec_lo, exec_lo, s3
	v_and_b32_e32 v7, 0x7f800000, v79
	s_delay_alu instid0(VALU_DEP_1) | instskip(SKIP_1) | instid1(SALU_CYCLE_1)
	v_cmp_ne_u32_e32 vcc_lo, 0x7f800000, v7
                                        ; implicit-def: $vgpr7
	s_and_saveexec_b32 s3, vcc_lo
	s_xor_b32 s3, exec_lo, s3
; %bb.105:
	v_bfe_u32 v7, v79, 16, 1
	s_delay_alu instid0(VALU_DEP_1)
	v_add3_u32 v7, v79, v7, 0x7fff
; %bb.106:
	s_and_not1_saveexec_b32 s3, s3
; %bb.107:
	v_and_b32_e32 v7, 0xffff, v79
	v_or_b32_e32 v8, 0x10000, v79
	s_delay_alu instid0(VALU_DEP_2) | instskip(NEXT) | instid1(VALU_DEP_2)
	v_cmp_eq_u32_e32 vcc_lo, 0, v7
	v_cndmask_b32_e32 v7, v8, v79, vcc_lo
; %bb.108:
	s_or_b32 exec_lo, exec_lo, s3
	v_and_b32_e32 v8, 0x7f800000, v80
	s_delay_alu instid0(VALU_DEP_1) | instskip(SKIP_1) | instid1(SALU_CYCLE_1)
	v_cmp_ne_u32_e32 vcc_lo, 0x7f800000, v8
                                        ; implicit-def: $vgpr8
	s_and_saveexec_b32 s3, vcc_lo
	s_xor_b32 s3, exec_lo, s3
; %bb.109:
	v_bfe_u32 v8, v80, 16, 1
	s_delay_alu instid0(VALU_DEP_1)
	v_add3_u32 v8, v80, v8, 0x7fff
                                        ; implicit-def: $vgpr73_vgpr74_vgpr75_vgpr76_vgpr77_vgpr78_vgpr79_vgpr80
; %bb.110:
	s_and_not1_saveexec_b32 s3, s3
; %bb.111:
	v_and_b32_e32 v8, 0xffff, v80
	v_or_b32_e32 v9, 0x10000, v80
	s_delay_alu instid0(VALU_DEP_2) | instskip(NEXT) | instid1(VALU_DEP_2)
	v_cmp_eq_u32_e32 vcc_lo, 0, v8
	v_cndmask_b32_e32 v8, v9, v80, vcc_lo
; %bb.112:
	s_or_b32 exec_lo, exec_lo, s3
	s_delay_alu instid0(VALU_DEP_1)
	v_perm_b32 v7, v8, v7, 0x7060302
	v_perm_b32 v6, v6, v5, 0x7060302
	;; [unrolled: 1-line block ×4, first 2 shown]
	v_lshl_or_b32 v9, v83, 4, v90
	s_barrier
	buffer_gl0_inv
	v_cmp_eq_u32_e32 vcc_lo, 1, v87
	ds_store_b128 v9, v[4:7]
	s_waitcnt lgkmcnt(0)
	s_barrier
	buffer_gl0_inv
	ds_load_b128 v[1:4], v90
	ds_load_b128 v[5:8], v90 offset:16
	v_cmp_eq_u32_e64 s4, 2, v87
	v_cmp_eq_u32_e64 s3, 1, v88
	;; [unrolled: 1-line block ×5, first 2 shown]
	s_waitcnt lgkmcnt(1)
	v_lshrrev_b32_e32 v10, 16, v1
	s_waitcnt lgkmcnt(0)
	v_lshrrev_b32_e32 v14, 16, v5
	v_lshrrev_b32_e32 v15, 16, v6
	;; [unrolled: 1-line block ×4, first 2 shown]
	v_cndmask_b32_e64 v20, v1, v10, s3
	v_cndmask_b32_e32 v19, v5, v14, vcc_lo
	v_cndmask_b32_e64 v21, v5, v14, s3
	v_lshrrev_b32_e32 v16, 16, v7
	v_cmp_eq_u32_e64 s3, 1, v86
	v_lshrrev_b32_e32 v13, 16, v4
	v_cndmask_b32_e64 v19, v19, v6, s4
	v_lshrrev_b32_e32 v17, 16, v8
	s_delay_alu instid0(VALU_DEP_4) | instskip(SKIP_1) | instid1(VALU_DEP_4)
	v_cndmask_b32_e64 v22, v1, v10, s3
	v_cndmask_b32_e64 v23, v5, v14, s3
	;; [unrolled: 1-line block ×3, first 2 shown]
	v_cndmask_b32_e32 v18, v1, v10, vcc_lo
	v_cmp_eq_u32_e32 vcc_lo, 2, v88
	v_cmp_eq_u32_e64 s3, 2, v89
	v_cndmask_b32_e64 v22, v22, v2, s7
	v_cndmask_b32_e32 v20, v20, v2, vcc_lo
	v_cndmask_b32_e32 v21, v21, v6, vcc_lo
	v_cmp_eq_u32_e32 vcc_lo, 4, v87
	v_cndmask_b32_e32 v19, v19, v7, vcc_lo
	v_cndmask_b32_e64 v18, v18, v2, s4
	v_cmp_eq_u32_e64 s4, 3, v88
	s_delay_alu instid0(VALU_DEP_2) | instskip(NEXT) | instid1(VALU_DEP_2)
	v_cndmask_b32_e64 v18, v18, v11, s5
	v_cndmask_b32_e64 v21, v21, v15, s4
	v_cmp_eq_u32_e64 s5, 5, v87
	s_delay_alu instid0(VALU_DEP_3) | instskip(SKIP_1) | instid1(VALU_DEP_3)
	v_cndmask_b32_e32 v18, v18, v3, vcc_lo
	v_cmp_eq_u32_e32 vcc_lo, 4, v88
	v_cndmask_b32_e64 v19, v19, v16, s5
	s_delay_alu instid0(VALU_DEP_3) | instskip(SKIP_4) | instid1(VALU_DEP_3)
	v_cndmask_b32_e64 v18, v18, v12, s5
	v_cndmask_b32_e32 v21, v21, v7, vcc_lo
	v_cndmask_b32_e64 v20, v20, v11, s4
	v_cmp_eq_u32_e64 s4, 5, v88
	v_cmp_eq_u32_e64 s5, 6, v87
	v_cndmask_b32_e32 v20, v20, v3, vcc_lo
	s_delay_alu instid0(VALU_DEP_3) | instskip(SKIP_1) | instid1(VALU_DEP_4)
	v_cndmask_b32_e64 v21, v21, v16, s4
	v_cmp_eq_u32_e32 vcc_lo, 6, v88
	v_cndmask_b32_e64 v18, v18, v4, s5
	v_cndmask_b32_e64 v19, v19, v8, s5
	;; [unrolled: 1-line block ×3, first 2 shown]
	v_cmp_eq_u32_e64 s4, 1, v89
	v_cmp_eq_u32_e64 s5, 7, v87
	s_delay_alu instid0(VALU_DEP_3) | instskip(NEXT) | instid1(VALU_DEP_3)
	v_cndmask_b32_e32 v20, v20, v4, vcc_lo
	v_cndmask_b32_e64 v1, v1, v10, s4
	v_cndmask_b32_e64 v5, v5, v14, s4
	v_cmp_eq_u32_e64 s4, 3, v86
	v_cndmask_b32_e64 v14, v23, v6, s7
	v_cmp_eq_u32_e64 s7, 3, v89
	v_cndmask_b32_e64 v1, v1, v2, s3
	v_cndmask_b32_e64 v2, v5, v6, s3
	;; [unrolled: 1-line block ×3, first 2 shown]
	v_cmp_eq_u32_e64 s3, 4, v86
	v_cndmask_b32_e64 v6, v14, v15, s4
	v_cndmask_b32_e64 v1, v1, v11, s7
	v_cmp_eq_u32_e64 s4, 4, v89
	v_cndmask_b32_e64 v2, v2, v15, s7
	v_cndmask_b32_e64 v5, v10, v3, s3
	;; [unrolled: 3-line block ×3, first 2 shown]
	v_cndmask_b32_e64 v2, v2, v7, s4
	v_cmp_eq_u32_e64 s3, 5, v89
	v_cndmask_b32_e64 v5, v5, v12, s7
	v_cmp_eq_u32_e64 s4, 6, v86
	v_cndmask_b32_e64 v3, v6, v16, s7
	v_cmp_eq_u32_e64 s7, 6, v89
	v_cndmask_b32_e64 v1, v1, v12, s3
	v_cndmask_b32_e64 v2, v2, v16, s3
	v_cndmask_b32_e64 v5, v5, v4, s4
	v_cndmask_b32_e64 v3, v3, v8, s4
	v_cmp_eq_u32_e64 s3, 7, v89
	v_cndmask_b32_e64 v1, v1, v4, s7
	v_cndmask_b32_e64 v2, v2, v8, s7
	v_cmp_eq_u32_e64 s4, 7, v86
	v_cndmask_b32_e32 v4, v21, v8, vcc_lo
	v_cndmask_b32_e64 v18, v18, v13, s5
	v_cndmask_b32_e64 v20, v20, v13, s6
	;; [unrolled: 1-line block ×8, first 2 shown]
	v_cmp_gt_u32_e32 vcc_lo, 32, v0
	v_perm_b32 v4, v2, v1, 0x5040100
	v_perm_b32 v3, v3, v5, 0x5040100
	;; [unrolled: 1-line block ×4, first 2 shown]
	s_and_b32 s2, vcc_lo, s2
	ds_store_b128 v9, v[1:4]
	s_waitcnt lgkmcnt(0)
	s_barrier
	buffer_gl0_inv
	s_and_saveexec_b32 s3, s2
	s_cbranch_execz .LBB527_2
; %bb.113:
	s_load_b64 s[0:1], s[0:1], 0x68
	s_lshl_b32 s4, s34, 6
	v_or_b32_e32 v2, s31, v83
	s_mul_i32 s2, s4, s30
	v_lshlrev_b32_e32 v0, 10, v0
	s_mul_i32 s2, s2, s8
	v_lshlrev_b32_e32 v1, 4, v84
	s_ashr_i32 s3, s2, 31
	v_mul_lo_u32 v20, v2, s4
	s_lshl_b64 s[2:3], s[2:3], 1
	v_lshlrev_b32_e32 v3, 6, v83
	v_and_b32_e32 v0, 0x3800, v0
	s_delay_alu instid0(VALU_DEP_1) | instskip(NEXT) | instid1(VALU_DEP_4)
	v_or3_b32 v16, v0, v1, v3
	v_ashrrev_i32_e32 v21, 31, v20
	ds_load_b128 v[0:3], v16
	ds_load_b128 v[4:7], v16 offset:128
	s_waitcnt lgkmcnt(0)
	s_add_u32 s2, s0, s2
	s_addc_u32 s3, s1, s3
	s_lshl_b32 s0, s14, 6
	ds_load_b128 v[8:11], v16 offset:256
	ds_load_b128 v[12:15], v16 offset:384
	;; [unrolled: 1-line block ×3, first 2 shown]
	s_ashr_i32 s1, s0, 31
	s_delay_alu instid0(SALU_CYCLE_1) | instskip(NEXT) | instid1(SALU_CYCLE_1)
	s_lshl_b64 s[0:1], s[0:1], 1
	s_add_u32 s0, s2, s0
	s_addc_u32 s1, s3, s1
	s_lshl_b32 s2, s34, 7
	v_add_co_u32 v30, vcc_lo, s0, v81
	v_add_nc_u32_e32 v22, s2, v20
	v_lshlrev_b64 v[20:21], 1, v[20:21]
	v_add_co_ci_u32_e32 v31, vcc_lo, s1, v82, vcc_lo
	s_delay_alu instid0(VALU_DEP_3) | instskip(SKIP_1) | instid1(VALU_DEP_4)
	v_add_nc_u32_e32 v24, s2, v22
	v_ashrrev_i32_e32 v23, 31, v22
	v_add_co_u32 v20, vcc_lo, v30, v20
	s_delay_alu instid0(VALU_DEP_4) | instskip(NEXT) | instid1(VALU_DEP_4)
	v_add_co_ci_u32_e32 v21, vcc_lo, v31, v21, vcc_lo
	v_add_nc_u32_e32 v26, s2, v24
	v_ashrrev_i32_e32 v25, 31, v24
	v_lshlrev_b64 v[22:23], 1, v[22:23]
	s_delay_alu instid0(VALU_DEP_3) | instskip(SKIP_1) | instid1(VALU_DEP_4)
	v_add_nc_u32_e32 v28, s2, v26
	v_ashrrev_i32_e32 v27, 31, v26
	v_lshlrev_b64 v[24:25], 1, v[24:25]
	s_delay_alu instid0(VALU_DEP_4) | instskip(NEXT) | instid1(VALU_DEP_4)
	v_add_co_u32 v22, vcc_lo, v30, v22
	v_ashrrev_i32_e32 v29, 31, v28
	s_delay_alu instid0(VALU_DEP_4) | instskip(SKIP_2) | instid1(VALU_DEP_4)
	v_lshlrev_b64 v[26:27], 1, v[26:27]
	v_add_co_ci_u32_e32 v23, vcc_lo, v31, v23, vcc_lo
	v_add_co_u32 v24, vcc_lo, v30, v24
	v_lshlrev_b64 v[28:29], 1, v[28:29]
	v_add_co_ci_u32_e32 v25, vcc_lo, v31, v25, vcc_lo
	v_add_co_u32 v26, vcc_lo, v30, v26
	v_add_co_ci_u32_e32 v27, vcc_lo, v31, v27, vcc_lo
	s_delay_alu instid0(VALU_DEP_4)
	v_add_co_u32 v28, vcc_lo, v30, v28
	v_add_co_ci_u32_e32 v29, vcc_lo, v31, v29, vcc_lo
	s_clause 0x1
	global_store_b128 v[20:21], v[0:3], off
	global_store_b128 v[22:23], v[4:7], off
	s_waitcnt lgkmcnt(2)
	global_store_b128 v[24:25], v[8:11], off
	s_waitcnt lgkmcnt(1)
	;; [unrolled: 2-line block ×3, first 2 shown]
	global_store_b128 v[28:29], v[16:19], off
	s_nop 0
	s_sendmsg sendmsg(MSG_DEALLOC_VGPRS)
	s_endpgm
	.section	.rodata,"a",@progbits
	.p2align	6, 0x0
	.amdhsa_kernel _Z39paged_attention_ll4mi_QKV_mfma16_kernelI14__hip_bfloat16S0_LN4vllm18Fp8KVCacheDataTypeE0EhLi32ELi64ELi256ELb0ELi10EL8MFMAType0EEvPKT_PKT0_S9_ifPKiSB_SB_iPKfiiiPfSE_PS4_PT2_iSD_SD_
		.amdhsa_group_segment_fixed_size 17472
		.amdhsa_private_segment_fixed_size 0
		.amdhsa_kernarg_size 400
		.amdhsa_user_sgpr_count 13
		.amdhsa_user_sgpr_dispatch_ptr 0
		.amdhsa_user_sgpr_queue_ptr 0
		.amdhsa_user_sgpr_kernarg_segment_ptr 1
		.amdhsa_user_sgpr_dispatch_id 0
		.amdhsa_user_sgpr_private_segment_size 0
		.amdhsa_wavefront_size32 1
		.amdhsa_uses_dynamic_stack 0
		.amdhsa_enable_private_segment 0
		.amdhsa_system_sgpr_workgroup_id_x 1
		.amdhsa_system_sgpr_workgroup_id_y 1
		.amdhsa_system_sgpr_workgroup_id_z 1
		.amdhsa_system_sgpr_workgroup_info 0
		.amdhsa_system_vgpr_workitem_id 0
		.amdhsa_next_free_vgpr 142
		.amdhsa_next_free_sgpr 38
		.amdhsa_reserve_vcc 1
		.amdhsa_float_round_mode_32 0
		.amdhsa_float_round_mode_16_64 0
		.amdhsa_float_denorm_mode_32 3
		.amdhsa_float_denorm_mode_16_64 3
		.amdhsa_dx10_clamp 1
		.amdhsa_ieee_mode 1
		.amdhsa_fp16_overflow 0
		.amdhsa_workgroup_processor_mode 1
		.amdhsa_memory_ordered 1
		.amdhsa_forward_progress 0
		.amdhsa_shared_vgpr_count 0
		.amdhsa_exception_fp_ieee_invalid_op 0
		.amdhsa_exception_fp_denorm_src 0
		.amdhsa_exception_fp_ieee_div_zero 0
		.amdhsa_exception_fp_ieee_overflow 0
		.amdhsa_exception_fp_ieee_underflow 0
		.amdhsa_exception_fp_ieee_inexact 0
		.amdhsa_exception_int_div_zero 0
	.end_amdhsa_kernel
	.section	.text._Z39paged_attention_ll4mi_QKV_mfma16_kernelI14__hip_bfloat16S0_LN4vllm18Fp8KVCacheDataTypeE0EhLi32ELi64ELi256ELb0ELi10EL8MFMAType0EEvPKT_PKT0_S9_ifPKiSB_SB_iPKfiiiPfSE_PS4_PT2_iSD_SD_,"axG",@progbits,_Z39paged_attention_ll4mi_QKV_mfma16_kernelI14__hip_bfloat16S0_LN4vllm18Fp8KVCacheDataTypeE0EhLi32ELi64ELi256ELb0ELi10EL8MFMAType0EEvPKT_PKT0_S9_ifPKiSB_SB_iPKfiiiPfSE_PS4_PT2_iSD_SD_,comdat
.Lfunc_end527:
	.size	_Z39paged_attention_ll4mi_QKV_mfma16_kernelI14__hip_bfloat16S0_LN4vllm18Fp8KVCacheDataTypeE0EhLi32ELi64ELi256ELb0ELi10EL8MFMAType0EEvPKT_PKT0_S9_ifPKiSB_SB_iPKfiiiPfSE_PS4_PT2_iSD_SD_, .Lfunc_end527-_Z39paged_attention_ll4mi_QKV_mfma16_kernelI14__hip_bfloat16S0_LN4vllm18Fp8KVCacheDataTypeE0EhLi32ELi64ELi256ELb0ELi10EL8MFMAType0EEvPKT_PKT0_S9_ifPKiSB_SB_iPKfiiiPfSE_PS4_PT2_iSD_SD_
                                        ; -- End function
	.section	.AMDGPU.csdata,"",@progbits
; Kernel info:
; codeLenInByte = 9444
; NumSgprs: 40
; NumVgprs: 142
; ScratchSize: 0
; MemoryBound: 0
; FloatMode: 240
; IeeeMode: 1
; LDSByteSize: 17472 bytes/workgroup (compile time only)
; SGPRBlocks: 4
; VGPRBlocks: 17
; NumSGPRsForWavesPerEU: 40
; NumVGPRsForWavesPerEU: 142
; Occupancy: 10
; WaveLimiterHint : 1
; COMPUTE_PGM_RSRC2:SCRATCH_EN: 0
; COMPUTE_PGM_RSRC2:USER_SGPR: 13
; COMPUTE_PGM_RSRC2:TRAP_HANDLER: 0
; COMPUTE_PGM_RSRC2:TGID_X_EN: 1
; COMPUTE_PGM_RSRC2:TGID_Y_EN: 1
; COMPUTE_PGM_RSRC2:TGID_Z_EN: 1
; COMPUTE_PGM_RSRC2:TIDIG_COMP_CNT: 0
	.section	.text._Z39paged_attention_ll4mi_QKV_mfma16_kernelI14__hip_bfloat16S0_LN4vllm18Fp8KVCacheDataTypeE0EhLi32ELi64ELi256ELb0ELi11EL8MFMAType0EEvPKT_PKT0_S9_ifPKiSB_SB_iPKfiiiPfSE_PS4_PT2_iSD_SD_,"axG",@progbits,_Z39paged_attention_ll4mi_QKV_mfma16_kernelI14__hip_bfloat16S0_LN4vllm18Fp8KVCacheDataTypeE0EhLi32ELi64ELi256ELb0ELi11EL8MFMAType0EEvPKT_PKT0_S9_ifPKiSB_SB_iPKfiiiPfSE_PS4_PT2_iSD_SD_,comdat
	.protected	_Z39paged_attention_ll4mi_QKV_mfma16_kernelI14__hip_bfloat16S0_LN4vllm18Fp8KVCacheDataTypeE0EhLi32ELi64ELi256ELb0ELi11EL8MFMAType0EEvPKT_PKT0_S9_ifPKiSB_SB_iPKfiiiPfSE_PS4_PT2_iSD_SD_ ; -- Begin function _Z39paged_attention_ll4mi_QKV_mfma16_kernelI14__hip_bfloat16S0_LN4vllm18Fp8KVCacheDataTypeE0EhLi32ELi64ELi256ELb0ELi11EL8MFMAType0EEvPKT_PKT0_S9_ifPKiSB_SB_iPKfiiiPfSE_PS4_PT2_iSD_SD_
	.globl	_Z39paged_attention_ll4mi_QKV_mfma16_kernelI14__hip_bfloat16S0_LN4vllm18Fp8KVCacheDataTypeE0EhLi32ELi64ELi256ELb0ELi11EL8MFMAType0EEvPKT_PKT0_S9_ifPKiSB_SB_iPKfiiiPfSE_PS4_PT2_iSD_SD_
	.p2align	8
	.type	_Z39paged_attention_ll4mi_QKV_mfma16_kernelI14__hip_bfloat16S0_LN4vllm18Fp8KVCacheDataTypeE0EhLi32ELi64ELi256ELb0ELi11EL8MFMAType0EEvPKT_PKT0_S9_ifPKiSB_SB_iPKfiiiPfSE_PS4_PT2_iSD_SD_,@function
_Z39paged_attention_ll4mi_QKV_mfma16_kernelI14__hip_bfloat16S0_LN4vllm18Fp8KVCacheDataTypeE0EhLi32ELi64ELi256ELb0ELi11EL8MFMAType0EEvPKT_PKT0_S9_ifPKiSB_SB_iPKfiiiPfSE_PS4_PT2_iSD_SD_: ; @_Z39paged_attention_ll4mi_QKV_mfma16_kernelI14__hip_bfloat16S0_LN4vllm18Fp8KVCacheDataTypeE0EhLi32ELi64ELi256ELb0ELi11EL8MFMAType0EEvPKT_PKT0_S9_ifPKiSB_SB_iPKfiiiPfSE_PS4_PT2_iSD_SD_
; %bb.0:
	s_load_b64 s[2:3], s[0:1], 0x30
	s_mov_b32 s34, s13
	s_waitcnt lgkmcnt(0)
	s_cmp_lg_u64 s[2:3], 0
	s_cselect_b32 s6, -1, 0
	s_ashr_i32 s35, s13, 31
	s_cmp_eq_u64 s[2:3], 0
	s_cbranch_scc1 .LBB528_3
; %bb.1:
	s_lshl_b64 s[4:5], s[34:35], 2
	s_delay_alu instid0(SALU_CYCLE_1) | instskip(SKIP_4) | instid1(SALU_CYCLE_1)
	s_add_u32 s4, s2, s4
	s_addc_u32 s5, s3, s5
	s_load_b64 s[4:5], s[4:5], 0x0
	s_waitcnt lgkmcnt(0)
	s_sub_i32 s4, s5, s4
	s_cmp_eq_u32 s4, 1
	s_cselect_b32 s4, -1, 0
	s_delay_alu instid0(SALU_CYCLE_1)
	s_and_not1_b32 vcc_lo, exec_lo, s4
	s_cbranch_vccz .LBB528_4
.LBB528_2:
	s_nop 0
	s_sendmsg sendmsg(MSG_DEALLOC_VGPRS)
	s_endpgm
.LBB528_3:
.LBB528_4:
	s_load_b64 s[8:9], s[0:1], 0x28
	s_lshl_b64 s[4:5], s[34:35], 2
	s_waitcnt lgkmcnt(0)
	s_add_u32 s8, s8, s4
	s_addc_u32 s9, s9, s5
	s_lshl_b32 s16, s14, 8
	s_load_b32 s18, s[8:9], 0x0
	s_waitcnt lgkmcnt(0)
	s_cmp_ge_i32 s16, s18
	s_cbranch_scc1 .LBB528_2
; %bb.5:
	s_and_not1_b32 vcc_lo, exec_lo, s6
	s_cbranch_vccnz .LBB528_7
; %bb.6:
	s_add_u32 s2, s2, s4
	s_addc_u32 s3, s3, s5
	s_load_b32 s17, s[2:3], 0x0
	s_branch .LBB528_8
.LBB528_7:
	s_mov_b32 s17, s34
.LBB528_8:
	s_clause 0x2
	s_load_b128 s[8:11], s[0:1], 0x8
	s_load_b64 s[12:13], s[0:1], 0x20
	s_load_b128 s[4:7], s[0:1], 0x48
	v_lshrrev_b32_e32 v74, 5, v0
	v_bfe_u32 v83, v0, 4, 1
	v_and_b32_e32 v73, 15, v0
	s_delay_alu instid0(VALU_DEP_2) | instskip(NEXT) | instid1(VALU_DEP_2)
	v_lshl_or_b32 v3, v74, 1, v83
	v_cmp_lt_u32_e64 s3, 7, v73
	v_lshlrev_b32_e32 v1, 3, v73
	v_cmp_gt_u32_e64 s2, 8, v73
	s_delay_alu instid0(VALU_DEP_4) | instskip(NEXT) | instid1(VALU_DEP_4)
	v_cmp_lt_u32_e32 vcc_lo, 10, v3
	s_or_b32 s3, s3, vcc_lo
	s_waitcnt lgkmcnt(0)
	s_and_saveexec_b32 s7, s3
	s_delay_alu instid0(SALU_CYCLE_1)
	s_xor_b32 s3, exec_lo, s7
; %bb.9:
	v_mov_b32_e32 v2, 0
                                        ; implicit-def: $vgpr3
; %bb.10:
	s_or_saveexec_b32 s3, s3
	v_and_b32_e32 v75, 31, v0
	v_and_b32_e32 v84, 1, v0
	s_mul_i32 s31, s15, 11
	s_xor_b32 exec_lo, exec_lo, s3
	s_cbranch_execz .LBB528_12
; %bb.11:
	s_load_b64 s[20:21], s[0:1], 0x0
	v_add_lshl_u32 v4, v3, s31, 6
	s_mul_hi_i32 s23, s17, s4
	s_mul_i32 s22, s17, s4
	v_lshlrev_b32_e32 v2, 1, v1
	s_lshl_b64 s[22:23], s[22:23], 1
	v_ashrrev_i32_e32 v5, 31, v4
	v_lshlrev_b32_e32 v3, 6, v3
	v_lshlrev_b32_e32 v8, 10, v84
	s_delay_alu instid0(VALU_DEP_3) | instskip(SKIP_3) | instid1(VALU_DEP_1)
	v_lshlrev_b64 v[4:5], 1, v[4:5]
	s_waitcnt lgkmcnt(0)
	s_add_u32 s4, s20, s22
	s_addc_u32 s7, s21, s23
	v_add_co_u32 v4, vcc_lo, s4, v4
	s_delay_alu instid0(VALU_DEP_2) | instskip(NEXT) | instid1(VALU_DEP_2)
	v_add_co_ci_u32_e32 v5, vcc_lo, s7, v5, vcc_lo
	v_add_co_u32 v4, vcc_lo, v4, v2
	s_delay_alu instid0(VALU_DEP_2) | instskip(SKIP_3) | instid1(VALU_DEP_1)
	v_add_co_ci_u32_e32 v5, vcc_lo, 0, v5, vcc_lo
	v_lshlrev_b32_e32 v2, 10, v73
	global_load_b128 v[4:7], v[4:5], off
	v_and_b32_e32 v2, 0x3800, v2
	v_or3_b32 v3, v2, v8, v3
	v_mov_b32_e32 v2, 0
	s_waitcnt vmcnt(0)
	ds_store_b128 v3, v[4:7]
.LBB528_12:
	s_or_b32 exec_lo, exec_lo, s3
	v_and_b32_e32 v3, 0xef, v0
	s_add_i32 s3, s18, 31
	s_clause 0x1
	s_load_b32 s4, s[0:1], 0x38
	s_load_b32 s19, s[0:1], 0x1c
	s_ashr_i32 s7, s3, 31
	v_add_nc_u32_e32 v3, s16, v3
	s_lshr_b32 s7, s7, 27
	s_waitcnt lgkmcnt(0)
	s_add_i32 s3, s3, s7
	s_barrier
	v_ashrrev_i32_e32 v4, 31, v3
	v_cmp_gt_i32_e32 vcc_lo, s18, v3
	s_ashr_i32 s3, s3, 5
	buffer_gl0_inv
	s_add_i32 s3, s3, -1
	v_lshrrev_b32_e32 v5, 27, v4
	v_or_b32_e32 v4, 16, v3
	s_mul_i32 s6, s15, s6
	v_lshlrev_b64 v[81:82], 1, v[1:2]
	s_delay_alu instid0(VALU_DEP_3) | instskip(NEXT) | instid1(VALU_DEP_3)
	v_add_nc_u32_e32 v6, v3, v5
	v_add_nc_u32_e32 v5, v4, v5
	s_mul_i32 s20, s34, s4
	s_delay_alu instid0(SALU_CYCLE_1) | instskip(NEXT) | instid1(VALU_DEP_2)
	s_ashr_i32 s21, s20, 31
	v_ashrrev_i32_e32 v6, 5, v6
	s_delay_alu instid0(VALU_DEP_2) | instskip(SKIP_1) | instid1(SALU_CYCLE_1)
	v_ashrrev_i32_e32 v5, 5, v5
	s_lshl_b64 s[20:21], s[20:21], 2
	s_add_u32 s4, s12, s20
	s_delay_alu instid0(VALU_DEP_2) | instskip(SKIP_3) | instid1(SALU_CYCLE_1)
	v_cndmask_b32_e32 v3, s3, v6, vcc_lo
	v_cmp_gt_i32_e32 vcc_lo, s18, v4
	s_addc_u32 s17, s13, s21
	s_ashr_i32 s7, s6, 31
	s_lshl_b64 s[6:7], s[6:7], 1
	v_cndmask_b32_e32 v5, s3, v5, vcc_lo
	v_ashrrev_i32_e32 v4, 31, v3
	s_add_u32 s15, s8, s6
	s_addc_u32 s28, s9, s7
	s_lshl_b32 s8, s14, 3
	v_ashrrev_i32_e32 v6, 31, v5
	v_lshlrev_b64 v[3:4], 2, v[3:4]
	s_ashr_i32 s9, s8, 31
	s_delay_alu instid0(SALU_CYCLE_1) | instskip(NEXT) | instid1(VALU_DEP_2)
	s_lshl_b64 s[8:9], s[8:9], 2
	v_lshlrev_b64 v[5:6], 2, v[5:6]
	s_add_u32 s8, s4, s8
	s_delay_alu instid0(VALU_DEP_2) | instskip(SKIP_1) | instid1(VALU_DEP_3)
	v_add_co_u32 v3, vcc_lo, s4, v3
	v_add_co_ci_u32_e32 v4, vcc_lo, s17, v4, vcc_lo
	v_add_co_u32 v5, vcc_lo, s4, v5
	s_delay_alu instid0(VALU_DEP_4)
	v_add_co_ci_u32_e32 v6, vcc_lo, s17, v6, vcc_lo
	s_addc_u32 s9, s17, s9
	s_clause 0x1
	global_load_b32 v7, v[3:4], off
	global_load_b32 v8, v[5:6], off
	s_or_b32 s12, s16, 32
	s_delay_alu instid0(SALU_CYCLE_1) | instskip(SKIP_2) | instid1(SALU_CYCLE_1)
	s_ashr_i32 s13, s12, 5
	s_cmp_lt_i32 s12, s18
	s_cselect_b32 s12, s13, s3
	s_ashr_i32 s13, s12, 31
	s_delay_alu instid0(SALU_CYCLE_1) | instskip(NEXT) | instid1(SALU_CYCLE_1)
	s_lshl_b64 s[12:13], s[12:13], 2
	s_add_u32 s12, s4, s12
	s_addc_u32 s13, s17, s13
	s_or_b32 s20, s16, 64
	s_delay_alu instid0(SALU_CYCLE_1) | instskip(SKIP_2) | instid1(SALU_CYCLE_1)
	s_ashr_i32 s21, s20, 5
	s_cmp_lt_i32 s20, s18
	s_cselect_b32 s20, s21, s3
	s_ashr_i32 s21, s20, 31
	s_delay_alu instid0(SALU_CYCLE_1) | instskip(NEXT) | instid1(SALU_CYCLE_1)
	s_lshl_b64 s[20:21], s[20:21], 2
	s_add_u32 s20, s4, s20
	s_addc_u32 s21, s17, s21
	;; [unrolled: 10-line block ×5, first 2 shown]
	s_clause 0x5
	s_load_b32 s29, s[8:9], 0x0
	s_load_b32 s30, s[12:13], 0x0
	;; [unrolled: 1-line block ×6, first 2 shown]
	s_mov_b32 s20, 0
	s_or_b32 s8, s16, 0xc0
	s_mov_b32 s21, s20
	s_mov_b32 s22, s20
	;; [unrolled: 1-line block ×7, first 2 shown]
	s_ashr_i32 s9, s8, 5
	v_mov_b32_e32 v117, s27
	s_cmp_lt_i32 s8, s18
	v_mov_b32_e32 v116, s26
	s_cselect_b32 s8, s9, s3
	v_mov_b32_e32 v115, s25
	s_ashr_i32 s9, s8, 31
	v_dual_mov_b32 v114, s24 :: v_dual_mov_b32 v113, s23
	v_dual_mov_b32 v112, s22 :: v_dual_mov_b32 v111, s21
	s_lshl_b64 s[8:9], s[8:9], 2
	s_waitcnt lgkmcnt(0)
	s_mul_hi_i32 s13, s29, s5
	s_add_u32 s8, s4, s8
	s_addc_u32 s9, s17, s9
	s_mul_i32 s12, s29, s5
	s_mul_hi_i32 s37, s38, s5
	v_mov_b32_e32 v110, s20
	s_mul_hi_i32 s21, s30, s5
	s_mul_i32 s20, s30, s5
	s_mul_hi_i32 s25, s33, s5
	s_mul_i32 s24, s33, s5
	;; [unrolled: 2-line block ×3, first 2 shown]
	s_waitcnt vmcnt(1)
	v_mad_i64_i32 v[3:4], null, v7, s5, 0
	s_waitcnt vmcnt(0)
	v_mad_i64_i32 v[5:6], null, v8, s5, 0
	s_delay_alu instid0(VALU_DEP_2) | instskip(NEXT) | instid1(VALU_DEP_2)
	v_lshlrev_b64 v[3:4], 1, v[3:4]
	v_lshlrev_b64 v[1:2], 1, v[5:6]
	s_delay_alu instid0(VALU_DEP_2) | instskip(NEXT) | instid1(VALU_DEP_3)
	v_add_co_u32 v3, vcc_lo, s15, v3
	v_add_co_ci_u32_e32 v4, vcc_lo, s28, v4, vcc_lo
	s_delay_alu instid0(VALU_DEP_3) | instskip(NEXT) | instid1(VALU_DEP_4)
	v_add_co_u32 v1, vcc_lo, s15, v1
	v_add_co_ci_u32_e32 v2, vcc_lo, s28, v2, vcc_lo
	s_delay_alu instid0(VALU_DEP_4) | instskip(NEXT) | instid1(VALU_DEP_4)
	v_add_co_u32 v41, vcc_lo, v3, v81
	v_add_co_ci_u32_e32 v42, vcc_lo, v4, v82, vcc_lo
	s_delay_alu instid0(VALU_DEP_4) | instskip(NEXT) | instid1(VALU_DEP_4)
	v_add_co_u32 v43, vcc_lo, v1, v81
	v_add_co_ci_u32_e32 v44, vcc_lo, v2, v82, vcc_lo
	s_clause 0xf
	global_load_b128 v[1:4], v[41:42], off
	global_load_b128 v[5:8], v[41:42], off offset:512
	global_load_b128 v[9:12], v[43:44], off offset:256
	;; [unrolled: 1-line block ×15, first 2 shown]
	v_add_nc_u32_e32 v41, -11, v73
	v_cmp_gt_u32_e32 vcc_lo, 11, v73
	s_or_b32 s15, s16, 0xe0
	s_delay_alu instid0(SALU_CYCLE_1) | instskip(SKIP_3) | instid1(SALU_CYCLE_1)
	s_ashr_i32 s22, s15, 5
	s_cmp_lt_i32 s15, s18
	v_cndmask_b32_e32 v41, v41, v73, vcc_lo
	s_cselect_b32 s22, s22, s3
	s_ashr_i32 s23, s22, 31
	s_delay_alu instid0(VALU_DEP_1)
	v_lshlrev_b32_e32 v57, 6, v41
	ds_load_b128 v[41:44], v57
	ds_load_b128 v[45:48], v57 offset:1024
	ds_load_b128 v[49:52], v57 offset:2048
	;; [unrolled: 1-line block ×7, first 2 shown]
	s_lshl_b64 s[22:23], s[22:23], 2
	s_delay_alu instid0(SALU_CYCLE_1) | instskip(SKIP_2) | instid1(SALU_CYCLE_1)
	s_add_u32 s22, s4, s22
	s_addc_u32 s23, s17, s23
	s_add_i32 s15, s16, 0x100
	s_ashr_i32 s28, s15, 5
	s_cmp_lt_i32 s15, s18
	s_load_b32 s15, s[8:9], 0x0
	s_cselect_b32 s28, s28, s3
	s_mul_hi_i32 s9, s36, s5
	s_ashr_i32 s29, s28, 31
	s_mul_i32 s8, s36, s5
	s_lshl_b64 s[28:29], s[28:29], 2
	s_mul_i32 s36, s38, s5
	s_add_u32 s28, s4, s28
	s_addc_u32 s29, s17, s29
	s_add_u32 s3, s10, s6
	s_clause 0x1
	s_load_b32 s4, s[22:23], 0x0
	s_load_b32 s17, s[28:29], 0x0
	s_addc_u32 s28, s11, s7
	s_lshl_b64 s[6:7], s[12:13], 1
	s_lshl_b64 s[10:11], s[20:21], 1
	;; [unrolled: 1-line block ×6, first 2 shown]
	s_waitcnt lgkmcnt(0)
	s_mul_hi_i32 s25, s15, s5
	s_mul_i32 s24, s15, s5
	s_waitcnt vmcnt(14)
	v_wmma_f32_16x16x16_bf16 v[134:141], v[1:8], v[41:48], v[110:117]
	s_waitcnt vmcnt(10)
	s_delay_alu instid0(VALU_DEP_1) | instskip(SKIP_1) | instid1(VALU_DEP_1)
	v_wmma_f32_16x16x16_bf16 v[134:141], v[17:24], v[49:56], v[134:141]
	s_waitcnt vmcnt(6)
	v_wmma_f32_16x16x16_bf16 v[134:141], v[33:40], v[118:125], v[134:141]
	s_waitcnt vmcnt(2)
	s_delay_alu instid0(VALU_DEP_1) | instskip(SKIP_1) | instid1(VALU_DEP_2)
	v_wmma_f32_16x16x16_bf16 v[134:141], v[94:101], v[126:133], v[134:141]
	v_lshlrev_b32_e32 v85, 6, v73
	v_mul_f32_e32 v100, s19, v141
	s_delay_alu instid0(VALU_DEP_2) | instskip(SKIP_2) | instid1(VALU_DEP_3)
	v_lshl_or_b32 v58, v74, 10, v85
	v_wmma_f32_16x16x16_bf16 v[110:117], v[9:16], v[41:48], v[110:117]
	v_mul_f32_e32 v99, s19, v135
	v_add_co_u32 v76, s3, s3, v58
	s_delay_alu instid0(VALU_DEP_1) | instskip(NEXT) | instid1(VALU_DEP_4)
	v_add_co_ci_u32_e64 v77, null, s28, 0, s3
	v_wmma_f32_16x16x16_bf16 v[110:117], v[25:32], v[49:56], v[110:117]
	s_delay_alu instid0(VALU_DEP_3) | instskip(NEXT) | instid1(VALU_DEP_3)
	v_add_co_u32 v57, vcc_lo, v76, s6
	v_add_co_ci_u32_e32 v58, vcc_lo, s7, v77, vcc_lo
	v_add_co_u32 v1, vcc_lo, v76, s10
	v_add_co_ci_u32_e32 v2, vcc_lo, s11, v77, vcc_lo
	;; [unrolled: 2-line block ×5, first 2 shown]
	s_clause 0x9
	global_load_b128 v[65:68], v[57:58], off
	global_load_b128 v[69:72], v[57:58], off offset:16
	global_load_b128 v[57:60], v[1:2], off
	global_load_b128 v[61:64], v[1:2], off offset:16
	;; [unrolled: 2-line block ×5, first 2 shown]
	v_add_co_u32 v5, vcc_lo, v76, s22
	s_lshl_b64 s[6:7], s[24:25], 1
	v_add_co_ci_u32_e32 v6, vcc_lo, s23, v77, vcc_lo
	s_mul_hi_i32 s9, s4, s5
	s_mul_i32 s8, s4, s5
	v_add_co_u32 v17, vcc_lo, v76, s6
	v_add_co_ci_u32_e32 v18, vcc_lo, s7, v77, vcc_lo
	s_lshl_b64 s[6:7], s[8:9], 1
	s_mul_hi_i32 s9, s17, s5
	s_mul_i32 s8, s17, s5
	v_add_co_u32 v19, vcc_lo, v76, s6
	s_lshl_b64 s[4:5], s[8:9], 1
	v_add_co_ci_u32_e32 v20, vcc_lo, s7, v77, vcc_lo
	v_add_co_u32 v21, vcc_lo, v76, s4
	v_add_co_ci_u32_e32 v22, vcc_lo, s5, v77, vcc_lo
	s_clause 0x7
	global_load_b128 v[1:4], v[5:6], off
	global_load_b128 v[5:8], v[5:6], off offset:16
	global_load_b128 v[33:36], v[17:18], off
	global_load_b128 v[37:40], v[17:18], off offset:16
	;; [unrolled: 2-line block ×4, first 2 shown]
	v_and_b32_e32 v76, 0xe0, v0
	v_mbcnt_lo_u32_b32 v77, -1, 0
	v_wmma_f32_16x16x16_bf16 v[110:117], v[86:93], v[118:125], v[110:117]
	s_waitcnt vmcnt(0)
	s_barrier
	v_add_nc_u32_e32 v76, s16, v76
	v_xor_b32_e32 v78, 16, v77
	v_wmma_f32_16x16x16_bf16 v[110:117], v[102:109], v[126:133], v[110:117]
	v_mul_f32_e32 v97, s19, v134
	buffer_gl0_inv
	v_or_b32_e32 v76, v76, v83
	v_cmp_gt_i32_e32 vcc_lo, 32, v78
	s_delay_alu instid0(VALU_DEP_2)
	v_or_b32_e32 v79, 4, v76
	v_cndmask_b32_e32 v77, v77, v78, vcc_lo
	v_or_b32_e32 v78, 2, v76
	v_or_b32_e32 v80, 6, v76
	v_cmp_gt_i32_e32 vcc_lo, s18, v76
	v_or_b32_e32 v86, 8, v76
	v_or_b32_e32 v87, 10, v76
	v_cmp_gt_i32_e64 s3, s18, v78
	v_or_b32_e32 v88, 12, v76
	v_or_b32_e32 v89, 14, v76
	;; [unrolled: 1-line block ×10, first 2 shown]
	v_cndmask_b32_e32 v76, 0xff7fffff, v97, vcc_lo
	v_cndmask_b32_e64 v78, 0xff7fffff, v99, s3
	v_mul_f32_e32 v99, s19, v137
	v_cmp_gt_i32_e64 s4, s18, v80
	v_mul_f32_e32 v80, s19, v136
	v_cmp_gt_i32_e64 s5, s18, v79
	v_max3_f32 v76, v76, 0xff7fffff, v78
	v_dual_mul_f32 v78, s19, v138 :: v_dual_mul_f32 v79, s19, v139
	v_cndmask_b32_e64 v99, 0xff7fffff, v99, s4
	s_delay_alu instid0(VALU_DEP_4)
	v_cndmask_b32_e64 v80, 0xff7fffff, v80, s5
	v_cmp_gt_i32_e64 s6, s18, v86
	v_cmp_gt_i32_e64 s7, s18, v87
	v_mul_f32_e32 v97, s19, v140
	v_cmp_gt_i32_e64 s8, s18, v89
	v_max3_f32 v76, v76, v80, v99
	v_cndmask_b32_e64 v78, 0xff7fffff, v78, s6
	v_cndmask_b32_e64 v79, 0xff7fffff, v79, s7
	v_cmp_gt_i32_e64 s9, s18, v88
	v_dual_mul_f32 v88, s19, v111 :: v_dual_mul_f32 v89, s19, v110
	v_cndmask_b32_e64 v100, 0xff7fffff, v100, s8
	s_delay_alu instid0(VALU_DEP_4) | instskip(NEXT) | instid1(VALU_DEP_4)
	v_max3_f32 v76, v76, v78, v79
	v_cndmask_b32_e64 v97, 0xff7fffff, v97, s9
	v_cmp_gt_i32_e64 s10, s18, v90
	v_cmp_gt_i32_e64 s11, s18, v91
	v_dual_mul_f32 v78, s19, v113 :: v_dual_mul_f32 v79, s19, v112
	s_delay_alu instid0(VALU_DEP_4) | instskip(NEXT) | instid1(VALU_DEP_4)
	v_max3_f32 v76, v76, v97, v100
	v_cndmask_b32_e64 v89, 0xff7fffff, v89, s10
	s_delay_alu instid0(VALU_DEP_4)
	v_cndmask_b32_e64 v88, 0xff7fffff, v88, s11
	v_cmp_gt_i32_e64 s12, s18, v92
	v_cmp_gt_i32_e64 s13, s18, v93
	v_mul_f32_e32 v87, s19, v115
	v_mul_f32_e32 v99, s19, v114
	v_max3_f32 v76, v76, v89, v88
	v_cndmask_b32_e64 v79, 0xff7fffff, v79, s12
	v_cndmask_b32_e64 v78, 0xff7fffff, v78, s13
	v_cmp_gt_i32_e64 s15, s18, v94
	v_cmp_gt_i32_e64 s16, s18, v95
	v_mul_f32_e32 v80, s19, v117
	v_mul_f32_e32 v86, s19, v116
	v_max3_f32 v76, v76, v79, v78
	v_cndmask_b32_e64 v88, 0xff7fffff, v99, s15
	v_cndmask_b32_e64 v87, 0xff7fffff, v87, s16
	v_cmp_gt_i32_e64 s17, s18, v96
	v_cmp_gt_i32_e64 s18, s18, v98
	v_lshlrev_b32_e32 v99, 2, v77
	s_delay_alu instid0(VALU_DEP_4) | instskip(NEXT) | instid1(VALU_DEP_4)
	v_max3_f32 v76, v76, v88, v87
	v_cndmask_b32_e64 v78, 0xff7fffff, v86, s17
	s_delay_alu instid0(VALU_DEP_4) | instskip(NEXT) | instid1(VALU_DEP_1)
	v_cndmask_b32_e64 v79, 0xff7fffff, v80, s18
	v_max3_f32 v76, v76, v78, v79
	ds_bpermute_b32 v77, v99, v76
	s_waitcnt lgkmcnt(0)
	v_max_f32_e32 v77, v77, v77
	s_delay_alu instid0(VALU_DEP_1) | instskip(NEXT) | instid1(VALU_DEP_1)
	v_max_f32_e32 v76, v76, v77
	v_fma_f32 v77, s19, v134, -v76
	v_fma_f32 v78, s19, v135, -v76
	;; [unrolled: 1-line block ×5, first 2 shown]
	s_delay_alu instid0(VALU_DEP_4) | instskip(SKIP_1) | instid1(VALU_DEP_4)
	v_dual_mul_f32 v77, 0x3fb8aa3b, v77 :: v_dual_mul_f32 v78, 0x3fb8aa3b, v78
	v_fma_f32 v88, s19, v114, -v76
	v_dual_mul_f32 v79, 0x3fb8aa3b, v79 :: v_dual_mul_f32 v80, 0x3fb8aa3b, v80
	s_delay_alu instid0(VALU_DEP_3) | instskip(NEXT) | instid1(VALU_DEP_3)
	v_exp_f32_e32 v77, v77
	v_exp_f32_e32 v78, v78
	s_delay_alu instid0(VALU_DEP_2) | instskip(NEXT) | instid1(VALU_DEP_2)
	v_mul_f32_e32 v88, 0x3fb8aa3b, v88
	v_exp_f32_e32 v79, v79
	v_mul_f32_e32 v86, 0x3fb8aa3b, v86
	v_exp_f32_e32 v80, v80
	v_fma_f32 v87, s19, v140, -v76
	v_fma_f32 v100, s19, v117, -v76
	;; [unrolled: 1-line block ×3, first 2 shown]
	v_exp_f32_e32 v86, v86
	v_cndmask_b32_e32 v92, 0, v77, vcc_lo
	v_fma_f32 v77, s19, v139, -v76
	v_cndmask_b32_e64 v91, 0, v78, s3
	v_cndmask_b32_e64 v93, 0, v79, s5
	v_fma_f32 v79, s19, v141, -v76
	s_delay_alu instid0(VALU_DEP_4) | instskip(SKIP_2) | instid1(TRANS32_DEP_1)
	v_dual_add_f32 v78, 0, v92 :: v_dual_mul_f32 v77, 0x3fb8aa3b, v77
	v_cndmask_b32_e64 v95, 0, v80, s4
	v_mul_f32_e32 v87, 0x3fb8aa3b, v87
	v_cndmask_b32_e64 v96, 0, v86, s6
	s_delay_alu instid0(VALU_DEP_4)
	v_add_f32_e32 v78, v78, v91
	v_exp_f32_e32 v77, v77
	v_fma_f32 v86, s19, v111, -v76
	v_fma_f32 v80, s19, v110, -v76
	v_exp_f32_e32 v87, v87
	v_add_f32_e32 v78, v78, v93
	v_mul_f32_e32 v100, 0x3fb8aa3b, v100
	v_mul_f32_e32 v86, 0x3fb8aa3b, v86
	;; [unrolled: 1-line block ×3, first 2 shown]
	v_exp_f32_e32 v88, v88
	v_add_f32_e32 v78, v78, v95
	v_cndmask_b32_e64 v97, 0, v77, s7
	v_exp_f32_e32 v86, v86
	v_exp_f32_e32 v80, v80
	v_cndmask_b32_e64 v94, 0, v87, s9
	v_add_f32_e32 v77, v78, v96
	v_fma_f32 v78, s19, v112, -v76
	v_fma_f32 v87, s19, v113, -v76
	v_exp_f32_e32 v100, v100
	v_cmp_gt_u32_e64 s3, 16, v75
	s_delay_alu instid0(VALU_DEP_3) | instskip(NEXT) | instid1(VALU_DEP_3)
	v_dual_add_f32 v77, v77, v97 :: v_dual_mul_f32 v78, 0x3fb8aa3b, v78
	v_mul_f32_e32 v87, 0x3fb8aa3b, v87
	s_delay_alu instid0(VALU_DEP_2) | instskip(SKIP_2) | instid1(VALU_DEP_3)
	v_exp_f32_e32 v89, v78
	v_cndmask_b32_e64 v78, 0, v86, s11
	v_mul_f32_e32 v79, 0x3fb8aa3b, v79
	v_exp_f32_e32 v87, v87
	s_delay_alu instid0(VALU_DEP_1)
	v_exp_f32_e32 v79, v79
	s_waitcnt_depctr 0xfff
	v_cndmask_b32_e64 v98, 0, v79, s8
	v_add_f32_e32 v79, v77, v94
	v_cndmask_b32_e64 v77, 0, v80, s10
	v_fma_f32 v80, s19, v115, -v76
	s_delay_alu instid0(VALU_DEP_1) | instskip(NEXT) | instid1(VALU_DEP_1)
	v_dual_add_f32 v79, v79, v98 :: v_dual_mul_f32 v80, 0x3fb8aa3b, v80
	v_add_f32_e32 v86, v79, v77
	v_cndmask_b32_e64 v79, 0, v89, s12
	v_mul_f32_e32 v89, 0x3fb8aa3b, v90
	s_delay_alu instid0(VALU_DEP_4) | instskip(SKIP_2) | instid1(VALU_DEP_3)
	v_exp_f32_e32 v90, v80
	v_cndmask_b32_e64 v80, 0, v87, s13
	v_add_f32_e32 v86, v86, v78
	v_exp_f32_e32 v89, v89
	s_delay_alu instid0(VALU_DEP_1) | instskip(SKIP_1) | instid1(VALU_DEP_2)
	v_add_f32_e32 v87, v86, v79
	v_cndmask_b32_e64 v86, 0, v88, s15
	v_add_f32_e32 v88, v87, v80
	s_delay_alu instid0(TRANS32_DEP_2) | instskip(NEXT) | instid1(VALU_DEP_2)
	v_cndmask_b32_e64 v87, 0, v90, s16
	v_add_f32_e32 v90, v88, v86
	s_waitcnt_depctr 0xfff
	v_cndmask_b32_e64 v88, 0, v89, s17
	v_add_f32_e32 v89, v90, v87
	s_delay_alu instid0(VALU_DEP_1) | instskip(SKIP_1) | instid1(VALU_DEP_1)
	v_add_f32_e32 v90, v89, v88
	v_cndmask_b32_e64 v89, 0, v100, s18
	v_add_f32_e32 v90, v90, v89
	ds_bpermute_b32 v99, v99, v90
	s_and_saveexec_b32 s4, s3
	s_cbranch_execz .LBB528_14
; %bb.13:
	v_mul_u32_u24_e32 v75, 0x44, v74
	s_waitcnt lgkmcnt(0)
	v_add_f32_e32 v90, v90, v99
	s_delay_alu instid0(VALU_DEP_2) | instskip(NEXT) | instid1(VALU_DEP_1)
	v_lshl_add_u32 v75, v73, 2, v75
	v_add_nc_u32_e32 v75, 0x4000, v75
	ds_store_2addr_b32 v75, v76, v90 offset1:136
.LBB528_14:
	s_or_b32 exec_lo, exec_lo, s4
	v_lshlrev_b32_e32 v75, 2, v73
	s_waitcnt lgkmcnt(0)
	s_barrier
	buffer_gl0_inv
	v_cmp_eq_u32_e64 s4, 1, v74
	v_add_nc_u32_e32 v90, 0x4000, v75
	ds_load_2addr_b32 v[99:100], v90 offset1:17
	ds_load_2addr_b32 v[101:102], v90 offset0:34 offset1:51
	ds_load_2addr_b32 v[103:104], v90 offset0:68 offset1:85
	;; [unrolled: 1-line block ×4, first 2 shown]
	s_waitcnt lgkmcnt(4)
	v_max3_f32 v75, v99, 0xff7fffff, v100
	s_waitcnt lgkmcnt(3)
	s_delay_alu instid0(VALU_DEP_1) | instskip(SKIP_1) | instid1(VALU_DEP_1)
	v_max3_f32 v75, v75, v101, v102
	s_waitcnt lgkmcnt(2)
	v_max3_f32 v75, v75, v103, v104
	s_waitcnt lgkmcnt(1)
	s_delay_alu instid0(VALU_DEP_1) | instskip(NEXT) | instid1(VALU_DEP_1)
	v_max3_f32 v75, v75, v105, v106
	v_sub_f32_e32 v109, v100, v75
	v_sub_f32_e32 v76, v99, v75
	ds_load_2addr_b32 v[99:100], v90 offset0:170 offset1:187
	v_sub_f32_e32 v101, v101, v75
	v_dual_mul_f32 v109, 0x3fb8aa3b, v109 :: v_dual_mul_f32 v76, 0x3fb8aa3b, v76
	s_delay_alu instid0(VALU_DEP_2) | instskip(NEXT) | instid1(VALU_DEP_2)
	v_mul_f32_e32 v111, 0x3fb8aa3b, v101
	v_exp_f32_e32 v109, v109
	s_delay_alu instid0(VALU_DEP_2)
	v_exp_f32_e32 v110, v76
	v_sub_f32_e32 v76, v102, v75
	ds_load_2addr_b32 v[101:102], v90 offset0:204 offset1:221
	v_exp_f32_e32 v111, v111
	v_mul_f32_e32 v112, 0x3fb8aa3b, v76
	s_waitcnt lgkmcnt(2)
	v_fma_f32 v76, v110, v107, 0
	v_sub_f32_e32 v103, v103, v75
	s_delay_alu instid0(VALU_DEP_3) | instskip(NEXT) | instid1(VALU_DEP_2)
	v_exp_f32_e32 v112, v112
	v_dual_sub_f32 v107, v104, v75 :: v_dual_fmac_f32 v76, v109, v108
	s_waitcnt lgkmcnt(1)
	s_waitcnt_depctr 0xfff
	v_fmac_f32_e32 v76, v111, v99
	v_mul_f32_e32 v113, 0x3fb8aa3b, v103
	ds_load_2addr_b32 v[103:104], v90 offset0:238 offset1:255
	v_sub_f32_e32 v90, v105, v75
	v_dual_sub_f32 v99, v106, v75 :: v_dual_fmac_f32 v76, v112, v100
	v_mul_f32_e32 v105, 0x3fb8aa3b, v107
	v_exp_f32_e32 v107, v113
	s_delay_alu instid0(VALU_DEP_2)
	v_dual_mul_f32 v90, 0x3fb8aa3b, v90 :: v_dual_mul_f32 v99, 0x3fb8aa3b, v99
	s_waitcnt lgkmcnt(0)
	s_barrier
	buffer_gl0_inv
	v_exp_f32_e32 v90, v90
	v_exp_f32_e32 v99, v99
	v_fmac_f32_e32 v76, v107, v101
	v_exp_f32_e32 v105, v105
	s_waitcnt_depctr 0xfff
	v_fmac_f32_e32 v76, v105, v102
	s_delay_alu instid0(VALU_DEP_1) | instskip(NEXT) | instid1(VALU_DEP_1)
	v_fmac_f32_e32 v76, v90, v103
	v_fmac_f32_e32 v76, v99, v104
	s_delay_alu instid0(VALU_DEP_1) | instskip(NEXT) | instid1(VALU_DEP_1)
	v_add_f32_e32 v100, 0x358637bd, v76
	v_div_scale_f32 v101, null, v100, v100, 1.0
	v_div_scale_f32 v104, vcc_lo, 1.0, v100, 1.0
	s_delay_alu instid0(VALU_DEP_2) | instskip(SKIP_2) | instid1(VALU_DEP_1)
	v_rcp_f32_e32 v102, v101
	s_waitcnt_depctr 0xfff
	v_fma_f32 v103, -v101, v102, 1.0
	v_fmac_f32_e32 v102, v103, v102
	v_cndmask_b32_e64 v103, v110, v109, s4
	v_cmp_eq_u32_e64 s4, 2, v74
	s_delay_alu instid0(VALU_DEP_3) | instskip(NEXT) | instid1(VALU_DEP_2)
	v_mul_f32_e32 v106, v104, v102
	v_cndmask_b32_e64 v103, v103, v111, s4
	v_cmp_eq_u32_e64 s4, 3, v74
	s_delay_alu instid0(VALU_DEP_3) | instskip(NEXT) | instid1(VALU_DEP_2)
	v_fma_f32 v108, -v101, v106, v104
	v_cndmask_b32_e64 v103, v103, v112, s4
	v_cmp_eq_u32_e64 s4, 4, v74
	s_delay_alu instid0(VALU_DEP_3) | instskip(NEXT) | instid1(VALU_DEP_2)
	v_fmac_f32_e32 v106, v108, v102
	v_cndmask_b32_e64 v103, v103, v107, s4
	s_delay_alu instid0(VALU_DEP_2) | instskip(SKIP_1) | instid1(VALU_DEP_2)
	v_fma_f32 v101, -v101, v106, v104
	v_cmp_eq_u32_e64 s4, 5, v74
	v_div_fmas_f32 v101, v101, v102, v106
	s_delay_alu instid0(VALU_DEP_2) | instskip(SKIP_2) | instid1(VALU_DEP_3)
	v_cndmask_b32_e64 v103, v103, v105, s4
	v_cmp_eq_u32_e32 vcc_lo, 6, v74
	s_mov_b32 s4, exec_lo
	v_div_fixup_f32 v100, v101, v100, 1.0
	s_delay_alu instid0(VALU_DEP_3) | instskip(SKIP_1) | instid1(VALU_DEP_2)
	v_cndmask_b32_e32 v90, v103, v90, vcc_lo
	v_cmp_eq_u32_e32 vcc_lo, 7, v74
	v_cndmask_b32_e32 v90, v90, v99, vcc_lo
	s_delay_alu instid0(VALU_DEP_1) | instskip(NEXT) | instid1(VALU_DEP_1)
	v_mul_f32_e32 v90, v90, v100
	v_mul_f32_e32 v100, v90, v92
	;; [unrolled: 1-line block ×6, first 2 shown]
	v_and_b32_e32 v101, 0x7f800000, v100
	v_mul_f32_e32 v99, v90, v95
	v_mul_f32_e32 v95, v90, v91
	;; [unrolled: 1-line block ×3, first 2 shown]
                                        ; implicit-def: $vgpr91
	s_delay_alu instid0(VALU_DEP_4)
	v_cmpx_ne_u32_e32 0x7f800000, v101
	s_xor_b32 s4, exec_lo, s4
; %bb.15:
	v_bfe_u32 v91, v100, 16, 1
	s_delay_alu instid0(VALU_DEP_1)
	v_add3_u32 v91, v100, v91, 0x7fff
                                        ; implicit-def: $vgpr100
; %bb.16:
	s_and_not1_saveexec_b32 s4, s4
; %bb.17:
	v_and_b32_e32 v91, 0xffff, v100
	v_or_b32_e32 v93, 0x10000, v100
	s_delay_alu instid0(VALU_DEP_2) | instskip(NEXT) | instid1(VALU_DEP_2)
	v_cmp_eq_u32_e32 vcc_lo, 0, v91
	v_cndmask_b32_e32 v91, v93, v100, vcc_lo
; %bb.18:
	s_or_b32 exec_lo, exec_lo, s4
	v_and_b32_e32 v93, 0x7f800000, v95
	s_delay_alu instid0(VALU_DEP_1) | instskip(SKIP_1) | instid1(SALU_CYCLE_1)
	v_cmp_ne_u32_e32 vcc_lo, 0x7f800000, v93
                                        ; implicit-def: $vgpr93
	s_and_saveexec_b32 s4, vcc_lo
	s_xor_b32 s4, exec_lo, s4
; %bb.19:
	v_bfe_u32 v93, v95, 16, 1
	s_delay_alu instid0(VALU_DEP_1)
	v_add3_u32 v93, v95, v93, 0x7fff
                                        ; implicit-def: $vgpr95
; %bb.20:
	s_and_not1_saveexec_b32 s4, s4
; %bb.21:
	v_and_b32_e32 v93, 0xffff, v95
	v_or_b32_e32 v100, 0x10000, v95
	s_delay_alu instid0(VALU_DEP_2) | instskip(NEXT) | instid1(VALU_DEP_2)
	v_cmp_eq_u32_e32 vcc_lo, 0, v93
	v_cndmask_b32_e32 v93, v100, v95, vcc_lo
; %bb.22:
	s_or_b32 exec_lo, exec_lo, s4
	v_and_b32_e32 v95, 0x7f800000, v96
	s_delay_alu instid0(VALU_DEP_1) | instskip(SKIP_1) | instid1(SALU_CYCLE_1)
	v_cmp_ne_u32_e32 vcc_lo, 0x7f800000, v95
                                        ; implicit-def: $vgpr95
	s_and_saveexec_b32 s4, vcc_lo
	s_xor_b32 s4, exec_lo, s4
; %bb.23:
	v_bfe_u32 v95, v96, 16, 1
	s_delay_alu instid0(VALU_DEP_1)
	v_add3_u32 v95, v96, v95, 0x7fff
                                        ; implicit-def: $vgpr96
; %bb.24:
	s_and_not1_saveexec_b32 s4, s4
; %bb.25:
	v_and_b32_e32 v95, 0xffff, v96
	v_or_b32_e32 v100, 0x10000, v96
	s_delay_alu instid0(VALU_DEP_2) | instskip(NEXT) | instid1(VALU_DEP_2)
	v_cmp_eq_u32_e32 vcc_lo, 0, v95
	v_cndmask_b32_e32 v95, v100, v96, vcc_lo
; %bb.26:
	s_or_b32 exec_lo, exec_lo, s4
	v_and_b32_e32 v96, 0x7f800000, v99
	s_delay_alu instid0(VALU_DEP_1) | instskip(SKIP_1) | instid1(SALU_CYCLE_1)
	v_cmp_ne_u32_e32 vcc_lo, 0x7f800000, v96
                                        ; implicit-def: $vgpr96
	s_and_saveexec_b32 s4, vcc_lo
	s_xor_b32 s4, exec_lo, s4
; %bb.27:
	v_bfe_u32 v96, v99, 16, 1
	s_delay_alu instid0(VALU_DEP_1)
	v_add3_u32 v96, v99, v96, 0x7fff
                                        ; implicit-def: $vgpr99
; %bb.28:
	s_and_not1_saveexec_b32 s4, s4
; %bb.29:
	v_and_b32_e32 v96, 0xffff, v99
	v_or_b32_e32 v100, 0x10000, v99
	s_delay_alu instid0(VALU_DEP_2) | instskip(NEXT) | instid1(VALU_DEP_2)
	v_cmp_eq_u32_e32 vcc_lo, 0, v96
	v_cndmask_b32_e32 v96, v100, v99, vcc_lo
; %bb.30:
	s_or_b32 exec_lo, exec_lo, s4
	v_and_b32_e32 v99, 0x7f800000, v98
	s_delay_alu instid0(VALU_DEP_1) | instskip(SKIP_1) | instid1(SALU_CYCLE_1)
	v_cmp_ne_u32_e32 vcc_lo, 0x7f800000, v99
                                        ; implicit-def: $vgpr99
	s_and_saveexec_b32 s4, vcc_lo
	s_xor_b32 s4, exec_lo, s4
; %bb.31:
	v_bfe_u32 v99, v98, 16, 1
	s_delay_alu instid0(VALU_DEP_1)
	v_add3_u32 v99, v98, v99, 0x7fff
                                        ; implicit-def: $vgpr98
; %bb.32:
	s_and_not1_saveexec_b32 s4, s4
; %bb.33:
	v_and_b32_e32 v99, 0xffff, v98
	v_or_b32_e32 v100, 0x10000, v98
	s_delay_alu instid0(VALU_DEP_2) | instskip(NEXT) | instid1(VALU_DEP_2)
	v_cmp_eq_u32_e32 vcc_lo, 0, v99
	v_cndmask_b32_e32 v99, v100, v98, vcc_lo
; %bb.34:
	s_or_b32 exec_lo, exec_lo, s4
	v_and_b32_e32 v98, 0x7f800000, v97
	s_delay_alu instid0(VALU_DEP_1) | instskip(SKIP_1) | instid1(SALU_CYCLE_1)
	v_cmp_ne_u32_e32 vcc_lo, 0x7f800000, v98
                                        ; implicit-def: $vgpr98
	s_and_saveexec_b32 s4, vcc_lo
	s_xor_b32 s4, exec_lo, s4
; %bb.35:
	v_bfe_u32 v98, v97, 16, 1
	s_delay_alu instid0(VALU_DEP_1)
	v_add3_u32 v98, v97, v98, 0x7fff
                                        ; implicit-def: $vgpr97
; %bb.36:
	s_and_not1_saveexec_b32 s4, s4
; %bb.37:
	v_and_b32_e32 v98, 0xffff, v97
	v_or_b32_e32 v100, 0x10000, v97
	s_delay_alu instid0(VALU_DEP_2) | instskip(NEXT) | instid1(VALU_DEP_2)
	v_cmp_eq_u32_e32 vcc_lo, 0, v98
	v_cndmask_b32_e32 v98, v100, v97, vcc_lo
; %bb.38:
	s_or_b32 exec_lo, exec_lo, s4
	v_and_b32_e32 v97, 0x7f800000, v94
	s_delay_alu instid0(VALU_DEP_1) | instskip(SKIP_1) | instid1(SALU_CYCLE_1)
	v_cmp_ne_u32_e32 vcc_lo, 0x7f800000, v97
                                        ; implicit-def: $vgpr97
	s_and_saveexec_b32 s4, vcc_lo
	s_xor_b32 s4, exec_lo, s4
; %bb.39:
	v_bfe_u32 v97, v94, 16, 1
	s_delay_alu instid0(VALU_DEP_1)
	v_add3_u32 v97, v94, v97, 0x7fff
                                        ; implicit-def: $vgpr94
; %bb.40:
	s_and_not1_saveexec_b32 s4, s4
; %bb.41:
	v_and_b32_e32 v97, 0xffff, v94
	v_or_b32_e32 v100, 0x10000, v94
	s_delay_alu instid0(VALU_DEP_2) | instskip(NEXT) | instid1(VALU_DEP_2)
	v_cmp_eq_u32_e32 vcc_lo, 0, v97
	v_cndmask_b32_e32 v97, v100, v94, vcc_lo
; %bb.42:
	s_or_b32 exec_lo, exec_lo, s4
	v_and_b32_e32 v94, 0x7f800000, v92
	s_delay_alu instid0(VALU_DEP_1) | instskip(SKIP_1) | instid1(SALU_CYCLE_1)
	v_cmp_ne_u32_e32 vcc_lo, 0x7f800000, v94
                                        ; implicit-def: $vgpr94
	s_and_saveexec_b32 s4, vcc_lo
	s_xor_b32 s4, exec_lo, s4
; %bb.43:
	v_bfe_u32 v94, v92, 16, 1
	s_delay_alu instid0(VALU_DEP_1)
	v_add3_u32 v94, v92, v94, 0x7fff
                                        ; implicit-def: $vgpr92
; %bb.44:
	s_and_not1_saveexec_b32 s4, s4
; %bb.45:
	v_and_b32_e32 v94, 0xffff, v92
	v_or_b32_e32 v100, 0x10000, v92
	s_delay_alu instid0(VALU_DEP_2) | instskip(NEXT) | instid1(VALU_DEP_2)
	v_cmp_eq_u32_e32 vcc_lo, 0, v94
	v_cndmask_b32_e32 v94, v100, v92, vcc_lo
; %bb.46:
	s_or_b32 exec_lo, exec_lo, s4
	s_load_b64 s[36:37], s[0:1], 0x94
	v_lshlrev_b32_e32 v92, 4, v83
	s_delay_alu instid0(VALU_DEP_2)
	v_perm_b32 v100, v94, v97, 0x7060302
	v_dual_mul_f32 v89, v90, v89 :: v_dual_lshlrev_b32 v94, 11, v74
	v_perm_b32 v97, v93, v91, 0x7060302
	v_mul_f32_e32 v93, v90, v77
	v_perm_b32 v99, v98, v99, 0x7060302
	v_perm_b32 v98, v96, v95, 0x7060302
	v_or3_b32 v77, v92, v94, v85
	v_mul_f32_e32 v88, v90, v88
	v_dual_mul_f32 v87, v90, v87 :: v_dual_and_b32 v94, 0x7f800000, v93
	v_mul_f32_e32 v86, v90, v86
	v_mul_f32_e32 v91, v90, v80
	;; [unrolled: 1-line block ×4, first 2 shown]
	s_mov_b32 s4, exec_lo
	ds_store_b128 v77, v[97:100]
                                        ; implicit-def: $vgpr78
	v_cmpx_ne_u32_e32 0x7f800000, v94
	s_xor_b32 s4, exec_lo, s4
; %bb.47:
	v_bfe_u32 v78, v93, 16, 1
	s_delay_alu instid0(VALU_DEP_1)
	v_add3_u32 v78, v93, v78, 0x7fff
                                        ; implicit-def: $vgpr93
; %bb.48:
	s_and_not1_saveexec_b32 s4, s4
; %bb.49:
	v_and_b32_e32 v78, 0xffff, v93
	v_or_b32_e32 v79, 0x10000, v93
	s_delay_alu instid0(VALU_DEP_2) | instskip(NEXT) | instid1(VALU_DEP_2)
	v_cmp_eq_u32_e32 vcc_lo, 0, v78
	v_cndmask_b32_e32 v78, v79, v93, vcc_lo
; %bb.50:
	s_or_b32 exec_lo, exec_lo, s4
	v_and_b32_e32 v79, 0x7f800000, v80
	s_delay_alu instid0(VALU_DEP_1) | instskip(SKIP_1) | instid1(SALU_CYCLE_1)
	v_cmp_ne_u32_e32 vcc_lo, 0x7f800000, v79
                                        ; implicit-def: $vgpr79
	s_and_saveexec_b32 s4, vcc_lo
	s_xor_b32 s4, exec_lo, s4
; %bb.51:
	v_bfe_u32 v79, v80, 16, 1
	s_delay_alu instid0(VALU_DEP_1)
	v_add3_u32 v79, v80, v79, 0x7fff
                                        ; implicit-def: $vgpr80
; %bb.52:
	s_and_not1_saveexec_b32 s4, s4
; %bb.53:
	v_and_b32_e32 v79, 0xffff, v80
	v_or_b32_e32 v90, 0x10000, v80
	s_delay_alu instid0(VALU_DEP_2) | instskip(NEXT) | instid1(VALU_DEP_2)
	v_cmp_eq_u32_e32 vcc_lo, 0, v79
	v_cndmask_b32_e32 v79, v90, v80, vcc_lo
; %bb.54:
	s_or_b32 exec_lo, exec_lo, s4
	v_and_b32_e32 v80, 0x7f800000, v92
	s_delay_alu instid0(VALU_DEP_1) | instskip(SKIP_1) | instid1(SALU_CYCLE_1)
	v_cmp_ne_u32_e32 vcc_lo, 0x7f800000, v80
                                        ; implicit-def: $vgpr80
	s_and_saveexec_b32 s4, vcc_lo
	s_xor_b32 s4, exec_lo, s4
; %bb.55:
	v_bfe_u32 v80, v92, 16, 1
	s_delay_alu instid0(VALU_DEP_1)
	v_add3_u32 v80, v92, v80, 0x7fff
                                        ; implicit-def: $vgpr92
; %bb.56:
	s_and_not1_saveexec_b32 s4, s4
; %bb.57:
	v_and_b32_e32 v80, 0xffff, v92
	v_or_b32_e32 v90, 0x10000, v92
	s_delay_alu instid0(VALU_DEP_2) | instskip(NEXT) | instid1(VALU_DEP_2)
	v_cmp_eq_u32_e32 vcc_lo, 0, v80
	v_cndmask_b32_e32 v80, v90, v92, vcc_lo
; %bb.58:
	s_or_b32 exec_lo, exec_lo, s4
	v_and_b32_e32 v90, 0x7f800000, v91
	s_delay_alu instid0(VALU_DEP_1) | instskip(SKIP_1) | instid1(SALU_CYCLE_1)
	v_cmp_ne_u32_e32 vcc_lo, 0x7f800000, v90
                                        ; implicit-def: $vgpr90
	s_and_saveexec_b32 s4, vcc_lo
	s_xor_b32 s4, exec_lo, s4
; %bb.59:
	v_bfe_u32 v90, v91, 16, 1
	s_delay_alu instid0(VALU_DEP_1)
	v_add3_u32 v90, v91, v90, 0x7fff
                                        ; implicit-def: $vgpr91
; %bb.60:
	s_and_not1_saveexec_b32 s4, s4
; %bb.61:
	v_and_b32_e32 v90, 0xffff, v91
	v_or_b32_e32 v92, 0x10000, v91
	s_delay_alu instid0(VALU_DEP_2) | instskip(NEXT) | instid1(VALU_DEP_2)
	v_cmp_eq_u32_e32 vcc_lo, 0, v90
	v_cndmask_b32_e32 v90, v92, v91, vcc_lo
; %bb.62:
	s_or_b32 exec_lo, exec_lo, s4
	v_and_b32_e32 v91, 0x7f800000, v86
	s_delay_alu instid0(VALU_DEP_1) | instskip(SKIP_1) | instid1(SALU_CYCLE_1)
	v_cmp_ne_u32_e32 vcc_lo, 0x7f800000, v91
                                        ; implicit-def: $vgpr91
	s_and_saveexec_b32 s4, vcc_lo
	s_xor_b32 s4, exec_lo, s4
; %bb.63:
	v_bfe_u32 v91, v86, 16, 1
	s_delay_alu instid0(VALU_DEP_1)
	v_add3_u32 v91, v86, v91, 0x7fff
                                        ; implicit-def: $vgpr86
; %bb.64:
	s_and_not1_saveexec_b32 s4, s4
; %bb.65:
	v_and_b32_e32 v91, 0xffff, v86
	v_or_b32_e32 v92, 0x10000, v86
	s_delay_alu instid0(VALU_DEP_2) | instskip(NEXT) | instid1(VALU_DEP_2)
	v_cmp_eq_u32_e32 vcc_lo, 0, v91
	v_cndmask_b32_e32 v91, v92, v86, vcc_lo
; %bb.66:
	s_or_b32 exec_lo, exec_lo, s4
	v_and_b32_e32 v86, 0x7f800000, v87
	s_delay_alu instid0(VALU_DEP_1) | instskip(SKIP_1) | instid1(SALU_CYCLE_1)
	v_cmp_ne_u32_e32 vcc_lo, 0x7f800000, v86
                                        ; implicit-def: $vgpr86
	s_and_saveexec_b32 s4, vcc_lo
	s_xor_b32 s4, exec_lo, s4
; %bb.67:
	v_bfe_u32 v86, v87, 16, 1
	s_delay_alu instid0(VALU_DEP_1)
	v_add3_u32 v86, v87, v86, 0x7fff
                                        ; implicit-def: $vgpr87
; %bb.68:
	s_and_not1_saveexec_b32 s4, s4
; %bb.69:
	v_and_b32_e32 v86, 0xffff, v87
	v_or_b32_e32 v92, 0x10000, v87
	s_delay_alu instid0(VALU_DEP_2) | instskip(NEXT) | instid1(VALU_DEP_2)
	v_cmp_eq_u32_e32 vcc_lo, 0, v86
	v_cndmask_b32_e32 v86, v92, v87, vcc_lo
; %bb.70:
	s_or_b32 exec_lo, exec_lo, s4
	v_and_b32_e32 v87, 0x7f800000, v88
	s_delay_alu instid0(VALU_DEP_1) | instskip(SKIP_1) | instid1(SALU_CYCLE_1)
	v_cmp_ne_u32_e32 vcc_lo, 0x7f800000, v87
                                        ; implicit-def: $vgpr87
	s_and_saveexec_b32 s4, vcc_lo
	s_xor_b32 s4, exec_lo, s4
; %bb.71:
	v_bfe_u32 v87, v88, 16, 1
	s_delay_alu instid0(VALU_DEP_1)
	v_add3_u32 v87, v88, v87, 0x7fff
                                        ; implicit-def: $vgpr88
; %bb.72:
	s_and_not1_saveexec_b32 s4, s4
; %bb.73:
	v_and_b32_e32 v87, 0xffff, v88
	v_or_b32_e32 v92, 0x10000, v88
	s_delay_alu instid0(VALU_DEP_2) | instskip(NEXT) | instid1(VALU_DEP_2)
	v_cmp_eq_u32_e32 vcc_lo, 0, v87
	v_cndmask_b32_e32 v87, v92, v88, vcc_lo
; %bb.74:
	s_or_b32 exec_lo, exec_lo, s4
	v_and_b32_e32 v88, 0x7f800000, v89
	s_delay_alu instid0(VALU_DEP_1) | instskip(SKIP_1) | instid1(SALU_CYCLE_1)
	v_cmp_ne_u32_e32 vcc_lo, 0x7f800000, v88
                                        ; implicit-def: $vgpr88
	s_and_saveexec_b32 s4, vcc_lo
	s_xor_b32 s4, exec_lo, s4
; %bb.75:
	v_bfe_u32 v88, v89, 16, 1
	s_delay_alu instid0(VALU_DEP_1)
	v_add3_u32 v88, v89, v88, 0x7fff
                                        ; implicit-def: $vgpr89
; %bb.76:
	s_and_not1_saveexec_b32 s4, s4
; %bb.77:
	v_and_b32_e32 v88, 0xffff, v89
	v_or_b32_e32 v92, 0x10000, v89
	s_delay_alu instid0(VALU_DEP_2) | instskip(NEXT) | instid1(VALU_DEP_2)
	v_cmp_eq_u32_e32 vcc_lo, 0, v88
	v_cndmask_b32_e32 v88, v92, v89, vcc_lo
; %bb.78:
	s_or_b32 exec_lo, exec_lo, s4
	s_delay_alu instid0(VALU_DEP_1)
	v_perm_b32 v89, v88, v87, 0x7060302
	v_perm_b32 v88, v86, v91, 0x7060302
	;; [unrolled: 1-line block ×4, first 2 shown]
	v_lshl_or_b32 v90, v74, 11, v85
	ds_store_b128 v77, v[86:89] offset:1024
	s_waitcnt lgkmcnt(0)
	s_barrier
	buffer_gl0_inv
	ds_load_b128 v[91:94], v90
	ds_load_b128 v[95:98], v90 offset:16
	v_lshlrev_b32_e32 v87, 2, v83
	s_delay_alu instid0(VALU_DEP_1)
	v_or_b32_e32 v88, 1, v87
	v_cmp_eq_u32_e32 vcc_lo, 1, v87
	v_cmp_eq_u32_e64 s5, 2, v87
	v_cmp_eq_u32_e64 s8, 3, v87
	;; [unrolled: 1-line block ×6, first 2 shown]
	v_or_b32_e32 v86, 2, v87
	v_cmp_eq_u32_e64 s11, 5, v87
	v_cmp_eq_u32_e64 s12, 4, v88
	;; [unrolled: 1-line block ×4, first 2 shown]
	s_waitcnt lgkmcnt(1)
	v_lshrrev_b32_e32 v74, 16, v91
	s_waitcnt lgkmcnt(0)
	v_lshrrev_b32_e32 v103, 16, v95
	v_lshrrev_b32_e32 v80, 16, v94
	;; [unrolled: 1-line block ×4, first 2 shown]
	v_cndmask_b32_e32 v89, v91, v74, vcc_lo
	v_cndmask_b32_e32 v99, v95, v103, vcc_lo
	v_cndmask_b32_e64 v100, v91, v74, s4
	v_lshrrev_b32_e32 v79, 16, v93
	v_lshrrev_b32_e32 v108, 16, v97
	v_cndmask_b32_e64 v89, v89, v92, s5
	v_cndmask_b32_e64 v99, v99, v96, s5
	;; [unrolled: 1-line block ×4, first 2 shown]
	v_cmp_eq_u32_e64 s6, 1, v86
	v_cndmask_b32_e64 v89, v89, v78, s8
	v_cndmask_b32_e64 v99, v99, v107, s8
	;; [unrolled: 1-line block ×4, first 2 shown]
	v_lshrrev_b32_e32 v109, 16, v98
	v_cndmask_b32_e64 v89, v89, v93, s10
	v_cndmask_b32_e64 v99, v99, v97, s10
	;; [unrolled: 1-line block ×8, first 2 shown]
	v_cmp_eq_u32_e64 s16, 7, v87
	v_cmp_eq_u32_e64 s17, 6, v88
	v_cndmask_b32_e64 v89, v89, v94, s13
	v_cndmask_b32_e64 v99, v99, v98, s13
	v_cmp_eq_u32_e64 s18, 2, v86
	v_cndmask_b32_e64 v101, v101, v97, s12
	v_cndmask_b32_e64 v100, v100, v94, s17
	;; [unrolled: 1-line block ×6, first 2 shown]
	v_cmp_eq_u32_e64 s19, 7, v88
	v_cmp_eq_u32_e64 s20, 3, v86
	;; [unrolled: 1-line block ×4, first 2 shown]
	v_cndmask_b32_e64 v99, v99, v96, s18
	v_cndmask_b32_e64 v112, v100, v80, s19
	;; [unrolled: 1-line block ×4, first 2 shown]
	v_or_b32_e32 v89, 3, v87
	v_cndmask_b32_e64 v105, v99, v107, s20
	v_cmp_eq_u32_e64 s25, 6, v86
	v_cndmask_b32_e64 v113, v100, v98, s17
	v_cndmask_b32_e64 v104, v101, v93, s21
	ds_load_b128 v[99:102], v90 offset:1024
	v_cmp_eq_u32_e64 s22, 1, v89
	v_cmp_eq_u32_e64 s24, 2, v89
	;; [unrolled: 1-line block ×3, first 2 shown]
	v_cndmask_b32_e64 v114, v104, v79, s23
	v_cmp_eq_u32_e64 s27, 4, v89
	v_cndmask_b32_e64 v74, v91, v74, s22
	v_cndmask_b32_e64 v91, v105, v97, s21
	;; [unrolled: 1-line block ×3, first 2 shown]
	ds_load_b128 v[103:106], v90 offset:1040
	v_cmp_eq_u32_e64 s29, 5, v89
	v_cndmask_b32_e64 v74, v74, v92, s24
	v_cndmask_b32_e64 v91, v91, v108, s23
	;; [unrolled: 1-line block ×3, first 2 shown]
	v_cmp_eq_u32_e64 s30, 6, v89
	v_cndmask_b32_e64 v95, v113, v109, s19
	v_cndmask_b32_e64 v74, v74, v78, s26
	;; [unrolled: 1-line block ×5, first 2 shown]
	s_waitcnt lgkmcnt(1)
	v_lshrrev_b32_e32 v96, 16, v99
	v_cndmask_b32_e64 v74, v74, v93, s27
	v_lshrrev_b32_e32 v107, 16, v100
	v_cndmask_b32_e64 v92, v92, v97, s27
	v_cmp_eq_u32_e64 s28, 7, v86
	v_cndmask_b32_e32 v93, v99, v96, vcc_lo
	v_cndmask_b32_e64 v74, v74, v79, s29
	s_delay_alu instid0(VALU_DEP_4)
	v_cndmask_b32_e64 v79, v92, v108, s29
	s_waitcnt lgkmcnt(0)
	v_lshrrev_b32_e32 v97, 16, v103
	v_cndmask_b32_e64 v92, v93, v100, s5
	v_cndmask_b32_e64 v93, v99, v96, s4
	;; [unrolled: 1-line block ×4, first 2 shown]
	v_cndmask_b32_e32 v108, v103, v97, vcc_lo
	v_cndmask_b32_e64 v92, v92, v107, s8
	v_cndmask_b32_e64 v93, v93, v100, s7
	v_lshrrev_b32_e32 v98, 16, v104
	v_cmp_eq_u32_e32 vcc_lo, 7, v89
	v_cndmask_b32_e64 v94, v108, v104, s5
	v_cndmask_b32_e64 v92, v92, v101, s10
	v_lshrrev_b32_e32 v108, 16, v101
	v_cndmask_b32_e64 v93, v93, v107, s9
	v_cndmask_b32_e32 v74, v74, v80, vcc_lo
	v_cndmask_b32_e64 v94, v94, v98, s8
	v_cndmask_b32_e32 v79, v79, v109, vcc_lo
	v_cndmask_b32_e64 v92, v92, v108, s11
	v_cndmask_b32_e64 v78, v78, v80, s28
	;; [unrolled: 1-line block ×4, first 2 shown]
	v_perm_b32 v94, v79, v74, 0x5040100
	v_cndmask_b32_e64 v79, v92, v102, s13
	v_perm_b32 v92, v95, v112, 0x5040100
	v_cndmask_b32_e64 v95, v99, v96, s6
	v_cndmask_b32_e64 v96, v99, v96, s22
	;; [unrolled: 1-line block ×16, first 2 shown]
	v_lshrrev_b32_e32 v109, 16, v105
	v_cndmask_b32_e64 v95, v95, v101, s21
	v_cndmask_b32_e64 v96, v96, v101, s27
	;; [unrolled: 1-line block ×6, first 2 shown]
	v_lshrrev_b32_e32 v80, 16, v102
	v_cndmask_b32_e64 v113, v93, v109, s11
	v_cndmask_b32_e64 v95, v95, v108, s23
	;; [unrolled: 1-line block ×6, first 2 shown]
	v_perm_b32 v93, v91, v78, 0x5040100
	v_cndmask_b32_e64 v74, v74, v102, s17
	v_cndmask_b32_e64 v78, v79, v80, s16
	;; [unrolled: 1-line block ×3, first 2 shown]
	v_lshrrev_b32_e32 v91, 16, v106
	v_cndmask_b32_e64 v95, v95, v102, s25
	v_cndmask_b32_e64 v96, v96, v102, s30
	;; [unrolled: 1-line block ×7, first 2 shown]
	v_cndmask_b32_e32 v80, v96, v80, vcc_lo
	v_cndmask_b32_e32 v96, v98, v91, vcc_lo
	v_cndmask_b32_e64 v99, v99, v91, s28
	v_cndmask_b32_e64 v100, v97, v91, s19
	v_cndmask_b32_e64 v79, v79, v91, s16
	v_perm_b32 v91, v111, v110, 0x5040100
	v_perm_b32 v98, v96, v80, 0x5040100
	;; [unrolled: 1-line block ×5, first 2 shown]
	s_mul_i32 s9, s37, 11
	s_mov_b32 s4, exec_lo
	ds_store_b128 v77, v[91:94]
	ds_store_b128 v77, v[95:98] offset:1024
	v_cmpx_gt_u32_e32 11, v0
	s_cbranch_execz .LBB528_80
; %bb.79:
	s_mul_i32 s5, s9, s34
	s_load_b128 s[16:19], s[0:1], 0x58
	v_add3_u32 v77, s5, s31, v73
	s_delay_alu instid0(VALU_DEP_1) | instskip(NEXT) | instid1(VALU_DEP_1)
	v_mad_u64_u32 v[73:74], null, v77, s36, s[14:15]
	v_ashrrev_i32_e32 v74, 31, v73
	s_delay_alu instid0(VALU_DEP_1) | instskip(SKIP_1) | instid1(VALU_DEP_1)
	v_lshlrev_b64 v[73:74], 2, v[73:74]
	s_waitcnt lgkmcnt(0)
	v_add_co_u32 v77, vcc_lo, s18, v73
	s_delay_alu instid0(VALU_DEP_2)
	v_add_co_ci_u32_e32 v78, vcc_lo, s19, v74, vcc_lo
	v_add_co_u32 v73, vcc_lo, s16, v73
	v_add_co_ci_u32_e32 v74, vcc_lo, s17, v74, vcc_lo
	global_store_b32 v[77:78], v75, off
	global_store_b32 v[73:74], v76, off
.LBB528_80:
	s_or_b32 exec_lo, exec_lo, s4
	s_waitcnt lgkmcnt(0)
	s_waitcnt_vscnt null, 0x0
	s_barrier
	buffer_gl0_inv
	ds_load_b128 v[91:94], v85
	ds_load_b128 v[95:98], v85 offset:16
	ds_load_b128 v[103:106], v85 offset:1040
	;; [unrolled: 1-line block ×3, first 2 shown]
	v_mov_b32_e32 v73, 0
	ds_load_b128 v[111:114], v85 offset:2064
	ds_load_b128 v[107:110], v85 offset:2048
	;; [unrolled: 1-line block ×6, first 2 shown]
	v_mov_b32_e32 v74, v73
	v_mov_b32_e32 v75, v73
	;; [unrolled: 1-line block ×7, first 2 shown]
	s_waitcnt lgkmcnt(8)
	s_delay_alu instid0(VALU_DEP_1)
	v_wmma_f32_16x16x16_bf16 v[73:80], v[65:72], v[91:98], v[73:80]
	ds_load_b128 v[69:72], v85 offset:5136
	ds_load_b128 v[65:68], v85 offset:5120
	;; [unrolled: 1-line block ×4, first 2 shown]
	s_waitcnt lgkmcnt(10)
	v_wmma_f32_16x16x16_bf16 v[73:80], v[57:64], v[99:106], v[73:80]
	s_waitcnt lgkmcnt(8)
	s_delay_alu instid0(VALU_DEP_1)
	v_wmma_f32_16x16x16_bf16 v[73:80], v[57:64], v[107:114], v[73:80]
	ds_load_b128 v[61:64], v85 offset:7184
	ds_load_b128 v[57:60], v85 offset:7168
	;; [unrolled: 1-line block ×4, first 2 shown]
	s_waitcnt lgkmcnt(10)
	v_wmma_f32_16x16x16_bf16 v[73:80], v[49:56], v[115:122], v[73:80]
	s_waitcnt lgkmcnt(8)
	s_delay_alu instid0(VALU_DEP_1)
	v_wmma_f32_16x16x16_bf16 v[73:80], v[49:56], v[123:130], v[73:80]
	ds_load_b128 v[53:56], v85 offset:9232
	ds_load_b128 v[49:52], v85 offset:9216
	s_waitcnt lgkmcnt(8)
	v_wmma_f32_16x16x16_bf16 v[73:80], v[41:48], v[65:72], v[73:80]
	ds_load_b128 v[69:72], v85 offset:10256
	ds_load_b128 v[65:68], v85 offset:10240
	s_waitcnt lgkmcnt(8)
	;; [unrolled: 4-line block ×3, first 2 shown]
	v_wmma_f32_16x16x16_bf16 v[73:80], v[9:16], v[57:64], v[73:80]
	s_waitcnt lgkmcnt(6)
	s_delay_alu instid0(VALU_DEP_1)
	v_wmma_f32_16x16x16_bf16 v[73:80], v[9:16], v[99:106], v[73:80]
	ds_load_b128 v[13:16], v85 offset:12304
	ds_load_b128 v[9:12], v85 offset:12288
	s_waitcnt lgkmcnt(6)
	v_wmma_f32_16x16x16_bf16 v[73:80], v[1:8], v[49:56], v[73:80]
	ds_load_b128 v[53:56], v85 offset:13328
	ds_load_b128 v[49:52], v85 offset:13312
	s_waitcnt lgkmcnt(6)
	;; [unrolled: 4-line block ×4, first 2 shown]
	v_wmma_f32_16x16x16_bf16 v[73:80], v[33:40], v[9:16], v[73:80]
	s_waitcnt lgkmcnt(4)
	s_delay_alu instid0(VALU_DEP_1) | instskip(SKIP_1) | instid1(VALU_DEP_1)
	v_wmma_f32_16x16x16_bf16 v[73:80], v[25:32], v[49:56], v[73:80]
	s_waitcnt lgkmcnt(2)
	v_wmma_f32_16x16x16_bf16 v[73:80], v[25:32], v[1:8], v[73:80]
	s_waitcnt lgkmcnt(0)
	s_delay_alu instid0(VALU_DEP_1) | instskip(NEXT) | instid1(VALU_DEP_1)
	v_wmma_f32_16x16x16_bf16 v[73:80], v[17:24], v[41:48], v[73:80]
	v_and_b32_e32 v1, 0x7f800000, v73
	s_delay_alu instid0(VALU_DEP_1) | instskip(SKIP_1) | instid1(SALU_CYCLE_1)
	v_cmp_ne_u32_e32 vcc_lo, 0x7f800000, v1
                                        ; implicit-def: $vgpr1
	s_and_saveexec_b32 s4, vcc_lo
	s_xor_b32 s4, exec_lo, s4
; %bb.81:
	v_bfe_u32 v1, v73, 16, 1
	s_delay_alu instid0(VALU_DEP_1)
	v_add3_u32 v1, v73, v1, 0x7fff
; %bb.82:
	s_and_not1_saveexec_b32 s4, s4
; %bb.83:
	v_and_b32_e32 v1, 0xffff, v73
	v_or_b32_e32 v2, 0x10000, v73
	s_delay_alu instid0(VALU_DEP_2) | instskip(NEXT) | instid1(VALU_DEP_2)
	v_cmp_eq_u32_e32 vcc_lo, 0, v1
	v_cndmask_b32_e32 v1, v2, v73, vcc_lo
; %bb.84:
	s_or_b32 exec_lo, exec_lo, s4
	v_and_b32_e32 v2, 0x7f800000, v74
	s_delay_alu instid0(VALU_DEP_1) | instskip(SKIP_1) | instid1(SALU_CYCLE_1)
	v_cmp_ne_u32_e32 vcc_lo, 0x7f800000, v2
                                        ; implicit-def: $vgpr2
	s_and_saveexec_b32 s4, vcc_lo
	s_xor_b32 s4, exec_lo, s4
; %bb.85:
	v_bfe_u32 v2, v74, 16, 1
	s_delay_alu instid0(VALU_DEP_1)
	v_add3_u32 v2, v74, v2, 0x7fff
; %bb.86:
	s_and_not1_saveexec_b32 s4, s4
; %bb.87:
	v_and_b32_e32 v2, 0xffff, v74
	v_or_b32_e32 v3, 0x10000, v74
	s_delay_alu instid0(VALU_DEP_2) | instskip(NEXT) | instid1(VALU_DEP_2)
	v_cmp_eq_u32_e32 vcc_lo, 0, v2
	v_cndmask_b32_e32 v2, v3, v74, vcc_lo
; %bb.88:
	s_or_b32 exec_lo, exec_lo, s4
	v_and_b32_e32 v3, 0x7f800000, v75
	s_delay_alu instid0(VALU_DEP_1) | instskip(SKIP_1) | instid1(SALU_CYCLE_1)
	v_cmp_ne_u32_e32 vcc_lo, 0x7f800000, v3
                                        ; implicit-def: $vgpr3
	s_and_saveexec_b32 s4, vcc_lo
	s_xor_b32 s4, exec_lo, s4
; %bb.89:
	v_bfe_u32 v3, v75, 16, 1
	s_delay_alu instid0(VALU_DEP_1)
	v_add3_u32 v3, v75, v3, 0x7fff
; %bb.90:
	s_and_not1_saveexec_b32 s4, s4
; %bb.91:
	v_and_b32_e32 v3, 0xffff, v75
	v_or_b32_e32 v4, 0x10000, v75
	s_delay_alu instid0(VALU_DEP_2) | instskip(NEXT) | instid1(VALU_DEP_2)
	v_cmp_eq_u32_e32 vcc_lo, 0, v3
	v_cndmask_b32_e32 v3, v4, v75, vcc_lo
; %bb.92:
	s_or_b32 exec_lo, exec_lo, s4
	v_and_b32_e32 v4, 0x7f800000, v76
	s_delay_alu instid0(VALU_DEP_1) | instskip(SKIP_1) | instid1(SALU_CYCLE_1)
	v_cmp_ne_u32_e32 vcc_lo, 0x7f800000, v4
                                        ; implicit-def: $vgpr4
	s_and_saveexec_b32 s4, vcc_lo
	s_xor_b32 s4, exec_lo, s4
; %bb.93:
	v_bfe_u32 v4, v76, 16, 1
	s_delay_alu instid0(VALU_DEP_1)
	v_add3_u32 v4, v76, v4, 0x7fff
; %bb.94:
	s_and_not1_saveexec_b32 s4, s4
; %bb.95:
	v_and_b32_e32 v4, 0xffff, v76
	v_or_b32_e32 v5, 0x10000, v76
	s_delay_alu instid0(VALU_DEP_2) | instskip(NEXT) | instid1(VALU_DEP_2)
	v_cmp_eq_u32_e32 vcc_lo, 0, v4
	v_cndmask_b32_e32 v4, v5, v76, vcc_lo
; %bb.96:
	s_or_b32 exec_lo, exec_lo, s4
	v_and_b32_e32 v5, 0x7f800000, v77
	s_delay_alu instid0(VALU_DEP_1) | instskip(SKIP_1) | instid1(SALU_CYCLE_1)
	v_cmp_ne_u32_e32 vcc_lo, 0x7f800000, v5
                                        ; implicit-def: $vgpr5
	s_and_saveexec_b32 s4, vcc_lo
	s_xor_b32 s4, exec_lo, s4
; %bb.97:
	v_bfe_u32 v5, v77, 16, 1
	s_delay_alu instid0(VALU_DEP_1)
	v_add3_u32 v5, v77, v5, 0x7fff
; %bb.98:
	s_and_not1_saveexec_b32 s4, s4
; %bb.99:
	v_and_b32_e32 v5, 0xffff, v77
	v_or_b32_e32 v6, 0x10000, v77
	s_delay_alu instid0(VALU_DEP_2) | instskip(NEXT) | instid1(VALU_DEP_2)
	v_cmp_eq_u32_e32 vcc_lo, 0, v5
	v_cndmask_b32_e32 v5, v6, v77, vcc_lo
; %bb.100:
	s_or_b32 exec_lo, exec_lo, s4
	v_and_b32_e32 v6, 0x7f800000, v78
	s_delay_alu instid0(VALU_DEP_1) | instskip(SKIP_1) | instid1(SALU_CYCLE_1)
	v_cmp_ne_u32_e32 vcc_lo, 0x7f800000, v6
                                        ; implicit-def: $vgpr6
	s_and_saveexec_b32 s4, vcc_lo
	s_xor_b32 s4, exec_lo, s4
; %bb.101:
	v_bfe_u32 v6, v78, 16, 1
	s_delay_alu instid0(VALU_DEP_1)
	v_add3_u32 v6, v78, v6, 0x7fff
; %bb.102:
	s_and_not1_saveexec_b32 s4, s4
; %bb.103:
	v_and_b32_e32 v6, 0xffff, v78
	v_or_b32_e32 v7, 0x10000, v78
	s_delay_alu instid0(VALU_DEP_2) | instskip(NEXT) | instid1(VALU_DEP_2)
	v_cmp_eq_u32_e32 vcc_lo, 0, v6
	v_cndmask_b32_e32 v6, v7, v78, vcc_lo
; %bb.104:
	s_or_b32 exec_lo, exec_lo, s4
	v_and_b32_e32 v7, 0x7f800000, v79
	s_delay_alu instid0(VALU_DEP_1) | instskip(SKIP_1) | instid1(SALU_CYCLE_1)
	v_cmp_ne_u32_e32 vcc_lo, 0x7f800000, v7
                                        ; implicit-def: $vgpr7
	s_and_saveexec_b32 s4, vcc_lo
	s_xor_b32 s4, exec_lo, s4
; %bb.105:
	v_bfe_u32 v7, v79, 16, 1
	s_delay_alu instid0(VALU_DEP_1)
	v_add3_u32 v7, v79, v7, 0x7fff
; %bb.106:
	s_and_not1_saveexec_b32 s4, s4
; %bb.107:
	v_and_b32_e32 v7, 0xffff, v79
	v_or_b32_e32 v8, 0x10000, v79
	s_delay_alu instid0(VALU_DEP_2) | instskip(NEXT) | instid1(VALU_DEP_2)
	v_cmp_eq_u32_e32 vcc_lo, 0, v7
	v_cndmask_b32_e32 v7, v8, v79, vcc_lo
; %bb.108:
	s_or_b32 exec_lo, exec_lo, s4
	v_and_b32_e32 v8, 0x7f800000, v80
	s_delay_alu instid0(VALU_DEP_1) | instskip(SKIP_1) | instid1(SALU_CYCLE_1)
	v_cmp_ne_u32_e32 vcc_lo, 0x7f800000, v8
                                        ; implicit-def: $vgpr8
	s_and_saveexec_b32 s4, vcc_lo
	s_xor_b32 s4, exec_lo, s4
; %bb.109:
	v_bfe_u32 v8, v80, 16, 1
	s_delay_alu instid0(VALU_DEP_1)
	v_add3_u32 v8, v80, v8, 0x7fff
                                        ; implicit-def: $vgpr73_vgpr74_vgpr75_vgpr76_vgpr77_vgpr78_vgpr79_vgpr80
; %bb.110:
	s_and_not1_saveexec_b32 s4, s4
; %bb.111:
	v_and_b32_e32 v8, 0xffff, v80
	v_or_b32_e32 v9, 0x10000, v80
	s_delay_alu instid0(VALU_DEP_2) | instskip(NEXT) | instid1(VALU_DEP_2)
	v_cmp_eq_u32_e32 vcc_lo, 0, v8
	v_cndmask_b32_e32 v8, v9, v80, vcc_lo
; %bb.112:
	s_or_b32 exec_lo, exec_lo, s4
	s_delay_alu instid0(VALU_DEP_1)
	v_perm_b32 v7, v8, v7, 0x7060302
	v_perm_b32 v6, v6, v5, 0x7060302
	;; [unrolled: 1-line block ×4, first 2 shown]
	v_lshl_or_b32 v9, v83, 4, v90
	s_barrier
	buffer_gl0_inv
	v_cmp_eq_u32_e32 vcc_lo, 1, v87
	ds_store_b128 v9, v[4:7]
	s_waitcnt lgkmcnt(0)
	s_barrier
	buffer_gl0_inv
	ds_load_b128 v[1:4], v90
	ds_load_b128 v[5:8], v90 offset:16
	v_cmp_eq_u32_e64 s5, 2, v87
	v_cmp_eq_u32_e64 s4, 1, v88
	;; [unrolled: 1-line block ×5, first 2 shown]
	s_waitcnt lgkmcnt(1)
	v_lshrrev_b32_e32 v10, 16, v1
	s_waitcnt lgkmcnt(0)
	v_lshrrev_b32_e32 v14, 16, v5
	v_lshrrev_b32_e32 v15, 16, v6
	;; [unrolled: 1-line block ×4, first 2 shown]
	v_cndmask_b32_e64 v20, v1, v10, s4
	v_cndmask_b32_e32 v19, v5, v14, vcc_lo
	v_cndmask_b32_e64 v21, v5, v14, s4
	v_lshrrev_b32_e32 v16, 16, v7
	v_cmp_eq_u32_e64 s4, 1, v86
	v_lshrrev_b32_e32 v13, 16, v4
	v_cndmask_b32_e64 v19, v19, v6, s5
	v_lshrrev_b32_e32 v17, 16, v8
	s_delay_alu instid0(VALU_DEP_4) | instskip(SKIP_1) | instid1(VALU_DEP_4)
	v_cndmask_b32_e64 v22, v1, v10, s4
	v_cndmask_b32_e64 v23, v5, v14, s4
	v_cndmask_b32_e64 v19, v19, v15, s6
	v_cndmask_b32_e32 v18, v1, v10, vcc_lo
	v_cmp_eq_u32_e32 vcc_lo, 2, v88
	v_cmp_eq_u32_e64 s4, 2, v89
	v_cndmask_b32_e64 v22, v22, v2, s8
	v_cndmask_b32_e32 v20, v20, v2, vcc_lo
	v_cndmask_b32_e32 v21, v21, v6, vcc_lo
	v_cmp_eq_u32_e32 vcc_lo, 4, v87
	v_cndmask_b32_e32 v19, v19, v7, vcc_lo
	v_cndmask_b32_e64 v18, v18, v2, s5
	v_cmp_eq_u32_e64 s5, 3, v88
	s_delay_alu instid0(VALU_DEP_2) | instskip(NEXT) | instid1(VALU_DEP_2)
	v_cndmask_b32_e64 v18, v18, v11, s6
	v_cndmask_b32_e64 v21, v21, v15, s5
	v_cmp_eq_u32_e64 s6, 5, v87
	s_delay_alu instid0(VALU_DEP_3) | instskip(SKIP_1) | instid1(VALU_DEP_3)
	v_cndmask_b32_e32 v18, v18, v3, vcc_lo
	v_cmp_eq_u32_e32 vcc_lo, 4, v88
	v_cndmask_b32_e64 v19, v19, v16, s6
	s_delay_alu instid0(VALU_DEP_3) | instskip(SKIP_4) | instid1(VALU_DEP_3)
	v_cndmask_b32_e64 v18, v18, v12, s6
	v_cndmask_b32_e32 v21, v21, v7, vcc_lo
	v_cndmask_b32_e64 v20, v20, v11, s5
	v_cmp_eq_u32_e64 s5, 5, v88
	v_cmp_eq_u32_e64 s6, 6, v87
	v_cndmask_b32_e32 v20, v20, v3, vcc_lo
	s_delay_alu instid0(VALU_DEP_3) | instskip(SKIP_1) | instid1(VALU_DEP_4)
	v_cndmask_b32_e64 v21, v21, v16, s5
	v_cmp_eq_u32_e32 vcc_lo, 6, v88
	v_cndmask_b32_e64 v18, v18, v4, s6
	v_cndmask_b32_e64 v19, v19, v8, s6
	;; [unrolled: 1-line block ×3, first 2 shown]
	v_cmp_eq_u32_e64 s5, 1, v89
	v_cmp_eq_u32_e64 s6, 7, v87
	s_delay_alu instid0(VALU_DEP_3) | instskip(NEXT) | instid1(VALU_DEP_3)
	v_cndmask_b32_e32 v20, v20, v4, vcc_lo
	v_cndmask_b32_e64 v1, v1, v10, s5
	v_cndmask_b32_e64 v5, v5, v14, s5
	v_cmp_eq_u32_e64 s5, 3, v86
	v_cndmask_b32_e64 v14, v23, v6, s8
	v_cmp_eq_u32_e64 s8, 3, v89
	v_cndmask_b32_e64 v1, v1, v2, s4
	v_cndmask_b32_e64 v2, v5, v6, s4
	;; [unrolled: 1-line block ×3, first 2 shown]
	v_cmp_eq_u32_e64 s4, 4, v86
	v_cndmask_b32_e64 v6, v14, v15, s5
	v_cndmask_b32_e64 v1, v1, v11, s8
	v_cmp_eq_u32_e64 s5, 4, v89
	v_cndmask_b32_e64 v2, v2, v15, s8
	v_cndmask_b32_e64 v5, v10, v3, s4
	v_cmp_eq_u32_e64 s8, 5, v86
	v_cndmask_b32_e64 v6, v6, v7, s4
	v_cndmask_b32_e64 v1, v1, v3, s5
	v_cndmask_b32_e64 v2, v2, v7, s5
	v_cmp_eq_u32_e64 s4, 5, v89
	v_cndmask_b32_e64 v5, v5, v12, s8
	v_cmp_eq_u32_e64 s5, 6, v86
	v_cndmask_b32_e64 v3, v6, v16, s8
	v_cmp_eq_u32_e64 s8, 6, v89
	v_cndmask_b32_e64 v1, v1, v12, s4
	v_cndmask_b32_e64 v2, v2, v16, s4
	;; [unrolled: 1-line block ×4, first 2 shown]
	v_cmp_eq_u32_e64 s4, 7, v89
	v_cndmask_b32_e64 v1, v1, v4, s8
	v_cndmask_b32_e64 v2, v2, v8, s8
	v_cmp_eq_u32_e64 s5, 7, v86
	v_cndmask_b32_e32 v4, v21, v8, vcc_lo
	v_cndmask_b32_e64 v18, v18, v13, s6
	v_cndmask_b32_e64 v20, v20, v13, s7
	;; [unrolled: 1-line block ×8, first 2 shown]
	v_cmp_gt_u32_e32 vcc_lo, 32, v0
	v_perm_b32 v4, v2, v1, 0x5040100
	v_perm_b32 v3, v3, v5, 0x5040100
	;; [unrolled: 1-line block ×4, first 2 shown]
	s_and_b32 s2, vcc_lo, s2
	ds_store_b128 v9, v[1:4]
	s_waitcnt lgkmcnt(0)
	s_barrier
	buffer_gl0_inv
	s_and_saveexec_b32 s4, s2
	s_cbranch_execz .LBB528_2
; %bb.113:
	s_load_b64 s[4:5], s[0:1], 0x68
	v_lshlrev_b32_e32 v0, 10, v0
	v_lshlrev_b32_e32 v1, 4, v84
	s_lshl_b32 s0, s36, 6
	v_add_nc_u32_e32 v7, s31, v83
	s_mul_i32 s1, s0, s34
	s_delay_alu instid0(SALU_CYCLE_1) | instskip(SKIP_1) | instid1(VALU_DEP_2)
	s_mul_i32 s6, s1, s9
	v_and_or_b32 v0, 0x3800, v0, v1
	v_mul_lo_u32 v1, v7, s0
	v_add_nc_u32_e32 v2, 2, v7
	s_ashr_i32 s7, s6, 31
	v_add_nc_u32_e32 v4, 4, v7
	s_lshl_b64 s[6:7], s[6:7], 1
	v_add_nc_u32_e32 v8, 6, v7
	v_mul_lo_u32 v3, v2, s0
	v_lshl_or_b32 v19, v83, 6, v0
	v_ashrrev_i32_e32 v2, 31, v1
	v_mul_lo_u32 v11, v4, s0
	v_mul_lo_u32 v25, v8, s0
	s_waitcnt lgkmcnt(0)
	s_add_u32 s1, s4, s6
	s_addc_u32 s2, s5, s7
	s_lshl_b32 s4, s14, 6
	v_lshlrev_b64 v[5:6], 1, v[1:2]
	s_ashr_i32 s5, s4, 31
	v_ashrrev_i32_e32 v4, 31, v3
	s_lshl_b64 s[4:5], s[4:5], 1
	v_ashrrev_i32_e32 v12, 31, v11
	s_add_u32 s1, s1, s4
	s_addc_u32 s2, s2, s5
	v_add_co_u32 v1, vcc_lo, s1, v81
	v_add_co_ci_u32_e32 v2, vcc_lo, s2, v82, vcc_lo
	v_lshlrev_b64 v[3:4], 1, v[3:4]
	s_delay_alu instid0(VALU_DEP_3) | instskip(SKIP_1) | instid1(VALU_DEP_4)
	v_add_co_u32 v23, vcc_lo, v1, v5
	v_add_nc_u32_e32 v5, 8, v7
	v_add_co_ci_u32_e32 v24, vcc_lo, v2, v6, vcc_lo
	s_delay_alu instid0(VALU_DEP_4) | instskip(NEXT) | instid1(VALU_DEP_3)
	v_add_co_u32 v27, vcc_lo, v1, v3
	v_mul_lo_u32 v29, v5, s0
	v_add_co_ci_u32_e32 v28, vcc_lo, v2, v4, vcc_lo
	ds_load_b128 v[3:6], v19
	ds_load_b128 v[7:10], v19 offset:128
	v_lshlrev_b64 v[31:32], 1, v[11:12]
	ds_load_b128 v[11:14], v19 offset:256
	ds_load_b128 v[15:18], v19 offset:384
	;; [unrolled: 1-line block ×3, first 2 shown]
	v_ashrrev_i32_e32 v26, 31, v25
	v_ashrrev_i32_e32 v30, 31, v29
	v_add_co_u32 v31, vcc_lo, v1, v31
	s_delay_alu instid0(VALU_DEP_3) | instskip(NEXT) | instid1(VALU_DEP_3)
	v_lshlrev_b64 v[25:26], 1, v[25:26]
	v_lshlrev_b64 v[29:30], 1, v[29:30]
	v_add_co_ci_u32_e32 v32, vcc_lo, v2, v32, vcc_lo
	s_delay_alu instid0(VALU_DEP_3) | instskip(NEXT) | instid1(VALU_DEP_4)
	v_add_co_u32 v25, vcc_lo, v1, v25
	v_add_co_ci_u32_e32 v26, vcc_lo, v2, v26, vcc_lo
	s_delay_alu instid0(VALU_DEP_4)
	v_add_co_u32 v29, vcc_lo, v1, v29
	v_add_co_ci_u32_e32 v30, vcc_lo, v2, v30, vcc_lo
	s_waitcnt lgkmcnt(4)
	global_store_b128 v[23:24], v[3:6], off
	s_waitcnt lgkmcnt(3)
	global_store_b128 v[27:28], v[7:10], off
	s_waitcnt lgkmcnt(2)
	global_store_b128 v[31:32], v[11:14], off
	s_waitcnt lgkmcnt(1)
	global_store_b128 v[25:26], v[15:18], off
	s_waitcnt lgkmcnt(0)
	global_store_b128 v[29:30], v[19:22], off
	s_and_b32 exec_lo, exec_lo, s3
	s_cbranch_execz .LBB528_2
; %bb.114:
	ds_load_b128 v[3:6], v0 offset:640
	s_add_i32 s1, s31, 10
	s_delay_alu instid0(SALU_CYCLE_1) | instskip(NEXT) | instid1(SALU_CYCLE_1)
	s_mul_i32 s0, s1, s0
	s_ashr_i32 s1, s0, 31
	s_delay_alu instid0(SALU_CYCLE_1) | instskip(NEXT) | instid1(SALU_CYCLE_1)
	s_lshl_b64 s[0:1], s[0:1], 1
	v_add_co_u32 v0, vcc_lo, v1, s0
	v_add_co_ci_u32_e32 v1, vcc_lo, s1, v2, vcc_lo
	s_waitcnt lgkmcnt(0)
	global_store_b128 v[0:1], v[3:6], off
	s_nop 0
	s_sendmsg sendmsg(MSG_DEALLOC_VGPRS)
	s_endpgm
	.section	.rodata,"a",@progbits
	.p2align	6, 0x0
	.amdhsa_kernel _Z39paged_attention_ll4mi_QKV_mfma16_kernelI14__hip_bfloat16S0_LN4vllm18Fp8KVCacheDataTypeE0EhLi32ELi64ELi256ELb0ELi11EL8MFMAType0EEvPKT_PKT0_S9_ifPKiSB_SB_iPKfiiiPfSE_PS4_PT2_iSD_SD_
		.amdhsa_group_segment_fixed_size 17472
		.amdhsa_private_segment_fixed_size 0
		.amdhsa_kernarg_size 400
		.amdhsa_user_sgpr_count 13
		.amdhsa_user_sgpr_dispatch_ptr 0
		.amdhsa_user_sgpr_queue_ptr 0
		.amdhsa_user_sgpr_kernarg_segment_ptr 1
		.amdhsa_user_sgpr_dispatch_id 0
		.amdhsa_user_sgpr_private_segment_size 0
		.amdhsa_wavefront_size32 1
		.amdhsa_uses_dynamic_stack 0
		.amdhsa_enable_private_segment 0
		.amdhsa_system_sgpr_workgroup_id_x 1
		.amdhsa_system_sgpr_workgroup_id_y 1
		.amdhsa_system_sgpr_workgroup_id_z 1
		.amdhsa_system_sgpr_workgroup_info 0
		.amdhsa_system_vgpr_workitem_id 0
		.amdhsa_next_free_vgpr 142
		.amdhsa_next_free_sgpr 39
		.amdhsa_reserve_vcc 1
		.amdhsa_float_round_mode_32 0
		.amdhsa_float_round_mode_16_64 0
		.amdhsa_float_denorm_mode_32 3
		.amdhsa_float_denorm_mode_16_64 3
		.amdhsa_dx10_clamp 1
		.amdhsa_ieee_mode 1
		.amdhsa_fp16_overflow 0
		.amdhsa_workgroup_processor_mode 1
		.amdhsa_memory_ordered 1
		.amdhsa_forward_progress 0
		.amdhsa_shared_vgpr_count 0
		.amdhsa_exception_fp_ieee_invalid_op 0
		.amdhsa_exception_fp_denorm_src 0
		.amdhsa_exception_fp_ieee_div_zero 0
		.amdhsa_exception_fp_ieee_overflow 0
		.amdhsa_exception_fp_ieee_underflow 0
		.amdhsa_exception_fp_ieee_inexact 0
		.amdhsa_exception_int_div_zero 0
	.end_amdhsa_kernel
	.section	.text._Z39paged_attention_ll4mi_QKV_mfma16_kernelI14__hip_bfloat16S0_LN4vllm18Fp8KVCacheDataTypeE0EhLi32ELi64ELi256ELb0ELi11EL8MFMAType0EEvPKT_PKT0_S9_ifPKiSB_SB_iPKfiiiPfSE_PS4_PT2_iSD_SD_,"axG",@progbits,_Z39paged_attention_ll4mi_QKV_mfma16_kernelI14__hip_bfloat16S0_LN4vllm18Fp8KVCacheDataTypeE0EhLi32ELi64ELi256ELb0ELi11EL8MFMAType0EEvPKT_PKT0_S9_ifPKiSB_SB_iPKfiiiPfSE_PS4_PT2_iSD_SD_,comdat
.Lfunc_end528:
	.size	_Z39paged_attention_ll4mi_QKV_mfma16_kernelI14__hip_bfloat16S0_LN4vllm18Fp8KVCacheDataTypeE0EhLi32ELi64ELi256ELb0ELi11EL8MFMAType0EEvPKT_PKT0_S9_ifPKiSB_SB_iPKfiiiPfSE_PS4_PT2_iSD_SD_, .Lfunc_end528-_Z39paged_attention_ll4mi_QKV_mfma16_kernelI14__hip_bfloat16S0_LN4vllm18Fp8KVCacheDataTypeE0EhLi32ELi64ELi256ELb0ELi11EL8MFMAType0EEvPKT_PKT0_S9_ifPKiSB_SB_iPKfiiiPfSE_PS4_PT2_iSD_SD_
                                        ; -- End function
	.section	.AMDGPU.csdata,"",@progbits
; Kernel info:
; codeLenInByte = 9536
; NumSgprs: 41
; NumVgprs: 142
; ScratchSize: 0
; MemoryBound: 0
; FloatMode: 240
; IeeeMode: 1
; LDSByteSize: 17472 bytes/workgroup (compile time only)
; SGPRBlocks: 5
; VGPRBlocks: 17
; NumSGPRsForWavesPerEU: 41
; NumVGPRsForWavesPerEU: 142
; Occupancy: 10
; WaveLimiterHint : 1
; COMPUTE_PGM_RSRC2:SCRATCH_EN: 0
; COMPUTE_PGM_RSRC2:USER_SGPR: 13
; COMPUTE_PGM_RSRC2:TRAP_HANDLER: 0
; COMPUTE_PGM_RSRC2:TGID_X_EN: 1
; COMPUTE_PGM_RSRC2:TGID_Y_EN: 1
; COMPUTE_PGM_RSRC2:TGID_Z_EN: 1
; COMPUTE_PGM_RSRC2:TIDIG_COMP_CNT: 0
	.section	.text._Z39paged_attention_ll4mi_QKV_mfma16_kernelI14__hip_bfloat16S0_LN4vllm18Fp8KVCacheDataTypeE0EhLi32ELi64ELi256ELb0ELi12EL8MFMAType0EEvPKT_PKT0_S9_ifPKiSB_SB_iPKfiiiPfSE_PS4_PT2_iSD_SD_,"axG",@progbits,_Z39paged_attention_ll4mi_QKV_mfma16_kernelI14__hip_bfloat16S0_LN4vllm18Fp8KVCacheDataTypeE0EhLi32ELi64ELi256ELb0ELi12EL8MFMAType0EEvPKT_PKT0_S9_ifPKiSB_SB_iPKfiiiPfSE_PS4_PT2_iSD_SD_,comdat
	.protected	_Z39paged_attention_ll4mi_QKV_mfma16_kernelI14__hip_bfloat16S0_LN4vllm18Fp8KVCacheDataTypeE0EhLi32ELi64ELi256ELb0ELi12EL8MFMAType0EEvPKT_PKT0_S9_ifPKiSB_SB_iPKfiiiPfSE_PS4_PT2_iSD_SD_ ; -- Begin function _Z39paged_attention_ll4mi_QKV_mfma16_kernelI14__hip_bfloat16S0_LN4vllm18Fp8KVCacheDataTypeE0EhLi32ELi64ELi256ELb0ELi12EL8MFMAType0EEvPKT_PKT0_S9_ifPKiSB_SB_iPKfiiiPfSE_PS4_PT2_iSD_SD_
	.globl	_Z39paged_attention_ll4mi_QKV_mfma16_kernelI14__hip_bfloat16S0_LN4vllm18Fp8KVCacheDataTypeE0EhLi32ELi64ELi256ELb0ELi12EL8MFMAType0EEvPKT_PKT0_S9_ifPKiSB_SB_iPKfiiiPfSE_PS4_PT2_iSD_SD_
	.p2align	8
	.type	_Z39paged_attention_ll4mi_QKV_mfma16_kernelI14__hip_bfloat16S0_LN4vllm18Fp8KVCacheDataTypeE0EhLi32ELi64ELi256ELb0ELi12EL8MFMAType0EEvPKT_PKT0_S9_ifPKiSB_SB_iPKfiiiPfSE_PS4_PT2_iSD_SD_,@function
_Z39paged_attention_ll4mi_QKV_mfma16_kernelI14__hip_bfloat16S0_LN4vllm18Fp8KVCacheDataTypeE0EhLi32ELi64ELi256ELb0ELi12EL8MFMAType0EEvPKT_PKT0_S9_ifPKiSB_SB_iPKfiiiPfSE_PS4_PT2_iSD_SD_: ; @_Z39paged_attention_ll4mi_QKV_mfma16_kernelI14__hip_bfloat16S0_LN4vllm18Fp8KVCacheDataTypeE0EhLi32ELi64ELi256ELb0ELi12EL8MFMAType0EEvPKT_PKT0_S9_ifPKiSB_SB_iPKfiiiPfSE_PS4_PT2_iSD_SD_
; %bb.0:
	s_load_b64 s[2:3], s[0:1], 0x30
	s_mov_b32 s30, s13
	s_waitcnt lgkmcnt(0)
	s_cmp_lg_u64 s[2:3], 0
	s_cselect_b32 s6, -1, 0
	s_ashr_i32 s31, s13, 31
	s_cmp_eq_u64 s[2:3], 0
	s_cbranch_scc1 .LBB529_3
; %bb.1:
	s_lshl_b64 s[4:5], s[30:31], 2
	s_delay_alu instid0(SALU_CYCLE_1) | instskip(SKIP_4) | instid1(SALU_CYCLE_1)
	s_add_u32 s4, s2, s4
	s_addc_u32 s5, s3, s5
	s_load_b64 s[4:5], s[4:5], 0x0
	s_waitcnt lgkmcnt(0)
	s_sub_i32 s4, s5, s4
	s_cmp_eq_u32 s4, 1
	s_cselect_b32 s4, -1, 0
	s_delay_alu instid0(SALU_CYCLE_1)
	s_and_not1_b32 vcc_lo, exec_lo, s4
	s_cbranch_vccz .LBB529_4
.LBB529_2:
	s_endpgm
.LBB529_3:
.LBB529_4:
	s_load_b64 s[8:9], s[0:1], 0x28
	s_lshl_b64 s[4:5], s[30:31], 2
	s_waitcnt lgkmcnt(0)
	s_add_u32 s8, s8, s4
	s_addc_u32 s9, s9, s5
	s_lshl_b32 s16, s14, 8
	s_load_b32 s18, s[8:9], 0x0
	s_waitcnt lgkmcnt(0)
	s_cmp_ge_i32 s16, s18
	s_cbranch_scc1 .LBB529_2
; %bb.5:
	s_and_not1_b32 vcc_lo, exec_lo, s6
	s_cbranch_vccnz .LBB529_7
; %bb.6:
	s_add_u32 s2, s2, s4
	s_addc_u32 s3, s3, s5
	s_load_b32 s17, s[2:3], 0x0
	s_branch .LBB529_8
.LBB529_7:
	s_mov_b32 s17, s30
.LBB529_8:
	s_clause 0x2
	s_load_b128 s[8:11], s[0:1], 0x8
	s_load_b64 s[12:13], s[0:1], 0x20
	s_load_b128 s[4:7], s[0:1], 0x48
	v_and_b32_e32 v73, 15, v0
	v_cmp_lt_u32_e32 vcc_lo, 0xbf, v0
	s_delay_alu instid0(VALU_DEP_2) | instskip(SKIP_2) | instid1(VALU_DEP_3)
	v_cmp_lt_u32_e64 s3, 7, v73
	v_lshlrev_b32_e32 v1, 3, v73
	v_cmp_gt_u32_e64 s2, 8, v73
	s_or_b32 s3, vcc_lo, s3
	s_waitcnt lgkmcnt(0)
	s_and_saveexec_b32 s7, s3
	s_delay_alu instid0(SALU_CYCLE_1)
	s_xor_b32 s3, exec_lo, s7
; %bb.9:
	v_mov_b32_e32 v2, 0
; %bb.10:
	s_or_saveexec_b32 s3, s3
	v_lshrrev_b32_e32 v74, 5, v0
	v_and_b32_e32 v75, 31, v0
	v_and_b32_e32 v84, 1, v0
	v_bfe_u32 v83, v0, 4, 1
	s_mul_i32 s31, s15, 12
	s_xor_b32 exec_lo, exec_lo, s3
	s_cbranch_execz .LBB529_12
; %bb.11:
	s_load_b64 s[20:21], s[0:1], 0x0
	v_lshl_or_b32 v7, v74, 1, v83
	s_mul_hi_i32 s23, s17, s4
	s_mul_i32 s22, s17, s4
	v_lshlrev_b32_e32 v4, 1, v1
	s_lshl_b64 s[22:23], s[22:23], 1
	v_add_lshl_u32 v2, v7, s31, 6
	v_lshlrev_b32_e32 v7, 6, v7
	v_lshlrev_b32_e32 v8, 10, v84
	s_delay_alu instid0(VALU_DEP_3) | instskip(NEXT) | instid1(VALU_DEP_1)
	v_ashrrev_i32_e32 v3, 31, v2
	v_lshlrev_b64 v[2:3], 1, v[2:3]
	s_waitcnt lgkmcnt(0)
	s_add_u32 s4, s20, s22
	s_addc_u32 s7, s21, s23
	s_delay_alu instid0(VALU_DEP_1) | instskip(NEXT) | instid1(VALU_DEP_2)
	v_add_co_u32 v2, vcc_lo, s4, v2
	v_add_co_ci_u32_e32 v3, vcc_lo, s7, v3, vcc_lo
	s_delay_alu instid0(VALU_DEP_2) | instskip(NEXT) | instid1(VALU_DEP_2)
	v_add_co_u32 v2, vcc_lo, v2, v4
	v_add_co_ci_u32_e32 v3, vcc_lo, 0, v3, vcc_lo
	global_load_b128 v[3:6], v[2:3], off
	v_lshlrev_b32_e32 v2, 10, v73
	s_delay_alu instid0(VALU_DEP_1) | instskip(NEXT) | instid1(VALU_DEP_1)
	v_and_b32_e32 v2, 0x3800, v2
	v_or3_b32 v7, v2, v8, v7
	v_mov_b32_e32 v2, 0
	s_waitcnt vmcnt(0)
	ds_store_b128 v7, v[3:6]
.LBB529_12:
	s_or_b32 exec_lo, exec_lo, s3
	v_and_b32_e32 v3, 0xef, v0
	s_add_i32 s3, s18, 31
	s_clause 0x1
	s_load_b32 s4, s[0:1], 0x38
	s_load_b32 s19, s[0:1], 0x1c
	s_ashr_i32 s7, s3, 31
	v_add_nc_u32_e32 v3, s16, v3
	s_lshr_b32 s7, s7, 27
	s_waitcnt lgkmcnt(0)
	s_add_i32 s3, s3, s7
	s_barrier
	v_ashrrev_i32_e32 v4, 31, v3
	v_cmp_gt_i32_e32 vcc_lo, s18, v3
	s_ashr_i32 s3, s3, 5
	buffer_gl0_inv
	s_add_i32 s3, s3, -1
	v_lshrrev_b32_e32 v5, 27, v4
	v_or_b32_e32 v4, 16, v3
	s_mul_i32 s6, s15, s6
	v_lshlrev_b64 v[81:82], 1, v[1:2]
	s_delay_alu instid0(VALU_DEP_3) | instskip(NEXT) | instid1(VALU_DEP_3)
	v_add_nc_u32_e32 v6, v3, v5
	v_add_nc_u32_e32 v5, v4, v5
	s_mul_i32 s20, s30, s4
	s_delay_alu instid0(SALU_CYCLE_1) | instskip(NEXT) | instid1(VALU_DEP_2)
	s_ashr_i32 s21, s20, 31
	v_ashrrev_i32_e32 v6, 5, v6
	s_delay_alu instid0(VALU_DEP_2) | instskip(SKIP_1) | instid1(SALU_CYCLE_1)
	v_ashrrev_i32_e32 v5, 5, v5
	s_lshl_b64 s[20:21], s[20:21], 2
	s_add_u32 s4, s12, s20
	s_delay_alu instid0(VALU_DEP_2) | instskip(SKIP_3) | instid1(SALU_CYCLE_1)
	v_cndmask_b32_e32 v3, s3, v6, vcc_lo
	v_cmp_gt_i32_e32 vcc_lo, s18, v4
	s_addc_u32 s17, s13, s21
	s_ashr_i32 s7, s6, 31
	s_lshl_b64 s[6:7], s[6:7], 1
	v_cndmask_b32_e32 v5, s3, v5, vcc_lo
	v_ashrrev_i32_e32 v4, 31, v3
	s_add_u32 s15, s8, s6
	s_addc_u32 s28, s9, s7
	s_lshl_b32 s8, s14, 3
	v_ashrrev_i32_e32 v6, 31, v5
	v_lshlrev_b64 v[3:4], 2, v[3:4]
	s_ashr_i32 s9, s8, 31
	s_delay_alu instid0(SALU_CYCLE_1) | instskip(NEXT) | instid1(VALU_DEP_2)
	s_lshl_b64 s[8:9], s[8:9], 2
	v_lshlrev_b64 v[5:6], 2, v[5:6]
	s_add_u32 s8, s4, s8
	s_delay_alu instid0(VALU_DEP_2) | instskip(SKIP_1) | instid1(VALU_DEP_3)
	v_add_co_u32 v3, vcc_lo, s4, v3
	v_add_co_ci_u32_e32 v4, vcc_lo, s17, v4, vcc_lo
	v_add_co_u32 v5, vcc_lo, s4, v5
	s_delay_alu instid0(VALU_DEP_4)
	v_add_co_ci_u32_e32 v6, vcc_lo, s17, v6, vcc_lo
	s_addc_u32 s9, s17, s9
	s_clause 0x1
	global_load_b32 v7, v[3:4], off
	global_load_b32 v8, v[5:6], off
	s_or_b32 s12, s16, 32
	s_delay_alu instid0(SALU_CYCLE_1) | instskip(SKIP_2) | instid1(SALU_CYCLE_1)
	s_ashr_i32 s13, s12, 5
	s_cmp_lt_i32 s12, s18
	s_cselect_b32 s12, s13, s3
	s_ashr_i32 s13, s12, 31
	s_delay_alu instid0(SALU_CYCLE_1) | instskip(NEXT) | instid1(SALU_CYCLE_1)
	s_lshl_b64 s[12:13], s[12:13], 2
	s_add_u32 s12, s4, s12
	s_addc_u32 s13, s17, s13
	s_or_b32 s20, s16, 64
	s_delay_alu instid0(SALU_CYCLE_1) | instskip(SKIP_2) | instid1(SALU_CYCLE_1)
	s_ashr_i32 s21, s20, 5
	s_cmp_lt_i32 s20, s18
	s_cselect_b32 s20, s21, s3
	s_ashr_i32 s21, s20, 31
	s_delay_alu instid0(SALU_CYCLE_1) | instskip(NEXT) | instid1(SALU_CYCLE_1)
	s_lshl_b64 s[20:21], s[20:21], 2
	s_add_u32 s20, s4, s20
	s_addc_u32 s21, s17, s21
	;; [unrolled: 10-line block ×5, first 2 shown]
	s_clause 0x5
	s_load_b32 s29, s[8:9], 0x0
	s_load_b32 s33, s[12:13], 0x0
	;; [unrolled: 1-line block ×6, first 2 shown]
	s_mov_b32 s20, 0
	s_or_b32 s8, s16, 0xc0
	s_mov_b32 s21, s20
	s_mov_b32 s22, s20
	;; [unrolled: 1-line block ×7, first 2 shown]
	s_ashr_i32 s9, s8, 5
	v_mov_b32_e32 v117, s27
	s_cmp_lt_i32 s8, s18
	v_mov_b32_e32 v116, s26
	s_cselect_b32 s8, s9, s3
	v_mov_b32_e32 v115, s25
	s_ashr_i32 s9, s8, 31
	v_dual_mov_b32 v114, s24 :: v_dual_mov_b32 v113, s23
	v_dual_mov_b32 v112, s22 :: v_dual_mov_b32 v111, s21
	s_lshl_b64 s[8:9], s[8:9], 2
	s_waitcnt lgkmcnt(0)
	s_mul_hi_i32 s13, s29, s5
	s_add_u32 s8, s4, s8
	s_addc_u32 s9, s17, s9
	s_mul_i32 s12, s29, s5
	v_mov_b32_e32 v110, s20
	s_mul_hi_i32 s21, s33, s5
	s_mul_i32 s20, s33, s5
	s_mul_hi_i32 s25, s34, s5
	s_mul_i32 s24, s34, s5
	;; [unrolled: 2-line block ×4, first 2 shown]
	s_waitcnt vmcnt(1)
	v_mad_i64_i32 v[3:4], null, v7, s5, 0
	s_waitcnt vmcnt(0)
	v_mad_i64_i32 v[5:6], null, v8, s5, 0
	s_delay_alu instid0(VALU_DEP_2) | instskip(NEXT) | instid1(VALU_DEP_2)
	v_lshlrev_b64 v[3:4], 1, v[3:4]
	v_lshlrev_b64 v[1:2], 1, v[5:6]
	s_delay_alu instid0(VALU_DEP_2) | instskip(NEXT) | instid1(VALU_DEP_3)
	v_add_co_u32 v3, vcc_lo, s15, v3
	v_add_co_ci_u32_e32 v4, vcc_lo, s28, v4, vcc_lo
	s_delay_alu instid0(VALU_DEP_3) | instskip(NEXT) | instid1(VALU_DEP_4)
	v_add_co_u32 v1, vcc_lo, s15, v1
	v_add_co_ci_u32_e32 v2, vcc_lo, s28, v2, vcc_lo
	s_delay_alu instid0(VALU_DEP_4) | instskip(NEXT) | instid1(VALU_DEP_4)
	v_add_co_u32 v41, vcc_lo, v3, v81
	v_add_co_ci_u32_e32 v42, vcc_lo, v4, v82, vcc_lo
	s_delay_alu instid0(VALU_DEP_4) | instskip(NEXT) | instid1(VALU_DEP_4)
	v_add_co_u32 v43, vcc_lo, v1, v81
	v_add_co_ci_u32_e32 v44, vcc_lo, v2, v82, vcc_lo
	s_clause 0xf
	global_load_b128 v[1:4], v[41:42], off
	global_load_b128 v[5:8], v[41:42], off offset:512
	global_load_b128 v[9:12], v[43:44], off offset:256
	;; [unrolled: 1-line block ×15, first 2 shown]
	v_add_nc_u32_e32 v41, -12, v73
	v_cmp_gt_u32_e32 vcc_lo, 12, v73
	s_or_b32 s15, s16, 0xe0
	s_delay_alu instid0(SALU_CYCLE_1) | instskip(SKIP_3) | instid1(SALU_CYCLE_1)
	s_ashr_i32 s22, s15, 5
	s_cmp_lt_i32 s15, s18
	v_cndmask_b32_e32 v41, v41, v73, vcc_lo
	s_cselect_b32 s22, s22, s3
	s_ashr_i32 s23, s22, 31
	s_delay_alu instid0(VALU_DEP_1)
	v_lshlrev_b32_e32 v57, 6, v41
	ds_load_b128 v[41:44], v57
	ds_load_b128 v[45:48], v57 offset:1024
	ds_load_b128 v[49:52], v57 offset:2048
	ds_load_b128 v[53:56], v57 offset:3072
	ds_load_b128 v[118:121], v57 offset:4096
	ds_load_b128 v[122:125], v57 offset:5120
	ds_load_b128 v[126:129], v57 offset:6144
	ds_load_b128 v[130:133], v57 offset:7168
	s_lshl_b64 s[22:23], s[22:23], 2
	s_delay_alu instid0(SALU_CYCLE_1) | instskip(SKIP_2) | instid1(SALU_CYCLE_1)
	s_add_u32 s22, s4, s22
	s_addc_u32 s23, s17, s23
	s_add_i32 s15, s16, 0x100
	s_ashr_i32 s28, s15, 5
	s_cmp_lt_i32 s15, s18
	s_load_b32 s15, s[8:9], 0x0
	s_cselect_b32 s28, s28, s3
	s_mul_hi_i32 s9, s36, s5
	s_ashr_i32 s29, s28, 31
	s_mul_i32 s8, s36, s5
	s_lshl_b64 s[28:29], s[28:29], 2
	s_delay_alu instid0(SALU_CYCLE_1)
	s_add_u32 s28, s4, s28
	s_addc_u32 s29, s17, s29
	s_add_u32 s3, s10, s6
	s_clause 0x1
	s_load_b32 s4, s[22:23], 0x0
	s_load_b32 s17, s[28:29], 0x0
	s_addc_u32 s28, s11, s7
	s_lshl_b64 s[6:7], s[12:13], 1
	s_lshl_b64 s[10:11], s[20:21], 1
	;; [unrolled: 1-line block ×6, first 2 shown]
	s_waitcnt lgkmcnt(0)
	s_mul_hi_i32 s25, s15, s5
	s_mul_i32 s24, s15, s5
	s_waitcnt vmcnt(14)
	v_wmma_f32_16x16x16_bf16 v[134:141], v[1:8], v[41:48], v[110:117]
	s_waitcnt vmcnt(10)
	s_delay_alu instid0(VALU_DEP_1) | instskip(SKIP_1) | instid1(VALU_DEP_1)
	v_wmma_f32_16x16x16_bf16 v[134:141], v[17:24], v[49:56], v[134:141]
	s_waitcnt vmcnt(6)
	v_wmma_f32_16x16x16_bf16 v[134:141], v[33:40], v[118:125], v[134:141]
	s_waitcnt vmcnt(2)
	s_delay_alu instid0(VALU_DEP_1) | instskip(SKIP_1) | instid1(VALU_DEP_2)
	v_wmma_f32_16x16x16_bf16 v[134:141], v[94:101], v[126:133], v[134:141]
	v_lshlrev_b32_e32 v85, 6, v73
	v_mul_f32_e32 v100, s19, v141
	s_delay_alu instid0(VALU_DEP_2) | instskip(SKIP_2) | instid1(VALU_DEP_3)
	v_lshl_or_b32 v58, v74, 10, v85
	v_wmma_f32_16x16x16_bf16 v[110:117], v[9:16], v[41:48], v[110:117]
	v_mul_f32_e32 v99, s19, v135
	v_add_co_u32 v76, s3, s3, v58
	s_delay_alu instid0(VALU_DEP_1) | instskip(NEXT) | instid1(VALU_DEP_4)
	v_add_co_ci_u32_e64 v77, null, s28, 0, s3
	v_wmma_f32_16x16x16_bf16 v[110:117], v[25:32], v[49:56], v[110:117]
	s_delay_alu instid0(VALU_DEP_3) | instskip(NEXT) | instid1(VALU_DEP_3)
	v_add_co_u32 v57, vcc_lo, v76, s6
	v_add_co_ci_u32_e32 v58, vcc_lo, s7, v77, vcc_lo
	v_add_co_u32 v1, vcc_lo, v76, s10
	v_add_co_ci_u32_e32 v2, vcc_lo, s11, v77, vcc_lo
	;; [unrolled: 2-line block ×5, first 2 shown]
	s_clause 0x9
	global_load_b128 v[65:68], v[57:58], off
	global_load_b128 v[69:72], v[57:58], off offset:16
	global_load_b128 v[57:60], v[1:2], off
	global_load_b128 v[61:64], v[1:2], off offset:16
	;; [unrolled: 2-line block ×5, first 2 shown]
	v_add_co_u32 v5, vcc_lo, v76, s22
	s_lshl_b64 s[6:7], s[24:25], 1
	v_add_co_ci_u32_e32 v6, vcc_lo, s23, v77, vcc_lo
	s_mul_hi_i32 s9, s4, s5
	s_mul_i32 s8, s4, s5
	v_add_co_u32 v17, vcc_lo, v76, s6
	v_add_co_ci_u32_e32 v18, vcc_lo, s7, v77, vcc_lo
	s_lshl_b64 s[6:7], s[8:9], 1
	s_mul_hi_i32 s9, s17, s5
	s_mul_i32 s8, s17, s5
	v_add_co_u32 v19, vcc_lo, v76, s6
	s_lshl_b64 s[4:5], s[8:9], 1
	v_add_co_ci_u32_e32 v20, vcc_lo, s7, v77, vcc_lo
	v_add_co_u32 v21, vcc_lo, v76, s4
	v_add_co_ci_u32_e32 v22, vcc_lo, s5, v77, vcc_lo
	s_clause 0x7
	global_load_b128 v[1:4], v[5:6], off
	global_load_b128 v[5:8], v[5:6], off offset:16
	global_load_b128 v[33:36], v[17:18], off
	global_load_b128 v[37:40], v[17:18], off offset:16
	;; [unrolled: 2-line block ×4, first 2 shown]
	v_and_b32_e32 v76, 0xe0, v0
	v_mbcnt_lo_u32_b32 v77, -1, 0
	v_wmma_f32_16x16x16_bf16 v[110:117], v[86:93], v[118:125], v[110:117]
	s_waitcnt vmcnt(0)
	s_barrier
	v_add_nc_u32_e32 v76, s16, v76
	v_xor_b32_e32 v78, 16, v77
	v_wmma_f32_16x16x16_bf16 v[110:117], v[102:109], v[126:133], v[110:117]
	v_mul_f32_e32 v97, s19, v134
	buffer_gl0_inv
	v_or_b32_e32 v76, v76, v83
	v_cmp_gt_i32_e32 vcc_lo, 32, v78
	s_delay_alu instid0(VALU_DEP_2)
	v_or_b32_e32 v79, 4, v76
	v_cndmask_b32_e32 v77, v77, v78, vcc_lo
	v_or_b32_e32 v78, 2, v76
	v_or_b32_e32 v80, 6, v76
	v_cmp_gt_i32_e32 vcc_lo, s18, v76
	v_or_b32_e32 v86, 8, v76
	v_or_b32_e32 v87, 10, v76
	v_cmp_gt_i32_e64 s3, s18, v78
	v_or_b32_e32 v88, 12, v76
	v_or_b32_e32 v89, 14, v76
	;; [unrolled: 1-line block ×10, first 2 shown]
	v_cndmask_b32_e32 v76, 0xff7fffff, v97, vcc_lo
	v_cndmask_b32_e64 v78, 0xff7fffff, v99, s3
	v_mul_f32_e32 v99, s19, v137
	v_cmp_gt_i32_e64 s4, s18, v80
	v_mul_f32_e32 v80, s19, v136
	v_cmp_gt_i32_e64 s5, s18, v79
	v_max3_f32 v76, v76, 0xff7fffff, v78
	v_dual_mul_f32 v78, s19, v138 :: v_dual_mul_f32 v79, s19, v139
	v_cndmask_b32_e64 v99, 0xff7fffff, v99, s4
	s_delay_alu instid0(VALU_DEP_4)
	v_cndmask_b32_e64 v80, 0xff7fffff, v80, s5
	v_cmp_gt_i32_e64 s6, s18, v86
	v_cmp_gt_i32_e64 s7, s18, v87
	v_mul_f32_e32 v97, s19, v140
	v_cmp_gt_i32_e64 s8, s18, v89
	v_max3_f32 v76, v76, v80, v99
	v_cndmask_b32_e64 v78, 0xff7fffff, v78, s6
	v_cndmask_b32_e64 v79, 0xff7fffff, v79, s7
	v_cmp_gt_i32_e64 s9, s18, v88
	v_dual_mul_f32 v88, s19, v111 :: v_dual_mul_f32 v89, s19, v110
	v_cndmask_b32_e64 v100, 0xff7fffff, v100, s8
	s_delay_alu instid0(VALU_DEP_4) | instskip(NEXT) | instid1(VALU_DEP_4)
	v_max3_f32 v76, v76, v78, v79
	v_cndmask_b32_e64 v97, 0xff7fffff, v97, s9
	v_cmp_gt_i32_e64 s10, s18, v90
	v_cmp_gt_i32_e64 s11, s18, v91
	v_dual_mul_f32 v78, s19, v113 :: v_dual_mul_f32 v79, s19, v112
	s_delay_alu instid0(VALU_DEP_4) | instskip(NEXT) | instid1(VALU_DEP_4)
	v_max3_f32 v76, v76, v97, v100
	v_cndmask_b32_e64 v89, 0xff7fffff, v89, s10
	s_delay_alu instid0(VALU_DEP_4)
	v_cndmask_b32_e64 v88, 0xff7fffff, v88, s11
	v_cmp_gt_i32_e64 s12, s18, v92
	v_cmp_gt_i32_e64 s13, s18, v93
	v_mul_f32_e32 v87, s19, v115
	v_mul_f32_e32 v99, s19, v114
	v_max3_f32 v76, v76, v89, v88
	v_cndmask_b32_e64 v79, 0xff7fffff, v79, s12
	v_cndmask_b32_e64 v78, 0xff7fffff, v78, s13
	v_cmp_gt_i32_e64 s15, s18, v94
	v_cmp_gt_i32_e64 s16, s18, v95
	v_mul_f32_e32 v80, s19, v117
	v_mul_f32_e32 v86, s19, v116
	v_max3_f32 v76, v76, v79, v78
	v_cndmask_b32_e64 v88, 0xff7fffff, v99, s15
	v_cndmask_b32_e64 v87, 0xff7fffff, v87, s16
	v_cmp_gt_i32_e64 s17, s18, v96
	v_cmp_gt_i32_e64 s18, s18, v98
	v_lshlrev_b32_e32 v99, 2, v77
	s_delay_alu instid0(VALU_DEP_4) | instskip(NEXT) | instid1(VALU_DEP_4)
	v_max3_f32 v76, v76, v88, v87
	v_cndmask_b32_e64 v78, 0xff7fffff, v86, s17
	s_delay_alu instid0(VALU_DEP_4) | instskip(NEXT) | instid1(VALU_DEP_1)
	v_cndmask_b32_e64 v79, 0xff7fffff, v80, s18
	v_max3_f32 v76, v76, v78, v79
	ds_bpermute_b32 v77, v99, v76
	s_waitcnt lgkmcnt(0)
	v_max_f32_e32 v77, v77, v77
	s_delay_alu instid0(VALU_DEP_1) | instskip(NEXT) | instid1(VALU_DEP_1)
	v_max_f32_e32 v76, v76, v77
	v_fma_f32 v77, s19, v134, -v76
	v_fma_f32 v78, s19, v135, -v76
	;; [unrolled: 1-line block ×5, first 2 shown]
	s_delay_alu instid0(VALU_DEP_4) | instskip(SKIP_1) | instid1(VALU_DEP_4)
	v_dual_mul_f32 v77, 0x3fb8aa3b, v77 :: v_dual_mul_f32 v78, 0x3fb8aa3b, v78
	v_fma_f32 v88, s19, v114, -v76
	v_dual_mul_f32 v79, 0x3fb8aa3b, v79 :: v_dual_mul_f32 v80, 0x3fb8aa3b, v80
	s_delay_alu instid0(VALU_DEP_3) | instskip(NEXT) | instid1(VALU_DEP_3)
	v_exp_f32_e32 v77, v77
	v_exp_f32_e32 v78, v78
	s_delay_alu instid0(VALU_DEP_2) | instskip(NEXT) | instid1(VALU_DEP_2)
	v_mul_f32_e32 v88, 0x3fb8aa3b, v88
	v_exp_f32_e32 v79, v79
	v_mul_f32_e32 v86, 0x3fb8aa3b, v86
	v_exp_f32_e32 v80, v80
	v_fma_f32 v87, s19, v140, -v76
	v_fma_f32 v100, s19, v117, -v76
	;; [unrolled: 1-line block ×3, first 2 shown]
	v_exp_f32_e32 v86, v86
	v_cndmask_b32_e32 v92, 0, v77, vcc_lo
	v_fma_f32 v77, s19, v139, -v76
	v_cndmask_b32_e64 v91, 0, v78, s3
	v_cndmask_b32_e64 v93, 0, v79, s5
	v_fma_f32 v79, s19, v141, -v76
	s_delay_alu instid0(VALU_DEP_4) | instskip(SKIP_2) | instid1(TRANS32_DEP_1)
	v_dual_add_f32 v78, 0, v92 :: v_dual_mul_f32 v77, 0x3fb8aa3b, v77
	v_cndmask_b32_e64 v95, 0, v80, s4
	v_mul_f32_e32 v87, 0x3fb8aa3b, v87
	v_cndmask_b32_e64 v96, 0, v86, s6
	s_delay_alu instid0(VALU_DEP_4)
	v_add_f32_e32 v78, v78, v91
	v_exp_f32_e32 v77, v77
	v_fma_f32 v86, s19, v111, -v76
	v_fma_f32 v80, s19, v110, -v76
	v_exp_f32_e32 v87, v87
	v_add_f32_e32 v78, v78, v93
	v_mul_f32_e32 v100, 0x3fb8aa3b, v100
	v_mul_f32_e32 v86, 0x3fb8aa3b, v86
	;; [unrolled: 1-line block ×3, first 2 shown]
	v_exp_f32_e32 v88, v88
	v_add_f32_e32 v78, v78, v95
	v_cndmask_b32_e64 v97, 0, v77, s7
	v_exp_f32_e32 v86, v86
	v_exp_f32_e32 v80, v80
	v_cndmask_b32_e64 v94, 0, v87, s9
	v_add_f32_e32 v77, v78, v96
	v_fma_f32 v78, s19, v112, -v76
	v_fma_f32 v87, s19, v113, -v76
	v_exp_f32_e32 v100, v100
	s_mov_b32 s3, exec_lo
	s_delay_alu instid0(VALU_DEP_2) | instskip(NEXT) | instid1(VALU_DEP_2)
	v_dual_add_f32 v77, v77, v97 :: v_dual_mul_f32 v78, 0x3fb8aa3b, v78
	v_mul_f32_e32 v87, 0x3fb8aa3b, v87
	s_delay_alu instid0(VALU_DEP_2) | instskip(SKIP_2) | instid1(VALU_DEP_3)
	v_exp_f32_e32 v89, v78
	v_cndmask_b32_e64 v78, 0, v86, s11
	v_mul_f32_e32 v79, 0x3fb8aa3b, v79
	v_exp_f32_e32 v87, v87
	s_delay_alu instid0(VALU_DEP_1)
	v_exp_f32_e32 v79, v79
	s_waitcnt_depctr 0xfff
	v_cndmask_b32_e64 v98, 0, v79, s8
	v_add_f32_e32 v79, v77, v94
	v_cndmask_b32_e64 v77, 0, v80, s10
	v_fma_f32 v80, s19, v115, -v76
	s_delay_alu instid0(VALU_DEP_1) | instskip(NEXT) | instid1(VALU_DEP_1)
	v_dual_add_f32 v79, v79, v98 :: v_dual_mul_f32 v80, 0x3fb8aa3b, v80
	v_add_f32_e32 v86, v79, v77
	v_cndmask_b32_e64 v79, 0, v89, s12
	v_mul_f32_e32 v89, 0x3fb8aa3b, v90
	s_delay_alu instid0(VALU_DEP_4) | instskip(SKIP_2) | instid1(VALU_DEP_3)
	v_exp_f32_e32 v90, v80
	v_cndmask_b32_e64 v80, 0, v87, s13
	v_add_f32_e32 v86, v86, v78
	v_exp_f32_e32 v89, v89
	s_delay_alu instid0(VALU_DEP_1) | instskip(SKIP_1) | instid1(VALU_DEP_2)
	v_add_f32_e32 v87, v86, v79
	v_cndmask_b32_e64 v86, 0, v88, s15
	v_add_f32_e32 v88, v87, v80
	s_delay_alu instid0(TRANS32_DEP_2) | instskip(NEXT) | instid1(VALU_DEP_2)
	v_cndmask_b32_e64 v87, 0, v90, s16
	v_add_f32_e32 v90, v88, v86
	s_waitcnt_depctr 0xfff
	v_cndmask_b32_e64 v88, 0, v89, s17
	v_add_f32_e32 v89, v90, v87
	s_delay_alu instid0(VALU_DEP_1) | instskip(SKIP_1) | instid1(VALU_DEP_1)
	v_add_f32_e32 v90, v89, v88
	v_cndmask_b32_e64 v89, 0, v100, s18
	v_add_f32_e32 v90, v90, v89
	ds_bpermute_b32 v99, v99, v90
	v_cmpx_gt_u32_e32 16, v75
	s_cbranch_execz .LBB529_14
; %bb.13:
	v_mul_u32_u24_e32 v75, 0x44, v74
	s_waitcnt lgkmcnt(0)
	v_add_f32_e32 v90, v90, v99
	s_delay_alu instid0(VALU_DEP_2) | instskip(NEXT) | instid1(VALU_DEP_1)
	v_lshl_add_u32 v75, v73, 2, v75
	v_add_nc_u32_e32 v75, 0x4000, v75
	ds_store_2addr_b32 v75, v76, v90 offset1:136
.LBB529_14:
	s_or_b32 exec_lo, exec_lo, s3
	v_lshlrev_b32_e32 v75, 2, v73
	s_waitcnt lgkmcnt(0)
	s_barrier
	buffer_gl0_inv
	v_cmp_eq_u32_e64 s3, 1, v74
	v_add_nc_u32_e32 v90, 0x4000, v75
	ds_load_2addr_b32 v[99:100], v90 offset1:17
	ds_load_2addr_b32 v[101:102], v90 offset0:34 offset1:51
	ds_load_2addr_b32 v[103:104], v90 offset0:68 offset1:85
	;; [unrolled: 1-line block ×4, first 2 shown]
	s_waitcnt lgkmcnt(4)
	v_max3_f32 v75, v99, 0xff7fffff, v100
	s_waitcnt lgkmcnt(3)
	s_delay_alu instid0(VALU_DEP_1) | instskip(SKIP_1) | instid1(VALU_DEP_1)
	v_max3_f32 v75, v75, v101, v102
	s_waitcnt lgkmcnt(2)
	v_max3_f32 v75, v75, v103, v104
	s_waitcnt lgkmcnt(1)
	s_delay_alu instid0(VALU_DEP_1) | instskip(NEXT) | instid1(VALU_DEP_1)
	v_max3_f32 v75, v75, v105, v106
	v_sub_f32_e32 v109, v100, v75
	v_sub_f32_e32 v76, v99, v75
	ds_load_2addr_b32 v[99:100], v90 offset0:170 offset1:187
	v_sub_f32_e32 v101, v101, v75
	v_dual_mul_f32 v109, 0x3fb8aa3b, v109 :: v_dual_mul_f32 v76, 0x3fb8aa3b, v76
	s_delay_alu instid0(VALU_DEP_2) | instskip(NEXT) | instid1(VALU_DEP_2)
	v_mul_f32_e32 v111, 0x3fb8aa3b, v101
	v_exp_f32_e32 v109, v109
	s_delay_alu instid0(VALU_DEP_2)
	v_exp_f32_e32 v110, v76
	v_sub_f32_e32 v76, v102, v75
	ds_load_2addr_b32 v[101:102], v90 offset0:204 offset1:221
	v_exp_f32_e32 v111, v111
	v_mul_f32_e32 v112, 0x3fb8aa3b, v76
	s_waitcnt lgkmcnt(2)
	v_fma_f32 v76, v110, v107, 0
	v_sub_f32_e32 v103, v103, v75
	s_delay_alu instid0(VALU_DEP_3) | instskip(NEXT) | instid1(VALU_DEP_2)
	v_exp_f32_e32 v112, v112
	v_dual_sub_f32 v107, v104, v75 :: v_dual_fmac_f32 v76, v109, v108
	s_waitcnt lgkmcnt(1)
	s_waitcnt_depctr 0xfff
	v_fmac_f32_e32 v76, v111, v99
	v_mul_f32_e32 v113, 0x3fb8aa3b, v103
	ds_load_2addr_b32 v[103:104], v90 offset0:238 offset1:255
	v_sub_f32_e32 v90, v105, v75
	v_dual_sub_f32 v99, v106, v75 :: v_dual_fmac_f32 v76, v112, v100
	v_mul_f32_e32 v105, 0x3fb8aa3b, v107
	v_exp_f32_e32 v107, v113
	s_delay_alu instid0(VALU_DEP_2)
	v_dual_mul_f32 v90, 0x3fb8aa3b, v90 :: v_dual_mul_f32 v99, 0x3fb8aa3b, v99
	s_waitcnt lgkmcnt(0)
	s_barrier
	buffer_gl0_inv
	v_exp_f32_e32 v90, v90
	v_exp_f32_e32 v99, v99
	v_fmac_f32_e32 v76, v107, v101
	v_exp_f32_e32 v105, v105
	s_waitcnt_depctr 0xfff
	v_fmac_f32_e32 v76, v105, v102
	s_delay_alu instid0(VALU_DEP_1) | instskip(NEXT) | instid1(VALU_DEP_1)
	v_fmac_f32_e32 v76, v90, v103
	v_fmac_f32_e32 v76, v99, v104
	s_delay_alu instid0(VALU_DEP_1) | instskip(NEXT) | instid1(VALU_DEP_1)
	v_add_f32_e32 v100, 0x358637bd, v76
	v_div_scale_f32 v101, null, v100, v100, 1.0
	v_div_scale_f32 v104, vcc_lo, 1.0, v100, 1.0
	s_delay_alu instid0(VALU_DEP_2) | instskip(SKIP_2) | instid1(VALU_DEP_1)
	v_rcp_f32_e32 v102, v101
	s_waitcnt_depctr 0xfff
	v_fma_f32 v103, -v101, v102, 1.0
	v_fmac_f32_e32 v102, v103, v102
	v_cndmask_b32_e64 v103, v110, v109, s3
	v_cmp_eq_u32_e64 s3, 2, v74
	s_delay_alu instid0(VALU_DEP_3) | instskip(NEXT) | instid1(VALU_DEP_2)
	v_mul_f32_e32 v106, v104, v102
	v_cndmask_b32_e64 v103, v103, v111, s3
	v_cmp_eq_u32_e64 s3, 3, v74
	s_delay_alu instid0(VALU_DEP_3) | instskip(NEXT) | instid1(VALU_DEP_2)
	v_fma_f32 v108, -v101, v106, v104
	v_cndmask_b32_e64 v103, v103, v112, s3
	v_cmp_eq_u32_e64 s3, 4, v74
	s_delay_alu instid0(VALU_DEP_3) | instskip(NEXT) | instid1(VALU_DEP_2)
	v_fmac_f32_e32 v106, v108, v102
	v_cndmask_b32_e64 v103, v103, v107, s3
	s_delay_alu instid0(VALU_DEP_2) | instskip(SKIP_1) | instid1(VALU_DEP_2)
	v_fma_f32 v101, -v101, v106, v104
	v_cmp_eq_u32_e64 s3, 5, v74
	v_div_fmas_f32 v101, v101, v102, v106
	s_delay_alu instid0(VALU_DEP_2) | instskip(SKIP_2) | instid1(VALU_DEP_3)
	v_cndmask_b32_e64 v103, v103, v105, s3
	v_cmp_eq_u32_e32 vcc_lo, 6, v74
	s_mov_b32 s3, exec_lo
	v_div_fixup_f32 v100, v101, v100, 1.0
	s_delay_alu instid0(VALU_DEP_3) | instskip(SKIP_1) | instid1(VALU_DEP_2)
	v_cndmask_b32_e32 v90, v103, v90, vcc_lo
	v_cmp_eq_u32_e32 vcc_lo, 7, v74
	v_cndmask_b32_e32 v90, v90, v99, vcc_lo
	s_delay_alu instid0(VALU_DEP_1) | instskip(NEXT) | instid1(VALU_DEP_1)
	v_mul_f32_e32 v90, v90, v100
	v_mul_f32_e32 v100, v90, v92
	;; [unrolled: 1-line block ×6, first 2 shown]
	v_and_b32_e32 v101, 0x7f800000, v100
	v_mul_f32_e32 v99, v90, v95
	v_mul_f32_e32 v95, v90, v91
	;; [unrolled: 1-line block ×3, first 2 shown]
                                        ; implicit-def: $vgpr91
	s_delay_alu instid0(VALU_DEP_4)
	v_cmpx_ne_u32_e32 0x7f800000, v101
	s_xor_b32 s3, exec_lo, s3
; %bb.15:
	v_bfe_u32 v91, v100, 16, 1
	s_delay_alu instid0(VALU_DEP_1)
	v_add3_u32 v91, v100, v91, 0x7fff
                                        ; implicit-def: $vgpr100
; %bb.16:
	s_and_not1_saveexec_b32 s3, s3
; %bb.17:
	v_and_b32_e32 v91, 0xffff, v100
	v_or_b32_e32 v93, 0x10000, v100
	s_delay_alu instid0(VALU_DEP_2) | instskip(NEXT) | instid1(VALU_DEP_2)
	v_cmp_eq_u32_e32 vcc_lo, 0, v91
	v_cndmask_b32_e32 v91, v93, v100, vcc_lo
; %bb.18:
	s_or_b32 exec_lo, exec_lo, s3
	v_and_b32_e32 v93, 0x7f800000, v95
	s_delay_alu instid0(VALU_DEP_1) | instskip(SKIP_1) | instid1(SALU_CYCLE_1)
	v_cmp_ne_u32_e32 vcc_lo, 0x7f800000, v93
                                        ; implicit-def: $vgpr93
	s_and_saveexec_b32 s3, vcc_lo
	s_xor_b32 s3, exec_lo, s3
; %bb.19:
	v_bfe_u32 v93, v95, 16, 1
	s_delay_alu instid0(VALU_DEP_1)
	v_add3_u32 v93, v95, v93, 0x7fff
                                        ; implicit-def: $vgpr95
; %bb.20:
	s_and_not1_saveexec_b32 s3, s3
; %bb.21:
	v_and_b32_e32 v93, 0xffff, v95
	v_or_b32_e32 v100, 0x10000, v95
	s_delay_alu instid0(VALU_DEP_2) | instskip(NEXT) | instid1(VALU_DEP_2)
	v_cmp_eq_u32_e32 vcc_lo, 0, v93
	v_cndmask_b32_e32 v93, v100, v95, vcc_lo
; %bb.22:
	s_or_b32 exec_lo, exec_lo, s3
	v_and_b32_e32 v95, 0x7f800000, v96
	s_delay_alu instid0(VALU_DEP_1) | instskip(SKIP_1) | instid1(SALU_CYCLE_1)
	v_cmp_ne_u32_e32 vcc_lo, 0x7f800000, v95
                                        ; implicit-def: $vgpr95
	s_and_saveexec_b32 s3, vcc_lo
	s_xor_b32 s3, exec_lo, s3
; %bb.23:
	v_bfe_u32 v95, v96, 16, 1
	s_delay_alu instid0(VALU_DEP_1)
	v_add3_u32 v95, v96, v95, 0x7fff
                                        ; implicit-def: $vgpr96
; %bb.24:
	s_and_not1_saveexec_b32 s3, s3
; %bb.25:
	v_and_b32_e32 v95, 0xffff, v96
	v_or_b32_e32 v100, 0x10000, v96
	s_delay_alu instid0(VALU_DEP_2) | instskip(NEXT) | instid1(VALU_DEP_2)
	v_cmp_eq_u32_e32 vcc_lo, 0, v95
	v_cndmask_b32_e32 v95, v100, v96, vcc_lo
; %bb.26:
	s_or_b32 exec_lo, exec_lo, s3
	v_and_b32_e32 v96, 0x7f800000, v99
	s_delay_alu instid0(VALU_DEP_1) | instskip(SKIP_1) | instid1(SALU_CYCLE_1)
	v_cmp_ne_u32_e32 vcc_lo, 0x7f800000, v96
                                        ; implicit-def: $vgpr96
	s_and_saveexec_b32 s3, vcc_lo
	s_xor_b32 s3, exec_lo, s3
; %bb.27:
	v_bfe_u32 v96, v99, 16, 1
	s_delay_alu instid0(VALU_DEP_1)
	v_add3_u32 v96, v99, v96, 0x7fff
                                        ; implicit-def: $vgpr99
; %bb.28:
	s_and_not1_saveexec_b32 s3, s3
; %bb.29:
	v_and_b32_e32 v96, 0xffff, v99
	v_or_b32_e32 v100, 0x10000, v99
	s_delay_alu instid0(VALU_DEP_2) | instskip(NEXT) | instid1(VALU_DEP_2)
	v_cmp_eq_u32_e32 vcc_lo, 0, v96
	v_cndmask_b32_e32 v96, v100, v99, vcc_lo
; %bb.30:
	s_or_b32 exec_lo, exec_lo, s3
	v_and_b32_e32 v99, 0x7f800000, v98
	s_delay_alu instid0(VALU_DEP_1) | instskip(SKIP_1) | instid1(SALU_CYCLE_1)
	v_cmp_ne_u32_e32 vcc_lo, 0x7f800000, v99
                                        ; implicit-def: $vgpr99
	s_and_saveexec_b32 s3, vcc_lo
	s_xor_b32 s3, exec_lo, s3
; %bb.31:
	v_bfe_u32 v99, v98, 16, 1
	s_delay_alu instid0(VALU_DEP_1)
	v_add3_u32 v99, v98, v99, 0x7fff
                                        ; implicit-def: $vgpr98
; %bb.32:
	s_and_not1_saveexec_b32 s3, s3
; %bb.33:
	v_and_b32_e32 v99, 0xffff, v98
	v_or_b32_e32 v100, 0x10000, v98
	s_delay_alu instid0(VALU_DEP_2) | instskip(NEXT) | instid1(VALU_DEP_2)
	v_cmp_eq_u32_e32 vcc_lo, 0, v99
	v_cndmask_b32_e32 v99, v100, v98, vcc_lo
; %bb.34:
	s_or_b32 exec_lo, exec_lo, s3
	v_and_b32_e32 v98, 0x7f800000, v97
	s_delay_alu instid0(VALU_DEP_1) | instskip(SKIP_1) | instid1(SALU_CYCLE_1)
	v_cmp_ne_u32_e32 vcc_lo, 0x7f800000, v98
                                        ; implicit-def: $vgpr98
	s_and_saveexec_b32 s3, vcc_lo
	s_xor_b32 s3, exec_lo, s3
; %bb.35:
	v_bfe_u32 v98, v97, 16, 1
	s_delay_alu instid0(VALU_DEP_1)
	v_add3_u32 v98, v97, v98, 0x7fff
                                        ; implicit-def: $vgpr97
; %bb.36:
	s_and_not1_saveexec_b32 s3, s3
; %bb.37:
	v_and_b32_e32 v98, 0xffff, v97
	v_or_b32_e32 v100, 0x10000, v97
	s_delay_alu instid0(VALU_DEP_2) | instskip(NEXT) | instid1(VALU_DEP_2)
	v_cmp_eq_u32_e32 vcc_lo, 0, v98
	v_cndmask_b32_e32 v98, v100, v97, vcc_lo
; %bb.38:
	s_or_b32 exec_lo, exec_lo, s3
	v_and_b32_e32 v97, 0x7f800000, v94
	s_delay_alu instid0(VALU_DEP_1) | instskip(SKIP_1) | instid1(SALU_CYCLE_1)
	v_cmp_ne_u32_e32 vcc_lo, 0x7f800000, v97
                                        ; implicit-def: $vgpr97
	s_and_saveexec_b32 s3, vcc_lo
	s_xor_b32 s3, exec_lo, s3
; %bb.39:
	v_bfe_u32 v97, v94, 16, 1
	s_delay_alu instid0(VALU_DEP_1)
	v_add3_u32 v97, v94, v97, 0x7fff
                                        ; implicit-def: $vgpr94
; %bb.40:
	s_and_not1_saveexec_b32 s3, s3
; %bb.41:
	v_and_b32_e32 v97, 0xffff, v94
	v_or_b32_e32 v100, 0x10000, v94
	s_delay_alu instid0(VALU_DEP_2) | instskip(NEXT) | instid1(VALU_DEP_2)
	v_cmp_eq_u32_e32 vcc_lo, 0, v97
	v_cndmask_b32_e32 v97, v100, v94, vcc_lo
; %bb.42:
	s_or_b32 exec_lo, exec_lo, s3
	v_and_b32_e32 v94, 0x7f800000, v92
	s_delay_alu instid0(VALU_DEP_1) | instskip(SKIP_1) | instid1(SALU_CYCLE_1)
	v_cmp_ne_u32_e32 vcc_lo, 0x7f800000, v94
                                        ; implicit-def: $vgpr94
	s_and_saveexec_b32 s3, vcc_lo
	s_xor_b32 s3, exec_lo, s3
; %bb.43:
	v_bfe_u32 v94, v92, 16, 1
	s_delay_alu instid0(VALU_DEP_1)
	v_add3_u32 v94, v92, v94, 0x7fff
                                        ; implicit-def: $vgpr92
; %bb.44:
	s_and_not1_saveexec_b32 s3, s3
; %bb.45:
	v_and_b32_e32 v94, 0xffff, v92
	v_or_b32_e32 v100, 0x10000, v92
	s_delay_alu instid0(VALU_DEP_2) | instskip(NEXT) | instid1(VALU_DEP_2)
	v_cmp_eq_u32_e32 vcc_lo, 0, v94
	v_cndmask_b32_e32 v94, v100, v92, vcc_lo
; %bb.46:
	s_or_b32 exec_lo, exec_lo, s3
	s_load_b64 s[34:35], s[0:1], 0x94
	v_lshlrev_b32_e32 v92, 4, v83
	s_delay_alu instid0(VALU_DEP_2)
	v_perm_b32 v100, v94, v97, 0x7060302
	v_dual_mul_f32 v89, v90, v89 :: v_dual_lshlrev_b32 v94, 11, v74
	v_perm_b32 v97, v93, v91, 0x7060302
	v_mul_f32_e32 v93, v90, v77
	v_perm_b32 v99, v98, v99, 0x7060302
	v_perm_b32 v98, v96, v95, 0x7060302
	v_or3_b32 v77, v92, v94, v85
	v_mul_f32_e32 v88, v90, v88
	v_dual_mul_f32 v87, v90, v87 :: v_dual_and_b32 v94, 0x7f800000, v93
	v_mul_f32_e32 v86, v90, v86
	v_mul_f32_e32 v91, v90, v80
	;; [unrolled: 1-line block ×4, first 2 shown]
	s_mov_b32 s3, exec_lo
	ds_store_b128 v77, v[97:100]
                                        ; implicit-def: $vgpr78
	v_cmpx_ne_u32_e32 0x7f800000, v94
	s_xor_b32 s3, exec_lo, s3
; %bb.47:
	v_bfe_u32 v78, v93, 16, 1
	s_delay_alu instid0(VALU_DEP_1)
	v_add3_u32 v78, v93, v78, 0x7fff
                                        ; implicit-def: $vgpr93
; %bb.48:
	s_and_not1_saveexec_b32 s3, s3
; %bb.49:
	v_and_b32_e32 v78, 0xffff, v93
	v_or_b32_e32 v79, 0x10000, v93
	s_delay_alu instid0(VALU_DEP_2) | instskip(NEXT) | instid1(VALU_DEP_2)
	v_cmp_eq_u32_e32 vcc_lo, 0, v78
	v_cndmask_b32_e32 v78, v79, v93, vcc_lo
; %bb.50:
	s_or_b32 exec_lo, exec_lo, s3
	v_and_b32_e32 v79, 0x7f800000, v80
	s_delay_alu instid0(VALU_DEP_1) | instskip(SKIP_1) | instid1(SALU_CYCLE_1)
	v_cmp_ne_u32_e32 vcc_lo, 0x7f800000, v79
                                        ; implicit-def: $vgpr79
	s_and_saveexec_b32 s3, vcc_lo
	s_xor_b32 s3, exec_lo, s3
; %bb.51:
	v_bfe_u32 v79, v80, 16, 1
	s_delay_alu instid0(VALU_DEP_1)
	v_add3_u32 v79, v80, v79, 0x7fff
                                        ; implicit-def: $vgpr80
; %bb.52:
	s_and_not1_saveexec_b32 s3, s3
; %bb.53:
	v_and_b32_e32 v79, 0xffff, v80
	v_or_b32_e32 v90, 0x10000, v80
	s_delay_alu instid0(VALU_DEP_2) | instskip(NEXT) | instid1(VALU_DEP_2)
	v_cmp_eq_u32_e32 vcc_lo, 0, v79
	v_cndmask_b32_e32 v79, v90, v80, vcc_lo
; %bb.54:
	s_or_b32 exec_lo, exec_lo, s3
	v_and_b32_e32 v80, 0x7f800000, v92
	s_delay_alu instid0(VALU_DEP_1) | instskip(SKIP_1) | instid1(SALU_CYCLE_1)
	v_cmp_ne_u32_e32 vcc_lo, 0x7f800000, v80
                                        ; implicit-def: $vgpr80
	s_and_saveexec_b32 s3, vcc_lo
	s_xor_b32 s3, exec_lo, s3
; %bb.55:
	v_bfe_u32 v80, v92, 16, 1
	s_delay_alu instid0(VALU_DEP_1)
	v_add3_u32 v80, v92, v80, 0x7fff
                                        ; implicit-def: $vgpr92
; %bb.56:
	s_and_not1_saveexec_b32 s3, s3
; %bb.57:
	v_and_b32_e32 v80, 0xffff, v92
	v_or_b32_e32 v90, 0x10000, v92
	s_delay_alu instid0(VALU_DEP_2) | instskip(NEXT) | instid1(VALU_DEP_2)
	v_cmp_eq_u32_e32 vcc_lo, 0, v80
	v_cndmask_b32_e32 v80, v90, v92, vcc_lo
; %bb.58:
	s_or_b32 exec_lo, exec_lo, s3
	v_and_b32_e32 v90, 0x7f800000, v91
	s_delay_alu instid0(VALU_DEP_1) | instskip(SKIP_1) | instid1(SALU_CYCLE_1)
	v_cmp_ne_u32_e32 vcc_lo, 0x7f800000, v90
                                        ; implicit-def: $vgpr90
	s_and_saveexec_b32 s3, vcc_lo
	s_xor_b32 s3, exec_lo, s3
; %bb.59:
	v_bfe_u32 v90, v91, 16, 1
	s_delay_alu instid0(VALU_DEP_1)
	v_add3_u32 v90, v91, v90, 0x7fff
                                        ; implicit-def: $vgpr91
; %bb.60:
	s_and_not1_saveexec_b32 s3, s3
; %bb.61:
	v_and_b32_e32 v90, 0xffff, v91
	v_or_b32_e32 v92, 0x10000, v91
	s_delay_alu instid0(VALU_DEP_2) | instskip(NEXT) | instid1(VALU_DEP_2)
	v_cmp_eq_u32_e32 vcc_lo, 0, v90
	v_cndmask_b32_e32 v90, v92, v91, vcc_lo
; %bb.62:
	s_or_b32 exec_lo, exec_lo, s3
	v_and_b32_e32 v91, 0x7f800000, v86
	s_delay_alu instid0(VALU_DEP_1) | instskip(SKIP_1) | instid1(SALU_CYCLE_1)
	v_cmp_ne_u32_e32 vcc_lo, 0x7f800000, v91
                                        ; implicit-def: $vgpr91
	s_and_saveexec_b32 s3, vcc_lo
	s_xor_b32 s3, exec_lo, s3
; %bb.63:
	v_bfe_u32 v91, v86, 16, 1
	s_delay_alu instid0(VALU_DEP_1)
	v_add3_u32 v91, v86, v91, 0x7fff
                                        ; implicit-def: $vgpr86
; %bb.64:
	s_and_not1_saveexec_b32 s3, s3
; %bb.65:
	v_and_b32_e32 v91, 0xffff, v86
	v_or_b32_e32 v92, 0x10000, v86
	s_delay_alu instid0(VALU_DEP_2) | instskip(NEXT) | instid1(VALU_DEP_2)
	v_cmp_eq_u32_e32 vcc_lo, 0, v91
	v_cndmask_b32_e32 v91, v92, v86, vcc_lo
; %bb.66:
	s_or_b32 exec_lo, exec_lo, s3
	v_and_b32_e32 v86, 0x7f800000, v87
	s_delay_alu instid0(VALU_DEP_1) | instskip(SKIP_1) | instid1(SALU_CYCLE_1)
	v_cmp_ne_u32_e32 vcc_lo, 0x7f800000, v86
                                        ; implicit-def: $vgpr86
	s_and_saveexec_b32 s3, vcc_lo
	s_xor_b32 s3, exec_lo, s3
; %bb.67:
	v_bfe_u32 v86, v87, 16, 1
	s_delay_alu instid0(VALU_DEP_1)
	v_add3_u32 v86, v87, v86, 0x7fff
                                        ; implicit-def: $vgpr87
; %bb.68:
	s_and_not1_saveexec_b32 s3, s3
; %bb.69:
	v_and_b32_e32 v86, 0xffff, v87
	v_or_b32_e32 v92, 0x10000, v87
	s_delay_alu instid0(VALU_DEP_2) | instskip(NEXT) | instid1(VALU_DEP_2)
	v_cmp_eq_u32_e32 vcc_lo, 0, v86
	v_cndmask_b32_e32 v86, v92, v87, vcc_lo
; %bb.70:
	s_or_b32 exec_lo, exec_lo, s3
	v_and_b32_e32 v87, 0x7f800000, v88
	s_delay_alu instid0(VALU_DEP_1) | instskip(SKIP_1) | instid1(SALU_CYCLE_1)
	v_cmp_ne_u32_e32 vcc_lo, 0x7f800000, v87
                                        ; implicit-def: $vgpr87
	s_and_saveexec_b32 s3, vcc_lo
	s_xor_b32 s3, exec_lo, s3
; %bb.71:
	v_bfe_u32 v87, v88, 16, 1
	s_delay_alu instid0(VALU_DEP_1)
	v_add3_u32 v87, v88, v87, 0x7fff
                                        ; implicit-def: $vgpr88
; %bb.72:
	s_and_not1_saveexec_b32 s3, s3
; %bb.73:
	v_and_b32_e32 v87, 0xffff, v88
	v_or_b32_e32 v92, 0x10000, v88
	s_delay_alu instid0(VALU_DEP_2) | instskip(NEXT) | instid1(VALU_DEP_2)
	v_cmp_eq_u32_e32 vcc_lo, 0, v87
	v_cndmask_b32_e32 v87, v92, v88, vcc_lo
; %bb.74:
	s_or_b32 exec_lo, exec_lo, s3
	v_and_b32_e32 v88, 0x7f800000, v89
	s_delay_alu instid0(VALU_DEP_1) | instskip(SKIP_1) | instid1(SALU_CYCLE_1)
	v_cmp_ne_u32_e32 vcc_lo, 0x7f800000, v88
                                        ; implicit-def: $vgpr88
	s_and_saveexec_b32 s3, vcc_lo
	s_xor_b32 s3, exec_lo, s3
; %bb.75:
	v_bfe_u32 v88, v89, 16, 1
	s_delay_alu instid0(VALU_DEP_1)
	v_add3_u32 v88, v89, v88, 0x7fff
                                        ; implicit-def: $vgpr89
; %bb.76:
	s_and_not1_saveexec_b32 s3, s3
; %bb.77:
	v_and_b32_e32 v88, 0xffff, v89
	v_or_b32_e32 v92, 0x10000, v89
	s_delay_alu instid0(VALU_DEP_2) | instskip(NEXT) | instid1(VALU_DEP_2)
	v_cmp_eq_u32_e32 vcc_lo, 0, v88
	v_cndmask_b32_e32 v88, v92, v89, vcc_lo
; %bb.78:
	s_or_b32 exec_lo, exec_lo, s3
	s_delay_alu instid0(VALU_DEP_1)
	v_perm_b32 v89, v88, v87, 0x7060302
	v_perm_b32 v88, v86, v91, 0x7060302
	;; [unrolled: 1-line block ×4, first 2 shown]
	v_lshl_or_b32 v90, v74, 11, v85
	ds_store_b128 v77, v[86:89] offset:1024
	s_waitcnt lgkmcnt(0)
	s_barrier
	buffer_gl0_inv
	ds_load_b128 v[91:94], v90
	ds_load_b128 v[95:98], v90 offset:16
	v_lshlrev_b32_e32 v87, 2, v83
	s_delay_alu instid0(VALU_DEP_1)
	v_or_b32_e32 v88, 1, v87
	v_cmp_eq_u32_e32 vcc_lo, 1, v87
	v_cmp_eq_u32_e64 s4, 2, v87
	v_cmp_eq_u32_e64 s7, 3, v87
	;; [unrolled: 1-line block ×6, first 2 shown]
	v_or_b32_e32 v86, 2, v87
	v_cmp_eq_u32_e64 s10, 5, v87
	v_cmp_eq_u32_e64 s11, 4, v88
	v_cmp_eq_u32_e64 s12, 6, v87
	v_cmp_eq_u32_e64 s13, 5, v88
	s_waitcnt lgkmcnt(1)
	v_lshrrev_b32_e32 v74, 16, v91
	s_waitcnt lgkmcnt(0)
	v_lshrrev_b32_e32 v103, 16, v95
	v_lshrrev_b32_e32 v80, 16, v94
	;; [unrolled: 1-line block ×4, first 2 shown]
	v_cndmask_b32_e32 v89, v91, v74, vcc_lo
	v_cndmask_b32_e32 v99, v95, v103, vcc_lo
	v_cndmask_b32_e64 v100, v91, v74, s3
	v_lshrrev_b32_e32 v79, 16, v93
	v_lshrrev_b32_e32 v108, 16, v97
	v_cndmask_b32_e64 v89, v89, v92, s4
	v_cndmask_b32_e64 v99, v99, v96, s4
	;; [unrolled: 1-line block ×4, first 2 shown]
	v_cmp_eq_u32_e64 s5, 1, v86
	v_cndmask_b32_e64 v89, v89, v78, s7
	v_cndmask_b32_e64 v99, v99, v107, s7
	v_cndmask_b32_e64 v100, v100, v78, s8
	v_cndmask_b32_e64 v101, v101, v96, s6
	v_lshrrev_b32_e32 v109, 16, v98
	v_cndmask_b32_e64 v89, v89, v93, s9
	v_cndmask_b32_e64 v99, v99, v97, s9
	;; [unrolled: 1-line block ×8, first 2 shown]
	v_cmp_eq_u32_e64 s15, 7, v87
	v_cmp_eq_u32_e64 s16, 6, v88
	v_cndmask_b32_e64 v89, v89, v94, s12
	v_cndmask_b32_e64 v99, v99, v98, s12
	v_cmp_eq_u32_e64 s17, 2, v86
	v_cndmask_b32_e64 v101, v101, v97, s11
	v_cndmask_b32_e64 v100, v100, v94, s16
	;; [unrolled: 1-line block ×6, first 2 shown]
	v_cmp_eq_u32_e64 s18, 7, v88
	v_cmp_eq_u32_e64 s19, 3, v86
	;; [unrolled: 1-line block ×4, first 2 shown]
	v_cndmask_b32_e64 v99, v99, v96, s17
	v_cndmask_b32_e64 v112, v100, v80, s18
	;; [unrolled: 1-line block ×4, first 2 shown]
	v_or_b32_e32 v89, 3, v87
	v_cndmask_b32_e64 v105, v99, v107, s19
	v_cmp_eq_u32_e64 s24, 6, v86
	v_cndmask_b32_e64 v113, v100, v98, s16
	v_cndmask_b32_e64 v104, v101, v93, s20
	ds_load_b128 v[99:102], v90 offset:1024
	v_cmp_eq_u32_e64 s21, 1, v89
	v_cmp_eq_u32_e64 s23, 2, v89
	;; [unrolled: 1-line block ×3, first 2 shown]
	v_cndmask_b32_e64 v114, v104, v79, s22
	v_cmp_eq_u32_e64 s26, 4, v89
	v_cndmask_b32_e64 v74, v91, v74, s21
	v_cndmask_b32_e64 v91, v105, v97, s20
	;; [unrolled: 1-line block ×3, first 2 shown]
	ds_load_b128 v[103:106], v90 offset:1040
	v_cmp_eq_u32_e64 s28, 5, v89
	v_cndmask_b32_e64 v74, v74, v92, s23
	v_cndmask_b32_e64 v91, v91, v108, s22
	;; [unrolled: 1-line block ×3, first 2 shown]
	v_cmp_eq_u32_e64 s29, 6, v89
	v_cndmask_b32_e64 v95, v113, v109, s18
	v_cndmask_b32_e64 v74, v74, v78, s25
	v_cndmask_b32_e64 v78, v114, v94, s24
	v_cndmask_b32_e64 v92, v92, v107, s25
	v_cndmask_b32_e64 v91, v91, v98, s24
	s_waitcnt lgkmcnt(1)
	v_lshrrev_b32_e32 v96, 16, v99
	v_cndmask_b32_e64 v74, v74, v93, s26
	v_lshrrev_b32_e32 v107, 16, v100
	v_cndmask_b32_e64 v92, v92, v97, s26
	v_cmp_eq_u32_e64 s27, 7, v86
	v_cndmask_b32_e32 v93, v99, v96, vcc_lo
	v_cndmask_b32_e64 v74, v74, v79, s28
	s_delay_alu instid0(VALU_DEP_4)
	v_cndmask_b32_e64 v79, v92, v108, s28
	s_waitcnt lgkmcnt(0)
	v_lshrrev_b32_e32 v97, 16, v103
	v_cndmask_b32_e64 v92, v93, v100, s4
	v_cndmask_b32_e64 v93, v99, v96, s3
	;; [unrolled: 1-line block ×4, first 2 shown]
	v_cndmask_b32_e32 v108, v103, v97, vcc_lo
	v_cndmask_b32_e64 v92, v92, v107, s7
	v_cndmask_b32_e64 v93, v93, v100, s6
	v_lshrrev_b32_e32 v98, 16, v104
	v_cmp_eq_u32_e32 vcc_lo, 7, v89
	v_cndmask_b32_e64 v94, v108, v104, s4
	v_cndmask_b32_e64 v92, v92, v101, s9
	v_lshrrev_b32_e32 v108, 16, v101
	v_cndmask_b32_e64 v93, v93, v107, s8
	v_cndmask_b32_e32 v74, v74, v80, vcc_lo
	v_cndmask_b32_e64 v94, v94, v98, s7
	v_cndmask_b32_e32 v79, v79, v109, vcc_lo
	v_cndmask_b32_e64 v92, v92, v108, s10
	v_cndmask_b32_e64 v78, v78, v80, s27
	;; [unrolled: 1-line block ×4, first 2 shown]
	v_perm_b32 v94, v79, v74, 0x5040100
	v_cndmask_b32_e64 v79, v92, v102, s12
	v_perm_b32 v92, v95, v112, 0x5040100
	v_cndmask_b32_e64 v95, v99, v96, s5
	v_cndmask_b32_e64 v96, v99, v96, s21
	;; [unrolled: 1-line block ×16, first 2 shown]
	v_lshrrev_b32_e32 v109, 16, v105
	v_cndmask_b32_e64 v95, v95, v101, s20
	v_cndmask_b32_e64 v96, v96, v101, s26
	v_cndmask_b32_e64 v98, v99, v105, s26
	v_cndmask_b32_e64 v99, v100, v105, s20
	v_cndmask_b32_e64 v97, v97, v105, s11
	v_cndmask_b32_e64 v74, v80, v108, s13
	v_lshrrev_b32_e32 v80, 16, v102
	v_cndmask_b32_e64 v113, v93, v109, s10
	v_cndmask_b32_e64 v95, v95, v108, s22
	v_cndmask_b32_e64 v96, v96, v108, s28
	v_cndmask_b32_e64 v98, v98, v109, s28
	v_cndmask_b32_e64 v99, v99, v109, s22
	v_cndmask_b32_e64 v97, v97, v109, s13
	v_perm_b32 v93, v91, v78, 0x5040100
	v_cndmask_b32_e64 v74, v74, v102, s16
	v_cndmask_b32_e64 v78, v79, v80, s15
	;; [unrolled: 1-line block ×3, first 2 shown]
	v_lshrrev_b32_e32 v91, 16, v106
	v_cndmask_b32_e64 v95, v95, v102, s24
	v_cndmask_b32_e64 v96, v96, v102, s29
	;; [unrolled: 1-line block ×7, first 2 shown]
	v_cndmask_b32_e32 v80, v96, v80, vcc_lo
	v_cndmask_b32_e32 v96, v98, v91, vcc_lo
	v_cndmask_b32_e64 v99, v99, v91, s27
	v_cndmask_b32_e64 v100, v97, v91, s18
	;; [unrolled: 1-line block ×3, first 2 shown]
	v_perm_b32 v91, v111, v110, 0x5040100
	v_perm_b32 v98, v96, v80, 0x5040100
	;; [unrolled: 1-line block ×5, first 2 shown]
	s_mul_i32 s8, s35, 12
	s_mov_b32 s3, exec_lo
	ds_store_b128 v77, v[91:94]
	ds_store_b128 v77, v[95:98] offset:1024
	v_cmpx_gt_u32_e32 12, v0
	s_cbranch_execz .LBB529_80
; %bb.79:
	s_mul_i32 s4, s8, s30
	s_delay_alu instid0(SALU_CYCLE_1) | instskip(SKIP_1) | instid1(VALU_DEP_1)
	v_add3_u32 v77, s4, s31, v73
	s_load_b128 s[4:7], s[0:1], 0x58
	v_mad_u64_u32 v[73:74], null, v77, s34, s[14:15]
	s_delay_alu instid0(VALU_DEP_1) | instskip(NEXT) | instid1(VALU_DEP_1)
	v_ashrrev_i32_e32 v74, 31, v73
	v_lshlrev_b64 v[73:74], 2, v[73:74]
	s_waitcnt lgkmcnt(0)
	s_delay_alu instid0(VALU_DEP_1) | instskip(NEXT) | instid1(VALU_DEP_2)
	v_add_co_u32 v77, vcc_lo, s6, v73
	v_add_co_ci_u32_e32 v78, vcc_lo, s7, v74, vcc_lo
	v_add_co_u32 v73, vcc_lo, s4, v73
	v_add_co_ci_u32_e32 v74, vcc_lo, s5, v74, vcc_lo
	global_store_b32 v[77:78], v75, off
	global_store_b32 v[73:74], v76, off
.LBB529_80:
	s_or_b32 exec_lo, exec_lo, s3
	s_waitcnt lgkmcnt(0)
	s_waitcnt_vscnt null, 0x0
	s_barrier
	buffer_gl0_inv
	ds_load_b128 v[91:94], v85
	ds_load_b128 v[95:98], v85 offset:16
	ds_load_b128 v[103:106], v85 offset:1040
	;; [unrolled: 1-line block ×3, first 2 shown]
	v_mov_b32_e32 v73, 0
	ds_load_b128 v[111:114], v85 offset:2064
	ds_load_b128 v[107:110], v85 offset:2048
	;; [unrolled: 1-line block ×6, first 2 shown]
	v_mov_b32_e32 v74, v73
	v_mov_b32_e32 v75, v73
	v_mov_b32_e32 v76, v73
	v_mov_b32_e32 v77, v73
	v_mov_b32_e32 v78, v73
	v_mov_b32_e32 v79, v73
	v_mov_b32_e32 v80, v73
	s_waitcnt lgkmcnt(8)
	s_delay_alu instid0(VALU_DEP_1)
	v_wmma_f32_16x16x16_bf16 v[73:80], v[65:72], v[91:98], v[73:80]
	ds_load_b128 v[69:72], v85 offset:5136
	ds_load_b128 v[65:68], v85 offset:5120
	;; [unrolled: 1-line block ×4, first 2 shown]
	s_waitcnt lgkmcnt(10)
	v_wmma_f32_16x16x16_bf16 v[73:80], v[57:64], v[99:106], v[73:80]
	s_waitcnt lgkmcnt(8)
	s_delay_alu instid0(VALU_DEP_1)
	v_wmma_f32_16x16x16_bf16 v[73:80], v[57:64], v[107:114], v[73:80]
	ds_load_b128 v[61:64], v85 offset:7184
	ds_load_b128 v[57:60], v85 offset:7168
	;; [unrolled: 1-line block ×4, first 2 shown]
	s_waitcnt lgkmcnt(10)
	v_wmma_f32_16x16x16_bf16 v[73:80], v[49:56], v[115:122], v[73:80]
	s_waitcnt lgkmcnt(8)
	s_delay_alu instid0(VALU_DEP_1)
	v_wmma_f32_16x16x16_bf16 v[73:80], v[49:56], v[123:130], v[73:80]
	ds_load_b128 v[53:56], v85 offset:9232
	ds_load_b128 v[49:52], v85 offset:9216
	s_waitcnt lgkmcnt(8)
	v_wmma_f32_16x16x16_bf16 v[73:80], v[41:48], v[65:72], v[73:80]
	ds_load_b128 v[69:72], v85 offset:10256
	ds_load_b128 v[65:68], v85 offset:10240
	s_waitcnt lgkmcnt(8)
	v_wmma_f32_16x16x16_bf16 v[73:80], v[41:48], v[91:98], v[73:80]
	ds_load_b128 v[45:48], v85 offset:11280
	ds_load_b128 v[41:44], v85 offset:11264
	s_waitcnt lgkmcnt(8)
	v_wmma_f32_16x16x16_bf16 v[73:80], v[9:16], v[57:64], v[73:80]
	s_waitcnt lgkmcnt(6)
	s_delay_alu instid0(VALU_DEP_1)
	v_wmma_f32_16x16x16_bf16 v[73:80], v[9:16], v[99:106], v[73:80]
	ds_load_b128 v[13:16], v85 offset:12304
	ds_load_b128 v[9:12], v85 offset:12288
	s_waitcnt lgkmcnt(6)
	v_wmma_f32_16x16x16_bf16 v[73:80], v[1:8], v[49:56], v[73:80]
	ds_load_b128 v[53:56], v85 offset:13328
	ds_load_b128 v[49:52], v85 offset:13312
	s_waitcnt lgkmcnt(6)
	;; [unrolled: 4-line block ×4, first 2 shown]
	v_wmma_f32_16x16x16_bf16 v[73:80], v[33:40], v[9:16], v[73:80]
	s_waitcnt lgkmcnt(4)
	s_delay_alu instid0(VALU_DEP_1) | instskip(SKIP_1) | instid1(VALU_DEP_1)
	v_wmma_f32_16x16x16_bf16 v[73:80], v[25:32], v[49:56], v[73:80]
	s_waitcnt lgkmcnt(2)
	v_wmma_f32_16x16x16_bf16 v[73:80], v[25:32], v[1:8], v[73:80]
	s_waitcnt lgkmcnt(0)
	s_delay_alu instid0(VALU_DEP_1) | instskip(NEXT) | instid1(VALU_DEP_1)
	v_wmma_f32_16x16x16_bf16 v[73:80], v[17:24], v[41:48], v[73:80]
	v_and_b32_e32 v1, 0x7f800000, v73
	s_delay_alu instid0(VALU_DEP_1) | instskip(SKIP_1) | instid1(SALU_CYCLE_1)
	v_cmp_ne_u32_e32 vcc_lo, 0x7f800000, v1
                                        ; implicit-def: $vgpr1
	s_and_saveexec_b32 s3, vcc_lo
	s_xor_b32 s3, exec_lo, s3
; %bb.81:
	v_bfe_u32 v1, v73, 16, 1
	s_delay_alu instid0(VALU_DEP_1)
	v_add3_u32 v1, v73, v1, 0x7fff
; %bb.82:
	s_and_not1_saveexec_b32 s3, s3
; %bb.83:
	v_and_b32_e32 v1, 0xffff, v73
	v_or_b32_e32 v2, 0x10000, v73
	s_delay_alu instid0(VALU_DEP_2) | instskip(NEXT) | instid1(VALU_DEP_2)
	v_cmp_eq_u32_e32 vcc_lo, 0, v1
	v_cndmask_b32_e32 v1, v2, v73, vcc_lo
; %bb.84:
	s_or_b32 exec_lo, exec_lo, s3
	v_and_b32_e32 v2, 0x7f800000, v74
	s_delay_alu instid0(VALU_DEP_1) | instskip(SKIP_1) | instid1(SALU_CYCLE_1)
	v_cmp_ne_u32_e32 vcc_lo, 0x7f800000, v2
                                        ; implicit-def: $vgpr2
	s_and_saveexec_b32 s3, vcc_lo
	s_xor_b32 s3, exec_lo, s3
; %bb.85:
	v_bfe_u32 v2, v74, 16, 1
	s_delay_alu instid0(VALU_DEP_1)
	v_add3_u32 v2, v74, v2, 0x7fff
; %bb.86:
	s_and_not1_saveexec_b32 s3, s3
; %bb.87:
	v_and_b32_e32 v2, 0xffff, v74
	v_or_b32_e32 v3, 0x10000, v74
	s_delay_alu instid0(VALU_DEP_2) | instskip(NEXT) | instid1(VALU_DEP_2)
	v_cmp_eq_u32_e32 vcc_lo, 0, v2
	v_cndmask_b32_e32 v2, v3, v74, vcc_lo
; %bb.88:
	s_or_b32 exec_lo, exec_lo, s3
	v_and_b32_e32 v3, 0x7f800000, v75
	s_delay_alu instid0(VALU_DEP_1) | instskip(SKIP_1) | instid1(SALU_CYCLE_1)
	v_cmp_ne_u32_e32 vcc_lo, 0x7f800000, v3
                                        ; implicit-def: $vgpr3
	s_and_saveexec_b32 s3, vcc_lo
	s_xor_b32 s3, exec_lo, s3
; %bb.89:
	v_bfe_u32 v3, v75, 16, 1
	s_delay_alu instid0(VALU_DEP_1)
	v_add3_u32 v3, v75, v3, 0x7fff
; %bb.90:
	s_and_not1_saveexec_b32 s3, s3
; %bb.91:
	v_and_b32_e32 v3, 0xffff, v75
	v_or_b32_e32 v4, 0x10000, v75
	s_delay_alu instid0(VALU_DEP_2) | instskip(NEXT) | instid1(VALU_DEP_2)
	v_cmp_eq_u32_e32 vcc_lo, 0, v3
	v_cndmask_b32_e32 v3, v4, v75, vcc_lo
; %bb.92:
	s_or_b32 exec_lo, exec_lo, s3
	v_and_b32_e32 v4, 0x7f800000, v76
	s_delay_alu instid0(VALU_DEP_1) | instskip(SKIP_1) | instid1(SALU_CYCLE_1)
	v_cmp_ne_u32_e32 vcc_lo, 0x7f800000, v4
                                        ; implicit-def: $vgpr4
	s_and_saveexec_b32 s3, vcc_lo
	s_xor_b32 s3, exec_lo, s3
; %bb.93:
	v_bfe_u32 v4, v76, 16, 1
	s_delay_alu instid0(VALU_DEP_1)
	v_add3_u32 v4, v76, v4, 0x7fff
; %bb.94:
	s_and_not1_saveexec_b32 s3, s3
; %bb.95:
	v_and_b32_e32 v4, 0xffff, v76
	v_or_b32_e32 v5, 0x10000, v76
	s_delay_alu instid0(VALU_DEP_2) | instskip(NEXT) | instid1(VALU_DEP_2)
	v_cmp_eq_u32_e32 vcc_lo, 0, v4
	v_cndmask_b32_e32 v4, v5, v76, vcc_lo
; %bb.96:
	s_or_b32 exec_lo, exec_lo, s3
	v_and_b32_e32 v5, 0x7f800000, v77
	s_delay_alu instid0(VALU_DEP_1) | instskip(SKIP_1) | instid1(SALU_CYCLE_1)
	v_cmp_ne_u32_e32 vcc_lo, 0x7f800000, v5
                                        ; implicit-def: $vgpr5
	s_and_saveexec_b32 s3, vcc_lo
	s_xor_b32 s3, exec_lo, s3
; %bb.97:
	v_bfe_u32 v5, v77, 16, 1
	s_delay_alu instid0(VALU_DEP_1)
	v_add3_u32 v5, v77, v5, 0x7fff
; %bb.98:
	s_and_not1_saveexec_b32 s3, s3
; %bb.99:
	v_and_b32_e32 v5, 0xffff, v77
	v_or_b32_e32 v6, 0x10000, v77
	s_delay_alu instid0(VALU_DEP_2) | instskip(NEXT) | instid1(VALU_DEP_2)
	v_cmp_eq_u32_e32 vcc_lo, 0, v5
	v_cndmask_b32_e32 v5, v6, v77, vcc_lo
; %bb.100:
	s_or_b32 exec_lo, exec_lo, s3
	v_and_b32_e32 v6, 0x7f800000, v78
	s_delay_alu instid0(VALU_DEP_1) | instskip(SKIP_1) | instid1(SALU_CYCLE_1)
	v_cmp_ne_u32_e32 vcc_lo, 0x7f800000, v6
                                        ; implicit-def: $vgpr6
	s_and_saveexec_b32 s3, vcc_lo
	s_xor_b32 s3, exec_lo, s3
; %bb.101:
	v_bfe_u32 v6, v78, 16, 1
	s_delay_alu instid0(VALU_DEP_1)
	v_add3_u32 v6, v78, v6, 0x7fff
; %bb.102:
	s_and_not1_saveexec_b32 s3, s3
; %bb.103:
	v_and_b32_e32 v6, 0xffff, v78
	v_or_b32_e32 v7, 0x10000, v78
	s_delay_alu instid0(VALU_DEP_2) | instskip(NEXT) | instid1(VALU_DEP_2)
	v_cmp_eq_u32_e32 vcc_lo, 0, v6
	v_cndmask_b32_e32 v6, v7, v78, vcc_lo
; %bb.104:
	s_or_b32 exec_lo, exec_lo, s3
	v_and_b32_e32 v7, 0x7f800000, v79
	s_delay_alu instid0(VALU_DEP_1) | instskip(SKIP_1) | instid1(SALU_CYCLE_1)
	v_cmp_ne_u32_e32 vcc_lo, 0x7f800000, v7
                                        ; implicit-def: $vgpr7
	s_and_saveexec_b32 s3, vcc_lo
	s_xor_b32 s3, exec_lo, s3
; %bb.105:
	v_bfe_u32 v7, v79, 16, 1
	s_delay_alu instid0(VALU_DEP_1)
	v_add3_u32 v7, v79, v7, 0x7fff
; %bb.106:
	s_and_not1_saveexec_b32 s3, s3
; %bb.107:
	v_and_b32_e32 v7, 0xffff, v79
	v_or_b32_e32 v8, 0x10000, v79
	s_delay_alu instid0(VALU_DEP_2) | instskip(NEXT) | instid1(VALU_DEP_2)
	v_cmp_eq_u32_e32 vcc_lo, 0, v7
	v_cndmask_b32_e32 v7, v8, v79, vcc_lo
; %bb.108:
	s_or_b32 exec_lo, exec_lo, s3
	v_and_b32_e32 v8, 0x7f800000, v80
	s_delay_alu instid0(VALU_DEP_1) | instskip(SKIP_1) | instid1(SALU_CYCLE_1)
	v_cmp_ne_u32_e32 vcc_lo, 0x7f800000, v8
                                        ; implicit-def: $vgpr8
	s_and_saveexec_b32 s3, vcc_lo
	s_xor_b32 s3, exec_lo, s3
; %bb.109:
	v_bfe_u32 v8, v80, 16, 1
	s_delay_alu instid0(VALU_DEP_1)
	v_add3_u32 v8, v80, v8, 0x7fff
                                        ; implicit-def: $vgpr73_vgpr74_vgpr75_vgpr76_vgpr77_vgpr78_vgpr79_vgpr80
; %bb.110:
	s_and_not1_saveexec_b32 s3, s3
; %bb.111:
	v_and_b32_e32 v8, 0xffff, v80
	v_or_b32_e32 v9, 0x10000, v80
	s_delay_alu instid0(VALU_DEP_2) | instskip(NEXT) | instid1(VALU_DEP_2)
	v_cmp_eq_u32_e32 vcc_lo, 0, v8
	v_cndmask_b32_e32 v8, v9, v80, vcc_lo
; %bb.112:
	s_or_b32 exec_lo, exec_lo, s3
	s_delay_alu instid0(VALU_DEP_1)
	v_perm_b32 v7, v8, v7, 0x7060302
	v_perm_b32 v6, v6, v5, 0x7060302
	;; [unrolled: 1-line block ×4, first 2 shown]
	v_lshl_or_b32 v9, v83, 4, v90
	s_barrier
	buffer_gl0_inv
	v_cmp_eq_u32_e32 vcc_lo, 1, v87
	ds_store_b128 v9, v[4:7]
	s_waitcnt lgkmcnt(0)
	s_barrier
	buffer_gl0_inv
	ds_load_b128 v[1:4], v90
	ds_load_b128 v[5:8], v90 offset:16
	v_cmp_eq_u32_e64 s4, 2, v87
	v_cmp_eq_u32_e64 s3, 1, v88
	;; [unrolled: 1-line block ×5, first 2 shown]
	s_waitcnt lgkmcnt(1)
	v_lshrrev_b32_e32 v10, 16, v1
	s_waitcnt lgkmcnt(0)
	v_lshrrev_b32_e32 v14, 16, v5
	v_lshrrev_b32_e32 v15, 16, v6
	;; [unrolled: 1-line block ×4, first 2 shown]
	v_cndmask_b32_e64 v20, v1, v10, s3
	v_cndmask_b32_e32 v19, v5, v14, vcc_lo
	v_cndmask_b32_e64 v21, v5, v14, s3
	v_lshrrev_b32_e32 v16, 16, v7
	v_cmp_eq_u32_e64 s3, 1, v86
	v_lshrrev_b32_e32 v13, 16, v4
	v_cndmask_b32_e64 v19, v19, v6, s4
	v_lshrrev_b32_e32 v17, 16, v8
	s_delay_alu instid0(VALU_DEP_4) | instskip(SKIP_1) | instid1(VALU_DEP_4)
	v_cndmask_b32_e64 v22, v1, v10, s3
	v_cndmask_b32_e64 v23, v5, v14, s3
	v_cndmask_b32_e64 v19, v19, v15, s5
	v_cndmask_b32_e32 v18, v1, v10, vcc_lo
	v_cmp_eq_u32_e32 vcc_lo, 2, v88
	v_cmp_eq_u32_e64 s3, 2, v89
	v_cndmask_b32_e64 v22, v22, v2, s7
	v_cndmask_b32_e32 v20, v20, v2, vcc_lo
	v_cndmask_b32_e32 v21, v21, v6, vcc_lo
	v_cmp_eq_u32_e32 vcc_lo, 4, v87
	v_cndmask_b32_e32 v19, v19, v7, vcc_lo
	v_cndmask_b32_e64 v18, v18, v2, s4
	v_cmp_eq_u32_e64 s4, 3, v88
	s_delay_alu instid0(VALU_DEP_2) | instskip(NEXT) | instid1(VALU_DEP_2)
	v_cndmask_b32_e64 v18, v18, v11, s5
	v_cndmask_b32_e64 v21, v21, v15, s4
	v_cmp_eq_u32_e64 s5, 5, v87
	s_delay_alu instid0(VALU_DEP_3) | instskip(SKIP_1) | instid1(VALU_DEP_3)
	v_cndmask_b32_e32 v18, v18, v3, vcc_lo
	v_cmp_eq_u32_e32 vcc_lo, 4, v88
	v_cndmask_b32_e64 v19, v19, v16, s5
	s_delay_alu instid0(VALU_DEP_3) | instskip(SKIP_4) | instid1(VALU_DEP_3)
	v_cndmask_b32_e64 v18, v18, v12, s5
	v_cndmask_b32_e32 v21, v21, v7, vcc_lo
	v_cndmask_b32_e64 v20, v20, v11, s4
	v_cmp_eq_u32_e64 s4, 5, v88
	v_cmp_eq_u32_e64 s5, 6, v87
	v_cndmask_b32_e32 v20, v20, v3, vcc_lo
	s_delay_alu instid0(VALU_DEP_3) | instskip(SKIP_1) | instid1(VALU_DEP_4)
	v_cndmask_b32_e64 v21, v21, v16, s4
	v_cmp_eq_u32_e32 vcc_lo, 6, v88
	v_cndmask_b32_e64 v18, v18, v4, s5
	v_cndmask_b32_e64 v19, v19, v8, s5
	;; [unrolled: 1-line block ×3, first 2 shown]
	v_cmp_eq_u32_e64 s4, 1, v89
	v_cmp_eq_u32_e64 s5, 7, v87
	s_delay_alu instid0(VALU_DEP_3) | instskip(NEXT) | instid1(VALU_DEP_3)
	v_cndmask_b32_e32 v20, v20, v4, vcc_lo
	v_cndmask_b32_e64 v1, v1, v10, s4
	v_cndmask_b32_e64 v5, v5, v14, s4
	v_cmp_eq_u32_e64 s4, 3, v86
	v_cndmask_b32_e64 v14, v23, v6, s7
	v_cmp_eq_u32_e64 s7, 3, v89
	v_cndmask_b32_e64 v1, v1, v2, s3
	v_cndmask_b32_e64 v2, v5, v6, s3
	;; [unrolled: 1-line block ×3, first 2 shown]
	v_cmp_eq_u32_e64 s3, 4, v86
	v_cndmask_b32_e64 v6, v14, v15, s4
	v_cndmask_b32_e64 v1, v1, v11, s7
	v_cmp_eq_u32_e64 s4, 4, v89
	v_cndmask_b32_e64 v2, v2, v15, s7
	v_cndmask_b32_e64 v5, v10, v3, s3
	;; [unrolled: 3-line block ×3, first 2 shown]
	v_cndmask_b32_e64 v2, v2, v7, s4
	v_cmp_eq_u32_e64 s3, 5, v89
	v_cndmask_b32_e64 v5, v5, v12, s7
	v_cmp_eq_u32_e64 s4, 6, v86
	;; [unrolled: 2-line block ×3, first 2 shown]
	v_cndmask_b32_e64 v1, v1, v12, s3
	v_cndmask_b32_e64 v2, v2, v16, s3
	;; [unrolled: 1-line block ×4, first 2 shown]
	v_cmp_eq_u32_e64 s3, 7, v89
	v_cndmask_b32_e64 v1, v1, v4, s7
	v_cndmask_b32_e64 v2, v2, v8, s7
	v_cmp_eq_u32_e64 s4, 7, v86
	v_cndmask_b32_e32 v4, v21, v8, vcc_lo
	v_cndmask_b32_e64 v18, v18, v13, s5
	v_cndmask_b32_e64 v20, v20, v13, s6
	;; [unrolled: 1-line block ×8, first 2 shown]
	v_cmp_gt_u32_e32 vcc_lo, 32, v0
	v_perm_b32 v4, v2, v1, 0x5040100
	v_perm_b32 v3, v3, v5, 0x5040100
	;; [unrolled: 1-line block ×4, first 2 shown]
	s_and_b32 s2, vcc_lo, s2
	ds_store_b128 v9, v[1:4]
	s_waitcnt lgkmcnt(0)
	s_barrier
	buffer_gl0_inv
	s_and_saveexec_b32 s3, s2
	s_cbranch_execz .LBB529_2
; %bb.113:
	s_load_b64 s[0:1], s[0:1], 0x68
	v_lshlrev_b32_e32 v0, 10, v0
	s_lshl_b32 s4, s34, 6
	v_or_b32_e32 v3, s31, v83
	s_mul_i32 s2, s4, s30
	v_lshlrev_b32_e32 v1, 4, v84
	s_mul_i32 s2, s2, s8
	v_lshlrev_b32_e32 v2, 6, v83
	v_and_b32_e32 v0, 0x3800, v0
	s_ashr_i32 s3, s2, 31
	v_mul_lo_u32 v4, v3, s4
	s_lshl_b64 s[2:3], s[2:3], 1
	s_delay_alu instid0(VALU_DEP_2) | instskip(NEXT) | instid1(VALU_DEP_2)
	v_or3_b32 v16, v0, v1, v2
	v_ashrrev_i32_e32 v5, 31, v4
	ds_load_b128 v[0:3], v16
	s_waitcnt lgkmcnt(0)
	s_add_u32 s2, s0, s2
	s_addc_u32 s3, s1, s3
	s_lshl_b32 s0, s14, 6
	v_lshlrev_b64 v[5:6], 1, v[4:5]
	s_ashr_i32 s1, s0, 31
	s_delay_alu instid0(SALU_CYCLE_1) | instskip(NEXT) | instid1(SALU_CYCLE_1)
	s_lshl_b64 s[0:1], s[0:1], 1
	s_add_u32 s0, s2, s0
	s_addc_u32 s1, s3, s1
	s_lshl_b32 s2, s34, 7
	v_add_co_u32 v30, vcc_lo, s0, v81
	v_add_nc_u32_e32 v8, s2, v4
	v_add_co_ci_u32_e32 v31, vcc_lo, s1, v82, vcc_lo
	s_delay_alu instid0(VALU_DEP_3) | instskip(NEXT) | instid1(VALU_DEP_3)
	v_add_co_u32 v12, vcc_lo, v30, v5
	v_add_nc_u32_e32 v10, s2, v8
	v_ashrrev_i32_e32 v9, 31, v8
	s_delay_alu instid0(VALU_DEP_4)
	v_add_co_ci_u32_e32 v13, vcc_lo, v31, v6, vcc_lo
	ds_load_b128 v[4:7], v16 offset:128
	v_ashrrev_i32_e32 v11, 31, v10
	v_lshlrev_b64 v[8:9], 1, v[8:9]
	v_add_nc_u32_e32 v14, s2, v10
	global_store_b128 v[12:13], v[0:3], off
	v_lshlrev_b64 v[0:1], 1, v[10:11]
	v_ashrrev_i32_e32 v15, 31, v14
	v_add_co_u32 v22, vcc_lo, v30, v8
	v_add_nc_u32_e32 v20, s2, v14
	v_add_co_ci_u32_e32 v23, vcc_lo, v31, v9, vcc_lo
	v_add_co_u32 v26, vcc_lo, v30, v0
	v_lshlrev_b64 v[24:25], 1, v[14:15]
	v_add_co_ci_u32_e32 v27, vcc_lo, v31, v1, vcc_lo
	ds_load_b128 v[0:3], v16 offset:256
	ds_load_b128 v[8:11], v16 offset:384
	;; [unrolled: 1-line block ×4, first 2 shown]
	v_add_nc_u32_e32 v28, s2, v20
	v_ashrrev_i32_e32 v21, 31, v20
	v_add_co_u32 v24, vcc_lo, v30, v24
	v_add_co_ci_u32_e32 v25, vcc_lo, v31, v25, vcc_lo
	s_delay_alu instid0(VALU_DEP_4) | instskip(NEXT) | instid1(VALU_DEP_4)
	v_ashrrev_i32_e32 v29, 31, v28
	v_lshlrev_b64 v[20:21], 1, v[20:21]
	s_delay_alu instid0(VALU_DEP_2) | instskip(NEXT) | instid1(VALU_DEP_2)
	v_lshlrev_b64 v[28:29], 1, v[28:29]
	v_add_co_u32 v20, vcc_lo, v30, v20
	s_delay_alu instid0(VALU_DEP_3) | instskip(NEXT) | instid1(VALU_DEP_3)
	v_add_co_ci_u32_e32 v21, vcc_lo, v31, v21, vcc_lo
	v_add_co_u32 v28, vcc_lo, v30, v28
	s_delay_alu instid0(VALU_DEP_4)
	v_add_co_ci_u32_e32 v29, vcc_lo, v31, v29, vcc_lo
	s_waitcnt lgkmcnt(4)
	global_store_b128 v[22:23], v[4:7], off
	s_waitcnt lgkmcnt(3)
	global_store_b128 v[26:27], v[0:3], off
	;; [unrolled: 2-line block ×5, first 2 shown]
	s_nop 0
	s_sendmsg sendmsg(MSG_DEALLOC_VGPRS)
	s_endpgm
	.section	.rodata,"a",@progbits
	.p2align	6, 0x0
	.amdhsa_kernel _Z39paged_attention_ll4mi_QKV_mfma16_kernelI14__hip_bfloat16S0_LN4vllm18Fp8KVCacheDataTypeE0EhLi32ELi64ELi256ELb0ELi12EL8MFMAType0EEvPKT_PKT0_S9_ifPKiSB_SB_iPKfiiiPfSE_PS4_PT2_iSD_SD_
		.amdhsa_group_segment_fixed_size 17472
		.amdhsa_private_segment_fixed_size 0
		.amdhsa_kernarg_size 400
		.amdhsa_user_sgpr_count 13
		.amdhsa_user_sgpr_dispatch_ptr 0
		.amdhsa_user_sgpr_queue_ptr 0
		.amdhsa_user_sgpr_kernarg_segment_ptr 1
		.amdhsa_user_sgpr_dispatch_id 0
		.amdhsa_user_sgpr_private_segment_size 0
		.amdhsa_wavefront_size32 1
		.amdhsa_uses_dynamic_stack 0
		.amdhsa_enable_private_segment 0
		.amdhsa_system_sgpr_workgroup_id_x 1
		.amdhsa_system_sgpr_workgroup_id_y 1
		.amdhsa_system_sgpr_workgroup_id_z 1
		.amdhsa_system_sgpr_workgroup_info 0
		.amdhsa_system_vgpr_workitem_id 0
		.amdhsa_next_free_vgpr 142
		.amdhsa_next_free_sgpr 38
		.amdhsa_reserve_vcc 1
		.amdhsa_float_round_mode_32 0
		.amdhsa_float_round_mode_16_64 0
		.amdhsa_float_denorm_mode_32 3
		.amdhsa_float_denorm_mode_16_64 3
		.amdhsa_dx10_clamp 1
		.amdhsa_ieee_mode 1
		.amdhsa_fp16_overflow 0
		.amdhsa_workgroup_processor_mode 1
		.amdhsa_memory_ordered 1
		.amdhsa_forward_progress 0
		.amdhsa_shared_vgpr_count 0
		.amdhsa_exception_fp_ieee_invalid_op 0
		.amdhsa_exception_fp_denorm_src 0
		.amdhsa_exception_fp_ieee_div_zero 0
		.amdhsa_exception_fp_ieee_overflow 0
		.amdhsa_exception_fp_ieee_underflow 0
		.amdhsa_exception_fp_ieee_inexact 0
		.amdhsa_exception_int_div_zero 0
	.end_amdhsa_kernel
	.section	.text._Z39paged_attention_ll4mi_QKV_mfma16_kernelI14__hip_bfloat16S0_LN4vllm18Fp8KVCacheDataTypeE0EhLi32ELi64ELi256ELb0ELi12EL8MFMAType0EEvPKT_PKT0_S9_ifPKiSB_SB_iPKfiiiPfSE_PS4_PT2_iSD_SD_,"axG",@progbits,_Z39paged_attention_ll4mi_QKV_mfma16_kernelI14__hip_bfloat16S0_LN4vllm18Fp8KVCacheDataTypeE0EhLi32ELi64ELi256ELb0ELi12EL8MFMAType0EEvPKT_PKT0_S9_ifPKiSB_SB_iPKfiiiPfSE_PS4_PT2_iSD_SD_,comdat
.Lfunc_end529:
	.size	_Z39paged_attention_ll4mi_QKV_mfma16_kernelI14__hip_bfloat16S0_LN4vllm18Fp8KVCacheDataTypeE0EhLi32ELi64ELi256ELb0ELi12EL8MFMAType0EEvPKT_PKT0_S9_ifPKiSB_SB_iPKfiiiPfSE_PS4_PT2_iSD_SD_, .Lfunc_end529-_Z39paged_attention_ll4mi_QKV_mfma16_kernelI14__hip_bfloat16S0_LN4vllm18Fp8KVCacheDataTypeE0EhLi32ELi64ELi256ELb0ELi12EL8MFMAType0EEvPKT_PKT0_S9_ifPKiSB_SB_iPKfiiiPfSE_PS4_PT2_iSD_SD_
                                        ; -- End function
	.section	.AMDGPU.csdata,"",@progbits
; Kernel info:
; codeLenInByte = 9492
; NumSgprs: 40
; NumVgprs: 142
; ScratchSize: 0
; MemoryBound: 0
; FloatMode: 240
; IeeeMode: 1
; LDSByteSize: 17472 bytes/workgroup (compile time only)
; SGPRBlocks: 4
; VGPRBlocks: 17
; NumSGPRsForWavesPerEU: 40
; NumVGPRsForWavesPerEU: 142
; Occupancy: 10
; WaveLimiterHint : 1
; COMPUTE_PGM_RSRC2:SCRATCH_EN: 0
; COMPUTE_PGM_RSRC2:USER_SGPR: 13
; COMPUTE_PGM_RSRC2:TRAP_HANDLER: 0
; COMPUTE_PGM_RSRC2:TGID_X_EN: 1
; COMPUTE_PGM_RSRC2:TGID_Y_EN: 1
; COMPUTE_PGM_RSRC2:TGID_Z_EN: 1
; COMPUTE_PGM_RSRC2:TIDIG_COMP_CNT: 0
	.section	.text._Z39paged_attention_ll4mi_QKV_mfma16_kernelI14__hip_bfloat16S0_LN4vllm18Fp8KVCacheDataTypeE0EhLi32ELi64ELi256ELb0ELi13EL8MFMAType0EEvPKT_PKT0_S9_ifPKiSB_SB_iPKfiiiPfSE_PS4_PT2_iSD_SD_,"axG",@progbits,_Z39paged_attention_ll4mi_QKV_mfma16_kernelI14__hip_bfloat16S0_LN4vllm18Fp8KVCacheDataTypeE0EhLi32ELi64ELi256ELb0ELi13EL8MFMAType0EEvPKT_PKT0_S9_ifPKiSB_SB_iPKfiiiPfSE_PS4_PT2_iSD_SD_,comdat
	.protected	_Z39paged_attention_ll4mi_QKV_mfma16_kernelI14__hip_bfloat16S0_LN4vllm18Fp8KVCacheDataTypeE0EhLi32ELi64ELi256ELb0ELi13EL8MFMAType0EEvPKT_PKT0_S9_ifPKiSB_SB_iPKfiiiPfSE_PS4_PT2_iSD_SD_ ; -- Begin function _Z39paged_attention_ll4mi_QKV_mfma16_kernelI14__hip_bfloat16S0_LN4vllm18Fp8KVCacheDataTypeE0EhLi32ELi64ELi256ELb0ELi13EL8MFMAType0EEvPKT_PKT0_S9_ifPKiSB_SB_iPKfiiiPfSE_PS4_PT2_iSD_SD_
	.globl	_Z39paged_attention_ll4mi_QKV_mfma16_kernelI14__hip_bfloat16S0_LN4vllm18Fp8KVCacheDataTypeE0EhLi32ELi64ELi256ELb0ELi13EL8MFMAType0EEvPKT_PKT0_S9_ifPKiSB_SB_iPKfiiiPfSE_PS4_PT2_iSD_SD_
	.p2align	8
	.type	_Z39paged_attention_ll4mi_QKV_mfma16_kernelI14__hip_bfloat16S0_LN4vllm18Fp8KVCacheDataTypeE0EhLi32ELi64ELi256ELb0ELi13EL8MFMAType0EEvPKT_PKT0_S9_ifPKiSB_SB_iPKfiiiPfSE_PS4_PT2_iSD_SD_,@function
_Z39paged_attention_ll4mi_QKV_mfma16_kernelI14__hip_bfloat16S0_LN4vllm18Fp8KVCacheDataTypeE0EhLi32ELi64ELi256ELb0ELi13EL8MFMAType0EEvPKT_PKT0_S9_ifPKiSB_SB_iPKfiiiPfSE_PS4_PT2_iSD_SD_: ; @_Z39paged_attention_ll4mi_QKV_mfma16_kernelI14__hip_bfloat16S0_LN4vllm18Fp8KVCacheDataTypeE0EhLi32ELi64ELi256ELb0ELi13EL8MFMAType0EEvPKT_PKT0_S9_ifPKiSB_SB_iPKfiiiPfSE_PS4_PT2_iSD_SD_
; %bb.0:
	s_load_b64 s[2:3], s[0:1], 0x30
	s_mov_b32 s34, s13
	s_waitcnt lgkmcnt(0)
	s_cmp_lg_u64 s[2:3], 0
	s_cselect_b32 s6, -1, 0
	s_ashr_i32 s35, s13, 31
	s_cmp_eq_u64 s[2:3], 0
	s_cbranch_scc1 .LBB530_3
; %bb.1:
	s_lshl_b64 s[4:5], s[34:35], 2
	s_delay_alu instid0(SALU_CYCLE_1) | instskip(SKIP_4) | instid1(SALU_CYCLE_1)
	s_add_u32 s4, s2, s4
	s_addc_u32 s5, s3, s5
	s_load_b64 s[4:5], s[4:5], 0x0
	s_waitcnt lgkmcnt(0)
	s_sub_i32 s4, s5, s4
	s_cmp_eq_u32 s4, 1
	s_cselect_b32 s4, -1, 0
	s_delay_alu instid0(SALU_CYCLE_1)
	s_and_not1_b32 vcc_lo, exec_lo, s4
	s_cbranch_vccz .LBB530_4
.LBB530_2:
	s_nop 0
	s_sendmsg sendmsg(MSG_DEALLOC_VGPRS)
	s_endpgm
.LBB530_3:
.LBB530_4:
	s_load_b64 s[8:9], s[0:1], 0x28
	s_lshl_b64 s[4:5], s[34:35], 2
	s_waitcnt lgkmcnt(0)
	s_add_u32 s8, s8, s4
	s_addc_u32 s9, s9, s5
	s_lshl_b32 s16, s14, 8
	s_load_b32 s18, s[8:9], 0x0
	s_waitcnt lgkmcnt(0)
	s_cmp_ge_i32 s16, s18
	s_cbranch_scc1 .LBB530_2
; %bb.5:
	s_and_not1_b32 vcc_lo, exec_lo, s6
	s_cbranch_vccnz .LBB530_7
; %bb.6:
	s_add_u32 s2, s2, s4
	s_addc_u32 s3, s3, s5
	s_load_b32 s17, s[2:3], 0x0
	s_branch .LBB530_8
.LBB530_7:
	s_mov_b32 s17, s34
.LBB530_8:
	s_clause 0x2
	s_load_b128 s[8:11], s[0:1], 0x8
	s_load_b64 s[12:13], s[0:1], 0x20
	s_load_b128 s[4:7], s[0:1], 0x48
	v_lshrrev_b32_e32 v74, 5, v0
	v_bfe_u32 v83, v0, 4, 1
	v_and_b32_e32 v73, 15, v0
	s_delay_alu instid0(VALU_DEP_2) | instskip(NEXT) | instid1(VALU_DEP_2)
	v_lshl_or_b32 v3, v74, 1, v83
	v_cmp_lt_u32_e64 s3, 7, v73
	v_lshlrev_b32_e32 v1, 3, v73
	v_cmp_gt_u32_e64 s2, 8, v73
	s_delay_alu instid0(VALU_DEP_4) | instskip(NEXT) | instid1(VALU_DEP_4)
	v_cmp_lt_u32_e32 vcc_lo, 12, v3
	s_or_b32 s3, s3, vcc_lo
	s_waitcnt lgkmcnt(0)
	s_and_saveexec_b32 s7, s3
	s_delay_alu instid0(SALU_CYCLE_1)
	s_xor_b32 s3, exec_lo, s7
; %bb.9:
	v_mov_b32_e32 v2, 0
                                        ; implicit-def: $vgpr3
; %bb.10:
	s_or_saveexec_b32 s3, s3
	v_and_b32_e32 v75, 31, v0
	v_and_b32_e32 v84, 1, v0
	s_mul_i32 s31, s15, 13
	s_xor_b32 exec_lo, exec_lo, s3
	s_cbranch_execz .LBB530_12
; %bb.11:
	s_load_b64 s[20:21], s[0:1], 0x0
	v_add_lshl_u32 v4, v3, s31, 6
	s_mul_hi_i32 s23, s17, s4
	s_mul_i32 s22, s17, s4
	v_lshlrev_b32_e32 v2, 1, v1
	s_lshl_b64 s[22:23], s[22:23], 1
	v_ashrrev_i32_e32 v5, 31, v4
	v_lshlrev_b32_e32 v3, 6, v3
	v_lshlrev_b32_e32 v8, 10, v84
	s_delay_alu instid0(VALU_DEP_3) | instskip(SKIP_3) | instid1(VALU_DEP_1)
	v_lshlrev_b64 v[4:5], 1, v[4:5]
	s_waitcnt lgkmcnt(0)
	s_add_u32 s4, s20, s22
	s_addc_u32 s7, s21, s23
	v_add_co_u32 v4, vcc_lo, s4, v4
	s_delay_alu instid0(VALU_DEP_2) | instskip(NEXT) | instid1(VALU_DEP_2)
	v_add_co_ci_u32_e32 v5, vcc_lo, s7, v5, vcc_lo
	v_add_co_u32 v4, vcc_lo, v4, v2
	s_delay_alu instid0(VALU_DEP_2) | instskip(SKIP_3) | instid1(VALU_DEP_1)
	v_add_co_ci_u32_e32 v5, vcc_lo, 0, v5, vcc_lo
	v_lshlrev_b32_e32 v2, 10, v73
	global_load_b128 v[4:7], v[4:5], off
	v_and_b32_e32 v2, 0x3800, v2
	v_or3_b32 v3, v2, v8, v3
	v_mov_b32_e32 v2, 0
	s_waitcnt vmcnt(0)
	ds_store_b128 v3, v[4:7]
.LBB530_12:
	s_or_b32 exec_lo, exec_lo, s3
	v_and_b32_e32 v3, 0xef, v0
	s_add_i32 s3, s18, 31
	s_clause 0x1
	s_load_b32 s4, s[0:1], 0x38
	s_load_b32 s19, s[0:1], 0x1c
	s_ashr_i32 s7, s3, 31
	v_add_nc_u32_e32 v3, s16, v3
	s_lshr_b32 s7, s7, 27
	s_waitcnt lgkmcnt(0)
	s_add_i32 s3, s3, s7
	s_barrier
	v_ashrrev_i32_e32 v4, 31, v3
	v_cmp_gt_i32_e32 vcc_lo, s18, v3
	s_ashr_i32 s3, s3, 5
	buffer_gl0_inv
	s_add_i32 s3, s3, -1
	v_lshrrev_b32_e32 v5, 27, v4
	v_or_b32_e32 v4, 16, v3
	s_mul_i32 s6, s15, s6
	v_lshlrev_b64 v[81:82], 1, v[1:2]
	s_delay_alu instid0(VALU_DEP_3) | instskip(NEXT) | instid1(VALU_DEP_3)
	v_add_nc_u32_e32 v6, v3, v5
	v_add_nc_u32_e32 v5, v4, v5
	s_mul_i32 s20, s34, s4
	s_delay_alu instid0(SALU_CYCLE_1) | instskip(NEXT) | instid1(VALU_DEP_2)
	s_ashr_i32 s21, s20, 31
	v_ashrrev_i32_e32 v6, 5, v6
	s_delay_alu instid0(VALU_DEP_2) | instskip(SKIP_1) | instid1(SALU_CYCLE_1)
	v_ashrrev_i32_e32 v5, 5, v5
	s_lshl_b64 s[20:21], s[20:21], 2
	s_add_u32 s4, s12, s20
	s_delay_alu instid0(VALU_DEP_2) | instskip(SKIP_3) | instid1(SALU_CYCLE_1)
	v_cndmask_b32_e32 v3, s3, v6, vcc_lo
	v_cmp_gt_i32_e32 vcc_lo, s18, v4
	s_addc_u32 s17, s13, s21
	s_ashr_i32 s7, s6, 31
	s_lshl_b64 s[6:7], s[6:7], 1
	v_cndmask_b32_e32 v5, s3, v5, vcc_lo
	v_ashrrev_i32_e32 v4, 31, v3
	s_add_u32 s15, s8, s6
	s_addc_u32 s28, s9, s7
	s_lshl_b32 s8, s14, 3
	v_ashrrev_i32_e32 v6, 31, v5
	v_lshlrev_b64 v[3:4], 2, v[3:4]
	s_ashr_i32 s9, s8, 31
	s_delay_alu instid0(SALU_CYCLE_1) | instskip(NEXT) | instid1(VALU_DEP_2)
	s_lshl_b64 s[8:9], s[8:9], 2
	v_lshlrev_b64 v[5:6], 2, v[5:6]
	s_add_u32 s8, s4, s8
	s_delay_alu instid0(VALU_DEP_2) | instskip(SKIP_1) | instid1(VALU_DEP_3)
	v_add_co_u32 v3, vcc_lo, s4, v3
	v_add_co_ci_u32_e32 v4, vcc_lo, s17, v4, vcc_lo
	v_add_co_u32 v5, vcc_lo, s4, v5
	s_delay_alu instid0(VALU_DEP_4)
	v_add_co_ci_u32_e32 v6, vcc_lo, s17, v6, vcc_lo
	s_addc_u32 s9, s17, s9
	s_clause 0x1
	global_load_b32 v7, v[3:4], off
	global_load_b32 v8, v[5:6], off
	s_or_b32 s12, s16, 32
	s_delay_alu instid0(SALU_CYCLE_1) | instskip(SKIP_2) | instid1(SALU_CYCLE_1)
	s_ashr_i32 s13, s12, 5
	s_cmp_lt_i32 s12, s18
	s_cselect_b32 s12, s13, s3
	s_ashr_i32 s13, s12, 31
	s_delay_alu instid0(SALU_CYCLE_1) | instskip(NEXT) | instid1(SALU_CYCLE_1)
	s_lshl_b64 s[12:13], s[12:13], 2
	s_add_u32 s12, s4, s12
	s_addc_u32 s13, s17, s13
	s_or_b32 s20, s16, 64
	s_delay_alu instid0(SALU_CYCLE_1) | instskip(SKIP_2) | instid1(SALU_CYCLE_1)
	s_ashr_i32 s21, s20, 5
	s_cmp_lt_i32 s20, s18
	s_cselect_b32 s20, s21, s3
	s_ashr_i32 s21, s20, 31
	s_delay_alu instid0(SALU_CYCLE_1) | instskip(NEXT) | instid1(SALU_CYCLE_1)
	s_lshl_b64 s[20:21], s[20:21], 2
	s_add_u32 s20, s4, s20
	s_addc_u32 s21, s17, s21
	;; [unrolled: 10-line block ×5, first 2 shown]
	s_clause 0x5
	s_load_b32 s29, s[8:9], 0x0
	s_load_b32 s30, s[12:13], 0x0
	;; [unrolled: 1-line block ×6, first 2 shown]
	s_mov_b32 s20, 0
	s_or_b32 s8, s16, 0xc0
	s_mov_b32 s21, s20
	s_mov_b32 s22, s20
	;; [unrolled: 1-line block ×7, first 2 shown]
	s_ashr_i32 s9, s8, 5
	v_mov_b32_e32 v117, s27
	s_cmp_lt_i32 s8, s18
	v_mov_b32_e32 v116, s26
	s_cselect_b32 s8, s9, s3
	v_mov_b32_e32 v115, s25
	s_ashr_i32 s9, s8, 31
	v_dual_mov_b32 v114, s24 :: v_dual_mov_b32 v113, s23
	v_dual_mov_b32 v112, s22 :: v_dual_mov_b32 v111, s21
	s_lshl_b64 s[8:9], s[8:9], 2
	s_waitcnt lgkmcnt(0)
	s_mul_hi_i32 s13, s29, s5
	s_add_u32 s8, s4, s8
	s_addc_u32 s9, s17, s9
	s_mul_i32 s12, s29, s5
	s_mul_hi_i32 s37, s38, s5
	v_mov_b32_e32 v110, s20
	s_mul_hi_i32 s21, s30, s5
	s_mul_i32 s20, s30, s5
	s_mul_hi_i32 s25, s33, s5
	s_mul_i32 s24, s33, s5
	;; [unrolled: 2-line block ×3, first 2 shown]
	s_waitcnt vmcnt(1)
	v_mad_i64_i32 v[3:4], null, v7, s5, 0
	s_waitcnt vmcnt(0)
	v_mad_i64_i32 v[5:6], null, v8, s5, 0
	s_delay_alu instid0(VALU_DEP_2) | instskip(NEXT) | instid1(VALU_DEP_2)
	v_lshlrev_b64 v[3:4], 1, v[3:4]
	v_lshlrev_b64 v[1:2], 1, v[5:6]
	s_delay_alu instid0(VALU_DEP_2) | instskip(NEXT) | instid1(VALU_DEP_3)
	v_add_co_u32 v3, vcc_lo, s15, v3
	v_add_co_ci_u32_e32 v4, vcc_lo, s28, v4, vcc_lo
	s_delay_alu instid0(VALU_DEP_3) | instskip(NEXT) | instid1(VALU_DEP_4)
	v_add_co_u32 v1, vcc_lo, s15, v1
	v_add_co_ci_u32_e32 v2, vcc_lo, s28, v2, vcc_lo
	s_delay_alu instid0(VALU_DEP_4) | instskip(NEXT) | instid1(VALU_DEP_4)
	v_add_co_u32 v41, vcc_lo, v3, v81
	v_add_co_ci_u32_e32 v42, vcc_lo, v4, v82, vcc_lo
	s_delay_alu instid0(VALU_DEP_4) | instskip(NEXT) | instid1(VALU_DEP_4)
	v_add_co_u32 v43, vcc_lo, v1, v81
	v_add_co_ci_u32_e32 v44, vcc_lo, v2, v82, vcc_lo
	s_clause 0xf
	global_load_b128 v[1:4], v[41:42], off
	global_load_b128 v[5:8], v[41:42], off offset:512
	global_load_b128 v[9:12], v[43:44], off offset:256
	;; [unrolled: 1-line block ×15, first 2 shown]
	v_add_nc_u32_e32 v41, -13, v73
	v_cmp_gt_u32_e32 vcc_lo, 13, v73
	s_or_b32 s15, s16, 0xe0
	s_delay_alu instid0(SALU_CYCLE_1) | instskip(SKIP_3) | instid1(SALU_CYCLE_1)
	s_ashr_i32 s22, s15, 5
	s_cmp_lt_i32 s15, s18
	v_cndmask_b32_e32 v41, v41, v73, vcc_lo
	s_cselect_b32 s22, s22, s3
	s_ashr_i32 s23, s22, 31
	s_delay_alu instid0(VALU_DEP_1)
	v_lshlrev_b32_e32 v57, 6, v41
	ds_load_b128 v[41:44], v57
	ds_load_b128 v[45:48], v57 offset:1024
	ds_load_b128 v[49:52], v57 offset:2048
	;; [unrolled: 1-line block ×7, first 2 shown]
	s_lshl_b64 s[22:23], s[22:23], 2
	s_delay_alu instid0(SALU_CYCLE_1) | instskip(SKIP_2) | instid1(SALU_CYCLE_1)
	s_add_u32 s22, s4, s22
	s_addc_u32 s23, s17, s23
	s_add_i32 s15, s16, 0x100
	s_ashr_i32 s28, s15, 5
	s_cmp_lt_i32 s15, s18
	s_load_b32 s15, s[8:9], 0x0
	s_cselect_b32 s28, s28, s3
	s_mul_hi_i32 s9, s36, s5
	s_ashr_i32 s29, s28, 31
	s_mul_i32 s8, s36, s5
	s_lshl_b64 s[28:29], s[28:29], 2
	s_mul_i32 s36, s38, s5
	s_add_u32 s28, s4, s28
	s_addc_u32 s29, s17, s29
	s_add_u32 s3, s10, s6
	s_clause 0x1
	s_load_b32 s4, s[22:23], 0x0
	s_load_b32 s17, s[28:29], 0x0
	s_addc_u32 s28, s11, s7
	s_lshl_b64 s[6:7], s[12:13], 1
	s_lshl_b64 s[10:11], s[20:21], 1
	;; [unrolled: 1-line block ×6, first 2 shown]
	s_waitcnt lgkmcnt(0)
	s_mul_hi_i32 s25, s15, s5
	s_mul_i32 s24, s15, s5
	s_waitcnt vmcnt(14)
	v_wmma_f32_16x16x16_bf16 v[134:141], v[1:8], v[41:48], v[110:117]
	s_waitcnt vmcnt(10)
	s_delay_alu instid0(VALU_DEP_1) | instskip(SKIP_1) | instid1(VALU_DEP_1)
	v_wmma_f32_16x16x16_bf16 v[134:141], v[17:24], v[49:56], v[134:141]
	s_waitcnt vmcnt(6)
	v_wmma_f32_16x16x16_bf16 v[134:141], v[33:40], v[118:125], v[134:141]
	s_waitcnt vmcnt(2)
	s_delay_alu instid0(VALU_DEP_1) | instskip(SKIP_1) | instid1(VALU_DEP_2)
	v_wmma_f32_16x16x16_bf16 v[134:141], v[94:101], v[126:133], v[134:141]
	v_lshlrev_b32_e32 v85, 6, v73
	v_mul_f32_e32 v100, s19, v141
	s_delay_alu instid0(VALU_DEP_2) | instskip(SKIP_2) | instid1(VALU_DEP_3)
	v_lshl_or_b32 v58, v74, 10, v85
	v_wmma_f32_16x16x16_bf16 v[110:117], v[9:16], v[41:48], v[110:117]
	v_mul_f32_e32 v99, s19, v135
	v_add_co_u32 v76, s3, s3, v58
	s_delay_alu instid0(VALU_DEP_1) | instskip(NEXT) | instid1(VALU_DEP_4)
	v_add_co_ci_u32_e64 v77, null, s28, 0, s3
	v_wmma_f32_16x16x16_bf16 v[110:117], v[25:32], v[49:56], v[110:117]
	s_delay_alu instid0(VALU_DEP_3) | instskip(NEXT) | instid1(VALU_DEP_3)
	v_add_co_u32 v57, vcc_lo, v76, s6
	v_add_co_ci_u32_e32 v58, vcc_lo, s7, v77, vcc_lo
	v_add_co_u32 v1, vcc_lo, v76, s10
	v_add_co_ci_u32_e32 v2, vcc_lo, s11, v77, vcc_lo
	;; [unrolled: 2-line block ×5, first 2 shown]
	s_clause 0x9
	global_load_b128 v[65:68], v[57:58], off
	global_load_b128 v[69:72], v[57:58], off offset:16
	global_load_b128 v[57:60], v[1:2], off
	global_load_b128 v[61:64], v[1:2], off offset:16
	;; [unrolled: 2-line block ×5, first 2 shown]
	v_add_co_u32 v5, vcc_lo, v76, s22
	s_lshl_b64 s[6:7], s[24:25], 1
	v_add_co_ci_u32_e32 v6, vcc_lo, s23, v77, vcc_lo
	s_mul_hi_i32 s9, s4, s5
	s_mul_i32 s8, s4, s5
	v_add_co_u32 v17, vcc_lo, v76, s6
	v_add_co_ci_u32_e32 v18, vcc_lo, s7, v77, vcc_lo
	s_lshl_b64 s[6:7], s[8:9], 1
	s_mul_hi_i32 s9, s17, s5
	s_mul_i32 s8, s17, s5
	v_add_co_u32 v19, vcc_lo, v76, s6
	s_lshl_b64 s[4:5], s[8:9], 1
	v_add_co_ci_u32_e32 v20, vcc_lo, s7, v77, vcc_lo
	v_add_co_u32 v21, vcc_lo, v76, s4
	v_add_co_ci_u32_e32 v22, vcc_lo, s5, v77, vcc_lo
	s_clause 0x7
	global_load_b128 v[1:4], v[5:6], off
	global_load_b128 v[5:8], v[5:6], off offset:16
	global_load_b128 v[33:36], v[17:18], off
	global_load_b128 v[37:40], v[17:18], off offset:16
	;; [unrolled: 2-line block ×4, first 2 shown]
	v_and_b32_e32 v76, 0xe0, v0
	v_mbcnt_lo_u32_b32 v77, -1, 0
	v_wmma_f32_16x16x16_bf16 v[110:117], v[86:93], v[118:125], v[110:117]
	s_waitcnt vmcnt(0)
	s_barrier
	v_add_nc_u32_e32 v76, s16, v76
	v_xor_b32_e32 v78, 16, v77
	v_wmma_f32_16x16x16_bf16 v[110:117], v[102:109], v[126:133], v[110:117]
	v_mul_f32_e32 v97, s19, v134
	buffer_gl0_inv
	v_or_b32_e32 v76, v76, v83
	v_cmp_gt_i32_e32 vcc_lo, 32, v78
	s_delay_alu instid0(VALU_DEP_2)
	v_or_b32_e32 v79, 4, v76
	v_cndmask_b32_e32 v77, v77, v78, vcc_lo
	v_or_b32_e32 v78, 2, v76
	v_or_b32_e32 v80, 6, v76
	v_cmp_gt_i32_e32 vcc_lo, s18, v76
	v_or_b32_e32 v86, 8, v76
	v_or_b32_e32 v87, 10, v76
	v_cmp_gt_i32_e64 s3, s18, v78
	v_or_b32_e32 v88, 12, v76
	v_or_b32_e32 v89, 14, v76
	;; [unrolled: 1-line block ×10, first 2 shown]
	v_cndmask_b32_e32 v76, 0xff7fffff, v97, vcc_lo
	v_cndmask_b32_e64 v78, 0xff7fffff, v99, s3
	v_mul_f32_e32 v99, s19, v137
	v_cmp_gt_i32_e64 s4, s18, v80
	v_mul_f32_e32 v80, s19, v136
	v_cmp_gt_i32_e64 s5, s18, v79
	v_max3_f32 v76, v76, 0xff7fffff, v78
	v_dual_mul_f32 v78, s19, v138 :: v_dual_mul_f32 v79, s19, v139
	v_cndmask_b32_e64 v99, 0xff7fffff, v99, s4
	s_delay_alu instid0(VALU_DEP_4)
	v_cndmask_b32_e64 v80, 0xff7fffff, v80, s5
	v_cmp_gt_i32_e64 s6, s18, v86
	v_cmp_gt_i32_e64 s7, s18, v87
	v_mul_f32_e32 v97, s19, v140
	v_cmp_gt_i32_e64 s8, s18, v89
	v_max3_f32 v76, v76, v80, v99
	v_cndmask_b32_e64 v78, 0xff7fffff, v78, s6
	v_cndmask_b32_e64 v79, 0xff7fffff, v79, s7
	v_cmp_gt_i32_e64 s9, s18, v88
	v_dual_mul_f32 v88, s19, v111 :: v_dual_mul_f32 v89, s19, v110
	v_cndmask_b32_e64 v100, 0xff7fffff, v100, s8
	s_delay_alu instid0(VALU_DEP_4) | instskip(NEXT) | instid1(VALU_DEP_4)
	v_max3_f32 v76, v76, v78, v79
	v_cndmask_b32_e64 v97, 0xff7fffff, v97, s9
	v_cmp_gt_i32_e64 s10, s18, v90
	v_cmp_gt_i32_e64 s11, s18, v91
	v_dual_mul_f32 v78, s19, v113 :: v_dual_mul_f32 v79, s19, v112
	s_delay_alu instid0(VALU_DEP_4) | instskip(NEXT) | instid1(VALU_DEP_4)
	v_max3_f32 v76, v76, v97, v100
	v_cndmask_b32_e64 v89, 0xff7fffff, v89, s10
	s_delay_alu instid0(VALU_DEP_4)
	v_cndmask_b32_e64 v88, 0xff7fffff, v88, s11
	v_cmp_gt_i32_e64 s12, s18, v92
	v_cmp_gt_i32_e64 s13, s18, v93
	v_mul_f32_e32 v87, s19, v115
	v_mul_f32_e32 v99, s19, v114
	v_max3_f32 v76, v76, v89, v88
	v_cndmask_b32_e64 v79, 0xff7fffff, v79, s12
	v_cndmask_b32_e64 v78, 0xff7fffff, v78, s13
	v_cmp_gt_i32_e64 s15, s18, v94
	v_cmp_gt_i32_e64 s16, s18, v95
	v_mul_f32_e32 v80, s19, v117
	v_mul_f32_e32 v86, s19, v116
	v_max3_f32 v76, v76, v79, v78
	v_cndmask_b32_e64 v88, 0xff7fffff, v99, s15
	v_cndmask_b32_e64 v87, 0xff7fffff, v87, s16
	v_cmp_gt_i32_e64 s17, s18, v96
	v_cmp_gt_i32_e64 s18, s18, v98
	v_lshlrev_b32_e32 v99, 2, v77
	s_delay_alu instid0(VALU_DEP_4) | instskip(NEXT) | instid1(VALU_DEP_4)
	v_max3_f32 v76, v76, v88, v87
	v_cndmask_b32_e64 v78, 0xff7fffff, v86, s17
	s_delay_alu instid0(VALU_DEP_4) | instskip(NEXT) | instid1(VALU_DEP_1)
	v_cndmask_b32_e64 v79, 0xff7fffff, v80, s18
	v_max3_f32 v76, v76, v78, v79
	ds_bpermute_b32 v77, v99, v76
	s_waitcnt lgkmcnt(0)
	v_max_f32_e32 v77, v77, v77
	s_delay_alu instid0(VALU_DEP_1) | instskip(NEXT) | instid1(VALU_DEP_1)
	v_max_f32_e32 v76, v76, v77
	v_fma_f32 v77, s19, v134, -v76
	v_fma_f32 v78, s19, v135, -v76
	;; [unrolled: 1-line block ×5, first 2 shown]
	s_delay_alu instid0(VALU_DEP_4) | instskip(SKIP_1) | instid1(VALU_DEP_4)
	v_dual_mul_f32 v77, 0x3fb8aa3b, v77 :: v_dual_mul_f32 v78, 0x3fb8aa3b, v78
	v_fma_f32 v88, s19, v114, -v76
	v_dual_mul_f32 v79, 0x3fb8aa3b, v79 :: v_dual_mul_f32 v80, 0x3fb8aa3b, v80
	s_delay_alu instid0(VALU_DEP_3) | instskip(NEXT) | instid1(VALU_DEP_3)
	v_exp_f32_e32 v77, v77
	v_exp_f32_e32 v78, v78
	s_delay_alu instid0(VALU_DEP_2) | instskip(NEXT) | instid1(VALU_DEP_2)
	v_mul_f32_e32 v88, 0x3fb8aa3b, v88
	v_exp_f32_e32 v79, v79
	v_mul_f32_e32 v86, 0x3fb8aa3b, v86
	v_exp_f32_e32 v80, v80
	v_fma_f32 v87, s19, v140, -v76
	v_fma_f32 v100, s19, v117, -v76
	;; [unrolled: 1-line block ×3, first 2 shown]
	v_exp_f32_e32 v86, v86
	v_cndmask_b32_e32 v92, 0, v77, vcc_lo
	v_fma_f32 v77, s19, v139, -v76
	v_cndmask_b32_e64 v91, 0, v78, s3
	v_cndmask_b32_e64 v93, 0, v79, s5
	v_fma_f32 v79, s19, v141, -v76
	s_delay_alu instid0(VALU_DEP_4) | instskip(SKIP_2) | instid1(TRANS32_DEP_1)
	v_dual_add_f32 v78, 0, v92 :: v_dual_mul_f32 v77, 0x3fb8aa3b, v77
	v_cndmask_b32_e64 v95, 0, v80, s4
	v_mul_f32_e32 v87, 0x3fb8aa3b, v87
	v_cndmask_b32_e64 v96, 0, v86, s6
	s_delay_alu instid0(VALU_DEP_4)
	v_add_f32_e32 v78, v78, v91
	v_exp_f32_e32 v77, v77
	v_fma_f32 v86, s19, v111, -v76
	v_fma_f32 v80, s19, v110, -v76
	v_exp_f32_e32 v87, v87
	v_add_f32_e32 v78, v78, v93
	v_mul_f32_e32 v100, 0x3fb8aa3b, v100
	v_mul_f32_e32 v86, 0x3fb8aa3b, v86
	;; [unrolled: 1-line block ×3, first 2 shown]
	v_exp_f32_e32 v88, v88
	v_add_f32_e32 v78, v78, v95
	v_cndmask_b32_e64 v97, 0, v77, s7
	v_exp_f32_e32 v86, v86
	v_exp_f32_e32 v80, v80
	v_cndmask_b32_e64 v94, 0, v87, s9
	v_add_f32_e32 v77, v78, v96
	v_fma_f32 v78, s19, v112, -v76
	v_fma_f32 v87, s19, v113, -v76
	v_exp_f32_e32 v100, v100
	v_cmp_gt_u32_e64 s3, 16, v75
	s_delay_alu instid0(VALU_DEP_3) | instskip(NEXT) | instid1(VALU_DEP_3)
	v_dual_add_f32 v77, v77, v97 :: v_dual_mul_f32 v78, 0x3fb8aa3b, v78
	v_mul_f32_e32 v87, 0x3fb8aa3b, v87
	s_delay_alu instid0(VALU_DEP_2) | instskip(SKIP_2) | instid1(VALU_DEP_3)
	v_exp_f32_e32 v89, v78
	v_cndmask_b32_e64 v78, 0, v86, s11
	v_mul_f32_e32 v79, 0x3fb8aa3b, v79
	v_exp_f32_e32 v87, v87
	s_delay_alu instid0(VALU_DEP_1)
	v_exp_f32_e32 v79, v79
	s_waitcnt_depctr 0xfff
	v_cndmask_b32_e64 v98, 0, v79, s8
	v_add_f32_e32 v79, v77, v94
	v_cndmask_b32_e64 v77, 0, v80, s10
	v_fma_f32 v80, s19, v115, -v76
	s_delay_alu instid0(VALU_DEP_1) | instskip(NEXT) | instid1(VALU_DEP_1)
	v_dual_add_f32 v79, v79, v98 :: v_dual_mul_f32 v80, 0x3fb8aa3b, v80
	v_add_f32_e32 v86, v79, v77
	v_cndmask_b32_e64 v79, 0, v89, s12
	v_mul_f32_e32 v89, 0x3fb8aa3b, v90
	s_delay_alu instid0(VALU_DEP_4) | instskip(SKIP_2) | instid1(VALU_DEP_3)
	v_exp_f32_e32 v90, v80
	v_cndmask_b32_e64 v80, 0, v87, s13
	v_add_f32_e32 v86, v86, v78
	v_exp_f32_e32 v89, v89
	s_delay_alu instid0(VALU_DEP_1) | instskip(SKIP_1) | instid1(VALU_DEP_2)
	v_add_f32_e32 v87, v86, v79
	v_cndmask_b32_e64 v86, 0, v88, s15
	v_add_f32_e32 v88, v87, v80
	s_delay_alu instid0(TRANS32_DEP_2) | instskip(NEXT) | instid1(VALU_DEP_2)
	v_cndmask_b32_e64 v87, 0, v90, s16
	v_add_f32_e32 v90, v88, v86
	s_waitcnt_depctr 0xfff
	v_cndmask_b32_e64 v88, 0, v89, s17
	v_add_f32_e32 v89, v90, v87
	s_delay_alu instid0(VALU_DEP_1) | instskip(SKIP_1) | instid1(VALU_DEP_1)
	v_add_f32_e32 v90, v89, v88
	v_cndmask_b32_e64 v89, 0, v100, s18
	v_add_f32_e32 v90, v90, v89
	ds_bpermute_b32 v99, v99, v90
	s_and_saveexec_b32 s4, s3
	s_cbranch_execz .LBB530_14
; %bb.13:
	v_mul_u32_u24_e32 v75, 0x44, v74
	s_waitcnt lgkmcnt(0)
	v_add_f32_e32 v90, v90, v99
	s_delay_alu instid0(VALU_DEP_2) | instskip(NEXT) | instid1(VALU_DEP_1)
	v_lshl_add_u32 v75, v73, 2, v75
	v_add_nc_u32_e32 v75, 0x4000, v75
	ds_store_2addr_b32 v75, v76, v90 offset1:136
.LBB530_14:
	s_or_b32 exec_lo, exec_lo, s4
	v_lshlrev_b32_e32 v75, 2, v73
	s_waitcnt lgkmcnt(0)
	s_barrier
	buffer_gl0_inv
	v_cmp_eq_u32_e64 s4, 1, v74
	v_add_nc_u32_e32 v90, 0x4000, v75
	ds_load_2addr_b32 v[99:100], v90 offset1:17
	ds_load_2addr_b32 v[101:102], v90 offset0:34 offset1:51
	ds_load_2addr_b32 v[103:104], v90 offset0:68 offset1:85
	;; [unrolled: 1-line block ×4, first 2 shown]
	s_waitcnt lgkmcnt(4)
	v_max3_f32 v75, v99, 0xff7fffff, v100
	s_waitcnt lgkmcnt(3)
	s_delay_alu instid0(VALU_DEP_1) | instskip(SKIP_1) | instid1(VALU_DEP_1)
	v_max3_f32 v75, v75, v101, v102
	s_waitcnt lgkmcnt(2)
	v_max3_f32 v75, v75, v103, v104
	s_waitcnt lgkmcnt(1)
	s_delay_alu instid0(VALU_DEP_1) | instskip(NEXT) | instid1(VALU_DEP_1)
	v_max3_f32 v75, v75, v105, v106
	v_sub_f32_e32 v109, v100, v75
	v_sub_f32_e32 v76, v99, v75
	ds_load_2addr_b32 v[99:100], v90 offset0:170 offset1:187
	v_sub_f32_e32 v101, v101, v75
	v_dual_mul_f32 v109, 0x3fb8aa3b, v109 :: v_dual_mul_f32 v76, 0x3fb8aa3b, v76
	s_delay_alu instid0(VALU_DEP_2) | instskip(NEXT) | instid1(VALU_DEP_2)
	v_mul_f32_e32 v111, 0x3fb8aa3b, v101
	v_exp_f32_e32 v109, v109
	s_delay_alu instid0(VALU_DEP_2)
	v_exp_f32_e32 v110, v76
	v_sub_f32_e32 v76, v102, v75
	ds_load_2addr_b32 v[101:102], v90 offset0:204 offset1:221
	v_exp_f32_e32 v111, v111
	v_mul_f32_e32 v112, 0x3fb8aa3b, v76
	s_waitcnt lgkmcnt(2)
	v_fma_f32 v76, v110, v107, 0
	v_sub_f32_e32 v103, v103, v75
	s_delay_alu instid0(VALU_DEP_3) | instskip(NEXT) | instid1(VALU_DEP_2)
	v_exp_f32_e32 v112, v112
	v_dual_sub_f32 v107, v104, v75 :: v_dual_fmac_f32 v76, v109, v108
	s_waitcnt lgkmcnt(1)
	s_waitcnt_depctr 0xfff
	v_fmac_f32_e32 v76, v111, v99
	v_mul_f32_e32 v113, 0x3fb8aa3b, v103
	ds_load_2addr_b32 v[103:104], v90 offset0:238 offset1:255
	v_sub_f32_e32 v90, v105, v75
	v_dual_sub_f32 v99, v106, v75 :: v_dual_fmac_f32 v76, v112, v100
	v_mul_f32_e32 v105, 0x3fb8aa3b, v107
	v_exp_f32_e32 v107, v113
	s_delay_alu instid0(VALU_DEP_2)
	v_dual_mul_f32 v90, 0x3fb8aa3b, v90 :: v_dual_mul_f32 v99, 0x3fb8aa3b, v99
	s_waitcnt lgkmcnt(0)
	s_barrier
	buffer_gl0_inv
	v_exp_f32_e32 v90, v90
	v_exp_f32_e32 v99, v99
	v_fmac_f32_e32 v76, v107, v101
	v_exp_f32_e32 v105, v105
	s_waitcnt_depctr 0xfff
	v_fmac_f32_e32 v76, v105, v102
	s_delay_alu instid0(VALU_DEP_1) | instskip(NEXT) | instid1(VALU_DEP_1)
	v_fmac_f32_e32 v76, v90, v103
	v_fmac_f32_e32 v76, v99, v104
	s_delay_alu instid0(VALU_DEP_1) | instskip(NEXT) | instid1(VALU_DEP_1)
	v_add_f32_e32 v100, 0x358637bd, v76
	v_div_scale_f32 v101, null, v100, v100, 1.0
	v_div_scale_f32 v104, vcc_lo, 1.0, v100, 1.0
	s_delay_alu instid0(VALU_DEP_2) | instskip(SKIP_2) | instid1(VALU_DEP_1)
	v_rcp_f32_e32 v102, v101
	s_waitcnt_depctr 0xfff
	v_fma_f32 v103, -v101, v102, 1.0
	v_fmac_f32_e32 v102, v103, v102
	v_cndmask_b32_e64 v103, v110, v109, s4
	v_cmp_eq_u32_e64 s4, 2, v74
	s_delay_alu instid0(VALU_DEP_3) | instskip(NEXT) | instid1(VALU_DEP_2)
	v_mul_f32_e32 v106, v104, v102
	v_cndmask_b32_e64 v103, v103, v111, s4
	v_cmp_eq_u32_e64 s4, 3, v74
	s_delay_alu instid0(VALU_DEP_3) | instskip(NEXT) | instid1(VALU_DEP_2)
	v_fma_f32 v108, -v101, v106, v104
	v_cndmask_b32_e64 v103, v103, v112, s4
	v_cmp_eq_u32_e64 s4, 4, v74
	s_delay_alu instid0(VALU_DEP_3) | instskip(NEXT) | instid1(VALU_DEP_2)
	v_fmac_f32_e32 v106, v108, v102
	v_cndmask_b32_e64 v103, v103, v107, s4
	s_delay_alu instid0(VALU_DEP_2) | instskip(SKIP_1) | instid1(VALU_DEP_2)
	v_fma_f32 v101, -v101, v106, v104
	v_cmp_eq_u32_e64 s4, 5, v74
	v_div_fmas_f32 v101, v101, v102, v106
	s_delay_alu instid0(VALU_DEP_2) | instskip(SKIP_2) | instid1(VALU_DEP_3)
	v_cndmask_b32_e64 v103, v103, v105, s4
	v_cmp_eq_u32_e32 vcc_lo, 6, v74
	s_mov_b32 s4, exec_lo
	v_div_fixup_f32 v100, v101, v100, 1.0
	s_delay_alu instid0(VALU_DEP_3) | instskip(SKIP_1) | instid1(VALU_DEP_2)
	v_cndmask_b32_e32 v90, v103, v90, vcc_lo
	v_cmp_eq_u32_e32 vcc_lo, 7, v74
	v_cndmask_b32_e32 v90, v90, v99, vcc_lo
	s_delay_alu instid0(VALU_DEP_1) | instskip(NEXT) | instid1(VALU_DEP_1)
	v_mul_f32_e32 v90, v90, v100
	v_mul_f32_e32 v100, v90, v92
	;; [unrolled: 1-line block ×6, first 2 shown]
	v_and_b32_e32 v101, 0x7f800000, v100
	v_mul_f32_e32 v99, v90, v95
	v_mul_f32_e32 v95, v90, v91
	;; [unrolled: 1-line block ×3, first 2 shown]
                                        ; implicit-def: $vgpr91
	s_delay_alu instid0(VALU_DEP_4)
	v_cmpx_ne_u32_e32 0x7f800000, v101
	s_xor_b32 s4, exec_lo, s4
; %bb.15:
	v_bfe_u32 v91, v100, 16, 1
	s_delay_alu instid0(VALU_DEP_1)
	v_add3_u32 v91, v100, v91, 0x7fff
                                        ; implicit-def: $vgpr100
; %bb.16:
	s_and_not1_saveexec_b32 s4, s4
; %bb.17:
	v_and_b32_e32 v91, 0xffff, v100
	v_or_b32_e32 v93, 0x10000, v100
	s_delay_alu instid0(VALU_DEP_2) | instskip(NEXT) | instid1(VALU_DEP_2)
	v_cmp_eq_u32_e32 vcc_lo, 0, v91
	v_cndmask_b32_e32 v91, v93, v100, vcc_lo
; %bb.18:
	s_or_b32 exec_lo, exec_lo, s4
	v_and_b32_e32 v93, 0x7f800000, v95
	s_delay_alu instid0(VALU_DEP_1) | instskip(SKIP_1) | instid1(SALU_CYCLE_1)
	v_cmp_ne_u32_e32 vcc_lo, 0x7f800000, v93
                                        ; implicit-def: $vgpr93
	s_and_saveexec_b32 s4, vcc_lo
	s_xor_b32 s4, exec_lo, s4
; %bb.19:
	v_bfe_u32 v93, v95, 16, 1
	s_delay_alu instid0(VALU_DEP_1)
	v_add3_u32 v93, v95, v93, 0x7fff
                                        ; implicit-def: $vgpr95
; %bb.20:
	s_and_not1_saveexec_b32 s4, s4
; %bb.21:
	v_and_b32_e32 v93, 0xffff, v95
	v_or_b32_e32 v100, 0x10000, v95
	s_delay_alu instid0(VALU_DEP_2) | instskip(NEXT) | instid1(VALU_DEP_2)
	v_cmp_eq_u32_e32 vcc_lo, 0, v93
	v_cndmask_b32_e32 v93, v100, v95, vcc_lo
; %bb.22:
	s_or_b32 exec_lo, exec_lo, s4
	v_and_b32_e32 v95, 0x7f800000, v96
	s_delay_alu instid0(VALU_DEP_1) | instskip(SKIP_1) | instid1(SALU_CYCLE_1)
	v_cmp_ne_u32_e32 vcc_lo, 0x7f800000, v95
                                        ; implicit-def: $vgpr95
	s_and_saveexec_b32 s4, vcc_lo
	s_xor_b32 s4, exec_lo, s4
; %bb.23:
	v_bfe_u32 v95, v96, 16, 1
	s_delay_alu instid0(VALU_DEP_1)
	v_add3_u32 v95, v96, v95, 0x7fff
                                        ; implicit-def: $vgpr96
; %bb.24:
	s_and_not1_saveexec_b32 s4, s4
; %bb.25:
	v_and_b32_e32 v95, 0xffff, v96
	v_or_b32_e32 v100, 0x10000, v96
	s_delay_alu instid0(VALU_DEP_2) | instskip(NEXT) | instid1(VALU_DEP_2)
	v_cmp_eq_u32_e32 vcc_lo, 0, v95
	v_cndmask_b32_e32 v95, v100, v96, vcc_lo
; %bb.26:
	s_or_b32 exec_lo, exec_lo, s4
	v_and_b32_e32 v96, 0x7f800000, v99
	s_delay_alu instid0(VALU_DEP_1) | instskip(SKIP_1) | instid1(SALU_CYCLE_1)
	v_cmp_ne_u32_e32 vcc_lo, 0x7f800000, v96
                                        ; implicit-def: $vgpr96
	s_and_saveexec_b32 s4, vcc_lo
	s_xor_b32 s4, exec_lo, s4
; %bb.27:
	v_bfe_u32 v96, v99, 16, 1
	s_delay_alu instid0(VALU_DEP_1)
	v_add3_u32 v96, v99, v96, 0x7fff
                                        ; implicit-def: $vgpr99
; %bb.28:
	s_and_not1_saveexec_b32 s4, s4
; %bb.29:
	v_and_b32_e32 v96, 0xffff, v99
	v_or_b32_e32 v100, 0x10000, v99
	s_delay_alu instid0(VALU_DEP_2) | instskip(NEXT) | instid1(VALU_DEP_2)
	v_cmp_eq_u32_e32 vcc_lo, 0, v96
	v_cndmask_b32_e32 v96, v100, v99, vcc_lo
; %bb.30:
	s_or_b32 exec_lo, exec_lo, s4
	v_and_b32_e32 v99, 0x7f800000, v98
	s_delay_alu instid0(VALU_DEP_1) | instskip(SKIP_1) | instid1(SALU_CYCLE_1)
	v_cmp_ne_u32_e32 vcc_lo, 0x7f800000, v99
                                        ; implicit-def: $vgpr99
	s_and_saveexec_b32 s4, vcc_lo
	s_xor_b32 s4, exec_lo, s4
; %bb.31:
	v_bfe_u32 v99, v98, 16, 1
	s_delay_alu instid0(VALU_DEP_1)
	v_add3_u32 v99, v98, v99, 0x7fff
                                        ; implicit-def: $vgpr98
; %bb.32:
	s_and_not1_saveexec_b32 s4, s4
; %bb.33:
	v_and_b32_e32 v99, 0xffff, v98
	v_or_b32_e32 v100, 0x10000, v98
	s_delay_alu instid0(VALU_DEP_2) | instskip(NEXT) | instid1(VALU_DEP_2)
	v_cmp_eq_u32_e32 vcc_lo, 0, v99
	v_cndmask_b32_e32 v99, v100, v98, vcc_lo
; %bb.34:
	s_or_b32 exec_lo, exec_lo, s4
	v_and_b32_e32 v98, 0x7f800000, v97
	s_delay_alu instid0(VALU_DEP_1) | instskip(SKIP_1) | instid1(SALU_CYCLE_1)
	v_cmp_ne_u32_e32 vcc_lo, 0x7f800000, v98
                                        ; implicit-def: $vgpr98
	s_and_saveexec_b32 s4, vcc_lo
	s_xor_b32 s4, exec_lo, s4
; %bb.35:
	v_bfe_u32 v98, v97, 16, 1
	s_delay_alu instid0(VALU_DEP_1)
	v_add3_u32 v98, v97, v98, 0x7fff
                                        ; implicit-def: $vgpr97
; %bb.36:
	s_and_not1_saveexec_b32 s4, s4
; %bb.37:
	v_and_b32_e32 v98, 0xffff, v97
	v_or_b32_e32 v100, 0x10000, v97
	s_delay_alu instid0(VALU_DEP_2) | instskip(NEXT) | instid1(VALU_DEP_2)
	v_cmp_eq_u32_e32 vcc_lo, 0, v98
	v_cndmask_b32_e32 v98, v100, v97, vcc_lo
; %bb.38:
	s_or_b32 exec_lo, exec_lo, s4
	v_and_b32_e32 v97, 0x7f800000, v94
	s_delay_alu instid0(VALU_DEP_1) | instskip(SKIP_1) | instid1(SALU_CYCLE_1)
	v_cmp_ne_u32_e32 vcc_lo, 0x7f800000, v97
                                        ; implicit-def: $vgpr97
	s_and_saveexec_b32 s4, vcc_lo
	s_xor_b32 s4, exec_lo, s4
; %bb.39:
	v_bfe_u32 v97, v94, 16, 1
	s_delay_alu instid0(VALU_DEP_1)
	v_add3_u32 v97, v94, v97, 0x7fff
                                        ; implicit-def: $vgpr94
; %bb.40:
	s_and_not1_saveexec_b32 s4, s4
; %bb.41:
	v_and_b32_e32 v97, 0xffff, v94
	v_or_b32_e32 v100, 0x10000, v94
	s_delay_alu instid0(VALU_DEP_2) | instskip(NEXT) | instid1(VALU_DEP_2)
	v_cmp_eq_u32_e32 vcc_lo, 0, v97
	v_cndmask_b32_e32 v97, v100, v94, vcc_lo
; %bb.42:
	s_or_b32 exec_lo, exec_lo, s4
	v_and_b32_e32 v94, 0x7f800000, v92
	s_delay_alu instid0(VALU_DEP_1) | instskip(SKIP_1) | instid1(SALU_CYCLE_1)
	v_cmp_ne_u32_e32 vcc_lo, 0x7f800000, v94
                                        ; implicit-def: $vgpr94
	s_and_saveexec_b32 s4, vcc_lo
	s_xor_b32 s4, exec_lo, s4
; %bb.43:
	v_bfe_u32 v94, v92, 16, 1
	s_delay_alu instid0(VALU_DEP_1)
	v_add3_u32 v94, v92, v94, 0x7fff
                                        ; implicit-def: $vgpr92
; %bb.44:
	s_and_not1_saveexec_b32 s4, s4
; %bb.45:
	v_and_b32_e32 v94, 0xffff, v92
	v_or_b32_e32 v100, 0x10000, v92
	s_delay_alu instid0(VALU_DEP_2) | instskip(NEXT) | instid1(VALU_DEP_2)
	v_cmp_eq_u32_e32 vcc_lo, 0, v94
	v_cndmask_b32_e32 v94, v100, v92, vcc_lo
; %bb.46:
	s_or_b32 exec_lo, exec_lo, s4
	s_load_b64 s[36:37], s[0:1], 0x94
	v_lshlrev_b32_e32 v92, 4, v83
	s_delay_alu instid0(VALU_DEP_2)
	v_perm_b32 v100, v94, v97, 0x7060302
	v_dual_mul_f32 v89, v90, v89 :: v_dual_lshlrev_b32 v94, 11, v74
	v_perm_b32 v97, v93, v91, 0x7060302
	v_mul_f32_e32 v93, v90, v77
	v_perm_b32 v99, v98, v99, 0x7060302
	v_perm_b32 v98, v96, v95, 0x7060302
	v_or3_b32 v77, v92, v94, v85
	v_mul_f32_e32 v88, v90, v88
	v_dual_mul_f32 v87, v90, v87 :: v_dual_and_b32 v94, 0x7f800000, v93
	v_mul_f32_e32 v86, v90, v86
	v_mul_f32_e32 v91, v90, v80
	;; [unrolled: 1-line block ×4, first 2 shown]
	s_mov_b32 s4, exec_lo
	ds_store_b128 v77, v[97:100]
                                        ; implicit-def: $vgpr78
	v_cmpx_ne_u32_e32 0x7f800000, v94
	s_xor_b32 s4, exec_lo, s4
; %bb.47:
	v_bfe_u32 v78, v93, 16, 1
	s_delay_alu instid0(VALU_DEP_1)
	v_add3_u32 v78, v93, v78, 0x7fff
                                        ; implicit-def: $vgpr93
; %bb.48:
	s_and_not1_saveexec_b32 s4, s4
; %bb.49:
	v_and_b32_e32 v78, 0xffff, v93
	v_or_b32_e32 v79, 0x10000, v93
	s_delay_alu instid0(VALU_DEP_2) | instskip(NEXT) | instid1(VALU_DEP_2)
	v_cmp_eq_u32_e32 vcc_lo, 0, v78
	v_cndmask_b32_e32 v78, v79, v93, vcc_lo
; %bb.50:
	s_or_b32 exec_lo, exec_lo, s4
	v_and_b32_e32 v79, 0x7f800000, v80
	s_delay_alu instid0(VALU_DEP_1) | instskip(SKIP_1) | instid1(SALU_CYCLE_1)
	v_cmp_ne_u32_e32 vcc_lo, 0x7f800000, v79
                                        ; implicit-def: $vgpr79
	s_and_saveexec_b32 s4, vcc_lo
	s_xor_b32 s4, exec_lo, s4
; %bb.51:
	v_bfe_u32 v79, v80, 16, 1
	s_delay_alu instid0(VALU_DEP_1)
	v_add3_u32 v79, v80, v79, 0x7fff
                                        ; implicit-def: $vgpr80
; %bb.52:
	s_and_not1_saveexec_b32 s4, s4
; %bb.53:
	v_and_b32_e32 v79, 0xffff, v80
	v_or_b32_e32 v90, 0x10000, v80
	s_delay_alu instid0(VALU_DEP_2) | instskip(NEXT) | instid1(VALU_DEP_2)
	v_cmp_eq_u32_e32 vcc_lo, 0, v79
	v_cndmask_b32_e32 v79, v90, v80, vcc_lo
; %bb.54:
	s_or_b32 exec_lo, exec_lo, s4
	v_and_b32_e32 v80, 0x7f800000, v92
	s_delay_alu instid0(VALU_DEP_1) | instskip(SKIP_1) | instid1(SALU_CYCLE_1)
	v_cmp_ne_u32_e32 vcc_lo, 0x7f800000, v80
                                        ; implicit-def: $vgpr80
	s_and_saveexec_b32 s4, vcc_lo
	s_xor_b32 s4, exec_lo, s4
; %bb.55:
	v_bfe_u32 v80, v92, 16, 1
	s_delay_alu instid0(VALU_DEP_1)
	v_add3_u32 v80, v92, v80, 0x7fff
                                        ; implicit-def: $vgpr92
; %bb.56:
	s_and_not1_saveexec_b32 s4, s4
; %bb.57:
	v_and_b32_e32 v80, 0xffff, v92
	v_or_b32_e32 v90, 0x10000, v92
	s_delay_alu instid0(VALU_DEP_2) | instskip(NEXT) | instid1(VALU_DEP_2)
	v_cmp_eq_u32_e32 vcc_lo, 0, v80
	v_cndmask_b32_e32 v80, v90, v92, vcc_lo
; %bb.58:
	s_or_b32 exec_lo, exec_lo, s4
	v_and_b32_e32 v90, 0x7f800000, v91
	s_delay_alu instid0(VALU_DEP_1) | instskip(SKIP_1) | instid1(SALU_CYCLE_1)
	v_cmp_ne_u32_e32 vcc_lo, 0x7f800000, v90
                                        ; implicit-def: $vgpr90
	s_and_saveexec_b32 s4, vcc_lo
	s_xor_b32 s4, exec_lo, s4
; %bb.59:
	v_bfe_u32 v90, v91, 16, 1
	s_delay_alu instid0(VALU_DEP_1)
	v_add3_u32 v90, v91, v90, 0x7fff
                                        ; implicit-def: $vgpr91
; %bb.60:
	s_and_not1_saveexec_b32 s4, s4
; %bb.61:
	v_and_b32_e32 v90, 0xffff, v91
	v_or_b32_e32 v92, 0x10000, v91
	s_delay_alu instid0(VALU_DEP_2) | instskip(NEXT) | instid1(VALU_DEP_2)
	v_cmp_eq_u32_e32 vcc_lo, 0, v90
	v_cndmask_b32_e32 v90, v92, v91, vcc_lo
; %bb.62:
	s_or_b32 exec_lo, exec_lo, s4
	v_and_b32_e32 v91, 0x7f800000, v86
	s_delay_alu instid0(VALU_DEP_1) | instskip(SKIP_1) | instid1(SALU_CYCLE_1)
	v_cmp_ne_u32_e32 vcc_lo, 0x7f800000, v91
                                        ; implicit-def: $vgpr91
	s_and_saveexec_b32 s4, vcc_lo
	s_xor_b32 s4, exec_lo, s4
; %bb.63:
	v_bfe_u32 v91, v86, 16, 1
	s_delay_alu instid0(VALU_DEP_1)
	v_add3_u32 v91, v86, v91, 0x7fff
                                        ; implicit-def: $vgpr86
; %bb.64:
	s_and_not1_saveexec_b32 s4, s4
; %bb.65:
	v_and_b32_e32 v91, 0xffff, v86
	v_or_b32_e32 v92, 0x10000, v86
	s_delay_alu instid0(VALU_DEP_2) | instskip(NEXT) | instid1(VALU_DEP_2)
	v_cmp_eq_u32_e32 vcc_lo, 0, v91
	v_cndmask_b32_e32 v91, v92, v86, vcc_lo
; %bb.66:
	s_or_b32 exec_lo, exec_lo, s4
	v_and_b32_e32 v86, 0x7f800000, v87
	s_delay_alu instid0(VALU_DEP_1) | instskip(SKIP_1) | instid1(SALU_CYCLE_1)
	v_cmp_ne_u32_e32 vcc_lo, 0x7f800000, v86
                                        ; implicit-def: $vgpr86
	s_and_saveexec_b32 s4, vcc_lo
	s_xor_b32 s4, exec_lo, s4
; %bb.67:
	v_bfe_u32 v86, v87, 16, 1
	s_delay_alu instid0(VALU_DEP_1)
	v_add3_u32 v86, v87, v86, 0x7fff
                                        ; implicit-def: $vgpr87
; %bb.68:
	s_and_not1_saveexec_b32 s4, s4
; %bb.69:
	v_and_b32_e32 v86, 0xffff, v87
	v_or_b32_e32 v92, 0x10000, v87
	s_delay_alu instid0(VALU_DEP_2) | instskip(NEXT) | instid1(VALU_DEP_2)
	v_cmp_eq_u32_e32 vcc_lo, 0, v86
	v_cndmask_b32_e32 v86, v92, v87, vcc_lo
; %bb.70:
	s_or_b32 exec_lo, exec_lo, s4
	v_and_b32_e32 v87, 0x7f800000, v88
	s_delay_alu instid0(VALU_DEP_1) | instskip(SKIP_1) | instid1(SALU_CYCLE_1)
	v_cmp_ne_u32_e32 vcc_lo, 0x7f800000, v87
                                        ; implicit-def: $vgpr87
	s_and_saveexec_b32 s4, vcc_lo
	s_xor_b32 s4, exec_lo, s4
; %bb.71:
	v_bfe_u32 v87, v88, 16, 1
	s_delay_alu instid0(VALU_DEP_1)
	v_add3_u32 v87, v88, v87, 0x7fff
                                        ; implicit-def: $vgpr88
; %bb.72:
	s_and_not1_saveexec_b32 s4, s4
; %bb.73:
	v_and_b32_e32 v87, 0xffff, v88
	v_or_b32_e32 v92, 0x10000, v88
	s_delay_alu instid0(VALU_DEP_2) | instskip(NEXT) | instid1(VALU_DEP_2)
	v_cmp_eq_u32_e32 vcc_lo, 0, v87
	v_cndmask_b32_e32 v87, v92, v88, vcc_lo
; %bb.74:
	s_or_b32 exec_lo, exec_lo, s4
	v_and_b32_e32 v88, 0x7f800000, v89
	s_delay_alu instid0(VALU_DEP_1) | instskip(SKIP_1) | instid1(SALU_CYCLE_1)
	v_cmp_ne_u32_e32 vcc_lo, 0x7f800000, v88
                                        ; implicit-def: $vgpr88
	s_and_saveexec_b32 s4, vcc_lo
	s_xor_b32 s4, exec_lo, s4
; %bb.75:
	v_bfe_u32 v88, v89, 16, 1
	s_delay_alu instid0(VALU_DEP_1)
	v_add3_u32 v88, v89, v88, 0x7fff
                                        ; implicit-def: $vgpr89
; %bb.76:
	s_and_not1_saveexec_b32 s4, s4
; %bb.77:
	v_and_b32_e32 v88, 0xffff, v89
	v_or_b32_e32 v92, 0x10000, v89
	s_delay_alu instid0(VALU_DEP_2) | instskip(NEXT) | instid1(VALU_DEP_2)
	v_cmp_eq_u32_e32 vcc_lo, 0, v88
	v_cndmask_b32_e32 v88, v92, v89, vcc_lo
; %bb.78:
	s_or_b32 exec_lo, exec_lo, s4
	s_delay_alu instid0(VALU_DEP_1)
	v_perm_b32 v89, v88, v87, 0x7060302
	v_perm_b32 v88, v86, v91, 0x7060302
	v_perm_b32 v87, v90, v80, 0x7060302
	v_perm_b32 v86, v79, v78, 0x7060302
	v_lshl_or_b32 v90, v74, 11, v85
	ds_store_b128 v77, v[86:89] offset:1024
	s_waitcnt lgkmcnt(0)
	s_barrier
	buffer_gl0_inv
	ds_load_b128 v[91:94], v90
	ds_load_b128 v[95:98], v90 offset:16
	v_lshlrev_b32_e32 v87, 2, v83
	s_delay_alu instid0(VALU_DEP_1)
	v_or_b32_e32 v88, 1, v87
	v_cmp_eq_u32_e32 vcc_lo, 1, v87
	v_cmp_eq_u32_e64 s5, 2, v87
	v_cmp_eq_u32_e64 s8, 3, v87
	;; [unrolled: 1-line block ×6, first 2 shown]
	v_or_b32_e32 v86, 2, v87
	v_cmp_eq_u32_e64 s11, 5, v87
	v_cmp_eq_u32_e64 s12, 4, v88
	;; [unrolled: 1-line block ×4, first 2 shown]
	s_waitcnt lgkmcnt(1)
	v_lshrrev_b32_e32 v74, 16, v91
	s_waitcnt lgkmcnt(0)
	v_lshrrev_b32_e32 v103, 16, v95
	v_lshrrev_b32_e32 v80, 16, v94
	;; [unrolled: 1-line block ×4, first 2 shown]
	v_cndmask_b32_e32 v89, v91, v74, vcc_lo
	v_cndmask_b32_e32 v99, v95, v103, vcc_lo
	v_cndmask_b32_e64 v100, v91, v74, s4
	v_lshrrev_b32_e32 v79, 16, v93
	v_lshrrev_b32_e32 v108, 16, v97
	v_cndmask_b32_e64 v89, v89, v92, s5
	v_cndmask_b32_e64 v99, v99, v96, s5
	;; [unrolled: 1-line block ×4, first 2 shown]
	v_cmp_eq_u32_e64 s6, 1, v86
	v_cndmask_b32_e64 v89, v89, v78, s8
	v_cndmask_b32_e64 v99, v99, v107, s8
	;; [unrolled: 1-line block ×4, first 2 shown]
	v_lshrrev_b32_e32 v109, 16, v98
	v_cndmask_b32_e64 v89, v89, v93, s10
	v_cndmask_b32_e64 v99, v99, v97, s10
	;; [unrolled: 1-line block ×8, first 2 shown]
	v_cmp_eq_u32_e64 s16, 7, v87
	v_cmp_eq_u32_e64 s17, 6, v88
	v_cndmask_b32_e64 v89, v89, v94, s13
	v_cndmask_b32_e64 v99, v99, v98, s13
	v_cmp_eq_u32_e64 s18, 2, v86
	v_cndmask_b32_e64 v101, v101, v97, s12
	v_cndmask_b32_e64 v100, v100, v94, s17
	;; [unrolled: 1-line block ×6, first 2 shown]
	v_cmp_eq_u32_e64 s19, 7, v88
	v_cmp_eq_u32_e64 s20, 3, v86
	;; [unrolled: 1-line block ×4, first 2 shown]
	v_cndmask_b32_e64 v99, v99, v96, s18
	v_cndmask_b32_e64 v112, v100, v80, s19
	;; [unrolled: 1-line block ×4, first 2 shown]
	v_or_b32_e32 v89, 3, v87
	v_cndmask_b32_e64 v105, v99, v107, s20
	v_cmp_eq_u32_e64 s25, 6, v86
	v_cndmask_b32_e64 v113, v100, v98, s17
	v_cndmask_b32_e64 v104, v101, v93, s21
	ds_load_b128 v[99:102], v90 offset:1024
	v_cmp_eq_u32_e64 s22, 1, v89
	v_cmp_eq_u32_e64 s24, 2, v89
	;; [unrolled: 1-line block ×3, first 2 shown]
	v_cndmask_b32_e64 v114, v104, v79, s23
	v_cmp_eq_u32_e64 s27, 4, v89
	v_cndmask_b32_e64 v74, v91, v74, s22
	v_cndmask_b32_e64 v91, v105, v97, s21
	;; [unrolled: 1-line block ×3, first 2 shown]
	ds_load_b128 v[103:106], v90 offset:1040
	v_cmp_eq_u32_e64 s29, 5, v89
	v_cndmask_b32_e64 v74, v74, v92, s24
	v_cndmask_b32_e64 v91, v91, v108, s23
	;; [unrolled: 1-line block ×3, first 2 shown]
	v_cmp_eq_u32_e64 s30, 6, v89
	v_cndmask_b32_e64 v95, v113, v109, s19
	v_cndmask_b32_e64 v74, v74, v78, s26
	;; [unrolled: 1-line block ×5, first 2 shown]
	s_waitcnt lgkmcnt(1)
	v_lshrrev_b32_e32 v96, 16, v99
	v_cndmask_b32_e64 v74, v74, v93, s27
	v_lshrrev_b32_e32 v107, 16, v100
	v_cndmask_b32_e64 v92, v92, v97, s27
	v_cmp_eq_u32_e64 s28, 7, v86
	v_cndmask_b32_e32 v93, v99, v96, vcc_lo
	v_cndmask_b32_e64 v74, v74, v79, s29
	s_delay_alu instid0(VALU_DEP_4)
	v_cndmask_b32_e64 v79, v92, v108, s29
	s_waitcnt lgkmcnt(0)
	v_lshrrev_b32_e32 v97, 16, v103
	v_cndmask_b32_e64 v92, v93, v100, s5
	v_cndmask_b32_e64 v93, v99, v96, s4
	;; [unrolled: 1-line block ×4, first 2 shown]
	v_cndmask_b32_e32 v108, v103, v97, vcc_lo
	v_cndmask_b32_e64 v92, v92, v107, s8
	v_cndmask_b32_e64 v93, v93, v100, s7
	v_lshrrev_b32_e32 v98, 16, v104
	v_cmp_eq_u32_e32 vcc_lo, 7, v89
	v_cndmask_b32_e64 v94, v108, v104, s5
	v_cndmask_b32_e64 v92, v92, v101, s10
	v_lshrrev_b32_e32 v108, 16, v101
	v_cndmask_b32_e64 v93, v93, v107, s9
	v_cndmask_b32_e32 v74, v74, v80, vcc_lo
	v_cndmask_b32_e64 v94, v94, v98, s8
	v_cndmask_b32_e32 v79, v79, v109, vcc_lo
	v_cndmask_b32_e64 v92, v92, v108, s11
	v_cndmask_b32_e64 v78, v78, v80, s28
	;; [unrolled: 1-line block ×4, first 2 shown]
	v_perm_b32 v94, v79, v74, 0x5040100
	v_cndmask_b32_e64 v79, v92, v102, s13
	v_perm_b32 v92, v95, v112, 0x5040100
	v_cndmask_b32_e64 v95, v99, v96, s6
	v_cndmask_b32_e64 v96, v99, v96, s22
	;; [unrolled: 1-line block ×16, first 2 shown]
	v_lshrrev_b32_e32 v109, 16, v105
	v_cndmask_b32_e64 v95, v95, v101, s21
	v_cndmask_b32_e64 v96, v96, v101, s27
	;; [unrolled: 1-line block ×6, first 2 shown]
	v_lshrrev_b32_e32 v80, 16, v102
	v_cndmask_b32_e64 v113, v93, v109, s11
	v_cndmask_b32_e64 v95, v95, v108, s23
	;; [unrolled: 1-line block ×6, first 2 shown]
	v_perm_b32 v93, v91, v78, 0x5040100
	v_cndmask_b32_e64 v74, v74, v102, s17
	v_cndmask_b32_e64 v78, v79, v80, s16
	;; [unrolled: 1-line block ×3, first 2 shown]
	v_lshrrev_b32_e32 v91, 16, v106
	v_cndmask_b32_e64 v95, v95, v102, s25
	v_cndmask_b32_e64 v96, v96, v102, s30
	;; [unrolled: 1-line block ×7, first 2 shown]
	v_cndmask_b32_e32 v80, v96, v80, vcc_lo
	v_cndmask_b32_e32 v96, v98, v91, vcc_lo
	v_cndmask_b32_e64 v99, v99, v91, s28
	v_cndmask_b32_e64 v100, v97, v91, s19
	;; [unrolled: 1-line block ×3, first 2 shown]
	v_perm_b32 v91, v111, v110, 0x5040100
	v_perm_b32 v98, v96, v80, 0x5040100
	;; [unrolled: 1-line block ×5, first 2 shown]
	s_mul_i32 s9, s37, 13
	s_mov_b32 s4, exec_lo
	ds_store_b128 v77, v[91:94]
	ds_store_b128 v77, v[95:98] offset:1024
	v_cmpx_gt_u32_e32 13, v0
	s_cbranch_execz .LBB530_80
; %bb.79:
	s_mul_i32 s5, s9, s34
	s_load_b128 s[16:19], s[0:1], 0x58
	v_add3_u32 v77, s5, s31, v73
	s_delay_alu instid0(VALU_DEP_1) | instskip(NEXT) | instid1(VALU_DEP_1)
	v_mad_u64_u32 v[73:74], null, v77, s36, s[14:15]
	v_ashrrev_i32_e32 v74, 31, v73
	s_delay_alu instid0(VALU_DEP_1) | instskip(SKIP_1) | instid1(VALU_DEP_1)
	v_lshlrev_b64 v[73:74], 2, v[73:74]
	s_waitcnt lgkmcnt(0)
	v_add_co_u32 v77, vcc_lo, s18, v73
	s_delay_alu instid0(VALU_DEP_2)
	v_add_co_ci_u32_e32 v78, vcc_lo, s19, v74, vcc_lo
	v_add_co_u32 v73, vcc_lo, s16, v73
	v_add_co_ci_u32_e32 v74, vcc_lo, s17, v74, vcc_lo
	global_store_b32 v[77:78], v75, off
	global_store_b32 v[73:74], v76, off
.LBB530_80:
	s_or_b32 exec_lo, exec_lo, s4
	s_waitcnt lgkmcnt(0)
	s_waitcnt_vscnt null, 0x0
	s_barrier
	buffer_gl0_inv
	ds_load_b128 v[91:94], v85
	ds_load_b128 v[95:98], v85 offset:16
	ds_load_b128 v[103:106], v85 offset:1040
	;; [unrolled: 1-line block ×3, first 2 shown]
	v_mov_b32_e32 v73, 0
	ds_load_b128 v[111:114], v85 offset:2064
	ds_load_b128 v[107:110], v85 offset:2048
	;; [unrolled: 1-line block ×6, first 2 shown]
	v_mov_b32_e32 v74, v73
	v_mov_b32_e32 v75, v73
	;; [unrolled: 1-line block ×7, first 2 shown]
	s_waitcnt lgkmcnt(8)
	s_delay_alu instid0(VALU_DEP_1)
	v_wmma_f32_16x16x16_bf16 v[73:80], v[65:72], v[91:98], v[73:80]
	ds_load_b128 v[69:72], v85 offset:5136
	ds_load_b128 v[65:68], v85 offset:5120
	;; [unrolled: 1-line block ×4, first 2 shown]
	s_waitcnt lgkmcnt(10)
	v_wmma_f32_16x16x16_bf16 v[73:80], v[57:64], v[99:106], v[73:80]
	s_waitcnt lgkmcnt(8)
	s_delay_alu instid0(VALU_DEP_1)
	v_wmma_f32_16x16x16_bf16 v[73:80], v[57:64], v[107:114], v[73:80]
	ds_load_b128 v[61:64], v85 offset:7184
	ds_load_b128 v[57:60], v85 offset:7168
	;; [unrolled: 1-line block ×4, first 2 shown]
	s_waitcnt lgkmcnt(10)
	v_wmma_f32_16x16x16_bf16 v[73:80], v[49:56], v[115:122], v[73:80]
	s_waitcnt lgkmcnt(8)
	s_delay_alu instid0(VALU_DEP_1)
	v_wmma_f32_16x16x16_bf16 v[73:80], v[49:56], v[123:130], v[73:80]
	ds_load_b128 v[53:56], v85 offset:9232
	ds_load_b128 v[49:52], v85 offset:9216
	s_waitcnt lgkmcnt(8)
	v_wmma_f32_16x16x16_bf16 v[73:80], v[41:48], v[65:72], v[73:80]
	ds_load_b128 v[69:72], v85 offset:10256
	ds_load_b128 v[65:68], v85 offset:10240
	s_waitcnt lgkmcnt(8)
	;; [unrolled: 4-line block ×3, first 2 shown]
	v_wmma_f32_16x16x16_bf16 v[73:80], v[9:16], v[57:64], v[73:80]
	s_waitcnt lgkmcnt(6)
	s_delay_alu instid0(VALU_DEP_1)
	v_wmma_f32_16x16x16_bf16 v[73:80], v[9:16], v[99:106], v[73:80]
	ds_load_b128 v[13:16], v85 offset:12304
	ds_load_b128 v[9:12], v85 offset:12288
	s_waitcnt lgkmcnt(6)
	v_wmma_f32_16x16x16_bf16 v[73:80], v[1:8], v[49:56], v[73:80]
	ds_load_b128 v[53:56], v85 offset:13328
	ds_load_b128 v[49:52], v85 offset:13312
	s_waitcnt lgkmcnt(6)
	;; [unrolled: 4-line block ×4, first 2 shown]
	v_wmma_f32_16x16x16_bf16 v[73:80], v[33:40], v[9:16], v[73:80]
	s_waitcnt lgkmcnt(4)
	s_delay_alu instid0(VALU_DEP_1) | instskip(SKIP_1) | instid1(VALU_DEP_1)
	v_wmma_f32_16x16x16_bf16 v[73:80], v[25:32], v[49:56], v[73:80]
	s_waitcnt lgkmcnt(2)
	v_wmma_f32_16x16x16_bf16 v[73:80], v[25:32], v[1:8], v[73:80]
	s_waitcnt lgkmcnt(0)
	s_delay_alu instid0(VALU_DEP_1) | instskip(NEXT) | instid1(VALU_DEP_1)
	v_wmma_f32_16x16x16_bf16 v[73:80], v[17:24], v[41:48], v[73:80]
	v_and_b32_e32 v1, 0x7f800000, v73
	s_delay_alu instid0(VALU_DEP_1) | instskip(SKIP_1) | instid1(SALU_CYCLE_1)
	v_cmp_ne_u32_e32 vcc_lo, 0x7f800000, v1
                                        ; implicit-def: $vgpr1
	s_and_saveexec_b32 s4, vcc_lo
	s_xor_b32 s4, exec_lo, s4
; %bb.81:
	v_bfe_u32 v1, v73, 16, 1
	s_delay_alu instid0(VALU_DEP_1)
	v_add3_u32 v1, v73, v1, 0x7fff
; %bb.82:
	s_and_not1_saveexec_b32 s4, s4
; %bb.83:
	v_and_b32_e32 v1, 0xffff, v73
	v_or_b32_e32 v2, 0x10000, v73
	s_delay_alu instid0(VALU_DEP_2) | instskip(NEXT) | instid1(VALU_DEP_2)
	v_cmp_eq_u32_e32 vcc_lo, 0, v1
	v_cndmask_b32_e32 v1, v2, v73, vcc_lo
; %bb.84:
	s_or_b32 exec_lo, exec_lo, s4
	v_and_b32_e32 v2, 0x7f800000, v74
	s_delay_alu instid0(VALU_DEP_1) | instskip(SKIP_1) | instid1(SALU_CYCLE_1)
	v_cmp_ne_u32_e32 vcc_lo, 0x7f800000, v2
                                        ; implicit-def: $vgpr2
	s_and_saveexec_b32 s4, vcc_lo
	s_xor_b32 s4, exec_lo, s4
; %bb.85:
	v_bfe_u32 v2, v74, 16, 1
	s_delay_alu instid0(VALU_DEP_1)
	v_add3_u32 v2, v74, v2, 0x7fff
; %bb.86:
	s_and_not1_saveexec_b32 s4, s4
; %bb.87:
	v_and_b32_e32 v2, 0xffff, v74
	v_or_b32_e32 v3, 0x10000, v74
	s_delay_alu instid0(VALU_DEP_2) | instskip(NEXT) | instid1(VALU_DEP_2)
	v_cmp_eq_u32_e32 vcc_lo, 0, v2
	v_cndmask_b32_e32 v2, v3, v74, vcc_lo
; %bb.88:
	s_or_b32 exec_lo, exec_lo, s4
	v_and_b32_e32 v3, 0x7f800000, v75
	s_delay_alu instid0(VALU_DEP_1) | instskip(SKIP_1) | instid1(SALU_CYCLE_1)
	v_cmp_ne_u32_e32 vcc_lo, 0x7f800000, v3
                                        ; implicit-def: $vgpr3
	s_and_saveexec_b32 s4, vcc_lo
	s_xor_b32 s4, exec_lo, s4
; %bb.89:
	v_bfe_u32 v3, v75, 16, 1
	s_delay_alu instid0(VALU_DEP_1)
	v_add3_u32 v3, v75, v3, 0x7fff
; %bb.90:
	s_and_not1_saveexec_b32 s4, s4
; %bb.91:
	v_and_b32_e32 v3, 0xffff, v75
	v_or_b32_e32 v4, 0x10000, v75
	s_delay_alu instid0(VALU_DEP_2) | instskip(NEXT) | instid1(VALU_DEP_2)
	v_cmp_eq_u32_e32 vcc_lo, 0, v3
	v_cndmask_b32_e32 v3, v4, v75, vcc_lo
; %bb.92:
	s_or_b32 exec_lo, exec_lo, s4
	v_and_b32_e32 v4, 0x7f800000, v76
	s_delay_alu instid0(VALU_DEP_1) | instskip(SKIP_1) | instid1(SALU_CYCLE_1)
	v_cmp_ne_u32_e32 vcc_lo, 0x7f800000, v4
                                        ; implicit-def: $vgpr4
	s_and_saveexec_b32 s4, vcc_lo
	s_xor_b32 s4, exec_lo, s4
; %bb.93:
	v_bfe_u32 v4, v76, 16, 1
	s_delay_alu instid0(VALU_DEP_1)
	v_add3_u32 v4, v76, v4, 0x7fff
; %bb.94:
	s_and_not1_saveexec_b32 s4, s4
; %bb.95:
	v_and_b32_e32 v4, 0xffff, v76
	v_or_b32_e32 v5, 0x10000, v76
	s_delay_alu instid0(VALU_DEP_2) | instskip(NEXT) | instid1(VALU_DEP_2)
	v_cmp_eq_u32_e32 vcc_lo, 0, v4
	v_cndmask_b32_e32 v4, v5, v76, vcc_lo
; %bb.96:
	s_or_b32 exec_lo, exec_lo, s4
	v_and_b32_e32 v5, 0x7f800000, v77
	s_delay_alu instid0(VALU_DEP_1) | instskip(SKIP_1) | instid1(SALU_CYCLE_1)
	v_cmp_ne_u32_e32 vcc_lo, 0x7f800000, v5
                                        ; implicit-def: $vgpr5
	s_and_saveexec_b32 s4, vcc_lo
	s_xor_b32 s4, exec_lo, s4
; %bb.97:
	v_bfe_u32 v5, v77, 16, 1
	s_delay_alu instid0(VALU_DEP_1)
	v_add3_u32 v5, v77, v5, 0x7fff
; %bb.98:
	s_and_not1_saveexec_b32 s4, s4
; %bb.99:
	v_and_b32_e32 v5, 0xffff, v77
	v_or_b32_e32 v6, 0x10000, v77
	s_delay_alu instid0(VALU_DEP_2) | instskip(NEXT) | instid1(VALU_DEP_2)
	v_cmp_eq_u32_e32 vcc_lo, 0, v5
	v_cndmask_b32_e32 v5, v6, v77, vcc_lo
; %bb.100:
	s_or_b32 exec_lo, exec_lo, s4
	v_and_b32_e32 v6, 0x7f800000, v78
	s_delay_alu instid0(VALU_DEP_1) | instskip(SKIP_1) | instid1(SALU_CYCLE_1)
	v_cmp_ne_u32_e32 vcc_lo, 0x7f800000, v6
                                        ; implicit-def: $vgpr6
	s_and_saveexec_b32 s4, vcc_lo
	s_xor_b32 s4, exec_lo, s4
; %bb.101:
	v_bfe_u32 v6, v78, 16, 1
	s_delay_alu instid0(VALU_DEP_1)
	v_add3_u32 v6, v78, v6, 0x7fff
; %bb.102:
	s_and_not1_saveexec_b32 s4, s4
; %bb.103:
	v_and_b32_e32 v6, 0xffff, v78
	v_or_b32_e32 v7, 0x10000, v78
	s_delay_alu instid0(VALU_DEP_2) | instskip(NEXT) | instid1(VALU_DEP_2)
	v_cmp_eq_u32_e32 vcc_lo, 0, v6
	v_cndmask_b32_e32 v6, v7, v78, vcc_lo
; %bb.104:
	s_or_b32 exec_lo, exec_lo, s4
	v_and_b32_e32 v7, 0x7f800000, v79
	s_delay_alu instid0(VALU_DEP_1) | instskip(SKIP_1) | instid1(SALU_CYCLE_1)
	v_cmp_ne_u32_e32 vcc_lo, 0x7f800000, v7
                                        ; implicit-def: $vgpr7
	s_and_saveexec_b32 s4, vcc_lo
	s_xor_b32 s4, exec_lo, s4
; %bb.105:
	v_bfe_u32 v7, v79, 16, 1
	s_delay_alu instid0(VALU_DEP_1)
	v_add3_u32 v7, v79, v7, 0x7fff
; %bb.106:
	s_and_not1_saveexec_b32 s4, s4
; %bb.107:
	v_and_b32_e32 v7, 0xffff, v79
	v_or_b32_e32 v8, 0x10000, v79
	s_delay_alu instid0(VALU_DEP_2) | instskip(NEXT) | instid1(VALU_DEP_2)
	v_cmp_eq_u32_e32 vcc_lo, 0, v7
	v_cndmask_b32_e32 v7, v8, v79, vcc_lo
; %bb.108:
	s_or_b32 exec_lo, exec_lo, s4
	v_and_b32_e32 v8, 0x7f800000, v80
	s_delay_alu instid0(VALU_DEP_1) | instskip(SKIP_1) | instid1(SALU_CYCLE_1)
	v_cmp_ne_u32_e32 vcc_lo, 0x7f800000, v8
                                        ; implicit-def: $vgpr8
	s_and_saveexec_b32 s4, vcc_lo
	s_xor_b32 s4, exec_lo, s4
; %bb.109:
	v_bfe_u32 v8, v80, 16, 1
	s_delay_alu instid0(VALU_DEP_1)
	v_add3_u32 v8, v80, v8, 0x7fff
                                        ; implicit-def: $vgpr73_vgpr74_vgpr75_vgpr76_vgpr77_vgpr78_vgpr79_vgpr80
; %bb.110:
	s_and_not1_saveexec_b32 s4, s4
; %bb.111:
	v_and_b32_e32 v8, 0xffff, v80
	v_or_b32_e32 v9, 0x10000, v80
	s_delay_alu instid0(VALU_DEP_2) | instskip(NEXT) | instid1(VALU_DEP_2)
	v_cmp_eq_u32_e32 vcc_lo, 0, v8
	v_cndmask_b32_e32 v8, v9, v80, vcc_lo
; %bb.112:
	s_or_b32 exec_lo, exec_lo, s4
	s_delay_alu instid0(VALU_DEP_1)
	v_perm_b32 v7, v8, v7, 0x7060302
	v_perm_b32 v6, v6, v5, 0x7060302
	;; [unrolled: 1-line block ×4, first 2 shown]
	v_lshl_or_b32 v9, v83, 4, v90
	s_barrier
	buffer_gl0_inv
	v_cmp_eq_u32_e32 vcc_lo, 1, v87
	ds_store_b128 v9, v[4:7]
	s_waitcnt lgkmcnt(0)
	s_barrier
	buffer_gl0_inv
	ds_load_b128 v[1:4], v90
	ds_load_b128 v[5:8], v90 offset:16
	v_cmp_eq_u32_e64 s5, 2, v87
	v_cmp_eq_u32_e64 s4, 1, v88
	;; [unrolled: 1-line block ×5, first 2 shown]
	s_waitcnt lgkmcnt(1)
	v_lshrrev_b32_e32 v10, 16, v1
	s_waitcnt lgkmcnt(0)
	v_lshrrev_b32_e32 v14, 16, v5
	v_lshrrev_b32_e32 v15, 16, v6
	v_lshrrev_b32_e32 v11, 16, v2
	v_lshrrev_b32_e32 v12, 16, v3
	v_cndmask_b32_e64 v20, v1, v10, s4
	v_cndmask_b32_e32 v19, v5, v14, vcc_lo
	v_cndmask_b32_e64 v21, v5, v14, s4
	v_lshrrev_b32_e32 v16, 16, v7
	v_cmp_eq_u32_e64 s4, 1, v86
	v_lshrrev_b32_e32 v13, 16, v4
	v_cndmask_b32_e64 v19, v19, v6, s5
	v_lshrrev_b32_e32 v17, 16, v8
	s_delay_alu instid0(VALU_DEP_4) | instskip(SKIP_1) | instid1(VALU_DEP_4)
	v_cndmask_b32_e64 v22, v1, v10, s4
	v_cndmask_b32_e64 v23, v5, v14, s4
	;; [unrolled: 1-line block ×3, first 2 shown]
	v_cndmask_b32_e32 v18, v1, v10, vcc_lo
	v_cmp_eq_u32_e32 vcc_lo, 2, v88
	v_cmp_eq_u32_e64 s4, 2, v89
	v_cndmask_b32_e64 v22, v22, v2, s8
	v_cndmask_b32_e32 v20, v20, v2, vcc_lo
	v_cndmask_b32_e32 v21, v21, v6, vcc_lo
	v_cmp_eq_u32_e32 vcc_lo, 4, v87
	v_cndmask_b32_e32 v19, v19, v7, vcc_lo
	v_cndmask_b32_e64 v18, v18, v2, s5
	v_cmp_eq_u32_e64 s5, 3, v88
	s_delay_alu instid0(VALU_DEP_2) | instskip(NEXT) | instid1(VALU_DEP_2)
	v_cndmask_b32_e64 v18, v18, v11, s6
	v_cndmask_b32_e64 v21, v21, v15, s5
	v_cmp_eq_u32_e64 s6, 5, v87
	s_delay_alu instid0(VALU_DEP_3) | instskip(SKIP_1) | instid1(VALU_DEP_3)
	v_cndmask_b32_e32 v18, v18, v3, vcc_lo
	v_cmp_eq_u32_e32 vcc_lo, 4, v88
	v_cndmask_b32_e64 v19, v19, v16, s6
	s_delay_alu instid0(VALU_DEP_3) | instskip(SKIP_4) | instid1(VALU_DEP_3)
	v_cndmask_b32_e64 v18, v18, v12, s6
	v_cndmask_b32_e32 v21, v21, v7, vcc_lo
	v_cndmask_b32_e64 v20, v20, v11, s5
	v_cmp_eq_u32_e64 s5, 5, v88
	v_cmp_eq_u32_e64 s6, 6, v87
	v_cndmask_b32_e32 v20, v20, v3, vcc_lo
	s_delay_alu instid0(VALU_DEP_3) | instskip(SKIP_1) | instid1(VALU_DEP_4)
	v_cndmask_b32_e64 v21, v21, v16, s5
	v_cmp_eq_u32_e32 vcc_lo, 6, v88
	v_cndmask_b32_e64 v18, v18, v4, s6
	v_cndmask_b32_e64 v19, v19, v8, s6
	;; [unrolled: 1-line block ×3, first 2 shown]
	v_cmp_eq_u32_e64 s5, 1, v89
	v_cmp_eq_u32_e64 s6, 7, v87
	s_delay_alu instid0(VALU_DEP_3) | instskip(NEXT) | instid1(VALU_DEP_3)
	v_cndmask_b32_e32 v20, v20, v4, vcc_lo
	v_cndmask_b32_e64 v1, v1, v10, s5
	v_cndmask_b32_e64 v5, v5, v14, s5
	v_cmp_eq_u32_e64 s5, 3, v86
	v_cndmask_b32_e64 v14, v23, v6, s8
	v_cmp_eq_u32_e64 s8, 3, v89
	v_cndmask_b32_e64 v1, v1, v2, s4
	v_cndmask_b32_e64 v2, v5, v6, s4
	;; [unrolled: 1-line block ×3, first 2 shown]
	v_cmp_eq_u32_e64 s4, 4, v86
	v_cndmask_b32_e64 v6, v14, v15, s5
	v_cndmask_b32_e64 v1, v1, v11, s8
	v_cmp_eq_u32_e64 s5, 4, v89
	v_cndmask_b32_e64 v2, v2, v15, s8
	v_cndmask_b32_e64 v5, v10, v3, s4
	;; [unrolled: 3-line block ×3, first 2 shown]
	v_cndmask_b32_e64 v2, v2, v7, s5
	v_cmp_eq_u32_e64 s4, 5, v89
	v_cndmask_b32_e64 v5, v5, v12, s8
	v_cmp_eq_u32_e64 s5, 6, v86
	;; [unrolled: 2-line block ×3, first 2 shown]
	v_cndmask_b32_e64 v1, v1, v12, s4
	v_cndmask_b32_e64 v2, v2, v16, s4
	;; [unrolled: 1-line block ×4, first 2 shown]
	v_cmp_eq_u32_e64 s4, 7, v89
	v_cndmask_b32_e64 v1, v1, v4, s8
	v_cndmask_b32_e64 v2, v2, v8, s8
	v_cmp_eq_u32_e64 s5, 7, v86
	v_cndmask_b32_e32 v4, v21, v8, vcc_lo
	v_cndmask_b32_e64 v18, v18, v13, s6
	v_cndmask_b32_e64 v20, v20, v13, s7
	;; [unrolled: 1-line block ×8, first 2 shown]
	v_cmp_gt_u32_e32 vcc_lo, 32, v0
	v_perm_b32 v4, v2, v1, 0x5040100
	v_perm_b32 v3, v3, v5, 0x5040100
	;; [unrolled: 1-line block ×4, first 2 shown]
	s_and_b32 s2, vcc_lo, s2
	ds_store_b128 v9, v[1:4]
	s_waitcnt lgkmcnt(0)
	s_barrier
	buffer_gl0_inv
	s_and_saveexec_b32 s4, s2
	s_cbranch_execz .LBB530_2
; %bb.113:
	s_load_b64 s[4:5], s[0:1], 0x68
	v_lshlrev_b32_e32 v0, 10, v0
	v_lshlrev_b32_e32 v1, 4, v84
	s_lshl_b32 s0, s36, 6
	v_add_nc_u32_e32 v18, s31, v83
	s_mul_i32 s1, s0, s34
	s_delay_alu instid0(VALU_DEP_2) | instskip(SKIP_1) | instid1(VALU_DEP_2)
	v_and_or_b32 v0, 0x3800, v0, v1
	s_mul_i32 s6, s1, s9
	v_mul_lo_u32 v1, v18, s0
	s_ashr_i32 s7, s6, 31
	v_add_nc_u32_e32 v2, 2, v18
	v_lshl_or_b32 v19, v83, 6, v0
	s_lshl_b64 s[6:7], s[6:7], 1
	v_add_nc_u32_e32 v8, 4, v18
	v_add_nc_u32_e32 v15, 6, v18
	v_mul_lo_u32 v7, v2, s0
	ds_load_b128 v[3:6], v19
	v_ashrrev_i32_e32 v2, 31, v1
	v_mul_lo_u32 v11, v8, s0
	s_waitcnt lgkmcnt(0)
	s_add_u32 s1, s4, s6
	s_addc_u32 s2, s5, s7
	s_lshl_b32 s4, s14, 6
	v_lshlrev_b64 v[9:10], 1, v[1:2]
	s_ashr_i32 s5, s4, 31
	v_ashrrev_i32_e32 v8, 31, v7
	s_lshl_b64 s[4:5], s[4:5], 1
	v_ashrrev_i32_e32 v12, 31, v11
	s_add_u32 s1, s1, s4
	s_addc_u32 s2, s2, s5
	v_add_co_u32 v1, vcc_lo, s1, v81
	v_add_co_ci_u32_e32 v2, vcc_lo, s2, v82, vcc_lo
	v_mul_lo_u32 v15, v15, s0
	s_delay_alu instid0(VALU_DEP_3) | instskip(NEXT) | instid1(VALU_DEP_3)
	v_add_co_u32 v13, vcc_lo, v1, v9
	v_add_co_ci_u32_e32 v14, vcc_lo, v2, v10, vcc_lo
	v_lshlrev_b64 v[16:17], 1, v[7:8]
	ds_load_b128 v[7:10], v19 offset:128
	global_store_b128 v[13:14], v[3:6], off
	v_add_nc_u32_e32 v5, 8, v18
	v_lshlrev_b64 v[3:4], 1, v[11:12]
	v_add_co_u32 v23, vcc_lo, v1, v16
	v_ashrrev_i32_e32 v16, 31, v15
	s_delay_alu instid0(VALU_DEP_4) | instskip(SKIP_3) | instid1(VALU_DEP_3)
	v_mul_lo_u32 v25, v5, s0
	v_add_nc_u32_e32 v5, 10, v18
	v_add_co_ci_u32_e32 v24, vcc_lo, v2, v17, vcc_lo
	v_add_co_u32 v27, vcc_lo, v1, v3
	v_mul_lo_u32 v29, v5, s0
	v_add_co_ci_u32_e32 v28, vcc_lo, v2, v4, vcc_lo
	v_lshlrev_b64 v[31:32], 1, v[15:16]
	ds_load_b128 v[3:6], v19 offset:256
	ds_load_b128 v[11:14], v19 offset:384
	;; [unrolled: 1-line block ×4, first 2 shown]
	v_ashrrev_i32_e32 v26, 31, v25
	v_ashrrev_i32_e32 v30, 31, v29
	v_add_co_u32 v31, vcc_lo, v1, v31
	s_delay_alu instid0(VALU_DEP_3) | instskip(SKIP_1) | instid1(VALU_DEP_4)
	v_lshlrev_b64 v[25:26], 1, v[25:26]
	v_add_co_ci_u32_e32 v32, vcc_lo, v2, v32, vcc_lo
	v_lshlrev_b64 v[29:30], 1, v[29:30]
	s_delay_alu instid0(VALU_DEP_3) | instskip(NEXT) | instid1(VALU_DEP_4)
	v_add_co_u32 v25, vcc_lo, v1, v25
	v_add_co_ci_u32_e32 v26, vcc_lo, v2, v26, vcc_lo
	s_delay_alu instid0(VALU_DEP_3) | instskip(NEXT) | instid1(VALU_DEP_4)
	v_add_co_u32 v29, vcc_lo, v1, v29
	v_add_co_ci_u32_e32 v30, vcc_lo, v2, v30, vcc_lo
	s_waitcnt lgkmcnt(4)
	global_store_b128 v[23:24], v[7:10], off
	s_waitcnt lgkmcnt(3)
	global_store_b128 v[27:28], v[3:6], off
	;; [unrolled: 2-line block ×5, first 2 shown]
	s_and_b32 exec_lo, exec_lo, s3
	s_cbranch_execz .LBB530_2
; %bb.114:
	ds_load_b128 v[3:6], v0 offset:768
	s_add_i32 s1, s31, 12
	s_delay_alu instid0(SALU_CYCLE_1) | instskip(NEXT) | instid1(SALU_CYCLE_1)
	s_mul_i32 s0, s1, s0
	s_ashr_i32 s1, s0, 31
	s_delay_alu instid0(SALU_CYCLE_1) | instskip(NEXT) | instid1(SALU_CYCLE_1)
	s_lshl_b64 s[0:1], s[0:1], 1
	v_add_co_u32 v0, vcc_lo, v1, s0
	v_add_co_ci_u32_e32 v1, vcc_lo, s1, v2, vcc_lo
	s_waitcnt lgkmcnt(0)
	global_store_b128 v[0:1], v[3:6], off
	s_nop 0
	s_sendmsg sendmsg(MSG_DEALLOC_VGPRS)
	s_endpgm
	.section	.rodata,"a",@progbits
	.p2align	6, 0x0
	.amdhsa_kernel _Z39paged_attention_ll4mi_QKV_mfma16_kernelI14__hip_bfloat16S0_LN4vllm18Fp8KVCacheDataTypeE0EhLi32ELi64ELi256ELb0ELi13EL8MFMAType0EEvPKT_PKT0_S9_ifPKiSB_SB_iPKfiiiPfSE_PS4_PT2_iSD_SD_
		.amdhsa_group_segment_fixed_size 17472
		.amdhsa_private_segment_fixed_size 0
		.amdhsa_kernarg_size 400
		.amdhsa_user_sgpr_count 13
		.amdhsa_user_sgpr_dispatch_ptr 0
		.amdhsa_user_sgpr_queue_ptr 0
		.amdhsa_user_sgpr_kernarg_segment_ptr 1
		.amdhsa_user_sgpr_dispatch_id 0
		.amdhsa_user_sgpr_private_segment_size 0
		.amdhsa_wavefront_size32 1
		.amdhsa_uses_dynamic_stack 0
		.amdhsa_enable_private_segment 0
		.amdhsa_system_sgpr_workgroup_id_x 1
		.amdhsa_system_sgpr_workgroup_id_y 1
		.amdhsa_system_sgpr_workgroup_id_z 1
		.amdhsa_system_sgpr_workgroup_info 0
		.amdhsa_system_vgpr_workitem_id 0
		.amdhsa_next_free_vgpr 142
		.amdhsa_next_free_sgpr 39
		.amdhsa_reserve_vcc 1
		.amdhsa_float_round_mode_32 0
		.amdhsa_float_round_mode_16_64 0
		.amdhsa_float_denorm_mode_32 3
		.amdhsa_float_denorm_mode_16_64 3
		.amdhsa_dx10_clamp 1
		.amdhsa_ieee_mode 1
		.amdhsa_fp16_overflow 0
		.amdhsa_workgroup_processor_mode 1
		.amdhsa_memory_ordered 1
		.amdhsa_forward_progress 0
		.amdhsa_shared_vgpr_count 0
		.amdhsa_exception_fp_ieee_invalid_op 0
		.amdhsa_exception_fp_denorm_src 0
		.amdhsa_exception_fp_ieee_div_zero 0
		.amdhsa_exception_fp_ieee_overflow 0
		.amdhsa_exception_fp_ieee_underflow 0
		.amdhsa_exception_fp_ieee_inexact 0
		.amdhsa_exception_int_div_zero 0
	.end_amdhsa_kernel
	.section	.text._Z39paged_attention_ll4mi_QKV_mfma16_kernelI14__hip_bfloat16S0_LN4vllm18Fp8KVCacheDataTypeE0EhLi32ELi64ELi256ELb0ELi13EL8MFMAType0EEvPKT_PKT0_S9_ifPKiSB_SB_iPKfiiiPfSE_PS4_PT2_iSD_SD_,"axG",@progbits,_Z39paged_attention_ll4mi_QKV_mfma16_kernelI14__hip_bfloat16S0_LN4vllm18Fp8KVCacheDataTypeE0EhLi32ELi64ELi256ELb0ELi13EL8MFMAType0EEvPKT_PKT0_S9_ifPKiSB_SB_iPKfiiiPfSE_PS4_PT2_iSD_SD_,comdat
.Lfunc_end530:
	.size	_Z39paged_attention_ll4mi_QKV_mfma16_kernelI14__hip_bfloat16S0_LN4vllm18Fp8KVCacheDataTypeE0EhLi32ELi64ELi256ELb0ELi13EL8MFMAType0EEvPKT_PKT0_S9_ifPKiSB_SB_iPKfiiiPfSE_PS4_PT2_iSD_SD_, .Lfunc_end530-_Z39paged_attention_ll4mi_QKV_mfma16_kernelI14__hip_bfloat16S0_LN4vllm18Fp8KVCacheDataTypeE0EhLi32ELi64ELi256ELb0ELi13EL8MFMAType0EEvPKT_PKT0_S9_ifPKiSB_SB_iPKfiiiPfSE_PS4_PT2_iSD_SD_
                                        ; -- End function
	.section	.AMDGPU.csdata,"",@progbits
; Kernel info:
; codeLenInByte = 9588
; NumSgprs: 41
; NumVgprs: 142
; ScratchSize: 0
; MemoryBound: 0
; FloatMode: 240
; IeeeMode: 1
; LDSByteSize: 17472 bytes/workgroup (compile time only)
; SGPRBlocks: 5
; VGPRBlocks: 17
; NumSGPRsForWavesPerEU: 41
; NumVGPRsForWavesPerEU: 142
; Occupancy: 10
; WaveLimiterHint : 1
; COMPUTE_PGM_RSRC2:SCRATCH_EN: 0
; COMPUTE_PGM_RSRC2:USER_SGPR: 13
; COMPUTE_PGM_RSRC2:TRAP_HANDLER: 0
; COMPUTE_PGM_RSRC2:TGID_X_EN: 1
; COMPUTE_PGM_RSRC2:TGID_Y_EN: 1
; COMPUTE_PGM_RSRC2:TGID_Z_EN: 1
; COMPUTE_PGM_RSRC2:TIDIG_COMP_CNT: 0
	.section	.text._Z39paged_attention_ll4mi_QKV_mfma16_kernelI14__hip_bfloat16S0_LN4vllm18Fp8KVCacheDataTypeE0EhLi32ELi64ELi256ELb0ELi14EL8MFMAType0EEvPKT_PKT0_S9_ifPKiSB_SB_iPKfiiiPfSE_PS4_PT2_iSD_SD_,"axG",@progbits,_Z39paged_attention_ll4mi_QKV_mfma16_kernelI14__hip_bfloat16S0_LN4vllm18Fp8KVCacheDataTypeE0EhLi32ELi64ELi256ELb0ELi14EL8MFMAType0EEvPKT_PKT0_S9_ifPKiSB_SB_iPKfiiiPfSE_PS4_PT2_iSD_SD_,comdat
	.protected	_Z39paged_attention_ll4mi_QKV_mfma16_kernelI14__hip_bfloat16S0_LN4vllm18Fp8KVCacheDataTypeE0EhLi32ELi64ELi256ELb0ELi14EL8MFMAType0EEvPKT_PKT0_S9_ifPKiSB_SB_iPKfiiiPfSE_PS4_PT2_iSD_SD_ ; -- Begin function _Z39paged_attention_ll4mi_QKV_mfma16_kernelI14__hip_bfloat16S0_LN4vllm18Fp8KVCacheDataTypeE0EhLi32ELi64ELi256ELb0ELi14EL8MFMAType0EEvPKT_PKT0_S9_ifPKiSB_SB_iPKfiiiPfSE_PS4_PT2_iSD_SD_
	.globl	_Z39paged_attention_ll4mi_QKV_mfma16_kernelI14__hip_bfloat16S0_LN4vllm18Fp8KVCacheDataTypeE0EhLi32ELi64ELi256ELb0ELi14EL8MFMAType0EEvPKT_PKT0_S9_ifPKiSB_SB_iPKfiiiPfSE_PS4_PT2_iSD_SD_
	.p2align	8
	.type	_Z39paged_attention_ll4mi_QKV_mfma16_kernelI14__hip_bfloat16S0_LN4vllm18Fp8KVCacheDataTypeE0EhLi32ELi64ELi256ELb0ELi14EL8MFMAType0EEvPKT_PKT0_S9_ifPKiSB_SB_iPKfiiiPfSE_PS4_PT2_iSD_SD_,@function
_Z39paged_attention_ll4mi_QKV_mfma16_kernelI14__hip_bfloat16S0_LN4vllm18Fp8KVCacheDataTypeE0EhLi32ELi64ELi256ELb0ELi14EL8MFMAType0EEvPKT_PKT0_S9_ifPKiSB_SB_iPKfiiiPfSE_PS4_PT2_iSD_SD_: ; @_Z39paged_attention_ll4mi_QKV_mfma16_kernelI14__hip_bfloat16S0_LN4vllm18Fp8KVCacheDataTypeE0EhLi32ELi64ELi256ELb0ELi14EL8MFMAType0EEvPKT_PKT0_S9_ifPKiSB_SB_iPKfiiiPfSE_PS4_PT2_iSD_SD_
; %bb.0:
	s_load_b64 s[2:3], s[0:1], 0x30
	s_mov_b32 s30, s13
	s_waitcnt lgkmcnt(0)
	s_cmp_lg_u64 s[2:3], 0
	s_cselect_b32 s6, -1, 0
	s_ashr_i32 s31, s13, 31
	s_cmp_eq_u64 s[2:3], 0
	s_cbranch_scc1 .LBB531_3
; %bb.1:
	s_lshl_b64 s[4:5], s[30:31], 2
	s_delay_alu instid0(SALU_CYCLE_1) | instskip(SKIP_4) | instid1(SALU_CYCLE_1)
	s_add_u32 s4, s2, s4
	s_addc_u32 s5, s3, s5
	s_load_b64 s[4:5], s[4:5], 0x0
	s_waitcnt lgkmcnt(0)
	s_sub_i32 s4, s5, s4
	s_cmp_eq_u32 s4, 1
	s_cselect_b32 s4, -1, 0
	s_delay_alu instid0(SALU_CYCLE_1)
	s_and_not1_b32 vcc_lo, exec_lo, s4
	s_cbranch_vccz .LBB531_4
.LBB531_2:
	s_endpgm
.LBB531_3:
.LBB531_4:
	s_load_b64 s[8:9], s[0:1], 0x28
	s_lshl_b64 s[4:5], s[30:31], 2
	s_waitcnt lgkmcnt(0)
	s_add_u32 s8, s8, s4
	s_addc_u32 s9, s9, s5
	s_lshl_b32 s16, s14, 8
	s_load_b32 s18, s[8:9], 0x0
	s_waitcnt lgkmcnt(0)
	s_cmp_ge_i32 s16, s18
	s_cbranch_scc1 .LBB531_2
; %bb.5:
	s_and_not1_b32 vcc_lo, exec_lo, s6
	s_cbranch_vccnz .LBB531_7
; %bb.6:
	s_add_u32 s2, s2, s4
	s_addc_u32 s3, s3, s5
	s_load_b32 s17, s[2:3], 0x0
	s_branch .LBB531_8
.LBB531_7:
	s_mov_b32 s17, s30
.LBB531_8:
	s_clause 0x2
	s_load_b128 s[8:11], s[0:1], 0x8
	s_load_b64 s[12:13], s[0:1], 0x20
	s_load_b128 s[4:7], s[0:1], 0x48
	v_and_b32_e32 v73, 15, v0
	v_cmp_lt_u32_e32 vcc_lo, 0xdf, v0
	s_delay_alu instid0(VALU_DEP_2) | instskip(SKIP_2) | instid1(VALU_DEP_3)
	v_cmp_lt_u32_e64 s3, 7, v73
	v_lshlrev_b32_e32 v1, 3, v73
	v_cmp_gt_u32_e64 s2, 8, v73
	s_or_b32 s3, vcc_lo, s3
	s_waitcnt lgkmcnt(0)
	s_and_saveexec_b32 s7, s3
	s_delay_alu instid0(SALU_CYCLE_1)
	s_xor_b32 s3, exec_lo, s7
; %bb.9:
	v_mov_b32_e32 v2, 0
; %bb.10:
	s_or_saveexec_b32 s3, s3
	v_lshrrev_b32_e32 v74, 5, v0
	v_and_b32_e32 v75, 31, v0
	v_and_b32_e32 v84, 1, v0
	v_bfe_u32 v83, v0, 4, 1
	s_mul_i32 s31, s15, 14
	s_xor_b32 exec_lo, exec_lo, s3
	s_cbranch_execz .LBB531_12
; %bb.11:
	s_load_b64 s[20:21], s[0:1], 0x0
	v_lshl_or_b32 v7, v74, 1, v83
	s_mul_hi_i32 s23, s17, s4
	s_mul_i32 s22, s17, s4
	v_lshlrev_b32_e32 v4, 1, v1
	s_lshl_b64 s[22:23], s[22:23], 1
	v_add_lshl_u32 v2, v7, s31, 6
	v_lshlrev_b32_e32 v7, 6, v7
	v_lshlrev_b32_e32 v8, 10, v84
	s_delay_alu instid0(VALU_DEP_3) | instskip(NEXT) | instid1(VALU_DEP_1)
	v_ashrrev_i32_e32 v3, 31, v2
	v_lshlrev_b64 v[2:3], 1, v[2:3]
	s_waitcnt lgkmcnt(0)
	s_add_u32 s4, s20, s22
	s_addc_u32 s7, s21, s23
	s_delay_alu instid0(VALU_DEP_1) | instskip(NEXT) | instid1(VALU_DEP_2)
	v_add_co_u32 v2, vcc_lo, s4, v2
	v_add_co_ci_u32_e32 v3, vcc_lo, s7, v3, vcc_lo
	s_delay_alu instid0(VALU_DEP_2) | instskip(NEXT) | instid1(VALU_DEP_2)
	v_add_co_u32 v2, vcc_lo, v2, v4
	v_add_co_ci_u32_e32 v3, vcc_lo, 0, v3, vcc_lo
	global_load_b128 v[3:6], v[2:3], off
	v_lshlrev_b32_e32 v2, 10, v73
	s_delay_alu instid0(VALU_DEP_1) | instskip(NEXT) | instid1(VALU_DEP_1)
	v_and_b32_e32 v2, 0x3800, v2
	v_or3_b32 v7, v2, v8, v7
	v_mov_b32_e32 v2, 0
	s_waitcnt vmcnt(0)
	ds_store_b128 v7, v[3:6]
.LBB531_12:
	s_or_b32 exec_lo, exec_lo, s3
	v_and_b32_e32 v3, 0xef, v0
	s_add_i32 s3, s18, 31
	s_clause 0x1
	s_load_b32 s4, s[0:1], 0x38
	s_load_b32 s19, s[0:1], 0x1c
	s_ashr_i32 s7, s3, 31
	v_add_nc_u32_e32 v3, s16, v3
	s_lshr_b32 s7, s7, 27
	s_waitcnt lgkmcnt(0)
	s_add_i32 s3, s3, s7
	s_barrier
	v_ashrrev_i32_e32 v4, 31, v3
	v_cmp_gt_i32_e32 vcc_lo, s18, v3
	s_ashr_i32 s3, s3, 5
	buffer_gl0_inv
	s_add_i32 s3, s3, -1
	v_lshrrev_b32_e32 v5, 27, v4
	v_or_b32_e32 v4, 16, v3
	s_mul_i32 s6, s15, s6
	v_lshlrev_b64 v[81:82], 1, v[1:2]
	s_delay_alu instid0(VALU_DEP_3) | instskip(NEXT) | instid1(VALU_DEP_3)
	v_add_nc_u32_e32 v6, v3, v5
	v_add_nc_u32_e32 v5, v4, v5
	s_mul_i32 s20, s30, s4
	s_delay_alu instid0(SALU_CYCLE_1) | instskip(NEXT) | instid1(VALU_DEP_2)
	s_ashr_i32 s21, s20, 31
	v_ashrrev_i32_e32 v6, 5, v6
	s_delay_alu instid0(VALU_DEP_2) | instskip(SKIP_1) | instid1(SALU_CYCLE_1)
	v_ashrrev_i32_e32 v5, 5, v5
	s_lshl_b64 s[20:21], s[20:21], 2
	s_add_u32 s4, s12, s20
	s_delay_alu instid0(VALU_DEP_2) | instskip(SKIP_3) | instid1(SALU_CYCLE_1)
	v_cndmask_b32_e32 v3, s3, v6, vcc_lo
	v_cmp_gt_i32_e32 vcc_lo, s18, v4
	s_addc_u32 s17, s13, s21
	s_ashr_i32 s7, s6, 31
	s_lshl_b64 s[6:7], s[6:7], 1
	v_cndmask_b32_e32 v5, s3, v5, vcc_lo
	v_ashrrev_i32_e32 v4, 31, v3
	s_add_u32 s15, s8, s6
	s_addc_u32 s28, s9, s7
	s_lshl_b32 s8, s14, 3
	v_ashrrev_i32_e32 v6, 31, v5
	v_lshlrev_b64 v[3:4], 2, v[3:4]
	s_ashr_i32 s9, s8, 31
	s_delay_alu instid0(SALU_CYCLE_1) | instskip(NEXT) | instid1(VALU_DEP_2)
	s_lshl_b64 s[8:9], s[8:9], 2
	v_lshlrev_b64 v[5:6], 2, v[5:6]
	s_add_u32 s8, s4, s8
	s_delay_alu instid0(VALU_DEP_2) | instskip(SKIP_1) | instid1(VALU_DEP_3)
	v_add_co_u32 v3, vcc_lo, s4, v3
	v_add_co_ci_u32_e32 v4, vcc_lo, s17, v4, vcc_lo
	v_add_co_u32 v5, vcc_lo, s4, v5
	s_delay_alu instid0(VALU_DEP_4)
	v_add_co_ci_u32_e32 v6, vcc_lo, s17, v6, vcc_lo
	s_addc_u32 s9, s17, s9
	s_clause 0x1
	global_load_b32 v7, v[3:4], off
	global_load_b32 v8, v[5:6], off
	s_or_b32 s12, s16, 32
	s_delay_alu instid0(SALU_CYCLE_1) | instskip(SKIP_2) | instid1(SALU_CYCLE_1)
	s_ashr_i32 s13, s12, 5
	s_cmp_lt_i32 s12, s18
	s_cselect_b32 s12, s13, s3
	s_ashr_i32 s13, s12, 31
	s_delay_alu instid0(SALU_CYCLE_1) | instskip(NEXT) | instid1(SALU_CYCLE_1)
	s_lshl_b64 s[12:13], s[12:13], 2
	s_add_u32 s12, s4, s12
	s_addc_u32 s13, s17, s13
	s_or_b32 s20, s16, 64
	s_delay_alu instid0(SALU_CYCLE_1) | instskip(SKIP_2) | instid1(SALU_CYCLE_1)
	s_ashr_i32 s21, s20, 5
	s_cmp_lt_i32 s20, s18
	s_cselect_b32 s20, s21, s3
	s_ashr_i32 s21, s20, 31
	s_delay_alu instid0(SALU_CYCLE_1) | instskip(NEXT) | instid1(SALU_CYCLE_1)
	s_lshl_b64 s[20:21], s[20:21], 2
	s_add_u32 s20, s4, s20
	s_addc_u32 s21, s17, s21
	;; [unrolled: 10-line block ×5, first 2 shown]
	s_clause 0x5
	s_load_b32 s29, s[8:9], 0x0
	s_load_b32 s33, s[12:13], 0x0
	;; [unrolled: 1-line block ×6, first 2 shown]
	s_mov_b32 s20, 0
	s_or_b32 s8, s16, 0xc0
	s_mov_b32 s21, s20
	s_mov_b32 s22, s20
	;; [unrolled: 1-line block ×7, first 2 shown]
	s_ashr_i32 s9, s8, 5
	v_mov_b32_e32 v117, s27
	s_cmp_lt_i32 s8, s18
	v_mov_b32_e32 v116, s26
	s_cselect_b32 s8, s9, s3
	v_mov_b32_e32 v115, s25
	s_ashr_i32 s9, s8, 31
	v_dual_mov_b32 v114, s24 :: v_dual_mov_b32 v113, s23
	v_dual_mov_b32 v112, s22 :: v_dual_mov_b32 v111, s21
	s_lshl_b64 s[8:9], s[8:9], 2
	s_waitcnt lgkmcnt(0)
	s_mul_hi_i32 s13, s29, s5
	s_add_u32 s8, s4, s8
	s_addc_u32 s9, s17, s9
	s_mul_i32 s12, s29, s5
	v_mov_b32_e32 v110, s20
	s_mul_hi_i32 s21, s33, s5
	s_mul_i32 s20, s33, s5
	s_mul_hi_i32 s25, s34, s5
	s_mul_i32 s24, s34, s5
	;; [unrolled: 2-line block ×4, first 2 shown]
	s_waitcnt vmcnt(1)
	v_mad_i64_i32 v[3:4], null, v7, s5, 0
	s_waitcnt vmcnt(0)
	v_mad_i64_i32 v[5:6], null, v8, s5, 0
	s_delay_alu instid0(VALU_DEP_2) | instskip(NEXT) | instid1(VALU_DEP_2)
	v_lshlrev_b64 v[3:4], 1, v[3:4]
	v_lshlrev_b64 v[1:2], 1, v[5:6]
	s_delay_alu instid0(VALU_DEP_2) | instskip(NEXT) | instid1(VALU_DEP_3)
	v_add_co_u32 v3, vcc_lo, s15, v3
	v_add_co_ci_u32_e32 v4, vcc_lo, s28, v4, vcc_lo
	s_delay_alu instid0(VALU_DEP_3) | instskip(NEXT) | instid1(VALU_DEP_4)
	v_add_co_u32 v1, vcc_lo, s15, v1
	v_add_co_ci_u32_e32 v2, vcc_lo, s28, v2, vcc_lo
	s_delay_alu instid0(VALU_DEP_4) | instskip(NEXT) | instid1(VALU_DEP_4)
	v_add_co_u32 v41, vcc_lo, v3, v81
	v_add_co_ci_u32_e32 v42, vcc_lo, v4, v82, vcc_lo
	s_delay_alu instid0(VALU_DEP_4) | instskip(NEXT) | instid1(VALU_DEP_4)
	v_add_co_u32 v43, vcc_lo, v1, v81
	v_add_co_ci_u32_e32 v44, vcc_lo, v2, v82, vcc_lo
	s_clause 0xf
	global_load_b128 v[1:4], v[41:42], off
	global_load_b128 v[5:8], v[41:42], off offset:512
	global_load_b128 v[9:12], v[43:44], off offset:256
	;; [unrolled: 1-line block ×15, first 2 shown]
	v_add_nc_u32_e32 v41, -14, v73
	v_cmp_gt_u32_e32 vcc_lo, 14, v73
	s_or_b32 s15, s16, 0xe0
	s_delay_alu instid0(SALU_CYCLE_1) | instskip(SKIP_3) | instid1(SALU_CYCLE_1)
	s_ashr_i32 s22, s15, 5
	s_cmp_lt_i32 s15, s18
	v_cndmask_b32_e32 v41, v41, v73, vcc_lo
	s_cselect_b32 s22, s22, s3
	s_ashr_i32 s23, s22, 31
	s_delay_alu instid0(VALU_DEP_1)
	v_lshlrev_b32_e32 v57, 6, v41
	ds_load_b128 v[41:44], v57
	ds_load_b128 v[45:48], v57 offset:1024
	ds_load_b128 v[49:52], v57 offset:2048
	;; [unrolled: 1-line block ×7, first 2 shown]
	s_lshl_b64 s[22:23], s[22:23], 2
	s_delay_alu instid0(SALU_CYCLE_1) | instskip(SKIP_2) | instid1(SALU_CYCLE_1)
	s_add_u32 s22, s4, s22
	s_addc_u32 s23, s17, s23
	s_add_i32 s15, s16, 0x100
	s_ashr_i32 s28, s15, 5
	s_cmp_lt_i32 s15, s18
	s_load_b32 s15, s[8:9], 0x0
	s_cselect_b32 s28, s28, s3
	s_mul_hi_i32 s9, s36, s5
	s_ashr_i32 s29, s28, 31
	s_mul_i32 s8, s36, s5
	s_lshl_b64 s[28:29], s[28:29], 2
	s_delay_alu instid0(SALU_CYCLE_1)
	s_add_u32 s28, s4, s28
	s_addc_u32 s29, s17, s29
	s_add_u32 s3, s10, s6
	s_clause 0x1
	s_load_b32 s4, s[22:23], 0x0
	s_load_b32 s17, s[28:29], 0x0
	s_addc_u32 s28, s11, s7
	s_lshl_b64 s[6:7], s[12:13], 1
	s_lshl_b64 s[10:11], s[20:21], 1
	;; [unrolled: 1-line block ×6, first 2 shown]
	s_waitcnt lgkmcnt(0)
	s_mul_hi_i32 s25, s15, s5
	s_mul_i32 s24, s15, s5
	s_waitcnt vmcnt(14)
	v_wmma_f32_16x16x16_bf16 v[134:141], v[1:8], v[41:48], v[110:117]
	s_waitcnt vmcnt(10)
	s_delay_alu instid0(VALU_DEP_1) | instskip(SKIP_1) | instid1(VALU_DEP_1)
	v_wmma_f32_16x16x16_bf16 v[134:141], v[17:24], v[49:56], v[134:141]
	s_waitcnt vmcnt(6)
	v_wmma_f32_16x16x16_bf16 v[134:141], v[33:40], v[118:125], v[134:141]
	s_waitcnt vmcnt(2)
	s_delay_alu instid0(VALU_DEP_1) | instskip(SKIP_1) | instid1(VALU_DEP_2)
	v_wmma_f32_16x16x16_bf16 v[134:141], v[94:101], v[126:133], v[134:141]
	v_lshlrev_b32_e32 v85, 6, v73
	v_mul_f32_e32 v100, s19, v141
	s_delay_alu instid0(VALU_DEP_2) | instskip(SKIP_2) | instid1(VALU_DEP_3)
	v_lshl_or_b32 v58, v74, 10, v85
	v_wmma_f32_16x16x16_bf16 v[110:117], v[9:16], v[41:48], v[110:117]
	v_mul_f32_e32 v99, s19, v135
	v_add_co_u32 v76, s3, s3, v58
	s_delay_alu instid0(VALU_DEP_1) | instskip(NEXT) | instid1(VALU_DEP_4)
	v_add_co_ci_u32_e64 v77, null, s28, 0, s3
	v_wmma_f32_16x16x16_bf16 v[110:117], v[25:32], v[49:56], v[110:117]
	s_delay_alu instid0(VALU_DEP_3) | instskip(NEXT) | instid1(VALU_DEP_3)
	v_add_co_u32 v57, vcc_lo, v76, s6
	v_add_co_ci_u32_e32 v58, vcc_lo, s7, v77, vcc_lo
	v_add_co_u32 v1, vcc_lo, v76, s10
	v_add_co_ci_u32_e32 v2, vcc_lo, s11, v77, vcc_lo
	v_add_co_u32 v3, vcc_lo, v76, s12
	v_add_co_ci_u32_e32 v4, vcc_lo, s13, v77, vcc_lo
	v_add_co_u32 v5, vcc_lo, v76, s20
	v_add_co_ci_u32_e32 v6, vcc_lo, s21, v77, vcc_lo
	v_add_co_u32 v7, vcc_lo, v76, s8
	v_add_co_ci_u32_e32 v8, vcc_lo, s9, v77, vcc_lo
	s_clause 0x9
	global_load_b128 v[65:68], v[57:58], off
	global_load_b128 v[69:72], v[57:58], off offset:16
	global_load_b128 v[57:60], v[1:2], off
	global_load_b128 v[61:64], v[1:2], off offset:16
	;; [unrolled: 2-line block ×5, first 2 shown]
	v_add_co_u32 v5, vcc_lo, v76, s22
	s_lshl_b64 s[6:7], s[24:25], 1
	v_add_co_ci_u32_e32 v6, vcc_lo, s23, v77, vcc_lo
	s_mul_hi_i32 s9, s4, s5
	s_mul_i32 s8, s4, s5
	v_add_co_u32 v17, vcc_lo, v76, s6
	v_add_co_ci_u32_e32 v18, vcc_lo, s7, v77, vcc_lo
	s_lshl_b64 s[6:7], s[8:9], 1
	s_mul_hi_i32 s9, s17, s5
	s_mul_i32 s8, s17, s5
	v_add_co_u32 v19, vcc_lo, v76, s6
	s_lshl_b64 s[4:5], s[8:9], 1
	v_add_co_ci_u32_e32 v20, vcc_lo, s7, v77, vcc_lo
	v_add_co_u32 v21, vcc_lo, v76, s4
	v_add_co_ci_u32_e32 v22, vcc_lo, s5, v77, vcc_lo
	s_clause 0x7
	global_load_b128 v[1:4], v[5:6], off
	global_load_b128 v[5:8], v[5:6], off offset:16
	global_load_b128 v[33:36], v[17:18], off
	global_load_b128 v[37:40], v[17:18], off offset:16
	;; [unrolled: 2-line block ×4, first 2 shown]
	v_and_b32_e32 v76, 0xe0, v0
	v_mbcnt_lo_u32_b32 v77, -1, 0
	v_wmma_f32_16x16x16_bf16 v[110:117], v[86:93], v[118:125], v[110:117]
	s_waitcnt vmcnt(0)
	s_barrier
	v_add_nc_u32_e32 v76, s16, v76
	v_xor_b32_e32 v78, 16, v77
	v_wmma_f32_16x16x16_bf16 v[110:117], v[102:109], v[126:133], v[110:117]
	v_mul_f32_e32 v97, s19, v134
	buffer_gl0_inv
	v_or_b32_e32 v76, v76, v83
	v_cmp_gt_i32_e32 vcc_lo, 32, v78
	s_delay_alu instid0(VALU_DEP_2)
	v_or_b32_e32 v79, 4, v76
	v_cndmask_b32_e32 v77, v77, v78, vcc_lo
	v_or_b32_e32 v78, 2, v76
	v_or_b32_e32 v80, 6, v76
	v_cmp_gt_i32_e32 vcc_lo, s18, v76
	v_or_b32_e32 v86, 8, v76
	v_or_b32_e32 v87, 10, v76
	v_cmp_gt_i32_e64 s3, s18, v78
	v_or_b32_e32 v88, 12, v76
	v_or_b32_e32 v89, 14, v76
	v_or_b32_e32 v90, 16, v76
	v_or_b32_e32 v91, 18, v76
	v_or_b32_e32 v92, 20, v76
	v_or_b32_e32 v93, 22, v76
	v_or_b32_e32 v94, 24, v76
	v_or_b32_e32 v95, 26, v76
	v_or_b32_e32 v96, 28, v76
	v_or_b32_e32 v98, 30, v76
	v_cndmask_b32_e32 v76, 0xff7fffff, v97, vcc_lo
	v_cndmask_b32_e64 v78, 0xff7fffff, v99, s3
	v_mul_f32_e32 v99, s19, v137
	v_cmp_gt_i32_e64 s4, s18, v80
	v_mul_f32_e32 v80, s19, v136
	v_cmp_gt_i32_e64 s5, s18, v79
	v_max3_f32 v76, v76, 0xff7fffff, v78
	v_dual_mul_f32 v78, s19, v138 :: v_dual_mul_f32 v79, s19, v139
	v_cndmask_b32_e64 v99, 0xff7fffff, v99, s4
	s_delay_alu instid0(VALU_DEP_4)
	v_cndmask_b32_e64 v80, 0xff7fffff, v80, s5
	v_cmp_gt_i32_e64 s6, s18, v86
	v_cmp_gt_i32_e64 s7, s18, v87
	v_mul_f32_e32 v97, s19, v140
	v_cmp_gt_i32_e64 s8, s18, v89
	v_max3_f32 v76, v76, v80, v99
	v_cndmask_b32_e64 v78, 0xff7fffff, v78, s6
	v_cndmask_b32_e64 v79, 0xff7fffff, v79, s7
	v_cmp_gt_i32_e64 s9, s18, v88
	v_dual_mul_f32 v88, s19, v111 :: v_dual_mul_f32 v89, s19, v110
	v_cndmask_b32_e64 v100, 0xff7fffff, v100, s8
	s_delay_alu instid0(VALU_DEP_4) | instskip(NEXT) | instid1(VALU_DEP_4)
	v_max3_f32 v76, v76, v78, v79
	v_cndmask_b32_e64 v97, 0xff7fffff, v97, s9
	v_cmp_gt_i32_e64 s10, s18, v90
	v_cmp_gt_i32_e64 s11, s18, v91
	v_dual_mul_f32 v78, s19, v113 :: v_dual_mul_f32 v79, s19, v112
	s_delay_alu instid0(VALU_DEP_4) | instskip(NEXT) | instid1(VALU_DEP_4)
	v_max3_f32 v76, v76, v97, v100
	v_cndmask_b32_e64 v89, 0xff7fffff, v89, s10
	s_delay_alu instid0(VALU_DEP_4)
	v_cndmask_b32_e64 v88, 0xff7fffff, v88, s11
	v_cmp_gt_i32_e64 s12, s18, v92
	v_cmp_gt_i32_e64 s13, s18, v93
	v_mul_f32_e32 v87, s19, v115
	v_mul_f32_e32 v99, s19, v114
	v_max3_f32 v76, v76, v89, v88
	v_cndmask_b32_e64 v79, 0xff7fffff, v79, s12
	v_cndmask_b32_e64 v78, 0xff7fffff, v78, s13
	v_cmp_gt_i32_e64 s15, s18, v94
	v_cmp_gt_i32_e64 s16, s18, v95
	v_mul_f32_e32 v80, s19, v117
	v_mul_f32_e32 v86, s19, v116
	v_max3_f32 v76, v76, v79, v78
	v_cndmask_b32_e64 v88, 0xff7fffff, v99, s15
	v_cndmask_b32_e64 v87, 0xff7fffff, v87, s16
	v_cmp_gt_i32_e64 s17, s18, v96
	v_cmp_gt_i32_e64 s18, s18, v98
	v_lshlrev_b32_e32 v99, 2, v77
	s_delay_alu instid0(VALU_DEP_4) | instskip(NEXT) | instid1(VALU_DEP_4)
	v_max3_f32 v76, v76, v88, v87
	v_cndmask_b32_e64 v78, 0xff7fffff, v86, s17
	s_delay_alu instid0(VALU_DEP_4) | instskip(NEXT) | instid1(VALU_DEP_1)
	v_cndmask_b32_e64 v79, 0xff7fffff, v80, s18
	v_max3_f32 v76, v76, v78, v79
	ds_bpermute_b32 v77, v99, v76
	s_waitcnt lgkmcnt(0)
	v_max_f32_e32 v77, v77, v77
	s_delay_alu instid0(VALU_DEP_1) | instskip(NEXT) | instid1(VALU_DEP_1)
	v_max_f32_e32 v76, v76, v77
	v_fma_f32 v77, s19, v134, -v76
	v_fma_f32 v78, s19, v135, -v76
	;; [unrolled: 1-line block ×5, first 2 shown]
	s_delay_alu instid0(VALU_DEP_4) | instskip(SKIP_1) | instid1(VALU_DEP_4)
	v_dual_mul_f32 v77, 0x3fb8aa3b, v77 :: v_dual_mul_f32 v78, 0x3fb8aa3b, v78
	v_fma_f32 v88, s19, v114, -v76
	v_dual_mul_f32 v79, 0x3fb8aa3b, v79 :: v_dual_mul_f32 v80, 0x3fb8aa3b, v80
	s_delay_alu instid0(VALU_DEP_3) | instskip(NEXT) | instid1(VALU_DEP_3)
	v_exp_f32_e32 v77, v77
	v_exp_f32_e32 v78, v78
	s_delay_alu instid0(VALU_DEP_2) | instskip(NEXT) | instid1(VALU_DEP_2)
	v_mul_f32_e32 v88, 0x3fb8aa3b, v88
	v_exp_f32_e32 v79, v79
	v_mul_f32_e32 v86, 0x3fb8aa3b, v86
	v_exp_f32_e32 v80, v80
	v_fma_f32 v87, s19, v140, -v76
	v_fma_f32 v100, s19, v117, -v76
	;; [unrolled: 1-line block ×3, first 2 shown]
	v_exp_f32_e32 v86, v86
	v_cndmask_b32_e32 v92, 0, v77, vcc_lo
	v_fma_f32 v77, s19, v139, -v76
	v_cndmask_b32_e64 v91, 0, v78, s3
	v_cndmask_b32_e64 v93, 0, v79, s5
	v_fma_f32 v79, s19, v141, -v76
	s_delay_alu instid0(VALU_DEP_4) | instskip(SKIP_2) | instid1(TRANS32_DEP_1)
	v_dual_add_f32 v78, 0, v92 :: v_dual_mul_f32 v77, 0x3fb8aa3b, v77
	v_cndmask_b32_e64 v95, 0, v80, s4
	v_mul_f32_e32 v87, 0x3fb8aa3b, v87
	v_cndmask_b32_e64 v96, 0, v86, s6
	s_delay_alu instid0(VALU_DEP_4)
	v_add_f32_e32 v78, v78, v91
	v_exp_f32_e32 v77, v77
	v_fma_f32 v86, s19, v111, -v76
	v_fma_f32 v80, s19, v110, -v76
	v_exp_f32_e32 v87, v87
	v_add_f32_e32 v78, v78, v93
	v_mul_f32_e32 v100, 0x3fb8aa3b, v100
	v_mul_f32_e32 v86, 0x3fb8aa3b, v86
	;; [unrolled: 1-line block ×3, first 2 shown]
	v_exp_f32_e32 v88, v88
	v_add_f32_e32 v78, v78, v95
	v_cndmask_b32_e64 v97, 0, v77, s7
	v_exp_f32_e32 v86, v86
	v_exp_f32_e32 v80, v80
	v_cndmask_b32_e64 v94, 0, v87, s9
	v_add_f32_e32 v77, v78, v96
	v_fma_f32 v78, s19, v112, -v76
	v_fma_f32 v87, s19, v113, -v76
	v_exp_f32_e32 v100, v100
	s_mov_b32 s3, exec_lo
	s_delay_alu instid0(VALU_DEP_2) | instskip(NEXT) | instid1(VALU_DEP_2)
	v_dual_add_f32 v77, v77, v97 :: v_dual_mul_f32 v78, 0x3fb8aa3b, v78
	v_mul_f32_e32 v87, 0x3fb8aa3b, v87
	s_delay_alu instid0(VALU_DEP_2) | instskip(SKIP_2) | instid1(VALU_DEP_3)
	v_exp_f32_e32 v89, v78
	v_cndmask_b32_e64 v78, 0, v86, s11
	v_mul_f32_e32 v79, 0x3fb8aa3b, v79
	v_exp_f32_e32 v87, v87
	s_delay_alu instid0(VALU_DEP_1)
	v_exp_f32_e32 v79, v79
	s_waitcnt_depctr 0xfff
	v_cndmask_b32_e64 v98, 0, v79, s8
	v_add_f32_e32 v79, v77, v94
	v_cndmask_b32_e64 v77, 0, v80, s10
	v_fma_f32 v80, s19, v115, -v76
	s_delay_alu instid0(VALU_DEP_1) | instskip(NEXT) | instid1(VALU_DEP_1)
	v_dual_add_f32 v79, v79, v98 :: v_dual_mul_f32 v80, 0x3fb8aa3b, v80
	v_add_f32_e32 v86, v79, v77
	v_cndmask_b32_e64 v79, 0, v89, s12
	v_mul_f32_e32 v89, 0x3fb8aa3b, v90
	s_delay_alu instid0(VALU_DEP_4) | instskip(SKIP_2) | instid1(VALU_DEP_3)
	v_exp_f32_e32 v90, v80
	v_cndmask_b32_e64 v80, 0, v87, s13
	v_add_f32_e32 v86, v86, v78
	v_exp_f32_e32 v89, v89
	s_delay_alu instid0(VALU_DEP_1) | instskip(SKIP_1) | instid1(VALU_DEP_2)
	v_add_f32_e32 v87, v86, v79
	v_cndmask_b32_e64 v86, 0, v88, s15
	v_add_f32_e32 v88, v87, v80
	s_delay_alu instid0(TRANS32_DEP_2) | instskip(NEXT) | instid1(VALU_DEP_2)
	v_cndmask_b32_e64 v87, 0, v90, s16
	v_add_f32_e32 v90, v88, v86
	s_waitcnt_depctr 0xfff
	v_cndmask_b32_e64 v88, 0, v89, s17
	v_add_f32_e32 v89, v90, v87
	s_delay_alu instid0(VALU_DEP_1) | instskip(SKIP_1) | instid1(VALU_DEP_1)
	v_add_f32_e32 v90, v89, v88
	v_cndmask_b32_e64 v89, 0, v100, s18
	v_add_f32_e32 v90, v90, v89
	ds_bpermute_b32 v99, v99, v90
	v_cmpx_gt_u32_e32 16, v75
	s_cbranch_execz .LBB531_14
; %bb.13:
	v_mul_u32_u24_e32 v75, 0x44, v74
	s_waitcnt lgkmcnt(0)
	v_add_f32_e32 v90, v90, v99
	s_delay_alu instid0(VALU_DEP_2) | instskip(NEXT) | instid1(VALU_DEP_1)
	v_lshl_add_u32 v75, v73, 2, v75
	v_add_nc_u32_e32 v75, 0x4000, v75
	ds_store_2addr_b32 v75, v76, v90 offset1:136
.LBB531_14:
	s_or_b32 exec_lo, exec_lo, s3
	v_lshlrev_b32_e32 v75, 2, v73
	s_waitcnt lgkmcnt(0)
	s_barrier
	buffer_gl0_inv
	v_cmp_eq_u32_e64 s3, 1, v74
	v_add_nc_u32_e32 v90, 0x4000, v75
	ds_load_2addr_b32 v[99:100], v90 offset1:17
	ds_load_2addr_b32 v[101:102], v90 offset0:34 offset1:51
	ds_load_2addr_b32 v[103:104], v90 offset0:68 offset1:85
	ds_load_2addr_b32 v[105:106], v90 offset0:102 offset1:119
	ds_load_2addr_b32 v[107:108], v90 offset0:136 offset1:153
	s_waitcnt lgkmcnt(4)
	v_max3_f32 v75, v99, 0xff7fffff, v100
	s_waitcnt lgkmcnt(3)
	s_delay_alu instid0(VALU_DEP_1) | instskip(SKIP_1) | instid1(VALU_DEP_1)
	v_max3_f32 v75, v75, v101, v102
	s_waitcnt lgkmcnt(2)
	v_max3_f32 v75, v75, v103, v104
	s_waitcnt lgkmcnt(1)
	s_delay_alu instid0(VALU_DEP_1) | instskip(NEXT) | instid1(VALU_DEP_1)
	v_max3_f32 v75, v75, v105, v106
	v_sub_f32_e32 v109, v100, v75
	v_sub_f32_e32 v76, v99, v75
	ds_load_2addr_b32 v[99:100], v90 offset0:170 offset1:187
	v_sub_f32_e32 v101, v101, v75
	v_dual_mul_f32 v109, 0x3fb8aa3b, v109 :: v_dual_mul_f32 v76, 0x3fb8aa3b, v76
	s_delay_alu instid0(VALU_DEP_2) | instskip(NEXT) | instid1(VALU_DEP_2)
	v_mul_f32_e32 v111, 0x3fb8aa3b, v101
	v_exp_f32_e32 v109, v109
	s_delay_alu instid0(VALU_DEP_2)
	v_exp_f32_e32 v110, v76
	v_sub_f32_e32 v76, v102, v75
	ds_load_2addr_b32 v[101:102], v90 offset0:204 offset1:221
	v_exp_f32_e32 v111, v111
	v_mul_f32_e32 v112, 0x3fb8aa3b, v76
	s_waitcnt lgkmcnt(2)
	v_fma_f32 v76, v110, v107, 0
	v_sub_f32_e32 v103, v103, v75
	s_delay_alu instid0(VALU_DEP_3) | instskip(NEXT) | instid1(VALU_DEP_2)
	v_exp_f32_e32 v112, v112
	v_dual_sub_f32 v107, v104, v75 :: v_dual_fmac_f32 v76, v109, v108
	s_waitcnt lgkmcnt(1)
	s_waitcnt_depctr 0xfff
	v_fmac_f32_e32 v76, v111, v99
	v_mul_f32_e32 v113, 0x3fb8aa3b, v103
	ds_load_2addr_b32 v[103:104], v90 offset0:238 offset1:255
	v_sub_f32_e32 v90, v105, v75
	v_dual_sub_f32 v99, v106, v75 :: v_dual_fmac_f32 v76, v112, v100
	v_mul_f32_e32 v105, 0x3fb8aa3b, v107
	v_exp_f32_e32 v107, v113
	s_delay_alu instid0(VALU_DEP_2)
	v_dual_mul_f32 v90, 0x3fb8aa3b, v90 :: v_dual_mul_f32 v99, 0x3fb8aa3b, v99
	s_waitcnt lgkmcnt(0)
	s_barrier
	buffer_gl0_inv
	v_exp_f32_e32 v90, v90
	v_exp_f32_e32 v99, v99
	v_fmac_f32_e32 v76, v107, v101
	v_exp_f32_e32 v105, v105
	s_waitcnt_depctr 0xfff
	v_fmac_f32_e32 v76, v105, v102
	s_delay_alu instid0(VALU_DEP_1) | instskip(NEXT) | instid1(VALU_DEP_1)
	v_fmac_f32_e32 v76, v90, v103
	v_fmac_f32_e32 v76, v99, v104
	s_delay_alu instid0(VALU_DEP_1) | instskip(NEXT) | instid1(VALU_DEP_1)
	v_add_f32_e32 v100, 0x358637bd, v76
	v_div_scale_f32 v101, null, v100, v100, 1.0
	v_div_scale_f32 v104, vcc_lo, 1.0, v100, 1.0
	s_delay_alu instid0(VALU_DEP_2) | instskip(SKIP_2) | instid1(VALU_DEP_1)
	v_rcp_f32_e32 v102, v101
	s_waitcnt_depctr 0xfff
	v_fma_f32 v103, -v101, v102, 1.0
	v_fmac_f32_e32 v102, v103, v102
	v_cndmask_b32_e64 v103, v110, v109, s3
	v_cmp_eq_u32_e64 s3, 2, v74
	s_delay_alu instid0(VALU_DEP_3) | instskip(NEXT) | instid1(VALU_DEP_2)
	v_mul_f32_e32 v106, v104, v102
	v_cndmask_b32_e64 v103, v103, v111, s3
	v_cmp_eq_u32_e64 s3, 3, v74
	s_delay_alu instid0(VALU_DEP_3) | instskip(NEXT) | instid1(VALU_DEP_2)
	v_fma_f32 v108, -v101, v106, v104
	v_cndmask_b32_e64 v103, v103, v112, s3
	v_cmp_eq_u32_e64 s3, 4, v74
	s_delay_alu instid0(VALU_DEP_3) | instskip(NEXT) | instid1(VALU_DEP_2)
	v_fmac_f32_e32 v106, v108, v102
	v_cndmask_b32_e64 v103, v103, v107, s3
	s_delay_alu instid0(VALU_DEP_2) | instskip(SKIP_1) | instid1(VALU_DEP_2)
	v_fma_f32 v101, -v101, v106, v104
	v_cmp_eq_u32_e64 s3, 5, v74
	v_div_fmas_f32 v101, v101, v102, v106
	s_delay_alu instid0(VALU_DEP_2) | instskip(SKIP_2) | instid1(VALU_DEP_3)
	v_cndmask_b32_e64 v103, v103, v105, s3
	v_cmp_eq_u32_e32 vcc_lo, 6, v74
	s_mov_b32 s3, exec_lo
	v_div_fixup_f32 v100, v101, v100, 1.0
	s_delay_alu instid0(VALU_DEP_3) | instskip(SKIP_1) | instid1(VALU_DEP_2)
	v_cndmask_b32_e32 v90, v103, v90, vcc_lo
	v_cmp_eq_u32_e32 vcc_lo, 7, v74
	v_cndmask_b32_e32 v90, v90, v99, vcc_lo
	s_delay_alu instid0(VALU_DEP_1) | instskip(NEXT) | instid1(VALU_DEP_1)
	v_mul_f32_e32 v90, v90, v100
	v_mul_f32_e32 v100, v90, v92
	;; [unrolled: 1-line block ×6, first 2 shown]
	v_and_b32_e32 v101, 0x7f800000, v100
	v_mul_f32_e32 v99, v90, v95
	v_mul_f32_e32 v95, v90, v91
	;; [unrolled: 1-line block ×3, first 2 shown]
                                        ; implicit-def: $vgpr91
	s_delay_alu instid0(VALU_DEP_4)
	v_cmpx_ne_u32_e32 0x7f800000, v101
	s_xor_b32 s3, exec_lo, s3
; %bb.15:
	v_bfe_u32 v91, v100, 16, 1
	s_delay_alu instid0(VALU_DEP_1)
	v_add3_u32 v91, v100, v91, 0x7fff
                                        ; implicit-def: $vgpr100
; %bb.16:
	s_and_not1_saveexec_b32 s3, s3
; %bb.17:
	v_and_b32_e32 v91, 0xffff, v100
	v_or_b32_e32 v93, 0x10000, v100
	s_delay_alu instid0(VALU_DEP_2) | instskip(NEXT) | instid1(VALU_DEP_2)
	v_cmp_eq_u32_e32 vcc_lo, 0, v91
	v_cndmask_b32_e32 v91, v93, v100, vcc_lo
; %bb.18:
	s_or_b32 exec_lo, exec_lo, s3
	v_and_b32_e32 v93, 0x7f800000, v95
	s_delay_alu instid0(VALU_DEP_1) | instskip(SKIP_1) | instid1(SALU_CYCLE_1)
	v_cmp_ne_u32_e32 vcc_lo, 0x7f800000, v93
                                        ; implicit-def: $vgpr93
	s_and_saveexec_b32 s3, vcc_lo
	s_xor_b32 s3, exec_lo, s3
; %bb.19:
	v_bfe_u32 v93, v95, 16, 1
	s_delay_alu instid0(VALU_DEP_1)
	v_add3_u32 v93, v95, v93, 0x7fff
                                        ; implicit-def: $vgpr95
; %bb.20:
	s_and_not1_saveexec_b32 s3, s3
; %bb.21:
	v_and_b32_e32 v93, 0xffff, v95
	v_or_b32_e32 v100, 0x10000, v95
	s_delay_alu instid0(VALU_DEP_2) | instskip(NEXT) | instid1(VALU_DEP_2)
	v_cmp_eq_u32_e32 vcc_lo, 0, v93
	v_cndmask_b32_e32 v93, v100, v95, vcc_lo
; %bb.22:
	s_or_b32 exec_lo, exec_lo, s3
	v_and_b32_e32 v95, 0x7f800000, v96
	s_delay_alu instid0(VALU_DEP_1) | instskip(SKIP_1) | instid1(SALU_CYCLE_1)
	v_cmp_ne_u32_e32 vcc_lo, 0x7f800000, v95
                                        ; implicit-def: $vgpr95
	s_and_saveexec_b32 s3, vcc_lo
	s_xor_b32 s3, exec_lo, s3
; %bb.23:
	v_bfe_u32 v95, v96, 16, 1
	s_delay_alu instid0(VALU_DEP_1)
	v_add3_u32 v95, v96, v95, 0x7fff
                                        ; implicit-def: $vgpr96
; %bb.24:
	s_and_not1_saveexec_b32 s3, s3
; %bb.25:
	v_and_b32_e32 v95, 0xffff, v96
	v_or_b32_e32 v100, 0x10000, v96
	s_delay_alu instid0(VALU_DEP_2) | instskip(NEXT) | instid1(VALU_DEP_2)
	v_cmp_eq_u32_e32 vcc_lo, 0, v95
	v_cndmask_b32_e32 v95, v100, v96, vcc_lo
; %bb.26:
	s_or_b32 exec_lo, exec_lo, s3
	v_and_b32_e32 v96, 0x7f800000, v99
	s_delay_alu instid0(VALU_DEP_1) | instskip(SKIP_1) | instid1(SALU_CYCLE_1)
	v_cmp_ne_u32_e32 vcc_lo, 0x7f800000, v96
                                        ; implicit-def: $vgpr96
	s_and_saveexec_b32 s3, vcc_lo
	s_xor_b32 s3, exec_lo, s3
; %bb.27:
	v_bfe_u32 v96, v99, 16, 1
	s_delay_alu instid0(VALU_DEP_1)
	v_add3_u32 v96, v99, v96, 0x7fff
                                        ; implicit-def: $vgpr99
; %bb.28:
	s_and_not1_saveexec_b32 s3, s3
; %bb.29:
	v_and_b32_e32 v96, 0xffff, v99
	v_or_b32_e32 v100, 0x10000, v99
	s_delay_alu instid0(VALU_DEP_2) | instskip(NEXT) | instid1(VALU_DEP_2)
	v_cmp_eq_u32_e32 vcc_lo, 0, v96
	v_cndmask_b32_e32 v96, v100, v99, vcc_lo
; %bb.30:
	s_or_b32 exec_lo, exec_lo, s3
	v_and_b32_e32 v99, 0x7f800000, v98
	s_delay_alu instid0(VALU_DEP_1) | instskip(SKIP_1) | instid1(SALU_CYCLE_1)
	v_cmp_ne_u32_e32 vcc_lo, 0x7f800000, v99
                                        ; implicit-def: $vgpr99
	s_and_saveexec_b32 s3, vcc_lo
	s_xor_b32 s3, exec_lo, s3
; %bb.31:
	v_bfe_u32 v99, v98, 16, 1
	s_delay_alu instid0(VALU_DEP_1)
	v_add3_u32 v99, v98, v99, 0x7fff
                                        ; implicit-def: $vgpr98
; %bb.32:
	s_and_not1_saveexec_b32 s3, s3
; %bb.33:
	v_and_b32_e32 v99, 0xffff, v98
	v_or_b32_e32 v100, 0x10000, v98
	s_delay_alu instid0(VALU_DEP_2) | instskip(NEXT) | instid1(VALU_DEP_2)
	v_cmp_eq_u32_e32 vcc_lo, 0, v99
	v_cndmask_b32_e32 v99, v100, v98, vcc_lo
; %bb.34:
	s_or_b32 exec_lo, exec_lo, s3
	v_and_b32_e32 v98, 0x7f800000, v97
	s_delay_alu instid0(VALU_DEP_1) | instskip(SKIP_1) | instid1(SALU_CYCLE_1)
	v_cmp_ne_u32_e32 vcc_lo, 0x7f800000, v98
                                        ; implicit-def: $vgpr98
	s_and_saveexec_b32 s3, vcc_lo
	s_xor_b32 s3, exec_lo, s3
; %bb.35:
	v_bfe_u32 v98, v97, 16, 1
	s_delay_alu instid0(VALU_DEP_1)
	v_add3_u32 v98, v97, v98, 0x7fff
                                        ; implicit-def: $vgpr97
; %bb.36:
	s_and_not1_saveexec_b32 s3, s3
; %bb.37:
	v_and_b32_e32 v98, 0xffff, v97
	v_or_b32_e32 v100, 0x10000, v97
	s_delay_alu instid0(VALU_DEP_2) | instskip(NEXT) | instid1(VALU_DEP_2)
	v_cmp_eq_u32_e32 vcc_lo, 0, v98
	v_cndmask_b32_e32 v98, v100, v97, vcc_lo
; %bb.38:
	s_or_b32 exec_lo, exec_lo, s3
	v_and_b32_e32 v97, 0x7f800000, v94
	s_delay_alu instid0(VALU_DEP_1) | instskip(SKIP_1) | instid1(SALU_CYCLE_1)
	v_cmp_ne_u32_e32 vcc_lo, 0x7f800000, v97
                                        ; implicit-def: $vgpr97
	s_and_saveexec_b32 s3, vcc_lo
	s_xor_b32 s3, exec_lo, s3
; %bb.39:
	v_bfe_u32 v97, v94, 16, 1
	s_delay_alu instid0(VALU_DEP_1)
	v_add3_u32 v97, v94, v97, 0x7fff
                                        ; implicit-def: $vgpr94
; %bb.40:
	s_and_not1_saveexec_b32 s3, s3
; %bb.41:
	v_and_b32_e32 v97, 0xffff, v94
	v_or_b32_e32 v100, 0x10000, v94
	s_delay_alu instid0(VALU_DEP_2) | instskip(NEXT) | instid1(VALU_DEP_2)
	v_cmp_eq_u32_e32 vcc_lo, 0, v97
	v_cndmask_b32_e32 v97, v100, v94, vcc_lo
; %bb.42:
	s_or_b32 exec_lo, exec_lo, s3
	v_and_b32_e32 v94, 0x7f800000, v92
	s_delay_alu instid0(VALU_DEP_1) | instskip(SKIP_1) | instid1(SALU_CYCLE_1)
	v_cmp_ne_u32_e32 vcc_lo, 0x7f800000, v94
                                        ; implicit-def: $vgpr94
	s_and_saveexec_b32 s3, vcc_lo
	s_xor_b32 s3, exec_lo, s3
; %bb.43:
	v_bfe_u32 v94, v92, 16, 1
	s_delay_alu instid0(VALU_DEP_1)
	v_add3_u32 v94, v92, v94, 0x7fff
                                        ; implicit-def: $vgpr92
; %bb.44:
	s_and_not1_saveexec_b32 s3, s3
; %bb.45:
	v_and_b32_e32 v94, 0xffff, v92
	v_or_b32_e32 v100, 0x10000, v92
	s_delay_alu instid0(VALU_DEP_2) | instskip(NEXT) | instid1(VALU_DEP_2)
	v_cmp_eq_u32_e32 vcc_lo, 0, v94
	v_cndmask_b32_e32 v94, v100, v92, vcc_lo
; %bb.46:
	s_or_b32 exec_lo, exec_lo, s3
	s_load_b64 s[34:35], s[0:1], 0x94
	v_lshlrev_b32_e32 v92, 4, v83
	s_delay_alu instid0(VALU_DEP_2)
	v_perm_b32 v100, v94, v97, 0x7060302
	v_dual_mul_f32 v89, v90, v89 :: v_dual_lshlrev_b32 v94, 11, v74
	v_perm_b32 v97, v93, v91, 0x7060302
	v_mul_f32_e32 v93, v90, v77
	v_perm_b32 v99, v98, v99, 0x7060302
	v_perm_b32 v98, v96, v95, 0x7060302
	v_or3_b32 v77, v92, v94, v85
	v_mul_f32_e32 v88, v90, v88
	v_dual_mul_f32 v87, v90, v87 :: v_dual_and_b32 v94, 0x7f800000, v93
	v_mul_f32_e32 v86, v90, v86
	v_mul_f32_e32 v91, v90, v80
	;; [unrolled: 1-line block ×4, first 2 shown]
	s_mov_b32 s3, exec_lo
	ds_store_b128 v77, v[97:100]
                                        ; implicit-def: $vgpr78
	v_cmpx_ne_u32_e32 0x7f800000, v94
	s_xor_b32 s3, exec_lo, s3
; %bb.47:
	v_bfe_u32 v78, v93, 16, 1
	s_delay_alu instid0(VALU_DEP_1)
	v_add3_u32 v78, v93, v78, 0x7fff
                                        ; implicit-def: $vgpr93
; %bb.48:
	s_and_not1_saveexec_b32 s3, s3
; %bb.49:
	v_and_b32_e32 v78, 0xffff, v93
	v_or_b32_e32 v79, 0x10000, v93
	s_delay_alu instid0(VALU_DEP_2) | instskip(NEXT) | instid1(VALU_DEP_2)
	v_cmp_eq_u32_e32 vcc_lo, 0, v78
	v_cndmask_b32_e32 v78, v79, v93, vcc_lo
; %bb.50:
	s_or_b32 exec_lo, exec_lo, s3
	v_and_b32_e32 v79, 0x7f800000, v80
	s_delay_alu instid0(VALU_DEP_1) | instskip(SKIP_1) | instid1(SALU_CYCLE_1)
	v_cmp_ne_u32_e32 vcc_lo, 0x7f800000, v79
                                        ; implicit-def: $vgpr79
	s_and_saveexec_b32 s3, vcc_lo
	s_xor_b32 s3, exec_lo, s3
; %bb.51:
	v_bfe_u32 v79, v80, 16, 1
	s_delay_alu instid0(VALU_DEP_1)
	v_add3_u32 v79, v80, v79, 0x7fff
                                        ; implicit-def: $vgpr80
; %bb.52:
	s_and_not1_saveexec_b32 s3, s3
; %bb.53:
	v_and_b32_e32 v79, 0xffff, v80
	v_or_b32_e32 v90, 0x10000, v80
	s_delay_alu instid0(VALU_DEP_2) | instskip(NEXT) | instid1(VALU_DEP_2)
	v_cmp_eq_u32_e32 vcc_lo, 0, v79
	v_cndmask_b32_e32 v79, v90, v80, vcc_lo
; %bb.54:
	s_or_b32 exec_lo, exec_lo, s3
	v_and_b32_e32 v80, 0x7f800000, v92
	s_delay_alu instid0(VALU_DEP_1) | instskip(SKIP_1) | instid1(SALU_CYCLE_1)
	v_cmp_ne_u32_e32 vcc_lo, 0x7f800000, v80
                                        ; implicit-def: $vgpr80
	s_and_saveexec_b32 s3, vcc_lo
	s_xor_b32 s3, exec_lo, s3
; %bb.55:
	v_bfe_u32 v80, v92, 16, 1
	s_delay_alu instid0(VALU_DEP_1)
	v_add3_u32 v80, v92, v80, 0x7fff
                                        ; implicit-def: $vgpr92
; %bb.56:
	s_and_not1_saveexec_b32 s3, s3
; %bb.57:
	v_and_b32_e32 v80, 0xffff, v92
	v_or_b32_e32 v90, 0x10000, v92
	s_delay_alu instid0(VALU_DEP_2) | instskip(NEXT) | instid1(VALU_DEP_2)
	v_cmp_eq_u32_e32 vcc_lo, 0, v80
	v_cndmask_b32_e32 v80, v90, v92, vcc_lo
; %bb.58:
	s_or_b32 exec_lo, exec_lo, s3
	v_and_b32_e32 v90, 0x7f800000, v91
	s_delay_alu instid0(VALU_DEP_1) | instskip(SKIP_1) | instid1(SALU_CYCLE_1)
	v_cmp_ne_u32_e32 vcc_lo, 0x7f800000, v90
                                        ; implicit-def: $vgpr90
	s_and_saveexec_b32 s3, vcc_lo
	s_xor_b32 s3, exec_lo, s3
; %bb.59:
	v_bfe_u32 v90, v91, 16, 1
	s_delay_alu instid0(VALU_DEP_1)
	v_add3_u32 v90, v91, v90, 0x7fff
                                        ; implicit-def: $vgpr91
; %bb.60:
	s_and_not1_saveexec_b32 s3, s3
; %bb.61:
	v_and_b32_e32 v90, 0xffff, v91
	v_or_b32_e32 v92, 0x10000, v91
	s_delay_alu instid0(VALU_DEP_2) | instskip(NEXT) | instid1(VALU_DEP_2)
	v_cmp_eq_u32_e32 vcc_lo, 0, v90
	v_cndmask_b32_e32 v90, v92, v91, vcc_lo
; %bb.62:
	s_or_b32 exec_lo, exec_lo, s3
	v_and_b32_e32 v91, 0x7f800000, v86
	s_delay_alu instid0(VALU_DEP_1) | instskip(SKIP_1) | instid1(SALU_CYCLE_1)
	v_cmp_ne_u32_e32 vcc_lo, 0x7f800000, v91
                                        ; implicit-def: $vgpr91
	s_and_saveexec_b32 s3, vcc_lo
	s_xor_b32 s3, exec_lo, s3
; %bb.63:
	v_bfe_u32 v91, v86, 16, 1
	s_delay_alu instid0(VALU_DEP_1)
	v_add3_u32 v91, v86, v91, 0x7fff
                                        ; implicit-def: $vgpr86
; %bb.64:
	s_and_not1_saveexec_b32 s3, s3
; %bb.65:
	v_and_b32_e32 v91, 0xffff, v86
	v_or_b32_e32 v92, 0x10000, v86
	s_delay_alu instid0(VALU_DEP_2) | instskip(NEXT) | instid1(VALU_DEP_2)
	v_cmp_eq_u32_e32 vcc_lo, 0, v91
	v_cndmask_b32_e32 v91, v92, v86, vcc_lo
; %bb.66:
	s_or_b32 exec_lo, exec_lo, s3
	v_and_b32_e32 v86, 0x7f800000, v87
	s_delay_alu instid0(VALU_DEP_1) | instskip(SKIP_1) | instid1(SALU_CYCLE_1)
	v_cmp_ne_u32_e32 vcc_lo, 0x7f800000, v86
                                        ; implicit-def: $vgpr86
	s_and_saveexec_b32 s3, vcc_lo
	s_xor_b32 s3, exec_lo, s3
; %bb.67:
	v_bfe_u32 v86, v87, 16, 1
	s_delay_alu instid0(VALU_DEP_1)
	v_add3_u32 v86, v87, v86, 0x7fff
                                        ; implicit-def: $vgpr87
; %bb.68:
	s_and_not1_saveexec_b32 s3, s3
; %bb.69:
	v_and_b32_e32 v86, 0xffff, v87
	v_or_b32_e32 v92, 0x10000, v87
	s_delay_alu instid0(VALU_DEP_2) | instskip(NEXT) | instid1(VALU_DEP_2)
	v_cmp_eq_u32_e32 vcc_lo, 0, v86
	v_cndmask_b32_e32 v86, v92, v87, vcc_lo
; %bb.70:
	s_or_b32 exec_lo, exec_lo, s3
	v_and_b32_e32 v87, 0x7f800000, v88
	s_delay_alu instid0(VALU_DEP_1) | instskip(SKIP_1) | instid1(SALU_CYCLE_1)
	v_cmp_ne_u32_e32 vcc_lo, 0x7f800000, v87
                                        ; implicit-def: $vgpr87
	s_and_saveexec_b32 s3, vcc_lo
	s_xor_b32 s3, exec_lo, s3
; %bb.71:
	v_bfe_u32 v87, v88, 16, 1
	s_delay_alu instid0(VALU_DEP_1)
	v_add3_u32 v87, v88, v87, 0x7fff
                                        ; implicit-def: $vgpr88
; %bb.72:
	s_and_not1_saveexec_b32 s3, s3
; %bb.73:
	v_and_b32_e32 v87, 0xffff, v88
	v_or_b32_e32 v92, 0x10000, v88
	s_delay_alu instid0(VALU_DEP_2) | instskip(NEXT) | instid1(VALU_DEP_2)
	v_cmp_eq_u32_e32 vcc_lo, 0, v87
	v_cndmask_b32_e32 v87, v92, v88, vcc_lo
; %bb.74:
	s_or_b32 exec_lo, exec_lo, s3
	v_and_b32_e32 v88, 0x7f800000, v89
	s_delay_alu instid0(VALU_DEP_1) | instskip(SKIP_1) | instid1(SALU_CYCLE_1)
	v_cmp_ne_u32_e32 vcc_lo, 0x7f800000, v88
                                        ; implicit-def: $vgpr88
	s_and_saveexec_b32 s3, vcc_lo
	s_xor_b32 s3, exec_lo, s3
; %bb.75:
	v_bfe_u32 v88, v89, 16, 1
	s_delay_alu instid0(VALU_DEP_1)
	v_add3_u32 v88, v89, v88, 0x7fff
                                        ; implicit-def: $vgpr89
; %bb.76:
	s_and_not1_saveexec_b32 s3, s3
; %bb.77:
	v_and_b32_e32 v88, 0xffff, v89
	v_or_b32_e32 v92, 0x10000, v89
	s_delay_alu instid0(VALU_DEP_2) | instskip(NEXT) | instid1(VALU_DEP_2)
	v_cmp_eq_u32_e32 vcc_lo, 0, v88
	v_cndmask_b32_e32 v88, v92, v89, vcc_lo
; %bb.78:
	s_or_b32 exec_lo, exec_lo, s3
	s_delay_alu instid0(VALU_DEP_1)
	v_perm_b32 v89, v88, v87, 0x7060302
	v_perm_b32 v88, v86, v91, 0x7060302
	;; [unrolled: 1-line block ×4, first 2 shown]
	v_lshl_or_b32 v90, v74, 11, v85
	ds_store_b128 v77, v[86:89] offset:1024
	s_waitcnt lgkmcnt(0)
	s_barrier
	buffer_gl0_inv
	ds_load_b128 v[91:94], v90
	ds_load_b128 v[95:98], v90 offset:16
	v_lshlrev_b32_e32 v87, 2, v83
	s_delay_alu instid0(VALU_DEP_1)
	v_or_b32_e32 v88, 1, v87
	v_cmp_eq_u32_e32 vcc_lo, 1, v87
	v_cmp_eq_u32_e64 s4, 2, v87
	v_cmp_eq_u32_e64 s7, 3, v87
	v_cmp_eq_u32_e64 s9, 4, v87
	v_cmp_eq_u32_e64 s3, 1, v88
	v_cmp_eq_u32_e64 s6, 2, v88
	v_cmp_eq_u32_e64 s8, 3, v88
	v_or_b32_e32 v86, 2, v87
	v_cmp_eq_u32_e64 s10, 5, v87
	v_cmp_eq_u32_e64 s11, 4, v88
	;; [unrolled: 1-line block ×4, first 2 shown]
	s_waitcnt lgkmcnt(1)
	v_lshrrev_b32_e32 v74, 16, v91
	s_waitcnt lgkmcnt(0)
	v_lshrrev_b32_e32 v103, 16, v95
	v_lshrrev_b32_e32 v80, 16, v94
	;; [unrolled: 1-line block ×4, first 2 shown]
	v_cndmask_b32_e32 v89, v91, v74, vcc_lo
	v_cndmask_b32_e32 v99, v95, v103, vcc_lo
	v_cndmask_b32_e64 v100, v91, v74, s3
	v_lshrrev_b32_e32 v79, 16, v93
	v_lshrrev_b32_e32 v108, 16, v97
	v_cndmask_b32_e64 v89, v89, v92, s4
	v_cndmask_b32_e64 v99, v99, v96, s4
	;; [unrolled: 1-line block ×4, first 2 shown]
	v_cmp_eq_u32_e64 s5, 1, v86
	v_cndmask_b32_e64 v89, v89, v78, s7
	v_cndmask_b32_e64 v99, v99, v107, s7
	;; [unrolled: 1-line block ×4, first 2 shown]
	v_lshrrev_b32_e32 v109, 16, v98
	v_cndmask_b32_e64 v89, v89, v93, s9
	v_cndmask_b32_e64 v99, v99, v97, s9
	;; [unrolled: 1-line block ×8, first 2 shown]
	v_cmp_eq_u32_e64 s15, 7, v87
	v_cmp_eq_u32_e64 s16, 6, v88
	v_cndmask_b32_e64 v89, v89, v94, s12
	v_cndmask_b32_e64 v99, v99, v98, s12
	v_cmp_eq_u32_e64 s17, 2, v86
	v_cndmask_b32_e64 v101, v101, v97, s11
	v_cndmask_b32_e64 v100, v100, v94, s16
	;; [unrolled: 1-line block ×6, first 2 shown]
	v_cmp_eq_u32_e64 s18, 7, v88
	v_cmp_eq_u32_e64 s19, 3, v86
	;; [unrolled: 1-line block ×4, first 2 shown]
	v_cndmask_b32_e64 v99, v99, v96, s17
	v_cndmask_b32_e64 v112, v100, v80, s18
	;; [unrolled: 1-line block ×4, first 2 shown]
	v_or_b32_e32 v89, 3, v87
	v_cndmask_b32_e64 v105, v99, v107, s19
	v_cmp_eq_u32_e64 s24, 6, v86
	v_cndmask_b32_e64 v113, v100, v98, s16
	v_cndmask_b32_e64 v104, v101, v93, s20
	ds_load_b128 v[99:102], v90 offset:1024
	v_cmp_eq_u32_e64 s21, 1, v89
	v_cmp_eq_u32_e64 s23, 2, v89
	;; [unrolled: 1-line block ×3, first 2 shown]
	v_cndmask_b32_e64 v114, v104, v79, s22
	v_cmp_eq_u32_e64 s26, 4, v89
	v_cndmask_b32_e64 v74, v91, v74, s21
	v_cndmask_b32_e64 v91, v105, v97, s20
	;; [unrolled: 1-line block ×3, first 2 shown]
	ds_load_b128 v[103:106], v90 offset:1040
	v_cmp_eq_u32_e64 s28, 5, v89
	v_cndmask_b32_e64 v74, v74, v92, s23
	v_cndmask_b32_e64 v91, v91, v108, s22
	;; [unrolled: 1-line block ×3, first 2 shown]
	v_cmp_eq_u32_e64 s29, 6, v89
	v_cndmask_b32_e64 v95, v113, v109, s18
	v_cndmask_b32_e64 v74, v74, v78, s25
	;; [unrolled: 1-line block ×5, first 2 shown]
	s_waitcnt lgkmcnt(1)
	v_lshrrev_b32_e32 v96, 16, v99
	v_cndmask_b32_e64 v74, v74, v93, s26
	v_lshrrev_b32_e32 v107, 16, v100
	v_cndmask_b32_e64 v92, v92, v97, s26
	v_cmp_eq_u32_e64 s27, 7, v86
	v_cndmask_b32_e32 v93, v99, v96, vcc_lo
	v_cndmask_b32_e64 v74, v74, v79, s28
	s_delay_alu instid0(VALU_DEP_4)
	v_cndmask_b32_e64 v79, v92, v108, s28
	s_waitcnt lgkmcnt(0)
	v_lshrrev_b32_e32 v97, 16, v103
	v_cndmask_b32_e64 v92, v93, v100, s4
	v_cndmask_b32_e64 v93, v99, v96, s3
	v_cndmask_b32_e64 v74, v74, v94, s29
	v_cndmask_b32_e64 v79, v79, v98, s29
	v_cndmask_b32_e32 v108, v103, v97, vcc_lo
	v_cndmask_b32_e64 v92, v92, v107, s7
	v_cndmask_b32_e64 v93, v93, v100, s6
	v_lshrrev_b32_e32 v98, 16, v104
	v_cmp_eq_u32_e32 vcc_lo, 7, v89
	v_cndmask_b32_e64 v94, v108, v104, s4
	v_cndmask_b32_e64 v92, v92, v101, s9
	v_lshrrev_b32_e32 v108, 16, v101
	v_cndmask_b32_e64 v93, v93, v107, s8
	v_cndmask_b32_e32 v74, v74, v80, vcc_lo
	v_cndmask_b32_e64 v94, v94, v98, s7
	v_cndmask_b32_e32 v79, v79, v109, vcc_lo
	v_cndmask_b32_e64 v92, v92, v108, s10
	v_cndmask_b32_e64 v78, v78, v80, s27
	;; [unrolled: 1-line block ×4, first 2 shown]
	v_perm_b32 v94, v79, v74, 0x5040100
	v_cndmask_b32_e64 v79, v92, v102, s12
	v_perm_b32 v92, v95, v112, 0x5040100
	v_cndmask_b32_e64 v95, v99, v96, s5
	v_cndmask_b32_e64 v96, v99, v96, s21
	;; [unrolled: 1-line block ×16, first 2 shown]
	v_lshrrev_b32_e32 v109, 16, v105
	v_cndmask_b32_e64 v95, v95, v101, s20
	v_cndmask_b32_e64 v96, v96, v101, s26
	;; [unrolled: 1-line block ×6, first 2 shown]
	v_lshrrev_b32_e32 v80, 16, v102
	v_cndmask_b32_e64 v113, v93, v109, s10
	v_cndmask_b32_e64 v95, v95, v108, s22
	;; [unrolled: 1-line block ×6, first 2 shown]
	v_perm_b32 v93, v91, v78, 0x5040100
	v_cndmask_b32_e64 v74, v74, v102, s16
	v_cndmask_b32_e64 v78, v79, v80, s15
	;; [unrolled: 1-line block ×3, first 2 shown]
	v_lshrrev_b32_e32 v91, 16, v106
	v_cndmask_b32_e64 v95, v95, v102, s24
	v_cndmask_b32_e64 v96, v96, v102, s29
	;; [unrolled: 1-line block ×7, first 2 shown]
	v_cndmask_b32_e32 v80, v96, v80, vcc_lo
	v_cndmask_b32_e32 v96, v98, v91, vcc_lo
	v_cndmask_b32_e64 v99, v99, v91, s27
	v_cndmask_b32_e64 v100, v97, v91, s18
	;; [unrolled: 1-line block ×3, first 2 shown]
	v_perm_b32 v91, v111, v110, 0x5040100
	v_perm_b32 v98, v96, v80, 0x5040100
	;; [unrolled: 1-line block ×5, first 2 shown]
	s_mul_i32 s8, s35, 14
	s_mov_b32 s3, exec_lo
	ds_store_b128 v77, v[91:94]
	ds_store_b128 v77, v[95:98] offset:1024
	v_cmpx_gt_u32_e32 14, v0
	s_cbranch_execz .LBB531_80
; %bb.79:
	s_mul_i32 s4, s8, s30
	s_delay_alu instid0(SALU_CYCLE_1) | instskip(SKIP_1) | instid1(VALU_DEP_1)
	v_add3_u32 v77, s4, s31, v73
	s_load_b128 s[4:7], s[0:1], 0x58
	v_mad_u64_u32 v[73:74], null, v77, s34, s[14:15]
	s_delay_alu instid0(VALU_DEP_1) | instskip(NEXT) | instid1(VALU_DEP_1)
	v_ashrrev_i32_e32 v74, 31, v73
	v_lshlrev_b64 v[73:74], 2, v[73:74]
	s_waitcnt lgkmcnt(0)
	s_delay_alu instid0(VALU_DEP_1) | instskip(NEXT) | instid1(VALU_DEP_2)
	v_add_co_u32 v77, vcc_lo, s6, v73
	v_add_co_ci_u32_e32 v78, vcc_lo, s7, v74, vcc_lo
	v_add_co_u32 v73, vcc_lo, s4, v73
	v_add_co_ci_u32_e32 v74, vcc_lo, s5, v74, vcc_lo
	global_store_b32 v[77:78], v75, off
	global_store_b32 v[73:74], v76, off
.LBB531_80:
	s_or_b32 exec_lo, exec_lo, s3
	s_waitcnt lgkmcnt(0)
	s_waitcnt_vscnt null, 0x0
	s_barrier
	buffer_gl0_inv
	ds_load_b128 v[91:94], v85
	ds_load_b128 v[95:98], v85 offset:16
	ds_load_b128 v[103:106], v85 offset:1040
	;; [unrolled: 1-line block ×3, first 2 shown]
	v_mov_b32_e32 v73, 0
	ds_load_b128 v[111:114], v85 offset:2064
	ds_load_b128 v[107:110], v85 offset:2048
	;; [unrolled: 1-line block ×6, first 2 shown]
	v_mov_b32_e32 v74, v73
	v_mov_b32_e32 v75, v73
	;; [unrolled: 1-line block ×7, first 2 shown]
	s_waitcnt lgkmcnt(8)
	s_delay_alu instid0(VALU_DEP_1)
	v_wmma_f32_16x16x16_bf16 v[73:80], v[65:72], v[91:98], v[73:80]
	ds_load_b128 v[69:72], v85 offset:5136
	ds_load_b128 v[65:68], v85 offset:5120
	;; [unrolled: 1-line block ×4, first 2 shown]
	s_waitcnt lgkmcnt(10)
	v_wmma_f32_16x16x16_bf16 v[73:80], v[57:64], v[99:106], v[73:80]
	s_waitcnt lgkmcnt(8)
	s_delay_alu instid0(VALU_DEP_1)
	v_wmma_f32_16x16x16_bf16 v[73:80], v[57:64], v[107:114], v[73:80]
	ds_load_b128 v[61:64], v85 offset:7184
	ds_load_b128 v[57:60], v85 offset:7168
	;; [unrolled: 1-line block ×4, first 2 shown]
	s_waitcnt lgkmcnt(10)
	v_wmma_f32_16x16x16_bf16 v[73:80], v[49:56], v[115:122], v[73:80]
	s_waitcnt lgkmcnt(8)
	s_delay_alu instid0(VALU_DEP_1)
	v_wmma_f32_16x16x16_bf16 v[73:80], v[49:56], v[123:130], v[73:80]
	ds_load_b128 v[53:56], v85 offset:9232
	ds_load_b128 v[49:52], v85 offset:9216
	s_waitcnt lgkmcnt(8)
	v_wmma_f32_16x16x16_bf16 v[73:80], v[41:48], v[65:72], v[73:80]
	ds_load_b128 v[69:72], v85 offset:10256
	ds_load_b128 v[65:68], v85 offset:10240
	s_waitcnt lgkmcnt(8)
	;; [unrolled: 4-line block ×3, first 2 shown]
	v_wmma_f32_16x16x16_bf16 v[73:80], v[9:16], v[57:64], v[73:80]
	s_waitcnt lgkmcnt(6)
	s_delay_alu instid0(VALU_DEP_1)
	v_wmma_f32_16x16x16_bf16 v[73:80], v[9:16], v[99:106], v[73:80]
	ds_load_b128 v[13:16], v85 offset:12304
	ds_load_b128 v[9:12], v85 offset:12288
	s_waitcnt lgkmcnt(6)
	v_wmma_f32_16x16x16_bf16 v[73:80], v[1:8], v[49:56], v[73:80]
	ds_load_b128 v[53:56], v85 offset:13328
	ds_load_b128 v[49:52], v85 offset:13312
	s_waitcnt lgkmcnt(6)
	;; [unrolled: 4-line block ×4, first 2 shown]
	v_wmma_f32_16x16x16_bf16 v[73:80], v[33:40], v[9:16], v[73:80]
	s_waitcnt lgkmcnt(4)
	s_delay_alu instid0(VALU_DEP_1) | instskip(SKIP_1) | instid1(VALU_DEP_1)
	v_wmma_f32_16x16x16_bf16 v[73:80], v[25:32], v[49:56], v[73:80]
	s_waitcnt lgkmcnt(2)
	v_wmma_f32_16x16x16_bf16 v[73:80], v[25:32], v[1:8], v[73:80]
	s_waitcnt lgkmcnt(0)
	s_delay_alu instid0(VALU_DEP_1) | instskip(NEXT) | instid1(VALU_DEP_1)
	v_wmma_f32_16x16x16_bf16 v[73:80], v[17:24], v[41:48], v[73:80]
	v_and_b32_e32 v1, 0x7f800000, v73
	s_delay_alu instid0(VALU_DEP_1) | instskip(SKIP_1) | instid1(SALU_CYCLE_1)
	v_cmp_ne_u32_e32 vcc_lo, 0x7f800000, v1
                                        ; implicit-def: $vgpr1
	s_and_saveexec_b32 s3, vcc_lo
	s_xor_b32 s3, exec_lo, s3
; %bb.81:
	v_bfe_u32 v1, v73, 16, 1
	s_delay_alu instid0(VALU_DEP_1)
	v_add3_u32 v1, v73, v1, 0x7fff
; %bb.82:
	s_and_not1_saveexec_b32 s3, s3
; %bb.83:
	v_and_b32_e32 v1, 0xffff, v73
	v_or_b32_e32 v2, 0x10000, v73
	s_delay_alu instid0(VALU_DEP_2) | instskip(NEXT) | instid1(VALU_DEP_2)
	v_cmp_eq_u32_e32 vcc_lo, 0, v1
	v_cndmask_b32_e32 v1, v2, v73, vcc_lo
; %bb.84:
	s_or_b32 exec_lo, exec_lo, s3
	v_and_b32_e32 v2, 0x7f800000, v74
	s_delay_alu instid0(VALU_DEP_1) | instskip(SKIP_1) | instid1(SALU_CYCLE_1)
	v_cmp_ne_u32_e32 vcc_lo, 0x7f800000, v2
                                        ; implicit-def: $vgpr2
	s_and_saveexec_b32 s3, vcc_lo
	s_xor_b32 s3, exec_lo, s3
; %bb.85:
	v_bfe_u32 v2, v74, 16, 1
	s_delay_alu instid0(VALU_DEP_1)
	v_add3_u32 v2, v74, v2, 0x7fff
; %bb.86:
	s_and_not1_saveexec_b32 s3, s3
; %bb.87:
	v_and_b32_e32 v2, 0xffff, v74
	v_or_b32_e32 v3, 0x10000, v74
	s_delay_alu instid0(VALU_DEP_2) | instskip(NEXT) | instid1(VALU_DEP_2)
	v_cmp_eq_u32_e32 vcc_lo, 0, v2
	v_cndmask_b32_e32 v2, v3, v74, vcc_lo
; %bb.88:
	s_or_b32 exec_lo, exec_lo, s3
	v_and_b32_e32 v3, 0x7f800000, v75
	s_delay_alu instid0(VALU_DEP_1) | instskip(SKIP_1) | instid1(SALU_CYCLE_1)
	v_cmp_ne_u32_e32 vcc_lo, 0x7f800000, v3
                                        ; implicit-def: $vgpr3
	s_and_saveexec_b32 s3, vcc_lo
	s_xor_b32 s3, exec_lo, s3
; %bb.89:
	v_bfe_u32 v3, v75, 16, 1
	s_delay_alu instid0(VALU_DEP_1)
	v_add3_u32 v3, v75, v3, 0x7fff
; %bb.90:
	s_and_not1_saveexec_b32 s3, s3
; %bb.91:
	v_and_b32_e32 v3, 0xffff, v75
	v_or_b32_e32 v4, 0x10000, v75
	s_delay_alu instid0(VALU_DEP_2) | instskip(NEXT) | instid1(VALU_DEP_2)
	v_cmp_eq_u32_e32 vcc_lo, 0, v3
	v_cndmask_b32_e32 v3, v4, v75, vcc_lo
; %bb.92:
	s_or_b32 exec_lo, exec_lo, s3
	v_and_b32_e32 v4, 0x7f800000, v76
	s_delay_alu instid0(VALU_DEP_1) | instskip(SKIP_1) | instid1(SALU_CYCLE_1)
	v_cmp_ne_u32_e32 vcc_lo, 0x7f800000, v4
                                        ; implicit-def: $vgpr4
	s_and_saveexec_b32 s3, vcc_lo
	s_xor_b32 s3, exec_lo, s3
; %bb.93:
	v_bfe_u32 v4, v76, 16, 1
	s_delay_alu instid0(VALU_DEP_1)
	v_add3_u32 v4, v76, v4, 0x7fff
; %bb.94:
	s_and_not1_saveexec_b32 s3, s3
; %bb.95:
	v_and_b32_e32 v4, 0xffff, v76
	v_or_b32_e32 v5, 0x10000, v76
	s_delay_alu instid0(VALU_DEP_2) | instskip(NEXT) | instid1(VALU_DEP_2)
	v_cmp_eq_u32_e32 vcc_lo, 0, v4
	v_cndmask_b32_e32 v4, v5, v76, vcc_lo
; %bb.96:
	s_or_b32 exec_lo, exec_lo, s3
	v_and_b32_e32 v5, 0x7f800000, v77
	s_delay_alu instid0(VALU_DEP_1) | instskip(SKIP_1) | instid1(SALU_CYCLE_1)
	v_cmp_ne_u32_e32 vcc_lo, 0x7f800000, v5
                                        ; implicit-def: $vgpr5
	s_and_saveexec_b32 s3, vcc_lo
	s_xor_b32 s3, exec_lo, s3
; %bb.97:
	v_bfe_u32 v5, v77, 16, 1
	s_delay_alu instid0(VALU_DEP_1)
	v_add3_u32 v5, v77, v5, 0x7fff
; %bb.98:
	s_and_not1_saveexec_b32 s3, s3
; %bb.99:
	v_and_b32_e32 v5, 0xffff, v77
	v_or_b32_e32 v6, 0x10000, v77
	s_delay_alu instid0(VALU_DEP_2) | instskip(NEXT) | instid1(VALU_DEP_2)
	v_cmp_eq_u32_e32 vcc_lo, 0, v5
	v_cndmask_b32_e32 v5, v6, v77, vcc_lo
; %bb.100:
	s_or_b32 exec_lo, exec_lo, s3
	v_and_b32_e32 v6, 0x7f800000, v78
	s_delay_alu instid0(VALU_DEP_1) | instskip(SKIP_1) | instid1(SALU_CYCLE_1)
	v_cmp_ne_u32_e32 vcc_lo, 0x7f800000, v6
                                        ; implicit-def: $vgpr6
	s_and_saveexec_b32 s3, vcc_lo
	s_xor_b32 s3, exec_lo, s3
; %bb.101:
	v_bfe_u32 v6, v78, 16, 1
	s_delay_alu instid0(VALU_DEP_1)
	v_add3_u32 v6, v78, v6, 0x7fff
; %bb.102:
	s_and_not1_saveexec_b32 s3, s3
; %bb.103:
	v_and_b32_e32 v6, 0xffff, v78
	v_or_b32_e32 v7, 0x10000, v78
	s_delay_alu instid0(VALU_DEP_2) | instskip(NEXT) | instid1(VALU_DEP_2)
	v_cmp_eq_u32_e32 vcc_lo, 0, v6
	v_cndmask_b32_e32 v6, v7, v78, vcc_lo
; %bb.104:
	s_or_b32 exec_lo, exec_lo, s3
	v_and_b32_e32 v7, 0x7f800000, v79
	s_delay_alu instid0(VALU_DEP_1) | instskip(SKIP_1) | instid1(SALU_CYCLE_1)
	v_cmp_ne_u32_e32 vcc_lo, 0x7f800000, v7
                                        ; implicit-def: $vgpr7
	s_and_saveexec_b32 s3, vcc_lo
	s_xor_b32 s3, exec_lo, s3
; %bb.105:
	v_bfe_u32 v7, v79, 16, 1
	s_delay_alu instid0(VALU_DEP_1)
	v_add3_u32 v7, v79, v7, 0x7fff
; %bb.106:
	s_and_not1_saveexec_b32 s3, s3
; %bb.107:
	v_and_b32_e32 v7, 0xffff, v79
	v_or_b32_e32 v8, 0x10000, v79
	s_delay_alu instid0(VALU_DEP_2) | instskip(NEXT) | instid1(VALU_DEP_2)
	v_cmp_eq_u32_e32 vcc_lo, 0, v7
	v_cndmask_b32_e32 v7, v8, v79, vcc_lo
; %bb.108:
	s_or_b32 exec_lo, exec_lo, s3
	v_and_b32_e32 v8, 0x7f800000, v80
	s_delay_alu instid0(VALU_DEP_1) | instskip(SKIP_1) | instid1(SALU_CYCLE_1)
	v_cmp_ne_u32_e32 vcc_lo, 0x7f800000, v8
                                        ; implicit-def: $vgpr8
	s_and_saveexec_b32 s3, vcc_lo
	s_xor_b32 s3, exec_lo, s3
; %bb.109:
	v_bfe_u32 v8, v80, 16, 1
	s_delay_alu instid0(VALU_DEP_1)
	v_add3_u32 v8, v80, v8, 0x7fff
                                        ; implicit-def: $vgpr73_vgpr74_vgpr75_vgpr76_vgpr77_vgpr78_vgpr79_vgpr80
; %bb.110:
	s_and_not1_saveexec_b32 s3, s3
; %bb.111:
	v_and_b32_e32 v8, 0xffff, v80
	v_or_b32_e32 v9, 0x10000, v80
	s_delay_alu instid0(VALU_DEP_2) | instskip(NEXT) | instid1(VALU_DEP_2)
	v_cmp_eq_u32_e32 vcc_lo, 0, v8
	v_cndmask_b32_e32 v8, v9, v80, vcc_lo
; %bb.112:
	s_or_b32 exec_lo, exec_lo, s3
	s_delay_alu instid0(VALU_DEP_1)
	v_perm_b32 v7, v8, v7, 0x7060302
	v_perm_b32 v6, v6, v5, 0x7060302
	;; [unrolled: 1-line block ×4, first 2 shown]
	v_lshl_or_b32 v9, v83, 4, v90
	s_barrier
	buffer_gl0_inv
	v_cmp_eq_u32_e32 vcc_lo, 1, v87
	ds_store_b128 v9, v[4:7]
	s_waitcnt lgkmcnt(0)
	s_barrier
	buffer_gl0_inv
	ds_load_b128 v[1:4], v90
	ds_load_b128 v[5:8], v90 offset:16
	v_cmp_eq_u32_e64 s4, 2, v87
	v_cmp_eq_u32_e64 s3, 1, v88
	;; [unrolled: 1-line block ×5, first 2 shown]
	s_waitcnt lgkmcnt(1)
	v_lshrrev_b32_e32 v10, 16, v1
	s_waitcnt lgkmcnt(0)
	v_lshrrev_b32_e32 v14, 16, v5
	v_lshrrev_b32_e32 v15, 16, v6
	;; [unrolled: 1-line block ×4, first 2 shown]
	v_cndmask_b32_e64 v20, v1, v10, s3
	v_cndmask_b32_e32 v19, v5, v14, vcc_lo
	v_cndmask_b32_e64 v21, v5, v14, s3
	v_lshrrev_b32_e32 v16, 16, v7
	v_cmp_eq_u32_e64 s3, 1, v86
	v_lshrrev_b32_e32 v13, 16, v4
	v_cndmask_b32_e64 v19, v19, v6, s4
	v_lshrrev_b32_e32 v17, 16, v8
	s_delay_alu instid0(VALU_DEP_4) | instskip(SKIP_1) | instid1(VALU_DEP_4)
	v_cndmask_b32_e64 v22, v1, v10, s3
	v_cndmask_b32_e64 v23, v5, v14, s3
	v_cndmask_b32_e64 v19, v19, v15, s5
	v_cndmask_b32_e32 v18, v1, v10, vcc_lo
	v_cmp_eq_u32_e32 vcc_lo, 2, v88
	v_cmp_eq_u32_e64 s3, 2, v89
	v_cndmask_b32_e64 v22, v22, v2, s7
	v_cndmask_b32_e32 v20, v20, v2, vcc_lo
	v_cndmask_b32_e32 v21, v21, v6, vcc_lo
	v_cmp_eq_u32_e32 vcc_lo, 4, v87
	v_cndmask_b32_e32 v19, v19, v7, vcc_lo
	v_cndmask_b32_e64 v18, v18, v2, s4
	v_cmp_eq_u32_e64 s4, 3, v88
	s_delay_alu instid0(VALU_DEP_2) | instskip(NEXT) | instid1(VALU_DEP_2)
	v_cndmask_b32_e64 v18, v18, v11, s5
	v_cndmask_b32_e64 v21, v21, v15, s4
	v_cmp_eq_u32_e64 s5, 5, v87
	s_delay_alu instid0(VALU_DEP_3) | instskip(SKIP_1) | instid1(VALU_DEP_3)
	v_cndmask_b32_e32 v18, v18, v3, vcc_lo
	v_cmp_eq_u32_e32 vcc_lo, 4, v88
	v_cndmask_b32_e64 v19, v19, v16, s5
	s_delay_alu instid0(VALU_DEP_3) | instskip(SKIP_4) | instid1(VALU_DEP_3)
	v_cndmask_b32_e64 v18, v18, v12, s5
	v_cndmask_b32_e32 v21, v21, v7, vcc_lo
	v_cndmask_b32_e64 v20, v20, v11, s4
	v_cmp_eq_u32_e64 s4, 5, v88
	v_cmp_eq_u32_e64 s5, 6, v87
	v_cndmask_b32_e32 v20, v20, v3, vcc_lo
	s_delay_alu instid0(VALU_DEP_3) | instskip(SKIP_1) | instid1(VALU_DEP_4)
	v_cndmask_b32_e64 v21, v21, v16, s4
	v_cmp_eq_u32_e32 vcc_lo, 6, v88
	v_cndmask_b32_e64 v18, v18, v4, s5
	v_cndmask_b32_e64 v19, v19, v8, s5
	;; [unrolled: 1-line block ×3, first 2 shown]
	v_cmp_eq_u32_e64 s4, 1, v89
	v_cmp_eq_u32_e64 s5, 7, v87
	s_delay_alu instid0(VALU_DEP_3) | instskip(NEXT) | instid1(VALU_DEP_3)
	v_cndmask_b32_e32 v20, v20, v4, vcc_lo
	v_cndmask_b32_e64 v1, v1, v10, s4
	v_cndmask_b32_e64 v5, v5, v14, s4
	v_cmp_eq_u32_e64 s4, 3, v86
	v_cndmask_b32_e64 v14, v23, v6, s7
	v_cmp_eq_u32_e64 s7, 3, v89
	v_cndmask_b32_e64 v1, v1, v2, s3
	v_cndmask_b32_e64 v2, v5, v6, s3
	;; [unrolled: 1-line block ×3, first 2 shown]
	v_cmp_eq_u32_e64 s3, 4, v86
	v_cndmask_b32_e64 v6, v14, v15, s4
	v_cndmask_b32_e64 v1, v1, v11, s7
	v_cmp_eq_u32_e64 s4, 4, v89
	v_cndmask_b32_e64 v2, v2, v15, s7
	v_cndmask_b32_e64 v5, v10, v3, s3
	;; [unrolled: 3-line block ×3, first 2 shown]
	v_cndmask_b32_e64 v2, v2, v7, s4
	v_cmp_eq_u32_e64 s3, 5, v89
	v_cndmask_b32_e64 v5, v5, v12, s7
	v_cmp_eq_u32_e64 s4, 6, v86
	;; [unrolled: 2-line block ×3, first 2 shown]
	v_cndmask_b32_e64 v1, v1, v12, s3
	v_cndmask_b32_e64 v2, v2, v16, s3
	;; [unrolled: 1-line block ×4, first 2 shown]
	v_cmp_eq_u32_e64 s3, 7, v89
	v_cndmask_b32_e64 v1, v1, v4, s7
	v_cndmask_b32_e64 v2, v2, v8, s7
	v_cmp_eq_u32_e64 s4, 7, v86
	v_cndmask_b32_e32 v4, v21, v8, vcc_lo
	v_cndmask_b32_e64 v18, v18, v13, s5
	v_cndmask_b32_e64 v20, v20, v13, s6
	;; [unrolled: 1-line block ×8, first 2 shown]
	v_cmp_gt_u32_e32 vcc_lo, 32, v0
	v_perm_b32 v4, v2, v1, 0x5040100
	v_perm_b32 v3, v3, v5, 0x5040100
	;; [unrolled: 1-line block ×4, first 2 shown]
	s_and_b32 s2, vcc_lo, s2
	ds_store_b128 v9, v[1:4]
	s_waitcnt lgkmcnt(0)
	s_barrier
	buffer_gl0_inv
	s_and_saveexec_b32 s3, s2
	s_cbranch_execz .LBB531_2
; %bb.113:
	s_load_b64 s[0:1], s[0:1], 0x68
	v_lshlrev_b32_e32 v0, 10, v0
	s_lshl_b32 s4, s34, 6
	v_or_b32_e32 v3, s31, v83
	s_mul_i32 s2, s4, s30
	v_lshlrev_b32_e32 v1, 4, v84
	v_lshlrev_b32_e32 v2, 6, v83
	v_and_b32_e32 v0, 0x3800, v0
	s_mul_i32 s2, s2, s8
	v_mul_lo_u32 v8, v3, s4
	s_ashr_i32 s3, s2, 31
	s_delay_alu instid0(SALU_CYCLE_1)
	s_lshl_b64 s[2:3], s[2:3], 1
	v_or3_b32 v16, v0, v1, v2
	ds_load_b128 v[0:3], v16
	ds_load_b128 v[4:7], v16 offset:128
	v_ashrrev_i32_e32 v9, 31, v8
	s_waitcnt lgkmcnt(0)
	s_add_u32 s2, s0, s2
	s_addc_u32 s3, s1, s3
	s_lshl_b32 s0, s14, 6
	s_delay_alu instid0(SALU_CYCLE_1) | instskip(SKIP_2) | instid1(SALU_CYCLE_1)
	s_ashr_i32 s1, s0, 31
	v_lshlrev_b64 v[9:10], 1, v[8:9]
	s_lshl_b64 s[0:1], s[0:1], 1
	s_add_u32 s0, s2, s0
	s_addc_u32 s1, s3, s1
	s_lshl_b32 s2, s34, 7
	v_add_co_u32 v30, vcc_lo, s0, v81
	v_add_nc_u32_e32 v11, s2, v8
	v_add_co_ci_u32_e32 v31, vcc_lo, s1, v82, vcc_lo
	s_delay_alu instid0(VALU_DEP_3) | instskip(NEXT) | instid1(VALU_DEP_3)
	v_add_co_u32 v9, vcc_lo, v30, v9
	v_add_nc_u32_e32 v8, s2, v11
	s_delay_alu instid0(VALU_DEP_3) | instskip(SKIP_1) | instid1(VALU_DEP_3)
	v_add_co_ci_u32_e32 v10, vcc_lo, v31, v10, vcc_lo
	v_ashrrev_i32_e32 v12, 31, v11
	v_add_nc_u32_e32 v13, s2, v8
	global_store_b128 v[9:10], v[0:3], off
	v_ashrrev_i32_e32 v9, 31, v8
	v_lshlrev_b64 v[11:12], 1, v[11:12]
	v_ashrrev_i32_e32 v14, 31, v13
	v_add_nc_u32_e32 v10, s2, v13
	s_delay_alu instid0(VALU_DEP_4) | instskip(NEXT) | instid1(VALU_DEP_4)
	v_lshlrev_b64 v[2:3], 1, v[8:9]
	v_add_co_u32 v0, vcc_lo, v30, v11
	s_delay_alu instid0(VALU_DEP_4)
	v_lshlrev_b64 v[8:9], 1, v[13:14]
	v_add_co_ci_u32_e32 v1, vcc_lo, v31, v12, vcc_lo
	v_ashrrev_i32_e32 v11, 31, v10
	v_add_co_u32 v22, vcc_lo, v30, v2
	v_add_nc_u32_e32 v20, s2, v10
	v_add_co_ci_u32_e32 v23, vcc_lo, v31, v3, vcc_lo
	v_add_co_u32 v24, vcc_lo, v30, v8
	global_store_b128 v[0:1], v[4:7], off
	v_add_co_ci_u32_e32 v25, vcc_lo, v31, v9, vcc_lo
	ds_load_b128 v[0:3], v16 offset:256
	ds_load_b128 v[4:7], v16 offset:384
	v_lshlrev_b64 v[26:27], 1, v[10:11]
	ds_load_b128 v[8:11], v16 offset:512
	ds_load_b128 v[12:15], v16 offset:640
	;; [unrolled: 1-line block ×3, first 2 shown]
	v_add_nc_u32_e32 v28, s2, v20
	v_ashrrev_i32_e32 v21, 31, v20
	v_add_co_u32 v26, vcc_lo, v30, v26
	s_delay_alu instid0(VALU_DEP_3) | instskip(NEXT) | instid1(VALU_DEP_3)
	v_ashrrev_i32_e32 v29, 31, v28
	v_lshlrev_b64 v[20:21], 1, v[20:21]
	v_add_co_ci_u32_e32 v27, vcc_lo, v31, v27, vcc_lo
	s_delay_alu instid0(VALU_DEP_3) | instskip(NEXT) | instid1(VALU_DEP_3)
	v_lshlrev_b64 v[28:29], 1, v[28:29]
	v_add_co_u32 v20, vcc_lo, v30, v20
	s_delay_alu instid0(VALU_DEP_4) | instskip(NEXT) | instid1(VALU_DEP_3)
	v_add_co_ci_u32_e32 v21, vcc_lo, v31, v21, vcc_lo
	v_add_co_u32 v28, vcc_lo, v30, v28
	s_delay_alu instid0(VALU_DEP_4)
	v_add_co_ci_u32_e32 v29, vcc_lo, v31, v29, vcc_lo
	s_waitcnt lgkmcnt(4)
	global_store_b128 v[22:23], v[0:3], off
	s_waitcnt lgkmcnt(3)
	global_store_b128 v[24:25], v[4:7], off
	;; [unrolled: 2-line block ×5, first 2 shown]
	s_nop 0
	s_sendmsg sendmsg(MSG_DEALLOC_VGPRS)
	s_endpgm
	.section	.rodata,"a",@progbits
	.p2align	6, 0x0
	.amdhsa_kernel _Z39paged_attention_ll4mi_QKV_mfma16_kernelI14__hip_bfloat16S0_LN4vllm18Fp8KVCacheDataTypeE0EhLi32ELi64ELi256ELb0ELi14EL8MFMAType0EEvPKT_PKT0_S9_ifPKiSB_SB_iPKfiiiPfSE_PS4_PT2_iSD_SD_
		.amdhsa_group_segment_fixed_size 17472
		.amdhsa_private_segment_fixed_size 0
		.amdhsa_kernarg_size 400
		.amdhsa_user_sgpr_count 13
		.amdhsa_user_sgpr_dispatch_ptr 0
		.amdhsa_user_sgpr_queue_ptr 0
		.amdhsa_user_sgpr_kernarg_segment_ptr 1
		.amdhsa_user_sgpr_dispatch_id 0
		.amdhsa_user_sgpr_private_segment_size 0
		.amdhsa_wavefront_size32 1
		.amdhsa_uses_dynamic_stack 0
		.amdhsa_enable_private_segment 0
		.amdhsa_system_sgpr_workgroup_id_x 1
		.amdhsa_system_sgpr_workgroup_id_y 1
		.amdhsa_system_sgpr_workgroup_id_z 1
		.amdhsa_system_sgpr_workgroup_info 0
		.amdhsa_system_vgpr_workitem_id 0
		.amdhsa_next_free_vgpr 142
		.amdhsa_next_free_sgpr 38
		.amdhsa_reserve_vcc 1
		.amdhsa_float_round_mode_32 0
		.amdhsa_float_round_mode_16_64 0
		.amdhsa_float_denorm_mode_32 3
		.amdhsa_float_denorm_mode_16_64 3
		.amdhsa_dx10_clamp 1
		.amdhsa_ieee_mode 1
		.amdhsa_fp16_overflow 0
		.amdhsa_workgroup_processor_mode 1
		.amdhsa_memory_ordered 1
		.amdhsa_forward_progress 0
		.amdhsa_shared_vgpr_count 0
		.amdhsa_exception_fp_ieee_invalid_op 0
		.amdhsa_exception_fp_denorm_src 0
		.amdhsa_exception_fp_ieee_div_zero 0
		.amdhsa_exception_fp_ieee_overflow 0
		.amdhsa_exception_fp_ieee_underflow 0
		.amdhsa_exception_fp_ieee_inexact 0
		.amdhsa_exception_int_div_zero 0
	.end_amdhsa_kernel
	.section	.text._Z39paged_attention_ll4mi_QKV_mfma16_kernelI14__hip_bfloat16S0_LN4vllm18Fp8KVCacheDataTypeE0EhLi32ELi64ELi256ELb0ELi14EL8MFMAType0EEvPKT_PKT0_S9_ifPKiSB_SB_iPKfiiiPfSE_PS4_PT2_iSD_SD_,"axG",@progbits,_Z39paged_attention_ll4mi_QKV_mfma16_kernelI14__hip_bfloat16S0_LN4vllm18Fp8KVCacheDataTypeE0EhLi32ELi64ELi256ELb0ELi14EL8MFMAType0EEvPKT_PKT0_S9_ifPKiSB_SB_iPKfiiiPfSE_PS4_PT2_iSD_SD_,comdat
.Lfunc_end531:
	.size	_Z39paged_attention_ll4mi_QKV_mfma16_kernelI14__hip_bfloat16S0_LN4vllm18Fp8KVCacheDataTypeE0EhLi32ELi64ELi256ELb0ELi14EL8MFMAType0EEvPKT_PKT0_S9_ifPKiSB_SB_iPKfiiiPfSE_PS4_PT2_iSD_SD_, .Lfunc_end531-_Z39paged_attention_ll4mi_QKV_mfma16_kernelI14__hip_bfloat16S0_LN4vllm18Fp8KVCacheDataTypeE0EhLi32ELi64ELi256ELb0ELi14EL8MFMAType0EEvPKT_PKT0_S9_ifPKiSB_SB_iPKfiiiPfSE_PS4_PT2_iSD_SD_
                                        ; -- End function
	.section	.AMDGPU.csdata,"",@progbits
; Kernel info:
; codeLenInByte = 9544
; NumSgprs: 40
; NumVgprs: 142
; ScratchSize: 0
; MemoryBound: 0
; FloatMode: 240
; IeeeMode: 1
; LDSByteSize: 17472 bytes/workgroup (compile time only)
; SGPRBlocks: 4
; VGPRBlocks: 17
; NumSGPRsForWavesPerEU: 40
; NumVGPRsForWavesPerEU: 142
; Occupancy: 10
; WaveLimiterHint : 1
; COMPUTE_PGM_RSRC2:SCRATCH_EN: 0
; COMPUTE_PGM_RSRC2:USER_SGPR: 13
; COMPUTE_PGM_RSRC2:TRAP_HANDLER: 0
; COMPUTE_PGM_RSRC2:TGID_X_EN: 1
; COMPUTE_PGM_RSRC2:TGID_Y_EN: 1
; COMPUTE_PGM_RSRC2:TGID_Z_EN: 1
; COMPUTE_PGM_RSRC2:TIDIG_COMP_CNT: 0
	.section	.text._Z39paged_attention_ll4mi_QKV_mfma16_kernelI14__hip_bfloat16S0_LN4vllm18Fp8KVCacheDataTypeE0EhLi32ELi64ELi256ELb0ELi15EL8MFMAType0EEvPKT_PKT0_S9_ifPKiSB_SB_iPKfiiiPfSE_PS4_PT2_iSD_SD_,"axG",@progbits,_Z39paged_attention_ll4mi_QKV_mfma16_kernelI14__hip_bfloat16S0_LN4vllm18Fp8KVCacheDataTypeE0EhLi32ELi64ELi256ELb0ELi15EL8MFMAType0EEvPKT_PKT0_S9_ifPKiSB_SB_iPKfiiiPfSE_PS4_PT2_iSD_SD_,comdat
	.protected	_Z39paged_attention_ll4mi_QKV_mfma16_kernelI14__hip_bfloat16S0_LN4vllm18Fp8KVCacheDataTypeE0EhLi32ELi64ELi256ELb0ELi15EL8MFMAType0EEvPKT_PKT0_S9_ifPKiSB_SB_iPKfiiiPfSE_PS4_PT2_iSD_SD_ ; -- Begin function _Z39paged_attention_ll4mi_QKV_mfma16_kernelI14__hip_bfloat16S0_LN4vllm18Fp8KVCacheDataTypeE0EhLi32ELi64ELi256ELb0ELi15EL8MFMAType0EEvPKT_PKT0_S9_ifPKiSB_SB_iPKfiiiPfSE_PS4_PT2_iSD_SD_
	.globl	_Z39paged_attention_ll4mi_QKV_mfma16_kernelI14__hip_bfloat16S0_LN4vllm18Fp8KVCacheDataTypeE0EhLi32ELi64ELi256ELb0ELi15EL8MFMAType0EEvPKT_PKT0_S9_ifPKiSB_SB_iPKfiiiPfSE_PS4_PT2_iSD_SD_
	.p2align	8
	.type	_Z39paged_attention_ll4mi_QKV_mfma16_kernelI14__hip_bfloat16S0_LN4vllm18Fp8KVCacheDataTypeE0EhLi32ELi64ELi256ELb0ELi15EL8MFMAType0EEvPKT_PKT0_S9_ifPKiSB_SB_iPKfiiiPfSE_PS4_PT2_iSD_SD_,@function
_Z39paged_attention_ll4mi_QKV_mfma16_kernelI14__hip_bfloat16S0_LN4vllm18Fp8KVCacheDataTypeE0EhLi32ELi64ELi256ELb0ELi15EL8MFMAType0EEvPKT_PKT0_S9_ifPKiSB_SB_iPKfiiiPfSE_PS4_PT2_iSD_SD_: ; @_Z39paged_attention_ll4mi_QKV_mfma16_kernelI14__hip_bfloat16S0_LN4vllm18Fp8KVCacheDataTypeE0EhLi32ELi64ELi256ELb0ELi15EL8MFMAType0EEvPKT_PKT0_S9_ifPKiSB_SB_iPKfiiiPfSE_PS4_PT2_iSD_SD_
; %bb.0:
	s_load_b64 s[2:3], s[0:1], 0x30
	s_mov_b32 s34, s13
	s_waitcnt lgkmcnt(0)
	s_cmp_lg_u64 s[2:3], 0
	s_cselect_b32 s6, -1, 0
	s_ashr_i32 s35, s13, 31
	s_cmp_eq_u64 s[2:3], 0
	s_cbranch_scc1 .LBB532_3
; %bb.1:
	s_lshl_b64 s[4:5], s[34:35], 2
	s_delay_alu instid0(SALU_CYCLE_1) | instskip(SKIP_4) | instid1(SALU_CYCLE_1)
	s_add_u32 s4, s2, s4
	s_addc_u32 s5, s3, s5
	s_load_b64 s[4:5], s[4:5], 0x0
	s_waitcnt lgkmcnt(0)
	s_sub_i32 s4, s5, s4
	s_cmp_eq_u32 s4, 1
	s_cselect_b32 s4, -1, 0
	s_delay_alu instid0(SALU_CYCLE_1)
	s_and_not1_b32 vcc_lo, exec_lo, s4
	s_cbranch_vccz .LBB532_4
.LBB532_2:
	s_nop 0
	s_sendmsg sendmsg(MSG_DEALLOC_VGPRS)
	s_endpgm
.LBB532_3:
.LBB532_4:
	s_load_b64 s[8:9], s[0:1], 0x28
	s_lshl_b64 s[4:5], s[34:35], 2
	s_waitcnt lgkmcnt(0)
	s_add_u32 s8, s8, s4
	s_addc_u32 s9, s9, s5
	s_lshl_b32 s16, s14, 8
	s_load_b32 s18, s[8:9], 0x0
	s_waitcnt lgkmcnt(0)
	s_cmp_ge_i32 s16, s18
	s_cbranch_scc1 .LBB532_2
; %bb.5:
	s_and_not1_b32 vcc_lo, exec_lo, s6
	s_cbranch_vccnz .LBB532_7
; %bb.6:
	s_add_u32 s2, s2, s4
	s_addc_u32 s3, s3, s5
	s_load_b32 s17, s[2:3], 0x0
	s_branch .LBB532_8
.LBB532_7:
	s_mov_b32 s17, s34
.LBB532_8:
	s_clause 0x2
	s_load_b128 s[8:11], s[0:1], 0x8
	s_load_b64 s[12:13], s[0:1], 0x20
	s_load_b128 s[4:7], s[0:1], 0x48
	v_lshrrev_b32_e32 v74, 5, v0
	v_bfe_u32 v83, v0, 4, 1
	v_and_b32_e32 v73, 15, v0
	s_delay_alu instid0(VALU_DEP_2) | instskip(NEXT) | instid1(VALU_DEP_2)
	v_lshl_or_b32 v3, v74, 1, v83
	v_cmp_lt_u32_e64 s3, 7, v73
	v_lshlrev_b32_e32 v1, 3, v73
	v_cmp_gt_u32_e64 s2, 8, v73
	s_delay_alu instid0(VALU_DEP_4) | instskip(NEXT) | instid1(VALU_DEP_4)
	v_cmp_lt_u32_e32 vcc_lo, 14, v3
	s_or_b32 s3, s3, vcc_lo
	s_waitcnt lgkmcnt(0)
	s_and_saveexec_b32 s7, s3
	s_delay_alu instid0(SALU_CYCLE_1)
	s_xor_b32 s3, exec_lo, s7
; %bb.9:
	v_mov_b32_e32 v2, 0
                                        ; implicit-def: $vgpr3
; %bb.10:
	s_or_saveexec_b32 s3, s3
	v_and_b32_e32 v75, 31, v0
	v_and_b32_e32 v84, 1, v0
	s_mul_i32 s31, s15, 15
	s_xor_b32 exec_lo, exec_lo, s3
	s_cbranch_execz .LBB532_12
; %bb.11:
	s_load_b64 s[20:21], s[0:1], 0x0
	v_add_lshl_u32 v4, v3, s31, 6
	s_mul_hi_i32 s23, s17, s4
	s_mul_i32 s22, s17, s4
	v_lshlrev_b32_e32 v2, 1, v1
	s_lshl_b64 s[22:23], s[22:23], 1
	v_ashrrev_i32_e32 v5, 31, v4
	v_lshlrev_b32_e32 v3, 6, v3
	v_lshlrev_b32_e32 v8, 10, v84
	s_delay_alu instid0(VALU_DEP_3) | instskip(SKIP_3) | instid1(VALU_DEP_1)
	v_lshlrev_b64 v[4:5], 1, v[4:5]
	s_waitcnt lgkmcnt(0)
	s_add_u32 s4, s20, s22
	s_addc_u32 s7, s21, s23
	v_add_co_u32 v4, vcc_lo, s4, v4
	s_delay_alu instid0(VALU_DEP_2) | instskip(NEXT) | instid1(VALU_DEP_2)
	v_add_co_ci_u32_e32 v5, vcc_lo, s7, v5, vcc_lo
	v_add_co_u32 v4, vcc_lo, v4, v2
	s_delay_alu instid0(VALU_DEP_2) | instskip(SKIP_3) | instid1(VALU_DEP_1)
	v_add_co_ci_u32_e32 v5, vcc_lo, 0, v5, vcc_lo
	v_lshlrev_b32_e32 v2, 10, v73
	global_load_b128 v[4:7], v[4:5], off
	v_and_b32_e32 v2, 0x3800, v2
	v_or3_b32 v3, v2, v8, v3
	v_mov_b32_e32 v2, 0
	s_waitcnt vmcnt(0)
	ds_store_b128 v3, v[4:7]
.LBB532_12:
	s_or_b32 exec_lo, exec_lo, s3
	v_and_b32_e32 v3, 0xef, v0
	s_add_i32 s3, s18, 31
	s_clause 0x1
	s_load_b32 s4, s[0:1], 0x38
	s_load_b32 s19, s[0:1], 0x1c
	s_ashr_i32 s7, s3, 31
	v_add_nc_u32_e32 v3, s16, v3
	s_lshr_b32 s7, s7, 27
	s_waitcnt lgkmcnt(0)
	s_add_i32 s3, s3, s7
	s_barrier
	v_ashrrev_i32_e32 v4, 31, v3
	v_cmp_gt_i32_e32 vcc_lo, s18, v3
	s_ashr_i32 s3, s3, 5
	buffer_gl0_inv
	s_add_i32 s3, s3, -1
	v_lshrrev_b32_e32 v5, 27, v4
	v_or_b32_e32 v4, 16, v3
	s_mul_i32 s6, s15, s6
	v_lshlrev_b64 v[81:82], 1, v[1:2]
	s_delay_alu instid0(VALU_DEP_3) | instskip(NEXT) | instid1(VALU_DEP_3)
	v_add_nc_u32_e32 v6, v3, v5
	v_add_nc_u32_e32 v5, v4, v5
	s_mul_i32 s20, s34, s4
	s_delay_alu instid0(SALU_CYCLE_1) | instskip(NEXT) | instid1(VALU_DEP_2)
	s_ashr_i32 s21, s20, 31
	v_ashrrev_i32_e32 v6, 5, v6
	s_delay_alu instid0(VALU_DEP_2) | instskip(SKIP_1) | instid1(SALU_CYCLE_1)
	v_ashrrev_i32_e32 v5, 5, v5
	s_lshl_b64 s[20:21], s[20:21], 2
	s_add_u32 s4, s12, s20
	s_delay_alu instid0(VALU_DEP_2) | instskip(SKIP_3) | instid1(SALU_CYCLE_1)
	v_cndmask_b32_e32 v3, s3, v6, vcc_lo
	v_cmp_gt_i32_e32 vcc_lo, s18, v4
	s_addc_u32 s17, s13, s21
	s_ashr_i32 s7, s6, 31
	s_lshl_b64 s[6:7], s[6:7], 1
	v_cndmask_b32_e32 v5, s3, v5, vcc_lo
	v_ashrrev_i32_e32 v4, 31, v3
	s_add_u32 s15, s8, s6
	s_addc_u32 s28, s9, s7
	s_lshl_b32 s8, s14, 3
	v_ashrrev_i32_e32 v6, 31, v5
	v_lshlrev_b64 v[3:4], 2, v[3:4]
	s_ashr_i32 s9, s8, 31
	s_delay_alu instid0(SALU_CYCLE_1) | instskip(NEXT) | instid1(VALU_DEP_2)
	s_lshl_b64 s[8:9], s[8:9], 2
	v_lshlrev_b64 v[5:6], 2, v[5:6]
	s_add_u32 s8, s4, s8
	s_delay_alu instid0(VALU_DEP_2) | instskip(SKIP_1) | instid1(VALU_DEP_3)
	v_add_co_u32 v3, vcc_lo, s4, v3
	v_add_co_ci_u32_e32 v4, vcc_lo, s17, v4, vcc_lo
	v_add_co_u32 v5, vcc_lo, s4, v5
	s_delay_alu instid0(VALU_DEP_4)
	v_add_co_ci_u32_e32 v6, vcc_lo, s17, v6, vcc_lo
	s_addc_u32 s9, s17, s9
	s_clause 0x1
	global_load_b32 v7, v[3:4], off
	global_load_b32 v8, v[5:6], off
	s_or_b32 s12, s16, 32
	s_delay_alu instid0(SALU_CYCLE_1) | instskip(SKIP_2) | instid1(SALU_CYCLE_1)
	s_ashr_i32 s13, s12, 5
	s_cmp_lt_i32 s12, s18
	s_cselect_b32 s12, s13, s3
	s_ashr_i32 s13, s12, 31
	s_delay_alu instid0(SALU_CYCLE_1) | instskip(NEXT) | instid1(SALU_CYCLE_1)
	s_lshl_b64 s[12:13], s[12:13], 2
	s_add_u32 s12, s4, s12
	s_addc_u32 s13, s17, s13
	s_or_b32 s20, s16, 64
	s_delay_alu instid0(SALU_CYCLE_1) | instskip(SKIP_2) | instid1(SALU_CYCLE_1)
	s_ashr_i32 s21, s20, 5
	s_cmp_lt_i32 s20, s18
	s_cselect_b32 s20, s21, s3
	s_ashr_i32 s21, s20, 31
	s_delay_alu instid0(SALU_CYCLE_1) | instskip(NEXT) | instid1(SALU_CYCLE_1)
	s_lshl_b64 s[20:21], s[20:21], 2
	s_add_u32 s20, s4, s20
	s_addc_u32 s21, s17, s21
	;; [unrolled: 10-line block ×5, first 2 shown]
	s_clause 0x5
	s_load_b32 s29, s[8:9], 0x0
	s_load_b32 s30, s[12:13], 0x0
	;; [unrolled: 1-line block ×6, first 2 shown]
	s_mov_b32 s20, 0
	s_or_b32 s8, s16, 0xc0
	s_mov_b32 s21, s20
	s_mov_b32 s22, s20
	s_mov_b32 s23, s20
	s_mov_b32 s24, s20
	s_mov_b32 s25, s20
	s_mov_b32 s26, s20
	s_mov_b32 s27, s20
	s_ashr_i32 s9, s8, 5
	v_mov_b32_e32 v117, s27
	s_cmp_lt_i32 s8, s18
	v_mov_b32_e32 v116, s26
	s_cselect_b32 s8, s9, s3
	v_mov_b32_e32 v115, s25
	s_ashr_i32 s9, s8, 31
	v_dual_mov_b32 v114, s24 :: v_dual_mov_b32 v113, s23
	v_dual_mov_b32 v112, s22 :: v_dual_mov_b32 v111, s21
	s_lshl_b64 s[8:9], s[8:9], 2
	s_waitcnt lgkmcnt(0)
	s_mul_hi_i32 s13, s29, s5
	s_add_u32 s8, s4, s8
	s_addc_u32 s9, s17, s9
	s_mul_i32 s12, s29, s5
	s_mul_hi_i32 s37, s38, s5
	v_mov_b32_e32 v110, s20
	s_mul_hi_i32 s21, s30, s5
	s_mul_i32 s20, s30, s5
	s_mul_hi_i32 s25, s33, s5
	s_mul_i32 s24, s33, s5
	;; [unrolled: 2-line block ×3, first 2 shown]
	s_waitcnt vmcnt(1)
	v_mad_i64_i32 v[3:4], null, v7, s5, 0
	s_waitcnt vmcnt(0)
	v_mad_i64_i32 v[5:6], null, v8, s5, 0
	s_delay_alu instid0(VALU_DEP_2) | instskip(NEXT) | instid1(VALU_DEP_2)
	v_lshlrev_b64 v[3:4], 1, v[3:4]
	v_lshlrev_b64 v[1:2], 1, v[5:6]
	s_delay_alu instid0(VALU_DEP_2) | instskip(NEXT) | instid1(VALU_DEP_3)
	v_add_co_u32 v3, vcc_lo, s15, v3
	v_add_co_ci_u32_e32 v4, vcc_lo, s28, v4, vcc_lo
	s_delay_alu instid0(VALU_DEP_3) | instskip(NEXT) | instid1(VALU_DEP_4)
	v_add_co_u32 v1, vcc_lo, s15, v1
	v_add_co_ci_u32_e32 v2, vcc_lo, s28, v2, vcc_lo
	s_delay_alu instid0(VALU_DEP_4) | instskip(NEXT) | instid1(VALU_DEP_4)
	v_add_co_u32 v41, vcc_lo, v3, v81
	v_add_co_ci_u32_e32 v42, vcc_lo, v4, v82, vcc_lo
	s_delay_alu instid0(VALU_DEP_4) | instskip(NEXT) | instid1(VALU_DEP_4)
	v_add_co_u32 v43, vcc_lo, v1, v81
	v_add_co_ci_u32_e32 v44, vcc_lo, v2, v82, vcc_lo
	s_clause 0xf
	global_load_b128 v[1:4], v[41:42], off
	global_load_b128 v[5:8], v[41:42], off offset:512
	global_load_b128 v[9:12], v[43:44], off offset:256
	;; [unrolled: 1-line block ×15, first 2 shown]
	v_cmp_ne_u32_e32 vcc_lo, 15, v73
	s_or_b32 s15, s16, 0xe0
	s_delay_alu instid0(SALU_CYCLE_1) | instskip(SKIP_3) | instid1(SALU_CYCLE_1)
	s_ashr_i32 s22, s15, 5
	s_cmp_lt_i32 s15, s18
	v_cndmask_b32_e32 v41, 0, v73, vcc_lo
	s_cselect_b32 s22, s22, s3
	s_ashr_i32 s23, s22, 31
	s_delay_alu instid0(VALU_DEP_1)
	v_lshlrev_b32_e32 v57, 6, v41
	ds_load_b128 v[41:44], v57
	ds_load_b128 v[45:48], v57 offset:1024
	ds_load_b128 v[49:52], v57 offset:2048
	;; [unrolled: 1-line block ×7, first 2 shown]
	s_lshl_b64 s[22:23], s[22:23], 2
	s_delay_alu instid0(SALU_CYCLE_1) | instskip(SKIP_2) | instid1(SALU_CYCLE_1)
	s_add_u32 s22, s4, s22
	s_addc_u32 s23, s17, s23
	s_add_i32 s15, s16, 0x100
	s_ashr_i32 s28, s15, 5
	s_cmp_lt_i32 s15, s18
	s_load_b32 s15, s[8:9], 0x0
	s_cselect_b32 s28, s28, s3
	s_mul_hi_i32 s9, s36, s5
	s_ashr_i32 s29, s28, 31
	s_mul_i32 s8, s36, s5
	s_lshl_b64 s[28:29], s[28:29], 2
	s_mul_i32 s36, s38, s5
	s_add_u32 s28, s4, s28
	s_addc_u32 s29, s17, s29
	s_add_u32 s3, s10, s6
	s_clause 0x1
	s_load_b32 s4, s[22:23], 0x0
	s_load_b32 s17, s[28:29], 0x0
	s_addc_u32 s28, s11, s7
	s_lshl_b64 s[6:7], s[12:13], 1
	s_lshl_b64 s[10:11], s[20:21], 1
	;; [unrolled: 1-line block ×6, first 2 shown]
	s_waitcnt lgkmcnt(0)
	s_mul_hi_i32 s25, s15, s5
	s_mul_i32 s24, s15, s5
	s_waitcnt vmcnt(14)
	v_wmma_f32_16x16x16_bf16 v[134:141], v[1:8], v[41:48], v[110:117]
	s_waitcnt vmcnt(10)
	s_delay_alu instid0(VALU_DEP_1) | instskip(SKIP_1) | instid1(VALU_DEP_1)
	v_wmma_f32_16x16x16_bf16 v[134:141], v[17:24], v[49:56], v[134:141]
	s_waitcnt vmcnt(6)
	v_wmma_f32_16x16x16_bf16 v[134:141], v[33:40], v[118:125], v[134:141]
	s_waitcnt vmcnt(2)
	s_delay_alu instid0(VALU_DEP_1) | instskip(SKIP_1) | instid1(VALU_DEP_2)
	v_wmma_f32_16x16x16_bf16 v[134:141], v[94:101], v[126:133], v[134:141]
	v_lshlrev_b32_e32 v85, 6, v73
	v_mul_f32_e32 v100, s19, v141
	s_delay_alu instid0(VALU_DEP_2) | instskip(SKIP_1) | instid1(VALU_DEP_2)
	v_lshl_or_b32 v58, v74, 10, v85
	v_wmma_f32_16x16x16_bf16 v[110:117], v[9:16], v[41:48], v[110:117]
	v_add_co_u32 v76, s3, s3, v58
	s_delay_alu instid0(VALU_DEP_1) | instskip(NEXT) | instid1(VALU_DEP_3)
	v_add_co_ci_u32_e64 v77, null, s28, 0, s3
	v_wmma_f32_16x16x16_bf16 v[110:117], v[25:32], v[49:56], v[110:117]
	s_delay_alu instid0(VALU_DEP_3) | instskip(NEXT) | instid1(VALU_DEP_3)
	v_add_co_u32 v57, vcc_lo, v76, s6
	v_add_co_ci_u32_e32 v58, vcc_lo, s7, v77, vcc_lo
	v_add_co_u32 v1, vcc_lo, v76, s10
	v_add_co_ci_u32_e32 v2, vcc_lo, s11, v77, vcc_lo
	;; [unrolled: 2-line block ×5, first 2 shown]
	s_clause 0x9
	global_load_b128 v[65:68], v[57:58], off
	global_load_b128 v[69:72], v[57:58], off offset:16
	global_load_b128 v[57:60], v[1:2], off
	global_load_b128 v[61:64], v[1:2], off offset:16
	;; [unrolled: 2-line block ×5, first 2 shown]
	v_add_co_u32 v5, vcc_lo, v76, s22
	s_lshl_b64 s[6:7], s[24:25], 1
	v_add_co_ci_u32_e32 v6, vcc_lo, s23, v77, vcc_lo
	s_mul_hi_i32 s9, s4, s5
	s_mul_i32 s8, s4, s5
	v_add_co_u32 v17, vcc_lo, v76, s6
	v_add_co_ci_u32_e32 v18, vcc_lo, s7, v77, vcc_lo
	s_lshl_b64 s[6:7], s[8:9], 1
	s_mul_hi_i32 s9, s17, s5
	s_mul_i32 s8, s17, s5
	v_add_co_u32 v19, vcc_lo, v76, s6
	s_lshl_b64 s[4:5], s[8:9], 1
	v_add_co_ci_u32_e32 v20, vcc_lo, s7, v77, vcc_lo
	v_add_co_u32 v21, vcc_lo, v76, s4
	v_add_co_ci_u32_e32 v22, vcc_lo, s5, v77, vcc_lo
	s_clause 0x7
	global_load_b128 v[1:4], v[5:6], off
	global_load_b128 v[5:8], v[5:6], off offset:16
	global_load_b128 v[33:36], v[17:18], off
	global_load_b128 v[37:40], v[17:18], off offset:16
	;; [unrolled: 2-line block ×4, first 2 shown]
	v_and_b32_e32 v76, 0xe0, v0
	v_mbcnt_lo_u32_b32 v77, -1, 0
	v_wmma_f32_16x16x16_bf16 v[110:117], v[86:93], v[118:125], v[110:117]
	s_waitcnt vmcnt(0)
	s_barrier
	v_add_nc_u32_e32 v76, s16, v76
	v_xor_b32_e32 v78, 16, v77
	v_wmma_f32_16x16x16_bf16 v[110:117], v[102:109], v[126:133], v[110:117]
	v_mul_f32_e32 v97, s19, v134
	v_mul_f32_e32 v99, s19, v135
	v_or_b32_e32 v76, v76, v83
	v_cmp_gt_i32_e32 vcc_lo, 32, v78
	buffer_gl0_inv
	v_or_b32_e32 v79, 4, v76
	v_cndmask_b32_e32 v77, v77, v78, vcc_lo
	v_or_b32_e32 v78, 2, v76
	v_or_b32_e32 v80, 6, v76
	v_or_b32_e32 v86, 8, v76
	v_cmp_gt_i32_e32 vcc_lo, s18, v76
	v_or_b32_e32 v87, 10, v76
	v_cmp_gt_i32_e64 s3, s18, v78
	v_or_b32_e32 v88, 12, v76
	v_or_b32_e32 v89, 14, v76
	;; [unrolled: 1-line block ×10, first 2 shown]
	v_cndmask_b32_e64 v78, 0xff7fffff, v99, s3
	v_mul_f32_e32 v99, s19, v137
	v_cmp_gt_i32_e64 s4, s18, v80
	v_mul_f32_e32 v80, s19, v136
	v_cmp_gt_i32_e64 s5, s18, v79
	v_cmp_gt_i32_e64 s6, s18, v86
	v_mul_f32_e32 v86, s19, v116
	v_cndmask_b32_e32 v76, 0xff7fffff, v97, vcc_lo
	v_mul_f32_e32 v79, s19, v139
	v_cndmask_b32_e64 v80, 0xff7fffff, v80, s5
	v_cndmask_b32_e64 v99, 0xff7fffff, v99, s4
	v_cmp_gt_i32_e64 s7, s18, v87
	v_max3_f32 v76, v76, 0xff7fffff, v78
	v_dual_mul_f32 v78, s19, v138 :: v_dual_mul_f32 v97, s19, v140
	v_cmp_gt_i32_e64 s8, s18, v89
	s_delay_alu instid0(VALU_DEP_4) | instskip(NEXT) | instid1(VALU_DEP_4)
	v_cndmask_b32_e64 v79, 0xff7fffff, v79, s7
	v_max3_f32 v76, v76, v80, v99
	s_delay_alu instid0(VALU_DEP_4) | instskip(SKIP_3) | instid1(VALU_DEP_4)
	v_cndmask_b32_e64 v78, 0xff7fffff, v78, s6
	v_cmp_gt_i32_e64 s9, s18, v88
	v_dual_mul_f32 v88, s19, v111 :: v_dual_mul_f32 v89, s19, v110
	v_cndmask_b32_e64 v100, 0xff7fffff, v100, s8
	v_max3_f32 v76, v76, v78, v79
	s_delay_alu instid0(VALU_DEP_4) | instskip(SKIP_3) | instid1(VALU_DEP_4)
	v_cndmask_b32_e64 v97, 0xff7fffff, v97, s9
	v_cmp_gt_i32_e64 s10, s18, v90
	v_cmp_gt_i32_e64 s11, s18, v91
	v_dual_mul_f32 v78, s19, v113 :: v_dual_mul_f32 v79, s19, v112
	v_max3_f32 v76, v76, v97, v100
	s_delay_alu instid0(VALU_DEP_4) | instskip(NEXT) | instid1(VALU_DEP_4)
	v_cndmask_b32_e64 v89, 0xff7fffff, v89, s10
	v_cndmask_b32_e64 v88, 0xff7fffff, v88, s11
	v_cmp_gt_i32_e64 s12, s18, v92
	v_cmp_gt_i32_e64 s13, s18, v93
	v_mul_f32_e32 v87, s19, v115
	v_mul_f32_e32 v99, s19, v114
	v_max3_f32 v76, v76, v89, v88
	v_cndmask_b32_e64 v79, 0xff7fffff, v79, s12
	v_cndmask_b32_e64 v78, 0xff7fffff, v78, s13
	v_cmp_gt_i32_e64 s15, s18, v94
	v_cmp_gt_i32_e64 s16, s18, v95
	v_mul_f32_e32 v80, s19, v117
	v_cmp_gt_i32_e64 s17, s18, v96
	v_max3_f32 v76, v76, v79, v78
	v_cndmask_b32_e64 v88, 0xff7fffff, v99, s15
	v_cndmask_b32_e64 v87, 0xff7fffff, v87, s16
	v_cmp_gt_i32_e64 s18, s18, v98
	v_cndmask_b32_e64 v78, 0xff7fffff, v86, s17
	v_lshlrev_b32_e32 v99, 2, v77
	s_delay_alu instid0(VALU_DEP_4) | instskip(NEXT) | instid1(VALU_DEP_4)
	v_max3_f32 v76, v76, v88, v87
	v_cndmask_b32_e64 v79, 0xff7fffff, v80, s18
	s_delay_alu instid0(VALU_DEP_1) | instskip(SKIP_3) | instid1(VALU_DEP_1)
	v_max3_f32 v76, v76, v78, v79
	ds_bpermute_b32 v77, v99, v76
	s_waitcnt lgkmcnt(0)
	v_max_f32_e32 v77, v77, v77
	v_max_f32_e32 v76, v76, v77
	s_delay_alu instid0(VALU_DEP_1)
	v_fma_f32 v86, s19, v138, -v76
	v_fma_f32 v77, s19, v134, -v76
	;; [unrolled: 1-line block ×5, first 2 shown]
	v_mul_f32_e32 v86, 0x3fb8aa3b, v86
	v_fma_f32 v88, s19, v114, -v76
	s_delay_alu instid0(VALU_DEP_4) | instskip(NEXT) | instid1(VALU_DEP_4)
	v_dual_mul_f32 v78, 0x3fb8aa3b, v78 :: v_dual_mul_f32 v79, 0x3fb8aa3b, v79
	v_mul_f32_e32 v80, 0x3fb8aa3b, v80
	s_delay_alu instid0(VALU_DEP_4) | instskip(SKIP_1) | instid1(VALU_DEP_3)
	v_exp_f32_e32 v86, v86
	v_fma_f32 v87, s19, v140, -v76
	v_exp_f32_e32 v78, v78
	v_exp_f32_e32 v79, v79
	;; [unrolled: 1-line block ×3, first 2 shown]
	s_delay_alu instid0(VALU_DEP_1)
	v_dual_mul_f32 v88, 0x3fb8aa3b, v88 :: v_dual_mul_f32 v87, 0x3fb8aa3b, v87
	v_fma_f32 v100, s19, v117, -v76
	v_fma_f32 v90, s19, v116, -v76
	v_cndmask_b32_e64 v96, 0, v86, s6
	v_fma_f32 v86, s19, v111, -v76
	v_mul_f32_e32 v77, 0x3fb8aa3b, v77
	s_delay_alu instid0(TRANS32_DEP_3) | instskip(NEXT) | instid1(TRANS32_DEP_2)
	v_cndmask_b32_e64 v91, 0, v78, s3
	v_cndmask_b32_e64 v93, 0, v79, s5
	s_delay_alu instid0(TRANS32_DEP_1)
	v_cndmask_b32_e64 v95, 0, v80, s4
	v_mul_f32_e32 v86, 0x3fb8aa3b, v86
	v_exp_f32_e32 v77, v77
	v_fma_f32 v79, s19, v141, -v76
	v_fma_f32 v80, s19, v110, -v76
	v_exp_f32_e32 v87, v87
	v_exp_f32_e32 v86, v86
	s_delay_alu instid0(VALU_DEP_2) | instskip(NEXT) | instid1(VALU_DEP_2)
	v_dual_mul_f32 v100, 0x3fb8aa3b, v100 :: v_dual_mul_f32 v79, 0x3fb8aa3b, v79
	v_mul_f32_e32 v80, 0x3fb8aa3b, v80
	v_exp_f32_e32 v88, v88
	v_cmp_gt_u32_e64 s3, 16, v75
	v_cndmask_b32_e32 v92, 0, v77, vcc_lo
	v_fma_f32 v77, s19, v139, -v76
	v_exp_f32_e32 v79, v79
	v_exp_f32_e32 v80, v80
	v_cndmask_b32_e64 v94, 0, v87, s9
	s_delay_alu instid0(VALU_DEP_2) | instskip(SKIP_2) | instid1(VALU_DEP_2)
	v_dual_add_f32 v78, 0, v92 :: v_dual_mul_f32 v77, 0x3fb8aa3b, v77
	v_fma_f32 v87, s19, v113, -v76
	v_exp_f32_e32 v100, v100
	v_add_f32_e32 v78, v78, v91
	s_delay_alu instid0(VALU_DEP_3) | instskip(SKIP_1) | instid1(VALU_DEP_2)
	v_exp_f32_e32 v77, v77
	v_cndmask_b32_e64 v98, 0, v79, s8
	v_dual_mul_f32 v87, 0x3fb8aa3b, v87 :: v_dual_add_f32 v78, v78, v93
	s_delay_alu instid0(VALU_DEP_1) | instskip(NEXT) | instid1(VALU_DEP_1)
	v_exp_f32_e32 v87, v87
	v_add_f32_e32 v78, v78, v95
	s_waitcnt_depctr 0xfff
	v_cndmask_b32_e64 v97, 0, v77, s7
	v_add_f32_e32 v77, v78, v96
	v_fma_f32 v78, s19, v112, -v76
	s_delay_alu instid0(VALU_DEP_1) | instskip(NEXT) | instid1(VALU_DEP_1)
	v_mul_f32_e32 v78, 0x3fb8aa3b, v78
	v_exp_f32_e32 v89, v78
	v_cndmask_b32_e64 v78, 0, v86, s11
	v_add_f32_e32 v77, v77, v97
	s_delay_alu instid0(VALU_DEP_1) | instskip(SKIP_2) | instid1(VALU_DEP_1)
	v_add_f32_e32 v79, v77, v94
	v_cndmask_b32_e64 v77, 0, v80, s10
	v_fma_f32 v80, s19, v115, -v76
	v_dual_add_f32 v79, v79, v98 :: v_dual_mul_f32 v80, 0x3fb8aa3b, v80
	s_delay_alu instid0(VALU_DEP_1) | instskip(NEXT) | instid1(TRANS32_DEP_1)
	v_add_f32_e32 v86, v79, v77
	v_cndmask_b32_e64 v79, 0, v89, s12
	v_mul_f32_e32 v89, 0x3fb8aa3b, v90
	s_delay_alu instid0(VALU_DEP_4) | instskip(SKIP_2) | instid1(VALU_DEP_3)
	v_exp_f32_e32 v90, v80
	v_cndmask_b32_e64 v80, 0, v87, s13
	v_add_f32_e32 v86, v86, v78
	v_exp_f32_e32 v89, v89
	s_delay_alu instid0(VALU_DEP_1) | instskip(SKIP_1) | instid1(VALU_DEP_2)
	v_add_f32_e32 v87, v86, v79
	v_cndmask_b32_e64 v86, 0, v88, s15
	v_add_f32_e32 v88, v87, v80
	s_delay_alu instid0(TRANS32_DEP_2) | instskip(NEXT) | instid1(VALU_DEP_2)
	v_cndmask_b32_e64 v87, 0, v90, s16
	v_add_f32_e32 v90, v88, v86
	s_waitcnt_depctr 0xfff
	v_cndmask_b32_e64 v88, 0, v89, s17
	v_add_f32_e32 v89, v90, v87
	s_delay_alu instid0(VALU_DEP_1) | instskip(SKIP_1) | instid1(VALU_DEP_1)
	v_add_f32_e32 v90, v89, v88
	v_cndmask_b32_e64 v89, 0, v100, s18
	v_add_f32_e32 v90, v90, v89
	ds_bpermute_b32 v99, v99, v90
	s_and_saveexec_b32 s4, s3
	s_cbranch_execz .LBB532_14
; %bb.13:
	v_mul_u32_u24_e32 v75, 0x44, v74
	s_waitcnt lgkmcnt(0)
	v_add_f32_e32 v90, v90, v99
	s_delay_alu instid0(VALU_DEP_2) | instskip(NEXT) | instid1(VALU_DEP_1)
	v_lshl_add_u32 v75, v73, 2, v75
	v_add_nc_u32_e32 v75, 0x4000, v75
	ds_store_2addr_b32 v75, v76, v90 offset1:136
.LBB532_14:
	s_or_b32 exec_lo, exec_lo, s4
	v_lshlrev_b32_e32 v75, 2, v73
	s_waitcnt lgkmcnt(0)
	s_barrier
	buffer_gl0_inv
	v_cmp_eq_u32_e64 s4, 1, v74
	v_add_nc_u32_e32 v90, 0x4000, v75
	ds_load_2addr_b32 v[99:100], v90 offset1:17
	ds_load_2addr_b32 v[101:102], v90 offset0:34 offset1:51
	ds_load_2addr_b32 v[103:104], v90 offset0:68 offset1:85
	;; [unrolled: 1-line block ×4, first 2 shown]
	s_waitcnt lgkmcnt(4)
	v_max3_f32 v75, v99, 0xff7fffff, v100
	s_waitcnt lgkmcnt(3)
	s_delay_alu instid0(VALU_DEP_1) | instskip(SKIP_1) | instid1(VALU_DEP_1)
	v_max3_f32 v75, v75, v101, v102
	s_waitcnt lgkmcnt(2)
	v_max3_f32 v75, v75, v103, v104
	s_waitcnt lgkmcnt(1)
	s_delay_alu instid0(VALU_DEP_1) | instskip(NEXT) | instid1(VALU_DEP_1)
	v_max3_f32 v75, v75, v105, v106
	v_sub_f32_e32 v109, v100, v75
	v_sub_f32_e32 v76, v99, v75
	ds_load_2addr_b32 v[99:100], v90 offset0:170 offset1:187
	v_sub_f32_e32 v101, v101, v75
	v_dual_mul_f32 v109, 0x3fb8aa3b, v109 :: v_dual_mul_f32 v76, 0x3fb8aa3b, v76
	s_delay_alu instid0(VALU_DEP_2) | instskip(NEXT) | instid1(VALU_DEP_2)
	v_mul_f32_e32 v111, 0x3fb8aa3b, v101
	v_exp_f32_e32 v109, v109
	s_delay_alu instid0(VALU_DEP_2)
	v_exp_f32_e32 v110, v76
	v_sub_f32_e32 v76, v102, v75
	ds_load_2addr_b32 v[101:102], v90 offset0:204 offset1:221
	v_exp_f32_e32 v111, v111
	v_mul_f32_e32 v112, 0x3fb8aa3b, v76
	s_waitcnt lgkmcnt(2)
	v_fma_f32 v76, v110, v107, 0
	v_sub_f32_e32 v103, v103, v75
	s_delay_alu instid0(VALU_DEP_3) | instskip(NEXT) | instid1(VALU_DEP_2)
	v_exp_f32_e32 v112, v112
	v_dual_sub_f32 v107, v104, v75 :: v_dual_fmac_f32 v76, v109, v108
	s_waitcnt lgkmcnt(1)
	s_waitcnt_depctr 0xfff
	v_fmac_f32_e32 v76, v111, v99
	v_mul_f32_e32 v113, 0x3fb8aa3b, v103
	ds_load_2addr_b32 v[103:104], v90 offset0:238 offset1:255
	v_sub_f32_e32 v90, v105, v75
	v_dual_sub_f32 v99, v106, v75 :: v_dual_fmac_f32 v76, v112, v100
	v_mul_f32_e32 v105, 0x3fb8aa3b, v107
	v_exp_f32_e32 v107, v113
	s_delay_alu instid0(VALU_DEP_2)
	v_dual_mul_f32 v90, 0x3fb8aa3b, v90 :: v_dual_mul_f32 v99, 0x3fb8aa3b, v99
	s_waitcnt lgkmcnt(0)
	s_barrier
	buffer_gl0_inv
	v_exp_f32_e32 v90, v90
	v_exp_f32_e32 v99, v99
	v_fmac_f32_e32 v76, v107, v101
	v_exp_f32_e32 v105, v105
	s_waitcnt_depctr 0xfff
	v_fmac_f32_e32 v76, v105, v102
	s_delay_alu instid0(VALU_DEP_1) | instskip(NEXT) | instid1(VALU_DEP_1)
	v_fmac_f32_e32 v76, v90, v103
	v_fmac_f32_e32 v76, v99, v104
	s_delay_alu instid0(VALU_DEP_1) | instskip(NEXT) | instid1(VALU_DEP_1)
	v_add_f32_e32 v100, 0x358637bd, v76
	v_div_scale_f32 v101, null, v100, v100, 1.0
	v_div_scale_f32 v104, vcc_lo, 1.0, v100, 1.0
	s_delay_alu instid0(VALU_DEP_2) | instskip(SKIP_2) | instid1(VALU_DEP_1)
	v_rcp_f32_e32 v102, v101
	s_waitcnt_depctr 0xfff
	v_fma_f32 v103, -v101, v102, 1.0
	v_fmac_f32_e32 v102, v103, v102
	v_cndmask_b32_e64 v103, v110, v109, s4
	v_cmp_eq_u32_e64 s4, 2, v74
	s_delay_alu instid0(VALU_DEP_3) | instskip(NEXT) | instid1(VALU_DEP_2)
	v_mul_f32_e32 v106, v104, v102
	v_cndmask_b32_e64 v103, v103, v111, s4
	v_cmp_eq_u32_e64 s4, 3, v74
	s_delay_alu instid0(VALU_DEP_3) | instskip(NEXT) | instid1(VALU_DEP_2)
	v_fma_f32 v108, -v101, v106, v104
	v_cndmask_b32_e64 v103, v103, v112, s4
	v_cmp_eq_u32_e64 s4, 4, v74
	s_delay_alu instid0(VALU_DEP_3) | instskip(NEXT) | instid1(VALU_DEP_2)
	v_fmac_f32_e32 v106, v108, v102
	v_cndmask_b32_e64 v103, v103, v107, s4
	s_delay_alu instid0(VALU_DEP_2) | instskip(SKIP_1) | instid1(VALU_DEP_2)
	v_fma_f32 v101, -v101, v106, v104
	v_cmp_eq_u32_e64 s4, 5, v74
	v_div_fmas_f32 v101, v101, v102, v106
	s_delay_alu instid0(VALU_DEP_2) | instskip(SKIP_2) | instid1(VALU_DEP_3)
	v_cndmask_b32_e64 v103, v103, v105, s4
	v_cmp_eq_u32_e32 vcc_lo, 6, v74
	s_mov_b32 s4, exec_lo
	v_div_fixup_f32 v100, v101, v100, 1.0
	s_delay_alu instid0(VALU_DEP_3) | instskip(SKIP_1) | instid1(VALU_DEP_2)
	v_cndmask_b32_e32 v90, v103, v90, vcc_lo
	v_cmp_eq_u32_e32 vcc_lo, 7, v74
	v_cndmask_b32_e32 v90, v90, v99, vcc_lo
	s_delay_alu instid0(VALU_DEP_1) | instskip(NEXT) | instid1(VALU_DEP_1)
	v_mul_f32_e32 v90, v90, v100
	v_mul_f32_e32 v100, v90, v92
	;; [unrolled: 1-line block ×6, first 2 shown]
	v_and_b32_e32 v101, 0x7f800000, v100
	v_mul_f32_e32 v99, v90, v95
	v_mul_f32_e32 v95, v90, v91
	;; [unrolled: 1-line block ×3, first 2 shown]
                                        ; implicit-def: $vgpr91
	s_delay_alu instid0(VALU_DEP_4)
	v_cmpx_ne_u32_e32 0x7f800000, v101
	s_xor_b32 s4, exec_lo, s4
; %bb.15:
	v_bfe_u32 v91, v100, 16, 1
	s_delay_alu instid0(VALU_DEP_1)
	v_add3_u32 v91, v100, v91, 0x7fff
                                        ; implicit-def: $vgpr100
; %bb.16:
	s_and_not1_saveexec_b32 s4, s4
; %bb.17:
	v_and_b32_e32 v91, 0xffff, v100
	v_or_b32_e32 v93, 0x10000, v100
	s_delay_alu instid0(VALU_DEP_2) | instskip(NEXT) | instid1(VALU_DEP_2)
	v_cmp_eq_u32_e32 vcc_lo, 0, v91
	v_cndmask_b32_e32 v91, v93, v100, vcc_lo
; %bb.18:
	s_or_b32 exec_lo, exec_lo, s4
	v_and_b32_e32 v93, 0x7f800000, v95
	s_delay_alu instid0(VALU_DEP_1) | instskip(SKIP_1) | instid1(SALU_CYCLE_1)
	v_cmp_ne_u32_e32 vcc_lo, 0x7f800000, v93
                                        ; implicit-def: $vgpr93
	s_and_saveexec_b32 s4, vcc_lo
	s_xor_b32 s4, exec_lo, s4
; %bb.19:
	v_bfe_u32 v93, v95, 16, 1
	s_delay_alu instid0(VALU_DEP_1)
	v_add3_u32 v93, v95, v93, 0x7fff
                                        ; implicit-def: $vgpr95
; %bb.20:
	s_and_not1_saveexec_b32 s4, s4
; %bb.21:
	v_and_b32_e32 v93, 0xffff, v95
	v_or_b32_e32 v100, 0x10000, v95
	s_delay_alu instid0(VALU_DEP_2) | instskip(NEXT) | instid1(VALU_DEP_2)
	v_cmp_eq_u32_e32 vcc_lo, 0, v93
	v_cndmask_b32_e32 v93, v100, v95, vcc_lo
; %bb.22:
	s_or_b32 exec_lo, exec_lo, s4
	v_and_b32_e32 v95, 0x7f800000, v96
	s_delay_alu instid0(VALU_DEP_1) | instskip(SKIP_1) | instid1(SALU_CYCLE_1)
	v_cmp_ne_u32_e32 vcc_lo, 0x7f800000, v95
                                        ; implicit-def: $vgpr95
	s_and_saveexec_b32 s4, vcc_lo
	s_xor_b32 s4, exec_lo, s4
; %bb.23:
	v_bfe_u32 v95, v96, 16, 1
	s_delay_alu instid0(VALU_DEP_1)
	v_add3_u32 v95, v96, v95, 0x7fff
                                        ; implicit-def: $vgpr96
; %bb.24:
	s_and_not1_saveexec_b32 s4, s4
; %bb.25:
	v_and_b32_e32 v95, 0xffff, v96
	v_or_b32_e32 v100, 0x10000, v96
	s_delay_alu instid0(VALU_DEP_2) | instskip(NEXT) | instid1(VALU_DEP_2)
	v_cmp_eq_u32_e32 vcc_lo, 0, v95
	v_cndmask_b32_e32 v95, v100, v96, vcc_lo
; %bb.26:
	s_or_b32 exec_lo, exec_lo, s4
	v_and_b32_e32 v96, 0x7f800000, v99
	s_delay_alu instid0(VALU_DEP_1) | instskip(SKIP_1) | instid1(SALU_CYCLE_1)
	v_cmp_ne_u32_e32 vcc_lo, 0x7f800000, v96
                                        ; implicit-def: $vgpr96
	s_and_saveexec_b32 s4, vcc_lo
	s_xor_b32 s4, exec_lo, s4
; %bb.27:
	v_bfe_u32 v96, v99, 16, 1
	s_delay_alu instid0(VALU_DEP_1)
	v_add3_u32 v96, v99, v96, 0x7fff
                                        ; implicit-def: $vgpr99
; %bb.28:
	s_and_not1_saveexec_b32 s4, s4
; %bb.29:
	v_and_b32_e32 v96, 0xffff, v99
	v_or_b32_e32 v100, 0x10000, v99
	s_delay_alu instid0(VALU_DEP_2) | instskip(NEXT) | instid1(VALU_DEP_2)
	v_cmp_eq_u32_e32 vcc_lo, 0, v96
	v_cndmask_b32_e32 v96, v100, v99, vcc_lo
; %bb.30:
	s_or_b32 exec_lo, exec_lo, s4
	v_and_b32_e32 v99, 0x7f800000, v98
	s_delay_alu instid0(VALU_DEP_1) | instskip(SKIP_1) | instid1(SALU_CYCLE_1)
	v_cmp_ne_u32_e32 vcc_lo, 0x7f800000, v99
                                        ; implicit-def: $vgpr99
	s_and_saveexec_b32 s4, vcc_lo
	s_xor_b32 s4, exec_lo, s4
; %bb.31:
	v_bfe_u32 v99, v98, 16, 1
	s_delay_alu instid0(VALU_DEP_1)
	v_add3_u32 v99, v98, v99, 0x7fff
                                        ; implicit-def: $vgpr98
; %bb.32:
	s_and_not1_saveexec_b32 s4, s4
; %bb.33:
	v_and_b32_e32 v99, 0xffff, v98
	v_or_b32_e32 v100, 0x10000, v98
	s_delay_alu instid0(VALU_DEP_2) | instskip(NEXT) | instid1(VALU_DEP_2)
	v_cmp_eq_u32_e32 vcc_lo, 0, v99
	v_cndmask_b32_e32 v99, v100, v98, vcc_lo
; %bb.34:
	s_or_b32 exec_lo, exec_lo, s4
	v_and_b32_e32 v98, 0x7f800000, v97
	s_delay_alu instid0(VALU_DEP_1) | instskip(SKIP_1) | instid1(SALU_CYCLE_1)
	v_cmp_ne_u32_e32 vcc_lo, 0x7f800000, v98
                                        ; implicit-def: $vgpr98
	s_and_saveexec_b32 s4, vcc_lo
	s_xor_b32 s4, exec_lo, s4
; %bb.35:
	v_bfe_u32 v98, v97, 16, 1
	s_delay_alu instid0(VALU_DEP_1)
	v_add3_u32 v98, v97, v98, 0x7fff
                                        ; implicit-def: $vgpr97
; %bb.36:
	s_and_not1_saveexec_b32 s4, s4
; %bb.37:
	v_and_b32_e32 v98, 0xffff, v97
	v_or_b32_e32 v100, 0x10000, v97
	s_delay_alu instid0(VALU_DEP_2) | instskip(NEXT) | instid1(VALU_DEP_2)
	v_cmp_eq_u32_e32 vcc_lo, 0, v98
	v_cndmask_b32_e32 v98, v100, v97, vcc_lo
; %bb.38:
	s_or_b32 exec_lo, exec_lo, s4
	v_and_b32_e32 v97, 0x7f800000, v94
	s_delay_alu instid0(VALU_DEP_1) | instskip(SKIP_1) | instid1(SALU_CYCLE_1)
	v_cmp_ne_u32_e32 vcc_lo, 0x7f800000, v97
                                        ; implicit-def: $vgpr97
	s_and_saveexec_b32 s4, vcc_lo
	s_xor_b32 s4, exec_lo, s4
; %bb.39:
	v_bfe_u32 v97, v94, 16, 1
	s_delay_alu instid0(VALU_DEP_1)
	v_add3_u32 v97, v94, v97, 0x7fff
                                        ; implicit-def: $vgpr94
; %bb.40:
	s_and_not1_saveexec_b32 s4, s4
; %bb.41:
	v_and_b32_e32 v97, 0xffff, v94
	v_or_b32_e32 v100, 0x10000, v94
	s_delay_alu instid0(VALU_DEP_2) | instskip(NEXT) | instid1(VALU_DEP_2)
	v_cmp_eq_u32_e32 vcc_lo, 0, v97
	v_cndmask_b32_e32 v97, v100, v94, vcc_lo
; %bb.42:
	s_or_b32 exec_lo, exec_lo, s4
	v_and_b32_e32 v94, 0x7f800000, v92
	s_delay_alu instid0(VALU_DEP_1) | instskip(SKIP_1) | instid1(SALU_CYCLE_1)
	v_cmp_ne_u32_e32 vcc_lo, 0x7f800000, v94
                                        ; implicit-def: $vgpr94
	s_and_saveexec_b32 s4, vcc_lo
	s_xor_b32 s4, exec_lo, s4
; %bb.43:
	v_bfe_u32 v94, v92, 16, 1
	s_delay_alu instid0(VALU_DEP_1)
	v_add3_u32 v94, v92, v94, 0x7fff
                                        ; implicit-def: $vgpr92
; %bb.44:
	s_and_not1_saveexec_b32 s4, s4
; %bb.45:
	v_and_b32_e32 v94, 0xffff, v92
	v_or_b32_e32 v100, 0x10000, v92
	s_delay_alu instid0(VALU_DEP_2) | instskip(NEXT) | instid1(VALU_DEP_2)
	v_cmp_eq_u32_e32 vcc_lo, 0, v94
	v_cndmask_b32_e32 v94, v100, v92, vcc_lo
; %bb.46:
	s_or_b32 exec_lo, exec_lo, s4
	s_load_b64 s[36:37], s[0:1], 0x94
	v_lshlrev_b32_e32 v92, 4, v83
	s_delay_alu instid0(VALU_DEP_2)
	v_perm_b32 v100, v94, v97, 0x7060302
	v_dual_mul_f32 v89, v90, v89 :: v_dual_lshlrev_b32 v94, 11, v74
	v_perm_b32 v97, v93, v91, 0x7060302
	v_mul_f32_e32 v93, v90, v77
	v_perm_b32 v99, v98, v99, 0x7060302
	v_perm_b32 v98, v96, v95, 0x7060302
	v_or3_b32 v77, v92, v94, v85
	v_mul_f32_e32 v88, v90, v88
	v_dual_mul_f32 v87, v90, v87 :: v_dual_and_b32 v94, 0x7f800000, v93
	v_mul_f32_e32 v86, v90, v86
	v_mul_f32_e32 v91, v90, v80
	;; [unrolled: 1-line block ×4, first 2 shown]
	s_mov_b32 s4, exec_lo
	ds_store_b128 v77, v[97:100]
                                        ; implicit-def: $vgpr78
	v_cmpx_ne_u32_e32 0x7f800000, v94
	s_xor_b32 s4, exec_lo, s4
; %bb.47:
	v_bfe_u32 v78, v93, 16, 1
	s_delay_alu instid0(VALU_DEP_1)
	v_add3_u32 v78, v93, v78, 0x7fff
                                        ; implicit-def: $vgpr93
; %bb.48:
	s_and_not1_saveexec_b32 s4, s4
; %bb.49:
	v_and_b32_e32 v78, 0xffff, v93
	v_or_b32_e32 v79, 0x10000, v93
	s_delay_alu instid0(VALU_DEP_2) | instskip(NEXT) | instid1(VALU_DEP_2)
	v_cmp_eq_u32_e32 vcc_lo, 0, v78
	v_cndmask_b32_e32 v78, v79, v93, vcc_lo
; %bb.50:
	s_or_b32 exec_lo, exec_lo, s4
	v_and_b32_e32 v79, 0x7f800000, v80
	s_delay_alu instid0(VALU_DEP_1) | instskip(SKIP_1) | instid1(SALU_CYCLE_1)
	v_cmp_ne_u32_e32 vcc_lo, 0x7f800000, v79
                                        ; implicit-def: $vgpr79
	s_and_saveexec_b32 s4, vcc_lo
	s_xor_b32 s4, exec_lo, s4
; %bb.51:
	v_bfe_u32 v79, v80, 16, 1
	s_delay_alu instid0(VALU_DEP_1)
	v_add3_u32 v79, v80, v79, 0x7fff
                                        ; implicit-def: $vgpr80
; %bb.52:
	s_and_not1_saveexec_b32 s4, s4
; %bb.53:
	v_and_b32_e32 v79, 0xffff, v80
	v_or_b32_e32 v90, 0x10000, v80
	s_delay_alu instid0(VALU_DEP_2) | instskip(NEXT) | instid1(VALU_DEP_2)
	v_cmp_eq_u32_e32 vcc_lo, 0, v79
	v_cndmask_b32_e32 v79, v90, v80, vcc_lo
; %bb.54:
	s_or_b32 exec_lo, exec_lo, s4
	v_and_b32_e32 v80, 0x7f800000, v92
	s_delay_alu instid0(VALU_DEP_1) | instskip(SKIP_1) | instid1(SALU_CYCLE_1)
	v_cmp_ne_u32_e32 vcc_lo, 0x7f800000, v80
                                        ; implicit-def: $vgpr80
	s_and_saveexec_b32 s4, vcc_lo
	s_xor_b32 s4, exec_lo, s4
; %bb.55:
	v_bfe_u32 v80, v92, 16, 1
	s_delay_alu instid0(VALU_DEP_1)
	v_add3_u32 v80, v92, v80, 0x7fff
                                        ; implicit-def: $vgpr92
; %bb.56:
	s_and_not1_saveexec_b32 s4, s4
; %bb.57:
	v_and_b32_e32 v80, 0xffff, v92
	v_or_b32_e32 v90, 0x10000, v92
	s_delay_alu instid0(VALU_DEP_2) | instskip(NEXT) | instid1(VALU_DEP_2)
	v_cmp_eq_u32_e32 vcc_lo, 0, v80
	v_cndmask_b32_e32 v80, v90, v92, vcc_lo
; %bb.58:
	s_or_b32 exec_lo, exec_lo, s4
	v_and_b32_e32 v90, 0x7f800000, v91
	s_delay_alu instid0(VALU_DEP_1) | instskip(SKIP_1) | instid1(SALU_CYCLE_1)
	v_cmp_ne_u32_e32 vcc_lo, 0x7f800000, v90
                                        ; implicit-def: $vgpr90
	s_and_saveexec_b32 s4, vcc_lo
	s_xor_b32 s4, exec_lo, s4
; %bb.59:
	v_bfe_u32 v90, v91, 16, 1
	s_delay_alu instid0(VALU_DEP_1)
	v_add3_u32 v90, v91, v90, 0x7fff
                                        ; implicit-def: $vgpr91
; %bb.60:
	s_and_not1_saveexec_b32 s4, s4
; %bb.61:
	v_and_b32_e32 v90, 0xffff, v91
	v_or_b32_e32 v92, 0x10000, v91
	s_delay_alu instid0(VALU_DEP_2) | instskip(NEXT) | instid1(VALU_DEP_2)
	v_cmp_eq_u32_e32 vcc_lo, 0, v90
	v_cndmask_b32_e32 v90, v92, v91, vcc_lo
; %bb.62:
	s_or_b32 exec_lo, exec_lo, s4
	v_and_b32_e32 v91, 0x7f800000, v86
	s_delay_alu instid0(VALU_DEP_1) | instskip(SKIP_1) | instid1(SALU_CYCLE_1)
	v_cmp_ne_u32_e32 vcc_lo, 0x7f800000, v91
                                        ; implicit-def: $vgpr91
	s_and_saveexec_b32 s4, vcc_lo
	s_xor_b32 s4, exec_lo, s4
; %bb.63:
	v_bfe_u32 v91, v86, 16, 1
	s_delay_alu instid0(VALU_DEP_1)
	v_add3_u32 v91, v86, v91, 0x7fff
                                        ; implicit-def: $vgpr86
; %bb.64:
	s_and_not1_saveexec_b32 s4, s4
; %bb.65:
	v_and_b32_e32 v91, 0xffff, v86
	v_or_b32_e32 v92, 0x10000, v86
	s_delay_alu instid0(VALU_DEP_2) | instskip(NEXT) | instid1(VALU_DEP_2)
	v_cmp_eq_u32_e32 vcc_lo, 0, v91
	v_cndmask_b32_e32 v91, v92, v86, vcc_lo
; %bb.66:
	s_or_b32 exec_lo, exec_lo, s4
	v_and_b32_e32 v86, 0x7f800000, v87
	s_delay_alu instid0(VALU_DEP_1) | instskip(SKIP_1) | instid1(SALU_CYCLE_1)
	v_cmp_ne_u32_e32 vcc_lo, 0x7f800000, v86
                                        ; implicit-def: $vgpr86
	s_and_saveexec_b32 s4, vcc_lo
	s_xor_b32 s4, exec_lo, s4
; %bb.67:
	v_bfe_u32 v86, v87, 16, 1
	s_delay_alu instid0(VALU_DEP_1)
	v_add3_u32 v86, v87, v86, 0x7fff
                                        ; implicit-def: $vgpr87
; %bb.68:
	s_and_not1_saveexec_b32 s4, s4
; %bb.69:
	v_and_b32_e32 v86, 0xffff, v87
	v_or_b32_e32 v92, 0x10000, v87
	s_delay_alu instid0(VALU_DEP_2) | instskip(NEXT) | instid1(VALU_DEP_2)
	v_cmp_eq_u32_e32 vcc_lo, 0, v86
	v_cndmask_b32_e32 v86, v92, v87, vcc_lo
; %bb.70:
	s_or_b32 exec_lo, exec_lo, s4
	v_and_b32_e32 v87, 0x7f800000, v88
	s_delay_alu instid0(VALU_DEP_1) | instskip(SKIP_1) | instid1(SALU_CYCLE_1)
	v_cmp_ne_u32_e32 vcc_lo, 0x7f800000, v87
                                        ; implicit-def: $vgpr87
	s_and_saveexec_b32 s4, vcc_lo
	s_xor_b32 s4, exec_lo, s4
; %bb.71:
	v_bfe_u32 v87, v88, 16, 1
	s_delay_alu instid0(VALU_DEP_1)
	v_add3_u32 v87, v88, v87, 0x7fff
                                        ; implicit-def: $vgpr88
; %bb.72:
	s_and_not1_saveexec_b32 s4, s4
; %bb.73:
	v_and_b32_e32 v87, 0xffff, v88
	v_or_b32_e32 v92, 0x10000, v88
	s_delay_alu instid0(VALU_DEP_2) | instskip(NEXT) | instid1(VALU_DEP_2)
	v_cmp_eq_u32_e32 vcc_lo, 0, v87
	v_cndmask_b32_e32 v87, v92, v88, vcc_lo
; %bb.74:
	s_or_b32 exec_lo, exec_lo, s4
	v_and_b32_e32 v88, 0x7f800000, v89
	s_delay_alu instid0(VALU_DEP_1) | instskip(SKIP_1) | instid1(SALU_CYCLE_1)
	v_cmp_ne_u32_e32 vcc_lo, 0x7f800000, v88
                                        ; implicit-def: $vgpr88
	s_and_saveexec_b32 s4, vcc_lo
	s_xor_b32 s4, exec_lo, s4
; %bb.75:
	v_bfe_u32 v88, v89, 16, 1
	s_delay_alu instid0(VALU_DEP_1)
	v_add3_u32 v88, v89, v88, 0x7fff
                                        ; implicit-def: $vgpr89
; %bb.76:
	s_and_not1_saveexec_b32 s4, s4
; %bb.77:
	v_and_b32_e32 v88, 0xffff, v89
	v_or_b32_e32 v92, 0x10000, v89
	s_delay_alu instid0(VALU_DEP_2) | instskip(NEXT) | instid1(VALU_DEP_2)
	v_cmp_eq_u32_e32 vcc_lo, 0, v88
	v_cndmask_b32_e32 v88, v92, v89, vcc_lo
; %bb.78:
	s_or_b32 exec_lo, exec_lo, s4
	s_delay_alu instid0(VALU_DEP_1)
	v_perm_b32 v89, v88, v87, 0x7060302
	v_perm_b32 v88, v86, v91, 0x7060302
	;; [unrolled: 1-line block ×4, first 2 shown]
	v_lshl_or_b32 v90, v74, 11, v85
	ds_store_b128 v77, v[86:89] offset:1024
	s_waitcnt lgkmcnt(0)
	s_barrier
	buffer_gl0_inv
	ds_load_b128 v[91:94], v90
	ds_load_b128 v[95:98], v90 offset:16
	v_lshlrev_b32_e32 v87, 2, v83
	s_delay_alu instid0(VALU_DEP_1)
	v_or_b32_e32 v88, 1, v87
	v_cmp_eq_u32_e32 vcc_lo, 1, v87
	v_cmp_eq_u32_e64 s5, 2, v87
	v_cmp_eq_u32_e64 s8, 3, v87
	;; [unrolled: 1-line block ×6, first 2 shown]
	v_or_b32_e32 v86, 2, v87
	v_cmp_eq_u32_e64 s11, 5, v87
	v_cmp_eq_u32_e64 s12, 4, v88
	;; [unrolled: 1-line block ×4, first 2 shown]
	s_waitcnt lgkmcnt(1)
	v_lshrrev_b32_e32 v74, 16, v91
	s_waitcnt lgkmcnt(0)
	v_lshrrev_b32_e32 v103, 16, v95
	v_lshrrev_b32_e32 v80, 16, v94
	;; [unrolled: 1-line block ×4, first 2 shown]
	v_cndmask_b32_e32 v89, v91, v74, vcc_lo
	v_cndmask_b32_e32 v99, v95, v103, vcc_lo
	v_cndmask_b32_e64 v100, v91, v74, s4
	v_lshrrev_b32_e32 v79, 16, v93
	v_lshrrev_b32_e32 v108, 16, v97
	v_cndmask_b32_e64 v89, v89, v92, s5
	v_cndmask_b32_e64 v99, v99, v96, s5
	v_cndmask_b32_e64 v100, v100, v92, s7
	v_cndmask_b32_e64 v101, v95, v103, s4
	v_cmp_eq_u32_e64 s6, 1, v86
	v_cndmask_b32_e64 v89, v89, v78, s8
	v_cndmask_b32_e64 v99, v99, v107, s8
	;; [unrolled: 1-line block ×4, first 2 shown]
	v_lshrrev_b32_e32 v109, 16, v98
	v_cndmask_b32_e64 v89, v89, v93, s10
	v_cndmask_b32_e64 v99, v99, v97, s10
	;; [unrolled: 1-line block ×8, first 2 shown]
	v_cmp_eq_u32_e64 s16, 7, v87
	v_cmp_eq_u32_e64 s17, 6, v88
	v_cndmask_b32_e64 v89, v89, v94, s13
	v_cndmask_b32_e64 v99, v99, v98, s13
	v_cmp_eq_u32_e64 s18, 2, v86
	v_cndmask_b32_e64 v101, v101, v97, s12
	v_cndmask_b32_e64 v100, v100, v94, s17
	;; [unrolled: 1-line block ×6, first 2 shown]
	v_cmp_eq_u32_e64 s19, 7, v88
	v_cmp_eq_u32_e64 s20, 3, v86
	;; [unrolled: 1-line block ×4, first 2 shown]
	v_cndmask_b32_e64 v99, v99, v96, s18
	v_cndmask_b32_e64 v112, v100, v80, s19
	;; [unrolled: 1-line block ×4, first 2 shown]
	v_or_b32_e32 v89, 3, v87
	v_cndmask_b32_e64 v105, v99, v107, s20
	v_cmp_eq_u32_e64 s25, 6, v86
	v_cndmask_b32_e64 v113, v100, v98, s17
	v_cndmask_b32_e64 v104, v101, v93, s21
	ds_load_b128 v[99:102], v90 offset:1024
	v_cmp_eq_u32_e64 s22, 1, v89
	v_cmp_eq_u32_e64 s24, 2, v89
	;; [unrolled: 1-line block ×3, first 2 shown]
	v_cndmask_b32_e64 v114, v104, v79, s23
	v_cmp_eq_u32_e64 s27, 4, v89
	v_cndmask_b32_e64 v74, v91, v74, s22
	v_cndmask_b32_e64 v91, v105, v97, s21
	;; [unrolled: 1-line block ×3, first 2 shown]
	ds_load_b128 v[103:106], v90 offset:1040
	v_cmp_eq_u32_e64 s29, 5, v89
	v_cndmask_b32_e64 v74, v74, v92, s24
	v_cndmask_b32_e64 v91, v91, v108, s23
	;; [unrolled: 1-line block ×3, first 2 shown]
	v_cmp_eq_u32_e64 s30, 6, v89
	v_cndmask_b32_e64 v95, v113, v109, s19
	v_cndmask_b32_e64 v74, v74, v78, s26
	;; [unrolled: 1-line block ×5, first 2 shown]
	s_waitcnt lgkmcnt(1)
	v_lshrrev_b32_e32 v96, 16, v99
	v_cndmask_b32_e64 v74, v74, v93, s27
	v_lshrrev_b32_e32 v107, 16, v100
	v_cndmask_b32_e64 v92, v92, v97, s27
	v_cmp_eq_u32_e64 s28, 7, v86
	v_cndmask_b32_e32 v93, v99, v96, vcc_lo
	v_cndmask_b32_e64 v74, v74, v79, s29
	s_delay_alu instid0(VALU_DEP_4)
	v_cndmask_b32_e64 v79, v92, v108, s29
	s_waitcnt lgkmcnt(0)
	v_lshrrev_b32_e32 v97, 16, v103
	v_cndmask_b32_e64 v92, v93, v100, s5
	v_cndmask_b32_e64 v93, v99, v96, s4
	;; [unrolled: 1-line block ×4, first 2 shown]
	v_cndmask_b32_e32 v108, v103, v97, vcc_lo
	v_cndmask_b32_e64 v92, v92, v107, s8
	v_cndmask_b32_e64 v93, v93, v100, s7
	v_lshrrev_b32_e32 v98, 16, v104
	v_cmp_eq_u32_e32 vcc_lo, 7, v89
	v_cndmask_b32_e64 v94, v108, v104, s5
	v_cndmask_b32_e64 v92, v92, v101, s10
	v_lshrrev_b32_e32 v108, 16, v101
	v_cndmask_b32_e64 v93, v93, v107, s9
	v_cndmask_b32_e32 v74, v74, v80, vcc_lo
	v_cndmask_b32_e64 v94, v94, v98, s8
	v_cndmask_b32_e32 v79, v79, v109, vcc_lo
	v_cndmask_b32_e64 v92, v92, v108, s11
	v_cndmask_b32_e64 v78, v78, v80, s28
	;; [unrolled: 1-line block ×4, first 2 shown]
	v_perm_b32 v94, v79, v74, 0x5040100
	v_cndmask_b32_e64 v79, v92, v102, s13
	v_perm_b32 v92, v95, v112, 0x5040100
	v_cndmask_b32_e64 v95, v99, v96, s6
	v_cndmask_b32_e64 v96, v99, v96, s22
	;; [unrolled: 1-line block ×16, first 2 shown]
	v_lshrrev_b32_e32 v109, 16, v105
	v_cndmask_b32_e64 v95, v95, v101, s21
	v_cndmask_b32_e64 v96, v96, v101, s27
	;; [unrolled: 1-line block ×6, first 2 shown]
	v_lshrrev_b32_e32 v80, 16, v102
	v_cndmask_b32_e64 v113, v93, v109, s11
	v_cndmask_b32_e64 v95, v95, v108, s23
	;; [unrolled: 1-line block ×6, first 2 shown]
	v_perm_b32 v93, v91, v78, 0x5040100
	v_cndmask_b32_e64 v74, v74, v102, s17
	v_cndmask_b32_e64 v78, v79, v80, s16
	v_cndmask_b32_e64 v79, v113, v106, s13
	v_lshrrev_b32_e32 v91, 16, v106
	v_cndmask_b32_e64 v95, v95, v102, s25
	v_cndmask_b32_e64 v96, v96, v102, s30
	;; [unrolled: 1-line block ×7, first 2 shown]
	v_cndmask_b32_e32 v80, v96, v80, vcc_lo
	v_cndmask_b32_e32 v96, v98, v91, vcc_lo
	v_cndmask_b32_e64 v99, v99, v91, s28
	v_cndmask_b32_e64 v100, v97, v91, s19
	;; [unrolled: 1-line block ×3, first 2 shown]
	v_perm_b32 v91, v111, v110, 0x5040100
	v_perm_b32 v98, v96, v80, 0x5040100
	;; [unrolled: 1-line block ×5, first 2 shown]
	s_mul_i32 s9, s37, 15
	s_mov_b32 s4, exec_lo
	ds_store_b128 v77, v[91:94]
	ds_store_b128 v77, v[95:98] offset:1024
	v_cmpx_gt_u32_e32 15, v0
	s_cbranch_execz .LBB532_80
; %bb.79:
	s_mul_i32 s5, s9, s34
	s_load_b128 s[16:19], s[0:1], 0x58
	v_add3_u32 v77, s5, s31, v73
	s_delay_alu instid0(VALU_DEP_1) | instskip(NEXT) | instid1(VALU_DEP_1)
	v_mad_u64_u32 v[73:74], null, v77, s36, s[14:15]
	v_ashrrev_i32_e32 v74, 31, v73
	s_delay_alu instid0(VALU_DEP_1) | instskip(SKIP_1) | instid1(VALU_DEP_1)
	v_lshlrev_b64 v[73:74], 2, v[73:74]
	s_waitcnt lgkmcnt(0)
	v_add_co_u32 v77, vcc_lo, s18, v73
	s_delay_alu instid0(VALU_DEP_2)
	v_add_co_ci_u32_e32 v78, vcc_lo, s19, v74, vcc_lo
	v_add_co_u32 v73, vcc_lo, s16, v73
	v_add_co_ci_u32_e32 v74, vcc_lo, s17, v74, vcc_lo
	global_store_b32 v[77:78], v75, off
	global_store_b32 v[73:74], v76, off
.LBB532_80:
	s_or_b32 exec_lo, exec_lo, s4
	s_waitcnt lgkmcnt(0)
	s_waitcnt_vscnt null, 0x0
	s_barrier
	buffer_gl0_inv
	ds_load_b128 v[91:94], v85
	ds_load_b128 v[95:98], v85 offset:16
	ds_load_b128 v[103:106], v85 offset:1040
	;; [unrolled: 1-line block ×3, first 2 shown]
	v_mov_b32_e32 v73, 0
	ds_load_b128 v[111:114], v85 offset:2064
	ds_load_b128 v[107:110], v85 offset:2048
	;; [unrolled: 1-line block ×6, first 2 shown]
	v_mov_b32_e32 v74, v73
	v_mov_b32_e32 v75, v73
	;; [unrolled: 1-line block ×7, first 2 shown]
	s_waitcnt lgkmcnt(8)
	s_delay_alu instid0(VALU_DEP_1)
	v_wmma_f32_16x16x16_bf16 v[73:80], v[65:72], v[91:98], v[73:80]
	ds_load_b128 v[69:72], v85 offset:5136
	ds_load_b128 v[65:68], v85 offset:5120
	;; [unrolled: 1-line block ×4, first 2 shown]
	s_waitcnt lgkmcnt(10)
	v_wmma_f32_16x16x16_bf16 v[73:80], v[57:64], v[99:106], v[73:80]
	s_waitcnt lgkmcnt(8)
	s_delay_alu instid0(VALU_DEP_1)
	v_wmma_f32_16x16x16_bf16 v[73:80], v[57:64], v[107:114], v[73:80]
	ds_load_b128 v[61:64], v85 offset:7184
	ds_load_b128 v[57:60], v85 offset:7168
	;; [unrolled: 1-line block ×4, first 2 shown]
	s_waitcnt lgkmcnt(10)
	v_wmma_f32_16x16x16_bf16 v[73:80], v[49:56], v[115:122], v[73:80]
	s_waitcnt lgkmcnt(8)
	s_delay_alu instid0(VALU_DEP_1)
	v_wmma_f32_16x16x16_bf16 v[73:80], v[49:56], v[123:130], v[73:80]
	ds_load_b128 v[53:56], v85 offset:9232
	ds_load_b128 v[49:52], v85 offset:9216
	s_waitcnt lgkmcnt(8)
	v_wmma_f32_16x16x16_bf16 v[73:80], v[41:48], v[65:72], v[73:80]
	ds_load_b128 v[69:72], v85 offset:10256
	ds_load_b128 v[65:68], v85 offset:10240
	s_waitcnt lgkmcnt(8)
	v_wmma_f32_16x16x16_bf16 v[73:80], v[41:48], v[91:98], v[73:80]
	ds_load_b128 v[45:48], v85 offset:11280
	ds_load_b128 v[41:44], v85 offset:11264
	s_waitcnt lgkmcnt(8)
	v_wmma_f32_16x16x16_bf16 v[73:80], v[9:16], v[57:64], v[73:80]
	s_waitcnt lgkmcnt(6)
	s_delay_alu instid0(VALU_DEP_1)
	v_wmma_f32_16x16x16_bf16 v[73:80], v[9:16], v[99:106], v[73:80]
	ds_load_b128 v[13:16], v85 offset:12304
	ds_load_b128 v[9:12], v85 offset:12288
	s_waitcnt lgkmcnt(6)
	v_wmma_f32_16x16x16_bf16 v[73:80], v[1:8], v[49:56], v[73:80]
	ds_load_b128 v[53:56], v85 offset:13328
	ds_load_b128 v[49:52], v85 offset:13312
	s_waitcnt lgkmcnt(6)
	v_wmma_f32_16x16x16_bf16 v[73:80], v[1:8], v[65:72], v[73:80]
	ds_load_b128 v[5:8], v85 offset:14352
	ds_load_b128 v[1:4], v85 offset:14336
	s_waitcnt lgkmcnt(6)
	v_wmma_f32_16x16x16_bf16 v[73:80], v[33:40], v[41:48], v[73:80]
	ds_load_b128 v[45:48], v85 offset:15376
	ds_load_b128 v[41:44], v85 offset:15360
	s_waitcnt lgkmcnt(6)
	v_wmma_f32_16x16x16_bf16 v[73:80], v[33:40], v[9:16], v[73:80]
	s_waitcnt lgkmcnt(4)
	s_delay_alu instid0(VALU_DEP_1) | instskip(SKIP_1) | instid1(VALU_DEP_1)
	v_wmma_f32_16x16x16_bf16 v[73:80], v[25:32], v[49:56], v[73:80]
	s_waitcnt lgkmcnt(2)
	v_wmma_f32_16x16x16_bf16 v[73:80], v[25:32], v[1:8], v[73:80]
	s_waitcnt lgkmcnt(0)
	s_delay_alu instid0(VALU_DEP_1) | instskip(NEXT) | instid1(VALU_DEP_1)
	v_wmma_f32_16x16x16_bf16 v[73:80], v[17:24], v[41:48], v[73:80]
	v_and_b32_e32 v1, 0x7f800000, v73
	s_delay_alu instid0(VALU_DEP_1) | instskip(SKIP_1) | instid1(SALU_CYCLE_1)
	v_cmp_ne_u32_e32 vcc_lo, 0x7f800000, v1
                                        ; implicit-def: $vgpr1
	s_and_saveexec_b32 s4, vcc_lo
	s_xor_b32 s4, exec_lo, s4
; %bb.81:
	v_bfe_u32 v1, v73, 16, 1
	s_delay_alu instid0(VALU_DEP_1)
	v_add3_u32 v1, v73, v1, 0x7fff
; %bb.82:
	s_and_not1_saveexec_b32 s4, s4
; %bb.83:
	v_and_b32_e32 v1, 0xffff, v73
	v_or_b32_e32 v2, 0x10000, v73
	s_delay_alu instid0(VALU_DEP_2) | instskip(NEXT) | instid1(VALU_DEP_2)
	v_cmp_eq_u32_e32 vcc_lo, 0, v1
	v_cndmask_b32_e32 v1, v2, v73, vcc_lo
; %bb.84:
	s_or_b32 exec_lo, exec_lo, s4
	v_and_b32_e32 v2, 0x7f800000, v74
	s_delay_alu instid0(VALU_DEP_1) | instskip(SKIP_1) | instid1(SALU_CYCLE_1)
	v_cmp_ne_u32_e32 vcc_lo, 0x7f800000, v2
                                        ; implicit-def: $vgpr2
	s_and_saveexec_b32 s4, vcc_lo
	s_xor_b32 s4, exec_lo, s4
; %bb.85:
	v_bfe_u32 v2, v74, 16, 1
	s_delay_alu instid0(VALU_DEP_1)
	v_add3_u32 v2, v74, v2, 0x7fff
; %bb.86:
	s_and_not1_saveexec_b32 s4, s4
; %bb.87:
	v_and_b32_e32 v2, 0xffff, v74
	v_or_b32_e32 v3, 0x10000, v74
	s_delay_alu instid0(VALU_DEP_2) | instskip(NEXT) | instid1(VALU_DEP_2)
	v_cmp_eq_u32_e32 vcc_lo, 0, v2
	v_cndmask_b32_e32 v2, v3, v74, vcc_lo
; %bb.88:
	s_or_b32 exec_lo, exec_lo, s4
	v_and_b32_e32 v3, 0x7f800000, v75
	s_delay_alu instid0(VALU_DEP_1) | instskip(SKIP_1) | instid1(SALU_CYCLE_1)
	v_cmp_ne_u32_e32 vcc_lo, 0x7f800000, v3
                                        ; implicit-def: $vgpr3
	s_and_saveexec_b32 s4, vcc_lo
	s_xor_b32 s4, exec_lo, s4
; %bb.89:
	v_bfe_u32 v3, v75, 16, 1
	s_delay_alu instid0(VALU_DEP_1)
	v_add3_u32 v3, v75, v3, 0x7fff
; %bb.90:
	s_and_not1_saveexec_b32 s4, s4
; %bb.91:
	v_and_b32_e32 v3, 0xffff, v75
	v_or_b32_e32 v4, 0x10000, v75
	s_delay_alu instid0(VALU_DEP_2) | instskip(NEXT) | instid1(VALU_DEP_2)
	v_cmp_eq_u32_e32 vcc_lo, 0, v3
	v_cndmask_b32_e32 v3, v4, v75, vcc_lo
; %bb.92:
	s_or_b32 exec_lo, exec_lo, s4
	v_and_b32_e32 v4, 0x7f800000, v76
	s_delay_alu instid0(VALU_DEP_1) | instskip(SKIP_1) | instid1(SALU_CYCLE_1)
	v_cmp_ne_u32_e32 vcc_lo, 0x7f800000, v4
                                        ; implicit-def: $vgpr4
	s_and_saveexec_b32 s4, vcc_lo
	s_xor_b32 s4, exec_lo, s4
; %bb.93:
	v_bfe_u32 v4, v76, 16, 1
	s_delay_alu instid0(VALU_DEP_1)
	v_add3_u32 v4, v76, v4, 0x7fff
; %bb.94:
	s_and_not1_saveexec_b32 s4, s4
; %bb.95:
	v_and_b32_e32 v4, 0xffff, v76
	v_or_b32_e32 v5, 0x10000, v76
	s_delay_alu instid0(VALU_DEP_2) | instskip(NEXT) | instid1(VALU_DEP_2)
	v_cmp_eq_u32_e32 vcc_lo, 0, v4
	v_cndmask_b32_e32 v4, v5, v76, vcc_lo
; %bb.96:
	s_or_b32 exec_lo, exec_lo, s4
	v_and_b32_e32 v5, 0x7f800000, v77
	s_delay_alu instid0(VALU_DEP_1) | instskip(SKIP_1) | instid1(SALU_CYCLE_1)
	v_cmp_ne_u32_e32 vcc_lo, 0x7f800000, v5
                                        ; implicit-def: $vgpr5
	s_and_saveexec_b32 s4, vcc_lo
	s_xor_b32 s4, exec_lo, s4
; %bb.97:
	v_bfe_u32 v5, v77, 16, 1
	s_delay_alu instid0(VALU_DEP_1)
	v_add3_u32 v5, v77, v5, 0x7fff
; %bb.98:
	s_and_not1_saveexec_b32 s4, s4
; %bb.99:
	v_and_b32_e32 v5, 0xffff, v77
	v_or_b32_e32 v6, 0x10000, v77
	s_delay_alu instid0(VALU_DEP_2) | instskip(NEXT) | instid1(VALU_DEP_2)
	v_cmp_eq_u32_e32 vcc_lo, 0, v5
	v_cndmask_b32_e32 v5, v6, v77, vcc_lo
; %bb.100:
	s_or_b32 exec_lo, exec_lo, s4
	v_and_b32_e32 v6, 0x7f800000, v78
	s_delay_alu instid0(VALU_DEP_1) | instskip(SKIP_1) | instid1(SALU_CYCLE_1)
	v_cmp_ne_u32_e32 vcc_lo, 0x7f800000, v6
                                        ; implicit-def: $vgpr6
	s_and_saveexec_b32 s4, vcc_lo
	s_xor_b32 s4, exec_lo, s4
; %bb.101:
	v_bfe_u32 v6, v78, 16, 1
	s_delay_alu instid0(VALU_DEP_1)
	v_add3_u32 v6, v78, v6, 0x7fff
; %bb.102:
	s_and_not1_saveexec_b32 s4, s4
; %bb.103:
	v_and_b32_e32 v6, 0xffff, v78
	v_or_b32_e32 v7, 0x10000, v78
	s_delay_alu instid0(VALU_DEP_2) | instskip(NEXT) | instid1(VALU_DEP_2)
	v_cmp_eq_u32_e32 vcc_lo, 0, v6
	v_cndmask_b32_e32 v6, v7, v78, vcc_lo
; %bb.104:
	s_or_b32 exec_lo, exec_lo, s4
	v_and_b32_e32 v7, 0x7f800000, v79
	s_delay_alu instid0(VALU_DEP_1) | instskip(SKIP_1) | instid1(SALU_CYCLE_1)
	v_cmp_ne_u32_e32 vcc_lo, 0x7f800000, v7
                                        ; implicit-def: $vgpr7
	s_and_saveexec_b32 s4, vcc_lo
	s_xor_b32 s4, exec_lo, s4
; %bb.105:
	v_bfe_u32 v7, v79, 16, 1
	s_delay_alu instid0(VALU_DEP_1)
	v_add3_u32 v7, v79, v7, 0x7fff
; %bb.106:
	s_and_not1_saveexec_b32 s4, s4
; %bb.107:
	v_and_b32_e32 v7, 0xffff, v79
	v_or_b32_e32 v8, 0x10000, v79
	s_delay_alu instid0(VALU_DEP_2) | instskip(NEXT) | instid1(VALU_DEP_2)
	v_cmp_eq_u32_e32 vcc_lo, 0, v7
	v_cndmask_b32_e32 v7, v8, v79, vcc_lo
; %bb.108:
	s_or_b32 exec_lo, exec_lo, s4
	v_and_b32_e32 v8, 0x7f800000, v80
	s_delay_alu instid0(VALU_DEP_1) | instskip(SKIP_1) | instid1(SALU_CYCLE_1)
	v_cmp_ne_u32_e32 vcc_lo, 0x7f800000, v8
                                        ; implicit-def: $vgpr8
	s_and_saveexec_b32 s4, vcc_lo
	s_xor_b32 s4, exec_lo, s4
; %bb.109:
	v_bfe_u32 v8, v80, 16, 1
	s_delay_alu instid0(VALU_DEP_1)
	v_add3_u32 v8, v80, v8, 0x7fff
                                        ; implicit-def: $vgpr73_vgpr74_vgpr75_vgpr76_vgpr77_vgpr78_vgpr79_vgpr80
; %bb.110:
	s_and_not1_saveexec_b32 s4, s4
; %bb.111:
	v_and_b32_e32 v8, 0xffff, v80
	v_or_b32_e32 v9, 0x10000, v80
	s_delay_alu instid0(VALU_DEP_2) | instskip(NEXT) | instid1(VALU_DEP_2)
	v_cmp_eq_u32_e32 vcc_lo, 0, v8
	v_cndmask_b32_e32 v8, v9, v80, vcc_lo
; %bb.112:
	s_or_b32 exec_lo, exec_lo, s4
	s_delay_alu instid0(VALU_DEP_1)
	v_perm_b32 v7, v8, v7, 0x7060302
	v_perm_b32 v6, v6, v5, 0x7060302
	;; [unrolled: 1-line block ×4, first 2 shown]
	v_lshl_or_b32 v9, v83, 4, v90
	s_barrier
	buffer_gl0_inv
	v_cmp_eq_u32_e32 vcc_lo, 1, v87
	ds_store_b128 v9, v[4:7]
	s_waitcnt lgkmcnt(0)
	s_barrier
	buffer_gl0_inv
	ds_load_b128 v[1:4], v90
	ds_load_b128 v[5:8], v90 offset:16
	v_cmp_eq_u32_e64 s5, 2, v87
	v_cmp_eq_u32_e64 s4, 1, v88
	;; [unrolled: 1-line block ×5, first 2 shown]
	s_waitcnt lgkmcnt(1)
	v_lshrrev_b32_e32 v10, 16, v1
	s_waitcnt lgkmcnt(0)
	v_lshrrev_b32_e32 v14, 16, v5
	v_lshrrev_b32_e32 v15, 16, v6
	;; [unrolled: 1-line block ×4, first 2 shown]
	v_cndmask_b32_e64 v20, v1, v10, s4
	v_cndmask_b32_e32 v19, v5, v14, vcc_lo
	v_cndmask_b32_e64 v21, v5, v14, s4
	v_lshrrev_b32_e32 v16, 16, v7
	v_cmp_eq_u32_e64 s4, 1, v86
	v_lshrrev_b32_e32 v13, 16, v4
	v_cndmask_b32_e64 v19, v19, v6, s5
	v_lshrrev_b32_e32 v17, 16, v8
	s_delay_alu instid0(VALU_DEP_4) | instskip(SKIP_1) | instid1(VALU_DEP_4)
	v_cndmask_b32_e64 v22, v1, v10, s4
	v_cndmask_b32_e64 v23, v5, v14, s4
	;; [unrolled: 1-line block ×3, first 2 shown]
	v_cndmask_b32_e32 v18, v1, v10, vcc_lo
	v_cmp_eq_u32_e32 vcc_lo, 2, v88
	v_cmp_eq_u32_e64 s4, 2, v89
	v_cndmask_b32_e64 v22, v22, v2, s8
	v_cndmask_b32_e32 v20, v20, v2, vcc_lo
	v_cndmask_b32_e32 v21, v21, v6, vcc_lo
	v_cmp_eq_u32_e32 vcc_lo, 4, v87
	v_cndmask_b32_e32 v19, v19, v7, vcc_lo
	v_cndmask_b32_e64 v18, v18, v2, s5
	v_cmp_eq_u32_e64 s5, 3, v88
	s_delay_alu instid0(VALU_DEP_2) | instskip(NEXT) | instid1(VALU_DEP_2)
	v_cndmask_b32_e64 v18, v18, v11, s6
	v_cndmask_b32_e64 v21, v21, v15, s5
	v_cmp_eq_u32_e64 s6, 5, v87
	s_delay_alu instid0(VALU_DEP_3) | instskip(SKIP_1) | instid1(VALU_DEP_3)
	v_cndmask_b32_e32 v18, v18, v3, vcc_lo
	v_cmp_eq_u32_e32 vcc_lo, 4, v88
	v_cndmask_b32_e64 v19, v19, v16, s6
	s_delay_alu instid0(VALU_DEP_3) | instskip(SKIP_4) | instid1(VALU_DEP_3)
	v_cndmask_b32_e64 v18, v18, v12, s6
	v_cndmask_b32_e32 v21, v21, v7, vcc_lo
	v_cndmask_b32_e64 v20, v20, v11, s5
	v_cmp_eq_u32_e64 s5, 5, v88
	v_cmp_eq_u32_e64 s6, 6, v87
	v_cndmask_b32_e32 v20, v20, v3, vcc_lo
	s_delay_alu instid0(VALU_DEP_3) | instskip(SKIP_1) | instid1(VALU_DEP_4)
	v_cndmask_b32_e64 v21, v21, v16, s5
	v_cmp_eq_u32_e32 vcc_lo, 6, v88
	v_cndmask_b32_e64 v18, v18, v4, s6
	v_cndmask_b32_e64 v19, v19, v8, s6
	;; [unrolled: 1-line block ×3, first 2 shown]
	v_cmp_eq_u32_e64 s5, 1, v89
	v_cmp_eq_u32_e64 s6, 7, v87
	s_delay_alu instid0(VALU_DEP_3) | instskip(NEXT) | instid1(VALU_DEP_3)
	v_cndmask_b32_e32 v20, v20, v4, vcc_lo
	v_cndmask_b32_e64 v1, v1, v10, s5
	v_cndmask_b32_e64 v5, v5, v14, s5
	v_cmp_eq_u32_e64 s5, 3, v86
	v_cndmask_b32_e64 v14, v23, v6, s8
	v_cmp_eq_u32_e64 s8, 3, v89
	v_cndmask_b32_e64 v1, v1, v2, s4
	v_cndmask_b32_e64 v2, v5, v6, s4
	;; [unrolled: 1-line block ×3, first 2 shown]
	v_cmp_eq_u32_e64 s4, 4, v86
	v_cndmask_b32_e64 v6, v14, v15, s5
	v_cndmask_b32_e64 v1, v1, v11, s8
	v_cmp_eq_u32_e64 s5, 4, v89
	v_cndmask_b32_e64 v2, v2, v15, s8
	v_cndmask_b32_e64 v5, v10, v3, s4
	;; [unrolled: 3-line block ×3, first 2 shown]
	v_cndmask_b32_e64 v2, v2, v7, s5
	v_cmp_eq_u32_e64 s4, 5, v89
	v_cndmask_b32_e64 v5, v5, v12, s8
	v_cmp_eq_u32_e64 s5, 6, v86
	;; [unrolled: 2-line block ×3, first 2 shown]
	v_cndmask_b32_e64 v1, v1, v12, s4
	v_cndmask_b32_e64 v2, v2, v16, s4
	v_cndmask_b32_e64 v5, v5, v4, s5
	v_cndmask_b32_e64 v3, v3, v8, s5
	v_cmp_eq_u32_e64 s4, 7, v89
	v_cndmask_b32_e64 v1, v1, v4, s8
	v_cndmask_b32_e64 v2, v2, v8, s8
	v_cmp_eq_u32_e64 s5, 7, v86
	v_cndmask_b32_e32 v4, v21, v8, vcc_lo
	v_cndmask_b32_e64 v18, v18, v13, s6
	v_cndmask_b32_e64 v20, v20, v13, s7
	;; [unrolled: 1-line block ×8, first 2 shown]
	v_cmp_gt_u32_e32 vcc_lo, 32, v0
	v_perm_b32 v4, v2, v1, 0x5040100
	v_perm_b32 v3, v3, v5, 0x5040100
	;; [unrolled: 1-line block ×4, first 2 shown]
	s_and_b32 s2, vcc_lo, s2
	ds_store_b128 v9, v[1:4]
	s_waitcnt lgkmcnt(0)
	s_barrier
	buffer_gl0_inv
	s_and_saveexec_b32 s4, s2
	s_cbranch_execz .LBB532_2
; %bb.113:
	s_load_b64 s[4:5], s[0:1], 0x68
	v_add_nc_u32_e32 v20, s31, v83
	v_lshlrev_b32_e32 v0, 10, v0
	v_lshlrev_b32_e32 v1, 4, v84
	s_lshl_b32 s0, s36, 6
	s_delay_alu instid0(SALU_CYCLE_1)
	s_mul_i32 s1, s0, s34
	v_add_nc_u32_e32 v2, 2, v20
	s_mul_i32 s6, s1, s9
	v_and_or_b32 v0, 0x3800, v0, v1
	v_mul_lo_u32 v1, v20, s0
	s_ashr_i32 s7, s6, 31
	v_mul_lo_u32 v11, v2, s0
	s_lshl_b64 s[6:7], s[6:7], 1
	v_add_nc_u32_e32 v3, 4, v20
	v_lshl_or_b32 v21, v83, 6, v0
	v_add_nc_u32_e32 v16, 6, v20
	v_ashrrev_i32_e32 v2, 31, v1
	s_delay_alu instid0(VALU_DEP_4)
	v_mul_lo_u32 v13, v3, s0
	s_waitcnt lgkmcnt(0)
	s_add_u32 s1, s4, s6
	s_addc_u32 s2, s5, s7
	s_lshl_b32 s4, s14, 6
	ds_load_b128 v[3:6], v21
	ds_load_b128 v[7:10], v21 offset:128
	s_ashr_i32 s5, s4, 31
	v_ashrrev_i32_e32 v12, 31, v11
	s_lshl_b64 s[4:5], s[4:5], 1
	v_lshlrev_b64 v[14:15], 1, v[1:2]
	s_add_u32 s1, s1, s4
	s_addc_u32 s2, s2, s5
	v_add_co_u32 v1, vcc_lo, s1, v81
	v_add_co_ci_u32_e32 v2, vcc_lo, s2, v82, vcc_lo
	v_lshlrev_b64 v[11:12], 1, v[11:12]
	s_delay_alu instid0(VALU_DEP_3) | instskip(SKIP_1) | instid1(VALU_DEP_4)
	v_add_co_u32 v18, vcc_lo, v1, v14
	v_mul_lo_u32 v16, v16, s0
	v_add_co_ci_u32_e32 v19, vcc_lo, v2, v15, vcc_lo
	s_delay_alu instid0(VALU_DEP_4)
	v_add_co_u32 v11, vcc_lo, v1, v11
	v_ashrrev_i32_e32 v14, 31, v13
	v_add_co_ci_u32_e32 v12, vcc_lo, v2, v12, vcc_lo
	v_add_nc_u32_e32 v15, 8, v20
	v_ashrrev_i32_e32 v17, 31, v16
	s_waitcnt lgkmcnt(1)
	global_store_b128 v[18:19], v[3:6], off
	v_lshlrev_b64 v[3:4], 1, v[13:14]
	s_waitcnt lgkmcnt(0)
	global_store_b128 v[11:12], v[7:10], off
	v_mul_lo_u32 v11, v15, s0
	v_add_nc_u32_e32 v7, 10, v20
	v_lshlrev_b64 v[5:6], 1, v[16:17]
	v_add_co_u32 v23, vcc_lo, v1, v3
	v_add_nc_u32_e32 v3, 12, v20
	s_delay_alu instid0(VALU_DEP_4)
	v_mul_lo_u32 v25, v7, s0
	v_ashrrev_i32_e32 v12, 31, v11
	v_add_co_ci_u32_e32 v24, vcc_lo, v2, v4, vcc_lo
	v_add_co_u32 v27, vcc_lo, v1, v5
	v_mul_lo_u32 v29, v3, s0
	v_add_co_ci_u32_e32 v28, vcc_lo, v2, v6, vcc_lo
	ds_load_b128 v[3:6], v21 offset:256
	ds_load_b128 v[7:10], v21 offset:384
	v_lshlrev_b64 v[31:32], 1, v[11:12]
	ds_load_b128 v[11:14], v21 offset:512
	ds_load_b128 v[15:18], v21 offset:640
	;; [unrolled: 1-line block ×3, first 2 shown]
	v_ashrrev_i32_e32 v26, 31, v25
	v_ashrrev_i32_e32 v30, 31, v29
	v_add_co_u32 v31, vcc_lo, v1, v31
	s_delay_alu instid0(VALU_DEP_3) | instskip(NEXT) | instid1(VALU_DEP_3)
	v_lshlrev_b64 v[25:26], 1, v[25:26]
	v_lshlrev_b64 v[29:30], 1, v[29:30]
	v_add_co_ci_u32_e32 v32, vcc_lo, v2, v32, vcc_lo
	s_delay_alu instid0(VALU_DEP_3) | instskip(NEXT) | instid1(VALU_DEP_4)
	v_add_co_u32 v25, vcc_lo, v1, v25
	v_add_co_ci_u32_e32 v26, vcc_lo, v2, v26, vcc_lo
	s_delay_alu instid0(VALU_DEP_4)
	v_add_co_u32 v29, vcc_lo, v1, v29
	v_add_co_ci_u32_e32 v30, vcc_lo, v2, v30, vcc_lo
	s_waitcnt lgkmcnt(4)
	global_store_b128 v[23:24], v[3:6], off
	s_waitcnt lgkmcnt(3)
	global_store_b128 v[27:28], v[7:10], off
	;; [unrolled: 2-line block ×5, first 2 shown]
	s_and_b32 exec_lo, exec_lo, s3
	s_cbranch_execz .LBB532_2
; %bb.114:
	ds_load_b128 v[3:6], v0 offset:896
	s_add_i32 s1, s31, 14
	s_delay_alu instid0(SALU_CYCLE_1) | instskip(NEXT) | instid1(SALU_CYCLE_1)
	s_mul_i32 s0, s1, s0
	s_ashr_i32 s1, s0, 31
	s_delay_alu instid0(SALU_CYCLE_1) | instskip(NEXT) | instid1(SALU_CYCLE_1)
	s_lshl_b64 s[0:1], s[0:1], 1
	v_add_co_u32 v0, vcc_lo, v1, s0
	v_add_co_ci_u32_e32 v1, vcc_lo, s1, v2, vcc_lo
	s_waitcnt lgkmcnt(0)
	global_store_b128 v[0:1], v[3:6], off
	s_nop 0
	s_sendmsg sendmsg(MSG_DEALLOC_VGPRS)
	s_endpgm
	.section	.rodata,"a",@progbits
	.p2align	6, 0x0
	.amdhsa_kernel _Z39paged_attention_ll4mi_QKV_mfma16_kernelI14__hip_bfloat16S0_LN4vllm18Fp8KVCacheDataTypeE0EhLi32ELi64ELi256ELb0ELi15EL8MFMAType0EEvPKT_PKT0_S9_ifPKiSB_SB_iPKfiiiPfSE_PS4_PT2_iSD_SD_
		.amdhsa_group_segment_fixed_size 17472
		.amdhsa_private_segment_fixed_size 0
		.amdhsa_kernarg_size 400
		.amdhsa_user_sgpr_count 13
		.amdhsa_user_sgpr_dispatch_ptr 0
		.amdhsa_user_sgpr_queue_ptr 0
		.amdhsa_user_sgpr_kernarg_segment_ptr 1
		.amdhsa_user_sgpr_dispatch_id 0
		.amdhsa_user_sgpr_private_segment_size 0
		.amdhsa_wavefront_size32 1
		.amdhsa_uses_dynamic_stack 0
		.amdhsa_enable_private_segment 0
		.amdhsa_system_sgpr_workgroup_id_x 1
		.amdhsa_system_sgpr_workgroup_id_y 1
		.amdhsa_system_sgpr_workgroup_id_z 1
		.amdhsa_system_sgpr_workgroup_info 0
		.amdhsa_system_vgpr_workitem_id 0
		.amdhsa_next_free_vgpr 142
		.amdhsa_next_free_sgpr 39
		.amdhsa_reserve_vcc 1
		.amdhsa_float_round_mode_32 0
		.amdhsa_float_round_mode_16_64 0
		.amdhsa_float_denorm_mode_32 3
		.amdhsa_float_denorm_mode_16_64 3
		.amdhsa_dx10_clamp 1
		.amdhsa_ieee_mode 1
		.amdhsa_fp16_overflow 0
		.amdhsa_workgroup_processor_mode 1
		.amdhsa_memory_ordered 1
		.amdhsa_forward_progress 0
		.amdhsa_shared_vgpr_count 0
		.amdhsa_exception_fp_ieee_invalid_op 0
		.amdhsa_exception_fp_denorm_src 0
		.amdhsa_exception_fp_ieee_div_zero 0
		.amdhsa_exception_fp_ieee_overflow 0
		.amdhsa_exception_fp_ieee_underflow 0
		.amdhsa_exception_fp_ieee_inexact 0
		.amdhsa_exception_int_div_zero 0
	.end_amdhsa_kernel
	.section	.text._Z39paged_attention_ll4mi_QKV_mfma16_kernelI14__hip_bfloat16S0_LN4vllm18Fp8KVCacheDataTypeE0EhLi32ELi64ELi256ELb0ELi15EL8MFMAType0EEvPKT_PKT0_S9_ifPKiSB_SB_iPKfiiiPfSE_PS4_PT2_iSD_SD_,"axG",@progbits,_Z39paged_attention_ll4mi_QKV_mfma16_kernelI14__hip_bfloat16S0_LN4vllm18Fp8KVCacheDataTypeE0EhLi32ELi64ELi256ELb0ELi15EL8MFMAType0EEvPKT_PKT0_S9_ifPKiSB_SB_iPKfiiiPfSE_PS4_PT2_iSD_SD_,comdat
.Lfunc_end532:
	.size	_Z39paged_attention_ll4mi_QKV_mfma16_kernelI14__hip_bfloat16S0_LN4vllm18Fp8KVCacheDataTypeE0EhLi32ELi64ELi256ELb0ELi15EL8MFMAType0EEvPKT_PKT0_S9_ifPKiSB_SB_iPKfiiiPfSE_PS4_PT2_iSD_SD_, .Lfunc_end532-_Z39paged_attention_ll4mi_QKV_mfma16_kernelI14__hip_bfloat16S0_LN4vllm18Fp8KVCacheDataTypeE0EhLi32ELi64ELi256ELb0ELi15EL8MFMAType0EEvPKT_PKT0_S9_ifPKiSB_SB_iPKfiiiPfSE_PS4_PT2_iSD_SD_
                                        ; -- End function
	.section	.AMDGPU.csdata,"",@progbits
; Kernel info:
; codeLenInByte = 9656
; NumSgprs: 41
; NumVgprs: 142
; ScratchSize: 0
; MemoryBound: 0
; FloatMode: 240
; IeeeMode: 1
; LDSByteSize: 17472 bytes/workgroup (compile time only)
; SGPRBlocks: 5
; VGPRBlocks: 17
; NumSGPRsForWavesPerEU: 41
; NumVGPRsForWavesPerEU: 142
; Occupancy: 10
; WaveLimiterHint : 1
; COMPUTE_PGM_RSRC2:SCRATCH_EN: 0
; COMPUTE_PGM_RSRC2:USER_SGPR: 13
; COMPUTE_PGM_RSRC2:TRAP_HANDLER: 0
; COMPUTE_PGM_RSRC2:TGID_X_EN: 1
; COMPUTE_PGM_RSRC2:TGID_Y_EN: 1
; COMPUTE_PGM_RSRC2:TGID_Z_EN: 1
; COMPUTE_PGM_RSRC2:TIDIG_COMP_CNT: 0
	.section	.text._Z39paged_attention_ll4mi_QKV_mfma16_kernelI14__hip_bfloat16S0_LN4vllm18Fp8KVCacheDataTypeE0EhLi32ELi64ELi256ELb0ELi16EL8MFMAType0EEvPKT_PKT0_S9_ifPKiSB_SB_iPKfiiiPfSE_PS4_PT2_iSD_SD_,"axG",@progbits,_Z39paged_attention_ll4mi_QKV_mfma16_kernelI14__hip_bfloat16S0_LN4vllm18Fp8KVCacheDataTypeE0EhLi32ELi64ELi256ELb0ELi16EL8MFMAType0EEvPKT_PKT0_S9_ifPKiSB_SB_iPKfiiiPfSE_PS4_PT2_iSD_SD_,comdat
	.protected	_Z39paged_attention_ll4mi_QKV_mfma16_kernelI14__hip_bfloat16S0_LN4vllm18Fp8KVCacheDataTypeE0EhLi32ELi64ELi256ELb0ELi16EL8MFMAType0EEvPKT_PKT0_S9_ifPKiSB_SB_iPKfiiiPfSE_PS4_PT2_iSD_SD_ ; -- Begin function _Z39paged_attention_ll4mi_QKV_mfma16_kernelI14__hip_bfloat16S0_LN4vllm18Fp8KVCacheDataTypeE0EhLi32ELi64ELi256ELb0ELi16EL8MFMAType0EEvPKT_PKT0_S9_ifPKiSB_SB_iPKfiiiPfSE_PS4_PT2_iSD_SD_
	.globl	_Z39paged_attention_ll4mi_QKV_mfma16_kernelI14__hip_bfloat16S0_LN4vllm18Fp8KVCacheDataTypeE0EhLi32ELi64ELi256ELb0ELi16EL8MFMAType0EEvPKT_PKT0_S9_ifPKiSB_SB_iPKfiiiPfSE_PS4_PT2_iSD_SD_
	.p2align	8
	.type	_Z39paged_attention_ll4mi_QKV_mfma16_kernelI14__hip_bfloat16S0_LN4vllm18Fp8KVCacheDataTypeE0EhLi32ELi64ELi256ELb0ELi16EL8MFMAType0EEvPKT_PKT0_S9_ifPKiSB_SB_iPKfiiiPfSE_PS4_PT2_iSD_SD_,@function
_Z39paged_attention_ll4mi_QKV_mfma16_kernelI14__hip_bfloat16S0_LN4vllm18Fp8KVCacheDataTypeE0EhLi32ELi64ELi256ELb0ELi16EL8MFMAType0EEvPKT_PKT0_S9_ifPKiSB_SB_iPKfiiiPfSE_PS4_PT2_iSD_SD_: ; @_Z39paged_attention_ll4mi_QKV_mfma16_kernelI14__hip_bfloat16S0_LN4vllm18Fp8KVCacheDataTypeE0EhLi32ELi64ELi256ELb0ELi16EL8MFMAType0EEvPKT_PKT0_S9_ifPKiSB_SB_iPKfiiiPfSE_PS4_PT2_iSD_SD_
; %bb.0:
	s_load_b64 s[2:3], s[0:1], 0x30
	s_mov_b32 s30, s13
	s_waitcnt lgkmcnt(0)
	s_cmp_lg_u64 s[2:3], 0
	s_cselect_b32 s6, -1, 0
	s_ashr_i32 s31, s13, 31
	s_cmp_eq_u64 s[2:3], 0
	s_cbranch_scc1 .LBB533_3
; %bb.1:
	s_lshl_b64 s[4:5], s[30:31], 2
	s_delay_alu instid0(SALU_CYCLE_1) | instskip(SKIP_4) | instid1(SALU_CYCLE_1)
	s_add_u32 s4, s2, s4
	s_addc_u32 s5, s3, s5
	s_load_b64 s[4:5], s[4:5], 0x0
	s_waitcnt lgkmcnt(0)
	s_sub_i32 s4, s5, s4
	s_cmp_eq_u32 s4, 1
	s_cselect_b32 s4, -1, 0
	s_delay_alu instid0(SALU_CYCLE_1)
	s_and_not1_b32 vcc_lo, exec_lo, s4
	s_cbranch_vccz .LBB533_4
.LBB533_2:
	s_endpgm
.LBB533_3:
.LBB533_4:
	s_load_b64 s[8:9], s[0:1], 0x28
	s_lshl_b64 s[4:5], s[30:31], 2
	s_waitcnt lgkmcnt(0)
	s_add_u32 s8, s8, s4
	s_addc_u32 s9, s9, s5
	s_lshl_b32 s16, s14, 8
	s_load_b32 s18, s[8:9], 0x0
	s_waitcnt lgkmcnt(0)
	s_cmp_ge_i32 s16, s18
	s_cbranch_scc1 .LBB533_2
; %bb.5:
	s_and_not1_b32 vcc_lo, exec_lo, s6
	s_cbranch_vccnz .LBB533_7
; %bb.6:
	s_add_u32 s2, s2, s4
	s_addc_u32 s3, s3, s5
	s_load_b32 s17, s[2:3], 0x0
	s_branch .LBB533_8
.LBB533_7:
	s_mov_b32 s17, s30
.LBB533_8:
	s_clause 0x2
	s_load_b128 s[8:11], s[0:1], 0x8
	s_load_b64 s[12:13], s[0:1], 0x20
	s_load_b128 s[4:7], s[0:1], 0x48
	v_and_b32_e32 v74, 15, v0
	v_cmp_lt_u32_e32 vcc_lo, 0xff, v0
	s_delay_alu instid0(VALU_DEP_2) | instskip(SKIP_2) | instid1(VALU_DEP_3)
	v_cmp_lt_u32_e64 s3, 7, v74
	v_lshlrev_b32_e32 v1, 3, v74
	v_cmp_gt_u32_e64 s2, 8, v74
	s_or_b32 s3, vcc_lo, s3
	s_waitcnt lgkmcnt(0)
	s_and_saveexec_b32 s7, s3
	s_delay_alu instid0(SALU_CYCLE_1)
	s_xor_b32 s3, exec_lo, s7
; %bb.9:
	v_mov_b32_e32 v2, 0
; %bb.10:
	s_or_saveexec_b32 s3, s3
	v_lshrrev_b32_e32 v73, 5, v0
	v_and_b32_e32 v75, 31, v0
	v_and_b32_e32 v84, 1, v0
	v_bfe_u32 v83, v0, 4, 1
	s_lshl_b32 s31, s15, 4
	s_xor_b32 exec_lo, exec_lo, s3
	s_cbranch_execz .LBB533_12
; %bb.11:
	s_delay_alu instid0(VALU_DEP_1)
	v_lshl_or_b32 v7, v73, 1, v83
	s_load_b64 s[20:21], s[0:1], 0x0
	s_mul_hi_i32 s23, s17, s4
	s_mul_i32 s22, s17, s4
	v_lshlrev_b32_e32 v4, 1, v1
	v_or_b32_e32 v2, s31, v7
	s_lshl_b64 s[22:23], s[22:23], 1
	v_lshlrev_b32_e32 v7, 6, v7
	v_lshlrev_b32_e32 v8, 10, v84
	s_delay_alu instid0(VALU_DEP_3) | instskip(NEXT) | instid1(VALU_DEP_1)
	v_lshlrev_b32_e32 v2, 6, v2
	v_ashrrev_i32_e32 v3, 31, v2
	s_delay_alu instid0(VALU_DEP_1) | instskip(SKIP_3) | instid1(VALU_DEP_1)
	v_lshlrev_b64 v[2:3], 1, v[2:3]
	s_waitcnt lgkmcnt(0)
	s_add_u32 s4, s20, s22
	s_addc_u32 s7, s21, s23
	v_add_co_u32 v2, vcc_lo, s4, v2
	s_delay_alu instid0(VALU_DEP_2) | instskip(NEXT) | instid1(VALU_DEP_2)
	v_add_co_ci_u32_e32 v3, vcc_lo, s7, v3, vcc_lo
	v_add_co_u32 v2, vcc_lo, v2, v4
	s_delay_alu instid0(VALU_DEP_2) | instskip(SKIP_2) | instid1(VALU_DEP_1)
	v_add_co_ci_u32_e32 v3, vcc_lo, 0, v3, vcc_lo
	global_load_b128 v[3:6], v[2:3], off
	v_lshlrev_b32_e32 v2, 10, v74
	v_and_b32_e32 v2, 0x3800, v2
	s_delay_alu instid0(VALU_DEP_1)
	v_or3_b32 v7, v2, v8, v7
	v_mov_b32_e32 v2, 0
	s_waitcnt vmcnt(0)
	ds_store_b128 v7, v[3:6]
.LBB533_12:
	s_or_b32 exec_lo, exec_lo, s3
	v_and_b32_e32 v3, 0xef, v0
	s_add_i32 s3, s18, 31
	s_clause 0x1
	s_load_b32 s4, s[0:1], 0x38
	s_load_b32 s19, s[0:1], 0x1c
	s_ashr_i32 s7, s3, 31
	v_add_nc_u32_e32 v3, s16, v3
	s_lshr_b32 s7, s7, 27
	s_waitcnt lgkmcnt(0)
	s_add_i32 s3, s3, s7
	s_barrier
	v_ashrrev_i32_e32 v4, 31, v3
	v_cmp_gt_i32_e32 vcc_lo, s18, v3
	s_ashr_i32 s3, s3, 5
	buffer_gl0_inv
	s_add_i32 s3, s3, -1
	v_lshrrev_b32_e32 v5, 27, v4
	v_or_b32_e32 v4, 16, v3
	s_mul_i32 s6, s15, s6
	v_lshlrev_b64 v[81:82], 1, v[1:2]
	s_delay_alu instid0(VALU_DEP_3) | instskip(NEXT) | instid1(VALU_DEP_3)
	v_add_nc_u32_e32 v6, v3, v5
	v_add_nc_u32_e32 v5, v4, v5
	s_mul_i32 s20, s30, s4
	s_delay_alu instid0(SALU_CYCLE_1) | instskip(NEXT) | instid1(VALU_DEP_2)
	s_ashr_i32 s21, s20, 31
	v_ashrrev_i32_e32 v6, 5, v6
	s_delay_alu instid0(VALU_DEP_2) | instskip(SKIP_1) | instid1(SALU_CYCLE_1)
	v_ashrrev_i32_e32 v5, 5, v5
	s_lshl_b64 s[20:21], s[20:21], 2
	s_add_u32 s4, s12, s20
	s_delay_alu instid0(VALU_DEP_2) | instskip(SKIP_3) | instid1(SALU_CYCLE_1)
	v_cndmask_b32_e32 v3, s3, v6, vcc_lo
	v_cmp_gt_i32_e32 vcc_lo, s18, v4
	s_addc_u32 s17, s13, s21
	s_ashr_i32 s7, s6, 31
	s_lshl_b64 s[6:7], s[6:7], 1
	v_cndmask_b32_e32 v5, s3, v5, vcc_lo
	v_ashrrev_i32_e32 v4, 31, v3
	s_add_u32 s15, s8, s6
	s_addc_u32 s28, s9, s7
	s_lshl_b32 s8, s14, 3
	v_ashrrev_i32_e32 v6, 31, v5
	v_lshlrev_b64 v[3:4], 2, v[3:4]
	s_ashr_i32 s9, s8, 31
	s_delay_alu instid0(SALU_CYCLE_1) | instskip(NEXT) | instid1(VALU_DEP_2)
	s_lshl_b64 s[8:9], s[8:9], 2
	v_lshlrev_b64 v[5:6], 2, v[5:6]
	s_add_u32 s8, s4, s8
	s_delay_alu instid0(VALU_DEP_2) | instskip(SKIP_1) | instid1(VALU_DEP_3)
	v_add_co_u32 v3, vcc_lo, s4, v3
	v_add_co_ci_u32_e32 v4, vcc_lo, s17, v4, vcc_lo
	v_add_co_u32 v5, vcc_lo, s4, v5
	s_delay_alu instid0(VALU_DEP_4)
	v_add_co_ci_u32_e32 v6, vcc_lo, s17, v6, vcc_lo
	s_addc_u32 s9, s17, s9
	s_clause 0x1
	global_load_b32 v7, v[3:4], off
	global_load_b32 v8, v[5:6], off
	s_or_b32 s12, s16, 32
	s_delay_alu instid0(SALU_CYCLE_1) | instskip(SKIP_2) | instid1(SALU_CYCLE_1)
	s_ashr_i32 s13, s12, 5
	s_cmp_lt_i32 s12, s18
	s_cselect_b32 s12, s13, s3
	s_ashr_i32 s13, s12, 31
	s_delay_alu instid0(SALU_CYCLE_1) | instskip(NEXT) | instid1(SALU_CYCLE_1)
	s_lshl_b64 s[12:13], s[12:13], 2
	s_add_u32 s12, s4, s12
	s_addc_u32 s13, s17, s13
	s_or_b32 s20, s16, 64
	s_delay_alu instid0(SALU_CYCLE_1) | instskip(SKIP_2) | instid1(SALU_CYCLE_1)
	s_ashr_i32 s21, s20, 5
	s_cmp_lt_i32 s20, s18
	s_cselect_b32 s20, s21, s3
	s_ashr_i32 s21, s20, 31
	s_delay_alu instid0(SALU_CYCLE_1) | instskip(NEXT) | instid1(SALU_CYCLE_1)
	s_lshl_b64 s[20:21], s[20:21], 2
	s_add_u32 s20, s4, s20
	s_addc_u32 s21, s17, s21
	;; [unrolled: 10-line block ×5, first 2 shown]
	s_clause 0x5
	s_load_b32 s29, s[8:9], 0x0
	s_load_b32 s33, s[12:13], 0x0
	;; [unrolled: 1-line block ×6, first 2 shown]
	s_or_b32 s8, s16, 0xc0
	s_mov_b32 s20, 0
	s_ashr_i32 s9, s8, 5
	s_cmp_lt_i32 s8, s18
	s_mov_b32 s21, s20
	s_cselect_b32 s8, s9, s3
	s_mov_b32 s22, s20
	s_ashr_i32 s9, s8, 31
	s_mov_b32 s23, s20
	s_lshl_b64 s[8:9], s[8:9], 2
	s_mov_b32 s24, s20
	s_mov_b32 s25, s20
	;; [unrolled: 1-line block ×4, first 2 shown]
	v_lshlrev_b32_e32 v85, 6, v74
	s_add_u32 s8, s4, s8
	s_addc_u32 s9, s17, s9
	v_dual_mov_b32 v117, s27 :: v_dual_mov_b32 v110, s20
	v_dual_mov_b32 v116, s26 :: v_dual_mov_b32 v115, s25
	;; [unrolled: 1-line block ×4, first 2 shown]
	s_waitcnt lgkmcnt(0)
	s_mul_hi_i32 s13, s29, s5
	s_mul_i32 s12, s29, s5
	v_lshl_or_b32 v57, v73, 10, v85
	s_mul_hi_i32 s21, s33, s5
	s_mul_i32 s20, s33, s5
	s_mul_hi_i32 s25, s34, s5
	s_mul_i32 s24, s34, s5
	;; [unrolled: 2-line block ×4, first 2 shown]
	s_waitcnt vmcnt(1)
	v_mad_i64_i32 v[3:4], null, v7, s5, 0
	s_waitcnt vmcnt(0)
	v_mad_i64_i32 v[5:6], null, v8, s5, 0
	s_delay_alu instid0(VALU_DEP_2) | instskip(NEXT) | instid1(VALU_DEP_2)
	v_lshlrev_b64 v[3:4], 1, v[3:4]
	v_lshlrev_b64 v[1:2], 1, v[5:6]
	s_delay_alu instid0(VALU_DEP_2) | instskip(NEXT) | instid1(VALU_DEP_3)
	v_add_co_u32 v3, vcc_lo, s15, v3
	v_add_co_ci_u32_e32 v4, vcc_lo, s28, v4, vcc_lo
	s_delay_alu instid0(VALU_DEP_3) | instskip(NEXT) | instid1(VALU_DEP_4)
	v_add_co_u32 v1, vcc_lo, s15, v1
	v_add_co_ci_u32_e32 v2, vcc_lo, s28, v2, vcc_lo
	s_delay_alu instid0(VALU_DEP_4) | instskip(NEXT) | instid1(VALU_DEP_4)
	v_add_co_u32 v41, vcc_lo, v3, v81
	v_add_co_ci_u32_e32 v42, vcc_lo, v4, v82, vcc_lo
	s_delay_alu instid0(VALU_DEP_4) | instskip(NEXT) | instid1(VALU_DEP_4)
	v_add_co_u32 v43, vcc_lo, v1, v81
	v_add_co_ci_u32_e32 v44, vcc_lo, v2, v82, vcc_lo
	s_clause 0xf
	global_load_b128 v[1:4], v[41:42], off
	global_load_b128 v[5:8], v[41:42], off offset:512
	global_load_b128 v[9:12], v[43:44], off offset:256
	;; [unrolled: 1-line block ×15, first 2 shown]
	s_or_b32 s15, s16, 0xe0
	ds_load_b128 v[41:44], v85
	ds_load_b128 v[45:48], v85 offset:1024
	ds_load_b128 v[49:52], v85 offset:2048
	;; [unrolled: 1-line block ×3, first 2 shown]
	s_ashr_i32 s22, s15, 5
	s_cmp_lt_i32 s15, s18
	ds_load_b128 v[118:121], v85 offset:4096
	ds_load_b128 v[122:125], v85 offset:5120
	s_cselect_b32 s22, s22, s3
	ds_load_b128 v[126:129], v85 offset:6144
	ds_load_b128 v[130:133], v85 offset:7168
	s_ashr_i32 s23, s22, 31
	s_delay_alu instid0(SALU_CYCLE_1) | instskip(NEXT) | instid1(SALU_CYCLE_1)
	s_lshl_b64 s[22:23], s[22:23], 2
	s_add_u32 s22, s4, s22
	s_addc_u32 s23, s17, s23
	s_add_i32 s15, s16, 0x100
	s_delay_alu instid0(SALU_CYCLE_1)
	s_ashr_i32 s28, s15, 5
	s_cmp_lt_i32 s15, s18
	s_load_b32 s15, s[8:9], 0x0
	s_cselect_b32 s28, s28, s3
	s_mul_hi_i32 s9, s36, s5
	s_ashr_i32 s29, s28, 31
	s_mul_i32 s8, s36, s5
	s_lshl_b64 s[28:29], s[28:29], 2
	s_delay_alu instid0(SALU_CYCLE_1)
	s_add_u32 s28, s4, s28
	s_addc_u32 s29, s17, s29
	s_add_u32 s3, s10, s6
	s_clause 0x1
	s_load_b32 s4, s[22:23], 0x0
	s_load_b32 s17, s[28:29], 0x0
	s_addc_u32 s28, s11, s7
	v_add_co_u32 v76, s3, s3, v57
	s_delay_alu instid0(VALU_DEP_1) | instskip(SKIP_2) | instid1(VALU_DEP_2)
	v_add_co_ci_u32_e64 v77, null, s28, 0, s3
	s_lshl_b64 s[6:7], s[12:13], 1
	s_lshl_b64 s[10:11], s[20:21], 1
	v_add_co_u32 v57, vcc_lo, v76, s6
	s_delay_alu instid0(VALU_DEP_2)
	v_add_co_ci_u32_e32 v58, vcc_lo, s7, v77, vcc_lo
	s_lshl_b64 s[12:13], s[24:25], 1
	s_lshl_b64 s[20:21], s[26:27], 1
	;; [unrolled: 1-line block ×4, first 2 shown]
	s_waitcnt lgkmcnt(0)
	s_mul_hi_i32 s25, s15, s5
	s_mul_i32 s24, s15, s5
	s_clause 0x1
	global_load_b128 v[65:68], v[57:58], off
	global_load_b128 v[69:72], v[57:58], off offset:16
	s_lshl_b64 s[6:7], s[24:25], 1
	s_waitcnt vmcnt(16)
	v_wmma_f32_16x16x16_bf16 v[134:141], v[1:8], v[41:48], v[110:117]
	v_add_co_u32 v1, vcc_lo, v76, s10
	v_add_co_ci_u32_e32 v2, vcc_lo, s11, v77, vcc_lo
	s_waitcnt vmcnt(12)
	s_delay_alu instid0(VALU_DEP_3) | instskip(SKIP_3) | instid1(VALU_DEP_3)
	v_wmma_f32_16x16x16_bf16 v[134:141], v[17:24], v[49:56], v[134:141]
	v_add_co_u32 v3, vcc_lo, v76, s12
	v_add_co_ci_u32_e32 v4, vcc_lo, s13, v77, vcc_lo
	s_waitcnt vmcnt(8)
	v_wmma_f32_16x16x16_bf16 v[134:141], v[33:40], v[118:125], v[134:141]
	v_add_co_u32 v5, vcc_lo, v76, s20
	v_add_co_ci_u32_e32 v6, vcc_lo, s21, v77, vcc_lo
	s_waitcnt vmcnt(4)
	s_delay_alu instid0(VALU_DEP_3) | instskip(SKIP_2) | instid1(VALU_DEP_3)
	v_wmma_f32_16x16x16_bf16 v[134:141], v[94:101], v[126:133], v[134:141]
	v_add_co_u32 v7, vcc_lo, v76, s8
	v_add_co_ci_u32_e32 v8, vcc_lo, s9, v77, vcc_lo
	v_mul_f32_e32 v100, s19, v141
	v_wmma_f32_16x16x16_bf16 v[110:117], v[9:16], v[41:48], v[110:117]
	s_clause 0x1
	global_load_b128 v[57:60], v[1:2], off
	global_load_b128 v[61:64], v[1:2], off offset:16
	s_mul_hi_i32 s9, s4, s5
	s_mul_i32 s8, s4, s5
	v_mul_f32_e32 v99, s19, v135
	v_wmma_f32_16x16x16_bf16 v[110:117], v[25:32], v[49:56], v[110:117]
	s_clause 0x5
	global_load_b128 v[49:52], v[3:4], off
	global_load_b128 v[53:56], v[3:4], off offset:16
	global_load_b128 v[41:44], v[5:6], off
	global_load_b128 v[45:48], v[5:6], off offset:16
	;; [unrolled: 2-line block ×3, first 2 shown]
	v_add_co_u32 v5, vcc_lo, v76, s22
	v_add_co_ci_u32_e32 v6, vcc_lo, s23, v77, vcc_lo
	v_add_co_u32 v17, vcc_lo, v76, s6
	v_add_co_ci_u32_e32 v18, vcc_lo, s7, v77, vcc_lo
	s_lshl_b64 s[6:7], s[8:9], 1
	s_mul_hi_i32 s9, s17, s5
	s_mul_i32 s8, s17, s5
	v_add_co_u32 v19, vcc_lo, v76, s6
	s_lshl_b64 s[4:5], s[8:9], 1
	v_add_co_ci_u32_e32 v20, vcc_lo, s7, v77, vcc_lo
	v_add_co_u32 v21, vcc_lo, v76, s4
	v_add_co_ci_u32_e32 v22, vcc_lo, s5, v77, vcc_lo
	s_clause 0x7
	global_load_b128 v[1:4], v[5:6], off
	global_load_b128 v[5:8], v[5:6], off offset:16
	global_load_b128 v[33:36], v[17:18], off
	global_load_b128 v[37:40], v[17:18], off offset:16
	;; [unrolled: 2-line block ×4, first 2 shown]
	v_and_b32_e32 v76, 0xe0, v0
	v_mbcnt_lo_u32_b32 v77, -1, 0
	v_wmma_f32_16x16x16_bf16 v[110:117], v[86:93], v[118:125], v[110:117]
	s_waitcnt vmcnt(0)
	s_barrier
	v_add_nc_u32_e32 v76, s16, v76
	v_xor_b32_e32 v78, 16, v77
	v_wmma_f32_16x16x16_bf16 v[110:117], v[102:109], v[126:133], v[110:117]
	v_mul_f32_e32 v97, s19, v134
	buffer_gl0_inv
	v_or_b32_e32 v76, v76, v83
	v_cmp_gt_i32_e32 vcc_lo, 32, v78
	s_delay_alu instid0(VALU_DEP_2)
	v_or_b32_e32 v79, 4, v76
	v_cndmask_b32_e32 v77, v77, v78, vcc_lo
	v_or_b32_e32 v78, 2, v76
	v_or_b32_e32 v80, 6, v76
	v_cmp_gt_i32_e32 vcc_lo, s18, v76
	v_or_b32_e32 v86, 8, v76
	v_or_b32_e32 v87, 10, v76
	v_cmp_gt_i32_e64 s3, s18, v78
	v_or_b32_e32 v88, 12, v76
	v_or_b32_e32 v89, 14, v76
	;; [unrolled: 1-line block ×10, first 2 shown]
	v_cndmask_b32_e32 v76, 0xff7fffff, v97, vcc_lo
	v_cndmask_b32_e64 v78, 0xff7fffff, v99, s3
	v_mul_f32_e32 v99, s19, v137
	v_cmp_gt_i32_e64 s4, s18, v80
	v_mul_f32_e32 v80, s19, v136
	v_cmp_gt_i32_e64 s5, s18, v79
	v_max3_f32 v76, v76, 0xff7fffff, v78
	v_dual_mul_f32 v78, s19, v138 :: v_dual_mul_f32 v79, s19, v139
	v_cmp_gt_i32_e64 s6, s18, v86
	s_delay_alu instid0(VALU_DEP_4)
	v_cndmask_b32_e64 v80, 0xff7fffff, v80, s5
	v_cmp_gt_i32_e64 s7, s18, v87
	v_mul_f32_e32 v86, s19, v116
	v_cndmask_b32_e64 v99, 0xff7fffff, v99, s4
	v_mul_f32_e32 v97, s19, v140
	v_cndmask_b32_e64 v78, 0xff7fffff, v78, s6
	v_cndmask_b32_e64 v79, 0xff7fffff, v79, s7
	v_cmp_gt_i32_e64 s8, s18, v89
	v_max3_f32 v76, v76, v80, v99
	v_cmp_gt_i32_e64 s9, s18, v88
	v_dual_mul_f32 v99, s19, v114 :: v_dual_mul_f32 v88, s19, v111
	v_mul_f32_e32 v89, s19, v110
	s_delay_alu instid0(VALU_DEP_4)
	v_max3_f32 v76, v76, v78, v79
	v_mul_f32_e32 v78, s19, v113
	v_cndmask_b32_e64 v97, 0xff7fffff, v97, s9
	v_cndmask_b32_e64 v100, 0xff7fffff, v100, s8
	v_cmp_gt_i32_e64 s10, s18, v90
	v_cmp_gt_i32_e64 s11, s18, v91
	v_mul_f32_e32 v79, s19, v112
	v_cmp_gt_i32_e64 s12, s18, v92
	v_max3_f32 v76, v76, v97, v100
	v_cndmask_b32_e64 v89, 0xff7fffff, v89, s10
	v_cndmask_b32_e64 v88, 0xff7fffff, v88, s11
	v_cmp_gt_i32_e64 s13, s18, v93
	v_mul_f32_e32 v87, s19, v115
	v_cndmask_b32_e64 v79, 0xff7fffff, v79, s12
	v_cmp_gt_i32_e64 s15, s18, v94
	v_max3_f32 v76, v76, v89, v88
	v_cndmask_b32_e64 v78, 0xff7fffff, v78, s13
	v_cmp_gt_i32_e64 s16, s18, v95
	v_mul_f32_e32 v80, s19, v117
	v_cndmask_b32_e64 v88, 0xff7fffff, v99, s15
	v_cmp_gt_i32_e64 s17, s18, v96
	v_max3_f32 v76, v76, v79, v78
	v_cndmask_b32_e64 v87, 0xff7fffff, v87, s16
	v_cmp_gt_i32_e64 s18, s18, v98
	v_lshlrev_b32_e32 v99, 2, v77
	v_cndmask_b32_e64 v78, 0xff7fffff, v86, s17
	s_delay_alu instid0(VALU_DEP_4) | instskip(NEXT) | instid1(VALU_DEP_4)
	v_max3_f32 v76, v76, v88, v87
	v_cndmask_b32_e64 v79, 0xff7fffff, v80, s18
	s_delay_alu instid0(VALU_DEP_1) | instskip(SKIP_3) | instid1(VALU_DEP_1)
	v_max3_f32 v76, v76, v78, v79
	ds_bpermute_b32 v77, v99, v76
	s_waitcnt lgkmcnt(0)
	v_max_f32_e32 v77, v77, v77
	v_max_f32_e32 v89, v76, v77
	s_delay_alu instid0(VALU_DEP_1) | instskip(NEXT) | instid1(VALU_DEP_1)
	v_fma_f32 v80, s19, v138, -v89
	v_mul_f32_e32 v80, 0x3fb8aa3b, v80
	s_delay_alu instid0(VALU_DEP_1) | instskip(SKIP_3) | instid1(VALU_DEP_1)
	v_exp_f32_e32 v80, v80
	s_waitcnt_depctr 0xfff
	v_cndmask_b32_e64 v95, 0, v80, s6
	v_fma_f32 v80, s19, v111, -v89
	v_mul_f32_e32 v80, 0x3fb8aa3b, v80
	v_fma_f32 v78, s19, v136, -v89
	v_fma_f32 v86, s19, v140, -v89
	;; [unrolled: 1-line block ×5, first 2 shown]
	v_mul_f32_e32 v78, 0x3fb8aa3b, v78
	v_mul_f32_e32 v86, 0x3fb8aa3b, v86
	;; [unrolled: 1-line block ×3, first 2 shown]
	v_fma_f32 v98, s19, v116, -v89
	v_fma_f32 v100, s19, v117, -v89
	v_exp_f32_e32 v78, v78
	v_exp_f32_e32 v86, v86
	;; [unrolled: 1-line block ×4, first 2 shown]
	v_mul_f32_e32 v100, 0x3fb8aa3b, v100
	v_fma_f32 v87, s19, v114, -v89
	s_delay_alu instid0(VALU_DEP_2)
	v_exp_f32_e32 v100, v100
	v_cndmask_b32_e64 v92, 0, v78, s5
	v_fma_f32 v78, s19, v141, -v89
	v_cndmask_b32_e64 v93, 0, v86, s9
	v_fma_f32 v86, s19, v113, -v89
	v_mul_f32_e32 v77, 0x3fb8aa3b, v77
	s_delay_alu instid0(VALU_DEP_4) | instskip(NEXT) | instid1(VALU_DEP_3)
	v_dual_mul_f32 v79, 0x3fb8aa3b, v79 :: v_dual_mul_f32 v78, 0x3fb8aa3b, v78
	v_dual_mul_f32 v87, 0x3fb8aa3b, v87 :: v_dual_mul_f32 v86, 0x3fb8aa3b, v86
	s_delay_alu instid0(VALU_DEP_3) | instskip(NEXT) | instid1(VALU_DEP_2)
	v_exp_f32_e32 v77, v77
	v_exp_f32_e32 v79, v79
	s_delay_alu instid0(VALU_DEP_2) | instskip(NEXT) | instid1(VALU_DEP_1)
	v_exp_f32_e32 v78, v78
	v_exp_f32_e32 v87, v87
	;; [unrolled: 1-line block ×3, first 2 shown]
	v_cndmask_b32_e64 v90, 0, v77, s3
	v_cndmask_b32_e64 v94, 0, v79, s4
	s_delay_alu instid0(TRANS32_DEP_3) | instskip(SKIP_4) | instid1(VALU_DEP_2)
	v_cndmask_b32_e64 v97, 0, v78, s8
	v_cndmask_b32_e32 v91, 0, v76, vcc_lo
	v_fma_f32 v76, s19, v139, -v89
	v_fma_f32 v79, s19, v110, -v89
	s_mov_b32 s3, exec_lo
	v_dual_add_f32 v77, 0, v91 :: v_dual_mul_f32 v76, 0x3fb8aa3b, v76
	s_delay_alu instid0(VALU_DEP_1) | instskip(NEXT) | instid1(VALU_DEP_2)
	v_add_f32_e32 v77, v77, v90
	v_exp_f32_e32 v76, v76
	s_delay_alu instid0(VALU_DEP_1) | instskip(NEXT) | instid1(VALU_DEP_1)
	v_add_f32_e32 v77, v77, v92
	v_add_f32_e32 v77, v77, v94
	s_waitcnt_depctr 0xfff
	v_cndmask_b32_e64 v96, 0, v76, s7
	v_add_f32_e32 v76, v77, v95
	v_fma_f32 v77, s19, v112, -v89
	s_delay_alu instid0(VALU_DEP_1) | instskip(NEXT) | instid1(VALU_DEP_1)
	v_dual_add_f32 v76, v76, v96 :: v_dual_mul_f32 v77, 0x3fb8aa3b, v77
	v_add_f32_e32 v78, v76, v93
	s_delay_alu instid0(VALU_DEP_2) | instskip(SKIP_1) | instid1(VALU_DEP_2)
	v_exp_f32_e32 v88, v77
	v_cndmask_b32_e64 v77, 0, v80, s11
	v_dual_mul_f32 v79, 0x3fb8aa3b, v79 :: v_dual_add_f32 v78, v78, v97
	s_delay_alu instid0(VALU_DEP_1) | instskip(SKIP_3) | instid1(VALU_DEP_1)
	v_exp_f32_e32 v79, v79
	s_waitcnt_depctr 0xfff
	v_cndmask_b32_e64 v76, 0, v79, s10
	v_fma_f32 v79, s19, v115, -v89
	v_dual_add_f32 v80, v78, v76 :: v_dual_mul_f32 v79, 0x3fb8aa3b, v79
	v_cndmask_b32_e64 v78, 0, v88, s12
	v_mul_f32_e32 v88, 0x3fb8aa3b, v98
	s_delay_alu instid0(VALU_DEP_3) | instskip(NEXT) | instid1(VALU_DEP_4)
	v_add_f32_e32 v80, v80, v77
	v_exp_f32_e32 v98, v79
	v_cndmask_b32_e64 v79, 0, v86, s13
	s_delay_alu instid0(VALU_DEP_3) | instskip(NEXT) | instid1(VALU_DEP_2)
	v_exp_f32_e32 v88, v88
	v_add_f32_e32 v86, v80, v78
	v_cndmask_b32_e64 v80, 0, v87, s15
	s_delay_alu instid0(VALU_DEP_2) | instskip(SKIP_4) | instid1(VALU_DEP_2)
	v_add_f32_e32 v87, v86, v79
	s_waitcnt_depctr 0xfff
	v_cndmask_b32_e64 v86, 0, v98, s16
	v_add_f32_e32 v98, v87, v80
	v_cndmask_b32_e64 v87, 0, v88, s17
	v_add_f32_e32 v88, v98, v86
	s_delay_alu instid0(VALU_DEP_1) | instskip(SKIP_1) | instid1(VALU_DEP_1)
	v_add_f32_e32 v98, v88, v87
	v_cndmask_b32_e64 v88, 0, v100, s18
	v_add_f32_e32 v98, v98, v88
	ds_bpermute_b32 v99, v99, v98
	v_cmpx_gt_u32_e32 16, v75
	s_cbranch_execz .LBB533_14
; %bb.13:
	v_mul_u32_u24_e32 v75, 0x44, v73
	s_waitcnt lgkmcnt(0)
	v_add_f32_e32 v98, v98, v99
	s_delay_alu instid0(VALU_DEP_2) | instskip(NEXT) | instid1(VALU_DEP_1)
	v_lshl_add_u32 v75, v74, 2, v75
	v_add_nc_u32_e32 v75, 0x4000, v75
	ds_store_2addr_b32 v75, v89, v98 offset1:136
.LBB533_14:
	s_or_b32 exec_lo, exec_lo, s3
	v_lshlrev_b32_e32 v74, 2, v74
	s_waitcnt lgkmcnt(0)
	s_barrier
	buffer_gl0_inv
	v_cmp_eq_u32_e64 s3, 1, v73
	v_add_nc_u32_e32 v89, 0x4000, v74
	ds_load_2addr_b32 v[98:99], v89 offset1:17
	ds_load_2addr_b32 v[100:101], v89 offset0:34 offset1:51
	ds_load_2addr_b32 v[102:103], v89 offset0:68 offset1:85
	;; [unrolled: 1-line block ×4, first 2 shown]
	s_waitcnt lgkmcnt(4)
	v_max3_f32 v74, v98, 0xff7fffff, v99
	s_waitcnt lgkmcnt(3)
	s_delay_alu instid0(VALU_DEP_1) | instskip(SKIP_1) | instid1(VALU_DEP_1)
	v_max3_f32 v74, v74, v100, v101
	s_waitcnt lgkmcnt(2)
	v_max3_f32 v74, v74, v102, v103
	s_waitcnt lgkmcnt(1)
	s_delay_alu instid0(VALU_DEP_1) | instskip(NEXT) | instid1(VALU_DEP_1)
	v_max3_f32 v74, v74, v104, v105
	v_sub_f32_e32 v108, v99, v74
	v_sub_f32_e32 v75, v98, v74
	ds_load_2addr_b32 v[98:99], v89 offset0:170 offset1:187
	v_sub_f32_e32 v100, v100, v74
	v_dual_mul_f32 v108, 0x3fb8aa3b, v108 :: v_dual_mul_f32 v75, 0x3fb8aa3b, v75
	s_delay_alu instid0(VALU_DEP_2) | instskip(NEXT) | instid1(VALU_DEP_2)
	v_mul_f32_e32 v110, 0x3fb8aa3b, v100
	v_exp_f32_e32 v108, v108
	s_delay_alu instid0(VALU_DEP_2)
	v_exp_f32_e32 v109, v75
	v_sub_f32_e32 v75, v101, v74
	ds_load_2addr_b32 v[100:101], v89 offset0:204 offset1:221
	v_exp_f32_e32 v110, v110
	v_mul_f32_e32 v111, 0x3fb8aa3b, v75
	s_waitcnt lgkmcnt(2)
	v_fma_f32 v75, v109, v106, 0
	v_sub_f32_e32 v102, v102, v74
	s_delay_alu instid0(VALU_DEP_3) | instskip(NEXT) | instid1(VALU_DEP_2)
	v_exp_f32_e32 v111, v111
	v_dual_sub_f32 v106, v103, v74 :: v_dual_fmac_f32 v75, v108, v107
	s_waitcnt lgkmcnt(1)
	s_waitcnt_depctr 0xfff
	v_fmac_f32_e32 v75, v110, v98
	v_mul_f32_e32 v112, 0x3fb8aa3b, v102
	ds_load_2addr_b32 v[102:103], v89 offset0:238 offset1:255
	v_sub_f32_e32 v89, v104, v74
	v_dual_sub_f32 v98, v105, v74 :: v_dual_fmac_f32 v75, v111, v99
	v_mul_f32_e32 v104, 0x3fb8aa3b, v106
	v_exp_f32_e32 v106, v112
	s_delay_alu instid0(VALU_DEP_2)
	v_dual_mul_f32 v89, 0x3fb8aa3b, v89 :: v_dual_mul_f32 v98, 0x3fb8aa3b, v98
	s_waitcnt lgkmcnt(0)
	s_barrier
	buffer_gl0_inv
	v_exp_f32_e32 v89, v89
	v_exp_f32_e32 v98, v98
	v_fmac_f32_e32 v75, v106, v100
	v_exp_f32_e32 v104, v104
	s_waitcnt_depctr 0xfff
	v_fmac_f32_e32 v75, v104, v101
	s_delay_alu instid0(VALU_DEP_1) | instskip(NEXT) | instid1(VALU_DEP_1)
	v_fmac_f32_e32 v75, v89, v102
	v_fmac_f32_e32 v75, v98, v103
	s_delay_alu instid0(VALU_DEP_1) | instskip(NEXT) | instid1(VALU_DEP_1)
	v_add_f32_e32 v99, 0x358637bd, v75
	v_div_scale_f32 v100, null, v99, v99, 1.0
	v_div_scale_f32 v103, vcc_lo, 1.0, v99, 1.0
	s_delay_alu instid0(VALU_DEP_2) | instskip(SKIP_2) | instid1(VALU_DEP_1)
	v_rcp_f32_e32 v101, v100
	s_waitcnt_depctr 0xfff
	v_fma_f32 v102, -v100, v101, 1.0
	v_fmac_f32_e32 v101, v102, v101
	v_cndmask_b32_e64 v102, v109, v108, s3
	v_cmp_eq_u32_e64 s3, 2, v73
	s_delay_alu instid0(VALU_DEP_3) | instskip(NEXT) | instid1(VALU_DEP_2)
	v_mul_f32_e32 v105, v103, v101
	v_cndmask_b32_e64 v102, v102, v110, s3
	v_cmp_eq_u32_e64 s3, 3, v73
	s_delay_alu instid0(VALU_DEP_3) | instskip(NEXT) | instid1(VALU_DEP_2)
	v_fma_f32 v107, -v100, v105, v103
	v_cndmask_b32_e64 v102, v102, v111, s3
	v_cmp_eq_u32_e64 s3, 4, v73
	s_delay_alu instid0(VALU_DEP_3) | instskip(NEXT) | instid1(VALU_DEP_2)
	v_fmac_f32_e32 v105, v107, v101
	v_cndmask_b32_e64 v102, v102, v106, s3
	s_delay_alu instid0(VALU_DEP_2) | instskip(SKIP_1) | instid1(VALU_DEP_2)
	v_fma_f32 v100, -v100, v105, v103
	v_cmp_eq_u32_e64 s3, 5, v73
	v_div_fmas_f32 v100, v100, v101, v105
	s_delay_alu instid0(VALU_DEP_2) | instskip(SKIP_2) | instid1(VALU_DEP_3)
	v_cndmask_b32_e64 v102, v102, v104, s3
	v_cmp_eq_u32_e32 vcc_lo, 6, v73
	s_mov_b32 s3, exec_lo
	v_div_fixup_f32 v99, v100, v99, 1.0
	s_delay_alu instid0(VALU_DEP_3) | instskip(SKIP_1) | instid1(VALU_DEP_2)
	v_cndmask_b32_e32 v89, v102, v89, vcc_lo
	v_cmp_eq_u32_e32 vcc_lo, 7, v73
	v_cndmask_b32_e32 v89, v89, v98, vcc_lo
	s_delay_alu instid0(VALU_DEP_1) | instskip(NEXT) | instid1(VALU_DEP_1)
	v_mul_f32_e32 v89, v89, v99
	v_mul_f32_e32 v99, v89, v91
	;; [unrolled: 1-line block ×6, first 2 shown]
	v_and_b32_e32 v100, 0x7f800000, v99
	v_mul_f32_e32 v98, v89, v94
	v_mul_f32_e32 v94, v89, v90
	;; [unrolled: 1-line block ×3, first 2 shown]
                                        ; implicit-def: $vgpr90
	s_delay_alu instid0(VALU_DEP_4)
	v_cmpx_ne_u32_e32 0x7f800000, v100
	s_xor_b32 s3, exec_lo, s3
; %bb.15:
	v_bfe_u32 v90, v99, 16, 1
	s_delay_alu instid0(VALU_DEP_1)
	v_add3_u32 v90, v99, v90, 0x7fff
                                        ; implicit-def: $vgpr99
; %bb.16:
	s_and_not1_saveexec_b32 s3, s3
; %bb.17:
	v_and_b32_e32 v90, 0xffff, v99
	v_or_b32_e32 v92, 0x10000, v99
	s_delay_alu instid0(VALU_DEP_2) | instskip(NEXT) | instid1(VALU_DEP_2)
	v_cmp_eq_u32_e32 vcc_lo, 0, v90
	v_cndmask_b32_e32 v90, v92, v99, vcc_lo
; %bb.18:
	s_or_b32 exec_lo, exec_lo, s3
	v_and_b32_e32 v92, 0x7f800000, v94
	s_delay_alu instid0(VALU_DEP_1) | instskip(SKIP_1) | instid1(SALU_CYCLE_1)
	v_cmp_ne_u32_e32 vcc_lo, 0x7f800000, v92
                                        ; implicit-def: $vgpr92
	s_and_saveexec_b32 s3, vcc_lo
	s_xor_b32 s3, exec_lo, s3
; %bb.19:
	v_bfe_u32 v92, v94, 16, 1
	s_delay_alu instid0(VALU_DEP_1)
	v_add3_u32 v92, v94, v92, 0x7fff
                                        ; implicit-def: $vgpr94
; %bb.20:
	s_and_not1_saveexec_b32 s3, s3
; %bb.21:
	v_and_b32_e32 v92, 0xffff, v94
	v_or_b32_e32 v99, 0x10000, v94
	s_delay_alu instid0(VALU_DEP_2) | instskip(NEXT) | instid1(VALU_DEP_2)
	v_cmp_eq_u32_e32 vcc_lo, 0, v92
	v_cndmask_b32_e32 v92, v99, v94, vcc_lo
; %bb.22:
	s_or_b32 exec_lo, exec_lo, s3
	v_and_b32_e32 v94, 0x7f800000, v95
	s_delay_alu instid0(VALU_DEP_1) | instskip(SKIP_1) | instid1(SALU_CYCLE_1)
	v_cmp_ne_u32_e32 vcc_lo, 0x7f800000, v94
                                        ; implicit-def: $vgpr94
	s_and_saveexec_b32 s3, vcc_lo
	s_xor_b32 s3, exec_lo, s3
; %bb.23:
	v_bfe_u32 v94, v95, 16, 1
	s_delay_alu instid0(VALU_DEP_1)
	v_add3_u32 v94, v95, v94, 0x7fff
                                        ; implicit-def: $vgpr95
; %bb.24:
	s_and_not1_saveexec_b32 s3, s3
; %bb.25:
	v_and_b32_e32 v94, 0xffff, v95
	v_or_b32_e32 v99, 0x10000, v95
	s_delay_alu instid0(VALU_DEP_2) | instskip(NEXT) | instid1(VALU_DEP_2)
	v_cmp_eq_u32_e32 vcc_lo, 0, v94
	v_cndmask_b32_e32 v94, v99, v95, vcc_lo
; %bb.26:
	s_or_b32 exec_lo, exec_lo, s3
	v_and_b32_e32 v95, 0x7f800000, v98
	s_delay_alu instid0(VALU_DEP_1) | instskip(SKIP_1) | instid1(SALU_CYCLE_1)
	v_cmp_ne_u32_e32 vcc_lo, 0x7f800000, v95
                                        ; implicit-def: $vgpr95
	s_and_saveexec_b32 s3, vcc_lo
	s_xor_b32 s3, exec_lo, s3
; %bb.27:
	v_bfe_u32 v95, v98, 16, 1
	s_delay_alu instid0(VALU_DEP_1)
	v_add3_u32 v95, v98, v95, 0x7fff
                                        ; implicit-def: $vgpr98
; %bb.28:
	s_and_not1_saveexec_b32 s3, s3
; %bb.29:
	v_and_b32_e32 v95, 0xffff, v98
	v_or_b32_e32 v99, 0x10000, v98
	s_delay_alu instid0(VALU_DEP_2) | instskip(NEXT) | instid1(VALU_DEP_2)
	v_cmp_eq_u32_e32 vcc_lo, 0, v95
	v_cndmask_b32_e32 v95, v99, v98, vcc_lo
; %bb.30:
	s_or_b32 exec_lo, exec_lo, s3
	v_and_b32_e32 v98, 0x7f800000, v97
	s_delay_alu instid0(VALU_DEP_1) | instskip(SKIP_1) | instid1(SALU_CYCLE_1)
	v_cmp_ne_u32_e32 vcc_lo, 0x7f800000, v98
                                        ; implicit-def: $vgpr98
	s_and_saveexec_b32 s3, vcc_lo
	s_xor_b32 s3, exec_lo, s3
; %bb.31:
	v_bfe_u32 v98, v97, 16, 1
	s_delay_alu instid0(VALU_DEP_1)
	v_add3_u32 v98, v97, v98, 0x7fff
                                        ; implicit-def: $vgpr97
; %bb.32:
	s_and_not1_saveexec_b32 s3, s3
; %bb.33:
	v_and_b32_e32 v98, 0xffff, v97
	v_or_b32_e32 v99, 0x10000, v97
	s_delay_alu instid0(VALU_DEP_2) | instskip(NEXT) | instid1(VALU_DEP_2)
	v_cmp_eq_u32_e32 vcc_lo, 0, v98
	v_cndmask_b32_e32 v98, v99, v97, vcc_lo
; %bb.34:
	s_or_b32 exec_lo, exec_lo, s3
	v_and_b32_e32 v97, 0x7f800000, v96
	s_delay_alu instid0(VALU_DEP_1) | instskip(SKIP_1) | instid1(SALU_CYCLE_1)
	v_cmp_ne_u32_e32 vcc_lo, 0x7f800000, v97
                                        ; implicit-def: $vgpr97
	s_and_saveexec_b32 s3, vcc_lo
	s_xor_b32 s3, exec_lo, s3
; %bb.35:
	v_bfe_u32 v97, v96, 16, 1
	s_delay_alu instid0(VALU_DEP_1)
	v_add3_u32 v97, v96, v97, 0x7fff
                                        ; implicit-def: $vgpr96
; %bb.36:
	s_and_not1_saveexec_b32 s3, s3
; %bb.37:
	v_and_b32_e32 v97, 0xffff, v96
	v_or_b32_e32 v99, 0x10000, v96
	s_delay_alu instid0(VALU_DEP_2) | instskip(NEXT) | instid1(VALU_DEP_2)
	v_cmp_eq_u32_e32 vcc_lo, 0, v97
	v_cndmask_b32_e32 v97, v99, v96, vcc_lo
; %bb.38:
	s_or_b32 exec_lo, exec_lo, s3
	v_and_b32_e32 v96, 0x7f800000, v93
	s_delay_alu instid0(VALU_DEP_1) | instskip(SKIP_1) | instid1(SALU_CYCLE_1)
	v_cmp_ne_u32_e32 vcc_lo, 0x7f800000, v96
                                        ; implicit-def: $vgpr96
	s_and_saveexec_b32 s3, vcc_lo
	s_xor_b32 s3, exec_lo, s3
; %bb.39:
	v_bfe_u32 v96, v93, 16, 1
	s_delay_alu instid0(VALU_DEP_1)
	v_add3_u32 v96, v93, v96, 0x7fff
                                        ; implicit-def: $vgpr93
; %bb.40:
	s_and_not1_saveexec_b32 s3, s3
; %bb.41:
	v_and_b32_e32 v96, 0xffff, v93
	v_or_b32_e32 v99, 0x10000, v93
	s_delay_alu instid0(VALU_DEP_2) | instskip(NEXT) | instid1(VALU_DEP_2)
	v_cmp_eq_u32_e32 vcc_lo, 0, v96
	v_cndmask_b32_e32 v96, v99, v93, vcc_lo
; %bb.42:
	s_or_b32 exec_lo, exec_lo, s3
	v_and_b32_e32 v93, 0x7f800000, v91
	s_delay_alu instid0(VALU_DEP_1) | instskip(SKIP_1) | instid1(SALU_CYCLE_1)
	v_cmp_ne_u32_e32 vcc_lo, 0x7f800000, v93
                                        ; implicit-def: $vgpr93
	s_and_saveexec_b32 s3, vcc_lo
	s_xor_b32 s3, exec_lo, s3
; %bb.43:
	v_bfe_u32 v93, v91, 16, 1
	s_delay_alu instid0(VALU_DEP_1)
	v_add3_u32 v93, v91, v93, 0x7fff
                                        ; implicit-def: $vgpr91
; %bb.44:
	s_and_not1_saveexec_b32 s3, s3
; %bb.45:
	v_and_b32_e32 v93, 0xffff, v91
	v_or_b32_e32 v99, 0x10000, v91
	s_delay_alu instid0(VALU_DEP_2) | instskip(NEXT) | instid1(VALU_DEP_2)
	v_cmp_eq_u32_e32 vcc_lo, 0, v93
	v_cndmask_b32_e32 v93, v99, v91, vcc_lo
; %bb.46:
	s_or_b32 exec_lo, exec_lo, s3
	s_load_b64 s[34:35], s[0:1], 0x94
	v_lshlrev_b32_e32 v91, 4, v83
	s_delay_alu instid0(VALU_DEP_2)
	v_perm_b32 v99, v93, v96, 0x7060302
	v_dual_mul_f32 v88, v89, v88 :: v_dual_lshlrev_b32 v93, 11, v73
	v_perm_b32 v96, v92, v90, 0x7060302
	v_mul_f32_e32 v92, v89, v76
	v_perm_b32 v98, v97, v98, 0x7060302
	v_perm_b32 v97, v95, v94, 0x7060302
	v_or3_b32 v76, v91, v93, v85
	v_mul_f32_e32 v87, v89, v87
	v_dual_mul_f32 v86, v89, v86 :: v_dual_and_b32 v93, 0x7f800000, v92
	v_mul_f32_e32 v80, v89, v80
	v_mul_f32_e32 v90, v89, v79
	;; [unrolled: 1-line block ×4, first 2 shown]
	s_mov_b32 s3, exec_lo
	ds_store_b128 v76, v[96:99]
                                        ; implicit-def: $vgpr77
	v_cmpx_ne_u32_e32 0x7f800000, v93
	s_xor_b32 s3, exec_lo, s3
; %bb.47:
	v_bfe_u32 v77, v92, 16, 1
	s_delay_alu instid0(VALU_DEP_1)
	v_add3_u32 v77, v92, v77, 0x7fff
                                        ; implicit-def: $vgpr92
; %bb.48:
	s_and_not1_saveexec_b32 s3, s3
; %bb.49:
	v_and_b32_e32 v77, 0xffff, v92
	v_or_b32_e32 v78, 0x10000, v92
	s_delay_alu instid0(VALU_DEP_2) | instskip(NEXT) | instid1(VALU_DEP_2)
	v_cmp_eq_u32_e32 vcc_lo, 0, v77
	v_cndmask_b32_e32 v77, v78, v92, vcc_lo
; %bb.50:
	s_or_b32 exec_lo, exec_lo, s3
	v_and_b32_e32 v78, 0x7f800000, v79
	s_delay_alu instid0(VALU_DEP_1) | instskip(SKIP_1) | instid1(SALU_CYCLE_1)
	v_cmp_ne_u32_e32 vcc_lo, 0x7f800000, v78
                                        ; implicit-def: $vgpr78
	s_and_saveexec_b32 s3, vcc_lo
	s_xor_b32 s3, exec_lo, s3
; %bb.51:
	v_bfe_u32 v78, v79, 16, 1
	s_delay_alu instid0(VALU_DEP_1)
	v_add3_u32 v78, v79, v78, 0x7fff
                                        ; implicit-def: $vgpr79
; %bb.52:
	s_and_not1_saveexec_b32 s3, s3
; %bb.53:
	v_and_b32_e32 v78, 0xffff, v79
	v_or_b32_e32 v89, 0x10000, v79
	s_delay_alu instid0(VALU_DEP_2) | instskip(NEXT) | instid1(VALU_DEP_2)
	v_cmp_eq_u32_e32 vcc_lo, 0, v78
	v_cndmask_b32_e32 v78, v89, v79, vcc_lo
; %bb.54:
	s_or_b32 exec_lo, exec_lo, s3
	v_and_b32_e32 v79, 0x7f800000, v91
	s_delay_alu instid0(VALU_DEP_1) | instskip(SKIP_1) | instid1(SALU_CYCLE_1)
	v_cmp_ne_u32_e32 vcc_lo, 0x7f800000, v79
                                        ; implicit-def: $vgpr79
	s_and_saveexec_b32 s3, vcc_lo
	s_xor_b32 s3, exec_lo, s3
; %bb.55:
	v_bfe_u32 v79, v91, 16, 1
	s_delay_alu instid0(VALU_DEP_1)
	v_add3_u32 v79, v91, v79, 0x7fff
                                        ; implicit-def: $vgpr91
; %bb.56:
	s_and_not1_saveexec_b32 s3, s3
; %bb.57:
	v_and_b32_e32 v79, 0xffff, v91
	v_or_b32_e32 v89, 0x10000, v91
	s_delay_alu instid0(VALU_DEP_2) | instskip(NEXT) | instid1(VALU_DEP_2)
	v_cmp_eq_u32_e32 vcc_lo, 0, v79
	v_cndmask_b32_e32 v79, v89, v91, vcc_lo
; %bb.58:
	s_or_b32 exec_lo, exec_lo, s3
	v_and_b32_e32 v89, 0x7f800000, v90
	s_delay_alu instid0(VALU_DEP_1) | instskip(SKIP_1) | instid1(SALU_CYCLE_1)
	v_cmp_ne_u32_e32 vcc_lo, 0x7f800000, v89
                                        ; implicit-def: $vgpr89
	s_and_saveexec_b32 s3, vcc_lo
	s_xor_b32 s3, exec_lo, s3
; %bb.59:
	v_bfe_u32 v89, v90, 16, 1
	s_delay_alu instid0(VALU_DEP_1)
	v_add3_u32 v89, v90, v89, 0x7fff
                                        ; implicit-def: $vgpr90
; %bb.60:
	s_and_not1_saveexec_b32 s3, s3
; %bb.61:
	v_and_b32_e32 v89, 0xffff, v90
	v_or_b32_e32 v91, 0x10000, v90
	s_delay_alu instid0(VALU_DEP_2) | instskip(NEXT) | instid1(VALU_DEP_2)
	v_cmp_eq_u32_e32 vcc_lo, 0, v89
	v_cndmask_b32_e32 v89, v91, v90, vcc_lo
; %bb.62:
	s_or_b32 exec_lo, exec_lo, s3
	v_and_b32_e32 v90, 0x7f800000, v80
	s_delay_alu instid0(VALU_DEP_1) | instskip(SKIP_1) | instid1(SALU_CYCLE_1)
	v_cmp_ne_u32_e32 vcc_lo, 0x7f800000, v90
                                        ; implicit-def: $vgpr90
	s_and_saveexec_b32 s3, vcc_lo
	s_xor_b32 s3, exec_lo, s3
; %bb.63:
	v_bfe_u32 v90, v80, 16, 1
	s_delay_alu instid0(VALU_DEP_1)
	v_add3_u32 v90, v80, v90, 0x7fff
                                        ; implicit-def: $vgpr80
; %bb.64:
	s_and_not1_saveexec_b32 s3, s3
; %bb.65:
	v_and_b32_e32 v90, 0xffff, v80
	v_or_b32_e32 v91, 0x10000, v80
	s_delay_alu instid0(VALU_DEP_2) | instskip(NEXT) | instid1(VALU_DEP_2)
	v_cmp_eq_u32_e32 vcc_lo, 0, v90
	v_cndmask_b32_e32 v90, v91, v80, vcc_lo
; %bb.66:
	s_or_b32 exec_lo, exec_lo, s3
	v_and_b32_e32 v80, 0x7f800000, v86
	s_delay_alu instid0(VALU_DEP_1) | instskip(SKIP_1) | instid1(SALU_CYCLE_1)
	v_cmp_ne_u32_e32 vcc_lo, 0x7f800000, v80
                                        ; implicit-def: $vgpr80
	s_and_saveexec_b32 s3, vcc_lo
	s_xor_b32 s3, exec_lo, s3
; %bb.67:
	v_bfe_u32 v80, v86, 16, 1
	s_delay_alu instid0(VALU_DEP_1)
	v_add3_u32 v80, v86, v80, 0x7fff
                                        ; implicit-def: $vgpr86
; %bb.68:
	s_and_not1_saveexec_b32 s3, s3
; %bb.69:
	v_and_b32_e32 v80, 0xffff, v86
	v_or_b32_e32 v91, 0x10000, v86
	s_delay_alu instid0(VALU_DEP_2) | instskip(NEXT) | instid1(VALU_DEP_2)
	v_cmp_eq_u32_e32 vcc_lo, 0, v80
	v_cndmask_b32_e32 v80, v91, v86, vcc_lo
; %bb.70:
	s_or_b32 exec_lo, exec_lo, s3
	v_and_b32_e32 v86, 0x7f800000, v87
	s_delay_alu instid0(VALU_DEP_1) | instskip(SKIP_1) | instid1(SALU_CYCLE_1)
	v_cmp_ne_u32_e32 vcc_lo, 0x7f800000, v86
                                        ; implicit-def: $vgpr86
	s_and_saveexec_b32 s3, vcc_lo
	s_xor_b32 s3, exec_lo, s3
; %bb.71:
	v_bfe_u32 v86, v87, 16, 1
	s_delay_alu instid0(VALU_DEP_1)
	v_add3_u32 v86, v87, v86, 0x7fff
                                        ; implicit-def: $vgpr87
; %bb.72:
	s_and_not1_saveexec_b32 s3, s3
; %bb.73:
	v_and_b32_e32 v86, 0xffff, v87
	v_or_b32_e32 v91, 0x10000, v87
	s_delay_alu instid0(VALU_DEP_2) | instskip(NEXT) | instid1(VALU_DEP_2)
	v_cmp_eq_u32_e32 vcc_lo, 0, v86
	v_cndmask_b32_e32 v86, v91, v87, vcc_lo
; %bb.74:
	s_or_b32 exec_lo, exec_lo, s3
	v_and_b32_e32 v87, 0x7f800000, v88
	s_delay_alu instid0(VALU_DEP_1) | instskip(SKIP_1) | instid1(SALU_CYCLE_1)
	v_cmp_ne_u32_e32 vcc_lo, 0x7f800000, v87
                                        ; implicit-def: $vgpr87
	s_and_saveexec_b32 s3, vcc_lo
	s_xor_b32 s3, exec_lo, s3
; %bb.75:
	v_bfe_u32 v87, v88, 16, 1
	s_delay_alu instid0(VALU_DEP_1)
	v_add3_u32 v87, v88, v87, 0x7fff
                                        ; implicit-def: $vgpr88
; %bb.76:
	s_and_not1_saveexec_b32 s3, s3
; %bb.77:
	v_and_b32_e32 v87, 0xffff, v88
	v_or_b32_e32 v91, 0x10000, v88
	s_delay_alu instid0(VALU_DEP_2) | instskip(NEXT) | instid1(VALU_DEP_2)
	v_cmp_eq_u32_e32 vcc_lo, 0, v87
	v_cndmask_b32_e32 v87, v91, v88, vcc_lo
; %bb.78:
	s_or_b32 exec_lo, exec_lo, s3
	s_delay_alu instid0(VALU_DEP_1)
	v_perm_b32 v94, v87, v86, 0x7060302
	v_perm_b32 v93, v80, v90, 0x7060302
	;; [unrolled: 1-line block ×4, first 2 shown]
	v_lshl_or_b32 v90, v73, 11, v85
	ds_store_b128 v76, v[91:94] offset:1024
	s_waitcnt lgkmcnt(0)
	s_barrier
	buffer_gl0_inv
	ds_load_b128 v[77:80], v90
	ds_load_b128 v[91:94], v90 offset:16
	s_waitcnt lgkmcnt(1)
	v_lshrrev_b32_e32 v73, 16, v77
	s_waitcnt lgkmcnt(0)
	v_lshrrev_b32_e32 v108, 16, v94
	v_lshlrev_b32_e32 v87, 2, v83
	v_lshrrev_b32_e32 v99, 16, v91
	v_lshrrev_b32_e32 v103, 16, v78
	;; [unrolled: 1-line block ×4, first 2 shown]
	v_or_b32_e32 v88, 1, v87
	v_cmp_eq_u32_e32 vcc_lo, 1, v87
	v_cmp_eq_u32_e64 s4, 2, v87
	v_cmp_eq_u32_e64 s7, 3, v87
	;; [unrolled: 1-line block ×4, first 2 shown]
	v_cndmask_b32_e32 v89, v77, v73, vcc_lo
	v_cndmask_b32_e32 v95, v91, v99, vcc_lo
	v_cmp_eq_u32_e64 s6, 2, v88
	v_cmp_eq_u32_e64 s8, 3, v88
	v_cndmask_b32_e64 v96, v77, v73, s3
	v_cndmask_b32_e64 v89, v89, v78, s4
	;; [unrolled: 1-line block ×3, first 2 shown]
	v_or_b32_e32 v86, 2, v87
	v_lshrrev_b32_e32 v107, 16, v93
	v_cndmask_b32_e64 v96, v96, v78, s6
	v_cndmask_b32_e64 v89, v89, v103, s7
	;; [unrolled: 1-line block ×4, first 2 shown]
	v_cmp_eq_u32_e64 s10, 5, v87
	v_cndmask_b32_e64 v96, v96, v103, s8
	v_cndmask_b32_e64 v89, v89, v79, s9
	;; [unrolled: 1-line block ×3, first 2 shown]
	v_cmp_eq_u32_e64 s11, 4, v88
	v_cmp_eq_u32_e64 s5, 1, v86
	v_cndmask_b32_e64 v97, v97, v92, s6
	v_cndmask_b32_e64 v89, v89, v104, s10
	v_cmp_eq_u32_e64 s12, 6, v87
	v_cndmask_b32_e64 v96, v96, v79, s11
	v_cndmask_b32_e64 v95, v95, v107, s10
	v_cmp_eq_u32_e64 s13, 5, v88
	v_lshrrev_b32_e32 v105, 16, v80
	v_cndmask_b32_e64 v98, v77, v73, s5
	v_cndmask_b32_e64 v97, v97, v106, s8
	;; [unrolled: 1-line block ×4, first 2 shown]
	v_cmp_eq_u32_e64 s15, 7, v87
	v_cndmask_b32_e64 v95, v95, v94, s12
	v_cmp_eq_u32_e64 s16, 6, v88
	v_cmp_eq_u32_e64 s17, 2, v86
	v_cndmask_b32_e64 v97, v97, v93, s11
	v_cndmask_b32_e64 v109, v89, v105, s15
	v_cndmask_b32_e64 v110, v95, v108, s15
	v_cndmask_b32_e64 v96, v96, v80, s16
	v_cndmask_b32_e64 v89, v98, v78, s17
	v_cndmask_b32_e64 v95, v91, v99, s5
	v_cmp_eq_u32_e64 s18, 7, v88
	v_cmp_eq_u32_e64 s19, 3, v86
	;; [unrolled: 1-line block ×4, first 2 shown]
	v_cndmask_b32_e64 v95, v95, v92, s17
	v_cndmask_b32_e64 v111, v96, v105, s18
	v_cndmask_b32_e64 v96, v97, v107, s13
	v_cndmask_b32_e64 v97, v89, v103, s19
	v_or_b32_e32 v89, 3, v87
	v_cndmask_b32_e64 v101, v95, v106, s19
	v_cmp_eq_u32_e64 s24, 6, v86
	v_cndmask_b32_e64 v112, v96, v94, s16
	v_cndmask_b32_e64 v100, v97, v79, s20
	v_cmp_eq_u32_e64 s21, 1, v89
	ds_load_b128 v[95:98], v90 offset:1024
	v_cmp_eq_u32_e64 s23, 2, v89
	v_cmp_eq_u32_e64 s25, 3, v89
	v_cndmask_b32_e64 v113, v100, v104, s22
	v_cndmask_b32_e64 v73, v77, v73, s21
	;; [unrolled: 1-line block ×4, first 2 shown]
	ds_load_b128 v[99:102], v90 offset:1040
	v_cmp_eq_u32_e64 s26, 4, v89
	v_cndmask_b32_e64 v73, v73, v78, s23
	v_cmp_eq_u32_e64 s27, 7, v86
	v_cndmask_b32_e64 v78, v91, v92, s23
	v_cndmask_b32_e64 v92, v113, v80, s24
	v_cmp_eq_u32_e64 s28, 5, v89
	v_cndmask_b32_e64 v73, v73, v103, s25
	v_cndmask_b32_e64 v77, v77, v107, s22
	;; [unrolled: 1-line block ×3, first 2 shown]
	v_cmp_eq_u32_e64 s29, 6, v89
	v_cndmask_b32_e64 v91, v112, v108, s18
	v_cndmask_b32_e64 v73, v73, v79, s26
	s_waitcnt lgkmcnt(1)
	v_lshrrev_b32_e32 v103, 16, v95
	v_cndmask_b32_e64 v78, v78, v93, s26
	v_cndmask_b32_e64 v79, v92, v105, s27
	;; [unrolled: 1-line block ×4, first 2 shown]
	v_cndmask_b32_e32 v92, v95, v103, vcc_lo
	v_cndmask_b32_e64 v78, v78, v107, s28
	s_waitcnt lgkmcnt(0)
	v_lshrrev_b32_e32 v93, 16, v99
	v_lshrrev_b32_e32 v104, 16, v96
	v_cndmask_b32_e64 v106, v95, v103, s3
	v_cndmask_b32_e64 v92, v92, v96, s4
	;; [unrolled: 1-line block ×3, first 2 shown]
	v_cndmask_b32_e32 v107, v99, v93, vcc_lo
	v_cndmask_b32_e64 v78, v78, v94, s29
	v_cmp_eq_u32_e32 vcc_lo, 7, v89
	v_cndmask_b32_e64 v80, v92, v104, s7
	v_cndmask_b32_e64 v92, v106, v96, s6
	;; [unrolled: 1-line block ×3, first 2 shown]
	v_lshrrev_b32_e32 v106, 16, v100
	v_cndmask_b32_e64 v77, v77, v108, s27
	v_cndmask_b32_e32 v78, v78, v108, vcc_lo
	v_lshrrev_b32_e32 v108, 16, v101
	v_cndmask_b32_e64 v80, v80, v97, s9
	v_cndmask_b32_e64 v94, v94, v106, s7
	v_lshrrev_b32_e32 v107, 16, v97
	v_cndmask_b32_e32 v73, v73, v105, vcc_lo
	v_perm_b32 v79, v77, v79, 0x5040100
	v_cndmask_b32_e64 v92, v92, v104, s8
	v_cndmask_b32_e64 v94, v94, v101, s9
	;; [unrolled: 1-line block ×3, first 2 shown]
	v_perm_b32 v80, v78, v73, 0x5040100
	v_perm_b32 v78, v91, v111, 0x5040100
	v_cndmask_b32_e64 v111, v99, v93, s5
	v_cndmask_b32_e64 v94, v94, v108, s10
	;; [unrolled: 1-line block ×3, first 2 shown]
	s_delay_alu instid0(VALU_DEP_2)
	v_cndmask_b32_e64 v77, v94, v102, s12
	v_cndmask_b32_e64 v94, v95, v103, s5
	;; [unrolled: 1-line block ×22, first 2 shown]
	v_lshrrev_b32_e32 v105, 16, v98
	v_cndmask_b32_e64 v94, v94, v107, s22
	v_cndmask_b32_e64 v95, v95, v107, s28
	;; [unrolled: 1-line block ×7, first 2 shown]
	v_lshrrev_b32_e32 v92, 16, v102
	v_cndmask_b32_e64 v94, v94, v98, s24
	v_cndmask_b32_e64 v95, v95, v98, s29
	;; [unrolled: 1-line block ×7, first 2 shown]
	v_dual_cndmask_b32 v94, v95, v105 :: v_dual_cndmask_b32 v95, v96, v92
	v_cndmask_b32_e64 v96, v97, v92, s27
	v_cndmask_b32_e64 v97, v93, v92, s18
	;; [unrolled: 1-line block ×3, first 2 shown]
	v_perm_b32 v77, v110, v109, 0x5040100
	v_perm_b32 v94, v95, v94, 0x5040100
	;; [unrolled: 1-line block ×5, first 2 shown]
	s_lshl_b32 s8, s35, 4
	s_mov_b32 s3, exec_lo
	ds_store_b128 v76, v[77:80]
	ds_store_b128 v76, v[91:94] offset:1024
	v_cmpx_gt_u32_e32 16, v0
	s_cbranch_execz .LBB533_80
; %bb.79:
	v_or_b32_e32 v73, s31, v0
	s_load_b128 s[4:7], s[0:1], 0x58
	s_delay_alu instid0(VALU_DEP_1) | instskip(NEXT) | instid1(VALU_DEP_1)
	v_mad_u64_u32 v[76:77], null, s8, s30, v[73:74]
	v_mad_u64_u32 v[77:78], null, v76, s34, s[14:15]
	s_delay_alu instid0(VALU_DEP_1) | instskip(NEXT) | instid1(VALU_DEP_1)
	v_ashrrev_i32_e32 v78, 31, v77
	v_lshlrev_b64 v[76:77], 2, v[77:78]
	s_waitcnt lgkmcnt(0)
	s_delay_alu instid0(VALU_DEP_1) | instskip(NEXT) | instid1(VALU_DEP_2)
	v_add_co_u32 v78, vcc_lo, s6, v76
	v_add_co_ci_u32_e32 v79, vcc_lo, s7, v77, vcc_lo
	v_add_co_u32 v76, vcc_lo, s4, v76
	v_add_co_ci_u32_e32 v77, vcc_lo, s5, v77, vcc_lo
	global_store_b32 v[78:79], v74, off
	global_store_b32 v[76:77], v75, off
.LBB533_80:
	s_or_b32 exec_lo, exec_lo, s3
	s_waitcnt lgkmcnt(0)
	s_waitcnt_vscnt null, 0x0
	s_barrier
	buffer_gl0_inv
	ds_load_b128 v[91:94], v85
	ds_load_b128 v[95:98], v85 offset:16
	ds_load_b128 v[103:106], v85 offset:1040
	;; [unrolled: 1-line block ×3, first 2 shown]
	v_mov_b32_e32 v73, 0
	ds_load_b128 v[111:114], v85 offset:2064
	ds_load_b128 v[107:110], v85 offset:2048
	ds_load_b128 v[119:122], v85 offset:3088
	ds_load_b128 v[115:118], v85 offset:3072
	ds_load_b128 v[127:130], v85 offset:4112
	ds_load_b128 v[123:126], v85 offset:4096
	v_mov_b32_e32 v74, v73
	v_mov_b32_e32 v75, v73
	;; [unrolled: 1-line block ×7, first 2 shown]
	s_waitcnt lgkmcnt(8)
	s_delay_alu instid0(VALU_DEP_1)
	v_wmma_f32_16x16x16_bf16 v[73:80], v[65:72], v[91:98], v[73:80]
	ds_load_b128 v[69:72], v85 offset:5136
	ds_load_b128 v[65:68], v85 offset:5120
	;; [unrolled: 1-line block ×4, first 2 shown]
	s_waitcnt lgkmcnt(10)
	v_wmma_f32_16x16x16_bf16 v[73:80], v[57:64], v[99:106], v[73:80]
	s_waitcnt lgkmcnt(8)
	s_delay_alu instid0(VALU_DEP_1)
	v_wmma_f32_16x16x16_bf16 v[73:80], v[57:64], v[107:114], v[73:80]
	ds_load_b128 v[61:64], v85 offset:7184
	ds_load_b128 v[57:60], v85 offset:7168
	;; [unrolled: 1-line block ×4, first 2 shown]
	s_waitcnt lgkmcnt(10)
	v_wmma_f32_16x16x16_bf16 v[73:80], v[49:56], v[115:122], v[73:80]
	s_waitcnt lgkmcnt(8)
	s_delay_alu instid0(VALU_DEP_1)
	v_wmma_f32_16x16x16_bf16 v[73:80], v[49:56], v[123:130], v[73:80]
	ds_load_b128 v[53:56], v85 offset:9232
	ds_load_b128 v[49:52], v85 offset:9216
	s_waitcnt lgkmcnt(8)
	v_wmma_f32_16x16x16_bf16 v[73:80], v[41:48], v[65:72], v[73:80]
	ds_load_b128 v[69:72], v85 offset:10256
	ds_load_b128 v[65:68], v85 offset:10240
	s_waitcnt lgkmcnt(8)
	;; [unrolled: 4-line block ×3, first 2 shown]
	v_wmma_f32_16x16x16_bf16 v[73:80], v[9:16], v[57:64], v[73:80]
	s_waitcnt lgkmcnt(6)
	s_delay_alu instid0(VALU_DEP_1)
	v_wmma_f32_16x16x16_bf16 v[73:80], v[9:16], v[99:106], v[73:80]
	ds_load_b128 v[13:16], v85 offset:12304
	ds_load_b128 v[9:12], v85 offset:12288
	s_waitcnt lgkmcnt(6)
	v_wmma_f32_16x16x16_bf16 v[73:80], v[1:8], v[49:56], v[73:80]
	ds_load_b128 v[53:56], v85 offset:13328
	ds_load_b128 v[49:52], v85 offset:13312
	s_waitcnt lgkmcnt(6)
	;; [unrolled: 4-line block ×4, first 2 shown]
	v_wmma_f32_16x16x16_bf16 v[73:80], v[33:40], v[9:16], v[73:80]
	s_waitcnt lgkmcnt(4)
	s_delay_alu instid0(VALU_DEP_1) | instskip(SKIP_1) | instid1(VALU_DEP_1)
	v_wmma_f32_16x16x16_bf16 v[73:80], v[25:32], v[49:56], v[73:80]
	s_waitcnt lgkmcnt(2)
	v_wmma_f32_16x16x16_bf16 v[73:80], v[25:32], v[1:8], v[73:80]
	s_waitcnt lgkmcnt(0)
	s_delay_alu instid0(VALU_DEP_1) | instskip(NEXT) | instid1(VALU_DEP_1)
	v_wmma_f32_16x16x16_bf16 v[73:80], v[17:24], v[41:48], v[73:80]
	v_and_b32_e32 v1, 0x7f800000, v73
	s_delay_alu instid0(VALU_DEP_1) | instskip(SKIP_1) | instid1(SALU_CYCLE_1)
	v_cmp_ne_u32_e32 vcc_lo, 0x7f800000, v1
                                        ; implicit-def: $vgpr1
	s_and_saveexec_b32 s3, vcc_lo
	s_xor_b32 s3, exec_lo, s3
; %bb.81:
	v_bfe_u32 v1, v73, 16, 1
	s_delay_alu instid0(VALU_DEP_1)
	v_add3_u32 v1, v73, v1, 0x7fff
; %bb.82:
	s_and_not1_saveexec_b32 s3, s3
; %bb.83:
	v_and_b32_e32 v1, 0xffff, v73
	v_or_b32_e32 v2, 0x10000, v73
	s_delay_alu instid0(VALU_DEP_2) | instskip(NEXT) | instid1(VALU_DEP_2)
	v_cmp_eq_u32_e32 vcc_lo, 0, v1
	v_cndmask_b32_e32 v1, v2, v73, vcc_lo
; %bb.84:
	s_or_b32 exec_lo, exec_lo, s3
	v_and_b32_e32 v2, 0x7f800000, v74
	s_delay_alu instid0(VALU_DEP_1) | instskip(SKIP_1) | instid1(SALU_CYCLE_1)
	v_cmp_ne_u32_e32 vcc_lo, 0x7f800000, v2
                                        ; implicit-def: $vgpr2
	s_and_saveexec_b32 s3, vcc_lo
	s_xor_b32 s3, exec_lo, s3
; %bb.85:
	v_bfe_u32 v2, v74, 16, 1
	s_delay_alu instid0(VALU_DEP_1)
	v_add3_u32 v2, v74, v2, 0x7fff
; %bb.86:
	s_and_not1_saveexec_b32 s3, s3
; %bb.87:
	v_and_b32_e32 v2, 0xffff, v74
	v_or_b32_e32 v3, 0x10000, v74
	s_delay_alu instid0(VALU_DEP_2) | instskip(NEXT) | instid1(VALU_DEP_2)
	v_cmp_eq_u32_e32 vcc_lo, 0, v2
	v_cndmask_b32_e32 v2, v3, v74, vcc_lo
; %bb.88:
	s_or_b32 exec_lo, exec_lo, s3
	v_and_b32_e32 v3, 0x7f800000, v75
	s_delay_alu instid0(VALU_DEP_1) | instskip(SKIP_1) | instid1(SALU_CYCLE_1)
	v_cmp_ne_u32_e32 vcc_lo, 0x7f800000, v3
                                        ; implicit-def: $vgpr3
	s_and_saveexec_b32 s3, vcc_lo
	s_xor_b32 s3, exec_lo, s3
; %bb.89:
	v_bfe_u32 v3, v75, 16, 1
	s_delay_alu instid0(VALU_DEP_1)
	v_add3_u32 v3, v75, v3, 0x7fff
; %bb.90:
	s_and_not1_saveexec_b32 s3, s3
; %bb.91:
	v_and_b32_e32 v3, 0xffff, v75
	v_or_b32_e32 v4, 0x10000, v75
	s_delay_alu instid0(VALU_DEP_2) | instskip(NEXT) | instid1(VALU_DEP_2)
	v_cmp_eq_u32_e32 vcc_lo, 0, v3
	v_cndmask_b32_e32 v3, v4, v75, vcc_lo
; %bb.92:
	s_or_b32 exec_lo, exec_lo, s3
	v_and_b32_e32 v4, 0x7f800000, v76
	s_delay_alu instid0(VALU_DEP_1) | instskip(SKIP_1) | instid1(SALU_CYCLE_1)
	v_cmp_ne_u32_e32 vcc_lo, 0x7f800000, v4
                                        ; implicit-def: $vgpr4
	s_and_saveexec_b32 s3, vcc_lo
	s_xor_b32 s3, exec_lo, s3
; %bb.93:
	v_bfe_u32 v4, v76, 16, 1
	s_delay_alu instid0(VALU_DEP_1)
	v_add3_u32 v4, v76, v4, 0x7fff
; %bb.94:
	s_and_not1_saveexec_b32 s3, s3
; %bb.95:
	v_and_b32_e32 v4, 0xffff, v76
	v_or_b32_e32 v5, 0x10000, v76
	s_delay_alu instid0(VALU_DEP_2) | instskip(NEXT) | instid1(VALU_DEP_2)
	v_cmp_eq_u32_e32 vcc_lo, 0, v4
	v_cndmask_b32_e32 v4, v5, v76, vcc_lo
; %bb.96:
	s_or_b32 exec_lo, exec_lo, s3
	v_and_b32_e32 v5, 0x7f800000, v77
	s_delay_alu instid0(VALU_DEP_1) | instskip(SKIP_1) | instid1(SALU_CYCLE_1)
	v_cmp_ne_u32_e32 vcc_lo, 0x7f800000, v5
                                        ; implicit-def: $vgpr5
	s_and_saveexec_b32 s3, vcc_lo
	s_xor_b32 s3, exec_lo, s3
; %bb.97:
	v_bfe_u32 v5, v77, 16, 1
	s_delay_alu instid0(VALU_DEP_1)
	v_add3_u32 v5, v77, v5, 0x7fff
; %bb.98:
	s_and_not1_saveexec_b32 s3, s3
; %bb.99:
	v_and_b32_e32 v5, 0xffff, v77
	v_or_b32_e32 v6, 0x10000, v77
	s_delay_alu instid0(VALU_DEP_2) | instskip(NEXT) | instid1(VALU_DEP_2)
	v_cmp_eq_u32_e32 vcc_lo, 0, v5
	v_cndmask_b32_e32 v5, v6, v77, vcc_lo
; %bb.100:
	s_or_b32 exec_lo, exec_lo, s3
	v_and_b32_e32 v6, 0x7f800000, v78
	s_delay_alu instid0(VALU_DEP_1) | instskip(SKIP_1) | instid1(SALU_CYCLE_1)
	v_cmp_ne_u32_e32 vcc_lo, 0x7f800000, v6
                                        ; implicit-def: $vgpr6
	s_and_saveexec_b32 s3, vcc_lo
	s_xor_b32 s3, exec_lo, s3
; %bb.101:
	v_bfe_u32 v6, v78, 16, 1
	s_delay_alu instid0(VALU_DEP_1)
	v_add3_u32 v6, v78, v6, 0x7fff
; %bb.102:
	s_and_not1_saveexec_b32 s3, s3
; %bb.103:
	v_and_b32_e32 v6, 0xffff, v78
	v_or_b32_e32 v7, 0x10000, v78
	s_delay_alu instid0(VALU_DEP_2) | instskip(NEXT) | instid1(VALU_DEP_2)
	v_cmp_eq_u32_e32 vcc_lo, 0, v6
	v_cndmask_b32_e32 v6, v7, v78, vcc_lo
; %bb.104:
	s_or_b32 exec_lo, exec_lo, s3
	v_and_b32_e32 v7, 0x7f800000, v79
	s_delay_alu instid0(VALU_DEP_1) | instskip(SKIP_1) | instid1(SALU_CYCLE_1)
	v_cmp_ne_u32_e32 vcc_lo, 0x7f800000, v7
                                        ; implicit-def: $vgpr7
	s_and_saveexec_b32 s3, vcc_lo
	s_xor_b32 s3, exec_lo, s3
; %bb.105:
	v_bfe_u32 v7, v79, 16, 1
	s_delay_alu instid0(VALU_DEP_1)
	v_add3_u32 v7, v79, v7, 0x7fff
; %bb.106:
	s_and_not1_saveexec_b32 s3, s3
; %bb.107:
	v_and_b32_e32 v7, 0xffff, v79
	v_or_b32_e32 v8, 0x10000, v79
	s_delay_alu instid0(VALU_DEP_2) | instskip(NEXT) | instid1(VALU_DEP_2)
	v_cmp_eq_u32_e32 vcc_lo, 0, v7
	v_cndmask_b32_e32 v7, v8, v79, vcc_lo
; %bb.108:
	s_or_b32 exec_lo, exec_lo, s3
	v_and_b32_e32 v8, 0x7f800000, v80
	s_delay_alu instid0(VALU_DEP_1) | instskip(SKIP_1) | instid1(SALU_CYCLE_1)
	v_cmp_ne_u32_e32 vcc_lo, 0x7f800000, v8
                                        ; implicit-def: $vgpr8
	s_and_saveexec_b32 s3, vcc_lo
	s_xor_b32 s3, exec_lo, s3
; %bb.109:
	v_bfe_u32 v8, v80, 16, 1
	s_delay_alu instid0(VALU_DEP_1)
	v_add3_u32 v8, v80, v8, 0x7fff
                                        ; implicit-def: $vgpr73_vgpr74_vgpr75_vgpr76_vgpr77_vgpr78_vgpr79_vgpr80
; %bb.110:
	s_and_not1_saveexec_b32 s3, s3
; %bb.111:
	v_and_b32_e32 v8, 0xffff, v80
	v_or_b32_e32 v9, 0x10000, v80
	s_delay_alu instid0(VALU_DEP_2) | instskip(NEXT) | instid1(VALU_DEP_2)
	v_cmp_eq_u32_e32 vcc_lo, 0, v8
	v_cndmask_b32_e32 v8, v9, v80, vcc_lo
; %bb.112:
	s_or_b32 exec_lo, exec_lo, s3
	s_delay_alu instid0(VALU_DEP_1)
	v_perm_b32 v7, v8, v7, 0x7060302
	v_perm_b32 v6, v6, v5, 0x7060302
	;; [unrolled: 1-line block ×4, first 2 shown]
	v_lshl_or_b32 v9, v83, 4, v90
	s_barrier
	buffer_gl0_inv
	v_cmp_eq_u32_e32 vcc_lo, 1, v87
	ds_store_b128 v9, v[4:7]
	s_waitcnt lgkmcnt(0)
	s_barrier
	buffer_gl0_inv
	ds_load_b128 v[1:4], v90
	ds_load_b128 v[5:8], v90 offset:16
	v_cmp_eq_u32_e64 s4, 2, v87
	v_cmp_eq_u32_e64 s3, 1, v88
	;; [unrolled: 1-line block ×5, first 2 shown]
	s_waitcnt lgkmcnt(1)
	v_lshrrev_b32_e32 v10, 16, v1
	s_waitcnt lgkmcnt(0)
	v_lshrrev_b32_e32 v14, 16, v5
	v_lshrrev_b32_e32 v15, 16, v6
	;; [unrolled: 1-line block ×4, first 2 shown]
	v_cndmask_b32_e64 v20, v1, v10, s3
	v_cndmask_b32_e32 v19, v5, v14, vcc_lo
	v_cndmask_b32_e64 v21, v5, v14, s3
	v_lshrrev_b32_e32 v16, 16, v7
	v_cmp_eq_u32_e64 s3, 1, v86
	v_lshrrev_b32_e32 v13, 16, v4
	v_cndmask_b32_e64 v19, v19, v6, s4
	v_lshrrev_b32_e32 v17, 16, v8
	s_delay_alu instid0(VALU_DEP_4) | instskip(SKIP_1) | instid1(VALU_DEP_4)
	v_cndmask_b32_e64 v22, v1, v10, s3
	v_cndmask_b32_e64 v23, v5, v14, s3
	;; [unrolled: 1-line block ×3, first 2 shown]
	v_cndmask_b32_e32 v18, v1, v10, vcc_lo
	v_cmp_eq_u32_e32 vcc_lo, 2, v88
	v_cmp_eq_u32_e64 s3, 2, v89
	v_cndmask_b32_e64 v22, v22, v2, s7
	v_cndmask_b32_e32 v20, v20, v2, vcc_lo
	v_cndmask_b32_e32 v21, v21, v6, vcc_lo
	v_cmp_eq_u32_e32 vcc_lo, 4, v87
	v_cndmask_b32_e32 v19, v19, v7, vcc_lo
	v_cndmask_b32_e64 v18, v18, v2, s4
	v_cmp_eq_u32_e64 s4, 3, v88
	s_delay_alu instid0(VALU_DEP_2) | instskip(NEXT) | instid1(VALU_DEP_2)
	v_cndmask_b32_e64 v18, v18, v11, s5
	v_cndmask_b32_e64 v21, v21, v15, s4
	v_cmp_eq_u32_e64 s5, 5, v87
	s_delay_alu instid0(VALU_DEP_3) | instskip(SKIP_1) | instid1(VALU_DEP_3)
	v_cndmask_b32_e32 v18, v18, v3, vcc_lo
	v_cmp_eq_u32_e32 vcc_lo, 4, v88
	v_cndmask_b32_e64 v19, v19, v16, s5
	s_delay_alu instid0(VALU_DEP_3) | instskip(SKIP_4) | instid1(VALU_DEP_3)
	v_cndmask_b32_e64 v18, v18, v12, s5
	v_cndmask_b32_e32 v21, v21, v7, vcc_lo
	v_cndmask_b32_e64 v20, v20, v11, s4
	v_cmp_eq_u32_e64 s4, 5, v88
	v_cmp_eq_u32_e64 s5, 6, v87
	v_cndmask_b32_e32 v20, v20, v3, vcc_lo
	s_delay_alu instid0(VALU_DEP_3) | instskip(SKIP_1) | instid1(VALU_DEP_4)
	v_cndmask_b32_e64 v21, v21, v16, s4
	v_cmp_eq_u32_e32 vcc_lo, 6, v88
	v_cndmask_b32_e64 v18, v18, v4, s5
	v_cndmask_b32_e64 v19, v19, v8, s5
	;; [unrolled: 1-line block ×3, first 2 shown]
	v_cmp_eq_u32_e64 s4, 1, v89
	v_cmp_eq_u32_e64 s5, 7, v87
	s_delay_alu instid0(VALU_DEP_3) | instskip(NEXT) | instid1(VALU_DEP_3)
	v_cndmask_b32_e32 v20, v20, v4, vcc_lo
	v_cndmask_b32_e64 v1, v1, v10, s4
	v_cndmask_b32_e64 v5, v5, v14, s4
	v_cmp_eq_u32_e64 s4, 3, v86
	v_cndmask_b32_e64 v14, v23, v6, s7
	v_cmp_eq_u32_e64 s7, 3, v89
	v_cndmask_b32_e64 v1, v1, v2, s3
	v_cndmask_b32_e64 v2, v5, v6, s3
	;; [unrolled: 1-line block ×3, first 2 shown]
	v_cmp_eq_u32_e64 s3, 4, v86
	v_cndmask_b32_e64 v6, v14, v15, s4
	v_cndmask_b32_e64 v1, v1, v11, s7
	v_cmp_eq_u32_e64 s4, 4, v89
	v_cndmask_b32_e64 v2, v2, v15, s7
	v_cndmask_b32_e64 v5, v10, v3, s3
	;; [unrolled: 3-line block ×3, first 2 shown]
	v_cndmask_b32_e64 v2, v2, v7, s4
	v_cmp_eq_u32_e64 s3, 5, v89
	v_cndmask_b32_e64 v5, v5, v12, s7
	v_cmp_eq_u32_e64 s4, 6, v86
	;; [unrolled: 2-line block ×3, first 2 shown]
	v_cndmask_b32_e64 v1, v1, v12, s3
	v_cndmask_b32_e64 v2, v2, v16, s3
	;; [unrolled: 1-line block ×4, first 2 shown]
	v_cmp_eq_u32_e64 s3, 7, v89
	v_cndmask_b32_e64 v1, v1, v4, s7
	v_cndmask_b32_e64 v2, v2, v8, s7
	v_cmp_eq_u32_e64 s4, 7, v86
	v_cndmask_b32_e32 v4, v21, v8, vcc_lo
	v_cndmask_b32_e64 v18, v18, v13, s5
	v_cndmask_b32_e64 v20, v20, v13, s6
	;; [unrolled: 1-line block ×8, first 2 shown]
	v_cmp_gt_u32_e32 vcc_lo, 32, v0
	v_perm_b32 v4, v2, v1, 0x5040100
	v_perm_b32 v3, v3, v5, 0x5040100
	;; [unrolled: 1-line block ×4, first 2 shown]
	s_and_b32 s2, vcc_lo, s2
	ds_store_b128 v9, v[1:4]
	s_waitcnt lgkmcnt(0)
	s_barrier
	buffer_gl0_inv
	s_and_saveexec_b32 s3, s2
	s_cbranch_execz .LBB533_2
; %bb.113:
	s_load_b64 s[0:1], s[0:1], 0x68
	v_lshlrev_b32_e32 v0, 10, v0
	s_lshl_b32 s4, s34, 6
	v_or_b32_e32 v23, s31, v83
	s_mul_i32 s2, s4, s30
	v_lshlrev_b32_e32 v1, 4, v84
	v_lshlrev_b32_e32 v2, 6, v83
	s_mul_i32 s2, s2, s8
	v_and_b32_e32 v0, 0x3800, v0
	v_mul_lo_u32 v8, v23, s4
	s_ashr_i32 s3, s2, 31
	v_or_b32_e32 v3, 2, v23
	s_lshl_b64 s[2:3], s[2:3], 1
	v_or3_b32 v27, v0, v1, v2
	v_or_b32_e32 v11, 4, v23
	v_or_b32_e32 v18, 6, v23
	v_mul_lo_u32 v10, v3, s4
	v_ashrrev_i32_e32 v9, 31, v8
	ds_load_b128 v[0:3], v27
	ds_load_b128 v[4:7], v27 offset:128
	v_mul_lo_u32 v12, v11, s4
	s_waitcnt lgkmcnt(0)
	s_add_u32 s2, s0, s2
	s_addc_u32 s3, s1, s3
	s_lshl_b32 s0, s14, 6
	v_lshlrev_b64 v[8:9], 1, v[8:9]
	s_ashr_i32 s1, s0, 31
	v_ashrrev_i32_e32 v11, 31, v10
	s_lshl_b64 s[0:1], s[0:1], 1
	v_ashrrev_i32_e32 v13, 31, v12
	s_add_u32 s0, s2, s0
	s_addc_u32 s1, s3, s1
	v_add_co_u32 v30, vcc_lo, s0, v81
	v_add_co_ci_u32_e32 v31, vcc_lo, s1, v82, vcc_lo
	v_lshlrev_b64 v[16:17], 1, v[10:11]
	s_delay_alu instid0(VALU_DEP_3) | instskip(NEXT) | instid1(VALU_DEP_3)
	v_add_co_u32 v14, vcc_lo, v30, v8
	v_add_co_ci_u32_e32 v15, vcc_lo, v31, v9, vcc_lo
	ds_load_b128 v[8:11], v27 offset:256
	v_mul_lo_u32 v18, v18, s4
	v_or_b32_e32 v19, 8, v23
	v_add_co_u32 v16, vcc_lo, v30, v16
	global_store_b128 v[14:15], v[0:3], off
	v_lshlrev_b64 v[0:1], 1, v[12:13]
	v_add_co_ci_u32_e32 v17, vcc_lo, v31, v17, vcc_lo
	v_mul_lo_u32 v12, v19, s4
	v_ashrrev_i32_e32 v19, 31, v18
	v_or_b32_e32 v14, 10, v23
	global_store_b128 v[16:17], v[4:7], off
	v_add_co_u32 v4, vcc_lo, v30, v0
	v_add_co_ci_u32_e32 v5, vcc_lo, v31, v1, vcc_lo
	ds_load_b128 v[0:3], v27 offset:384
	v_ashrrev_i32_e32 v13, 31, v12
	v_lshlrev_b64 v[6:7], 1, v[18:19]
	v_mul_lo_u32 v14, v14, s4
	s_waitcnt lgkmcnt(1)
	global_store_b128 v[4:5], v[8:11], off
	v_or_b32_e32 v8, 12, v23
	v_lshlrev_b64 v[4:5], 1, v[12:13]
	v_add_co_u32 v20, vcc_lo, v30, v6
	v_or_b32_e32 v6, 14, v23
	v_ashrrev_i32_e32 v15, 31, v14
	v_mul_lo_u32 v22, v8, s4
	v_add_co_ci_u32_e32 v21, vcc_lo, v31, v7, vcc_lo
	v_add_co_u32 v24, vcc_lo, v30, v4
	v_mul_lo_u32 v26, v6, s4
	v_add_co_ci_u32_e32 v25, vcc_lo, v31, v5, vcc_lo
	v_lshlrev_b64 v[28:29], 1, v[14:15]
	ds_load_b128 v[4:7], v27 offset:512
	ds_load_b128 v[8:11], v27 offset:640
	;; [unrolled: 1-line block ×4, first 2 shown]
	v_ashrrev_i32_e32 v23, 31, v22
	v_ashrrev_i32_e32 v27, 31, v26
	v_add_co_u32 v28, vcc_lo, v30, v28
	s_delay_alu instid0(VALU_DEP_3) | instskip(SKIP_1) | instid1(VALU_DEP_4)
	v_lshlrev_b64 v[22:23], 1, v[22:23]
	v_add_co_ci_u32_e32 v29, vcc_lo, v31, v29, vcc_lo
	v_lshlrev_b64 v[26:27], 1, v[26:27]
	s_delay_alu instid0(VALU_DEP_3) | instskip(NEXT) | instid1(VALU_DEP_4)
	v_add_co_u32 v22, vcc_lo, v30, v22
	v_add_co_ci_u32_e32 v23, vcc_lo, v31, v23, vcc_lo
	s_delay_alu instid0(VALU_DEP_3) | instskip(NEXT) | instid1(VALU_DEP_4)
	v_add_co_u32 v26, vcc_lo, v30, v26
	v_add_co_ci_u32_e32 v27, vcc_lo, v31, v27, vcc_lo
	s_waitcnt lgkmcnt(4)
	global_store_b128 v[20:21], v[0:3], off
	s_waitcnt lgkmcnt(3)
	global_store_b128 v[24:25], v[4:7], off
	;; [unrolled: 2-line block ×5, first 2 shown]
	s_nop 0
	s_sendmsg sendmsg(MSG_DEALLOC_VGPRS)
	s_endpgm
	.section	.rodata,"a",@progbits
	.p2align	6, 0x0
	.amdhsa_kernel _Z39paged_attention_ll4mi_QKV_mfma16_kernelI14__hip_bfloat16S0_LN4vllm18Fp8KVCacheDataTypeE0EhLi32ELi64ELi256ELb0ELi16EL8MFMAType0EEvPKT_PKT0_S9_ifPKiSB_SB_iPKfiiiPfSE_PS4_PT2_iSD_SD_
		.amdhsa_group_segment_fixed_size 17472
		.amdhsa_private_segment_fixed_size 0
		.amdhsa_kernarg_size 400
		.amdhsa_user_sgpr_count 13
		.amdhsa_user_sgpr_dispatch_ptr 0
		.amdhsa_user_sgpr_queue_ptr 0
		.amdhsa_user_sgpr_kernarg_segment_ptr 1
		.amdhsa_user_sgpr_dispatch_id 0
		.amdhsa_user_sgpr_private_segment_size 0
		.amdhsa_wavefront_size32 1
		.amdhsa_uses_dynamic_stack 0
		.amdhsa_enable_private_segment 0
		.amdhsa_system_sgpr_workgroup_id_x 1
		.amdhsa_system_sgpr_workgroup_id_y 1
		.amdhsa_system_sgpr_workgroup_id_z 1
		.amdhsa_system_sgpr_workgroup_info 0
		.amdhsa_system_vgpr_workitem_id 0
		.amdhsa_next_free_vgpr 142
		.amdhsa_next_free_sgpr 38
		.amdhsa_reserve_vcc 1
		.amdhsa_float_round_mode_32 0
		.amdhsa_float_round_mode_16_64 0
		.amdhsa_float_denorm_mode_32 3
		.amdhsa_float_denorm_mode_16_64 3
		.amdhsa_dx10_clamp 1
		.amdhsa_ieee_mode 1
		.amdhsa_fp16_overflow 0
		.amdhsa_workgroup_processor_mode 1
		.amdhsa_memory_ordered 1
		.amdhsa_forward_progress 0
		.amdhsa_shared_vgpr_count 0
		.amdhsa_exception_fp_ieee_invalid_op 0
		.amdhsa_exception_fp_denorm_src 0
		.amdhsa_exception_fp_ieee_div_zero 0
		.amdhsa_exception_fp_ieee_overflow 0
		.amdhsa_exception_fp_ieee_underflow 0
		.amdhsa_exception_fp_ieee_inexact 0
		.amdhsa_exception_int_div_zero 0
	.end_amdhsa_kernel
	.section	.text._Z39paged_attention_ll4mi_QKV_mfma16_kernelI14__hip_bfloat16S0_LN4vllm18Fp8KVCacheDataTypeE0EhLi32ELi64ELi256ELb0ELi16EL8MFMAType0EEvPKT_PKT0_S9_ifPKiSB_SB_iPKfiiiPfSE_PS4_PT2_iSD_SD_,"axG",@progbits,_Z39paged_attention_ll4mi_QKV_mfma16_kernelI14__hip_bfloat16S0_LN4vllm18Fp8KVCacheDataTypeE0EhLi32ELi64ELi256ELb0ELi16EL8MFMAType0EEvPKT_PKT0_S9_ifPKiSB_SB_iPKfiiiPfSE_PS4_PT2_iSD_SD_,comdat
.Lfunc_end533:
	.size	_Z39paged_attention_ll4mi_QKV_mfma16_kernelI14__hip_bfloat16S0_LN4vllm18Fp8KVCacheDataTypeE0EhLi32ELi64ELi256ELb0ELi16EL8MFMAType0EEvPKT_PKT0_S9_ifPKiSB_SB_iPKfiiiPfSE_PS4_PT2_iSD_SD_, .Lfunc_end533-_Z39paged_attention_ll4mi_QKV_mfma16_kernelI14__hip_bfloat16S0_LN4vllm18Fp8KVCacheDataTypeE0EhLi32ELi64ELi256ELb0ELi16EL8MFMAType0EEvPKT_PKT0_S9_ifPKiSB_SB_iPKfiiiPfSE_PS4_PT2_iSD_SD_
                                        ; -- End function
	.section	.AMDGPU.csdata,"",@progbits
; Kernel info:
; codeLenInByte = 9616
; NumSgprs: 40
; NumVgprs: 142
; ScratchSize: 0
; MemoryBound: 0
; FloatMode: 240
; IeeeMode: 1
; LDSByteSize: 17472 bytes/workgroup (compile time only)
; SGPRBlocks: 4
; VGPRBlocks: 17
; NumSGPRsForWavesPerEU: 40
; NumVGPRsForWavesPerEU: 142
; Occupancy: 10
; WaveLimiterHint : 1
; COMPUTE_PGM_RSRC2:SCRATCH_EN: 0
; COMPUTE_PGM_RSRC2:USER_SGPR: 13
; COMPUTE_PGM_RSRC2:TRAP_HANDLER: 0
; COMPUTE_PGM_RSRC2:TGID_X_EN: 1
; COMPUTE_PGM_RSRC2:TGID_Y_EN: 1
; COMPUTE_PGM_RSRC2:TGID_Z_EN: 1
; COMPUTE_PGM_RSRC2:TIDIG_COMP_CNT: 0
	.section	.text._Z39paged_attention_ll4mi_QKV_mfma16_kernelI14__hip_bfloat16S0_LN4vllm18Fp8KVCacheDataTypeE0EhLi32ELi64ELi256ELb0ELi1EL8MFMAType0EEvPKT_PKT0_S9_ifPKiSB_SB_iPKfiiiPfSE_PS4_PT2_iSD_SD_,"axG",@progbits,_Z39paged_attention_ll4mi_QKV_mfma16_kernelI14__hip_bfloat16S0_LN4vllm18Fp8KVCacheDataTypeE0EhLi32ELi64ELi256ELb0ELi1EL8MFMAType0EEvPKT_PKT0_S9_ifPKiSB_SB_iPKfiiiPfSE_PS4_PT2_iSD_SD_,comdat
	.protected	_Z39paged_attention_ll4mi_QKV_mfma16_kernelI14__hip_bfloat16S0_LN4vllm18Fp8KVCacheDataTypeE0EhLi32ELi64ELi256ELb0ELi1EL8MFMAType0EEvPKT_PKT0_S9_ifPKiSB_SB_iPKfiiiPfSE_PS4_PT2_iSD_SD_ ; -- Begin function _Z39paged_attention_ll4mi_QKV_mfma16_kernelI14__hip_bfloat16S0_LN4vllm18Fp8KVCacheDataTypeE0EhLi32ELi64ELi256ELb0ELi1EL8MFMAType0EEvPKT_PKT0_S9_ifPKiSB_SB_iPKfiiiPfSE_PS4_PT2_iSD_SD_
	.globl	_Z39paged_attention_ll4mi_QKV_mfma16_kernelI14__hip_bfloat16S0_LN4vllm18Fp8KVCacheDataTypeE0EhLi32ELi64ELi256ELb0ELi1EL8MFMAType0EEvPKT_PKT0_S9_ifPKiSB_SB_iPKfiiiPfSE_PS4_PT2_iSD_SD_
	.p2align	8
	.type	_Z39paged_attention_ll4mi_QKV_mfma16_kernelI14__hip_bfloat16S0_LN4vllm18Fp8KVCacheDataTypeE0EhLi32ELi64ELi256ELb0ELi1EL8MFMAType0EEvPKT_PKT0_S9_ifPKiSB_SB_iPKfiiiPfSE_PS4_PT2_iSD_SD_,@function
_Z39paged_attention_ll4mi_QKV_mfma16_kernelI14__hip_bfloat16S0_LN4vllm18Fp8KVCacheDataTypeE0EhLi32ELi64ELi256ELb0ELi1EL8MFMAType0EEvPKT_PKT0_S9_ifPKiSB_SB_iPKfiiiPfSE_PS4_PT2_iSD_SD_: ; @_Z39paged_attention_ll4mi_QKV_mfma16_kernelI14__hip_bfloat16S0_LN4vllm18Fp8KVCacheDataTypeE0EhLi32ELi64ELi256ELb0ELi1EL8MFMAType0EEvPKT_PKT0_S9_ifPKiSB_SB_iPKfiiiPfSE_PS4_PT2_iSD_SD_
; %bb.0:
	s_load_b64 s[4:5], s[0:1], 0x30
	s_mov_b32 s34, s13
	s_waitcnt lgkmcnt(0)
	s_cmp_lg_u64 s[4:5], 0
	s_cselect_b32 s6, -1, 0
	s_ashr_i32 s35, s13, 31
	s_cmp_eq_u64 s[4:5], 0
	s_cbranch_scc1 .LBB534_3
; %bb.1:
	s_lshl_b64 s[2:3], s[34:35], 2
	s_delay_alu instid0(SALU_CYCLE_1) | instskip(SKIP_4) | instid1(SALU_CYCLE_1)
	s_add_u32 s2, s4, s2
	s_addc_u32 s3, s5, s3
	s_load_b64 s[2:3], s[2:3], 0x0
	s_waitcnt lgkmcnt(0)
	s_sub_i32 s2, s3, s2
	s_cmp_eq_u32 s2, 1
	s_cselect_b32 s2, -1, 0
	s_delay_alu instid0(SALU_CYCLE_1)
	s_and_not1_b32 vcc_lo, exec_lo, s2
	s_cbranch_vccz .LBB534_4
.LBB534_2:
	s_endpgm
.LBB534_3:
.LBB534_4:
	s_load_b64 s[2:3], s[0:1], 0x28
	s_lshl_b64 s[8:9], s[34:35], 2
	s_waitcnt lgkmcnt(0)
	s_add_u32 s2, s2, s8
	s_addc_u32 s3, s3, s9
	s_lshl_b32 s12, s14, 8
	s_load_b32 s33, s[2:3], 0x0
	s_waitcnt lgkmcnt(0)
	s_cmp_ge_i32 s12, s33
	s_cbranch_scc1 .LBB534_2
; %bb.5:
	s_clause 0x1
	s_load_b128 s[56:59], s[0:1], 0x8
	s_load_b64 s[2:3], s[0:1], 0x20
	s_and_not1_b32 vcc_lo, exec_lo, s6
	s_mov_b64 s[6:7], s[34:35]
	s_cbranch_vccnz .LBB534_7
; %bb.6:
	s_add_u32 s4, s4, s8
	s_addc_u32 s5, s5, s9
	s_load_b32 s6, s[4:5], 0x0
.LBB534_7:
	s_load_b128 s[52:55], s[0:1], 0x48
	v_and_b32_e32 v89, 15, v0
	s_mov_b32 s13, exec_lo
                                        ; implicit-def: $sgpr36
                                        ; implicit-def: $sgpr16
                                        ; implicit-def: $sgpr24
                                        ; implicit-def: $sgpr4
	s_delay_alu instid0(VALU_DEP_1)
	v_cmpx_eq_u32_e32 0, v89
	s_cbranch_execz .LBB534_9
; %bb.8:
	s_load_b64 s[4:5], s[0:1], 0x0
	s_waitcnt lgkmcnt(0)
	s_mul_hi_i32 s7, s6, s52
	s_mul_i32 s6, s6, s52
	s_delay_alu instid0(SALU_CYCLE_1) | instskip(NEXT) | instid1(SALU_CYCLE_1)
	s_lshl_b64 s[6:7], s[6:7], 1
	s_add_u32 s6, s4, s6
	s_addc_u32 s7, s5, s7
	s_lshl_b32 s4, s15, 6
	s_delay_alu instid0(SALU_CYCLE_1) | instskip(NEXT) | instid1(SALU_CYCLE_1)
	s_ashr_i32 s5, s4, 31
	s_lshl_b64 s[4:5], s[4:5], 1
	s_delay_alu instid0(SALU_CYCLE_1)
	s_add_u32 s4, s6, s4
	s_addc_u32 s5, s7, s5
	s_clause 0x3
	s_load_b256 s[36:43], s[4:5], 0x0
	s_load_b256 s[16:23], s[4:5], 0x20
	;; [unrolled: 1-line block ×4, first 2 shown]
.LBB534_9:
	s_or_b32 exec_lo, exec_lo, s13
	v_and_b32_e32 v1, 0xef, v0
	s_add_i32 s13, s33, 31
	s_load_b32 s44, s[0:1], 0x38
	s_ashr_i32 s35, s13, 31
	s_waitcnt lgkmcnt(0)
	v_dual_mov_b32 v107, s23 :: v_dual_mov_b32 v102, s18
	v_add_nc_u32_e32 v1, s12, v1
	s_lshr_b32 s35, s35, 27
	v_dual_mov_b32 v105, s21 :: v_dual_mov_b32 v100, s16
	s_add_i32 s13, s13, s35
	s_delay_alu instid0(VALU_DEP_2)
	v_ashrrev_i32_e32 v2, 31, v1
	v_or_b32_e32 v3, 16, v1
	s_ashr_i32 s13, s13, 5
	v_cmp_gt_i32_e32 vcc_lo, s33, v1
	s_add_i32 s13, s13, -1
	v_lshrrev_b32_e32 v2, 27, v2
	s_load_b32 s35, s[0:1], 0x1c
	v_mov_b32_e32 v103, s19
	v_mov_b32_e32 v101, s17
	v_dual_mov_b32 v115, s31 :: v_dual_mov_b32 v110, s26
	v_add_nc_u32_e32 v4, v1, v2
	s_mul_i32 s44, s34, s44
	v_mov_b32_e32 v114, s30
	s_ashr_i32 s45, s44, 31
	v_dual_mov_b32 v113, s29 :: v_dual_mov_b32 v108, s24
	v_ashrrev_i32_e32 v4, 5, v4
	v_add_nc_u32_e32 v2, v3, v2
	s_lshl_b64 s[44:45], s[44:45], 2
	v_mov_b32_e32 v112, s28
	s_add_u32 s52, s2, s44
	v_cndmask_b32_e32 v1, s13, v4, vcc_lo
	v_ashrrev_i32_e32 v2, 5, v2
	v_cmp_gt_i32_e32 vcc_lo, s33, v3
	v_lshlrev_b32_e32 v90, 6, v89
	s_addc_u32 s55, s3, s45
	s_mul_i32 s2, s15, s54
	v_lshrrev_b32_e32 v91, 5, v0
	v_cndmask_b32_e32 v3, s13, v2, vcc_lo
	v_ashrrev_i32_e32 v2, 31, v1
	s_ashr_i32 s3, s2, 31
	v_mov_b32_e32 v106, s22
	s_lshl_b64 s[2:3], s[2:3], 1
	v_ashrrev_i32_e32 v4, 31, v3
	v_lshlrev_b64 v[1:2], 2, v[1:2]
	s_add_u32 s63, s56, s2
	s_addc_u32 s68, s57, s3
	s_lshl_b32 s44, s14, 3
	v_lshlrev_b64 v[3:4], 2, v[3:4]
	s_ashr_i32 s45, s44, 31
	v_add_co_u32 v1, vcc_lo, s52, v1
	v_add_co_ci_u32_e32 v2, vcc_lo, s55, v2, vcc_lo
	s_delay_alu instid0(VALU_DEP_3) | instskip(NEXT) | instid1(VALU_DEP_4)
	v_add_co_u32 v3, vcc_lo, s52, v3
	v_add_co_ci_u32_e32 v4, vcc_lo, s55, v4, vcc_lo
	s_clause 0x1
	global_load_b32 v5, v[1:2], off
	global_load_b32 v6, v[3:4], off
	s_lshl_b64 s[44:45], s[44:45], 2
	v_mov_b32_e32 v104, s20
	s_add_u32 s44, s52, s44
	s_addc_u32 s45, s55, s45
	s_or_b32 s46, s12, 32
	v_lshl_or_b32 v49, v91, 10, v90
	s_ashr_i32 s47, s46, 5
	s_cmp_lt_i32 s46, s33
	s_cselect_b32 s46, s47, s13
	s_delay_alu instid0(SALU_CYCLE_1) | instskip(NEXT) | instid1(SALU_CYCLE_1)
	s_ashr_i32 s47, s46, 31
	s_lshl_b64 s[46:47], s[46:47], 2
	s_delay_alu instid0(SALU_CYCLE_1) | instskip(SKIP_2) | instid1(SALU_CYCLE_1)
	s_add_u32 s46, s52, s46
	s_addc_u32 s47, s55, s47
	s_or_b32 s48, s12, 64
	s_ashr_i32 s49, s48, 5
	s_cmp_lt_i32 s48, s33
	s_cselect_b32 s48, s49, s13
	s_delay_alu instid0(SALU_CYCLE_1) | instskip(NEXT) | instid1(SALU_CYCLE_1)
	s_ashr_i32 s49, s48, 31
	s_lshl_b64 s[48:49], s[48:49], 2
	s_delay_alu instid0(SALU_CYCLE_1) | instskip(SKIP_2) | instid1(SALU_CYCLE_1)
	s_add_u32 s48, s52, s48
	s_addc_u32 s49, s55, s49
	s_or_b32 s50, s12, 0x60
	;; [unrolled: 10-line block ×4, first 2 shown]
	s_ashr_i32 s56, s54, 5
	s_cmp_lt_i32 s54, s33
	s_cselect_b32 s56, s56, s13
	s_delay_alu instid0(SALU_CYCLE_1) | instskip(NEXT) | instid1(SALU_CYCLE_1)
	s_ashr_i32 s57, s56, 31
	s_lshl_b64 s[56:57], s[56:57], 2
	s_delay_alu instid0(SALU_CYCLE_1)
	s_add_u32 s66, s52, s56
	s_addc_u32 s67, s55, s57
	s_clause 0x5
	s_load_b32 s62, s[44:45], 0x0
	s_load_b32 s61, s[46:47], 0x0
	;; [unrolled: 1-line block ×6, first 2 shown]
	s_or_b32 s16, s12, 0xc0
	s_mov_b32 s44, 0
	s_ashr_i32 s17, s16, 5
	s_mov_b32 s45, s44
	s_mov_b32 s46, s44
	;; [unrolled: 1-line block ×7, first 2 shown]
	v_mov_b32_e32 v111, s27
	v_mov_b32_e32 v109, s25
	v_dual_mov_b32 v123, s51 :: v_dual_mov_b32 v118, s46
	s_waitcnt lgkmcnt(0)
	s_mul_hi_i32 s19, s62, s53
	s_mul_i32 s18, s62, s53
	s_mul_hi_i32 s21, s61, s53
	s_mul_hi_i32 s25, s60, s53
	s_mul_i32 s24, s60, s53
	s_mul_hi_i32 s27, s57, s53
	s_mul_i32 s26, s57, s53
	v_dual_mov_b32 v122, s50 :: v_dual_mov_b32 v121, s49
	v_mov_b32_e32 v116, s44
	v_dual_mov_b32 v120, s48 :: v_dual_mov_b32 v119, s47
	v_mov_b32_e32 v117, s45
	s_mul_hi_i32 s31, s54, s53
	s_mul_i32 s30, s54, s53
	s_cmp_lt_i32 s16, s33
	s_cselect_b32 s16, s17, s13
	s_delay_alu instid0(SALU_CYCLE_1) | instskip(NEXT) | instid1(SALU_CYCLE_1)
	s_ashr_i32 s17, s16, 31
	s_lshl_b64 s[16:17], s[16:17], 2
	s_delay_alu instid0(SALU_CYCLE_1) | instskip(SKIP_2) | instid1(SALU_CYCLE_1)
	s_add_u32 s16, s52, s16
	s_addc_u32 s17, s55, s17
	s_or_b32 s20, s12, 0xe0
	s_ashr_i32 s22, s20, 5
	s_cmp_lt_i32 s20, s33
	s_mul_i32 s20, s61, s53
	s_cselect_b32 s22, s22, s13
	s_delay_alu instid0(SALU_CYCLE_1) | instskip(NEXT) | instid1(SALU_CYCLE_1)
	s_ashr_i32 s23, s22, 31
	s_lshl_b64 s[22:23], s[22:23], 2
	s_delay_alu instid0(SALU_CYCLE_1) | instskip(SKIP_2) | instid1(SALU_CYCLE_1)
	s_add_u32 s22, s52, s22
	s_addc_u32 s23, s55, s23
	s_add_i32 s28, s12, 0x100
	s_ashr_i32 s29, s28, 5
	s_cmp_lt_i32 s28, s33
	s_cselect_b32 s28, s29, s13
	s_delay_alu instid0(SALU_CYCLE_1) | instskip(NEXT) | instid1(SALU_CYCLE_1)
	s_ashr_i32 s29, s28, 31
	s_lshl_b64 s[28:29], s[28:29], 2
	s_delay_alu instid0(SALU_CYCLE_1) | instskip(SKIP_2) | instid1(SALU_CYCLE_1)
	s_add_u32 s28, s52, s28
	s_addc_u32 s29, s55, s29
	s_add_u32 s13, s58, s2
	v_add_co_u32 v136, s13, s13, v49
	s_waitcnt vmcnt(1)
	v_mad_i64_i32 v[1:2], null, v5, s53, 0
	s_waitcnt vmcnt(0)
	v_mad_i64_i32 v[3:4], null, v6, s53, 0
	v_lshlrev_b32_e32 v5, 4, v89
	s_delay_alu instid0(VALU_DEP_3) | instskip(NEXT) | instid1(VALU_DEP_3)
	v_lshlrev_b64 v[1:2], 1, v[1:2]
	v_lshlrev_b64 v[3:4], 1, v[3:4]
	s_delay_alu instid0(VALU_DEP_2) | instskip(NEXT) | instid1(VALU_DEP_3)
	v_add_co_u32 v1, vcc_lo, s63, v1
	v_add_co_ci_u32_e32 v2, vcc_lo, s68, v2, vcc_lo
	s_delay_alu instid0(VALU_DEP_3) | instskip(NEXT) | instid1(VALU_DEP_4)
	v_add_co_u32 v3, vcc_lo, s63, v3
	v_add_co_ci_u32_e32 v4, vcc_lo, s68, v4, vcc_lo
	s_delay_alu instid0(VALU_DEP_4) | instskip(NEXT) | instid1(VALU_DEP_4)
	v_add_co_u32 v41, vcc_lo, v1, v5
	v_add_co_ci_u32_e32 v42, vcc_lo, 0, v2, vcc_lo
	s_delay_alu instid0(VALU_DEP_4) | instskip(NEXT) | instid1(VALU_DEP_4)
	v_add_co_u32 v43, vcc_lo, v3, v5
	v_add_co_ci_u32_e32 v44, vcc_lo, 0, v4, vcc_lo
	s_clause 0xf
	global_load_b128 v[1:4], v[41:42], off
	global_load_b128 v[5:8], v[41:42], off offset:512
	global_load_b128 v[9:12], v[43:44], off offset:256
	;; [unrolled: 1-line block ×15, first 2 shown]
	v_mov_b32_e32 v48, s43
	v_dual_mov_b32 v44, s39 :: v_dual_mov_b32 v43, s38
	v_mov_b32_e32 v41, s36
	v_dual_mov_b32 v47, s42 :: v_dual_mov_b32 v46, s41
	v_dual_mov_b32 v45, s40 :: v_dual_mov_b32 v42, s37
	s_clause 0x2
	s_load_b32 s36, s[16:17], 0x0
	s_load_b32 s37, s[22:23], 0x0
	s_load_b32 s28, s[28:29], 0x0
	s_addc_u32 s29, s59, s3
	s_lshl_b64 s[2:3], s[18:19], 1
	s_lshl_b64 s[18:19], s[20:21], 1
	;; [unrolled: 1-line block ×4, first 2 shown]
	s_mul_hi_i32 s17, s56, s53
	s_mul_i32 s16, s56, s53
	s_lshl_b64 s[24:25], s[30:31], 1
	s_lshl_b64 s[16:17], s[16:17], 1
	v_add_co_ci_u32_e64 v137, null, s29, 0, s13
	v_add_co_u32 v49, vcc_lo, v136, s2
	s_delay_alu instid0(VALU_DEP_2)
	v_add_co_ci_u32_e32 v50, vcc_lo, s3, v137, vcc_lo
	v_add_co_u32 v51, vcc_lo, v136, s18
	s_waitcnt lgkmcnt(0)
	s_mul_hi_i32 s27, s36, s53
	s_mul_i32 s26, s36, s53
	v_add_co_ci_u32_e32 v52, vcc_lo, s19, v137, vcc_lo
	s_lshl_b64 s[26:27], s[26:27], 1
	v_add_co_u32 v53, vcc_lo, v136, s20
	v_add_co_ci_u32_e32 v54, vcc_lo, s21, v137, vcc_lo
	v_add_co_u32 v132, vcc_lo, v136, s22
	s_clause 0x5
	global_load_b128 v[65:68], v[49:50], off
	global_load_b128 v[69:72], v[49:50], off offset:16
	global_load_b128 v[57:60], v[51:52], off
	global_load_b128 v[61:64], v[51:52], off offset:16
	;; [unrolled: 2-line block ×3, first 2 shown]
	v_add_co_ci_u32_e32 v133, vcc_lo, s23, v137, vcc_lo
	v_add_co_u32 v134, vcc_lo, v136, s16
	s_mul_hi_i32 s3, s37, s53
	s_mul_i32 s2, s37, s53
	s_mul_i32 s16, s28, s53
	v_add_co_ci_u32_e32 v135, vcc_lo, s17, v137, vcc_lo
	s_lshl_b64 s[2:3], s[2:3], 1
	s_mul_hi_i32 s17, s28, s53
	s_waitcnt vmcnt(20)
	v_wmma_f32_16x16x16_bf16 v[124:131], v[1:8], v[41:48], v[116:123]
	v_add_co_u32 v1, vcc_lo, v136, s24
	s_waitcnt vmcnt(18)
	v_wmma_f32_16x16x16_bf16 v[116:123], v[9:16], v[41:48], v[116:123]
	v_add_co_ci_u32_e32 v2, vcc_lo, s25, v137, vcc_lo
	v_add_co_u32 v5, vcc_lo, v136, s26
	v_add_co_ci_u32_e32 v6, vcc_lo, s27, v137, vcc_lo
	s_waitcnt vmcnt(14)
	v_wmma_f32_16x16x16_bf16 v[116:123], v[25:32], v[100:107], v[116:123]
	v_add_co_u32 v25, vcc_lo, v136, s2
	v_add_co_ci_u32_e32 v26, vcc_lo, s3, v137, vcc_lo
	s_lshl_b64 s[2:3], s[16:17], 1
	v_wmma_f32_16x16x16_bf16 v[124:131], v[17:24], v[100:107], v[124:131]
	v_add_co_u32 v29, vcc_lo, v136, s2
	v_add_co_ci_u32_e32 v30, vcc_lo, s3, v137, vcc_lo
	s_clause 0x5
	global_load_b128 v[41:44], v[132:133], off
	global_load_b128 v[45:48], v[132:133], off offset:16
	global_load_b128 v[17:20], v[134:135], off
	global_load_b128 v[21:24], v[134:135], off offset:16
	;; [unrolled: 2-line block ×3, first 2 shown]
	s_waitcnt vmcnt(18)
	v_wmma_f32_16x16x16_bf16 v[124:131], v[33:40], v[108:115], v[124:131]
	s_clause 0x5
	global_load_b128 v[1:4], v[5:6], off
	global_load_b128 v[5:8], v[5:6], off offset:16
	global_load_b128 v[33:36], v[25:26], off
	global_load_b128 v[37:40], v[25:26], off offset:16
	;; [unrolled: 2-line block ×3, first 2 shown]
	s_waitcnt vmcnt(22)
	v_wmma_f32_16x16x16_bf16 v[116:123], v[92:99], v[108:115], v[116:123]
	v_dual_mov_b32 v99, s11 :: v_dual_mov_b32 v94, s6
	v_dual_mov_b32 v98, s10 :: v_dual_mov_b32 v97, s9
	v_mov_b32_e32 v92, s4
	v_dual_mov_b32 v96, s8 :: v_dual_mov_b32 v95, s7
	v_mov_b32_e32 v93, s5
	s_waitcnt vmcnt(0)
	s_barrier
	buffer_gl0_inv
	v_wmma_f32_16x16x16_bf16 v[124:131], v[81:88], v[92:99], v[124:131]
	v_and_b32_e32 v82, 0xe0, v0
	v_mbcnt_lo_u32_b32 v83, -1, 0
	v_bfe_u32 v81, v0, 4, 1
	s_delay_alu instid0(VALU_DEP_3) | instskip(NEXT) | instid1(VALU_DEP_3)
	v_add_nc_u32_e32 v82, s12, v82
	v_xor_b32_e32 v84, 16, v83
	v_wmma_f32_16x16x16_bf16 v[116:123], v[73:80], v[92:99], v[116:123]
	v_dual_mul_f32 v97, s35, v124 :: v_dual_mul_f32 v98, s35, v127
	s_delay_alu instid0(VALU_DEP_4) | instskip(NEXT) | instid1(VALU_DEP_4)
	v_or_b32_e32 v82, v82, v81
	v_cmp_gt_i32_e32 vcc_lo, 32, v84
	v_dual_mul_f32 v99, s35, v125 :: v_dual_mul_f32 v94, s35, v131
	v_dual_mul_f32 v95, s35, v130 :: v_dual_mul_f32 v96, s35, v129
	v_cndmask_b32_e32 v83, v83, v84, vcc_lo
	v_or_b32_e32 v84, 2, v82
	v_or_b32_e32 v85, 4, v82
	;; [unrolled: 1-line block ×3, first 2 shown]
	v_cmp_gt_i32_e32 vcc_lo, s33, v82
	v_or_b32_e32 v87, 8, v82
	v_cmp_gt_i32_e64 s2, s33, v84
	v_or_b32_e32 v88, 10, v82
	v_or_b32_e32 v73, 12, v82
	;; [unrolled: 1-line block ×11, first 2 shown]
	v_mul_f32_e32 v82, s35, v126
	v_cndmask_b32_e32 v97, 0xff7fffff, v97, vcc_lo
	v_cndmask_b32_e64 v84, 0xff7fffff, v99, s2
	v_cmp_gt_i32_e64 s3, s33, v85
	v_cmp_gt_i32_e64 s4, s33, v86
	v_mul_f32_e32 v86, s35, v128
	v_cmp_gt_i32_e64 s5, s33, v88
	v_max3_f32 v84, v97, 0xff7fffff, v84
	v_mul_f32_e32 v97, s35, v123
	v_cndmask_b32_e64 v82, 0xff7fffff, v82, s3
	v_cndmask_b32_e64 v85, 0xff7fffff, v98, s4
	v_cmp_gt_i32_e64 s6, s33, v87
	v_cndmask_b32_e64 v96, 0xff7fffff, v96, s5
	v_cmp_gt_i32_e64 s7, s33, v73
	v_cmp_gt_i32_e64 s8, s33, v74
	v_max3_f32 v82, v84, v82, v85
	v_cndmask_b32_e64 v86, 0xff7fffff, v86, s6
	v_dual_mul_f32 v88, s35, v118 :: v_dual_mul_f32 v87, s35, v117
	v_mul_f32_e32 v73, s35, v116
	v_cndmask_b32_e64 v95, 0xff7fffff, v95, s7
	v_cndmask_b32_e64 v74, 0xff7fffff, v94, s8
	v_max3_f32 v82, v82, v86, v96
	v_cmp_gt_i32_e64 s9, s33, v75
	v_cmp_gt_i32_e64 s10, s33, v76
	v_dual_mul_f32 v84, s35, v120 :: v_dual_mul_f32 v85, s35, v119
	s_delay_alu instid0(VALU_DEP_4) | instskip(NEXT) | instid1(VALU_DEP_4)
	v_max3_f32 v74, v82, v95, v74
	v_cndmask_b32_e64 v73, 0xff7fffff, v73, s9
	s_delay_alu instid0(VALU_DEP_4) | instskip(SKIP_3) | instid1(VALU_DEP_4)
	v_cndmask_b32_e64 v75, 0xff7fffff, v87, s10
	v_cmp_gt_i32_e64 s11, s33, v77
	v_cmp_gt_i32_e64 s12, s33, v78
	v_dual_mul_f32 v98, s35, v122 :: v_dual_mul_f32 v99, s35, v121
	v_max3_f32 v73, v74, v73, v75
	s_delay_alu instid0(VALU_DEP_4) | instskip(NEXT) | instid1(VALU_DEP_4)
	v_cndmask_b32_e64 v76, 0xff7fffff, v88, s11
	v_cndmask_b32_e64 v77, 0xff7fffff, v85, s12
	v_cmp_gt_i32_e64 s13, s33, v79
	v_cmp_gt_i32_e64 s16, s33, v80
	;; [unrolled: 1-line block ×4, first 2 shown]
	v_max3_f32 v73, v73, v76, v77
	v_cndmask_b32_e64 v74, 0xff7fffff, v84, s13
	v_cndmask_b32_e64 v75, 0xff7fffff, v99, s16
	;; [unrolled: 1-line block ×4, first 2 shown]
	v_lshlrev_b32_e32 v84, 2, v83
	s_delay_alu instid0(VALU_DEP_4) | instskip(NEXT) | instid1(VALU_DEP_1)
	v_max3_f32 v73, v73, v74, v75
	v_max3_f32 v73, v73, v76, v77
	ds_bpermute_b32 v74, v84, v73
	s_waitcnt lgkmcnt(0)
	v_max_f32_e32 v74, v74, v74
	s_delay_alu instid0(VALU_DEP_1) | instskip(NEXT) | instid1(VALU_DEP_1)
	v_max_f32_e32 v73, v73, v74
	v_fma_f32 v76, s35, v126, -v73
	s_delay_alu instid0(VALU_DEP_1)
	v_mul_f32_e32 v76, 0x3fb8aa3b, v76
	v_fma_f32 v74, s35, v124, -v73
	v_fma_f32 v75, s35, v125, -v73
	;; [unrolled: 1-line block ×4, first 2 shown]
	v_exp_f32_e32 v76, v76
	s_delay_alu instid0(VALU_DEP_3) | instskip(SKIP_2) | instid1(VALU_DEP_3)
	v_dual_mul_f32 v74, 0x3fb8aa3b, v74 :: v_dual_mul_f32 v75, 0x3fb8aa3b, v75
	v_fma_f32 v79, s35, v130, -v73
	v_fma_f32 v96, s35, v123, -v73
	v_exp_f32_e32 v74, v74
	s_delay_alu instid0(VALU_DEP_3) | instskip(SKIP_2) | instid1(TRANS32_DEP_3)
	v_exp_f32_e32 v75, v75
	v_mul_f32_e32 v77, 0x3fb8aa3b, v77
	v_mul_f32_e32 v79, 0x3fb8aa3b, v79
	v_cndmask_b32_e64 v87, 0, v76, s3
	v_fma_f32 v76, s35, v131, -v73
	s_mov_b32 s3, exec_lo
	s_delay_alu instid0(VALU_DEP_3) | instskip(NEXT) | instid1(TRANS32_DEP_3)
	v_exp_f32_e32 v79, v79
	v_cndmask_b32_e32 v86, 0, v74, vcc_lo
	v_fma_f32 v74, s35, v129, -v73
	s_delay_alu instid0(TRANS32_DEP_2)
	v_cndmask_b32_e64 v85, 0, v75, s2
	v_mul_f32_e32 v76, 0x3fb8aa3b, v76
	v_exp_f32_e32 v77, v77
	v_add_f32_e32 v75, 0, v86
	v_mul_f32_e32 v78, 0x3fb8aa3b, v78
	v_mul_f32_e32 v74, 0x3fb8aa3b, v74
	v_exp_f32_e32 v76, v76
	v_cndmask_b32_e64 v88, 0, v79, s7
	v_add_f32_e32 v75, v75, v85
	v_exp_f32_e32 v78, v78
	v_exp_f32_e32 v74, v74
	v_fma_f32 v79, s35, v119, -v73
	v_cndmask_b32_e64 v92, 0, v77, s4
	v_fma_f32 v77, s35, v116, -v73
	s_delay_alu instid0(TRANS32_DEP_3) | instskip(SKIP_2) | instid1(TRANS32_DEP_2)
	v_cndmask_b32_e64 v95, 0, v76, s8
	v_fma_f32 v76, s35, v120, -v73
	v_mul_f32_e32 v79, 0x3fb8aa3b, v79
	v_cndmask_b32_e64 v93, 0, v78, s6
	v_fma_f32 v78, s35, v117, -v73
	v_add_f32_e32 v75, v75, v87
	v_cndmask_b32_e64 v94, 0, v74, s5
	v_mul_f32_e32 v82, 0x3fb8aa3b, v76
	v_exp_f32_e32 v79, v79
	s_delay_alu instid0(VALU_DEP_3) | instskip(NEXT) | instid1(VALU_DEP_2)
	v_dual_mul_f32 v78, 0x3fb8aa3b, v78 :: v_dual_add_f32 v75, v75, v92
	v_exp_f32_e32 v82, v82
	s_delay_alu instid0(VALU_DEP_1) | instskip(NEXT) | instid1(VALU_DEP_1)
	v_exp_f32_e32 v78, v78
	v_add_f32_e32 v74, v75, v93
	v_fma_f32 v75, s35, v118, -v73
	s_delay_alu instid0(VALU_DEP_1)
	v_dual_mul_f32 v75, 0x3fb8aa3b, v75 :: v_dual_add_f32 v74, v74, v94
	v_mul_f32_e32 v77, 0x3fb8aa3b, v77
	s_waitcnt_depctr 0xfff
	v_cndmask_b32_e64 v76, 0, v78, s10
	v_fma_f32 v78, s35, v122, -v73
	v_exp_f32_e32 v80, v75
	v_add_f32_e32 v74, v74, v88
	v_exp_f32_e32 v77, v77
	s_waitcnt_depctr 0xfff
	v_cndmask_b32_e64 v75, 0, v77, s9
	v_fma_f32 v77, s35, v121, -v73
	s_delay_alu instid0(VALU_DEP_1) | instskip(NEXT) | instid1(VALU_DEP_1)
	v_dual_add_f32 v74, v74, v95 :: v_dual_mul_f32 v83, 0x3fb8aa3b, v77
	v_add_f32_e32 v74, v74, v75
	v_cndmask_b32_e64 v77, 0, v80, s11
	v_mul_f32_e32 v80, 0x3fb8aa3b, v78
	v_cndmask_b32_e64 v78, 0, v79, s12
	v_exp_f32_e32 v83, v83
	v_add_f32_e32 v74, v74, v76
	v_cndmask_b32_e64 v79, 0, v82, s13
	v_exp_f32_e32 v97, v80
	v_mul_f32_e32 v82, 0x3fb8aa3b, v96
	v_and_b32_e32 v96, 31, v0
	v_add_f32_e32 v74, v74, v77
	s_delay_alu instid0(TRANS32_DEP_2) | instskip(NEXT) | instid1(VALU_DEP_2)
	v_cndmask_b32_e64 v80, 0, v83, s16
	v_add_f32_e32 v74, v74, v78
	v_exp_f32_e32 v83, v82
	s_delay_alu instid0(TRANS32_DEP_2) | instskip(SKIP_1) | instid1(VALU_DEP_3)
	v_cndmask_b32_e64 v82, 0, v97, s17
	v_cmp_lt_u32_e64 s2, 15, v96
	v_add_f32_e32 v74, v74, v79
	s_delay_alu instid0(VALU_DEP_1) | instskip(SKIP_3) | instid1(VALU_DEP_1)
	v_add_f32_e32 v74, v74, v80
	s_waitcnt_depctr 0xfff
	v_cndmask_b32_e64 v83, 0, v83, s18
	v_add_f32_e32 v74, v74, v82
	v_add_f32_e32 v74, v74, v83
	ds_bpermute_b32 v84, v84, v74
	v_cmpx_gt_u32_e32 16, v96
	s_cbranch_execz .LBB534_11
; %bb.10:
	v_mul_u32_u24_e32 v96, 0x44, v91
	s_waitcnt lgkmcnt(0)
	v_add_f32_e32 v74, v74, v84
	s_delay_alu instid0(VALU_DEP_2) | instskip(NEXT) | instid1(VALU_DEP_1)
	v_lshl_add_u32 v96, v89, 2, v96
	v_add_nc_u32_e32 v84, 0x4000, v96
	ds_store_2addr_b32 v84, v73, v74 offset1:136
.LBB534_11:
	s_or_b32 exec_lo, exec_lo, s3
	v_lshlrev_b32_e32 v73, 2, v89
	s_waitcnt lgkmcnt(0)
	s_barrier
	buffer_gl0_inv
	v_cmp_eq_u32_e64 s3, 1, v91
	v_add_nc_u32_e32 v84, 0x4000, v73
	ds_load_2addr_b32 v[96:97], v84 offset1:17
	ds_load_2addr_b32 v[98:99], v84 offset0:34 offset1:51
	ds_load_2addr_b32 v[100:101], v84 offset0:68 offset1:85
	;; [unrolled: 1-line block ×4, first 2 shown]
	s_waitcnt lgkmcnt(4)
	v_max3_f32 v73, v96, 0xff7fffff, v97
	s_waitcnt lgkmcnt(3)
	s_delay_alu instid0(VALU_DEP_1) | instskip(SKIP_1) | instid1(VALU_DEP_1)
	v_max3_f32 v73, v73, v98, v99
	s_waitcnt lgkmcnt(2)
	v_max3_f32 v73, v73, v100, v101
	s_waitcnt lgkmcnt(1)
	s_delay_alu instid0(VALU_DEP_1) | instskip(NEXT) | instid1(VALU_DEP_1)
	v_max3_f32 v73, v73, v102, v103
	v_sub_f32_e32 v74, v96, v73
	v_sub_f32_e32 v98, v98, v73
	;; [unrolled: 1-line block ×3, first 2 shown]
	s_delay_alu instid0(VALU_DEP_3) | instskip(NEXT) | instid1(VALU_DEP_3)
	v_mul_f32_e32 v74, 0x3fb8aa3b, v74
	v_mul_f32_e32 v108, 0x3fb8aa3b, v98
	s_delay_alu instid0(VALU_DEP_3) | instskip(NEXT) | instid1(VALU_DEP_3)
	v_mul_f32_e32 v110, 0x3fb8aa3b, v100
	v_exp_f32_e32 v107, v74
	v_sub_f32_e32 v74, v99, v73
	v_sub_f32_e32 v106, v97, v73
	ds_load_2addr_b32 v[96:97], v84 offset0:170 offset1:187
	ds_load_2addr_b32 v[98:99], v84 offset0:204 offset1:221
	v_exp_f32_e32 v108, v108
	v_mul_f32_e32 v109, 0x3fb8aa3b, v74
	v_mul_f32_e32 v106, 0x3fb8aa3b, v106
	s_waitcnt lgkmcnt(2)
	v_fma_f32 v74, v107, v104, 0
	v_sub_f32_e32 v104, v101, v73
	s_delay_alu instid0(VALU_DEP_3)
	v_exp_f32_e32 v106, v106
	v_exp_f32_e32 v109, v109
	ds_load_2addr_b32 v[100:101], v84 offset0:238 offset1:255
	v_sub_f32_e32 v84, v102, v73
	v_mul_f32_e32 v102, 0x3fb8aa3b, v104
	v_exp_f32_e32 v104, v110
	s_waitcnt lgkmcnt(0)
	s_barrier
	v_mul_f32_e32 v84, 0x3fb8aa3b, v84
	v_exp_f32_e32 v102, v102
	v_fmac_f32_e32 v74, v106, v105
	buffer_gl0_inv
	v_exp_f32_e32 v84, v84
	v_fmac_f32_e32 v74, v108, v96
	v_sub_f32_e32 v96, v103, v73
	s_delay_alu instid0(VALU_DEP_2) | instskip(NEXT) | instid1(VALU_DEP_2)
	v_fmac_f32_e32 v74, v109, v97
	v_mul_f32_e32 v96, 0x3fb8aa3b, v96
	s_delay_alu instid0(VALU_DEP_2) | instskip(NEXT) | instid1(VALU_DEP_2)
	v_fmac_f32_e32 v74, v104, v98
	v_exp_f32_e32 v96, v96
	s_delay_alu instid0(VALU_DEP_1)
	v_fmac_f32_e32 v74, v102, v99
	s_delay_alu instid0(TRANS32_DEP_2) | instid1(VALU_DEP_1)
	v_fmac_f32_e32 v74, v84, v100
	s_waitcnt_depctr 0xfff
	v_fmac_f32_e32 v74, v96, v101
	s_delay_alu instid0(VALU_DEP_1) | instskip(NEXT) | instid1(VALU_DEP_1)
	v_add_f32_e32 v97, 0x358637bd, v74
	v_div_scale_f32 v98, null, v97, v97, 1.0
	v_div_scale_f32 v101, vcc_lo, 1.0, v97, 1.0
	s_delay_alu instid0(VALU_DEP_2) | instskip(SKIP_2) | instid1(VALU_DEP_1)
	v_rcp_f32_e32 v99, v98
	s_waitcnt_depctr 0xfff
	v_fma_f32 v100, -v98, v99, 1.0
	v_fmac_f32_e32 v99, v100, v99
	v_cndmask_b32_e64 v100, v107, v106, s3
	v_cmp_eq_u32_e64 s3, 2, v91
	s_delay_alu instid0(VALU_DEP_3) | instskip(NEXT) | instid1(VALU_DEP_2)
	v_mul_f32_e32 v103, v101, v99
	v_cndmask_b32_e64 v100, v100, v108, s3
	v_cmp_eq_u32_e64 s3, 3, v91
	s_delay_alu instid0(VALU_DEP_3) | instskip(NEXT) | instid1(VALU_DEP_2)
	v_fma_f32 v105, -v98, v103, v101
	v_cndmask_b32_e64 v100, v100, v109, s3
	v_cmp_eq_u32_e64 s3, 4, v91
	s_delay_alu instid0(VALU_DEP_3) | instskip(NEXT) | instid1(VALU_DEP_2)
	v_fmac_f32_e32 v103, v105, v99
	v_cndmask_b32_e64 v100, v100, v104, s3
	s_delay_alu instid0(VALU_DEP_2) | instskip(SKIP_1) | instid1(VALU_DEP_2)
	v_fma_f32 v98, -v98, v103, v101
	v_cmp_eq_u32_e64 s3, 5, v91
	v_div_fmas_f32 v98, v98, v99, v103
	s_delay_alu instid0(VALU_DEP_2) | instskip(SKIP_2) | instid1(VALU_DEP_3)
	v_cndmask_b32_e64 v100, v100, v102, s3
	v_cmp_eq_u32_e32 vcc_lo, 6, v91
	s_mov_b32 s3, exec_lo
	v_div_fixup_f32 v97, v98, v97, 1.0
	s_delay_alu instid0(VALU_DEP_3) | instskip(SKIP_1) | instid1(VALU_DEP_2)
	v_cndmask_b32_e32 v84, v100, v84, vcc_lo
	v_cmp_eq_u32_e32 vcc_lo, 7, v91
	v_cndmask_b32_e32 v84, v84, v96, vcc_lo
	s_delay_alu instid0(VALU_DEP_1) | instskip(NEXT) | instid1(VALU_DEP_1)
	v_mul_f32_e32 v84, v84, v97
	v_mul_f32_e32 v97, v84, v86
	v_mul_f32_e32 v86, v84, v95
	v_mul_f32_e32 v88, v84, v88
	v_mul_f32_e32 v94, v84, v94
	v_mul_f32_e32 v95, v84, v93
	v_dual_mul_f32 v93, v84, v87 :: v_dual_and_b32 v98, 0x7f800000, v97
	v_mul_f32_e32 v96, v84, v92
	v_mul_f32_e32 v92, v84, v85
                                        ; implicit-def: $vgpr85
	s_delay_alu instid0(VALU_DEP_3)
	v_cmpx_ne_u32_e32 0x7f800000, v98
	s_xor_b32 s3, exec_lo, s3
; %bb.12:
	v_bfe_u32 v85, v97, 16, 1
	s_delay_alu instid0(VALU_DEP_1)
	v_add3_u32 v85, v97, v85, 0x7fff
                                        ; implicit-def: $vgpr97
; %bb.13:
	s_and_not1_saveexec_b32 s3, s3
; %bb.14:
	v_and_b32_e32 v85, 0xffff, v97
	v_or_b32_e32 v87, 0x10000, v97
	s_delay_alu instid0(VALU_DEP_2) | instskip(NEXT) | instid1(VALU_DEP_2)
	v_cmp_eq_u32_e32 vcc_lo, 0, v85
	v_cndmask_b32_e32 v85, v87, v97, vcc_lo
; %bb.15:
	s_or_b32 exec_lo, exec_lo, s3
	v_and_b32_e32 v87, 0x7f800000, v92
	s_delay_alu instid0(VALU_DEP_1) | instskip(SKIP_1) | instid1(SALU_CYCLE_1)
	v_cmp_ne_u32_e32 vcc_lo, 0x7f800000, v87
                                        ; implicit-def: $vgpr87
	s_and_saveexec_b32 s3, vcc_lo
	s_xor_b32 s3, exec_lo, s3
; %bb.16:
	v_bfe_u32 v87, v92, 16, 1
	s_delay_alu instid0(VALU_DEP_1)
	v_add3_u32 v87, v92, v87, 0x7fff
                                        ; implicit-def: $vgpr92
; %bb.17:
	s_and_not1_saveexec_b32 s3, s3
; %bb.18:
	v_and_b32_e32 v87, 0xffff, v92
	v_or_b32_e32 v97, 0x10000, v92
	s_delay_alu instid0(VALU_DEP_2) | instskip(NEXT) | instid1(VALU_DEP_2)
	v_cmp_eq_u32_e32 vcc_lo, 0, v87
	v_cndmask_b32_e32 v87, v97, v92, vcc_lo
; %bb.19:
	s_or_b32 exec_lo, exec_lo, s3
	v_and_b32_e32 v92, 0x7f800000, v93
	s_delay_alu instid0(VALU_DEP_1) | instskip(SKIP_1) | instid1(SALU_CYCLE_1)
	v_cmp_ne_u32_e32 vcc_lo, 0x7f800000, v92
                                        ; implicit-def: $vgpr92
	s_and_saveexec_b32 s3, vcc_lo
	s_xor_b32 s3, exec_lo, s3
; %bb.20:
	v_bfe_u32 v92, v93, 16, 1
	s_delay_alu instid0(VALU_DEP_1)
	v_add3_u32 v92, v93, v92, 0x7fff
                                        ; implicit-def: $vgpr93
; %bb.21:
	s_and_not1_saveexec_b32 s3, s3
; %bb.22:
	v_and_b32_e32 v92, 0xffff, v93
	v_or_b32_e32 v97, 0x10000, v93
	s_delay_alu instid0(VALU_DEP_2) | instskip(NEXT) | instid1(VALU_DEP_2)
	v_cmp_eq_u32_e32 vcc_lo, 0, v92
	v_cndmask_b32_e32 v92, v97, v93, vcc_lo
; %bb.23:
	s_or_b32 exec_lo, exec_lo, s3
	v_and_b32_e32 v93, 0x7f800000, v96
	s_delay_alu instid0(VALU_DEP_1) | instskip(SKIP_1) | instid1(SALU_CYCLE_1)
	v_cmp_ne_u32_e32 vcc_lo, 0x7f800000, v93
                                        ; implicit-def: $vgpr93
	s_and_saveexec_b32 s3, vcc_lo
	s_xor_b32 s3, exec_lo, s3
; %bb.24:
	v_bfe_u32 v93, v96, 16, 1
	s_delay_alu instid0(VALU_DEP_1)
	v_add3_u32 v93, v96, v93, 0x7fff
                                        ; implicit-def: $vgpr96
; %bb.25:
	s_and_not1_saveexec_b32 s3, s3
; %bb.26:
	v_and_b32_e32 v93, 0xffff, v96
	v_or_b32_e32 v97, 0x10000, v96
	s_delay_alu instid0(VALU_DEP_2) | instskip(NEXT) | instid1(VALU_DEP_2)
	v_cmp_eq_u32_e32 vcc_lo, 0, v93
	v_cndmask_b32_e32 v93, v97, v96, vcc_lo
; %bb.27:
	s_or_b32 exec_lo, exec_lo, s3
	v_and_b32_e32 v96, 0x7f800000, v95
	s_delay_alu instid0(VALU_DEP_1) | instskip(SKIP_1) | instid1(SALU_CYCLE_1)
	v_cmp_ne_u32_e32 vcc_lo, 0x7f800000, v96
                                        ; implicit-def: $vgpr96
	s_and_saveexec_b32 s3, vcc_lo
	s_xor_b32 s3, exec_lo, s3
; %bb.28:
	v_bfe_u32 v96, v95, 16, 1
	s_delay_alu instid0(VALU_DEP_1)
	v_add3_u32 v96, v95, v96, 0x7fff
                                        ; implicit-def: $vgpr95
; %bb.29:
	s_and_not1_saveexec_b32 s3, s3
; %bb.30:
	v_and_b32_e32 v96, 0xffff, v95
	v_or_b32_e32 v97, 0x10000, v95
	s_delay_alu instid0(VALU_DEP_2) | instskip(NEXT) | instid1(VALU_DEP_2)
	v_cmp_eq_u32_e32 vcc_lo, 0, v96
	v_cndmask_b32_e32 v96, v97, v95, vcc_lo
; %bb.31:
	s_or_b32 exec_lo, exec_lo, s3
	v_and_b32_e32 v95, 0x7f800000, v94
	s_delay_alu instid0(VALU_DEP_1) | instskip(SKIP_1) | instid1(SALU_CYCLE_1)
	v_cmp_ne_u32_e32 vcc_lo, 0x7f800000, v95
                                        ; implicit-def: $vgpr95
	s_and_saveexec_b32 s3, vcc_lo
	s_xor_b32 s3, exec_lo, s3
; %bb.32:
	v_bfe_u32 v95, v94, 16, 1
	s_delay_alu instid0(VALU_DEP_1)
	v_add3_u32 v95, v94, v95, 0x7fff
                                        ; implicit-def: $vgpr94
; %bb.33:
	s_and_not1_saveexec_b32 s3, s3
; %bb.34:
	v_and_b32_e32 v95, 0xffff, v94
	v_or_b32_e32 v97, 0x10000, v94
	s_delay_alu instid0(VALU_DEP_2) | instskip(NEXT) | instid1(VALU_DEP_2)
	v_cmp_eq_u32_e32 vcc_lo, 0, v95
	v_cndmask_b32_e32 v95, v97, v94, vcc_lo
; %bb.35:
	s_or_b32 exec_lo, exec_lo, s3
	v_and_b32_e32 v94, 0x7f800000, v88
	s_delay_alu instid0(VALU_DEP_1) | instskip(SKIP_1) | instid1(SALU_CYCLE_1)
	v_cmp_ne_u32_e32 vcc_lo, 0x7f800000, v94
                                        ; implicit-def: $vgpr94
	s_and_saveexec_b32 s3, vcc_lo
	s_xor_b32 s3, exec_lo, s3
; %bb.36:
	v_bfe_u32 v94, v88, 16, 1
	s_delay_alu instid0(VALU_DEP_1)
	v_add3_u32 v94, v88, v94, 0x7fff
                                        ; implicit-def: $vgpr88
; %bb.37:
	s_and_not1_saveexec_b32 s3, s3
; %bb.38:
	v_and_b32_e32 v94, 0xffff, v88
	v_or_b32_e32 v97, 0x10000, v88
	s_delay_alu instid0(VALU_DEP_2) | instskip(NEXT) | instid1(VALU_DEP_2)
	v_cmp_eq_u32_e32 vcc_lo, 0, v94
	v_cndmask_b32_e32 v94, v97, v88, vcc_lo
; %bb.39:
	s_or_b32 exec_lo, exec_lo, s3
	v_and_b32_e32 v88, 0x7f800000, v86
	s_delay_alu instid0(VALU_DEP_1) | instskip(SKIP_1) | instid1(SALU_CYCLE_1)
	v_cmp_ne_u32_e32 vcc_lo, 0x7f800000, v88
                                        ; implicit-def: $vgpr88
	s_and_saveexec_b32 s3, vcc_lo
	s_xor_b32 s3, exec_lo, s3
; %bb.40:
	v_bfe_u32 v88, v86, 16, 1
	s_delay_alu instid0(VALU_DEP_1)
	v_add3_u32 v88, v86, v88, 0x7fff
                                        ; implicit-def: $vgpr86
; %bb.41:
	s_and_not1_saveexec_b32 s3, s3
; %bb.42:
	v_and_b32_e32 v88, 0xffff, v86
	v_or_b32_e32 v97, 0x10000, v86
	s_delay_alu instid0(VALU_DEP_2) | instskip(NEXT) | instid1(VALU_DEP_2)
	v_cmp_eq_u32_e32 vcc_lo, 0, v88
	v_cndmask_b32_e32 v88, v97, v86, vcc_lo
; %bb.43:
	s_or_b32 exec_lo, exec_lo, s3
	s_load_b64 s[36:37], s[0:1], 0x94
	v_lshlrev_b32_e32 v86, 4, v81
	s_delay_alu instid0(VALU_DEP_2)
	v_perm_b32 v97, v88, v94, 0x7060302
	v_lshlrev_b32_e32 v88, 11, v91
	v_perm_b32 v94, v87, v85, 0x7060302
	v_mul_f32_e32 v85, v84, v78
	v_mul_f32_e32 v87, v84, v75
	v_perm_b32 v96, v95, v96, 0x7060302
	v_perm_b32 v95, v93, v92, 0x7060302
	v_or3_b32 v75, v86, v88, v90
	v_mul_f32_e32 v83, v84, v83
	v_mul_f32_e32 v82, v84, v82
	v_mul_f32_e32 v80, v84, v80
	v_and_b32_e32 v88, 0x7f800000, v87
	v_mul_f32_e32 v79, v84, v79
	v_mul_f32_e32 v86, v84, v77
	;; [unrolled: 1-line block ×3, first 2 shown]
	s_mov_b32 s3, exec_lo
	ds_store_b128 v75, v[94:97]
                                        ; implicit-def: $vgpr76
	v_cmpx_ne_u32_e32 0x7f800000, v88
	s_xor_b32 s3, exec_lo, s3
; %bb.44:
	v_bfe_u32 v76, v87, 16, 1
	s_delay_alu instid0(VALU_DEP_1)
	v_add3_u32 v76, v87, v76, 0x7fff
                                        ; implicit-def: $vgpr87
; %bb.45:
	s_and_not1_saveexec_b32 s3, s3
; %bb.46:
	v_and_b32_e32 v76, 0xffff, v87
	v_or_b32_e32 v77, 0x10000, v87
	s_delay_alu instid0(VALU_DEP_2) | instskip(NEXT) | instid1(VALU_DEP_2)
	v_cmp_eq_u32_e32 vcc_lo, 0, v76
	v_cndmask_b32_e32 v76, v77, v87, vcc_lo
; %bb.47:
	s_or_b32 exec_lo, exec_lo, s3
	v_and_b32_e32 v77, 0x7f800000, v78
	s_delay_alu instid0(VALU_DEP_1) | instskip(SKIP_1) | instid1(SALU_CYCLE_1)
	v_cmp_ne_u32_e32 vcc_lo, 0x7f800000, v77
                                        ; implicit-def: $vgpr77
	s_and_saveexec_b32 s3, vcc_lo
	s_xor_b32 s3, exec_lo, s3
; %bb.48:
	v_bfe_u32 v77, v78, 16, 1
	s_delay_alu instid0(VALU_DEP_1)
	v_add3_u32 v77, v78, v77, 0x7fff
                                        ; implicit-def: $vgpr78
; %bb.49:
	s_and_not1_saveexec_b32 s3, s3
; %bb.50:
	v_and_b32_e32 v77, 0xffff, v78
	v_or_b32_e32 v84, 0x10000, v78
	s_delay_alu instid0(VALU_DEP_2) | instskip(NEXT) | instid1(VALU_DEP_2)
	v_cmp_eq_u32_e32 vcc_lo, 0, v77
	v_cndmask_b32_e32 v77, v84, v78, vcc_lo
; %bb.51:
	s_or_b32 exec_lo, exec_lo, s3
	v_and_b32_e32 v78, 0x7f800000, v86
	s_delay_alu instid0(VALU_DEP_1) | instskip(SKIP_1) | instid1(SALU_CYCLE_1)
	v_cmp_ne_u32_e32 vcc_lo, 0x7f800000, v78
                                        ; implicit-def: $vgpr78
	s_and_saveexec_b32 s3, vcc_lo
	s_xor_b32 s3, exec_lo, s3
; %bb.52:
	v_bfe_u32 v78, v86, 16, 1
	s_delay_alu instid0(VALU_DEP_1)
	v_add3_u32 v78, v86, v78, 0x7fff
                                        ; implicit-def: $vgpr86
; %bb.53:
	s_and_not1_saveexec_b32 s3, s3
; %bb.54:
	v_and_b32_e32 v78, 0xffff, v86
	v_or_b32_e32 v84, 0x10000, v86
	s_delay_alu instid0(VALU_DEP_2) | instskip(NEXT) | instid1(VALU_DEP_2)
	v_cmp_eq_u32_e32 vcc_lo, 0, v78
	v_cndmask_b32_e32 v78, v84, v86, vcc_lo
; %bb.55:
	s_or_b32 exec_lo, exec_lo, s3
	v_and_b32_e32 v84, 0x7f800000, v85
	s_delay_alu instid0(VALU_DEP_1) | instskip(SKIP_1) | instid1(SALU_CYCLE_1)
	v_cmp_ne_u32_e32 vcc_lo, 0x7f800000, v84
                                        ; implicit-def: $vgpr84
	s_and_saveexec_b32 s3, vcc_lo
	s_xor_b32 s3, exec_lo, s3
; %bb.56:
	v_bfe_u32 v84, v85, 16, 1
	s_delay_alu instid0(VALU_DEP_1)
	v_add3_u32 v84, v85, v84, 0x7fff
                                        ; implicit-def: $vgpr85
; %bb.57:
	s_and_not1_saveexec_b32 s3, s3
; %bb.58:
	v_and_b32_e32 v84, 0xffff, v85
	v_or_b32_e32 v86, 0x10000, v85
	s_delay_alu instid0(VALU_DEP_2) | instskip(NEXT) | instid1(VALU_DEP_2)
	v_cmp_eq_u32_e32 vcc_lo, 0, v84
	v_cndmask_b32_e32 v84, v86, v85, vcc_lo
; %bb.59:
	s_or_b32 exec_lo, exec_lo, s3
	v_and_b32_e32 v85, 0x7f800000, v79
	s_delay_alu instid0(VALU_DEP_1) | instskip(SKIP_1) | instid1(SALU_CYCLE_1)
	v_cmp_ne_u32_e32 vcc_lo, 0x7f800000, v85
                                        ; implicit-def: $vgpr85
	s_and_saveexec_b32 s3, vcc_lo
	s_xor_b32 s3, exec_lo, s3
; %bb.60:
	v_bfe_u32 v85, v79, 16, 1
	s_delay_alu instid0(VALU_DEP_1)
	v_add3_u32 v85, v79, v85, 0x7fff
                                        ; implicit-def: $vgpr79
; %bb.61:
	s_and_not1_saveexec_b32 s3, s3
; %bb.62:
	v_and_b32_e32 v85, 0xffff, v79
	v_or_b32_e32 v86, 0x10000, v79
	s_delay_alu instid0(VALU_DEP_2) | instskip(NEXT) | instid1(VALU_DEP_2)
	v_cmp_eq_u32_e32 vcc_lo, 0, v85
	v_cndmask_b32_e32 v85, v86, v79, vcc_lo
; %bb.63:
	s_or_b32 exec_lo, exec_lo, s3
	v_and_b32_e32 v79, 0x7f800000, v80
	s_delay_alu instid0(VALU_DEP_1) | instskip(SKIP_1) | instid1(SALU_CYCLE_1)
	v_cmp_ne_u32_e32 vcc_lo, 0x7f800000, v79
                                        ; implicit-def: $vgpr79
	s_and_saveexec_b32 s3, vcc_lo
	s_xor_b32 s3, exec_lo, s3
; %bb.64:
	v_bfe_u32 v79, v80, 16, 1
	s_delay_alu instid0(VALU_DEP_1)
	v_add3_u32 v79, v80, v79, 0x7fff
                                        ; implicit-def: $vgpr80
; %bb.65:
	s_and_not1_saveexec_b32 s3, s3
; %bb.66:
	v_and_b32_e32 v79, 0xffff, v80
	v_or_b32_e32 v86, 0x10000, v80
	s_delay_alu instid0(VALU_DEP_2) | instskip(NEXT) | instid1(VALU_DEP_2)
	v_cmp_eq_u32_e32 vcc_lo, 0, v79
	v_cndmask_b32_e32 v79, v86, v80, vcc_lo
; %bb.67:
	s_or_b32 exec_lo, exec_lo, s3
	v_and_b32_e32 v80, 0x7f800000, v82
	s_delay_alu instid0(VALU_DEP_1) | instskip(SKIP_1) | instid1(SALU_CYCLE_1)
	v_cmp_ne_u32_e32 vcc_lo, 0x7f800000, v80
                                        ; implicit-def: $vgpr80
	s_and_saveexec_b32 s3, vcc_lo
	s_xor_b32 s3, exec_lo, s3
; %bb.68:
	v_bfe_u32 v80, v82, 16, 1
	s_delay_alu instid0(VALU_DEP_1)
	v_add3_u32 v80, v82, v80, 0x7fff
                                        ; implicit-def: $vgpr82
; %bb.69:
	s_and_not1_saveexec_b32 s3, s3
; %bb.70:
	v_and_b32_e32 v80, 0xffff, v82
	v_or_b32_e32 v86, 0x10000, v82
	s_delay_alu instid0(VALU_DEP_2) | instskip(NEXT) | instid1(VALU_DEP_2)
	v_cmp_eq_u32_e32 vcc_lo, 0, v80
	v_cndmask_b32_e32 v80, v86, v82, vcc_lo
; %bb.71:
	s_or_b32 exec_lo, exec_lo, s3
	v_and_b32_e32 v82, 0x7f800000, v83
	s_delay_alu instid0(VALU_DEP_1) | instskip(SKIP_1) | instid1(SALU_CYCLE_1)
	v_cmp_ne_u32_e32 vcc_lo, 0x7f800000, v82
                                        ; implicit-def: $vgpr82
	s_and_saveexec_b32 s3, vcc_lo
	s_xor_b32 s3, exec_lo, s3
; %bb.72:
	v_bfe_u32 v82, v83, 16, 1
	s_delay_alu instid0(VALU_DEP_1)
	v_add3_u32 v82, v83, v82, 0x7fff
                                        ; implicit-def: $vgpr83
; %bb.73:
	s_and_not1_saveexec_b32 s3, s3
; %bb.74:
	v_and_b32_e32 v82, 0xffff, v83
	v_or_b32_e32 v86, 0x10000, v83
	s_delay_alu instid0(VALU_DEP_2) | instskip(NEXT) | instid1(VALU_DEP_2)
	v_cmp_eq_u32_e32 vcc_lo, 0, v82
	v_cndmask_b32_e32 v82, v86, v83, vcc_lo
; %bb.75:
	s_or_b32 exec_lo, exec_lo, s3
	s_delay_alu instid0(VALU_DEP_1)
	v_perm_b32 v80, v82, v80, 0x7060302
	v_perm_b32 v79, v79, v85, 0x7060302
	;; [unrolled: 1-line block ×4, first 2 shown]
	v_lshl_or_b32 v86, v91, 11, v90
	ds_store_b128 v75, v[77:80] offset:1024
	s_waitcnt lgkmcnt(0)
	s_barrier
	buffer_gl0_inv
	ds_load_b128 v[76:79], v86
	ds_load_b128 v[91:94], v86 offset:16
	s_waitcnt lgkmcnt(1)
	v_lshrrev_b32_e32 v103, 16, v79
	v_lshlrev_b32_e32 v83, 2, v81
	v_lshrrev_b32_e32 v80, 16, v76
	s_waitcnt lgkmcnt(0)
	v_lshrrev_b32_e32 v99, 16, v91
	v_lshrrev_b32_e32 v106, 16, v94
	;; [unrolled: 1-line block ×3, first 2 shown]
	v_or_b32_e32 v84, 1, v83
	v_cmp_eq_u32_e32 vcc_lo, 1, v83
	v_cmp_eq_u32_e64 s4, 2, v83
	v_lshrrev_b32_e32 v104, 16, v92
	v_cmp_eq_u32_e64 s7, 3, v83
	v_cmp_eq_u32_e64 s3, 1, v84
	v_cndmask_b32_e32 v85, v76, v80, vcc_lo
	v_cndmask_b32_e32 v95, v91, v99, vcc_lo
	v_cmp_eq_u32_e64 s6, 2, v84
	v_cmp_eq_u32_e64 s8, 3, v84
	v_cndmask_b32_e64 v96, v76, v80, s3
	v_cndmask_b32_e64 v85, v85, v77, s4
	;; [unrolled: 1-line block ×3, first 2 shown]
	v_cmp_eq_u32_e64 s9, 4, v83
	v_or_b32_e32 v82, 2, v83
	v_cndmask_b32_e64 v96, v96, v77, s6
	v_cndmask_b32_e64 v85, v85, v87, s7
	v_cndmask_b32_e64 v95, v95, v104, s7
	v_lshrrev_b32_e32 v88, 16, v78
	v_lshrrev_b32_e32 v105, 16, v93
	v_cndmask_b32_e64 v97, v91, v99, s3
	v_cndmask_b32_e64 v96, v96, v87, s8
	;; [unrolled: 1-line block ×3, first 2 shown]
	v_cmp_eq_u32_e64 s10, 5, v83
	v_cndmask_b32_e64 v95, v95, v93, s9
	v_cmp_eq_u32_e64 s11, 4, v84
	v_cmp_eq_u32_e64 s5, 1, v82
	v_cndmask_b32_e64 v97, v97, v92, s6
	v_cndmask_b32_e64 v85, v85, v88, s10
	v_cmp_eq_u32_e64 s12, 6, v83
	v_cndmask_b32_e64 v96, v96, v78, s11
	v_cndmask_b32_e64 v95, v95, v105, s10
	;; [unrolled: 3-line block ×3, first 2 shown]
	v_cndmask_b32_e64 v85, v85, v79, s12
	v_cmp_eq_u32_e64 s16, 7, v83
	v_cndmask_b32_e64 v96, v96, v88, s13
	v_cndmask_b32_e64 v95, v95, v94, s12
	v_cmp_eq_u32_e64 s17, 6, v84
	v_cmp_eq_u32_e64 s18, 2, v82
	v_cndmask_b32_e64 v97, v97, v93, s11
	v_cndmask_b32_e64 v107, v85, v103, s16
	;; [unrolled: 1-line block ×6, first 2 shown]
	v_cmp_eq_u32_e64 s19, 7, v84
	v_cmp_eq_u32_e64 s20, 3, v82
	;; [unrolled: 1-line block ×4, first 2 shown]
	v_cndmask_b32_e64 v95, v95, v92, s18
	v_cndmask_b32_e64 v109, v96, v103, s19
	;; [unrolled: 1-line block ×4, first 2 shown]
	v_or_b32_e32 v85, 3, v83
	v_cndmask_b32_e64 v101, v95, v104, s20
	v_cmp_eq_u32_e64 s25, 6, v82
	v_cndmask_b32_e64 v110, v96, v94, s17
	v_cndmask_b32_e64 v100, v97, v78, s21
	ds_load_b128 v[95:98], v86 offset:1024
	v_cmp_eq_u32_e64 s22, 1, v85
	v_cmp_eq_u32_e64 s24, 2, v85
	;; [unrolled: 1-line block ×3, first 2 shown]
	v_cndmask_b32_e64 v111, v100, v88, s23
	v_cmp_eq_u32_e64 s27, 4, v85
	v_cndmask_b32_e64 v76, v76, v80, s22
	v_cndmask_b32_e64 v80, v101, v93, s21
	;; [unrolled: 1-line block ×3, first 2 shown]
	ds_load_b128 v[99:102], v86 offset:1040
	v_cmp_eq_u32_e64 s28, 7, v82
	v_cndmask_b32_e64 v76, v76, v77, s24
	v_cndmask_b32_e64 v77, v80, v105, s23
	;; [unrolled: 1-line block ×3, first 2 shown]
	v_cmp_eq_u32_e64 s29, 5, v85
	v_cmp_eq_u32_e64 s30, 6, v85
	v_cndmask_b32_e64 v76, v76, v87, s26
	v_cndmask_b32_e64 v87, v111, v79, s25
	;; [unrolled: 1-line block ×4, first 2 shown]
	s_waitcnt lgkmcnt(1)
	v_lshrrev_b32_e32 v92, 16, v95
	v_cndmask_b32_e64 v76, v76, v78, s27
	v_cndmask_b32_e64 v91, v110, v106, s19
	;; [unrolled: 1-line block ×4, first 2 shown]
	v_cndmask_b32_e32 v87, v95, v92, vcc_lo
	v_cndmask_b32_e64 v76, v76, v88, s29
	v_lshrrev_b32_e32 v93, 16, v96
	v_cndmask_b32_e64 v104, v95, v92, s3
	s_waitcnt lgkmcnt(0)
	v_lshrrev_b32_e32 v88, 16, v99
	v_cndmask_b32_e64 v87, v87, v96, s4
	v_cndmask_b32_e64 v78, v78, v105, s29
	;; [unrolled: 1-line block ×4, first 2 shown]
	v_cndmask_b32_e32 v105, v99, v88, vcc_lo
	v_cndmask_b32_e64 v79, v87, v93, s7
	v_cndmask_b32_e64 v87, v104, v96, s6
	;; [unrolled: 1-line block ×3, first 2 shown]
	v_lshrrev_b32_e32 v104, 16, v100
	v_cndmask_b32_e64 v94, v105, v100, s4
	v_cmp_eq_u32_e32 vcc_lo, 7, v85
	v_cndmask_b32_e64 v87, v87, v93, s8
	v_cndmask_b32_e64 v79, v79, v97, s9
	v_lshrrev_b32_e32 v105, 16, v97
	v_cndmask_b32_e64 v94, v94, v104, s7
	v_cndmask_b32_e32 v76, v76, v103, vcc_lo
	v_cndmask_b32_e32 v78, v78, v106, vcc_lo
	v_cndmask_b32_e64 v87, v87, v97, s11
	v_cndmask_b32_e64 v103, v79, v105, s10
	;; [unrolled: 1-line block ×3, first 2 shown]
	v_lshrrev_b32_e32 v106, 16, v101
	v_perm_b32 v79, v78, v76, 0x5040100
	v_cndmask_b32_e64 v76, v87, v105, s13
	v_cndmask_b32_e64 v87, v103, v98, s12
	v_lshrrev_b32_e32 v103, 16, v98
	v_cndmask_b32_e64 v94, v94, v106, s10
	v_perm_b32 v78, v77, v80, 0x5040100
	v_cndmask_b32_e64 v76, v76, v98, s17
	v_perm_b32 v77, v91, v109, 0x5040100
	v_cndmask_b32_e64 v80, v87, v103, s16
	v_cndmask_b32_e64 v87, v94, v102, s12
	;; [unrolled: 1-line block ×13, first 2 shown]
	v_lshrrev_b32_e32 v91, 16, v102
	v_cndmask_b32_e64 v76, v76, v93, s20
	v_cndmask_b32_e64 v92, v92, v93, s26
	;; [unrolled: 1-line block ×21, first 2 shown]
	v_cndmask_b32_e32 v92, v92, v103, vcc_lo
	v_cndmask_b32_e32 v93, v93, v91, vcc_lo
	v_cndmask_b32_e64 v96, v94, v91, s28
	v_cndmask_b32_e64 v88, v88, v91, s19
	;; [unrolled: 1-line block ×3, first 2 shown]
	v_perm_b32 v76, v108, v107, 0x5040100
	v_perm_b32 v94, v93, v92, 0x5040100
	;; [unrolled: 1-line block ×5, first 2 shown]
	s_mov_b32 s3, exec_lo
	ds_store_b128 v75, v[76:79]
	ds_store_b128 v75, v[91:94] offset:1024
	v_cmpx_eq_u32_e32 0, v0
	s_cbranch_execz .LBB534_77
; %bb.76:
	s_load_b128 s[4:7], s[0:1], 0x58
	s_mul_i32 s8, s37, s34
	v_mov_b32_e32 v75, 0
	s_add_i32 s8, s8, s15
	s_delay_alu instid0(SALU_CYCLE_1) | instskip(NEXT) | instid1(SALU_CYCLE_1)
	s_mul_i32 s8, s8, s36
	s_add_i32 s8, s8, s14
	s_delay_alu instid0(SALU_CYCLE_1) | instskip(NEXT) | instid1(SALU_CYCLE_1)
	s_ashr_i32 s9, s8, 31
	s_lshl_b64 s[8:9], s[8:9], 2
	s_waitcnt lgkmcnt(0)
	s_add_u32 s6, s6, s8
	s_addc_u32 s7, s7, s9
	s_add_u32 s4, s4, s8
	s_addc_u32 s5, s5, s9
	s_clause 0x1
	global_store_b32 v75, v73, s[6:7]
	global_store_b32 v75, v74, s[4:5]
.LBB534_77:
	s_or_b32 exec_lo, exec_lo, s3
	s_waitcnt lgkmcnt(0)
	s_waitcnt_vscnt null, 0x0
	s_barrier
	buffer_gl0_inv
	ds_load_b128 v[91:94], v90
	ds_load_b128 v[95:98], v90 offset:16
	ds_load_b128 v[103:106], v90 offset:1040
	;; [unrolled: 1-line block ×3, first 2 shown]
	v_mov_b32_e32 v73, 0
	ds_load_b128 v[111:114], v90 offset:2064
	ds_load_b128 v[107:110], v90 offset:2048
	;; [unrolled: 1-line block ×4, first 2 shown]
	v_mov_b32_e32 v74, v73
	v_mov_b32_e32 v75, v73
	;; [unrolled: 1-line block ×7, first 2 shown]
	s_waitcnt lgkmcnt(6)
	s_delay_alu instid0(VALU_DEP_1)
	v_wmma_f32_16x16x16_bf16 v[73:80], v[65:72], v[91:98], v[73:80]
	ds_load_b128 v[69:72], v90 offset:4112
	ds_load_b128 v[65:68], v90 offset:4096
	;; [unrolled: 1-line block ×4, first 2 shown]
	s_waitcnt lgkmcnt(8)
	v_wmma_f32_16x16x16_bf16 v[73:80], v[57:64], v[99:106], v[73:80]
	ds_load_b128 v[103:106], v90 offset:6160
	ds_load_b128 v[99:102], v90 offset:6144
	s_waitcnt lgkmcnt(8)
	v_wmma_f32_16x16x16_bf16 v[73:80], v[57:64], v[107:114], v[73:80]
	ds_load_b128 v[61:64], v90 offset:7184
	ds_load_b128 v[57:60], v90 offset:7168
	;; [unrolled: 1-line block ×4, first 2 shown]
	s_waitcnt lgkmcnt(10)
	v_wmma_f32_16x16x16_bf16 v[73:80], v[49:56], v[115:122], v[73:80]
	s_waitcnt lgkmcnt(8)
	s_delay_alu instid0(VALU_DEP_1)
	v_wmma_f32_16x16x16_bf16 v[73:80], v[49:56], v[65:72], v[73:80]
	ds_load_b128 v[53:56], v90 offset:9232
	ds_load_b128 v[49:52], v90 offset:9216
	;; [unrolled: 1-line block ×4, first 2 shown]
	s_waitcnt lgkmcnt(10)
	v_wmma_f32_16x16x16_bf16 v[73:80], v[41:48], v[91:98], v[73:80]
	s_waitcnt lgkmcnt(8)
	s_delay_alu instid0(VALU_DEP_1)
	v_wmma_f32_16x16x16_bf16 v[73:80], v[41:48], v[99:106], v[73:80]
	ds_load_b128 v[45:48], v90 offset:11280
	ds_load_b128 v[41:44], v90 offset:11264
	s_waitcnt lgkmcnt(8)
	v_wmma_f32_16x16x16_bf16 v[73:80], v[17:24], v[57:64], v[73:80]
	s_waitcnt lgkmcnt(6)
	s_delay_alu instid0(VALU_DEP_1)
	v_wmma_f32_16x16x16_bf16 v[73:80], v[17:24], v[107:114], v[73:80]
	ds_load_b128 v[21:24], v90 offset:12304
	ds_load_b128 v[17:20], v90 offset:12288
	s_waitcnt lgkmcnt(6)
	v_wmma_f32_16x16x16_bf16 v[73:80], v[9:16], v[49:56], v[73:80]
	ds_load_b128 v[53:56], v90 offset:13328
	ds_load_b128 v[49:52], v90 offset:13312
	s_waitcnt lgkmcnt(6)
	;; [unrolled: 4-line block ×4, first 2 shown]
	v_wmma_f32_16x16x16_bf16 v[73:80], v[1:8], v[17:24], v[73:80]
	s_waitcnt lgkmcnt(4)
	s_delay_alu instid0(VALU_DEP_1) | instskip(SKIP_1) | instid1(VALU_DEP_1)
	v_wmma_f32_16x16x16_bf16 v[73:80], v[33:40], v[49:56], v[73:80]
	s_waitcnt lgkmcnt(2)
	v_wmma_f32_16x16x16_bf16 v[73:80], v[33:40], v[9:16], v[73:80]
	s_waitcnt lgkmcnt(0)
	s_delay_alu instid0(VALU_DEP_1) | instskip(NEXT) | instid1(VALU_DEP_1)
	v_wmma_f32_16x16x16_bf16 v[73:80], v[25:32], v[41:48], v[73:80]
	v_and_b32_e32 v1, 0x7f800000, v73
	s_delay_alu instid0(VALU_DEP_1) | instskip(SKIP_1) | instid1(SALU_CYCLE_1)
	v_cmp_ne_u32_e32 vcc_lo, 0x7f800000, v1
                                        ; implicit-def: $vgpr1
	s_and_saveexec_b32 s3, vcc_lo
	s_xor_b32 s3, exec_lo, s3
; %bb.78:
	v_bfe_u32 v1, v73, 16, 1
	s_delay_alu instid0(VALU_DEP_1)
	v_add3_u32 v1, v73, v1, 0x7fff
; %bb.79:
	s_and_not1_saveexec_b32 s3, s3
; %bb.80:
	v_and_b32_e32 v1, 0xffff, v73
	v_or_b32_e32 v2, 0x10000, v73
	s_delay_alu instid0(VALU_DEP_2) | instskip(NEXT) | instid1(VALU_DEP_2)
	v_cmp_eq_u32_e32 vcc_lo, 0, v1
	v_cndmask_b32_e32 v1, v2, v73, vcc_lo
; %bb.81:
	s_or_b32 exec_lo, exec_lo, s3
	v_and_b32_e32 v2, 0x7f800000, v74
	s_delay_alu instid0(VALU_DEP_1) | instskip(SKIP_1) | instid1(SALU_CYCLE_1)
	v_cmp_ne_u32_e32 vcc_lo, 0x7f800000, v2
                                        ; implicit-def: $vgpr2
	s_and_saveexec_b32 s3, vcc_lo
	s_xor_b32 s3, exec_lo, s3
; %bb.82:
	v_bfe_u32 v2, v74, 16, 1
	s_delay_alu instid0(VALU_DEP_1)
	v_add3_u32 v2, v74, v2, 0x7fff
; %bb.83:
	s_and_not1_saveexec_b32 s3, s3
; %bb.84:
	v_and_b32_e32 v2, 0xffff, v74
	v_or_b32_e32 v3, 0x10000, v74
	s_delay_alu instid0(VALU_DEP_2) | instskip(NEXT) | instid1(VALU_DEP_2)
	v_cmp_eq_u32_e32 vcc_lo, 0, v2
	v_cndmask_b32_e32 v2, v3, v74, vcc_lo
; %bb.85:
	s_or_b32 exec_lo, exec_lo, s3
	v_and_b32_e32 v3, 0x7f800000, v75
	s_delay_alu instid0(VALU_DEP_1) | instskip(SKIP_1) | instid1(SALU_CYCLE_1)
	v_cmp_ne_u32_e32 vcc_lo, 0x7f800000, v3
                                        ; implicit-def: $vgpr3
	s_and_saveexec_b32 s3, vcc_lo
	s_xor_b32 s3, exec_lo, s3
; %bb.86:
	v_bfe_u32 v3, v75, 16, 1
	s_delay_alu instid0(VALU_DEP_1)
	v_add3_u32 v3, v75, v3, 0x7fff
; %bb.87:
	s_and_not1_saveexec_b32 s3, s3
; %bb.88:
	v_and_b32_e32 v3, 0xffff, v75
	v_or_b32_e32 v4, 0x10000, v75
	s_delay_alu instid0(VALU_DEP_2) | instskip(NEXT) | instid1(VALU_DEP_2)
	v_cmp_eq_u32_e32 vcc_lo, 0, v3
	v_cndmask_b32_e32 v3, v4, v75, vcc_lo
; %bb.89:
	s_or_b32 exec_lo, exec_lo, s3
	v_and_b32_e32 v4, 0x7f800000, v76
	s_delay_alu instid0(VALU_DEP_1) | instskip(SKIP_1) | instid1(SALU_CYCLE_1)
	v_cmp_ne_u32_e32 vcc_lo, 0x7f800000, v4
                                        ; implicit-def: $vgpr4
	s_and_saveexec_b32 s3, vcc_lo
	s_xor_b32 s3, exec_lo, s3
; %bb.90:
	v_bfe_u32 v4, v76, 16, 1
	s_delay_alu instid0(VALU_DEP_1)
	v_add3_u32 v4, v76, v4, 0x7fff
; %bb.91:
	s_and_not1_saveexec_b32 s3, s3
; %bb.92:
	v_and_b32_e32 v4, 0xffff, v76
	v_or_b32_e32 v5, 0x10000, v76
	s_delay_alu instid0(VALU_DEP_2) | instskip(NEXT) | instid1(VALU_DEP_2)
	v_cmp_eq_u32_e32 vcc_lo, 0, v4
	v_cndmask_b32_e32 v4, v5, v76, vcc_lo
; %bb.93:
	s_or_b32 exec_lo, exec_lo, s3
	v_and_b32_e32 v5, 0x7f800000, v77
	s_delay_alu instid0(VALU_DEP_1) | instskip(SKIP_1) | instid1(SALU_CYCLE_1)
	v_cmp_ne_u32_e32 vcc_lo, 0x7f800000, v5
                                        ; implicit-def: $vgpr5
	s_and_saveexec_b32 s3, vcc_lo
	s_xor_b32 s3, exec_lo, s3
; %bb.94:
	v_bfe_u32 v5, v77, 16, 1
	s_delay_alu instid0(VALU_DEP_1)
	v_add3_u32 v5, v77, v5, 0x7fff
; %bb.95:
	s_and_not1_saveexec_b32 s3, s3
; %bb.96:
	v_and_b32_e32 v5, 0xffff, v77
	v_or_b32_e32 v6, 0x10000, v77
	s_delay_alu instid0(VALU_DEP_2) | instskip(NEXT) | instid1(VALU_DEP_2)
	v_cmp_eq_u32_e32 vcc_lo, 0, v5
	v_cndmask_b32_e32 v5, v6, v77, vcc_lo
; %bb.97:
	s_or_b32 exec_lo, exec_lo, s3
	v_and_b32_e32 v6, 0x7f800000, v78
	s_delay_alu instid0(VALU_DEP_1) | instskip(SKIP_1) | instid1(SALU_CYCLE_1)
	v_cmp_ne_u32_e32 vcc_lo, 0x7f800000, v6
                                        ; implicit-def: $vgpr6
	s_and_saveexec_b32 s3, vcc_lo
	s_xor_b32 s3, exec_lo, s3
; %bb.98:
	v_bfe_u32 v6, v78, 16, 1
	s_delay_alu instid0(VALU_DEP_1)
	v_add3_u32 v6, v78, v6, 0x7fff
; %bb.99:
	s_and_not1_saveexec_b32 s3, s3
; %bb.100:
	v_and_b32_e32 v6, 0xffff, v78
	v_or_b32_e32 v7, 0x10000, v78
	s_delay_alu instid0(VALU_DEP_2) | instskip(NEXT) | instid1(VALU_DEP_2)
	v_cmp_eq_u32_e32 vcc_lo, 0, v6
	v_cndmask_b32_e32 v6, v7, v78, vcc_lo
; %bb.101:
	s_or_b32 exec_lo, exec_lo, s3
	v_and_b32_e32 v7, 0x7f800000, v79
	s_delay_alu instid0(VALU_DEP_1) | instskip(SKIP_1) | instid1(SALU_CYCLE_1)
	v_cmp_ne_u32_e32 vcc_lo, 0x7f800000, v7
                                        ; implicit-def: $vgpr7
	s_and_saveexec_b32 s3, vcc_lo
	s_xor_b32 s3, exec_lo, s3
; %bb.102:
	v_bfe_u32 v7, v79, 16, 1
	s_delay_alu instid0(VALU_DEP_1)
	v_add3_u32 v7, v79, v7, 0x7fff
; %bb.103:
	s_and_not1_saveexec_b32 s3, s3
; %bb.104:
	v_and_b32_e32 v7, 0xffff, v79
	v_or_b32_e32 v8, 0x10000, v79
	s_delay_alu instid0(VALU_DEP_2) | instskip(NEXT) | instid1(VALU_DEP_2)
	v_cmp_eq_u32_e32 vcc_lo, 0, v7
	v_cndmask_b32_e32 v7, v8, v79, vcc_lo
; %bb.105:
	s_or_b32 exec_lo, exec_lo, s3
	v_and_b32_e32 v8, 0x7f800000, v80
	s_delay_alu instid0(VALU_DEP_1) | instskip(SKIP_1) | instid1(SALU_CYCLE_1)
	v_cmp_ne_u32_e32 vcc_lo, 0x7f800000, v8
                                        ; implicit-def: $vgpr8
	s_and_saveexec_b32 s3, vcc_lo
	s_xor_b32 s3, exec_lo, s3
; %bb.106:
	v_bfe_u32 v8, v80, 16, 1
	s_delay_alu instid0(VALU_DEP_1)
	v_add3_u32 v8, v80, v8, 0x7fff
                                        ; implicit-def: $vgpr73_vgpr74_vgpr75_vgpr76_vgpr77_vgpr78_vgpr79_vgpr80
; %bb.107:
	s_and_not1_saveexec_b32 s3, s3
; %bb.108:
	v_and_b32_e32 v8, 0xffff, v80
	v_or_b32_e32 v9, 0x10000, v80
	s_delay_alu instid0(VALU_DEP_2) | instskip(NEXT) | instid1(VALU_DEP_2)
	v_cmp_eq_u32_e32 vcc_lo, 0, v8
	v_cndmask_b32_e32 v8, v9, v80, vcc_lo
; %bb.109:
	s_or_b32 exec_lo, exec_lo, s3
	s_delay_alu instid0(VALU_DEP_1)
	v_perm_b32 v7, v8, v7, 0x7060302
	v_perm_b32 v6, v6, v5, 0x7060302
	;; [unrolled: 1-line block ×4, first 2 shown]
	v_lshl_or_b32 v9, v81, 4, v86
	s_barrier
	buffer_gl0_inv
	v_cmp_eq_u32_e32 vcc_lo, 1, v83
	ds_store_b128 v9, v[4:7]
	s_waitcnt lgkmcnt(0)
	s_barrier
	buffer_gl0_inv
	ds_load_b128 v[1:4], v86
	ds_load_b128 v[5:8], v86 offset:16
	v_cmp_eq_u32_e64 s4, 2, v83
	v_cmp_eq_u32_e64 s3, 1, v84
	;; [unrolled: 1-line block ×5, first 2 shown]
	s_waitcnt lgkmcnt(1)
	v_lshrrev_b32_e32 v10, 16, v1
	s_waitcnt lgkmcnt(0)
	v_lshrrev_b32_e32 v14, 16, v5
	v_lshrrev_b32_e32 v15, 16, v6
	;; [unrolled: 1-line block ×4, first 2 shown]
	v_cndmask_b32_e64 v20, v1, v10, s3
	v_cndmask_b32_e32 v19, v5, v14, vcc_lo
	v_cndmask_b32_e64 v21, v5, v14, s3
	v_lshrrev_b32_e32 v16, 16, v7
	v_cmp_eq_u32_e64 s3, 1, v82
	v_lshrrev_b32_e32 v13, 16, v4
	v_cndmask_b32_e64 v19, v19, v6, s4
	v_lshrrev_b32_e32 v17, 16, v8
	s_delay_alu instid0(VALU_DEP_4) | instskip(SKIP_1) | instid1(VALU_DEP_4)
	v_cndmask_b32_e64 v22, v1, v10, s3
	v_cndmask_b32_e64 v23, v5, v14, s3
	;; [unrolled: 1-line block ×3, first 2 shown]
	v_cndmask_b32_e32 v18, v1, v10, vcc_lo
	v_cmp_eq_u32_e32 vcc_lo, 2, v84
	v_cmp_eq_u32_e64 s3, 2, v85
	v_cndmask_b32_e64 v22, v22, v2, s7
	v_cndmask_b32_e32 v20, v20, v2, vcc_lo
	v_cndmask_b32_e32 v21, v21, v6, vcc_lo
	v_cmp_eq_u32_e32 vcc_lo, 4, v83
	v_cndmask_b32_e32 v19, v19, v7, vcc_lo
	v_cndmask_b32_e64 v18, v18, v2, s4
	v_cmp_eq_u32_e64 s4, 3, v84
	s_delay_alu instid0(VALU_DEP_2) | instskip(NEXT) | instid1(VALU_DEP_2)
	v_cndmask_b32_e64 v18, v18, v11, s5
	v_cndmask_b32_e64 v21, v21, v15, s4
	v_cmp_eq_u32_e64 s5, 5, v83
	s_delay_alu instid0(VALU_DEP_3) | instskip(SKIP_1) | instid1(VALU_DEP_3)
	v_cndmask_b32_e32 v18, v18, v3, vcc_lo
	v_cmp_eq_u32_e32 vcc_lo, 4, v84
	v_cndmask_b32_e64 v19, v19, v16, s5
	s_delay_alu instid0(VALU_DEP_3) | instskip(SKIP_4) | instid1(VALU_DEP_3)
	v_cndmask_b32_e64 v18, v18, v12, s5
	v_cndmask_b32_e32 v21, v21, v7, vcc_lo
	v_cndmask_b32_e64 v20, v20, v11, s4
	v_cmp_eq_u32_e64 s4, 5, v84
	v_cmp_eq_u32_e64 s5, 6, v83
	v_cndmask_b32_e32 v20, v20, v3, vcc_lo
	s_delay_alu instid0(VALU_DEP_3) | instskip(SKIP_1) | instid1(VALU_DEP_4)
	v_cndmask_b32_e64 v21, v21, v16, s4
	v_cmp_eq_u32_e32 vcc_lo, 6, v84
	v_cndmask_b32_e64 v18, v18, v4, s5
	v_cndmask_b32_e64 v19, v19, v8, s5
	;; [unrolled: 1-line block ×3, first 2 shown]
	v_cmp_eq_u32_e64 s4, 1, v85
	v_cmp_eq_u32_e64 s5, 7, v83
	s_delay_alu instid0(VALU_DEP_3) | instskip(NEXT) | instid1(VALU_DEP_3)
	v_cndmask_b32_e32 v20, v20, v4, vcc_lo
	v_cndmask_b32_e64 v1, v1, v10, s4
	v_cndmask_b32_e64 v5, v5, v14, s4
	v_cmp_eq_u32_e64 s4, 3, v82
	v_cndmask_b32_e64 v14, v23, v6, s7
	v_cmp_eq_u32_e64 s7, 3, v85
	v_cndmask_b32_e64 v1, v1, v2, s3
	v_cndmask_b32_e64 v2, v5, v6, s3
	;; [unrolled: 1-line block ×3, first 2 shown]
	v_cmp_eq_u32_e64 s3, 4, v82
	v_cndmask_b32_e64 v6, v14, v15, s4
	v_cndmask_b32_e64 v1, v1, v11, s7
	v_cmp_eq_u32_e64 s4, 4, v85
	v_cndmask_b32_e64 v2, v2, v15, s7
	v_cndmask_b32_e64 v5, v10, v3, s3
	;; [unrolled: 3-line block ×3, first 2 shown]
	v_cndmask_b32_e64 v2, v2, v7, s4
	v_cmp_eq_u32_e64 s3, 5, v85
	v_cndmask_b32_e64 v5, v5, v12, s7
	v_cndmask_b32_e64 v3, v6, v16, s7
	v_cmp_eq_u32_e64 s7, 6, v85
	v_cmp_eq_u32_e64 s4, 6, v82
	v_cndmask_b32_e64 v1, v1, v12, s3
	v_cndmask_b32_e64 v2, v2, v16, s3
	v_cmp_eq_u32_e64 s3, 7, v85
	v_cndmask_b32_e64 v18, v18, v13, s5
	v_cndmask_b32_e64 v5, v5, v4, s4
	;; [unrolled: 1-line block ×5, first 2 shown]
	v_cmp_eq_u32_e64 s4, 7, v82
	v_cndmask_b32_e32 v4, v21, v8, vcc_lo
	v_cndmask_b32_e64 v1, v1, v13, s3
	v_cndmask_b32_e64 v2, v2, v17, s3
	v_cmp_lt_u32_e32 vcc_lo, 31, v0
	v_cmp_lt_u32_e64 s3, 7, v89
	v_cndmask_b32_e64 v20, v20, v13, s6
	v_cndmask_b32_e64 v5, v5, v13, s4
	;; [unrolled: 1-line block ×5, first 2 shown]
	s_or_b32 s3, vcc_lo, s3
	v_perm_b32 v4, v2, v1, 0x5040100
	v_perm_b32 v3, v3, v5, 0x5040100
	;; [unrolled: 1-line block ×4, first 2 shown]
	s_or_b32 s2, s2, s3
	s_delay_alu instid0(SALU_CYCLE_1)
	s_xor_b32 s2, s2, -1
	ds_store_b128 v9, v[1:4]
	s_waitcnt lgkmcnt(0)
	s_barrier
	buffer_gl0_inv
	s_and_saveexec_b32 s3, s2
	s_cbranch_execz .LBB534_2
; %bb.110:
	s_load_b64 s[0:1], s[0:1], 0x68
	v_lshlrev_b32_e32 v1, 10, v0
	v_and_b32_e32 v0, 1, v0
	v_lshlrev_b32_e32 v2, 6, v81
	s_lshl_b32 s4, s36, 6
	v_lshlrev_b32_e32 v4, 3, v89
	v_and_b32_e32 v1, 0x3800, v1
	v_lshlrev_b32_e32 v0, 4, v0
	s_mul_i32 s2, s4, s34
	s_delay_alu instid0(SALU_CYCLE_1) | instskip(SKIP_1) | instid1(VALU_DEP_2)
	s_mul_i32 s2, s2, s37
	v_lshlrev_b32_e32 v4, 1, v4
	v_or3_b32 v0, v1, v2, v0
	s_ashr_i32 s3, s2, 31
	s_delay_alu instid0(SALU_CYCLE_1)
	s_lshl_b64 s[2:3], s[2:3], 1
	ds_load_b128 v[0:3], v0
	s_waitcnt lgkmcnt(0)
	s_add_u32 s5, s0, s2
	s_addc_u32 s3, s1, s3
	s_lshl_b32 s0, s14, 6
	s_mul_i32 s2, s4, s15
	s_ashr_i32 s1, s0, 31
	s_delay_alu instid0(SALU_CYCLE_1) | instskip(NEXT) | instid1(SALU_CYCLE_1)
	s_lshl_b64 s[0:1], s[0:1], 1
	s_add_u32 s4, s5, s0
	s_addc_u32 s5, s3, s1
	s_ashr_i32 s3, s2, 31
	s_delay_alu instid0(SALU_CYCLE_1) | instskip(NEXT) | instid1(SALU_CYCLE_1)
	s_lshl_b64 s[0:1], s[2:3], 1
	s_add_u32 s0, s4, s0
	s_addc_u32 s1, s5, s1
	global_store_b128 v4, v[0:3], s[0:1]
	s_nop 0
	s_sendmsg sendmsg(MSG_DEALLOC_VGPRS)
	s_endpgm
	.section	.rodata,"a",@progbits
	.p2align	6, 0x0
	.amdhsa_kernel _Z39paged_attention_ll4mi_QKV_mfma16_kernelI14__hip_bfloat16S0_LN4vllm18Fp8KVCacheDataTypeE0EhLi32ELi64ELi256ELb0ELi1EL8MFMAType0EEvPKT_PKT0_S9_ifPKiSB_SB_iPKfiiiPfSE_PS4_PT2_iSD_SD_
		.amdhsa_group_segment_fixed_size 17472
		.amdhsa_private_segment_fixed_size 0
		.amdhsa_kernarg_size 400
		.amdhsa_user_sgpr_count 13
		.amdhsa_user_sgpr_dispatch_ptr 0
		.amdhsa_user_sgpr_queue_ptr 0
		.amdhsa_user_sgpr_kernarg_segment_ptr 1
		.amdhsa_user_sgpr_dispatch_id 0
		.amdhsa_user_sgpr_private_segment_size 0
		.amdhsa_wavefront_size32 1
		.amdhsa_uses_dynamic_stack 0
		.amdhsa_enable_private_segment 0
		.amdhsa_system_sgpr_workgroup_id_x 1
		.amdhsa_system_sgpr_workgroup_id_y 1
		.amdhsa_system_sgpr_workgroup_id_z 1
		.amdhsa_system_sgpr_workgroup_info 0
		.amdhsa_system_vgpr_workitem_id 0
		.amdhsa_next_free_vgpr 138
		.amdhsa_next_free_sgpr 69
		.amdhsa_reserve_vcc 1
		.amdhsa_float_round_mode_32 0
		.amdhsa_float_round_mode_16_64 0
		.amdhsa_float_denorm_mode_32 3
		.amdhsa_float_denorm_mode_16_64 3
		.amdhsa_dx10_clamp 1
		.amdhsa_ieee_mode 1
		.amdhsa_fp16_overflow 0
		.amdhsa_workgroup_processor_mode 1
		.amdhsa_memory_ordered 1
		.amdhsa_forward_progress 0
		.amdhsa_shared_vgpr_count 0
		.amdhsa_exception_fp_ieee_invalid_op 0
		.amdhsa_exception_fp_denorm_src 0
		.amdhsa_exception_fp_ieee_div_zero 0
		.amdhsa_exception_fp_ieee_overflow 0
		.amdhsa_exception_fp_ieee_underflow 0
		.amdhsa_exception_fp_ieee_inexact 0
		.amdhsa_exception_int_div_zero 0
	.end_amdhsa_kernel
	.section	.text._Z39paged_attention_ll4mi_QKV_mfma16_kernelI14__hip_bfloat16S0_LN4vllm18Fp8KVCacheDataTypeE0EhLi32ELi64ELi256ELb0ELi1EL8MFMAType0EEvPKT_PKT0_S9_ifPKiSB_SB_iPKfiiiPfSE_PS4_PT2_iSD_SD_,"axG",@progbits,_Z39paged_attention_ll4mi_QKV_mfma16_kernelI14__hip_bfloat16S0_LN4vllm18Fp8KVCacheDataTypeE0EhLi32ELi64ELi256ELb0ELi1EL8MFMAType0EEvPKT_PKT0_S9_ifPKiSB_SB_iPKfiiiPfSE_PS4_PT2_iSD_SD_,comdat
.Lfunc_end534:
	.size	_Z39paged_attention_ll4mi_QKV_mfma16_kernelI14__hip_bfloat16S0_LN4vllm18Fp8KVCacheDataTypeE0EhLi32ELi64ELi256ELb0ELi1EL8MFMAType0EEvPKT_PKT0_S9_ifPKiSB_SB_iPKfiiiPfSE_PS4_PT2_iSD_SD_, .Lfunc_end534-_Z39paged_attention_ll4mi_QKV_mfma16_kernelI14__hip_bfloat16S0_LN4vllm18Fp8KVCacheDataTypeE0EhLi32ELi64ELi256ELb0ELi1EL8MFMAType0EEvPKT_PKT0_S9_ifPKiSB_SB_iPKfiiiPfSE_PS4_PT2_iSD_SD_
                                        ; -- End function
	.section	.AMDGPU.csdata,"",@progbits
; Kernel info:
; codeLenInByte = 9120
; NumSgprs: 71
; NumVgprs: 138
; ScratchSize: 0
; MemoryBound: 1
; FloatMode: 240
; IeeeMode: 1
; LDSByteSize: 17472 bytes/workgroup (compile time only)
; SGPRBlocks: 8
; VGPRBlocks: 17
; NumSGPRsForWavesPerEU: 71
; NumVGPRsForWavesPerEU: 138
; Occupancy: 10
; WaveLimiterHint : 1
; COMPUTE_PGM_RSRC2:SCRATCH_EN: 0
; COMPUTE_PGM_RSRC2:USER_SGPR: 13
; COMPUTE_PGM_RSRC2:TRAP_HANDLER: 0
; COMPUTE_PGM_RSRC2:TGID_X_EN: 1
; COMPUTE_PGM_RSRC2:TGID_Y_EN: 1
; COMPUTE_PGM_RSRC2:TGID_Z_EN: 1
; COMPUTE_PGM_RSRC2:TIDIG_COMP_CNT: 0
	.section	.text._Z39paged_attention_ll4mi_QKV_mfma16_kernelI14__hip_bfloat16S0_LN4vllm18Fp8KVCacheDataTypeE0EhLi32ELi64ELi256ELb0ELi2EL8MFMAType0EEvPKT_PKT0_S9_ifPKiSB_SB_iPKfiiiPfSE_PS4_PT2_iSD_SD_,"axG",@progbits,_Z39paged_attention_ll4mi_QKV_mfma16_kernelI14__hip_bfloat16S0_LN4vllm18Fp8KVCacheDataTypeE0EhLi32ELi64ELi256ELb0ELi2EL8MFMAType0EEvPKT_PKT0_S9_ifPKiSB_SB_iPKfiiiPfSE_PS4_PT2_iSD_SD_,comdat
	.protected	_Z39paged_attention_ll4mi_QKV_mfma16_kernelI14__hip_bfloat16S0_LN4vllm18Fp8KVCacheDataTypeE0EhLi32ELi64ELi256ELb0ELi2EL8MFMAType0EEvPKT_PKT0_S9_ifPKiSB_SB_iPKfiiiPfSE_PS4_PT2_iSD_SD_ ; -- Begin function _Z39paged_attention_ll4mi_QKV_mfma16_kernelI14__hip_bfloat16S0_LN4vllm18Fp8KVCacheDataTypeE0EhLi32ELi64ELi256ELb0ELi2EL8MFMAType0EEvPKT_PKT0_S9_ifPKiSB_SB_iPKfiiiPfSE_PS4_PT2_iSD_SD_
	.globl	_Z39paged_attention_ll4mi_QKV_mfma16_kernelI14__hip_bfloat16S0_LN4vllm18Fp8KVCacheDataTypeE0EhLi32ELi64ELi256ELb0ELi2EL8MFMAType0EEvPKT_PKT0_S9_ifPKiSB_SB_iPKfiiiPfSE_PS4_PT2_iSD_SD_
	.p2align	8
	.type	_Z39paged_attention_ll4mi_QKV_mfma16_kernelI14__hip_bfloat16S0_LN4vllm18Fp8KVCacheDataTypeE0EhLi32ELi64ELi256ELb0ELi2EL8MFMAType0EEvPKT_PKT0_S9_ifPKiSB_SB_iPKfiiiPfSE_PS4_PT2_iSD_SD_,@function
_Z39paged_attention_ll4mi_QKV_mfma16_kernelI14__hip_bfloat16S0_LN4vllm18Fp8KVCacheDataTypeE0EhLi32ELi64ELi256ELb0ELi2EL8MFMAType0EEvPKT_PKT0_S9_ifPKiSB_SB_iPKfiiiPfSE_PS4_PT2_iSD_SD_: ; @_Z39paged_attention_ll4mi_QKV_mfma16_kernelI14__hip_bfloat16S0_LN4vllm18Fp8KVCacheDataTypeE0EhLi32ELi64ELi256ELb0ELi2EL8MFMAType0EEvPKT_PKT0_S9_ifPKiSB_SB_iPKfiiiPfSE_PS4_PT2_iSD_SD_
; %bb.0:
	s_load_b64 s[2:3], s[0:1], 0x30
	s_mov_b32 s30, s13
	s_waitcnt lgkmcnt(0)
	s_cmp_lg_u64 s[2:3], 0
	s_cselect_b32 s6, -1, 0
	s_ashr_i32 s31, s13, 31
	s_cmp_eq_u64 s[2:3], 0
	s_cbranch_scc1 .LBB535_3
; %bb.1:
	s_lshl_b64 s[4:5], s[30:31], 2
	s_delay_alu instid0(SALU_CYCLE_1) | instskip(SKIP_4) | instid1(SALU_CYCLE_1)
	s_add_u32 s4, s2, s4
	s_addc_u32 s5, s3, s5
	s_load_b64 s[4:5], s[4:5], 0x0
	s_waitcnt lgkmcnt(0)
	s_sub_i32 s4, s5, s4
	s_cmp_eq_u32 s4, 1
	s_cselect_b32 s4, -1, 0
	s_delay_alu instid0(SALU_CYCLE_1)
	s_and_not1_b32 vcc_lo, exec_lo, s4
	s_cbranch_vccz .LBB535_4
.LBB535_2:
	s_endpgm
.LBB535_3:
.LBB535_4:
	s_load_b64 s[8:9], s[0:1], 0x28
	s_lshl_b64 s[4:5], s[30:31], 2
	s_waitcnt lgkmcnt(0)
	s_add_u32 s8, s8, s4
	s_addc_u32 s9, s9, s5
	s_lshl_b32 s16, s14, 8
	s_load_b32 s17, s[8:9], 0x0
	s_waitcnt lgkmcnt(0)
	s_cmp_ge_i32 s16, s17
	s_cbranch_scc1 .LBB535_2
; %bb.5:
	s_and_not1_b32 vcc_lo, exec_lo, s6
	s_cbranch_vccnz .LBB535_7
; %bb.6:
	s_add_u32 s2, s2, s4
	s_addc_u32 s3, s3, s5
	s_load_b32 s3, s[2:3], 0x0
	s_branch .LBB535_8
.LBB535_7:
	s_mov_b32 s3, s30
.LBB535_8:
	s_clause 0x2
	s_load_b128 s[8:11], s[0:1], 0x8
	s_load_b64 s[12:13], s[0:1], 0x20
	s_load_b128 s[4:7], s[0:1], 0x48
	v_and_b32_e32 v73, 15, v0
	v_cmp_gt_u32_e32 vcc_lo, 32, v0
	v_bfe_u32 v86, v0, 4, 1
	s_lshl_b32 s31, s15, 1
	s_delay_alu instid0(VALU_DEP_3) | instskip(SKIP_1) | instid1(VALU_DEP_2)
	v_cmp_gt_u32_e64 s2, 8, v73
	v_lshlrev_b32_e32 v1, 3, v73
	s_and_b32 s29, vcc_lo, s2
	s_delay_alu instid0(SALU_CYCLE_1) | instskip(SKIP_2) | instid1(SALU_CYCLE_1)
	s_xor_b32 s2, s29, -1
	s_waitcnt lgkmcnt(0)
	s_and_saveexec_b32 s7, s2
	s_xor_b32 s2, exec_lo, s7
; %bb.9:
	v_mov_b32_e32 v2, 0
; %bb.10:
	s_or_saveexec_b32 s2, s2
	v_and_b32_e32 v74, 31, v0
	v_and_b32_e32 v85, 1, v0
	v_or_b32_e32 v84, s31, v86
	v_lshlrev_b32_e32 v83, 6, v86
	s_xor_b32 exec_lo, exec_lo, s2
	s_cbranch_execz .LBB535_12
; %bb.11:
	s_load_b64 s[18:19], s[0:1], 0x0
	v_lshlrev_b32_e32 v2, 6, v84
	s_mul_hi_i32 s21, s3, s4
	s_mul_i32 s20, s3, s4
	v_lshlrev_b32_e32 v4, 1, v1
	s_lshl_b64 s[20:21], s[20:21], 1
	v_ashrrev_i32_e32 v3, 31, v2
	v_lshlrev_b32_e32 v7, 10, v85
	s_delay_alu instid0(VALU_DEP_2) | instskip(SKIP_3) | instid1(VALU_DEP_1)
	v_lshlrev_b64 v[2:3], 1, v[2:3]
	s_waitcnt lgkmcnt(0)
	s_add_u32 s3, s18, s20
	s_addc_u32 s4, s19, s21
	v_add_co_u32 v2, vcc_lo, s3, v2
	s_delay_alu instid0(VALU_DEP_2) | instskip(NEXT) | instid1(VALU_DEP_2)
	v_add_co_ci_u32_e32 v3, vcc_lo, s4, v3, vcc_lo
	v_add_co_u32 v2, vcc_lo, v2, v4
	s_delay_alu instid0(VALU_DEP_2) | instskip(SKIP_2) | instid1(VALU_DEP_1)
	v_add_co_ci_u32_e32 v3, vcc_lo, 0, v3, vcc_lo
	global_load_b128 v[3:6], v[2:3], off
	v_lshlrev_b32_e32 v2, 10, v73
	v_and_b32_e32 v2, 0x3800, v2
	s_delay_alu instid0(VALU_DEP_1)
	v_or3_b32 v7, v2, v7, v83
	v_mov_b32_e32 v2, 0
	s_waitcnt vmcnt(0)
	ds_store_b128 v7, v[3:6]
.LBB535_12:
	s_or_b32 exec_lo, exec_lo, s2
	v_and_b32_e32 v3, 0xef, v0
	s_add_i32 s3, s17, 31
	s_clause 0x1
	s_load_b32 s2, s[0:1], 0x38
	s_load_b32 s18, s[0:1], 0x1c
	s_ashr_i32 s4, s3, 31
	v_add_nc_u32_e32 v3, s16, v3
	s_lshr_b32 s4, s4, 27
	s_waitcnt lgkmcnt(0)
	s_add_i32 s3, s3, s4
	s_barrier
	v_ashrrev_i32_e32 v4, 31, v3
	v_cmp_gt_i32_e32 vcc_lo, s17, v3
	s_ashr_i32 s4, s3, 5
	buffer_gl0_inv
	s_add_i32 s4, s4, -1
	v_lshrrev_b32_e32 v5, 27, v4
	v_or_b32_e32 v4, 16, v3
	v_lshlrev_b64 v[81:82], 1, v[1:2]
	v_lshrrev_b32_e32 v75, 5, v0
	v_lshlrev_b32_e32 v78, 6, v85
	v_add_nc_u32_e32 v6, v3, v5
	v_add_nc_u32_e32 v5, v4, v5
	s_mul_i32 s2, s30, s2
	s_delay_alu instid0(SALU_CYCLE_1) | instskip(NEXT) | instid1(VALU_DEP_2)
	s_ashr_i32 s3, s2, 31
	v_ashrrev_i32_e32 v6, 5, v6
	s_delay_alu instid0(VALU_DEP_2) | instskip(SKIP_1) | instid1(SALU_CYCLE_1)
	v_ashrrev_i32_e32 v5, 5, v5
	s_lshl_b64 s[2:3], s[2:3], 2
	s_add_u32 s19, s12, s2
	s_delay_alu instid0(VALU_DEP_2) | instskip(SKIP_3) | instid1(SALU_CYCLE_1)
	v_cndmask_b32_e32 v3, s4, v6, vcc_lo
	v_cmp_gt_i32_e32 vcc_lo, s17, v4
	s_addc_u32 s28, s13, s3
	s_mul_i32 s2, s15, s6
	s_ashr_i32 s3, s2, 31
	v_cndmask_b32_e32 v5, s4, v5, vcc_lo
	v_ashrrev_i32_e32 v4, 31, v3
	s_lshl_b64 s[2:3], s[2:3], 1
	s_delay_alu instid0(SALU_CYCLE_1) | instskip(NEXT) | instid1(VALU_DEP_2)
	s_add_u32 s15, s8, s2
	v_ashrrev_i32_e32 v6, 31, v5
	s_delay_alu instid0(VALU_DEP_2) | instskip(SKIP_2) | instid1(VALU_DEP_2)
	v_lshlrev_b64 v[3:4], 2, v[3:4]
	s_addc_u32 s26, s9, s3
	s_lshl_b32 s6, s14, 3
	v_lshlrev_b64 v[5:6], 2, v[5:6]
	s_ashr_i32 s7, s6, 31
	s_delay_alu instid0(VALU_DEP_2) | instskip(SKIP_1) | instid1(VALU_DEP_3)
	v_add_co_u32 v3, vcc_lo, s19, v3
	v_add_co_ci_u32_e32 v4, vcc_lo, s28, v4, vcc_lo
	v_add_co_u32 v5, vcc_lo, s19, v5
	s_delay_alu instid0(VALU_DEP_4)
	v_add_co_ci_u32_e32 v6, vcc_lo, s28, v6, vcc_lo
	s_lshl_b64 s[6:7], s[6:7], 2
	s_clause 0x1
	global_load_b32 v7, v[3:4], off
	global_load_b32 v8, v[5:6], off
	s_add_u32 s6, s19, s6
	s_addc_u32 s7, s28, s7
	s_or_b32 s8, s16, 32
	s_delay_alu instid0(SALU_CYCLE_1) | instskip(SKIP_2) | instid1(SALU_CYCLE_1)
	s_ashr_i32 s9, s8, 5
	s_cmp_lt_i32 s8, s17
	s_cselect_b32 s8, s9, s4
	s_ashr_i32 s9, s8, 31
	s_delay_alu instid0(SALU_CYCLE_1) | instskip(NEXT) | instid1(SALU_CYCLE_1)
	s_lshl_b64 s[8:9], s[8:9], 2
	s_add_u32 s8, s19, s8
	s_addc_u32 s9, s28, s9
	s_or_b32 s12, s16, 64
	s_delay_alu instid0(SALU_CYCLE_1) | instskip(SKIP_2) | instid1(SALU_CYCLE_1)
	s_ashr_i32 s13, s12, 5
	s_cmp_lt_i32 s12, s17
	s_cselect_b32 s12, s13, s4
	s_ashr_i32 s13, s12, 31
	s_delay_alu instid0(SALU_CYCLE_1) | instskip(NEXT) | instid1(SALU_CYCLE_1)
	s_lshl_b64 s[12:13], s[12:13], 2
	s_add_u32 s12, s19, s12
	s_addc_u32 s13, s28, s13
	s_or_b32 s20, s16, 0x60
	s_delay_alu instid0(SALU_CYCLE_1) | instskip(SKIP_2) | instid1(SALU_CYCLE_1)
	s_ashr_i32 s21, s20, 5
	s_cmp_lt_i32 s20, s17
	s_cselect_b32 s20, s21, s4
	s_ashr_i32 s21, s20, 31
	s_delay_alu instid0(SALU_CYCLE_1) | instskip(NEXT) | instid1(SALU_CYCLE_1)
	s_lshl_b64 s[20:21], s[20:21], 2
	s_add_u32 s20, s19, s20
	s_addc_u32 s21, s28, s21
	s_or_b32 s22, s16, 0x80
	s_delay_alu instid0(SALU_CYCLE_1) | instskip(SKIP_2) | instid1(SALU_CYCLE_1)
	s_ashr_i32 s23, s22, 5
	s_cmp_lt_i32 s22, s17
	s_cselect_b32 s22, s23, s4
	s_ashr_i32 s23, s22, 31
	s_delay_alu instid0(SALU_CYCLE_1) | instskip(NEXT) | instid1(SALU_CYCLE_1)
	s_lshl_b64 s[22:23], s[22:23], 2
	s_add_u32 s22, s19, s22
	s_addc_u32 s23, s28, s23
	s_or_b32 s24, s16, 0xa0
	s_delay_alu instid0(SALU_CYCLE_1) | instskip(SKIP_2) | instid1(SALU_CYCLE_1)
	s_ashr_i32 s25, s24, 5
	s_cmp_lt_i32 s24, s17
	s_cselect_b32 s24, s25, s4
	s_ashr_i32 s25, s24, 31
	s_delay_alu instid0(SALU_CYCLE_1) | instskip(NEXT) | instid1(SALU_CYCLE_1)
	s_lshl_b64 s[24:25], s[24:25], 2
	s_add_u32 s24, s19, s24
	s_addc_u32 s25, s28, s25
	s_clause 0x5
	s_load_b32 s33, s[6:7], 0x0
	s_load_b32 s34, s[8:9], 0x0
	;; [unrolled: 1-line block ×6, first 2 shown]
	s_or_b32 s6, s16, 0xc0
	s_mov_b32 s20, 0
	s_ashr_i32 s7, s6, 5
	s_cmp_lt_i32 s6, s17
	s_mov_b32 s27, s20
	s_cselect_b32 s6, s7, s4
	s_mov_b32 s21, s20
	s_ashr_i32 s7, s6, 31
	s_mov_b32 s22, s20
	s_lshl_b64 s[6:7], s[6:7], 2
	s_mov_b32 s23, s20
	s_add_u32 s6, s19, s6
	s_addc_u32 s7, s28, s7
	s_or_b32 s12, s16, 0xe0
	s_mov_b32 s24, s20
	s_mov_b32 s25, s20
	s_waitcnt lgkmcnt(0)
	s_mul_hi_i32 s9, s33, s5
	s_mul_i32 s8, s33, s5
	s_mul_hi_i32 s13, s34, s5
	s_waitcnt vmcnt(1)
	v_mad_i64_i32 v[3:4], null, v7, s5, 0
	s_waitcnt vmcnt(0)
	v_mad_i64_i32 v[5:6], null, v8, s5, 0
	s_delay_alu instid0(VALU_DEP_2) | instskip(NEXT) | instid1(VALU_DEP_2)
	v_lshlrev_b64 v[3:4], 1, v[3:4]
	v_lshlrev_b64 v[1:2], 1, v[5:6]
	s_delay_alu instid0(VALU_DEP_2) | instskip(NEXT) | instid1(VALU_DEP_3)
	v_add_co_u32 v3, vcc_lo, s15, v3
	v_add_co_ci_u32_e32 v4, vcc_lo, s26, v4, vcc_lo
	s_delay_alu instid0(VALU_DEP_3) | instskip(NEXT) | instid1(VALU_DEP_4)
	v_add_co_u32 v1, vcc_lo, s15, v1
	v_add_co_ci_u32_e32 v2, vcc_lo, s26, v2, vcc_lo
	s_delay_alu instid0(VALU_DEP_4) | instskip(NEXT) | instid1(VALU_DEP_4)
	v_add_co_u32 v41, vcc_lo, v3, v81
	v_add_co_ci_u32_e32 v42, vcc_lo, v4, v82, vcc_lo
	s_delay_alu instid0(VALU_DEP_4) | instskip(NEXT) | instid1(VALU_DEP_4)
	v_add_co_u32 v43, vcc_lo, v1, v81
	v_add_co_ci_u32_e32 v44, vcc_lo, v2, v82, vcc_lo
	s_clause 0xf
	global_load_b128 v[1:4], v[41:42], off
	global_load_b128 v[5:8], v[41:42], off offset:512
	global_load_b128 v[9:12], v[43:44], off offset:256
	;; [unrolled: 1-line block ×15, first 2 shown]
	s_ashr_i32 s15, s12, 5
	s_mov_b32 s26, s20
	s_cmp_lt_i32 s12, s17
	v_mov_b32_e32 v119, s27
	v_dual_mov_b32 v112, s20 :: v_dual_lshlrev_b32 v87, 6, v73
	v_dual_mov_b32 v118, s26 :: v_dual_mov_b32 v117, s25
	v_dual_mov_b32 v116, s24 :: v_dual_mov_b32 v115, s23
	;; [unrolled: 1-line block ×3, first 2 shown]
	s_cselect_b32 s20, s15, s4
	v_lshl_or_b32 v49, v75, 10, v87
	s_ashr_i32 s21, s20, 31
	ds_load_b128 v[41:44], v78
	ds_load_b128 v[45:48], v78 offset:1024
	s_lshl_b64 s[20:21], s[20:21], 2
	ds_load_b128 v[120:123], v78 offset:2048
	ds_load_b128 v[124:127], v78 offset:3072
	s_add_u32 s20, s19, s20
	s_addc_u32 s21, s28, s21
	s_add_i32 s15, s16, 0x100
	ds_load_b128 v[128:131], v78 offset:4096
	ds_load_b128 v[132:135], v78 offset:5120
	s_ashr_i32 s26, s15, 5
	s_cmp_lt_i32 s15, s17
	s_load_b32 s15, s[6:7], 0x0
	s_cselect_b32 s26, s26, s4
	s_mul_i32 s12, s34, s5
	s_ashr_i32 s27, s26, 31
	s_mul_hi_i32 s23, s35, s5
	s_lshl_b64 s[26:27], s[26:27], 2
	s_mul_i32 s22, s35, s5
	s_add_u32 s26, s19, s26
	s_addc_u32 s27, s28, s27
	s_add_u32 s4, s10, s2
	s_clause 0x1
	s_load_b32 s19, s[20:21], 0x0
	s_load_b32 s26, s[26:27], 0x0
	s_addc_u32 s27, s11, s3
	v_add_co_u32 v79, s4, s4, v49
	s_delay_alu instid0(VALU_DEP_1) | instskip(SKIP_2) | instid1(VALU_DEP_2)
	v_add_co_ci_u32_e64 v80, null, s27, 0, s4
	s_lshl_b64 s[2:3], s[8:9], 1
	s_lshl_b64 s[8:9], s[12:13], 1
	v_add_co_u32 v49, vcc_lo, v79, s2
	s_delay_alu instid0(VALU_DEP_2)
	v_add_co_ci_u32_e32 v50, vcc_lo, s3, v80, vcc_lo
	v_add_co_u32 v51, vcc_lo, v79, s8
	s_lshl_b64 s[10:11], s[22:23], 1
	s_mul_hi_i32 s25, s36, s5
	s_mul_i32 s24, s36, s5
	v_add_co_ci_u32_e32 v52, vcc_lo, s9, v80, vcc_lo
	v_add_co_u32 v53, vcc_lo, v79, s10
	s_lshl_b64 s[12:13], s[24:25], 1
	s_mul_hi_i32 s7, s37, s5
	s_mul_i32 s6, s37, s5
	;; [unrolled: 5-line block ×3, first 2 shown]
	v_add_co_ci_u32_e32 v77, vcc_lo, s13, v80, vcc_lo
	s_lshl_b64 s[20:21], s[34:35], 1
	s_waitcnt lgkmcnt(0)
	s_mul_hi_i32 s23, s15, s5
	s_mul_i32 s22, s15, s5
	s_mul_hi_i32 s3, s19, s5
	s_lshl_b64 s[22:23], s[22:23], 1
	s_mul_i32 s2, s19, s5
	s_clause 0x3
	global_load_b128 v[65:68], v[49:50], off
	global_load_b128 v[69:72], v[49:50], off offset:16
	global_load_b128 v[57:60], v[51:52], off
	global_load_b128 v[61:64], v[51:52], off offset:16
	s_lshl_b64 s[2:3], s[2:3], 1
	s_clause 0x1
	global_load_b128 v[49:52], v[53:54], off
	global_load_b128 v[53:56], v[53:54], off offset:16
	s_waitcnt vmcnt(20)
	v_wmma_f32_16x16x16_bf16 v[136:143], v[1:8], v[41:48], v[112:119]
	v_add_co_u32 v1, vcc_lo, v79, s6
	v_add_co_ci_u32_e32 v2, vcc_lo, s7, v80, vcc_lo
	v_add_co_u32 v5, vcc_lo, v79, s20
	v_add_co_ci_u32_e32 v6, vcc_lo, s21, v80, vcc_lo
	s_waitcnt vmcnt(16)
	v_wmma_f32_16x16x16_bf16 v[136:143], v[17:24], v[120:127], v[136:143]
	v_add_co_u32 v17, vcc_lo, v79, s22
	v_add_co_ci_u32_e32 v18, vcc_lo, s23, v80, vcc_lo
	v_add_co_u32 v19, vcc_lo, v79, s2
	v_add_co_ci_u32_e32 v20, vcc_lo, s3, v80, vcc_lo
	s_mul_hi_i32 s3, s26, s5
	s_mul_i32 s2, s26, s5
	v_wmma_f32_16x16x16_bf16 v[112:119], v[9:16], v[41:48], v[112:119]
	s_lshl_b64 s[2:3], s[2:3], 1
	s_clause 0x3
	global_load_b128 v[41:44], v[76:77], off
	global_load_b128 v[45:48], v[76:77], off offset:16
	global_load_b128 v[9:12], v[1:2], off
	global_load_b128 v[13:16], v[1:2], off offset:16
	v_add_co_u32 v21, vcc_lo, v79, s2
	s_waitcnt vmcnt(18)
	v_wmma_f32_16x16x16_bf16 v[112:119], v[25:32], v[120:127], v[112:119]
	v_add_co_ci_u32_e32 v22, vcc_lo, s3, v80, vcc_lo
	s_waitcnt vmcnt(16)
	v_wmma_f32_16x16x16_bf16 v[136:143], v[33:40], v[128:135], v[136:143]
	s_clause 0x5
	global_load_b128 v[1:4], v[5:6], off
	global_load_b128 v[5:8], v[5:6], off offset:16
	global_load_b128 v[33:36], v[17:18], off
	global_load_b128 v[37:40], v[17:18], off offset:16
	;; [unrolled: 2-line block ×3, first 2 shown]
	s_waitcnt vmcnt(20)
	v_wmma_f32_16x16x16_bf16 v[112:119], v[88:95], v[128:135], v[112:119]
	ds_load_b128 v[88:91], v78 offset:6144
	ds_load_b128 v[92:95], v78 offset:7168
	s_clause 0x1
	global_load_b128 v[17:20], v[21:22], off
	global_load_b128 v[21:24], v[21:22], off offset:16
	v_and_b32_e32 v76, 0xe0, v0
	v_mbcnt_lo_u32_b32 v77, -1, 0
	s_waitcnt vmcnt(0) lgkmcnt(0)
	s_barrier
	buffer_gl0_inv
	v_add_nc_u32_e32 v76, s16, v76
	v_xor_b32_e32 v78, 16, v77
	s_delay_alu instid0(VALU_DEP_2) | instskip(NEXT) | instid1(VALU_DEP_2)
	v_or_b32_e32 v76, v76, v86
	v_cmp_gt_i32_e32 vcc_lo, 32, v78
	s_delay_alu instid0(VALU_DEP_2)
	v_or_b32_e32 v79, 4, v76
	v_or_b32_e32 v80, 6, v76
	v_wmma_f32_16x16x16_bf16 v[136:143], v[96:103], v[88:95], v[136:143]
	v_cndmask_b32_e32 v77, v77, v78, vcc_lo
	v_or_b32_e32 v78, 2, v76
	v_cmp_gt_i32_e32 vcc_lo, s17, v76
	v_wmma_f32_16x16x16_bf16 v[112:119], v[104:111], v[88:95], v[112:119]
	v_mul_f32_e32 v100, s18, v137
	v_mul_f32_e32 v98, s18, v136
	v_cmp_gt_i32_e64 s2, s17, v78
	v_or_b32_e32 v88, 8, v76
	v_or_b32_e32 v89, 10, v76
	;; [unrolled: 1-line block ×12, first 2 shown]
	v_cndmask_b32_e32 v76, 0xff7fffff, v98, vcc_lo
	v_cndmask_b32_e64 v78, 0xff7fffff, v100, s2
	v_mul_f32_e32 v100, s18, v139
	v_cmp_gt_i32_e64 s3, s17, v80
	v_mul_f32_e32 v80, s18, v138
	v_cmp_gt_i32_e64 s4, s17, v79
	v_dual_mul_f32 v98, s18, v143 :: v_dual_mul_f32 v79, s18, v141
	v_cmp_gt_i32_e64 s5, s17, v88
	v_cmp_gt_i32_e64 s6, s17, v89
	s_delay_alu instid0(VALU_DEP_4)
	v_cndmask_b32_e64 v80, 0xff7fffff, v80, s4
	v_mul_f32_e32 v89, s18, v118
	v_cndmask_b32_e64 v100, 0xff7fffff, v100, s3
	v_cmp_gt_i32_e64 s7, s17, v91
	v_cmp_gt_i32_e64 s8, s17, v90
	;; [unrolled: 1-line block ×10, first 2 shown]
	v_lshlrev_b32_e32 v101, 2, v77
	v_max3_f32 v76, v76, 0xff7fffff, v78
	v_dual_mul_f32 v78, s18, v140 :: v_dual_mul_f32 v91, s18, v113
	v_cndmask_b32_e64 v79, 0xff7fffff, v79, s6
	v_mul_f32_e32 v90, s18, v112
	s_delay_alu instid0(VALU_DEP_4) | instskip(NEXT) | instid1(VALU_DEP_4)
	v_max3_f32 v76, v76, v80, v100
	v_cndmask_b32_e64 v78, 0xff7fffff, v78, s5
	v_mul_f32_e32 v80, s18, v142
	v_cndmask_b32_e64 v98, 0xff7fffff, v98, s7
	v_mul_f32_e32 v92, s18, v114
	v_cndmask_b32_e64 v90, 0xff7fffff, v90, s9
	v_max3_f32 v76, v76, v78, v79
	v_cndmask_b32_e64 v80, 0xff7fffff, v80, s8
	v_mul_f32_e32 v79, s18, v115
	v_cndmask_b32_e64 v91, 0xff7fffff, v91, s10
	v_mul_f32_e32 v100, s18, v117
	v_mul_f32_e32 v78, s18, v116
	v_max3_f32 v76, v76, v80, v98
	v_cndmask_b32_e64 v80, 0xff7fffff, v92, s11
	v_cndmask_b32_e64 v79, 0xff7fffff, v79, s12
	v_mul_f32_e32 v88, s18, v119
	v_cndmask_b32_e64 v78, 0xff7fffff, v78, s13
	v_max3_f32 v76, v76, v90, v91
	v_cndmask_b32_e64 v90, 0xff7fffff, v100, s15
	s_delay_alu instid0(VALU_DEP_2) | instskip(SKIP_2) | instid1(VALU_DEP_3)
	v_max3_f32 v76, v76, v80, v79
	v_cndmask_b32_e64 v79, 0xff7fffff, v89, s16
	v_cndmask_b32_e64 v80, 0xff7fffff, v88, s17
	v_max3_f32 v76, v76, v78, v90
	s_delay_alu instid0(VALU_DEP_1) | instskip(SKIP_3) | instid1(VALU_DEP_1)
	v_max3_f32 v76, v76, v79, v80
	ds_bpermute_b32 v77, v101, v76
	s_waitcnt lgkmcnt(0)
	v_max_f32_e32 v77, v77, v77
	v_max_f32_e32 v91, v76, v77
	s_delay_alu instid0(VALU_DEP_1)
	v_fma_f32 v77, s18, v137, -v91
	v_fma_f32 v78, s18, v138, -v91
	;; [unrolled: 1-line block ×5, first 2 shown]
	v_mul_f32_e32 v77, 0x3fb8aa3b, v77
	v_fma_f32 v88, s18, v142, -v91
	v_fma_f32 v89, s18, v116, -v91
	v_mul_f32_e32 v79, 0x3fb8aa3b, v79
	v_fma_f32 v100, s18, v118, -v91
	v_exp_f32_e32 v77, v77
	s_delay_alu instid0(VALU_DEP_3) | instskip(NEXT) | instid1(VALU_DEP_3)
	v_dual_mul_f32 v88, 0x3fb8aa3b, v88 :: v_dual_mul_f32 v89, 0x3fb8aa3b, v89
	v_exp_f32_e32 v79, v79
	v_fma_f32 v102, s18, v119, -v91
	s_delay_alu instid0(VALU_DEP_2) | instskip(NEXT) | instid1(VALU_DEP_2)
	v_exp_f32_e32 v88, v88
	v_exp_f32_e32 v89, v89
	s_delay_alu instid0(VALU_DEP_1) | instskip(SKIP_3) | instid1(TRANS32_DEP_3)
	v_mul_f32_e32 v102, 0x3fb8aa3b, v102
	v_cndmask_b32_e64 v92, 0, v77, s2
	v_mul_f32_e32 v78, 0x3fb8aa3b, v78
	s_mov_b32 s2, exec_lo
	v_cndmask_b32_e64 v96, 0, v79, s3
	v_fma_f32 v79, s18, v112, -v91
	v_mul_f32_e32 v80, 0x3fb8aa3b, v80
	v_exp_f32_e32 v78, v78
	v_cndmask_b32_e64 v95, 0, v88, s8
	v_fma_f32 v88, s18, v115, -v91
	v_mul_f32_e32 v79, 0x3fb8aa3b, v79
	v_exp_f32_e32 v80, v80
	v_exp_f32_e32 v102, v102
	s_delay_alu instid0(VALU_DEP_2) | instskip(NEXT) | instid1(VALU_DEP_2)
	v_mul_f32_e32 v88, 0x3fb8aa3b, v88
	v_exp_f32_e32 v79, v79
	v_cndmask_b32_e64 v94, 0, v78, s4
	v_mul_f32_e32 v76, 0x3fb8aa3b, v76
	v_fma_f32 v78, s18, v143, -v91
	v_exp_f32_e32 v88, v88
	v_cndmask_b32_e64 v97, 0, v80, s5
	v_fma_f32 v80, s18, v113, -v91
	v_exp_f32_e32 v76, v76
	s_delay_alu instid0(VALU_DEP_1) | instskip(NEXT) | instid1(VALU_DEP_1)
	v_mul_f32_e32 v80, 0x3fb8aa3b, v80
	v_exp_f32_e32 v80, v80
	s_waitcnt_depctr 0xfff
	v_cndmask_b32_e32 v93, 0, v76, vcc_lo
	v_fma_f32 v76, s18, v141, -v91
	s_delay_alu instid0(VALU_DEP_1) | instskip(NEXT) | instid1(VALU_DEP_1)
	v_dual_add_f32 v77, 0, v93 :: v_dual_mul_f32 v76, 0x3fb8aa3b, v76
	v_add_f32_e32 v77, v77, v92
	s_delay_alu instid0(VALU_DEP_2) | instskip(NEXT) | instid1(VALU_DEP_1)
	v_exp_f32_e32 v76, v76
	v_add_f32_e32 v77, v77, v94
	s_delay_alu instid0(VALU_DEP_1) | instskip(NEXT) | instid1(VALU_DEP_1)
	v_dual_mul_f32 v78, 0x3fb8aa3b, v78 :: v_dual_add_f32 v77, v77, v96
	v_exp_f32_e32 v78, v78
	s_waitcnt_depctr 0xfff
	v_cndmask_b32_e64 v98, 0, v76, s6
	v_add_f32_e32 v76, v77, v97
	v_fma_f32 v77, s18, v114, -v91
	s_delay_alu instid0(VALU_DEP_1) | instskip(SKIP_1) | instid1(VALU_DEP_2)
	v_dual_add_f32 v76, v76, v98 :: v_dual_mul_f32 v77, 0x3fb8aa3b, v77
	v_cndmask_b32_e64 v99, 0, v78, s7
	v_add_f32_e32 v78, v76, v95
	s_delay_alu instid0(VALU_DEP_3) | instskip(SKIP_4) | instid1(VALU_DEP_1)
	v_exp_f32_e32 v90, v77
	v_cndmask_b32_e64 v76, 0, v79, s9
	v_fma_f32 v79, s18, v117, -v91
	v_cndmask_b32_e64 v77, 0, v80, s10
	v_add_f32_e32 v78, v78, v99
	v_dual_mul_f32 v79, 0x3fb8aa3b, v79 :: v_dual_add_f32 v80, v78, v76
	s_waitcnt_depctr 0xfff
	v_cndmask_b32_e64 v78, 0, v90, s11
	v_mul_f32_e32 v90, 0x3fb8aa3b, v100
	v_exp_f32_e32 v100, v79
	v_cndmask_b32_e64 v79, 0, v88, s12
	v_add_f32_e32 v80, v80, v77
	s_delay_alu instid0(VALU_DEP_3) | instskip(NEXT) | instid1(VALU_DEP_1)
	v_exp_f32_e32 v90, v90
	v_add_f32_e32 v88, v80, v78
	v_cndmask_b32_e64 v80, 0, v89, s13
	s_delay_alu instid0(VALU_DEP_2) | instskip(NEXT) | instid1(TRANS32_DEP_2)
	v_add_f32_e32 v89, v88, v79
	v_cndmask_b32_e64 v88, 0, v100, s15
	s_delay_alu instid0(VALU_DEP_2) | instskip(SKIP_3) | instid1(VALU_DEP_1)
	v_add_f32_e32 v100, v89, v80
	s_waitcnt_depctr 0xfff
	v_cndmask_b32_e64 v89, 0, v90, s16
	v_add_f32_e32 v90, v100, v88
	v_add_f32_e32 v100, v90, v89
	v_cndmask_b32_e64 v90, 0, v102, s17
	s_delay_alu instid0(VALU_DEP_1)
	v_add_f32_e32 v100, v100, v90
	ds_bpermute_b32 v101, v101, v100
	v_cmpx_gt_u32_e32 16, v74
	s_cbranch_execz .LBB535_14
; %bb.13:
	v_mul_u32_u24_e32 v74, 0x44, v75
	s_waitcnt lgkmcnt(0)
	v_add_f32_e32 v100, v100, v101
	s_delay_alu instid0(VALU_DEP_2) | instskip(NEXT) | instid1(VALU_DEP_1)
	v_lshl_add_u32 v74, v73, 2, v74
	v_add_nc_u32_e32 v74, 0x4000, v74
	ds_store_2addr_b32 v74, v91, v100 offset1:136
.LBB535_14:
	s_or_b32 exec_lo, exec_lo, s2
	v_lshlrev_b32_e32 v73, 2, v73
	s_waitcnt lgkmcnt(0)
	s_barrier
	buffer_gl0_inv
	v_cmp_eq_u32_e64 s2, 1, v75
	v_add_nc_u32_e32 v91, 0x4000, v73
	ds_load_2addr_b32 v[100:101], v91 offset1:17
	ds_load_2addr_b32 v[102:103], v91 offset0:34 offset1:51
	ds_load_2addr_b32 v[104:105], v91 offset0:68 offset1:85
	;; [unrolled: 1-line block ×4, first 2 shown]
	s_waitcnt lgkmcnt(4)
	v_max3_f32 v73, v100, 0xff7fffff, v101
	s_waitcnt lgkmcnt(3)
	s_delay_alu instid0(VALU_DEP_1) | instskip(SKIP_1) | instid1(VALU_DEP_1)
	v_max3_f32 v73, v73, v102, v103
	s_waitcnt lgkmcnt(2)
	v_max3_f32 v73, v73, v104, v105
	s_waitcnt lgkmcnt(1)
	s_delay_alu instid0(VALU_DEP_1) | instskip(NEXT) | instid1(VALU_DEP_1)
	v_max3_f32 v73, v73, v106, v107
	v_sub_f32_e32 v74, v100, v73
	v_sub_f32_e32 v102, v102, v73
	v_sub_f32_e32 v104, v104, v73
	s_delay_alu instid0(VALU_DEP_3) | instskip(NEXT) | instid1(VALU_DEP_3)
	v_mul_f32_e32 v74, 0x3fb8aa3b, v74
	v_mul_f32_e32 v112, 0x3fb8aa3b, v102
	s_delay_alu instid0(VALU_DEP_3) | instskip(NEXT) | instid1(VALU_DEP_3)
	v_mul_f32_e32 v114, 0x3fb8aa3b, v104
	v_exp_f32_e32 v111, v74
	v_sub_f32_e32 v74, v103, v73
	v_sub_f32_e32 v110, v101, v73
	ds_load_2addr_b32 v[100:101], v91 offset0:170 offset1:187
	v_exp_f32_e32 v112, v112
	v_mul_f32_e32 v113, 0x3fb8aa3b, v74
	v_mul_f32_e32 v110, 0x3fb8aa3b, v110
	s_waitcnt lgkmcnt(1)
	v_fma_f32 v74, v111, v108, 0
	v_sub_f32_e32 v108, v105, v73
	s_delay_alu instid0(VALU_DEP_3) | instskip(SKIP_4) | instid1(VALU_DEP_1)
	v_exp_f32_e32 v110, v110
	v_exp_f32_e32 v113, v113
	s_waitcnt_depctr 0xfff
	v_fmac_f32_e32 v74, v110, v109
	s_waitcnt lgkmcnt(0)
	v_fmac_f32_e32 v74, v112, v100
	ds_load_2addr_b32 v[102:103], v91 offset0:204 offset1:221
	ds_load_2addr_b32 v[104:105], v91 offset0:238 offset1:255
	v_dual_sub_f32 v91, v106, v73 :: v_dual_mul_f32 v106, 0x3fb8aa3b, v108
	v_exp_f32_e32 v108, v114
	v_sub_f32_e32 v100, v107, v73
	s_delay_alu instid0(VALU_DEP_2) | instskip(NEXT) | instid1(VALU_DEP_3)
	v_dual_fmac_f32 v74, v113, v101 :: v_dual_mul_f32 v91, 0x3fb8aa3b, v91
	v_exp_f32_e32 v106, v106
	s_waitcnt lgkmcnt(0)
	s_delay_alu instid0(VALU_DEP_2)
	v_mul_f32_e32 v100, 0x3fb8aa3b, v100
	s_barrier
	v_exp_f32_e32 v91, v91
	buffer_gl0_inv
	v_exp_f32_e32 v100, v100
	v_fmac_f32_e32 v74, v108, v102
	s_delay_alu instid0(VALU_DEP_1) | instskip(NEXT) | instid1(VALU_DEP_1)
	v_fmac_f32_e32 v74, v106, v103
	v_fmac_f32_e32 v74, v91, v104
	s_waitcnt_depctr 0xfff
	v_fmac_f32_e32 v74, v100, v105
	s_delay_alu instid0(VALU_DEP_1) | instskip(NEXT) | instid1(VALU_DEP_1)
	v_add_f32_e32 v101, 0x358637bd, v74
	v_div_scale_f32 v102, null, v101, v101, 1.0
	v_div_scale_f32 v105, vcc_lo, 1.0, v101, 1.0
	s_delay_alu instid0(VALU_DEP_2) | instskip(SKIP_2) | instid1(VALU_DEP_1)
	v_rcp_f32_e32 v103, v102
	s_waitcnt_depctr 0xfff
	v_fma_f32 v104, -v102, v103, 1.0
	v_fmac_f32_e32 v103, v104, v103
	v_cndmask_b32_e64 v104, v111, v110, s2
	v_cmp_eq_u32_e64 s2, 2, v75
	s_delay_alu instid0(VALU_DEP_3) | instskip(NEXT) | instid1(VALU_DEP_2)
	v_mul_f32_e32 v107, v105, v103
	v_cndmask_b32_e64 v104, v104, v112, s2
	v_cmp_eq_u32_e64 s2, 3, v75
	s_delay_alu instid0(VALU_DEP_3) | instskip(NEXT) | instid1(VALU_DEP_2)
	v_fma_f32 v109, -v102, v107, v105
	v_cndmask_b32_e64 v104, v104, v113, s2
	v_cmp_eq_u32_e64 s2, 4, v75
	s_delay_alu instid0(VALU_DEP_3) | instskip(NEXT) | instid1(VALU_DEP_2)
	v_fmac_f32_e32 v107, v109, v103
	v_cndmask_b32_e64 v104, v104, v108, s2
	s_delay_alu instid0(VALU_DEP_2) | instskip(SKIP_1) | instid1(VALU_DEP_2)
	v_fma_f32 v102, -v102, v107, v105
	v_cmp_eq_u32_e64 s2, 5, v75
	v_div_fmas_f32 v102, v102, v103, v107
	s_delay_alu instid0(VALU_DEP_2) | instskip(SKIP_2) | instid1(VALU_DEP_3)
	v_cndmask_b32_e64 v104, v104, v106, s2
	v_cmp_eq_u32_e32 vcc_lo, 6, v75
	s_mov_b32 s2, exec_lo
	v_div_fixup_f32 v101, v102, v101, 1.0
	s_delay_alu instid0(VALU_DEP_3) | instskip(SKIP_1) | instid1(VALU_DEP_2)
	v_cndmask_b32_e32 v91, v104, v91, vcc_lo
	v_cmp_eq_u32_e32 vcc_lo, 7, v75
	v_cndmask_b32_e32 v91, v91, v100, vcc_lo
	s_delay_alu instid0(VALU_DEP_1) | instskip(NEXT) | instid1(VALU_DEP_1)
	v_mul_f32_e32 v91, v91, v101
	v_mul_f32_e32 v101, v91, v93
	;; [unrolled: 1-line block ×6, first 2 shown]
	v_dual_mul_f32 v97, v91, v94 :: v_dual_and_b32 v102, 0x7f800000, v101
	v_mul_f32_e32 v100, v91, v96
	v_mul_f32_e32 v96, v91, v92
                                        ; implicit-def: $vgpr92
	s_delay_alu instid0(VALU_DEP_3)
	v_cmpx_ne_u32_e32 0x7f800000, v102
	s_xor_b32 s2, exec_lo, s2
; %bb.15:
	v_bfe_u32 v92, v101, 16, 1
	s_delay_alu instid0(VALU_DEP_1)
	v_add3_u32 v92, v101, v92, 0x7fff
                                        ; implicit-def: $vgpr101
; %bb.16:
	s_and_not1_saveexec_b32 s2, s2
; %bb.17:
	v_and_b32_e32 v92, 0xffff, v101
	v_or_b32_e32 v94, 0x10000, v101
	s_delay_alu instid0(VALU_DEP_2) | instskip(NEXT) | instid1(VALU_DEP_2)
	v_cmp_eq_u32_e32 vcc_lo, 0, v92
	v_cndmask_b32_e32 v92, v94, v101, vcc_lo
; %bb.18:
	s_or_b32 exec_lo, exec_lo, s2
	v_and_b32_e32 v94, 0x7f800000, v96
	s_delay_alu instid0(VALU_DEP_1) | instskip(SKIP_1) | instid1(SALU_CYCLE_1)
	v_cmp_ne_u32_e32 vcc_lo, 0x7f800000, v94
                                        ; implicit-def: $vgpr94
	s_and_saveexec_b32 s2, vcc_lo
	s_xor_b32 s2, exec_lo, s2
; %bb.19:
	v_bfe_u32 v94, v96, 16, 1
	s_delay_alu instid0(VALU_DEP_1)
	v_add3_u32 v94, v96, v94, 0x7fff
                                        ; implicit-def: $vgpr96
; %bb.20:
	s_and_not1_saveexec_b32 s2, s2
; %bb.21:
	v_and_b32_e32 v94, 0xffff, v96
	v_or_b32_e32 v101, 0x10000, v96
	s_delay_alu instid0(VALU_DEP_2) | instskip(NEXT) | instid1(VALU_DEP_2)
	v_cmp_eq_u32_e32 vcc_lo, 0, v94
	v_cndmask_b32_e32 v94, v101, v96, vcc_lo
; %bb.22:
	s_or_b32 exec_lo, exec_lo, s2
	v_and_b32_e32 v96, 0x7f800000, v97
	s_delay_alu instid0(VALU_DEP_1) | instskip(SKIP_1) | instid1(SALU_CYCLE_1)
	v_cmp_ne_u32_e32 vcc_lo, 0x7f800000, v96
                                        ; implicit-def: $vgpr96
	s_and_saveexec_b32 s2, vcc_lo
	s_xor_b32 s2, exec_lo, s2
; %bb.23:
	v_bfe_u32 v96, v97, 16, 1
	s_delay_alu instid0(VALU_DEP_1)
	v_add3_u32 v96, v97, v96, 0x7fff
                                        ; implicit-def: $vgpr97
; %bb.24:
	s_and_not1_saveexec_b32 s2, s2
; %bb.25:
	v_and_b32_e32 v96, 0xffff, v97
	v_or_b32_e32 v101, 0x10000, v97
	s_delay_alu instid0(VALU_DEP_2) | instskip(NEXT) | instid1(VALU_DEP_2)
	v_cmp_eq_u32_e32 vcc_lo, 0, v96
	v_cndmask_b32_e32 v96, v101, v97, vcc_lo
; %bb.26:
	s_or_b32 exec_lo, exec_lo, s2
	v_and_b32_e32 v97, 0x7f800000, v100
	s_delay_alu instid0(VALU_DEP_1) | instskip(SKIP_1) | instid1(SALU_CYCLE_1)
	v_cmp_ne_u32_e32 vcc_lo, 0x7f800000, v97
                                        ; implicit-def: $vgpr97
	s_and_saveexec_b32 s2, vcc_lo
	s_xor_b32 s2, exec_lo, s2
; %bb.27:
	v_bfe_u32 v97, v100, 16, 1
	s_delay_alu instid0(VALU_DEP_1)
	v_add3_u32 v97, v100, v97, 0x7fff
                                        ; implicit-def: $vgpr100
; %bb.28:
	s_and_not1_saveexec_b32 s2, s2
; %bb.29:
	v_and_b32_e32 v97, 0xffff, v100
	v_or_b32_e32 v101, 0x10000, v100
	s_delay_alu instid0(VALU_DEP_2) | instskip(NEXT) | instid1(VALU_DEP_2)
	v_cmp_eq_u32_e32 vcc_lo, 0, v97
	v_cndmask_b32_e32 v97, v101, v100, vcc_lo
; %bb.30:
	s_or_b32 exec_lo, exec_lo, s2
	v_and_b32_e32 v100, 0x7f800000, v99
	s_delay_alu instid0(VALU_DEP_1) | instskip(SKIP_1) | instid1(SALU_CYCLE_1)
	v_cmp_ne_u32_e32 vcc_lo, 0x7f800000, v100
                                        ; implicit-def: $vgpr100
	s_and_saveexec_b32 s2, vcc_lo
	s_xor_b32 s2, exec_lo, s2
; %bb.31:
	v_bfe_u32 v100, v99, 16, 1
	s_delay_alu instid0(VALU_DEP_1)
	v_add3_u32 v100, v99, v100, 0x7fff
                                        ; implicit-def: $vgpr99
; %bb.32:
	s_and_not1_saveexec_b32 s2, s2
; %bb.33:
	v_and_b32_e32 v100, 0xffff, v99
	v_or_b32_e32 v101, 0x10000, v99
	s_delay_alu instid0(VALU_DEP_2) | instskip(NEXT) | instid1(VALU_DEP_2)
	v_cmp_eq_u32_e32 vcc_lo, 0, v100
	v_cndmask_b32_e32 v100, v101, v99, vcc_lo
; %bb.34:
	s_or_b32 exec_lo, exec_lo, s2
	v_and_b32_e32 v99, 0x7f800000, v98
	s_delay_alu instid0(VALU_DEP_1) | instskip(SKIP_1) | instid1(SALU_CYCLE_1)
	v_cmp_ne_u32_e32 vcc_lo, 0x7f800000, v99
                                        ; implicit-def: $vgpr99
	s_and_saveexec_b32 s2, vcc_lo
	s_xor_b32 s2, exec_lo, s2
; %bb.35:
	v_bfe_u32 v99, v98, 16, 1
	s_delay_alu instid0(VALU_DEP_1)
	v_add3_u32 v99, v98, v99, 0x7fff
                                        ; implicit-def: $vgpr98
; %bb.36:
	s_and_not1_saveexec_b32 s2, s2
; %bb.37:
	v_and_b32_e32 v99, 0xffff, v98
	v_or_b32_e32 v101, 0x10000, v98
	s_delay_alu instid0(VALU_DEP_2) | instskip(NEXT) | instid1(VALU_DEP_2)
	v_cmp_eq_u32_e32 vcc_lo, 0, v99
	v_cndmask_b32_e32 v99, v101, v98, vcc_lo
; %bb.38:
	s_or_b32 exec_lo, exec_lo, s2
	v_and_b32_e32 v98, 0x7f800000, v95
	s_delay_alu instid0(VALU_DEP_1) | instskip(SKIP_1) | instid1(SALU_CYCLE_1)
	v_cmp_ne_u32_e32 vcc_lo, 0x7f800000, v98
                                        ; implicit-def: $vgpr98
	s_and_saveexec_b32 s2, vcc_lo
	s_xor_b32 s2, exec_lo, s2
; %bb.39:
	v_bfe_u32 v98, v95, 16, 1
	s_delay_alu instid0(VALU_DEP_1)
	v_add3_u32 v98, v95, v98, 0x7fff
                                        ; implicit-def: $vgpr95
; %bb.40:
	s_and_not1_saveexec_b32 s2, s2
; %bb.41:
	v_and_b32_e32 v98, 0xffff, v95
	v_or_b32_e32 v101, 0x10000, v95
	s_delay_alu instid0(VALU_DEP_2) | instskip(NEXT) | instid1(VALU_DEP_2)
	v_cmp_eq_u32_e32 vcc_lo, 0, v98
	v_cndmask_b32_e32 v98, v101, v95, vcc_lo
; %bb.42:
	s_or_b32 exec_lo, exec_lo, s2
	v_and_b32_e32 v95, 0x7f800000, v93
	s_delay_alu instid0(VALU_DEP_1) | instskip(SKIP_1) | instid1(SALU_CYCLE_1)
	v_cmp_ne_u32_e32 vcc_lo, 0x7f800000, v95
                                        ; implicit-def: $vgpr95
	s_and_saveexec_b32 s2, vcc_lo
	s_xor_b32 s2, exec_lo, s2
; %bb.43:
	v_bfe_u32 v95, v93, 16, 1
	s_delay_alu instid0(VALU_DEP_1)
	v_add3_u32 v95, v93, v95, 0x7fff
                                        ; implicit-def: $vgpr93
; %bb.44:
	s_and_not1_saveexec_b32 s2, s2
; %bb.45:
	v_and_b32_e32 v95, 0xffff, v93
	v_or_b32_e32 v101, 0x10000, v93
	s_delay_alu instid0(VALU_DEP_2) | instskip(NEXT) | instid1(VALU_DEP_2)
	v_cmp_eq_u32_e32 vcc_lo, 0, v95
	v_cndmask_b32_e32 v95, v101, v93, vcc_lo
; %bb.46:
	s_or_b32 exec_lo, exec_lo, s2
	s_load_b64 s[34:35], s[0:1], 0x94
	v_lshlrev_b32_e32 v93, 4, v86
	s_delay_alu instid0(VALU_DEP_2)
	v_perm_b32 v101, v95, v98, 0x7060302
	v_dual_mul_f32 v90, v91, v90 :: v_dual_lshlrev_b32 v95, 11, v75
	v_perm_b32 v98, v94, v92, 0x7060302
	v_mul_f32_e32 v94, v91, v76
	v_perm_b32 v100, v99, v100, 0x7060302
	v_perm_b32 v99, v97, v96, 0x7060302
	v_or3_b32 v76, v93, v95, v87
	v_mul_f32_e32 v89, v91, v89
	v_dual_mul_f32 v88, v91, v88 :: v_dual_and_b32 v95, 0x7f800000, v94
	v_mul_f32_e32 v80, v91, v80
	v_mul_f32_e32 v92, v91, v79
	;; [unrolled: 1-line block ×4, first 2 shown]
	s_mov_b32 s2, exec_lo
	ds_store_b128 v76, v[98:101]
                                        ; implicit-def: $vgpr77
	v_cmpx_ne_u32_e32 0x7f800000, v95
	s_xor_b32 s2, exec_lo, s2
; %bb.47:
	v_bfe_u32 v77, v94, 16, 1
	s_delay_alu instid0(VALU_DEP_1)
	v_add3_u32 v77, v94, v77, 0x7fff
                                        ; implicit-def: $vgpr94
; %bb.48:
	s_and_not1_saveexec_b32 s2, s2
; %bb.49:
	v_and_b32_e32 v77, 0xffff, v94
	v_or_b32_e32 v78, 0x10000, v94
	s_delay_alu instid0(VALU_DEP_2) | instskip(NEXT) | instid1(VALU_DEP_2)
	v_cmp_eq_u32_e32 vcc_lo, 0, v77
	v_cndmask_b32_e32 v77, v78, v94, vcc_lo
; %bb.50:
	s_or_b32 exec_lo, exec_lo, s2
	v_and_b32_e32 v78, 0x7f800000, v79
	s_delay_alu instid0(VALU_DEP_1) | instskip(SKIP_1) | instid1(SALU_CYCLE_1)
	v_cmp_ne_u32_e32 vcc_lo, 0x7f800000, v78
                                        ; implicit-def: $vgpr78
	s_and_saveexec_b32 s2, vcc_lo
	s_xor_b32 s2, exec_lo, s2
; %bb.51:
	v_bfe_u32 v78, v79, 16, 1
	s_delay_alu instid0(VALU_DEP_1)
	v_add3_u32 v78, v79, v78, 0x7fff
                                        ; implicit-def: $vgpr79
; %bb.52:
	s_and_not1_saveexec_b32 s2, s2
; %bb.53:
	v_and_b32_e32 v78, 0xffff, v79
	v_or_b32_e32 v91, 0x10000, v79
	s_delay_alu instid0(VALU_DEP_2) | instskip(NEXT) | instid1(VALU_DEP_2)
	v_cmp_eq_u32_e32 vcc_lo, 0, v78
	v_cndmask_b32_e32 v78, v91, v79, vcc_lo
; %bb.54:
	s_or_b32 exec_lo, exec_lo, s2
	v_and_b32_e32 v79, 0x7f800000, v93
	s_delay_alu instid0(VALU_DEP_1) | instskip(SKIP_1) | instid1(SALU_CYCLE_1)
	v_cmp_ne_u32_e32 vcc_lo, 0x7f800000, v79
                                        ; implicit-def: $vgpr79
	s_and_saveexec_b32 s2, vcc_lo
	s_xor_b32 s2, exec_lo, s2
; %bb.55:
	v_bfe_u32 v79, v93, 16, 1
	s_delay_alu instid0(VALU_DEP_1)
	v_add3_u32 v79, v93, v79, 0x7fff
                                        ; implicit-def: $vgpr93
; %bb.56:
	s_and_not1_saveexec_b32 s2, s2
; %bb.57:
	v_and_b32_e32 v79, 0xffff, v93
	v_or_b32_e32 v91, 0x10000, v93
	s_delay_alu instid0(VALU_DEP_2) | instskip(NEXT) | instid1(VALU_DEP_2)
	v_cmp_eq_u32_e32 vcc_lo, 0, v79
	v_cndmask_b32_e32 v79, v91, v93, vcc_lo
; %bb.58:
	s_or_b32 exec_lo, exec_lo, s2
	v_and_b32_e32 v91, 0x7f800000, v92
	s_delay_alu instid0(VALU_DEP_1) | instskip(SKIP_1) | instid1(SALU_CYCLE_1)
	v_cmp_ne_u32_e32 vcc_lo, 0x7f800000, v91
                                        ; implicit-def: $vgpr91
	s_and_saveexec_b32 s2, vcc_lo
	s_xor_b32 s2, exec_lo, s2
; %bb.59:
	v_bfe_u32 v91, v92, 16, 1
	s_delay_alu instid0(VALU_DEP_1)
	v_add3_u32 v91, v92, v91, 0x7fff
                                        ; implicit-def: $vgpr92
; %bb.60:
	s_and_not1_saveexec_b32 s2, s2
; %bb.61:
	v_and_b32_e32 v91, 0xffff, v92
	v_or_b32_e32 v93, 0x10000, v92
	s_delay_alu instid0(VALU_DEP_2) | instskip(NEXT) | instid1(VALU_DEP_2)
	v_cmp_eq_u32_e32 vcc_lo, 0, v91
	v_cndmask_b32_e32 v91, v93, v92, vcc_lo
; %bb.62:
	s_or_b32 exec_lo, exec_lo, s2
	v_and_b32_e32 v92, 0x7f800000, v80
	s_delay_alu instid0(VALU_DEP_1) | instskip(SKIP_1) | instid1(SALU_CYCLE_1)
	v_cmp_ne_u32_e32 vcc_lo, 0x7f800000, v92
                                        ; implicit-def: $vgpr92
	s_and_saveexec_b32 s2, vcc_lo
	s_xor_b32 s2, exec_lo, s2
; %bb.63:
	v_bfe_u32 v92, v80, 16, 1
	s_delay_alu instid0(VALU_DEP_1)
	v_add3_u32 v92, v80, v92, 0x7fff
                                        ; implicit-def: $vgpr80
; %bb.64:
	s_and_not1_saveexec_b32 s2, s2
; %bb.65:
	v_and_b32_e32 v92, 0xffff, v80
	v_or_b32_e32 v93, 0x10000, v80
	s_delay_alu instid0(VALU_DEP_2) | instskip(NEXT) | instid1(VALU_DEP_2)
	v_cmp_eq_u32_e32 vcc_lo, 0, v92
	v_cndmask_b32_e32 v92, v93, v80, vcc_lo
; %bb.66:
	s_or_b32 exec_lo, exec_lo, s2
	v_and_b32_e32 v80, 0x7f800000, v88
	s_delay_alu instid0(VALU_DEP_1) | instskip(SKIP_1) | instid1(SALU_CYCLE_1)
	v_cmp_ne_u32_e32 vcc_lo, 0x7f800000, v80
                                        ; implicit-def: $vgpr80
	s_and_saveexec_b32 s2, vcc_lo
	s_xor_b32 s2, exec_lo, s2
; %bb.67:
	v_bfe_u32 v80, v88, 16, 1
	s_delay_alu instid0(VALU_DEP_1)
	v_add3_u32 v80, v88, v80, 0x7fff
                                        ; implicit-def: $vgpr88
; %bb.68:
	s_and_not1_saveexec_b32 s2, s2
; %bb.69:
	v_and_b32_e32 v80, 0xffff, v88
	v_or_b32_e32 v93, 0x10000, v88
	s_delay_alu instid0(VALU_DEP_2) | instskip(NEXT) | instid1(VALU_DEP_2)
	v_cmp_eq_u32_e32 vcc_lo, 0, v80
	v_cndmask_b32_e32 v80, v93, v88, vcc_lo
; %bb.70:
	s_or_b32 exec_lo, exec_lo, s2
	v_and_b32_e32 v88, 0x7f800000, v89
	s_delay_alu instid0(VALU_DEP_1) | instskip(SKIP_1) | instid1(SALU_CYCLE_1)
	v_cmp_ne_u32_e32 vcc_lo, 0x7f800000, v88
                                        ; implicit-def: $vgpr88
	s_and_saveexec_b32 s2, vcc_lo
	s_xor_b32 s2, exec_lo, s2
; %bb.71:
	v_bfe_u32 v88, v89, 16, 1
	s_delay_alu instid0(VALU_DEP_1)
	v_add3_u32 v88, v89, v88, 0x7fff
                                        ; implicit-def: $vgpr89
; %bb.72:
	s_and_not1_saveexec_b32 s2, s2
; %bb.73:
	v_and_b32_e32 v88, 0xffff, v89
	v_or_b32_e32 v93, 0x10000, v89
	s_delay_alu instid0(VALU_DEP_2) | instskip(NEXT) | instid1(VALU_DEP_2)
	v_cmp_eq_u32_e32 vcc_lo, 0, v88
	v_cndmask_b32_e32 v88, v93, v89, vcc_lo
; %bb.74:
	s_or_b32 exec_lo, exec_lo, s2
	v_and_b32_e32 v89, 0x7f800000, v90
	s_delay_alu instid0(VALU_DEP_1) | instskip(SKIP_1) | instid1(SALU_CYCLE_1)
	v_cmp_ne_u32_e32 vcc_lo, 0x7f800000, v89
                                        ; implicit-def: $vgpr89
	s_and_saveexec_b32 s2, vcc_lo
	s_xor_b32 s2, exec_lo, s2
; %bb.75:
	v_bfe_u32 v89, v90, 16, 1
	s_delay_alu instid0(VALU_DEP_1)
	v_add3_u32 v89, v90, v89, 0x7fff
                                        ; implicit-def: $vgpr90
; %bb.76:
	s_and_not1_saveexec_b32 s2, s2
; %bb.77:
	v_and_b32_e32 v89, 0xffff, v90
	v_or_b32_e32 v93, 0x10000, v90
	s_delay_alu instid0(VALU_DEP_2) | instskip(NEXT) | instid1(VALU_DEP_2)
	v_cmp_eq_u32_e32 vcc_lo, 0, v89
	v_cndmask_b32_e32 v89, v93, v90, vcc_lo
; %bb.78:
	s_or_b32 exec_lo, exec_lo, s2
	s_delay_alu instid0(VALU_DEP_1)
	v_perm_b32 v96, v89, v88, 0x7060302
	v_perm_b32 v95, v80, v92, 0x7060302
	;; [unrolled: 1-line block ×4, first 2 shown]
	v_lshl_or_b32 v92, v75, 11, v87
	v_lshlrev_b32_e32 v89, 2, v86
	ds_store_b128 v76, v[93:96] offset:1024
	s_waitcnt lgkmcnt(0)
	s_barrier
	buffer_gl0_inv
	ds_load_b128 v[77:80], v92
	ds_load_b128 v[93:96], v92 offset:16
	v_or_b32_e32 v90, 1, v89
	v_cmp_eq_u32_e32 vcc_lo, 1, v89
	v_cmp_eq_u32_e64 s3, 2, v89
	v_cmp_eq_u32_e64 s6, 3, v89
	;; [unrolled: 1-line block ×6, first 2 shown]
	v_or_b32_e32 v88, 2, v89
	v_cmp_eq_u32_e64 s9, 5, v89
	v_cmp_eq_u32_e64 s10, 4, v90
	;; [unrolled: 1-line block ×9, first 2 shown]
	s_waitcnt lgkmcnt(1)
	v_lshrrev_b32_e32 v75, 16, v77
	s_waitcnt lgkmcnt(0)
	v_lshrrev_b32_e32 v101, 16, v93
	v_lshrrev_b32_e32 v110, 16, v96
	;; [unrolled: 1-line block ×4, first 2 shown]
	v_cndmask_b32_e32 v91, v77, v75, vcc_lo
	v_cndmask_b32_e32 v97, v93, v101, vcc_lo
	v_cndmask_b32_e64 v98, v77, v75, s2
	v_lshrrev_b32_e32 v106, 16, v79
	v_lshrrev_b32_e32 v109, 16, v95
	v_cndmask_b32_e64 v91, v91, v78, s3
	v_cndmask_b32_e64 v97, v97, v94, s3
	;; [unrolled: 1-line block ×4, first 2 shown]
	v_lshrrev_b32_e32 v107, 16, v80
	v_cndmask_b32_e64 v91, v91, v105, s6
	v_cndmask_b32_e64 v97, v97, v108, s6
	;; [unrolled: 1-line block ×9, first 2 shown]
	v_cmp_eq_u32_e64 s18, 3, v88
	v_cndmask_b32_e64 v91, v91, v106, s9
	v_cndmask_b32_e64 v97, v97, v109, s9
	;; [unrolled: 1-line block ×4, first 2 shown]
	v_cmp_eq_u32_e64 s19, 4, v88
	v_cndmask_b32_e64 v91, v91, v80, s11
	v_cndmask_b32_e64 v97, v97, v96, s11
	;; [unrolled: 1-line block ×3, first 2 shown]
	v_cmp_eq_u32_e64 s21, 5, v88
	v_cmp_eq_u32_e64 s23, 6, v88
	v_cndmask_b32_e64 v111, v91, v107, s13
	v_cndmask_b32_e64 v112, v97, v110, s13
	;; [unrolled: 1-line block ×6, first 2 shown]
	v_cmp_eq_u32_e64 s26, 7, v88
	v_cndmask_b32_e64 v99, v91, v105, s18
	v_cndmask_b32_e64 v97, v97, v94, s16
	v_or_b32_e32 v91, 3, v89
	v_cndmask_b32_e64 v114, v98, v96, s15
	s_delay_alu instid0(VALU_DEP_4) | instskip(NEXT) | instid1(VALU_DEP_4)
	v_cndmask_b32_e64 v102, v99, v79, s19
	v_cndmask_b32_e64 v103, v97, v108, s18
	s_delay_alu instid0(VALU_DEP_4)
	v_cmp_eq_u32_e64 s20, 1, v91
	ds_load_b128 v[97:100], v92 offset:1024
	v_cmp_eq_u32_e64 s22, 2, v91
	v_cndmask_b32_e64 v115, v102, v106, s21
	v_cmp_eq_u32_e64 s24, 3, v91
	v_cndmask_b32_e64 v75, v77, v75, s20
	v_cndmask_b32_e64 v77, v103, v95, s19
	;; [unrolled: 1-line block ×3, first 2 shown]
	ds_load_b128 v[101:104], v92 offset:1040
	v_cmp_eq_u32_e64 s25, 4, v91
	v_cndmask_b32_e64 v75, v75, v78, s22
	v_cmp_eq_u32_e64 s27, 5, v91
	v_cndmask_b32_e64 v78, v93, v94, s22
	v_cndmask_b32_e64 v94, v115, v80, s23
	;; [unrolled: 1-line block ×4, first 2 shown]
	v_cmp_eq_u32_e64 s28, 6, v91
	v_cndmask_b32_e64 v78, v78, v108, s24
	v_cndmask_b32_e64 v93, v114, v110, s17
	;; [unrolled: 1-line block ×4, first 2 shown]
	s_waitcnt lgkmcnt(1)
	v_lshrrev_b32_e32 v105, 16, v97
	v_cndmask_b32_e64 v78, v78, v95, s25
	v_cndmask_b32_e64 v79, v94, v107, s26
	v_cndmask_b32_e64 v77, v77, v110, s26
	v_cndmask_b32_e64 v75, v75, v106, s27
	v_cndmask_b32_e32 v94, v97, v105, vcc_lo
	v_cndmask_b32_e64 v78, v78, v109, s27
	s_waitcnt lgkmcnt(0)
	v_lshrrev_b32_e32 v95, 16, v101
	v_lshrrev_b32_e32 v106, 16, v98
	v_cndmask_b32_e64 v108, v97, v105, s2
	v_cndmask_b32_e64 v94, v94, v98, s3
	v_cndmask_b32_e64 v75, v75, v80, s28
	v_cndmask_b32_e32 v109, v101, v95, vcc_lo
	v_cndmask_b32_e64 v78, v78, v96, s28
	v_cmp_eq_u32_e32 vcc_lo, 7, v91
	v_cndmask_b32_e64 v80, v94, v106, s6
	v_cndmask_b32_e64 v94, v108, v98, s5
	;; [unrolled: 1-line block ×3, first 2 shown]
	v_lshrrev_b32_e32 v108, 16, v102
	v_cndmask_b32_e32 v78, v78, v110, vcc_lo
	v_lshrrev_b32_e32 v110, 16, v103
	v_cndmask_b32_e64 v80, v80, v99, s8
	v_lshrrev_b32_e32 v109, 16, v99
	v_cndmask_b32_e64 v96, v96, v108, s6
	v_cndmask_b32_e32 v75, v75, v107, vcc_lo
	v_perm_b32 v79, v77, v79, 0x5040100
	v_cndmask_b32_e64 v94, v94, v106, s7
	v_cndmask_b32_e64 v107, v80, v109, s9
	;; [unrolled: 1-line block ×3, first 2 shown]
	v_perm_b32 v80, v78, v75, 0x5040100
	v_perm_b32 v78, v93, v113, 0x5040100
	v_cndmask_b32_e64 v113, v101, v95, s4
	v_cndmask_b32_e64 v94, v94, v99, s10
	;; [unrolled: 1-line block ×3, first 2 shown]
	s_delay_alu instid0(VALU_DEP_2) | instskip(NEXT) | instid1(VALU_DEP_2)
	v_cndmask_b32_e64 v75, v94, v109, s12
	v_cndmask_b32_e64 v77, v96, v104, s11
	;; [unrolled: 1-line block ×22, first 2 shown]
	v_lshrrev_b32_e32 v107, 16, v100
	v_cndmask_b32_e64 v96, v96, v109, s21
	v_cndmask_b32_e64 v97, v97, v109, s27
	v_cndmask_b32_e64 v98, v98, v110, s27
	v_cndmask_b32_e64 v99, v99, v110, s21
	v_cndmask_b32_e64 v95, v95, v110, s12
	v_cndmask_b32_e64 v75, v75, v100, s15
	v_cndmask_b32_e64 v93, v94, v107, s13
	v_lshrrev_b32_e32 v94, 16, v104
	v_cndmask_b32_e64 v96, v96, v100, s23
	v_cndmask_b32_e64 v97, v97, v100, s28
	;; [unrolled: 1-line block ×7, first 2 shown]
	v_dual_cndmask_b32 v96, v97, v107 :: v_dual_cndmask_b32 v97, v98, v94
	v_cndmask_b32_e64 v98, v99, v94, s26
	v_cndmask_b32_e64 v99, v95, v94, s17
	;; [unrolled: 1-line block ×3, first 2 shown]
	v_perm_b32 v77, v112, v111, 0x5040100
	v_perm_b32 v96, v97, v96, 0x5040100
	;; [unrolled: 1-line block ×5, first 2 shown]
	s_lshl_b32 s7, s35, 1
	s_mov_b32 s2, exec_lo
	ds_store_b128 v76, v[77:80]
	ds_store_b128 v76, v[93:96] offset:1024
	v_cmpx_gt_u32_e32 2, v0
	s_cbranch_execz .LBB535_80
; %bb.79:
	v_or_b32_e32 v75, s31, v0
	s_load_b128 s[8:11], s[0:1], 0x58
	s_delay_alu instid0(VALU_DEP_1) | instskip(NEXT) | instid1(VALU_DEP_1)
	v_mad_u64_u32 v[76:77], null, s7, s30, v[75:76]
	v_mad_u64_u32 v[77:78], null, v76, s34, s[14:15]
	s_delay_alu instid0(VALU_DEP_1) | instskip(NEXT) | instid1(VALU_DEP_1)
	v_ashrrev_i32_e32 v78, 31, v77
	v_lshlrev_b64 v[75:76], 2, v[77:78]
	s_waitcnt lgkmcnt(0)
	s_delay_alu instid0(VALU_DEP_1) | instskip(NEXT) | instid1(VALU_DEP_2)
	v_add_co_u32 v77, vcc_lo, s10, v75
	v_add_co_ci_u32_e32 v78, vcc_lo, s11, v76, vcc_lo
	v_add_co_u32 v75, vcc_lo, s8, v75
	v_add_co_ci_u32_e32 v76, vcc_lo, s9, v76, vcc_lo
	global_store_b32 v[77:78], v73, off
	global_store_b32 v[75:76], v74, off
.LBB535_80:
	s_or_b32 exec_lo, exec_lo, s2
	s_waitcnt lgkmcnt(0)
	s_waitcnt_vscnt null, 0x0
	s_barrier
	buffer_gl0_inv
	ds_load_b128 v[93:96], v87
	ds_load_b128 v[97:100], v87 offset:16
	ds_load_b128 v[105:108], v87 offset:1040
	;; [unrolled: 1-line block ×3, first 2 shown]
	v_mov_b32_e32 v73, 0
	ds_load_b128 v[113:116], v87 offset:2064
	ds_load_b128 v[109:112], v87 offset:2048
	ds_load_b128 v[121:124], v87 offset:3088
	ds_load_b128 v[117:120], v87 offset:3072
	ds_load_b128 v[129:132], v87 offset:4112
	ds_load_b128 v[125:128], v87 offset:4096
	v_mov_b32_e32 v74, v73
	v_mov_b32_e32 v75, v73
	;; [unrolled: 1-line block ×7, first 2 shown]
	s_waitcnt lgkmcnt(8)
	s_delay_alu instid0(VALU_DEP_1)
	v_wmma_f32_16x16x16_bf16 v[73:80], v[65:72], v[93:100], v[73:80]
	ds_load_b128 v[69:72], v87 offset:5136
	ds_load_b128 v[65:68], v87 offset:5120
	;; [unrolled: 1-line block ×4, first 2 shown]
	s_waitcnt lgkmcnt(10)
	v_wmma_f32_16x16x16_bf16 v[73:80], v[57:64], v[101:108], v[73:80]
	s_waitcnt lgkmcnt(8)
	s_delay_alu instid0(VALU_DEP_1)
	v_wmma_f32_16x16x16_bf16 v[73:80], v[57:64], v[109:116], v[73:80]
	ds_load_b128 v[61:64], v87 offset:7184
	ds_load_b128 v[57:60], v87 offset:7168
	;; [unrolled: 1-line block ×4, first 2 shown]
	s_waitcnt lgkmcnt(10)
	v_wmma_f32_16x16x16_bf16 v[73:80], v[49:56], v[117:124], v[73:80]
	s_waitcnt lgkmcnt(8)
	s_delay_alu instid0(VALU_DEP_1)
	v_wmma_f32_16x16x16_bf16 v[73:80], v[49:56], v[125:132], v[73:80]
	ds_load_b128 v[53:56], v87 offset:9232
	ds_load_b128 v[49:52], v87 offset:9216
	s_waitcnt lgkmcnt(8)
	v_wmma_f32_16x16x16_bf16 v[73:80], v[41:48], v[65:72], v[73:80]
	ds_load_b128 v[69:72], v87 offset:10256
	ds_load_b128 v[65:68], v87 offset:10240
	s_waitcnt lgkmcnt(8)
	;; [unrolled: 4-line block ×3, first 2 shown]
	v_wmma_f32_16x16x16_bf16 v[73:80], v[9:16], v[57:64], v[73:80]
	s_waitcnt lgkmcnt(6)
	s_delay_alu instid0(VALU_DEP_1)
	v_wmma_f32_16x16x16_bf16 v[73:80], v[9:16], v[101:108], v[73:80]
	ds_load_b128 v[13:16], v87 offset:12304
	ds_load_b128 v[9:12], v87 offset:12288
	s_waitcnt lgkmcnt(6)
	v_wmma_f32_16x16x16_bf16 v[73:80], v[1:8], v[49:56], v[73:80]
	ds_load_b128 v[53:56], v87 offset:13328
	ds_load_b128 v[49:52], v87 offset:13312
	s_waitcnt lgkmcnt(6)
	;; [unrolled: 4-line block ×4, first 2 shown]
	v_wmma_f32_16x16x16_bf16 v[73:80], v[33:40], v[9:16], v[73:80]
	s_waitcnt lgkmcnt(4)
	s_delay_alu instid0(VALU_DEP_1) | instskip(SKIP_1) | instid1(VALU_DEP_1)
	v_wmma_f32_16x16x16_bf16 v[73:80], v[25:32], v[49:56], v[73:80]
	s_waitcnt lgkmcnt(2)
	v_wmma_f32_16x16x16_bf16 v[73:80], v[25:32], v[1:8], v[73:80]
	s_waitcnt lgkmcnt(0)
	s_delay_alu instid0(VALU_DEP_1) | instskip(NEXT) | instid1(VALU_DEP_1)
	v_wmma_f32_16x16x16_bf16 v[73:80], v[17:24], v[41:48], v[73:80]
	v_and_b32_e32 v1, 0x7f800000, v73
	s_delay_alu instid0(VALU_DEP_1) | instskip(SKIP_1) | instid1(SALU_CYCLE_1)
	v_cmp_ne_u32_e32 vcc_lo, 0x7f800000, v1
                                        ; implicit-def: $vgpr1
	s_and_saveexec_b32 s2, vcc_lo
	s_xor_b32 s2, exec_lo, s2
; %bb.81:
	v_bfe_u32 v1, v73, 16, 1
	s_delay_alu instid0(VALU_DEP_1)
	v_add3_u32 v1, v73, v1, 0x7fff
; %bb.82:
	s_and_not1_saveexec_b32 s2, s2
; %bb.83:
	v_and_b32_e32 v1, 0xffff, v73
	v_or_b32_e32 v2, 0x10000, v73
	s_delay_alu instid0(VALU_DEP_2) | instskip(NEXT) | instid1(VALU_DEP_2)
	v_cmp_eq_u32_e32 vcc_lo, 0, v1
	v_cndmask_b32_e32 v1, v2, v73, vcc_lo
; %bb.84:
	s_or_b32 exec_lo, exec_lo, s2
	v_and_b32_e32 v2, 0x7f800000, v74
	s_delay_alu instid0(VALU_DEP_1) | instskip(SKIP_1) | instid1(SALU_CYCLE_1)
	v_cmp_ne_u32_e32 vcc_lo, 0x7f800000, v2
                                        ; implicit-def: $vgpr2
	s_and_saveexec_b32 s2, vcc_lo
	s_xor_b32 s2, exec_lo, s2
; %bb.85:
	v_bfe_u32 v2, v74, 16, 1
	s_delay_alu instid0(VALU_DEP_1)
	v_add3_u32 v2, v74, v2, 0x7fff
; %bb.86:
	s_and_not1_saveexec_b32 s2, s2
; %bb.87:
	v_and_b32_e32 v2, 0xffff, v74
	v_or_b32_e32 v3, 0x10000, v74
	s_delay_alu instid0(VALU_DEP_2) | instskip(NEXT) | instid1(VALU_DEP_2)
	v_cmp_eq_u32_e32 vcc_lo, 0, v2
	v_cndmask_b32_e32 v2, v3, v74, vcc_lo
; %bb.88:
	s_or_b32 exec_lo, exec_lo, s2
	v_and_b32_e32 v3, 0x7f800000, v75
	s_delay_alu instid0(VALU_DEP_1) | instskip(SKIP_1) | instid1(SALU_CYCLE_1)
	v_cmp_ne_u32_e32 vcc_lo, 0x7f800000, v3
                                        ; implicit-def: $vgpr3
	s_and_saveexec_b32 s2, vcc_lo
	s_xor_b32 s2, exec_lo, s2
; %bb.89:
	v_bfe_u32 v3, v75, 16, 1
	s_delay_alu instid0(VALU_DEP_1)
	v_add3_u32 v3, v75, v3, 0x7fff
; %bb.90:
	s_and_not1_saveexec_b32 s2, s2
; %bb.91:
	v_and_b32_e32 v3, 0xffff, v75
	v_or_b32_e32 v4, 0x10000, v75
	s_delay_alu instid0(VALU_DEP_2) | instskip(NEXT) | instid1(VALU_DEP_2)
	v_cmp_eq_u32_e32 vcc_lo, 0, v3
	v_cndmask_b32_e32 v3, v4, v75, vcc_lo
; %bb.92:
	s_or_b32 exec_lo, exec_lo, s2
	v_and_b32_e32 v4, 0x7f800000, v76
	s_delay_alu instid0(VALU_DEP_1) | instskip(SKIP_1) | instid1(SALU_CYCLE_1)
	v_cmp_ne_u32_e32 vcc_lo, 0x7f800000, v4
                                        ; implicit-def: $vgpr4
	s_and_saveexec_b32 s2, vcc_lo
	s_xor_b32 s2, exec_lo, s2
; %bb.93:
	v_bfe_u32 v4, v76, 16, 1
	s_delay_alu instid0(VALU_DEP_1)
	v_add3_u32 v4, v76, v4, 0x7fff
; %bb.94:
	s_and_not1_saveexec_b32 s2, s2
; %bb.95:
	v_and_b32_e32 v4, 0xffff, v76
	v_or_b32_e32 v5, 0x10000, v76
	s_delay_alu instid0(VALU_DEP_2) | instskip(NEXT) | instid1(VALU_DEP_2)
	v_cmp_eq_u32_e32 vcc_lo, 0, v4
	v_cndmask_b32_e32 v4, v5, v76, vcc_lo
; %bb.96:
	s_or_b32 exec_lo, exec_lo, s2
	v_and_b32_e32 v5, 0x7f800000, v77
	s_delay_alu instid0(VALU_DEP_1) | instskip(SKIP_1) | instid1(SALU_CYCLE_1)
	v_cmp_ne_u32_e32 vcc_lo, 0x7f800000, v5
                                        ; implicit-def: $vgpr5
	s_and_saveexec_b32 s2, vcc_lo
	s_xor_b32 s2, exec_lo, s2
; %bb.97:
	v_bfe_u32 v5, v77, 16, 1
	s_delay_alu instid0(VALU_DEP_1)
	v_add3_u32 v5, v77, v5, 0x7fff
; %bb.98:
	s_and_not1_saveexec_b32 s2, s2
; %bb.99:
	v_and_b32_e32 v5, 0xffff, v77
	v_or_b32_e32 v6, 0x10000, v77
	s_delay_alu instid0(VALU_DEP_2) | instskip(NEXT) | instid1(VALU_DEP_2)
	v_cmp_eq_u32_e32 vcc_lo, 0, v5
	v_cndmask_b32_e32 v5, v6, v77, vcc_lo
; %bb.100:
	s_or_b32 exec_lo, exec_lo, s2
	v_and_b32_e32 v6, 0x7f800000, v78
	s_delay_alu instid0(VALU_DEP_1) | instskip(SKIP_1) | instid1(SALU_CYCLE_1)
	v_cmp_ne_u32_e32 vcc_lo, 0x7f800000, v6
                                        ; implicit-def: $vgpr6
	s_and_saveexec_b32 s2, vcc_lo
	s_xor_b32 s2, exec_lo, s2
; %bb.101:
	v_bfe_u32 v6, v78, 16, 1
	s_delay_alu instid0(VALU_DEP_1)
	v_add3_u32 v6, v78, v6, 0x7fff
; %bb.102:
	s_and_not1_saveexec_b32 s2, s2
; %bb.103:
	v_and_b32_e32 v6, 0xffff, v78
	v_or_b32_e32 v7, 0x10000, v78
	s_delay_alu instid0(VALU_DEP_2) | instskip(NEXT) | instid1(VALU_DEP_2)
	v_cmp_eq_u32_e32 vcc_lo, 0, v6
	v_cndmask_b32_e32 v6, v7, v78, vcc_lo
; %bb.104:
	s_or_b32 exec_lo, exec_lo, s2
	v_and_b32_e32 v7, 0x7f800000, v79
	s_delay_alu instid0(VALU_DEP_1) | instskip(SKIP_1) | instid1(SALU_CYCLE_1)
	v_cmp_ne_u32_e32 vcc_lo, 0x7f800000, v7
                                        ; implicit-def: $vgpr7
	s_and_saveexec_b32 s2, vcc_lo
	s_xor_b32 s2, exec_lo, s2
; %bb.105:
	v_bfe_u32 v7, v79, 16, 1
	s_delay_alu instid0(VALU_DEP_1)
	v_add3_u32 v7, v79, v7, 0x7fff
; %bb.106:
	s_and_not1_saveexec_b32 s2, s2
; %bb.107:
	v_and_b32_e32 v7, 0xffff, v79
	v_or_b32_e32 v8, 0x10000, v79
	s_delay_alu instid0(VALU_DEP_2) | instskip(NEXT) | instid1(VALU_DEP_2)
	v_cmp_eq_u32_e32 vcc_lo, 0, v7
	v_cndmask_b32_e32 v7, v8, v79, vcc_lo
; %bb.108:
	s_or_b32 exec_lo, exec_lo, s2
	v_and_b32_e32 v8, 0x7f800000, v80
	s_delay_alu instid0(VALU_DEP_1) | instskip(SKIP_1) | instid1(SALU_CYCLE_1)
	v_cmp_ne_u32_e32 vcc_lo, 0x7f800000, v8
                                        ; implicit-def: $vgpr8
	s_and_saveexec_b32 s2, vcc_lo
	s_xor_b32 s2, exec_lo, s2
; %bb.109:
	v_bfe_u32 v8, v80, 16, 1
	s_delay_alu instid0(VALU_DEP_1)
	v_add3_u32 v8, v80, v8, 0x7fff
                                        ; implicit-def: $vgpr73_vgpr74_vgpr75_vgpr76_vgpr77_vgpr78_vgpr79_vgpr80
; %bb.110:
	s_and_not1_saveexec_b32 s2, s2
; %bb.111:
	v_and_b32_e32 v8, 0xffff, v80
	v_or_b32_e32 v9, 0x10000, v80
	s_delay_alu instid0(VALU_DEP_2) | instskip(NEXT) | instid1(VALU_DEP_2)
	v_cmp_eq_u32_e32 vcc_lo, 0, v8
	v_cndmask_b32_e32 v8, v9, v80, vcc_lo
; %bb.112:
	s_or_b32 exec_lo, exec_lo, s2
	s_delay_alu instid0(VALU_DEP_1)
	v_perm_b32 v7, v8, v7, 0x7060302
	v_perm_b32 v6, v6, v5, 0x7060302
	;; [unrolled: 1-line block ×4, first 2 shown]
	v_lshl_or_b32 v9, v86, 4, v92
	s_barrier
	buffer_gl0_inv
	v_cmp_eq_u32_e32 vcc_lo, 1, v89
	ds_store_b128 v9, v[4:7]
	s_waitcnt lgkmcnt(0)
	s_barrier
	buffer_gl0_inv
	ds_load_b128 v[1:4], v92
	ds_load_b128 v[5:8], v92 offset:16
	v_cmp_eq_u32_e64 s3, 2, v89
	v_cmp_eq_u32_e64 s2, 1, v90
	;; [unrolled: 1-line block ×5, first 2 shown]
	s_waitcnt lgkmcnt(1)
	v_lshrrev_b32_e32 v10, 16, v1
	s_waitcnt lgkmcnt(0)
	v_lshrrev_b32_e32 v14, 16, v5
	v_lshrrev_b32_e32 v15, 16, v6
	v_lshrrev_b32_e32 v11, 16, v2
	v_lshrrev_b32_e32 v12, 16, v3
	v_cndmask_b32_e64 v20, v1, v10, s2
	v_cndmask_b32_e32 v19, v5, v14, vcc_lo
	v_cndmask_b32_e64 v21, v5, v14, s2
	v_lshrrev_b32_e32 v16, 16, v7
	v_cmp_eq_u32_e64 s2, 1, v88
	v_lshrrev_b32_e32 v13, 16, v4
	v_cndmask_b32_e64 v19, v19, v6, s3
	v_lshrrev_b32_e32 v17, 16, v8
	s_delay_alu instid0(VALU_DEP_4) | instskip(SKIP_1) | instid1(VALU_DEP_4)
	v_cndmask_b32_e64 v22, v1, v10, s2
	v_cndmask_b32_e64 v23, v5, v14, s2
	;; [unrolled: 1-line block ×3, first 2 shown]
	v_cndmask_b32_e32 v18, v1, v10, vcc_lo
	v_cmp_eq_u32_e32 vcc_lo, 2, v90
	v_cmp_eq_u32_e64 s2, 2, v91
	v_cndmask_b32_e64 v22, v22, v2, s6
	v_cndmask_b32_e32 v20, v20, v2, vcc_lo
	v_cndmask_b32_e32 v21, v21, v6, vcc_lo
	v_cmp_eq_u32_e32 vcc_lo, 4, v89
	v_cndmask_b32_e32 v19, v19, v7, vcc_lo
	v_cndmask_b32_e64 v18, v18, v2, s3
	v_cmp_eq_u32_e64 s3, 3, v90
	s_delay_alu instid0(VALU_DEP_2) | instskip(NEXT) | instid1(VALU_DEP_2)
	v_cndmask_b32_e64 v18, v18, v11, s4
	v_cndmask_b32_e64 v21, v21, v15, s3
	v_cmp_eq_u32_e64 s4, 5, v89
	s_delay_alu instid0(VALU_DEP_3) | instskip(SKIP_1) | instid1(VALU_DEP_3)
	v_cndmask_b32_e32 v18, v18, v3, vcc_lo
	v_cmp_eq_u32_e32 vcc_lo, 4, v90
	v_cndmask_b32_e64 v19, v19, v16, s4
	s_delay_alu instid0(VALU_DEP_3) | instskip(SKIP_4) | instid1(VALU_DEP_3)
	v_cndmask_b32_e64 v18, v18, v12, s4
	v_cndmask_b32_e32 v21, v21, v7, vcc_lo
	v_cndmask_b32_e64 v20, v20, v11, s3
	v_cmp_eq_u32_e64 s3, 5, v90
	v_cmp_eq_u32_e64 s4, 6, v89
	v_cndmask_b32_e32 v20, v20, v3, vcc_lo
	s_delay_alu instid0(VALU_DEP_3) | instskip(SKIP_1) | instid1(VALU_DEP_4)
	v_cndmask_b32_e64 v21, v21, v16, s3
	v_cmp_eq_u32_e32 vcc_lo, 6, v90
	v_cndmask_b32_e64 v18, v18, v4, s4
	v_cndmask_b32_e64 v19, v19, v8, s4
	;; [unrolled: 1-line block ×3, first 2 shown]
	v_cmp_eq_u32_e64 s3, 1, v91
	v_cmp_eq_u32_e64 s4, 7, v89
	s_delay_alu instid0(VALU_DEP_3) | instskip(NEXT) | instid1(VALU_DEP_3)
	v_cndmask_b32_e32 v20, v20, v4, vcc_lo
	v_cndmask_b32_e64 v1, v1, v10, s3
	v_cndmask_b32_e64 v5, v5, v14, s3
	v_cmp_eq_u32_e64 s3, 3, v88
	v_cndmask_b32_e64 v14, v23, v6, s6
	v_cmp_eq_u32_e64 s6, 3, v91
	v_cndmask_b32_e64 v1, v1, v2, s2
	v_cndmask_b32_e64 v2, v5, v6, s2
	;; [unrolled: 1-line block ×3, first 2 shown]
	v_cmp_eq_u32_e64 s2, 4, v88
	v_cndmask_b32_e64 v6, v14, v15, s3
	v_cndmask_b32_e64 v1, v1, v11, s6
	v_cmp_eq_u32_e64 s3, 4, v91
	v_cndmask_b32_e64 v2, v2, v15, s6
	v_cndmask_b32_e64 v5, v10, v3, s2
	v_cmp_eq_u32_e64 s6, 5, v88
	v_cndmask_b32_e64 v6, v6, v7, s2
	v_cndmask_b32_e64 v1, v1, v3, s3
	v_cndmask_b32_e64 v2, v2, v7, s3
	v_cmp_eq_u32_e64 s2, 5, v91
	v_cndmask_b32_e64 v5, v5, v12, s6
	v_cmp_eq_u32_e64 s3, 6, v88
	;; [unrolled: 2-line block ×3, first 2 shown]
	v_cndmask_b32_e64 v1, v1, v12, s2
	v_cndmask_b32_e64 v2, v2, v16, s2
	;; [unrolled: 1-line block ×4, first 2 shown]
	v_cmp_eq_u32_e64 s2, 7, v91
	v_cndmask_b32_e64 v1, v1, v4, s6
	v_cndmask_b32_e64 v2, v2, v8, s6
	v_cmp_eq_u32_e64 s3, 7, v88
	v_cndmask_b32_e32 v4, v21, v8, vcc_lo
	v_cndmask_b32_e64 v18, v18, v13, s4
	v_cndmask_b32_e64 v20, v20, v13, s5
	;; [unrolled: 1-line block ×8, first 2 shown]
	s_delay_alu instid0(VALU_DEP_4) | instskip(NEXT) | instid1(VALU_DEP_4)
	v_perm_b32 v4, v2, v1, 0x5040100
	v_perm_b32 v3, v3, v5, 0x5040100
	s_delay_alu instid0(VALU_DEP_4) | instskip(NEXT) | instid1(VALU_DEP_4)
	v_perm_b32 v2, v6, v20, 0x5040100
	v_perm_b32 v1, v7, v18, 0x5040100
	ds_store_b128 v9, v[1:4]
	s_waitcnt lgkmcnt(0)
	s_barrier
	buffer_gl0_inv
	s_and_saveexec_b32 s2, s29
	s_cbranch_execz .LBB535_2
; %bb.113:
	s_load_b64 s[0:1], s[0:1], 0x68
	v_lshlrev_b32_e32 v0, 10, v0
	s_lshl_b32 s2, s34, 6
	v_lshlrev_b32_e32 v1, 4, v85
	v_mul_lo_u32 v4, s2, v84
	s_mul_i32 s3, s2, s30
	v_and_b32_e32 v0, 0x3800, v0
	s_mul_i32 s2, s3, s7
	s_delay_alu instid0(SALU_CYCLE_1) | instskip(NEXT) | instid1(VALU_DEP_1)
	s_ashr_i32 s3, s2, 31
	v_or3_b32 v0, v0, v83, v1
	s_lshl_b64 s[2:3], s[2:3], 1
	s_delay_alu instid0(VALU_DEP_3)
	v_ashrrev_i32_e32 v5, 31, v4
	ds_load_b128 v[0:3], v0
	v_lshlrev_b64 v[4:5], 1, v[4:5]
	s_waitcnt lgkmcnt(0)
	s_add_u32 s2, s0, s2
	s_addc_u32 s3, s1, s3
	s_lshl_b32 s0, s14, 6
	s_delay_alu instid0(SALU_CYCLE_1) | instskip(NEXT) | instid1(SALU_CYCLE_1)
	s_ashr_i32 s1, s0, 31
	s_lshl_b64 s[0:1], s[0:1], 1
	s_delay_alu instid0(SALU_CYCLE_1) | instskip(SKIP_3) | instid1(VALU_DEP_2)
	s_add_u32 s0, s2, s0
	s_addc_u32 s1, s3, s1
	v_add_co_u32 v4, vcc_lo, s0, v4
	v_add_co_ci_u32_e32 v5, vcc_lo, s1, v5, vcc_lo
	v_add_co_u32 v4, vcc_lo, v4, v81
	s_delay_alu instid0(VALU_DEP_2)
	v_add_co_ci_u32_e32 v5, vcc_lo, v5, v82, vcc_lo
	global_store_b128 v[4:5], v[0:3], off
	s_nop 0
	s_sendmsg sendmsg(MSG_DEALLOC_VGPRS)
	s_endpgm
	.section	.rodata,"a",@progbits
	.p2align	6, 0x0
	.amdhsa_kernel _Z39paged_attention_ll4mi_QKV_mfma16_kernelI14__hip_bfloat16S0_LN4vllm18Fp8KVCacheDataTypeE0EhLi32ELi64ELi256ELb0ELi2EL8MFMAType0EEvPKT_PKT0_S9_ifPKiSB_SB_iPKfiiiPfSE_PS4_PT2_iSD_SD_
		.amdhsa_group_segment_fixed_size 17472
		.amdhsa_private_segment_fixed_size 0
		.amdhsa_kernarg_size 400
		.amdhsa_user_sgpr_count 13
		.amdhsa_user_sgpr_dispatch_ptr 0
		.amdhsa_user_sgpr_queue_ptr 0
		.amdhsa_user_sgpr_kernarg_segment_ptr 1
		.amdhsa_user_sgpr_dispatch_id 0
		.amdhsa_user_sgpr_private_segment_size 0
		.amdhsa_wavefront_size32 1
		.amdhsa_uses_dynamic_stack 0
		.amdhsa_enable_private_segment 0
		.amdhsa_system_sgpr_workgroup_id_x 1
		.amdhsa_system_sgpr_workgroup_id_y 1
		.amdhsa_system_sgpr_workgroup_id_z 1
		.amdhsa_system_sgpr_workgroup_info 0
		.amdhsa_system_vgpr_workitem_id 0
		.amdhsa_next_free_vgpr 144
		.amdhsa_next_free_sgpr 39
		.amdhsa_reserve_vcc 1
		.amdhsa_float_round_mode_32 0
		.amdhsa_float_round_mode_16_64 0
		.amdhsa_float_denorm_mode_32 3
		.amdhsa_float_denorm_mode_16_64 3
		.amdhsa_dx10_clamp 1
		.amdhsa_ieee_mode 1
		.amdhsa_fp16_overflow 0
		.amdhsa_workgroup_processor_mode 1
		.amdhsa_memory_ordered 1
		.amdhsa_forward_progress 0
		.amdhsa_shared_vgpr_count 0
		.amdhsa_exception_fp_ieee_invalid_op 0
		.amdhsa_exception_fp_denorm_src 0
		.amdhsa_exception_fp_ieee_div_zero 0
		.amdhsa_exception_fp_ieee_overflow 0
		.amdhsa_exception_fp_ieee_underflow 0
		.amdhsa_exception_fp_ieee_inexact 0
		.amdhsa_exception_int_div_zero 0
	.end_amdhsa_kernel
	.section	.text._Z39paged_attention_ll4mi_QKV_mfma16_kernelI14__hip_bfloat16S0_LN4vllm18Fp8KVCacheDataTypeE0EhLi32ELi64ELi256ELb0ELi2EL8MFMAType0EEvPKT_PKT0_S9_ifPKiSB_SB_iPKfiiiPfSE_PS4_PT2_iSD_SD_,"axG",@progbits,_Z39paged_attention_ll4mi_QKV_mfma16_kernelI14__hip_bfloat16S0_LN4vllm18Fp8KVCacheDataTypeE0EhLi32ELi64ELi256ELb0ELi2EL8MFMAType0EEvPKT_PKT0_S9_ifPKiSB_SB_iPKfiiiPfSE_PS4_PT2_iSD_SD_,comdat
.Lfunc_end535:
	.size	_Z39paged_attention_ll4mi_QKV_mfma16_kernelI14__hip_bfloat16S0_LN4vllm18Fp8KVCacheDataTypeE0EhLi32ELi64ELi256ELb0ELi2EL8MFMAType0EEvPKT_PKT0_S9_ifPKiSB_SB_iPKfiiiPfSE_PS4_PT2_iSD_SD_, .Lfunc_end535-_Z39paged_attention_ll4mi_QKV_mfma16_kernelI14__hip_bfloat16S0_LN4vllm18Fp8KVCacheDataTypeE0EhLi32ELi64ELi256ELb0ELi2EL8MFMAType0EEvPKT_PKT0_S9_ifPKiSB_SB_iPKfiiiPfSE_PS4_PT2_iSD_SD_
                                        ; -- End function
	.section	.AMDGPU.csdata,"",@progbits
; Kernel info:
; codeLenInByte = 9216
; NumSgprs: 41
; NumVgprs: 144
; ScratchSize: 0
; MemoryBound: 0
; FloatMode: 240
; IeeeMode: 1
; LDSByteSize: 17472 bytes/workgroup (compile time only)
; SGPRBlocks: 5
; VGPRBlocks: 17
; NumSGPRsForWavesPerEU: 41
; NumVGPRsForWavesPerEU: 144
; Occupancy: 10
; WaveLimiterHint : 1
; COMPUTE_PGM_RSRC2:SCRATCH_EN: 0
; COMPUTE_PGM_RSRC2:USER_SGPR: 13
; COMPUTE_PGM_RSRC2:TRAP_HANDLER: 0
; COMPUTE_PGM_RSRC2:TGID_X_EN: 1
; COMPUTE_PGM_RSRC2:TGID_Y_EN: 1
; COMPUTE_PGM_RSRC2:TGID_Z_EN: 1
; COMPUTE_PGM_RSRC2:TIDIG_COMP_CNT: 0
	.section	.text._Z39paged_attention_ll4mi_QKV_mfma16_kernelI14__hip_bfloat16S0_LN4vllm18Fp8KVCacheDataTypeE0EhLi32ELi64ELi256ELb0ELi3EL8MFMAType0EEvPKT_PKT0_S9_ifPKiSB_SB_iPKfiiiPfSE_PS4_PT2_iSD_SD_,"axG",@progbits,_Z39paged_attention_ll4mi_QKV_mfma16_kernelI14__hip_bfloat16S0_LN4vllm18Fp8KVCacheDataTypeE0EhLi32ELi64ELi256ELb0ELi3EL8MFMAType0EEvPKT_PKT0_S9_ifPKiSB_SB_iPKfiiiPfSE_PS4_PT2_iSD_SD_,comdat
	.protected	_Z39paged_attention_ll4mi_QKV_mfma16_kernelI14__hip_bfloat16S0_LN4vllm18Fp8KVCacheDataTypeE0EhLi32ELi64ELi256ELb0ELi3EL8MFMAType0EEvPKT_PKT0_S9_ifPKiSB_SB_iPKfiiiPfSE_PS4_PT2_iSD_SD_ ; -- Begin function _Z39paged_attention_ll4mi_QKV_mfma16_kernelI14__hip_bfloat16S0_LN4vllm18Fp8KVCacheDataTypeE0EhLi32ELi64ELi256ELb0ELi3EL8MFMAType0EEvPKT_PKT0_S9_ifPKiSB_SB_iPKfiiiPfSE_PS4_PT2_iSD_SD_
	.globl	_Z39paged_attention_ll4mi_QKV_mfma16_kernelI14__hip_bfloat16S0_LN4vllm18Fp8KVCacheDataTypeE0EhLi32ELi64ELi256ELb0ELi3EL8MFMAType0EEvPKT_PKT0_S9_ifPKiSB_SB_iPKfiiiPfSE_PS4_PT2_iSD_SD_
	.p2align	8
	.type	_Z39paged_attention_ll4mi_QKV_mfma16_kernelI14__hip_bfloat16S0_LN4vllm18Fp8KVCacheDataTypeE0EhLi32ELi64ELi256ELb0ELi3EL8MFMAType0EEvPKT_PKT0_S9_ifPKiSB_SB_iPKfiiiPfSE_PS4_PT2_iSD_SD_,@function
_Z39paged_attention_ll4mi_QKV_mfma16_kernelI14__hip_bfloat16S0_LN4vllm18Fp8KVCacheDataTypeE0EhLi32ELi64ELi256ELb0ELi3EL8MFMAType0EEvPKT_PKT0_S9_ifPKiSB_SB_iPKfiiiPfSE_PS4_PT2_iSD_SD_: ; @_Z39paged_attention_ll4mi_QKV_mfma16_kernelI14__hip_bfloat16S0_LN4vllm18Fp8KVCacheDataTypeE0EhLi32ELi64ELi256ELb0ELi3EL8MFMAType0EEvPKT_PKT0_S9_ifPKiSB_SB_iPKfiiiPfSE_PS4_PT2_iSD_SD_
; %bb.0:
	s_load_b64 s[2:3], s[0:1], 0x30
	s_mov_b32 s34, s13
	s_waitcnt lgkmcnt(0)
	s_cmp_lg_u64 s[2:3], 0
	s_cselect_b32 s6, -1, 0
	s_ashr_i32 s35, s13, 31
	s_cmp_eq_u64 s[2:3], 0
	s_cbranch_scc1 .LBB536_3
; %bb.1:
	s_lshl_b64 s[4:5], s[34:35], 2
	s_delay_alu instid0(SALU_CYCLE_1) | instskip(SKIP_4) | instid1(SALU_CYCLE_1)
	s_add_u32 s4, s2, s4
	s_addc_u32 s5, s3, s5
	s_load_b64 s[4:5], s[4:5], 0x0
	s_waitcnt lgkmcnt(0)
	s_sub_i32 s4, s5, s4
	s_cmp_eq_u32 s4, 1
	s_cselect_b32 s4, -1, 0
	s_delay_alu instid0(SALU_CYCLE_1)
	s_and_not1_b32 vcc_lo, exec_lo, s4
	s_cbranch_vccz .LBB536_4
.LBB536_2:
	s_nop 0
	s_sendmsg sendmsg(MSG_DEALLOC_VGPRS)
	s_endpgm
.LBB536_3:
.LBB536_4:
	s_load_b64 s[8:9], s[0:1], 0x28
	s_lshl_b64 s[4:5], s[34:35], 2
	s_waitcnt lgkmcnt(0)
	s_add_u32 s8, s8, s4
	s_addc_u32 s9, s9, s5
	s_lshl_b32 s16, s14, 8
	s_load_b32 s18, s[8:9], 0x0
	s_waitcnt lgkmcnt(0)
	s_cmp_ge_i32 s16, s18
	s_cbranch_scc1 .LBB536_2
; %bb.5:
	s_and_not1_b32 vcc_lo, exec_lo, s6
	s_cbranch_vccnz .LBB536_7
; %bb.6:
	s_add_u32 s2, s2, s4
	s_addc_u32 s3, s3, s5
	s_load_b32 s17, s[2:3], 0x0
	s_branch .LBB536_8
.LBB536_7:
	s_mov_b32 s17, s34
.LBB536_8:
	s_clause 0x2
	s_load_b128 s[8:11], s[0:1], 0x8
	s_load_b64 s[12:13], s[0:1], 0x20
	s_load_b128 s[4:7], s[0:1], 0x48
	v_lshrrev_b32_e32 v74, 5, v0
	v_bfe_u32 v83, v0, 4, 1
	v_and_b32_e32 v73, 15, v0
	s_delay_alu instid0(VALU_DEP_2) | instskip(NEXT) | instid1(VALU_DEP_2)
	v_lshl_or_b32 v3, v74, 1, v83
	v_cmp_lt_u32_e64 s3, 7, v73
	v_lshlrev_b32_e32 v1, 3, v73
	v_cmp_gt_u32_e64 s2, 8, v73
	s_delay_alu instid0(VALU_DEP_4) | instskip(NEXT) | instid1(VALU_DEP_4)
	v_cmp_lt_u32_e32 vcc_lo, 2, v3
	s_or_b32 s3, s3, vcc_lo
	s_waitcnt lgkmcnt(0)
	s_and_saveexec_b32 s7, s3
	s_delay_alu instid0(SALU_CYCLE_1)
	s_xor_b32 s3, exec_lo, s7
; %bb.9:
	v_mov_b32_e32 v2, 0
                                        ; implicit-def: $vgpr3
; %bb.10:
	s_or_saveexec_b32 s3, s3
	v_and_b32_e32 v75, 31, v0
	v_and_b32_e32 v84, 1, v0
	s_mul_i32 s31, s15, 3
	s_xor_b32 exec_lo, exec_lo, s3
	s_cbranch_execz .LBB536_12
; %bb.11:
	s_load_b64 s[20:21], s[0:1], 0x0
	v_add_lshl_u32 v4, v3, s31, 6
	s_mul_hi_i32 s23, s17, s4
	s_mul_i32 s22, s17, s4
	v_lshlrev_b32_e32 v2, 1, v1
	s_lshl_b64 s[22:23], s[22:23], 1
	v_ashrrev_i32_e32 v5, 31, v4
	v_lshlrev_b32_e32 v3, 6, v3
	v_lshlrev_b32_e32 v8, 10, v84
	s_delay_alu instid0(VALU_DEP_3) | instskip(SKIP_3) | instid1(VALU_DEP_1)
	v_lshlrev_b64 v[4:5], 1, v[4:5]
	s_waitcnt lgkmcnt(0)
	s_add_u32 s4, s20, s22
	s_addc_u32 s7, s21, s23
	v_add_co_u32 v4, vcc_lo, s4, v4
	s_delay_alu instid0(VALU_DEP_2) | instskip(NEXT) | instid1(VALU_DEP_2)
	v_add_co_ci_u32_e32 v5, vcc_lo, s7, v5, vcc_lo
	v_add_co_u32 v4, vcc_lo, v4, v2
	s_delay_alu instid0(VALU_DEP_2) | instskip(SKIP_3) | instid1(VALU_DEP_1)
	v_add_co_ci_u32_e32 v5, vcc_lo, 0, v5, vcc_lo
	v_lshlrev_b32_e32 v2, 10, v73
	global_load_b128 v[4:7], v[4:5], off
	v_and_b32_e32 v2, 0x3800, v2
	v_or3_b32 v3, v2, v8, v3
	v_mov_b32_e32 v2, 0
	s_waitcnt vmcnt(0)
	ds_store_b128 v3, v[4:7]
.LBB536_12:
	s_or_b32 exec_lo, exec_lo, s3
	v_and_b32_e32 v3, 0xef, v0
	s_add_i32 s3, s18, 31
	s_clause 0x1
	s_load_b32 s4, s[0:1], 0x38
	s_load_b32 s19, s[0:1], 0x1c
	s_ashr_i32 s7, s3, 31
	v_add_nc_u32_e32 v3, s16, v3
	s_lshr_b32 s7, s7, 27
	s_waitcnt lgkmcnt(0)
	s_add_i32 s3, s3, s7
	s_barrier
	v_ashrrev_i32_e32 v4, 31, v3
	v_cmp_gt_i32_e32 vcc_lo, s18, v3
	s_ashr_i32 s3, s3, 5
	buffer_gl0_inv
	s_add_i32 s3, s3, -1
	v_lshrrev_b32_e32 v5, 27, v4
	v_or_b32_e32 v4, 16, v3
	s_mul_i32 s6, s15, s6
	v_lshlrev_b64 v[81:82], 1, v[1:2]
	s_delay_alu instid0(VALU_DEP_3) | instskip(NEXT) | instid1(VALU_DEP_3)
	v_add_nc_u32_e32 v6, v3, v5
	v_add_nc_u32_e32 v5, v4, v5
	s_mul_i32 s20, s34, s4
	s_delay_alu instid0(SALU_CYCLE_1) | instskip(NEXT) | instid1(VALU_DEP_2)
	s_ashr_i32 s21, s20, 31
	v_ashrrev_i32_e32 v6, 5, v6
	s_delay_alu instid0(VALU_DEP_2) | instskip(SKIP_1) | instid1(SALU_CYCLE_1)
	v_ashrrev_i32_e32 v5, 5, v5
	s_lshl_b64 s[20:21], s[20:21], 2
	s_add_u32 s4, s12, s20
	s_delay_alu instid0(VALU_DEP_2) | instskip(SKIP_3) | instid1(SALU_CYCLE_1)
	v_cndmask_b32_e32 v3, s3, v6, vcc_lo
	v_cmp_gt_i32_e32 vcc_lo, s18, v4
	s_addc_u32 s17, s13, s21
	s_ashr_i32 s7, s6, 31
	s_lshl_b64 s[6:7], s[6:7], 1
	v_cndmask_b32_e32 v5, s3, v5, vcc_lo
	v_ashrrev_i32_e32 v4, 31, v3
	s_add_u32 s15, s8, s6
	s_addc_u32 s28, s9, s7
	s_lshl_b32 s8, s14, 3
	v_ashrrev_i32_e32 v6, 31, v5
	v_lshlrev_b64 v[3:4], 2, v[3:4]
	s_ashr_i32 s9, s8, 31
	s_delay_alu instid0(SALU_CYCLE_1) | instskip(NEXT) | instid1(VALU_DEP_2)
	s_lshl_b64 s[8:9], s[8:9], 2
	v_lshlrev_b64 v[5:6], 2, v[5:6]
	s_add_u32 s8, s4, s8
	s_delay_alu instid0(VALU_DEP_2) | instskip(SKIP_1) | instid1(VALU_DEP_3)
	v_add_co_u32 v3, vcc_lo, s4, v3
	v_add_co_ci_u32_e32 v4, vcc_lo, s17, v4, vcc_lo
	v_add_co_u32 v5, vcc_lo, s4, v5
	s_delay_alu instid0(VALU_DEP_4)
	v_add_co_ci_u32_e32 v6, vcc_lo, s17, v6, vcc_lo
	s_addc_u32 s9, s17, s9
	s_clause 0x1
	global_load_b32 v7, v[3:4], off
	global_load_b32 v8, v[5:6], off
	s_or_b32 s12, s16, 32
	s_delay_alu instid0(SALU_CYCLE_1) | instskip(SKIP_2) | instid1(SALU_CYCLE_1)
	s_ashr_i32 s13, s12, 5
	s_cmp_lt_i32 s12, s18
	s_cselect_b32 s12, s13, s3
	s_ashr_i32 s13, s12, 31
	s_delay_alu instid0(SALU_CYCLE_1) | instskip(NEXT) | instid1(SALU_CYCLE_1)
	s_lshl_b64 s[12:13], s[12:13], 2
	s_add_u32 s12, s4, s12
	s_addc_u32 s13, s17, s13
	s_or_b32 s20, s16, 64
	s_delay_alu instid0(SALU_CYCLE_1) | instskip(SKIP_2) | instid1(SALU_CYCLE_1)
	s_ashr_i32 s21, s20, 5
	s_cmp_lt_i32 s20, s18
	s_cselect_b32 s20, s21, s3
	s_ashr_i32 s21, s20, 31
	s_delay_alu instid0(SALU_CYCLE_1) | instskip(NEXT) | instid1(SALU_CYCLE_1)
	s_lshl_b64 s[20:21], s[20:21], 2
	s_add_u32 s20, s4, s20
	s_addc_u32 s21, s17, s21
	;; [unrolled: 10-line block ×5, first 2 shown]
	s_clause 0x5
	s_load_b32 s29, s[8:9], 0x0
	s_load_b32 s30, s[12:13], 0x0
	;; [unrolled: 1-line block ×6, first 2 shown]
	s_or_b32 s8, s16, 0xc0
	s_mov_b32 s20, 0
	s_ashr_i32 s9, s8, 5
	s_cmp_lt_i32 s8, s18
	s_mov_b32 s27, s20
	s_cselect_b32 s8, s9, s3
	s_mov_b32 s21, s20
	s_ashr_i32 s9, s8, 31
	s_mov_b32 s22, s20
	s_lshl_b64 s[8:9], s[8:9], 2
	s_mov_b32 s23, s20
	s_add_u32 s8, s4, s8
	s_mov_b32 s24, s20
	s_mov_b32 s25, s20
	;; [unrolled: 1-line block ×3, first 2 shown]
	s_addc_u32 s9, s17, s9
	v_mov_b32_e32 v117, s27
	v_dual_mov_b32 v110, s20 :: v_dual_lshlrev_b32 v85, 6, v73
	v_dual_mov_b32 v116, s26 :: v_dual_mov_b32 v115, s25
	v_dual_mov_b32 v114, s24 :: v_dual_mov_b32 v113, s23
	;; [unrolled: 1-line block ×3, first 2 shown]
	s_waitcnt lgkmcnt(0)
	s_mul_hi_i32 s13, s29, s5
	s_mul_i32 s12, s29, s5
	v_lshl_or_b32 v58, v74, 10, v85
	s_mul_hi_i32 s21, s30, s5
	s_mul_i32 s20, s30, s5
	s_mul_hi_i32 s25, s33, s5
	s_mul_i32 s24, s33, s5
	s_mul_hi_i32 s27, s35, s5
	s_mul_i32 s26, s35, s5
	s_mul_hi_i32 s37, s38, s5
	s_waitcnt vmcnt(1)
	v_mad_i64_i32 v[3:4], null, v7, s5, 0
	s_waitcnt vmcnt(0)
	v_mad_i64_i32 v[5:6], null, v8, s5, 0
	s_delay_alu instid0(VALU_DEP_2) | instskip(NEXT) | instid1(VALU_DEP_2)
	v_lshlrev_b64 v[3:4], 1, v[3:4]
	v_lshlrev_b64 v[1:2], 1, v[5:6]
	s_delay_alu instid0(VALU_DEP_2) | instskip(NEXT) | instid1(VALU_DEP_3)
	v_add_co_u32 v3, vcc_lo, s15, v3
	v_add_co_ci_u32_e32 v4, vcc_lo, s28, v4, vcc_lo
	s_delay_alu instid0(VALU_DEP_3) | instskip(NEXT) | instid1(VALU_DEP_4)
	v_add_co_u32 v1, vcc_lo, s15, v1
	v_add_co_ci_u32_e32 v2, vcc_lo, s28, v2, vcc_lo
	s_delay_alu instid0(VALU_DEP_4) | instskip(NEXT) | instid1(VALU_DEP_4)
	v_add_co_u32 v41, vcc_lo, v3, v81
	v_add_co_ci_u32_e32 v42, vcc_lo, v4, v82, vcc_lo
	s_delay_alu instid0(VALU_DEP_4) | instskip(NEXT) | instid1(VALU_DEP_4)
	v_add_co_u32 v43, vcc_lo, v1, v81
	v_add_co_ci_u32_e32 v44, vcc_lo, v2, v82, vcc_lo
	s_clause 0xf
	global_load_b128 v[1:4], v[41:42], off
	global_load_b128 v[5:8], v[41:42], off offset:512
	global_load_b128 v[9:12], v[43:44], off offset:256
	global_load_b128 v[13:16], v[43:44], off offset:768
	global_load_b128 v[17:20], v[41:42], off offset:1024
	global_load_b128 v[21:24], v[41:42], off offset:1536
	global_load_b128 v[25:28], v[43:44], off offset:1280
	global_load_b128 v[29:32], v[43:44], off offset:1792
	global_load_b128 v[33:36], v[41:42], off offset:2048
	global_load_b128 v[37:40], v[41:42], off offset:2560
	global_load_b128 v[86:89], v[43:44], off offset:2304
	global_load_b128 v[90:93], v[43:44], off offset:2816
	global_load_b128 v[94:97], v[41:42], off offset:3072
	global_load_b128 v[98:101], v[41:42], off offset:3584
	global_load_b128 v[102:105], v[43:44], off offset:3328
	global_load_b128 v[106:109], v[43:44], off offset:3840
	v_mul_lo_u16 v41, 0x56, v73
	s_or_b32 s15, s16, 0xe0
	s_delay_alu instid0(SALU_CYCLE_1) | instskip(SKIP_1) | instid1(VALU_DEP_1)
	s_ashr_i32 s22, s15, 5
	s_cmp_lt_i32 s15, s18
	v_lshrrev_b16 v41, 8, v41
	s_cselect_b32 s22, s22, s3
	s_delay_alu instid0(SALU_CYCLE_1) | instskip(NEXT) | instid1(VALU_DEP_1)
	s_ashr_i32 s23, s22, 31
	v_mul_lo_u16 v41, v41, 3
	s_lshl_b64 s[22:23], s[22:23], 2
	s_delay_alu instid0(SALU_CYCLE_1) | instskip(SKIP_1) | instid1(VALU_DEP_1)
	s_add_u32 s22, s4, s22
	s_addc_u32 s23, s17, s23
	v_sub_nc_u16 v41, v73, v41
	s_add_i32 s15, s16, 0x100
	s_delay_alu instid0(SALU_CYCLE_1) | instskip(SKIP_1) | instid1(VALU_DEP_1)
	s_ashr_i32 s28, s15, 5
	s_cmp_lt_i32 s15, s18
	v_and_b32_e32 v41, 0xff, v41
	s_cselect_b32 s28, s28, s3
	s_delay_alu instid0(SALU_CYCLE_1) | instskip(NEXT) | instid1(VALU_DEP_1)
	s_ashr_i32 s29, s28, 31
	v_lshlrev_b32_e32 v57, 6, v41
	ds_load_b128 v[41:44], v57
	ds_load_b128 v[45:48], v57 offset:1024
	ds_load_b128 v[49:52], v57 offset:2048
	;; [unrolled: 1-line block ×7, first 2 shown]
	s_lshl_b64 s[28:29], s[28:29], 2
	s_load_b32 s15, s[8:9], 0x0
	s_add_u32 s28, s4, s28
	s_addc_u32 s29, s17, s29
	s_add_u32 s3, s10, s6
	s_clause 0x1
	s_load_b32 s4, s[22:23], 0x0
	s_load_b32 s17, s[28:29], 0x0
	s_addc_u32 s28, s11, s7
	v_add_co_u32 v76, s3, s3, v58
	s_delay_alu instid0(VALU_DEP_1) | instskip(SKIP_2) | instid1(VALU_DEP_2)
	v_add_co_ci_u32_e64 v77, null, s28, 0, s3
	s_lshl_b64 s[6:7], s[12:13], 1
	s_lshl_b64 s[10:11], s[20:21], 1
	v_add_co_u32 v57, vcc_lo, v76, s6
	s_delay_alu instid0(VALU_DEP_2)
	v_add_co_ci_u32_e32 v58, vcc_lo, s7, v77, vcc_lo
	s_lshl_b64 s[12:13], s[24:25], 1
	s_lshl_b64 s[20:21], s[26:27], 1
	s_mul_hi_i32 s9, s36, s5
	s_mul_i32 s8, s36, s5
	s_mul_i32 s36, s38, s5
	s_lshl_b64 s[8:9], s[8:9], 1
	s_lshl_b64 s[22:23], s[36:37], 1
	s_waitcnt lgkmcnt(0)
	s_mul_hi_i32 s25, s15, s5
	s_mul_i32 s24, s15, s5
	s_clause 0x1
	global_load_b128 v[65:68], v[57:58], off
	global_load_b128 v[69:72], v[57:58], off offset:16
	s_lshl_b64 s[6:7], s[24:25], 1
	s_waitcnt vmcnt(16)
	v_wmma_f32_16x16x16_bf16 v[134:141], v[1:8], v[41:48], v[110:117]
	v_add_co_u32 v1, vcc_lo, v76, s10
	v_add_co_ci_u32_e32 v2, vcc_lo, s11, v77, vcc_lo
	s_waitcnt vmcnt(12)
	s_delay_alu instid0(VALU_DEP_3) | instskip(SKIP_3) | instid1(VALU_DEP_3)
	v_wmma_f32_16x16x16_bf16 v[134:141], v[17:24], v[49:56], v[134:141]
	v_add_co_u32 v3, vcc_lo, v76, s12
	v_add_co_ci_u32_e32 v4, vcc_lo, s13, v77, vcc_lo
	s_waitcnt vmcnt(8)
	v_wmma_f32_16x16x16_bf16 v[134:141], v[33:40], v[118:125], v[134:141]
	v_add_co_u32 v5, vcc_lo, v76, s20
	v_add_co_ci_u32_e32 v6, vcc_lo, s21, v77, vcc_lo
	s_waitcnt vmcnt(4)
	s_delay_alu instid0(VALU_DEP_3) | instskip(SKIP_2) | instid1(VALU_DEP_3)
	v_wmma_f32_16x16x16_bf16 v[134:141], v[94:101], v[126:133], v[134:141]
	v_add_co_u32 v7, vcc_lo, v76, s8
	v_add_co_ci_u32_e32 v8, vcc_lo, s9, v77, vcc_lo
	v_mul_f32_e32 v100, s19, v141
	v_wmma_f32_16x16x16_bf16 v[110:117], v[9:16], v[41:48], v[110:117]
	s_clause 0x1
	global_load_b128 v[57:60], v[1:2], off
	global_load_b128 v[61:64], v[1:2], off offset:16
	s_mul_hi_i32 s9, s4, s5
	s_mul_i32 s8, s4, s5
	v_wmma_f32_16x16x16_bf16 v[110:117], v[25:32], v[49:56], v[110:117]
	s_clause 0x5
	global_load_b128 v[49:52], v[3:4], off
	global_load_b128 v[53:56], v[3:4], off offset:16
	global_load_b128 v[41:44], v[5:6], off
	global_load_b128 v[45:48], v[5:6], off offset:16
	;; [unrolled: 2-line block ×3, first 2 shown]
	v_add_co_u32 v5, vcc_lo, v76, s22
	v_add_co_ci_u32_e32 v6, vcc_lo, s23, v77, vcc_lo
	v_add_co_u32 v17, vcc_lo, v76, s6
	v_add_co_ci_u32_e32 v18, vcc_lo, s7, v77, vcc_lo
	s_lshl_b64 s[6:7], s[8:9], 1
	s_mul_hi_i32 s9, s17, s5
	s_mul_i32 s8, s17, s5
	v_add_co_u32 v19, vcc_lo, v76, s6
	s_lshl_b64 s[4:5], s[8:9], 1
	v_add_co_ci_u32_e32 v20, vcc_lo, s7, v77, vcc_lo
	v_add_co_u32 v21, vcc_lo, v76, s4
	v_add_co_ci_u32_e32 v22, vcc_lo, s5, v77, vcc_lo
	s_clause 0x7
	global_load_b128 v[1:4], v[5:6], off
	global_load_b128 v[5:8], v[5:6], off offset:16
	global_load_b128 v[33:36], v[17:18], off
	global_load_b128 v[37:40], v[17:18], off offset:16
	;; [unrolled: 2-line block ×4, first 2 shown]
	v_and_b32_e32 v76, 0xe0, v0
	v_mbcnt_lo_u32_b32 v77, -1, 0
	v_wmma_f32_16x16x16_bf16 v[110:117], v[86:93], v[118:125], v[110:117]
	s_waitcnt vmcnt(0)
	s_barrier
	v_add_nc_u32_e32 v76, s16, v76
	v_xor_b32_e32 v78, 16, v77
	v_wmma_f32_16x16x16_bf16 v[110:117], v[102:109], v[126:133], v[110:117]
	v_mul_f32_e32 v97, s19, v134
	v_mul_f32_e32 v99, s19, v135
	v_or_b32_e32 v76, v76, v83
	v_cmp_gt_i32_e32 vcc_lo, 32, v78
	buffer_gl0_inv
	v_or_b32_e32 v79, 4, v76
	v_cndmask_b32_e32 v77, v77, v78, vcc_lo
	v_or_b32_e32 v78, 2, v76
	v_or_b32_e32 v80, 6, v76
	;; [unrolled: 1-line block ×3, first 2 shown]
	v_cmp_gt_i32_e32 vcc_lo, s18, v76
	v_or_b32_e32 v87, 10, v76
	v_cmp_gt_i32_e64 s3, s18, v78
	v_or_b32_e32 v88, 12, v76
	v_or_b32_e32 v89, 14, v76
	;; [unrolled: 1-line block ×10, first 2 shown]
	v_cndmask_b32_e64 v78, 0xff7fffff, v99, s3
	v_mul_f32_e32 v99, s19, v137
	v_cmp_gt_i32_e64 s4, s18, v80
	v_mul_f32_e32 v80, s19, v136
	v_cmp_gt_i32_e64 s5, s18, v79
	v_cmp_gt_i32_e64 s6, s18, v86
	v_mul_f32_e32 v86, s19, v116
	v_cndmask_b32_e32 v76, 0xff7fffff, v97, vcc_lo
	v_mul_f32_e32 v79, s19, v139
	v_cndmask_b32_e64 v80, 0xff7fffff, v80, s5
	v_cndmask_b32_e64 v99, 0xff7fffff, v99, s4
	v_cmp_gt_i32_e64 s7, s18, v87
	v_max3_f32 v76, v76, 0xff7fffff, v78
	v_dual_mul_f32 v78, s19, v138 :: v_dual_mul_f32 v97, s19, v140
	v_cmp_gt_i32_e64 s8, s18, v89
	s_delay_alu instid0(VALU_DEP_4) | instskip(NEXT) | instid1(VALU_DEP_4)
	v_cndmask_b32_e64 v79, 0xff7fffff, v79, s7
	v_max3_f32 v76, v76, v80, v99
	s_delay_alu instid0(VALU_DEP_4) | instskip(SKIP_3) | instid1(VALU_DEP_4)
	v_cndmask_b32_e64 v78, 0xff7fffff, v78, s6
	v_cmp_gt_i32_e64 s9, s18, v88
	v_dual_mul_f32 v88, s19, v111 :: v_dual_mul_f32 v89, s19, v110
	v_cndmask_b32_e64 v100, 0xff7fffff, v100, s8
	v_max3_f32 v76, v76, v78, v79
	s_delay_alu instid0(VALU_DEP_4) | instskip(SKIP_3) | instid1(VALU_DEP_4)
	v_cndmask_b32_e64 v97, 0xff7fffff, v97, s9
	v_cmp_gt_i32_e64 s10, s18, v90
	v_cmp_gt_i32_e64 s11, s18, v91
	v_dual_mul_f32 v78, s19, v113 :: v_dual_mul_f32 v79, s19, v112
	v_max3_f32 v76, v76, v97, v100
	s_delay_alu instid0(VALU_DEP_4) | instskip(NEXT) | instid1(VALU_DEP_4)
	v_cndmask_b32_e64 v89, 0xff7fffff, v89, s10
	v_cndmask_b32_e64 v88, 0xff7fffff, v88, s11
	v_cmp_gt_i32_e64 s12, s18, v92
	v_cmp_gt_i32_e64 s13, s18, v93
	v_mul_f32_e32 v87, s19, v115
	v_mul_f32_e32 v99, s19, v114
	v_max3_f32 v76, v76, v89, v88
	v_cndmask_b32_e64 v79, 0xff7fffff, v79, s12
	v_cndmask_b32_e64 v78, 0xff7fffff, v78, s13
	v_cmp_gt_i32_e64 s15, s18, v94
	v_cmp_gt_i32_e64 s16, s18, v95
	v_mul_f32_e32 v80, s19, v117
	v_cmp_gt_i32_e64 s17, s18, v96
	v_max3_f32 v76, v76, v79, v78
	v_cndmask_b32_e64 v88, 0xff7fffff, v99, s15
	v_cndmask_b32_e64 v87, 0xff7fffff, v87, s16
	v_cmp_gt_i32_e64 s18, s18, v98
	v_cndmask_b32_e64 v78, 0xff7fffff, v86, s17
	v_lshlrev_b32_e32 v99, 2, v77
	s_delay_alu instid0(VALU_DEP_4) | instskip(NEXT) | instid1(VALU_DEP_4)
	v_max3_f32 v76, v76, v88, v87
	v_cndmask_b32_e64 v79, 0xff7fffff, v80, s18
	s_delay_alu instid0(VALU_DEP_1) | instskip(SKIP_3) | instid1(VALU_DEP_1)
	v_max3_f32 v76, v76, v78, v79
	ds_bpermute_b32 v77, v99, v76
	s_waitcnt lgkmcnt(0)
	v_max_f32_e32 v77, v77, v77
	v_max_f32_e32 v76, v76, v77
	s_delay_alu instid0(VALU_DEP_1)
	v_fma_f32 v86, s19, v138, -v76
	v_fma_f32 v77, s19, v134, -v76
	;; [unrolled: 1-line block ×5, first 2 shown]
	v_mul_f32_e32 v86, 0x3fb8aa3b, v86
	v_fma_f32 v88, s19, v114, -v76
	s_delay_alu instid0(VALU_DEP_4) | instskip(NEXT) | instid1(VALU_DEP_4)
	v_dual_mul_f32 v78, 0x3fb8aa3b, v78 :: v_dual_mul_f32 v79, 0x3fb8aa3b, v79
	v_mul_f32_e32 v80, 0x3fb8aa3b, v80
	s_delay_alu instid0(VALU_DEP_4) | instskip(SKIP_1) | instid1(VALU_DEP_3)
	v_exp_f32_e32 v86, v86
	v_fma_f32 v87, s19, v140, -v76
	v_exp_f32_e32 v78, v78
	v_exp_f32_e32 v79, v79
	;; [unrolled: 1-line block ×3, first 2 shown]
	s_delay_alu instid0(VALU_DEP_1)
	v_dual_mul_f32 v88, 0x3fb8aa3b, v88 :: v_dual_mul_f32 v87, 0x3fb8aa3b, v87
	v_fma_f32 v100, s19, v117, -v76
	v_fma_f32 v90, s19, v116, -v76
	v_cndmask_b32_e64 v96, 0, v86, s6
	v_fma_f32 v86, s19, v111, -v76
	v_mul_f32_e32 v77, 0x3fb8aa3b, v77
	s_delay_alu instid0(TRANS32_DEP_3) | instskip(NEXT) | instid1(TRANS32_DEP_2)
	v_cndmask_b32_e64 v91, 0, v78, s3
	v_cndmask_b32_e64 v93, 0, v79, s5
	s_delay_alu instid0(TRANS32_DEP_1)
	v_cndmask_b32_e64 v95, 0, v80, s4
	v_mul_f32_e32 v86, 0x3fb8aa3b, v86
	v_exp_f32_e32 v77, v77
	v_fma_f32 v79, s19, v141, -v76
	v_fma_f32 v80, s19, v110, -v76
	v_exp_f32_e32 v87, v87
	v_exp_f32_e32 v86, v86
	s_delay_alu instid0(VALU_DEP_2) | instskip(NEXT) | instid1(VALU_DEP_2)
	v_dual_mul_f32 v100, 0x3fb8aa3b, v100 :: v_dual_mul_f32 v79, 0x3fb8aa3b, v79
	v_mul_f32_e32 v80, 0x3fb8aa3b, v80
	v_exp_f32_e32 v88, v88
	v_cmp_gt_u32_e64 s3, 16, v75
	v_cndmask_b32_e32 v92, 0, v77, vcc_lo
	v_fma_f32 v77, s19, v139, -v76
	v_exp_f32_e32 v79, v79
	v_exp_f32_e32 v80, v80
	v_cndmask_b32_e64 v94, 0, v87, s9
	s_delay_alu instid0(VALU_DEP_2) | instskip(SKIP_2) | instid1(VALU_DEP_2)
	v_dual_add_f32 v78, 0, v92 :: v_dual_mul_f32 v77, 0x3fb8aa3b, v77
	v_fma_f32 v87, s19, v113, -v76
	v_exp_f32_e32 v100, v100
	v_add_f32_e32 v78, v78, v91
	s_delay_alu instid0(VALU_DEP_3) | instskip(SKIP_1) | instid1(VALU_DEP_2)
	v_exp_f32_e32 v77, v77
	v_cndmask_b32_e64 v98, 0, v79, s8
	v_dual_mul_f32 v87, 0x3fb8aa3b, v87 :: v_dual_add_f32 v78, v78, v93
	s_delay_alu instid0(VALU_DEP_1) | instskip(NEXT) | instid1(VALU_DEP_1)
	v_exp_f32_e32 v87, v87
	v_add_f32_e32 v78, v78, v95
	s_waitcnt_depctr 0xfff
	v_cndmask_b32_e64 v97, 0, v77, s7
	v_add_f32_e32 v77, v78, v96
	v_fma_f32 v78, s19, v112, -v76
	s_delay_alu instid0(VALU_DEP_1) | instskip(NEXT) | instid1(VALU_DEP_1)
	v_mul_f32_e32 v78, 0x3fb8aa3b, v78
	v_exp_f32_e32 v89, v78
	v_cndmask_b32_e64 v78, 0, v86, s11
	v_add_f32_e32 v77, v77, v97
	s_delay_alu instid0(VALU_DEP_1) | instskip(SKIP_2) | instid1(VALU_DEP_1)
	v_add_f32_e32 v79, v77, v94
	v_cndmask_b32_e64 v77, 0, v80, s10
	v_fma_f32 v80, s19, v115, -v76
	v_dual_add_f32 v79, v79, v98 :: v_dual_mul_f32 v80, 0x3fb8aa3b, v80
	s_delay_alu instid0(VALU_DEP_1) | instskip(NEXT) | instid1(TRANS32_DEP_1)
	v_add_f32_e32 v86, v79, v77
	v_cndmask_b32_e64 v79, 0, v89, s12
	v_mul_f32_e32 v89, 0x3fb8aa3b, v90
	s_delay_alu instid0(VALU_DEP_4) | instskip(SKIP_2) | instid1(VALU_DEP_3)
	v_exp_f32_e32 v90, v80
	v_cndmask_b32_e64 v80, 0, v87, s13
	v_add_f32_e32 v86, v86, v78
	v_exp_f32_e32 v89, v89
	s_delay_alu instid0(VALU_DEP_1) | instskip(SKIP_1) | instid1(VALU_DEP_2)
	v_add_f32_e32 v87, v86, v79
	v_cndmask_b32_e64 v86, 0, v88, s15
	v_add_f32_e32 v88, v87, v80
	s_delay_alu instid0(TRANS32_DEP_2) | instskip(NEXT) | instid1(VALU_DEP_2)
	v_cndmask_b32_e64 v87, 0, v90, s16
	v_add_f32_e32 v90, v88, v86
	s_waitcnt_depctr 0xfff
	v_cndmask_b32_e64 v88, 0, v89, s17
	v_add_f32_e32 v89, v90, v87
	s_delay_alu instid0(VALU_DEP_1) | instskip(SKIP_1) | instid1(VALU_DEP_1)
	v_add_f32_e32 v90, v89, v88
	v_cndmask_b32_e64 v89, 0, v100, s18
	v_add_f32_e32 v90, v90, v89
	ds_bpermute_b32 v99, v99, v90
	s_and_saveexec_b32 s4, s3
	s_cbranch_execz .LBB536_14
; %bb.13:
	v_mul_u32_u24_e32 v75, 0x44, v74
	s_waitcnt lgkmcnt(0)
	v_add_f32_e32 v90, v90, v99
	s_delay_alu instid0(VALU_DEP_2) | instskip(NEXT) | instid1(VALU_DEP_1)
	v_lshl_add_u32 v75, v73, 2, v75
	v_add_nc_u32_e32 v75, 0x4000, v75
	ds_store_2addr_b32 v75, v76, v90 offset1:136
.LBB536_14:
	s_or_b32 exec_lo, exec_lo, s4
	v_lshlrev_b32_e32 v75, 2, v73
	s_waitcnt lgkmcnt(0)
	s_barrier
	buffer_gl0_inv
	v_cmp_eq_u32_e64 s4, 1, v74
	v_add_nc_u32_e32 v90, 0x4000, v75
	ds_load_2addr_b32 v[99:100], v90 offset1:17
	ds_load_2addr_b32 v[101:102], v90 offset0:34 offset1:51
	ds_load_2addr_b32 v[103:104], v90 offset0:68 offset1:85
	;; [unrolled: 1-line block ×4, first 2 shown]
	s_waitcnt lgkmcnt(4)
	v_max3_f32 v75, v99, 0xff7fffff, v100
	s_waitcnt lgkmcnt(3)
	s_delay_alu instid0(VALU_DEP_1) | instskip(SKIP_1) | instid1(VALU_DEP_1)
	v_max3_f32 v75, v75, v101, v102
	s_waitcnt lgkmcnt(2)
	v_max3_f32 v75, v75, v103, v104
	s_waitcnt lgkmcnt(1)
	s_delay_alu instid0(VALU_DEP_1) | instskip(NEXT) | instid1(VALU_DEP_1)
	v_max3_f32 v75, v75, v105, v106
	v_sub_f32_e32 v109, v100, v75
	v_sub_f32_e32 v76, v99, v75
	ds_load_2addr_b32 v[99:100], v90 offset0:170 offset1:187
	v_sub_f32_e32 v101, v101, v75
	v_dual_mul_f32 v109, 0x3fb8aa3b, v109 :: v_dual_mul_f32 v76, 0x3fb8aa3b, v76
	s_delay_alu instid0(VALU_DEP_2) | instskip(NEXT) | instid1(VALU_DEP_2)
	v_mul_f32_e32 v111, 0x3fb8aa3b, v101
	v_exp_f32_e32 v109, v109
	s_delay_alu instid0(VALU_DEP_2)
	v_exp_f32_e32 v110, v76
	v_sub_f32_e32 v76, v102, v75
	ds_load_2addr_b32 v[101:102], v90 offset0:204 offset1:221
	v_exp_f32_e32 v111, v111
	v_mul_f32_e32 v112, 0x3fb8aa3b, v76
	s_waitcnt lgkmcnt(2)
	v_fma_f32 v76, v110, v107, 0
	v_sub_f32_e32 v103, v103, v75
	s_delay_alu instid0(VALU_DEP_3) | instskip(NEXT) | instid1(VALU_DEP_2)
	v_exp_f32_e32 v112, v112
	v_dual_sub_f32 v107, v104, v75 :: v_dual_fmac_f32 v76, v109, v108
	s_waitcnt lgkmcnt(1)
	s_waitcnt_depctr 0xfff
	v_fmac_f32_e32 v76, v111, v99
	v_mul_f32_e32 v113, 0x3fb8aa3b, v103
	ds_load_2addr_b32 v[103:104], v90 offset0:238 offset1:255
	v_sub_f32_e32 v90, v105, v75
	v_dual_sub_f32 v99, v106, v75 :: v_dual_fmac_f32 v76, v112, v100
	v_mul_f32_e32 v105, 0x3fb8aa3b, v107
	v_exp_f32_e32 v107, v113
	s_delay_alu instid0(VALU_DEP_2)
	v_dual_mul_f32 v90, 0x3fb8aa3b, v90 :: v_dual_mul_f32 v99, 0x3fb8aa3b, v99
	s_waitcnt lgkmcnt(0)
	s_barrier
	buffer_gl0_inv
	v_exp_f32_e32 v90, v90
	v_exp_f32_e32 v99, v99
	v_fmac_f32_e32 v76, v107, v101
	v_exp_f32_e32 v105, v105
	s_waitcnt_depctr 0xfff
	v_fmac_f32_e32 v76, v105, v102
	s_delay_alu instid0(VALU_DEP_1) | instskip(NEXT) | instid1(VALU_DEP_1)
	v_fmac_f32_e32 v76, v90, v103
	v_fmac_f32_e32 v76, v99, v104
	s_delay_alu instid0(VALU_DEP_1) | instskip(NEXT) | instid1(VALU_DEP_1)
	v_add_f32_e32 v100, 0x358637bd, v76
	v_div_scale_f32 v101, null, v100, v100, 1.0
	v_div_scale_f32 v104, vcc_lo, 1.0, v100, 1.0
	s_delay_alu instid0(VALU_DEP_2) | instskip(SKIP_2) | instid1(VALU_DEP_1)
	v_rcp_f32_e32 v102, v101
	s_waitcnt_depctr 0xfff
	v_fma_f32 v103, -v101, v102, 1.0
	v_fmac_f32_e32 v102, v103, v102
	v_cndmask_b32_e64 v103, v110, v109, s4
	v_cmp_eq_u32_e64 s4, 2, v74
	s_delay_alu instid0(VALU_DEP_3) | instskip(NEXT) | instid1(VALU_DEP_2)
	v_mul_f32_e32 v106, v104, v102
	v_cndmask_b32_e64 v103, v103, v111, s4
	v_cmp_eq_u32_e64 s4, 3, v74
	s_delay_alu instid0(VALU_DEP_3) | instskip(NEXT) | instid1(VALU_DEP_2)
	v_fma_f32 v108, -v101, v106, v104
	v_cndmask_b32_e64 v103, v103, v112, s4
	v_cmp_eq_u32_e64 s4, 4, v74
	s_delay_alu instid0(VALU_DEP_3) | instskip(NEXT) | instid1(VALU_DEP_2)
	v_fmac_f32_e32 v106, v108, v102
	v_cndmask_b32_e64 v103, v103, v107, s4
	s_delay_alu instid0(VALU_DEP_2) | instskip(SKIP_1) | instid1(VALU_DEP_2)
	v_fma_f32 v101, -v101, v106, v104
	v_cmp_eq_u32_e64 s4, 5, v74
	v_div_fmas_f32 v101, v101, v102, v106
	s_delay_alu instid0(VALU_DEP_2) | instskip(SKIP_2) | instid1(VALU_DEP_3)
	v_cndmask_b32_e64 v103, v103, v105, s4
	v_cmp_eq_u32_e32 vcc_lo, 6, v74
	s_mov_b32 s4, exec_lo
	v_div_fixup_f32 v100, v101, v100, 1.0
	s_delay_alu instid0(VALU_DEP_3) | instskip(SKIP_1) | instid1(VALU_DEP_2)
	v_cndmask_b32_e32 v90, v103, v90, vcc_lo
	v_cmp_eq_u32_e32 vcc_lo, 7, v74
	v_cndmask_b32_e32 v90, v90, v99, vcc_lo
	s_delay_alu instid0(VALU_DEP_1) | instskip(NEXT) | instid1(VALU_DEP_1)
	v_mul_f32_e32 v90, v90, v100
	v_mul_f32_e32 v100, v90, v92
	;; [unrolled: 1-line block ×6, first 2 shown]
	v_and_b32_e32 v101, 0x7f800000, v100
	v_mul_f32_e32 v99, v90, v95
	v_mul_f32_e32 v95, v90, v91
	;; [unrolled: 1-line block ×3, first 2 shown]
                                        ; implicit-def: $vgpr91
	s_delay_alu instid0(VALU_DEP_4)
	v_cmpx_ne_u32_e32 0x7f800000, v101
	s_xor_b32 s4, exec_lo, s4
; %bb.15:
	v_bfe_u32 v91, v100, 16, 1
	s_delay_alu instid0(VALU_DEP_1)
	v_add3_u32 v91, v100, v91, 0x7fff
                                        ; implicit-def: $vgpr100
; %bb.16:
	s_and_not1_saveexec_b32 s4, s4
; %bb.17:
	v_and_b32_e32 v91, 0xffff, v100
	v_or_b32_e32 v93, 0x10000, v100
	s_delay_alu instid0(VALU_DEP_2) | instskip(NEXT) | instid1(VALU_DEP_2)
	v_cmp_eq_u32_e32 vcc_lo, 0, v91
	v_cndmask_b32_e32 v91, v93, v100, vcc_lo
; %bb.18:
	s_or_b32 exec_lo, exec_lo, s4
	v_and_b32_e32 v93, 0x7f800000, v95
	s_delay_alu instid0(VALU_DEP_1) | instskip(SKIP_1) | instid1(SALU_CYCLE_1)
	v_cmp_ne_u32_e32 vcc_lo, 0x7f800000, v93
                                        ; implicit-def: $vgpr93
	s_and_saveexec_b32 s4, vcc_lo
	s_xor_b32 s4, exec_lo, s4
; %bb.19:
	v_bfe_u32 v93, v95, 16, 1
	s_delay_alu instid0(VALU_DEP_1)
	v_add3_u32 v93, v95, v93, 0x7fff
                                        ; implicit-def: $vgpr95
; %bb.20:
	s_and_not1_saveexec_b32 s4, s4
; %bb.21:
	v_and_b32_e32 v93, 0xffff, v95
	v_or_b32_e32 v100, 0x10000, v95
	s_delay_alu instid0(VALU_DEP_2) | instskip(NEXT) | instid1(VALU_DEP_2)
	v_cmp_eq_u32_e32 vcc_lo, 0, v93
	v_cndmask_b32_e32 v93, v100, v95, vcc_lo
; %bb.22:
	s_or_b32 exec_lo, exec_lo, s4
	v_and_b32_e32 v95, 0x7f800000, v96
	s_delay_alu instid0(VALU_DEP_1) | instskip(SKIP_1) | instid1(SALU_CYCLE_1)
	v_cmp_ne_u32_e32 vcc_lo, 0x7f800000, v95
                                        ; implicit-def: $vgpr95
	s_and_saveexec_b32 s4, vcc_lo
	s_xor_b32 s4, exec_lo, s4
; %bb.23:
	v_bfe_u32 v95, v96, 16, 1
	s_delay_alu instid0(VALU_DEP_1)
	v_add3_u32 v95, v96, v95, 0x7fff
                                        ; implicit-def: $vgpr96
; %bb.24:
	s_and_not1_saveexec_b32 s4, s4
; %bb.25:
	v_and_b32_e32 v95, 0xffff, v96
	v_or_b32_e32 v100, 0x10000, v96
	s_delay_alu instid0(VALU_DEP_2) | instskip(NEXT) | instid1(VALU_DEP_2)
	v_cmp_eq_u32_e32 vcc_lo, 0, v95
	v_cndmask_b32_e32 v95, v100, v96, vcc_lo
; %bb.26:
	s_or_b32 exec_lo, exec_lo, s4
	v_and_b32_e32 v96, 0x7f800000, v99
	s_delay_alu instid0(VALU_DEP_1) | instskip(SKIP_1) | instid1(SALU_CYCLE_1)
	v_cmp_ne_u32_e32 vcc_lo, 0x7f800000, v96
                                        ; implicit-def: $vgpr96
	s_and_saveexec_b32 s4, vcc_lo
	s_xor_b32 s4, exec_lo, s4
; %bb.27:
	v_bfe_u32 v96, v99, 16, 1
	s_delay_alu instid0(VALU_DEP_1)
	v_add3_u32 v96, v99, v96, 0x7fff
                                        ; implicit-def: $vgpr99
; %bb.28:
	s_and_not1_saveexec_b32 s4, s4
; %bb.29:
	v_and_b32_e32 v96, 0xffff, v99
	v_or_b32_e32 v100, 0x10000, v99
	s_delay_alu instid0(VALU_DEP_2) | instskip(NEXT) | instid1(VALU_DEP_2)
	v_cmp_eq_u32_e32 vcc_lo, 0, v96
	v_cndmask_b32_e32 v96, v100, v99, vcc_lo
; %bb.30:
	s_or_b32 exec_lo, exec_lo, s4
	v_and_b32_e32 v99, 0x7f800000, v98
	s_delay_alu instid0(VALU_DEP_1) | instskip(SKIP_1) | instid1(SALU_CYCLE_1)
	v_cmp_ne_u32_e32 vcc_lo, 0x7f800000, v99
                                        ; implicit-def: $vgpr99
	s_and_saveexec_b32 s4, vcc_lo
	s_xor_b32 s4, exec_lo, s4
; %bb.31:
	v_bfe_u32 v99, v98, 16, 1
	s_delay_alu instid0(VALU_DEP_1)
	v_add3_u32 v99, v98, v99, 0x7fff
                                        ; implicit-def: $vgpr98
; %bb.32:
	s_and_not1_saveexec_b32 s4, s4
; %bb.33:
	v_and_b32_e32 v99, 0xffff, v98
	v_or_b32_e32 v100, 0x10000, v98
	s_delay_alu instid0(VALU_DEP_2) | instskip(NEXT) | instid1(VALU_DEP_2)
	v_cmp_eq_u32_e32 vcc_lo, 0, v99
	v_cndmask_b32_e32 v99, v100, v98, vcc_lo
; %bb.34:
	s_or_b32 exec_lo, exec_lo, s4
	v_and_b32_e32 v98, 0x7f800000, v97
	s_delay_alu instid0(VALU_DEP_1) | instskip(SKIP_1) | instid1(SALU_CYCLE_1)
	v_cmp_ne_u32_e32 vcc_lo, 0x7f800000, v98
                                        ; implicit-def: $vgpr98
	s_and_saveexec_b32 s4, vcc_lo
	s_xor_b32 s4, exec_lo, s4
; %bb.35:
	v_bfe_u32 v98, v97, 16, 1
	s_delay_alu instid0(VALU_DEP_1)
	v_add3_u32 v98, v97, v98, 0x7fff
                                        ; implicit-def: $vgpr97
; %bb.36:
	s_and_not1_saveexec_b32 s4, s4
; %bb.37:
	v_and_b32_e32 v98, 0xffff, v97
	v_or_b32_e32 v100, 0x10000, v97
	s_delay_alu instid0(VALU_DEP_2) | instskip(NEXT) | instid1(VALU_DEP_2)
	v_cmp_eq_u32_e32 vcc_lo, 0, v98
	v_cndmask_b32_e32 v98, v100, v97, vcc_lo
; %bb.38:
	s_or_b32 exec_lo, exec_lo, s4
	v_and_b32_e32 v97, 0x7f800000, v94
	s_delay_alu instid0(VALU_DEP_1) | instskip(SKIP_1) | instid1(SALU_CYCLE_1)
	v_cmp_ne_u32_e32 vcc_lo, 0x7f800000, v97
                                        ; implicit-def: $vgpr97
	s_and_saveexec_b32 s4, vcc_lo
	s_xor_b32 s4, exec_lo, s4
; %bb.39:
	v_bfe_u32 v97, v94, 16, 1
	s_delay_alu instid0(VALU_DEP_1)
	v_add3_u32 v97, v94, v97, 0x7fff
                                        ; implicit-def: $vgpr94
; %bb.40:
	s_and_not1_saveexec_b32 s4, s4
; %bb.41:
	v_and_b32_e32 v97, 0xffff, v94
	v_or_b32_e32 v100, 0x10000, v94
	s_delay_alu instid0(VALU_DEP_2) | instskip(NEXT) | instid1(VALU_DEP_2)
	v_cmp_eq_u32_e32 vcc_lo, 0, v97
	v_cndmask_b32_e32 v97, v100, v94, vcc_lo
; %bb.42:
	s_or_b32 exec_lo, exec_lo, s4
	v_and_b32_e32 v94, 0x7f800000, v92
	s_delay_alu instid0(VALU_DEP_1) | instskip(SKIP_1) | instid1(SALU_CYCLE_1)
	v_cmp_ne_u32_e32 vcc_lo, 0x7f800000, v94
                                        ; implicit-def: $vgpr94
	s_and_saveexec_b32 s4, vcc_lo
	s_xor_b32 s4, exec_lo, s4
; %bb.43:
	v_bfe_u32 v94, v92, 16, 1
	s_delay_alu instid0(VALU_DEP_1)
	v_add3_u32 v94, v92, v94, 0x7fff
                                        ; implicit-def: $vgpr92
; %bb.44:
	s_and_not1_saveexec_b32 s4, s4
; %bb.45:
	v_and_b32_e32 v94, 0xffff, v92
	v_or_b32_e32 v100, 0x10000, v92
	s_delay_alu instid0(VALU_DEP_2) | instskip(NEXT) | instid1(VALU_DEP_2)
	v_cmp_eq_u32_e32 vcc_lo, 0, v94
	v_cndmask_b32_e32 v94, v100, v92, vcc_lo
; %bb.46:
	s_or_b32 exec_lo, exec_lo, s4
	s_load_b64 s[36:37], s[0:1], 0x94
	v_lshlrev_b32_e32 v92, 4, v83
	s_delay_alu instid0(VALU_DEP_2)
	v_perm_b32 v100, v94, v97, 0x7060302
	v_dual_mul_f32 v89, v90, v89 :: v_dual_lshlrev_b32 v94, 11, v74
	v_perm_b32 v97, v93, v91, 0x7060302
	v_mul_f32_e32 v93, v90, v77
	v_perm_b32 v99, v98, v99, 0x7060302
	v_perm_b32 v98, v96, v95, 0x7060302
	v_or3_b32 v77, v92, v94, v85
	v_mul_f32_e32 v88, v90, v88
	v_dual_mul_f32 v87, v90, v87 :: v_dual_and_b32 v94, 0x7f800000, v93
	v_mul_f32_e32 v86, v90, v86
	v_mul_f32_e32 v91, v90, v80
	;; [unrolled: 1-line block ×4, first 2 shown]
	s_mov_b32 s4, exec_lo
	ds_store_b128 v77, v[97:100]
                                        ; implicit-def: $vgpr78
	v_cmpx_ne_u32_e32 0x7f800000, v94
	s_xor_b32 s4, exec_lo, s4
; %bb.47:
	v_bfe_u32 v78, v93, 16, 1
	s_delay_alu instid0(VALU_DEP_1)
	v_add3_u32 v78, v93, v78, 0x7fff
                                        ; implicit-def: $vgpr93
; %bb.48:
	s_and_not1_saveexec_b32 s4, s4
; %bb.49:
	v_and_b32_e32 v78, 0xffff, v93
	v_or_b32_e32 v79, 0x10000, v93
	s_delay_alu instid0(VALU_DEP_2) | instskip(NEXT) | instid1(VALU_DEP_2)
	v_cmp_eq_u32_e32 vcc_lo, 0, v78
	v_cndmask_b32_e32 v78, v79, v93, vcc_lo
; %bb.50:
	s_or_b32 exec_lo, exec_lo, s4
	v_and_b32_e32 v79, 0x7f800000, v80
	s_delay_alu instid0(VALU_DEP_1) | instskip(SKIP_1) | instid1(SALU_CYCLE_1)
	v_cmp_ne_u32_e32 vcc_lo, 0x7f800000, v79
                                        ; implicit-def: $vgpr79
	s_and_saveexec_b32 s4, vcc_lo
	s_xor_b32 s4, exec_lo, s4
; %bb.51:
	v_bfe_u32 v79, v80, 16, 1
	s_delay_alu instid0(VALU_DEP_1)
	v_add3_u32 v79, v80, v79, 0x7fff
                                        ; implicit-def: $vgpr80
; %bb.52:
	s_and_not1_saveexec_b32 s4, s4
; %bb.53:
	v_and_b32_e32 v79, 0xffff, v80
	v_or_b32_e32 v90, 0x10000, v80
	s_delay_alu instid0(VALU_DEP_2) | instskip(NEXT) | instid1(VALU_DEP_2)
	v_cmp_eq_u32_e32 vcc_lo, 0, v79
	v_cndmask_b32_e32 v79, v90, v80, vcc_lo
; %bb.54:
	s_or_b32 exec_lo, exec_lo, s4
	v_and_b32_e32 v80, 0x7f800000, v92
	s_delay_alu instid0(VALU_DEP_1) | instskip(SKIP_1) | instid1(SALU_CYCLE_1)
	v_cmp_ne_u32_e32 vcc_lo, 0x7f800000, v80
                                        ; implicit-def: $vgpr80
	s_and_saveexec_b32 s4, vcc_lo
	s_xor_b32 s4, exec_lo, s4
; %bb.55:
	v_bfe_u32 v80, v92, 16, 1
	s_delay_alu instid0(VALU_DEP_1)
	v_add3_u32 v80, v92, v80, 0x7fff
                                        ; implicit-def: $vgpr92
; %bb.56:
	s_and_not1_saveexec_b32 s4, s4
; %bb.57:
	v_and_b32_e32 v80, 0xffff, v92
	v_or_b32_e32 v90, 0x10000, v92
	s_delay_alu instid0(VALU_DEP_2) | instskip(NEXT) | instid1(VALU_DEP_2)
	v_cmp_eq_u32_e32 vcc_lo, 0, v80
	v_cndmask_b32_e32 v80, v90, v92, vcc_lo
; %bb.58:
	s_or_b32 exec_lo, exec_lo, s4
	v_and_b32_e32 v90, 0x7f800000, v91
	s_delay_alu instid0(VALU_DEP_1) | instskip(SKIP_1) | instid1(SALU_CYCLE_1)
	v_cmp_ne_u32_e32 vcc_lo, 0x7f800000, v90
                                        ; implicit-def: $vgpr90
	s_and_saveexec_b32 s4, vcc_lo
	s_xor_b32 s4, exec_lo, s4
; %bb.59:
	v_bfe_u32 v90, v91, 16, 1
	s_delay_alu instid0(VALU_DEP_1)
	v_add3_u32 v90, v91, v90, 0x7fff
                                        ; implicit-def: $vgpr91
; %bb.60:
	s_and_not1_saveexec_b32 s4, s4
; %bb.61:
	v_and_b32_e32 v90, 0xffff, v91
	v_or_b32_e32 v92, 0x10000, v91
	s_delay_alu instid0(VALU_DEP_2) | instskip(NEXT) | instid1(VALU_DEP_2)
	v_cmp_eq_u32_e32 vcc_lo, 0, v90
	v_cndmask_b32_e32 v90, v92, v91, vcc_lo
; %bb.62:
	s_or_b32 exec_lo, exec_lo, s4
	v_and_b32_e32 v91, 0x7f800000, v86
	s_delay_alu instid0(VALU_DEP_1) | instskip(SKIP_1) | instid1(SALU_CYCLE_1)
	v_cmp_ne_u32_e32 vcc_lo, 0x7f800000, v91
                                        ; implicit-def: $vgpr91
	s_and_saveexec_b32 s4, vcc_lo
	s_xor_b32 s4, exec_lo, s4
; %bb.63:
	v_bfe_u32 v91, v86, 16, 1
	s_delay_alu instid0(VALU_DEP_1)
	v_add3_u32 v91, v86, v91, 0x7fff
                                        ; implicit-def: $vgpr86
; %bb.64:
	s_and_not1_saveexec_b32 s4, s4
; %bb.65:
	v_and_b32_e32 v91, 0xffff, v86
	v_or_b32_e32 v92, 0x10000, v86
	s_delay_alu instid0(VALU_DEP_2) | instskip(NEXT) | instid1(VALU_DEP_2)
	v_cmp_eq_u32_e32 vcc_lo, 0, v91
	v_cndmask_b32_e32 v91, v92, v86, vcc_lo
; %bb.66:
	s_or_b32 exec_lo, exec_lo, s4
	v_and_b32_e32 v86, 0x7f800000, v87
	s_delay_alu instid0(VALU_DEP_1) | instskip(SKIP_1) | instid1(SALU_CYCLE_1)
	v_cmp_ne_u32_e32 vcc_lo, 0x7f800000, v86
                                        ; implicit-def: $vgpr86
	s_and_saveexec_b32 s4, vcc_lo
	s_xor_b32 s4, exec_lo, s4
; %bb.67:
	v_bfe_u32 v86, v87, 16, 1
	s_delay_alu instid0(VALU_DEP_1)
	v_add3_u32 v86, v87, v86, 0x7fff
                                        ; implicit-def: $vgpr87
; %bb.68:
	s_and_not1_saveexec_b32 s4, s4
; %bb.69:
	v_and_b32_e32 v86, 0xffff, v87
	v_or_b32_e32 v92, 0x10000, v87
	s_delay_alu instid0(VALU_DEP_2) | instskip(NEXT) | instid1(VALU_DEP_2)
	v_cmp_eq_u32_e32 vcc_lo, 0, v86
	v_cndmask_b32_e32 v86, v92, v87, vcc_lo
; %bb.70:
	s_or_b32 exec_lo, exec_lo, s4
	v_and_b32_e32 v87, 0x7f800000, v88
	s_delay_alu instid0(VALU_DEP_1) | instskip(SKIP_1) | instid1(SALU_CYCLE_1)
	v_cmp_ne_u32_e32 vcc_lo, 0x7f800000, v87
                                        ; implicit-def: $vgpr87
	s_and_saveexec_b32 s4, vcc_lo
	s_xor_b32 s4, exec_lo, s4
; %bb.71:
	v_bfe_u32 v87, v88, 16, 1
	s_delay_alu instid0(VALU_DEP_1)
	v_add3_u32 v87, v88, v87, 0x7fff
                                        ; implicit-def: $vgpr88
; %bb.72:
	s_and_not1_saveexec_b32 s4, s4
; %bb.73:
	v_and_b32_e32 v87, 0xffff, v88
	v_or_b32_e32 v92, 0x10000, v88
	s_delay_alu instid0(VALU_DEP_2) | instskip(NEXT) | instid1(VALU_DEP_2)
	v_cmp_eq_u32_e32 vcc_lo, 0, v87
	v_cndmask_b32_e32 v87, v92, v88, vcc_lo
; %bb.74:
	s_or_b32 exec_lo, exec_lo, s4
	v_and_b32_e32 v88, 0x7f800000, v89
	s_delay_alu instid0(VALU_DEP_1) | instskip(SKIP_1) | instid1(SALU_CYCLE_1)
	v_cmp_ne_u32_e32 vcc_lo, 0x7f800000, v88
                                        ; implicit-def: $vgpr88
	s_and_saveexec_b32 s4, vcc_lo
	s_xor_b32 s4, exec_lo, s4
; %bb.75:
	v_bfe_u32 v88, v89, 16, 1
	s_delay_alu instid0(VALU_DEP_1)
	v_add3_u32 v88, v89, v88, 0x7fff
                                        ; implicit-def: $vgpr89
; %bb.76:
	s_and_not1_saveexec_b32 s4, s4
; %bb.77:
	v_and_b32_e32 v88, 0xffff, v89
	v_or_b32_e32 v92, 0x10000, v89
	s_delay_alu instid0(VALU_DEP_2) | instskip(NEXT) | instid1(VALU_DEP_2)
	v_cmp_eq_u32_e32 vcc_lo, 0, v88
	v_cndmask_b32_e32 v88, v92, v89, vcc_lo
; %bb.78:
	s_or_b32 exec_lo, exec_lo, s4
	s_delay_alu instid0(VALU_DEP_1)
	v_perm_b32 v89, v88, v87, 0x7060302
	v_perm_b32 v88, v86, v91, 0x7060302
	;; [unrolled: 1-line block ×4, first 2 shown]
	v_lshl_or_b32 v90, v74, 11, v85
	ds_store_b128 v77, v[86:89] offset:1024
	s_waitcnt lgkmcnt(0)
	s_barrier
	buffer_gl0_inv
	ds_load_b128 v[91:94], v90
	ds_load_b128 v[95:98], v90 offset:16
	v_lshlrev_b32_e32 v87, 2, v83
	s_delay_alu instid0(VALU_DEP_1)
	v_or_b32_e32 v88, 1, v87
	v_cmp_eq_u32_e32 vcc_lo, 1, v87
	v_cmp_eq_u32_e64 s5, 2, v87
	v_cmp_eq_u32_e64 s8, 3, v87
	;; [unrolled: 1-line block ×6, first 2 shown]
	v_or_b32_e32 v86, 2, v87
	v_cmp_eq_u32_e64 s11, 5, v87
	v_cmp_eq_u32_e64 s12, 4, v88
	;; [unrolled: 1-line block ×4, first 2 shown]
	s_waitcnt lgkmcnt(1)
	v_lshrrev_b32_e32 v74, 16, v91
	s_waitcnt lgkmcnt(0)
	v_lshrrev_b32_e32 v103, 16, v95
	v_lshrrev_b32_e32 v80, 16, v94
	v_lshrrev_b32_e32 v78, 16, v92
	v_lshrrev_b32_e32 v107, 16, v96
	v_cndmask_b32_e32 v89, v91, v74, vcc_lo
	v_cndmask_b32_e32 v99, v95, v103, vcc_lo
	v_cndmask_b32_e64 v100, v91, v74, s4
	v_lshrrev_b32_e32 v79, 16, v93
	v_lshrrev_b32_e32 v108, 16, v97
	v_cndmask_b32_e64 v89, v89, v92, s5
	v_cndmask_b32_e64 v99, v99, v96, s5
	;; [unrolled: 1-line block ×4, first 2 shown]
	v_cmp_eq_u32_e64 s6, 1, v86
	v_cndmask_b32_e64 v89, v89, v78, s8
	v_cndmask_b32_e64 v99, v99, v107, s8
	;; [unrolled: 1-line block ×4, first 2 shown]
	v_lshrrev_b32_e32 v109, 16, v98
	v_cndmask_b32_e64 v89, v89, v93, s10
	v_cndmask_b32_e64 v99, v99, v97, s10
	;; [unrolled: 1-line block ×8, first 2 shown]
	v_cmp_eq_u32_e64 s16, 7, v87
	v_cmp_eq_u32_e64 s17, 6, v88
	v_cndmask_b32_e64 v89, v89, v94, s13
	v_cndmask_b32_e64 v99, v99, v98, s13
	v_cmp_eq_u32_e64 s18, 2, v86
	v_cndmask_b32_e64 v101, v101, v97, s12
	v_cndmask_b32_e64 v100, v100, v94, s17
	;; [unrolled: 1-line block ×6, first 2 shown]
	v_cmp_eq_u32_e64 s19, 7, v88
	v_cmp_eq_u32_e64 s20, 3, v86
	;; [unrolled: 1-line block ×4, first 2 shown]
	v_cndmask_b32_e64 v99, v99, v96, s18
	v_cndmask_b32_e64 v112, v100, v80, s19
	;; [unrolled: 1-line block ×4, first 2 shown]
	v_or_b32_e32 v89, 3, v87
	v_cndmask_b32_e64 v105, v99, v107, s20
	v_cmp_eq_u32_e64 s25, 6, v86
	v_cndmask_b32_e64 v113, v100, v98, s17
	v_cndmask_b32_e64 v104, v101, v93, s21
	ds_load_b128 v[99:102], v90 offset:1024
	v_cmp_eq_u32_e64 s22, 1, v89
	v_cmp_eq_u32_e64 s24, 2, v89
	;; [unrolled: 1-line block ×3, first 2 shown]
	v_cndmask_b32_e64 v114, v104, v79, s23
	v_cmp_eq_u32_e64 s27, 4, v89
	v_cndmask_b32_e64 v74, v91, v74, s22
	v_cndmask_b32_e64 v91, v105, v97, s21
	;; [unrolled: 1-line block ×3, first 2 shown]
	ds_load_b128 v[103:106], v90 offset:1040
	v_cmp_eq_u32_e64 s29, 5, v89
	v_cndmask_b32_e64 v74, v74, v92, s24
	v_cndmask_b32_e64 v91, v91, v108, s23
	;; [unrolled: 1-line block ×3, first 2 shown]
	v_cmp_eq_u32_e64 s30, 6, v89
	v_cndmask_b32_e64 v95, v113, v109, s19
	v_cndmask_b32_e64 v74, v74, v78, s26
	;; [unrolled: 1-line block ×5, first 2 shown]
	s_waitcnt lgkmcnt(1)
	v_lshrrev_b32_e32 v96, 16, v99
	v_cndmask_b32_e64 v74, v74, v93, s27
	v_lshrrev_b32_e32 v107, 16, v100
	v_cndmask_b32_e64 v92, v92, v97, s27
	v_cmp_eq_u32_e64 s28, 7, v86
	v_cndmask_b32_e32 v93, v99, v96, vcc_lo
	v_cndmask_b32_e64 v74, v74, v79, s29
	s_delay_alu instid0(VALU_DEP_4)
	v_cndmask_b32_e64 v79, v92, v108, s29
	s_waitcnt lgkmcnt(0)
	v_lshrrev_b32_e32 v97, 16, v103
	v_cndmask_b32_e64 v92, v93, v100, s5
	v_cndmask_b32_e64 v93, v99, v96, s4
	;; [unrolled: 1-line block ×4, first 2 shown]
	v_cndmask_b32_e32 v108, v103, v97, vcc_lo
	v_cndmask_b32_e64 v92, v92, v107, s8
	v_cndmask_b32_e64 v93, v93, v100, s7
	v_lshrrev_b32_e32 v98, 16, v104
	v_cmp_eq_u32_e32 vcc_lo, 7, v89
	v_cndmask_b32_e64 v94, v108, v104, s5
	v_cndmask_b32_e64 v92, v92, v101, s10
	v_lshrrev_b32_e32 v108, 16, v101
	v_cndmask_b32_e64 v93, v93, v107, s9
	v_cndmask_b32_e32 v74, v74, v80, vcc_lo
	v_cndmask_b32_e64 v94, v94, v98, s8
	v_cndmask_b32_e32 v79, v79, v109, vcc_lo
	v_cndmask_b32_e64 v92, v92, v108, s11
	v_cndmask_b32_e64 v78, v78, v80, s28
	;; [unrolled: 1-line block ×4, first 2 shown]
	v_perm_b32 v94, v79, v74, 0x5040100
	v_cndmask_b32_e64 v79, v92, v102, s13
	v_perm_b32 v92, v95, v112, 0x5040100
	v_cndmask_b32_e64 v95, v99, v96, s6
	v_cndmask_b32_e64 v96, v99, v96, s22
	;; [unrolled: 1-line block ×16, first 2 shown]
	v_lshrrev_b32_e32 v109, 16, v105
	v_cndmask_b32_e64 v95, v95, v101, s21
	v_cndmask_b32_e64 v96, v96, v101, s27
	;; [unrolled: 1-line block ×6, first 2 shown]
	v_lshrrev_b32_e32 v80, 16, v102
	v_cndmask_b32_e64 v113, v93, v109, s11
	v_cndmask_b32_e64 v95, v95, v108, s23
	;; [unrolled: 1-line block ×6, first 2 shown]
	v_perm_b32 v93, v91, v78, 0x5040100
	v_cndmask_b32_e64 v74, v74, v102, s17
	v_cndmask_b32_e64 v78, v79, v80, s16
	;; [unrolled: 1-line block ×3, first 2 shown]
	v_lshrrev_b32_e32 v91, 16, v106
	v_cndmask_b32_e64 v95, v95, v102, s25
	v_cndmask_b32_e64 v96, v96, v102, s30
	;; [unrolled: 1-line block ×7, first 2 shown]
	v_cndmask_b32_e32 v80, v96, v80, vcc_lo
	v_cndmask_b32_e32 v96, v98, v91, vcc_lo
	v_cndmask_b32_e64 v99, v99, v91, s28
	v_cndmask_b32_e64 v100, v97, v91, s19
	;; [unrolled: 1-line block ×3, first 2 shown]
	v_perm_b32 v91, v111, v110, 0x5040100
	v_perm_b32 v98, v96, v80, 0x5040100
	v_perm_b32 v97, v99, v95, 0x5040100
	v_perm_b32 v96, v100, v74, 0x5040100
	v_perm_b32 v95, v79, v78, 0x5040100
	s_mul_i32 s9, s37, 3
	s_mov_b32 s4, exec_lo
	ds_store_b128 v77, v[91:94]
	ds_store_b128 v77, v[95:98] offset:1024
	v_cmpx_gt_u32_e32 3, v0
	s_cbranch_execz .LBB536_80
; %bb.79:
	s_mul_i32 s5, s9, s34
	s_load_b128 s[16:19], s[0:1], 0x58
	v_add3_u32 v77, s5, s31, v73
	s_delay_alu instid0(VALU_DEP_1) | instskip(NEXT) | instid1(VALU_DEP_1)
	v_mad_u64_u32 v[73:74], null, v77, s36, s[14:15]
	v_ashrrev_i32_e32 v74, 31, v73
	s_delay_alu instid0(VALU_DEP_1) | instskip(SKIP_1) | instid1(VALU_DEP_1)
	v_lshlrev_b64 v[73:74], 2, v[73:74]
	s_waitcnt lgkmcnt(0)
	v_add_co_u32 v77, vcc_lo, s18, v73
	s_delay_alu instid0(VALU_DEP_2)
	v_add_co_ci_u32_e32 v78, vcc_lo, s19, v74, vcc_lo
	v_add_co_u32 v73, vcc_lo, s16, v73
	v_add_co_ci_u32_e32 v74, vcc_lo, s17, v74, vcc_lo
	global_store_b32 v[77:78], v75, off
	global_store_b32 v[73:74], v76, off
.LBB536_80:
	s_or_b32 exec_lo, exec_lo, s4
	s_waitcnt lgkmcnt(0)
	s_waitcnt_vscnt null, 0x0
	s_barrier
	buffer_gl0_inv
	ds_load_b128 v[91:94], v85
	ds_load_b128 v[95:98], v85 offset:16
	ds_load_b128 v[103:106], v85 offset:1040
	;; [unrolled: 1-line block ×3, first 2 shown]
	v_mov_b32_e32 v73, 0
	ds_load_b128 v[111:114], v85 offset:2064
	ds_load_b128 v[107:110], v85 offset:2048
	;; [unrolled: 1-line block ×6, first 2 shown]
	v_mov_b32_e32 v74, v73
	v_mov_b32_e32 v75, v73
	;; [unrolled: 1-line block ×7, first 2 shown]
	s_waitcnt lgkmcnt(8)
	s_delay_alu instid0(VALU_DEP_1)
	v_wmma_f32_16x16x16_bf16 v[73:80], v[65:72], v[91:98], v[73:80]
	ds_load_b128 v[69:72], v85 offset:5136
	ds_load_b128 v[65:68], v85 offset:5120
	;; [unrolled: 1-line block ×4, first 2 shown]
	s_waitcnt lgkmcnt(10)
	v_wmma_f32_16x16x16_bf16 v[73:80], v[57:64], v[99:106], v[73:80]
	s_waitcnt lgkmcnt(8)
	s_delay_alu instid0(VALU_DEP_1)
	v_wmma_f32_16x16x16_bf16 v[73:80], v[57:64], v[107:114], v[73:80]
	ds_load_b128 v[61:64], v85 offset:7184
	ds_load_b128 v[57:60], v85 offset:7168
	;; [unrolled: 1-line block ×4, first 2 shown]
	s_waitcnt lgkmcnt(10)
	v_wmma_f32_16x16x16_bf16 v[73:80], v[49:56], v[115:122], v[73:80]
	s_waitcnt lgkmcnt(8)
	s_delay_alu instid0(VALU_DEP_1)
	v_wmma_f32_16x16x16_bf16 v[73:80], v[49:56], v[123:130], v[73:80]
	ds_load_b128 v[53:56], v85 offset:9232
	ds_load_b128 v[49:52], v85 offset:9216
	s_waitcnt lgkmcnt(8)
	v_wmma_f32_16x16x16_bf16 v[73:80], v[41:48], v[65:72], v[73:80]
	ds_load_b128 v[69:72], v85 offset:10256
	ds_load_b128 v[65:68], v85 offset:10240
	s_waitcnt lgkmcnt(8)
	;; [unrolled: 4-line block ×3, first 2 shown]
	v_wmma_f32_16x16x16_bf16 v[73:80], v[9:16], v[57:64], v[73:80]
	s_waitcnt lgkmcnt(6)
	s_delay_alu instid0(VALU_DEP_1)
	v_wmma_f32_16x16x16_bf16 v[73:80], v[9:16], v[99:106], v[73:80]
	ds_load_b128 v[13:16], v85 offset:12304
	ds_load_b128 v[9:12], v85 offset:12288
	s_waitcnt lgkmcnt(6)
	v_wmma_f32_16x16x16_bf16 v[73:80], v[1:8], v[49:56], v[73:80]
	ds_load_b128 v[53:56], v85 offset:13328
	ds_load_b128 v[49:52], v85 offset:13312
	s_waitcnt lgkmcnt(6)
	;; [unrolled: 4-line block ×4, first 2 shown]
	v_wmma_f32_16x16x16_bf16 v[73:80], v[33:40], v[9:16], v[73:80]
	s_waitcnt lgkmcnt(4)
	s_delay_alu instid0(VALU_DEP_1) | instskip(SKIP_1) | instid1(VALU_DEP_1)
	v_wmma_f32_16x16x16_bf16 v[73:80], v[25:32], v[49:56], v[73:80]
	s_waitcnt lgkmcnt(2)
	v_wmma_f32_16x16x16_bf16 v[73:80], v[25:32], v[1:8], v[73:80]
	s_waitcnt lgkmcnt(0)
	s_delay_alu instid0(VALU_DEP_1) | instskip(NEXT) | instid1(VALU_DEP_1)
	v_wmma_f32_16x16x16_bf16 v[73:80], v[17:24], v[41:48], v[73:80]
	v_and_b32_e32 v1, 0x7f800000, v73
	s_delay_alu instid0(VALU_DEP_1) | instskip(SKIP_1) | instid1(SALU_CYCLE_1)
	v_cmp_ne_u32_e32 vcc_lo, 0x7f800000, v1
                                        ; implicit-def: $vgpr1
	s_and_saveexec_b32 s4, vcc_lo
	s_xor_b32 s4, exec_lo, s4
; %bb.81:
	v_bfe_u32 v1, v73, 16, 1
	s_delay_alu instid0(VALU_DEP_1)
	v_add3_u32 v1, v73, v1, 0x7fff
; %bb.82:
	s_and_not1_saveexec_b32 s4, s4
; %bb.83:
	v_and_b32_e32 v1, 0xffff, v73
	v_or_b32_e32 v2, 0x10000, v73
	s_delay_alu instid0(VALU_DEP_2) | instskip(NEXT) | instid1(VALU_DEP_2)
	v_cmp_eq_u32_e32 vcc_lo, 0, v1
	v_cndmask_b32_e32 v1, v2, v73, vcc_lo
; %bb.84:
	s_or_b32 exec_lo, exec_lo, s4
	v_and_b32_e32 v2, 0x7f800000, v74
	s_delay_alu instid0(VALU_DEP_1) | instskip(SKIP_1) | instid1(SALU_CYCLE_1)
	v_cmp_ne_u32_e32 vcc_lo, 0x7f800000, v2
                                        ; implicit-def: $vgpr2
	s_and_saveexec_b32 s4, vcc_lo
	s_xor_b32 s4, exec_lo, s4
; %bb.85:
	v_bfe_u32 v2, v74, 16, 1
	s_delay_alu instid0(VALU_DEP_1)
	v_add3_u32 v2, v74, v2, 0x7fff
; %bb.86:
	s_and_not1_saveexec_b32 s4, s4
; %bb.87:
	v_and_b32_e32 v2, 0xffff, v74
	v_or_b32_e32 v3, 0x10000, v74
	s_delay_alu instid0(VALU_DEP_2) | instskip(NEXT) | instid1(VALU_DEP_2)
	v_cmp_eq_u32_e32 vcc_lo, 0, v2
	v_cndmask_b32_e32 v2, v3, v74, vcc_lo
; %bb.88:
	s_or_b32 exec_lo, exec_lo, s4
	v_and_b32_e32 v3, 0x7f800000, v75
	s_delay_alu instid0(VALU_DEP_1) | instskip(SKIP_1) | instid1(SALU_CYCLE_1)
	v_cmp_ne_u32_e32 vcc_lo, 0x7f800000, v3
                                        ; implicit-def: $vgpr3
	s_and_saveexec_b32 s4, vcc_lo
	s_xor_b32 s4, exec_lo, s4
; %bb.89:
	v_bfe_u32 v3, v75, 16, 1
	s_delay_alu instid0(VALU_DEP_1)
	v_add3_u32 v3, v75, v3, 0x7fff
; %bb.90:
	s_and_not1_saveexec_b32 s4, s4
; %bb.91:
	v_and_b32_e32 v3, 0xffff, v75
	v_or_b32_e32 v4, 0x10000, v75
	s_delay_alu instid0(VALU_DEP_2) | instskip(NEXT) | instid1(VALU_DEP_2)
	v_cmp_eq_u32_e32 vcc_lo, 0, v3
	v_cndmask_b32_e32 v3, v4, v75, vcc_lo
; %bb.92:
	s_or_b32 exec_lo, exec_lo, s4
	v_and_b32_e32 v4, 0x7f800000, v76
	s_delay_alu instid0(VALU_DEP_1) | instskip(SKIP_1) | instid1(SALU_CYCLE_1)
	v_cmp_ne_u32_e32 vcc_lo, 0x7f800000, v4
                                        ; implicit-def: $vgpr4
	s_and_saveexec_b32 s4, vcc_lo
	s_xor_b32 s4, exec_lo, s4
; %bb.93:
	v_bfe_u32 v4, v76, 16, 1
	s_delay_alu instid0(VALU_DEP_1)
	v_add3_u32 v4, v76, v4, 0x7fff
; %bb.94:
	s_and_not1_saveexec_b32 s4, s4
; %bb.95:
	v_and_b32_e32 v4, 0xffff, v76
	v_or_b32_e32 v5, 0x10000, v76
	s_delay_alu instid0(VALU_DEP_2) | instskip(NEXT) | instid1(VALU_DEP_2)
	v_cmp_eq_u32_e32 vcc_lo, 0, v4
	v_cndmask_b32_e32 v4, v5, v76, vcc_lo
; %bb.96:
	s_or_b32 exec_lo, exec_lo, s4
	v_and_b32_e32 v5, 0x7f800000, v77
	s_delay_alu instid0(VALU_DEP_1) | instskip(SKIP_1) | instid1(SALU_CYCLE_1)
	v_cmp_ne_u32_e32 vcc_lo, 0x7f800000, v5
                                        ; implicit-def: $vgpr5
	s_and_saveexec_b32 s4, vcc_lo
	s_xor_b32 s4, exec_lo, s4
; %bb.97:
	v_bfe_u32 v5, v77, 16, 1
	s_delay_alu instid0(VALU_DEP_1)
	v_add3_u32 v5, v77, v5, 0x7fff
; %bb.98:
	s_and_not1_saveexec_b32 s4, s4
; %bb.99:
	v_and_b32_e32 v5, 0xffff, v77
	v_or_b32_e32 v6, 0x10000, v77
	s_delay_alu instid0(VALU_DEP_2) | instskip(NEXT) | instid1(VALU_DEP_2)
	v_cmp_eq_u32_e32 vcc_lo, 0, v5
	v_cndmask_b32_e32 v5, v6, v77, vcc_lo
; %bb.100:
	s_or_b32 exec_lo, exec_lo, s4
	v_and_b32_e32 v6, 0x7f800000, v78
	s_delay_alu instid0(VALU_DEP_1) | instskip(SKIP_1) | instid1(SALU_CYCLE_1)
	v_cmp_ne_u32_e32 vcc_lo, 0x7f800000, v6
                                        ; implicit-def: $vgpr6
	s_and_saveexec_b32 s4, vcc_lo
	s_xor_b32 s4, exec_lo, s4
; %bb.101:
	v_bfe_u32 v6, v78, 16, 1
	s_delay_alu instid0(VALU_DEP_1)
	v_add3_u32 v6, v78, v6, 0x7fff
; %bb.102:
	s_and_not1_saveexec_b32 s4, s4
; %bb.103:
	v_and_b32_e32 v6, 0xffff, v78
	v_or_b32_e32 v7, 0x10000, v78
	s_delay_alu instid0(VALU_DEP_2) | instskip(NEXT) | instid1(VALU_DEP_2)
	v_cmp_eq_u32_e32 vcc_lo, 0, v6
	v_cndmask_b32_e32 v6, v7, v78, vcc_lo
; %bb.104:
	s_or_b32 exec_lo, exec_lo, s4
	v_and_b32_e32 v7, 0x7f800000, v79
	s_delay_alu instid0(VALU_DEP_1) | instskip(SKIP_1) | instid1(SALU_CYCLE_1)
	v_cmp_ne_u32_e32 vcc_lo, 0x7f800000, v7
                                        ; implicit-def: $vgpr7
	s_and_saveexec_b32 s4, vcc_lo
	s_xor_b32 s4, exec_lo, s4
; %bb.105:
	v_bfe_u32 v7, v79, 16, 1
	s_delay_alu instid0(VALU_DEP_1)
	v_add3_u32 v7, v79, v7, 0x7fff
; %bb.106:
	s_and_not1_saveexec_b32 s4, s4
; %bb.107:
	v_and_b32_e32 v7, 0xffff, v79
	v_or_b32_e32 v8, 0x10000, v79
	s_delay_alu instid0(VALU_DEP_2) | instskip(NEXT) | instid1(VALU_DEP_2)
	v_cmp_eq_u32_e32 vcc_lo, 0, v7
	v_cndmask_b32_e32 v7, v8, v79, vcc_lo
; %bb.108:
	s_or_b32 exec_lo, exec_lo, s4
	v_and_b32_e32 v8, 0x7f800000, v80
	s_delay_alu instid0(VALU_DEP_1) | instskip(SKIP_1) | instid1(SALU_CYCLE_1)
	v_cmp_ne_u32_e32 vcc_lo, 0x7f800000, v8
                                        ; implicit-def: $vgpr8
	s_and_saveexec_b32 s4, vcc_lo
	s_xor_b32 s4, exec_lo, s4
; %bb.109:
	v_bfe_u32 v8, v80, 16, 1
	s_delay_alu instid0(VALU_DEP_1)
	v_add3_u32 v8, v80, v8, 0x7fff
                                        ; implicit-def: $vgpr73_vgpr74_vgpr75_vgpr76_vgpr77_vgpr78_vgpr79_vgpr80
; %bb.110:
	s_and_not1_saveexec_b32 s4, s4
; %bb.111:
	v_and_b32_e32 v8, 0xffff, v80
	v_or_b32_e32 v9, 0x10000, v80
	s_delay_alu instid0(VALU_DEP_2) | instskip(NEXT) | instid1(VALU_DEP_2)
	v_cmp_eq_u32_e32 vcc_lo, 0, v8
	v_cndmask_b32_e32 v8, v9, v80, vcc_lo
; %bb.112:
	s_or_b32 exec_lo, exec_lo, s4
	s_delay_alu instid0(VALU_DEP_1)
	v_perm_b32 v7, v8, v7, 0x7060302
	v_perm_b32 v6, v6, v5, 0x7060302
	;; [unrolled: 1-line block ×4, first 2 shown]
	v_lshl_or_b32 v9, v83, 4, v90
	s_barrier
	buffer_gl0_inv
	v_cmp_eq_u32_e32 vcc_lo, 1, v87
	ds_store_b128 v9, v[4:7]
	s_waitcnt lgkmcnt(0)
	s_barrier
	buffer_gl0_inv
	ds_load_b128 v[1:4], v90
	ds_load_b128 v[5:8], v90 offset:16
	v_cmp_eq_u32_e64 s5, 2, v87
	v_cmp_eq_u32_e64 s4, 1, v88
	;; [unrolled: 1-line block ×5, first 2 shown]
	s_waitcnt lgkmcnt(1)
	v_lshrrev_b32_e32 v10, 16, v1
	s_waitcnt lgkmcnt(0)
	v_lshrrev_b32_e32 v14, 16, v5
	v_lshrrev_b32_e32 v15, 16, v6
	;; [unrolled: 1-line block ×4, first 2 shown]
	v_cndmask_b32_e64 v20, v1, v10, s4
	v_cndmask_b32_e32 v19, v5, v14, vcc_lo
	v_cndmask_b32_e64 v21, v5, v14, s4
	v_lshrrev_b32_e32 v16, 16, v7
	v_cmp_eq_u32_e64 s4, 1, v86
	v_lshrrev_b32_e32 v13, 16, v4
	v_cndmask_b32_e64 v19, v19, v6, s5
	v_lshrrev_b32_e32 v17, 16, v8
	s_delay_alu instid0(VALU_DEP_4) | instskip(SKIP_1) | instid1(VALU_DEP_4)
	v_cndmask_b32_e64 v22, v1, v10, s4
	v_cndmask_b32_e64 v23, v5, v14, s4
	;; [unrolled: 1-line block ×3, first 2 shown]
	v_cndmask_b32_e32 v18, v1, v10, vcc_lo
	v_cmp_eq_u32_e32 vcc_lo, 2, v88
	v_cmp_eq_u32_e64 s4, 2, v89
	v_cndmask_b32_e64 v22, v22, v2, s8
	v_cndmask_b32_e32 v20, v20, v2, vcc_lo
	v_cndmask_b32_e32 v21, v21, v6, vcc_lo
	v_cmp_eq_u32_e32 vcc_lo, 4, v87
	v_cndmask_b32_e32 v19, v19, v7, vcc_lo
	v_cndmask_b32_e64 v18, v18, v2, s5
	v_cmp_eq_u32_e64 s5, 3, v88
	s_delay_alu instid0(VALU_DEP_2) | instskip(NEXT) | instid1(VALU_DEP_2)
	v_cndmask_b32_e64 v18, v18, v11, s6
	v_cndmask_b32_e64 v21, v21, v15, s5
	v_cmp_eq_u32_e64 s6, 5, v87
	s_delay_alu instid0(VALU_DEP_3) | instskip(SKIP_1) | instid1(VALU_DEP_3)
	v_cndmask_b32_e32 v18, v18, v3, vcc_lo
	v_cmp_eq_u32_e32 vcc_lo, 4, v88
	v_cndmask_b32_e64 v19, v19, v16, s6
	s_delay_alu instid0(VALU_DEP_3) | instskip(SKIP_4) | instid1(VALU_DEP_3)
	v_cndmask_b32_e64 v18, v18, v12, s6
	v_cndmask_b32_e32 v21, v21, v7, vcc_lo
	v_cndmask_b32_e64 v20, v20, v11, s5
	v_cmp_eq_u32_e64 s5, 5, v88
	v_cmp_eq_u32_e64 s6, 6, v87
	v_cndmask_b32_e32 v20, v20, v3, vcc_lo
	s_delay_alu instid0(VALU_DEP_3) | instskip(SKIP_1) | instid1(VALU_DEP_4)
	v_cndmask_b32_e64 v21, v21, v16, s5
	v_cmp_eq_u32_e32 vcc_lo, 6, v88
	v_cndmask_b32_e64 v18, v18, v4, s6
	v_cndmask_b32_e64 v19, v19, v8, s6
	;; [unrolled: 1-line block ×3, first 2 shown]
	v_cmp_eq_u32_e64 s5, 1, v89
	v_cmp_eq_u32_e64 s6, 7, v87
	s_delay_alu instid0(VALU_DEP_3) | instskip(NEXT) | instid1(VALU_DEP_3)
	v_cndmask_b32_e32 v20, v20, v4, vcc_lo
	v_cndmask_b32_e64 v1, v1, v10, s5
	v_cndmask_b32_e64 v5, v5, v14, s5
	v_cmp_eq_u32_e64 s5, 3, v86
	v_cndmask_b32_e64 v14, v23, v6, s8
	v_cmp_eq_u32_e64 s8, 3, v89
	v_cndmask_b32_e64 v1, v1, v2, s4
	v_cndmask_b32_e64 v2, v5, v6, s4
	;; [unrolled: 1-line block ×3, first 2 shown]
	v_cmp_eq_u32_e64 s4, 4, v86
	v_cndmask_b32_e64 v6, v14, v15, s5
	v_cndmask_b32_e64 v1, v1, v11, s8
	v_cmp_eq_u32_e64 s5, 4, v89
	v_cndmask_b32_e64 v2, v2, v15, s8
	v_cndmask_b32_e64 v5, v10, v3, s4
	;; [unrolled: 3-line block ×3, first 2 shown]
	v_cndmask_b32_e64 v2, v2, v7, s5
	v_cmp_eq_u32_e64 s4, 5, v89
	v_cndmask_b32_e64 v5, v5, v12, s8
	v_cmp_eq_u32_e64 s5, 6, v86
	;; [unrolled: 2-line block ×3, first 2 shown]
	v_cndmask_b32_e64 v1, v1, v12, s4
	v_cndmask_b32_e64 v2, v2, v16, s4
	;; [unrolled: 1-line block ×4, first 2 shown]
	v_cmp_eq_u32_e64 s4, 7, v89
	v_cndmask_b32_e64 v1, v1, v4, s8
	v_cndmask_b32_e64 v2, v2, v8, s8
	v_cmp_eq_u32_e64 s5, 7, v86
	v_cndmask_b32_e32 v4, v21, v8, vcc_lo
	v_cndmask_b32_e64 v18, v18, v13, s6
	v_cndmask_b32_e64 v20, v20, v13, s7
	;; [unrolled: 1-line block ×8, first 2 shown]
	v_cmp_gt_u32_e32 vcc_lo, 32, v0
	v_perm_b32 v4, v2, v1, 0x5040100
	v_perm_b32 v3, v3, v5, 0x5040100
	;; [unrolled: 1-line block ×4, first 2 shown]
	s_and_b32 s2, vcc_lo, s2
	ds_store_b128 v9, v[1:4]
	s_waitcnt lgkmcnt(0)
	s_barrier
	buffer_gl0_inv
	s_and_saveexec_b32 s4, s2
	s_cbranch_execz .LBB536_2
; %bb.113:
	s_load_b64 s[4:5], s[0:1], 0x68
	v_lshlrev_b32_e32 v0, 10, v0
	v_lshlrev_b32_e32 v2, 4, v84
	v_add_nc_u32_e32 v1, s31, v83
	s_lshl_b32 s0, s36, 6
	s_delay_alu instid0(SALU_CYCLE_1) | instskip(NEXT) | instid1(VALU_DEP_2)
	s_mul_i32 s1, s0, s34
	v_and_or_b32 v0, 0x3800, v0, v2
	s_mul_i32 s6, s1, s9
	v_mul_lo_u32 v1, v1, s0
	s_ashr_i32 s7, s6, 31
	s_delay_alu instid0(VALU_DEP_2) | instskip(SKIP_1) | instid1(VALU_DEP_2)
	v_lshl_or_b32 v3, v83, 6, v0
	s_lshl_b64 s[6:7], s[6:7], 1
	v_ashrrev_i32_e32 v2, 31, v1
	ds_load_b128 v[3:6], v3
	s_waitcnt lgkmcnt(0)
	s_add_u32 s1, s4, s6
	s_addc_u32 s2, s5, s7
	s_lshl_b32 s4, s14, 6
	v_lshlrev_b64 v[7:8], 1, v[1:2]
	s_ashr_i32 s5, s4, 31
	s_delay_alu instid0(SALU_CYCLE_1) | instskip(NEXT) | instid1(SALU_CYCLE_1)
	s_lshl_b64 s[4:5], s[4:5], 1
	s_add_u32 s1, s1, s4
	s_addc_u32 s2, s2, s5
	v_add_co_u32 v1, vcc_lo, s1, v81
	v_add_co_ci_u32_e32 v2, vcc_lo, s2, v82, vcc_lo
	s_delay_alu instid0(VALU_DEP_2) | instskip(NEXT) | instid1(VALU_DEP_2)
	v_add_co_u32 v7, vcc_lo, v1, v7
	v_add_co_ci_u32_e32 v8, vcc_lo, v2, v8, vcc_lo
	global_store_b128 v[7:8], v[3:6], off
	s_and_b32 exec_lo, exec_lo, s3
	s_cbranch_execz .LBB536_2
; %bb.114:
	ds_load_b128 v[3:6], v0 offset:128
	s_add_i32 s1, s31, 2
	s_delay_alu instid0(SALU_CYCLE_1) | instskip(NEXT) | instid1(SALU_CYCLE_1)
	s_mul_i32 s0, s1, s0
	s_ashr_i32 s1, s0, 31
	s_delay_alu instid0(SALU_CYCLE_1) | instskip(NEXT) | instid1(SALU_CYCLE_1)
	s_lshl_b64 s[0:1], s[0:1], 1
	v_add_co_u32 v0, vcc_lo, v1, s0
	v_add_co_ci_u32_e32 v1, vcc_lo, s1, v2, vcc_lo
	s_waitcnt lgkmcnt(0)
	global_store_b128 v[0:1], v[3:6], off
	s_nop 0
	s_sendmsg sendmsg(MSG_DEALLOC_VGPRS)
	s_endpgm
	.section	.rodata,"a",@progbits
	.p2align	6, 0x0
	.amdhsa_kernel _Z39paged_attention_ll4mi_QKV_mfma16_kernelI14__hip_bfloat16S0_LN4vllm18Fp8KVCacheDataTypeE0EhLi32ELi64ELi256ELb0ELi3EL8MFMAType0EEvPKT_PKT0_S9_ifPKiSB_SB_iPKfiiiPfSE_PS4_PT2_iSD_SD_
		.amdhsa_group_segment_fixed_size 17472
		.amdhsa_private_segment_fixed_size 0
		.amdhsa_kernarg_size 400
		.amdhsa_user_sgpr_count 13
		.amdhsa_user_sgpr_dispatch_ptr 0
		.amdhsa_user_sgpr_queue_ptr 0
		.amdhsa_user_sgpr_kernarg_segment_ptr 1
		.amdhsa_user_sgpr_dispatch_id 0
		.amdhsa_user_sgpr_private_segment_size 0
		.amdhsa_wavefront_size32 1
		.amdhsa_uses_dynamic_stack 0
		.amdhsa_enable_private_segment 0
		.amdhsa_system_sgpr_workgroup_id_x 1
		.amdhsa_system_sgpr_workgroup_id_y 1
		.amdhsa_system_sgpr_workgroup_id_z 1
		.amdhsa_system_sgpr_workgroup_info 0
		.amdhsa_system_vgpr_workitem_id 0
		.amdhsa_next_free_vgpr 142
		.amdhsa_next_free_sgpr 39
		.amdhsa_reserve_vcc 1
		.amdhsa_float_round_mode_32 0
		.amdhsa_float_round_mode_16_64 0
		.amdhsa_float_denorm_mode_32 3
		.amdhsa_float_denorm_mode_16_64 3
		.amdhsa_dx10_clamp 1
		.amdhsa_ieee_mode 1
		.amdhsa_fp16_overflow 0
		.amdhsa_workgroup_processor_mode 1
		.amdhsa_memory_ordered 1
		.amdhsa_forward_progress 0
		.amdhsa_shared_vgpr_count 0
		.amdhsa_exception_fp_ieee_invalid_op 0
		.amdhsa_exception_fp_denorm_src 0
		.amdhsa_exception_fp_ieee_div_zero 0
		.amdhsa_exception_fp_ieee_overflow 0
		.amdhsa_exception_fp_ieee_underflow 0
		.amdhsa_exception_fp_ieee_inexact 0
		.amdhsa_exception_int_div_zero 0
	.end_amdhsa_kernel
	.section	.text._Z39paged_attention_ll4mi_QKV_mfma16_kernelI14__hip_bfloat16S0_LN4vllm18Fp8KVCacheDataTypeE0EhLi32ELi64ELi256ELb0ELi3EL8MFMAType0EEvPKT_PKT0_S9_ifPKiSB_SB_iPKfiiiPfSE_PS4_PT2_iSD_SD_,"axG",@progbits,_Z39paged_attention_ll4mi_QKV_mfma16_kernelI14__hip_bfloat16S0_LN4vllm18Fp8KVCacheDataTypeE0EhLi32ELi64ELi256ELb0ELi3EL8MFMAType0EEvPKT_PKT0_S9_ifPKiSB_SB_iPKfiiiPfSE_PS4_PT2_iSD_SD_,comdat
.Lfunc_end536:
	.size	_Z39paged_attention_ll4mi_QKV_mfma16_kernelI14__hip_bfloat16S0_LN4vllm18Fp8KVCacheDataTypeE0EhLi32ELi64ELi256ELb0ELi3EL8MFMAType0EEvPKT_PKT0_S9_ifPKiSB_SB_iPKfiiiPfSE_PS4_PT2_iSD_SD_, .Lfunc_end536-_Z39paged_attention_ll4mi_QKV_mfma16_kernelI14__hip_bfloat16S0_LN4vllm18Fp8KVCacheDataTypeE0EhLi32ELi64ELi256ELb0ELi3EL8MFMAType0EEvPKT_PKT0_S9_ifPKiSB_SB_iPKfiiiPfSE_PS4_PT2_iSD_SD_
                                        ; -- End function
	.section	.AMDGPU.csdata,"",@progbits
; Kernel info:
; codeLenInByte = 9348
; NumSgprs: 41
; NumVgprs: 142
; ScratchSize: 0
; MemoryBound: 0
; FloatMode: 240
; IeeeMode: 1
; LDSByteSize: 17472 bytes/workgroup (compile time only)
; SGPRBlocks: 5
; VGPRBlocks: 17
; NumSGPRsForWavesPerEU: 41
; NumVGPRsForWavesPerEU: 142
; Occupancy: 10
; WaveLimiterHint : 1
; COMPUTE_PGM_RSRC2:SCRATCH_EN: 0
; COMPUTE_PGM_RSRC2:USER_SGPR: 13
; COMPUTE_PGM_RSRC2:TRAP_HANDLER: 0
; COMPUTE_PGM_RSRC2:TGID_X_EN: 1
; COMPUTE_PGM_RSRC2:TGID_Y_EN: 1
; COMPUTE_PGM_RSRC2:TGID_Z_EN: 1
; COMPUTE_PGM_RSRC2:TIDIG_COMP_CNT: 0
	.section	.text._Z39paged_attention_ll4mi_QKV_mfma16_kernelI14__hip_bfloat16S0_LN4vllm18Fp8KVCacheDataTypeE0EhLi32ELi64ELi256ELb0ELi4EL8MFMAType0EEvPKT_PKT0_S9_ifPKiSB_SB_iPKfiiiPfSE_PS4_PT2_iSD_SD_,"axG",@progbits,_Z39paged_attention_ll4mi_QKV_mfma16_kernelI14__hip_bfloat16S0_LN4vllm18Fp8KVCacheDataTypeE0EhLi32ELi64ELi256ELb0ELi4EL8MFMAType0EEvPKT_PKT0_S9_ifPKiSB_SB_iPKfiiiPfSE_PS4_PT2_iSD_SD_,comdat
	.protected	_Z39paged_attention_ll4mi_QKV_mfma16_kernelI14__hip_bfloat16S0_LN4vllm18Fp8KVCacheDataTypeE0EhLi32ELi64ELi256ELb0ELi4EL8MFMAType0EEvPKT_PKT0_S9_ifPKiSB_SB_iPKfiiiPfSE_PS4_PT2_iSD_SD_ ; -- Begin function _Z39paged_attention_ll4mi_QKV_mfma16_kernelI14__hip_bfloat16S0_LN4vllm18Fp8KVCacheDataTypeE0EhLi32ELi64ELi256ELb0ELi4EL8MFMAType0EEvPKT_PKT0_S9_ifPKiSB_SB_iPKfiiiPfSE_PS4_PT2_iSD_SD_
	.globl	_Z39paged_attention_ll4mi_QKV_mfma16_kernelI14__hip_bfloat16S0_LN4vllm18Fp8KVCacheDataTypeE0EhLi32ELi64ELi256ELb0ELi4EL8MFMAType0EEvPKT_PKT0_S9_ifPKiSB_SB_iPKfiiiPfSE_PS4_PT2_iSD_SD_
	.p2align	8
	.type	_Z39paged_attention_ll4mi_QKV_mfma16_kernelI14__hip_bfloat16S0_LN4vllm18Fp8KVCacheDataTypeE0EhLi32ELi64ELi256ELb0ELi4EL8MFMAType0EEvPKT_PKT0_S9_ifPKiSB_SB_iPKfiiiPfSE_PS4_PT2_iSD_SD_,@function
_Z39paged_attention_ll4mi_QKV_mfma16_kernelI14__hip_bfloat16S0_LN4vllm18Fp8KVCacheDataTypeE0EhLi32ELi64ELi256ELb0ELi4EL8MFMAType0EEvPKT_PKT0_S9_ifPKiSB_SB_iPKfiiiPfSE_PS4_PT2_iSD_SD_: ; @_Z39paged_attention_ll4mi_QKV_mfma16_kernelI14__hip_bfloat16S0_LN4vllm18Fp8KVCacheDataTypeE0EhLi32ELi64ELi256ELb0ELi4EL8MFMAType0EEvPKT_PKT0_S9_ifPKiSB_SB_iPKfiiiPfSE_PS4_PT2_iSD_SD_
; %bb.0:
	s_load_b64 s[2:3], s[0:1], 0x30
	s_mov_b32 s30, s13
	s_waitcnt lgkmcnt(0)
	s_cmp_lg_u64 s[2:3], 0
	s_cselect_b32 s6, -1, 0
	s_ashr_i32 s31, s13, 31
	s_cmp_eq_u64 s[2:3], 0
	s_cbranch_scc1 .LBB537_3
; %bb.1:
	s_lshl_b64 s[4:5], s[30:31], 2
	s_delay_alu instid0(SALU_CYCLE_1) | instskip(SKIP_4) | instid1(SALU_CYCLE_1)
	s_add_u32 s4, s2, s4
	s_addc_u32 s5, s3, s5
	s_load_b64 s[4:5], s[4:5], 0x0
	s_waitcnt lgkmcnt(0)
	s_sub_i32 s4, s5, s4
	s_cmp_eq_u32 s4, 1
	s_cselect_b32 s4, -1, 0
	s_delay_alu instid0(SALU_CYCLE_1)
	s_and_not1_b32 vcc_lo, exec_lo, s4
	s_cbranch_vccz .LBB537_4
.LBB537_2:
	s_endpgm
.LBB537_3:
.LBB537_4:
	s_load_b64 s[8:9], s[0:1], 0x28
	s_lshl_b64 s[4:5], s[30:31], 2
	s_waitcnt lgkmcnt(0)
	s_add_u32 s8, s8, s4
	s_addc_u32 s9, s9, s5
	s_lshl_b32 s16, s14, 8
	s_load_b32 s18, s[8:9], 0x0
	s_waitcnt lgkmcnt(0)
	s_cmp_ge_i32 s16, s18
	s_cbranch_scc1 .LBB537_2
; %bb.5:
	s_and_not1_b32 vcc_lo, exec_lo, s6
	s_cbranch_vccnz .LBB537_7
; %bb.6:
	s_add_u32 s2, s2, s4
	s_addc_u32 s3, s3, s5
	s_load_b32 s17, s[2:3], 0x0
	s_branch .LBB537_8
.LBB537_7:
	s_mov_b32 s17, s30
.LBB537_8:
	s_clause 0x2
	s_load_b128 s[8:11], s[0:1], 0x8
	s_load_b64 s[12:13], s[0:1], 0x20
	s_load_b128 s[4:7], s[0:1], 0x48
	v_and_b32_e32 v74, 15, v0
	v_cmp_lt_u32_e32 vcc_lo, 63, v0
	s_delay_alu instid0(VALU_DEP_2) | instskip(SKIP_2) | instid1(VALU_DEP_3)
	v_cmp_lt_u32_e64 s3, 7, v74
	v_lshlrev_b32_e32 v1, 3, v74
	v_cmp_gt_u32_e64 s2, 8, v74
	s_or_b32 s3, vcc_lo, s3
	s_waitcnt lgkmcnt(0)
	s_and_saveexec_b32 s7, s3
	s_delay_alu instid0(SALU_CYCLE_1)
	s_xor_b32 s3, exec_lo, s7
; %bb.9:
	v_mov_b32_e32 v2, 0
; %bb.10:
	s_or_saveexec_b32 s3, s3
	v_lshrrev_b32_e32 v73, 5, v0
	v_and_b32_e32 v75, 31, v0
	v_and_b32_e32 v84, 1, v0
	v_bfe_u32 v83, v0, 4, 1
	s_lshl_b32 s31, s15, 2
	s_xor_b32 exec_lo, exec_lo, s3
	s_cbranch_execz .LBB537_12
; %bb.11:
	s_delay_alu instid0(VALU_DEP_1)
	v_lshl_or_b32 v7, v73, 1, v83
	s_load_b64 s[20:21], s[0:1], 0x0
	s_mul_hi_i32 s23, s17, s4
	s_mul_i32 s22, s17, s4
	v_lshlrev_b32_e32 v4, 1, v1
	v_or_b32_e32 v2, s31, v7
	s_lshl_b64 s[22:23], s[22:23], 1
	v_lshlrev_b32_e32 v7, 6, v7
	v_lshlrev_b32_e32 v8, 10, v84
	s_delay_alu instid0(VALU_DEP_3) | instskip(NEXT) | instid1(VALU_DEP_1)
	v_lshlrev_b32_e32 v2, 6, v2
	v_ashrrev_i32_e32 v3, 31, v2
	s_delay_alu instid0(VALU_DEP_1) | instskip(SKIP_3) | instid1(VALU_DEP_1)
	v_lshlrev_b64 v[2:3], 1, v[2:3]
	s_waitcnt lgkmcnt(0)
	s_add_u32 s4, s20, s22
	s_addc_u32 s7, s21, s23
	v_add_co_u32 v2, vcc_lo, s4, v2
	s_delay_alu instid0(VALU_DEP_2) | instskip(NEXT) | instid1(VALU_DEP_2)
	v_add_co_ci_u32_e32 v3, vcc_lo, s7, v3, vcc_lo
	v_add_co_u32 v2, vcc_lo, v2, v4
	s_delay_alu instid0(VALU_DEP_2) | instskip(SKIP_2) | instid1(VALU_DEP_1)
	v_add_co_ci_u32_e32 v3, vcc_lo, 0, v3, vcc_lo
	global_load_b128 v[3:6], v[2:3], off
	v_lshlrev_b32_e32 v2, 10, v74
	v_and_b32_e32 v2, 0x3800, v2
	s_delay_alu instid0(VALU_DEP_1)
	v_or3_b32 v7, v2, v8, v7
	v_mov_b32_e32 v2, 0
	s_waitcnt vmcnt(0)
	ds_store_b128 v7, v[3:6]
.LBB537_12:
	s_or_b32 exec_lo, exec_lo, s3
	v_and_b32_e32 v3, 0xef, v0
	s_add_i32 s3, s18, 31
	s_clause 0x1
	s_load_b32 s4, s[0:1], 0x38
	s_load_b32 s19, s[0:1], 0x1c
	s_ashr_i32 s7, s3, 31
	v_add_nc_u32_e32 v3, s16, v3
	s_lshr_b32 s7, s7, 27
	s_waitcnt lgkmcnt(0)
	s_add_i32 s3, s3, s7
	s_barrier
	v_ashrrev_i32_e32 v4, 31, v3
	v_cmp_gt_i32_e32 vcc_lo, s18, v3
	s_ashr_i32 s3, s3, 5
	buffer_gl0_inv
	s_add_i32 s3, s3, -1
	v_lshrrev_b32_e32 v5, 27, v4
	v_or_b32_e32 v4, 16, v3
	s_mul_i32 s6, s15, s6
	v_lshlrev_b64 v[81:82], 1, v[1:2]
	s_delay_alu instid0(VALU_DEP_3) | instskip(NEXT) | instid1(VALU_DEP_3)
	v_add_nc_u32_e32 v6, v3, v5
	v_add_nc_u32_e32 v5, v4, v5
	s_mul_i32 s20, s30, s4
	s_delay_alu instid0(SALU_CYCLE_1) | instskip(NEXT) | instid1(VALU_DEP_2)
	s_ashr_i32 s21, s20, 31
	v_ashrrev_i32_e32 v6, 5, v6
	s_delay_alu instid0(VALU_DEP_2) | instskip(SKIP_1) | instid1(SALU_CYCLE_1)
	v_ashrrev_i32_e32 v5, 5, v5
	s_lshl_b64 s[20:21], s[20:21], 2
	s_add_u32 s4, s12, s20
	s_delay_alu instid0(VALU_DEP_2) | instskip(SKIP_3) | instid1(SALU_CYCLE_1)
	v_cndmask_b32_e32 v3, s3, v6, vcc_lo
	v_cmp_gt_i32_e32 vcc_lo, s18, v4
	s_addc_u32 s17, s13, s21
	s_ashr_i32 s7, s6, 31
	s_lshl_b64 s[6:7], s[6:7], 1
	v_cndmask_b32_e32 v5, s3, v5, vcc_lo
	v_ashrrev_i32_e32 v4, 31, v3
	s_add_u32 s15, s8, s6
	s_addc_u32 s28, s9, s7
	s_lshl_b32 s8, s14, 3
	v_ashrrev_i32_e32 v6, 31, v5
	v_lshlrev_b64 v[3:4], 2, v[3:4]
	s_ashr_i32 s9, s8, 31
	s_delay_alu instid0(SALU_CYCLE_1) | instskip(NEXT) | instid1(VALU_DEP_2)
	s_lshl_b64 s[8:9], s[8:9], 2
	v_lshlrev_b64 v[5:6], 2, v[5:6]
	s_add_u32 s8, s4, s8
	s_delay_alu instid0(VALU_DEP_2) | instskip(SKIP_1) | instid1(VALU_DEP_3)
	v_add_co_u32 v3, vcc_lo, s4, v3
	v_add_co_ci_u32_e32 v4, vcc_lo, s17, v4, vcc_lo
	v_add_co_u32 v5, vcc_lo, s4, v5
	s_delay_alu instid0(VALU_DEP_4)
	v_add_co_ci_u32_e32 v6, vcc_lo, s17, v6, vcc_lo
	s_addc_u32 s9, s17, s9
	s_clause 0x1
	global_load_b32 v7, v[3:4], off
	global_load_b32 v8, v[5:6], off
	s_or_b32 s12, s16, 32
	s_delay_alu instid0(SALU_CYCLE_1) | instskip(SKIP_2) | instid1(SALU_CYCLE_1)
	s_ashr_i32 s13, s12, 5
	s_cmp_lt_i32 s12, s18
	s_cselect_b32 s12, s13, s3
	s_ashr_i32 s13, s12, 31
	s_delay_alu instid0(SALU_CYCLE_1) | instskip(NEXT) | instid1(SALU_CYCLE_1)
	s_lshl_b64 s[12:13], s[12:13], 2
	s_add_u32 s12, s4, s12
	s_addc_u32 s13, s17, s13
	s_or_b32 s20, s16, 64
	s_delay_alu instid0(SALU_CYCLE_1) | instskip(SKIP_2) | instid1(SALU_CYCLE_1)
	s_ashr_i32 s21, s20, 5
	s_cmp_lt_i32 s20, s18
	s_cselect_b32 s20, s21, s3
	s_ashr_i32 s21, s20, 31
	s_delay_alu instid0(SALU_CYCLE_1) | instskip(NEXT) | instid1(SALU_CYCLE_1)
	s_lshl_b64 s[20:21], s[20:21], 2
	s_add_u32 s20, s4, s20
	s_addc_u32 s21, s17, s21
	;; [unrolled: 10-line block ×5, first 2 shown]
	s_clause 0x5
	s_load_b32 s29, s[8:9], 0x0
	s_load_b32 s33, s[12:13], 0x0
	;; [unrolled: 1-line block ×6, first 2 shown]
	s_mov_b32 s20, 0
	s_or_b32 s8, s16, 0xc0
	s_mov_b32 s21, s20
	s_mov_b32 s22, s20
	;; [unrolled: 1-line block ×7, first 2 shown]
	s_ashr_i32 s9, s8, 5
	v_mov_b32_e32 v117, s27
	s_cmp_lt_i32 s8, s18
	v_mov_b32_e32 v116, s26
	s_cselect_b32 s8, s9, s3
	v_mov_b32_e32 v115, s25
	s_ashr_i32 s9, s8, 31
	v_dual_mov_b32 v114, s24 :: v_dual_mov_b32 v113, s23
	v_dual_mov_b32 v112, s22 :: v_dual_mov_b32 v111, s21
	s_lshl_b64 s[8:9], s[8:9], 2
	s_waitcnt lgkmcnt(0)
	s_mul_hi_i32 s13, s29, s5
	s_add_u32 s8, s4, s8
	s_addc_u32 s9, s17, s9
	s_mul_i32 s12, s29, s5
	v_mov_b32_e32 v110, s20
	s_mul_hi_i32 s21, s33, s5
	s_mul_i32 s20, s33, s5
	s_mul_hi_i32 s25, s34, s5
	s_mul_i32 s24, s34, s5
	;; [unrolled: 2-line block ×4, first 2 shown]
	s_waitcnt vmcnt(1)
	v_mad_i64_i32 v[3:4], null, v7, s5, 0
	s_waitcnt vmcnt(0)
	v_mad_i64_i32 v[5:6], null, v8, s5, 0
	s_delay_alu instid0(VALU_DEP_2) | instskip(NEXT) | instid1(VALU_DEP_2)
	v_lshlrev_b64 v[3:4], 1, v[3:4]
	v_lshlrev_b64 v[1:2], 1, v[5:6]
	s_delay_alu instid0(VALU_DEP_2) | instskip(NEXT) | instid1(VALU_DEP_3)
	v_add_co_u32 v3, vcc_lo, s15, v3
	v_add_co_ci_u32_e32 v4, vcc_lo, s28, v4, vcc_lo
	s_delay_alu instid0(VALU_DEP_3) | instskip(NEXT) | instid1(VALU_DEP_4)
	v_add_co_u32 v1, vcc_lo, s15, v1
	v_add_co_ci_u32_e32 v2, vcc_lo, s28, v2, vcc_lo
	s_delay_alu instid0(VALU_DEP_4) | instskip(NEXT) | instid1(VALU_DEP_4)
	v_add_co_u32 v41, vcc_lo, v3, v81
	v_add_co_ci_u32_e32 v42, vcc_lo, v4, v82, vcc_lo
	s_delay_alu instid0(VALU_DEP_4) | instskip(NEXT) | instid1(VALU_DEP_4)
	v_add_co_u32 v43, vcc_lo, v1, v81
	v_add_co_ci_u32_e32 v44, vcc_lo, v2, v82, vcc_lo
	s_clause 0xf
	global_load_b128 v[1:4], v[41:42], off
	global_load_b128 v[5:8], v[41:42], off offset:512
	global_load_b128 v[9:12], v[43:44], off offset:256
	;; [unrolled: 1-line block ×15, first 2 shown]
	v_and_b32_e32 v41, 3, v0
	s_or_b32 s15, s16, 0xe0
	s_delay_alu instid0(SALU_CYCLE_1) | instskip(SKIP_1) | instid1(VALU_DEP_1)
	s_ashr_i32 s22, s15, 5
	s_cmp_lt_i32 s15, s18
	v_lshlrev_b32_e32 v57, 6, v41
	ds_load_b128 v[41:44], v57
	ds_load_b128 v[45:48], v57 offset:1024
	ds_load_b128 v[49:52], v57 offset:2048
	;; [unrolled: 1-line block ×7, first 2 shown]
	s_cselect_b32 s22, s22, s3
	s_delay_alu instid0(SALU_CYCLE_1) | instskip(NEXT) | instid1(SALU_CYCLE_1)
	s_ashr_i32 s23, s22, 31
	s_lshl_b64 s[22:23], s[22:23], 2
	s_delay_alu instid0(SALU_CYCLE_1) | instskip(SKIP_2) | instid1(SALU_CYCLE_1)
	s_add_u32 s22, s4, s22
	s_addc_u32 s23, s17, s23
	s_add_i32 s15, s16, 0x100
	s_ashr_i32 s28, s15, 5
	s_cmp_lt_i32 s15, s18
	s_load_b32 s15, s[8:9], 0x0
	s_cselect_b32 s28, s28, s3
	s_mul_hi_i32 s9, s36, s5
	s_ashr_i32 s29, s28, 31
	s_mul_i32 s8, s36, s5
	s_lshl_b64 s[28:29], s[28:29], 2
	s_delay_alu instid0(SALU_CYCLE_1)
	s_add_u32 s28, s4, s28
	s_addc_u32 s29, s17, s29
	s_add_u32 s3, s10, s6
	s_clause 0x1
	s_load_b32 s4, s[22:23], 0x0
	s_load_b32 s17, s[28:29], 0x0
	s_addc_u32 s28, s11, s7
	s_lshl_b64 s[6:7], s[12:13], 1
	s_lshl_b64 s[10:11], s[20:21], 1
	;; [unrolled: 1-line block ×6, first 2 shown]
	s_waitcnt lgkmcnt(0)
	s_mul_hi_i32 s25, s15, s5
	s_mul_i32 s24, s15, s5
	s_waitcnt vmcnt(14)
	v_wmma_f32_16x16x16_bf16 v[134:141], v[1:8], v[41:48], v[110:117]
	s_waitcnt vmcnt(12)
	v_wmma_f32_16x16x16_bf16 v[110:117], v[9:16], v[41:48], v[110:117]
	s_waitcnt vmcnt(10)
	s_delay_alu instid0(VALU_DEP_2) | instskip(SKIP_1) | instid1(VALU_DEP_2)
	v_wmma_f32_16x16x16_bf16 v[134:141], v[17:24], v[49:56], v[134:141]
	s_waitcnt vmcnt(8)
	v_wmma_f32_16x16x16_bf16 v[110:117], v[25:32], v[49:56], v[110:117]
	s_waitcnt vmcnt(6)
	s_delay_alu instid0(VALU_DEP_2) | instskip(SKIP_1) | instid1(VALU_DEP_2)
	v_wmma_f32_16x16x16_bf16 v[134:141], v[33:40], v[118:125], v[134:141]
	s_waitcnt vmcnt(4)
	v_wmma_f32_16x16x16_bf16 v[110:117], v[86:93], v[118:125], v[110:117]
	s_waitcnt vmcnt(2)
	s_delay_alu instid0(VALU_DEP_2) | instskip(SKIP_3) | instid1(VALU_DEP_3)
	v_wmma_f32_16x16x16_bf16 v[134:141], v[94:101], v[126:133], v[134:141]
	v_lshlrev_b32_e32 v85, 6, v74
	s_waitcnt vmcnt(0)
	v_wmma_f32_16x16x16_bf16 v[110:117], v[102:109], v[126:133], v[110:117]
	v_mul_f32_e32 v100, s19, v141
	s_delay_alu instid0(VALU_DEP_3) | instskip(SKIP_2) | instid1(VALU_DEP_3)
	v_lshl_or_b32 v58, v73, 10, v85
	v_mul_f32_e32 v97, s19, v134
	v_mul_f32_e32 v99, s19, v135
	v_add_co_u32 v76, s3, s3, v58
	s_delay_alu instid0(VALU_DEP_1) | instskip(NEXT) | instid1(VALU_DEP_2)
	v_add_co_ci_u32_e64 v77, null, s28, 0, s3
	v_add_co_u32 v57, vcc_lo, v76, s6
	s_delay_alu instid0(VALU_DEP_2)
	v_add_co_ci_u32_e32 v58, vcc_lo, s7, v77, vcc_lo
	v_add_co_u32 v1, vcc_lo, v76, s10
	v_add_co_ci_u32_e32 v2, vcc_lo, s11, v77, vcc_lo
	v_add_co_u32 v3, vcc_lo, v76, s12
	;; [unrolled: 2-line block ×4, first 2 shown]
	v_add_co_ci_u32_e32 v8, vcc_lo, s9, v77, vcc_lo
	s_clause 0x9
	global_load_b128 v[65:68], v[57:58], off
	global_load_b128 v[69:72], v[57:58], off offset:16
	global_load_b128 v[57:60], v[1:2], off
	global_load_b128 v[61:64], v[1:2], off offset:16
	;; [unrolled: 2-line block ×5, first 2 shown]
	v_add_co_u32 v5, vcc_lo, v76, s22
	s_lshl_b64 s[6:7], s[24:25], 1
	v_add_co_ci_u32_e32 v6, vcc_lo, s23, v77, vcc_lo
	s_mul_hi_i32 s9, s4, s5
	s_mul_i32 s8, s4, s5
	v_add_co_u32 v17, vcc_lo, v76, s6
	v_add_co_ci_u32_e32 v18, vcc_lo, s7, v77, vcc_lo
	s_lshl_b64 s[6:7], s[8:9], 1
	s_mul_hi_i32 s9, s17, s5
	s_mul_i32 s8, s17, s5
	v_add_co_u32 v19, vcc_lo, v76, s6
	s_lshl_b64 s[4:5], s[8:9], 1
	v_add_co_ci_u32_e32 v20, vcc_lo, s7, v77, vcc_lo
	v_add_co_u32 v21, vcc_lo, v76, s4
	v_add_co_ci_u32_e32 v22, vcc_lo, s5, v77, vcc_lo
	s_clause 0x7
	global_load_b128 v[1:4], v[5:6], off
	global_load_b128 v[5:8], v[5:6], off offset:16
	global_load_b128 v[33:36], v[17:18], off
	global_load_b128 v[37:40], v[17:18], off offset:16
	;; [unrolled: 2-line block ×4, first 2 shown]
	v_and_b32_e32 v76, 0xe0, v0
	v_mbcnt_lo_u32_b32 v77, -1, 0
	s_waitcnt vmcnt(0)
	s_barrier
	buffer_gl0_inv
	v_add_nc_u32_e32 v76, s16, v76
	v_xor_b32_e32 v78, 16, v77
	s_delay_alu instid0(VALU_DEP_2) | instskip(NEXT) | instid1(VALU_DEP_2)
	v_or_b32_e32 v76, v76, v83
	v_cmp_gt_i32_e32 vcc_lo, 32, v78
	s_delay_alu instid0(VALU_DEP_2)
	v_or_b32_e32 v79, 4, v76
	v_cndmask_b32_e32 v77, v77, v78, vcc_lo
	v_or_b32_e32 v78, 2, v76
	v_or_b32_e32 v80, 6, v76
	;; [unrolled: 1-line block ×3, first 2 shown]
	v_cmp_gt_i32_e32 vcc_lo, s18, v76
	v_or_b32_e32 v87, 10, v76
	v_cmp_gt_i32_e64 s3, s18, v78
	v_or_b32_e32 v88, 12, v76
	v_or_b32_e32 v89, 14, v76
	;; [unrolled: 1-line block ×10, first 2 shown]
	v_cndmask_b32_e64 v78, 0xff7fffff, v99, s3
	v_mul_f32_e32 v99, s19, v137
	v_cmp_gt_i32_e64 s4, s18, v80
	v_mul_f32_e32 v80, s19, v136
	v_cmp_gt_i32_e64 s5, s18, v79
	v_cmp_gt_i32_e64 s6, s18, v86
	v_mul_f32_e32 v86, s19, v116
	v_cndmask_b32_e32 v76, 0xff7fffff, v97, vcc_lo
	v_mul_f32_e32 v79, s19, v139
	v_cndmask_b32_e64 v80, 0xff7fffff, v80, s5
	v_cndmask_b32_e64 v99, 0xff7fffff, v99, s4
	v_cmp_gt_i32_e64 s7, s18, v87
	v_max3_f32 v76, v76, 0xff7fffff, v78
	v_dual_mul_f32 v78, s19, v138 :: v_dual_mul_f32 v97, s19, v140
	v_cmp_gt_i32_e64 s8, s18, v89
	s_delay_alu instid0(VALU_DEP_4) | instskip(NEXT) | instid1(VALU_DEP_4)
	v_cndmask_b32_e64 v79, 0xff7fffff, v79, s7
	v_max3_f32 v76, v76, v80, v99
	s_delay_alu instid0(VALU_DEP_4) | instskip(SKIP_3) | instid1(VALU_DEP_4)
	v_cndmask_b32_e64 v78, 0xff7fffff, v78, s6
	v_cmp_gt_i32_e64 s9, s18, v88
	v_dual_mul_f32 v88, s19, v111 :: v_dual_mul_f32 v89, s19, v110
	v_cndmask_b32_e64 v100, 0xff7fffff, v100, s8
	v_max3_f32 v76, v76, v78, v79
	s_delay_alu instid0(VALU_DEP_4) | instskip(SKIP_3) | instid1(VALU_DEP_4)
	v_cndmask_b32_e64 v97, 0xff7fffff, v97, s9
	v_cmp_gt_i32_e64 s10, s18, v90
	v_cmp_gt_i32_e64 s11, s18, v91
	v_dual_mul_f32 v78, s19, v113 :: v_dual_mul_f32 v79, s19, v112
	v_max3_f32 v76, v76, v97, v100
	s_delay_alu instid0(VALU_DEP_4) | instskip(NEXT) | instid1(VALU_DEP_4)
	v_cndmask_b32_e64 v89, 0xff7fffff, v89, s10
	v_cndmask_b32_e64 v88, 0xff7fffff, v88, s11
	v_cmp_gt_i32_e64 s12, s18, v92
	v_cmp_gt_i32_e64 s13, s18, v93
	v_mul_f32_e32 v87, s19, v115
	v_mul_f32_e32 v99, s19, v114
	v_max3_f32 v76, v76, v89, v88
	v_cndmask_b32_e64 v79, 0xff7fffff, v79, s12
	v_cndmask_b32_e64 v78, 0xff7fffff, v78, s13
	v_cmp_gt_i32_e64 s15, s18, v94
	v_cmp_gt_i32_e64 s16, s18, v95
	v_mul_f32_e32 v80, s19, v117
	v_cmp_gt_i32_e64 s17, s18, v96
	v_max3_f32 v76, v76, v79, v78
	v_cndmask_b32_e64 v88, 0xff7fffff, v99, s15
	v_cndmask_b32_e64 v87, 0xff7fffff, v87, s16
	v_cmp_gt_i32_e64 s18, s18, v98
	v_cndmask_b32_e64 v78, 0xff7fffff, v86, s17
	v_lshlrev_b32_e32 v99, 2, v77
	s_delay_alu instid0(VALU_DEP_4) | instskip(NEXT) | instid1(VALU_DEP_4)
	v_max3_f32 v76, v76, v88, v87
	v_cndmask_b32_e64 v79, 0xff7fffff, v80, s18
	s_delay_alu instid0(VALU_DEP_1) | instskip(SKIP_3) | instid1(VALU_DEP_1)
	v_max3_f32 v76, v76, v78, v79
	ds_bpermute_b32 v77, v99, v76
	s_waitcnt lgkmcnt(0)
	v_max_f32_e32 v77, v77, v77
	v_max_f32_e32 v89, v76, v77
	s_delay_alu instid0(VALU_DEP_1)
	v_fma_f32 v78, s19, v136, -v89
	v_fma_f32 v76, s19, v134, -v89
	;; [unrolled: 1-line block ×5, first 2 shown]
	v_mul_f32_e32 v78, 0x3fb8aa3b, v78
	v_mul_f32_e32 v76, 0x3fb8aa3b, v76
	s_delay_alu instid0(VALU_DEP_4) | instskip(SKIP_1) | instid1(VALU_DEP_4)
	v_dual_mul_f32 v86, 0x3fb8aa3b, v86 :: v_dual_mul_f32 v77, 0x3fb8aa3b, v77
	v_fma_f32 v80, s19, v138, -v89
	v_exp_f32_e32 v78, v78
	s_delay_alu instid0(VALU_DEP_3) | instskip(NEXT) | instid1(VALU_DEP_2)
	v_exp_f32_e32 v76, v76
	v_exp_f32_e32 v86, v86
	;; [unrolled: 1-line block ×3, first 2 shown]
	v_mul_f32_e32 v80, 0x3fb8aa3b, v80
	s_delay_alu instid0(VALU_DEP_1) | instskip(SKIP_2) | instid1(TRANS32_DEP_3)
	v_exp_f32_e32 v80, v80
	v_cndmask_b32_e64 v92, 0, v78, s5
	v_fma_f32 v78, s19, v141, -v89
	v_cndmask_b32_e64 v93, 0, v86, s9
	v_mul_f32_e32 v79, 0x3fb8aa3b, v79
	s_delay_alu instid0(TRANS32_DEP_2) | instskip(SKIP_2) | instid1(VALU_DEP_3)
	v_cndmask_b32_e64 v90, 0, v77, s3
	s_mov_b32 s3, exec_lo
	v_mul_f32_e32 v78, 0x3fb8aa3b, v78
	v_exp_f32_e32 v79, v79
	s_delay_alu instid0(TRANS32_DEP_2) | instskip(SKIP_1) | instid1(VALU_DEP_3)
	v_cndmask_b32_e64 v95, 0, v80, s6
	v_fma_f32 v80, s19, v111, -v89
	v_exp_f32_e32 v78, v78
	s_delay_alu instid0(VALU_DEP_1)
	v_mul_f32_e32 v80, 0x3fb8aa3b, v80
	s_waitcnt_depctr 0xfff
	v_cndmask_b32_e64 v94, 0, v79, s4
	v_fma_f32 v79, s19, v110, -v89
	v_exp_f32_e32 v80, v80
	v_cndmask_b32_e64 v97, 0, v78, s8
	v_cndmask_b32_e32 v91, 0, v76, vcc_lo
	v_fma_f32 v76, s19, v139, -v89
	s_delay_alu instid0(VALU_DEP_1) | instskip(NEXT) | instid1(VALU_DEP_1)
	v_dual_add_f32 v77, 0, v91 :: v_dual_mul_f32 v76, 0x3fb8aa3b, v76
	v_add_f32_e32 v77, v77, v90
	s_delay_alu instid0(VALU_DEP_2) | instskip(NEXT) | instid1(VALU_DEP_1)
	v_exp_f32_e32 v76, v76
	v_add_f32_e32 v77, v77, v92
	s_delay_alu instid0(VALU_DEP_1) | instskip(SKIP_4) | instid1(VALU_DEP_1)
	v_add_f32_e32 v77, v77, v94
	s_waitcnt_depctr 0xfff
	v_cndmask_b32_e64 v96, 0, v76, s7
	v_add_f32_e32 v76, v77, v95
	v_fma_f32 v77, s19, v112, -v89
	v_dual_add_f32 v76, v76, v96 :: v_dual_mul_f32 v77, 0x3fb8aa3b, v77
	s_delay_alu instid0(VALU_DEP_1) | instskip(NEXT) | instid1(VALU_DEP_2)
	v_add_f32_e32 v78, v76, v93
	v_exp_f32_e32 v88, v77
	v_cndmask_b32_e64 v77, 0, v80, s11
	s_delay_alu instid0(VALU_DEP_2) | instskip(NEXT) | instid1(VALU_DEP_1)
	v_dual_mul_f32 v79, 0x3fb8aa3b, v79 :: v_dual_add_f32 v78, v78, v97
	v_exp_f32_e32 v79, v79
	s_waitcnt_depctr 0xfff
	v_cndmask_b32_e64 v76, 0, v79, s10
	s_delay_alu instid0(VALU_DEP_1)
	v_add_f32_e32 v80, v78, v76
	v_fma_f32 v86, s19, v113, -v89
	v_fma_f32 v87, s19, v114, -v89
	;; [unrolled: 1-line block ×4, first 2 shown]
	v_add_f32_e32 v80, v80, v77
	s_delay_alu instid0(VALU_DEP_4) | instskip(NEXT) | instid1(VALU_DEP_4)
	v_dual_mul_f32 v86, 0x3fb8aa3b, v86 :: v_dual_mul_f32 v87, 0x3fb8aa3b, v87
	v_mul_f32_e32 v79, 0x3fb8aa3b, v79
	v_cndmask_b32_e64 v78, 0, v88, s12
	v_mul_f32_e32 v88, 0x3fb8aa3b, v98
	s_delay_alu instid0(VALU_DEP_4) | instskip(SKIP_4) | instid1(VALU_DEP_1)
	v_exp_f32_e32 v86, v86
	v_exp_f32_e32 v87, v87
	;; [unrolled: 1-line block ×3, first 2 shown]
	v_fma_f32 v100, s19, v117, -v89
	v_exp_f32_e32 v88, v88
	v_mul_f32_e32 v100, 0x3fb8aa3b, v100
	v_cndmask_b32_e64 v79, 0, v86, s13
	v_add_f32_e32 v86, v80, v78
	s_delay_alu instid0(TRANS32_DEP_3) | instskip(NEXT) | instid1(VALU_DEP_4)
	v_cndmask_b32_e64 v80, 0, v87, s15
	v_exp_f32_e32 v100, v100
	s_delay_alu instid0(VALU_DEP_2) | instskip(NEXT) | instid1(TRANS32_DEP_3)
	v_add_f32_e32 v87, v86, v79
	v_cndmask_b32_e64 v86, 0, v98, s16
	s_delay_alu instid0(VALU_DEP_2) | instskip(NEXT) | instid1(TRANS32_DEP_2)
	v_add_f32_e32 v98, v87, v80
	v_cndmask_b32_e64 v87, 0, v88, s17
	s_delay_alu instid0(VALU_DEP_2) | instskip(NEXT) | instid1(VALU_DEP_1)
	v_add_f32_e32 v88, v98, v86
	v_add_f32_e32 v98, v88, v87
	s_delay_alu instid0(TRANS32_DEP_1) | instskip(NEXT) | instid1(VALU_DEP_1)
	v_cndmask_b32_e64 v88, 0, v100, s18
	v_add_f32_e32 v98, v98, v88
	ds_bpermute_b32 v99, v99, v98
	v_cmpx_gt_u32_e32 16, v75
	s_cbranch_execz .LBB537_14
; %bb.13:
	v_mul_u32_u24_e32 v75, 0x44, v73
	s_waitcnt lgkmcnt(0)
	v_add_f32_e32 v98, v98, v99
	s_delay_alu instid0(VALU_DEP_2) | instskip(NEXT) | instid1(VALU_DEP_1)
	v_lshl_add_u32 v75, v74, 2, v75
	v_add_nc_u32_e32 v75, 0x4000, v75
	ds_store_2addr_b32 v75, v89, v98 offset1:136
.LBB537_14:
	s_or_b32 exec_lo, exec_lo, s3
	v_lshlrev_b32_e32 v74, 2, v74
	s_waitcnt lgkmcnt(0)
	s_barrier
	buffer_gl0_inv
	v_cmp_eq_u32_e64 s3, 1, v73
	v_add_nc_u32_e32 v89, 0x4000, v74
	ds_load_2addr_b32 v[98:99], v89 offset1:17
	ds_load_2addr_b32 v[100:101], v89 offset0:34 offset1:51
	ds_load_2addr_b32 v[102:103], v89 offset0:68 offset1:85
	;; [unrolled: 1-line block ×4, first 2 shown]
	s_waitcnt lgkmcnt(4)
	v_max3_f32 v74, v98, 0xff7fffff, v99
	s_waitcnt lgkmcnt(3)
	s_delay_alu instid0(VALU_DEP_1) | instskip(SKIP_1) | instid1(VALU_DEP_1)
	v_max3_f32 v74, v74, v100, v101
	s_waitcnt lgkmcnt(2)
	v_max3_f32 v74, v74, v102, v103
	s_waitcnt lgkmcnt(1)
	s_delay_alu instid0(VALU_DEP_1) | instskip(NEXT) | instid1(VALU_DEP_1)
	v_max3_f32 v74, v74, v104, v105
	v_sub_f32_e32 v108, v99, v74
	v_sub_f32_e32 v75, v98, v74
	ds_load_2addr_b32 v[98:99], v89 offset0:170 offset1:187
	v_sub_f32_e32 v100, v100, v74
	v_dual_mul_f32 v108, 0x3fb8aa3b, v108 :: v_dual_mul_f32 v75, 0x3fb8aa3b, v75
	s_delay_alu instid0(VALU_DEP_2) | instskip(NEXT) | instid1(VALU_DEP_2)
	v_mul_f32_e32 v110, 0x3fb8aa3b, v100
	v_exp_f32_e32 v108, v108
	s_delay_alu instid0(VALU_DEP_2)
	v_exp_f32_e32 v109, v75
	v_sub_f32_e32 v75, v101, v74
	ds_load_2addr_b32 v[100:101], v89 offset0:204 offset1:221
	v_exp_f32_e32 v110, v110
	v_mul_f32_e32 v111, 0x3fb8aa3b, v75
	s_waitcnt lgkmcnt(2)
	v_fma_f32 v75, v109, v106, 0
	v_sub_f32_e32 v102, v102, v74
	s_delay_alu instid0(VALU_DEP_3) | instskip(NEXT) | instid1(VALU_DEP_2)
	v_exp_f32_e32 v111, v111
	v_dual_sub_f32 v106, v103, v74 :: v_dual_fmac_f32 v75, v108, v107
	s_waitcnt lgkmcnt(1)
	s_waitcnt_depctr 0xfff
	v_fmac_f32_e32 v75, v110, v98
	v_mul_f32_e32 v112, 0x3fb8aa3b, v102
	ds_load_2addr_b32 v[102:103], v89 offset0:238 offset1:255
	v_sub_f32_e32 v89, v104, v74
	v_dual_sub_f32 v98, v105, v74 :: v_dual_fmac_f32 v75, v111, v99
	v_mul_f32_e32 v104, 0x3fb8aa3b, v106
	v_exp_f32_e32 v106, v112
	s_delay_alu instid0(VALU_DEP_2)
	v_dual_mul_f32 v89, 0x3fb8aa3b, v89 :: v_dual_mul_f32 v98, 0x3fb8aa3b, v98
	s_waitcnt lgkmcnt(0)
	s_barrier
	buffer_gl0_inv
	v_exp_f32_e32 v89, v89
	v_exp_f32_e32 v98, v98
	v_fmac_f32_e32 v75, v106, v100
	v_exp_f32_e32 v104, v104
	s_waitcnt_depctr 0xfff
	v_fmac_f32_e32 v75, v104, v101
	s_delay_alu instid0(VALU_DEP_1) | instskip(NEXT) | instid1(VALU_DEP_1)
	v_fmac_f32_e32 v75, v89, v102
	v_fmac_f32_e32 v75, v98, v103
	s_delay_alu instid0(VALU_DEP_1) | instskip(NEXT) | instid1(VALU_DEP_1)
	v_add_f32_e32 v99, 0x358637bd, v75
	v_div_scale_f32 v100, null, v99, v99, 1.0
	v_div_scale_f32 v103, vcc_lo, 1.0, v99, 1.0
	s_delay_alu instid0(VALU_DEP_2) | instskip(SKIP_2) | instid1(VALU_DEP_1)
	v_rcp_f32_e32 v101, v100
	s_waitcnt_depctr 0xfff
	v_fma_f32 v102, -v100, v101, 1.0
	v_fmac_f32_e32 v101, v102, v101
	v_cndmask_b32_e64 v102, v109, v108, s3
	v_cmp_eq_u32_e64 s3, 2, v73
	s_delay_alu instid0(VALU_DEP_3) | instskip(NEXT) | instid1(VALU_DEP_2)
	v_mul_f32_e32 v105, v103, v101
	v_cndmask_b32_e64 v102, v102, v110, s3
	v_cmp_eq_u32_e64 s3, 3, v73
	s_delay_alu instid0(VALU_DEP_3) | instskip(NEXT) | instid1(VALU_DEP_2)
	v_fma_f32 v107, -v100, v105, v103
	v_cndmask_b32_e64 v102, v102, v111, s3
	v_cmp_eq_u32_e64 s3, 4, v73
	s_delay_alu instid0(VALU_DEP_3) | instskip(NEXT) | instid1(VALU_DEP_2)
	v_fmac_f32_e32 v105, v107, v101
	v_cndmask_b32_e64 v102, v102, v106, s3
	s_delay_alu instid0(VALU_DEP_2) | instskip(SKIP_1) | instid1(VALU_DEP_2)
	v_fma_f32 v100, -v100, v105, v103
	v_cmp_eq_u32_e64 s3, 5, v73
	v_div_fmas_f32 v100, v100, v101, v105
	s_delay_alu instid0(VALU_DEP_2) | instskip(SKIP_2) | instid1(VALU_DEP_3)
	v_cndmask_b32_e64 v102, v102, v104, s3
	v_cmp_eq_u32_e32 vcc_lo, 6, v73
	s_mov_b32 s3, exec_lo
	v_div_fixup_f32 v99, v100, v99, 1.0
	s_delay_alu instid0(VALU_DEP_3) | instskip(SKIP_1) | instid1(VALU_DEP_2)
	v_cndmask_b32_e32 v89, v102, v89, vcc_lo
	v_cmp_eq_u32_e32 vcc_lo, 7, v73
	v_cndmask_b32_e32 v89, v89, v98, vcc_lo
	s_delay_alu instid0(VALU_DEP_1) | instskip(NEXT) | instid1(VALU_DEP_1)
	v_mul_f32_e32 v89, v89, v99
	v_mul_f32_e32 v99, v89, v91
	;; [unrolled: 1-line block ×6, first 2 shown]
	v_and_b32_e32 v100, 0x7f800000, v99
	v_mul_f32_e32 v98, v89, v94
	v_mul_f32_e32 v94, v89, v90
	;; [unrolled: 1-line block ×3, first 2 shown]
                                        ; implicit-def: $vgpr90
	s_delay_alu instid0(VALU_DEP_4)
	v_cmpx_ne_u32_e32 0x7f800000, v100
	s_xor_b32 s3, exec_lo, s3
; %bb.15:
	v_bfe_u32 v90, v99, 16, 1
	s_delay_alu instid0(VALU_DEP_1)
	v_add3_u32 v90, v99, v90, 0x7fff
                                        ; implicit-def: $vgpr99
; %bb.16:
	s_and_not1_saveexec_b32 s3, s3
; %bb.17:
	v_and_b32_e32 v90, 0xffff, v99
	v_or_b32_e32 v92, 0x10000, v99
	s_delay_alu instid0(VALU_DEP_2) | instskip(NEXT) | instid1(VALU_DEP_2)
	v_cmp_eq_u32_e32 vcc_lo, 0, v90
	v_cndmask_b32_e32 v90, v92, v99, vcc_lo
; %bb.18:
	s_or_b32 exec_lo, exec_lo, s3
	v_and_b32_e32 v92, 0x7f800000, v94
	s_delay_alu instid0(VALU_DEP_1) | instskip(SKIP_1) | instid1(SALU_CYCLE_1)
	v_cmp_ne_u32_e32 vcc_lo, 0x7f800000, v92
                                        ; implicit-def: $vgpr92
	s_and_saveexec_b32 s3, vcc_lo
	s_xor_b32 s3, exec_lo, s3
; %bb.19:
	v_bfe_u32 v92, v94, 16, 1
	s_delay_alu instid0(VALU_DEP_1)
	v_add3_u32 v92, v94, v92, 0x7fff
                                        ; implicit-def: $vgpr94
; %bb.20:
	s_and_not1_saveexec_b32 s3, s3
; %bb.21:
	v_and_b32_e32 v92, 0xffff, v94
	v_or_b32_e32 v99, 0x10000, v94
	s_delay_alu instid0(VALU_DEP_2) | instskip(NEXT) | instid1(VALU_DEP_2)
	v_cmp_eq_u32_e32 vcc_lo, 0, v92
	v_cndmask_b32_e32 v92, v99, v94, vcc_lo
; %bb.22:
	s_or_b32 exec_lo, exec_lo, s3
	v_and_b32_e32 v94, 0x7f800000, v95
	s_delay_alu instid0(VALU_DEP_1) | instskip(SKIP_1) | instid1(SALU_CYCLE_1)
	v_cmp_ne_u32_e32 vcc_lo, 0x7f800000, v94
                                        ; implicit-def: $vgpr94
	s_and_saveexec_b32 s3, vcc_lo
	s_xor_b32 s3, exec_lo, s3
; %bb.23:
	v_bfe_u32 v94, v95, 16, 1
	s_delay_alu instid0(VALU_DEP_1)
	v_add3_u32 v94, v95, v94, 0x7fff
                                        ; implicit-def: $vgpr95
; %bb.24:
	s_and_not1_saveexec_b32 s3, s3
; %bb.25:
	v_and_b32_e32 v94, 0xffff, v95
	v_or_b32_e32 v99, 0x10000, v95
	s_delay_alu instid0(VALU_DEP_2) | instskip(NEXT) | instid1(VALU_DEP_2)
	v_cmp_eq_u32_e32 vcc_lo, 0, v94
	v_cndmask_b32_e32 v94, v99, v95, vcc_lo
; %bb.26:
	s_or_b32 exec_lo, exec_lo, s3
	v_and_b32_e32 v95, 0x7f800000, v98
	s_delay_alu instid0(VALU_DEP_1) | instskip(SKIP_1) | instid1(SALU_CYCLE_1)
	v_cmp_ne_u32_e32 vcc_lo, 0x7f800000, v95
                                        ; implicit-def: $vgpr95
	s_and_saveexec_b32 s3, vcc_lo
	s_xor_b32 s3, exec_lo, s3
; %bb.27:
	v_bfe_u32 v95, v98, 16, 1
	s_delay_alu instid0(VALU_DEP_1)
	v_add3_u32 v95, v98, v95, 0x7fff
                                        ; implicit-def: $vgpr98
; %bb.28:
	s_and_not1_saveexec_b32 s3, s3
; %bb.29:
	v_and_b32_e32 v95, 0xffff, v98
	v_or_b32_e32 v99, 0x10000, v98
	s_delay_alu instid0(VALU_DEP_2) | instskip(NEXT) | instid1(VALU_DEP_2)
	v_cmp_eq_u32_e32 vcc_lo, 0, v95
	v_cndmask_b32_e32 v95, v99, v98, vcc_lo
; %bb.30:
	s_or_b32 exec_lo, exec_lo, s3
	v_and_b32_e32 v98, 0x7f800000, v97
	s_delay_alu instid0(VALU_DEP_1) | instskip(SKIP_1) | instid1(SALU_CYCLE_1)
	v_cmp_ne_u32_e32 vcc_lo, 0x7f800000, v98
                                        ; implicit-def: $vgpr98
	s_and_saveexec_b32 s3, vcc_lo
	s_xor_b32 s3, exec_lo, s3
; %bb.31:
	v_bfe_u32 v98, v97, 16, 1
	s_delay_alu instid0(VALU_DEP_1)
	v_add3_u32 v98, v97, v98, 0x7fff
                                        ; implicit-def: $vgpr97
; %bb.32:
	s_and_not1_saveexec_b32 s3, s3
; %bb.33:
	v_and_b32_e32 v98, 0xffff, v97
	v_or_b32_e32 v99, 0x10000, v97
	s_delay_alu instid0(VALU_DEP_2) | instskip(NEXT) | instid1(VALU_DEP_2)
	v_cmp_eq_u32_e32 vcc_lo, 0, v98
	v_cndmask_b32_e32 v98, v99, v97, vcc_lo
; %bb.34:
	s_or_b32 exec_lo, exec_lo, s3
	v_and_b32_e32 v97, 0x7f800000, v96
	s_delay_alu instid0(VALU_DEP_1) | instskip(SKIP_1) | instid1(SALU_CYCLE_1)
	v_cmp_ne_u32_e32 vcc_lo, 0x7f800000, v97
                                        ; implicit-def: $vgpr97
	s_and_saveexec_b32 s3, vcc_lo
	s_xor_b32 s3, exec_lo, s3
; %bb.35:
	v_bfe_u32 v97, v96, 16, 1
	s_delay_alu instid0(VALU_DEP_1)
	v_add3_u32 v97, v96, v97, 0x7fff
                                        ; implicit-def: $vgpr96
; %bb.36:
	s_and_not1_saveexec_b32 s3, s3
; %bb.37:
	v_and_b32_e32 v97, 0xffff, v96
	v_or_b32_e32 v99, 0x10000, v96
	s_delay_alu instid0(VALU_DEP_2) | instskip(NEXT) | instid1(VALU_DEP_2)
	v_cmp_eq_u32_e32 vcc_lo, 0, v97
	v_cndmask_b32_e32 v97, v99, v96, vcc_lo
; %bb.38:
	s_or_b32 exec_lo, exec_lo, s3
	v_and_b32_e32 v96, 0x7f800000, v93
	s_delay_alu instid0(VALU_DEP_1) | instskip(SKIP_1) | instid1(SALU_CYCLE_1)
	v_cmp_ne_u32_e32 vcc_lo, 0x7f800000, v96
                                        ; implicit-def: $vgpr96
	s_and_saveexec_b32 s3, vcc_lo
	s_xor_b32 s3, exec_lo, s3
; %bb.39:
	v_bfe_u32 v96, v93, 16, 1
	s_delay_alu instid0(VALU_DEP_1)
	v_add3_u32 v96, v93, v96, 0x7fff
                                        ; implicit-def: $vgpr93
; %bb.40:
	s_and_not1_saveexec_b32 s3, s3
; %bb.41:
	v_and_b32_e32 v96, 0xffff, v93
	v_or_b32_e32 v99, 0x10000, v93
	s_delay_alu instid0(VALU_DEP_2) | instskip(NEXT) | instid1(VALU_DEP_2)
	v_cmp_eq_u32_e32 vcc_lo, 0, v96
	v_cndmask_b32_e32 v96, v99, v93, vcc_lo
; %bb.42:
	s_or_b32 exec_lo, exec_lo, s3
	v_and_b32_e32 v93, 0x7f800000, v91
	s_delay_alu instid0(VALU_DEP_1) | instskip(SKIP_1) | instid1(SALU_CYCLE_1)
	v_cmp_ne_u32_e32 vcc_lo, 0x7f800000, v93
                                        ; implicit-def: $vgpr93
	s_and_saveexec_b32 s3, vcc_lo
	s_xor_b32 s3, exec_lo, s3
; %bb.43:
	v_bfe_u32 v93, v91, 16, 1
	s_delay_alu instid0(VALU_DEP_1)
	v_add3_u32 v93, v91, v93, 0x7fff
                                        ; implicit-def: $vgpr91
; %bb.44:
	s_and_not1_saveexec_b32 s3, s3
; %bb.45:
	v_and_b32_e32 v93, 0xffff, v91
	v_or_b32_e32 v99, 0x10000, v91
	s_delay_alu instid0(VALU_DEP_2) | instskip(NEXT) | instid1(VALU_DEP_2)
	v_cmp_eq_u32_e32 vcc_lo, 0, v93
	v_cndmask_b32_e32 v93, v99, v91, vcc_lo
; %bb.46:
	s_or_b32 exec_lo, exec_lo, s3
	s_load_b64 s[34:35], s[0:1], 0x94
	v_lshlrev_b32_e32 v91, 4, v83
	s_delay_alu instid0(VALU_DEP_2)
	v_perm_b32 v99, v93, v96, 0x7060302
	v_dual_mul_f32 v88, v89, v88 :: v_dual_lshlrev_b32 v93, 11, v73
	v_perm_b32 v96, v92, v90, 0x7060302
	v_mul_f32_e32 v92, v89, v76
	v_perm_b32 v98, v97, v98, 0x7060302
	v_perm_b32 v97, v95, v94, 0x7060302
	v_or3_b32 v76, v91, v93, v85
	v_mul_f32_e32 v87, v89, v87
	v_dual_mul_f32 v86, v89, v86 :: v_dual_and_b32 v93, 0x7f800000, v92
	v_mul_f32_e32 v80, v89, v80
	v_mul_f32_e32 v90, v89, v79
	v_mul_f32_e32 v91, v89, v78
	v_mul_f32_e32 v79, v89, v77
	s_mov_b32 s3, exec_lo
	ds_store_b128 v76, v[96:99]
                                        ; implicit-def: $vgpr77
	v_cmpx_ne_u32_e32 0x7f800000, v93
	s_xor_b32 s3, exec_lo, s3
; %bb.47:
	v_bfe_u32 v77, v92, 16, 1
	s_delay_alu instid0(VALU_DEP_1)
	v_add3_u32 v77, v92, v77, 0x7fff
                                        ; implicit-def: $vgpr92
; %bb.48:
	s_and_not1_saveexec_b32 s3, s3
; %bb.49:
	v_and_b32_e32 v77, 0xffff, v92
	v_or_b32_e32 v78, 0x10000, v92
	s_delay_alu instid0(VALU_DEP_2) | instskip(NEXT) | instid1(VALU_DEP_2)
	v_cmp_eq_u32_e32 vcc_lo, 0, v77
	v_cndmask_b32_e32 v77, v78, v92, vcc_lo
; %bb.50:
	s_or_b32 exec_lo, exec_lo, s3
	v_and_b32_e32 v78, 0x7f800000, v79
	s_delay_alu instid0(VALU_DEP_1) | instskip(SKIP_1) | instid1(SALU_CYCLE_1)
	v_cmp_ne_u32_e32 vcc_lo, 0x7f800000, v78
                                        ; implicit-def: $vgpr78
	s_and_saveexec_b32 s3, vcc_lo
	s_xor_b32 s3, exec_lo, s3
; %bb.51:
	v_bfe_u32 v78, v79, 16, 1
	s_delay_alu instid0(VALU_DEP_1)
	v_add3_u32 v78, v79, v78, 0x7fff
                                        ; implicit-def: $vgpr79
; %bb.52:
	s_and_not1_saveexec_b32 s3, s3
; %bb.53:
	v_and_b32_e32 v78, 0xffff, v79
	v_or_b32_e32 v89, 0x10000, v79
	s_delay_alu instid0(VALU_DEP_2) | instskip(NEXT) | instid1(VALU_DEP_2)
	v_cmp_eq_u32_e32 vcc_lo, 0, v78
	v_cndmask_b32_e32 v78, v89, v79, vcc_lo
; %bb.54:
	s_or_b32 exec_lo, exec_lo, s3
	v_and_b32_e32 v79, 0x7f800000, v91
	s_delay_alu instid0(VALU_DEP_1) | instskip(SKIP_1) | instid1(SALU_CYCLE_1)
	v_cmp_ne_u32_e32 vcc_lo, 0x7f800000, v79
                                        ; implicit-def: $vgpr79
	s_and_saveexec_b32 s3, vcc_lo
	s_xor_b32 s3, exec_lo, s3
; %bb.55:
	v_bfe_u32 v79, v91, 16, 1
	s_delay_alu instid0(VALU_DEP_1)
	v_add3_u32 v79, v91, v79, 0x7fff
                                        ; implicit-def: $vgpr91
; %bb.56:
	s_and_not1_saveexec_b32 s3, s3
; %bb.57:
	v_and_b32_e32 v79, 0xffff, v91
	v_or_b32_e32 v89, 0x10000, v91
	s_delay_alu instid0(VALU_DEP_2) | instskip(NEXT) | instid1(VALU_DEP_2)
	v_cmp_eq_u32_e32 vcc_lo, 0, v79
	v_cndmask_b32_e32 v79, v89, v91, vcc_lo
; %bb.58:
	s_or_b32 exec_lo, exec_lo, s3
	v_and_b32_e32 v89, 0x7f800000, v90
	s_delay_alu instid0(VALU_DEP_1) | instskip(SKIP_1) | instid1(SALU_CYCLE_1)
	v_cmp_ne_u32_e32 vcc_lo, 0x7f800000, v89
                                        ; implicit-def: $vgpr89
	s_and_saveexec_b32 s3, vcc_lo
	s_xor_b32 s3, exec_lo, s3
; %bb.59:
	v_bfe_u32 v89, v90, 16, 1
	s_delay_alu instid0(VALU_DEP_1)
	v_add3_u32 v89, v90, v89, 0x7fff
                                        ; implicit-def: $vgpr90
; %bb.60:
	s_and_not1_saveexec_b32 s3, s3
; %bb.61:
	v_and_b32_e32 v89, 0xffff, v90
	v_or_b32_e32 v91, 0x10000, v90
	s_delay_alu instid0(VALU_DEP_2) | instskip(NEXT) | instid1(VALU_DEP_2)
	v_cmp_eq_u32_e32 vcc_lo, 0, v89
	v_cndmask_b32_e32 v89, v91, v90, vcc_lo
; %bb.62:
	s_or_b32 exec_lo, exec_lo, s3
	v_and_b32_e32 v90, 0x7f800000, v80
	s_delay_alu instid0(VALU_DEP_1) | instskip(SKIP_1) | instid1(SALU_CYCLE_1)
	v_cmp_ne_u32_e32 vcc_lo, 0x7f800000, v90
                                        ; implicit-def: $vgpr90
	s_and_saveexec_b32 s3, vcc_lo
	s_xor_b32 s3, exec_lo, s3
; %bb.63:
	v_bfe_u32 v90, v80, 16, 1
	s_delay_alu instid0(VALU_DEP_1)
	v_add3_u32 v90, v80, v90, 0x7fff
                                        ; implicit-def: $vgpr80
; %bb.64:
	s_and_not1_saveexec_b32 s3, s3
; %bb.65:
	v_and_b32_e32 v90, 0xffff, v80
	v_or_b32_e32 v91, 0x10000, v80
	s_delay_alu instid0(VALU_DEP_2) | instskip(NEXT) | instid1(VALU_DEP_2)
	v_cmp_eq_u32_e32 vcc_lo, 0, v90
	v_cndmask_b32_e32 v90, v91, v80, vcc_lo
; %bb.66:
	s_or_b32 exec_lo, exec_lo, s3
	v_and_b32_e32 v80, 0x7f800000, v86
	s_delay_alu instid0(VALU_DEP_1) | instskip(SKIP_1) | instid1(SALU_CYCLE_1)
	v_cmp_ne_u32_e32 vcc_lo, 0x7f800000, v80
                                        ; implicit-def: $vgpr80
	s_and_saveexec_b32 s3, vcc_lo
	s_xor_b32 s3, exec_lo, s3
; %bb.67:
	v_bfe_u32 v80, v86, 16, 1
	s_delay_alu instid0(VALU_DEP_1)
	v_add3_u32 v80, v86, v80, 0x7fff
                                        ; implicit-def: $vgpr86
; %bb.68:
	s_and_not1_saveexec_b32 s3, s3
; %bb.69:
	v_and_b32_e32 v80, 0xffff, v86
	v_or_b32_e32 v91, 0x10000, v86
	s_delay_alu instid0(VALU_DEP_2) | instskip(NEXT) | instid1(VALU_DEP_2)
	v_cmp_eq_u32_e32 vcc_lo, 0, v80
	v_cndmask_b32_e32 v80, v91, v86, vcc_lo
; %bb.70:
	s_or_b32 exec_lo, exec_lo, s3
	v_and_b32_e32 v86, 0x7f800000, v87
	s_delay_alu instid0(VALU_DEP_1) | instskip(SKIP_1) | instid1(SALU_CYCLE_1)
	v_cmp_ne_u32_e32 vcc_lo, 0x7f800000, v86
                                        ; implicit-def: $vgpr86
	s_and_saveexec_b32 s3, vcc_lo
	s_xor_b32 s3, exec_lo, s3
; %bb.71:
	v_bfe_u32 v86, v87, 16, 1
	s_delay_alu instid0(VALU_DEP_1)
	v_add3_u32 v86, v87, v86, 0x7fff
                                        ; implicit-def: $vgpr87
; %bb.72:
	s_and_not1_saveexec_b32 s3, s3
; %bb.73:
	v_and_b32_e32 v86, 0xffff, v87
	v_or_b32_e32 v91, 0x10000, v87
	s_delay_alu instid0(VALU_DEP_2) | instskip(NEXT) | instid1(VALU_DEP_2)
	v_cmp_eq_u32_e32 vcc_lo, 0, v86
	v_cndmask_b32_e32 v86, v91, v87, vcc_lo
; %bb.74:
	s_or_b32 exec_lo, exec_lo, s3
	v_and_b32_e32 v87, 0x7f800000, v88
	s_delay_alu instid0(VALU_DEP_1) | instskip(SKIP_1) | instid1(SALU_CYCLE_1)
	v_cmp_ne_u32_e32 vcc_lo, 0x7f800000, v87
                                        ; implicit-def: $vgpr87
	s_and_saveexec_b32 s3, vcc_lo
	s_xor_b32 s3, exec_lo, s3
; %bb.75:
	v_bfe_u32 v87, v88, 16, 1
	s_delay_alu instid0(VALU_DEP_1)
	v_add3_u32 v87, v88, v87, 0x7fff
                                        ; implicit-def: $vgpr88
; %bb.76:
	s_and_not1_saveexec_b32 s3, s3
; %bb.77:
	v_and_b32_e32 v87, 0xffff, v88
	v_or_b32_e32 v91, 0x10000, v88
	s_delay_alu instid0(VALU_DEP_2) | instskip(NEXT) | instid1(VALU_DEP_2)
	v_cmp_eq_u32_e32 vcc_lo, 0, v87
	v_cndmask_b32_e32 v87, v91, v88, vcc_lo
; %bb.78:
	s_or_b32 exec_lo, exec_lo, s3
	s_delay_alu instid0(VALU_DEP_1)
	v_perm_b32 v94, v87, v86, 0x7060302
	v_perm_b32 v93, v80, v90, 0x7060302
	;; [unrolled: 1-line block ×4, first 2 shown]
	v_lshl_or_b32 v90, v73, 11, v85
	ds_store_b128 v76, v[91:94] offset:1024
	s_waitcnt lgkmcnt(0)
	s_barrier
	buffer_gl0_inv
	ds_load_b128 v[77:80], v90
	ds_load_b128 v[91:94], v90 offset:16
	s_waitcnt lgkmcnt(1)
	v_lshrrev_b32_e32 v73, 16, v77
	s_waitcnt lgkmcnt(0)
	v_lshrrev_b32_e32 v108, 16, v94
	v_lshlrev_b32_e32 v87, 2, v83
	v_lshrrev_b32_e32 v99, 16, v91
	v_lshrrev_b32_e32 v103, 16, v78
	;; [unrolled: 1-line block ×4, first 2 shown]
	v_or_b32_e32 v88, 1, v87
	v_cmp_eq_u32_e32 vcc_lo, 1, v87
	v_cmp_eq_u32_e64 s4, 2, v87
	v_cmp_eq_u32_e64 s7, 3, v87
	v_cmp_eq_u32_e64 s9, 4, v87
	v_cmp_eq_u32_e64 s3, 1, v88
	v_cndmask_b32_e32 v89, v77, v73, vcc_lo
	v_cndmask_b32_e32 v95, v91, v99, vcc_lo
	v_cmp_eq_u32_e64 s6, 2, v88
	v_cmp_eq_u32_e64 s8, 3, v88
	v_cndmask_b32_e64 v96, v77, v73, s3
	v_cndmask_b32_e64 v89, v89, v78, s4
	;; [unrolled: 1-line block ×3, first 2 shown]
	v_or_b32_e32 v86, 2, v87
	v_lshrrev_b32_e32 v107, 16, v93
	v_cndmask_b32_e64 v96, v96, v78, s6
	v_cndmask_b32_e64 v89, v89, v103, s7
	;; [unrolled: 1-line block ×4, first 2 shown]
	v_cmp_eq_u32_e64 s10, 5, v87
	v_cndmask_b32_e64 v96, v96, v103, s8
	v_cndmask_b32_e64 v89, v89, v79, s9
	;; [unrolled: 1-line block ×3, first 2 shown]
	v_cmp_eq_u32_e64 s11, 4, v88
	v_cmp_eq_u32_e64 s5, 1, v86
	v_cndmask_b32_e64 v97, v97, v92, s6
	v_cndmask_b32_e64 v89, v89, v104, s10
	v_cmp_eq_u32_e64 s12, 6, v87
	v_cndmask_b32_e64 v96, v96, v79, s11
	v_cndmask_b32_e64 v95, v95, v107, s10
	v_cmp_eq_u32_e64 s13, 5, v88
	v_lshrrev_b32_e32 v105, 16, v80
	v_cndmask_b32_e64 v98, v77, v73, s5
	v_cndmask_b32_e64 v97, v97, v106, s8
	;; [unrolled: 1-line block ×4, first 2 shown]
	v_cmp_eq_u32_e64 s15, 7, v87
	v_cndmask_b32_e64 v95, v95, v94, s12
	v_cmp_eq_u32_e64 s16, 6, v88
	v_cmp_eq_u32_e64 s17, 2, v86
	v_cndmask_b32_e64 v97, v97, v93, s11
	v_cndmask_b32_e64 v109, v89, v105, s15
	;; [unrolled: 1-line block ×6, first 2 shown]
	v_cmp_eq_u32_e64 s18, 7, v88
	v_cmp_eq_u32_e64 s19, 3, v86
	;; [unrolled: 1-line block ×4, first 2 shown]
	v_cndmask_b32_e64 v95, v95, v92, s17
	v_cndmask_b32_e64 v111, v96, v105, s18
	;; [unrolled: 1-line block ×4, first 2 shown]
	v_or_b32_e32 v89, 3, v87
	v_cndmask_b32_e64 v101, v95, v106, s19
	v_cmp_eq_u32_e64 s24, 6, v86
	v_cndmask_b32_e64 v112, v96, v94, s16
	v_cndmask_b32_e64 v100, v97, v79, s20
	v_cmp_eq_u32_e64 s21, 1, v89
	ds_load_b128 v[95:98], v90 offset:1024
	v_cmp_eq_u32_e64 s23, 2, v89
	v_cmp_eq_u32_e64 s25, 3, v89
	v_cndmask_b32_e64 v113, v100, v104, s22
	v_cndmask_b32_e64 v73, v77, v73, s21
	;; [unrolled: 1-line block ×4, first 2 shown]
	ds_load_b128 v[99:102], v90 offset:1040
	v_cmp_eq_u32_e64 s26, 4, v89
	v_cndmask_b32_e64 v73, v73, v78, s23
	v_cmp_eq_u32_e64 s27, 7, v86
	v_cndmask_b32_e64 v78, v91, v92, s23
	v_cndmask_b32_e64 v92, v113, v80, s24
	v_cmp_eq_u32_e64 s28, 5, v89
	v_cndmask_b32_e64 v73, v73, v103, s25
	v_cndmask_b32_e64 v77, v77, v107, s22
	;; [unrolled: 1-line block ×3, first 2 shown]
	v_cmp_eq_u32_e64 s29, 6, v89
	v_cndmask_b32_e64 v91, v112, v108, s18
	v_cndmask_b32_e64 v73, v73, v79, s26
	s_waitcnt lgkmcnt(1)
	v_lshrrev_b32_e32 v103, 16, v95
	v_cndmask_b32_e64 v78, v78, v93, s26
	v_cndmask_b32_e64 v79, v92, v105, s27
	;; [unrolled: 1-line block ×4, first 2 shown]
	v_cndmask_b32_e32 v92, v95, v103, vcc_lo
	v_cndmask_b32_e64 v78, v78, v107, s28
	s_waitcnt lgkmcnt(0)
	v_lshrrev_b32_e32 v93, 16, v99
	v_lshrrev_b32_e32 v104, 16, v96
	v_cndmask_b32_e64 v106, v95, v103, s3
	v_cndmask_b32_e64 v92, v92, v96, s4
	;; [unrolled: 1-line block ×3, first 2 shown]
	v_cndmask_b32_e32 v107, v99, v93, vcc_lo
	v_cndmask_b32_e64 v78, v78, v94, s29
	v_cmp_eq_u32_e32 vcc_lo, 7, v89
	v_cndmask_b32_e64 v80, v92, v104, s7
	v_cndmask_b32_e64 v92, v106, v96, s6
	;; [unrolled: 1-line block ×3, first 2 shown]
	v_lshrrev_b32_e32 v106, 16, v100
	v_cndmask_b32_e64 v77, v77, v108, s27
	v_cndmask_b32_e32 v78, v78, v108, vcc_lo
	v_lshrrev_b32_e32 v108, 16, v101
	v_cndmask_b32_e64 v80, v80, v97, s9
	v_cndmask_b32_e64 v94, v94, v106, s7
	v_lshrrev_b32_e32 v107, 16, v97
	v_cndmask_b32_e32 v73, v73, v105, vcc_lo
	v_perm_b32 v79, v77, v79, 0x5040100
	v_cndmask_b32_e64 v92, v92, v104, s8
	v_cndmask_b32_e64 v94, v94, v101, s9
	;; [unrolled: 1-line block ×3, first 2 shown]
	v_perm_b32 v80, v78, v73, 0x5040100
	v_perm_b32 v78, v91, v111, 0x5040100
	v_cndmask_b32_e64 v111, v99, v93, s5
	v_cndmask_b32_e64 v94, v94, v108, s10
	v_cndmask_b32_e64 v92, v92, v97, s11
	s_delay_alu instid0(VALU_DEP_2)
	v_cndmask_b32_e64 v77, v94, v102, s12
	v_cndmask_b32_e64 v94, v95, v103, s5
	;; [unrolled: 1-line block ×22, first 2 shown]
	v_lshrrev_b32_e32 v105, 16, v98
	v_cndmask_b32_e64 v94, v94, v107, s22
	v_cndmask_b32_e64 v95, v95, v107, s28
	;; [unrolled: 1-line block ×7, first 2 shown]
	v_lshrrev_b32_e32 v92, 16, v102
	v_cndmask_b32_e64 v94, v94, v98, s24
	v_cndmask_b32_e64 v95, v95, v98, s29
	;; [unrolled: 1-line block ×7, first 2 shown]
	v_dual_cndmask_b32 v94, v95, v105 :: v_dual_cndmask_b32 v95, v96, v92
	v_cndmask_b32_e64 v96, v97, v92, s27
	v_cndmask_b32_e64 v97, v93, v92, s18
	;; [unrolled: 1-line block ×3, first 2 shown]
	v_perm_b32 v77, v110, v109, 0x5040100
	v_perm_b32 v94, v95, v94, 0x5040100
	;; [unrolled: 1-line block ×5, first 2 shown]
	s_lshl_b32 s8, s35, 2
	s_mov_b32 s3, exec_lo
	ds_store_b128 v76, v[77:80]
	ds_store_b128 v76, v[91:94] offset:1024
	v_cmpx_gt_u32_e32 4, v0
	s_cbranch_execz .LBB537_80
; %bb.79:
	v_or_b32_e32 v73, s31, v0
	s_load_b128 s[4:7], s[0:1], 0x58
	s_delay_alu instid0(VALU_DEP_1) | instskip(NEXT) | instid1(VALU_DEP_1)
	v_mad_u64_u32 v[76:77], null, s8, s30, v[73:74]
	v_mad_u64_u32 v[77:78], null, v76, s34, s[14:15]
	s_delay_alu instid0(VALU_DEP_1) | instskip(NEXT) | instid1(VALU_DEP_1)
	v_ashrrev_i32_e32 v78, 31, v77
	v_lshlrev_b64 v[76:77], 2, v[77:78]
	s_waitcnt lgkmcnt(0)
	s_delay_alu instid0(VALU_DEP_1) | instskip(NEXT) | instid1(VALU_DEP_2)
	v_add_co_u32 v78, vcc_lo, s6, v76
	v_add_co_ci_u32_e32 v79, vcc_lo, s7, v77, vcc_lo
	v_add_co_u32 v76, vcc_lo, s4, v76
	v_add_co_ci_u32_e32 v77, vcc_lo, s5, v77, vcc_lo
	global_store_b32 v[78:79], v74, off
	global_store_b32 v[76:77], v75, off
.LBB537_80:
	s_or_b32 exec_lo, exec_lo, s3
	s_waitcnt lgkmcnt(0)
	s_waitcnt_vscnt null, 0x0
	s_barrier
	buffer_gl0_inv
	ds_load_b128 v[91:94], v85
	ds_load_b128 v[95:98], v85 offset:16
	ds_load_b128 v[103:106], v85 offset:1040
	;; [unrolled: 1-line block ×3, first 2 shown]
	v_mov_b32_e32 v73, 0
	ds_load_b128 v[111:114], v85 offset:2064
	ds_load_b128 v[107:110], v85 offset:2048
	;; [unrolled: 1-line block ×6, first 2 shown]
	v_mov_b32_e32 v74, v73
	v_mov_b32_e32 v75, v73
	;; [unrolled: 1-line block ×7, first 2 shown]
	s_waitcnt lgkmcnt(8)
	s_delay_alu instid0(VALU_DEP_1)
	v_wmma_f32_16x16x16_bf16 v[73:80], v[65:72], v[91:98], v[73:80]
	ds_load_b128 v[69:72], v85 offset:5136
	ds_load_b128 v[65:68], v85 offset:5120
	;; [unrolled: 1-line block ×4, first 2 shown]
	s_waitcnt lgkmcnt(10)
	v_wmma_f32_16x16x16_bf16 v[73:80], v[57:64], v[99:106], v[73:80]
	s_waitcnt lgkmcnt(8)
	s_delay_alu instid0(VALU_DEP_1)
	v_wmma_f32_16x16x16_bf16 v[73:80], v[57:64], v[107:114], v[73:80]
	ds_load_b128 v[61:64], v85 offset:7184
	ds_load_b128 v[57:60], v85 offset:7168
	;; [unrolled: 1-line block ×4, first 2 shown]
	s_waitcnt lgkmcnt(10)
	v_wmma_f32_16x16x16_bf16 v[73:80], v[49:56], v[115:122], v[73:80]
	s_waitcnt lgkmcnt(8)
	s_delay_alu instid0(VALU_DEP_1)
	v_wmma_f32_16x16x16_bf16 v[73:80], v[49:56], v[123:130], v[73:80]
	ds_load_b128 v[53:56], v85 offset:9232
	ds_load_b128 v[49:52], v85 offset:9216
	s_waitcnt lgkmcnt(8)
	v_wmma_f32_16x16x16_bf16 v[73:80], v[41:48], v[65:72], v[73:80]
	ds_load_b128 v[69:72], v85 offset:10256
	ds_load_b128 v[65:68], v85 offset:10240
	s_waitcnt lgkmcnt(8)
	;; [unrolled: 4-line block ×3, first 2 shown]
	v_wmma_f32_16x16x16_bf16 v[73:80], v[9:16], v[57:64], v[73:80]
	s_waitcnt lgkmcnt(6)
	s_delay_alu instid0(VALU_DEP_1)
	v_wmma_f32_16x16x16_bf16 v[73:80], v[9:16], v[99:106], v[73:80]
	ds_load_b128 v[13:16], v85 offset:12304
	ds_load_b128 v[9:12], v85 offset:12288
	s_waitcnt lgkmcnt(6)
	v_wmma_f32_16x16x16_bf16 v[73:80], v[1:8], v[49:56], v[73:80]
	ds_load_b128 v[53:56], v85 offset:13328
	ds_load_b128 v[49:52], v85 offset:13312
	s_waitcnt lgkmcnt(6)
	;; [unrolled: 4-line block ×4, first 2 shown]
	v_wmma_f32_16x16x16_bf16 v[73:80], v[33:40], v[9:16], v[73:80]
	s_waitcnt lgkmcnt(4)
	s_delay_alu instid0(VALU_DEP_1) | instskip(SKIP_1) | instid1(VALU_DEP_1)
	v_wmma_f32_16x16x16_bf16 v[73:80], v[25:32], v[49:56], v[73:80]
	s_waitcnt lgkmcnt(2)
	v_wmma_f32_16x16x16_bf16 v[73:80], v[25:32], v[1:8], v[73:80]
	s_waitcnt lgkmcnt(0)
	s_delay_alu instid0(VALU_DEP_1) | instskip(NEXT) | instid1(VALU_DEP_1)
	v_wmma_f32_16x16x16_bf16 v[73:80], v[17:24], v[41:48], v[73:80]
	v_and_b32_e32 v1, 0x7f800000, v73
	s_delay_alu instid0(VALU_DEP_1) | instskip(SKIP_1) | instid1(SALU_CYCLE_1)
	v_cmp_ne_u32_e32 vcc_lo, 0x7f800000, v1
                                        ; implicit-def: $vgpr1
	s_and_saveexec_b32 s3, vcc_lo
	s_xor_b32 s3, exec_lo, s3
; %bb.81:
	v_bfe_u32 v1, v73, 16, 1
	s_delay_alu instid0(VALU_DEP_1)
	v_add3_u32 v1, v73, v1, 0x7fff
; %bb.82:
	s_and_not1_saveexec_b32 s3, s3
; %bb.83:
	v_and_b32_e32 v1, 0xffff, v73
	v_or_b32_e32 v2, 0x10000, v73
	s_delay_alu instid0(VALU_DEP_2) | instskip(NEXT) | instid1(VALU_DEP_2)
	v_cmp_eq_u32_e32 vcc_lo, 0, v1
	v_cndmask_b32_e32 v1, v2, v73, vcc_lo
; %bb.84:
	s_or_b32 exec_lo, exec_lo, s3
	v_and_b32_e32 v2, 0x7f800000, v74
	s_delay_alu instid0(VALU_DEP_1) | instskip(SKIP_1) | instid1(SALU_CYCLE_1)
	v_cmp_ne_u32_e32 vcc_lo, 0x7f800000, v2
                                        ; implicit-def: $vgpr2
	s_and_saveexec_b32 s3, vcc_lo
	s_xor_b32 s3, exec_lo, s3
; %bb.85:
	v_bfe_u32 v2, v74, 16, 1
	s_delay_alu instid0(VALU_DEP_1)
	v_add3_u32 v2, v74, v2, 0x7fff
; %bb.86:
	s_and_not1_saveexec_b32 s3, s3
; %bb.87:
	v_and_b32_e32 v2, 0xffff, v74
	v_or_b32_e32 v3, 0x10000, v74
	s_delay_alu instid0(VALU_DEP_2) | instskip(NEXT) | instid1(VALU_DEP_2)
	v_cmp_eq_u32_e32 vcc_lo, 0, v2
	v_cndmask_b32_e32 v2, v3, v74, vcc_lo
; %bb.88:
	s_or_b32 exec_lo, exec_lo, s3
	v_and_b32_e32 v3, 0x7f800000, v75
	s_delay_alu instid0(VALU_DEP_1) | instskip(SKIP_1) | instid1(SALU_CYCLE_1)
	v_cmp_ne_u32_e32 vcc_lo, 0x7f800000, v3
                                        ; implicit-def: $vgpr3
	s_and_saveexec_b32 s3, vcc_lo
	s_xor_b32 s3, exec_lo, s3
; %bb.89:
	v_bfe_u32 v3, v75, 16, 1
	s_delay_alu instid0(VALU_DEP_1)
	v_add3_u32 v3, v75, v3, 0x7fff
; %bb.90:
	s_and_not1_saveexec_b32 s3, s3
; %bb.91:
	v_and_b32_e32 v3, 0xffff, v75
	v_or_b32_e32 v4, 0x10000, v75
	s_delay_alu instid0(VALU_DEP_2) | instskip(NEXT) | instid1(VALU_DEP_2)
	v_cmp_eq_u32_e32 vcc_lo, 0, v3
	v_cndmask_b32_e32 v3, v4, v75, vcc_lo
; %bb.92:
	s_or_b32 exec_lo, exec_lo, s3
	v_and_b32_e32 v4, 0x7f800000, v76
	s_delay_alu instid0(VALU_DEP_1) | instskip(SKIP_1) | instid1(SALU_CYCLE_1)
	v_cmp_ne_u32_e32 vcc_lo, 0x7f800000, v4
                                        ; implicit-def: $vgpr4
	s_and_saveexec_b32 s3, vcc_lo
	s_xor_b32 s3, exec_lo, s3
; %bb.93:
	v_bfe_u32 v4, v76, 16, 1
	s_delay_alu instid0(VALU_DEP_1)
	v_add3_u32 v4, v76, v4, 0x7fff
; %bb.94:
	s_and_not1_saveexec_b32 s3, s3
; %bb.95:
	v_and_b32_e32 v4, 0xffff, v76
	v_or_b32_e32 v5, 0x10000, v76
	s_delay_alu instid0(VALU_DEP_2) | instskip(NEXT) | instid1(VALU_DEP_2)
	v_cmp_eq_u32_e32 vcc_lo, 0, v4
	v_cndmask_b32_e32 v4, v5, v76, vcc_lo
; %bb.96:
	s_or_b32 exec_lo, exec_lo, s3
	v_and_b32_e32 v5, 0x7f800000, v77
	s_delay_alu instid0(VALU_DEP_1) | instskip(SKIP_1) | instid1(SALU_CYCLE_1)
	v_cmp_ne_u32_e32 vcc_lo, 0x7f800000, v5
                                        ; implicit-def: $vgpr5
	s_and_saveexec_b32 s3, vcc_lo
	s_xor_b32 s3, exec_lo, s3
; %bb.97:
	v_bfe_u32 v5, v77, 16, 1
	s_delay_alu instid0(VALU_DEP_1)
	v_add3_u32 v5, v77, v5, 0x7fff
; %bb.98:
	s_and_not1_saveexec_b32 s3, s3
; %bb.99:
	v_and_b32_e32 v5, 0xffff, v77
	v_or_b32_e32 v6, 0x10000, v77
	s_delay_alu instid0(VALU_DEP_2) | instskip(NEXT) | instid1(VALU_DEP_2)
	v_cmp_eq_u32_e32 vcc_lo, 0, v5
	v_cndmask_b32_e32 v5, v6, v77, vcc_lo
; %bb.100:
	s_or_b32 exec_lo, exec_lo, s3
	v_and_b32_e32 v6, 0x7f800000, v78
	s_delay_alu instid0(VALU_DEP_1) | instskip(SKIP_1) | instid1(SALU_CYCLE_1)
	v_cmp_ne_u32_e32 vcc_lo, 0x7f800000, v6
                                        ; implicit-def: $vgpr6
	s_and_saveexec_b32 s3, vcc_lo
	s_xor_b32 s3, exec_lo, s3
; %bb.101:
	v_bfe_u32 v6, v78, 16, 1
	s_delay_alu instid0(VALU_DEP_1)
	v_add3_u32 v6, v78, v6, 0x7fff
; %bb.102:
	s_and_not1_saveexec_b32 s3, s3
; %bb.103:
	v_and_b32_e32 v6, 0xffff, v78
	v_or_b32_e32 v7, 0x10000, v78
	s_delay_alu instid0(VALU_DEP_2) | instskip(NEXT) | instid1(VALU_DEP_2)
	v_cmp_eq_u32_e32 vcc_lo, 0, v6
	v_cndmask_b32_e32 v6, v7, v78, vcc_lo
; %bb.104:
	s_or_b32 exec_lo, exec_lo, s3
	v_and_b32_e32 v7, 0x7f800000, v79
	s_delay_alu instid0(VALU_DEP_1) | instskip(SKIP_1) | instid1(SALU_CYCLE_1)
	v_cmp_ne_u32_e32 vcc_lo, 0x7f800000, v7
                                        ; implicit-def: $vgpr7
	s_and_saveexec_b32 s3, vcc_lo
	s_xor_b32 s3, exec_lo, s3
; %bb.105:
	v_bfe_u32 v7, v79, 16, 1
	s_delay_alu instid0(VALU_DEP_1)
	v_add3_u32 v7, v79, v7, 0x7fff
; %bb.106:
	s_and_not1_saveexec_b32 s3, s3
; %bb.107:
	v_and_b32_e32 v7, 0xffff, v79
	v_or_b32_e32 v8, 0x10000, v79
	s_delay_alu instid0(VALU_DEP_2) | instskip(NEXT) | instid1(VALU_DEP_2)
	v_cmp_eq_u32_e32 vcc_lo, 0, v7
	v_cndmask_b32_e32 v7, v8, v79, vcc_lo
; %bb.108:
	s_or_b32 exec_lo, exec_lo, s3
	v_and_b32_e32 v8, 0x7f800000, v80
	s_delay_alu instid0(VALU_DEP_1) | instskip(SKIP_1) | instid1(SALU_CYCLE_1)
	v_cmp_ne_u32_e32 vcc_lo, 0x7f800000, v8
                                        ; implicit-def: $vgpr8
	s_and_saveexec_b32 s3, vcc_lo
	s_xor_b32 s3, exec_lo, s3
; %bb.109:
	v_bfe_u32 v8, v80, 16, 1
	s_delay_alu instid0(VALU_DEP_1)
	v_add3_u32 v8, v80, v8, 0x7fff
                                        ; implicit-def: $vgpr73_vgpr74_vgpr75_vgpr76_vgpr77_vgpr78_vgpr79_vgpr80
; %bb.110:
	s_and_not1_saveexec_b32 s3, s3
; %bb.111:
	v_and_b32_e32 v8, 0xffff, v80
	v_or_b32_e32 v9, 0x10000, v80
	s_delay_alu instid0(VALU_DEP_2) | instskip(NEXT) | instid1(VALU_DEP_2)
	v_cmp_eq_u32_e32 vcc_lo, 0, v8
	v_cndmask_b32_e32 v8, v9, v80, vcc_lo
; %bb.112:
	s_or_b32 exec_lo, exec_lo, s3
	s_delay_alu instid0(VALU_DEP_1)
	v_perm_b32 v7, v8, v7, 0x7060302
	v_perm_b32 v6, v6, v5, 0x7060302
	;; [unrolled: 1-line block ×4, first 2 shown]
	v_lshl_or_b32 v9, v83, 4, v90
	s_barrier
	buffer_gl0_inv
	v_cmp_eq_u32_e32 vcc_lo, 1, v87
	ds_store_b128 v9, v[4:7]
	s_waitcnt lgkmcnt(0)
	s_barrier
	buffer_gl0_inv
	ds_load_b128 v[1:4], v90
	ds_load_b128 v[5:8], v90 offset:16
	v_cmp_eq_u32_e64 s4, 2, v87
	v_cmp_eq_u32_e64 s3, 1, v88
	;; [unrolled: 1-line block ×5, first 2 shown]
	s_waitcnt lgkmcnt(1)
	v_lshrrev_b32_e32 v10, 16, v1
	s_waitcnt lgkmcnt(0)
	v_lshrrev_b32_e32 v14, 16, v5
	v_lshrrev_b32_e32 v15, 16, v6
	;; [unrolled: 1-line block ×4, first 2 shown]
	v_cndmask_b32_e64 v20, v1, v10, s3
	v_cndmask_b32_e32 v19, v5, v14, vcc_lo
	v_cndmask_b32_e64 v21, v5, v14, s3
	v_lshrrev_b32_e32 v16, 16, v7
	v_cmp_eq_u32_e64 s3, 1, v86
	v_lshrrev_b32_e32 v13, 16, v4
	v_cndmask_b32_e64 v19, v19, v6, s4
	v_lshrrev_b32_e32 v17, 16, v8
	s_delay_alu instid0(VALU_DEP_4) | instskip(SKIP_1) | instid1(VALU_DEP_4)
	v_cndmask_b32_e64 v22, v1, v10, s3
	v_cndmask_b32_e64 v23, v5, v14, s3
	;; [unrolled: 1-line block ×3, first 2 shown]
	v_cndmask_b32_e32 v18, v1, v10, vcc_lo
	v_cmp_eq_u32_e32 vcc_lo, 2, v88
	v_cmp_eq_u32_e64 s3, 2, v89
	v_cndmask_b32_e64 v22, v22, v2, s7
	v_cndmask_b32_e32 v20, v20, v2, vcc_lo
	v_cndmask_b32_e32 v21, v21, v6, vcc_lo
	v_cmp_eq_u32_e32 vcc_lo, 4, v87
	v_cndmask_b32_e32 v19, v19, v7, vcc_lo
	v_cndmask_b32_e64 v18, v18, v2, s4
	v_cmp_eq_u32_e64 s4, 3, v88
	s_delay_alu instid0(VALU_DEP_2) | instskip(NEXT) | instid1(VALU_DEP_2)
	v_cndmask_b32_e64 v18, v18, v11, s5
	v_cndmask_b32_e64 v21, v21, v15, s4
	v_cmp_eq_u32_e64 s5, 5, v87
	s_delay_alu instid0(VALU_DEP_3) | instskip(SKIP_1) | instid1(VALU_DEP_3)
	v_cndmask_b32_e32 v18, v18, v3, vcc_lo
	v_cmp_eq_u32_e32 vcc_lo, 4, v88
	v_cndmask_b32_e64 v19, v19, v16, s5
	s_delay_alu instid0(VALU_DEP_3) | instskip(SKIP_4) | instid1(VALU_DEP_3)
	v_cndmask_b32_e64 v18, v18, v12, s5
	v_cndmask_b32_e32 v21, v21, v7, vcc_lo
	v_cndmask_b32_e64 v20, v20, v11, s4
	v_cmp_eq_u32_e64 s4, 5, v88
	v_cmp_eq_u32_e64 s5, 6, v87
	v_cndmask_b32_e32 v20, v20, v3, vcc_lo
	s_delay_alu instid0(VALU_DEP_3) | instskip(SKIP_1) | instid1(VALU_DEP_4)
	v_cndmask_b32_e64 v21, v21, v16, s4
	v_cmp_eq_u32_e32 vcc_lo, 6, v88
	v_cndmask_b32_e64 v18, v18, v4, s5
	v_cndmask_b32_e64 v19, v19, v8, s5
	;; [unrolled: 1-line block ×3, first 2 shown]
	v_cmp_eq_u32_e64 s4, 1, v89
	v_cmp_eq_u32_e64 s5, 7, v87
	s_delay_alu instid0(VALU_DEP_3) | instskip(NEXT) | instid1(VALU_DEP_3)
	v_cndmask_b32_e32 v20, v20, v4, vcc_lo
	v_cndmask_b32_e64 v1, v1, v10, s4
	v_cndmask_b32_e64 v5, v5, v14, s4
	v_cmp_eq_u32_e64 s4, 3, v86
	v_cndmask_b32_e64 v14, v23, v6, s7
	v_cmp_eq_u32_e64 s7, 3, v89
	v_cndmask_b32_e64 v1, v1, v2, s3
	v_cndmask_b32_e64 v2, v5, v6, s3
	;; [unrolled: 1-line block ×3, first 2 shown]
	v_cmp_eq_u32_e64 s3, 4, v86
	v_cndmask_b32_e64 v6, v14, v15, s4
	v_cndmask_b32_e64 v1, v1, v11, s7
	v_cmp_eq_u32_e64 s4, 4, v89
	v_cndmask_b32_e64 v2, v2, v15, s7
	v_cndmask_b32_e64 v5, v10, v3, s3
	;; [unrolled: 3-line block ×3, first 2 shown]
	v_cndmask_b32_e64 v2, v2, v7, s4
	v_cmp_eq_u32_e64 s3, 5, v89
	v_cndmask_b32_e64 v5, v5, v12, s7
	v_cmp_eq_u32_e64 s4, 6, v86
	;; [unrolled: 2-line block ×3, first 2 shown]
	v_cndmask_b32_e64 v1, v1, v12, s3
	v_cndmask_b32_e64 v2, v2, v16, s3
	;; [unrolled: 1-line block ×4, first 2 shown]
	v_cmp_eq_u32_e64 s3, 7, v89
	v_cndmask_b32_e64 v1, v1, v4, s7
	v_cndmask_b32_e64 v2, v2, v8, s7
	v_cmp_eq_u32_e64 s4, 7, v86
	v_cndmask_b32_e32 v4, v21, v8, vcc_lo
	v_cndmask_b32_e64 v18, v18, v13, s5
	v_cndmask_b32_e64 v20, v20, v13, s6
	;; [unrolled: 1-line block ×8, first 2 shown]
	v_cmp_gt_u32_e32 vcc_lo, 32, v0
	v_perm_b32 v4, v2, v1, 0x5040100
	v_perm_b32 v3, v3, v5, 0x5040100
	;; [unrolled: 1-line block ×4, first 2 shown]
	s_and_b32 s2, vcc_lo, s2
	ds_store_b128 v9, v[1:4]
	s_waitcnt lgkmcnt(0)
	s_barrier
	buffer_gl0_inv
	s_and_saveexec_b32 s3, s2
	s_cbranch_execz .LBB537_2
; %bb.113:
	s_load_b64 s[0:1], s[0:1], 0x68
	v_lshlrev_b32_e32 v0, 10, v0
	v_or_b32_e32 v1, s31, v83
	s_lshl_b32 s4, s34, 6
	v_lshlrev_b32_e32 v2, 4, v84
	s_mul_i32 s2, s4, s30
	v_lshlrev_b32_e32 v3, 6, v83
	v_mul_lo_u32 v8, v1, s4
	v_and_b32_e32 v0, 0x3800, v0
	v_or_b32_e32 v1, 2, v1
	s_mul_i32 s2, s2, s8
	s_delay_alu instid0(SALU_CYCLE_1) | instskip(NEXT) | instid1(VALU_DEP_2)
	s_ashr_i32 s3, s2, 31
	v_or3_b32 v4, v0, v2, v3
	s_lshl_b64 s[2:3], s[2:3], 1
	v_mul_lo_u32 v10, v1, s4
	v_ashrrev_i32_e32 v9, 31, v8
	ds_load_b128 v[0:3], v4
	ds_load_b128 v[4:7], v4 offset:128
	s_waitcnt lgkmcnt(0)
	s_add_u32 s2, s0, s2
	s_addc_u32 s3, s1, s3
	s_lshl_b32 s0, s14, 6
	v_ashrrev_i32_e32 v11, 31, v10
	s_ashr_i32 s1, s0, 31
	v_lshlrev_b64 v[8:9], 1, v[8:9]
	s_lshl_b64 s[0:1], s[0:1], 1
	s_delay_alu instid0(SALU_CYCLE_1) | instskip(SKIP_4) | instid1(VALU_DEP_3)
	s_add_u32 s0, s2, s0
	s_addc_u32 s1, s3, s1
	v_add_co_u32 v12, vcc_lo, s0, v81
	v_add_co_ci_u32_e32 v13, vcc_lo, s1, v82, vcc_lo
	v_lshlrev_b64 v[10:11], 1, v[10:11]
	v_add_co_u32 v8, vcc_lo, v12, v8
	s_delay_alu instid0(VALU_DEP_3) | instskip(NEXT) | instid1(VALU_DEP_3)
	v_add_co_ci_u32_e32 v9, vcc_lo, v13, v9, vcc_lo
	v_add_co_u32 v10, vcc_lo, v12, v10
	s_delay_alu instid0(VALU_DEP_4)
	v_add_co_ci_u32_e32 v11, vcc_lo, v13, v11, vcc_lo
	s_clause 0x1
	global_store_b128 v[8:9], v[0:3], off
	global_store_b128 v[10:11], v[4:7], off
	s_nop 0
	s_sendmsg sendmsg(MSG_DEALLOC_VGPRS)
	s_endpgm
	.section	.rodata,"a",@progbits
	.p2align	6, 0x0
	.amdhsa_kernel _Z39paged_attention_ll4mi_QKV_mfma16_kernelI14__hip_bfloat16S0_LN4vllm18Fp8KVCacheDataTypeE0EhLi32ELi64ELi256ELb0ELi4EL8MFMAType0EEvPKT_PKT0_S9_ifPKiSB_SB_iPKfiiiPfSE_PS4_PT2_iSD_SD_
		.amdhsa_group_segment_fixed_size 17472
		.amdhsa_private_segment_fixed_size 0
		.amdhsa_kernarg_size 400
		.amdhsa_user_sgpr_count 13
		.amdhsa_user_sgpr_dispatch_ptr 0
		.amdhsa_user_sgpr_queue_ptr 0
		.amdhsa_user_sgpr_kernarg_segment_ptr 1
		.amdhsa_user_sgpr_dispatch_id 0
		.amdhsa_user_sgpr_private_segment_size 0
		.amdhsa_wavefront_size32 1
		.amdhsa_uses_dynamic_stack 0
		.amdhsa_enable_private_segment 0
		.amdhsa_system_sgpr_workgroup_id_x 1
		.amdhsa_system_sgpr_workgroup_id_y 1
		.amdhsa_system_sgpr_workgroup_id_z 1
		.amdhsa_system_sgpr_workgroup_info 0
		.amdhsa_system_vgpr_workitem_id 0
		.amdhsa_next_free_vgpr 142
		.amdhsa_next_free_sgpr 38
		.amdhsa_reserve_vcc 1
		.amdhsa_float_round_mode_32 0
		.amdhsa_float_round_mode_16_64 0
		.amdhsa_float_denorm_mode_32 3
		.amdhsa_float_denorm_mode_16_64 3
		.amdhsa_dx10_clamp 1
		.amdhsa_ieee_mode 1
		.amdhsa_fp16_overflow 0
		.amdhsa_workgroup_processor_mode 1
		.amdhsa_memory_ordered 1
		.amdhsa_forward_progress 0
		.amdhsa_shared_vgpr_count 0
		.amdhsa_exception_fp_ieee_invalid_op 0
		.amdhsa_exception_fp_denorm_src 0
		.amdhsa_exception_fp_ieee_div_zero 0
		.amdhsa_exception_fp_ieee_overflow 0
		.amdhsa_exception_fp_ieee_underflow 0
		.amdhsa_exception_fp_ieee_inexact 0
		.amdhsa_exception_int_div_zero 0
	.end_amdhsa_kernel
	.section	.text._Z39paged_attention_ll4mi_QKV_mfma16_kernelI14__hip_bfloat16S0_LN4vllm18Fp8KVCacheDataTypeE0EhLi32ELi64ELi256ELb0ELi4EL8MFMAType0EEvPKT_PKT0_S9_ifPKiSB_SB_iPKfiiiPfSE_PS4_PT2_iSD_SD_,"axG",@progbits,_Z39paged_attention_ll4mi_QKV_mfma16_kernelI14__hip_bfloat16S0_LN4vllm18Fp8KVCacheDataTypeE0EhLi32ELi64ELi256ELb0ELi4EL8MFMAType0EEvPKT_PKT0_S9_ifPKiSB_SB_iPKfiiiPfSE_PS4_PT2_iSD_SD_,comdat
.Lfunc_end537:
	.size	_Z39paged_attention_ll4mi_QKV_mfma16_kernelI14__hip_bfloat16S0_LN4vllm18Fp8KVCacheDataTypeE0EhLi32ELi64ELi256ELb0ELi4EL8MFMAType0EEvPKT_PKT0_S9_ifPKiSB_SB_iPKfiiiPfSE_PS4_PT2_iSD_SD_, .Lfunc_end537-_Z39paged_attention_ll4mi_QKV_mfma16_kernelI14__hip_bfloat16S0_LN4vllm18Fp8KVCacheDataTypeE0EhLi32ELi64ELi256ELb0ELi4EL8MFMAType0EEvPKT_PKT0_S9_ifPKiSB_SB_iPKfiiiPfSE_PS4_PT2_iSD_SD_
                                        ; -- End function
	.section	.AMDGPU.csdata,"",@progbits
; Kernel info:
; codeLenInByte = 9332
; NumSgprs: 40
; NumVgprs: 142
; ScratchSize: 0
; MemoryBound: 0
; FloatMode: 240
; IeeeMode: 1
; LDSByteSize: 17472 bytes/workgroup (compile time only)
; SGPRBlocks: 4
; VGPRBlocks: 17
; NumSGPRsForWavesPerEU: 40
; NumVGPRsForWavesPerEU: 142
; Occupancy: 10
; WaveLimiterHint : 1
; COMPUTE_PGM_RSRC2:SCRATCH_EN: 0
; COMPUTE_PGM_RSRC2:USER_SGPR: 13
; COMPUTE_PGM_RSRC2:TRAP_HANDLER: 0
; COMPUTE_PGM_RSRC2:TGID_X_EN: 1
; COMPUTE_PGM_RSRC2:TGID_Y_EN: 1
; COMPUTE_PGM_RSRC2:TGID_Z_EN: 1
; COMPUTE_PGM_RSRC2:TIDIG_COMP_CNT: 0
	.section	.text._Z38paged_attention_ll4mi_QKV_mfma4_kernelI14__hip_bfloat16S0_LN4vllm18Fp8KVCacheDataTypeE0ES0_Li32ELi64ELi256ELb1ELi1EEvPKT_PKT0_S8_ifPKiSA_SA_iPKfiiiPfSD_PS3_PT2_iSC_SC_,"axG",@progbits,_Z38paged_attention_ll4mi_QKV_mfma4_kernelI14__hip_bfloat16S0_LN4vllm18Fp8KVCacheDataTypeE0ES0_Li32ELi64ELi256ELb1ELi1EEvPKT_PKT0_S8_ifPKiSA_SA_iPKfiiiPfSD_PS3_PT2_iSC_SC_,comdat
	.protected	_Z38paged_attention_ll4mi_QKV_mfma4_kernelI14__hip_bfloat16S0_LN4vllm18Fp8KVCacheDataTypeE0ES0_Li32ELi64ELi256ELb1ELi1EEvPKT_PKT0_S8_ifPKiSA_SA_iPKfiiiPfSD_PS3_PT2_iSC_SC_ ; -- Begin function _Z38paged_attention_ll4mi_QKV_mfma4_kernelI14__hip_bfloat16S0_LN4vllm18Fp8KVCacheDataTypeE0ES0_Li32ELi64ELi256ELb1ELi1EEvPKT_PKT0_S8_ifPKiSA_SA_iPKfiiiPfSD_PS3_PT2_iSC_SC_
	.globl	_Z38paged_attention_ll4mi_QKV_mfma4_kernelI14__hip_bfloat16S0_LN4vllm18Fp8KVCacheDataTypeE0ES0_Li32ELi64ELi256ELb1ELi1EEvPKT_PKT0_S8_ifPKiSA_SA_iPKfiiiPfSD_PS3_PT2_iSC_SC_
	.p2align	8
	.type	_Z38paged_attention_ll4mi_QKV_mfma4_kernelI14__hip_bfloat16S0_LN4vllm18Fp8KVCacheDataTypeE0ES0_Li32ELi64ELi256ELb1ELi1EEvPKT_PKT0_S8_ifPKiSA_SA_iPKfiiiPfSD_PS3_PT2_iSC_SC_,@function
_Z38paged_attention_ll4mi_QKV_mfma4_kernelI14__hip_bfloat16S0_LN4vllm18Fp8KVCacheDataTypeE0ES0_Li32ELi64ELi256ELb1ELi1EEvPKT_PKT0_S8_ifPKiSA_SA_iPKfiiiPfSD_PS3_PT2_iSC_SC_: ; @_Z38paged_attention_ll4mi_QKV_mfma4_kernelI14__hip_bfloat16S0_LN4vllm18Fp8KVCacheDataTypeE0ES0_Li32ELi64ELi256ELb1ELi1EEvPKT_PKT0_S8_ifPKiSA_SA_iPKfiiiPfSD_PS3_PT2_iSC_SC_
; %bb.0:
	s_add_u32 s8, s0, 0x90
	s_addc_u32 s9, s1, 0
	s_getpc_b64 s[0:1]
	s_add_u32 s0, s0, __PRETTY_FUNCTION__._Z38paged_attention_ll4mi_QKV_mfma4_kernelI14__hip_bfloat16S0_LN4vllm18Fp8KVCacheDataTypeE0ES0_Li32ELi64ELi256ELb1ELi1EEvPKT_PKT0_S8_ifPKiSA_SA_iPKfiiiPfSD_PS3_PT2_iSC_SC_@rel32@lo+4
	s_addc_u32 s1, s1, __PRETTY_FUNCTION__._Z38paged_attention_ll4mi_QKV_mfma4_kernelI14__hip_bfloat16S0_LN4vllm18Fp8KVCacheDataTypeE0ES0_Li32ELi64ELi256ELb1ELi1EEvPKT_PKT0_S8_ifPKiSA_SA_iPKfiiiPfSD_PS3_PT2_iSC_SC_@rel32@hi+12
	s_delay_alu instid0(SALU_CYCLE_1) | instskip(SKIP_4) | instid1(SALU_CYCLE_1)
	v_dual_mov_b32 v0, s0 :: v_dual_mov_b32 v1, s1
	s_mov_b32 s32, 0
	s_getpc_b64 s[2:3]
	s_add_u32 s2, s2, __assert_fail@rel32@lo+4
	s_addc_u32 s3, s3, __assert_fail@rel32@hi+12
	s_swappc_b64 s[30:31], s[2:3]
	.section	.rodata,"a",@progbits
	.p2align	6, 0x0
	.amdhsa_kernel _Z38paged_attention_ll4mi_QKV_mfma4_kernelI14__hip_bfloat16S0_LN4vllm18Fp8KVCacheDataTypeE0ES0_Li32ELi64ELi256ELb1ELi1EEvPKT_PKT0_S8_ifPKiSA_SA_iPKfiiiPfSD_PS3_PT2_iSC_SC_
		.amdhsa_group_segment_fixed_size 0
		.amdhsa_private_segment_fixed_size 64
		.amdhsa_kernarg_size 400
		.amdhsa_user_sgpr_count 15
		.amdhsa_user_sgpr_dispatch_ptr 0
		.amdhsa_user_sgpr_queue_ptr 0
		.amdhsa_user_sgpr_kernarg_segment_ptr 1
		.amdhsa_user_sgpr_dispatch_id 0
		.amdhsa_user_sgpr_private_segment_size 0
		.amdhsa_wavefront_size32 1
		.amdhsa_uses_dynamic_stack 0
		.amdhsa_enable_private_segment 1
		.amdhsa_system_sgpr_workgroup_id_x 1
		.amdhsa_system_sgpr_workgroup_id_y 0
		.amdhsa_system_sgpr_workgroup_id_z 0
		.amdhsa_system_sgpr_workgroup_info 0
		.amdhsa_system_vgpr_workitem_id 0
		.amdhsa_next_free_vgpr 41
		.amdhsa_next_free_sgpr 34
		.amdhsa_reserve_vcc 1
		.amdhsa_float_round_mode_32 0
		.amdhsa_float_round_mode_16_64 0
		.amdhsa_float_denorm_mode_32 3
		.amdhsa_float_denorm_mode_16_64 3
		.amdhsa_dx10_clamp 1
		.amdhsa_ieee_mode 1
		.amdhsa_fp16_overflow 0
		.amdhsa_workgroup_processor_mode 1
		.amdhsa_memory_ordered 1
		.amdhsa_forward_progress 0
		.amdhsa_shared_vgpr_count 0
		.amdhsa_exception_fp_ieee_invalid_op 0
		.amdhsa_exception_fp_denorm_src 0
		.amdhsa_exception_fp_ieee_div_zero 0
		.amdhsa_exception_fp_ieee_overflow 0
		.amdhsa_exception_fp_ieee_underflow 0
		.amdhsa_exception_fp_ieee_inexact 0
		.amdhsa_exception_int_div_zero 0
	.end_amdhsa_kernel
	.section	.text._Z38paged_attention_ll4mi_QKV_mfma4_kernelI14__hip_bfloat16S0_LN4vllm18Fp8KVCacheDataTypeE0ES0_Li32ELi64ELi256ELb1ELi1EEvPKT_PKT0_S8_ifPKiSA_SA_iPKfiiiPfSD_PS3_PT2_iSC_SC_,"axG",@progbits,_Z38paged_attention_ll4mi_QKV_mfma4_kernelI14__hip_bfloat16S0_LN4vllm18Fp8KVCacheDataTypeE0ES0_Li32ELi64ELi256ELb1ELi1EEvPKT_PKT0_S8_ifPKiSA_SA_iPKfiiiPfSD_PS3_PT2_iSC_SC_,comdat
.Lfunc_end538:
	.size	_Z38paged_attention_ll4mi_QKV_mfma4_kernelI14__hip_bfloat16S0_LN4vllm18Fp8KVCacheDataTypeE0ES0_Li32ELi64ELi256ELb1ELi1EEvPKT_PKT0_S8_ifPKiSA_SA_iPKfiiiPfSD_PS3_PT2_iSC_SC_, .Lfunc_end538-_Z38paged_attention_ll4mi_QKV_mfma4_kernelI14__hip_bfloat16S0_LN4vllm18Fp8KVCacheDataTypeE0ES0_Li32ELi64ELi256ELb1ELi1EEvPKT_PKT0_S8_ifPKiSA_SA_iPKfiiiPfSD_PS3_PT2_iSC_SC_
                                        ; -- End function
	.section	.AMDGPU.csdata,"",@progbits
; Kernel info:
; codeLenInByte = 72
; NumSgprs: 36
; NumVgprs: 41
; ScratchSize: 64
; MemoryBound: 0
; FloatMode: 240
; IeeeMode: 1
; LDSByteSize: 0 bytes/workgroup (compile time only)
; SGPRBlocks: 4
; VGPRBlocks: 5
; NumSGPRsForWavesPerEU: 36
; NumVGPRsForWavesPerEU: 41
; Occupancy: 16
; WaveLimiterHint : 1
; COMPUTE_PGM_RSRC2:SCRATCH_EN: 1
; COMPUTE_PGM_RSRC2:USER_SGPR: 15
; COMPUTE_PGM_RSRC2:TRAP_HANDLER: 0
; COMPUTE_PGM_RSRC2:TGID_X_EN: 1
; COMPUTE_PGM_RSRC2:TGID_Y_EN: 0
; COMPUTE_PGM_RSRC2:TGID_Z_EN: 0
; COMPUTE_PGM_RSRC2:TIDIG_COMP_CNT: 0
	.section	.text._Z38paged_attention_ll4mi_QKV_mfma4_kernelI14__hip_bfloat16S0_LN4vllm18Fp8KVCacheDataTypeE0ES0_Li32ELi64ELi256ELb1ELi2EEvPKT_PKT0_S8_ifPKiSA_SA_iPKfiiiPfSD_PS3_PT2_iSC_SC_,"axG",@progbits,_Z38paged_attention_ll4mi_QKV_mfma4_kernelI14__hip_bfloat16S0_LN4vllm18Fp8KVCacheDataTypeE0ES0_Li32ELi64ELi256ELb1ELi2EEvPKT_PKT0_S8_ifPKiSA_SA_iPKfiiiPfSD_PS3_PT2_iSC_SC_,comdat
	.protected	_Z38paged_attention_ll4mi_QKV_mfma4_kernelI14__hip_bfloat16S0_LN4vllm18Fp8KVCacheDataTypeE0ES0_Li32ELi64ELi256ELb1ELi2EEvPKT_PKT0_S8_ifPKiSA_SA_iPKfiiiPfSD_PS3_PT2_iSC_SC_ ; -- Begin function _Z38paged_attention_ll4mi_QKV_mfma4_kernelI14__hip_bfloat16S0_LN4vllm18Fp8KVCacheDataTypeE0ES0_Li32ELi64ELi256ELb1ELi2EEvPKT_PKT0_S8_ifPKiSA_SA_iPKfiiiPfSD_PS3_PT2_iSC_SC_
	.globl	_Z38paged_attention_ll4mi_QKV_mfma4_kernelI14__hip_bfloat16S0_LN4vllm18Fp8KVCacheDataTypeE0ES0_Li32ELi64ELi256ELb1ELi2EEvPKT_PKT0_S8_ifPKiSA_SA_iPKfiiiPfSD_PS3_PT2_iSC_SC_
	.p2align	8
	.type	_Z38paged_attention_ll4mi_QKV_mfma4_kernelI14__hip_bfloat16S0_LN4vllm18Fp8KVCacheDataTypeE0ES0_Li32ELi64ELi256ELb1ELi2EEvPKT_PKT0_S8_ifPKiSA_SA_iPKfiiiPfSD_PS3_PT2_iSC_SC_,@function
_Z38paged_attention_ll4mi_QKV_mfma4_kernelI14__hip_bfloat16S0_LN4vllm18Fp8KVCacheDataTypeE0ES0_Li32ELi64ELi256ELb1ELi2EEvPKT_PKT0_S8_ifPKiSA_SA_iPKfiiiPfSD_PS3_PT2_iSC_SC_: ; @_Z38paged_attention_ll4mi_QKV_mfma4_kernelI14__hip_bfloat16S0_LN4vllm18Fp8KVCacheDataTypeE0ES0_Li32ELi64ELi256ELb1ELi2EEvPKT_PKT0_S8_ifPKiSA_SA_iPKfiiiPfSD_PS3_PT2_iSC_SC_
; %bb.0:
	s_add_u32 s8, s0, 0x90
	s_addc_u32 s9, s1, 0
	s_getpc_b64 s[0:1]
	s_add_u32 s0, s0, __PRETTY_FUNCTION__._Z38paged_attention_ll4mi_QKV_mfma4_kernelI14__hip_bfloat16S0_LN4vllm18Fp8KVCacheDataTypeE0ES0_Li32ELi64ELi256ELb1ELi2EEvPKT_PKT0_S8_ifPKiSA_SA_iPKfiiiPfSD_PS3_PT2_iSC_SC_@rel32@lo+4
	s_addc_u32 s1, s1, __PRETTY_FUNCTION__._Z38paged_attention_ll4mi_QKV_mfma4_kernelI14__hip_bfloat16S0_LN4vllm18Fp8KVCacheDataTypeE0ES0_Li32ELi64ELi256ELb1ELi2EEvPKT_PKT0_S8_ifPKiSA_SA_iPKfiiiPfSD_PS3_PT2_iSC_SC_@rel32@hi+12
	s_delay_alu instid0(SALU_CYCLE_1) | instskip(SKIP_4) | instid1(SALU_CYCLE_1)
	v_dual_mov_b32 v0, s0 :: v_dual_mov_b32 v1, s1
	s_mov_b32 s32, 0
	s_getpc_b64 s[2:3]
	s_add_u32 s2, s2, __assert_fail@rel32@lo+4
	s_addc_u32 s3, s3, __assert_fail@rel32@hi+12
	s_swappc_b64 s[30:31], s[2:3]
	.section	.rodata,"a",@progbits
	.p2align	6, 0x0
	.amdhsa_kernel _Z38paged_attention_ll4mi_QKV_mfma4_kernelI14__hip_bfloat16S0_LN4vllm18Fp8KVCacheDataTypeE0ES0_Li32ELi64ELi256ELb1ELi2EEvPKT_PKT0_S8_ifPKiSA_SA_iPKfiiiPfSD_PS3_PT2_iSC_SC_
		.amdhsa_group_segment_fixed_size 0
		.amdhsa_private_segment_fixed_size 64
		.amdhsa_kernarg_size 400
		.amdhsa_user_sgpr_count 15
		.amdhsa_user_sgpr_dispatch_ptr 0
		.amdhsa_user_sgpr_queue_ptr 0
		.amdhsa_user_sgpr_kernarg_segment_ptr 1
		.amdhsa_user_sgpr_dispatch_id 0
		.amdhsa_user_sgpr_private_segment_size 0
		.amdhsa_wavefront_size32 1
		.amdhsa_uses_dynamic_stack 0
		.amdhsa_enable_private_segment 1
		.amdhsa_system_sgpr_workgroup_id_x 1
		.amdhsa_system_sgpr_workgroup_id_y 0
		.amdhsa_system_sgpr_workgroup_id_z 0
		.amdhsa_system_sgpr_workgroup_info 0
		.amdhsa_system_vgpr_workitem_id 0
		.amdhsa_next_free_vgpr 41
		.amdhsa_next_free_sgpr 34
		.amdhsa_reserve_vcc 1
		.amdhsa_float_round_mode_32 0
		.amdhsa_float_round_mode_16_64 0
		.amdhsa_float_denorm_mode_32 3
		.amdhsa_float_denorm_mode_16_64 3
		.amdhsa_dx10_clamp 1
		.amdhsa_ieee_mode 1
		.amdhsa_fp16_overflow 0
		.amdhsa_workgroup_processor_mode 1
		.amdhsa_memory_ordered 1
		.amdhsa_forward_progress 0
		.amdhsa_shared_vgpr_count 0
		.amdhsa_exception_fp_ieee_invalid_op 0
		.amdhsa_exception_fp_denorm_src 0
		.amdhsa_exception_fp_ieee_div_zero 0
		.amdhsa_exception_fp_ieee_overflow 0
		.amdhsa_exception_fp_ieee_underflow 0
		.amdhsa_exception_fp_ieee_inexact 0
		.amdhsa_exception_int_div_zero 0
	.end_amdhsa_kernel
	.section	.text._Z38paged_attention_ll4mi_QKV_mfma4_kernelI14__hip_bfloat16S0_LN4vllm18Fp8KVCacheDataTypeE0ES0_Li32ELi64ELi256ELb1ELi2EEvPKT_PKT0_S8_ifPKiSA_SA_iPKfiiiPfSD_PS3_PT2_iSC_SC_,"axG",@progbits,_Z38paged_attention_ll4mi_QKV_mfma4_kernelI14__hip_bfloat16S0_LN4vllm18Fp8KVCacheDataTypeE0ES0_Li32ELi64ELi256ELb1ELi2EEvPKT_PKT0_S8_ifPKiSA_SA_iPKfiiiPfSD_PS3_PT2_iSC_SC_,comdat
.Lfunc_end539:
	.size	_Z38paged_attention_ll4mi_QKV_mfma4_kernelI14__hip_bfloat16S0_LN4vllm18Fp8KVCacheDataTypeE0ES0_Li32ELi64ELi256ELb1ELi2EEvPKT_PKT0_S8_ifPKiSA_SA_iPKfiiiPfSD_PS3_PT2_iSC_SC_, .Lfunc_end539-_Z38paged_attention_ll4mi_QKV_mfma4_kernelI14__hip_bfloat16S0_LN4vllm18Fp8KVCacheDataTypeE0ES0_Li32ELi64ELi256ELb1ELi2EEvPKT_PKT0_S8_ifPKiSA_SA_iPKfiiiPfSD_PS3_PT2_iSC_SC_
                                        ; -- End function
	.section	.AMDGPU.csdata,"",@progbits
; Kernel info:
; codeLenInByte = 72
; NumSgprs: 36
; NumVgprs: 41
; ScratchSize: 64
; MemoryBound: 0
; FloatMode: 240
; IeeeMode: 1
; LDSByteSize: 0 bytes/workgroup (compile time only)
; SGPRBlocks: 4
; VGPRBlocks: 5
; NumSGPRsForWavesPerEU: 36
; NumVGPRsForWavesPerEU: 41
; Occupancy: 16
; WaveLimiterHint : 1
; COMPUTE_PGM_RSRC2:SCRATCH_EN: 1
; COMPUTE_PGM_RSRC2:USER_SGPR: 15
; COMPUTE_PGM_RSRC2:TRAP_HANDLER: 0
; COMPUTE_PGM_RSRC2:TGID_X_EN: 1
; COMPUTE_PGM_RSRC2:TGID_Y_EN: 0
; COMPUTE_PGM_RSRC2:TGID_Z_EN: 0
; COMPUTE_PGM_RSRC2:TIDIG_COMP_CNT: 0
	.section	.text._Z38paged_attention_ll4mi_QKV_mfma4_kernelI14__hip_bfloat16S0_LN4vllm18Fp8KVCacheDataTypeE0ES0_Li32ELi64ELi256ELb1ELi3EEvPKT_PKT0_S8_ifPKiSA_SA_iPKfiiiPfSD_PS3_PT2_iSC_SC_,"axG",@progbits,_Z38paged_attention_ll4mi_QKV_mfma4_kernelI14__hip_bfloat16S0_LN4vllm18Fp8KVCacheDataTypeE0ES0_Li32ELi64ELi256ELb1ELi3EEvPKT_PKT0_S8_ifPKiSA_SA_iPKfiiiPfSD_PS3_PT2_iSC_SC_,comdat
	.protected	_Z38paged_attention_ll4mi_QKV_mfma4_kernelI14__hip_bfloat16S0_LN4vllm18Fp8KVCacheDataTypeE0ES0_Li32ELi64ELi256ELb1ELi3EEvPKT_PKT0_S8_ifPKiSA_SA_iPKfiiiPfSD_PS3_PT2_iSC_SC_ ; -- Begin function _Z38paged_attention_ll4mi_QKV_mfma4_kernelI14__hip_bfloat16S0_LN4vllm18Fp8KVCacheDataTypeE0ES0_Li32ELi64ELi256ELb1ELi3EEvPKT_PKT0_S8_ifPKiSA_SA_iPKfiiiPfSD_PS3_PT2_iSC_SC_
	.globl	_Z38paged_attention_ll4mi_QKV_mfma4_kernelI14__hip_bfloat16S0_LN4vllm18Fp8KVCacheDataTypeE0ES0_Li32ELi64ELi256ELb1ELi3EEvPKT_PKT0_S8_ifPKiSA_SA_iPKfiiiPfSD_PS3_PT2_iSC_SC_
	.p2align	8
	.type	_Z38paged_attention_ll4mi_QKV_mfma4_kernelI14__hip_bfloat16S0_LN4vllm18Fp8KVCacheDataTypeE0ES0_Li32ELi64ELi256ELb1ELi3EEvPKT_PKT0_S8_ifPKiSA_SA_iPKfiiiPfSD_PS3_PT2_iSC_SC_,@function
_Z38paged_attention_ll4mi_QKV_mfma4_kernelI14__hip_bfloat16S0_LN4vllm18Fp8KVCacheDataTypeE0ES0_Li32ELi64ELi256ELb1ELi3EEvPKT_PKT0_S8_ifPKiSA_SA_iPKfiiiPfSD_PS3_PT2_iSC_SC_: ; @_Z38paged_attention_ll4mi_QKV_mfma4_kernelI14__hip_bfloat16S0_LN4vllm18Fp8KVCacheDataTypeE0ES0_Li32ELi64ELi256ELb1ELi3EEvPKT_PKT0_S8_ifPKiSA_SA_iPKfiiiPfSD_PS3_PT2_iSC_SC_
; %bb.0:
	s_add_u32 s8, s0, 0x90
	s_addc_u32 s9, s1, 0
	s_getpc_b64 s[0:1]
	s_add_u32 s0, s0, __PRETTY_FUNCTION__._Z38paged_attention_ll4mi_QKV_mfma4_kernelI14__hip_bfloat16S0_LN4vllm18Fp8KVCacheDataTypeE0ES0_Li32ELi64ELi256ELb1ELi3EEvPKT_PKT0_S8_ifPKiSA_SA_iPKfiiiPfSD_PS3_PT2_iSC_SC_@rel32@lo+4
	s_addc_u32 s1, s1, __PRETTY_FUNCTION__._Z38paged_attention_ll4mi_QKV_mfma4_kernelI14__hip_bfloat16S0_LN4vllm18Fp8KVCacheDataTypeE0ES0_Li32ELi64ELi256ELb1ELi3EEvPKT_PKT0_S8_ifPKiSA_SA_iPKfiiiPfSD_PS3_PT2_iSC_SC_@rel32@hi+12
	s_delay_alu instid0(SALU_CYCLE_1) | instskip(SKIP_4) | instid1(SALU_CYCLE_1)
	v_dual_mov_b32 v0, s0 :: v_dual_mov_b32 v1, s1
	s_mov_b32 s32, 0
	s_getpc_b64 s[2:3]
	s_add_u32 s2, s2, __assert_fail@rel32@lo+4
	s_addc_u32 s3, s3, __assert_fail@rel32@hi+12
	s_swappc_b64 s[30:31], s[2:3]
	.section	.rodata,"a",@progbits
	.p2align	6, 0x0
	.amdhsa_kernel _Z38paged_attention_ll4mi_QKV_mfma4_kernelI14__hip_bfloat16S0_LN4vllm18Fp8KVCacheDataTypeE0ES0_Li32ELi64ELi256ELb1ELi3EEvPKT_PKT0_S8_ifPKiSA_SA_iPKfiiiPfSD_PS3_PT2_iSC_SC_
		.amdhsa_group_segment_fixed_size 0
		.amdhsa_private_segment_fixed_size 64
		.amdhsa_kernarg_size 400
		.amdhsa_user_sgpr_count 15
		.amdhsa_user_sgpr_dispatch_ptr 0
		.amdhsa_user_sgpr_queue_ptr 0
		.amdhsa_user_sgpr_kernarg_segment_ptr 1
		.amdhsa_user_sgpr_dispatch_id 0
		.amdhsa_user_sgpr_private_segment_size 0
		.amdhsa_wavefront_size32 1
		.amdhsa_uses_dynamic_stack 0
		.amdhsa_enable_private_segment 1
		.amdhsa_system_sgpr_workgroup_id_x 1
		.amdhsa_system_sgpr_workgroup_id_y 0
		.amdhsa_system_sgpr_workgroup_id_z 0
		.amdhsa_system_sgpr_workgroup_info 0
		.amdhsa_system_vgpr_workitem_id 0
		.amdhsa_next_free_vgpr 41
		.amdhsa_next_free_sgpr 34
		.amdhsa_reserve_vcc 1
		.amdhsa_float_round_mode_32 0
		.amdhsa_float_round_mode_16_64 0
		.amdhsa_float_denorm_mode_32 3
		.amdhsa_float_denorm_mode_16_64 3
		.amdhsa_dx10_clamp 1
		.amdhsa_ieee_mode 1
		.amdhsa_fp16_overflow 0
		.amdhsa_workgroup_processor_mode 1
		.amdhsa_memory_ordered 1
		.amdhsa_forward_progress 0
		.amdhsa_shared_vgpr_count 0
		.amdhsa_exception_fp_ieee_invalid_op 0
		.amdhsa_exception_fp_denorm_src 0
		.amdhsa_exception_fp_ieee_div_zero 0
		.amdhsa_exception_fp_ieee_overflow 0
		.amdhsa_exception_fp_ieee_underflow 0
		.amdhsa_exception_fp_ieee_inexact 0
		.amdhsa_exception_int_div_zero 0
	.end_amdhsa_kernel
	.section	.text._Z38paged_attention_ll4mi_QKV_mfma4_kernelI14__hip_bfloat16S0_LN4vllm18Fp8KVCacheDataTypeE0ES0_Li32ELi64ELi256ELb1ELi3EEvPKT_PKT0_S8_ifPKiSA_SA_iPKfiiiPfSD_PS3_PT2_iSC_SC_,"axG",@progbits,_Z38paged_attention_ll4mi_QKV_mfma4_kernelI14__hip_bfloat16S0_LN4vllm18Fp8KVCacheDataTypeE0ES0_Li32ELi64ELi256ELb1ELi3EEvPKT_PKT0_S8_ifPKiSA_SA_iPKfiiiPfSD_PS3_PT2_iSC_SC_,comdat
.Lfunc_end540:
	.size	_Z38paged_attention_ll4mi_QKV_mfma4_kernelI14__hip_bfloat16S0_LN4vllm18Fp8KVCacheDataTypeE0ES0_Li32ELi64ELi256ELb1ELi3EEvPKT_PKT0_S8_ifPKiSA_SA_iPKfiiiPfSD_PS3_PT2_iSC_SC_, .Lfunc_end540-_Z38paged_attention_ll4mi_QKV_mfma4_kernelI14__hip_bfloat16S0_LN4vllm18Fp8KVCacheDataTypeE0ES0_Li32ELi64ELi256ELb1ELi3EEvPKT_PKT0_S8_ifPKiSA_SA_iPKfiiiPfSD_PS3_PT2_iSC_SC_
                                        ; -- End function
	.section	.AMDGPU.csdata,"",@progbits
; Kernel info:
; codeLenInByte = 72
; NumSgprs: 36
; NumVgprs: 41
; ScratchSize: 64
; MemoryBound: 0
; FloatMode: 240
; IeeeMode: 1
; LDSByteSize: 0 bytes/workgroup (compile time only)
; SGPRBlocks: 4
; VGPRBlocks: 5
; NumSGPRsForWavesPerEU: 36
; NumVGPRsForWavesPerEU: 41
; Occupancy: 16
; WaveLimiterHint : 1
; COMPUTE_PGM_RSRC2:SCRATCH_EN: 1
; COMPUTE_PGM_RSRC2:USER_SGPR: 15
; COMPUTE_PGM_RSRC2:TRAP_HANDLER: 0
; COMPUTE_PGM_RSRC2:TGID_X_EN: 1
; COMPUTE_PGM_RSRC2:TGID_Y_EN: 0
; COMPUTE_PGM_RSRC2:TGID_Z_EN: 0
; COMPUTE_PGM_RSRC2:TIDIG_COMP_CNT: 0
	.section	.text._Z38paged_attention_ll4mi_QKV_mfma4_kernelI14__hip_bfloat16S0_LN4vllm18Fp8KVCacheDataTypeE0ES0_Li32ELi64ELi256ELb1ELi4EEvPKT_PKT0_S8_ifPKiSA_SA_iPKfiiiPfSD_PS3_PT2_iSC_SC_,"axG",@progbits,_Z38paged_attention_ll4mi_QKV_mfma4_kernelI14__hip_bfloat16S0_LN4vllm18Fp8KVCacheDataTypeE0ES0_Li32ELi64ELi256ELb1ELi4EEvPKT_PKT0_S8_ifPKiSA_SA_iPKfiiiPfSD_PS3_PT2_iSC_SC_,comdat
	.protected	_Z38paged_attention_ll4mi_QKV_mfma4_kernelI14__hip_bfloat16S0_LN4vllm18Fp8KVCacheDataTypeE0ES0_Li32ELi64ELi256ELb1ELi4EEvPKT_PKT0_S8_ifPKiSA_SA_iPKfiiiPfSD_PS3_PT2_iSC_SC_ ; -- Begin function _Z38paged_attention_ll4mi_QKV_mfma4_kernelI14__hip_bfloat16S0_LN4vllm18Fp8KVCacheDataTypeE0ES0_Li32ELi64ELi256ELb1ELi4EEvPKT_PKT0_S8_ifPKiSA_SA_iPKfiiiPfSD_PS3_PT2_iSC_SC_
	.globl	_Z38paged_attention_ll4mi_QKV_mfma4_kernelI14__hip_bfloat16S0_LN4vllm18Fp8KVCacheDataTypeE0ES0_Li32ELi64ELi256ELb1ELi4EEvPKT_PKT0_S8_ifPKiSA_SA_iPKfiiiPfSD_PS3_PT2_iSC_SC_
	.p2align	8
	.type	_Z38paged_attention_ll4mi_QKV_mfma4_kernelI14__hip_bfloat16S0_LN4vllm18Fp8KVCacheDataTypeE0ES0_Li32ELi64ELi256ELb1ELi4EEvPKT_PKT0_S8_ifPKiSA_SA_iPKfiiiPfSD_PS3_PT2_iSC_SC_,@function
_Z38paged_attention_ll4mi_QKV_mfma4_kernelI14__hip_bfloat16S0_LN4vllm18Fp8KVCacheDataTypeE0ES0_Li32ELi64ELi256ELb1ELi4EEvPKT_PKT0_S8_ifPKiSA_SA_iPKfiiiPfSD_PS3_PT2_iSC_SC_: ; @_Z38paged_attention_ll4mi_QKV_mfma4_kernelI14__hip_bfloat16S0_LN4vllm18Fp8KVCacheDataTypeE0ES0_Li32ELi64ELi256ELb1ELi4EEvPKT_PKT0_S8_ifPKiSA_SA_iPKfiiiPfSD_PS3_PT2_iSC_SC_
; %bb.0:
	s_add_u32 s8, s0, 0x90
	s_addc_u32 s9, s1, 0
	s_getpc_b64 s[0:1]
	s_add_u32 s0, s0, __PRETTY_FUNCTION__._Z38paged_attention_ll4mi_QKV_mfma4_kernelI14__hip_bfloat16S0_LN4vllm18Fp8KVCacheDataTypeE0ES0_Li32ELi64ELi256ELb1ELi4EEvPKT_PKT0_S8_ifPKiSA_SA_iPKfiiiPfSD_PS3_PT2_iSC_SC_@rel32@lo+4
	s_addc_u32 s1, s1, __PRETTY_FUNCTION__._Z38paged_attention_ll4mi_QKV_mfma4_kernelI14__hip_bfloat16S0_LN4vllm18Fp8KVCacheDataTypeE0ES0_Li32ELi64ELi256ELb1ELi4EEvPKT_PKT0_S8_ifPKiSA_SA_iPKfiiiPfSD_PS3_PT2_iSC_SC_@rel32@hi+12
	s_delay_alu instid0(SALU_CYCLE_1) | instskip(SKIP_4) | instid1(SALU_CYCLE_1)
	v_dual_mov_b32 v0, s0 :: v_dual_mov_b32 v1, s1
	s_mov_b32 s32, 0
	s_getpc_b64 s[2:3]
	s_add_u32 s2, s2, __assert_fail@rel32@lo+4
	s_addc_u32 s3, s3, __assert_fail@rel32@hi+12
	s_swappc_b64 s[30:31], s[2:3]
	.section	.rodata,"a",@progbits
	.p2align	6, 0x0
	.amdhsa_kernel _Z38paged_attention_ll4mi_QKV_mfma4_kernelI14__hip_bfloat16S0_LN4vllm18Fp8KVCacheDataTypeE0ES0_Li32ELi64ELi256ELb1ELi4EEvPKT_PKT0_S8_ifPKiSA_SA_iPKfiiiPfSD_PS3_PT2_iSC_SC_
		.amdhsa_group_segment_fixed_size 0
		.amdhsa_private_segment_fixed_size 64
		.amdhsa_kernarg_size 400
		.amdhsa_user_sgpr_count 15
		.amdhsa_user_sgpr_dispatch_ptr 0
		.amdhsa_user_sgpr_queue_ptr 0
		.amdhsa_user_sgpr_kernarg_segment_ptr 1
		.amdhsa_user_sgpr_dispatch_id 0
		.amdhsa_user_sgpr_private_segment_size 0
		.amdhsa_wavefront_size32 1
		.amdhsa_uses_dynamic_stack 0
		.amdhsa_enable_private_segment 1
		.amdhsa_system_sgpr_workgroup_id_x 1
		.amdhsa_system_sgpr_workgroup_id_y 0
		.amdhsa_system_sgpr_workgroup_id_z 0
		.amdhsa_system_sgpr_workgroup_info 0
		.amdhsa_system_vgpr_workitem_id 0
		.amdhsa_next_free_vgpr 41
		.amdhsa_next_free_sgpr 34
		.amdhsa_reserve_vcc 1
		.amdhsa_float_round_mode_32 0
		.amdhsa_float_round_mode_16_64 0
		.amdhsa_float_denorm_mode_32 3
		.amdhsa_float_denorm_mode_16_64 3
		.amdhsa_dx10_clamp 1
		.amdhsa_ieee_mode 1
		.amdhsa_fp16_overflow 0
		.amdhsa_workgroup_processor_mode 1
		.amdhsa_memory_ordered 1
		.amdhsa_forward_progress 0
		.amdhsa_shared_vgpr_count 0
		.amdhsa_exception_fp_ieee_invalid_op 0
		.amdhsa_exception_fp_denorm_src 0
		.amdhsa_exception_fp_ieee_div_zero 0
		.amdhsa_exception_fp_ieee_overflow 0
		.amdhsa_exception_fp_ieee_underflow 0
		.amdhsa_exception_fp_ieee_inexact 0
		.amdhsa_exception_int_div_zero 0
	.end_amdhsa_kernel
	.section	.text._Z38paged_attention_ll4mi_QKV_mfma4_kernelI14__hip_bfloat16S0_LN4vllm18Fp8KVCacheDataTypeE0ES0_Li32ELi64ELi256ELb1ELi4EEvPKT_PKT0_S8_ifPKiSA_SA_iPKfiiiPfSD_PS3_PT2_iSC_SC_,"axG",@progbits,_Z38paged_attention_ll4mi_QKV_mfma4_kernelI14__hip_bfloat16S0_LN4vllm18Fp8KVCacheDataTypeE0ES0_Li32ELi64ELi256ELb1ELi4EEvPKT_PKT0_S8_ifPKiSA_SA_iPKfiiiPfSD_PS3_PT2_iSC_SC_,comdat
.Lfunc_end541:
	.size	_Z38paged_attention_ll4mi_QKV_mfma4_kernelI14__hip_bfloat16S0_LN4vllm18Fp8KVCacheDataTypeE0ES0_Li32ELi64ELi256ELb1ELi4EEvPKT_PKT0_S8_ifPKiSA_SA_iPKfiiiPfSD_PS3_PT2_iSC_SC_, .Lfunc_end541-_Z38paged_attention_ll4mi_QKV_mfma4_kernelI14__hip_bfloat16S0_LN4vllm18Fp8KVCacheDataTypeE0ES0_Li32ELi64ELi256ELb1ELi4EEvPKT_PKT0_S8_ifPKiSA_SA_iPKfiiiPfSD_PS3_PT2_iSC_SC_
                                        ; -- End function
	.section	.AMDGPU.csdata,"",@progbits
; Kernel info:
; codeLenInByte = 72
; NumSgprs: 36
; NumVgprs: 41
; ScratchSize: 64
; MemoryBound: 0
; FloatMode: 240
; IeeeMode: 1
; LDSByteSize: 0 bytes/workgroup (compile time only)
; SGPRBlocks: 4
; VGPRBlocks: 5
; NumSGPRsForWavesPerEU: 36
; NumVGPRsForWavesPerEU: 41
; Occupancy: 16
; WaveLimiterHint : 1
; COMPUTE_PGM_RSRC2:SCRATCH_EN: 1
; COMPUTE_PGM_RSRC2:USER_SGPR: 15
; COMPUTE_PGM_RSRC2:TRAP_HANDLER: 0
; COMPUTE_PGM_RSRC2:TGID_X_EN: 1
; COMPUTE_PGM_RSRC2:TGID_Y_EN: 0
; COMPUTE_PGM_RSRC2:TGID_Z_EN: 0
; COMPUTE_PGM_RSRC2:TIDIG_COMP_CNT: 0
	.section	.text._Z39paged_attention_ll4mi_QKV_mfma16_kernelI14__hip_bfloat16S0_LN4vllm18Fp8KVCacheDataTypeE0ES0_Li32ELi64ELi256ELb1ELi5EL8MFMAType0EEvPKT_PKT0_S9_ifPKiSB_SB_iPKfiiiPfSE_PS4_PT2_iSD_SD_,"axG",@progbits,_Z39paged_attention_ll4mi_QKV_mfma16_kernelI14__hip_bfloat16S0_LN4vllm18Fp8KVCacheDataTypeE0ES0_Li32ELi64ELi256ELb1ELi5EL8MFMAType0EEvPKT_PKT0_S9_ifPKiSB_SB_iPKfiiiPfSE_PS4_PT2_iSD_SD_,comdat
	.protected	_Z39paged_attention_ll4mi_QKV_mfma16_kernelI14__hip_bfloat16S0_LN4vllm18Fp8KVCacheDataTypeE0ES0_Li32ELi64ELi256ELb1ELi5EL8MFMAType0EEvPKT_PKT0_S9_ifPKiSB_SB_iPKfiiiPfSE_PS4_PT2_iSD_SD_ ; -- Begin function _Z39paged_attention_ll4mi_QKV_mfma16_kernelI14__hip_bfloat16S0_LN4vllm18Fp8KVCacheDataTypeE0ES0_Li32ELi64ELi256ELb1ELi5EL8MFMAType0EEvPKT_PKT0_S9_ifPKiSB_SB_iPKfiiiPfSE_PS4_PT2_iSD_SD_
	.globl	_Z39paged_attention_ll4mi_QKV_mfma16_kernelI14__hip_bfloat16S0_LN4vllm18Fp8KVCacheDataTypeE0ES0_Li32ELi64ELi256ELb1ELi5EL8MFMAType0EEvPKT_PKT0_S9_ifPKiSB_SB_iPKfiiiPfSE_PS4_PT2_iSD_SD_
	.p2align	8
	.type	_Z39paged_attention_ll4mi_QKV_mfma16_kernelI14__hip_bfloat16S0_LN4vllm18Fp8KVCacheDataTypeE0ES0_Li32ELi64ELi256ELb1ELi5EL8MFMAType0EEvPKT_PKT0_S9_ifPKiSB_SB_iPKfiiiPfSE_PS4_PT2_iSD_SD_,@function
_Z39paged_attention_ll4mi_QKV_mfma16_kernelI14__hip_bfloat16S0_LN4vllm18Fp8KVCacheDataTypeE0ES0_Li32ELi64ELi256ELb1ELi5EL8MFMAType0EEvPKT_PKT0_S9_ifPKiSB_SB_iPKfiiiPfSE_PS4_PT2_iSD_SD_: ; @_Z39paged_attention_ll4mi_QKV_mfma16_kernelI14__hip_bfloat16S0_LN4vllm18Fp8KVCacheDataTypeE0ES0_Li32ELi64ELi256ELb1ELi5EL8MFMAType0EEvPKT_PKT0_S9_ifPKiSB_SB_iPKfiiiPfSE_PS4_PT2_iSD_SD_
; %bb.0:
	s_load_b64 s[2:3], s[0:1], 0x30
	s_mov_b32 s34, s13
	s_waitcnt lgkmcnt(0)
	s_cmp_lg_u64 s[2:3], 0
	s_cselect_b32 s6, -1, 0
	s_ashr_i32 s35, s13, 31
	s_cmp_eq_u64 s[2:3], 0
	s_cbranch_scc1 .LBB542_3
; %bb.1:
	s_lshl_b64 s[4:5], s[34:35], 2
	s_delay_alu instid0(SALU_CYCLE_1) | instskip(SKIP_4) | instid1(SALU_CYCLE_1)
	s_add_u32 s4, s2, s4
	s_addc_u32 s5, s3, s5
	s_load_b64 s[4:5], s[4:5], 0x0
	s_waitcnt lgkmcnt(0)
	s_sub_i32 s4, s5, s4
	s_cmp_eq_u32 s4, 1
	s_cselect_b32 s4, -1, 0
	s_delay_alu instid0(SALU_CYCLE_1)
	s_and_not1_b32 vcc_lo, exec_lo, s4
	s_cbranch_vccz .LBB542_4
.LBB542_2:
	s_nop 0
	s_sendmsg sendmsg(MSG_DEALLOC_VGPRS)
	s_endpgm
.LBB542_3:
.LBB542_4:
	s_load_b64 s[8:9], s[0:1], 0x28
	s_lshl_b64 s[4:5], s[34:35], 2
	s_waitcnt lgkmcnt(0)
	s_add_u32 s8, s8, s4
	s_addc_u32 s9, s9, s5
	s_lshl_b32 s16, s14, 8
	s_load_b32 s18, s[8:9], 0x0
	s_waitcnt lgkmcnt(0)
	s_cmp_ge_i32 s16, s18
	s_cbranch_scc1 .LBB542_2
; %bb.5:
	s_and_not1_b32 vcc_lo, exec_lo, s6
	s_cbranch_vccnz .LBB542_7
; %bb.6:
	s_add_u32 s2, s2, s4
	s_addc_u32 s3, s3, s5
	s_load_b32 s17, s[2:3], 0x0
	s_branch .LBB542_8
.LBB542_7:
	s_mov_b32 s17, s34
.LBB542_8:
	s_clause 0x2
	s_load_b128 s[8:11], s[0:1], 0x8
	s_load_b64 s[12:13], s[0:1], 0x20
	s_load_b128 s[4:7], s[0:1], 0x48
	v_lshrrev_b32_e32 v74, 5, v0
	v_bfe_u32 v83, v0, 4, 1
	v_and_b32_e32 v73, 15, v0
	s_delay_alu instid0(VALU_DEP_2) | instskip(NEXT) | instid1(VALU_DEP_2)
	v_lshl_or_b32 v3, v74, 1, v83
	v_cmp_lt_u32_e64 s3, 7, v73
	v_lshlrev_b32_e32 v1, 3, v73
	v_cmp_gt_u32_e64 s2, 8, v73
	s_delay_alu instid0(VALU_DEP_4) | instskip(NEXT) | instid1(VALU_DEP_4)
	v_cmp_lt_u32_e32 vcc_lo, 4, v3
	s_or_b32 s3, s3, vcc_lo
	s_waitcnt lgkmcnt(0)
	s_and_saveexec_b32 s7, s3
	s_delay_alu instid0(SALU_CYCLE_1)
	s_xor_b32 s3, exec_lo, s7
; %bb.9:
	v_mov_b32_e32 v2, 0
                                        ; implicit-def: $vgpr3
; %bb.10:
	s_or_saveexec_b32 s3, s3
	v_and_b32_e32 v75, 31, v0
	v_and_b32_e32 v84, 1, v0
	s_mul_i32 s31, s15, 5
	s_xor_b32 exec_lo, exec_lo, s3
	s_cbranch_execz .LBB542_12
; %bb.11:
	s_load_b64 s[20:21], s[0:1], 0x0
	v_add_lshl_u32 v4, v3, s31, 6
	s_mul_hi_i32 s23, s17, s4
	s_mul_i32 s22, s17, s4
	v_lshlrev_b32_e32 v2, 1, v1
	s_lshl_b64 s[22:23], s[22:23], 1
	v_ashrrev_i32_e32 v5, 31, v4
	v_lshlrev_b32_e32 v3, 6, v3
	v_lshlrev_b32_e32 v8, 10, v84
	s_delay_alu instid0(VALU_DEP_3) | instskip(SKIP_3) | instid1(VALU_DEP_1)
	v_lshlrev_b64 v[4:5], 1, v[4:5]
	s_waitcnt lgkmcnt(0)
	s_add_u32 s4, s20, s22
	s_addc_u32 s7, s21, s23
	v_add_co_u32 v4, vcc_lo, s4, v4
	s_delay_alu instid0(VALU_DEP_2) | instskip(NEXT) | instid1(VALU_DEP_2)
	v_add_co_ci_u32_e32 v5, vcc_lo, s7, v5, vcc_lo
	v_add_co_u32 v4, vcc_lo, v4, v2
	s_delay_alu instid0(VALU_DEP_2) | instskip(SKIP_3) | instid1(VALU_DEP_1)
	v_add_co_ci_u32_e32 v5, vcc_lo, 0, v5, vcc_lo
	v_lshlrev_b32_e32 v2, 10, v73
	global_load_b128 v[4:7], v[4:5], off
	v_and_b32_e32 v2, 0x3800, v2
	v_or3_b32 v3, v2, v8, v3
	v_mov_b32_e32 v2, 0
	s_waitcnt vmcnt(0)
	ds_store_b128 v3, v[4:7]
.LBB542_12:
	s_or_b32 exec_lo, exec_lo, s3
	v_and_b32_e32 v3, 0xef, v0
	s_add_i32 s3, s18, 31
	s_clause 0x1
	s_load_b32 s4, s[0:1], 0x38
	s_load_b32 s19, s[0:1], 0x1c
	s_ashr_i32 s7, s3, 31
	v_add_nc_u32_e32 v3, s16, v3
	s_lshr_b32 s7, s7, 27
	s_waitcnt lgkmcnt(0)
	s_add_i32 s3, s3, s7
	s_barrier
	v_ashrrev_i32_e32 v4, 31, v3
	v_cmp_gt_i32_e32 vcc_lo, s18, v3
	s_ashr_i32 s3, s3, 5
	buffer_gl0_inv
	s_add_i32 s3, s3, -1
	v_lshrrev_b32_e32 v5, 27, v4
	v_or_b32_e32 v4, 16, v3
	s_mul_i32 s6, s15, s6
	v_lshlrev_b64 v[81:82], 1, v[1:2]
	s_delay_alu instid0(VALU_DEP_3) | instskip(NEXT) | instid1(VALU_DEP_3)
	v_add_nc_u32_e32 v6, v3, v5
	v_add_nc_u32_e32 v5, v4, v5
	s_mul_i32 s20, s34, s4
	s_delay_alu instid0(SALU_CYCLE_1) | instskip(NEXT) | instid1(VALU_DEP_2)
	s_ashr_i32 s21, s20, 31
	v_ashrrev_i32_e32 v6, 5, v6
	s_delay_alu instid0(VALU_DEP_2) | instskip(SKIP_1) | instid1(SALU_CYCLE_1)
	v_ashrrev_i32_e32 v5, 5, v5
	s_lshl_b64 s[20:21], s[20:21], 2
	s_add_u32 s4, s12, s20
	s_delay_alu instid0(VALU_DEP_2) | instskip(SKIP_3) | instid1(SALU_CYCLE_1)
	v_cndmask_b32_e32 v3, s3, v6, vcc_lo
	v_cmp_gt_i32_e32 vcc_lo, s18, v4
	s_addc_u32 s17, s13, s21
	s_ashr_i32 s7, s6, 31
	s_lshl_b64 s[6:7], s[6:7], 1
	v_cndmask_b32_e32 v5, s3, v5, vcc_lo
	v_ashrrev_i32_e32 v4, 31, v3
	s_add_u32 s15, s8, s6
	s_addc_u32 s28, s9, s7
	s_lshl_b32 s8, s14, 3
	v_ashrrev_i32_e32 v6, 31, v5
	v_lshlrev_b64 v[3:4], 2, v[3:4]
	s_ashr_i32 s9, s8, 31
	s_delay_alu instid0(SALU_CYCLE_1) | instskip(NEXT) | instid1(VALU_DEP_2)
	s_lshl_b64 s[8:9], s[8:9], 2
	v_lshlrev_b64 v[5:6], 2, v[5:6]
	s_add_u32 s8, s4, s8
	s_delay_alu instid0(VALU_DEP_2) | instskip(SKIP_1) | instid1(VALU_DEP_3)
	v_add_co_u32 v3, vcc_lo, s4, v3
	v_add_co_ci_u32_e32 v4, vcc_lo, s17, v4, vcc_lo
	v_add_co_u32 v5, vcc_lo, s4, v5
	s_delay_alu instid0(VALU_DEP_4)
	v_add_co_ci_u32_e32 v6, vcc_lo, s17, v6, vcc_lo
	s_addc_u32 s9, s17, s9
	s_clause 0x1
	global_load_b32 v7, v[3:4], off
	global_load_b32 v8, v[5:6], off
	s_or_b32 s12, s16, 32
	s_delay_alu instid0(SALU_CYCLE_1) | instskip(SKIP_2) | instid1(SALU_CYCLE_1)
	s_ashr_i32 s13, s12, 5
	s_cmp_lt_i32 s12, s18
	s_cselect_b32 s12, s13, s3
	s_ashr_i32 s13, s12, 31
	s_delay_alu instid0(SALU_CYCLE_1) | instskip(NEXT) | instid1(SALU_CYCLE_1)
	s_lshl_b64 s[12:13], s[12:13], 2
	s_add_u32 s12, s4, s12
	s_addc_u32 s13, s17, s13
	s_or_b32 s20, s16, 64
	s_delay_alu instid0(SALU_CYCLE_1) | instskip(SKIP_2) | instid1(SALU_CYCLE_1)
	s_ashr_i32 s21, s20, 5
	s_cmp_lt_i32 s20, s18
	s_cselect_b32 s20, s21, s3
	s_ashr_i32 s21, s20, 31
	s_delay_alu instid0(SALU_CYCLE_1) | instskip(NEXT) | instid1(SALU_CYCLE_1)
	s_lshl_b64 s[20:21], s[20:21], 2
	s_add_u32 s20, s4, s20
	s_addc_u32 s21, s17, s21
	;; [unrolled: 10-line block ×5, first 2 shown]
	s_clause 0x5
	s_load_b32 s29, s[8:9], 0x0
	s_load_b32 s30, s[12:13], 0x0
	;; [unrolled: 1-line block ×6, first 2 shown]
	s_or_b32 s8, s16, 0xc0
	s_mov_b32 s20, 0
	s_ashr_i32 s9, s8, 5
	s_cmp_lt_i32 s8, s18
	s_mov_b32 s27, s20
	s_cselect_b32 s8, s9, s3
	s_mov_b32 s21, s20
	s_ashr_i32 s9, s8, 31
	s_mov_b32 s22, s20
	s_lshl_b64 s[8:9], s[8:9], 2
	s_mov_b32 s23, s20
	s_add_u32 s8, s4, s8
	s_mov_b32 s24, s20
	s_mov_b32 s25, s20
	;; [unrolled: 1-line block ×3, first 2 shown]
	s_addc_u32 s9, s17, s9
	v_mov_b32_e32 v117, s27
	v_dual_mov_b32 v110, s20 :: v_dual_lshlrev_b32 v85, 6, v73
	v_dual_mov_b32 v116, s26 :: v_dual_mov_b32 v115, s25
	v_dual_mov_b32 v114, s24 :: v_dual_mov_b32 v113, s23
	;; [unrolled: 1-line block ×3, first 2 shown]
	s_waitcnt lgkmcnt(0)
	s_mul_hi_i32 s13, s29, s5
	s_mul_i32 s12, s29, s5
	v_lshl_or_b32 v58, v74, 10, v85
	s_mul_hi_i32 s21, s30, s5
	s_mul_i32 s20, s30, s5
	s_mul_hi_i32 s25, s33, s5
	s_mul_i32 s24, s33, s5
	;; [unrolled: 2-line block ×3, first 2 shown]
	s_mul_hi_i32 s37, s38, s5
	s_waitcnt vmcnt(1)
	v_mad_i64_i32 v[3:4], null, v7, s5, 0
	s_waitcnt vmcnt(0)
	v_mad_i64_i32 v[5:6], null, v8, s5, 0
	s_delay_alu instid0(VALU_DEP_2) | instskip(NEXT) | instid1(VALU_DEP_2)
	v_lshlrev_b64 v[3:4], 1, v[3:4]
	v_lshlrev_b64 v[1:2], 1, v[5:6]
	s_delay_alu instid0(VALU_DEP_2) | instskip(NEXT) | instid1(VALU_DEP_3)
	v_add_co_u32 v3, vcc_lo, s15, v3
	v_add_co_ci_u32_e32 v4, vcc_lo, s28, v4, vcc_lo
	s_delay_alu instid0(VALU_DEP_3) | instskip(NEXT) | instid1(VALU_DEP_4)
	v_add_co_u32 v1, vcc_lo, s15, v1
	v_add_co_ci_u32_e32 v2, vcc_lo, s28, v2, vcc_lo
	s_delay_alu instid0(VALU_DEP_4) | instskip(NEXT) | instid1(VALU_DEP_4)
	v_add_co_u32 v41, vcc_lo, v3, v81
	v_add_co_ci_u32_e32 v42, vcc_lo, v4, v82, vcc_lo
	s_delay_alu instid0(VALU_DEP_4) | instskip(NEXT) | instid1(VALU_DEP_4)
	v_add_co_u32 v43, vcc_lo, v1, v81
	v_add_co_ci_u32_e32 v44, vcc_lo, v2, v82, vcc_lo
	s_clause 0xf
	global_load_b128 v[1:4], v[41:42], off
	global_load_b128 v[5:8], v[41:42], off offset:512
	global_load_b128 v[9:12], v[43:44], off offset:256
	;; [unrolled: 1-line block ×15, first 2 shown]
	v_mul_lo_u16 v41, v73, 52
	s_or_b32 s15, s16, 0xe0
	s_delay_alu instid0(SALU_CYCLE_1) | instskip(SKIP_1) | instid1(VALU_DEP_1)
	s_ashr_i32 s22, s15, 5
	s_cmp_lt_i32 s15, s18
	v_lshrrev_b16 v41, 8, v41
	s_cselect_b32 s22, s22, s3
	s_delay_alu instid0(SALU_CYCLE_1) | instskip(NEXT) | instid1(VALU_DEP_1)
	s_ashr_i32 s23, s22, 31
	v_mul_lo_u16 v41, v41, 5
	s_lshl_b64 s[22:23], s[22:23], 2
	s_delay_alu instid0(SALU_CYCLE_1) | instskip(SKIP_1) | instid1(VALU_DEP_1)
	s_add_u32 s22, s4, s22
	s_addc_u32 s23, s17, s23
	v_sub_nc_u16 v41, v73, v41
	s_add_i32 s15, s16, 0x100
	s_delay_alu instid0(SALU_CYCLE_1) | instskip(SKIP_1) | instid1(VALU_DEP_1)
	s_ashr_i32 s28, s15, 5
	s_cmp_lt_i32 s15, s18
	v_and_b32_e32 v41, 0xff, v41
	s_cselect_b32 s28, s28, s3
	s_delay_alu instid0(SALU_CYCLE_1) | instskip(NEXT) | instid1(VALU_DEP_1)
	s_ashr_i32 s29, s28, 31
	v_lshlrev_b32_e32 v57, 6, v41
	ds_load_b128 v[41:44], v57
	ds_load_b128 v[45:48], v57 offset:1024
	ds_load_b128 v[49:52], v57 offset:2048
	;; [unrolled: 1-line block ×7, first 2 shown]
	s_lshl_b64 s[28:29], s[28:29], 2
	s_load_b32 s15, s[8:9], 0x0
	s_add_u32 s28, s4, s28
	s_addc_u32 s29, s17, s29
	s_add_u32 s3, s10, s6
	s_clause 0x1
	s_load_b32 s4, s[22:23], 0x0
	s_load_b32 s17, s[28:29], 0x0
	s_addc_u32 s28, s11, s7
	v_add_co_u32 v76, s3, s3, v58
	s_delay_alu instid0(VALU_DEP_1) | instskip(SKIP_2) | instid1(VALU_DEP_2)
	v_add_co_ci_u32_e64 v77, null, s28, 0, s3
	s_lshl_b64 s[6:7], s[12:13], 1
	s_lshl_b64 s[10:11], s[20:21], 1
	v_add_co_u32 v57, vcc_lo, v76, s6
	s_delay_alu instid0(VALU_DEP_2)
	v_add_co_ci_u32_e32 v58, vcc_lo, s7, v77, vcc_lo
	s_lshl_b64 s[12:13], s[24:25], 1
	s_lshl_b64 s[20:21], s[26:27], 1
	s_mul_hi_i32 s9, s36, s5
	s_mul_i32 s8, s36, s5
	s_mul_i32 s36, s38, s5
	s_lshl_b64 s[8:9], s[8:9], 1
	s_lshl_b64 s[22:23], s[36:37], 1
	s_waitcnt lgkmcnt(0)
	s_mul_hi_i32 s25, s15, s5
	s_mul_i32 s24, s15, s5
	s_clause 0x1
	global_load_b128 v[65:68], v[57:58], off
	global_load_b128 v[69:72], v[57:58], off offset:16
	s_lshl_b64 s[6:7], s[24:25], 1
	s_waitcnt vmcnt(16)
	v_wmma_f32_16x16x16_bf16 v[134:141], v[1:8], v[41:48], v[110:117]
	v_add_co_u32 v1, vcc_lo, v76, s10
	v_add_co_ci_u32_e32 v2, vcc_lo, s11, v77, vcc_lo
	s_waitcnt vmcnt(12)
	s_delay_alu instid0(VALU_DEP_3) | instskip(SKIP_3) | instid1(VALU_DEP_3)
	v_wmma_f32_16x16x16_bf16 v[134:141], v[17:24], v[49:56], v[134:141]
	v_add_co_u32 v3, vcc_lo, v76, s12
	v_add_co_ci_u32_e32 v4, vcc_lo, s13, v77, vcc_lo
	s_waitcnt vmcnt(8)
	v_wmma_f32_16x16x16_bf16 v[134:141], v[33:40], v[118:125], v[134:141]
	v_add_co_u32 v5, vcc_lo, v76, s20
	v_add_co_ci_u32_e32 v6, vcc_lo, s21, v77, vcc_lo
	s_waitcnt vmcnt(4)
	s_delay_alu instid0(VALU_DEP_3) | instskip(SKIP_2) | instid1(VALU_DEP_3)
	v_wmma_f32_16x16x16_bf16 v[134:141], v[94:101], v[126:133], v[134:141]
	v_add_co_u32 v7, vcc_lo, v76, s8
	v_add_co_ci_u32_e32 v8, vcc_lo, s9, v77, vcc_lo
	v_mul_f32_e32 v100, s19, v141
	v_wmma_f32_16x16x16_bf16 v[110:117], v[9:16], v[41:48], v[110:117]
	s_clause 0x1
	global_load_b128 v[57:60], v[1:2], off
	global_load_b128 v[61:64], v[1:2], off offset:16
	s_mul_hi_i32 s9, s4, s5
	s_mul_i32 s8, s4, s5
	v_wmma_f32_16x16x16_bf16 v[110:117], v[25:32], v[49:56], v[110:117]
	s_clause 0x5
	global_load_b128 v[49:52], v[3:4], off
	global_load_b128 v[53:56], v[3:4], off offset:16
	global_load_b128 v[41:44], v[5:6], off
	global_load_b128 v[45:48], v[5:6], off offset:16
	;; [unrolled: 2-line block ×3, first 2 shown]
	v_add_co_u32 v5, vcc_lo, v76, s22
	v_add_co_ci_u32_e32 v6, vcc_lo, s23, v77, vcc_lo
	v_add_co_u32 v17, vcc_lo, v76, s6
	v_add_co_ci_u32_e32 v18, vcc_lo, s7, v77, vcc_lo
	s_lshl_b64 s[6:7], s[8:9], 1
	s_mul_hi_i32 s9, s17, s5
	s_mul_i32 s8, s17, s5
	v_add_co_u32 v19, vcc_lo, v76, s6
	s_lshl_b64 s[4:5], s[8:9], 1
	v_add_co_ci_u32_e32 v20, vcc_lo, s7, v77, vcc_lo
	v_add_co_u32 v21, vcc_lo, v76, s4
	v_add_co_ci_u32_e32 v22, vcc_lo, s5, v77, vcc_lo
	s_clause 0x7
	global_load_b128 v[1:4], v[5:6], off
	global_load_b128 v[5:8], v[5:6], off offset:16
	global_load_b128 v[33:36], v[17:18], off
	global_load_b128 v[37:40], v[17:18], off offset:16
	;; [unrolled: 2-line block ×4, first 2 shown]
	v_and_b32_e32 v76, 0xe0, v0
	v_mbcnt_lo_u32_b32 v77, -1, 0
	v_wmma_f32_16x16x16_bf16 v[110:117], v[86:93], v[118:125], v[110:117]
	s_waitcnt vmcnt(0)
	s_barrier
	v_add_nc_u32_e32 v76, s16, v76
	v_xor_b32_e32 v78, 16, v77
	v_wmma_f32_16x16x16_bf16 v[110:117], v[102:109], v[126:133], v[110:117]
	v_mul_f32_e32 v97, s19, v134
	v_mul_f32_e32 v99, s19, v135
	v_or_b32_e32 v76, v76, v83
	v_cmp_gt_i32_e32 vcc_lo, 32, v78
	buffer_gl0_inv
	v_or_b32_e32 v79, 4, v76
	v_cndmask_b32_e32 v77, v77, v78, vcc_lo
	v_or_b32_e32 v78, 2, v76
	v_or_b32_e32 v80, 6, v76
	v_or_b32_e32 v86, 8, v76
	v_cmp_gt_i32_e32 vcc_lo, s18, v76
	v_or_b32_e32 v87, 10, v76
	v_cmp_gt_i32_e64 s3, s18, v78
	v_or_b32_e32 v88, 12, v76
	v_or_b32_e32 v89, 14, v76
	;; [unrolled: 1-line block ×10, first 2 shown]
	v_cndmask_b32_e64 v78, 0xff7fffff, v99, s3
	v_mul_f32_e32 v99, s19, v137
	v_cmp_gt_i32_e64 s4, s18, v80
	v_mul_f32_e32 v80, s19, v136
	v_cmp_gt_i32_e64 s5, s18, v79
	v_cmp_gt_i32_e64 s6, s18, v86
	v_mul_f32_e32 v86, s19, v116
	v_cndmask_b32_e32 v76, 0xff7fffff, v97, vcc_lo
	v_mul_f32_e32 v79, s19, v139
	v_cndmask_b32_e64 v80, 0xff7fffff, v80, s5
	v_cndmask_b32_e64 v99, 0xff7fffff, v99, s4
	v_cmp_gt_i32_e64 s7, s18, v87
	v_max3_f32 v76, v76, 0xff7fffff, v78
	v_dual_mul_f32 v78, s19, v138 :: v_dual_mul_f32 v97, s19, v140
	v_cmp_gt_i32_e64 s8, s18, v89
	s_delay_alu instid0(VALU_DEP_4) | instskip(NEXT) | instid1(VALU_DEP_4)
	v_cndmask_b32_e64 v79, 0xff7fffff, v79, s7
	v_max3_f32 v76, v76, v80, v99
	s_delay_alu instid0(VALU_DEP_4) | instskip(SKIP_3) | instid1(VALU_DEP_4)
	v_cndmask_b32_e64 v78, 0xff7fffff, v78, s6
	v_cmp_gt_i32_e64 s9, s18, v88
	v_dual_mul_f32 v88, s19, v111 :: v_dual_mul_f32 v89, s19, v110
	v_cndmask_b32_e64 v100, 0xff7fffff, v100, s8
	v_max3_f32 v76, v76, v78, v79
	s_delay_alu instid0(VALU_DEP_4) | instskip(SKIP_3) | instid1(VALU_DEP_4)
	v_cndmask_b32_e64 v97, 0xff7fffff, v97, s9
	v_cmp_gt_i32_e64 s10, s18, v90
	v_cmp_gt_i32_e64 s11, s18, v91
	v_dual_mul_f32 v78, s19, v113 :: v_dual_mul_f32 v79, s19, v112
	v_max3_f32 v76, v76, v97, v100
	s_delay_alu instid0(VALU_DEP_4) | instskip(NEXT) | instid1(VALU_DEP_4)
	v_cndmask_b32_e64 v89, 0xff7fffff, v89, s10
	v_cndmask_b32_e64 v88, 0xff7fffff, v88, s11
	v_cmp_gt_i32_e64 s12, s18, v92
	v_cmp_gt_i32_e64 s13, s18, v93
	v_mul_f32_e32 v87, s19, v115
	v_mul_f32_e32 v99, s19, v114
	v_max3_f32 v76, v76, v89, v88
	v_cndmask_b32_e64 v79, 0xff7fffff, v79, s12
	v_cndmask_b32_e64 v78, 0xff7fffff, v78, s13
	v_cmp_gt_i32_e64 s15, s18, v94
	v_cmp_gt_i32_e64 s16, s18, v95
	v_mul_f32_e32 v80, s19, v117
	v_cmp_gt_i32_e64 s17, s18, v96
	v_max3_f32 v76, v76, v79, v78
	v_cndmask_b32_e64 v88, 0xff7fffff, v99, s15
	v_cndmask_b32_e64 v87, 0xff7fffff, v87, s16
	v_cmp_gt_i32_e64 s18, s18, v98
	v_cndmask_b32_e64 v78, 0xff7fffff, v86, s17
	v_lshlrev_b32_e32 v99, 2, v77
	s_delay_alu instid0(VALU_DEP_4) | instskip(NEXT) | instid1(VALU_DEP_4)
	v_max3_f32 v76, v76, v88, v87
	v_cndmask_b32_e64 v79, 0xff7fffff, v80, s18
	s_delay_alu instid0(VALU_DEP_1) | instskip(SKIP_3) | instid1(VALU_DEP_1)
	v_max3_f32 v76, v76, v78, v79
	ds_bpermute_b32 v77, v99, v76
	s_waitcnt lgkmcnt(0)
	v_max_f32_e32 v77, v77, v77
	v_max_f32_e32 v76, v76, v77
	s_delay_alu instid0(VALU_DEP_1)
	v_fma_f32 v86, s19, v138, -v76
	v_fma_f32 v77, s19, v134, -v76
	;; [unrolled: 1-line block ×5, first 2 shown]
	v_mul_f32_e32 v86, 0x3fb8aa3b, v86
	v_fma_f32 v88, s19, v114, -v76
	s_delay_alu instid0(VALU_DEP_4) | instskip(NEXT) | instid1(VALU_DEP_4)
	v_dual_mul_f32 v78, 0x3fb8aa3b, v78 :: v_dual_mul_f32 v79, 0x3fb8aa3b, v79
	v_mul_f32_e32 v80, 0x3fb8aa3b, v80
	s_delay_alu instid0(VALU_DEP_4) | instskip(SKIP_1) | instid1(VALU_DEP_3)
	v_exp_f32_e32 v86, v86
	v_fma_f32 v87, s19, v140, -v76
	v_exp_f32_e32 v78, v78
	v_exp_f32_e32 v79, v79
	;; [unrolled: 1-line block ×3, first 2 shown]
	s_delay_alu instid0(VALU_DEP_1)
	v_dual_mul_f32 v88, 0x3fb8aa3b, v88 :: v_dual_mul_f32 v87, 0x3fb8aa3b, v87
	v_fma_f32 v100, s19, v117, -v76
	v_fma_f32 v90, s19, v116, -v76
	v_cndmask_b32_e64 v96, 0, v86, s6
	v_fma_f32 v86, s19, v111, -v76
	v_mul_f32_e32 v77, 0x3fb8aa3b, v77
	s_delay_alu instid0(TRANS32_DEP_3) | instskip(NEXT) | instid1(TRANS32_DEP_2)
	v_cndmask_b32_e64 v91, 0, v78, s3
	v_cndmask_b32_e64 v93, 0, v79, s5
	s_delay_alu instid0(TRANS32_DEP_1)
	v_cndmask_b32_e64 v95, 0, v80, s4
	v_mul_f32_e32 v86, 0x3fb8aa3b, v86
	v_exp_f32_e32 v77, v77
	v_fma_f32 v79, s19, v141, -v76
	v_fma_f32 v80, s19, v110, -v76
	v_exp_f32_e32 v87, v87
	v_exp_f32_e32 v86, v86
	s_delay_alu instid0(VALU_DEP_2) | instskip(NEXT) | instid1(VALU_DEP_2)
	v_dual_mul_f32 v100, 0x3fb8aa3b, v100 :: v_dual_mul_f32 v79, 0x3fb8aa3b, v79
	v_mul_f32_e32 v80, 0x3fb8aa3b, v80
	v_exp_f32_e32 v88, v88
	v_cmp_gt_u32_e64 s3, 16, v75
	v_cndmask_b32_e32 v92, 0, v77, vcc_lo
	v_fma_f32 v77, s19, v139, -v76
	v_exp_f32_e32 v79, v79
	v_exp_f32_e32 v80, v80
	v_cndmask_b32_e64 v94, 0, v87, s9
	s_delay_alu instid0(VALU_DEP_2) | instskip(SKIP_2) | instid1(VALU_DEP_2)
	v_dual_add_f32 v78, 0, v92 :: v_dual_mul_f32 v77, 0x3fb8aa3b, v77
	v_fma_f32 v87, s19, v113, -v76
	v_exp_f32_e32 v100, v100
	v_add_f32_e32 v78, v78, v91
	s_delay_alu instid0(VALU_DEP_3) | instskip(SKIP_1) | instid1(VALU_DEP_2)
	v_exp_f32_e32 v77, v77
	v_cndmask_b32_e64 v98, 0, v79, s8
	v_dual_mul_f32 v87, 0x3fb8aa3b, v87 :: v_dual_add_f32 v78, v78, v93
	s_delay_alu instid0(VALU_DEP_1) | instskip(NEXT) | instid1(VALU_DEP_1)
	v_exp_f32_e32 v87, v87
	v_add_f32_e32 v78, v78, v95
	s_waitcnt_depctr 0xfff
	v_cndmask_b32_e64 v97, 0, v77, s7
	v_add_f32_e32 v77, v78, v96
	v_fma_f32 v78, s19, v112, -v76
	s_delay_alu instid0(VALU_DEP_1) | instskip(NEXT) | instid1(VALU_DEP_1)
	v_mul_f32_e32 v78, 0x3fb8aa3b, v78
	v_exp_f32_e32 v89, v78
	v_cndmask_b32_e64 v78, 0, v86, s11
	v_add_f32_e32 v77, v77, v97
	s_delay_alu instid0(VALU_DEP_1) | instskip(SKIP_2) | instid1(VALU_DEP_1)
	v_add_f32_e32 v79, v77, v94
	v_cndmask_b32_e64 v77, 0, v80, s10
	v_fma_f32 v80, s19, v115, -v76
	v_dual_add_f32 v79, v79, v98 :: v_dual_mul_f32 v80, 0x3fb8aa3b, v80
	s_delay_alu instid0(VALU_DEP_1) | instskip(NEXT) | instid1(TRANS32_DEP_1)
	v_add_f32_e32 v86, v79, v77
	v_cndmask_b32_e64 v79, 0, v89, s12
	v_mul_f32_e32 v89, 0x3fb8aa3b, v90
	s_delay_alu instid0(VALU_DEP_4) | instskip(SKIP_2) | instid1(VALU_DEP_3)
	v_exp_f32_e32 v90, v80
	v_cndmask_b32_e64 v80, 0, v87, s13
	v_add_f32_e32 v86, v86, v78
	v_exp_f32_e32 v89, v89
	s_delay_alu instid0(VALU_DEP_1) | instskip(SKIP_1) | instid1(VALU_DEP_2)
	v_add_f32_e32 v87, v86, v79
	v_cndmask_b32_e64 v86, 0, v88, s15
	v_add_f32_e32 v88, v87, v80
	s_delay_alu instid0(TRANS32_DEP_2) | instskip(NEXT) | instid1(VALU_DEP_2)
	v_cndmask_b32_e64 v87, 0, v90, s16
	v_add_f32_e32 v90, v88, v86
	s_waitcnt_depctr 0xfff
	v_cndmask_b32_e64 v88, 0, v89, s17
	v_add_f32_e32 v89, v90, v87
	s_delay_alu instid0(VALU_DEP_1) | instskip(SKIP_1) | instid1(VALU_DEP_1)
	v_add_f32_e32 v90, v89, v88
	v_cndmask_b32_e64 v89, 0, v100, s18
	v_add_f32_e32 v90, v90, v89
	ds_bpermute_b32 v99, v99, v90
	s_and_saveexec_b32 s4, s3
	s_cbranch_execz .LBB542_14
; %bb.13:
	v_mul_u32_u24_e32 v75, 0x44, v74
	s_waitcnt lgkmcnt(0)
	v_add_f32_e32 v90, v90, v99
	s_delay_alu instid0(VALU_DEP_2) | instskip(NEXT) | instid1(VALU_DEP_1)
	v_lshl_add_u32 v75, v73, 2, v75
	v_add_nc_u32_e32 v75, 0x4000, v75
	ds_store_2addr_b32 v75, v76, v90 offset1:136
.LBB542_14:
	s_or_b32 exec_lo, exec_lo, s4
	v_lshlrev_b32_e32 v75, 2, v73
	s_waitcnt lgkmcnt(0)
	s_barrier
	buffer_gl0_inv
	v_cmp_eq_u32_e64 s4, 1, v74
	v_add_nc_u32_e32 v90, 0x4000, v75
	ds_load_2addr_b32 v[99:100], v90 offset1:17
	ds_load_2addr_b32 v[101:102], v90 offset0:34 offset1:51
	ds_load_2addr_b32 v[103:104], v90 offset0:68 offset1:85
	;; [unrolled: 1-line block ×4, first 2 shown]
	s_waitcnt lgkmcnt(4)
	v_max3_f32 v75, v99, 0xff7fffff, v100
	s_waitcnt lgkmcnt(3)
	s_delay_alu instid0(VALU_DEP_1) | instskip(SKIP_1) | instid1(VALU_DEP_1)
	v_max3_f32 v75, v75, v101, v102
	s_waitcnt lgkmcnt(2)
	v_max3_f32 v75, v75, v103, v104
	s_waitcnt lgkmcnt(1)
	s_delay_alu instid0(VALU_DEP_1) | instskip(NEXT) | instid1(VALU_DEP_1)
	v_max3_f32 v75, v75, v105, v106
	v_sub_f32_e32 v109, v100, v75
	v_sub_f32_e32 v76, v99, v75
	ds_load_2addr_b32 v[99:100], v90 offset0:170 offset1:187
	v_sub_f32_e32 v101, v101, v75
	v_dual_mul_f32 v109, 0x3fb8aa3b, v109 :: v_dual_mul_f32 v76, 0x3fb8aa3b, v76
	s_delay_alu instid0(VALU_DEP_2) | instskip(NEXT) | instid1(VALU_DEP_2)
	v_mul_f32_e32 v111, 0x3fb8aa3b, v101
	v_exp_f32_e32 v109, v109
	s_delay_alu instid0(VALU_DEP_2)
	v_exp_f32_e32 v110, v76
	v_sub_f32_e32 v76, v102, v75
	ds_load_2addr_b32 v[101:102], v90 offset0:204 offset1:221
	v_exp_f32_e32 v111, v111
	v_mul_f32_e32 v112, 0x3fb8aa3b, v76
	s_waitcnt lgkmcnt(2)
	v_fma_f32 v76, v110, v107, 0
	v_sub_f32_e32 v103, v103, v75
	s_delay_alu instid0(VALU_DEP_3) | instskip(NEXT) | instid1(VALU_DEP_2)
	v_exp_f32_e32 v112, v112
	v_dual_sub_f32 v107, v104, v75 :: v_dual_fmac_f32 v76, v109, v108
	s_waitcnt lgkmcnt(1)
	s_waitcnt_depctr 0xfff
	v_fmac_f32_e32 v76, v111, v99
	v_mul_f32_e32 v113, 0x3fb8aa3b, v103
	ds_load_2addr_b32 v[103:104], v90 offset0:238 offset1:255
	v_sub_f32_e32 v90, v105, v75
	v_dual_sub_f32 v99, v106, v75 :: v_dual_fmac_f32 v76, v112, v100
	v_mul_f32_e32 v105, 0x3fb8aa3b, v107
	v_exp_f32_e32 v107, v113
	s_delay_alu instid0(VALU_DEP_2)
	v_dual_mul_f32 v90, 0x3fb8aa3b, v90 :: v_dual_mul_f32 v99, 0x3fb8aa3b, v99
	s_waitcnt lgkmcnt(0)
	s_barrier
	buffer_gl0_inv
	v_exp_f32_e32 v90, v90
	v_exp_f32_e32 v99, v99
	v_fmac_f32_e32 v76, v107, v101
	v_exp_f32_e32 v105, v105
	s_waitcnt_depctr 0xfff
	v_fmac_f32_e32 v76, v105, v102
	s_delay_alu instid0(VALU_DEP_1) | instskip(NEXT) | instid1(VALU_DEP_1)
	v_fmac_f32_e32 v76, v90, v103
	v_fmac_f32_e32 v76, v99, v104
	s_delay_alu instid0(VALU_DEP_1) | instskip(NEXT) | instid1(VALU_DEP_1)
	v_add_f32_e32 v100, 0x358637bd, v76
	v_div_scale_f32 v101, null, v100, v100, 1.0
	v_div_scale_f32 v104, vcc_lo, 1.0, v100, 1.0
	s_delay_alu instid0(VALU_DEP_2) | instskip(SKIP_2) | instid1(VALU_DEP_1)
	v_rcp_f32_e32 v102, v101
	s_waitcnt_depctr 0xfff
	v_fma_f32 v103, -v101, v102, 1.0
	v_fmac_f32_e32 v102, v103, v102
	v_cndmask_b32_e64 v103, v110, v109, s4
	v_cmp_eq_u32_e64 s4, 2, v74
	s_delay_alu instid0(VALU_DEP_3) | instskip(NEXT) | instid1(VALU_DEP_2)
	v_mul_f32_e32 v106, v104, v102
	v_cndmask_b32_e64 v103, v103, v111, s4
	v_cmp_eq_u32_e64 s4, 3, v74
	s_delay_alu instid0(VALU_DEP_3) | instskip(NEXT) | instid1(VALU_DEP_2)
	v_fma_f32 v108, -v101, v106, v104
	v_cndmask_b32_e64 v103, v103, v112, s4
	v_cmp_eq_u32_e64 s4, 4, v74
	s_delay_alu instid0(VALU_DEP_3) | instskip(NEXT) | instid1(VALU_DEP_2)
	v_fmac_f32_e32 v106, v108, v102
	v_cndmask_b32_e64 v103, v103, v107, s4
	s_delay_alu instid0(VALU_DEP_2) | instskip(SKIP_1) | instid1(VALU_DEP_2)
	v_fma_f32 v101, -v101, v106, v104
	v_cmp_eq_u32_e64 s4, 5, v74
	v_div_fmas_f32 v101, v101, v102, v106
	s_delay_alu instid0(VALU_DEP_2) | instskip(SKIP_2) | instid1(VALU_DEP_3)
	v_cndmask_b32_e64 v103, v103, v105, s4
	v_cmp_eq_u32_e32 vcc_lo, 6, v74
	s_mov_b32 s4, exec_lo
	v_div_fixup_f32 v100, v101, v100, 1.0
	s_delay_alu instid0(VALU_DEP_3) | instskip(SKIP_1) | instid1(VALU_DEP_2)
	v_cndmask_b32_e32 v90, v103, v90, vcc_lo
	v_cmp_eq_u32_e32 vcc_lo, 7, v74
	v_cndmask_b32_e32 v90, v90, v99, vcc_lo
	s_delay_alu instid0(VALU_DEP_1) | instskip(NEXT) | instid1(VALU_DEP_1)
	v_mul_f32_e32 v90, v90, v100
	v_mul_f32_e32 v100, v90, v92
	;; [unrolled: 1-line block ×6, first 2 shown]
	v_and_b32_e32 v101, 0x7f800000, v100
	v_mul_f32_e32 v99, v90, v95
	v_mul_f32_e32 v95, v90, v91
	v_mul_f32_e32 v96, v90, v93
                                        ; implicit-def: $vgpr91
	s_delay_alu instid0(VALU_DEP_4)
	v_cmpx_ne_u32_e32 0x7f800000, v101
	s_xor_b32 s4, exec_lo, s4
; %bb.15:
	v_bfe_u32 v91, v100, 16, 1
	s_delay_alu instid0(VALU_DEP_1)
	v_add3_u32 v91, v100, v91, 0x7fff
                                        ; implicit-def: $vgpr100
; %bb.16:
	s_and_not1_saveexec_b32 s4, s4
; %bb.17:
	v_and_b32_e32 v91, 0xffff, v100
	v_or_b32_e32 v93, 0x10000, v100
	s_delay_alu instid0(VALU_DEP_2) | instskip(NEXT) | instid1(VALU_DEP_2)
	v_cmp_eq_u32_e32 vcc_lo, 0, v91
	v_cndmask_b32_e32 v91, v93, v100, vcc_lo
; %bb.18:
	s_or_b32 exec_lo, exec_lo, s4
	v_and_b32_e32 v93, 0x7f800000, v95
	s_delay_alu instid0(VALU_DEP_1) | instskip(SKIP_1) | instid1(SALU_CYCLE_1)
	v_cmp_ne_u32_e32 vcc_lo, 0x7f800000, v93
                                        ; implicit-def: $vgpr93
	s_and_saveexec_b32 s4, vcc_lo
	s_xor_b32 s4, exec_lo, s4
; %bb.19:
	v_bfe_u32 v93, v95, 16, 1
	s_delay_alu instid0(VALU_DEP_1)
	v_add3_u32 v93, v95, v93, 0x7fff
                                        ; implicit-def: $vgpr95
; %bb.20:
	s_and_not1_saveexec_b32 s4, s4
; %bb.21:
	v_and_b32_e32 v93, 0xffff, v95
	v_or_b32_e32 v100, 0x10000, v95
	s_delay_alu instid0(VALU_DEP_2) | instskip(NEXT) | instid1(VALU_DEP_2)
	v_cmp_eq_u32_e32 vcc_lo, 0, v93
	v_cndmask_b32_e32 v93, v100, v95, vcc_lo
; %bb.22:
	s_or_b32 exec_lo, exec_lo, s4
	v_and_b32_e32 v95, 0x7f800000, v96
	s_delay_alu instid0(VALU_DEP_1) | instskip(SKIP_1) | instid1(SALU_CYCLE_1)
	v_cmp_ne_u32_e32 vcc_lo, 0x7f800000, v95
                                        ; implicit-def: $vgpr95
	s_and_saveexec_b32 s4, vcc_lo
	s_xor_b32 s4, exec_lo, s4
; %bb.23:
	v_bfe_u32 v95, v96, 16, 1
	s_delay_alu instid0(VALU_DEP_1)
	v_add3_u32 v95, v96, v95, 0x7fff
                                        ; implicit-def: $vgpr96
; %bb.24:
	s_and_not1_saveexec_b32 s4, s4
; %bb.25:
	v_and_b32_e32 v95, 0xffff, v96
	v_or_b32_e32 v100, 0x10000, v96
	s_delay_alu instid0(VALU_DEP_2) | instskip(NEXT) | instid1(VALU_DEP_2)
	v_cmp_eq_u32_e32 vcc_lo, 0, v95
	v_cndmask_b32_e32 v95, v100, v96, vcc_lo
; %bb.26:
	s_or_b32 exec_lo, exec_lo, s4
	v_and_b32_e32 v96, 0x7f800000, v99
	s_delay_alu instid0(VALU_DEP_1) | instskip(SKIP_1) | instid1(SALU_CYCLE_1)
	v_cmp_ne_u32_e32 vcc_lo, 0x7f800000, v96
                                        ; implicit-def: $vgpr96
	s_and_saveexec_b32 s4, vcc_lo
	s_xor_b32 s4, exec_lo, s4
; %bb.27:
	v_bfe_u32 v96, v99, 16, 1
	s_delay_alu instid0(VALU_DEP_1)
	v_add3_u32 v96, v99, v96, 0x7fff
                                        ; implicit-def: $vgpr99
; %bb.28:
	s_and_not1_saveexec_b32 s4, s4
; %bb.29:
	v_and_b32_e32 v96, 0xffff, v99
	v_or_b32_e32 v100, 0x10000, v99
	s_delay_alu instid0(VALU_DEP_2) | instskip(NEXT) | instid1(VALU_DEP_2)
	v_cmp_eq_u32_e32 vcc_lo, 0, v96
	v_cndmask_b32_e32 v96, v100, v99, vcc_lo
; %bb.30:
	s_or_b32 exec_lo, exec_lo, s4
	v_and_b32_e32 v99, 0x7f800000, v98
	s_delay_alu instid0(VALU_DEP_1) | instskip(SKIP_1) | instid1(SALU_CYCLE_1)
	v_cmp_ne_u32_e32 vcc_lo, 0x7f800000, v99
                                        ; implicit-def: $vgpr99
	s_and_saveexec_b32 s4, vcc_lo
	s_xor_b32 s4, exec_lo, s4
; %bb.31:
	v_bfe_u32 v99, v98, 16, 1
	s_delay_alu instid0(VALU_DEP_1)
	v_add3_u32 v99, v98, v99, 0x7fff
                                        ; implicit-def: $vgpr98
; %bb.32:
	s_and_not1_saveexec_b32 s4, s4
; %bb.33:
	v_and_b32_e32 v99, 0xffff, v98
	v_or_b32_e32 v100, 0x10000, v98
	s_delay_alu instid0(VALU_DEP_2) | instskip(NEXT) | instid1(VALU_DEP_2)
	v_cmp_eq_u32_e32 vcc_lo, 0, v99
	v_cndmask_b32_e32 v99, v100, v98, vcc_lo
; %bb.34:
	s_or_b32 exec_lo, exec_lo, s4
	v_and_b32_e32 v98, 0x7f800000, v97
	s_delay_alu instid0(VALU_DEP_1) | instskip(SKIP_1) | instid1(SALU_CYCLE_1)
	v_cmp_ne_u32_e32 vcc_lo, 0x7f800000, v98
                                        ; implicit-def: $vgpr98
	s_and_saveexec_b32 s4, vcc_lo
	s_xor_b32 s4, exec_lo, s4
; %bb.35:
	v_bfe_u32 v98, v97, 16, 1
	s_delay_alu instid0(VALU_DEP_1)
	v_add3_u32 v98, v97, v98, 0x7fff
                                        ; implicit-def: $vgpr97
; %bb.36:
	s_and_not1_saveexec_b32 s4, s4
; %bb.37:
	v_and_b32_e32 v98, 0xffff, v97
	v_or_b32_e32 v100, 0x10000, v97
	s_delay_alu instid0(VALU_DEP_2) | instskip(NEXT) | instid1(VALU_DEP_2)
	v_cmp_eq_u32_e32 vcc_lo, 0, v98
	v_cndmask_b32_e32 v98, v100, v97, vcc_lo
; %bb.38:
	s_or_b32 exec_lo, exec_lo, s4
	v_and_b32_e32 v97, 0x7f800000, v94
	s_delay_alu instid0(VALU_DEP_1) | instskip(SKIP_1) | instid1(SALU_CYCLE_1)
	v_cmp_ne_u32_e32 vcc_lo, 0x7f800000, v97
                                        ; implicit-def: $vgpr97
	s_and_saveexec_b32 s4, vcc_lo
	s_xor_b32 s4, exec_lo, s4
; %bb.39:
	v_bfe_u32 v97, v94, 16, 1
	s_delay_alu instid0(VALU_DEP_1)
	v_add3_u32 v97, v94, v97, 0x7fff
                                        ; implicit-def: $vgpr94
; %bb.40:
	s_and_not1_saveexec_b32 s4, s4
; %bb.41:
	v_and_b32_e32 v97, 0xffff, v94
	v_or_b32_e32 v100, 0x10000, v94
	s_delay_alu instid0(VALU_DEP_2) | instskip(NEXT) | instid1(VALU_DEP_2)
	v_cmp_eq_u32_e32 vcc_lo, 0, v97
	v_cndmask_b32_e32 v97, v100, v94, vcc_lo
; %bb.42:
	s_or_b32 exec_lo, exec_lo, s4
	v_and_b32_e32 v94, 0x7f800000, v92
	s_delay_alu instid0(VALU_DEP_1) | instskip(SKIP_1) | instid1(SALU_CYCLE_1)
	v_cmp_ne_u32_e32 vcc_lo, 0x7f800000, v94
                                        ; implicit-def: $vgpr94
	s_and_saveexec_b32 s4, vcc_lo
	s_xor_b32 s4, exec_lo, s4
; %bb.43:
	v_bfe_u32 v94, v92, 16, 1
	s_delay_alu instid0(VALU_DEP_1)
	v_add3_u32 v94, v92, v94, 0x7fff
                                        ; implicit-def: $vgpr92
; %bb.44:
	s_and_not1_saveexec_b32 s4, s4
; %bb.45:
	v_and_b32_e32 v94, 0xffff, v92
	v_or_b32_e32 v100, 0x10000, v92
	s_delay_alu instid0(VALU_DEP_2) | instskip(NEXT) | instid1(VALU_DEP_2)
	v_cmp_eq_u32_e32 vcc_lo, 0, v94
	v_cndmask_b32_e32 v94, v100, v92, vcc_lo
; %bb.46:
	s_or_b32 exec_lo, exec_lo, s4
	s_load_b64 s[36:37], s[0:1], 0x94
	v_lshlrev_b32_e32 v92, 4, v83
	s_delay_alu instid0(VALU_DEP_2)
	v_perm_b32 v100, v94, v97, 0x7060302
	v_dual_mul_f32 v89, v90, v89 :: v_dual_lshlrev_b32 v94, 11, v74
	v_perm_b32 v97, v93, v91, 0x7060302
	v_mul_f32_e32 v93, v90, v77
	v_perm_b32 v99, v98, v99, 0x7060302
	v_perm_b32 v98, v96, v95, 0x7060302
	v_or3_b32 v77, v92, v94, v85
	v_mul_f32_e32 v88, v90, v88
	v_dual_mul_f32 v87, v90, v87 :: v_dual_and_b32 v94, 0x7f800000, v93
	v_mul_f32_e32 v86, v90, v86
	v_mul_f32_e32 v91, v90, v80
	;; [unrolled: 1-line block ×4, first 2 shown]
	s_mov_b32 s4, exec_lo
	ds_store_b128 v77, v[97:100]
                                        ; implicit-def: $vgpr78
	v_cmpx_ne_u32_e32 0x7f800000, v94
	s_xor_b32 s4, exec_lo, s4
; %bb.47:
	v_bfe_u32 v78, v93, 16, 1
	s_delay_alu instid0(VALU_DEP_1)
	v_add3_u32 v78, v93, v78, 0x7fff
                                        ; implicit-def: $vgpr93
; %bb.48:
	s_and_not1_saveexec_b32 s4, s4
; %bb.49:
	v_and_b32_e32 v78, 0xffff, v93
	v_or_b32_e32 v79, 0x10000, v93
	s_delay_alu instid0(VALU_DEP_2) | instskip(NEXT) | instid1(VALU_DEP_2)
	v_cmp_eq_u32_e32 vcc_lo, 0, v78
	v_cndmask_b32_e32 v78, v79, v93, vcc_lo
; %bb.50:
	s_or_b32 exec_lo, exec_lo, s4
	v_and_b32_e32 v79, 0x7f800000, v80
	s_delay_alu instid0(VALU_DEP_1) | instskip(SKIP_1) | instid1(SALU_CYCLE_1)
	v_cmp_ne_u32_e32 vcc_lo, 0x7f800000, v79
                                        ; implicit-def: $vgpr79
	s_and_saveexec_b32 s4, vcc_lo
	s_xor_b32 s4, exec_lo, s4
; %bb.51:
	v_bfe_u32 v79, v80, 16, 1
	s_delay_alu instid0(VALU_DEP_1)
	v_add3_u32 v79, v80, v79, 0x7fff
                                        ; implicit-def: $vgpr80
; %bb.52:
	s_and_not1_saveexec_b32 s4, s4
; %bb.53:
	v_and_b32_e32 v79, 0xffff, v80
	v_or_b32_e32 v90, 0x10000, v80
	s_delay_alu instid0(VALU_DEP_2) | instskip(NEXT) | instid1(VALU_DEP_2)
	v_cmp_eq_u32_e32 vcc_lo, 0, v79
	v_cndmask_b32_e32 v79, v90, v80, vcc_lo
; %bb.54:
	s_or_b32 exec_lo, exec_lo, s4
	v_and_b32_e32 v80, 0x7f800000, v92
	s_delay_alu instid0(VALU_DEP_1) | instskip(SKIP_1) | instid1(SALU_CYCLE_1)
	v_cmp_ne_u32_e32 vcc_lo, 0x7f800000, v80
                                        ; implicit-def: $vgpr80
	s_and_saveexec_b32 s4, vcc_lo
	s_xor_b32 s4, exec_lo, s4
; %bb.55:
	v_bfe_u32 v80, v92, 16, 1
	s_delay_alu instid0(VALU_DEP_1)
	v_add3_u32 v80, v92, v80, 0x7fff
                                        ; implicit-def: $vgpr92
; %bb.56:
	s_and_not1_saveexec_b32 s4, s4
; %bb.57:
	v_and_b32_e32 v80, 0xffff, v92
	v_or_b32_e32 v90, 0x10000, v92
	s_delay_alu instid0(VALU_DEP_2) | instskip(NEXT) | instid1(VALU_DEP_2)
	v_cmp_eq_u32_e32 vcc_lo, 0, v80
	v_cndmask_b32_e32 v80, v90, v92, vcc_lo
; %bb.58:
	s_or_b32 exec_lo, exec_lo, s4
	v_and_b32_e32 v90, 0x7f800000, v91
	s_delay_alu instid0(VALU_DEP_1) | instskip(SKIP_1) | instid1(SALU_CYCLE_1)
	v_cmp_ne_u32_e32 vcc_lo, 0x7f800000, v90
                                        ; implicit-def: $vgpr90
	s_and_saveexec_b32 s4, vcc_lo
	s_xor_b32 s4, exec_lo, s4
; %bb.59:
	v_bfe_u32 v90, v91, 16, 1
	s_delay_alu instid0(VALU_DEP_1)
	v_add3_u32 v90, v91, v90, 0x7fff
                                        ; implicit-def: $vgpr91
; %bb.60:
	s_and_not1_saveexec_b32 s4, s4
; %bb.61:
	v_and_b32_e32 v90, 0xffff, v91
	v_or_b32_e32 v92, 0x10000, v91
	s_delay_alu instid0(VALU_DEP_2) | instskip(NEXT) | instid1(VALU_DEP_2)
	v_cmp_eq_u32_e32 vcc_lo, 0, v90
	v_cndmask_b32_e32 v90, v92, v91, vcc_lo
; %bb.62:
	s_or_b32 exec_lo, exec_lo, s4
	v_and_b32_e32 v91, 0x7f800000, v86
	s_delay_alu instid0(VALU_DEP_1) | instskip(SKIP_1) | instid1(SALU_CYCLE_1)
	v_cmp_ne_u32_e32 vcc_lo, 0x7f800000, v91
                                        ; implicit-def: $vgpr91
	s_and_saveexec_b32 s4, vcc_lo
	s_xor_b32 s4, exec_lo, s4
; %bb.63:
	v_bfe_u32 v91, v86, 16, 1
	s_delay_alu instid0(VALU_DEP_1)
	v_add3_u32 v91, v86, v91, 0x7fff
                                        ; implicit-def: $vgpr86
; %bb.64:
	s_and_not1_saveexec_b32 s4, s4
; %bb.65:
	v_and_b32_e32 v91, 0xffff, v86
	v_or_b32_e32 v92, 0x10000, v86
	s_delay_alu instid0(VALU_DEP_2) | instskip(NEXT) | instid1(VALU_DEP_2)
	v_cmp_eq_u32_e32 vcc_lo, 0, v91
	v_cndmask_b32_e32 v91, v92, v86, vcc_lo
; %bb.66:
	s_or_b32 exec_lo, exec_lo, s4
	v_and_b32_e32 v86, 0x7f800000, v87
	s_delay_alu instid0(VALU_DEP_1) | instskip(SKIP_1) | instid1(SALU_CYCLE_1)
	v_cmp_ne_u32_e32 vcc_lo, 0x7f800000, v86
                                        ; implicit-def: $vgpr86
	s_and_saveexec_b32 s4, vcc_lo
	s_xor_b32 s4, exec_lo, s4
; %bb.67:
	v_bfe_u32 v86, v87, 16, 1
	s_delay_alu instid0(VALU_DEP_1)
	v_add3_u32 v86, v87, v86, 0x7fff
                                        ; implicit-def: $vgpr87
; %bb.68:
	s_and_not1_saveexec_b32 s4, s4
; %bb.69:
	v_and_b32_e32 v86, 0xffff, v87
	v_or_b32_e32 v92, 0x10000, v87
	s_delay_alu instid0(VALU_DEP_2) | instskip(NEXT) | instid1(VALU_DEP_2)
	v_cmp_eq_u32_e32 vcc_lo, 0, v86
	v_cndmask_b32_e32 v86, v92, v87, vcc_lo
; %bb.70:
	s_or_b32 exec_lo, exec_lo, s4
	v_and_b32_e32 v87, 0x7f800000, v88
	s_delay_alu instid0(VALU_DEP_1) | instskip(SKIP_1) | instid1(SALU_CYCLE_1)
	v_cmp_ne_u32_e32 vcc_lo, 0x7f800000, v87
                                        ; implicit-def: $vgpr87
	s_and_saveexec_b32 s4, vcc_lo
	s_xor_b32 s4, exec_lo, s4
; %bb.71:
	v_bfe_u32 v87, v88, 16, 1
	s_delay_alu instid0(VALU_DEP_1)
	v_add3_u32 v87, v88, v87, 0x7fff
                                        ; implicit-def: $vgpr88
; %bb.72:
	s_and_not1_saveexec_b32 s4, s4
; %bb.73:
	v_and_b32_e32 v87, 0xffff, v88
	v_or_b32_e32 v92, 0x10000, v88
	s_delay_alu instid0(VALU_DEP_2) | instskip(NEXT) | instid1(VALU_DEP_2)
	v_cmp_eq_u32_e32 vcc_lo, 0, v87
	v_cndmask_b32_e32 v87, v92, v88, vcc_lo
; %bb.74:
	s_or_b32 exec_lo, exec_lo, s4
	v_and_b32_e32 v88, 0x7f800000, v89
	s_delay_alu instid0(VALU_DEP_1) | instskip(SKIP_1) | instid1(SALU_CYCLE_1)
	v_cmp_ne_u32_e32 vcc_lo, 0x7f800000, v88
                                        ; implicit-def: $vgpr88
	s_and_saveexec_b32 s4, vcc_lo
	s_xor_b32 s4, exec_lo, s4
; %bb.75:
	v_bfe_u32 v88, v89, 16, 1
	s_delay_alu instid0(VALU_DEP_1)
	v_add3_u32 v88, v89, v88, 0x7fff
                                        ; implicit-def: $vgpr89
; %bb.76:
	s_and_not1_saveexec_b32 s4, s4
; %bb.77:
	v_and_b32_e32 v88, 0xffff, v89
	v_or_b32_e32 v92, 0x10000, v89
	s_delay_alu instid0(VALU_DEP_2) | instskip(NEXT) | instid1(VALU_DEP_2)
	v_cmp_eq_u32_e32 vcc_lo, 0, v88
	v_cndmask_b32_e32 v88, v92, v89, vcc_lo
; %bb.78:
	s_or_b32 exec_lo, exec_lo, s4
	s_delay_alu instid0(VALU_DEP_1)
	v_perm_b32 v89, v88, v87, 0x7060302
	v_perm_b32 v88, v86, v91, 0x7060302
	;; [unrolled: 1-line block ×4, first 2 shown]
	v_lshl_or_b32 v90, v74, 11, v85
	ds_store_b128 v77, v[86:89] offset:1024
	s_waitcnt lgkmcnt(0)
	s_barrier
	buffer_gl0_inv
	ds_load_b128 v[91:94], v90
	ds_load_b128 v[95:98], v90 offset:16
	v_lshlrev_b32_e32 v87, 2, v83
	s_delay_alu instid0(VALU_DEP_1)
	v_or_b32_e32 v88, 1, v87
	v_cmp_eq_u32_e32 vcc_lo, 1, v87
	v_cmp_eq_u32_e64 s5, 2, v87
	v_cmp_eq_u32_e64 s8, 3, v87
	;; [unrolled: 1-line block ×6, first 2 shown]
	v_or_b32_e32 v86, 2, v87
	v_cmp_eq_u32_e64 s11, 5, v87
	v_cmp_eq_u32_e64 s12, 4, v88
	;; [unrolled: 1-line block ×4, first 2 shown]
	s_waitcnt lgkmcnt(1)
	v_lshrrev_b32_e32 v74, 16, v91
	s_waitcnt lgkmcnt(0)
	v_lshrrev_b32_e32 v103, 16, v95
	v_lshrrev_b32_e32 v80, 16, v94
	;; [unrolled: 1-line block ×4, first 2 shown]
	v_cndmask_b32_e32 v89, v91, v74, vcc_lo
	v_cndmask_b32_e32 v99, v95, v103, vcc_lo
	v_cndmask_b32_e64 v100, v91, v74, s4
	v_lshrrev_b32_e32 v79, 16, v93
	v_lshrrev_b32_e32 v108, 16, v97
	v_cndmask_b32_e64 v89, v89, v92, s5
	v_cndmask_b32_e64 v99, v99, v96, s5
	;; [unrolled: 1-line block ×4, first 2 shown]
	v_cmp_eq_u32_e64 s6, 1, v86
	v_cndmask_b32_e64 v89, v89, v78, s8
	v_cndmask_b32_e64 v99, v99, v107, s8
	v_cndmask_b32_e64 v100, v100, v78, s9
	v_cndmask_b32_e64 v101, v101, v96, s7
	v_lshrrev_b32_e32 v109, 16, v98
	v_cndmask_b32_e64 v89, v89, v93, s10
	v_cndmask_b32_e64 v99, v99, v97, s10
	;; [unrolled: 1-line block ×8, first 2 shown]
	v_cmp_eq_u32_e64 s16, 7, v87
	v_cmp_eq_u32_e64 s17, 6, v88
	v_cndmask_b32_e64 v89, v89, v94, s13
	v_cndmask_b32_e64 v99, v99, v98, s13
	v_cmp_eq_u32_e64 s18, 2, v86
	v_cndmask_b32_e64 v101, v101, v97, s12
	v_cndmask_b32_e64 v100, v100, v94, s17
	;; [unrolled: 1-line block ×6, first 2 shown]
	v_cmp_eq_u32_e64 s19, 7, v88
	v_cmp_eq_u32_e64 s20, 3, v86
	;; [unrolled: 1-line block ×4, first 2 shown]
	v_cndmask_b32_e64 v99, v99, v96, s18
	v_cndmask_b32_e64 v112, v100, v80, s19
	v_cndmask_b32_e64 v100, v101, v108, s15
	v_cndmask_b32_e64 v101, v89, v78, s20
	v_or_b32_e32 v89, 3, v87
	v_cndmask_b32_e64 v105, v99, v107, s20
	v_cmp_eq_u32_e64 s25, 6, v86
	v_cndmask_b32_e64 v113, v100, v98, s17
	v_cndmask_b32_e64 v104, v101, v93, s21
	ds_load_b128 v[99:102], v90 offset:1024
	v_cmp_eq_u32_e64 s22, 1, v89
	v_cmp_eq_u32_e64 s24, 2, v89
	;; [unrolled: 1-line block ×3, first 2 shown]
	v_cndmask_b32_e64 v114, v104, v79, s23
	v_cmp_eq_u32_e64 s27, 4, v89
	v_cndmask_b32_e64 v74, v91, v74, s22
	v_cndmask_b32_e64 v91, v105, v97, s21
	;; [unrolled: 1-line block ×3, first 2 shown]
	ds_load_b128 v[103:106], v90 offset:1040
	v_cmp_eq_u32_e64 s29, 5, v89
	v_cndmask_b32_e64 v74, v74, v92, s24
	v_cndmask_b32_e64 v91, v91, v108, s23
	;; [unrolled: 1-line block ×3, first 2 shown]
	v_cmp_eq_u32_e64 s30, 6, v89
	v_cndmask_b32_e64 v95, v113, v109, s19
	v_cndmask_b32_e64 v74, v74, v78, s26
	;; [unrolled: 1-line block ×5, first 2 shown]
	s_waitcnt lgkmcnt(1)
	v_lshrrev_b32_e32 v96, 16, v99
	v_cndmask_b32_e64 v74, v74, v93, s27
	v_lshrrev_b32_e32 v107, 16, v100
	v_cndmask_b32_e64 v92, v92, v97, s27
	v_cmp_eq_u32_e64 s28, 7, v86
	v_cndmask_b32_e32 v93, v99, v96, vcc_lo
	v_cndmask_b32_e64 v74, v74, v79, s29
	s_delay_alu instid0(VALU_DEP_4)
	v_cndmask_b32_e64 v79, v92, v108, s29
	s_waitcnt lgkmcnt(0)
	v_lshrrev_b32_e32 v97, 16, v103
	v_cndmask_b32_e64 v92, v93, v100, s5
	v_cndmask_b32_e64 v93, v99, v96, s4
	;; [unrolled: 1-line block ×4, first 2 shown]
	v_cndmask_b32_e32 v108, v103, v97, vcc_lo
	v_cndmask_b32_e64 v92, v92, v107, s8
	v_cndmask_b32_e64 v93, v93, v100, s7
	v_lshrrev_b32_e32 v98, 16, v104
	v_cmp_eq_u32_e32 vcc_lo, 7, v89
	v_cndmask_b32_e64 v94, v108, v104, s5
	v_cndmask_b32_e64 v92, v92, v101, s10
	v_lshrrev_b32_e32 v108, 16, v101
	v_cndmask_b32_e64 v93, v93, v107, s9
	v_cndmask_b32_e32 v74, v74, v80, vcc_lo
	v_cndmask_b32_e64 v94, v94, v98, s8
	v_cndmask_b32_e32 v79, v79, v109, vcc_lo
	v_cndmask_b32_e64 v92, v92, v108, s11
	v_cndmask_b32_e64 v78, v78, v80, s28
	;; [unrolled: 1-line block ×4, first 2 shown]
	v_perm_b32 v94, v79, v74, 0x5040100
	v_cndmask_b32_e64 v79, v92, v102, s13
	v_perm_b32 v92, v95, v112, 0x5040100
	v_cndmask_b32_e64 v95, v99, v96, s6
	v_cndmask_b32_e64 v96, v99, v96, s22
	;; [unrolled: 1-line block ×16, first 2 shown]
	v_lshrrev_b32_e32 v109, 16, v105
	v_cndmask_b32_e64 v95, v95, v101, s21
	v_cndmask_b32_e64 v96, v96, v101, s27
	;; [unrolled: 1-line block ×6, first 2 shown]
	v_lshrrev_b32_e32 v80, 16, v102
	v_cndmask_b32_e64 v113, v93, v109, s11
	v_cndmask_b32_e64 v95, v95, v108, s23
	;; [unrolled: 1-line block ×6, first 2 shown]
	v_perm_b32 v93, v91, v78, 0x5040100
	v_cndmask_b32_e64 v74, v74, v102, s17
	v_cndmask_b32_e64 v78, v79, v80, s16
	;; [unrolled: 1-line block ×3, first 2 shown]
	v_lshrrev_b32_e32 v91, 16, v106
	v_cndmask_b32_e64 v95, v95, v102, s25
	v_cndmask_b32_e64 v96, v96, v102, s30
	v_cndmask_b32_e64 v98, v98, v106, s30
	v_cndmask_b32_e64 v99, v99, v106, s25
	v_cndmask_b32_e64 v97, v97, v106, s17
	v_cndmask_b32_e64 v74, v74, v80, s19
	v_cndmask_b32_e64 v95, v95, v80, s28
	v_cndmask_b32_e32 v80, v96, v80, vcc_lo
	v_cndmask_b32_e32 v96, v98, v91, vcc_lo
	v_cndmask_b32_e64 v99, v99, v91, s28
	v_cndmask_b32_e64 v100, v97, v91, s19
	;; [unrolled: 1-line block ×3, first 2 shown]
	v_perm_b32 v91, v111, v110, 0x5040100
	v_perm_b32 v98, v96, v80, 0x5040100
	;; [unrolled: 1-line block ×5, first 2 shown]
	s_mul_i32 s9, s37, 5
	s_mov_b32 s4, exec_lo
	ds_store_b128 v77, v[91:94]
	ds_store_b128 v77, v[95:98] offset:1024
	v_cmpx_gt_u32_e32 5, v0
	s_cbranch_execz .LBB542_80
; %bb.79:
	s_mul_i32 s5, s9, s34
	s_load_b128 s[16:19], s[0:1], 0x58
	v_add3_u32 v77, s5, s31, v73
	s_delay_alu instid0(VALU_DEP_1) | instskip(NEXT) | instid1(VALU_DEP_1)
	v_mad_u64_u32 v[73:74], null, v77, s36, s[14:15]
	v_ashrrev_i32_e32 v74, 31, v73
	s_delay_alu instid0(VALU_DEP_1) | instskip(SKIP_1) | instid1(VALU_DEP_1)
	v_lshlrev_b64 v[73:74], 2, v[73:74]
	s_waitcnt lgkmcnt(0)
	v_add_co_u32 v77, vcc_lo, s18, v73
	s_delay_alu instid0(VALU_DEP_2)
	v_add_co_ci_u32_e32 v78, vcc_lo, s19, v74, vcc_lo
	v_add_co_u32 v73, vcc_lo, s16, v73
	v_add_co_ci_u32_e32 v74, vcc_lo, s17, v74, vcc_lo
	global_store_b32 v[77:78], v75, off
	global_store_b32 v[73:74], v76, off
.LBB542_80:
	s_or_b32 exec_lo, exec_lo, s4
	s_waitcnt lgkmcnt(0)
	s_waitcnt_vscnt null, 0x0
	s_barrier
	buffer_gl0_inv
	ds_load_b128 v[91:94], v85
	ds_load_b128 v[95:98], v85 offset:16
	ds_load_b128 v[103:106], v85 offset:1040
	ds_load_b128 v[99:102], v85 offset:1024
	v_mov_b32_e32 v73, 0
	ds_load_b128 v[111:114], v85 offset:2064
	ds_load_b128 v[107:110], v85 offset:2048
	ds_load_b128 v[119:122], v85 offset:3088
	ds_load_b128 v[115:118], v85 offset:3072
	ds_load_b128 v[127:130], v85 offset:4112
	ds_load_b128 v[123:126], v85 offset:4096
	v_mov_b32_e32 v74, v73
	v_mov_b32_e32 v75, v73
	;; [unrolled: 1-line block ×7, first 2 shown]
	s_waitcnt lgkmcnt(8)
	s_delay_alu instid0(VALU_DEP_1)
	v_wmma_f32_16x16x16_bf16 v[73:80], v[65:72], v[91:98], v[73:80]
	ds_load_b128 v[69:72], v85 offset:5136
	ds_load_b128 v[65:68], v85 offset:5120
	;; [unrolled: 1-line block ×4, first 2 shown]
	s_waitcnt lgkmcnt(10)
	v_wmma_f32_16x16x16_bf16 v[73:80], v[57:64], v[99:106], v[73:80]
	s_waitcnt lgkmcnt(8)
	s_delay_alu instid0(VALU_DEP_1)
	v_wmma_f32_16x16x16_bf16 v[73:80], v[57:64], v[107:114], v[73:80]
	ds_load_b128 v[61:64], v85 offset:7184
	ds_load_b128 v[57:60], v85 offset:7168
	ds_load_b128 v[103:106], v85 offset:8208
	ds_load_b128 v[99:102], v85 offset:8192
	s_waitcnt lgkmcnt(10)
	v_wmma_f32_16x16x16_bf16 v[73:80], v[49:56], v[115:122], v[73:80]
	s_waitcnt lgkmcnt(8)
	s_delay_alu instid0(VALU_DEP_1)
	v_wmma_f32_16x16x16_bf16 v[73:80], v[49:56], v[123:130], v[73:80]
	ds_load_b128 v[53:56], v85 offset:9232
	ds_load_b128 v[49:52], v85 offset:9216
	s_waitcnt lgkmcnt(8)
	v_wmma_f32_16x16x16_bf16 v[73:80], v[41:48], v[65:72], v[73:80]
	ds_load_b128 v[69:72], v85 offset:10256
	ds_load_b128 v[65:68], v85 offset:10240
	s_waitcnt lgkmcnt(8)
	;; [unrolled: 4-line block ×3, first 2 shown]
	v_wmma_f32_16x16x16_bf16 v[73:80], v[9:16], v[57:64], v[73:80]
	s_waitcnt lgkmcnt(6)
	s_delay_alu instid0(VALU_DEP_1)
	v_wmma_f32_16x16x16_bf16 v[73:80], v[9:16], v[99:106], v[73:80]
	ds_load_b128 v[13:16], v85 offset:12304
	ds_load_b128 v[9:12], v85 offset:12288
	s_waitcnt lgkmcnt(6)
	v_wmma_f32_16x16x16_bf16 v[73:80], v[1:8], v[49:56], v[73:80]
	ds_load_b128 v[53:56], v85 offset:13328
	ds_load_b128 v[49:52], v85 offset:13312
	s_waitcnt lgkmcnt(6)
	;; [unrolled: 4-line block ×4, first 2 shown]
	v_wmma_f32_16x16x16_bf16 v[73:80], v[33:40], v[9:16], v[73:80]
	s_waitcnt lgkmcnt(4)
	s_delay_alu instid0(VALU_DEP_1) | instskip(SKIP_1) | instid1(VALU_DEP_1)
	v_wmma_f32_16x16x16_bf16 v[73:80], v[25:32], v[49:56], v[73:80]
	s_waitcnt lgkmcnt(2)
	v_wmma_f32_16x16x16_bf16 v[73:80], v[25:32], v[1:8], v[73:80]
	s_waitcnt lgkmcnt(0)
	s_delay_alu instid0(VALU_DEP_1) | instskip(NEXT) | instid1(VALU_DEP_1)
	v_wmma_f32_16x16x16_bf16 v[73:80], v[17:24], v[41:48], v[73:80]
	v_and_b32_e32 v1, 0x7f800000, v73
	s_delay_alu instid0(VALU_DEP_1) | instskip(SKIP_1) | instid1(SALU_CYCLE_1)
	v_cmp_ne_u32_e32 vcc_lo, 0x7f800000, v1
                                        ; implicit-def: $vgpr1
	s_and_saveexec_b32 s4, vcc_lo
	s_xor_b32 s4, exec_lo, s4
; %bb.81:
	v_bfe_u32 v1, v73, 16, 1
	s_delay_alu instid0(VALU_DEP_1)
	v_add3_u32 v1, v73, v1, 0x7fff
; %bb.82:
	s_and_not1_saveexec_b32 s4, s4
; %bb.83:
	v_and_b32_e32 v1, 0xffff, v73
	v_or_b32_e32 v2, 0x10000, v73
	s_delay_alu instid0(VALU_DEP_2) | instskip(NEXT) | instid1(VALU_DEP_2)
	v_cmp_eq_u32_e32 vcc_lo, 0, v1
	v_cndmask_b32_e32 v1, v2, v73, vcc_lo
; %bb.84:
	s_or_b32 exec_lo, exec_lo, s4
	v_and_b32_e32 v2, 0x7f800000, v74
	s_delay_alu instid0(VALU_DEP_1) | instskip(SKIP_1) | instid1(SALU_CYCLE_1)
	v_cmp_ne_u32_e32 vcc_lo, 0x7f800000, v2
                                        ; implicit-def: $vgpr2
	s_and_saveexec_b32 s4, vcc_lo
	s_xor_b32 s4, exec_lo, s4
; %bb.85:
	v_bfe_u32 v2, v74, 16, 1
	s_delay_alu instid0(VALU_DEP_1)
	v_add3_u32 v2, v74, v2, 0x7fff
; %bb.86:
	s_and_not1_saveexec_b32 s4, s4
; %bb.87:
	v_and_b32_e32 v2, 0xffff, v74
	v_or_b32_e32 v3, 0x10000, v74
	s_delay_alu instid0(VALU_DEP_2) | instskip(NEXT) | instid1(VALU_DEP_2)
	v_cmp_eq_u32_e32 vcc_lo, 0, v2
	v_cndmask_b32_e32 v2, v3, v74, vcc_lo
; %bb.88:
	s_or_b32 exec_lo, exec_lo, s4
	v_and_b32_e32 v3, 0x7f800000, v75
	s_delay_alu instid0(VALU_DEP_1) | instskip(SKIP_1) | instid1(SALU_CYCLE_1)
	v_cmp_ne_u32_e32 vcc_lo, 0x7f800000, v3
                                        ; implicit-def: $vgpr3
	s_and_saveexec_b32 s4, vcc_lo
	s_xor_b32 s4, exec_lo, s4
; %bb.89:
	v_bfe_u32 v3, v75, 16, 1
	s_delay_alu instid0(VALU_DEP_1)
	v_add3_u32 v3, v75, v3, 0x7fff
; %bb.90:
	s_and_not1_saveexec_b32 s4, s4
; %bb.91:
	v_and_b32_e32 v3, 0xffff, v75
	v_or_b32_e32 v4, 0x10000, v75
	s_delay_alu instid0(VALU_DEP_2) | instskip(NEXT) | instid1(VALU_DEP_2)
	v_cmp_eq_u32_e32 vcc_lo, 0, v3
	v_cndmask_b32_e32 v3, v4, v75, vcc_lo
; %bb.92:
	s_or_b32 exec_lo, exec_lo, s4
	v_and_b32_e32 v4, 0x7f800000, v76
	s_delay_alu instid0(VALU_DEP_1) | instskip(SKIP_1) | instid1(SALU_CYCLE_1)
	v_cmp_ne_u32_e32 vcc_lo, 0x7f800000, v4
                                        ; implicit-def: $vgpr4
	s_and_saveexec_b32 s4, vcc_lo
	s_xor_b32 s4, exec_lo, s4
; %bb.93:
	v_bfe_u32 v4, v76, 16, 1
	s_delay_alu instid0(VALU_DEP_1)
	v_add3_u32 v4, v76, v4, 0x7fff
; %bb.94:
	s_and_not1_saveexec_b32 s4, s4
; %bb.95:
	v_and_b32_e32 v4, 0xffff, v76
	v_or_b32_e32 v5, 0x10000, v76
	s_delay_alu instid0(VALU_DEP_2) | instskip(NEXT) | instid1(VALU_DEP_2)
	v_cmp_eq_u32_e32 vcc_lo, 0, v4
	v_cndmask_b32_e32 v4, v5, v76, vcc_lo
; %bb.96:
	s_or_b32 exec_lo, exec_lo, s4
	v_and_b32_e32 v5, 0x7f800000, v77
	s_delay_alu instid0(VALU_DEP_1) | instskip(SKIP_1) | instid1(SALU_CYCLE_1)
	v_cmp_ne_u32_e32 vcc_lo, 0x7f800000, v5
                                        ; implicit-def: $vgpr5
	s_and_saveexec_b32 s4, vcc_lo
	s_xor_b32 s4, exec_lo, s4
; %bb.97:
	v_bfe_u32 v5, v77, 16, 1
	s_delay_alu instid0(VALU_DEP_1)
	v_add3_u32 v5, v77, v5, 0x7fff
; %bb.98:
	s_and_not1_saveexec_b32 s4, s4
; %bb.99:
	v_and_b32_e32 v5, 0xffff, v77
	v_or_b32_e32 v6, 0x10000, v77
	s_delay_alu instid0(VALU_DEP_2) | instskip(NEXT) | instid1(VALU_DEP_2)
	v_cmp_eq_u32_e32 vcc_lo, 0, v5
	v_cndmask_b32_e32 v5, v6, v77, vcc_lo
; %bb.100:
	s_or_b32 exec_lo, exec_lo, s4
	v_and_b32_e32 v6, 0x7f800000, v78
	s_delay_alu instid0(VALU_DEP_1) | instskip(SKIP_1) | instid1(SALU_CYCLE_1)
	v_cmp_ne_u32_e32 vcc_lo, 0x7f800000, v6
                                        ; implicit-def: $vgpr6
	s_and_saveexec_b32 s4, vcc_lo
	s_xor_b32 s4, exec_lo, s4
; %bb.101:
	v_bfe_u32 v6, v78, 16, 1
	s_delay_alu instid0(VALU_DEP_1)
	v_add3_u32 v6, v78, v6, 0x7fff
; %bb.102:
	s_and_not1_saveexec_b32 s4, s4
; %bb.103:
	v_and_b32_e32 v6, 0xffff, v78
	v_or_b32_e32 v7, 0x10000, v78
	s_delay_alu instid0(VALU_DEP_2) | instskip(NEXT) | instid1(VALU_DEP_2)
	v_cmp_eq_u32_e32 vcc_lo, 0, v6
	v_cndmask_b32_e32 v6, v7, v78, vcc_lo
; %bb.104:
	s_or_b32 exec_lo, exec_lo, s4
	v_and_b32_e32 v7, 0x7f800000, v79
	s_delay_alu instid0(VALU_DEP_1) | instskip(SKIP_1) | instid1(SALU_CYCLE_1)
	v_cmp_ne_u32_e32 vcc_lo, 0x7f800000, v7
                                        ; implicit-def: $vgpr7
	s_and_saveexec_b32 s4, vcc_lo
	s_xor_b32 s4, exec_lo, s4
; %bb.105:
	v_bfe_u32 v7, v79, 16, 1
	s_delay_alu instid0(VALU_DEP_1)
	v_add3_u32 v7, v79, v7, 0x7fff
; %bb.106:
	s_and_not1_saveexec_b32 s4, s4
; %bb.107:
	v_and_b32_e32 v7, 0xffff, v79
	v_or_b32_e32 v8, 0x10000, v79
	s_delay_alu instid0(VALU_DEP_2) | instskip(NEXT) | instid1(VALU_DEP_2)
	v_cmp_eq_u32_e32 vcc_lo, 0, v7
	v_cndmask_b32_e32 v7, v8, v79, vcc_lo
; %bb.108:
	s_or_b32 exec_lo, exec_lo, s4
	v_and_b32_e32 v8, 0x7f800000, v80
	s_delay_alu instid0(VALU_DEP_1) | instskip(SKIP_1) | instid1(SALU_CYCLE_1)
	v_cmp_ne_u32_e32 vcc_lo, 0x7f800000, v8
                                        ; implicit-def: $vgpr8
	s_and_saveexec_b32 s4, vcc_lo
	s_xor_b32 s4, exec_lo, s4
; %bb.109:
	v_bfe_u32 v8, v80, 16, 1
	s_delay_alu instid0(VALU_DEP_1)
	v_add3_u32 v8, v80, v8, 0x7fff
                                        ; implicit-def: $vgpr73_vgpr74_vgpr75_vgpr76_vgpr77_vgpr78_vgpr79_vgpr80
; %bb.110:
	s_and_not1_saveexec_b32 s4, s4
; %bb.111:
	v_and_b32_e32 v8, 0xffff, v80
	v_or_b32_e32 v9, 0x10000, v80
	s_delay_alu instid0(VALU_DEP_2) | instskip(NEXT) | instid1(VALU_DEP_2)
	v_cmp_eq_u32_e32 vcc_lo, 0, v8
	v_cndmask_b32_e32 v8, v9, v80, vcc_lo
; %bb.112:
	s_or_b32 exec_lo, exec_lo, s4
	s_delay_alu instid0(VALU_DEP_1)
	v_perm_b32 v7, v8, v7, 0x7060302
	v_perm_b32 v6, v6, v5, 0x7060302
	;; [unrolled: 1-line block ×4, first 2 shown]
	v_lshl_or_b32 v9, v83, 4, v90
	s_barrier
	buffer_gl0_inv
	v_cmp_eq_u32_e32 vcc_lo, 1, v87
	ds_store_b128 v9, v[4:7]
	s_waitcnt lgkmcnt(0)
	s_barrier
	buffer_gl0_inv
	ds_load_b128 v[1:4], v90
	ds_load_b128 v[5:8], v90 offset:16
	v_cmp_eq_u32_e64 s5, 2, v87
	v_cmp_eq_u32_e64 s4, 1, v88
	;; [unrolled: 1-line block ×5, first 2 shown]
	s_waitcnt lgkmcnt(1)
	v_lshrrev_b32_e32 v10, 16, v1
	s_waitcnt lgkmcnt(0)
	v_lshrrev_b32_e32 v14, 16, v5
	v_lshrrev_b32_e32 v15, 16, v6
	v_lshrrev_b32_e32 v11, 16, v2
	v_lshrrev_b32_e32 v12, 16, v3
	v_cndmask_b32_e64 v20, v1, v10, s4
	v_cndmask_b32_e32 v19, v5, v14, vcc_lo
	v_cndmask_b32_e64 v21, v5, v14, s4
	v_lshrrev_b32_e32 v16, 16, v7
	v_cmp_eq_u32_e64 s4, 1, v86
	v_lshrrev_b32_e32 v13, 16, v4
	v_cndmask_b32_e64 v19, v19, v6, s5
	v_lshrrev_b32_e32 v17, 16, v8
	s_delay_alu instid0(VALU_DEP_4) | instskip(SKIP_1) | instid1(VALU_DEP_4)
	v_cndmask_b32_e64 v22, v1, v10, s4
	v_cndmask_b32_e64 v23, v5, v14, s4
	;; [unrolled: 1-line block ×3, first 2 shown]
	v_cndmask_b32_e32 v18, v1, v10, vcc_lo
	v_cmp_eq_u32_e32 vcc_lo, 2, v88
	v_cmp_eq_u32_e64 s4, 2, v89
	v_cndmask_b32_e64 v22, v22, v2, s8
	v_cndmask_b32_e32 v20, v20, v2, vcc_lo
	v_cndmask_b32_e32 v21, v21, v6, vcc_lo
	v_cmp_eq_u32_e32 vcc_lo, 4, v87
	v_cndmask_b32_e32 v19, v19, v7, vcc_lo
	v_cndmask_b32_e64 v18, v18, v2, s5
	v_cmp_eq_u32_e64 s5, 3, v88
	s_delay_alu instid0(VALU_DEP_2) | instskip(NEXT) | instid1(VALU_DEP_2)
	v_cndmask_b32_e64 v18, v18, v11, s6
	v_cndmask_b32_e64 v21, v21, v15, s5
	v_cmp_eq_u32_e64 s6, 5, v87
	s_delay_alu instid0(VALU_DEP_3) | instskip(SKIP_1) | instid1(VALU_DEP_3)
	v_cndmask_b32_e32 v18, v18, v3, vcc_lo
	v_cmp_eq_u32_e32 vcc_lo, 4, v88
	v_cndmask_b32_e64 v19, v19, v16, s6
	s_delay_alu instid0(VALU_DEP_3) | instskip(SKIP_4) | instid1(VALU_DEP_3)
	v_cndmask_b32_e64 v18, v18, v12, s6
	v_cndmask_b32_e32 v21, v21, v7, vcc_lo
	v_cndmask_b32_e64 v20, v20, v11, s5
	v_cmp_eq_u32_e64 s5, 5, v88
	v_cmp_eq_u32_e64 s6, 6, v87
	v_cndmask_b32_e32 v20, v20, v3, vcc_lo
	s_delay_alu instid0(VALU_DEP_3) | instskip(SKIP_1) | instid1(VALU_DEP_4)
	v_cndmask_b32_e64 v21, v21, v16, s5
	v_cmp_eq_u32_e32 vcc_lo, 6, v88
	v_cndmask_b32_e64 v18, v18, v4, s6
	v_cndmask_b32_e64 v19, v19, v8, s6
	;; [unrolled: 1-line block ×3, first 2 shown]
	v_cmp_eq_u32_e64 s5, 1, v89
	v_cmp_eq_u32_e64 s6, 7, v87
	s_delay_alu instid0(VALU_DEP_3) | instskip(NEXT) | instid1(VALU_DEP_3)
	v_cndmask_b32_e32 v20, v20, v4, vcc_lo
	v_cndmask_b32_e64 v1, v1, v10, s5
	v_cndmask_b32_e64 v5, v5, v14, s5
	v_cmp_eq_u32_e64 s5, 3, v86
	v_cndmask_b32_e64 v14, v23, v6, s8
	v_cmp_eq_u32_e64 s8, 3, v89
	v_cndmask_b32_e64 v1, v1, v2, s4
	v_cndmask_b32_e64 v2, v5, v6, s4
	;; [unrolled: 1-line block ×3, first 2 shown]
	v_cmp_eq_u32_e64 s4, 4, v86
	v_cndmask_b32_e64 v6, v14, v15, s5
	v_cndmask_b32_e64 v1, v1, v11, s8
	v_cmp_eq_u32_e64 s5, 4, v89
	v_cndmask_b32_e64 v2, v2, v15, s8
	v_cndmask_b32_e64 v5, v10, v3, s4
	;; [unrolled: 3-line block ×3, first 2 shown]
	v_cndmask_b32_e64 v2, v2, v7, s5
	v_cmp_eq_u32_e64 s4, 5, v89
	v_cndmask_b32_e64 v5, v5, v12, s8
	v_cmp_eq_u32_e64 s5, 6, v86
	;; [unrolled: 2-line block ×3, first 2 shown]
	v_cndmask_b32_e64 v1, v1, v12, s4
	v_cndmask_b32_e64 v2, v2, v16, s4
	;; [unrolled: 1-line block ×4, first 2 shown]
	v_cmp_eq_u32_e64 s4, 7, v89
	v_cndmask_b32_e64 v1, v1, v4, s8
	v_cndmask_b32_e64 v2, v2, v8, s8
	v_cmp_eq_u32_e64 s5, 7, v86
	v_cndmask_b32_e32 v4, v21, v8, vcc_lo
	v_cndmask_b32_e64 v18, v18, v13, s6
	v_cndmask_b32_e64 v20, v20, v13, s7
	;; [unrolled: 1-line block ×8, first 2 shown]
	v_cmp_gt_u32_e32 vcc_lo, 32, v0
	v_perm_b32 v4, v2, v1, 0x5040100
	v_perm_b32 v3, v3, v5, 0x5040100
	;; [unrolled: 1-line block ×4, first 2 shown]
	s_and_b32 s2, vcc_lo, s2
	ds_store_b128 v9, v[1:4]
	s_waitcnt lgkmcnt(0)
	s_barrier
	buffer_gl0_inv
	s_and_saveexec_b32 s4, s2
	s_cbranch_execz .LBB542_2
; %bb.113:
	s_load_b64 s[4:5], s[0:1], 0x68
	v_lshlrev_b32_e32 v0, 10, v0
	v_add_nc_u32_e32 v2, s31, v83
	v_lshlrev_b32_e32 v3, 4, v84
	s_lshl_b32 s0, s36, 6
	s_delay_alu instid0(SALU_CYCLE_1) | instskip(NEXT) | instid1(VALU_DEP_2)
	s_mul_i32 s1, s0, s34
	v_mul_lo_u32 v1, v2, s0
	s_delay_alu instid0(VALU_DEP_2) | instskip(SKIP_2) | instid1(SALU_CYCLE_1)
	v_and_or_b32 v0, 0x3800, v0, v3
	v_add_nc_u32_e32 v2, 2, v2
	s_mul_i32 s6, s1, s9
	s_ashr_i32 s7, s6, 31
	s_delay_alu instid0(VALU_DEP_2)
	v_lshl_or_b32 v7, v83, 6, v0
	s_lshl_b64 s[6:7], s[6:7], 1
	v_mul_lo_u32 v11, v2, s0
	v_ashrrev_i32_e32 v2, 31, v1
	ds_load_b128 v[3:6], v7
	ds_load_b128 v[7:10], v7 offset:128
	s_waitcnt lgkmcnt(0)
	s_add_u32 s1, s4, s6
	s_addc_u32 s2, s5, s7
	s_lshl_b32 s4, s14, 6
	v_ashrrev_i32_e32 v12, 31, v11
	s_ashr_i32 s5, s4, 31
	v_lshlrev_b64 v[13:14], 1, v[1:2]
	s_lshl_b64 s[4:5], s[4:5], 1
	s_delay_alu instid0(SALU_CYCLE_1) | instskip(SKIP_4) | instid1(VALU_DEP_3)
	s_add_u32 s1, s1, s4
	s_addc_u32 s2, s2, s5
	v_add_co_u32 v1, vcc_lo, s1, v81
	v_add_co_ci_u32_e32 v2, vcc_lo, s2, v82, vcc_lo
	v_lshlrev_b64 v[11:12], 1, v[11:12]
	v_add_co_u32 v13, vcc_lo, v1, v13
	s_delay_alu instid0(VALU_DEP_3) | instskip(NEXT) | instid1(VALU_DEP_3)
	v_add_co_ci_u32_e32 v14, vcc_lo, v2, v14, vcc_lo
	v_add_co_u32 v11, vcc_lo, v1, v11
	s_delay_alu instid0(VALU_DEP_4)
	v_add_co_ci_u32_e32 v12, vcc_lo, v2, v12, vcc_lo
	s_clause 0x1
	global_store_b128 v[13:14], v[3:6], off
	global_store_b128 v[11:12], v[7:10], off
	s_and_b32 exec_lo, exec_lo, s3
	s_cbranch_execz .LBB542_2
; %bb.114:
	ds_load_b128 v[3:6], v0 offset:256
	s_add_i32 s1, s31, 4
	s_delay_alu instid0(SALU_CYCLE_1) | instskip(NEXT) | instid1(SALU_CYCLE_1)
	s_mul_i32 s0, s1, s0
	s_ashr_i32 s1, s0, 31
	s_delay_alu instid0(SALU_CYCLE_1) | instskip(NEXT) | instid1(SALU_CYCLE_1)
	s_lshl_b64 s[0:1], s[0:1], 1
	v_add_co_u32 v0, vcc_lo, v1, s0
	v_add_co_ci_u32_e32 v1, vcc_lo, s1, v2, vcc_lo
	s_waitcnt lgkmcnt(0)
	global_store_b128 v[0:1], v[3:6], off
	s_nop 0
	s_sendmsg sendmsg(MSG_DEALLOC_VGPRS)
	s_endpgm
	.section	.rodata,"a",@progbits
	.p2align	6, 0x0
	.amdhsa_kernel _Z39paged_attention_ll4mi_QKV_mfma16_kernelI14__hip_bfloat16S0_LN4vllm18Fp8KVCacheDataTypeE0ES0_Li32ELi64ELi256ELb1ELi5EL8MFMAType0EEvPKT_PKT0_S9_ifPKiSB_SB_iPKfiiiPfSE_PS4_PT2_iSD_SD_
		.amdhsa_group_segment_fixed_size 17472
		.amdhsa_private_segment_fixed_size 0
		.amdhsa_kernarg_size 400
		.amdhsa_user_sgpr_count 13
		.amdhsa_user_sgpr_dispatch_ptr 0
		.amdhsa_user_sgpr_queue_ptr 0
		.amdhsa_user_sgpr_kernarg_segment_ptr 1
		.amdhsa_user_sgpr_dispatch_id 0
		.amdhsa_user_sgpr_private_segment_size 0
		.amdhsa_wavefront_size32 1
		.amdhsa_uses_dynamic_stack 0
		.amdhsa_enable_private_segment 0
		.amdhsa_system_sgpr_workgroup_id_x 1
		.amdhsa_system_sgpr_workgroup_id_y 1
		.amdhsa_system_sgpr_workgroup_id_z 1
		.amdhsa_system_sgpr_workgroup_info 0
		.amdhsa_system_vgpr_workitem_id 0
		.amdhsa_next_free_vgpr 142
		.amdhsa_next_free_sgpr 39
		.amdhsa_reserve_vcc 1
		.amdhsa_float_round_mode_32 0
		.amdhsa_float_round_mode_16_64 0
		.amdhsa_float_denorm_mode_32 3
		.amdhsa_float_denorm_mode_16_64 3
		.amdhsa_dx10_clamp 1
		.amdhsa_ieee_mode 1
		.amdhsa_fp16_overflow 0
		.amdhsa_workgroup_processor_mode 1
		.amdhsa_memory_ordered 1
		.amdhsa_forward_progress 0
		.amdhsa_shared_vgpr_count 0
		.amdhsa_exception_fp_ieee_invalid_op 0
		.amdhsa_exception_fp_denorm_src 0
		.amdhsa_exception_fp_ieee_div_zero 0
		.amdhsa_exception_fp_ieee_overflow 0
		.amdhsa_exception_fp_ieee_underflow 0
		.amdhsa_exception_fp_ieee_inexact 0
		.amdhsa_exception_int_div_zero 0
	.end_amdhsa_kernel
	.section	.text._Z39paged_attention_ll4mi_QKV_mfma16_kernelI14__hip_bfloat16S0_LN4vllm18Fp8KVCacheDataTypeE0ES0_Li32ELi64ELi256ELb1ELi5EL8MFMAType0EEvPKT_PKT0_S9_ifPKiSB_SB_iPKfiiiPfSE_PS4_PT2_iSD_SD_,"axG",@progbits,_Z39paged_attention_ll4mi_QKV_mfma16_kernelI14__hip_bfloat16S0_LN4vllm18Fp8KVCacheDataTypeE0ES0_Li32ELi64ELi256ELb1ELi5EL8MFMAType0EEvPKT_PKT0_S9_ifPKiSB_SB_iPKfiiiPfSE_PS4_PT2_iSD_SD_,comdat
.Lfunc_end542:
	.size	_Z39paged_attention_ll4mi_QKV_mfma16_kernelI14__hip_bfloat16S0_LN4vllm18Fp8KVCacheDataTypeE0ES0_Li32ELi64ELi256ELb1ELi5EL8MFMAType0EEvPKT_PKT0_S9_ifPKiSB_SB_iPKfiiiPfSE_PS4_PT2_iSD_SD_, .Lfunc_end542-_Z39paged_attention_ll4mi_QKV_mfma16_kernelI14__hip_bfloat16S0_LN4vllm18Fp8KVCacheDataTypeE0ES0_Li32ELi64ELi256ELb1ELi5EL8MFMAType0EEvPKT_PKT0_S9_ifPKiSB_SB_iPKfiiiPfSE_PS4_PT2_iSD_SD_
                                        ; -- End function
	.section	.AMDGPU.csdata,"",@progbits
; Kernel info:
; codeLenInByte = 9408
; NumSgprs: 41
; NumVgprs: 142
; ScratchSize: 0
; MemoryBound: 0
; FloatMode: 240
; IeeeMode: 1
; LDSByteSize: 17472 bytes/workgroup (compile time only)
; SGPRBlocks: 5
; VGPRBlocks: 17
; NumSGPRsForWavesPerEU: 41
; NumVGPRsForWavesPerEU: 142
; Occupancy: 10
; WaveLimiterHint : 1
; COMPUTE_PGM_RSRC2:SCRATCH_EN: 0
; COMPUTE_PGM_RSRC2:USER_SGPR: 13
; COMPUTE_PGM_RSRC2:TRAP_HANDLER: 0
; COMPUTE_PGM_RSRC2:TGID_X_EN: 1
; COMPUTE_PGM_RSRC2:TGID_Y_EN: 1
; COMPUTE_PGM_RSRC2:TGID_Z_EN: 1
; COMPUTE_PGM_RSRC2:TIDIG_COMP_CNT: 0
	.section	.text._Z39paged_attention_ll4mi_QKV_mfma16_kernelI14__hip_bfloat16S0_LN4vllm18Fp8KVCacheDataTypeE0ES0_Li32ELi64ELi256ELb1ELi6EL8MFMAType0EEvPKT_PKT0_S9_ifPKiSB_SB_iPKfiiiPfSE_PS4_PT2_iSD_SD_,"axG",@progbits,_Z39paged_attention_ll4mi_QKV_mfma16_kernelI14__hip_bfloat16S0_LN4vllm18Fp8KVCacheDataTypeE0ES0_Li32ELi64ELi256ELb1ELi6EL8MFMAType0EEvPKT_PKT0_S9_ifPKiSB_SB_iPKfiiiPfSE_PS4_PT2_iSD_SD_,comdat
	.protected	_Z39paged_attention_ll4mi_QKV_mfma16_kernelI14__hip_bfloat16S0_LN4vllm18Fp8KVCacheDataTypeE0ES0_Li32ELi64ELi256ELb1ELi6EL8MFMAType0EEvPKT_PKT0_S9_ifPKiSB_SB_iPKfiiiPfSE_PS4_PT2_iSD_SD_ ; -- Begin function _Z39paged_attention_ll4mi_QKV_mfma16_kernelI14__hip_bfloat16S0_LN4vllm18Fp8KVCacheDataTypeE0ES0_Li32ELi64ELi256ELb1ELi6EL8MFMAType0EEvPKT_PKT0_S9_ifPKiSB_SB_iPKfiiiPfSE_PS4_PT2_iSD_SD_
	.globl	_Z39paged_attention_ll4mi_QKV_mfma16_kernelI14__hip_bfloat16S0_LN4vllm18Fp8KVCacheDataTypeE0ES0_Li32ELi64ELi256ELb1ELi6EL8MFMAType0EEvPKT_PKT0_S9_ifPKiSB_SB_iPKfiiiPfSE_PS4_PT2_iSD_SD_
	.p2align	8
	.type	_Z39paged_attention_ll4mi_QKV_mfma16_kernelI14__hip_bfloat16S0_LN4vllm18Fp8KVCacheDataTypeE0ES0_Li32ELi64ELi256ELb1ELi6EL8MFMAType0EEvPKT_PKT0_S9_ifPKiSB_SB_iPKfiiiPfSE_PS4_PT2_iSD_SD_,@function
_Z39paged_attention_ll4mi_QKV_mfma16_kernelI14__hip_bfloat16S0_LN4vllm18Fp8KVCacheDataTypeE0ES0_Li32ELi64ELi256ELb1ELi6EL8MFMAType0EEvPKT_PKT0_S9_ifPKiSB_SB_iPKfiiiPfSE_PS4_PT2_iSD_SD_: ; @_Z39paged_attention_ll4mi_QKV_mfma16_kernelI14__hip_bfloat16S0_LN4vllm18Fp8KVCacheDataTypeE0ES0_Li32ELi64ELi256ELb1ELi6EL8MFMAType0EEvPKT_PKT0_S9_ifPKiSB_SB_iPKfiiiPfSE_PS4_PT2_iSD_SD_
; %bb.0:
	s_load_b64 s[2:3], s[0:1], 0x30
	s_mov_b32 s30, s13
	s_waitcnt lgkmcnt(0)
	s_cmp_lg_u64 s[2:3], 0
	s_cselect_b32 s6, -1, 0
	s_ashr_i32 s31, s13, 31
	s_cmp_eq_u64 s[2:3], 0
	s_cbranch_scc1 .LBB543_3
; %bb.1:
	s_lshl_b64 s[4:5], s[30:31], 2
	s_delay_alu instid0(SALU_CYCLE_1) | instskip(SKIP_4) | instid1(SALU_CYCLE_1)
	s_add_u32 s4, s2, s4
	s_addc_u32 s5, s3, s5
	s_load_b64 s[4:5], s[4:5], 0x0
	s_waitcnt lgkmcnt(0)
	s_sub_i32 s4, s5, s4
	s_cmp_eq_u32 s4, 1
	s_cselect_b32 s4, -1, 0
	s_delay_alu instid0(SALU_CYCLE_1)
	s_and_not1_b32 vcc_lo, exec_lo, s4
	s_cbranch_vccz .LBB543_4
.LBB543_2:
	s_endpgm
.LBB543_3:
.LBB543_4:
	s_load_b64 s[8:9], s[0:1], 0x28
	s_lshl_b64 s[4:5], s[30:31], 2
	s_waitcnt lgkmcnt(0)
	s_add_u32 s8, s8, s4
	s_addc_u32 s9, s9, s5
	s_lshl_b32 s16, s14, 8
	s_load_b32 s18, s[8:9], 0x0
	s_waitcnt lgkmcnt(0)
	s_cmp_ge_i32 s16, s18
	s_cbranch_scc1 .LBB543_2
; %bb.5:
	s_and_not1_b32 vcc_lo, exec_lo, s6
	s_cbranch_vccnz .LBB543_7
; %bb.6:
	s_add_u32 s2, s2, s4
	s_addc_u32 s3, s3, s5
	s_load_b32 s17, s[2:3], 0x0
	s_branch .LBB543_8
.LBB543_7:
	s_mov_b32 s17, s30
.LBB543_8:
	s_clause 0x2
	s_load_b128 s[8:11], s[0:1], 0x8
	s_load_b64 s[12:13], s[0:1], 0x20
	s_load_b128 s[4:7], s[0:1], 0x48
	v_and_b32_e32 v73, 15, v0
	v_cmp_lt_u32_e32 vcc_lo, 0x5f, v0
	s_delay_alu instid0(VALU_DEP_2) | instskip(SKIP_2) | instid1(VALU_DEP_3)
	v_cmp_lt_u32_e64 s3, 7, v73
	v_lshlrev_b32_e32 v1, 3, v73
	v_cmp_gt_u32_e64 s2, 8, v73
	s_or_b32 s3, vcc_lo, s3
	s_waitcnt lgkmcnt(0)
	s_and_saveexec_b32 s7, s3
	s_delay_alu instid0(SALU_CYCLE_1)
	s_xor_b32 s3, exec_lo, s7
; %bb.9:
	v_mov_b32_e32 v2, 0
; %bb.10:
	s_or_saveexec_b32 s3, s3
	v_lshrrev_b32_e32 v74, 5, v0
	v_and_b32_e32 v75, 31, v0
	v_and_b32_e32 v84, 1, v0
	v_bfe_u32 v83, v0, 4, 1
	s_mul_i32 s31, s15, 6
	s_xor_b32 exec_lo, exec_lo, s3
	s_cbranch_execz .LBB543_12
; %bb.11:
	s_load_b64 s[20:21], s[0:1], 0x0
	v_lshl_or_b32 v7, v74, 1, v83
	s_mul_hi_i32 s23, s17, s4
	s_mul_i32 s22, s17, s4
	v_lshlrev_b32_e32 v4, 1, v1
	s_lshl_b64 s[22:23], s[22:23], 1
	v_add_lshl_u32 v2, v7, s31, 6
	v_lshlrev_b32_e32 v7, 6, v7
	v_lshlrev_b32_e32 v8, 10, v84
	s_delay_alu instid0(VALU_DEP_3) | instskip(NEXT) | instid1(VALU_DEP_1)
	v_ashrrev_i32_e32 v3, 31, v2
	v_lshlrev_b64 v[2:3], 1, v[2:3]
	s_waitcnt lgkmcnt(0)
	s_add_u32 s4, s20, s22
	s_addc_u32 s7, s21, s23
	s_delay_alu instid0(VALU_DEP_1) | instskip(NEXT) | instid1(VALU_DEP_2)
	v_add_co_u32 v2, vcc_lo, s4, v2
	v_add_co_ci_u32_e32 v3, vcc_lo, s7, v3, vcc_lo
	s_delay_alu instid0(VALU_DEP_2) | instskip(NEXT) | instid1(VALU_DEP_2)
	v_add_co_u32 v2, vcc_lo, v2, v4
	v_add_co_ci_u32_e32 v3, vcc_lo, 0, v3, vcc_lo
	global_load_b128 v[3:6], v[2:3], off
	v_lshlrev_b32_e32 v2, 10, v73
	s_delay_alu instid0(VALU_DEP_1) | instskip(NEXT) | instid1(VALU_DEP_1)
	v_and_b32_e32 v2, 0x3800, v2
	v_or3_b32 v7, v2, v8, v7
	v_mov_b32_e32 v2, 0
	s_waitcnt vmcnt(0)
	ds_store_b128 v7, v[3:6]
.LBB543_12:
	s_or_b32 exec_lo, exec_lo, s3
	v_and_b32_e32 v3, 0xef, v0
	s_add_i32 s3, s18, 31
	s_clause 0x1
	s_load_b32 s4, s[0:1], 0x38
	s_load_b32 s19, s[0:1], 0x1c
	s_ashr_i32 s7, s3, 31
	v_add_nc_u32_e32 v3, s16, v3
	s_lshr_b32 s7, s7, 27
	s_waitcnt lgkmcnt(0)
	s_add_i32 s3, s3, s7
	s_barrier
	v_ashrrev_i32_e32 v4, 31, v3
	v_cmp_gt_i32_e32 vcc_lo, s18, v3
	s_ashr_i32 s3, s3, 5
	buffer_gl0_inv
	s_add_i32 s3, s3, -1
	v_lshrrev_b32_e32 v5, 27, v4
	v_or_b32_e32 v4, 16, v3
	s_mul_i32 s6, s15, s6
	v_lshlrev_b64 v[81:82], 1, v[1:2]
	s_delay_alu instid0(VALU_DEP_3) | instskip(NEXT) | instid1(VALU_DEP_3)
	v_add_nc_u32_e32 v6, v3, v5
	v_add_nc_u32_e32 v5, v4, v5
	s_mul_i32 s20, s30, s4
	s_delay_alu instid0(SALU_CYCLE_1) | instskip(NEXT) | instid1(VALU_DEP_2)
	s_ashr_i32 s21, s20, 31
	v_ashrrev_i32_e32 v6, 5, v6
	s_delay_alu instid0(VALU_DEP_2) | instskip(SKIP_1) | instid1(SALU_CYCLE_1)
	v_ashrrev_i32_e32 v5, 5, v5
	s_lshl_b64 s[20:21], s[20:21], 2
	s_add_u32 s4, s12, s20
	s_delay_alu instid0(VALU_DEP_2) | instskip(SKIP_3) | instid1(SALU_CYCLE_1)
	v_cndmask_b32_e32 v3, s3, v6, vcc_lo
	v_cmp_gt_i32_e32 vcc_lo, s18, v4
	s_addc_u32 s17, s13, s21
	s_ashr_i32 s7, s6, 31
	s_lshl_b64 s[6:7], s[6:7], 1
	v_cndmask_b32_e32 v5, s3, v5, vcc_lo
	v_ashrrev_i32_e32 v4, 31, v3
	s_add_u32 s15, s8, s6
	s_addc_u32 s28, s9, s7
	s_lshl_b32 s8, s14, 3
	v_ashrrev_i32_e32 v6, 31, v5
	v_lshlrev_b64 v[3:4], 2, v[3:4]
	s_ashr_i32 s9, s8, 31
	s_delay_alu instid0(SALU_CYCLE_1) | instskip(NEXT) | instid1(VALU_DEP_2)
	s_lshl_b64 s[8:9], s[8:9], 2
	v_lshlrev_b64 v[5:6], 2, v[5:6]
	s_add_u32 s8, s4, s8
	s_delay_alu instid0(VALU_DEP_2) | instskip(SKIP_1) | instid1(VALU_DEP_3)
	v_add_co_u32 v3, vcc_lo, s4, v3
	v_add_co_ci_u32_e32 v4, vcc_lo, s17, v4, vcc_lo
	v_add_co_u32 v5, vcc_lo, s4, v5
	s_delay_alu instid0(VALU_DEP_4)
	v_add_co_ci_u32_e32 v6, vcc_lo, s17, v6, vcc_lo
	s_addc_u32 s9, s17, s9
	s_clause 0x1
	global_load_b32 v7, v[3:4], off
	global_load_b32 v8, v[5:6], off
	s_or_b32 s12, s16, 32
	s_delay_alu instid0(SALU_CYCLE_1) | instskip(SKIP_2) | instid1(SALU_CYCLE_1)
	s_ashr_i32 s13, s12, 5
	s_cmp_lt_i32 s12, s18
	s_cselect_b32 s12, s13, s3
	s_ashr_i32 s13, s12, 31
	s_delay_alu instid0(SALU_CYCLE_1) | instskip(NEXT) | instid1(SALU_CYCLE_1)
	s_lshl_b64 s[12:13], s[12:13], 2
	s_add_u32 s12, s4, s12
	s_addc_u32 s13, s17, s13
	s_or_b32 s20, s16, 64
	s_delay_alu instid0(SALU_CYCLE_1) | instskip(SKIP_2) | instid1(SALU_CYCLE_1)
	s_ashr_i32 s21, s20, 5
	s_cmp_lt_i32 s20, s18
	s_cselect_b32 s20, s21, s3
	s_ashr_i32 s21, s20, 31
	s_delay_alu instid0(SALU_CYCLE_1) | instskip(NEXT) | instid1(SALU_CYCLE_1)
	s_lshl_b64 s[20:21], s[20:21], 2
	s_add_u32 s20, s4, s20
	s_addc_u32 s21, s17, s21
	;; [unrolled: 10-line block ×5, first 2 shown]
	s_clause 0x5
	s_load_b32 s29, s[8:9], 0x0
	s_load_b32 s33, s[12:13], 0x0
	;; [unrolled: 1-line block ×6, first 2 shown]
	s_or_b32 s8, s16, 0xc0
	s_mov_b32 s20, 0
	s_ashr_i32 s9, s8, 5
	s_cmp_lt_i32 s8, s18
	s_mov_b32 s27, s20
	s_cselect_b32 s8, s9, s3
	s_mov_b32 s21, s20
	s_ashr_i32 s9, s8, 31
	s_mov_b32 s22, s20
	s_lshl_b64 s[8:9], s[8:9], 2
	s_mov_b32 s23, s20
	s_add_u32 s8, s4, s8
	s_mov_b32 s24, s20
	s_mov_b32 s25, s20
	;; [unrolled: 1-line block ×3, first 2 shown]
	s_addc_u32 s9, s17, s9
	v_mov_b32_e32 v117, s27
	v_dual_mov_b32 v110, s20 :: v_dual_lshlrev_b32 v85, 6, v73
	v_dual_mov_b32 v116, s26 :: v_dual_mov_b32 v115, s25
	v_dual_mov_b32 v114, s24 :: v_dual_mov_b32 v113, s23
	;; [unrolled: 1-line block ×3, first 2 shown]
	s_waitcnt lgkmcnt(0)
	s_mul_hi_i32 s13, s29, s5
	s_mul_i32 s12, s29, s5
	v_lshl_or_b32 v58, v74, 10, v85
	s_mul_hi_i32 s21, s33, s5
	s_mul_i32 s20, s33, s5
	s_mul_hi_i32 s25, s34, s5
	s_mul_i32 s24, s34, s5
	;; [unrolled: 2-line block ×4, first 2 shown]
	s_waitcnt vmcnt(1)
	v_mad_i64_i32 v[3:4], null, v7, s5, 0
	s_waitcnt vmcnt(0)
	v_mad_i64_i32 v[5:6], null, v8, s5, 0
	s_delay_alu instid0(VALU_DEP_2) | instskip(NEXT) | instid1(VALU_DEP_2)
	v_lshlrev_b64 v[3:4], 1, v[3:4]
	v_lshlrev_b64 v[1:2], 1, v[5:6]
	s_delay_alu instid0(VALU_DEP_2) | instskip(NEXT) | instid1(VALU_DEP_3)
	v_add_co_u32 v3, vcc_lo, s15, v3
	v_add_co_ci_u32_e32 v4, vcc_lo, s28, v4, vcc_lo
	s_delay_alu instid0(VALU_DEP_3) | instskip(NEXT) | instid1(VALU_DEP_4)
	v_add_co_u32 v1, vcc_lo, s15, v1
	v_add_co_ci_u32_e32 v2, vcc_lo, s28, v2, vcc_lo
	s_delay_alu instid0(VALU_DEP_4) | instskip(NEXT) | instid1(VALU_DEP_4)
	v_add_co_u32 v41, vcc_lo, v3, v81
	v_add_co_ci_u32_e32 v42, vcc_lo, v4, v82, vcc_lo
	s_delay_alu instid0(VALU_DEP_4) | instskip(NEXT) | instid1(VALU_DEP_4)
	v_add_co_u32 v43, vcc_lo, v1, v81
	v_add_co_ci_u32_e32 v44, vcc_lo, v2, v82, vcc_lo
	s_clause 0xf
	global_load_b128 v[1:4], v[41:42], off
	global_load_b128 v[5:8], v[41:42], off offset:512
	global_load_b128 v[9:12], v[43:44], off offset:256
	;; [unrolled: 1-line block ×15, first 2 shown]
	v_mul_lo_u16 v41, v73, 43
	s_or_b32 s15, s16, 0xe0
	s_delay_alu instid0(SALU_CYCLE_1) | instskip(SKIP_1) | instid1(VALU_DEP_1)
	s_ashr_i32 s22, s15, 5
	s_cmp_lt_i32 s15, s18
	v_lshrrev_b16 v41, 8, v41
	s_cselect_b32 s22, s22, s3
	s_delay_alu instid0(SALU_CYCLE_1) | instskip(NEXT) | instid1(VALU_DEP_1)
	s_ashr_i32 s23, s22, 31
	v_mul_lo_u16 v41, v41, 6
	s_lshl_b64 s[22:23], s[22:23], 2
	s_delay_alu instid0(SALU_CYCLE_1) | instskip(SKIP_1) | instid1(VALU_DEP_1)
	s_add_u32 s22, s4, s22
	s_addc_u32 s23, s17, s23
	v_sub_nc_u16 v41, v73, v41
	s_add_i32 s15, s16, 0x100
	s_delay_alu instid0(SALU_CYCLE_1) | instskip(SKIP_1) | instid1(VALU_DEP_1)
	s_ashr_i32 s28, s15, 5
	s_cmp_lt_i32 s15, s18
	v_and_b32_e32 v41, 0xff, v41
	s_cselect_b32 s28, s28, s3
	s_delay_alu instid0(SALU_CYCLE_1) | instskip(NEXT) | instid1(VALU_DEP_1)
	s_ashr_i32 s29, s28, 31
	v_lshlrev_b32_e32 v57, 6, v41
	ds_load_b128 v[41:44], v57
	ds_load_b128 v[45:48], v57 offset:1024
	ds_load_b128 v[49:52], v57 offset:2048
	;; [unrolled: 1-line block ×7, first 2 shown]
	s_lshl_b64 s[28:29], s[28:29], 2
	s_load_b32 s15, s[8:9], 0x0
	s_add_u32 s28, s4, s28
	s_addc_u32 s29, s17, s29
	s_add_u32 s3, s10, s6
	s_clause 0x1
	s_load_b32 s4, s[22:23], 0x0
	s_load_b32 s17, s[28:29], 0x0
	s_addc_u32 s28, s11, s7
	v_add_co_u32 v76, s3, s3, v58
	s_delay_alu instid0(VALU_DEP_1) | instskip(SKIP_2) | instid1(VALU_DEP_2)
	v_add_co_ci_u32_e64 v77, null, s28, 0, s3
	s_lshl_b64 s[6:7], s[12:13], 1
	s_lshl_b64 s[10:11], s[20:21], 1
	v_add_co_u32 v57, vcc_lo, v76, s6
	s_delay_alu instid0(VALU_DEP_2)
	v_add_co_ci_u32_e32 v58, vcc_lo, s7, v77, vcc_lo
	s_lshl_b64 s[12:13], s[24:25], 1
	s_lshl_b64 s[20:21], s[26:27], 1
	s_mul_hi_i32 s9, s36, s5
	s_mul_i32 s8, s36, s5
	s_lshl_b64 s[22:23], s[34:35], 1
	s_lshl_b64 s[8:9], s[8:9], 1
	s_waitcnt lgkmcnt(0)
	s_mul_hi_i32 s25, s15, s5
	s_mul_i32 s24, s15, s5
	s_clause 0x1
	global_load_b128 v[65:68], v[57:58], off
	global_load_b128 v[69:72], v[57:58], off offset:16
	s_lshl_b64 s[6:7], s[24:25], 1
	s_waitcnt vmcnt(16)
	v_wmma_f32_16x16x16_bf16 v[134:141], v[1:8], v[41:48], v[110:117]
	v_add_co_u32 v1, vcc_lo, v76, s10
	v_add_co_ci_u32_e32 v2, vcc_lo, s11, v77, vcc_lo
	s_waitcnt vmcnt(12)
	s_delay_alu instid0(VALU_DEP_3) | instskip(SKIP_3) | instid1(VALU_DEP_3)
	v_wmma_f32_16x16x16_bf16 v[134:141], v[17:24], v[49:56], v[134:141]
	v_add_co_u32 v3, vcc_lo, v76, s12
	v_add_co_ci_u32_e32 v4, vcc_lo, s13, v77, vcc_lo
	s_waitcnt vmcnt(8)
	v_wmma_f32_16x16x16_bf16 v[134:141], v[33:40], v[118:125], v[134:141]
	v_add_co_u32 v5, vcc_lo, v76, s20
	v_add_co_ci_u32_e32 v6, vcc_lo, s21, v77, vcc_lo
	s_waitcnt vmcnt(4)
	s_delay_alu instid0(VALU_DEP_3) | instskip(SKIP_2) | instid1(VALU_DEP_3)
	v_wmma_f32_16x16x16_bf16 v[134:141], v[94:101], v[126:133], v[134:141]
	v_add_co_u32 v7, vcc_lo, v76, s8
	v_add_co_ci_u32_e32 v8, vcc_lo, s9, v77, vcc_lo
	v_mul_f32_e32 v100, s19, v141
	v_wmma_f32_16x16x16_bf16 v[110:117], v[9:16], v[41:48], v[110:117]
	s_clause 0x1
	global_load_b128 v[57:60], v[1:2], off
	global_load_b128 v[61:64], v[1:2], off offset:16
	s_mul_hi_i32 s9, s4, s5
	s_mul_i32 s8, s4, s5
	v_wmma_f32_16x16x16_bf16 v[110:117], v[25:32], v[49:56], v[110:117]
	s_clause 0x5
	global_load_b128 v[49:52], v[3:4], off
	global_load_b128 v[53:56], v[3:4], off offset:16
	global_load_b128 v[41:44], v[5:6], off
	global_load_b128 v[45:48], v[5:6], off offset:16
	;; [unrolled: 2-line block ×3, first 2 shown]
	v_add_co_u32 v5, vcc_lo, v76, s22
	v_add_co_ci_u32_e32 v6, vcc_lo, s23, v77, vcc_lo
	v_add_co_u32 v17, vcc_lo, v76, s6
	v_add_co_ci_u32_e32 v18, vcc_lo, s7, v77, vcc_lo
	s_lshl_b64 s[6:7], s[8:9], 1
	s_mul_hi_i32 s9, s17, s5
	s_mul_i32 s8, s17, s5
	v_add_co_u32 v19, vcc_lo, v76, s6
	s_lshl_b64 s[4:5], s[8:9], 1
	v_add_co_ci_u32_e32 v20, vcc_lo, s7, v77, vcc_lo
	v_add_co_u32 v21, vcc_lo, v76, s4
	v_add_co_ci_u32_e32 v22, vcc_lo, s5, v77, vcc_lo
	s_clause 0x7
	global_load_b128 v[1:4], v[5:6], off
	global_load_b128 v[5:8], v[5:6], off offset:16
	global_load_b128 v[33:36], v[17:18], off
	global_load_b128 v[37:40], v[17:18], off offset:16
	;; [unrolled: 2-line block ×4, first 2 shown]
	v_and_b32_e32 v76, 0xe0, v0
	v_mbcnt_lo_u32_b32 v77, -1, 0
	v_wmma_f32_16x16x16_bf16 v[110:117], v[86:93], v[118:125], v[110:117]
	s_waitcnt vmcnt(0)
	s_barrier
	v_add_nc_u32_e32 v76, s16, v76
	v_xor_b32_e32 v78, 16, v77
	v_wmma_f32_16x16x16_bf16 v[110:117], v[102:109], v[126:133], v[110:117]
	v_mul_f32_e32 v97, s19, v134
	v_mul_f32_e32 v99, s19, v135
	v_or_b32_e32 v76, v76, v83
	v_cmp_gt_i32_e32 vcc_lo, 32, v78
	buffer_gl0_inv
	v_or_b32_e32 v79, 4, v76
	v_cndmask_b32_e32 v77, v77, v78, vcc_lo
	v_or_b32_e32 v78, 2, v76
	v_or_b32_e32 v80, 6, v76
	v_or_b32_e32 v86, 8, v76
	v_cmp_gt_i32_e32 vcc_lo, s18, v76
	v_or_b32_e32 v87, 10, v76
	v_cmp_gt_i32_e64 s3, s18, v78
	v_or_b32_e32 v88, 12, v76
	v_or_b32_e32 v89, 14, v76
	;; [unrolled: 1-line block ×10, first 2 shown]
	v_cndmask_b32_e64 v78, 0xff7fffff, v99, s3
	v_mul_f32_e32 v99, s19, v137
	v_cmp_gt_i32_e64 s4, s18, v80
	v_mul_f32_e32 v80, s19, v136
	v_cmp_gt_i32_e64 s5, s18, v79
	v_cmp_gt_i32_e64 s6, s18, v86
	v_mul_f32_e32 v86, s19, v116
	v_cndmask_b32_e32 v76, 0xff7fffff, v97, vcc_lo
	v_mul_f32_e32 v79, s19, v139
	v_cndmask_b32_e64 v80, 0xff7fffff, v80, s5
	v_cndmask_b32_e64 v99, 0xff7fffff, v99, s4
	v_cmp_gt_i32_e64 s7, s18, v87
	v_max3_f32 v76, v76, 0xff7fffff, v78
	v_dual_mul_f32 v78, s19, v138 :: v_dual_mul_f32 v97, s19, v140
	v_cmp_gt_i32_e64 s8, s18, v89
	s_delay_alu instid0(VALU_DEP_4) | instskip(NEXT) | instid1(VALU_DEP_4)
	v_cndmask_b32_e64 v79, 0xff7fffff, v79, s7
	v_max3_f32 v76, v76, v80, v99
	s_delay_alu instid0(VALU_DEP_4) | instskip(SKIP_3) | instid1(VALU_DEP_4)
	v_cndmask_b32_e64 v78, 0xff7fffff, v78, s6
	v_cmp_gt_i32_e64 s9, s18, v88
	v_dual_mul_f32 v88, s19, v111 :: v_dual_mul_f32 v89, s19, v110
	v_cndmask_b32_e64 v100, 0xff7fffff, v100, s8
	v_max3_f32 v76, v76, v78, v79
	s_delay_alu instid0(VALU_DEP_4) | instskip(SKIP_3) | instid1(VALU_DEP_4)
	v_cndmask_b32_e64 v97, 0xff7fffff, v97, s9
	v_cmp_gt_i32_e64 s10, s18, v90
	v_cmp_gt_i32_e64 s11, s18, v91
	v_dual_mul_f32 v78, s19, v113 :: v_dual_mul_f32 v79, s19, v112
	v_max3_f32 v76, v76, v97, v100
	s_delay_alu instid0(VALU_DEP_4) | instskip(NEXT) | instid1(VALU_DEP_4)
	v_cndmask_b32_e64 v89, 0xff7fffff, v89, s10
	v_cndmask_b32_e64 v88, 0xff7fffff, v88, s11
	v_cmp_gt_i32_e64 s12, s18, v92
	v_cmp_gt_i32_e64 s13, s18, v93
	v_mul_f32_e32 v87, s19, v115
	v_mul_f32_e32 v99, s19, v114
	v_max3_f32 v76, v76, v89, v88
	v_cndmask_b32_e64 v79, 0xff7fffff, v79, s12
	v_cndmask_b32_e64 v78, 0xff7fffff, v78, s13
	v_cmp_gt_i32_e64 s15, s18, v94
	v_cmp_gt_i32_e64 s16, s18, v95
	v_mul_f32_e32 v80, s19, v117
	v_cmp_gt_i32_e64 s17, s18, v96
	v_max3_f32 v76, v76, v79, v78
	v_cndmask_b32_e64 v88, 0xff7fffff, v99, s15
	v_cndmask_b32_e64 v87, 0xff7fffff, v87, s16
	v_cmp_gt_i32_e64 s18, s18, v98
	v_cndmask_b32_e64 v78, 0xff7fffff, v86, s17
	v_lshlrev_b32_e32 v99, 2, v77
	s_delay_alu instid0(VALU_DEP_4) | instskip(NEXT) | instid1(VALU_DEP_4)
	v_max3_f32 v76, v76, v88, v87
	v_cndmask_b32_e64 v79, 0xff7fffff, v80, s18
	s_delay_alu instid0(VALU_DEP_1) | instskip(SKIP_3) | instid1(VALU_DEP_1)
	v_max3_f32 v76, v76, v78, v79
	ds_bpermute_b32 v77, v99, v76
	s_waitcnt lgkmcnt(0)
	v_max_f32_e32 v77, v77, v77
	v_max_f32_e32 v76, v76, v77
	s_delay_alu instid0(VALU_DEP_1)
	v_fma_f32 v86, s19, v138, -v76
	v_fma_f32 v77, s19, v134, -v76
	;; [unrolled: 1-line block ×5, first 2 shown]
	v_mul_f32_e32 v86, 0x3fb8aa3b, v86
	v_fma_f32 v88, s19, v114, -v76
	s_delay_alu instid0(VALU_DEP_4) | instskip(NEXT) | instid1(VALU_DEP_4)
	v_dual_mul_f32 v78, 0x3fb8aa3b, v78 :: v_dual_mul_f32 v79, 0x3fb8aa3b, v79
	v_mul_f32_e32 v80, 0x3fb8aa3b, v80
	s_delay_alu instid0(VALU_DEP_4) | instskip(SKIP_1) | instid1(VALU_DEP_3)
	v_exp_f32_e32 v86, v86
	v_fma_f32 v87, s19, v140, -v76
	v_exp_f32_e32 v78, v78
	v_exp_f32_e32 v79, v79
	;; [unrolled: 1-line block ×3, first 2 shown]
	s_delay_alu instid0(VALU_DEP_1)
	v_dual_mul_f32 v88, 0x3fb8aa3b, v88 :: v_dual_mul_f32 v87, 0x3fb8aa3b, v87
	v_fma_f32 v100, s19, v117, -v76
	v_fma_f32 v90, s19, v116, -v76
	v_cndmask_b32_e64 v96, 0, v86, s6
	v_fma_f32 v86, s19, v111, -v76
	v_mul_f32_e32 v77, 0x3fb8aa3b, v77
	s_delay_alu instid0(TRANS32_DEP_3) | instskip(NEXT) | instid1(TRANS32_DEP_2)
	v_cndmask_b32_e64 v91, 0, v78, s3
	v_cndmask_b32_e64 v93, 0, v79, s5
	s_delay_alu instid0(TRANS32_DEP_1)
	v_cndmask_b32_e64 v95, 0, v80, s4
	v_mul_f32_e32 v86, 0x3fb8aa3b, v86
	v_exp_f32_e32 v77, v77
	v_fma_f32 v79, s19, v141, -v76
	v_fma_f32 v80, s19, v110, -v76
	v_exp_f32_e32 v87, v87
	v_exp_f32_e32 v86, v86
	s_delay_alu instid0(VALU_DEP_2) | instskip(NEXT) | instid1(VALU_DEP_2)
	v_dual_mul_f32 v100, 0x3fb8aa3b, v100 :: v_dual_mul_f32 v79, 0x3fb8aa3b, v79
	v_mul_f32_e32 v80, 0x3fb8aa3b, v80
	v_exp_f32_e32 v88, v88
	s_mov_b32 s3, exec_lo
	v_cndmask_b32_e32 v92, 0, v77, vcc_lo
	v_fma_f32 v77, s19, v139, -v76
	v_exp_f32_e32 v79, v79
	v_exp_f32_e32 v80, v80
	v_cndmask_b32_e64 v94, 0, v87, s9
	s_delay_alu instid0(VALU_DEP_2) | instskip(SKIP_2) | instid1(VALU_DEP_2)
	v_dual_add_f32 v78, 0, v92 :: v_dual_mul_f32 v77, 0x3fb8aa3b, v77
	v_fma_f32 v87, s19, v113, -v76
	v_exp_f32_e32 v100, v100
	v_add_f32_e32 v78, v78, v91
	s_delay_alu instid0(VALU_DEP_3) | instskip(SKIP_1) | instid1(VALU_DEP_2)
	v_exp_f32_e32 v77, v77
	v_cndmask_b32_e64 v98, 0, v79, s8
	v_dual_mul_f32 v87, 0x3fb8aa3b, v87 :: v_dual_add_f32 v78, v78, v93
	s_delay_alu instid0(VALU_DEP_1) | instskip(NEXT) | instid1(VALU_DEP_1)
	v_exp_f32_e32 v87, v87
	v_add_f32_e32 v78, v78, v95
	s_waitcnt_depctr 0xfff
	v_cndmask_b32_e64 v97, 0, v77, s7
	v_add_f32_e32 v77, v78, v96
	v_fma_f32 v78, s19, v112, -v76
	s_delay_alu instid0(VALU_DEP_1) | instskip(NEXT) | instid1(VALU_DEP_1)
	v_mul_f32_e32 v78, 0x3fb8aa3b, v78
	v_exp_f32_e32 v89, v78
	v_cndmask_b32_e64 v78, 0, v86, s11
	v_add_f32_e32 v77, v77, v97
	s_delay_alu instid0(VALU_DEP_1) | instskip(SKIP_2) | instid1(VALU_DEP_1)
	v_add_f32_e32 v79, v77, v94
	v_cndmask_b32_e64 v77, 0, v80, s10
	v_fma_f32 v80, s19, v115, -v76
	v_dual_add_f32 v79, v79, v98 :: v_dual_mul_f32 v80, 0x3fb8aa3b, v80
	s_delay_alu instid0(VALU_DEP_1) | instskip(NEXT) | instid1(TRANS32_DEP_1)
	v_add_f32_e32 v86, v79, v77
	v_cndmask_b32_e64 v79, 0, v89, s12
	v_mul_f32_e32 v89, 0x3fb8aa3b, v90
	s_delay_alu instid0(VALU_DEP_4) | instskip(SKIP_2) | instid1(VALU_DEP_3)
	v_exp_f32_e32 v90, v80
	v_cndmask_b32_e64 v80, 0, v87, s13
	v_add_f32_e32 v86, v86, v78
	v_exp_f32_e32 v89, v89
	s_delay_alu instid0(VALU_DEP_1) | instskip(SKIP_1) | instid1(VALU_DEP_2)
	v_add_f32_e32 v87, v86, v79
	v_cndmask_b32_e64 v86, 0, v88, s15
	v_add_f32_e32 v88, v87, v80
	s_delay_alu instid0(TRANS32_DEP_2) | instskip(NEXT) | instid1(VALU_DEP_2)
	v_cndmask_b32_e64 v87, 0, v90, s16
	v_add_f32_e32 v90, v88, v86
	s_waitcnt_depctr 0xfff
	v_cndmask_b32_e64 v88, 0, v89, s17
	v_add_f32_e32 v89, v90, v87
	s_delay_alu instid0(VALU_DEP_1) | instskip(SKIP_1) | instid1(VALU_DEP_1)
	v_add_f32_e32 v90, v89, v88
	v_cndmask_b32_e64 v89, 0, v100, s18
	v_add_f32_e32 v90, v90, v89
	ds_bpermute_b32 v99, v99, v90
	v_cmpx_gt_u32_e32 16, v75
	s_cbranch_execz .LBB543_14
; %bb.13:
	v_mul_u32_u24_e32 v75, 0x44, v74
	s_waitcnt lgkmcnt(0)
	v_add_f32_e32 v90, v90, v99
	s_delay_alu instid0(VALU_DEP_2) | instskip(NEXT) | instid1(VALU_DEP_1)
	v_lshl_add_u32 v75, v73, 2, v75
	v_add_nc_u32_e32 v75, 0x4000, v75
	ds_store_2addr_b32 v75, v76, v90 offset1:136
.LBB543_14:
	s_or_b32 exec_lo, exec_lo, s3
	v_lshlrev_b32_e32 v75, 2, v73
	s_waitcnt lgkmcnt(0)
	s_barrier
	buffer_gl0_inv
	v_cmp_eq_u32_e64 s3, 1, v74
	v_add_nc_u32_e32 v90, 0x4000, v75
	ds_load_2addr_b32 v[99:100], v90 offset1:17
	ds_load_2addr_b32 v[101:102], v90 offset0:34 offset1:51
	ds_load_2addr_b32 v[103:104], v90 offset0:68 offset1:85
	;; [unrolled: 1-line block ×4, first 2 shown]
	s_waitcnt lgkmcnt(4)
	v_max3_f32 v75, v99, 0xff7fffff, v100
	s_waitcnt lgkmcnt(3)
	s_delay_alu instid0(VALU_DEP_1) | instskip(SKIP_1) | instid1(VALU_DEP_1)
	v_max3_f32 v75, v75, v101, v102
	s_waitcnt lgkmcnt(2)
	v_max3_f32 v75, v75, v103, v104
	s_waitcnt lgkmcnt(1)
	s_delay_alu instid0(VALU_DEP_1) | instskip(NEXT) | instid1(VALU_DEP_1)
	v_max3_f32 v75, v75, v105, v106
	v_sub_f32_e32 v109, v100, v75
	v_sub_f32_e32 v76, v99, v75
	ds_load_2addr_b32 v[99:100], v90 offset0:170 offset1:187
	v_sub_f32_e32 v101, v101, v75
	v_dual_mul_f32 v109, 0x3fb8aa3b, v109 :: v_dual_mul_f32 v76, 0x3fb8aa3b, v76
	s_delay_alu instid0(VALU_DEP_2) | instskip(NEXT) | instid1(VALU_DEP_2)
	v_mul_f32_e32 v111, 0x3fb8aa3b, v101
	v_exp_f32_e32 v109, v109
	s_delay_alu instid0(VALU_DEP_2)
	v_exp_f32_e32 v110, v76
	v_sub_f32_e32 v76, v102, v75
	ds_load_2addr_b32 v[101:102], v90 offset0:204 offset1:221
	v_exp_f32_e32 v111, v111
	v_mul_f32_e32 v112, 0x3fb8aa3b, v76
	s_waitcnt lgkmcnt(2)
	v_fma_f32 v76, v110, v107, 0
	v_sub_f32_e32 v103, v103, v75
	s_delay_alu instid0(VALU_DEP_3) | instskip(NEXT) | instid1(VALU_DEP_2)
	v_exp_f32_e32 v112, v112
	v_dual_sub_f32 v107, v104, v75 :: v_dual_fmac_f32 v76, v109, v108
	s_waitcnt lgkmcnt(1)
	s_waitcnt_depctr 0xfff
	v_fmac_f32_e32 v76, v111, v99
	v_mul_f32_e32 v113, 0x3fb8aa3b, v103
	ds_load_2addr_b32 v[103:104], v90 offset0:238 offset1:255
	v_sub_f32_e32 v90, v105, v75
	v_dual_sub_f32 v99, v106, v75 :: v_dual_fmac_f32 v76, v112, v100
	v_mul_f32_e32 v105, 0x3fb8aa3b, v107
	v_exp_f32_e32 v107, v113
	s_delay_alu instid0(VALU_DEP_2)
	v_dual_mul_f32 v90, 0x3fb8aa3b, v90 :: v_dual_mul_f32 v99, 0x3fb8aa3b, v99
	s_waitcnt lgkmcnt(0)
	s_barrier
	buffer_gl0_inv
	v_exp_f32_e32 v90, v90
	v_exp_f32_e32 v99, v99
	v_fmac_f32_e32 v76, v107, v101
	v_exp_f32_e32 v105, v105
	s_waitcnt_depctr 0xfff
	v_fmac_f32_e32 v76, v105, v102
	s_delay_alu instid0(VALU_DEP_1) | instskip(NEXT) | instid1(VALU_DEP_1)
	v_fmac_f32_e32 v76, v90, v103
	v_fmac_f32_e32 v76, v99, v104
	s_delay_alu instid0(VALU_DEP_1) | instskip(NEXT) | instid1(VALU_DEP_1)
	v_add_f32_e32 v100, 0x358637bd, v76
	v_div_scale_f32 v101, null, v100, v100, 1.0
	v_div_scale_f32 v104, vcc_lo, 1.0, v100, 1.0
	s_delay_alu instid0(VALU_DEP_2) | instskip(SKIP_2) | instid1(VALU_DEP_1)
	v_rcp_f32_e32 v102, v101
	s_waitcnt_depctr 0xfff
	v_fma_f32 v103, -v101, v102, 1.0
	v_fmac_f32_e32 v102, v103, v102
	v_cndmask_b32_e64 v103, v110, v109, s3
	v_cmp_eq_u32_e64 s3, 2, v74
	s_delay_alu instid0(VALU_DEP_3) | instskip(NEXT) | instid1(VALU_DEP_2)
	v_mul_f32_e32 v106, v104, v102
	v_cndmask_b32_e64 v103, v103, v111, s3
	v_cmp_eq_u32_e64 s3, 3, v74
	s_delay_alu instid0(VALU_DEP_3) | instskip(NEXT) | instid1(VALU_DEP_2)
	v_fma_f32 v108, -v101, v106, v104
	v_cndmask_b32_e64 v103, v103, v112, s3
	v_cmp_eq_u32_e64 s3, 4, v74
	s_delay_alu instid0(VALU_DEP_3) | instskip(NEXT) | instid1(VALU_DEP_2)
	v_fmac_f32_e32 v106, v108, v102
	v_cndmask_b32_e64 v103, v103, v107, s3
	s_delay_alu instid0(VALU_DEP_2) | instskip(SKIP_1) | instid1(VALU_DEP_2)
	v_fma_f32 v101, -v101, v106, v104
	v_cmp_eq_u32_e64 s3, 5, v74
	v_div_fmas_f32 v101, v101, v102, v106
	s_delay_alu instid0(VALU_DEP_2) | instskip(SKIP_2) | instid1(VALU_DEP_3)
	v_cndmask_b32_e64 v103, v103, v105, s3
	v_cmp_eq_u32_e32 vcc_lo, 6, v74
	s_mov_b32 s3, exec_lo
	v_div_fixup_f32 v100, v101, v100, 1.0
	s_delay_alu instid0(VALU_DEP_3) | instskip(SKIP_1) | instid1(VALU_DEP_2)
	v_cndmask_b32_e32 v90, v103, v90, vcc_lo
	v_cmp_eq_u32_e32 vcc_lo, 7, v74
	v_cndmask_b32_e32 v90, v90, v99, vcc_lo
	s_delay_alu instid0(VALU_DEP_1) | instskip(NEXT) | instid1(VALU_DEP_1)
	v_mul_f32_e32 v90, v90, v100
	v_mul_f32_e32 v100, v90, v92
	;; [unrolled: 1-line block ×6, first 2 shown]
	v_and_b32_e32 v101, 0x7f800000, v100
	v_mul_f32_e32 v99, v90, v95
	v_mul_f32_e32 v95, v90, v91
	;; [unrolled: 1-line block ×3, first 2 shown]
                                        ; implicit-def: $vgpr91
	s_delay_alu instid0(VALU_DEP_4)
	v_cmpx_ne_u32_e32 0x7f800000, v101
	s_xor_b32 s3, exec_lo, s3
; %bb.15:
	v_bfe_u32 v91, v100, 16, 1
	s_delay_alu instid0(VALU_DEP_1)
	v_add3_u32 v91, v100, v91, 0x7fff
                                        ; implicit-def: $vgpr100
; %bb.16:
	s_and_not1_saveexec_b32 s3, s3
; %bb.17:
	v_and_b32_e32 v91, 0xffff, v100
	v_or_b32_e32 v93, 0x10000, v100
	s_delay_alu instid0(VALU_DEP_2) | instskip(NEXT) | instid1(VALU_DEP_2)
	v_cmp_eq_u32_e32 vcc_lo, 0, v91
	v_cndmask_b32_e32 v91, v93, v100, vcc_lo
; %bb.18:
	s_or_b32 exec_lo, exec_lo, s3
	v_and_b32_e32 v93, 0x7f800000, v95
	s_delay_alu instid0(VALU_DEP_1) | instskip(SKIP_1) | instid1(SALU_CYCLE_1)
	v_cmp_ne_u32_e32 vcc_lo, 0x7f800000, v93
                                        ; implicit-def: $vgpr93
	s_and_saveexec_b32 s3, vcc_lo
	s_xor_b32 s3, exec_lo, s3
; %bb.19:
	v_bfe_u32 v93, v95, 16, 1
	s_delay_alu instid0(VALU_DEP_1)
	v_add3_u32 v93, v95, v93, 0x7fff
                                        ; implicit-def: $vgpr95
; %bb.20:
	s_and_not1_saveexec_b32 s3, s3
; %bb.21:
	v_and_b32_e32 v93, 0xffff, v95
	v_or_b32_e32 v100, 0x10000, v95
	s_delay_alu instid0(VALU_DEP_2) | instskip(NEXT) | instid1(VALU_DEP_2)
	v_cmp_eq_u32_e32 vcc_lo, 0, v93
	v_cndmask_b32_e32 v93, v100, v95, vcc_lo
; %bb.22:
	s_or_b32 exec_lo, exec_lo, s3
	v_and_b32_e32 v95, 0x7f800000, v96
	s_delay_alu instid0(VALU_DEP_1) | instskip(SKIP_1) | instid1(SALU_CYCLE_1)
	v_cmp_ne_u32_e32 vcc_lo, 0x7f800000, v95
                                        ; implicit-def: $vgpr95
	s_and_saveexec_b32 s3, vcc_lo
	s_xor_b32 s3, exec_lo, s3
; %bb.23:
	v_bfe_u32 v95, v96, 16, 1
	s_delay_alu instid0(VALU_DEP_1)
	v_add3_u32 v95, v96, v95, 0x7fff
                                        ; implicit-def: $vgpr96
; %bb.24:
	s_and_not1_saveexec_b32 s3, s3
; %bb.25:
	v_and_b32_e32 v95, 0xffff, v96
	v_or_b32_e32 v100, 0x10000, v96
	s_delay_alu instid0(VALU_DEP_2) | instskip(NEXT) | instid1(VALU_DEP_2)
	v_cmp_eq_u32_e32 vcc_lo, 0, v95
	v_cndmask_b32_e32 v95, v100, v96, vcc_lo
; %bb.26:
	s_or_b32 exec_lo, exec_lo, s3
	v_and_b32_e32 v96, 0x7f800000, v99
	s_delay_alu instid0(VALU_DEP_1) | instskip(SKIP_1) | instid1(SALU_CYCLE_1)
	v_cmp_ne_u32_e32 vcc_lo, 0x7f800000, v96
                                        ; implicit-def: $vgpr96
	s_and_saveexec_b32 s3, vcc_lo
	s_xor_b32 s3, exec_lo, s3
; %bb.27:
	v_bfe_u32 v96, v99, 16, 1
	s_delay_alu instid0(VALU_DEP_1)
	v_add3_u32 v96, v99, v96, 0x7fff
                                        ; implicit-def: $vgpr99
; %bb.28:
	s_and_not1_saveexec_b32 s3, s3
; %bb.29:
	v_and_b32_e32 v96, 0xffff, v99
	v_or_b32_e32 v100, 0x10000, v99
	s_delay_alu instid0(VALU_DEP_2) | instskip(NEXT) | instid1(VALU_DEP_2)
	v_cmp_eq_u32_e32 vcc_lo, 0, v96
	v_cndmask_b32_e32 v96, v100, v99, vcc_lo
; %bb.30:
	s_or_b32 exec_lo, exec_lo, s3
	v_and_b32_e32 v99, 0x7f800000, v98
	s_delay_alu instid0(VALU_DEP_1) | instskip(SKIP_1) | instid1(SALU_CYCLE_1)
	v_cmp_ne_u32_e32 vcc_lo, 0x7f800000, v99
                                        ; implicit-def: $vgpr99
	s_and_saveexec_b32 s3, vcc_lo
	s_xor_b32 s3, exec_lo, s3
; %bb.31:
	v_bfe_u32 v99, v98, 16, 1
	s_delay_alu instid0(VALU_DEP_1)
	v_add3_u32 v99, v98, v99, 0x7fff
                                        ; implicit-def: $vgpr98
; %bb.32:
	s_and_not1_saveexec_b32 s3, s3
; %bb.33:
	v_and_b32_e32 v99, 0xffff, v98
	v_or_b32_e32 v100, 0x10000, v98
	s_delay_alu instid0(VALU_DEP_2) | instskip(NEXT) | instid1(VALU_DEP_2)
	v_cmp_eq_u32_e32 vcc_lo, 0, v99
	v_cndmask_b32_e32 v99, v100, v98, vcc_lo
; %bb.34:
	s_or_b32 exec_lo, exec_lo, s3
	v_and_b32_e32 v98, 0x7f800000, v97
	s_delay_alu instid0(VALU_DEP_1) | instskip(SKIP_1) | instid1(SALU_CYCLE_1)
	v_cmp_ne_u32_e32 vcc_lo, 0x7f800000, v98
                                        ; implicit-def: $vgpr98
	s_and_saveexec_b32 s3, vcc_lo
	s_xor_b32 s3, exec_lo, s3
; %bb.35:
	v_bfe_u32 v98, v97, 16, 1
	s_delay_alu instid0(VALU_DEP_1)
	v_add3_u32 v98, v97, v98, 0x7fff
                                        ; implicit-def: $vgpr97
; %bb.36:
	s_and_not1_saveexec_b32 s3, s3
; %bb.37:
	v_and_b32_e32 v98, 0xffff, v97
	v_or_b32_e32 v100, 0x10000, v97
	s_delay_alu instid0(VALU_DEP_2) | instskip(NEXT) | instid1(VALU_DEP_2)
	v_cmp_eq_u32_e32 vcc_lo, 0, v98
	v_cndmask_b32_e32 v98, v100, v97, vcc_lo
; %bb.38:
	s_or_b32 exec_lo, exec_lo, s3
	v_and_b32_e32 v97, 0x7f800000, v94
	s_delay_alu instid0(VALU_DEP_1) | instskip(SKIP_1) | instid1(SALU_CYCLE_1)
	v_cmp_ne_u32_e32 vcc_lo, 0x7f800000, v97
                                        ; implicit-def: $vgpr97
	s_and_saveexec_b32 s3, vcc_lo
	s_xor_b32 s3, exec_lo, s3
; %bb.39:
	v_bfe_u32 v97, v94, 16, 1
	s_delay_alu instid0(VALU_DEP_1)
	v_add3_u32 v97, v94, v97, 0x7fff
                                        ; implicit-def: $vgpr94
; %bb.40:
	s_and_not1_saveexec_b32 s3, s3
; %bb.41:
	v_and_b32_e32 v97, 0xffff, v94
	v_or_b32_e32 v100, 0x10000, v94
	s_delay_alu instid0(VALU_DEP_2) | instskip(NEXT) | instid1(VALU_DEP_2)
	v_cmp_eq_u32_e32 vcc_lo, 0, v97
	v_cndmask_b32_e32 v97, v100, v94, vcc_lo
; %bb.42:
	s_or_b32 exec_lo, exec_lo, s3
	v_and_b32_e32 v94, 0x7f800000, v92
	s_delay_alu instid0(VALU_DEP_1) | instskip(SKIP_1) | instid1(SALU_CYCLE_1)
	v_cmp_ne_u32_e32 vcc_lo, 0x7f800000, v94
                                        ; implicit-def: $vgpr94
	s_and_saveexec_b32 s3, vcc_lo
	s_xor_b32 s3, exec_lo, s3
; %bb.43:
	v_bfe_u32 v94, v92, 16, 1
	s_delay_alu instid0(VALU_DEP_1)
	v_add3_u32 v94, v92, v94, 0x7fff
                                        ; implicit-def: $vgpr92
; %bb.44:
	s_and_not1_saveexec_b32 s3, s3
; %bb.45:
	v_and_b32_e32 v94, 0xffff, v92
	v_or_b32_e32 v100, 0x10000, v92
	s_delay_alu instid0(VALU_DEP_2) | instskip(NEXT) | instid1(VALU_DEP_2)
	v_cmp_eq_u32_e32 vcc_lo, 0, v94
	v_cndmask_b32_e32 v94, v100, v92, vcc_lo
; %bb.46:
	s_or_b32 exec_lo, exec_lo, s3
	s_load_b64 s[34:35], s[0:1], 0x94
	v_lshlrev_b32_e32 v92, 4, v83
	s_delay_alu instid0(VALU_DEP_2)
	v_perm_b32 v100, v94, v97, 0x7060302
	v_dual_mul_f32 v89, v90, v89 :: v_dual_lshlrev_b32 v94, 11, v74
	v_perm_b32 v97, v93, v91, 0x7060302
	v_mul_f32_e32 v93, v90, v77
	v_perm_b32 v99, v98, v99, 0x7060302
	v_perm_b32 v98, v96, v95, 0x7060302
	v_or3_b32 v77, v92, v94, v85
	v_mul_f32_e32 v88, v90, v88
	v_dual_mul_f32 v87, v90, v87 :: v_dual_and_b32 v94, 0x7f800000, v93
	v_mul_f32_e32 v86, v90, v86
	v_mul_f32_e32 v91, v90, v80
	;; [unrolled: 1-line block ×4, first 2 shown]
	s_mov_b32 s3, exec_lo
	ds_store_b128 v77, v[97:100]
                                        ; implicit-def: $vgpr78
	v_cmpx_ne_u32_e32 0x7f800000, v94
	s_xor_b32 s3, exec_lo, s3
; %bb.47:
	v_bfe_u32 v78, v93, 16, 1
	s_delay_alu instid0(VALU_DEP_1)
	v_add3_u32 v78, v93, v78, 0x7fff
                                        ; implicit-def: $vgpr93
; %bb.48:
	s_and_not1_saveexec_b32 s3, s3
; %bb.49:
	v_and_b32_e32 v78, 0xffff, v93
	v_or_b32_e32 v79, 0x10000, v93
	s_delay_alu instid0(VALU_DEP_2) | instskip(NEXT) | instid1(VALU_DEP_2)
	v_cmp_eq_u32_e32 vcc_lo, 0, v78
	v_cndmask_b32_e32 v78, v79, v93, vcc_lo
; %bb.50:
	s_or_b32 exec_lo, exec_lo, s3
	v_and_b32_e32 v79, 0x7f800000, v80
	s_delay_alu instid0(VALU_DEP_1) | instskip(SKIP_1) | instid1(SALU_CYCLE_1)
	v_cmp_ne_u32_e32 vcc_lo, 0x7f800000, v79
                                        ; implicit-def: $vgpr79
	s_and_saveexec_b32 s3, vcc_lo
	s_xor_b32 s3, exec_lo, s3
; %bb.51:
	v_bfe_u32 v79, v80, 16, 1
	s_delay_alu instid0(VALU_DEP_1)
	v_add3_u32 v79, v80, v79, 0x7fff
                                        ; implicit-def: $vgpr80
; %bb.52:
	s_and_not1_saveexec_b32 s3, s3
; %bb.53:
	v_and_b32_e32 v79, 0xffff, v80
	v_or_b32_e32 v90, 0x10000, v80
	s_delay_alu instid0(VALU_DEP_2) | instskip(NEXT) | instid1(VALU_DEP_2)
	v_cmp_eq_u32_e32 vcc_lo, 0, v79
	v_cndmask_b32_e32 v79, v90, v80, vcc_lo
; %bb.54:
	s_or_b32 exec_lo, exec_lo, s3
	v_and_b32_e32 v80, 0x7f800000, v92
	s_delay_alu instid0(VALU_DEP_1) | instskip(SKIP_1) | instid1(SALU_CYCLE_1)
	v_cmp_ne_u32_e32 vcc_lo, 0x7f800000, v80
                                        ; implicit-def: $vgpr80
	s_and_saveexec_b32 s3, vcc_lo
	s_xor_b32 s3, exec_lo, s3
; %bb.55:
	v_bfe_u32 v80, v92, 16, 1
	s_delay_alu instid0(VALU_DEP_1)
	v_add3_u32 v80, v92, v80, 0x7fff
                                        ; implicit-def: $vgpr92
; %bb.56:
	s_and_not1_saveexec_b32 s3, s3
; %bb.57:
	v_and_b32_e32 v80, 0xffff, v92
	v_or_b32_e32 v90, 0x10000, v92
	s_delay_alu instid0(VALU_DEP_2) | instskip(NEXT) | instid1(VALU_DEP_2)
	v_cmp_eq_u32_e32 vcc_lo, 0, v80
	v_cndmask_b32_e32 v80, v90, v92, vcc_lo
; %bb.58:
	s_or_b32 exec_lo, exec_lo, s3
	v_and_b32_e32 v90, 0x7f800000, v91
	s_delay_alu instid0(VALU_DEP_1) | instskip(SKIP_1) | instid1(SALU_CYCLE_1)
	v_cmp_ne_u32_e32 vcc_lo, 0x7f800000, v90
                                        ; implicit-def: $vgpr90
	s_and_saveexec_b32 s3, vcc_lo
	s_xor_b32 s3, exec_lo, s3
; %bb.59:
	v_bfe_u32 v90, v91, 16, 1
	s_delay_alu instid0(VALU_DEP_1)
	v_add3_u32 v90, v91, v90, 0x7fff
                                        ; implicit-def: $vgpr91
; %bb.60:
	s_and_not1_saveexec_b32 s3, s3
; %bb.61:
	v_and_b32_e32 v90, 0xffff, v91
	v_or_b32_e32 v92, 0x10000, v91
	s_delay_alu instid0(VALU_DEP_2) | instskip(NEXT) | instid1(VALU_DEP_2)
	v_cmp_eq_u32_e32 vcc_lo, 0, v90
	v_cndmask_b32_e32 v90, v92, v91, vcc_lo
; %bb.62:
	s_or_b32 exec_lo, exec_lo, s3
	v_and_b32_e32 v91, 0x7f800000, v86
	s_delay_alu instid0(VALU_DEP_1) | instskip(SKIP_1) | instid1(SALU_CYCLE_1)
	v_cmp_ne_u32_e32 vcc_lo, 0x7f800000, v91
                                        ; implicit-def: $vgpr91
	s_and_saveexec_b32 s3, vcc_lo
	s_xor_b32 s3, exec_lo, s3
; %bb.63:
	v_bfe_u32 v91, v86, 16, 1
	s_delay_alu instid0(VALU_DEP_1)
	v_add3_u32 v91, v86, v91, 0x7fff
                                        ; implicit-def: $vgpr86
; %bb.64:
	s_and_not1_saveexec_b32 s3, s3
; %bb.65:
	v_and_b32_e32 v91, 0xffff, v86
	v_or_b32_e32 v92, 0x10000, v86
	s_delay_alu instid0(VALU_DEP_2) | instskip(NEXT) | instid1(VALU_DEP_2)
	v_cmp_eq_u32_e32 vcc_lo, 0, v91
	v_cndmask_b32_e32 v91, v92, v86, vcc_lo
; %bb.66:
	s_or_b32 exec_lo, exec_lo, s3
	v_and_b32_e32 v86, 0x7f800000, v87
	s_delay_alu instid0(VALU_DEP_1) | instskip(SKIP_1) | instid1(SALU_CYCLE_1)
	v_cmp_ne_u32_e32 vcc_lo, 0x7f800000, v86
                                        ; implicit-def: $vgpr86
	s_and_saveexec_b32 s3, vcc_lo
	s_xor_b32 s3, exec_lo, s3
; %bb.67:
	v_bfe_u32 v86, v87, 16, 1
	s_delay_alu instid0(VALU_DEP_1)
	v_add3_u32 v86, v87, v86, 0x7fff
                                        ; implicit-def: $vgpr87
; %bb.68:
	s_and_not1_saveexec_b32 s3, s3
; %bb.69:
	v_and_b32_e32 v86, 0xffff, v87
	v_or_b32_e32 v92, 0x10000, v87
	s_delay_alu instid0(VALU_DEP_2) | instskip(NEXT) | instid1(VALU_DEP_2)
	v_cmp_eq_u32_e32 vcc_lo, 0, v86
	v_cndmask_b32_e32 v86, v92, v87, vcc_lo
; %bb.70:
	s_or_b32 exec_lo, exec_lo, s3
	v_and_b32_e32 v87, 0x7f800000, v88
	s_delay_alu instid0(VALU_DEP_1) | instskip(SKIP_1) | instid1(SALU_CYCLE_1)
	v_cmp_ne_u32_e32 vcc_lo, 0x7f800000, v87
                                        ; implicit-def: $vgpr87
	s_and_saveexec_b32 s3, vcc_lo
	s_xor_b32 s3, exec_lo, s3
; %bb.71:
	v_bfe_u32 v87, v88, 16, 1
	s_delay_alu instid0(VALU_DEP_1)
	v_add3_u32 v87, v88, v87, 0x7fff
                                        ; implicit-def: $vgpr88
; %bb.72:
	s_and_not1_saveexec_b32 s3, s3
; %bb.73:
	v_and_b32_e32 v87, 0xffff, v88
	v_or_b32_e32 v92, 0x10000, v88
	s_delay_alu instid0(VALU_DEP_2) | instskip(NEXT) | instid1(VALU_DEP_2)
	v_cmp_eq_u32_e32 vcc_lo, 0, v87
	v_cndmask_b32_e32 v87, v92, v88, vcc_lo
; %bb.74:
	s_or_b32 exec_lo, exec_lo, s3
	v_and_b32_e32 v88, 0x7f800000, v89
	s_delay_alu instid0(VALU_DEP_1) | instskip(SKIP_1) | instid1(SALU_CYCLE_1)
	v_cmp_ne_u32_e32 vcc_lo, 0x7f800000, v88
                                        ; implicit-def: $vgpr88
	s_and_saveexec_b32 s3, vcc_lo
	s_xor_b32 s3, exec_lo, s3
; %bb.75:
	v_bfe_u32 v88, v89, 16, 1
	s_delay_alu instid0(VALU_DEP_1)
	v_add3_u32 v88, v89, v88, 0x7fff
                                        ; implicit-def: $vgpr89
; %bb.76:
	s_and_not1_saveexec_b32 s3, s3
; %bb.77:
	v_and_b32_e32 v88, 0xffff, v89
	v_or_b32_e32 v92, 0x10000, v89
	s_delay_alu instid0(VALU_DEP_2) | instskip(NEXT) | instid1(VALU_DEP_2)
	v_cmp_eq_u32_e32 vcc_lo, 0, v88
	v_cndmask_b32_e32 v88, v92, v89, vcc_lo
; %bb.78:
	s_or_b32 exec_lo, exec_lo, s3
	s_delay_alu instid0(VALU_DEP_1)
	v_perm_b32 v89, v88, v87, 0x7060302
	v_perm_b32 v88, v86, v91, 0x7060302
	;; [unrolled: 1-line block ×4, first 2 shown]
	v_lshl_or_b32 v90, v74, 11, v85
	ds_store_b128 v77, v[86:89] offset:1024
	s_waitcnt lgkmcnt(0)
	s_barrier
	buffer_gl0_inv
	ds_load_b128 v[91:94], v90
	ds_load_b128 v[95:98], v90 offset:16
	v_lshlrev_b32_e32 v87, 2, v83
	s_delay_alu instid0(VALU_DEP_1)
	v_or_b32_e32 v88, 1, v87
	v_cmp_eq_u32_e32 vcc_lo, 1, v87
	v_cmp_eq_u32_e64 s4, 2, v87
	v_cmp_eq_u32_e64 s7, 3, v87
	;; [unrolled: 1-line block ×6, first 2 shown]
	v_or_b32_e32 v86, 2, v87
	v_cmp_eq_u32_e64 s10, 5, v87
	v_cmp_eq_u32_e64 s11, 4, v88
	;; [unrolled: 1-line block ×4, first 2 shown]
	s_waitcnt lgkmcnt(1)
	v_lshrrev_b32_e32 v74, 16, v91
	s_waitcnt lgkmcnt(0)
	v_lshrrev_b32_e32 v103, 16, v95
	v_lshrrev_b32_e32 v80, 16, v94
	;; [unrolled: 1-line block ×4, first 2 shown]
	v_cndmask_b32_e32 v89, v91, v74, vcc_lo
	v_cndmask_b32_e32 v99, v95, v103, vcc_lo
	v_cndmask_b32_e64 v100, v91, v74, s3
	v_lshrrev_b32_e32 v79, 16, v93
	v_lshrrev_b32_e32 v108, 16, v97
	v_cndmask_b32_e64 v89, v89, v92, s4
	v_cndmask_b32_e64 v99, v99, v96, s4
	;; [unrolled: 1-line block ×4, first 2 shown]
	v_cmp_eq_u32_e64 s5, 1, v86
	v_cndmask_b32_e64 v89, v89, v78, s7
	v_cndmask_b32_e64 v99, v99, v107, s7
	;; [unrolled: 1-line block ×4, first 2 shown]
	v_lshrrev_b32_e32 v109, 16, v98
	v_cndmask_b32_e64 v89, v89, v93, s9
	v_cndmask_b32_e64 v99, v99, v97, s9
	;; [unrolled: 1-line block ×8, first 2 shown]
	v_cmp_eq_u32_e64 s15, 7, v87
	v_cmp_eq_u32_e64 s16, 6, v88
	v_cndmask_b32_e64 v89, v89, v94, s12
	v_cndmask_b32_e64 v99, v99, v98, s12
	v_cmp_eq_u32_e64 s17, 2, v86
	v_cndmask_b32_e64 v101, v101, v97, s11
	v_cndmask_b32_e64 v100, v100, v94, s16
	;; [unrolled: 1-line block ×6, first 2 shown]
	v_cmp_eq_u32_e64 s18, 7, v88
	v_cmp_eq_u32_e64 s19, 3, v86
	v_cmp_eq_u32_e64 s20, 4, v86
	v_cmp_eq_u32_e64 s22, 5, v86
	v_cndmask_b32_e64 v99, v99, v96, s17
	v_cndmask_b32_e64 v112, v100, v80, s18
	;; [unrolled: 1-line block ×4, first 2 shown]
	v_or_b32_e32 v89, 3, v87
	v_cndmask_b32_e64 v105, v99, v107, s19
	v_cmp_eq_u32_e64 s24, 6, v86
	v_cndmask_b32_e64 v113, v100, v98, s16
	v_cndmask_b32_e64 v104, v101, v93, s20
	ds_load_b128 v[99:102], v90 offset:1024
	v_cmp_eq_u32_e64 s21, 1, v89
	v_cmp_eq_u32_e64 s23, 2, v89
	;; [unrolled: 1-line block ×3, first 2 shown]
	v_cndmask_b32_e64 v114, v104, v79, s22
	v_cmp_eq_u32_e64 s26, 4, v89
	v_cndmask_b32_e64 v74, v91, v74, s21
	v_cndmask_b32_e64 v91, v105, v97, s20
	;; [unrolled: 1-line block ×3, first 2 shown]
	ds_load_b128 v[103:106], v90 offset:1040
	v_cmp_eq_u32_e64 s28, 5, v89
	v_cndmask_b32_e64 v74, v74, v92, s23
	v_cndmask_b32_e64 v91, v91, v108, s22
	;; [unrolled: 1-line block ×3, first 2 shown]
	v_cmp_eq_u32_e64 s29, 6, v89
	v_cndmask_b32_e64 v95, v113, v109, s18
	v_cndmask_b32_e64 v74, v74, v78, s25
	;; [unrolled: 1-line block ×5, first 2 shown]
	s_waitcnt lgkmcnt(1)
	v_lshrrev_b32_e32 v96, 16, v99
	v_cndmask_b32_e64 v74, v74, v93, s26
	v_lshrrev_b32_e32 v107, 16, v100
	v_cndmask_b32_e64 v92, v92, v97, s26
	v_cmp_eq_u32_e64 s27, 7, v86
	v_cndmask_b32_e32 v93, v99, v96, vcc_lo
	v_cndmask_b32_e64 v74, v74, v79, s28
	s_delay_alu instid0(VALU_DEP_4)
	v_cndmask_b32_e64 v79, v92, v108, s28
	s_waitcnt lgkmcnt(0)
	v_lshrrev_b32_e32 v97, 16, v103
	v_cndmask_b32_e64 v92, v93, v100, s4
	v_cndmask_b32_e64 v93, v99, v96, s3
	;; [unrolled: 1-line block ×4, first 2 shown]
	v_cndmask_b32_e32 v108, v103, v97, vcc_lo
	v_cndmask_b32_e64 v92, v92, v107, s7
	v_cndmask_b32_e64 v93, v93, v100, s6
	v_lshrrev_b32_e32 v98, 16, v104
	v_cmp_eq_u32_e32 vcc_lo, 7, v89
	v_cndmask_b32_e64 v94, v108, v104, s4
	v_cndmask_b32_e64 v92, v92, v101, s9
	v_lshrrev_b32_e32 v108, 16, v101
	v_cndmask_b32_e64 v93, v93, v107, s8
	v_cndmask_b32_e32 v74, v74, v80, vcc_lo
	v_cndmask_b32_e64 v94, v94, v98, s7
	v_cndmask_b32_e32 v79, v79, v109, vcc_lo
	v_cndmask_b32_e64 v92, v92, v108, s10
	v_cndmask_b32_e64 v78, v78, v80, s27
	;; [unrolled: 1-line block ×4, first 2 shown]
	v_perm_b32 v94, v79, v74, 0x5040100
	v_cndmask_b32_e64 v79, v92, v102, s12
	v_perm_b32 v92, v95, v112, 0x5040100
	v_cndmask_b32_e64 v95, v99, v96, s5
	v_cndmask_b32_e64 v96, v99, v96, s21
	;; [unrolled: 1-line block ×16, first 2 shown]
	v_lshrrev_b32_e32 v109, 16, v105
	v_cndmask_b32_e64 v95, v95, v101, s20
	v_cndmask_b32_e64 v96, v96, v101, s26
	;; [unrolled: 1-line block ×6, first 2 shown]
	v_lshrrev_b32_e32 v80, 16, v102
	v_cndmask_b32_e64 v113, v93, v109, s10
	v_cndmask_b32_e64 v95, v95, v108, s22
	;; [unrolled: 1-line block ×6, first 2 shown]
	v_perm_b32 v93, v91, v78, 0x5040100
	v_cndmask_b32_e64 v74, v74, v102, s16
	v_cndmask_b32_e64 v78, v79, v80, s15
	;; [unrolled: 1-line block ×3, first 2 shown]
	v_lshrrev_b32_e32 v91, 16, v106
	v_cndmask_b32_e64 v95, v95, v102, s24
	v_cndmask_b32_e64 v96, v96, v102, s29
	;; [unrolled: 1-line block ×7, first 2 shown]
	v_cndmask_b32_e32 v80, v96, v80, vcc_lo
	v_cndmask_b32_e32 v96, v98, v91, vcc_lo
	v_cndmask_b32_e64 v99, v99, v91, s27
	v_cndmask_b32_e64 v100, v97, v91, s18
	;; [unrolled: 1-line block ×3, first 2 shown]
	v_perm_b32 v91, v111, v110, 0x5040100
	v_perm_b32 v98, v96, v80, 0x5040100
	;; [unrolled: 1-line block ×5, first 2 shown]
	s_mul_i32 s8, s35, 6
	s_mov_b32 s3, exec_lo
	ds_store_b128 v77, v[91:94]
	ds_store_b128 v77, v[95:98] offset:1024
	v_cmpx_gt_u32_e32 6, v0
	s_cbranch_execz .LBB543_80
; %bb.79:
	s_mul_i32 s4, s8, s30
	s_delay_alu instid0(SALU_CYCLE_1) | instskip(SKIP_1) | instid1(VALU_DEP_1)
	v_add3_u32 v77, s4, s31, v73
	s_load_b128 s[4:7], s[0:1], 0x58
	v_mad_u64_u32 v[73:74], null, v77, s34, s[14:15]
	s_delay_alu instid0(VALU_DEP_1) | instskip(NEXT) | instid1(VALU_DEP_1)
	v_ashrrev_i32_e32 v74, 31, v73
	v_lshlrev_b64 v[73:74], 2, v[73:74]
	s_waitcnt lgkmcnt(0)
	s_delay_alu instid0(VALU_DEP_1) | instskip(NEXT) | instid1(VALU_DEP_2)
	v_add_co_u32 v77, vcc_lo, s6, v73
	v_add_co_ci_u32_e32 v78, vcc_lo, s7, v74, vcc_lo
	v_add_co_u32 v73, vcc_lo, s4, v73
	v_add_co_ci_u32_e32 v74, vcc_lo, s5, v74, vcc_lo
	global_store_b32 v[77:78], v75, off
	global_store_b32 v[73:74], v76, off
.LBB543_80:
	s_or_b32 exec_lo, exec_lo, s3
	s_waitcnt lgkmcnt(0)
	s_waitcnt_vscnt null, 0x0
	s_barrier
	buffer_gl0_inv
	ds_load_b128 v[91:94], v85
	ds_load_b128 v[95:98], v85 offset:16
	ds_load_b128 v[103:106], v85 offset:1040
	;; [unrolled: 1-line block ×3, first 2 shown]
	v_mov_b32_e32 v73, 0
	ds_load_b128 v[111:114], v85 offset:2064
	ds_load_b128 v[107:110], v85 offset:2048
	;; [unrolled: 1-line block ×6, first 2 shown]
	v_mov_b32_e32 v74, v73
	v_mov_b32_e32 v75, v73
	;; [unrolled: 1-line block ×7, first 2 shown]
	s_waitcnt lgkmcnt(8)
	s_delay_alu instid0(VALU_DEP_1)
	v_wmma_f32_16x16x16_bf16 v[73:80], v[65:72], v[91:98], v[73:80]
	ds_load_b128 v[69:72], v85 offset:5136
	ds_load_b128 v[65:68], v85 offset:5120
	;; [unrolled: 1-line block ×4, first 2 shown]
	s_waitcnt lgkmcnt(10)
	v_wmma_f32_16x16x16_bf16 v[73:80], v[57:64], v[99:106], v[73:80]
	s_waitcnt lgkmcnt(8)
	s_delay_alu instid0(VALU_DEP_1)
	v_wmma_f32_16x16x16_bf16 v[73:80], v[57:64], v[107:114], v[73:80]
	ds_load_b128 v[61:64], v85 offset:7184
	ds_load_b128 v[57:60], v85 offset:7168
	;; [unrolled: 1-line block ×4, first 2 shown]
	s_waitcnt lgkmcnt(10)
	v_wmma_f32_16x16x16_bf16 v[73:80], v[49:56], v[115:122], v[73:80]
	s_waitcnt lgkmcnt(8)
	s_delay_alu instid0(VALU_DEP_1)
	v_wmma_f32_16x16x16_bf16 v[73:80], v[49:56], v[123:130], v[73:80]
	ds_load_b128 v[53:56], v85 offset:9232
	ds_load_b128 v[49:52], v85 offset:9216
	s_waitcnt lgkmcnt(8)
	v_wmma_f32_16x16x16_bf16 v[73:80], v[41:48], v[65:72], v[73:80]
	ds_load_b128 v[69:72], v85 offset:10256
	ds_load_b128 v[65:68], v85 offset:10240
	s_waitcnt lgkmcnt(8)
	;; [unrolled: 4-line block ×3, first 2 shown]
	v_wmma_f32_16x16x16_bf16 v[73:80], v[9:16], v[57:64], v[73:80]
	s_waitcnt lgkmcnt(6)
	s_delay_alu instid0(VALU_DEP_1)
	v_wmma_f32_16x16x16_bf16 v[73:80], v[9:16], v[99:106], v[73:80]
	ds_load_b128 v[13:16], v85 offset:12304
	ds_load_b128 v[9:12], v85 offset:12288
	s_waitcnt lgkmcnt(6)
	v_wmma_f32_16x16x16_bf16 v[73:80], v[1:8], v[49:56], v[73:80]
	ds_load_b128 v[53:56], v85 offset:13328
	ds_load_b128 v[49:52], v85 offset:13312
	s_waitcnt lgkmcnt(6)
	v_wmma_f32_16x16x16_bf16 v[73:80], v[1:8], v[65:72], v[73:80]
	ds_load_b128 v[5:8], v85 offset:14352
	ds_load_b128 v[1:4], v85 offset:14336
	s_waitcnt lgkmcnt(6)
	v_wmma_f32_16x16x16_bf16 v[73:80], v[33:40], v[41:48], v[73:80]
	ds_load_b128 v[45:48], v85 offset:15376
	ds_load_b128 v[41:44], v85 offset:15360
	s_waitcnt lgkmcnt(6)
	v_wmma_f32_16x16x16_bf16 v[73:80], v[33:40], v[9:16], v[73:80]
	s_waitcnt lgkmcnt(4)
	s_delay_alu instid0(VALU_DEP_1) | instskip(SKIP_1) | instid1(VALU_DEP_1)
	v_wmma_f32_16x16x16_bf16 v[73:80], v[25:32], v[49:56], v[73:80]
	s_waitcnt lgkmcnt(2)
	v_wmma_f32_16x16x16_bf16 v[73:80], v[25:32], v[1:8], v[73:80]
	s_waitcnt lgkmcnt(0)
	s_delay_alu instid0(VALU_DEP_1) | instskip(NEXT) | instid1(VALU_DEP_1)
	v_wmma_f32_16x16x16_bf16 v[73:80], v[17:24], v[41:48], v[73:80]
	v_and_b32_e32 v1, 0x7f800000, v73
	s_delay_alu instid0(VALU_DEP_1) | instskip(SKIP_1) | instid1(SALU_CYCLE_1)
	v_cmp_ne_u32_e32 vcc_lo, 0x7f800000, v1
                                        ; implicit-def: $vgpr1
	s_and_saveexec_b32 s3, vcc_lo
	s_xor_b32 s3, exec_lo, s3
; %bb.81:
	v_bfe_u32 v1, v73, 16, 1
	s_delay_alu instid0(VALU_DEP_1)
	v_add3_u32 v1, v73, v1, 0x7fff
; %bb.82:
	s_and_not1_saveexec_b32 s3, s3
; %bb.83:
	v_and_b32_e32 v1, 0xffff, v73
	v_or_b32_e32 v2, 0x10000, v73
	s_delay_alu instid0(VALU_DEP_2) | instskip(NEXT) | instid1(VALU_DEP_2)
	v_cmp_eq_u32_e32 vcc_lo, 0, v1
	v_cndmask_b32_e32 v1, v2, v73, vcc_lo
; %bb.84:
	s_or_b32 exec_lo, exec_lo, s3
	v_and_b32_e32 v2, 0x7f800000, v74
	s_delay_alu instid0(VALU_DEP_1) | instskip(SKIP_1) | instid1(SALU_CYCLE_1)
	v_cmp_ne_u32_e32 vcc_lo, 0x7f800000, v2
                                        ; implicit-def: $vgpr2
	s_and_saveexec_b32 s3, vcc_lo
	s_xor_b32 s3, exec_lo, s3
; %bb.85:
	v_bfe_u32 v2, v74, 16, 1
	s_delay_alu instid0(VALU_DEP_1)
	v_add3_u32 v2, v74, v2, 0x7fff
; %bb.86:
	s_and_not1_saveexec_b32 s3, s3
; %bb.87:
	v_and_b32_e32 v2, 0xffff, v74
	v_or_b32_e32 v3, 0x10000, v74
	s_delay_alu instid0(VALU_DEP_2) | instskip(NEXT) | instid1(VALU_DEP_2)
	v_cmp_eq_u32_e32 vcc_lo, 0, v2
	v_cndmask_b32_e32 v2, v3, v74, vcc_lo
; %bb.88:
	s_or_b32 exec_lo, exec_lo, s3
	v_and_b32_e32 v3, 0x7f800000, v75
	s_delay_alu instid0(VALU_DEP_1) | instskip(SKIP_1) | instid1(SALU_CYCLE_1)
	v_cmp_ne_u32_e32 vcc_lo, 0x7f800000, v3
                                        ; implicit-def: $vgpr3
	s_and_saveexec_b32 s3, vcc_lo
	s_xor_b32 s3, exec_lo, s3
; %bb.89:
	v_bfe_u32 v3, v75, 16, 1
	s_delay_alu instid0(VALU_DEP_1)
	v_add3_u32 v3, v75, v3, 0x7fff
; %bb.90:
	s_and_not1_saveexec_b32 s3, s3
; %bb.91:
	v_and_b32_e32 v3, 0xffff, v75
	v_or_b32_e32 v4, 0x10000, v75
	s_delay_alu instid0(VALU_DEP_2) | instskip(NEXT) | instid1(VALU_DEP_2)
	v_cmp_eq_u32_e32 vcc_lo, 0, v3
	v_cndmask_b32_e32 v3, v4, v75, vcc_lo
; %bb.92:
	s_or_b32 exec_lo, exec_lo, s3
	v_and_b32_e32 v4, 0x7f800000, v76
	s_delay_alu instid0(VALU_DEP_1) | instskip(SKIP_1) | instid1(SALU_CYCLE_1)
	v_cmp_ne_u32_e32 vcc_lo, 0x7f800000, v4
                                        ; implicit-def: $vgpr4
	s_and_saveexec_b32 s3, vcc_lo
	s_xor_b32 s3, exec_lo, s3
; %bb.93:
	v_bfe_u32 v4, v76, 16, 1
	s_delay_alu instid0(VALU_DEP_1)
	v_add3_u32 v4, v76, v4, 0x7fff
; %bb.94:
	s_and_not1_saveexec_b32 s3, s3
; %bb.95:
	v_and_b32_e32 v4, 0xffff, v76
	v_or_b32_e32 v5, 0x10000, v76
	s_delay_alu instid0(VALU_DEP_2) | instskip(NEXT) | instid1(VALU_DEP_2)
	v_cmp_eq_u32_e32 vcc_lo, 0, v4
	v_cndmask_b32_e32 v4, v5, v76, vcc_lo
; %bb.96:
	s_or_b32 exec_lo, exec_lo, s3
	v_and_b32_e32 v5, 0x7f800000, v77
	s_delay_alu instid0(VALU_DEP_1) | instskip(SKIP_1) | instid1(SALU_CYCLE_1)
	v_cmp_ne_u32_e32 vcc_lo, 0x7f800000, v5
                                        ; implicit-def: $vgpr5
	s_and_saveexec_b32 s3, vcc_lo
	s_xor_b32 s3, exec_lo, s3
; %bb.97:
	v_bfe_u32 v5, v77, 16, 1
	s_delay_alu instid0(VALU_DEP_1)
	v_add3_u32 v5, v77, v5, 0x7fff
; %bb.98:
	s_and_not1_saveexec_b32 s3, s3
; %bb.99:
	v_and_b32_e32 v5, 0xffff, v77
	v_or_b32_e32 v6, 0x10000, v77
	s_delay_alu instid0(VALU_DEP_2) | instskip(NEXT) | instid1(VALU_DEP_2)
	v_cmp_eq_u32_e32 vcc_lo, 0, v5
	v_cndmask_b32_e32 v5, v6, v77, vcc_lo
; %bb.100:
	s_or_b32 exec_lo, exec_lo, s3
	v_and_b32_e32 v6, 0x7f800000, v78
	s_delay_alu instid0(VALU_DEP_1) | instskip(SKIP_1) | instid1(SALU_CYCLE_1)
	v_cmp_ne_u32_e32 vcc_lo, 0x7f800000, v6
                                        ; implicit-def: $vgpr6
	s_and_saveexec_b32 s3, vcc_lo
	s_xor_b32 s3, exec_lo, s3
; %bb.101:
	v_bfe_u32 v6, v78, 16, 1
	s_delay_alu instid0(VALU_DEP_1)
	v_add3_u32 v6, v78, v6, 0x7fff
; %bb.102:
	s_and_not1_saveexec_b32 s3, s3
; %bb.103:
	v_and_b32_e32 v6, 0xffff, v78
	v_or_b32_e32 v7, 0x10000, v78
	s_delay_alu instid0(VALU_DEP_2) | instskip(NEXT) | instid1(VALU_DEP_2)
	v_cmp_eq_u32_e32 vcc_lo, 0, v6
	v_cndmask_b32_e32 v6, v7, v78, vcc_lo
; %bb.104:
	s_or_b32 exec_lo, exec_lo, s3
	v_and_b32_e32 v7, 0x7f800000, v79
	s_delay_alu instid0(VALU_DEP_1) | instskip(SKIP_1) | instid1(SALU_CYCLE_1)
	v_cmp_ne_u32_e32 vcc_lo, 0x7f800000, v7
                                        ; implicit-def: $vgpr7
	s_and_saveexec_b32 s3, vcc_lo
	s_xor_b32 s3, exec_lo, s3
; %bb.105:
	v_bfe_u32 v7, v79, 16, 1
	s_delay_alu instid0(VALU_DEP_1)
	v_add3_u32 v7, v79, v7, 0x7fff
; %bb.106:
	s_and_not1_saveexec_b32 s3, s3
; %bb.107:
	v_and_b32_e32 v7, 0xffff, v79
	v_or_b32_e32 v8, 0x10000, v79
	s_delay_alu instid0(VALU_DEP_2) | instskip(NEXT) | instid1(VALU_DEP_2)
	v_cmp_eq_u32_e32 vcc_lo, 0, v7
	v_cndmask_b32_e32 v7, v8, v79, vcc_lo
; %bb.108:
	s_or_b32 exec_lo, exec_lo, s3
	v_and_b32_e32 v8, 0x7f800000, v80
	s_delay_alu instid0(VALU_DEP_1) | instskip(SKIP_1) | instid1(SALU_CYCLE_1)
	v_cmp_ne_u32_e32 vcc_lo, 0x7f800000, v8
                                        ; implicit-def: $vgpr8
	s_and_saveexec_b32 s3, vcc_lo
	s_xor_b32 s3, exec_lo, s3
; %bb.109:
	v_bfe_u32 v8, v80, 16, 1
	s_delay_alu instid0(VALU_DEP_1)
	v_add3_u32 v8, v80, v8, 0x7fff
                                        ; implicit-def: $vgpr73_vgpr74_vgpr75_vgpr76_vgpr77_vgpr78_vgpr79_vgpr80
; %bb.110:
	s_and_not1_saveexec_b32 s3, s3
; %bb.111:
	v_and_b32_e32 v8, 0xffff, v80
	v_or_b32_e32 v9, 0x10000, v80
	s_delay_alu instid0(VALU_DEP_2) | instskip(NEXT) | instid1(VALU_DEP_2)
	v_cmp_eq_u32_e32 vcc_lo, 0, v8
	v_cndmask_b32_e32 v8, v9, v80, vcc_lo
; %bb.112:
	s_or_b32 exec_lo, exec_lo, s3
	s_delay_alu instid0(VALU_DEP_1)
	v_perm_b32 v7, v8, v7, 0x7060302
	v_perm_b32 v6, v6, v5, 0x7060302
	;; [unrolled: 1-line block ×4, first 2 shown]
	v_lshl_or_b32 v9, v83, 4, v90
	s_barrier
	buffer_gl0_inv
	v_cmp_eq_u32_e32 vcc_lo, 1, v87
	ds_store_b128 v9, v[4:7]
	s_waitcnt lgkmcnt(0)
	s_barrier
	buffer_gl0_inv
	ds_load_b128 v[1:4], v90
	ds_load_b128 v[5:8], v90 offset:16
	v_cmp_eq_u32_e64 s4, 2, v87
	v_cmp_eq_u32_e64 s3, 1, v88
	v_cmp_eq_u32_e64 s5, 3, v87
	v_cmp_eq_u32_e64 s7, 2, v86
	v_cmp_eq_u32_e64 s6, 7, v88
	s_waitcnt lgkmcnt(1)
	v_lshrrev_b32_e32 v10, 16, v1
	s_waitcnt lgkmcnt(0)
	v_lshrrev_b32_e32 v14, 16, v5
	v_lshrrev_b32_e32 v15, 16, v6
	;; [unrolled: 1-line block ×4, first 2 shown]
	v_cndmask_b32_e64 v20, v1, v10, s3
	v_cndmask_b32_e32 v19, v5, v14, vcc_lo
	v_cndmask_b32_e64 v21, v5, v14, s3
	v_lshrrev_b32_e32 v16, 16, v7
	v_cmp_eq_u32_e64 s3, 1, v86
	v_lshrrev_b32_e32 v13, 16, v4
	v_cndmask_b32_e64 v19, v19, v6, s4
	v_lshrrev_b32_e32 v17, 16, v8
	s_delay_alu instid0(VALU_DEP_4) | instskip(SKIP_1) | instid1(VALU_DEP_4)
	v_cndmask_b32_e64 v22, v1, v10, s3
	v_cndmask_b32_e64 v23, v5, v14, s3
	;; [unrolled: 1-line block ×3, first 2 shown]
	v_cndmask_b32_e32 v18, v1, v10, vcc_lo
	v_cmp_eq_u32_e32 vcc_lo, 2, v88
	v_cmp_eq_u32_e64 s3, 2, v89
	v_cndmask_b32_e64 v22, v22, v2, s7
	v_cndmask_b32_e32 v20, v20, v2, vcc_lo
	v_cndmask_b32_e32 v21, v21, v6, vcc_lo
	v_cmp_eq_u32_e32 vcc_lo, 4, v87
	v_cndmask_b32_e32 v19, v19, v7, vcc_lo
	v_cndmask_b32_e64 v18, v18, v2, s4
	v_cmp_eq_u32_e64 s4, 3, v88
	s_delay_alu instid0(VALU_DEP_2) | instskip(NEXT) | instid1(VALU_DEP_2)
	v_cndmask_b32_e64 v18, v18, v11, s5
	v_cndmask_b32_e64 v21, v21, v15, s4
	v_cmp_eq_u32_e64 s5, 5, v87
	s_delay_alu instid0(VALU_DEP_3) | instskip(SKIP_1) | instid1(VALU_DEP_3)
	v_cndmask_b32_e32 v18, v18, v3, vcc_lo
	v_cmp_eq_u32_e32 vcc_lo, 4, v88
	v_cndmask_b32_e64 v19, v19, v16, s5
	s_delay_alu instid0(VALU_DEP_3) | instskip(SKIP_4) | instid1(VALU_DEP_3)
	v_cndmask_b32_e64 v18, v18, v12, s5
	v_cndmask_b32_e32 v21, v21, v7, vcc_lo
	v_cndmask_b32_e64 v20, v20, v11, s4
	v_cmp_eq_u32_e64 s4, 5, v88
	v_cmp_eq_u32_e64 s5, 6, v87
	v_cndmask_b32_e32 v20, v20, v3, vcc_lo
	s_delay_alu instid0(VALU_DEP_3) | instskip(SKIP_1) | instid1(VALU_DEP_4)
	v_cndmask_b32_e64 v21, v21, v16, s4
	v_cmp_eq_u32_e32 vcc_lo, 6, v88
	v_cndmask_b32_e64 v18, v18, v4, s5
	v_cndmask_b32_e64 v19, v19, v8, s5
	;; [unrolled: 1-line block ×3, first 2 shown]
	v_cmp_eq_u32_e64 s4, 1, v89
	v_cmp_eq_u32_e64 s5, 7, v87
	s_delay_alu instid0(VALU_DEP_3) | instskip(NEXT) | instid1(VALU_DEP_3)
	v_cndmask_b32_e32 v20, v20, v4, vcc_lo
	v_cndmask_b32_e64 v1, v1, v10, s4
	v_cndmask_b32_e64 v5, v5, v14, s4
	v_cmp_eq_u32_e64 s4, 3, v86
	v_cndmask_b32_e64 v14, v23, v6, s7
	v_cmp_eq_u32_e64 s7, 3, v89
	v_cndmask_b32_e64 v1, v1, v2, s3
	v_cndmask_b32_e64 v2, v5, v6, s3
	;; [unrolled: 1-line block ×3, first 2 shown]
	v_cmp_eq_u32_e64 s3, 4, v86
	v_cndmask_b32_e64 v6, v14, v15, s4
	v_cndmask_b32_e64 v1, v1, v11, s7
	v_cmp_eq_u32_e64 s4, 4, v89
	v_cndmask_b32_e64 v2, v2, v15, s7
	v_cndmask_b32_e64 v5, v10, v3, s3
	;; [unrolled: 3-line block ×3, first 2 shown]
	v_cndmask_b32_e64 v2, v2, v7, s4
	v_cmp_eq_u32_e64 s3, 5, v89
	v_cndmask_b32_e64 v5, v5, v12, s7
	v_cmp_eq_u32_e64 s4, 6, v86
	;; [unrolled: 2-line block ×3, first 2 shown]
	v_cndmask_b32_e64 v1, v1, v12, s3
	v_cndmask_b32_e64 v2, v2, v16, s3
	;; [unrolled: 1-line block ×4, first 2 shown]
	v_cmp_eq_u32_e64 s3, 7, v89
	v_cndmask_b32_e64 v1, v1, v4, s7
	v_cndmask_b32_e64 v2, v2, v8, s7
	v_cmp_eq_u32_e64 s4, 7, v86
	v_cndmask_b32_e32 v4, v21, v8, vcc_lo
	v_cndmask_b32_e64 v18, v18, v13, s5
	v_cndmask_b32_e64 v20, v20, v13, s6
	;; [unrolled: 1-line block ×8, first 2 shown]
	v_cmp_gt_u32_e32 vcc_lo, 32, v0
	v_perm_b32 v4, v2, v1, 0x5040100
	v_perm_b32 v3, v3, v5, 0x5040100
	;; [unrolled: 1-line block ×4, first 2 shown]
	s_and_b32 s2, vcc_lo, s2
	ds_store_b128 v9, v[1:4]
	s_waitcnt lgkmcnt(0)
	s_barrier
	buffer_gl0_inv
	s_and_saveexec_b32 s3, s2
	s_cbranch_execz .LBB543_2
; %bb.113:
	s_load_b64 s[0:1], s[0:1], 0x68
	s_lshl_b32 s4, s34, 6
	v_or_b32_e32 v3, s31, v83
	s_mul_i32 s2, s4, s30
	v_lshlrev_b32_e32 v0, 10, v0
	s_mul_i32 s2, s2, s8
	v_lshlrev_b32_e32 v1, 4, v84
	s_ashr_i32 s3, s2, 31
	v_mul_lo_u32 v12, v3, s4
	s_lshl_b64 s[2:3], s[2:3], 1
	v_lshlrev_b32_e32 v2, 6, v83
	v_and_b32_e32 v0, 0x3800, v0
	s_delay_alu instid0(VALU_DEP_1) | instskip(NEXT) | instid1(VALU_DEP_4)
	v_or3_b32 v8, v0, v1, v2
	v_ashrrev_i32_e32 v13, 31, v12
	ds_load_b128 v[0:3], v8
	ds_load_b128 v[4:7], v8 offset:128
	ds_load_b128 v[8:11], v8 offset:256
	s_waitcnt lgkmcnt(0)
	s_add_u32 s2, s0, s2
	s_addc_u32 s3, s1, s3
	s_lshl_b32 s0, s14, 6
	s_delay_alu instid0(SALU_CYCLE_1) | instskip(NEXT) | instid1(SALU_CYCLE_1)
	s_ashr_i32 s1, s0, 31
	s_lshl_b64 s[0:1], s[0:1], 1
	s_delay_alu instid0(SALU_CYCLE_1)
	s_add_u32 s0, s2, s0
	s_addc_u32 s1, s3, s1
	s_lshl_b32 s2, s34, 7
	v_add_co_u32 v18, vcc_lo, s0, v81
	v_add_nc_u32_e32 v14, s2, v12
	v_lshlrev_b64 v[12:13], 1, v[12:13]
	v_add_co_ci_u32_e32 v19, vcc_lo, s1, v82, vcc_lo
	s_delay_alu instid0(VALU_DEP_3) | instskip(SKIP_1) | instid1(VALU_DEP_4)
	v_add_nc_u32_e32 v16, s2, v14
	v_ashrrev_i32_e32 v15, 31, v14
	v_add_co_u32 v12, vcc_lo, v18, v12
	s_delay_alu instid0(VALU_DEP_4) | instskip(NEXT) | instid1(VALU_DEP_4)
	v_add_co_ci_u32_e32 v13, vcc_lo, v19, v13, vcc_lo
	v_ashrrev_i32_e32 v17, 31, v16
	s_delay_alu instid0(VALU_DEP_4) | instskip(NEXT) | instid1(VALU_DEP_2)
	v_lshlrev_b64 v[14:15], 1, v[14:15]
	v_lshlrev_b64 v[16:17], 1, v[16:17]
	s_delay_alu instid0(VALU_DEP_2) | instskip(NEXT) | instid1(VALU_DEP_3)
	v_add_co_u32 v14, vcc_lo, v18, v14
	v_add_co_ci_u32_e32 v15, vcc_lo, v19, v15, vcc_lo
	s_delay_alu instid0(VALU_DEP_3) | instskip(NEXT) | instid1(VALU_DEP_4)
	v_add_co_u32 v16, vcc_lo, v18, v16
	v_add_co_ci_u32_e32 v17, vcc_lo, v19, v17, vcc_lo
	s_clause 0x2
	global_store_b128 v[12:13], v[0:3], off
	global_store_b128 v[14:15], v[4:7], off
	;; [unrolled: 1-line block ×3, first 2 shown]
	s_nop 0
	s_sendmsg sendmsg(MSG_DEALLOC_VGPRS)
	s_endpgm
	.section	.rodata,"a",@progbits
	.p2align	6, 0x0
	.amdhsa_kernel _Z39paged_attention_ll4mi_QKV_mfma16_kernelI14__hip_bfloat16S0_LN4vllm18Fp8KVCacheDataTypeE0ES0_Li32ELi64ELi256ELb1ELi6EL8MFMAType0EEvPKT_PKT0_S9_ifPKiSB_SB_iPKfiiiPfSE_PS4_PT2_iSD_SD_
		.amdhsa_group_segment_fixed_size 17472
		.amdhsa_private_segment_fixed_size 0
		.amdhsa_kernarg_size 400
		.amdhsa_user_sgpr_count 13
		.amdhsa_user_sgpr_dispatch_ptr 0
		.amdhsa_user_sgpr_queue_ptr 0
		.amdhsa_user_sgpr_kernarg_segment_ptr 1
		.amdhsa_user_sgpr_dispatch_id 0
		.amdhsa_user_sgpr_private_segment_size 0
		.amdhsa_wavefront_size32 1
		.amdhsa_uses_dynamic_stack 0
		.amdhsa_enable_private_segment 0
		.amdhsa_system_sgpr_workgroup_id_x 1
		.amdhsa_system_sgpr_workgroup_id_y 1
		.amdhsa_system_sgpr_workgroup_id_z 1
		.amdhsa_system_sgpr_workgroup_info 0
		.amdhsa_system_vgpr_workitem_id 0
		.amdhsa_next_free_vgpr 142
		.amdhsa_next_free_sgpr 38
		.amdhsa_reserve_vcc 1
		.amdhsa_float_round_mode_32 0
		.amdhsa_float_round_mode_16_64 0
		.amdhsa_float_denorm_mode_32 3
		.amdhsa_float_denorm_mode_16_64 3
		.amdhsa_dx10_clamp 1
		.amdhsa_ieee_mode 1
		.amdhsa_fp16_overflow 0
		.amdhsa_workgroup_processor_mode 1
		.amdhsa_memory_ordered 1
		.amdhsa_forward_progress 0
		.amdhsa_shared_vgpr_count 0
		.amdhsa_exception_fp_ieee_invalid_op 0
		.amdhsa_exception_fp_denorm_src 0
		.amdhsa_exception_fp_ieee_div_zero 0
		.amdhsa_exception_fp_ieee_overflow 0
		.amdhsa_exception_fp_ieee_underflow 0
		.amdhsa_exception_fp_ieee_inexact 0
		.amdhsa_exception_int_div_zero 0
	.end_amdhsa_kernel
	.section	.text._Z39paged_attention_ll4mi_QKV_mfma16_kernelI14__hip_bfloat16S0_LN4vllm18Fp8KVCacheDataTypeE0ES0_Li32ELi64ELi256ELb1ELi6EL8MFMAType0EEvPKT_PKT0_S9_ifPKiSB_SB_iPKfiiiPfSE_PS4_PT2_iSD_SD_,"axG",@progbits,_Z39paged_attention_ll4mi_QKV_mfma16_kernelI14__hip_bfloat16S0_LN4vllm18Fp8KVCacheDataTypeE0ES0_Li32ELi64ELi256ELb1ELi6EL8MFMAType0EEvPKT_PKT0_S9_ifPKiSB_SB_iPKfiiiPfSE_PS4_PT2_iSD_SD_,comdat
.Lfunc_end543:
	.size	_Z39paged_attention_ll4mi_QKV_mfma16_kernelI14__hip_bfloat16S0_LN4vllm18Fp8KVCacheDataTypeE0ES0_Li32ELi64ELi256ELb1ELi6EL8MFMAType0EEvPKT_PKT0_S9_ifPKiSB_SB_iPKfiiiPfSE_PS4_PT2_iSD_SD_, .Lfunc_end543-_Z39paged_attention_ll4mi_QKV_mfma16_kernelI14__hip_bfloat16S0_LN4vllm18Fp8KVCacheDataTypeE0ES0_Li32ELi64ELi256ELb1ELi6EL8MFMAType0EEvPKT_PKT0_S9_ifPKiSB_SB_iPKfiiiPfSE_PS4_PT2_iSD_SD_
                                        ; -- End function
	.section	.AMDGPU.csdata,"",@progbits
; Kernel info:
; codeLenInByte = 9384
; NumSgprs: 40
; NumVgprs: 142
; ScratchSize: 0
; MemoryBound: 0
; FloatMode: 240
; IeeeMode: 1
; LDSByteSize: 17472 bytes/workgroup (compile time only)
; SGPRBlocks: 4
; VGPRBlocks: 17
; NumSGPRsForWavesPerEU: 40
; NumVGPRsForWavesPerEU: 142
; Occupancy: 10
; WaveLimiterHint : 1
; COMPUTE_PGM_RSRC2:SCRATCH_EN: 0
; COMPUTE_PGM_RSRC2:USER_SGPR: 13
; COMPUTE_PGM_RSRC2:TRAP_HANDLER: 0
; COMPUTE_PGM_RSRC2:TGID_X_EN: 1
; COMPUTE_PGM_RSRC2:TGID_Y_EN: 1
; COMPUTE_PGM_RSRC2:TGID_Z_EN: 1
; COMPUTE_PGM_RSRC2:TIDIG_COMP_CNT: 0
	.section	.text._Z39paged_attention_ll4mi_QKV_mfma16_kernelI14__hip_bfloat16S0_LN4vllm18Fp8KVCacheDataTypeE0ES0_Li32ELi64ELi256ELb1ELi7EL8MFMAType0EEvPKT_PKT0_S9_ifPKiSB_SB_iPKfiiiPfSE_PS4_PT2_iSD_SD_,"axG",@progbits,_Z39paged_attention_ll4mi_QKV_mfma16_kernelI14__hip_bfloat16S0_LN4vllm18Fp8KVCacheDataTypeE0ES0_Li32ELi64ELi256ELb1ELi7EL8MFMAType0EEvPKT_PKT0_S9_ifPKiSB_SB_iPKfiiiPfSE_PS4_PT2_iSD_SD_,comdat
	.protected	_Z39paged_attention_ll4mi_QKV_mfma16_kernelI14__hip_bfloat16S0_LN4vllm18Fp8KVCacheDataTypeE0ES0_Li32ELi64ELi256ELb1ELi7EL8MFMAType0EEvPKT_PKT0_S9_ifPKiSB_SB_iPKfiiiPfSE_PS4_PT2_iSD_SD_ ; -- Begin function _Z39paged_attention_ll4mi_QKV_mfma16_kernelI14__hip_bfloat16S0_LN4vllm18Fp8KVCacheDataTypeE0ES0_Li32ELi64ELi256ELb1ELi7EL8MFMAType0EEvPKT_PKT0_S9_ifPKiSB_SB_iPKfiiiPfSE_PS4_PT2_iSD_SD_
	.globl	_Z39paged_attention_ll4mi_QKV_mfma16_kernelI14__hip_bfloat16S0_LN4vllm18Fp8KVCacheDataTypeE0ES0_Li32ELi64ELi256ELb1ELi7EL8MFMAType0EEvPKT_PKT0_S9_ifPKiSB_SB_iPKfiiiPfSE_PS4_PT2_iSD_SD_
	.p2align	8
	.type	_Z39paged_attention_ll4mi_QKV_mfma16_kernelI14__hip_bfloat16S0_LN4vllm18Fp8KVCacheDataTypeE0ES0_Li32ELi64ELi256ELb1ELi7EL8MFMAType0EEvPKT_PKT0_S9_ifPKiSB_SB_iPKfiiiPfSE_PS4_PT2_iSD_SD_,@function
_Z39paged_attention_ll4mi_QKV_mfma16_kernelI14__hip_bfloat16S0_LN4vllm18Fp8KVCacheDataTypeE0ES0_Li32ELi64ELi256ELb1ELi7EL8MFMAType0EEvPKT_PKT0_S9_ifPKiSB_SB_iPKfiiiPfSE_PS4_PT2_iSD_SD_: ; @_Z39paged_attention_ll4mi_QKV_mfma16_kernelI14__hip_bfloat16S0_LN4vllm18Fp8KVCacheDataTypeE0ES0_Li32ELi64ELi256ELb1ELi7EL8MFMAType0EEvPKT_PKT0_S9_ifPKiSB_SB_iPKfiiiPfSE_PS4_PT2_iSD_SD_
; %bb.0:
	s_load_b64 s[2:3], s[0:1], 0x30
	s_mov_b32 s34, s13
	s_waitcnt lgkmcnt(0)
	s_cmp_lg_u64 s[2:3], 0
	s_cselect_b32 s6, -1, 0
	s_ashr_i32 s35, s13, 31
	s_cmp_eq_u64 s[2:3], 0
	s_cbranch_scc1 .LBB544_3
; %bb.1:
	s_lshl_b64 s[4:5], s[34:35], 2
	s_delay_alu instid0(SALU_CYCLE_1) | instskip(SKIP_4) | instid1(SALU_CYCLE_1)
	s_add_u32 s4, s2, s4
	s_addc_u32 s5, s3, s5
	s_load_b64 s[4:5], s[4:5], 0x0
	s_waitcnt lgkmcnt(0)
	s_sub_i32 s4, s5, s4
	s_cmp_eq_u32 s4, 1
	s_cselect_b32 s4, -1, 0
	s_delay_alu instid0(SALU_CYCLE_1)
	s_and_not1_b32 vcc_lo, exec_lo, s4
	s_cbranch_vccz .LBB544_4
.LBB544_2:
	s_nop 0
	s_sendmsg sendmsg(MSG_DEALLOC_VGPRS)
	s_endpgm
.LBB544_3:
.LBB544_4:
	s_load_b64 s[8:9], s[0:1], 0x28
	s_lshl_b64 s[4:5], s[34:35], 2
	s_waitcnt lgkmcnt(0)
	s_add_u32 s8, s8, s4
	s_addc_u32 s9, s9, s5
	s_lshl_b32 s16, s14, 8
	s_load_b32 s18, s[8:9], 0x0
	s_waitcnt lgkmcnt(0)
	s_cmp_ge_i32 s16, s18
	s_cbranch_scc1 .LBB544_2
; %bb.5:
	s_and_not1_b32 vcc_lo, exec_lo, s6
	s_cbranch_vccnz .LBB544_7
; %bb.6:
	s_add_u32 s2, s2, s4
	s_addc_u32 s3, s3, s5
	s_load_b32 s17, s[2:3], 0x0
	s_branch .LBB544_8
.LBB544_7:
	s_mov_b32 s17, s34
.LBB544_8:
	s_clause 0x2
	s_load_b128 s[8:11], s[0:1], 0x8
	s_load_b64 s[12:13], s[0:1], 0x20
	s_load_b128 s[4:7], s[0:1], 0x48
	v_lshrrev_b32_e32 v74, 5, v0
	v_bfe_u32 v83, v0, 4, 1
	v_and_b32_e32 v73, 15, v0
	s_delay_alu instid0(VALU_DEP_2) | instskip(NEXT) | instid1(VALU_DEP_2)
	v_lshl_or_b32 v3, v74, 1, v83
	v_cmp_lt_u32_e64 s3, 7, v73
	v_lshlrev_b32_e32 v1, 3, v73
	v_cmp_gt_u32_e64 s2, 8, v73
	s_delay_alu instid0(VALU_DEP_4) | instskip(NEXT) | instid1(VALU_DEP_4)
	v_cmp_lt_u32_e32 vcc_lo, 6, v3
	s_or_b32 s3, s3, vcc_lo
	s_waitcnt lgkmcnt(0)
	s_and_saveexec_b32 s7, s3
	s_delay_alu instid0(SALU_CYCLE_1)
	s_xor_b32 s3, exec_lo, s7
; %bb.9:
	v_mov_b32_e32 v2, 0
                                        ; implicit-def: $vgpr3
; %bb.10:
	s_or_saveexec_b32 s3, s3
	v_and_b32_e32 v75, 31, v0
	v_and_b32_e32 v84, 1, v0
	s_mul_i32 s31, s15, 7
	s_xor_b32 exec_lo, exec_lo, s3
	s_cbranch_execz .LBB544_12
; %bb.11:
	s_load_b64 s[20:21], s[0:1], 0x0
	v_add_lshl_u32 v4, v3, s31, 6
	s_mul_hi_i32 s23, s17, s4
	s_mul_i32 s22, s17, s4
	v_lshlrev_b32_e32 v2, 1, v1
	s_lshl_b64 s[22:23], s[22:23], 1
	v_ashrrev_i32_e32 v5, 31, v4
	v_lshlrev_b32_e32 v3, 6, v3
	v_lshlrev_b32_e32 v8, 10, v84
	s_delay_alu instid0(VALU_DEP_3) | instskip(SKIP_3) | instid1(VALU_DEP_1)
	v_lshlrev_b64 v[4:5], 1, v[4:5]
	s_waitcnt lgkmcnt(0)
	s_add_u32 s4, s20, s22
	s_addc_u32 s7, s21, s23
	v_add_co_u32 v4, vcc_lo, s4, v4
	s_delay_alu instid0(VALU_DEP_2) | instskip(NEXT) | instid1(VALU_DEP_2)
	v_add_co_ci_u32_e32 v5, vcc_lo, s7, v5, vcc_lo
	v_add_co_u32 v4, vcc_lo, v4, v2
	s_delay_alu instid0(VALU_DEP_2) | instskip(SKIP_3) | instid1(VALU_DEP_1)
	v_add_co_ci_u32_e32 v5, vcc_lo, 0, v5, vcc_lo
	v_lshlrev_b32_e32 v2, 10, v73
	global_load_b128 v[4:7], v[4:5], off
	v_and_b32_e32 v2, 0x3800, v2
	v_or3_b32 v3, v2, v8, v3
	v_mov_b32_e32 v2, 0
	s_waitcnt vmcnt(0)
	ds_store_b128 v3, v[4:7]
.LBB544_12:
	s_or_b32 exec_lo, exec_lo, s3
	v_and_b32_e32 v3, 0xef, v0
	s_add_i32 s3, s18, 31
	s_clause 0x1
	s_load_b32 s4, s[0:1], 0x38
	s_load_b32 s19, s[0:1], 0x1c
	s_ashr_i32 s7, s3, 31
	v_add_nc_u32_e32 v3, s16, v3
	s_lshr_b32 s7, s7, 27
	s_waitcnt lgkmcnt(0)
	s_add_i32 s3, s3, s7
	s_barrier
	v_ashrrev_i32_e32 v4, 31, v3
	v_cmp_gt_i32_e32 vcc_lo, s18, v3
	s_ashr_i32 s3, s3, 5
	buffer_gl0_inv
	s_add_i32 s3, s3, -1
	v_lshrrev_b32_e32 v5, 27, v4
	v_or_b32_e32 v4, 16, v3
	s_mul_i32 s6, s15, s6
	v_lshlrev_b64 v[81:82], 1, v[1:2]
	s_delay_alu instid0(VALU_DEP_3) | instskip(NEXT) | instid1(VALU_DEP_3)
	v_add_nc_u32_e32 v6, v3, v5
	v_add_nc_u32_e32 v5, v4, v5
	s_mul_i32 s20, s34, s4
	s_delay_alu instid0(SALU_CYCLE_1) | instskip(NEXT) | instid1(VALU_DEP_2)
	s_ashr_i32 s21, s20, 31
	v_ashrrev_i32_e32 v6, 5, v6
	s_delay_alu instid0(VALU_DEP_2) | instskip(SKIP_1) | instid1(SALU_CYCLE_1)
	v_ashrrev_i32_e32 v5, 5, v5
	s_lshl_b64 s[20:21], s[20:21], 2
	s_add_u32 s4, s12, s20
	s_delay_alu instid0(VALU_DEP_2) | instskip(SKIP_3) | instid1(SALU_CYCLE_1)
	v_cndmask_b32_e32 v3, s3, v6, vcc_lo
	v_cmp_gt_i32_e32 vcc_lo, s18, v4
	s_addc_u32 s17, s13, s21
	s_ashr_i32 s7, s6, 31
	s_lshl_b64 s[6:7], s[6:7], 1
	v_cndmask_b32_e32 v5, s3, v5, vcc_lo
	v_ashrrev_i32_e32 v4, 31, v3
	s_add_u32 s15, s8, s6
	s_addc_u32 s28, s9, s7
	s_lshl_b32 s8, s14, 3
	v_ashrrev_i32_e32 v6, 31, v5
	v_lshlrev_b64 v[3:4], 2, v[3:4]
	s_ashr_i32 s9, s8, 31
	s_delay_alu instid0(SALU_CYCLE_1) | instskip(NEXT) | instid1(VALU_DEP_2)
	s_lshl_b64 s[8:9], s[8:9], 2
	v_lshlrev_b64 v[5:6], 2, v[5:6]
	s_add_u32 s8, s4, s8
	s_delay_alu instid0(VALU_DEP_2) | instskip(SKIP_1) | instid1(VALU_DEP_3)
	v_add_co_u32 v3, vcc_lo, s4, v3
	v_add_co_ci_u32_e32 v4, vcc_lo, s17, v4, vcc_lo
	v_add_co_u32 v5, vcc_lo, s4, v5
	s_delay_alu instid0(VALU_DEP_4)
	v_add_co_ci_u32_e32 v6, vcc_lo, s17, v6, vcc_lo
	s_addc_u32 s9, s17, s9
	s_clause 0x1
	global_load_b32 v7, v[3:4], off
	global_load_b32 v8, v[5:6], off
	s_or_b32 s12, s16, 32
	s_delay_alu instid0(SALU_CYCLE_1) | instskip(SKIP_2) | instid1(SALU_CYCLE_1)
	s_ashr_i32 s13, s12, 5
	s_cmp_lt_i32 s12, s18
	s_cselect_b32 s12, s13, s3
	s_ashr_i32 s13, s12, 31
	s_delay_alu instid0(SALU_CYCLE_1) | instskip(NEXT) | instid1(SALU_CYCLE_1)
	s_lshl_b64 s[12:13], s[12:13], 2
	s_add_u32 s12, s4, s12
	s_addc_u32 s13, s17, s13
	s_or_b32 s20, s16, 64
	s_delay_alu instid0(SALU_CYCLE_1) | instskip(SKIP_2) | instid1(SALU_CYCLE_1)
	s_ashr_i32 s21, s20, 5
	s_cmp_lt_i32 s20, s18
	s_cselect_b32 s20, s21, s3
	s_ashr_i32 s21, s20, 31
	s_delay_alu instid0(SALU_CYCLE_1) | instskip(NEXT) | instid1(SALU_CYCLE_1)
	s_lshl_b64 s[20:21], s[20:21], 2
	s_add_u32 s20, s4, s20
	s_addc_u32 s21, s17, s21
	;; [unrolled: 10-line block ×5, first 2 shown]
	s_clause 0x5
	s_load_b32 s29, s[8:9], 0x0
	s_load_b32 s30, s[12:13], 0x0
	;; [unrolled: 1-line block ×6, first 2 shown]
	s_or_b32 s8, s16, 0xc0
	s_mov_b32 s20, 0
	s_ashr_i32 s9, s8, 5
	s_cmp_lt_i32 s8, s18
	s_mov_b32 s27, s20
	s_cselect_b32 s8, s9, s3
	s_mov_b32 s21, s20
	s_ashr_i32 s9, s8, 31
	s_mov_b32 s22, s20
	s_lshl_b64 s[8:9], s[8:9], 2
	s_mov_b32 s23, s20
	s_add_u32 s8, s4, s8
	s_mov_b32 s24, s20
	s_mov_b32 s25, s20
	;; [unrolled: 1-line block ×3, first 2 shown]
	s_addc_u32 s9, s17, s9
	v_mov_b32_e32 v117, s27
	v_dual_mov_b32 v110, s20 :: v_dual_lshlrev_b32 v85, 6, v73
	v_dual_mov_b32 v116, s26 :: v_dual_mov_b32 v115, s25
	v_dual_mov_b32 v114, s24 :: v_dual_mov_b32 v113, s23
	;; [unrolled: 1-line block ×3, first 2 shown]
	s_waitcnt lgkmcnt(0)
	s_mul_hi_i32 s13, s29, s5
	s_mul_i32 s12, s29, s5
	v_lshl_or_b32 v58, v74, 10, v85
	s_mul_hi_i32 s21, s30, s5
	s_mul_i32 s20, s30, s5
	s_mul_hi_i32 s25, s33, s5
	s_mul_i32 s24, s33, s5
	;; [unrolled: 2-line block ×3, first 2 shown]
	s_mul_hi_i32 s37, s38, s5
	s_waitcnt vmcnt(1)
	v_mad_i64_i32 v[3:4], null, v7, s5, 0
	s_waitcnt vmcnt(0)
	v_mad_i64_i32 v[5:6], null, v8, s5, 0
	s_delay_alu instid0(VALU_DEP_2) | instskip(NEXT) | instid1(VALU_DEP_2)
	v_lshlrev_b64 v[3:4], 1, v[3:4]
	v_lshlrev_b64 v[1:2], 1, v[5:6]
	s_delay_alu instid0(VALU_DEP_2) | instskip(NEXT) | instid1(VALU_DEP_3)
	v_add_co_u32 v3, vcc_lo, s15, v3
	v_add_co_ci_u32_e32 v4, vcc_lo, s28, v4, vcc_lo
	s_delay_alu instid0(VALU_DEP_3) | instskip(NEXT) | instid1(VALU_DEP_4)
	v_add_co_u32 v1, vcc_lo, s15, v1
	v_add_co_ci_u32_e32 v2, vcc_lo, s28, v2, vcc_lo
	s_delay_alu instid0(VALU_DEP_4) | instskip(NEXT) | instid1(VALU_DEP_4)
	v_add_co_u32 v41, vcc_lo, v3, v81
	v_add_co_ci_u32_e32 v42, vcc_lo, v4, v82, vcc_lo
	s_delay_alu instid0(VALU_DEP_4) | instskip(NEXT) | instid1(VALU_DEP_4)
	v_add_co_u32 v43, vcc_lo, v1, v81
	v_add_co_ci_u32_e32 v44, vcc_lo, v2, v82, vcc_lo
	s_clause 0xf
	global_load_b128 v[1:4], v[41:42], off
	global_load_b128 v[5:8], v[41:42], off offset:512
	global_load_b128 v[9:12], v[43:44], off offset:256
	;; [unrolled: 1-line block ×15, first 2 shown]
	v_mul_lo_u16 v41, v73, 37
	s_or_b32 s15, s16, 0xe0
	s_delay_alu instid0(SALU_CYCLE_1) | instskip(SKIP_1) | instid1(VALU_DEP_1)
	s_ashr_i32 s22, s15, 5
	s_cmp_lt_i32 s15, s18
	v_lshrrev_b16 v41, 8, v41
	s_cselect_b32 s22, s22, s3
	s_delay_alu instid0(SALU_CYCLE_1) | instskip(NEXT) | instid1(VALU_DEP_1)
	s_ashr_i32 s23, s22, 31
	v_mul_lo_u16 v41, v41, 7
	s_lshl_b64 s[22:23], s[22:23], 2
	s_delay_alu instid0(SALU_CYCLE_1) | instskip(SKIP_1) | instid1(VALU_DEP_1)
	s_add_u32 s22, s4, s22
	s_addc_u32 s23, s17, s23
	v_sub_nc_u16 v41, v73, v41
	s_add_i32 s15, s16, 0x100
	s_delay_alu instid0(SALU_CYCLE_1) | instskip(SKIP_1) | instid1(VALU_DEP_1)
	s_ashr_i32 s28, s15, 5
	s_cmp_lt_i32 s15, s18
	v_and_b32_e32 v41, 0xff, v41
	s_cselect_b32 s28, s28, s3
	s_delay_alu instid0(SALU_CYCLE_1) | instskip(NEXT) | instid1(VALU_DEP_1)
	s_ashr_i32 s29, s28, 31
	v_lshlrev_b32_e32 v57, 6, v41
	ds_load_b128 v[41:44], v57
	ds_load_b128 v[45:48], v57 offset:1024
	ds_load_b128 v[49:52], v57 offset:2048
	;; [unrolled: 1-line block ×7, first 2 shown]
	s_lshl_b64 s[28:29], s[28:29], 2
	s_load_b32 s15, s[8:9], 0x0
	s_add_u32 s28, s4, s28
	s_addc_u32 s29, s17, s29
	s_add_u32 s3, s10, s6
	s_clause 0x1
	s_load_b32 s4, s[22:23], 0x0
	s_load_b32 s17, s[28:29], 0x0
	s_addc_u32 s28, s11, s7
	v_add_co_u32 v76, s3, s3, v58
	s_delay_alu instid0(VALU_DEP_1) | instskip(SKIP_2) | instid1(VALU_DEP_2)
	v_add_co_ci_u32_e64 v77, null, s28, 0, s3
	s_lshl_b64 s[6:7], s[12:13], 1
	s_lshl_b64 s[10:11], s[20:21], 1
	v_add_co_u32 v57, vcc_lo, v76, s6
	s_delay_alu instid0(VALU_DEP_2)
	v_add_co_ci_u32_e32 v58, vcc_lo, s7, v77, vcc_lo
	s_lshl_b64 s[12:13], s[24:25], 1
	s_lshl_b64 s[20:21], s[26:27], 1
	s_mul_hi_i32 s9, s36, s5
	s_mul_i32 s8, s36, s5
	s_mul_i32 s36, s38, s5
	s_lshl_b64 s[8:9], s[8:9], 1
	s_lshl_b64 s[22:23], s[36:37], 1
	s_waitcnt lgkmcnt(0)
	s_mul_hi_i32 s25, s15, s5
	s_mul_i32 s24, s15, s5
	s_clause 0x1
	global_load_b128 v[65:68], v[57:58], off
	global_load_b128 v[69:72], v[57:58], off offset:16
	s_lshl_b64 s[6:7], s[24:25], 1
	s_waitcnt vmcnt(16)
	v_wmma_f32_16x16x16_bf16 v[134:141], v[1:8], v[41:48], v[110:117]
	v_add_co_u32 v1, vcc_lo, v76, s10
	v_add_co_ci_u32_e32 v2, vcc_lo, s11, v77, vcc_lo
	s_waitcnt vmcnt(12)
	s_delay_alu instid0(VALU_DEP_3) | instskip(SKIP_3) | instid1(VALU_DEP_3)
	v_wmma_f32_16x16x16_bf16 v[134:141], v[17:24], v[49:56], v[134:141]
	v_add_co_u32 v3, vcc_lo, v76, s12
	v_add_co_ci_u32_e32 v4, vcc_lo, s13, v77, vcc_lo
	s_waitcnt vmcnt(8)
	v_wmma_f32_16x16x16_bf16 v[134:141], v[33:40], v[118:125], v[134:141]
	v_add_co_u32 v5, vcc_lo, v76, s20
	v_add_co_ci_u32_e32 v6, vcc_lo, s21, v77, vcc_lo
	s_waitcnt vmcnt(4)
	s_delay_alu instid0(VALU_DEP_3) | instskip(SKIP_2) | instid1(VALU_DEP_3)
	v_wmma_f32_16x16x16_bf16 v[134:141], v[94:101], v[126:133], v[134:141]
	v_add_co_u32 v7, vcc_lo, v76, s8
	v_add_co_ci_u32_e32 v8, vcc_lo, s9, v77, vcc_lo
	v_mul_f32_e32 v100, s19, v141
	v_wmma_f32_16x16x16_bf16 v[110:117], v[9:16], v[41:48], v[110:117]
	s_clause 0x1
	global_load_b128 v[57:60], v[1:2], off
	global_load_b128 v[61:64], v[1:2], off offset:16
	s_mul_hi_i32 s9, s4, s5
	s_mul_i32 s8, s4, s5
	v_wmma_f32_16x16x16_bf16 v[110:117], v[25:32], v[49:56], v[110:117]
	s_clause 0x5
	global_load_b128 v[49:52], v[3:4], off
	global_load_b128 v[53:56], v[3:4], off offset:16
	global_load_b128 v[41:44], v[5:6], off
	global_load_b128 v[45:48], v[5:6], off offset:16
	;; [unrolled: 2-line block ×3, first 2 shown]
	v_add_co_u32 v5, vcc_lo, v76, s22
	v_add_co_ci_u32_e32 v6, vcc_lo, s23, v77, vcc_lo
	v_add_co_u32 v17, vcc_lo, v76, s6
	v_add_co_ci_u32_e32 v18, vcc_lo, s7, v77, vcc_lo
	s_lshl_b64 s[6:7], s[8:9], 1
	s_mul_hi_i32 s9, s17, s5
	s_mul_i32 s8, s17, s5
	v_add_co_u32 v19, vcc_lo, v76, s6
	s_lshl_b64 s[4:5], s[8:9], 1
	v_add_co_ci_u32_e32 v20, vcc_lo, s7, v77, vcc_lo
	v_add_co_u32 v21, vcc_lo, v76, s4
	v_add_co_ci_u32_e32 v22, vcc_lo, s5, v77, vcc_lo
	s_clause 0x7
	global_load_b128 v[1:4], v[5:6], off
	global_load_b128 v[5:8], v[5:6], off offset:16
	global_load_b128 v[33:36], v[17:18], off
	global_load_b128 v[37:40], v[17:18], off offset:16
	;; [unrolled: 2-line block ×4, first 2 shown]
	v_and_b32_e32 v76, 0xe0, v0
	v_mbcnt_lo_u32_b32 v77, -1, 0
	v_wmma_f32_16x16x16_bf16 v[110:117], v[86:93], v[118:125], v[110:117]
	s_waitcnt vmcnt(0)
	s_barrier
	v_add_nc_u32_e32 v76, s16, v76
	v_xor_b32_e32 v78, 16, v77
	v_wmma_f32_16x16x16_bf16 v[110:117], v[102:109], v[126:133], v[110:117]
	v_mul_f32_e32 v97, s19, v134
	v_mul_f32_e32 v99, s19, v135
	v_or_b32_e32 v76, v76, v83
	v_cmp_gt_i32_e32 vcc_lo, 32, v78
	buffer_gl0_inv
	v_or_b32_e32 v79, 4, v76
	v_cndmask_b32_e32 v77, v77, v78, vcc_lo
	v_or_b32_e32 v78, 2, v76
	v_or_b32_e32 v80, 6, v76
	;; [unrolled: 1-line block ×3, first 2 shown]
	v_cmp_gt_i32_e32 vcc_lo, s18, v76
	v_or_b32_e32 v87, 10, v76
	v_cmp_gt_i32_e64 s3, s18, v78
	v_or_b32_e32 v88, 12, v76
	v_or_b32_e32 v89, 14, v76
	;; [unrolled: 1-line block ×10, first 2 shown]
	v_cndmask_b32_e64 v78, 0xff7fffff, v99, s3
	v_mul_f32_e32 v99, s19, v137
	v_cmp_gt_i32_e64 s4, s18, v80
	v_mul_f32_e32 v80, s19, v136
	v_cmp_gt_i32_e64 s5, s18, v79
	v_cmp_gt_i32_e64 s6, s18, v86
	v_mul_f32_e32 v86, s19, v116
	v_cndmask_b32_e32 v76, 0xff7fffff, v97, vcc_lo
	v_mul_f32_e32 v79, s19, v139
	v_cndmask_b32_e64 v80, 0xff7fffff, v80, s5
	v_cndmask_b32_e64 v99, 0xff7fffff, v99, s4
	v_cmp_gt_i32_e64 s7, s18, v87
	v_max3_f32 v76, v76, 0xff7fffff, v78
	v_dual_mul_f32 v78, s19, v138 :: v_dual_mul_f32 v97, s19, v140
	v_cmp_gt_i32_e64 s8, s18, v89
	s_delay_alu instid0(VALU_DEP_4) | instskip(NEXT) | instid1(VALU_DEP_4)
	v_cndmask_b32_e64 v79, 0xff7fffff, v79, s7
	v_max3_f32 v76, v76, v80, v99
	s_delay_alu instid0(VALU_DEP_4) | instskip(SKIP_3) | instid1(VALU_DEP_4)
	v_cndmask_b32_e64 v78, 0xff7fffff, v78, s6
	v_cmp_gt_i32_e64 s9, s18, v88
	v_dual_mul_f32 v88, s19, v111 :: v_dual_mul_f32 v89, s19, v110
	v_cndmask_b32_e64 v100, 0xff7fffff, v100, s8
	v_max3_f32 v76, v76, v78, v79
	s_delay_alu instid0(VALU_DEP_4) | instskip(SKIP_3) | instid1(VALU_DEP_4)
	v_cndmask_b32_e64 v97, 0xff7fffff, v97, s9
	v_cmp_gt_i32_e64 s10, s18, v90
	v_cmp_gt_i32_e64 s11, s18, v91
	v_dual_mul_f32 v78, s19, v113 :: v_dual_mul_f32 v79, s19, v112
	v_max3_f32 v76, v76, v97, v100
	s_delay_alu instid0(VALU_DEP_4) | instskip(NEXT) | instid1(VALU_DEP_4)
	v_cndmask_b32_e64 v89, 0xff7fffff, v89, s10
	v_cndmask_b32_e64 v88, 0xff7fffff, v88, s11
	v_cmp_gt_i32_e64 s12, s18, v92
	v_cmp_gt_i32_e64 s13, s18, v93
	v_mul_f32_e32 v87, s19, v115
	v_mul_f32_e32 v99, s19, v114
	v_max3_f32 v76, v76, v89, v88
	v_cndmask_b32_e64 v79, 0xff7fffff, v79, s12
	v_cndmask_b32_e64 v78, 0xff7fffff, v78, s13
	v_cmp_gt_i32_e64 s15, s18, v94
	v_cmp_gt_i32_e64 s16, s18, v95
	v_mul_f32_e32 v80, s19, v117
	v_cmp_gt_i32_e64 s17, s18, v96
	v_max3_f32 v76, v76, v79, v78
	v_cndmask_b32_e64 v88, 0xff7fffff, v99, s15
	v_cndmask_b32_e64 v87, 0xff7fffff, v87, s16
	v_cmp_gt_i32_e64 s18, s18, v98
	v_cndmask_b32_e64 v78, 0xff7fffff, v86, s17
	v_lshlrev_b32_e32 v99, 2, v77
	s_delay_alu instid0(VALU_DEP_4) | instskip(NEXT) | instid1(VALU_DEP_4)
	v_max3_f32 v76, v76, v88, v87
	v_cndmask_b32_e64 v79, 0xff7fffff, v80, s18
	s_delay_alu instid0(VALU_DEP_1) | instskip(SKIP_3) | instid1(VALU_DEP_1)
	v_max3_f32 v76, v76, v78, v79
	ds_bpermute_b32 v77, v99, v76
	s_waitcnt lgkmcnt(0)
	v_max_f32_e32 v77, v77, v77
	v_max_f32_e32 v76, v76, v77
	s_delay_alu instid0(VALU_DEP_1)
	v_fma_f32 v86, s19, v138, -v76
	v_fma_f32 v77, s19, v134, -v76
	v_fma_f32 v78, s19, v135, -v76
	v_fma_f32 v79, s19, v136, -v76
	v_fma_f32 v80, s19, v137, -v76
	v_mul_f32_e32 v86, 0x3fb8aa3b, v86
	v_fma_f32 v88, s19, v114, -v76
	s_delay_alu instid0(VALU_DEP_4) | instskip(NEXT) | instid1(VALU_DEP_4)
	v_dual_mul_f32 v78, 0x3fb8aa3b, v78 :: v_dual_mul_f32 v79, 0x3fb8aa3b, v79
	v_mul_f32_e32 v80, 0x3fb8aa3b, v80
	s_delay_alu instid0(VALU_DEP_4) | instskip(SKIP_1) | instid1(VALU_DEP_3)
	v_exp_f32_e32 v86, v86
	v_fma_f32 v87, s19, v140, -v76
	v_exp_f32_e32 v78, v78
	v_exp_f32_e32 v79, v79
	;; [unrolled: 1-line block ×3, first 2 shown]
	s_delay_alu instid0(VALU_DEP_1)
	v_dual_mul_f32 v88, 0x3fb8aa3b, v88 :: v_dual_mul_f32 v87, 0x3fb8aa3b, v87
	v_fma_f32 v100, s19, v117, -v76
	v_fma_f32 v90, s19, v116, -v76
	v_cndmask_b32_e64 v96, 0, v86, s6
	v_fma_f32 v86, s19, v111, -v76
	v_mul_f32_e32 v77, 0x3fb8aa3b, v77
	s_delay_alu instid0(TRANS32_DEP_3) | instskip(NEXT) | instid1(TRANS32_DEP_2)
	v_cndmask_b32_e64 v91, 0, v78, s3
	v_cndmask_b32_e64 v93, 0, v79, s5
	s_delay_alu instid0(TRANS32_DEP_1)
	v_cndmask_b32_e64 v95, 0, v80, s4
	v_mul_f32_e32 v86, 0x3fb8aa3b, v86
	v_exp_f32_e32 v77, v77
	v_fma_f32 v79, s19, v141, -v76
	v_fma_f32 v80, s19, v110, -v76
	v_exp_f32_e32 v87, v87
	v_exp_f32_e32 v86, v86
	s_delay_alu instid0(VALU_DEP_2) | instskip(NEXT) | instid1(VALU_DEP_2)
	v_dual_mul_f32 v100, 0x3fb8aa3b, v100 :: v_dual_mul_f32 v79, 0x3fb8aa3b, v79
	v_mul_f32_e32 v80, 0x3fb8aa3b, v80
	v_exp_f32_e32 v88, v88
	v_cmp_gt_u32_e64 s3, 16, v75
	v_cndmask_b32_e32 v92, 0, v77, vcc_lo
	v_fma_f32 v77, s19, v139, -v76
	v_exp_f32_e32 v79, v79
	v_exp_f32_e32 v80, v80
	v_cndmask_b32_e64 v94, 0, v87, s9
	s_delay_alu instid0(VALU_DEP_2) | instskip(SKIP_2) | instid1(VALU_DEP_2)
	v_dual_add_f32 v78, 0, v92 :: v_dual_mul_f32 v77, 0x3fb8aa3b, v77
	v_fma_f32 v87, s19, v113, -v76
	v_exp_f32_e32 v100, v100
	v_add_f32_e32 v78, v78, v91
	s_delay_alu instid0(VALU_DEP_3) | instskip(SKIP_1) | instid1(VALU_DEP_2)
	v_exp_f32_e32 v77, v77
	v_cndmask_b32_e64 v98, 0, v79, s8
	v_dual_mul_f32 v87, 0x3fb8aa3b, v87 :: v_dual_add_f32 v78, v78, v93
	s_delay_alu instid0(VALU_DEP_1) | instskip(NEXT) | instid1(VALU_DEP_1)
	v_exp_f32_e32 v87, v87
	v_add_f32_e32 v78, v78, v95
	s_waitcnt_depctr 0xfff
	v_cndmask_b32_e64 v97, 0, v77, s7
	v_add_f32_e32 v77, v78, v96
	v_fma_f32 v78, s19, v112, -v76
	s_delay_alu instid0(VALU_DEP_1) | instskip(NEXT) | instid1(VALU_DEP_1)
	v_mul_f32_e32 v78, 0x3fb8aa3b, v78
	v_exp_f32_e32 v89, v78
	v_cndmask_b32_e64 v78, 0, v86, s11
	v_add_f32_e32 v77, v77, v97
	s_delay_alu instid0(VALU_DEP_1) | instskip(SKIP_2) | instid1(VALU_DEP_1)
	v_add_f32_e32 v79, v77, v94
	v_cndmask_b32_e64 v77, 0, v80, s10
	v_fma_f32 v80, s19, v115, -v76
	v_dual_add_f32 v79, v79, v98 :: v_dual_mul_f32 v80, 0x3fb8aa3b, v80
	s_delay_alu instid0(VALU_DEP_1) | instskip(NEXT) | instid1(TRANS32_DEP_1)
	v_add_f32_e32 v86, v79, v77
	v_cndmask_b32_e64 v79, 0, v89, s12
	v_mul_f32_e32 v89, 0x3fb8aa3b, v90
	s_delay_alu instid0(VALU_DEP_4) | instskip(SKIP_2) | instid1(VALU_DEP_3)
	v_exp_f32_e32 v90, v80
	v_cndmask_b32_e64 v80, 0, v87, s13
	v_add_f32_e32 v86, v86, v78
	v_exp_f32_e32 v89, v89
	s_delay_alu instid0(VALU_DEP_1) | instskip(SKIP_1) | instid1(VALU_DEP_2)
	v_add_f32_e32 v87, v86, v79
	v_cndmask_b32_e64 v86, 0, v88, s15
	v_add_f32_e32 v88, v87, v80
	s_delay_alu instid0(TRANS32_DEP_2) | instskip(NEXT) | instid1(VALU_DEP_2)
	v_cndmask_b32_e64 v87, 0, v90, s16
	v_add_f32_e32 v90, v88, v86
	s_waitcnt_depctr 0xfff
	v_cndmask_b32_e64 v88, 0, v89, s17
	v_add_f32_e32 v89, v90, v87
	s_delay_alu instid0(VALU_DEP_1) | instskip(SKIP_1) | instid1(VALU_DEP_1)
	v_add_f32_e32 v90, v89, v88
	v_cndmask_b32_e64 v89, 0, v100, s18
	v_add_f32_e32 v90, v90, v89
	ds_bpermute_b32 v99, v99, v90
	s_and_saveexec_b32 s4, s3
	s_cbranch_execz .LBB544_14
; %bb.13:
	v_mul_u32_u24_e32 v75, 0x44, v74
	s_waitcnt lgkmcnt(0)
	v_add_f32_e32 v90, v90, v99
	s_delay_alu instid0(VALU_DEP_2) | instskip(NEXT) | instid1(VALU_DEP_1)
	v_lshl_add_u32 v75, v73, 2, v75
	v_add_nc_u32_e32 v75, 0x4000, v75
	ds_store_2addr_b32 v75, v76, v90 offset1:136
.LBB544_14:
	s_or_b32 exec_lo, exec_lo, s4
	v_lshlrev_b32_e32 v75, 2, v73
	s_waitcnt lgkmcnt(0)
	s_barrier
	buffer_gl0_inv
	v_cmp_eq_u32_e64 s4, 1, v74
	v_add_nc_u32_e32 v90, 0x4000, v75
	ds_load_2addr_b32 v[99:100], v90 offset1:17
	ds_load_2addr_b32 v[101:102], v90 offset0:34 offset1:51
	ds_load_2addr_b32 v[103:104], v90 offset0:68 offset1:85
	;; [unrolled: 1-line block ×4, first 2 shown]
	s_waitcnt lgkmcnt(4)
	v_max3_f32 v75, v99, 0xff7fffff, v100
	s_waitcnt lgkmcnt(3)
	s_delay_alu instid0(VALU_DEP_1) | instskip(SKIP_1) | instid1(VALU_DEP_1)
	v_max3_f32 v75, v75, v101, v102
	s_waitcnt lgkmcnt(2)
	v_max3_f32 v75, v75, v103, v104
	s_waitcnt lgkmcnt(1)
	s_delay_alu instid0(VALU_DEP_1) | instskip(NEXT) | instid1(VALU_DEP_1)
	v_max3_f32 v75, v75, v105, v106
	v_sub_f32_e32 v109, v100, v75
	v_sub_f32_e32 v76, v99, v75
	ds_load_2addr_b32 v[99:100], v90 offset0:170 offset1:187
	v_sub_f32_e32 v101, v101, v75
	v_dual_mul_f32 v109, 0x3fb8aa3b, v109 :: v_dual_mul_f32 v76, 0x3fb8aa3b, v76
	s_delay_alu instid0(VALU_DEP_2) | instskip(NEXT) | instid1(VALU_DEP_2)
	v_mul_f32_e32 v111, 0x3fb8aa3b, v101
	v_exp_f32_e32 v109, v109
	s_delay_alu instid0(VALU_DEP_2)
	v_exp_f32_e32 v110, v76
	v_sub_f32_e32 v76, v102, v75
	ds_load_2addr_b32 v[101:102], v90 offset0:204 offset1:221
	v_exp_f32_e32 v111, v111
	v_mul_f32_e32 v112, 0x3fb8aa3b, v76
	s_waitcnt lgkmcnt(2)
	v_fma_f32 v76, v110, v107, 0
	v_sub_f32_e32 v103, v103, v75
	s_delay_alu instid0(VALU_DEP_3) | instskip(NEXT) | instid1(VALU_DEP_2)
	v_exp_f32_e32 v112, v112
	v_dual_sub_f32 v107, v104, v75 :: v_dual_fmac_f32 v76, v109, v108
	s_waitcnt lgkmcnt(1)
	s_waitcnt_depctr 0xfff
	v_fmac_f32_e32 v76, v111, v99
	v_mul_f32_e32 v113, 0x3fb8aa3b, v103
	ds_load_2addr_b32 v[103:104], v90 offset0:238 offset1:255
	v_sub_f32_e32 v90, v105, v75
	v_dual_sub_f32 v99, v106, v75 :: v_dual_fmac_f32 v76, v112, v100
	v_mul_f32_e32 v105, 0x3fb8aa3b, v107
	v_exp_f32_e32 v107, v113
	s_delay_alu instid0(VALU_DEP_2)
	v_dual_mul_f32 v90, 0x3fb8aa3b, v90 :: v_dual_mul_f32 v99, 0x3fb8aa3b, v99
	s_waitcnt lgkmcnt(0)
	s_barrier
	buffer_gl0_inv
	v_exp_f32_e32 v90, v90
	v_exp_f32_e32 v99, v99
	v_fmac_f32_e32 v76, v107, v101
	v_exp_f32_e32 v105, v105
	s_waitcnt_depctr 0xfff
	v_fmac_f32_e32 v76, v105, v102
	s_delay_alu instid0(VALU_DEP_1) | instskip(NEXT) | instid1(VALU_DEP_1)
	v_fmac_f32_e32 v76, v90, v103
	v_fmac_f32_e32 v76, v99, v104
	s_delay_alu instid0(VALU_DEP_1) | instskip(NEXT) | instid1(VALU_DEP_1)
	v_add_f32_e32 v100, 0x358637bd, v76
	v_div_scale_f32 v101, null, v100, v100, 1.0
	v_div_scale_f32 v104, vcc_lo, 1.0, v100, 1.0
	s_delay_alu instid0(VALU_DEP_2) | instskip(SKIP_2) | instid1(VALU_DEP_1)
	v_rcp_f32_e32 v102, v101
	s_waitcnt_depctr 0xfff
	v_fma_f32 v103, -v101, v102, 1.0
	v_fmac_f32_e32 v102, v103, v102
	v_cndmask_b32_e64 v103, v110, v109, s4
	v_cmp_eq_u32_e64 s4, 2, v74
	s_delay_alu instid0(VALU_DEP_3) | instskip(NEXT) | instid1(VALU_DEP_2)
	v_mul_f32_e32 v106, v104, v102
	v_cndmask_b32_e64 v103, v103, v111, s4
	v_cmp_eq_u32_e64 s4, 3, v74
	s_delay_alu instid0(VALU_DEP_3) | instskip(NEXT) | instid1(VALU_DEP_2)
	v_fma_f32 v108, -v101, v106, v104
	v_cndmask_b32_e64 v103, v103, v112, s4
	v_cmp_eq_u32_e64 s4, 4, v74
	s_delay_alu instid0(VALU_DEP_3) | instskip(NEXT) | instid1(VALU_DEP_2)
	v_fmac_f32_e32 v106, v108, v102
	v_cndmask_b32_e64 v103, v103, v107, s4
	s_delay_alu instid0(VALU_DEP_2) | instskip(SKIP_1) | instid1(VALU_DEP_2)
	v_fma_f32 v101, -v101, v106, v104
	v_cmp_eq_u32_e64 s4, 5, v74
	v_div_fmas_f32 v101, v101, v102, v106
	s_delay_alu instid0(VALU_DEP_2) | instskip(SKIP_2) | instid1(VALU_DEP_3)
	v_cndmask_b32_e64 v103, v103, v105, s4
	v_cmp_eq_u32_e32 vcc_lo, 6, v74
	s_mov_b32 s4, exec_lo
	v_div_fixup_f32 v100, v101, v100, 1.0
	s_delay_alu instid0(VALU_DEP_3) | instskip(SKIP_1) | instid1(VALU_DEP_2)
	v_cndmask_b32_e32 v90, v103, v90, vcc_lo
	v_cmp_eq_u32_e32 vcc_lo, 7, v74
	v_cndmask_b32_e32 v90, v90, v99, vcc_lo
	s_delay_alu instid0(VALU_DEP_1) | instskip(NEXT) | instid1(VALU_DEP_1)
	v_mul_f32_e32 v90, v90, v100
	v_mul_f32_e32 v100, v90, v92
	;; [unrolled: 1-line block ×6, first 2 shown]
	v_and_b32_e32 v101, 0x7f800000, v100
	v_mul_f32_e32 v99, v90, v95
	v_mul_f32_e32 v95, v90, v91
	;; [unrolled: 1-line block ×3, first 2 shown]
                                        ; implicit-def: $vgpr91
	s_delay_alu instid0(VALU_DEP_4)
	v_cmpx_ne_u32_e32 0x7f800000, v101
	s_xor_b32 s4, exec_lo, s4
; %bb.15:
	v_bfe_u32 v91, v100, 16, 1
	s_delay_alu instid0(VALU_DEP_1)
	v_add3_u32 v91, v100, v91, 0x7fff
                                        ; implicit-def: $vgpr100
; %bb.16:
	s_and_not1_saveexec_b32 s4, s4
; %bb.17:
	v_and_b32_e32 v91, 0xffff, v100
	v_or_b32_e32 v93, 0x10000, v100
	s_delay_alu instid0(VALU_DEP_2) | instskip(NEXT) | instid1(VALU_DEP_2)
	v_cmp_eq_u32_e32 vcc_lo, 0, v91
	v_cndmask_b32_e32 v91, v93, v100, vcc_lo
; %bb.18:
	s_or_b32 exec_lo, exec_lo, s4
	v_and_b32_e32 v93, 0x7f800000, v95
	s_delay_alu instid0(VALU_DEP_1) | instskip(SKIP_1) | instid1(SALU_CYCLE_1)
	v_cmp_ne_u32_e32 vcc_lo, 0x7f800000, v93
                                        ; implicit-def: $vgpr93
	s_and_saveexec_b32 s4, vcc_lo
	s_xor_b32 s4, exec_lo, s4
; %bb.19:
	v_bfe_u32 v93, v95, 16, 1
	s_delay_alu instid0(VALU_DEP_1)
	v_add3_u32 v93, v95, v93, 0x7fff
                                        ; implicit-def: $vgpr95
; %bb.20:
	s_and_not1_saveexec_b32 s4, s4
; %bb.21:
	v_and_b32_e32 v93, 0xffff, v95
	v_or_b32_e32 v100, 0x10000, v95
	s_delay_alu instid0(VALU_DEP_2) | instskip(NEXT) | instid1(VALU_DEP_2)
	v_cmp_eq_u32_e32 vcc_lo, 0, v93
	v_cndmask_b32_e32 v93, v100, v95, vcc_lo
; %bb.22:
	s_or_b32 exec_lo, exec_lo, s4
	v_and_b32_e32 v95, 0x7f800000, v96
	s_delay_alu instid0(VALU_DEP_1) | instskip(SKIP_1) | instid1(SALU_CYCLE_1)
	v_cmp_ne_u32_e32 vcc_lo, 0x7f800000, v95
                                        ; implicit-def: $vgpr95
	s_and_saveexec_b32 s4, vcc_lo
	s_xor_b32 s4, exec_lo, s4
; %bb.23:
	v_bfe_u32 v95, v96, 16, 1
	s_delay_alu instid0(VALU_DEP_1)
	v_add3_u32 v95, v96, v95, 0x7fff
                                        ; implicit-def: $vgpr96
; %bb.24:
	s_and_not1_saveexec_b32 s4, s4
; %bb.25:
	v_and_b32_e32 v95, 0xffff, v96
	v_or_b32_e32 v100, 0x10000, v96
	s_delay_alu instid0(VALU_DEP_2) | instskip(NEXT) | instid1(VALU_DEP_2)
	v_cmp_eq_u32_e32 vcc_lo, 0, v95
	v_cndmask_b32_e32 v95, v100, v96, vcc_lo
; %bb.26:
	s_or_b32 exec_lo, exec_lo, s4
	v_and_b32_e32 v96, 0x7f800000, v99
	s_delay_alu instid0(VALU_DEP_1) | instskip(SKIP_1) | instid1(SALU_CYCLE_1)
	v_cmp_ne_u32_e32 vcc_lo, 0x7f800000, v96
                                        ; implicit-def: $vgpr96
	s_and_saveexec_b32 s4, vcc_lo
	s_xor_b32 s4, exec_lo, s4
; %bb.27:
	v_bfe_u32 v96, v99, 16, 1
	s_delay_alu instid0(VALU_DEP_1)
	v_add3_u32 v96, v99, v96, 0x7fff
                                        ; implicit-def: $vgpr99
; %bb.28:
	s_and_not1_saveexec_b32 s4, s4
; %bb.29:
	v_and_b32_e32 v96, 0xffff, v99
	v_or_b32_e32 v100, 0x10000, v99
	s_delay_alu instid0(VALU_DEP_2) | instskip(NEXT) | instid1(VALU_DEP_2)
	v_cmp_eq_u32_e32 vcc_lo, 0, v96
	v_cndmask_b32_e32 v96, v100, v99, vcc_lo
; %bb.30:
	s_or_b32 exec_lo, exec_lo, s4
	v_and_b32_e32 v99, 0x7f800000, v98
	s_delay_alu instid0(VALU_DEP_1) | instskip(SKIP_1) | instid1(SALU_CYCLE_1)
	v_cmp_ne_u32_e32 vcc_lo, 0x7f800000, v99
                                        ; implicit-def: $vgpr99
	s_and_saveexec_b32 s4, vcc_lo
	s_xor_b32 s4, exec_lo, s4
; %bb.31:
	v_bfe_u32 v99, v98, 16, 1
	s_delay_alu instid0(VALU_DEP_1)
	v_add3_u32 v99, v98, v99, 0x7fff
                                        ; implicit-def: $vgpr98
; %bb.32:
	s_and_not1_saveexec_b32 s4, s4
; %bb.33:
	v_and_b32_e32 v99, 0xffff, v98
	v_or_b32_e32 v100, 0x10000, v98
	s_delay_alu instid0(VALU_DEP_2) | instskip(NEXT) | instid1(VALU_DEP_2)
	v_cmp_eq_u32_e32 vcc_lo, 0, v99
	v_cndmask_b32_e32 v99, v100, v98, vcc_lo
; %bb.34:
	s_or_b32 exec_lo, exec_lo, s4
	v_and_b32_e32 v98, 0x7f800000, v97
	s_delay_alu instid0(VALU_DEP_1) | instskip(SKIP_1) | instid1(SALU_CYCLE_1)
	v_cmp_ne_u32_e32 vcc_lo, 0x7f800000, v98
                                        ; implicit-def: $vgpr98
	s_and_saveexec_b32 s4, vcc_lo
	s_xor_b32 s4, exec_lo, s4
; %bb.35:
	v_bfe_u32 v98, v97, 16, 1
	s_delay_alu instid0(VALU_DEP_1)
	v_add3_u32 v98, v97, v98, 0x7fff
                                        ; implicit-def: $vgpr97
; %bb.36:
	s_and_not1_saveexec_b32 s4, s4
; %bb.37:
	v_and_b32_e32 v98, 0xffff, v97
	v_or_b32_e32 v100, 0x10000, v97
	s_delay_alu instid0(VALU_DEP_2) | instskip(NEXT) | instid1(VALU_DEP_2)
	v_cmp_eq_u32_e32 vcc_lo, 0, v98
	v_cndmask_b32_e32 v98, v100, v97, vcc_lo
; %bb.38:
	s_or_b32 exec_lo, exec_lo, s4
	v_and_b32_e32 v97, 0x7f800000, v94
	s_delay_alu instid0(VALU_DEP_1) | instskip(SKIP_1) | instid1(SALU_CYCLE_1)
	v_cmp_ne_u32_e32 vcc_lo, 0x7f800000, v97
                                        ; implicit-def: $vgpr97
	s_and_saveexec_b32 s4, vcc_lo
	s_xor_b32 s4, exec_lo, s4
; %bb.39:
	v_bfe_u32 v97, v94, 16, 1
	s_delay_alu instid0(VALU_DEP_1)
	v_add3_u32 v97, v94, v97, 0x7fff
                                        ; implicit-def: $vgpr94
; %bb.40:
	s_and_not1_saveexec_b32 s4, s4
; %bb.41:
	v_and_b32_e32 v97, 0xffff, v94
	v_or_b32_e32 v100, 0x10000, v94
	s_delay_alu instid0(VALU_DEP_2) | instskip(NEXT) | instid1(VALU_DEP_2)
	v_cmp_eq_u32_e32 vcc_lo, 0, v97
	v_cndmask_b32_e32 v97, v100, v94, vcc_lo
; %bb.42:
	s_or_b32 exec_lo, exec_lo, s4
	v_and_b32_e32 v94, 0x7f800000, v92
	s_delay_alu instid0(VALU_DEP_1) | instskip(SKIP_1) | instid1(SALU_CYCLE_1)
	v_cmp_ne_u32_e32 vcc_lo, 0x7f800000, v94
                                        ; implicit-def: $vgpr94
	s_and_saveexec_b32 s4, vcc_lo
	s_xor_b32 s4, exec_lo, s4
; %bb.43:
	v_bfe_u32 v94, v92, 16, 1
	s_delay_alu instid0(VALU_DEP_1)
	v_add3_u32 v94, v92, v94, 0x7fff
                                        ; implicit-def: $vgpr92
; %bb.44:
	s_and_not1_saveexec_b32 s4, s4
; %bb.45:
	v_and_b32_e32 v94, 0xffff, v92
	v_or_b32_e32 v100, 0x10000, v92
	s_delay_alu instid0(VALU_DEP_2) | instskip(NEXT) | instid1(VALU_DEP_2)
	v_cmp_eq_u32_e32 vcc_lo, 0, v94
	v_cndmask_b32_e32 v94, v100, v92, vcc_lo
; %bb.46:
	s_or_b32 exec_lo, exec_lo, s4
	s_load_b64 s[36:37], s[0:1], 0x94
	v_lshlrev_b32_e32 v92, 4, v83
	s_delay_alu instid0(VALU_DEP_2)
	v_perm_b32 v100, v94, v97, 0x7060302
	v_dual_mul_f32 v89, v90, v89 :: v_dual_lshlrev_b32 v94, 11, v74
	v_perm_b32 v97, v93, v91, 0x7060302
	v_mul_f32_e32 v93, v90, v77
	v_perm_b32 v99, v98, v99, 0x7060302
	v_perm_b32 v98, v96, v95, 0x7060302
	v_or3_b32 v77, v92, v94, v85
	v_mul_f32_e32 v88, v90, v88
	v_dual_mul_f32 v87, v90, v87 :: v_dual_and_b32 v94, 0x7f800000, v93
	v_mul_f32_e32 v86, v90, v86
	v_mul_f32_e32 v91, v90, v80
	;; [unrolled: 1-line block ×4, first 2 shown]
	s_mov_b32 s4, exec_lo
	ds_store_b128 v77, v[97:100]
                                        ; implicit-def: $vgpr78
	v_cmpx_ne_u32_e32 0x7f800000, v94
	s_xor_b32 s4, exec_lo, s4
; %bb.47:
	v_bfe_u32 v78, v93, 16, 1
	s_delay_alu instid0(VALU_DEP_1)
	v_add3_u32 v78, v93, v78, 0x7fff
                                        ; implicit-def: $vgpr93
; %bb.48:
	s_and_not1_saveexec_b32 s4, s4
; %bb.49:
	v_and_b32_e32 v78, 0xffff, v93
	v_or_b32_e32 v79, 0x10000, v93
	s_delay_alu instid0(VALU_DEP_2) | instskip(NEXT) | instid1(VALU_DEP_2)
	v_cmp_eq_u32_e32 vcc_lo, 0, v78
	v_cndmask_b32_e32 v78, v79, v93, vcc_lo
; %bb.50:
	s_or_b32 exec_lo, exec_lo, s4
	v_and_b32_e32 v79, 0x7f800000, v80
	s_delay_alu instid0(VALU_DEP_1) | instskip(SKIP_1) | instid1(SALU_CYCLE_1)
	v_cmp_ne_u32_e32 vcc_lo, 0x7f800000, v79
                                        ; implicit-def: $vgpr79
	s_and_saveexec_b32 s4, vcc_lo
	s_xor_b32 s4, exec_lo, s4
; %bb.51:
	v_bfe_u32 v79, v80, 16, 1
	s_delay_alu instid0(VALU_DEP_1)
	v_add3_u32 v79, v80, v79, 0x7fff
                                        ; implicit-def: $vgpr80
; %bb.52:
	s_and_not1_saveexec_b32 s4, s4
; %bb.53:
	v_and_b32_e32 v79, 0xffff, v80
	v_or_b32_e32 v90, 0x10000, v80
	s_delay_alu instid0(VALU_DEP_2) | instskip(NEXT) | instid1(VALU_DEP_2)
	v_cmp_eq_u32_e32 vcc_lo, 0, v79
	v_cndmask_b32_e32 v79, v90, v80, vcc_lo
; %bb.54:
	s_or_b32 exec_lo, exec_lo, s4
	v_and_b32_e32 v80, 0x7f800000, v92
	s_delay_alu instid0(VALU_DEP_1) | instskip(SKIP_1) | instid1(SALU_CYCLE_1)
	v_cmp_ne_u32_e32 vcc_lo, 0x7f800000, v80
                                        ; implicit-def: $vgpr80
	s_and_saveexec_b32 s4, vcc_lo
	s_xor_b32 s4, exec_lo, s4
; %bb.55:
	v_bfe_u32 v80, v92, 16, 1
	s_delay_alu instid0(VALU_DEP_1)
	v_add3_u32 v80, v92, v80, 0x7fff
                                        ; implicit-def: $vgpr92
; %bb.56:
	s_and_not1_saveexec_b32 s4, s4
; %bb.57:
	v_and_b32_e32 v80, 0xffff, v92
	v_or_b32_e32 v90, 0x10000, v92
	s_delay_alu instid0(VALU_DEP_2) | instskip(NEXT) | instid1(VALU_DEP_2)
	v_cmp_eq_u32_e32 vcc_lo, 0, v80
	v_cndmask_b32_e32 v80, v90, v92, vcc_lo
; %bb.58:
	s_or_b32 exec_lo, exec_lo, s4
	v_and_b32_e32 v90, 0x7f800000, v91
	s_delay_alu instid0(VALU_DEP_1) | instskip(SKIP_1) | instid1(SALU_CYCLE_1)
	v_cmp_ne_u32_e32 vcc_lo, 0x7f800000, v90
                                        ; implicit-def: $vgpr90
	s_and_saveexec_b32 s4, vcc_lo
	s_xor_b32 s4, exec_lo, s4
; %bb.59:
	v_bfe_u32 v90, v91, 16, 1
	s_delay_alu instid0(VALU_DEP_1)
	v_add3_u32 v90, v91, v90, 0x7fff
                                        ; implicit-def: $vgpr91
; %bb.60:
	s_and_not1_saveexec_b32 s4, s4
; %bb.61:
	v_and_b32_e32 v90, 0xffff, v91
	v_or_b32_e32 v92, 0x10000, v91
	s_delay_alu instid0(VALU_DEP_2) | instskip(NEXT) | instid1(VALU_DEP_2)
	v_cmp_eq_u32_e32 vcc_lo, 0, v90
	v_cndmask_b32_e32 v90, v92, v91, vcc_lo
; %bb.62:
	s_or_b32 exec_lo, exec_lo, s4
	v_and_b32_e32 v91, 0x7f800000, v86
	s_delay_alu instid0(VALU_DEP_1) | instskip(SKIP_1) | instid1(SALU_CYCLE_1)
	v_cmp_ne_u32_e32 vcc_lo, 0x7f800000, v91
                                        ; implicit-def: $vgpr91
	s_and_saveexec_b32 s4, vcc_lo
	s_xor_b32 s4, exec_lo, s4
; %bb.63:
	v_bfe_u32 v91, v86, 16, 1
	s_delay_alu instid0(VALU_DEP_1)
	v_add3_u32 v91, v86, v91, 0x7fff
                                        ; implicit-def: $vgpr86
; %bb.64:
	s_and_not1_saveexec_b32 s4, s4
; %bb.65:
	v_and_b32_e32 v91, 0xffff, v86
	v_or_b32_e32 v92, 0x10000, v86
	s_delay_alu instid0(VALU_DEP_2) | instskip(NEXT) | instid1(VALU_DEP_2)
	v_cmp_eq_u32_e32 vcc_lo, 0, v91
	v_cndmask_b32_e32 v91, v92, v86, vcc_lo
; %bb.66:
	s_or_b32 exec_lo, exec_lo, s4
	v_and_b32_e32 v86, 0x7f800000, v87
	s_delay_alu instid0(VALU_DEP_1) | instskip(SKIP_1) | instid1(SALU_CYCLE_1)
	v_cmp_ne_u32_e32 vcc_lo, 0x7f800000, v86
                                        ; implicit-def: $vgpr86
	s_and_saveexec_b32 s4, vcc_lo
	s_xor_b32 s4, exec_lo, s4
; %bb.67:
	v_bfe_u32 v86, v87, 16, 1
	s_delay_alu instid0(VALU_DEP_1)
	v_add3_u32 v86, v87, v86, 0x7fff
                                        ; implicit-def: $vgpr87
; %bb.68:
	s_and_not1_saveexec_b32 s4, s4
; %bb.69:
	v_and_b32_e32 v86, 0xffff, v87
	v_or_b32_e32 v92, 0x10000, v87
	s_delay_alu instid0(VALU_DEP_2) | instskip(NEXT) | instid1(VALU_DEP_2)
	v_cmp_eq_u32_e32 vcc_lo, 0, v86
	v_cndmask_b32_e32 v86, v92, v87, vcc_lo
; %bb.70:
	s_or_b32 exec_lo, exec_lo, s4
	v_and_b32_e32 v87, 0x7f800000, v88
	s_delay_alu instid0(VALU_DEP_1) | instskip(SKIP_1) | instid1(SALU_CYCLE_1)
	v_cmp_ne_u32_e32 vcc_lo, 0x7f800000, v87
                                        ; implicit-def: $vgpr87
	s_and_saveexec_b32 s4, vcc_lo
	s_xor_b32 s4, exec_lo, s4
; %bb.71:
	v_bfe_u32 v87, v88, 16, 1
	s_delay_alu instid0(VALU_DEP_1)
	v_add3_u32 v87, v88, v87, 0x7fff
                                        ; implicit-def: $vgpr88
; %bb.72:
	s_and_not1_saveexec_b32 s4, s4
; %bb.73:
	v_and_b32_e32 v87, 0xffff, v88
	v_or_b32_e32 v92, 0x10000, v88
	s_delay_alu instid0(VALU_DEP_2) | instskip(NEXT) | instid1(VALU_DEP_2)
	v_cmp_eq_u32_e32 vcc_lo, 0, v87
	v_cndmask_b32_e32 v87, v92, v88, vcc_lo
; %bb.74:
	s_or_b32 exec_lo, exec_lo, s4
	v_and_b32_e32 v88, 0x7f800000, v89
	s_delay_alu instid0(VALU_DEP_1) | instskip(SKIP_1) | instid1(SALU_CYCLE_1)
	v_cmp_ne_u32_e32 vcc_lo, 0x7f800000, v88
                                        ; implicit-def: $vgpr88
	s_and_saveexec_b32 s4, vcc_lo
	s_xor_b32 s4, exec_lo, s4
; %bb.75:
	v_bfe_u32 v88, v89, 16, 1
	s_delay_alu instid0(VALU_DEP_1)
	v_add3_u32 v88, v89, v88, 0x7fff
                                        ; implicit-def: $vgpr89
; %bb.76:
	s_and_not1_saveexec_b32 s4, s4
; %bb.77:
	v_and_b32_e32 v88, 0xffff, v89
	v_or_b32_e32 v92, 0x10000, v89
	s_delay_alu instid0(VALU_DEP_2) | instskip(NEXT) | instid1(VALU_DEP_2)
	v_cmp_eq_u32_e32 vcc_lo, 0, v88
	v_cndmask_b32_e32 v88, v92, v89, vcc_lo
; %bb.78:
	s_or_b32 exec_lo, exec_lo, s4
	s_delay_alu instid0(VALU_DEP_1)
	v_perm_b32 v89, v88, v87, 0x7060302
	v_perm_b32 v88, v86, v91, 0x7060302
	v_perm_b32 v87, v90, v80, 0x7060302
	v_perm_b32 v86, v79, v78, 0x7060302
	v_lshl_or_b32 v90, v74, 11, v85
	ds_store_b128 v77, v[86:89] offset:1024
	s_waitcnt lgkmcnt(0)
	s_barrier
	buffer_gl0_inv
	ds_load_b128 v[91:94], v90
	ds_load_b128 v[95:98], v90 offset:16
	v_lshlrev_b32_e32 v87, 2, v83
	s_delay_alu instid0(VALU_DEP_1)
	v_or_b32_e32 v88, 1, v87
	v_cmp_eq_u32_e32 vcc_lo, 1, v87
	v_cmp_eq_u32_e64 s5, 2, v87
	v_cmp_eq_u32_e64 s8, 3, v87
	;; [unrolled: 1-line block ×6, first 2 shown]
	v_or_b32_e32 v86, 2, v87
	v_cmp_eq_u32_e64 s11, 5, v87
	v_cmp_eq_u32_e64 s12, 4, v88
	;; [unrolled: 1-line block ×4, first 2 shown]
	s_waitcnt lgkmcnt(1)
	v_lshrrev_b32_e32 v74, 16, v91
	s_waitcnt lgkmcnt(0)
	v_lshrrev_b32_e32 v103, 16, v95
	v_lshrrev_b32_e32 v80, 16, v94
	;; [unrolled: 1-line block ×4, first 2 shown]
	v_cndmask_b32_e32 v89, v91, v74, vcc_lo
	v_cndmask_b32_e32 v99, v95, v103, vcc_lo
	v_cndmask_b32_e64 v100, v91, v74, s4
	v_lshrrev_b32_e32 v79, 16, v93
	v_lshrrev_b32_e32 v108, 16, v97
	v_cndmask_b32_e64 v89, v89, v92, s5
	v_cndmask_b32_e64 v99, v99, v96, s5
	;; [unrolled: 1-line block ×4, first 2 shown]
	v_cmp_eq_u32_e64 s6, 1, v86
	v_cndmask_b32_e64 v89, v89, v78, s8
	v_cndmask_b32_e64 v99, v99, v107, s8
	;; [unrolled: 1-line block ×4, first 2 shown]
	v_lshrrev_b32_e32 v109, 16, v98
	v_cndmask_b32_e64 v89, v89, v93, s10
	v_cndmask_b32_e64 v99, v99, v97, s10
	;; [unrolled: 1-line block ×8, first 2 shown]
	v_cmp_eq_u32_e64 s16, 7, v87
	v_cmp_eq_u32_e64 s17, 6, v88
	v_cndmask_b32_e64 v89, v89, v94, s13
	v_cndmask_b32_e64 v99, v99, v98, s13
	v_cmp_eq_u32_e64 s18, 2, v86
	v_cndmask_b32_e64 v101, v101, v97, s12
	v_cndmask_b32_e64 v100, v100, v94, s17
	;; [unrolled: 1-line block ×6, first 2 shown]
	v_cmp_eq_u32_e64 s19, 7, v88
	v_cmp_eq_u32_e64 s20, 3, v86
	;; [unrolled: 1-line block ×4, first 2 shown]
	v_cndmask_b32_e64 v99, v99, v96, s18
	v_cndmask_b32_e64 v112, v100, v80, s19
	;; [unrolled: 1-line block ×4, first 2 shown]
	v_or_b32_e32 v89, 3, v87
	v_cndmask_b32_e64 v105, v99, v107, s20
	v_cmp_eq_u32_e64 s25, 6, v86
	v_cndmask_b32_e64 v113, v100, v98, s17
	v_cndmask_b32_e64 v104, v101, v93, s21
	ds_load_b128 v[99:102], v90 offset:1024
	v_cmp_eq_u32_e64 s22, 1, v89
	v_cmp_eq_u32_e64 s24, 2, v89
	;; [unrolled: 1-line block ×3, first 2 shown]
	v_cndmask_b32_e64 v114, v104, v79, s23
	v_cmp_eq_u32_e64 s27, 4, v89
	v_cndmask_b32_e64 v74, v91, v74, s22
	v_cndmask_b32_e64 v91, v105, v97, s21
	v_cndmask_b32_e64 v95, v95, v103, s22
	ds_load_b128 v[103:106], v90 offset:1040
	v_cmp_eq_u32_e64 s29, 5, v89
	v_cndmask_b32_e64 v74, v74, v92, s24
	v_cndmask_b32_e64 v91, v91, v108, s23
	;; [unrolled: 1-line block ×3, first 2 shown]
	v_cmp_eq_u32_e64 s30, 6, v89
	v_cndmask_b32_e64 v95, v113, v109, s19
	v_cndmask_b32_e64 v74, v74, v78, s26
	;; [unrolled: 1-line block ×5, first 2 shown]
	s_waitcnt lgkmcnt(1)
	v_lshrrev_b32_e32 v96, 16, v99
	v_cndmask_b32_e64 v74, v74, v93, s27
	v_lshrrev_b32_e32 v107, 16, v100
	v_cndmask_b32_e64 v92, v92, v97, s27
	v_cmp_eq_u32_e64 s28, 7, v86
	v_cndmask_b32_e32 v93, v99, v96, vcc_lo
	v_cndmask_b32_e64 v74, v74, v79, s29
	s_delay_alu instid0(VALU_DEP_4)
	v_cndmask_b32_e64 v79, v92, v108, s29
	s_waitcnt lgkmcnt(0)
	v_lshrrev_b32_e32 v97, 16, v103
	v_cndmask_b32_e64 v92, v93, v100, s5
	v_cndmask_b32_e64 v93, v99, v96, s4
	;; [unrolled: 1-line block ×4, first 2 shown]
	v_cndmask_b32_e32 v108, v103, v97, vcc_lo
	v_cndmask_b32_e64 v92, v92, v107, s8
	v_cndmask_b32_e64 v93, v93, v100, s7
	v_lshrrev_b32_e32 v98, 16, v104
	v_cmp_eq_u32_e32 vcc_lo, 7, v89
	v_cndmask_b32_e64 v94, v108, v104, s5
	v_cndmask_b32_e64 v92, v92, v101, s10
	v_lshrrev_b32_e32 v108, 16, v101
	v_cndmask_b32_e64 v93, v93, v107, s9
	v_cndmask_b32_e32 v74, v74, v80, vcc_lo
	v_cndmask_b32_e64 v94, v94, v98, s8
	v_cndmask_b32_e32 v79, v79, v109, vcc_lo
	v_cndmask_b32_e64 v92, v92, v108, s11
	v_cndmask_b32_e64 v78, v78, v80, s28
	;; [unrolled: 1-line block ×4, first 2 shown]
	v_perm_b32 v94, v79, v74, 0x5040100
	v_cndmask_b32_e64 v79, v92, v102, s13
	v_perm_b32 v92, v95, v112, 0x5040100
	v_cndmask_b32_e64 v95, v99, v96, s6
	v_cndmask_b32_e64 v96, v99, v96, s22
	;; [unrolled: 1-line block ×16, first 2 shown]
	v_lshrrev_b32_e32 v109, 16, v105
	v_cndmask_b32_e64 v95, v95, v101, s21
	v_cndmask_b32_e64 v96, v96, v101, s27
	;; [unrolled: 1-line block ×6, first 2 shown]
	v_lshrrev_b32_e32 v80, 16, v102
	v_cndmask_b32_e64 v113, v93, v109, s11
	v_cndmask_b32_e64 v95, v95, v108, s23
	;; [unrolled: 1-line block ×6, first 2 shown]
	v_perm_b32 v93, v91, v78, 0x5040100
	v_cndmask_b32_e64 v74, v74, v102, s17
	v_cndmask_b32_e64 v78, v79, v80, s16
	;; [unrolled: 1-line block ×3, first 2 shown]
	v_lshrrev_b32_e32 v91, 16, v106
	v_cndmask_b32_e64 v95, v95, v102, s25
	v_cndmask_b32_e64 v96, v96, v102, s30
	;; [unrolled: 1-line block ×7, first 2 shown]
	v_cndmask_b32_e32 v80, v96, v80, vcc_lo
	v_cndmask_b32_e32 v96, v98, v91, vcc_lo
	v_cndmask_b32_e64 v99, v99, v91, s28
	v_cndmask_b32_e64 v100, v97, v91, s19
	;; [unrolled: 1-line block ×3, first 2 shown]
	v_perm_b32 v91, v111, v110, 0x5040100
	v_perm_b32 v98, v96, v80, 0x5040100
	;; [unrolled: 1-line block ×5, first 2 shown]
	s_mul_i32 s9, s37, 7
	s_mov_b32 s4, exec_lo
	ds_store_b128 v77, v[91:94]
	ds_store_b128 v77, v[95:98] offset:1024
	v_cmpx_gt_u32_e32 7, v0
	s_cbranch_execz .LBB544_80
; %bb.79:
	s_mul_i32 s5, s9, s34
	s_load_b128 s[16:19], s[0:1], 0x58
	v_add3_u32 v77, s5, s31, v73
	s_delay_alu instid0(VALU_DEP_1) | instskip(NEXT) | instid1(VALU_DEP_1)
	v_mad_u64_u32 v[73:74], null, v77, s36, s[14:15]
	v_ashrrev_i32_e32 v74, 31, v73
	s_delay_alu instid0(VALU_DEP_1) | instskip(SKIP_1) | instid1(VALU_DEP_1)
	v_lshlrev_b64 v[73:74], 2, v[73:74]
	s_waitcnt lgkmcnt(0)
	v_add_co_u32 v77, vcc_lo, s18, v73
	s_delay_alu instid0(VALU_DEP_2)
	v_add_co_ci_u32_e32 v78, vcc_lo, s19, v74, vcc_lo
	v_add_co_u32 v73, vcc_lo, s16, v73
	v_add_co_ci_u32_e32 v74, vcc_lo, s17, v74, vcc_lo
	global_store_b32 v[77:78], v75, off
	global_store_b32 v[73:74], v76, off
.LBB544_80:
	s_or_b32 exec_lo, exec_lo, s4
	s_waitcnt lgkmcnt(0)
	s_waitcnt_vscnt null, 0x0
	s_barrier
	buffer_gl0_inv
	ds_load_b128 v[91:94], v85
	ds_load_b128 v[95:98], v85 offset:16
	ds_load_b128 v[103:106], v85 offset:1040
	;; [unrolled: 1-line block ×3, first 2 shown]
	v_mov_b32_e32 v73, 0
	ds_load_b128 v[111:114], v85 offset:2064
	ds_load_b128 v[107:110], v85 offset:2048
	;; [unrolled: 1-line block ×6, first 2 shown]
	v_mov_b32_e32 v74, v73
	v_mov_b32_e32 v75, v73
	;; [unrolled: 1-line block ×7, first 2 shown]
	s_waitcnt lgkmcnt(8)
	s_delay_alu instid0(VALU_DEP_1)
	v_wmma_f32_16x16x16_bf16 v[73:80], v[65:72], v[91:98], v[73:80]
	ds_load_b128 v[69:72], v85 offset:5136
	ds_load_b128 v[65:68], v85 offset:5120
	;; [unrolled: 1-line block ×4, first 2 shown]
	s_waitcnt lgkmcnt(10)
	v_wmma_f32_16x16x16_bf16 v[73:80], v[57:64], v[99:106], v[73:80]
	s_waitcnt lgkmcnt(8)
	s_delay_alu instid0(VALU_DEP_1)
	v_wmma_f32_16x16x16_bf16 v[73:80], v[57:64], v[107:114], v[73:80]
	ds_load_b128 v[61:64], v85 offset:7184
	ds_load_b128 v[57:60], v85 offset:7168
	;; [unrolled: 1-line block ×4, first 2 shown]
	s_waitcnt lgkmcnt(10)
	v_wmma_f32_16x16x16_bf16 v[73:80], v[49:56], v[115:122], v[73:80]
	s_waitcnt lgkmcnt(8)
	s_delay_alu instid0(VALU_DEP_1)
	v_wmma_f32_16x16x16_bf16 v[73:80], v[49:56], v[123:130], v[73:80]
	ds_load_b128 v[53:56], v85 offset:9232
	ds_load_b128 v[49:52], v85 offset:9216
	s_waitcnt lgkmcnt(8)
	v_wmma_f32_16x16x16_bf16 v[73:80], v[41:48], v[65:72], v[73:80]
	ds_load_b128 v[69:72], v85 offset:10256
	ds_load_b128 v[65:68], v85 offset:10240
	s_waitcnt lgkmcnt(8)
	;; [unrolled: 4-line block ×3, first 2 shown]
	v_wmma_f32_16x16x16_bf16 v[73:80], v[9:16], v[57:64], v[73:80]
	s_waitcnt lgkmcnt(6)
	s_delay_alu instid0(VALU_DEP_1)
	v_wmma_f32_16x16x16_bf16 v[73:80], v[9:16], v[99:106], v[73:80]
	ds_load_b128 v[13:16], v85 offset:12304
	ds_load_b128 v[9:12], v85 offset:12288
	s_waitcnt lgkmcnt(6)
	v_wmma_f32_16x16x16_bf16 v[73:80], v[1:8], v[49:56], v[73:80]
	ds_load_b128 v[53:56], v85 offset:13328
	ds_load_b128 v[49:52], v85 offset:13312
	s_waitcnt lgkmcnt(6)
	;; [unrolled: 4-line block ×4, first 2 shown]
	v_wmma_f32_16x16x16_bf16 v[73:80], v[33:40], v[9:16], v[73:80]
	s_waitcnt lgkmcnt(4)
	s_delay_alu instid0(VALU_DEP_1) | instskip(SKIP_1) | instid1(VALU_DEP_1)
	v_wmma_f32_16x16x16_bf16 v[73:80], v[25:32], v[49:56], v[73:80]
	s_waitcnt lgkmcnt(2)
	v_wmma_f32_16x16x16_bf16 v[73:80], v[25:32], v[1:8], v[73:80]
	s_waitcnt lgkmcnt(0)
	s_delay_alu instid0(VALU_DEP_1) | instskip(NEXT) | instid1(VALU_DEP_1)
	v_wmma_f32_16x16x16_bf16 v[73:80], v[17:24], v[41:48], v[73:80]
	v_and_b32_e32 v1, 0x7f800000, v73
	s_delay_alu instid0(VALU_DEP_1) | instskip(SKIP_1) | instid1(SALU_CYCLE_1)
	v_cmp_ne_u32_e32 vcc_lo, 0x7f800000, v1
                                        ; implicit-def: $vgpr1
	s_and_saveexec_b32 s4, vcc_lo
	s_xor_b32 s4, exec_lo, s4
; %bb.81:
	v_bfe_u32 v1, v73, 16, 1
	s_delay_alu instid0(VALU_DEP_1)
	v_add3_u32 v1, v73, v1, 0x7fff
; %bb.82:
	s_and_not1_saveexec_b32 s4, s4
; %bb.83:
	v_and_b32_e32 v1, 0xffff, v73
	v_or_b32_e32 v2, 0x10000, v73
	s_delay_alu instid0(VALU_DEP_2) | instskip(NEXT) | instid1(VALU_DEP_2)
	v_cmp_eq_u32_e32 vcc_lo, 0, v1
	v_cndmask_b32_e32 v1, v2, v73, vcc_lo
; %bb.84:
	s_or_b32 exec_lo, exec_lo, s4
	v_and_b32_e32 v2, 0x7f800000, v74
	s_delay_alu instid0(VALU_DEP_1) | instskip(SKIP_1) | instid1(SALU_CYCLE_1)
	v_cmp_ne_u32_e32 vcc_lo, 0x7f800000, v2
                                        ; implicit-def: $vgpr2
	s_and_saveexec_b32 s4, vcc_lo
	s_xor_b32 s4, exec_lo, s4
; %bb.85:
	v_bfe_u32 v2, v74, 16, 1
	s_delay_alu instid0(VALU_DEP_1)
	v_add3_u32 v2, v74, v2, 0x7fff
; %bb.86:
	s_and_not1_saveexec_b32 s4, s4
; %bb.87:
	v_and_b32_e32 v2, 0xffff, v74
	v_or_b32_e32 v3, 0x10000, v74
	s_delay_alu instid0(VALU_DEP_2) | instskip(NEXT) | instid1(VALU_DEP_2)
	v_cmp_eq_u32_e32 vcc_lo, 0, v2
	v_cndmask_b32_e32 v2, v3, v74, vcc_lo
; %bb.88:
	s_or_b32 exec_lo, exec_lo, s4
	v_and_b32_e32 v3, 0x7f800000, v75
	s_delay_alu instid0(VALU_DEP_1) | instskip(SKIP_1) | instid1(SALU_CYCLE_1)
	v_cmp_ne_u32_e32 vcc_lo, 0x7f800000, v3
                                        ; implicit-def: $vgpr3
	s_and_saveexec_b32 s4, vcc_lo
	s_xor_b32 s4, exec_lo, s4
; %bb.89:
	v_bfe_u32 v3, v75, 16, 1
	s_delay_alu instid0(VALU_DEP_1)
	v_add3_u32 v3, v75, v3, 0x7fff
; %bb.90:
	s_and_not1_saveexec_b32 s4, s4
; %bb.91:
	v_and_b32_e32 v3, 0xffff, v75
	v_or_b32_e32 v4, 0x10000, v75
	s_delay_alu instid0(VALU_DEP_2) | instskip(NEXT) | instid1(VALU_DEP_2)
	v_cmp_eq_u32_e32 vcc_lo, 0, v3
	v_cndmask_b32_e32 v3, v4, v75, vcc_lo
; %bb.92:
	s_or_b32 exec_lo, exec_lo, s4
	v_and_b32_e32 v4, 0x7f800000, v76
	s_delay_alu instid0(VALU_DEP_1) | instskip(SKIP_1) | instid1(SALU_CYCLE_1)
	v_cmp_ne_u32_e32 vcc_lo, 0x7f800000, v4
                                        ; implicit-def: $vgpr4
	s_and_saveexec_b32 s4, vcc_lo
	s_xor_b32 s4, exec_lo, s4
; %bb.93:
	v_bfe_u32 v4, v76, 16, 1
	s_delay_alu instid0(VALU_DEP_1)
	v_add3_u32 v4, v76, v4, 0x7fff
; %bb.94:
	s_and_not1_saveexec_b32 s4, s4
; %bb.95:
	v_and_b32_e32 v4, 0xffff, v76
	v_or_b32_e32 v5, 0x10000, v76
	s_delay_alu instid0(VALU_DEP_2) | instskip(NEXT) | instid1(VALU_DEP_2)
	v_cmp_eq_u32_e32 vcc_lo, 0, v4
	v_cndmask_b32_e32 v4, v5, v76, vcc_lo
; %bb.96:
	s_or_b32 exec_lo, exec_lo, s4
	v_and_b32_e32 v5, 0x7f800000, v77
	s_delay_alu instid0(VALU_DEP_1) | instskip(SKIP_1) | instid1(SALU_CYCLE_1)
	v_cmp_ne_u32_e32 vcc_lo, 0x7f800000, v5
                                        ; implicit-def: $vgpr5
	s_and_saveexec_b32 s4, vcc_lo
	s_xor_b32 s4, exec_lo, s4
; %bb.97:
	v_bfe_u32 v5, v77, 16, 1
	s_delay_alu instid0(VALU_DEP_1)
	v_add3_u32 v5, v77, v5, 0x7fff
; %bb.98:
	s_and_not1_saveexec_b32 s4, s4
; %bb.99:
	v_and_b32_e32 v5, 0xffff, v77
	v_or_b32_e32 v6, 0x10000, v77
	s_delay_alu instid0(VALU_DEP_2) | instskip(NEXT) | instid1(VALU_DEP_2)
	v_cmp_eq_u32_e32 vcc_lo, 0, v5
	v_cndmask_b32_e32 v5, v6, v77, vcc_lo
; %bb.100:
	s_or_b32 exec_lo, exec_lo, s4
	v_and_b32_e32 v6, 0x7f800000, v78
	s_delay_alu instid0(VALU_DEP_1) | instskip(SKIP_1) | instid1(SALU_CYCLE_1)
	v_cmp_ne_u32_e32 vcc_lo, 0x7f800000, v6
                                        ; implicit-def: $vgpr6
	s_and_saveexec_b32 s4, vcc_lo
	s_xor_b32 s4, exec_lo, s4
; %bb.101:
	v_bfe_u32 v6, v78, 16, 1
	s_delay_alu instid0(VALU_DEP_1)
	v_add3_u32 v6, v78, v6, 0x7fff
; %bb.102:
	s_and_not1_saveexec_b32 s4, s4
; %bb.103:
	v_and_b32_e32 v6, 0xffff, v78
	v_or_b32_e32 v7, 0x10000, v78
	s_delay_alu instid0(VALU_DEP_2) | instskip(NEXT) | instid1(VALU_DEP_2)
	v_cmp_eq_u32_e32 vcc_lo, 0, v6
	v_cndmask_b32_e32 v6, v7, v78, vcc_lo
; %bb.104:
	s_or_b32 exec_lo, exec_lo, s4
	v_and_b32_e32 v7, 0x7f800000, v79
	s_delay_alu instid0(VALU_DEP_1) | instskip(SKIP_1) | instid1(SALU_CYCLE_1)
	v_cmp_ne_u32_e32 vcc_lo, 0x7f800000, v7
                                        ; implicit-def: $vgpr7
	s_and_saveexec_b32 s4, vcc_lo
	s_xor_b32 s4, exec_lo, s4
; %bb.105:
	v_bfe_u32 v7, v79, 16, 1
	s_delay_alu instid0(VALU_DEP_1)
	v_add3_u32 v7, v79, v7, 0x7fff
; %bb.106:
	s_and_not1_saveexec_b32 s4, s4
; %bb.107:
	v_and_b32_e32 v7, 0xffff, v79
	v_or_b32_e32 v8, 0x10000, v79
	s_delay_alu instid0(VALU_DEP_2) | instskip(NEXT) | instid1(VALU_DEP_2)
	v_cmp_eq_u32_e32 vcc_lo, 0, v7
	v_cndmask_b32_e32 v7, v8, v79, vcc_lo
; %bb.108:
	s_or_b32 exec_lo, exec_lo, s4
	v_and_b32_e32 v8, 0x7f800000, v80
	s_delay_alu instid0(VALU_DEP_1) | instskip(SKIP_1) | instid1(SALU_CYCLE_1)
	v_cmp_ne_u32_e32 vcc_lo, 0x7f800000, v8
                                        ; implicit-def: $vgpr8
	s_and_saveexec_b32 s4, vcc_lo
	s_xor_b32 s4, exec_lo, s4
; %bb.109:
	v_bfe_u32 v8, v80, 16, 1
	s_delay_alu instid0(VALU_DEP_1)
	v_add3_u32 v8, v80, v8, 0x7fff
                                        ; implicit-def: $vgpr73_vgpr74_vgpr75_vgpr76_vgpr77_vgpr78_vgpr79_vgpr80
; %bb.110:
	s_and_not1_saveexec_b32 s4, s4
; %bb.111:
	v_and_b32_e32 v8, 0xffff, v80
	v_or_b32_e32 v9, 0x10000, v80
	s_delay_alu instid0(VALU_DEP_2) | instskip(NEXT) | instid1(VALU_DEP_2)
	v_cmp_eq_u32_e32 vcc_lo, 0, v8
	v_cndmask_b32_e32 v8, v9, v80, vcc_lo
; %bb.112:
	s_or_b32 exec_lo, exec_lo, s4
	s_delay_alu instid0(VALU_DEP_1)
	v_perm_b32 v7, v8, v7, 0x7060302
	v_perm_b32 v6, v6, v5, 0x7060302
	;; [unrolled: 1-line block ×4, first 2 shown]
	v_lshl_or_b32 v9, v83, 4, v90
	s_barrier
	buffer_gl0_inv
	v_cmp_eq_u32_e32 vcc_lo, 1, v87
	ds_store_b128 v9, v[4:7]
	s_waitcnt lgkmcnt(0)
	s_barrier
	buffer_gl0_inv
	ds_load_b128 v[1:4], v90
	ds_load_b128 v[5:8], v90 offset:16
	v_cmp_eq_u32_e64 s5, 2, v87
	v_cmp_eq_u32_e64 s4, 1, v88
	;; [unrolled: 1-line block ×5, first 2 shown]
	s_waitcnt lgkmcnt(1)
	v_lshrrev_b32_e32 v10, 16, v1
	s_waitcnt lgkmcnt(0)
	v_lshrrev_b32_e32 v14, 16, v5
	v_lshrrev_b32_e32 v15, 16, v6
	v_lshrrev_b32_e32 v11, 16, v2
	v_lshrrev_b32_e32 v12, 16, v3
	v_cndmask_b32_e64 v20, v1, v10, s4
	v_cndmask_b32_e32 v19, v5, v14, vcc_lo
	v_cndmask_b32_e64 v21, v5, v14, s4
	v_lshrrev_b32_e32 v16, 16, v7
	v_cmp_eq_u32_e64 s4, 1, v86
	v_lshrrev_b32_e32 v13, 16, v4
	v_cndmask_b32_e64 v19, v19, v6, s5
	v_lshrrev_b32_e32 v17, 16, v8
	s_delay_alu instid0(VALU_DEP_4) | instskip(SKIP_1) | instid1(VALU_DEP_4)
	v_cndmask_b32_e64 v22, v1, v10, s4
	v_cndmask_b32_e64 v23, v5, v14, s4
	;; [unrolled: 1-line block ×3, first 2 shown]
	v_cndmask_b32_e32 v18, v1, v10, vcc_lo
	v_cmp_eq_u32_e32 vcc_lo, 2, v88
	v_cmp_eq_u32_e64 s4, 2, v89
	v_cndmask_b32_e64 v22, v22, v2, s8
	v_cndmask_b32_e32 v20, v20, v2, vcc_lo
	v_cndmask_b32_e32 v21, v21, v6, vcc_lo
	v_cmp_eq_u32_e32 vcc_lo, 4, v87
	v_cndmask_b32_e32 v19, v19, v7, vcc_lo
	v_cndmask_b32_e64 v18, v18, v2, s5
	v_cmp_eq_u32_e64 s5, 3, v88
	s_delay_alu instid0(VALU_DEP_2) | instskip(NEXT) | instid1(VALU_DEP_2)
	v_cndmask_b32_e64 v18, v18, v11, s6
	v_cndmask_b32_e64 v21, v21, v15, s5
	v_cmp_eq_u32_e64 s6, 5, v87
	s_delay_alu instid0(VALU_DEP_3) | instskip(SKIP_1) | instid1(VALU_DEP_3)
	v_cndmask_b32_e32 v18, v18, v3, vcc_lo
	v_cmp_eq_u32_e32 vcc_lo, 4, v88
	v_cndmask_b32_e64 v19, v19, v16, s6
	s_delay_alu instid0(VALU_DEP_3) | instskip(SKIP_4) | instid1(VALU_DEP_3)
	v_cndmask_b32_e64 v18, v18, v12, s6
	v_cndmask_b32_e32 v21, v21, v7, vcc_lo
	v_cndmask_b32_e64 v20, v20, v11, s5
	v_cmp_eq_u32_e64 s5, 5, v88
	v_cmp_eq_u32_e64 s6, 6, v87
	v_cndmask_b32_e32 v20, v20, v3, vcc_lo
	s_delay_alu instid0(VALU_DEP_3) | instskip(SKIP_1) | instid1(VALU_DEP_4)
	v_cndmask_b32_e64 v21, v21, v16, s5
	v_cmp_eq_u32_e32 vcc_lo, 6, v88
	v_cndmask_b32_e64 v18, v18, v4, s6
	v_cndmask_b32_e64 v19, v19, v8, s6
	;; [unrolled: 1-line block ×3, first 2 shown]
	v_cmp_eq_u32_e64 s5, 1, v89
	v_cmp_eq_u32_e64 s6, 7, v87
	s_delay_alu instid0(VALU_DEP_3) | instskip(NEXT) | instid1(VALU_DEP_3)
	v_cndmask_b32_e32 v20, v20, v4, vcc_lo
	v_cndmask_b32_e64 v1, v1, v10, s5
	v_cndmask_b32_e64 v5, v5, v14, s5
	v_cmp_eq_u32_e64 s5, 3, v86
	v_cndmask_b32_e64 v14, v23, v6, s8
	v_cmp_eq_u32_e64 s8, 3, v89
	v_cndmask_b32_e64 v1, v1, v2, s4
	v_cndmask_b32_e64 v2, v5, v6, s4
	;; [unrolled: 1-line block ×3, first 2 shown]
	v_cmp_eq_u32_e64 s4, 4, v86
	v_cndmask_b32_e64 v6, v14, v15, s5
	v_cndmask_b32_e64 v1, v1, v11, s8
	v_cmp_eq_u32_e64 s5, 4, v89
	v_cndmask_b32_e64 v2, v2, v15, s8
	v_cndmask_b32_e64 v5, v10, v3, s4
	;; [unrolled: 3-line block ×3, first 2 shown]
	v_cndmask_b32_e64 v2, v2, v7, s5
	v_cmp_eq_u32_e64 s4, 5, v89
	v_cndmask_b32_e64 v5, v5, v12, s8
	v_cmp_eq_u32_e64 s5, 6, v86
	;; [unrolled: 2-line block ×3, first 2 shown]
	v_cndmask_b32_e64 v1, v1, v12, s4
	v_cndmask_b32_e64 v2, v2, v16, s4
	;; [unrolled: 1-line block ×4, first 2 shown]
	v_cmp_eq_u32_e64 s4, 7, v89
	v_cndmask_b32_e64 v1, v1, v4, s8
	v_cndmask_b32_e64 v2, v2, v8, s8
	v_cmp_eq_u32_e64 s5, 7, v86
	v_cndmask_b32_e32 v4, v21, v8, vcc_lo
	v_cndmask_b32_e64 v18, v18, v13, s6
	v_cndmask_b32_e64 v20, v20, v13, s7
	;; [unrolled: 1-line block ×8, first 2 shown]
	v_cmp_gt_u32_e32 vcc_lo, 32, v0
	v_perm_b32 v4, v2, v1, 0x5040100
	v_perm_b32 v3, v3, v5, 0x5040100
	;; [unrolled: 1-line block ×4, first 2 shown]
	s_and_b32 s2, vcc_lo, s2
	ds_store_b128 v9, v[1:4]
	s_waitcnt lgkmcnt(0)
	s_barrier
	buffer_gl0_inv
	s_and_saveexec_b32 s4, s2
	s_cbranch_execz .LBB544_2
; %bb.113:
	s_load_b64 s[4:5], s[0:1], 0x68
	v_lshlrev_b32_e32 v0, 10, v0
	v_add_nc_u32_e32 v2, s31, v83
	v_lshlrev_b32_e32 v3, 4, v84
	s_lshl_b32 s0, s36, 6
	s_delay_alu instid0(SALU_CYCLE_1) | instskip(NEXT) | instid1(VALU_DEP_2)
	s_mul_i32 s1, s0, s34
	v_mul_lo_u32 v1, v2, s0
	s_delay_alu instid0(VALU_DEP_2)
	v_and_or_b32 v0, 0x3800, v0, v3
	v_add_nc_u32_e32 v3, 2, v2
	s_mul_i32 s6, s1, s9
	v_add_nc_u32_e32 v4, 4, v2
	s_ashr_i32 s7, s6, 31
	v_lshl_or_b32 v11, v83, 6, v0
	s_lshl_b64 s[6:7], s[6:7], 1
	v_mul_lo_u32 v15, v3, s0
	v_mul_lo_u32 v17, v4, s0
	v_ashrrev_i32_e32 v2, 31, v1
	ds_load_b128 v[3:6], v11
	ds_load_b128 v[7:10], v11 offset:128
	ds_load_b128 v[11:14], v11 offset:256
	s_waitcnt lgkmcnt(0)
	s_add_u32 s1, s4, s6
	s_addc_u32 s2, s5, s7
	s_lshl_b32 s4, s14, 6
	v_ashrrev_i32_e32 v16, 31, v15
	s_ashr_i32 s5, s4, 31
	v_lshlrev_b64 v[19:20], 1, v[1:2]
	s_lshl_b64 s[4:5], s[4:5], 1
	v_ashrrev_i32_e32 v18, 31, v17
	s_add_u32 s1, s1, s4
	s_addc_u32 s2, s2, s5
	v_add_co_u32 v1, vcc_lo, s1, v81
	v_add_co_ci_u32_e32 v2, vcc_lo, s2, v82, vcc_lo
	v_lshlrev_b64 v[15:16], 1, v[15:16]
	s_delay_alu instid0(VALU_DEP_3) | instskip(SKIP_1) | instid1(VALU_DEP_4)
	v_add_co_u32 v19, vcc_lo, v1, v19
	v_lshlrev_b64 v[17:18], 1, v[17:18]
	v_add_co_ci_u32_e32 v20, vcc_lo, v2, v20, vcc_lo
	s_delay_alu instid0(VALU_DEP_4) | instskip(SKIP_1) | instid1(VALU_DEP_4)
	v_add_co_u32 v15, vcc_lo, v1, v15
	v_add_co_ci_u32_e32 v16, vcc_lo, v2, v16, vcc_lo
	v_add_co_u32 v17, vcc_lo, v1, v17
	v_add_co_ci_u32_e32 v18, vcc_lo, v2, v18, vcc_lo
	s_clause 0x2
	global_store_b128 v[19:20], v[3:6], off
	global_store_b128 v[15:16], v[7:10], off
	;; [unrolled: 1-line block ×3, first 2 shown]
	s_and_b32 exec_lo, exec_lo, s3
	s_cbranch_execz .LBB544_2
; %bb.114:
	ds_load_b128 v[3:6], v0 offset:384
	s_add_i32 s1, s31, 6
	s_delay_alu instid0(SALU_CYCLE_1) | instskip(NEXT) | instid1(SALU_CYCLE_1)
	s_mul_i32 s0, s1, s0
	s_ashr_i32 s1, s0, 31
	s_delay_alu instid0(SALU_CYCLE_1) | instskip(NEXT) | instid1(SALU_CYCLE_1)
	s_lshl_b64 s[0:1], s[0:1], 1
	v_add_co_u32 v0, vcc_lo, v1, s0
	v_add_co_ci_u32_e32 v1, vcc_lo, s1, v2, vcc_lo
	s_waitcnt lgkmcnt(0)
	global_store_b128 v[0:1], v[3:6], off
	s_nop 0
	s_sendmsg sendmsg(MSG_DEALLOC_VGPRS)
	s_endpgm
	.section	.rodata,"a",@progbits
	.p2align	6, 0x0
	.amdhsa_kernel _Z39paged_attention_ll4mi_QKV_mfma16_kernelI14__hip_bfloat16S0_LN4vllm18Fp8KVCacheDataTypeE0ES0_Li32ELi64ELi256ELb1ELi7EL8MFMAType0EEvPKT_PKT0_S9_ifPKiSB_SB_iPKfiiiPfSE_PS4_PT2_iSD_SD_
		.amdhsa_group_segment_fixed_size 17472
		.amdhsa_private_segment_fixed_size 0
		.amdhsa_kernarg_size 400
		.amdhsa_user_sgpr_count 13
		.amdhsa_user_sgpr_dispatch_ptr 0
		.amdhsa_user_sgpr_queue_ptr 0
		.amdhsa_user_sgpr_kernarg_segment_ptr 1
		.amdhsa_user_sgpr_dispatch_id 0
		.amdhsa_user_sgpr_private_segment_size 0
		.amdhsa_wavefront_size32 1
		.amdhsa_uses_dynamic_stack 0
		.amdhsa_enable_private_segment 0
		.amdhsa_system_sgpr_workgroup_id_x 1
		.amdhsa_system_sgpr_workgroup_id_y 1
		.amdhsa_system_sgpr_workgroup_id_z 1
		.amdhsa_system_sgpr_workgroup_info 0
		.amdhsa_system_vgpr_workitem_id 0
		.amdhsa_next_free_vgpr 142
		.amdhsa_next_free_sgpr 39
		.amdhsa_reserve_vcc 1
		.amdhsa_float_round_mode_32 0
		.amdhsa_float_round_mode_16_64 0
		.amdhsa_float_denorm_mode_32 3
		.amdhsa_float_denorm_mode_16_64 3
		.amdhsa_dx10_clamp 1
		.amdhsa_ieee_mode 1
		.amdhsa_fp16_overflow 0
		.amdhsa_workgroup_processor_mode 1
		.amdhsa_memory_ordered 1
		.amdhsa_forward_progress 0
		.amdhsa_shared_vgpr_count 0
		.amdhsa_exception_fp_ieee_invalid_op 0
		.amdhsa_exception_fp_denorm_src 0
		.amdhsa_exception_fp_ieee_div_zero 0
		.amdhsa_exception_fp_ieee_overflow 0
		.amdhsa_exception_fp_ieee_underflow 0
		.amdhsa_exception_fp_ieee_inexact 0
		.amdhsa_exception_int_div_zero 0
	.end_amdhsa_kernel
	.section	.text._Z39paged_attention_ll4mi_QKV_mfma16_kernelI14__hip_bfloat16S0_LN4vllm18Fp8KVCacheDataTypeE0ES0_Li32ELi64ELi256ELb1ELi7EL8MFMAType0EEvPKT_PKT0_S9_ifPKiSB_SB_iPKfiiiPfSE_PS4_PT2_iSD_SD_,"axG",@progbits,_Z39paged_attention_ll4mi_QKV_mfma16_kernelI14__hip_bfloat16S0_LN4vllm18Fp8KVCacheDataTypeE0ES0_Li32ELi64ELi256ELb1ELi7EL8MFMAType0EEvPKT_PKT0_S9_ifPKiSB_SB_iPKfiiiPfSE_PS4_PT2_iSD_SD_,comdat
.Lfunc_end544:
	.size	_Z39paged_attention_ll4mi_QKV_mfma16_kernelI14__hip_bfloat16S0_LN4vllm18Fp8KVCacheDataTypeE0ES0_Li32ELi64ELi256ELb1ELi7EL8MFMAType0EEvPKT_PKT0_S9_ifPKiSB_SB_iPKfiiiPfSE_PS4_PT2_iSD_SD_, .Lfunc_end544-_Z39paged_attention_ll4mi_QKV_mfma16_kernelI14__hip_bfloat16S0_LN4vllm18Fp8KVCacheDataTypeE0ES0_Li32ELi64ELi256ELb1ELi7EL8MFMAType0EEvPKT_PKT0_S9_ifPKiSB_SB_iPKfiiiPfSE_PS4_PT2_iSD_SD_
                                        ; -- End function
	.section	.AMDGPU.csdata,"",@progbits
; Kernel info:
; codeLenInByte = 9452
; NumSgprs: 41
; NumVgprs: 142
; ScratchSize: 0
; MemoryBound: 0
; FloatMode: 240
; IeeeMode: 1
; LDSByteSize: 17472 bytes/workgroup (compile time only)
; SGPRBlocks: 5
; VGPRBlocks: 17
; NumSGPRsForWavesPerEU: 41
; NumVGPRsForWavesPerEU: 142
; Occupancy: 10
; WaveLimiterHint : 1
; COMPUTE_PGM_RSRC2:SCRATCH_EN: 0
; COMPUTE_PGM_RSRC2:USER_SGPR: 13
; COMPUTE_PGM_RSRC2:TRAP_HANDLER: 0
; COMPUTE_PGM_RSRC2:TGID_X_EN: 1
; COMPUTE_PGM_RSRC2:TGID_Y_EN: 1
; COMPUTE_PGM_RSRC2:TGID_Z_EN: 1
; COMPUTE_PGM_RSRC2:TIDIG_COMP_CNT: 0
	.section	.text._Z39paged_attention_ll4mi_QKV_mfma16_kernelI14__hip_bfloat16S0_LN4vllm18Fp8KVCacheDataTypeE0ES0_Li32ELi64ELi256ELb1ELi8EL8MFMAType0EEvPKT_PKT0_S9_ifPKiSB_SB_iPKfiiiPfSE_PS4_PT2_iSD_SD_,"axG",@progbits,_Z39paged_attention_ll4mi_QKV_mfma16_kernelI14__hip_bfloat16S0_LN4vllm18Fp8KVCacheDataTypeE0ES0_Li32ELi64ELi256ELb1ELi8EL8MFMAType0EEvPKT_PKT0_S9_ifPKiSB_SB_iPKfiiiPfSE_PS4_PT2_iSD_SD_,comdat
	.protected	_Z39paged_attention_ll4mi_QKV_mfma16_kernelI14__hip_bfloat16S0_LN4vllm18Fp8KVCacheDataTypeE0ES0_Li32ELi64ELi256ELb1ELi8EL8MFMAType0EEvPKT_PKT0_S9_ifPKiSB_SB_iPKfiiiPfSE_PS4_PT2_iSD_SD_ ; -- Begin function _Z39paged_attention_ll4mi_QKV_mfma16_kernelI14__hip_bfloat16S0_LN4vllm18Fp8KVCacheDataTypeE0ES0_Li32ELi64ELi256ELb1ELi8EL8MFMAType0EEvPKT_PKT0_S9_ifPKiSB_SB_iPKfiiiPfSE_PS4_PT2_iSD_SD_
	.globl	_Z39paged_attention_ll4mi_QKV_mfma16_kernelI14__hip_bfloat16S0_LN4vllm18Fp8KVCacheDataTypeE0ES0_Li32ELi64ELi256ELb1ELi8EL8MFMAType0EEvPKT_PKT0_S9_ifPKiSB_SB_iPKfiiiPfSE_PS4_PT2_iSD_SD_
	.p2align	8
	.type	_Z39paged_attention_ll4mi_QKV_mfma16_kernelI14__hip_bfloat16S0_LN4vllm18Fp8KVCacheDataTypeE0ES0_Li32ELi64ELi256ELb1ELi8EL8MFMAType0EEvPKT_PKT0_S9_ifPKiSB_SB_iPKfiiiPfSE_PS4_PT2_iSD_SD_,@function
_Z39paged_attention_ll4mi_QKV_mfma16_kernelI14__hip_bfloat16S0_LN4vllm18Fp8KVCacheDataTypeE0ES0_Li32ELi64ELi256ELb1ELi8EL8MFMAType0EEvPKT_PKT0_S9_ifPKiSB_SB_iPKfiiiPfSE_PS4_PT2_iSD_SD_: ; @_Z39paged_attention_ll4mi_QKV_mfma16_kernelI14__hip_bfloat16S0_LN4vllm18Fp8KVCacheDataTypeE0ES0_Li32ELi64ELi256ELb1ELi8EL8MFMAType0EEvPKT_PKT0_S9_ifPKiSB_SB_iPKfiiiPfSE_PS4_PT2_iSD_SD_
; %bb.0:
	s_load_b64 s[2:3], s[0:1], 0x30
	s_mov_b32 s30, s13
	s_waitcnt lgkmcnt(0)
	s_cmp_lg_u64 s[2:3], 0
	s_cselect_b32 s6, -1, 0
	s_ashr_i32 s31, s13, 31
	s_cmp_eq_u64 s[2:3], 0
	s_cbranch_scc1 .LBB545_3
; %bb.1:
	s_lshl_b64 s[4:5], s[30:31], 2
	s_delay_alu instid0(SALU_CYCLE_1) | instskip(SKIP_4) | instid1(SALU_CYCLE_1)
	s_add_u32 s4, s2, s4
	s_addc_u32 s5, s3, s5
	s_load_b64 s[4:5], s[4:5], 0x0
	s_waitcnt lgkmcnt(0)
	s_sub_i32 s4, s5, s4
	s_cmp_eq_u32 s4, 1
	s_cselect_b32 s4, -1, 0
	s_delay_alu instid0(SALU_CYCLE_1)
	s_and_not1_b32 vcc_lo, exec_lo, s4
	s_cbranch_vccz .LBB545_4
.LBB545_2:
	s_endpgm
.LBB545_3:
.LBB545_4:
	s_load_b64 s[8:9], s[0:1], 0x28
	s_lshl_b64 s[4:5], s[30:31], 2
	s_waitcnt lgkmcnt(0)
	s_add_u32 s8, s8, s4
	s_addc_u32 s9, s9, s5
	s_lshl_b32 s16, s14, 8
	s_load_b32 s18, s[8:9], 0x0
	s_waitcnt lgkmcnt(0)
	s_cmp_ge_i32 s16, s18
	s_cbranch_scc1 .LBB545_2
; %bb.5:
	s_and_not1_b32 vcc_lo, exec_lo, s6
	s_cbranch_vccnz .LBB545_7
; %bb.6:
	s_add_u32 s2, s2, s4
	s_addc_u32 s3, s3, s5
	s_load_b32 s17, s[2:3], 0x0
	s_branch .LBB545_8
.LBB545_7:
	s_mov_b32 s17, s30
.LBB545_8:
	s_clause 0x2
	s_load_b128 s[8:11], s[0:1], 0x8
	s_load_b64 s[12:13], s[0:1], 0x20
	s_load_b128 s[4:7], s[0:1], 0x48
	v_and_b32_e32 v74, 15, v0
	v_cmp_lt_u32_e32 vcc_lo, 0x7f, v0
	s_delay_alu instid0(VALU_DEP_2) | instskip(SKIP_2) | instid1(VALU_DEP_3)
	v_cmp_lt_u32_e64 s3, 7, v74
	v_lshlrev_b32_e32 v1, 3, v74
	v_cmp_gt_u32_e64 s2, 8, v74
	s_or_b32 s3, vcc_lo, s3
	s_waitcnt lgkmcnt(0)
	s_and_saveexec_b32 s7, s3
	s_delay_alu instid0(SALU_CYCLE_1)
	s_xor_b32 s3, exec_lo, s7
; %bb.9:
	v_mov_b32_e32 v2, 0
; %bb.10:
	s_or_saveexec_b32 s3, s3
	v_lshrrev_b32_e32 v73, 5, v0
	v_and_b32_e32 v75, 31, v0
	v_and_b32_e32 v84, 1, v0
	v_bfe_u32 v83, v0, 4, 1
	s_lshl_b32 s31, s15, 3
	s_xor_b32 exec_lo, exec_lo, s3
	s_cbranch_execz .LBB545_12
; %bb.11:
	s_delay_alu instid0(VALU_DEP_1)
	v_lshl_or_b32 v7, v73, 1, v83
	s_load_b64 s[20:21], s[0:1], 0x0
	s_mul_hi_i32 s23, s17, s4
	s_mul_i32 s22, s17, s4
	v_lshlrev_b32_e32 v4, 1, v1
	v_or_b32_e32 v2, s31, v7
	s_lshl_b64 s[22:23], s[22:23], 1
	v_lshlrev_b32_e32 v7, 6, v7
	v_lshlrev_b32_e32 v8, 10, v84
	s_delay_alu instid0(VALU_DEP_3) | instskip(NEXT) | instid1(VALU_DEP_1)
	v_lshlrev_b32_e32 v2, 6, v2
	v_ashrrev_i32_e32 v3, 31, v2
	s_delay_alu instid0(VALU_DEP_1) | instskip(SKIP_3) | instid1(VALU_DEP_1)
	v_lshlrev_b64 v[2:3], 1, v[2:3]
	s_waitcnt lgkmcnt(0)
	s_add_u32 s4, s20, s22
	s_addc_u32 s7, s21, s23
	v_add_co_u32 v2, vcc_lo, s4, v2
	s_delay_alu instid0(VALU_DEP_2) | instskip(NEXT) | instid1(VALU_DEP_2)
	v_add_co_ci_u32_e32 v3, vcc_lo, s7, v3, vcc_lo
	v_add_co_u32 v2, vcc_lo, v2, v4
	s_delay_alu instid0(VALU_DEP_2) | instskip(SKIP_2) | instid1(VALU_DEP_1)
	v_add_co_ci_u32_e32 v3, vcc_lo, 0, v3, vcc_lo
	global_load_b128 v[3:6], v[2:3], off
	v_lshlrev_b32_e32 v2, 10, v74
	v_and_b32_e32 v2, 0x3800, v2
	s_delay_alu instid0(VALU_DEP_1)
	v_or3_b32 v7, v2, v8, v7
	v_mov_b32_e32 v2, 0
	s_waitcnt vmcnt(0)
	ds_store_b128 v7, v[3:6]
.LBB545_12:
	s_or_b32 exec_lo, exec_lo, s3
	v_and_b32_e32 v3, 0xef, v0
	s_add_i32 s3, s18, 31
	s_clause 0x1
	s_load_b32 s4, s[0:1], 0x38
	s_load_b32 s19, s[0:1], 0x1c
	s_ashr_i32 s7, s3, 31
	v_add_nc_u32_e32 v3, s16, v3
	s_lshr_b32 s7, s7, 27
	s_waitcnt lgkmcnt(0)
	s_add_i32 s3, s3, s7
	s_barrier
	v_ashrrev_i32_e32 v4, 31, v3
	v_cmp_gt_i32_e32 vcc_lo, s18, v3
	s_ashr_i32 s3, s3, 5
	buffer_gl0_inv
	s_add_i32 s3, s3, -1
	v_lshrrev_b32_e32 v5, 27, v4
	v_or_b32_e32 v4, 16, v3
	s_mul_i32 s6, s15, s6
	v_lshlrev_b64 v[81:82], 1, v[1:2]
	s_delay_alu instid0(VALU_DEP_3) | instskip(NEXT) | instid1(VALU_DEP_3)
	v_add_nc_u32_e32 v6, v3, v5
	v_add_nc_u32_e32 v5, v4, v5
	s_mul_i32 s20, s30, s4
	s_delay_alu instid0(SALU_CYCLE_1) | instskip(NEXT) | instid1(VALU_DEP_2)
	s_ashr_i32 s21, s20, 31
	v_ashrrev_i32_e32 v6, 5, v6
	s_delay_alu instid0(VALU_DEP_2) | instskip(SKIP_1) | instid1(SALU_CYCLE_1)
	v_ashrrev_i32_e32 v5, 5, v5
	s_lshl_b64 s[20:21], s[20:21], 2
	s_add_u32 s4, s12, s20
	s_delay_alu instid0(VALU_DEP_2) | instskip(SKIP_3) | instid1(SALU_CYCLE_1)
	v_cndmask_b32_e32 v3, s3, v6, vcc_lo
	v_cmp_gt_i32_e32 vcc_lo, s18, v4
	s_addc_u32 s17, s13, s21
	s_ashr_i32 s7, s6, 31
	s_lshl_b64 s[6:7], s[6:7], 1
	v_cndmask_b32_e32 v5, s3, v5, vcc_lo
	v_ashrrev_i32_e32 v4, 31, v3
	s_add_u32 s15, s8, s6
	s_addc_u32 s28, s9, s7
	s_lshl_b32 s8, s14, 3
	v_ashrrev_i32_e32 v6, 31, v5
	v_lshlrev_b64 v[3:4], 2, v[3:4]
	s_ashr_i32 s9, s8, 31
	s_delay_alu instid0(SALU_CYCLE_1) | instskip(NEXT) | instid1(VALU_DEP_2)
	s_lshl_b64 s[8:9], s[8:9], 2
	v_lshlrev_b64 v[5:6], 2, v[5:6]
	s_add_u32 s8, s4, s8
	s_delay_alu instid0(VALU_DEP_2) | instskip(SKIP_1) | instid1(VALU_DEP_3)
	v_add_co_u32 v3, vcc_lo, s4, v3
	v_add_co_ci_u32_e32 v4, vcc_lo, s17, v4, vcc_lo
	v_add_co_u32 v5, vcc_lo, s4, v5
	s_delay_alu instid0(VALU_DEP_4)
	v_add_co_ci_u32_e32 v6, vcc_lo, s17, v6, vcc_lo
	s_addc_u32 s9, s17, s9
	s_clause 0x1
	global_load_b32 v7, v[3:4], off
	global_load_b32 v8, v[5:6], off
	s_or_b32 s12, s16, 32
	s_delay_alu instid0(SALU_CYCLE_1) | instskip(SKIP_2) | instid1(SALU_CYCLE_1)
	s_ashr_i32 s13, s12, 5
	s_cmp_lt_i32 s12, s18
	s_cselect_b32 s12, s13, s3
	s_ashr_i32 s13, s12, 31
	s_delay_alu instid0(SALU_CYCLE_1) | instskip(NEXT) | instid1(SALU_CYCLE_1)
	s_lshl_b64 s[12:13], s[12:13], 2
	s_add_u32 s12, s4, s12
	s_addc_u32 s13, s17, s13
	s_or_b32 s20, s16, 64
	s_delay_alu instid0(SALU_CYCLE_1) | instskip(SKIP_2) | instid1(SALU_CYCLE_1)
	s_ashr_i32 s21, s20, 5
	s_cmp_lt_i32 s20, s18
	s_cselect_b32 s20, s21, s3
	s_ashr_i32 s21, s20, 31
	s_delay_alu instid0(SALU_CYCLE_1) | instskip(NEXT) | instid1(SALU_CYCLE_1)
	s_lshl_b64 s[20:21], s[20:21], 2
	s_add_u32 s20, s4, s20
	s_addc_u32 s21, s17, s21
	;; [unrolled: 10-line block ×5, first 2 shown]
	s_clause 0x5
	s_load_b32 s29, s[8:9], 0x0
	s_load_b32 s33, s[12:13], 0x0
	;; [unrolled: 1-line block ×6, first 2 shown]
	s_mov_b32 s20, 0
	s_or_b32 s8, s16, 0xc0
	s_mov_b32 s21, s20
	s_mov_b32 s22, s20
	;; [unrolled: 1-line block ×7, first 2 shown]
	s_ashr_i32 s9, s8, 5
	v_mov_b32_e32 v117, s27
	s_cmp_lt_i32 s8, s18
	v_mov_b32_e32 v116, s26
	s_cselect_b32 s8, s9, s3
	v_mov_b32_e32 v115, s25
	s_ashr_i32 s9, s8, 31
	v_dual_mov_b32 v114, s24 :: v_dual_mov_b32 v113, s23
	v_dual_mov_b32 v112, s22 :: v_dual_mov_b32 v111, s21
	s_lshl_b64 s[8:9], s[8:9], 2
	s_waitcnt lgkmcnt(0)
	s_mul_hi_i32 s13, s29, s5
	s_add_u32 s8, s4, s8
	s_addc_u32 s9, s17, s9
	s_mul_i32 s12, s29, s5
	v_mov_b32_e32 v110, s20
	s_mul_hi_i32 s21, s33, s5
	s_mul_i32 s20, s33, s5
	s_mul_hi_i32 s25, s34, s5
	s_mul_i32 s24, s34, s5
	;; [unrolled: 2-line block ×4, first 2 shown]
	s_waitcnt vmcnt(1)
	v_mad_i64_i32 v[3:4], null, v7, s5, 0
	s_waitcnt vmcnt(0)
	v_mad_i64_i32 v[5:6], null, v8, s5, 0
	s_delay_alu instid0(VALU_DEP_2) | instskip(NEXT) | instid1(VALU_DEP_2)
	v_lshlrev_b64 v[3:4], 1, v[3:4]
	v_lshlrev_b64 v[1:2], 1, v[5:6]
	s_delay_alu instid0(VALU_DEP_2) | instskip(NEXT) | instid1(VALU_DEP_3)
	v_add_co_u32 v3, vcc_lo, s15, v3
	v_add_co_ci_u32_e32 v4, vcc_lo, s28, v4, vcc_lo
	s_delay_alu instid0(VALU_DEP_3) | instskip(NEXT) | instid1(VALU_DEP_4)
	v_add_co_u32 v1, vcc_lo, s15, v1
	v_add_co_ci_u32_e32 v2, vcc_lo, s28, v2, vcc_lo
	s_delay_alu instid0(VALU_DEP_4) | instskip(NEXT) | instid1(VALU_DEP_4)
	v_add_co_u32 v41, vcc_lo, v3, v81
	v_add_co_ci_u32_e32 v42, vcc_lo, v4, v82, vcc_lo
	s_delay_alu instid0(VALU_DEP_4) | instskip(NEXT) | instid1(VALU_DEP_4)
	v_add_co_u32 v43, vcc_lo, v1, v81
	v_add_co_ci_u32_e32 v44, vcc_lo, v2, v82, vcc_lo
	s_clause 0xf
	global_load_b128 v[1:4], v[41:42], off
	global_load_b128 v[5:8], v[41:42], off offset:512
	global_load_b128 v[9:12], v[43:44], off offset:256
	;; [unrolled: 1-line block ×15, first 2 shown]
	v_and_b32_e32 v41, 7, v0
	s_or_b32 s15, s16, 0xe0
	s_delay_alu instid0(SALU_CYCLE_1) | instskip(SKIP_1) | instid1(VALU_DEP_1)
	s_ashr_i32 s22, s15, 5
	s_cmp_lt_i32 s15, s18
	v_lshlrev_b32_e32 v57, 6, v41
	ds_load_b128 v[41:44], v57
	ds_load_b128 v[45:48], v57 offset:1024
	ds_load_b128 v[49:52], v57 offset:2048
	;; [unrolled: 1-line block ×7, first 2 shown]
	s_cselect_b32 s22, s22, s3
	s_delay_alu instid0(SALU_CYCLE_1) | instskip(NEXT) | instid1(SALU_CYCLE_1)
	s_ashr_i32 s23, s22, 31
	s_lshl_b64 s[22:23], s[22:23], 2
	s_delay_alu instid0(SALU_CYCLE_1) | instskip(SKIP_2) | instid1(SALU_CYCLE_1)
	s_add_u32 s22, s4, s22
	s_addc_u32 s23, s17, s23
	s_add_i32 s15, s16, 0x100
	s_ashr_i32 s28, s15, 5
	s_cmp_lt_i32 s15, s18
	s_load_b32 s15, s[8:9], 0x0
	s_cselect_b32 s28, s28, s3
	s_mul_hi_i32 s9, s36, s5
	s_ashr_i32 s29, s28, 31
	s_mul_i32 s8, s36, s5
	s_lshl_b64 s[28:29], s[28:29], 2
	s_delay_alu instid0(SALU_CYCLE_1)
	s_add_u32 s28, s4, s28
	s_addc_u32 s29, s17, s29
	s_add_u32 s3, s10, s6
	s_clause 0x1
	s_load_b32 s4, s[22:23], 0x0
	s_load_b32 s17, s[28:29], 0x0
	s_addc_u32 s28, s11, s7
	s_lshl_b64 s[6:7], s[12:13], 1
	s_lshl_b64 s[10:11], s[20:21], 1
	;; [unrolled: 1-line block ×6, first 2 shown]
	s_waitcnt lgkmcnt(0)
	s_mul_hi_i32 s25, s15, s5
	s_mul_i32 s24, s15, s5
	s_waitcnt vmcnt(14)
	v_wmma_f32_16x16x16_bf16 v[134:141], v[1:8], v[41:48], v[110:117]
	s_waitcnt vmcnt(12)
	v_wmma_f32_16x16x16_bf16 v[110:117], v[9:16], v[41:48], v[110:117]
	s_waitcnt vmcnt(10)
	s_delay_alu instid0(VALU_DEP_2) | instskip(SKIP_1) | instid1(VALU_DEP_2)
	v_wmma_f32_16x16x16_bf16 v[134:141], v[17:24], v[49:56], v[134:141]
	s_waitcnt vmcnt(8)
	v_wmma_f32_16x16x16_bf16 v[110:117], v[25:32], v[49:56], v[110:117]
	s_waitcnt vmcnt(6)
	s_delay_alu instid0(VALU_DEP_2) | instskip(SKIP_1) | instid1(VALU_DEP_2)
	v_wmma_f32_16x16x16_bf16 v[134:141], v[33:40], v[118:125], v[134:141]
	s_waitcnt vmcnt(4)
	v_wmma_f32_16x16x16_bf16 v[110:117], v[86:93], v[118:125], v[110:117]
	s_waitcnt vmcnt(2)
	s_delay_alu instid0(VALU_DEP_2) | instskip(SKIP_3) | instid1(VALU_DEP_3)
	v_wmma_f32_16x16x16_bf16 v[134:141], v[94:101], v[126:133], v[134:141]
	v_lshlrev_b32_e32 v85, 6, v74
	s_waitcnt vmcnt(0)
	v_wmma_f32_16x16x16_bf16 v[110:117], v[102:109], v[126:133], v[110:117]
	v_mul_f32_e32 v100, s19, v141
	s_delay_alu instid0(VALU_DEP_3) | instskip(SKIP_2) | instid1(VALU_DEP_3)
	v_lshl_or_b32 v58, v73, 10, v85
	v_mul_f32_e32 v97, s19, v134
	v_mul_f32_e32 v99, s19, v135
	v_add_co_u32 v76, s3, s3, v58
	s_delay_alu instid0(VALU_DEP_1) | instskip(NEXT) | instid1(VALU_DEP_2)
	v_add_co_ci_u32_e64 v77, null, s28, 0, s3
	v_add_co_u32 v57, vcc_lo, v76, s6
	s_delay_alu instid0(VALU_DEP_2)
	v_add_co_ci_u32_e32 v58, vcc_lo, s7, v77, vcc_lo
	v_add_co_u32 v1, vcc_lo, v76, s10
	v_add_co_ci_u32_e32 v2, vcc_lo, s11, v77, vcc_lo
	v_add_co_u32 v3, vcc_lo, v76, s12
	;; [unrolled: 2-line block ×4, first 2 shown]
	v_add_co_ci_u32_e32 v8, vcc_lo, s9, v77, vcc_lo
	s_clause 0x9
	global_load_b128 v[65:68], v[57:58], off
	global_load_b128 v[69:72], v[57:58], off offset:16
	global_load_b128 v[57:60], v[1:2], off
	global_load_b128 v[61:64], v[1:2], off offset:16
	global_load_b128 v[49:52], v[3:4], off
	global_load_b128 v[53:56], v[3:4], off offset:16
	global_load_b128 v[41:44], v[5:6], off
	global_load_b128 v[45:48], v[5:6], off offset:16
	global_load_b128 v[9:12], v[7:8], off
	global_load_b128 v[13:16], v[7:8], off offset:16
	v_add_co_u32 v5, vcc_lo, v76, s22
	s_lshl_b64 s[6:7], s[24:25], 1
	v_add_co_ci_u32_e32 v6, vcc_lo, s23, v77, vcc_lo
	s_mul_hi_i32 s9, s4, s5
	s_mul_i32 s8, s4, s5
	v_add_co_u32 v17, vcc_lo, v76, s6
	v_add_co_ci_u32_e32 v18, vcc_lo, s7, v77, vcc_lo
	s_lshl_b64 s[6:7], s[8:9], 1
	s_mul_hi_i32 s9, s17, s5
	s_mul_i32 s8, s17, s5
	v_add_co_u32 v19, vcc_lo, v76, s6
	s_lshl_b64 s[4:5], s[8:9], 1
	v_add_co_ci_u32_e32 v20, vcc_lo, s7, v77, vcc_lo
	v_add_co_u32 v21, vcc_lo, v76, s4
	v_add_co_ci_u32_e32 v22, vcc_lo, s5, v77, vcc_lo
	s_clause 0x7
	global_load_b128 v[1:4], v[5:6], off
	global_load_b128 v[5:8], v[5:6], off offset:16
	global_load_b128 v[33:36], v[17:18], off
	global_load_b128 v[37:40], v[17:18], off offset:16
	;; [unrolled: 2-line block ×4, first 2 shown]
	v_and_b32_e32 v76, 0xe0, v0
	v_mbcnt_lo_u32_b32 v77, -1, 0
	s_waitcnt vmcnt(0)
	s_barrier
	buffer_gl0_inv
	v_add_nc_u32_e32 v76, s16, v76
	v_xor_b32_e32 v78, 16, v77
	s_delay_alu instid0(VALU_DEP_2) | instskip(NEXT) | instid1(VALU_DEP_2)
	v_or_b32_e32 v76, v76, v83
	v_cmp_gt_i32_e32 vcc_lo, 32, v78
	s_delay_alu instid0(VALU_DEP_2)
	v_or_b32_e32 v79, 4, v76
	v_cndmask_b32_e32 v77, v77, v78, vcc_lo
	v_or_b32_e32 v78, 2, v76
	v_or_b32_e32 v80, 6, v76
	;; [unrolled: 1-line block ×3, first 2 shown]
	v_cmp_gt_i32_e32 vcc_lo, s18, v76
	v_or_b32_e32 v87, 10, v76
	v_cmp_gt_i32_e64 s3, s18, v78
	v_or_b32_e32 v88, 12, v76
	v_or_b32_e32 v89, 14, v76
	;; [unrolled: 1-line block ×10, first 2 shown]
	v_cndmask_b32_e64 v78, 0xff7fffff, v99, s3
	v_mul_f32_e32 v99, s19, v137
	v_cmp_gt_i32_e64 s4, s18, v80
	v_mul_f32_e32 v80, s19, v136
	v_cmp_gt_i32_e64 s5, s18, v79
	v_cmp_gt_i32_e64 s6, s18, v86
	v_mul_f32_e32 v86, s19, v116
	v_cndmask_b32_e32 v76, 0xff7fffff, v97, vcc_lo
	v_mul_f32_e32 v79, s19, v139
	v_cndmask_b32_e64 v80, 0xff7fffff, v80, s5
	v_cndmask_b32_e64 v99, 0xff7fffff, v99, s4
	v_cmp_gt_i32_e64 s7, s18, v87
	v_max3_f32 v76, v76, 0xff7fffff, v78
	v_dual_mul_f32 v78, s19, v138 :: v_dual_mul_f32 v97, s19, v140
	v_cmp_gt_i32_e64 s8, s18, v89
	s_delay_alu instid0(VALU_DEP_4) | instskip(NEXT) | instid1(VALU_DEP_4)
	v_cndmask_b32_e64 v79, 0xff7fffff, v79, s7
	v_max3_f32 v76, v76, v80, v99
	s_delay_alu instid0(VALU_DEP_4) | instskip(SKIP_3) | instid1(VALU_DEP_4)
	v_cndmask_b32_e64 v78, 0xff7fffff, v78, s6
	v_cmp_gt_i32_e64 s9, s18, v88
	v_dual_mul_f32 v88, s19, v111 :: v_dual_mul_f32 v89, s19, v110
	v_cndmask_b32_e64 v100, 0xff7fffff, v100, s8
	v_max3_f32 v76, v76, v78, v79
	s_delay_alu instid0(VALU_DEP_4) | instskip(SKIP_3) | instid1(VALU_DEP_4)
	v_cndmask_b32_e64 v97, 0xff7fffff, v97, s9
	v_cmp_gt_i32_e64 s10, s18, v90
	v_cmp_gt_i32_e64 s11, s18, v91
	v_dual_mul_f32 v78, s19, v113 :: v_dual_mul_f32 v79, s19, v112
	v_max3_f32 v76, v76, v97, v100
	s_delay_alu instid0(VALU_DEP_4) | instskip(NEXT) | instid1(VALU_DEP_4)
	v_cndmask_b32_e64 v89, 0xff7fffff, v89, s10
	v_cndmask_b32_e64 v88, 0xff7fffff, v88, s11
	v_cmp_gt_i32_e64 s12, s18, v92
	v_cmp_gt_i32_e64 s13, s18, v93
	v_mul_f32_e32 v87, s19, v115
	v_mul_f32_e32 v99, s19, v114
	v_max3_f32 v76, v76, v89, v88
	v_cndmask_b32_e64 v79, 0xff7fffff, v79, s12
	v_cndmask_b32_e64 v78, 0xff7fffff, v78, s13
	v_cmp_gt_i32_e64 s15, s18, v94
	v_cmp_gt_i32_e64 s16, s18, v95
	v_mul_f32_e32 v80, s19, v117
	v_cmp_gt_i32_e64 s17, s18, v96
	v_max3_f32 v76, v76, v79, v78
	v_cndmask_b32_e64 v88, 0xff7fffff, v99, s15
	v_cndmask_b32_e64 v87, 0xff7fffff, v87, s16
	v_cmp_gt_i32_e64 s18, s18, v98
	v_cndmask_b32_e64 v78, 0xff7fffff, v86, s17
	v_lshlrev_b32_e32 v99, 2, v77
	s_delay_alu instid0(VALU_DEP_4) | instskip(NEXT) | instid1(VALU_DEP_4)
	v_max3_f32 v76, v76, v88, v87
	v_cndmask_b32_e64 v79, 0xff7fffff, v80, s18
	s_delay_alu instid0(VALU_DEP_1) | instskip(SKIP_3) | instid1(VALU_DEP_1)
	v_max3_f32 v76, v76, v78, v79
	ds_bpermute_b32 v77, v99, v76
	s_waitcnt lgkmcnt(0)
	v_max_f32_e32 v77, v77, v77
	v_max_f32_e32 v89, v76, v77
	s_delay_alu instid0(VALU_DEP_1)
	v_fma_f32 v78, s19, v136, -v89
	v_fma_f32 v76, s19, v134, -v89
	;; [unrolled: 1-line block ×5, first 2 shown]
	v_mul_f32_e32 v78, 0x3fb8aa3b, v78
	v_mul_f32_e32 v76, 0x3fb8aa3b, v76
	s_delay_alu instid0(VALU_DEP_4) | instskip(SKIP_1) | instid1(VALU_DEP_4)
	v_dual_mul_f32 v86, 0x3fb8aa3b, v86 :: v_dual_mul_f32 v77, 0x3fb8aa3b, v77
	v_fma_f32 v80, s19, v138, -v89
	v_exp_f32_e32 v78, v78
	s_delay_alu instid0(VALU_DEP_3) | instskip(NEXT) | instid1(VALU_DEP_2)
	v_exp_f32_e32 v76, v76
	v_exp_f32_e32 v86, v86
	;; [unrolled: 1-line block ×3, first 2 shown]
	v_mul_f32_e32 v80, 0x3fb8aa3b, v80
	s_delay_alu instid0(VALU_DEP_1) | instskip(SKIP_2) | instid1(TRANS32_DEP_3)
	v_exp_f32_e32 v80, v80
	v_cndmask_b32_e64 v92, 0, v78, s5
	v_fma_f32 v78, s19, v141, -v89
	v_cndmask_b32_e64 v93, 0, v86, s9
	v_mul_f32_e32 v79, 0x3fb8aa3b, v79
	s_delay_alu instid0(TRANS32_DEP_2) | instskip(SKIP_2) | instid1(VALU_DEP_3)
	v_cndmask_b32_e64 v90, 0, v77, s3
	s_mov_b32 s3, exec_lo
	v_mul_f32_e32 v78, 0x3fb8aa3b, v78
	v_exp_f32_e32 v79, v79
	s_delay_alu instid0(TRANS32_DEP_2) | instskip(SKIP_1) | instid1(VALU_DEP_3)
	v_cndmask_b32_e64 v95, 0, v80, s6
	v_fma_f32 v80, s19, v111, -v89
	v_exp_f32_e32 v78, v78
	s_delay_alu instid0(VALU_DEP_1)
	v_mul_f32_e32 v80, 0x3fb8aa3b, v80
	s_waitcnt_depctr 0xfff
	v_cndmask_b32_e64 v94, 0, v79, s4
	v_fma_f32 v79, s19, v110, -v89
	v_exp_f32_e32 v80, v80
	v_cndmask_b32_e64 v97, 0, v78, s8
	v_cndmask_b32_e32 v91, 0, v76, vcc_lo
	v_fma_f32 v76, s19, v139, -v89
	s_delay_alu instid0(VALU_DEP_1) | instskip(NEXT) | instid1(VALU_DEP_1)
	v_dual_add_f32 v77, 0, v91 :: v_dual_mul_f32 v76, 0x3fb8aa3b, v76
	v_add_f32_e32 v77, v77, v90
	s_delay_alu instid0(VALU_DEP_2) | instskip(NEXT) | instid1(VALU_DEP_1)
	v_exp_f32_e32 v76, v76
	v_add_f32_e32 v77, v77, v92
	s_delay_alu instid0(VALU_DEP_1) | instskip(SKIP_4) | instid1(VALU_DEP_1)
	v_add_f32_e32 v77, v77, v94
	s_waitcnt_depctr 0xfff
	v_cndmask_b32_e64 v96, 0, v76, s7
	v_add_f32_e32 v76, v77, v95
	v_fma_f32 v77, s19, v112, -v89
	v_dual_add_f32 v76, v76, v96 :: v_dual_mul_f32 v77, 0x3fb8aa3b, v77
	s_delay_alu instid0(VALU_DEP_1) | instskip(NEXT) | instid1(VALU_DEP_2)
	v_add_f32_e32 v78, v76, v93
	v_exp_f32_e32 v88, v77
	v_cndmask_b32_e64 v77, 0, v80, s11
	s_delay_alu instid0(VALU_DEP_2) | instskip(NEXT) | instid1(VALU_DEP_1)
	v_dual_mul_f32 v79, 0x3fb8aa3b, v79 :: v_dual_add_f32 v78, v78, v97
	v_exp_f32_e32 v79, v79
	s_waitcnt_depctr 0xfff
	v_cndmask_b32_e64 v76, 0, v79, s10
	s_delay_alu instid0(VALU_DEP_1)
	v_add_f32_e32 v80, v78, v76
	v_fma_f32 v86, s19, v113, -v89
	v_fma_f32 v87, s19, v114, -v89
	;; [unrolled: 1-line block ×4, first 2 shown]
	v_add_f32_e32 v80, v80, v77
	s_delay_alu instid0(VALU_DEP_4) | instskip(NEXT) | instid1(VALU_DEP_4)
	v_dual_mul_f32 v86, 0x3fb8aa3b, v86 :: v_dual_mul_f32 v87, 0x3fb8aa3b, v87
	v_mul_f32_e32 v79, 0x3fb8aa3b, v79
	v_cndmask_b32_e64 v78, 0, v88, s12
	v_mul_f32_e32 v88, 0x3fb8aa3b, v98
	s_delay_alu instid0(VALU_DEP_4) | instskip(SKIP_4) | instid1(VALU_DEP_1)
	v_exp_f32_e32 v86, v86
	v_exp_f32_e32 v87, v87
	;; [unrolled: 1-line block ×3, first 2 shown]
	v_fma_f32 v100, s19, v117, -v89
	v_exp_f32_e32 v88, v88
	v_mul_f32_e32 v100, 0x3fb8aa3b, v100
	v_cndmask_b32_e64 v79, 0, v86, s13
	v_add_f32_e32 v86, v80, v78
	s_delay_alu instid0(TRANS32_DEP_3) | instskip(NEXT) | instid1(VALU_DEP_4)
	v_cndmask_b32_e64 v80, 0, v87, s15
	v_exp_f32_e32 v100, v100
	s_delay_alu instid0(VALU_DEP_2) | instskip(NEXT) | instid1(TRANS32_DEP_3)
	v_add_f32_e32 v87, v86, v79
	v_cndmask_b32_e64 v86, 0, v98, s16
	s_delay_alu instid0(VALU_DEP_2) | instskip(NEXT) | instid1(TRANS32_DEP_2)
	v_add_f32_e32 v98, v87, v80
	v_cndmask_b32_e64 v87, 0, v88, s17
	s_delay_alu instid0(VALU_DEP_2) | instskip(NEXT) | instid1(VALU_DEP_1)
	v_add_f32_e32 v88, v98, v86
	v_add_f32_e32 v98, v88, v87
	s_delay_alu instid0(TRANS32_DEP_1) | instskip(NEXT) | instid1(VALU_DEP_1)
	v_cndmask_b32_e64 v88, 0, v100, s18
	v_add_f32_e32 v98, v98, v88
	ds_bpermute_b32 v99, v99, v98
	v_cmpx_gt_u32_e32 16, v75
	s_cbranch_execz .LBB545_14
; %bb.13:
	v_mul_u32_u24_e32 v75, 0x44, v73
	s_waitcnt lgkmcnt(0)
	v_add_f32_e32 v98, v98, v99
	s_delay_alu instid0(VALU_DEP_2) | instskip(NEXT) | instid1(VALU_DEP_1)
	v_lshl_add_u32 v75, v74, 2, v75
	v_add_nc_u32_e32 v75, 0x4000, v75
	ds_store_2addr_b32 v75, v89, v98 offset1:136
.LBB545_14:
	s_or_b32 exec_lo, exec_lo, s3
	v_lshlrev_b32_e32 v74, 2, v74
	s_waitcnt lgkmcnt(0)
	s_barrier
	buffer_gl0_inv
	v_cmp_eq_u32_e64 s3, 1, v73
	v_add_nc_u32_e32 v89, 0x4000, v74
	ds_load_2addr_b32 v[98:99], v89 offset1:17
	ds_load_2addr_b32 v[100:101], v89 offset0:34 offset1:51
	ds_load_2addr_b32 v[102:103], v89 offset0:68 offset1:85
	;; [unrolled: 1-line block ×4, first 2 shown]
	s_waitcnt lgkmcnt(4)
	v_max3_f32 v74, v98, 0xff7fffff, v99
	s_waitcnt lgkmcnt(3)
	s_delay_alu instid0(VALU_DEP_1) | instskip(SKIP_1) | instid1(VALU_DEP_1)
	v_max3_f32 v74, v74, v100, v101
	s_waitcnt lgkmcnt(2)
	v_max3_f32 v74, v74, v102, v103
	s_waitcnt lgkmcnt(1)
	s_delay_alu instid0(VALU_DEP_1) | instskip(NEXT) | instid1(VALU_DEP_1)
	v_max3_f32 v74, v74, v104, v105
	v_sub_f32_e32 v108, v99, v74
	v_sub_f32_e32 v75, v98, v74
	ds_load_2addr_b32 v[98:99], v89 offset0:170 offset1:187
	v_sub_f32_e32 v100, v100, v74
	v_dual_mul_f32 v108, 0x3fb8aa3b, v108 :: v_dual_mul_f32 v75, 0x3fb8aa3b, v75
	s_delay_alu instid0(VALU_DEP_2) | instskip(NEXT) | instid1(VALU_DEP_2)
	v_mul_f32_e32 v110, 0x3fb8aa3b, v100
	v_exp_f32_e32 v108, v108
	s_delay_alu instid0(VALU_DEP_2)
	v_exp_f32_e32 v109, v75
	v_sub_f32_e32 v75, v101, v74
	ds_load_2addr_b32 v[100:101], v89 offset0:204 offset1:221
	v_exp_f32_e32 v110, v110
	v_mul_f32_e32 v111, 0x3fb8aa3b, v75
	s_waitcnt lgkmcnt(2)
	v_fma_f32 v75, v109, v106, 0
	v_sub_f32_e32 v102, v102, v74
	s_delay_alu instid0(VALU_DEP_3) | instskip(NEXT) | instid1(VALU_DEP_2)
	v_exp_f32_e32 v111, v111
	v_dual_sub_f32 v106, v103, v74 :: v_dual_fmac_f32 v75, v108, v107
	s_waitcnt lgkmcnt(1)
	s_waitcnt_depctr 0xfff
	v_fmac_f32_e32 v75, v110, v98
	v_mul_f32_e32 v112, 0x3fb8aa3b, v102
	ds_load_2addr_b32 v[102:103], v89 offset0:238 offset1:255
	v_sub_f32_e32 v89, v104, v74
	v_dual_sub_f32 v98, v105, v74 :: v_dual_fmac_f32 v75, v111, v99
	v_mul_f32_e32 v104, 0x3fb8aa3b, v106
	v_exp_f32_e32 v106, v112
	s_delay_alu instid0(VALU_DEP_2)
	v_dual_mul_f32 v89, 0x3fb8aa3b, v89 :: v_dual_mul_f32 v98, 0x3fb8aa3b, v98
	s_waitcnt lgkmcnt(0)
	s_barrier
	buffer_gl0_inv
	v_exp_f32_e32 v89, v89
	v_exp_f32_e32 v98, v98
	v_fmac_f32_e32 v75, v106, v100
	v_exp_f32_e32 v104, v104
	s_waitcnt_depctr 0xfff
	v_fmac_f32_e32 v75, v104, v101
	s_delay_alu instid0(VALU_DEP_1) | instskip(NEXT) | instid1(VALU_DEP_1)
	v_fmac_f32_e32 v75, v89, v102
	v_fmac_f32_e32 v75, v98, v103
	s_delay_alu instid0(VALU_DEP_1) | instskip(NEXT) | instid1(VALU_DEP_1)
	v_add_f32_e32 v99, 0x358637bd, v75
	v_div_scale_f32 v100, null, v99, v99, 1.0
	v_div_scale_f32 v103, vcc_lo, 1.0, v99, 1.0
	s_delay_alu instid0(VALU_DEP_2) | instskip(SKIP_2) | instid1(VALU_DEP_1)
	v_rcp_f32_e32 v101, v100
	s_waitcnt_depctr 0xfff
	v_fma_f32 v102, -v100, v101, 1.0
	v_fmac_f32_e32 v101, v102, v101
	v_cndmask_b32_e64 v102, v109, v108, s3
	v_cmp_eq_u32_e64 s3, 2, v73
	s_delay_alu instid0(VALU_DEP_3) | instskip(NEXT) | instid1(VALU_DEP_2)
	v_mul_f32_e32 v105, v103, v101
	v_cndmask_b32_e64 v102, v102, v110, s3
	v_cmp_eq_u32_e64 s3, 3, v73
	s_delay_alu instid0(VALU_DEP_3) | instskip(NEXT) | instid1(VALU_DEP_2)
	v_fma_f32 v107, -v100, v105, v103
	v_cndmask_b32_e64 v102, v102, v111, s3
	v_cmp_eq_u32_e64 s3, 4, v73
	s_delay_alu instid0(VALU_DEP_3) | instskip(NEXT) | instid1(VALU_DEP_2)
	v_fmac_f32_e32 v105, v107, v101
	v_cndmask_b32_e64 v102, v102, v106, s3
	s_delay_alu instid0(VALU_DEP_2) | instskip(SKIP_1) | instid1(VALU_DEP_2)
	v_fma_f32 v100, -v100, v105, v103
	v_cmp_eq_u32_e64 s3, 5, v73
	v_div_fmas_f32 v100, v100, v101, v105
	s_delay_alu instid0(VALU_DEP_2) | instskip(SKIP_2) | instid1(VALU_DEP_3)
	v_cndmask_b32_e64 v102, v102, v104, s3
	v_cmp_eq_u32_e32 vcc_lo, 6, v73
	s_mov_b32 s3, exec_lo
	v_div_fixup_f32 v99, v100, v99, 1.0
	s_delay_alu instid0(VALU_DEP_3) | instskip(SKIP_1) | instid1(VALU_DEP_2)
	v_cndmask_b32_e32 v89, v102, v89, vcc_lo
	v_cmp_eq_u32_e32 vcc_lo, 7, v73
	v_cndmask_b32_e32 v89, v89, v98, vcc_lo
	s_delay_alu instid0(VALU_DEP_1) | instskip(NEXT) | instid1(VALU_DEP_1)
	v_mul_f32_e32 v89, v89, v99
	v_mul_f32_e32 v99, v89, v91
	;; [unrolled: 1-line block ×6, first 2 shown]
	v_and_b32_e32 v100, 0x7f800000, v99
	v_mul_f32_e32 v98, v89, v94
	v_mul_f32_e32 v94, v89, v90
	;; [unrolled: 1-line block ×3, first 2 shown]
                                        ; implicit-def: $vgpr90
	s_delay_alu instid0(VALU_DEP_4)
	v_cmpx_ne_u32_e32 0x7f800000, v100
	s_xor_b32 s3, exec_lo, s3
; %bb.15:
	v_bfe_u32 v90, v99, 16, 1
	s_delay_alu instid0(VALU_DEP_1)
	v_add3_u32 v90, v99, v90, 0x7fff
                                        ; implicit-def: $vgpr99
; %bb.16:
	s_and_not1_saveexec_b32 s3, s3
; %bb.17:
	v_and_b32_e32 v90, 0xffff, v99
	v_or_b32_e32 v92, 0x10000, v99
	s_delay_alu instid0(VALU_DEP_2) | instskip(NEXT) | instid1(VALU_DEP_2)
	v_cmp_eq_u32_e32 vcc_lo, 0, v90
	v_cndmask_b32_e32 v90, v92, v99, vcc_lo
; %bb.18:
	s_or_b32 exec_lo, exec_lo, s3
	v_and_b32_e32 v92, 0x7f800000, v94
	s_delay_alu instid0(VALU_DEP_1) | instskip(SKIP_1) | instid1(SALU_CYCLE_1)
	v_cmp_ne_u32_e32 vcc_lo, 0x7f800000, v92
                                        ; implicit-def: $vgpr92
	s_and_saveexec_b32 s3, vcc_lo
	s_xor_b32 s3, exec_lo, s3
; %bb.19:
	v_bfe_u32 v92, v94, 16, 1
	s_delay_alu instid0(VALU_DEP_1)
	v_add3_u32 v92, v94, v92, 0x7fff
                                        ; implicit-def: $vgpr94
; %bb.20:
	s_and_not1_saveexec_b32 s3, s3
; %bb.21:
	v_and_b32_e32 v92, 0xffff, v94
	v_or_b32_e32 v99, 0x10000, v94
	s_delay_alu instid0(VALU_DEP_2) | instskip(NEXT) | instid1(VALU_DEP_2)
	v_cmp_eq_u32_e32 vcc_lo, 0, v92
	v_cndmask_b32_e32 v92, v99, v94, vcc_lo
; %bb.22:
	s_or_b32 exec_lo, exec_lo, s3
	v_and_b32_e32 v94, 0x7f800000, v95
	s_delay_alu instid0(VALU_DEP_1) | instskip(SKIP_1) | instid1(SALU_CYCLE_1)
	v_cmp_ne_u32_e32 vcc_lo, 0x7f800000, v94
                                        ; implicit-def: $vgpr94
	s_and_saveexec_b32 s3, vcc_lo
	s_xor_b32 s3, exec_lo, s3
; %bb.23:
	v_bfe_u32 v94, v95, 16, 1
	s_delay_alu instid0(VALU_DEP_1)
	v_add3_u32 v94, v95, v94, 0x7fff
                                        ; implicit-def: $vgpr95
; %bb.24:
	s_and_not1_saveexec_b32 s3, s3
; %bb.25:
	v_and_b32_e32 v94, 0xffff, v95
	v_or_b32_e32 v99, 0x10000, v95
	s_delay_alu instid0(VALU_DEP_2) | instskip(NEXT) | instid1(VALU_DEP_2)
	v_cmp_eq_u32_e32 vcc_lo, 0, v94
	v_cndmask_b32_e32 v94, v99, v95, vcc_lo
; %bb.26:
	s_or_b32 exec_lo, exec_lo, s3
	v_and_b32_e32 v95, 0x7f800000, v98
	s_delay_alu instid0(VALU_DEP_1) | instskip(SKIP_1) | instid1(SALU_CYCLE_1)
	v_cmp_ne_u32_e32 vcc_lo, 0x7f800000, v95
                                        ; implicit-def: $vgpr95
	s_and_saveexec_b32 s3, vcc_lo
	s_xor_b32 s3, exec_lo, s3
; %bb.27:
	v_bfe_u32 v95, v98, 16, 1
	s_delay_alu instid0(VALU_DEP_1)
	v_add3_u32 v95, v98, v95, 0x7fff
                                        ; implicit-def: $vgpr98
; %bb.28:
	s_and_not1_saveexec_b32 s3, s3
; %bb.29:
	v_and_b32_e32 v95, 0xffff, v98
	v_or_b32_e32 v99, 0x10000, v98
	s_delay_alu instid0(VALU_DEP_2) | instskip(NEXT) | instid1(VALU_DEP_2)
	v_cmp_eq_u32_e32 vcc_lo, 0, v95
	v_cndmask_b32_e32 v95, v99, v98, vcc_lo
; %bb.30:
	s_or_b32 exec_lo, exec_lo, s3
	v_and_b32_e32 v98, 0x7f800000, v97
	s_delay_alu instid0(VALU_DEP_1) | instskip(SKIP_1) | instid1(SALU_CYCLE_1)
	v_cmp_ne_u32_e32 vcc_lo, 0x7f800000, v98
                                        ; implicit-def: $vgpr98
	s_and_saveexec_b32 s3, vcc_lo
	s_xor_b32 s3, exec_lo, s3
; %bb.31:
	v_bfe_u32 v98, v97, 16, 1
	s_delay_alu instid0(VALU_DEP_1)
	v_add3_u32 v98, v97, v98, 0x7fff
                                        ; implicit-def: $vgpr97
; %bb.32:
	s_and_not1_saveexec_b32 s3, s3
; %bb.33:
	v_and_b32_e32 v98, 0xffff, v97
	v_or_b32_e32 v99, 0x10000, v97
	s_delay_alu instid0(VALU_DEP_2) | instskip(NEXT) | instid1(VALU_DEP_2)
	v_cmp_eq_u32_e32 vcc_lo, 0, v98
	v_cndmask_b32_e32 v98, v99, v97, vcc_lo
; %bb.34:
	s_or_b32 exec_lo, exec_lo, s3
	v_and_b32_e32 v97, 0x7f800000, v96
	s_delay_alu instid0(VALU_DEP_1) | instskip(SKIP_1) | instid1(SALU_CYCLE_1)
	v_cmp_ne_u32_e32 vcc_lo, 0x7f800000, v97
                                        ; implicit-def: $vgpr97
	s_and_saveexec_b32 s3, vcc_lo
	s_xor_b32 s3, exec_lo, s3
; %bb.35:
	v_bfe_u32 v97, v96, 16, 1
	s_delay_alu instid0(VALU_DEP_1)
	v_add3_u32 v97, v96, v97, 0x7fff
                                        ; implicit-def: $vgpr96
; %bb.36:
	s_and_not1_saveexec_b32 s3, s3
; %bb.37:
	v_and_b32_e32 v97, 0xffff, v96
	v_or_b32_e32 v99, 0x10000, v96
	s_delay_alu instid0(VALU_DEP_2) | instskip(NEXT) | instid1(VALU_DEP_2)
	v_cmp_eq_u32_e32 vcc_lo, 0, v97
	v_cndmask_b32_e32 v97, v99, v96, vcc_lo
; %bb.38:
	s_or_b32 exec_lo, exec_lo, s3
	v_and_b32_e32 v96, 0x7f800000, v93
	s_delay_alu instid0(VALU_DEP_1) | instskip(SKIP_1) | instid1(SALU_CYCLE_1)
	v_cmp_ne_u32_e32 vcc_lo, 0x7f800000, v96
                                        ; implicit-def: $vgpr96
	s_and_saveexec_b32 s3, vcc_lo
	s_xor_b32 s3, exec_lo, s3
; %bb.39:
	v_bfe_u32 v96, v93, 16, 1
	s_delay_alu instid0(VALU_DEP_1)
	v_add3_u32 v96, v93, v96, 0x7fff
                                        ; implicit-def: $vgpr93
; %bb.40:
	s_and_not1_saveexec_b32 s3, s3
; %bb.41:
	v_and_b32_e32 v96, 0xffff, v93
	v_or_b32_e32 v99, 0x10000, v93
	s_delay_alu instid0(VALU_DEP_2) | instskip(NEXT) | instid1(VALU_DEP_2)
	v_cmp_eq_u32_e32 vcc_lo, 0, v96
	v_cndmask_b32_e32 v96, v99, v93, vcc_lo
; %bb.42:
	s_or_b32 exec_lo, exec_lo, s3
	v_and_b32_e32 v93, 0x7f800000, v91
	s_delay_alu instid0(VALU_DEP_1) | instskip(SKIP_1) | instid1(SALU_CYCLE_1)
	v_cmp_ne_u32_e32 vcc_lo, 0x7f800000, v93
                                        ; implicit-def: $vgpr93
	s_and_saveexec_b32 s3, vcc_lo
	s_xor_b32 s3, exec_lo, s3
; %bb.43:
	v_bfe_u32 v93, v91, 16, 1
	s_delay_alu instid0(VALU_DEP_1)
	v_add3_u32 v93, v91, v93, 0x7fff
                                        ; implicit-def: $vgpr91
; %bb.44:
	s_and_not1_saveexec_b32 s3, s3
; %bb.45:
	v_and_b32_e32 v93, 0xffff, v91
	v_or_b32_e32 v99, 0x10000, v91
	s_delay_alu instid0(VALU_DEP_2) | instskip(NEXT) | instid1(VALU_DEP_2)
	v_cmp_eq_u32_e32 vcc_lo, 0, v93
	v_cndmask_b32_e32 v93, v99, v91, vcc_lo
; %bb.46:
	s_or_b32 exec_lo, exec_lo, s3
	s_load_b64 s[34:35], s[0:1], 0x94
	v_lshlrev_b32_e32 v91, 4, v83
	s_delay_alu instid0(VALU_DEP_2)
	v_perm_b32 v99, v93, v96, 0x7060302
	v_dual_mul_f32 v88, v89, v88 :: v_dual_lshlrev_b32 v93, 11, v73
	v_perm_b32 v96, v92, v90, 0x7060302
	v_mul_f32_e32 v92, v89, v76
	v_perm_b32 v98, v97, v98, 0x7060302
	v_perm_b32 v97, v95, v94, 0x7060302
	v_or3_b32 v76, v91, v93, v85
	v_mul_f32_e32 v87, v89, v87
	v_dual_mul_f32 v86, v89, v86 :: v_dual_and_b32 v93, 0x7f800000, v92
	v_mul_f32_e32 v80, v89, v80
	v_mul_f32_e32 v90, v89, v79
	;; [unrolled: 1-line block ×4, first 2 shown]
	s_mov_b32 s3, exec_lo
	ds_store_b128 v76, v[96:99]
                                        ; implicit-def: $vgpr77
	v_cmpx_ne_u32_e32 0x7f800000, v93
	s_xor_b32 s3, exec_lo, s3
; %bb.47:
	v_bfe_u32 v77, v92, 16, 1
	s_delay_alu instid0(VALU_DEP_1)
	v_add3_u32 v77, v92, v77, 0x7fff
                                        ; implicit-def: $vgpr92
; %bb.48:
	s_and_not1_saveexec_b32 s3, s3
; %bb.49:
	v_and_b32_e32 v77, 0xffff, v92
	v_or_b32_e32 v78, 0x10000, v92
	s_delay_alu instid0(VALU_DEP_2) | instskip(NEXT) | instid1(VALU_DEP_2)
	v_cmp_eq_u32_e32 vcc_lo, 0, v77
	v_cndmask_b32_e32 v77, v78, v92, vcc_lo
; %bb.50:
	s_or_b32 exec_lo, exec_lo, s3
	v_and_b32_e32 v78, 0x7f800000, v79
	s_delay_alu instid0(VALU_DEP_1) | instskip(SKIP_1) | instid1(SALU_CYCLE_1)
	v_cmp_ne_u32_e32 vcc_lo, 0x7f800000, v78
                                        ; implicit-def: $vgpr78
	s_and_saveexec_b32 s3, vcc_lo
	s_xor_b32 s3, exec_lo, s3
; %bb.51:
	v_bfe_u32 v78, v79, 16, 1
	s_delay_alu instid0(VALU_DEP_1)
	v_add3_u32 v78, v79, v78, 0x7fff
                                        ; implicit-def: $vgpr79
; %bb.52:
	s_and_not1_saveexec_b32 s3, s3
; %bb.53:
	v_and_b32_e32 v78, 0xffff, v79
	v_or_b32_e32 v89, 0x10000, v79
	s_delay_alu instid0(VALU_DEP_2) | instskip(NEXT) | instid1(VALU_DEP_2)
	v_cmp_eq_u32_e32 vcc_lo, 0, v78
	v_cndmask_b32_e32 v78, v89, v79, vcc_lo
; %bb.54:
	s_or_b32 exec_lo, exec_lo, s3
	v_and_b32_e32 v79, 0x7f800000, v91
	s_delay_alu instid0(VALU_DEP_1) | instskip(SKIP_1) | instid1(SALU_CYCLE_1)
	v_cmp_ne_u32_e32 vcc_lo, 0x7f800000, v79
                                        ; implicit-def: $vgpr79
	s_and_saveexec_b32 s3, vcc_lo
	s_xor_b32 s3, exec_lo, s3
; %bb.55:
	v_bfe_u32 v79, v91, 16, 1
	s_delay_alu instid0(VALU_DEP_1)
	v_add3_u32 v79, v91, v79, 0x7fff
                                        ; implicit-def: $vgpr91
; %bb.56:
	s_and_not1_saveexec_b32 s3, s3
; %bb.57:
	v_and_b32_e32 v79, 0xffff, v91
	v_or_b32_e32 v89, 0x10000, v91
	s_delay_alu instid0(VALU_DEP_2) | instskip(NEXT) | instid1(VALU_DEP_2)
	v_cmp_eq_u32_e32 vcc_lo, 0, v79
	v_cndmask_b32_e32 v79, v89, v91, vcc_lo
; %bb.58:
	s_or_b32 exec_lo, exec_lo, s3
	v_and_b32_e32 v89, 0x7f800000, v90
	s_delay_alu instid0(VALU_DEP_1) | instskip(SKIP_1) | instid1(SALU_CYCLE_1)
	v_cmp_ne_u32_e32 vcc_lo, 0x7f800000, v89
                                        ; implicit-def: $vgpr89
	s_and_saveexec_b32 s3, vcc_lo
	s_xor_b32 s3, exec_lo, s3
; %bb.59:
	v_bfe_u32 v89, v90, 16, 1
	s_delay_alu instid0(VALU_DEP_1)
	v_add3_u32 v89, v90, v89, 0x7fff
                                        ; implicit-def: $vgpr90
; %bb.60:
	s_and_not1_saveexec_b32 s3, s3
; %bb.61:
	v_and_b32_e32 v89, 0xffff, v90
	v_or_b32_e32 v91, 0x10000, v90
	s_delay_alu instid0(VALU_DEP_2) | instskip(NEXT) | instid1(VALU_DEP_2)
	v_cmp_eq_u32_e32 vcc_lo, 0, v89
	v_cndmask_b32_e32 v89, v91, v90, vcc_lo
; %bb.62:
	s_or_b32 exec_lo, exec_lo, s3
	v_and_b32_e32 v90, 0x7f800000, v80
	s_delay_alu instid0(VALU_DEP_1) | instskip(SKIP_1) | instid1(SALU_CYCLE_1)
	v_cmp_ne_u32_e32 vcc_lo, 0x7f800000, v90
                                        ; implicit-def: $vgpr90
	s_and_saveexec_b32 s3, vcc_lo
	s_xor_b32 s3, exec_lo, s3
; %bb.63:
	v_bfe_u32 v90, v80, 16, 1
	s_delay_alu instid0(VALU_DEP_1)
	v_add3_u32 v90, v80, v90, 0x7fff
                                        ; implicit-def: $vgpr80
; %bb.64:
	s_and_not1_saveexec_b32 s3, s3
; %bb.65:
	v_and_b32_e32 v90, 0xffff, v80
	v_or_b32_e32 v91, 0x10000, v80
	s_delay_alu instid0(VALU_DEP_2) | instskip(NEXT) | instid1(VALU_DEP_2)
	v_cmp_eq_u32_e32 vcc_lo, 0, v90
	v_cndmask_b32_e32 v90, v91, v80, vcc_lo
; %bb.66:
	s_or_b32 exec_lo, exec_lo, s3
	v_and_b32_e32 v80, 0x7f800000, v86
	s_delay_alu instid0(VALU_DEP_1) | instskip(SKIP_1) | instid1(SALU_CYCLE_1)
	v_cmp_ne_u32_e32 vcc_lo, 0x7f800000, v80
                                        ; implicit-def: $vgpr80
	s_and_saveexec_b32 s3, vcc_lo
	s_xor_b32 s3, exec_lo, s3
; %bb.67:
	v_bfe_u32 v80, v86, 16, 1
	s_delay_alu instid0(VALU_DEP_1)
	v_add3_u32 v80, v86, v80, 0x7fff
                                        ; implicit-def: $vgpr86
; %bb.68:
	s_and_not1_saveexec_b32 s3, s3
; %bb.69:
	v_and_b32_e32 v80, 0xffff, v86
	v_or_b32_e32 v91, 0x10000, v86
	s_delay_alu instid0(VALU_DEP_2) | instskip(NEXT) | instid1(VALU_DEP_2)
	v_cmp_eq_u32_e32 vcc_lo, 0, v80
	v_cndmask_b32_e32 v80, v91, v86, vcc_lo
; %bb.70:
	s_or_b32 exec_lo, exec_lo, s3
	v_and_b32_e32 v86, 0x7f800000, v87
	s_delay_alu instid0(VALU_DEP_1) | instskip(SKIP_1) | instid1(SALU_CYCLE_1)
	v_cmp_ne_u32_e32 vcc_lo, 0x7f800000, v86
                                        ; implicit-def: $vgpr86
	s_and_saveexec_b32 s3, vcc_lo
	s_xor_b32 s3, exec_lo, s3
; %bb.71:
	v_bfe_u32 v86, v87, 16, 1
	s_delay_alu instid0(VALU_DEP_1)
	v_add3_u32 v86, v87, v86, 0x7fff
                                        ; implicit-def: $vgpr87
; %bb.72:
	s_and_not1_saveexec_b32 s3, s3
; %bb.73:
	v_and_b32_e32 v86, 0xffff, v87
	v_or_b32_e32 v91, 0x10000, v87
	s_delay_alu instid0(VALU_DEP_2) | instskip(NEXT) | instid1(VALU_DEP_2)
	v_cmp_eq_u32_e32 vcc_lo, 0, v86
	v_cndmask_b32_e32 v86, v91, v87, vcc_lo
; %bb.74:
	s_or_b32 exec_lo, exec_lo, s3
	v_and_b32_e32 v87, 0x7f800000, v88
	s_delay_alu instid0(VALU_DEP_1) | instskip(SKIP_1) | instid1(SALU_CYCLE_1)
	v_cmp_ne_u32_e32 vcc_lo, 0x7f800000, v87
                                        ; implicit-def: $vgpr87
	s_and_saveexec_b32 s3, vcc_lo
	s_xor_b32 s3, exec_lo, s3
; %bb.75:
	v_bfe_u32 v87, v88, 16, 1
	s_delay_alu instid0(VALU_DEP_1)
	v_add3_u32 v87, v88, v87, 0x7fff
                                        ; implicit-def: $vgpr88
; %bb.76:
	s_and_not1_saveexec_b32 s3, s3
; %bb.77:
	v_and_b32_e32 v87, 0xffff, v88
	v_or_b32_e32 v91, 0x10000, v88
	s_delay_alu instid0(VALU_DEP_2) | instskip(NEXT) | instid1(VALU_DEP_2)
	v_cmp_eq_u32_e32 vcc_lo, 0, v87
	v_cndmask_b32_e32 v87, v91, v88, vcc_lo
; %bb.78:
	s_or_b32 exec_lo, exec_lo, s3
	s_delay_alu instid0(VALU_DEP_1)
	v_perm_b32 v94, v87, v86, 0x7060302
	v_perm_b32 v93, v80, v90, 0x7060302
	;; [unrolled: 1-line block ×4, first 2 shown]
	v_lshl_or_b32 v90, v73, 11, v85
	ds_store_b128 v76, v[91:94] offset:1024
	s_waitcnt lgkmcnt(0)
	s_barrier
	buffer_gl0_inv
	ds_load_b128 v[77:80], v90
	ds_load_b128 v[91:94], v90 offset:16
	s_waitcnt lgkmcnt(1)
	v_lshrrev_b32_e32 v73, 16, v77
	s_waitcnt lgkmcnt(0)
	v_lshrrev_b32_e32 v108, 16, v94
	v_lshlrev_b32_e32 v87, 2, v83
	v_lshrrev_b32_e32 v99, 16, v91
	v_lshrrev_b32_e32 v103, 16, v78
	;; [unrolled: 1-line block ×4, first 2 shown]
	v_or_b32_e32 v88, 1, v87
	v_cmp_eq_u32_e32 vcc_lo, 1, v87
	v_cmp_eq_u32_e64 s4, 2, v87
	v_cmp_eq_u32_e64 s7, 3, v87
	;; [unrolled: 1-line block ×4, first 2 shown]
	v_cndmask_b32_e32 v89, v77, v73, vcc_lo
	v_cndmask_b32_e32 v95, v91, v99, vcc_lo
	v_cmp_eq_u32_e64 s6, 2, v88
	v_cmp_eq_u32_e64 s8, 3, v88
	v_cndmask_b32_e64 v96, v77, v73, s3
	v_cndmask_b32_e64 v89, v89, v78, s4
	;; [unrolled: 1-line block ×3, first 2 shown]
	v_or_b32_e32 v86, 2, v87
	v_lshrrev_b32_e32 v107, 16, v93
	v_cndmask_b32_e64 v96, v96, v78, s6
	v_cndmask_b32_e64 v89, v89, v103, s7
	;; [unrolled: 1-line block ×4, first 2 shown]
	v_cmp_eq_u32_e64 s10, 5, v87
	v_cndmask_b32_e64 v96, v96, v103, s8
	v_cndmask_b32_e64 v89, v89, v79, s9
	;; [unrolled: 1-line block ×3, first 2 shown]
	v_cmp_eq_u32_e64 s11, 4, v88
	v_cmp_eq_u32_e64 s5, 1, v86
	v_cndmask_b32_e64 v97, v97, v92, s6
	v_cndmask_b32_e64 v89, v89, v104, s10
	v_cmp_eq_u32_e64 s12, 6, v87
	v_cndmask_b32_e64 v96, v96, v79, s11
	v_cndmask_b32_e64 v95, v95, v107, s10
	v_cmp_eq_u32_e64 s13, 5, v88
	v_lshrrev_b32_e32 v105, 16, v80
	v_cndmask_b32_e64 v98, v77, v73, s5
	v_cndmask_b32_e64 v97, v97, v106, s8
	;; [unrolled: 1-line block ×4, first 2 shown]
	v_cmp_eq_u32_e64 s15, 7, v87
	v_cndmask_b32_e64 v95, v95, v94, s12
	v_cmp_eq_u32_e64 s16, 6, v88
	v_cmp_eq_u32_e64 s17, 2, v86
	v_cndmask_b32_e64 v97, v97, v93, s11
	v_cndmask_b32_e64 v109, v89, v105, s15
	;; [unrolled: 1-line block ×6, first 2 shown]
	v_cmp_eq_u32_e64 s18, 7, v88
	v_cmp_eq_u32_e64 s19, 3, v86
	;; [unrolled: 1-line block ×4, first 2 shown]
	v_cndmask_b32_e64 v95, v95, v92, s17
	v_cndmask_b32_e64 v111, v96, v105, s18
	;; [unrolled: 1-line block ×4, first 2 shown]
	v_or_b32_e32 v89, 3, v87
	v_cndmask_b32_e64 v101, v95, v106, s19
	v_cmp_eq_u32_e64 s24, 6, v86
	v_cndmask_b32_e64 v112, v96, v94, s16
	v_cndmask_b32_e64 v100, v97, v79, s20
	v_cmp_eq_u32_e64 s21, 1, v89
	ds_load_b128 v[95:98], v90 offset:1024
	v_cmp_eq_u32_e64 s23, 2, v89
	v_cmp_eq_u32_e64 s25, 3, v89
	v_cndmask_b32_e64 v113, v100, v104, s22
	v_cndmask_b32_e64 v73, v77, v73, s21
	;; [unrolled: 1-line block ×4, first 2 shown]
	ds_load_b128 v[99:102], v90 offset:1040
	v_cmp_eq_u32_e64 s26, 4, v89
	v_cndmask_b32_e64 v73, v73, v78, s23
	v_cmp_eq_u32_e64 s27, 7, v86
	v_cndmask_b32_e64 v78, v91, v92, s23
	v_cndmask_b32_e64 v92, v113, v80, s24
	v_cmp_eq_u32_e64 s28, 5, v89
	v_cndmask_b32_e64 v73, v73, v103, s25
	v_cndmask_b32_e64 v77, v77, v107, s22
	;; [unrolled: 1-line block ×3, first 2 shown]
	v_cmp_eq_u32_e64 s29, 6, v89
	v_cndmask_b32_e64 v91, v112, v108, s18
	v_cndmask_b32_e64 v73, v73, v79, s26
	s_waitcnt lgkmcnt(1)
	v_lshrrev_b32_e32 v103, 16, v95
	v_cndmask_b32_e64 v78, v78, v93, s26
	v_cndmask_b32_e64 v79, v92, v105, s27
	;; [unrolled: 1-line block ×4, first 2 shown]
	v_cndmask_b32_e32 v92, v95, v103, vcc_lo
	v_cndmask_b32_e64 v78, v78, v107, s28
	s_waitcnt lgkmcnt(0)
	v_lshrrev_b32_e32 v93, 16, v99
	v_lshrrev_b32_e32 v104, 16, v96
	v_cndmask_b32_e64 v106, v95, v103, s3
	v_cndmask_b32_e64 v92, v92, v96, s4
	;; [unrolled: 1-line block ×3, first 2 shown]
	v_cndmask_b32_e32 v107, v99, v93, vcc_lo
	v_cndmask_b32_e64 v78, v78, v94, s29
	v_cmp_eq_u32_e32 vcc_lo, 7, v89
	v_cndmask_b32_e64 v80, v92, v104, s7
	v_cndmask_b32_e64 v92, v106, v96, s6
	;; [unrolled: 1-line block ×3, first 2 shown]
	v_lshrrev_b32_e32 v106, 16, v100
	v_cndmask_b32_e64 v77, v77, v108, s27
	v_cndmask_b32_e32 v78, v78, v108, vcc_lo
	v_lshrrev_b32_e32 v108, 16, v101
	v_cndmask_b32_e64 v80, v80, v97, s9
	v_cndmask_b32_e64 v94, v94, v106, s7
	v_lshrrev_b32_e32 v107, 16, v97
	v_cndmask_b32_e32 v73, v73, v105, vcc_lo
	v_perm_b32 v79, v77, v79, 0x5040100
	v_cndmask_b32_e64 v92, v92, v104, s8
	v_cndmask_b32_e64 v94, v94, v101, s9
	;; [unrolled: 1-line block ×3, first 2 shown]
	v_perm_b32 v80, v78, v73, 0x5040100
	v_perm_b32 v78, v91, v111, 0x5040100
	v_cndmask_b32_e64 v111, v99, v93, s5
	v_cndmask_b32_e64 v94, v94, v108, s10
	;; [unrolled: 1-line block ×3, first 2 shown]
	s_delay_alu instid0(VALU_DEP_2)
	v_cndmask_b32_e64 v77, v94, v102, s12
	v_cndmask_b32_e64 v94, v95, v103, s5
	v_cndmask_b32_e64 v95, v95, v103, s21
	v_cndmask_b32_e64 v103, v99, v93, s21
	v_cndmask_b32_e64 v93, v99, v93, s3
	v_cndmask_b32_e64 v99, v111, v100, s17
	v_cndmask_b32_e64 v94, v94, v96, s17
	v_cndmask_b32_e64 v95, v95, v96, s23
	v_cndmask_b32_e64 v96, v103, v100, s23
	v_cndmask_b32_e64 v93, v93, v100, s6
	v_cndmask_b32_e64 v99, v99, v106, s19
	v_cndmask_b32_e64 v94, v94, v104, s19
	v_cndmask_b32_e64 v95, v95, v104, s25
	v_cndmask_b32_e64 v96, v96, v106, s25
	v_cndmask_b32_e64 v93, v93, v106, s8
	v_cndmask_b32_e64 v73, v92, v107, s13
	v_cndmask_b32_e64 v94, v94, v97, s20
	v_cndmask_b32_e64 v95, v95, v97, s26
	v_cndmask_b32_e64 v96, v96, v101, s26
	v_cndmask_b32_e64 v97, v99, v101, s20
	v_cndmask_b32_e64 v93, v93, v101, s11
	v_cndmask_b32_e64 v92, v105, v98, s12
	v_lshrrev_b32_e32 v105, 16, v98
	v_cndmask_b32_e64 v94, v94, v107, s22
	v_cndmask_b32_e64 v95, v95, v107, s28
	v_cndmask_b32_e64 v96, v96, v108, s28
	v_cndmask_b32_e64 v97, v97, v108, s22
	v_cndmask_b32_e64 v93, v93, v108, s13
	v_cndmask_b32_e64 v73, v73, v98, s16
	v_cndmask_b32_e64 v91, v92, v105, s15
	v_lshrrev_b32_e32 v92, 16, v102
	v_cndmask_b32_e64 v94, v94, v98, s24
	v_cndmask_b32_e64 v95, v95, v98, s29
	;; [unrolled: 1-line block ×7, first 2 shown]
	v_dual_cndmask_b32 v94, v95, v105 :: v_dual_cndmask_b32 v95, v96, v92
	v_cndmask_b32_e64 v96, v97, v92, s27
	v_cndmask_b32_e64 v97, v93, v92, s18
	;; [unrolled: 1-line block ×3, first 2 shown]
	v_perm_b32 v77, v110, v109, 0x5040100
	v_perm_b32 v94, v95, v94, 0x5040100
	;; [unrolled: 1-line block ×5, first 2 shown]
	s_lshl_b32 s8, s35, 3
	s_mov_b32 s3, exec_lo
	ds_store_b128 v76, v[77:80]
	ds_store_b128 v76, v[91:94] offset:1024
	v_cmpx_gt_u32_e32 8, v0
	s_cbranch_execz .LBB545_80
; %bb.79:
	v_or_b32_e32 v73, s31, v0
	s_load_b128 s[4:7], s[0:1], 0x58
	s_delay_alu instid0(VALU_DEP_1) | instskip(NEXT) | instid1(VALU_DEP_1)
	v_mad_u64_u32 v[76:77], null, s8, s30, v[73:74]
	v_mad_u64_u32 v[77:78], null, v76, s34, s[14:15]
	s_delay_alu instid0(VALU_DEP_1) | instskip(NEXT) | instid1(VALU_DEP_1)
	v_ashrrev_i32_e32 v78, 31, v77
	v_lshlrev_b64 v[76:77], 2, v[77:78]
	s_waitcnt lgkmcnt(0)
	s_delay_alu instid0(VALU_DEP_1) | instskip(NEXT) | instid1(VALU_DEP_2)
	v_add_co_u32 v78, vcc_lo, s6, v76
	v_add_co_ci_u32_e32 v79, vcc_lo, s7, v77, vcc_lo
	v_add_co_u32 v76, vcc_lo, s4, v76
	v_add_co_ci_u32_e32 v77, vcc_lo, s5, v77, vcc_lo
	global_store_b32 v[78:79], v74, off
	global_store_b32 v[76:77], v75, off
.LBB545_80:
	s_or_b32 exec_lo, exec_lo, s3
	s_waitcnt lgkmcnt(0)
	s_waitcnt_vscnt null, 0x0
	s_barrier
	buffer_gl0_inv
	ds_load_b128 v[91:94], v85
	ds_load_b128 v[95:98], v85 offset:16
	ds_load_b128 v[103:106], v85 offset:1040
	;; [unrolled: 1-line block ×3, first 2 shown]
	v_mov_b32_e32 v73, 0
	ds_load_b128 v[111:114], v85 offset:2064
	ds_load_b128 v[107:110], v85 offset:2048
	;; [unrolled: 1-line block ×6, first 2 shown]
	v_mov_b32_e32 v74, v73
	v_mov_b32_e32 v75, v73
	;; [unrolled: 1-line block ×7, first 2 shown]
	s_waitcnt lgkmcnt(8)
	s_delay_alu instid0(VALU_DEP_1)
	v_wmma_f32_16x16x16_bf16 v[73:80], v[65:72], v[91:98], v[73:80]
	ds_load_b128 v[69:72], v85 offset:5136
	ds_load_b128 v[65:68], v85 offset:5120
	;; [unrolled: 1-line block ×4, first 2 shown]
	s_waitcnt lgkmcnt(10)
	v_wmma_f32_16x16x16_bf16 v[73:80], v[57:64], v[99:106], v[73:80]
	s_waitcnt lgkmcnt(8)
	s_delay_alu instid0(VALU_DEP_1)
	v_wmma_f32_16x16x16_bf16 v[73:80], v[57:64], v[107:114], v[73:80]
	ds_load_b128 v[61:64], v85 offset:7184
	ds_load_b128 v[57:60], v85 offset:7168
	;; [unrolled: 1-line block ×4, first 2 shown]
	s_waitcnt lgkmcnt(10)
	v_wmma_f32_16x16x16_bf16 v[73:80], v[49:56], v[115:122], v[73:80]
	s_waitcnt lgkmcnt(8)
	s_delay_alu instid0(VALU_DEP_1)
	v_wmma_f32_16x16x16_bf16 v[73:80], v[49:56], v[123:130], v[73:80]
	ds_load_b128 v[53:56], v85 offset:9232
	ds_load_b128 v[49:52], v85 offset:9216
	s_waitcnt lgkmcnt(8)
	v_wmma_f32_16x16x16_bf16 v[73:80], v[41:48], v[65:72], v[73:80]
	ds_load_b128 v[69:72], v85 offset:10256
	ds_load_b128 v[65:68], v85 offset:10240
	s_waitcnt lgkmcnt(8)
	v_wmma_f32_16x16x16_bf16 v[73:80], v[41:48], v[91:98], v[73:80]
	ds_load_b128 v[45:48], v85 offset:11280
	ds_load_b128 v[41:44], v85 offset:11264
	s_waitcnt lgkmcnt(8)
	v_wmma_f32_16x16x16_bf16 v[73:80], v[9:16], v[57:64], v[73:80]
	s_waitcnt lgkmcnt(6)
	s_delay_alu instid0(VALU_DEP_1)
	v_wmma_f32_16x16x16_bf16 v[73:80], v[9:16], v[99:106], v[73:80]
	ds_load_b128 v[13:16], v85 offset:12304
	ds_load_b128 v[9:12], v85 offset:12288
	s_waitcnt lgkmcnt(6)
	v_wmma_f32_16x16x16_bf16 v[73:80], v[1:8], v[49:56], v[73:80]
	ds_load_b128 v[53:56], v85 offset:13328
	ds_load_b128 v[49:52], v85 offset:13312
	s_waitcnt lgkmcnt(6)
	;; [unrolled: 4-line block ×4, first 2 shown]
	v_wmma_f32_16x16x16_bf16 v[73:80], v[33:40], v[9:16], v[73:80]
	s_waitcnt lgkmcnt(4)
	s_delay_alu instid0(VALU_DEP_1) | instskip(SKIP_1) | instid1(VALU_DEP_1)
	v_wmma_f32_16x16x16_bf16 v[73:80], v[25:32], v[49:56], v[73:80]
	s_waitcnt lgkmcnt(2)
	v_wmma_f32_16x16x16_bf16 v[73:80], v[25:32], v[1:8], v[73:80]
	s_waitcnt lgkmcnt(0)
	s_delay_alu instid0(VALU_DEP_1) | instskip(NEXT) | instid1(VALU_DEP_1)
	v_wmma_f32_16x16x16_bf16 v[73:80], v[17:24], v[41:48], v[73:80]
	v_and_b32_e32 v1, 0x7f800000, v73
	s_delay_alu instid0(VALU_DEP_1) | instskip(SKIP_1) | instid1(SALU_CYCLE_1)
	v_cmp_ne_u32_e32 vcc_lo, 0x7f800000, v1
                                        ; implicit-def: $vgpr1
	s_and_saveexec_b32 s3, vcc_lo
	s_xor_b32 s3, exec_lo, s3
; %bb.81:
	v_bfe_u32 v1, v73, 16, 1
	s_delay_alu instid0(VALU_DEP_1)
	v_add3_u32 v1, v73, v1, 0x7fff
; %bb.82:
	s_and_not1_saveexec_b32 s3, s3
; %bb.83:
	v_and_b32_e32 v1, 0xffff, v73
	v_or_b32_e32 v2, 0x10000, v73
	s_delay_alu instid0(VALU_DEP_2) | instskip(NEXT) | instid1(VALU_DEP_2)
	v_cmp_eq_u32_e32 vcc_lo, 0, v1
	v_cndmask_b32_e32 v1, v2, v73, vcc_lo
; %bb.84:
	s_or_b32 exec_lo, exec_lo, s3
	v_and_b32_e32 v2, 0x7f800000, v74
	s_delay_alu instid0(VALU_DEP_1) | instskip(SKIP_1) | instid1(SALU_CYCLE_1)
	v_cmp_ne_u32_e32 vcc_lo, 0x7f800000, v2
                                        ; implicit-def: $vgpr2
	s_and_saveexec_b32 s3, vcc_lo
	s_xor_b32 s3, exec_lo, s3
; %bb.85:
	v_bfe_u32 v2, v74, 16, 1
	s_delay_alu instid0(VALU_DEP_1)
	v_add3_u32 v2, v74, v2, 0x7fff
; %bb.86:
	s_and_not1_saveexec_b32 s3, s3
; %bb.87:
	v_and_b32_e32 v2, 0xffff, v74
	v_or_b32_e32 v3, 0x10000, v74
	s_delay_alu instid0(VALU_DEP_2) | instskip(NEXT) | instid1(VALU_DEP_2)
	v_cmp_eq_u32_e32 vcc_lo, 0, v2
	v_cndmask_b32_e32 v2, v3, v74, vcc_lo
; %bb.88:
	s_or_b32 exec_lo, exec_lo, s3
	v_and_b32_e32 v3, 0x7f800000, v75
	s_delay_alu instid0(VALU_DEP_1) | instskip(SKIP_1) | instid1(SALU_CYCLE_1)
	v_cmp_ne_u32_e32 vcc_lo, 0x7f800000, v3
                                        ; implicit-def: $vgpr3
	s_and_saveexec_b32 s3, vcc_lo
	s_xor_b32 s3, exec_lo, s3
; %bb.89:
	v_bfe_u32 v3, v75, 16, 1
	s_delay_alu instid0(VALU_DEP_1)
	v_add3_u32 v3, v75, v3, 0x7fff
; %bb.90:
	s_and_not1_saveexec_b32 s3, s3
; %bb.91:
	v_and_b32_e32 v3, 0xffff, v75
	v_or_b32_e32 v4, 0x10000, v75
	s_delay_alu instid0(VALU_DEP_2) | instskip(NEXT) | instid1(VALU_DEP_2)
	v_cmp_eq_u32_e32 vcc_lo, 0, v3
	v_cndmask_b32_e32 v3, v4, v75, vcc_lo
; %bb.92:
	s_or_b32 exec_lo, exec_lo, s3
	v_and_b32_e32 v4, 0x7f800000, v76
	s_delay_alu instid0(VALU_DEP_1) | instskip(SKIP_1) | instid1(SALU_CYCLE_1)
	v_cmp_ne_u32_e32 vcc_lo, 0x7f800000, v4
                                        ; implicit-def: $vgpr4
	s_and_saveexec_b32 s3, vcc_lo
	s_xor_b32 s3, exec_lo, s3
; %bb.93:
	v_bfe_u32 v4, v76, 16, 1
	s_delay_alu instid0(VALU_DEP_1)
	v_add3_u32 v4, v76, v4, 0x7fff
; %bb.94:
	s_and_not1_saveexec_b32 s3, s3
; %bb.95:
	v_and_b32_e32 v4, 0xffff, v76
	v_or_b32_e32 v5, 0x10000, v76
	s_delay_alu instid0(VALU_DEP_2) | instskip(NEXT) | instid1(VALU_DEP_2)
	v_cmp_eq_u32_e32 vcc_lo, 0, v4
	v_cndmask_b32_e32 v4, v5, v76, vcc_lo
; %bb.96:
	s_or_b32 exec_lo, exec_lo, s3
	v_and_b32_e32 v5, 0x7f800000, v77
	s_delay_alu instid0(VALU_DEP_1) | instskip(SKIP_1) | instid1(SALU_CYCLE_1)
	v_cmp_ne_u32_e32 vcc_lo, 0x7f800000, v5
                                        ; implicit-def: $vgpr5
	s_and_saveexec_b32 s3, vcc_lo
	s_xor_b32 s3, exec_lo, s3
; %bb.97:
	v_bfe_u32 v5, v77, 16, 1
	s_delay_alu instid0(VALU_DEP_1)
	v_add3_u32 v5, v77, v5, 0x7fff
; %bb.98:
	s_and_not1_saveexec_b32 s3, s3
; %bb.99:
	v_and_b32_e32 v5, 0xffff, v77
	v_or_b32_e32 v6, 0x10000, v77
	s_delay_alu instid0(VALU_DEP_2) | instskip(NEXT) | instid1(VALU_DEP_2)
	v_cmp_eq_u32_e32 vcc_lo, 0, v5
	v_cndmask_b32_e32 v5, v6, v77, vcc_lo
; %bb.100:
	s_or_b32 exec_lo, exec_lo, s3
	v_and_b32_e32 v6, 0x7f800000, v78
	s_delay_alu instid0(VALU_DEP_1) | instskip(SKIP_1) | instid1(SALU_CYCLE_1)
	v_cmp_ne_u32_e32 vcc_lo, 0x7f800000, v6
                                        ; implicit-def: $vgpr6
	s_and_saveexec_b32 s3, vcc_lo
	s_xor_b32 s3, exec_lo, s3
; %bb.101:
	v_bfe_u32 v6, v78, 16, 1
	s_delay_alu instid0(VALU_DEP_1)
	v_add3_u32 v6, v78, v6, 0x7fff
; %bb.102:
	s_and_not1_saveexec_b32 s3, s3
; %bb.103:
	v_and_b32_e32 v6, 0xffff, v78
	v_or_b32_e32 v7, 0x10000, v78
	s_delay_alu instid0(VALU_DEP_2) | instskip(NEXT) | instid1(VALU_DEP_2)
	v_cmp_eq_u32_e32 vcc_lo, 0, v6
	v_cndmask_b32_e32 v6, v7, v78, vcc_lo
; %bb.104:
	s_or_b32 exec_lo, exec_lo, s3
	v_and_b32_e32 v7, 0x7f800000, v79
	s_delay_alu instid0(VALU_DEP_1) | instskip(SKIP_1) | instid1(SALU_CYCLE_1)
	v_cmp_ne_u32_e32 vcc_lo, 0x7f800000, v7
                                        ; implicit-def: $vgpr7
	s_and_saveexec_b32 s3, vcc_lo
	s_xor_b32 s3, exec_lo, s3
; %bb.105:
	v_bfe_u32 v7, v79, 16, 1
	s_delay_alu instid0(VALU_DEP_1)
	v_add3_u32 v7, v79, v7, 0x7fff
; %bb.106:
	s_and_not1_saveexec_b32 s3, s3
; %bb.107:
	v_and_b32_e32 v7, 0xffff, v79
	v_or_b32_e32 v8, 0x10000, v79
	s_delay_alu instid0(VALU_DEP_2) | instskip(NEXT) | instid1(VALU_DEP_2)
	v_cmp_eq_u32_e32 vcc_lo, 0, v7
	v_cndmask_b32_e32 v7, v8, v79, vcc_lo
; %bb.108:
	s_or_b32 exec_lo, exec_lo, s3
	v_and_b32_e32 v8, 0x7f800000, v80
	s_delay_alu instid0(VALU_DEP_1) | instskip(SKIP_1) | instid1(SALU_CYCLE_1)
	v_cmp_ne_u32_e32 vcc_lo, 0x7f800000, v8
                                        ; implicit-def: $vgpr8
	s_and_saveexec_b32 s3, vcc_lo
	s_xor_b32 s3, exec_lo, s3
; %bb.109:
	v_bfe_u32 v8, v80, 16, 1
	s_delay_alu instid0(VALU_DEP_1)
	v_add3_u32 v8, v80, v8, 0x7fff
                                        ; implicit-def: $vgpr73_vgpr74_vgpr75_vgpr76_vgpr77_vgpr78_vgpr79_vgpr80
; %bb.110:
	s_and_not1_saveexec_b32 s3, s3
; %bb.111:
	v_and_b32_e32 v8, 0xffff, v80
	v_or_b32_e32 v9, 0x10000, v80
	s_delay_alu instid0(VALU_DEP_2) | instskip(NEXT) | instid1(VALU_DEP_2)
	v_cmp_eq_u32_e32 vcc_lo, 0, v8
	v_cndmask_b32_e32 v8, v9, v80, vcc_lo
; %bb.112:
	s_or_b32 exec_lo, exec_lo, s3
	s_delay_alu instid0(VALU_DEP_1)
	v_perm_b32 v7, v8, v7, 0x7060302
	v_perm_b32 v6, v6, v5, 0x7060302
	;; [unrolled: 1-line block ×4, first 2 shown]
	v_lshl_or_b32 v9, v83, 4, v90
	s_barrier
	buffer_gl0_inv
	v_cmp_eq_u32_e32 vcc_lo, 1, v87
	ds_store_b128 v9, v[4:7]
	s_waitcnt lgkmcnt(0)
	s_barrier
	buffer_gl0_inv
	ds_load_b128 v[1:4], v90
	ds_load_b128 v[5:8], v90 offset:16
	v_cmp_eq_u32_e64 s4, 2, v87
	v_cmp_eq_u32_e64 s3, 1, v88
	;; [unrolled: 1-line block ×5, first 2 shown]
	s_waitcnt lgkmcnt(1)
	v_lshrrev_b32_e32 v10, 16, v1
	s_waitcnt lgkmcnt(0)
	v_lshrrev_b32_e32 v14, 16, v5
	v_lshrrev_b32_e32 v15, 16, v6
	;; [unrolled: 1-line block ×4, first 2 shown]
	v_cndmask_b32_e64 v20, v1, v10, s3
	v_cndmask_b32_e32 v19, v5, v14, vcc_lo
	v_cndmask_b32_e64 v21, v5, v14, s3
	v_lshrrev_b32_e32 v16, 16, v7
	v_cmp_eq_u32_e64 s3, 1, v86
	v_lshrrev_b32_e32 v13, 16, v4
	v_cndmask_b32_e64 v19, v19, v6, s4
	v_lshrrev_b32_e32 v17, 16, v8
	s_delay_alu instid0(VALU_DEP_4) | instskip(SKIP_1) | instid1(VALU_DEP_4)
	v_cndmask_b32_e64 v22, v1, v10, s3
	v_cndmask_b32_e64 v23, v5, v14, s3
	;; [unrolled: 1-line block ×3, first 2 shown]
	v_cndmask_b32_e32 v18, v1, v10, vcc_lo
	v_cmp_eq_u32_e32 vcc_lo, 2, v88
	v_cmp_eq_u32_e64 s3, 2, v89
	v_cndmask_b32_e64 v22, v22, v2, s7
	v_cndmask_b32_e32 v20, v20, v2, vcc_lo
	v_cndmask_b32_e32 v21, v21, v6, vcc_lo
	v_cmp_eq_u32_e32 vcc_lo, 4, v87
	v_cndmask_b32_e32 v19, v19, v7, vcc_lo
	v_cndmask_b32_e64 v18, v18, v2, s4
	v_cmp_eq_u32_e64 s4, 3, v88
	s_delay_alu instid0(VALU_DEP_2) | instskip(NEXT) | instid1(VALU_DEP_2)
	v_cndmask_b32_e64 v18, v18, v11, s5
	v_cndmask_b32_e64 v21, v21, v15, s4
	v_cmp_eq_u32_e64 s5, 5, v87
	s_delay_alu instid0(VALU_DEP_3) | instskip(SKIP_1) | instid1(VALU_DEP_3)
	v_cndmask_b32_e32 v18, v18, v3, vcc_lo
	v_cmp_eq_u32_e32 vcc_lo, 4, v88
	v_cndmask_b32_e64 v19, v19, v16, s5
	s_delay_alu instid0(VALU_DEP_3) | instskip(SKIP_4) | instid1(VALU_DEP_3)
	v_cndmask_b32_e64 v18, v18, v12, s5
	v_cndmask_b32_e32 v21, v21, v7, vcc_lo
	v_cndmask_b32_e64 v20, v20, v11, s4
	v_cmp_eq_u32_e64 s4, 5, v88
	v_cmp_eq_u32_e64 s5, 6, v87
	v_cndmask_b32_e32 v20, v20, v3, vcc_lo
	s_delay_alu instid0(VALU_DEP_3) | instskip(SKIP_1) | instid1(VALU_DEP_4)
	v_cndmask_b32_e64 v21, v21, v16, s4
	v_cmp_eq_u32_e32 vcc_lo, 6, v88
	v_cndmask_b32_e64 v18, v18, v4, s5
	v_cndmask_b32_e64 v19, v19, v8, s5
	;; [unrolled: 1-line block ×3, first 2 shown]
	v_cmp_eq_u32_e64 s4, 1, v89
	v_cmp_eq_u32_e64 s5, 7, v87
	s_delay_alu instid0(VALU_DEP_3) | instskip(NEXT) | instid1(VALU_DEP_3)
	v_cndmask_b32_e32 v20, v20, v4, vcc_lo
	v_cndmask_b32_e64 v1, v1, v10, s4
	v_cndmask_b32_e64 v5, v5, v14, s4
	v_cmp_eq_u32_e64 s4, 3, v86
	v_cndmask_b32_e64 v14, v23, v6, s7
	v_cmp_eq_u32_e64 s7, 3, v89
	v_cndmask_b32_e64 v1, v1, v2, s3
	v_cndmask_b32_e64 v2, v5, v6, s3
	;; [unrolled: 1-line block ×3, first 2 shown]
	v_cmp_eq_u32_e64 s3, 4, v86
	v_cndmask_b32_e64 v6, v14, v15, s4
	v_cndmask_b32_e64 v1, v1, v11, s7
	v_cmp_eq_u32_e64 s4, 4, v89
	v_cndmask_b32_e64 v2, v2, v15, s7
	v_cndmask_b32_e64 v5, v10, v3, s3
	;; [unrolled: 3-line block ×3, first 2 shown]
	v_cndmask_b32_e64 v2, v2, v7, s4
	v_cmp_eq_u32_e64 s3, 5, v89
	v_cndmask_b32_e64 v5, v5, v12, s7
	v_cmp_eq_u32_e64 s4, 6, v86
	;; [unrolled: 2-line block ×3, first 2 shown]
	v_cndmask_b32_e64 v1, v1, v12, s3
	v_cndmask_b32_e64 v2, v2, v16, s3
	;; [unrolled: 1-line block ×4, first 2 shown]
	v_cmp_eq_u32_e64 s3, 7, v89
	v_cndmask_b32_e64 v1, v1, v4, s7
	v_cndmask_b32_e64 v2, v2, v8, s7
	v_cmp_eq_u32_e64 s4, 7, v86
	v_cndmask_b32_e32 v4, v21, v8, vcc_lo
	v_cndmask_b32_e64 v18, v18, v13, s5
	v_cndmask_b32_e64 v20, v20, v13, s6
	;; [unrolled: 1-line block ×8, first 2 shown]
	v_cmp_gt_u32_e32 vcc_lo, 32, v0
	v_perm_b32 v4, v2, v1, 0x5040100
	v_perm_b32 v3, v3, v5, 0x5040100
	;; [unrolled: 1-line block ×4, first 2 shown]
	s_and_b32 s2, vcc_lo, s2
	ds_store_b128 v9, v[1:4]
	s_waitcnt lgkmcnt(0)
	s_barrier
	buffer_gl0_inv
	s_and_saveexec_b32 s3, s2
	s_cbranch_execz .LBB545_2
; %bb.113:
	s_load_b64 s[0:1], s[0:1], 0x68
	s_lshl_b32 s4, s34, 6
	v_or_b32_e32 v2, s31, v83
	s_mul_i32 s2, s4, s30
	v_lshlrev_b32_e32 v1, 10, v0
	s_mul_i32 s2, s2, s8
	v_lshlrev_b32_e32 v3, 4, v84
	v_mul_lo_u32 v0, v2, s4
	s_ashr_i32 s3, s2, 31
	v_lshlrev_b32_e32 v4, 6, v83
	v_and_b32_e32 v1, 0x3800, v1
	v_or_b32_e32 v5, 2, v2
	s_lshl_b64 s[2:3], s[2:3], 1
	v_or_b32_e32 v6, 4, v2
	v_or_b32_e32 v7, 6, v2
	v_or3_b32 v12, v1, v3, v4
	v_ashrrev_i32_e32 v1, 31, v0
	v_mul_lo_u32 v2, v5, s4
	v_mul_lo_u32 v16, v6, s4
	;; [unrolled: 1-line block ×3, first 2 shown]
	s_waitcnt lgkmcnt(0)
	s_add_u32 s2, s0, s2
	s_addc_u32 s3, s1, s3
	s_lshl_b32 s0, s14, 6
	v_lshlrev_b64 v[0:1], 1, v[0:1]
	s_ashr_i32 s1, s0, 31
	v_ashrrev_i32_e32 v3, 31, v2
	s_lshl_b64 s[0:1], s[0:1], 1
	v_ashrrev_i32_e32 v17, 31, v16
	s_add_u32 s0, s2, s0
	s_addc_u32 s1, s3, s1
	v_add_co_u32 v24, vcc_lo, s0, v81
	v_add_co_ci_u32_e32 v25, vcc_lo, s1, v82, vcc_lo
	v_lshlrev_b64 v[22:23], 1, v[2:3]
	s_delay_alu instid0(VALU_DEP_3) | instskip(NEXT) | instid1(VALU_DEP_3)
	v_add_co_u32 v18, vcc_lo, v24, v0
	v_add_co_ci_u32_e32 v19, vcc_lo, v25, v1, vcc_lo
	ds_load_b128 v[0:3], v12
	ds_load_b128 v[4:7], v12 offset:128
	ds_load_b128 v[8:11], v12 offset:256
	;; [unrolled: 1-line block ×3, first 2 shown]
	v_ashrrev_i32_e32 v21, 31, v20
	v_lshlrev_b64 v[16:17], 1, v[16:17]
	v_add_co_u32 v22, vcc_lo, v24, v22
	v_add_co_ci_u32_e32 v23, vcc_lo, v25, v23, vcc_lo
	s_delay_alu instid0(VALU_DEP_4) | instskip(NEXT) | instid1(VALU_DEP_4)
	v_lshlrev_b64 v[20:21], 1, v[20:21]
	v_add_co_u32 v16, vcc_lo, v24, v16
	v_add_co_ci_u32_e32 v17, vcc_lo, v25, v17, vcc_lo
	s_delay_alu instid0(VALU_DEP_3) | instskip(NEXT) | instid1(VALU_DEP_4)
	v_add_co_u32 v20, vcc_lo, v24, v20
	v_add_co_ci_u32_e32 v21, vcc_lo, v25, v21, vcc_lo
	s_waitcnt lgkmcnt(3)
	global_store_b128 v[18:19], v[0:3], off
	s_waitcnt lgkmcnt(2)
	global_store_b128 v[22:23], v[4:7], off
	;; [unrolled: 2-line block ×4, first 2 shown]
	s_nop 0
	s_sendmsg sendmsg(MSG_DEALLOC_VGPRS)
	s_endpgm
	.section	.rodata,"a",@progbits
	.p2align	6, 0x0
	.amdhsa_kernel _Z39paged_attention_ll4mi_QKV_mfma16_kernelI14__hip_bfloat16S0_LN4vllm18Fp8KVCacheDataTypeE0ES0_Li32ELi64ELi256ELb1ELi8EL8MFMAType0EEvPKT_PKT0_S9_ifPKiSB_SB_iPKfiiiPfSE_PS4_PT2_iSD_SD_
		.amdhsa_group_segment_fixed_size 17472
		.amdhsa_private_segment_fixed_size 0
		.amdhsa_kernarg_size 400
		.amdhsa_user_sgpr_count 13
		.amdhsa_user_sgpr_dispatch_ptr 0
		.amdhsa_user_sgpr_queue_ptr 0
		.amdhsa_user_sgpr_kernarg_segment_ptr 1
		.amdhsa_user_sgpr_dispatch_id 0
		.amdhsa_user_sgpr_private_segment_size 0
		.amdhsa_wavefront_size32 1
		.amdhsa_uses_dynamic_stack 0
		.amdhsa_enable_private_segment 0
		.amdhsa_system_sgpr_workgroup_id_x 1
		.amdhsa_system_sgpr_workgroup_id_y 1
		.amdhsa_system_sgpr_workgroup_id_z 1
		.amdhsa_system_sgpr_workgroup_info 0
		.amdhsa_system_vgpr_workitem_id 0
		.amdhsa_next_free_vgpr 142
		.amdhsa_next_free_sgpr 38
		.amdhsa_reserve_vcc 1
		.amdhsa_float_round_mode_32 0
		.amdhsa_float_round_mode_16_64 0
		.amdhsa_float_denorm_mode_32 3
		.amdhsa_float_denorm_mode_16_64 3
		.amdhsa_dx10_clamp 1
		.amdhsa_ieee_mode 1
		.amdhsa_fp16_overflow 0
		.amdhsa_workgroup_processor_mode 1
		.amdhsa_memory_ordered 1
		.amdhsa_forward_progress 0
		.amdhsa_shared_vgpr_count 0
		.amdhsa_exception_fp_ieee_invalid_op 0
		.amdhsa_exception_fp_denorm_src 0
		.amdhsa_exception_fp_ieee_div_zero 0
		.amdhsa_exception_fp_ieee_overflow 0
		.amdhsa_exception_fp_ieee_underflow 0
		.amdhsa_exception_fp_ieee_inexact 0
		.amdhsa_exception_int_div_zero 0
	.end_amdhsa_kernel
	.section	.text._Z39paged_attention_ll4mi_QKV_mfma16_kernelI14__hip_bfloat16S0_LN4vllm18Fp8KVCacheDataTypeE0ES0_Li32ELi64ELi256ELb1ELi8EL8MFMAType0EEvPKT_PKT0_S9_ifPKiSB_SB_iPKfiiiPfSE_PS4_PT2_iSD_SD_,"axG",@progbits,_Z39paged_attention_ll4mi_QKV_mfma16_kernelI14__hip_bfloat16S0_LN4vllm18Fp8KVCacheDataTypeE0ES0_Li32ELi64ELi256ELb1ELi8EL8MFMAType0EEvPKT_PKT0_S9_ifPKiSB_SB_iPKfiiiPfSE_PS4_PT2_iSD_SD_,comdat
.Lfunc_end545:
	.size	_Z39paged_attention_ll4mi_QKV_mfma16_kernelI14__hip_bfloat16S0_LN4vllm18Fp8KVCacheDataTypeE0ES0_Li32ELi64ELi256ELb1ELi8EL8MFMAType0EEvPKT_PKT0_S9_ifPKiSB_SB_iPKfiiiPfSE_PS4_PT2_iSD_SD_, .Lfunc_end545-_Z39paged_attention_ll4mi_QKV_mfma16_kernelI14__hip_bfloat16S0_LN4vllm18Fp8KVCacheDataTypeE0ES0_Li32ELi64ELi256ELb1ELi8EL8MFMAType0EEvPKT_PKT0_S9_ifPKiSB_SB_iPKfiiiPfSE_PS4_PT2_iSD_SD_
                                        ; -- End function
	.section	.AMDGPU.csdata,"",@progbits
; Kernel info:
; codeLenInByte = 9448
; NumSgprs: 40
; NumVgprs: 142
; ScratchSize: 0
; MemoryBound: 0
; FloatMode: 240
; IeeeMode: 1
; LDSByteSize: 17472 bytes/workgroup (compile time only)
; SGPRBlocks: 4
; VGPRBlocks: 17
; NumSGPRsForWavesPerEU: 40
; NumVGPRsForWavesPerEU: 142
; Occupancy: 10
; WaveLimiterHint : 1
; COMPUTE_PGM_RSRC2:SCRATCH_EN: 0
; COMPUTE_PGM_RSRC2:USER_SGPR: 13
; COMPUTE_PGM_RSRC2:TRAP_HANDLER: 0
; COMPUTE_PGM_RSRC2:TGID_X_EN: 1
; COMPUTE_PGM_RSRC2:TGID_Y_EN: 1
; COMPUTE_PGM_RSRC2:TGID_Z_EN: 1
; COMPUTE_PGM_RSRC2:TIDIG_COMP_CNT: 0
	.section	.text._Z39paged_attention_ll4mi_QKV_mfma16_kernelI14__hip_bfloat16S0_LN4vllm18Fp8KVCacheDataTypeE0ES0_Li32ELi64ELi256ELb1ELi9EL8MFMAType0EEvPKT_PKT0_S9_ifPKiSB_SB_iPKfiiiPfSE_PS4_PT2_iSD_SD_,"axG",@progbits,_Z39paged_attention_ll4mi_QKV_mfma16_kernelI14__hip_bfloat16S0_LN4vllm18Fp8KVCacheDataTypeE0ES0_Li32ELi64ELi256ELb1ELi9EL8MFMAType0EEvPKT_PKT0_S9_ifPKiSB_SB_iPKfiiiPfSE_PS4_PT2_iSD_SD_,comdat
	.protected	_Z39paged_attention_ll4mi_QKV_mfma16_kernelI14__hip_bfloat16S0_LN4vllm18Fp8KVCacheDataTypeE0ES0_Li32ELi64ELi256ELb1ELi9EL8MFMAType0EEvPKT_PKT0_S9_ifPKiSB_SB_iPKfiiiPfSE_PS4_PT2_iSD_SD_ ; -- Begin function _Z39paged_attention_ll4mi_QKV_mfma16_kernelI14__hip_bfloat16S0_LN4vllm18Fp8KVCacheDataTypeE0ES0_Li32ELi64ELi256ELb1ELi9EL8MFMAType0EEvPKT_PKT0_S9_ifPKiSB_SB_iPKfiiiPfSE_PS4_PT2_iSD_SD_
	.globl	_Z39paged_attention_ll4mi_QKV_mfma16_kernelI14__hip_bfloat16S0_LN4vllm18Fp8KVCacheDataTypeE0ES0_Li32ELi64ELi256ELb1ELi9EL8MFMAType0EEvPKT_PKT0_S9_ifPKiSB_SB_iPKfiiiPfSE_PS4_PT2_iSD_SD_
	.p2align	8
	.type	_Z39paged_attention_ll4mi_QKV_mfma16_kernelI14__hip_bfloat16S0_LN4vllm18Fp8KVCacheDataTypeE0ES0_Li32ELi64ELi256ELb1ELi9EL8MFMAType0EEvPKT_PKT0_S9_ifPKiSB_SB_iPKfiiiPfSE_PS4_PT2_iSD_SD_,@function
_Z39paged_attention_ll4mi_QKV_mfma16_kernelI14__hip_bfloat16S0_LN4vllm18Fp8KVCacheDataTypeE0ES0_Li32ELi64ELi256ELb1ELi9EL8MFMAType0EEvPKT_PKT0_S9_ifPKiSB_SB_iPKfiiiPfSE_PS4_PT2_iSD_SD_: ; @_Z39paged_attention_ll4mi_QKV_mfma16_kernelI14__hip_bfloat16S0_LN4vllm18Fp8KVCacheDataTypeE0ES0_Li32ELi64ELi256ELb1ELi9EL8MFMAType0EEvPKT_PKT0_S9_ifPKiSB_SB_iPKfiiiPfSE_PS4_PT2_iSD_SD_
; %bb.0:
	s_load_b64 s[2:3], s[0:1], 0x30
	s_mov_b32 s34, s13
	s_waitcnt lgkmcnt(0)
	s_cmp_lg_u64 s[2:3], 0
	s_cselect_b32 s6, -1, 0
	s_ashr_i32 s35, s13, 31
	s_cmp_eq_u64 s[2:3], 0
	s_cbranch_scc1 .LBB546_3
; %bb.1:
	s_lshl_b64 s[4:5], s[34:35], 2
	s_delay_alu instid0(SALU_CYCLE_1) | instskip(SKIP_4) | instid1(SALU_CYCLE_1)
	s_add_u32 s4, s2, s4
	s_addc_u32 s5, s3, s5
	s_load_b64 s[4:5], s[4:5], 0x0
	s_waitcnt lgkmcnt(0)
	s_sub_i32 s4, s5, s4
	s_cmp_eq_u32 s4, 1
	s_cselect_b32 s4, -1, 0
	s_delay_alu instid0(SALU_CYCLE_1)
	s_and_not1_b32 vcc_lo, exec_lo, s4
	s_cbranch_vccz .LBB546_4
.LBB546_2:
	s_nop 0
	s_sendmsg sendmsg(MSG_DEALLOC_VGPRS)
	s_endpgm
.LBB546_3:
.LBB546_4:
	s_load_b64 s[8:9], s[0:1], 0x28
	s_lshl_b64 s[4:5], s[34:35], 2
	s_waitcnt lgkmcnt(0)
	s_add_u32 s8, s8, s4
	s_addc_u32 s9, s9, s5
	s_lshl_b32 s16, s14, 8
	s_load_b32 s18, s[8:9], 0x0
	s_waitcnt lgkmcnt(0)
	s_cmp_ge_i32 s16, s18
	s_cbranch_scc1 .LBB546_2
; %bb.5:
	s_and_not1_b32 vcc_lo, exec_lo, s6
	s_cbranch_vccnz .LBB546_7
; %bb.6:
	s_add_u32 s2, s2, s4
	s_addc_u32 s3, s3, s5
	s_load_b32 s17, s[2:3], 0x0
	s_branch .LBB546_8
.LBB546_7:
	s_mov_b32 s17, s34
.LBB546_8:
	s_clause 0x2
	s_load_b128 s[8:11], s[0:1], 0x8
	s_load_b64 s[12:13], s[0:1], 0x20
	s_load_b128 s[4:7], s[0:1], 0x48
	v_lshrrev_b32_e32 v74, 5, v0
	v_bfe_u32 v83, v0, 4, 1
	v_and_b32_e32 v73, 15, v0
	s_delay_alu instid0(VALU_DEP_2) | instskip(NEXT) | instid1(VALU_DEP_2)
	v_lshl_or_b32 v3, v74, 1, v83
	v_cmp_lt_u32_e64 s3, 7, v73
	v_lshlrev_b32_e32 v1, 3, v73
	v_cmp_gt_u32_e64 s2, 8, v73
	s_delay_alu instid0(VALU_DEP_4) | instskip(NEXT) | instid1(VALU_DEP_4)
	v_cmp_lt_u32_e32 vcc_lo, 8, v3
	s_or_b32 s3, s3, vcc_lo
	s_waitcnt lgkmcnt(0)
	s_and_saveexec_b32 s7, s3
	s_delay_alu instid0(SALU_CYCLE_1)
	s_xor_b32 s3, exec_lo, s7
; %bb.9:
	v_mov_b32_e32 v2, 0
                                        ; implicit-def: $vgpr3
; %bb.10:
	s_or_saveexec_b32 s3, s3
	v_and_b32_e32 v75, 31, v0
	v_and_b32_e32 v84, 1, v0
	s_mul_i32 s31, s15, 9
	s_xor_b32 exec_lo, exec_lo, s3
	s_cbranch_execz .LBB546_12
; %bb.11:
	s_load_b64 s[20:21], s[0:1], 0x0
	v_add_lshl_u32 v4, v3, s31, 6
	s_mul_hi_i32 s23, s17, s4
	s_mul_i32 s22, s17, s4
	v_lshlrev_b32_e32 v2, 1, v1
	s_lshl_b64 s[22:23], s[22:23], 1
	v_ashrrev_i32_e32 v5, 31, v4
	v_lshlrev_b32_e32 v3, 6, v3
	v_lshlrev_b32_e32 v8, 10, v84
	s_delay_alu instid0(VALU_DEP_3) | instskip(SKIP_3) | instid1(VALU_DEP_1)
	v_lshlrev_b64 v[4:5], 1, v[4:5]
	s_waitcnt lgkmcnt(0)
	s_add_u32 s4, s20, s22
	s_addc_u32 s7, s21, s23
	v_add_co_u32 v4, vcc_lo, s4, v4
	s_delay_alu instid0(VALU_DEP_2) | instskip(NEXT) | instid1(VALU_DEP_2)
	v_add_co_ci_u32_e32 v5, vcc_lo, s7, v5, vcc_lo
	v_add_co_u32 v4, vcc_lo, v4, v2
	s_delay_alu instid0(VALU_DEP_2) | instskip(SKIP_3) | instid1(VALU_DEP_1)
	v_add_co_ci_u32_e32 v5, vcc_lo, 0, v5, vcc_lo
	v_lshlrev_b32_e32 v2, 10, v73
	global_load_b128 v[4:7], v[4:5], off
	v_and_b32_e32 v2, 0x3800, v2
	v_or3_b32 v3, v2, v8, v3
	v_mov_b32_e32 v2, 0
	s_waitcnt vmcnt(0)
	ds_store_b128 v3, v[4:7]
.LBB546_12:
	s_or_b32 exec_lo, exec_lo, s3
	v_and_b32_e32 v3, 0xef, v0
	s_add_i32 s3, s18, 31
	s_clause 0x1
	s_load_b32 s4, s[0:1], 0x38
	s_load_b32 s19, s[0:1], 0x1c
	s_ashr_i32 s7, s3, 31
	v_add_nc_u32_e32 v3, s16, v3
	s_lshr_b32 s7, s7, 27
	s_waitcnt lgkmcnt(0)
	s_add_i32 s3, s3, s7
	s_barrier
	v_ashrrev_i32_e32 v4, 31, v3
	v_cmp_gt_i32_e32 vcc_lo, s18, v3
	s_ashr_i32 s3, s3, 5
	buffer_gl0_inv
	s_add_i32 s3, s3, -1
	v_lshrrev_b32_e32 v5, 27, v4
	v_or_b32_e32 v4, 16, v3
	s_mul_i32 s6, s15, s6
	v_lshlrev_b64 v[81:82], 1, v[1:2]
	s_delay_alu instid0(VALU_DEP_3) | instskip(NEXT) | instid1(VALU_DEP_3)
	v_add_nc_u32_e32 v6, v3, v5
	v_add_nc_u32_e32 v5, v4, v5
	s_mul_i32 s20, s34, s4
	s_delay_alu instid0(SALU_CYCLE_1) | instskip(NEXT) | instid1(VALU_DEP_2)
	s_ashr_i32 s21, s20, 31
	v_ashrrev_i32_e32 v6, 5, v6
	s_delay_alu instid0(VALU_DEP_2) | instskip(SKIP_1) | instid1(SALU_CYCLE_1)
	v_ashrrev_i32_e32 v5, 5, v5
	s_lshl_b64 s[20:21], s[20:21], 2
	s_add_u32 s4, s12, s20
	s_delay_alu instid0(VALU_DEP_2) | instskip(SKIP_3) | instid1(SALU_CYCLE_1)
	v_cndmask_b32_e32 v3, s3, v6, vcc_lo
	v_cmp_gt_i32_e32 vcc_lo, s18, v4
	s_addc_u32 s17, s13, s21
	s_ashr_i32 s7, s6, 31
	s_lshl_b64 s[6:7], s[6:7], 1
	v_cndmask_b32_e32 v5, s3, v5, vcc_lo
	v_ashrrev_i32_e32 v4, 31, v3
	s_add_u32 s15, s8, s6
	s_addc_u32 s28, s9, s7
	s_lshl_b32 s8, s14, 3
	v_ashrrev_i32_e32 v6, 31, v5
	v_lshlrev_b64 v[3:4], 2, v[3:4]
	s_ashr_i32 s9, s8, 31
	s_delay_alu instid0(SALU_CYCLE_1) | instskip(NEXT) | instid1(VALU_DEP_2)
	s_lshl_b64 s[8:9], s[8:9], 2
	v_lshlrev_b64 v[5:6], 2, v[5:6]
	s_add_u32 s8, s4, s8
	s_delay_alu instid0(VALU_DEP_2) | instskip(SKIP_1) | instid1(VALU_DEP_3)
	v_add_co_u32 v3, vcc_lo, s4, v3
	v_add_co_ci_u32_e32 v4, vcc_lo, s17, v4, vcc_lo
	v_add_co_u32 v5, vcc_lo, s4, v5
	s_delay_alu instid0(VALU_DEP_4)
	v_add_co_ci_u32_e32 v6, vcc_lo, s17, v6, vcc_lo
	s_addc_u32 s9, s17, s9
	s_clause 0x1
	global_load_b32 v7, v[3:4], off
	global_load_b32 v8, v[5:6], off
	s_or_b32 s12, s16, 32
	s_delay_alu instid0(SALU_CYCLE_1) | instskip(SKIP_2) | instid1(SALU_CYCLE_1)
	s_ashr_i32 s13, s12, 5
	s_cmp_lt_i32 s12, s18
	s_cselect_b32 s12, s13, s3
	s_ashr_i32 s13, s12, 31
	s_delay_alu instid0(SALU_CYCLE_1) | instskip(NEXT) | instid1(SALU_CYCLE_1)
	s_lshl_b64 s[12:13], s[12:13], 2
	s_add_u32 s12, s4, s12
	s_addc_u32 s13, s17, s13
	s_or_b32 s20, s16, 64
	s_delay_alu instid0(SALU_CYCLE_1) | instskip(SKIP_2) | instid1(SALU_CYCLE_1)
	s_ashr_i32 s21, s20, 5
	s_cmp_lt_i32 s20, s18
	s_cselect_b32 s20, s21, s3
	s_ashr_i32 s21, s20, 31
	s_delay_alu instid0(SALU_CYCLE_1) | instskip(NEXT) | instid1(SALU_CYCLE_1)
	s_lshl_b64 s[20:21], s[20:21], 2
	s_add_u32 s20, s4, s20
	s_addc_u32 s21, s17, s21
	;; [unrolled: 10-line block ×5, first 2 shown]
	s_clause 0x5
	s_load_b32 s29, s[8:9], 0x0
	s_load_b32 s30, s[12:13], 0x0
	;; [unrolled: 1-line block ×6, first 2 shown]
	s_mov_b32 s20, 0
	s_or_b32 s8, s16, 0xc0
	s_mov_b32 s21, s20
	s_mov_b32 s22, s20
	;; [unrolled: 1-line block ×7, first 2 shown]
	s_ashr_i32 s9, s8, 5
	v_mov_b32_e32 v117, s27
	s_cmp_lt_i32 s8, s18
	v_mov_b32_e32 v116, s26
	s_cselect_b32 s8, s9, s3
	v_mov_b32_e32 v115, s25
	s_ashr_i32 s9, s8, 31
	v_dual_mov_b32 v114, s24 :: v_dual_mov_b32 v113, s23
	v_dual_mov_b32 v112, s22 :: v_dual_mov_b32 v111, s21
	s_lshl_b64 s[8:9], s[8:9], 2
	s_waitcnt lgkmcnt(0)
	s_mul_hi_i32 s13, s29, s5
	s_add_u32 s8, s4, s8
	s_addc_u32 s9, s17, s9
	s_mul_i32 s12, s29, s5
	s_mul_hi_i32 s37, s38, s5
	v_mov_b32_e32 v110, s20
	s_mul_hi_i32 s21, s30, s5
	s_mul_i32 s20, s30, s5
	s_mul_hi_i32 s25, s33, s5
	s_mul_i32 s24, s33, s5
	;; [unrolled: 2-line block ×3, first 2 shown]
	s_waitcnt vmcnt(1)
	v_mad_i64_i32 v[3:4], null, v7, s5, 0
	s_waitcnt vmcnt(0)
	v_mad_i64_i32 v[5:6], null, v8, s5, 0
	s_delay_alu instid0(VALU_DEP_2) | instskip(NEXT) | instid1(VALU_DEP_2)
	v_lshlrev_b64 v[3:4], 1, v[3:4]
	v_lshlrev_b64 v[1:2], 1, v[5:6]
	s_delay_alu instid0(VALU_DEP_2) | instskip(NEXT) | instid1(VALU_DEP_3)
	v_add_co_u32 v3, vcc_lo, s15, v3
	v_add_co_ci_u32_e32 v4, vcc_lo, s28, v4, vcc_lo
	s_delay_alu instid0(VALU_DEP_3) | instskip(NEXT) | instid1(VALU_DEP_4)
	v_add_co_u32 v1, vcc_lo, s15, v1
	v_add_co_ci_u32_e32 v2, vcc_lo, s28, v2, vcc_lo
	s_delay_alu instid0(VALU_DEP_4) | instskip(NEXT) | instid1(VALU_DEP_4)
	v_add_co_u32 v41, vcc_lo, v3, v81
	v_add_co_ci_u32_e32 v42, vcc_lo, v4, v82, vcc_lo
	s_delay_alu instid0(VALU_DEP_4) | instskip(NEXT) | instid1(VALU_DEP_4)
	v_add_co_u32 v43, vcc_lo, v1, v81
	v_add_co_ci_u32_e32 v44, vcc_lo, v2, v82, vcc_lo
	s_clause 0xf
	global_load_b128 v[1:4], v[41:42], off
	global_load_b128 v[5:8], v[41:42], off offset:512
	global_load_b128 v[9:12], v[43:44], off offset:256
	;; [unrolled: 1-line block ×15, first 2 shown]
	v_add_nc_u32_e32 v41, -9, v73
	v_cmp_gt_u32_e32 vcc_lo, 9, v73
	s_or_b32 s15, s16, 0xe0
	s_delay_alu instid0(SALU_CYCLE_1) | instskip(SKIP_3) | instid1(SALU_CYCLE_1)
	s_ashr_i32 s22, s15, 5
	s_cmp_lt_i32 s15, s18
	v_cndmask_b32_e32 v41, v41, v73, vcc_lo
	s_cselect_b32 s22, s22, s3
	s_ashr_i32 s23, s22, 31
	s_delay_alu instid0(VALU_DEP_1)
	v_lshlrev_b32_e32 v57, 6, v41
	ds_load_b128 v[41:44], v57
	ds_load_b128 v[45:48], v57 offset:1024
	ds_load_b128 v[49:52], v57 offset:2048
	ds_load_b128 v[53:56], v57 offset:3072
	ds_load_b128 v[118:121], v57 offset:4096
	ds_load_b128 v[122:125], v57 offset:5120
	ds_load_b128 v[126:129], v57 offset:6144
	ds_load_b128 v[130:133], v57 offset:7168
	s_lshl_b64 s[22:23], s[22:23], 2
	s_delay_alu instid0(SALU_CYCLE_1) | instskip(SKIP_2) | instid1(SALU_CYCLE_1)
	s_add_u32 s22, s4, s22
	s_addc_u32 s23, s17, s23
	s_add_i32 s15, s16, 0x100
	s_ashr_i32 s28, s15, 5
	s_cmp_lt_i32 s15, s18
	s_load_b32 s15, s[8:9], 0x0
	s_cselect_b32 s28, s28, s3
	s_mul_hi_i32 s9, s36, s5
	s_ashr_i32 s29, s28, 31
	s_mul_i32 s8, s36, s5
	s_lshl_b64 s[28:29], s[28:29], 2
	s_mul_i32 s36, s38, s5
	s_add_u32 s28, s4, s28
	s_addc_u32 s29, s17, s29
	s_add_u32 s3, s10, s6
	s_clause 0x1
	s_load_b32 s4, s[22:23], 0x0
	s_load_b32 s17, s[28:29], 0x0
	s_addc_u32 s28, s11, s7
	s_lshl_b64 s[6:7], s[12:13], 1
	s_lshl_b64 s[10:11], s[20:21], 1
	;; [unrolled: 1-line block ×6, first 2 shown]
	s_waitcnt lgkmcnt(0)
	s_mul_hi_i32 s25, s15, s5
	s_mul_i32 s24, s15, s5
	s_waitcnt vmcnt(14)
	v_wmma_f32_16x16x16_bf16 v[134:141], v[1:8], v[41:48], v[110:117]
	s_waitcnt vmcnt(10)
	s_delay_alu instid0(VALU_DEP_1) | instskip(SKIP_1) | instid1(VALU_DEP_1)
	v_wmma_f32_16x16x16_bf16 v[134:141], v[17:24], v[49:56], v[134:141]
	s_waitcnt vmcnt(6)
	v_wmma_f32_16x16x16_bf16 v[134:141], v[33:40], v[118:125], v[134:141]
	s_waitcnt vmcnt(2)
	s_delay_alu instid0(VALU_DEP_1) | instskip(SKIP_1) | instid1(VALU_DEP_2)
	v_wmma_f32_16x16x16_bf16 v[134:141], v[94:101], v[126:133], v[134:141]
	v_lshlrev_b32_e32 v85, 6, v73
	v_mul_f32_e32 v100, s19, v141
	s_delay_alu instid0(VALU_DEP_2) | instskip(SKIP_2) | instid1(VALU_DEP_3)
	v_lshl_or_b32 v58, v74, 10, v85
	v_wmma_f32_16x16x16_bf16 v[110:117], v[9:16], v[41:48], v[110:117]
	v_mul_f32_e32 v99, s19, v135
	v_add_co_u32 v76, s3, s3, v58
	s_delay_alu instid0(VALU_DEP_1) | instskip(NEXT) | instid1(VALU_DEP_4)
	v_add_co_ci_u32_e64 v77, null, s28, 0, s3
	v_wmma_f32_16x16x16_bf16 v[110:117], v[25:32], v[49:56], v[110:117]
	s_delay_alu instid0(VALU_DEP_3) | instskip(NEXT) | instid1(VALU_DEP_3)
	v_add_co_u32 v57, vcc_lo, v76, s6
	v_add_co_ci_u32_e32 v58, vcc_lo, s7, v77, vcc_lo
	v_add_co_u32 v1, vcc_lo, v76, s10
	v_add_co_ci_u32_e32 v2, vcc_lo, s11, v77, vcc_lo
	;; [unrolled: 2-line block ×5, first 2 shown]
	s_clause 0x9
	global_load_b128 v[65:68], v[57:58], off
	global_load_b128 v[69:72], v[57:58], off offset:16
	global_load_b128 v[57:60], v[1:2], off
	global_load_b128 v[61:64], v[1:2], off offset:16
	;; [unrolled: 2-line block ×5, first 2 shown]
	v_add_co_u32 v5, vcc_lo, v76, s22
	s_lshl_b64 s[6:7], s[24:25], 1
	v_add_co_ci_u32_e32 v6, vcc_lo, s23, v77, vcc_lo
	s_mul_hi_i32 s9, s4, s5
	s_mul_i32 s8, s4, s5
	v_add_co_u32 v17, vcc_lo, v76, s6
	v_add_co_ci_u32_e32 v18, vcc_lo, s7, v77, vcc_lo
	s_lshl_b64 s[6:7], s[8:9], 1
	s_mul_hi_i32 s9, s17, s5
	s_mul_i32 s8, s17, s5
	v_add_co_u32 v19, vcc_lo, v76, s6
	s_lshl_b64 s[4:5], s[8:9], 1
	v_add_co_ci_u32_e32 v20, vcc_lo, s7, v77, vcc_lo
	v_add_co_u32 v21, vcc_lo, v76, s4
	v_add_co_ci_u32_e32 v22, vcc_lo, s5, v77, vcc_lo
	s_clause 0x7
	global_load_b128 v[1:4], v[5:6], off
	global_load_b128 v[5:8], v[5:6], off offset:16
	global_load_b128 v[33:36], v[17:18], off
	global_load_b128 v[37:40], v[17:18], off offset:16
	global_load_b128 v[25:28], v[19:20], off
	global_load_b128 v[29:32], v[19:20], off offset:16
	global_load_b128 v[17:20], v[21:22], off
	global_load_b128 v[21:24], v[21:22], off offset:16
	v_and_b32_e32 v76, 0xe0, v0
	v_mbcnt_lo_u32_b32 v77, -1, 0
	v_wmma_f32_16x16x16_bf16 v[110:117], v[86:93], v[118:125], v[110:117]
	s_waitcnt vmcnt(0)
	s_barrier
	v_add_nc_u32_e32 v76, s16, v76
	v_xor_b32_e32 v78, 16, v77
	v_wmma_f32_16x16x16_bf16 v[110:117], v[102:109], v[126:133], v[110:117]
	v_mul_f32_e32 v97, s19, v134
	buffer_gl0_inv
	v_or_b32_e32 v76, v76, v83
	v_cmp_gt_i32_e32 vcc_lo, 32, v78
	s_delay_alu instid0(VALU_DEP_2)
	v_or_b32_e32 v79, 4, v76
	v_cndmask_b32_e32 v77, v77, v78, vcc_lo
	v_or_b32_e32 v78, 2, v76
	v_or_b32_e32 v80, 6, v76
	v_cmp_gt_i32_e32 vcc_lo, s18, v76
	v_or_b32_e32 v86, 8, v76
	v_or_b32_e32 v87, 10, v76
	v_cmp_gt_i32_e64 s3, s18, v78
	v_or_b32_e32 v88, 12, v76
	v_or_b32_e32 v89, 14, v76
	;; [unrolled: 1-line block ×10, first 2 shown]
	v_cndmask_b32_e32 v76, 0xff7fffff, v97, vcc_lo
	v_cndmask_b32_e64 v78, 0xff7fffff, v99, s3
	v_mul_f32_e32 v99, s19, v137
	v_cmp_gt_i32_e64 s4, s18, v80
	v_mul_f32_e32 v80, s19, v136
	v_cmp_gt_i32_e64 s5, s18, v79
	v_max3_f32 v76, v76, 0xff7fffff, v78
	v_dual_mul_f32 v78, s19, v138 :: v_dual_mul_f32 v79, s19, v139
	v_cndmask_b32_e64 v99, 0xff7fffff, v99, s4
	s_delay_alu instid0(VALU_DEP_4)
	v_cndmask_b32_e64 v80, 0xff7fffff, v80, s5
	v_cmp_gt_i32_e64 s6, s18, v86
	v_cmp_gt_i32_e64 s7, s18, v87
	v_mul_f32_e32 v97, s19, v140
	v_cmp_gt_i32_e64 s8, s18, v89
	v_max3_f32 v76, v76, v80, v99
	v_cndmask_b32_e64 v78, 0xff7fffff, v78, s6
	v_cndmask_b32_e64 v79, 0xff7fffff, v79, s7
	v_cmp_gt_i32_e64 s9, s18, v88
	v_dual_mul_f32 v88, s19, v111 :: v_dual_mul_f32 v89, s19, v110
	v_cndmask_b32_e64 v100, 0xff7fffff, v100, s8
	s_delay_alu instid0(VALU_DEP_4) | instskip(NEXT) | instid1(VALU_DEP_4)
	v_max3_f32 v76, v76, v78, v79
	v_cndmask_b32_e64 v97, 0xff7fffff, v97, s9
	v_cmp_gt_i32_e64 s10, s18, v90
	v_cmp_gt_i32_e64 s11, s18, v91
	v_dual_mul_f32 v78, s19, v113 :: v_dual_mul_f32 v79, s19, v112
	s_delay_alu instid0(VALU_DEP_4) | instskip(NEXT) | instid1(VALU_DEP_4)
	v_max3_f32 v76, v76, v97, v100
	v_cndmask_b32_e64 v89, 0xff7fffff, v89, s10
	s_delay_alu instid0(VALU_DEP_4)
	v_cndmask_b32_e64 v88, 0xff7fffff, v88, s11
	v_cmp_gt_i32_e64 s12, s18, v92
	v_cmp_gt_i32_e64 s13, s18, v93
	v_mul_f32_e32 v87, s19, v115
	v_mul_f32_e32 v99, s19, v114
	v_max3_f32 v76, v76, v89, v88
	v_cndmask_b32_e64 v79, 0xff7fffff, v79, s12
	v_cndmask_b32_e64 v78, 0xff7fffff, v78, s13
	v_cmp_gt_i32_e64 s15, s18, v94
	v_cmp_gt_i32_e64 s16, s18, v95
	v_mul_f32_e32 v80, s19, v117
	v_mul_f32_e32 v86, s19, v116
	v_max3_f32 v76, v76, v79, v78
	v_cndmask_b32_e64 v88, 0xff7fffff, v99, s15
	v_cndmask_b32_e64 v87, 0xff7fffff, v87, s16
	v_cmp_gt_i32_e64 s17, s18, v96
	v_cmp_gt_i32_e64 s18, s18, v98
	v_lshlrev_b32_e32 v99, 2, v77
	s_delay_alu instid0(VALU_DEP_4) | instskip(NEXT) | instid1(VALU_DEP_4)
	v_max3_f32 v76, v76, v88, v87
	v_cndmask_b32_e64 v78, 0xff7fffff, v86, s17
	s_delay_alu instid0(VALU_DEP_4) | instskip(NEXT) | instid1(VALU_DEP_1)
	v_cndmask_b32_e64 v79, 0xff7fffff, v80, s18
	v_max3_f32 v76, v76, v78, v79
	ds_bpermute_b32 v77, v99, v76
	s_waitcnt lgkmcnt(0)
	v_max_f32_e32 v77, v77, v77
	s_delay_alu instid0(VALU_DEP_1) | instskip(NEXT) | instid1(VALU_DEP_1)
	v_max_f32_e32 v76, v76, v77
	v_fma_f32 v77, s19, v134, -v76
	v_fma_f32 v78, s19, v135, -v76
	;; [unrolled: 1-line block ×5, first 2 shown]
	s_delay_alu instid0(VALU_DEP_4) | instskip(SKIP_1) | instid1(VALU_DEP_4)
	v_dual_mul_f32 v77, 0x3fb8aa3b, v77 :: v_dual_mul_f32 v78, 0x3fb8aa3b, v78
	v_fma_f32 v88, s19, v114, -v76
	v_dual_mul_f32 v79, 0x3fb8aa3b, v79 :: v_dual_mul_f32 v80, 0x3fb8aa3b, v80
	s_delay_alu instid0(VALU_DEP_3) | instskip(NEXT) | instid1(VALU_DEP_3)
	v_exp_f32_e32 v77, v77
	v_exp_f32_e32 v78, v78
	s_delay_alu instid0(VALU_DEP_2) | instskip(NEXT) | instid1(VALU_DEP_2)
	v_mul_f32_e32 v88, 0x3fb8aa3b, v88
	v_exp_f32_e32 v79, v79
	v_mul_f32_e32 v86, 0x3fb8aa3b, v86
	v_exp_f32_e32 v80, v80
	v_fma_f32 v87, s19, v140, -v76
	v_fma_f32 v100, s19, v117, -v76
	;; [unrolled: 1-line block ×3, first 2 shown]
	v_exp_f32_e32 v86, v86
	v_cndmask_b32_e32 v92, 0, v77, vcc_lo
	v_fma_f32 v77, s19, v139, -v76
	v_cndmask_b32_e64 v91, 0, v78, s3
	v_cndmask_b32_e64 v93, 0, v79, s5
	v_fma_f32 v79, s19, v141, -v76
	s_delay_alu instid0(VALU_DEP_4) | instskip(SKIP_2) | instid1(TRANS32_DEP_1)
	v_dual_add_f32 v78, 0, v92 :: v_dual_mul_f32 v77, 0x3fb8aa3b, v77
	v_cndmask_b32_e64 v95, 0, v80, s4
	v_mul_f32_e32 v87, 0x3fb8aa3b, v87
	v_cndmask_b32_e64 v96, 0, v86, s6
	s_delay_alu instid0(VALU_DEP_4)
	v_add_f32_e32 v78, v78, v91
	v_exp_f32_e32 v77, v77
	v_fma_f32 v86, s19, v111, -v76
	v_fma_f32 v80, s19, v110, -v76
	v_exp_f32_e32 v87, v87
	v_add_f32_e32 v78, v78, v93
	v_mul_f32_e32 v100, 0x3fb8aa3b, v100
	v_mul_f32_e32 v86, 0x3fb8aa3b, v86
	;; [unrolled: 1-line block ×3, first 2 shown]
	v_exp_f32_e32 v88, v88
	v_add_f32_e32 v78, v78, v95
	v_cndmask_b32_e64 v97, 0, v77, s7
	v_exp_f32_e32 v86, v86
	v_exp_f32_e32 v80, v80
	v_cndmask_b32_e64 v94, 0, v87, s9
	v_add_f32_e32 v77, v78, v96
	v_fma_f32 v78, s19, v112, -v76
	v_fma_f32 v87, s19, v113, -v76
	v_exp_f32_e32 v100, v100
	v_cmp_gt_u32_e64 s3, 16, v75
	s_delay_alu instid0(VALU_DEP_3) | instskip(NEXT) | instid1(VALU_DEP_3)
	v_dual_add_f32 v77, v77, v97 :: v_dual_mul_f32 v78, 0x3fb8aa3b, v78
	v_mul_f32_e32 v87, 0x3fb8aa3b, v87
	s_delay_alu instid0(VALU_DEP_2) | instskip(SKIP_2) | instid1(VALU_DEP_3)
	v_exp_f32_e32 v89, v78
	v_cndmask_b32_e64 v78, 0, v86, s11
	v_mul_f32_e32 v79, 0x3fb8aa3b, v79
	v_exp_f32_e32 v87, v87
	s_delay_alu instid0(VALU_DEP_1)
	v_exp_f32_e32 v79, v79
	s_waitcnt_depctr 0xfff
	v_cndmask_b32_e64 v98, 0, v79, s8
	v_add_f32_e32 v79, v77, v94
	v_cndmask_b32_e64 v77, 0, v80, s10
	v_fma_f32 v80, s19, v115, -v76
	s_delay_alu instid0(VALU_DEP_1) | instskip(NEXT) | instid1(VALU_DEP_1)
	v_dual_add_f32 v79, v79, v98 :: v_dual_mul_f32 v80, 0x3fb8aa3b, v80
	v_add_f32_e32 v86, v79, v77
	v_cndmask_b32_e64 v79, 0, v89, s12
	v_mul_f32_e32 v89, 0x3fb8aa3b, v90
	s_delay_alu instid0(VALU_DEP_4) | instskip(SKIP_2) | instid1(VALU_DEP_3)
	v_exp_f32_e32 v90, v80
	v_cndmask_b32_e64 v80, 0, v87, s13
	v_add_f32_e32 v86, v86, v78
	v_exp_f32_e32 v89, v89
	s_delay_alu instid0(VALU_DEP_1) | instskip(SKIP_1) | instid1(VALU_DEP_2)
	v_add_f32_e32 v87, v86, v79
	v_cndmask_b32_e64 v86, 0, v88, s15
	v_add_f32_e32 v88, v87, v80
	s_delay_alu instid0(TRANS32_DEP_2) | instskip(NEXT) | instid1(VALU_DEP_2)
	v_cndmask_b32_e64 v87, 0, v90, s16
	v_add_f32_e32 v90, v88, v86
	s_waitcnt_depctr 0xfff
	v_cndmask_b32_e64 v88, 0, v89, s17
	v_add_f32_e32 v89, v90, v87
	s_delay_alu instid0(VALU_DEP_1) | instskip(SKIP_1) | instid1(VALU_DEP_1)
	v_add_f32_e32 v90, v89, v88
	v_cndmask_b32_e64 v89, 0, v100, s18
	v_add_f32_e32 v90, v90, v89
	ds_bpermute_b32 v99, v99, v90
	s_and_saveexec_b32 s4, s3
	s_cbranch_execz .LBB546_14
; %bb.13:
	v_mul_u32_u24_e32 v75, 0x44, v74
	s_waitcnt lgkmcnt(0)
	v_add_f32_e32 v90, v90, v99
	s_delay_alu instid0(VALU_DEP_2) | instskip(NEXT) | instid1(VALU_DEP_1)
	v_lshl_add_u32 v75, v73, 2, v75
	v_add_nc_u32_e32 v75, 0x4000, v75
	ds_store_2addr_b32 v75, v76, v90 offset1:136
.LBB546_14:
	s_or_b32 exec_lo, exec_lo, s4
	v_lshlrev_b32_e32 v75, 2, v73
	s_waitcnt lgkmcnt(0)
	s_barrier
	buffer_gl0_inv
	v_cmp_eq_u32_e64 s4, 1, v74
	v_add_nc_u32_e32 v90, 0x4000, v75
	ds_load_2addr_b32 v[99:100], v90 offset1:17
	ds_load_2addr_b32 v[101:102], v90 offset0:34 offset1:51
	ds_load_2addr_b32 v[103:104], v90 offset0:68 offset1:85
	;; [unrolled: 1-line block ×4, first 2 shown]
	s_waitcnt lgkmcnt(4)
	v_max3_f32 v75, v99, 0xff7fffff, v100
	s_waitcnt lgkmcnt(3)
	s_delay_alu instid0(VALU_DEP_1) | instskip(SKIP_1) | instid1(VALU_DEP_1)
	v_max3_f32 v75, v75, v101, v102
	s_waitcnt lgkmcnt(2)
	v_max3_f32 v75, v75, v103, v104
	s_waitcnt lgkmcnt(1)
	s_delay_alu instid0(VALU_DEP_1) | instskip(NEXT) | instid1(VALU_DEP_1)
	v_max3_f32 v75, v75, v105, v106
	v_sub_f32_e32 v109, v100, v75
	v_sub_f32_e32 v76, v99, v75
	ds_load_2addr_b32 v[99:100], v90 offset0:170 offset1:187
	v_sub_f32_e32 v101, v101, v75
	v_dual_mul_f32 v109, 0x3fb8aa3b, v109 :: v_dual_mul_f32 v76, 0x3fb8aa3b, v76
	s_delay_alu instid0(VALU_DEP_2) | instskip(NEXT) | instid1(VALU_DEP_2)
	v_mul_f32_e32 v111, 0x3fb8aa3b, v101
	v_exp_f32_e32 v109, v109
	s_delay_alu instid0(VALU_DEP_2)
	v_exp_f32_e32 v110, v76
	v_sub_f32_e32 v76, v102, v75
	ds_load_2addr_b32 v[101:102], v90 offset0:204 offset1:221
	v_exp_f32_e32 v111, v111
	v_mul_f32_e32 v112, 0x3fb8aa3b, v76
	s_waitcnt lgkmcnt(2)
	v_fma_f32 v76, v110, v107, 0
	v_sub_f32_e32 v103, v103, v75
	s_delay_alu instid0(VALU_DEP_3) | instskip(NEXT) | instid1(VALU_DEP_2)
	v_exp_f32_e32 v112, v112
	v_dual_sub_f32 v107, v104, v75 :: v_dual_fmac_f32 v76, v109, v108
	s_waitcnt lgkmcnt(1)
	s_waitcnt_depctr 0xfff
	v_fmac_f32_e32 v76, v111, v99
	v_mul_f32_e32 v113, 0x3fb8aa3b, v103
	ds_load_2addr_b32 v[103:104], v90 offset0:238 offset1:255
	v_sub_f32_e32 v90, v105, v75
	v_dual_sub_f32 v99, v106, v75 :: v_dual_fmac_f32 v76, v112, v100
	v_mul_f32_e32 v105, 0x3fb8aa3b, v107
	v_exp_f32_e32 v107, v113
	s_delay_alu instid0(VALU_DEP_2)
	v_dual_mul_f32 v90, 0x3fb8aa3b, v90 :: v_dual_mul_f32 v99, 0x3fb8aa3b, v99
	s_waitcnt lgkmcnt(0)
	s_barrier
	buffer_gl0_inv
	v_exp_f32_e32 v90, v90
	v_exp_f32_e32 v99, v99
	v_fmac_f32_e32 v76, v107, v101
	v_exp_f32_e32 v105, v105
	s_waitcnt_depctr 0xfff
	v_fmac_f32_e32 v76, v105, v102
	s_delay_alu instid0(VALU_DEP_1) | instskip(NEXT) | instid1(VALU_DEP_1)
	v_fmac_f32_e32 v76, v90, v103
	v_fmac_f32_e32 v76, v99, v104
	s_delay_alu instid0(VALU_DEP_1) | instskip(NEXT) | instid1(VALU_DEP_1)
	v_add_f32_e32 v100, 0x358637bd, v76
	v_div_scale_f32 v101, null, v100, v100, 1.0
	v_div_scale_f32 v104, vcc_lo, 1.0, v100, 1.0
	s_delay_alu instid0(VALU_DEP_2) | instskip(SKIP_2) | instid1(VALU_DEP_1)
	v_rcp_f32_e32 v102, v101
	s_waitcnt_depctr 0xfff
	v_fma_f32 v103, -v101, v102, 1.0
	v_fmac_f32_e32 v102, v103, v102
	v_cndmask_b32_e64 v103, v110, v109, s4
	v_cmp_eq_u32_e64 s4, 2, v74
	s_delay_alu instid0(VALU_DEP_3) | instskip(NEXT) | instid1(VALU_DEP_2)
	v_mul_f32_e32 v106, v104, v102
	v_cndmask_b32_e64 v103, v103, v111, s4
	v_cmp_eq_u32_e64 s4, 3, v74
	s_delay_alu instid0(VALU_DEP_3) | instskip(NEXT) | instid1(VALU_DEP_2)
	v_fma_f32 v108, -v101, v106, v104
	v_cndmask_b32_e64 v103, v103, v112, s4
	v_cmp_eq_u32_e64 s4, 4, v74
	s_delay_alu instid0(VALU_DEP_3) | instskip(NEXT) | instid1(VALU_DEP_2)
	v_fmac_f32_e32 v106, v108, v102
	v_cndmask_b32_e64 v103, v103, v107, s4
	s_delay_alu instid0(VALU_DEP_2) | instskip(SKIP_1) | instid1(VALU_DEP_2)
	v_fma_f32 v101, -v101, v106, v104
	v_cmp_eq_u32_e64 s4, 5, v74
	v_div_fmas_f32 v101, v101, v102, v106
	s_delay_alu instid0(VALU_DEP_2) | instskip(SKIP_2) | instid1(VALU_DEP_3)
	v_cndmask_b32_e64 v103, v103, v105, s4
	v_cmp_eq_u32_e32 vcc_lo, 6, v74
	s_mov_b32 s4, exec_lo
	v_div_fixup_f32 v100, v101, v100, 1.0
	s_delay_alu instid0(VALU_DEP_3) | instskip(SKIP_1) | instid1(VALU_DEP_2)
	v_cndmask_b32_e32 v90, v103, v90, vcc_lo
	v_cmp_eq_u32_e32 vcc_lo, 7, v74
	v_cndmask_b32_e32 v90, v90, v99, vcc_lo
	s_delay_alu instid0(VALU_DEP_1) | instskip(NEXT) | instid1(VALU_DEP_1)
	v_mul_f32_e32 v90, v90, v100
	v_mul_f32_e32 v100, v90, v92
	;; [unrolled: 1-line block ×6, first 2 shown]
	v_and_b32_e32 v101, 0x7f800000, v100
	v_mul_f32_e32 v99, v90, v95
	v_mul_f32_e32 v95, v90, v91
	;; [unrolled: 1-line block ×3, first 2 shown]
                                        ; implicit-def: $vgpr91
	s_delay_alu instid0(VALU_DEP_4)
	v_cmpx_ne_u32_e32 0x7f800000, v101
	s_xor_b32 s4, exec_lo, s4
; %bb.15:
	v_bfe_u32 v91, v100, 16, 1
	s_delay_alu instid0(VALU_DEP_1)
	v_add3_u32 v91, v100, v91, 0x7fff
                                        ; implicit-def: $vgpr100
; %bb.16:
	s_and_not1_saveexec_b32 s4, s4
; %bb.17:
	v_and_b32_e32 v91, 0xffff, v100
	v_or_b32_e32 v93, 0x10000, v100
	s_delay_alu instid0(VALU_DEP_2) | instskip(NEXT) | instid1(VALU_DEP_2)
	v_cmp_eq_u32_e32 vcc_lo, 0, v91
	v_cndmask_b32_e32 v91, v93, v100, vcc_lo
; %bb.18:
	s_or_b32 exec_lo, exec_lo, s4
	v_and_b32_e32 v93, 0x7f800000, v95
	s_delay_alu instid0(VALU_DEP_1) | instskip(SKIP_1) | instid1(SALU_CYCLE_1)
	v_cmp_ne_u32_e32 vcc_lo, 0x7f800000, v93
                                        ; implicit-def: $vgpr93
	s_and_saveexec_b32 s4, vcc_lo
	s_xor_b32 s4, exec_lo, s4
; %bb.19:
	v_bfe_u32 v93, v95, 16, 1
	s_delay_alu instid0(VALU_DEP_1)
	v_add3_u32 v93, v95, v93, 0x7fff
                                        ; implicit-def: $vgpr95
; %bb.20:
	s_and_not1_saveexec_b32 s4, s4
; %bb.21:
	v_and_b32_e32 v93, 0xffff, v95
	v_or_b32_e32 v100, 0x10000, v95
	s_delay_alu instid0(VALU_DEP_2) | instskip(NEXT) | instid1(VALU_DEP_2)
	v_cmp_eq_u32_e32 vcc_lo, 0, v93
	v_cndmask_b32_e32 v93, v100, v95, vcc_lo
; %bb.22:
	s_or_b32 exec_lo, exec_lo, s4
	v_and_b32_e32 v95, 0x7f800000, v96
	s_delay_alu instid0(VALU_DEP_1) | instskip(SKIP_1) | instid1(SALU_CYCLE_1)
	v_cmp_ne_u32_e32 vcc_lo, 0x7f800000, v95
                                        ; implicit-def: $vgpr95
	s_and_saveexec_b32 s4, vcc_lo
	s_xor_b32 s4, exec_lo, s4
; %bb.23:
	v_bfe_u32 v95, v96, 16, 1
	s_delay_alu instid0(VALU_DEP_1)
	v_add3_u32 v95, v96, v95, 0x7fff
                                        ; implicit-def: $vgpr96
; %bb.24:
	s_and_not1_saveexec_b32 s4, s4
; %bb.25:
	v_and_b32_e32 v95, 0xffff, v96
	v_or_b32_e32 v100, 0x10000, v96
	s_delay_alu instid0(VALU_DEP_2) | instskip(NEXT) | instid1(VALU_DEP_2)
	v_cmp_eq_u32_e32 vcc_lo, 0, v95
	v_cndmask_b32_e32 v95, v100, v96, vcc_lo
; %bb.26:
	s_or_b32 exec_lo, exec_lo, s4
	v_and_b32_e32 v96, 0x7f800000, v99
	s_delay_alu instid0(VALU_DEP_1) | instskip(SKIP_1) | instid1(SALU_CYCLE_1)
	v_cmp_ne_u32_e32 vcc_lo, 0x7f800000, v96
                                        ; implicit-def: $vgpr96
	s_and_saveexec_b32 s4, vcc_lo
	s_xor_b32 s4, exec_lo, s4
; %bb.27:
	v_bfe_u32 v96, v99, 16, 1
	s_delay_alu instid0(VALU_DEP_1)
	v_add3_u32 v96, v99, v96, 0x7fff
                                        ; implicit-def: $vgpr99
; %bb.28:
	s_and_not1_saveexec_b32 s4, s4
; %bb.29:
	v_and_b32_e32 v96, 0xffff, v99
	v_or_b32_e32 v100, 0x10000, v99
	s_delay_alu instid0(VALU_DEP_2) | instskip(NEXT) | instid1(VALU_DEP_2)
	v_cmp_eq_u32_e32 vcc_lo, 0, v96
	v_cndmask_b32_e32 v96, v100, v99, vcc_lo
; %bb.30:
	s_or_b32 exec_lo, exec_lo, s4
	v_and_b32_e32 v99, 0x7f800000, v98
	s_delay_alu instid0(VALU_DEP_1) | instskip(SKIP_1) | instid1(SALU_CYCLE_1)
	v_cmp_ne_u32_e32 vcc_lo, 0x7f800000, v99
                                        ; implicit-def: $vgpr99
	s_and_saveexec_b32 s4, vcc_lo
	s_xor_b32 s4, exec_lo, s4
; %bb.31:
	v_bfe_u32 v99, v98, 16, 1
	s_delay_alu instid0(VALU_DEP_1)
	v_add3_u32 v99, v98, v99, 0x7fff
                                        ; implicit-def: $vgpr98
; %bb.32:
	s_and_not1_saveexec_b32 s4, s4
; %bb.33:
	v_and_b32_e32 v99, 0xffff, v98
	v_or_b32_e32 v100, 0x10000, v98
	s_delay_alu instid0(VALU_DEP_2) | instskip(NEXT) | instid1(VALU_DEP_2)
	v_cmp_eq_u32_e32 vcc_lo, 0, v99
	v_cndmask_b32_e32 v99, v100, v98, vcc_lo
; %bb.34:
	s_or_b32 exec_lo, exec_lo, s4
	v_and_b32_e32 v98, 0x7f800000, v97
	s_delay_alu instid0(VALU_DEP_1) | instskip(SKIP_1) | instid1(SALU_CYCLE_1)
	v_cmp_ne_u32_e32 vcc_lo, 0x7f800000, v98
                                        ; implicit-def: $vgpr98
	s_and_saveexec_b32 s4, vcc_lo
	s_xor_b32 s4, exec_lo, s4
; %bb.35:
	v_bfe_u32 v98, v97, 16, 1
	s_delay_alu instid0(VALU_DEP_1)
	v_add3_u32 v98, v97, v98, 0x7fff
                                        ; implicit-def: $vgpr97
; %bb.36:
	s_and_not1_saveexec_b32 s4, s4
; %bb.37:
	v_and_b32_e32 v98, 0xffff, v97
	v_or_b32_e32 v100, 0x10000, v97
	s_delay_alu instid0(VALU_DEP_2) | instskip(NEXT) | instid1(VALU_DEP_2)
	v_cmp_eq_u32_e32 vcc_lo, 0, v98
	v_cndmask_b32_e32 v98, v100, v97, vcc_lo
; %bb.38:
	s_or_b32 exec_lo, exec_lo, s4
	v_and_b32_e32 v97, 0x7f800000, v94
	s_delay_alu instid0(VALU_DEP_1) | instskip(SKIP_1) | instid1(SALU_CYCLE_1)
	v_cmp_ne_u32_e32 vcc_lo, 0x7f800000, v97
                                        ; implicit-def: $vgpr97
	s_and_saveexec_b32 s4, vcc_lo
	s_xor_b32 s4, exec_lo, s4
; %bb.39:
	v_bfe_u32 v97, v94, 16, 1
	s_delay_alu instid0(VALU_DEP_1)
	v_add3_u32 v97, v94, v97, 0x7fff
                                        ; implicit-def: $vgpr94
; %bb.40:
	s_and_not1_saveexec_b32 s4, s4
; %bb.41:
	v_and_b32_e32 v97, 0xffff, v94
	v_or_b32_e32 v100, 0x10000, v94
	s_delay_alu instid0(VALU_DEP_2) | instskip(NEXT) | instid1(VALU_DEP_2)
	v_cmp_eq_u32_e32 vcc_lo, 0, v97
	v_cndmask_b32_e32 v97, v100, v94, vcc_lo
; %bb.42:
	s_or_b32 exec_lo, exec_lo, s4
	v_and_b32_e32 v94, 0x7f800000, v92
	s_delay_alu instid0(VALU_DEP_1) | instskip(SKIP_1) | instid1(SALU_CYCLE_1)
	v_cmp_ne_u32_e32 vcc_lo, 0x7f800000, v94
                                        ; implicit-def: $vgpr94
	s_and_saveexec_b32 s4, vcc_lo
	s_xor_b32 s4, exec_lo, s4
; %bb.43:
	v_bfe_u32 v94, v92, 16, 1
	s_delay_alu instid0(VALU_DEP_1)
	v_add3_u32 v94, v92, v94, 0x7fff
                                        ; implicit-def: $vgpr92
; %bb.44:
	s_and_not1_saveexec_b32 s4, s4
; %bb.45:
	v_and_b32_e32 v94, 0xffff, v92
	v_or_b32_e32 v100, 0x10000, v92
	s_delay_alu instid0(VALU_DEP_2) | instskip(NEXT) | instid1(VALU_DEP_2)
	v_cmp_eq_u32_e32 vcc_lo, 0, v94
	v_cndmask_b32_e32 v94, v100, v92, vcc_lo
; %bb.46:
	s_or_b32 exec_lo, exec_lo, s4
	s_load_b64 s[36:37], s[0:1], 0x94
	v_lshlrev_b32_e32 v92, 4, v83
	s_delay_alu instid0(VALU_DEP_2)
	v_perm_b32 v100, v94, v97, 0x7060302
	v_dual_mul_f32 v89, v90, v89 :: v_dual_lshlrev_b32 v94, 11, v74
	v_perm_b32 v97, v93, v91, 0x7060302
	v_mul_f32_e32 v93, v90, v77
	v_perm_b32 v99, v98, v99, 0x7060302
	v_perm_b32 v98, v96, v95, 0x7060302
	v_or3_b32 v77, v92, v94, v85
	v_mul_f32_e32 v88, v90, v88
	v_dual_mul_f32 v87, v90, v87 :: v_dual_and_b32 v94, 0x7f800000, v93
	v_mul_f32_e32 v86, v90, v86
	v_mul_f32_e32 v91, v90, v80
	;; [unrolled: 1-line block ×4, first 2 shown]
	s_mov_b32 s4, exec_lo
	ds_store_b128 v77, v[97:100]
                                        ; implicit-def: $vgpr78
	v_cmpx_ne_u32_e32 0x7f800000, v94
	s_xor_b32 s4, exec_lo, s4
; %bb.47:
	v_bfe_u32 v78, v93, 16, 1
	s_delay_alu instid0(VALU_DEP_1)
	v_add3_u32 v78, v93, v78, 0x7fff
                                        ; implicit-def: $vgpr93
; %bb.48:
	s_and_not1_saveexec_b32 s4, s4
; %bb.49:
	v_and_b32_e32 v78, 0xffff, v93
	v_or_b32_e32 v79, 0x10000, v93
	s_delay_alu instid0(VALU_DEP_2) | instskip(NEXT) | instid1(VALU_DEP_2)
	v_cmp_eq_u32_e32 vcc_lo, 0, v78
	v_cndmask_b32_e32 v78, v79, v93, vcc_lo
; %bb.50:
	s_or_b32 exec_lo, exec_lo, s4
	v_and_b32_e32 v79, 0x7f800000, v80
	s_delay_alu instid0(VALU_DEP_1) | instskip(SKIP_1) | instid1(SALU_CYCLE_1)
	v_cmp_ne_u32_e32 vcc_lo, 0x7f800000, v79
                                        ; implicit-def: $vgpr79
	s_and_saveexec_b32 s4, vcc_lo
	s_xor_b32 s4, exec_lo, s4
; %bb.51:
	v_bfe_u32 v79, v80, 16, 1
	s_delay_alu instid0(VALU_DEP_1)
	v_add3_u32 v79, v80, v79, 0x7fff
                                        ; implicit-def: $vgpr80
; %bb.52:
	s_and_not1_saveexec_b32 s4, s4
; %bb.53:
	v_and_b32_e32 v79, 0xffff, v80
	v_or_b32_e32 v90, 0x10000, v80
	s_delay_alu instid0(VALU_DEP_2) | instskip(NEXT) | instid1(VALU_DEP_2)
	v_cmp_eq_u32_e32 vcc_lo, 0, v79
	v_cndmask_b32_e32 v79, v90, v80, vcc_lo
; %bb.54:
	s_or_b32 exec_lo, exec_lo, s4
	v_and_b32_e32 v80, 0x7f800000, v92
	s_delay_alu instid0(VALU_DEP_1) | instskip(SKIP_1) | instid1(SALU_CYCLE_1)
	v_cmp_ne_u32_e32 vcc_lo, 0x7f800000, v80
                                        ; implicit-def: $vgpr80
	s_and_saveexec_b32 s4, vcc_lo
	s_xor_b32 s4, exec_lo, s4
; %bb.55:
	v_bfe_u32 v80, v92, 16, 1
	s_delay_alu instid0(VALU_DEP_1)
	v_add3_u32 v80, v92, v80, 0x7fff
                                        ; implicit-def: $vgpr92
; %bb.56:
	s_and_not1_saveexec_b32 s4, s4
; %bb.57:
	v_and_b32_e32 v80, 0xffff, v92
	v_or_b32_e32 v90, 0x10000, v92
	s_delay_alu instid0(VALU_DEP_2) | instskip(NEXT) | instid1(VALU_DEP_2)
	v_cmp_eq_u32_e32 vcc_lo, 0, v80
	v_cndmask_b32_e32 v80, v90, v92, vcc_lo
; %bb.58:
	s_or_b32 exec_lo, exec_lo, s4
	v_and_b32_e32 v90, 0x7f800000, v91
	s_delay_alu instid0(VALU_DEP_1) | instskip(SKIP_1) | instid1(SALU_CYCLE_1)
	v_cmp_ne_u32_e32 vcc_lo, 0x7f800000, v90
                                        ; implicit-def: $vgpr90
	s_and_saveexec_b32 s4, vcc_lo
	s_xor_b32 s4, exec_lo, s4
; %bb.59:
	v_bfe_u32 v90, v91, 16, 1
	s_delay_alu instid0(VALU_DEP_1)
	v_add3_u32 v90, v91, v90, 0x7fff
                                        ; implicit-def: $vgpr91
; %bb.60:
	s_and_not1_saveexec_b32 s4, s4
; %bb.61:
	v_and_b32_e32 v90, 0xffff, v91
	v_or_b32_e32 v92, 0x10000, v91
	s_delay_alu instid0(VALU_DEP_2) | instskip(NEXT) | instid1(VALU_DEP_2)
	v_cmp_eq_u32_e32 vcc_lo, 0, v90
	v_cndmask_b32_e32 v90, v92, v91, vcc_lo
; %bb.62:
	s_or_b32 exec_lo, exec_lo, s4
	v_and_b32_e32 v91, 0x7f800000, v86
	s_delay_alu instid0(VALU_DEP_1) | instskip(SKIP_1) | instid1(SALU_CYCLE_1)
	v_cmp_ne_u32_e32 vcc_lo, 0x7f800000, v91
                                        ; implicit-def: $vgpr91
	s_and_saveexec_b32 s4, vcc_lo
	s_xor_b32 s4, exec_lo, s4
; %bb.63:
	v_bfe_u32 v91, v86, 16, 1
	s_delay_alu instid0(VALU_DEP_1)
	v_add3_u32 v91, v86, v91, 0x7fff
                                        ; implicit-def: $vgpr86
; %bb.64:
	s_and_not1_saveexec_b32 s4, s4
; %bb.65:
	v_and_b32_e32 v91, 0xffff, v86
	v_or_b32_e32 v92, 0x10000, v86
	s_delay_alu instid0(VALU_DEP_2) | instskip(NEXT) | instid1(VALU_DEP_2)
	v_cmp_eq_u32_e32 vcc_lo, 0, v91
	v_cndmask_b32_e32 v91, v92, v86, vcc_lo
; %bb.66:
	s_or_b32 exec_lo, exec_lo, s4
	v_and_b32_e32 v86, 0x7f800000, v87
	s_delay_alu instid0(VALU_DEP_1) | instskip(SKIP_1) | instid1(SALU_CYCLE_1)
	v_cmp_ne_u32_e32 vcc_lo, 0x7f800000, v86
                                        ; implicit-def: $vgpr86
	s_and_saveexec_b32 s4, vcc_lo
	s_xor_b32 s4, exec_lo, s4
; %bb.67:
	v_bfe_u32 v86, v87, 16, 1
	s_delay_alu instid0(VALU_DEP_1)
	v_add3_u32 v86, v87, v86, 0x7fff
                                        ; implicit-def: $vgpr87
; %bb.68:
	s_and_not1_saveexec_b32 s4, s4
; %bb.69:
	v_and_b32_e32 v86, 0xffff, v87
	v_or_b32_e32 v92, 0x10000, v87
	s_delay_alu instid0(VALU_DEP_2) | instskip(NEXT) | instid1(VALU_DEP_2)
	v_cmp_eq_u32_e32 vcc_lo, 0, v86
	v_cndmask_b32_e32 v86, v92, v87, vcc_lo
; %bb.70:
	s_or_b32 exec_lo, exec_lo, s4
	v_and_b32_e32 v87, 0x7f800000, v88
	s_delay_alu instid0(VALU_DEP_1) | instskip(SKIP_1) | instid1(SALU_CYCLE_1)
	v_cmp_ne_u32_e32 vcc_lo, 0x7f800000, v87
                                        ; implicit-def: $vgpr87
	s_and_saveexec_b32 s4, vcc_lo
	s_xor_b32 s4, exec_lo, s4
; %bb.71:
	v_bfe_u32 v87, v88, 16, 1
	s_delay_alu instid0(VALU_DEP_1)
	v_add3_u32 v87, v88, v87, 0x7fff
                                        ; implicit-def: $vgpr88
; %bb.72:
	s_and_not1_saveexec_b32 s4, s4
; %bb.73:
	v_and_b32_e32 v87, 0xffff, v88
	v_or_b32_e32 v92, 0x10000, v88
	s_delay_alu instid0(VALU_DEP_2) | instskip(NEXT) | instid1(VALU_DEP_2)
	v_cmp_eq_u32_e32 vcc_lo, 0, v87
	v_cndmask_b32_e32 v87, v92, v88, vcc_lo
; %bb.74:
	s_or_b32 exec_lo, exec_lo, s4
	v_and_b32_e32 v88, 0x7f800000, v89
	s_delay_alu instid0(VALU_DEP_1) | instskip(SKIP_1) | instid1(SALU_CYCLE_1)
	v_cmp_ne_u32_e32 vcc_lo, 0x7f800000, v88
                                        ; implicit-def: $vgpr88
	s_and_saveexec_b32 s4, vcc_lo
	s_xor_b32 s4, exec_lo, s4
; %bb.75:
	v_bfe_u32 v88, v89, 16, 1
	s_delay_alu instid0(VALU_DEP_1)
	v_add3_u32 v88, v89, v88, 0x7fff
                                        ; implicit-def: $vgpr89
; %bb.76:
	s_and_not1_saveexec_b32 s4, s4
; %bb.77:
	v_and_b32_e32 v88, 0xffff, v89
	v_or_b32_e32 v92, 0x10000, v89
	s_delay_alu instid0(VALU_DEP_2) | instskip(NEXT) | instid1(VALU_DEP_2)
	v_cmp_eq_u32_e32 vcc_lo, 0, v88
	v_cndmask_b32_e32 v88, v92, v89, vcc_lo
; %bb.78:
	s_or_b32 exec_lo, exec_lo, s4
	s_delay_alu instid0(VALU_DEP_1)
	v_perm_b32 v89, v88, v87, 0x7060302
	v_perm_b32 v88, v86, v91, 0x7060302
	;; [unrolled: 1-line block ×4, first 2 shown]
	v_lshl_or_b32 v90, v74, 11, v85
	ds_store_b128 v77, v[86:89] offset:1024
	s_waitcnt lgkmcnt(0)
	s_barrier
	buffer_gl0_inv
	ds_load_b128 v[91:94], v90
	ds_load_b128 v[95:98], v90 offset:16
	v_lshlrev_b32_e32 v87, 2, v83
	s_delay_alu instid0(VALU_DEP_1)
	v_or_b32_e32 v88, 1, v87
	v_cmp_eq_u32_e32 vcc_lo, 1, v87
	v_cmp_eq_u32_e64 s5, 2, v87
	v_cmp_eq_u32_e64 s8, 3, v87
	;; [unrolled: 1-line block ×6, first 2 shown]
	v_or_b32_e32 v86, 2, v87
	v_cmp_eq_u32_e64 s11, 5, v87
	v_cmp_eq_u32_e64 s12, 4, v88
	;; [unrolled: 1-line block ×4, first 2 shown]
	s_waitcnt lgkmcnt(1)
	v_lshrrev_b32_e32 v74, 16, v91
	s_waitcnt lgkmcnt(0)
	v_lshrrev_b32_e32 v103, 16, v95
	v_lshrrev_b32_e32 v80, 16, v94
	;; [unrolled: 1-line block ×4, first 2 shown]
	v_cndmask_b32_e32 v89, v91, v74, vcc_lo
	v_cndmask_b32_e32 v99, v95, v103, vcc_lo
	v_cndmask_b32_e64 v100, v91, v74, s4
	v_lshrrev_b32_e32 v79, 16, v93
	v_lshrrev_b32_e32 v108, 16, v97
	v_cndmask_b32_e64 v89, v89, v92, s5
	v_cndmask_b32_e64 v99, v99, v96, s5
	;; [unrolled: 1-line block ×4, first 2 shown]
	v_cmp_eq_u32_e64 s6, 1, v86
	v_cndmask_b32_e64 v89, v89, v78, s8
	v_cndmask_b32_e64 v99, v99, v107, s8
	v_cndmask_b32_e64 v100, v100, v78, s9
	v_cndmask_b32_e64 v101, v101, v96, s7
	v_lshrrev_b32_e32 v109, 16, v98
	v_cndmask_b32_e64 v89, v89, v93, s10
	v_cndmask_b32_e64 v99, v99, v97, s10
	;; [unrolled: 1-line block ×8, first 2 shown]
	v_cmp_eq_u32_e64 s16, 7, v87
	v_cmp_eq_u32_e64 s17, 6, v88
	v_cndmask_b32_e64 v89, v89, v94, s13
	v_cndmask_b32_e64 v99, v99, v98, s13
	v_cmp_eq_u32_e64 s18, 2, v86
	v_cndmask_b32_e64 v101, v101, v97, s12
	v_cndmask_b32_e64 v100, v100, v94, s17
	;; [unrolled: 1-line block ×6, first 2 shown]
	v_cmp_eq_u32_e64 s19, 7, v88
	v_cmp_eq_u32_e64 s20, 3, v86
	;; [unrolled: 1-line block ×4, first 2 shown]
	v_cndmask_b32_e64 v99, v99, v96, s18
	v_cndmask_b32_e64 v112, v100, v80, s19
	;; [unrolled: 1-line block ×4, first 2 shown]
	v_or_b32_e32 v89, 3, v87
	v_cndmask_b32_e64 v105, v99, v107, s20
	v_cmp_eq_u32_e64 s25, 6, v86
	v_cndmask_b32_e64 v113, v100, v98, s17
	v_cndmask_b32_e64 v104, v101, v93, s21
	ds_load_b128 v[99:102], v90 offset:1024
	v_cmp_eq_u32_e64 s22, 1, v89
	v_cmp_eq_u32_e64 s24, 2, v89
	;; [unrolled: 1-line block ×3, first 2 shown]
	v_cndmask_b32_e64 v114, v104, v79, s23
	v_cmp_eq_u32_e64 s27, 4, v89
	v_cndmask_b32_e64 v74, v91, v74, s22
	v_cndmask_b32_e64 v91, v105, v97, s21
	;; [unrolled: 1-line block ×3, first 2 shown]
	ds_load_b128 v[103:106], v90 offset:1040
	v_cmp_eq_u32_e64 s29, 5, v89
	v_cndmask_b32_e64 v74, v74, v92, s24
	v_cndmask_b32_e64 v91, v91, v108, s23
	;; [unrolled: 1-line block ×3, first 2 shown]
	v_cmp_eq_u32_e64 s30, 6, v89
	v_cndmask_b32_e64 v95, v113, v109, s19
	v_cndmask_b32_e64 v74, v74, v78, s26
	;; [unrolled: 1-line block ×5, first 2 shown]
	s_waitcnt lgkmcnt(1)
	v_lshrrev_b32_e32 v96, 16, v99
	v_cndmask_b32_e64 v74, v74, v93, s27
	v_lshrrev_b32_e32 v107, 16, v100
	v_cndmask_b32_e64 v92, v92, v97, s27
	v_cmp_eq_u32_e64 s28, 7, v86
	v_cndmask_b32_e32 v93, v99, v96, vcc_lo
	v_cndmask_b32_e64 v74, v74, v79, s29
	s_delay_alu instid0(VALU_DEP_4)
	v_cndmask_b32_e64 v79, v92, v108, s29
	s_waitcnt lgkmcnt(0)
	v_lshrrev_b32_e32 v97, 16, v103
	v_cndmask_b32_e64 v92, v93, v100, s5
	v_cndmask_b32_e64 v93, v99, v96, s4
	;; [unrolled: 1-line block ×4, first 2 shown]
	v_cndmask_b32_e32 v108, v103, v97, vcc_lo
	v_cndmask_b32_e64 v92, v92, v107, s8
	v_cndmask_b32_e64 v93, v93, v100, s7
	v_lshrrev_b32_e32 v98, 16, v104
	v_cmp_eq_u32_e32 vcc_lo, 7, v89
	v_cndmask_b32_e64 v94, v108, v104, s5
	v_cndmask_b32_e64 v92, v92, v101, s10
	v_lshrrev_b32_e32 v108, 16, v101
	v_cndmask_b32_e64 v93, v93, v107, s9
	v_cndmask_b32_e32 v74, v74, v80, vcc_lo
	v_cndmask_b32_e64 v94, v94, v98, s8
	v_cndmask_b32_e32 v79, v79, v109, vcc_lo
	v_cndmask_b32_e64 v92, v92, v108, s11
	v_cndmask_b32_e64 v78, v78, v80, s28
	;; [unrolled: 1-line block ×4, first 2 shown]
	v_perm_b32 v94, v79, v74, 0x5040100
	v_cndmask_b32_e64 v79, v92, v102, s13
	v_perm_b32 v92, v95, v112, 0x5040100
	v_cndmask_b32_e64 v95, v99, v96, s6
	v_cndmask_b32_e64 v96, v99, v96, s22
	;; [unrolled: 1-line block ×16, first 2 shown]
	v_lshrrev_b32_e32 v109, 16, v105
	v_cndmask_b32_e64 v95, v95, v101, s21
	v_cndmask_b32_e64 v96, v96, v101, s27
	;; [unrolled: 1-line block ×6, first 2 shown]
	v_lshrrev_b32_e32 v80, 16, v102
	v_cndmask_b32_e64 v113, v93, v109, s11
	v_cndmask_b32_e64 v95, v95, v108, s23
	;; [unrolled: 1-line block ×6, first 2 shown]
	v_perm_b32 v93, v91, v78, 0x5040100
	v_cndmask_b32_e64 v74, v74, v102, s17
	v_cndmask_b32_e64 v78, v79, v80, s16
	;; [unrolled: 1-line block ×3, first 2 shown]
	v_lshrrev_b32_e32 v91, 16, v106
	v_cndmask_b32_e64 v95, v95, v102, s25
	v_cndmask_b32_e64 v96, v96, v102, s30
	;; [unrolled: 1-line block ×7, first 2 shown]
	v_cndmask_b32_e32 v80, v96, v80, vcc_lo
	v_cndmask_b32_e32 v96, v98, v91, vcc_lo
	v_cndmask_b32_e64 v99, v99, v91, s28
	v_cndmask_b32_e64 v100, v97, v91, s19
	;; [unrolled: 1-line block ×3, first 2 shown]
	v_perm_b32 v91, v111, v110, 0x5040100
	v_perm_b32 v98, v96, v80, 0x5040100
	v_perm_b32 v97, v99, v95, 0x5040100
	v_perm_b32 v96, v100, v74, 0x5040100
	v_perm_b32 v95, v79, v78, 0x5040100
	s_mul_i32 s9, s37, 9
	s_mov_b32 s4, exec_lo
	ds_store_b128 v77, v[91:94]
	ds_store_b128 v77, v[95:98] offset:1024
	v_cmpx_gt_u32_e32 9, v0
	s_cbranch_execz .LBB546_80
; %bb.79:
	s_mul_i32 s5, s9, s34
	s_load_b128 s[16:19], s[0:1], 0x58
	v_add3_u32 v77, s5, s31, v73
	s_delay_alu instid0(VALU_DEP_1) | instskip(NEXT) | instid1(VALU_DEP_1)
	v_mad_u64_u32 v[73:74], null, v77, s36, s[14:15]
	v_ashrrev_i32_e32 v74, 31, v73
	s_delay_alu instid0(VALU_DEP_1) | instskip(SKIP_1) | instid1(VALU_DEP_1)
	v_lshlrev_b64 v[73:74], 2, v[73:74]
	s_waitcnt lgkmcnt(0)
	v_add_co_u32 v77, vcc_lo, s18, v73
	s_delay_alu instid0(VALU_DEP_2)
	v_add_co_ci_u32_e32 v78, vcc_lo, s19, v74, vcc_lo
	v_add_co_u32 v73, vcc_lo, s16, v73
	v_add_co_ci_u32_e32 v74, vcc_lo, s17, v74, vcc_lo
	global_store_b32 v[77:78], v75, off
	global_store_b32 v[73:74], v76, off
.LBB546_80:
	s_or_b32 exec_lo, exec_lo, s4
	s_waitcnt lgkmcnt(0)
	s_waitcnt_vscnt null, 0x0
	s_barrier
	buffer_gl0_inv
	ds_load_b128 v[91:94], v85
	ds_load_b128 v[95:98], v85 offset:16
	ds_load_b128 v[103:106], v85 offset:1040
	ds_load_b128 v[99:102], v85 offset:1024
	v_mov_b32_e32 v73, 0
	ds_load_b128 v[111:114], v85 offset:2064
	ds_load_b128 v[107:110], v85 offset:2048
	;; [unrolled: 1-line block ×6, first 2 shown]
	v_mov_b32_e32 v74, v73
	v_mov_b32_e32 v75, v73
	;; [unrolled: 1-line block ×7, first 2 shown]
	s_waitcnt lgkmcnt(8)
	s_delay_alu instid0(VALU_DEP_1)
	v_wmma_f32_16x16x16_bf16 v[73:80], v[65:72], v[91:98], v[73:80]
	ds_load_b128 v[69:72], v85 offset:5136
	ds_load_b128 v[65:68], v85 offset:5120
	;; [unrolled: 1-line block ×4, first 2 shown]
	s_waitcnt lgkmcnt(10)
	v_wmma_f32_16x16x16_bf16 v[73:80], v[57:64], v[99:106], v[73:80]
	s_waitcnt lgkmcnt(8)
	s_delay_alu instid0(VALU_DEP_1)
	v_wmma_f32_16x16x16_bf16 v[73:80], v[57:64], v[107:114], v[73:80]
	ds_load_b128 v[61:64], v85 offset:7184
	ds_load_b128 v[57:60], v85 offset:7168
	;; [unrolled: 1-line block ×4, first 2 shown]
	s_waitcnt lgkmcnt(10)
	v_wmma_f32_16x16x16_bf16 v[73:80], v[49:56], v[115:122], v[73:80]
	s_waitcnt lgkmcnt(8)
	s_delay_alu instid0(VALU_DEP_1)
	v_wmma_f32_16x16x16_bf16 v[73:80], v[49:56], v[123:130], v[73:80]
	ds_load_b128 v[53:56], v85 offset:9232
	ds_load_b128 v[49:52], v85 offset:9216
	s_waitcnt lgkmcnt(8)
	v_wmma_f32_16x16x16_bf16 v[73:80], v[41:48], v[65:72], v[73:80]
	ds_load_b128 v[69:72], v85 offset:10256
	ds_load_b128 v[65:68], v85 offset:10240
	s_waitcnt lgkmcnt(8)
	;; [unrolled: 4-line block ×3, first 2 shown]
	v_wmma_f32_16x16x16_bf16 v[73:80], v[9:16], v[57:64], v[73:80]
	s_waitcnt lgkmcnt(6)
	s_delay_alu instid0(VALU_DEP_1)
	v_wmma_f32_16x16x16_bf16 v[73:80], v[9:16], v[99:106], v[73:80]
	ds_load_b128 v[13:16], v85 offset:12304
	ds_load_b128 v[9:12], v85 offset:12288
	s_waitcnt lgkmcnt(6)
	v_wmma_f32_16x16x16_bf16 v[73:80], v[1:8], v[49:56], v[73:80]
	ds_load_b128 v[53:56], v85 offset:13328
	ds_load_b128 v[49:52], v85 offset:13312
	s_waitcnt lgkmcnt(6)
	;; [unrolled: 4-line block ×4, first 2 shown]
	v_wmma_f32_16x16x16_bf16 v[73:80], v[33:40], v[9:16], v[73:80]
	s_waitcnt lgkmcnt(4)
	s_delay_alu instid0(VALU_DEP_1) | instskip(SKIP_1) | instid1(VALU_DEP_1)
	v_wmma_f32_16x16x16_bf16 v[73:80], v[25:32], v[49:56], v[73:80]
	s_waitcnt lgkmcnt(2)
	v_wmma_f32_16x16x16_bf16 v[73:80], v[25:32], v[1:8], v[73:80]
	s_waitcnt lgkmcnt(0)
	s_delay_alu instid0(VALU_DEP_1) | instskip(NEXT) | instid1(VALU_DEP_1)
	v_wmma_f32_16x16x16_bf16 v[73:80], v[17:24], v[41:48], v[73:80]
	v_and_b32_e32 v1, 0x7f800000, v73
	s_delay_alu instid0(VALU_DEP_1) | instskip(SKIP_1) | instid1(SALU_CYCLE_1)
	v_cmp_ne_u32_e32 vcc_lo, 0x7f800000, v1
                                        ; implicit-def: $vgpr1
	s_and_saveexec_b32 s4, vcc_lo
	s_xor_b32 s4, exec_lo, s4
; %bb.81:
	v_bfe_u32 v1, v73, 16, 1
	s_delay_alu instid0(VALU_DEP_1)
	v_add3_u32 v1, v73, v1, 0x7fff
; %bb.82:
	s_and_not1_saveexec_b32 s4, s4
; %bb.83:
	v_and_b32_e32 v1, 0xffff, v73
	v_or_b32_e32 v2, 0x10000, v73
	s_delay_alu instid0(VALU_DEP_2) | instskip(NEXT) | instid1(VALU_DEP_2)
	v_cmp_eq_u32_e32 vcc_lo, 0, v1
	v_cndmask_b32_e32 v1, v2, v73, vcc_lo
; %bb.84:
	s_or_b32 exec_lo, exec_lo, s4
	v_and_b32_e32 v2, 0x7f800000, v74
	s_delay_alu instid0(VALU_DEP_1) | instskip(SKIP_1) | instid1(SALU_CYCLE_1)
	v_cmp_ne_u32_e32 vcc_lo, 0x7f800000, v2
                                        ; implicit-def: $vgpr2
	s_and_saveexec_b32 s4, vcc_lo
	s_xor_b32 s4, exec_lo, s4
; %bb.85:
	v_bfe_u32 v2, v74, 16, 1
	s_delay_alu instid0(VALU_DEP_1)
	v_add3_u32 v2, v74, v2, 0x7fff
; %bb.86:
	s_and_not1_saveexec_b32 s4, s4
; %bb.87:
	v_and_b32_e32 v2, 0xffff, v74
	v_or_b32_e32 v3, 0x10000, v74
	s_delay_alu instid0(VALU_DEP_2) | instskip(NEXT) | instid1(VALU_DEP_2)
	v_cmp_eq_u32_e32 vcc_lo, 0, v2
	v_cndmask_b32_e32 v2, v3, v74, vcc_lo
; %bb.88:
	s_or_b32 exec_lo, exec_lo, s4
	v_and_b32_e32 v3, 0x7f800000, v75
	s_delay_alu instid0(VALU_DEP_1) | instskip(SKIP_1) | instid1(SALU_CYCLE_1)
	v_cmp_ne_u32_e32 vcc_lo, 0x7f800000, v3
                                        ; implicit-def: $vgpr3
	s_and_saveexec_b32 s4, vcc_lo
	s_xor_b32 s4, exec_lo, s4
; %bb.89:
	v_bfe_u32 v3, v75, 16, 1
	s_delay_alu instid0(VALU_DEP_1)
	v_add3_u32 v3, v75, v3, 0x7fff
; %bb.90:
	s_and_not1_saveexec_b32 s4, s4
; %bb.91:
	v_and_b32_e32 v3, 0xffff, v75
	v_or_b32_e32 v4, 0x10000, v75
	s_delay_alu instid0(VALU_DEP_2) | instskip(NEXT) | instid1(VALU_DEP_2)
	v_cmp_eq_u32_e32 vcc_lo, 0, v3
	v_cndmask_b32_e32 v3, v4, v75, vcc_lo
; %bb.92:
	s_or_b32 exec_lo, exec_lo, s4
	v_and_b32_e32 v4, 0x7f800000, v76
	s_delay_alu instid0(VALU_DEP_1) | instskip(SKIP_1) | instid1(SALU_CYCLE_1)
	v_cmp_ne_u32_e32 vcc_lo, 0x7f800000, v4
                                        ; implicit-def: $vgpr4
	s_and_saveexec_b32 s4, vcc_lo
	s_xor_b32 s4, exec_lo, s4
; %bb.93:
	v_bfe_u32 v4, v76, 16, 1
	s_delay_alu instid0(VALU_DEP_1)
	v_add3_u32 v4, v76, v4, 0x7fff
; %bb.94:
	s_and_not1_saveexec_b32 s4, s4
; %bb.95:
	v_and_b32_e32 v4, 0xffff, v76
	v_or_b32_e32 v5, 0x10000, v76
	s_delay_alu instid0(VALU_DEP_2) | instskip(NEXT) | instid1(VALU_DEP_2)
	v_cmp_eq_u32_e32 vcc_lo, 0, v4
	v_cndmask_b32_e32 v4, v5, v76, vcc_lo
; %bb.96:
	s_or_b32 exec_lo, exec_lo, s4
	v_and_b32_e32 v5, 0x7f800000, v77
	s_delay_alu instid0(VALU_DEP_1) | instskip(SKIP_1) | instid1(SALU_CYCLE_1)
	v_cmp_ne_u32_e32 vcc_lo, 0x7f800000, v5
                                        ; implicit-def: $vgpr5
	s_and_saveexec_b32 s4, vcc_lo
	s_xor_b32 s4, exec_lo, s4
; %bb.97:
	v_bfe_u32 v5, v77, 16, 1
	s_delay_alu instid0(VALU_DEP_1)
	v_add3_u32 v5, v77, v5, 0x7fff
; %bb.98:
	s_and_not1_saveexec_b32 s4, s4
; %bb.99:
	v_and_b32_e32 v5, 0xffff, v77
	v_or_b32_e32 v6, 0x10000, v77
	s_delay_alu instid0(VALU_DEP_2) | instskip(NEXT) | instid1(VALU_DEP_2)
	v_cmp_eq_u32_e32 vcc_lo, 0, v5
	v_cndmask_b32_e32 v5, v6, v77, vcc_lo
; %bb.100:
	s_or_b32 exec_lo, exec_lo, s4
	v_and_b32_e32 v6, 0x7f800000, v78
	s_delay_alu instid0(VALU_DEP_1) | instskip(SKIP_1) | instid1(SALU_CYCLE_1)
	v_cmp_ne_u32_e32 vcc_lo, 0x7f800000, v6
                                        ; implicit-def: $vgpr6
	s_and_saveexec_b32 s4, vcc_lo
	s_xor_b32 s4, exec_lo, s4
; %bb.101:
	v_bfe_u32 v6, v78, 16, 1
	s_delay_alu instid0(VALU_DEP_1)
	v_add3_u32 v6, v78, v6, 0x7fff
; %bb.102:
	s_and_not1_saveexec_b32 s4, s4
; %bb.103:
	v_and_b32_e32 v6, 0xffff, v78
	v_or_b32_e32 v7, 0x10000, v78
	s_delay_alu instid0(VALU_DEP_2) | instskip(NEXT) | instid1(VALU_DEP_2)
	v_cmp_eq_u32_e32 vcc_lo, 0, v6
	v_cndmask_b32_e32 v6, v7, v78, vcc_lo
; %bb.104:
	s_or_b32 exec_lo, exec_lo, s4
	v_and_b32_e32 v7, 0x7f800000, v79
	s_delay_alu instid0(VALU_DEP_1) | instskip(SKIP_1) | instid1(SALU_CYCLE_1)
	v_cmp_ne_u32_e32 vcc_lo, 0x7f800000, v7
                                        ; implicit-def: $vgpr7
	s_and_saveexec_b32 s4, vcc_lo
	s_xor_b32 s4, exec_lo, s4
; %bb.105:
	v_bfe_u32 v7, v79, 16, 1
	s_delay_alu instid0(VALU_DEP_1)
	v_add3_u32 v7, v79, v7, 0x7fff
; %bb.106:
	s_and_not1_saveexec_b32 s4, s4
; %bb.107:
	v_and_b32_e32 v7, 0xffff, v79
	v_or_b32_e32 v8, 0x10000, v79
	s_delay_alu instid0(VALU_DEP_2) | instskip(NEXT) | instid1(VALU_DEP_2)
	v_cmp_eq_u32_e32 vcc_lo, 0, v7
	v_cndmask_b32_e32 v7, v8, v79, vcc_lo
; %bb.108:
	s_or_b32 exec_lo, exec_lo, s4
	v_and_b32_e32 v8, 0x7f800000, v80
	s_delay_alu instid0(VALU_DEP_1) | instskip(SKIP_1) | instid1(SALU_CYCLE_1)
	v_cmp_ne_u32_e32 vcc_lo, 0x7f800000, v8
                                        ; implicit-def: $vgpr8
	s_and_saveexec_b32 s4, vcc_lo
	s_xor_b32 s4, exec_lo, s4
; %bb.109:
	v_bfe_u32 v8, v80, 16, 1
	s_delay_alu instid0(VALU_DEP_1)
	v_add3_u32 v8, v80, v8, 0x7fff
                                        ; implicit-def: $vgpr73_vgpr74_vgpr75_vgpr76_vgpr77_vgpr78_vgpr79_vgpr80
; %bb.110:
	s_and_not1_saveexec_b32 s4, s4
; %bb.111:
	v_and_b32_e32 v8, 0xffff, v80
	v_or_b32_e32 v9, 0x10000, v80
	s_delay_alu instid0(VALU_DEP_2) | instskip(NEXT) | instid1(VALU_DEP_2)
	v_cmp_eq_u32_e32 vcc_lo, 0, v8
	v_cndmask_b32_e32 v8, v9, v80, vcc_lo
; %bb.112:
	s_or_b32 exec_lo, exec_lo, s4
	s_delay_alu instid0(VALU_DEP_1)
	v_perm_b32 v7, v8, v7, 0x7060302
	v_perm_b32 v6, v6, v5, 0x7060302
	;; [unrolled: 1-line block ×4, first 2 shown]
	v_lshl_or_b32 v9, v83, 4, v90
	s_barrier
	buffer_gl0_inv
	v_cmp_eq_u32_e32 vcc_lo, 1, v87
	ds_store_b128 v9, v[4:7]
	s_waitcnt lgkmcnt(0)
	s_barrier
	buffer_gl0_inv
	ds_load_b128 v[1:4], v90
	ds_load_b128 v[5:8], v90 offset:16
	v_cmp_eq_u32_e64 s5, 2, v87
	v_cmp_eq_u32_e64 s4, 1, v88
	;; [unrolled: 1-line block ×5, first 2 shown]
	s_waitcnt lgkmcnt(1)
	v_lshrrev_b32_e32 v10, 16, v1
	s_waitcnt lgkmcnt(0)
	v_lshrrev_b32_e32 v14, 16, v5
	v_lshrrev_b32_e32 v15, 16, v6
	;; [unrolled: 1-line block ×4, first 2 shown]
	v_cndmask_b32_e64 v20, v1, v10, s4
	v_cndmask_b32_e32 v19, v5, v14, vcc_lo
	v_cndmask_b32_e64 v21, v5, v14, s4
	v_lshrrev_b32_e32 v16, 16, v7
	v_cmp_eq_u32_e64 s4, 1, v86
	v_lshrrev_b32_e32 v13, 16, v4
	v_cndmask_b32_e64 v19, v19, v6, s5
	v_lshrrev_b32_e32 v17, 16, v8
	s_delay_alu instid0(VALU_DEP_4) | instskip(SKIP_1) | instid1(VALU_DEP_4)
	v_cndmask_b32_e64 v22, v1, v10, s4
	v_cndmask_b32_e64 v23, v5, v14, s4
	;; [unrolled: 1-line block ×3, first 2 shown]
	v_cndmask_b32_e32 v18, v1, v10, vcc_lo
	v_cmp_eq_u32_e32 vcc_lo, 2, v88
	v_cmp_eq_u32_e64 s4, 2, v89
	v_cndmask_b32_e64 v22, v22, v2, s8
	v_cndmask_b32_e32 v20, v20, v2, vcc_lo
	v_cndmask_b32_e32 v21, v21, v6, vcc_lo
	v_cmp_eq_u32_e32 vcc_lo, 4, v87
	v_cndmask_b32_e32 v19, v19, v7, vcc_lo
	v_cndmask_b32_e64 v18, v18, v2, s5
	v_cmp_eq_u32_e64 s5, 3, v88
	s_delay_alu instid0(VALU_DEP_2) | instskip(NEXT) | instid1(VALU_DEP_2)
	v_cndmask_b32_e64 v18, v18, v11, s6
	v_cndmask_b32_e64 v21, v21, v15, s5
	v_cmp_eq_u32_e64 s6, 5, v87
	s_delay_alu instid0(VALU_DEP_3) | instskip(SKIP_1) | instid1(VALU_DEP_3)
	v_cndmask_b32_e32 v18, v18, v3, vcc_lo
	v_cmp_eq_u32_e32 vcc_lo, 4, v88
	v_cndmask_b32_e64 v19, v19, v16, s6
	s_delay_alu instid0(VALU_DEP_3) | instskip(SKIP_4) | instid1(VALU_DEP_3)
	v_cndmask_b32_e64 v18, v18, v12, s6
	v_cndmask_b32_e32 v21, v21, v7, vcc_lo
	v_cndmask_b32_e64 v20, v20, v11, s5
	v_cmp_eq_u32_e64 s5, 5, v88
	v_cmp_eq_u32_e64 s6, 6, v87
	v_cndmask_b32_e32 v20, v20, v3, vcc_lo
	s_delay_alu instid0(VALU_DEP_3) | instskip(SKIP_1) | instid1(VALU_DEP_4)
	v_cndmask_b32_e64 v21, v21, v16, s5
	v_cmp_eq_u32_e32 vcc_lo, 6, v88
	v_cndmask_b32_e64 v18, v18, v4, s6
	v_cndmask_b32_e64 v19, v19, v8, s6
	;; [unrolled: 1-line block ×3, first 2 shown]
	v_cmp_eq_u32_e64 s5, 1, v89
	v_cmp_eq_u32_e64 s6, 7, v87
	s_delay_alu instid0(VALU_DEP_3) | instskip(NEXT) | instid1(VALU_DEP_3)
	v_cndmask_b32_e32 v20, v20, v4, vcc_lo
	v_cndmask_b32_e64 v1, v1, v10, s5
	v_cndmask_b32_e64 v5, v5, v14, s5
	v_cmp_eq_u32_e64 s5, 3, v86
	v_cndmask_b32_e64 v14, v23, v6, s8
	v_cmp_eq_u32_e64 s8, 3, v89
	v_cndmask_b32_e64 v1, v1, v2, s4
	v_cndmask_b32_e64 v2, v5, v6, s4
	;; [unrolled: 1-line block ×3, first 2 shown]
	v_cmp_eq_u32_e64 s4, 4, v86
	v_cndmask_b32_e64 v6, v14, v15, s5
	v_cndmask_b32_e64 v1, v1, v11, s8
	v_cmp_eq_u32_e64 s5, 4, v89
	v_cndmask_b32_e64 v2, v2, v15, s8
	v_cndmask_b32_e64 v5, v10, v3, s4
	;; [unrolled: 3-line block ×3, first 2 shown]
	v_cndmask_b32_e64 v2, v2, v7, s5
	v_cmp_eq_u32_e64 s4, 5, v89
	v_cndmask_b32_e64 v5, v5, v12, s8
	v_cmp_eq_u32_e64 s5, 6, v86
	;; [unrolled: 2-line block ×3, first 2 shown]
	v_cndmask_b32_e64 v1, v1, v12, s4
	v_cndmask_b32_e64 v2, v2, v16, s4
	;; [unrolled: 1-line block ×4, first 2 shown]
	v_cmp_eq_u32_e64 s4, 7, v89
	v_cndmask_b32_e64 v1, v1, v4, s8
	v_cndmask_b32_e64 v2, v2, v8, s8
	v_cmp_eq_u32_e64 s5, 7, v86
	v_cndmask_b32_e32 v4, v21, v8, vcc_lo
	v_cndmask_b32_e64 v18, v18, v13, s6
	v_cndmask_b32_e64 v20, v20, v13, s7
	;; [unrolled: 1-line block ×8, first 2 shown]
	v_cmp_gt_u32_e32 vcc_lo, 32, v0
	v_perm_b32 v4, v2, v1, 0x5040100
	v_perm_b32 v3, v3, v5, 0x5040100
	;; [unrolled: 1-line block ×4, first 2 shown]
	s_and_b32 s2, vcc_lo, s2
	ds_store_b128 v9, v[1:4]
	s_waitcnt lgkmcnt(0)
	s_barrier
	buffer_gl0_inv
	s_and_saveexec_b32 s4, s2
	s_cbranch_execz .LBB546_2
; %bb.113:
	s_load_b64 s[4:5], s[0:1], 0x68
	v_lshlrev_b32_e32 v0, 10, v0
	v_lshlrev_b32_e32 v1, 4, v84
	s_lshl_b32 s0, s36, 6
	v_add_nc_u32_e32 v2, s31, v83
	s_mul_i32 s1, s0, s34
	s_delay_alu instid0(SALU_CYCLE_1) | instskip(SKIP_1) | instid1(VALU_DEP_2)
	s_mul_i32 s6, s1, s9
	v_and_or_b32 v0, 0x3800, v0, v1
	v_mul_lo_u32 v1, v2, s0
	s_ashr_i32 s7, s6, 31
	v_add_nc_u32_e32 v3, 2, v2
	s_lshl_b64 s[6:7], s[6:7], 1
	v_add_nc_u32_e32 v4, 4, v2
	v_add_nc_u32_e32 v5, 6, v2
	v_lshl_or_b32 v15, v83, 6, v0
	v_mul_lo_u32 v3, v3, s0
	v_ashrrev_i32_e32 v2, 31, v1
	v_mul_lo_u32 v19, v4, s0
	v_mul_lo_u32 v21, v5, s0
	s_waitcnt lgkmcnt(0)
	s_add_u32 s1, s4, s6
	s_addc_u32 s2, s5, s7
	s_lshl_b32 s4, s14, 6
	v_lshlrev_b64 v[5:6], 1, v[1:2]
	s_ashr_i32 s5, s4, 31
	v_ashrrev_i32_e32 v4, 31, v3
	s_lshl_b64 s[4:5], s[4:5], 1
	v_ashrrev_i32_e32 v20, 31, v19
	s_add_u32 s1, s1, s4
	s_addc_u32 s2, s2, s5
	v_add_co_u32 v1, vcc_lo, s1, v81
	v_add_co_ci_u32_e32 v2, vcc_lo, s2, v82, vcc_lo
	v_lshlrev_b64 v[25:26], 1, v[3:4]
	s_delay_alu instid0(VALU_DEP_3) | instskip(NEXT) | instid1(VALU_DEP_3)
	v_add_co_u32 v23, vcc_lo, v1, v5
	v_add_co_ci_u32_e32 v24, vcc_lo, v2, v6, vcc_lo
	ds_load_b128 v[3:6], v15
	ds_load_b128 v[7:10], v15 offset:128
	ds_load_b128 v[11:14], v15 offset:256
	;; [unrolled: 1-line block ×3, first 2 shown]
	v_ashrrev_i32_e32 v22, 31, v21
	v_lshlrev_b64 v[19:20], 1, v[19:20]
	v_add_co_u32 v25, vcc_lo, v1, v25
	v_add_co_ci_u32_e32 v26, vcc_lo, v2, v26, vcc_lo
	s_delay_alu instid0(VALU_DEP_4) | instskip(NEXT) | instid1(VALU_DEP_4)
	v_lshlrev_b64 v[21:22], 1, v[21:22]
	v_add_co_u32 v19, vcc_lo, v1, v19
	v_add_co_ci_u32_e32 v20, vcc_lo, v2, v20, vcc_lo
	s_delay_alu instid0(VALU_DEP_3) | instskip(NEXT) | instid1(VALU_DEP_4)
	v_add_co_u32 v21, vcc_lo, v1, v21
	v_add_co_ci_u32_e32 v22, vcc_lo, v2, v22, vcc_lo
	s_waitcnt lgkmcnt(3)
	global_store_b128 v[23:24], v[3:6], off
	s_waitcnt lgkmcnt(2)
	global_store_b128 v[25:26], v[7:10], off
	;; [unrolled: 2-line block ×4, first 2 shown]
	s_and_b32 exec_lo, exec_lo, s3
	s_cbranch_execz .LBB546_2
; %bb.114:
	ds_load_b128 v[3:6], v0 offset:512
	s_add_i32 s1, s31, 8
	s_delay_alu instid0(SALU_CYCLE_1) | instskip(NEXT) | instid1(SALU_CYCLE_1)
	s_mul_i32 s0, s1, s0
	s_ashr_i32 s1, s0, 31
	s_delay_alu instid0(SALU_CYCLE_1) | instskip(NEXT) | instid1(SALU_CYCLE_1)
	s_lshl_b64 s[0:1], s[0:1], 1
	v_add_co_u32 v0, vcc_lo, v1, s0
	v_add_co_ci_u32_e32 v1, vcc_lo, s1, v2, vcc_lo
	s_waitcnt lgkmcnt(0)
	global_store_b128 v[0:1], v[3:6], off
	s_nop 0
	s_sendmsg sendmsg(MSG_DEALLOC_VGPRS)
	s_endpgm
	.section	.rodata,"a",@progbits
	.p2align	6, 0x0
	.amdhsa_kernel _Z39paged_attention_ll4mi_QKV_mfma16_kernelI14__hip_bfloat16S0_LN4vllm18Fp8KVCacheDataTypeE0ES0_Li32ELi64ELi256ELb1ELi9EL8MFMAType0EEvPKT_PKT0_S9_ifPKiSB_SB_iPKfiiiPfSE_PS4_PT2_iSD_SD_
		.amdhsa_group_segment_fixed_size 17472
		.amdhsa_private_segment_fixed_size 0
		.amdhsa_kernarg_size 400
		.amdhsa_user_sgpr_count 13
		.amdhsa_user_sgpr_dispatch_ptr 0
		.amdhsa_user_sgpr_queue_ptr 0
		.amdhsa_user_sgpr_kernarg_segment_ptr 1
		.amdhsa_user_sgpr_dispatch_id 0
		.amdhsa_user_sgpr_private_segment_size 0
		.amdhsa_wavefront_size32 1
		.amdhsa_uses_dynamic_stack 0
		.amdhsa_enable_private_segment 0
		.amdhsa_system_sgpr_workgroup_id_x 1
		.amdhsa_system_sgpr_workgroup_id_y 1
		.amdhsa_system_sgpr_workgroup_id_z 1
		.amdhsa_system_sgpr_workgroup_info 0
		.amdhsa_system_vgpr_workitem_id 0
		.amdhsa_next_free_vgpr 142
		.amdhsa_next_free_sgpr 39
		.amdhsa_reserve_vcc 1
		.amdhsa_float_round_mode_32 0
		.amdhsa_float_round_mode_16_64 0
		.amdhsa_float_denorm_mode_32 3
		.amdhsa_float_denorm_mode_16_64 3
		.amdhsa_dx10_clamp 1
		.amdhsa_ieee_mode 1
		.amdhsa_fp16_overflow 0
		.amdhsa_workgroup_processor_mode 1
		.amdhsa_memory_ordered 1
		.amdhsa_forward_progress 0
		.amdhsa_shared_vgpr_count 0
		.amdhsa_exception_fp_ieee_invalid_op 0
		.amdhsa_exception_fp_denorm_src 0
		.amdhsa_exception_fp_ieee_div_zero 0
		.amdhsa_exception_fp_ieee_overflow 0
		.amdhsa_exception_fp_ieee_underflow 0
		.amdhsa_exception_fp_ieee_inexact 0
		.amdhsa_exception_int_div_zero 0
	.end_amdhsa_kernel
	.section	.text._Z39paged_attention_ll4mi_QKV_mfma16_kernelI14__hip_bfloat16S0_LN4vllm18Fp8KVCacheDataTypeE0ES0_Li32ELi64ELi256ELb1ELi9EL8MFMAType0EEvPKT_PKT0_S9_ifPKiSB_SB_iPKfiiiPfSE_PS4_PT2_iSD_SD_,"axG",@progbits,_Z39paged_attention_ll4mi_QKV_mfma16_kernelI14__hip_bfloat16S0_LN4vllm18Fp8KVCacheDataTypeE0ES0_Li32ELi64ELi256ELb1ELi9EL8MFMAType0EEvPKT_PKT0_S9_ifPKiSB_SB_iPKfiiiPfSE_PS4_PT2_iSD_SD_,comdat
.Lfunc_end546:
	.size	_Z39paged_attention_ll4mi_QKV_mfma16_kernelI14__hip_bfloat16S0_LN4vllm18Fp8KVCacheDataTypeE0ES0_Li32ELi64ELi256ELb1ELi9EL8MFMAType0EEvPKT_PKT0_S9_ifPKiSB_SB_iPKfiiiPfSE_PS4_PT2_iSD_SD_, .Lfunc_end546-_Z39paged_attention_ll4mi_QKV_mfma16_kernelI14__hip_bfloat16S0_LN4vllm18Fp8KVCacheDataTypeE0ES0_Li32ELi64ELi256ELb1ELi9EL8MFMAType0EEvPKT_PKT0_S9_ifPKiSB_SB_iPKfiiiPfSE_PS4_PT2_iSD_SD_
                                        ; -- End function
	.section	.AMDGPU.csdata,"",@progbits
; Kernel info:
; codeLenInByte = 9472
; NumSgprs: 41
; NumVgprs: 142
; ScratchSize: 0
; MemoryBound: 0
; FloatMode: 240
; IeeeMode: 1
; LDSByteSize: 17472 bytes/workgroup (compile time only)
; SGPRBlocks: 5
; VGPRBlocks: 17
; NumSGPRsForWavesPerEU: 41
; NumVGPRsForWavesPerEU: 142
; Occupancy: 10
; WaveLimiterHint : 1
; COMPUTE_PGM_RSRC2:SCRATCH_EN: 0
; COMPUTE_PGM_RSRC2:USER_SGPR: 13
; COMPUTE_PGM_RSRC2:TRAP_HANDLER: 0
; COMPUTE_PGM_RSRC2:TGID_X_EN: 1
; COMPUTE_PGM_RSRC2:TGID_Y_EN: 1
; COMPUTE_PGM_RSRC2:TGID_Z_EN: 1
; COMPUTE_PGM_RSRC2:TIDIG_COMP_CNT: 0
	.section	.text._Z39paged_attention_ll4mi_QKV_mfma16_kernelI14__hip_bfloat16S0_LN4vllm18Fp8KVCacheDataTypeE0ES0_Li32ELi64ELi256ELb1ELi10EL8MFMAType0EEvPKT_PKT0_S9_ifPKiSB_SB_iPKfiiiPfSE_PS4_PT2_iSD_SD_,"axG",@progbits,_Z39paged_attention_ll4mi_QKV_mfma16_kernelI14__hip_bfloat16S0_LN4vllm18Fp8KVCacheDataTypeE0ES0_Li32ELi64ELi256ELb1ELi10EL8MFMAType0EEvPKT_PKT0_S9_ifPKiSB_SB_iPKfiiiPfSE_PS4_PT2_iSD_SD_,comdat
	.protected	_Z39paged_attention_ll4mi_QKV_mfma16_kernelI14__hip_bfloat16S0_LN4vllm18Fp8KVCacheDataTypeE0ES0_Li32ELi64ELi256ELb1ELi10EL8MFMAType0EEvPKT_PKT0_S9_ifPKiSB_SB_iPKfiiiPfSE_PS4_PT2_iSD_SD_ ; -- Begin function _Z39paged_attention_ll4mi_QKV_mfma16_kernelI14__hip_bfloat16S0_LN4vllm18Fp8KVCacheDataTypeE0ES0_Li32ELi64ELi256ELb1ELi10EL8MFMAType0EEvPKT_PKT0_S9_ifPKiSB_SB_iPKfiiiPfSE_PS4_PT2_iSD_SD_
	.globl	_Z39paged_attention_ll4mi_QKV_mfma16_kernelI14__hip_bfloat16S0_LN4vllm18Fp8KVCacheDataTypeE0ES0_Li32ELi64ELi256ELb1ELi10EL8MFMAType0EEvPKT_PKT0_S9_ifPKiSB_SB_iPKfiiiPfSE_PS4_PT2_iSD_SD_
	.p2align	8
	.type	_Z39paged_attention_ll4mi_QKV_mfma16_kernelI14__hip_bfloat16S0_LN4vllm18Fp8KVCacheDataTypeE0ES0_Li32ELi64ELi256ELb1ELi10EL8MFMAType0EEvPKT_PKT0_S9_ifPKiSB_SB_iPKfiiiPfSE_PS4_PT2_iSD_SD_,@function
_Z39paged_attention_ll4mi_QKV_mfma16_kernelI14__hip_bfloat16S0_LN4vllm18Fp8KVCacheDataTypeE0ES0_Li32ELi64ELi256ELb1ELi10EL8MFMAType0EEvPKT_PKT0_S9_ifPKiSB_SB_iPKfiiiPfSE_PS4_PT2_iSD_SD_: ; @_Z39paged_attention_ll4mi_QKV_mfma16_kernelI14__hip_bfloat16S0_LN4vllm18Fp8KVCacheDataTypeE0ES0_Li32ELi64ELi256ELb1ELi10EL8MFMAType0EEvPKT_PKT0_S9_ifPKiSB_SB_iPKfiiiPfSE_PS4_PT2_iSD_SD_
; %bb.0:
	s_load_b64 s[2:3], s[0:1], 0x30
	s_mov_b32 s30, s13
	s_waitcnt lgkmcnt(0)
	s_cmp_lg_u64 s[2:3], 0
	s_cselect_b32 s6, -1, 0
	s_ashr_i32 s31, s13, 31
	s_cmp_eq_u64 s[2:3], 0
	s_cbranch_scc1 .LBB547_3
; %bb.1:
	s_lshl_b64 s[4:5], s[30:31], 2
	s_delay_alu instid0(SALU_CYCLE_1) | instskip(SKIP_4) | instid1(SALU_CYCLE_1)
	s_add_u32 s4, s2, s4
	s_addc_u32 s5, s3, s5
	s_load_b64 s[4:5], s[4:5], 0x0
	s_waitcnt lgkmcnt(0)
	s_sub_i32 s4, s5, s4
	s_cmp_eq_u32 s4, 1
	s_cselect_b32 s4, -1, 0
	s_delay_alu instid0(SALU_CYCLE_1)
	s_and_not1_b32 vcc_lo, exec_lo, s4
	s_cbranch_vccz .LBB547_4
.LBB547_2:
	s_endpgm
.LBB547_3:
.LBB547_4:
	s_load_b64 s[8:9], s[0:1], 0x28
	s_lshl_b64 s[4:5], s[30:31], 2
	s_waitcnt lgkmcnt(0)
	s_add_u32 s8, s8, s4
	s_addc_u32 s9, s9, s5
	s_lshl_b32 s16, s14, 8
	s_load_b32 s18, s[8:9], 0x0
	s_waitcnt lgkmcnt(0)
	s_cmp_ge_i32 s16, s18
	s_cbranch_scc1 .LBB547_2
; %bb.5:
	s_and_not1_b32 vcc_lo, exec_lo, s6
	s_cbranch_vccnz .LBB547_7
; %bb.6:
	s_add_u32 s2, s2, s4
	s_addc_u32 s3, s3, s5
	s_load_b32 s17, s[2:3], 0x0
	s_branch .LBB547_8
.LBB547_7:
	s_mov_b32 s17, s30
.LBB547_8:
	s_clause 0x2
	s_load_b128 s[8:11], s[0:1], 0x8
	s_load_b64 s[12:13], s[0:1], 0x20
	s_load_b128 s[4:7], s[0:1], 0x48
	v_and_b32_e32 v73, 15, v0
	v_cmp_lt_u32_e32 vcc_lo, 0x9f, v0
	s_delay_alu instid0(VALU_DEP_2) | instskip(SKIP_2) | instid1(VALU_DEP_3)
	v_cmp_lt_u32_e64 s3, 7, v73
	v_lshlrev_b32_e32 v1, 3, v73
	v_cmp_gt_u32_e64 s2, 8, v73
	s_or_b32 s3, vcc_lo, s3
	s_waitcnt lgkmcnt(0)
	s_and_saveexec_b32 s7, s3
	s_delay_alu instid0(SALU_CYCLE_1)
	s_xor_b32 s3, exec_lo, s7
; %bb.9:
	v_mov_b32_e32 v2, 0
; %bb.10:
	s_or_saveexec_b32 s3, s3
	v_lshrrev_b32_e32 v74, 5, v0
	v_and_b32_e32 v75, 31, v0
	v_and_b32_e32 v84, 1, v0
	v_bfe_u32 v83, v0, 4, 1
	s_mul_i32 s31, s15, 10
	s_xor_b32 exec_lo, exec_lo, s3
	s_cbranch_execz .LBB547_12
; %bb.11:
	s_load_b64 s[20:21], s[0:1], 0x0
	v_lshl_or_b32 v7, v74, 1, v83
	s_mul_hi_i32 s23, s17, s4
	s_mul_i32 s22, s17, s4
	v_lshlrev_b32_e32 v4, 1, v1
	s_lshl_b64 s[22:23], s[22:23], 1
	v_add_lshl_u32 v2, v7, s31, 6
	v_lshlrev_b32_e32 v7, 6, v7
	v_lshlrev_b32_e32 v8, 10, v84
	s_delay_alu instid0(VALU_DEP_3) | instskip(NEXT) | instid1(VALU_DEP_1)
	v_ashrrev_i32_e32 v3, 31, v2
	v_lshlrev_b64 v[2:3], 1, v[2:3]
	s_waitcnt lgkmcnt(0)
	s_add_u32 s4, s20, s22
	s_addc_u32 s7, s21, s23
	s_delay_alu instid0(VALU_DEP_1) | instskip(NEXT) | instid1(VALU_DEP_2)
	v_add_co_u32 v2, vcc_lo, s4, v2
	v_add_co_ci_u32_e32 v3, vcc_lo, s7, v3, vcc_lo
	s_delay_alu instid0(VALU_DEP_2) | instskip(NEXT) | instid1(VALU_DEP_2)
	v_add_co_u32 v2, vcc_lo, v2, v4
	v_add_co_ci_u32_e32 v3, vcc_lo, 0, v3, vcc_lo
	global_load_b128 v[3:6], v[2:3], off
	v_lshlrev_b32_e32 v2, 10, v73
	s_delay_alu instid0(VALU_DEP_1) | instskip(NEXT) | instid1(VALU_DEP_1)
	v_and_b32_e32 v2, 0x3800, v2
	v_or3_b32 v7, v2, v8, v7
	v_mov_b32_e32 v2, 0
	s_waitcnt vmcnt(0)
	ds_store_b128 v7, v[3:6]
.LBB547_12:
	s_or_b32 exec_lo, exec_lo, s3
	v_and_b32_e32 v3, 0xef, v0
	s_add_i32 s3, s18, 31
	s_clause 0x1
	s_load_b32 s4, s[0:1], 0x38
	s_load_b32 s19, s[0:1], 0x1c
	s_ashr_i32 s7, s3, 31
	v_add_nc_u32_e32 v3, s16, v3
	s_lshr_b32 s7, s7, 27
	s_waitcnt lgkmcnt(0)
	s_add_i32 s3, s3, s7
	s_barrier
	v_ashrrev_i32_e32 v4, 31, v3
	v_cmp_gt_i32_e32 vcc_lo, s18, v3
	s_ashr_i32 s3, s3, 5
	buffer_gl0_inv
	s_add_i32 s3, s3, -1
	v_lshrrev_b32_e32 v5, 27, v4
	v_or_b32_e32 v4, 16, v3
	s_mul_i32 s6, s15, s6
	v_lshlrev_b64 v[81:82], 1, v[1:2]
	s_delay_alu instid0(VALU_DEP_3) | instskip(NEXT) | instid1(VALU_DEP_3)
	v_add_nc_u32_e32 v6, v3, v5
	v_add_nc_u32_e32 v5, v4, v5
	s_mul_i32 s20, s30, s4
	s_delay_alu instid0(SALU_CYCLE_1) | instskip(NEXT) | instid1(VALU_DEP_2)
	s_ashr_i32 s21, s20, 31
	v_ashrrev_i32_e32 v6, 5, v6
	s_delay_alu instid0(VALU_DEP_2) | instskip(SKIP_1) | instid1(SALU_CYCLE_1)
	v_ashrrev_i32_e32 v5, 5, v5
	s_lshl_b64 s[20:21], s[20:21], 2
	s_add_u32 s4, s12, s20
	s_delay_alu instid0(VALU_DEP_2) | instskip(SKIP_3) | instid1(SALU_CYCLE_1)
	v_cndmask_b32_e32 v3, s3, v6, vcc_lo
	v_cmp_gt_i32_e32 vcc_lo, s18, v4
	s_addc_u32 s17, s13, s21
	s_ashr_i32 s7, s6, 31
	s_lshl_b64 s[6:7], s[6:7], 1
	v_cndmask_b32_e32 v5, s3, v5, vcc_lo
	v_ashrrev_i32_e32 v4, 31, v3
	s_add_u32 s15, s8, s6
	s_addc_u32 s28, s9, s7
	s_lshl_b32 s8, s14, 3
	v_ashrrev_i32_e32 v6, 31, v5
	v_lshlrev_b64 v[3:4], 2, v[3:4]
	s_ashr_i32 s9, s8, 31
	s_delay_alu instid0(SALU_CYCLE_1) | instskip(NEXT) | instid1(VALU_DEP_2)
	s_lshl_b64 s[8:9], s[8:9], 2
	v_lshlrev_b64 v[5:6], 2, v[5:6]
	s_add_u32 s8, s4, s8
	s_delay_alu instid0(VALU_DEP_2) | instskip(SKIP_1) | instid1(VALU_DEP_3)
	v_add_co_u32 v3, vcc_lo, s4, v3
	v_add_co_ci_u32_e32 v4, vcc_lo, s17, v4, vcc_lo
	v_add_co_u32 v5, vcc_lo, s4, v5
	s_delay_alu instid0(VALU_DEP_4)
	v_add_co_ci_u32_e32 v6, vcc_lo, s17, v6, vcc_lo
	s_addc_u32 s9, s17, s9
	s_clause 0x1
	global_load_b32 v7, v[3:4], off
	global_load_b32 v8, v[5:6], off
	s_or_b32 s12, s16, 32
	s_delay_alu instid0(SALU_CYCLE_1) | instskip(SKIP_2) | instid1(SALU_CYCLE_1)
	s_ashr_i32 s13, s12, 5
	s_cmp_lt_i32 s12, s18
	s_cselect_b32 s12, s13, s3
	s_ashr_i32 s13, s12, 31
	s_delay_alu instid0(SALU_CYCLE_1) | instskip(NEXT) | instid1(SALU_CYCLE_1)
	s_lshl_b64 s[12:13], s[12:13], 2
	s_add_u32 s12, s4, s12
	s_addc_u32 s13, s17, s13
	s_or_b32 s20, s16, 64
	s_delay_alu instid0(SALU_CYCLE_1) | instskip(SKIP_2) | instid1(SALU_CYCLE_1)
	s_ashr_i32 s21, s20, 5
	s_cmp_lt_i32 s20, s18
	s_cselect_b32 s20, s21, s3
	s_ashr_i32 s21, s20, 31
	s_delay_alu instid0(SALU_CYCLE_1) | instskip(NEXT) | instid1(SALU_CYCLE_1)
	s_lshl_b64 s[20:21], s[20:21], 2
	s_add_u32 s20, s4, s20
	s_addc_u32 s21, s17, s21
	;; [unrolled: 10-line block ×5, first 2 shown]
	s_clause 0x5
	s_load_b32 s29, s[8:9], 0x0
	s_load_b32 s33, s[12:13], 0x0
	;; [unrolled: 1-line block ×6, first 2 shown]
	s_mov_b32 s20, 0
	s_or_b32 s8, s16, 0xc0
	s_mov_b32 s21, s20
	s_mov_b32 s22, s20
	;; [unrolled: 1-line block ×7, first 2 shown]
	s_ashr_i32 s9, s8, 5
	v_mov_b32_e32 v117, s27
	s_cmp_lt_i32 s8, s18
	v_mov_b32_e32 v116, s26
	s_cselect_b32 s8, s9, s3
	v_mov_b32_e32 v115, s25
	s_ashr_i32 s9, s8, 31
	v_dual_mov_b32 v114, s24 :: v_dual_mov_b32 v113, s23
	v_dual_mov_b32 v112, s22 :: v_dual_mov_b32 v111, s21
	s_lshl_b64 s[8:9], s[8:9], 2
	s_waitcnt lgkmcnt(0)
	s_mul_hi_i32 s13, s29, s5
	s_add_u32 s8, s4, s8
	s_addc_u32 s9, s17, s9
	s_mul_i32 s12, s29, s5
	v_mov_b32_e32 v110, s20
	s_mul_hi_i32 s21, s33, s5
	s_mul_i32 s20, s33, s5
	s_mul_hi_i32 s25, s34, s5
	s_mul_i32 s24, s34, s5
	;; [unrolled: 2-line block ×4, first 2 shown]
	s_waitcnt vmcnt(1)
	v_mad_i64_i32 v[3:4], null, v7, s5, 0
	s_waitcnt vmcnt(0)
	v_mad_i64_i32 v[5:6], null, v8, s5, 0
	s_delay_alu instid0(VALU_DEP_2) | instskip(NEXT) | instid1(VALU_DEP_2)
	v_lshlrev_b64 v[3:4], 1, v[3:4]
	v_lshlrev_b64 v[1:2], 1, v[5:6]
	s_delay_alu instid0(VALU_DEP_2) | instskip(NEXT) | instid1(VALU_DEP_3)
	v_add_co_u32 v3, vcc_lo, s15, v3
	v_add_co_ci_u32_e32 v4, vcc_lo, s28, v4, vcc_lo
	s_delay_alu instid0(VALU_DEP_3) | instskip(NEXT) | instid1(VALU_DEP_4)
	v_add_co_u32 v1, vcc_lo, s15, v1
	v_add_co_ci_u32_e32 v2, vcc_lo, s28, v2, vcc_lo
	s_delay_alu instid0(VALU_DEP_4) | instskip(NEXT) | instid1(VALU_DEP_4)
	v_add_co_u32 v41, vcc_lo, v3, v81
	v_add_co_ci_u32_e32 v42, vcc_lo, v4, v82, vcc_lo
	s_delay_alu instid0(VALU_DEP_4) | instskip(NEXT) | instid1(VALU_DEP_4)
	v_add_co_u32 v43, vcc_lo, v1, v81
	v_add_co_ci_u32_e32 v44, vcc_lo, v2, v82, vcc_lo
	s_clause 0xf
	global_load_b128 v[1:4], v[41:42], off
	global_load_b128 v[5:8], v[41:42], off offset:512
	global_load_b128 v[9:12], v[43:44], off offset:256
	;; [unrolled: 1-line block ×15, first 2 shown]
	v_add_nc_u32_e32 v41, -10, v73
	v_cmp_gt_u32_e32 vcc_lo, 10, v73
	s_or_b32 s15, s16, 0xe0
	s_delay_alu instid0(SALU_CYCLE_1) | instskip(SKIP_3) | instid1(SALU_CYCLE_1)
	s_ashr_i32 s22, s15, 5
	s_cmp_lt_i32 s15, s18
	v_cndmask_b32_e32 v41, v41, v73, vcc_lo
	s_cselect_b32 s22, s22, s3
	s_ashr_i32 s23, s22, 31
	s_delay_alu instid0(VALU_DEP_1)
	v_lshlrev_b32_e32 v57, 6, v41
	ds_load_b128 v[41:44], v57
	ds_load_b128 v[45:48], v57 offset:1024
	ds_load_b128 v[49:52], v57 offset:2048
	;; [unrolled: 1-line block ×7, first 2 shown]
	s_lshl_b64 s[22:23], s[22:23], 2
	s_delay_alu instid0(SALU_CYCLE_1) | instskip(SKIP_2) | instid1(SALU_CYCLE_1)
	s_add_u32 s22, s4, s22
	s_addc_u32 s23, s17, s23
	s_add_i32 s15, s16, 0x100
	s_ashr_i32 s28, s15, 5
	s_cmp_lt_i32 s15, s18
	s_load_b32 s15, s[8:9], 0x0
	s_cselect_b32 s28, s28, s3
	s_mul_hi_i32 s9, s36, s5
	s_ashr_i32 s29, s28, 31
	s_mul_i32 s8, s36, s5
	s_lshl_b64 s[28:29], s[28:29], 2
	s_delay_alu instid0(SALU_CYCLE_1)
	s_add_u32 s28, s4, s28
	s_addc_u32 s29, s17, s29
	s_add_u32 s3, s10, s6
	s_clause 0x1
	s_load_b32 s4, s[22:23], 0x0
	s_load_b32 s17, s[28:29], 0x0
	s_addc_u32 s28, s11, s7
	s_lshl_b64 s[6:7], s[12:13], 1
	s_lshl_b64 s[10:11], s[20:21], 1
	;; [unrolled: 1-line block ×6, first 2 shown]
	s_waitcnt lgkmcnt(0)
	s_mul_hi_i32 s25, s15, s5
	s_mul_i32 s24, s15, s5
	s_waitcnt vmcnt(14)
	v_wmma_f32_16x16x16_bf16 v[134:141], v[1:8], v[41:48], v[110:117]
	s_waitcnt vmcnt(10)
	s_delay_alu instid0(VALU_DEP_1) | instskip(SKIP_1) | instid1(VALU_DEP_1)
	v_wmma_f32_16x16x16_bf16 v[134:141], v[17:24], v[49:56], v[134:141]
	s_waitcnt vmcnt(6)
	v_wmma_f32_16x16x16_bf16 v[134:141], v[33:40], v[118:125], v[134:141]
	s_waitcnt vmcnt(2)
	s_delay_alu instid0(VALU_DEP_1) | instskip(SKIP_1) | instid1(VALU_DEP_2)
	v_wmma_f32_16x16x16_bf16 v[134:141], v[94:101], v[126:133], v[134:141]
	v_lshlrev_b32_e32 v85, 6, v73
	v_mul_f32_e32 v100, s19, v141
	s_delay_alu instid0(VALU_DEP_2) | instskip(SKIP_2) | instid1(VALU_DEP_3)
	v_lshl_or_b32 v58, v74, 10, v85
	v_wmma_f32_16x16x16_bf16 v[110:117], v[9:16], v[41:48], v[110:117]
	v_mul_f32_e32 v99, s19, v135
	v_add_co_u32 v76, s3, s3, v58
	s_delay_alu instid0(VALU_DEP_1) | instskip(NEXT) | instid1(VALU_DEP_4)
	v_add_co_ci_u32_e64 v77, null, s28, 0, s3
	v_wmma_f32_16x16x16_bf16 v[110:117], v[25:32], v[49:56], v[110:117]
	s_delay_alu instid0(VALU_DEP_3) | instskip(NEXT) | instid1(VALU_DEP_3)
	v_add_co_u32 v57, vcc_lo, v76, s6
	v_add_co_ci_u32_e32 v58, vcc_lo, s7, v77, vcc_lo
	v_add_co_u32 v1, vcc_lo, v76, s10
	v_add_co_ci_u32_e32 v2, vcc_lo, s11, v77, vcc_lo
	;; [unrolled: 2-line block ×5, first 2 shown]
	s_clause 0x9
	global_load_b128 v[65:68], v[57:58], off
	global_load_b128 v[69:72], v[57:58], off offset:16
	global_load_b128 v[57:60], v[1:2], off
	global_load_b128 v[61:64], v[1:2], off offset:16
	;; [unrolled: 2-line block ×5, first 2 shown]
	v_add_co_u32 v5, vcc_lo, v76, s22
	s_lshl_b64 s[6:7], s[24:25], 1
	v_add_co_ci_u32_e32 v6, vcc_lo, s23, v77, vcc_lo
	s_mul_hi_i32 s9, s4, s5
	s_mul_i32 s8, s4, s5
	v_add_co_u32 v17, vcc_lo, v76, s6
	v_add_co_ci_u32_e32 v18, vcc_lo, s7, v77, vcc_lo
	s_lshl_b64 s[6:7], s[8:9], 1
	s_mul_hi_i32 s9, s17, s5
	s_mul_i32 s8, s17, s5
	v_add_co_u32 v19, vcc_lo, v76, s6
	s_lshl_b64 s[4:5], s[8:9], 1
	v_add_co_ci_u32_e32 v20, vcc_lo, s7, v77, vcc_lo
	v_add_co_u32 v21, vcc_lo, v76, s4
	v_add_co_ci_u32_e32 v22, vcc_lo, s5, v77, vcc_lo
	s_clause 0x7
	global_load_b128 v[1:4], v[5:6], off
	global_load_b128 v[5:8], v[5:6], off offset:16
	global_load_b128 v[33:36], v[17:18], off
	global_load_b128 v[37:40], v[17:18], off offset:16
	;; [unrolled: 2-line block ×4, first 2 shown]
	v_and_b32_e32 v76, 0xe0, v0
	v_mbcnt_lo_u32_b32 v77, -1, 0
	v_wmma_f32_16x16x16_bf16 v[110:117], v[86:93], v[118:125], v[110:117]
	s_waitcnt vmcnt(0)
	s_barrier
	v_add_nc_u32_e32 v76, s16, v76
	v_xor_b32_e32 v78, 16, v77
	v_wmma_f32_16x16x16_bf16 v[110:117], v[102:109], v[126:133], v[110:117]
	v_mul_f32_e32 v97, s19, v134
	buffer_gl0_inv
	v_or_b32_e32 v76, v76, v83
	v_cmp_gt_i32_e32 vcc_lo, 32, v78
	s_delay_alu instid0(VALU_DEP_2)
	v_or_b32_e32 v79, 4, v76
	v_cndmask_b32_e32 v77, v77, v78, vcc_lo
	v_or_b32_e32 v78, 2, v76
	v_or_b32_e32 v80, 6, v76
	v_cmp_gt_i32_e32 vcc_lo, s18, v76
	v_or_b32_e32 v86, 8, v76
	v_or_b32_e32 v87, 10, v76
	v_cmp_gt_i32_e64 s3, s18, v78
	v_or_b32_e32 v88, 12, v76
	v_or_b32_e32 v89, 14, v76
	;; [unrolled: 1-line block ×10, first 2 shown]
	v_cndmask_b32_e32 v76, 0xff7fffff, v97, vcc_lo
	v_cndmask_b32_e64 v78, 0xff7fffff, v99, s3
	v_mul_f32_e32 v99, s19, v137
	v_cmp_gt_i32_e64 s4, s18, v80
	v_mul_f32_e32 v80, s19, v136
	v_cmp_gt_i32_e64 s5, s18, v79
	v_max3_f32 v76, v76, 0xff7fffff, v78
	v_dual_mul_f32 v78, s19, v138 :: v_dual_mul_f32 v79, s19, v139
	v_cndmask_b32_e64 v99, 0xff7fffff, v99, s4
	s_delay_alu instid0(VALU_DEP_4)
	v_cndmask_b32_e64 v80, 0xff7fffff, v80, s5
	v_cmp_gt_i32_e64 s6, s18, v86
	v_cmp_gt_i32_e64 s7, s18, v87
	v_mul_f32_e32 v97, s19, v140
	v_cmp_gt_i32_e64 s8, s18, v89
	v_max3_f32 v76, v76, v80, v99
	v_cndmask_b32_e64 v78, 0xff7fffff, v78, s6
	v_cndmask_b32_e64 v79, 0xff7fffff, v79, s7
	v_cmp_gt_i32_e64 s9, s18, v88
	v_dual_mul_f32 v88, s19, v111 :: v_dual_mul_f32 v89, s19, v110
	v_cndmask_b32_e64 v100, 0xff7fffff, v100, s8
	s_delay_alu instid0(VALU_DEP_4) | instskip(NEXT) | instid1(VALU_DEP_4)
	v_max3_f32 v76, v76, v78, v79
	v_cndmask_b32_e64 v97, 0xff7fffff, v97, s9
	v_cmp_gt_i32_e64 s10, s18, v90
	v_cmp_gt_i32_e64 s11, s18, v91
	v_dual_mul_f32 v78, s19, v113 :: v_dual_mul_f32 v79, s19, v112
	s_delay_alu instid0(VALU_DEP_4) | instskip(NEXT) | instid1(VALU_DEP_4)
	v_max3_f32 v76, v76, v97, v100
	v_cndmask_b32_e64 v89, 0xff7fffff, v89, s10
	s_delay_alu instid0(VALU_DEP_4)
	v_cndmask_b32_e64 v88, 0xff7fffff, v88, s11
	v_cmp_gt_i32_e64 s12, s18, v92
	v_cmp_gt_i32_e64 s13, s18, v93
	v_mul_f32_e32 v87, s19, v115
	v_mul_f32_e32 v99, s19, v114
	v_max3_f32 v76, v76, v89, v88
	v_cndmask_b32_e64 v79, 0xff7fffff, v79, s12
	v_cndmask_b32_e64 v78, 0xff7fffff, v78, s13
	v_cmp_gt_i32_e64 s15, s18, v94
	v_cmp_gt_i32_e64 s16, s18, v95
	v_mul_f32_e32 v80, s19, v117
	v_mul_f32_e32 v86, s19, v116
	v_max3_f32 v76, v76, v79, v78
	v_cndmask_b32_e64 v88, 0xff7fffff, v99, s15
	v_cndmask_b32_e64 v87, 0xff7fffff, v87, s16
	v_cmp_gt_i32_e64 s17, s18, v96
	v_cmp_gt_i32_e64 s18, s18, v98
	v_lshlrev_b32_e32 v99, 2, v77
	s_delay_alu instid0(VALU_DEP_4) | instskip(NEXT) | instid1(VALU_DEP_4)
	v_max3_f32 v76, v76, v88, v87
	v_cndmask_b32_e64 v78, 0xff7fffff, v86, s17
	s_delay_alu instid0(VALU_DEP_4) | instskip(NEXT) | instid1(VALU_DEP_1)
	v_cndmask_b32_e64 v79, 0xff7fffff, v80, s18
	v_max3_f32 v76, v76, v78, v79
	ds_bpermute_b32 v77, v99, v76
	s_waitcnt lgkmcnt(0)
	v_max_f32_e32 v77, v77, v77
	s_delay_alu instid0(VALU_DEP_1) | instskip(NEXT) | instid1(VALU_DEP_1)
	v_max_f32_e32 v76, v76, v77
	v_fma_f32 v77, s19, v134, -v76
	v_fma_f32 v78, s19, v135, -v76
	;; [unrolled: 1-line block ×5, first 2 shown]
	s_delay_alu instid0(VALU_DEP_4) | instskip(SKIP_1) | instid1(VALU_DEP_4)
	v_dual_mul_f32 v77, 0x3fb8aa3b, v77 :: v_dual_mul_f32 v78, 0x3fb8aa3b, v78
	v_fma_f32 v88, s19, v114, -v76
	v_dual_mul_f32 v79, 0x3fb8aa3b, v79 :: v_dual_mul_f32 v80, 0x3fb8aa3b, v80
	s_delay_alu instid0(VALU_DEP_3) | instskip(NEXT) | instid1(VALU_DEP_3)
	v_exp_f32_e32 v77, v77
	v_exp_f32_e32 v78, v78
	s_delay_alu instid0(VALU_DEP_2) | instskip(NEXT) | instid1(VALU_DEP_2)
	v_mul_f32_e32 v88, 0x3fb8aa3b, v88
	v_exp_f32_e32 v79, v79
	v_mul_f32_e32 v86, 0x3fb8aa3b, v86
	v_exp_f32_e32 v80, v80
	v_fma_f32 v87, s19, v140, -v76
	v_fma_f32 v100, s19, v117, -v76
	;; [unrolled: 1-line block ×3, first 2 shown]
	v_exp_f32_e32 v86, v86
	v_cndmask_b32_e32 v92, 0, v77, vcc_lo
	v_fma_f32 v77, s19, v139, -v76
	v_cndmask_b32_e64 v91, 0, v78, s3
	v_cndmask_b32_e64 v93, 0, v79, s5
	v_fma_f32 v79, s19, v141, -v76
	s_delay_alu instid0(VALU_DEP_4) | instskip(SKIP_2) | instid1(TRANS32_DEP_1)
	v_dual_add_f32 v78, 0, v92 :: v_dual_mul_f32 v77, 0x3fb8aa3b, v77
	v_cndmask_b32_e64 v95, 0, v80, s4
	v_mul_f32_e32 v87, 0x3fb8aa3b, v87
	v_cndmask_b32_e64 v96, 0, v86, s6
	s_delay_alu instid0(VALU_DEP_4)
	v_add_f32_e32 v78, v78, v91
	v_exp_f32_e32 v77, v77
	v_fma_f32 v86, s19, v111, -v76
	v_fma_f32 v80, s19, v110, -v76
	v_exp_f32_e32 v87, v87
	v_add_f32_e32 v78, v78, v93
	v_mul_f32_e32 v100, 0x3fb8aa3b, v100
	v_mul_f32_e32 v86, 0x3fb8aa3b, v86
	;; [unrolled: 1-line block ×3, first 2 shown]
	v_exp_f32_e32 v88, v88
	v_add_f32_e32 v78, v78, v95
	v_cndmask_b32_e64 v97, 0, v77, s7
	v_exp_f32_e32 v86, v86
	v_exp_f32_e32 v80, v80
	v_cndmask_b32_e64 v94, 0, v87, s9
	v_add_f32_e32 v77, v78, v96
	v_fma_f32 v78, s19, v112, -v76
	v_fma_f32 v87, s19, v113, -v76
	v_exp_f32_e32 v100, v100
	s_mov_b32 s3, exec_lo
	s_delay_alu instid0(VALU_DEP_2) | instskip(NEXT) | instid1(VALU_DEP_2)
	v_dual_add_f32 v77, v77, v97 :: v_dual_mul_f32 v78, 0x3fb8aa3b, v78
	v_mul_f32_e32 v87, 0x3fb8aa3b, v87
	s_delay_alu instid0(VALU_DEP_2) | instskip(SKIP_2) | instid1(VALU_DEP_3)
	v_exp_f32_e32 v89, v78
	v_cndmask_b32_e64 v78, 0, v86, s11
	v_mul_f32_e32 v79, 0x3fb8aa3b, v79
	v_exp_f32_e32 v87, v87
	s_delay_alu instid0(VALU_DEP_1)
	v_exp_f32_e32 v79, v79
	s_waitcnt_depctr 0xfff
	v_cndmask_b32_e64 v98, 0, v79, s8
	v_add_f32_e32 v79, v77, v94
	v_cndmask_b32_e64 v77, 0, v80, s10
	v_fma_f32 v80, s19, v115, -v76
	s_delay_alu instid0(VALU_DEP_1) | instskip(NEXT) | instid1(VALU_DEP_1)
	v_dual_add_f32 v79, v79, v98 :: v_dual_mul_f32 v80, 0x3fb8aa3b, v80
	v_add_f32_e32 v86, v79, v77
	v_cndmask_b32_e64 v79, 0, v89, s12
	v_mul_f32_e32 v89, 0x3fb8aa3b, v90
	s_delay_alu instid0(VALU_DEP_4) | instskip(SKIP_2) | instid1(VALU_DEP_3)
	v_exp_f32_e32 v90, v80
	v_cndmask_b32_e64 v80, 0, v87, s13
	v_add_f32_e32 v86, v86, v78
	v_exp_f32_e32 v89, v89
	s_delay_alu instid0(VALU_DEP_1) | instskip(SKIP_1) | instid1(VALU_DEP_2)
	v_add_f32_e32 v87, v86, v79
	v_cndmask_b32_e64 v86, 0, v88, s15
	v_add_f32_e32 v88, v87, v80
	s_delay_alu instid0(TRANS32_DEP_2) | instskip(NEXT) | instid1(VALU_DEP_2)
	v_cndmask_b32_e64 v87, 0, v90, s16
	v_add_f32_e32 v90, v88, v86
	s_waitcnt_depctr 0xfff
	v_cndmask_b32_e64 v88, 0, v89, s17
	v_add_f32_e32 v89, v90, v87
	s_delay_alu instid0(VALU_DEP_1) | instskip(SKIP_1) | instid1(VALU_DEP_1)
	v_add_f32_e32 v90, v89, v88
	v_cndmask_b32_e64 v89, 0, v100, s18
	v_add_f32_e32 v90, v90, v89
	ds_bpermute_b32 v99, v99, v90
	v_cmpx_gt_u32_e32 16, v75
	s_cbranch_execz .LBB547_14
; %bb.13:
	v_mul_u32_u24_e32 v75, 0x44, v74
	s_waitcnt lgkmcnt(0)
	v_add_f32_e32 v90, v90, v99
	s_delay_alu instid0(VALU_DEP_2) | instskip(NEXT) | instid1(VALU_DEP_1)
	v_lshl_add_u32 v75, v73, 2, v75
	v_add_nc_u32_e32 v75, 0x4000, v75
	ds_store_2addr_b32 v75, v76, v90 offset1:136
.LBB547_14:
	s_or_b32 exec_lo, exec_lo, s3
	v_lshlrev_b32_e32 v75, 2, v73
	s_waitcnt lgkmcnt(0)
	s_barrier
	buffer_gl0_inv
	v_cmp_eq_u32_e64 s3, 1, v74
	v_add_nc_u32_e32 v90, 0x4000, v75
	ds_load_2addr_b32 v[99:100], v90 offset1:17
	ds_load_2addr_b32 v[101:102], v90 offset0:34 offset1:51
	ds_load_2addr_b32 v[103:104], v90 offset0:68 offset1:85
	ds_load_2addr_b32 v[105:106], v90 offset0:102 offset1:119
	ds_load_2addr_b32 v[107:108], v90 offset0:136 offset1:153
	s_waitcnt lgkmcnt(4)
	v_max3_f32 v75, v99, 0xff7fffff, v100
	s_waitcnt lgkmcnt(3)
	s_delay_alu instid0(VALU_DEP_1) | instskip(SKIP_1) | instid1(VALU_DEP_1)
	v_max3_f32 v75, v75, v101, v102
	s_waitcnt lgkmcnt(2)
	v_max3_f32 v75, v75, v103, v104
	s_waitcnt lgkmcnt(1)
	s_delay_alu instid0(VALU_DEP_1) | instskip(NEXT) | instid1(VALU_DEP_1)
	v_max3_f32 v75, v75, v105, v106
	v_sub_f32_e32 v109, v100, v75
	v_sub_f32_e32 v76, v99, v75
	ds_load_2addr_b32 v[99:100], v90 offset0:170 offset1:187
	v_sub_f32_e32 v101, v101, v75
	v_dual_mul_f32 v109, 0x3fb8aa3b, v109 :: v_dual_mul_f32 v76, 0x3fb8aa3b, v76
	s_delay_alu instid0(VALU_DEP_2) | instskip(NEXT) | instid1(VALU_DEP_2)
	v_mul_f32_e32 v111, 0x3fb8aa3b, v101
	v_exp_f32_e32 v109, v109
	s_delay_alu instid0(VALU_DEP_2)
	v_exp_f32_e32 v110, v76
	v_sub_f32_e32 v76, v102, v75
	ds_load_2addr_b32 v[101:102], v90 offset0:204 offset1:221
	v_exp_f32_e32 v111, v111
	v_mul_f32_e32 v112, 0x3fb8aa3b, v76
	s_waitcnt lgkmcnt(2)
	v_fma_f32 v76, v110, v107, 0
	v_sub_f32_e32 v103, v103, v75
	s_delay_alu instid0(VALU_DEP_3) | instskip(NEXT) | instid1(VALU_DEP_2)
	v_exp_f32_e32 v112, v112
	v_dual_sub_f32 v107, v104, v75 :: v_dual_fmac_f32 v76, v109, v108
	s_waitcnt lgkmcnt(1)
	s_waitcnt_depctr 0xfff
	v_fmac_f32_e32 v76, v111, v99
	v_mul_f32_e32 v113, 0x3fb8aa3b, v103
	ds_load_2addr_b32 v[103:104], v90 offset0:238 offset1:255
	v_sub_f32_e32 v90, v105, v75
	v_dual_sub_f32 v99, v106, v75 :: v_dual_fmac_f32 v76, v112, v100
	v_mul_f32_e32 v105, 0x3fb8aa3b, v107
	v_exp_f32_e32 v107, v113
	s_delay_alu instid0(VALU_DEP_2)
	v_dual_mul_f32 v90, 0x3fb8aa3b, v90 :: v_dual_mul_f32 v99, 0x3fb8aa3b, v99
	s_waitcnt lgkmcnt(0)
	s_barrier
	buffer_gl0_inv
	v_exp_f32_e32 v90, v90
	v_exp_f32_e32 v99, v99
	v_fmac_f32_e32 v76, v107, v101
	v_exp_f32_e32 v105, v105
	s_waitcnt_depctr 0xfff
	v_fmac_f32_e32 v76, v105, v102
	s_delay_alu instid0(VALU_DEP_1) | instskip(NEXT) | instid1(VALU_DEP_1)
	v_fmac_f32_e32 v76, v90, v103
	v_fmac_f32_e32 v76, v99, v104
	s_delay_alu instid0(VALU_DEP_1) | instskip(NEXT) | instid1(VALU_DEP_1)
	v_add_f32_e32 v100, 0x358637bd, v76
	v_div_scale_f32 v101, null, v100, v100, 1.0
	v_div_scale_f32 v104, vcc_lo, 1.0, v100, 1.0
	s_delay_alu instid0(VALU_DEP_2) | instskip(SKIP_2) | instid1(VALU_DEP_1)
	v_rcp_f32_e32 v102, v101
	s_waitcnt_depctr 0xfff
	v_fma_f32 v103, -v101, v102, 1.0
	v_fmac_f32_e32 v102, v103, v102
	v_cndmask_b32_e64 v103, v110, v109, s3
	v_cmp_eq_u32_e64 s3, 2, v74
	s_delay_alu instid0(VALU_DEP_3) | instskip(NEXT) | instid1(VALU_DEP_2)
	v_mul_f32_e32 v106, v104, v102
	v_cndmask_b32_e64 v103, v103, v111, s3
	v_cmp_eq_u32_e64 s3, 3, v74
	s_delay_alu instid0(VALU_DEP_3) | instskip(NEXT) | instid1(VALU_DEP_2)
	v_fma_f32 v108, -v101, v106, v104
	v_cndmask_b32_e64 v103, v103, v112, s3
	v_cmp_eq_u32_e64 s3, 4, v74
	s_delay_alu instid0(VALU_DEP_3) | instskip(NEXT) | instid1(VALU_DEP_2)
	v_fmac_f32_e32 v106, v108, v102
	v_cndmask_b32_e64 v103, v103, v107, s3
	s_delay_alu instid0(VALU_DEP_2) | instskip(SKIP_1) | instid1(VALU_DEP_2)
	v_fma_f32 v101, -v101, v106, v104
	v_cmp_eq_u32_e64 s3, 5, v74
	v_div_fmas_f32 v101, v101, v102, v106
	s_delay_alu instid0(VALU_DEP_2) | instskip(SKIP_2) | instid1(VALU_DEP_3)
	v_cndmask_b32_e64 v103, v103, v105, s3
	v_cmp_eq_u32_e32 vcc_lo, 6, v74
	s_mov_b32 s3, exec_lo
	v_div_fixup_f32 v100, v101, v100, 1.0
	s_delay_alu instid0(VALU_DEP_3) | instskip(SKIP_1) | instid1(VALU_DEP_2)
	v_cndmask_b32_e32 v90, v103, v90, vcc_lo
	v_cmp_eq_u32_e32 vcc_lo, 7, v74
	v_cndmask_b32_e32 v90, v90, v99, vcc_lo
	s_delay_alu instid0(VALU_DEP_1) | instskip(NEXT) | instid1(VALU_DEP_1)
	v_mul_f32_e32 v90, v90, v100
	v_mul_f32_e32 v100, v90, v92
	;; [unrolled: 1-line block ×6, first 2 shown]
	v_and_b32_e32 v101, 0x7f800000, v100
	v_mul_f32_e32 v99, v90, v95
	v_mul_f32_e32 v95, v90, v91
	;; [unrolled: 1-line block ×3, first 2 shown]
                                        ; implicit-def: $vgpr91
	s_delay_alu instid0(VALU_DEP_4)
	v_cmpx_ne_u32_e32 0x7f800000, v101
	s_xor_b32 s3, exec_lo, s3
; %bb.15:
	v_bfe_u32 v91, v100, 16, 1
	s_delay_alu instid0(VALU_DEP_1)
	v_add3_u32 v91, v100, v91, 0x7fff
                                        ; implicit-def: $vgpr100
; %bb.16:
	s_and_not1_saveexec_b32 s3, s3
; %bb.17:
	v_and_b32_e32 v91, 0xffff, v100
	v_or_b32_e32 v93, 0x10000, v100
	s_delay_alu instid0(VALU_DEP_2) | instskip(NEXT) | instid1(VALU_DEP_2)
	v_cmp_eq_u32_e32 vcc_lo, 0, v91
	v_cndmask_b32_e32 v91, v93, v100, vcc_lo
; %bb.18:
	s_or_b32 exec_lo, exec_lo, s3
	v_and_b32_e32 v93, 0x7f800000, v95
	s_delay_alu instid0(VALU_DEP_1) | instskip(SKIP_1) | instid1(SALU_CYCLE_1)
	v_cmp_ne_u32_e32 vcc_lo, 0x7f800000, v93
                                        ; implicit-def: $vgpr93
	s_and_saveexec_b32 s3, vcc_lo
	s_xor_b32 s3, exec_lo, s3
; %bb.19:
	v_bfe_u32 v93, v95, 16, 1
	s_delay_alu instid0(VALU_DEP_1)
	v_add3_u32 v93, v95, v93, 0x7fff
                                        ; implicit-def: $vgpr95
; %bb.20:
	s_and_not1_saveexec_b32 s3, s3
; %bb.21:
	v_and_b32_e32 v93, 0xffff, v95
	v_or_b32_e32 v100, 0x10000, v95
	s_delay_alu instid0(VALU_DEP_2) | instskip(NEXT) | instid1(VALU_DEP_2)
	v_cmp_eq_u32_e32 vcc_lo, 0, v93
	v_cndmask_b32_e32 v93, v100, v95, vcc_lo
; %bb.22:
	s_or_b32 exec_lo, exec_lo, s3
	v_and_b32_e32 v95, 0x7f800000, v96
	s_delay_alu instid0(VALU_DEP_1) | instskip(SKIP_1) | instid1(SALU_CYCLE_1)
	v_cmp_ne_u32_e32 vcc_lo, 0x7f800000, v95
                                        ; implicit-def: $vgpr95
	s_and_saveexec_b32 s3, vcc_lo
	s_xor_b32 s3, exec_lo, s3
; %bb.23:
	v_bfe_u32 v95, v96, 16, 1
	s_delay_alu instid0(VALU_DEP_1)
	v_add3_u32 v95, v96, v95, 0x7fff
                                        ; implicit-def: $vgpr96
; %bb.24:
	s_and_not1_saveexec_b32 s3, s3
; %bb.25:
	v_and_b32_e32 v95, 0xffff, v96
	v_or_b32_e32 v100, 0x10000, v96
	s_delay_alu instid0(VALU_DEP_2) | instskip(NEXT) | instid1(VALU_DEP_2)
	v_cmp_eq_u32_e32 vcc_lo, 0, v95
	v_cndmask_b32_e32 v95, v100, v96, vcc_lo
; %bb.26:
	s_or_b32 exec_lo, exec_lo, s3
	v_and_b32_e32 v96, 0x7f800000, v99
	s_delay_alu instid0(VALU_DEP_1) | instskip(SKIP_1) | instid1(SALU_CYCLE_1)
	v_cmp_ne_u32_e32 vcc_lo, 0x7f800000, v96
                                        ; implicit-def: $vgpr96
	s_and_saveexec_b32 s3, vcc_lo
	s_xor_b32 s3, exec_lo, s3
; %bb.27:
	v_bfe_u32 v96, v99, 16, 1
	s_delay_alu instid0(VALU_DEP_1)
	v_add3_u32 v96, v99, v96, 0x7fff
                                        ; implicit-def: $vgpr99
; %bb.28:
	s_and_not1_saveexec_b32 s3, s3
; %bb.29:
	v_and_b32_e32 v96, 0xffff, v99
	v_or_b32_e32 v100, 0x10000, v99
	s_delay_alu instid0(VALU_DEP_2) | instskip(NEXT) | instid1(VALU_DEP_2)
	v_cmp_eq_u32_e32 vcc_lo, 0, v96
	v_cndmask_b32_e32 v96, v100, v99, vcc_lo
; %bb.30:
	s_or_b32 exec_lo, exec_lo, s3
	v_and_b32_e32 v99, 0x7f800000, v98
	s_delay_alu instid0(VALU_DEP_1) | instskip(SKIP_1) | instid1(SALU_CYCLE_1)
	v_cmp_ne_u32_e32 vcc_lo, 0x7f800000, v99
                                        ; implicit-def: $vgpr99
	s_and_saveexec_b32 s3, vcc_lo
	s_xor_b32 s3, exec_lo, s3
; %bb.31:
	v_bfe_u32 v99, v98, 16, 1
	s_delay_alu instid0(VALU_DEP_1)
	v_add3_u32 v99, v98, v99, 0x7fff
                                        ; implicit-def: $vgpr98
; %bb.32:
	s_and_not1_saveexec_b32 s3, s3
; %bb.33:
	v_and_b32_e32 v99, 0xffff, v98
	v_or_b32_e32 v100, 0x10000, v98
	s_delay_alu instid0(VALU_DEP_2) | instskip(NEXT) | instid1(VALU_DEP_2)
	v_cmp_eq_u32_e32 vcc_lo, 0, v99
	v_cndmask_b32_e32 v99, v100, v98, vcc_lo
; %bb.34:
	s_or_b32 exec_lo, exec_lo, s3
	v_and_b32_e32 v98, 0x7f800000, v97
	s_delay_alu instid0(VALU_DEP_1) | instskip(SKIP_1) | instid1(SALU_CYCLE_1)
	v_cmp_ne_u32_e32 vcc_lo, 0x7f800000, v98
                                        ; implicit-def: $vgpr98
	s_and_saveexec_b32 s3, vcc_lo
	s_xor_b32 s3, exec_lo, s3
; %bb.35:
	v_bfe_u32 v98, v97, 16, 1
	s_delay_alu instid0(VALU_DEP_1)
	v_add3_u32 v98, v97, v98, 0x7fff
                                        ; implicit-def: $vgpr97
; %bb.36:
	s_and_not1_saveexec_b32 s3, s3
; %bb.37:
	v_and_b32_e32 v98, 0xffff, v97
	v_or_b32_e32 v100, 0x10000, v97
	s_delay_alu instid0(VALU_DEP_2) | instskip(NEXT) | instid1(VALU_DEP_2)
	v_cmp_eq_u32_e32 vcc_lo, 0, v98
	v_cndmask_b32_e32 v98, v100, v97, vcc_lo
; %bb.38:
	s_or_b32 exec_lo, exec_lo, s3
	v_and_b32_e32 v97, 0x7f800000, v94
	s_delay_alu instid0(VALU_DEP_1) | instskip(SKIP_1) | instid1(SALU_CYCLE_1)
	v_cmp_ne_u32_e32 vcc_lo, 0x7f800000, v97
                                        ; implicit-def: $vgpr97
	s_and_saveexec_b32 s3, vcc_lo
	s_xor_b32 s3, exec_lo, s3
; %bb.39:
	v_bfe_u32 v97, v94, 16, 1
	s_delay_alu instid0(VALU_DEP_1)
	v_add3_u32 v97, v94, v97, 0x7fff
                                        ; implicit-def: $vgpr94
; %bb.40:
	s_and_not1_saveexec_b32 s3, s3
; %bb.41:
	v_and_b32_e32 v97, 0xffff, v94
	v_or_b32_e32 v100, 0x10000, v94
	s_delay_alu instid0(VALU_DEP_2) | instskip(NEXT) | instid1(VALU_DEP_2)
	v_cmp_eq_u32_e32 vcc_lo, 0, v97
	v_cndmask_b32_e32 v97, v100, v94, vcc_lo
; %bb.42:
	s_or_b32 exec_lo, exec_lo, s3
	v_and_b32_e32 v94, 0x7f800000, v92
	s_delay_alu instid0(VALU_DEP_1) | instskip(SKIP_1) | instid1(SALU_CYCLE_1)
	v_cmp_ne_u32_e32 vcc_lo, 0x7f800000, v94
                                        ; implicit-def: $vgpr94
	s_and_saveexec_b32 s3, vcc_lo
	s_xor_b32 s3, exec_lo, s3
; %bb.43:
	v_bfe_u32 v94, v92, 16, 1
	s_delay_alu instid0(VALU_DEP_1)
	v_add3_u32 v94, v92, v94, 0x7fff
                                        ; implicit-def: $vgpr92
; %bb.44:
	s_and_not1_saveexec_b32 s3, s3
; %bb.45:
	v_and_b32_e32 v94, 0xffff, v92
	v_or_b32_e32 v100, 0x10000, v92
	s_delay_alu instid0(VALU_DEP_2) | instskip(NEXT) | instid1(VALU_DEP_2)
	v_cmp_eq_u32_e32 vcc_lo, 0, v94
	v_cndmask_b32_e32 v94, v100, v92, vcc_lo
; %bb.46:
	s_or_b32 exec_lo, exec_lo, s3
	s_load_b64 s[34:35], s[0:1], 0x94
	v_lshlrev_b32_e32 v92, 4, v83
	s_delay_alu instid0(VALU_DEP_2)
	v_perm_b32 v100, v94, v97, 0x7060302
	v_dual_mul_f32 v89, v90, v89 :: v_dual_lshlrev_b32 v94, 11, v74
	v_perm_b32 v97, v93, v91, 0x7060302
	v_mul_f32_e32 v93, v90, v77
	v_perm_b32 v99, v98, v99, 0x7060302
	v_perm_b32 v98, v96, v95, 0x7060302
	v_or3_b32 v77, v92, v94, v85
	v_mul_f32_e32 v88, v90, v88
	v_dual_mul_f32 v87, v90, v87 :: v_dual_and_b32 v94, 0x7f800000, v93
	v_mul_f32_e32 v86, v90, v86
	v_mul_f32_e32 v91, v90, v80
	;; [unrolled: 1-line block ×4, first 2 shown]
	s_mov_b32 s3, exec_lo
	ds_store_b128 v77, v[97:100]
                                        ; implicit-def: $vgpr78
	v_cmpx_ne_u32_e32 0x7f800000, v94
	s_xor_b32 s3, exec_lo, s3
; %bb.47:
	v_bfe_u32 v78, v93, 16, 1
	s_delay_alu instid0(VALU_DEP_1)
	v_add3_u32 v78, v93, v78, 0x7fff
                                        ; implicit-def: $vgpr93
; %bb.48:
	s_and_not1_saveexec_b32 s3, s3
; %bb.49:
	v_and_b32_e32 v78, 0xffff, v93
	v_or_b32_e32 v79, 0x10000, v93
	s_delay_alu instid0(VALU_DEP_2) | instskip(NEXT) | instid1(VALU_DEP_2)
	v_cmp_eq_u32_e32 vcc_lo, 0, v78
	v_cndmask_b32_e32 v78, v79, v93, vcc_lo
; %bb.50:
	s_or_b32 exec_lo, exec_lo, s3
	v_and_b32_e32 v79, 0x7f800000, v80
	s_delay_alu instid0(VALU_DEP_1) | instskip(SKIP_1) | instid1(SALU_CYCLE_1)
	v_cmp_ne_u32_e32 vcc_lo, 0x7f800000, v79
                                        ; implicit-def: $vgpr79
	s_and_saveexec_b32 s3, vcc_lo
	s_xor_b32 s3, exec_lo, s3
; %bb.51:
	v_bfe_u32 v79, v80, 16, 1
	s_delay_alu instid0(VALU_DEP_1)
	v_add3_u32 v79, v80, v79, 0x7fff
                                        ; implicit-def: $vgpr80
; %bb.52:
	s_and_not1_saveexec_b32 s3, s3
; %bb.53:
	v_and_b32_e32 v79, 0xffff, v80
	v_or_b32_e32 v90, 0x10000, v80
	s_delay_alu instid0(VALU_DEP_2) | instskip(NEXT) | instid1(VALU_DEP_2)
	v_cmp_eq_u32_e32 vcc_lo, 0, v79
	v_cndmask_b32_e32 v79, v90, v80, vcc_lo
; %bb.54:
	s_or_b32 exec_lo, exec_lo, s3
	v_and_b32_e32 v80, 0x7f800000, v92
	s_delay_alu instid0(VALU_DEP_1) | instskip(SKIP_1) | instid1(SALU_CYCLE_1)
	v_cmp_ne_u32_e32 vcc_lo, 0x7f800000, v80
                                        ; implicit-def: $vgpr80
	s_and_saveexec_b32 s3, vcc_lo
	s_xor_b32 s3, exec_lo, s3
; %bb.55:
	v_bfe_u32 v80, v92, 16, 1
	s_delay_alu instid0(VALU_DEP_1)
	v_add3_u32 v80, v92, v80, 0x7fff
                                        ; implicit-def: $vgpr92
; %bb.56:
	s_and_not1_saveexec_b32 s3, s3
; %bb.57:
	v_and_b32_e32 v80, 0xffff, v92
	v_or_b32_e32 v90, 0x10000, v92
	s_delay_alu instid0(VALU_DEP_2) | instskip(NEXT) | instid1(VALU_DEP_2)
	v_cmp_eq_u32_e32 vcc_lo, 0, v80
	v_cndmask_b32_e32 v80, v90, v92, vcc_lo
; %bb.58:
	s_or_b32 exec_lo, exec_lo, s3
	v_and_b32_e32 v90, 0x7f800000, v91
	s_delay_alu instid0(VALU_DEP_1) | instskip(SKIP_1) | instid1(SALU_CYCLE_1)
	v_cmp_ne_u32_e32 vcc_lo, 0x7f800000, v90
                                        ; implicit-def: $vgpr90
	s_and_saveexec_b32 s3, vcc_lo
	s_xor_b32 s3, exec_lo, s3
; %bb.59:
	v_bfe_u32 v90, v91, 16, 1
	s_delay_alu instid0(VALU_DEP_1)
	v_add3_u32 v90, v91, v90, 0x7fff
                                        ; implicit-def: $vgpr91
; %bb.60:
	s_and_not1_saveexec_b32 s3, s3
; %bb.61:
	v_and_b32_e32 v90, 0xffff, v91
	v_or_b32_e32 v92, 0x10000, v91
	s_delay_alu instid0(VALU_DEP_2) | instskip(NEXT) | instid1(VALU_DEP_2)
	v_cmp_eq_u32_e32 vcc_lo, 0, v90
	v_cndmask_b32_e32 v90, v92, v91, vcc_lo
; %bb.62:
	s_or_b32 exec_lo, exec_lo, s3
	v_and_b32_e32 v91, 0x7f800000, v86
	s_delay_alu instid0(VALU_DEP_1) | instskip(SKIP_1) | instid1(SALU_CYCLE_1)
	v_cmp_ne_u32_e32 vcc_lo, 0x7f800000, v91
                                        ; implicit-def: $vgpr91
	s_and_saveexec_b32 s3, vcc_lo
	s_xor_b32 s3, exec_lo, s3
; %bb.63:
	v_bfe_u32 v91, v86, 16, 1
	s_delay_alu instid0(VALU_DEP_1)
	v_add3_u32 v91, v86, v91, 0x7fff
                                        ; implicit-def: $vgpr86
; %bb.64:
	s_and_not1_saveexec_b32 s3, s3
; %bb.65:
	v_and_b32_e32 v91, 0xffff, v86
	v_or_b32_e32 v92, 0x10000, v86
	s_delay_alu instid0(VALU_DEP_2) | instskip(NEXT) | instid1(VALU_DEP_2)
	v_cmp_eq_u32_e32 vcc_lo, 0, v91
	v_cndmask_b32_e32 v91, v92, v86, vcc_lo
; %bb.66:
	s_or_b32 exec_lo, exec_lo, s3
	v_and_b32_e32 v86, 0x7f800000, v87
	s_delay_alu instid0(VALU_DEP_1) | instskip(SKIP_1) | instid1(SALU_CYCLE_1)
	v_cmp_ne_u32_e32 vcc_lo, 0x7f800000, v86
                                        ; implicit-def: $vgpr86
	s_and_saveexec_b32 s3, vcc_lo
	s_xor_b32 s3, exec_lo, s3
; %bb.67:
	v_bfe_u32 v86, v87, 16, 1
	s_delay_alu instid0(VALU_DEP_1)
	v_add3_u32 v86, v87, v86, 0x7fff
                                        ; implicit-def: $vgpr87
; %bb.68:
	s_and_not1_saveexec_b32 s3, s3
; %bb.69:
	v_and_b32_e32 v86, 0xffff, v87
	v_or_b32_e32 v92, 0x10000, v87
	s_delay_alu instid0(VALU_DEP_2) | instskip(NEXT) | instid1(VALU_DEP_2)
	v_cmp_eq_u32_e32 vcc_lo, 0, v86
	v_cndmask_b32_e32 v86, v92, v87, vcc_lo
; %bb.70:
	s_or_b32 exec_lo, exec_lo, s3
	v_and_b32_e32 v87, 0x7f800000, v88
	s_delay_alu instid0(VALU_DEP_1) | instskip(SKIP_1) | instid1(SALU_CYCLE_1)
	v_cmp_ne_u32_e32 vcc_lo, 0x7f800000, v87
                                        ; implicit-def: $vgpr87
	s_and_saveexec_b32 s3, vcc_lo
	s_xor_b32 s3, exec_lo, s3
; %bb.71:
	v_bfe_u32 v87, v88, 16, 1
	s_delay_alu instid0(VALU_DEP_1)
	v_add3_u32 v87, v88, v87, 0x7fff
                                        ; implicit-def: $vgpr88
; %bb.72:
	s_and_not1_saveexec_b32 s3, s3
; %bb.73:
	v_and_b32_e32 v87, 0xffff, v88
	v_or_b32_e32 v92, 0x10000, v88
	s_delay_alu instid0(VALU_DEP_2) | instskip(NEXT) | instid1(VALU_DEP_2)
	v_cmp_eq_u32_e32 vcc_lo, 0, v87
	v_cndmask_b32_e32 v87, v92, v88, vcc_lo
; %bb.74:
	s_or_b32 exec_lo, exec_lo, s3
	v_and_b32_e32 v88, 0x7f800000, v89
	s_delay_alu instid0(VALU_DEP_1) | instskip(SKIP_1) | instid1(SALU_CYCLE_1)
	v_cmp_ne_u32_e32 vcc_lo, 0x7f800000, v88
                                        ; implicit-def: $vgpr88
	s_and_saveexec_b32 s3, vcc_lo
	s_xor_b32 s3, exec_lo, s3
; %bb.75:
	v_bfe_u32 v88, v89, 16, 1
	s_delay_alu instid0(VALU_DEP_1)
	v_add3_u32 v88, v89, v88, 0x7fff
                                        ; implicit-def: $vgpr89
; %bb.76:
	s_and_not1_saveexec_b32 s3, s3
; %bb.77:
	v_and_b32_e32 v88, 0xffff, v89
	v_or_b32_e32 v92, 0x10000, v89
	s_delay_alu instid0(VALU_DEP_2) | instskip(NEXT) | instid1(VALU_DEP_2)
	v_cmp_eq_u32_e32 vcc_lo, 0, v88
	v_cndmask_b32_e32 v88, v92, v89, vcc_lo
; %bb.78:
	s_or_b32 exec_lo, exec_lo, s3
	s_delay_alu instid0(VALU_DEP_1)
	v_perm_b32 v89, v88, v87, 0x7060302
	v_perm_b32 v88, v86, v91, 0x7060302
	v_perm_b32 v87, v90, v80, 0x7060302
	v_perm_b32 v86, v79, v78, 0x7060302
	v_lshl_or_b32 v90, v74, 11, v85
	ds_store_b128 v77, v[86:89] offset:1024
	s_waitcnt lgkmcnt(0)
	s_barrier
	buffer_gl0_inv
	ds_load_b128 v[91:94], v90
	ds_load_b128 v[95:98], v90 offset:16
	v_lshlrev_b32_e32 v87, 2, v83
	s_delay_alu instid0(VALU_DEP_1)
	v_or_b32_e32 v88, 1, v87
	v_cmp_eq_u32_e32 vcc_lo, 1, v87
	v_cmp_eq_u32_e64 s4, 2, v87
	v_cmp_eq_u32_e64 s7, 3, v87
	;; [unrolled: 1-line block ×6, first 2 shown]
	v_or_b32_e32 v86, 2, v87
	v_cmp_eq_u32_e64 s10, 5, v87
	v_cmp_eq_u32_e64 s11, 4, v88
	;; [unrolled: 1-line block ×4, first 2 shown]
	s_waitcnt lgkmcnt(1)
	v_lshrrev_b32_e32 v74, 16, v91
	s_waitcnt lgkmcnt(0)
	v_lshrrev_b32_e32 v103, 16, v95
	v_lshrrev_b32_e32 v80, 16, v94
	;; [unrolled: 1-line block ×4, first 2 shown]
	v_cndmask_b32_e32 v89, v91, v74, vcc_lo
	v_cndmask_b32_e32 v99, v95, v103, vcc_lo
	v_cndmask_b32_e64 v100, v91, v74, s3
	v_lshrrev_b32_e32 v79, 16, v93
	v_lshrrev_b32_e32 v108, 16, v97
	v_cndmask_b32_e64 v89, v89, v92, s4
	v_cndmask_b32_e64 v99, v99, v96, s4
	;; [unrolled: 1-line block ×4, first 2 shown]
	v_cmp_eq_u32_e64 s5, 1, v86
	v_cndmask_b32_e64 v89, v89, v78, s7
	v_cndmask_b32_e64 v99, v99, v107, s7
	;; [unrolled: 1-line block ×4, first 2 shown]
	v_lshrrev_b32_e32 v109, 16, v98
	v_cndmask_b32_e64 v89, v89, v93, s9
	v_cndmask_b32_e64 v99, v99, v97, s9
	;; [unrolled: 1-line block ×8, first 2 shown]
	v_cmp_eq_u32_e64 s15, 7, v87
	v_cmp_eq_u32_e64 s16, 6, v88
	v_cndmask_b32_e64 v89, v89, v94, s12
	v_cndmask_b32_e64 v99, v99, v98, s12
	v_cmp_eq_u32_e64 s17, 2, v86
	v_cndmask_b32_e64 v101, v101, v97, s11
	v_cndmask_b32_e64 v100, v100, v94, s16
	;; [unrolled: 1-line block ×6, first 2 shown]
	v_cmp_eq_u32_e64 s18, 7, v88
	v_cmp_eq_u32_e64 s19, 3, v86
	;; [unrolled: 1-line block ×4, first 2 shown]
	v_cndmask_b32_e64 v99, v99, v96, s17
	v_cndmask_b32_e64 v112, v100, v80, s18
	;; [unrolled: 1-line block ×4, first 2 shown]
	v_or_b32_e32 v89, 3, v87
	v_cndmask_b32_e64 v105, v99, v107, s19
	v_cmp_eq_u32_e64 s24, 6, v86
	v_cndmask_b32_e64 v113, v100, v98, s16
	v_cndmask_b32_e64 v104, v101, v93, s20
	ds_load_b128 v[99:102], v90 offset:1024
	v_cmp_eq_u32_e64 s21, 1, v89
	v_cmp_eq_u32_e64 s23, 2, v89
	;; [unrolled: 1-line block ×3, first 2 shown]
	v_cndmask_b32_e64 v114, v104, v79, s22
	v_cmp_eq_u32_e64 s26, 4, v89
	v_cndmask_b32_e64 v74, v91, v74, s21
	v_cndmask_b32_e64 v91, v105, v97, s20
	;; [unrolled: 1-line block ×3, first 2 shown]
	ds_load_b128 v[103:106], v90 offset:1040
	v_cmp_eq_u32_e64 s28, 5, v89
	v_cndmask_b32_e64 v74, v74, v92, s23
	v_cndmask_b32_e64 v91, v91, v108, s22
	;; [unrolled: 1-line block ×3, first 2 shown]
	v_cmp_eq_u32_e64 s29, 6, v89
	v_cndmask_b32_e64 v95, v113, v109, s18
	v_cndmask_b32_e64 v74, v74, v78, s25
	;; [unrolled: 1-line block ×5, first 2 shown]
	s_waitcnt lgkmcnt(1)
	v_lshrrev_b32_e32 v96, 16, v99
	v_cndmask_b32_e64 v74, v74, v93, s26
	v_lshrrev_b32_e32 v107, 16, v100
	v_cndmask_b32_e64 v92, v92, v97, s26
	v_cmp_eq_u32_e64 s27, 7, v86
	v_cndmask_b32_e32 v93, v99, v96, vcc_lo
	v_cndmask_b32_e64 v74, v74, v79, s28
	s_delay_alu instid0(VALU_DEP_4)
	v_cndmask_b32_e64 v79, v92, v108, s28
	s_waitcnt lgkmcnt(0)
	v_lshrrev_b32_e32 v97, 16, v103
	v_cndmask_b32_e64 v92, v93, v100, s4
	v_cndmask_b32_e64 v93, v99, v96, s3
	;; [unrolled: 1-line block ×4, first 2 shown]
	v_cndmask_b32_e32 v108, v103, v97, vcc_lo
	v_cndmask_b32_e64 v92, v92, v107, s7
	v_cndmask_b32_e64 v93, v93, v100, s6
	v_lshrrev_b32_e32 v98, 16, v104
	v_cmp_eq_u32_e32 vcc_lo, 7, v89
	v_cndmask_b32_e64 v94, v108, v104, s4
	v_cndmask_b32_e64 v92, v92, v101, s9
	v_lshrrev_b32_e32 v108, 16, v101
	v_cndmask_b32_e64 v93, v93, v107, s8
	v_cndmask_b32_e32 v74, v74, v80, vcc_lo
	v_cndmask_b32_e64 v94, v94, v98, s7
	v_cndmask_b32_e32 v79, v79, v109, vcc_lo
	v_cndmask_b32_e64 v92, v92, v108, s10
	v_cndmask_b32_e64 v78, v78, v80, s27
	;; [unrolled: 1-line block ×4, first 2 shown]
	v_perm_b32 v94, v79, v74, 0x5040100
	v_cndmask_b32_e64 v79, v92, v102, s12
	v_perm_b32 v92, v95, v112, 0x5040100
	v_cndmask_b32_e64 v95, v99, v96, s5
	v_cndmask_b32_e64 v96, v99, v96, s21
	;; [unrolled: 1-line block ×16, first 2 shown]
	v_lshrrev_b32_e32 v109, 16, v105
	v_cndmask_b32_e64 v95, v95, v101, s20
	v_cndmask_b32_e64 v96, v96, v101, s26
	;; [unrolled: 1-line block ×6, first 2 shown]
	v_lshrrev_b32_e32 v80, 16, v102
	v_cndmask_b32_e64 v113, v93, v109, s10
	v_cndmask_b32_e64 v95, v95, v108, s22
	;; [unrolled: 1-line block ×6, first 2 shown]
	v_perm_b32 v93, v91, v78, 0x5040100
	v_cndmask_b32_e64 v74, v74, v102, s16
	v_cndmask_b32_e64 v78, v79, v80, s15
	;; [unrolled: 1-line block ×3, first 2 shown]
	v_lshrrev_b32_e32 v91, 16, v106
	v_cndmask_b32_e64 v95, v95, v102, s24
	v_cndmask_b32_e64 v96, v96, v102, s29
	;; [unrolled: 1-line block ×7, first 2 shown]
	v_cndmask_b32_e32 v80, v96, v80, vcc_lo
	v_cndmask_b32_e32 v96, v98, v91, vcc_lo
	v_cndmask_b32_e64 v99, v99, v91, s27
	v_cndmask_b32_e64 v100, v97, v91, s18
	;; [unrolled: 1-line block ×3, first 2 shown]
	v_perm_b32 v91, v111, v110, 0x5040100
	v_perm_b32 v98, v96, v80, 0x5040100
	;; [unrolled: 1-line block ×5, first 2 shown]
	s_mul_i32 s8, s35, 10
	s_mov_b32 s3, exec_lo
	ds_store_b128 v77, v[91:94]
	ds_store_b128 v77, v[95:98] offset:1024
	v_cmpx_gt_u32_e32 10, v0
	s_cbranch_execz .LBB547_80
; %bb.79:
	s_mul_i32 s4, s8, s30
	s_delay_alu instid0(SALU_CYCLE_1) | instskip(SKIP_1) | instid1(VALU_DEP_1)
	v_add3_u32 v77, s4, s31, v73
	s_load_b128 s[4:7], s[0:1], 0x58
	v_mad_u64_u32 v[73:74], null, v77, s34, s[14:15]
	s_delay_alu instid0(VALU_DEP_1) | instskip(NEXT) | instid1(VALU_DEP_1)
	v_ashrrev_i32_e32 v74, 31, v73
	v_lshlrev_b64 v[73:74], 2, v[73:74]
	s_waitcnt lgkmcnt(0)
	s_delay_alu instid0(VALU_DEP_1) | instskip(NEXT) | instid1(VALU_DEP_2)
	v_add_co_u32 v77, vcc_lo, s6, v73
	v_add_co_ci_u32_e32 v78, vcc_lo, s7, v74, vcc_lo
	v_add_co_u32 v73, vcc_lo, s4, v73
	v_add_co_ci_u32_e32 v74, vcc_lo, s5, v74, vcc_lo
	global_store_b32 v[77:78], v75, off
	global_store_b32 v[73:74], v76, off
.LBB547_80:
	s_or_b32 exec_lo, exec_lo, s3
	s_waitcnt lgkmcnt(0)
	s_waitcnt_vscnt null, 0x0
	s_barrier
	buffer_gl0_inv
	ds_load_b128 v[91:94], v85
	ds_load_b128 v[95:98], v85 offset:16
	ds_load_b128 v[103:106], v85 offset:1040
	;; [unrolled: 1-line block ×3, first 2 shown]
	v_mov_b32_e32 v73, 0
	ds_load_b128 v[111:114], v85 offset:2064
	ds_load_b128 v[107:110], v85 offset:2048
	;; [unrolled: 1-line block ×6, first 2 shown]
	v_mov_b32_e32 v74, v73
	v_mov_b32_e32 v75, v73
	;; [unrolled: 1-line block ×7, first 2 shown]
	s_waitcnt lgkmcnt(8)
	s_delay_alu instid0(VALU_DEP_1)
	v_wmma_f32_16x16x16_bf16 v[73:80], v[65:72], v[91:98], v[73:80]
	ds_load_b128 v[69:72], v85 offset:5136
	ds_load_b128 v[65:68], v85 offset:5120
	;; [unrolled: 1-line block ×4, first 2 shown]
	s_waitcnt lgkmcnt(10)
	v_wmma_f32_16x16x16_bf16 v[73:80], v[57:64], v[99:106], v[73:80]
	s_waitcnt lgkmcnt(8)
	s_delay_alu instid0(VALU_DEP_1)
	v_wmma_f32_16x16x16_bf16 v[73:80], v[57:64], v[107:114], v[73:80]
	ds_load_b128 v[61:64], v85 offset:7184
	ds_load_b128 v[57:60], v85 offset:7168
	;; [unrolled: 1-line block ×4, first 2 shown]
	s_waitcnt lgkmcnt(10)
	v_wmma_f32_16x16x16_bf16 v[73:80], v[49:56], v[115:122], v[73:80]
	s_waitcnt lgkmcnt(8)
	s_delay_alu instid0(VALU_DEP_1)
	v_wmma_f32_16x16x16_bf16 v[73:80], v[49:56], v[123:130], v[73:80]
	ds_load_b128 v[53:56], v85 offset:9232
	ds_load_b128 v[49:52], v85 offset:9216
	s_waitcnt lgkmcnt(8)
	v_wmma_f32_16x16x16_bf16 v[73:80], v[41:48], v[65:72], v[73:80]
	ds_load_b128 v[69:72], v85 offset:10256
	ds_load_b128 v[65:68], v85 offset:10240
	s_waitcnt lgkmcnt(8)
	;; [unrolled: 4-line block ×3, first 2 shown]
	v_wmma_f32_16x16x16_bf16 v[73:80], v[9:16], v[57:64], v[73:80]
	s_waitcnt lgkmcnt(6)
	s_delay_alu instid0(VALU_DEP_1)
	v_wmma_f32_16x16x16_bf16 v[73:80], v[9:16], v[99:106], v[73:80]
	ds_load_b128 v[13:16], v85 offset:12304
	ds_load_b128 v[9:12], v85 offset:12288
	s_waitcnt lgkmcnt(6)
	v_wmma_f32_16x16x16_bf16 v[73:80], v[1:8], v[49:56], v[73:80]
	ds_load_b128 v[53:56], v85 offset:13328
	ds_load_b128 v[49:52], v85 offset:13312
	s_waitcnt lgkmcnt(6)
	;; [unrolled: 4-line block ×4, first 2 shown]
	v_wmma_f32_16x16x16_bf16 v[73:80], v[33:40], v[9:16], v[73:80]
	s_waitcnt lgkmcnt(4)
	s_delay_alu instid0(VALU_DEP_1) | instskip(SKIP_1) | instid1(VALU_DEP_1)
	v_wmma_f32_16x16x16_bf16 v[73:80], v[25:32], v[49:56], v[73:80]
	s_waitcnt lgkmcnt(2)
	v_wmma_f32_16x16x16_bf16 v[73:80], v[25:32], v[1:8], v[73:80]
	s_waitcnt lgkmcnt(0)
	s_delay_alu instid0(VALU_DEP_1) | instskip(NEXT) | instid1(VALU_DEP_1)
	v_wmma_f32_16x16x16_bf16 v[73:80], v[17:24], v[41:48], v[73:80]
	v_and_b32_e32 v1, 0x7f800000, v73
	s_delay_alu instid0(VALU_DEP_1) | instskip(SKIP_1) | instid1(SALU_CYCLE_1)
	v_cmp_ne_u32_e32 vcc_lo, 0x7f800000, v1
                                        ; implicit-def: $vgpr1
	s_and_saveexec_b32 s3, vcc_lo
	s_xor_b32 s3, exec_lo, s3
; %bb.81:
	v_bfe_u32 v1, v73, 16, 1
	s_delay_alu instid0(VALU_DEP_1)
	v_add3_u32 v1, v73, v1, 0x7fff
; %bb.82:
	s_and_not1_saveexec_b32 s3, s3
; %bb.83:
	v_and_b32_e32 v1, 0xffff, v73
	v_or_b32_e32 v2, 0x10000, v73
	s_delay_alu instid0(VALU_DEP_2) | instskip(NEXT) | instid1(VALU_DEP_2)
	v_cmp_eq_u32_e32 vcc_lo, 0, v1
	v_cndmask_b32_e32 v1, v2, v73, vcc_lo
; %bb.84:
	s_or_b32 exec_lo, exec_lo, s3
	v_and_b32_e32 v2, 0x7f800000, v74
	s_delay_alu instid0(VALU_DEP_1) | instskip(SKIP_1) | instid1(SALU_CYCLE_1)
	v_cmp_ne_u32_e32 vcc_lo, 0x7f800000, v2
                                        ; implicit-def: $vgpr2
	s_and_saveexec_b32 s3, vcc_lo
	s_xor_b32 s3, exec_lo, s3
; %bb.85:
	v_bfe_u32 v2, v74, 16, 1
	s_delay_alu instid0(VALU_DEP_1)
	v_add3_u32 v2, v74, v2, 0x7fff
; %bb.86:
	s_and_not1_saveexec_b32 s3, s3
; %bb.87:
	v_and_b32_e32 v2, 0xffff, v74
	v_or_b32_e32 v3, 0x10000, v74
	s_delay_alu instid0(VALU_DEP_2) | instskip(NEXT) | instid1(VALU_DEP_2)
	v_cmp_eq_u32_e32 vcc_lo, 0, v2
	v_cndmask_b32_e32 v2, v3, v74, vcc_lo
; %bb.88:
	s_or_b32 exec_lo, exec_lo, s3
	v_and_b32_e32 v3, 0x7f800000, v75
	s_delay_alu instid0(VALU_DEP_1) | instskip(SKIP_1) | instid1(SALU_CYCLE_1)
	v_cmp_ne_u32_e32 vcc_lo, 0x7f800000, v3
                                        ; implicit-def: $vgpr3
	s_and_saveexec_b32 s3, vcc_lo
	s_xor_b32 s3, exec_lo, s3
; %bb.89:
	v_bfe_u32 v3, v75, 16, 1
	s_delay_alu instid0(VALU_DEP_1)
	v_add3_u32 v3, v75, v3, 0x7fff
; %bb.90:
	s_and_not1_saveexec_b32 s3, s3
; %bb.91:
	v_and_b32_e32 v3, 0xffff, v75
	v_or_b32_e32 v4, 0x10000, v75
	s_delay_alu instid0(VALU_DEP_2) | instskip(NEXT) | instid1(VALU_DEP_2)
	v_cmp_eq_u32_e32 vcc_lo, 0, v3
	v_cndmask_b32_e32 v3, v4, v75, vcc_lo
; %bb.92:
	s_or_b32 exec_lo, exec_lo, s3
	v_and_b32_e32 v4, 0x7f800000, v76
	s_delay_alu instid0(VALU_DEP_1) | instskip(SKIP_1) | instid1(SALU_CYCLE_1)
	v_cmp_ne_u32_e32 vcc_lo, 0x7f800000, v4
                                        ; implicit-def: $vgpr4
	s_and_saveexec_b32 s3, vcc_lo
	s_xor_b32 s3, exec_lo, s3
; %bb.93:
	v_bfe_u32 v4, v76, 16, 1
	s_delay_alu instid0(VALU_DEP_1)
	v_add3_u32 v4, v76, v4, 0x7fff
; %bb.94:
	s_and_not1_saveexec_b32 s3, s3
; %bb.95:
	v_and_b32_e32 v4, 0xffff, v76
	v_or_b32_e32 v5, 0x10000, v76
	s_delay_alu instid0(VALU_DEP_2) | instskip(NEXT) | instid1(VALU_DEP_2)
	v_cmp_eq_u32_e32 vcc_lo, 0, v4
	v_cndmask_b32_e32 v4, v5, v76, vcc_lo
; %bb.96:
	s_or_b32 exec_lo, exec_lo, s3
	v_and_b32_e32 v5, 0x7f800000, v77
	s_delay_alu instid0(VALU_DEP_1) | instskip(SKIP_1) | instid1(SALU_CYCLE_1)
	v_cmp_ne_u32_e32 vcc_lo, 0x7f800000, v5
                                        ; implicit-def: $vgpr5
	s_and_saveexec_b32 s3, vcc_lo
	s_xor_b32 s3, exec_lo, s3
; %bb.97:
	v_bfe_u32 v5, v77, 16, 1
	s_delay_alu instid0(VALU_DEP_1)
	v_add3_u32 v5, v77, v5, 0x7fff
; %bb.98:
	s_and_not1_saveexec_b32 s3, s3
; %bb.99:
	v_and_b32_e32 v5, 0xffff, v77
	v_or_b32_e32 v6, 0x10000, v77
	s_delay_alu instid0(VALU_DEP_2) | instskip(NEXT) | instid1(VALU_DEP_2)
	v_cmp_eq_u32_e32 vcc_lo, 0, v5
	v_cndmask_b32_e32 v5, v6, v77, vcc_lo
; %bb.100:
	s_or_b32 exec_lo, exec_lo, s3
	v_and_b32_e32 v6, 0x7f800000, v78
	s_delay_alu instid0(VALU_DEP_1) | instskip(SKIP_1) | instid1(SALU_CYCLE_1)
	v_cmp_ne_u32_e32 vcc_lo, 0x7f800000, v6
                                        ; implicit-def: $vgpr6
	s_and_saveexec_b32 s3, vcc_lo
	s_xor_b32 s3, exec_lo, s3
; %bb.101:
	v_bfe_u32 v6, v78, 16, 1
	s_delay_alu instid0(VALU_DEP_1)
	v_add3_u32 v6, v78, v6, 0x7fff
; %bb.102:
	s_and_not1_saveexec_b32 s3, s3
; %bb.103:
	v_and_b32_e32 v6, 0xffff, v78
	v_or_b32_e32 v7, 0x10000, v78
	s_delay_alu instid0(VALU_DEP_2) | instskip(NEXT) | instid1(VALU_DEP_2)
	v_cmp_eq_u32_e32 vcc_lo, 0, v6
	v_cndmask_b32_e32 v6, v7, v78, vcc_lo
; %bb.104:
	s_or_b32 exec_lo, exec_lo, s3
	v_and_b32_e32 v7, 0x7f800000, v79
	s_delay_alu instid0(VALU_DEP_1) | instskip(SKIP_1) | instid1(SALU_CYCLE_1)
	v_cmp_ne_u32_e32 vcc_lo, 0x7f800000, v7
                                        ; implicit-def: $vgpr7
	s_and_saveexec_b32 s3, vcc_lo
	s_xor_b32 s3, exec_lo, s3
; %bb.105:
	v_bfe_u32 v7, v79, 16, 1
	s_delay_alu instid0(VALU_DEP_1)
	v_add3_u32 v7, v79, v7, 0x7fff
; %bb.106:
	s_and_not1_saveexec_b32 s3, s3
; %bb.107:
	v_and_b32_e32 v7, 0xffff, v79
	v_or_b32_e32 v8, 0x10000, v79
	s_delay_alu instid0(VALU_DEP_2) | instskip(NEXT) | instid1(VALU_DEP_2)
	v_cmp_eq_u32_e32 vcc_lo, 0, v7
	v_cndmask_b32_e32 v7, v8, v79, vcc_lo
; %bb.108:
	s_or_b32 exec_lo, exec_lo, s3
	v_and_b32_e32 v8, 0x7f800000, v80
	s_delay_alu instid0(VALU_DEP_1) | instskip(SKIP_1) | instid1(SALU_CYCLE_1)
	v_cmp_ne_u32_e32 vcc_lo, 0x7f800000, v8
                                        ; implicit-def: $vgpr8
	s_and_saveexec_b32 s3, vcc_lo
	s_xor_b32 s3, exec_lo, s3
; %bb.109:
	v_bfe_u32 v8, v80, 16, 1
	s_delay_alu instid0(VALU_DEP_1)
	v_add3_u32 v8, v80, v8, 0x7fff
                                        ; implicit-def: $vgpr73_vgpr74_vgpr75_vgpr76_vgpr77_vgpr78_vgpr79_vgpr80
; %bb.110:
	s_and_not1_saveexec_b32 s3, s3
; %bb.111:
	v_and_b32_e32 v8, 0xffff, v80
	v_or_b32_e32 v9, 0x10000, v80
	s_delay_alu instid0(VALU_DEP_2) | instskip(NEXT) | instid1(VALU_DEP_2)
	v_cmp_eq_u32_e32 vcc_lo, 0, v8
	v_cndmask_b32_e32 v8, v9, v80, vcc_lo
; %bb.112:
	s_or_b32 exec_lo, exec_lo, s3
	s_delay_alu instid0(VALU_DEP_1)
	v_perm_b32 v7, v8, v7, 0x7060302
	v_perm_b32 v6, v6, v5, 0x7060302
	;; [unrolled: 1-line block ×4, first 2 shown]
	v_lshl_or_b32 v9, v83, 4, v90
	s_barrier
	buffer_gl0_inv
	v_cmp_eq_u32_e32 vcc_lo, 1, v87
	ds_store_b128 v9, v[4:7]
	s_waitcnt lgkmcnt(0)
	s_barrier
	buffer_gl0_inv
	ds_load_b128 v[1:4], v90
	ds_load_b128 v[5:8], v90 offset:16
	v_cmp_eq_u32_e64 s4, 2, v87
	v_cmp_eq_u32_e64 s3, 1, v88
	;; [unrolled: 1-line block ×5, first 2 shown]
	s_waitcnt lgkmcnt(1)
	v_lshrrev_b32_e32 v10, 16, v1
	s_waitcnt lgkmcnt(0)
	v_lshrrev_b32_e32 v14, 16, v5
	v_lshrrev_b32_e32 v15, 16, v6
	;; [unrolled: 1-line block ×4, first 2 shown]
	v_cndmask_b32_e64 v20, v1, v10, s3
	v_cndmask_b32_e32 v19, v5, v14, vcc_lo
	v_cndmask_b32_e64 v21, v5, v14, s3
	v_lshrrev_b32_e32 v16, 16, v7
	v_cmp_eq_u32_e64 s3, 1, v86
	v_lshrrev_b32_e32 v13, 16, v4
	v_cndmask_b32_e64 v19, v19, v6, s4
	v_lshrrev_b32_e32 v17, 16, v8
	s_delay_alu instid0(VALU_DEP_4) | instskip(SKIP_1) | instid1(VALU_DEP_4)
	v_cndmask_b32_e64 v22, v1, v10, s3
	v_cndmask_b32_e64 v23, v5, v14, s3
	;; [unrolled: 1-line block ×3, first 2 shown]
	v_cndmask_b32_e32 v18, v1, v10, vcc_lo
	v_cmp_eq_u32_e32 vcc_lo, 2, v88
	v_cmp_eq_u32_e64 s3, 2, v89
	v_cndmask_b32_e64 v22, v22, v2, s7
	v_cndmask_b32_e32 v20, v20, v2, vcc_lo
	v_cndmask_b32_e32 v21, v21, v6, vcc_lo
	v_cmp_eq_u32_e32 vcc_lo, 4, v87
	v_cndmask_b32_e32 v19, v19, v7, vcc_lo
	v_cndmask_b32_e64 v18, v18, v2, s4
	v_cmp_eq_u32_e64 s4, 3, v88
	s_delay_alu instid0(VALU_DEP_2) | instskip(NEXT) | instid1(VALU_DEP_2)
	v_cndmask_b32_e64 v18, v18, v11, s5
	v_cndmask_b32_e64 v21, v21, v15, s4
	v_cmp_eq_u32_e64 s5, 5, v87
	s_delay_alu instid0(VALU_DEP_3) | instskip(SKIP_1) | instid1(VALU_DEP_3)
	v_cndmask_b32_e32 v18, v18, v3, vcc_lo
	v_cmp_eq_u32_e32 vcc_lo, 4, v88
	v_cndmask_b32_e64 v19, v19, v16, s5
	s_delay_alu instid0(VALU_DEP_3) | instskip(SKIP_4) | instid1(VALU_DEP_3)
	v_cndmask_b32_e64 v18, v18, v12, s5
	v_cndmask_b32_e32 v21, v21, v7, vcc_lo
	v_cndmask_b32_e64 v20, v20, v11, s4
	v_cmp_eq_u32_e64 s4, 5, v88
	v_cmp_eq_u32_e64 s5, 6, v87
	v_cndmask_b32_e32 v20, v20, v3, vcc_lo
	s_delay_alu instid0(VALU_DEP_3) | instskip(SKIP_1) | instid1(VALU_DEP_4)
	v_cndmask_b32_e64 v21, v21, v16, s4
	v_cmp_eq_u32_e32 vcc_lo, 6, v88
	v_cndmask_b32_e64 v18, v18, v4, s5
	v_cndmask_b32_e64 v19, v19, v8, s5
	;; [unrolled: 1-line block ×3, first 2 shown]
	v_cmp_eq_u32_e64 s4, 1, v89
	v_cmp_eq_u32_e64 s5, 7, v87
	s_delay_alu instid0(VALU_DEP_3) | instskip(NEXT) | instid1(VALU_DEP_3)
	v_cndmask_b32_e32 v20, v20, v4, vcc_lo
	v_cndmask_b32_e64 v1, v1, v10, s4
	v_cndmask_b32_e64 v5, v5, v14, s4
	v_cmp_eq_u32_e64 s4, 3, v86
	v_cndmask_b32_e64 v14, v23, v6, s7
	v_cmp_eq_u32_e64 s7, 3, v89
	v_cndmask_b32_e64 v1, v1, v2, s3
	v_cndmask_b32_e64 v2, v5, v6, s3
	;; [unrolled: 1-line block ×3, first 2 shown]
	v_cmp_eq_u32_e64 s3, 4, v86
	v_cndmask_b32_e64 v6, v14, v15, s4
	v_cndmask_b32_e64 v1, v1, v11, s7
	v_cmp_eq_u32_e64 s4, 4, v89
	v_cndmask_b32_e64 v2, v2, v15, s7
	v_cndmask_b32_e64 v5, v10, v3, s3
	;; [unrolled: 3-line block ×3, first 2 shown]
	v_cndmask_b32_e64 v2, v2, v7, s4
	v_cmp_eq_u32_e64 s3, 5, v89
	v_cndmask_b32_e64 v5, v5, v12, s7
	v_cmp_eq_u32_e64 s4, 6, v86
	;; [unrolled: 2-line block ×3, first 2 shown]
	v_cndmask_b32_e64 v1, v1, v12, s3
	v_cndmask_b32_e64 v2, v2, v16, s3
	;; [unrolled: 1-line block ×4, first 2 shown]
	v_cmp_eq_u32_e64 s3, 7, v89
	v_cndmask_b32_e64 v1, v1, v4, s7
	v_cndmask_b32_e64 v2, v2, v8, s7
	v_cmp_eq_u32_e64 s4, 7, v86
	v_cndmask_b32_e32 v4, v21, v8, vcc_lo
	v_cndmask_b32_e64 v18, v18, v13, s5
	v_cndmask_b32_e64 v20, v20, v13, s6
	;; [unrolled: 1-line block ×8, first 2 shown]
	v_cmp_gt_u32_e32 vcc_lo, 32, v0
	v_perm_b32 v4, v2, v1, 0x5040100
	v_perm_b32 v3, v3, v5, 0x5040100
	;; [unrolled: 1-line block ×4, first 2 shown]
	s_and_b32 s2, vcc_lo, s2
	ds_store_b128 v9, v[1:4]
	s_waitcnt lgkmcnt(0)
	s_barrier
	buffer_gl0_inv
	s_and_saveexec_b32 s3, s2
	s_cbranch_execz .LBB547_2
; %bb.113:
	s_load_b64 s[0:1], s[0:1], 0x68
	s_lshl_b32 s4, s34, 6
	v_or_b32_e32 v2, s31, v83
	s_mul_i32 s2, s4, s30
	v_lshlrev_b32_e32 v0, 10, v0
	s_mul_i32 s2, s2, s8
	v_lshlrev_b32_e32 v1, 4, v84
	s_ashr_i32 s3, s2, 31
	v_mul_lo_u32 v20, v2, s4
	s_lshl_b64 s[2:3], s[2:3], 1
	v_lshlrev_b32_e32 v3, 6, v83
	v_and_b32_e32 v0, 0x3800, v0
	s_delay_alu instid0(VALU_DEP_1) | instskip(NEXT) | instid1(VALU_DEP_4)
	v_or3_b32 v16, v0, v1, v3
	v_ashrrev_i32_e32 v21, 31, v20
	ds_load_b128 v[0:3], v16
	ds_load_b128 v[4:7], v16 offset:128
	s_waitcnt lgkmcnt(0)
	s_add_u32 s2, s0, s2
	s_addc_u32 s3, s1, s3
	s_lshl_b32 s0, s14, 6
	ds_load_b128 v[8:11], v16 offset:256
	ds_load_b128 v[12:15], v16 offset:384
	;; [unrolled: 1-line block ×3, first 2 shown]
	s_ashr_i32 s1, s0, 31
	s_delay_alu instid0(SALU_CYCLE_1) | instskip(NEXT) | instid1(SALU_CYCLE_1)
	s_lshl_b64 s[0:1], s[0:1], 1
	s_add_u32 s0, s2, s0
	s_addc_u32 s1, s3, s1
	s_lshl_b32 s2, s34, 7
	v_add_co_u32 v30, vcc_lo, s0, v81
	v_add_nc_u32_e32 v22, s2, v20
	v_lshlrev_b64 v[20:21], 1, v[20:21]
	v_add_co_ci_u32_e32 v31, vcc_lo, s1, v82, vcc_lo
	s_delay_alu instid0(VALU_DEP_3) | instskip(SKIP_1) | instid1(VALU_DEP_4)
	v_add_nc_u32_e32 v24, s2, v22
	v_ashrrev_i32_e32 v23, 31, v22
	v_add_co_u32 v20, vcc_lo, v30, v20
	s_delay_alu instid0(VALU_DEP_4) | instskip(NEXT) | instid1(VALU_DEP_4)
	v_add_co_ci_u32_e32 v21, vcc_lo, v31, v21, vcc_lo
	v_add_nc_u32_e32 v26, s2, v24
	v_ashrrev_i32_e32 v25, 31, v24
	v_lshlrev_b64 v[22:23], 1, v[22:23]
	s_delay_alu instid0(VALU_DEP_3) | instskip(SKIP_1) | instid1(VALU_DEP_4)
	v_add_nc_u32_e32 v28, s2, v26
	v_ashrrev_i32_e32 v27, 31, v26
	v_lshlrev_b64 v[24:25], 1, v[24:25]
	s_delay_alu instid0(VALU_DEP_4) | instskip(NEXT) | instid1(VALU_DEP_4)
	v_add_co_u32 v22, vcc_lo, v30, v22
	v_ashrrev_i32_e32 v29, 31, v28
	s_delay_alu instid0(VALU_DEP_4) | instskip(SKIP_2) | instid1(VALU_DEP_4)
	v_lshlrev_b64 v[26:27], 1, v[26:27]
	v_add_co_ci_u32_e32 v23, vcc_lo, v31, v23, vcc_lo
	v_add_co_u32 v24, vcc_lo, v30, v24
	v_lshlrev_b64 v[28:29], 1, v[28:29]
	v_add_co_ci_u32_e32 v25, vcc_lo, v31, v25, vcc_lo
	v_add_co_u32 v26, vcc_lo, v30, v26
	v_add_co_ci_u32_e32 v27, vcc_lo, v31, v27, vcc_lo
	s_delay_alu instid0(VALU_DEP_4)
	v_add_co_u32 v28, vcc_lo, v30, v28
	v_add_co_ci_u32_e32 v29, vcc_lo, v31, v29, vcc_lo
	s_clause 0x1
	global_store_b128 v[20:21], v[0:3], off
	global_store_b128 v[22:23], v[4:7], off
	s_waitcnt lgkmcnt(2)
	global_store_b128 v[24:25], v[8:11], off
	s_waitcnt lgkmcnt(1)
	;; [unrolled: 2-line block ×3, first 2 shown]
	global_store_b128 v[28:29], v[16:19], off
	s_nop 0
	s_sendmsg sendmsg(MSG_DEALLOC_VGPRS)
	s_endpgm
	.section	.rodata,"a",@progbits
	.p2align	6, 0x0
	.amdhsa_kernel _Z39paged_attention_ll4mi_QKV_mfma16_kernelI14__hip_bfloat16S0_LN4vllm18Fp8KVCacheDataTypeE0ES0_Li32ELi64ELi256ELb1ELi10EL8MFMAType0EEvPKT_PKT0_S9_ifPKiSB_SB_iPKfiiiPfSE_PS4_PT2_iSD_SD_
		.amdhsa_group_segment_fixed_size 17472
		.amdhsa_private_segment_fixed_size 0
		.amdhsa_kernarg_size 400
		.amdhsa_user_sgpr_count 13
		.amdhsa_user_sgpr_dispatch_ptr 0
		.amdhsa_user_sgpr_queue_ptr 0
		.amdhsa_user_sgpr_kernarg_segment_ptr 1
		.amdhsa_user_sgpr_dispatch_id 0
		.amdhsa_user_sgpr_private_segment_size 0
		.amdhsa_wavefront_size32 1
		.amdhsa_uses_dynamic_stack 0
		.amdhsa_enable_private_segment 0
		.amdhsa_system_sgpr_workgroup_id_x 1
		.amdhsa_system_sgpr_workgroup_id_y 1
		.amdhsa_system_sgpr_workgroup_id_z 1
		.amdhsa_system_sgpr_workgroup_info 0
		.amdhsa_system_vgpr_workitem_id 0
		.amdhsa_next_free_vgpr 142
		.amdhsa_next_free_sgpr 38
		.amdhsa_reserve_vcc 1
		.amdhsa_float_round_mode_32 0
		.amdhsa_float_round_mode_16_64 0
		.amdhsa_float_denorm_mode_32 3
		.amdhsa_float_denorm_mode_16_64 3
		.amdhsa_dx10_clamp 1
		.amdhsa_ieee_mode 1
		.amdhsa_fp16_overflow 0
		.amdhsa_workgroup_processor_mode 1
		.amdhsa_memory_ordered 1
		.amdhsa_forward_progress 0
		.amdhsa_shared_vgpr_count 0
		.amdhsa_exception_fp_ieee_invalid_op 0
		.amdhsa_exception_fp_denorm_src 0
		.amdhsa_exception_fp_ieee_div_zero 0
		.amdhsa_exception_fp_ieee_overflow 0
		.amdhsa_exception_fp_ieee_underflow 0
		.amdhsa_exception_fp_ieee_inexact 0
		.amdhsa_exception_int_div_zero 0
	.end_amdhsa_kernel
	.section	.text._Z39paged_attention_ll4mi_QKV_mfma16_kernelI14__hip_bfloat16S0_LN4vllm18Fp8KVCacheDataTypeE0ES0_Li32ELi64ELi256ELb1ELi10EL8MFMAType0EEvPKT_PKT0_S9_ifPKiSB_SB_iPKfiiiPfSE_PS4_PT2_iSD_SD_,"axG",@progbits,_Z39paged_attention_ll4mi_QKV_mfma16_kernelI14__hip_bfloat16S0_LN4vllm18Fp8KVCacheDataTypeE0ES0_Li32ELi64ELi256ELb1ELi10EL8MFMAType0EEvPKT_PKT0_S9_ifPKiSB_SB_iPKfiiiPfSE_PS4_PT2_iSD_SD_,comdat
.Lfunc_end547:
	.size	_Z39paged_attention_ll4mi_QKV_mfma16_kernelI14__hip_bfloat16S0_LN4vllm18Fp8KVCacheDataTypeE0ES0_Li32ELi64ELi256ELb1ELi10EL8MFMAType0EEvPKT_PKT0_S9_ifPKiSB_SB_iPKfiiiPfSE_PS4_PT2_iSD_SD_, .Lfunc_end547-_Z39paged_attention_ll4mi_QKV_mfma16_kernelI14__hip_bfloat16S0_LN4vllm18Fp8KVCacheDataTypeE0ES0_Li32ELi64ELi256ELb1ELi10EL8MFMAType0EEvPKT_PKT0_S9_ifPKiSB_SB_iPKfiiiPfSE_PS4_PT2_iSD_SD_
                                        ; -- End function
	.section	.AMDGPU.csdata,"",@progbits
; Kernel info:
; codeLenInByte = 9444
; NumSgprs: 40
; NumVgprs: 142
; ScratchSize: 0
; MemoryBound: 0
; FloatMode: 240
; IeeeMode: 1
; LDSByteSize: 17472 bytes/workgroup (compile time only)
; SGPRBlocks: 4
; VGPRBlocks: 17
; NumSGPRsForWavesPerEU: 40
; NumVGPRsForWavesPerEU: 142
; Occupancy: 10
; WaveLimiterHint : 1
; COMPUTE_PGM_RSRC2:SCRATCH_EN: 0
; COMPUTE_PGM_RSRC2:USER_SGPR: 13
; COMPUTE_PGM_RSRC2:TRAP_HANDLER: 0
; COMPUTE_PGM_RSRC2:TGID_X_EN: 1
; COMPUTE_PGM_RSRC2:TGID_Y_EN: 1
; COMPUTE_PGM_RSRC2:TGID_Z_EN: 1
; COMPUTE_PGM_RSRC2:TIDIG_COMP_CNT: 0
	.section	.text._Z39paged_attention_ll4mi_QKV_mfma16_kernelI14__hip_bfloat16S0_LN4vllm18Fp8KVCacheDataTypeE0ES0_Li32ELi64ELi256ELb1ELi11EL8MFMAType0EEvPKT_PKT0_S9_ifPKiSB_SB_iPKfiiiPfSE_PS4_PT2_iSD_SD_,"axG",@progbits,_Z39paged_attention_ll4mi_QKV_mfma16_kernelI14__hip_bfloat16S0_LN4vllm18Fp8KVCacheDataTypeE0ES0_Li32ELi64ELi256ELb1ELi11EL8MFMAType0EEvPKT_PKT0_S9_ifPKiSB_SB_iPKfiiiPfSE_PS4_PT2_iSD_SD_,comdat
	.protected	_Z39paged_attention_ll4mi_QKV_mfma16_kernelI14__hip_bfloat16S0_LN4vllm18Fp8KVCacheDataTypeE0ES0_Li32ELi64ELi256ELb1ELi11EL8MFMAType0EEvPKT_PKT0_S9_ifPKiSB_SB_iPKfiiiPfSE_PS4_PT2_iSD_SD_ ; -- Begin function _Z39paged_attention_ll4mi_QKV_mfma16_kernelI14__hip_bfloat16S0_LN4vllm18Fp8KVCacheDataTypeE0ES0_Li32ELi64ELi256ELb1ELi11EL8MFMAType0EEvPKT_PKT0_S9_ifPKiSB_SB_iPKfiiiPfSE_PS4_PT2_iSD_SD_
	.globl	_Z39paged_attention_ll4mi_QKV_mfma16_kernelI14__hip_bfloat16S0_LN4vllm18Fp8KVCacheDataTypeE0ES0_Li32ELi64ELi256ELb1ELi11EL8MFMAType0EEvPKT_PKT0_S9_ifPKiSB_SB_iPKfiiiPfSE_PS4_PT2_iSD_SD_
	.p2align	8
	.type	_Z39paged_attention_ll4mi_QKV_mfma16_kernelI14__hip_bfloat16S0_LN4vllm18Fp8KVCacheDataTypeE0ES0_Li32ELi64ELi256ELb1ELi11EL8MFMAType0EEvPKT_PKT0_S9_ifPKiSB_SB_iPKfiiiPfSE_PS4_PT2_iSD_SD_,@function
_Z39paged_attention_ll4mi_QKV_mfma16_kernelI14__hip_bfloat16S0_LN4vllm18Fp8KVCacheDataTypeE0ES0_Li32ELi64ELi256ELb1ELi11EL8MFMAType0EEvPKT_PKT0_S9_ifPKiSB_SB_iPKfiiiPfSE_PS4_PT2_iSD_SD_: ; @_Z39paged_attention_ll4mi_QKV_mfma16_kernelI14__hip_bfloat16S0_LN4vllm18Fp8KVCacheDataTypeE0ES0_Li32ELi64ELi256ELb1ELi11EL8MFMAType0EEvPKT_PKT0_S9_ifPKiSB_SB_iPKfiiiPfSE_PS4_PT2_iSD_SD_
; %bb.0:
	s_load_b64 s[2:3], s[0:1], 0x30
	s_mov_b32 s34, s13
	s_waitcnt lgkmcnt(0)
	s_cmp_lg_u64 s[2:3], 0
	s_cselect_b32 s6, -1, 0
	s_ashr_i32 s35, s13, 31
	s_cmp_eq_u64 s[2:3], 0
	s_cbranch_scc1 .LBB548_3
; %bb.1:
	s_lshl_b64 s[4:5], s[34:35], 2
	s_delay_alu instid0(SALU_CYCLE_1) | instskip(SKIP_4) | instid1(SALU_CYCLE_1)
	s_add_u32 s4, s2, s4
	s_addc_u32 s5, s3, s5
	s_load_b64 s[4:5], s[4:5], 0x0
	s_waitcnt lgkmcnt(0)
	s_sub_i32 s4, s5, s4
	s_cmp_eq_u32 s4, 1
	s_cselect_b32 s4, -1, 0
	s_delay_alu instid0(SALU_CYCLE_1)
	s_and_not1_b32 vcc_lo, exec_lo, s4
	s_cbranch_vccz .LBB548_4
.LBB548_2:
	s_nop 0
	s_sendmsg sendmsg(MSG_DEALLOC_VGPRS)
	s_endpgm
.LBB548_3:
.LBB548_4:
	s_load_b64 s[8:9], s[0:1], 0x28
	s_lshl_b64 s[4:5], s[34:35], 2
	s_waitcnt lgkmcnt(0)
	s_add_u32 s8, s8, s4
	s_addc_u32 s9, s9, s5
	s_lshl_b32 s16, s14, 8
	s_load_b32 s18, s[8:9], 0x0
	s_waitcnt lgkmcnt(0)
	s_cmp_ge_i32 s16, s18
	s_cbranch_scc1 .LBB548_2
; %bb.5:
	s_and_not1_b32 vcc_lo, exec_lo, s6
	s_cbranch_vccnz .LBB548_7
; %bb.6:
	s_add_u32 s2, s2, s4
	s_addc_u32 s3, s3, s5
	s_load_b32 s17, s[2:3], 0x0
	s_branch .LBB548_8
.LBB548_7:
	s_mov_b32 s17, s34
.LBB548_8:
	s_clause 0x2
	s_load_b128 s[8:11], s[0:1], 0x8
	s_load_b64 s[12:13], s[0:1], 0x20
	s_load_b128 s[4:7], s[0:1], 0x48
	v_lshrrev_b32_e32 v74, 5, v0
	v_bfe_u32 v83, v0, 4, 1
	v_and_b32_e32 v73, 15, v0
	s_delay_alu instid0(VALU_DEP_2) | instskip(NEXT) | instid1(VALU_DEP_2)
	v_lshl_or_b32 v3, v74, 1, v83
	v_cmp_lt_u32_e64 s3, 7, v73
	v_lshlrev_b32_e32 v1, 3, v73
	v_cmp_gt_u32_e64 s2, 8, v73
	s_delay_alu instid0(VALU_DEP_4) | instskip(NEXT) | instid1(VALU_DEP_4)
	v_cmp_lt_u32_e32 vcc_lo, 10, v3
	s_or_b32 s3, s3, vcc_lo
	s_waitcnt lgkmcnt(0)
	s_and_saveexec_b32 s7, s3
	s_delay_alu instid0(SALU_CYCLE_1)
	s_xor_b32 s3, exec_lo, s7
; %bb.9:
	v_mov_b32_e32 v2, 0
                                        ; implicit-def: $vgpr3
; %bb.10:
	s_or_saveexec_b32 s3, s3
	v_and_b32_e32 v75, 31, v0
	v_and_b32_e32 v84, 1, v0
	s_mul_i32 s31, s15, 11
	s_xor_b32 exec_lo, exec_lo, s3
	s_cbranch_execz .LBB548_12
; %bb.11:
	s_load_b64 s[20:21], s[0:1], 0x0
	v_add_lshl_u32 v4, v3, s31, 6
	s_mul_hi_i32 s23, s17, s4
	s_mul_i32 s22, s17, s4
	v_lshlrev_b32_e32 v2, 1, v1
	s_lshl_b64 s[22:23], s[22:23], 1
	v_ashrrev_i32_e32 v5, 31, v4
	v_lshlrev_b32_e32 v3, 6, v3
	v_lshlrev_b32_e32 v8, 10, v84
	s_delay_alu instid0(VALU_DEP_3) | instskip(SKIP_3) | instid1(VALU_DEP_1)
	v_lshlrev_b64 v[4:5], 1, v[4:5]
	s_waitcnt lgkmcnt(0)
	s_add_u32 s4, s20, s22
	s_addc_u32 s7, s21, s23
	v_add_co_u32 v4, vcc_lo, s4, v4
	s_delay_alu instid0(VALU_DEP_2) | instskip(NEXT) | instid1(VALU_DEP_2)
	v_add_co_ci_u32_e32 v5, vcc_lo, s7, v5, vcc_lo
	v_add_co_u32 v4, vcc_lo, v4, v2
	s_delay_alu instid0(VALU_DEP_2) | instskip(SKIP_3) | instid1(VALU_DEP_1)
	v_add_co_ci_u32_e32 v5, vcc_lo, 0, v5, vcc_lo
	v_lshlrev_b32_e32 v2, 10, v73
	global_load_b128 v[4:7], v[4:5], off
	v_and_b32_e32 v2, 0x3800, v2
	v_or3_b32 v3, v2, v8, v3
	v_mov_b32_e32 v2, 0
	s_waitcnt vmcnt(0)
	ds_store_b128 v3, v[4:7]
.LBB548_12:
	s_or_b32 exec_lo, exec_lo, s3
	v_and_b32_e32 v3, 0xef, v0
	s_add_i32 s3, s18, 31
	s_clause 0x1
	s_load_b32 s4, s[0:1], 0x38
	s_load_b32 s19, s[0:1], 0x1c
	s_ashr_i32 s7, s3, 31
	v_add_nc_u32_e32 v3, s16, v3
	s_lshr_b32 s7, s7, 27
	s_waitcnt lgkmcnt(0)
	s_add_i32 s3, s3, s7
	s_barrier
	v_ashrrev_i32_e32 v4, 31, v3
	v_cmp_gt_i32_e32 vcc_lo, s18, v3
	s_ashr_i32 s3, s3, 5
	buffer_gl0_inv
	s_add_i32 s3, s3, -1
	v_lshrrev_b32_e32 v5, 27, v4
	v_or_b32_e32 v4, 16, v3
	s_mul_i32 s6, s15, s6
	v_lshlrev_b64 v[81:82], 1, v[1:2]
	s_delay_alu instid0(VALU_DEP_3) | instskip(NEXT) | instid1(VALU_DEP_3)
	v_add_nc_u32_e32 v6, v3, v5
	v_add_nc_u32_e32 v5, v4, v5
	s_mul_i32 s20, s34, s4
	s_delay_alu instid0(SALU_CYCLE_1) | instskip(NEXT) | instid1(VALU_DEP_2)
	s_ashr_i32 s21, s20, 31
	v_ashrrev_i32_e32 v6, 5, v6
	s_delay_alu instid0(VALU_DEP_2) | instskip(SKIP_1) | instid1(SALU_CYCLE_1)
	v_ashrrev_i32_e32 v5, 5, v5
	s_lshl_b64 s[20:21], s[20:21], 2
	s_add_u32 s4, s12, s20
	s_delay_alu instid0(VALU_DEP_2) | instskip(SKIP_3) | instid1(SALU_CYCLE_1)
	v_cndmask_b32_e32 v3, s3, v6, vcc_lo
	v_cmp_gt_i32_e32 vcc_lo, s18, v4
	s_addc_u32 s17, s13, s21
	s_ashr_i32 s7, s6, 31
	s_lshl_b64 s[6:7], s[6:7], 1
	v_cndmask_b32_e32 v5, s3, v5, vcc_lo
	v_ashrrev_i32_e32 v4, 31, v3
	s_add_u32 s15, s8, s6
	s_addc_u32 s28, s9, s7
	s_lshl_b32 s8, s14, 3
	v_ashrrev_i32_e32 v6, 31, v5
	v_lshlrev_b64 v[3:4], 2, v[3:4]
	s_ashr_i32 s9, s8, 31
	s_delay_alu instid0(SALU_CYCLE_1) | instskip(NEXT) | instid1(VALU_DEP_2)
	s_lshl_b64 s[8:9], s[8:9], 2
	v_lshlrev_b64 v[5:6], 2, v[5:6]
	s_add_u32 s8, s4, s8
	s_delay_alu instid0(VALU_DEP_2) | instskip(SKIP_1) | instid1(VALU_DEP_3)
	v_add_co_u32 v3, vcc_lo, s4, v3
	v_add_co_ci_u32_e32 v4, vcc_lo, s17, v4, vcc_lo
	v_add_co_u32 v5, vcc_lo, s4, v5
	s_delay_alu instid0(VALU_DEP_4)
	v_add_co_ci_u32_e32 v6, vcc_lo, s17, v6, vcc_lo
	s_addc_u32 s9, s17, s9
	s_clause 0x1
	global_load_b32 v7, v[3:4], off
	global_load_b32 v8, v[5:6], off
	s_or_b32 s12, s16, 32
	s_delay_alu instid0(SALU_CYCLE_1) | instskip(SKIP_2) | instid1(SALU_CYCLE_1)
	s_ashr_i32 s13, s12, 5
	s_cmp_lt_i32 s12, s18
	s_cselect_b32 s12, s13, s3
	s_ashr_i32 s13, s12, 31
	s_delay_alu instid0(SALU_CYCLE_1) | instskip(NEXT) | instid1(SALU_CYCLE_1)
	s_lshl_b64 s[12:13], s[12:13], 2
	s_add_u32 s12, s4, s12
	s_addc_u32 s13, s17, s13
	s_or_b32 s20, s16, 64
	s_delay_alu instid0(SALU_CYCLE_1) | instskip(SKIP_2) | instid1(SALU_CYCLE_1)
	s_ashr_i32 s21, s20, 5
	s_cmp_lt_i32 s20, s18
	s_cselect_b32 s20, s21, s3
	s_ashr_i32 s21, s20, 31
	s_delay_alu instid0(SALU_CYCLE_1) | instskip(NEXT) | instid1(SALU_CYCLE_1)
	s_lshl_b64 s[20:21], s[20:21], 2
	s_add_u32 s20, s4, s20
	s_addc_u32 s21, s17, s21
	;; [unrolled: 10-line block ×5, first 2 shown]
	s_clause 0x5
	s_load_b32 s29, s[8:9], 0x0
	s_load_b32 s30, s[12:13], 0x0
	;; [unrolled: 1-line block ×6, first 2 shown]
	s_mov_b32 s20, 0
	s_or_b32 s8, s16, 0xc0
	s_mov_b32 s21, s20
	s_mov_b32 s22, s20
	;; [unrolled: 1-line block ×7, first 2 shown]
	s_ashr_i32 s9, s8, 5
	v_mov_b32_e32 v117, s27
	s_cmp_lt_i32 s8, s18
	v_mov_b32_e32 v116, s26
	s_cselect_b32 s8, s9, s3
	v_mov_b32_e32 v115, s25
	s_ashr_i32 s9, s8, 31
	v_dual_mov_b32 v114, s24 :: v_dual_mov_b32 v113, s23
	v_dual_mov_b32 v112, s22 :: v_dual_mov_b32 v111, s21
	s_lshl_b64 s[8:9], s[8:9], 2
	s_waitcnt lgkmcnt(0)
	s_mul_hi_i32 s13, s29, s5
	s_add_u32 s8, s4, s8
	s_addc_u32 s9, s17, s9
	s_mul_i32 s12, s29, s5
	s_mul_hi_i32 s37, s38, s5
	v_mov_b32_e32 v110, s20
	s_mul_hi_i32 s21, s30, s5
	s_mul_i32 s20, s30, s5
	s_mul_hi_i32 s25, s33, s5
	s_mul_i32 s24, s33, s5
	;; [unrolled: 2-line block ×3, first 2 shown]
	s_waitcnt vmcnt(1)
	v_mad_i64_i32 v[3:4], null, v7, s5, 0
	s_waitcnt vmcnt(0)
	v_mad_i64_i32 v[5:6], null, v8, s5, 0
	s_delay_alu instid0(VALU_DEP_2) | instskip(NEXT) | instid1(VALU_DEP_2)
	v_lshlrev_b64 v[3:4], 1, v[3:4]
	v_lshlrev_b64 v[1:2], 1, v[5:6]
	s_delay_alu instid0(VALU_DEP_2) | instskip(NEXT) | instid1(VALU_DEP_3)
	v_add_co_u32 v3, vcc_lo, s15, v3
	v_add_co_ci_u32_e32 v4, vcc_lo, s28, v4, vcc_lo
	s_delay_alu instid0(VALU_DEP_3) | instskip(NEXT) | instid1(VALU_DEP_4)
	v_add_co_u32 v1, vcc_lo, s15, v1
	v_add_co_ci_u32_e32 v2, vcc_lo, s28, v2, vcc_lo
	s_delay_alu instid0(VALU_DEP_4) | instskip(NEXT) | instid1(VALU_DEP_4)
	v_add_co_u32 v41, vcc_lo, v3, v81
	v_add_co_ci_u32_e32 v42, vcc_lo, v4, v82, vcc_lo
	s_delay_alu instid0(VALU_DEP_4) | instskip(NEXT) | instid1(VALU_DEP_4)
	v_add_co_u32 v43, vcc_lo, v1, v81
	v_add_co_ci_u32_e32 v44, vcc_lo, v2, v82, vcc_lo
	s_clause 0xf
	global_load_b128 v[1:4], v[41:42], off
	global_load_b128 v[5:8], v[41:42], off offset:512
	global_load_b128 v[9:12], v[43:44], off offset:256
	global_load_b128 v[13:16], v[43:44], off offset:768
	global_load_b128 v[17:20], v[41:42], off offset:1024
	global_load_b128 v[21:24], v[41:42], off offset:1536
	global_load_b128 v[25:28], v[43:44], off offset:1280
	global_load_b128 v[29:32], v[43:44], off offset:1792
	global_load_b128 v[33:36], v[41:42], off offset:2048
	global_load_b128 v[37:40], v[41:42], off offset:2560
	global_load_b128 v[86:89], v[43:44], off offset:2304
	global_load_b128 v[90:93], v[43:44], off offset:2816
	global_load_b128 v[94:97], v[41:42], off offset:3072
	global_load_b128 v[98:101], v[41:42], off offset:3584
	global_load_b128 v[102:105], v[43:44], off offset:3328
	global_load_b128 v[106:109], v[43:44], off offset:3840
	v_add_nc_u32_e32 v41, -11, v73
	v_cmp_gt_u32_e32 vcc_lo, 11, v73
	s_or_b32 s15, s16, 0xe0
	s_delay_alu instid0(SALU_CYCLE_1) | instskip(SKIP_3) | instid1(SALU_CYCLE_1)
	s_ashr_i32 s22, s15, 5
	s_cmp_lt_i32 s15, s18
	v_cndmask_b32_e32 v41, v41, v73, vcc_lo
	s_cselect_b32 s22, s22, s3
	s_ashr_i32 s23, s22, 31
	s_delay_alu instid0(VALU_DEP_1)
	v_lshlrev_b32_e32 v57, 6, v41
	ds_load_b128 v[41:44], v57
	ds_load_b128 v[45:48], v57 offset:1024
	ds_load_b128 v[49:52], v57 offset:2048
	;; [unrolled: 1-line block ×7, first 2 shown]
	s_lshl_b64 s[22:23], s[22:23], 2
	s_delay_alu instid0(SALU_CYCLE_1) | instskip(SKIP_2) | instid1(SALU_CYCLE_1)
	s_add_u32 s22, s4, s22
	s_addc_u32 s23, s17, s23
	s_add_i32 s15, s16, 0x100
	s_ashr_i32 s28, s15, 5
	s_cmp_lt_i32 s15, s18
	s_load_b32 s15, s[8:9], 0x0
	s_cselect_b32 s28, s28, s3
	s_mul_hi_i32 s9, s36, s5
	s_ashr_i32 s29, s28, 31
	s_mul_i32 s8, s36, s5
	s_lshl_b64 s[28:29], s[28:29], 2
	s_mul_i32 s36, s38, s5
	s_add_u32 s28, s4, s28
	s_addc_u32 s29, s17, s29
	s_add_u32 s3, s10, s6
	s_clause 0x1
	s_load_b32 s4, s[22:23], 0x0
	s_load_b32 s17, s[28:29], 0x0
	s_addc_u32 s28, s11, s7
	s_lshl_b64 s[6:7], s[12:13], 1
	s_lshl_b64 s[10:11], s[20:21], 1
	;; [unrolled: 1-line block ×6, first 2 shown]
	s_waitcnt lgkmcnt(0)
	s_mul_hi_i32 s25, s15, s5
	s_mul_i32 s24, s15, s5
	s_waitcnt vmcnt(14)
	v_wmma_f32_16x16x16_bf16 v[134:141], v[1:8], v[41:48], v[110:117]
	s_waitcnt vmcnt(10)
	s_delay_alu instid0(VALU_DEP_1) | instskip(SKIP_1) | instid1(VALU_DEP_1)
	v_wmma_f32_16x16x16_bf16 v[134:141], v[17:24], v[49:56], v[134:141]
	s_waitcnt vmcnt(6)
	v_wmma_f32_16x16x16_bf16 v[134:141], v[33:40], v[118:125], v[134:141]
	s_waitcnt vmcnt(2)
	s_delay_alu instid0(VALU_DEP_1) | instskip(SKIP_1) | instid1(VALU_DEP_2)
	v_wmma_f32_16x16x16_bf16 v[134:141], v[94:101], v[126:133], v[134:141]
	v_lshlrev_b32_e32 v85, 6, v73
	v_mul_f32_e32 v100, s19, v141
	s_delay_alu instid0(VALU_DEP_2) | instskip(SKIP_2) | instid1(VALU_DEP_3)
	v_lshl_or_b32 v58, v74, 10, v85
	v_wmma_f32_16x16x16_bf16 v[110:117], v[9:16], v[41:48], v[110:117]
	v_mul_f32_e32 v99, s19, v135
	v_add_co_u32 v76, s3, s3, v58
	s_delay_alu instid0(VALU_DEP_1) | instskip(NEXT) | instid1(VALU_DEP_4)
	v_add_co_ci_u32_e64 v77, null, s28, 0, s3
	v_wmma_f32_16x16x16_bf16 v[110:117], v[25:32], v[49:56], v[110:117]
	s_delay_alu instid0(VALU_DEP_3) | instskip(NEXT) | instid1(VALU_DEP_3)
	v_add_co_u32 v57, vcc_lo, v76, s6
	v_add_co_ci_u32_e32 v58, vcc_lo, s7, v77, vcc_lo
	v_add_co_u32 v1, vcc_lo, v76, s10
	v_add_co_ci_u32_e32 v2, vcc_lo, s11, v77, vcc_lo
	;; [unrolled: 2-line block ×5, first 2 shown]
	s_clause 0x9
	global_load_b128 v[65:68], v[57:58], off
	global_load_b128 v[69:72], v[57:58], off offset:16
	global_load_b128 v[57:60], v[1:2], off
	global_load_b128 v[61:64], v[1:2], off offset:16
	;; [unrolled: 2-line block ×5, first 2 shown]
	v_add_co_u32 v5, vcc_lo, v76, s22
	s_lshl_b64 s[6:7], s[24:25], 1
	v_add_co_ci_u32_e32 v6, vcc_lo, s23, v77, vcc_lo
	s_mul_hi_i32 s9, s4, s5
	s_mul_i32 s8, s4, s5
	v_add_co_u32 v17, vcc_lo, v76, s6
	v_add_co_ci_u32_e32 v18, vcc_lo, s7, v77, vcc_lo
	s_lshl_b64 s[6:7], s[8:9], 1
	s_mul_hi_i32 s9, s17, s5
	s_mul_i32 s8, s17, s5
	v_add_co_u32 v19, vcc_lo, v76, s6
	s_lshl_b64 s[4:5], s[8:9], 1
	v_add_co_ci_u32_e32 v20, vcc_lo, s7, v77, vcc_lo
	v_add_co_u32 v21, vcc_lo, v76, s4
	v_add_co_ci_u32_e32 v22, vcc_lo, s5, v77, vcc_lo
	s_clause 0x7
	global_load_b128 v[1:4], v[5:6], off
	global_load_b128 v[5:8], v[5:6], off offset:16
	global_load_b128 v[33:36], v[17:18], off
	global_load_b128 v[37:40], v[17:18], off offset:16
	;; [unrolled: 2-line block ×4, first 2 shown]
	v_and_b32_e32 v76, 0xe0, v0
	v_mbcnt_lo_u32_b32 v77, -1, 0
	v_wmma_f32_16x16x16_bf16 v[110:117], v[86:93], v[118:125], v[110:117]
	s_waitcnt vmcnt(0)
	s_barrier
	v_add_nc_u32_e32 v76, s16, v76
	v_xor_b32_e32 v78, 16, v77
	v_wmma_f32_16x16x16_bf16 v[110:117], v[102:109], v[126:133], v[110:117]
	v_mul_f32_e32 v97, s19, v134
	buffer_gl0_inv
	v_or_b32_e32 v76, v76, v83
	v_cmp_gt_i32_e32 vcc_lo, 32, v78
	s_delay_alu instid0(VALU_DEP_2)
	v_or_b32_e32 v79, 4, v76
	v_cndmask_b32_e32 v77, v77, v78, vcc_lo
	v_or_b32_e32 v78, 2, v76
	v_or_b32_e32 v80, 6, v76
	v_cmp_gt_i32_e32 vcc_lo, s18, v76
	v_or_b32_e32 v86, 8, v76
	v_or_b32_e32 v87, 10, v76
	v_cmp_gt_i32_e64 s3, s18, v78
	v_or_b32_e32 v88, 12, v76
	v_or_b32_e32 v89, 14, v76
	;; [unrolled: 1-line block ×10, first 2 shown]
	v_cndmask_b32_e32 v76, 0xff7fffff, v97, vcc_lo
	v_cndmask_b32_e64 v78, 0xff7fffff, v99, s3
	v_mul_f32_e32 v99, s19, v137
	v_cmp_gt_i32_e64 s4, s18, v80
	v_mul_f32_e32 v80, s19, v136
	v_cmp_gt_i32_e64 s5, s18, v79
	v_max3_f32 v76, v76, 0xff7fffff, v78
	v_dual_mul_f32 v78, s19, v138 :: v_dual_mul_f32 v79, s19, v139
	v_cndmask_b32_e64 v99, 0xff7fffff, v99, s4
	s_delay_alu instid0(VALU_DEP_4)
	v_cndmask_b32_e64 v80, 0xff7fffff, v80, s5
	v_cmp_gt_i32_e64 s6, s18, v86
	v_cmp_gt_i32_e64 s7, s18, v87
	v_mul_f32_e32 v97, s19, v140
	v_cmp_gt_i32_e64 s8, s18, v89
	v_max3_f32 v76, v76, v80, v99
	v_cndmask_b32_e64 v78, 0xff7fffff, v78, s6
	v_cndmask_b32_e64 v79, 0xff7fffff, v79, s7
	v_cmp_gt_i32_e64 s9, s18, v88
	v_dual_mul_f32 v88, s19, v111 :: v_dual_mul_f32 v89, s19, v110
	v_cndmask_b32_e64 v100, 0xff7fffff, v100, s8
	s_delay_alu instid0(VALU_DEP_4) | instskip(NEXT) | instid1(VALU_DEP_4)
	v_max3_f32 v76, v76, v78, v79
	v_cndmask_b32_e64 v97, 0xff7fffff, v97, s9
	v_cmp_gt_i32_e64 s10, s18, v90
	v_cmp_gt_i32_e64 s11, s18, v91
	v_dual_mul_f32 v78, s19, v113 :: v_dual_mul_f32 v79, s19, v112
	s_delay_alu instid0(VALU_DEP_4) | instskip(NEXT) | instid1(VALU_DEP_4)
	v_max3_f32 v76, v76, v97, v100
	v_cndmask_b32_e64 v89, 0xff7fffff, v89, s10
	s_delay_alu instid0(VALU_DEP_4)
	v_cndmask_b32_e64 v88, 0xff7fffff, v88, s11
	v_cmp_gt_i32_e64 s12, s18, v92
	v_cmp_gt_i32_e64 s13, s18, v93
	v_mul_f32_e32 v87, s19, v115
	v_mul_f32_e32 v99, s19, v114
	v_max3_f32 v76, v76, v89, v88
	v_cndmask_b32_e64 v79, 0xff7fffff, v79, s12
	v_cndmask_b32_e64 v78, 0xff7fffff, v78, s13
	v_cmp_gt_i32_e64 s15, s18, v94
	v_cmp_gt_i32_e64 s16, s18, v95
	v_mul_f32_e32 v80, s19, v117
	v_mul_f32_e32 v86, s19, v116
	v_max3_f32 v76, v76, v79, v78
	v_cndmask_b32_e64 v88, 0xff7fffff, v99, s15
	v_cndmask_b32_e64 v87, 0xff7fffff, v87, s16
	v_cmp_gt_i32_e64 s17, s18, v96
	v_cmp_gt_i32_e64 s18, s18, v98
	v_lshlrev_b32_e32 v99, 2, v77
	s_delay_alu instid0(VALU_DEP_4) | instskip(NEXT) | instid1(VALU_DEP_4)
	v_max3_f32 v76, v76, v88, v87
	v_cndmask_b32_e64 v78, 0xff7fffff, v86, s17
	s_delay_alu instid0(VALU_DEP_4) | instskip(NEXT) | instid1(VALU_DEP_1)
	v_cndmask_b32_e64 v79, 0xff7fffff, v80, s18
	v_max3_f32 v76, v76, v78, v79
	ds_bpermute_b32 v77, v99, v76
	s_waitcnt lgkmcnt(0)
	v_max_f32_e32 v77, v77, v77
	s_delay_alu instid0(VALU_DEP_1) | instskip(NEXT) | instid1(VALU_DEP_1)
	v_max_f32_e32 v76, v76, v77
	v_fma_f32 v77, s19, v134, -v76
	v_fma_f32 v78, s19, v135, -v76
	;; [unrolled: 1-line block ×5, first 2 shown]
	s_delay_alu instid0(VALU_DEP_4) | instskip(SKIP_1) | instid1(VALU_DEP_4)
	v_dual_mul_f32 v77, 0x3fb8aa3b, v77 :: v_dual_mul_f32 v78, 0x3fb8aa3b, v78
	v_fma_f32 v88, s19, v114, -v76
	v_dual_mul_f32 v79, 0x3fb8aa3b, v79 :: v_dual_mul_f32 v80, 0x3fb8aa3b, v80
	s_delay_alu instid0(VALU_DEP_3) | instskip(NEXT) | instid1(VALU_DEP_3)
	v_exp_f32_e32 v77, v77
	v_exp_f32_e32 v78, v78
	s_delay_alu instid0(VALU_DEP_2) | instskip(NEXT) | instid1(VALU_DEP_2)
	v_mul_f32_e32 v88, 0x3fb8aa3b, v88
	v_exp_f32_e32 v79, v79
	v_mul_f32_e32 v86, 0x3fb8aa3b, v86
	v_exp_f32_e32 v80, v80
	v_fma_f32 v87, s19, v140, -v76
	v_fma_f32 v100, s19, v117, -v76
	;; [unrolled: 1-line block ×3, first 2 shown]
	v_exp_f32_e32 v86, v86
	v_cndmask_b32_e32 v92, 0, v77, vcc_lo
	v_fma_f32 v77, s19, v139, -v76
	v_cndmask_b32_e64 v91, 0, v78, s3
	v_cndmask_b32_e64 v93, 0, v79, s5
	v_fma_f32 v79, s19, v141, -v76
	s_delay_alu instid0(VALU_DEP_4) | instskip(SKIP_2) | instid1(TRANS32_DEP_1)
	v_dual_add_f32 v78, 0, v92 :: v_dual_mul_f32 v77, 0x3fb8aa3b, v77
	v_cndmask_b32_e64 v95, 0, v80, s4
	v_mul_f32_e32 v87, 0x3fb8aa3b, v87
	v_cndmask_b32_e64 v96, 0, v86, s6
	s_delay_alu instid0(VALU_DEP_4)
	v_add_f32_e32 v78, v78, v91
	v_exp_f32_e32 v77, v77
	v_fma_f32 v86, s19, v111, -v76
	v_fma_f32 v80, s19, v110, -v76
	v_exp_f32_e32 v87, v87
	v_add_f32_e32 v78, v78, v93
	v_mul_f32_e32 v100, 0x3fb8aa3b, v100
	v_mul_f32_e32 v86, 0x3fb8aa3b, v86
	;; [unrolled: 1-line block ×3, first 2 shown]
	v_exp_f32_e32 v88, v88
	v_add_f32_e32 v78, v78, v95
	v_cndmask_b32_e64 v97, 0, v77, s7
	v_exp_f32_e32 v86, v86
	v_exp_f32_e32 v80, v80
	v_cndmask_b32_e64 v94, 0, v87, s9
	v_add_f32_e32 v77, v78, v96
	v_fma_f32 v78, s19, v112, -v76
	v_fma_f32 v87, s19, v113, -v76
	v_exp_f32_e32 v100, v100
	v_cmp_gt_u32_e64 s3, 16, v75
	s_delay_alu instid0(VALU_DEP_3) | instskip(NEXT) | instid1(VALU_DEP_3)
	v_dual_add_f32 v77, v77, v97 :: v_dual_mul_f32 v78, 0x3fb8aa3b, v78
	v_mul_f32_e32 v87, 0x3fb8aa3b, v87
	s_delay_alu instid0(VALU_DEP_2) | instskip(SKIP_2) | instid1(VALU_DEP_3)
	v_exp_f32_e32 v89, v78
	v_cndmask_b32_e64 v78, 0, v86, s11
	v_mul_f32_e32 v79, 0x3fb8aa3b, v79
	v_exp_f32_e32 v87, v87
	s_delay_alu instid0(VALU_DEP_1)
	v_exp_f32_e32 v79, v79
	s_waitcnt_depctr 0xfff
	v_cndmask_b32_e64 v98, 0, v79, s8
	v_add_f32_e32 v79, v77, v94
	v_cndmask_b32_e64 v77, 0, v80, s10
	v_fma_f32 v80, s19, v115, -v76
	s_delay_alu instid0(VALU_DEP_1) | instskip(NEXT) | instid1(VALU_DEP_1)
	v_dual_add_f32 v79, v79, v98 :: v_dual_mul_f32 v80, 0x3fb8aa3b, v80
	v_add_f32_e32 v86, v79, v77
	v_cndmask_b32_e64 v79, 0, v89, s12
	v_mul_f32_e32 v89, 0x3fb8aa3b, v90
	s_delay_alu instid0(VALU_DEP_4) | instskip(SKIP_2) | instid1(VALU_DEP_3)
	v_exp_f32_e32 v90, v80
	v_cndmask_b32_e64 v80, 0, v87, s13
	v_add_f32_e32 v86, v86, v78
	v_exp_f32_e32 v89, v89
	s_delay_alu instid0(VALU_DEP_1) | instskip(SKIP_1) | instid1(VALU_DEP_2)
	v_add_f32_e32 v87, v86, v79
	v_cndmask_b32_e64 v86, 0, v88, s15
	v_add_f32_e32 v88, v87, v80
	s_delay_alu instid0(TRANS32_DEP_2) | instskip(NEXT) | instid1(VALU_DEP_2)
	v_cndmask_b32_e64 v87, 0, v90, s16
	v_add_f32_e32 v90, v88, v86
	s_waitcnt_depctr 0xfff
	v_cndmask_b32_e64 v88, 0, v89, s17
	v_add_f32_e32 v89, v90, v87
	s_delay_alu instid0(VALU_DEP_1) | instskip(SKIP_1) | instid1(VALU_DEP_1)
	v_add_f32_e32 v90, v89, v88
	v_cndmask_b32_e64 v89, 0, v100, s18
	v_add_f32_e32 v90, v90, v89
	ds_bpermute_b32 v99, v99, v90
	s_and_saveexec_b32 s4, s3
	s_cbranch_execz .LBB548_14
; %bb.13:
	v_mul_u32_u24_e32 v75, 0x44, v74
	s_waitcnt lgkmcnt(0)
	v_add_f32_e32 v90, v90, v99
	s_delay_alu instid0(VALU_DEP_2) | instskip(NEXT) | instid1(VALU_DEP_1)
	v_lshl_add_u32 v75, v73, 2, v75
	v_add_nc_u32_e32 v75, 0x4000, v75
	ds_store_2addr_b32 v75, v76, v90 offset1:136
.LBB548_14:
	s_or_b32 exec_lo, exec_lo, s4
	v_lshlrev_b32_e32 v75, 2, v73
	s_waitcnt lgkmcnt(0)
	s_barrier
	buffer_gl0_inv
	v_cmp_eq_u32_e64 s4, 1, v74
	v_add_nc_u32_e32 v90, 0x4000, v75
	ds_load_2addr_b32 v[99:100], v90 offset1:17
	ds_load_2addr_b32 v[101:102], v90 offset0:34 offset1:51
	ds_load_2addr_b32 v[103:104], v90 offset0:68 offset1:85
	;; [unrolled: 1-line block ×4, first 2 shown]
	s_waitcnt lgkmcnt(4)
	v_max3_f32 v75, v99, 0xff7fffff, v100
	s_waitcnt lgkmcnt(3)
	s_delay_alu instid0(VALU_DEP_1) | instskip(SKIP_1) | instid1(VALU_DEP_1)
	v_max3_f32 v75, v75, v101, v102
	s_waitcnt lgkmcnt(2)
	v_max3_f32 v75, v75, v103, v104
	s_waitcnt lgkmcnt(1)
	s_delay_alu instid0(VALU_DEP_1) | instskip(NEXT) | instid1(VALU_DEP_1)
	v_max3_f32 v75, v75, v105, v106
	v_sub_f32_e32 v109, v100, v75
	v_sub_f32_e32 v76, v99, v75
	ds_load_2addr_b32 v[99:100], v90 offset0:170 offset1:187
	v_sub_f32_e32 v101, v101, v75
	v_dual_mul_f32 v109, 0x3fb8aa3b, v109 :: v_dual_mul_f32 v76, 0x3fb8aa3b, v76
	s_delay_alu instid0(VALU_DEP_2) | instskip(NEXT) | instid1(VALU_DEP_2)
	v_mul_f32_e32 v111, 0x3fb8aa3b, v101
	v_exp_f32_e32 v109, v109
	s_delay_alu instid0(VALU_DEP_2)
	v_exp_f32_e32 v110, v76
	v_sub_f32_e32 v76, v102, v75
	ds_load_2addr_b32 v[101:102], v90 offset0:204 offset1:221
	v_exp_f32_e32 v111, v111
	v_mul_f32_e32 v112, 0x3fb8aa3b, v76
	s_waitcnt lgkmcnt(2)
	v_fma_f32 v76, v110, v107, 0
	v_sub_f32_e32 v103, v103, v75
	s_delay_alu instid0(VALU_DEP_3) | instskip(NEXT) | instid1(VALU_DEP_2)
	v_exp_f32_e32 v112, v112
	v_dual_sub_f32 v107, v104, v75 :: v_dual_fmac_f32 v76, v109, v108
	s_waitcnt lgkmcnt(1)
	s_waitcnt_depctr 0xfff
	v_fmac_f32_e32 v76, v111, v99
	v_mul_f32_e32 v113, 0x3fb8aa3b, v103
	ds_load_2addr_b32 v[103:104], v90 offset0:238 offset1:255
	v_sub_f32_e32 v90, v105, v75
	v_dual_sub_f32 v99, v106, v75 :: v_dual_fmac_f32 v76, v112, v100
	v_mul_f32_e32 v105, 0x3fb8aa3b, v107
	v_exp_f32_e32 v107, v113
	s_delay_alu instid0(VALU_DEP_2)
	v_dual_mul_f32 v90, 0x3fb8aa3b, v90 :: v_dual_mul_f32 v99, 0x3fb8aa3b, v99
	s_waitcnt lgkmcnt(0)
	s_barrier
	buffer_gl0_inv
	v_exp_f32_e32 v90, v90
	v_exp_f32_e32 v99, v99
	v_fmac_f32_e32 v76, v107, v101
	v_exp_f32_e32 v105, v105
	s_waitcnt_depctr 0xfff
	v_fmac_f32_e32 v76, v105, v102
	s_delay_alu instid0(VALU_DEP_1) | instskip(NEXT) | instid1(VALU_DEP_1)
	v_fmac_f32_e32 v76, v90, v103
	v_fmac_f32_e32 v76, v99, v104
	s_delay_alu instid0(VALU_DEP_1) | instskip(NEXT) | instid1(VALU_DEP_1)
	v_add_f32_e32 v100, 0x358637bd, v76
	v_div_scale_f32 v101, null, v100, v100, 1.0
	v_div_scale_f32 v104, vcc_lo, 1.0, v100, 1.0
	s_delay_alu instid0(VALU_DEP_2) | instskip(SKIP_2) | instid1(VALU_DEP_1)
	v_rcp_f32_e32 v102, v101
	s_waitcnt_depctr 0xfff
	v_fma_f32 v103, -v101, v102, 1.0
	v_fmac_f32_e32 v102, v103, v102
	v_cndmask_b32_e64 v103, v110, v109, s4
	v_cmp_eq_u32_e64 s4, 2, v74
	s_delay_alu instid0(VALU_DEP_3) | instskip(NEXT) | instid1(VALU_DEP_2)
	v_mul_f32_e32 v106, v104, v102
	v_cndmask_b32_e64 v103, v103, v111, s4
	v_cmp_eq_u32_e64 s4, 3, v74
	s_delay_alu instid0(VALU_DEP_3) | instskip(NEXT) | instid1(VALU_DEP_2)
	v_fma_f32 v108, -v101, v106, v104
	v_cndmask_b32_e64 v103, v103, v112, s4
	v_cmp_eq_u32_e64 s4, 4, v74
	s_delay_alu instid0(VALU_DEP_3) | instskip(NEXT) | instid1(VALU_DEP_2)
	v_fmac_f32_e32 v106, v108, v102
	v_cndmask_b32_e64 v103, v103, v107, s4
	s_delay_alu instid0(VALU_DEP_2) | instskip(SKIP_1) | instid1(VALU_DEP_2)
	v_fma_f32 v101, -v101, v106, v104
	v_cmp_eq_u32_e64 s4, 5, v74
	v_div_fmas_f32 v101, v101, v102, v106
	s_delay_alu instid0(VALU_DEP_2) | instskip(SKIP_2) | instid1(VALU_DEP_3)
	v_cndmask_b32_e64 v103, v103, v105, s4
	v_cmp_eq_u32_e32 vcc_lo, 6, v74
	s_mov_b32 s4, exec_lo
	v_div_fixup_f32 v100, v101, v100, 1.0
	s_delay_alu instid0(VALU_DEP_3) | instskip(SKIP_1) | instid1(VALU_DEP_2)
	v_cndmask_b32_e32 v90, v103, v90, vcc_lo
	v_cmp_eq_u32_e32 vcc_lo, 7, v74
	v_cndmask_b32_e32 v90, v90, v99, vcc_lo
	s_delay_alu instid0(VALU_DEP_1) | instskip(NEXT) | instid1(VALU_DEP_1)
	v_mul_f32_e32 v90, v90, v100
	v_mul_f32_e32 v100, v90, v92
	v_mul_f32_e32 v92, v90, v98
	v_mul_f32_e32 v94, v90, v94
	v_mul_f32_e32 v97, v90, v97
	v_mul_f32_e32 v98, v90, v96
	v_and_b32_e32 v101, 0x7f800000, v100
	v_mul_f32_e32 v99, v90, v95
	v_mul_f32_e32 v95, v90, v91
	;; [unrolled: 1-line block ×3, first 2 shown]
                                        ; implicit-def: $vgpr91
	s_delay_alu instid0(VALU_DEP_4)
	v_cmpx_ne_u32_e32 0x7f800000, v101
	s_xor_b32 s4, exec_lo, s4
; %bb.15:
	v_bfe_u32 v91, v100, 16, 1
	s_delay_alu instid0(VALU_DEP_1)
	v_add3_u32 v91, v100, v91, 0x7fff
                                        ; implicit-def: $vgpr100
; %bb.16:
	s_and_not1_saveexec_b32 s4, s4
; %bb.17:
	v_and_b32_e32 v91, 0xffff, v100
	v_or_b32_e32 v93, 0x10000, v100
	s_delay_alu instid0(VALU_DEP_2) | instskip(NEXT) | instid1(VALU_DEP_2)
	v_cmp_eq_u32_e32 vcc_lo, 0, v91
	v_cndmask_b32_e32 v91, v93, v100, vcc_lo
; %bb.18:
	s_or_b32 exec_lo, exec_lo, s4
	v_and_b32_e32 v93, 0x7f800000, v95
	s_delay_alu instid0(VALU_DEP_1) | instskip(SKIP_1) | instid1(SALU_CYCLE_1)
	v_cmp_ne_u32_e32 vcc_lo, 0x7f800000, v93
                                        ; implicit-def: $vgpr93
	s_and_saveexec_b32 s4, vcc_lo
	s_xor_b32 s4, exec_lo, s4
; %bb.19:
	v_bfe_u32 v93, v95, 16, 1
	s_delay_alu instid0(VALU_DEP_1)
	v_add3_u32 v93, v95, v93, 0x7fff
                                        ; implicit-def: $vgpr95
; %bb.20:
	s_and_not1_saveexec_b32 s4, s4
; %bb.21:
	v_and_b32_e32 v93, 0xffff, v95
	v_or_b32_e32 v100, 0x10000, v95
	s_delay_alu instid0(VALU_DEP_2) | instskip(NEXT) | instid1(VALU_DEP_2)
	v_cmp_eq_u32_e32 vcc_lo, 0, v93
	v_cndmask_b32_e32 v93, v100, v95, vcc_lo
; %bb.22:
	s_or_b32 exec_lo, exec_lo, s4
	v_and_b32_e32 v95, 0x7f800000, v96
	s_delay_alu instid0(VALU_DEP_1) | instskip(SKIP_1) | instid1(SALU_CYCLE_1)
	v_cmp_ne_u32_e32 vcc_lo, 0x7f800000, v95
                                        ; implicit-def: $vgpr95
	s_and_saveexec_b32 s4, vcc_lo
	s_xor_b32 s4, exec_lo, s4
; %bb.23:
	v_bfe_u32 v95, v96, 16, 1
	s_delay_alu instid0(VALU_DEP_1)
	v_add3_u32 v95, v96, v95, 0x7fff
                                        ; implicit-def: $vgpr96
; %bb.24:
	s_and_not1_saveexec_b32 s4, s4
; %bb.25:
	v_and_b32_e32 v95, 0xffff, v96
	v_or_b32_e32 v100, 0x10000, v96
	s_delay_alu instid0(VALU_DEP_2) | instskip(NEXT) | instid1(VALU_DEP_2)
	v_cmp_eq_u32_e32 vcc_lo, 0, v95
	v_cndmask_b32_e32 v95, v100, v96, vcc_lo
; %bb.26:
	s_or_b32 exec_lo, exec_lo, s4
	v_and_b32_e32 v96, 0x7f800000, v99
	s_delay_alu instid0(VALU_DEP_1) | instskip(SKIP_1) | instid1(SALU_CYCLE_1)
	v_cmp_ne_u32_e32 vcc_lo, 0x7f800000, v96
                                        ; implicit-def: $vgpr96
	s_and_saveexec_b32 s4, vcc_lo
	s_xor_b32 s4, exec_lo, s4
; %bb.27:
	v_bfe_u32 v96, v99, 16, 1
	s_delay_alu instid0(VALU_DEP_1)
	v_add3_u32 v96, v99, v96, 0x7fff
                                        ; implicit-def: $vgpr99
; %bb.28:
	s_and_not1_saveexec_b32 s4, s4
; %bb.29:
	v_and_b32_e32 v96, 0xffff, v99
	v_or_b32_e32 v100, 0x10000, v99
	s_delay_alu instid0(VALU_DEP_2) | instskip(NEXT) | instid1(VALU_DEP_2)
	v_cmp_eq_u32_e32 vcc_lo, 0, v96
	v_cndmask_b32_e32 v96, v100, v99, vcc_lo
; %bb.30:
	s_or_b32 exec_lo, exec_lo, s4
	v_and_b32_e32 v99, 0x7f800000, v98
	s_delay_alu instid0(VALU_DEP_1) | instskip(SKIP_1) | instid1(SALU_CYCLE_1)
	v_cmp_ne_u32_e32 vcc_lo, 0x7f800000, v99
                                        ; implicit-def: $vgpr99
	s_and_saveexec_b32 s4, vcc_lo
	s_xor_b32 s4, exec_lo, s4
; %bb.31:
	v_bfe_u32 v99, v98, 16, 1
	s_delay_alu instid0(VALU_DEP_1)
	v_add3_u32 v99, v98, v99, 0x7fff
                                        ; implicit-def: $vgpr98
; %bb.32:
	s_and_not1_saveexec_b32 s4, s4
; %bb.33:
	v_and_b32_e32 v99, 0xffff, v98
	v_or_b32_e32 v100, 0x10000, v98
	s_delay_alu instid0(VALU_DEP_2) | instskip(NEXT) | instid1(VALU_DEP_2)
	v_cmp_eq_u32_e32 vcc_lo, 0, v99
	v_cndmask_b32_e32 v99, v100, v98, vcc_lo
; %bb.34:
	s_or_b32 exec_lo, exec_lo, s4
	v_and_b32_e32 v98, 0x7f800000, v97
	s_delay_alu instid0(VALU_DEP_1) | instskip(SKIP_1) | instid1(SALU_CYCLE_1)
	v_cmp_ne_u32_e32 vcc_lo, 0x7f800000, v98
                                        ; implicit-def: $vgpr98
	s_and_saveexec_b32 s4, vcc_lo
	s_xor_b32 s4, exec_lo, s4
; %bb.35:
	v_bfe_u32 v98, v97, 16, 1
	s_delay_alu instid0(VALU_DEP_1)
	v_add3_u32 v98, v97, v98, 0x7fff
                                        ; implicit-def: $vgpr97
; %bb.36:
	s_and_not1_saveexec_b32 s4, s4
; %bb.37:
	v_and_b32_e32 v98, 0xffff, v97
	v_or_b32_e32 v100, 0x10000, v97
	s_delay_alu instid0(VALU_DEP_2) | instskip(NEXT) | instid1(VALU_DEP_2)
	v_cmp_eq_u32_e32 vcc_lo, 0, v98
	v_cndmask_b32_e32 v98, v100, v97, vcc_lo
; %bb.38:
	s_or_b32 exec_lo, exec_lo, s4
	v_and_b32_e32 v97, 0x7f800000, v94
	s_delay_alu instid0(VALU_DEP_1) | instskip(SKIP_1) | instid1(SALU_CYCLE_1)
	v_cmp_ne_u32_e32 vcc_lo, 0x7f800000, v97
                                        ; implicit-def: $vgpr97
	s_and_saveexec_b32 s4, vcc_lo
	s_xor_b32 s4, exec_lo, s4
; %bb.39:
	v_bfe_u32 v97, v94, 16, 1
	s_delay_alu instid0(VALU_DEP_1)
	v_add3_u32 v97, v94, v97, 0x7fff
                                        ; implicit-def: $vgpr94
; %bb.40:
	s_and_not1_saveexec_b32 s4, s4
; %bb.41:
	v_and_b32_e32 v97, 0xffff, v94
	v_or_b32_e32 v100, 0x10000, v94
	s_delay_alu instid0(VALU_DEP_2) | instskip(NEXT) | instid1(VALU_DEP_2)
	v_cmp_eq_u32_e32 vcc_lo, 0, v97
	v_cndmask_b32_e32 v97, v100, v94, vcc_lo
; %bb.42:
	s_or_b32 exec_lo, exec_lo, s4
	v_and_b32_e32 v94, 0x7f800000, v92
	s_delay_alu instid0(VALU_DEP_1) | instskip(SKIP_1) | instid1(SALU_CYCLE_1)
	v_cmp_ne_u32_e32 vcc_lo, 0x7f800000, v94
                                        ; implicit-def: $vgpr94
	s_and_saveexec_b32 s4, vcc_lo
	s_xor_b32 s4, exec_lo, s4
; %bb.43:
	v_bfe_u32 v94, v92, 16, 1
	s_delay_alu instid0(VALU_DEP_1)
	v_add3_u32 v94, v92, v94, 0x7fff
                                        ; implicit-def: $vgpr92
; %bb.44:
	s_and_not1_saveexec_b32 s4, s4
; %bb.45:
	v_and_b32_e32 v94, 0xffff, v92
	v_or_b32_e32 v100, 0x10000, v92
	s_delay_alu instid0(VALU_DEP_2) | instskip(NEXT) | instid1(VALU_DEP_2)
	v_cmp_eq_u32_e32 vcc_lo, 0, v94
	v_cndmask_b32_e32 v94, v100, v92, vcc_lo
; %bb.46:
	s_or_b32 exec_lo, exec_lo, s4
	s_load_b64 s[36:37], s[0:1], 0x94
	v_lshlrev_b32_e32 v92, 4, v83
	s_delay_alu instid0(VALU_DEP_2)
	v_perm_b32 v100, v94, v97, 0x7060302
	v_dual_mul_f32 v89, v90, v89 :: v_dual_lshlrev_b32 v94, 11, v74
	v_perm_b32 v97, v93, v91, 0x7060302
	v_mul_f32_e32 v93, v90, v77
	v_perm_b32 v99, v98, v99, 0x7060302
	v_perm_b32 v98, v96, v95, 0x7060302
	v_or3_b32 v77, v92, v94, v85
	v_mul_f32_e32 v88, v90, v88
	v_dual_mul_f32 v87, v90, v87 :: v_dual_and_b32 v94, 0x7f800000, v93
	v_mul_f32_e32 v86, v90, v86
	v_mul_f32_e32 v91, v90, v80
	;; [unrolled: 1-line block ×4, first 2 shown]
	s_mov_b32 s4, exec_lo
	ds_store_b128 v77, v[97:100]
                                        ; implicit-def: $vgpr78
	v_cmpx_ne_u32_e32 0x7f800000, v94
	s_xor_b32 s4, exec_lo, s4
; %bb.47:
	v_bfe_u32 v78, v93, 16, 1
	s_delay_alu instid0(VALU_DEP_1)
	v_add3_u32 v78, v93, v78, 0x7fff
                                        ; implicit-def: $vgpr93
; %bb.48:
	s_and_not1_saveexec_b32 s4, s4
; %bb.49:
	v_and_b32_e32 v78, 0xffff, v93
	v_or_b32_e32 v79, 0x10000, v93
	s_delay_alu instid0(VALU_DEP_2) | instskip(NEXT) | instid1(VALU_DEP_2)
	v_cmp_eq_u32_e32 vcc_lo, 0, v78
	v_cndmask_b32_e32 v78, v79, v93, vcc_lo
; %bb.50:
	s_or_b32 exec_lo, exec_lo, s4
	v_and_b32_e32 v79, 0x7f800000, v80
	s_delay_alu instid0(VALU_DEP_1) | instskip(SKIP_1) | instid1(SALU_CYCLE_1)
	v_cmp_ne_u32_e32 vcc_lo, 0x7f800000, v79
                                        ; implicit-def: $vgpr79
	s_and_saveexec_b32 s4, vcc_lo
	s_xor_b32 s4, exec_lo, s4
; %bb.51:
	v_bfe_u32 v79, v80, 16, 1
	s_delay_alu instid0(VALU_DEP_1)
	v_add3_u32 v79, v80, v79, 0x7fff
                                        ; implicit-def: $vgpr80
; %bb.52:
	s_and_not1_saveexec_b32 s4, s4
; %bb.53:
	v_and_b32_e32 v79, 0xffff, v80
	v_or_b32_e32 v90, 0x10000, v80
	s_delay_alu instid0(VALU_DEP_2) | instskip(NEXT) | instid1(VALU_DEP_2)
	v_cmp_eq_u32_e32 vcc_lo, 0, v79
	v_cndmask_b32_e32 v79, v90, v80, vcc_lo
; %bb.54:
	s_or_b32 exec_lo, exec_lo, s4
	v_and_b32_e32 v80, 0x7f800000, v92
	s_delay_alu instid0(VALU_DEP_1) | instskip(SKIP_1) | instid1(SALU_CYCLE_1)
	v_cmp_ne_u32_e32 vcc_lo, 0x7f800000, v80
                                        ; implicit-def: $vgpr80
	s_and_saveexec_b32 s4, vcc_lo
	s_xor_b32 s4, exec_lo, s4
; %bb.55:
	v_bfe_u32 v80, v92, 16, 1
	s_delay_alu instid0(VALU_DEP_1)
	v_add3_u32 v80, v92, v80, 0x7fff
                                        ; implicit-def: $vgpr92
; %bb.56:
	s_and_not1_saveexec_b32 s4, s4
; %bb.57:
	v_and_b32_e32 v80, 0xffff, v92
	v_or_b32_e32 v90, 0x10000, v92
	s_delay_alu instid0(VALU_DEP_2) | instskip(NEXT) | instid1(VALU_DEP_2)
	v_cmp_eq_u32_e32 vcc_lo, 0, v80
	v_cndmask_b32_e32 v80, v90, v92, vcc_lo
; %bb.58:
	s_or_b32 exec_lo, exec_lo, s4
	v_and_b32_e32 v90, 0x7f800000, v91
	s_delay_alu instid0(VALU_DEP_1) | instskip(SKIP_1) | instid1(SALU_CYCLE_1)
	v_cmp_ne_u32_e32 vcc_lo, 0x7f800000, v90
                                        ; implicit-def: $vgpr90
	s_and_saveexec_b32 s4, vcc_lo
	s_xor_b32 s4, exec_lo, s4
; %bb.59:
	v_bfe_u32 v90, v91, 16, 1
	s_delay_alu instid0(VALU_DEP_1)
	v_add3_u32 v90, v91, v90, 0x7fff
                                        ; implicit-def: $vgpr91
; %bb.60:
	s_and_not1_saveexec_b32 s4, s4
; %bb.61:
	v_and_b32_e32 v90, 0xffff, v91
	v_or_b32_e32 v92, 0x10000, v91
	s_delay_alu instid0(VALU_DEP_2) | instskip(NEXT) | instid1(VALU_DEP_2)
	v_cmp_eq_u32_e32 vcc_lo, 0, v90
	v_cndmask_b32_e32 v90, v92, v91, vcc_lo
; %bb.62:
	s_or_b32 exec_lo, exec_lo, s4
	v_and_b32_e32 v91, 0x7f800000, v86
	s_delay_alu instid0(VALU_DEP_1) | instskip(SKIP_1) | instid1(SALU_CYCLE_1)
	v_cmp_ne_u32_e32 vcc_lo, 0x7f800000, v91
                                        ; implicit-def: $vgpr91
	s_and_saveexec_b32 s4, vcc_lo
	s_xor_b32 s4, exec_lo, s4
; %bb.63:
	v_bfe_u32 v91, v86, 16, 1
	s_delay_alu instid0(VALU_DEP_1)
	v_add3_u32 v91, v86, v91, 0x7fff
                                        ; implicit-def: $vgpr86
; %bb.64:
	s_and_not1_saveexec_b32 s4, s4
; %bb.65:
	v_and_b32_e32 v91, 0xffff, v86
	v_or_b32_e32 v92, 0x10000, v86
	s_delay_alu instid0(VALU_DEP_2) | instskip(NEXT) | instid1(VALU_DEP_2)
	v_cmp_eq_u32_e32 vcc_lo, 0, v91
	v_cndmask_b32_e32 v91, v92, v86, vcc_lo
; %bb.66:
	s_or_b32 exec_lo, exec_lo, s4
	v_and_b32_e32 v86, 0x7f800000, v87
	s_delay_alu instid0(VALU_DEP_1) | instskip(SKIP_1) | instid1(SALU_CYCLE_1)
	v_cmp_ne_u32_e32 vcc_lo, 0x7f800000, v86
                                        ; implicit-def: $vgpr86
	s_and_saveexec_b32 s4, vcc_lo
	s_xor_b32 s4, exec_lo, s4
; %bb.67:
	v_bfe_u32 v86, v87, 16, 1
	s_delay_alu instid0(VALU_DEP_1)
	v_add3_u32 v86, v87, v86, 0x7fff
                                        ; implicit-def: $vgpr87
; %bb.68:
	s_and_not1_saveexec_b32 s4, s4
; %bb.69:
	v_and_b32_e32 v86, 0xffff, v87
	v_or_b32_e32 v92, 0x10000, v87
	s_delay_alu instid0(VALU_DEP_2) | instskip(NEXT) | instid1(VALU_DEP_2)
	v_cmp_eq_u32_e32 vcc_lo, 0, v86
	v_cndmask_b32_e32 v86, v92, v87, vcc_lo
; %bb.70:
	s_or_b32 exec_lo, exec_lo, s4
	v_and_b32_e32 v87, 0x7f800000, v88
	s_delay_alu instid0(VALU_DEP_1) | instskip(SKIP_1) | instid1(SALU_CYCLE_1)
	v_cmp_ne_u32_e32 vcc_lo, 0x7f800000, v87
                                        ; implicit-def: $vgpr87
	s_and_saveexec_b32 s4, vcc_lo
	s_xor_b32 s4, exec_lo, s4
; %bb.71:
	v_bfe_u32 v87, v88, 16, 1
	s_delay_alu instid0(VALU_DEP_1)
	v_add3_u32 v87, v88, v87, 0x7fff
                                        ; implicit-def: $vgpr88
; %bb.72:
	s_and_not1_saveexec_b32 s4, s4
; %bb.73:
	v_and_b32_e32 v87, 0xffff, v88
	v_or_b32_e32 v92, 0x10000, v88
	s_delay_alu instid0(VALU_DEP_2) | instskip(NEXT) | instid1(VALU_DEP_2)
	v_cmp_eq_u32_e32 vcc_lo, 0, v87
	v_cndmask_b32_e32 v87, v92, v88, vcc_lo
; %bb.74:
	s_or_b32 exec_lo, exec_lo, s4
	v_and_b32_e32 v88, 0x7f800000, v89
	s_delay_alu instid0(VALU_DEP_1) | instskip(SKIP_1) | instid1(SALU_CYCLE_1)
	v_cmp_ne_u32_e32 vcc_lo, 0x7f800000, v88
                                        ; implicit-def: $vgpr88
	s_and_saveexec_b32 s4, vcc_lo
	s_xor_b32 s4, exec_lo, s4
; %bb.75:
	v_bfe_u32 v88, v89, 16, 1
	s_delay_alu instid0(VALU_DEP_1)
	v_add3_u32 v88, v89, v88, 0x7fff
                                        ; implicit-def: $vgpr89
; %bb.76:
	s_and_not1_saveexec_b32 s4, s4
; %bb.77:
	v_and_b32_e32 v88, 0xffff, v89
	v_or_b32_e32 v92, 0x10000, v89
	s_delay_alu instid0(VALU_DEP_2) | instskip(NEXT) | instid1(VALU_DEP_2)
	v_cmp_eq_u32_e32 vcc_lo, 0, v88
	v_cndmask_b32_e32 v88, v92, v89, vcc_lo
; %bb.78:
	s_or_b32 exec_lo, exec_lo, s4
	s_delay_alu instid0(VALU_DEP_1)
	v_perm_b32 v89, v88, v87, 0x7060302
	v_perm_b32 v88, v86, v91, 0x7060302
	;; [unrolled: 1-line block ×4, first 2 shown]
	v_lshl_or_b32 v90, v74, 11, v85
	ds_store_b128 v77, v[86:89] offset:1024
	s_waitcnt lgkmcnt(0)
	s_barrier
	buffer_gl0_inv
	ds_load_b128 v[91:94], v90
	ds_load_b128 v[95:98], v90 offset:16
	v_lshlrev_b32_e32 v87, 2, v83
	s_delay_alu instid0(VALU_DEP_1)
	v_or_b32_e32 v88, 1, v87
	v_cmp_eq_u32_e32 vcc_lo, 1, v87
	v_cmp_eq_u32_e64 s5, 2, v87
	v_cmp_eq_u32_e64 s8, 3, v87
	;; [unrolled: 1-line block ×6, first 2 shown]
	v_or_b32_e32 v86, 2, v87
	v_cmp_eq_u32_e64 s11, 5, v87
	v_cmp_eq_u32_e64 s12, 4, v88
	;; [unrolled: 1-line block ×4, first 2 shown]
	s_waitcnt lgkmcnt(1)
	v_lshrrev_b32_e32 v74, 16, v91
	s_waitcnt lgkmcnt(0)
	v_lshrrev_b32_e32 v103, 16, v95
	v_lshrrev_b32_e32 v80, 16, v94
	;; [unrolled: 1-line block ×4, first 2 shown]
	v_cndmask_b32_e32 v89, v91, v74, vcc_lo
	v_cndmask_b32_e32 v99, v95, v103, vcc_lo
	v_cndmask_b32_e64 v100, v91, v74, s4
	v_lshrrev_b32_e32 v79, 16, v93
	v_lshrrev_b32_e32 v108, 16, v97
	v_cndmask_b32_e64 v89, v89, v92, s5
	v_cndmask_b32_e64 v99, v99, v96, s5
	v_cndmask_b32_e64 v100, v100, v92, s7
	v_cndmask_b32_e64 v101, v95, v103, s4
	v_cmp_eq_u32_e64 s6, 1, v86
	v_cndmask_b32_e64 v89, v89, v78, s8
	v_cndmask_b32_e64 v99, v99, v107, s8
	v_cndmask_b32_e64 v100, v100, v78, s9
	v_cndmask_b32_e64 v101, v101, v96, s7
	v_lshrrev_b32_e32 v109, 16, v98
	v_cndmask_b32_e64 v89, v89, v93, s10
	v_cndmask_b32_e64 v99, v99, v97, s10
	;; [unrolled: 1-line block ×8, first 2 shown]
	v_cmp_eq_u32_e64 s16, 7, v87
	v_cmp_eq_u32_e64 s17, 6, v88
	v_cndmask_b32_e64 v89, v89, v94, s13
	v_cndmask_b32_e64 v99, v99, v98, s13
	v_cmp_eq_u32_e64 s18, 2, v86
	v_cndmask_b32_e64 v101, v101, v97, s12
	v_cndmask_b32_e64 v100, v100, v94, s17
	;; [unrolled: 1-line block ×6, first 2 shown]
	v_cmp_eq_u32_e64 s19, 7, v88
	v_cmp_eq_u32_e64 s20, 3, v86
	v_cmp_eq_u32_e64 s21, 4, v86
	v_cmp_eq_u32_e64 s23, 5, v86
	v_cndmask_b32_e64 v99, v99, v96, s18
	v_cndmask_b32_e64 v112, v100, v80, s19
	;; [unrolled: 1-line block ×4, first 2 shown]
	v_or_b32_e32 v89, 3, v87
	v_cndmask_b32_e64 v105, v99, v107, s20
	v_cmp_eq_u32_e64 s25, 6, v86
	v_cndmask_b32_e64 v113, v100, v98, s17
	v_cndmask_b32_e64 v104, v101, v93, s21
	ds_load_b128 v[99:102], v90 offset:1024
	v_cmp_eq_u32_e64 s22, 1, v89
	v_cmp_eq_u32_e64 s24, 2, v89
	;; [unrolled: 1-line block ×3, first 2 shown]
	v_cndmask_b32_e64 v114, v104, v79, s23
	v_cmp_eq_u32_e64 s27, 4, v89
	v_cndmask_b32_e64 v74, v91, v74, s22
	v_cndmask_b32_e64 v91, v105, v97, s21
	;; [unrolled: 1-line block ×3, first 2 shown]
	ds_load_b128 v[103:106], v90 offset:1040
	v_cmp_eq_u32_e64 s29, 5, v89
	v_cndmask_b32_e64 v74, v74, v92, s24
	v_cndmask_b32_e64 v91, v91, v108, s23
	;; [unrolled: 1-line block ×3, first 2 shown]
	v_cmp_eq_u32_e64 s30, 6, v89
	v_cndmask_b32_e64 v95, v113, v109, s19
	v_cndmask_b32_e64 v74, v74, v78, s26
	;; [unrolled: 1-line block ×5, first 2 shown]
	s_waitcnt lgkmcnt(1)
	v_lshrrev_b32_e32 v96, 16, v99
	v_cndmask_b32_e64 v74, v74, v93, s27
	v_lshrrev_b32_e32 v107, 16, v100
	v_cndmask_b32_e64 v92, v92, v97, s27
	v_cmp_eq_u32_e64 s28, 7, v86
	v_cndmask_b32_e32 v93, v99, v96, vcc_lo
	v_cndmask_b32_e64 v74, v74, v79, s29
	s_delay_alu instid0(VALU_DEP_4)
	v_cndmask_b32_e64 v79, v92, v108, s29
	s_waitcnt lgkmcnt(0)
	v_lshrrev_b32_e32 v97, 16, v103
	v_cndmask_b32_e64 v92, v93, v100, s5
	v_cndmask_b32_e64 v93, v99, v96, s4
	;; [unrolled: 1-line block ×4, first 2 shown]
	v_cndmask_b32_e32 v108, v103, v97, vcc_lo
	v_cndmask_b32_e64 v92, v92, v107, s8
	v_cndmask_b32_e64 v93, v93, v100, s7
	v_lshrrev_b32_e32 v98, 16, v104
	v_cmp_eq_u32_e32 vcc_lo, 7, v89
	v_cndmask_b32_e64 v94, v108, v104, s5
	v_cndmask_b32_e64 v92, v92, v101, s10
	v_lshrrev_b32_e32 v108, 16, v101
	v_cndmask_b32_e64 v93, v93, v107, s9
	v_cndmask_b32_e32 v74, v74, v80, vcc_lo
	v_cndmask_b32_e64 v94, v94, v98, s8
	v_cndmask_b32_e32 v79, v79, v109, vcc_lo
	v_cndmask_b32_e64 v92, v92, v108, s11
	v_cndmask_b32_e64 v78, v78, v80, s28
	;; [unrolled: 1-line block ×4, first 2 shown]
	v_perm_b32 v94, v79, v74, 0x5040100
	v_cndmask_b32_e64 v79, v92, v102, s13
	v_perm_b32 v92, v95, v112, 0x5040100
	v_cndmask_b32_e64 v95, v99, v96, s6
	v_cndmask_b32_e64 v96, v99, v96, s22
	;; [unrolled: 1-line block ×16, first 2 shown]
	v_lshrrev_b32_e32 v109, 16, v105
	v_cndmask_b32_e64 v95, v95, v101, s21
	v_cndmask_b32_e64 v96, v96, v101, s27
	;; [unrolled: 1-line block ×6, first 2 shown]
	v_lshrrev_b32_e32 v80, 16, v102
	v_cndmask_b32_e64 v113, v93, v109, s11
	v_cndmask_b32_e64 v95, v95, v108, s23
	;; [unrolled: 1-line block ×6, first 2 shown]
	v_perm_b32 v93, v91, v78, 0x5040100
	v_cndmask_b32_e64 v74, v74, v102, s17
	v_cndmask_b32_e64 v78, v79, v80, s16
	;; [unrolled: 1-line block ×3, first 2 shown]
	v_lshrrev_b32_e32 v91, 16, v106
	v_cndmask_b32_e64 v95, v95, v102, s25
	v_cndmask_b32_e64 v96, v96, v102, s30
	;; [unrolled: 1-line block ×7, first 2 shown]
	v_cndmask_b32_e32 v80, v96, v80, vcc_lo
	v_cndmask_b32_e32 v96, v98, v91, vcc_lo
	v_cndmask_b32_e64 v99, v99, v91, s28
	v_cndmask_b32_e64 v100, v97, v91, s19
	;; [unrolled: 1-line block ×3, first 2 shown]
	v_perm_b32 v91, v111, v110, 0x5040100
	v_perm_b32 v98, v96, v80, 0x5040100
	;; [unrolled: 1-line block ×5, first 2 shown]
	s_mul_i32 s9, s37, 11
	s_mov_b32 s4, exec_lo
	ds_store_b128 v77, v[91:94]
	ds_store_b128 v77, v[95:98] offset:1024
	v_cmpx_gt_u32_e32 11, v0
	s_cbranch_execz .LBB548_80
; %bb.79:
	s_mul_i32 s5, s9, s34
	s_load_b128 s[16:19], s[0:1], 0x58
	v_add3_u32 v77, s5, s31, v73
	s_delay_alu instid0(VALU_DEP_1) | instskip(NEXT) | instid1(VALU_DEP_1)
	v_mad_u64_u32 v[73:74], null, v77, s36, s[14:15]
	v_ashrrev_i32_e32 v74, 31, v73
	s_delay_alu instid0(VALU_DEP_1) | instskip(SKIP_1) | instid1(VALU_DEP_1)
	v_lshlrev_b64 v[73:74], 2, v[73:74]
	s_waitcnt lgkmcnt(0)
	v_add_co_u32 v77, vcc_lo, s18, v73
	s_delay_alu instid0(VALU_DEP_2)
	v_add_co_ci_u32_e32 v78, vcc_lo, s19, v74, vcc_lo
	v_add_co_u32 v73, vcc_lo, s16, v73
	v_add_co_ci_u32_e32 v74, vcc_lo, s17, v74, vcc_lo
	global_store_b32 v[77:78], v75, off
	global_store_b32 v[73:74], v76, off
.LBB548_80:
	s_or_b32 exec_lo, exec_lo, s4
	s_waitcnt lgkmcnt(0)
	s_waitcnt_vscnt null, 0x0
	s_barrier
	buffer_gl0_inv
	ds_load_b128 v[91:94], v85
	ds_load_b128 v[95:98], v85 offset:16
	ds_load_b128 v[103:106], v85 offset:1040
	ds_load_b128 v[99:102], v85 offset:1024
	v_mov_b32_e32 v73, 0
	ds_load_b128 v[111:114], v85 offset:2064
	ds_load_b128 v[107:110], v85 offset:2048
	;; [unrolled: 1-line block ×6, first 2 shown]
	v_mov_b32_e32 v74, v73
	v_mov_b32_e32 v75, v73
	;; [unrolled: 1-line block ×7, first 2 shown]
	s_waitcnt lgkmcnt(8)
	s_delay_alu instid0(VALU_DEP_1)
	v_wmma_f32_16x16x16_bf16 v[73:80], v[65:72], v[91:98], v[73:80]
	ds_load_b128 v[69:72], v85 offset:5136
	ds_load_b128 v[65:68], v85 offset:5120
	ds_load_b128 v[95:98], v85 offset:6160
	ds_load_b128 v[91:94], v85 offset:6144
	s_waitcnt lgkmcnt(10)
	v_wmma_f32_16x16x16_bf16 v[73:80], v[57:64], v[99:106], v[73:80]
	s_waitcnt lgkmcnt(8)
	s_delay_alu instid0(VALU_DEP_1)
	v_wmma_f32_16x16x16_bf16 v[73:80], v[57:64], v[107:114], v[73:80]
	ds_load_b128 v[61:64], v85 offset:7184
	ds_load_b128 v[57:60], v85 offset:7168
	ds_load_b128 v[103:106], v85 offset:8208
	ds_load_b128 v[99:102], v85 offset:8192
	s_waitcnt lgkmcnt(10)
	v_wmma_f32_16x16x16_bf16 v[73:80], v[49:56], v[115:122], v[73:80]
	s_waitcnt lgkmcnt(8)
	s_delay_alu instid0(VALU_DEP_1)
	v_wmma_f32_16x16x16_bf16 v[73:80], v[49:56], v[123:130], v[73:80]
	ds_load_b128 v[53:56], v85 offset:9232
	ds_load_b128 v[49:52], v85 offset:9216
	s_waitcnt lgkmcnt(8)
	v_wmma_f32_16x16x16_bf16 v[73:80], v[41:48], v[65:72], v[73:80]
	ds_load_b128 v[69:72], v85 offset:10256
	ds_load_b128 v[65:68], v85 offset:10240
	s_waitcnt lgkmcnt(8)
	;; [unrolled: 4-line block ×3, first 2 shown]
	v_wmma_f32_16x16x16_bf16 v[73:80], v[9:16], v[57:64], v[73:80]
	s_waitcnt lgkmcnt(6)
	s_delay_alu instid0(VALU_DEP_1)
	v_wmma_f32_16x16x16_bf16 v[73:80], v[9:16], v[99:106], v[73:80]
	ds_load_b128 v[13:16], v85 offset:12304
	ds_load_b128 v[9:12], v85 offset:12288
	s_waitcnt lgkmcnt(6)
	v_wmma_f32_16x16x16_bf16 v[73:80], v[1:8], v[49:56], v[73:80]
	ds_load_b128 v[53:56], v85 offset:13328
	ds_load_b128 v[49:52], v85 offset:13312
	s_waitcnt lgkmcnt(6)
	;; [unrolled: 4-line block ×4, first 2 shown]
	v_wmma_f32_16x16x16_bf16 v[73:80], v[33:40], v[9:16], v[73:80]
	s_waitcnt lgkmcnt(4)
	s_delay_alu instid0(VALU_DEP_1) | instskip(SKIP_1) | instid1(VALU_DEP_1)
	v_wmma_f32_16x16x16_bf16 v[73:80], v[25:32], v[49:56], v[73:80]
	s_waitcnt lgkmcnt(2)
	v_wmma_f32_16x16x16_bf16 v[73:80], v[25:32], v[1:8], v[73:80]
	s_waitcnt lgkmcnt(0)
	s_delay_alu instid0(VALU_DEP_1) | instskip(NEXT) | instid1(VALU_DEP_1)
	v_wmma_f32_16x16x16_bf16 v[73:80], v[17:24], v[41:48], v[73:80]
	v_and_b32_e32 v1, 0x7f800000, v73
	s_delay_alu instid0(VALU_DEP_1) | instskip(SKIP_1) | instid1(SALU_CYCLE_1)
	v_cmp_ne_u32_e32 vcc_lo, 0x7f800000, v1
                                        ; implicit-def: $vgpr1
	s_and_saveexec_b32 s4, vcc_lo
	s_xor_b32 s4, exec_lo, s4
; %bb.81:
	v_bfe_u32 v1, v73, 16, 1
	s_delay_alu instid0(VALU_DEP_1)
	v_add3_u32 v1, v73, v1, 0x7fff
; %bb.82:
	s_and_not1_saveexec_b32 s4, s4
; %bb.83:
	v_and_b32_e32 v1, 0xffff, v73
	v_or_b32_e32 v2, 0x10000, v73
	s_delay_alu instid0(VALU_DEP_2) | instskip(NEXT) | instid1(VALU_DEP_2)
	v_cmp_eq_u32_e32 vcc_lo, 0, v1
	v_cndmask_b32_e32 v1, v2, v73, vcc_lo
; %bb.84:
	s_or_b32 exec_lo, exec_lo, s4
	v_and_b32_e32 v2, 0x7f800000, v74
	s_delay_alu instid0(VALU_DEP_1) | instskip(SKIP_1) | instid1(SALU_CYCLE_1)
	v_cmp_ne_u32_e32 vcc_lo, 0x7f800000, v2
                                        ; implicit-def: $vgpr2
	s_and_saveexec_b32 s4, vcc_lo
	s_xor_b32 s4, exec_lo, s4
; %bb.85:
	v_bfe_u32 v2, v74, 16, 1
	s_delay_alu instid0(VALU_DEP_1)
	v_add3_u32 v2, v74, v2, 0x7fff
; %bb.86:
	s_and_not1_saveexec_b32 s4, s4
; %bb.87:
	v_and_b32_e32 v2, 0xffff, v74
	v_or_b32_e32 v3, 0x10000, v74
	s_delay_alu instid0(VALU_DEP_2) | instskip(NEXT) | instid1(VALU_DEP_2)
	v_cmp_eq_u32_e32 vcc_lo, 0, v2
	v_cndmask_b32_e32 v2, v3, v74, vcc_lo
; %bb.88:
	s_or_b32 exec_lo, exec_lo, s4
	v_and_b32_e32 v3, 0x7f800000, v75
	s_delay_alu instid0(VALU_DEP_1) | instskip(SKIP_1) | instid1(SALU_CYCLE_1)
	v_cmp_ne_u32_e32 vcc_lo, 0x7f800000, v3
                                        ; implicit-def: $vgpr3
	s_and_saveexec_b32 s4, vcc_lo
	s_xor_b32 s4, exec_lo, s4
; %bb.89:
	v_bfe_u32 v3, v75, 16, 1
	s_delay_alu instid0(VALU_DEP_1)
	v_add3_u32 v3, v75, v3, 0x7fff
; %bb.90:
	s_and_not1_saveexec_b32 s4, s4
; %bb.91:
	v_and_b32_e32 v3, 0xffff, v75
	v_or_b32_e32 v4, 0x10000, v75
	s_delay_alu instid0(VALU_DEP_2) | instskip(NEXT) | instid1(VALU_DEP_2)
	v_cmp_eq_u32_e32 vcc_lo, 0, v3
	v_cndmask_b32_e32 v3, v4, v75, vcc_lo
; %bb.92:
	s_or_b32 exec_lo, exec_lo, s4
	v_and_b32_e32 v4, 0x7f800000, v76
	s_delay_alu instid0(VALU_DEP_1) | instskip(SKIP_1) | instid1(SALU_CYCLE_1)
	v_cmp_ne_u32_e32 vcc_lo, 0x7f800000, v4
                                        ; implicit-def: $vgpr4
	s_and_saveexec_b32 s4, vcc_lo
	s_xor_b32 s4, exec_lo, s4
; %bb.93:
	v_bfe_u32 v4, v76, 16, 1
	s_delay_alu instid0(VALU_DEP_1)
	v_add3_u32 v4, v76, v4, 0x7fff
; %bb.94:
	s_and_not1_saveexec_b32 s4, s4
; %bb.95:
	v_and_b32_e32 v4, 0xffff, v76
	v_or_b32_e32 v5, 0x10000, v76
	s_delay_alu instid0(VALU_DEP_2) | instskip(NEXT) | instid1(VALU_DEP_2)
	v_cmp_eq_u32_e32 vcc_lo, 0, v4
	v_cndmask_b32_e32 v4, v5, v76, vcc_lo
; %bb.96:
	s_or_b32 exec_lo, exec_lo, s4
	v_and_b32_e32 v5, 0x7f800000, v77
	s_delay_alu instid0(VALU_DEP_1) | instskip(SKIP_1) | instid1(SALU_CYCLE_1)
	v_cmp_ne_u32_e32 vcc_lo, 0x7f800000, v5
                                        ; implicit-def: $vgpr5
	s_and_saveexec_b32 s4, vcc_lo
	s_xor_b32 s4, exec_lo, s4
; %bb.97:
	v_bfe_u32 v5, v77, 16, 1
	s_delay_alu instid0(VALU_DEP_1)
	v_add3_u32 v5, v77, v5, 0x7fff
; %bb.98:
	s_and_not1_saveexec_b32 s4, s4
; %bb.99:
	v_and_b32_e32 v5, 0xffff, v77
	v_or_b32_e32 v6, 0x10000, v77
	s_delay_alu instid0(VALU_DEP_2) | instskip(NEXT) | instid1(VALU_DEP_2)
	v_cmp_eq_u32_e32 vcc_lo, 0, v5
	v_cndmask_b32_e32 v5, v6, v77, vcc_lo
; %bb.100:
	s_or_b32 exec_lo, exec_lo, s4
	v_and_b32_e32 v6, 0x7f800000, v78
	s_delay_alu instid0(VALU_DEP_1) | instskip(SKIP_1) | instid1(SALU_CYCLE_1)
	v_cmp_ne_u32_e32 vcc_lo, 0x7f800000, v6
                                        ; implicit-def: $vgpr6
	s_and_saveexec_b32 s4, vcc_lo
	s_xor_b32 s4, exec_lo, s4
; %bb.101:
	v_bfe_u32 v6, v78, 16, 1
	s_delay_alu instid0(VALU_DEP_1)
	v_add3_u32 v6, v78, v6, 0x7fff
; %bb.102:
	s_and_not1_saveexec_b32 s4, s4
; %bb.103:
	v_and_b32_e32 v6, 0xffff, v78
	v_or_b32_e32 v7, 0x10000, v78
	s_delay_alu instid0(VALU_DEP_2) | instskip(NEXT) | instid1(VALU_DEP_2)
	v_cmp_eq_u32_e32 vcc_lo, 0, v6
	v_cndmask_b32_e32 v6, v7, v78, vcc_lo
; %bb.104:
	s_or_b32 exec_lo, exec_lo, s4
	v_and_b32_e32 v7, 0x7f800000, v79
	s_delay_alu instid0(VALU_DEP_1) | instskip(SKIP_1) | instid1(SALU_CYCLE_1)
	v_cmp_ne_u32_e32 vcc_lo, 0x7f800000, v7
                                        ; implicit-def: $vgpr7
	s_and_saveexec_b32 s4, vcc_lo
	s_xor_b32 s4, exec_lo, s4
; %bb.105:
	v_bfe_u32 v7, v79, 16, 1
	s_delay_alu instid0(VALU_DEP_1)
	v_add3_u32 v7, v79, v7, 0x7fff
; %bb.106:
	s_and_not1_saveexec_b32 s4, s4
; %bb.107:
	v_and_b32_e32 v7, 0xffff, v79
	v_or_b32_e32 v8, 0x10000, v79
	s_delay_alu instid0(VALU_DEP_2) | instskip(NEXT) | instid1(VALU_DEP_2)
	v_cmp_eq_u32_e32 vcc_lo, 0, v7
	v_cndmask_b32_e32 v7, v8, v79, vcc_lo
; %bb.108:
	s_or_b32 exec_lo, exec_lo, s4
	v_and_b32_e32 v8, 0x7f800000, v80
	s_delay_alu instid0(VALU_DEP_1) | instskip(SKIP_1) | instid1(SALU_CYCLE_1)
	v_cmp_ne_u32_e32 vcc_lo, 0x7f800000, v8
                                        ; implicit-def: $vgpr8
	s_and_saveexec_b32 s4, vcc_lo
	s_xor_b32 s4, exec_lo, s4
; %bb.109:
	v_bfe_u32 v8, v80, 16, 1
	s_delay_alu instid0(VALU_DEP_1)
	v_add3_u32 v8, v80, v8, 0x7fff
                                        ; implicit-def: $vgpr73_vgpr74_vgpr75_vgpr76_vgpr77_vgpr78_vgpr79_vgpr80
; %bb.110:
	s_and_not1_saveexec_b32 s4, s4
; %bb.111:
	v_and_b32_e32 v8, 0xffff, v80
	v_or_b32_e32 v9, 0x10000, v80
	s_delay_alu instid0(VALU_DEP_2) | instskip(NEXT) | instid1(VALU_DEP_2)
	v_cmp_eq_u32_e32 vcc_lo, 0, v8
	v_cndmask_b32_e32 v8, v9, v80, vcc_lo
; %bb.112:
	s_or_b32 exec_lo, exec_lo, s4
	s_delay_alu instid0(VALU_DEP_1)
	v_perm_b32 v7, v8, v7, 0x7060302
	v_perm_b32 v6, v6, v5, 0x7060302
	;; [unrolled: 1-line block ×4, first 2 shown]
	v_lshl_or_b32 v9, v83, 4, v90
	s_barrier
	buffer_gl0_inv
	v_cmp_eq_u32_e32 vcc_lo, 1, v87
	ds_store_b128 v9, v[4:7]
	s_waitcnt lgkmcnt(0)
	s_barrier
	buffer_gl0_inv
	ds_load_b128 v[1:4], v90
	ds_load_b128 v[5:8], v90 offset:16
	v_cmp_eq_u32_e64 s5, 2, v87
	v_cmp_eq_u32_e64 s4, 1, v88
	;; [unrolled: 1-line block ×5, first 2 shown]
	s_waitcnt lgkmcnt(1)
	v_lshrrev_b32_e32 v10, 16, v1
	s_waitcnt lgkmcnt(0)
	v_lshrrev_b32_e32 v14, 16, v5
	v_lshrrev_b32_e32 v15, 16, v6
	;; [unrolled: 1-line block ×4, first 2 shown]
	v_cndmask_b32_e64 v20, v1, v10, s4
	v_cndmask_b32_e32 v19, v5, v14, vcc_lo
	v_cndmask_b32_e64 v21, v5, v14, s4
	v_lshrrev_b32_e32 v16, 16, v7
	v_cmp_eq_u32_e64 s4, 1, v86
	v_lshrrev_b32_e32 v13, 16, v4
	v_cndmask_b32_e64 v19, v19, v6, s5
	v_lshrrev_b32_e32 v17, 16, v8
	s_delay_alu instid0(VALU_DEP_4) | instskip(SKIP_1) | instid1(VALU_DEP_4)
	v_cndmask_b32_e64 v22, v1, v10, s4
	v_cndmask_b32_e64 v23, v5, v14, s4
	v_cndmask_b32_e64 v19, v19, v15, s6
	v_cndmask_b32_e32 v18, v1, v10, vcc_lo
	v_cmp_eq_u32_e32 vcc_lo, 2, v88
	v_cmp_eq_u32_e64 s4, 2, v89
	v_cndmask_b32_e64 v22, v22, v2, s8
	v_cndmask_b32_e32 v20, v20, v2, vcc_lo
	v_cndmask_b32_e32 v21, v21, v6, vcc_lo
	v_cmp_eq_u32_e32 vcc_lo, 4, v87
	v_cndmask_b32_e32 v19, v19, v7, vcc_lo
	v_cndmask_b32_e64 v18, v18, v2, s5
	v_cmp_eq_u32_e64 s5, 3, v88
	s_delay_alu instid0(VALU_DEP_2) | instskip(NEXT) | instid1(VALU_DEP_2)
	v_cndmask_b32_e64 v18, v18, v11, s6
	v_cndmask_b32_e64 v21, v21, v15, s5
	v_cmp_eq_u32_e64 s6, 5, v87
	s_delay_alu instid0(VALU_DEP_3) | instskip(SKIP_1) | instid1(VALU_DEP_3)
	v_cndmask_b32_e32 v18, v18, v3, vcc_lo
	v_cmp_eq_u32_e32 vcc_lo, 4, v88
	v_cndmask_b32_e64 v19, v19, v16, s6
	s_delay_alu instid0(VALU_DEP_3) | instskip(SKIP_4) | instid1(VALU_DEP_3)
	v_cndmask_b32_e64 v18, v18, v12, s6
	v_cndmask_b32_e32 v21, v21, v7, vcc_lo
	v_cndmask_b32_e64 v20, v20, v11, s5
	v_cmp_eq_u32_e64 s5, 5, v88
	v_cmp_eq_u32_e64 s6, 6, v87
	v_cndmask_b32_e32 v20, v20, v3, vcc_lo
	s_delay_alu instid0(VALU_DEP_3) | instskip(SKIP_1) | instid1(VALU_DEP_4)
	v_cndmask_b32_e64 v21, v21, v16, s5
	v_cmp_eq_u32_e32 vcc_lo, 6, v88
	v_cndmask_b32_e64 v18, v18, v4, s6
	v_cndmask_b32_e64 v19, v19, v8, s6
	;; [unrolled: 1-line block ×3, first 2 shown]
	v_cmp_eq_u32_e64 s5, 1, v89
	v_cmp_eq_u32_e64 s6, 7, v87
	s_delay_alu instid0(VALU_DEP_3) | instskip(NEXT) | instid1(VALU_DEP_3)
	v_cndmask_b32_e32 v20, v20, v4, vcc_lo
	v_cndmask_b32_e64 v1, v1, v10, s5
	v_cndmask_b32_e64 v5, v5, v14, s5
	v_cmp_eq_u32_e64 s5, 3, v86
	v_cndmask_b32_e64 v14, v23, v6, s8
	v_cmp_eq_u32_e64 s8, 3, v89
	v_cndmask_b32_e64 v1, v1, v2, s4
	v_cndmask_b32_e64 v2, v5, v6, s4
	;; [unrolled: 1-line block ×3, first 2 shown]
	v_cmp_eq_u32_e64 s4, 4, v86
	v_cndmask_b32_e64 v6, v14, v15, s5
	v_cndmask_b32_e64 v1, v1, v11, s8
	v_cmp_eq_u32_e64 s5, 4, v89
	v_cndmask_b32_e64 v2, v2, v15, s8
	v_cndmask_b32_e64 v5, v10, v3, s4
	;; [unrolled: 3-line block ×3, first 2 shown]
	v_cndmask_b32_e64 v2, v2, v7, s5
	v_cmp_eq_u32_e64 s4, 5, v89
	v_cndmask_b32_e64 v5, v5, v12, s8
	v_cmp_eq_u32_e64 s5, 6, v86
	;; [unrolled: 2-line block ×3, first 2 shown]
	v_cndmask_b32_e64 v1, v1, v12, s4
	v_cndmask_b32_e64 v2, v2, v16, s4
	;; [unrolled: 1-line block ×4, first 2 shown]
	v_cmp_eq_u32_e64 s4, 7, v89
	v_cndmask_b32_e64 v1, v1, v4, s8
	v_cndmask_b32_e64 v2, v2, v8, s8
	v_cmp_eq_u32_e64 s5, 7, v86
	v_cndmask_b32_e32 v4, v21, v8, vcc_lo
	v_cndmask_b32_e64 v18, v18, v13, s6
	v_cndmask_b32_e64 v20, v20, v13, s7
	;; [unrolled: 1-line block ×8, first 2 shown]
	v_cmp_gt_u32_e32 vcc_lo, 32, v0
	v_perm_b32 v4, v2, v1, 0x5040100
	v_perm_b32 v3, v3, v5, 0x5040100
	;; [unrolled: 1-line block ×4, first 2 shown]
	s_and_b32 s2, vcc_lo, s2
	ds_store_b128 v9, v[1:4]
	s_waitcnt lgkmcnt(0)
	s_barrier
	buffer_gl0_inv
	s_and_saveexec_b32 s4, s2
	s_cbranch_execz .LBB548_2
; %bb.113:
	s_load_b64 s[4:5], s[0:1], 0x68
	v_lshlrev_b32_e32 v0, 10, v0
	v_lshlrev_b32_e32 v1, 4, v84
	s_lshl_b32 s0, s36, 6
	v_add_nc_u32_e32 v7, s31, v83
	s_mul_i32 s1, s0, s34
	s_delay_alu instid0(SALU_CYCLE_1) | instskip(SKIP_1) | instid1(VALU_DEP_2)
	s_mul_i32 s6, s1, s9
	v_and_or_b32 v0, 0x3800, v0, v1
	v_mul_lo_u32 v1, v7, s0
	v_add_nc_u32_e32 v2, 2, v7
	s_ashr_i32 s7, s6, 31
	v_add_nc_u32_e32 v4, 4, v7
	s_lshl_b64 s[6:7], s[6:7], 1
	v_add_nc_u32_e32 v8, 6, v7
	v_mul_lo_u32 v3, v2, s0
	v_lshl_or_b32 v19, v83, 6, v0
	v_ashrrev_i32_e32 v2, 31, v1
	v_mul_lo_u32 v11, v4, s0
	v_mul_lo_u32 v25, v8, s0
	s_waitcnt lgkmcnt(0)
	s_add_u32 s1, s4, s6
	s_addc_u32 s2, s5, s7
	s_lshl_b32 s4, s14, 6
	v_lshlrev_b64 v[5:6], 1, v[1:2]
	s_ashr_i32 s5, s4, 31
	v_ashrrev_i32_e32 v4, 31, v3
	s_lshl_b64 s[4:5], s[4:5], 1
	v_ashrrev_i32_e32 v12, 31, v11
	s_add_u32 s1, s1, s4
	s_addc_u32 s2, s2, s5
	v_add_co_u32 v1, vcc_lo, s1, v81
	v_add_co_ci_u32_e32 v2, vcc_lo, s2, v82, vcc_lo
	v_lshlrev_b64 v[3:4], 1, v[3:4]
	s_delay_alu instid0(VALU_DEP_3) | instskip(SKIP_1) | instid1(VALU_DEP_4)
	v_add_co_u32 v23, vcc_lo, v1, v5
	v_add_nc_u32_e32 v5, 8, v7
	v_add_co_ci_u32_e32 v24, vcc_lo, v2, v6, vcc_lo
	s_delay_alu instid0(VALU_DEP_4) | instskip(NEXT) | instid1(VALU_DEP_3)
	v_add_co_u32 v27, vcc_lo, v1, v3
	v_mul_lo_u32 v29, v5, s0
	v_add_co_ci_u32_e32 v28, vcc_lo, v2, v4, vcc_lo
	ds_load_b128 v[3:6], v19
	ds_load_b128 v[7:10], v19 offset:128
	v_lshlrev_b64 v[31:32], 1, v[11:12]
	ds_load_b128 v[11:14], v19 offset:256
	ds_load_b128 v[15:18], v19 offset:384
	;; [unrolled: 1-line block ×3, first 2 shown]
	v_ashrrev_i32_e32 v26, 31, v25
	v_ashrrev_i32_e32 v30, 31, v29
	v_add_co_u32 v31, vcc_lo, v1, v31
	s_delay_alu instid0(VALU_DEP_3) | instskip(NEXT) | instid1(VALU_DEP_3)
	v_lshlrev_b64 v[25:26], 1, v[25:26]
	v_lshlrev_b64 v[29:30], 1, v[29:30]
	v_add_co_ci_u32_e32 v32, vcc_lo, v2, v32, vcc_lo
	s_delay_alu instid0(VALU_DEP_3) | instskip(NEXT) | instid1(VALU_DEP_4)
	v_add_co_u32 v25, vcc_lo, v1, v25
	v_add_co_ci_u32_e32 v26, vcc_lo, v2, v26, vcc_lo
	s_delay_alu instid0(VALU_DEP_4)
	v_add_co_u32 v29, vcc_lo, v1, v29
	v_add_co_ci_u32_e32 v30, vcc_lo, v2, v30, vcc_lo
	s_waitcnt lgkmcnt(4)
	global_store_b128 v[23:24], v[3:6], off
	s_waitcnt lgkmcnt(3)
	global_store_b128 v[27:28], v[7:10], off
	;; [unrolled: 2-line block ×5, first 2 shown]
	s_and_b32 exec_lo, exec_lo, s3
	s_cbranch_execz .LBB548_2
; %bb.114:
	ds_load_b128 v[3:6], v0 offset:640
	s_add_i32 s1, s31, 10
	s_delay_alu instid0(SALU_CYCLE_1) | instskip(NEXT) | instid1(SALU_CYCLE_1)
	s_mul_i32 s0, s1, s0
	s_ashr_i32 s1, s0, 31
	s_delay_alu instid0(SALU_CYCLE_1) | instskip(NEXT) | instid1(SALU_CYCLE_1)
	s_lshl_b64 s[0:1], s[0:1], 1
	v_add_co_u32 v0, vcc_lo, v1, s0
	v_add_co_ci_u32_e32 v1, vcc_lo, s1, v2, vcc_lo
	s_waitcnt lgkmcnt(0)
	global_store_b128 v[0:1], v[3:6], off
	s_nop 0
	s_sendmsg sendmsg(MSG_DEALLOC_VGPRS)
	s_endpgm
	.section	.rodata,"a",@progbits
	.p2align	6, 0x0
	.amdhsa_kernel _Z39paged_attention_ll4mi_QKV_mfma16_kernelI14__hip_bfloat16S0_LN4vllm18Fp8KVCacheDataTypeE0ES0_Li32ELi64ELi256ELb1ELi11EL8MFMAType0EEvPKT_PKT0_S9_ifPKiSB_SB_iPKfiiiPfSE_PS4_PT2_iSD_SD_
		.amdhsa_group_segment_fixed_size 17472
		.amdhsa_private_segment_fixed_size 0
		.amdhsa_kernarg_size 400
		.amdhsa_user_sgpr_count 13
		.amdhsa_user_sgpr_dispatch_ptr 0
		.amdhsa_user_sgpr_queue_ptr 0
		.amdhsa_user_sgpr_kernarg_segment_ptr 1
		.amdhsa_user_sgpr_dispatch_id 0
		.amdhsa_user_sgpr_private_segment_size 0
		.amdhsa_wavefront_size32 1
		.amdhsa_uses_dynamic_stack 0
		.amdhsa_enable_private_segment 0
		.amdhsa_system_sgpr_workgroup_id_x 1
		.amdhsa_system_sgpr_workgroup_id_y 1
		.amdhsa_system_sgpr_workgroup_id_z 1
		.amdhsa_system_sgpr_workgroup_info 0
		.amdhsa_system_vgpr_workitem_id 0
		.amdhsa_next_free_vgpr 142
		.amdhsa_next_free_sgpr 39
		.amdhsa_reserve_vcc 1
		.amdhsa_float_round_mode_32 0
		.amdhsa_float_round_mode_16_64 0
		.amdhsa_float_denorm_mode_32 3
		.amdhsa_float_denorm_mode_16_64 3
		.amdhsa_dx10_clamp 1
		.amdhsa_ieee_mode 1
		.amdhsa_fp16_overflow 0
		.amdhsa_workgroup_processor_mode 1
		.amdhsa_memory_ordered 1
		.amdhsa_forward_progress 0
		.amdhsa_shared_vgpr_count 0
		.amdhsa_exception_fp_ieee_invalid_op 0
		.amdhsa_exception_fp_denorm_src 0
		.amdhsa_exception_fp_ieee_div_zero 0
		.amdhsa_exception_fp_ieee_overflow 0
		.amdhsa_exception_fp_ieee_underflow 0
		.amdhsa_exception_fp_ieee_inexact 0
		.amdhsa_exception_int_div_zero 0
	.end_amdhsa_kernel
	.section	.text._Z39paged_attention_ll4mi_QKV_mfma16_kernelI14__hip_bfloat16S0_LN4vllm18Fp8KVCacheDataTypeE0ES0_Li32ELi64ELi256ELb1ELi11EL8MFMAType0EEvPKT_PKT0_S9_ifPKiSB_SB_iPKfiiiPfSE_PS4_PT2_iSD_SD_,"axG",@progbits,_Z39paged_attention_ll4mi_QKV_mfma16_kernelI14__hip_bfloat16S0_LN4vllm18Fp8KVCacheDataTypeE0ES0_Li32ELi64ELi256ELb1ELi11EL8MFMAType0EEvPKT_PKT0_S9_ifPKiSB_SB_iPKfiiiPfSE_PS4_PT2_iSD_SD_,comdat
.Lfunc_end548:
	.size	_Z39paged_attention_ll4mi_QKV_mfma16_kernelI14__hip_bfloat16S0_LN4vllm18Fp8KVCacheDataTypeE0ES0_Li32ELi64ELi256ELb1ELi11EL8MFMAType0EEvPKT_PKT0_S9_ifPKiSB_SB_iPKfiiiPfSE_PS4_PT2_iSD_SD_, .Lfunc_end548-_Z39paged_attention_ll4mi_QKV_mfma16_kernelI14__hip_bfloat16S0_LN4vllm18Fp8KVCacheDataTypeE0ES0_Li32ELi64ELi256ELb1ELi11EL8MFMAType0EEvPKT_PKT0_S9_ifPKiSB_SB_iPKfiiiPfSE_PS4_PT2_iSD_SD_
                                        ; -- End function
	.section	.AMDGPU.csdata,"",@progbits
; Kernel info:
; codeLenInByte = 9536
; NumSgprs: 41
; NumVgprs: 142
; ScratchSize: 0
; MemoryBound: 0
; FloatMode: 240
; IeeeMode: 1
; LDSByteSize: 17472 bytes/workgroup (compile time only)
; SGPRBlocks: 5
; VGPRBlocks: 17
; NumSGPRsForWavesPerEU: 41
; NumVGPRsForWavesPerEU: 142
; Occupancy: 10
; WaveLimiterHint : 1
; COMPUTE_PGM_RSRC2:SCRATCH_EN: 0
; COMPUTE_PGM_RSRC2:USER_SGPR: 13
; COMPUTE_PGM_RSRC2:TRAP_HANDLER: 0
; COMPUTE_PGM_RSRC2:TGID_X_EN: 1
; COMPUTE_PGM_RSRC2:TGID_Y_EN: 1
; COMPUTE_PGM_RSRC2:TGID_Z_EN: 1
; COMPUTE_PGM_RSRC2:TIDIG_COMP_CNT: 0
	.section	.text._Z39paged_attention_ll4mi_QKV_mfma16_kernelI14__hip_bfloat16S0_LN4vllm18Fp8KVCacheDataTypeE0ES0_Li32ELi64ELi256ELb1ELi12EL8MFMAType0EEvPKT_PKT0_S9_ifPKiSB_SB_iPKfiiiPfSE_PS4_PT2_iSD_SD_,"axG",@progbits,_Z39paged_attention_ll4mi_QKV_mfma16_kernelI14__hip_bfloat16S0_LN4vllm18Fp8KVCacheDataTypeE0ES0_Li32ELi64ELi256ELb1ELi12EL8MFMAType0EEvPKT_PKT0_S9_ifPKiSB_SB_iPKfiiiPfSE_PS4_PT2_iSD_SD_,comdat
	.protected	_Z39paged_attention_ll4mi_QKV_mfma16_kernelI14__hip_bfloat16S0_LN4vllm18Fp8KVCacheDataTypeE0ES0_Li32ELi64ELi256ELb1ELi12EL8MFMAType0EEvPKT_PKT0_S9_ifPKiSB_SB_iPKfiiiPfSE_PS4_PT2_iSD_SD_ ; -- Begin function _Z39paged_attention_ll4mi_QKV_mfma16_kernelI14__hip_bfloat16S0_LN4vllm18Fp8KVCacheDataTypeE0ES0_Li32ELi64ELi256ELb1ELi12EL8MFMAType0EEvPKT_PKT0_S9_ifPKiSB_SB_iPKfiiiPfSE_PS4_PT2_iSD_SD_
	.globl	_Z39paged_attention_ll4mi_QKV_mfma16_kernelI14__hip_bfloat16S0_LN4vllm18Fp8KVCacheDataTypeE0ES0_Li32ELi64ELi256ELb1ELi12EL8MFMAType0EEvPKT_PKT0_S9_ifPKiSB_SB_iPKfiiiPfSE_PS4_PT2_iSD_SD_
	.p2align	8
	.type	_Z39paged_attention_ll4mi_QKV_mfma16_kernelI14__hip_bfloat16S0_LN4vllm18Fp8KVCacheDataTypeE0ES0_Li32ELi64ELi256ELb1ELi12EL8MFMAType0EEvPKT_PKT0_S9_ifPKiSB_SB_iPKfiiiPfSE_PS4_PT2_iSD_SD_,@function
_Z39paged_attention_ll4mi_QKV_mfma16_kernelI14__hip_bfloat16S0_LN4vllm18Fp8KVCacheDataTypeE0ES0_Li32ELi64ELi256ELb1ELi12EL8MFMAType0EEvPKT_PKT0_S9_ifPKiSB_SB_iPKfiiiPfSE_PS4_PT2_iSD_SD_: ; @_Z39paged_attention_ll4mi_QKV_mfma16_kernelI14__hip_bfloat16S0_LN4vllm18Fp8KVCacheDataTypeE0ES0_Li32ELi64ELi256ELb1ELi12EL8MFMAType0EEvPKT_PKT0_S9_ifPKiSB_SB_iPKfiiiPfSE_PS4_PT2_iSD_SD_
; %bb.0:
	s_load_b64 s[2:3], s[0:1], 0x30
	s_mov_b32 s30, s13
	s_waitcnt lgkmcnt(0)
	s_cmp_lg_u64 s[2:3], 0
	s_cselect_b32 s6, -1, 0
	s_ashr_i32 s31, s13, 31
	s_cmp_eq_u64 s[2:3], 0
	s_cbranch_scc1 .LBB549_3
; %bb.1:
	s_lshl_b64 s[4:5], s[30:31], 2
	s_delay_alu instid0(SALU_CYCLE_1) | instskip(SKIP_4) | instid1(SALU_CYCLE_1)
	s_add_u32 s4, s2, s4
	s_addc_u32 s5, s3, s5
	s_load_b64 s[4:5], s[4:5], 0x0
	s_waitcnt lgkmcnt(0)
	s_sub_i32 s4, s5, s4
	s_cmp_eq_u32 s4, 1
	s_cselect_b32 s4, -1, 0
	s_delay_alu instid0(SALU_CYCLE_1)
	s_and_not1_b32 vcc_lo, exec_lo, s4
	s_cbranch_vccz .LBB549_4
.LBB549_2:
	s_endpgm
.LBB549_3:
.LBB549_4:
	s_load_b64 s[8:9], s[0:1], 0x28
	s_lshl_b64 s[4:5], s[30:31], 2
	s_waitcnt lgkmcnt(0)
	s_add_u32 s8, s8, s4
	s_addc_u32 s9, s9, s5
	s_lshl_b32 s16, s14, 8
	s_load_b32 s18, s[8:9], 0x0
	s_waitcnt lgkmcnt(0)
	s_cmp_ge_i32 s16, s18
	s_cbranch_scc1 .LBB549_2
; %bb.5:
	s_and_not1_b32 vcc_lo, exec_lo, s6
	s_cbranch_vccnz .LBB549_7
; %bb.6:
	s_add_u32 s2, s2, s4
	s_addc_u32 s3, s3, s5
	s_load_b32 s17, s[2:3], 0x0
	s_branch .LBB549_8
.LBB549_7:
	s_mov_b32 s17, s30
.LBB549_8:
	s_clause 0x2
	s_load_b128 s[8:11], s[0:1], 0x8
	s_load_b64 s[12:13], s[0:1], 0x20
	s_load_b128 s[4:7], s[0:1], 0x48
	v_and_b32_e32 v73, 15, v0
	v_cmp_lt_u32_e32 vcc_lo, 0xbf, v0
	s_delay_alu instid0(VALU_DEP_2) | instskip(SKIP_2) | instid1(VALU_DEP_3)
	v_cmp_lt_u32_e64 s3, 7, v73
	v_lshlrev_b32_e32 v1, 3, v73
	v_cmp_gt_u32_e64 s2, 8, v73
	s_or_b32 s3, vcc_lo, s3
	s_waitcnt lgkmcnt(0)
	s_and_saveexec_b32 s7, s3
	s_delay_alu instid0(SALU_CYCLE_1)
	s_xor_b32 s3, exec_lo, s7
; %bb.9:
	v_mov_b32_e32 v2, 0
; %bb.10:
	s_or_saveexec_b32 s3, s3
	v_lshrrev_b32_e32 v74, 5, v0
	v_and_b32_e32 v75, 31, v0
	v_and_b32_e32 v84, 1, v0
	v_bfe_u32 v83, v0, 4, 1
	s_mul_i32 s31, s15, 12
	s_xor_b32 exec_lo, exec_lo, s3
	s_cbranch_execz .LBB549_12
; %bb.11:
	s_load_b64 s[20:21], s[0:1], 0x0
	v_lshl_or_b32 v7, v74, 1, v83
	s_mul_hi_i32 s23, s17, s4
	s_mul_i32 s22, s17, s4
	v_lshlrev_b32_e32 v4, 1, v1
	s_lshl_b64 s[22:23], s[22:23], 1
	v_add_lshl_u32 v2, v7, s31, 6
	v_lshlrev_b32_e32 v7, 6, v7
	v_lshlrev_b32_e32 v8, 10, v84
	s_delay_alu instid0(VALU_DEP_3) | instskip(NEXT) | instid1(VALU_DEP_1)
	v_ashrrev_i32_e32 v3, 31, v2
	v_lshlrev_b64 v[2:3], 1, v[2:3]
	s_waitcnt lgkmcnt(0)
	s_add_u32 s4, s20, s22
	s_addc_u32 s7, s21, s23
	s_delay_alu instid0(VALU_DEP_1) | instskip(NEXT) | instid1(VALU_DEP_2)
	v_add_co_u32 v2, vcc_lo, s4, v2
	v_add_co_ci_u32_e32 v3, vcc_lo, s7, v3, vcc_lo
	s_delay_alu instid0(VALU_DEP_2) | instskip(NEXT) | instid1(VALU_DEP_2)
	v_add_co_u32 v2, vcc_lo, v2, v4
	v_add_co_ci_u32_e32 v3, vcc_lo, 0, v3, vcc_lo
	global_load_b128 v[3:6], v[2:3], off
	v_lshlrev_b32_e32 v2, 10, v73
	s_delay_alu instid0(VALU_DEP_1) | instskip(NEXT) | instid1(VALU_DEP_1)
	v_and_b32_e32 v2, 0x3800, v2
	v_or3_b32 v7, v2, v8, v7
	v_mov_b32_e32 v2, 0
	s_waitcnt vmcnt(0)
	ds_store_b128 v7, v[3:6]
.LBB549_12:
	s_or_b32 exec_lo, exec_lo, s3
	v_and_b32_e32 v3, 0xef, v0
	s_add_i32 s3, s18, 31
	s_clause 0x1
	s_load_b32 s4, s[0:1], 0x38
	s_load_b32 s19, s[0:1], 0x1c
	s_ashr_i32 s7, s3, 31
	v_add_nc_u32_e32 v3, s16, v3
	s_lshr_b32 s7, s7, 27
	s_waitcnt lgkmcnt(0)
	s_add_i32 s3, s3, s7
	s_barrier
	v_ashrrev_i32_e32 v4, 31, v3
	v_cmp_gt_i32_e32 vcc_lo, s18, v3
	s_ashr_i32 s3, s3, 5
	buffer_gl0_inv
	s_add_i32 s3, s3, -1
	v_lshrrev_b32_e32 v5, 27, v4
	v_or_b32_e32 v4, 16, v3
	s_mul_i32 s6, s15, s6
	v_lshlrev_b64 v[81:82], 1, v[1:2]
	s_delay_alu instid0(VALU_DEP_3) | instskip(NEXT) | instid1(VALU_DEP_3)
	v_add_nc_u32_e32 v6, v3, v5
	v_add_nc_u32_e32 v5, v4, v5
	s_mul_i32 s20, s30, s4
	s_delay_alu instid0(SALU_CYCLE_1) | instskip(NEXT) | instid1(VALU_DEP_2)
	s_ashr_i32 s21, s20, 31
	v_ashrrev_i32_e32 v6, 5, v6
	s_delay_alu instid0(VALU_DEP_2) | instskip(SKIP_1) | instid1(SALU_CYCLE_1)
	v_ashrrev_i32_e32 v5, 5, v5
	s_lshl_b64 s[20:21], s[20:21], 2
	s_add_u32 s4, s12, s20
	s_delay_alu instid0(VALU_DEP_2) | instskip(SKIP_3) | instid1(SALU_CYCLE_1)
	v_cndmask_b32_e32 v3, s3, v6, vcc_lo
	v_cmp_gt_i32_e32 vcc_lo, s18, v4
	s_addc_u32 s17, s13, s21
	s_ashr_i32 s7, s6, 31
	s_lshl_b64 s[6:7], s[6:7], 1
	v_cndmask_b32_e32 v5, s3, v5, vcc_lo
	v_ashrrev_i32_e32 v4, 31, v3
	s_add_u32 s15, s8, s6
	s_addc_u32 s28, s9, s7
	s_lshl_b32 s8, s14, 3
	v_ashrrev_i32_e32 v6, 31, v5
	v_lshlrev_b64 v[3:4], 2, v[3:4]
	s_ashr_i32 s9, s8, 31
	s_delay_alu instid0(SALU_CYCLE_1) | instskip(NEXT) | instid1(VALU_DEP_2)
	s_lshl_b64 s[8:9], s[8:9], 2
	v_lshlrev_b64 v[5:6], 2, v[5:6]
	s_add_u32 s8, s4, s8
	s_delay_alu instid0(VALU_DEP_2) | instskip(SKIP_1) | instid1(VALU_DEP_3)
	v_add_co_u32 v3, vcc_lo, s4, v3
	v_add_co_ci_u32_e32 v4, vcc_lo, s17, v4, vcc_lo
	v_add_co_u32 v5, vcc_lo, s4, v5
	s_delay_alu instid0(VALU_DEP_4)
	v_add_co_ci_u32_e32 v6, vcc_lo, s17, v6, vcc_lo
	s_addc_u32 s9, s17, s9
	s_clause 0x1
	global_load_b32 v7, v[3:4], off
	global_load_b32 v8, v[5:6], off
	s_or_b32 s12, s16, 32
	s_delay_alu instid0(SALU_CYCLE_1) | instskip(SKIP_2) | instid1(SALU_CYCLE_1)
	s_ashr_i32 s13, s12, 5
	s_cmp_lt_i32 s12, s18
	s_cselect_b32 s12, s13, s3
	s_ashr_i32 s13, s12, 31
	s_delay_alu instid0(SALU_CYCLE_1) | instskip(NEXT) | instid1(SALU_CYCLE_1)
	s_lshl_b64 s[12:13], s[12:13], 2
	s_add_u32 s12, s4, s12
	s_addc_u32 s13, s17, s13
	s_or_b32 s20, s16, 64
	s_delay_alu instid0(SALU_CYCLE_1) | instskip(SKIP_2) | instid1(SALU_CYCLE_1)
	s_ashr_i32 s21, s20, 5
	s_cmp_lt_i32 s20, s18
	s_cselect_b32 s20, s21, s3
	s_ashr_i32 s21, s20, 31
	s_delay_alu instid0(SALU_CYCLE_1) | instskip(NEXT) | instid1(SALU_CYCLE_1)
	s_lshl_b64 s[20:21], s[20:21], 2
	s_add_u32 s20, s4, s20
	s_addc_u32 s21, s17, s21
	;; [unrolled: 10-line block ×5, first 2 shown]
	s_clause 0x5
	s_load_b32 s29, s[8:9], 0x0
	s_load_b32 s33, s[12:13], 0x0
	;; [unrolled: 1-line block ×6, first 2 shown]
	s_mov_b32 s20, 0
	s_or_b32 s8, s16, 0xc0
	s_mov_b32 s21, s20
	s_mov_b32 s22, s20
	;; [unrolled: 1-line block ×7, first 2 shown]
	s_ashr_i32 s9, s8, 5
	v_mov_b32_e32 v117, s27
	s_cmp_lt_i32 s8, s18
	v_mov_b32_e32 v116, s26
	s_cselect_b32 s8, s9, s3
	v_mov_b32_e32 v115, s25
	s_ashr_i32 s9, s8, 31
	v_dual_mov_b32 v114, s24 :: v_dual_mov_b32 v113, s23
	v_dual_mov_b32 v112, s22 :: v_dual_mov_b32 v111, s21
	s_lshl_b64 s[8:9], s[8:9], 2
	s_waitcnt lgkmcnt(0)
	s_mul_hi_i32 s13, s29, s5
	s_add_u32 s8, s4, s8
	s_addc_u32 s9, s17, s9
	s_mul_i32 s12, s29, s5
	v_mov_b32_e32 v110, s20
	s_mul_hi_i32 s21, s33, s5
	s_mul_i32 s20, s33, s5
	s_mul_hi_i32 s25, s34, s5
	s_mul_i32 s24, s34, s5
	;; [unrolled: 2-line block ×4, first 2 shown]
	s_waitcnt vmcnt(1)
	v_mad_i64_i32 v[3:4], null, v7, s5, 0
	s_waitcnt vmcnt(0)
	v_mad_i64_i32 v[5:6], null, v8, s5, 0
	s_delay_alu instid0(VALU_DEP_2) | instskip(NEXT) | instid1(VALU_DEP_2)
	v_lshlrev_b64 v[3:4], 1, v[3:4]
	v_lshlrev_b64 v[1:2], 1, v[5:6]
	s_delay_alu instid0(VALU_DEP_2) | instskip(NEXT) | instid1(VALU_DEP_3)
	v_add_co_u32 v3, vcc_lo, s15, v3
	v_add_co_ci_u32_e32 v4, vcc_lo, s28, v4, vcc_lo
	s_delay_alu instid0(VALU_DEP_3) | instskip(NEXT) | instid1(VALU_DEP_4)
	v_add_co_u32 v1, vcc_lo, s15, v1
	v_add_co_ci_u32_e32 v2, vcc_lo, s28, v2, vcc_lo
	s_delay_alu instid0(VALU_DEP_4) | instskip(NEXT) | instid1(VALU_DEP_4)
	v_add_co_u32 v41, vcc_lo, v3, v81
	v_add_co_ci_u32_e32 v42, vcc_lo, v4, v82, vcc_lo
	s_delay_alu instid0(VALU_DEP_4) | instskip(NEXT) | instid1(VALU_DEP_4)
	v_add_co_u32 v43, vcc_lo, v1, v81
	v_add_co_ci_u32_e32 v44, vcc_lo, v2, v82, vcc_lo
	s_clause 0xf
	global_load_b128 v[1:4], v[41:42], off
	global_load_b128 v[5:8], v[41:42], off offset:512
	global_load_b128 v[9:12], v[43:44], off offset:256
	;; [unrolled: 1-line block ×15, first 2 shown]
	v_add_nc_u32_e32 v41, -12, v73
	v_cmp_gt_u32_e32 vcc_lo, 12, v73
	s_or_b32 s15, s16, 0xe0
	s_delay_alu instid0(SALU_CYCLE_1) | instskip(SKIP_3) | instid1(SALU_CYCLE_1)
	s_ashr_i32 s22, s15, 5
	s_cmp_lt_i32 s15, s18
	v_cndmask_b32_e32 v41, v41, v73, vcc_lo
	s_cselect_b32 s22, s22, s3
	s_ashr_i32 s23, s22, 31
	s_delay_alu instid0(VALU_DEP_1)
	v_lshlrev_b32_e32 v57, 6, v41
	ds_load_b128 v[41:44], v57
	ds_load_b128 v[45:48], v57 offset:1024
	ds_load_b128 v[49:52], v57 offset:2048
	;; [unrolled: 1-line block ×7, first 2 shown]
	s_lshl_b64 s[22:23], s[22:23], 2
	s_delay_alu instid0(SALU_CYCLE_1) | instskip(SKIP_2) | instid1(SALU_CYCLE_1)
	s_add_u32 s22, s4, s22
	s_addc_u32 s23, s17, s23
	s_add_i32 s15, s16, 0x100
	s_ashr_i32 s28, s15, 5
	s_cmp_lt_i32 s15, s18
	s_load_b32 s15, s[8:9], 0x0
	s_cselect_b32 s28, s28, s3
	s_mul_hi_i32 s9, s36, s5
	s_ashr_i32 s29, s28, 31
	s_mul_i32 s8, s36, s5
	s_lshl_b64 s[28:29], s[28:29], 2
	s_delay_alu instid0(SALU_CYCLE_1)
	s_add_u32 s28, s4, s28
	s_addc_u32 s29, s17, s29
	s_add_u32 s3, s10, s6
	s_clause 0x1
	s_load_b32 s4, s[22:23], 0x0
	s_load_b32 s17, s[28:29], 0x0
	s_addc_u32 s28, s11, s7
	s_lshl_b64 s[6:7], s[12:13], 1
	s_lshl_b64 s[10:11], s[20:21], 1
	;; [unrolled: 1-line block ×6, first 2 shown]
	s_waitcnt lgkmcnt(0)
	s_mul_hi_i32 s25, s15, s5
	s_mul_i32 s24, s15, s5
	s_waitcnt vmcnt(14)
	v_wmma_f32_16x16x16_bf16 v[134:141], v[1:8], v[41:48], v[110:117]
	s_waitcnt vmcnt(10)
	s_delay_alu instid0(VALU_DEP_1) | instskip(SKIP_1) | instid1(VALU_DEP_1)
	v_wmma_f32_16x16x16_bf16 v[134:141], v[17:24], v[49:56], v[134:141]
	s_waitcnt vmcnt(6)
	v_wmma_f32_16x16x16_bf16 v[134:141], v[33:40], v[118:125], v[134:141]
	s_waitcnt vmcnt(2)
	s_delay_alu instid0(VALU_DEP_1) | instskip(SKIP_1) | instid1(VALU_DEP_2)
	v_wmma_f32_16x16x16_bf16 v[134:141], v[94:101], v[126:133], v[134:141]
	v_lshlrev_b32_e32 v85, 6, v73
	v_mul_f32_e32 v100, s19, v141
	s_delay_alu instid0(VALU_DEP_2) | instskip(SKIP_2) | instid1(VALU_DEP_3)
	v_lshl_or_b32 v58, v74, 10, v85
	v_wmma_f32_16x16x16_bf16 v[110:117], v[9:16], v[41:48], v[110:117]
	v_mul_f32_e32 v99, s19, v135
	v_add_co_u32 v76, s3, s3, v58
	s_delay_alu instid0(VALU_DEP_1) | instskip(NEXT) | instid1(VALU_DEP_4)
	v_add_co_ci_u32_e64 v77, null, s28, 0, s3
	v_wmma_f32_16x16x16_bf16 v[110:117], v[25:32], v[49:56], v[110:117]
	s_delay_alu instid0(VALU_DEP_3) | instskip(NEXT) | instid1(VALU_DEP_3)
	v_add_co_u32 v57, vcc_lo, v76, s6
	v_add_co_ci_u32_e32 v58, vcc_lo, s7, v77, vcc_lo
	v_add_co_u32 v1, vcc_lo, v76, s10
	v_add_co_ci_u32_e32 v2, vcc_lo, s11, v77, vcc_lo
	;; [unrolled: 2-line block ×5, first 2 shown]
	s_clause 0x9
	global_load_b128 v[65:68], v[57:58], off
	global_load_b128 v[69:72], v[57:58], off offset:16
	global_load_b128 v[57:60], v[1:2], off
	global_load_b128 v[61:64], v[1:2], off offset:16
	;; [unrolled: 2-line block ×5, first 2 shown]
	v_add_co_u32 v5, vcc_lo, v76, s22
	s_lshl_b64 s[6:7], s[24:25], 1
	v_add_co_ci_u32_e32 v6, vcc_lo, s23, v77, vcc_lo
	s_mul_hi_i32 s9, s4, s5
	s_mul_i32 s8, s4, s5
	v_add_co_u32 v17, vcc_lo, v76, s6
	v_add_co_ci_u32_e32 v18, vcc_lo, s7, v77, vcc_lo
	s_lshl_b64 s[6:7], s[8:9], 1
	s_mul_hi_i32 s9, s17, s5
	s_mul_i32 s8, s17, s5
	v_add_co_u32 v19, vcc_lo, v76, s6
	s_lshl_b64 s[4:5], s[8:9], 1
	v_add_co_ci_u32_e32 v20, vcc_lo, s7, v77, vcc_lo
	v_add_co_u32 v21, vcc_lo, v76, s4
	v_add_co_ci_u32_e32 v22, vcc_lo, s5, v77, vcc_lo
	s_clause 0x7
	global_load_b128 v[1:4], v[5:6], off
	global_load_b128 v[5:8], v[5:6], off offset:16
	global_load_b128 v[33:36], v[17:18], off
	global_load_b128 v[37:40], v[17:18], off offset:16
	;; [unrolled: 2-line block ×4, first 2 shown]
	v_and_b32_e32 v76, 0xe0, v0
	v_mbcnt_lo_u32_b32 v77, -1, 0
	v_wmma_f32_16x16x16_bf16 v[110:117], v[86:93], v[118:125], v[110:117]
	s_waitcnt vmcnt(0)
	s_barrier
	v_add_nc_u32_e32 v76, s16, v76
	v_xor_b32_e32 v78, 16, v77
	v_wmma_f32_16x16x16_bf16 v[110:117], v[102:109], v[126:133], v[110:117]
	v_mul_f32_e32 v97, s19, v134
	buffer_gl0_inv
	v_or_b32_e32 v76, v76, v83
	v_cmp_gt_i32_e32 vcc_lo, 32, v78
	s_delay_alu instid0(VALU_DEP_2)
	v_or_b32_e32 v79, 4, v76
	v_cndmask_b32_e32 v77, v77, v78, vcc_lo
	v_or_b32_e32 v78, 2, v76
	v_or_b32_e32 v80, 6, v76
	v_cmp_gt_i32_e32 vcc_lo, s18, v76
	v_or_b32_e32 v86, 8, v76
	v_or_b32_e32 v87, 10, v76
	v_cmp_gt_i32_e64 s3, s18, v78
	v_or_b32_e32 v88, 12, v76
	v_or_b32_e32 v89, 14, v76
	;; [unrolled: 1-line block ×10, first 2 shown]
	v_cndmask_b32_e32 v76, 0xff7fffff, v97, vcc_lo
	v_cndmask_b32_e64 v78, 0xff7fffff, v99, s3
	v_mul_f32_e32 v99, s19, v137
	v_cmp_gt_i32_e64 s4, s18, v80
	v_mul_f32_e32 v80, s19, v136
	v_cmp_gt_i32_e64 s5, s18, v79
	v_max3_f32 v76, v76, 0xff7fffff, v78
	v_dual_mul_f32 v78, s19, v138 :: v_dual_mul_f32 v79, s19, v139
	v_cndmask_b32_e64 v99, 0xff7fffff, v99, s4
	s_delay_alu instid0(VALU_DEP_4)
	v_cndmask_b32_e64 v80, 0xff7fffff, v80, s5
	v_cmp_gt_i32_e64 s6, s18, v86
	v_cmp_gt_i32_e64 s7, s18, v87
	v_mul_f32_e32 v97, s19, v140
	v_cmp_gt_i32_e64 s8, s18, v89
	v_max3_f32 v76, v76, v80, v99
	v_cndmask_b32_e64 v78, 0xff7fffff, v78, s6
	v_cndmask_b32_e64 v79, 0xff7fffff, v79, s7
	v_cmp_gt_i32_e64 s9, s18, v88
	v_dual_mul_f32 v88, s19, v111 :: v_dual_mul_f32 v89, s19, v110
	v_cndmask_b32_e64 v100, 0xff7fffff, v100, s8
	s_delay_alu instid0(VALU_DEP_4) | instskip(NEXT) | instid1(VALU_DEP_4)
	v_max3_f32 v76, v76, v78, v79
	v_cndmask_b32_e64 v97, 0xff7fffff, v97, s9
	v_cmp_gt_i32_e64 s10, s18, v90
	v_cmp_gt_i32_e64 s11, s18, v91
	v_dual_mul_f32 v78, s19, v113 :: v_dual_mul_f32 v79, s19, v112
	s_delay_alu instid0(VALU_DEP_4) | instskip(NEXT) | instid1(VALU_DEP_4)
	v_max3_f32 v76, v76, v97, v100
	v_cndmask_b32_e64 v89, 0xff7fffff, v89, s10
	s_delay_alu instid0(VALU_DEP_4)
	v_cndmask_b32_e64 v88, 0xff7fffff, v88, s11
	v_cmp_gt_i32_e64 s12, s18, v92
	v_cmp_gt_i32_e64 s13, s18, v93
	v_mul_f32_e32 v87, s19, v115
	v_mul_f32_e32 v99, s19, v114
	v_max3_f32 v76, v76, v89, v88
	v_cndmask_b32_e64 v79, 0xff7fffff, v79, s12
	v_cndmask_b32_e64 v78, 0xff7fffff, v78, s13
	v_cmp_gt_i32_e64 s15, s18, v94
	v_cmp_gt_i32_e64 s16, s18, v95
	v_mul_f32_e32 v80, s19, v117
	v_mul_f32_e32 v86, s19, v116
	v_max3_f32 v76, v76, v79, v78
	v_cndmask_b32_e64 v88, 0xff7fffff, v99, s15
	v_cndmask_b32_e64 v87, 0xff7fffff, v87, s16
	v_cmp_gt_i32_e64 s17, s18, v96
	v_cmp_gt_i32_e64 s18, s18, v98
	v_lshlrev_b32_e32 v99, 2, v77
	s_delay_alu instid0(VALU_DEP_4) | instskip(NEXT) | instid1(VALU_DEP_4)
	v_max3_f32 v76, v76, v88, v87
	v_cndmask_b32_e64 v78, 0xff7fffff, v86, s17
	s_delay_alu instid0(VALU_DEP_4) | instskip(NEXT) | instid1(VALU_DEP_1)
	v_cndmask_b32_e64 v79, 0xff7fffff, v80, s18
	v_max3_f32 v76, v76, v78, v79
	ds_bpermute_b32 v77, v99, v76
	s_waitcnt lgkmcnt(0)
	v_max_f32_e32 v77, v77, v77
	s_delay_alu instid0(VALU_DEP_1) | instskip(NEXT) | instid1(VALU_DEP_1)
	v_max_f32_e32 v76, v76, v77
	v_fma_f32 v77, s19, v134, -v76
	v_fma_f32 v78, s19, v135, -v76
	;; [unrolled: 1-line block ×5, first 2 shown]
	s_delay_alu instid0(VALU_DEP_4) | instskip(SKIP_1) | instid1(VALU_DEP_4)
	v_dual_mul_f32 v77, 0x3fb8aa3b, v77 :: v_dual_mul_f32 v78, 0x3fb8aa3b, v78
	v_fma_f32 v88, s19, v114, -v76
	v_dual_mul_f32 v79, 0x3fb8aa3b, v79 :: v_dual_mul_f32 v80, 0x3fb8aa3b, v80
	s_delay_alu instid0(VALU_DEP_3) | instskip(NEXT) | instid1(VALU_DEP_3)
	v_exp_f32_e32 v77, v77
	v_exp_f32_e32 v78, v78
	s_delay_alu instid0(VALU_DEP_2) | instskip(NEXT) | instid1(VALU_DEP_2)
	v_mul_f32_e32 v88, 0x3fb8aa3b, v88
	v_exp_f32_e32 v79, v79
	v_mul_f32_e32 v86, 0x3fb8aa3b, v86
	v_exp_f32_e32 v80, v80
	v_fma_f32 v87, s19, v140, -v76
	v_fma_f32 v100, s19, v117, -v76
	;; [unrolled: 1-line block ×3, first 2 shown]
	v_exp_f32_e32 v86, v86
	v_cndmask_b32_e32 v92, 0, v77, vcc_lo
	v_fma_f32 v77, s19, v139, -v76
	v_cndmask_b32_e64 v91, 0, v78, s3
	v_cndmask_b32_e64 v93, 0, v79, s5
	v_fma_f32 v79, s19, v141, -v76
	s_delay_alu instid0(VALU_DEP_4) | instskip(SKIP_2) | instid1(TRANS32_DEP_1)
	v_dual_add_f32 v78, 0, v92 :: v_dual_mul_f32 v77, 0x3fb8aa3b, v77
	v_cndmask_b32_e64 v95, 0, v80, s4
	v_mul_f32_e32 v87, 0x3fb8aa3b, v87
	v_cndmask_b32_e64 v96, 0, v86, s6
	s_delay_alu instid0(VALU_DEP_4)
	v_add_f32_e32 v78, v78, v91
	v_exp_f32_e32 v77, v77
	v_fma_f32 v86, s19, v111, -v76
	v_fma_f32 v80, s19, v110, -v76
	v_exp_f32_e32 v87, v87
	v_add_f32_e32 v78, v78, v93
	v_mul_f32_e32 v100, 0x3fb8aa3b, v100
	v_mul_f32_e32 v86, 0x3fb8aa3b, v86
	;; [unrolled: 1-line block ×3, first 2 shown]
	v_exp_f32_e32 v88, v88
	v_add_f32_e32 v78, v78, v95
	v_cndmask_b32_e64 v97, 0, v77, s7
	v_exp_f32_e32 v86, v86
	v_exp_f32_e32 v80, v80
	v_cndmask_b32_e64 v94, 0, v87, s9
	v_add_f32_e32 v77, v78, v96
	v_fma_f32 v78, s19, v112, -v76
	v_fma_f32 v87, s19, v113, -v76
	v_exp_f32_e32 v100, v100
	s_mov_b32 s3, exec_lo
	s_delay_alu instid0(VALU_DEP_2) | instskip(NEXT) | instid1(VALU_DEP_2)
	v_dual_add_f32 v77, v77, v97 :: v_dual_mul_f32 v78, 0x3fb8aa3b, v78
	v_mul_f32_e32 v87, 0x3fb8aa3b, v87
	s_delay_alu instid0(VALU_DEP_2) | instskip(SKIP_2) | instid1(VALU_DEP_3)
	v_exp_f32_e32 v89, v78
	v_cndmask_b32_e64 v78, 0, v86, s11
	v_mul_f32_e32 v79, 0x3fb8aa3b, v79
	v_exp_f32_e32 v87, v87
	s_delay_alu instid0(VALU_DEP_1)
	v_exp_f32_e32 v79, v79
	s_waitcnt_depctr 0xfff
	v_cndmask_b32_e64 v98, 0, v79, s8
	v_add_f32_e32 v79, v77, v94
	v_cndmask_b32_e64 v77, 0, v80, s10
	v_fma_f32 v80, s19, v115, -v76
	s_delay_alu instid0(VALU_DEP_1) | instskip(NEXT) | instid1(VALU_DEP_1)
	v_dual_add_f32 v79, v79, v98 :: v_dual_mul_f32 v80, 0x3fb8aa3b, v80
	v_add_f32_e32 v86, v79, v77
	v_cndmask_b32_e64 v79, 0, v89, s12
	v_mul_f32_e32 v89, 0x3fb8aa3b, v90
	s_delay_alu instid0(VALU_DEP_4) | instskip(SKIP_2) | instid1(VALU_DEP_3)
	v_exp_f32_e32 v90, v80
	v_cndmask_b32_e64 v80, 0, v87, s13
	v_add_f32_e32 v86, v86, v78
	v_exp_f32_e32 v89, v89
	s_delay_alu instid0(VALU_DEP_1) | instskip(SKIP_1) | instid1(VALU_DEP_2)
	v_add_f32_e32 v87, v86, v79
	v_cndmask_b32_e64 v86, 0, v88, s15
	v_add_f32_e32 v88, v87, v80
	s_delay_alu instid0(TRANS32_DEP_2) | instskip(NEXT) | instid1(VALU_DEP_2)
	v_cndmask_b32_e64 v87, 0, v90, s16
	v_add_f32_e32 v90, v88, v86
	s_waitcnt_depctr 0xfff
	v_cndmask_b32_e64 v88, 0, v89, s17
	v_add_f32_e32 v89, v90, v87
	s_delay_alu instid0(VALU_DEP_1) | instskip(SKIP_1) | instid1(VALU_DEP_1)
	v_add_f32_e32 v90, v89, v88
	v_cndmask_b32_e64 v89, 0, v100, s18
	v_add_f32_e32 v90, v90, v89
	ds_bpermute_b32 v99, v99, v90
	v_cmpx_gt_u32_e32 16, v75
	s_cbranch_execz .LBB549_14
; %bb.13:
	v_mul_u32_u24_e32 v75, 0x44, v74
	s_waitcnt lgkmcnt(0)
	v_add_f32_e32 v90, v90, v99
	s_delay_alu instid0(VALU_DEP_2) | instskip(NEXT) | instid1(VALU_DEP_1)
	v_lshl_add_u32 v75, v73, 2, v75
	v_add_nc_u32_e32 v75, 0x4000, v75
	ds_store_2addr_b32 v75, v76, v90 offset1:136
.LBB549_14:
	s_or_b32 exec_lo, exec_lo, s3
	v_lshlrev_b32_e32 v75, 2, v73
	s_waitcnt lgkmcnt(0)
	s_barrier
	buffer_gl0_inv
	v_cmp_eq_u32_e64 s3, 1, v74
	v_add_nc_u32_e32 v90, 0x4000, v75
	ds_load_2addr_b32 v[99:100], v90 offset1:17
	ds_load_2addr_b32 v[101:102], v90 offset0:34 offset1:51
	ds_load_2addr_b32 v[103:104], v90 offset0:68 offset1:85
	;; [unrolled: 1-line block ×4, first 2 shown]
	s_waitcnt lgkmcnt(4)
	v_max3_f32 v75, v99, 0xff7fffff, v100
	s_waitcnt lgkmcnt(3)
	s_delay_alu instid0(VALU_DEP_1) | instskip(SKIP_1) | instid1(VALU_DEP_1)
	v_max3_f32 v75, v75, v101, v102
	s_waitcnt lgkmcnt(2)
	v_max3_f32 v75, v75, v103, v104
	s_waitcnt lgkmcnt(1)
	s_delay_alu instid0(VALU_DEP_1) | instskip(NEXT) | instid1(VALU_DEP_1)
	v_max3_f32 v75, v75, v105, v106
	v_sub_f32_e32 v109, v100, v75
	v_sub_f32_e32 v76, v99, v75
	ds_load_2addr_b32 v[99:100], v90 offset0:170 offset1:187
	v_sub_f32_e32 v101, v101, v75
	v_dual_mul_f32 v109, 0x3fb8aa3b, v109 :: v_dual_mul_f32 v76, 0x3fb8aa3b, v76
	s_delay_alu instid0(VALU_DEP_2) | instskip(NEXT) | instid1(VALU_DEP_2)
	v_mul_f32_e32 v111, 0x3fb8aa3b, v101
	v_exp_f32_e32 v109, v109
	s_delay_alu instid0(VALU_DEP_2)
	v_exp_f32_e32 v110, v76
	v_sub_f32_e32 v76, v102, v75
	ds_load_2addr_b32 v[101:102], v90 offset0:204 offset1:221
	v_exp_f32_e32 v111, v111
	v_mul_f32_e32 v112, 0x3fb8aa3b, v76
	s_waitcnt lgkmcnt(2)
	v_fma_f32 v76, v110, v107, 0
	v_sub_f32_e32 v103, v103, v75
	s_delay_alu instid0(VALU_DEP_3) | instskip(NEXT) | instid1(VALU_DEP_2)
	v_exp_f32_e32 v112, v112
	v_dual_sub_f32 v107, v104, v75 :: v_dual_fmac_f32 v76, v109, v108
	s_waitcnt lgkmcnt(1)
	s_waitcnt_depctr 0xfff
	v_fmac_f32_e32 v76, v111, v99
	v_mul_f32_e32 v113, 0x3fb8aa3b, v103
	ds_load_2addr_b32 v[103:104], v90 offset0:238 offset1:255
	v_sub_f32_e32 v90, v105, v75
	v_dual_sub_f32 v99, v106, v75 :: v_dual_fmac_f32 v76, v112, v100
	v_mul_f32_e32 v105, 0x3fb8aa3b, v107
	v_exp_f32_e32 v107, v113
	s_delay_alu instid0(VALU_DEP_2)
	v_dual_mul_f32 v90, 0x3fb8aa3b, v90 :: v_dual_mul_f32 v99, 0x3fb8aa3b, v99
	s_waitcnt lgkmcnt(0)
	s_barrier
	buffer_gl0_inv
	v_exp_f32_e32 v90, v90
	v_exp_f32_e32 v99, v99
	v_fmac_f32_e32 v76, v107, v101
	v_exp_f32_e32 v105, v105
	s_waitcnt_depctr 0xfff
	v_fmac_f32_e32 v76, v105, v102
	s_delay_alu instid0(VALU_DEP_1) | instskip(NEXT) | instid1(VALU_DEP_1)
	v_fmac_f32_e32 v76, v90, v103
	v_fmac_f32_e32 v76, v99, v104
	s_delay_alu instid0(VALU_DEP_1) | instskip(NEXT) | instid1(VALU_DEP_1)
	v_add_f32_e32 v100, 0x358637bd, v76
	v_div_scale_f32 v101, null, v100, v100, 1.0
	v_div_scale_f32 v104, vcc_lo, 1.0, v100, 1.0
	s_delay_alu instid0(VALU_DEP_2) | instskip(SKIP_2) | instid1(VALU_DEP_1)
	v_rcp_f32_e32 v102, v101
	s_waitcnt_depctr 0xfff
	v_fma_f32 v103, -v101, v102, 1.0
	v_fmac_f32_e32 v102, v103, v102
	v_cndmask_b32_e64 v103, v110, v109, s3
	v_cmp_eq_u32_e64 s3, 2, v74
	s_delay_alu instid0(VALU_DEP_3) | instskip(NEXT) | instid1(VALU_DEP_2)
	v_mul_f32_e32 v106, v104, v102
	v_cndmask_b32_e64 v103, v103, v111, s3
	v_cmp_eq_u32_e64 s3, 3, v74
	s_delay_alu instid0(VALU_DEP_3) | instskip(NEXT) | instid1(VALU_DEP_2)
	v_fma_f32 v108, -v101, v106, v104
	v_cndmask_b32_e64 v103, v103, v112, s3
	v_cmp_eq_u32_e64 s3, 4, v74
	s_delay_alu instid0(VALU_DEP_3) | instskip(NEXT) | instid1(VALU_DEP_2)
	v_fmac_f32_e32 v106, v108, v102
	v_cndmask_b32_e64 v103, v103, v107, s3
	s_delay_alu instid0(VALU_DEP_2) | instskip(SKIP_1) | instid1(VALU_DEP_2)
	v_fma_f32 v101, -v101, v106, v104
	v_cmp_eq_u32_e64 s3, 5, v74
	v_div_fmas_f32 v101, v101, v102, v106
	s_delay_alu instid0(VALU_DEP_2) | instskip(SKIP_2) | instid1(VALU_DEP_3)
	v_cndmask_b32_e64 v103, v103, v105, s3
	v_cmp_eq_u32_e32 vcc_lo, 6, v74
	s_mov_b32 s3, exec_lo
	v_div_fixup_f32 v100, v101, v100, 1.0
	s_delay_alu instid0(VALU_DEP_3) | instskip(SKIP_1) | instid1(VALU_DEP_2)
	v_cndmask_b32_e32 v90, v103, v90, vcc_lo
	v_cmp_eq_u32_e32 vcc_lo, 7, v74
	v_cndmask_b32_e32 v90, v90, v99, vcc_lo
	s_delay_alu instid0(VALU_DEP_1) | instskip(NEXT) | instid1(VALU_DEP_1)
	v_mul_f32_e32 v90, v90, v100
	v_mul_f32_e32 v100, v90, v92
	;; [unrolled: 1-line block ×6, first 2 shown]
	v_and_b32_e32 v101, 0x7f800000, v100
	v_mul_f32_e32 v99, v90, v95
	v_mul_f32_e32 v95, v90, v91
	;; [unrolled: 1-line block ×3, first 2 shown]
                                        ; implicit-def: $vgpr91
	s_delay_alu instid0(VALU_DEP_4)
	v_cmpx_ne_u32_e32 0x7f800000, v101
	s_xor_b32 s3, exec_lo, s3
; %bb.15:
	v_bfe_u32 v91, v100, 16, 1
	s_delay_alu instid0(VALU_DEP_1)
	v_add3_u32 v91, v100, v91, 0x7fff
                                        ; implicit-def: $vgpr100
; %bb.16:
	s_and_not1_saveexec_b32 s3, s3
; %bb.17:
	v_and_b32_e32 v91, 0xffff, v100
	v_or_b32_e32 v93, 0x10000, v100
	s_delay_alu instid0(VALU_DEP_2) | instskip(NEXT) | instid1(VALU_DEP_2)
	v_cmp_eq_u32_e32 vcc_lo, 0, v91
	v_cndmask_b32_e32 v91, v93, v100, vcc_lo
; %bb.18:
	s_or_b32 exec_lo, exec_lo, s3
	v_and_b32_e32 v93, 0x7f800000, v95
	s_delay_alu instid0(VALU_DEP_1) | instskip(SKIP_1) | instid1(SALU_CYCLE_1)
	v_cmp_ne_u32_e32 vcc_lo, 0x7f800000, v93
                                        ; implicit-def: $vgpr93
	s_and_saveexec_b32 s3, vcc_lo
	s_xor_b32 s3, exec_lo, s3
; %bb.19:
	v_bfe_u32 v93, v95, 16, 1
	s_delay_alu instid0(VALU_DEP_1)
	v_add3_u32 v93, v95, v93, 0x7fff
                                        ; implicit-def: $vgpr95
; %bb.20:
	s_and_not1_saveexec_b32 s3, s3
; %bb.21:
	v_and_b32_e32 v93, 0xffff, v95
	v_or_b32_e32 v100, 0x10000, v95
	s_delay_alu instid0(VALU_DEP_2) | instskip(NEXT) | instid1(VALU_DEP_2)
	v_cmp_eq_u32_e32 vcc_lo, 0, v93
	v_cndmask_b32_e32 v93, v100, v95, vcc_lo
; %bb.22:
	s_or_b32 exec_lo, exec_lo, s3
	v_and_b32_e32 v95, 0x7f800000, v96
	s_delay_alu instid0(VALU_DEP_1) | instskip(SKIP_1) | instid1(SALU_CYCLE_1)
	v_cmp_ne_u32_e32 vcc_lo, 0x7f800000, v95
                                        ; implicit-def: $vgpr95
	s_and_saveexec_b32 s3, vcc_lo
	s_xor_b32 s3, exec_lo, s3
; %bb.23:
	v_bfe_u32 v95, v96, 16, 1
	s_delay_alu instid0(VALU_DEP_1)
	v_add3_u32 v95, v96, v95, 0x7fff
                                        ; implicit-def: $vgpr96
; %bb.24:
	s_and_not1_saveexec_b32 s3, s3
; %bb.25:
	v_and_b32_e32 v95, 0xffff, v96
	v_or_b32_e32 v100, 0x10000, v96
	s_delay_alu instid0(VALU_DEP_2) | instskip(NEXT) | instid1(VALU_DEP_2)
	v_cmp_eq_u32_e32 vcc_lo, 0, v95
	v_cndmask_b32_e32 v95, v100, v96, vcc_lo
; %bb.26:
	s_or_b32 exec_lo, exec_lo, s3
	v_and_b32_e32 v96, 0x7f800000, v99
	s_delay_alu instid0(VALU_DEP_1) | instskip(SKIP_1) | instid1(SALU_CYCLE_1)
	v_cmp_ne_u32_e32 vcc_lo, 0x7f800000, v96
                                        ; implicit-def: $vgpr96
	s_and_saveexec_b32 s3, vcc_lo
	s_xor_b32 s3, exec_lo, s3
; %bb.27:
	v_bfe_u32 v96, v99, 16, 1
	s_delay_alu instid0(VALU_DEP_1)
	v_add3_u32 v96, v99, v96, 0x7fff
                                        ; implicit-def: $vgpr99
; %bb.28:
	s_and_not1_saveexec_b32 s3, s3
; %bb.29:
	v_and_b32_e32 v96, 0xffff, v99
	v_or_b32_e32 v100, 0x10000, v99
	s_delay_alu instid0(VALU_DEP_2) | instskip(NEXT) | instid1(VALU_DEP_2)
	v_cmp_eq_u32_e32 vcc_lo, 0, v96
	v_cndmask_b32_e32 v96, v100, v99, vcc_lo
; %bb.30:
	s_or_b32 exec_lo, exec_lo, s3
	v_and_b32_e32 v99, 0x7f800000, v98
	s_delay_alu instid0(VALU_DEP_1) | instskip(SKIP_1) | instid1(SALU_CYCLE_1)
	v_cmp_ne_u32_e32 vcc_lo, 0x7f800000, v99
                                        ; implicit-def: $vgpr99
	s_and_saveexec_b32 s3, vcc_lo
	s_xor_b32 s3, exec_lo, s3
; %bb.31:
	v_bfe_u32 v99, v98, 16, 1
	s_delay_alu instid0(VALU_DEP_1)
	v_add3_u32 v99, v98, v99, 0x7fff
                                        ; implicit-def: $vgpr98
; %bb.32:
	s_and_not1_saveexec_b32 s3, s3
; %bb.33:
	v_and_b32_e32 v99, 0xffff, v98
	v_or_b32_e32 v100, 0x10000, v98
	s_delay_alu instid0(VALU_DEP_2) | instskip(NEXT) | instid1(VALU_DEP_2)
	v_cmp_eq_u32_e32 vcc_lo, 0, v99
	v_cndmask_b32_e32 v99, v100, v98, vcc_lo
; %bb.34:
	s_or_b32 exec_lo, exec_lo, s3
	v_and_b32_e32 v98, 0x7f800000, v97
	s_delay_alu instid0(VALU_DEP_1) | instskip(SKIP_1) | instid1(SALU_CYCLE_1)
	v_cmp_ne_u32_e32 vcc_lo, 0x7f800000, v98
                                        ; implicit-def: $vgpr98
	s_and_saveexec_b32 s3, vcc_lo
	s_xor_b32 s3, exec_lo, s3
; %bb.35:
	v_bfe_u32 v98, v97, 16, 1
	s_delay_alu instid0(VALU_DEP_1)
	v_add3_u32 v98, v97, v98, 0x7fff
                                        ; implicit-def: $vgpr97
; %bb.36:
	s_and_not1_saveexec_b32 s3, s3
; %bb.37:
	v_and_b32_e32 v98, 0xffff, v97
	v_or_b32_e32 v100, 0x10000, v97
	s_delay_alu instid0(VALU_DEP_2) | instskip(NEXT) | instid1(VALU_DEP_2)
	v_cmp_eq_u32_e32 vcc_lo, 0, v98
	v_cndmask_b32_e32 v98, v100, v97, vcc_lo
; %bb.38:
	s_or_b32 exec_lo, exec_lo, s3
	v_and_b32_e32 v97, 0x7f800000, v94
	s_delay_alu instid0(VALU_DEP_1) | instskip(SKIP_1) | instid1(SALU_CYCLE_1)
	v_cmp_ne_u32_e32 vcc_lo, 0x7f800000, v97
                                        ; implicit-def: $vgpr97
	s_and_saveexec_b32 s3, vcc_lo
	s_xor_b32 s3, exec_lo, s3
; %bb.39:
	v_bfe_u32 v97, v94, 16, 1
	s_delay_alu instid0(VALU_DEP_1)
	v_add3_u32 v97, v94, v97, 0x7fff
                                        ; implicit-def: $vgpr94
; %bb.40:
	s_and_not1_saveexec_b32 s3, s3
; %bb.41:
	v_and_b32_e32 v97, 0xffff, v94
	v_or_b32_e32 v100, 0x10000, v94
	s_delay_alu instid0(VALU_DEP_2) | instskip(NEXT) | instid1(VALU_DEP_2)
	v_cmp_eq_u32_e32 vcc_lo, 0, v97
	v_cndmask_b32_e32 v97, v100, v94, vcc_lo
; %bb.42:
	s_or_b32 exec_lo, exec_lo, s3
	v_and_b32_e32 v94, 0x7f800000, v92
	s_delay_alu instid0(VALU_DEP_1) | instskip(SKIP_1) | instid1(SALU_CYCLE_1)
	v_cmp_ne_u32_e32 vcc_lo, 0x7f800000, v94
                                        ; implicit-def: $vgpr94
	s_and_saveexec_b32 s3, vcc_lo
	s_xor_b32 s3, exec_lo, s3
; %bb.43:
	v_bfe_u32 v94, v92, 16, 1
	s_delay_alu instid0(VALU_DEP_1)
	v_add3_u32 v94, v92, v94, 0x7fff
                                        ; implicit-def: $vgpr92
; %bb.44:
	s_and_not1_saveexec_b32 s3, s3
; %bb.45:
	v_and_b32_e32 v94, 0xffff, v92
	v_or_b32_e32 v100, 0x10000, v92
	s_delay_alu instid0(VALU_DEP_2) | instskip(NEXT) | instid1(VALU_DEP_2)
	v_cmp_eq_u32_e32 vcc_lo, 0, v94
	v_cndmask_b32_e32 v94, v100, v92, vcc_lo
; %bb.46:
	s_or_b32 exec_lo, exec_lo, s3
	s_load_b64 s[34:35], s[0:1], 0x94
	v_lshlrev_b32_e32 v92, 4, v83
	s_delay_alu instid0(VALU_DEP_2)
	v_perm_b32 v100, v94, v97, 0x7060302
	v_dual_mul_f32 v89, v90, v89 :: v_dual_lshlrev_b32 v94, 11, v74
	v_perm_b32 v97, v93, v91, 0x7060302
	v_mul_f32_e32 v93, v90, v77
	v_perm_b32 v99, v98, v99, 0x7060302
	v_perm_b32 v98, v96, v95, 0x7060302
	v_or3_b32 v77, v92, v94, v85
	v_mul_f32_e32 v88, v90, v88
	v_dual_mul_f32 v87, v90, v87 :: v_dual_and_b32 v94, 0x7f800000, v93
	v_mul_f32_e32 v86, v90, v86
	v_mul_f32_e32 v91, v90, v80
	v_mul_f32_e32 v92, v90, v79
	v_mul_f32_e32 v80, v90, v78
	s_mov_b32 s3, exec_lo
	ds_store_b128 v77, v[97:100]
                                        ; implicit-def: $vgpr78
	v_cmpx_ne_u32_e32 0x7f800000, v94
	s_xor_b32 s3, exec_lo, s3
; %bb.47:
	v_bfe_u32 v78, v93, 16, 1
	s_delay_alu instid0(VALU_DEP_1)
	v_add3_u32 v78, v93, v78, 0x7fff
                                        ; implicit-def: $vgpr93
; %bb.48:
	s_and_not1_saveexec_b32 s3, s3
; %bb.49:
	v_and_b32_e32 v78, 0xffff, v93
	v_or_b32_e32 v79, 0x10000, v93
	s_delay_alu instid0(VALU_DEP_2) | instskip(NEXT) | instid1(VALU_DEP_2)
	v_cmp_eq_u32_e32 vcc_lo, 0, v78
	v_cndmask_b32_e32 v78, v79, v93, vcc_lo
; %bb.50:
	s_or_b32 exec_lo, exec_lo, s3
	v_and_b32_e32 v79, 0x7f800000, v80
	s_delay_alu instid0(VALU_DEP_1) | instskip(SKIP_1) | instid1(SALU_CYCLE_1)
	v_cmp_ne_u32_e32 vcc_lo, 0x7f800000, v79
                                        ; implicit-def: $vgpr79
	s_and_saveexec_b32 s3, vcc_lo
	s_xor_b32 s3, exec_lo, s3
; %bb.51:
	v_bfe_u32 v79, v80, 16, 1
	s_delay_alu instid0(VALU_DEP_1)
	v_add3_u32 v79, v80, v79, 0x7fff
                                        ; implicit-def: $vgpr80
; %bb.52:
	s_and_not1_saveexec_b32 s3, s3
; %bb.53:
	v_and_b32_e32 v79, 0xffff, v80
	v_or_b32_e32 v90, 0x10000, v80
	s_delay_alu instid0(VALU_DEP_2) | instskip(NEXT) | instid1(VALU_DEP_2)
	v_cmp_eq_u32_e32 vcc_lo, 0, v79
	v_cndmask_b32_e32 v79, v90, v80, vcc_lo
; %bb.54:
	s_or_b32 exec_lo, exec_lo, s3
	v_and_b32_e32 v80, 0x7f800000, v92
	s_delay_alu instid0(VALU_DEP_1) | instskip(SKIP_1) | instid1(SALU_CYCLE_1)
	v_cmp_ne_u32_e32 vcc_lo, 0x7f800000, v80
                                        ; implicit-def: $vgpr80
	s_and_saveexec_b32 s3, vcc_lo
	s_xor_b32 s3, exec_lo, s3
; %bb.55:
	v_bfe_u32 v80, v92, 16, 1
	s_delay_alu instid0(VALU_DEP_1)
	v_add3_u32 v80, v92, v80, 0x7fff
                                        ; implicit-def: $vgpr92
; %bb.56:
	s_and_not1_saveexec_b32 s3, s3
; %bb.57:
	v_and_b32_e32 v80, 0xffff, v92
	v_or_b32_e32 v90, 0x10000, v92
	s_delay_alu instid0(VALU_DEP_2) | instskip(NEXT) | instid1(VALU_DEP_2)
	v_cmp_eq_u32_e32 vcc_lo, 0, v80
	v_cndmask_b32_e32 v80, v90, v92, vcc_lo
; %bb.58:
	s_or_b32 exec_lo, exec_lo, s3
	v_and_b32_e32 v90, 0x7f800000, v91
	s_delay_alu instid0(VALU_DEP_1) | instskip(SKIP_1) | instid1(SALU_CYCLE_1)
	v_cmp_ne_u32_e32 vcc_lo, 0x7f800000, v90
                                        ; implicit-def: $vgpr90
	s_and_saveexec_b32 s3, vcc_lo
	s_xor_b32 s3, exec_lo, s3
; %bb.59:
	v_bfe_u32 v90, v91, 16, 1
	s_delay_alu instid0(VALU_DEP_1)
	v_add3_u32 v90, v91, v90, 0x7fff
                                        ; implicit-def: $vgpr91
; %bb.60:
	s_and_not1_saveexec_b32 s3, s3
; %bb.61:
	v_and_b32_e32 v90, 0xffff, v91
	v_or_b32_e32 v92, 0x10000, v91
	s_delay_alu instid0(VALU_DEP_2) | instskip(NEXT) | instid1(VALU_DEP_2)
	v_cmp_eq_u32_e32 vcc_lo, 0, v90
	v_cndmask_b32_e32 v90, v92, v91, vcc_lo
; %bb.62:
	s_or_b32 exec_lo, exec_lo, s3
	v_and_b32_e32 v91, 0x7f800000, v86
	s_delay_alu instid0(VALU_DEP_1) | instskip(SKIP_1) | instid1(SALU_CYCLE_1)
	v_cmp_ne_u32_e32 vcc_lo, 0x7f800000, v91
                                        ; implicit-def: $vgpr91
	s_and_saveexec_b32 s3, vcc_lo
	s_xor_b32 s3, exec_lo, s3
; %bb.63:
	v_bfe_u32 v91, v86, 16, 1
	s_delay_alu instid0(VALU_DEP_1)
	v_add3_u32 v91, v86, v91, 0x7fff
                                        ; implicit-def: $vgpr86
; %bb.64:
	s_and_not1_saveexec_b32 s3, s3
; %bb.65:
	v_and_b32_e32 v91, 0xffff, v86
	v_or_b32_e32 v92, 0x10000, v86
	s_delay_alu instid0(VALU_DEP_2) | instskip(NEXT) | instid1(VALU_DEP_2)
	v_cmp_eq_u32_e32 vcc_lo, 0, v91
	v_cndmask_b32_e32 v91, v92, v86, vcc_lo
; %bb.66:
	s_or_b32 exec_lo, exec_lo, s3
	v_and_b32_e32 v86, 0x7f800000, v87
	s_delay_alu instid0(VALU_DEP_1) | instskip(SKIP_1) | instid1(SALU_CYCLE_1)
	v_cmp_ne_u32_e32 vcc_lo, 0x7f800000, v86
                                        ; implicit-def: $vgpr86
	s_and_saveexec_b32 s3, vcc_lo
	s_xor_b32 s3, exec_lo, s3
; %bb.67:
	v_bfe_u32 v86, v87, 16, 1
	s_delay_alu instid0(VALU_DEP_1)
	v_add3_u32 v86, v87, v86, 0x7fff
                                        ; implicit-def: $vgpr87
; %bb.68:
	s_and_not1_saveexec_b32 s3, s3
; %bb.69:
	v_and_b32_e32 v86, 0xffff, v87
	v_or_b32_e32 v92, 0x10000, v87
	s_delay_alu instid0(VALU_DEP_2) | instskip(NEXT) | instid1(VALU_DEP_2)
	v_cmp_eq_u32_e32 vcc_lo, 0, v86
	v_cndmask_b32_e32 v86, v92, v87, vcc_lo
; %bb.70:
	s_or_b32 exec_lo, exec_lo, s3
	v_and_b32_e32 v87, 0x7f800000, v88
	s_delay_alu instid0(VALU_DEP_1) | instskip(SKIP_1) | instid1(SALU_CYCLE_1)
	v_cmp_ne_u32_e32 vcc_lo, 0x7f800000, v87
                                        ; implicit-def: $vgpr87
	s_and_saveexec_b32 s3, vcc_lo
	s_xor_b32 s3, exec_lo, s3
; %bb.71:
	v_bfe_u32 v87, v88, 16, 1
	s_delay_alu instid0(VALU_DEP_1)
	v_add3_u32 v87, v88, v87, 0x7fff
                                        ; implicit-def: $vgpr88
; %bb.72:
	s_and_not1_saveexec_b32 s3, s3
; %bb.73:
	v_and_b32_e32 v87, 0xffff, v88
	v_or_b32_e32 v92, 0x10000, v88
	s_delay_alu instid0(VALU_DEP_2) | instskip(NEXT) | instid1(VALU_DEP_2)
	v_cmp_eq_u32_e32 vcc_lo, 0, v87
	v_cndmask_b32_e32 v87, v92, v88, vcc_lo
; %bb.74:
	s_or_b32 exec_lo, exec_lo, s3
	v_and_b32_e32 v88, 0x7f800000, v89
	s_delay_alu instid0(VALU_DEP_1) | instskip(SKIP_1) | instid1(SALU_CYCLE_1)
	v_cmp_ne_u32_e32 vcc_lo, 0x7f800000, v88
                                        ; implicit-def: $vgpr88
	s_and_saveexec_b32 s3, vcc_lo
	s_xor_b32 s3, exec_lo, s3
; %bb.75:
	v_bfe_u32 v88, v89, 16, 1
	s_delay_alu instid0(VALU_DEP_1)
	v_add3_u32 v88, v89, v88, 0x7fff
                                        ; implicit-def: $vgpr89
; %bb.76:
	s_and_not1_saveexec_b32 s3, s3
; %bb.77:
	v_and_b32_e32 v88, 0xffff, v89
	v_or_b32_e32 v92, 0x10000, v89
	s_delay_alu instid0(VALU_DEP_2) | instskip(NEXT) | instid1(VALU_DEP_2)
	v_cmp_eq_u32_e32 vcc_lo, 0, v88
	v_cndmask_b32_e32 v88, v92, v89, vcc_lo
; %bb.78:
	s_or_b32 exec_lo, exec_lo, s3
	s_delay_alu instid0(VALU_DEP_1)
	v_perm_b32 v89, v88, v87, 0x7060302
	v_perm_b32 v88, v86, v91, 0x7060302
	;; [unrolled: 1-line block ×4, first 2 shown]
	v_lshl_or_b32 v90, v74, 11, v85
	ds_store_b128 v77, v[86:89] offset:1024
	s_waitcnt lgkmcnt(0)
	s_barrier
	buffer_gl0_inv
	ds_load_b128 v[91:94], v90
	ds_load_b128 v[95:98], v90 offset:16
	v_lshlrev_b32_e32 v87, 2, v83
	s_delay_alu instid0(VALU_DEP_1)
	v_or_b32_e32 v88, 1, v87
	v_cmp_eq_u32_e32 vcc_lo, 1, v87
	v_cmp_eq_u32_e64 s4, 2, v87
	v_cmp_eq_u32_e64 s7, 3, v87
	;; [unrolled: 1-line block ×6, first 2 shown]
	v_or_b32_e32 v86, 2, v87
	v_cmp_eq_u32_e64 s10, 5, v87
	v_cmp_eq_u32_e64 s11, 4, v88
	;; [unrolled: 1-line block ×4, first 2 shown]
	s_waitcnt lgkmcnt(1)
	v_lshrrev_b32_e32 v74, 16, v91
	s_waitcnt lgkmcnt(0)
	v_lshrrev_b32_e32 v103, 16, v95
	v_lshrrev_b32_e32 v80, 16, v94
	;; [unrolled: 1-line block ×4, first 2 shown]
	v_cndmask_b32_e32 v89, v91, v74, vcc_lo
	v_cndmask_b32_e32 v99, v95, v103, vcc_lo
	v_cndmask_b32_e64 v100, v91, v74, s3
	v_lshrrev_b32_e32 v79, 16, v93
	v_lshrrev_b32_e32 v108, 16, v97
	v_cndmask_b32_e64 v89, v89, v92, s4
	v_cndmask_b32_e64 v99, v99, v96, s4
	;; [unrolled: 1-line block ×4, first 2 shown]
	v_cmp_eq_u32_e64 s5, 1, v86
	v_cndmask_b32_e64 v89, v89, v78, s7
	v_cndmask_b32_e64 v99, v99, v107, s7
	;; [unrolled: 1-line block ×4, first 2 shown]
	v_lshrrev_b32_e32 v109, 16, v98
	v_cndmask_b32_e64 v89, v89, v93, s9
	v_cndmask_b32_e64 v99, v99, v97, s9
	;; [unrolled: 1-line block ×8, first 2 shown]
	v_cmp_eq_u32_e64 s15, 7, v87
	v_cmp_eq_u32_e64 s16, 6, v88
	v_cndmask_b32_e64 v89, v89, v94, s12
	v_cndmask_b32_e64 v99, v99, v98, s12
	v_cmp_eq_u32_e64 s17, 2, v86
	v_cndmask_b32_e64 v101, v101, v97, s11
	v_cndmask_b32_e64 v100, v100, v94, s16
	;; [unrolled: 1-line block ×6, first 2 shown]
	v_cmp_eq_u32_e64 s18, 7, v88
	v_cmp_eq_u32_e64 s19, 3, v86
	;; [unrolled: 1-line block ×4, first 2 shown]
	v_cndmask_b32_e64 v99, v99, v96, s17
	v_cndmask_b32_e64 v112, v100, v80, s18
	;; [unrolled: 1-line block ×4, first 2 shown]
	v_or_b32_e32 v89, 3, v87
	v_cndmask_b32_e64 v105, v99, v107, s19
	v_cmp_eq_u32_e64 s24, 6, v86
	v_cndmask_b32_e64 v113, v100, v98, s16
	v_cndmask_b32_e64 v104, v101, v93, s20
	ds_load_b128 v[99:102], v90 offset:1024
	v_cmp_eq_u32_e64 s21, 1, v89
	v_cmp_eq_u32_e64 s23, 2, v89
	;; [unrolled: 1-line block ×3, first 2 shown]
	v_cndmask_b32_e64 v114, v104, v79, s22
	v_cmp_eq_u32_e64 s26, 4, v89
	v_cndmask_b32_e64 v74, v91, v74, s21
	v_cndmask_b32_e64 v91, v105, v97, s20
	;; [unrolled: 1-line block ×3, first 2 shown]
	ds_load_b128 v[103:106], v90 offset:1040
	v_cmp_eq_u32_e64 s28, 5, v89
	v_cndmask_b32_e64 v74, v74, v92, s23
	v_cndmask_b32_e64 v91, v91, v108, s22
	;; [unrolled: 1-line block ×3, first 2 shown]
	v_cmp_eq_u32_e64 s29, 6, v89
	v_cndmask_b32_e64 v95, v113, v109, s18
	v_cndmask_b32_e64 v74, v74, v78, s25
	;; [unrolled: 1-line block ×5, first 2 shown]
	s_waitcnt lgkmcnt(1)
	v_lshrrev_b32_e32 v96, 16, v99
	v_cndmask_b32_e64 v74, v74, v93, s26
	v_lshrrev_b32_e32 v107, 16, v100
	v_cndmask_b32_e64 v92, v92, v97, s26
	v_cmp_eq_u32_e64 s27, 7, v86
	v_cndmask_b32_e32 v93, v99, v96, vcc_lo
	v_cndmask_b32_e64 v74, v74, v79, s28
	s_delay_alu instid0(VALU_DEP_4)
	v_cndmask_b32_e64 v79, v92, v108, s28
	s_waitcnt lgkmcnt(0)
	v_lshrrev_b32_e32 v97, 16, v103
	v_cndmask_b32_e64 v92, v93, v100, s4
	v_cndmask_b32_e64 v93, v99, v96, s3
	;; [unrolled: 1-line block ×4, first 2 shown]
	v_cndmask_b32_e32 v108, v103, v97, vcc_lo
	v_cndmask_b32_e64 v92, v92, v107, s7
	v_cndmask_b32_e64 v93, v93, v100, s6
	v_lshrrev_b32_e32 v98, 16, v104
	v_cmp_eq_u32_e32 vcc_lo, 7, v89
	v_cndmask_b32_e64 v94, v108, v104, s4
	v_cndmask_b32_e64 v92, v92, v101, s9
	v_lshrrev_b32_e32 v108, 16, v101
	v_cndmask_b32_e64 v93, v93, v107, s8
	v_cndmask_b32_e32 v74, v74, v80, vcc_lo
	v_cndmask_b32_e64 v94, v94, v98, s7
	v_cndmask_b32_e32 v79, v79, v109, vcc_lo
	v_cndmask_b32_e64 v92, v92, v108, s10
	v_cndmask_b32_e64 v78, v78, v80, s27
	;; [unrolled: 1-line block ×4, first 2 shown]
	v_perm_b32 v94, v79, v74, 0x5040100
	v_cndmask_b32_e64 v79, v92, v102, s12
	v_perm_b32 v92, v95, v112, 0x5040100
	v_cndmask_b32_e64 v95, v99, v96, s5
	v_cndmask_b32_e64 v96, v99, v96, s21
	;; [unrolled: 1-line block ×16, first 2 shown]
	v_lshrrev_b32_e32 v109, 16, v105
	v_cndmask_b32_e64 v95, v95, v101, s20
	v_cndmask_b32_e64 v96, v96, v101, s26
	;; [unrolled: 1-line block ×6, first 2 shown]
	v_lshrrev_b32_e32 v80, 16, v102
	v_cndmask_b32_e64 v113, v93, v109, s10
	v_cndmask_b32_e64 v95, v95, v108, s22
	;; [unrolled: 1-line block ×6, first 2 shown]
	v_perm_b32 v93, v91, v78, 0x5040100
	v_cndmask_b32_e64 v74, v74, v102, s16
	v_cndmask_b32_e64 v78, v79, v80, s15
	;; [unrolled: 1-line block ×3, first 2 shown]
	v_lshrrev_b32_e32 v91, 16, v106
	v_cndmask_b32_e64 v95, v95, v102, s24
	v_cndmask_b32_e64 v96, v96, v102, s29
	;; [unrolled: 1-line block ×7, first 2 shown]
	v_cndmask_b32_e32 v80, v96, v80, vcc_lo
	v_cndmask_b32_e32 v96, v98, v91, vcc_lo
	v_cndmask_b32_e64 v99, v99, v91, s27
	v_cndmask_b32_e64 v100, v97, v91, s18
	;; [unrolled: 1-line block ×3, first 2 shown]
	v_perm_b32 v91, v111, v110, 0x5040100
	v_perm_b32 v98, v96, v80, 0x5040100
	v_perm_b32 v97, v99, v95, 0x5040100
	v_perm_b32 v96, v100, v74, 0x5040100
	v_perm_b32 v95, v79, v78, 0x5040100
	s_mul_i32 s8, s35, 12
	s_mov_b32 s3, exec_lo
	ds_store_b128 v77, v[91:94]
	ds_store_b128 v77, v[95:98] offset:1024
	v_cmpx_gt_u32_e32 12, v0
	s_cbranch_execz .LBB549_80
; %bb.79:
	s_mul_i32 s4, s8, s30
	s_delay_alu instid0(SALU_CYCLE_1) | instskip(SKIP_1) | instid1(VALU_DEP_1)
	v_add3_u32 v77, s4, s31, v73
	s_load_b128 s[4:7], s[0:1], 0x58
	v_mad_u64_u32 v[73:74], null, v77, s34, s[14:15]
	s_delay_alu instid0(VALU_DEP_1) | instskip(NEXT) | instid1(VALU_DEP_1)
	v_ashrrev_i32_e32 v74, 31, v73
	v_lshlrev_b64 v[73:74], 2, v[73:74]
	s_waitcnt lgkmcnt(0)
	s_delay_alu instid0(VALU_DEP_1) | instskip(NEXT) | instid1(VALU_DEP_2)
	v_add_co_u32 v77, vcc_lo, s6, v73
	v_add_co_ci_u32_e32 v78, vcc_lo, s7, v74, vcc_lo
	v_add_co_u32 v73, vcc_lo, s4, v73
	v_add_co_ci_u32_e32 v74, vcc_lo, s5, v74, vcc_lo
	global_store_b32 v[77:78], v75, off
	global_store_b32 v[73:74], v76, off
.LBB549_80:
	s_or_b32 exec_lo, exec_lo, s3
	s_waitcnt lgkmcnt(0)
	s_waitcnt_vscnt null, 0x0
	s_barrier
	buffer_gl0_inv
	ds_load_b128 v[91:94], v85
	ds_load_b128 v[95:98], v85 offset:16
	ds_load_b128 v[103:106], v85 offset:1040
	;; [unrolled: 1-line block ×3, first 2 shown]
	v_mov_b32_e32 v73, 0
	ds_load_b128 v[111:114], v85 offset:2064
	ds_load_b128 v[107:110], v85 offset:2048
	;; [unrolled: 1-line block ×6, first 2 shown]
	v_mov_b32_e32 v74, v73
	v_mov_b32_e32 v75, v73
	;; [unrolled: 1-line block ×7, first 2 shown]
	s_waitcnt lgkmcnt(8)
	s_delay_alu instid0(VALU_DEP_1)
	v_wmma_f32_16x16x16_bf16 v[73:80], v[65:72], v[91:98], v[73:80]
	ds_load_b128 v[69:72], v85 offset:5136
	ds_load_b128 v[65:68], v85 offset:5120
	;; [unrolled: 1-line block ×4, first 2 shown]
	s_waitcnt lgkmcnt(10)
	v_wmma_f32_16x16x16_bf16 v[73:80], v[57:64], v[99:106], v[73:80]
	s_waitcnt lgkmcnt(8)
	s_delay_alu instid0(VALU_DEP_1)
	v_wmma_f32_16x16x16_bf16 v[73:80], v[57:64], v[107:114], v[73:80]
	ds_load_b128 v[61:64], v85 offset:7184
	ds_load_b128 v[57:60], v85 offset:7168
	;; [unrolled: 1-line block ×4, first 2 shown]
	s_waitcnt lgkmcnt(10)
	v_wmma_f32_16x16x16_bf16 v[73:80], v[49:56], v[115:122], v[73:80]
	s_waitcnt lgkmcnt(8)
	s_delay_alu instid0(VALU_DEP_1)
	v_wmma_f32_16x16x16_bf16 v[73:80], v[49:56], v[123:130], v[73:80]
	ds_load_b128 v[53:56], v85 offset:9232
	ds_load_b128 v[49:52], v85 offset:9216
	s_waitcnt lgkmcnt(8)
	v_wmma_f32_16x16x16_bf16 v[73:80], v[41:48], v[65:72], v[73:80]
	ds_load_b128 v[69:72], v85 offset:10256
	ds_load_b128 v[65:68], v85 offset:10240
	s_waitcnt lgkmcnt(8)
	;; [unrolled: 4-line block ×3, first 2 shown]
	v_wmma_f32_16x16x16_bf16 v[73:80], v[9:16], v[57:64], v[73:80]
	s_waitcnt lgkmcnt(6)
	s_delay_alu instid0(VALU_DEP_1)
	v_wmma_f32_16x16x16_bf16 v[73:80], v[9:16], v[99:106], v[73:80]
	ds_load_b128 v[13:16], v85 offset:12304
	ds_load_b128 v[9:12], v85 offset:12288
	s_waitcnt lgkmcnt(6)
	v_wmma_f32_16x16x16_bf16 v[73:80], v[1:8], v[49:56], v[73:80]
	ds_load_b128 v[53:56], v85 offset:13328
	ds_load_b128 v[49:52], v85 offset:13312
	s_waitcnt lgkmcnt(6)
	;; [unrolled: 4-line block ×4, first 2 shown]
	v_wmma_f32_16x16x16_bf16 v[73:80], v[33:40], v[9:16], v[73:80]
	s_waitcnt lgkmcnt(4)
	s_delay_alu instid0(VALU_DEP_1) | instskip(SKIP_1) | instid1(VALU_DEP_1)
	v_wmma_f32_16x16x16_bf16 v[73:80], v[25:32], v[49:56], v[73:80]
	s_waitcnt lgkmcnt(2)
	v_wmma_f32_16x16x16_bf16 v[73:80], v[25:32], v[1:8], v[73:80]
	s_waitcnt lgkmcnt(0)
	s_delay_alu instid0(VALU_DEP_1) | instskip(NEXT) | instid1(VALU_DEP_1)
	v_wmma_f32_16x16x16_bf16 v[73:80], v[17:24], v[41:48], v[73:80]
	v_and_b32_e32 v1, 0x7f800000, v73
	s_delay_alu instid0(VALU_DEP_1) | instskip(SKIP_1) | instid1(SALU_CYCLE_1)
	v_cmp_ne_u32_e32 vcc_lo, 0x7f800000, v1
                                        ; implicit-def: $vgpr1
	s_and_saveexec_b32 s3, vcc_lo
	s_xor_b32 s3, exec_lo, s3
; %bb.81:
	v_bfe_u32 v1, v73, 16, 1
	s_delay_alu instid0(VALU_DEP_1)
	v_add3_u32 v1, v73, v1, 0x7fff
; %bb.82:
	s_and_not1_saveexec_b32 s3, s3
; %bb.83:
	v_and_b32_e32 v1, 0xffff, v73
	v_or_b32_e32 v2, 0x10000, v73
	s_delay_alu instid0(VALU_DEP_2) | instskip(NEXT) | instid1(VALU_DEP_2)
	v_cmp_eq_u32_e32 vcc_lo, 0, v1
	v_cndmask_b32_e32 v1, v2, v73, vcc_lo
; %bb.84:
	s_or_b32 exec_lo, exec_lo, s3
	v_and_b32_e32 v2, 0x7f800000, v74
	s_delay_alu instid0(VALU_DEP_1) | instskip(SKIP_1) | instid1(SALU_CYCLE_1)
	v_cmp_ne_u32_e32 vcc_lo, 0x7f800000, v2
                                        ; implicit-def: $vgpr2
	s_and_saveexec_b32 s3, vcc_lo
	s_xor_b32 s3, exec_lo, s3
; %bb.85:
	v_bfe_u32 v2, v74, 16, 1
	s_delay_alu instid0(VALU_DEP_1)
	v_add3_u32 v2, v74, v2, 0x7fff
; %bb.86:
	s_and_not1_saveexec_b32 s3, s3
; %bb.87:
	v_and_b32_e32 v2, 0xffff, v74
	v_or_b32_e32 v3, 0x10000, v74
	s_delay_alu instid0(VALU_DEP_2) | instskip(NEXT) | instid1(VALU_DEP_2)
	v_cmp_eq_u32_e32 vcc_lo, 0, v2
	v_cndmask_b32_e32 v2, v3, v74, vcc_lo
; %bb.88:
	s_or_b32 exec_lo, exec_lo, s3
	v_and_b32_e32 v3, 0x7f800000, v75
	s_delay_alu instid0(VALU_DEP_1) | instskip(SKIP_1) | instid1(SALU_CYCLE_1)
	v_cmp_ne_u32_e32 vcc_lo, 0x7f800000, v3
                                        ; implicit-def: $vgpr3
	s_and_saveexec_b32 s3, vcc_lo
	s_xor_b32 s3, exec_lo, s3
; %bb.89:
	v_bfe_u32 v3, v75, 16, 1
	s_delay_alu instid0(VALU_DEP_1)
	v_add3_u32 v3, v75, v3, 0x7fff
; %bb.90:
	s_and_not1_saveexec_b32 s3, s3
; %bb.91:
	v_and_b32_e32 v3, 0xffff, v75
	v_or_b32_e32 v4, 0x10000, v75
	s_delay_alu instid0(VALU_DEP_2) | instskip(NEXT) | instid1(VALU_DEP_2)
	v_cmp_eq_u32_e32 vcc_lo, 0, v3
	v_cndmask_b32_e32 v3, v4, v75, vcc_lo
; %bb.92:
	s_or_b32 exec_lo, exec_lo, s3
	v_and_b32_e32 v4, 0x7f800000, v76
	s_delay_alu instid0(VALU_DEP_1) | instskip(SKIP_1) | instid1(SALU_CYCLE_1)
	v_cmp_ne_u32_e32 vcc_lo, 0x7f800000, v4
                                        ; implicit-def: $vgpr4
	s_and_saveexec_b32 s3, vcc_lo
	s_xor_b32 s3, exec_lo, s3
; %bb.93:
	v_bfe_u32 v4, v76, 16, 1
	s_delay_alu instid0(VALU_DEP_1)
	v_add3_u32 v4, v76, v4, 0x7fff
; %bb.94:
	s_and_not1_saveexec_b32 s3, s3
; %bb.95:
	v_and_b32_e32 v4, 0xffff, v76
	v_or_b32_e32 v5, 0x10000, v76
	s_delay_alu instid0(VALU_DEP_2) | instskip(NEXT) | instid1(VALU_DEP_2)
	v_cmp_eq_u32_e32 vcc_lo, 0, v4
	v_cndmask_b32_e32 v4, v5, v76, vcc_lo
; %bb.96:
	s_or_b32 exec_lo, exec_lo, s3
	v_and_b32_e32 v5, 0x7f800000, v77
	s_delay_alu instid0(VALU_DEP_1) | instskip(SKIP_1) | instid1(SALU_CYCLE_1)
	v_cmp_ne_u32_e32 vcc_lo, 0x7f800000, v5
                                        ; implicit-def: $vgpr5
	s_and_saveexec_b32 s3, vcc_lo
	s_xor_b32 s3, exec_lo, s3
; %bb.97:
	v_bfe_u32 v5, v77, 16, 1
	s_delay_alu instid0(VALU_DEP_1)
	v_add3_u32 v5, v77, v5, 0x7fff
; %bb.98:
	s_and_not1_saveexec_b32 s3, s3
; %bb.99:
	v_and_b32_e32 v5, 0xffff, v77
	v_or_b32_e32 v6, 0x10000, v77
	s_delay_alu instid0(VALU_DEP_2) | instskip(NEXT) | instid1(VALU_DEP_2)
	v_cmp_eq_u32_e32 vcc_lo, 0, v5
	v_cndmask_b32_e32 v5, v6, v77, vcc_lo
; %bb.100:
	s_or_b32 exec_lo, exec_lo, s3
	v_and_b32_e32 v6, 0x7f800000, v78
	s_delay_alu instid0(VALU_DEP_1) | instskip(SKIP_1) | instid1(SALU_CYCLE_1)
	v_cmp_ne_u32_e32 vcc_lo, 0x7f800000, v6
                                        ; implicit-def: $vgpr6
	s_and_saveexec_b32 s3, vcc_lo
	s_xor_b32 s3, exec_lo, s3
; %bb.101:
	v_bfe_u32 v6, v78, 16, 1
	s_delay_alu instid0(VALU_DEP_1)
	v_add3_u32 v6, v78, v6, 0x7fff
; %bb.102:
	s_and_not1_saveexec_b32 s3, s3
; %bb.103:
	v_and_b32_e32 v6, 0xffff, v78
	v_or_b32_e32 v7, 0x10000, v78
	s_delay_alu instid0(VALU_DEP_2) | instskip(NEXT) | instid1(VALU_DEP_2)
	v_cmp_eq_u32_e32 vcc_lo, 0, v6
	v_cndmask_b32_e32 v6, v7, v78, vcc_lo
; %bb.104:
	s_or_b32 exec_lo, exec_lo, s3
	v_and_b32_e32 v7, 0x7f800000, v79
	s_delay_alu instid0(VALU_DEP_1) | instskip(SKIP_1) | instid1(SALU_CYCLE_1)
	v_cmp_ne_u32_e32 vcc_lo, 0x7f800000, v7
                                        ; implicit-def: $vgpr7
	s_and_saveexec_b32 s3, vcc_lo
	s_xor_b32 s3, exec_lo, s3
; %bb.105:
	v_bfe_u32 v7, v79, 16, 1
	s_delay_alu instid0(VALU_DEP_1)
	v_add3_u32 v7, v79, v7, 0x7fff
; %bb.106:
	s_and_not1_saveexec_b32 s3, s3
; %bb.107:
	v_and_b32_e32 v7, 0xffff, v79
	v_or_b32_e32 v8, 0x10000, v79
	s_delay_alu instid0(VALU_DEP_2) | instskip(NEXT) | instid1(VALU_DEP_2)
	v_cmp_eq_u32_e32 vcc_lo, 0, v7
	v_cndmask_b32_e32 v7, v8, v79, vcc_lo
; %bb.108:
	s_or_b32 exec_lo, exec_lo, s3
	v_and_b32_e32 v8, 0x7f800000, v80
	s_delay_alu instid0(VALU_DEP_1) | instskip(SKIP_1) | instid1(SALU_CYCLE_1)
	v_cmp_ne_u32_e32 vcc_lo, 0x7f800000, v8
                                        ; implicit-def: $vgpr8
	s_and_saveexec_b32 s3, vcc_lo
	s_xor_b32 s3, exec_lo, s3
; %bb.109:
	v_bfe_u32 v8, v80, 16, 1
	s_delay_alu instid0(VALU_DEP_1)
	v_add3_u32 v8, v80, v8, 0x7fff
                                        ; implicit-def: $vgpr73_vgpr74_vgpr75_vgpr76_vgpr77_vgpr78_vgpr79_vgpr80
; %bb.110:
	s_and_not1_saveexec_b32 s3, s3
; %bb.111:
	v_and_b32_e32 v8, 0xffff, v80
	v_or_b32_e32 v9, 0x10000, v80
	s_delay_alu instid0(VALU_DEP_2) | instskip(NEXT) | instid1(VALU_DEP_2)
	v_cmp_eq_u32_e32 vcc_lo, 0, v8
	v_cndmask_b32_e32 v8, v9, v80, vcc_lo
; %bb.112:
	s_or_b32 exec_lo, exec_lo, s3
	s_delay_alu instid0(VALU_DEP_1)
	v_perm_b32 v7, v8, v7, 0x7060302
	v_perm_b32 v6, v6, v5, 0x7060302
	;; [unrolled: 1-line block ×4, first 2 shown]
	v_lshl_or_b32 v9, v83, 4, v90
	s_barrier
	buffer_gl0_inv
	v_cmp_eq_u32_e32 vcc_lo, 1, v87
	ds_store_b128 v9, v[4:7]
	s_waitcnt lgkmcnt(0)
	s_barrier
	buffer_gl0_inv
	ds_load_b128 v[1:4], v90
	ds_load_b128 v[5:8], v90 offset:16
	v_cmp_eq_u32_e64 s4, 2, v87
	v_cmp_eq_u32_e64 s3, 1, v88
	;; [unrolled: 1-line block ×5, first 2 shown]
	s_waitcnt lgkmcnt(1)
	v_lshrrev_b32_e32 v10, 16, v1
	s_waitcnt lgkmcnt(0)
	v_lshrrev_b32_e32 v14, 16, v5
	v_lshrrev_b32_e32 v15, 16, v6
	;; [unrolled: 1-line block ×4, first 2 shown]
	v_cndmask_b32_e64 v20, v1, v10, s3
	v_cndmask_b32_e32 v19, v5, v14, vcc_lo
	v_cndmask_b32_e64 v21, v5, v14, s3
	v_lshrrev_b32_e32 v16, 16, v7
	v_cmp_eq_u32_e64 s3, 1, v86
	v_lshrrev_b32_e32 v13, 16, v4
	v_cndmask_b32_e64 v19, v19, v6, s4
	v_lshrrev_b32_e32 v17, 16, v8
	s_delay_alu instid0(VALU_DEP_4) | instskip(SKIP_1) | instid1(VALU_DEP_4)
	v_cndmask_b32_e64 v22, v1, v10, s3
	v_cndmask_b32_e64 v23, v5, v14, s3
	v_cndmask_b32_e64 v19, v19, v15, s5
	v_cndmask_b32_e32 v18, v1, v10, vcc_lo
	v_cmp_eq_u32_e32 vcc_lo, 2, v88
	v_cmp_eq_u32_e64 s3, 2, v89
	v_cndmask_b32_e64 v22, v22, v2, s7
	v_cndmask_b32_e32 v20, v20, v2, vcc_lo
	v_cndmask_b32_e32 v21, v21, v6, vcc_lo
	v_cmp_eq_u32_e32 vcc_lo, 4, v87
	v_cndmask_b32_e32 v19, v19, v7, vcc_lo
	v_cndmask_b32_e64 v18, v18, v2, s4
	v_cmp_eq_u32_e64 s4, 3, v88
	s_delay_alu instid0(VALU_DEP_2) | instskip(NEXT) | instid1(VALU_DEP_2)
	v_cndmask_b32_e64 v18, v18, v11, s5
	v_cndmask_b32_e64 v21, v21, v15, s4
	v_cmp_eq_u32_e64 s5, 5, v87
	s_delay_alu instid0(VALU_DEP_3) | instskip(SKIP_1) | instid1(VALU_DEP_3)
	v_cndmask_b32_e32 v18, v18, v3, vcc_lo
	v_cmp_eq_u32_e32 vcc_lo, 4, v88
	v_cndmask_b32_e64 v19, v19, v16, s5
	s_delay_alu instid0(VALU_DEP_3) | instskip(SKIP_4) | instid1(VALU_DEP_3)
	v_cndmask_b32_e64 v18, v18, v12, s5
	v_cndmask_b32_e32 v21, v21, v7, vcc_lo
	v_cndmask_b32_e64 v20, v20, v11, s4
	v_cmp_eq_u32_e64 s4, 5, v88
	v_cmp_eq_u32_e64 s5, 6, v87
	v_cndmask_b32_e32 v20, v20, v3, vcc_lo
	s_delay_alu instid0(VALU_DEP_3) | instskip(SKIP_1) | instid1(VALU_DEP_4)
	v_cndmask_b32_e64 v21, v21, v16, s4
	v_cmp_eq_u32_e32 vcc_lo, 6, v88
	v_cndmask_b32_e64 v18, v18, v4, s5
	v_cndmask_b32_e64 v19, v19, v8, s5
	v_cndmask_b32_e64 v20, v20, v12, s4
	v_cmp_eq_u32_e64 s4, 1, v89
	v_cmp_eq_u32_e64 s5, 7, v87
	s_delay_alu instid0(VALU_DEP_3) | instskip(NEXT) | instid1(VALU_DEP_3)
	v_cndmask_b32_e32 v20, v20, v4, vcc_lo
	v_cndmask_b32_e64 v1, v1, v10, s4
	v_cndmask_b32_e64 v5, v5, v14, s4
	v_cmp_eq_u32_e64 s4, 3, v86
	v_cndmask_b32_e64 v14, v23, v6, s7
	v_cmp_eq_u32_e64 s7, 3, v89
	v_cndmask_b32_e64 v1, v1, v2, s3
	v_cndmask_b32_e64 v2, v5, v6, s3
	;; [unrolled: 1-line block ×3, first 2 shown]
	v_cmp_eq_u32_e64 s3, 4, v86
	v_cndmask_b32_e64 v6, v14, v15, s4
	v_cndmask_b32_e64 v1, v1, v11, s7
	v_cmp_eq_u32_e64 s4, 4, v89
	v_cndmask_b32_e64 v2, v2, v15, s7
	v_cndmask_b32_e64 v5, v10, v3, s3
	;; [unrolled: 3-line block ×3, first 2 shown]
	v_cndmask_b32_e64 v2, v2, v7, s4
	v_cmp_eq_u32_e64 s3, 5, v89
	v_cndmask_b32_e64 v5, v5, v12, s7
	v_cmp_eq_u32_e64 s4, 6, v86
	v_cndmask_b32_e64 v3, v6, v16, s7
	v_cmp_eq_u32_e64 s7, 6, v89
	v_cndmask_b32_e64 v1, v1, v12, s3
	v_cndmask_b32_e64 v2, v2, v16, s3
	;; [unrolled: 1-line block ×4, first 2 shown]
	v_cmp_eq_u32_e64 s3, 7, v89
	v_cndmask_b32_e64 v1, v1, v4, s7
	v_cndmask_b32_e64 v2, v2, v8, s7
	v_cmp_eq_u32_e64 s4, 7, v86
	v_cndmask_b32_e32 v4, v21, v8, vcc_lo
	v_cndmask_b32_e64 v18, v18, v13, s5
	v_cndmask_b32_e64 v20, v20, v13, s6
	v_cndmask_b32_e64 v1, v1, v13, s3
	v_cndmask_b32_e64 v5, v5, v13, s4
	v_cndmask_b32_e64 v2, v2, v17, s3
	v_cndmask_b32_e64 v3, v3, v17, s4
	v_cndmask_b32_e64 v6, v4, v17, s6
	v_cndmask_b32_e64 v7, v19, v17, s5
	v_cmp_gt_u32_e32 vcc_lo, 32, v0
	v_perm_b32 v4, v2, v1, 0x5040100
	v_perm_b32 v3, v3, v5, 0x5040100
	;; [unrolled: 1-line block ×4, first 2 shown]
	s_and_b32 s2, vcc_lo, s2
	ds_store_b128 v9, v[1:4]
	s_waitcnt lgkmcnt(0)
	s_barrier
	buffer_gl0_inv
	s_and_saveexec_b32 s3, s2
	s_cbranch_execz .LBB549_2
; %bb.113:
	s_load_b64 s[0:1], s[0:1], 0x68
	v_lshlrev_b32_e32 v0, 10, v0
	s_lshl_b32 s4, s34, 6
	v_or_b32_e32 v3, s31, v83
	s_mul_i32 s2, s4, s30
	v_lshlrev_b32_e32 v1, 4, v84
	s_mul_i32 s2, s2, s8
	v_lshlrev_b32_e32 v2, 6, v83
	v_and_b32_e32 v0, 0x3800, v0
	s_ashr_i32 s3, s2, 31
	v_mul_lo_u32 v4, v3, s4
	s_lshl_b64 s[2:3], s[2:3], 1
	s_delay_alu instid0(VALU_DEP_2) | instskip(NEXT) | instid1(VALU_DEP_2)
	v_or3_b32 v16, v0, v1, v2
	v_ashrrev_i32_e32 v5, 31, v4
	ds_load_b128 v[0:3], v16
	s_waitcnt lgkmcnt(0)
	s_add_u32 s2, s0, s2
	s_addc_u32 s3, s1, s3
	s_lshl_b32 s0, s14, 6
	v_lshlrev_b64 v[5:6], 1, v[4:5]
	s_ashr_i32 s1, s0, 31
	s_delay_alu instid0(SALU_CYCLE_1) | instskip(NEXT) | instid1(SALU_CYCLE_1)
	s_lshl_b64 s[0:1], s[0:1], 1
	s_add_u32 s0, s2, s0
	s_addc_u32 s1, s3, s1
	s_lshl_b32 s2, s34, 7
	v_add_co_u32 v30, vcc_lo, s0, v81
	v_add_nc_u32_e32 v8, s2, v4
	v_add_co_ci_u32_e32 v31, vcc_lo, s1, v82, vcc_lo
	s_delay_alu instid0(VALU_DEP_3) | instskip(NEXT) | instid1(VALU_DEP_3)
	v_add_co_u32 v12, vcc_lo, v30, v5
	v_add_nc_u32_e32 v10, s2, v8
	v_ashrrev_i32_e32 v9, 31, v8
	s_delay_alu instid0(VALU_DEP_4)
	v_add_co_ci_u32_e32 v13, vcc_lo, v31, v6, vcc_lo
	ds_load_b128 v[4:7], v16 offset:128
	v_ashrrev_i32_e32 v11, 31, v10
	v_lshlrev_b64 v[8:9], 1, v[8:9]
	v_add_nc_u32_e32 v14, s2, v10
	global_store_b128 v[12:13], v[0:3], off
	v_lshlrev_b64 v[0:1], 1, v[10:11]
	v_ashrrev_i32_e32 v15, 31, v14
	v_add_co_u32 v22, vcc_lo, v30, v8
	v_add_nc_u32_e32 v20, s2, v14
	v_add_co_ci_u32_e32 v23, vcc_lo, v31, v9, vcc_lo
	v_add_co_u32 v26, vcc_lo, v30, v0
	v_lshlrev_b64 v[24:25], 1, v[14:15]
	v_add_co_ci_u32_e32 v27, vcc_lo, v31, v1, vcc_lo
	ds_load_b128 v[0:3], v16 offset:256
	ds_load_b128 v[8:11], v16 offset:384
	ds_load_b128 v[12:15], v16 offset:512
	ds_load_b128 v[16:19], v16 offset:640
	v_add_nc_u32_e32 v28, s2, v20
	v_ashrrev_i32_e32 v21, 31, v20
	v_add_co_u32 v24, vcc_lo, v30, v24
	v_add_co_ci_u32_e32 v25, vcc_lo, v31, v25, vcc_lo
	s_delay_alu instid0(VALU_DEP_4) | instskip(NEXT) | instid1(VALU_DEP_4)
	v_ashrrev_i32_e32 v29, 31, v28
	v_lshlrev_b64 v[20:21], 1, v[20:21]
	s_delay_alu instid0(VALU_DEP_2) | instskip(NEXT) | instid1(VALU_DEP_2)
	v_lshlrev_b64 v[28:29], 1, v[28:29]
	v_add_co_u32 v20, vcc_lo, v30, v20
	s_delay_alu instid0(VALU_DEP_3) | instskip(NEXT) | instid1(VALU_DEP_3)
	v_add_co_ci_u32_e32 v21, vcc_lo, v31, v21, vcc_lo
	v_add_co_u32 v28, vcc_lo, v30, v28
	s_delay_alu instid0(VALU_DEP_4)
	v_add_co_ci_u32_e32 v29, vcc_lo, v31, v29, vcc_lo
	s_waitcnt lgkmcnt(4)
	global_store_b128 v[22:23], v[4:7], off
	s_waitcnt lgkmcnt(3)
	global_store_b128 v[26:27], v[0:3], off
	s_waitcnt lgkmcnt(2)
	global_store_b128 v[24:25], v[8:11], off
	s_waitcnt lgkmcnt(1)
	global_store_b128 v[20:21], v[12:15], off
	s_waitcnt lgkmcnt(0)
	global_store_b128 v[28:29], v[16:19], off
	s_nop 0
	s_sendmsg sendmsg(MSG_DEALLOC_VGPRS)
	s_endpgm
	.section	.rodata,"a",@progbits
	.p2align	6, 0x0
	.amdhsa_kernel _Z39paged_attention_ll4mi_QKV_mfma16_kernelI14__hip_bfloat16S0_LN4vllm18Fp8KVCacheDataTypeE0ES0_Li32ELi64ELi256ELb1ELi12EL8MFMAType0EEvPKT_PKT0_S9_ifPKiSB_SB_iPKfiiiPfSE_PS4_PT2_iSD_SD_
		.amdhsa_group_segment_fixed_size 17472
		.amdhsa_private_segment_fixed_size 0
		.amdhsa_kernarg_size 400
		.amdhsa_user_sgpr_count 13
		.amdhsa_user_sgpr_dispatch_ptr 0
		.amdhsa_user_sgpr_queue_ptr 0
		.amdhsa_user_sgpr_kernarg_segment_ptr 1
		.amdhsa_user_sgpr_dispatch_id 0
		.amdhsa_user_sgpr_private_segment_size 0
		.amdhsa_wavefront_size32 1
		.amdhsa_uses_dynamic_stack 0
		.amdhsa_enable_private_segment 0
		.amdhsa_system_sgpr_workgroup_id_x 1
		.amdhsa_system_sgpr_workgroup_id_y 1
		.amdhsa_system_sgpr_workgroup_id_z 1
		.amdhsa_system_sgpr_workgroup_info 0
		.amdhsa_system_vgpr_workitem_id 0
		.amdhsa_next_free_vgpr 142
		.amdhsa_next_free_sgpr 38
		.amdhsa_reserve_vcc 1
		.amdhsa_float_round_mode_32 0
		.amdhsa_float_round_mode_16_64 0
		.amdhsa_float_denorm_mode_32 3
		.amdhsa_float_denorm_mode_16_64 3
		.amdhsa_dx10_clamp 1
		.amdhsa_ieee_mode 1
		.amdhsa_fp16_overflow 0
		.amdhsa_workgroup_processor_mode 1
		.amdhsa_memory_ordered 1
		.amdhsa_forward_progress 0
		.amdhsa_shared_vgpr_count 0
		.amdhsa_exception_fp_ieee_invalid_op 0
		.amdhsa_exception_fp_denorm_src 0
		.amdhsa_exception_fp_ieee_div_zero 0
		.amdhsa_exception_fp_ieee_overflow 0
		.amdhsa_exception_fp_ieee_underflow 0
		.amdhsa_exception_fp_ieee_inexact 0
		.amdhsa_exception_int_div_zero 0
	.end_amdhsa_kernel
	.section	.text._Z39paged_attention_ll4mi_QKV_mfma16_kernelI14__hip_bfloat16S0_LN4vllm18Fp8KVCacheDataTypeE0ES0_Li32ELi64ELi256ELb1ELi12EL8MFMAType0EEvPKT_PKT0_S9_ifPKiSB_SB_iPKfiiiPfSE_PS4_PT2_iSD_SD_,"axG",@progbits,_Z39paged_attention_ll4mi_QKV_mfma16_kernelI14__hip_bfloat16S0_LN4vllm18Fp8KVCacheDataTypeE0ES0_Li32ELi64ELi256ELb1ELi12EL8MFMAType0EEvPKT_PKT0_S9_ifPKiSB_SB_iPKfiiiPfSE_PS4_PT2_iSD_SD_,comdat
.Lfunc_end549:
	.size	_Z39paged_attention_ll4mi_QKV_mfma16_kernelI14__hip_bfloat16S0_LN4vllm18Fp8KVCacheDataTypeE0ES0_Li32ELi64ELi256ELb1ELi12EL8MFMAType0EEvPKT_PKT0_S9_ifPKiSB_SB_iPKfiiiPfSE_PS4_PT2_iSD_SD_, .Lfunc_end549-_Z39paged_attention_ll4mi_QKV_mfma16_kernelI14__hip_bfloat16S0_LN4vllm18Fp8KVCacheDataTypeE0ES0_Li32ELi64ELi256ELb1ELi12EL8MFMAType0EEvPKT_PKT0_S9_ifPKiSB_SB_iPKfiiiPfSE_PS4_PT2_iSD_SD_
                                        ; -- End function
	.section	.AMDGPU.csdata,"",@progbits
; Kernel info:
; codeLenInByte = 9492
; NumSgprs: 40
; NumVgprs: 142
; ScratchSize: 0
; MemoryBound: 0
; FloatMode: 240
; IeeeMode: 1
; LDSByteSize: 17472 bytes/workgroup (compile time only)
; SGPRBlocks: 4
; VGPRBlocks: 17
; NumSGPRsForWavesPerEU: 40
; NumVGPRsForWavesPerEU: 142
; Occupancy: 10
; WaveLimiterHint : 1
; COMPUTE_PGM_RSRC2:SCRATCH_EN: 0
; COMPUTE_PGM_RSRC2:USER_SGPR: 13
; COMPUTE_PGM_RSRC2:TRAP_HANDLER: 0
; COMPUTE_PGM_RSRC2:TGID_X_EN: 1
; COMPUTE_PGM_RSRC2:TGID_Y_EN: 1
; COMPUTE_PGM_RSRC2:TGID_Z_EN: 1
; COMPUTE_PGM_RSRC2:TIDIG_COMP_CNT: 0
	.section	.text._Z39paged_attention_ll4mi_QKV_mfma16_kernelI14__hip_bfloat16S0_LN4vllm18Fp8KVCacheDataTypeE0ES0_Li32ELi64ELi256ELb1ELi13EL8MFMAType0EEvPKT_PKT0_S9_ifPKiSB_SB_iPKfiiiPfSE_PS4_PT2_iSD_SD_,"axG",@progbits,_Z39paged_attention_ll4mi_QKV_mfma16_kernelI14__hip_bfloat16S0_LN4vllm18Fp8KVCacheDataTypeE0ES0_Li32ELi64ELi256ELb1ELi13EL8MFMAType0EEvPKT_PKT0_S9_ifPKiSB_SB_iPKfiiiPfSE_PS4_PT2_iSD_SD_,comdat
	.protected	_Z39paged_attention_ll4mi_QKV_mfma16_kernelI14__hip_bfloat16S0_LN4vllm18Fp8KVCacheDataTypeE0ES0_Li32ELi64ELi256ELb1ELi13EL8MFMAType0EEvPKT_PKT0_S9_ifPKiSB_SB_iPKfiiiPfSE_PS4_PT2_iSD_SD_ ; -- Begin function _Z39paged_attention_ll4mi_QKV_mfma16_kernelI14__hip_bfloat16S0_LN4vllm18Fp8KVCacheDataTypeE0ES0_Li32ELi64ELi256ELb1ELi13EL8MFMAType0EEvPKT_PKT0_S9_ifPKiSB_SB_iPKfiiiPfSE_PS4_PT2_iSD_SD_
	.globl	_Z39paged_attention_ll4mi_QKV_mfma16_kernelI14__hip_bfloat16S0_LN4vllm18Fp8KVCacheDataTypeE0ES0_Li32ELi64ELi256ELb1ELi13EL8MFMAType0EEvPKT_PKT0_S9_ifPKiSB_SB_iPKfiiiPfSE_PS4_PT2_iSD_SD_
	.p2align	8
	.type	_Z39paged_attention_ll4mi_QKV_mfma16_kernelI14__hip_bfloat16S0_LN4vllm18Fp8KVCacheDataTypeE0ES0_Li32ELi64ELi256ELb1ELi13EL8MFMAType0EEvPKT_PKT0_S9_ifPKiSB_SB_iPKfiiiPfSE_PS4_PT2_iSD_SD_,@function
_Z39paged_attention_ll4mi_QKV_mfma16_kernelI14__hip_bfloat16S0_LN4vllm18Fp8KVCacheDataTypeE0ES0_Li32ELi64ELi256ELb1ELi13EL8MFMAType0EEvPKT_PKT0_S9_ifPKiSB_SB_iPKfiiiPfSE_PS4_PT2_iSD_SD_: ; @_Z39paged_attention_ll4mi_QKV_mfma16_kernelI14__hip_bfloat16S0_LN4vllm18Fp8KVCacheDataTypeE0ES0_Li32ELi64ELi256ELb1ELi13EL8MFMAType0EEvPKT_PKT0_S9_ifPKiSB_SB_iPKfiiiPfSE_PS4_PT2_iSD_SD_
; %bb.0:
	s_load_b64 s[2:3], s[0:1], 0x30
	s_mov_b32 s34, s13
	s_waitcnt lgkmcnt(0)
	s_cmp_lg_u64 s[2:3], 0
	s_cselect_b32 s6, -1, 0
	s_ashr_i32 s35, s13, 31
	s_cmp_eq_u64 s[2:3], 0
	s_cbranch_scc1 .LBB550_3
; %bb.1:
	s_lshl_b64 s[4:5], s[34:35], 2
	s_delay_alu instid0(SALU_CYCLE_1) | instskip(SKIP_4) | instid1(SALU_CYCLE_1)
	s_add_u32 s4, s2, s4
	s_addc_u32 s5, s3, s5
	s_load_b64 s[4:5], s[4:5], 0x0
	s_waitcnt lgkmcnt(0)
	s_sub_i32 s4, s5, s4
	s_cmp_eq_u32 s4, 1
	s_cselect_b32 s4, -1, 0
	s_delay_alu instid0(SALU_CYCLE_1)
	s_and_not1_b32 vcc_lo, exec_lo, s4
	s_cbranch_vccz .LBB550_4
.LBB550_2:
	s_nop 0
	s_sendmsg sendmsg(MSG_DEALLOC_VGPRS)
	s_endpgm
.LBB550_3:
.LBB550_4:
	s_load_b64 s[8:9], s[0:1], 0x28
	s_lshl_b64 s[4:5], s[34:35], 2
	s_waitcnt lgkmcnt(0)
	s_add_u32 s8, s8, s4
	s_addc_u32 s9, s9, s5
	s_lshl_b32 s16, s14, 8
	s_load_b32 s18, s[8:9], 0x0
	s_waitcnt lgkmcnt(0)
	s_cmp_ge_i32 s16, s18
	s_cbranch_scc1 .LBB550_2
; %bb.5:
	s_and_not1_b32 vcc_lo, exec_lo, s6
	s_cbranch_vccnz .LBB550_7
; %bb.6:
	s_add_u32 s2, s2, s4
	s_addc_u32 s3, s3, s5
	s_load_b32 s17, s[2:3], 0x0
	s_branch .LBB550_8
.LBB550_7:
	s_mov_b32 s17, s34
.LBB550_8:
	s_clause 0x2
	s_load_b128 s[8:11], s[0:1], 0x8
	s_load_b64 s[12:13], s[0:1], 0x20
	s_load_b128 s[4:7], s[0:1], 0x48
	v_lshrrev_b32_e32 v74, 5, v0
	v_bfe_u32 v83, v0, 4, 1
	v_and_b32_e32 v73, 15, v0
	s_delay_alu instid0(VALU_DEP_2) | instskip(NEXT) | instid1(VALU_DEP_2)
	v_lshl_or_b32 v3, v74, 1, v83
	v_cmp_lt_u32_e64 s3, 7, v73
	v_lshlrev_b32_e32 v1, 3, v73
	v_cmp_gt_u32_e64 s2, 8, v73
	s_delay_alu instid0(VALU_DEP_4) | instskip(NEXT) | instid1(VALU_DEP_4)
	v_cmp_lt_u32_e32 vcc_lo, 12, v3
	s_or_b32 s3, s3, vcc_lo
	s_waitcnt lgkmcnt(0)
	s_and_saveexec_b32 s7, s3
	s_delay_alu instid0(SALU_CYCLE_1)
	s_xor_b32 s3, exec_lo, s7
; %bb.9:
	v_mov_b32_e32 v2, 0
                                        ; implicit-def: $vgpr3
; %bb.10:
	s_or_saveexec_b32 s3, s3
	v_and_b32_e32 v75, 31, v0
	v_and_b32_e32 v84, 1, v0
	s_mul_i32 s31, s15, 13
	s_xor_b32 exec_lo, exec_lo, s3
	s_cbranch_execz .LBB550_12
; %bb.11:
	s_load_b64 s[20:21], s[0:1], 0x0
	v_add_lshl_u32 v4, v3, s31, 6
	s_mul_hi_i32 s23, s17, s4
	s_mul_i32 s22, s17, s4
	v_lshlrev_b32_e32 v2, 1, v1
	s_lshl_b64 s[22:23], s[22:23], 1
	v_ashrrev_i32_e32 v5, 31, v4
	v_lshlrev_b32_e32 v3, 6, v3
	v_lshlrev_b32_e32 v8, 10, v84
	s_delay_alu instid0(VALU_DEP_3) | instskip(SKIP_3) | instid1(VALU_DEP_1)
	v_lshlrev_b64 v[4:5], 1, v[4:5]
	s_waitcnt lgkmcnt(0)
	s_add_u32 s4, s20, s22
	s_addc_u32 s7, s21, s23
	v_add_co_u32 v4, vcc_lo, s4, v4
	s_delay_alu instid0(VALU_DEP_2) | instskip(NEXT) | instid1(VALU_DEP_2)
	v_add_co_ci_u32_e32 v5, vcc_lo, s7, v5, vcc_lo
	v_add_co_u32 v4, vcc_lo, v4, v2
	s_delay_alu instid0(VALU_DEP_2) | instskip(SKIP_3) | instid1(VALU_DEP_1)
	v_add_co_ci_u32_e32 v5, vcc_lo, 0, v5, vcc_lo
	v_lshlrev_b32_e32 v2, 10, v73
	global_load_b128 v[4:7], v[4:5], off
	v_and_b32_e32 v2, 0x3800, v2
	v_or3_b32 v3, v2, v8, v3
	v_mov_b32_e32 v2, 0
	s_waitcnt vmcnt(0)
	ds_store_b128 v3, v[4:7]
.LBB550_12:
	s_or_b32 exec_lo, exec_lo, s3
	v_and_b32_e32 v3, 0xef, v0
	s_add_i32 s3, s18, 31
	s_clause 0x1
	s_load_b32 s4, s[0:1], 0x38
	s_load_b32 s19, s[0:1], 0x1c
	s_ashr_i32 s7, s3, 31
	v_add_nc_u32_e32 v3, s16, v3
	s_lshr_b32 s7, s7, 27
	s_waitcnt lgkmcnt(0)
	s_add_i32 s3, s3, s7
	s_barrier
	v_ashrrev_i32_e32 v4, 31, v3
	v_cmp_gt_i32_e32 vcc_lo, s18, v3
	s_ashr_i32 s3, s3, 5
	buffer_gl0_inv
	s_add_i32 s3, s3, -1
	v_lshrrev_b32_e32 v5, 27, v4
	v_or_b32_e32 v4, 16, v3
	s_mul_i32 s6, s15, s6
	v_lshlrev_b64 v[81:82], 1, v[1:2]
	s_delay_alu instid0(VALU_DEP_3) | instskip(NEXT) | instid1(VALU_DEP_3)
	v_add_nc_u32_e32 v6, v3, v5
	v_add_nc_u32_e32 v5, v4, v5
	s_mul_i32 s20, s34, s4
	s_delay_alu instid0(SALU_CYCLE_1) | instskip(NEXT) | instid1(VALU_DEP_2)
	s_ashr_i32 s21, s20, 31
	v_ashrrev_i32_e32 v6, 5, v6
	s_delay_alu instid0(VALU_DEP_2) | instskip(SKIP_1) | instid1(SALU_CYCLE_1)
	v_ashrrev_i32_e32 v5, 5, v5
	s_lshl_b64 s[20:21], s[20:21], 2
	s_add_u32 s4, s12, s20
	s_delay_alu instid0(VALU_DEP_2) | instskip(SKIP_3) | instid1(SALU_CYCLE_1)
	v_cndmask_b32_e32 v3, s3, v6, vcc_lo
	v_cmp_gt_i32_e32 vcc_lo, s18, v4
	s_addc_u32 s17, s13, s21
	s_ashr_i32 s7, s6, 31
	s_lshl_b64 s[6:7], s[6:7], 1
	v_cndmask_b32_e32 v5, s3, v5, vcc_lo
	v_ashrrev_i32_e32 v4, 31, v3
	s_add_u32 s15, s8, s6
	s_addc_u32 s28, s9, s7
	s_lshl_b32 s8, s14, 3
	v_ashrrev_i32_e32 v6, 31, v5
	v_lshlrev_b64 v[3:4], 2, v[3:4]
	s_ashr_i32 s9, s8, 31
	s_delay_alu instid0(SALU_CYCLE_1) | instskip(NEXT) | instid1(VALU_DEP_2)
	s_lshl_b64 s[8:9], s[8:9], 2
	v_lshlrev_b64 v[5:6], 2, v[5:6]
	s_add_u32 s8, s4, s8
	s_delay_alu instid0(VALU_DEP_2) | instskip(SKIP_1) | instid1(VALU_DEP_3)
	v_add_co_u32 v3, vcc_lo, s4, v3
	v_add_co_ci_u32_e32 v4, vcc_lo, s17, v4, vcc_lo
	v_add_co_u32 v5, vcc_lo, s4, v5
	s_delay_alu instid0(VALU_DEP_4)
	v_add_co_ci_u32_e32 v6, vcc_lo, s17, v6, vcc_lo
	s_addc_u32 s9, s17, s9
	s_clause 0x1
	global_load_b32 v7, v[3:4], off
	global_load_b32 v8, v[5:6], off
	s_or_b32 s12, s16, 32
	s_delay_alu instid0(SALU_CYCLE_1) | instskip(SKIP_2) | instid1(SALU_CYCLE_1)
	s_ashr_i32 s13, s12, 5
	s_cmp_lt_i32 s12, s18
	s_cselect_b32 s12, s13, s3
	s_ashr_i32 s13, s12, 31
	s_delay_alu instid0(SALU_CYCLE_1) | instskip(NEXT) | instid1(SALU_CYCLE_1)
	s_lshl_b64 s[12:13], s[12:13], 2
	s_add_u32 s12, s4, s12
	s_addc_u32 s13, s17, s13
	s_or_b32 s20, s16, 64
	s_delay_alu instid0(SALU_CYCLE_1) | instskip(SKIP_2) | instid1(SALU_CYCLE_1)
	s_ashr_i32 s21, s20, 5
	s_cmp_lt_i32 s20, s18
	s_cselect_b32 s20, s21, s3
	s_ashr_i32 s21, s20, 31
	s_delay_alu instid0(SALU_CYCLE_1) | instskip(NEXT) | instid1(SALU_CYCLE_1)
	s_lshl_b64 s[20:21], s[20:21], 2
	s_add_u32 s20, s4, s20
	s_addc_u32 s21, s17, s21
	;; [unrolled: 10-line block ×5, first 2 shown]
	s_clause 0x5
	s_load_b32 s29, s[8:9], 0x0
	s_load_b32 s30, s[12:13], 0x0
	;; [unrolled: 1-line block ×6, first 2 shown]
	s_mov_b32 s20, 0
	s_or_b32 s8, s16, 0xc0
	s_mov_b32 s21, s20
	s_mov_b32 s22, s20
	;; [unrolled: 1-line block ×7, first 2 shown]
	s_ashr_i32 s9, s8, 5
	v_mov_b32_e32 v117, s27
	s_cmp_lt_i32 s8, s18
	v_mov_b32_e32 v116, s26
	s_cselect_b32 s8, s9, s3
	v_mov_b32_e32 v115, s25
	s_ashr_i32 s9, s8, 31
	v_dual_mov_b32 v114, s24 :: v_dual_mov_b32 v113, s23
	v_dual_mov_b32 v112, s22 :: v_dual_mov_b32 v111, s21
	s_lshl_b64 s[8:9], s[8:9], 2
	s_waitcnt lgkmcnt(0)
	s_mul_hi_i32 s13, s29, s5
	s_add_u32 s8, s4, s8
	s_addc_u32 s9, s17, s9
	s_mul_i32 s12, s29, s5
	s_mul_hi_i32 s37, s38, s5
	v_mov_b32_e32 v110, s20
	s_mul_hi_i32 s21, s30, s5
	s_mul_i32 s20, s30, s5
	s_mul_hi_i32 s25, s33, s5
	s_mul_i32 s24, s33, s5
	;; [unrolled: 2-line block ×3, first 2 shown]
	s_waitcnt vmcnt(1)
	v_mad_i64_i32 v[3:4], null, v7, s5, 0
	s_waitcnt vmcnt(0)
	v_mad_i64_i32 v[5:6], null, v8, s5, 0
	s_delay_alu instid0(VALU_DEP_2) | instskip(NEXT) | instid1(VALU_DEP_2)
	v_lshlrev_b64 v[3:4], 1, v[3:4]
	v_lshlrev_b64 v[1:2], 1, v[5:6]
	s_delay_alu instid0(VALU_DEP_2) | instskip(NEXT) | instid1(VALU_DEP_3)
	v_add_co_u32 v3, vcc_lo, s15, v3
	v_add_co_ci_u32_e32 v4, vcc_lo, s28, v4, vcc_lo
	s_delay_alu instid0(VALU_DEP_3) | instskip(NEXT) | instid1(VALU_DEP_4)
	v_add_co_u32 v1, vcc_lo, s15, v1
	v_add_co_ci_u32_e32 v2, vcc_lo, s28, v2, vcc_lo
	s_delay_alu instid0(VALU_DEP_4) | instskip(NEXT) | instid1(VALU_DEP_4)
	v_add_co_u32 v41, vcc_lo, v3, v81
	v_add_co_ci_u32_e32 v42, vcc_lo, v4, v82, vcc_lo
	s_delay_alu instid0(VALU_DEP_4) | instskip(NEXT) | instid1(VALU_DEP_4)
	v_add_co_u32 v43, vcc_lo, v1, v81
	v_add_co_ci_u32_e32 v44, vcc_lo, v2, v82, vcc_lo
	s_clause 0xf
	global_load_b128 v[1:4], v[41:42], off
	global_load_b128 v[5:8], v[41:42], off offset:512
	global_load_b128 v[9:12], v[43:44], off offset:256
	;; [unrolled: 1-line block ×15, first 2 shown]
	v_add_nc_u32_e32 v41, -13, v73
	v_cmp_gt_u32_e32 vcc_lo, 13, v73
	s_or_b32 s15, s16, 0xe0
	s_delay_alu instid0(SALU_CYCLE_1) | instskip(SKIP_3) | instid1(SALU_CYCLE_1)
	s_ashr_i32 s22, s15, 5
	s_cmp_lt_i32 s15, s18
	v_cndmask_b32_e32 v41, v41, v73, vcc_lo
	s_cselect_b32 s22, s22, s3
	s_ashr_i32 s23, s22, 31
	s_delay_alu instid0(VALU_DEP_1)
	v_lshlrev_b32_e32 v57, 6, v41
	ds_load_b128 v[41:44], v57
	ds_load_b128 v[45:48], v57 offset:1024
	ds_load_b128 v[49:52], v57 offset:2048
	;; [unrolled: 1-line block ×7, first 2 shown]
	s_lshl_b64 s[22:23], s[22:23], 2
	s_delay_alu instid0(SALU_CYCLE_1) | instskip(SKIP_2) | instid1(SALU_CYCLE_1)
	s_add_u32 s22, s4, s22
	s_addc_u32 s23, s17, s23
	s_add_i32 s15, s16, 0x100
	s_ashr_i32 s28, s15, 5
	s_cmp_lt_i32 s15, s18
	s_load_b32 s15, s[8:9], 0x0
	s_cselect_b32 s28, s28, s3
	s_mul_hi_i32 s9, s36, s5
	s_ashr_i32 s29, s28, 31
	s_mul_i32 s8, s36, s5
	s_lshl_b64 s[28:29], s[28:29], 2
	s_mul_i32 s36, s38, s5
	s_add_u32 s28, s4, s28
	s_addc_u32 s29, s17, s29
	s_add_u32 s3, s10, s6
	s_clause 0x1
	s_load_b32 s4, s[22:23], 0x0
	s_load_b32 s17, s[28:29], 0x0
	s_addc_u32 s28, s11, s7
	s_lshl_b64 s[6:7], s[12:13], 1
	s_lshl_b64 s[10:11], s[20:21], 1
	;; [unrolled: 1-line block ×6, first 2 shown]
	s_waitcnt lgkmcnt(0)
	s_mul_hi_i32 s25, s15, s5
	s_mul_i32 s24, s15, s5
	s_waitcnt vmcnt(14)
	v_wmma_f32_16x16x16_bf16 v[134:141], v[1:8], v[41:48], v[110:117]
	s_waitcnt vmcnt(10)
	s_delay_alu instid0(VALU_DEP_1) | instskip(SKIP_1) | instid1(VALU_DEP_1)
	v_wmma_f32_16x16x16_bf16 v[134:141], v[17:24], v[49:56], v[134:141]
	s_waitcnt vmcnt(6)
	v_wmma_f32_16x16x16_bf16 v[134:141], v[33:40], v[118:125], v[134:141]
	s_waitcnt vmcnt(2)
	s_delay_alu instid0(VALU_DEP_1) | instskip(SKIP_1) | instid1(VALU_DEP_2)
	v_wmma_f32_16x16x16_bf16 v[134:141], v[94:101], v[126:133], v[134:141]
	v_lshlrev_b32_e32 v85, 6, v73
	v_mul_f32_e32 v100, s19, v141
	s_delay_alu instid0(VALU_DEP_2) | instskip(SKIP_2) | instid1(VALU_DEP_3)
	v_lshl_or_b32 v58, v74, 10, v85
	v_wmma_f32_16x16x16_bf16 v[110:117], v[9:16], v[41:48], v[110:117]
	v_mul_f32_e32 v99, s19, v135
	v_add_co_u32 v76, s3, s3, v58
	s_delay_alu instid0(VALU_DEP_1) | instskip(NEXT) | instid1(VALU_DEP_4)
	v_add_co_ci_u32_e64 v77, null, s28, 0, s3
	v_wmma_f32_16x16x16_bf16 v[110:117], v[25:32], v[49:56], v[110:117]
	s_delay_alu instid0(VALU_DEP_3) | instskip(NEXT) | instid1(VALU_DEP_3)
	v_add_co_u32 v57, vcc_lo, v76, s6
	v_add_co_ci_u32_e32 v58, vcc_lo, s7, v77, vcc_lo
	v_add_co_u32 v1, vcc_lo, v76, s10
	v_add_co_ci_u32_e32 v2, vcc_lo, s11, v77, vcc_lo
	;; [unrolled: 2-line block ×5, first 2 shown]
	s_clause 0x9
	global_load_b128 v[65:68], v[57:58], off
	global_load_b128 v[69:72], v[57:58], off offset:16
	global_load_b128 v[57:60], v[1:2], off
	global_load_b128 v[61:64], v[1:2], off offset:16
	;; [unrolled: 2-line block ×5, first 2 shown]
	v_add_co_u32 v5, vcc_lo, v76, s22
	s_lshl_b64 s[6:7], s[24:25], 1
	v_add_co_ci_u32_e32 v6, vcc_lo, s23, v77, vcc_lo
	s_mul_hi_i32 s9, s4, s5
	s_mul_i32 s8, s4, s5
	v_add_co_u32 v17, vcc_lo, v76, s6
	v_add_co_ci_u32_e32 v18, vcc_lo, s7, v77, vcc_lo
	s_lshl_b64 s[6:7], s[8:9], 1
	s_mul_hi_i32 s9, s17, s5
	s_mul_i32 s8, s17, s5
	v_add_co_u32 v19, vcc_lo, v76, s6
	s_lshl_b64 s[4:5], s[8:9], 1
	v_add_co_ci_u32_e32 v20, vcc_lo, s7, v77, vcc_lo
	v_add_co_u32 v21, vcc_lo, v76, s4
	v_add_co_ci_u32_e32 v22, vcc_lo, s5, v77, vcc_lo
	s_clause 0x7
	global_load_b128 v[1:4], v[5:6], off
	global_load_b128 v[5:8], v[5:6], off offset:16
	global_load_b128 v[33:36], v[17:18], off
	global_load_b128 v[37:40], v[17:18], off offset:16
	;; [unrolled: 2-line block ×4, first 2 shown]
	v_and_b32_e32 v76, 0xe0, v0
	v_mbcnt_lo_u32_b32 v77, -1, 0
	v_wmma_f32_16x16x16_bf16 v[110:117], v[86:93], v[118:125], v[110:117]
	s_waitcnt vmcnt(0)
	s_barrier
	v_add_nc_u32_e32 v76, s16, v76
	v_xor_b32_e32 v78, 16, v77
	v_wmma_f32_16x16x16_bf16 v[110:117], v[102:109], v[126:133], v[110:117]
	v_mul_f32_e32 v97, s19, v134
	buffer_gl0_inv
	v_or_b32_e32 v76, v76, v83
	v_cmp_gt_i32_e32 vcc_lo, 32, v78
	s_delay_alu instid0(VALU_DEP_2)
	v_or_b32_e32 v79, 4, v76
	v_cndmask_b32_e32 v77, v77, v78, vcc_lo
	v_or_b32_e32 v78, 2, v76
	v_or_b32_e32 v80, 6, v76
	v_cmp_gt_i32_e32 vcc_lo, s18, v76
	v_or_b32_e32 v86, 8, v76
	v_or_b32_e32 v87, 10, v76
	v_cmp_gt_i32_e64 s3, s18, v78
	v_or_b32_e32 v88, 12, v76
	v_or_b32_e32 v89, 14, v76
	;; [unrolled: 1-line block ×10, first 2 shown]
	v_cndmask_b32_e32 v76, 0xff7fffff, v97, vcc_lo
	v_cndmask_b32_e64 v78, 0xff7fffff, v99, s3
	v_mul_f32_e32 v99, s19, v137
	v_cmp_gt_i32_e64 s4, s18, v80
	v_mul_f32_e32 v80, s19, v136
	v_cmp_gt_i32_e64 s5, s18, v79
	v_max3_f32 v76, v76, 0xff7fffff, v78
	v_dual_mul_f32 v78, s19, v138 :: v_dual_mul_f32 v79, s19, v139
	v_cndmask_b32_e64 v99, 0xff7fffff, v99, s4
	s_delay_alu instid0(VALU_DEP_4)
	v_cndmask_b32_e64 v80, 0xff7fffff, v80, s5
	v_cmp_gt_i32_e64 s6, s18, v86
	v_cmp_gt_i32_e64 s7, s18, v87
	v_mul_f32_e32 v97, s19, v140
	v_cmp_gt_i32_e64 s8, s18, v89
	v_max3_f32 v76, v76, v80, v99
	v_cndmask_b32_e64 v78, 0xff7fffff, v78, s6
	v_cndmask_b32_e64 v79, 0xff7fffff, v79, s7
	v_cmp_gt_i32_e64 s9, s18, v88
	v_dual_mul_f32 v88, s19, v111 :: v_dual_mul_f32 v89, s19, v110
	v_cndmask_b32_e64 v100, 0xff7fffff, v100, s8
	s_delay_alu instid0(VALU_DEP_4) | instskip(NEXT) | instid1(VALU_DEP_4)
	v_max3_f32 v76, v76, v78, v79
	v_cndmask_b32_e64 v97, 0xff7fffff, v97, s9
	v_cmp_gt_i32_e64 s10, s18, v90
	v_cmp_gt_i32_e64 s11, s18, v91
	v_dual_mul_f32 v78, s19, v113 :: v_dual_mul_f32 v79, s19, v112
	s_delay_alu instid0(VALU_DEP_4) | instskip(NEXT) | instid1(VALU_DEP_4)
	v_max3_f32 v76, v76, v97, v100
	v_cndmask_b32_e64 v89, 0xff7fffff, v89, s10
	s_delay_alu instid0(VALU_DEP_4)
	v_cndmask_b32_e64 v88, 0xff7fffff, v88, s11
	v_cmp_gt_i32_e64 s12, s18, v92
	v_cmp_gt_i32_e64 s13, s18, v93
	v_mul_f32_e32 v87, s19, v115
	v_mul_f32_e32 v99, s19, v114
	v_max3_f32 v76, v76, v89, v88
	v_cndmask_b32_e64 v79, 0xff7fffff, v79, s12
	v_cndmask_b32_e64 v78, 0xff7fffff, v78, s13
	v_cmp_gt_i32_e64 s15, s18, v94
	v_cmp_gt_i32_e64 s16, s18, v95
	v_mul_f32_e32 v80, s19, v117
	v_mul_f32_e32 v86, s19, v116
	v_max3_f32 v76, v76, v79, v78
	v_cndmask_b32_e64 v88, 0xff7fffff, v99, s15
	v_cndmask_b32_e64 v87, 0xff7fffff, v87, s16
	v_cmp_gt_i32_e64 s17, s18, v96
	v_cmp_gt_i32_e64 s18, s18, v98
	v_lshlrev_b32_e32 v99, 2, v77
	s_delay_alu instid0(VALU_DEP_4) | instskip(NEXT) | instid1(VALU_DEP_4)
	v_max3_f32 v76, v76, v88, v87
	v_cndmask_b32_e64 v78, 0xff7fffff, v86, s17
	s_delay_alu instid0(VALU_DEP_4) | instskip(NEXT) | instid1(VALU_DEP_1)
	v_cndmask_b32_e64 v79, 0xff7fffff, v80, s18
	v_max3_f32 v76, v76, v78, v79
	ds_bpermute_b32 v77, v99, v76
	s_waitcnt lgkmcnt(0)
	v_max_f32_e32 v77, v77, v77
	s_delay_alu instid0(VALU_DEP_1) | instskip(NEXT) | instid1(VALU_DEP_1)
	v_max_f32_e32 v76, v76, v77
	v_fma_f32 v77, s19, v134, -v76
	v_fma_f32 v78, s19, v135, -v76
	;; [unrolled: 1-line block ×5, first 2 shown]
	s_delay_alu instid0(VALU_DEP_4) | instskip(SKIP_1) | instid1(VALU_DEP_4)
	v_dual_mul_f32 v77, 0x3fb8aa3b, v77 :: v_dual_mul_f32 v78, 0x3fb8aa3b, v78
	v_fma_f32 v88, s19, v114, -v76
	v_dual_mul_f32 v79, 0x3fb8aa3b, v79 :: v_dual_mul_f32 v80, 0x3fb8aa3b, v80
	s_delay_alu instid0(VALU_DEP_3) | instskip(NEXT) | instid1(VALU_DEP_3)
	v_exp_f32_e32 v77, v77
	v_exp_f32_e32 v78, v78
	s_delay_alu instid0(VALU_DEP_2) | instskip(NEXT) | instid1(VALU_DEP_2)
	v_mul_f32_e32 v88, 0x3fb8aa3b, v88
	v_exp_f32_e32 v79, v79
	v_mul_f32_e32 v86, 0x3fb8aa3b, v86
	v_exp_f32_e32 v80, v80
	v_fma_f32 v87, s19, v140, -v76
	v_fma_f32 v100, s19, v117, -v76
	;; [unrolled: 1-line block ×3, first 2 shown]
	v_exp_f32_e32 v86, v86
	v_cndmask_b32_e32 v92, 0, v77, vcc_lo
	v_fma_f32 v77, s19, v139, -v76
	v_cndmask_b32_e64 v91, 0, v78, s3
	v_cndmask_b32_e64 v93, 0, v79, s5
	v_fma_f32 v79, s19, v141, -v76
	s_delay_alu instid0(VALU_DEP_4) | instskip(SKIP_2) | instid1(TRANS32_DEP_1)
	v_dual_add_f32 v78, 0, v92 :: v_dual_mul_f32 v77, 0x3fb8aa3b, v77
	v_cndmask_b32_e64 v95, 0, v80, s4
	v_mul_f32_e32 v87, 0x3fb8aa3b, v87
	v_cndmask_b32_e64 v96, 0, v86, s6
	s_delay_alu instid0(VALU_DEP_4)
	v_add_f32_e32 v78, v78, v91
	v_exp_f32_e32 v77, v77
	v_fma_f32 v86, s19, v111, -v76
	v_fma_f32 v80, s19, v110, -v76
	v_exp_f32_e32 v87, v87
	v_add_f32_e32 v78, v78, v93
	v_mul_f32_e32 v100, 0x3fb8aa3b, v100
	v_mul_f32_e32 v86, 0x3fb8aa3b, v86
	;; [unrolled: 1-line block ×3, first 2 shown]
	v_exp_f32_e32 v88, v88
	v_add_f32_e32 v78, v78, v95
	v_cndmask_b32_e64 v97, 0, v77, s7
	v_exp_f32_e32 v86, v86
	v_exp_f32_e32 v80, v80
	v_cndmask_b32_e64 v94, 0, v87, s9
	v_add_f32_e32 v77, v78, v96
	v_fma_f32 v78, s19, v112, -v76
	v_fma_f32 v87, s19, v113, -v76
	v_exp_f32_e32 v100, v100
	v_cmp_gt_u32_e64 s3, 16, v75
	s_delay_alu instid0(VALU_DEP_3) | instskip(NEXT) | instid1(VALU_DEP_3)
	v_dual_add_f32 v77, v77, v97 :: v_dual_mul_f32 v78, 0x3fb8aa3b, v78
	v_mul_f32_e32 v87, 0x3fb8aa3b, v87
	s_delay_alu instid0(VALU_DEP_2) | instskip(SKIP_2) | instid1(VALU_DEP_3)
	v_exp_f32_e32 v89, v78
	v_cndmask_b32_e64 v78, 0, v86, s11
	v_mul_f32_e32 v79, 0x3fb8aa3b, v79
	v_exp_f32_e32 v87, v87
	s_delay_alu instid0(VALU_DEP_1)
	v_exp_f32_e32 v79, v79
	s_waitcnt_depctr 0xfff
	v_cndmask_b32_e64 v98, 0, v79, s8
	v_add_f32_e32 v79, v77, v94
	v_cndmask_b32_e64 v77, 0, v80, s10
	v_fma_f32 v80, s19, v115, -v76
	s_delay_alu instid0(VALU_DEP_1) | instskip(NEXT) | instid1(VALU_DEP_1)
	v_dual_add_f32 v79, v79, v98 :: v_dual_mul_f32 v80, 0x3fb8aa3b, v80
	v_add_f32_e32 v86, v79, v77
	v_cndmask_b32_e64 v79, 0, v89, s12
	v_mul_f32_e32 v89, 0x3fb8aa3b, v90
	s_delay_alu instid0(VALU_DEP_4) | instskip(SKIP_2) | instid1(VALU_DEP_3)
	v_exp_f32_e32 v90, v80
	v_cndmask_b32_e64 v80, 0, v87, s13
	v_add_f32_e32 v86, v86, v78
	v_exp_f32_e32 v89, v89
	s_delay_alu instid0(VALU_DEP_1) | instskip(SKIP_1) | instid1(VALU_DEP_2)
	v_add_f32_e32 v87, v86, v79
	v_cndmask_b32_e64 v86, 0, v88, s15
	v_add_f32_e32 v88, v87, v80
	s_delay_alu instid0(TRANS32_DEP_2) | instskip(NEXT) | instid1(VALU_DEP_2)
	v_cndmask_b32_e64 v87, 0, v90, s16
	v_add_f32_e32 v90, v88, v86
	s_waitcnt_depctr 0xfff
	v_cndmask_b32_e64 v88, 0, v89, s17
	v_add_f32_e32 v89, v90, v87
	s_delay_alu instid0(VALU_DEP_1) | instskip(SKIP_1) | instid1(VALU_DEP_1)
	v_add_f32_e32 v90, v89, v88
	v_cndmask_b32_e64 v89, 0, v100, s18
	v_add_f32_e32 v90, v90, v89
	ds_bpermute_b32 v99, v99, v90
	s_and_saveexec_b32 s4, s3
	s_cbranch_execz .LBB550_14
; %bb.13:
	v_mul_u32_u24_e32 v75, 0x44, v74
	s_waitcnt lgkmcnt(0)
	v_add_f32_e32 v90, v90, v99
	s_delay_alu instid0(VALU_DEP_2) | instskip(NEXT) | instid1(VALU_DEP_1)
	v_lshl_add_u32 v75, v73, 2, v75
	v_add_nc_u32_e32 v75, 0x4000, v75
	ds_store_2addr_b32 v75, v76, v90 offset1:136
.LBB550_14:
	s_or_b32 exec_lo, exec_lo, s4
	v_lshlrev_b32_e32 v75, 2, v73
	s_waitcnt lgkmcnt(0)
	s_barrier
	buffer_gl0_inv
	v_cmp_eq_u32_e64 s4, 1, v74
	v_add_nc_u32_e32 v90, 0x4000, v75
	ds_load_2addr_b32 v[99:100], v90 offset1:17
	ds_load_2addr_b32 v[101:102], v90 offset0:34 offset1:51
	ds_load_2addr_b32 v[103:104], v90 offset0:68 offset1:85
	;; [unrolled: 1-line block ×4, first 2 shown]
	s_waitcnt lgkmcnt(4)
	v_max3_f32 v75, v99, 0xff7fffff, v100
	s_waitcnt lgkmcnt(3)
	s_delay_alu instid0(VALU_DEP_1) | instskip(SKIP_1) | instid1(VALU_DEP_1)
	v_max3_f32 v75, v75, v101, v102
	s_waitcnt lgkmcnt(2)
	v_max3_f32 v75, v75, v103, v104
	s_waitcnt lgkmcnt(1)
	s_delay_alu instid0(VALU_DEP_1) | instskip(NEXT) | instid1(VALU_DEP_1)
	v_max3_f32 v75, v75, v105, v106
	v_sub_f32_e32 v109, v100, v75
	v_sub_f32_e32 v76, v99, v75
	ds_load_2addr_b32 v[99:100], v90 offset0:170 offset1:187
	v_sub_f32_e32 v101, v101, v75
	v_dual_mul_f32 v109, 0x3fb8aa3b, v109 :: v_dual_mul_f32 v76, 0x3fb8aa3b, v76
	s_delay_alu instid0(VALU_DEP_2) | instskip(NEXT) | instid1(VALU_DEP_2)
	v_mul_f32_e32 v111, 0x3fb8aa3b, v101
	v_exp_f32_e32 v109, v109
	s_delay_alu instid0(VALU_DEP_2)
	v_exp_f32_e32 v110, v76
	v_sub_f32_e32 v76, v102, v75
	ds_load_2addr_b32 v[101:102], v90 offset0:204 offset1:221
	v_exp_f32_e32 v111, v111
	v_mul_f32_e32 v112, 0x3fb8aa3b, v76
	s_waitcnt lgkmcnt(2)
	v_fma_f32 v76, v110, v107, 0
	v_sub_f32_e32 v103, v103, v75
	s_delay_alu instid0(VALU_DEP_3) | instskip(NEXT) | instid1(VALU_DEP_2)
	v_exp_f32_e32 v112, v112
	v_dual_sub_f32 v107, v104, v75 :: v_dual_fmac_f32 v76, v109, v108
	s_waitcnt lgkmcnt(1)
	s_waitcnt_depctr 0xfff
	v_fmac_f32_e32 v76, v111, v99
	v_mul_f32_e32 v113, 0x3fb8aa3b, v103
	ds_load_2addr_b32 v[103:104], v90 offset0:238 offset1:255
	v_sub_f32_e32 v90, v105, v75
	v_dual_sub_f32 v99, v106, v75 :: v_dual_fmac_f32 v76, v112, v100
	v_mul_f32_e32 v105, 0x3fb8aa3b, v107
	v_exp_f32_e32 v107, v113
	s_delay_alu instid0(VALU_DEP_2)
	v_dual_mul_f32 v90, 0x3fb8aa3b, v90 :: v_dual_mul_f32 v99, 0x3fb8aa3b, v99
	s_waitcnt lgkmcnt(0)
	s_barrier
	buffer_gl0_inv
	v_exp_f32_e32 v90, v90
	v_exp_f32_e32 v99, v99
	v_fmac_f32_e32 v76, v107, v101
	v_exp_f32_e32 v105, v105
	s_waitcnt_depctr 0xfff
	v_fmac_f32_e32 v76, v105, v102
	s_delay_alu instid0(VALU_DEP_1) | instskip(NEXT) | instid1(VALU_DEP_1)
	v_fmac_f32_e32 v76, v90, v103
	v_fmac_f32_e32 v76, v99, v104
	s_delay_alu instid0(VALU_DEP_1) | instskip(NEXT) | instid1(VALU_DEP_1)
	v_add_f32_e32 v100, 0x358637bd, v76
	v_div_scale_f32 v101, null, v100, v100, 1.0
	v_div_scale_f32 v104, vcc_lo, 1.0, v100, 1.0
	s_delay_alu instid0(VALU_DEP_2) | instskip(SKIP_2) | instid1(VALU_DEP_1)
	v_rcp_f32_e32 v102, v101
	s_waitcnt_depctr 0xfff
	v_fma_f32 v103, -v101, v102, 1.0
	v_fmac_f32_e32 v102, v103, v102
	v_cndmask_b32_e64 v103, v110, v109, s4
	v_cmp_eq_u32_e64 s4, 2, v74
	s_delay_alu instid0(VALU_DEP_3) | instskip(NEXT) | instid1(VALU_DEP_2)
	v_mul_f32_e32 v106, v104, v102
	v_cndmask_b32_e64 v103, v103, v111, s4
	v_cmp_eq_u32_e64 s4, 3, v74
	s_delay_alu instid0(VALU_DEP_3) | instskip(NEXT) | instid1(VALU_DEP_2)
	v_fma_f32 v108, -v101, v106, v104
	v_cndmask_b32_e64 v103, v103, v112, s4
	v_cmp_eq_u32_e64 s4, 4, v74
	s_delay_alu instid0(VALU_DEP_3) | instskip(NEXT) | instid1(VALU_DEP_2)
	v_fmac_f32_e32 v106, v108, v102
	v_cndmask_b32_e64 v103, v103, v107, s4
	s_delay_alu instid0(VALU_DEP_2) | instskip(SKIP_1) | instid1(VALU_DEP_2)
	v_fma_f32 v101, -v101, v106, v104
	v_cmp_eq_u32_e64 s4, 5, v74
	v_div_fmas_f32 v101, v101, v102, v106
	s_delay_alu instid0(VALU_DEP_2) | instskip(SKIP_2) | instid1(VALU_DEP_3)
	v_cndmask_b32_e64 v103, v103, v105, s4
	v_cmp_eq_u32_e32 vcc_lo, 6, v74
	s_mov_b32 s4, exec_lo
	v_div_fixup_f32 v100, v101, v100, 1.0
	s_delay_alu instid0(VALU_DEP_3) | instskip(SKIP_1) | instid1(VALU_DEP_2)
	v_cndmask_b32_e32 v90, v103, v90, vcc_lo
	v_cmp_eq_u32_e32 vcc_lo, 7, v74
	v_cndmask_b32_e32 v90, v90, v99, vcc_lo
	s_delay_alu instid0(VALU_DEP_1) | instskip(NEXT) | instid1(VALU_DEP_1)
	v_mul_f32_e32 v90, v90, v100
	v_mul_f32_e32 v100, v90, v92
	;; [unrolled: 1-line block ×6, first 2 shown]
	v_and_b32_e32 v101, 0x7f800000, v100
	v_mul_f32_e32 v99, v90, v95
	v_mul_f32_e32 v95, v90, v91
	;; [unrolled: 1-line block ×3, first 2 shown]
                                        ; implicit-def: $vgpr91
	s_delay_alu instid0(VALU_DEP_4)
	v_cmpx_ne_u32_e32 0x7f800000, v101
	s_xor_b32 s4, exec_lo, s4
; %bb.15:
	v_bfe_u32 v91, v100, 16, 1
	s_delay_alu instid0(VALU_DEP_1)
	v_add3_u32 v91, v100, v91, 0x7fff
                                        ; implicit-def: $vgpr100
; %bb.16:
	s_and_not1_saveexec_b32 s4, s4
; %bb.17:
	v_and_b32_e32 v91, 0xffff, v100
	v_or_b32_e32 v93, 0x10000, v100
	s_delay_alu instid0(VALU_DEP_2) | instskip(NEXT) | instid1(VALU_DEP_2)
	v_cmp_eq_u32_e32 vcc_lo, 0, v91
	v_cndmask_b32_e32 v91, v93, v100, vcc_lo
; %bb.18:
	s_or_b32 exec_lo, exec_lo, s4
	v_and_b32_e32 v93, 0x7f800000, v95
	s_delay_alu instid0(VALU_DEP_1) | instskip(SKIP_1) | instid1(SALU_CYCLE_1)
	v_cmp_ne_u32_e32 vcc_lo, 0x7f800000, v93
                                        ; implicit-def: $vgpr93
	s_and_saveexec_b32 s4, vcc_lo
	s_xor_b32 s4, exec_lo, s4
; %bb.19:
	v_bfe_u32 v93, v95, 16, 1
	s_delay_alu instid0(VALU_DEP_1)
	v_add3_u32 v93, v95, v93, 0x7fff
                                        ; implicit-def: $vgpr95
; %bb.20:
	s_and_not1_saveexec_b32 s4, s4
; %bb.21:
	v_and_b32_e32 v93, 0xffff, v95
	v_or_b32_e32 v100, 0x10000, v95
	s_delay_alu instid0(VALU_DEP_2) | instskip(NEXT) | instid1(VALU_DEP_2)
	v_cmp_eq_u32_e32 vcc_lo, 0, v93
	v_cndmask_b32_e32 v93, v100, v95, vcc_lo
; %bb.22:
	s_or_b32 exec_lo, exec_lo, s4
	v_and_b32_e32 v95, 0x7f800000, v96
	s_delay_alu instid0(VALU_DEP_1) | instskip(SKIP_1) | instid1(SALU_CYCLE_1)
	v_cmp_ne_u32_e32 vcc_lo, 0x7f800000, v95
                                        ; implicit-def: $vgpr95
	s_and_saveexec_b32 s4, vcc_lo
	s_xor_b32 s4, exec_lo, s4
; %bb.23:
	v_bfe_u32 v95, v96, 16, 1
	s_delay_alu instid0(VALU_DEP_1)
	v_add3_u32 v95, v96, v95, 0x7fff
                                        ; implicit-def: $vgpr96
; %bb.24:
	s_and_not1_saveexec_b32 s4, s4
; %bb.25:
	v_and_b32_e32 v95, 0xffff, v96
	v_or_b32_e32 v100, 0x10000, v96
	s_delay_alu instid0(VALU_DEP_2) | instskip(NEXT) | instid1(VALU_DEP_2)
	v_cmp_eq_u32_e32 vcc_lo, 0, v95
	v_cndmask_b32_e32 v95, v100, v96, vcc_lo
; %bb.26:
	s_or_b32 exec_lo, exec_lo, s4
	v_and_b32_e32 v96, 0x7f800000, v99
	s_delay_alu instid0(VALU_DEP_1) | instskip(SKIP_1) | instid1(SALU_CYCLE_1)
	v_cmp_ne_u32_e32 vcc_lo, 0x7f800000, v96
                                        ; implicit-def: $vgpr96
	s_and_saveexec_b32 s4, vcc_lo
	s_xor_b32 s4, exec_lo, s4
; %bb.27:
	v_bfe_u32 v96, v99, 16, 1
	s_delay_alu instid0(VALU_DEP_1)
	v_add3_u32 v96, v99, v96, 0x7fff
                                        ; implicit-def: $vgpr99
; %bb.28:
	s_and_not1_saveexec_b32 s4, s4
; %bb.29:
	v_and_b32_e32 v96, 0xffff, v99
	v_or_b32_e32 v100, 0x10000, v99
	s_delay_alu instid0(VALU_DEP_2) | instskip(NEXT) | instid1(VALU_DEP_2)
	v_cmp_eq_u32_e32 vcc_lo, 0, v96
	v_cndmask_b32_e32 v96, v100, v99, vcc_lo
; %bb.30:
	s_or_b32 exec_lo, exec_lo, s4
	v_and_b32_e32 v99, 0x7f800000, v98
	s_delay_alu instid0(VALU_DEP_1) | instskip(SKIP_1) | instid1(SALU_CYCLE_1)
	v_cmp_ne_u32_e32 vcc_lo, 0x7f800000, v99
                                        ; implicit-def: $vgpr99
	s_and_saveexec_b32 s4, vcc_lo
	s_xor_b32 s4, exec_lo, s4
; %bb.31:
	v_bfe_u32 v99, v98, 16, 1
	s_delay_alu instid0(VALU_DEP_1)
	v_add3_u32 v99, v98, v99, 0x7fff
                                        ; implicit-def: $vgpr98
; %bb.32:
	s_and_not1_saveexec_b32 s4, s4
; %bb.33:
	v_and_b32_e32 v99, 0xffff, v98
	v_or_b32_e32 v100, 0x10000, v98
	s_delay_alu instid0(VALU_DEP_2) | instskip(NEXT) | instid1(VALU_DEP_2)
	v_cmp_eq_u32_e32 vcc_lo, 0, v99
	v_cndmask_b32_e32 v99, v100, v98, vcc_lo
; %bb.34:
	s_or_b32 exec_lo, exec_lo, s4
	v_and_b32_e32 v98, 0x7f800000, v97
	s_delay_alu instid0(VALU_DEP_1) | instskip(SKIP_1) | instid1(SALU_CYCLE_1)
	v_cmp_ne_u32_e32 vcc_lo, 0x7f800000, v98
                                        ; implicit-def: $vgpr98
	s_and_saveexec_b32 s4, vcc_lo
	s_xor_b32 s4, exec_lo, s4
; %bb.35:
	v_bfe_u32 v98, v97, 16, 1
	s_delay_alu instid0(VALU_DEP_1)
	v_add3_u32 v98, v97, v98, 0x7fff
                                        ; implicit-def: $vgpr97
; %bb.36:
	s_and_not1_saveexec_b32 s4, s4
; %bb.37:
	v_and_b32_e32 v98, 0xffff, v97
	v_or_b32_e32 v100, 0x10000, v97
	s_delay_alu instid0(VALU_DEP_2) | instskip(NEXT) | instid1(VALU_DEP_2)
	v_cmp_eq_u32_e32 vcc_lo, 0, v98
	v_cndmask_b32_e32 v98, v100, v97, vcc_lo
; %bb.38:
	s_or_b32 exec_lo, exec_lo, s4
	v_and_b32_e32 v97, 0x7f800000, v94
	s_delay_alu instid0(VALU_DEP_1) | instskip(SKIP_1) | instid1(SALU_CYCLE_1)
	v_cmp_ne_u32_e32 vcc_lo, 0x7f800000, v97
                                        ; implicit-def: $vgpr97
	s_and_saveexec_b32 s4, vcc_lo
	s_xor_b32 s4, exec_lo, s4
; %bb.39:
	v_bfe_u32 v97, v94, 16, 1
	s_delay_alu instid0(VALU_DEP_1)
	v_add3_u32 v97, v94, v97, 0x7fff
                                        ; implicit-def: $vgpr94
; %bb.40:
	s_and_not1_saveexec_b32 s4, s4
; %bb.41:
	v_and_b32_e32 v97, 0xffff, v94
	v_or_b32_e32 v100, 0x10000, v94
	s_delay_alu instid0(VALU_DEP_2) | instskip(NEXT) | instid1(VALU_DEP_2)
	v_cmp_eq_u32_e32 vcc_lo, 0, v97
	v_cndmask_b32_e32 v97, v100, v94, vcc_lo
; %bb.42:
	s_or_b32 exec_lo, exec_lo, s4
	v_and_b32_e32 v94, 0x7f800000, v92
	s_delay_alu instid0(VALU_DEP_1) | instskip(SKIP_1) | instid1(SALU_CYCLE_1)
	v_cmp_ne_u32_e32 vcc_lo, 0x7f800000, v94
                                        ; implicit-def: $vgpr94
	s_and_saveexec_b32 s4, vcc_lo
	s_xor_b32 s4, exec_lo, s4
; %bb.43:
	v_bfe_u32 v94, v92, 16, 1
	s_delay_alu instid0(VALU_DEP_1)
	v_add3_u32 v94, v92, v94, 0x7fff
                                        ; implicit-def: $vgpr92
; %bb.44:
	s_and_not1_saveexec_b32 s4, s4
; %bb.45:
	v_and_b32_e32 v94, 0xffff, v92
	v_or_b32_e32 v100, 0x10000, v92
	s_delay_alu instid0(VALU_DEP_2) | instskip(NEXT) | instid1(VALU_DEP_2)
	v_cmp_eq_u32_e32 vcc_lo, 0, v94
	v_cndmask_b32_e32 v94, v100, v92, vcc_lo
; %bb.46:
	s_or_b32 exec_lo, exec_lo, s4
	s_load_b64 s[36:37], s[0:1], 0x94
	v_lshlrev_b32_e32 v92, 4, v83
	s_delay_alu instid0(VALU_DEP_2)
	v_perm_b32 v100, v94, v97, 0x7060302
	v_dual_mul_f32 v89, v90, v89 :: v_dual_lshlrev_b32 v94, 11, v74
	v_perm_b32 v97, v93, v91, 0x7060302
	v_mul_f32_e32 v93, v90, v77
	v_perm_b32 v99, v98, v99, 0x7060302
	v_perm_b32 v98, v96, v95, 0x7060302
	v_or3_b32 v77, v92, v94, v85
	v_mul_f32_e32 v88, v90, v88
	v_dual_mul_f32 v87, v90, v87 :: v_dual_and_b32 v94, 0x7f800000, v93
	v_mul_f32_e32 v86, v90, v86
	v_mul_f32_e32 v91, v90, v80
	;; [unrolled: 1-line block ×4, first 2 shown]
	s_mov_b32 s4, exec_lo
	ds_store_b128 v77, v[97:100]
                                        ; implicit-def: $vgpr78
	v_cmpx_ne_u32_e32 0x7f800000, v94
	s_xor_b32 s4, exec_lo, s4
; %bb.47:
	v_bfe_u32 v78, v93, 16, 1
	s_delay_alu instid0(VALU_DEP_1)
	v_add3_u32 v78, v93, v78, 0x7fff
                                        ; implicit-def: $vgpr93
; %bb.48:
	s_and_not1_saveexec_b32 s4, s4
; %bb.49:
	v_and_b32_e32 v78, 0xffff, v93
	v_or_b32_e32 v79, 0x10000, v93
	s_delay_alu instid0(VALU_DEP_2) | instskip(NEXT) | instid1(VALU_DEP_2)
	v_cmp_eq_u32_e32 vcc_lo, 0, v78
	v_cndmask_b32_e32 v78, v79, v93, vcc_lo
; %bb.50:
	s_or_b32 exec_lo, exec_lo, s4
	v_and_b32_e32 v79, 0x7f800000, v80
	s_delay_alu instid0(VALU_DEP_1) | instskip(SKIP_1) | instid1(SALU_CYCLE_1)
	v_cmp_ne_u32_e32 vcc_lo, 0x7f800000, v79
                                        ; implicit-def: $vgpr79
	s_and_saveexec_b32 s4, vcc_lo
	s_xor_b32 s4, exec_lo, s4
; %bb.51:
	v_bfe_u32 v79, v80, 16, 1
	s_delay_alu instid0(VALU_DEP_1)
	v_add3_u32 v79, v80, v79, 0x7fff
                                        ; implicit-def: $vgpr80
; %bb.52:
	s_and_not1_saveexec_b32 s4, s4
; %bb.53:
	v_and_b32_e32 v79, 0xffff, v80
	v_or_b32_e32 v90, 0x10000, v80
	s_delay_alu instid0(VALU_DEP_2) | instskip(NEXT) | instid1(VALU_DEP_2)
	v_cmp_eq_u32_e32 vcc_lo, 0, v79
	v_cndmask_b32_e32 v79, v90, v80, vcc_lo
; %bb.54:
	s_or_b32 exec_lo, exec_lo, s4
	v_and_b32_e32 v80, 0x7f800000, v92
	s_delay_alu instid0(VALU_DEP_1) | instskip(SKIP_1) | instid1(SALU_CYCLE_1)
	v_cmp_ne_u32_e32 vcc_lo, 0x7f800000, v80
                                        ; implicit-def: $vgpr80
	s_and_saveexec_b32 s4, vcc_lo
	s_xor_b32 s4, exec_lo, s4
; %bb.55:
	v_bfe_u32 v80, v92, 16, 1
	s_delay_alu instid0(VALU_DEP_1)
	v_add3_u32 v80, v92, v80, 0x7fff
                                        ; implicit-def: $vgpr92
; %bb.56:
	s_and_not1_saveexec_b32 s4, s4
; %bb.57:
	v_and_b32_e32 v80, 0xffff, v92
	v_or_b32_e32 v90, 0x10000, v92
	s_delay_alu instid0(VALU_DEP_2) | instskip(NEXT) | instid1(VALU_DEP_2)
	v_cmp_eq_u32_e32 vcc_lo, 0, v80
	v_cndmask_b32_e32 v80, v90, v92, vcc_lo
; %bb.58:
	s_or_b32 exec_lo, exec_lo, s4
	v_and_b32_e32 v90, 0x7f800000, v91
	s_delay_alu instid0(VALU_DEP_1) | instskip(SKIP_1) | instid1(SALU_CYCLE_1)
	v_cmp_ne_u32_e32 vcc_lo, 0x7f800000, v90
                                        ; implicit-def: $vgpr90
	s_and_saveexec_b32 s4, vcc_lo
	s_xor_b32 s4, exec_lo, s4
; %bb.59:
	v_bfe_u32 v90, v91, 16, 1
	s_delay_alu instid0(VALU_DEP_1)
	v_add3_u32 v90, v91, v90, 0x7fff
                                        ; implicit-def: $vgpr91
; %bb.60:
	s_and_not1_saveexec_b32 s4, s4
; %bb.61:
	v_and_b32_e32 v90, 0xffff, v91
	v_or_b32_e32 v92, 0x10000, v91
	s_delay_alu instid0(VALU_DEP_2) | instskip(NEXT) | instid1(VALU_DEP_2)
	v_cmp_eq_u32_e32 vcc_lo, 0, v90
	v_cndmask_b32_e32 v90, v92, v91, vcc_lo
; %bb.62:
	s_or_b32 exec_lo, exec_lo, s4
	v_and_b32_e32 v91, 0x7f800000, v86
	s_delay_alu instid0(VALU_DEP_1) | instskip(SKIP_1) | instid1(SALU_CYCLE_1)
	v_cmp_ne_u32_e32 vcc_lo, 0x7f800000, v91
                                        ; implicit-def: $vgpr91
	s_and_saveexec_b32 s4, vcc_lo
	s_xor_b32 s4, exec_lo, s4
; %bb.63:
	v_bfe_u32 v91, v86, 16, 1
	s_delay_alu instid0(VALU_DEP_1)
	v_add3_u32 v91, v86, v91, 0x7fff
                                        ; implicit-def: $vgpr86
; %bb.64:
	s_and_not1_saveexec_b32 s4, s4
; %bb.65:
	v_and_b32_e32 v91, 0xffff, v86
	v_or_b32_e32 v92, 0x10000, v86
	s_delay_alu instid0(VALU_DEP_2) | instskip(NEXT) | instid1(VALU_DEP_2)
	v_cmp_eq_u32_e32 vcc_lo, 0, v91
	v_cndmask_b32_e32 v91, v92, v86, vcc_lo
; %bb.66:
	s_or_b32 exec_lo, exec_lo, s4
	v_and_b32_e32 v86, 0x7f800000, v87
	s_delay_alu instid0(VALU_DEP_1) | instskip(SKIP_1) | instid1(SALU_CYCLE_1)
	v_cmp_ne_u32_e32 vcc_lo, 0x7f800000, v86
                                        ; implicit-def: $vgpr86
	s_and_saveexec_b32 s4, vcc_lo
	s_xor_b32 s4, exec_lo, s4
; %bb.67:
	v_bfe_u32 v86, v87, 16, 1
	s_delay_alu instid0(VALU_DEP_1)
	v_add3_u32 v86, v87, v86, 0x7fff
                                        ; implicit-def: $vgpr87
; %bb.68:
	s_and_not1_saveexec_b32 s4, s4
; %bb.69:
	v_and_b32_e32 v86, 0xffff, v87
	v_or_b32_e32 v92, 0x10000, v87
	s_delay_alu instid0(VALU_DEP_2) | instskip(NEXT) | instid1(VALU_DEP_2)
	v_cmp_eq_u32_e32 vcc_lo, 0, v86
	v_cndmask_b32_e32 v86, v92, v87, vcc_lo
; %bb.70:
	s_or_b32 exec_lo, exec_lo, s4
	v_and_b32_e32 v87, 0x7f800000, v88
	s_delay_alu instid0(VALU_DEP_1) | instskip(SKIP_1) | instid1(SALU_CYCLE_1)
	v_cmp_ne_u32_e32 vcc_lo, 0x7f800000, v87
                                        ; implicit-def: $vgpr87
	s_and_saveexec_b32 s4, vcc_lo
	s_xor_b32 s4, exec_lo, s4
; %bb.71:
	v_bfe_u32 v87, v88, 16, 1
	s_delay_alu instid0(VALU_DEP_1)
	v_add3_u32 v87, v88, v87, 0x7fff
                                        ; implicit-def: $vgpr88
; %bb.72:
	s_and_not1_saveexec_b32 s4, s4
; %bb.73:
	v_and_b32_e32 v87, 0xffff, v88
	v_or_b32_e32 v92, 0x10000, v88
	s_delay_alu instid0(VALU_DEP_2) | instskip(NEXT) | instid1(VALU_DEP_2)
	v_cmp_eq_u32_e32 vcc_lo, 0, v87
	v_cndmask_b32_e32 v87, v92, v88, vcc_lo
; %bb.74:
	s_or_b32 exec_lo, exec_lo, s4
	v_and_b32_e32 v88, 0x7f800000, v89
	s_delay_alu instid0(VALU_DEP_1) | instskip(SKIP_1) | instid1(SALU_CYCLE_1)
	v_cmp_ne_u32_e32 vcc_lo, 0x7f800000, v88
                                        ; implicit-def: $vgpr88
	s_and_saveexec_b32 s4, vcc_lo
	s_xor_b32 s4, exec_lo, s4
; %bb.75:
	v_bfe_u32 v88, v89, 16, 1
	s_delay_alu instid0(VALU_DEP_1)
	v_add3_u32 v88, v89, v88, 0x7fff
                                        ; implicit-def: $vgpr89
; %bb.76:
	s_and_not1_saveexec_b32 s4, s4
; %bb.77:
	v_and_b32_e32 v88, 0xffff, v89
	v_or_b32_e32 v92, 0x10000, v89
	s_delay_alu instid0(VALU_DEP_2) | instskip(NEXT) | instid1(VALU_DEP_2)
	v_cmp_eq_u32_e32 vcc_lo, 0, v88
	v_cndmask_b32_e32 v88, v92, v89, vcc_lo
; %bb.78:
	s_or_b32 exec_lo, exec_lo, s4
	s_delay_alu instid0(VALU_DEP_1)
	v_perm_b32 v89, v88, v87, 0x7060302
	v_perm_b32 v88, v86, v91, 0x7060302
	;; [unrolled: 1-line block ×4, first 2 shown]
	v_lshl_or_b32 v90, v74, 11, v85
	ds_store_b128 v77, v[86:89] offset:1024
	s_waitcnt lgkmcnt(0)
	s_barrier
	buffer_gl0_inv
	ds_load_b128 v[91:94], v90
	ds_load_b128 v[95:98], v90 offset:16
	v_lshlrev_b32_e32 v87, 2, v83
	s_delay_alu instid0(VALU_DEP_1)
	v_or_b32_e32 v88, 1, v87
	v_cmp_eq_u32_e32 vcc_lo, 1, v87
	v_cmp_eq_u32_e64 s5, 2, v87
	v_cmp_eq_u32_e64 s8, 3, v87
	;; [unrolled: 1-line block ×6, first 2 shown]
	v_or_b32_e32 v86, 2, v87
	v_cmp_eq_u32_e64 s11, 5, v87
	v_cmp_eq_u32_e64 s12, 4, v88
	v_cmp_eq_u32_e64 s13, 6, v87
	v_cmp_eq_u32_e64 s15, 5, v88
	s_waitcnt lgkmcnt(1)
	v_lshrrev_b32_e32 v74, 16, v91
	s_waitcnt lgkmcnt(0)
	v_lshrrev_b32_e32 v103, 16, v95
	v_lshrrev_b32_e32 v80, 16, v94
	v_lshrrev_b32_e32 v78, 16, v92
	v_lshrrev_b32_e32 v107, 16, v96
	v_cndmask_b32_e32 v89, v91, v74, vcc_lo
	v_cndmask_b32_e32 v99, v95, v103, vcc_lo
	v_cndmask_b32_e64 v100, v91, v74, s4
	v_lshrrev_b32_e32 v79, 16, v93
	v_lshrrev_b32_e32 v108, 16, v97
	v_cndmask_b32_e64 v89, v89, v92, s5
	v_cndmask_b32_e64 v99, v99, v96, s5
	;; [unrolled: 1-line block ×4, first 2 shown]
	v_cmp_eq_u32_e64 s6, 1, v86
	v_cndmask_b32_e64 v89, v89, v78, s8
	v_cndmask_b32_e64 v99, v99, v107, s8
	;; [unrolled: 1-line block ×4, first 2 shown]
	v_lshrrev_b32_e32 v109, 16, v98
	v_cndmask_b32_e64 v89, v89, v93, s10
	v_cndmask_b32_e64 v99, v99, v97, s10
	;; [unrolled: 1-line block ×8, first 2 shown]
	v_cmp_eq_u32_e64 s16, 7, v87
	v_cmp_eq_u32_e64 s17, 6, v88
	v_cndmask_b32_e64 v89, v89, v94, s13
	v_cndmask_b32_e64 v99, v99, v98, s13
	v_cmp_eq_u32_e64 s18, 2, v86
	v_cndmask_b32_e64 v101, v101, v97, s12
	v_cndmask_b32_e64 v100, v100, v94, s17
	;; [unrolled: 1-line block ×6, first 2 shown]
	v_cmp_eq_u32_e64 s19, 7, v88
	v_cmp_eq_u32_e64 s20, 3, v86
	;; [unrolled: 1-line block ×4, first 2 shown]
	v_cndmask_b32_e64 v99, v99, v96, s18
	v_cndmask_b32_e64 v112, v100, v80, s19
	;; [unrolled: 1-line block ×4, first 2 shown]
	v_or_b32_e32 v89, 3, v87
	v_cndmask_b32_e64 v105, v99, v107, s20
	v_cmp_eq_u32_e64 s25, 6, v86
	v_cndmask_b32_e64 v113, v100, v98, s17
	v_cndmask_b32_e64 v104, v101, v93, s21
	ds_load_b128 v[99:102], v90 offset:1024
	v_cmp_eq_u32_e64 s22, 1, v89
	v_cmp_eq_u32_e64 s24, 2, v89
	;; [unrolled: 1-line block ×3, first 2 shown]
	v_cndmask_b32_e64 v114, v104, v79, s23
	v_cmp_eq_u32_e64 s27, 4, v89
	v_cndmask_b32_e64 v74, v91, v74, s22
	v_cndmask_b32_e64 v91, v105, v97, s21
	;; [unrolled: 1-line block ×3, first 2 shown]
	ds_load_b128 v[103:106], v90 offset:1040
	v_cmp_eq_u32_e64 s29, 5, v89
	v_cndmask_b32_e64 v74, v74, v92, s24
	v_cndmask_b32_e64 v91, v91, v108, s23
	;; [unrolled: 1-line block ×3, first 2 shown]
	v_cmp_eq_u32_e64 s30, 6, v89
	v_cndmask_b32_e64 v95, v113, v109, s19
	v_cndmask_b32_e64 v74, v74, v78, s26
	;; [unrolled: 1-line block ×5, first 2 shown]
	s_waitcnt lgkmcnt(1)
	v_lshrrev_b32_e32 v96, 16, v99
	v_cndmask_b32_e64 v74, v74, v93, s27
	v_lshrrev_b32_e32 v107, 16, v100
	v_cndmask_b32_e64 v92, v92, v97, s27
	v_cmp_eq_u32_e64 s28, 7, v86
	v_cndmask_b32_e32 v93, v99, v96, vcc_lo
	v_cndmask_b32_e64 v74, v74, v79, s29
	s_delay_alu instid0(VALU_DEP_4)
	v_cndmask_b32_e64 v79, v92, v108, s29
	s_waitcnt lgkmcnt(0)
	v_lshrrev_b32_e32 v97, 16, v103
	v_cndmask_b32_e64 v92, v93, v100, s5
	v_cndmask_b32_e64 v93, v99, v96, s4
	;; [unrolled: 1-line block ×4, first 2 shown]
	v_cndmask_b32_e32 v108, v103, v97, vcc_lo
	v_cndmask_b32_e64 v92, v92, v107, s8
	v_cndmask_b32_e64 v93, v93, v100, s7
	v_lshrrev_b32_e32 v98, 16, v104
	v_cmp_eq_u32_e32 vcc_lo, 7, v89
	v_cndmask_b32_e64 v94, v108, v104, s5
	v_cndmask_b32_e64 v92, v92, v101, s10
	v_lshrrev_b32_e32 v108, 16, v101
	v_cndmask_b32_e64 v93, v93, v107, s9
	v_cndmask_b32_e32 v74, v74, v80, vcc_lo
	v_cndmask_b32_e64 v94, v94, v98, s8
	v_cndmask_b32_e32 v79, v79, v109, vcc_lo
	v_cndmask_b32_e64 v92, v92, v108, s11
	v_cndmask_b32_e64 v78, v78, v80, s28
	;; [unrolled: 1-line block ×4, first 2 shown]
	v_perm_b32 v94, v79, v74, 0x5040100
	v_cndmask_b32_e64 v79, v92, v102, s13
	v_perm_b32 v92, v95, v112, 0x5040100
	v_cndmask_b32_e64 v95, v99, v96, s6
	v_cndmask_b32_e64 v96, v99, v96, s22
	;; [unrolled: 1-line block ×16, first 2 shown]
	v_lshrrev_b32_e32 v109, 16, v105
	v_cndmask_b32_e64 v95, v95, v101, s21
	v_cndmask_b32_e64 v96, v96, v101, s27
	;; [unrolled: 1-line block ×6, first 2 shown]
	v_lshrrev_b32_e32 v80, 16, v102
	v_cndmask_b32_e64 v113, v93, v109, s11
	v_cndmask_b32_e64 v95, v95, v108, s23
	;; [unrolled: 1-line block ×6, first 2 shown]
	v_perm_b32 v93, v91, v78, 0x5040100
	v_cndmask_b32_e64 v74, v74, v102, s17
	v_cndmask_b32_e64 v78, v79, v80, s16
	;; [unrolled: 1-line block ×3, first 2 shown]
	v_lshrrev_b32_e32 v91, 16, v106
	v_cndmask_b32_e64 v95, v95, v102, s25
	v_cndmask_b32_e64 v96, v96, v102, s30
	;; [unrolled: 1-line block ×7, first 2 shown]
	v_cndmask_b32_e32 v80, v96, v80, vcc_lo
	v_cndmask_b32_e32 v96, v98, v91, vcc_lo
	v_cndmask_b32_e64 v99, v99, v91, s28
	v_cndmask_b32_e64 v100, v97, v91, s19
	;; [unrolled: 1-line block ×3, first 2 shown]
	v_perm_b32 v91, v111, v110, 0x5040100
	v_perm_b32 v98, v96, v80, 0x5040100
	;; [unrolled: 1-line block ×5, first 2 shown]
	s_mul_i32 s9, s37, 13
	s_mov_b32 s4, exec_lo
	ds_store_b128 v77, v[91:94]
	ds_store_b128 v77, v[95:98] offset:1024
	v_cmpx_gt_u32_e32 13, v0
	s_cbranch_execz .LBB550_80
; %bb.79:
	s_mul_i32 s5, s9, s34
	s_load_b128 s[16:19], s[0:1], 0x58
	v_add3_u32 v77, s5, s31, v73
	s_delay_alu instid0(VALU_DEP_1) | instskip(NEXT) | instid1(VALU_DEP_1)
	v_mad_u64_u32 v[73:74], null, v77, s36, s[14:15]
	v_ashrrev_i32_e32 v74, 31, v73
	s_delay_alu instid0(VALU_DEP_1) | instskip(SKIP_1) | instid1(VALU_DEP_1)
	v_lshlrev_b64 v[73:74], 2, v[73:74]
	s_waitcnt lgkmcnt(0)
	v_add_co_u32 v77, vcc_lo, s18, v73
	s_delay_alu instid0(VALU_DEP_2)
	v_add_co_ci_u32_e32 v78, vcc_lo, s19, v74, vcc_lo
	v_add_co_u32 v73, vcc_lo, s16, v73
	v_add_co_ci_u32_e32 v74, vcc_lo, s17, v74, vcc_lo
	global_store_b32 v[77:78], v75, off
	global_store_b32 v[73:74], v76, off
.LBB550_80:
	s_or_b32 exec_lo, exec_lo, s4
	s_waitcnt lgkmcnt(0)
	s_waitcnt_vscnt null, 0x0
	s_barrier
	buffer_gl0_inv
	ds_load_b128 v[91:94], v85
	ds_load_b128 v[95:98], v85 offset:16
	ds_load_b128 v[103:106], v85 offset:1040
	;; [unrolled: 1-line block ×3, first 2 shown]
	v_mov_b32_e32 v73, 0
	ds_load_b128 v[111:114], v85 offset:2064
	ds_load_b128 v[107:110], v85 offset:2048
	;; [unrolled: 1-line block ×6, first 2 shown]
	v_mov_b32_e32 v74, v73
	v_mov_b32_e32 v75, v73
	;; [unrolled: 1-line block ×7, first 2 shown]
	s_waitcnt lgkmcnt(8)
	s_delay_alu instid0(VALU_DEP_1)
	v_wmma_f32_16x16x16_bf16 v[73:80], v[65:72], v[91:98], v[73:80]
	ds_load_b128 v[69:72], v85 offset:5136
	ds_load_b128 v[65:68], v85 offset:5120
	;; [unrolled: 1-line block ×4, first 2 shown]
	s_waitcnt lgkmcnt(10)
	v_wmma_f32_16x16x16_bf16 v[73:80], v[57:64], v[99:106], v[73:80]
	s_waitcnt lgkmcnt(8)
	s_delay_alu instid0(VALU_DEP_1)
	v_wmma_f32_16x16x16_bf16 v[73:80], v[57:64], v[107:114], v[73:80]
	ds_load_b128 v[61:64], v85 offset:7184
	ds_load_b128 v[57:60], v85 offset:7168
	ds_load_b128 v[103:106], v85 offset:8208
	ds_load_b128 v[99:102], v85 offset:8192
	s_waitcnt lgkmcnt(10)
	v_wmma_f32_16x16x16_bf16 v[73:80], v[49:56], v[115:122], v[73:80]
	s_waitcnt lgkmcnt(8)
	s_delay_alu instid0(VALU_DEP_1)
	v_wmma_f32_16x16x16_bf16 v[73:80], v[49:56], v[123:130], v[73:80]
	ds_load_b128 v[53:56], v85 offset:9232
	ds_load_b128 v[49:52], v85 offset:9216
	s_waitcnt lgkmcnt(8)
	v_wmma_f32_16x16x16_bf16 v[73:80], v[41:48], v[65:72], v[73:80]
	ds_load_b128 v[69:72], v85 offset:10256
	ds_load_b128 v[65:68], v85 offset:10240
	s_waitcnt lgkmcnt(8)
	;; [unrolled: 4-line block ×3, first 2 shown]
	v_wmma_f32_16x16x16_bf16 v[73:80], v[9:16], v[57:64], v[73:80]
	s_waitcnt lgkmcnt(6)
	s_delay_alu instid0(VALU_DEP_1)
	v_wmma_f32_16x16x16_bf16 v[73:80], v[9:16], v[99:106], v[73:80]
	ds_load_b128 v[13:16], v85 offset:12304
	ds_load_b128 v[9:12], v85 offset:12288
	s_waitcnt lgkmcnt(6)
	v_wmma_f32_16x16x16_bf16 v[73:80], v[1:8], v[49:56], v[73:80]
	ds_load_b128 v[53:56], v85 offset:13328
	ds_load_b128 v[49:52], v85 offset:13312
	s_waitcnt lgkmcnt(6)
	;; [unrolled: 4-line block ×4, first 2 shown]
	v_wmma_f32_16x16x16_bf16 v[73:80], v[33:40], v[9:16], v[73:80]
	s_waitcnt lgkmcnt(4)
	s_delay_alu instid0(VALU_DEP_1) | instskip(SKIP_1) | instid1(VALU_DEP_1)
	v_wmma_f32_16x16x16_bf16 v[73:80], v[25:32], v[49:56], v[73:80]
	s_waitcnt lgkmcnt(2)
	v_wmma_f32_16x16x16_bf16 v[73:80], v[25:32], v[1:8], v[73:80]
	s_waitcnt lgkmcnt(0)
	s_delay_alu instid0(VALU_DEP_1) | instskip(NEXT) | instid1(VALU_DEP_1)
	v_wmma_f32_16x16x16_bf16 v[73:80], v[17:24], v[41:48], v[73:80]
	v_and_b32_e32 v1, 0x7f800000, v73
	s_delay_alu instid0(VALU_DEP_1) | instskip(SKIP_1) | instid1(SALU_CYCLE_1)
	v_cmp_ne_u32_e32 vcc_lo, 0x7f800000, v1
                                        ; implicit-def: $vgpr1
	s_and_saveexec_b32 s4, vcc_lo
	s_xor_b32 s4, exec_lo, s4
; %bb.81:
	v_bfe_u32 v1, v73, 16, 1
	s_delay_alu instid0(VALU_DEP_1)
	v_add3_u32 v1, v73, v1, 0x7fff
; %bb.82:
	s_and_not1_saveexec_b32 s4, s4
; %bb.83:
	v_and_b32_e32 v1, 0xffff, v73
	v_or_b32_e32 v2, 0x10000, v73
	s_delay_alu instid0(VALU_DEP_2) | instskip(NEXT) | instid1(VALU_DEP_2)
	v_cmp_eq_u32_e32 vcc_lo, 0, v1
	v_cndmask_b32_e32 v1, v2, v73, vcc_lo
; %bb.84:
	s_or_b32 exec_lo, exec_lo, s4
	v_and_b32_e32 v2, 0x7f800000, v74
	s_delay_alu instid0(VALU_DEP_1) | instskip(SKIP_1) | instid1(SALU_CYCLE_1)
	v_cmp_ne_u32_e32 vcc_lo, 0x7f800000, v2
                                        ; implicit-def: $vgpr2
	s_and_saveexec_b32 s4, vcc_lo
	s_xor_b32 s4, exec_lo, s4
; %bb.85:
	v_bfe_u32 v2, v74, 16, 1
	s_delay_alu instid0(VALU_DEP_1)
	v_add3_u32 v2, v74, v2, 0x7fff
; %bb.86:
	s_and_not1_saveexec_b32 s4, s4
; %bb.87:
	v_and_b32_e32 v2, 0xffff, v74
	v_or_b32_e32 v3, 0x10000, v74
	s_delay_alu instid0(VALU_DEP_2) | instskip(NEXT) | instid1(VALU_DEP_2)
	v_cmp_eq_u32_e32 vcc_lo, 0, v2
	v_cndmask_b32_e32 v2, v3, v74, vcc_lo
; %bb.88:
	s_or_b32 exec_lo, exec_lo, s4
	v_and_b32_e32 v3, 0x7f800000, v75
	s_delay_alu instid0(VALU_DEP_1) | instskip(SKIP_1) | instid1(SALU_CYCLE_1)
	v_cmp_ne_u32_e32 vcc_lo, 0x7f800000, v3
                                        ; implicit-def: $vgpr3
	s_and_saveexec_b32 s4, vcc_lo
	s_xor_b32 s4, exec_lo, s4
; %bb.89:
	v_bfe_u32 v3, v75, 16, 1
	s_delay_alu instid0(VALU_DEP_1)
	v_add3_u32 v3, v75, v3, 0x7fff
; %bb.90:
	s_and_not1_saveexec_b32 s4, s4
; %bb.91:
	v_and_b32_e32 v3, 0xffff, v75
	v_or_b32_e32 v4, 0x10000, v75
	s_delay_alu instid0(VALU_DEP_2) | instskip(NEXT) | instid1(VALU_DEP_2)
	v_cmp_eq_u32_e32 vcc_lo, 0, v3
	v_cndmask_b32_e32 v3, v4, v75, vcc_lo
; %bb.92:
	s_or_b32 exec_lo, exec_lo, s4
	v_and_b32_e32 v4, 0x7f800000, v76
	s_delay_alu instid0(VALU_DEP_1) | instskip(SKIP_1) | instid1(SALU_CYCLE_1)
	v_cmp_ne_u32_e32 vcc_lo, 0x7f800000, v4
                                        ; implicit-def: $vgpr4
	s_and_saveexec_b32 s4, vcc_lo
	s_xor_b32 s4, exec_lo, s4
; %bb.93:
	v_bfe_u32 v4, v76, 16, 1
	s_delay_alu instid0(VALU_DEP_1)
	v_add3_u32 v4, v76, v4, 0x7fff
; %bb.94:
	s_and_not1_saveexec_b32 s4, s4
; %bb.95:
	v_and_b32_e32 v4, 0xffff, v76
	v_or_b32_e32 v5, 0x10000, v76
	s_delay_alu instid0(VALU_DEP_2) | instskip(NEXT) | instid1(VALU_DEP_2)
	v_cmp_eq_u32_e32 vcc_lo, 0, v4
	v_cndmask_b32_e32 v4, v5, v76, vcc_lo
; %bb.96:
	s_or_b32 exec_lo, exec_lo, s4
	v_and_b32_e32 v5, 0x7f800000, v77
	s_delay_alu instid0(VALU_DEP_1) | instskip(SKIP_1) | instid1(SALU_CYCLE_1)
	v_cmp_ne_u32_e32 vcc_lo, 0x7f800000, v5
                                        ; implicit-def: $vgpr5
	s_and_saveexec_b32 s4, vcc_lo
	s_xor_b32 s4, exec_lo, s4
; %bb.97:
	v_bfe_u32 v5, v77, 16, 1
	s_delay_alu instid0(VALU_DEP_1)
	v_add3_u32 v5, v77, v5, 0x7fff
; %bb.98:
	s_and_not1_saveexec_b32 s4, s4
; %bb.99:
	v_and_b32_e32 v5, 0xffff, v77
	v_or_b32_e32 v6, 0x10000, v77
	s_delay_alu instid0(VALU_DEP_2) | instskip(NEXT) | instid1(VALU_DEP_2)
	v_cmp_eq_u32_e32 vcc_lo, 0, v5
	v_cndmask_b32_e32 v5, v6, v77, vcc_lo
; %bb.100:
	s_or_b32 exec_lo, exec_lo, s4
	v_and_b32_e32 v6, 0x7f800000, v78
	s_delay_alu instid0(VALU_DEP_1) | instskip(SKIP_1) | instid1(SALU_CYCLE_1)
	v_cmp_ne_u32_e32 vcc_lo, 0x7f800000, v6
                                        ; implicit-def: $vgpr6
	s_and_saveexec_b32 s4, vcc_lo
	s_xor_b32 s4, exec_lo, s4
; %bb.101:
	v_bfe_u32 v6, v78, 16, 1
	s_delay_alu instid0(VALU_DEP_1)
	v_add3_u32 v6, v78, v6, 0x7fff
; %bb.102:
	s_and_not1_saveexec_b32 s4, s4
; %bb.103:
	v_and_b32_e32 v6, 0xffff, v78
	v_or_b32_e32 v7, 0x10000, v78
	s_delay_alu instid0(VALU_DEP_2) | instskip(NEXT) | instid1(VALU_DEP_2)
	v_cmp_eq_u32_e32 vcc_lo, 0, v6
	v_cndmask_b32_e32 v6, v7, v78, vcc_lo
; %bb.104:
	s_or_b32 exec_lo, exec_lo, s4
	v_and_b32_e32 v7, 0x7f800000, v79
	s_delay_alu instid0(VALU_DEP_1) | instskip(SKIP_1) | instid1(SALU_CYCLE_1)
	v_cmp_ne_u32_e32 vcc_lo, 0x7f800000, v7
                                        ; implicit-def: $vgpr7
	s_and_saveexec_b32 s4, vcc_lo
	s_xor_b32 s4, exec_lo, s4
; %bb.105:
	v_bfe_u32 v7, v79, 16, 1
	s_delay_alu instid0(VALU_DEP_1)
	v_add3_u32 v7, v79, v7, 0x7fff
; %bb.106:
	s_and_not1_saveexec_b32 s4, s4
; %bb.107:
	v_and_b32_e32 v7, 0xffff, v79
	v_or_b32_e32 v8, 0x10000, v79
	s_delay_alu instid0(VALU_DEP_2) | instskip(NEXT) | instid1(VALU_DEP_2)
	v_cmp_eq_u32_e32 vcc_lo, 0, v7
	v_cndmask_b32_e32 v7, v8, v79, vcc_lo
; %bb.108:
	s_or_b32 exec_lo, exec_lo, s4
	v_and_b32_e32 v8, 0x7f800000, v80
	s_delay_alu instid0(VALU_DEP_1) | instskip(SKIP_1) | instid1(SALU_CYCLE_1)
	v_cmp_ne_u32_e32 vcc_lo, 0x7f800000, v8
                                        ; implicit-def: $vgpr8
	s_and_saveexec_b32 s4, vcc_lo
	s_xor_b32 s4, exec_lo, s4
; %bb.109:
	v_bfe_u32 v8, v80, 16, 1
	s_delay_alu instid0(VALU_DEP_1)
	v_add3_u32 v8, v80, v8, 0x7fff
                                        ; implicit-def: $vgpr73_vgpr74_vgpr75_vgpr76_vgpr77_vgpr78_vgpr79_vgpr80
; %bb.110:
	s_and_not1_saveexec_b32 s4, s4
; %bb.111:
	v_and_b32_e32 v8, 0xffff, v80
	v_or_b32_e32 v9, 0x10000, v80
	s_delay_alu instid0(VALU_DEP_2) | instskip(NEXT) | instid1(VALU_DEP_2)
	v_cmp_eq_u32_e32 vcc_lo, 0, v8
	v_cndmask_b32_e32 v8, v9, v80, vcc_lo
; %bb.112:
	s_or_b32 exec_lo, exec_lo, s4
	s_delay_alu instid0(VALU_DEP_1)
	v_perm_b32 v7, v8, v7, 0x7060302
	v_perm_b32 v6, v6, v5, 0x7060302
	;; [unrolled: 1-line block ×4, first 2 shown]
	v_lshl_or_b32 v9, v83, 4, v90
	s_barrier
	buffer_gl0_inv
	v_cmp_eq_u32_e32 vcc_lo, 1, v87
	ds_store_b128 v9, v[4:7]
	s_waitcnt lgkmcnt(0)
	s_barrier
	buffer_gl0_inv
	ds_load_b128 v[1:4], v90
	ds_load_b128 v[5:8], v90 offset:16
	v_cmp_eq_u32_e64 s5, 2, v87
	v_cmp_eq_u32_e64 s4, 1, v88
	;; [unrolled: 1-line block ×5, first 2 shown]
	s_waitcnt lgkmcnt(1)
	v_lshrrev_b32_e32 v10, 16, v1
	s_waitcnt lgkmcnt(0)
	v_lshrrev_b32_e32 v14, 16, v5
	v_lshrrev_b32_e32 v15, 16, v6
	;; [unrolled: 1-line block ×4, first 2 shown]
	v_cndmask_b32_e64 v20, v1, v10, s4
	v_cndmask_b32_e32 v19, v5, v14, vcc_lo
	v_cndmask_b32_e64 v21, v5, v14, s4
	v_lshrrev_b32_e32 v16, 16, v7
	v_cmp_eq_u32_e64 s4, 1, v86
	v_lshrrev_b32_e32 v13, 16, v4
	v_cndmask_b32_e64 v19, v19, v6, s5
	v_lshrrev_b32_e32 v17, 16, v8
	s_delay_alu instid0(VALU_DEP_4) | instskip(SKIP_1) | instid1(VALU_DEP_4)
	v_cndmask_b32_e64 v22, v1, v10, s4
	v_cndmask_b32_e64 v23, v5, v14, s4
	;; [unrolled: 1-line block ×3, first 2 shown]
	v_cndmask_b32_e32 v18, v1, v10, vcc_lo
	v_cmp_eq_u32_e32 vcc_lo, 2, v88
	v_cmp_eq_u32_e64 s4, 2, v89
	v_cndmask_b32_e64 v22, v22, v2, s8
	v_cndmask_b32_e32 v20, v20, v2, vcc_lo
	v_cndmask_b32_e32 v21, v21, v6, vcc_lo
	v_cmp_eq_u32_e32 vcc_lo, 4, v87
	v_cndmask_b32_e32 v19, v19, v7, vcc_lo
	v_cndmask_b32_e64 v18, v18, v2, s5
	v_cmp_eq_u32_e64 s5, 3, v88
	s_delay_alu instid0(VALU_DEP_2) | instskip(NEXT) | instid1(VALU_DEP_2)
	v_cndmask_b32_e64 v18, v18, v11, s6
	v_cndmask_b32_e64 v21, v21, v15, s5
	v_cmp_eq_u32_e64 s6, 5, v87
	s_delay_alu instid0(VALU_DEP_3) | instskip(SKIP_1) | instid1(VALU_DEP_3)
	v_cndmask_b32_e32 v18, v18, v3, vcc_lo
	v_cmp_eq_u32_e32 vcc_lo, 4, v88
	v_cndmask_b32_e64 v19, v19, v16, s6
	s_delay_alu instid0(VALU_DEP_3) | instskip(SKIP_4) | instid1(VALU_DEP_3)
	v_cndmask_b32_e64 v18, v18, v12, s6
	v_cndmask_b32_e32 v21, v21, v7, vcc_lo
	v_cndmask_b32_e64 v20, v20, v11, s5
	v_cmp_eq_u32_e64 s5, 5, v88
	v_cmp_eq_u32_e64 s6, 6, v87
	v_cndmask_b32_e32 v20, v20, v3, vcc_lo
	s_delay_alu instid0(VALU_DEP_3) | instskip(SKIP_1) | instid1(VALU_DEP_4)
	v_cndmask_b32_e64 v21, v21, v16, s5
	v_cmp_eq_u32_e32 vcc_lo, 6, v88
	v_cndmask_b32_e64 v18, v18, v4, s6
	v_cndmask_b32_e64 v19, v19, v8, s6
	;; [unrolled: 1-line block ×3, first 2 shown]
	v_cmp_eq_u32_e64 s5, 1, v89
	v_cmp_eq_u32_e64 s6, 7, v87
	s_delay_alu instid0(VALU_DEP_3) | instskip(NEXT) | instid1(VALU_DEP_3)
	v_cndmask_b32_e32 v20, v20, v4, vcc_lo
	v_cndmask_b32_e64 v1, v1, v10, s5
	v_cndmask_b32_e64 v5, v5, v14, s5
	v_cmp_eq_u32_e64 s5, 3, v86
	v_cndmask_b32_e64 v14, v23, v6, s8
	v_cmp_eq_u32_e64 s8, 3, v89
	v_cndmask_b32_e64 v1, v1, v2, s4
	v_cndmask_b32_e64 v2, v5, v6, s4
	;; [unrolled: 1-line block ×3, first 2 shown]
	v_cmp_eq_u32_e64 s4, 4, v86
	v_cndmask_b32_e64 v6, v14, v15, s5
	v_cndmask_b32_e64 v1, v1, v11, s8
	v_cmp_eq_u32_e64 s5, 4, v89
	v_cndmask_b32_e64 v2, v2, v15, s8
	v_cndmask_b32_e64 v5, v10, v3, s4
	;; [unrolled: 3-line block ×3, first 2 shown]
	v_cndmask_b32_e64 v2, v2, v7, s5
	v_cmp_eq_u32_e64 s4, 5, v89
	v_cndmask_b32_e64 v5, v5, v12, s8
	v_cmp_eq_u32_e64 s5, 6, v86
	;; [unrolled: 2-line block ×3, first 2 shown]
	v_cndmask_b32_e64 v1, v1, v12, s4
	v_cndmask_b32_e64 v2, v2, v16, s4
	;; [unrolled: 1-line block ×4, first 2 shown]
	v_cmp_eq_u32_e64 s4, 7, v89
	v_cndmask_b32_e64 v1, v1, v4, s8
	v_cndmask_b32_e64 v2, v2, v8, s8
	v_cmp_eq_u32_e64 s5, 7, v86
	v_cndmask_b32_e32 v4, v21, v8, vcc_lo
	v_cndmask_b32_e64 v18, v18, v13, s6
	v_cndmask_b32_e64 v20, v20, v13, s7
	;; [unrolled: 1-line block ×8, first 2 shown]
	v_cmp_gt_u32_e32 vcc_lo, 32, v0
	v_perm_b32 v4, v2, v1, 0x5040100
	v_perm_b32 v3, v3, v5, 0x5040100
	;; [unrolled: 1-line block ×4, first 2 shown]
	s_and_b32 s2, vcc_lo, s2
	ds_store_b128 v9, v[1:4]
	s_waitcnt lgkmcnt(0)
	s_barrier
	buffer_gl0_inv
	s_and_saveexec_b32 s4, s2
	s_cbranch_execz .LBB550_2
; %bb.113:
	s_load_b64 s[4:5], s[0:1], 0x68
	v_lshlrev_b32_e32 v0, 10, v0
	v_lshlrev_b32_e32 v1, 4, v84
	s_lshl_b32 s0, s36, 6
	v_add_nc_u32_e32 v18, s31, v83
	s_mul_i32 s1, s0, s34
	s_delay_alu instid0(VALU_DEP_2) | instskip(SKIP_1) | instid1(VALU_DEP_2)
	v_and_or_b32 v0, 0x3800, v0, v1
	s_mul_i32 s6, s1, s9
	v_mul_lo_u32 v1, v18, s0
	s_ashr_i32 s7, s6, 31
	v_add_nc_u32_e32 v2, 2, v18
	v_lshl_or_b32 v19, v83, 6, v0
	s_lshl_b64 s[6:7], s[6:7], 1
	v_add_nc_u32_e32 v8, 4, v18
	v_add_nc_u32_e32 v15, 6, v18
	v_mul_lo_u32 v7, v2, s0
	ds_load_b128 v[3:6], v19
	v_ashrrev_i32_e32 v2, 31, v1
	v_mul_lo_u32 v11, v8, s0
	s_waitcnt lgkmcnt(0)
	s_add_u32 s1, s4, s6
	s_addc_u32 s2, s5, s7
	s_lshl_b32 s4, s14, 6
	v_lshlrev_b64 v[9:10], 1, v[1:2]
	s_ashr_i32 s5, s4, 31
	v_ashrrev_i32_e32 v8, 31, v7
	s_lshl_b64 s[4:5], s[4:5], 1
	v_ashrrev_i32_e32 v12, 31, v11
	s_add_u32 s1, s1, s4
	s_addc_u32 s2, s2, s5
	v_add_co_u32 v1, vcc_lo, s1, v81
	v_add_co_ci_u32_e32 v2, vcc_lo, s2, v82, vcc_lo
	v_mul_lo_u32 v15, v15, s0
	s_delay_alu instid0(VALU_DEP_3) | instskip(NEXT) | instid1(VALU_DEP_3)
	v_add_co_u32 v13, vcc_lo, v1, v9
	v_add_co_ci_u32_e32 v14, vcc_lo, v2, v10, vcc_lo
	v_lshlrev_b64 v[16:17], 1, v[7:8]
	ds_load_b128 v[7:10], v19 offset:128
	global_store_b128 v[13:14], v[3:6], off
	v_add_nc_u32_e32 v5, 8, v18
	v_lshlrev_b64 v[3:4], 1, v[11:12]
	v_add_co_u32 v23, vcc_lo, v1, v16
	v_ashrrev_i32_e32 v16, 31, v15
	s_delay_alu instid0(VALU_DEP_4) | instskip(SKIP_3) | instid1(VALU_DEP_3)
	v_mul_lo_u32 v25, v5, s0
	v_add_nc_u32_e32 v5, 10, v18
	v_add_co_ci_u32_e32 v24, vcc_lo, v2, v17, vcc_lo
	v_add_co_u32 v27, vcc_lo, v1, v3
	v_mul_lo_u32 v29, v5, s0
	v_add_co_ci_u32_e32 v28, vcc_lo, v2, v4, vcc_lo
	v_lshlrev_b64 v[31:32], 1, v[15:16]
	ds_load_b128 v[3:6], v19 offset:256
	ds_load_b128 v[11:14], v19 offset:384
	;; [unrolled: 1-line block ×4, first 2 shown]
	v_ashrrev_i32_e32 v26, 31, v25
	v_ashrrev_i32_e32 v30, 31, v29
	v_add_co_u32 v31, vcc_lo, v1, v31
	s_delay_alu instid0(VALU_DEP_3) | instskip(SKIP_1) | instid1(VALU_DEP_4)
	v_lshlrev_b64 v[25:26], 1, v[25:26]
	v_add_co_ci_u32_e32 v32, vcc_lo, v2, v32, vcc_lo
	v_lshlrev_b64 v[29:30], 1, v[29:30]
	s_delay_alu instid0(VALU_DEP_3) | instskip(NEXT) | instid1(VALU_DEP_4)
	v_add_co_u32 v25, vcc_lo, v1, v25
	v_add_co_ci_u32_e32 v26, vcc_lo, v2, v26, vcc_lo
	s_delay_alu instid0(VALU_DEP_3) | instskip(NEXT) | instid1(VALU_DEP_4)
	v_add_co_u32 v29, vcc_lo, v1, v29
	v_add_co_ci_u32_e32 v30, vcc_lo, v2, v30, vcc_lo
	s_waitcnt lgkmcnt(4)
	global_store_b128 v[23:24], v[7:10], off
	s_waitcnt lgkmcnt(3)
	global_store_b128 v[27:28], v[3:6], off
	;; [unrolled: 2-line block ×5, first 2 shown]
	s_and_b32 exec_lo, exec_lo, s3
	s_cbranch_execz .LBB550_2
; %bb.114:
	ds_load_b128 v[3:6], v0 offset:768
	s_add_i32 s1, s31, 12
	s_delay_alu instid0(SALU_CYCLE_1) | instskip(NEXT) | instid1(SALU_CYCLE_1)
	s_mul_i32 s0, s1, s0
	s_ashr_i32 s1, s0, 31
	s_delay_alu instid0(SALU_CYCLE_1) | instskip(NEXT) | instid1(SALU_CYCLE_1)
	s_lshl_b64 s[0:1], s[0:1], 1
	v_add_co_u32 v0, vcc_lo, v1, s0
	v_add_co_ci_u32_e32 v1, vcc_lo, s1, v2, vcc_lo
	s_waitcnt lgkmcnt(0)
	global_store_b128 v[0:1], v[3:6], off
	s_nop 0
	s_sendmsg sendmsg(MSG_DEALLOC_VGPRS)
	s_endpgm
	.section	.rodata,"a",@progbits
	.p2align	6, 0x0
	.amdhsa_kernel _Z39paged_attention_ll4mi_QKV_mfma16_kernelI14__hip_bfloat16S0_LN4vllm18Fp8KVCacheDataTypeE0ES0_Li32ELi64ELi256ELb1ELi13EL8MFMAType0EEvPKT_PKT0_S9_ifPKiSB_SB_iPKfiiiPfSE_PS4_PT2_iSD_SD_
		.amdhsa_group_segment_fixed_size 17472
		.amdhsa_private_segment_fixed_size 0
		.amdhsa_kernarg_size 400
		.amdhsa_user_sgpr_count 13
		.amdhsa_user_sgpr_dispatch_ptr 0
		.amdhsa_user_sgpr_queue_ptr 0
		.amdhsa_user_sgpr_kernarg_segment_ptr 1
		.amdhsa_user_sgpr_dispatch_id 0
		.amdhsa_user_sgpr_private_segment_size 0
		.amdhsa_wavefront_size32 1
		.amdhsa_uses_dynamic_stack 0
		.amdhsa_enable_private_segment 0
		.amdhsa_system_sgpr_workgroup_id_x 1
		.amdhsa_system_sgpr_workgroup_id_y 1
		.amdhsa_system_sgpr_workgroup_id_z 1
		.amdhsa_system_sgpr_workgroup_info 0
		.amdhsa_system_vgpr_workitem_id 0
		.amdhsa_next_free_vgpr 142
		.amdhsa_next_free_sgpr 39
		.amdhsa_reserve_vcc 1
		.amdhsa_float_round_mode_32 0
		.amdhsa_float_round_mode_16_64 0
		.amdhsa_float_denorm_mode_32 3
		.amdhsa_float_denorm_mode_16_64 3
		.amdhsa_dx10_clamp 1
		.amdhsa_ieee_mode 1
		.amdhsa_fp16_overflow 0
		.amdhsa_workgroup_processor_mode 1
		.amdhsa_memory_ordered 1
		.amdhsa_forward_progress 0
		.amdhsa_shared_vgpr_count 0
		.amdhsa_exception_fp_ieee_invalid_op 0
		.amdhsa_exception_fp_denorm_src 0
		.amdhsa_exception_fp_ieee_div_zero 0
		.amdhsa_exception_fp_ieee_overflow 0
		.amdhsa_exception_fp_ieee_underflow 0
		.amdhsa_exception_fp_ieee_inexact 0
		.amdhsa_exception_int_div_zero 0
	.end_amdhsa_kernel
	.section	.text._Z39paged_attention_ll4mi_QKV_mfma16_kernelI14__hip_bfloat16S0_LN4vllm18Fp8KVCacheDataTypeE0ES0_Li32ELi64ELi256ELb1ELi13EL8MFMAType0EEvPKT_PKT0_S9_ifPKiSB_SB_iPKfiiiPfSE_PS4_PT2_iSD_SD_,"axG",@progbits,_Z39paged_attention_ll4mi_QKV_mfma16_kernelI14__hip_bfloat16S0_LN4vllm18Fp8KVCacheDataTypeE0ES0_Li32ELi64ELi256ELb1ELi13EL8MFMAType0EEvPKT_PKT0_S9_ifPKiSB_SB_iPKfiiiPfSE_PS4_PT2_iSD_SD_,comdat
.Lfunc_end550:
	.size	_Z39paged_attention_ll4mi_QKV_mfma16_kernelI14__hip_bfloat16S0_LN4vllm18Fp8KVCacheDataTypeE0ES0_Li32ELi64ELi256ELb1ELi13EL8MFMAType0EEvPKT_PKT0_S9_ifPKiSB_SB_iPKfiiiPfSE_PS4_PT2_iSD_SD_, .Lfunc_end550-_Z39paged_attention_ll4mi_QKV_mfma16_kernelI14__hip_bfloat16S0_LN4vllm18Fp8KVCacheDataTypeE0ES0_Li32ELi64ELi256ELb1ELi13EL8MFMAType0EEvPKT_PKT0_S9_ifPKiSB_SB_iPKfiiiPfSE_PS4_PT2_iSD_SD_
                                        ; -- End function
	.section	.AMDGPU.csdata,"",@progbits
; Kernel info:
; codeLenInByte = 9588
; NumSgprs: 41
; NumVgprs: 142
; ScratchSize: 0
; MemoryBound: 0
; FloatMode: 240
; IeeeMode: 1
; LDSByteSize: 17472 bytes/workgroup (compile time only)
; SGPRBlocks: 5
; VGPRBlocks: 17
; NumSGPRsForWavesPerEU: 41
; NumVGPRsForWavesPerEU: 142
; Occupancy: 10
; WaveLimiterHint : 1
; COMPUTE_PGM_RSRC2:SCRATCH_EN: 0
; COMPUTE_PGM_RSRC2:USER_SGPR: 13
; COMPUTE_PGM_RSRC2:TRAP_HANDLER: 0
; COMPUTE_PGM_RSRC2:TGID_X_EN: 1
; COMPUTE_PGM_RSRC2:TGID_Y_EN: 1
; COMPUTE_PGM_RSRC2:TGID_Z_EN: 1
; COMPUTE_PGM_RSRC2:TIDIG_COMP_CNT: 0
	.section	.text._Z39paged_attention_ll4mi_QKV_mfma16_kernelI14__hip_bfloat16S0_LN4vllm18Fp8KVCacheDataTypeE0ES0_Li32ELi64ELi256ELb1ELi14EL8MFMAType0EEvPKT_PKT0_S9_ifPKiSB_SB_iPKfiiiPfSE_PS4_PT2_iSD_SD_,"axG",@progbits,_Z39paged_attention_ll4mi_QKV_mfma16_kernelI14__hip_bfloat16S0_LN4vllm18Fp8KVCacheDataTypeE0ES0_Li32ELi64ELi256ELb1ELi14EL8MFMAType0EEvPKT_PKT0_S9_ifPKiSB_SB_iPKfiiiPfSE_PS4_PT2_iSD_SD_,comdat
	.protected	_Z39paged_attention_ll4mi_QKV_mfma16_kernelI14__hip_bfloat16S0_LN4vllm18Fp8KVCacheDataTypeE0ES0_Li32ELi64ELi256ELb1ELi14EL8MFMAType0EEvPKT_PKT0_S9_ifPKiSB_SB_iPKfiiiPfSE_PS4_PT2_iSD_SD_ ; -- Begin function _Z39paged_attention_ll4mi_QKV_mfma16_kernelI14__hip_bfloat16S0_LN4vllm18Fp8KVCacheDataTypeE0ES0_Li32ELi64ELi256ELb1ELi14EL8MFMAType0EEvPKT_PKT0_S9_ifPKiSB_SB_iPKfiiiPfSE_PS4_PT2_iSD_SD_
	.globl	_Z39paged_attention_ll4mi_QKV_mfma16_kernelI14__hip_bfloat16S0_LN4vllm18Fp8KVCacheDataTypeE0ES0_Li32ELi64ELi256ELb1ELi14EL8MFMAType0EEvPKT_PKT0_S9_ifPKiSB_SB_iPKfiiiPfSE_PS4_PT2_iSD_SD_
	.p2align	8
	.type	_Z39paged_attention_ll4mi_QKV_mfma16_kernelI14__hip_bfloat16S0_LN4vllm18Fp8KVCacheDataTypeE0ES0_Li32ELi64ELi256ELb1ELi14EL8MFMAType0EEvPKT_PKT0_S9_ifPKiSB_SB_iPKfiiiPfSE_PS4_PT2_iSD_SD_,@function
_Z39paged_attention_ll4mi_QKV_mfma16_kernelI14__hip_bfloat16S0_LN4vllm18Fp8KVCacheDataTypeE0ES0_Li32ELi64ELi256ELb1ELi14EL8MFMAType0EEvPKT_PKT0_S9_ifPKiSB_SB_iPKfiiiPfSE_PS4_PT2_iSD_SD_: ; @_Z39paged_attention_ll4mi_QKV_mfma16_kernelI14__hip_bfloat16S0_LN4vllm18Fp8KVCacheDataTypeE0ES0_Li32ELi64ELi256ELb1ELi14EL8MFMAType0EEvPKT_PKT0_S9_ifPKiSB_SB_iPKfiiiPfSE_PS4_PT2_iSD_SD_
; %bb.0:
	s_load_b64 s[2:3], s[0:1], 0x30
	s_mov_b32 s30, s13
	s_waitcnt lgkmcnt(0)
	s_cmp_lg_u64 s[2:3], 0
	s_cselect_b32 s6, -1, 0
	s_ashr_i32 s31, s13, 31
	s_cmp_eq_u64 s[2:3], 0
	s_cbranch_scc1 .LBB551_3
; %bb.1:
	s_lshl_b64 s[4:5], s[30:31], 2
	s_delay_alu instid0(SALU_CYCLE_1) | instskip(SKIP_4) | instid1(SALU_CYCLE_1)
	s_add_u32 s4, s2, s4
	s_addc_u32 s5, s3, s5
	s_load_b64 s[4:5], s[4:5], 0x0
	s_waitcnt lgkmcnt(0)
	s_sub_i32 s4, s5, s4
	s_cmp_eq_u32 s4, 1
	s_cselect_b32 s4, -1, 0
	s_delay_alu instid0(SALU_CYCLE_1)
	s_and_not1_b32 vcc_lo, exec_lo, s4
	s_cbranch_vccz .LBB551_4
.LBB551_2:
	s_endpgm
.LBB551_3:
.LBB551_4:
	s_load_b64 s[8:9], s[0:1], 0x28
	s_lshl_b64 s[4:5], s[30:31], 2
	s_waitcnt lgkmcnt(0)
	s_add_u32 s8, s8, s4
	s_addc_u32 s9, s9, s5
	s_lshl_b32 s16, s14, 8
	s_load_b32 s18, s[8:9], 0x0
	s_waitcnt lgkmcnt(0)
	s_cmp_ge_i32 s16, s18
	s_cbranch_scc1 .LBB551_2
; %bb.5:
	s_and_not1_b32 vcc_lo, exec_lo, s6
	s_cbranch_vccnz .LBB551_7
; %bb.6:
	s_add_u32 s2, s2, s4
	s_addc_u32 s3, s3, s5
	s_load_b32 s17, s[2:3], 0x0
	s_branch .LBB551_8
.LBB551_7:
	s_mov_b32 s17, s30
.LBB551_8:
	s_clause 0x2
	s_load_b128 s[8:11], s[0:1], 0x8
	s_load_b64 s[12:13], s[0:1], 0x20
	s_load_b128 s[4:7], s[0:1], 0x48
	v_and_b32_e32 v73, 15, v0
	v_cmp_lt_u32_e32 vcc_lo, 0xdf, v0
	s_delay_alu instid0(VALU_DEP_2) | instskip(SKIP_2) | instid1(VALU_DEP_3)
	v_cmp_lt_u32_e64 s3, 7, v73
	v_lshlrev_b32_e32 v1, 3, v73
	v_cmp_gt_u32_e64 s2, 8, v73
	s_or_b32 s3, vcc_lo, s3
	s_waitcnt lgkmcnt(0)
	s_and_saveexec_b32 s7, s3
	s_delay_alu instid0(SALU_CYCLE_1)
	s_xor_b32 s3, exec_lo, s7
; %bb.9:
	v_mov_b32_e32 v2, 0
; %bb.10:
	s_or_saveexec_b32 s3, s3
	v_lshrrev_b32_e32 v74, 5, v0
	v_and_b32_e32 v75, 31, v0
	v_and_b32_e32 v84, 1, v0
	v_bfe_u32 v83, v0, 4, 1
	s_mul_i32 s31, s15, 14
	s_xor_b32 exec_lo, exec_lo, s3
	s_cbranch_execz .LBB551_12
; %bb.11:
	s_load_b64 s[20:21], s[0:1], 0x0
	v_lshl_or_b32 v7, v74, 1, v83
	s_mul_hi_i32 s23, s17, s4
	s_mul_i32 s22, s17, s4
	v_lshlrev_b32_e32 v4, 1, v1
	s_lshl_b64 s[22:23], s[22:23], 1
	v_add_lshl_u32 v2, v7, s31, 6
	v_lshlrev_b32_e32 v7, 6, v7
	v_lshlrev_b32_e32 v8, 10, v84
	s_delay_alu instid0(VALU_DEP_3) | instskip(NEXT) | instid1(VALU_DEP_1)
	v_ashrrev_i32_e32 v3, 31, v2
	v_lshlrev_b64 v[2:3], 1, v[2:3]
	s_waitcnt lgkmcnt(0)
	s_add_u32 s4, s20, s22
	s_addc_u32 s7, s21, s23
	s_delay_alu instid0(VALU_DEP_1) | instskip(NEXT) | instid1(VALU_DEP_2)
	v_add_co_u32 v2, vcc_lo, s4, v2
	v_add_co_ci_u32_e32 v3, vcc_lo, s7, v3, vcc_lo
	s_delay_alu instid0(VALU_DEP_2) | instskip(NEXT) | instid1(VALU_DEP_2)
	v_add_co_u32 v2, vcc_lo, v2, v4
	v_add_co_ci_u32_e32 v3, vcc_lo, 0, v3, vcc_lo
	global_load_b128 v[3:6], v[2:3], off
	v_lshlrev_b32_e32 v2, 10, v73
	s_delay_alu instid0(VALU_DEP_1) | instskip(NEXT) | instid1(VALU_DEP_1)
	v_and_b32_e32 v2, 0x3800, v2
	v_or3_b32 v7, v2, v8, v7
	v_mov_b32_e32 v2, 0
	s_waitcnt vmcnt(0)
	ds_store_b128 v7, v[3:6]
.LBB551_12:
	s_or_b32 exec_lo, exec_lo, s3
	v_and_b32_e32 v3, 0xef, v0
	s_add_i32 s3, s18, 31
	s_clause 0x1
	s_load_b32 s4, s[0:1], 0x38
	s_load_b32 s19, s[0:1], 0x1c
	s_ashr_i32 s7, s3, 31
	v_add_nc_u32_e32 v3, s16, v3
	s_lshr_b32 s7, s7, 27
	s_waitcnt lgkmcnt(0)
	s_add_i32 s3, s3, s7
	s_barrier
	v_ashrrev_i32_e32 v4, 31, v3
	v_cmp_gt_i32_e32 vcc_lo, s18, v3
	s_ashr_i32 s3, s3, 5
	buffer_gl0_inv
	s_add_i32 s3, s3, -1
	v_lshrrev_b32_e32 v5, 27, v4
	v_or_b32_e32 v4, 16, v3
	s_mul_i32 s6, s15, s6
	v_lshlrev_b64 v[81:82], 1, v[1:2]
	s_delay_alu instid0(VALU_DEP_3) | instskip(NEXT) | instid1(VALU_DEP_3)
	v_add_nc_u32_e32 v6, v3, v5
	v_add_nc_u32_e32 v5, v4, v5
	s_mul_i32 s20, s30, s4
	s_delay_alu instid0(SALU_CYCLE_1) | instskip(NEXT) | instid1(VALU_DEP_2)
	s_ashr_i32 s21, s20, 31
	v_ashrrev_i32_e32 v6, 5, v6
	s_delay_alu instid0(VALU_DEP_2) | instskip(SKIP_1) | instid1(SALU_CYCLE_1)
	v_ashrrev_i32_e32 v5, 5, v5
	s_lshl_b64 s[20:21], s[20:21], 2
	s_add_u32 s4, s12, s20
	s_delay_alu instid0(VALU_DEP_2) | instskip(SKIP_3) | instid1(SALU_CYCLE_1)
	v_cndmask_b32_e32 v3, s3, v6, vcc_lo
	v_cmp_gt_i32_e32 vcc_lo, s18, v4
	s_addc_u32 s17, s13, s21
	s_ashr_i32 s7, s6, 31
	s_lshl_b64 s[6:7], s[6:7], 1
	v_cndmask_b32_e32 v5, s3, v5, vcc_lo
	v_ashrrev_i32_e32 v4, 31, v3
	s_add_u32 s15, s8, s6
	s_addc_u32 s28, s9, s7
	s_lshl_b32 s8, s14, 3
	v_ashrrev_i32_e32 v6, 31, v5
	v_lshlrev_b64 v[3:4], 2, v[3:4]
	s_ashr_i32 s9, s8, 31
	s_delay_alu instid0(SALU_CYCLE_1) | instskip(NEXT) | instid1(VALU_DEP_2)
	s_lshl_b64 s[8:9], s[8:9], 2
	v_lshlrev_b64 v[5:6], 2, v[5:6]
	s_add_u32 s8, s4, s8
	s_delay_alu instid0(VALU_DEP_2) | instskip(SKIP_1) | instid1(VALU_DEP_3)
	v_add_co_u32 v3, vcc_lo, s4, v3
	v_add_co_ci_u32_e32 v4, vcc_lo, s17, v4, vcc_lo
	v_add_co_u32 v5, vcc_lo, s4, v5
	s_delay_alu instid0(VALU_DEP_4)
	v_add_co_ci_u32_e32 v6, vcc_lo, s17, v6, vcc_lo
	s_addc_u32 s9, s17, s9
	s_clause 0x1
	global_load_b32 v7, v[3:4], off
	global_load_b32 v8, v[5:6], off
	s_or_b32 s12, s16, 32
	s_delay_alu instid0(SALU_CYCLE_1) | instskip(SKIP_2) | instid1(SALU_CYCLE_1)
	s_ashr_i32 s13, s12, 5
	s_cmp_lt_i32 s12, s18
	s_cselect_b32 s12, s13, s3
	s_ashr_i32 s13, s12, 31
	s_delay_alu instid0(SALU_CYCLE_1) | instskip(NEXT) | instid1(SALU_CYCLE_1)
	s_lshl_b64 s[12:13], s[12:13], 2
	s_add_u32 s12, s4, s12
	s_addc_u32 s13, s17, s13
	s_or_b32 s20, s16, 64
	s_delay_alu instid0(SALU_CYCLE_1) | instskip(SKIP_2) | instid1(SALU_CYCLE_1)
	s_ashr_i32 s21, s20, 5
	s_cmp_lt_i32 s20, s18
	s_cselect_b32 s20, s21, s3
	s_ashr_i32 s21, s20, 31
	s_delay_alu instid0(SALU_CYCLE_1) | instskip(NEXT) | instid1(SALU_CYCLE_1)
	s_lshl_b64 s[20:21], s[20:21], 2
	s_add_u32 s20, s4, s20
	s_addc_u32 s21, s17, s21
	;; [unrolled: 10-line block ×5, first 2 shown]
	s_clause 0x5
	s_load_b32 s29, s[8:9], 0x0
	s_load_b32 s33, s[12:13], 0x0
	;; [unrolled: 1-line block ×6, first 2 shown]
	s_mov_b32 s20, 0
	s_or_b32 s8, s16, 0xc0
	s_mov_b32 s21, s20
	s_mov_b32 s22, s20
	;; [unrolled: 1-line block ×7, first 2 shown]
	s_ashr_i32 s9, s8, 5
	v_mov_b32_e32 v117, s27
	s_cmp_lt_i32 s8, s18
	v_mov_b32_e32 v116, s26
	s_cselect_b32 s8, s9, s3
	v_mov_b32_e32 v115, s25
	s_ashr_i32 s9, s8, 31
	v_dual_mov_b32 v114, s24 :: v_dual_mov_b32 v113, s23
	v_dual_mov_b32 v112, s22 :: v_dual_mov_b32 v111, s21
	s_lshl_b64 s[8:9], s[8:9], 2
	s_waitcnt lgkmcnt(0)
	s_mul_hi_i32 s13, s29, s5
	s_add_u32 s8, s4, s8
	s_addc_u32 s9, s17, s9
	s_mul_i32 s12, s29, s5
	v_mov_b32_e32 v110, s20
	s_mul_hi_i32 s21, s33, s5
	s_mul_i32 s20, s33, s5
	s_mul_hi_i32 s25, s34, s5
	s_mul_i32 s24, s34, s5
	;; [unrolled: 2-line block ×4, first 2 shown]
	s_waitcnt vmcnt(1)
	v_mad_i64_i32 v[3:4], null, v7, s5, 0
	s_waitcnt vmcnt(0)
	v_mad_i64_i32 v[5:6], null, v8, s5, 0
	s_delay_alu instid0(VALU_DEP_2) | instskip(NEXT) | instid1(VALU_DEP_2)
	v_lshlrev_b64 v[3:4], 1, v[3:4]
	v_lshlrev_b64 v[1:2], 1, v[5:6]
	s_delay_alu instid0(VALU_DEP_2) | instskip(NEXT) | instid1(VALU_DEP_3)
	v_add_co_u32 v3, vcc_lo, s15, v3
	v_add_co_ci_u32_e32 v4, vcc_lo, s28, v4, vcc_lo
	s_delay_alu instid0(VALU_DEP_3) | instskip(NEXT) | instid1(VALU_DEP_4)
	v_add_co_u32 v1, vcc_lo, s15, v1
	v_add_co_ci_u32_e32 v2, vcc_lo, s28, v2, vcc_lo
	s_delay_alu instid0(VALU_DEP_4) | instskip(NEXT) | instid1(VALU_DEP_4)
	v_add_co_u32 v41, vcc_lo, v3, v81
	v_add_co_ci_u32_e32 v42, vcc_lo, v4, v82, vcc_lo
	s_delay_alu instid0(VALU_DEP_4) | instskip(NEXT) | instid1(VALU_DEP_4)
	v_add_co_u32 v43, vcc_lo, v1, v81
	v_add_co_ci_u32_e32 v44, vcc_lo, v2, v82, vcc_lo
	s_clause 0xf
	global_load_b128 v[1:4], v[41:42], off
	global_load_b128 v[5:8], v[41:42], off offset:512
	global_load_b128 v[9:12], v[43:44], off offset:256
	;; [unrolled: 1-line block ×15, first 2 shown]
	v_add_nc_u32_e32 v41, -14, v73
	v_cmp_gt_u32_e32 vcc_lo, 14, v73
	s_or_b32 s15, s16, 0xe0
	s_delay_alu instid0(SALU_CYCLE_1) | instskip(SKIP_3) | instid1(SALU_CYCLE_1)
	s_ashr_i32 s22, s15, 5
	s_cmp_lt_i32 s15, s18
	v_cndmask_b32_e32 v41, v41, v73, vcc_lo
	s_cselect_b32 s22, s22, s3
	s_ashr_i32 s23, s22, 31
	s_delay_alu instid0(VALU_DEP_1)
	v_lshlrev_b32_e32 v57, 6, v41
	ds_load_b128 v[41:44], v57
	ds_load_b128 v[45:48], v57 offset:1024
	ds_load_b128 v[49:52], v57 offset:2048
	;; [unrolled: 1-line block ×7, first 2 shown]
	s_lshl_b64 s[22:23], s[22:23], 2
	s_delay_alu instid0(SALU_CYCLE_1) | instskip(SKIP_2) | instid1(SALU_CYCLE_1)
	s_add_u32 s22, s4, s22
	s_addc_u32 s23, s17, s23
	s_add_i32 s15, s16, 0x100
	s_ashr_i32 s28, s15, 5
	s_cmp_lt_i32 s15, s18
	s_load_b32 s15, s[8:9], 0x0
	s_cselect_b32 s28, s28, s3
	s_mul_hi_i32 s9, s36, s5
	s_ashr_i32 s29, s28, 31
	s_mul_i32 s8, s36, s5
	s_lshl_b64 s[28:29], s[28:29], 2
	s_delay_alu instid0(SALU_CYCLE_1)
	s_add_u32 s28, s4, s28
	s_addc_u32 s29, s17, s29
	s_add_u32 s3, s10, s6
	s_clause 0x1
	s_load_b32 s4, s[22:23], 0x0
	s_load_b32 s17, s[28:29], 0x0
	s_addc_u32 s28, s11, s7
	s_lshl_b64 s[6:7], s[12:13], 1
	s_lshl_b64 s[10:11], s[20:21], 1
	;; [unrolled: 1-line block ×6, first 2 shown]
	s_waitcnt lgkmcnt(0)
	s_mul_hi_i32 s25, s15, s5
	s_mul_i32 s24, s15, s5
	s_waitcnt vmcnt(14)
	v_wmma_f32_16x16x16_bf16 v[134:141], v[1:8], v[41:48], v[110:117]
	s_waitcnt vmcnt(10)
	s_delay_alu instid0(VALU_DEP_1) | instskip(SKIP_1) | instid1(VALU_DEP_1)
	v_wmma_f32_16x16x16_bf16 v[134:141], v[17:24], v[49:56], v[134:141]
	s_waitcnt vmcnt(6)
	v_wmma_f32_16x16x16_bf16 v[134:141], v[33:40], v[118:125], v[134:141]
	s_waitcnt vmcnt(2)
	s_delay_alu instid0(VALU_DEP_1) | instskip(SKIP_1) | instid1(VALU_DEP_2)
	v_wmma_f32_16x16x16_bf16 v[134:141], v[94:101], v[126:133], v[134:141]
	v_lshlrev_b32_e32 v85, 6, v73
	v_mul_f32_e32 v100, s19, v141
	s_delay_alu instid0(VALU_DEP_2) | instskip(SKIP_2) | instid1(VALU_DEP_3)
	v_lshl_or_b32 v58, v74, 10, v85
	v_wmma_f32_16x16x16_bf16 v[110:117], v[9:16], v[41:48], v[110:117]
	v_mul_f32_e32 v99, s19, v135
	v_add_co_u32 v76, s3, s3, v58
	s_delay_alu instid0(VALU_DEP_1) | instskip(NEXT) | instid1(VALU_DEP_4)
	v_add_co_ci_u32_e64 v77, null, s28, 0, s3
	v_wmma_f32_16x16x16_bf16 v[110:117], v[25:32], v[49:56], v[110:117]
	s_delay_alu instid0(VALU_DEP_3) | instskip(NEXT) | instid1(VALU_DEP_3)
	v_add_co_u32 v57, vcc_lo, v76, s6
	v_add_co_ci_u32_e32 v58, vcc_lo, s7, v77, vcc_lo
	v_add_co_u32 v1, vcc_lo, v76, s10
	v_add_co_ci_u32_e32 v2, vcc_lo, s11, v77, vcc_lo
	;; [unrolled: 2-line block ×5, first 2 shown]
	s_clause 0x9
	global_load_b128 v[65:68], v[57:58], off
	global_load_b128 v[69:72], v[57:58], off offset:16
	global_load_b128 v[57:60], v[1:2], off
	global_load_b128 v[61:64], v[1:2], off offset:16
	global_load_b128 v[49:52], v[3:4], off
	global_load_b128 v[53:56], v[3:4], off offset:16
	global_load_b128 v[41:44], v[5:6], off
	global_load_b128 v[45:48], v[5:6], off offset:16
	global_load_b128 v[9:12], v[7:8], off
	global_load_b128 v[13:16], v[7:8], off offset:16
	v_add_co_u32 v5, vcc_lo, v76, s22
	s_lshl_b64 s[6:7], s[24:25], 1
	v_add_co_ci_u32_e32 v6, vcc_lo, s23, v77, vcc_lo
	s_mul_hi_i32 s9, s4, s5
	s_mul_i32 s8, s4, s5
	v_add_co_u32 v17, vcc_lo, v76, s6
	v_add_co_ci_u32_e32 v18, vcc_lo, s7, v77, vcc_lo
	s_lshl_b64 s[6:7], s[8:9], 1
	s_mul_hi_i32 s9, s17, s5
	s_mul_i32 s8, s17, s5
	v_add_co_u32 v19, vcc_lo, v76, s6
	s_lshl_b64 s[4:5], s[8:9], 1
	v_add_co_ci_u32_e32 v20, vcc_lo, s7, v77, vcc_lo
	v_add_co_u32 v21, vcc_lo, v76, s4
	v_add_co_ci_u32_e32 v22, vcc_lo, s5, v77, vcc_lo
	s_clause 0x7
	global_load_b128 v[1:4], v[5:6], off
	global_load_b128 v[5:8], v[5:6], off offset:16
	global_load_b128 v[33:36], v[17:18], off
	global_load_b128 v[37:40], v[17:18], off offset:16
	global_load_b128 v[25:28], v[19:20], off
	global_load_b128 v[29:32], v[19:20], off offset:16
	global_load_b128 v[17:20], v[21:22], off
	global_load_b128 v[21:24], v[21:22], off offset:16
	v_and_b32_e32 v76, 0xe0, v0
	v_mbcnt_lo_u32_b32 v77, -1, 0
	v_wmma_f32_16x16x16_bf16 v[110:117], v[86:93], v[118:125], v[110:117]
	s_waitcnt vmcnt(0)
	s_barrier
	v_add_nc_u32_e32 v76, s16, v76
	v_xor_b32_e32 v78, 16, v77
	v_wmma_f32_16x16x16_bf16 v[110:117], v[102:109], v[126:133], v[110:117]
	v_mul_f32_e32 v97, s19, v134
	buffer_gl0_inv
	v_or_b32_e32 v76, v76, v83
	v_cmp_gt_i32_e32 vcc_lo, 32, v78
	s_delay_alu instid0(VALU_DEP_2)
	v_or_b32_e32 v79, 4, v76
	v_cndmask_b32_e32 v77, v77, v78, vcc_lo
	v_or_b32_e32 v78, 2, v76
	v_or_b32_e32 v80, 6, v76
	v_cmp_gt_i32_e32 vcc_lo, s18, v76
	v_or_b32_e32 v86, 8, v76
	v_or_b32_e32 v87, 10, v76
	v_cmp_gt_i32_e64 s3, s18, v78
	v_or_b32_e32 v88, 12, v76
	v_or_b32_e32 v89, 14, v76
	;; [unrolled: 1-line block ×10, first 2 shown]
	v_cndmask_b32_e32 v76, 0xff7fffff, v97, vcc_lo
	v_cndmask_b32_e64 v78, 0xff7fffff, v99, s3
	v_mul_f32_e32 v99, s19, v137
	v_cmp_gt_i32_e64 s4, s18, v80
	v_mul_f32_e32 v80, s19, v136
	v_cmp_gt_i32_e64 s5, s18, v79
	v_max3_f32 v76, v76, 0xff7fffff, v78
	v_dual_mul_f32 v78, s19, v138 :: v_dual_mul_f32 v79, s19, v139
	v_cndmask_b32_e64 v99, 0xff7fffff, v99, s4
	s_delay_alu instid0(VALU_DEP_4)
	v_cndmask_b32_e64 v80, 0xff7fffff, v80, s5
	v_cmp_gt_i32_e64 s6, s18, v86
	v_cmp_gt_i32_e64 s7, s18, v87
	v_mul_f32_e32 v97, s19, v140
	v_cmp_gt_i32_e64 s8, s18, v89
	v_max3_f32 v76, v76, v80, v99
	v_cndmask_b32_e64 v78, 0xff7fffff, v78, s6
	v_cndmask_b32_e64 v79, 0xff7fffff, v79, s7
	v_cmp_gt_i32_e64 s9, s18, v88
	v_dual_mul_f32 v88, s19, v111 :: v_dual_mul_f32 v89, s19, v110
	v_cndmask_b32_e64 v100, 0xff7fffff, v100, s8
	s_delay_alu instid0(VALU_DEP_4) | instskip(NEXT) | instid1(VALU_DEP_4)
	v_max3_f32 v76, v76, v78, v79
	v_cndmask_b32_e64 v97, 0xff7fffff, v97, s9
	v_cmp_gt_i32_e64 s10, s18, v90
	v_cmp_gt_i32_e64 s11, s18, v91
	v_dual_mul_f32 v78, s19, v113 :: v_dual_mul_f32 v79, s19, v112
	s_delay_alu instid0(VALU_DEP_4) | instskip(NEXT) | instid1(VALU_DEP_4)
	v_max3_f32 v76, v76, v97, v100
	v_cndmask_b32_e64 v89, 0xff7fffff, v89, s10
	s_delay_alu instid0(VALU_DEP_4)
	v_cndmask_b32_e64 v88, 0xff7fffff, v88, s11
	v_cmp_gt_i32_e64 s12, s18, v92
	v_cmp_gt_i32_e64 s13, s18, v93
	v_mul_f32_e32 v87, s19, v115
	v_mul_f32_e32 v99, s19, v114
	v_max3_f32 v76, v76, v89, v88
	v_cndmask_b32_e64 v79, 0xff7fffff, v79, s12
	v_cndmask_b32_e64 v78, 0xff7fffff, v78, s13
	v_cmp_gt_i32_e64 s15, s18, v94
	v_cmp_gt_i32_e64 s16, s18, v95
	v_mul_f32_e32 v80, s19, v117
	v_mul_f32_e32 v86, s19, v116
	v_max3_f32 v76, v76, v79, v78
	v_cndmask_b32_e64 v88, 0xff7fffff, v99, s15
	v_cndmask_b32_e64 v87, 0xff7fffff, v87, s16
	v_cmp_gt_i32_e64 s17, s18, v96
	v_cmp_gt_i32_e64 s18, s18, v98
	v_lshlrev_b32_e32 v99, 2, v77
	s_delay_alu instid0(VALU_DEP_4) | instskip(NEXT) | instid1(VALU_DEP_4)
	v_max3_f32 v76, v76, v88, v87
	v_cndmask_b32_e64 v78, 0xff7fffff, v86, s17
	s_delay_alu instid0(VALU_DEP_4) | instskip(NEXT) | instid1(VALU_DEP_1)
	v_cndmask_b32_e64 v79, 0xff7fffff, v80, s18
	v_max3_f32 v76, v76, v78, v79
	ds_bpermute_b32 v77, v99, v76
	s_waitcnt lgkmcnt(0)
	v_max_f32_e32 v77, v77, v77
	s_delay_alu instid0(VALU_DEP_1) | instskip(NEXT) | instid1(VALU_DEP_1)
	v_max_f32_e32 v76, v76, v77
	v_fma_f32 v77, s19, v134, -v76
	v_fma_f32 v78, s19, v135, -v76
	;; [unrolled: 1-line block ×5, first 2 shown]
	s_delay_alu instid0(VALU_DEP_4) | instskip(SKIP_1) | instid1(VALU_DEP_4)
	v_dual_mul_f32 v77, 0x3fb8aa3b, v77 :: v_dual_mul_f32 v78, 0x3fb8aa3b, v78
	v_fma_f32 v88, s19, v114, -v76
	v_dual_mul_f32 v79, 0x3fb8aa3b, v79 :: v_dual_mul_f32 v80, 0x3fb8aa3b, v80
	s_delay_alu instid0(VALU_DEP_3) | instskip(NEXT) | instid1(VALU_DEP_3)
	v_exp_f32_e32 v77, v77
	v_exp_f32_e32 v78, v78
	s_delay_alu instid0(VALU_DEP_2) | instskip(NEXT) | instid1(VALU_DEP_2)
	v_mul_f32_e32 v88, 0x3fb8aa3b, v88
	v_exp_f32_e32 v79, v79
	v_mul_f32_e32 v86, 0x3fb8aa3b, v86
	v_exp_f32_e32 v80, v80
	v_fma_f32 v87, s19, v140, -v76
	v_fma_f32 v100, s19, v117, -v76
	;; [unrolled: 1-line block ×3, first 2 shown]
	v_exp_f32_e32 v86, v86
	v_cndmask_b32_e32 v92, 0, v77, vcc_lo
	v_fma_f32 v77, s19, v139, -v76
	v_cndmask_b32_e64 v91, 0, v78, s3
	v_cndmask_b32_e64 v93, 0, v79, s5
	v_fma_f32 v79, s19, v141, -v76
	s_delay_alu instid0(VALU_DEP_4) | instskip(SKIP_2) | instid1(TRANS32_DEP_1)
	v_dual_add_f32 v78, 0, v92 :: v_dual_mul_f32 v77, 0x3fb8aa3b, v77
	v_cndmask_b32_e64 v95, 0, v80, s4
	v_mul_f32_e32 v87, 0x3fb8aa3b, v87
	v_cndmask_b32_e64 v96, 0, v86, s6
	s_delay_alu instid0(VALU_DEP_4)
	v_add_f32_e32 v78, v78, v91
	v_exp_f32_e32 v77, v77
	v_fma_f32 v86, s19, v111, -v76
	v_fma_f32 v80, s19, v110, -v76
	v_exp_f32_e32 v87, v87
	v_add_f32_e32 v78, v78, v93
	v_mul_f32_e32 v100, 0x3fb8aa3b, v100
	v_mul_f32_e32 v86, 0x3fb8aa3b, v86
	;; [unrolled: 1-line block ×3, first 2 shown]
	v_exp_f32_e32 v88, v88
	v_add_f32_e32 v78, v78, v95
	v_cndmask_b32_e64 v97, 0, v77, s7
	v_exp_f32_e32 v86, v86
	v_exp_f32_e32 v80, v80
	v_cndmask_b32_e64 v94, 0, v87, s9
	v_add_f32_e32 v77, v78, v96
	v_fma_f32 v78, s19, v112, -v76
	v_fma_f32 v87, s19, v113, -v76
	v_exp_f32_e32 v100, v100
	s_mov_b32 s3, exec_lo
	s_delay_alu instid0(VALU_DEP_2) | instskip(NEXT) | instid1(VALU_DEP_2)
	v_dual_add_f32 v77, v77, v97 :: v_dual_mul_f32 v78, 0x3fb8aa3b, v78
	v_mul_f32_e32 v87, 0x3fb8aa3b, v87
	s_delay_alu instid0(VALU_DEP_2) | instskip(SKIP_2) | instid1(VALU_DEP_3)
	v_exp_f32_e32 v89, v78
	v_cndmask_b32_e64 v78, 0, v86, s11
	v_mul_f32_e32 v79, 0x3fb8aa3b, v79
	v_exp_f32_e32 v87, v87
	s_delay_alu instid0(VALU_DEP_1)
	v_exp_f32_e32 v79, v79
	s_waitcnt_depctr 0xfff
	v_cndmask_b32_e64 v98, 0, v79, s8
	v_add_f32_e32 v79, v77, v94
	v_cndmask_b32_e64 v77, 0, v80, s10
	v_fma_f32 v80, s19, v115, -v76
	s_delay_alu instid0(VALU_DEP_1) | instskip(NEXT) | instid1(VALU_DEP_1)
	v_dual_add_f32 v79, v79, v98 :: v_dual_mul_f32 v80, 0x3fb8aa3b, v80
	v_add_f32_e32 v86, v79, v77
	v_cndmask_b32_e64 v79, 0, v89, s12
	v_mul_f32_e32 v89, 0x3fb8aa3b, v90
	s_delay_alu instid0(VALU_DEP_4) | instskip(SKIP_2) | instid1(VALU_DEP_3)
	v_exp_f32_e32 v90, v80
	v_cndmask_b32_e64 v80, 0, v87, s13
	v_add_f32_e32 v86, v86, v78
	v_exp_f32_e32 v89, v89
	s_delay_alu instid0(VALU_DEP_1) | instskip(SKIP_1) | instid1(VALU_DEP_2)
	v_add_f32_e32 v87, v86, v79
	v_cndmask_b32_e64 v86, 0, v88, s15
	v_add_f32_e32 v88, v87, v80
	s_delay_alu instid0(TRANS32_DEP_2) | instskip(NEXT) | instid1(VALU_DEP_2)
	v_cndmask_b32_e64 v87, 0, v90, s16
	v_add_f32_e32 v90, v88, v86
	s_waitcnt_depctr 0xfff
	v_cndmask_b32_e64 v88, 0, v89, s17
	v_add_f32_e32 v89, v90, v87
	s_delay_alu instid0(VALU_DEP_1) | instskip(SKIP_1) | instid1(VALU_DEP_1)
	v_add_f32_e32 v90, v89, v88
	v_cndmask_b32_e64 v89, 0, v100, s18
	v_add_f32_e32 v90, v90, v89
	ds_bpermute_b32 v99, v99, v90
	v_cmpx_gt_u32_e32 16, v75
	s_cbranch_execz .LBB551_14
; %bb.13:
	v_mul_u32_u24_e32 v75, 0x44, v74
	s_waitcnt lgkmcnt(0)
	v_add_f32_e32 v90, v90, v99
	s_delay_alu instid0(VALU_DEP_2) | instskip(NEXT) | instid1(VALU_DEP_1)
	v_lshl_add_u32 v75, v73, 2, v75
	v_add_nc_u32_e32 v75, 0x4000, v75
	ds_store_2addr_b32 v75, v76, v90 offset1:136
.LBB551_14:
	s_or_b32 exec_lo, exec_lo, s3
	v_lshlrev_b32_e32 v75, 2, v73
	s_waitcnt lgkmcnt(0)
	s_barrier
	buffer_gl0_inv
	v_cmp_eq_u32_e64 s3, 1, v74
	v_add_nc_u32_e32 v90, 0x4000, v75
	ds_load_2addr_b32 v[99:100], v90 offset1:17
	ds_load_2addr_b32 v[101:102], v90 offset0:34 offset1:51
	ds_load_2addr_b32 v[103:104], v90 offset0:68 offset1:85
	;; [unrolled: 1-line block ×4, first 2 shown]
	s_waitcnt lgkmcnt(4)
	v_max3_f32 v75, v99, 0xff7fffff, v100
	s_waitcnt lgkmcnt(3)
	s_delay_alu instid0(VALU_DEP_1) | instskip(SKIP_1) | instid1(VALU_DEP_1)
	v_max3_f32 v75, v75, v101, v102
	s_waitcnt lgkmcnt(2)
	v_max3_f32 v75, v75, v103, v104
	s_waitcnt lgkmcnt(1)
	s_delay_alu instid0(VALU_DEP_1) | instskip(NEXT) | instid1(VALU_DEP_1)
	v_max3_f32 v75, v75, v105, v106
	v_sub_f32_e32 v109, v100, v75
	v_sub_f32_e32 v76, v99, v75
	ds_load_2addr_b32 v[99:100], v90 offset0:170 offset1:187
	v_sub_f32_e32 v101, v101, v75
	v_dual_mul_f32 v109, 0x3fb8aa3b, v109 :: v_dual_mul_f32 v76, 0x3fb8aa3b, v76
	s_delay_alu instid0(VALU_DEP_2) | instskip(NEXT) | instid1(VALU_DEP_2)
	v_mul_f32_e32 v111, 0x3fb8aa3b, v101
	v_exp_f32_e32 v109, v109
	s_delay_alu instid0(VALU_DEP_2)
	v_exp_f32_e32 v110, v76
	v_sub_f32_e32 v76, v102, v75
	ds_load_2addr_b32 v[101:102], v90 offset0:204 offset1:221
	v_exp_f32_e32 v111, v111
	v_mul_f32_e32 v112, 0x3fb8aa3b, v76
	s_waitcnt lgkmcnt(2)
	v_fma_f32 v76, v110, v107, 0
	v_sub_f32_e32 v103, v103, v75
	s_delay_alu instid0(VALU_DEP_3) | instskip(NEXT) | instid1(VALU_DEP_2)
	v_exp_f32_e32 v112, v112
	v_dual_sub_f32 v107, v104, v75 :: v_dual_fmac_f32 v76, v109, v108
	s_waitcnt lgkmcnt(1)
	s_waitcnt_depctr 0xfff
	v_fmac_f32_e32 v76, v111, v99
	v_mul_f32_e32 v113, 0x3fb8aa3b, v103
	ds_load_2addr_b32 v[103:104], v90 offset0:238 offset1:255
	v_sub_f32_e32 v90, v105, v75
	v_dual_sub_f32 v99, v106, v75 :: v_dual_fmac_f32 v76, v112, v100
	v_mul_f32_e32 v105, 0x3fb8aa3b, v107
	v_exp_f32_e32 v107, v113
	s_delay_alu instid0(VALU_DEP_2)
	v_dual_mul_f32 v90, 0x3fb8aa3b, v90 :: v_dual_mul_f32 v99, 0x3fb8aa3b, v99
	s_waitcnt lgkmcnt(0)
	s_barrier
	buffer_gl0_inv
	v_exp_f32_e32 v90, v90
	v_exp_f32_e32 v99, v99
	v_fmac_f32_e32 v76, v107, v101
	v_exp_f32_e32 v105, v105
	s_waitcnt_depctr 0xfff
	v_fmac_f32_e32 v76, v105, v102
	s_delay_alu instid0(VALU_DEP_1) | instskip(NEXT) | instid1(VALU_DEP_1)
	v_fmac_f32_e32 v76, v90, v103
	v_fmac_f32_e32 v76, v99, v104
	s_delay_alu instid0(VALU_DEP_1) | instskip(NEXT) | instid1(VALU_DEP_1)
	v_add_f32_e32 v100, 0x358637bd, v76
	v_div_scale_f32 v101, null, v100, v100, 1.0
	v_div_scale_f32 v104, vcc_lo, 1.0, v100, 1.0
	s_delay_alu instid0(VALU_DEP_2) | instskip(SKIP_2) | instid1(VALU_DEP_1)
	v_rcp_f32_e32 v102, v101
	s_waitcnt_depctr 0xfff
	v_fma_f32 v103, -v101, v102, 1.0
	v_fmac_f32_e32 v102, v103, v102
	v_cndmask_b32_e64 v103, v110, v109, s3
	v_cmp_eq_u32_e64 s3, 2, v74
	s_delay_alu instid0(VALU_DEP_3) | instskip(NEXT) | instid1(VALU_DEP_2)
	v_mul_f32_e32 v106, v104, v102
	v_cndmask_b32_e64 v103, v103, v111, s3
	v_cmp_eq_u32_e64 s3, 3, v74
	s_delay_alu instid0(VALU_DEP_3) | instskip(NEXT) | instid1(VALU_DEP_2)
	v_fma_f32 v108, -v101, v106, v104
	v_cndmask_b32_e64 v103, v103, v112, s3
	v_cmp_eq_u32_e64 s3, 4, v74
	s_delay_alu instid0(VALU_DEP_3) | instskip(NEXT) | instid1(VALU_DEP_2)
	v_fmac_f32_e32 v106, v108, v102
	v_cndmask_b32_e64 v103, v103, v107, s3
	s_delay_alu instid0(VALU_DEP_2) | instskip(SKIP_1) | instid1(VALU_DEP_2)
	v_fma_f32 v101, -v101, v106, v104
	v_cmp_eq_u32_e64 s3, 5, v74
	v_div_fmas_f32 v101, v101, v102, v106
	s_delay_alu instid0(VALU_DEP_2) | instskip(SKIP_2) | instid1(VALU_DEP_3)
	v_cndmask_b32_e64 v103, v103, v105, s3
	v_cmp_eq_u32_e32 vcc_lo, 6, v74
	s_mov_b32 s3, exec_lo
	v_div_fixup_f32 v100, v101, v100, 1.0
	s_delay_alu instid0(VALU_DEP_3) | instskip(SKIP_1) | instid1(VALU_DEP_2)
	v_cndmask_b32_e32 v90, v103, v90, vcc_lo
	v_cmp_eq_u32_e32 vcc_lo, 7, v74
	v_cndmask_b32_e32 v90, v90, v99, vcc_lo
	s_delay_alu instid0(VALU_DEP_1) | instskip(NEXT) | instid1(VALU_DEP_1)
	v_mul_f32_e32 v90, v90, v100
	v_mul_f32_e32 v100, v90, v92
	;; [unrolled: 1-line block ×6, first 2 shown]
	v_and_b32_e32 v101, 0x7f800000, v100
	v_mul_f32_e32 v99, v90, v95
	v_mul_f32_e32 v95, v90, v91
	;; [unrolled: 1-line block ×3, first 2 shown]
                                        ; implicit-def: $vgpr91
	s_delay_alu instid0(VALU_DEP_4)
	v_cmpx_ne_u32_e32 0x7f800000, v101
	s_xor_b32 s3, exec_lo, s3
; %bb.15:
	v_bfe_u32 v91, v100, 16, 1
	s_delay_alu instid0(VALU_DEP_1)
	v_add3_u32 v91, v100, v91, 0x7fff
                                        ; implicit-def: $vgpr100
; %bb.16:
	s_and_not1_saveexec_b32 s3, s3
; %bb.17:
	v_and_b32_e32 v91, 0xffff, v100
	v_or_b32_e32 v93, 0x10000, v100
	s_delay_alu instid0(VALU_DEP_2) | instskip(NEXT) | instid1(VALU_DEP_2)
	v_cmp_eq_u32_e32 vcc_lo, 0, v91
	v_cndmask_b32_e32 v91, v93, v100, vcc_lo
; %bb.18:
	s_or_b32 exec_lo, exec_lo, s3
	v_and_b32_e32 v93, 0x7f800000, v95
	s_delay_alu instid0(VALU_DEP_1) | instskip(SKIP_1) | instid1(SALU_CYCLE_1)
	v_cmp_ne_u32_e32 vcc_lo, 0x7f800000, v93
                                        ; implicit-def: $vgpr93
	s_and_saveexec_b32 s3, vcc_lo
	s_xor_b32 s3, exec_lo, s3
; %bb.19:
	v_bfe_u32 v93, v95, 16, 1
	s_delay_alu instid0(VALU_DEP_1)
	v_add3_u32 v93, v95, v93, 0x7fff
                                        ; implicit-def: $vgpr95
; %bb.20:
	s_and_not1_saveexec_b32 s3, s3
; %bb.21:
	v_and_b32_e32 v93, 0xffff, v95
	v_or_b32_e32 v100, 0x10000, v95
	s_delay_alu instid0(VALU_DEP_2) | instskip(NEXT) | instid1(VALU_DEP_2)
	v_cmp_eq_u32_e32 vcc_lo, 0, v93
	v_cndmask_b32_e32 v93, v100, v95, vcc_lo
; %bb.22:
	s_or_b32 exec_lo, exec_lo, s3
	v_and_b32_e32 v95, 0x7f800000, v96
	s_delay_alu instid0(VALU_DEP_1) | instskip(SKIP_1) | instid1(SALU_CYCLE_1)
	v_cmp_ne_u32_e32 vcc_lo, 0x7f800000, v95
                                        ; implicit-def: $vgpr95
	s_and_saveexec_b32 s3, vcc_lo
	s_xor_b32 s3, exec_lo, s3
; %bb.23:
	v_bfe_u32 v95, v96, 16, 1
	s_delay_alu instid0(VALU_DEP_1)
	v_add3_u32 v95, v96, v95, 0x7fff
                                        ; implicit-def: $vgpr96
; %bb.24:
	s_and_not1_saveexec_b32 s3, s3
; %bb.25:
	v_and_b32_e32 v95, 0xffff, v96
	v_or_b32_e32 v100, 0x10000, v96
	s_delay_alu instid0(VALU_DEP_2) | instskip(NEXT) | instid1(VALU_DEP_2)
	v_cmp_eq_u32_e32 vcc_lo, 0, v95
	v_cndmask_b32_e32 v95, v100, v96, vcc_lo
; %bb.26:
	s_or_b32 exec_lo, exec_lo, s3
	v_and_b32_e32 v96, 0x7f800000, v99
	s_delay_alu instid0(VALU_DEP_1) | instskip(SKIP_1) | instid1(SALU_CYCLE_1)
	v_cmp_ne_u32_e32 vcc_lo, 0x7f800000, v96
                                        ; implicit-def: $vgpr96
	s_and_saveexec_b32 s3, vcc_lo
	s_xor_b32 s3, exec_lo, s3
; %bb.27:
	v_bfe_u32 v96, v99, 16, 1
	s_delay_alu instid0(VALU_DEP_1)
	v_add3_u32 v96, v99, v96, 0x7fff
                                        ; implicit-def: $vgpr99
; %bb.28:
	s_and_not1_saveexec_b32 s3, s3
; %bb.29:
	v_and_b32_e32 v96, 0xffff, v99
	v_or_b32_e32 v100, 0x10000, v99
	s_delay_alu instid0(VALU_DEP_2) | instskip(NEXT) | instid1(VALU_DEP_2)
	v_cmp_eq_u32_e32 vcc_lo, 0, v96
	v_cndmask_b32_e32 v96, v100, v99, vcc_lo
; %bb.30:
	s_or_b32 exec_lo, exec_lo, s3
	v_and_b32_e32 v99, 0x7f800000, v98
	s_delay_alu instid0(VALU_DEP_1) | instskip(SKIP_1) | instid1(SALU_CYCLE_1)
	v_cmp_ne_u32_e32 vcc_lo, 0x7f800000, v99
                                        ; implicit-def: $vgpr99
	s_and_saveexec_b32 s3, vcc_lo
	s_xor_b32 s3, exec_lo, s3
; %bb.31:
	v_bfe_u32 v99, v98, 16, 1
	s_delay_alu instid0(VALU_DEP_1)
	v_add3_u32 v99, v98, v99, 0x7fff
                                        ; implicit-def: $vgpr98
; %bb.32:
	s_and_not1_saveexec_b32 s3, s3
; %bb.33:
	v_and_b32_e32 v99, 0xffff, v98
	v_or_b32_e32 v100, 0x10000, v98
	s_delay_alu instid0(VALU_DEP_2) | instskip(NEXT) | instid1(VALU_DEP_2)
	v_cmp_eq_u32_e32 vcc_lo, 0, v99
	v_cndmask_b32_e32 v99, v100, v98, vcc_lo
; %bb.34:
	s_or_b32 exec_lo, exec_lo, s3
	v_and_b32_e32 v98, 0x7f800000, v97
	s_delay_alu instid0(VALU_DEP_1) | instskip(SKIP_1) | instid1(SALU_CYCLE_1)
	v_cmp_ne_u32_e32 vcc_lo, 0x7f800000, v98
                                        ; implicit-def: $vgpr98
	s_and_saveexec_b32 s3, vcc_lo
	s_xor_b32 s3, exec_lo, s3
; %bb.35:
	v_bfe_u32 v98, v97, 16, 1
	s_delay_alu instid0(VALU_DEP_1)
	v_add3_u32 v98, v97, v98, 0x7fff
                                        ; implicit-def: $vgpr97
; %bb.36:
	s_and_not1_saveexec_b32 s3, s3
; %bb.37:
	v_and_b32_e32 v98, 0xffff, v97
	v_or_b32_e32 v100, 0x10000, v97
	s_delay_alu instid0(VALU_DEP_2) | instskip(NEXT) | instid1(VALU_DEP_2)
	v_cmp_eq_u32_e32 vcc_lo, 0, v98
	v_cndmask_b32_e32 v98, v100, v97, vcc_lo
; %bb.38:
	s_or_b32 exec_lo, exec_lo, s3
	v_and_b32_e32 v97, 0x7f800000, v94
	s_delay_alu instid0(VALU_DEP_1) | instskip(SKIP_1) | instid1(SALU_CYCLE_1)
	v_cmp_ne_u32_e32 vcc_lo, 0x7f800000, v97
                                        ; implicit-def: $vgpr97
	s_and_saveexec_b32 s3, vcc_lo
	s_xor_b32 s3, exec_lo, s3
; %bb.39:
	v_bfe_u32 v97, v94, 16, 1
	s_delay_alu instid0(VALU_DEP_1)
	v_add3_u32 v97, v94, v97, 0x7fff
                                        ; implicit-def: $vgpr94
; %bb.40:
	s_and_not1_saveexec_b32 s3, s3
; %bb.41:
	v_and_b32_e32 v97, 0xffff, v94
	v_or_b32_e32 v100, 0x10000, v94
	s_delay_alu instid0(VALU_DEP_2) | instskip(NEXT) | instid1(VALU_DEP_2)
	v_cmp_eq_u32_e32 vcc_lo, 0, v97
	v_cndmask_b32_e32 v97, v100, v94, vcc_lo
; %bb.42:
	s_or_b32 exec_lo, exec_lo, s3
	v_and_b32_e32 v94, 0x7f800000, v92
	s_delay_alu instid0(VALU_DEP_1) | instskip(SKIP_1) | instid1(SALU_CYCLE_1)
	v_cmp_ne_u32_e32 vcc_lo, 0x7f800000, v94
                                        ; implicit-def: $vgpr94
	s_and_saveexec_b32 s3, vcc_lo
	s_xor_b32 s3, exec_lo, s3
; %bb.43:
	v_bfe_u32 v94, v92, 16, 1
	s_delay_alu instid0(VALU_DEP_1)
	v_add3_u32 v94, v92, v94, 0x7fff
                                        ; implicit-def: $vgpr92
; %bb.44:
	s_and_not1_saveexec_b32 s3, s3
; %bb.45:
	v_and_b32_e32 v94, 0xffff, v92
	v_or_b32_e32 v100, 0x10000, v92
	s_delay_alu instid0(VALU_DEP_2) | instskip(NEXT) | instid1(VALU_DEP_2)
	v_cmp_eq_u32_e32 vcc_lo, 0, v94
	v_cndmask_b32_e32 v94, v100, v92, vcc_lo
; %bb.46:
	s_or_b32 exec_lo, exec_lo, s3
	s_load_b64 s[34:35], s[0:1], 0x94
	v_lshlrev_b32_e32 v92, 4, v83
	s_delay_alu instid0(VALU_DEP_2)
	v_perm_b32 v100, v94, v97, 0x7060302
	v_dual_mul_f32 v89, v90, v89 :: v_dual_lshlrev_b32 v94, 11, v74
	v_perm_b32 v97, v93, v91, 0x7060302
	v_mul_f32_e32 v93, v90, v77
	v_perm_b32 v99, v98, v99, 0x7060302
	v_perm_b32 v98, v96, v95, 0x7060302
	v_or3_b32 v77, v92, v94, v85
	v_mul_f32_e32 v88, v90, v88
	v_dual_mul_f32 v87, v90, v87 :: v_dual_and_b32 v94, 0x7f800000, v93
	v_mul_f32_e32 v86, v90, v86
	v_mul_f32_e32 v91, v90, v80
	;; [unrolled: 1-line block ×4, first 2 shown]
	s_mov_b32 s3, exec_lo
	ds_store_b128 v77, v[97:100]
                                        ; implicit-def: $vgpr78
	v_cmpx_ne_u32_e32 0x7f800000, v94
	s_xor_b32 s3, exec_lo, s3
; %bb.47:
	v_bfe_u32 v78, v93, 16, 1
	s_delay_alu instid0(VALU_DEP_1)
	v_add3_u32 v78, v93, v78, 0x7fff
                                        ; implicit-def: $vgpr93
; %bb.48:
	s_and_not1_saveexec_b32 s3, s3
; %bb.49:
	v_and_b32_e32 v78, 0xffff, v93
	v_or_b32_e32 v79, 0x10000, v93
	s_delay_alu instid0(VALU_DEP_2) | instskip(NEXT) | instid1(VALU_DEP_2)
	v_cmp_eq_u32_e32 vcc_lo, 0, v78
	v_cndmask_b32_e32 v78, v79, v93, vcc_lo
; %bb.50:
	s_or_b32 exec_lo, exec_lo, s3
	v_and_b32_e32 v79, 0x7f800000, v80
	s_delay_alu instid0(VALU_DEP_1) | instskip(SKIP_1) | instid1(SALU_CYCLE_1)
	v_cmp_ne_u32_e32 vcc_lo, 0x7f800000, v79
                                        ; implicit-def: $vgpr79
	s_and_saveexec_b32 s3, vcc_lo
	s_xor_b32 s3, exec_lo, s3
; %bb.51:
	v_bfe_u32 v79, v80, 16, 1
	s_delay_alu instid0(VALU_DEP_1)
	v_add3_u32 v79, v80, v79, 0x7fff
                                        ; implicit-def: $vgpr80
; %bb.52:
	s_and_not1_saveexec_b32 s3, s3
; %bb.53:
	v_and_b32_e32 v79, 0xffff, v80
	v_or_b32_e32 v90, 0x10000, v80
	s_delay_alu instid0(VALU_DEP_2) | instskip(NEXT) | instid1(VALU_DEP_2)
	v_cmp_eq_u32_e32 vcc_lo, 0, v79
	v_cndmask_b32_e32 v79, v90, v80, vcc_lo
; %bb.54:
	s_or_b32 exec_lo, exec_lo, s3
	v_and_b32_e32 v80, 0x7f800000, v92
	s_delay_alu instid0(VALU_DEP_1) | instskip(SKIP_1) | instid1(SALU_CYCLE_1)
	v_cmp_ne_u32_e32 vcc_lo, 0x7f800000, v80
                                        ; implicit-def: $vgpr80
	s_and_saveexec_b32 s3, vcc_lo
	s_xor_b32 s3, exec_lo, s3
; %bb.55:
	v_bfe_u32 v80, v92, 16, 1
	s_delay_alu instid0(VALU_DEP_1)
	v_add3_u32 v80, v92, v80, 0x7fff
                                        ; implicit-def: $vgpr92
; %bb.56:
	s_and_not1_saveexec_b32 s3, s3
; %bb.57:
	v_and_b32_e32 v80, 0xffff, v92
	v_or_b32_e32 v90, 0x10000, v92
	s_delay_alu instid0(VALU_DEP_2) | instskip(NEXT) | instid1(VALU_DEP_2)
	v_cmp_eq_u32_e32 vcc_lo, 0, v80
	v_cndmask_b32_e32 v80, v90, v92, vcc_lo
; %bb.58:
	s_or_b32 exec_lo, exec_lo, s3
	v_and_b32_e32 v90, 0x7f800000, v91
	s_delay_alu instid0(VALU_DEP_1) | instskip(SKIP_1) | instid1(SALU_CYCLE_1)
	v_cmp_ne_u32_e32 vcc_lo, 0x7f800000, v90
                                        ; implicit-def: $vgpr90
	s_and_saveexec_b32 s3, vcc_lo
	s_xor_b32 s3, exec_lo, s3
; %bb.59:
	v_bfe_u32 v90, v91, 16, 1
	s_delay_alu instid0(VALU_DEP_1)
	v_add3_u32 v90, v91, v90, 0x7fff
                                        ; implicit-def: $vgpr91
; %bb.60:
	s_and_not1_saveexec_b32 s3, s3
; %bb.61:
	v_and_b32_e32 v90, 0xffff, v91
	v_or_b32_e32 v92, 0x10000, v91
	s_delay_alu instid0(VALU_DEP_2) | instskip(NEXT) | instid1(VALU_DEP_2)
	v_cmp_eq_u32_e32 vcc_lo, 0, v90
	v_cndmask_b32_e32 v90, v92, v91, vcc_lo
; %bb.62:
	s_or_b32 exec_lo, exec_lo, s3
	v_and_b32_e32 v91, 0x7f800000, v86
	s_delay_alu instid0(VALU_DEP_1) | instskip(SKIP_1) | instid1(SALU_CYCLE_1)
	v_cmp_ne_u32_e32 vcc_lo, 0x7f800000, v91
                                        ; implicit-def: $vgpr91
	s_and_saveexec_b32 s3, vcc_lo
	s_xor_b32 s3, exec_lo, s3
; %bb.63:
	v_bfe_u32 v91, v86, 16, 1
	s_delay_alu instid0(VALU_DEP_1)
	v_add3_u32 v91, v86, v91, 0x7fff
                                        ; implicit-def: $vgpr86
; %bb.64:
	s_and_not1_saveexec_b32 s3, s3
; %bb.65:
	v_and_b32_e32 v91, 0xffff, v86
	v_or_b32_e32 v92, 0x10000, v86
	s_delay_alu instid0(VALU_DEP_2) | instskip(NEXT) | instid1(VALU_DEP_2)
	v_cmp_eq_u32_e32 vcc_lo, 0, v91
	v_cndmask_b32_e32 v91, v92, v86, vcc_lo
; %bb.66:
	s_or_b32 exec_lo, exec_lo, s3
	v_and_b32_e32 v86, 0x7f800000, v87
	s_delay_alu instid0(VALU_DEP_1) | instskip(SKIP_1) | instid1(SALU_CYCLE_1)
	v_cmp_ne_u32_e32 vcc_lo, 0x7f800000, v86
                                        ; implicit-def: $vgpr86
	s_and_saveexec_b32 s3, vcc_lo
	s_xor_b32 s3, exec_lo, s3
; %bb.67:
	v_bfe_u32 v86, v87, 16, 1
	s_delay_alu instid0(VALU_DEP_1)
	v_add3_u32 v86, v87, v86, 0x7fff
                                        ; implicit-def: $vgpr87
; %bb.68:
	s_and_not1_saveexec_b32 s3, s3
; %bb.69:
	v_and_b32_e32 v86, 0xffff, v87
	v_or_b32_e32 v92, 0x10000, v87
	s_delay_alu instid0(VALU_DEP_2) | instskip(NEXT) | instid1(VALU_DEP_2)
	v_cmp_eq_u32_e32 vcc_lo, 0, v86
	v_cndmask_b32_e32 v86, v92, v87, vcc_lo
; %bb.70:
	s_or_b32 exec_lo, exec_lo, s3
	v_and_b32_e32 v87, 0x7f800000, v88
	s_delay_alu instid0(VALU_DEP_1) | instskip(SKIP_1) | instid1(SALU_CYCLE_1)
	v_cmp_ne_u32_e32 vcc_lo, 0x7f800000, v87
                                        ; implicit-def: $vgpr87
	s_and_saveexec_b32 s3, vcc_lo
	s_xor_b32 s3, exec_lo, s3
; %bb.71:
	v_bfe_u32 v87, v88, 16, 1
	s_delay_alu instid0(VALU_DEP_1)
	v_add3_u32 v87, v88, v87, 0x7fff
                                        ; implicit-def: $vgpr88
; %bb.72:
	s_and_not1_saveexec_b32 s3, s3
; %bb.73:
	v_and_b32_e32 v87, 0xffff, v88
	v_or_b32_e32 v92, 0x10000, v88
	s_delay_alu instid0(VALU_DEP_2) | instskip(NEXT) | instid1(VALU_DEP_2)
	v_cmp_eq_u32_e32 vcc_lo, 0, v87
	v_cndmask_b32_e32 v87, v92, v88, vcc_lo
; %bb.74:
	s_or_b32 exec_lo, exec_lo, s3
	v_and_b32_e32 v88, 0x7f800000, v89
	s_delay_alu instid0(VALU_DEP_1) | instskip(SKIP_1) | instid1(SALU_CYCLE_1)
	v_cmp_ne_u32_e32 vcc_lo, 0x7f800000, v88
                                        ; implicit-def: $vgpr88
	s_and_saveexec_b32 s3, vcc_lo
	s_xor_b32 s3, exec_lo, s3
; %bb.75:
	v_bfe_u32 v88, v89, 16, 1
	s_delay_alu instid0(VALU_DEP_1)
	v_add3_u32 v88, v89, v88, 0x7fff
                                        ; implicit-def: $vgpr89
; %bb.76:
	s_and_not1_saveexec_b32 s3, s3
; %bb.77:
	v_and_b32_e32 v88, 0xffff, v89
	v_or_b32_e32 v92, 0x10000, v89
	s_delay_alu instid0(VALU_DEP_2) | instskip(NEXT) | instid1(VALU_DEP_2)
	v_cmp_eq_u32_e32 vcc_lo, 0, v88
	v_cndmask_b32_e32 v88, v92, v89, vcc_lo
; %bb.78:
	s_or_b32 exec_lo, exec_lo, s3
	s_delay_alu instid0(VALU_DEP_1)
	v_perm_b32 v89, v88, v87, 0x7060302
	v_perm_b32 v88, v86, v91, 0x7060302
	;; [unrolled: 1-line block ×4, first 2 shown]
	v_lshl_or_b32 v90, v74, 11, v85
	ds_store_b128 v77, v[86:89] offset:1024
	s_waitcnt lgkmcnt(0)
	s_barrier
	buffer_gl0_inv
	ds_load_b128 v[91:94], v90
	ds_load_b128 v[95:98], v90 offset:16
	v_lshlrev_b32_e32 v87, 2, v83
	s_delay_alu instid0(VALU_DEP_1)
	v_or_b32_e32 v88, 1, v87
	v_cmp_eq_u32_e32 vcc_lo, 1, v87
	v_cmp_eq_u32_e64 s4, 2, v87
	v_cmp_eq_u32_e64 s7, 3, v87
	;; [unrolled: 1-line block ×6, first 2 shown]
	v_or_b32_e32 v86, 2, v87
	v_cmp_eq_u32_e64 s10, 5, v87
	v_cmp_eq_u32_e64 s11, 4, v88
	;; [unrolled: 1-line block ×4, first 2 shown]
	s_waitcnt lgkmcnt(1)
	v_lshrrev_b32_e32 v74, 16, v91
	s_waitcnt lgkmcnt(0)
	v_lshrrev_b32_e32 v103, 16, v95
	v_lshrrev_b32_e32 v80, 16, v94
	;; [unrolled: 1-line block ×4, first 2 shown]
	v_cndmask_b32_e32 v89, v91, v74, vcc_lo
	v_cndmask_b32_e32 v99, v95, v103, vcc_lo
	v_cndmask_b32_e64 v100, v91, v74, s3
	v_lshrrev_b32_e32 v79, 16, v93
	v_lshrrev_b32_e32 v108, 16, v97
	v_cndmask_b32_e64 v89, v89, v92, s4
	v_cndmask_b32_e64 v99, v99, v96, s4
	;; [unrolled: 1-line block ×4, first 2 shown]
	v_cmp_eq_u32_e64 s5, 1, v86
	v_cndmask_b32_e64 v89, v89, v78, s7
	v_cndmask_b32_e64 v99, v99, v107, s7
	;; [unrolled: 1-line block ×4, first 2 shown]
	v_lshrrev_b32_e32 v109, 16, v98
	v_cndmask_b32_e64 v89, v89, v93, s9
	v_cndmask_b32_e64 v99, v99, v97, s9
	;; [unrolled: 1-line block ×8, first 2 shown]
	v_cmp_eq_u32_e64 s15, 7, v87
	v_cmp_eq_u32_e64 s16, 6, v88
	v_cndmask_b32_e64 v89, v89, v94, s12
	v_cndmask_b32_e64 v99, v99, v98, s12
	v_cmp_eq_u32_e64 s17, 2, v86
	v_cndmask_b32_e64 v101, v101, v97, s11
	v_cndmask_b32_e64 v100, v100, v94, s16
	;; [unrolled: 1-line block ×6, first 2 shown]
	v_cmp_eq_u32_e64 s18, 7, v88
	v_cmp_eq_u32_e64 s19, 3, v86
	;; [unrolled: 1-line block ×4, first 2 shown]
	v_cndmask_b32_e64 v99, v99, v96, s17
	v_cndmask_b32_e64 v112, v100, v80, s18
	;; [unrolled: 1-line block ×4, first 2 shown]
	v_or_b32_e32 v89, 3, v87
	v_cndmask_b32_e64 v105, v99, v107, s19
	v_cmp_eq_u32_e64 s24, 6, v86
	v_cndmask_b32_e64 v113, v100, v98, s16
	v_cndmask_b32_e64 v104, v101, v93, s20
	ds_load_b128 v[99:102], v90 offset:1024
	v_cmp_eq_u32_e64 s21, 1, v89
	v_cmp_eq_u32_e64 s23, 2, v89
	;; [unrolled: 1-line block ×3, first 2 shown]
	v_cndmask_b32_e64 v114, v104, v79, s22
	v_cmp_eq_u32_e64 s26, 4, v89
	v_cndmask_b32_e64 v74, v91, v74, s21
	v_cndmask_b32_e64 v91, v105, v97, s20
	;; [unrolled: 1-line block ×3, first 2 shown]
	ds_load_b128 v[103:106], v90 offset:1040
	v_cmp_eq_u32_e64 s28, 5, v89
	v_cndmask_b32_e64 v74, v74, v92, s23
	v_cndmask_b32_e64 v91, v91, v108, s22
	;; [unrolled: 1-line block ×3, first 2 shown]
	v_cmp_eq_u32_e64 s29, 6, v89
	v_cndmask_b32_e64 v95, v113, v109, s18
	v_cndmask_b32_e64 v74, v74, v78, s25
	;; [unrolled: 1-line block ×5, first 2 shown]
	s_waitcnt lgkmcnt(1)
	v_lshrrev_b32_e32 v96, 16, v99
	v_cndmask_b32_e64 v74, v74, v93, s26
	v_lshrrev_b32_e32 v107, 16, v100
	v_cndmask_b32_e64 v92, v92, v97, s26
	v_cmp_eq_u32_e64 s27, 7, v86
	v_cndmask_b32_e32 v93, v99, v96, vcc_lo
	v_cndmask_b32_e64 v74, v74, v79, s28
	s_delay_alu instid0(VALU_DEP_4)
	v_cndmask_b32_e64 v79, v92, v108, s28
	s_waitcnt lgkmcnt(0)
	v_lshrrev_b32_e32 v97, 16, v103
	v_cndmask_b32_e64 v92, v93, v100, s4
	v_cndmask_b32_e64 v93, v99, v96, s3
	;; [unrolled: 1-line block ×4, first 2 shown]
	v_cndmask_b32_e32 v108, v103, v97, vcc_lo
	v_cndmask_b32_e64 v92, v92, v107, s7
	v_cndmask_b32_e64 v93, v93, v100, s6
	v_lshrrev_b32_e32 v98, 16, v104
	v_cmp_eq_u32_e32 vcc_lo, 7, v89
	v_cndmask_b32_e64 v94, v108, v104, s4
	v_cndmask_b32_e64 v92, v92, v101, s9
	v_lshrrev_b32_e32 v108, 16, v101
	v_cndmask_b32_e64 v93, v93, v107, s8
	v_cndmask_b32_e32 v74, v74, v80, vcc_lo
	v_cndmask_b32_e64 v94, v94, v98, s7
	v_cndmask_b32_e32 v79, v79, v109, vcc_lo
	v_cndmask_b32_e64 v92, v92, v108, s10
	v_cndmask_b32_e64 v78, v78, v80, s27
	;; [unrolled: 1-line block ×4, first 2 shown]
	v_perm_b32 v94, v79, v74, 0x5040100
	v_cndmask_b32_e64 v79, v92, v102, s12
	v_perm_b32 v92, v95, v112, 0x5040100
	v_cndmask_b32_e64 v95, v99, v96, s5
	v_cndmask_b32_e64 v96, v99, v96, s21
	;; [unrolled: 1-line block ×16, first 2 shown]
	v_lshrrev_b32_e32 v109, 16, v105
	v_cndmask_b32_e64 v95, v95, v101, s20
	v_cndmask_b32_e64 v96, v96, v101, s26
	;; [unrolled: 1-line block ×6, first 2 shown]
	v_lshrrev_b32_e32 v80, 16, v102
	v_cndmask_b32_e64 v113, v93, v109, s10
	v_cndmask_b32_e64 v95, v95, v108, s22
	;; [unrolled: 1-line block ×6, first 2 shown]
	v_perm_b32 v93, v91, v78, 0x5040100
	v_cndmask_b32_e64 v74, v74, v102, s16
	v_cndmask_b32_e64 v78, v79, v80, s15
	;; [unrolled: 1-line block ×3, first 2 shown]
	v_lshrrev_b32_e32 v91, 16, v106
	v_cndmask_b32_e64 v95, v95, v102, s24
	v_cndmask_b32_e64 v96, v96, v102, s29
	;; [unrolled: 1-line block ×7, first 2 shown]
	v_cndmask_b32_e32 v80, v96, v80, vcc_lo
	v_cndmask_b32_e32 v96, v98, v91, vcc_lo
	v_cndmask_b32_e64 v99, v99, v91, s27
	v_cndmask_b32_e64 v100, v97, v91, s18
	;; [unrolled: 1-line block ×3, first 2 shown]
	v_perm_b32 v91, v111, v110, 0x5040100
	v_perm_b32 v98, v96, v80, 0x5040100
	;; [unrolled: 1-line block ×5, first 2 shown]
	s_mul_i32 s8, s35, 14
	s_mov_b32 s3, exec_lo
	ds_store_b128 v77, v[91:94]
	ds_store_b128 v77, v[95:98] offset:1024
	v_cmpx_gt_u32_e32 14, v0
	s_cbranch_execz .LBB551_80
; %bb.79:
	s_mul_i32 s4, s8, s30
	s_delay_alu instid0(SALU_CYCLE_1) | instskip(SKIP_1) | instid1(VALU_DEP_1)
	v_add3_u32 v77, s4, s31, v73
	s_load_b128 s[4:7], s[0:1], 0x58
	v_mad_u64_u32 v[73:74], null, v77, s34, s[14:15]
	s_delay_alu instid0(VALU_DEP_1) | instskip(NEXT) | instid1(VALU_DEP_1)
	v_ashrrev_i32_e32 v74, 31, v73
	v_lshlrev_b64 v[73:74], 2, v[73:74]
	s_waitcnt lgkmcnt(0)
	s_delay_alu instid0(VALU_DEP_1) | instskip(NEXT) | instid1(VALU_DEP_2)
	v_add_co_u32 v77, vcc_lo, s6, v73
	v_add_co_ci_u32_e32 v78, vcc_lo, s7, v74, vcc_lo
	v_add_co_u32 v73, vcc_lo, s4, v73
	v_add_co_ci_u32_e32 v74, vcc_lo, s5, v74, vcc_lo
	global_store_b32 v[77:78], v75, off
	global_store_b32 v[73:74], v76, off
.LBB551_80:
	s_or_b32 exec_lo, exec_lo, s3
	s_waitcnt lgkmcnt(0)
	s_waitcnt_vscnt null, 0x0
	s_barrier
	buffer_gl0_inv
	ds_load_b128 v[91:94], v85
	ds_load_b128 v[95:98], v85 offset:16
	ds_load_b128 v[103:106], v85 offset:1040
	;; [unrolled: 1-line block ×3, first 2 shown]
	v_mov_b32_e32 v73, 0
	ds_load_b128 v[111:114], v85 offset:2064
	ds_load_b128 v[107:110], v85 offset:2048
	;; [unrolled: 1-line block ×6, first 2 shown]
	v_mov_b32_e32 v74, v73
	v_mov_b32_e32 v75, v73
	;; [unrolled: 1-line block ×7, first 2 shown]
	s_waitcnt lgkmcnt(8)
	s_delay_alu instid0(VALU_DEP_1)
	v_wmma_f32_16x16x16_bf16 v[73:80], v[65:72], v[91:98], v[73:80]
	ds_load_b128 v[69:72], v85 offset:5136
	ds_load_b128 v[65:68], v85 offset:5120
	;; [unrolled: 1-line block ×4, first 2 shown]
	s_waitcnt lgkmcnt(10)
	v_wmma_f32_16x16x16_bf16 v[73:80], v[57:64], v[99:106], v[73:80]
	s_waitcnt lgkmcnt(8)
	s_delay_alu instid0(VALU_DEP_1)
	v_wmma_f32_16x16x16_bf16 v[73:80], v[57:64], v[107:114], v[73:80]
	ds_load_b128 v[61:64], v85 offset:7184
	ds_load_b128 v[57:60], v85 offset:7168
	;; [unrolled: 1-line block ×4, first 2 shown]
	s_waitcnt lgkmcnt(10)
	v_wmma_f32_16x16x16_bf16 v[73:80], v[49:56], v[115:122], v[73:80]
	s_waitcnt lgkmcnt(8)
	s_delay_alu instid0(VALU_DEP_1)
	v_wmma_f32_16x16x16_bf16 v[73:80], v[49:56], v[123:130], v[73:80]
	ds_load_b128 v[53:56], v85 offset:9232
	ds_load_b128 v[49:52], v85 offset:9216
	s_waitcnt lgkmcnt(8)
	v_wmma_f32_16x16x16_bf16 v[73:80], v[41:48], v[65:72], v[73:80]
	ds_load_b128 v[69:72], v85 offset:10256
	ds_load_b128 v[65:68], v85 offset:10240
	s_waitcnt lgkmcnt(8)
	v_wmma_f32_16x16x16_bf16 v[73:80], v[41:48], v[91:98], v[73:80]
	ds_load_b128 v[45:48], v85 offset:11280
	ds_load_b128 v[41:44], v85 offset:11264
	s_waitcnt lgkmcnt(8)
	v_wmma_f32_16x16x16_bf16 v[73:80], v[9:16], v[57:64], v[73:80]
	s_waitcnt lgkmcnt(6)
	s_delay_alu instid0(VALU_DEP_1)
	v_wmma_f32_16x16x16_bf16 v[73:80], v[9:16], v[99:106], v[73:80]
	ds_load_b128 v[13:16], v85 offset:12304
	ds_load_b128 v[9:12], v85 offset:12288
	s_waitcnt lgkmcnt(6)
	v_wmma_f32_16x16x16_bf16 v[73:80], v[1:8], v[49:56], v[73:80]
	ds_load_b128 v[53:56], v85 offset:13328
	ds_load_b128 v[49:52], v85 offset:13312
	s_waitcnt lgkmcnt(6)
	;; [unrolled: 4-line block ×4, first 2 shown]
	v_wmma_f32_16x16x16_bf16 v[73:80], v[33:40], v[9:16], v[73:80]
	s_waitcnt lgkmcnt(4)
	s_delay_alu instid0(VALU_DEP_1) | instskip(SKIP_1) | instid1(VALU_DEP_1)
	v_wmma_f32_16x16x16_bf16 v[73:80], v[25:32], v[49:56], v[73:80]
	s_waitcnt lgkmcnt(2)
	v_wmma_f32_16x16x16_bf16 v[73:80], v[25:32], v[1:8], v[73:80]
	s_waitcnt lgkmcnt(0)
	s_delay_alu instid0(VALU_DEP_1) | instskip(NEXT) | instid1(VALU_DEP_1)
	v_wmma_f32_16x16x16_bf16 v[73:80], v[17:24], v[41:48], v[73:80]
	v_and_b32_e32 v1, 0x7f800000, v73
	s_delay_alu instid0(VALU_DEP_1) | instskip(SKIP_1) | instid1(SALU_CYCLE_1)
	v_cmp_ne_u32_e32 vcc_lo, 0x7f800000, v1
                                        ; implicit-def: $vgpr1
	s_and_saveexec_b32 s3, vcc_lo
	s_xor_b32 s3, exec_lo, s3
; %bb.81:
	v_bfe_u32 v1, v73, 16, 1
	s_delay_alu instid0(VALU_DEP_1)
	v_add3_u32 v1, v73, v1, 0x7fff
; %bb.82:
	s_and_not1_saveexec_b32 s3, s3
; %bb.83:
	v_and_b32_e32 v1, 0xffff, v73
	v_or_b32_e32 v2, 0x10000, v73
	s_delay_alu instid0(VALU_DEP_2) | instskip(NEXT) | instid1(VALU_DEP_2)
	v_cmp_eq_u32_e32 vcc_lo, 0, v1
	v_cndmask_b32_e32 v1, v2, v73, vcc_lo
; %bb.84:
	s_or_b32 exec_lo, exec_lo, s3
	v_and_b32_e32 v2, 0x7f800000, v74
	s_delay_alu instid0(VALU_DEP_1) | instskip(SKIP_1) | instid1(SALU_CYCLE_1)
	v_cmp_ne_u32_e32 vcc_lo, 0x7f800000, v2
                                        ; implicit-def: $vgpr2
	s_and_saveexec_b32 s3, vcc_lo
	s_xor_b32 s3, exec_lo, s3
; %bb.85:
	v_bfe_u32 v2, v74, 16, 1
	s_delay_alu instid0(VALU_DEP_1)
	v_add3_u32 v2, v74, v2, 0x7fff
; %bb.86:
	s_and_not1_saveexec_b32 s3, s3
; %bb.87:
	v_and_b32_e32 v2, 0xffff, v74
	v_or_b32_e32 v3, 0x10000, v74
	s_delay_alu instid0(VALU_DEP_2) | instskip(NEXT) | instid1(VALU_DEP_2)
	v_cmp_eq_u32_e32 vcc_lo, 0, v2
	v_cndmask_b32_e32 v2, v3, v74, vcc_lo
; %bb.88:
	s_or_b32 exec_lo, exec_lo, s3
	v_and_b32_e32 v3, 0x7f800000, v75
	s_delay_alu instid0(VALU_DEP_1) | instskip(SKIP_1) | instid1(SALU_CYCLE_1)
	v_cmp_ne_u32_e32 vcc_lo, 0x7f800000, v3
                                        ; implicit-def: $vgpr3
	s_and_saveexec_b32 s3, vcc_lo
	s_xor_b32 s3, exec_lo, s3
; %bb.89:
	v_bfe_u32 v3, v75, 16, 1
	s_delay_alu instid0(VALU_DEP_1)
	v_add3_u32 v3, v75, v3, 0x7fff
; %bb.90:
	s_and_not1_saveexec_b32 s3, s3
; %bb.91:
	v_and_b32_e32 v3, 0xffff, v75
	v_or_b32_e32 v4, 0x10000, v75
	s_delay_alu instid0(VALU_DEP_2) | instskip(NEXT) | instid1(VALU_DEP_2)
	v_cmp_eq_u32_e32 vcc_lo, 0, v3
	v_cndmask_b32_e32 v3, v4, v75, vcc_lo
; %bb.92:
	s_or_b32 exec_lo, exec_lo, s3
	v_and_b32_e32 v4, 0x7f800000, v76
	s_delay_alu instid0(VALU_DEP_1) | instskip(SKIP_1) | instid1(SALU_CYCLE_1)
	v_cmp_ne_u32_e32 vcc_lo, 0x7f800000, v4
                                        ; implicit-def: $vgpr4
	s_and_saveexec_b32 s3, vcc_lo
	s_xor_b32 s3, exec_lo, s3
; %bb.93:
	v_bfe_u32 v4, v76, 16, 1
	s_delay_alu instid0(VALU_DEP_1)
	v_add3_u32 v4, v76, v4, 0x7fff
; %bb.94:
	s_and_not1_saveexec_b32 s3, s3
; %bb.95:
	v_and_b32_e32 v4, 0xffff, v76
	v_or_b32_e32 v5, 0x10000, v76
	s_delay_alu instid0(VALU_DEP_2) | instskip(NEXT) | instid1(VALU_DEP_2)
	v_cmp_eq_u32_e32 vcc_lo, 0, v4
	v_cndmask_b32_e32 v4, v5, v76, vcc_lo
; %bb.96:
	s_or_b32 exec_lo, exec_lo, s3
	v_and_b32_e32 v5, 0x7f800000, v77
	s_delay_alu instid0(VALU_DEP_1) | instskip(SKIP_1) | instid1(SALU_CYCLE_1)
	v_cmp_ne_u32_e32 vcc_lo, 0x7f800000, v5
                                        ; implicit-def: $vgpr5
	s_and_saveexec_b32 s3, vcc_lo
	s_xor_b32 s3, exec_lo, s3
; %bb.97:
	v_bfe_u32 v5, v77, 16, 1
	s_delay_alu instid0(VALU_DEP_1)
	v_add3_u32 v5, v77, v5, 0x7fff
; %bb.98:
	s_and_not1_saveexec_b32 s3, s3
; %bb.99:
	v_and_b32_e32 v5, 0xffff, v77
	v_or_b32_e32 v6, 0x10000, v77
	s_delay_alu instid0(VALU_DEP_2) | instskip(NEXT) | instid1(VALU_DEP_2)
	v_cmp_eq_u32_e32 vcc_lo, 0, v5
	v_cndmask_b32_e32 v5, v6, v77, vcc_lo
; %bb.100:
	s_or_b32 exec_lo, exec_lo, s3
	v_and_b32_e32 v6, 0x7f800000, v78
	s_delay_alu instid0(VALU_DEP_1) | instskip(SKIP_1) | instid1(SALU_CYCLE_1)
	v_cmp_ne_u32_e32 vcc_lo, 0x7f800000, v6
                                        ; implicit-def: $vgpr6
	s_and_saveexec_b32 s3, vcc_lo
	s_xor_b32 s3, exec_lo, s3
; %bb.101:
	v_bfe_u32 v6, v78, 16, 1
	s_delay_alu instid0(VALU_DEP_1)
	v_add3_u32 v6, v78, v6, 0x7fff
; %bb.102:
	s_and_not1_saveexec_b32 s3, s3
; %bb.103:
	v_and_b32_e32 v6, 0xffff, v78
	v_or_b32_e32 v7, 0x10000, v78
	s_delay_alu instid0(VALU_DEP_2) | instskip(NEXT) | instid1(VALU_DEP_2)
	v_cmp_eq_u32_e32 vcc_lo, 0, v6
	v_cndmask_b32_e32 v6, v7, v78, vcc_lo
; %bb.104:
	s_or_b32 exec_lo, exec_lo, s3
	v_and_b32_e32 v7, 0x7f800000, v79
	s_delay_alu instid0(VALU_DEP_1) | instskip(SKIP_1) | instid1(SALU_CYCLE_1)
	v_cmp_ne_u32_e32 vcc_lo, 0x7f800000, v7
                                        ; implicit-def: $vgpr7
	s_and_saveexec_b32 s3, vcc_lo
	s_xor_b32 s3, exec_lo, s3
; %bb.105:
	v_bfe_u32 v7, v79, 16, 1
	s_delay_alu instid0(VALU_DEP_1)
	v_add3_u32 v7, v79, v7, 0x7fff
; %bb.106:
	s_and_not1_saveexec_b32 s3, s3
; %bb.107:
	v_and_b32_e32 v7, 0xffff, v79
	v_or_b32_e32 v8, 0x10000, v79
	s_delay_alu instid0(VALU_DEP_2) | instskip(NEXT) | instid1(VALU_DEP_2)
	v_cmp_eq_u32_e32 vcc_lo, 0, v7
	v_cndmask_b32_e32 v7, v8, v79, vcc_lo
; %bb.108:
	s_or_b32 exec_lo, exec_lo, s3
	v_and_b32_e32 v8, 0x7f800000, v80
	s_delay_alu instid0(VALU_DEP_1) | instskip(SKIP_1) | instid1(SALU_CYCLE_1)
	v_cmp_ne_u32_e32 vcc_lo, 0x7f800000, v8
                                        ; implicit-def: $vgpr8
	s_and_saveexec_b32 s3, vcc_lo
	s_xor_b32 s3, exec_lo, s3
; %bb.109:
	v_bfe_u32 v8, v80, 16, 1
	s_delay_alu instid0(VALU_DEP_1)
	v_add3_u32 v8, v80, v8, 0x7fff
                                        ; implicit-def: $vgpr73_vgpr74_vgpr75_vgpr76_vgpr77_vgpr78_vgpr79_vgpr80
; %bb.110:
	s_and_not1_saveexec_b32 s3, s3
; %bb.111:
	v_and_b32_e32 v8, 0xffff, v80
	v_or_b32_e32 v9, 0x10000, v80
	s_delay_alu instid0(VALU_DEP_2) | instskip(NEXT) | instid1(VALU_DEP_2)
	v_cmp_eq_u32_e32 vcc_lo, 0, v8
	v_cndmask_b32_e32 v8, v9, v80, vcc_lo
; %bb.112:
	s_or_b32 exec_lo, exec_lo, s3
	s_delay_alu instid0(VALU_DEP_1)
	v_perm_b32 v7, v8, v7, 0x7060302
	v_perm_b32 v6, v6, v5, 0x7060302
	;; [unrolled: 1-line block ×4, first 2 shown]
	v_lshl_or_b32 v9, v83, 4, v90
	s_barrier
	buffer_gl0_inv
	v_cmp_eq_u32_e32 vcc_lo, 1, v87
	ds_store_b128 v9, v[4:7]
	s_waitcnt lgkmcnt(0)
	s_barrier
	buffer_gl0_inv
	ds_load_b128 v[1:4], v90
	ds_load_b128 v[5:8], v90 offset:16
	v_cmp_eq_u32_e64 s4, 2, v87
	v_cmp_eq_u32_e64 s3, 1, v88
	;; [unrolled: 1-line block ×5, first 2 shown]
	s_waitcnt lgkmcnt(1)
	v_lshrrev_b32_e32 v10, 16, v1
	s_waitcnt lgkmcnt(0)
	v_lshrrev_b32_e32 v14, 16, v5
	v_lshrrev_b32_e32 v15, 16, v6
	;; [unrolled: 1-line block ×4, first 2 shown]
	v_cndmask_b32_e64 v20, v1, v10, s3
	v_cndmask_b32_e32 v19, v5, v14, vcc_lo
	v_cndmask_b32_e64 v21, v5, v14, s3
	v_lshrrev_b32_e32 v16, 16, v7
	v_cmp_eq_u32_e64 s3, 1, v86
	v_lshrrev_b32_e32 v13, 16, v4
	v_cndmask_b32_e64 v19, v19, v6, s4
	v_lshrrev_b32_e32 v17, 16, v8
	s_delay_alu instid0(VALU_DEP_4) | instskip(SKIP_1) | instid1(VALU_DEP_4)
	v_cndmask_b32_e64 v22, v1, v10, s3
	v_cndmask_b32_e64 v23, v5, v14, s3
	;; [unrolled: 1-line block ×3, first 2 shown]
	v_cndmask_b32_e32 v18, v1, v10, vcc_lo
	v_cmp_eq_u32_e32 vcc_lo, 2, v88
	v_cmp_eq_u32_e64 s3, 2, v89
	v_cndmask_b32_e64 v22, v22, v2, s7
	v_cndmask_b32_e32 v20, v20, v2, vcc_lo
	v_cndmask_b32_e32 v21, v21, v6, vcc_lo
	v_cmp_eq_u32_e32 vcc_lo, 4, v87
	v_cndmask_b32_e32 v19, v19, v7, vcc_lo
	v_cndmask_b32_e64 v18, v18, v2, s4
	v_cmp_eq_u32_e64 s4, 3, v88
	s_delay_alu instid0(VALU_DEP_2) | instskip(NEXT) | instid1(VALU_DEP_2)
	v_cndmask_b32_e64 v18, v18, v11, s5
	v_cndmask_b32_e64 v21, v21, v15, s4
	v_cmp_eq_u32_e64 s5, 5, v87
	s_delay_alu instid0(VALU_DEP_3) | instskip(SKIP_1) | instid1(VALU_DEP_3)
	v_cndmask_b32_e32 v18, v18, v3, vcc_lo
	v_cmp_eq_u32_e32 vcc_lo, 4, v88
	v_cndmask_b32_e64 v19, v19, v16, s5
	s_delay_alu instid0(VALU_DEP_3) | instskip(SKIP_4) | instid1(VALU_DEP_3)
	v_cndmask_b32_e64 v18, v18, v12, s5
	v_cndmask_b32_e32 v21, v21, v7, vcc_lo
	v_cndmask_b32_e64 v20, v20, v11, s4
	v_cmp_eq_u32_e64 s4, 5, v88
	v_cmp_eq_u32_e64 s5, 6, v87
	v_cndmask_b32_e32 v20, v20, v3, vcc_lo
	s_delay_alu instid0(VALU_DEP_3) | instskip(SKIP_1) | instid1(VALU_DEP_4)
	v_cndmask_b32_e64 v21, v21, v16, s4
	v_cmp_eq_u32_e32 vcc_lo, 6, v88
	v_cndmask_b32_e64 v18, v18, v4, s5
	v_cndmask_b32_e64 v19, v19, v8, s5
	;; [unrolled: 1-line block ×3, first 2 shown]
	v_cmp_eq_u32_e64 s4, 1, v89
	v_cmp_eq_u32_e64 s5, 7, v87
	s_delay_alu instid0(VALU_DEP_3) | instskip(NEXT) | instid1(VALU_DEP_3)
	v_cndmask_b32_e32 v20, v20, v4, vcc_lo
	v_cndmask_b32_e64 v1, v1, v10, s4
	v_cndmask_b32_e64 v5, v5, v14, s4
	v_cmp_eq_u32_e64 s4, 3, v86
	v_cndmask_b32_e64 v14, v23, v6, s7
	v_cmp_eq_u32_e64 s7, 3, v89
	v_cndmask_b32_e64 v1, v1, v2, s3
	v_cndmask_b32_e64 v2, v5, v6, s3
	;; [unrolled: 1-line block ×3, first 2 shown]
	v_cmp_eq_u32_e64 s3, 4, v86
	v_cndmask_b32_e64 v6, v14, v15, s4
	v_cndmask_b32_e64 v1, v1, v11, s7
	v_cmp_eq_u32_e64 s4, 4, v89
	v_cndmask_b32_e64 v2, v2, v15, s7
	v_cndmask_b32_e64 v5, v10, v3, s3
	v_cmp_eq_u32_e64 s7, 5, v86
	v_cndmask_b32_e64 v6, v6, v7, s3
	v_cndmask_b32_e64 v1, v1, v3, s4
	v_cndmask_b32_e64 v2, v2, v7, s4
	v_cmp_eq_u32_e64 s3, 5, v89
	v_cndmask_b32_e64 v5, v5, v12, s7
	v_cmp_eq_u32_e64 s4, 6, v86
	v_cndmask_b32_e64 v3, v6, v16, s7
	v_cmp_eq_u32_e64 s7, 6, v89
	v_cndmask_b32_e64 v1, v1, v12, s3
	v_cndmask_b32_e64 v2, v2, v16, s3
	;; [unrolled: 1-line block ×4, first 2 shown]
	v_cmp_eq_u32_e64 s3, 7, v89
	v_cndmask_b32_e64 v1, v1, v4, s7
	v_cndmask_b32_e64 v2, v2, v8, s7
	v_cmp_eq_u32_e64 s4, 7, v86
	v_cndmask_b32_e32 v4, v21, v8, vcc_lo
	v_cndmask_b32_e64 v18, v18, v13, s5
	v_cndmask_b32_e64 v20, v20, v13, s6
	;; [unrolled: 1-line block ×8, first 2 shown]
	v_cmp_gt_u32_e32 vcc_lo, 32, v0
	v_perm_b32 v4, v2, v1, 0x5040100
	v_perm_b32 v3, v3, v5, 0x5040100
	;; [unrolled: 1-line block ×4, first 2 shown]
	s_and_b32 s2, vcc_lo, s2
	ds_store_b128 v9, v[1:4]
	s_waitcnt lgkmcnt(0)
	s_barrier
	buffer_gl0_inv
	s_and_saveexec_b32 s3, s2
	s_cbranch_execz .LBB551_2
; %bb.113:
	s_load_b64 s[0:1], s[0:1], 0x68
	v_lshlrev_b32_e32 v0, 10, v0
	s_lshl_b32 s4, s34, 6
	v_or_b32_e32 v3, s31, v83
	s_mul_i32 s2, s4, s30
	v_lshlrev_b32_e32 v1, 4, v84
	v_lshlrev_b32_e32 v2, 6, v83
	v_and_b32_e32 v0, 0x3800, v0
	s_mul_i32 s2, s2, s8
	v_mul_lo_u32 v8, v3, s4
	s_ashr_i32 s3, s2, 31
	s_delay_alu instid0(SALU_CYCLE_1)
	s_lshl_b64 s[2:3], s[2:3], 1
	v_or3_b32 v16, v0, v1, v2
	ds_load_b128 v[0:3], v16
	ds_load_b128 v[4:7], v16 offset:128
	v_ashrrev_i32_e32 v9, 31, v8
	s_waitcnt lgkmcnt(0)
	s_add_u32 s2, s0, s2
	s_addc_u32 s3, s1, s3
	s_lshl_b32 s0, s14, 6
	s_delay_alu instid0(SALU_CYCLE_1) | instskip(SKIP_2) | instid1(SALU_CYCLE_1)
	s_ashr_i32 s1, s0, 31
	v_lshlrev_b64 v[9:10], 1, v[8:9]
	s_lshl_b64 s[0:1], s[0:1], 1
	s_add_u32 s0, s2, s0
	s_addc_u32 s1, s3, s1
	s_lshl_b32 s2, s34, 7
	v_add_co_u32 v30, vcc_lo, s0, v81
	v_add_nc_u32_e32 v11, s2, v8
	v_add_co_ci_u32_e32 v31, vcc_lo, s1, v82, vcc_lo
	s_delay_alu instid0(VALU_DEP_3) | instskip(NEXT) | instid1(VALU_DEP_3)
	v_add_co_u32 v9, vcc_lo, v30, v9
	v_add_nc_u32_e32 v8, s2, v11
	s_delay_alu instid0(VALU_DEP_3) | instskip(SKIP_1) | instid1(VALU_DEP_3)
	v_add_co_ci_u32_e32 v10, vcc_lo, v31, v10, vcc_lo
	v_ashrrev_i32_e32 v12, 31, v11
	v_add_nc_u32_e32 v13, s2, v8
	global_store_b128 v[9:10], v[0:3], off
	v_ashrrev_i32_e32 v9, 31, v8
	v_lshlrev_b64 v[11:12], 1, v[11:12]
	v_ashrrev_i32_e32 v14, 31, v13
	v_add_nc_u32_e32 v10, s2, v13
	s_delay_alu instid0(VALU_DEP_4) | instskip(NEXT) | instid1(VALU_DEP_4)
	v_lshlrev_b64 v[2:3], 1, v[8:9]
	v_add_co_u32 v0, vcc_lo, v30, v11
	s_delay_alu instid0(VALU_DEP_4)
	v_lshlrev_b64 v[8:9], 1, v[13:14]
	v_add_co_ci_u32_e32 v1, vcc_lo, v31, v12, vcc_lo
	v_ashrrev_i32_e32 v11, 31, v10
	v_add_co_u32 v22, vcc_lo, v30, v2
	v_add_nc_u32_e32 v20, s2, v10
	v_add_co_ci_u32_e32 v23, vcc_lo, v31, v3, vcc_lo
	v_add_co_u32 v24, vcc_lo, v30, v8
	global_store_b128 v[0:1], v[4:7], off
	v_add_co_ci_u32_e32 v25, vcc_lo, v31, v9, vcc_lo
	ds_load_b128 v[0:3], v16 offset:256
	ds_load_b128 v[4:7], v16 offset:384
	v_lshlrev_b64 v[26:27], 1, v[10:11]
	ds_load_b128 v[8:11], v16 offset:512
	ds_load_b128 v[12:15], v16 offset:640
	;; [unrolled: 1-line block ×3, first 2 shown]
	v_add_nc_u32_e32 v28, s2, v20
	v_ashrrev_i32_e32 v21, 31, v20
	v_add_co_u32 v26, vcc_lo, v30, v26
	s_delay_alu instid0(VALU_DEP_3) | instskip(NEXT) | instid1(VALU_DEP_3)
	v_ashrrev_i32_e32 v29, 31, v28
	v_lshlrev_b64 v[20:21], 1, v[20:21]
	v_add_co_ci_u32_e32 v27, vcc_lo, v31, v27, vcc_lo
	s_delay_alu instid0(VALU_DEP_3) | instskip(NEXT) | instid1(VALU_DEP_3)
	v_lshlrev_b64 v[28:29], 1, v[28:29]
	v_add_co_u32 v20, vcc_lo, v30, v20
	s_delay_alu instid0(VALU_DEP_4) | instskip(NEXT) | instid1(VALU_DEP_3)
	v_add_co_ci_u32_e32 v21, vcc_lo, v31, v21, vcc_lo
	v_add_co_u32 v28, vcc_lo, v30, v28
	s_delay_alu instid0(VALU_DEP_4)
	v_add_co_ci_u32_e32 v29, vcc_lo, v31, v29, vcc_lo
	s_waitcnt lgkmcnt(4)
	global_store_b128 v[22:23], v[0:3], off
	s_waitcnt lgkmcnt(3)
	global_store_b128 v[24:25], v[4:7], off
	;; [unrolled: 2-line block ×5, first 2 shown]
	s_nop 0
	s_sendmsg sendmsg(MSG_DEALLOC_VGPRS)
	s_endpgm
	.section	.rodata,"a",@progbits
	.p2align	6, 0x0
	.amdhsa_kernel _Z39paged_attention_ll4mi_QKV_mfma16_kernelI14__hip_bfloat16S0_LN4vllm18Fp8KVCacheDataTypeE0ES0_Li32ELi64ELi256ELb1ELi14EL8MFMAType0EEvPKT_PKT0_S9_ifPKiSB_SB_iPKfiiiPfSE_PS4_PT2_iSD_SD_
		.amdhsa_group_segment_fixed_size 17472
		.amdhsa_private_segment_fixed_size 0
		.amdhsa_kernarg_size 400
		.amdhsa_user_sgpr_count 13
		.amdhsa_user_sgpr_dispatch_ptr 0
		.amdhsa_user_sgpr_queue_ptr 0
		.amdhsa_user_sgpr_kernarg_segment_ptr 1
		.amdhsa_user_sgpr_dispatch_id 0
		.amdhsa_user_sgpr_private_segment_size 0
		.amdhsa_wavefront_size32 1
		.amdhsa_uses_dynamic_stack 0
		.amdhsa_enable_private_segment 0
		.amdhsa_system_sgpr_workgroup_id_x 1
		.amdhsa_system_sgpr_workgroup_id_y 1
		.amdhsa_system_sgpr_workgroup_id_z 1
		.amdhsa_system_sgpr_workgroup_info 0
		.amdhsa_system_vgpr_workitem_id 0
		.amdhsa_next_free_vgpr 142
		.amdhsa_next_free_sgpr 38
		.amdhsa_reserve_vcc 1
		.amdhsa_float_round_mode_32 0
		.amdhsa_float_round_mode_16_64 0
		.amdhsa_float_denorm_mode_32 3
		.amdhsa_float_denorm_mode_16_64 3
		.amdhsa_dx10_clamp 1
		.amdhsa_ieee_mode 1
		.amdhsa_fp16_overflow 0
		.amdhsa_workgroup_processor_mode 1
		.amdhsa_memory_ordered 1
		.amdhsa_forward_progress 0
		.amdhsa_shared_vgpr_count 0
		.amdhsa_exception_fp_ieee_invalid_op 0
		.amdhsa_exception_fp_denorm_src 0
		.amdhsa_exception_fp_ieee_div_zero 0
		.amdhsa_exception_fp_ieee_overflow 0
		.amdhsa_exception_fp_ieee_underflow 0
		.amdhsa_exception_fp_ieee_inexact 0
		.amdhsa_exception_int_div_zero 0
	.end_amdhsa_kernel
	.section	.text._Z39paged_attention_ll4mi_QKV_mfma16_kernelI14__hip_bfloat16S0_LN4vllm18Fp8KVCacheDataTypeE0ES0_Li32ELi64ELi256ELb1ELi14EL8MFMAType0EEvPKT_PKT0_S9_ifPKiSB_SB_iPKfiiiPfSE_PS4_PT2_iSD_SD_,"axG",@progbits,_Z39paged_attention_ll4mi_QKV_mfma16_kernelI14__hip_bfloat16S0_LN4vllm18Fp8KVCacheDataTypeE0ES0_Li32ELi64ELi256ELb1ELi14EL8MFMAType0EEvPKT_PKT0_S9_ifPKiSB_SB_iPKfiiiPfSE_PS4_PT2_iSD_SD_,comdat
.Lfunc_end551:
	.size	_Z39paged_attention_ll4mi_QKV_mfma16_kernelI14__hip_bfloat16S0_LN4vllm18Fp8KVCacheDataTypeE0ES0_Li32ELi64ELi256ELb1ELi14EL8MFMAType0EEvPKT_PKT0_S9_ifPKiSB_SB_iPKfiiiPfSE_PS4_PT2_iSD_SD_, .Lfunc_end551-_Z39paged_attention_ll4mi_QKV_mfma16_kernelI14__hip_bfloat16S0_LN4vllm18Fp8KVCacheDataTypeE0ES0_Li32ELi64ELi256ELb1ELi14EL8MFMAType0EEvPKT_PKT0_S9_ifPKiSB_SB_iPKfiiiPfSE_PS4_PT2_iSD_SD_
                                        ; -- End function
	.section	.AMDGPU.csdata,"",@progbits
; Kernel info:
; codeLenInByte = 9544
; NumSgprs: 40
; NumVgprs: 142
; ScratchSize: 0
; MemoryBound: 0
; FloatMode: 240
; IeeeMode: 1
; LDSByteSize: 17472 bytes/workgroup (compile time only)
; SGPRBlocks: 4
; VGPRBlocks: 17
; NumSGPRsForWavesPerEU: 40
; NumVGPRsForWavesPerEU: 142
; Occupancy: 10
; WaveLimiterHint : 1
; COMPUTE_PGM_RSRC2:SCRATCH_EN: 0
; COMPUTE_PGM_RSRC2:USER_SGPR: 13
; COMPUTE_PGM_RSRC2:TRAP_HANDLER: 0
; COMPUTE_PGM_RSRC2:TGID_X_EN: 1
; COMPUTE_PGM_RSRC2:TGID_Y_EN: 1
; COMPUTE_PGM_RSRC2:TGID_Z_EN: 1
; COMPUTE_PGM_RSRC2:TIDIG_COMP_CNT: 0
	.section	.text._Z39paged_attention_ll4mi_QKV_mfma16_kernelI14__hip_bfloat16S0_LN4vllm18Fp8KVCacheDataTypeE0ES0_Li32ELi64ELi256ELb1ELi15EL8MFMAType0EEvPKT_PKT0_S9_ifPKiSB_SB_iPKfiiiPfSE_PS4_PT2_iSD_SD_,"axG",@progbits,_Z39paged_attention_ll4mi_QKV_mfma16_kernelI14__hip_bfloat16S0_LN4vllm18Fp8KVCacheDataTypeE0ES0_Li32ELi64ELi256ELb1ELi15EL8MFMAType0EEvPKT_PKT0_S9_ifPKiSB_SB_iPKfiiiPfSE_PS4_PT2_iSD_SD_,comdat
	.protected	_Z39paged_attention_ll4mi_QKV_mfma16_kernelI14__hip_bfloat16S0_LN4vllm18Fp8KVCacheDataTypeE0ES0_Li32ELi64ELi256ELb1ELi15EL8MFMAType0EEvPKT_PKT0_S9_ifPKiSB_SB_iPKfiiiPfSE_PS4_PT2_iSD_SD_ ; -- Begin function _Z39paged_attention_ll4mi_QKV_mfma16_kernelI14__hip_bfloat16S0_LN4vllm18Fp8KVCacheDataTypeE0ES0_Li32ELi64ELi256ELb1ELi15EL8MFMAType0EEvPKT_PKT0_S9_ifPKiSB_SB_iPKfiiiPfSE_PS4_PT2_iSD_SD_
	.globl	_Z39paged_attention_ll4mi_QKV_mfma16_kernelI14__hip_bfloat16S0_LN4vllm18Fp8KVCacheDataTypeE0ES0_Li32ELi64ELi256ELb1ELi15EL8MFMAType0EEvPKT_PKT0_S9_ifPKiSB_SB_iPKfiiiPfSE_PS4_PT2_iSD_SD_
	.p2align	8
	.type	_Z39paged_attention_ll4mi_QKV_mfma16_kernelI14__hip_bfloat16S0_LN4vllm18Fp8KVCacheDataTypeE0ES0_Li32ELi64ELi256ELb1ELi15EL8MFMAType0EEvPKT_PKT0_S9_ifPKiSB_SB_iPKfiiiPfSE_PS4_PT2_iSD_SD_,@function
_Z39paged_attention_ll4mi_QKV_mfma16_kernelI14__hip_bfloat16S0_LN4vllm18Fp8KVCacheDataTypeE0ES0_Li32ELi64ELi256ELb1ELi15EL8MFMAType0EEvPKT_PKT0_S9_ifPKiSB_SB_iPKfiiiPfSE_PS4_PT2_iSD_SD_: ; @_Z39paged_attention_ll4mi_QKV_mfma16_kernelI14__hip_bfloat16S0_LN4vllm18Fp8KVCacheDataTypeE0ES0_Li32ELi64ELi256ELb1ELi15EL8MFMAType0EEvPKT_PKT0_S9_ifPKiSB_SB_iPKfiiiPfSE_PS4_PT2_iSD_SD_
; %bb.0:
	s_load_b64 s[2:3], s[0:1], 0x30
	s_mov_b32 s34, s13
	s_waitcnt lgkmcnt(0)
	s_cmp_lg_u64 s[2:3], 0
	s_cselect_b32 s6, -1, 0
	s_ashr_i32 s35, s13, 31
	s_cmp_eq_u64 s[2:3], 0
	s_cbranch_scc1 .LBB552_3
; %bb.1:
	s_lshl_b64 s[4:5], s[34:35], 2
	s_delay_alu instid0(SALU_CYCLE_1) | instskip(SKIP_4) | instid1(SALU_CYCLE_1)
	s_add_u32 s4, s2, s4
	s_addc_u32 s5, s3, s5
	s_load_b64 s[4:5], s[4:5], 0x0
	s_waitcnt lgkmcnt(0)
	s_sub_i32 s4, s5, s4
	s_cmp_eq_u32 s4, 1
	s_cselect_b32 s4, -1, 0
	s_delay_alu instid0(SALU_CYCLE_1)
	s_and_not1_b32 vcc_lo, exec_lo, s4
	s_cbranch_vccz .LBB552_4
.LBB552_2:
	s_nop 0
	s_sendmsg sendmsg(MSG_DEALLOC_VGPRS)
	s_endpgm
.LBB552_3:
.LBB552_4:
	s_load_b64 s[8:9], s[0:1], 0x28
	s_lshl_b64 s[4:5], s[34:35], 2
	s_waitcnt lgkmcnt(0)
	s_add_u32 s8, s8, s4
	s_addc_u32 s9, s9, s5
	s_lshl_b32 s16, s14, 8
	s_load_b32 s18, s[8:9], 0x0
	s_waitcnt lgkmcnt(0)
	s_cmp_ge_i32 s16, s18
	s_cbranch_scc1 .LBB552_2
; %bb.5:
	s_and_not1_b32 vcc_lo, exec_lo, s6
	s_cbranch_vccnz .LBB552_7
; %bb.6:
	s_add_u32 s2, s2, s4
	s_addc_u32 s3, s3, s5
	s_load_b32 s17, s[2:3], 0x0
	s_branch .LBB552_8
.LBB552_7:
	s_mov_b32 s17, s34
.LBB552_8:
	s_clause 0x2
	s_load_b128 s[8:11], s[0:1], 0x8
	s_load_b64 s[12:13], s[0:1], 0x20
	s_load_b128 s[4:7], s[0:1], 0x48
	v_lshrrev_b32_e32 v74, 5, v0
	v_bfe_u32 v83, v0, 4, 1
	v_and_b32_e32 v73, 15, v0
	s_delay_alu instid0(VALU_DEP_2) | instskip(NEXT) | instid1(VALU_DEP_2)
	v_lshl_or_b32 v3, v74, 1, v83
	v_cmp_lt_u32_e64 s3, 7, v73
	v_lshlrev_b32_e32 v1, 3, v73
	v_cmp_gt_u32_e64 s2, 8, v73
	s_delay_alu instid0(VALU_DEP_4) | instskip(NEXT) | instid1(VALU_DEP_4)
	v_cmp_lt_u32_e32 vcc_lo, 14, v3
	s_or_b32 s3, s3, vcc_lo
	s_waitcnt lgkmcnt(0)
	s_and_saveexec_b32 s7, s3
	s_delay_alu instid0(SALU_CYCLE_1)
	s_xor_b32 s3, exec_lo, s7
; %bb.9:
	v_mov_b32_e32 v2, 0
                                        ; implicit-def: $vgpr3
; %bb.10:
	s_or_saveexec_b32 s3, s3
	v_and_b32_e32 v75, 31, v0
	v_and_b32_e32 v84, 1, v0
	s_mul_i32 s31, s15, 15
	s_xor_b32 exec_lo, exec_lo, s3
	s_cbranch_execz .LBB552_12
; %bb.11:
	s_load_b64 s[20:21], s[0:1], 0x0
	v_add_lshl_u32 v4, v3, s31, 6
	s_mul_hi_i32 s23, s17, s4
	s_mul_i32 s22, s17, s4
	v_lshlrev_b32_e32 v2, 1, v1
	s_lshl_b64 s[22:23], s[22:23], 1
	v_ashrrev_i32_e32 v5, 31, v4
	v_lshlrev_b32_e32 v3, 6, v3
	v_lshlrev_b32_e32 v8, 10, v84
	s_delay_alu instid0(VALU_DEP_3) | instskip(SKIP_3) | instid1(VALU_DEP_1)
	v_lshlrev_b64 v[4:5], 1, v[4:5]
	s_waitcnt lgkmcnt(0)
	s_add_u32 s4, s20, s22
	s_addc_u32 s7, s21, s23
	v_add_co_u32 v4, vcc_lo, s4, v4
	s_delay_alu instid0(VALU_DEP_2) | instskip(NEXT) | instid1(VALU_DEP_2)
	v_add_co_ci_u32_e32 v5, vcc_lo, s7, v5, vcc_lo
	v_add_co_u32 v4, vcc_lo, v4, v2
	s_delay_alu instid0(VALU_DEP_2) | instskip(SKIP_3) | instid1(VALU_DEP_1)
	v_add_co_ci_u32_e32 v5, vcc_lo, 0, v5, vcc_lo
	v_lshlrev_b32_e32 v2, 10, v73
	global_load_b128 v[4:7], v[4:5], off
	v_and_b32_e32 v2, 0x3800, v2
	v_or3_b32 v3, v2, v8, v3
	v_mov_b32_e32 v2, 0
	s_waitcnt vmcnt(0)
	ds_store_b128 v3, v[4:7]
.LBB552_12:
	s_or_b32 exec_lo, exec_lo, s3
	v_and_b32_e32 v3, 0xef, v0
	s_add_i32 s3, s18, 31
	s_clause 0x1
	s_load_b32 s4, s[0:1], 0x38
	s_load_b32 s19, s[0:1], 0x1c
	s_ashr_i32 s7, s3, 31
	v_add_nc_u32_e32 v3, s16, v3
	s_lshr_b32 s7, s7, 27
	s_waitcnt lgkmcnt(0)
	s_add_i32 s3, s3, s7
	s_barrier
	v_ashrrev_i32_e32 v4, 31, v3
	v_cmp_gt_i32_e32 vcc_lo, s18, v3
	s_ashr_i32 s3, s3, 5
	buffer_gl0_inv
	s_add_i32 s3, s3, -1
	v_lshrrev_b32_e32 v5, 27, v4
	v_or_b32_e32 v4, 16, v3
	s_mul_i32 s6, s15, s6
	v_lshlrev_b64 v[81:82], 1, v[1:2]
	s_delay_alu instid0(VALU_DEP_3) | instskip(NEXT) | instid1(VALU_DEP_3)
	v_add_nc_u32_e32 v6, v3, v5
	v_add_nc_u32_e32 v5, v4, v5
	s_mul_i32 s20, s34, s4
	s_delay_alu instid0(SALU_CYCLE_1) | instskip(NEXT) | instid1(VALU_DEP_2)
	s_ashr_i32 s21, s20, 31
	v_ashrrev_i32_e32 v6, 5, v6
	s_delay_alu instid0(VALU_DEP_2) | instskip(SKIP_1) | instid1(SALU_CYCLE_1)
	v_ashrrev_i32_e32 v5, 5, v5
	s_lshl_b64 s[20:21], s[20:21], 2
	s_add_u32 s4, s12, s20
	s_delay_alu instid0(VALU_DEP_2) | instskip(SKIP_3) | instid1(SALU_CYCLE_1)
	v_cndmask_b32_e32 v3, s3, v6, vcc_lo
	v_cmp_gt_i32_e32 vcc_lo, s18, v4
	s_addc_u32 s17, s13, s21
	s_ashr_i32 s7, s6, 31
	s_lshl_b64 s[6:7], s[6:7], 1
	v_cndmask_b32_e32 v5, s3, v5, vcc_lo
	v_ashrrev_i32_e32 v4, 31, v3
	s_add_u32 s15, s8, s6
	s_addc_u32 s28, s9, s7
	s_lshl_b32 s8, s14, 3
	v_ashrrev_i32_e32 v6, 31, v5
	v_lshlrev_b64 v[3:4], 2, v[3:4]
	s_ashr_i32 s9, s8, 31
	s_delay_alu instid0(SALU_CYCLE_1) | instskip(NEXT) | instid1(VALU_DEP_2)
	s_lshl_b64 s[8:9], s[8:9], 2
	v_lshlrev_b64 v[5:6], 2, v[5:6]
	s_add_u32 s8, s4, s8
	s_delay_alu instid0(VALU_DEP_2) | instskip(SKIP_1) | instid1(VALU_DEP_3)
	v_add_co_u32 v3, vcc_lo, s4, v3
	v_add_co_ci_u32_e32 v4, vcc_lo, s17, v4, vcc_lo
	v_add_co_u32 v5, vcc_lo, s4, v5
	s_delay_alu instid0(VALU_DEP_4)
	v_add_co_ci_u32_e32 v6, vcc_lo, s17, v6, vcc_lo
	s_addc_u32 s9, s17, s9
	s_clause 0x1
	global_load_b32 v7, v[3:4], off
	global_load_b32 v8, v[5:6], off
	s_or_b32 s12, s16, 32
	s_delay_alu instid0(SALU_CYCLE_1) | instskip(SKIP_2) | instid1(SALU_CYCLE_1)
	s_ashr_i32 s13, s12, 5
	s_cmp_lt_i32 s12, s18
	s_cselect_b32 s12, s13, s3
	s_ashr_i32 s13, s12, 31
	s_delay_alu instid0(SALU_CYCLE_1) | instskip(NEXT) | instid1(SALU_CYCLE_1)
	s_lshl_b64 s[12:13], s[12:13], 2
	s_add_u32 s12, s4, s12
	s_addc_u32 s13, s17, s13
	s_or_b32 s20, s16, 64
	s_delay_alu instid0(SALU_CYCLE_1) | instskip(SKIP_2) | instid1(SALU_CYCLE_1)
	s_ashr_i32 s21, s20, 5
	s_cmp_lt_i32 s20, s18
	s_cselect_b32 s20, s21, s3
	s_ashr_i32 s21, s20, 31
	s_delay_alu instid0(SALU_CYCLE_1) | instskip(NEXT) | instid1(SALU_CYCLE_1)
	s_lshl_b64 s[20:21], s[20:21], 2
	s_add_u32 s20, s4, s20
	s_addc_u32 s21, s17, s21
	;; [unrolled: 10-line block ×5, first 2 shown]
	s_clause 0x5
	s_load_b32 s29, s[8:9], 0x0
	s_load_b32 s30, s[12:13], 0x0
	;; [unrolled: 1-line block ×6, first 2 shown]
	s_mov_b32 s20, 0
	s_or_b32 s8, s16, 0xc0
	s_mov_b32 s21, s20
	s_mov_b32 s22, s20
	s_mov_b32 s23, s20
	s_mov_b32 s24, s20
	s_mov_b32 s25, s20
	s_mov_b32 s26, s20
	s_mov_b32 s27, s20
	s_ashr_i32 s9, s8, 5
	v_mov_b32_e32 v117, s27
	s_cmp_lt_i32 s8, s18
	v_mov_b32_e32 v116, s26
	s_cselect_b32 s8, s9, s3
	v_mov_b32_e32 v115, s25
	s_ashr_i32 s9, s8, 31
	v_dual_mov_b32 v114, s24 :: v_dual_mov_b32 v113, s23
	v_dual_mov_b32 v112, s22 :: v_dual_mov_b32 v111, s21
	s_lshl_b64 s[8:9], s[8:9], 2
	s_waitcnt lgkmcnt(0)
	s_mul_hi_i32 s13, s29, s5
	s_add_u32 s8, s4, s8
	s_addc_u32 s9, s17, s9
	s_mul_i32 s12, s29, s5
	s_mul_hi_i32 s37, s38, s5
	v_mov_b32_e32 v110, s20
	s_mul_hi_i32 s21, s30, s5
	s_mul_i32 s20, s30, s5
	s_mul_hi_i32 s25, s33, s5
	s_mul_i32 s24, s33, s5
	;; [unrolled: 2-line block ×3, first 2 shown]
	s_waitcnt vmcnt(1)
	v_mad_i64_i32 v[3:4], null, v7, s5, 0
	s_waitcnt vmcnt(0)
	v_mad_i64_i32 v[5:6], null, v8, s5, 0
	s_delay_alu instid0(VALU_DEP_2) | instskip(NEXT) | instid1(VALU_DEP_2)
	v_lshlrev_b64 v[3:4], 1, v[3:4]
	v_lshlrev_b64 v[1:2], 1, v[5:6]
	s_delay_alu instid0(VALU_DEP_2) | instskip(NEXT) | instid1(VALU_DEP_3)
	v_add_co_u32 v3, vcc_lo, s15, v3
	v_add_co_ci_u32_e32 v4, vcc_lo, s28, v4, vcc_lo
	s_delay_alu instid0(VALU_DEP_3) | instskip(NEXT) | instid1(VALU_DEP_4)
	v_add_co_u32 v1, vcc_lo, s15, v1
	v_add_co_ci_u32_e32 v2, vcc_lo, s28, v2, vcc_lo
	s_delay_alu instid0(VALU_DEP_4) | instskip(NEXT) | instid1(VALU_DEP_4)
	v_add_co_u32 v41, vcc_lo, v3, v81
	v_add_co_ci_u32_e32 v42, vcc_lo, v4, v82, vcc_lo
	s_delay_alu instid0(VALU_DEP_4) | instskip(NEXT) | instid1(VALU_DEP_4)
	v_add_co_u32 v43, vcc_lo, v1, v81
	v_add_co_ci_u32_e32 v44, vcc_lo, v2, v82, vcc_lo
	s_clause 0xf
	global_load_b128 v[1:4], v[41:42], off
	global_load_b128 v[5:8], v[41:42], off offset:512
	global_load_b128 v[9:12], v[43:44], off offset:256
	;; [unrolled: 1-line block ×15, first 2 shown]
	v_cmp_ne_u32_e32 vcc_lo, 15, v73
	s_or_b32 s15, s16, 0xe0
	s_delay_alu instid0(SALU_CYCLE_1) | instskip(SKIP_3) | instid1(SALU_CYCLE_1)
	s_ashr_i32 s22, s15, 5
	s_cmp_lt_i32 s15, s18
	v_cndmask_b32_e32 v41, 0, v73, vcc_lo
	s_cselect_b32 s22, s22, s3
	s_ashr_i32 s23, s22, 31
	s_delay_alu instid0(VALU_DEP_1)
	v_lshlrev_b32_e32 v57, 6, v41
	ds_load_b128 v[41:44], v57
	ds_load_b128 v[45:48], v57 offset:1024
	ds_load_b128 v[49:52], v57 offset:2048
	;; [unrolled: 1-line block ×7, first 2 shown]
	s_lshl_b64 s[22:23], s[22:23], 2
	s_delay_alu instid0(SALU_CYCLE_1) | instskip(SKIP_2) | instid1(SALU_CYCLE_1)
	s_add_u32 s22, s4, s22
	s_addc_u32 s23, s17, s23
	s_add_i32 s15, s16, 0x100
	s_ashr_i32 s28, s15, 5
	s_cmp_lt_i32 s15, s18
	s_load_b32 s15, s[8:9], 0x0
	s_cselect_b32 s28, s28, s3
	s_mul_hi_i32 s9, s36, s5
	s_ashr_i32 s29, s28, 31
	s_mul_i32 s8, s36, s5
	s_lshl_b64 s[28:29], s[28:29], 2
	s_mul_i32 s36, s38, s5
	s_add_u32 s28, s4, s28
	s_addc_u32 s29, s17, s29
	s_add_u32 s3, s10, s6
	s_clause 0x1
	s_load_b32 s4, s[22:23], 0x0
	s_load_b32 s17, s[28:29], 0x0
	s_addc_u32 s28, s11, s7
	s_lshl_b64 s[6:7], s[12:13], 1
	s_lshl_b64 s[10:11], s[20:21], 1
	;; [unrolled: 1-line block ×6, first 2 shown]
	s_waitcnt lgkmcnt(0)
	s_mul_hi_i32 s25, s15, s5
	s_mul_i32 s24, s15, s5
	s_waitcnt vmcnt(14)
	v_wmma_f32_16x16x16_bf16 v[134:141], v[1:8], v[41:48], v[110:117]
	s_waitcnt vmcnt(10)
	s_delay_alu instid0(VALU_DEP_1) | instskip(SKIP_1) | instid1(VALU_DEP_1)
	v_wmma_f32_16x16x16_bf16 v[134:141], v[17:24], v[49:56], v[134:141]
	s_waitcnt vmcnt(6)
	v_wmma_f32_16x16x16_bf16 v[134:141], v[33:40], v[118:125], v[134:141]
	s_waitcnt vmcnt(2)
	s_delay_alu instid0(VALU_DEP_1) | instskip(SKIP_1) | instid1(VALU_DEP_2)
	v_wmma_f32_16x16x16_bf16 v[134:141], v[94:101], v[126:133], v[134:141]
	v_lshlrev_b32_e32 v85, 6, v73
	v_mul_f32_e32 v100, s19, v141
	s_delay_alu instid0(VALU_DEP_2) | instskip(SKIP_1) | instid1(VALU_DEP_2)
	v_lshl_or_b32 v58, v74, 10, v85
	v_wmma_f32_16x16x16_bf16 v[110:117], v[9:16], v[41:48], v[110:117]
	v_add_co_u32 v76, s3, s3, v58
	s_delay_alu instid0(VALU_DEP_1) | instskip(NEXT) | instid1(VALU_DEP_3)
	v_add_co_ci_u32_e64 v77, null, s28, 0, s3
	v_wmma_f32_16x16x16_bf16 v[110:117], v[25:32], v[49:56], v[110:117]
	s_delay_alu instid0(VALU_DEP_3) | instskip(NEXT) | instid1(VALU_DEP_3)
	v_add_co_u32 v57, vcc_lo, v76, s6
	v_add_co_ci_u32_e32 v58, vcc_lo, s7, v77, vcc_lo
	v_add_co_u32 v1, vcc_lo, v76, s10
	v_add_co_ci_u32_e32 v2, vcc_lo, s11, v77, vcc_lo
	;; [unrolled: 2-line block ×5, first 2 shown]
	s_clause 0x9
	global_load_b128 v[65:68], v[57:58], off
	global_load_b128 v[69:72], v[57:58], off offset:16
	global_load_b128 v[57:60], v[1:2], off
	global_load_b128 v[61:64], v[1:2], off offset:16
	;; [unrolled: 2-line block ×5, first 2 shown]
	v_add_co_u32 v5, vcc_lo, v76, s22
	s_lshl_b64 s[6:7], s[24:25], 1
	v_add_co_ci_u32_e32 v6, vcc_lo, s23, v77, vcc_lo
	s_mul_hi_i32 s9, s4, s5
	s_mul_i32 s8, s4, s5
	v_add_co_u32 v17, vcc_lo, v76, s6
	v_add_co_ci_u32_e32 v18, vcc_lo, s7, v77, vcc_lo
	s_lshl_b64 s[6:7], s[8:9], 1
	s_mul_hi_i32 s9, s17, s5
	s_mul_i32 s8, s17, s5
	v_add_co_u32 v19, vcc_lo, v76, s6
	s_lshl_b64 s[4:5], s[8:9], 1
	v_add_co_ci_u32_e32 v20, vcc_lo, s7, v77, vcc_lo
	v_add_co_u32 v21, vcc_lo, v76, s4
	v_add_co_ci_u32_e32 v22, vcc_lo, s5, v77, vcc_lo
	s_clause 0x7
	global_load_b128 v[1:4], v[5:6], off
	global_load_b128 v[5:8], v[5:6], off offset:16
	global_load_b128 v[33:36], v[17:18], off
	global_load_b128 v[37:40], v[17:18], off offset:16
	;; [unrolled: 2-line block ×4, first 2 shown]
	v_and_b32_e32 v76, 0xe0, v0
	v_mbcnt_lo_u32_b32 v77, -1, 0
	v_wmma_f32_16x16x16_bf16 v[110:117], v[86:93], v[118:125], v[110:117]
	s_waitcnt vmcnt(0)
	s_barrier
	v_add_nc_u32_e32 v76, s16, v76
	v_xor_b32_e32 v78, 16, v77
	v_wmma_f32_16x16x16_bf16 v[110:117], v[102:109], v[126:133], v[110:117]
	v_mul_f32_e32 v97, s19, v134
	v_mul_f32_e32 v99, s19, v135
	v_or_b32_e32 v76, v76, v83
	v_cmp_gt_i32_e32 vcc_lo, 32, v78
	buffer_gl0_inv
	v_or_b32_e32 v79, 4, v76
	v_cndmask_b32_e32 v77, v77, v78, vcc_lo
	v_or_b32_e32 v78, 2, v76
	v_or_b32_e32 v80, 6, v76
	v_or_b32_e32 v86, 8, v76
	v_cmp_gt_i32_e32 vcc_lo, s18, v76
	v_or_b32_e32 v87, 10, v76
	v_cmp_gt_i32_e64 s3, s18, v78
	v_or_b32_e32 v88, 12, v76
	v_or_b32_e32 v89, 14, v76
	;; [unrolled: 1-line block ×10, first 2 shown]
	v_cndmask_b32_e64 v78, 0xff7fffff, v99, s3
	v_mul_f32_e32 v99, s19, v137
	v_cmp_gt_i32_e64 s4, s18, v80
	v_mul_f32_e32 v80, s19, v136
	v_cmp_gt_i32_e64 s5, s18, v79
	v_cmp_gt_i32_e64 s6, s18, v86
	v_mul_f32_e32 v86, s19, v116
	v_cndmask_b32_e32 v76, 0xff7fffff, v97, vcc_lo
	v_mul_f32_e32 v79, s19, v139
	v_cndmask_b32_e64 v80, 0xff7fffff, v80, s5
	v_cndmask_b32_e64 v99, 0xff7fffff, v99, s4
	v_cmp_gt_i32_e64 s7, s18, v87
	v_max3_f32 v76, v76, 0xff7fffff, v78
	v_dual_mul_f32 v78, s19, v138 :: v_dual_mul_f32 v97, s19, v140
	v_cmp_gt_i32_e64 s8, s18, v89
	s_delay_alu instid0(VALU_DEP_4) | instskip(NEXT) | instid1(VALU_DEP_4)
	v_cndmask_b32_e64 v79, 0xff7fffff, v79, s7
	v_max3_f32 v76, v76, v80, v99
	s_delay_alu instid0(VALU_DEP_4) | instskip(SKIP_3) | instid1(VALU_DEP_4)
	v_cndmask_b32_e64 v78, 0xff7fffff, v78, s6
	v_cmp_gt_i32_e64 s9, s18, v88
	v_dual_mul_f32 v88, s19, v111 :: v_dual_mul_f32 v89, s19, v110
	v_cndmask_b32_e64 v100, 0xff7fffff, v100, s8
	v_max3_f32 v76, v76, v78, v79
	s_delay_alu instid0(VALU_DEP_4) | instskip(SKIP_3) | instid1(VALU_DEP_4)
	v_cndmask_b32_e64 v97, 0xff7fffff, v97, s9
	v_cmp_gt_i32_e64 s10, s18, v90
	v_cmp_gt_i32_e64 s11, s18, v91
	v_dual_mul_f32 v78, s19, v113 :: v_dual_mul_f32 v79, s19, v112
	v_max3_f32 v76, v76, v97, v100
	s_delay_alu instid0(VALU_DEP_4) | instskip(NEXT) | instid1(VALU_DEP_4)
	v_cndmask_b32_e64 v89, 0xff7fffff, v89, s10
	v_cndmask_b32_e64 v88, 0xff7fffff, v88, s11
	v_cmp_gt_i32_e64 s12, s18, v92
	v_cmp_gt_i32_e64 s13, s18, v93
	v_mul_f32_e32 v87, s19, v115
	v_mul_f32_e32 v99, s19, v114
	v_max3_f32 v76, v76, v89, v88
	v_cndmask_b32_e64 v79, 0xff7fffff, v79, s12
	v_cndmask_b32_e64 v78, 0xff7fffff, v78, s13
	v_cmp_gt_i32_e64 s15, s18, v94
	v_cmp_gt_i32_e64 s16, s18, v95
	v_mul_f32_e32 v80, s19, v117
	v_cmp_gt_i32_e64 s17, s18, v96
	v_max3_f32 v76, v76, v79, v78
	v_cndmask_b32_e64 v88, 0xff7fffff, v99, s15
	v_cndmask_b32_e64 v87, 0xff7fffff, v87, s16
	v_cmp_gt_i32_e64 s18, s18, v98
	v_cndmask_b32_e64 v78, 0xff7fffff, v86, s17
	v_lshlrev_b32_e32 v99, 2, v77
	s_delay_alu instid0(VALU_DEP_4) | instskip(NEXT) | instid1(VALU_DEP_4)
	v_max3_f32 v76, v76, v88, v87
	v_cndmask_b32_e64 v79, 0xff7fffff, v80, s18
	s_delay_alu instid0(VALU_DEP_1) | instskip(SKIP_3) | instid1(VALU_DEP_1)
	v_max3_f32 v76, v76, v78, v79
	ds_bpermute_b32 v77, v99, v76
	s_waitcnt lgkmcnt(0)
	v_max_f32_e32 v77, v77, v77
	v_max_f32_e32 v76, v76, v77
	s_delay_alu instid0(VALU_DEP_1)
	v_fma_f32 v86, s19, v138, -v76
	v_fma_f32 v77, s19, v134, -v76
	;; [unrolled: 1-line block ×5, first 2 shown]
	v_mul_f32_e32 v86, 0x3fb8aa3b, v86
	v_fma_f32 v88, s19, v114, -v76
	s_delay_alu instid0(VALU_DEP_4) | instskip(NEXT) | instid1(VALU_DEP_4)
	v_dual_mul_f32 v78, 0x3fb8aa3b, v78 :: v_dual_mul_f32 v79, 0x3fb8aa3b, v79
	v_mul_f32_e32 v80, 0x3fb8aa3b, v80
	s_delay_alu instid0(VALU_DEP_4) | instskip(SKIP_1) | instid1(VALU_DEP_3)
	v_exp_f32_e32 v86, v86
	v_fma_f32 v87, s19, v140, -v76
	v_exp_f32_e32 v78, v78
	v_exp_f32_e32 v79, v79
	;; [unrolled: 1-line block ×3, first 2 shown]
	s_delay_alu instid0(VALU_DEP_1)
	v_dual_mul_f32 v88, 0x3fb8aa3b, v88 :: v_dual_mul_f32 v87, 0x3fb8aa3b, v87
	v_fma_f32 v100, s19, v117, -v76
	v_fma_f32 v90, s19, v116, -v76
	v_cndmask_b32_e64 v96, 0, v86, s6
	v_fma_f32 v86, s19, v111, -v76
	v_mul_f32_e32 v77, 0x3fb8aa3b, v77
	s_delay_alu instid0(TRANS32_DEP_3) | instskip(NEXT) | instid1(TRANS32_DEP_2)
	v_cndmask_b32_e64 v91, 0, v78, s3
	v_cndmask_b32_e64 v93, 0, v79, s5
	s_delay_alu instid0(TRANS32_DEP_1)
	v_cndmask_b32_e64 v95, 0, v80, s4
	v_mul_f32_e32 v86, 0x3fb8aa3b, v86
	v_exp_f32_e32 v77, v77
	v_fma_f32 v79, s19, v141, -v76
	v_fma_f32 v80, s19, v110, -v76
	v_exp_f32_e32 v87, v87
	v_exp_f32_e32 v86, v86
	s_delay_alu instid0(VALU_DEP_2) | instskip(NEXT) | instid1(VALU_DEP_2)
	v_dual_mul_f32 v100, 0x3fb8aa3b, v100 :: v_dual_mul_f32 v79, 0x3fb8aa3b, v79
	v_mul_f32_e32 v80, 0x3fb8aa3b, v80
	v_exp_f32_e32 v88, v88
	v_cmp_gt_u32_e64 s3, 16, v75
	v_cndmask_b32_e32 v92, 0, v77, vcc_lo
	v_fma_f32 v77, s19, v139, -v76
	v_exp_f32_e32 v79, v79
	v_exp_f32_e32 v80, v80
	v_cndmask_b32_e64 v94, 0, v87, s9
	s_delay_alu instid0(VALU_DEP_2) | instskip(SKIP_2) | instid1(VALU_DEP_2)
	v_dual_add_f32 v78, 0, v92 :: v_dual_mul_f32 v77, 0x3fb8aa3b, v77
	v_fma_f32 v87, s19, v113, -v76
	v_exp_f32_e32 v100, v100
	v_add_f32_e32 v78, v78, v91
	s_delay_alu instid0(VALU_DEP_3) | instskip(SKIP_1) | instid1(VALU_DEP_2)
	v_exp_f32_e32 v77, v77
	v_cndmask_b32_e64 v98, 0, v79, s8
	v_dual_mul_f32 v87, 0x3fb8aa3b, v87 :: v_dual_add_f32 v78, v78, v93
	s_delay_alu instid0(VALU_DEP_1) | instskip(NEXT) | instid1(VALU_DEP_1)
	v_exp_f32_e32 v87, v87
	v_add_f32_e32 v78, v78, v95
	s_waitcnt_depctr 0xfff
	v_cndmask_b32_e64 v97, 0, v77, s7
	v_add_f32_e32 v77, v78, v96
	v_fma_f32 v78, s19, v112, -v76
	s_delay_alu instid0(VALU_DEP_1) | instskip(NEXT) | instid1(VALU_DEP_1)
	v_mul_f32_e32 v78, 0x3fb8aa3b, v78
	v_exp_f32_e32 v89, v78
	v_cndmask_b32_e64 v78, 0, v86, s11
	v_add_f32_e32 v77, v77, v97
	s_delay_alu instid0(VALU_DEP_1) | instskip(SKIP_2) | instid1(VALU_DEP_1)
	v_add_f32_e32 v79, v77, v94
	v_cndmask_b32_e64 v77, 0, v80, s10
	v_fma_f32 v80, s19, v115, -v76
	v_dual_add_f32 v79, v79, v98 :: v_dual_mul_f32 v80, 0x3fb8aa3b, v80
	s_delay_alu instid0(VALU_DEP_1) | instskip(NEXT) | instid1(TRANS32_DEP_1)
	v_add_f32_e32 v86, v79, v77
	v_cndmask_b32_e64 v79, 0, v89, s12
	v_mul_f32_e32 v89, 0x3fb8aa3b, v90
	s_delay_alu instid0(VALU_DEP_4) | instskip(SKIP_2) | instid1(VALU_DEP_3)
	v_exp_f32_e32 v90, v80
	v_cndmask_b32_e64 v80, 0, v87, s13
	v_add_f32_e32 v86, v86, v78
	v_exp_f32_e32 v89, v89
	s_delay_alu instid0(VALU_DEP_1) | instskip(SKIP_1) | instid1(VALU_DEP_2)
	v_add_f32_e32 v87, v86, v79
	v_cndmask_b32_e64 v86, 0, v88, s15
	v_add_f32_e32 v88, v87, v80
	s_delay_alu instid0(TRANS32_DEP_2) | instskip(NEXT) | instid1(VALU_DEP_2)
	v_cndmask_b32_e64 v87, 0, v90, s16
	v_add_f32_e32 v90, v88, v86
	s_waitcnt_depctr 0xfff
	v_cndmask_b32_e64 v88, 0, v89, s17
	v_add_f32_e32 v89, v90, v87
	s_delay_alu instid0(VALU_DEP_1) | instskip(SKIP_1) | instid1(VALU_DEP_1)
	v_add_f32_e32 v90, v89, v88
	v_cndmask_b32_e64 v89, 0, v100, s18
	v_add_f32_e32 v90, v90, v89
	ds_bpermute_b32 v99, v99, v90
	s_and_saveexec_b32 s4, s3
	s_cbranch_execz .LBB552_14
; %bb.13:
	v_mul_u32_u24_e32 v75, 0x44, v74
	s_waitcnt lgkmcnt(0)
	v_add_f32_e32 v90, v90, v99
	s_delay_alu instid0(VALU_DEP_2) | instskip(NEXT) | instid1(VALU_DEP_1)
	v_lshl_add_u32 v75, v73, 2, v75
	v_add_nc_u32_e32 v75, 0x4000, v75
	ds_store_2addr_b32 v75, v76, v90 offset1:136
.LBB552_14:
	s_or_b32 exec_lo, exec_lo, s4
	v_lshlrev_b32_e32 v75, 2, v73
	s_waitcnt lgkmcnt(0)
	s_barrier
	buffer_gl0_inv
	v_cmp_eq_u32_e64 s4, 1, v74
	v_add_nc_u32_e32 v90, 0x4000, v75
	ds_load_2addr_b32 v[99:100], v90 offset1:17
	ds_load_2addr_b32 v[101:102], v90 offset0:34 offset1:51
	ds_load_2addr_b32 v[103:104], v90 offset0:68 offset1:85
	;; [unrolled: 1-line block ×4, first 2 shown]
	s_waitcnt lgkmcnt(4)
	v_max3_f32 v75, v99, 0xff7fffff, v100
	s_waitcnt lgkmcnt(3)
	s_delay_alu instid0(VALU_DEP_1) | instskip(SKIP_1) | instid1(VALU_DEP_1)
	v_max3_f32 v75, v75, v101, v102
	s_waitcnt lgkmcnt(2)
	v_max3_f32 v75, v75, v103, v104
	s_waitcnt lgkmcnt(1)
	s_delay_alu instid0(VALU_DEP_1) | instskip(NEXT) | instid1(VALU_DEP_1)
	v_max3_f32 v75, v75, v105, v106
	v_sub_f32_e32 v109, v100, v75
	v_sub_f32_e32 v76, v99, v75
	ds_load_2addr_b32 v[99:100], v90 offset0:170 offset1:187
	v_sub_f32_e32 v101, v101, v75
	v_dual_mul_f32 v109, 0x3fb8aa3b, v109 :: v_dual_mul_f32 v76, 0x3fb8aa3b, v76
	s_delay_alu instid0(VALU_DEP_2) | instskip(NEXT) | instid1(VALU_DEP_2)
	v_mul_f32_e32 v111, 0x3fb8aa3b, v101
	v_exp_f32_e32 v109, v109
	s_delay_alu instid0(VALU_DEP_2)
	v_exp_f32_e32 v110, v76
	v_sub_f32_e32 v76, v102, v75
	ds_load_2addr_b32 v[101:102], v90 offset0:204 offset1:221
	v_exp_f32_e32 v111, v111
	v_mul_f32_e32 v112, 0x3fb8aa3b, v76
	s_waitcnt lgkmcnt(2)
	v_fma_f32 v76, v110, v107, 0
	v_sub_f32_e32 v103, v103, v75
	s_delay_alu instid0(VALU_DEP_3) | instskip(NEXT) | instid1(VALU_DEP_2)
	v_exp_f32_e32 v112, v112
	v_dual_sub_f32 v107, v104, v75 :: v_dual_fmac_f32 v76, v109, v108
	s_waitcnt lgkmcnt(1)
	s_waitcnt_depctr 0xfff
	v_fmac_f32_e32 v76, v111, v99
	v_mul_f32_e32 v113, 0x3fb8aa3b, v103
	ds_load_2addr_b32 v[103:104], v90 offset0:238 offset1:255
	v_sub_f32_e32 v90, v105, v75
	v_dual_sub_f32 v99, v106, v75 :: v_dual_fmac_f32 v76, v112, v100
	v_mul_f32_e32 v105, 0x3fb8aa3b, v107
	v_exp_f32_e32 v107, v113
	s_delay_alu instid0(VALU_DEP_2)
	v_dual_mul_f32 v90, 0x3fb8aa3b, v90 :: v_dual_mul_f32 v99, 0x3fb8aa3b, v99
	s_waitcnt lgkmcnt(0)
	s_barrier
	buffer_gl0_inv
	v_exp_f32_e32 v90, v90
	v_exp_f32_e32 v99, v99
	v_fmac_f32_e32 v76, v107, v101
	v_exp_f32_e32 v105, v105
	s_waitcnt_depctr 0xfff
	v_fmac_f32_e32 v76, v105, v102
	s_delay_alu instid0(VALU_DEP_1) | instskip(NEXT) | instid1(VALU_DEP_1)
	v_fmac_f32_e32 v76, v90, v103
	v_fmac_f32_e32 v76, v99, v104
	s_delay_alu instid0(VALU_DEP_1) | instskip(NEXT) | instid1(VALU_DEP_1)
	v_add_f32_e32 v100, 0x358637bd, v76
	v_div_scale_f32 v101, null, v100, v100, 1.0
	v_div_scale_f32 v104, vcc_lo, 1.0, v100, 1.0
	s_delay_alu instid0(VALU_DEP_2) | instskip(SKIP_2) | instid1(VALU_DEP_1)
	v_rcp_f32_e32 v102, v101
	s_waitcnt_depctr 0xfff
	v_fma_f32 v103, -v101, v102, 1.0
	v_fmac_f32_e32 v102, v103, v102
	v_cndmask_b32_e64 v103, v110, v109, s4
	v_cmp_eq_u32_e64 s4, 2, v74
	s_delay_alu instid0(VALU_DEP_3) | instskip(NEXT) | instid1(VALU_DEP_2)
	v_mul_f32_e32 v106, v104, v102
	v_cndmask_b32_e64 v103, v103, v111, s4
	v_cmp_eq_u32_e64 s4, 3, v74
	s_delay_alu instid0(VALU_DEP_3) | instskip(NEXT) | instid1(VALU_DEP_2)
	v_fma_f32 v108, -v101, v106, v104
	v_cndmask_b32_e64 v103, v103, v112, s4
	v_cmp_eq_u32_e64 s4, 4, v74
	s_delay_alu instid0(VALU_DEP_3) | instskip(NEXT) | instid1(VALU_DEP_2)
	v_fmac_f32_e32 v106, v108, v102
	v_cndmask_b32_e64 v103, v103, v107, s4
	s_delay_alu instid0(VALU_DEP_2) | instskip(SKIP_1) | instid1(VALU_DEP_2)
	v_fma_f32 v101, -v101, v106, v104
	v_cmp_eq_u32_e64 s4, 5, v74
	v_div_fmas_f32 v101, v101, v102, v106
	s_delay_alu instid0(VALU_DEP_2) | instskip(SKIP_2) | instid1(VALU_DEP_3)
	v_cndmask_b32_e64 v103, v103, v105, s4
	v_cmp_eq_u32_e32 vcc_lo, 6, v74
	s_mov_b32 s4, exec_lo
	v_div_fixup_f32 v100, v101, v100, 1.0
	s_delay_alu instid0(VALU_DEP_3) | instskip(SKIP_1) | instid1(VALU_DEP_2)
	v_cndmask_b32_e32 v90, v103, v90, vcc_lo
	v_cmp_eq_u32_e32 vcc_lo, 7, v74
	v_cndmask_b32_e32 v90, v90, v99, vcc_lo
	s_delay_alu instid0(VALU_DEP_1) | instskip(NEXT) | instid1(VALU_DEP_1)
	v_mul_f32_e32 v90, v90, v100
	v_mul_f32_e32 v100, v90, v92
	;; [unrolled: 1-line block ×6, first 2 shown]
	v_and_b32_e32 v101, 0x7f800000, v100
	v_mul_f32_e32 v99, v90, v95
	v_mul_f32_e32 v95, v90, v91
	v_mul_f32_e32 v96, v90, v93
                                        ; implicit-def: $vgpr91
	s_delay_alu instid0(VALU_DEP_4)
	v_cmpx_ne_u32_e32 0x7f800000, v101
	s_xor_b32 s4, exec_lo, s4
; %bb.15:
	v_bfe_u32 v91, v100, 16, 1
	s_delay_alu instid0(VALU_DEP_1)
	v_add3_u32 v91, v100, v91, 0x7fff
                                        ; implicit-def: $vgpr100
; %bb.16:
	s_and_not1_saveexec_b32 s4, s4
; %bb.17:
	v_and_b32_e32 v91, 0xffff, v100
	v_or_b32_e32 v93, 0x10000, v100
	s_delay_alu instid0(VALU_DEP_2) | instskip(NEXT) | instid1(VALU_DEP_2)
	v_cmp_eq_u32_e32 vcc_lo, 0, v91
	v_cndmask_b32_e32 v91, v93, v100, vcc_lo
; %bb.18:
	s_or_b32 exec_lo, exec_lo, s4
	v_and_b32_e32 v93, 0x7f800000, v95
	s_delay_alu instid0(VALU_DEP_1) | instskip(SKIP_1) | instid1(SALU_CYCLE_1)
	v_cmp_ne_u32_e32 vcc_lo, 0x7f800000, v93
                                        ; implicit-def: $vgpr93
	s_and_saveexec_b32 s4, vcc_lo
	s_xor_b32 s4, exec_lo, s4
; %bb.19:
	v_bfe_u32 v93, v95, 16, 1
	s_delay_alu instid0(VALU_DEP_1)
	v_add3_u32 v93, v95, v93, 0x7fff
                                        ; implicit-def: $vgpr95
; %bb.20:
	s_and_not1_saveexec_b32 s4, s4
; %bb.21:
	v_and_b32_e32 v93, 0xffff, v95
	v_or_b32_e32 v100, 0x10000, v95
	s_delay_alu instid0(VALU_DEP_2) | instskip(NEXT) | instid1(VALU_DEP_2)
	v_cmp_eq_u32_e32 vcc_lo, 0, v93
	v_cndmask_b32_e32 v93, v100, v95, vcc_lo
; %bb.22:
	s_or_b32 exec_lo, exec_lo, s4
	v_and_b32_e32 v95, 0x7f800000, v96
	s_delay_alu instid0(VALU_DEP_1) | instskip(SKIP_1) | instid1(SALU_CYCLE_1)
	v_cmp_ne_u32_e32 vcc_lo, 0x7f800000, v95
                                        ; implicit-def: $vgpr95
	s_and_saveexec_b32 s4, vcc_lo
	s_xor_b32 s4, exec_lo, s4
; %bb.23:
	v_bfe_u32 v95, v96, 16, 1
	s_delay_alu instid0(VALU_DEP_1)
	v_add3_u32 v95, v96, v95, 0x7fff
                                        ; implicit-def: $vgpr96
; %bb.24:
	s_and_not1_saveexec_b32 s4, s4
; %bb.25:
	v_and_b32_e32 v95, 0xffff, v96
	v_or_b32_e32 v100, 0x10000, v96
	s_delay_alu instid0(VALU_DEP_2) | instskip(NEXT) | instid1(VALU_DEP_2)
	v_cmp_eq_u32_e32 vcc_lo, 0, v95
	v_cndmask_b32_e32 v95, v100, v96, vcc_lo
; %bb.26:
	s_or_b32 exec_lo, exec_lo, s4
	v_and_b32_e32 v96, 0x7f800000, v99
	s_delay_alu instid0(VALU_DEP_1) | instskip(SKIP_1) | instid1(SALU_CYCLE_1)
	v_cmp_ne_u32_e32 vcc_lo, 0x7f800000, v96
                                        ; implicit-def: $vgpr96
	s_and_saveexec_b32 s4, vcc_lo
	s_xor_b32 s4, exec_lo, s4
; %bb.27:
	v_bfe_u32 v96, v99, 16, 1
	s_delay_alu instid0(VALU_DEP_1)
	v_add3_u32 v96, v99, v96, 0x7fff
                                        ; implicit-def: $vgpr99
; %bb.28:
	s_and_not1_saveexec_b32 s4, s4
; %bb.29:
	v_and_b32_e32 v96, 0xffff, v99
	v_or_b32_e32 v100, 0x10000, v99
	s_delay_alu instid0(VALU_DEP_2) | instskip(NEXT) | instid1(VALU_DEP_2)
	v_cmp_eq_u32_e32 vcc_lo, 0, v96
	v_cndmask_b32_e32 v96, v100, v99, vcc_lo
; %bb.30:
	s_or_b32 exec_lo, exec_lo, s4
	v_and_b32_e32 v99, 0x7f800000, v98
	s_delay_alu instid0(VALU_DEP_1) | instskip(SKIP_1) | instid1(SALU_CYCLE_1)
	v_cmp_ne_u32_e32 vcc_lo, 0x7f800000, v99
                                        ; implicit-def: $vgpr99
	s_and_saveexec_b32 s4, vcc_lo
	s_xor_b32 s4, exec_lo, s4
; %bb.31:
	v_bfe_u32 v99, v98, 16, 1
	s_delay_alu instid0(VALU_DEP_1)
	v_add3_u32 v99, v98, v99, 0x7fff
                                        ; implicit-def: $vgpr98
; %bb.32:
	s_and_not1_saveexec_b32 s4, s4
; %bb.33:
	v_and_b32_e32 v99, 0xffff, v98
	v_or_b32_e32 v100, 0x10000, v98
	s_delay_alu instid0(VALU_DEP_2) | instskip(NEXT) | instid1(VALU_DEP_2)
	v_cmp_eq_u32_e32 vcc_lo, 0, v99
	v_cndmask_b32_e32 v99, v100, v98, vcc_lo
; %bb.34:
	s_or_b32 exec_lo, exec_lo, s4
	v_and_b32_e32 v98, 0x7f800000, v97
	s_delay_alu instid0(VALU_DEP_1) | instskip(SKIP_1) | instid1(SALU_CYCLE_1)
	v_cmp_ne_u32_e32 vcc_lo, 0x7f800000, v98
                                        ; implicit-def: $vgpr98
	s_and_saveexec_b32 s4, vcc_lo
	s_xor_b32 s4, exec_lo, s4
; %bb.35:
	v_bfe_u32 v98, v97, 16, 1
	s_delay_alu instid0(VALU_DEP_1)
	v_add3_u32 v98, v97, v98, 0x7fff
                                        ; implicit-def: $vgpr97
; %bb.36:
	s_and_not1_saveexec_b32 s4, s4
; %bb.37:
	v_and_b32_e32 v98, 0xffff, v97
	v_or_b32_e32 v100, 0x10000, v97
	s_delay_alu instid0(VALU_DEP_2) | instskip(NEXT) | instid1(VALU_DEP_2)
	v_cmp_eq_u32_e32 vcc_lo, 0, v98
	v_cndmask_b32_e32 v98, v100, v97, vcc_lo
; %bb.38:
	s_or_b32 exec_lo, exec_lo, s4
	v_and_b32_e32 v97, 0x7f800000, v94
	s_delay_alu instid0(VALU_DEP_1) | instskip(SKIP_1) | instid1(SALU_CYCLE_1)
	v_cmp_ne_u32_e32 vcc_lo, 0x7f800000, v97
                                        ; implicit-def: $vgpr97
	s_and_saveexec_b32 s4, vcc_lo
	s_xor_b32 s4, exec_lo, s4
; %bb.39:
	v_bfe_u32 v97, v94, 16, 1
	s_delay_alu instid0(VALU_DEP_1)
	v_add3_u32 v97, v94, v97, 0x7fff
                                        ; implicit-def: $vgpr94
; %bb.40:
	s_and_not1_saveexec_b32 s4, s4
; %bb.41:
	v_and_b32_e32 v97, 0xffff, v94
	v_or_b32_e32 v100, 0x10000, v94
	s_delay_alu instid0(VALU_DEP_2) | instskip(NEXT) | instid1(VALU_DEP_2)
	v_cmp_eq_u32_e32 vcc_lo, 0, v97
	v_cndmask_b32_e32 v97, v100, v94, vcc_lo
; %bb.42:
	s_or_b32 exec_lo, exec_lo, s4
	v_and_b32_e32 v94, 0x7f800000, v92
	s_delay_alu instid0(VALU_DEP_1) | instskip(SKIP_1) | instid1(SALU_CYCLE_1)
	v_cmp_ne_u32_e32 vcc_lo, 0x7f800000, v94
                                        ; implicit-def: $vgpr94
	s_and_saveexec_b32 s4, vcc_lo
	s_xor_b32 s4, exec_lo, s4
; %bb.43:
	v_bfe_u32 v94, v92, 16, 1
	s_delay_alu instid0(VALU_DEP_1)
	v_add3_u32 v94, v92, v94, 0x7fff
                                        ; implicit-def: $vgpr92
; %bb.44:
	s_and_not1_saveexec_b32 s4, s4
; %bb.45:
	v_and_b32_e32 v94, 0xffff, v92
	v_or_b32_e32 v100, 0x10000, v92
	s_delay_alu instid0(VALU_DEP_2) | instskip(NEXT) | instid1(VALU_DEP_2)
	v_cmp_eq_u32_e32 vcc_lo, 0, v94
	v_cndmask_b32_e32 v94, v100, v92, vcc_lo
; %bb.46:
	s_or_b32 exec_lo, exec_lo, s4
	s_load_b64 s[36:37], s[0:1], 0x94
	v_lshlrev_b32_e32 v92, 4, v83
	s_delay_alu instid0(VALU_DEP_2)
	v_perm_b32 v100, v94, v97, 0x7060302
	v_dual_mul_f32 v89, v90, v89 :: v_dual_lshlrev_b32 v94, 11, v74
	v_perm_b32 v97, v93, v91, 0x7060302
	v_mul_f32_e32 v93, v90, v77
	v_perm_b32 v99, v98, v99, 0x7060302
	v_perm_b32 v98, v96, v95, 0x7060302
	v_or3_b32 v77, v92, v94, v85
	v_mul_f32_e32 v88, v90, v88
	v_dual_mul_f32 v87, v90, v87 :: v_dual_and_b32 v94, 0x7f800000, v93
	v_mul_f32_e32 v86, v90, v86
	v_mul_f32_e32 v91, v90, v80
	;; [unrolled: 1-line block ×4, first 2 shown]
	s_mov_b32 s4, exec_lo
	ds_store_b128 v77, v[97:100]
                                        ; implicit-def: $vgpr78
	v_cmpx_ne_u32_e32 0x7f800000, v94
	s_xor_b32 s4, exec_lo, s4
; %bb.47:
	v_bfe_u32 v78, v93, 16, 1
	s_delay_alu instid0(VALU_DEP_1)
	v_add3_u32 v78, v93, v78, 0x7fff
                                        ; implicit-def: $vgpr93
; %bb.48:
	s_and_not1_saveexec_b32 s4, s4
; %bb.49:
	v_and_b32_e32 v78, 0xffff, v93
	v_or_b32_e32 v79, 0x10000, v93
	s_delay_alu instid0(VALU_DEP_2) | instskip(NEXT) | instid1(VALU_DEP_2)
	v_cmp_eq_u32_e32 vcc_lo, 0, v78
	v_cndmask_b32_e32 v78, v79, v93, vcc_lo
; %bb.50:
	s_or_b32 exec_lo, exec_lo, s4
	v_and_b32_e32 v79, 0x7f800000, v80
	s_delay_alu instid0(VALU_DEP_1) | instskip(SKIP_1) | instid1(SALU_CYCLE_1)
	v_cmp_ne_u32_e32 vcc_lo, 0x7f800000, v79
                                        ; implicit-def: $vgpr79
	s_and_saveexec_b32 s4, vcc_lo
	s_xor_b32 s4, exec_lo, s4
; %bb.51:
	v_bfe_u32 v79, v80, 16, 1
	s_delay_alu instid0(VALU_DEP_1)
	v_add3_u32 v79, v80, v79, 0x7fff
                                        ; implicit-def: $vgpr80
; %bb.52:
	s_and_not1_saveexec_b32 s4, s4
; %bb.53:
	v_and_b32_e32 v79, 0xffff, v80
	v_or_b32_e32 v90, 0x10000, v80
	s_delay_alu instid0(VALU_DEP_2) | instskip(NEXT) | instid1(VALU_DEP_2)
	v_cmp_eq_u32_e32 vcc_lo, 0, v79
	v_cndmask_b32_e32 v79, v90, v80, vcc_lo
; %bb.54:
	s_or_b32 exec_lo, exec_lo, s4
	v_and_b32_e32 v80, 0x7f800000, v92
	s_delay_alu instid0(VALU_DEP_1) | instskip(SKIP_1) | instid1(SALU_CYCLE_1)
	v_cmp_ne_u32_e32 vcc_lo, 0x7f800000, v80
                                        ; implicit-def: $vgpr80
	s_and_saveexec_b32 s4, vcc_lo
	s_xor_b32 s4, exec_lo, s4
; %bb.55:
	v_bfe_u32 v80, v92, 16, 1
	s_delay_alu instid0(VALU_DEP_1)
	v_add3_u32 v80, v92, v80, 0x7fff
                                        ; implicit-def: $vgpr92
; %bb.56:
	s_and_not1_saveexec_b32 s4, s4
; %bb.57:
	v_and_b32_e32 v80, 0xffff, v92
	v_or_b32_e32 v90, 0x10000, v92
	s_delay_alu instid0(VALU_DEP_2) | instskip(NEXT) | instid1(VALU_DEP_2)
	v_cmp_eq_u32_e32 vcc_lo, 0, v80
	v_cndmask_b32_e32 v80, v90, v92, vcc_lo
; %bb.58:
	s_or_b32 exec_lo, exec_lo, s4
	v_and_b32_e32 v90, 0x7f800000, v91
	s_delay_alu instid0(VALU_DEP_1) | instskip(SKIP_1) | instid1(SALU_CYCLE_1)
	v_cmp_ne_u32_e32 vcc_lo, 0x7f800000, v90
                                        ; implicit-def: $vgpr90
	s_and_saveexec_b32 s4, vcc_lo
	s_xor_b32 s4, exec_lo, s4
; %bb.59:
	v_bfe_u32 v90, v91, 16, 1
	s_delay_alu instid0(VALU_DEP_1)
	v_add3_u32 v90, v91, v90, 0x7fff
                                        ; implicit-def: $vgpr91
; %bb.60:
	s_and_not1_saveexec_b32 s4, s4
; %bb.61:
	v_and_b32_e32 v90, 0xffff, v91
	v_or_b32_e32 v92, 0x10000, v91
	s_delay_alu instid0(VALU_DEP_2) | instskip(NEXT) | instid1(VALU_DEP_2)
	v_cmp_eq_u32_e32 vcc_lo, 0, v90
	v_cndmask_b32_e32 v90, v92, v91, vcc_lo
; %bb.62:
	s_or_b32 exec_lo, exec_lo, s4
	v_and_b32_e32 v91, 0x7f800000, v86
	s_delay_alu instid0(VALU_DEP_1) | instskip(SKIP_1) | instid1(SALU_CYCLE_1)
	v_cmp_ne_u32_e32 vcc_lo, 0x7f800000, v91
                                        ; implicit-def: $vgpr91
	s_and_saveexec_b32 s4, vcc_lo
	s_xor_b32 s4, exec_lo, s4
; %bb.63:
	v_bfe_u32 v91, v86, 16, 1
	s_delay_alu instid0(VALU_DEP_1)
	v_add3_u32 v91, v86, v91, 0x7fff
                                        ; implicit-def: $vgpr86
; %bb.64:
	s_and_not1_saveexec_b32 s4, s4
; %bb.65:
	v_and_b32_e32 v91, 0xffff, v86
	v_or_b32_e32 v92, 0x10000, v86
	s_delay_alu instid0(VALU_DEP_2) | instskip(NEXT) | instid1(VALU_DEP_2)
	v_cmp_eq_u32_e32 vcc_lo, 0, v91
	v_cndmask_b32_e32 v91, v92, v86, vcc_lo
; %bb.66:
	s_or_b32 exec_lo, exec_lo, s4
	v_and_b32_e32 v86, 0x7f800000, v87
	s_delay_alu instid0(VALU_DEP_1) | instskip(SKIP_1) | instid1(SALU_CYCLE_1)
	v_cmp_ne_u32_e32 vcc_lo, 0x7f800000, v86
                                        ; implicit-def: $vgpr86
	s_and_saveexec_b32 s4, vcc_lo
	s_xor_b32 s4, exec_lo, s4
; %bb.67:
	v_bfe_u32 v86, v87, 16, 1
	s_delay_alu instid0(VALU_DEP_1)
	v_add3_u32 v86, v87, v86, 0x7fff
                                        ; implicit-def: $vgpr87
; %bb.68:
	s_and_not1_saveexec_b32 s4, s4
; %bb.69:
	v_and_b32_e32 v86, 0xffff, v87
	v_or_b32_e32 v92, 0x10000, v87
	s_delay_alu instid0(VALU_DEP_2) | instskip(NEXT) | instid1(VALU_DEP_2)
	v_cmp_eq_u32_e32 vcc_lo, 0, v86
	v_cndmask_b32_e32 v86, v92, v87, vcc_lo
; %bb.70:
	s_or_b32 exec_lo, exec_lo, s4
	v_and_b32_e32 v87, 0x7f800000, v88
	s_delay_alu instid0(VALU_DEP_1) | instskip(SKIP_1) | instid1(SALU_CYCLE_1)
	v_cmp_ne_u32_e32 vcc_lo, 0x7f800000, v87
                                        ; implicit-def: $vgpr87
	s_and_saveexec_b32 s4, vcc_lo
	s_xor_b32 s4, exec_lo, s4
; %bb.71:
	v_bfe_u32 v87, v88, 16, 1
	s_delay_alu instid0(VALU_DEP_1)
	v_add3_u32 v87, v88, v87, 0x7fff
                                        ; implicit-def: $vgpr88
; %bb.72:
	s_and_not1_saveexec_b32 s4, s4
; %bb.73:
	v_and_b32_e32 v87, 0xffff, v88
	v_or_b32_e32 v92, 0x10000, v88
	s_delay_alu instid0(VALU_DEP_2) | instskip(NEXT) | instid1(VALU_DEP_2)
	v_cmp_eq_u32_e32 vcc_lo, 0, v87
	v_cndmask_b32_e32 v87, v92, v88, vcc_lo
; %bb.74:
	s_or_b32 exec_lo, exec_lo, s4
	v_and_b32_e32 v88, 0x7f800000, v89
	s_delay_alu instid0(VALU_DEP_1) | instskip(SKIP_1) | instid1(SALU_CYCLE_1)
	v_cmp_ne_u32_e32 vcc_lo, 0x7f800000, v88
                                        ; implicit-def: $vgpr88
	s_and_saveexec_b32 s4, vcc_lo
	s_xor_b32 s4, exec_lo, s4
; %bb.75:
	v_bfe_u32 v88, v89, 16, 1
	s_delay_alu instid0(VALU_DEP_1)
	v_add3_u32 v88, v89, v88, 0x7fff
                                        ; implicit-def: $vgpr89
; %bb.76:
	s_and_not1_saveexec_b32 s4, s4
; %bb.77:
	v_and_b32_e32 v88, 0xffff, v89
	v_or_b32_e32 v92, 0x10000, v89
	s_delay_alu instid0(VALU_DEP_2) | instskip(NEXT) | instid1(VALU_DEP_2)
	v_cmp_eq_u32_e32 vcc_lo, 0, v88
	v_cndmask_b32_e32 v88, v92, v89, vcc_lo
; %bb.78:
	s_or_b32 exec_lo, exec_lo, s4
	s_delay_alu instid0(VALU_DEP_1)
	v_perm_b32 v89, v88, v87, 0x7060302
	v_perm_b32 v88, v86, v91, 0x7060302
	;; [unrolled: 1-line block ×4, first 2 shown]
	v_lshl_or_b32 v90, v74, 11, v85
	ds_store_b128 v77, v[86:89] offset:1024
	s_waitcnt lgkmcnt(0)
	s_barrier
	buffer_gl0_inv
	ds_load_b128 v[91:94], v90
	ds_load_b128 v[95:98], v90 offset:16
	v_lshlrev_b32_e32 v87, 2, v83
	s_delay_alu instid0(VALU_DEP_1)
	v_or_b32_e32 v88, 1, v87
	v_cmp_eq_u32_e32 vcc_lo, 1, v87
	v_cmp_eq_u32_e64 s5, 2, v87
	v_cmp_eq_u32_e64 s8, 3, v87
	;; [unrolled: 1-line block ×6, first 2 shown]
	v_or_b32_e32 v86, 2, v87
	v_cmp_eq_u32_e64 s11, 5, v87
	v_cmp_eq_u32_e64 s12, 4, v88
	;; [unrolled: 1-line block ×4, first 2 shown]
	s_waitcnt lgkmcnt(1)
	v_lshrrev_b32_e32 v74, 16, v91
	s_waitcnt lgkmcnt(0)
	v_lshrrev_b32_e32 v103, 16, v95
	v_lshrrev_b32_e32 v80, 16, v94
	;; [unrolled: 1-line block ×4, first 2 shown]
	v_cndmask_b32_e32 v89, v91, v74, vcc_lo
	v_cndmask_b32_e32 v99, v95, v103, vcc_lo
	v_cndmask_b32_e64 v100, v91, v74, s4
	v_lshrrev_b32_e32 v79, 16, v93
	v_lshrrev_b32_e32 v108, 16, v97
	v_cndmask_b32_e64 v89, v89, v92, s5
	v_cndmask_b32_e64 v99, v99, v96, s5
	;; [unrolled: 1-line block ×4, first 2 shown]
	v_cmp_eq_u32_e64 s6, 1, v86
	v_cndmask_b32_e64 v89, v89, v78, s8
	v_cndmask_b32_e64 v99, v99, v107, s8
	;; [unrolled: 1-line block ×4, first 2 shown]
	v_lshrrev_b32_e32 v109, 16, v98
	v_cndmask_b32_e64 v89, v89, v93, s10
	v_cndmask_b32_e64 v99, v99, v97, s10
	;; [unrolled: 1-line block ×8, first 2 shown]
	v_cmp_eq_u32_e64 s16, 7, v87
	v_cmp_eq_u32_e64 s17, 6, v88
	v_cndmask_b32_e64 v89, v89, v94, s13
	v_cndmask_b32_e64 v99, v99, v98, s13
	v_cmp_eq_u32_e64 s18, 2, v86
	v_cndmask_b32_e64 v101, v101, v97, s12
	v_cndmask_b32_e64 v100, v100, v94, s17
	;; [unrolled: 1-line block ×6, first 2 shown]
	v_cmp_eq_u32_e64 s19, 7, v88
	v_cmp_eq_u32_e64 s20, 3, v86
	;; [unrolled: 1-line block ×4, first 2 shown]
	v_cndmask_b32_e64 v99, v99, v96, s18
	v_cndmask_b32_e64 v112, v100, v80, s19
	v_cndmask_b32_e64 v100, v101, v108, s15
	v_cndmask_b32_e64 v101, v89, v78, s20
	v_or_b32_e32 v89, 3, v87
	v_cndmask_b32_e64 v105, v99, v107, s20
	v_cmp_eq_u32_e64 s25, 6, v86
	v_cndmask_b32_e64 v113, v100, v98, s17
	v_cndmask_b32_e64 v104, v101, v93, s21
	ds_load_b128 v[99:102], v90 offset:1024
	v_cmp_eq_u32_e64 s22, 1, v89
	v_cmp_eq_u32_e64 s24, 2, v89
	;; [unrolled: 1-line block ×3, first 2 shown]
	v_cndmask_b32_e64 v114, v104, v79, s23
	v_cmp_eq_u32_e64 s27, 4, v89
	v_cndmask_b32_e64 v74, v91, v74, s22
	v_cndmask_b32_e64 v91, v105, v97, s21
	;; [unrolled: 1-line block ×3, first 2 shown]
	ds_load_b128 v[103:106], v90 offset:1040
	v_cmp_eq_u32_e64 s29, 5, v89
	v_cndmask_b32_e64 v74, v74, v92, s24
	v_cndmask_b32_e64 v91, v91, v108, s23
	;; [unrolled: 1-line block ×3, first 2 shown]
	v_cmp_eq_u32_e64 s30, 6, v89
	v_cndmask_b32_e64 v95, v113, v109, s19
	v_cndmask_b32_e64 v74, v74, v78, s26
	;; [unrolled: 1-line block ×5, first 2 shown]
	s_waitcnt lgkmcnt(1)
	v_lshrrev_b32_e32 v96, 16, v99
	v_cndmask_b32_e64 v74, v74, v93, s27
	v_lshrrev_b32_e32 v107, 16, v100
	v_cndmask_b32_e64 v92, v92, v97, s27
	v_cmp_eq_u32_e64 s28, 7, v86
	v_cndmask_b32_e32 v93, v99, v96, vcc_lo
	v_cndmask_b32_e64 v74, v74, v79, s29
	s_delay_alu instid0(VALU_DEP_4)
	v_cndmask_b32_e64 v79, v92, v108, s29
	s_waitcnt lgkmcnt(0)
	v_lshrrev_b32_e32 v97, 16, v103
	v_cndmask_b32_e64 v92, v93, v100, s5
	v_cndmask_b32_e64 v93, v99, v96, s4
	;; [unrolled: 1-line block ×4, first 2 shown]
	v_cndmask_b32_e32 v108, v103, v97, vcc_lo
	v_cndmask_b32_e64 v92, v92, v107, s8
	v_cndmask_b32_e64 v93, v93, v100, s7
	v_lshrrev_b32_e32 v98, 16, v104
	v_cmp_eq_u32_e32 vcc_lo, 7, v89
	v_cndmask_b32_e64 v94, v108, v104, s5
	v_cndmask_b32_e64 v92, v92, v101, s10
	v_lshrrev_b32_e32 v108, 16, v101
	v_cndmask_b32_e64 v93, v93, v107, s9
	v_cndmask_b32_e32 v74, v74, v80, vcc_lo
	v_cndmask_b32_e64 v94, v94, v98, s8
	v_cndmask_b32_e32 v79, v79, v109, vcc_lo
	v_cndmask_b32_e64 v92, v92, v108, s11
	v_cndmask_b32_e64 v78, v78, v80, s28
	;; [unrolled: 1-line block ×4, first 2 shown]
	v_perm_b32 v94, v79, v74, 0x5040100
	v_cndmask_b32_e64 v79, v92, v102, s13
	v_perm_b32 v92, v95, v112, 0x5040100
	v_cndmask_b32_e64 v95, v99, v96, s6
	v_cndmask_b32_e64 v96, v99, v96, s22
	;; [unrolled: 1-line block ×16, first 2 shown]
	v_lshrrev_b32_e32 v109, 16, v105
	v_cndmask_b32_e64 v95, v95, v101, s21
	v_cndmask_b32_e64 v96, v96, v101, s27
	;; [unrolled: 1-line block ×6, first 2 shown]
	v_lshrrev_b32_e32 v80, 16, v102
	v_cndmask_b32_e64 v113, v93, v109, s11
	v_cndmask_b32_e64 v95, v95, v108, s23
	;; [unrolled: 1-line block ×6, first 2 shown]
	v_perm_b32 v93, v91, v78, 0x5040100
	v_cndmask_b32_e64 v74, v74, v102, s17
	v_cndmask_b32_e64 v78, v79, v80, s16
	;; [unrolled: 1-line block ×3, first 2 shown]
	v_lshrrev_b32_e32 v91, 16, v106
	v_cndmask_b32_e64 v95, v95, v102, s25
	v_cndmask_b32_e64 v96, v96, v102, s30
	;; [unrolled: 1-line block ×7, first 2 shown]
	v_cndmask_b32_e32 v80, v96, v80, vcc_lo
	v_cndmask_b32_e32 v96, v98, v91, vcc_lo
	v_cndmask_b32_e64 v99, v99, v91, s28
	v_cndmask_b32_e64 v100, v97, v91, s19
	v_cndmask_b32_e64 v79, v79, v91, s16
	v_perm_b32 v91, v111, v110, 0x5040100
	v_perm_b32 v98, v96, v80, 0x5040100
	;; [unrolled: 1-line block ×5, first 2 shown]
	s_mul_i32 s9, s37, 15
	s_mov_b32 s4, exec_lo
	ds_store_b128 v77, v[91:94]
	ds_store_b128 v77, v[95:98] offset:1024
	v_cmpx_gt_u32_e32 15, v0
	s_cbranch_execz .LBB552_80
; %bb.79:
	s_mul_i32 s5, s9, s34
	s_load_b128 s[16:19], s[0:1], 0x58
	v_add3_u32 v77, s5, s31, v73
	s_delay_alu instid0(VALU_DEP_1) | instskip(NEXT) | instid1(VALU_DEP_1)
	v_mad_u64_u32 v[73:74], null, v77, s36, s[14:15]
	v_ashrrev_i32_e32 v74, 31, v73
	s_delay_alu instid0(VALU_DEP_1) | instskip(SKIP_1) | instid1(VALU_DEP_1)
	v_lshlrev_b64 v[73:74], 2, v[73:74]
	s_waitcnt lgkmcnt(0)
	v_add_co_u32 v77, vcc_lo, s18, v73
	s_delay_alu instid0(VALU_DEP_2)
	v_add_co_ci_u32_e32 v78, vcc_lo, s19, v74, vcc_lo
	v_add_co_u32 v73, vcc_lo, s16, v73
	v_add_co_ci_u32_e32 v74, vcc_lo, s17, v74, vcc_lo
	global_store_b32 v[77:78], v75, off
	global_store_b32 v[73:74], v76, off
.LBB552_80:
	s_or_b32 exec_lo, exec_lo, s4
	s_waitcnt lgkmcnt(0)
	s_waitcnt_vscnt null, 0x0
	s_barrier
	buffer_gl0_inv
	ds_load_b128 v[91:94], v85
	ds_load_b128 v[95:98], v85 offset:16
	ds_load_b128 v[103:106], v85 offset:1040
	ds_load_b128 v[99:102], v85 offset:1024
	v_mov_b32_e32 v73, 0
	ds_load_b128 v[111:114], v85 offset:2064
	ds_load_b128 v[107:110], v85 offset:2048
	;; [unrolled: 1-line block ×6, first 2 shown]
	v_mov_b32_e32 v74, v73
	v_mov_b32_e32 v75, v73
	;; [unrolled: 1-line block ×7, first 2 shown]
	s_waitcnt lgkmcnt(8)
	s_delay_alu instid0(VALU_DEP_1)
	v_wmma_f32_16x16x16_bf16 v[73:80], v[65:72], v[91:98], v[73:80]
	ds_load_b128 v[69:72], v85 offset:5136
	ds_load_b128 v[65:68], v85 offset:5120
	;; [unrolled: 1-line block ×4, first 2 shown]
	s_waitcnt lgkmcnt(10)
	v_wmma_f32_16x16x16_bf16 v[73:80], v[57:64], v[99:106], v[73:80]
	s_waitcnt lgkmcnt(8)
	s_delay_alu instid0(VALU_DEP_1)
	v_wmma_f32_16x16x16_bf16 v[73:80], v[57:64], v[107:114], v[73:80]
	ds_load_b128 v[61:64], v85 offset:7184
	ds_load_b128 v[57:60], v85 offset:7168
	;; [unrolled: 1-line block ×4, first 2 shown]
	s_waitcnt lgkmcnt(10)
	v_wmma_f32_16x16x16_bf16 v[73:80], v[49:56], v[115:122], v[73:80]
	s_waitcnt lgkmcnt(8)
	s_delay_alu instid0(VALU_DEP_1)
	v_wmma_f32_16x16x16_bf16 v[73:80], v[49:56], v[123:130], v[73:80]
	ds_load_b128 v[53:56], v85 offset:9232
	ds_load_b128 v[49:52], v85 offset:9216
	s_waitcnt lgkmcnt(8)
	v_wmma_f32_16x16x16_bf16 v[73:80], v[41:48], v[65:72], v[73:80]
	ds_load_b128 v[69:72], v85 offset:10256
	ds_load_b128 v[65:68], v85 offset:10240
	s_waitcnt lgkmcnt(8)
	;; [unrolled: 4-line block ×3, first 2 shown]
	v_wmma_f32_16x16x16_bf16 v[73:80], v[9:16], v[57:64], v[73:80]
	s_waitcnt lgkmcnt(6)
	s_delay_alu instid0(VALU_DEP_1)
	v_wmma_f32_16x16x16_bf16 v[73:80], v[9:16], v[99:106], v[73:80]
	ds_load_b128 v[13:16], v85 offset:12304
	ds_load_b128 v[9:12], v85 offset:12288
	s_waitcnt lgkmcnt(6)
	v_wmma_f32_16x16x16_bf16 v[73:80], v[1:8], v[49:56], v[73:80]
	ds_load_b128 v[53:56], v85 offset:13328
	ds_load_b128 v[49:52], v85 offset:13312
	s_waitcnt lgkmcnt(6)
	;; [unrolled: 4-line block ×4, first 2 shown]
	v_wmma_f32_16x16x16_bf16 v[73:80], v[33:40], v[9:16], v[73:80]
	s_waitcnt lgkmcnt(4)
	s_delay_alu instid0(VALU_DEP_1) | instskip(SKIP_1) | instid1(VALU_DEP_1)
	v_wmma_f32_16x16x16_bf16 v[73:80], v[25:32], v[49:56], v[73:80]
	s_waitcnt lgkmcnt(2)
	v_wmma_f32_16x16x16_bf16 v[73:80], v[25:32], v[1:8], v[73:80]
	s_waitcnt lgkmcnt(0)
	s_delay_alu instid0(VALU_DEP_1) | instskip(NEXT) | instid1(VALU_DEP_1)
	v_wmma_f32_16x16x16_bf16 v[73:80], v[17:24], v[41:48], v[73:80]
	v_and_b32_e32 v1, 0x7f800000, v73
	s_delay_alu instid0(VALU_DEP_1) | instskip(SKIP_1) | instid1(SALU_CYCLE_1)
	v_cmp_ne_u32_e32 vcc_lo, 0x7f800000, v1
                                        ; implicit-def: $vgpr1
	s_and_saveexec_b32 s4, vcc_lo
	s_xor_b32 s4, exec_lo, s4
; %bb.81:
	v_bfe_u32 v1, v73, 16, 1
	s_delay_alu instid0(VALU_DEP_1)
	v_add3_u32 v1, v73, v1, 0x7fff
; %bb.82:
	s_and_not1_saveexec_b32 s4, s4
; %bb.83:
	v_and_b32_e32 v1, 0xffff, v73
	v_or_b32_e32 v2, 0x10000, v73
	s_delay_alu instid0(VALU_DEP_2) | instskip(NEXT) | instid1(VALU_DEP_2)
	v_cmp_eq_u32_e32 vcc_lo, 0, v1
	v_cndmask_b32_e32 v1, v2, v73, vcc_lo
; %bb.84:
	s_or_b32 exec_lo, exec_lo, s4
	v_and_b32_e32 v2, 0x7f800000, v74
	s_delay_alu instid0(VALU_DEP_1) | instskip(SKIP_1) | instid1(SALU_CYCLE_1)
	v_cmp_ne_u32_e32 vcc_lo, 0x7f800000, v2
                                        ; implicit-def: $vgpr2
	s_and_saveexec_b32 s4, vcc_lo
	s_xor_b32 s4, exec_lo, s4
; %bb.85:
	v_bfe_u32 v2, v74, 16, 1
	s_delay_alu instid0(VALU_DEP_1)
	v_add3_u32 v2, v74, v2, 0x7fff
; %bb.86:
	s_and_not1_saveexec_b32 s4, s4
; %bb.87:
	v_and_b32_e32 v2, 0xffff, v74
	v_or_b32_e32 v3, 0x10000, v74
	s_delay_alu instid0(VALU_DEP_2) | instskip(NEXT) | instid1(VALU_DEP_2)
	v_cmp_eq_u32_e32 vcc_lo, 0, v2
	v_cndmask_b32_e32 v2, v3, v74, vcc_lo
; %bb.88:
	s_or_b32 exec_lo, exec_lo, s4
	v_and_b32_e32 v3, 0x7f800000, v75
	s_delay_alu instid0(VALU_DEP_1) | instskip(SKIP_1) | instid1(SALU_CYCLE_1)
	v_cmp_ne_u32_e32 vcc_lo, 0x7f800000, v3
                                        ; implicit-def: $vgpr3
	s_and_saveexec_b32 s4, vcc_lo
	s_xor_b32 s4, exec_lo, s4
; %bb.89:
	v_bfe_u32 v3, v75, 16, 1
	s_delay_alu instid0(VALU_DEP_1)
	v_add3_u32 v3, v75, v3, 0x7fff
; %bb.90:
	s_and_not1_saveexec_b32 s4, s4
; %bb.91:
	v_and_b32_e32 v3, 0xffff, v75
	v_or_b32_e32 v4, 0x10000, v75
	s_delay_alu instid0(VALU_DEP_2) | instskip(NEXT) | instid1(VALU_DEP_2)
	v_cmp_eq_u32_e32 vcc_lo, 0, v3
	v_cndmask_b32_e32 v3, v4, v75, vcc_lo
; %bb.92:
	s_or_b32 exec_lo, exec_lo, s4
	v_and_b32_e32 v4, 0x7f800000, v76
	s_delay_alu instid0(VALU_DEP_1) | instskip(SKIP_1) | instid1(SALU_CYCLE_1)
	v_cmp_ne_u32_e32 vcc_lo, 0x7f800000, v4
                                        ; implicit-def: $vgpr4
	s_and_saveexec_b32 s4, vcc_lo
	s_xor_b32 s4, exec_lo, s4
; %bb.93:
	v_bfe_u32 v4, v76, 16, 1
	s_delay_alu instid0(VALU_DEP_1)
	v_add3_u32 v4, v76, v4, 0x7fff
; %bb.94:
	s_and_not1_saveexec_b32 s4, s4
; %bb.95:
	v_and_b32_e32 v4, 0xffff, v76
	v_or_b32_e32 v5, 0x10000, v76
	s_delay_alu instid0(VALU_DEP_2) | instskip(NEXT) | instid1(VALU_DEP_2)
	v_cmp_eq_u32_e32 vcc_lo, 0, v4
	v_cndmask_b32_e32 v4, v5, v76, vcc_lo
; %bb.96:
	s_or_b32 exec_lo, exec_lo, s4
	v_and_b32_e32 v5, 0x7f800000, v77
	s_delay_alu instid0(VALU_DEP_1) | instskip(SKIP_1) | instid1(SALU_CYCLE_1)
	v_cmp_ne_u32_e32 vcc_lo, 0x7f800000, v5
                                        ; implicit-def: $vgpr5
	s_and_saveexec_b32 s4, vcc_lo
	s_xor_b32 s4, exec_lo, s4
; %bb.97:
	v_bfe_u32 v5, v77, 16, 1
	s_delay_alu instid0(VALU_DEP_1)
	v_add3_u32 v5, v77, v5, 0x7fff
; %bb.98:
	s_and_not1_saveexec_b32 s4, s4
; %bb.99:
	v_and_b32_e32 v5, 0xffff, v77
	v_or_b32_e32 v6, 0x10000, v77
	s_delay_alu instid0(VALU_DEP_2) | instskip(NEXT) | instid1(VALU_DEP_2)
	v_cmp_eq_u32_e32 vcc_lo, 0, v5
	v_cndmask_b32_e32 v5, v6, v77, vcc_lo
; %bb.100:
	s_or_b32 exec_lo, exec_lo, s4
	v_and_b32_e32 v6, 0x7f800000, v78
	s_delay_alu instid0(VALU_DEP_1) | instskip(SKIP_1) | instid1(SALU_CYCLE_1)
	v_cmp_ne_u32_e32 vcc_lo, 0x7f800000, v6
                                        ; implicit-def: $vgpr6
	s_and_saveexec_b32 s4, vcc_lo
	s_xor_b32 s4, exec_lo, s4
; %bb.101:
	v_bfe_u32 v6, v78, 16, 1
	s_delay_alu instid0(VALU_DEP_1)
	v_add3_u32 v6, v78, v6, 0x7fff
; %bb.102:
	s_and_not1_saveexec_b32 s4, s4
; %bb.103:
	v_and_b32_e32 v6, 0xffff, v78
	v_or_b32_e32 v7, 0x10000, v78
	s_delay_alu instid0(VALU_DEP_2) | instskip(NEXT) | instid1(VALU_DEP_2)
	v_cmp_eq_u32_e32 vcc_lo, 0, v6
	v_cndmask_b32_e32 v6, v7, v78, vcc_lo
; %bb.104:
	s_or_b32 exec_lo, exec_lo, s4
	v_and_b32_e32 v7, 0x7f800000, v79
	s_delay_alu instid0(VALU_DEP_1) | instskip(SKIP_1) | instid1(SALU_CYCLE_1)
	v_cmp_ne_u32_e32 vcc_lo, 0x7f800000, v7
                                        ; implicit-def: $vgpr7
	s_and_saveexec_b32 s4, vcc_lo
	s_xor_b32 s4, exec_lo, s4
; %bb.105:
	v_bfe_u32 v7, v79, 16, 1
	s_delay_alu instid0(VALU_DEP_1)
	v_add3_u32 v7, v79, v7, 0x7fff
; %bb.106:
	s_and_not1_saveexec_b32 s4, s4
; %bb.107:
	v_and_b32_e32 v7, 0xffff, v79
	v_or_b32_e32 v8, 0x10000, v79
	s_delay_alu instid0(VALU_DEP_2) | instskip(NEXT) | instid1(VALU_DEP_2)
	v_cmp_eq_u32_e32 vcc_lo, 0, v7
	v_cndmask_b32_e32 v7, v8, v79, vcc_lo
; %bb.108:
	s_or_b32 exec_lo, exec_lo, s4
	v_and_b32_e32 v8, 0x7f800000, v80
	s_delay_alu instid0(VALU_DEP_1) | instskip(SKIP_1) | instid1(SALU_CYCLE_1)
	v_cmp_ne_u32_e32 vcc_lo, 0x7f800000, v8
                                        ; implicit-def: $vgpr8
	s_and_saveexec_b32 s4, vcc_lo
	s_xor_b32 s4, exec_lo, s4
; %bb.109:
	v_bfe_u32 v8, v80, 16, 1
	s_delay_alu instid0(VALU_DEP_1)
	v_add3_u32 v8, v80, v8, 0x7fff
                                        ; implicit-def: $vgpr73_vgpr74_vgpr75_vgpr76_vgpr77_vgpr78_vgpr79_vgpr80
; %bb.110:
	s_and_not1_saveexec_b32 s4, s4
; %bb.111:
	v_and_b32_e32 v8, 0xffff, v80
	v_or_b32_e32 v9, 0x10000, v80
	s_delay_alu instid0(VALU_DEP_2) | instskip(NEXT) | instid1(VALU_DEP_2)
	v_cmp_eq_u32_e32 vcc_lo, 0, v8
	v_cndmask_b32_e32 v8, v9, v80, vcc_lo
; %bb.112:
	s_or_b32 exec_lo, exec_lo, s4
	s_delay_alu instid0(VALU_DEP_1)
	v_perm_b32 v7, v8, v7, 0x7060302
	v_perm_b32 v6, v6, v5, 0x7060302
	;; [unrolled: 1-line block ×4, first 2 shown]
	v_lshl_or_b32 v9, v83, 4, v90
	s_barrier
	buffer_gl0_inv
	v_cmp_eq_u32_e32 vcc_lo, 1, v87
	ds_store_b128 v9, v[4:7]
	s_waitcnt lgkmcnt(0)
	s_barrier
	buffer_gl0_inv
	ds_load_b128 v[1:4], v90
	ds_load_b128 v[5:8], v90 offset:16
	v_cmp_eq_u32_e64 s5, 2, v87
	v_cmp_eq_u32_e64 s4, 1, v88
	;; [unrolled: 1-line block ×5, first 2 shown]
	s_waitcnt lgkmcnt(1)
	v_lshrrev_b32_e32 v10, 16, v1
	s_waitcnt lgkmcnt(0)
	v_lshrrev_b32_e32 v14, 16, v5
	v_lshrrev_b32_e32 v15, 16, v6
	;; [unrolled: 1-line block ×4, first 2 shown]
	v_cndmask_b32_e64 v20, v1, v10, s4
	v_cndmask_b32_e32 v19, v5, v14, vcc_lo
	v_cndmask_b32_e64 v21, v5, v14, s4
	v_lshrrev_b32_e32 v16, 16, v7
	v_cmp_eq_u32_e64 s4, 1, v86
	v_lshrrev_b32_e32 v13, 16, v4
	v_cndmask_b32_e64 v19, v19, v6, s5
	v_lshrrev_b32_e32 v17, 16, v8
	s_delay_alu instid0(VALU_DEP_4) | instskip(SKIP_1) | instid1(VALU_DEP_4)
	v_cndmask_b32_e64 v22, v1, v10, s4
	v_cndmask_b32_e64 v23, v5, v14, s4
	;; [unrolled: 1-line block ×3, first 2 shown]
	v_cndmask_b32_e32 v18, v1, v10, vcc_lo
	v_cmp_eq_u32_e32 vcc_lo, 2, v88
	v_cmp_eq_u32_e64 s4, 2, v89
	v_cndmask_b32_e64 v22, v22, v2, s8
	v_cndmask_b32_e32 v20, v20, v2, vcc_lo
	v_cndmask_b32_e32 v21, v21, v6, vcc_lo
	v_cmp_eq_u32_e32 vcc_lo, 4, v87
	v_cndmask_b32_e32 v19, v19, v7, vcc_lo
	v_cndmask_b32_e64 v18, v18, v2, s5
	v_cmp_eq_u32_e64 s5, 3, v88
	s_delay_alu instid0(VALU_DEP_2) | instskip(NEXT) | instid1(VALU_DEP_2)
	v_cndmask_b32_e64 v18, v18, v11, s6
	v_cndmask_b32_e64 v21, v21, v15, s5
	v_cmp_eq_u32_e64 s6, 5, v87
	s_delay_alu instid0(VALU_DEP_3) | instskip(SKIP_1) | instid1(VALU_DEP_3)
	v_cndmask_b32_e32 v18, v18, v3, vcc_lo
	v_cmp_eq_u32_e32 vcc_lo, 4, v88
	v_cndmask_b32_e64 v19, v19, v16, s6
	s_delay_alu instid0(VALU_DEP_3) | instskip(SKIP_4) | instid1(VALU_DEP_3)
	v_cndmask_b32_e64 v18, v18, v12, s6
	v_cndmask_b32_e32 v21, v21, v7, vcc_lo
	v_cndmask_b32_e64 v20, v20, v11, s5
	v_cmp_eq_u32_e64 s5, 5, v88
	v_cmp_eq_u32_e64 s6, 6, v87
	v_cndmask_b32_e32 v20, v20, v3, vcc_lo
	s_delay_alu instid0(VALU_DEP_3) | instskip(SKIP_1) | instid1(VALU_DEP_4)
	v_cndmask_b32_e64 v21, v21, v16, s5
	v_cmp_eq_u32_e32 vcc_lo, 6, v88
	v_cndmask_b32_e64 v18, v18, v4, s6
	v_cndmask_b32_e64 v19, v19, v8, s6
	;; [unrolled: 1-line block ×3, first 2 shown]
	v_cmp_eq_u32_e64 s5, 1, v89
	v_cmp_eq_u32_e64 s6, 7, v87
	s_delay_alu instid0(VALU_DEP_3) | instskip(NEXT) | instid1(VALU_DEP_3)
	v_cndmask_b32_e32 v20, v20, v4, vcc_lo
	v_cndmask_b32_e64 v1, v1, v10, s5
	v_cndmask_b32_e64 v5, v5, v14, s5
	v_cmp_eq_u32_e64 s5, 3, v86
	v_cndmask_b32_e64 v14, v23, v6, s8
	v_cmp_eq_u32_e64 s8, 3, v89
	v_cndmask_b32_e64 v1, v1, v2, s4
	v_cndmask_b32_e64 v2, v5, v6, s4
	;; [unrolled: 1-line block ×3, first 2 shown]
	v_cmp_eq_u32_e64 s4, 4, v86
	v_cndmask_b32_e64 v6, v14, v15, s5
	v_cndmask_b32_e64 v1, v1, v11, s8
	v_cmp_eq_u32_e64 s5, 4, v89
	v_cndmask_b32_e64 v2, v2, v15, s8
	v_cndmask_b32_e64 v5, v10, v3, s4
	;; [unrolled: 3-line block ×3, first 2 shown]
	v_cndmask_b32_e64 v2, v2, v7, s5
	v_cmp_eq_u32_e64 s4, 5, v89
	v_cndmask_b32_e64 v5, v5, v12, s8
	v_cmp_eq_u32_e64 s5, 6, v86
	;; [unrolled: 2-line block ×3, first 2 shown]
	v_cndmask_b32_e64 v1, v1, v12, s4
	v_cndmask_b32_e64 v2, v2, v16, s4
	;; [unrolled: 1-line block ×4, first 2 shown]
	v_cmp_eq_u32_e64 s4, 7, v89
	v_cndmask_b32_e64 v1, v1, v4, s8
	v_cndmask_b32_e64 v2, v2, v8, s8
	v_cmp_eq_u32_e64 s5, 7, v86
	v_cndmask_b32_e32 v4, v21, v8, vcc_lo
	v_cndmask_b32_e64 v18, v18, v13, s6
	v_cndmask_b32_e64 v20, v20, v13, s7
	;; [unrolled: 1-line block ×8, first 2 shown]
	v_cmp_gt_u32_e32 vcc_lo, 32, v0
	v_perm_b32 v4, v2, v1, 0x5040100
	v_perm_b32 v3, v3, v5, 0x5040100
	;; [unrolled: 1-line block ×4, first 2 shown]
	s_and_b32 s2, vcc_lo, s2
	ds_store_b128 v9, v[1:4]
	s_waitcnt lgkmcnt(0)
	s_barrier
	buffer_gl0_inv
	s_and_saveexec_b32 s4, s2
	s_cbranch_execz .LBB552_2
; %bb.113:
	s_load_b64 s[4:5], s[0:1], 0x68
	v_add_nc_u32_e32 v20, s31, v83
	v_lshlrev_b32_e32 v0, 10, v0
	v_lshlrev_b32_e32 v1, 4, v84
	s_lshl_b32 s0, s36, 6
	s_delay_alu instid0(SALU_CYCLE_1)
	s_mul_i32 s1, s0, s34
	v_add_nc_u32_e32 v2, 2, v20
	s_mul_i32 s6, s1, s9
	v_and_or_b32 v0, 0x3800, v0, v1
	v_mul_lo_u32 v1, v20, s0
	s_ashr_i32 s7, s6, 31
	v_mul_lo_u32 v11, v2, s0
	s_lshl_b64 s[6:7], s[6:7], 1
	v_add_nc_u32_e32 v3, 4, v20
	v_lshl_or_b32 v21, v83, 6, v0
	v_add_nc_u32_e32 v16, 6, v20
	v_ashrrev_i32_e32 v2, 31, v1
	s_delay_alu instid0(VALU_DEP_4)
	v_mul_lo_u32 v13, v3, s0
	s_waitcnt lgkmcnt(0)
	s_add_u32 s1, s4, s6
	s_addc_u32 s2, s5, s7
	s_lshl_b32 s4, s14, 6
	ds_load_b128 v[3:6], v21
	ds_load_b128 v[7:10], v21 offset:128
	s_ashr_i32 s5, s4, 31
	v_ashrrev_i32_e32 v12, 31, v11
	s_lshl_b64 s[4:5], s[4:5], 1
	v_lshlrev_b64 v[14:15], 1, v[1:2]
	s_add_u32 s1, s1, s4
	s_addc_u32 s2, s2, s5
	v_add_co_u32 v1, vcc_lo, s1, v81
	v_add_co_ci_u32_e32 v2, vcc_lo, s2, v82, vcc_lo
	v_lshlrev_b64 v[11:12], 1, v[11:12]
	s_delay_alu instid0(VALU_DEP_3) | instskip(SKIP_1) | instid1(VALU_DEP_4)
	v_add_co_u32 v18, vcc_lo, v1, v14
	v_mul_lo_u32 v16, v16, s0
	v_add_co_ci_u32_e32 v19, vcc_lo, v2, v15, vcc_lo
	s_delay_alu instid0(VALU_DEP_4)
	v_add_co_u32 v11, vcc_lo, v1, v11
	v_ashrrev_i32_e32 v14, 31, v13
	v_add_co_ci_u32_e32 v12, vcc_lo, v2, v12, vcc_lo
	v_add_nc_u32_e32 v15, 8, v20
	v_ashrrev_i32_e32 v17, 31, v16
	s_waitcnt lgkmcnt(1)
	global_store_b128 v[18:19], v[3:6], off
	v_lshlrev_b64 v[3:4], 1, v[13:14]
	s_waitcnt lgkmcnt(0)
	global_store_b128 v[11:12], v[7:10], off
	v_mul_lo_u32 v11, v15, s0
	v_add_nc_u32_e32 v7, 10, v20
	v_lshlrev_b64 v[5:6], 1, v[16:17]
	v_add_co_u32 v23, vcc_lo, v1, v3
	v_add_nc_u32_e32 v3, 12, v20
	s_delay_alu instid0(VALU_DEP_4)
	v_mul_lo_u32 v25, v7, s0
	v_ashrrev_i32_e32 v12, 31, v11
	v_add_co_ci_u32_e32 v24, vcc_lo, v2, v4, vcc_lo
	v_add_co_u32 v27, vcc_lo, v1, v5
	v_mul_lo_u32 v29, v3, s0
	v_add_co_ci_u32_e32 v28, vcc_lo, v2, v6, vcc_lo
	ds_load_b128 v[3:6], v21 offset:256
	ds_load_b128 v[7:10], v21 offset:384
	v_lshlrev_b64 v[31:32], 1, v[11:12]
	ds_load_b128 v[11:14], v21 offset:512
	ds_load_b128 v[15:18], v21 offset:640
	;; [unrolled: 1-line block ×3, first 2 shown]
	v_ashrrev_i32_e32 v26, 31, v25
	v_ashrrev_i32_e32 v30, 31, v29
	v_add_co_u32 v31, vcc_lo, v1, v31
	s_delay_alu instid0(VALU_DEP_3) | instskip(NEXT) | instid1(VALU_DEP_3)
	v_lshlrev_b64 v[25:26], 1, v[25:26]
	v_lshlrev_b64 v[29:30], 1, v[29:30]
	v_add_co_ci_u32_e32 v32, vcc_lo, v2, v32, vcc_lo
	s_delay_alu instid0(VALU_DEP_3) | instskip(NEXT) | instid1(VALU_DEP_4)
	v_add_co_u32 v25, vcc_lo, v1, v25
	v_add_co_ci_u32_e32 v26, vcc_lo, v2, v26, vcc_lo
	s_delay_alu instid0(VALU_DEP_4)
	v_add_co_u32 v29, vcc_lo, v1, v29
	v_add_co_ci_u32_e32 v30, vcc_lo, v2, v30, vcc_lo
	s_waitcnt lgkmcnt(4)
	global_store_b128 v[23:24], v[3:6], off
	s_waitcnt lgkmcnt(3)
	global_store_b128 v[27:28], v[7:10], off
	;; [unrolled: 2-line block ×5, first 2 shown]
	s_and_b32 exec_lo, exec_lo, s3
	s_cbranch_execz .LBB552_2
; %bb.114:
	ds_load_b128 v[3:6], v0 offset:896
	s_add_i32 s1, s31, 14
	s_delay_alu instid0(SALU_CYCLE_1) | instskip(NEXT) | instid1(SALU_CYCLE_1)
	s_mul_i32 s0, s1, s0
	s_ashr_i32 s1, s0, 31
	s_delay_alu instid0(SALU_CYCLE_1) | instskip(NEXT) | instid1(SALU_CYCLE_1)
	s_lshl_b64 s[0:1], s[0:1], 1
	v_add_co_u32 v0, vcc_lo, v1, s0
	v_add_co_ci_u32_e32 v1, vcc_lo, s1, v2, vcc_lo
	s_waitcnt lgkmcnt(0)
	global_store_b128 v[0:1], v[3:6], off
	s_nop 0
	s_sendmsg sendmsg(MSG_DEALLOC_VGPRS)
	s_endpgm
	.section	.rodata,"a",@progbits
	.p2align	6, 0x0
	.amdhsa_kernel _Z39paged_attention_ll4mi_QKV_mfma16_kernelI14__hip_bfloat16S0_LN4vllm18Fp8KVCacheDataTypeE0ES0_Li32ELi64ELi256ELb1ELi15EL8MFMAType0EEvPKT_PKT0_S9_ifPKiSB_SB_iPKfiiiPfSE_PS4_PT2_iSD_SD_
		.amdhsa_group_segment_fixed_size 17472
		.amdhsa_private_segment_fixed_size 0
		.amdhsa_kernarg_size 400
		.amdhsa_user_sgpr_count 13
		.amdhsa_user_sgpr_dispatch_ptr 0
		.amdhsa_user_sgpr_queue_ptr 0
		.amdhsa_user_sgpr_kernarg_segment_ptr 1
		.amdhsa_user_sgpr_dispatch_id 0
		.amdhsa_user_sgpr_private_segment_size 0
		.amdhsa_wavefront_size32 1
		.amdhsa_uses_dynamic_stack 0
		.amdhsa_enable_private_segment 0
		.amdhsa_system_sgpr_workgroup_id_x 1
		.amdhsa_system_sgpr_workgroup_id_y 1
		.amdhsa_system_sgpr_workgroup_id_z 1
		.amdhsa_system_sgpr_workgroup_info 0
		.amdhsa_system_vgpr_workitem_id 0
		.amdhsa_next_free_vgpr 142
		.amdhsa_next_free_sgpr 39
		.amdhsa_reserve_vcc 1
		.amdhsa_float_round_mode_32 0
		.amdhsa_float_round_mode_16_64 0
		.amdhsa_float_denorm_mode_32 3
		.amdhsa_float_denorm_mode_16_64 3
		.amdhsa_dx10_clamp 1
		.amdhsa_ieee_mode 1
		.amdhsa_fp16_overflow 0
		.amdhsa_workgroup_processor_mode 1
		.amdhsa_memory_ordered 1
		.amdhsa_forward_progress 0
		.amdhsa_shared_vgpr_count 0
		.amdhsa_exception_fp_ieee_invalid_op 0
		.amdhsa_exception_fp_denorm_src 0
		.amdhsa_exception_fp_ieee_div_zero 0
		.amdhsa_exception_fp_ieee_overflow 0
		.amdhsa_exception_fp_ieee_underflow 0
		.amdhsa_exception_fp_ieee_inexact 0
		.amdhsa_exception_int_div_zero 0
	.end_amdhsa_kernel
	.section	.text._Z39paged_attention_ll4mi_QKV_mfma16_kernelI14__hip_bfloat16S0_LN4vllm18Fp8KVCacheDataTypeE0ES0_Li32ELi64ELi256ELb1ELi15EL8MFMAType0EEvPKT_PKT0_S9_ifPKiSB_SB_iPKfiiiPfSE_PS4_PT2_iSD_SD_,"axG",@progbits,_Z39paged_attention_ll4mi_QKV_mfma16_kernelI14__hip_bfloat16S0_LN4vllm18Fp8KVCacheDataTypeE0ES0_Li32ELi64ELi256ELb1ELi15EL8MFMAType0EEvPKT_PKT0_S9_ifPKiSB_SB_iPKfiiiPfSE_PS4_PT2_iSD_SD_,comdat
.Lfunc_end552:
	.size	_Z39paged_attention_ll4mi_QKV_mfma16_kernelI14__hip_bfloat16S0_LN4vllm18Fp8KVCacheDataTypeE0ES0_Li32ELi64ELi256ELb1ELi15EL8MFMAType0EEvPKT_PKT0_S9_ifPKiSB_SB_iPKfiiiPfSE_PS4_PT2_iSD_SD_, .Lfunc_end552-_Z39paged_attention_ll4mi_QKV_mfma16_kernelI14__hip_bfloat16S0_LN4vllm18Fp8KVCacheDataTypeE0ES0_Li32ELi64ELi256ELb1ELi15EL8MFMAType0EEvPKT_PKT0_S9_ifPKiSB_SB_iPKfiiiPfSE_PS4_PT2_iSD_SD_
                                        ; -- End function
	.section	.AMDGPU.csdata,"",@progbits
; Kernel info:
; codeLenInByte = 9656
; NumSgprs: 41
; NumVgprs: 142
; ScratchSize: 0
; MemoryBound: 0
; FloatMode: 240
; IeeeMode: 1
; LDSByteSize: 17472 bytes/workgroup (compile time only)
; SGPRBlocks: 5
; VGPRBlocks: 17
; NumSGPRsForWavesPerEU: 41
; NumVGPRsForWavesPerEU: 142
; Occupancy: 10
; WaveLimiterHint : 1
; COMPUTE_PGM_RSRC2:SCRATCH_EN: 0
; COMPUTE_PGM_RSRC2:USER_SGPR: 13
; COMPUTE_PGM_RSRC2:TRAP_HANDLER: 0
; COMPUTE_PGM_RSRC2:TGID_X_EN: 1
; COMPUTE_PGM_RSRC2:TGID_Y_EN: 1
; COMPUTE_PGM_RSRC2:TGID_Z_EN: 1
; COMPUTE_PGM_RSRC2:TIDIG_COMP_CNT: 0
	.section	.text._Z39paged_attention_ll4mi_QKV_mfma16_kernelI14__hip_bfloat16S0_LN4vllm18Fp8KVCacheDataTypeE0ES0_Li32ELi64ELi256ELb1ELi16EL8MFMAType0EEvPKT_PKT0_S9_ifPKiSB_SB_iPKfiiiPfSE_PS4_PT2_iSD_SD_,"axG",@progbits,_Z39paged_attention_ll4mi_QKV_mfma16_kernelI14__hip_bfloat16S0_LN4vllm18Fp8KVCacheDataTypeE0ES0_Li32ELi64ELi256ELb1ELi16EL8MFMAType0EEvPKT_PKT0_S9_ifPKiSB_SB_iPKfiiiPfSE_PS4_PT2_iSD_SD_,comdat
	.protected	_Z39paged_attention_ll4mi_QKV_mfma16_kernelI14__hip_bfloat16S0_LN4vllm18Fp8KVCacheDataTypeE0ES0_Li32ELi64ELi256ELb1ELi16EL8MFMAType0EEvPKT_PKT0_S9_ifPKiSB_SB_iPKfiiiPfSE_PS4_PT2_iSD_SD_ ; -- Begin function _Z39paged_attention_ll4mi_QKV_mfma16_kernelI14__hip_bfloat16S0_LN4vllm18Fp8KVCacheDataTypeE0ES0_Li32ELi64ELi256ELb1ELi16EL8MFMAType0EEvPKT_PKT0_S9_ifPKiSB_SB_iPKfiiiPfSE_PS4_PT2_iSD_SD_
	.globl	_Z39paged_attention_ll4mi_QKV_mfma16_kernelI14__hip_bfloat16S0_LN4vllm18Fp8KVCacheDataTypeE0ES0_Li32ELi64ELi256ELb1ELi16EL8MFMAType0EEvPKT_PKT0_S9_ifPKiSB_SB_iPKfiiiPfSE_PS4_PT2_iSD_SD_
	.p2align	8
	.type	_Z39paged_attention_ll4mi_QKV_mfma16_kernelI14__hip_bfloat16S0_LN4vllm18Fp8KVCacheDataTypeE0ES0_Li32ELi64ELi256ELb1ELi16EL8MFMAType0EEvPKT_PKT0_S9_ifPKiSB_SB_iPKfiiiPfSE_PS4_PT2_iSD_SD_,@function
_Z39paged_attention_ll4mi_QKV_mfma16_kernelI14__hip_bfloat16S0_LN4vllm18Fp8KVCacheDataTypeE0ES0_Li32ELi64ELi256ELb1ELi16EL8MFMAType0EEvPKT_PKT0_S9_ifPKiSB_SB_iPKfiiiPfSE_PS4_PT2_iSD_SD_: ; @_Z39paged_attention_ll4mi_QKV_mfma16_kernelI14__hip_bfloat16S0_LN4vllm18Fp8KVCacheDataTypeE0ES0_Li32ELi64ELi256ELb1ELi16EL8MFMAType0EEvPKT_PKT0_S9_ifPKiSB_SB_iPKfiiiPfSE_PS4_PT2_iSD_SD_
; %bb.0:
	s_load_b64 s[2:3], s[0:1], 0x30
	s_mov_b32 s30, s13
	s_waitcnt lgkmcnt(0)
	s_cmp_lg_u64 s[2:3], 0
	s_cselect_b32 s6, -1, 0
	s_ashr_i32 s31, s13, 31
	s_cmp_eq_u64 s[2:3], 0
	s_cbranch_scc1 .LBB553_3
; %bb.1:
	s_lshl_b64 s[4:5], s[30:31], 2
	s_delay_alu instid0(SALU_CYCLE_1) | instskip(SKIP_4) | instid1(SALU_CYCLE_1)
	s_add_u32 s4, s2, s4
	s_addc_u32 s5, s3, s5
	s_load_b64 s[4:5], s[4:5], 0x0
	s_waitcnt lgkmcnt(0)
	s_sub_i32 s4, s5, s4
	s_cmp_eq_u32 s4, 1
	s_cselect_b32 s4, -1, 0
	s_delay_alu instid0(SALU_CYCLE_1)
	s_and_not1_b32 vcc_lo, exec_lo, s4
	s_cbranch_vccz .LBB553_4
.LBB553_2:
	s_endpgm
.LBB553_3:
.LBB553_4:
	s_load_b64 s[8:9], s[0:1], 0x28
	s_lshl_b64 s[4:5], s[30:31], 2
	s_waitcnt lgkmcnt(0)
	s_add_u32 s8, s8, s4
	s_addc_u32 s9, s9, s5
	s_lshl_b32 s16, s14, 8
	s_load_b32 s18, s[8:9], 0x0
	s_waitcnt lgkmcnt(0)
	s_cmp_ge_i32 s16, s18
	s_cbranch_scc1 .LBB553_2
; %bb.5:
	s_and_not1_b32 vcc_lo, exec_lo, s6
	s_cbranch_vccnz .LBB553_7
; %bb.6:
	s_add_u32 s2, s2, s4
	s_addc_u32 s3, s3, s5
	s_load_b32 s17, s[2:3], 0x0
	s_branch .LBB553_8
.LBB553_7:
	s_mov_b32 s17, s30
.LBB553_8:
	s_clause 0x2
	s_load_b128 s[8:11], s[0:1], 0x8
	s_load_b64 s[12:13], s[0:1], 0x20
	s_load_b128 s[4:7], s[0:1], 0x48
	v_and_b32_e32 v74, 15, v0
	v_cmp_lt_u32_e32 vcc_lo, 0xff, v0
	s_delay_alu instid0(VALU_DEP_2) | instskip(SKIP_2) | instid1(VALU_DEP_3)
	v_cmp_lt_u32_e64 s3, 7, v74
	v_lshlrev_b32_e32 v1, 3, v74
	v_cmp_gt_u32_e64 s2, 8, v74
	s_or_b32 s3, vcc_lo, s3
	s_waitcnt lgkmcnt(0)
	s_and_saveexec_b32 s7, s3
	s_delay_alu instid0(SALU_CYCLE_1)
	s_xor_b32 s3, exec_lo, s7
; %bb.9:
	v_mov_b32_e32 v2, 0
; %bb.10:
	s_or_saveexec_b32 s3, s3
	v_lshrrev_b32_e32 v73, 5, v0
	v_and_b32_e32 v75, 31, v0
	v_and_b32_e32 v84, 1, v0
	v_bfe_u32 v83, v0, 4, 1
	s_lshl_b32 s31, s15, 4
	s_xor_b32 exec_lo, exec_lo, s3
	s_cbranch_execz .LBB553_12
; %bb.11:
	s_delay_alu instid0(VALU_DEP_1)
	v_lshl_or_b32 v7, v73, 1, v83
	s_load_b64 s[20:21], s[0:1], 0x0
	s_mul_hi_i32 s23, s17, s4
	s_mul_i32 s22, s17, s4
	v_lshlrev_b32_e32 v4, 1, v1
	v_or_b32_e32 v2, s31, v7
	s_lshl_b64 s[22:23], s[22:23], 1
	v_lshlrev_b32_e32 v7, 6, v7
	v_lshlrev_b32_e32 v8, 10, v84
	s_delay_alu instid0(VALU_DEP_3) | instskip(NEXT) | instid1(VALU_DEP_1)
	v_lshlrev_b32_e32 v2, 6, v2
	v_ashrrev_i32_e32 v3, 31, v2
	s_delay_alu instid0(VALU_DEP_1) | instskip(SKIP_3) | instid1(VALU_DEP_1)
	v_lshlrev_b64 v[2:3], 1, v[2:3]
	s_waitcnt lgkmcnt(0)
	s_add_u32 s4, s20, s22
	s_addc_u32 s7, s21, s23
	v_add_co_u32 v2, vcc_lo, s4, v2
	s_delay_alu instid0(VALU_DEP_2) | instskip(NEXT) | instid1(VALU_DEP_2)
	v_add_co_ci_u32_e32 v3, vcc_lo, s7, v3, vcc_lo
	v_add_co_u32 v2, vcc_lo, v2, v4
	s_delay_alu instid0(VALU_DEP_2) | instskip(SKIP_2) | instid1(VALU_DEP_1)
	v_add_co_ci_u32_e32 v3, vcc_lo, 0, v3, vcc_lo
	global_load_b128 v[3:6], v[2:3], off
	v_lshlrev_b32_e32 v2, 10, v74
	v_and_b32_e32 v2, 0x3800, v2
	s_delay_alu instid0(VALU_DEP_1)
	v_or3_b32 v7, v2, v8, v7
	v_mov_b32_e32 v2, 0
	s_waitcnt vmcnt(0)
	ds_store_b128 v7, v[3:6]
.LBB553_12:
	s_or_b32 exec_lo, exec_lo, s3
	v_and_b32_e32 v3, 0xef, v0
	s_add_i32 s3, s18, 31
	s_clause 0x1
	s_load_b32 s4, s[0:1], 0x38
	s_load_b32 s19, s[0:1], 0x1c
	s_ashr_i32 s7, s3, 31
	v_add_nc_u32_e32 v3, s16, v3
	s_lshr_b32 s7, s7, 27
	s_waitcnt lgkmcnt(0)
	s_add_i32 s3, s3, s7
	s_barrier
	v_ashrrev_i32_e32 v4, 31, v3
	v_cmp_gt_i32_e32 vcc_lo, s18, v3
	s_ashr_i32 s3, s3, 5
	buffer_gl0_inv
	s_add_i32 s3, s3, -1
	v_lshrrev_b32_e32 v5, 27, v4
	v_or_b32_e32 v4, 16, v3
	s_mul_i32 s6, s15, s6
	v_lshlrev_b64 v[81:82], 1, v[1:2]
	s_delay_alu instid0(VALU_DEP_3) | instskip(NEXT) | instid1(VALU_DEP_3)
	v_add_nc_u32_e32 v6, v3, v5
	v_add_nc_u32_e32 v5, v4, v5
	s_mul_i32 s20, s30, s4
	s_delay_alu instid0(SALU_CYCLE_1) | instskip(NEXT) | instid1(VALU_DEP_2)
	s_ashr_i32 s21, s20, 31
	v_ashrrev_i32_e32 v6, 5, v6
	s_delay_alu instid0(VALU_DEP_2) | instskip(SKIP_1) | instid1(SALU_CYCLE_1)
	v_ashrrev_i32_e32 v5, 5, v5
	s_lshl_b64 s[20:21], s[20:21], 2
	s_add_u32 s4, s12, s20
	s_delay_alu instid0(VALU_DEP_2) | instskip(SKIP_3) | instid1(SALU_CYCLE_1)
	v_cndmask_b32_e32 v3, s3, v6, vcc_lo
	v_cmp_gt_i32_e32 vcc_lo, s18, v4
	s_addc_u32 s17, s13, s21
	s_ashr_i32 s7, s6, 31
	s_lshl_b64 s[6:7], s[6:7], 1
	v_cndmask_b32_e32 v5, s3, v5, vcc_lo
	v_ashrrev_i32_e32 v4, 31, v3
	s_add_u32 s15, s8, s6
	s_addc_u32 s28, s9, s7
	s_lshl_b32 s8, s14, 3
	v_ashrrev_i32_e32 v6, 31, v5
	v_lshlrev_b64 v[3:4], 2, v[3:4]
	s_ashr_i32 s9, s8, 31
	s_delay_alu instid0(SALU_CYCLE_1) | instskip(NEXT) | instid1(VALU_DEP_2)
	s_lshl_b64 s[8:9], s[8:9], 2
	v_lshlrev_b64 v[5:6], 2, v[5:6]
	s_add_u32 s8, s4, s8
	s_delay_alu instid0(VALU_DEP_2) | instskip(SKIP_1) | instid1(VALU_DEP_3)
	v_add_co_u32 v3, vcc_lo, s4, v3
	v_add_co_ci_u32_e32 v4, vcc_lo, s17, v4, vcc_lo
	v_add_co_u32 v5, vcc_lo, s4, v5
	s_delay_alu instid0(VALU_DEP_4)
	v_add_co_ci_u32_e32 v6, vcc_lo, s17, v6, vcc_lo
	s_addc_u32 s9, s17, s9
	s_clause 0x1
	global_load_b32 v7, v[3:4], off
	global_load_b32 v8, v[5:6], off
	s_or_b32 s12, s16, 32
	s_delay_alu instid0(SALU_CYCLE_1) | instskip(SKIP_2) | instid1(SALU_CYCLE_1)
	s_ashr_i32 s13, s12, 5
	s_cmp_lt_i32 s12, s18
	s_cselect_b32 s12, s13, s3
	s_ashr_i32 s13, s12, 31
	s_delay_alu instid0(SALU_CYCLE_1) | instskip(NEXT) | instid1(SALU_CYCLE_1)
	s_lshl_b64 s[12:13], s[12:13], 2
	s_add_u32 s12, s4, s12
	s_addc_u32 s13, s17, s13
	s_or_b32 s20, s16, 64
	s_delay_alu instid0(SALU_CYCLE_1) | instskip(SKIP_2) | instid1(SALU_CYCLE_1)
	s_ashr_i32 s21, s20, 5
	s_cmp_lt_i32 s20, s18
	s_cselect_b32 s20, s21, s3
	s_ashr_i32 s21, s20, 31
	s_delay_alu instid0(SALU_CYCLE_1) | instskip(NEXT) | instid1(SALU_CYCLE_1)
	s_lshl_b64 s[20:21], s[20:21], 2
	s_add_u32 s20, s4, s20
	s_addc_u32 s21, s17, s21
	;; [unrolled: 10-line block ×5, first 2 shown]
	s_clause 0x5
	s_load_b32 s29, s[8:9], 0x0
	s_load_b32 s33, s[12:13], 0x0
	;; [unrolled: 1-line block ×6, first 2 shown]
	s_or_b32 s8, s16, 0xc0
	s_mov_b32 s20, 0
	s_ashr_i32 s9, s8, 5
	s_cmp_lt_i32 s8, s18
	s_mov_b32 s21, s20
	s_cselect_b32 s8, s9, s3
	s_mov_b32 s22, s20
	s_ashr_i32 s9, s8, 31
	s_mov_b32 s23, s20
	s_lshl_b64 s[8:9], s[8:9], 2
	s_mov_b32 s24, s20
	s_mov_b32 s25, s20
	s_mov_b32 s26, s20
	s_mov_b32 s27, s20
	v_lshlrev_b32_e32 v85, 6, v74
	s_add_u32 s8, s4, s8
	s_addc_u32 s9, s17, s9
	v_dual_mov_b32 v117, s27 :: v_dual_mov_b32 v110, s20
	v_dual_mov_b32 v116, s26 :: v_dual_mov_b32 v115, s25
	;; [unrolled: 1-line block ×4, first 2 shown]
	s_waitcnt lgkmcnt(0)
	s_mul_hi_i32 s13, s29, s5
	s_mul_i32 s12, s29, s5
	v_lshl_or_b32 v57, v73, 10, v85
	s_mul_hi_i32 s21, s33, s5
	s_mul_i32 s20, s33, s5
	s_mul_hi_i32 s25, s34, s5
	s_mul_i32 s24, s34, s5
	;; [unrolled: 2-line block ×4, first 2 shown]
	s_waitcnt vmcnt(1)
	v_mad_i64_i32 v[3:4], null, v7, s5, 0
	s_waitcnt vmcnt(0)
	v_mad_i64_i32 v[5:6], null, v8, s5, 0
	s_delay_alu instid0(VALU_DEP_2) | instskip(NEXT) | instid1(VALU_DEP_2)
	v_lshlrev_b64 v[3:4], 1, v[3:4]
	v_lshlrev_b64 v[1:2], 1, v[5:6]
	s_delay_alu instid0(VALU_DEP_2) | instskip(NEXT) | instid1(VALU_DEP_3)
	v_add_co_u32 v3, vcc_lo, s15, v3
	v_add_co_ci_u32_e32 v4, vcc_lo, s28, v4, vcc_lo
	s_delay_alu instid0(VALU_DEP_3) | instskip(NEXT) | instid1(VALU_DEP_4)
	v_add_co_u32 v1, vcc_lo, s15, v1
	v_add_co_ci_u32_e32 v2, vcc_lo, s28, v2, vcc_lo
	s_delay_alu instid0(VALU_DEP_4) | instskip(NEXT) | instid1(VALU_DEP_4)
	v_add_co_u32 v41, vcc_lo, v3, v81
	v_add_co_ci_u32_e32 v42, vcc_lo, v4, v82, vcc_lo
	s_delay_alu instid0(VALU_DEP_4) | instskip(NEXT) | instid1(VALU_DEP_4)
	v_add_co_u32 v43, vcc_lo, v1, v81
	v_add_co_ci_u32_e32 v44, vcc_lo, v2, v82, vcc_lo
	s_clause 0xf
	global_load_b128 v[1:4], v[41:42], off
	global_load_b128 v[5:8], v[41:42], off offset:512
	global_load_b128 v[9:12], v[43:44], off offset:256
	;; [unrolled: 1-line block ×15, first 2 shown]
	s_or_b32 s15, s16, 0xe0
	ds_load_b128 v[41:44], v85
	ds_load_b128 v[45:48], v85 offset:1024
	ds_load_b128 v[49:52], v85 offset:2048
	;; [unrolled: 1-line block ×3, first 2 shown]
	s_ashr_i32 s22, s15, 5
	s_cmp_lt_i32 s15, s18
	ds_load_b128 v[118:121], v85 offset:4096
	ds_load_b128 v[122:125], v85 offset:5120
	s_cselect_b32 s22, s22, s3
	ds_load_b128 v[126:129], v85 offset:6144
	ds_load_b128 v[130:133], v85 offset:7168
	s_ashr_i32 s23, s22, 31
	s_delay_alu instid0(SALU_CYCLE_1) | instskip(NEXT) | instid1(SALU_CYCLE_1)
	s_lshl_b64 s[22:23], s[22:23], 2
	s_add_u32 s22, s4, s22
	s_addc_u32 s23, s17, s23
	s_add_i32 s15, s16, 0x100
	s_delay_alu instid0(SALU_CYCLE_1)
	s_ashr_i32 s28, s15, 5
	s_cmp_lt_i32 s15, s18
	s_load_b32 s15, s[8:9], 0x0
	s_cselect_b32 s28, s28, s3
	s_mul_hi_i32 s9, s36, s5
	s_ashr_i32 s29, s28, 31
	s_mul_i32 s8, s36, s5
	s_lshl_b64 s[28:29], s[28:29], 2
	s_delay_alu instid0(SALU_CYCLE_1)
	s_add_u32 s28, s4, s28
	s_addc_u32 s29, s17, s29
	s_add_u32 s3, s10, s6
	s_clause 0x1
	s_load_b32 s4, s[22:23], 0x0
	s_load_b32 s17, s[28:29], 0x0
	s_addc_u32 s28, s11, s7
	v_add_co_u32 v76, s3, s3, v57
	s_delay_alu instid0(VALU_DEP_1) | instskip(SKIP_2) | instid1(VALU_DEP_2)
	v_add_co_ci_u32_e64 v77, null, s28, 0, s3
	s_lshl_b64 s[6:7], s[12:13], 1
	s_lshl_b64 s[10:11], s[20:21], 1
	v_add_co_u32 v57, vcc_lo, v76, s6
	s_delay_alu instid0(VALU_DEP_2)
	v_add_co_ci_u32_e32 v58, vcc_lo, s7, v77, vcc_lo
	s_lshl_b64 s[12:13], s[24:25], 1
	s_lshl_b64 s[20:21], s[26:27], 1
	;; [unrolled: 1-line block ×4, first 2 shown]
	s_waitcnt lgkmcnt(0)
	s_mul_hi_i32 s25, s15, s5
	s_mul_i32 s24, s15, s5
	s_clause 0x1
	global_load_b128 v[65:68], v[57:58], off
	global_load_b128 v[69:72], v[57:58], off offset:16
	s_lshl_b64 s[6:7], s[24:25], 1
	s_waitcnt vmcnt(16)
	v_wmma_f32_16x16x16_bf16 v[134:141], v[1:8], v[41:48], v[110:117]
	v_add_co_u32 v1, vcc_lo, v76, s10
	v_add_co_ci_u32_e32 v2, vcc_lo, s11, v77, vcc_lo
	s_waitcnt vmcnt(12)
	s_delay_alu instid0(VALU_DEP_3) | instskip(SKIP_3) | instid1(VALU_DEP_3)
	v_wmma_f32_16x16x16_bf16 v[134:141], v[17:24], v[49:56], v[134:141]
	v_add_co_u32 v3, vcc_lo, v76, s12
	v_add_co_ci_u32_e32 v4, vcc_lo, s13, v77, vcc_lo
	s_waitcnt vmcnt(8)
	v_wmma_f32_16x16x16_bf16 v[134:141], v[33:40], v[118:125], v[134:141]
	v_add_co_u32 v5, vcc_lo, v76, s20
	v_add_co_ci_u32_e32 v6, vcc_lo, s21, v77, vcc_lo
	s_waitcnt vmcnt(4)
	s_delay_alu instid0(VALU_DEP_3) | instskip(SKIP_2) | instid1(VALU_DEP_3)
	v_wmma_f32_16x16x16_bf16 v[134:141], v[94:101], v[126:133], v[134:141]
	v_add_co_u32 v7, vcc_lo, v76, s8
	v_add_co_ci_u32_e32 v8, vcc_lo, s9, v77, vcc_lo
	v_mul_f32_e32 v100, s19, v141
	v_wmma_f32_16x16x16_bf16 v[110:117], v[9:16], v[41:48], v[110:117]
	s_clause 0x1
	global_load_b128 v[57:60], v[1:2], off
	global_load_b128 v[61:64], v[1:2], off offset:16
	s_mul_hi_i32 s9, s4, s5
	s_mul_i32 s8, s4, s5
	v_mul_f32_e32 v99, s19, v135
	v_wmma_f32_16x16x16_bf16 v[110:117], v[25:32], v[49:56], v[110:117]
	s_clause 0x5
	global_load_b128 v[49:52], v[3:4], off
	global_load_b128 v[53:56], v[3:4], off offset:16
	global_load_b128 v[41:44], v[5:6], off
	global_load_b128 v[45:48], v[5:6], off offset:16
	;; [unrolled: 2-line block ×3, first 2 shown]
	v_add_co_u32 v5, vcc_lo, v76, s22
	v_add_co_ci_u32_e32 v6, vcc_lo, s23, v77, vcc_lo
	v_add_co_u32 v17, vcc_lo, v76, s6
	v_add_co_ci_u32_e32 v18, vcc_lo, s7, v77, vcc_lo
	s_lshl_b64 s[6:7], s[8:9], 1
	s_mul_hi_i32 s9, s17, s5
	s_mul_i32 s8, s17, s5
	v_add_co_u32 v19, vcc_lo, v76, s6
	s_lshl_b64 s[4:5], s[8:9], 1
	v_add_co_ci_u32_e32 v20, vcc_lo, s7, v77, vcc_lo
	v_add_co_u32 v21, vcc_lo, v76, s4
	v_add_co_ci_u32_e32 v22, vcc_lo, s5, v77, vcc_lo
	s_clause 0x7
	global_load_b128 v[1:4], v[5:6], off
	global_load_b128 v[5:8], v[5:6], off offset:16
	global_load_b128 v[33:36], v[17:18], off
	global_load_b128 v[37:40], v[17:18], off offset:16
	global_load_b128 v[25:28], v[19:20], off
	global_load_b128 v[29:32], v[19:20], off offset:16
	global_load_b128 v[17:20], v[21:22], off
	global_load_b128 v[21:24], v[21:22], off offset:16
	v_and_b32_e32 v76, 0xe0, v0
	v_mbcnt_lo_u32_b32 v77, -1, 0
	v_wmma_f32_16x16x16_bf16 v[110:117], v[86:93], v[118:125], v[110:117]
	s_waitcnt vmcnt(0)
	s_barrier
	v_add_nc_u32_e32 v76, s16, v76
	v_xor_b32_e32 v78, 16, v77
	v_wmma_f32_16x16x16_bf16 v[110:117], v[102:109], v[126:133], v[110:117]
	v_mul_f32_e32 v97, s19, v134
	buffer_gl0_inv
	v_or_b32_e32 v76, v76, v83
	v_cmp_gt_i32_e32 vcc_lo, 32, v78
	s_delay_alu instid0(VALU_DEP_2)
	v_or_b32_e32 v79, 4, v76
	v_cndmask_b32_e32 v77, v77, v78, vcc_lo
	v_or_b32_e32 v78, 2, v76
	v_or_b32_e32 v80, 6, v76
	v_cmp_gt_i32_e32 vcc_lo, s18, v76
	v_or_b32_e32 v86, 8, v76
	v_or_b32_e32 v87, 10, v76
	v_cmp_gt_i32_e64 s3, s18, v78
	v_or_b32_e32 v88, 12, v76
	v_or_b32_e32 v89, 14, v76
	;; [unrolled: 1-line block ×10, first 2 shown]
	v_cndmask_b32_e32 v76, 0xff7fffff, v97, vcc_lo
	v_cndmask_b32_e64 v78, 0xff7fffff, v99, s3
	v_mul_f32_e32 v99, s19, v137
	v_cmp_gt_i32_e64 s4, s18, v80
	v_mul_f32_e32 v80, s19, v136
	v_cmp_gt_i32_e64 s5, s18, v79
	v_max3_f32 v76, v76, 0xff7fffff, v78
	v_dual_mul_f32 v78, s19, v138 :: v_dual_mul_f32 v79, s19, v139
	v_cmp_gt_i32_e64 s6, s18, v86
	s_delay_alu instid0(VALU_DEP_4)
	v_cndmask_b32_e64 v80, 0xff7fffff, v80, s5
	v_cmp_gt_i32_e64 s7, s18, v87
	v_mul_f32_e32 v86, s19, v116
	v_cndmask_b32_e64 v99, 0xff7fffff, v99, s4
	v_mul_f32_e32 v97, s19, v140
	v_cndmask_b32_e64 v78, 0xff7fffff, v78, s6
	v_cndmask_b32_e64 v79, 0xff7fffff, v79, s7
	v_cmp_gt_i32_e64 s8, s18, v89
	v_max3_f32 v76, v76, v80, v99
	v_cmp_gt_i32_e64 s9, s18, v88
	v_dual_mul_f32 v99, s19, v114 :: v_dual_mul_f32 v88, s19, v111
	v_mul_f32_e32 v89, s19, v110
	s_delay_alu instid0(VALU_DEP_4)
	v_max3_f32 v76, v76, v78, v79
	v_mul_f32_e32 v78, s19, v113
	v_cndmask_b32_e64 v97, 0xff7fffff, v97, s9
	v_cndmask_b32_e64 v100, 0xff7fffff, v100, s8
	v_cmp_gt_i32_e64 s10, s18, v90
	v_cmp_gt_i32_e64 s11, s18, v91
	v_mul_f32_e32 v79, s19, v112
	v_cmp_gt_i32_e64 s12, s18, v92
	v_max3_f32 v76, v76, v97, v100
	v_cndmask_b32_e64 v89, 0xff7fffff, v89, s10
	v_cndmask_b32_e64 v88, 0xff7fffff, v88, s11
	v_cmp_gt_i32_e64 s13, s18, v93
	v_mul_f32_e32 v87, s19, v115
	v_cndmask_b32_e64 v79, 0xff7fffff, v79, s12
	v_cmp_gt_i32_e64 s15, s18, v94
	v_max3_f32 v76, v76, v89, v88
	v_cndmask_b32_e64 v78, 0xff7fffff, v78, s13
	v_cmp_gt_i32_e64 s16, s18, v95
	v_mul_f32_e32 v80, s19, v117
	v_cndmask_b32_e64 v88, 0xff7fffff, v99, s15
	v_cmp_gt_i32_e64 s17, s18, v96
	v_max3_f32 v76, v76, v79, v78
	v_cndmask_b32_e64 v87, 0xff7fffff, v87, s16
	v_cmp_gt_i32_e64 s18, s18, v98
	v_lshlrev_b32_e32 v99, 2, v77
	v_cndmask_b32_e64 v78, 0xff7fffff, v86, s17
	s_delay_alu instid0(VALU_DEP_4) | instskip(NEXT) | instid1(VALU_DEP_4)
	v_max3_f32 v76, v76, v88, v87
	v_cndmask_b32_e64 v79, 0xff7fffff, v80, s18
	s_delay_alu instid0(VALU_DEP_1) | instskip(SKIP_3) | instid1(VALU_DEP_1)
	v_max3_f32 v76, v76, v78, v79
	ds_bpermute_b32 v77, v99, v76
	s_waitcnt lgkmcnt(0)
	v_max_f32_e32 v77, v77, v77
	v_max_f32_e32 v89, v76, v77
	s_delay_alu instid0(VALU_DEP_1) | instskip(NEXT) | instid1(VALU_DEP_1)
	v_fma_f32 v80, s19, v138, -v89
	v_mul_f32_e32 v80, 0x3fb8aa3b, v80
	s_delay_alu instid0(VALU_DEP_1) | instskip(SKIP_3) | instid1(VALU_DEP_1)
	v_exp_f32_e32 v80, v80
	s_waitcnt_depctr 0xfff
	v_cndmask_b32_e64 v95, 0, v80, s6
	v_fma_f32 v80, s19, v111, -v89
	v_mul_f32_e32 v80, 0x3fb8aa3b, v80
	v_fma_f32 v78, s19, v136, -v89
	v_fma_f32 v86, s19, v140, -v89
	;; [unrolled: 1-line block ×5, first 2 shown]
	v_mul_f32_e32 v78, 0x3fb8aa3b, v78
	v_mul_f32_e32 v86, 0x3fb8aa3b, v86
	v_mul_f32_e32 v76, 0x3fb8aa3b, v76
	v_fma_f32 v98, s19, v116, -v89
	v_fma_f32 v100, s19, v117, -v89
	v_exp_f32_e32 v78, v78
	v_exp_f32_e32 v86, v86
	;; [unrolled: 1-line block ×4, first 2 shown]
	v_mul_f32_e32 v100, 0x3fb8aa3b, v100
	v_fma_f32 v87, s19, v114, -v89
	s_delay_alu instid0(VALU_DEP_2)
	v_exp_f32_e32 v100, v100
	v_cndmask_b32_e64 v92, 0, v78, s5
	v_fma_f32 v78, s19, v141, -v89
	v_cndmask_b32_e64 v93, 0, v86, s9
	v_fma_f32 v86, s19, v113, -v89
	v_mul_f32_e32 v77, 0x3fb8aa3b, v77
	s_delay_alu instid0(VALU_DEP_4) | instskip(NEXT) | instid1(VALU_DEP_3)
	v_dual_mul_f32 v79, 0x3fb8aa3b, v79 :: v_dual_mul_f32 v78, 0x3fb8aa3b, v78
	v_dual_mul_f32 v87, 0x3fb8aa3b, v87 :: v_dual_mul_f32 v86, 0x3fb8aa3b, v86
	s_delay_alu instid0(VALU_DEP_3) | instskip(NEXT) | instid1(VALU_DEP_2)
	v_exp_f32_e32 v77, v77
	v_exp_f32_e32 v79, v79
	s_delay_alu instid0(VALU_DEP_2) | instskip(NEXT) | instid1(VALU_DEP_1)
	v_exp_f32_e32 v78, v78
	v_exp_f32_e32 v87, v87
	;; [unrolled: 1-line block ×3, first 2 shown]
	v_cndmask_b32_e64 v90, 0, v77, s3
	v_cndmask_b32_e64 v94, 0, v79, s4
	s_delay_alu instid0(TRANS32_DEP_3) | instskip(SKIP_4) | instid1(VALU_DEP_2)
	v_cndmask_b32_e64 v97, 0, v78, s8
	v_cndmask_b32_e32 v91, 0, v76, vcc_lo
	v_fma_f32 v76, s19, v139, -v89
	v_fma_f32 v79, s19, v110, -v89
	s_mov_b32 s3, exec_lo
	v_dual_add_f32 v77, 0, v91 :: v_dual_mul_f32 v76, 0x3fb8aa3b, v76
	s_delay_alu instid0(VALU_DEP_1) | instskip(NEXT) | instid1(VALU_DEP_2)
	v_add_f32_e32 v77, v77, v90
	v_exp_f32_e32 v76, v76
	s_delay_alu instid0(VALU_DEP_1) | instskip(NEXT) | instid1(VALU_DEP_1)
	v_add_f32_e32 v77, v77, v92
	v_add_f32_e32 v77, v77, v94
	s_waitcnt_depctr 0xfff
	v_cndmask_b32_e64 v96, 0, v76, s7
	v_add_f32_e32 v76, v77, v95
	v_fma_f32 v77, s19, v112, -v89
	s_delay_alu instid0(VALU_DEP_1) | instskip(NEXT) | instid1(VALU_DEP_1)
	v_dual_add_f32 v76, v76, v96 :: v_dual_mul_f32 v77, 0x3fb8aa3b, v77
	v_add_f32_e32 v78, v76, v93
	s_delay_alu instid0(VALU_DEP_2) | instskip(SKIP_1) | instid1(VALU_DEP_2)
	v_exp_f32_e32 v88, v77
	v_cndmask_b32_e64 v77, 0, v80, s11
	v_dual_mul_f32 v79, 0x3fb8aa3b, v79 :: v_dual_add_f32 v78, v78, v97
	s_delay_alu instid0(VALU_DEP_1) | instskip(SKIP_3) | instid1(VALU_DEP_1)
	v_exp_f32_e32 v79, v79
	s_waitcnt_depctr 0xfff
	v_cndmask_b32_e64 v76, 0, v79, s10
	v_fma_f32 v79, s19, v115, -v89
	v_dual_add_f32 v80, v78, v76 :: v_dual_mul_f32 v79, 0x3fb8aa3b, v79
	v_cndmask_b32_e64 v78, 0, v88, s12
	v_mul_f32_e32 v88, 0x3fb8aa3b, v98
	s_delay_alu instid0(VALU_DEP_3) | instskip(NEXT) | instid1(VALU_DEP_4)
	v_add_f32_e32 v80, v80, v77
	v_exp_f32_e32 v98, v79
	v_cndmask_b32_e64 v79, 0, v86, s13
	s_delay_alu instid0(VALU_DEP_3) | instskip(NEXT) | instid1(VALU_DEP_2)
	v_exp_f32_e32 v88, v88
	v_add_f32_e32 v86, v80, v78
	v_cndmask_b32_e64 v80, 0, v87, s15
	s_delay_alu instid0(VALU_DEP_2) | instskip(SKIP_4) | instid1(VALU_DEP_2)
	v_add_f32_e32 v87, v86, v79
	s_waitcnt_depctr 0xfff
	v_cndmask_b32_e64 v86, 0, v98, s16
	v_add_f32_e32 v98, v87, v80
	v_cndmask_b32_e64 v87, 0, v88, s17
	v_add_f32_e32 v88, v98, v86
	s_delay_alu instid0(VALU_DEP_1) | instskip(SKIP_1) | instid1(VALU_DEP_1)
	v_add_f32_e32 v98, v88, v87
	v_cndmask_b32_e64 v88, 0, v100, s18
	v_add_f32_e32 v98, v98, v88
	ds_bpermute_b32 v99, v99, v98
	v_cmpx_gt_u32_e32 16, v75
	s_cbranch_execz .LBB553_14
; %bb.13:
	v_mul_u32_u24_e32 v75, 0x44, v73
	s_waitcnt lgkmcnt(0)
	v_add_f32_e32 v98, v98, v99
	s_delay_alu instid0(VALU_DEP_2) | instskip(NEXT) | instid1(VALU_DEP_1)
	v_lshl_add_u32 v75, v74, 2, v75
	v_add_nc_u32_e32 v75, 0x4000, v75
	ds_store_2addr_b32 v75, v89, v98 offset1:136
.LBB553_14:
	s_or_b32 exec_lo, exec_lo, s3
	v_lshlrev_b32_e32 v74, 2, v74
	s_waitcnt lgkmcnt(0)
	s_barrier
	buffer_gl0_inv
	v_cmp_eq_u32_e64 s3, 1, v73
	v_add_nc_u32_e32 v89, 0x4000, v74
	ds_load_2addr_b32 v[98:99], v89 offset1:17
	ds_load_2addr_b32 v[100:101], v89 offset0:34 offset1:51
	ds_load_2addr_b32 v[102:103], v89 offset0:68 offset1:85
	;; [unrolled: 1-line block ×4, first 2 shown]
	s_waitcnt lgkmcnt(4)
	v_max3_f32 v74, v98, 0xff7fffff, v99
	s_waitcnt lgkmcnt(3)
	s_delay_alu instid0(VALU_DEP_1) | instskip(SKIP_1) | instid1(VALU_DEP_1)
	v_max3_f32 v74, v74, v100, v101
	s_waitcnt lgkmcnt(2)
	v_max3_f32 v74, v74, v102, v103
	s_waitcnt lgkmcnt(1)
	s_delay_alu instid0(VALU_DEP_1) | instskip(NEXT) | instid1(VALU_DEP_1)
	v_max3_f32 v74, v74, v104, v105
	v_sub_f32_e32 v108, v99, v74
	v_sub_f32_e32 v75, v98, v74
	ds_load_2addr_b32 v[98:99], v89 offset0:170 offset1:187
	v_sub_f32_e32 v100, v100, v74
	v_dual_mul_f32 v108, 0x3fb8aa3b, v108 :: v_dual_mul_f32 v75, 0x3fb8aa3b, v75
	s_delay_alu instid0(VALU_DEP_2) | instskip(NEXT) | instid1(VALU_DEP_2)
	v_mul_f32_e32 v110, 0x3fb8aa3b, v100
	v_exp_f32_e32 v108, v108
	s_delay_alu instid0(VALU_DEP_2)
	v_exp_f32_e32 v109, v75
	v_sub_f32_e32 v75, v101, v74
	ds_load_2addr_b32 v[100:101], v89 offset0:204 offset1:221
	v_exp_f32_e32 v110, v110
	v_mul_f32_e32 v111, 0x3fb8aa3b, v75
	s_waitcnt lgkmcnt(2)
	v_fma_f32 v75, v109, v106, 0
	v_sub_f32_e32 v102, v102, v74
	s_delay_alu instid0(VALU_DEP_3) | instskip(NEXT) | instid1(VALU_DEP_2)
	v_exp_f32_e32 v111, v111
	v_dual_sub_f32 v106, v103, v74 :: v_dual_fmac_f32 v75, v108, v107
	s_waitcnt lgkmcnt(1)
	s_waitcnt_depctr 0xfff
	v_fmac_f32_e32 v75, v110, v98
	v_mul_f32_e32 v112, 0x3fb8aa3b, v102
	ds_load_2addr_b32 v[102:103], v89 offset0:238 offset1:255
	v_sub_f32_e32 v89, v104, v74
	v_dual_sub_f32 v98, v105, v74 :: v_dual_fmac_f32 v75, v111, v99
	v_mul_f32_e32 v104, 0x3fb8aa3b, v106
	v_exp_f32_e32 v106, v112
	s_delay_alu instid0(VALU_DEP_2)
	v_dual_mul_f32 v89, 0x3fb8aa3b, v89 :: v_dual_mul_f32 v98, 0x3fb8aa3b, v98
	s_waitcnt lgkmcnt(0)
	s_barrier
	buffer_gl0_inv
	v_exp_f32_e32 v89, v89
	v_exp_f32_e32 v98, v98
	v_fmac_f32_e32 v75, v106, v100
	v_exp_f32_e32 v104, v104
	s_waitcnt_depctr 0xfff
	v_fmac_f32_e32 v75, v104, v101
	s_delay_alu instid0(VALU_DEP_1) | instskip(NEXT) | instid1(VALU_DEP_1)
	v_fmac_f32_e32 v75, v89, v102
	v_fmac_f32_e32 v75, v98, v103
	s_delay_alu instid0(VALU_DEP_1) | instskip(NEXT) | instid1(VALU_DEP_1)
	v_add_f32_e32 v99, 0x358637bd, v75
	v_div_scale_f32 v100, null, v99, v99, 1.0
	v_div_scale_f32 v103, vcc_lo, 1.0, v99, 1.0
	s_delay_alu instid0(VALU_DEP_2) | instskip(SKIP_2) | instid1(VALU_DEP_1)
	v_rcp_f32_e32 v101, v100
	s_waitcnt_depctr 0xfff
	v_fma_f32 v102, -v100, v101, 1.0
	v_fmac_f32_e32 v101, v102, v101
	v_cndmask_b32_e64 v102, v109, v108, s3
	v_cmp_eq_u32_e64 s3, 2, v73
	s_delay_alu instid0(VALU_DEP_3) | instskip(NEXT) | instid1(VALU_DEP_2)
	v_mul_f32_e32 v105, v103, v101
	v_cndmask_b32_e64 v102, v102, v110, s3
	v_cmp_eq_u32_e64 s3, 3, v73
	s_delay_alu instid0(VALU_DEP_3) | instskip(NEXT) | instid1(VALU_DEP_2)
	v_fma_f32 v107, -v100, v105, v103
	v_cndmask_b32_e64 v102, v102, v111, s3
	v_cmp_eq_u32_e64 s3, 4, v73
	s_delay_alu instid0(VALU_DEP_3) | instskip(NEXT) | instid1(VALU_DEP_2)
	v_fmac_f32_e32 v105, v107, v101
	v_cndmask_b32_e64 v102, v102, v106, s3
	s_delay_alu instid0(VALU_DEP_2) | instskip(SKIP_1) | instid1(VALU_DEP_2)
	v_fma_f32 v100, -v100, v105, v103
	v_cmp_eq_u32_e64 s3, 5, v73
	v_div_fmas_f32 v100, v100, v101, v105
	s_delay_alu instid0(VALU_DEP_2) | instskip(SKIP_2) | instid1(VALU_DEP_3)
	v_cndmask_b32_e64 v102, v102, v104, s3
	v_cmp_eq_u32_e32 vcc_lo, 6, v73
	s_mov_b32 s3, exec_lo
	v_div_fixup_f32 v99, v100, v99, 1.0
	s_delay_alu instid0(VALU_DEP_3) | instskip(SKIP_1) | instid1(VALU_DEP_2)
	v_cndmask_b32_e32 v89, v102, v89, vcc_lo
	v_cmp_eq_u32_e32 vcc_lo, 7, v73
	v_cndmask_b32_e32 v89, v89, v98, vcc_lo
	s_delay_alu instid0(VALU_DEP_1) | instskip(NEXT) | instid1(VALU_DEP_1)
	v_mul_f32_e32 v89, v89, v99
	v_mul_f32_e32 v99, v89, v91
	;; [unrolled: 1-line block ×6, first 2 shown]
	v_and_b32_e32 v100, 0x7f800000, v99
	v_mul_f32_e32 v98, v89, v94
	v_mul_f32_e32 v94, v89, v90
	;; [unrolled: 1-line block ×3, first 2 shown]
                                        ; implicit-def: $vgpr90
	s_delay_alu instid0(VALU_DEP_4)
	v_cmpx_ne_u32_e32 0x7f800000, v100
	s_xor_b32 s3, exec_lo, s3
; %bb.15:
	v_bfe_u32 v90, v99, 16, 1
	s_delay_alu instid0(VALU_DEP_1)
	v_add3_u32 v90, v99, v90, 0x7fff
                                        ; implicit-def: $vgpr99
; %bb.16:
	s_and_not1_saveexec_b32 s3, s3
; %bb.17:
	v_and_b32_e32 v90, 0xffff, v99
	v_or_b32_e32 v92, 0x10000, v99
	s_delay_alu instid0(VALU_DEP_2) | instskip(NEXT) | instid1(VALU_DEP_2)
	v_cmp_eq_u32_e32 vcc_lo, 0, v90
	v_cndmask_b32_e32 v90, v92, v99, vcc_lo
; %bb.18:
	s_or_b32 exec_lo, exec_lo, s3
	v_and_b32_e32 v92, 0x7f800000, v94
	s_delay_alu instid0(VALU_DEP_1) | instskip(SKIP_1) | instid1(SALU_CYCLE_1)
	v_cmp_ne_u32_e32 vcc_lo, 0x7f800000, v92
                                        ; implicit-def: $vgpr92
	s_and_saveexec_b32 s3, vcc_lo
	s_xor_b32 s3, exec_lo, s3
; %bb.19:
	v_bfe_u32 v92, v94, 16, 1
	s_delay_alu instid0(VALU_DEP_1)
	v_add3_u32 v92, v94, v92, 0x7fff
                                        ; implicit-def: $vgpr94
; %bb.20:
	s_and_not1_saveexec_b32 s3, s3
; %bb.21:
	v_and_b32_e32 v92, 0xffff, v94
	v_or_b32_e32 v99, 0x10000, v94
	s_delay_alu instid0(VALU_DEP_2) | instskip(NEXT) | instid1(VALU_DEP_2)
	v_cmp_eq_u32_e32 vcc_lo, 0, v92
	v_cndmask_b32_e32 v92, v99, v94, vcc_lo
; %bb.22:
	s_or_b32 exec_lo, exec_lo, s3
	v_and_b32_e32 v94, 0x7f800000, v95
	s_delay_alu instid0(VALU_DEP_1) | instskip(SKIP_1) | instid1(SALU_CYCLE_1)
	v_cmp_ne_u32_e32 vcc_lo, 0x7f800000, v94
                                        ; implicit-def: $vgpr94
	s_and_saveexec_b32 s3, vcc_lo
	s_xor_b32 s3, exec_lo, s3
; %bb.23:
	v_bfe_u32 v94, v95, 16, 1
	s_delay_alu instid0(VALU_DEP_1)
	v_add3_u32 v94, v95, v94, 0x7fff
                                        ; implicit-def: $vgpr95
; %bb.24:
	s_and_not1_saveexec_b32 s3, s3
; %bb.25:
	v_and_b32_e32 v94, 0xffff, v95
	v_or_b32_e32 v99, 0x10000, v95
	s_delay_alu instid0(VALU_DEP_2) | instskip(NEXT) | instid1(VALU_DEP_2)
	v_cmp_eq_u32_e32 vcc_lo, 0, v94
	v_cndmask_b32_e32 v94, v99, v95, vcc_lo
; %bb.26:
	s_or_b32 exec_lo, exec_lo, s3
	v_and_b32_e32 v95, 0x7f800000, v98
	s_delay_alu instid0(VALU_DEP_1) | instskip(SKIP_1) | instid1(SALU_CYCLE_1)
	v_cmp_ne_u32_e32 vcc_lo, 0x7f800000, v95
                                        ; implicit-def: $vgpr95
	s_and_saveexec_b32 s3, vcc_lo
	s_xor_b32 s3, exec_lo, s3
; %bb.27:
	v_bfe_u32 v95, v98, 16, 1
	s_delay_alu instid0(VALU_DEP_1)
	v_add3_u32 v95, v98, v95, 0x7fff
                                        ; implicit-def: $vgpr98
; %bb.28:
	s_and_not1_saveexec_b32 s3, s3
; %bb.29:
	v_and_b32_e32 v95, 0xffff, v98
	v_or_b32_e32 v99, 0x10000, v98
	s_delay_alu instid0(VALU_DEP_2) | instskip(NEXT) | instid1(VALU_DEP_2)
	v_cmp_eq_u32_e32 vcc_lo, 0, v95
	v_cndmask_b32_e32 v95, v99, v98, vcc_lo
; %bb.30:
	s_or_b32 exec_lo, exec_lo, s3
	v_and_b32_e32 v98, 0x7f800000, v97
	s_delay_alu instid0(VALU_DEP_1) | instskip(SKIP_1) | instid1(SALU_CYCLE_1)
	v_cmp_ne_u32_e32 vcc_lo, 0x7f800000, v98
                                        ; implicit-def: $vgpr98
	s_and_saveexec_b32 s3, vcc_lo
	s_xor_b32 s3, exec_lo, s3
; %bb.31:
	v_bfe_u32 v98, v97, 16, 1
	s_delay_alu instid0(VALU_DEP_1)
	v_add3_u32 v98, v97, v98, 0x7fff
                                        ; implicit-def: $vgpr97
; %bb.32:
	s_and_not1_saveexec_b32 s3, s3
; %bb.33:
	v_and_b32_e32 v98, 0xffff, v97
	v_or_b32_e32 v99, 0x10000, v97
	s_delay_alu instid0(VALU_DEP_2) | instskip(NEXT) | instid1(VALU_DEP_2)
	v_cmp_eq_u32_e32 vcc_lo, 0, v98
	v_cndmask_b32_e32 v98, v99, v97, vcc_lo
; %bb.34:
	s_or_b32 exec_lo, exec_lo, s3
	v_and_b32_e32 v97, 0x7f800000, v96
	s_delay_alu instid0(VALU_DEP_1) | instskip(SKIP_1) | instid1(SALU_CYCLE_1)
	v_cmp_ne_u32_e32 vcc_lo, 0x7f800000, v97
                                        ; implicit-def: $vgpr97
	s_and_saveexec_b32 s3, vcc_lo
	s_xor_b32 s3, exec_lo, s3
; %bb.35:
	v_bfe_u32 v97, v96, 16, 1
	s_delay_alu instid0(VALU_DEP_1)
	v_add3_u32 v97, v96, v97, 0x7fff
                                        ; implicit-def: $vgpr96
; %bb.36:
	s_and_not1_saveexec_b32 s3, s3
; %bb.37:
	v_and_b32_e32 v97, 0xffff, v96
	v_or_b32_e32 v99, 0x10000, v96
	s_delay_alu instid0(VALU_DEP_2) | instskip(NEXT) | instid1(VALU_DEP_2)
	v_cmp_eq_u32_e32 vcc_lo, 0, v97
	v_cndmask_b32_e32 v97, v99, v96, vcc_lo
; %bb.38:
	s_or_b32 exec_lo, exec_lo, s3
	v_and_b32_e32 v96, 0x7f800000, v93
	s_delay_alu instid0(VALU_DEP_1) | instskip(SKIP_1) | instid1(SALU_CYCLE_1)
	v_cmp_ne_u32_e32 vcc_lo, 0x7f800000, v96
                                        ; implicit-def: $vgpr96
	s_and_saveexec_b32 s3, vcc_lo
	s_xor_b32 s3, exec_lo, s3
; %bb.39:
	v_bfe_u32 v96, v93, 16, 1
	s_delay_alu instid0(VALU_DEP_1)
	v_add3_u32 v96, v93, v96, 0x7fff
                                        ; implicit-def: $vgpr93
; %bb.40:
	s_and_not1_saveexec_b32 s3, s3
; %bb.41:
	v_and_b32_e32 v96, 0xffff, v93
	v_or_b32_e32 v99, 0x10000, v93
	s_delay_alu instid0(VALU_DEP_2) | instskip(NEXT) | instid1(VALU_DEP_2)
	v_cmp_eq_u32_e32 vcc_lo, 0, v96
	v_cndmask_b32_e32 v96, v99, v93, vcc_lo
; %bb.42:
	s_or_b32 exec_lo, exec_lo, s3
	v_and_b32_e32 v93, 0x7f800000, v91
	s_delay_alu instid0(VALU_DEP_1) | instskip(SKIP_1) | instid1(SALU_CYCLE_1)
	v_cmp_ne_u32_e32 vcc_lo, 0x7f800000, v93
                                        ; implicit-def: $vgpr93
	s_and_saveexec_b32 s3, vcc_lo
	s_xor_b32 s3, exec_lo, s3
; %bb.43:
	v_bfe_u32 v93, v91, 16, 1
	s_delay_alu instid0(VALU_DEP_1)
	v_add3_u32 v93, v91, v93, 0x7fff
                                        ; implicit-def: $vgpr91
; %bb.44:
	s_and_not1_saveexec_b32 s3, s3
; %bb.45:
	v_and_b32_e32 v93, 0xffff, v91
	v_or_b32_e32 v99, 0x10000, v91
	s_delay_alu instid0(VALU_DEP_2) | instskip(NEXT) | instid1(VALU_DEP_2)
	v_cmp_eq_u32_e32 vcc_lo, 0, v93
	v_cndmask_b32_e32 v93, v99, v91, vcc_lo
; %bb.46:
	s_or_b32 exec_lo, exec_lo, s3
	s_load_b64 s[34:35], s[0:1], 0x94
	v_lshlrev_b32_e32 v91, 4, v83
	s_delay_alu instid0(VALU_DEP_2)
	v_perm_b32 v99, v93, v96, 0x7060302
	v_dual_mul_f32 v88, v89, v88 :: v_dual_lshlrev_b32 v93, 11, v73
	v_perm_b32 v96, v92, v90, 0x7060302
	v_mul_f32_e32 v92, v89, v76
	v_perm_b32 v98, v97, v98, 0x7060302
	v_perm_b32 v97, v95, v94, 0x7060302
	v_or3_b32 v76, v91, v93, v85
	v_mul_f32_e32 v87, v89, v87
	v_dual_mul_f32 v86, v89, v86 :: v_dual_and_b32 v93, 0x7f800000, v92
	v_mul_f32_e32 v80, v89, v80
	v_mul_f32_e32 v90, v89, v79
	;; [unrolled: 1-line block ×4, first 2 shown]
	s_mov_b32 s3, exec_lo
	ds_store_b128 v76, v[96:99]
                                        ; implicit-def: $vgpr77
	v_cmpx_ne_u32_e32 0x7f800000, v93
	s_xor_b32 s3, exec_lo, s3
; %bb.47:
	v_bfe_u32 v77, v92, 16, 1
	s_delay_alu instid0(VALU_DEP_1)
	v_add3_u32 v77, v92, v77, 0x7fff
                                        ; implicit-def: $vgpr92
; %bb.48:
	s_and_not1_saveexec_b32 s3, s3
; %bb.49:
	v_and_b32_e32 v77, 0xffff, v92
	v_or_b32_e32 v78, 0x10000, v92
	s_delay_alu instid0(VALU_DEP_2) | instskip(NEXT) | instid1(VALU_DEP_2)
	v_cmp_eq_u32_e32 vcc_lo, 0, v77
	v_cndmask_b32_e32 v77, v78, v92, vcc_lo
; %bb.50:
	s_or_b32 exec_lo, exec_lo, s3
	v_and_b32_e32 v78, 0x7f800000, v79
	s_delay_alu instid0(VALU_DEP_1) | instskip(SKIP_1) | instid1(SALU_CYCLE_1)
	v_cmp_ne_u32_e32 vcc_lo, 0x7f800000, v78
                                        ; implicit-def: $vgpr78
	s_and_saveexec_b32 s3, vcc_lo
	s_xor_b32 s3, exec_lo, s3
; %bb.51:
	v_bfe_u32 v78, v79, 16, 1
	s_delay_alu instid0(VALU_DEP_1)
	v_add3_u32 v78, v79, v78, 0x7fff
                                        ; implicit-def: $vgpr79
; %bb.52:
	s_and_not1_saveexec_b32 s3, s3
; %bb.53:
	v_and_b32_e32 v78, 0xffff, v79
	v_or_b32_e32 v89, 0x10000, v79
	s_delay_alu instid0(VALU_DEP_2) | instskip(NEXT) | instid1(VALU_DEP_2)
	v_cmp_eq_u32_e32 vcc_lo, 0, v78
	v_cndmask_b32_e32 v78, v89, v79, vcc_lo
; %bb.54:
	s_or_b32 exec_lo, exec_lo, s3
	v_and_b32_e32 v79, 0x7f800000, v91
	s_delay_alu instid0(VALU_DEP_1) | instskip(SKIP_1) | instid1(SALU_CYCLE_1)
	v_cmp_ne_u32_e32 vcc_lo, 0x7f800000, v79
                                        ; implicit-def: $vgpr79
	s_and_saveexec_b32 s3, vcc_lo
	s_xor_b32 s3, exec_lo, s3
; %bb.55:
	v_bfe_u32 v79, v91, 16, 1
	s_delay_alu instid0(VALU_DEP_1)
	v_add3_u32 v79, v91, v79, 0x7fff
                                        ; implicit-def: $vgpr91
; %bb.56:
	s_and_not1_saveexec_b32 s3, s3
; %bb.57:
	v_and_b32_e32 v79, 0xffff, v91
	v_or_b32_e32 v89, 0x10000, v91
	s_delay_alu instid0(VALU_DEP_2) | instskip(NEXT) | instid1(VALU_DEP_2)
	v_cmp_eq_u32_e32 vcc_lo, 0, v79
	v_cndmask_b32_e32 v79, v89, v91, vcc_lo
; %bb.58:
	s_or_b32 exec_lo, exec_lo, s3
	v_and_b32_e32 v89, 0x7f800000, v90
	s_delay_alu instid0(VALU_DEP_1) | instskip(SKIP_1) | instid1(SALU_CYCLE_1)
	v_cmp_ne_u32_e32 vcc_lo, 0x7f800000, v89
                                        ; implicit-def: $vgpr89
	s_and_saveexec_b32 s3, vcc_lo
	s_xor_b32 s3, exec_lo, s3
; %bb.59:
	v_bfe_u32 v89, v90, 16, 1
	s_delay_alu instid0(VALU_DEP_1)
	v_add3_u32 v89, v90, v89, 0x7fff
                                        ; implicit-def: $vgpr90
; %bb.60:
	s_and_not1_saveexec_b32 s3, s3
; %bb.61:
	v_and_b32_e32 v89, 0xffff, v90
	v_or_b32_e32 v91, 0x10000, v90
	s_delay_alu instid0(VALU_DEP_2) | instskip(NEXT) | instid1(VALU_DEP_2)
	v_cmp_eq_u32_e32 vcc_lo, 0, v89
	v_cndmask_b32_e32 v89, v91, v90, vcc_lo
; %bb.62:
	s_or_b32 exec_lo, exec_lo, s3
	v_and_b32_e32 v90, 0x7f800000, v80
	s_delay_alu instid0(VALU_DEP_1) | instskip(SKIP_1) | instid1(SALU_CYCLE_1)
	v_cmp_ne_u32_e32 vcc_lo, 0x7f800000, v90
                                        ; implicit-def: $vgpr90
	s_and_saveexec_b32 s3, vcc_lo
	s_xor_b32 s3, exec_lo, s3
; %bb.63:
	v_bfe_u32 v90, v80, 16, 1
	s_delay_alu instid0(VALU_DEP_1)
	v_add3_u32 v90, v80, v90, 0x7fff
                                        ; implicit-def: $vgpr80
; %bb.64:
	s_and_not1_saveexec_b32 s3, s3
; %bb.65:
	v_and_b32_e32 v90, 0xffff, v80
	v_or_b32_e32 v91, 0x10000, v80
	s_delay_alu instid0(VALU_DEP_2) | instskip(NEXT) | instid1(VALU_DEP_2)
	v_cmp_eq_u32_e32 vcc_lo, 0, v90
	v_cndmask_b32_e32 v90, v91, v80, vcc_lo
; %bb.66:
	s_or_b32 exec_lo, exec_lo, s3
	v_and_b32_e32 v80, 0x7f800000, v86
	s_delay_alu instid0(VALU_DEP_1) | instskip(SKIP_1) | instid1(SALU_CYCLE_1)
	v_cmp_ne_u32_e32 vcc_lo, 0x7f800000, v80
                                        ; implicit-def: $vgpr80
	s_and_saveexec_b32 s3, vcc_lo
	s_xor_b32 s3, exec_lo, s3
; %bb.67:
	v_bfe_u32 v80, v86, 16, 1
	s_delay_alu instid0(VALU_DEP_1)
	v_add3_u32 v80, v86, v80, 0x7fff
                                        ; implicit-def: $vgpr86
; %bb.68:
	s_and_not1_saveexec_b32 s3, s3
; %bb.69:
	v_and_b32_e32 v80, 0xffff, v86
	v_or_b32_e32 v91, 0x10000, v86
	s_delay_alu instid0(VALU_DEP_2) | instskip(NEXT) | instid1(VALU_DEP_2)
	v_cmp_eq_u32_e32 vcc_lo, 0, v80
	v_cndmask_b32_e32 v80, v91, v86, vcc_lo
; %bb.70:
	s_or_b32 exec_lo, exec_lo, s3
	v_and_b32_e32 v86, 0x7f800000, v87
	s_delay_alu instid0(VALU_DEP_1) | instskip(SKIP_1) | instid1(SALU_CYCLE_1)
	v_cmp_ne_u32_e32 vcc_lo, 0x7f800000, v86
                                        ; implicit-def: $vgpr86
	s_and_saveexec_b32 s3, vcc_lo
	s_xor_b32 s3, exec_lo, s3
; %bb.71:
	v_bfe_u32 v86, v87, 16, 1
	s_delay_alu instid0(VALU_DEP_1)
	v_add3_u32 v86, v87, v86, 0x7fff
                                        ; implicit-def: $vgpr87
; %bb.72:
	s_and_not1_saveexec_b32 s3, s3
; %bb.73:
	v_and_b32_e32 v86, 0xffff, v87
	v_or_b32_e32 v91, 0x10000, v87
	s_delay_alu instid0(VALU_DEP_2) | instskip(NEXT) | instid1(VALU_DEP_2)
	v_cmp_eq_u32_e32 vcc_lo, 0, v86
	v_cndmask_b32_e32 v86, v91, v87, vcc_lo
; %bb.74:
	s_or_b32 exec_lo, exec_lo, s3
	v_and_b32_e32 v87, 0x7f800000, v88
	s_delay_alu instid0(VALU_DEP_1) | instskip(SKIP_1) | instid1(SALU_CYCLE_1)
	v_cmp_ne_u32_e32 vcc_lo, 0x7f800000, v87
                                        ; implicit-def: $vgpr87
	s_and_saveexec_b32 s3, vcc_lo
	s_xor_b32 s3, exec_lo, s3
; %bb.75:
	v_bfe_u32 v87, v88, 16, 1
	s_delay_alu instid0(VALU_DEP_1)
	v_add3_u32 v87, v88, v87, 0x7fff
                                        ; implicit-def: $vgpr88
; %bb.76:
	s_and_not1_saveexec_b32 s3, s3
; %bb.77:
	v_and_b32_e32 v87, 0xffff, v88
	v_or_b32_e32 v91, 0x10000, v88
	s_delay_alu instid0(VALU_DEP_2) | instskip(NEXT) | instid1(VALU_DEP_2)
	v_cmp_eq_u32_e32 vcc_lo, 0, v87
	v_cndmask_b32_e32 v87, v91, v88, vcc_lo
; %bb.78:
	s_or_b32 exec_lo, exec_lo, s3
	s_delay_alu instid0(VALU_DEP_1)
	v_perm_b32 v94, v87, v86, 0x7060302
	v_perm_b32 v93, v80, v90, 0x7060302
	;; [unrolled: 1-line block ×4, first 2 shown]
	v_lshl_or_b32 v90, v73, 11, v85
	ds_store_b128 v76, v[91:94] offset:1024
	s_waitcnt lgkmcnt(0)
	s_barrier
	buffer_gl0_inv
	ds_load_b128 v[77:80], v90
	ds_load_b128 v[91:94], v90 offset:16
	s_waitcnt lgkmcnt(1)
	v_lshrrev_b32_e32 v73, 16, v77
	s_waitcnt lgkmcnt(0)
	v_lshrrev_b32_e32 v108, 16, v94
	v_lshlrev_b32_e32 v87, 2, v83
	v_lshrrev_b32_e32 v99, 16, v91
	v_lshrrev_b32_e32 v103, 16, v78
	;; [unrolled: 1-line block ×4, first 2 shown]
	v_or_b32_e32 v88, 1, v87
	v_cmp_eq_u32_e32 vcc_lo, 1, v87
	v_cmp_eq_u32_e64 s4, 2, v87
	v_cmp_eq_u32_e64 s7, 3, v87
	;; [unrolled: 1-line block ×4, first 2 shown]
	v_cndmask_b32_e32 v89, v77, v73, vcc_lo
	v_cndmask_b32_e32 v95, v91, v99, vcc_lo
	v_cmp_eq_u32_e64 s6, 2, v88
	v_cmp_eq_u32_e64 s8, 3, v88
	v_cndmask_b32_e64 v96, v77, v73, s3
	v_cndmask_b32_e64 v89, v89, v78, s4
	;; [unrolled: 1-line block ×3, first 2 shown]
	v_or_b32_e32 v86, 2, v87
	v_lshrrev_b32_e32 v107, 16, v93
	v_cndmask_b32_e64 v96, v96, v78, s6
	v_cndmask_b32_e64 v89, v89, v103, s7
	;; [unrolled: 1-line block ×4, first 2 shown]
	v_cmp_eq_u32_e64 s10, 5, v87
	v_cndmask_b32_e64 v96, v96, v103, s8
	v_cndmask_b32_e64 v89, v89, v79, s9
	v_cndmask_b32_e64 v95, v95, v93, s9
	v_cmp_eq_u32_e64 s11, 4, v88
	v_cmp_eq_u32_e64 s5, 1, v86
	v_cndmask_b32_e64 v97, v97, v92, s6
	v_cndmask_b32_e64 v89, v89, v104, s10
	v_cmp_eq_u32_e64 s12, 6, v87
	v_cndmask_b32_e64 v96, v96, v79, s11
	v_cndmask_b32_e64 v95, v95, v107, s10
	v_cmp_eq_u32_e64 s13, 5, v88
	v_lshrrev_b32_e32 v105, 16, v80
	v_cndmask_b32_e64 v98, v77, v73, s5
	v_cndmask_b32_e64 v97, v97, v106, s8
	;; [unrolled: 1-line block ×4, first 2 shown]
	v_cmp_eq_u32_e64 s15, 7, v87
	v_cndmask_b32_e64 v95, v95, v94, s12
	v_cmp_eq_u32_e64 s16, 6, v88
	v_cmp_eq_u32_e64 s17, 2, v86
	v_cndmask_b32_e64 v97, v97, v93, s11
	v_cndmask_b32_e64 v109, v89, v105, s15
	;; [unrolled: 1-line block ×6, first 2 shown]
	v_cmp_eq_u32_e64 s18, 7, v88
	v_cmp_eq_u32_e64 s19, 3, v86
	;; [unrolled: 1-line block ×4, first 2 shown]
	v_cndmask_b32_e64 v95, v95, v92, s17
	v_cndmask_b32_e64 v111, v96, v105, s18
	;; [unrolled: 1-line block ×4, first 2 shown]
	v_or_b32_e32 v89, 3, v87
	v_cndmask_b32_e64 v101, v95, v106, s19
	v_cmp_eq_u32_e64 s24, 6, v86
	v_cndmask_b32_e64 v112, v96, v94, s16
	v_cndmask_b32_e64 v100, v97, v79, s20
	v_cmp_eq_u32_e64 s21, 1, v89
	ds_load_b128 v[95:98], v90 offset:1024
	v_cmp_eq_u32_e64 s23, 2, v89
	v_cmp_eq_u32_e64 s25, 3, v89
	v_cndmask_b32_e64 v113, v100, v104, s22
	v_cndmask_b32_e64 v73, v77, v73, s21
	;; [unrolled: 1-line block ×4, first 2 shown]
	ds_load_b128 v[99:102], v90 offset:1040
	v_cmp_eq_u32_e64 s26, 4, v89
	v_cndmask_b32_e64 v73, v73, v78, s23
	v_cmp_eq_u32_e64 s27, 7, v86
	v_cndmask_b32_e64 v78, v91, v92, s23
	v_cndmask_b32_e64 v92, v113, v80, s24
	v_cmp_eq_u32_e64 s28, 5, v89
	v_cndmask_b32_e64 v73, v73, v103, s25
	v_cndmask_b32_e64 v77, v77, v107, s22
	v_cndmask_b32_e64 v78, v78, v106, s25
	v_cmp_eq_u32_e64 s29, 6, v89
	v_cndmask_b32_e64 v91, v112, v108, s18
	v_cndmask_b32_e64 v73, v73, v79, s26
	s_waitcnt lgkmcnt(1)
	v_lshrrev_b32_e32 v103, 16, v95
	v_cndmask_b32_e64 v78, v78, v93, s26
	v_cndmask_b32_e64 v79, v92, v105, s27
	;; [unrolled: 1-line block ×4, first 2 shown]
	v_cndmask_b32_e32 v92, v95, v103, vcc_lo
	v_cndmask_b32_e64 v78, v78, v107, s28
	s_waitcnt lgkmcnt(0)
	v_lshrrev_b32_e32 v93, 16, v99
	v_lshrrev_b32_e32 v104, 16, v96
	v_cndmask_b32_e64 v106, v95, v103, s3
	v_cndmask_b32_e64 v92, v92, v96, s4
	;; [unrolled: 1-line block ×3, first 2 shown]
	v_cndmask_b32_e32 v107, v99, v93, vcc_lo
	v_cndmask_b32_e64 v78, v78, v94, s29
	v_cmp_eq_u32_e32 vcc_lo, 7, v89
	v_cndmask_b32_e64 v80, v92, v104, s7
	v_cndmask_b32_e64 v92, v106, v96, s6
	;; [unrolled: 1-line block ×3, first 2 shown]
	v_lshrrev_b32_e32 v106, 16, v100
	v_cndmask_b32_e64 v77, v77, v108, s27
	v_cndmask_b32_e32 v78, v78, v108, vcc_lo
	v_lshrrev_b32_e32 v108, 16, v101
	v_cndmask_b32_e64 v80, v80, v97, s9
	v_cndmask_b32_e64 v94, v94, v106, s7
	v_lshrrev_b32_e32 v107, 16, v97
	v_cndmask_b32_e32 v73, v73, v105, vcc_lo
	v_perm_b32 v79, v77, v79, 0x5040100
	v_cndmask_b32_e64 v92, v92, v104, s8
	v_cndmask_b32_e64 v94, v94, v101, s9
	;; [unrolled: 1-line block ×3, first 2 shown]
	v_perm_b32 v80, v78, v73, 0x5040100
	v_perm_b32 v78, v91, v111, 0x5040100
	v_cndmask_b32_e64 v111, v99, v93, s5
	v_cndmask_b32_e64 v94, v94, v108, s10
	;; [unrolled: 1-line block ×3, first 2 shown]
	s_delay_alu instid0(VALU_DEP_2)
	v_cndmask_b32_e64 v77, v94, v102, s12
	v_cndmask_b32_e64 v94, v95, v103, s5
	v_cndmask_b32_e64 v95, v95, v103, s21
	v_cndmask_b32_e64 v103, v99, v93, s21
	v_cndmask_b32_e64 v93, v99, v93, s3
	v_cndmask_b32_e64 v99, v111, v100, s17
	v_cndmask_b32_e64 v94, v94, v96, s17
	v_cndmask_b32_e64 v95, v95, v96, s23
	v_cndmask_b32_e64 v96, v103, v100, s23
	v_cndmask_b32_e64 v93, v93, v100, s6
	v_cndmask_b32_e64 v99, v99, v106, s19
	v_cndmask_b32_e64 v94, v94, v104, s19
	v_cndmask_b32_e64 v95, v95, v104, s25
	v_cndmask_b32_e64 v96, v96, v106, s25
	v_cndmask_b32_e64 v93, v93, v106, s8
	v_cndmask_b32_e64 v73, v92, v107, s13
	v_cndmask_b32_e64 v94, v94, v97, s20
	v_cndmask_b32_e64 v95, v95, v97, s26
	v_cndmask_b32_e64 v96, v96, v101, s26
	v_cndmask_b32_e64 v97, v99, v101, s20
	v_cndmask_b32_e64 v93, v93, v101, s11
	v_cndmask_b32_e64 v92, v105, v98, s12
	v_lshrrev_b32_e32 v105, 16, v98
	v_cndmask_b32_e64 v94, v94, v107, s22
	v_cndmask_b32_e64 v95, v95, v107, s28
	;; [unrolled: 1-line block ×7, first 2 shown]
	v_lshrrev_b32_e32 v92, 16, v102
	v_cndmask_b32_e64 v94, v94, v98, s24
	v_cndmask_b32_e64 v95, v95, v98, s29
	;; [unrolled: 1-line block ×7, first 2 shown]
	v_dual_cndmask_b32 v94, v95, v105 :: v_dual_cndmask_b32 v95, v96, v92
	v_cndmask_b32_e64 v96, v97, v92, s27
	v_cndmask_b32_e64 v97, v93, v92, s18
	;; [unrolled: 1-line block ×3, first 2 shown]
	v_perm_b32 v77, v110, v109, 0x5040100
	v_perm_b32 v94, v95, v94, 0x5040100
	;; [unrolled: 1-line block ×5, first 2 shown]
	s_lshl_b32 s8, s35, 4
	s_mov_b32 s3, exec_lo
	ds_store_b128 v76, v[77:80]
	ds_store_b128 v76, v[91:94] offset:1024
	v_cmpx_gt_u32_e32 16, v0
	s_cbranch_execz .LBB553_80
; %bb.79:
	v_or_b32_e32 v73, s31, v0
	s_load_b128 s[4:7], s[0:1], 0x58
	s_delay_alu instid0(VALU_DEP_1) | instskip(NEXT) | instid1(VALU_DEP_1)
	v_mad_u64_u32 v[76:77], null, s8, s30, v[73:74]
	v_mad_u64_u32 v[77:78], null, v76, s34, s[14:15]
	s_delay_alu instid0(VALU_DEP_1) | instskip(NEXT) | instid1(VALU_DEP_1)
	v_ashrrev_i32_e32 v78, 31, v77
	v_lshlrev_b64 v[76:77], 2, v[77:78]
	s_waitcnt lgkmcnt(0)
	s_delay_alu instid0(VALU_DEP_1) | instskip(NEXT) | instid1(VALU_DEP_2)
	v_add_co_u32 v78, vcc_lo, s6, v76
	v_add_co_ci_u32_e32 v79, vcc_lo, s7, v77, vcc_lo
	v_add_co_u32 v76, vcc_lo, s4, v76
	v_add_co_ci_u32_e32 v77, vcc_lo, s5, v77, vcc_lo
	global_store_b32 v[78:79], v74, off
	global_store_b32 v[76:77], v75, off
.LBB553_80:
	s_or_b32 exec_lo, exec_lo, s3
	s_waitcnt lgkmcnt(0)
	s_waitcnt_vscnt null, 0x0
	s_barrier
	buffer_gl0_inv
	ds_load_b128 v[91:94], v85
	ds_load_b128 v[95:98], v85 offset:16
	ds_load_b128 v[103:106], v85 offset:1040
	;; [unrolled: 1-line block ×3, first 2 shown]
	v_mov_b32_e32 v73, 0
	ds_load_b128 v[111:114], v85 offset:2064
	ds_load_b128 v[107:110], v85 offset:2048
	;; [unrolled: 1-line block ×6, first 2 shown]
	v_mov_b32_e32 v74, v73
	v_mov_b32_e32 v75, v73
	;; [unrolled: 1-line block ×7, first 2 shown]
	s_waitcnt lgkmcnt(8)
	s_delay_alu instid0(VALU_DEP_1)
	v_wmma_f32_16x16x16_bf16 v[73:80], v[65:72], v[91:98], v[73:80]
	ds_load_b128 v[69:72], v85 offset:5136
	ds_load_b128 v[65:68], v85 offset:5120
	;; [unrolled: 1-line block ×4, first 2 shown]
	s_waitcnt lgkmcnt(10)
	v_wmma_f32_16x16x16_bf16 v[73:80], v[57:64], v[99:106], v[73:80]
	s_waitcnt lgkmcnt(8)
	s_delay_alu instid0(VALU_DEP_1)
	v_wmma_f32_16x16x16_bf16 v[73:80], v[57:64], v[107:114], v[73:80]
	ds_load_b128 v[61:64], v85 offset:7184
	ds_load_b128 v[57:60], v85 offset:7168
	;; [unrolled: 1-line block ×4, first 2 shown]
	s_waitcnt lgkmcnt(10)
	v_wmma_f32_16x16x16_bf16 v[73:80], v[49:56], v[115:122], v[73:80]
	s_waitcnt lgkmcnt(8)
	s_delay_alu instid0(VALU_DEP_1)
	v_wmma_f32_16x16x16_bf16 v[73:80], v[49:56], v[123:130], v[73:80]
	ds_load_b128 v[53:56], v85 offset:9232
	ds_load_b128 v[49:52], v85 offset:9216
	s_waitcnt lgkmcnt(8)
	v_wmma_f32_16x16x16_bf16 v[73:80], v[41:48], v[65:72], v[73:80]
	ds_load_b128 v[69:72], v85 offset:10256
	ds_load_b128 v[65:68], v85 offset:10240
	s_waitcnt lgkmcnt(8)
	;; [unrolled: 4-line block ×3, first 2 shown]
	v_wmma_f32_16x16x16_bf16 v[73:80], v[9:16], v[57:64], v[73:80]
	s_waitcnt lgkmcnt(6)
	s_delay_alu instid0(VALU_DEP_1)
	v_wmma_f32_16x16x16_bf16 v[73:80], v[9:16], v[99:106], v[73:80]
	ds_load_b128 v[13:16], v85 offset:12304
	ds_load_b128 v[9:12], v85 offset:12288
	s_waitcnt lgkmcnt(6)
	v_wmma_f32_16x16x16_bf16 v[73:80], v[1:8], v[49:56], v[73:80]
	ds_load_b128 v[53:56], v85 offset:13328
	ds_load_b128 v[49:52], v85 offset:13312
	s_waitcnt lgkmcnt(6)
	;; [unrolled: 4-line block ×4, first 2 shown]
	v_wmma_f32_16x16x16_bf16 v[73:80], v[33:40], v[9:16], v[73:80]
	s_waitcnt lgkmcnt(4)
	s_delay_alu instid0(VALU_DEP_1) | instskip(SKIP_1) | instid1(VALU_DEP_1)
	v_wmma_f32_16x16x16_bf16 v[73:80], v[25:32], v[49:56], v[73:80]
	s_waitcnt lgkmcnt(2)
	v_wmma_f32_16x16x16_bf16 v[73:80], v[25:32], v[1:8], v[73:80]
	s_waitcnt lgkmcnt(0)
	s_delay_alu instid0(VALU_DEP_1) | instskip(NEXT) | instid1(VALU_DEP_1)
	v_wmma_f32_16x16x16_bf16 v[73:80], v[17:24], v[41:48], v[73:80]
	v_and_b32_e32 v1, 0x7f800000, v73
	s_delay_alu instid0(VALU_DEP_1) | instskip(SKIP_1) | instid1(SALU_CYCLE_1)
	v_cmp_ne_u32_e32 vcc_lo, 0x7f800000, v1
                                        ; implicit-def: $vgpr1
	s_and_saveexec_b32 s3, vcc_lo
	s_xor_b32 s3, exec_lo, s3
; %bb.81:
	v_bfe_u32 v1, v73, 16, 1
	s_delay_alu instid0(VALU_DEP_1)
	v_add3_u32 v1, v73, v1, 0x7fff
; %bb.82:
	s_and_not1_saveexec_b32 s3, s3
; %bb.83:
	v_and_b32_e32 v1, 0xffff, v73
	v_or_b32_e32 v2, 0x10000, v73
	s_delay_alu instid0(VALU_DEP_2) | instskip(NEXT) | instid1(VALU_DEP_2)
	v_cmp_eq_u32_e32 vcc_lo, 0, v1
	v_cndmask_b32_e32 v1, v2, v73, vcc_lo
; %bb.84:
	s_or_b32 exec_lo, exec_lo, s3
	v_and_b32_e32 v2, 0x7f800000, v74
	s_delay_alu instid0(VALU_DEP_1) | instskip(SKIP_1) | instid1(SALU_CYCLE_1)
	v_cmp_ne_u32_e32 vcc_lo, 0x7f800000, v2
                                        ; implicit-def: $vgpr2
	s_and_saveexec_b32 s3, vcc_lo
	s_xor_b32 s3, exec_lo, s3
; %bb.85:
	v_bfe_u32 v2, v74, 16, 1
	s_delay_alu instid0(VALU_DEP_1)
	v_add3_u32 v2, v74, v2, 0x7fff
; %bb.86:
	s_and_not1_saveexec_b32 s3, s3
; %bb.87:
	v_and_b32_e32 v2, 0xffff, v74
	v_or_b32_e32 v3, 0x10000, v74
	s_delay_alu instid0(VALU_DEP_2) | instskip(NEXT) | instid1(VALU_DEP_2)
	v_cmp_eq_u32_e32 vcc_lo, 0, v2
	v_cndmask_b32_e32 v2, v3, v74, vcc_lo
; %bb.88:
	s_or_b32 exec_lo, exec_lo, s3
	v_and_b32_e32 v3, 0x7f800000, v75
	s_delay_alu instid0(VALU_DEP_1) | instskip(SKIP_1) | instid1(SALU_CYCLE_1)
	v_cmp_ne_u32_e32 vcc_lo, 0x7f800000, v3
                                        ; implicit-def: $vgpr3
	s_and_saveexec_b32 s3, vcc_lo
	s_xor_b32 s3, exec_lo, s3
; %bb.89:
	v_bfe_u32 v3, v75, 16, 1
	s_delay_alu instid0(VALU_DEP_1)
	v_add3_u32 v3, v75, v3, 0x7fff
; %bb.90:
	s_and_not1_saveexec_b32 s3, s3
; %bb.91:
	v_and_b32_e32 v3, 0xffff, v75
	v_or_b32_e32 v4, 0x10000, v75
	s_delay_alu instid0(VALU_DEP_2) | instskip(NEXT) | instid1(VALU_DEP_2)
	v_cmp_eq_u32_e32 vcc_lo, 0, v3
	v_cndmask_b32_e32 v3, v4, v75, vcc_lo
; %bb.92:
	s_or_b32 exec_lo, exec_lo, s3
	v_and_b32_e32 v4, 0x7f800000, v76
	s_delay_alu instid0(VALU_DEP_1) | instskip(SKIP_1) | instid1(SALU_CYCLE_1)
	v_cmp_ne_u32_e32 vcc_lo, 0x7f800000, v4
                                        ; implicit-def: $vgpr4
	s_and_saveexec_b32 s3, vcc_lo
	s_xor_b32 s3, exec_lo, s3
; %bb.93:
	v_bfe_u32 v4, v76, 16, 1
	s_delay_alu instid0(VALU_DEP_1)
	v_add3_u32 v4, v76, v4, 0x7fff
; %bb.94:
	s_and_not1_saveexec_b32 s3, s3
; %bb.95:
	v_and_b32_e32 v4, 0xffff, v76
	v_or_b32_e32 v5, 0x10000, v76
	s_delay_alu instid0(VALU_DEP_2) | instskip(NEXT) | instid1(VALU_DEP_2)
	v_cmp_eq_u32_e32 vcc_lo, 0, v4
	v_cndmask_b32_e32 v4, v5, v76, vcc_lo
; %bb.96:
	s_or_b32 exec_lo, exec_lo, s3
	v_and_b32_e32 v5, 0x7f800000, v77
	s_delay_alu instid0(VALU_DEP_1) | instskip(SKIP_1) | instid1(SALU_CYCLE_1)
	v_cmp_ne_u32_e32 vcc_lo, 0x7f800000, v5
                                        ; implicit-def: $vgpr5
	s_and_saveexec_b32 s3, vcc_lo
	s_xor_b32 s3, exec_lo, s3
; %bb.97:
	v_bfe_u32 v5, v77, 16, 1
	s_delay_alu instid0(VALU_DEP_1)
	v_add3_u32 v5, v77, v5, 0x7fff
; %bb.98:
	s_and_not1_saveexec_b32 s3, s3
; %bb.99:
	v_and_b32_e32 v5, 0xffff, v77
	v_or_b32_e32 v6, 0x10000, v77
	s_delay_alu instid0(VALU_DEP_2) | instskip(NEXT) | instid1(VALU_DEP_2)
	v_cmp_eq_u32_e32 vcc_lo, 0, v5
	v_cndmask_b32_e32 v5, v6, v77, vcc_lo
; %bb.100:
	s_or_b32 exec_lo, exec_lo, s3
	v_and_b32_e32 v6, 0x7f800000, v78
	s_delay_alu instid0(VALU_DEP_1) | instskip(SKIP_1) | instid1(SALU_CYCLE_1)
	v_cmp_ne_u32_e32 vcc_lo, 0x7f800000, v6
                                        ; implicit-def: $vgpr6
	s_and_saveexec_b32 s3, vcc_lo
	s_xor_b32 s3, exec_lo, s3
; %bb.101:
	v_bfe_u32 v6, v78, 16, 1
	s_delay_alu instid0(VALU_DEP_1)
	v_add3_u32 v6, v78, v6, 0x7fff
; %bb.102:
	s_and_not1_saveexec_b32 s3, s3
; %bb.103:
	v_and_b32_e32 v6, 0xffff, v78
	v_or_b32_e32 v7, 0x10000, v78
	s_delay_alu instid0(VALU_DEP_2) | instskip(NEXT) | instid1(VALU_DEP_2)
	v_cmp_eq_u32_e32 vcc_lo, 0, v6
	v_cndmask_b32_e32 v6, v7, v78, vcc_lo
; %bb.104:
	s_or_b32 exec_lo, exec_lo, s3
	v_and_b32_e32 v7, 0x7f800000, v79
	s_delay_alu instid0(VALU_DEP_1) | instskip(SKIP_1) | instid1(SALU_CYCLE_1)
	v_cmp_ne_u32_e32 vcc_lo, 0x7f800000, v7
                                        ; implicit-def: $vgpr7
	s_and_saveexec_b32 s3, vcc_lo
	s_xor_b32 s3, exec_lo, s3
; %bb.105:
	v_bfe_u32 v7, v79, 16, 1
	s_delay_alu instid0(VALU_DEP_1)
	v_add3_u32 v7, v79, v7, 0x7fff
; %bb.106:
	s_and_not1_saveexec_b32 s3, s3
; %bb.107:
	v_and_b32_e32 v7, 0xffff, v79
	v_or_b32_e32 v8, 0x10000, v79
	s_delay_alu instid0(VALU_DEP_2) | instskip(NEXT) | instid1(VALU_DEP_2)
	v_cmp_eq_u32_e32 vcc_lo, 0, v7
	v_cndmask_b32_e32 v7, v8, v79, vcc_lo
; %bb.108:
	s_or_b32 exec_lo, exec_lo, s3
	v_and_b32_e32 v8, 0x7f800000, v80
	s_delay_alu instid0(VALU_DEP_1) | instskip(SKIP_1) | instid1(SALU_CYCLE_1)
	v_cmp_ne_u32_e32 vcc_lo, 0x7f800000, v8
                                        ; implicit-def: $vgpr8
	s_and_saveexec_b32 s3, vcc_lo
	s_xor_b32 s3, exec_lo, s3
; %bb.109:
	v_bfe_u32 v8, v80, 16, 1
	s_delay_alu instid0(VALU_DEP_1)
	v_add3_u32 v8, v80, v8, 0x7fff
                                        ; implicit-def: $vgpr73_vgpr74_vgpr75_vgpr76_vgpr77_vgpr78_vgpr79_vgpr80
; %bb.110:
	s_and_not1_saveexec_b32 s3, s3
; %bb.111:
	v_and_b32_e32 v8, 0xffff, v80
	v_or_b32_e32 v9, 0x10000, v80
	s_delay_alu instid0(VALU_DEP_2) | instskip(NEXT) | instid1(VALU_DEP_2)
	v_cmp_eq_u32_e32 vcc_lo, 0, v8
	v_cndmask_b32_e32 v8, v9, v80, vcc_lo
; %bb.112:
	s_or_b32 exec_lo, exec_lo, s3
	s_delay_alu instid0(VALU_DEP_1)
	v_perm_b32 v7, v8, v7, 0x7060302
	v_perm_b32 v6, v6, v5, 0x7060302
	;; [unrolled: 1-line block ×4, first 2 shown]
	v_lshl_or_b32 v9, v83, 4, v90
	s_barrier
	buffer_gl0_inv
	v_cmp_eq_u32_e32 vcc_lo, 1, v87
	ds_store_b128 v9, v[4:7]
	s_waitcnt lgkmcnt(0)
	s_barrier
	buffer_gl0_inv
	ds_load_b128 v[1:4], v90
	ds_load_b128 v[5:8], v90 offset:16
	v_cmp_eq_u32_e64 s4, 2, v87
	v_cmp_eq_u32_e64 s3, 1, v88
	;; [unrolled: 1-line block ×5, first 2 shown]
	s_waitcnt lgkmcnt(1)
	v_lshrrev_b32_e32 v10, 16, v1
	s_waitcnt lgkmcnt(0)
	v_lshrrev_b32_e32 v14, 16, v5
	v_lshrrev_b32_e32 v15, 16, v6
	;; [unrolled: 1-line block ×4, first 2 shown]
	v_cndmask_b32_e64 v20, v1, v10, s3
	v_cndmask_b32_e32 v19, v5, v14, vcc_lo
	v_cndmask_b32_e64 v21, v5, v14, s3
	v_lshrrev_b32_e32 v16, 16, v7
	v_cmp_eq_u32_e64 s3, 1, v86
	v_lshrrev_b32_e32 v13, 16, v4
	v_cndmask_b32_e64 v19, v19, v6, s4
	v_lshrrev_b32_e32 v17, 16, v8
	s_delay_alu instid0(VALU_DEP_4) | instskip(SKIP_1) | instid1(VALU_DEP_4)
	v_cndmask_b32_e64 v22, v1, v10, s3
	v_cndmask_b32_e64 v23, v5, v14, s3
	;; [unrolled: 1-line block ×3, first 2 shown]
	v_cndmask_b32_e32 v18, v1, v10, vcc_lo
	v_cmp_eq_u32_e32 vcc_lo, 2, v88
	v_cmp_eq_u32_e64 s3, 2, v89
	v_cndmask_b32_e64 v22, v22, v2, s7
	v_cndmask_b32_e32 v20, v20, v2, vcc_lo
	v_cndmask_b32_e32 v21, v21, v6, vcc_lo
	v_cmp_eq_u32_e32 vcc_lo, 4, v87
	v_cndmask_b32_e32 v19, v19, v7, vcc_lo
	v_cndmask_b32_e64 v18, v18, v2, s4
	v_cmp_eq_u32_e64 s4, 3, v88
	s_delay_alu instid0(VALU_DEP_2) | instskip(NEXT) | instid1(VALU_DEP_2)
	v_cndmask_b32_e64 v18, v18, v11, s5
	v_cndmask_b32_e64 v21, v21, v15, s4
	v_cmp_eq_u32_e64 s5, 5, v87
	s_delay_alu instid0(VALU_DEP_3) | instskip(SKIP_1) | instid1(VALU_DEP_3)
	v_cndmask_b32_e32 v18, v18, v3, vcc_lo
	v_cmp_eq_u32_e32 vcc_lo, 4, v88
	v_cndmask_b32_e64 v19, v19, v16, s5
	s_delay_alu instid0(VALU_DEP_3) | instskip(SKIP_4) | instid1(VALU_DEP_3)
	v_cndmask_b32_e64 v18, v18, v12, s5
	v_cndmask_b32_e32 v21, v21, v7, vcc_lo
	v_cndmask_b32_e64 v20, v20, v11, s4
	v_cmp_eq_u32_e64 s4, 5, v88
	v_cmp_eq_u32_e64 s5, 6, v87
	v_cndmask_b32_e32 v20, v20, v3, vcc_lo
	s_delay_alu instid0(VALU_DEP_3) | instskip(SKIP_1) | instid1(VALU_DEP_4)
	v_cndmask_b32_e64 v21, v21, v16, s4
	v_cmp_eq_u32_e32 vcc_lo, 6, v88
	v_cndmask_b32_e64 v18, v18, v4, s5
	v_cndmask_b32_e64 v19, v19, v8, s5
	;; [unrolled: 1-line block ×3, first 2 shown]
	v_cmp_eq_u32_e64 s4, 1, v89
	v_cmp_eq_u32_e64 s5, 7, v87
	s_delay_alu instid0(VALU_DEP_3) | instskip(NEXT) | instid1(VALU_DEP_3)
	v_cndmask_b32_e32 v20, v20, v4, vcc_lo
	v_cndmask_b32_e64 v1, v1, v10, s4
	v_cndmask_b32_e64 v5, v5, v14, s4
	v_cmp_eq_u32_e64 s4, 3, v86
	v_cndmask_b32_e64 v14, v23, v6, s7
	v_cmp_eq_u32_e64 s7, 3, v89
	v_cndmask_b32_e64 v1, v1, v2, s3
	v_cndmask_b32_e64 v2, v5, v6, s3
	;; [unrolled: 1-line block ×3, first 2 shown]
	v_cmp_eq_u32_e64 s3, 4, v86
	v_cndmask_b32_e64 v6, v14, v15, s4
	v_cndmask_b32_e64 v1, v1, v11, s7
	v_cmp_eq_u32_e64 s4, 4, v89
	v_cndmask_b32_e64 v2, v2, v15, s7
	v_cndmask_b32_e64 v5, v10, v3, s3
	;; [unrolled: 3-line block ×3, first 2 shown]
	v_cndmask_b32_e64 v2, v2, v7, s4
	v_cmp_eq_u32_e64 s3, 5, v89
	v_cndmask_b32_e64 v5, v5, v12, s7
	v_cmp_eq_u32_e64 s4, 6, v86
	;; [unrolled: 2-line block ×3, first 2 shown]
	v_cndmask_b32_e64 v1, v1, v12, s3
	v_cndmask_b32_e64 v2, v2, v16, s3
	;; [unrolled: 1-line block ×4, first 2 shown]
	v_cmp_eq_u32_e64 s3, 7, v89
	v_cndmask_b32_e64 v1, v1, v4, s7
	v_cndmask_b32_e64 v2, v2, v8, s7
	v_cmp_eq_u32_e64 s4, 7, v86
	v_cndmask_b32_e32 v4, v21, v8, vcc_lo
	v_cndmask_b32_e64 v18, v18, v13, s5
	v_cndmask_b32_e64 v20, v20, v13, s6
	;; [unrolled: 1-line block ×8, first 2 shown]
	v_cmp_gt_u32_e32 vcc_lo, 32, v0
	v_perm_b32 v4, v2, v1, 0x5040100
	v_perm_b32 v3, v3, v5, 0x5040100
	;; [unrolled: 1-line block ×4, first 2 shown]
	s_and_b32 s2, vcc_lo, s2
	ds_store_b128 v9, v[1:4]
	s_waitcnt lgkmcnt(0)
	s_barrier
	buffer_gl0_inv
	s_and_saveexec_b32 s3, s2
	s_cbranch_execz .LBB553_2
; %bb.113:
	s_load_b64 s[0:1], s[0:1], 0x68
	v_lshlrev_b32_e32 v0, 10, v0
	s_lshl_b32 s4, s34, 6
	v_or_b32_e32 v23, s31, v83
	s_mul_i32 s2, s4, s30
	v_lshlrev_b32_e32 v1, 4, v84
	v_lshlrev_b32_e32 v2, 6, v83
	s_mul_i32 s2, s2, s8
	v_and_b32_e32 v0, 0x3800, v0
	v_mul_lo_u32 v8, v23, s4
	s_ashr_i32 s3, s2, 31
	v_or_b32_e32 v3, 2, v23
	s_lshl_b64 s[2:3], s[2:3], 1
	v_or3_b32 v27, v0, v1, v2
	v_or_b32_e32 v11, 4, v23
	v_or_b32_e32 v18, 6, v23
	v_mul_lo_u32 v10, v3, s4
	v_ashrrev_i32_e32 v9, 31, v8
	ds_load_b128 v[0:3], v27
	ds_load_b128 v[4:7], v27 offset:128
	v_mul_lo_u32 v12, v11, s4
	s_waitcnt lgkmcnt(0)
	s_add_u32 s2, s0, s2
	s_addc_u32 s3, s1, s3
	s_lshl_b32 s0, s14, 6
	v_lshlrev_b64 v[8:9], 1, v[8:9]
	s_ashr_i32 s1, s0, 31
	v_ashrrev_i32_e32 v11, 31, v10
	s_lshl_b64 s[0:1], s[0:1], 1
	v_ashrrev_i32_e32 v13, 31, v12
	s_add_u32 s0, s2, s0
	s_addc_u32 s1, s3, s1
	v_add_co_u32 v30, vcc_lo, s0, v81
	v_add_co_ci_u32_e32 v31, vcc_lo, s1, v82, vcc_lo
	v_lshlrev_b64 v[16:17], 1, v[10:11]
	s_delay_alu instid0(VALU_DEP_3) | instskip(NEXT) | instid1(VALU_DEP_3)
	v_add_co_u32 v14, vcc_lo, v30, v8
	v_add_co_ci_u32_e32 v15, vcc_lo, v31, v9, vcc_lo
	ds_load_b128 v[8:11], v27 offset:256
	v_mul_lo_u32 v18, v18, s4
	v_or_b32_e32 v19, 8, v23
	v_add_co_u32 v16, vcc_lo, v30, v16
	global_store_b128 v[14:15], v[0:3], off
	v_lshlrev_b64 v[0:1], 1, v[12:13]
	v_add_co_ci_u32_e32 v17, vcc_lo, v31, v17, vcc_lo
	v_mul_lo_u32 v12, v19, s4
	v_ashrrev_i32_e32 v19, 31, v18
	v_or_b32_e32 v14, 10, v23
	global_store_b128 v[16:17], v[4:7], off
	v_add_co_u32 v4, vcc_lo, v30, v0
	v_add_co_ci_u32_e32 v5, vcc_lo, v31, v1, vcc_lo
	ds_load_b128 v[0:3], v27 offset:384
	v_ashrrev_i32_e32 v13, 31, v12
	v_lshlrev_b64 v[6:7], 1, v[18:19]
	v_mul_lo_u32 v14, v14, s4
	s_waitcnt lgkmcnt(1)
	global_store_b128 v[4:5], v[8:11], off
	v_or_b32_e32 v8, 12, v23
	v_lshlrev_b64 v[4:5], 1, v[12:13]
	v_add_co_u32 v20, vcc_lo, v30, v6
	v_or_b32_e32 v6, 14, v23
	v_ashrrev_i32_e32 v15, 31, v14
	v_mul_lo_u32 v22, v8, s4
	v_add_co_ci_u32_e32 v21, vcc_lo, v31, v7, vcc_lo
	v_add_co_u32 v24, vcc_lo, v30, v4
	v_mul_lo_u32 v26, v6, s4
	v_add_co_ci_u32_e32 v25, vcc_lo, v31, v5, vcc_lo
	v_lshlrev_b64 v[28:29], 1, v[14:15]
	ds_load_b128 v[4:7], v27 offset:512
	ds_load_b128 v[8:11], v27 offset:640
	;; [unrolled: 1-line block ×4, first 2 shown]
	v_ashrrev_i32_e32 v23, 31, v22
	v_ashrrev_i32_e32 v27, 31, v26
	v_add_co_u32 v28, vcc_lo, v30, v28
	s_delay_alu instid0(VALU_DEP_3) | instskip(SKIP_1) | instid1(VALU_DEP_4)
	v_lshlrev_b64 v[22:23], 1, v[22:23]
	v_add_co_ci_u32_e32 v29, vcc_lo, v31, v29, vcc_lo
	v_lshlrev_b64 v[26:27], 1, v[26:27]
	s_delay_alu instid0(VALU_DEP_3) | instskip(NEXT) | instid1(VALU_DEP_4)
	v_add_co_u32 v22, vcc_lo, v30, v22
	v_add_co_ci_u32_e32 v23, vcc_lo, v31, v23, vcc_lo
	s_delay_alu instid0(VALU_DEP_3) | instskip(NEXT) | instid1(VALU_DEP_4)
	v_add_co_u32 v26, vcc_lo, v30, v26
	v_add_co_ci_u32_e32 v27, vcc_lo, v31, v27, vcc_lo
	s_waitcnt lgkmcnt(4)
	global_store_b128 v[20:21], v[0:3], off
	s_waitcnt lgkmcnt(3)
	global_store_b128 v[24:25], v[4:7], off
	;; [unrolled: 2-line block ×5, first 2 shown]
	s_nop 0
	s_sendmsg sendmsg(MSG_DEALLOC_VGPRS)
	s_endpgm
	.section	.rodata,"a",@progbits
	.p2align	6, 0x0
	.amdhsa_kernel _Z39paged_attention_ll4mi_QKV_mfma16_kernelI14__hip_bfloat16S0_LN4vllm18Fp8KVCacheDataTypeE0ES0_Li32ELi64ELi256ELb1ELi16EL8MFMAType0EEvPKT_PKT0_S9_ifPKiSB_SB_iPKfiiiPfSE_PS4_PT2_iSD_SD_
		.amdhsa_group_segment_fixed_size 17472
		.amdhsa_private_segment_fixed_size 0
		.amdhsa_kernarg_size 400
		.amdhsa_user_sgpr_count 13
		.amdhsa_user_sgpr_dispatch_ptr 0
		.amdhsa_user_sgpr_queue_ptr 0
		.amdhsa_user_sgpr_kernarg_segment_ptr 1
		.amdhsa_user_sgpr_dispatch_id 0
		.amdhsa_user_sgpr_private_segment_size 0
		.amdhsa_wavefront_size32 1
		.amdhsa_uses_dynamic_stack 0
		.amdhsa_enable_private_segment 0
		.amdhsa_system_sgpr_workgroup_id_x 1
		.amdhsa_system_sgpr_workgroup_id_y 1
		.amdhsa_system_sgpr_workgroup_id_z 1
		.amdhsa_system_sgpr_workgroup_info 0
		.amdhsa_system_vgpr_workitem_id 0
		.amdhsa_next_free_vgpr 142
		.amdhsa_next_free_sgpr 38
		.amdhsa_reserve_vcc 1
		.amdhsa_float_round_mode_32 0
		.amdhsa_float_round_mode_16_64 0
		.amdhsa_float_denorm_mode_32 3
		.amdhsa_float_denorm_mode_16_64 3
		.amdhsa_dx10_clamp 1
		.amdhsa_ieee_mode 1
		.amdhsa_fp16_overflow 0
		.amdhsa_workgroup_processor_mode 1
		.amdhsa_memory_ordered 1
		.amdhsa_forward_progress 0
		.amdhsa_shared_vgpr_count 0
		.amdhsa_exception_fp_ieee_invalid_op 0
		.amdhsa_exception_fp_denorm_src 0
		.amdhsa_exception_fp_ieee_div_zero 0
		.amdhsa_exception_fp_ieee_overflow 0
		.amdhsa_exception_fp_ieee_underflow 0
		.amdhsa_exception_fp_ieee_inexact 0
		.amdhsa_exception_int_div_zero 0
	.end_amdhsa_kernel
	.section	.text._Z39paged_attention_ll4mi_QKV_mfma16_kernelI14__hip_bfloat16S0_LN4vllm18Fp8KVCacheDataTypeE0ES0_Li32ELi64ELi256ELb1ELi16EL8MFMAType0EEvPKT_PKT0_S9_ifPKiSB_SB_iPKfiiiPfSE_PS4_PT2_iSD_SD_,"axG",@progbits,_Z39paged_attention_ll4mi_QKV_mfma16_kernelI14__hip_bfloat16S0_LN4vllm18Fp8KVCacheDataTypeE0ES0_Li32ELi64ELi256ELb1ELi16EL8MFMAType0EEvPKT_PKT0_S9_ifPKiSB_SB_iPKfiiiPfSE_PS4_PT2_iSD_SD_,comdat
.Lfunc_end553:
	.size	_Z39paged_attention_ll4mi_QKV_mfma16_kernelI14__hip_bfloat16S0_LN4vllm18Fp8KVCacheDataTypeE0ES0_Li32ELi64ELi256ELb1ELi16EL8MFMAType0EEvPKT_PKT0_S9_ifPKiSB_SB_iPKfiiiPfSE_PS4_PT2_iSD_SD_, .Lfunc_end553-_Z39paged_attention_ll4mi_QKV_mfma16_kernelI14__hip_bfloat16S0_LN4vllm18Fp8KVCacheDataTypeE0ES0_Li32ELi64ELi256ELb1ELi16EL8MFMAType0EEvPKT_PKT0_S9_ifPKiSB_SB_iPKfiiiPfSE_PS4_PT2_iSD_SD_
                                        ; -- End function
	.section	.AMDGPU.csdata,"",@progbits
; Kernel info:
; codeLenInByte = 9616
; NumSgprs: 40
; NumVgprs: 142
; ScratchSize: 0
; MemoryBound: 0
; FloatMode: 240
; IeeeMode: 1
; LDSByteSize: 17472 bytes/workgroup (compile time only)
; SGPRBlocks: 4
; VGPRBlocks: 17
; NumSGPRsForWavesPerEU: 40
; NumVGPRsForWavesPerEU: 142
; Occupancy: 10
; WaveLimiterHint : 1
; COMPUTE_PGM_RSRC2:SCRATCH_EN: 0
; COMPUTE_PGM_RSRC2:USER_SGPR: 13
; COMPUTE_PGM_RSRC2:TRAP_HANDLER: 0
; COMPUTE_PGM_RSRC2:TGID_X_EN: 1
; COMPUTE_PGM_RSRC2:TGID_Y_EN: 1
; COMPUTE_PGM_RSRC2:TGID_Z_EN: 1
; COMPUTE_PGM_RSRC2:TIDIG_COMP_CNT: 0
	.section	.text._Z39paged_attention_ll4mi_QKV_mfma16_kernelI14__hip_bfloat16S0_LN4vllm18Fp8KVCacheDataTypeE0ES0_Li32ELi64ELi256ELb1ELi1EL8MFMAType0EEvPKT_PKT0_S9_ifPKiSB_SB_iPKfiiiPfSE_PS4_PT2_iSD_SD_,"axG",@progbits,_Z39paged_attention_ll4mi_QKV_mfma16_kernelI14__hip_bfloat16S0_LN4vllm18Fp8KVCacheDataTypeE0ES0_Li32ELi64ELi256ELb1ELi1EL8MFMAType0EEvPKT_PKT0_S9_ifPKiSB_SB_iPKfiiiPfSE_PS4_PT2_iSD_SD_,comdat
	.protected	_Z39paged_attention_ll4mi_QKV_mfma16_kernelI14__hip_bfloat16S0_LN4vllm18Fp8KVCacheDataTypeE0ES0_Li32ELi64ELi256ELb1ELi1EL8MFMAType0EEvPKT_PKT0_S9_ifPKiSB_SB_iPKfiiiPfSE_PS4_PT2_iSD_SD_ ; -- Begin function _Z39paged_attention_ll4mi_QKV_mfma16_kernelI14__hip_bfloat16S0_LN4vllm18Fp8KVCacheDataTypeE0ES0_Li32ELi64ELi256ELb1ELi1EL8MFMAType0EEvPKT_PKT0_S9_ifPKiSB_SB_iPKfiiiPfSE_PS4_PT2_iSD_SD_
	.globl	_Z39paged_attention_ll4mi_QKV_mfma16_kernelI14__hip_bfloat16S0_LN4vllm18Fp8KVCacheDataTypeE0ES0_Li32ELi64ELi256ELb1ELi1EL8MFMAType0EEvPKT_PKT0_S9_ifPKiSB_SB_iPKfiiiPfSE_PS4_PT2_iSD_SD_
	.p2align	8
	.type	_Z39paged_attention_ll4mi_QKV_mfma16_kernelI14__hip_bfloat16S0_LN4vllm18Fp8KVCacheDataTypeE0ES0_Li32ELi64ELi256ELb1ELi1EL8MFMAType0EEvPKT_PKT0_S9_ifPKiSB_SB_iPKfiiiPfSE_PS4_PT2_iSD_SD_,@function
_Z39paged_attention_ll4mi_QKV_mfma16_kernelI14__hip_bfloat16S0_LN4vllm18Fp8KVCacheDataTypeE0ES0_Li32ELi64ELi256ELb1ELi1EL8MFMAType0EEvPKT_PKT0_S9_ifPKiSB_SB_iPKfiiiPfSE_PS4_PT2_iSD_SD_: ; @_Z39paged_attention_ll4mi_QKV_mfma16_kernelI14__hip_bfloat16S0_LN4vllm18Fp8KVCacheDataTypeE0ES0_Li32ELi64ELi256ELb1ELi1EL8MFMAType0EEvPKT_PKT0_S9_ifPKiSB_SB_iPKfiiiPfSE_PS4_PT2_iSD_SD_
; %bb.0:
	s_load_b64 s[4:5], s[0:1], 0x30
	s_mov_b32 s34, s13
	s_waitcnt lgkmcnt(0)
	s_cmp_lg_u64 s[4:5], 0
	s_cselect_b32 s6, -1, 0
	s_ashr_i32 s35, s13, 31
	s_cmp_eq_u64 s[4:5], 0
	s_cbranch_scc1 .LBB554_3
; %bb.1:
	s_lshl_b64 s[2:3], s[34:35], 2
	s_delay_alu instid0(SALU_CYCLE_1) | instskip(SKIP_4) | instid1(SALU_CYCLE_1)
	s_add_u32 s2, s4, s2
	s_addc_u32 s3, s5, s3
	s_load_b64 s[2:3], s[2:3], 0x0
	s_waitcnt lgkmcnt(0)
	s_sub_i32 s2, s3, s2
	s_cmp_eq_u32 s2, 1
	s_cselect_b32 s2, -1, 0
	s_delay_alu instid0(SALU_CYCLE_1)
	s_and_not1_b32 vcc_lo, exec_lo, s2
	s_cbranch_vccz .LBB554_4
.LBB554_2:
	s_endpgm
.LBB554_3:
.LBB554_4:
	s_load_b64 s[2:3], s[0:1], 0x28
	s_lshl_b64 s[8:9], s[34:35], 2
	s_waitcnt lgkmcnt(0)
	s_add_u32 s2, s2, s8
	s_addc_u32 s3, s3, s9
	s_lshl_b32 s12, s14, 8
	s_load_b32 s33, s[2:3], 0x0
	s_waitcnt lgkmcnt(0)
	s_cmp_ge_i32 s12, s33
	s_cbranch_scc1 .LBB554_2
; %bb.5:
	s_clause 0x1
	s_load_b128 s[56:59], s[0:1], 0x8
	s_load_b64 s[2:3], s[0:1], 0x20
	s_and_not1_b32 vcc_lo, exec_lo, s6
	s_mov_b64 s[6:7], s[34:35]
	s_cbranch_vccnz .LBB554_7
; %bb.6:
	s_add_u32 s4, s4, s8
	s_addc_u32 s5, s5, s9
	s_load_b32 s6, s[4:5], 0x0
.LBB554_7:
	s_load_b128 s[52:55], s[0:1], 0x48
	v_and_b32_e32 v89, 15, v0
	s_mov_b32 s13, exec_lo
                                        ; implicit-def: $sgpr36
                                        ; implicit-def: $sgpr16
                                        ; implicit-def: $sgpr24
                                        ; implicit-def: $sgpr4
	s_delay_alu instid0(VALU_DEP_1)
	v_cmpx_eq_u32_e32 0, v89
	s_cbranch_execz .LBB554_9
; %bb.8:
	s_load_b64 s[4:5], s[0:1], 0x0
	s_waitcnt lgkmcnt(0)
	s_mul_hi_i32 s7, s6, s52
	s_mul_i32 s6, s6, s52
	s_delay_alu instid0(SALU_CYCLE_1) | instskip(NEXT) | instid1(SALU_CYCLE_1)
	s_lshl_b64 s[6:7], s[6:7], 1
	s_add_u32 s6, s4, s6
	s_addc_u32 s7, s5, s7
	s_lshl_b32 s4, s15, 6
	s_delay_alu instid0(SALU_CYCLE_1) | instskip(NEXT) | instid1(SALU_CYCLE_1)
	s_ashr_i32 s5, s4, 31
	s_lshl_b64 s[4:5], s[4:5], 1
	s_delay_alu instid0(SALU_CYCLE_1)
	s_add_u32 s4, s6, s4
	s_addc_u32 s5, s7, s5
	s_clause 0x3
	s_load_b256 s[36:43], s[4:5], 0x0
	s_load_b256 s[16:23], s[4:5], 0x20
	;; [unrolled: 1-line block ×4, first 2 shown]
.LBB554_9:
	s_or_b32 exec_lo, exec_lo, s13
	v_and_b32_e32 v1, 0xef, v0
	s_add_i32 s13, s33, 31
	s_load_b32 s44, s[0:1], 0x38
	s_ashr_i32 s35, s13, 31
	s_waitcnt lgkmcnt(0)
	v_dual_mov_b32 v107, s23 :: v_dual_mov_b32 v102, s18
	v_add_nc_u32_e32 v1, s12, v1
	s_lshr_b32 s35, s35, 27
	v_dual_mov_b32 v105, s21 :: v_dual_mov_b32 v100, s16
	s_add_i32 s13, s13, s35
	s_delay_alu instid0(VALU_DEP_2)
	v_ashrrev_i32_e32 v2, 31, v1
	v_or_b32_e32 v3, 16, v1
	s_ashr_i32 s13, s13, 5
	v_cmp_gt_i32_e32 vcc_lo, s33, v1
	s_add_i32 s13, s13, -1
	v_lshrrev_b32_e32 v2, 27, v2
	s_load_b32 s35, s[0:1], 0x1c
	v_mov_b32_e32 v103, s19
	v_mov_b32_e32 v101, s17
	v_dual_mov_b32 v115, s31 :: v_dual_mov_b32 v110, s26
	v_add_nc_u32_e32 v4, v1, v2
	s_mul_i32 s44, s34, s44
	v_mov_b32_e32 v114, s30
	s_ashr_i32 s45, s44, 31
	v_dual_mov_b32 v113, s29 :: v_dual_mov_b32 v108, s24
	v_ashrrev_i32_e32 v4, 5, v4
	v_add_nc_u32_e32 v2, v3, v2
	s_lshl_b64 s[44:45], s[44:45], 2
	v_mov_b32_e32 v112, s28
	s_add_u32 s52, s2, s44
	v_cndmask_b32_e32 v1, s13, v4, vcc_lo
	v_ashrrev_i32_e32 v2, 5, v2
	v_cmp_gt_i32_e32 vcc_lo, s33, v3
	v_lshlrev_b32_e32 v90, 6, v89
	s_addc_u32 s55, s3, s45
	s_mul_i32 s2, s15, s54
	v_lshrrev_b32_e32 v91, 5, v0
	v_cndmask_b32_e32 v3, s13, v2, vcc_lo
	v_ashrrev_i32_e32 v2, 31, v1
	s_ashr_i32 s3, s2, 31
	v_mov_b32_e32 v106, s22
	s_lshl_b64 s[2:3], s[2:3], 1
	v_ashrrev_i32_e32 v4, 31, v3
	v_lshlrev_b64 v[1:2], 2, v[1:2]
	s_add_u32 s63, s56, s2
	s_addc_u32 s68, s57, s3
	s_lshl_b32 s44, s14, 3
	v_lshlrev_b64 v[3:4], 2, v[3:4]
	s_ashr_i32 s45, s44, 31
	v_add_co_u32 v1, vcc_lo, s52, v1
	v_add_co_ci_u32_e32 v2, vcc_lo, s55, v2, vcc_lo
	s_delay_alu instid0(VALU_DEP_3) | instskip(NEXT) | instid1(VALU_DEP_4)
	v_add_co_u32 v3, vcc_lo, s52, v3
	v_add_co_ci_u32_e32 v4, vcc_lo, s55, v4, vcc_lo
	s_clause 0x1
	global_load_b32 v5, v[1:2], off
	global_load_b32 v6, v[3:4], off
	s_lshl_b64 s[44:45], s[44:45], 2
	v_mov_b32_e32 v104, s20
	s_add_u32 s44, s52, s44
	s_addc_u32 s45, s55, s45
	s_or_b32 s46, s12, 32
	v_lshl_or_b32 v49, v91, 10, v90
	s_ashr_i32 s47, s46, 5
	s_cmp_lt_i32 s46, s33
	s_cselect_b32 s46, s47, s13
	s_delay_alu instid0(SALU_CYCLE_1) | instskip(NEXT) | instid1(SALU_CYCLE_1)
	s_ashr_i32 s47, s46, 31
	s_lshl_b64 s[46:47], s[46:47], 2
	s_delay_alu instid0(SALU_CYCLE_1) | instskip(SKIP_2) | instid1(SALU_CYCLE_1)
	s_add_u32 s46, s52, s46
	s_addc_u32 s47, s55, s47
	s_or_b32 s48, s12, 64
	s_ashr_i32 s49, s48, 5
	s_cmp_lt_i32 s48, s33
	s_cselect_b32 s48, s49, s13
	s_delay_alu instid0(SALU_CYCLE_1) | instskip(NEXT) | instid1(SALU_CYCLE_1)
	s_ashr_i32 s49, s48, 31
	s_lshl_b64 s[48:49], s[48:49], 2
	s_delay_alu instid0(SALU_CYCLE_1) | instskip(SKIP_2) | instid1(SALU_CYCLE_1)
	s_add_u32 s48, s52, s48
	s_addc_u32 s49, s55, s49
	s_or_b32 s50, s12, 0x60
	;; [unrolled: 10-line block ×4, first 2 shown]
	s_ashr_i32 s56, s54, 5
	s_cmp_lt_i32 s54, s33
	s_cselect_b32 s56, s56, s13
	s_delay_alu instid0(SALU_CYCLE_1) | instskip(NEXT) | instid1(SALU_CYCLE_1)
	s_ashr_i32 s57, s56, 31
	s_lshl_b64 s[56:57], s[56:57], 2
	s_delay_alu instid0(SALU_CYCLE_1)
	s_add_u32 s66, s52, s56
	s_addc_u32 s67, s55, s57
	s_clause 0x5
	s_load_b32 s62, s[44:45], 0x0
	s_load_b32 s61, s[46:47], 0x0
	s_load_b32 s60, s[48:49], 0x0
	s_load_b32 s57, s[50:51], 0x0
	s_load_b32 s56, s[64:65], 0x0
	s_load_b32 s54, s[66:67], 0x0
	s_or_b32 s16, s12, 0xc0
	s_mov_b32 s44, 0
	s_ashr_i32 s17, s16, 5
	s_mov_b32 s45, s44
	s_mov_b32 s46, s44
	;; [unrolled: 1-line block ×7, first 2 shown]
	v_mov_b32_e32 v111, s27
	v_mov_b32_e32 v109, s25
	v_dual_mov_b32 v123, s51 :: v_dual_mov_b32 v118, s46
	s_waitcnt lgkmcnt(0)
	s_mul_hi_i32 s19, s62, s53
	s_mul_i32 s18, s62, s53
	s_mul_hi_i32 s21, s61, s53
	s_mul_hi_i32 s25, s60, s53
	s_mul_i32 s24, s60, s53
	s_mul_hi_i32 s27, s57, s53
	s_mul_i32 s26, s57, s53
	v_dual_mov_b32 v122, s50 :: v_dual_mov_b32 v121, s49
	v_mov_b32_e32 v116, s44
	v_dual_mov_b32 v120, s48 :: v_dual_mov_b32 v119, s47
	v_mov_b32_e32 v117, s45
	s_mul_hi_i32 s31, s54, s53
	s_mul_i32 s30, s54, s53
	s_cmp_lt_i32 s16, s33
	s_cselect_b32 s16, s17, s13
	s_delay_alu instid0(SALU_CYCLE_1) | instskip(NEXT) | instid1(SALU_CYCLE_1)
	s_ashr_i32 s17, s16, 31
	s_lshl_b64 s[16:17], s[16:17], 2
	s_delay_alu instid0(SALU_CYCLE_1) | instskip(SKIP_2) | instid1(SALU_CYCLE_1)
	s_add_u32 s16, s52, s16
	s_addc_u32 s17, s55, s17
	s_or_b32 s20, s12, 0xe0
	s_ashr_i32 s22, s20, 5
	s_cmp_lt_i32 s20, s33
	s_mul_i32 s20, s61, s53
	s_cselect_b32 s22, s22, s13
	s_delay_alu instid0(SALU_CYCLE_1) | instskip(NEXT) | instid1(SALU_CYCLE_1)
	s_ashr_i32 s23, s22, 31
	s_lshl_b64 s[22:23], s[22:23], 2
	s_delay_alu instid0(SALU_CYCLE_1) | instskip(SKIP_2) | instid1(SALU_CYCLE_1)
	s_add_u32 s22, s52, s22
	s_addc_u32 s23, s55, s23
	s_add_i32 s28, s12, 0x100
	s_ashr_i32 s29, s28, 5
	s_cmp_lt_i32 s28, s33
	s_cselect_b32 s28, s29, s13
	s_delay_alu instid0(SALU_CYCLE_1) | instskip(NEXT) | instid1(SALU_CYCLE_1)
	s_ashr_i32 s29, s28, 31
	s_lshl_b64 s[28:29], s[28:29], 2
	s_delay_alu instid0(SALU_CYCLE_1) | instskip(SKIP_2) | instid1(SALU_CYCLE_1)
	s_add_u32 s28, s52, s28
	s_addc_u32 s29, s55, s29
	s_add_u32 s13, s58, s2
	v_add_co_u32 v136, s13, s13, v49
	s_waitcnt vmcnt(1)
	v_mad_i64_i32 v[1:2], null, v5, s53, 0
	s_waitcnt vmcnt(0)
	v_mad_i64_i32 v[3:4], null, v6, s53, 0
	v_lshlrev_b32_e32 v5, 4, v89
	s_delay_alu instid0(VALU_DEP_3) | instskip(NEXT) | instid1(VALU_DEP_3)
	v_lshlrev_b64 v[1:2], 1, v[1:2]
	v_lshlrev_b64 v[3:4], 1, v[3:4]
	s_delay_alu instid0(VALU_DEP_2) | instskip(NEXT) | instid1(VALU_DEP_3)
	v_add_co_u32 v1, vcc_lo, s63, v1
	v_add_co_ci_u32_e32 v2, vcc_lo, s68, v2, vcc_lo
	s_delay_alu instid0(VALU_DEP_3) | instskip(NEXT) | instid1(VALU_DEP_4)
	v_add_co_u32 v3, vcc_lo, s63, v3
	v_add_co_ci_u32_e32 v4, vcc_lo, s68, v4, vcc_lo
	s_delay_alu instid0(VALU_DEP_4) | instskip(NEXT) | instid1(VALU_DEP_4)
	v_add_co_u32 v41, vcc_lo, v1, v5
	v_add_co_ci_u32_e32 v42, vcc_lo, 0, v2, vcc_lo
	s_delay_alu instid0(VALU_DEP_4) | instskip(NEXT) | instid1(VALU_DEP_4)
	v_add_co_u32 v43, vcc_lo, v3, v5
	v_add_co_ci_u32_e32 v44, vcc_lo, 0, v4, vcc_lo
	s_clause 0xf
	global_load_b128 v[1:4], v[41:42], off
	global_load_b128 v[5:8], v[41:42], off offset:512
	global_load_b128 v[9:12], v[43:44], off offset:256
	;; [unrolled: 1-line block ×15, first 2 shown]
	v_mov_b32_e32 v48, s43
	v_dual_mov_b32 v44, s39 :: v_dual_mov_b32 v43, s38
	v_mov_b32_e32 v41, s36
	v_dual_mov_b32 v47, s42 :: v_dual_mov_b32 v46, s41
	v_dual_mov_b32 v45, s40 :: v_dual_mov_b32 v42, s37
	s_clause 0x2
	s_load_b32 s36, s[16:17], 0x0
	s_load_b32 s37, s[22:23], 0x0
	;; [unrolled: 1-line block ×3, first 2 shown]
	s_addc_u32 s29, s59, s3
	s_lshl_b64 s[2:3], s[18:19], 1
	s_lshl_b64 s[18:19], s[20:21], 1
	;; [unrolled: 1-line block ×4, first 2 shown]
	s_mul_hi_i32 s17, s56, s53
	s_mul_i32 s16, s56, s53
	s_lshl_b64 s[24:25], s[30:31], 1
	s_lshl_b64 s[16:17], s[16:17], 1
	v_add_co_ci_u32_e64 v137, null, s29, 0, s13
	v_add_co_u32 v49, vcc_lo, v136, s2
	s_delay_alu instid0(VALU_DEP_2)
	v_add_co_ci_u32_e32 v50, vcc_lo, s3, v137, vcc_lo
	v_add_co_u32 v51, vcc_lo, v136, s18
	s_waitcnt lgkmcnt(0)
	s_mul_hi_i32 s27, s36, s53
	s_mul_i32 s26, s36, s53
	v_add_co_ci_u32_e32 v52, vcc_lo, s19, v137, vcc_lo
	s_lshl_b64 s[26:27], s[26:27], 1
	v_add_co_u32 v53, vcc_lo, v136, s20
	v_add_co_ci_u32_e32 v54, vcc_lo, s21, v137, vcc_lo
	v_add_co_u32 v132, vcc_lo, v136, s22
	s_clause 0x5
	global_load_b128 v[65:68], v[49:50], off
	global_load_b128 v[69:72], v[49:50], off offset:16
	global_load_b128 v[57:60], v[51:52], off
	global_load_b128 v[61:64], v[51:52], off offset:16
	;; [unrolled: 2-line block ×3, first 2 shown]
	v_add_co_ci_u32_e32 v133, vcc_lo, s23, v137, vcc_lo
	v_add_co_u32 v134, vcc_lo, v136, s16
	s_mul_hi_i32 s3, s37, s53
	s_mul_i32 s2, s37, s53
	s_mul_i32 s16, s28, s53
	v_add_co_ci_u32_e32 v135, vcc_lo, s17, v137, vcc_lo
	s_lshl_b64 s[2:3], s[2:3], 1
	s_mul_hi_i32 s17, s28, s53
	s_waitcnt vmcnt(20)
	v_wmma_f32_16x16x16_bf16 v[124:131], v[1:8], v[41:48], v[116:123]
	v_add_co_u32 v1, vcc_lo, v136, s24
	s_waitcnt vmcnt(18)
	v_wmma_f32_16x16x16_bf16 v[116:123], v[9:16], v[41:48], v[116:123]
	v_add_co_ci_u32_e32 v2, vcc_lo, s25, v137, vcc_lo
	v_add_co_u32 v5, vcc_lo, v136, s26
	v_add_co_ci_u32_e32 v6, vcc_lo, s27, v137, vcc_lo
	s_waitcnt vmcnt(14)
	v_wmma_f32_16x16x16_bf16 v[116:123], v[25:32], v[100:107], v[116:123]
	v_add_co_u32 v25, vcc_lo, v136, s2
	v_add_co_ci_u32_e32 v26, vcc_lo, s3, v137, vcc_lo
	s_lshl_b64 s[2:3], s[16:17], 1
	v_wmma_f32_16x16x16_bf16 v[124:131], v[17:24], v[100:107], v[124:131]
	v_add_co_u32 v29, vcc_lo, v136, s2
	v_add_co_ci_u32_e32 v30, vcc_lo, s3, v137, vcc_lo
	s_clause 0x5
	global_load_b128 v[41:44], v[132:133], off
	global_load_b128 v[45:48], v[132:133], off offset:16
	global_load_b128 v[17:20], v[134:135], off
	global_load_b128 v[21:24], v[134:135], off offset:16
	;; [unrolled: 2-line block ×3, first 2 shown]
	s_waitcnt vmcnt(18)
	v_wmma_f32_16x16x16_bf16 v[124:131], v[33:40], v[108:115], v[124:131]
	s_clause 0x5
	global_load_b128 v[1:4], v[5:6], off
	global_load_b128 v[5:8], v[5:6], off offset:16
	global_load_b128 v[33:36], v[25:26], off
	global_load_b128 v[37:40], v[25:26], off offset:16
	global_load_b128 v[25:28], v[29:30], off
	global_load_b128 v[29:32], v[29:30], off offset:16
	s_waitcnt vmcnt(22)
	v_wmma_f32_16x16x16_bf16 v[116:123], v[92:99], v[108:115], v[116:123]
	v_dual_mov_b32 v99, s11 :: v_dual_mov_b32 v94, s6
	v_dual_mov_b32 v98, s10 :: v_dual_mov_b32 v97, s9
	v_mov_b32_e32 v92, s4
	v_dual_mov_b32 v96, s8 :: v_dual_mov_b32 v95, s7
	v_mov_b32_e32 v93, s5
	s_waitcnt vmcnt(0)
	s_barrier
	buffer_gl0_inv
	v_wmma_f32_16x16x16_bf16 v[124:131], v[81:88], v[92:99], v[124:131]
	v_and_b32_e32 v82, 0xe0, v0
	v_mbcnt_lo_u32_b32 v83, -1, 0
	v_bfe_u32 v81, v0, 4, 1
	s_delay_alu instid0(VALU_DEP_3) | instskip(NEXT) | instid1(VALU_DEP_3)
	v_add_nc_u32_e32 v82, s12, v82
	v_xor_b32_e32 v84, 16, v83
	v_wmma_f32_16x16x16_bf16 v[116:123], v[73:80], v[92:99], v[116:123]
	v_dual_mul_f32 v97, s35, v124 :: v_dual_mul_f32 v98, s35, v127
	s_delay_alu instid0(VALU_DEP_4) | instskip(NEXT) | instid1(VALU_DEP_4)
	v_or_b32_e32 v82, v82, v81
	v_cmp_gt_i32_e32 vcc_lo, 32, v84
	v_dual_mul_f32 v99, s35, v125 :: v_dual_mul_f32 v94, s35, v131
	v_dual_mul_f32 v95, s35, v130 :: v_dual_mul_f32 v96, s35, v129
	v_cndmask_b32_e32 v83, v83, v84, vcc_lo
	v_or_b32_e32 v84, 2, v82
	v_or_b32_e32 v85, 4, v82
	v_or_b32_e32 v86, 6, v82
	v_cmp_gt_i32_e32 vcc_lo, s33, v82
	v_or_b32_e32 v87, 8, v82
	v_cmp_gt_i32_e64 s2, s33, v84
	v_or_b32_e32 v88, 10, v82
	v_or_b32_e32 v73, 12, v82
	;; [unrolled: 1-line block ×11, first 2 shown]
	v_mul_f32_e32 v82, s35, v126
	v_cndmask_b32_e32 v97, 0xff7fffff, v97, vcc_lo
	v_cndmask_b32_e64 v84, 0xff7fffff, v99, s2
	v_cmp_gt_i32_e64 s3, s33, v85
	v_cmp_gt_i32_e64 s4, s33, v86
	v_mul_f32_e32 v86, s35, v128
	v_cmp_gt_i32_e64 s5, s33, v88
	v_max3_f32 v84, v97, 0xff7fffff, v84
	v_mul_f32_e32 v97, s35, v123
	v_cndmask_b32_e64 v82, 0xff7fffff, v82, s3
	v_cndmask_b32_e64 v85, 0xff7fffff, v98, s4
	v_cmp_gt_i32_e64 s6, s33, v87
	v_cndmask_b32_e64 v96, 0xff7fffff, v96, s5
	v_cmp_gt_i32_e64 s7, s33, v73
	v_cmp_gt_i32_e64 s8, s33, v74
	v_max3_f32 v82, v84, v82, v85
	v_cndmask_b32_e64 v86, 0xff7fffff, v86, s6
	v_dual_mul_f32 v88, s35, v118 :: v_dual_mul_f32 v87, s35, v117
	v_mul_f32_e32 v73, s35, v116
	v_cndmask_b32_e64 v95, 0xff7fffff, v95, s7
	v_cndmask_b32_e64 v74, 0xff7fffff, v94, s8
	v_max3_f32 v82, v82, v86, v96
	v_cmp_gt_i32_e64 s9, s33, v75
	v_cmp_gt_i32_e64 s10, s33, v76
	v_dual_mul_f32 v84, s35, v120 :: v_dual_mul_f32 v85, s35, v119
	s_delay_alu instid0(VALU_DEP_4) | instskip(NEXT) | instid1(VALU_DEP_4)
	v_max3_f32 v74, v82, v95, v74
	v_cndmask_b32_e64 v73, 0xff7fffff, v73, s9
	s_delay_alu instid0(VALU_DEP_4) | instskip(SKIP_3) | instid1(VALU_DEP_4)
	v_cndmask_b32_e64 v75, 0xff7fffff, v87, s10
	v_cmp_gt_i32_e64 s11, s33, v77
	v_cmp_gt_i32_e64 s12, s33, v78
	v_dual_mul_f32 v98, s35, v122 :: v_dual_mul_f32 v99, s35, v121
	v_max3_f32 v73, v74, v73, v75
	s_delay_alu instid0(VALU_DEP_4) | instskip(NEXT) | instid1(VALU_DEP_4)
	v_cndmask_b32_e64 v76, 0xff7fffff, v88, s11
	v_cndmask_b32_e64 v77, 0xff7fffff, v85, s12
	v_cmp_gt_i32_e64 s13, s33, v79
	v_cmp_gt_i32_e64 s16, s33, v80
	;; [unrolled: 1-line block ×4, first 2 shown]
	v_max3_f32 v73, v73, v76, v77
	v_cndmask_b32_e64 v74, 0xff7fffff, v84, s13
	v_cndmask_b32_e64 v75, 0xff7fffff, v99, s16
	;; [unrolled: 1-line block ×4, first 2 shown]
	v_lshlrev_b32_e32 v84, 2, v83
	s_delay_alu instid0(VALU_DEP_4) | instskip(NEXT) | instid1(VALU_DEP_1)
	v_max3_f32 v73, v73, v74, v75
	v_max3_f32 v73, v73, v76, v77
	ds_bpermute_b32 v74, v84, v73
	s_waitcnt lgkmcnt(0)
	v_max_f32_e32 v74, v74, v74
	s_delay_alu instid0(VALU_DEP_1) | instskip(NEXT) | instid1(VALU_DEP_1)
	v_max_f32_e32 v73, v73, v74
	v_fma_f32 v76, s35, v126, -v73
	s_delay_alu instid0(VALU_DEP_1)
	v_mul_f32_e32 v76, 0x3fb8aa3b, v76
	v_fma_f32 v74, s35, v124, -v73
	v_fma_f32 v75, s35, v125, -v73
	;; [unrolled: 1-line block ×4, first 2 shown]
	v_exp_f32_e32 v76, v76
	s_delay_alu instid0(VALU_DEP_3) | instskip(SKIP_2) | instid1(VALU_DEP_3)
	v_dual_mul_f32 v74, 0x3fb8aa3b, v74 :: v_dual_mul_f32 v75, 0x3fb8aa3b, v75
	v_fma_f32 v79, s35, v130, -v73
	v_fma_f32 v96, s35, v123, -v73
	v_exp_f32_e32 v74, v74
	s_delay_alu instid0(VALU_DEP_3) | instskip(SKIP_2) | instid1(TRANS32_DEP_3)
	v_exp_f32_e32 v75, v75
	v_mul_f32_e32 v77, 0x3fb8aa3b, v77
	v_mul_f32_e32 v79, 0x3fb8aa3b, v79
	v_cndmask_b32_e64 v87, 0, v76, s3
	v_fma_f32 v76, s35, v131, -v73
	s_mov_b32 s3, exec_lo
	s_delay_alu instid0(VALU_DEP_3) | instskip(NEXT) | instid1(TRANS32_DEP_3)
	v_exp_f32_e32 v79, v79
	v_cndmask_b32_e32 v86, 0, v74, vcc_lo
	v_fma_f32 v74, s35, v129, -v73
	s_delay_alu instid0(TRANS32_DEP_2)
	v_cndmask_b32_e64 v85, 0, v75, s2
	v_mul_f32_e32 v76, 0x3fb8aa3b, v76
	v_exp_f32_e32 v77, v77
	v_add_f32_e32 v75, 0, v86
	v_mul_f32_e32 v78, 0x3fb8aa3b, v78
	v_mul_f32_e32 v74, 0x3fb8aa3b, v74
	v_exp_f32_e32 v76, v76
	v_cndmask_b32_e64 v88, 0, v79, s7
	v_add_f32_e32 v75, v75, v85
	v_exp_f32_e32 v78, v78
	v_exp_f32_e32 v74, v74
	v_fma_f32 v79, s35, v119, -v73
	v_cndmask_b32_e64 v92, 0, v77, s4
	v_fma_f32 v77, s35, v116, -v73
	s_delay_alu instid0(TRANS32_DEP_3) | instskip(SKIP_2) | instid1(TRANS32_DEP_2)
	v_cndmask_b32_e64 v95, 0, v76, s8
	v_fma_f32 v76, s35, v120, -v73
	v_mul_f32_e32 v79, 0x3fb8aa3b, v79
	v_cndmask_b32_e64 v93, 0, v78, s6
	v_fma_f32 v78, s35, v117, -v73
	v_add_f32_e32 v75, v75, v87
	v_cndmask_b32_e64 v94, 0, v74, s5
	v_mul_f32_e32 v82, 0x3fb8aa3b, v76
	v_exp_f32_e32 v79, v79
	s_delay_alu instid0(VALU_DEP_3) | instskip(NEXT) | instid1(VALU_DEP_2)
	v_dual_mul_f32 v78, 0x3fb8aa3b, v78 :: v_dual_add_f32 v75, v75, v92
	v_exp_f32_e32 v82, v82
	s_delay_alu instid0(VALU_DEP_1) | instskip(NEXT) | instid1(VALU_DEP_1)
	v_exp_f32_e32 v78, v78
	v_add_f32_e32 v74, v75, v93
	v_fma_f32 v75, s35, v118, -v73
	s_delay_alu instid0(VALU_DEP_1)
	v_dual_mul_f32 v75, 0x3fb8aa3b, v75 :: v_dual_add_f32 v74, v74, v94
	v_mul_f32_e32 v77, 0x3fb8aa3b, v77
	s_waitcnt_depctr 0xfff
	v_cndmask_b32_e64 v76, 0, v78, s10
	v_fma_f32 v78, s35, v122, -v73
	v_exp_f32_e32 v80, v75
	v_add_f32_e32 v74, v74, v88
	v_exp_f32_e32 v77, v77
	s_waitcnt_depctr 0xfff
	v_cndmask_b32_e64 v75, 0, v77, s9
	v_fma_f32 v77, s35, v121, -v73
	s_delay_alu instid0(VALU_DEP_1) | instskip(NEXT) | instid1(VALU_DEP_1)
	v_dual_add_f32 v74, v74, v95 :: v_dual_mul_f32 v83, 0x3fb8aa3b, v77
	v_add_f32_e32 v74, v74, v75
	v_cndmask_b32_e64 v77, 0, v80, s11
	v_mul_f32_e32 v80, 0x3fb8aa3b, v78
	v_cndmask_b32_e64 v78, 0, v79, s12
	v_exp_f32_e32 v83, v83
	v_add_f32_e32 v74, v74, v76
	v_cndmask_b32_e64 v79, 0, v82, s13
	v_exp_f32_e32 v97, v80
	v_mul_f32_e32 v82, 0x3fb8aa3b, v96
	v_and_b32_e32 v96, 31, v0
	v_add_f32_e32 v74, v74, v77
	s_delay_alu instid0(TRANS32_DEP_2) | instskip(NEXT) | instid1(VALU_DEP_2)
	v_cndmask_b32_e64 v80, 0, v83, s16
	v_add_f32_e32 v74, v74, v78
	v_exp_f32_e32 v83, v82
	s_delay_alu instid0(TRANS32_DEP_2) | instskip(SKIP_1) | instid1(VALU_DEP_3)
	v_cndmask_b32_e64 v82, 0, v97, s17
	v_cmp_lt_u32_e64 s2, 15, v96
	v_add_f32_e32 v74, v74, v79
	s_delay_alu instid0(VALU_DEP_1) | instskip(SKIP_3) | instid1(VALU_DEP_1)
	v_add_f32_e32 v74, v74, v80
	s_waitcnt_depctr 0xfff
	v_cndmask_b32_e64 v83, 0, v83, s18
	v_add_f32_e32 v74, v74, v82
	v_add_f32_e32 v74, v74, v83
	ds_bpermute_b32 v84, v84, v74
	v_cmpx_gt_u32_e32 16, v96
	s_cbranch_execz .LBB554_11
; %bb.10:
	v_mul_u32_u24_e32 v96, 0x44, v91
	s_waitcnt lgkmcnt(0)
	v_add_f32_e32 v74, v74, v84
	s_delay_alu instid0(VALU_DEP_2) | instskip(NEXT) | instid1(VALU_DEP_1)
	v_lshl_add_u32 v96, v89, 2, v96
	v_add_nc_u32_e32 v84, 0x4000, v96
	ds_store_2addr_b32 v84, v73, v74 offset1:136
.LBB554_11:
	s_or_b32 exec_lo, exec_lo, s3
	v_lshlrev_b32_e32 v73, 2, v89
	s_waitcnt lgkmcnt(0)
	s_barrier
	buffer_gl0_inv
	v_cmp_eq_u32_e64 s3, 1, v91
	v_add_nc_u32_e32 v84, 0x4000, v73
	ds_load_2addr_b32 v[96:97], v84 offset1:17
	ds_load_2addr_b32 v[98:99], v84 offset0:34 offset1:51
	ds_load_2addr_b32 v[100:101], v84 offset0:68 offset1:85
	;; [unrolled: 1-line block ×4, first 2 shown]
	s_waitcnt lgkmcnt(4)
	v_max3_f32 v73, v96, 0xff7fffff, v97
	s_waitcnt lgkmcnt(3)
	s_delay_alu instid0(VALU_DEP_1) | instskip(SKIP_1) | instid1(VALU_DEP_1)
	v_max3_f32 v73, v73, v98, v99
	s_waitcnt lgkmcnt(2)
	v_max3_f32 v73, v73, v100, v101
	s_waitcnt lgkmcnt(1)
	s_delay_alu instid0(VALU_DEP_1) | instskip(NEXT) | instid1(VALU_DEP_1)
	v_max3_f32 v73, v73, v102, v103
	v_sub_f32_e32 v74, v96, v73
	v_sub_f32_e32 v98, v98, v73
	;; [unrolled: 1-line block ×3, first 2 shown]
	s_delay_alu instid0(VALU_DEP_3) | instskip(NEXT) | instid1(VALU_DEP_3)
	v_mul_f32_e32 v74, 0x3fb8aa3b, v74
	v_mul_f32_e32 v108, 0x3fb8aa3b, v98
	s_delay_alu instid0(VALU_DEP_3) | instskip(NEXT) | instid1(VALU_DEP_3)
	v_mul_f32_e32 v110, 0x3fb8aa3b, v100
	v_exp_f32_e32 v107, v74
	v_sub_f32_e32 v74, v99, v73
	v_sub_f32_e32 v106, v97, v73
	ds_load_2addr_b32 v[96:97], v84 offset0:170 offset1:187
	ds_load_2addr_b32 v[98:99], v84 offset0:204 offset1:221
	v_exp_f32_e32 v108, v108
	v_mul_f32_e32 v109, 0x3fb8aa3b, v74
	v_mul_f32_e32 v106, 0x3fb8aa3b, v106
	s_waitcnt lgkmcnt(2)
	v_fma_f32 v74, v107, v104, 0
	v_sub_f32_e32 v104, v101, v73
	s_delay_alu instid0(VALU_DEP_3)
	v_exp_f32_e32 v106, v106
	v_exp_f32_e32 v109, v109
	ds_load_2addr_b32 v[100:101], v84 offset0:238 offset1:255
	v_sub_f32_e32 v84, v102, v73
	v_mul_f32_e32 v102, 0x3fb8aa3b, v104
	v_exp_f32_e32 v104, v110
	s_waitcnt lgkmcnt(0)
	s_barrier
	v_mul_f32_e32 v84, 0x3fb8aa3b, v84
	v_exp_f32_e32 v102, v102
	v_fmac_f32_e32 v74, v106, v105
	buffer_gl0_inv
	v_exp_f32_e32 v84, v84
	v_fmac_f32_e32 v74, v108, v96
	v_sub_f32_e32 v96, v103, v73
	s_delay_alu instid0(VALU_DEP_2) | instskip(NEXT) | instid1(VALU_DEP_2)
	v_fmac_f32_e32 v74, v109, v97
	v_mul_f32_e32 v96, 0x3fb8aa3b, v96
	s_delay_alu instid0(VALU_DEP_2) | instskip(NEXT) | instid1(VALU_DEP_2)
	v_fmac_f32_e32 v74, v104, v98
	v_exp_f32_e32 v96, v96
	s_delay_alu instid0(VALU_DEP_1)
	v_fmac_f32_e32 v74, v102, v99
	s_delay_alu instid0(TRANS32_DEP_2) | instid1(VALU_DEP_1)
	v_fmac_f32_e32 v74, v84, v100
	s_waitcnt_depctr 0xfff
	v_fmac_f32_e32 v74, v96, v101
	s_delay_alu instid0(VALU_DEP_1) | instskip(NEXT) | instid1(VALU_DEP_1)
	v_add_f32_e32 v97, 0x358637bd, v74
	v_div_scale_f32 v98, null, v97, v97, 1.0
	v_div_scale_f32 v101, vcc_lo, 1.0, v97, 1.0
	s_delay_alu instid0(VALU_DEP_2) | instskip(SKIP_2) | instid1(VALU_DEP_1)
	v_rcp_f32_e32 v99, v98
	s_waitcnt_depctr 0xfff
	v_fma_f32 v100, -v98, v99, 1.0
	v_fmac_f32_e32 v99, v100, v99
	v_cndmask_b32_e64 v100, v107, v106, s3
	v_cmp_eq_u32_e64 s3, 2, v91
	s_delay_alu instid0(VALU_DEP_3) | instskip(NEXT) | instid1(VALU_DEP_2)
	v_mul_f32_e32 v103, v101, v99
	v_cndmask_b32_e64 v100, v100, v108, s3
	v_cmp_eq_u32_e64 s3, 3, v91
	s_delay_alu instid0(VALU_DEP_3) | instskip(NEXT) | instid1(VALU_DEP_2)
	v_fma_f32 v105, -v98, v103, v101
	v_cndmask_b32_e64 v100, v100, v109, s3
	v_cmp_eq_u32_e64 s3, 4, v91
	s_delay_alu instid0(VALU_DEP_3) | instskip(NEXT) | instid1(VALU_DEP_2)
	v_fmac_f32_e32 v103, v105, v99
	v_cndmask_b32_e64 v100, v100, v104, s3
	s_delay_alu instid0(VALU_DEP_2) | instskip(SKIP_1) | instid1(VALU_DEP_2)
	v_fma_f32 v98, -v98, v103, v101
	v_cmp_eq_u32_e64 s3, 5, v91
	v_div_fmas_f32 v98, v98, v99, v103
	s_delay_alu instid0(VALU_DEP_2) | instskip(SKIP_2) | instid1(VALU_DEP_3)
	v_cndmask_b32_e64 v100, v100, v102, s3
	v_cmp_eq_u32_e32 vcc_lo, 6, v91
	s_mov_b32 s3, exec_lo
	v_div_fixup_f32 v97, v98, v97, 1.0
	s_delay_alu instid0(VALU_DEP_3) | instskip(SKIP_1) | instid1(VALU_DEP_2)
	v_cndmask_b32_e32 v84, v100, v84, vcc_lo
	v_cmp_eq_u32_e32 vcc_lo, 7, v91
	v_cndmask_b32_e32 v84, v84, v96, vcc_lo
	s_delay_alu instid0(VALU_DEP_1) | instskip(NEXT) | instid1(VALU_DEP_1)
	v_mul_f32_e32 v84, v84, v97
	v_mul_f32_e32 v97, v84, v86
	;; [unrolled: 1-line block ×6, first 2 shown]
	v_dual_mul_f32 v93, v84, v87 :: v_dual_and_b32 v98, 0x7f800000, v97
	v_mul_f32_e32 v96, v84, v92
	v_mul_f32_e32 v92, v84, v85
                                        ; implicit-def: $vgpr85
	s_delay_alu instid0(VALU_DEP_3)
	v_cmpx_ne_u32_e32 0x7f800000, v98
	s_xor_b32 s3, exec_lo, s3
; %bb.12:
	v_bfe_u32 v85, v97, 16, 1
	s_delay_alu instid0(VALU_DEP_1)
	v_add3_u32 v85, v97, v85, 0x7fff
                                        ; implicit-def: $vgpr97
; %bb.13:
	s_and_not1_saveexec_b32 s3, s3
; %bb.14:
	v_and_b32_e32 v85, 0xffff, v97
	v_or_b32_e32 v87, 0x10000, v97
	s_delay_alu instid0(VALU_DEP_2) | instskip(NEXT) | instid1(VALU_DEP_2)
	v_cmp_eq_u32_e32 vcc_lo, 0, v85
	v_cndmask_b32_e32 v85, v87, v97, vcc_lo
; %bb.15:
	s_or_b32 exec_lo, exec_lo, s3
	v_and_b32_e32 v87, 0x7f800000, v92
	s_delay_alu instid0(VALU_DEP_1) | instskip(SKIP_1) | instid1(SALU_CYCLE_1)
	v_cmp_ne_u32_e32 vcc_lo, 0x7f800000, v87
                                        ; implicit-def: $vgpr87
	s_and_saveexec_b32 s3, vcc_lo
	s_xor_b32 s3, exec_lo, s3
; %bb.16:
	v_bfe_u32 v87, v92, 16, 1
	s_delay_alu instid0(VALU_DEP_1)
	v_add3_u32 v87, v92, v87, 0x7fff
                                        ; implicit-def: $vgpr92
; %bb.17:
	s_and_not1_saveexec_b32 s3, s3
; %bb.18:
	v_and_b32_e32 v87, 0xffff, v92
	v_or_b32_e32 v97, 0x10000, v92
	s_delay_alu instid0(VALU_DEP_2) | instskip(NEXT) | instid1(VALU_DEP_2)
	v_cmp_eq_u32_e32 vcc_lo, 0, v87
	v_cndmask_b32_e32 v87, v97, v92, vcc_lo
; %bb.19:
	s_or_b32 exec_lo, exec_lo, s3
	v_and_b32_e32 v92, 0x7f800000, v93
	s_delay_alu instid0(VALU_DEP_1) | instskip(SKIP_1) | instid1(SALU_CYCLE_1)
	v_cmp_ne_u32_e32 vcc_lo, 0x7f800000, v92
                                        ; implicit-def: $vgpr92
	s_and_saveexec_b32 s3, vcc_lo
	s_xor_b32 s3, exec_lo, s3
; %bb.20:
	v_bfe_u32 v92, v93, 16, 1
	s_delay_alu instid0(VALU_DEP_1)
	v_add3_u32 v92, v93, v92, 0x7fff
                                        ; implicit-def: $vgpr93
; %bb.21:
	s_and_not1_saveexec_b32 s3, s3
; %bb.22:
	v_and_b32_e32 v92, 0xffff, v93
	v_or_b32_e32 v97, 0x10000, v93
	s_delay_alu instid0(VALU_DEP_2) | instskip(NEXT) | instid1(VALU_DEP_2)
	v_cmp_eq_u32_e32 vcc_lo, 0, v92
	v_cndmask_b32_e32 v92, v97, v93, vcc_lo
; %bb.23:
	s_or_b32 exec_lo, exec_lo, s3
	v_and_b32_e32 v93, 0x7f800000, v96
	s_delay_alu instid0(VALU_DEP_1) | instskip(SKIP_1) | instid1(SALU_CYCLE_1)
	v_cmp_ne_u32_e32 vcc_lo, 0x7f800000, v93
                                        ; implicit-def: $vgpr93
	s_and_saveexec_b32 s3, vcc_lo
	s_xor_b32 s3, exec_lo, s3
; %bb.24:
	v_bfe_u32 v93, v96, 16, 1
	s_delay_alu instid0(VALU_DEP_1)
	v_add3_u32 v93, v96, v93, 0x7fff
                                        ; implicit-def: $vgpr96
; %bb.25:
	s_and_not1_saveexec_b32 s3, s3
; %bb.26:
	v_and_b32_e32 v93, 0xffff, v96
	v_or_b32_e32 v97, 0x10000, v96
	s_delay_alu instid0(VALU_DEP_2) | instskip(NEXT) | instid1(VALU_DEP_2)
	v_cmp_eq_u32_e32 vcc_lo, 0, v93
	v_cndmask_b32_e32 v93, v97, v96, vcc_lo
; %bb.27:
	s_or_b32 exec_lo, exec_lo, s3
	v_and_b32_e32 v96, 0x7f800000, v95
	s_delay_alu instid0(VALU_DEP_1) | instskip(SKIP_1) | instid1(SALU_CYCLE_1)
	v_cmp_ne_u32_e32 vcc_lo, 0x7f800000, v96
                                        ; implicit-def: $vgpr96
	s_and_saveexec_b32 s3, vcc_lo
	s_xor_b32 s3, exec_lo, s3
; %bb.28:
	v_bfe_u32 v96, v95, 16, 1
	s_delay_alu instid0(VALU_DEP_1)
	v_add3_u32 v96, v95, v96, 0x7fff
                                        ; implicit-def: $vgpr95
; %bb.29:
	s_and_not1_saveexec_b32 s3, s3
; %bb.30:
	v_and_b32_e32 v96, 0xffff, v95
	v_or_b32_e32 v97, 0x10000, v95
	s_delay_alu instid0(VALU_DEP_2) | instskip(NEXT) | instid1(VALU_DEP_2)
	v_cmp_eq_u32_e32 vcc_lo, 0, v96
	v_cndmask_b32_e32 v96, v97, v95, vcc_lo
; %bb.31:
	s_or_b32 exec_lo, exec_lo, s3
	v_and_b32_e32 v95, 0x7f800000, v94
	s_delay_alu instid0(VALU_DEP_1) | instskip(SKIP_1) | instid1(SALU_CYCLE_1)
	v_cmp_ne_u32_e32 vcc_lo, 0x7f800000, v95
                                        ; implicit-def: $vgpr95
	s_and_saveexec_b32 s3, vcc_lo
	s_xor_b32 s3, exec_lo, s3
; %bb.32:
	v_bfe_u32 v95, v94, 16, 1
	s_delay_alu instid0(VALU_DEP_1)
	v_add3_u32 v95, v94, v95, 0x7fff
                                        ; implicit-def: $vgpr94
; %bb.33:
	s_and_not1_saveexec_b32 s3, s3
; %bb.34:
	v_and_b32_e32 v95, 0xffff, v94
	v_or_b32_e32 v97, 0x10000, v94
	s_delay_alu instid0(VALU_DEP_2) | instskip(NEXT) | instid1(VALU_DEP_2)
	v_cmp_eq_u32_e32 vcc_lo, 0, v95
	v_cndmask_b32_e32 v95, v97, v94, vcc_lo
; %bb.35:
	s_or_b32 exec_lo, exec_lo, s3
	v_and_b32_e32 v94, 0x7f800000, v88
	s_delay_alu instid0(VALU_DEP_1) | instskip(SKIP_1) | instid1(SALU_CYCLE_1)
	v_cmp_ne_u32_e32 vcc_lo, 0x7f800000, v94
                                        ; implicit-def: $vgpr94
	s_and_saveexec_b32 s3, vcc_lo
	s_xor_b32 s3, exec_lo, s3
; %bb.36:
	v_bfe_u32 v94, v88, 16, 1
	s_delay_alu instid0(VALU_DEP_1)
	v_add3_u32 v94, v88, v94, 0x7fff
                                        ; implicit-def: $vgpr88
; %bb.37:
	s_and_not1_saveexec_b32 s3, s3
; %bb.38:
	v_and_b32_e32 v94, 0xffff, v88
	v_or_b32_e32 v97, 0x10000, v88
	s_delay_alu instid0(VALU_DEP_2) | instskip(NEXT) | instid1(VALU_DEP_2)
	v_cmp_eq_u32_e32 vcc_lo, 0, v94
	v_cndmask_b32_e32 v94, v97, v88, vcc_lo
; %bb.39:
	s_or_b32 exec_lo, exec_lo, s3
	v_and_b32_e32 v88, 0x7f800000, v86
	s_delay_alu instid0(VALU_DEP_1) | instskip(SKIP_1) | instid1(SALU_CYCLE_1)
	v_cmp_ne_u32_e32 vcc_lo, 0x7f800000, v88
                                        ; implicit-def: $vgpr88
	s_and_saveexec_b32 s3, vcc_lo
	s_xor_b32 s3, exec_lo, s3
; %bb.40:
	v_bfe_u32 v88, v86, 16, 1
	s_delay_alu instid0(VALU_DEP_1)
	v_add3_u32 v88, v86, v88, 0x7fff
                                        ; implicit-def: $vgpr86
; %bb.41:
	s_and_not1_saveexec_b32 s3, s3
; %bb.42:
	v_and_b32_e32 v88, 0xffff, v86
	v_or_b32_e32 v97, 0x10000, v86
	s_delay_alu instid0(VALU_DEP_2) | instskip(NEXT) | instid1(VALU_DEP_2)
	v_cmp_eq_u32_e32 vcc_lo, 0, v88
	v_cndmask_b32_e32 v88, v97, v86, vcc_lo
; %bb.43:
	s_or_b32 exec_lo, exec_lo, s3
	s_load_b64 s[36:37], s[0:1], 0x94
	v_lshlrev_b32_e32 v86, 4, v81
	s_delay_alu instid0(VALU_DEP_2)
	v_perm_b32 v97, v88, v94, 0x7060302
	v_lshlrev_b32_e32 v88, 11, v91
	v_perm_b32 v94, v87, v85, 0x7060302
	v_mul_f32_e32 v85, v84, v78
	v_mul_f32_e32 v87, v84, v75
	v_perm_b32 v96, v95, v96, 0x7060302
	v_perm_b32 v95, v93, v92, 0x7060302
	v_or3_b32 v75, v86, v88, v90
	v_mul_f32_e32 v83, v84, v83
	v_mul_f32_e32 v82, v84, v82
	v_mul_f32_e32 v80, v84, v80
	v_and_b32_e32 v88, 0x7f800000, v87
	v_mul_f32_e32 v79, v84, v79
	v_mul_f32_e32 v86, v84, v77
	;; [unrolled: 1-line block ×3, first 2 shown]
	s_mov_b32 s3, exec_lo
	ds_store_b128 v75, v[94:97]
                                        ; implicit-def: $vgpr76
	v_cmpx_ne_u32_e32 0x7f800000, v88
	s_xor_b32 s3, exec_lo, s3
; %bb.44:
	v_bfe_u32 v76, v87, 16, 1
	s_delay_alu instid0(VALU_DEP_1)
	v_add3_u32 v76, v87, v76, 0x7fff
                                        ; implicit-def: $vgpr87
; %bb.45:
	s_and_not1_saveexec_b32 s3, s3
; %bb.46:
	v_and_b32_e32 v76, 0xffff, v87
	v_or_b32_e32 v77, 0x10000, v87
	s_delay_alu instid0(VALU_DEP_2) | instskip(NEXT) | instid1(VALU_DEP_2)
	v_cmp_eq_u32_e32 vcc_lo, 0, v76
	v_cndmask_b32_e32 v76, v77, v87, vcc_lo
; %bb.47:
	s_or_b32 exec_lo, exec_lo, s3
	v_and_b32_e32 v77, 0x7f800000, v78
	s_delay_alu instid0(VALU_DEP_1) | instskip(SKIP_1) | instid1(SALU_CYCLE_1)
	v_cmp_ne_u32_e32 vcc_lo, 0x7f800000, v77
                                        ; implicit-def: $vgpr77
	s_and_saveexec_b32 s3, vcc_lo
	s_xor_b32 s3, exec_lo, s3
; %bb.48:
	v_bfe_u32 v77, v78, 16, 1
	s_delay_alu instid0(VALU_DEP_1)
	v_add3_u32 v77, v78, v77, 0x7fff
                                        ; implicit-def: $vgpr78
; %bb.49:
	s_and_not1_saveexec_b32 s3, s3
; %bb.50:
	v_and_b32_e32 v77, 0xffff, v78
	v_or_b32_e32 v84, 0x10000, v78
	s_delay_alu instid0(VALU_DEP_2) | instskip(NEXT) | instid1(VALU_DEP_2)
	v_cmp_eq_u32_e32 vcc_lo, 0, v77
	v_cndmask_b32_e32 v77, v84, v78, vcc_lo
; %bb.51:
	s_or_b32 exec_lo, exec_lo, s3
	v_and_b32_e32 v78, 0x7f800000, v86
	s_delay_alu instid0(VALU_DEP_1) | instskip(SKIP_1) | instid1(SALU_CYCLE_1)
	v_cmp_ne_u32_e32 vcc_lo, 0x7f800000, v78
                                        ; implicit-def: $vgpr78
	s_and_saveexec_b32 s3, vcc_lo
	s_xor_b32 s3, exec_lo, s3
; %bb.52:
	v_bfe_u32 v78, v86, 16, 1
	s_delay_alu instid0(VALU_DEP_1)
	v_add3_u32 v78, v86, v78, 0x7fff
                                        ; implicit-def: $vgpr86
; %bb.53:
	s_and_not1_saveexec_b32 s3, s3
; %bb.54:
	v_and_b32_e32 v78, 0xffff, v86
	v_or_b32_e32 v84, 0x10000, v86
	s_delay_alu instid0(VALU_DEP_2) | instskip(NEXT) | instid1(VALU_DEP_2)
	v_cmp_eq_u32_e32 vcc_lo, 0, v78
	v_cndmask_b32_e32 v78, v84, v86, vcc_lo
; %bb.55:
	s_or_b32 exec_lo, exec_lo, s3
	v_and_b32_e32 v84, 0x7f800000, v85
	s_delay_alu instid0(VALU_DEP_1) | instskip(SKIP_1) | instid1(SALU_CYCLE_1)
	v_cmp_ne_u32_e32 vcc_lo, 0x7f800000, v84
                                        ; implicit-def: $vgpr84
	s_and_saveexec_b32 s3, vcc_lo
	s_xor_b32 s3, exec_lo, s3
; %bb.56:
	v_bfe_u32 v84, v85, 16, 1
	s_delay_alu instid0(VALU_DEP_1)
	v_add3_u32 v84, v85, v84, 0x7fff
                                        ; implicit-def: $vgpr85
; %bb.57:
	s_and_not1_saveexec_b32 s3, s3
; %bb.58:
	v_and_b32_e32 v84, 0xffff, v85
	v_or_b32_e32 v86, 0x10000, v85
	s_delay_alu instid0(VALU_DEP_2) | instskip(NEXT) | instid1(VALU_DEP_2)
	v_cmp_eq_u32_e32 vcc_lo, 0, v84
	v_cndmask_b32_e32 v84, v86, v85, vcc_lo
; %bb.59:
	s_or_b32 exec_lo, exec_lo, s3
	v_and_b32_e32 v85, 0x7f800000, v79
	s_delay_alu instid0(VALU_DEP_1) | instskip(SKIP_1) | instid1(SALU_CYCLE_1)
	v_cmp_ne_u32_e32 vcc_lo, 0x7f800000, v85
                                        ; implicit-def: $vgpr85
	s_and_saveexec_b32 s3, vcc_lo
	s_xor_b32 s3, exec_lo, s3
; %bb.60:
	v_bfe_u32 v85, v79, 16, 1
	s_delay_alu instid0(VALU_DEP_1)
	v_add3_u32 v85, v79, v85, 0x7fff
                                        ; implicit-def: $vgpr79
; %bb.61:
	s_and_not1_saveexec_b32 s3, s3
; %bb.62:
	v_and_b32_e32 v85, 0xffff, v79
	v_or_b32_e32 v86, 0x10000, v79
	s_delay_alu instid0(VALU_DEP_2) | instskip(NEXT) | instid1(VALU_DEP_2)
	v_cmp_eq_u32_e32 vcc_lo, 0, v85
	v_cndmask_b32_e32 v85, v86, v79, vcc_lo
; %bb.63:
	s_or_b32 exec_lo, exec_lo, s3
	v_and_b32_e32 v79, 0x7f800000, v80
	s_delay_alu instid0(VALU_DEP_1) | instskip(SKIP_1) | instid1(SALU_CYCLE_1)
	v_cmp_ne_u32_e32 vcc_lo, 0x7f800000, v79
                                        ; implicit-def: $vgpr79
	s_and_saveexec_b32 s3, vcc_lo
	s_xor_b32 s3, exec_lo, s3
; %bb.64:
	v_bfe_u32 v79, v80, 16, 1
	s_delay_alu instid0(VALU_DEP_1)
	v_add3_u32 v79, v80, v79, 0x7fff
                                        ; implicit-def: $vgpr80
; %bb.65:
	s_and_not1_saveexec_b32 s3, s3
; %bb.66:
	v_and_b32_e32 v79, 0xffff, v80
	v_or_b32_e32 v86, 0x10000, v80
	s_delay_alu instid0(VALU_DEP_2) | instskip(NEXT) | instid1(VALU_DEP_2)
	v_cmp_eq_u32_e32 vcc_lo, 0, v79
	v_cndmask_b32_e32 v79, v86, v80, vcc_lo
; %bb.67:
	s_or_b32 exec_lo, exec_lo, s3
	v_and_b32_e32 v80, 0x7f800000, v82
	s_delay_alu instid0(VALU_DEP_1) | instskip(SKIP_1) | instid1(SALU_CYCLE_1)
	v_cmp_ne_u32_e32 vcc_lo, 0x7f800000, v80
                                        ; implicit-def: $vgpr80
	s_and_saveexec_b32 s3, vcc_lo
	s_xor_b32 s3, exec_lo, s3
; %bb.68:
	v_bfe_u32 v80, v82, 16, 1
	s_delay_alu instid0(VALU_DEP_1)
	v_add3_u32 v80, v82, v80, 0x7fff
                                        ; implicit-def: $vgpr82
; %bb.69:
	s_and_not1_saveexec_b32 s3, s3
; %bb.70:
	v_and_b32_e32 v80, 0xffff, v82
	v_or_b32_e32 v86, 0x10000, v82
	s_delay_alu instid0(VALU_DEP_2) | instskip(NEXT) | instid1(VALU_DEP_2)
	v_cmp_eq_u32_e32 vcc_lo, 0, v80
	v_cndmask_b32_e32 v80, v86, v82, vcc_lo
; %bb.71:
	s_or_b32 exec_lo, exec_lo, s3
	v_and_b32_e32 v82, 0x7f800000, v83
	s_delay_alu instid0(VALU_DEP_1) | instskip(SKIP_1) | instid1(SALU_CYCLE_1)
	v_cmp_ne_u32_e32 vcc_lo, 0x7f800000, v82
                                        ; implicit-def: $vgpr82
	s_and_saveexec_b32 s3, vcc_lo
	s_xor_b32 s3, exec_lo, s3
; %bb.72:
	v_bfe_u32 v82, v83, 16, 1
	s_delay_alu instid0(VALU_DEP_1)
	v_add3_u32 v82, v83, v82, 0x7fff
                                        ; implicit-def: $vgpr83
; %bb.73:
	s_and_not1_saveexec_b32 s3, s3
; %bb.74:
	v_and_b32_e32 v82, 0xffff, v83
	v_or_b32_e32 v86, 0x10000, v83
	s_delay_alu instid0(VALU_DEP_2) | instskip(NEXT) | instid1(VALU_DEP_2)
	v_cmp_eq_u32_e32 vcc_lo, 0, v82
	v_cndmask_b32_e32 v82, v86, v83, vcc_lo
; %bb.75:
	s_or_b32 exec_lo, exec_lo, s3
	s_delay_alu instid0(VALU_DEP_1)
	v_perm_b32 v80, v82, v80, 0x7060302
	v_perm_b32 v79, v79, v85, 0x7060302
	;; [unrolled: 1-line block ×4, first 2 shown]
	v_lshl_or_b32 v86, v91, 11, v90
	ds_store_b128 v75, v[77:80] offset:1024
	s_waitcnt lgkmcnt(0)
	s_barrier
	buffer_gl0_inv
	ds_load_b128 v[76:79], v86
	ds_load_b128 v[91:94], v86 offset:16
	s_waitcnt lgkmcnt(1)
	v_lshrrev_b32_e32 v103, 16, v79
	v_lshlrev_b32_e32 v83, 2, v81
	v_lshrrev_b32_e32 v80, 16, v76
	s_waitcnt lgkmcnt(0)
	v_lshrrev_b32_e32 v99, 16, v91
	v_lshrrev_b32_e32 v106, 16, v94
	;; [unrolled: 1-line block ×3, first 2 shown]
	v_or_b32_e32 v84, 1, v83
	v_cmp_eq_u32_e32 vcc_lo, 1, v83
	v_cmp_eq_u32_e64 s4, 2, v83
	v_lshrrev_b32_e32 v104, 16, v92
	v_cmp_eq_u32_e64 s7, 3, v83
	v_cmp_eq_u32_e64 s3, 1, v84
	v_cndmask_b32_e32 v85, v76, v80, vcc_lo
	v_cndmask_b32_e32 v95, v91, v99, vcc_lo
	v_cmp_eq_u32_e64 s6, 2, v84
	v_cmp_eq_u32_e64 s8, 3, v84
	v_cndmask_b32_e64 v96, v76, v80, s3
	v_cndmask_b32_e64 v85, v85, v77, s4
	;; [unrolled: 1-line block ×3, first 2 shown]
	v_cmp_eq_u32_e64 s9, 4, v83
	v_or_b32_e32 v82, 2, v83
	v_cndmask_b32_e64 v96, v96, v77, s6
	v_cndmask_b32_e64 v85, v85, v87, s7
	;; [unrolled: 1-line block ×3, first 2 shown]
	v_lshrrev_b32_e32 v88, 16, v78
	v_lshrrev_b32_e32 v105, 16, v93
	v_cndmask_b32_e64 v97, v91, v99, s3
	v_cndmask_b32_e64 v96, v96, v87, s8
	;; [unrolled: 1-line block ×3, first 2 shown]
	v_cmp_eq_u32_e64 s10, 5, v83
	v_cndmask_b32_e64 v95, v95, v93, s9
	v_cmp_eq_u32_e64 s11, 4, v84
	v_cmp_eq_u32_e64 s5, 1, v82
	v_cndmask_b32_e64 v97, v97, v92, s6
	v_cndmask_b32_e64 v85, v85, v88, s10
	v_cmp_eq_u32_e64 s12, 6, v83
	v_cndmask_b32_e64 v96, v96, v78, s11
	v_cndmask_b32_e64 v95, v95, v105, s10
	;; [unrolled: 3-line block ×3, first 2 shown]
	v_cndmask_b32_e64 v85, v85, v79, s12
	v_cmp_eq_u32_e64 s16, 7, v83
	v_cndmask_b32_e64 v96, v96, v88, s13
	v_cndmask_b32_e64 v95, v95, v94, s12
	v_cmp_eq_u32_e64 s17, 6, v84
	v_cmp_eq_u32_e64 s18, 2, v82
	v_cndmask_b32_e64 v97, v97, v93, s11
	v_cndmask_b32_e64 v107, v85, v103, s16
	;; [unrolled: 1-line block ×6, first 2 shown]
	v_cmp_eq_u32_e64 s19, 7, v84
	v_cmp_eq_u32_e64 s20, 3, v82
	;; [unrolled: 1-line block ×4, first 2 shown]
	v_cndmask_b32_e64 v95, v95, v92, s18
	v_cndmask_b32_e64 v109, v96, v103, s19
	v_cndmask_b32_e64 v96, v97, v105, s13
	v_cndmask_b32_e64 v97, v85, v87, s20
	v_or_b32_e32 v85, 3, v83
	v_cndmask_b32_e64 v101, v95, v104, s20
	v_cmp_eq_u32_e64 s25, 6, v82
	v_cndmask_b32_e64 v110, v96, v94, s17
	v_cndmask_b32_e64 v100, v97, v78, s21
	ds_load_b128 v[95:98], v86 offset:1024
	v_cmp_eq_u32_e64 s22, 1, v85
	v_cmp_eq_u32_e64 s24, 2, v85
	;; [unrolled: 1-line block ×3, first 2 shown]
	v_cndmask_b32_e64 v111, v100, v88, s23
	v_cmp_eq_u32_e64 s27, 4, v85
	v_cndmask_b32_e64 v76, v76, v80, s22
	v_cndmask_b32_e64 v80, v101, v93, s21
	;; [unrolled: 1-line block ×3, first 2 shown]
	ds_load_b128 v[99:102], v86 offset:1040
	v_cmp_eq_u32_e64 s28, 7, v82
	v_cndmask_b32_e64 v76, v76, v77, s24
	v_cndmask_b32_e64 v77, v80, v105, s23
	v_cndmask_b32_e64 v80, v91, v92, s24
	v_cmp_eq_u32_e64 s29, 5, v85
	v_cmp_eq_u32_e64 s30, 6, v85
	v_cndmask_b32_e64 v76, v76, v87, s26
	v_cndmask_b32_e64 v87, v111, v79, s25
	;; [unrolled: 1-line block ×4, first 2 shown]
	s_waitcnt lgkmcnt(1)
	v_lshrrev_b32_e32 v92, 16, v95
	v_cndmask_b32_e64 v76, v76, v78, s27
	v_cndmask_b32_e64 v91, v110, v106, s19
	;; [unrolled: 1-line block ×4, first 2 shown]
	v_cndmask_b32_e32 v87, v95, v92, vcc_lo
	v_cndmask_b32_e64 v76, v76, v88, s29
	v_lshrrev_b32_e32 v93, 16, v96
	v_cndmask_b32_e64 v104, v95, v92, s3
	s_waitcnt lgkmcnt(0)
	v_lshrrev_b32_e32 v88, 16, v99
	v_cndmask_b32_e64 v87, v87, v96, s4
	v_cndmask_b32_e64 v78, v78, v105, s29
	;; [unrolled: 1-line block ×4, first 2 shown]
	v_cndmask_b32_e32 v105, v99, v88, vcc_lo
	v_cndmask_b32_e64 v79, v87, v93, s7
	v_cndmask_b32_e64 v87, v104, v96, s6
	;; [unrolled: 1-line block ×3, first 2 shown]
	v_lshrrev_b32_e32 v104, 16, v100
	v_cndmask_b32_e64 v94, v105, v100, s4
	v_cmp_eq_u32_e32 vcc_lo, 7, v85
	v_cndmask_b32_e64 v87, v87, v93, s8
	v_cndmask_b32_e64 v79, v79, v97, s9
	v_lshrrev_b32_e32 v105, 16, v97
	v_cndmask_b32_e64 v94, v94, v104, s7
	v_cndmask_b32_e32 v76, v76, v103, vcc_lo
	v_cndmask_b32_e32 v78, v78, v106, vcc_lo
	v_cndmask_b32_e64 v87, v87, v97, s11
	v_cndmask_b32_e64 v103, v79, v105, s10
	;; [unrolled: 1-line block ×3, first 2 shown]
	v_lshrrev_b32_e32 v106, 16, v101
	v_perm_b32 v79, v78, v76, 0x5040100
	v_cndmask_b32_e64 v76, v87, v105, s13
	v_cndmask_b32_e64 v87, v103, v98, s12
	v_lshrrev_b32_e32 v103, 16, v98
	v_cndmask_b32_e64 v94, v94, v106, s10
	v_perm_b32 v78, v77, v80, 0x5040100
	v_cndmask_b32_e64 v76, v76, v98, s17
	v_perm_b32 v77, v91, v109, 0x5040100
	v_cndmask_b32_e64 v80, v87, v103, s16
	v_cndmask_b32_e64 v87, v94, v102, s12
	;; [unrolled: 1-line block ×13, first 2 shown]
	v_lshrrev_b32_e32 v91, 16, v102
	v_cndmask_b32_e64 v76, v76, v93, s20
	v_cndmask_b32_e64 v92, v92, v93, s26
	;; [unrolled: 1-line block ×21, first 2 shown]
	v_cndmask_b32_e32 v92, v92, v103, vcc_lo
	v_cndmask_b32_e32 v93, v93, v91, vcc_lo
	v_cndmask_b32_e64 v96, v94, v91, s28
	v_cndmask_b32_e64 v88, v88, v91, s19
	;; [unrolled: 1-line block ×3, first 2 shown]
	v_perm_b32 v76, v108, v107, 0x5040100
	v_perm_b32 v94, v93, v92, 0x5040100
	;; [unrolled: 1-line block ×5, first 2 shown]
	s_mov_b32 s3, exec_lo
	ds_store_b128 v75, v[76:79]
	ds_store_b128 v75, v[91:94] offset:1024
	v_cmpx_eq_u32_e32 0, v0
	s_cbranch_execz .LBB554_77
; %bb.76:
	s_load_b128 s[4:7], s[0:1], 0x58
	s_mul_i32 s8, s37, s34
	v_mov_b32_e32 v75, 0
	s_add_i32 s8, s8, s15
	s_delay_alu instid0(SALU_CYCLE_1) | instskip(NEXT) | instid1(SALU_CYCLE_1)
	s_mul_i32 s8, s8, s36
	s_add_i32 s8, s8, s14
	s_delay_alu instid0(SALU_CYCLE_1) | instskip(NEXT) | instid1(SALU_CYCLE_1)
	s_ashr_i32 s9, s8, 31
	s_lshl_b64 s[8:9], s[8:9], 2
	s_waitcnt lgkmcnt(0)
	s_add_u32 s6, s6, s8
	s_addc_u32 s7, s7, s9
	s_add_u32 s4, s4, s8
	s_addc_u32 s5, s5, s9
	s_clause 0x1
	global_store_b32 v75, v73, s[6:7]
	global_store_b32 v75, v74, s[4:5]
.LBB554_77:
	s_or_b32 exec_lo, exec_lo, s3
	s_waitcnt lgkmcnt(0)
	s_waitcnt_vscnt null, 0x0
	s_barrier
	buffer_gl0_inv
	ds_load_b128 v[91:94], v90
	ds_load_b128 v[95:98], v90 offset:16
	ds_load_b128 v[103:106], v90 offset:1040
	;; [unrolled: 1-line block ×3, first 2 shown]
	v_mov_b32_e32 v73, 0
	ds_load_b128 v[111:114], v90 offset:2064
	ds_load_b128 v[107:110], v90 offset:2048
	;; [unrolled: 1-line block ×4, first 2 shown]
	v_mov_b32_e32 v74, v73
	v_mov_b32_e32 v75, v73
	;; [unrolled: 1-line block ×7, first 2 shown]
	s_waitcnt lgkmcnt(6)
	s_delay_alu instid0(VALU_DEP_1)
	v_wmma_f32_16x16x16_bf16 v[73:80], v[65:72], v[91:98], v[73:80]
	ds_load_b128 v[69:72], v90 offset:4112
	ds_load_b128 v[65:68], v90 offset:4096
	;; [unrolled: 1-line block ×4, first 2 shown]
	s_waitcnt lgkmcnt(8)
	v_wmma_f32_16x16x16_bf16 v[73:80], v[57:64], v[99:106], v[73:80]
	ds_load_b128 v[103:106], v90 offset:6160
	ds_load_b128 v[99:102], v90 offset:6144
	s_waitcnt lgkmcnt(8)
	v_wmma_f32_16x16x16_bf16 v[73:80], v[57:64], v[107:114], v[73:80]
	ds_load_b128 v[61:64], v90 offset:7184
	ds_load_b128 v[57:60], v90 offset:7168
	;; [unrolled: 1-line block ×4, first 2 shown]
	s_waitcnt lgkmcnt(10)
	v_wmma_f32_16x16x16_bf16 v[73:80], v[49:56], v[115:122], v[73:80]
	s_waitcnt lgkmcnt(8)
	s_delay_alu instid0(VALU_DEP_1)
	v_wmma_f32_16x16x16_bf16 v[73:80], v[49:56], v[65:72], v[73:80]
	ds_load_b128 v[53:56], v90 offset:9232
	ds_load_b128 v[49:52], v90 offset:9216
	;; [unrolled: 1-line block ×4, first 2 shown]
	s_waitcnt lgkmcnt(10)
	v_wmma_f32_16x16x16_bf16 v[73:80], v[41:48], v[91:98], v[73:80]
	s_waitcnt lgkmcnt(8)
	s_delay_alu instid0(VALU_DEP_1)
	v_wmma_f32_16x16x16_bf16 v[73:80], v[41:48], v[99:106], v[73:80]
	ds_load_b128 v[45:48], v90 offset:11280
	ds_load_b128 v[41:44], v90 offset:11264
	s_waitcnt lgkmcnt(8)
	v_wmma_f32_16x16x16_bf16 v[73:80], v[17:24], v[57:64], v[73:80]
	s_waitcnt lgkmcnt(6)
	s_delay_alu instid0(VALU_DEP_1)
	v_wmma_f32_16x16x16_bf16 v[73:80], v[17:24], v[107:114], v[73:80]
	ds_load_b128 v[21:24], v90 offset:12304
	ds_load_b128 v[17:20], v90 offset:12288
	s_waitcnt lgkmcnt(6)
	v_wmma_f32_16x16x16_bf16 v[73:80], v[9:16], v[49:56], v[73:80]
	ds_load_b128 v[53:56], v90 offset:13328
	ds_load_b128 v[49:52], v90 offset:13312
	s_waitcnt lgkmcnt(6)
	;; [unrolled: 4-line block ×4, first 2 shown]
	v_wmma_f32_16x16x16_bf16 v[73:80], v[1:8], v[17:24], v[73:80]
	s_waitcnt lgkmcnt(4)
	s_delay_alu instid0(VALU_DEP_1) | instskip(SKIP_1) | instid1(VALU_DEP_1)
	v_wmma_f32_16x16x16_bf16 v[73:80], v[33:40], v[49:56], v[73:80]
	s_waitcnt lgkmcnt(2)
	v_wmma_f32_16x16x16_bf16 v[73:80], v[33:40], v[9:16], v[73:80]
	s_waitcnt lgkmcnt(0)
	s_delay_alu instid0(VALU_DEP_1) | instskip(NEXT) | instid1(VALU_DEP_1)
	v_wmma_f32_16x16x16_bf16 v[73:80], v[25:32], v[41:48], v[73:80]
	v_and_b32_e32 v1, 0x7f800000, v73
	s_delay_alu instid0(VALU_DEP_1) | instskip(SKIP_1) | instid1(SALU_CYCLE_1)
	v_cmp_ne_u32_e32 vcc_lo, 0x7f800000, v1
                                        ; implicit-def: $vgpr1
	s_and_saveexec_b32 s3, vcc_lo
	s_xor_b32 s3, exec_lo, s3
; %bb.78:
	v_bfe_u32 v1, v73, 16, 1
	s_delay_alu instid0(VALU_DEP_1)
	v_add3_u32 v1, v73, v1, 0x7fff
; %bb.79:
	s_and_not1_saveexec_b32 s3, s3
; %bb.80:
	v_and_b32_e32 v1, 0xffff, v73
	v_or_b32_e32 v2, 0x10000, v73
	s_delay_alu instid0(VALU_DEP_2) | instskip(NEXT) | instid1(VALU_DEP_2)
	v_cmp_eq_u32_e32 vcc_lo, 0, v1
	v_cndmask_b32_e32 v1, v2, v73, vcc_lo
; %bb.81:
	s_or_b32 exec_lo, exec_lo, s3
	v_and_b32_e32 v2, 0x7f800000, v74
	s_delay_alu instid0(VALU_DEP_1) | instskip(SKIP_1) | instid1(SALU_CYCLE_1)
	v_cmp_ne_u32_e32 vcc_lo, 0x7f800000, v2
                                        ; implicit-def: $vgpr2
	s_and_saveexec_b32 s3, vcc_lo
	s_xor_b32 s3, exec_lo, s3
; %bb.82:
	v_bfe_u32 v2, v74, 16, 1
	s_delay_alu instid0(VALU_DEP_1)
	v_add3_u32 v2, v74, v2, 0x7fff
; %bb.83:
	s_and_not1_saveexec_b32 s3, s3
; %bb.84:
	v_and_b32_e32 v2, 0xffff, v74
	v_or_b32_e32 v3, 0x10000, v74
	s_delay_alu instid0(VALU_DEP_2) | instskip(NEXT) | instid1(VALU_DEP_2)
	v_cmp_eq_u32_e32 vcc_lo, 0, v2
	v_cndmask_b32_e32 v2, v3, v74, vcc_lo
; %bb.85:
	s_or_b32 exec_lo, exec_lo, s3
	v_and_b32_e32 v3, 0x7f800000, v75
	s_delay_alu instid0(VALU_DEP_1) | instskip(SKIP_1) | instid1(SALU_CYCLE_1)
	v_cmp_ne_u32_e32 vcc_lo, 0x7f800000, v3
                                        ; implicit-def: $vgpr3
	s_and_saveexec_b32 s3, vcc_lo
	s_xor_b32 s3, exec_lo, s3
; %bb.86:
	v_bfe_u32 v3, v75, 16, 1
	s_delay_alu instid0(VALU_DEP_1)
	v_add3_u32 v3, v75, v3, 0x7fff
; %bb.87:
	s_and_not1_saveexec_b32 s3, s3
; %bb.88:
	v_and_b32_e32 v3, 0xffff, v75
	v_or_b32_e32 v4, 0x10000, v75
	s_delay_alu instid0(VALU_DEP_2) | instskip(NEXT) | instid1(VALU_DEP_2)
	v_cmp_eq_u32_e32 vcc_lo, 0, v3
	v_cndmask_b32_e32 v3, v4, v75, vcc_lo
; %bb.89:
	s_or_b32 exec_lo, exec_lo, s3
	v_and_b32_e32 v4, 0x7f800000, v76
	s_delay_alu instid0(VALU_DEP_1) | instskip(SKIP_1) | instid1(SALU_CYCLE_1)
	v_cmp_ne_u32_e32 vcc_lo, 0x7f800000, v4
                                        ; implicit-def: $vgpr4
	s_and_saveexec_b32 s3, vcc_lo
	s_xor_b32 s3, exec_lo, s3
; %bb.90:
	v_bfe_u32 v4, v76, 16, 1
	s_delay_alu instid0(VALU_DEP_1)
	v_add3_u32 v4, v76, v4, 0x7fff
; %bb.91:
	s_and_not1_saveexec_b32 s3, s3
; %bb.92:
	v_and_b32_e32 v4, 0xffff, v76
	v_or_b32_e32 v5, 0x10000, v76
	s_delay_alu instid0(VALU_DEP_2) | instskip(NEXT) | instid1(VALU_DEP_2)
	v_cmp_eq_u32_e32 vcc_lo, 0, v4
	v_cndmask_b32_e32 v4, v5, v76, vcc_lo
; %bb.93:
	s_or_b32 exec_lo, exec_lo, s3
	v_and_b32_e32 v5, 0x7f800000, v77
	s_delay_alu instid0(VALU_DEP_1) | instskip(SKIP_1) | instid1(SALU_CYCLE_1)
	v_cmp_ne_u32_e32 vcc_lo, 0x7f800000, v5
                                        ; implicit-def: $vgpr5
	s_and_saveexec_b32 s3, vcc_lo
	s_xor_b32 s3, exec_lo, s3
; %bb.94:
	v_bfe_u32 v5, v77, 16, 1
	s_delay_alu instid0(VALU_DEP_1)
	v_add3_u32 v5, v77, v5, 0x7fff
; %bb.95:
	s_and_not1_saveexec_b32 s3, s3
; %bb.96:
	v_and_b32_e32 v5, 0xffff, v77
	v_or_b32_e32 v6, 0x10000, v77
	s_delay_alu instid0(VALU_DEP_2) | instskip(NEXT) | instid1(VALU_DEP_2)
	v_cmp_eq_u32_e32 vcc_lo, 0, v5
	v_cndmask_b32_e32 v5, v6, v77, vcc_lo
; %bb.97:
	s_or_b32 exec_lo, exec_lo, s3
	v_and_b32_e32 v6, 0x7f800000, v78
	s_delay_alu instid0(VALU_DEP_1) | instskip(SKIP_1) | instid1(SALU_CYCLE_1)
	v_cmp_ne_u32_e32 vcc_lo, 0x7f800000, v6
                                        ; implicit-def: $vgpr6
	s_and_saveexec_b32 s3, vcc_lo
	s_xor_b32 s3, exec_lo, s3
; %bb.98:
	v_bfe_u32 v6, v78, 16, 1
	s_delay_alu instid0(VALU_DEP_1)
	v_add3_u32 v6, v78, v6, 0x7fff
; %bb.99:
	s_and_not1_saveexec_b32 s3, s3
; %bb.100:
	v_and_b32_e32 v6, 0xffff, v78
	v_or_b32_e32 v7, 0x10000, v78
	s_delay_alu instid0(VALU_DEP_2) | instskip(NEXT) | instid1(VALU_DEP_2)
	v_cmp_eq_u32_e32 vcc_lo, 0, v6
	v_cndmask_b32_e32 v6, v7, v78, vcc_lo
; %bb.101:
	s_or_b32 exec_lo, exec_lo, s3
	v_and_b32_e32 v7, 0x7f800000, v79
	s_delay_alu instid0(VALU_DEP_1) | instskip(SKIP_1) | instid1(SALU_CYCLE_1)
	v_cmp_ne_u32_e32 vcc_lo, 0x7f800000, v7
                                        ; implicit-def: $vgpr7
	s_and_saveexec_b32 s3, vcc_lo
	s_xor_b32 s3, exec_lo, s3
; %bb.102:
	v_bfe_u32 v7, v79, 16, 1
	s_delay_alu instid0(VALU_DEP_1)
	v_add3_u32 v7, v79, v7, 0x7fff
; %bb.103:
	s_and_not1_saveexec_b32 s3, s3
; %bb.104:
	v_and_b32_e32 v7, 0xffff, v79
	v_or_b32_e32 v8, 0x10000, v79
	s_delay_alu instid0(VALU_DEP_2) | instskip(NEXT) | instid1(VALU_DEP_2)
	v_cmp_eq_u32_e32 vcc_lo, 0, v7
	v_cndmask_b32_e32 v7, v8, v79, vcc_lo
; %bb.105:
	s_or_b32 exec_lo, exec_lo, s3
	v_and_b32_e32 v8, 0x7f800000, v80
	s_delay_alu instid0(VALU_DEP_1) | instskip(SKIP_1) | instid1(SALU_CYCLE_1)
	v_cmp_ne_u32_e32 vcc_lo, 0x7f800000, v8
                                        ; implicit-def: $vgpr8
	s_and_saveexec_b32 s3, vcc_lo
	s_xor_b32 s3, exec_lo, s3
; %bb.106:
	v_bfe_u32 v8, v80, 16, 1
	s_delay_alu instid0(VALU_DEP_1)
	v_add3_u32 v8, v80, v8, 0x7fff
                                        ; implicit-def: $vgpr73_vgpr74_vgpr75_vgpr76_vgpr77_vgpr78_vgpr79_vgpr80
; %bb.107:
	s_and_not1_saveexec_b32 s3, s3
; %bb.108:
	v_and_b32_e32 v8, 0xffff, v80
	v_or_b32_e32 v9, 0x10000, v80
	s_delay_alu instid0(VALU_DEP_2) | instskip(NEXT) | instid1(VALU_DEP_2)
	v_cmp_eq_u32_e32 vcc_lo, 0, v8
	v_cndmask_b32_e32 v8, v9, v80, vcc_lo
; %bb.109:
	s_or_b32 exec_lo, exec_lo, s3
	s_delay_alu instid0(VALU_DEP_1)
	v_perm_b32 v7, v8, v7, 0x7060302
	v_perm_b32 v6, v6, v5, 0x7060302
	;; [unrolled: 1-line block ×4, first 2 shown]
	v_lshl_or_b32 v9, v81, 4, v86
	s_barrier
	buffer_gl0_inv
	v_cmp_eq_u32_e32 vcc_lo, 1, v83
	ds_store_b128 v9, v[4:7]
	s_waitcnt lgkmcnt(0)
	s_barrier
	buffer_gl0_inv
	ds_load_b128 v[1:4], v86
	ds_load_b128 v[5:8], v86 offset:16
	v_cmp_eq_u32_e64 s4, 2, v83
	v_cmp_eq_u32_e64 s3, 1, v84
	;; [unrolled: 1-line block ×5, first 2 shown]
	s_waitcnt lgkmcnt(1)
	v_lshrrev_b32_e32 v10, 16, v1
	s_waitcnt lgkmcnt(0)
	v_lshrrev_b32_e32 v14, 16, v5
	v_lshrrev_b32_e32 v15, 16, v6
	;; [unrolled: 1-line block ×4, first 2 shown]
	v_cndmask_b32_e64 v20, v1, v10, s3
	v_cndmask_b32_e32 v19, v5, v14, vcc_lo
	v_cndmask_b32_e64 v21, v5, v14, s3
	v_lshrrev_b32_e32 v16, 16, v7
	v_cmp_eq_u32_e64 s3, 1, v82
	v_lshrrev_b32_e32 v13, 16, v4
	v_cndmask_b32_e64 v19, v19, v6, s4
	v_lshrrev_b32_e32 v17, 16, v8
	s_delay_alu instid0(VALU_DEP_4) | instskip(SKIP_1) | instid1(VALU_DEP_4)
	v_cndmask_b32_e64 v22, v1, v10, s3
	v_cndmask_b32_e64 v23, v5, v14, s3
	;; [unrolled: 1-line block ×3, first 2 shown]
	v_cndmask_b32_e32 v18, v1, v10, vcc_lo
	v_cmp_eq_u32_e32 vcc_lo, 2, v84
	v_cmp_eq_u32_e64 s3, 2, v85
	v_cndmask_b32_e64 v22, v22, v2, s7
	v_cndmask_b32_e32 v20, v20, v2, vcc_lo
	v_cndmask_b32_e32 v21, v21, v6, vcc_lo
	v_cmp_eq_u32_e32 vcc_lo, 4, v83
	v_cndmask_b32_e32 v19, v19, v7, vcc_lo
	v_cndmask_b32_e64 v18, v18, v2, s4
	v_cmp_eq_u32_e64 s4, 3, v84
	s_delay_alu instid0(VALU_DEP_2) | instskip(NEXT) | instid1(VALU_DEP_2)
	v_cndmask_b32_e64 v18, v18, v11, s5
	v_cndmask_b32_e64 v21, v21, v15, s4
	v_cmp_eq_u32_e64 s5, 5, v83
	s_delay_alu instid0(VALU_DEP_3) | instskip(SKIP_1) | instid1(VALU_DEP_3)
	v_cndmask_b32_e32 v18, v18, v3, vcc_lo
	v_cmp_eq_u32_e32 vcc_lo, 4, v84
	v_cndmask_b32_e64 v19, v19, v16, s5
	s_delay_alu instid0(VALU_DEP_3) | instskip(SKIP_4) | instid1(VALU_DEP_3)
	v_cndmask_b32_e64 v18, v18, v12, s5
	v_cndmask_b32_e32 v21, v21, v7, vcc_lo
	v_cndmask_b32_e64 v20, v20, v11, s4
	v_cmp_eq_u32_e64 s4, 5, v84
	v_cmp_eq_u32_e64 s5, 6, v83
	v_cndmask_b32_e32 v20, v20, v3, vcc_lo
	s_delay_alu instid0(VALU_DEP_3) | instskip(SKIP_1) | instid1(VALU_DEP_4)
	v_cndmask_b32_e64 v21, v21, v16, s4
	v_cmp_eq_u32_e32 vcc_lo, 6, v84
	v_cndmask_b32_e64 v18, v18, v4, s5
	v_cndmask_b32_e64 v19, v19, v8, s5
	;; [unrolled: 1-line block ×3, first 2 shown]
	v_cmp_eq_u32_e64 s4, 1, v85
	v_cmp_eq_u32_e64 s5, 7, v83
	s_delay_alu instid0(VALU_DEP_3) | instskip(NEXT) | instid1(VALU_DEP_3)
	v_cndmask_b32_e32 v20, v20, v4, vcc_lo
	v_cndmask_b32_e64 v1, v1, v10, s4
	v_cndmask_b32_e64 v5, v5, v14, s4
	v_cmp_eq_u32_e64 s4, 3, v82
	v_cndmask_b32_e64 v14, v23, v6, s7
	v_cmp_eq_u32_e64 s7, 3, v85
	v_cndmask_b32_e64 v1, v1, v2, s3
	v_cndmask_b32_e64 v2, v5, v6, s3
	;; [unrolled: 1-line block ×3, first 2 shown]
	v_cmp_eq_u32_e64 s3, 4, v82
	v_cndmask_b32_e64 v6, v14, v15, s4
	v_cndmask_b32_e64 v1, v1, v11, s7
	v_cmp_eq_u32_e64 s4, 4, v85
	v_cndmask_b32_e64 v2, v2, v15, s7
	v_cndmask_b32_e64 v5, v10, v3, s3
	;; [unrolled: 3-line block ×3, first 2 shown]
	v_cndmask_b32_e64 v2, v2, v7, s4
	v_cmp_eq_u32_e64 s3, 5, v85
	v_cndmask_b32_e64 v5, v5, v12, s7
	v_cndmask_b32_e64 v3, v6, v16, s7
	v_cmp_eq_u32_e64 s7, 6, v85
	v_cmp_eq_u32_e64 s4, 6, v82
	v_cndmask_b32_e64 v1, v1, v12, s3
	v_cndmask_b32_e64 v2, v2, v16, s3
	v_cmp_eq_u32_e64 s3, 7, v85
	v_cndmask_b32_e64 v18, v18, v13, s5
	v_cndmask_b32_e64 v5, v5, v4, s4
	;; [unrolled: 1-line block ×5, first 2 shown]
	v_cmp_eq_u32_e64 s4, 7, v82
	v_cndmask_b32_e32 v4, v21, v8, vcc_lo
	v_cndmask_b32_e64 v1, v1, v13, s3
	v_cndmask_b32_e64 v2, v2, v17, s3
	v_cmp_lt_u32_e32 vcc_lo, 31, v0
	v_cmp_lt_u32_e64 s3, 7, v89
	v_cndmask_b32_e64 v20, v20, v13, s6
	v_cndmask_b32_e64 v5, v5, v13, s4
	;; [unrolled: 1-line block ×5, first 2 shown]
	s_or_b32 s3, vcc_lo, s3
	v_perm_b32 v4, v2, v1, 0x5040100
	v_perm_b32 v3, v3, v5, 0x5040100
	;; [unrolled: 1-line block ×4, first 2 shown]
	s_or_b32 s2, s2, s3
	s_delay_alu instid0(SALU_CYCLE_1)
	s_xor_b32 s2, s2, -1
	ds_store_b128 v9, v[1:4]
	s_waitcnt lgkmcnt(0)
	s_barrier
	buffer_gl0_inv
	s_and_saveexec_b32 s3, s2
	s_cbranch_execz .LBB554_2
; %bb.110:
	s_load_b64 s[0:1], s[0:1], 0x68
	v_lshlrev_b32_e32 v1, 10, v0
	v_and_b32_e32 v0, 1, v0
	v_lshlrev_b32_e32 v2, 6, v81
	s_lshl_b32 s4, s36, 6
	v_lshlrev_b32_e32 v4, 3, v89
	v_and_b32_e32 v1, 0x3800, v1
	v_lshlrev_b32_e32 v0, 4, v0
	s_mul_i32 s2, s4, s34
	s_delay_alu instid0(SALU_CYCLE_1) | instskip(SKIP_1) | instid1(VALU_DEP_2)
	s_mul_i32 s2, s2, s37
	v_lshlrev_b32_e32 v4, 1, v4
	v_or3_b32 v0, v1, v2, v0
	s_ashr_i32 s3, s2, 31
	s_delay_alu instid0(SALU_CYCLE_1)
	s_lshl_b64 s[2:3], s[2:3], 1
	ds_load_b128 v[0:3], v0
	s_waitcnt lgkmcnt(0)
	s_add_u32 s5, s0, s2
	s_addc_u32 s3, s1, s3
	s_lshl_b32 s0, s14, 6
	s_mul_i32 s2, s4, s15
	s_ashr_i32 s1, s0, 31
	s_delay_alu instid0(SALU_CYCLE_1) | instskip(NEXT) | instid1(SALU_CYCLE_1)
	s_lshl_b64 s[0:1], s[0:1], 1
	s_add_u32 s4, s5, s0
	s_addc_u32 s5, s3, s1
	s_ashr_i32 s3, s2, 31
	s_delay_alu instid0(SALU_CYCLE_1) | instskip(NEXT) | instid1(SALU_CYCLE_1)
	s_lshl_b64 s[0:1], s[2:3], 1
	s_add_u32 s0, s4, s0
	s_addc_u32 s1, s5, s1
	global_store_b128 v4, v[0:3], s[0:1]
	s_nop 0
	s_sendmsg sendmsg(MSG_DEALLOC_VGPRS)
	s_endpgm
	.section	.rodata,"a",@progbits
	.p2align	6, 0x0
	.amdhsa_kernel _Z39paged_attention_ll4mi_QKV_mfma16_kernelI14__hip_bfloat16S0_LN4vllm18Fp8KVCacheDataTypeE0ES0_Li32ELi64ELi256ELb1ELi1EL8MFMAType0EEvPKT_PKT0_S9_ifPKiSB_SB_iPKfiiiPfSE_PS4_PT2_iSD_SD_
		.amdhsa_group_segment_fixed_size 17472
		.amdhsa_private_segment_fixed_size 0
		.amdhsa_kernarg_size 400
		.amdhsa_user_sgpr_count 13
		.amdhsa_user_sgpr_dispatch_ptr 0
		.amdhsa_user_sgpr_queue_ptr 0
		.amdhsa_user_sgpr_kernarg_segment_ptr 1
		.amdhsa_user_sgpr_dispatch_id 0
		.amdhsa_user_sgpr_private_segment_size 0
		.amdhsa_wavefront_size32 1
		.amdhsa_uses_dynamic_stack 0
		.amdhsa_enable_private_segment 0
		.amdhsa_system_sgpr_workgroup_id_x 1
		.amdhsa_system_sgpr_workgroup_id_y 1
		.amdhsa_system_sgpr_workgroup_id_z 1
		.amdhsa_system_sgpr_workgroup_info 0
		.amdhsa_system_vgpr_workitem_id 0
		.amdhsa_next_free_vgpr 138
		.amdhsa_next_free_sgpr 69
		.amdhsa_reserve_vcc 1
		.amdhsa_float_round_mode_32 0
		.amdhsa_float_round_mode_16_64 0
		.amdhsa_float_denorm_mode_32 3
		.amdhsa_float_denorm_mode_16_64 3
		.amdhsa_dx10_clamp 1
		.amdhsa_ieee_mode 1
		.amdhsa_fp16_overflow 0
		.amdhsa_workgroup_processor_mode 1
		.amdhsa_memory_ordered 1
		.amdhsa_forward_progress 0
		.amdhsa_shared_vgpr_count 0
		.amdhsa_exception_fp_ieee_invalid_op 0
		.amdhsa_exception_fp_denorm_src 0
		.amdhsa_exception_fp_ieee_div_zero 0
		.amdhsa_exception_fp_ieee_overflow 0
		.amdhsa_exception_fp_ieee_underflow 0
		.amdhsa_exception_fp_ieee_inexact 0
		.amdhsa_exception_int_div_zero 0
	.end_amdhsa_kernel
	.section	.text._Z39paged_attention_ll4mi_QKV_mfma16_kernelI14__hip_bfloat16S0_LN4vllm18Fp8KVCacheDataTypeE0ES0_Li32ELi64ELi256ELb1ELi1EL8MFMAType0EEvPKT_PKT0_S9_ifPKiSB_SB_iPKfiiiPfSE_PS4_PT2_iSD_SD_,"axG",@progbits,_Z39paged_attention_ll4mi_QKV_mfma16_kernelI14__hip_bfloat16S0_LN4vllm18Fp8KVCacheDataTypeE0ES0_Li32ELi64ELi256ELb1ELi1EL8MFMAType0EEvPKT_PKT0_S9_ifPKiSB_SB_iPKfiiiPfSE_PS4_PT2_iSD_SD_,comdat
.Lfunc_end554:
	.size	_Z39paged_attention_ll4mi_QKV_mfma16_kernelI14__hip_bfloat16S0_LN4vllm18Fp8KVCacheDataTypeE0ES0_Li32ELi64ELi256ELb1ELi1EL8MFMAType0EEvPKT_PKT0_S9_ifPKiSB_SB_iPKfiiiPfSE_PS4_PT2_iSD_SD_, .Lfunc_end554-_Z39paged_attention_ll4mi_QKV_mfma16_kernelI14__hip_bfloat16S0_LN4vllm18Fp8KVCacheDataTypeE0ES0_Li32ELi64ELi256ELb1ELi1EL8MFMAType0EEvPKT_PKT0_S9_ifPKiSB_SB_iPKfiiiPfSE_PS4_PT2_iSD_SD_
                                        ; -- End function
	.section	.AMDGPU.csdata,"",@progbits
; Kernel info:
; codeLenInByte = 9120
; NumSgprs: 71
; NumVgprs: 138
; ScratchSize: 0
; MemoryBound: 1
; FloatMode: 240
; IeeeMode: 1
; LDSByteSize: 17472 bytes/workgroup (compile time only)
; SGPRBlocks: 8
; VGPRBlocks: 17
; NumSGPRsForWavesPerEU: 71
; NumVGPRsForWavesPerEU: 138
; Occupancy: 10
; WaveLimiterHint : 1
; COMPUTE_PGM_RSRC2:SCRATCH_EN: 0
; COMPUTE_PGM_RSRC2:USER_SGPR: 13
; COMPUTE_PGM_RSRC2:TRAP_HANDLER: 0
; COMPUTE_PGM_RSRC2:TGID_X_EN: 1
; COMPUTE_PGM_RSRC2:TGID_Y_EN: 1
; COMPUTE_PGM_RSRC2:TGID_Z_EN: 1
; COMPUTE_PGM_RSRC2:TIDIG_COMP_CNT: 0
	.section	.text._Z39paged_attention_ll4mi_QKV_mfma16_kernelI14__hip_bfloat16S0_LN4vllm18Fp8KVCacheDataTypeE0ES0_Li32ELi64ELi256ELb1ELi2EL8MFMAType0EEvPKT_PKT0_S9_ifPKiSB_SB_iPKfiiiPfSE_PS4_PT2_iSD_SD_,"axG",@progbits,_Z39paged_attention_ll4mi_QKV_mfma16_kernelI14__hip_bfloat16S0_LN4vllm18Fp8KVCacheDataTypeE0ES0_Li32ELi64ELi256ELb1ELi2EL8MFMAType0EEvPKT_PKT0_S9_ifPKiSB_SB_iPKfiiiPfSE_PS4_PT2_iSD_SD_,comdat
	.protected	_Z39paged_attention_ll4mi_QKV_mfma16_kernelI14__hip_bfloat16S0_LN4vllm18Fp8KVCacheDataTypeE0ES0_Li32ELi64ELi256ELb1ELi2EL8MFMAType0EEvPKT_PKT0_S9_ifPKiSB_SB_iPKfiiiPfSE_PS4_PT2_iSD_SD_ ; -- Begin function _Z39paged_attention_ll4mi_QKV_mfma16_kernelI14__hip_bfloat16S0_LN4vllm18Fp8KVCacheDataTypeE0ES0_Li32ELi64ELi256ELb1ELi2EL8MFMAType0EEvPKT_PKT0_S9_ifPKiSB_SB_iPKfiiiPfSE_PS4_PT2_iSD_SD_
	.globl	_Z39paged_attention_ll4mi_QKV_mfma16_kernelI14__hip_bfloat16S0_LN4vllm18Fp8KVCacheDataTypeE0ES0_Li32ELi64ELi256ELb1ELi2EL8MFMAType0EEvPKT_PKT0_S9_ifPKiSB_SB_iPKfiiiPfSE_PS4_PT2_iSD_SD_
	.p2align	8
	.type	_Z39paged_attention_ll4mi_QKV_mfma16_kernelI14__hip_bfloat16S0_LN4vllm18Fp8KVCacheDataTypeE0ES0_Li32ELi64ELi256ELb1ELi2EL8MFMAType0EEvPKT_PKT0_S9_ifPKiSB_SB_iPKfiiiPfSE_PS4_PT2_iSD_SD_,@function
_Z39paged_attention_ll4mi_QKV_mfma16_kernelI14__hip_bfloat16S0_LN4vllm18Fp8KVCacheDataTypeE0ES0_Li32ELi64ELi256ELb1ELi2EL8MFMAType0EEvPKT_PKT0_S9_ifPKiSB_SB_iPKfiiiPfSE_PS4_PT2_iSD_SD_: ; @_Z39paged_attention_ll4mi_QKV_mfma16_kernelI14__hip_bfloat16S0_LN4vllm18Fp8KVCacheDataTypeE0ES0_Li32ELi64ELi256ELb1ELi2EL8MFMAType0EEvPKT_PKT0_S9_ifPKiSB_SB_iPKfiiiPfSE_PS4_PT2_iSD_SD_
; %bb.0:
	s_load_b64 s[2:3], s[0:1], 0x30
	s_mov_b32 s30, s13
	s_waitcnt lgkmcnt(0)
	s_cmp_lg_u64 s[2:3], 0
	s_cselect_b32 s6, -1, 0
	s_ashr_i32 s31, s13, 31
	s_cmp_eq_u64 s[2:3], 0
	s_cbranch_scc1 .LBB555_3
; %bb.1:
	s_lshl_b64 s[4:5], s[30:31], 2
	s_delay_alu instid0(SALU_CYCLE_1) | instskip(SKIP_4) | instid1(SALU_CYCLE_1)
	s_add_u32 s4, s2, s4
	s_addc_u32 s5, s3, s5
	s_load_b64 s[4:5], s[4:5], 0x0
	s_waitcnt lgkmcnt(0)
	s_sub_i32 s4, s5, s4
	s_cmp_eq_u32 s4, 1
	s_cselect_b32 s4, -1, 0
	s_delay_alu instid0(SALU_CYCLE_1)
	s_and_not1_b32 vcc_lo, exec_lo, s4
	s_cbranch_vccz .LBB555_4
.LBB555_2:
	s_endpgm
.LBB555_3:
.LBB555_4:
	s_load_b64 s[8:9], s[0:1], 0x28
	s_lshl_b64 s[4:5], s[30:31], 2
	s_waitcnt lgkmcnt(0)
	s_add_u32 s8, s8, s4
	s_addc_u32 s9, s9, s5
	s_lshl_b32 s16, s14, 8
	s_load_b32 s17, s[8:9], 0x0
	s_waitcnt lgkmcnt(0)
	s_cmp_ge_i32 s16, s17
	s_cbranch_scc1 .LBB555_2
; %bb.5:
	s_and_not1_b32 vcc_lo, exec_lo, s6
	s_cbranch_vccnz .LBB555_7
; %bb.6:
	s_add_u32 s2, s2, s4
	s_addc_u32 s3, s3, s5
	s_load_b32 s3, s[2:3], 0x0
	s_branch .LBB555_8
.LBB555_7:
	s_mov_b32 s3, s30
.LBB555_8:
	s_clause 0x2
	s_load_b128 s[8:11], s[0:1], 0x8
	s_load_b64 s[12:13], s[0:1], 0x20
	s_load_b128 s[4:7], s[0:1], 0x48
	v_and_b32_e32 v73, 15, v0
	v_cmp_gt_u32_e32 vcc_lo, 32, v0
	v_bfe_u32 v86, v0, 4, 1
	s_lshl_b32 s31, s15, 1
	s_delay_alu instid0(VALU_DEP_3) | instskip(SKIP_1) | instid1(VALU_DEP_2)
	v_cmp_gt_u32_e64 s2, 8, v73
	v_lshlrev_b32_e32 v1, 3, v73
	s_and_b32 s29, vcc_lo, s2
	s_delay_alu instid0(SALU_CYCLE_1) | instskip(SKIP_2) | instid1(SALU_CYCLE_1)
	s_xor_b32 s2, s29, -1
	s_waitcnt lgkmcnt(0)
	s_and_saveexec_b32 s7, s2
	s_xor_b32 s2, exec_lo, s7
; %bb.9:
	v_mov_b32_e32 v2, 0
; %bb.10:
	s_or_saveexec_b32 s2, s2
	v_and_b32_e32 v74, 31, v0
	v_and_b32_e32 v85, 1, v0
	v_or_b32_e32 v84, s31, v86
	v_lshlrev_b32_e32 v83, 6, v86
	s_xor_b32 exec_lo, exec_lo, s2
	s_cbranch_execz .LBB555_12
; %bb.11:
	s_load_b64 s[18:19], s[0:1], 0x0
	v_lshlrev_b32_e32 v2, 6, v84
	s_mul_hi_i32 s21, s3, s4
	s_mul_i32 s20, s3, s4
	v_lshlrev_b32_e32 v4, 1, v1
	s_lshl_b64 s[20:21], s[20:21], 1
	v_ashrrev_i32_e32 v3, 31, v2
	v_lshlrev_b32_e32 v7, 10, v85
	s_delay_alu instid0(VALU_DEP_2) | instskip(SKIP_3) | instid1(VALU_DEP_1)
	v_lshlrev_b64 v[2:3], 1, v[2:3]
	s_waitcnt lgkmcnt(0)
	s_add_u32 s3, s18, s20
	s_addc_u32 s4, s19, s21
	v_add_co_u32 v2, vcc_lo, s3, v2
	s_delay_alu instid0(VALU_DEP_2) | instskip(NEXT) | instid1(VALU_DEP_2)
	v_add_co_ci_u32_e32 v3, vcc_lo, s4, v3, vcc_lo
	v_add_co_u32 v2, vcc_lo, v2, v4
	s_delay_alu instid0(VALU_DEP_2) | instskip(SKIP_2) | instid1(VALU_DEP_1)
	v_add_co_ci_u32_e32 v3, vcc_lo, 0, v3, vcc_lo
	global_load_b128 v[3:6], v[2:3], off
	v_lshlrev_b32_e32 v2, 10, v73
	v_and_b32_e32 v2, 0x3800, v2
	s_delay_alu instid0(VALU_DEP_1)
	v_or3_b32 v7, v2, v7, v83
	v_mov_b32_e32 v2, 0
	s_waitcnt vmcnt(0)
	ds_store_b128 v7, v[3:6]
.LBB555_12:
	s_or_b32 exec_lo, exec_lo, s2
	v_and_b32_e32 v3, 0xef, v0
	s_add_i32 s3, s17, 31
	s_clause 0x1
	s_load_b32 s2, s[0:1], 0x38
	s_load_b32 s18, s[0:1], 0x1c
	s_ashr_i32 s4, s3, 31
	v_add_nc_u32_e32 v3, s16, v3
	s_lshr_b32 s4, s4, 27
	s_waitcnt lgkmcnt(0)
	s_add_i32 s3, s3, s4
	s_barrier
	v_ashrrev_i32_e32 v4, 31, v3
	v_cmp_gt_i32_e32 vcc_lo, s17, v3
	s_ashr_i32 s4, s3, 5
	buffer_gl0_inv
	s_add_i32 s4, s4, -1
	v_lshrrev_b32_e32 v5, 27, v4
	v_or_b32_e32 v4, 16, v3
	v_lshlrev_b64 v[81:82], 1, v[1:2]
	v_lshrrev_b32_e32 v75, 5, v0
	v_lshlrev_b32_e32 v78, 6, v85
	v_add_nc_u32_e32 v6, v3, v5
	v_add_nc_u32_e32 v5, v4, v5
	s_mul_i32 s2, s30, s2
	s_delay_alu instid0(SALU_CYCLE_1) | instskip(NEXT) | instid1(VALU_DEP_2)
	s_ashr_i32 s3, s2, 31
	v_ashrrev_i32_e32 v6, 5, v6
	s_delay_alu instid0(VALU_DEP_2) | instskip(SKIP_1) | instid1(SALU_CYCLE_1)
	v_ashrrev_i32_e32 v5, 5, v5
	s_lshl_b64 s[2:3], s[2:3], 2
	s_add_u32 s19, s12, s2
	s_delay_alu instid0(VALU_DEP_2) | instskip(SKIP_3) | instid1(SALU_CYCLE_1)
	v_cndmask_b32_e32 v3, s4, v6, vcc_lo
	v_cmp_gt_i32_e32 vcc_lo, s17, v4
	s_addc_u32 s28, s13, s3
	s_mul_i32 s2, s15, s6
	s_ashr_i32 s3, s2, 31
	v_cndmask_b32_e32 v5, s4, v5, vcc_lo
	v_ashrrev_i32_e32 v4, 31, v3
	s_lshl_b64 s[2:3], s[2:3], 1
	s_delay_alu instid0(SALU_CYCLE_1) | instskip(NEXT) | instid1(VALU_DEP_2)
	s_add_u32 s15, s8, s2
	v_ashrrev_i32_e32 v6, 31, v5
	s_delay_alu instid0(VALU_DEP_2) | instskip(SKIP_2) | instid1(VALU_DEP_2)
	v_lshlrev_b64 v[3:4], 2, v[3:4]
	s_addc_u32 s26, s9, s3
	s_lshl_b32 s6, s14, 3
	v_lshlrev_b64 v[5:6], 2, v[5:6]
	s_ashr_i32 s7, s6, 31
	s_delay_alu instid0(VALU_DEP_2) | instskip(SKIP_1) | instid1(VALU_DEP_3)
	v_add_co_u32 v3, vcc_lo, s19, v3
	v_add_co_ci_u32_e32 v4, vcc_lo, s28, v4, vcc_lo
	v_add_co_u32 v5, vcc_lo, s19, v5
	s_delay_alu instid0(VALU_DEP_4)
	v_add_co_ci_u32_e32 v6, vcc_lo, s28, v6, vcc_lo
	s_lshl_b64 s[6:7], s[6:7], 2
	s_clause 0x1
	global_load_b32 v7, v[3:4], off
	global_load_b32 v8, v[5:6], off
	s_add_u32 s6, s19, s6
	s_addc_u32 s7, s28, s7
	s_or_b32 s8, s16, 32
	s_delay_alu instid0(SALU_CYCLE_1) | instskip(SKIP_2) | instid1(SALU_CYCLE_1)
	s_ashr_i32 s9, s8, 5
	s_cmp_lt_i32 s8, s17
	s_cselect_b32 s8, s9, s4
	s_ashr_i32 s9, s8, 31
	s_delay_alu instid0(SALU_CYCLE_1) | instskip(NEXT) | instid1(SALU_CYCLE_1)
	s_lshl_b64 s[8:9], s[8:9], 2
	s_add_u32 s8, s19, s8
	s_addc_u32 s9, s28, s9
	s_or_b32 s12, s16, 64
	s_delay_alu instid0(SALU_CYCLE_1) | instskip(SKIP_2) | instid1(SALU_CYCLE_1)
	s_ashr_i32 s13, s12, 5
	s_cmp_lt_i32 s12, s17
	s_cselect_b32 s12, s13, s4
	s_ashr_i32 s13, s12, 31
	s_delay_alu instid0(SALU_CYCLE_1) | instskip(NEXT) | instid1(SALU_CYCLE_1)
	s_lshl_b64 s[12:13], s[12:13], 2
	;; [unrolled: 10-line block ×5, first 2 shown]
	s_add_u32 s24, s19, s24
	s_addc_u32 s25, s28, s25
	s_clause 0x5
	s_load_b32 s33, s[6:7], 0x0
	s_load_b32 s34, s[8:9], 0x0
	;; [unrolled: 1-line block ×6, first 2 shown]
	s_or_b32 s6, s16, 0xc0
	s_mov_b32 s20, 0
	s_ashr_i32 s7, s6, 5
	s_cmp_lt_i32 s6, s17
	s_mov_b32 s27, s20
	s_cselect_b32 s6, s7, s4
	s_mov_b32 s21, s20
	s_ashr_i32 s7, s6, 31
	s_mov_b32 s22, s20
	s_lshl_b64 s[6:7], s[6:7], 2
	s_mov_b32 s23, s20
	s_add_u32 s6, s19, s6
	s_addc_u32 s7, s28, s7
	s_or_b32 s12, s16, 0xe0
	s_mov_b32 s24, s20
	s_mov_b32 s25, s20
	s_waitcnt lgkmcnt(0)
	s_mul_hi_i32 s9, s33, s5
	s_mul_i32 s8, s33, s5
	s_mul_hi_i32 s13, s34, s5
	s_waitcnt vmcnt(1)
	v_mad_i64_i32 v[3:4], null, v7, s5, 0
	s_waitcnt vmcnt(0)
	v_mad_i64_i32 v[5:6], null, v8, s5, 0
	s_delay_alu instid0(VALU_DEP_2) | instskip(NEXT) | instid1(VALU_DEP_2)
	v_lshlrev_b64 v[3:4], 1, v[3:4]
	v_lshlrev_b64 v[1:2], 1, v[5:6]
	s_delay_alu instid0(VALU_DEP_2) | instskip(NEXT) | instid1(VALU_DEP_3)
	v_add_co_u32 v3, vcc_lo, s15, v3
	v_add_co_ci_u32_e32 v4, vcc_lo, s26, v4, vcc_lo
	s_delay_alu instid0(VALU_DEP_3) | instskip(NEXT) | instid1(VALU_DEP_4)
	v_add_co_u32 v1, vcc_lo, s15, v1
	v_add_co_ci_u32_e32 v2, vcc_lo, s26, v2, vcc_lo
	s_delay_alu instid0(VALU_DEP_4) | instskip(NEXT) | instid1(VALU_DEP_4)
	v_add_co_u32 v41, vcc_lo, v3, v81
	v_add_co_ci_u32_e32 v42, vcc_lo, v4, v82, vcc_lo
	s_delay_alu instid0(VALU_DEP_4) | instskip(NEXT) | instid1(VALU_DEP_4)
	v_add_co_u32 v43, vcc_lo, v1, v81
	v_add_co_ci_u32_e32 v44, vcc_lo, v2, v82, vcc_lo
	s_clause 0xf
	global_load_b128 v[1:4], v[41:42], off
	global_load_b128 v[5:8], v[41:42], off offset:512
	global_load_b128 v[9:12], v[43:44], off offset:256
	;; [unrolled: 1-line block ×15, first 2 shown]
	s_ashr_i32 s15, s12, 5
	s_mov_b32 s26, s20
	s_cmp_lt_i32 s12, s17
	v_mov_b32_e32 v119, s27
	v_dual_mov_b32 v112, s20 :: v_dual_lshlrev_b32 v87, 6, v73
	v_dual_mov_b32 v118, s26 :: v_dual_mov_b32 v117, s25
	v_dual_mov_b32 v116, s24 :: v_dual_mov_b32 v115, s23
	;; [unrolled: 1-line block ×3, first 2 shown]
	s_cselect_b32 s20, s15, s4
	v_lshl_or_b32 v49, v75, 10, v87
	s_ashr_i32 s21, s20, 31
	ds_load_b128 v[41:44], v78
	ds_load_b128 v[45:48], v78 offset:1024
	s_lshl_b64 s[20:21], s[20:21], 2
	ds_load_b128 v[120:123], v78 offset:2048
	ds_load_b128 v[124:127], v78 offset:3072
	s_add_u32 s20, s19, s20
	s_addc_u32 s21, s28, s21
	s_add_i32 s15, s16, 0x100
	ds_load_b128 v[128:131], v78 offset:4096
	ds_load_b128 v[132:135], v78 offset:5120
	s_ashr_i32 s26, s15, 5
	s_cmp_lt_i32 s15, s17
	s_load_b32 s15, s[6:7], 0x0
	s_cselect_b32 s26, s26, s4
	s_mul_i32 s12, s34, s5
	s_ashr_i32 s27, s26, 31
	s_mul_hi_i32 s23, s35, s5
	s_lshl_b64 s[26:27], s[26:27], 2
	s_mul_i32 s22, s35, s5
	s_add_u32 s26, s19, s26
	s_addc_u32 s27, s28, s27
	s_add_u32 s4, s10, s2
	s_clause 0x1
	s_load_b32 s19, s[20:21], 0x0
	s_load_b32 s26, s[26:27], 0x0
	s_addc_u32 s27, s11, s3
	v_add_co_u32 v79, s4, s4, v49
	s_delay_alu instid0(VALU_DEP_1) | instskip(SKIP_2) | instid1(VALU_DEP_2)
	v_add_co_ci_u32_e64 v80, null, s27, 0, s4
	s_lshl_b64 s[2:3], s[8:9], 1
	s_lshl_b64 s[8:9], s[12:13], 1
	v_add_co_u32 v49, vcc_lo, v79, s2
	s_delay_alu instid0(VALU_DEP_2)
	v_add_co_ci_u32_e32 v50, vcc_lo, s3, v80, vcc_lo
	v_add_co_u32 v51, vcc_lo, v79, s8
	s_lshl_b64 s[10:11], s[22:23], 1
	s_mul_hi_i32 s25, s36, s5
	s_mul_i32 s24, s36, s5
	v_add_co_ci_u32_e32 v52, vcc_lo, s9, v80, vcc_lo
	v_add_co_u32 v53, vcc_lo, v79, s10
	s_lshl_b64 s[12:13], s[24:25], 1
	s_mul_hi_i32 s7, s37, s5
	s_mul_i32 s6, s37, s5
	;; [unrolled: 5-line block ×3, first 2 shown]
	v_add_co_ci_u32_e32 v77, vcc_lo, s13, v80, vcc_lo
	s_lshl_b64 s[20:21], s[34:35], 1
	s_waitcnt lgkmcnt(0)
	s_mul_hi_i32 s23, s15, s5
	s_mul_i32 s22, s15, s5
	s_mul_hi_i32 s3, s19, s5
	s_lshl_b64 s[22:23], s[22:23], 1
	s_mul_i32 s2, s19, s5
	s_clause 0x3
	global_load_b128 v[65:68], v[49:50], off
	global_load_b128 v[69:72], v[49:50], off offset:16
	global_load_b128 v[57:60], v[51:52], off
	global_load_b128 v[61:64], v[51:52], off offset:16
	s_lshl_b64 s[2:3], s[2:3], 1
	s_clause 0x1
	global_load_b128 v[49:52], v[53:54], off
	global_load_b128 v[53:56], v[53:54], off offset:16
	s_waitcnt vmcnt(20)
	v_wmma_f32_16x16x16_bf16 v[136:143], v[1:8], v[41:48], v[112:119]
	v_add_co_u32 v1, vcc_lo, v79, s6
	v_add_co_ci_u32_e32 v2, vcc_lo, s7, v80, vcc_lo
	v_add_co_u32 v5, vcc_lo, v79, s20
	v_add_co_ci_u32_e32 v6, vcc_lo, s21, v80, vcc_lo
	s_waitcnt vmcnt(16)
	v_wmma_f32_16x16x16_bf16 v[136:143], v[17:24], v[120:127], v[136:143]
	v_add_co_u32 v17, vcc_lo, v79, s22
	v_add_co_ci_u32_e32 v18, vcc_lo, s23, v80, vcc_lo
	v_add_co_u32 v19, vcc_lo, v79, s2
	v_add_co_ci_u32_e32 v20, vcc_lo, s3, v80, vcc_lo
	s_mul_hi_i32 s3, s26, s5
	s_mul_i32 s2, s26, s5
	v_wmma_f32_16x16x16_bf16 v[112:119], v[9:16], v[41:48], v[112:119]
	s_lshl_b64 s[2:3], s[2:3], 1
	s_clause 0x3
	global_load_b128 v[41:44], v[76:77], off
	global_load_b128 v[45:48], v[76:77], off offset:16
	global_load_b128 v[9:12], v[1:2], off
	global_load_b128 v[13:16], v[1:2], off offset:16
	v_add_co_u32 v21, vcc_lo, v79, s2
	s_waitcnt vmcnt(18)
	v_wmma_f32_16x16x16_bf16 v[112:119], v[25:32], v[120:127], v[112:119]
	v_add_co_ci_u32_e32 v22, vcc_lo, s3, v80, vcc_lo
	s_waitcnt vmcnt(16)
	v_wmma_f32_16x16x16_bf16 v[136:143], v[33:40], v[128:135], v[136:143]
	s_clause 0x5
	global_load_b128 v[1:4], v[5:6], off
	global_load_b128 v[5:8], v[5:6], off offset:16
	global_load_b128 v[33:36], v[17:18], off
	global_load_b128 v[37:40], v[17:18], off offset:16
	global_load_b128 v[25:28], v[19:20], off
	global_load_b128 v[29:32], v[19:20], off offset:16
	s_waitcnt vmcnt(20)
	v_wmma_f32_16x16x16_bf16 v[112:119], v[88:95], v[128:135], v[112:119]
	ds_load_b128 v[88:91], v78 offset:6144
	ds_load_b128 v[92:95], v78 offset:7168
	s_clause 0x1
	global_load_b128 v[17:20], v[21:22], off
	global_load_b128 v[21:24], v[21:22], off offset:16
	v_and_b32_e32 v76, 0xe0, v0
	v_mbcnt_lo_u32_b32 v77, -1, 0
	s_waitcnt vmcnt(0) lgkmcnt(0)
	s_barrier
	buffer_gl0_inv
	v_add_nc_u32_e32 v76, s16, v76
	v_xor_b32_e32 v78, 16, v77
	s_delay_alu instid0(VALU_DEP_2) | instskip(NEXT) | instid1(VALU_DEP_2)
	v_or_b32_e32 v76, v76, v86
	v_cmp_gt_i32_e32 vcc_lo, 32, v78
	s_delay_alu instid0(VALU_DEP_2)
	v_or_b32_e32 v79, 4, v76
	v_or_b32_e32 v80, 6, v76
	v_wmma_f32_16x16x16_bf16 v[136:143], v[96:103], v[88:95], v[136:143]
	v_cndmask_b32_e32 v77, v77, v78, vcc_lo
	v_or_b32_e32 v78, 2, v76
	v_cmp_gt_i32_e32 vcc_lo, s17, v76
	v_wmma_f32_16x16x16_bf16 v[112:119], v[104:111], v[88:95], v[112:119]
	v_mul_f32_e32 v100, s18, v137
	v_mul_f32_e32 v98, s18, v136
	v_cmp_gt_i32_e64 s2, s17, v78
	v_or_b32_e32 v88, 8, v76
	v_or_b32_e32 v89, 10, v76
	;; [unrolled: 1-line block ×12, first 2 shown]
	v_cndmask_b32_e32 v76, 0xff7fffff, v98, vcc_lo
	v_cndmask_b32_e64 v78, 0xff7fffff, v100, s2
	v_mul_f32_e32 v100, s18, v139
	v_cmp_gt_i32_e64 s3, s17, v80
	v_mul_f32_e32 v80, s18, v138
	v_cmp_gt_i32_e64 s4, s17, v79
	v_dual_mul_f32 v98, s18, v143 :: v_dual_mul_f32 v79, s18, v141
	v_cmp_gt_i32_e64 s5, s17, v88
	v_cmp_gt_i32_e64 s6, s17, v89
	s_delay_alu instid0(VALU_DEP_4)
	v_cndmask_b32_e64 v80, 0xff7fffff, v80, s4
	v_mul_f32_e32 v89, s18, v118
	v_cndmask_b32_e64 v100, 0xff7fffff, v100, s3
	v_cmp_gt_i32_e64 s7, s17, v91
	v_cmp_gt_i32_e64 s8, s17, v90
	;; [unrolled: 1-line block ×10, first 2 shown]
	v_lshlrev_b32_e32 v101, 2, v77
	v_max3_f32 v76, v76, 0xff7fffff, v78
	v_dual_mul_f32 v78, s18, v140 :: v_dual_mul_f32 v91, s18, v113
	v_cndmask_b32_e64 v79, 0xff7fffff, v79, s6
	v_mul_f32_e32 v90, s18, v112
	s_delay_alu instid0(VALU_DEP_4) | instskip(NEXT) | instid1(VALU_DEP_4)
	v_max3_f32 v76, v76, v80, v100
	v_cndmask_b32_e64 v78, 0xff7fffff, v78, s5
	v_mul_f32_e32 v80, s18, v142
	v_cndmask_b32_e64 v98, 0xff7fffff, v98, s7
	v_mul_f32_e32 v92, s18, v114
	v_cndmask_b32_e64 v90, 0xff7fffff, v90, s9
	v_max3_f32 v76, v76, v78, v79
	v_cndmask_b32_e64 v80, 0xff7fffff, v80, s8
	v_mul_f32_e32 v79, s18, v115
	v_cndmask_b32_e64 v91, 0xff7fffff, v91, s10
	v_mul_f32_e32 v100, s18, v117
	v_mul_f32_e32 v78, s18, v116
	v_max3_f32 v76, v76, v80, v98
	v_cndmask_b32_e64 v80, 0xff7fffff, v92, s11
	v_cndmask_b32_e64 v79, 0xff7fffff, v79, s12
	v_mul_f32_e32 v88, s18, v119
	v_cndmask_b32_e64 v78, 0xff7fffff, v78, s13
	v_max3_f32 v76, v76, v90, v91
	v_cndmask_b32_e64 v90, 0xff7fffff, v100, s15
	s_delay_alu instid0(VALU_DEP_2) | instskip(SKIP_2) | instid1(VALU_DEP_3)
	v_max3_f32 v76, v76, v80, v79
	v_cndmask_b32_e64 v79, 0xff7fffff, v89, s16
	v_cndmask_b32_e64 v80, 0xff7fffff, v88, s17
	v_max3_f32 v76, v76, v78, v90
	s_delay_alu instid0(VALU_DEP_1) | instskip(SKIP_3) | instid1(VALU_DEP_1)
	v_max3_f32 v76, v76, v79, v80
	ds_bpermute_b32 v77, v101, v76
	s_waitcnt lgkmcnt(0)
	v_max_f32_e32 v77, v77, v77
	v_max_f32_e32 v91, v76, v77
	s_delay_alu instid0(VALU_DEP_1)
	v_fma_f32 v77, s18, v137, -v91
	v_fma_f32 v78, s18, v138, -v91
	;; [unrolled: 1-line block ×5, first 2 shown]
	v_mul_f32_e32 v77, 0x3fb8aa3b, v77
	v_fma_f32 v88, s18, v142, -v91
	v_fma_f32 v89, s18, v116, -v91
	v_mul_f32_e32 v79, 0x3fb8aa3b, v79
	v_fma_f32 v100, s18, v118, -v91
	v_exp_f32_e32 v77, v77
	s_delay_alu instid0(VALU_DEP_3) | instskip(NEXT) | instid1(VALU_DEP_3)
	v_dual_mul_f32 v88, 0x3fb8aa3b, v88 :: v_dual_mul_f32 v89, 0x3fb8aa3b, v89
	v_exp_f32_e32 v79, v79
	v_fma_f32 v102, s18, v119, -v91
	s_delay_alu instid0(VALU_DEP_2) | instskip(NEXT) | instid1(VALU_DEP_2)
	v_exp_f32_e32 v88, v88
	v_exp_f32_e32 v89, v89
	s_delay_alu instid0(VALU_DEP_1) | instskip(SKIP_3) | instid1(TRANS32_DEP_3)
	v_mul_f32_e32 v102, 0x3fb8aa3b, v102
	v_cndmask_b32_e64 v92, 0, v77, s2
	v_mul_f32_e32 v78, 0x3fb8aa3b, v78
	s_mov_b32 s2, exec_lo
	v_cndmask_b32_e64 v96, 0, v79, s3
	v_fma_f32 v79, s18, v112, -v91
	v_mul_f32_e32 v80, 0x3fb8aa3b, v80
	v_exp_f32_e32 v78, v78
	v_cndmask_b32_e64 v95, 0, v88, s8
	v_fma_f32 v88, s18, v115, -v91
	v_mul_f32_e32 v79, 0x3fb8aa3b, v79
	v_exp_f32_e32 v80, v80
	v_exp_f32_e32 v102, v102
	s_delay_alu instid0(VALU_DEP_2) | instskip(NEXT) | instid1(VALU_DEP_2)
	v_mul_f32_e32 v88, 0x3fb8aa3b, v88
	v_exp_f32_e32 v79, v79
	v_cndmask_b32_e64 v94, 0, v78, s4
	v_mul_f32_e32 v76, 0x3fb8aa3b, v76
	v_fma_f32 v78, s18, v143, -v91
	v_exp_f32_e32 v88, v88
	v_cndmask_b32_e64 v97, 0, v80, s5
	v_fma_f32 v80, s18, v113, -v91
	v_exp_f32_e32 v76, v76
	s_delay_alu instid0(VALU_DEP_1) | instskip(NEXT) | instid1(VALU_DEP_1)
	v_mul_f32_e32 v80, 0x3fb8aa3b, v80
	v_exp_f32_e32 v80, v80
	s_waitcnt_depctr 0xfff
	v_cndmask_b32_e32 v93, 0, v76, vcc_lo
	v_fma_f32 v76, s18, v141, -v91
	s_delay_alu instid0(VALU_DEP_1) | instskip(NEXT) | instid1(VALU_DEP_1)
	v_dual_add_f32 v77, 0, v93 :: v_dual_mul_f32 v76, 0x3fb8aa3b, v76
	v_add_f32_e32 v77, v77, v92
	s_delay_alu instid0(VALU_DEP_2) | instskip(NEXT) | instid1(VALU_DEP_1)
	v_exp_f32_e32 v76, v76
	v_add_f32_e32 v77, v77, v94
	s_delay_alu instid0(VALU_DEP_1) | instskip(NEXT) | instid1(VALU_DEP_1)
	v_dual_mul_f32 v78, 0x3fb8aa3b, v78 :: v_dual_add_f32 v77, v77, v96
	v_exp_f32_e32 v78, v78
	s_waitcnt_depctr 0xfff
	v_cndmask_b32_e64 v98, 0, v76, s6
	v_add_f32_e32 v76, v77, v97
	v_fma_f32 v77, s18, v114, -v91
	s_delay_alu instid0(VALU_DEP_1) | instskip(SKIP_1) | instid1(VALU_DEP_2)
	v_dual_add_f32 v76, v76, v98 :: v_dual_mul_f32 v77, 0x3fb8aa3b, v77
	v_cndmask_b32_e64 v99, 0, v78, s7
	v_add_f32_e32 v78, v76, v95
	s_delay_alu instid0(VALU_DEP_3) | instskip(SKIP_4) | instid1(VALU_DEP_1)
	v_exp_f32_e32 v90, v77
	v_cndmask_b32_e64 v76, 0, v79, s9
	v_fma_f32 v79, s18, v117, -v91
	v_cndmask_b32_e64 v77, 0, v80, s10
	v_add_f32_e32 v78, v78, v99
	v_dual_mul_f32 v79, 0x3fb8aa3b, v79 :: v_dual_add_f32 v80, v78, v76
	s_waitcnt_depctr 0xfff
	v_cndmask_b32_e64 v78, 0, v90, s11
	v_mul_f32_e32 v90, 0x3fb8aa3b, v100
	v_exp_f32_e32 v100, v79
	v_cndmask_b32_e64 v79, 0, v88, s12
	v_add_f32_e32 v80, v80, v77
	s_delay_alu instid0(VALU_DEP_3) | instskip(NEXT) | instid1(VALU_DEP_1)
	v_exp_f32_e32 v90, v90
	v_add_f32_e32 v88, v80, v78
	v_cndmask_b32_e64 v80, 0, v89, s13
	s_delay_alu instid0(VALU_DEP_2) | instskip(NEXT) | instid1(TRANS32_DEP_2)
	v_add_f32_e32 v89, v88, v79
	v_cndmask_b32_e64 v88, 0, v100, s15
	s_delay_alu instid0(VALU_DEP_2) | instskip(SKIP_3) | instid1(VALU_DEP_1)
	v_add_f32_e32 v100, v89, v80
	s_waitcnt_depctr 0xfff
	v_cndmask_b32_e64 v89, 0, v90, s16
	v_add_f32_e32 v90, v100, v88
	v_add_f32_e32 v100, v90, v89
	v_cndmask_b32_e64 v90, 0, v102, s17
	s_delay_alu instid0(VALU_DEP_1)
	v_add_f32_e32 v100, v100, v90
	ds_bpermute_b32 v101, v101, v100
	v_cmpx_gt_u32_e32 16, v74
	s_cbranch_execz .LBB555_14
; %bb.13:
	v_mul_u32_u24_e32 v74, 0x44, v75
	s_waitcnt lgkmcnt(0)
	v_add_f32_e32 v100, v100, v101
	s_delay_alu instid0(VALU_DEP_2) | instskip(NEXT) | instid1(VALU_DEP_1)
	v_lshl_add_u32 v74, v73, 2, v74
	v_add_nc_u32_e32 v74, 0x4000, v74
	ds_store_2addr_b32 v74, v91, v100 offset1:136
.LBB555_14:
	s_or_b32 exec_lo, exec_lo, s2
	v_lshlrev_b32_e32 v73, 2, v73
	s_waitcnt lgkmcnt(0)
	s_barrier
	buffer_gl0_inv
	v_cmp_eq_u32_e64 s2, 1, v75
	v_add_nc_u32_e32 v91, 0x4000, v73
	ds_load_2addr_b32 v[100:101], v91 offset1:17
	ds_load_2addr_b32 v[102:103], v91 offset0:34 offset1:51
	ds_load_2addr_b32 v[104:105], v91 offset0:68 offset1:85
	;; [unrolled: 1-line block ×4, first 2 shown]
	s_waitcnt lgkmcnt(4)
	v_max3_f32 v73, v100, 0xff7fffff, v101
	s_waitcnt lgkmcnt(3)
	s_delay_alu instid0(VALU_DEP_1) | instskip(SKIP_1) | instid1(VALU_DEP_1)
	v_max3_f32 v73, v73, v102, v103
	s_waitcnt lgkmcnt(2)
	v_max3_f32 v73, v73, v104, v105
	s_waitcnt lgkmcnt(1)
	s_delay_alu instid0(VALU_DEP_1) | instskip(NEXT) | instid1(VALU_DEP_1)
	v_max3_f32 v73, v73, v106, v107
	v_sub_f32_e32 v74, v100, v73
	v_sub_f32_e32 v102, v102, v73
	;; [unrolled: 1-line block ×3, first 2 shown]
	s_delay_alu instid0(VALU_DEP_3) | instskip(NEXT) | instid1(VALU_DEP_3)
	v_mul_f32_e32 v74, 0x3fb8aa3b, v74
	v_mul_f32_e32 v112, 0x3fb8aa3b, v102
	s_delay_alu instid0(VALU_DEP_3) | instskip(NEXT) | instid1(VALU_DEP_3)
	v_mul_f32_e32 v114, 0x3fb8aa3b, v104
	v_exp_f32_e32 v111, v74
	v_sub_f32_e32 v74, v103, v73
	v_sub_f32_e32 v110, v101, v73
	ds_load_2addr_b32 v[100:101], v91 offset0:170 offset1:187
	v_exp_f32_e32 v112, v112
	v_mul_f32_e32 v113, 0x3fb8aa3b, v74
	v_mul_f32_e32 v110, 0x3fb8aa3b, v110
	s_waitcnt lgkmcnt(1)
	v_fma_f32 v74, v111, v108, 0
	v_sub_f32_e32 v108, v105, v73
	s_delay_alu instid0(VALU_DEP_3) | instskip(SKIP_4) | instid1(VALU_DEP_1)
	v_exp_f32_e32 v110, v110
	v_exp_f32_e32 v113, v113
	s_waitcnt_depctr 0xfff
	v_fmac_f32_e32 v74, v110, v109
	s_waitcnt lgkmcnt(0)
	v_fmac_f32_e32 v74, v112, v100
	ds_load_2addr_b32 v[102:103], v91 offset0:204 offset1:221
	ds_load_2addr_b32 v[104:105], v91 offset0:238 offset1:255
	v_dual_sub_f32 v91, v106, v73 :: v_dual_mul_f32 v106, 0x3fb8aa3b, v108
	v_exp_f32_e32 v108, v114
	v_sub_f32_e32 v100, v107, v73
	s_delay_alu instid0(VALU_DEP_2) | instskip(NEXT) | instid1(VALU_DEP_3)
	v_dual_fmac_f32 v74, v113, v101 :: v_dual_mul_f32 v91, 0x3fb8aa3b, v91
	v_exp_f32_e32 v106, v106
	s_waitcnt lgkmcnt(0)
	s_delay_alu instid0(VALU_DEP_2)
	v_mul_f32_e32 v100, 0x3fb8aa3b, v100
	s_barrier
	v_exp_f32_e32 v91, v91
	buffer_gl0_inv
	v_exp_f32_e32 v100, v100
	v_fmac_f32_e32 v74, v108, v102
	s_delay_alu instid0(VALU_DEP_1) | instskip(NEXT) | instid1(VALU_DEP_1)
	v_fmac_f32_e32 v74, v106, v103
	v_fmac_f32_e32 v74, v91, v104
	s_waitcnt_depctr 0xfff
	v_fmac_f32_e32 v74, v100, v105
	s_delay_alu instid0(VALU_DEP_1) | instskip(NEXT) | instid1(VALU_DEP_1)
	v_add_f32_e32 v101, 0x358637bd, v74
	v_div_scale_f32 v102, null, v101, v101, 1.0
	v_div_scale_f32 v105, vcc_lo, 1.0, v101, 1.0
	s_delay_alu instid0(VALU_DEP_2) | instskip(SKIP_2) | instid1(VALU_DEP_1)
	v_rcp_f32_e32 v103, v102
	s_waitcnt_depctr 0xfff
	v_fma_f32 v104, -v102, v103, 1.0
	v_fmac_f32_e32 v103, v104, v103
	v_cndmask_b32_e64 v104, v111, v110, s2
	v_cmp_eq_u32_e64 s2, 2, v75
	s_delay_alu instid0(VALU_DEP_3) | instskip(NEXT) | instid1(VALU_DEP_2)
	v_mul_f32_e32 v107, v105, v103
	v_cndmask_b32_e64 v104, v104, v112, s2
	v_cmp_eq_u32_e64 s2, 3, v75
	s_delay_alu instid0(VALU_DEP_3) | instskip(NEXT) | instid1(VALU_DEP_2)
	v_fma_f32 v109, -v102, v107, v105
	v_cndmask_b32_e64 v104, v104, v113, s2
	v_cmp_eq_u32_e64 s2, 4, v75
	s_delay_alu instid0(VALU_DEP_3) | instskip(NEXT) | instid1(VALU_DEP_2)
	v_fmac_f32_e32 v107, v109, v103
	v_cndmask_b32_e64 v104, v104, v108, s2
	s_delay_alu instid0(VALU_DEP_2) | instskip(SKIP_1) | instid1(VALU_DEP_2)
	v_fma_f32 v102, -v102, v107, v105
	v_cmp_eq_u32_e64 s2, 5, v75
	v_div_fmas_f32 v102, v102, v103, v107
	s_delay_alu instid0(VALU_DEP_2) | instskip(SKIP_2) | instid1(VALU_DEP_3)
	v_cndmask_b32_e64 v104, v104, v106, s2
	v_cmp_eq_u32_e32 vcc_lo, 6, v75
	s_mov_b32 s2, exec_lo
	v_div_fixup_f32 v101, v102, v101, 1.0
	s_delay_alu instid0(VALU_DEP_3) | instskip(SKIP_1) | instid1(VALU_DEP_2)
	v_cndmask_b32_e32 v91, v104, v91, vcc_lo
	v_cmp_eq_u32_e32 vcc_lo, 7, v75
	v_cndmask_b32_e32 v91, v91, v100, vcc_lo
	s_delay_alu instid0(VALU_DEP_1) | instskip(NEXT) | instid1(VALU_DEP_1)
	v_mul_f32_e32 v91, v91, v101
	v_mul_f32_e32 v101, v91, v93
	;; [unrolled: 1-line block ×6, first 2 shown]
	v_dual_mul_f32 v97, v91, v94 :: v_dual_and_b32 v102, 0x7f800000, v101
	v_mul_f32_e32 v100, v91, v96
	v_mul_f32_e32 v96, v91, v92
                                        ; implicit-def: $vgpr92
	s_delay_alu instid0(VALU_DEP_3)
	v_cmpx_ne_u32_e32 0x7f800000, v102
	s_xor_b32 s2, exec_lo, s2
; %bb.15:
	v_bfe_u32 v92, v101, 16, 1
	s_delay_alu instid0(VALU_DEP_1)
	v_add3_u32 v92, v101, v92, 0x7fff
                                        ; implicit-def: $vgpr101
; %bb.16:
	s_and_not1_saveexec_b32 s2, s2
; %bb.17:
	v_and_b32_e32 v92, 0xffff, v101
	v_or_b32_e32 v94, 0x10000, v101
	s_delay_alu instid0(VALU_DEP_2) | instskip(NEXT) | instid1(VALU_DEP_2)
	v_cmp_eq_u32_e32 vcc_lo, 0, v92
	v_cndmask_b32_e32 v92, v94, v101, vcc_lo
; %bb.18:
	s_or_b32 exec_lo, exec_lo, s2
	v_and_b32_e32 v94, 0x7f800000, v96
	s_delay_alu instid0(VALU_DEP_1) | instskip(SKIP_1) | instid1(SALU_CYCLE_1)
	v_cmp_ne_u32_e32 vcc_lo, 0x7f800000, v94
                                        ; implicit-def: $vgpr94
	s_and_saveexec_b32 s2, vcc_lo
	s_xor_b32 s2, exec_lo, s2
; %bb.19:
	v_bfe_u32 v94, v96, 16, 1
	s_delay_alu instid0(VALU_DEP_1)
	v_add3_u32 v94, v96, v94, 0x7fff
                                        ; implicit-def: $vgpr96
; %bb.20:
	s_and_not1_saveexec_b32 s2, s2
; %bb.21:
	v_and_b32_e32 v94, 0xffff, v96
	v_or_b32_e32 v101, 0x10000, v96
	s_delay_alu instid0(VALU_DEP_2) | instskip(NEXT) | instid1(VALU_DEP_2)
	v_cmp_eq_u32_e32 vcc_lo, 0, v94
	v_cndmask_b32_e32 v94, v101, v96, vcc_lo
; %bb.22:
	s_or_b32 exec_lo, exec_lo, s2
	v_and_b32_e32 v96, 0x7f800000, v97
	s_delay_alu instid0(VALU_DEP_1) | instskip(SKIP_1) | instid1(SALU_CYCLE_1)
	v_cmp_ne_u32_e32 vcc_lo, 0x7f800000, v96
                                        ; implicit-def: $vgpr96
	s_and_saveexec_b32 s2, vcc_lo
	s_xor_b32 s2, exec_lo, s2
; %bb.23:
	v_bfe_u32 v96, v97, 16, 1
	s_delay_alu instid0(VALU_DEP_1)
	v_add3_u32 v96, v97, v96, 0x7fff
                                        ; implicit-def: $vgpr97
; %bb.24:
	s_and_not1_saveexec_b32 s2, s2
; %bb.25:
	v_and_b32_e32 v96, 0xffff, v97
	v_or_b32_e32 v101, 0x10000, v97
	s_delay_alu instid0(VALU_DEP_2) | instskip(NEXT) | instid1(VALU_DEP_2)
	v_cmp_eq_u32_e32 vcc_lo, 0, v96
	v_cndmask_b32_e32 v96, v101, v97, vcc_lo
; %bb.26:
	s_or_b32 exec_lo, exec_lo, s2
	v_and_b32_e32 v97, 0x7f800000, v100
	s_delay_alu instid0(VALU_DEP_1) | instskip(SKIP_1) | instid1(SALU_CYCLE_1)
	v_cmp_ne_u32_e32 vcc_lo, 0x7f800000, v97
                                        ; implicit-def: $vgpr97
	s_and_saveexec_b32 s2, vcc_lo
	s_xor_b32 s2, exec_lo, s2
; %bb.27:
	v_bfe_u32 v97, v100, 16, 1
	s_delay_alu instid0(VALU_DEP_1)
	v_add3_u32 v97, v100, v97, 0x7fff
                                        ; implicit-def: $vgpr100
; %bb.28:
	s_and_not1_saveexec_b32 s2, s2
; %bb.29:
	v_and_b32_e32 v97, 0xffff, v100
	v_or_b32_e32 v101, 0x10000, v100
	s_delay_alu instid0(VALU_DEP_2) | instskip(NEXT) | instid1(VALU_DEP_2)
	v_cmp_eq_u32_e32 vcc_lo, 0, v97
	v_cndmask_b32_e32 v97, v101, v100, vcc_lo
; %bb.30:
	s_or_b32 exec_lo, exec_lo, s2
	v_and_b32_e32 v100, 0x7f800000, v99
	s_delay_alu instid0(VALU_DEP_1) | instskip(SKIP_1) | instid1(SALU_CYCLE_1)
	v_cmp_ne_u32_e32 vcc_lo, 0x7f800000, v100
                                        ; implicit-def: $vgpr100
	s_and_saveexec_b32 s2, vcc_lo
	s_xor_b32 s2, exec_lo, s2
; %bb.31:
	v_bfe_u32 v100, v99, 16, 1
	s_delay_alu instid0(VALU_DEP_1)
	v_add3_u32 v100, v99, v100, 0x7fff
                                        ; implicit-def: $vgpr99
; %bb.32:
	s_and_not1_saveexec_b32 s2, s2
; %bb.33:
	v_and_b32_e32 v100, 0xffff, v99
	v_or_b32_e32 v101, 0x10000, v99
	s_delay_alu instid0(VALU_DEP_2) | instskip(NEXT) | instid1(VALU_DEP_2)
	v_cmp_eq_u32_e32 vcc_lo, 0, v100
	v_cndmask_b32_e32 v100, v101, v99, vcc_lo
; %bb.34:
	s_or_b32 exec_lo, exec_lo, s2
	v_and_b32_e32 v99, 0x7f800000, v98
	s_delay_alu instid0(VALU_DEP_1) | instskip(SKIP_1) | instid1(SALU_CYCLE_1)
	v_cmp_ne_u32_e32 vcc_lo, 0x7f800000, v99
                                        ; implicit-def: $vgpr99
	s_and_saveexec_b32 s2, vcc_lo
	s_xor_b32 s2, exec_lo, s2
; %bb.35:
	v_bfe_u32 v99, v98, 16, 1
	s_delay_alu instid0(VALU_DEP_1)
	v_add3_u32 v99, v98, v99, 0x7fff
                                        ; implicit-def: $vgpr98
; %bb.36:
	s_and_not1_saveexec_b32 s2, s2
; %bb.37:
	v_and_b32_e32 v99, 0xffff, v98
	v_or_b32_e32 v101, 0x10000, v98
	s_delay_alu instid0(VALU_DEP_2) | instskip(NEXT) | instid1(VALU_DEP_2)
	v_cmp_eq_u32_e32 vcc_lo, 0, v99
	v_cndmask_b32_e32 v99, v101, v98, vcc_lo
; %bb.38:
	s_or_b32 exec_lo, exec_lo, s2
	v_and_b32_e32 v98, 0x7f800000, v95
	s_delay_alu instid0(VALU_DEP_1) | instskip(SKIP_1) | instid1(SALU_CYCLE_1)
	v_cmp_ne_u32_e32 vcc_lo, 0x7f800000, v98
                                        ; implicit-def: $vgpr98
	s_and_saveexec_b32 s2, vcc_lo
	s_xor_b32 s2, exec_lo, s2
; %bb.39:
	v_bfe_u32 v98, v95, 16, 1
	s_delay_alu instid0(VALU_DEP_1)
	v_add3_u32 v98, v95, v98, 0x7fff
                                        ; implicit-def: $vgpr95
; %bb.40:
	s_and_not1_saveexec_b32 s2, s2
; %bb.41:
	v_and_b32_e32 v98, 0xffff, v95
	v_or_b32_e32 v101, 0x10000, v95
	s_delay_alu instid0(VALU_DEP_2) | instskip(NEXT) | instid1(VALU_DEP_2)
	v_cmp_eq_u32_e32 vcc_lo, 0, v98
	v_cndmask_b32_e32 v98, v101, v95, vcc_lo
; %bb.42:
	s_or_b32 exec_lo, exec_lo, s2
	v_and_b32_e32 v95, 0x7f800000, v93
	s_delay_alu instid0(VALU_DEP_1) | instskip(SKIP_1) | instid1(SALU_CYCLE_1)
	v_cmp_ne_u32_e32 vcc_lo, 0x7f800000, v95
                                        ; implicit-def: $vgpr95
	s_and_saveexec_b32 s2, vcc_lo
	s_xor_b32 s2, exec_lo, s2
; %bb.43:
	v_bfe_u32 v95, v93, 16, 1
	s_delay_alu instid0(VALU_DEP_1)
	v_add3_u32 v95, v93, v95, 0x7fff
                                        ; implicit-def: $vgpr93
; %bb.44:
	s_and_not1_saveexec_b32 s2, s2
; %bb.45:
	v_and_b32_e32 v95, 0xffff, v93
	v_or_b32_e32 v101, 0x10000, v93
	s_delay_alu instid0(VALU_DEP_2) | instskip(NEXT) | instid1(VALU_DEP_2)
	v_cmp_eq_u32_e32 vcc_lo, 0, v95
	v_cndmask_b32_e32 v95, v101, v93, vcc_lo
; %bb.46:
	s_or_b32 exec_lo, exec_lo, s2
	s_load_b64 s[34:35], s[0:1], 0x94
	v_lshlrev_b32_e32 v93, 4, v86
	s_delay_alu instid0(VALU_DEP_2)
	v_perm_b32 v101, v95, v98, 0x7060302
	v_dual_mul_f32 v90, v91, v90 :: v_dual_lshlrev_b32 v95, 11, v75
	v_perm_b32 v98, v94, v92, 0x7060302
	v_mul_f32_e32 v94, v91, v76
	v_perm_b32 v100, v99, v100, 0x7060302
	v_perm_b32 v99, v97, v96, 0x7060302
	v_or3_b32 v76, v93, v95, v87
	v_mul_f32_e32 v89, v91, v89
	v_dual_mul_f32 v88, v91, v88 :: v_dual_and_b32 v95, 0x7f800000, v94
	v_mul_f32_e32 v80, v91, v80
	v_mul_f32_e32 v92, v91, v79
	v_mul_f32_e32 v93, v91, v78
	v_mul_f32_e32 v79, v91, v77
	s_mov_b32 s2, exec_lo
	ds_store_b128 v76, v[98:101]
                                        ; implicit-def: $vgpr77
	v_cmpx_ne_u32_e32 0x7f800000, v95
	s_xor_b32 s2, exec_lo, s2
; %bb.47:
	v_bfe_u32 v77, v94, 16, 1
	s_delay_alu instid0(VALU_DEP_1)
	v_add3_u32 v77, v94, v77, 0x7fff
                                        ; implicit-def: $vgpr94
; %bb.48:
	s_and_not1_saveexec_b32 s2, s2
; %bb.49:
	v_and_b32_e32 v77, 0xffff, v94
	v_or_b32_e32 v78, 0x10000, v94
	s_delay_alu instid0(VALU_DEP_2) | instskip(NEXT) | instid1(VALU_DEP_2)
	v_cmp_eq_u32_e32 vcc_lo, 0, v77
	v_cndmask_b32_e32 v77, v78, v94, vcc_lo
; %bb.50:
	s_or_b32 exec_lo, exec_lo, s2
	v_and_b32_e32 v78, 0x7f800000, v79
	s_delay_alu instid0(VALU_DEP_1) | instskip(SKIP_1) | instid1(SALU_CYCLE_1)
	v_cmp_ne_u32_e32 vcc_lo, 0x7f800000, v78
                                        ; implicit-def: $vgpr78
	s_and_saveexec_b32 s2, vcc_lo
	s_xor_b32 s2, exec_lo, s2
; %bb.51:
	v_bfe_u32 v78, v79, 16, 1
	s_delay_alu instid0(VALU_DEP_1)
	v_add3_u32 v78, v79, v78, 0x7fff
                                        ; implicit-def: $vgpr79
; %bb.52:
	s_and_not1_saveexec_b32 s2, s2
; %bb.53:
	v_and_b32_e32 v78, 0xffff, v79
	v_or_b32_e32 v91, 0x10000, v79
	s_delay_alu instid0(VALU_DEP_2) | instskip(NEXT) | instid1(VALU_DEP_2)
	v_cmp_eq_u32_e32 vcc_lo, 0, v78
	v_cndmask_b32_e32 v78, v91, v79, vcc_lo
; %bb.54:
	s_or_b32 exec_lo, exec_lo, s2
	v_and_b32_e32 v79, 0x7f800000, v93
	s_delay_alu instid0(VALU_DEP_1) | instskip(SKIP_1) | instid1(SALU_CYCLE_1)
	v_cmp_ne_u32_e32 vcc_lo, 0x7f800000, v79
                                        ; implicit-def: $vgpr79
	s_and_saveexec_b32 s2, vcc_lo
	s_xor_b32 s2, exec_lo, s2
; %bb.55:
	v_bfe_u32 v79, v93, 16, 1
	s_delay_alu instid0(VALU_DEP_1)
	v_add3_u32 v79, v93, v79, 0x7fff
                                        ; implicit-def: $vgpr93
; %bb.56:
	s_and_not1_saveexec_b32 s2, s2
; %bb.57:
	v_and_b32_e32 v79, 0xffff, v93
	v_or_b32_e32 v91, 0x10000, v93
	s_delay_alu instid0(VALU_DEP_2) | instskip(NEXT) | instid1(VALU_DEP_2)
	v_cmp_eq_u32_e32 vcc_lo, 0, v79
	v_cndmask_b32_e32 v79, v91, v93, vcc_lo
; %bb.58:
	s_or_b32 exec_lo, exec_lo, s2
	v_and_b32_e32 v91, 0x7f800000, v92
	s_delay_alu instid0(VALU_DEP_1) | instskip(SKIP_1) | instid1(SALU_CYCLE_1)
	v_cmp_ne_u32_e32 vcc_lo, 0x7f800000, v91
                                        ; implicit-def: $vgpr91
	s_and_saveexec_b32 s2, vcc_lo
	s_xor_b32 s2, exec_lo, s2
; %bb.59:
	v_bfe_u32 v91, v92, 16, 1
	s_delay_alu instid0(VALU_DEP_1)
	v_add3_u32 v91, v92, v91, 0x7fff
                                        ; implicit-def: $vgpr92
; %bb.60:
	s_and_not1_saveexec_b32 s2, s2
; %bb.61:
	v_and_b32_e32 v91, 0xffff, v92
	v_or_b32_e32 v93, 0x10000, v92
	s_delay_alu instid0(VALU_DEP_2) | instskip(NEXT) | instid1(VALU_DEP_2)
	v_cmp_eq_u32_e32 vcc_lo, 0, v91
	v_cndmask_b32_e32 v91, v93, v92, vcc_lo
; %bb.62:
	s_or_b32 exec_lo, exec_lo, s2
	v_and_b32_e32 v92, 0x7f800000, v80
	s_delay_alu instid0(VALU_DEP_1) | instskip(SKIP_1) | instid1(SALU_CYCLE_1)
	v_cmp_ne_u32_e32 vcc_lo, 0x7f800000, v92
                                        ; implicit-def: $vgpr92
	s_and_saveexec_b32 s2, vcc_lo
	s_xor_b32 s2, exec_lo, s2
; %bb.63:
	v_bfe_u32 v92, v80, 16, 1
	s_delay_alu instid0(VALU_DEP_1)
	v_add3_u32 v92, v80, v92, 0x7fff
                                        ; implicit-def: $vgpr80
; %bb.64:
	s_and_not1_saveexec_b32 s2, s2
; %bb.65:
	v_and_b32_e32 v92, 0xffff, v80
	v_or_b32_e32 v93, 0x10000, v80
	s_delay_alu instid0(VALU_DEP_2) | instskip(NEXT) | instid1(VALU_DEP_2)
	v_cmp_eq_u32_e32 vcc_lo, 0, v92
	v_cndmask_b32_e32 v92, v93, v80, vcc_lo
; %bb.66:
	s_or_b32 exec_lo, exec_lo, s2
	v_and_b32_e32 v80, 0x7f800000, v88
	s_delay_alu instid0(VALU_DEP_1) | instskip(SKIP_1) | instid1(SALU_CYCLE_1)
	v_cmp_ne_u32_e32 vcc_lo, 0x7f800000, v80
                                        ; implicit-def: $vgpr80
	s_and_saveexec_b32 s2, vcc_lo
	s_xor_b32 s2, exec_lo, s2
; %bb.67:
	v_bfe_u32 v80, v88, 16, 1
	s_delay_alu instid0(VALU_DEP_1)
	v_add3_u32 v80, v88, v80, 0x7fff
                                        ; implicit-def: $vgpr88
; %bb.68:
	s_and_not1_saveexec_b32 s2, s2
; %bb.69:
	v_and_b32_e32 v80, 0xffff, v88
	v_or_b32_e32 v93, 0x10000, v88
	s_delay_alu instid0(VALU_DEP_2) | instskip(NEXT) | instid1(VALU_DEP_2)
	v_cmp_eq_u32_e32 vcc_lo, 0, v80
	v_cndmask_b32_e32 v80, v93, v88, vcc_lo
; %bb.70:
	s_or_b32 exec_lo, exec_lo, s2
	v_and_b32_e32 v88, 0x7f800000, v89
	s_delay_alu instid0(VALU_DEP_1) | instskip(SKIP_1) | instid1(SALU_CYCLE_1)
	v_cmp_ne_u32_e32 vcc_lo, 0x7f800000, v88
                                        ; implicit-def: $vgpr88
	s_and_saveexec_b32 s2, vcc_lo
	s_xor_b32 s2, exec_lo, s2
; %bb.71:
	v_bfe_u32 v88, v89, 16, 1
	s_delay_alu instid0(VALU_DEP_1)
	v_add3_u32 v88, v89, v88, 0x7fff
                                        ; implicit-def: $vgpr89
; %bb.72:
	s_and_not1_saveexec_b32 s2, s2
; %bb.73:
	v_and_b32_e32 v88, 0xffff, v89
	v_or_b32_e32 v93, 0x10000, v89
	s_delay_alu instid0(VALU_DEP_2) | instskip(NEXT) | instid1(VALU_DEP_2)
	v_cmp_eq_u32_e32 vcc_lo, 0, v88
	v_cndmask_b32_e32 v88, v93, v89, vcc_lo
; %bb.74:
	s_or_b32 exec_lo, exec_lo, s2
	v_and_b32_e32 v89, 0x7f800000, v90
	s_delay_alu instid0(VALU_DEP_1) | instskip(SKIP_1) | instid1(SALU_CYCLE_1)
	v_cmp_ne_u32_e32 vcc_lo, 0x7f800000, v89
                                        ; implicit-def: $vgpr89
	s_and_saveexec_b32 s2, vcc_lo
	s_xor_b32 s2, exec_lo, s2
; %bb.75:
	v_bfe_u32 v89, v90, 16, 1
	s_delay_alu instid0(VALU_DEP_1)
	v_add3_u32 v89, v90, v89, 0x7fff
                                        ; implicit-def: $vgpr90
; %bb.76:
	s_and_not1_saveexec_b32 s2, s2
; %bb.77:
	v_and_b32_e32 v89, 0xffff, v90
	v_or_b32_e32 v93, 0x10000, v90
	s_delay_alu instid0(VALU_DEP_2) | instskip(NEXT) | instid1(VALU_DEP_2)
	v_cmp_eq_u32_e32 vcc_lo, 0, v89
	v_cndmask_b32_e32 v89, v93, v90, vcc_lo
; %bb.78:
	s_or_b32 exec_lo, exec_lo, s2
	s_delay_alu instid0(VALU_DEP_1)
	v_perm_b32 v96, v89, v88, 0x7060302
	v_perm_b32 v95, v80, v92, 0x7060302
	;; [unrolled: 1-line block ×4, first 2 shown]
	v_lshl_or_b32 v92, v75, 11, v87
	v_lshlrev_b32_e32 v89, 2, v86
	ds_store_b128 v76, v[93:96] offset:1024
	s_waitcnt lgkmcnt(0)
	s_barrier
	buffer_gl0_inv
	ds_load_b128 v[77:80], v92
	ds_load_b128 v[93:96], v92 offset:16
	v_or_b32_e32 v90, 1, v89
	v_cmp_eq_u32_e32 vcc_lo, 1, v89
	v_cmp_eq_u32_e64 s3, 2, v89
	v_cmp_eq_u32_e64 s6, 3, v89
	;; [unrolled: 1-line block ×6, first 2 shown]
	v_or_b32_e32 v88, 2, v89
	v_cmp_eq_u32_e64 s9, 5, v89
	v_cmp_eq_u32_e64 s10, 4, v90
	;; [unrolled: 1-line block ×9, first 2 shown]
	s_waitcnt lgkmcnt(1)
	v_lshrrev_b32_e32 v75, 16, v77
	s_waitcnt lgkmcnt(0)
	v_lshrrev_b32_e32 v101, 16, v93
	v_lshrrev_b32_e32 v110, 16, v96
	v_lshrrev_b32_e32 v105, 16, v78
	v_lshrrev_b32_e32 v108, 16, v94
	v_cndmask_b32_e32 v91, v77, v75, vcc_lo
	v_cndmask_b32_e32 v97, v93, v101, vcc_lo
	v_cndmask_b32_e64 v98, v77, v75, s2
	v_lshrrev_b32_e32 v106, 16, v79
	v_lshrrev_b32_e32 v109, 16, v95
	v_cndmask_b32_e64 v91, v91, v78, s3
	v_cndmask_b32_e64 v97, v97, v94, s3
	;; [unrolled: 1-line block ×4, first 2 shown]
	v_lshrrev_b32_e32 v107, 16, v80
	v_cndmask_b32_e64 v91, v91, v105, s6
	v_cndmask_b32_e64 v97, v97, v108, s6
	;; [unrolled: 1-line block ×9, first 2 shown]
	v_cmp_eq_u32_e64 s18, 3, v88
	v_cndmask_b32_e64 v91, v91, v106, s9
	v_cndmask_b32_e64 v97, v97, v109, s9
	;; [unrolled: 1-line block ×4, first 2 shown]
	v_cmp_eq_u32_e64 s19, 4, v88
	v_cndmask_b32_e64 v91, v91, v80, s11
	v_cndmask_b32_e64 v97, v97, v96, s11
	;; [unrolled: 1-line block ×3, first 2 shown]
	v_cmp_eq_u32_e64 s21, 5, v88
	v_cmp_eq_u32_e64 s23, 6, v88
	v_cndmask_b32_e64 v111, v91, v107, s13
	v_cndmask_b32_e64 v112, v97, v110, s13
	;; [unrolled: 1-line block ×6, first 2 shown]
	v_cmp_eq_u32_e64 s26, 7, v88
	v_cndmask_b32_e64 v99, v91, v105, s18
	v_cndmask_b32_e64 v97, v97, v94, s16
	v_or_b32_e32 v91, 3, v89
	v_cndmask_b32_e64 v114, v98, v96, s15
	s_delay_alu instid0(VALU_DEP_4) | instskip(NEXT) | instid1(VALU_DEP_4)
	v_cndmask_b32_e64 v102, v99, v79, s19
	v_cndmask_b32_e64 v103, v97, v108, s18
	s_delay_alu instid0(VALU_DEP_4)
	v_cmp_eq_u32_e64 s20, 1, v91
	ds_load_b128 v[97:100], v92 offset:1024
	v_cmp_eq_u32_e64 s22, 2, v91
	v_cndmask_b32_e64 v115, v102, v106, s21
	v_cmp_eq_u32_e64 s24, 3, v91
	v_cndmask_b32_e64 v75, v77, v75, s20
	v_cndmask_b32_e64 v77, v103, v95, s19
	;; [unrolled: 1-line block ×3, first 2 shown]
	ds_load_b128 v[101:104], v92 offset:1040
	v_cmp_eq_u32_e64 s25, 4, v91
	v_cndmask_b32_e64 v75, v75, v78, s22
	v_cmp_eq_u32_e64 s27, 5, v91
	v_cndmask_b32_e64 v78, v93, v94, s22
	v_cndmask_b32_e64 v94, v115, v80, s23
	;; [unrolled: 1-line block ×4, first 2 shown]
	v_cmp_eq_u32_e64 s28, 6, v91
	v_cndmask_b32_e64 v78, v78, v108, s24
	v_cndmask_b32_e64 v93, v114, v110, s17
	;; [unrolled: 1-line block ×4, first 2 shown]
	s_waitcnt lgkmcnt(1)
	v_lshrrev_b32_e32 v105, 16, v97
	v_cndmask_b32_e64 v78, v78, v95, s25
	v_cndmask_b32_e64 v79, v94, v107, s26
	;; [unrolled: 1-line block ×4, first 2 shown]
	v_cndmask_b32_e32 v94, v97, v105, vcc_lo
	v_cndmask_b32_e64 v78, v78, v109, s27
	s_waitcnt lgkmcnt(0)
	v_lshrrev_b32_e32 v95, 16, v101
	v_lshrrev_b32_e32 v106, 16, v98
	v_cndmask_b32_e64 v108, v97, v105, s2
	v_cndmask_b32_e64 v94, v94, v98, s3
	;; [unrolled: 1-line block ×3, first 2 shown]
	v_cndmask_b32_e32 v109, v101, v95, vcc_lo
	v_cndmask_b32_e64 v78, v78, v96, s28
	v_cmp_eq_u32_e32 vcc_lo, 7, v91
	v_cndmask_b32_e64 v80, v94, v106, s6
	v_cndmask_b32_e64 v94, v108, v98, s5
	;; [unrolled: 1-line block ×3, first 2 shown]
	v_lshrrev_b32_e32 v108, 16, v102
	v_cndmask_b32_e32 v78, v78, v110, vcc_lo
	v_lshrrev_b32_e32 v110, 16, v103
	v_cndmask_b32_e64 v80, v80, v99, s8
	v_lshrrev_b32_e32 v109, 16, v99
	v_cndmask_b32_e64 v96, v96, v108, s6
	v_cndmask_b32_e32 v75, v75, v107, vcc_lo
	v_perm_b32 v79, v77, v79, 0x5040100
	v_cndmask_b32_e64 v94, v94, v106, s7
	v_cndmask_b32_e64 v107, v80, v109, s9
	;; [unrolled: 1-line block ×3, first 2 shown]
	v_perm_b32 v80, v78, v75, 0x5040100
	v_perm_b32 v78, v93, v113, 0x5040100
	v_cndmask_b32_e64 v113, v101, v95, s4
	v_cndmask_b32_e64 v94, v94, v99, s10
	;; [unrolled: 1-line block ×3, first 2 shown]
	s_delay_alu instid0(VALU_DEP_2) | instskip(NEXT) | instid1(VALU_DEP_2)
	v_cndmask_b32_e64 v75, v94, v109, s12
	v_cndmask_b32_e64 v77, v96, v104, s11
	;; [unrolled: 1-line block ×22, first 2 shown]
	v_lshrrev_b32_e32 v107, 16, v100
	v_cndmask_b32_e64 v96, v96, v109, s21
	v_cndmask_b32_e64 v97, v97, v109, s27
	;; [unrolled: 1-line block ×7, first 2 shown]
	v_lshrrev_b32_e32 v94, 16, v104
	v_cndmask_b32_e64 v96, v96, v100, s23
	v_cndmask_b32_e64 v97, v97, v100, s28
	;; [unrolled: 1-line block ×7, first 2 shown]
	v_dual_cndmask_b32 v96, v97, v107 :: v_dual_cndmask_b32 v97, v98, v94
	v_cndmask_b32_e64 v98, v99, v94, s26
	v_cndmask_b32_e64 v99, v95, v94, s17
	;; [unrolled: 1-line block ×3, first 2 shown]
	v_perm_b32 v77, v112, v111, 0x5040100
	v_perm_b32 v96, v97, v96, 0x5040100
	;; [unrolled: 1-line block ×5, first 2 shown]
	s_lshl_b32 s7, s35, 1
	s_mov_b32 s2, exec_lo
	ds_store_b128 v76, v[77:80]
	ds_store_b128 v76, v[93:96] offset:1024
	v_cmpx_gt_u32_e32 2, v0
	s_cbranch_execz .LBB555_80
; %bb.79:
	v_or_b32_e32 v75, s31, v0
	s_load_b128 s[8:11], s[0:1], 0x58
	s_delay_alu instid0(VALU_DEP_1) | instskip(NEXT) | instid1(VALU_DEP_1)
	v_mad_u64_u32 v[76:77], null, s7, s30, v[75:76]
	v_mad_u64_u32 v[77:78], null, v76, s34, s[14:15]
	s_delay_alu instid0(VALU_DEP_1) | instskip(NEXT) | instid1(VALU_DEP_1)
	v_ashrrev_i32_e32 v78, 31, v77
	v_lshlrev_b64 v[75:76], 2, v[77:78]
	s_waitcnt lgkmcnt(0)
	s_delay_alu instid0(VALU_DEP_1) | instskip(NEXT) | instid1(VALU_DEP_2)
	v_add_co_u32 v77, vcc_lo, s10, v75
	v_add_co_ci_u32_e32 v78, vcc_lo, s11, v76, vcc_lo
	v_add_co_u32 v75, vcc_lo, s8, v75
	v_add_co_ci_u32_e32 v76, vcc_lo, s9, v76, vcc_lo
	global_store_b32 v[77:78], v73, off
	global_store_b32 v[75:76], v74, off
.LBB555_80:
	s_or_b32 exec_lo, exec_lo, s2
	s_waitcnt lgkmcnt(0)
	s_waitcnt_vscnt null, 0x0
	s_barrier
	buffer_gl0_inv
	ds_load_b128 v[93:96], v87
	ds_load_b128 v[97:100], v87 offset:16
	ds_load_b128 v[105:108], v87 offset:1040
	;; [unrolled: 1-line block ×3, first 2 shown]
	v_mov_b32_e32 v73, 0
	ds_load_b128 v[113:116], v87 offset:2064
	ds_load_b128 v[109:112], v87 offset:2048
	;; [unrolled: 1-line block ×6, first 2 shown]
	v_mov_b32_e32 v74, v73
	v_mov_b32_e32 v75, v73
	;; [unrolled: 1-line block ×7, first 2 shown]
	s_waitcnt lgkmcnt(8)
	s_delay_alu instid0(VALU_DEP_1)
	v_wmma_f32_16x16x16_bf16 v[73:80], v[65:72], v[93:100], v[73:80]
	ds_load_b128 v[69:72], v87 offset:5136
	ds_load_b128 v[65:68], v87 offset:5120
	ds_load_b128 v[97:100], v87 offset:6160
	ds_load_b128 v[93:96], v87 offset:6144
	s_waitcnt lgkmcnt(10)
	v_wmma_f32_16x16x16_bf16 v[73:80], v[57:64], v[101:108], v[73:80]
	s_waitcnt lgkmcnt(8)
	s_delay_alu instid0(VALU_DEP_1)
	v_wmma_f32_16x16x16_bf16 v[73:80], v[57:64], v[109:116], v[73:80]
	ds_load_b128 v[61:64], v87 offset:7184
	ds_load_b128 v[57:60], v87 offset:7168
	;; [unrolled: 1-line block ×4, first 2 shown]
	s_waitcnt lgkmcnt(10)
	v_wmma_f32_16x16x16_bf16 v[73:80], v[49:56], v[117:124], v[73:80]
	s_waitcnt lgkmcnt(8)
	s_delay_alu instid0(VALU_DEP_1)
	v_wmma_f32_16x16x16_bf16 v[73:80], v[49:56], v[125:132], v[73:80]
	ds_load_b128 v[53:56], v87 offset:9232
	ds_load_b128 v[49:52], v87 offset:9216
	s_waitcnt lgkmcnt(8)
	v_wmma_f32_16x16x16_bf16 v[73:80], v[41:48], v[65:72], v[73:80]
	ds_load_b128 v[69:72], v87 offset:10256
	ds_load_b128 v[65:68], v87 offset:10240
	s_waitcnt lgkmcnt(8)
	;; [unrolled: 4-line block ×3, first 2 shown]
	v_wmma_f32_16x16x16_bf16 v[73:80], v[9:16], v[57:64], v[73:80]
	s_waitcnt lgkmcnt(6)
	s_delay_alu instid0(VALU_DEP_1)
	v_wmma_f32_16x16x16_bf16 v[73:80], v[9:16], v[101:108], v[73:80]
	ds_load_b128 v[13:16], v87 offset:12304
	ds_load_b128 v[9:12], v87 offset:12288
	s_waitcnt lgkmcnt(6)
	v_wmma_f32_16x16x16_bf16 v[73:80], v[1:8], v[49:56], v[73:80]
	ds_load_b128 v[53:56], v87 offset:13328
	ds_load_b128 v[49:52], v87 offset:13312
	s_waitcnt lgkmcnt(6)
	;; [unrolled: 4-line block ×4, first 2 shown]
	v_wmma_f32_16x16x16_bf16 v[73:80], v[33:40], v[9:16], v[73:80]
	s_waitcnt lgkmcnt(4)
	s_delay_alu instid0(VALU_DEP_1) | instskip(SKIP_1) | instid1(VALU_DEP_1)
	v_wmma_f32_16x16x16_bf16 v[73:80], v[25:32], v[49:56], v[73:80]
	s_waitcnt lgkmcnt(2)
	v_wmma_f32_16x16x16_bf16 v[73:80], v[25:32], v[1:8], v[73:80]
	s_waitcnt lgkmcnt(0)
	s_delay_alu instid0(VALU_DEP_1) | instskip(NEXT) | instid1(VALU_DEP_1)
	v_wmma_f32_16x16x16_bf16 v[73:80], v[17:24], v[41:48], v[73:80]
	v_and_b32_e32 v1, 0x7f800000, v73
	s_delay_alu instid0(VALU_DEP_1) | instskip(SKIP_1) | instid1(SALU_CYCLE_1)
	v_cmp_ne_u32_e32 vcc_lo, 0x7f800000, v1
                                        ; implicit-def: $vgpr1
	s_and_saveexec_b32 s2, vcc_lo
	s_xor_b32 s2, exec_lo, s2
; %bb.81:
	v_bfe_u32 v1, v73, 16, 1
	s_delay_alu instid0(VALU_DEP_1)
	v_add3_u32 v1, v73, v1, 0x7fff
; %bb.82:
	s_and_not1_saveexec_b32 s2, s2
; %bb.83:
	v_and_b32_e32 v1, 0xffff, v73
	v_or_b32_e32 v2, 0x10000, v73
	s_delay_alu instid0(VALU_DEP_2) | instskip(NEXT) | instid1(VALU_DEP_2)
	v_cmp_eq_u32_e32 vcc_lo, 0, v1
	v_cndmask_b32_e32 v1, v2, v73, vcc_lo
; %bb.84:
	s_or_b32 exec_lo, exec_lo, s2
	v_and_b32_e32 v2, 0x7f800000, v74
	s_delay_alu instid0(VALU_DEP_1) | instskip(SKIP_1) | instid1(SALU_CYCLE_1)
	v_cmp_ne_u32_e32 vcc_lo, 0x7f800000, v2
                                        ; implicit-def: $vgpr2
	s_and_saveexec_b32 s2, vcc_lo
	s_xor_b32 s2, exec_lo, s2
; %bb.85:
	v_bfe_u32 v2, v74, 16, 1
	s_delay_alu instid0(VALU_DEP_1)
	v_add3_u32 v2, v74, v2, 0x7fff
; %bb.86:
	s_and_not1_saveexec_b32 s2, s2
; %bb.87:
	v_and_b32_e32 v2, 0xffff, v74
	v_or_b32_e32 v3, 0x10000, v74
	s_delay_alu instid0(VALU_DEP_2) | instskip(NEXT) | instid1(VALU_DEP_2)
	v_cmp_eq_u32_e32 vcc_lo, 0, v2
	v_cndmask_b32_e32 v2, v3, v74, vcc_lo
; %bb.88:
	s_or_b32 exec_lo, exec_lo, s2
	v_and_b32_e32 v3, 0x7f800000, v75
	s_delay_alu instid0(VALU_DEP_1) | instskip(SKIP_1) | instid1(SALU_CYCLE_1)
	v_cmp_ne_u32_e32 vcc_lo, 0x7f800000, v3
                                        ; implicit-def: $vgpr3
	s_and_saveexec_b32 s2, vcc_lo
	s_xor_b32 s2, exec_lo, s2
; %bb.89:
	v_bfe_u32 v3, v75, 16, 1
	s_delay_alu instid0(VALU_DEP_1)
	v_add3_u32 v3, v75, v3, 0x7fff
; %bb.90:
	s_and_not1_saveexec_b32 s2, s2
; %bb.91:
	v_and_b32_e32 v3, 0xffff, v75
	v_or_b32_e32 v4, 0x10000, v75
	s_delay_alu instid0(VALU_DEP_2) | instskip(NEXT) | instid1(VALU_DEP_2)
	v_cmp_eq_u32_e32 vcc_lo, 0, v3
	v_cndmask_b32_e32 v3, v4, v75, vcc_lo
; %bb.92:
	s_or_b32 exec_lo, exec_lo, s2
	v_and_b32_e32 v4, 0x7f800000, v76
	s_delay_alu instid0(VALU_DEP_1) | instskip(SKIP_1) | instid1(SALU_CYCLE_1)
	v_cmp_ne_u32_e32 vcc_lo, 0x7f800000, v4
                                        ; implicit-def: $vgpr4
	s_and_saveexec_b32 s2, vcc_lo
	s_xor_b32 s2, exec_lo, s2
; %bb.93:
	v_bfe_u32 v4, v76, 16, 1
	s_delay_alu instid0(VALU_DEP_1)
	v_add3_u32 v4, v76, v4, 0x7fff
; %bb.94:
	s_and_not1_saveexec_b32 s2, s2
; %bb.95:
	v_and_b32_e32 v4, 0xffff, v76
	v_or_b32_e32 v5, 0x10000, v76
	s_delay_alu instid0(VALU_DEP_2) | instskip(NEXT) | instid1(VALU_DEP_2)
	v_cmp_eq_u32_e32 vcc_lo, 0, v4
	v_cndmask_b32_e32 v4, v5, v76, vcc_lo
; %bb.96:
	s_or_b32 exec_lo, exec_lo, s2
	v_and_b32_e32 v5, 0x7f800000, v77
	s_delay_alu instid0(VALU_DEP_1) | instskip(SKIP_1) | instid1(SALU_CYCLE_1)
	v_cmp_ne_u32_e32 vcc_lo, 0x7f800000, v5
                                        ; implicit-def: $vgpr5
	s_and_saveexec_b32 s2, vcc_lo
	s_xor_b32 s2, exec_lo, s2
; %bb.97:
	v_bfe_u32 v5, v77, 16, 1
	s_delay_alu instid0(VALU_DEP_1)
	v_add3_u32 v5, v77, v5, 0x7fff
; %bb.98:
	s_and_not1_saveexec_b32 s2, s2
; %bb.99:
	v_and_b32_e32 v5, 0xffff, v77
	v_or_b32_e32 v6, 0x10000, v77
	s_delay_alu instid0(VALU_DEP_2) | instskip(NEXT) | instid1(VALU_DEP_2)
	v_cmp_eq_u32_e32 vcc_lo, 0, v5
	v_cndmask_b32_e32 v5, v6, v77, vcc_lo
; %bb.100:
	s_or_b32 exec_lo, exec_lo, s2
	v_and_b32_e32 v6, 0x7f800000, v78
	s_delay_alu instid0(VALU_DEP_1) | instskip(SKIP_1) | instid1(SALU_CYCLE_1)
	v_cmp_ne_u32_e32 vcc_lo, 0x7f800000, v6
                                        ; implicit-def: $vgpr6
	s_and_saveexec_b32 s2, vcc_lo
	s_xor_b32 s2, exec_lo, s2
; %bb.101:
	v_bfe_u32 v6, v78, 16, 1
	s_delay_alu instid0(VALU_DEP_1)
	v_add3_u32 v6, v78, v6, 0x7fff
; %bb.102:
	s_and_not1_saveexec_b32 s2, s2
; %bb.103:
	v_and_b32_e32 v6, 0xffff, v78
	v_or_b32_e32 v7, 0x10000, v78
	s_delay_alu instid0(VALU_DEP_2) | instskip(NEXT) | instid1(VALU_DEP_2)
	v_cmp_eq_u32_e32 vcc_lo, 0, v6
	v_cndmask_b32_e32 v6, v7, v78, vcc_lo
; %bb.104:
	s_or_b32 exec_lo, exec_lo, s2
	v_and_b32_e32 v7, 0x7f800000, v79
	s_delay_alu instid0(VALU_DEP_1) | instskip(SKIP_1) | instid1(SALU_CYCLE_1)
	v_cmp_ne_u32_e32 vcc_lo, 0x7f800000, v7
                                        ; implicit-def: $vgpr7
	s_and_saveexec_b32 s2, vcc_lo
	s_xor_b32 s2, exec_lo, s2
; %bb.105:
	v_bfe_u32 v7, v79, 16, 1
	s_delay_alu instid0(VALU_DEP_1)
	v_add3_u32 v7, v79, v7, 0x7fff
; %bb.106:
	s_and_not1_saveexec_b32 s2, s2
; %bb.107:
	v_and_b32_e32 v7, 0xffff, v79
	v_or_b32_e32 v8, 0x10000, v79
	s_delay_alu instid0(VALU_DEP_2) | instskip(NEXT) | instid1(VALU_DEP_2)
	v_cmp_eq_u32_e32 vcc_lo, 0, v7
	v_cndmask_b32_e32 v7, v8, v79, vcc_lo
; %bb.108:
	s_or_b32 exec_lo, exec_lo, s2
	v_and_b32_e32 v8, 0x7f800000, v80
	s_delay_alu instid0(VALU_DEP_1) | instskip(SKIP_1) | instid1(SALU_CYCLE_1)
	v_cmp_ne_u32_e32 vcc_lo, 0x7f800000, v8
                                        ; implicit-def: $vgpr8
	s_and_saveexec_b32 s2, vcc_lo
	s_xor_b32 s2, exec_lo, s2
; %bb.109:
	v_bfe_u32 v8, v80, 16, 1
	s_delay_alu instid0(VALU_DEP_1)
	v_add3_u32 v8, v80, v8, 0x7fff
                                        ; implicit-def: $vgpr73_vgpr74_vgpr75_vgpr76_vgpr77_vgpr78_vgpr79_vgpr80
; %bb.110:
	s_and_not1_saveexec_b32 s2, s2
; %bb.111:
	v_and_b32_e32 v8, 0xffff, v80
	v_or_b32_e32 v9, 0x10000, v80
	s_delay_alu instid0(VALU_DEP_2) | instskip(NEXT) | instid1(VALU_DEP_2)
	v_cmp_eq_u32_e32 vcc_lo, 0, v8
	v_cndmask_b32_e32 v8, v9, v80, vcc_lo
; %bb.112:
	s_or_b32 exec_lo, exec_lo, s2
	s_delay_alu instid0(VALU_DEP_1)
	v_perm_b32 v7, v8, v7, 0x7060302
	v_perm_b32 v6, v6, v5, 0x7060302
	;; [unrolled: 1-line block ×4, first 2 shown]
	v_lshl_or_b32 v9, v86, 4, v92
	s_barrier
	buffer_gl0_inv
	v_cmp_eq_u32_e32 vcc_lo, 1, v89
	ds_store_b128 v9, v[4:7]
	s_waitcnt lgkmcnt(0)
	s_barrier
	buffer_gl0_inv
	ds_load_b128 v[1:4], v92
	ds_load_b128 v[5:8], v92 offset:16
	v_cmp_eq_u32_e64 s3, 2, v89
	v_cmp_eq_u32_e64 s2, 1, v90
	;; [unrolled: 1-line block ×5, first 2 shown]
	s_waitcnt lgkmcnt(1)
	v_lshrrev_b32_e32 v10, 16, v1
	s_waitcnt lgkmcnt(0)
	v_lshrrev_b32_e32 v14, 16, v5
	v_lshrrev_b32_e32 v15, 16, v6
	;; [unrolled: 1-line block ×4, first 2 shown]
	v_cndmask_b32_e64 v20, v1, v10, s2
	v_cndmask_b32_e32 v19, v5, v14, vcc_lo
	v_cndmask_b32_e64 v21, v5, v14, s2
	v_lshrrev_b32_e32 v16, 16, v7
	v_cmp_eq_u32_e64 s2, 1, v88
	v_lshrrev_b32_e32 v13, 16, v4
	v_cndmask_b32_e64 v19, v19, v6, s3
	v_lshrrev_b32_e32 v17, 16, v8
	s_delay_alu instid0(VALU_DEP_4) | instskip(SKIP_1) | instid1(VALU_DEP_4)
	v_cndmask_b32_e64 v22, v1, v10, s2
	v_cndmask_b32_e64 v23, v5, v14, s2
	;; [unrolled: 1-line block ×3, first 2 shown]
	v_cndmask_b32_e32 v18, v1, v10, vcc_lo
	v_cmp_eq_u32_e32 vcc_lo, 2, v90
	v_cmp_eq_u32_e64 s2, 2, v91
	v_cndmask_b32_e64 v22, v22, v2, s6
	v_cndmask_b32_e32 v20, v20, v2, vcc_lo
	v_cndmask_b32_e32 v21, v21, v6, vcc_lo
	v_cmp_eq_u32_e32 vcc_lo, 4, v89
	v_cndmask_b32_e32 v19, v19, v7, vcc_lo
	v_cndmask_b32_e64 v18, v18, v2, s3
	v_cmp_eq_u32_e64 s3, 3, v90
	s_delay_alu instid0(VALU_DEP_2) | instskip(NEXT) | instid1(VALU_DEP_2)
	v_cndmask_b32_e64 v18, v18, v11, s4
	v_cndmask_b32_e64 v21, v21, v15, s3
	v_cmp_eq_u32_e64 s4, 5, v89
	s_delay_alu instid0(VALU_DEP_3) | instskip(SKIP_1) | instid1(VALU_DEP_3)
	v_cndmask_b32_e32 v18, v18, v3, vcc_lo
	v_cmp_eq_u32_e32 vcc_lo, 4, v90
	v_cndmask_b32_e64 v19, v19, v16, s4
	s_delay_alu instid0(VALU_DEP_3) | instskip(SKIP_4) | instid1(VALU_DEP_3)
	v_cndmask_b32_e64 v18, v18, v12, s4
	v_cndmask_b32_e32 v21, v21, v7, vcc_lo
	v_cndmask_b32_e64 v20, v20, v11, s3
	v_cmp_eq_u32_e64 s3, 5, v90
	v_cmp_eq_u32_e64 s4, 6, v89
	v_cndmask_b32_e32 v20, v20, v3, vcc_lo
	s_delay_alu instid0(VALU_DEP_3) | instskip(SKIP_1) | instid1(VALU_DEP_4)
	v_cndmask_b32_e64 v21, v21, v16, s3
	v_cmp_eq_u32_e32 vcc_lo, 6, v90
	v_cndmask_b32_e64 v18, v18, v4, s4
	v_cndmask_b32_e64 v19, v19, v8, s4
	;; [unrolled: 1-line block ×3, first 2 shown]
	v_cmp_eq_u32_e64 s3, 1, v91
	v_cmp_eq_u32_e64 s4, 7, v89
	s_delay_alu instid0(VALU_DEP_3) | instskip(NEXT) | instid1(VALU_DEP_3)
	v_cndmask_b32_e32 v20, v20, v4, vcc_lo
	v_cndmask_b32_e64 v1, v1, v10, s3
	v_cndmask_b32_e64 v5, v5, v14, s3
	v_cmp_eq_u32_e64 s3, 3, v88
	v_cndmask_b32_e64 v14, v23, v6, s6
	v_cmp_eq_u32_e64 s6, 3, v91
	v_cndmask_b32_e64 v1, v1, v2, s2
	v_cndmask_b32_e64 v2, v5, v6, s2
	;; [unrolled: 1-line block ×3, first 2 shown]
	v_cmp_eq_u32_e64 s2, 4, v88
	v_cndmask_b32_e64 v6, v14, v15, s3
	v_cndmask_b32_e64 v1, v1, v11, s6
	v_cmp_eq_u32_e64 s3, 4, v91
	v_cndmask_b32_e64 v2, v2, v15, s6
	v_cndmask_b32_e64 v5, v10, v3, s2
	;; [unrolled: 3-line block ×3, first 2 shown]
	v_cndmask_b32_e64 v2, v2, v7, s3
	v_cmp_eq_u32_e64 s2, 5, v91
	v_cndmask_b32_e64 v5, v5, v12, s6
	v_cmp_eq_u32_e64 s3, 6, v88
	;; [unrolled: 2-line block ×3, first 2 shown]
	v_cndmask_b32_e64 v1, v1, v12, s2
	v_cndmask_b32_e64 v2, v2, v16, s2
	;; [unrolled: 1-line block ×4, first 2 shown]
	v_cmp_eq_u32_e64 s2, 7, v91
	v_cndmask_b32_e64 v1, v1, v4, s6
	v_cndmask_b32_e64 v2, v2, v8, s6
	v_cmp_eq_u32_e64 s3, 7, v88
	v_cndmask_b32_e32 v4, v21, v8, vcc_lo
	v_cndmask_b32_e64 v18, v18, v13, s4
	v_cndmask_b32_e64 v20, v20, v13, s5
	v_cndmask_b32_e64 v1, v1, v13, s2
	v_cndmask_b32_e64 v5, v5, v13, s3
	v_cndmask_b32_e64 v2, v2, v17, s2
	v_cndmask_b32_e64 v3, v3, v17, s3
	v_cndmask_b32_e64 v6, v4, v17, s5
	v_cndmask_b32_e64 v7, v19, v17, s4
	s_delay_alu instid0(VALU_DEP_4) | instskip(NEXT) | instid1(VALU_DEP_4)
	v_perm_b32 v4, v2, v1, 0x5040100
	v_perm_b32 v3, v3, v5, 0x5040100
	s_delay_alu instid0(VALU_DEP_4) | instskip(NEXT) | instid1(VALU_DEP_4)
	v_perm_b32 v2, v6, v20, 0x5040100
	v_perm_b32 v1, v7, v18, 0x5040100
	ds_store_b128 v9, v[1:4]
	s_waitcnt lgkmcnt(0)
	s_barrier
	buffer_gl0_inv
	s_and_saveexec_b32 s2, s29
	s_cbranch_execz .LBB555_2
; %bb.113:
	s_load_b64 s[0:1], s[0:1], 0x68
	v_lshlrev_b32_e32 v0, 10, v0
	s_lshl_b32 s2, s34, 6
	v_lshlrev_b32_e32 v1, 4, v85
	v_mul_lo_u32 v4, s2, v84
	s_mul_i32 s3, s2, s30
	v_and_b32_e32 v0, 0x3800, v0
	s_mul_i32 s2, s3, s7
	s_delay_alu instid0(SALU_CYCLE_1) | instskip(NEXT) | instid1(VALU_DEP_1)
	s_ashr_i32 s3, s2, 31
	v_or3_b32 v0, v0, v83, v1
	s_lshl_b64 s[2:3], s[2:3], 1
	s_delay_alu instid0(VALU_DEP_3)
	v_ashrrev_i32_e32 v5, 31, v4
	ds_load_b128 v[0:3], v0
	v_lshlrev_b64 v[4:5], 1, v[4:5]
	s_waitcnt lgkmcnt(0)
	s_add_u32 s2, s0, s2
	s_addc_u32 s3, s1, s3
	s_lshl_b32 s0, s14, 6
	s_delay_alu instid0(SALU_CYCLE_1) | instskip(NEXT) | instid1(SALU_CYCLE_1)
	s_ashr_i32 s1, s0, 31
	s_lshl_b64 s[0:1], s[0:1], 1
	s_delay_alu instid0(SALU_CYCLE_1) | instskip(SKIP_3) | instid1(VALU_DEP_2)
	s_add_u32 s0, s2, s0
	s_addc_u32 s1, s3, s1
	v_add_co_u32 v4, vcc_lo, s0, v4
	v_add_co_ci_u32_e32 v5, vcc_lo, s1, v5, vcc_lo
	v_add_co_u32 v4, vcc_lo, v4, v81
	s_delay_alu instid0(VALU_DEP_2)
	v_add_co_ci_u32_e32 v5, vcc_lo, v5, v82, vcc_lo
	global_store_b128 v[4:5], v[0:3], off
	s_nop 0
	s_sendmsg sendmsg(MSG_DEALLOC_VGPRS)
	s_endpgm
	.section	.rodata,"a",@progbits
	.p2align	6, 0x0
	.amdhsa_kernel _Z39paged_attention_ll4mi_QKV_mfma16_kernelI14__hip_bfloat16S0_LN4vllm18Fp8KVCacheDataTypeE0ES0_Li32ELi64ELi256ELb1ELi2EL8MFMAType0EEvPKT_PKT0_S9_ifPKiSB_SB_iPKfiiiPfSE_PS4_PT2_iSD_SD_
		.amdhsa_group_segment_fixed_size 17472
		.amdhsa_private_segment_fixed_size 0
		.amdhsa_kernarg_size 400
		.amdhsa_user_sgpr_count 13
		.amdhsa_user_sgpr_dispatch_ptr 0
		.amdhsa_user_sgpr_queue_ptr 0
		.amdhsa_user_sgpr_kernarg_segment_ptr 1
		.amdhsa_user_sgpr_dispatch_id 0
		.amdhsa_user_sgpr_private_segment_size 0
		.amdhsa_wavefront_size32 1
		.amdhsa_uses_dynamic_stack 0
		.amdhsa_enable_private_segment 0
		.amdhsa_system_sgpr_workgroup_id_x 1
		.amdhsa_system_sgpr_workgroup_id_y 1
		.amdhsa_system_sgpr_workgroup_id_z 1
		.amdhsa_system_sgpr_workgroup_info 0
		.amdhsa_system_vgpr_workitem_id 0
		.amdhsa_next_free_vgpr 144
		.amdhsa_next_free_sgpr 39
		.amdhsa_reserve_vcc 1
		.amdhsa_float_round_mode_32 0
		.amdhsa_float_round_mode_16_64 0
		.amdhsa_float_denorm_mode_32 3
		.amdhsa_float_denorm_mode_16_64 3
		.amdhsa_dx10_clamp 1
		.amdhsa_ieee_mode 1
		.amdhsa_fp16_overflow 0
		.amdhsa_workgroup_processor_mode 1
		.amdhsa_memory_ordered 1
		.amdhsa_forward_progress 0
		.amdhsa_shared_vgpr_count 0
		.amdhsa_exception_fp_ieee_invalid_op 0
		.amdhsa_exception_fp_denorm_src 0
		.amdhsa_exception_fp_ieee_div_zero 0
		.amdhsa_exception_fp_ieee_overflow 0
		.amdhsa_exception_fp_ieee_underflow 0
		.amdhsa_exception_fp_ieee_inexact 0
		.amdhsa_exception_int_div_zero 0
	.end_amdhsa_kernel
	.section	.text._Z39paged_attention_ll4mi_QKV_mfma16_kernelI14__hip_bfloat16S0_LN4vllm18Fp8KVCacheDataTypeE0ES0_Li32ELi64ELi256ELb1ELi2EL8MFMAType0EEvPKT_PKT0_S9_ifPKiSB_SB_iPKfiiiPfSE_PS4_PT2_iSD_SD_,"axG",@progbits,_Z39paged_attention_ll4mi_QKV_mfma16_kernelI14__hip_bfloat16S0_LN4vllm18Fp8KVCacheDataTypeE0ES0_Li32ELi64ELi256ELb1ELi2EL8MFMAType0EEvPKT_PKT0_S9_ifPKiSB_SB_iPKfiiiPfSE_PS4_PT2_iSD_SD_,comdat
.Lfunc_end555:
	.size	_Z39paged_attention_ll4mi_QKV_mfma16_kernelI14__hip_bfloat16S0_LN4vllm18Fp8KVCacheDataTypeE0ES0_Li32ELi64ELi256ELb1ELi2EL8MFMAType0EEvPKT_PKT0_S9_ifPKiSB_SB_iPKfiiiPfSE_PS4_PT2_iSD_SD_, .Lfunc_end555-_Z39paged_attention_ll4mi_QKV_mfma16_kernelI14__hip_bfloat16S0_LN4vllm18Fp8KVCacheDataTypeE0ES0_Li32ELi64ELi256ELb1ELi2EL8MFMAType0EEvPKT_PKT0_S9_ifPKiSB_SB_iPKfiiiPfSE_PS4_PT2_iSD_SD_
                                        ; -- End function
	.section	.AMDGPU.csdata,"",@progbits
; Kernel info:
; codeLenInByte = 9216
; NumSgprs: 41
; NumVgprs: 144
; ScratchSize: 0
; MemoryBound: 0
; FloatMode: 240
; IeeeMode: 1
; LDSByteSize: 17472 bytes/workgroup (compile time only)
; SGPRBlocks: 5
; VGPRBlocks: 17
; NumSGPRsForWavesPerEU: 41
; NumVGPRsForWavesPerEU: 144
; Occupancy: 10
; WaveLimiterHint : 1
; COMPUTE_PGM_RSRC2:SCRATCH_EN: 0
; COMPUTE_PGM_RSRC2:USER_SGPR: 13
; COMPUTE_PGM_RSRC2:TRAP_HANDLER: 0
; COMPUTE_PGM_RSRC2:TGID_X_EN: 1
; COMPUTE_PGM_RSRC2:TGID_Y_EN: 1
; COMPUTE_PGM_RSRC2:TGID_Z_EN: 1
; COMPUTE_PGM_RSRC2:TIDIG_COMP_CNT: 0
	.section	.text._Z39paged_attention_ll4mi_QKV_mfma16_kernelI14__hip_bfloat16S0_LN4vllm18Fp8KVCacheDataTypeE0ES0_Li32ELi64ELi256ELb1ELi3EL8MFMAType0EEvPKT_PKT0_S9_ifPKiSB_SB_iPKfiiiPfSE_PS4_PT2_iSD_SD_,"axG",@progbits,_Z39paged_attention_ll4mi_QKV_mfma16_kernelI14__hip_bfloat16S0_LN4vllm18Fp8KVCacheDataTypeE0ES0_Li32ELi64ELi256ELb1ELi3EL8MFMAType0EEvPKT_PKT0_S9_ifPKiSB_SB_iPKfiiiPfSE_PS4_PT2_iSD_SD_,comdat
	.protected	_Z39paged_attention_ll4mi_QKV_mfma16_kernelI14__hip_bfloat16S0_LN4vllm18Fp8KVCacheDataTypeE0ES0_Li32ELi64ELi256ELb1ELi3EL8MFMAType0EEvPKT_PKT0_S9_ifPKiSB_SB_iPKfiiiPfSE_PS4_PT2_iSD_SD_ ; -- Begin function _Z39paged_attention_ll4mi_QKV_mfma16_kernelI14__hip_bfloat16S0_LN4vllm18Fp8KVCacheDataTypeE0ES0_Li32ELi64ELi256ELb1ELi3EL8MFMAType0EEvPKT_PKT0_S9_ifPKiSB_SB_iPKfiiiPfSE_PS4_PT2_iSD_SD_
	.globl	_Z39paged_attention_ll4mi_QKV_mfma16_kernelI14__hip_bfloat16S0_LN4vllm18Fp8KVCacheDataTypeE0ES0_Li32ELi64ELi256ELb1ELi3EL8MFMAType0EEvPKT_PKT0_S9_ifPKiSB_SB_iPKfiiiPfSE_PS4_PT2_iSD_SD_
	.p2align	8
	.type	_Z39paged_attention_ll4mi_QKV_mfma16_kernelI14__hip_bfloat16S0_LN4vllm18Fp8KVCacheDataTypeE0ES0_Li32ELi64ELi256ELb1ELi3EL8MFMAType0EEvPKT_PKT0_S9_ifPKiSB_SB_iPKfiiiPfSE_PS4_PT2_iSD_SD_,@function
_Z39paged_attention_ll4mi_QKV_mfma16_kernelI14__hip_bfloat16S0_LN4vllm18Fp8KVCacheDataTypeE0ES0_Li32ELi64ELi256ELb1ELi3EL8MFMAType0EEvPKT_PKT0_S9_ifPKiSB_SB_iPKfiiiPfSE_PS4_PT2_iSD_SD_: ; @_Z39paged_attention_ll4mi_QKV_mfma16_kernelI14__hip_bfloat16S0_LN4vllm18Fp8KVCacheDataTypeE0ES0_Li32ELi64ELi256ELb1ELi3EL8MFMAType0EEvPKT_PKT0_S9_ifPKiSB_SB_iPKfiiiPfSE_PS4_PT2_iSD_SD_
; %bb.0:
	s_load_b64 s[2:3], s[0:1], 0x30
	s_mov_b32 s34, s13
	s_waitcnt lgkmcnt(0)
	s_cmp_lg_u64 s[2:3], 0
	s_cselect_b32 s6, -1, 0
	s_ashr_i32 s35, s13, 31
	s_cmp_eq_u64 s[2:3], 0
	s_cbranch_scc1 .LBB556_3
; %bb.1:
	s_lshl_b64 s[4:5], s[34:35], 2
	s_delay_alu instid0(SALU_CYCLE_1) | instskip(SKIP_4) | instid1(SALU_CYCLE_1)
	s_add_u32 s4, s2, s4
	s_addc_u32 s5, s3, s5
	s_load_b64 s[4:5], s[4:5], 0x0
	s_waitcnt lgkmcnt(0)
	s_sub_i32 s4, s5, s4
	s_cmp_eq_u32 s4, 1
	s_cselect_b32 s4, -1, 0
	s_delay_alu instid0(SALU_CYCLE_1)
	s_and_not1_b32 vcc_lo, exec_lo, s4
	s_cbranch_vccz .LBB556_4
.LBB556_2:
	s_nop 0
	s_sendmsg sendmsg(MSG_DEALLOC_VGPRS)
	s_endpgm
.LBB556_3:
.LBB556_4:
	s_load_b64 s[8:9], s[0:1], 0x28
	s_lshl_b64 s[4:5], s[34:35], 2
	s_waitcnt lgkmcnt(0)
	s_add_u32 s8, s8, s4
	s_addc_u32 s9, s9, s5
	s_lshl_b32 s16, s14, 8
	s_load_b32 s18, s[8:9], 0x0
	s_waitcnt lgkmcnt(0)
	s_cmp_ge_i32 s16, s18
	s_cbranch_scc1 .LBB556_2
; %bb.5:
	s_and_not1_b32 vcc_lo, exec_lo, s6
	s_cbranch_vccnz .LBB556_7
; %bb.6:
	s_add_u32 s2, s2, s4
	s_addc_u32 s3, s3, s5
	s_load_b32 s17, s[2:3], 0x0
	s_branch .LBB556_8
.LBB556_7:
	s_mov_b32 s17, s34
.LBB556_8:
	s_clause 0x2
	s_load_b128 s[8:11], s[0:1], 0x8
	s_load_b64 s[12:13], s[0:1], 0x20
	s_load_b128 s[4:7], s[0:1], 0x48
	v_lshrrev_b32_e32 v74, 5, v0
	v_bfe_u32 v83, v0, 4, 1
	v_and_b32_e32 v73, 15, v0
	s_delay_alu instid0(VALU_DEP_2) | instskip(NEXT) | instid1(VALU_DEP_2)
	v_lshl_or_b32 v3, v74, 1, v83
	v_cmp_lt_u32_e64 s3, 7, v73
	v_lshlrev_b32_e32 v1, 3, v73
	v_cmp_gt_u32_e64 s2, 8, v73
	s_delay_alu instid0(VALU_DEP_4) | instskip(NEXT) | instid1(VALU_DEP_4)
	v_cmp_lt_u32_e32 vcc_lo, 2, v3
	s_or_b32 s3, s3, vcc_lo
	s_waitcnt lgkmcnt(0)
	s_and_saveexec_b32 s7, s3
	s_delay_alu instid0(SALU_CYCLE_1)
	s_xor_b32 s3, exec_lo, s7
; %bb.9:
	v_mov_b32_e32 v2, 0
                                        ; implicit-def: $vgpr3
; %bb.10:
	s_or_saveexec_b32 s3, s3
	v_and_b32_e32 v75, 31, v0
	v_and_b32_e32 v84, 1, v0
	s_mul_i32 s31, s15, 3
	s_xor_b32 exec_lo, exec_lo, s3
	s_cbranch_execz .LBB556_12
; %bb.11:
	s_load_b64 s[20:21], s[0:1], 0x0
	v_add_lshl_u32 v4, v3, s31, 6
	s_mul_hi_i32 s23, s17, s4
	s_mul_i32 s22, s17, s4
	v_lshlrev_b32_e32 v2, 1, v1
	s_lshl_b64 s[22:23], s[22:23], 1
	v_ashrrev_i32_e32 v5, 31, v4
	v_lshlrev_b32_e32 v3, 6, v3
	v_lshlrev_b32_e32 v8, 10, v84
	s_delay_alu instid0(VALU_DEP_3) | instskip(SKIP_3) | instid1(VALU_DEP_1)
	v_lshlrev_b64 v[4:5], 1, v[4:5]
	s_waitcnt lgkmcnt(0)
	s_add_u32 s4, s20, s22
	s_addc_u32 s7, s21, s23
	v_add_co_u32 v4, vcc_lo, s4, v4
	s_delay_alu instid0(VALU_DEP_2) | instskip(NEXT) | instid1(VALU_DEP_2)
	v_add_co_ci_u32_e32 v5, vcc_lo, s7, v5, vcc_lo
	v_add_co_u32 v4, vcc_lo, v4, v2
	s_delay_alu instid0(VALU_DEP_2) | instskip(SKIP_3) | instid1(VALU_DEP_1)
	v_add_co_ci_u32_e32 v5, vcc_lo, 0, v5, vcc_lo
	v_lshlrev_b32_e32 v2, 10, v73
	global_load_b128 v[4:7], v[4:5], off
	v_and_b32_e32 v2, 0x3800, v2
	v_or3_b32 v3, v2, v8, v3
	v_mov_b32_e32 v2, 0
	s_waitcnt vmcnt(0)
	ds_store_b128 v3, v[4:7]
.LBB556_12:
	s_or_b32 exec_lo, exec_lo, s3
	v_and_b32_e32 v3, 0xef, v0
	s_add_i32 s3, s18, 31
	s_clause 0x1
	s_load_b32 s4, s[0:1], 0x38
	s_load_b32 s19, s[0:1], 0x1c
	s_ashr_i32 s7, s3, 31
	v_add_nc_u32_e32 v3, s16, v3
	s_lshr_b32 s7, s7, 27
	s_waitcnt lgkmcnt(0)
	s_add_i32 s3, s3, s7
	s_barrier
	v_ashrrev_i32_e32 v4, 31, v3
	v_cmp_gt_i32_e32 vcc_lo, s18, v3
	s_ashr_i32 s3, s3, 5
	buffer_gl0_inv
	s_add_i32 s3, s3, -1
	v_lshrrev_b32_e32 v5, 27, v4
	v_or_b32_e32 v4, 16, v3
	s_mul_i32 s6, s15, s6
	v_lshlrev_b64 v[81:82], 1, v[1:2]
	s_delay_alu instid0(VALU_DEP_3) | instskip(NEXT) | instid1(VALU_DEP_3)
	v_add_nc_u32_e32 v6, v3, v5
	v_add_nc_u32_e32 v5, v4, v5
	s_mul_i32 s20, s34, s4
	s_delay_alu instid0(SALU_CYCLE_1) | instskip(NEXT) | instid1(VALU_DEP_2)
	s_ashr_i32 s21, s20, 31
	v_ashrrev_i32_e32 v6, 5, v6
	s_delay_alu instid0(VALU_DEP_2) | instskip(SKIP_1) | instid1(SALU_CYCLE_1)
	v_ashrrev_i32_e32 v5, 5, v5
	s_lshl_b64 s[20:21], s[20:21], 2
	s_add_u32 s4, s12, s20
	s_delay_alu instid0(VALU_DEP_2) | instskip(SKIP_3) | instid1(SALU_CYCLE_1)
	v_cndmask_b32_e32 v3, s3, v6, vcc_lo
	v_cmp_gt_i32_e32 vcc_lo, s18, v4
	s_addc_u32 s17, s13, s21
	s_ashr_i32 s7, s6, 31
	s_lshl_b64 s[6:7], s[6:7], 1
	v_cndmask_b32_e32 v5, s3, v5, vcc_lo
	v_ashrrev_i32_e32 v4, 31, v3
	s_add_u32 s15, s8, s6
	s_addc_u32 s28, s9, s7
	s_lshl_b32 s8, s14, 3
	v_ashrrev_i32_e32 v6, 31, v5
	v_lshlrev_b64 v[3:4], 2, v[3:4]
	s_ashr_i32 s9, s8, 31
	s_delay_alu instid0(SALU_CYCLE_1) | instskip(NEXT) | instid1(VALU_DEP_2)
	s_lshl_b64 s[8:9], s[8:9], 2
	v_lshlrev_b64 v[5:6], 2, v[5:6]
	s_add_u32 s8, s4, s8
	s_delay_alu instid0(VALU_DEP_2) | instskip(SKIP_1) | instid1(VALU_DEP_3)
	v_add_co_u32 v3, vcc_lo, s4, v3
	v_add_co_ci_u32_e32 v4, vcc_lo, s17, v4, vcc_lo
	v_add_co_u32 v5, vcc_lo, s4, v5
	s_delay_alu instid0(VALU_DEP_4)
	v_add_co_ci_u32_e32 v6, vcc_lo, s17, v6, vcc_lo
	s_addc_u32 s9, s17, s9
	s_clause 0x1
	global_load_b32 v7, v[3:4], off
	global_load_b32 v8, v[5:6], off
	s_or_b32 s12, s16, 32
	s_delay_alu instid0(SALU_CYCLE_1) | instskip(SKIP_2) | instid1(SALU_CYCLE_1)
	s_ashr_i32 s13, s12, 5
	s_cmp_lt_i32 s12, s18
	s_cselect_b32 s12, s13, s3
	s_ashr_i32 s13, s12, 31
	s_delay_alu instid0(SALU_CYCLE_1) | instskip(NEXT) | instid1(SALU_CYCLE_1)
	s_lshl_b64 s[12:13], s[12:13], 2
	s_add_u32 s12, s4, s12
	s_addc_u32 s13, s17, s13
	s_or_b32 s20, s16, 64
	s_delay_alu instid0(SALU_CYCLE_1) | instskip(SKIP_2) | instid1(SALU_CYCLE_1)
	s_ashr_i32 s21, s20, 5
	s_cmp_lt_i32 s20, s18
	s_cselect_b32 s20, s21, s3
	s_ashr_i32 s21, s20, 31
	s_delay_alu instid0(SALU_CYCLE_1) | instskip(NEXT) | instid1(SALU_CYCLE_1)
	s_lshl_b64 s[20:21], s[20:21], 2
	s_add_u32 s20, s4, s20
	s_addc_u32 s21, s17, s21
	;; [unrolled: 10-line block ×5, first 2 shown]
	s_clause 0x5
	s_load_b32 s29, s[8:9], 0x0
	s_load_b32 s30, s[12:13], 0x0
	;; [unrolled: 1-line block ×6, first 2 shown]
	s_or_b32 s8, s16, 0xc0
	s_mov_b32 s20, 0
	s_ashr_i32 s9, s8, 5
	s_cmp_lt_i32 s8, s18
	s_mov_b32 s27, s20
	s_cselect_b32 s8, s9, s3
	s_mov_b32 s21, s20
	s_ashr_i32 s9, s8, 31
	s_mov_b32 s22, s20
	s_lshl_b64 s[8:9], s[8:9], 2
	s_mov_b32 s23, s20
	s_add_u32 s8, s4, s8
	s_mov_b32 s24, s20
	s_mov_b32 s25, s20
	;; [unrolled: 1-line block ×3, first 2 shown]
	s_addc_u32 s9, s17, s9
	v_mov_b32_e32 v117, s27
	v_dual_mov_b32 v110, s20 :: v_dual_lshlrev_b32 v85, 6, v73
	v_dual_mov_b32 v116, s26 :: v_dual_mov_b32 v115, s25
	v_dual_mov_b32 v114, s24 :: v_dual_mov_b32 v113, s23
	v_dual_mov_b32 v112, s22 :: v_dual_mov_b32 v111, s21
	s_waitcnt lgkmcnt(0)
	s_mul_hi_i32 s13, s29, s5
	s_mul_i32 s12, s29, s5
	v_lshl_or_b32 v58, v74, 10, v85
	s_mul_hi_i32 s21, s30, s5
	s_mul_i32 s20, s30, s5
	s_mul_hi_i32 s25, s33, s5
	s_mul_i32 s24, s33, s5
	;; [unrolled: 2-line block ×3, first 2 shown]
	s_mul_hi_i32 s37, s38, s5
	s_waitcnt vmcnt(1)
	v_mad_i64_i32 v[3:4], null, v7, s5, 0
	s_waitcnt vmcnt(0)
	v_mad_i64_i32 v[5:6], null, v8, s5, 0
	s_delay_alu instid0(VALU_DEP_2) | instskip(NEXT) | instid1(VALU_DEP_2)
	v_lshlrev_b64 v[3:4], 1, v[3:4]
	v_lshlrev_b64 v[1:2], 1, v[5:6]
	s_delay_alu instid0(VALU_DEP_2) | instskip(NEXT) | instid1(VALU_DEP_3)
	v_add_co_u32 v3, vcc_lo, s15, v3
	v_add_co_ci_u32_e32 v4, vcc_lo, s28, v4, vcc_lo
	s_delay_alu instid0(VALU_DEP_3) | instskip(NEXT) | instid1(VALU_DEP_4)
	v_add_co_u32 v1, vcc_lo, s15, v1
	v_add_co_ci_u32_e32 v2, vcc_lo, s28, v2, vcc_lo
	s_delay_alu instid0(VALU_DEP_4) | instskip(NEXT) | instid1(VALU_DEP_4)
	v_add_co_u32 v41, vcc_lo, v3, v81
	v_add_co_ci_u32_e32 v42, vcc_lo, v4, v82, vcc_lo
	s_delay_alu instid0(VALU_DEP_4) | instskip(NEXT) | instid1(VALU_DEP_4)
	v_add_co_u32 v43, vcc_lo, v1, v81
	v_add_co_ci_u32_e32 v44, vcc_lo, v2, v82, vcc_lo
	s_clause 0xf
	global_load_b128 v[1:4], v[41:42], off
	global_load_b128 v[5:8], v[41:42], off offset:512
	global_load_b128 v[9:12], v[43:44], off offset:256
	;; [unrolled: 1-line block ×15, first 2 shown]
	v_mul_lo_u16 v41, 0x56, v73
	s_or_b32 s15, s16, 0xe0
	s_delay_alu instid0(SALU_CYCLE_1) | instskip(SKIP_1) | instid1(VALU_DEP_1)
	s_ashr_i32 s22, s15, 5
	s_cmp_lt_i32 s15, s18
	v_lshrrev_b16 v41, 8, v41
	s_cselect_b32 s22, s22, s3
	s_delay_alu instid0(SALU_CYCLE_1) | instskip(NEXT) | instid1(VALU_DEP_1)
	s_ashr_i32 s23, s22, 31
	v_mul_lo_u16 v41, v41, 3
	s_lshl_b64 s[22:23], s[22:23], 2
	s_delay_alu instid0(SALU_CYCLE_1) | instskip(SKIP_1) | instid1(VALU_DEP_1)
	s_add_u32 s22, s4, s22
	s_addc_u32 s23, s17, s23
	v_sub_nc_u16 v41, v73, v41
	s_add_i32 s15, s16, 0x100
	s_delay_alu instid0(SALU_CYCLE_1) | instskip(SKIP_1) | instid1(VALU_DEP_1)
	s_ashr_i32 s28, s15, 5
	s_cmp_lt_i32 s15, s18
	v_and_b32_e32 v41, 0xff, v41
	s_cselect_b32 s28, s28, s3
	s_delay_alu instid0(SALU_CYCLE_1) | instskip(NEXT) | instid1(VALU_DEP_1)
	s_ashr_i32 s29, s28, 31
	v_lshlrev_b32_e32 v57, 6, v41
	ds_load_b128 v[41:44], v57
	ds_load_b128 v[45:48], v57 offset:1024
	ds_load_b128 v[49:52], v57 offset:2048
	;; [unrolled: 1-line block ×7, first 2 shown]
	s_lshl_b64 s[28:29], s[28:29], 2
	s_load_b32 s15, s[8:9], 0x0
	s_add_u32 s28, s4, s28
	s_addc_u32 s29, s17, s29
	s_add_u32 s3, s10, s6
	s_clause 0x1
	s_load_b32 s4, s[22:23], 0x0
	s_load_b32 s17, s[28:29], 0x0
	s_addc_u32 s28, s11, s7
	v_add_co_u32 v76, s3, s3, v58
	s_delay_alu instid0(VALU_DEP_1) | instskip(SKIP_2) | instid1(VALU_DEP_2)
	v_add_co_ci_u32_e64 v77, null, s28, 0, s3
	s_lshl_b64 s[6:7], s[12:13], 1
	s_lshl_b64 s[10:11], s[20:21], 1
	v_add_co_u32 v57, vcc_lo, v76, s6
	s_delay_alu instid0(VALU_DEP_2)
	v_add_co_ci_u32_e32 v58, vcc_lo, s7, v77, vcc_lo
	s_lshl_b64 s[12:13], s[24:25], 1
	s_lshl_b64 s[20:21], s[26:27], 1
	s_mul_hi_i32 s9, s36, s5
	s_mul_i32 s8, s36, s5
	s_mul_i32 s36, s38, s5
	s_lshl_b64 s[8:9], s[8:9], 1
	s_lshl_b64 s[22:23], s[36:37], 1
	s_waitcnt lgkmcnt(0)
	s_mul_hi_i32 s25, s15, s5
	s_mul_i32 s24, s15, s5
	s_clause 0x1
	global_load_b128 v[65:68], v[57:58], off
	global_load_b128 v[69:72], v[57:58], off offset:16
	s_lshl_b64 s[6:7], s[24:25], 1
	s_waitcnt vmcnt(16)
	v_wmma_f32_16x16x16_bf16 v[134:141], v[1:8], v[41:48], v[110:117]
	v_add_co_u32 v1, vcc_lo, v76, s10
	v_add_co_ci_u32_e32 v2, vcc_lo, s11, v77, vcc_lo
	s_waitcnt vmcnt(12)
	s_delay_alu instid0(VALU_DEP_3) | instskip(SKIP_3) | instid1(VALU_DEP_3)
	v_wmma_f32_16x16x16_bf16 v[134:141], v[17:24], v[49:56], v[134:141]
	v_add_co_u32 v3, vcc_lo, v76, s12
	v_add_co_ci_u32_e32 v4, vcc_lo, s13, v77, vcc_lo
	s_waitcnt vmcnt(8)
	v_wmma_f32_16x16x16_bf16 v[134:141], v[33:40], v[118:125], v[134:141]
	v_add_co_u32 v5, vcc_lo, v76, s20
	v_add_co_ci_u32_e32 v6, vcc_lo, s21, v77, vcc_lo
	s_waitcnt vmcnt(4)
	s_delay_alu instid0(VALU_DEP_3) | instskip(SKIP_2) | instid1(VALU_DEP_3)
	v_wmma_f32_16x16x16_bf16 v[134:141], v[94:101], v[126:133], v[134:141]
	v_add_co_u32 v7, vcc_lo, v76, s8
	v_add_co_ci_u32_e32 v8, vcc_lo, s9, v77, vcc_lo
	v_mul_f32_e32 v100, s19, v141
	v_wmma_f32_16x16x16_bf16 v[110:117], v[9:16], v[41:48], v[110:117]
	s_clause 0x1
	global_load_b128 v[57:60], v[1:2], off
	global_load_b128 v[61:64], v[1:2], off offset:16
	s_mul_hi_i32 s9, s4, s5
	s_mul_i32 s8, s4, s5
	v_wmma_f32_16x16x16_bf16 v[110:117], v[25:32], v[49:56], v[110:117]
	s_clause 0x5
	global_load_b128 v[49:52], v[3:4], off
	global_load_b128 v[53:56], v[3:4], off offset:16
	global_load_b128 v[41:44], v[5:6], off
	global_load_b128 v[45:48], v[5:6], off offset:16
	global_load_b128 v[9:12], v[7:8], off
	global_load_b128 v[13:16], v[7:8], off offset:16
	v_add_co_u32 v5, vcc_lo, v76, s22
	v_add_co_ci_u32_e32 v6, vcc_lo, s23, v77, vcc_lo
	v_add_co_u32 v17, vcc_lo, v76, s6
	v_add_co_ci_u32_e32 v18, vcc_lo, s7, v77, vcc_lo
	s_lshl_b64 s[6:7], s[8:9], 1
	s_mul_hi_i32 s9, s17, s5
	s_mul_i32 s8, s17, s5
	v_add_co_u32 v19, vcc_lo, v76, s6
	s_lshl_b64 s[4:5], s[8:9], 1
	v_add_co_ci_u32_e32 v20, vcc_lo, s7, v77, vcc_lo
	v_add_co_u32 v21, vcc_lo, v76, s4
	v_add_co_ci_u32_e32 v22, vcc_lo, s5, v77, vcc_lo
	s_clause 0x7
	global_load_b128 v[1:4], v[5:6], off
	global_load_b128 v[5:8], v[5:6], off offset:16
	global_load_b128 v[33:36], v[17:18], off
	global_load_b128 v[37:40], v[17:18], off offset:16
	;; [unrolled: 2-line block ×4, first 2 shown]
	v_and_b32_e32 v76, 0xe0, v0
	v_mbcnt_lo_u32_b32 v77, -1, 0
	v_wmma_f32_16x16x16_bf16 v[110:117], v[86:93], v[118:125], v[110:117]
	s_waitcnt vmcnt(0)
	s_barrier
	v_add_nc_u32_e32 v76, s16, v76
	v_xor_b32_e32 v78, 16, v77
	v_wmma_f32_16x16x16_bf16 v[110:117], v[102:109], v[126:133], v[110:117]
	v_mul_f32_e32 v97, s19, v134
	v_mul_f32_e32 v99, s19, v135
	v_or_b32_e32 v76, v76, v83
	v_cmp_gt_i32_e32 vcc_lo, 32, v78
	buffer_gl0_inv
	v_or_b32_e32 v79, 4, v76
	v_cndmask_b32_e32 v77, v77, v78, vcc_lo
	v_or_b32_e32 v78, 2, v76
	v_or_b32_e32 v80, 6, v76
	;; [unrolled: 1-line block ×3, first 2 shown]
	v_cmp_gt_i32_e32 vcc_lo, s18, v76
	v_or_b32_e32 v87, 10, v76
	v_cmp_gt_i32_e64 s3, s18, v78
	v_or_b32_e32 v88, 12, v76
	v_or_b32_e32 v89, 14, v76
	;; [unrolled: 1-line block ×10, first 2 shown]
	v_cndmask_b32_e64 v78, 0xff7fffff, v99, s3
	v_mul_f32_e32 v99, s19, v137
	v_cmp_gt_i32_e64 s4, s18, v80
	v_mul_f32_e32 v80, s19, v136
	v_cmp_gt_i32_e64 s5, s18, v79
	v_cmp_gt_i32_e64 s6, s18, v86
	v_mul_f32_e32 v86, s19, v116
	v_cndmask_b32_e32 v76, 0xff7fffff, v97, vcc_lo
	v_mul_f32_e32 v79, s19, v139
	v_cndmask_b32_e64 v80, 0xff7fffff, v80, s5
	v_cndmask_b32_e64 v99, 0xff7fffff, v99, s4
	v_cmp_gt_i32_e64 s7, s18, v87
	v_max3_f32 v76, v76, 0xff7fffff, v78
	v_dual_mul_f32 v78, s19, v138 :: v_dual_mul_f32 v97, s19, v140
	v_cmp_gt_i32_e64 s8, s18, v89
	s_delay_alu instid0(VALU_DEP_4) | instskip(NEXT) | instid1(VALU_DEP_4)
	v_cndmask_b32_e64 v79, 0xff7fffff, v79, s7
	v_max3_f32 v76, v76, v80, v99
	s_delay_alu instid0(VALU_DEP_4) | instskip(SKIP_3) | instid1(VALU_DEP_4)
	v_cndmask_b32_e64 v78, 0xff7fffff, v78, s6
	v_cmp_gt_i32_e64 s9, s18, v88
	v_dual_mul_f32 v88, s19, v111 :: v_dual_mul_f32 v89, s19, v110
	v_cndmask_b32_e64 v100, 0xff7fffff, v100, s8
	v_max3_f32 v76, v76, v78, v79
	s_delay_alu instid0(VALU_DEP_4) | instskip(SKIP_3) | instid1(VALU_DEP_4)
	v_cndmask_b32_e64 v97, 0xff7fffff, v97, s9
	v_cmp_gt_i32_e64 s10, s18, v90
	v_cmp_gt_i32_e64 s11, s18, v91
	v_dual_mul_f32 v78, s19, v113 :: v_dual_mul_f32 v79, s19, v112
	v_max3_f32 v76, v76, v97, v100
	s_delay_alu instid0(VALU_DEP_4) | instskip(NEXT) | instid1(VALU_DEP_4)
	v_cndmask_b32_e64 v89, 0xff7fffff, v89, s10
	v_cndmask_b32_e64 v88, 0xff7fffff, v88, s11
	v_cmp_gt_i32_e64 s12, s18, v92
	v_cmp_gt_i32_e64 s13, s18, v93
	v_mul_f32_e32 v87, s19, v115
	v_mul_f32_e32 v99, s19, v114
	v_max3_f32 v76, v76, v89, v88
	v_cndmask_b32_e64 v79, 0xff7fffff, v79, s12
	v_cndmask_b32_e64 v78, 0xff7fffff, v78, s13
	v_cmp_gt_i32_e64 s15, s18, v94
	v_cmp_gt_i32_e64 s16, s18, v95
	v_mul_f32_e32 v80, s19, v117
	v_cmp_gt_i32_e64 s17, s18, v96
	v_max3_f32 v76, v76, v79, v78
	v_cndmask_b32_e64 v88, 0xff7fffff, v99, s15
	v_cndmask_b32_e64 v87, 0xff7fffff, v87, s16
	v_cmp_gt_i32_e64 s18, s18, v98
	v_cndmask_b32_e64 v78, 0xff7fffff, v86, s17
	v_lshlrev_b32_e32 v99, 2, v77
	s_delay_alu instid0(VALU_DEP_4) | instskip(NEXT) | instid1(VALU_DEP_4)
	v_max3_f32 v76, v76, v88, v87
	v_cndmask_b32_e64 v79, 0xff7fffff, v80, s18
	s_delay_alu instid0(VALU_DEP_1) | instskip(SKIP_3) | instid1(VALU_DEP_1)
	v_max3_f32 v76, v76, v78, v79
	ds_bpermute_b32 v77, v99, v76
	s_waitcnt lgkmcnt(0)
	v_max_f32_e32 v77, v77, v77
	v_max_f32_e32 v76, v76, v77
	s_delay_alu instid0(VALU_DEP_1)
	v_fma_f32 v86, s19, v138, -v76
	v_fma_f32 v77, s19, v134, -v76
	;; [unrolled: 1-line block ×5, first 2 shown]
	v_mul_f32_e32 v86, 0x3fb8aa3b, v86
	v_fma_f32 v88, s19, v114, -v76
	s_delay_alu instid0(VALU_DEP_4) | instskip(NEXT) | instid1(VALU_DEP_4)
	v_dual_mul_f32 v78, 0x3fb8aa3b, v78 :: v_dual_mul_f32 v79, 0x3fb8aa3b, v79
	v_mul_f32_e32 v80, 0x3fb8aa3b, v80
	s_delay_alu instid0(VALU_DEP_4) | instskip(SKIP_1) | instid1(VALU_DEP_3)
	v_exp_f32_e32 v86, v86
	v_fma_f32 v87, s19, v140, -v76
	v_exp_f32_e32 v78, v78
	v_exp_f32_e32 v79, v79
	;; [unrolled: 1-line block ×3, first 2 shown]
	s_delay_alu instid0(VALU_DEP_1)
	v_dual_mul_f32 v88, 0x3fb8aa3b, v88 :: v_dual_mul_f32 v87, 0x3fb8aa3b, v87
	v_fma_f32 v100, s19, v117, -v76
	v_fma_f32 v90, s19, v116, -v76
	v_cndmask_b32_e64 v96, 0, v86, s6
	v_fma_f32 v86, s19, v111, -v76
	v_mul_f32_e32 v77, 0x3fb8aa3b, v77
	s_delay_alu instid0(TRANS32_DEP_3) | instskip(NEXT) | instid1(TRANS32_DEP_2)
	v_cndmask_b32_e64 v91, 0, v78, s3
	v_cndmask_b32_e64 v93, 0, v79, s5
	s_delay_alu instid0(TRANS32_DEP_1)
	v_cndmask_b32_e64 v95, 0, v80, s4
	v_mul_f32_e32 v86, 0x3fb8aa3b, v86
	v_exp_f32_e32 v77, v77
	v_fma_f32 v79, s19, v141, -v76
	v_fma_f32 v80, s19, v110, -v76
	v_exp_f32_e32 v87, v87
	v_exp_f32_e32 v86, v86
	s_delay_alu instid0(VALU_DEP_2) | instskip(NEXT) | instid1(VALU_DEP_2)
	v_dual_mul_f32 v100, 0x3fb8aa3b, v100 :: v_dual_mul_f32 v79, 0x3fb8aa3b, v79
	v_mul_f32_e32 v80, 0x3fb8aa3b, v80
	v_exp_f32_e32 v88, v88
	v_cmp_gt_u32_e64 s3, 16, v75
	v_cndmask_b32_e32 v92, 0, v77, vcc_lo
	v_fma_f32 v77, s19, v139, -v76
	v_exp_f32_e32 v79, v79
	v_exp_f32_e32 v80, v80
	v_cndmask_b32_e64 v94, 0, v87, s9
	s_delay_alu instid0(VALU_DEP_2) | instskip(SKIP_2) | instid1(VALU_DEP_2)
	v_dual_add_f32 v78, 0, v92 :: v_dual_mul_f32 v77, 0x3fb8aa3b, v77
	v_fma_f32 v87, s19, v113, -v76
	v_exp_f32_e32 v100, v100
	v_add_f32_e32 v78, v78, v91
	s_delay_alu instid0(VALU_DEP_3) | instskip(SKIP_1) | instid1(VALU_DEP_2)
	v_exp_f32_e32 v77, v77
	v_cndmask_b32_e64 v98, 0, v79, s8
	v_dual_mul_f32 v87, 0x3fb8aa3b, v87 :: v_dual_add_f32 v78, v78, v93
	s_delay_alu instid0(VALU_DEP_1) | instskip(NEXT) | instid1(VALU_DEP_1)
	v_exp_f32_e32 v87, v87
	v_add_f32_e32 v78, v78, v95
	s_waitcnt_depctr 0xfff
	v_cndmask_b32_e64 v97, 0, v77, s7
	v_add_f32_e32 v77, v78, v96
	v_fma_f32 v78, s19, v112, -v76
	s_delay_alu instid0(VALU_DEP_1) | instskip(NEXT) | instid1(VALU_DEP_1)
	v_mul_f32_e32 v78, 0x3fb8aa3b, v78
	v_exp_f32_e32 v89, v78
	v_cndmask_b32_e64 v78, 0, v86, s11
	v_add_f32_e32 v77, v77, v97
	s_delay_alu instid0(VALU_DEP_1) | instskip(SKIP_2) | instid1(VALU_DEP_1)
	v_add_f32_e32 v79, v77, v94
	v_cndmask_b32_e64 v77, 0, v80, s10
	v_fma_f32 v80, s19, v115, -v76
	v_dual_add_f32 v79, v79, v98 :: v_dual_mul_f32 v80, 0x3fb8aa3b, v80
	s_delay_alu instid0(VALU_DEP_1) | instskip(NEXT) | instid1(TRANS32_DEP_1)
	v_add_f32_e32 v86, v79, v77
	v_cndmask_b32_e64 v79, 0, v89, s12
	v_mul_f32_e32 v89, 0x3fb8aa3b, v90
	s_delay_alu instid0(VALU_DEP_4) | instskip(SKIP_2) | instid1(VALU_DEP_3)
	v_exp_f32_e32 v90, v80
	v_cndmask_b32_e64 v80, 0, v87, s13
	v_add_f32_e32 v86, v86, v78
	v_exp_f32_e32 v89, v89
	s_delay_alu instid0(VALU_DEP_1) | instskip(SKIP_1) | instid1(VALU_DEP_2)
	v_add_f32_e32 v87, v86, v79
	v_cndmask_b32_e64 v86, 0, v88, s15
	v_add_f32_e32 v88, v87, v80
	s_delay_alu instid0(TRANS32_DEP_2) | instskip(NEXT) | instid1(VALU_DEP_2)
	v_cndmask_b32_e64 v87, 0, v90, s16
	v_add_f32_e32 v90, v88, v86
	s_waitcnt_depctr 0xfff
	v_cndmask_b32_e64 v88, 0, v89, s17
	v_add_f32_e32 v89, v90, v87
	s_delay_alu instid0(VALU_DEP_1) | instskip(SKIP_1) | instid1(VALU_DEP_1)
	v_add_f32_e32 v90, v89, v88
	v_cndmask_b32_e64 v89, 0, v100, s18
	v_add_f32_e32 v90, v90, v89
	ds_bpermute_b32 v99, v99, v90
	s_and_saveexec_b32 s4, s3
	s_cbranch_execz .LBB556_14
; %bb.13:
	v_mul_u32_u24_e32 v75, 0x44, v74
	s_waitcnt lgkmcnt(0)
	v_add_f32_e32 v90, v90, v99
	s_delay_alu instid0(VALU_DEP_2) | instskip(NEXT) | instid1(VALU_DEP_1)
	v_lshl_add_u32 v75, v73, 2, v75
	v_add_nc_u32_e32 v75, 0x4000, v75
	ds_store_2addr_b32 v75, v76, v90 offset1:136
.LBB556_14:
	s_or_b32 exec_lo, exec_lo, s4
	v_lshlrev_b32_e32 v75, 2, v73
	s_waitcnt lgkmcnt(0)
	s_barrier
	buffer_gl0_inv
	v_cmp_eq_u32_e64 s4, 1, v74
	v_add_nc_u32_e32 v90, 0x4000, v75
	ds_load_2addr_b32 v[99:100], v90 offset1:17
	ds_load_2addr_b32 v[101:102], v90 offset0:34 offset1:51
	ds_load_2addr_b32 v[103:104], v90 offset0:68 offset1:85
	;; [unrolled: 1-line block ×4, first 2 shown]
	s_waitcnt lgkmcnt(4)
	v_max3_f32 v75, v99, 0xff7fffff, v100
	s_waitcnt lgkmcnt(3)
	s_delay_alu instid0(VALU_DEP_1) | instskip(SKIP_1) | instid1(VALU_DEP_1)
	v_max3_f32 v75, v75, v101, v102
	s_waitcnt lgkmcnt(2)
	v_max3_f32 v75, v75, v103, v104
	s_waitcnt lgkmcnt(1)
	s_delay_alu instid0(VALU_DEP_1) | instskip(NEXT) | instid1(VALU_DEP_1)
	v_max3_f32 v75, v75, v105, v106
	v_sub_f32_e32 v109, v100, v75
	v_sub_f32_e32 v76, v99, v75
	ds_load_2addr_b32 v[99:100], v90 offset0:170 offset1:187
	v_sub_f32_e32 v101, v101, v75
	v_dual_mul_f32 v109, 0x3fb8aa3b, v109 :: v_dual_mul_f32 v76, 0x3fb8aa3b, v76
	s_delay_alu instid0(VALU_DEP_2) | instskip(NEXT) | instid1(VALU_DEP_2)
	v_mul_f32_e32 v111, 0x3fb8aa3b, v101
	v_exp_f32_e32 v109, v109
	s_delay_alu instid0(VALU_DEP_2)
	v_exp_f32_e32 v110, v76
	v_sub_f32_e32 v76, v102, v75
	ds_load_2addr_b32 v[101:102], v90 offset0:204 offset1:221
	v_exp_f32_e32 v111, v111
	v_mul_f32_e32 v112, 0x3fb8aa3b, v76
	s_waitcnt lgkmcnt(2)
	v_fma_f32 v76, v110, v107, 0
	v_sub_f32_e32 v103, v103, v75
	s_delay_alu instid0(VALU_DEP_3) | instskip(NEXT) | instid1(VALU_DEP_2)
	v_exp_f32_e32 v112, v112
	v_dual_sub_f32 v107, v104, v75 :: v_dual_fmac_f32 v76, v109, v108
	s_waitcnt lgkmcnt(1)
	s_waitcnt_depctr 0xfff
	v_fmac_f32_e32 v76, v111, v99
	v_mul_f32_e32 v113, 0x3fb8aa3b, v103
	ds_load_2addr_b32 v[103:104], v90 offset0:238 offset1:255
	v_sub_f32_e32 v90, v105, v75
	v_dual_sub_f32 v99, v106, v75 :: v_dual_fmac_f32 v76, v112, v100
	v_mul_f32_e32 v105, 0x3fb8aa3b, v107
	v_exp_f32_e32 v107, v113
	s_delay_alu instid0(VALU_DEP_2)
	v_dual_mul_f32 v90, 0x3fb8aa3b, v90 :: v_dual_mul_f32 v99, 0x3fb8aa3b, v99
	s_waitcnt lgkmcnt(0)
	s_barrier
	buffer_gl0_inv
	v_exp_f32_e32 v90, v90
	v_exp_f32_e32 v99, v99
	v_fmac_f32_e32 v76, v107, v101
	v_exp_f32_e32 v105, v105
	s_waitcnt_depctr 0xfff
	v_fmac_f32_e32 v76, v105, v102
	s_delay_alu instid0(VALU_DEP_1) | instskip(NEXT) | instid1(VALU_DEP_1)
	v_fmac_f32_e32 v76, v90, v103
	v_fmac_f32_e32 v76, v99, v104
	s_delay_alu instid0(VALU_DEP_1) | instskip(NEXT) | instid1(VALU_DEP_1)
	v_add_f32_e32 v100, 0x358637bd, v76
	v_div_scale_f32 v101, null, v100, v100, 1.0
	v_div_scale_f32 v104, vcc_lo, 1.0, v100, 1.0
	s_delay_alu instid0(VALU_DEP_2) | instskip(SKIP_2) | instid1(VALU_DEP_1)
	v_rcp_f32_e32 v102, v101
	s_waitcnt_depctr 0xfff
	v_fma_f32 v103, -v101, v102, 1.0
	v_fmac_f32_e32 v102, v103, v102
	v_cndmask_b32_e64 v103, v110, v109, s4
	v_cmp_eq_u32_e64 s4, 2, v74
	s_delay_alu instid0(VALU_DEP_3) | instskip(NEXT) | instid1(VALU_DEP_2)
	v_mul_f32_e32 v106, v104, v102
	v_cndmask_b32_e64 v103, v103, v111, s4
	v_cmp_eq_u32_e64 s4, 3, v74
	s_delay_alu instid0(VALU_DEP_3) | instskip(NEXT) | instid1(VALU_DEP_2)
	v_fma_f32 v108, -v101, v106, v104
	v_cndmask_b32_e64 v103, v103, v112, s4
	v_cmp_eq_u32_e64 s4, 4, v74
	s_delay_alu instid0(VALU_DEP_3) | instskip(NEXT) | instid1(VALU_DEP_2)
	v_fmac_f32_e32 v106, v108, v102
	v_cndmask_b32_e64 v103, v103, v107, s4
	s_delay_alu instid0(VALU_DEP_2) | instskip(SKIP_1) | instid1(VALU_DEP_2)
	v_fma_f32 v101, -v101, v106, v104
	v_cmp_eq_u32_e64 s4, 5, v74
	v_div_fmas_f32 v101, v101, v102, v106
	s_delay_alu instid0(VALU_DEP_2) | instskip(SKIP_2) | instid1(VALU_DEP_3)
	v_cndmask_b32_e64 v103, v103, v105, s4
	v_cmp_eq_u32_e32 vcc_lo, 6, v74
	s_mov_b32 s4, exec_lo
	v_div_fixup_f32 v100, v101, v100, 1.0
	s_delay_alu instid0(VALU_DEP_3) | instskip(SKIP_1) | instid1(VALU_DEP_2)
	v_cndmask_b32_e32 v90, v103, v90, vcc_lo
	v_cmp_eq_u32_e32 vcc_lo, 7, v74
	v_cndmask_b32_e32 v90, v90, v99, vcc_lo
	s_delay_alu instid0(VALU_DEP_1) | instskip(NEXT) | instid1(VALU_DEP_1)
	v_mul_f32_e32 v90, v90, v100
	v_mul_f32_e32 v100, v90, v92
	;; [unrolled: 1-line block ×6, first 2 shown]
	v_and_b32_e32 v101, 0x7f800000, v100
	v_mul_f32_e32 v99, v90, v95
	v_mul_f32_e32 v95, v90, v91
	;; [unrolled: 1-line block ×3, first 2 shown]
                                        ; implicit-def: $vgpr91
	s_delay_alu instid0(VALU_DEP_4)
	v_cmpx_ne_u32_e32 0x7f800000, v101
	s_xor_b32 s4, exec_lo, s4
; %bb.15:
	v_bfe_u32 v91, v100, 16, 1
	s_delay_alu instid0(VALU_DEP_1)
	v_add3_u32 v91, v100, v91, 0x7fff
                                        ; implicit-def: $vgpr100
; %bb.16:
	s_and_not1_saveexec_b32 s4, s4
; %bb.17:
	v_and_b32_e32 v91, 0xffff, v100
	v_or_b32_e32 v93, 0x10000, v100
	s_delay_alu instid0(VALU_DEP_2) | instskip(NEXT) | instid1(VALU_DEP_2)
	v_cmp_eq_u32_e32 vcc_lo, 0, v91
	v_cndmask_b32_e32 v91, v93, v100, vcc_lo
; %bb.18:
	s_or_b32 exec_lo, exec_lo, s4
	v_and_b32_e32 v93, 0x7f800000, v95
	s_delay_alu instid0(VALU_DEP_1) | instskip(SKIP_1) | instid1(SALU_CYCLE_1)
	v_cmp_ne_u32_e32 vcc_lo, 0x7f800000, v93
                                        ; implicit-def: $vgpr93
	s_and_saveexec_b32 s4, vcc_lo
	s_xor_b32 s4, exec_lo, s4
; %bb.19:
	v_bfe_u32 v93, v95, 16, 1
	s_delay_alu instid0(VALU_DEP_1)
	v_add3_u32 v93, v95, v93, 0x7fff
                                        ; implicit-def: $vgpr95
; %bb.20:
	s_and_not1_saveexec_b32 s4, s4
; %bb.21:
	v_and_b32_e32 v93, 0xffff, v95
	v_or_b32_e32 v100, 0x10000, v95
	s_delay_alu instid0(VALU_DEP_2) | instskip(NEXT) | instid1(VALU_DEP_2)
	v_cmp_eq_u32_e32 vcc_lo, 0, v93
	v_cndmask_b32_e32 v93, v100, v95, vcc_lo
; %bb.22:
	s_or_b32 exec_lo, exec_lo, s4
	v_and_b32_e32 v95, 0x7f800000, v96
	s_delay_alu instid0(VALU_DEP_1) | instskip(SKIP_1) | instid1(SALU_CYCLE_1)
	v_cmp_ne_u32_e32 vcc_lo, 0x7f800000, v95
                                        ; implicit-def: $vgpr95
	s_and_saveexec_b32 s4, vcc_lo
	s_xor_b32 s4, exec_lo, s4
; %bb.23:
	v_bfe_u32 v95, v96, 16, 1
	s_delay_alu instid0(VALU_DEP_1)
	v_add3_u32 v95, v96, v95, 0x7fff
                                        ; implicit-def: $vgpr96
; %bb.24:
	s_and_not1_saveexec_b32 s4, s4
; %bb.25:
	v_and_b32_e32 v95, 0xffff, v96
	v_or_b32_e32 v100, 0x10000, v96
	s_delay_alu instid0(VALU_DEP_2) | instskip(NEXT) | instid1(VALU_DEP_2)
	v_cmp_eq_u32_e32 vcc_lo, 0, v95
	v_cndmask_b32_e32 v95, v100, v96, vcc_lo
; %bb.26:
	s_or_b32 exec_lo, exec_lo, s4
	v_and_b32_e32 v96, 0x7f800000, v99
	s_delay_alu instid0(VALU_DEP_1) | instskip(SKIP_1) | instid1(SALU_CYCLE_1)
	v_cmp_ne_u32_e32 vcc_lo, 0x7f800000, v96
                                        ; implicit-def: $vgpr96
	s_and_saveexec_b32 s4, vcc_lo
	s_xor_b32 s4, exec_lo, s4
; %bb.27:
	v_bfe_u32 v96, v99, 16, 1
	s_delay_alu instid0(VALU_DEP_1)
	v_add3_u32 v96, v99, v96, 0x7fff
                                        ; implicit-def: $vgpr99
; %bb.28:
	s_and_not1_saveexec_b32 s4, s4
; %bb.29:
	v_and_b32_e32 v96, 0xffff, v99
	v_or_b32_e32 v100, 0x10000, v99
	s_delay_alu instid0(VALU_DEP_2) | instskip(NEXT) | instid1(VALU_DEP_2)
	v_cmp_eq_u32_e32 vcc_lo, 0, v96
	v_cndmask_b32_e32 v96, v100, v99, vcc_lo
; %bb.30:
	s_or_b32 exec_lo, exec_lo, s4
	v_and_b32_e32 v99, 0x7f800000, v98
	s_delay_alu instid0(VALU_DEP_1) | instskip(SKIP_1) | instid1(SALU_CYCLE_1)
	v_cmp_ne_u32_e32 vcc_lo, 0x7f800000, v99
                                        ; implicit-def: $vgpr99
	s_and_saveexec_b32 s4, vcc_lo
	s_xor_b32 s4, exec_lo, s4
; %bb.31:
	v_bfe_u32 v99, v98, 16, 1
	s_delay_alu instid0(VALU_DEP_1)
	v_add3_u32 v99, v98, v99, 0x7fff
                                        ; implicit-def: $vgpr98
; %bb.32:
	s_and_not1_saveexec_b32 s4, s4
; %bb.33:
	v_and_b32_e32 v99, 0xffff, v98
	v_or_b32_e32 v100, 0x10000, v98
	s_delay_alu instid0(VALU_DEP_2) | instskip(NEXT) | instid1(VALU_DEP_2)
	v_cmp_eq_u32_e32 vcc_lo, 0, v99
	v_cndmask_b32_e32 v99, v100, v98, vcc_lo
; %bb.34:
	s_or_b32 exec_lo, exec_lo, s4
	v_and_b32_e32 v98, 0x7f800000, v97
	s_delay_alu instid0(VALU_DEP_1) | instskip(SKIP_1) | instid1(SALU_CYCLE_1)
	v_cmp_ne_u32_e32 vcc_lo, 0x7f800000, v98
                                        ; implicit-def: $vgpr98
	s_and_saveexec_b32 s4, vcc_lo
	s_xor_b32 s4, exec_lo, s4
; %bb.35:
	v_bfe_u32 v98, v97, 16, 1
	s_delay_alu instid0(VALU_DEP_1)
	v_add3_u32 v98, v97, v98, 0x7fff
                                        ; implicit-def: $vgpr97
; %bb.36:
	s_and_not1_saveexec_b32 s4, s4
; %bb.37:
	v_and_b32_e32 v98, 0xffff, v97
	v_or_b32_e32 v100, 0x10000, v97
	s_delay_alu instid0(VALU_DEP_2) | instskip(NEXT) | instid1(VALU_DEP_2)
	v_cmp_eq_u32_e32 vcc_lo, 0, v98
	v_cndmask_b32_e32 v98, v100, v97, vcc_lo
; %bb.38:
	s_or_b32 exec_lo, exec_lo, s4
	v_and_b32_e32 v97, 0x7f800000, v94
	s_delay_alu instid0(VALU_DEP_1) | instskip(SKIP_1) | instid1(SALU_CYCLE_1)
	v_cmp_ne_u32_e32 vcc_lo, 0x7f800000, v97
                                        ; implicit-def: $vgpr97
	s_and_saveexec_b32 s4, vcc_lo
	s_xor_b32 s4, exec_lo, s4
; %bb.39:
	v_bfe_u32 v97, v94, 16, 1
	s_delay_alu instid0(VALU_DEP_1)
	v_add3_u32 v97, v94, v97, 0x7fff
                                        ; implicit-def: $vgpr94
; %bb.40:
	s_and_not1_saveexec_b32 s4, s4
; %bb.41:
	v_and_b32_e32 v97, 0xffff, v94
	v_or_b32_e32 v100, 0x10000, v94
	s_delay_alu instid0(VALU_DEP_2) | instskip(NEXT) | instid1(VALU_DEP_2)
	v_cmp_eq_u32_e32 vcc_lo, 0, v97
	v_cndmask_b32_e32 v97, v100, v94, vcc_lo
; %bb.42:
	s_or_b32 exec_lo, exec_lo, s4
	v_and_b32_e32 v94, 0x7f800000, v92
	s_delay_alu instid0(VALU_DEP_1) | instskip(SKIP_1) | instid1(SALU_CYCLE_1)
	v_cmp_ne_u32_e32 vcc_lo, 0x7f800000, v94
                                        ; implicit-def: $vgpr94
	s_and_saveexec_b32 s4, vcc_lo
	s_xor_b32 s4, exec_lo, s4
; %bb.43:
	v_bfe_u32 v94, v92, 16, 1
	s_delay_alu instid0(VALU_DEP_1)
	v_add3_u32 v94, v92, v94, 0x7fff
                                        ; implicit-def: $vgpr92
; %bb.44:
	s_and_not1_saveexec_b32 s4, s4
; %bb.45:
	v_and_b32_e32 v94, 0xffff, v92
	v_or_b32_e32 v100, 0x10000, v92
	s_delay_alu instid0(VALU_DEP_2) | instskip(NEXT) | instid1(VALU_DEP_2)
	v_cmp_eq_u32_e32 vcc_lo, 0, v94
	v_cndmask_b32_e32 v94, v100, v92, vcc_lo
; %bb.46:
	s_or_b32 exec_lo, exec_lo, s4
	s_load_b64 s[36:37], s[0:1], 0x94
	v_lshlrev_b32_e32 v92, 4, v83
	s_delay_alu instid0(VALU_DEP_2)
	v_perm_b32 v100, v94, v97, 0x7060302
	v_dual_mul_f32 v89, v90, v89 :: v_dual_lshlrev_b32 v94, 11, v74
	v_perm_b32 v97, v93, v91, 0x7060302
	v_mul_f32_e32 v93, v90, v77
	v_perm_b32 v99, v98, v99, 0x7060302
	v_perm_b32 v98, v96, v95, 0x7060302
	v_or3_b32 v77, v92, v94, v85
	v_mul_f32_e32 v88, v90, v88
	v_dual_mul_f32 v87, v90, v87 :: v_dual_and_b32 v94, 0x7f800000, v93
	v_mul_f32_e32 v86, v90, v86
	v_mul_f32_e32 v91, v90, v80
	;; [unrolled: 1-line block ×4, first 2 shown]
	s_mov_b32 s4, exec_lo
	ds_store_b128 v77, v[97:100]
                                        ; implicit-def: $vgpr78
	v_cmpx_ne_u32_e32 0x7f800000, v94
	s_xor_b32 s4, exec_lo, s4
; %bb.47:
	v_bfe_u32 v78, v93, 16, 1
	s_delay_alu instid0(VALU_DEP_1)
	v_add3_u32 v78, v93, v78, 0x7fff
                                        ; implicit-def: $vgpr93
; %bb.48:
	s_and_not1_saveexec_b32 s4, s4
; %bb.49:
	v_and_b32_e32 v78, 0xffff, v93
	v_or_b32_e32 v79, 0x10000, v93
	s_delay_alu instid0(VALU_DEP_2) | instskip(NEXT) | instid1(VALU_DEP_2)
	v_cmp_eq_u32_e32 vcc_lo, 0, v78
	v_cndmask_b32_e32 v78, v79, v93, vcc_lo
; %bb.50:
	s_or_b32 exec_lo, exec_lo, s4
	v_and_b32_e32 v79, 0x7f800000, v80
	s_delay_alu instid0(VALU_DEP_1) | instskip(SKIP_1) | instid1(SALU_CYCLE_1)
	v_cmp_ne_u32_e32 vcc_lo, 0x7f800000, v79
                                        ; implicit-def: $vgpr79
	s_and_saveexec_b32 s4, vcc_lo
	s_xor_b32 s4, exec_lo, s4
; %bb.51:
	v_bfe_u32 v79, v80, 16, 1
	s_delay_alu instid0(VALU_DEP_1)
	v_add3_u32 v79, v80, v79, 0x7fff
                                        ; implicit-def: $vgpr80
; %bb.52:
	s_and_not1_saveexec_b32 s4, s4
; %bb.53:
	v_and_b32_e32 v79, 0xffff, v80
	v_or_b32_e32 v90, 0x10000, v80
	s_delay_alu instid0(VALU_DEP_2) | instskip(NEXT) | instid1(VALU_DEP_2)
	v_cmp_eq_u32_e32 vcc_lo, 0, v79
	v_cndmask_b32_e32 v79, v90, v80, vcc_lo
; %bb.54:
	s_or_b32 exec_lo, exec_lo, s4
	v_and_b32_e32 v80, 0x7f800000, v92
	s_delay_alu instid0(VALU_DEP_1) | instskip(SKIP_1) | instid1(SALU_CYCLE_1)
	v_cmp_ne_u32_e32 vcc_lo, 0x7f800000, v80
                                        ; implicit-def: $vgpr80
	s_and_saveexec_b32 s4, vcc_lo
	s_xor_b32 s4, exec_lo, s4
; %bb.55:
	v_bfe_u32 v80, v92, 16, 1
	s_delay_alu instid0(VALU_DEP_1)
	v_add3_u32 v80, v92, v80, 0x7fff
                                        ; implicit-def: $vgpr92
; %bb.56:
	s_and_not1_saveexec_b32 s4, s4
; %bb.57:
	v_and_b32_e32 v80, 0xffff, v92
	v_or_b32_e32 v90, 0x10000, v92
	s_delay_alu instid0(VALU_DEP_2) | instskip(NEXT) | instid1(VALU_DEP_2)
	v_cmp_eq_u32_e32 vcc_lo, 0, v80
	v_cndmask_b32_e32 v80, v90, v92, vcc_lo
; %bb.58:
	s_or_b32 exec_lo, exec_lo, s4
	v_and_b32_e32 v90, 0x7f800000, v91
	s_delay_alu instid0(VALU_DEP_1) | instskip(SKIP_1) | instid1(SALU_CYCLE_1)
	v_cmp_ne_u32_e32 vcc_lo, 0x7f800000, v90
                                        ; implicit-def: $vgpr90
	s_and_saveexec_b32 s4, vcc_lo
	s_xor_b32 s4, exec_lo, s4
; %bb.59:
	v_bfe_u32 v90, v91, 16, 1
	s_delay_alu instid0(VALU_DEP_1)
	v_add3_u32 v90, v91, v90, 0x7fff
                                        ; implicit-def: $vgpr91
; %bb.60:
	s_and_not1_saveexec_b32 s4, s4
; %bb.61:
	v_and_b32_e32 v90, 0xffff, v91
	v_or_b32_e32 v92, 0x10000, v91
	s_delay_alu instid0(VALU_DEP_2) | instskip(NEXT) | instid1(VALU_DEP_2)
	v_cmp_eq_u32_e32 vcc_lo, 0, v90
	v_cndmask_b32_e32 v90, v92, v91, vcc_lo
; %bb.62:
	s_or_b32 exec_lo, exec_lo, s4
	v_and_b32_e32 v91, 0x7f800000, v86
	s_delay_alu instid0(VALU_DEP_1) | instskip(SKIP_1) | instid1(SALU_CYCLE_1)
	v_cmp_ne_u32_e32 vcc_lo, 0x7f800000, v91
                                        ; implicit-def: $vgpr91
	s_and_saveexec_b32 s4, vcc_lo
	s_xor_b32 s4, exec_lo, s4
; %bb.63:
	v_bfe_u32 v91, v86, 16, 1
	s_delay_alu instid0(VALU_DEP_1)
	v_add3_u32 v91, v86, v91, 0x7fff
                                        ; implicit-def: $vgpr86
; %bb.64:
	s_and_not1_saveexec_b32 s4, s4
; %bb.65:
	v_and_b32_e32 v91, 0xffff, v86
	v_or_b32_e32 v92, 0x10000, v86
	s_delay_alu instid0(VALU_DEP_2) | instskip(NEXT) | instid1(VALU_DEP_2)
	v_cmp_eq_u32_e32 vcc_lo, 0, v91
	v_cndmask_b32_e32 v91, v92, v86, vcc_lo
; %bb.66:
	s_or_b32 exec_lo, exec_lo, s4
	v_and_b32_e32 v86, 0x7f800000, v87
	s_delay_alu instid0(VALU_DEP_1) | instskip(SKIP_1) | instid1(SALU_CYCLE_1)
	v_cmp_ne_u32_e32 vcc_lo, 0x7f800000, v86
                                        ; implicit-def: $vgpr86
	s_and_saveexec_b32 s4, vcc_lo
	s_xor_b32 s4, exec_lo, s4
; %bb.67:
	v_bfe_u32 v86, v87, 16, 1
	s_delay_alu instid0(VALU_DEP_1)
	v_add3_u32 v86, v87, v86, 0x7fff
                                        ; implicit-def: $vgpr87
; %bb.68:
	s_and_not1_saveexec_b32 s4, s4
; %bb.69:
	v_and_b32_e32 v86, 0xffff, v87
	v_or_b32_e32 v92, 0x10000, v87
	s_delay_alu instid0(VALU_DEP_2) | instskip(NEXT) | instid1(VALU_DEP_2)
	v_cmp_eq_u32_e32 vcc_lo, 0, v86
	v_cndmask_b32_e32 v86, v92, v87, vcc_lo
; %bb.70:
	s_or_b32 exec_lo, exec_lo, s4
	v_and_b32_e32 v87, 0x7f800000, v88
	s_delay_alu instid0(VALU_DEP_1) | instskip(SKIP_1) | instid1(SALU_CYCLE_1)
	v_cmp_ne_u32_e32 vcc_lo, 0x7f800000, v87
                                        ; implicit-def: $vgpr87
	s_and_saveexec_b32 s4, vcc_lo
	s_xor_b32 s4, exec_lo, s4
; %bb.71:
	v_bfe_u32 v87, v88, 16, 1
	s_delay_alu instid0(VALU_DEP_1)
	v_add3_u32 v87, v88, v87, 0x7fff
                                        ; implicit-def: $vgpr88
; %bb.72:
	s_and_not1_saveexec_b32 s4, s4
; %bb.73:
	v_and_b32_e32 v87, 0xffff, v88
	v_or_b32_e32 v92, 0x10000, v88
	s_delay_alu instid0(VALU_DEP_2) | instskip(NEXT) | instid1(VALU_DEP_2)
	v_cmp_eq_u32_e32 vcc_lo, 0, v87
	v_cndmask_b32_e32 v87, v92, v88, vcc_lo
; %bb.74:
	s_or_b32 exec_lo, exec_lo, s4
	v_and_b32_e32 v88, 0x7f800000, v89
	s_delay_alu instid0(VALU_DEP_1) | instskip(SKIP_1) | instid1(SALU_CYCLE_1)
	v_cmp_ne_u32_e32 vcc_lo, 0x7f800000, v88
                                        ; implicit-def: $vgpr88
	s_and_saveexec_b32 s4, vcc_lo
	s_xor_b32 s4, exec_lo, s4
; %bb.75:
	v_bfe_u32 v88, v89, 16, 1
	s_delay_alu instid0(VALU_DEP_1)
	v_add3_u32 v88, v89, v88, 0x7fff
                                        ; implicit-def: $vgpr89
; %bb.76:
	s_and_not1_saveexec_b32 s4, s4
; %bb.77:
	v_and_b32_e32 v88, 0xffff, v89
	v_or_b32_e32 v92, 0x10000, v89
	s_delay_alu instid0(VALU_DEP_2) | instskip(NEXT) | instid1(VALU_DEP_2)
	v_cmp_eq_u32_e32 vcc_lo, 0, v88
	v_cndmask_b32_e32 v88, v92, v89, vcc_lo
; %bb.78:
	s_or_b32 exec_lo, exec_lo, s4
	s_delay_alu instid0(VALU_DEP_1)
	v_perm_b32 v89, v88, v87, 0x7060302
	v_perm_b32 v88, v86, v91, 0x7060302
	;; [unrolled: 1-line block ×4, first 2 shown]
	v_lshl_or_b32 v90, v74, 11, v85
	ds_store_b128 v77, v[86:89] offset:1024
	s_waitcnt lgkmcnt(0)
	s_barrier
	buffer_gl0_inv
	ds_load_b128 v[91:94], v90
	ds_load_b128 v[95:98], v90 offset:16
	v_lshlrev_b32_e32 v87, 2, v83
	s_delay_alu instid0(VALU_DEP_1)
	v_or_b32_e32 v88, 1, v87
	v_cmp_eq_u32_e32 vcc_lo, 1, v87
	v_cmp_eq_u32_e64 s5, 2, v87
	v_cmp_eq_u32_e64 s8, 3, v87
	;; [unrolled: 1-line block ×6, first 2 shown]
	v_or_b32_e32 v86, 2, v87
	v_cmp_eq_u32_e64 s11, 5, v87
	v_cmp_eq_u32_e64 s12, 4, v88
	;; [unrolled: 1-line block ×4, first 2 shown]
	s_waitcnt lgkmcnt(1)
	v_lshrrev_b32_e32 v74, 16, v91
	s_waitcnt lgkmcnt(0)
	v_lshrrev_b32_e32 v103, 16, v95
	v_lshrrev_b32_e32 v80, 16, v94
	;; [unrolled: 1-line block ×4, first 2 shown]
	v_cndmask_b32_e32 v89, v91, v74, vcc_lo
	v_cndmask_b32_e32 v99, v95, v103, vcc_lo
	v_cndmask_b32_e64 v100, v91, v74, s4
	v_lshrrev_b32_e32 v79, 16, v93
	v_lshrrev_b32_e32 v108, 16, v97
	v_cndmask_b32_e64 v89, v89, v92, s5
	v_cndmask_b32_e64 v99, v99, v96, s5
	;; [unrolled: 1-line block ×4, first 2 shown]
	v_cmp_eq_u32_e64 s6, 1, v86
	v_cndmask_b32_e64 v89, v89, v78, s8
	v_cndmask_b32_e64 v99, v99, v107, s8
	;; [unrolled: 1-line block ×4, first 2 shown]
	v_lshrrev_b32_e32 v109, 16, v98
	v_cndmask_b32_e64 v89, v89, v93, s10
	v_cndmask_b32_e64 v99, v99, v97, s10
	;; [unrolled: 1-line block ×8, first 2 shown]
	v_cmp_eq_u32_e64 s16, 7, v87
	v_cmp_eq_u32_e64 s17, 6, v88
	v_cndmask_b32_e64 v89, v89, v94, s13
	v_cndmask_b32_e64 v99, v99, v98, s13
	v_cmp_eq_u32_e64 s18, 2, v86
	v_cndmask_b32_e64 v101, v101, v97, s12
	v_cndmask_b32_e64 v100, v100, v94, s17
	;; [unrolled: 1-line block ×6, first 2 shown]
	v_cmp_eq_u32_e64 s19, 7, v88
	v_cmp_eq_u32_e64 s20, 3, v86
	;; [unrolled: 1-line block ×4, first 2 shown]
	v_cndmask_b32_e64 v99, v99, v96, s18
	v_cndmask_b32_e64 v112, v100, v80, s19
	;; [unrolled: 1-line block ×4, first 2 shown]
	v_or_b32_e32 v89, 3, v87
	v_cndmask_b32_e64 v105, v99, v107, s20
	v_cmp_eq_u32_e64 s25, 6, v86
	v_cndmask_b32_e64 v113, v100, v98, s17
	v_cndmask_b32_e64 v104, v101, v93, s21
	ds_load_b128 v[99:102], v90 offset:1024
	v_cmp_eq_u32_e64 s22, 1, v89
	v_cmp_eq_u32_e64 s24, 2, v89
	;; [unrolled: 1-line block ×3, first 2 shown]
	v_cndmask_b32_e64 v114, v104, v79, s23
	v_cmp_eq_u32_e64 s27, 4, v89
	v_cndmask_b32_e64 v74, v91, v74, s22
	v_cndmask_b32_e64 v91, v105, v97, s21
	v_cndmask_b32_e64 v95, v95, v103, s22
	ds_load_b128 v[103:106], v90 offset:1040
	v_cmp_eq_u32_e64 s29, 5, v89
	v_cndmask_b32_e64 v74, v74, v92, s24
	v_cndmask_b32_e64 v91, v91, v108, s23
	;; [unrolled: 1-line block ×3, first 2 shown]
	v_cmp_eq_u32_e64 s30, 6, v89
	v_cndmask_b32_e64 v95, v113, v109, s19
	v_cndmask_b32_e64 v74, v74, v78, s26
	v_cndmask_b32_e64 v78, v114, v94, s25
	v_cndmask_b32_e64 v92, v92, v107, s26
	v_cndmask_b32_e64 v91, v91, v98, s25
	s_waitcnt lgkmcnt(1)
	v_lshrrev_b32_e32 v96, 16, v99
	v_cndmask_b32_e64 v74, v74, v93, s27
	v_lshrrev_b32_e32 v107, 16, v100
	v_cndmask_b32_e64 v92, v92, v97, s27
	v_cmp_eq_u32_e64 s28, 7, v86
	v_cndmask_b32_e32 v93, v99, v96, vcc_lo
	v_cndmask_b32_e64 v74, v74, v79, s29
	s_delay_alu instid0(VALU_DEP_4)
	v_cndmask_b32_e64 v79, v92, v108, s29
	s_waitcnt lgkmcnt(0)
	v_lshrrev_b32_e32 v97, 16, v103
	v_cndmask_b32_e64 v92, v93, v100, s5
	v_cndmask_b32_e64 v93, v99, v96, s4
	;; [unrolled: 1-line block ×4, first 2 shown]
	v_cndmask_b32_e32 v108, v103, v97, vcc_lo
	v_cndmask_b32_e64 v92, v92, v107, s8
	v_cndmask_b32_e64 v93, v93, v100, s7
	v_lshrrev_b32_e32 v98, 16, v104
	v_cmp_eq_u32_e32 vcc_lo, 7, v89
	v_cndmask_b32_e64 v94, v108, v104, s5
	v_cndmask_b32_e64 v92, v92, v101, s10
	v_lshrrev_b32_e32 v108, 16, v101
	v_cndmask_b32_e64 v93, v93, v107, s9
	v_cndmask_b32_e32 v74, v74, v80, vcc_lo
	v_cndmask_b32_e64 v94, v94, v98, s8
	v_cndmask_b32_e32 v79, v79, v109, vcc_lo
	v_cndmask_b32_e64 v92, v92, v108, s11
	v_cndmask_b32_e64 v78, v78, v80, s28
	;; [unrolled: 1-line block ×4, first 2 shown]
	v_perm_b32 v94, v79, v74, 0x5040100
	v_cndmask_b32_e64 v79, v92, v102, s13
	v_perm_b32 v92, v95, v112, 0x5040100
	v_cndmask_b32_e64 v95, v99, v96, s6
	v_cndmask_b32_e64 v96, v99, v96, s22
	;; [unrolled: 1-line block ×16, first 2 shown]
	v_lshrrev_b32_e32 v109, 16, v105
	v_cndmask_b32_e64 v95, v95, v101, s21
	v_cndmask_b32_e64 v96, v96, v101, s27
	;; [unrolled: 1-line block ×6, first 2 shown]
	v_lshrrev_b32_e32 v80, 16, v102
	v_cndmask_b32_e64 v113, v93, v109, s11
	v_cndmask_b32_e64 v95, v95, v108, s23
	;; [unrolled: 1-line block ×6, first 2 shown]
	v_perm_b32 v93, v91, v78, 0x5040100
	v_cndmask_b32_e64 v74, v74, v102, s17
	v_cndmask_b32_e64 v78, v79, v80, s16
	;; [unrolled: 1-line block ×3, first 2 shown]
	v_lshrrev_b32_e32 v91, 16, v106
	v_cndmask_b32_e64 v95, v95, v102, s25
	v_cndmask_b32_e64 v96, v96, v102, s30
	;; [unrolled: 1-line block ×7, first 2 shown]
	v_cndmask_b32_e32 v80, v96, v80, vcc_lo
	v_cndmask_b32_e32 v96, v98, v91, vcc_lo
	v_cndmask_b32_e64 v99, v99, v91, s28
	v_cndmask_b32_e64 v100, v97, v91, s19
	;; [unrolled: 1-line block ×3, first 2 shown]
	v_perm_b32 v91, v111, v110, 0x5040100
	v_perm_b32 v98, v96, v80, 0x5040100
	v_perm_b32 v97, v99, v95, 0x5040100
	v_perm_b32 v96, v100, v74, 0x5040100
	v_perm_b32 v95, v79, v78, 0x5040100
	s_mul_i32 s9, s37, 3
	s_mov_b32 s4, exec_lo
	ds_store_b128 v77, v[91:94]
	ds_store_b128 v77, v[95:98] offset:1024
	v_cmpx_gt_u32_e32 3, v0
	s_cbranch_execz .LBB556_80
; %bb.79:
	s_mul_i32 s5, s9, s34
	s_load_b128 s[16:19], s[0:1], 0x58
	v_add3_u32 v77, s5, s31, v73
	s_delay_alu instid0(VALU_DEP_1) | instskip(NEXT) | instid1(VALU_DEP_1)
	v_mad_u64_u32 v[73:74], null, v77, s36, s[14:15]
	v_ashrrev_i32_e32 v74, 31, v73
	s_delay_alu instid0(VALU_DEP_1) | instskip(SKIP_1) | instid1(VALU_DEP_1)
	v_lshlrev_b64 v[73:74], 2, v[73:74]
	s_waitcnt lgkmcnt(0)
	v_add_co_u32 v77, vcc_lo, s18, v73
	s_delay_alu instid0(VALU_DEP_2)
	v_add_co_ci_u32_e32 v78, vcc_lo, s19, v74, vcc_lo
	v_add_co_u32 v73, vcc_lo, s16, v73
	v_add_co_ci_u32_e32 v74, vcc_lo, s17, v74, vcc_lo
	global_store_b32 v[77:78], v75, off
	global_store_b32 v[73:74], v76, off
.LBB556_80:
	s_or_b32 exec_lo, exec_lo, s4
	s_waitcnt lgkmcnt(0)
	s_waitcnt_vscnt null, 0x0
	s_barrier
	buffer_gl0_inv
	ds_load_b128 v[91:94], v85
	ds_load_b128 v[95:98], v85 offset:16
	ds_load_b128 v[103:106], v85 offset:1040
	;; [unrolled: 1-line block ×3, first 2 shown]
	v_mov_b32_e32 v73, 0
	ds_load_b128 v[111:114], v85 offset:2064
	ds_load_b128 v[107:110], v85 offset:2048
	;; [unrolled: 1-line block ×6, first 2 shown]
	v_mov_b32_e32 v74, v73
	v_mov_b32_e32 v75, v73
	;; [unrolled: 1-line block ×7, first 2 shown]
	s_waitcnt lgkmcnt(8)
	s_delay_alu instid0(VALU_DEP_1)
	v_wmma_f32_16x16x16_bf16 v[73:80], v[65:72], v[91:98], v[73:80]
	ds_load_b128 v[69:72], v85 offset:5136
	ds_load_b128 v[65:68], v85 offset:5120
	;; [unrolled: 1-line block ×4, first 2 shown]
	s_waitcnt lgkmcnt(10)
	v_wmma_f32_16x16x16_bf16 v[73:80], v[57:64], v[99:106], v[73:80]
	s_waitcnt lgkmcnt(8)
	s_delay_alu instid0(VALU_DEP_1)
	v_wmma_f32_16x16x16_bf16 v[73:80], v[57:64], v[107:114], v[73:80]
	ds_load_b128 v[61:64], v85 offset:7184
	ds_load_b128 v[57:60], v85 offset:7168
	;; [unrolled: 1-line block ×4, first 2 shown]
	s_waitcnt lgkmcnt(10)
	v_wmma_f32_16x16x16_bf16 v[73:80], v[49:56], v[115:122], v[73:80]
	s_waitcnt lgkmcnt(8)
	s_delay_alu instid0(VALU_DEP_1)
	v_wmma_f32_16x16x16_bf16 v[73:80], v[49:56], v[123:130], v[73:80]
	ds_load_b128 v[53:56], v85 offset:9232
	ds_load_b128 v[49:52], v85 offset:9216
	s_waitcnt lgkmcnt(8)
	v_wmma_f32_16x16x16_bf16 v[73:80], v[41:48], v[65:72], v[73:80]
	ds_load_b128 v[69:72], v85 offset:10256
	ds_load_b128 v[65:68], v85 offset:10240
	s_waitcnt lgkmcnt(8)
	;; [unrolled: 4-line block ×3, first 2 shown]
	v_wmma_f32_16x16x16_bf16 v[73:80], v[9:16], v[57:64], v[73:80]
	s_waitcnt lgkmcnt(6)
	s_delay_alu instid0(VALU_DEP_1)
	v_wmma_f32_16x16x16_bf16 v[73:80], v[9:16], v[99:106], v[73:80]
	ds_load_b128 v[13:16], v85 offset:12304
	ds_load_b128 v[9:12], v85 offset:12288
	s_waitcnt lgkmcnt(6)
	v_wmma_f32_16x16x16_bf16 v[73:80], v[1:8], v[49:56], v[73:80]
	ds_load_b128 v[53:56], v85 offset:13328
	ds_load_b128 v[49:52], v85 offset:13312
	s_waitcnt lgkmcnt(6)
	;; [unrolled: 4-line block ×4, first 2 shown]
	v_wmma_f32_16x16x16_bf16 v[73:80], v[33:40], v[9:16], v[73:80]
	s_waitcnt lgkmcnt(4)
	s_delay_alu instid0(VALU_DEP_1) | instskip(SKIP_1) | instid1(VALU_DEP_1)
	v_wmma_f32_16x16x16_bf16 v[73:80], v[25:32], v[49:56], v[73:80]
	s_waitcnt lgkmcnt(2)
	v_wmma_f32_16x16x16_bf16 v[73:80], v[25:32], v[1:8], v[73:80]
	s_waitcnt lgkmcnt(0)
	s_delay_alu instid0(VALU_DEP_1) | instskip(NEXT) | instid1(VALU_DEP_1)
	v_wmma_f32_16x16x16_bf16 v[73:80], v[17:24], v[41:48], v[73:80]
	v_and_b32_e32 v1, 0x7f800000, v73
	s_delay_alu instid0(VALU_DEP_1) | instskip(SKIP_1) | instid1(SALU_CYCLE_1)
	v_cmp_ne_u32_e32 vcc_lo, 0x7f800000, v1
                                        ; implicit-def: $vgpr1
	s_and_saveexec_b32 s4, vcc_lo
	s_xor_b32 s4, exec_lo, s4
; %bb.81:
	v_bfe_u32 v1, v73, 16, 1
	s_delay_alu instid0(VALU_DEP_1)
	v_add3_u32 v1, v73, v1, 0x7fff
; %bb.82:
	s_and_not1_saveexec_b32 s4, s4
; %bb.83:
	v_and_b32_e32 v1, 0xffff, v73
	v_or_b32_e32 v2, 0x10000, v73
	s_delay_alu instid0(VALU_DEP_2) | instskip(NEXT) | instid1(VALU_DEP_2)
	v_cmp_eq_u32_e32 vcc_lo, 0, v1
	v_cndmask_b32_e32 v1, v2, v73, vcc_lo
; %bb.84:
	s_or_b32 exec_lo, exec_lo, s4
	v_and_b32_e32 v2, 0x7f800000, v74
	s_delay_alu instid0(VALU_DEP_1) | instskip(SKIP_1) | instid1(SALU_CYCLE_1)
	v_cmp_ne_u32_e32 vcc_lo, 0x7f800000, v2
                                        ; implicit-def: $vgpr2
	s_and_saveexec_b32 s4, vcc_lo
	s_xor_b32 s4, exec_lo, s4
; %bb.85:
	v_bfe_u32 v2, v74, 16, 1
	s_delay_alu instid0(VALU_DEP_1)
	v_add3_u32 v2, v74, v2, 0x7fff
; %bb.86:
	s_and_not1_saveexec_b32 s4, s4
; %bb.87:
	v_and_b32_e32 v2, 0xffff, v74
	v_or_b32_e32 v3, 0x10000, v74
	s_delay_alu instid0(VALU_DEP_2) | instskip(NEXT) | instid1(VALU_DEP_2)
	v_cmp_eq_u32_e32 vcc_lo, 0, v2
	v_cndmask_b32_e32 v2, v3, v74, vcc_lo
; %bb.88:
	s_or_b32 exec_lo, exec_lo, s4
	v_and_b32_e32 v3, 0x7f800000, v75
	s_delay_alu instid0(VALU_DEP_1) | instskip(SKIP_1) | instid1(SALU_CYCLE_1)
	v_cmp_ne_u32_e32 vcc_lo, 0x7f800000, v3
                                        ; implicit-def: $vgpr3
	s_and_saveexec_b32 s4, vcc_lo
	s_xor_b32 s4, exec_lo, s4
; %bb.89:
	v_bfe_u32 v3, v75, 16, 1
	s_delay_alu instid0(VALU_DEP_1)
	v_add3_u32 v3, v75, v3, 0x7fff
; %bb.90:
	s_and_not1_saveexec_b32 s4, s4
; %bb.91:
	v_and_b32_e32 v3, 0xffff, v75
	v_or_b32_e32 v4, 0x10000, v75
	s_delay_alu instid0(VALU_DEP_2) | instskip(NEXT) | instid1(VALU_DEP_2)
	v_cmp_eq_u32_e32 vcc_lo, 0, v3
	v_cndmask_b32_e32 v3, v4, v75, vcc_lo
; %bb.92:
	s_or_b32 exec_lo, exec_lo, s4
	v_and_b32_e32 v4, 0x7f800000, v76
	s_delay_alu instid0(VALU_DEP_1) | instskip(SKIP_1) | instid1(SALU_CYCLE_1)
	v_cmp_ne_u32_e32 vcc_lo, 0x7f800000, v4
                                        ; implicit-def: $vgpr4
	s_and_saveexec_b32 s4, vcc_lo
	s_xor_b32 s4, exec_lo, s4
; %bb.93:
	v_bfe_u32 v4, v76, 16, 1
	s_delay_alu instid0(VALU_DEP_1)
	v_add3_u32 v4, v76, v4, 0x7fff
; %bb.94:
	s_and_not1_saveexec_b32 s4, s4
; %bb.95:
	v_and_b32_e32 v4, 0xffff, v76
	v_or_b32_e32 v5, 0x10000, v76
	s_delay_alu instid0(VALU_DEP_2) | instskip(NEXT) | instid1(VALU_DEP_2)
	v_cmp_eq_u32_e32 vcc_lo, 0, v4
	v_cndmask_b32_e32 v4, v5, v76, vcc_lo
; %bb.96:
	s_or_b32 exec_lo, exec_lo, s4
	v_and_b32_e32 v5, 0x7f800000, v77
	s_delay_alu instid0(VALU_DEP_1) | instskip(SKIP_1) | instid1(SALU_CYCLE_1)
	v_cmp_ne_u32_e32 vcc_lo, 0x7f800000, v5
                                        ; implicit-def: $vgpr5
	s_and_saveexec_b32 s4, vcc_lo
	s_xor_b32 s4, exec_lo, s4
; %bb.97:
	v_bfe_u32 v5, v77, 16, 1
	s_delay_alu instid0(VALU_DEP_1)
	v_add3_u32 v5, v77, v5, 0x7fff
; %bb.98:
	s_and_not1_saveexec_b32 s4, s4
; %bb.99:
	v_and_b32_e32 v5, 0xffff, v77
	v_or_b32_e32 v6, 0x10000, v77
	s_delay_alu instid0(VALU_DEP_2) | instskip(NEXT) | instid1(VALU_DEP_2)
	v_cmp_eq_u32_e32 vcc_lo, 0, v5
	v_cndmask_b32_e32 v5, v6, v77, vcc_lo
; %bb.100:
	s_or_b32 exec_lo, exec_lo, s4
	v_and_b32_e32 v6, 0x7f800000, v78
	s_delay_alu instid0(VALU_DEP_1) | instskip(SKIP_1) | instid1(SALU_CYCLE_1)
	v_cmp_ne_u32_e32 vcc_lo, 0x7f800000, v6
                                        ; implicit-def: $vgpr6
	s_and_saveexec_b32 s4, vcc_lo
	s_xor_b32 s4, exec_lo, s4
; %bb.101:
	v_bfe_u32 v6, v78, 16, 1
	s_delay_alu instid0(VALU_DEP_1)
	v_add3_u32 v6, v78, v6, 0x7fff
; %bb.102:
	s_and_not1_saveexec_b32 s4, s4
; %bb.103:
	v_and_b32_e32 v6, 0xffff, v78
	v_or_b32_e32 v7, 0x10000, v78
	s_delay_alu instid0(VALU_DEP_2) | instskip(NEXT) | instid1(VALU_DEP_2)
	v_cmp_eq_u32_e32 vcc_lo, 0, v6
	v_cndmask_b32_e32 v6, v7, v78, vcc_lo
; %bb.104:
	s_or_b32 exec_lo, exec_lo, s4
	v_and_b32_e32 v7, 0x7f800000, v79
	s_delay_alu instid0(VALU_DEP_1) | instskip(SKIP_1) | instid1(SALU_CYCLE_1)
	v_cmp_ne_u32_e32 vcc_lo, 0x7f800000, v7
                                        ; implicit-def: $vgpr7
	s_and_saveexec_b32 s4, vcc_lo
	s_xor_b32 s4, exec_lo, s4
; %bb.105:
	v_bfe_u32 v7, v79, 16, 1
	s_delay_alu instid0(VALU_DEP_1)
	v_add3_u32 v7, v79, v7, 0x7fff
; %bb.106:
	s_and_not1_saveexec_b32 s4, s4
; %bb.107:
	v_and_b32_e32 v7, 0xffff, v79
	v_or_b32_e32 v8, 0x10000, v79
	s_delay_alu instid0(VALU_DEP_2) | instskip(NEXT) | instid1(VALU_DEP_2)
	v_cmp_eq_u32_e32 vcc_lo, 0, v7
	v_cndmask_b32_e32 v7, v8, v79, vcc_lo
; %bb.108:
	s_or_b32 exec_lo, exec_lo, s4
	v_and_b32_e32 v8, 0x7f800000, v80
	s_delay_alu instid0(VALU_DEP_1) | instskip(SKIP_1) | instid1(SALU_CYCLE_1)
	v_cmp_ne_u32_e32 vcc_lo, 0x7f800000, v8
                                        ; implicit-def: $vgpr8
	s_and_saveexec_b32 s4, vcc_lo
	s_xor_b32 s4, exec_lo, s4
; %bb.109:
	v_bfe_u32 v8, v80, 16, 1
	s_delay_alu instid0(VALU_DEP_1)
	v_add3_u32 v8, v80, v8, 0x7fff
                                        ; implicit-def: $vgpr73_vgpr74_vgpr75_vgpr76_vgpr77_vgpr78_vgpr79_vgpr80
; %bb.110:
	s_and_not1_saveexec_b32 s4, s4
; %bb.111:
	v_and_b32_e32 v8, 0xffff, v80
	v_or_b32_e32 v9, 0x10000, v80
	s_delay_alu instid0(VALU_DEP_2) | instskip(NEXT) | instid1(VALU_DEP_2)
	v_cmp_eq_u32_e32 vcc_lo, 0, v8
	v_cndmask_b32_e32 v8, v9, v80, vcc_lo
; %bb.112:
	s_or_b32 exec_lo, exec_lo, s4
	s_delay_alu instid0(VALU_DEP_1)
	v_perm_b32 v7, v8, v7, 0x7060302
	v_perm_b32 v6, v6, v5, 0x7060302
	;; [unrolled: 1-line block ×4, first 2 shown]
	v_lshl_or_b32 v9, v83, 4, v90
	s_barrier
	buffer_gl0_inv
	v_cmp_eq_u32_e32 vcc_lo, 1, v87
	ds_store_b128 v9, v[4:7]
	s_waitcnt lgkmcnt(0)
	s_barrier
	buffer_gl0_inv
	ds_load_b128 v[1:4], v90
	ds_load_b128 v[5:8], v90 offset:16
	v_cmp_eq_u32_e64 s5, 2, v87
	v_cmp_eq_u32_e64 s4, 1, v88
	;; [unrolled: 1-line block ×5, first 2 shown]
	s_waitcnt lgkmcnt(1)
	v_lshrrev_b32_e32 v10, 16, v1
	s_waitcnt lgkmcnt(0)
	v_lshrrev_b32_e32 v14, 16, v5
	v_lshrrev_b32_e32 v15, 16, v6
	;; [unrolled: 1-line block ×4, first 2 shown]
	v_cndmask_b32_e64 v20, v1, v10, s4
	v_cndmask_b32_e32 v19, v5, v14, vcc_lo
	v_cndmask_b32_e64 v21, v5, v14, s4
	v_lshrrev_b32_e32 v16, 16, v7
	v_cmp_eq_u32_e64 s4, 1, v86
	v_lshrrev_b32_e32 v13, 16, v4
	v_cndmask_b32_e64 v19, v19, v6, s5
	v_lshrrev_b32_e32 v17, 16, v8
	s_delay_alu instid0(VALU_DEP_4) | instskip(SKIP_1) | instid1(VALU_DEP_4)
	v_cndmask_b32_e64 v22, v1, v10, s4
	v_cndmask_b32_e64 v23, v5, v14, s4
	;; [unrolled: 1-line block ×3, first 2 shown]
	v_cndmask_b32_e32 v18, v1, v10, vcc_lo
	v_cmp_eq_u32_e32 vcc_lo, 2, v88
	v_cmp_eq_u32_e64 s4, 2, v89
	v_cndmask_b32_e64 v22, v22, v2, s8
	v_cndmask_b32_e32 v20, v20, v2, vcc_lo
	v_cndmask_b32_e32 v21, v21, v6, vcc_lo
	v_cmp_eq_u32_e32 vcc_lo, 4, v87
	v_cndmask_b32_e32 v19, v19, v7, vcc_lo
	v_cndmask_b32_e64 v18, v18, v2, s5
	v_cmp_eq_u32_e64 s5, 3, v88
	s_delay_alu instid0(VALU_DEP_2) | instskip(NEXT) | instid1(VALU_DEP_2)
	v_cndmask_b32_e64 v18, v18, v11, s6
	v_cndmask_b32_e64 v21, v21, v15, s5
	v_cmp_eq_u32_e64 s6, 5, v87
	s_delay_alu instid0(VALU_DEP_3) | instskip(SKIP_1) | instid1(VALU_DEP_3)
	v_cndmask_b32_e32 v18, v18, v3, vcc_lo
	v_cmp_eq_u32_e32 vcc_lo, 4, v88
	v_cndmask_b32_e64 v19, v19, v16, s6
	s_delay_alu instid0(VALU_DEP_3) | instskip(SKIP_4) | instid1(VALU_DEP_3)
	v_cndmask_b32_e64 v18, v18, v12, s6
	v_cndmask_b32_e32 v21, v21, v7, vcc_lo
	v_cndmask_b32_e64 v20, v20, v11, s5
	v_cmp_eq_u32_e64 s5, 5, v88
	v_cmp_eq_u32_e64 s6, 6, v87
	v_cndmask_b32_e32 v20, v20, v3, vcc_lo
	s_delay_alu instid0(VALU_DEP_3) | instskip(SKIP_1) | instid1(VALU_DEP_4)
	v_cndmask_b32_e64 v21, v21, v16, s5
	v_cmp_eq_u32_e32 vcc_lo, 6, v88
	v_cndmask_b32_e64 v18, v18, v4, s6
	v_cndmask_b32_e64 v19, v19, v8, s6
	;; [unrolled: 1-line block ×3, first 2 shown]
	v_cmp_eq_u32_e64 s5, 1, v89
	v_cmp_eq_u32_e64 s6, 7, v87
	s_delay_alu instid0(VALU_DEP_3) | instskip(NEXT) | instid1(VALU_DEP_3)
	v_cndmask_b32_e32 v20, v20, v4, vcc_lo
	v_cndmask_b32_e64 v1, v1, v10, s5
	v_cndmask_b32_e64 v5, v5, v14, s5
	v_cmp_eq_u32_e64 s5, 3, v86
	v_cndmask_b32_e64 v14, v23, v6, s8
	v_cmp_eq_u32_e64 s8, 3, v89
	v_cndmask_b32_e64 v1, v1, v2, s4
	v_cndmask_b32_e64 v2, v5, v6, s4
	;; [unrolled: 1-line block ×3, first 2 shown]
	v_cmp_eq_u32_e64 s4, 4, v86
	v_cndmask_b32_e64 v6, v14, v15, s5
	v_cndmask_b32_e64 v1, v1, v11, s8
	v_cmp_eq_u32_e64 s5, 4, v89
	v_cndmask_b32_e64 v2, v2, v15, s8
	v_cndmask_b32_e64 v5, v10, v3, s4
	;; [unrolled: 3-line block ×3, first 2 shown]
	v_cndmask_b32_e64 v2, v2, v7, s5
	v_cmp_eq_u32_e64 s4, 5, v89
	v_cndmask_b32_e64 v5, v5, v12, s8
	v_cmp_eq_u32_e64 s5, 6, v86
	;; [unrolled: 2-line block ×3, first 2 shown]
	v_cndmask_b32_e64 v1, v1, v12, s4
	v_cndmask_b32_e64 v2, v2, v16, s4
	;; [unrolled: 1-line block ×4, first 2 shown]
	v_cmp_eq_u32_e64 s4, 7, v89
	v_cndmask_b32_e64 v1, v1, v4, s8
	v_cndmask_b32_e64 v2, v2, v8, s8
	v_cmp_eq_u32_e64 s5, 7, v86
	v_cndmask_b32_e32 v4, v21, v8, vcc_lo
	v_cndmask_b32_e64 v18, v18, v13, s6
	v_cndmask_b32_e64 v20, v20, v13, s7
	;; [unrolled: 1-line block ×8, first 2 shown]
	v_cmp_gt_u32_e32 vcc_lo, 32, v0
	v_perm_b32 v4, v2, v1, 0x5040100
	v_perm_b32 v3, v3, v5, 0x5040100
	;; [unrolled: 1-line block ×4, first 2 shown]
	s_and_b32 s2, vcc_lo, s2
	ds_store_b128 v9, v[1:4]
	s_waitcnt lgkmcnt(0)
	s_barrier
	buffer_gl0_inv
	s_and_saveexec_b32 s4, s2
	s_cbranch_execz .LBB556_2
; %bb.113:
	s_load_b64 s[4:5], s[0:1], 0x68
	v_lshlrev_b32_e32 v0, 10, v0
	v_lshlrev_b32_e32 v2, 4, v84
	v_add_nc_u32_e32 v1, s31, v83
	s_lshl_b32 s0, s36, 6
	s_delay_alu instid0(SALU_CYCLE_1) | instskip(NEXT) | instid1(VALU_DEP_2)
	s_mul_i32 s1, s0, s34
	v_and_or_b32 v0, 0x3800, v0, v2
	s_mul_i32 s6, s1, s9
	v_mul_lo_u32 v1, v1, s0
	s_ashr_i32 s7, s6, 31
	s_delay_alu instid0(VALU_DEP_2) | instskip(SKIP_1) | instid1(VALU_DEP_2)
	v_lshl_or_b32 v3, v83, 6, v0
	s_lshl_b64 s[6:7], s[6:7], 1
	v_ashrrev_i32_e32 v2, 31, v1
	ds_load_b128 v[3:6], v3
	s_waitcnt lgkmcnt(0)
	s_add_u32 s1, s4, s6
	s_addc_u32 s2, s5, s7
	s_lshl_b32 s4, s14, 6
	v_lshlrev_b64 v[7:8], 1, v[1:2]
	s_ashr_i32 s5, s4, 31
	s_delay_alu instid0(SALU_CYCLE_1) | instskip(NEXT) | instid1(SALU_CYCLE_1)
	s_lshl_b64 s[4:5], s[4:5], 1
	s_add_u32 s1, s1, s4
	s_addc_u32 s2, s2, s5
	v_add_co_u32 v1, vcc_lo, s1, v81
	v_add_co_ci_u32_e32 v2, vcc_lo, s2, v82, vcc_lo
	s_delay_alu instid0(VALU_DEP_2) | instskip(NEXT) | instid1(VALU_DEP_2)
	v_add_co_u32 v7, vcc_lo, v1, v7
	v_add_co_ci_u32_e32 v8, vcc_lo, v2, v8, vcc_lo
	global_store_b128 v[7:8], v[3:6], off
	s_and_b32 exec_lo, exec_lo, s3
	s_cbranch_execz .LBB556_2
; %bb.114:
	ds_load_b128 v[3:6], v0 offset:128
	s_add_i32 s1, s31, 2
	s_delay_alu instid0(SALU_CYCLE_1) | instskip(NEXT) | instid1(SALU_CYCLE_1)
	s_mul_i32 s0, s1, s0
	s_ashr_i32 s1, s0, 31
	s_delay_alu instid0(SALU_CYCLE_1) | instskip(NEXT) | instid1(SALU_CYCLE_1)
	s_lshl_b64 s[0:1], s[0:1], 1
	v_add_co_u32 v0, vcc_lo, v1, s0
	v_add_co_ci_u32_e32 v1, vcc_lo, s1, v2, vcc_lo
	s_waitcnt lgkmcnt(0)
	global_store_b128 v[0:1], v[3:6], off
	s_nop 0
	s_sendmsg sendmsg(MSG_DEALLOC_VGPRS)
	s_endpgm
	.section	.rodata,"a",@progbits
	.p2align	6, 0x0
	.amdhsa_kernel _Z39paged_attention_ll4mi_QKV_mfma16_kernelI14__hip_bfloat16S0_LN4vllm18Fp8KVCacheDataTypeE0ES0_Li32ELi64ELi256ELb1ELi3EL8MFMAType0EEvPKT_PKT0_S9_ifPKiSB_SB_iPKfiiiPfSE_PS4_PT2_iSD_SD_
		.amdhsa_group_segment_fixed_size 17472
		.amdhsa_private_segment_fixed_size 0
		.amdhsa_kernarg_size 400
		.amdhsa_user_sgpr_count 13
		.amdhsa_user_sgpr_dispatch_ptr 0
		.amdhsa_user_sgpr_queue_ptr 0
		.amdhsa_user_sgpr_kernarg_segment_ptr 1
		.amdhsa_user_sgpr_dispatch_id 0
		.amdhsa_user_sgpr_private_segment_size 0
		.amdhsa_wavefront_size32 1
		.amdhsa_uses_dynamic_stack 0
		.amdhsa_enable_private_segment 0
		.amdhsa_system_sgpr_workgroup_id_x 1
		.amdhsa_system_sgpr_workgroup_id_y 1
		.amdhsa_system_sgpr_workgroup_id_z 1
		.amdhsa_system_sgpr_workgroup_info 0
		.amdhsa_system_vgpr_workitem_id 0
		.amdhsa_next_free_vgpr 142
		.amdhsa_next_free_sgpr 39
		.amdhsa_reserve_vcc 1
		.amdhsa_float_round_mode_32 0
		.amdhsa_float_round_mode_16_64 0
		.amdhsa_float_denorm_mode_32 3
		.amdhsa_float_denorm_mode_16_64 3
		.amdhsa_dx10_clamp 1
		.amdhsa_ieee_mode 1
		.amdhsa_fp16_overflow 0
		.amdhsa_workgroup_processor_mode 1
		.amdhsa_memory_ordered 1
		.amdhsa_forward_progress 0
		.amdhsa_shared_vgpr_count 0
		.amdhsa_exception_fp_ieee_invalid_op 0
		.amdhsa_exception_fp_denorm_src 0
		.amdhsa_exception_fp_ieee_div_zero 0
		.amdhsa_exception_fp_ieee_overflow 0
		.amdhsa_exception_fp_ieee_underflow 0
		.amdhsa_exception_fp_ieee_inexact 0
		.amdhsa_exception_int_div_zero 0
	.end_amdhsa_kernel
	.section	.text._Z39paged_attention_ll4mi_QKV_mfma16_kernelI14__hip_bfloat16S0_LN4vllm18Fp8KVCacheDataTypeE0ES0_Li32ELi64ELi256ELb1ELi3EL8MFMAType0EEvPKT_PKT0_S9_ifPKiSB_SB_iPKfiiiPfSE_PS4_PT2_iSD_SD_,"axG",@progbits,_Z39paged_attention_ll4mi_QKV_mfma16_kernelI14__hip_bfloat16S0_LN4vllm18Fp8KVCacheDataTypeE0ES0_Li32ELi64ELi256ELb1ELi3EL8MFMAType0EEvPKT_PKT0_S9_ifPKiSB_SB_iPKfiiiPfSE_PS4_PT2_iSD_SD_,comdat
.Lfunc_end556:
	.size	_Z39paged_attention_ll4mi_QKV_mfma16_kernelI14__hip_bfloat16S0_LN4vllm18Fp8KVCacheDataTypeE0ES0_Li32ELi64ELi256ELb1ELi3EL8MFMAType0EEvPKT_PKT0_S9_ifPKiSB_SB_iPKfiiiPfSE_PS4_PT2_iSD_SD_, .Lfunc_end556-_Z39paged_attention_ll4mi_QKV_mfma16_kernelI14__hip_bfloat16S0_LN4vllm18Fp8KVCacheDataTypeE0ES0_Li32ELi64ELi256ELb1ELi3EL8MFMAType0EEvPKT_PKT0_S9_ifPKiSB_SB_iPKfiiiPfSE_PS4_PT2_iSD_SD_
                                        ; -- End function
	.section	.AMDGPU.csdata,"",@progbits
; Kernel info:
; codeLenInByte = 9348
; NumSgprs: 41
; NumVgprs: 142
; ScratchSize: 0
; MemoryBound: 0
; FloatMode: 240
; IeeeMode: 1
; LDSByteSize: 17472 bytes/workgroup (compile time only)
; SGPRBlocks: 5
; VGPRBlocks: 17
; NumSGPRsForWavesPerEU: 41
; NumVGPRsForWavesPerEU: 142
; Occupancy: 10
; WaveLimiterHint : 1
; COMPUTE_PGM_RSRC2:SCRATCH_EN: 0
; COMPUTE_PGM_RSRC2:USER_SGPR: 13
; COMPUTE_PGM_RSRC2:TRAP_HANDLER: 0
; COMPUTE_PGM_RSRC2:TGID_X_EN: 1
; COMPUTE_PGM_RSRC2:TGID_Y_EN: 1
; COMPUTE_PGM_RSRC2:TGID_Z_EN: 1
; COMPUTE_PGM_RSRC2:TIDIG_COMP_CNT: 0
	.section	.text._Z39paged_attention_ll4mi_QKV_mfma16_kernelI14__hip_bfloat16S0_LN4vllm18Fp8KVCacheDataTypeE0ES0_Li32ELi64ELi256ELb1ELi4EL8MFMAType0EEvPKT_PKT0_S9_ifPKiSB_SB_iPKfiiiPfSE_PS4_PT2_iSD_SD_,"axG",@progbits,_Z39paged_attention_ll4mi_QKV_mfma16_kernelI14__hip_bfloat16S0_LN4vllm18Fp8KVCacheDataTypeE0ES0_Li32ELi64ELi256ELb1ELi4EL8MFMAType0EEvPKT_PKT0_S9_ifPKiSB_SB_iPKfiiiPfSE_PS4_PT2_iSD_SD_,comdat
	.protected	_Z39paged_attention_ll4mi_QKV_mfma16_kernelI14__hip_bfloat16S0_LN4vllm18Fp8KVCacheDataTypeE0ES0_Li32ELi64ELi256ELb1ELi4EL8MFMAType0EEvPKT_PKT0_S9_ifPKiSB_SB_iPKfiiiPfSE_PS4_PT2_iSD_SD_ ; -- Begin function _Z39paged_attention_ll4mi_QKV_mfma16_kernelI14__hip_bfloat16S0_LN4vllm18Fp8KVCacheDataTypeE0ES0_Li32ELi64ELi256ELb1ELi4EL8MFMAType0EEvPKT_PKT0_S9_ifPKiSB_SB_iPKfiiiPfSE_PS4_PT2_iSD_SD_
	.globl	_Z39paged_attention_ll4mi_QKV_mfma16_kernelI14__hip_bfloat16S0_LN4vllm18Fp8KVCacheDataTypeE0ES0_Li32ELi64ELi256ELb1ELi4EL8MFMAType0EEvPKT_PKT0_S9_ifPKiSB_SB_iPKfiiiPfSE_PS4_PT2_iSD_SD_
	.p2align	8
	.type	_Z39paged_attention_ll4mi_QKV_mfma16_kernelI14__hip_bfloat16S0_LN4vllm18Fp8KVCacheDataTypeE0ES0_Li32ELi64ELi256ELb1ELi4EL8MFMAType0EEvPKT_PKT0_S9_ifPKiSB_SB_iPKfiiiPfSE_PS4_PT2_iSD_SD_,@function
_Z39paged_attention_ll4mi_QKV_mfma16_kernelI14__hip_bfloat16S0_LN4vllm18Fp8KVCacheDataTypeE0ES0_Li32ELi64ELi256ELb1ELi4EL8MFMAType0EEvPKT_PKT0_S9_ifPKiSB_SB_iPKfiiiPfSE_PS4_PT2_iSD_SD_: ; @_Z39paged_attention_ll4mi_QKV_mfma16_kernelI14__hip_bfloat16S0_LN4vllm18Fp8KVCacheDataTypeE0ES0_Li32ELi64ELi256ELb1ELi4EL8MFMAType0EEvPKT_PKT0_S9_ifPKiSB_SB_iPKfiiiPfSE_PS4_PT2_iSD_SD_
; %bb.0:
	s_load_b64 s[2:3], s[0:1], 0x30
	s_mov_b32 s30, s13
	s_waitcnt lgkmcnt(0)
	s_cmp_lg_u64 s[2:3], 0
	s_cselect_b32 s6, -1, 0
	s_ashr_i32 s31, s13, 31
	s_cmp_eq_u64 s[2:3], 0
	s_cbranch_scc1 .LBB557_3
; %bb.1:
	s_lshl_b64 s[4:5], s[30:31], 2
	s_delay_alu instid0(SALU_CYCLE_1) | instskip(SKIP_4) | instid1(SALU_CYCLE_1)
	s_add_u32 s4, s2, s4
	s_addc_u32 s5, s3, s5
	s_load_b64 s[4:5], s[4:5], 0x0
	s_waitcnt lgkmcnt(0)
	s_sub_i32 s4, s5, s4
	s_cmp_eq_u32 s4, 1
	s_cselect_b32 s4, -1, 0
	s_delay_alu instid0(SALU_CYCLE_1)
	s_and_not1_b32 vcc_lo, exec_lo, s4
	s_cbranch_vccz .LBB557_4
.LBB557_2:
	s_endpgm
.LBB557_3:
.LBB557_4:
	s_load_b64 s[8:9], s[0:1], 0x28
	s_lshl_b64 s[4:5], s[30:31], 2
	s_waitcnt lgkmcnt(0)
	s_add_u32 s8, s8, s4
	s_addc_u32 s9, s9, s5
	s_lshl_b32 s16, s14, 8
	s_load_b32 s18, s[8:9], 0x0
	s_waitcnt lgkmcnt(0)
	s_cmp_ge_i32 s16, s18
	s_cbranch_scc1 .LBB557_2
; %bb.5:
	s_and_not1_b32 vcc_lo, exec_lo, s6
	s_cbranch_vccnz .LBB557_7
; %bb.6:
	s_add_u32 s2, s2, s4
	s_addc_u32 s3, s3, s5
	s_load_b32 s17, s[2:3], 0x0
	s_branch .LBB557_8
.LBB557_7:
	s_mov_b32 s17, s30
.LBB557_8:
	s_clause 0x2
	s_load_b128 s[8:11], s[0:1], 0x8
	s_load_b64 s[12:13], s[0:1], 0x20
	s_load_b128 s[4:7], s[0:1], 0x48
	v_and_b32_e32 v74, 15, v0
	v_cmp_lt_u32_e32 vcc_lo, 63, v0
	s_delay_alu instid0(VALU_DEP_2) | instskip(SKIP_2) | instid1(VALU_DEP_3)
	v_cmp_lt_u32_e64 s3, 7, v74
	v_lshlrev_b32_e32 v1, 3, v74
	v_cmp_gt_u32_e64 s2, 8, v74
	s_or_b32 s3, vcc_lo, s3
	s_waitcnt lgkmcnt(0)
	s_and_saveexec_b32 s7, s3
	s_delay_alu instid0(SALU_CYCLE_1)
	s_xor_b32 s3, exec_lo, s7
; %bb.9:
	v_mov_b32_e32 v2, 0
; %bb.10:
	s_or_saveexec_b32 s3, s3
	v_lshrrev_b32_e32 v73, 5, v0
	v_and_b32_e32 v75, 31, v0
	v_and_b32_e32 v84, 1, v0
	v_bfe_u32 v83, v0, 4, 1
	s_lshl_b32 s31, s15, 2
	s_xor_b32 exec_lo, exec_lo, s3
	s_cbranch_execz .LBB557_12
; %bb.11:
	s_delay_alu instid0(VALU_DEP_1)
	v_lshl_or_b32 v7, v73, 1, v83
	s_load_b64 s[20:21], s[0:1], 0x0
	s_mul_hi_i32 s23, s17, s4
	s_mul_i32 s22, s17, s4
	v_lshlrev_b32_e32 v4, 1, v1
	v_or_b32_e32 v2, s31, v7
	s_lshl_b64 s[22:23], s[22:23], 1
	v_lshlrev_b32_e32 v7, 6, v7
	v_lshlrev_b32_e32 v8, 10, v84
	s_delay_alu instid0(VALU_DEP_3) | instskip(NEXT) | instid1(VALU_DEP_1)
	v_lshlrev_b32_e32 v2, 6, v2
	v_ashrrev_i32_e32 v3, 31, v2
	s_delay_alu instid0(VALU_DEP_1) | instskip(SKIP_3) | instid1(VALU_DEP_1)
	v_lshlrev_b64 v[2:3], 1, v[2:3]
	s_waitcnt lgkmcnt(0)
	s_add_u32 s4, s20, s22
	s_addc_u32 s7, s21, s23
	v_add_co_u32 v2, vcc_lo, s4, v2
	s_delay_alu instid0(VALU_DEP_2) | instskip(NEXT) | instid1(VALU_DEP_2)
	v_add_co_ci_u32_e32 v3, vcc_lo, s7, v3, vcc_lo
	v_add_co_u32 v2, vcc_lo, v2, v4
	s_delay_alu instid0(VALU_DEP_2) | instskip(SKIP_2) | instid1(VALU_DEP_1)
	v_add_co_ci_u32_e32 v3, vcc_lo, 0, v3, vcc_lo
	global_load_b128 v[3:6], v[2:3], off
	v_lshlrev_b32_e32 v2, 10, v74
	v_and_b32_e32 v2, 0x3800, v2
	s_delay_alu instid0(VALU_DEP_1)
	v_or3_b32 v7, v2, v8, v7
	v_mov_b32_e32 v2, 0
	s_waitcnt vmcnt(0)
	ds_store_b128 v7, v[3:6]
.LBB557_12:
	s_or_b32 exec_lo, exec_lo, s3
	v_and_b32_e32 v3, 0xef, v0
	s_add_i32 s3, s18, 31
	s_clause 0x1
	s_load_b32 s4, s[0:1], 0x38
	s_load_b32 s19, s[0:1], 0x1c
	s_ashr_i32 s7, s3, 31
	v_add_nc_u32_e32 v3, s16, v3
	s_lshr_b32 s7, s7, 27
	s_waitcnt lgkmcnt(0)
	s_add_i32 s3, s3, s7
	s_barrier
	v_ashrrev_i32_e32 v4, 31, v3
	v_cmp_gt_i32_e32 vcc_lo, s18, v3
	s_ashr_i32 s3, s3, 5
	buffer_gl0_inv
	s_add_i32 s3, s3, -1
	v_lshrrev_b32_e32 v5, 27, v4
	v_or_b32_e32 v4, 16, v3
	s_mul_i32 s6, s15, s6
	v_lshlrev_b64 v[81:82], 1, v[1:2]
	s_delay_alu instid0(VALU_DEP_3) | instskip(NEXT) | instid1(VALU_DEP_3)
	v_add_nc_u32_e32 v6, v3, v5
	v_add_nc_u32_e32 v5, v4, v5
	s_mul_i32 s20, s30, s4
	s_delay_alu instid0(SALU_CYCLE_1) | instskip(NEXT) | instid1(VALU_DEP_2)
	s_ashr_i32 s21, s20, 31
	v_ashrrev_i32_e32 v6, 5, v6
	s_delay_alu instid0(VALU_DEP_2) | instskip(SKIP_1) | instid1(SALU_CYCLE_1)
	v_ashrrev_i32_e32 v5, 5, v5
	s_lshl_b64 s[20:21], s[20:21], 2
	s_add_u32 s4, s12, s20
	s_delay_alu instid0(VALU_DEP_2) | instskip(SKIP_3) | instid1(SALU_CYCLE_1)
	v_cndmask_b32_e32 v3, s3, v6, vcc_lo
	v_cmp_gt_i32_e32 vcc_lo, s18, v4
	s_addc_u32 s17, s13, s21
	s_ashr_i32 s7, s6, 31
	s_lshl_b64 s[6:7], s[6:7], 1
	v_cndmask_b32_e32 v5, s3, v5, vcc_lo
	v_ashrrev_i32_e32 v4, 31, v3
	s_add_u32 s15, s8, s6
	s_addc_u32 s28, s9, s7
	s_lshl_b32 s8, s14, 3
	v_ashrrev_i32_e32 v6, 31, v5
	v_lshlrev_b64 v[3:4], 2, v[3:4]
	s_ashr_i32 s9, s8, 31
	s_delay_alu instid0(SALU_CYCLE_1) | instskip(NEXT) | instid1(VALU_DEP_2)
	s_lshl_b64 s[8:9], s[8:9], 2
	v_lshlrev_b64 v[5:6], 2, v[5:6]
	s_add_u32 s8, s4, s8
	s_delay_alu instid0(VALU_DEP_2) | instskip(SKIP_1) | instid1(VALU_DEP_3)
	v_add_co_u32 v3, vcc_lo, s4, v3
	v_add_co_ci_u32_e32 v4, vcc_lo, s17, v4, vcc_lo
	v_add_co_u32 v5, vcc_lo, s4, v5
	s_delay_alu instid0(VALU_DEP_4)
	v_add_co_ci_u32_e32 v6, vcc_lo, s17, v6, vcc_lo
	s_addc_u32 s9, s17, s9
	s_clause 0x1
	global_load_b32 v7, v[3:4], off
	global_load_b32 v8, v[5:6], off
	s_or_b32 s12, s16, 32
	s_delay_alu instid0(SALU_CYCLE_1) | instskip(SKIP_2) | instid1(SALU_CYCLE_1)
	s_ashr_i32 s13, s12, 5
	s_cmp_lt_i32 s12, s18
	s_cselect_b32 s12, s13, s3
	s_ashr_i32 s13, s12, 31
	s_delay_alu instid0(SALU_CYCLE_1) | instskip(NEXT) | instid1(SALU_CYCLE_1)
	s_lshl_b64 s[12:13], s[12:13], 2
	s_add_u32 s12, s4, s12
	s_addc_u32 s13, s17, s13
	s_or_b32 s20, s16, 64
	s_delay_alu instid0(SALU_CYCLE_1) | instskip(SKIP_2) | instid1(SALU_CYCLE_1)
	s_ashr_i32 s21, s20, 5
	s_cmp_lt_i32 s20, s18
	s_cselect_b32 s20, s21, s3
	s_ashr_i32 s21, s20, 31
	s_delay_alu instid0(SALU_CYCLE_1) | instskip(NEXT) | instid1(SALU_CYCLE_1)
	s_lshl_b64 s[20:21], s[20:21], 2
	s_add_u32 s20, s4, s20
	s_addc_u32 s21, s17, s21
	s_or_b32 s22, s16, 0x60
	s_delay_alu instid0(SALU_CYCLE_1) | instskip(SKIP_2) | instid1(SALU_CYCLE_1)
	s_ashr_i32 s23, s22, 5
	s_cmp_lt_i32 s22, s18
	s_cselect_b32 s22, s23, s3
	s_ashr_i32 s23, s22, 31
	s_delay_alu instid0(SALU_CYCLE_1) | instskip(NEXT) | instid1(SALU_CYCLE_1)
	s_lshl_b64 s[22:23], s[22:23], 2
	s_add_u32 s22, s4, s22
	s_addc_u32 s23, s17, s23
	s_or_b32 s24, s16, 0x80
	s_delay_alu instid0(SALU_CYCLE_1) | instskip(SKIP_2) | instid1(SALU_CYCLE_1)
	s_ashr_i32 s25, s24, 5
	s_cmp_lt_i32 s24, s18
	s_cselect_b32 s24, s25, s3
	s_ashr_i32 s25, s24, 31
	s_delay_alu instid0(SALU_CYCLE_1) | instskip(NEXT) | instid1(SALU_CYCLE_1)
	s_lshl_b64 s[24:25], s[24:25], 2
	s_add_u32 s24, s4, s24
	s_addc_u32 s25, s17, s25
	s_or_b32 s26, s16, 0xa0
	s_delay_alu instid0(SALU_CYCLE_1) | instskip(SKIP_2) | instid1(SALU_CYCLE_1)
	s_ashr_i32 s27, s26, 5
	s_cmp_lt_i32 s26, s18
	s_cselect_b32 s26, s27, s3
	s_ashr_i32 s27, s26, 31
	s_delay_alu instid0(SALU_CYCLE_1) | instskip(NEXT) | instid1(SALU_CYCLE_1)
	s_lshl_b64 s[26:27], s[26:27], 2
	s_add_u32 s26, s4, s26
	s_addc_u32 s27, s17, s27
	s_clause 0x5
	s_load_b32 s29, s[8:9], 0x0
	s_load_b32 s33, s[12:13], 0x0
	s_load_b32 s34, s[20:21], 0x0
	s_load_b32 s35, s[22:23], 0x0
	s_load_b32 s36, s[24:25], 0x0
	s_load_b32 s37, s[26:27], 0x0
	s_mov_b32 s20, 0
	s_or_b32 s8, s16, 0xc0
	s_mov_b32 s21, s20
	s_mov_b32 s22, s20
	;; [unrolled: 1-line block ×7, first 2 shown]
	s_ashr_i32 s9, s8, 5
	v_mov_b32_e32 v117, s27
	s_cmp_lt_i32 s8, s18
	v_mov_b32_e32 v116, s26
	s_cselect_b32 s8, s9, s3
	v_mov_b32_e32 v115, s25
	s_ashr_i32 s9, s8, 31
	v_dual_mov_b32 v114, s24 :: v_dual_mov_b32 v113, s23
	v_dual_mov_b32 v112, s22 :: v_dual_mov_b32 v111, s21
	s_lshl_b64 s[8:9], s[8:9], 2
	s_waitcnt lgkmcnt(0)
	s_mul_hi_i32 s13, s29, s5
	s_add_u32 s8, s4, s8
	s_addc_u32 s9, s17, s9
	s_mul_i32 s12, s29, s5
	v_mov_b32_e32 v110, s20
	s_mul_hi_i32 s21, s33, s5
	s_mul_i32 s20, s33, s5
	s_mul_hi_i32 s25, s34, s5
	s_mul_i32 s24, s34, s5
	;; [unrolled: 2-line block ×4, first 2 shown]
	s_waitcnt vmcnt(1)
	v_mad_i64_i32 v[3:4], null, v7, s5, 0
	s_waitcnt vmcnt(0)
	v_mad_i64_i32 v[5:6], null, v8, s5, 0
	s_delay_alu instid0(VALU_DEP_2) | instskip(NEXT) | instid1(VALU_DEP_2)
	v_lshlrev_b64 v[3:4], 1, v[3:4]
	v_lshlrev_b64 v[1:2], 1, v[5:6]
	s_delay_alu instid0(VALU_DEP_2) | instskip(NEXT) | instid1(VALU_DEP_3)
	v_add_co_u32 v3, vcc_lo, s15, v3
	v_add_co_ci_u32_e32 v4, vcc_lo, s28, v4, vcc_lo
	s_delay_alu instid0(VALU_DEP_3) | instskip(NEXT) | instid1(VALU_DEP_4)
	v_add_co_u32 v1, vcc_lo, s15, v1
	v_add_co_ci_u32_e32 v2, vcc_lo, s28, v2, vcc_lo
	s_delay_alu instid0(VALU_DEP_4) | instskip(NEXT) | instid1(VALU_DEP_4)
	v_add_co_u32 v41, vcc_lo, v3, v81
	v_add_co_ci_u32_e32 v42, vcc_lo, v4, v82, vcc_lo
	s_delay_alu instid0(VALU_DEP_4) | instskip(NEXT) | instid1(VALU_DEP_4)
	v_add_co_u32 v43, vcc_lo, v1, v81
	v_add_co_ci_u32_e32 v44, vcc_lo, v2, v82, vcc_lo
	s_clause 0xf
	global_load_b128 v[1:4], v[41:42], off
	global_load_b128 v[5:8], v[41:42], off offset:512
	global_load_b128 v[9:12], v[43:44], off offset:256
	;; [unrolled: 1-line block ×15, first 2 shown]
	v_and_b32_e32 v41, 3, v0
	s_or_b32 s15, s16, 0xe0
	s_delay_alu instid0(SALU_CYCLE_1) | instskip(SKIP_1) | instid1(VALU_DEP_1)
	s_ashr_i32 s22, s15, 5
	s_cmp_lt_i32 s15, s18
	v_lshlrev_b32_e32 v57, 6, v41
	ds_load_b128 v[41:44], v57
	ds_load_b128 v[45:48], v57 offset:1024
	ds_load_b128 v[49:52], v57 offset:2048
	;; [unrolled: 1-line block ×7, first 2 shown]
	s_cselect_b32 s22, s22, s3
	s_delay_alu instid0(SALU_CYCLE_1) | instskip(NEXT) | instid1(SALU_CYCLE_1)
	s_ashr_i32 s23, s22, 31
	s_lshl_b64 s[22:23], s[22:23], 2
	s_delay_alu instid0(SALU_CYCLE_1) | instskip(SKIP_2) | instid1(SALU_CYCLE_1)
	s_add_u32 s22, s4, s22
	s_addc_u32 s23, s17, s23
	s_add_i32 s15, s16, 0x100
	s_ashr_i32 s28, s15, 5
	s_cmp_lt_i32 s15, s18
	s_load_b32 s15, s[8:9], 0x0
	s_cselect_b32 s28, s28, s3
	s_mul_hi_i32 s9, s36, s5
	s_ashr_i32 s29, s28, 31
	s_mul_i32 s8, s36, s5
	s_lshl_b64 s[28:29], s[28:29], 2
	s_delay_alu instid0(SALU_CYCLE_1)
	s_add_u32 s28, s4, s28
	s_addc_u32 s29, s17, s29
	s_add_u32 s3, s10, s6
	s_clause 0x1
	s_load_b32 s4, s[22:23], 0x0
	s_load_b32 s17, s[28:29], 0x0
	s_addc_u32 s28, s11, s7
	s_lshl_b64 s[6:7], s[12:13], 1
	s_lshl_b64 s[10:11], s[20:21], 1
	;; [unrolled: 1-line block ×6, first 2 shown]
	s_waitcnt lgkmcnt(0)
	s_mul_hi_i32 s25, s15, s5
	s_mul_i32 s24, s15, s5
	s_waitcnt vmcnt(14)
	v_wmma_f32_16x16x16_bf16 v[134:141], v[1:8], v[41:48], v[110:117]
	s_waitcnt vmcnt(12)
	v_wmma_f32_16x16x16_bf16 v[110:117], v[9:16], v[41:48], v[110:117]
	s_waitcnt vmcnt(10)
	s_delay_alu instid0(VALU_DEP_2) | instskip(SKIP_1) | instid1(VALU_DEP_2)
	v_wmma_f32_16x16x16_bf16 v[134:141], v[17:24], v[49:56], v[134:141]
	s_waitcnt vmcnt(8)
	v_wmma_f32_16x16x16_bf16 v[110:117], v[25:32], v[49:56], v[110:117]
	s_waitcnt vmcnt(6)
	s_delay_alu instid0(VALU_DEP_2) | instskip(SKIP_1) | instid1(VALU_DEP_2)
	v_wmma_f32_16x16x16_bf16 v[134:141], v[33:40], v[118:125], v[134:141]
	s_waitcnt vmcnt(4)
	v_wmma_f32_16x16x16_bf16 v[110:117], v[86:93], v[118:125], v[110:117]
	s_waitcnt vmcnt(2)
	s_delay_alu instid0(VALU_DEP_2) | instskip(SKIP_3) | instid1(VALU_DEP_3)
	v_wmma_f32_16x16x16_bf16 v[134:141], v[94:101], v[126:133], v[134:141]
	v_lshlrev_b32_e32 v85, 6, v74
	s_waitcnt vmcnt(0)
	v_wmma_f32_16x16x16_bf16 v[110:117], v[102:109], v[126:133], v[110:117]
	v_mul_f32_e32 v100, s19, v141
	s_delay_alu instid0(VALU_DEP_3) | instskip(SKIP_2) | instid1(VALU_DEP_3)
	v_lshl_or_b32 v58, v73, 10, v85
	v_mul_f32_e32 v97, s19, v134
	v_mul_f32_e32 v99, s19, v135
	v_add_co_u32 v76, s3, s3, v58
	s_delay_alu instid0(VALU_DEP_1) | instskip(NEXT) | instid1(VALU_DEP_2)
	v_add_co_ci_u32_e64 v77, null, s28, 0, s3
	v_add_co_u32 v57, vcc_lo, v76, s6
	s_delay_alu instid0(VALU_DEP_2)
	v_add_co_ci_u32_e32 v58, vcc_lo, s7, v77, vcc_lo
	v_add_co_u32 v1, vcc_lo, v76, s10
	v_add_co_ci_u32_e32 v2, vcc_lo, s11, v77, vcc_lo
	v_add_co_u32 v3, vcc_lo, v76, s12
	;; [unrolled: 2-line block ×4, first 2 shown]
	v_add_co_ci_u32_e32 v8, vcc_lo, s9, v77, vcc_lo
	s_clause 0x9
	global_load_b128 v[65:68], v[57:58], off
	global_load_b128 v[69:72], v[57:58], off offset:16
	global_load_b128 v[57:60], v[1:2], off
	global_load_b128 v[61:64], v[1:2], off offset:16
	;; [unrolled: 2-line block ×5, first 2 shown]
	v_add_co_u32 v5, vcc_lo, v76, s22
	s_lshl_b64 s[6:7], s[24:25], 1
	v_add_co_ci_u32_e32 v6, vcc_lo, s23, v77, vcc_lo
	s_mul_hi_i32 s9, s4, s5
	s_mul_i32 s8, s4, s5
	v_add_co_u32 v17, vcc_lo, v76, s6
	v_add_co_ci_u32_e32 v18, vcc_lo, s7, v77, vcc_lo
	s_lshl_b64 s[6:7], s[8:9], 1
	s_mul_hi_i32 s9, s17, s5
	s_mul_i32 s8, s17, s5
	v_add_co_u32 v19, vcc_lo, v76, s6
	s_lshl_b64 s[4:5], s[8:9], 1
	v_add_co_ci_u32_e32 v20, vcc_lo, s7, v77, vcc_lo
	v_add_co_u32 v21, vcc_lo, v76, s4
	v_add_co_ci_u32_e32 v22, vcc_lo, s5, v77, vcc_lo
	s_clause 0x7
	global_load_b128 v[1:4], v[5:6], off
	global_load_b128 v[5:8], v[5:6], off offset:16
	global_load_b128 v[33:36], v[17:18], off
	global_load_b128 v[37:40], v[17:18], off offset:16
	;; [unrolled: 2-line block ×4, first 2 shown]
	v_and_b32_e32 v76, 0xe0, v0
	v_mbcnt_lo_u32_b32 v77, -1, 0
	s_waitcnt vmcnt(0)
	s_barrier
	buffer_gl0_inv
	v_add_nc_u32_e32 v76, s16, v76
	v_xor_b32_e32 v78, 16, v77
	s_delay_alu instid0(VALU_DEP_2) | instskip(NEXT) | instid1(VALU_DEP_2)
	v_or_b32_e32 v76, v76, v83
	v_cmp_gt_i32_e32 vcc_lo, 32, v78
	s_delay_alu instid0(VALU_DEP_2)
	v_or_b32_e32 v79, 4, v76
	v_cndmask_b32_e32 v77, v77, v78, vcc_lo
	v_or_b32_e32 v78, 2, v76
	v_or_b32_e32 v80, 6, v76
	;; [unrolled: 1-line block ×3, first 2 shown]
	v_cmp_gt_i32_e32 vcc_lo, s18, v76
	v_or_b32_e32 v87, 10, v76
	v_cmp_gt_i32_e64 s3, s18, v78
	v_or_b32_e32 v88, 12, v76
	v_or_b32_e32 v89, 14, v76
	;; [unrolled: 1-line block ×10, first 2 shown]
	v_cndmask_b32_e64 v78, 0xff7fffff, v99, s3
	v_mul_f32_e32 v99, s19, v137
	v_cmp_gt_i32_e64 s4, s18, v80
	v_mul_f32_e32 v80, s19, v136
	v_cmp_gt_i32_e64 s5, s18, v79
	v_cmp_gt_i32_e64 s6, s18, v86
	v_mul_f32_e32 v86, s19, v116
	v_cndmask_b32_e32 v76, 0xff7fffff, v97, vcc_lo
	v_mul_f32_e32 v79, s19, v139
	v_cndmask_b32_e64 v80, 0xff7fffff, v80, s5
	v_cndmask_b32_e64 v99, 0xff7fffff, v99, s4
	v_cmp_gt_i32_e64 s7, s18, v87
	v_max3_f32 v76, v76, 0xff7fffff, v78
	v_dual_mul_f32 v78, s19, v138 :: v_dual_mul_f32 v97, s19, v140
	v_cmp_gt_i32_e64 s8, s18, v89
	s_delay_alu instid0(VALU_DEP_4) | instskip(NEXT) | instid1(VALU_DEP_4)
	v_cndmask_b32_e64 v79, 0xff7fffff, v79, s7
	v_max3_f32 v76, v76, v80, v99
	s_delay_alu instid0(VALU_DEP_4) | instskip(SKIP_3) | instid1(VALU_DEP_4)
	v_cndmask_b32_e64 v78, 0xff7fffff, v78, s6
	v_cmp_gt_i32_e64 s9, s18, v88
	v_dual_mul_f32 v88, s19, v111 :: v_dual_mul_f32 v89, s19, v110
	v_cndmask_b32_e64 v100, 0xff7fffff, v100, s8
	v_max3_f32 v76, v76, v78, v79
	s_delay_alu instid0(VALU_DEP_4) | instskip(SKIP_3) | instid1(VALU_DEP_4)
	v_cndmask_b32_e64 v97, 0xff7fffff, v97, s9
	v_cmp_gt_i32_e64 s10, s18, v90
	v_cmp_gt_i32_e64 s11, s18, v91
	v_dual_mul_f32 v78, s19, v113 :: v_dual_mul_f32 v79, s19, v112
	v_max3_f32 v76, v76, v97, v100
	s_delay_alu instid0(VALU_DEP_4) | instskip(NEXT) | instid1(VALU_DEP_4)
	v_cndmask_b32_e64 v89, 0xff7fffff, v89, s10
	v_cndmask_b32_e64 v88, 0xff7fffff, v88, s11
	v_cmp_gt_i32_e64 s12, s18, v92
	v_cmp_gt_i32_e64 s13, s18, v93
	v_mul_f32_e32 v87, s19, v115
	v_mul_f32_e32 v99, s19, v114
	v_max3_f32 v76, v76, v89, v88
	v_cndmask_b32_e64 v79, 0xff7fffff, v79, s12
	v_cndmask_b32_e64 v78, 0xff7fffff, v78, s13
	v_cmp_gt_i32_e64 s15, s18, v94
	v_cmp_gt_i32_e64 s16, s18, v95
	v_mul_f32_e32 v80, s19, v117
	v_cmp_gt_i32_e64 s17, s18, v96
	v_max3_f32 v76, v76, v79, v78
	v_cndmask_b32_e64 v88, 0xff7fffff, v99, s15
	v_cndmask_b32_e64 v87, 0xff7fffff, v87, s16
	v_cmp_gt_i32_e64 s18, s18, v98
	v_cndmask_b32_e64 v78, 0xff7fffff, v86, s17
	v_lshlrev_b32_e32 v99, 2, v77
	s_delay_alu instid0(VALU_DEP_4) | instskip(NEXT) | instid1(VALU_DEP_4)
	v_max3_f32 v76, v76, v88, v87
	v_cndmask_b32_e64 v79, 0xff7fffff, v80, s18
	s_delay_alu instid0(VALU_DEP_1) | instskip(SKIP_3) | instid1(VALU_DEP_1)
	v_max3_f32 v76, v76, v78, v79
	ds_bpermute_b32 v77, v99, v76
	s_waitcnt lgkmcnt(0)
	v_max_f32_e32 v77, v77, v77
	v_max_f32_e32 v89, v76, v77
	s_delay_alu instid0(VALU_DEP_1)
	v_fma_f32 v78, s19, v136, -v89
	v_fma_f32 v76, s19, v134, -v89
	;; [unrolled: 1-line block ×5, first 2 shown]
	v_mul_f32_e32 v78, 0x3fb8aa3b, v78
	v_mul_f32_e32 v76, 0x3fb8aa3b, v76
	s_delay_alu instid0(VALU_DEP_4) | instskip(SKIP_1) | instid1(VALU_DEP_4)
	v_dual_mul_f32 v86, 0x3fb8aa3b, v86 :: v_dual_mul_f32 v77, 0x3fb8aa3b, v77
	v_fma_f32 v80, s19, v138, -v89
	v_exp_f32_e32 v78, v78
	s_delay_alu instid0(VALU_DEP_3) | instskip(NEXT) | instid1(VALU_DEP_2)
	v_exp_f32_e32 v76, v76
	v_exp_f32_e32 v86, v86
	;; [unrolled: 1-line block ×3, first 2 shown]
	v_mul_f32_e32 v80, 0x3fb8aa3b, v80
	s_delay_alu instid0(VALU_DEP_1) | instskip(SKIP_2) | instid1(TRANS32_DEP_3)
	v_exp_f32_e32 v80, v80
	v_cndmask_b32_e64 v92, 0, v78, s5
	v_fma_f32 v78, s19, v141, -v89
	v_cndmask_b32_e64 v93, 0, v86, s9
	v_mul_f32_e32 v79, 0x3fb8aa3b, v79
	s_delay_alu instid0(TRANS32_DEP_2) | instskip(SKIP_2) | instid1(VALU_DEP_3)
	v_cndmask_b32_e64 v90, 0, v77, s3
	s_mov_b32 s3, exec_lo
	v_mul_f32_e32 v78, 0x3fb8aa3b, v78
	v_exp_f32_e32 v79, v79
	s_delay_alu instid0(TRANS32_DEP_2) | instskip(SKIP_1) | instid1(VALU_DEP_3)
	v_cndmask_b32_e64 v95, 0, v80, s6
	v_fma_f32 v80, s19, v111, -v89
	v_exp_f32_e32 v78, v78
	s_delay_alu instid0(VALU_DEP_1)
	v_mul_f32_e32 v80, 0x3fb8aa3b, v80
	s_waitcnt_depctr 0xfff
	v_cndmask_b32_e64 v94, 0, v79, s4
	v_fma_f32 v79, s19, v110, -v89
	v_exp_f32_e32 v80, v80
	v_cndmask_b32_e64 v97, 0, v78, s8
	v_cndmask_b32_e32 v91, 0, v76, vcc_lo
	v_fma_f32 v76, s19, v139, -v89
	s_delay_alu instid0(VALU_DEP_1) | instskip(NEXT) | instid1(VALU_DEP_1)
	v_dual_add_f32 v77, 0, v91 :: v_dual_mul_f32 v76, 0x3fb8aa3b, v76
	v_add_f32_e32 v77, v77, v90
	s_delay_alu instid0(VALU_DEP_2) | instskip(NEXT) | instid1(VALU_DEP_1)
	v_exp_f32_e32 v76, v76
	v_add_f32_e32 v77, v77, v92
	s_delay_alu instid0(VALU_DEP_1) | instskip(SKIP_4) | instid1(VALU_DEP_1)
	v_add_f32_e32 v77, v77, v94
	s_waitcnt_depctr 0xfff
	v_cndmask_b32_e64 v96, 0, v76, s7
	v_add_f32_e32 v76, v77, v95
	v_fma_f32 v77, s19, v112, -v89
	v_dual_add_f32 v76, v76, v96 :: v_dual_mul_f32 v77, 0x3fb8aa3b, v77
	s_delay_alu instid0(VALU_DEP_1) | instskip(NEXT) | instid1(VALU_DEP_2)
	v_add_f32_e32 v78, v76, v93
	v_exp_f32_e32 v88, v77
	v_cndmask_b32_e64 v77, 0, v80, s11
	s_delay_alu instid0(VALU_DEP_2) | instskip(NEXT) | instid1(VALU_DEP_1)
	v_dual_mul_f32 v79, 0x3fb8aa3b, v79 :: v_dual_add_f32 v78, v78, v97
	v_exp_f32_e32 v79, v79
	s_waitcnt_depctr 0xfff
	v_cndmask_b32_e64 v76, 0, v79, s10
	s_delay_alu instid0(VALU_DEP_1)
	v_add_f32_e32 v80, v78, v76
	v_fma_f32 v86, s19, v113, -v89
	v_fma_f32 v87, s19, v114, -v89
	;; [unrolled: 1-line block ×4, first 2 shown]
	v_add_f32_e32 v80, v80, v77
	s_delay_alu instid0(VALU_DEP_4) | instskip(NEXT) | instid1(VALU_DEP_4)
	v_dual_mul_f32 v86, 0x3fb8aa3b, v86 :: v_dual_mul_f32 v87, 0x3fb8aa3b, v87
	v_mul_f32_e32 v79, 0x3fb8aa3b, v79
	v_cndmask_b32_e64 v78, 0, v88, s12
	v_mul_f32_e32 v88, 0x3fb8aa3b, v98
	s_delay_alu instid0(VALU_DEP_4) | instskip(SKIP_4) | instid1(VALU_DEP_1)
	v_exp_f32_e32 v86, v86
	v_exp_f32_e32 v87, v87
	;; [unrolled: 1-line block ×3, first 2 shown]
	v_fma_f32 v100, s19, v117, -v89
	v_exp_f32_e32 v88, v88
	v_mul_f32_e32 v100, 0x3fb8aa3b, v100
	v_cndmask_b32_e64 v79, 0, v86, s13
	v_add_f32_e32 v86, v80, v78
	s_delay_alu instid0(TRANS32_DEP_3) | instskip(NEXT) | instid1(VALU_DEP_4)
	v_cndmask_b32_e64 v80, 0, v87, s15
	v_exp_f32_e32 v100, v100
	s_delay_alu instid0(VALU_DEP_2) | instskip(NEXT) | instid1(TRANS32_DEP_3)
	v_add_f32_e32 v87, v86, v79
	v_cndmask_b32_e64 v86, 0, v98, s16
	s_delay_alu instid0(VALU_DEP_2) | instskip(NEXT) | instid1(TRANS32_DEP_2)
	v_add_f32_e32 v98, v87, v80
	v_cndmask_b32_e64 v87, 0, v88, s17
	s_delay_alu instid0(VALU_DEP_2) | instskip(NEXT) | instid1(VALU_DEP_1)
	v_add_f32_e32 v88, v98, v86
	v_add_f32_e32 v98, v88, v87
	s_delay_alu instid0(TRANS32_DEP_1) | instskip(NEXT) | instid1(VALU_DEP_1)
	v_cndmask_b32_e64 v88, 0, v100, s18
	v_add_f32_e32 v98, v98, v88
	ds_bpermute_b32 v99, v99, v98
	v_cmpx_gt_u32_e32 16, v75
	s_cbranch_execz .LBB557_14
; %bb.13:
	v_mul_u32_u24_e32 v75, 0x44, v73
	s_waitcnt lgkmcnt(0)
	v_add_f32_e32 v98, v98, v99
	s_delay_alu instid0(VALU_DEP_2) | instskip(NEXT) | instid1(VALU_DEP_1)
	v_lshl_add_u32 v75, v74, 2, v75
	v_add_nc_u32_e32 v75, 0x4000, v75
	ds_store_2addr_b32 v75, v89, v98 offset1:136
.LBB557_14:
	s_or_b32 exec_lo, exec_lo, s3
	v_lshlrev_b32_e32 v74, 2, v74
	s_waitcnt lgkmcnt(0)
	s_barrier
	buffer_gl0_inv
	v_cmp_eq_u32_e64 s3, 1, v73
	v_add_nc_u32_e32 v89, 0x4000, v74
	ds_load_2addr_b32 v[98:99], v89 offset1:17
	ds_load_2addr_b32 v[100:101], v89 offset0:34 offset1:51
	ds_load_2addr_b32 v[102:103], v89 offset0:68 offset1:85
	;; [unrolled: 1-line block ×4, first 2 shown]
	s_waitcnt lgkmcnt(4)
	v_max3_f32 v74, v98, 0xff7fffff, v99
	s_waitcnt lgkmcnt(3)
	s_delay_alu instid0(VALU_DEP_1) | instskip(SKIP_1) | instid1(VALU_DEP_1)
	v_max3_f32 v74, v74, v100, v101
	s_waitcnt lgkmcnt(2)
	v_max3_f32 v74, v74, v102, v103
	s_waitcnt lgkmcnt(1)
	s_delay_alu instid0(VALU_DEP_1) | instskip(NEXT) | instid1(VALU_DEP_1)
	v_max3_f32 v74, v74, v104, v105
	v_sub_f32_e32 v108, v99, v74
	v_sub_f32_e32 v75, v98, v74
	ds_load_2addr_b32 v[98:99], v89 offset0:170 offset1:187
	v_sub_f32_e32 v100, v100, v74
	v_dual_mul_f32 v108, 0x3fb8aa3b, v108 :: v_dual_mul_f32 v75, 0x3fb8aa3b, v75
	s_delay_alu instid0(VALU_DEP_2) | instskip(NEXT) | instid1(VALU_DEP_2)
	v_mul_f32_e32 v110, 0x3fb8aa3b, v100
	v_exp_f32_e32 v108, v108
	s_delay_alu instid0(VALU_DEP_2)
	v_exp_f32_e32 v109, v75
	v_sub_f32_e32 v75, v101, v74
	ds_load_2addr_b32 v[100:101], v89 offset0:204 offset1:221
	v_exp_f32_e32 v110, v110
	v_mul_f32_e32 v111, 0x3fb8aa3b, v75
	s_waitcnt lgkmcnt(2)
	v_fma_f32 v75, v109, v106, 0
	v_sub_f32_e32 v102, v102, v74
	s_delay_alu instid0(VALU_DEP_3) | instskip(NEXT) | instid1(VALU_DEP_2)
	v_exp_f32_e32 v111, v111
	v_dual_sub_f32 v106, v103, v74 :: v_dual_fmac_f32 v75, v108, v107
	s_waitcnt lgkmcnt(1)
	s_waitcnt_depctr 0xfff
	v_fmac_f32_e32 v75, v110, v98
	v_mul_f32_e32 v112, 0x3fb8aa3b, v102
	ds_load_2addr_b32 v[102:103], v89 offset0:238 offset1:255
	v_sub_f32_e32 v89, v104, v74
	v_dual_sub_f32 v98, v105, v74 :: v_dual_fmac_f32 v75, v111, v99
	v_mul_f32_e32 v104, 0x3fb8aa3b, v106
	v_exp_f32_e32 v106, v112
	s_delay_alu instid0(VALU_DEP_2)
	v_dual_mul_f32 v89, 0x3fb8aa3b, v89 :: v_dual_mul_f32 v98, 0x3fb8aa3b, v98
	s_waitcnt lgkmcnt(0)
	s_barrier
	buffer_gl0_inv
	v_exp_f32_e32 v89, v89
	v_exp_f32_e32 v98, v98
	v_fmac_f32_e32 v75, v106, v100
	v_exp_f32_e32 v104, v104
	s_waitcnt_depctr 0xfff
	v_fmac_f32_e32 v75, v104, v101
	s_delay_alu instid0(VALU_DEP_1) | instskip(NEXT) | instid1(VALU_DEP_1)
	v_fmac_f32_e32 v75, v89, v102
	v_fmac_f32_e32 v75, v98, v103
	s_delay_alu instid0(VALU_DEP_1) | instskip(NEXT) | instid1(VALU_DEP_1)
	v_add_f32_e32 v99, 0x358637bd, v75
	v_div_scale_f32 v100, null, v99, v99, 1.0
	v_div_scale_f32 v103, vcc_lo, 1.0, v99, 1.0
	s_delay_alu instid0(VALU_DEP_2) | instskip(SKIP_2) | instid1(VALU_DEP_1)
	v_rcp_f32_e32 v101, v100
	s_waitcnt_depctr 0xfff
	v_fma_f32 v102, -v100, v101, 1.0
	v_fmac_f32_e32 v101, v102, v101
	v_cndmask_b32_e64 v102, v109, v108, s3
	v_cmp_eq_u32_e64 s3, 2, v73
	s_delay_alu instid0(VALU_DEP_3) | instskip(NEXT) | instid1(VALU_DEP_2)
	v_mul_f32_e32 v105, v103, v101
	v_cndmask_b32_e64 v102, v102, v110, s3
	v_cmp_eq_u32_e64 s3, 3, v73
	s_delay_alu instid0(VALU_DEP_3) | instskip(NEXT) | instid1(VALU_DEP_2)
	v_fma_f32 v107, -v100, v105, v103
	v_cndmask_b32_e64 v102, v102, v111, s3
	v_cmp_eq_u32_e64 s3, 4, v73
	s_delay_alu instid0(VALU_DEP_3) | instskip(NEXT) | instid1(VALU_DEP_2)
	v_fmac_f32_e32 v105, v107, v101
	v_cndmask_b32_e64 v102, v102, v106, s3
	s_delay_alu instid0(VALU_DEP_2) | instskip(SKIP_1) | instid1(VALU_DEP_2)
	v_fma_f32 v100, -v100, v105, v103
	v_cmp_eq_u32_e64 s3, 5, v73
	v_div_fmas_f32 v100, v100, v101, v105
	s_delay_alu instid0(VALU_DEP_2) | instskip(SKIP_2) | instid1(VALU_DEP_3)
	v_cndmask_b32_e64 v102, v102, v104, s3
	v_cmp_eq_u32_e32 vcc_lo, 6, v73
	s_mov_b32 s3, exec_lo
	v_div_fixup_f32 v99, v100, v99, 1.0
	s_delay_alu instid0(VALU_DEP_3) | instskip(SKIP_1) | instid1(VALU_DEP_2)
	v_cndmask_b32_e32 v89, v102, v89, vcc_lo
	v_cmp_eq_u32_e32 vcc_lo, 7, v73
	v_cndmask_b32_e32 v89, v89, v98, vcc_lo
	s_delay_alu instid0(VALU_DEP_1) | instskip(NEXT) | instid1(VALU_DEP_1)
	v_mul_f32_e32 v89, v89, v99
	v_mul_f32_e32 v99, v89, v91
	;; [unrolled: 1-line block ×6, first 2 shown]
	v_and_b32_e32 v100, 0x7f800000, v99
	v_mul_f32_e32 v98, v89, v94
	v_mul_f32_e32 v94, v89, v90
	;; [unrolled: 1-line block ×3, first 2 shown]
                                        ; implicit-def: $vgpr90
	s_delay_alu instid0(VALU_DEP_4)
	v_cmpx_ne_u32_e32 0x7f800000, v100
	s_xor_b32 s3, exec_lo, s3
; %bb.15:
	v_bfe_u32 v90, v99, 16, 1
	s_delay_alu instid0(VALU_DEP_1)
	v_add3_u32 v90, v99, v90, 0x7fff
                                        ; implicit-def: $vgpr99
; %bb.16:
	s_and_not1_saveexec_b32 s3, s3
; %bb.17:
	v_and_b32_e32 v90, 0xffff, v99
	v_or_b32_e32 v92, 0x10000, v99
	s_delay_alu instid0(VALU_DEP_2) | instskip(NEXT) | instid1(VALU_DEP_2)
	v_cmp_eq_u32_e32 vcc_lo, 0, v90
	v_cndmask_b32_e32 v90, v92, v99, vcc_lo
; %bb.18:
	s_or_b32 exec_lo, exec_lo, s3
	v_and_b32_e32 v92, 0x7f800000, v94
	s_delay_alu instid0(VALU_DEP_1) | instskip(SKIP_1) | instid1(SALU_CYCLE_1)
	v_cmp_ne_u32_e32 vcc_lo, 0x7f800000, v92
                                        ; implicit-def: $vgpr92
	s_and_saveexec_b32 s3, vcc_lo
	s_xor_b32 s3, exec_lo, s3
; %bb.19:
	v_bfe_u32 v92, v94, 16, 1
	s_delay_alu instid0(VALU_DEP_1)
	v_add3_u32 v92, v94, v92, 0x7fff
                                        ; implicit-def: $vgpr94
; %bb.20:
	s_and_not1_saveexec_b32 s3, s3
; %bb.21:
	v_and_b32_e32 v92, 0xffff, v94
	v_or_b32_e32 v99, 0x10000, v94
	s_delay_alu instid0(VALU_DEP_2) | instskip(NEXT) | instid1(VALU_DEP_2)
	v_cmp_eq_u32_e32 vcc_lo, 0, v92
	v_cndmask_b32_e32 v92, v99, v94, vcc_lo
; %bb.22:
	s_or_b32 exec_lo, exec_lo, s3
	v_and_b32_e32 v94, 0x7f800000, v95
	s_delay_alu instid0(VALU_DEP_1) | instskip(SKIP_1) | instid1(SALU_CYCLE_1)
	v_cmp_ne_u32_e32 vcc_lo, 0x7f800000, v94
                                        ; implicit-def: $vgpr94
	s_and_saveexec_b32 s3, vcc_lo
	s_xor_b32 s3, exec_lo, s3
; %bb.23:
	v_bfe_u32 v94, v95, 16, 1
	s_delay_alu instid0(VALU_DEP_1)
	v_add3_u32 v94, v95, v94, 0x7fff
                                        ; implicit-def: $vgpr95
; %bb.24:
	s_and_not1_saveexec_b32 s3, s3
; %bb.25:
	v_and_b32_e32 v94, 0xffff, v95
	v_or_b32_e32 v99, 0x10000, v95
	s_delay_alu instid0(VALU_DEP_2) | instskip(NEXT) | instid1(VALU_DEP_2)
	v_cmp_eq_u32_e32 vcc_lo, 0, v94
	v_cndmask_b32_e32 v94, v99, v95, vcc_lo
; %bb.26:
	s_or_b32 exec_lo, exec_lo, s3
	v_and_b32_e32 v95, 0x7f800000, v98
	s_delay_alu instid0(VALU_DEP_1) | instskip(SKIP_1) | instid1(SALU_CYCLE_1)
	v_cmp_ne_u32_e32 vcc_lo, 0x7f800000, v95
                                        ; implicit-def: $vgpr95
	s_and_saveexec_b32 s3, vcc_lo
	s_xor_b32 s3, exec_lo, s3
; %bb.27:
	v_bfe_u32 v95, v98, 16, 1
	s_delay_alu instid0(VALU_DEP_1)
	v_add3_u32 v95, v98, v95, 0x7fff
                                        ; implicit-def: $vgpr98
; %bb.28:
	s_and_not1_saveexec_b32 s3, s3
; %bb.29:
	v_and_b32_e32 v95, 0xffff, v98
	v_or_b32_e32 v99, 0x10000, v98
	s_delay_alu instid0(VALU_DEP_2) | instskip(NEXT) | instid1(VALU_DEP_2)
	v_cmp_eq_u32_e32 vcc_lo, 0, v95
	v_cndmask_b32_e32 v95, v99, v98, vcc_lo
; %bb.30:
	s_or_b32 exec_lo, exec_lo, s3
	v_and_b32_e32 v98, 0x7f800000, v97
	s_delay_alu instid0(VALU_DEP_1) | instskip(SKIP_1) | instid1(SALU_CYCLE_1)
	v_cmp_ne_u32_e32 vcc_lo, 0x7f800000, v98
                                        ; implicit-def: $vgpr98
	s_and_saveexec_b32 s3, vcc_lo
	s_xor_b32 s3, exec_lo, s3
; %bb.31:
	v_bfe_u32 v98, v97, 16, 1
	s_delay_alu instid0(VALU_DEP_1)
	v_add3_u32 v98, v97, v98, 0x7fff
                                        ; implicit-def: $vgpr97
; %bb.32:
	s_and_not1_saveexec_b32 s3, s3
; %bb.33:
	v_and_b32_e32 v98, 0xffff, v97
	v_or_b32_e32 v99, 0x10000, v97
	s_delay_alu instid0(VALU_DEP_2) | instskip(NEXT) | instid1(VALU_DEP_2)
	v_cmp_eq_u32_e32 vcc_lo, 0, v98
	v_cndmask_b32_e32 v98, v99, v97, vcc_lo
; %bb.34:
	s_or_b32 exec_lo, exec_lo, s3
	v_and_b32_e32 v97, 0x7f800000, v96
	s_delay_alu instid0(VALU_DEP_1) | instskip(SKIP_1) | instid1(SALU_CYCLE_1)
	v_cmp_ne_u32_e32 vcc_lo, 0x7f800000, v97
                                        ; implicit-def: $vgpr97
	s_and_saveexec_b32 s3, vcc_lo
	s_xor_b32 s3, exec_lo, s3
; %bb.35:
	v_bfe_u32 v97, v96, 16, 1
	s_delay_alu instid0(VALU_DEP_1)
	v_add3_u32 v97, v96, v97, 0x7fff
                                        ; implicit-def: $vgpr96
; %bb.36:
	s_and_not1_saveexec_b32 s3, s3
; %bb.37:
	v_and_b32_e32 v97, 0xffff, v96
	v_or_b32_e32 v99, 0x10000, v96
	s_delay_alu instid0(VALU_DEP_2) | instskip(NEXT) | instid1(VALU_DEP_2)
	v_cmp_eq_u32_e32 vcc_lo, 0, v97
	v_cndmask_b32_e32 v97, v99, v96, vcc_lo
; %bb.38:
	s_or_b32 exec_lo, exec_lo, s3
	v_and_b32_e32 v96, 0x7f800000, v93
	s_delay_alu instid0(VALU_DEP_1) | instskip(SKIP_1) | instid1(SALU_CYCLE_1)
	v_cmp_ne_u32_e32 vcc_lo, 0x7f800000, v96
                                        ; implicit-def: $vgpr96
	s_and_saveexec_b32 s3, vcc_lo
	s_xor_b32 s3, exec_lo, s3
; %bb.39:
	v_bfe_u32 v96, v93, 16, 1
	s_delay_alu instid0(VALU_DEP_1)
	v_add3_u32 v96, v93, v96, 0x7fff
                                        ; implicit-def: $vgpr93
; %bb.40:
	s_and_not1_saveexec_b32 s3, s3
; %bb.41:
	v_and_b32_e32 v96, 0xffff, v93
	v_or_b32_e32 v99, 0x10000, v93
	s_delay_alu instid0(VALU_DEP_2) | instskip(NEXT) | instid1(VALU_DEP_2)
	v_cmp_eq_u32_e32 vcc_lo, 0, v96
	v_cndmask_b32_e32 v96, v99, v93, vcc_lo
; %bb.42:
	s_or_b32 exec_lo, exec_lo, s3
	v_and_b32_e32 v93, 0x7f800000, v91
	s_delay_alu instid0(VALU_DEP_1) | instskip(SKIP_1) | instid1(SALU_CYCLE_1)
	v_cmp_ne_u32_e32 vcc_lo, 0x7f800000, v93
                                        ; implicit-def: $vgpr93
	s_and_saveexec_b32 s3, vcc_lo
	s_xor_b32 s3, exec_lo, s3
; %bb.43:
	v_bfe_u32 v93, v91, 16, 1
	s_delay_alu instid0(VALU_DEP_1)
	v_add3_u32 v93, v91, v93, 0x7fff
                                        ; implicit-def: $vgpr91
; %bb.44:
	s_and_not1_saveexec_b32 s3, s3
; %bb.45:
	v_and_b32_e32 v93, 0xffff, v91
	v_or_b32_e32 v99, 0x10000, v91
	s_delay_alu instid0(VALU_DEP_2) | instskip(NEXT) | instid1(VALU_DEP_2)
	v_cmp_eq_u32_e32 vcc_lo, 0, v93
	v_cndmask_b32_e32 v93, v99, v91, vcc_lo
; %bb.46:
	s_or_b32 exec_lo, exec_lo, s3
	s_load_b64 s[34:35], s[0:1], 0x94
	v_lshlrev_b32_e32 v91, 4, v83
	s_delay_alu instid0(VALU_DEP_2)
	v_perm_b32 v99, v93, v96, 0x7060302
	v_dual_mul_f32 v88, v89, v88 :: v_dual_lshlrev_b32 v93, 11, v73
	v_perm_b32 v96, v92, v90, 0x7060302
	v_mul_f32_e32 v92, v89, v76
	v_perm_b32 v98, v97, v98, 0x7060302
	v_perm_b32 v97, v95, v94, 0x7060302
	v_or3_b32 v76, v91, v93, v85
	v_mul_f32_e32 v87, v89, v87
	v_dual_mul_f32 v86, v89, v86 :: v_dual_and_b32 v93, 0x7f800000, v92
	v_mul_f32_e32 v80, v89, v80
	v_mul_f32_e32 v90, v89, v79
	;; [unrolled: 1-line block ×4, first 2 shown]
	s_mov_b32 s3, exec_lo
	ds_store_b128 v76, v[96:99]
                                        ; implicit-def: $vgpr77
	v_cmpx_ne_u32_e32 0x7f800000, v93
	s_xor_b32 s3, exec_lo, s3
; %bb.47:
	v_bfe_u32 v77, v92, 16, 1
	s_delay_alu instid0(VALU_DEP_1)
	v_add3_u32 v77, v92, v77, 0x7fff
                                        ; implicit-def: $vgpr92
; %bb.48:
	s_and_not1_saveexec_b32 s3, s3
; %bb.49:
	v_and_b32_e32 v77, 0xffff, v92
	v_or_b32_e32 v78, 0x10000, v92
	s_delay_alu instid0(VALU_DEP_2) | instskip(NEXT) | instid1(VALU_DEP_2)
	v_cmp_eq_u32_e32 vcc_lo, 0, v77
	v_cndmask_b32_e32 v77, v78, v92, vcc_lo
; %bb.50:
	s_or_b32 exec_lo, exec_lo, s3
	v_and_b32_e32 v78, 0x7f800000, v79
	s_delay_alu instid0(VALU_DEP_1) | instskip(SKIP_1) | instid1(SALU_CYCLE_1)
	v_cmp_ne_u32_e32 vcc_lo, 0x7f800000, v78
                                        ; implicit-def: $vgpr78
	s_and_saveexec_b32 s3, vcc_lo
	s_xor_b32 s3, exec_lo, s3
; %bb.51:
	v_bfe_u32 v78, v79, 16, 1
	s_delay_alu instid0(VALU_DEP_1)
	v_add3_u32 v78, v79, v78, 0x7fff
                                        ; implicit-def: $vgpr79
; %bb.52:
	s_and_not1_saveexec_b32 s3, s3
; %bb.53:
	v_and_b32_e32 v78, 0xffff, v79
	v_or_b32_e32 v89, 0x10000, v79
	s_delay_alu instid0(VALU_DEP_2) | instskip(NEXT) | instid1(VALU_DEP_2)
	v_cmp_eq_u32_e32 vcc_lo, 0, v78
	v_cndmask_b32_e32 v78, v89, v79, vcc_lo
; %bb.54:
	s_or_b32 exec_lo, exec_lo, s3
	v_and_b32_e32 v79, 0x7f800000, v91
	s_delay_alu instid0(VALU_DEP_1) | instskip(SKIP_1) | instid1(SALU_CYCLE_1)
	v_cmp_ne_u32_e32 vcc_lo, 0x7f800000, v79
                                        ; implicit-def: $vgpr79
	s_and_saveexec_b32 s3, vcc_lo
	s_xor_b32 s3, exec_lo, s3
; %bb.55:
	v_bfe_u32 v79, v91, 16, 1
	s_delay_alu instid0(VALU_DEP_1)
	v_add3_u32 v79, v91, v79, 0x7fff
                                        ; implicit-def: $vgpr91
; %bb.56:
	s_and_not1_saveexec_b32 s3, s3
; %bb.57:
	v_and_b32_e32 v79, 0xffff, v91
	v_or_b32_e32 v89, 0x10000, v91
	s_delay_alu instid0(VALU_DEP_2) | instskip(NEXT) | instid1(VALU_DEP_2)
	v_cmp_eq_u32_e32 vcc_lo, 0, v79
	v_cndmask_b32_e32 v79, v89, v91, vcc_lo
; %bb.58:
	s_or_b32 exec_lo, exec_lo, s3
	v_and_b32_e32 v89, 0x7f800000, v90
	s_delay_alu instid0(VALU_DEP_1) | instskip(SKIP_1) | instid1(SALU_CYCLE_1)
	v_cmp_ne_u32_e32 vcc_lo, 0x7f800000, v89
                                        ; implicit-def: $vgpr89
	s_and_saveexec_b32 s3, vcc_lo
	s_xor_b32 s3, exec_lo, s3
; %bb.59:
	v_bfe_u32 v89, v90, 16, 1
	s_delay_alu instid0(VALU_DEP_1)
	v_add3_u32 v89, v90, v89, 0x7fff
                                        ; implicit-def: $vgpr90
; %bb.60:
	s_and_not1_saveexec_b32 s3, s3
; %bb.61:
	v_and_b32_e32 v89, 0xffff, v90
	v_or_b32_e32 v91, 0x10000, v90
	s_delay_alu instid0(VALU_DEP_2) | instskip(NEXT) | instid1(VALU_DEP_2)
	v_cmp_eq_u32_e32 vcc_lo, 0, v89
	v_cndmask_b32_e32 v89, v91, v90, vcc_lo
; %bb.62:
	s_or_b32 exec_lo, exec_lo, s3
	v_and_b32_e32 v90, 0x7f800000, v80
	s_delay_alu instid0(VALU_DEP_1) | instskip(SKIP_1) | instid1(SALU_CYCLE_1)
	v_cmp_ne_u32_e32 vcc_lo, 0x7f800000, v90
                                        ; implicit-def: $vgpr90
	s_and_saveexec_b32 s3, vcc_lo
	s_xor_b32 s3, exec_lo, s3
; %bb.63:
	v_bfe_u32 v90, v80, 16, 1
	s_delay_alu instid0(VALU_DEP_1)
	v_add3_u32 v90, v80, v90, 0x7fff
                                        ; implicit-def: $vgpr80
; %bb.64:
	s_and_not1_saveexec_b32 s3, s3
; %bb.65:
	v_and_b32_e32 v90, 0xffff, v80
	v_or_b32_e32 v91, 0x10000, v80
	s_delay_alu instid0(VALU_DEP_2) | instskip(NEXT) | instid1(VALU_DEP_2)
	v_cmp_eq_u32_e32 vcc_lo, 0, v90
	v_cndmask_b32_e32 v90, v91, v80, vcc_lo
; %bb.66:
	s_or_b32 exec_lo, exec_lo, s3
	v_and_b32_e32 v80, 0x7f800000, v86
	s_delay_alu instid0(VALU_DEP_1) | instskip(SKIP_1) | instid1(SALU_CYCLE_1)
	v_cmp_ne_u32_e32 vcc_lo, 0x7f800000, v80
                                        ; implicit-def: $vgpr80
	s_and_saveexec_b32 s3, vcc_lo
	s_xor_b32 s3, exec_lo, s3
; %bb.67:
	v_bfe_u32 v80, v86, 16, 1
	s_delay_alu instid0(VALU_DEP_1)
	v_add3_u32 v80, v86, v80, 0x7fff
                                        ; implicit-def: $vgpr86
; %bb.68:
	s_and_not1_saveexec_b32 s3, s3
; %bb.69:
	v_and_b32_e32 v80, 0xffff, v86
	v_or_b32_e32 v91, 0x10000, v86
	s_delay_alu instid0(VALU_DEP_2) | instskip(NEXT) | instid1(VALU_DEP_2)
	v_cmp_eq_u32_e32 vcc_lo, 0, v80
	v_cndmask_b32_e32 v80, v91, v86, vcc_lo
; %bb.70:
	s_or_b32 exec_lo, exec_lo, s3
	v_and_b32_e32 v86, 0x7f800000, v87
	s_delay_alu instid0(VALU_DEP_1) | instskip(SKIP_1) | instid1(SALU_CYCLE_1)
	v_cmp_ne_u32_e32 vcc_lo, 0x7f800000, v86
                                        ; implicit-def: $vgpr86
	s_and_saveexec_b32 s3, vcc_lo
	s_xor_b32 s3, exec_lo, s3
; %bb.71:
	v_bfe_u32 v86, v87, 16, 1
	s_delay_alu instid0(VALU_DEP_1)
	v_add3_u32 v86, v87, v86, 0x7fff
                                        ; implicit-def: $vgpr87
; %bb.72:
	s_and_not1_saveexec_b32 s3, s3
; %bb.73:
	v_and_b32_e32 v86, 0xffff, v87
	v_or_b32_e32 v91, 0x10000, v87
	s_delay_alu instid0(VALU_DEP_2) | instskip(NEXT) | instid1(VALU_DEP_2)
	v_cmp_eq_u32_e32 vcc_lo, 0, v86
	v_cndmask_b32_e32 v86, v91, v87, vcc_lo
; %bb.74:
	s_or_b32 exec_lo, exec_lo, s3
	v_and_b32_e32 v87, 0x7f800000, v88
	s_delay_alu instid0(VALU_DEP_1) | instskip(SKIP_1) | instid1(SALU_CYCLE_1)
	v_cmp_ne_u32_e32 vcc_lo, 0x7f800000, v87
                                        ; implicit-def: $vgpr87
	s_and_saveexec_b32 s3, vcc_lo
	s_xor_b32 s3, exec_lo, s3
; %bb.75:
	v_bfe_u32 v87, v88, 16, 1
	s_delay_alu instid0(VALU_DEP_1)
	v_add3_u32 v87, v88, v87, 0x7fff
                                        ; implicit-def: $vgpr88
; %bb.76:
	s_and_not1_saveexec_b32 s3, s3
; %bb.77:
	v_and_b32_e32 v87, 0xffff, v88
	v_or_b32_e32 v91, 0x10000, v88
	s_delay_alu instid0(VALU_DEP_2) | instskip(NEXT) | instid1(VALU_DEP_2)
	v_cmp_eq_u32_e32 vcc_lo, 0, v87
	v_cndmask_b32_e32 v87, v91, v88, vcc_lo
; %bb.78:
	s_or_b32 exec_lo, exec_lo, s3
	s_delay_alu instid0(VALU_DEP_1)
	v_perm_b32 v94, v87, v86, 0x7060302
	v_perm_b32 v93, v80, v90, 0x7060302
	;; [unrolled: 1-line block ×4, first 2 shown]
	v_lshl_or_b32 v90, v73, 11, v85
	ds_store_b128 v76, v[91:94] offset:1024
	s_waitcnt lgkmcnt(0)
	s_barrier
	buffer_gl0_inv
	ds_load_b128 v[77:80], v90
	ds_load_b128 v[91:94], v90 offset:16
	s_waitcnt lgkmcnt(1)
	v_lshrrev_b32_e32 v73, 16, v77
	s_waitcnt lgkmcnt(0)
	v_lshrrev_b32_e32 v108, 16, v94
	v_lshlrev_b32_e32 v87, 2, v83
	v_lshrrev_b32_e32 v99, 16, v91
	v_lshrrev_b32_e32 v103, 16, v78
	;; [unrolled: 1-line block ×4, first 2 shown]
	v_or_b32_e32 v88, 1, v87
	v_cmp_eq_u32_e32 vcc_lo, 1, v87
	v_cmp_eq_u32_e64 s4, 2, v87
	v_cmp_eq_u32_e64 s7, 3, v87
	;; [unrolled: 1-line block ×4, first 2 shown]
	v_cndmask_b32_e32 v89, v77, v73, vcc_lo
	v_cndmask_b32_e32 v95, v91, v99, vcc_lo
	v_cmp_eq_u32_e64 s6, 2, v88
	v_cmp_eq_u32_e64 s8, 3, v88
	v_cndmask_b32_e64 v96, v77, v73, s3
	v_cndmask_b32_e64 v89, v89, v78, s4
	;; [unrolled: 1-line block ×3, first 2 shown]
	v_or_b32_e32 v86, 2, v87
	v_lshrrev_b32_e32 v107, 16, v93
	v_cndmask_b32_e64 v96, v96, v78, s6
	v_cndmask_b32_e64 v89, v89, v103, s7
	;; [unrolled: 1-line block ×4, first 2 shown]
	v_cmp_eq_u32_e64 s10, 5, v87
	v_cndmask_b32_e64 v96, v96, v103, s8
	v_cndmask_b32_e64 v89, v89, v79, s9
	;; [unrolled: 1-line block ×3, first 2 shown]
	v_cmp_eq_u32_e64 s11, 4, v88
	v_cmp_eq_u32_e64 s5, 1, v86
	v_cndmask_b32_e64 v97, v97, v92, s6
	v_cndmask_b32_e64 v89, v89, v104, s10
	v_cmp_eq_u32_e64 s12, 6, v87
	v_cndmask_b32_e64 v96, v96, v79, s11
	v_cndmask_b32_e64 v95, v95, v107, s10
	v_cmp_eq_u32_e64 s13, 5, v88
	v_lshrrev_b32_e32 v105, 16, v80
	v_cndmask_b32_e64 v98, v77, v73, s5
	v_cndmask_b32_e64 v97, v97, v106, s8
	;; [unrolled: 1-line block ×4, first 2 shown]
	v_cmp_eq_u32_e64 s15, 7, v87
	v_cndmask_b32_e64 v95, v95, v94, s12
	v_cmp_eq_u32_e64 s16, 6, v88
	v_cmp_eq_u32_e64 s17, 2, v86
	v_cndmask_b32_e64 v97, v97, v93, s11
	v_cndmask_b32_e64 v109, v89, v105, s15
	;; [unrolled: 1-line block ×6, first 2 shown]
	v_cmp_eq_u32_e64 s18, 7, v88
	v_cmp_eq_u32_e64 s19, 3, v86
	;; [unrolled: 1-line block ×4, first 2 shown]
	v_cndmask_b32_e64 v95, v95, v92, s17
	v_cndmask_b32_e64 v111, v96, v105, s18
	;; [unrolled: 1-line block ×4, first 2 shown]
	v_or_b32_e32 v89, 3, v87
	v_cndmask_b32_e64 v101, v95, v106, s19
	v_cmp_eq_u32_e64 s24, 6, v86
	v_cndmask_b32_e64 v112, v96, v94, s16
	v_cndmask_b32_e64 v100, v97, v79, s20
	v_cmp_eq_u32_e64 s21, 1, v89
	ds_load_b128 v[95:98], v90 offset:1024
	v_cmp_eq_u32_e64 s23, 2, v89
	v_cmp_eq_u32_e64 s25, 3, v89
	v_cndmask_b32_e64 v113, v100, v104, s22
	v_cndmask_b32_e64 v73, v77, v73, s21
	;; [unrolled: 1-line block ×4, first 2 shown]
	ds_load_b128 v[99:102], v90 offset:1040
	v_cmp_eq_u32_e64 s26, 4, v89
	v_cndmask_b32_e64 v73, v73, v78, s23
	v_cmp_eq_u32_e64 s27, 7, v86
	v_cndmask_b32_e64 v78, v91, v92, s23
	v_cndmask_b32_e64 v92, v113, v80, s24
	v_cmp_eq_u32_e64 s28, 5, v89
	v_cndmask_b32_e64 v73, v73, v103, s25
	v_cndmask_b32_e64 v77, v77, v107, s22
	;; [unrolled: 1-line block ×3, first 2 shown]
	v_cmp_eq_u32_e64 s29, 6, v89
	v_cndmask_b32_e64 v91, v112, v108, s18
	v_cndmask_b32_e64 v73, v73, v79, s26
	s_waitcnt lgkmcnt(1)
	v_lshrrev_b32_e32 v103, 16, v95
	v_cndmask_b32_e64 v78, v78, v93, s26
	v_cndmask_b32_e64 v79, v92, v105, s27
	;; [unrolled: 1-line block ×4, first 2 shown]
	v_cndmask_b32_e32 v92, v95, v103, vcc_lo
	v_cndmask_b32_e64 v78, v78, v107, s28
	s_waitcnt lgkmcnt(0)
	v_lshrrev_b32_e32 v93, 16, v99
	v_lshrrev_b32_e32 v104, 16, v96
	v_cndmask_b32_e64 v106, v95, v103, s3
	v_cndmask_b32_e64 v92, v92, v96, s4
	;; [unrolled: 1-line block ×3, first 2 shown]
	v_cndmask_b32_e32 v107, v99, v93, vcc_lo
	v_cndmask_b32_e64 v78, v78, v94, s29
	v_cmp_eq_u32_e32 vcc_lo, 7, v89
	v_cndmask_b32_e64 v80, v92, v104, s7
	v_cndmask_b32_e64 v92, v106, v96, s6
	;; [unrolled: 1-line block ×3, first 2 shown]
	v_lshrrev_b32_e32 v106, 16, v100
	v_cndmask_b32_e64 v77, v77, v108, s27
	v_cndmask_b32_e32 v78, v78, v108, vcc_lo
	v_lshrrev_b32_e32 v108, 16, v101
	v_cndmask_b32_e64 v80, v80, v97, s9
	v_cndmask_b32_e64 v94, v94, v106, s7
	v_lshrrev_b32_e32 v107, 16, v97
	v_cndmask_b32_e32 v73, v73, v105, vcc_lo
	v_perm_b32 v79, v77, v79, 0x5040100
	v_cndmask_b32_e64 v92, v92, v104, s8
	v_cndmask_b32_e64 v94, v94, v101, s9
	;; [unrolled: 1-line block ×3, first 2 shown]
	v_perm_b32 v80, v78, v73, 0x5040100
	v_perm_b32 v78, v91, v111, 0x5040100
	v_cndmask_b32_e64 v111, v99, v93, s5
	v_cndmask_b32_e64 v94, v94, v108, s10
	;; [unrolled: 1-line block ×3, first 2 shown]
	s_delay_alu instid0(VALU_DEP_2)
	v_cndmask_b32_e64 v77, v94, v102, s12
	v_cndmask_b32_e64 v94, v95, v103, s5
	;; [unrolled: 1-line block ×22, first 2 shown]
	v_lshrrev_b32_e32 v105, 16, v98
	v_cndmask_b32_e64 v94, v94, v107, s22
	v_cndmask_b32_e64 v95, v95, v107, s28
	;; [unrolled: 1-line block ×7, first 2 shown]
	v_lshrrev_b32_e32 v92, 16, v102
	v_cndmask_b32_e64 v94, v94, v98, s24
	v_cndmask_b32_e64 v95, v95, v98, s29
	;; [unrolled: 1-line block ×7, first 2 shown]
	v_dual_cndmask_b32 v94, v95, v105 :: v_dual_cndmask_b32 v95, v96, v92
	v_cndmask_b32_e64 v96, v97, v92, s27
	v_cndmask_b32_e64 v97, v93, v92, s18
	;; [unrolled: 1-line block ×3, first 2 shown]
	v_perm_b32 v77, v110, v109, 0x5040100
	v_perm_b32 v94, v95, v94, 0x5040100
	;; [unrolled: 1-line block ×5, first 2 shown]
	s_lshl_b32 s8, s35, 2
	s_mov_b32 s3, exec_lo
	ds_store_b128 v76, v[77:80]
	ds_store_b128 v76, v[91:94] offset:1024
	v_cmpx_gt_u32_e32 4, v0
	s_cbranch_execz .LBB557_80
; %bb.79:
	v_or_b32_e32 v73, s31, v0
	s_load_b128 s[4:7], s[0:1], 0x58
	s_delay_alu instid0(VALU_DEP_1) | instskip(NEXT) | instid1(VALU_DEP_1)
	v_mad_u64_u32 v[76:77], null, s8, s30, v[73:74]
	v_mad_u64_u32 v[77:78], null, v76, s34, s[14:15]
	s_delay_alu instid0(VALU_DEP_1) | instskip(NEXT) | instid1(VALU_DEP_1)
	v_ashrrev_i32_e32 v78, 31, v77
	v_lshlrev_b64 v[76:77], 2, v[77:78]
	s_waitcnt lgkmcnt(0)
	s_delay_alu instid0(VALU_DEP_1) | instskip(NEXT) | instid1(VALU_DEP_2)
	v_add_co_u32 v78, vcc_lo, s6, v76
	v_add_co_ci_u32_e32 v79, vcc_lo, s7, v77, vcc_lo
	v_add_co_u32 v76, vcc_lo, s4, v76
	v_add_co_ci_u32_e32 v77, vcc_lo, s5, v77, vcc_lo
	global_store_b32 v[78:79], v74, off
	global_store_b32 v[76:77], v75, off
.LBB557_80:
	s_or_b32 exec_lo, exec_lo, s3
	s_waitcnt lgkmcnt(0)
	s_waitcnt_vscnt null, 0x0
	s_barrier
	buffer_gl0_inv
	ds_load_b128 v[91:94], v85
	ds_load_b128 v[95:98], v85 offset:16
	ds_load_b128 v[103:106], v85 offset:1040
	;; [unrolled: 1-line block ×3, first 2 shown]
	v_mov_b32_e32 v73, 0
	ds_load_b128 v[111:114], v85 offset:2064
	ds_load_b128 v[107:110], v85 offset:2048
	;; [unrolled: 1-line block ×6, first 2 shown]
	v_mov_b32_e32 v74, v73
	v_mov_b32_e32 v75, v73
	;; [unrolled: 1-line block ×7, first 2 shown]
	s_waitcnt lgkmcnt(8)
	s_delay_alu instid0(VALU_DEP_1)
	v_wmma_f32_16x16x16_bf16 v[73:80], v[65:72], v[91:98], v[73:80]
	ds_load_b128 v[69:72], v85 offset:5136
	ds_load_b128 v[65:68], v85 offset:5120
	;; [unrolled: 1-line block ×4, first 2 shown]
	s_waitcnt lgkmcnt(10)
	v_wmma_f32_16x16x16_bf16 v[73:80], v[57:64], v[99:106], v[73:80]
	s_waitcnt lgkmcnt(8)
	s_delay_alu instid0(VALU_DEP_1)
	v_wmma_f32_16x16x16_bf16 v[73:80], v[57:64], v[107:114], v[73:80]
	ds_load_b128 v[61:64], v85 offset:7184
	ds_load_b128 v[57:60], v85 offset:7168
	;; [unrolled: 1-line block ×4, first 2 shown]
	s_waitcnt lgkmcnt(10)
	v_wmma_f32_16x16x16_bf16 v[73:80], v[49:56], v[115:122], v[73:80]
	s_waitcnt lgkmcnt(8)
	s_delay_alu instid0(VALU_DEP_1)
	v_wmma_f32_16x16x16_bf16 v[73:80], v[49:56], v[123:130], v[73:80]
	ds_load_b128 v[53:56], v85 offset:9232
	ds_load_b128 v[49:52], v85 offset:9216
	s_waitcnt lgkmcnt(8)
	v_wmma_f32_16x16x16_bf16 v[73:80], v[41:48], v[65:72], v[73:80]
	ds_load_b128 v[69:72], v85 offset:10256
	ds_load_b128 v[65:68], v85 offset:10240
	s_waitcnt lgkmcnt(8)
	;; [unrolled: 4-line block ×3, first 2 shown]
	v_wmma_f32_16x16x16_bf16 v[73:80], v[9:16], v[57:64], v[73:80]
	s_waitcnt lgkmcnt(6)
	s_delay_alu instid0(VALU_DEP_1)
	v_wmma_f32_16x16x16_bf16 v[73:80], v[9:16], v[99:106], v[73:80]
	ds_load_b128 v[13:16], v85 offset:12304
	ds_load_b128 v[9:12], v85 offset:12288
	s_waitcnt lgkmcnt(6)
	v_wmma_f32_16x16x16_bf16 v[73:80], v[1:8], v[49:56], v[73:80]
	ds_load_b128 v[53:56], v85 offset:13328
	ds_load_b128 v[49:52], v85 offset:13312
	s_waitcnt lgkmcnt(6)
	;; [unrolled: 4-line block ×4, first 2 shown]
	v_wmma_f32_16x16x16_bf16 v[73:80], v[33:40], v[9:16], v[73:80]
	s_waitcnt lgkmcnt(4)
	s_delay_alu instid0(VALU_DEP_1) | instskip(SKIP_1) | instid1(VALU_DEP_1)
	v_wmma_f32_16x16x16_bf16 v[73:80], v[25:32], v[49:56], v[73:80]
	s_waitcnt lgkmcnt(2)
	v_wmma_f32_16x16x16_bf16 v[73:80], v[25:32], v[1:8], v[73:80]
	s_waitcnt lgkmcnt(0)
	s_delay_alu instid0(VALU_DEP_1) | instskip(NEXT) | instid1(VALU_DEP_1)
	v_wmma_f32_16x16x16_bf16 v[73:80], v[17:24], v[41:48], v[73:80]
	v_and_b32_e32 v1, 0x7f800000, v73
	s_delay_alu instid0(VALU_DEP_1) | instskip(SKIP_1) | instid1(SALU_CYCLE_1)
	v_cmp_ne_u32_e32 vcc_lo, 0x7f800000, v1
                                        ; implicit-def: $vgpr1
	s_and_saveexec_b32 s3, vcc_lo
	s_xor_b32 s3, exec_lo, s3
; %bb.81:
	v_bfe_u32 v1, v73, 16, 1
	s_delay_alu instid0(VALU_DEP_1)
	v_add3_u32 v1, v73, v1, 0x7fff
; %bb.82:
	s_and_not1_saveexec_b32 s3, s3
; %bb.83:
	v_and_b32_e32 v1, 0xffff, v73
	v_or_b32_e32 v2, 0x10000, v73
	s_delay_alu instid0(VALU_DEP_2) | instskip(NEXT) | instid1(VALU_DEP_2)
	v_cmp_eq_u32_e32 vcc_lo, 0, v1
	v_cndmask_b32_e32 v1, v2, v73, vcc_lo
; %bb.84:
	s_or_b32 exec_lo, exec_lo, s3
	v_and_b32_e32 v2, 0x7f800000, v74
	s_delay_alu instid0(VALU_DEP_1) | instskip(SKIP_1) | instid1(SALU_CYCLE_1)
	v_cmp_ne_u32_e32 vcc_lo, 0x7f800000, v2
                                        ; implicit-def: $vgpr2
	s_and_saveexec_b32 s3, vcc_lo
	s_xor_b32 s3, exec_lo, s3
; %bb.85:
	v_bfe_u32 v2, v74, 16, 1
	s_delay_alu instid0(VALU_DEP_1)
	v_add3_u32 v2, v74, v2, 0x7fff
; %bb.86:
	s_and_not1_saveexec_b32 s3, s3
; %bb.87:
	v_and_b32_e32 v2, 0xffff, v74
	v_or_b32_e32 v3, 0x10000, v74
	s_delay_alu instid0(VALU_DEP_2) | instskip(NEXT) | instid1(VALU_DEP_2)
	v_cmp_eq_u32_e32 vcc_lo, 0, v2
	v_cndmask_b32_e32 v2, v3, v74, vcc_lo
; %bb.88:
	s_or_b32 exec_lo, exec_lo, s3
	v_and_b32_e32 v3, 0x7f800000, v75
	s_delay_alu instid0(VALU_DEP_1) | instskip(SKIP_1) | instid1(SALU_CYCLE_1)
	v_cmp_ne_u32_e32 vcc_lo, 0x7f800000, v3
                                        ; implicit-def: $vgpr3
	s_and_saveexec_b32 s3, vcc_lo
	s_xor_b32 s3, exec_lo, s3
; %bb.89:
	v_bfe_u32 v3, v75, 16, 1
	s_delay_alu instid0(VALU_DEP_1)
	v_add3_u32 v3, v75, v3, 0x7fff
; %bb.90:
	s_and_not1_saveexec_b32 s3, s3
; %bb.91:
	v_and_b32_e32 v3, 0xffff, v75
	v_or_b32_e32 v4, 0x10000, v75
	s_delay_alu instid0(VALU_DEP_2) | instskip(NEXT) | instid1(VALU_DEP_2)
	v_cmp_eq_u32_e32 vcc_lo, 0, v3
	v_cndmask_b32_e32 v3, v4, v75, vcc_lo
; %bb.92:
	s_or_b32 exec_lo, exec_lo, s3
	v_and_b32_e32 v4, 0x7f800000, v76
	s_delay_alu instid0(VALU_DEP_1) | instskip(SKIP_1) | instid1(SALU_CYCLE_1)
	v_cmp_ne_u32_e32 vcc_lo, 0x7f800000, v4
                                        ; implicit-def: $vgpr4
	s_and_saveexec_b32 s3, vcc_lo
	s_xor_b32 s3, exec_lo, s3
; %bb.93:
	v_bfe_u32 v4, v76, 16, 1
	s_delay_alu instid0(VALU_DEP_1)
	v_add3_u32 v4, v76, v4, 0x7fff
; %bb.94:
	s_and_not1_saveexec_b32 s3, s3
; %bb.95:
	v_and_b32_e32 v4, 0xffff, v76
	v_or_b32_e32 v5, 0x10000, v76
	s_delay_alu instid0(VALU_DEP_2) | instskip(NEXT) | instid1(VALU_DEP_2)
	v_cmp_eq_u32_e32 vcc_lo, 0, v4
	v_cndmask_b32_e32 v4, v5, v76, vcc_lo
; %bb.96:
	s_or_b32 exec_lo, exec_lo, s3
	v_and_b32_e32 v5, 0x7f800000, v77
	s_delay_alu instid0(VALU_DEP_1) | instskip(SKIP_1) | instid1(SALU_CYCLE_1)
	v_cmp_ne_u32_e32 vcc_lo, 0x7f800000, v5
                                        ; implicit-def: $vgpr5
	s_and_saveexec_b32 s3, vcc_lo
	s_xor_b32 s3, exec_lo, s3
; %bb.97:
	v_bfe_u32 v5, v77, 16, 1
	s_delay_alu instid0(VALU_DEP_1)
	v_add3_u32 v5, v77, v5, 0x7fff
; %bb.98:
	s_and_not1_saveexec_b32 s3, s3
; %bb.99:
	v_and_b32_e32 v5, 0xffff, v77
	v_or_b32_e32 v6, 0x10000, v77
	s_delay_alu instid0(VALU_DEP_2) | instskip(NEXT) | instid1(VALU_DEP_2)
	v_cmp_eq_u32_e32 vcc_lo, 0, v5
	v_cndmask_b32_e32 v5, v6, v77, vcc_lo
; %bb.100:
	s_or_b32 exec_lo, exec_lo, s3
	v_and_b32_e32 v6, 0x7f800000, v78
	s_delay_alu instid0(VALU_DEP_1) | instskip(SKIP_1) | instid1(SALU_CYCLE_1)
	v_cmp_ne_u32_e32 vcc_lo, 0x7f800000, v6
                                        ; implicit-def: $vgpr6
	s_and_saveexec_b32 s3, vcc_lo
	s_xor_b32 s3, exec_lo, s3
; %bb.101:
	v_bfe_u32 v6, v78, 16, 1
	s_delay_alu instid0(VALU_DEP_1)
	v_add3_u32 v6, v78, v6, 0x7fff
; %bb.102:
	s_and_not1_saveexec_b32 s3, s3
; %bb.103:
	v_and_b32_e32 v6, 0xffff, v78
	v_or_b32_e32 v7, 0x10000, v78
	s_delay_alu instid0(VALU_DEP_2) | instskip(NEXT) | instid1(VALU_DEP_2)
	v_cmp_eq_u32_e32 vcc_lo, 0, v6
	v_cndmask_b32_e32 v6, v7, v78, vcc_lo
; %bb.104:
	s_or_b32 exec_lo, exec_lo, s3
	v_and_b32_e32 v7, 0x7f800000, v79
	s_delay_alu instid0(VALU_DEP_1) | instskip(SKIP_1) | instid1(SALU_CYCLE_1)
	v_cmp_ne_u32_e32 vcc_lo, 0x7f800000, v7
                                        ; implicit-def: $vgpr7
	s_and_saveexec_b32 s3, vcc_lo
	s_xor_b32 s3, exec_lo, s3
; %bb.105:
	v_bfe_u32 v7, v79, 16, 1
	s_delay_alu instid0(VALU_DEP_1)
	v_add3_u32 v7, v79, v7, 0x7fff
; %bb.106:
	s_and_not1_saveexec_b32 s3, s3
; %bb.107:
	v_and_b32_e32 v7, 0xffff, v79
	v_or_b32_e32 v8, 0x10000, v79
	s_delay_alu instid0(VALU_DEP_2) | instskip(NEXT) | instid1(VALU_DEP_2)
	v_cmp_eq_u32_e32 vcc_lo, 0, v7
	v_cndmask_b32_e32 v7, v8, v79, vcc_lo
; %bb.108:
	s_or_b32 exec_lo, exec_lo, s3
	v_and_b32_e32 v8, 0x7f800000, v80
	s_delay_alu instid0(VALU_DEP_1) | instskip(SKIP_1) | instid1(SALU_CYCLE_1)
	v_cmp_ne_u32_e32 vcc_lo, 0x7f800000, v8
                                        ; implicit-def: $vgpr8
	s_and_saveexec_b32 s3, vcc_lo
	s_xor_b32 s3, exec_lo, s3
; %bb.109:
	v_bfe_u32 v8, v80, 16, 1
	s_delay_alu instid0(VALU_DEP_1)
	v_add3_u32 v8, v80, v8, 0x7fff
                                        ; implicit-def: $vgpr73_vgpr74_vgpr75_vgpr76_vgpr77_vgpr78_vgpr79_vgpr80
; %bb.110:
	s_and_not1_saveexec_b32 s3, s3
; %bb.111:
	v_and_b32_e32 v8, 0xffff, v80
	v_or_b32_e32 v9, 0x10000, v80
	s_delay_alu instid0(VALU_DEP_2) | instskip(NEXT) | instid1(VALU_DEP_2)
	v_cmp_eq_u32_e32 vcc_lo, 0, v8
	v_cndmask_b32_e32 v8, v9, v80, vcc_lo
; %bb.112:
	s_or_b32 exec_lo, exec_lo, s3
	s_delay_alu instid0(VALU_DEP_1)
	v_perm_b32 v7, v8, v7, 0x7060302
	v_perm_b32 v6, v6, v5, 0x7060302
	;; [unrolled: 1-line block ×4, first 2 shown]
	v_lshl_or_b32 v9, v83, 4, v90
	s_barrier
	buffer_gl0_inv
	v_cmp_eq_u32_e32 vcc_lo, 1, v87
	ds_store_b128 v9, v[4:7]
	s_waitcnt lgkmcnt(0)
	s_barrier
	buffer_gl0_inv
	ds_load_b128 v[1:4], v90
	ds_load_b128 v[5:8], v90 offset:16
	v_cmp_eq_u32_e64 s4, 2, v87
	v_cmp_eq_u32_e64 s3, 1, v88
	;; [unrolled: 1-line block ×5, first 2 shown]
	s_waitcnt lgkmcnt(1)
	v_lshrrev_b32_e32 v10, 16, v1
	s_waitcnt lgkmcnt(0)
	v_lshrrev_b32_e32 v14, 16, v5
	v_lshrrev_b32_e32 v15, 16, v6
	;; [unrolled: 1-line block ×4, first 2 shown]
	v_cndmask_b32_e64 v20, v1, v10, s3
	v_cndmask_b32_e32 v19, v5, v14, vcc_lo
	v_cndmask_b32_e64 v21, v5, v14, s3
	v_lshrrev_b32_e32 v16, 16, v7
	v_cmp_eq_u32_e64 s3, 1, v86
	v_lshrrev_b32_e32 v13, 16, v4
	v_cndmask_b32_e64 v19, v19, v6, s4
	v_lshrrev_b32_e32 v17, 16, v8
	s_delay_alu instid0(VALU_DEP_4) | instskip(SKIP_1) | instid1(VALU_DEP_4)
	v_cndmask_b32_e64 v22, v1, v10, s3
	v_cndmask_b32_e64 v23, v5, v14, s3
	;; [unrolled: 1-line block ×3, first 2 shown]
	v_cndmask_b32_e32 v18, v1, v10, vcc_lo
	v_cmp_eq_u32_e32 vcc_lo, 2, v88
	v_cmp_eq_u32_e64 s3, 2, v89
	v_cndmask_b32_e64 v22, v22, v2, s7
	v_cndmask_b32_e32 v20, v20, v2, vcc_lo
	v_cndmask_b32_e32 v21, v21, v6, vcc_lo
	v_cmp_eq_u32_e32 vcc_lo, 4, v87
	v_cndmask_b32_e32 v19, v19, v7, vcc_lo
	v_cndmask_b32_e64 v18, v18, v2, s4
	v_cmp_eq_u32_e64 s4, 3, v88
	s_delay_alu instid0(VALU_DEP_2) | instskip(NEXT) | instid1(VALU_DEP_2)
	v_cndmask_b32_e64 v18, v18, v11, s5
	v_cndmask_b32_e64 v21, v21, v15, s4
	v_cmp_eq_u32_e64 s5, 5, v87
	s_delay_alu instid0(VALU_DEP_3) | instskip(SKIP_1) | instid1(VALU_DEP_3)
	v_cndmask_b32_e32 v18, v18, v3, vcc_lo
	v_cmp_eq_u32_e32 vcc_lo, 4, v88
	v_cndmask_b32_e64 v19, v19, v16, s5
	s_delay_alu instid0(VALU_DEP_3) | instskip(SKIP_4) | instid1(VALU_DEP_3)
	v_cndmask_b32_e64 v18, v18, v12, s5
	v_cndmask_b32_e32 v21, v21, v7, vcc_lo
	v_cndmask_b32_e64 v20, v20, v11, s4
	v_cmp_eq_u32_e64 s4, 5, v88
	v_cmp_eq_u32_e64 s5, 6, v87
	v_cndmask_b32_e32 v20, v20, v3, vcc_lo
	s_delay_alu instid0(VALU_DEP_3) | instskip(SKIP_1) | instid1(VALU_DEP_4)
	v_cndmask_b32_e64 v21, v21, v16, s4
	v_cmp_eq_u32_e32 vcc_lo, 6, v88
	v_cndmask_b32_e64 v18, v18, v4, s5
	v_cndmask_b32_e64 v19, v19, v8, s5
	;; [unrolled: 1-line block ×3, first 2 shown]
	v_cmp_eq_u32_e64 s4, 1, v89
	v_cmp_eq_u32_e64 s5, 7, v87
	s_delay_alu instid0(VALU_DEP_3) | instskip(NEXT) | instid1(VALU_DEP_3)
	v_cndmask_b32_e32 v20, v20, v4, vcc_lo
	v_cndmask_b32_e64 v1, v1, v10, s4
	v_cndmask_b32_e64 v5, v5, v14, s4
	v_cmp_eq_u32_e64 s4, 3, v86
	v_cndmask_b32_e64 v14, v23, v6, s7
	v_cmp_eq_u32_e64 s7, 3, v89
	v_cndmask_b32_e64 v1, v1, v2, s3
	v_cndmask_b32_e64 v2, v5, v6, s3
	;; [unrolled: 1-line block ×3, first 2 shown]
	v_cmp_eq_u32_e64 s3, 4, v86
	v_cndmask_b32_e64 v6, v14, v15, s4
	v_cndmask_b32_e64 v1, v1, v11, s7
	v_cmp_eq_u32_e64 s4, 4, v89
	v_cndmask_b32_e64 v2, v2, v15, s7
	v_cndmask_b32_e64 v5, v10, v3, s3
	;; [unrolled: 3-line block ×3, first 2 shown]
	v_cndmask_b32_e64 v2, v2, v7, s4
	v_cmp_eq_u32_e64 s3, 5, v89
	v_cndmask_b32_e64 v5, v5, v12, s7
	v_cmp_eq_u32_e64 s4, 6, v86
	v_cndmask_b32_e64 v3, v6, v16, s7
	v_cmp_eq_u32_e64 s7, 6, v89
	v_cndmask_b32_e64 v1, v1, v12, s3
	v_cndmask_b32_e64 v2, v2, v16, s3
	;; [unrolled: 1-line block ×4, first 2 shown]
	v_cmp_eq_u32_e64 s3, 7, v89
	v_cndmask_b32_e64 v1, v1, v4, s7
	v_cndmask_b32_e64 v2, v2, v8, s7
	v_cmp_eq_u32_e64 s4, 7, v86
	v_cndmask_b32_e32 v4, v21, v8, vcc_lo
	v_cndmask_b32_e64 v18, v18, v13, s5
	v_cndmask_b32_e64 v20, v20, v13, s6
	;; [unrolled: 1-line block ×8, first 2 shown]
	v_cmp_gt_u32_e32 vcc_lo, 32, v0
	v_perm_b32 v4, v2, v1, 0x5040100
	v_perm_b32 v3, v3, v5, 0x5040100
	;; [unrolled: 1-line block ×4, first 2 shown]
	s_and_b32 s2, vcc_lo, s2
	ds_store_b128 v9, v[1:4]
	s_waitcnt lgkmcnt(0)
	s_barrier
	buffer_gl0_inv
	s_and_saveexec_b32 s3, s2
	s_cbranch_execz .LBB557_2
; %bb.113:
	s_load_b64 s[0:1], s[0:1], 0x68
	v_lshlrev_b32_e32 v0, 10, v0
	v_or_b32_e32 v1, s31, v83
	s_lshl_b32 s4, s34, 6
	v_lshlrev_b32_e32 v2, 4, v84
	s_mul_i32 s2, s4, s30
	v_lshlrev_b32_e32 v3, 6, v83
	v_mul_lo_u32 v8, v1, s4
	v_and_b32_e32 v0, 0x3800, v0
	v_or_b32_e32 v1, 2, v1
	s_mul_i32 s2, s2, s8
	s_delay_alu instid0(SALU_CYCLE_1) | instskip(NEXT) | instid1(VALU_DEP_2)
	s_ashr_i32 s3, s2, 31
	v_or3_b32 v4, v0, v2, v3
	s_lshl_b64 s[2:3], s[2:3], 1
	v_mul_lo_u32 v10, v1, s4
	v_ashrrev_i32_e32 v9, 31, v8
	ds_load_b128 v[0:3], v4
	ds_load_b128 v[4:7], v4 offset:128
	s_waitcnt lgkmcnt(0)
	s_add_u32 s2, s0, s2
	s_addc_u32 s3, s1, s3
	s_lshl_b32 s0, s14, 6
	v_ashrrev_i32_e32 v11, 31, v10
	s_ashr_i32 s1, s0, 31
	v_lshlrev_b64 v[8:9], 1, v[8:9]
	s_lshl_b64 s[0:1], s[0:1], 1
	s_delay_alu instid0(SALU_CYCLE_1) | instskip(SKIP_4) | instid1(VALU_DEP_3)
	s_add_u32 s0, s2, s0
	s_addc_u32 s1, s3, s1
	v_add_co_u32 v12, vcc_lo, s0, v81
	v_add_co_ci_u32_e32 v13, vcc_lo, s1, v82, vcc_lo
	v_lshlrev_b64 v[10:11], 1, v[10:11]
	v_add_co_u32 v8, vcc_lo, v12, v8
	s_delay_alu instid0(VALU_DEP_3) | instskip(NEXT) | instid1(VALU_DEP_3)
	v_add_co_ci_u32_e32 v9, vcc_lo, v13, v9, vcc_lo
	v_add_co_u32 v10, vcc_lo, v12, v10
	s_delay_alu instid0(VALU_DEP_4)
	v_add_co_ci_u32_e32 v11, vcc_lo, v13, v11, vcc_lo
	s_clause 0x1
	global_store_b128 v[8:9], v[0:3], off
	global_store_b128 v[10:11], v[4:7], off
	s_nop 0
	s_sendmsg sendmsg(MSG_DEALLOC_VGPRS)
	s_endpgm
	.section	.rodata,"a",@progbits
	.p2align	6, 0x0
	.amdhsa_kernel _Z39paged_attention_ll4mi_QKV_mfma16_kernelI14__hip_bfloat16S0_LN4vllm18Fp8KVCacheDataTypeE0ES0_Li32ELi64ELi256ELb1ELi4EL8MFMAType0EEvPKT_PKT0_S9_ifPKiSB_SB_iPKfiiiPfSE_PS4_PT2_iSD_SD_
		.amdhsa_group_segment_fixed_size 17472
		.amdhsa_private_segment_fixed_size 0
		.amdhsa_kernarg_size 400
		.amdhsa_user_sgpr_count 13
		.amdhsa_user_sgpr_dispatch_ptr 0
		.amdhsa_user_sgpr_queue_ptr 0
		.amdhsa_user_sgpr_kernarg_segment_ptr 1
		.amdhsa_user_sgpr_dispatch_id 0
		.amdhsa_user_sgpr_private_segment_size 0
		.amdhsa_wavefront_size32 1
		.amdhsa_uses_dynamic_stack 0
		.amdhsa_enable_private_segment 0
		.amdhsa_system_sgpr_workgroup_id_x 1
		.amdhsa_system_sgpr_workgroup_id_y 1
		.amdhsa_system_sgpr_workgroup_id_z 1
		.amdhsa_system_sgpr_workgroup_info 0
		.amdhsa_system_vgpr_workitem_id 0
		.amdhsa_next_free_vgpr 142
		.amdhsa_next_free_sgpr 38
		.amdhsa_reserve_vcc 1
		.amdhsa_float_round_mode_32 0
		.amdhsa_float_round_mode_16_64 0
		.amdhsa_float_denorm_mode_32 3
		.amdhsa_float_denorm_mode_16_64 3
		.amdhsa_dx10_clamp 1
		.amdhsa_ieee_mode 1
		.amdhsa_fp16_overflow 0
		.amdhsa_workgroup_processor_mode 1
		.amdhsa_memory_ordered 1
		.amdhsa_forward_progress 0
		.amdhsa_shared_vgpr_count 0
		.amdhsa_exception_fp_ieee_invalid_op 0
		.amdhsa_exception_fp_denorm_src 0
		.amdhsa_exception_fp_ieee_div_zero 0
		.amdhsa_exception_fp_ieee_overflow 0
		.amdhsa_exception_fp_ieee_underflow 0
		.amdhsa_exception_fp_ieee_inexact 0
		.amdhsa_exception_int_div_zero 0
	.end_amdhsa_kernel
	.section	.text._Z39paged_attention_ll4mi_QKV_mfma16_kernelI14__hip_bfloat16S0_LN4vllm18Fp8KVCacheDataTypeE0ES0_Li32ELi64ELi256ELb1ELi4EL8MFMAType0EEvPKT_PKT0_S9_ifPKiSB_SB_iPKfiiiPfSE_PS4_PT2_iSD_SD_,"axG",@progbits,_Z39paged_attention_ll4mi_QKV_mfma16_kernelI14__hip_bfloat16S0_LN4vllm18Fp8KVCacheDataTypeE0ES0_Li32ELi64ELi256ELb1ELi4EL8MFMAType0EEvPKT_PKT0_S9_ifPKiSB_SB_iPKfiiiPfSE_PS4_PT2_iSD_SD_,comdat
.Lfunc_end557:
	.size	_Z39paged_attention_ll4mi_QKV_mfma16_kernelI14__hip_bfloat16S0_LN4vllm18Fp8KVCacheDataTypeE0ES0_Li32ELi64ELi256ELb1ELi4EL8MFMAType0EEvPKT_PKT0_S9_ifPKiSB_SB_iPKfiiiPfSE_PS4_PT2_iSD_SD_, .Lfunc_end557-_Z39paged_attention_ll4mi_QKV_mfma16_kernelI14__hip_bfloat16S0_LN4vllm18Fp8KVCacheDataTypeE0ES0_Li32ELi64ELi256ELb1ELi4EL8MFMAType0EEvPKT_PKT0_S9_ifPKiSB_SB_iPKfiiiPfSE_PS4_PT2_iSD_SD_
                                        ; -- End function
	.section	.AMDGPU.csdata,"",@progbits
; Kernel info:
; codeLenInByte = 9332
; NumSgprs: 40
; NumVgprs: 142
; ScratchSize: 0
; MemoryBound: 0
; FloatMode: 240
; IeeeMode: 1
; LDSByteSize: 17472 bytes/workgroup (compile time only)
; SGPRBlocks: 4
; VGPRBlocks: 17
; NumSGPRsForWavesPerEU: 40
; NumVGPRsForWavesPerEU: 142
; Occupancy: 10
; WaveLimiterHint : 1
; COMPUTE_PGM_RSRC2:SCRATCH_EN: 0
; COMPUTE_PGM_RSRC2:USER_SGPR: 13
; COMPUTE_PGM_RSRC2:TRAP_HANDLER: 0
; COMPUTE_PGM_RSRC2:TGID_X_EN: 1
; COMPUTE_PGM_RSRC2:TGID_Y_EN: 1
; COMPUTE_PGM_RSRC2:TGID_Z_EN: 1
; COMPUTE_PGM_RSRC2:TIDIG_COMP_CNT: 0
	.section	.text._Z38paged_attention_ll4mi_QKV_mfma4_kernelI14__hip_bfloat16S0_LN4vllm18Fp8KVCacheDataTypeE0ES0_Li32ELi64ELi256ELb0ELi1EEvPKT_PKT0_S8_ifPKiSA_SA_iPKfiiiPfSD_PS3_PT2_iSC_SC_,"axG",@progbits,_Z38paged_attention_ll4mi_QKV_mfma4_kernelI14__hip_bfloat16S0_LN4vllm18Fp8KVCacheDataTypeE0ES0_Li32ELi64ELi256ELb0ELi1EEvPKT_PKT0_S8_ifPKiSA_SA_iPKfiiiPfSD_PS3_PT2_iSC_SC_,comdat
	.protected	_Z38paged_attention_ll4mi_QKV_mfma4_kernelI14__hip_bfloat16S0_LN4vllm18Fp8KVCacheDataTypeE0ES0_Li32ELi64ELi256ELb0ELi1EEvPKT_PKT0_S8_ifPKiSA_SA_iPKfiiiPfSD_PS3_PT2_iSC_SC_ ; -- Begin function _Z38paged_attention_ll4mi_QKV_mfma4_kernelI14__hip_bfloat16S0_LN4vllm18Fp8KVCacheDataTypeE0ES0_Li32ELi64ELi256ELb0ELi1EEvPKT_PKT0_S8_ifPKiSA_SA_iPKfiiiPfSD_PS3_PT2_iSC_SC_
	.globl	_Z38paged_attention_ll4mi_QKV_mfma4_kernelI14__hip_bfloat16S0_LN4vllm18Fp8KVCacheDataTypeE0ES0_Li32ELi64ELi256ELb0ELi1EEvPKT_PKT0_S8_ifPKiSA_SA_iPKfiiiPfSD_PS3_PT2_iSC_SC_
	.p2align	8
	.type	_Z38paged_attention_ll4mi_QKV_mfma4_kernelI14__hip_bfloat16S0_LN4vllm18Fp8KVCacheDataTypeE0ES0_Li32ELi64ELi256ELb0ELi1EEvPKT_PKT0_S8_ifPKiSA_SA_iPKfiiiPfSD_PS3_PT2_iSC_SC_,@function
_Z38paged_attention_ll4mi_QKV_mfma4_kernelI14__hip_bfloat16S0_LN4vllm18Fp8KVCacheDataTypeE0ES0_Li32ELi64ELi256ELb0ELi1EEvPKT_PKT0_S8_ifPKiSA_SA_iPKfiiiPfSD_PS3_PT2_iSC_SC_: ; @_Z38paged_attention_ll4mi_QKV_mfma4_kernelI14__hip_bfloat16S0_LN4vllm18Fp8KVCacheDataTypeE0ES0_Li32ELi64ELi256ELb0ELi1EEvPKT_PKT0_S8_ifPKiSA_SA_iPKfiiiPfSD_PS3_PT2_iSC_SC_
; %bb.0:
	s_add_u32 s8, s0, 0x90
	s_addc_u32 s9, s1, 0
	s_getpc_b64 s[0:1]
	s_add_u32 s0, s0, __PRETTY_FUNCTION__._Z38paged_attention_ll4mi_QKV_mfma4_kernelI14__hip_bfloat16S0_LN4vllm18Fp8KVCacheDataTypeE0ES0_Li32ELi64ELi256ELb0ELi1EEvPKT_PKT0_S8_ifPKiSA_SA_iPKfiiiPfSD_PS3_PT2_iSC_SC_@rel32@lo+4
	s_addc_u32 s1, s1, __PRETTY_FUNCTION__._Z38paged_attention_ll4mi_QKV_mfma4_kernelI14__hip_bfloat16S0_LN4vllm18Fp8KVCacheDataTypeE0ES0_Li32ELi64ELi256ELb0ELi1EEvPKT_PKT0_S8_ifPKiSA_SA_iPKfiiiPfSD_PS3_PT2_iSC_SC_@rel32@hi+12
	s_delay_alu instid0(SALU_CYCLE_1) | instskip(SKIP_4) | instid1(SALU_CYCLE_1)
	v_dual_mov_b32 v0, s0 :: v_dual_mov_b32 v1, s1
	s_mov_b32 s32, 0
	s_getpc_b64 s[2:3]
	s_add_u32 s2, s2, __assert_fail@rel32@lo+4
	s_addc_u32 s3, s3, __assert_fail@rel32@hi+12
	s_swappc_b64 s[30:31], s[2:3]
	.section	.rodata,"a",@progbits
	.p2align	6, 0x0
	.amdhsa_kernel _Z38paged_attention_ll4mi_QKV_mfma4_kernelI14__hip_bfloat16S0_LN4vllm18Fp8KVCacheDataTypeE0ES0_Li32ELi64ELi256ELb0ELi1EEvPKT_PKT0_S8_ifPKiSA_SA_iPKfiiiPfSD_PS3_PT2_iSC_SC_
		.amdhsa_group_segment_fixed_size 0
		.amdhsa_private_segment_fixed_size 64
		.amdhsa_kernarg_size 400
		.amdhsa_user_sgpr_count 15
		.amdhsa_user_sgpr_dispatch_ptr 0
		.amdhsa_user_sgpr_queue_ptr 0
		.amdhsa_user_sgpr_kernarg_segment_ptr 1
		.amdhsa_user_sgpr_dispatch_id 0
		.amdhsa_user_sgpr_private_segment_size 0
		.amdhsa_wavefront_size32 1
		.amdhsa_uses_dynamic_stack 0
		.amdhsa_enable_private_segment 1
		.amdhsa_system_sgpr_workgroup_id_x 1
		.amdhsa_system_sgpr_workgroup_id_y 0
		.amdhsa_system_sgpr_workgroup_id_z 0
		.amdhsa_system_sgpr_workgroup_info 0
		.amdhsa_system_vgpr_workitem_id 0
		.amdhsa_next_free_vgpr 41
		.amdhsa_next_free_sgpr 34
		.amdhsa_reserve_vcc 1
		.amdhsa_float_round_mode_32 0
		.amdhsa_float_round_mode_16_64 0
		.amdhsa_float_denorm_mode_32 3
		.amdhsa_float_denorm_mode_16_64 3
		.amdhsa_dx10_clamp 1
		.amdhsa_ieee_mode 1
		.amdhsa_fp16_overflow 0
		.amdhsa_workgroup_processor_mode 1
		.amdhsa_memory_ordered 1
		.amdhsa_forward_progress 0
		.amdhsa_shared_vgpr_count 0
		.amdhsa_exception_fp_ieee_invalid_op 0
		.amdhsa_exception_fp_denorm_src 0
		.amdhsa_exception_fp_ieee_div_zero 0
		.amdhsa_exception_fp_ieee_overflow 0
		.amdhsa_exception_fp_ieee_underflow 0
		.amdhsa_exception_fp_ieee_inexact 0
		.amdhsa_exception_int_div_zero 0
	.end_amdhsa_kernel
	.section	.text._Z38paged_attention_ll4mi_QKV_mfma4_kernelI14__hip_bfloat16S0_LN4vllm18Fp8KVCacheDataTypeE0ES0_Li32ELi64ELi256ELb0ELi1EEvPKT_PKT0_S8_ifPKiSA_SA_iPKfiiiPfSD_PS3_PT2_iSC_SC_,"axG",@progbits,_Z38paged_attention_ll4mi_QKV_mfma4_kernelI14__hip_bfloat16S0_LN4vllm18Fp8KVCacheDataTypeE0ES0_Li32ELi64ELi256ELb0ELi1EEvPKT_PKT0_S8_ifPKiSA_SA_iPKfiiiPfSD_PS3_PT2_iSC_SC_,comdat
.Lfunc_end558:
	.size	_Z38paged_attention_ll4mi_QKV_mfma4_kernelI14__hip_bfloat16S0_LN4vllm18Fp8KVCacheDataTypeE0ES0_Li32ELi64ELi256ELb0ELi1EEvPKT_PKT0_S8_ifPKiSA_SA_iPKfiiiPfSD_PS3_PT2_iSC_SC_, .Lfunc_end558-_Z38paged_attention_ll4mi_QKV_mfma4_kernelI14__hip_bfloat16S0_LN4vllm18Fp8KVCacheDataTypeE0ES0_Li32ELi64ELi256ELb0ELi1EEvPKT_PKT0_S8_ifPKiSA_SA_iPKfiiiPfSD_PS3_PT2_iSC_SC_
                                        ; -- End function
	.section	.AMDGPU.csdata,"",@progbits
; Kernel info:
; codeLenInByte = 72
; NumSgprs: 36
; NumVgprs: 41
; ScratchSize: 64
; MemoryBound: 0
; FloatMode: 240
; IeeeMode: 1
; LDSByteSize: 0 bytes/workgroup (compile time only)
; SGPRBlocks: 4
; VGPRBlocks: 5
; NumSGPRsForWavesPerEU: 36
; NumVGPRsForWavesPerEU: 41
; Occupancy: 16
; WaveLimiterHint : 1
; COMPUTE_PGM_RSRC2:SCRATCH_EN: 1
; COMPUTE_PGM_RSRC2:USER_SGPR: 15
; COMPUTE_PGM_RSRC2:TRAP_HANDLER: 0
; COMPUTE_PGM_RSRC2:TGID_X_EN: 1
; COMPUTE_PGM_RSRC2:TGID_Y_EN: 0
; COMPUTE_PGM_RSRC2:TGID_Z_EN: 0
; COMPUTE_PGM_RSRC2:TIDIG_COMP_CNT: 0
	.section	.text._Z38paged_attention_ll4mi_QKV_mfma4_kernelI14__hip_bfloat16S0_LN4vllm18Fp8KVCacheDataTypeE0ES0_Li32ELi64ELi256ELb0ELi2EEvPKT_PKT0_S8_ifPKiSA_SA_iPKfiiiPfSD_PS3_PT2_iSC_SC_,"axG",@progbits,_Z38paged_attention_ll4mi_QKV_mfma4_kernelI14__hip_bfloat16S0_LN4vllm18Fp8KVCacheDataTypeE0ES0_Li32ELi64ELi256ELb0ELi2EEvPKT_PKT0_S8_ifPKiSA_SA_iPKfiiiPfSD_PS3_PT2_iSC_SC_,comdat
	.protected	_Z38paged_attention_ll4mi_QKV_mfma4_kernelI14__hip_bfloat16S0_LN4vllm18Fp8KVCacheDataTypeE0ES0_Li32ELi64ELi256ELb0ELi2EEvPKT_PKT0_S8_ifPKiSA_SA_iPKfiiiPfSD_PS3_PT2_iSC_SC_ ; -- Begin function _Z38paged_attention_ll4mi_QKV_mfma4_kernelI14__hip_bfloat16S0_LN4vllm18Fp8KVCacheDataTypeE0ES0_Li32ELi64ELi256ELb0ELi2EEvPKT_PKT0_S8_ifPKiSA_SA_iPKfiiiPfSD_PS3_PT2_iSC_SC_
	.globl	_Z38paged_attention_ll4mi_QKV_mfma4_kernelI14__hip_bfloat16S0_LN4vllm18Fp8KVCacheDataTypeE0ES0_Li32ELi64ELi256ELb0ELi2EEvPKT_PKT0_S8_ifPKiSA_SA_iPKfiiiPfSD_PS3_PT2_iSC_SC_
	.p2align	8
	.type	_Z38paged_attention_ll4mi_QKV_mfma4_kernelI14__hip_bfloat16S0_LN4vllm18Fp8KVCacheDataTypeE0ES0_Li32ELi64ELi256ELb0ELi2EEvPKT_PKT0_S8_ifPKiSA_SA_iPKfiiiPfSD_PS3_PT2_iSC_SC_,@function
_Z38paged_attention_ll4mi_QKV_mfma4_kernelI14__hip_bfloat16S0_LN4vllm18Fp8KVCacheDataTypeE0ES0_Li32ELi64ELi256ELb0ELi2EEvPKT_PKT0_S8_ifPKiSA_SA_iPKfiiiPfSD_PS3_PT2_iSC_SC_: ; @_Z38paged_attention_ll4mi_QKV_mfma4_kernelI14__hip_bfloat16S0_LN4vllm18Fp8KVCacheDataTypeE0ES0_Li32ELi64ELi256ELb0ELi2EEvPKT_PKT0_S8_ifPKiSA_SA_iPKfiiiPfSD_PS3_PT2_iSC_SC_
; %bb.0:
	s_add_u32 s8, s0, 0x90
	s_addc_u32 s9, s1, 0
	s_getpc_b64 s[0:1]
	s_add_u32 s0, s0, __PRETTY_FUNCTION__._Z38paged_attention_ll4mi_QKV_mfma4_kernelI14__hip_bfloat16S0_LN4vllm18Fp8KVCacheDataTypeE0ES0_Li32ELi64ELi256ELb0ELi2EEvPKT_PKT0_S8_ifPKiSA_SA_iPKfiiiPfSD_PS3_PT2_iSC_SC_@rel32@lo+4
	s_addc_u32 s1, s1, __PRETTY_FUNCTION__._Z38paged_attention_ll4mi_QKV_mfma4_kernelI14__hip_bfloat16S0_LN4vllm18Fp8KVCacheDataTypeE0ES0_Li32ELi64ELi256ELb0ELi2EEvPKT_PKT0_S8_ifPKiSA_SA_iPKfiiiPfSD_PS3_PT2_iSC_SC_@rel32@hi+12
	s_delay_alu instid0(SALU_CYCLE_1) | instskip(SKIP_4) | instid1(SALU_CYCLE_1)
	v_dual_mov_b32 v0, s0 :: v_dual_mov_b32 v1, s1
	s_mov_b32 s32, 0
	s_getpc_b64 s[2:3]
	s_add_u32 s2, s2, __assert_fail@rel32@lo+4
	s_addc_u32 s3, s3, __assert_fail@rel32@hi+12
	s_swappc_b64 s[30:31], s[2:3]
	.section	.rodata,"a",@progbits
	.p2align	6, 0x0
	.amdhsa_kernel _Z38paged_attention_ll4mi_QKV_mfma4_kernelI14__hip_bfloat16S0_LN4vllm18Fp8KVCacheDataTypeE0ES0_Li32ELi64ELi256ELb0ELi2EEvPKT_PKT0_S8_ifPKiSA_SA_iPKfiiiPfSD_PS3_PT2_iSC_SC_
		.amdhsa_group_segment_fixed_size 0
		.amdhsa_private_segment_fixed_size 64
		.amdhsa_kernarg_size 400
		.amdhsa_user_sgpr_count 15
		.amdhsa_user_sgpr_dispatch_ptr 0
		.amdhsa_user_sgpr_queue_ptr 0
		.amdhsa_user_sgpr_kernarg_segment_ptr 1
		.amdhsa_user_sgpr_dispatch_id 0
		.amdhsa_user_sgpr_private_segment_size 0
		.amdhsa_wavefront_size32 1
		.amdhsa_uses_dynamic_stack 0
		.amdhsa_enable_private_segment 1
		.amdhsa_system_sgpr_workgroup_id_x 1
		.amdhsa_system_sgpr_workgroup_id_y 0
		.amdhsa_system_sgpr_workgroup_id_z 0
		.amdhsa_system_sgpr_workgroup_info 0
		.amdhsa_system_vgpr_workitem_id 0
		.amdhsa_next_free_vgpr 41
		.amdhsa_next_free_sgpr 34
		.amdhsa_reserve_vcc 1
		.amdhsa_float_round_mode_32 0
		.amdhsa_float_round_mode_16_64 0
		.amdhsa_float_denorm_mode_32 3
		.amdhsa_float_denorm_mode_16_64 3
		.amdhsa_dx10_clamp 1
		.amdhsa_ieee_mode 1
		.amdhsa_fp16_overflow 0
		.amdhsa_workgroup_processor_mode 1
		.amdhsa_memory_ordered 1
		.amdhsa_forward_progress 0
		.amdhsa_shared_vgpr_count 0
		.amdhsa_exception_fp_ieee_invalid_op 0
		.amdhsa_exception_fp_denorm_src 0
		.amdhsa_exception_fp_ieee_div_zero 0
		.amdhsa_exception_fp_ieee_overflow 0
		.amdhsa_exception_fp_ieee_underflow 0
		.amdhsa_exception_fp_ieee_inexact 0
		.amdhsa_exception_int_div_zero 0
	.end_amdhsa_kernel
	.section	.text._Z38paged_attention_ll4mi_QKV_mfma4_kernelI14__hip_bfloat16S0_LN4vllm18Fp8KVCacheDataTypeE0ES0_Li32ELi64ELi256ELb0ELi2EEvPKT_PKT0_S8_ifPKiSA_SA_iPKfiiiPfSD_PS3_PT2_iSC_SC_,"axG",@progbits,_Z38paged_attention_ll4mi_QKV_mfma4_kernelI14__hip_bfloat16S0_LN4vllm18Fp8KVCacheDataTypeE0ES0_Li32ELi64ELi256ELb0ELi2EEvPKT_PKT0_S8_ifPKiSA_SA_iPKfiiiPfSD_PS3_PT2_iSC_SC_,comdat
.Lfunc_end559:
	.size	_Z38paged_attention_ll4mi_QKV_mfma4_kernelI14__hip_bfloat16S0_LN4vllm18Fp8KVCacheDataTypeE0ES0_Li32ELi64ELi256ELb0ELi2EEvPKT_PKT0_S8_ifPKiSA_SA_iPKfiiiPfSD_PS3_PT2_iSC_SC_, .Lfunc_end559-_Z38paged_attention_ll4mi_QKV_mfma4_kernelI14__hip_bfloat16S0_LN4vllm18Fp8KVCacheDataTypeE0ES0_Li32ELi64ELi256ELb0ELi2EEvPKT_PKT0_S8_ifPKiSA_SA_iPKfiiiPfSD_PS3_PT2_iSC_SC_
                                        ; -- End function
	.section	.AMDGPU.csdata,"",@progbits
; Kernel info:
; codeLenInByte = 72
; NumSgprs: 36
; NumVgprs: 41
; ScratchSize: 64
; MemoryBound: 0
; FloatMode: 240
; IeeeMode: 1
; LDSByteSize: 0 bytes/workgroup (compile time only)
; SGPRBlocks: 4
; VGPRBlocks: 5
; NumSGPRsForWavesPerEU: 36
; NumVGPRsForWavesPerEU: 41
; Occupancy: 16
; WaveLimiterHint : 1
; COMPUTE_PGM_RSRC2:SCRATCH_EN: 1
; COMPUTE_PGM_RSRC2:USER_SGPR: 15
; COMPUTE_PGM_RSRC2:TRAP_HANDLER: 0
; COMPUTE_PGM_RSRC2:TGID_X_EN: 1
; COMPUTE_PGM_RSRC2:TGID_Y_EN: 0
; COMPUTE_PGM_RSRC2:TGID_Z_EN: 0
; COMPUTE_PGM_RSRC2:TIDIG_COMP_CNT: 0
	.section	.text._Z38paged_attention_ll4mi_QKV_mfma4_kernelI14__hip_bfloat16S0_LN4vllm18Fp8KVCacheDataTypeE0ES0_Li32ELi64ELi256ELb0ELi3EEvPKT_PKT0_S8_ifPKiSA_SA_iPKfiiiPfSD_PS3_PT2_iSC_SC_,"axG",@progbits,_Z38paged_attention_ll4mi_QKV_mfma4_kernelI14__hip_bfloat16S0_LN4vllm18Fp8KVCacheDataTypeE0ES0_Li32ELi64ELi256ELb0ELi3EEvPKT_PKT0_S8_ifPKiSA_SA_iPKfiiiPfSD_PS3_PT2_iSC_SC_,comdat
	.protected	_Z38paged_attention_ll4mi_QKV_mfma4_kernelI14__hip_bfloat16S0_LN4vllm18Fp8KVCacheDataTypeE0ES0_Li32ELi64ELi256ELb0ELi3EEvPKT_PKT0_S8_ifPKiSA_SA_iPKfiiiPfSD_PS3_PT2_iSC_SC_ ; -- Begin function _Z38paged_attention_ll4mi_QKV_mfma4_kernelI14__hip_bfloat16S0_LN4vllm18Fp8KVCacheDataTypeE0ES0_Li32ELi64ELi256ELb0ELi3EEvPKT_PKT0_S8_ifPKiSA_SA_iPKfiiiPfSD_PS3_PT2_iSC_SC_
	.globl	_Z38paged_attention_ll4mi_QKV_mfma4_kernelI14__hip_bfloat16S0_LN4vllm18Fp8KVCacheDataTypeE0ES0_Li32ELi64ELi256ELb0ELi3EEvPKT_PKT0_S8_ifPKiSA_SA_iPKfiiiPfSD_PS3_PT2_iSC_SC_
	.p2align	8
	.type	_Z38paged_attention_ll4mi_QKV_mfma4_kernelI14__hip_bfloat16S0_LN4vllm18Fp8KVCacheDataTypeE0ES0_Li32ELi64ELi256ELb0ELi3EEvPKT_PKT0_S8_ifPKiSA_SA_iPKfiiiPfSD_PS3_PT2_iSC_SC_,@function
_Z38paged_attention_ll4mi_QKV_mfma4_kernelI14__hip_bfloat16S0_LN4vllm18Fp8KVCacheDataTypeE0ES0_Li32ELi64ELi256ELb0ELi3EEvPKT_PKT0_S8_ifPKiSA_SA_iPKfiiiPfSD_PS3_PT2_iSC_SC_: ; @_Z38paged_attention_ll4mi_QKV_mfma4_kernelI14__hip_bfloat16S0_LN4vllm18Fp8KVCacheDataTypeE0ES0_Li32ELi64ELi256ELb0ELi3EEvPKT_PKT0_S8_ifPKiSA_SA_iPKfiiiPfSD_PS3_PT2_iSC_SC_
; %bb.0:
	s_add_u32 s8, s0, 0x90
	s_addc_u32 s9, s1, 0
	s_getpc_b64 s[0:1]
	s_add_u32 s0, s0, __PRETTY_FUNCTION__._Z38paged_attention_ll4mi_QKV_mfma4_kernelI14__hip_bfloat16S0_LN4vllm18Fp8KVCacheDataTypeE0ES0_Li32ELi64ELi256ELb0ELi3EEvPKT_PKT0_S8_ifPKiSA_SA_iPKfiiiPfSD_PS3_PT2_iSC_SC_@rel32@lo+4
	s_addc_u32 s1, s1, __PRETTY_FUNCTION__._Z38paged_attention_ll4mi_QKV_mfma4_kernelI14__hip_bfloat16S0_LN4vllm18Fp8KVCacheDataTypeE0ES0_Li32ELi64ELi256ELb0ELi3EEvPKT_PKT0_S8_ifPKiSA_SA_iPKfiiiPfSD_PS3_PT2_iSC_SC_@rel32@hi+12
	s_delay_alu instid0(SALU_CYCLE_1) | instskip(SKIP_4) | instid1(SALU_CYCLE_1)
	v_dual_mov_b32 v0, s0 :: v_dual_mov_b32 v1, s1
	s_mov_b32 s32, 0
	s_getpc_b64 s[2:3]
	s_add_u32 s2, s2, __assert_fail@rel32@lo+4
	s_addc_u32 s3, s3, __assert_fail@rel32@hi+12
	s_swappc_b64 s[30:31], s[2:3]
	.section	.rodata,"a",@progbits
	.p2align	6, 0x0
	.amdhsa_kernel _Z38paged_attention_ll4mi_QKV_mfma4_kernelI14__hip_bfloat16S0_LN4vllm18Fp8KVCacheDataTypeE0ES0_Li32ELi64ELi256ELb0ELi3EEvPKT_PKT0_S8_ifPKiSA_SA_iPKfiiiPfSD_PS3_PT2_iSC_SC_
		.amdhsa_group_segment_fixed_size 0
		.amdhsa_private_segment_fixed_size 64
		.amdhsa_kernarg_size 400
		.amdhsa_user_sgpr_count 15
		.amdhsa_user_sgpr_dispatch_ptr 0
		.amdhsa_user_sgpr_queue_ptr 0
		.amdhsa_user_sgpr_kernarg_segment_ptr 1
		.amdhsa_user_sgpr_dispatch_id 0
		.amdhsa_user_sgpr_private_segment_size 0
		.amdhsa_wavefront_size32 1
		.amdhsa_uses_dynamic_stack 0
		.amdhsa_enable_private_segment 1
		.amdhsa_system_sgpr_workgroup_id_x 1
		.amdhsa_system_sgpr_workgroup_id_y 0
		.amdhsa_system_sgpr_workgroup_id_z 0
		.amdhsa_system_sgpr_workgroup_info 0
		.amdhsa_system_vgpr_workitem_id 0
		.amdhsa_next_free_vgpr 41
		.amdhsa_next_free_sgpr 34
		.amdhsa_reserve_vcc 1
		.amdhsa_float_round_mode_32 0
		.amdhsa_float_round_mode_16_64 0
		.amdhsa_float_denorm_mode_32 3
		.amdhsa_float_denorm_mode_16_64 3
		.amdhsa_dx10_clamp 1
		.amdhsa_ieee_mode 1
		.amdhsa_fp16_overflow 0
		.amdhsa_workgroup_processor_mode 1
		.amdhsa_memory_ordered 1
		.amdhsa_forward_progress 0
		.amdhsa_shared_vgpr_count 0
		.amdhsa_exception_fp_ieee_invalid_op 0
		.amdhsa_exception_fp_denorm_src 0
		.amdhsa_exception_fp_ieee_div_zero 0
		.amdhsa_exception_fp_ieee_overflow 0
		.amdhsa_exception_fp_ieee_underflow 0
		.amdhsa_exception_fp_ieee_inexact 0
		.amdhsa_exception_int_div_zero 0
	.end_amdhsa_kernel
	.section	.text._Z38paged_attention_ll4mi_QKV_mfma4_kernelI14__hip_bfloat16S0_LN4vllm18Fp8KVCacheDataTypeE0ES0_Li32ELi64ELi256ELb0ELi3EEvPKT_PKT0_S8_ifPKiSA_SA_iPKfiiiPfSD_PS3_PT2_iSC_SC_,"axG",@progbits,_Z38paged_attention_ll4mi_QKV_mfma4_kernelI14__hip_bfloat16S0_LN4vllm18Fp8KVCacheDataTypeE0ES0_Li32ELi64ELi256ELb0ELi3EEvPKT_PKT0_S8_ifPKiSA_SA_iPKfiiiPfSD_PS3_PT2_iSC_SC_,comdat
.Lfunc_end560:
	.size	_Z38paged_attention_ll4mi_QKV_mfma4_kernelI14__hip_bfloat16S0_LN4vllm18Fp8KVCacheDataTypeE0ES0_Li32ELi64ELi256ELb0ELi3EEvPKT_PKT0_S8_ifPKiSA_SA_iPKfiiiPfSD_PS3_PT2_iSC_SC_, .Lfunc_end560-_Z38paged_attention_ll4mi_QKV_mfma4_kernelI14__hip_bfloat16S0_LN4vllm18Fp8KVCacheDataTypeE0ES0_Li32ELi64ELi256ELb0ELi3EEvPKT_PKT0_S8_ifPKiSA_SA_iPKfiiiPfSD_PS3_PT2_iSC_SC_
                                        ; -- End function
	.section	.AMDGPU.csdata,"",@progbits
; Kernel info:
; codeLenInByte = 72
; NumSgprs: 36
; NumVgprs: 41
; ScratchSize: 64
; MemoryBound: 0
; FloatMode: 240
; IeeeMode: 1
; LDSByteSize: 0 bytes/workgroup (compile time only)
; SGPRBlocks: 4
; VGPRBlocks: 5
; NumSGPRsForWavesPerEU: 36
; NumVGPRsForWavesPerEU: 41
; Occupancy: 16
; WaveLimiterHint : 1
; COMPUTE_PGM_RSRC2:SCRATCH_EN: 1
; COMPUTE_PGM_RSRC2:USER_SGPR: 15
; COMPUTE_PGM_RSRC2:TRAP_HANDLER: 0
; COMPUTE_PGM_RSRC2:TGID_X_EN: 1
; COMPUTE_PGM_RSRC2:TGID_Y_EN: 0
; COMPUTE_PGM_RSRC2:TGID_Z_EN: 0
; COMPUTE_PGM_RSRC2:TIDIG_COMP_CNT: 0
	.section	.text._Z38paged_attention_ll4mi_QKV_mfma4_kernelI14__hip_bfloat16S0_LN4vllm18Fp8KVCacheDataTypeE0ES0_Li32ELi64ELi256ELb0ELi4EEvPKT_PKT0_S8_ifPKiSA_SA_iPKfiiiPfSD_PS3_PT2_iSC_SC_,"axG",@progbits,_Z38paged_attention_ll4mi_QKV_mfma4_kernelI14__hip_bfloat16S0_LN4vllm18Fp8KVCacheDataTypeE0ES0_Li32ELi64ELi256ELb0ELi4EEvPKT_PKT0_S8_ifPKiSA_SA_iPKfiiiPfSD_PS3_PT2_iSC_SC_,comdat
	.protected	_Z38paged_attention_ll4mi_QKV_mfma4_kernelI14__hip_bfloat16S0_LN4vllm18Fp8KVCacheDataTypeE0ES0_Li32ELi64ELi256ELb0ELi4EEvPKT_PKT0_S8_ifPKiSA_SA_iPKfiiiPfSD_PS3_PT2_iSC_SC_ ; -- Begin function _Z38paged_attention_ll4mi_QKV_mfma4_kernelI14__hip_bfloat16S0_LN4vllm18Fp8KVCacheDataTypeE0ES0_Li32ELi64ELi256ELb0ELi4EEvPKT_PKT0_S8_ifPKiSA_SA_iPKfiiiPfSD_PS3_PT2_iSC_SC_
	.globl	_Z38paged_attention_ll4mi_QKV_mfma4_kernelI14__hip_bfloat16S0_LN4vllm18Fp8KVCacheDataTypeE0ES0_Li32ELi64ELi256ELb0ELi4EEvPKT_PKT0_S8_ifPKiSA_SA_iPKfiiiPfSD_PS3_PT2_iSC_SC_
	.p2align	8
	.type	_Z38paged_attention_ll4mi_QKV_mfma4_kernelI14__hip_bfloat16S0_LN4vllm18Fp8KVCacheDataTypeE0ES0_Li32ELi64ELi256ELb0ELi4EEvPKT_PKT0_S8_ifPKiSA_SA_iPKfiiiPfSD_PS3_PT2_iSC_SC_,@function
_Z38paged_attention_ll4mi_QKV_mfma4_kernelI14__hip_bfloat16S0_LN4vllm18Fp8KVCacheDataTypeE0ES0_Li32ELi64ELi256ELb0ELi4EEvPKT_PKT0_S8_ifPKiSA_SA_iPKfiiiPfSD_PS3_PT2_iSC_SC_: ; @_Z38paged_attention_ll4mi_QKV_mfma4_kernelI14__hip_bfloat16S0_LN4vllm18Fp8KVCacheDataTypeE0ES0_Li32ELi64ELi256ELb0ELi4EEvPKT_PKT0_S8_ifPKiSA_SA_iPKfiiiPfSD_PS3_PT2_iSC_SC_
; %bb.0:
	s_add_u32 s8, s0, 0x90
	s_addc_u32 s9, s1, 0
	s_getpc_b64 s[0:1]
	s_add_u32 s0, s0, __PRETTY_FUNCTION__._Z38paged_attention_ll4mi_QKV_mfma4_kernelI14__hip_bfloat16S0_LN4vllm18Fp8KVCacheDataTypeE0ES0_Li32ELi64ELi256ELb0ELi4EEvPKT_PKT0_S8_ifPKiSA_SA_iPKfiiiPfSD_PS3_PT2_iSC_SC_@rel32@lo+4
	s_addc_u32 s1, s1, __PRETTY_FUNCTION__._Z38paged_attention_ll4mi_QKV_mfma4_kernelI14__hip_bfloat16S0_LN4vllm18Fp8KVCacheDataTypeE0ES0_Li32ELi64ELi256ELb0ELi4EEvPKT_PKT0_S8_ifPKiSA_SA_iPKfiiiPfSD_PS3_PT2_iSC_SC_@rel32@hi+12
	s_delay_alu instid0(SALU_CYCLE_1) | instskip(SKIP_4) | instid1(SALU_CYCLE_1)
	v_dual_mov_b32 v0, s0 :: v_dual_mov_b32 v1, s1
	s_mov_b32 s32, 0
	s_getpc_b64 s[2:3]
	s_add_u32 s2, s2, __assert_fail@rel32@lo+4
	s_addc_u32 s3, s3, __assert_fail@rel32@hi+12
	s_swappc_b64 s[30:31], s[2:3]
	.section	.rodata,"a",@progbits
	.p2align	6, 0x0
	.amdhsa_kernel _Z38paged_attention_ll4mi_QKV_mfma4_kernelI14__hip_bfloat16S0_LN4vllm18Fp8KVCacheDataTypeE0ES0_Li32ELi64ELi256ELb0ELi4EEvPKT_PKT0_S8_ifPKiSA_SA_iPKfiiiPfSD_PS3_PT2_iSC_SC_
		.amdhsa_group_segment_fixed_size 0
		.amdhsa_private_segment_fixed_size 64
		.amdhsa_kernarg_size 400
		.amdhsa_user_sgpr_count 15
		.amdhsa_user_sgpr_dispatch_ptr 0
		.amdhsa_user_sgpr_queue_ptr 0
		.amdhsa_user_sgpr_kernarg_segment_ptr 1
		.amdhsa_user_sgpr_dispatch_id 0
		.amdhsa_user_sgpr_private_segment_size 0
		.amdhsa_wavefront_size32 1
		.amdhsa_uses_dynamic_stack 0
		.amdhsa_enable_private_segment 1
		.amdhsa_system_sgpr_workgroup_id_x 1
		.amdhsa_system_sgpr_workgroup_id_y 0
		.amdhsa_system_sgpr_workgroup_id_z 0
		.amdhsa_system_sgpr_workgroup_info 0
		.amdhsa_system_vgpr_workitem_id 0
		.amdhsa_next_free_vgpr 41
		.amdhsa_next_free_sgpr 34
		.amdhsa_reserve_vcc 1
		.amdhsa_float_round_mode_32 0
		.amdhsa_float_round_mode_16_64 0
		.amdhsa_float_denorm_mode_32 3
		.amdhsa_float_denorm_mode_16_64 3
		.amdhsa_dx10_clamp 1
		.amdhsa_ieee_mode 1
		.amdhsa_fp16_overflow 0
		.amdhsa_workgroup_processor_mode 1
		.amdhsa_memory_ordered 1
		.amdhsa_forward_progress 0
		.amdhsa_shared_vgpr_count 0
		.amdhsa_exception_fp_ieee_invalid_op 0
		.amdhsa_exception_fp_denorm_src 0
		.amdhsa_exception_fp_ieee_div_zero 0
		.amdhsa_exception_fp_ieee_overflow 0
		.amdhsa_exception_fp_ieee_underflow 0
		.amdhsa_exception_fp_ieee_inexact 0
		.amdhsa_exception_int_div_zero 0
	.end_amdhsa_kernel
	.section	.text._Z38paged_attention_ll4mi_QKV_mfma4_kernelI14__hip_bfloat16S0_LN4vllm18Fp8KVCacheDataTypeE0ES0_Li32ELi64ELi256ELb0ELi4EEvPKT_PKT0_S8_ifPKiSA_SA_iPKfiiiPfSD_PS3_PT2_iSC_SC_,"axG",@progbits,_Z38paged_attention_ll4mi_QKV_mfma4_kernelI14__hip_bfloat16S0_LN4vllm18Fp8KVCacheDataTypeE0ES0_Li32ELi64ELi256ELb0ELi4EEvPKT_PKT0_S8_ifPKiSA_SA_iPKfiiiPfSD_PS3_PT2_iSC_SC_,comdat
.Lfunc_end561:
	.size	_Z38paged_attention_ll4mi_QKV_mfma4_kernelI14__hip_bfloat16S0_LN4vllm18Fp8KVCacheDataTypeE0ES0_Li32ELi64ELi256ELb0ELi4EEvPKT_PKT0_S8_ifPKiSA_SA_iPKfiiiPfSD_PS3_PT2_iSC_SC_, .Lfunc_end561-_Z38paged_attention_ll4mi_QKV_mfma4_kernelI14__hip_bfloat16S0_LN4vllm18Fp8KVCacheDataTypeE0ES0_Li32ELi64ELi256ELb0ELi4EEvPKT_PKT0_S8_ifPKiSA_SA_iPKfiiiPfSD_PS3_PT2_iSC_SC_
                                        ; -- End function
	.section	.AMDGPU.csdata,"",@progbits
; Kernel info:
; codeLenInByte = 72
; NumSgprs: 36
; NumVgprs: 41
; ScratchSize: 64
; MemoryBound: 0
; FloatMode: 240
; IeeeMode: 1
; LDSByteSize: 0 bytes/workgroup (compile time only)
; SGPRBlocks: 4
; VGPRBlocks: 5
; NumSGPRsForWavesPerEU: 36
; NumVGPRsForWavesPerEU: 41
; Occupancy: 16
; WaveLimiterHint : 1
; COMPUTE_PGM_RSRC2:SCRATCH_EN: 1
; COMPUTE_PGM_RSRC2:USER_SGPR: 15
; COMPUTE_PGM_RSRC2:TRAP_HANDLER: 0
; COMPUTE_PGM_RSRC2:TGID_X_EN: 1
; COMPUTE_PGM_RSRC2:TGID_Y_EN: 0
; COMPUTE_PGM_RSRC2:TGID_Z_EN: 0
; COMPUTE_PGM_RSRC2:TIDIG_COMP_CNT: 0
	.section	.text._Z39paged_attention_ll4mi_QKV_mfma16_kernelI14__hip_bfloat16S0_LN4vllm18Fp8KVCacheDataTypeE0ES0_Li32ELi64ELi256ELb0ELi5EL8MFMAType0EEvPKT_PKT0_S9_ifPKiSB_SB_iPKfiiiPfSE_PS4_PT2_iSD_SD_,"axG",@progbits,_Z39paged_attention_ll4mi_QKV_mfma16_kernelI14__hip_bfloat16S0_LN4vllm18Fp8KVCacheDataTypeE0ES0_Li32ELi64ELi256ELb0ELi5EL8MFMAType0EEvPKT_PKT0_S9_ifPKiSB_SB_iPKfiiiPfSE_PS4_PT2_iSD_SD_,comdat
	.protected	_Z39paged_attention_ll4mi_QKV_mfma16_kernelI14__hip_bfloat16S0_LN4vllm18Fp8KVCacheDataTypeE0ES0_Li32ELi64ELi256ELb0ELi5EL8MFMAType0EEvPKT_PKT0_S9_ifPKiSB_SB_iPKfiiiPfSE_PS4_PT2_iSD_SD_ ; -- Begin function _Z39paged_attention_ll4mi_QKV_mfma16_kernelI14__hip_bfloat16S0_LN4vllm18Fp8KVCacheDataTypeE0ES0_Li32ELi64ELi256ELb0ELi5EL8MFMAType0EEvPKT_PKT0_S9_ifPKiSB_SB_iPKfiiiPfSE_PS4_PT2_iSD_SD_
	.globl	_Z39paged_attention_ll4mi_QKV_mfma16_kernelI14__hip_bfloat16S0_LN4vllm18Fp8KVCacheDataTypeE0ES0_Li32ELi64ELi256ELb0ELi5EL8MFMAType0EEvPKT_PKT0_S9_ifPKiSB_SB_iPKfiiiPfSE_PS4_PT2_iSD_SD_
	.p2align	8
	.type	_Z39paged_attention_ll4mi_QKV_mfma16_kernelI14__hip_bfloat16S0_LN4vllm18Fp8KVCacheDataTypeE0ES0_Li32ELi64ELi256ELb0ELi5EL8MFMAType0EEvPKT_PKT0_S9_ifPKiSB_SB_iPKfiiiPfSE_PS4_PT2_iSD_SD_,@function
_Z39paged_attention_ll4mi_QKV_mfma16_kernelI14__hip_bfloat16S0_LN4vllm18Fp8KVCacheDataTypeE0ES0_Li32ELi64ELi256ELb0ELi5EL8MFMAType0EEvPKT_PKT0_S9_ifPKiSB_SB_iPKfiiiPfSE_PS4_PT2_iSD_SD_: ; @_Z39paged_attention_ll4mi_QKV_mfma16_kernelI14__hip_bfloat16S0_LN4vllm18Fp8KVCacheDataTypeE0ES0_Li32ELi64ELi256ELb0ELi5EL8MFMAType0EEvPKT_PKT0_S9_ifPKiSB_SB_iPKfiiiPfSE_PS4_PT2_iSD_SD_
; %bb.0:
	s_load_b64 s[2:3], s[0:1], 0x30
	s_mov_b32 s34, s13
	s_waitcnt lgkmcnt(0)
	s_cmp_lg_u64 s[2:3], 0
	s_cselect_b32 s6, -1, 0
	s_ashr_i32 s35, s13, 31
	s_cmp_eq_u64 s[2:3], 0
	s_cbranch_scc1 .LBB562_3
; %bb.1:
	s_lshl_b64 s[4:5], s[34:35], 2
	s_delay_alu instid0(SALU_CYCLE_1) | instskip(SKIP_4) | instid1(SALU_CYCLE_1)
	s_add_u32 s4, s2, s4
	s_addc_u32 s5, s3, s5
	s_load_b64 s[4:5], s[4:5], 0x0
	s_waitcnt lgkmcnt(0)
	s_sub_i32 s4, s5, s4
	s_cmp_eq_u32 s4, 1
	s_cselect_b32 s4, -1, 0
	s_delay_alu instid0(SALU_CYCLE_1)
	s_and_not1_b32 vcc_lo, exec_lo, s4
	s_cbranch_vccz .LBB562_4
.LBB562_2:
	s_nop 0
	s_sendmsg sendmsg(MSG_DEALLOC_VGPRS)
	s_endpgm
.LBB562_3:
.LBB562_4:
	s_load_b64 s[8:9], s[0:1], 0x28
	s_lshl_b64 s[4:5], s[34:35], 2
	s_waitcnt lgkmcnt(0)
	s_add_u32 s8, s8, s4
	s_addc_u32 s9, s9, s5
	s_lshl_b32 s16, s14, 8
	s_load_b32 s18, s[8:9], 0x0
	s_waitcnt lgkmcnt(0)
	s_cmp_ge_i32 s16, s18
	s_cbranch_scc1 .LBB562_2
; %bb.5:
	s_and_not1_b32 vcc_lo, exec_lo, s6
	s_cbranch_vccnz .LBB562_7
; %bb.6:
	s_add_u32 s2, s2, s4
	s_addc_u32 s3, s3, s5
	s_load_b32 s17, s[2:3], 0x0
	s_branch .LBB562_8
.LBB562_7:
	s_mov_b32 s17, s34
.LBB562_8:
	s_clause 0x2
	s_load_b128 s[8:11], s[0:1], 0x8
	s_load_b64 s[12:13], s[0:1], 0x20
	s_load_b128 s[4:7], s[0:1], 0x48
	v_lshrrev_b32_e32 v74, 5, v0
	v_bfe_u32 v83, v0, 4, 1
	v_and_b32_e32 v73, 15, v0
	s_delay_alu instid0(VALU_DEP_2) | instskip(NEXT) | instid1(VALU_DEP_2)
	v_lshl_or_b32 v3, v74, 1, v83
	v_cmp_lt_u32_e64 s3, 7, v73
	v_lshlrev_b32_e32 v1, 3, v73
	v_cmp_gt_u32_e64 s2, 8, v73
	s_delay_alu instid0(VALU_DEP_4) | instskip(NEXT) | instid1(VALU_DEP_4)
	v_cmp_lt_u32_e32 vcc_lo, 4, v3
	s_or_b32 s3, s3, vcc_lo
	s_waitcnt lgkmcnt(0)
	s_and_saveexec_b32 s7, s3
	s_delay_alu instid0(SALU_CYCLE_1)
	s_xor_b32 s3, exec_lo, s7
; %bb.9:
	v_mov_b32_e32 v2, 0
                                        ; implicit-def: $vgpr3
; %bb.10:
	s_or_saveexec_b32 s3, s3
	v_and_b32_e32 v75, 31, v0
	v_and_b32_e32 v84, 1, v0
	s_mul_i32 s31, s15, 5
	s_xor_b32 exec_lo, exec_lo, s3
	s_cbranch_execz .LBB562_12
; %bb.11:
	s_load_b64 s[20:21], s[0:1], 0x0
	v_add_lshl_u32 v4, v3, s31, 6
	s_mul_hi_i32 s23, s17, s4
	s_mul_i32 s22, s17, s4
	v_lshlrev_b32_e32 v2, 1, v1
	s_lshl_b64 s[22:23], s[22:23], 1
	v_ashrrev_i32_e32 v5, 31, v4
	v_lshlrev_b32_e32 v3, 6, v3
	v_lshlrev_b32_e32 v8, 10, v84
	s_delay_alu instid0(VALU_DEP_3) | instskip(SKIP_3) | instid1(VALU_DEP_1)
	v_lshlrev_b64 v[4:5], 1, v[4:5]
	s_waitcnt lgkmcnt(0)
	s_add_u32 s4, s20, s22
	s_addc_u32 s7, s21, s23
	v_add_co_u32 v4, vcc_lo, s4, v4
	s_delay_alu instid0(VALU_DEP_2) | instskip(NEXT) | instid1(VALU_DEP_2)
	v_add_co_ci_u32_e32 v5, vcc_lo, s7, v5, vcc_lo
	v_add_co_u32 v4, vcc_lo, v4, v2
	s_delay_alu instid0(VALU_DEP_2) | instskip(SKIP_3) | instid1(VALU_DEP_1)
	v_add_co_ci_u32_e32 v5, vcc_lo, 0, v5, vcc_lo
	v_lshlrev_b32_e32 v2, 10, v73
	global_load_b128 v[4:7], v[4:5], off
	v_and_b32_e32 v2, 0x3800, v2
	v_or3_b32 v3, v2, v8, v3
	v_mov_b32_e32 v2, 0
	s_waitcnt vmcnt(0)
	ds_store_b128 v3, v[4:7]
.LBB562_12:
	s_or_b32 exec_lo, exec_lo, s3
	v_and_b32_e32 v3, 0xef, v0
	s_add_i32 s3, s18, 31
	s_clause 0x1
	s_load_b32 s4, s[0:1], 0x38
	s_load_b32 s19, s[0:1], 0x1c
	s_ashr_i32 s7, s3, 31
	v_add_nc_u32_e32 v3, s16, v3
	s_lshr_b32 s7, s7, 27
	s_waitcnt lgkmcnt(0)
	s_add_i32 s3, s3, s7
	s_barrier
	v_ashrrev_i32_e32 v4, 31, v3
	v_cmp_gt_i32_e32 vcc_lo, s18, v3
	s_ashr_i32 s3, s3, 5
	buffer_gl0_inv
	s_add_i32 s3, s3, -1
	v_lshrrev_b32_e32 v5, 27, v4
	v_or_b32_e32 v4, 16, v3
	s_mul_i32 s6, s15, s6
	v_lshlrev_b64 v[81:82], 1, v[1:2]
	s_delay_alu instid0(VALU_DEP_3) | instskip(NEXT) | instid1(VALU_DEP_3)
	v_add_nc_u32_e32 v6, v3, v5
	v_add_nc_u32_e32 v5, v4, v5
	s_mul_i32 s20, s34, s4
	s_delay_alu instid0(SALU_CYCLE_1) | instskip(NEXT) | instid1(VALU_DEP_2)
	s_ashr_i32 s21, s20, 31
	v_ashrrev_i32_e32 v6, 5, v6
	s_delay_alu instid0(VALU_DEP_2) | instskip(SKIP_1) | instid1(SALU_CYCLE_1)
	v_ashrrev_i32_e32 v5, 5, v5
	s_lshl_b64 s[20:21], s[20:21], 2
	s_add_u32 s4, s12, s20
	s_delay_alu instid0(VALU_DEP_2) | instskip(SKIP_3) | instid1(SALU_CYCLE_1)
	v_cndmask_b32_e32 v3, s3, v6, vcc_lo
	v_cmp_gt_i32_e32 vcc_lo, s18, v4
	s_addc_u32 s17, s13, s21
	s_ashr_i32 s7, s6, 31
	s_lshl_b64 s[6:7], s[6:7], 1
	v_cndmask_b32_e32 v5, s3, v5, vcc_lo
	v_ashrrev_i32_e32 v4, 31, v3
	s_add_u32 s15, s8, s6
	s_addc_u32 s28, s9, s7
	s_lshl_b32 s8, s14, 3
	v_ashrrev_i32_e32 v6, 31, v5
	v_lshlrev_b64 v[3:4], 2, v[3:4]
	s_ashr_i32 s9, s8, 31
	s_delay_alu instid0(SALU_CYCLE_1) | instskip(NEXT) | instid1(VALU_DEP_2)
	s_lshl_b64 s[8:9], s[8:9], 2
	v_lshlrev_b64 v[5:6], 2, v[5:6]
	s_add_u32 s8, s4, s8
	s_delay_alu instid0(VALU_DEP_2) | instskip(SKIP_1) | instid1(VALU_DEP_3)
	v_add_co_u32 v3, vcc_lo, s4, v3
	v_add_co_ci_u32_e32 v4, vcc_lo, s17, v4, vcc_lo
	v_add_co_u32 v5, vcc_lo, s4, v5
	s_delay_alu instid0(VALU_DEP_4)
	v_add_co_ci_u32_e32 v6, vcc_lo, s17, v6, vcc_lo
	s_addc_u32 s9, s17, s9
	s_clause 0x1
	global_load_b32 v7, v[3:4], off
	global_load_b32 v8, v[5:6], off
	s_or_b32 s12, s16, 32
	s_delay_alu instid0(SALU_CYCLE_1) | instskip(SKIP_2) | instid1(SALU_CYCLE_1)
	s_ashr_i32 s13, s12, 5
	s_cmp_lt_i32 s12, s18
	s_cselect_b32 s12, s13, s3
	s_ashr_i32 s13, s12, 31
	s_delay_alu instid0(SALU_CYCLE_1) | instskip(NEXT) | instid1(SALU_CYCLE_1)
	s_lshl_b64 s[12:13], s[12:13], 2
	s_add_u32 s12, s4, s12
	s_addc_u32 s13, s17, s13
	s_or_b32 s20, s16, 64
	s_delay_alu instid0(SALU_CYCLE_1) | instskip(SKIP_2) | instid1(SALU_CYCLE_1)
	s_ashr_i32 s21, s20, 5
	s_cmp_lt_i32 s20, s18
	s_cselect_b32 s20, s21, s3
	s_ashr_i32 s21, s20, 31
	s_delay_alu instid0(SALU_CYCLE_1) | instskip(NEXT) | instid1(SALU_CYCLE_1)
	s_lshl_b64 s[20:21], s[20:21], 2
	s_add_u32 s20, s4, s20
	s_addc_u32 s21, s17, s21
	;; [unrolled: 10-line block ×5, first 2 shown]
	s_clause 0x5
	s_load_b32 s29, s[8:9], 0x0
	s_load_b32 s30, s[12:13], 0x0
	;; [unrolled: 1-line block ×6, first 2 shown]
	s_or_b32 s8, s16, 0xc0
	s_mov_b32 s20, 0
	s_ashr_i32 s9, s8, 5
	s_cmp_lt_i32 s8, s18
	s_mov_b32 s27, s20
	s_cselect_b32 s8, s9, s3
	s_mov_b32 s21, s20
	s_ashr_i32 s9, s8, 31
	s_mov_b32 s22, s20
	s_lshl_b64 s[8:9], s[8:9], 2
	s_mov_b32 s23, s20
	s_add_u32 s8, s4, s8
	s_mov_b32 s24, s20
	s_mov_b32 s25, s20
	;; [unrolled: 1-line block ×3, first 2 shown]
	s_addc_u32 s9, s17, s9
	v_mov_b32_e32 v117, s27
	v_dual_mov_b32 v110, s20 :: v_dual_lshlrev_b32 v85, 6, v73
	v_dual_mov_b32 v116, s26 :: v_dual_mov_b32 v115, s25
	v_dual_mov_b32 v114, s24 :: v_dual_mov_b32 v113, s23
	;; [unrolled: 1-line block ×3, first 2 shown]
	s_waitcnt lgkmcnt(0)
	s_mul_hi_i32 s13, s29, s5
	s_mul_i32 s12, s29, s5
	v_lshl_or_b32 v58, v74, 10, v85
	s_mul_hi_i32 s21, s30, s5
	s_mul_i32 s20, s30, s5
	s_mul_hi_i32 s25, s33, s5
	s_mul_i32 s24, s33, s5
	;; [unrolled: 2-line block ×3, first 2 shown]
	s_mul_hi_i32 s37, s38, s5
	s_waitcnt vmcnt(1)
	v_mad_i64_i32 v[3:4], null, v7, s5, 0
	s_waitcnt vmcnt(0)
	v_mad_i64_i32 v[5:6], null, v8, s5, 0
	s_delay_alu instid0(VALU_DEP_2) | instskip(NEXT) | instid1(VALU_DEP_2)
	v_lshlrev_b64 v[3:4], 1, v[3:4]
	v_lshlrev_b64 v[1:2], 1, v[5:6]
	s_delay_alu instid0(VALU_DEP_2) | instskip(NEXT) | instid1(VALU_DEP_3)
	v_add_co_u32 v3, vcc_lo, s15, v3
	v_add_co_ci_u32_e32 v4, vcc_lo, s28, v4, vcc_lo
	s_delay_alu instid0(VALU_DEP_3) | instskip(NEXT) | instid1(VALU_DEP_4)
	v_add_co_u32 v1, vcc_lo, s15, v1
	v_add_co_ci_u32_e32 v2, vcc_lo, s28, v2, vcc_lo
	s_delay_alu instid0(VALU_DEP_4) | instskip(NEXT) | instid1(VALU_DEP_4)
	v_add_co_u32 v41, vcc_lo, v3, v81
	v_add_co_ci_u32_e32 v42, vcc_lo, v4, v82, vcc_lo
	s_delay_alu instid0(VALU_DEP_4) | instskip(NEXT) | instid1(VALU_DEP_4)
	v_add_co_u32 v43, vcc_lo, v1, v81
	v_add_co_ci_u32_e32 v44, vcc_lo, v2, v82, vcc_lo
	s_clause 0xf
	global_load_b128 v[1:4], v[41:42], off
	global_load_b128 v[5:8], v[41:42], off offset:512
	global_load_b128 v[9:12], v[43:44], off offset:256
	;; [unrolled: 1-line block ×15, first 2 shown]
	v_mul_lo_u16 v41, v73, 52
	s_or_b32 s15, s16, 0xe0
	s_delay_alu instid0(SALU_CYCLE_1) | instskip(SKIP_1) | instid1(VALU_DEP_1)
	s_ashr_i32 s22, s15, 5
	s_cmp_lt_i32 s15, s18
	v_lshrrev_b16 v41, 8, v41
	s_cselect_b32 s22, s22, s3
	s_delay_alu instid0(SALU_CYCLE_1) | instskip(NEXT) | instid1(VALU_DEP_1)
	s_ashr_i32 s23, s22, 31
	v_mul_lo_u16 v41, v41, 5
	s_lshl_b64 s[22:23], s[22:23], 2
	s_delay_alu instid0(SALU_CYCLE_1) | instskip(SKIP_1) | instid1(VALU_DEP_1)
	s_add_u32 s22, s4, s22
	s_addc_u32 s23, s17, s23
	v_sub_nc_u16 v41, v73, v41
	s_add_i32 s15, s16, 0x100
	s_delay_alu instid0(SALU_CYCLE_1) | instskip(SKIP_1) | instid1(VALU_DEP_1)
	s_ashr_i32 s28, s15, 5
	s_cmp_lt_i32 s15, s18
	v_and_b32_e32 v41, 0xff, v41
	s_cselect_b32 s28, s28, s3
	s_delay_alu instid0(SALU_CYCLE_1) | instskip(NEXT) | instid1(VALU_DEP_1)
	s_ashr_i32 s29, s28, 31
	v_lshlrev_b32_e32 v57, 6, v41
	ds_load_b128 v[41:44], v57
	ds_load_b128 v[45:48], v57 offset:1024
	ds_load_b128 v[49:52], v57 offset:2048
	;; [unrolled: 1-line block ×7, first 2 shown]
	s_lshl_b64 s[28:29], s[28:29], 2
	s_load_b32 s15, s[8:9], 0x0
	s_add_u32 s28, s4, s28
	s_addc_u32 s29, s17, s29
	s_add_u32 s3, s10, s6
	s_clause 0x1
	s_load_b32 s4, s[22:23], 0x0
	s_load_b32 s17, s[28:29], 0x0
	s_addc_u32 s28, s11, s7
	v_add_co_u32 v76, s3, s3, v58
	s_delay_alu instid0(VALU_DEP_1) | instskip(SKIP_2) | instid1(VALU_DEP_2)
	v_add_co_ci_u32_e64 v77, null, s28, 0, s3
	s_lshl_b64 s[6:7], s[12:13], 1
	s_lshl_b64 s[10:11], s[20:21], 1
	v_add_co_u32 v57, vcc_lo, v76, s6
	s_delay_alu instid0(VALU_DEP_2)
	v_add_co_ci_u32_e32 v58, vcc_lo, s7, v77, vcc_lo
	s_lshl_b64 s[12:13], s[24:25], 1
	s_lshl_b64 s[20:21], s[26:27], 1
	s_mul_hi_i32 s9, s36, s5
	s_mul_i32 s8, s36, s5
	s_mul_i32 s36, s38, s5
	s_lshl_b64 s[8:9], s[8:9], 1
	s_lshl_b64 s[22:23], s[36:37], 1
	s_waitcnt lgkmcnt(0)
	s_mul_hi_i32 s25, s15, s5
	s_mul_i32 s24, s15, s5
	s_clause 0x1
	global_load_b128 v[65:68], v[57:58], off
	global_load_b128 v[69:72], v[57:58], off offset:16
	s_lshl_b64 s[6:7], s[24:25], 1
	s_waitcnt vmcnt(16)
	v_wmma_f32_16x16x16_bf16 v[134:141], v[1:8], v[41:48], v[110:117]
	v_add_co_u32 v1, vcc_lo, v76, s10
	v_add_co_ci_u32_e32 v2, vcc_lo, s11, v77, vcc_lo
	s_waitcnt vmcnt(12)
	s_delay_alu instid0(VALU_DEP_3) | instskip(SKIP_3) | instid1(VALU_DEP_3)
	v_wmma_f32_16x16x16_bf16 v[134:141], v[17:24], v[49:56], v[134:141]
	v_add_co_u32 v3, vcc_lo, v76, s12
	v_add_co_ci_u32_e32 v4, vcc_lo, s13, v77, vcc_lo
	s_waitcnt vmcnt(8)
	v_wmma_f32_16x16x16_bf16 v[134:141], v[33:40], v[118:125], v[134:141]
	v_add_co_u32 v5, vcc_lo, v76, s20
	v_add_co_ci_u32_e32 v6, vcc_lo, s21, v77, vcc_lo
	s_waitcnt vmcnt(4)
	s_delay_alu instid0(VALU_DEP_3) | instskip(SKIP_2) | instid1(VALU_DEP_3)
	v_wmma_f32_16x16x16_bf16 v[134:141], v[94:101], v[126:133], v[134:141]
	v_add_co_u32 v7, vcc_lo, v76, s8
	v_add_co_ci_u32_e32 v8, vcc_lo, s9, v77, vcc_lo
	v_mul_f32_e32 v100, s19, v141
	v_wmma_f32_16x16x16_bf16 v[110:117], v[9:16], v[41:48], v[110:117]
	s_clause 0x1
	global_load_b128 v[57:60], v[1:2], off
	global_load_b128 v[61:64], v[1:2], off offset:16
	s_mul_hi_i32 s9, s4, s5
	s_mul_i32 s8, s4, s5
	v_wmma_f32_16x16x16_bf16 v[110:117], v[25:32], v[49:56], v[110:117]
	s_clause 0x5
	global_load_b128 v[49:52], v[3:4], off
	global_load_b128 v[53:56], v[3:4], off offset:16
	global_load_b128 v[41:44], v[5:6], off
	global_load_b128 v[45:48], v[5:6], off offset:16
	global_load_b128 v[9:12], v[7:8], off
	global_load_b128 v[13:16], v[7:8], off offset:16
	v_add_co_u32 v5, vcc_lo, v76, s22
	v_add_co_ci_u32_e32 v6, vcc_lo, s23, v77, vcc_lo
	v_add_co_u32 v17, vcc_lo, v76, s6
	v_add_co_ci_u32_e32 v18, vcc_lo, s7, v77, vcc_lo
	s_lshl_b64 s[6:7], s[8:9], 1
	s_mul_hi_i32 s9, s17, s5
	s_mul_i32 s8, s17, s5
	v_add_co_u32 v19, vcc_lo, v76, s6
	s_lshl_b64 s[4:5], s[8:9], 1
	v_add_co_ci_u32_e32 v20, vcc_lo, s7, v77, vcc_lo
	v_add_co_u32 v21, vcc_lo, v76, s4
	v_add_co_ci_u32_e32 v22, vcc_lo, s5, v77, vcc_lo
	s_clause 0x7
	global_load_b128 v[1:4], v[5:6], off
	global_load_b128 v[5:8], v[5:6], off offset:16
	global_load_b128 v[33:36], v[17:18], off
	global_load_b128 v[37:40], v[17:18], off offset:16
	;; [unrolled: 2-line block ×4, first 2 shown]
	v_and_b32_e32 v76, 0xe0, v0
	v_mbcnt_lo_u32_b32 v77, -1, 0
	v_wmma_f32_16x16x16_bf16 v[110:117], v[86:93], v[118:125], v[110:117]
	s_waitcnt vmcnt(0)
	s_barrier
	v_add_nc_u32_e32 v76, s16, v76
	v_xor_b32_e32 v78, 16, v77
	v_wmma_f32_16x16x16_bf16 v[110:117], v[102:109], v[126:133], v[110:117]
	v_mul_f32_e32 v97, s19, v134
	v_mul_f32_e32 v99, s19, v135
	v_or_b32_e32 v76, v76, v83
	v_cmp_gt_i32_e32 vcc_lo, 32, v78
	buffer_gl0_inv
	v_or_b32_e32 v79, 4, v76
	v_cndmask_b32_e32 v77, v77, v78, vcc_lo
	v_or_b32_e32 v78, 2, v76
	v_or_b32_e32 v80, 6, v76
	;; [unrolled: 1-line block ×3, first 2 shown]
	v_cmp_gt_i32_e32 vcc_lo, s18, v76
	v_or_b32_e32 v87, 10, v76
	v_cmp_gt_i32_e64 s3, s18, v78
	v_or_b32_e32 v88, 12, v76
	v_or_b32_e32 v89, 14, v76
	;; [unrolled: 1-line block ×10, first 2 shown]
	v_cndmask_b32_e64 v78, 0xff7fffff, v99, s3
	v_mul_f32_e32 v99, s19, v137
	v_cmp_gt_i32_e64 s4, s18, v80
	v_mul_f32_e32 v80, s19, v136
	v_cmp_gt_i32_e64 s5, s18, v79
	v_cmp_gt_i32_e64 s6, s18, v86
	v_mul_f32_e32 v86, s19, v116
	v_cndmask_b32_e32 v76, 0xff7fffff, v97, vcc_lo
	v_mul_f32_e32 v79, s19, v139
	v_cndmask_b32_e64 v80, 0xff7fffff, v80, s5
	v_cndmask_b32_e64 v99, 0xff7fffff, v99, s4
	v_cmp_gt_i32_e64 s7, s18, v87
	v_max3_f32 v76, v76, 0xff7fffff, v78
	v_dual_mul_f32 v78, s19, v138 :: v_dual_mul_f32 v97, s19, v140
	v_cmp_gt_i32_e64 s8, s18, v89
	s_delay_alu instid0(VALU_DEP_4) | instskip(NEXT) | instid1(VALU_DEP_4)
	v_cndmask_b32_e64 v79, 0xff7fffff, v79, s7
	v_max3_f32 v76, v76, v80, v99
	s_delay_alu instid0(VALU_DEP_4) | instskip(SKIP_3) | instid1(VALU_DEP_4)
	v_cndmask_b32_e64 v78, 0xff7fffff, v78, s6
	v_cmp_gt_i32_e64 s9, s18, v88
	v_dual_mul_f32 v88, s19, v111 :: v_dual_mul_f32 v89, s19, v110
	v_cndmask_b32_e64 v100, 0xff7fffff, v100, s8
	v_max3_f32 v76, v76, v78, v79
	s_delay_alu instid0(VALU_DEP_4) | instskip(SKIP_3) | instid1(VALU_DEP_4)
	v_cndmask_b32_e64 v97, 0xff7fffff, v97, s9
	v_cmp_gt_i32_e64 s10, s18, v90
	v_cmp_gt_i32_e64 s11, s18, v91
	v_dual_mul_f32 v78, s19, v113 :: v_dual_mul_f32 v79, s19, v112
	v_max3_f32 v76, v76, v97, v100
	s_delay_alu instid0(VALU_DEP_4) | instskip(NEXT) | instid1(VALU_DEP_4)
	v_cndmask_b32_e64 v89, 0xff7fffff, v89, s10
	v_cndmask_b32_e64 v88, 0xff7fffff, v88, s11
	v_cmp_gt_i32_e64 s12, s18, v92
	v_cmp_gt_i32_e64 s13, s18, v93
	v_mul_f32_e32 v87, s19, v115
	v_mul_f32_e32 v99, s19, v114
	v_max3_f32 v76, v76, v89, v88
	v_cndmask_b32_e64 v79, 0xff7fffff, v79, s12
	v_cndmask_b32_e64 v78, 0xff7fffff, v78, s13
	v_cmp_gt_i32_e64 s15, s18, v94
	v_cmp_gt_i32_e64 s16, s18, v95
	v_mul_f32_e32 v80, s19, v117
	v_cmp_gt_i32_e64 s17, s18, v96
	v_max3_f32 v76, v76, v79, v78
	v_cndmask_b32_e64 v88, 0xff7fffff, v99, s15
	v_cndmask_b32_e64 v87, 0xff7fffff, v87, s16
	v_cmp_gt_i32_e64 s18, s18, v98
	v_cndmask_b32_e64 v78, 0xff7fffff, v86, s17
	v_lshlrev_b32_e32 v99, 2, v77
	s_delay_alu instid0(VALU_DEP_4) | instskip(NEXT) | instid1(VALU_DEP_4)
	v_max3_f32 v76, v76, v88, v87
	v_cndmask_b32_e64 v79, 0xff7fffff, v80, s18
	s_delay_alu instid0(VALU_DEP_1) | instskip(SKIP_3) | instid1(VALU_DEP_1)
	v_max3_f32 v76, v76, v78, v79
	ds_bpermute_b32 v77, v99, v76
	s_waitcnt lgkmcnt(0)
	v_max_f32_e32 v77, v77, v77
	v_max_f32_e32 v76, v76, v77
	s_delay_alu instid0(VALU_DEP_1)
	v_fma_f32 v86, s19, v138, -v76
	v_fma_f32 v77, s19, v134, -v76
	;; [unrolled: 1-line block ×5, first 2 shown]
	v_mul_f32_e32 v86, 0x3fb8aa3b, v86
	v_fma_f32 v88, s19, v114, -v76
	s_delay_alu instid0(VALU_DEP_4) | instskip(NEXT) | instid1(VALU_DEP_4)
	v_dual_mul_f32 v78, 0x3fb8aa3b, v78 :: v_dual_mul_f32 v79, 0x3fb8aa3b, v79
	v_mul_f32_e32 v80, 0x3fb8aa3b, v80
	s_delay_alu instid0(VALU_DEP_4) | instskip(SKIP_1) | instid1(VALU_DEP_3)
	v_exp_f32_e32 v86, v86
	v_fma_f32 v87, s19, v140, -v76
	v_exp_f32_e32 v78, v78
	v_exp_f32_e32 v79, v79
	;; [unrolled: 1-line block ×3, first 2 shown]
	s_delay_alu instid0(VALU_DEP_1)
	v_dual_mul_f32 v88, 0x3fb8aa3b, v88 :: v_dual_mul_f32 v87, 0x3fb8aa3b, v87
	v_fma_f32 v100, s19, v117, -v76
	v_fma_f32 v90, s19, v116, -v76
	v_cndmask_b32_e64 v96, 0, v86, s6
	v_fma_f32 v86, s19, v111, -v76
	v_mul_f32_e32 v77, 0x3fb8aa3b, v77
	s_delay_alu instid0(TRANS32_DEP_3) | instskip(NEXT) | instid1(TRANS32_DEP_2)
	v_cndmask_b32_e64 v91, 0, v78, s3
	v_cndmask_b32_e64 v93, 0, v79, s5
	s_delay_alu instid0(TRANS32_DEP_1)
	v_cndmask_b32_e64 v95, 0, v80, s4
	v_mul_f32_e32 v86, 0x3fb8aa3b, v86
	v_exp_f32_e32 v77, v77
	v_fma_f32 v79, s19, v141, -v76
	v_fma_f32 v80, s19, v110, -v76
	v_exp_f32_e32 v87, v87
	v_exp_f32_e32 v86, v86
	s_delay_alu instid0(VALU_DEP_2) | instskip(NEXT) | instid1(VALU_DEP_2)
	v_dual_mul_f32 v100, 0x3fb8aa3b, v100 :: v_dual_mul_f32 v79, 0x3fb8aa3b, v79
	v_mul_f32_e32 v80, 0x3fb8aa3b, v80
	v_exp_f32_e32 v88, v88
	v_cmp_gt_u32_e64 s3, 16, v75
	v_cndmask_b32_e32 v92, 0, v77, vcc_lo
	v_fma_f32 v77, s19, v139, -v76
	v_exp_f32_e32 v79, v79
	v_exp_f32_e32 v80, v80
	v_cndmask_b32_e64 v94, 0, v87, s9
	s_delay_alu instid0(VALU_DEP_2) | instskip(SKIP_2) | instid1(VALU_DEP_2)
	v_dual_add_f32 v78, 0, v92 :: v_dual_mul_f32 v77, 0x3fb8aa3b, v77
	v_fma_f32 v87, s19, v113, -v76
	v_exp_f32_e32 v100, v100
	v_add_f32_e32 v78, v78, v91
	s_delay_alu instid0(VALU_DEP_3) | instskip(SKIP_1) | instid1(VALU_DEP_2)
	v_exp_f32_e32 v77, v77
	v_cndmask_b32_e64 v98, 0, v79, s8
	v_dual_mul_f32 v87, 0x3fb8aa3b, v87 :: v_dual_add_f32 v78, v78, v93
	s_delay_alu instid0(VALU_DEP_1) | instskip(NEXT) | instid1(VALU_DEP_1)
	v_exp_f32_e32 v87, v87
	v_add_f32_e32 v78, v78, v95
	s_waitcnt_depctr 0xfff
	v_cndmask_b32_e64 v97, 0, v77, s7
	v_add_f32_e32 v77, v78, v96
	v_fma_f32 v78, s19, v112, -v76
	s_delay_alu instid0(VALU_DEP_1) | instskip(NEXT) | instid1(VALU_DEP_1)
	v_mul_f32_e32 v78, 0x3fb8aa3b, v78
	v_exp_f32_e32 v89, v78
	v_cndmask_b32_e64 v78, 0, v86, s11
	v_add_f32_e32 v77, v77, v97
	s_delay_alu instid0(VALU_DEP_1) | instskip(SKIP_2) | instid1(VALU_DEP_1)
	v_add_f32_e32 v79, v77, v94
	v_cndmask_b32_e64 v77, 0, v80, s10
	v_fma_f32 v80, s19, v115, -v76
	v_dual_add_f32 v79, v79, v98 :: v_dual_mul_f32 v80, 0x3fb8aa3b, v80
	s_delay_alu instid0(VALU_DEP_1) | instskip(NEXT) | instid1(TRANS32_DEP_1)
	v_add_f32_e32 v86, v79, v77
	v_cndmask_b32_e64 v79, 0, v89, s12
	v_mul_f32_e32 v89, 0x3fb8aa3b, v90
	s_delay_alu instid0(VALU_DEP_4) | instskip(SKIP_2) | instid1(VALU_DEP_3)
	v_exp_f32_e32 v90, v80
	v_cndmask_b32_e64 v80, 0, v87, s13
	v_add_f32_e32 v86, v86, v78
	v_exp_f32_e32 v89, v89
	s_delay_alu instid0(VALU_DEP_1) | instskip(SKIP_1) | instid1(VALU_DEP_2)
	v_add_f32_e32 v87, v86, v79
	v_cndmask_b32_e64 v86, 0, v88, s15
	v_add_f32_e32 v88, v87, v80
	s_delay_alu instid0(TRANS32_DEP_2) | instskip(NEXT) | instid1(VALU_DEP_2)
	v_cndmask_b32_e64 v87, 0, v90, s16
	v_add_f32_e32 v90, v88, v86
	s_waitcnt_depctr 0xfff
	v_cndmask_b32_e64 v88, 0, v89, s17
	v_add_f32_e32 v89, v90, v87
	s_delay_alu instid0(VALU_DEP_1) | instskip(SKIP_1) | instid1(VALU_DEP_1)
	v_add_f32_e32 v90, v89, v88
	v_cndmask_b32_e64 v89, 0, v100, s18
	v_add_f32_e32 v90, v90, v89
	ds_bpermute_b32 v99, v99, v90
	s_and_saveexec_b32 s4, s3
	s_cbranch_execz .LBB562_14
; %bb.13:
	v_mul_u32_u24_e32 v75, 0x44, v74
	s_waitcnt lgkmcnt(0)
	v_add_f32_e32 v90, v90, v99
	s_delay_alu instid0(VALU_DEP_2) | instskip(NEXT) | instid1(VALU_DEP_1)
	v_lshl_add_u32 v75, v73, 2, v75
	v_add_nc_u32_e32 v75, 0x4000, v75
	ds_store_2addr_b32 v75, v76, v90 offset1:136
.LBB562_14:
	s_or_b32 exec_lo, exec_lo, s4
	v_lshlrev_b32_e32 v75, 2, v73
	s_waitcnt lgkmcnt(0)
	s_barrier
	buffer_gl0_inv
	v_cmp_eq_u32_e64 s4, 1, v74
	v_add_nc_u32_e32 v90, 0x4000, v75
	ds_load_2addr_b32 v[99:100], v90 offset1:17
	ds_load_2addr_b32 v[101:102], v90 offset0:34 offset1:51
	ds_load_2addr_b32 v[103:104], v90 offset0:68 offset1:85
	;; [unrolled: 1-line block ×4, first 2 shown]
	s_waitcnt lgkmcnt(4)
	v_max3_f32 v75, v99, 0xff7fffff, v100
	s_waitcnt lgkmcnt(3)
	s_delay_alu instid0(VALU_DEP_1) | instskip(SKIP_1) | instid1(VALU_DEP_1)
	v_max3_f32 v75, v75, v101, v102
	s_waitcnt lgkmcnt(2)
	v_max3_f32 v75, v75, v103, v104
	s_waitcnt lgkmcnt(1)
	s_delay_alu instid0(VALU_DEP_1) | instskip(NEXT) | instid1(VALU_DEP_1)
	v_max3_f32 v75, v75, v105, v106
	v_sub_f32_e32 v109, v100, v75
	v_sub_f32_e32 v76, v99, v75
	ds_load_2addr_b32 v[99:100], v90 offset0:170 offset1:187
	v_sub_f32_e32 v101, v101, v75
	v_dual_mul_f32 v109, 0x3fb8aa3b, v109 :: v_dual_mul_f32 v76, 0x3fb8aa3b, v76
	s_delay_alu instid0(VALU_DEP_2) | instskip(NEXT) | instid1(VALU_DEP_2)
	v_mul_f32_e32 v111, 0x3fb8aa3b, v101
	v_exp_f32_e32 v109, v109
	s_delay_alu instid0(VALU_DEP_2)
	v_exp_f32_e32 v110, v76
	v_sub_f32_e32 v76, v102, v75
	ds_load_2addr_b32 v[101:102], v90 offset0:204 offset1:221
	v_exp_f32_e32 v111, v111
	v_mul_f32_e32 v112, 0x3fb8aa3b, v76
	s_waitcnt lgkmcnt(2)
	v_fma_f32 v76, v110, v107, 0
	v_sub_f32_e32 v103, v103, v75
	s_delay_alu instid0(VALU_DEP_3) | instskip(NEXT) | instid1(VALU_DEP_2)
	v_exp_f32_e32 v112, v112
	v_dual_sub_f32 v107, v104, v75 :: v_dual_fmac_f32 v76, v109, v108
	s_waitcnt lgkmcnt(1)
	s_waitcnt_depctr 0xfff
	v_fmac_f32_e32 v76, v111, v99
	v_mul_f32_e32 v113, 0x3fb8aa3b, v103
	ds_load_2addr_b32 v[103:104], v90 offset0:238 offset1:255
	v_sub_f32_e32 v90, v105, v75
	v_dual_sub_f32 v99, v106, v75 :: v_dual_fmac_f32 v76, v112, v100
	v_mul_f32_e32 v105, 0x3fb8aa3b, v107
	v_exp_f32_e32 v107, v113
	s_delay_alu instid0(VALU_DEP_2)
	v_dual_mul_f32 v90, 0x3fb8aa3b, v90 :: v_dual_mul_f32 v99, 0x3fb8aa3b, v99
	s_waitcnt lgkmcnt(0)
	s_barrier
	buffer_gl0_inv
	v_exp_f32_e32 v90, v90
	v_exp_f32_e32 v99, v99
	v_fmac_f32_e32 v76, v107, v101
	v_exp_f32_e32 v105, v105
	s_waitcnt_depctr 0xfff
	v_fmac_f32_e32 v76, v105, v102
	s_delay_alu instid0(VALU_DEP_1) | instskip(NEXT) | instid1(VALU_DEP_1)
	v_fmac_f32_e32 v76, v90, v103
	v_fmac_f32_e32 v76, v99, v104
	s_delay_alu instid0(VALU_DEP_1) | instskip(NEXT) | instid1(VALU_DEP_1)
	v_add_f32_e32 v100, 0x358637bd, v76
	v_div_scale_f32 v101, null, v100, v100, 1.0
	v_div_scale_f32 v104, vcc_lo, 1.0, v100, 1.0
	s_delay_alu instid0(VALU_DEP_2) | instskip(SKIP_2) | instid1(VALU_DEP_1)
	v_rcp_f32_e32 v102, v101
	s_waitcnt_depctr 0xfff
	v_fma_f32 v103, -v101, v102, 1.0
	v_fmac_f32_e32 v102, v103, v102
	v_cndmask_b32_e64 v103, v110, v109, s4
	v_cmp_eq_u32_e64 s4, 2, v74
	s_delay_alu instid0(VALU_DEP_3) | instskip(NEXT) | instid1(VALU_DEP_2)
	v_mul_f32_e32 v106, v104, v102
	v_cndmask_b32_e64 v103, v103, v111, s4
	v_cmp_eq_u32_e64 s4, 3, v74
	s_delay_alu instid0(VALU_DEP_3) | instskip(NEXT) | instid1(VALU_DEP_2)
	v_fma_f32 v108, -v101, v106, v104
	v_cndmask_b32_e64 v103, v103, v112, s4
	v_cmp_eq_u32_e64 s4, 4, v74
	s_delay_alu instid0(VALU_DEP_3) | instskip(NEXT) | instid1(VALU_DEP_2)
	v_fmac_f32_e32 v106, v108, v102
	v_cndmask_b32_e64 v103, v103, v107, s4
	s_delay_alu instid0(VALU_DEP_2) | instskip(SKIP_1) | instid1(VALU_DEP_2)
	v_fma_f32 v101, -v101, v106, v104
	v_cmp_eq_u32_e64 s4, 5, v74
	v_div_fmas_f32 v101, v101, v102, v106
	s_delay_alu instid0(VALU_DEP_2) | instskip(SKIP_2) | instid1(VALU_DEP_3)
	v_cndmask_b32_e64 v103, v103, v105, s4
	v_cmp_eq_u32_e32 vcc_lo, 6, v74
	s_mov_b32 s4, exec_lo
	v_div_fixup_f32 v100, v101, v100, 1.0
	s_delay_alu instid0(VALU_DEP_3) | instskip(SKIP_1) | instid1(VALU_DEP_2)
	v_cndmask_b32_e32 v90, v103, v90, vcc_lo
	v_cmp_eq_u32_e32 vcc_lo, 7, v74
	v_cndmask_b32_e32 v90, v90, v99, vcc_lo
	s_delay_alu instid0(VALU_DEP_1) | instskip(NEXT) | instid1(VALU_DEP_1)
	v_mul_f32_e32 v90, v90, v100
	v_mul_f32_e32 v100, v90, v92
	;; [unrolled: 1-line block ×6, first 2 shown]
	v_and_b32_e32 v101, 0x7f800000, v100
	v_mul_f32_e32 v99, v90, v95
	v_mul_f32_e32 v95, v90, v91
	;; [unrolled: 1-line block ×3, first 2 shown]
                                        ; implicit-def: $vgpr91
	s_delay_alu instid0(VALU_DEP_4)
	v_cmpx_ne_u32_e32 0x7f800000, v101
	s_xor_b32 s4, exec_lo, s4
; %bb.15:
	v_bfe_u32 v91, v100, 16, 1
	s_delay_alu instid0(VALU_DEP_1)
	v_add3_u32 v91, v100, v91, 0x7fff
                                        ; implicit-def: $vgpr100
; %bb.16:
	s_and_not1_saveexec_b32 s4, s4
; %bb.17:
	v_and_b32_e32 v91, 0xffff, v100
	v_or_b32_e32 v93, 0x10000, v100
	s_delay_alu instid0(VALU_DEP_2) | instskip(NEXT) | instid1(VALU_DEP_2)
	v_cmp_eq_u32_e32 vcc_lo, 0, v91
	v_cndmask_b32_e32 v91, v93, v100, vcc_lo
; %bb.18:
	s_or_b32 exec_lo, exec_lo, s4
	v_and_b32_e32 v93, 0x7f800000, v95
	s_delay_alu instid0(VALU_DEP_1) | instskip(SKIP_1) | instid1(SALU_CYCLE_1)
	v_cmp_ne_u32_e32 vcc_lo, 0x7f800000, v93
                                        ; implicit-def: $vgpr93
	s_and_saveexec_b32 s4, vcc_lo
	s_xor_b32 s4, exec_lo, s4
; %bb.19:
	v_bfe_u32 v93, v95, 16, 1
	s_delay_alu instid0(VALU_DEP_1)
	v_add3_u32 v93, v95, v93, 0x7fff
                                        ; implicit-def: $vgpr95
; %bb.20:
	s_and_not1_saveexec_b32 s4, s4
; %bb.21:
	v_and_b32_e32 v93, 0xffff, v95
	v_or_b32_e32 v100, 0x10000, v95
	s_delay_alu instid0(VALU_DEP_2) | instskip(NEXT) | instid1(VALU_DEP_2)
	v_cmp_eq_u32_e32 vcc_lo, 0, v93
	v_cndmask_b32_e32 v93, v100, v95, vcc_lo
; %bb.22:
	s_or_b32 exec_lo, exec_lo, s4
	v_and_b32_e32 v95, 0x7f800000, v96
	s_delay_alu instid0(VALU_DEP_1) | instskip(SKIP_1) | instid1(SALU_CYCLE_1)
	v_cmp_ne_u32_e32 vcc_lo, 0x7f800000, v95
                                        ; implicit-def: $vgpr95
	s_and_saveexec_b32 s4, vcc_lo
	s_xor_b32 s4, exec_lo, s4
; %bb.23:
	v_bfe_u32 v95, v96, 16, 1
	s_delay_alu instid0(VALU_DEP_1)
	v_add3_u32 v95, v96, v95, 0x7fff
                                        ; implicit-def: $vgpr96
; %bb.24:
	s_and_not1_saveexec_b32 s4, s4
; %bb.25:
	v_and_b32_e32 v95, 0xffff, v96
	v_or_b32_e32 v100, 0x10000, v96
	s_delay_alu instid0(VALU_DEP_2) | instskip(NEXT) | instid1(VALU_DEP_2)
	v_cmp_eq_u32_e32 vcc_lo, 0, v95
	v_cndmask_b32_e32 v95, v100, v96, vcc_lo
; %bb.26:
	s_or_b32 exec_lo, exec_lo, s4
	v_and_b32_e32 v96, 0x7f800000, v99
	s_delay_alu instid0(VALU_DEP_1) | instskip(SKIP_1) | instid1(SALU_CYCLE_1)
	v_cmp_ne_u32_e32 vcc_lo, 0x7f800000, v96
                                        ; implicit-def: $vgpr96
	s_and_saveexec_b32 s4, vcc_lo
	s_xor_b32 s4, exec_lo, s4
; %bb.27:
	v_bfe_u32 v96, v99, 16, 1
	s_delay_alu instid0(VALU_DEP_1)
	v_add3_u32 v96, v99, v96, 0x7fff
                                        ; implicit-def: $vgpr99
; %bb.28:
	s_and_not1_saveexec_b32 s4, s4
; %bb.29:
	v_and_b32_e32 v96, 0xffff, v99
	v_or_b32_e32 v100, 0x10000, v99
	s_delay_alu instid0(VALU_DEP_2) | instskip(NEXT) | instid1(VALU_DEP_2)
	v_cmp_eq_u32_e32 vcc_lo, 0, v96
	v_cndmask_b32_e32 v96, v100, v99, vcc_lo
; %bb.30:
	s_or_b32 exec_lo, exec_lo, s4
	v_and_b32_e32 v99, 0x7f800000, v98
	s_delay_alu instid0(VALU_DEP_1) | instskip(SKIP_1) | instid1(SALU_CYCLE_1)
	v_cmp_ne_u32_e32 vcc_lo, 0x7f800000, v99
                                        ; implicit-def: $vgpr99
	s_and_saveexec_b32 s4, vcc_lo
	s_xor_b32 s4, exec_lo, s4
; %bb.31:
	v_bfe_u32 v99, v98, 16, 1
	s_delay_alu instid0(VALU_DEP_1)
	v_add3_u32 v99, v98, v99, 0x7fff
                                        ; implicit-def: $vgpr98
; %bb.32:
	s_and_not1_saveexec_b32 s4, s4
; %bb.33:
	v_and_b32_e32 v99, 0xffff, v98
	v_or_b32_e32 v100, 0x10000, v98
	s_delay_alu instid0(VALU_DEP_2) | instskip(NEXT) | instid1(VALU_DEP_2)
	v_cmp_eq_u32_e32 vcc_lo, 0, v99
	v_cndmask_b32_e32 v99, v100, v98, vcc_lo
; %bb.34:
	s_or_b32 exec_lo, exec_lo, s4
	v_and_b32_e32 v98, 0x7f800000, v97
	s_delay_alu instid0(VALU_DEP_1) | instskip(SKIP_1) | instid1(SALU_CYCLE_1)
	v_cmp_ne_u32_e32 vcc_lo, 0x7f800000, v98
                                        ; implicit-def: $vgpr98
	s_and_saveexec_b32 s4, vcc_lo
	s_xor_b32 s4, exec_lo, s4
; %bb.35:
	v_bfe_u32 v98, v97, 16, 1
	s_delay_alu instid0(VALU_DEP_1)
	v_add3_u32 v98, v97, v98, 0x7fff
                                        ; implicit-def: $vgpr97
; %bb.36:
	s_and_not1_saveexec_b32 s4, s4
; %bb.37:
	v_and_b32_e32 v98, 0xffff, v97
	v_or_b32_e32 v100, 0x10000, v97
	s_delay_alu instid0(VALU_DEP_2) | instskip(NEXT) | instid1(VALU_DEP_2)
	v_cmp_eq_u32_e32 vcc_lo, 0, v98
	v_cndmask_b32_e32 v98, v100, v97, vcc_lo
; %bb.38:
	s_or_b32 exec_lo, exec_lo, s4
	v_and_b32_e32 v97, 0x7f800000, v94
	s_delay_alu instid0(VALU_DEP_1) | instskip(SKIP_1) | instid1(SALU_CYCLE_1)
	v_cmp_ne_u32_e32 vcc_lo, 0x7f800000, v97
                                        ; implicit-def: $vgpr97
	s_and_saveexec_b32 s4, vcc_lo
	s_xor_b32 s4, exec_lo, s4
; %bb.39:
	v_bfe_u32 v97, v94, 16, 1
	s_delay_alu instid0(VALU_DEP_1)
	v_add3_u32 v97, v94, v97, 0x7fff
                                        ; implicit-def: $vgpr94
; %bb.40:
	s_and_not1_saveexec_b32 s4, s4
; %bb.41:
	v_and_b32_e32 v97, 0xffff, v94
	v_or_b32_e32 v100, 0x10000, v94
	s_delay_alu instid0(VALU_DEP_2) | instskip(NEXT) | instid1(VALU_DEP_2)
	v_cmp_eq_u32_e32 vcc_lo, 0, v97
	v_cndmask_b32_e32 v97, v100, v94, vcc_lo
; %bb.42:
	s_or_b32 exec_lo, exec_lo, s4
	v_and_b32_e32 v94, 0x7f800000, v92
	s_delay_alu instid0(VALU_DEP_1) | instskip(SKIP_1) | instid1(SALU_CYCLE_1)
	v_cmp_ne_u32_e32 vcc_lo, 0x7f800000, v94
                                        ; implicit-def: $vgpr94
	s_and_saveexec_b32 s4, vcc_lo
	s_xor_b32 s4, exec_lo, s4
; %bb.43:
	v_bfe_u32 v94, v92, 16, 1
	s_delay_alu instid0(VALU_DEP_1)
	v_add3_u32 v94, v92, v94, 0x7fff
                                        ; implicit-def: $vgpr92
; %bb.44:
	s_and_not1_saveexec_b32 s4, s4
; %bb.45:
	v_and_b32_e32 v94, 0xffff, v92
	v_or_b32_e32 v100, 0x10000, v92
	s_delay_alu instid0(VALU_DEP_2) | instskip(NEXT) | instid1(VALU_DEP_2)
	v_cmp_eq_u32_e32 vcc_lo, 0, v94
	v_cndmask_b32_e32 v94, v100, v92, vcc_lo
; %bb.46:
	s_or_b32 exec_lo, exec_lo, s4
	s_load_b64 s[36:37], s[0:1], 0x94
	v_lshlrev_b32_e32 v92, 4, v83
	s_delay_alu instid0(VALU_DEP_2)
	v_perm_b32 v100, v94, v97, 0x7060302
	v_dual_mul_f32 v89, v90, v89 :: v_dual_lshlrev_b32 v94, 11, v74
	v_perm_b32 v97, v93, v91, 0x7060302
	v_mul_f32_e32 v93, v90, v77
	v_perm_b32 v99, v98, v99, 0x7060302
	v_perm_b32 v98, v96, v95, 0x7060302
	v_or3_b32 v77, v92, v94, v85
	v_mul_f32_e32 v88, v90, v88
	v_dual_mul_f32 v87, v90, v87 :: v_dual_and_b32 v94, 0x7f800000, v93
	v_mul_f32_e32 v86, v90, v86
	v_mul_f32_e32 v91, v90, v80
	v_mul_f32_e32 v92, v90, v79
	v_mul_f32_e32 v80, v90, v78
	s_mov_b32 s4, exec_lo
	ds_store_b128 v77, v[97:100]
                                        ; implicit-def: $vgpr78
	v_cmpx_ne_u32_e32 0x7f800000, v94
	s_xor_b32 s4, exec_lo, s4
; %bb.47:
	v_bfe_u32 v78, v93, 16, 1
	s_delay_alu instid0(VALU_DEP_1)
	v_add3_u32 v78, v93, v78, 0x7fff
                                        ; implicit-def: $vgpr93
; %bb.48:
	s_and_not1_saveexec_b32 s4, s4
; %bb.49:
	v_and_b32_e32 v78, 0xffff, v93
	v_or_b32_e32 v79, 0x10000, v93
	s_delay_alu instid0(VALU_DEP_2) | instskip(NEXT) | instid1(VALU_DEP_2)
	v_cmp_eq_u32_e32 vcc_lo, 0, v78
	v_cndmask_b32_e32 v78, v79, v93, vcc_lo
; %bb.50:
	s_or_b32 exec_lo, exec_lo, s4
	v_and_b32_e32 v79, 0x7f800000, v80
	s_delay_alu instid0(VALU_DEP_1) | instskip(SKIP_1) | instid1(SALU_CYCLE_1)
	v_cmp_ne_u32_e32 vcc_lo, 0x7f800000, v79
                                        ; implicit-def: $vgpr79
	s_and_saveexec_b32 s4, vcc_lo
	s_xor_b32 s4, exec_lo, s4
; %bb.51:
	v_bfe_u32 v79, v80, 16, 1
	s_delay_alu instid0(VALU_DEP_1)
	v_add3_u32 v79, v80, v79, 0x7fff
                                        ; implicit-def: $vgpr80
; %bb.52:
	s_and_not1_saveexec_b32 s4, s4
; %bb.53:
	v_and_b32_e32 v79, 0xffff, v80
	v_or_b32_e32 v90, 0x10000, v80
	s_delay_alu instid0(VALU_DEP_2) | instskip(NEXT) | instid1(VALU_DEP_2)
	v_cmp_eq_u32_e32 vcc_lo, 0, v79
	v_cndmask_b32_e32 v79, v90, v80, vcc_lo
; %bb.54:
	s_or_b32 exec_lo, exec_lo, s4
	v_and_b32_e32 v80, 0x7f800000, v92
	s_delay_alu instid0(VALU_DEP_1) | instskip(SKIP_1) | instid1(SALU_CYCLE_1)
	v_cmp_ne_u32_e32 vcc_lo, 0x7f800000, v80
                                        ; implicit-def: $vgpr80
	s_and_saveexec_b32 s4, vcc_lo
	s_xor_b32 s4, exec_lo, s4
; %bb.55:
	v_bfe_u32 v80, v92, 16, 1
	s_delay_alu instid0(VALU_DEP_1)
	v_add3_u32 v80, v92, v80, 0x7fff
                                        ; implicit-def: $vgpr92
; %bb.56:
	s_and_not1_saveexec_b32 s4, s4
; %bb.57:
	v_and_b32_e32 v80, 0xffff, v92
	v_or_b32_e32 v90, 0x10000, v92
	s_delay_alu instid0(VALU_DEP_2) | instskip(NEXT) | instid1(VALU_DEP_2)
	v_cmp_eq_u32_e32 vcc_lo, 0, v80
	v_cndmask_b32_e32 v80, v90, v92, vcc_lo
; %bb.58:
	s_or_b32 exec_lo, exec_lo, s4
	v_and_b32_e32 v90, 0x7f800000, v91
	s_delay_alu instid0(VALU_DEP_1) | instskip(SKIP_1) | instid1(SALU_CYCLE_1)
	v_cmp_ne_u32_e32 vcc_lo, 0x7f800000, v90
                                        ; implicit-def: $vgpr90
	s_and_saveexec_b32 s4, vcc_lo
	s_xor_b32 s4, exec_lo, s4
; %bb.59:
	v_bfe_u32 v90, v91, 16, 1
	s_delay_alu instid0(VALU_DEP_1)
	v_add3_u32 v90, v91, v90, 0x7fff
                                        ; implicit-def: $vgpr91
; %bb.60:
	s_and_not1_saveexec_b32 s4, s4
; %bb.61:
	v_and_b32_e32 v90, 0xffff, v91
	v_or_b32_e32 v92, 0x10000, v91
	s_delay_alu instid0(VALU_DEP_2) | instskip(NEXT) | instid1(VALU_DEP_2)
	v_cmp_eq_u32_e32 vcc_lo, 0, v90
	v_cndmask_b32_e32 v90, v92, v91, vcc_lo
; %bb.62:
	s_or_b32 exec_lo, exec_lo, s4
	v_and_b32_e32 v91, 0x7f800000, v86
	s_delay_alu instid0(VALU_DEP_1) | instskip(SKIP_1) | instid1(SALU_CYCLE_1)
	v_cmp_ne_u32_e32 vcc_lo, 0x7f800000, v91
                                        ; implicit-def: $vgpr91
	s_and_saveexec_b32 s4, vcc_lo
	s_xor_b32 s4, exec_lo, s4
; %bb.63:
	v_bfe_u32 v91, v86, 16, 1
	s_delay_alu instid0(VALU_DEP_1)
	v_add3_u32 v91, v86, v91, 0x7fff
                                        ; implicit-def: $vgpr86
; %bb.64:
	s_and_not1_saveexec_b32 s4, s4
; %bb.65:
	v_and_b32_e32 v91, 0xffff, v86
	v_or_b32_e32 v92, 0x10000, v86
	s_delay_alu instid0(VALU_DEP_2) | instskip(NEXT) | instid1(VALU_DEP_2)
	v_cmp_eq_u32_e32 vcc_lo, 0, v91
	v_cndmask_b32_e32 v91, v92, v86, vcc_lo
; %bb.66:
	s_or_b32 exec_lo, exec_lo, s4
	v_and_b32_e32 v86, 0x7f800000, v87
	s_delay_alu instid0(VALU_DEP_1) | instskip(SKIP_1) | instid1(SALU_CYCLE_1)
	v_cmp_ne_u32_e32 vcc_lo, 0x7f800000, v86
                                        ; implicit-def: $vgpr86
	s_and_saveexec_b32 s4, vcc_lo
	s_xor_b32 s4, exec_lo, s4
; %bb.67:
	v_bfe_u32 v86, v87, 16, 1
	s_delay_alu instid0(VALU_DEP_1)
	v_add3_u32 v86, v87, v86, 0x7fff
                                        ; implicit-def: $vgpr87
; %bb.68:
	s_and_not1_saveexec_b32 s4, s4
; %bb.69:
	v_and_b32_e32 v86, 0xffff, v87
	v_or_b32_e32 v92, 0x10000, v87
	s_delay_alu instid0(VALU_DEP_2) | instskip(NEXT) | instid1(VALU_DEP_2)
	v_cmp_eq_u32_e32 vcc_lo, 0, v86
	v_cndmask_b32_e32 v86, v92, v87, vcc_lo
; %bb.70:
	s_or_b32 exec_lo, exec_lo, s4
	v_and_b32_e32 v87, 0x7f800000, v88
	s_delay_alu instid0(VALU_DEP_1) | instskip(SKIP_1) | instid1(SALU_CYCLE_1)
	v_cmp_ne_u32_e32 vcc_lo, 0x7f800000, v87
                                        ; implicit-def: $vgpr87
	s_and_saveexec_b32 s4, vcc_lo
	s_xor_b32 s4, exec_lo, s4
; %bb.71:
	v_bfe_u32 v87, v88, 16, 1
	s_delay_alu instid0(VALU_DEP_1)
	v_add3_u32 v87, v88, v87, 0x7fff
                                        ; implicit-def: $vgpr88
; %bb.72:
	s_and_not1_saveexec_b32 s4, s4
; %bb.73:
	v_and_b32_e32 v87, 0xffff, v88
	v_or_b32_e32 v92, 0x10000, v88
	s_delay_alu instid0(VALU_DEP_2) | instskip(NEXT) | instid1(VALU_DEP_2)
	v_cmp_eq_u32_e32 vcc_lo, 0, v87
	v_cndmask_b32_e32 v87, v92, v88, vcc_lo
; %bb.74:
	s_or_b32 exec_lo, exec_lo, s4
	v_and_b32_e32 v88, 0x7f800000, v89
	s_delay_alu instid0(VALU_DEP_1) | instskip(SKIP_1) | instid1(SALU_CYCLE_1)
	v_cmp_ne_u32_e32 vcc_lo, 0x7f800000, v88
                                        ; implicit-def: $vgpr88
	s_and_saveexec_b32 s4, vcc_lo
	s_xor_b32 s4, exec_lo, s4
; %bb.75:
	v_bfe_u32 v88, v89, 16, 1
	s_delay_alu instid0(VALU_DEP_1)
	v_add3_u32 v88, v89, v88, 0x7fff
                                        ; implicit-def: $vgpr89
; %bb.76:
	s_and_not1_saveexec_b32 s4, s4
; %bb.77:
	v_and_b32_e32 v88, 0xffff, v89
	v_or_b32_e32 v92, 0x10000, v89
	s_delay_alu instid0(VALU_DEP_2) | instskip(NEXT) | instid1(VALU_DEP_2)
	v_cmp_eq_u32_e32 vcc_lo, 0, v88
	v_cndmask_b32_e32 v88, v92, v89, vcc_lo
; %bb.78:
	s_or_b32 exec_lo, exec_lo, s4
	s_delay_alu instid0(VALU_DEP_1)
	v_perm_b32 v89, v88, v87, 0x7060302
	v_perm_b32 v88, v86, v91, 0x7060302
	;; [unrolled: 1-line block ×4, first 2 shown]
	v_lshl_or_b32 v90, v74, 11, v85
	ds_store_b128 v77, v[86:89] offset:1024
	s_waitcnt lgkmcnt(0)
	s_barrier
	buffer_gl0_inv
	ds_load_b128 v[91:94], v90
	ds_load_b128 v[95:98], v90 offset:16
	v_lshlrev_b32_e32 v87, 2, v83
	s_delay_alu instid0(VALU_DEP_1)
	v_or_b32_e32 v88, 1, v87
	v_cmp_eq_u32_e32 vcc_lo, 1, v87
	v_cmp_eq_u32_e64 s5, 2, v87
	v_cmp_eq_u32_e64 s8, 3, v87
	;; [unrolled: 1-line block ×6, first 2 shown]
	v_or_b32_e32 v86, 2, v87
	v_cmp_eq_u32_e64 s11, 5, v87
	v_cmp_eq_u32_e64 s12, 4, v88
	;; [unrolled: 1-line block ×4, first 2 shown]
	s_waitcnt lgkmcnt(1)
	v_lshrrev_b32_e32 v74, 16, v91
	s_waitcnt lgkmcnt(0)
	v_lshrrev_b32_e32 v103, 16, v95
	v_lshrrev_b32_e32 v80, 16, v94
	;; [unrolled: 1-line block ×4, first 2 shown]
	v_cndmask_b32_e32 v89, v91, v74, vcc_lo
	v_cndmask_b32_e32 v99, v95, v103, vcc_lo
	v_cndmask_b32_e64 v100, v91, v74, s4
	v_lshrrev_b32_e32 v79, 16, v93
	v_lshrrev_b32_e32 v108, 16, v97
	v_cndmask_b32_e64 v89, v89, v92, s5
	v_cndmask_b32_e64 v99, v99, v96, s5
	;; [unrolled: 1-line block ×4, first 2 shown]
	v_cmp_eq_u32_e64 s6, 1, v86
	v_cndmask_b32_e64 v89, v89, v78, s8
	v_cndmask_b32_e64 v99, v99, v107, s8
	;; [unrolled: 1-line block ×4, first 2 shown]
	v_lshrrev_b32_e32 v109, 16, v98
	v_cndmask_b32_e64 v89, v89, v93, s10
	v_cndmask_b32_e64 v99, v99, v97, s10
	;; [unrolled: 1-line block ×8, first 2 shown]
	v_cmp_eq_u32_e64 s16, 7, v87
	v_cmp_eq_u32_e64 s17, 6, v88
	v_cndmask_b32_e64 v89, v89, v94, s13
	v_cndmask_b32_e64 v99, v99, v98, s13
	v_cmp_eq_u32_e64 s18, 2, v86
	v_cndmask_b32_e64 v101, v101, v97, s12
	v_cndmask_b32_e64 v100, v100, v94, s17
	;; [unrolled: 1-line block ×6, first 2 shown]
	v_cmp_eq_u32_e64 s19, 7, v88
	v_cmp_eq_u32_e64 s20, 3, v86
	;; [unrolled: 1-line block ×4, first 2 shown]
	v_cndmask_b32_e64 v99, v99, v96, s18
	v_cndmask_b32_e64 v112, v100, v80, s19
	;; [unrolled: 1-line block ×4, first 2 shown]
	v_or_b32_e32 v89, 3, v87
	v_cndmask_b32_e64 v105, v99, v107, s20
	v_cmp_eq_u32_e64 s25, 6, v86
	v_cndmask_b32_e64 v113, v100, v98, s17
	v_cndmask_b32_e64 v104, v101, v93, s21
	ds_load_b128 v[99:102], v90 offset:1024
	v_cmp_eq_u32_e64 s22, 1, v89
	v_cmp_eq_u32_e64 s24, 2, v89
	;; [unrolled: 1-line block ×3, first 2 shown]
	v_cndmask_b32_e64 v114, v104, v79, s23
	v_cmp_eq_u32_e64 s27, 4, v89
	v_cndmask_b32_e64 v74, v91, v74, s22
	v_cndmask_b32_e64 v91, v105, v97, s21
	;; [unrolled: 1-line block ×3, first 2 shown]
	ds_load_b128 v[103:106], v90 offset:1040
	v_cmp_eq_u32_e64 s29, 5, v89
	v_cndmask_b32_e64 v74, v74, v92, s24
	v_cndmask_b32_e64 v91, v91, v108, s23
	;; [unrolled: 1-line block ×3, first 2 shown]
	v_cmp_eq_u32_e64 s30, 6, v89
	v_cndmask_b32_e64 v95, v113, v109, s19
	v_cndmask_b32_e64 v74, v74, v78, s26
	v_cndmask_b32_e64 v78, v114, v94, s25
	v_cndmask_b32_e64 v92, v92, v107, s26
	v_cndmask_b32_e64 v91, v91, v98, s25
	s_waitcnt lgkmcnt(1)
	v_lshrrev_b32_e32 v96, 16, v99
	v_cndmask_b32_e64 v74, v74, v93, s27
	v_lshrrev_b32_e32 v107, 16, v100
	v_cndmask_b32_e64 v92, v92, v97, s27
	v_cmp_eq_u32_e64 s28, 7, v86
	v_cndmask_b32_e32 v93, v99, v96, vcc_lo
	v_cndmask_b32_e64 v74, v74, v79, s29
	s_delay_alu instid0(VALU_DEP_4)
	v_cndmask_b32_e64 v79, v92, v108, s29
	s_waitcnt lgkmcnt(0)
	v_lshrrev_b32_e32 v97, 16, v103
	v_cndmask_b32_e64 v92, v93, v100, s5
	v_cndmask_b32_e64 v93, v99, v96, s4
	;; [unrolled: 1-line block ×4, first 2 shown]
	v_cndmask_b32_e32 v108, v103, v97, vcc_lo
	v_cndmask_b32_e64 v92, v92, v107, s8
	v_cndmask_b32_e64 v93, v93, v100, s7
	v_lshrrev_b32_e32 v98, 16, v104
	v_cmp_eq_u32_e32 vcc_lo, 7, v89
	v_cndmask_b32_e64 v94, v108, v104, s5
	v_cndmask_b32_e64 v92, v92, v101, s10
	v_lshrrev_b32_e32 v108, 16, v101
	v_cndmask_b32_e64 v93, v93, v107, s9
	v_cndmask_b32_e32 v74, v74, v80, vcc_lo
	v_cndmask_b32_e64 v94, v94, v98, s8
	v_cndmask_b32_e32 v79, v79, v109, vcc_lo
	v_cndmask_b32_e64 v92, v92, v108, s11
	v_cndmask_b32_e64 v78, v78, v80, s28
	;; [unrolled: 1-line block ×4, first 2 shown]
	v_perm_b32 v94, v79, v74, 0x5040100
	v_cndmask_b32_e64 v79, v92, v102, s13
	v_perm_b32 v92, v95, v112, 0x5040100
	v_cndmask_b32_e64 v95, v99, v96, s6
	v_cndmask_b32_e64 v96, v99, v96, s22
	;; [unrolled: 1-line block ×16, first 2 shown]
	v_lshrrev_b32_e32 v109, 16, v105
	v_cndmask_b32_e64 v95, v95, v101, s21
	v_cndmask_b32_e64 v96, v96, v101, s27
	;; [unrolled: 1-line block ×6, first 2 shown]
	v_lshrrev_b32_e32 v80, 16, v102
	v_cndmask_b32_e64 v113, v93, v109, s11
	v_cndmask_b32_e64 v95, v95, v108, s23
	;; [unrolled: 1-line block ×6, first 2 shown]
	v_perm_b32 v93, v91, v78, 0x5040100
	v_cndmask_b32_e64 v74, v74, v102, s17
	v_cndmask_b32_e64 v78, v79, v80, s16
	;; [unrolled: 1-line block ×3, first 2 shown]
	v_lshrrev_b32_e32 v91, 16, v106
	v_cndmask_b32_e64 v95, v95, v102, s25
	v_cndmask_b32_e64 v96, v96, v102, s30
	;; [unrolled: 1-line block ×7, first 2 shown]
	v_cndmask_b32_e32 v80, v96, v80, vcc_lo
	v_cndmask_b32_e32 v96, v98, v91, vcc_lo
	v_cndmask_b32_e64 v99, v99, v91, s28
	v_cndmask_b32_e64 v100, v97, v91, s19
	;; [unrolled: 1-line block ×3, first 2 shown]
	v_perm_b32 v91, v111, v110, 0x5040100
	v_perm_b32 v98, v96, v80, 0x5040100
	;; [unrolled: 1-line block ×5, first 2 shown]
	s_mul_i32 s9, s37, 5
	s_mov_b32 s4, exec_lo
	ds_store_b128 v77, v[91:94]
	ds_store_b128 v77, v[95:98] offset:1024
	v_cmpx_gt_u32_e32 5, v0
	s_cbranch_execz .LBB562_80
; %bb.79:
	s_mul_i32 s5, s9, s34
	s_load_b128 s[16:19], s[0:1], 0x58
	v_add3_u32 v77, s5, s31, v73
	s_delay_alu instid0(VALU_DEP_1) | instskip(NEXT) | instid1(VALU_DEP_1)
	v_mad_u64_u32 v[73:74], null, v77, s36, s[14:15]
	v_ashrrev_i32_e32 v74, 31, v73
	s_delay_alu instid0(VALU_DEP_1) | instskip(SKIP_1) | instid1(VALU_DEP_1)
	v_lshlrev_b64 v[73:74], 2, v[73:74]
	s_waitcnt lgkmcnt(0)
	v_add_co_u32 v77, vcc_lo, s18, v73
	s_delay_alu instid0(VALU_DEP_2)
	v_add_co_ci_u32_e32 v78, vcc_lo, s19, v74, vcc_lo
	v_add_co_u32 v73, vcc_lo, s16, v73
	v_add_co_ci_u32_e32 v74, vcc_lo, s17, v74, vcc_lo
	global_store_b32 v[77:78], v75, off
	global_store_b32 v[73:74], v76, off
.LBB562_80:
	s_or_b32 exec_lo, exec_lo, s4
	s_waitcnt lgkmcnt(0)
	s_waitcnt_vscnt null, 0x0
	s_barrier
	buffer_gl0_inv
	ds_load_b128 v[91:94], v85
	ds_load_b128 v[95:98], v85 offset:16
	ds_load_b128 v[103:106], v85 offset:1040
	;; [unrolled: 1-line block ×3, first 2 shown]
	v_mov_b32_e32 v73, 0
	ds_load_b128 v[111:114], v85 offset:2064
	ds_load_b128 v[107:110], v85 offset:2048
	;; [unrolled: 1-line block ×6, first 2 shown]
	v_mov_b32_e32 v74, v73
	v_mov_b32_e32 v75, v73
	;; [unrolled: 1-line block ×7, first 2 shown]
	s_waitcnt lgkmcnt(8)
	s_delay_alu instid0(VALU_DEP_1)
	v_wmma_f32_16x16x16_bf16 v[73:80], v[65:72], v[91:98], v[73:80]
	ds_load_b128 v[69:72], v85 offset:5136
	ds_load_b128 v[65:68], v85 offset:5120
	;; [unrolled: 1-line block ×4, first 2 shown]
	s_waitcnt lgkmcnt(10)
	v_wmma_f32_16x16x16_bf16 v[73:80], v[57:64], v[99:106], v[73:80]
	s_waitcnt lgkmcnt(8)
	s_delay_alu instid0(VALU_DEP_1)
	v_wmma_f32_16x16x16_bf16 v[73:80], v[57:64], v[107:114], v[73:80]
	ds_load_b128 v[61:64], v85 offset:7184
	ds_load_b128 v[57:60], v85 offset:7168
	;; [unrolled: 1-line block ×4, first 2 shown]
	s_waitcnt lgkmcnt(10)
	v_wmma_f32_16x16x16_bf16 v[73:80], v[49:56], v[115:122], v[73:80]
	s_waitcnt lgkmcnt(8)
	s_delay_alu instid0(VALU_DEP_1)
	v_wmma_f32_16x16x16_bf16 v[73:80], v[49:56], v[123:130], v[73:80]
	ds_load_b128 v[53:56], v85 offset:9232
	ds_load_b128 v[49:52], v85 offset:9216
	s_waitcnt lgkmcnt(8)
	v_wmma_f32_16x16x16_bf16 v[73:80], v[41:48], v[65:72], v[73:80]
	ds_load_b128 v[69:72], v85 offset:10256
	ds_load_b128 v[65:68], v85 offset:10240
	s_waitcnt lgkmcnt(8)
	;; [unrolled: 4-line block ×3, first 2 shown]
	v_wmma_f32_16x16x16_bf16 v[73:80], v[9:16], v[57:64], v[73:80]
	s_waitcnt lgkmcnt(6)
	s_delay_alu instid0(VALU_DEP_1)
	v_wmma_f32_16x16x16_bf16 v[73:80], v[9:16], v[99:106], v[73:80]
	ds_load_b128 v[13:16], v85 offset:12304
	ds_load_b128 v[9:12], v85 offset:12288
	s_waitcnt lgkmcnt(6)
	v_wmma_f32_16x16x16_bf16 v[73:80], v[1:8], v[49:56], v[73:80]
	ds_load_b128 v[53:56], v85 offset:13328
	ds_load_b128 v[49:52], v85 offset:13312
	s_waitcnt lgkmcnt(6)
	;; [unrolled: 4-line block ×4, first 2 shown]
	v_wmma_f32_16x16x16_bf16 v[73:80], v[33:40], v[9:16], v[73:80]
	s_waitcnt lgkmcnt(4)
	s_delay_alu instid0(VALU_DEP_1) | instskip(SKIP_1) | instid1(VALU_DEP_1)
	v_wmma_f32_16x16x16_bf16 v[73:80], v[25:32], v[49:56], v[73:80]
	s_waitcnt lgkmcnt(2)
	v_wmma_f32_16x16x16_bf16 v[73:80], v[25:32], v[1:8], v[73:80]
	s_waitcnt lgkmcnt(0)
	s_delay_alu instid0(VALU_DEP_1) | instskip(NEXT) | instid1(VALU_DEP_1)
	v_wmma_f32_16x16x16_bf16 v[73:80], v[17:24], v[41:48], v[73:80]
	v_and_b32_e32 v1, 0x7f800000, v73
	s_delay_alu instid0(VALU_DEP_1) | instskip(SKIP_1) | instid1(SALU_CYCLE_1)
	v_cmp_ne_u32_e32 vcc_lo, 0x7f800000, v1
                                        ; implicit-def: $vgpr1
	s_and_saveexec_b32 s4, vcc_lo
	s_xor_b32 s4, exec_lo, s4
; %bb.81:
	v_bfe_u32 v1, v73, 16, 1
	s_delay_alu instid0(VALU_DEP_1)
	v_add3_u32 v1, v73, v1, 0x7fff
; %bb.82:
	s_and_not1_saveexec_b32 s4, s4
; %bb.83:
	v_and_b32_e32 v1, 0xffff, v73
	v_or_b32_e32 v2, 0x10000, v73
	s_delay_alu instid0(VALU_DEP_2) | instskip(NEXT) | instid1(VALU_DEP_2)
	v_cmp_eq_u32_e32 vcc_lo, 0, v1
	v_cndmask_b32_e32 v1, v2, v73, vcc_lo
; %bb.84:
	s_or_b32 exec_lo, exec_lo, s4
	v_and_b32_e32 v2, 0x7f800000, v74
	s_delay_alu instid0(VALU_DEP_1) | instskip(SKIP_1) | instid1(SALU_CYCLE_1)
	v_cmp_ne_u32_e32 vcc_lo, 0x7f800000, v2
                                        ; implicit-def: $vgpr2
	s_and_saveexec_b32 s4, vcc_lo
	s_xor_b32 s4, exec_lo, s4
; %bb.85:
	v_bfe_u32 v2, v74, 16, 1
	s_delay_alu instid0(VALU_DEP_1)
	v_add3_u32 v2, v74, v2, 0x7fff
; %bb.86:
	s_and_not1_saveexec_b32 s4, s4
; %bb.87:
	v_and_b32_e32 v2, 0xffff, v74
	v_or_b32_e32 v3, 0x10000, v74
	s_delay_alu instid0(VALU_DEP_2) | instskip(NEXT) | instid1(VALU_DEP_2)
	v_cmp_eq_u32_e32 vcc_lo, 0, v2
	v_cndmask_b32_e32 v2, v3, v74, vcc_lo
; %bb.88:
	s_or_b32 exec_lo, exec_lo, s4
	v_and_b32_e32 v3, 0x7f800000, v75
	s_delay_alu instid0(VALU_DEP_1) | instskip(SKIP_1) | instid1(SALU_CYCLE_1)
	v_cmp_ne_u32_e32 vcc_lo, 0x7f800000, v3
                                        ; implicit-def: $vgpr3
	s_and_saveexec_b32 s4, vcc_lo
	s_xor_b32 s4, exec_lo, s4
; %bb.89:
	v_bfe_u32 v3, v75, 16, 1
	s_delay_alu instid0(VALU_DEP_1)
	v_add3_u32 v3, v75, v3, 0x7fff
; %bb.90:
	s_and_not1_saveexec_b32 s4, s4
; %bb.91:
	v_and_b32_e32 v3, 0xffff, v75
	v_or_b32_e32 v4, 0x10000, v75
	s_delay_alu instid0(VALU_DEP_2) | instskip(NEXT) | instid1(VALU_DEP_2)
	v_cmp_eq_u32_e32 vcc_lo, 0, v3
	v_cndmask_b32_e32 v3, v4, v75, vcc_lo
; %bb.92:
	s_or_b32 exec_lo, exec_lo, s4
	v_and_b32_e32 v4, 0x7f800000, v76
	s_delay_alu instid0(VALU_DEP_1) | instskip(SKIP_1) | instid1(SALU_CYCLE_1)
	v_cmp_ne_u32_e32 vcc_lo, 0x7f800000, v4
                                        ; implicit-def: $vgpr4
	s_and_saveexec_b32 s4, vcc_lo
	s_xor_b32 s4, exec_lo, s4
; %bb.93:
	v_bfe_u32 v4, v76, 16, 1
	s_delay_alu instid0(VALU_DEP_1)
	v_add3_u32 v4, v76, v4, 0x7fff
; %bb.94:
	s_and_not1_saveexec_b32 s4, s4
; %bb.95:
	v_and_b32_e32 v4, 0xffff, v76
	v_or_b32_e32 v5, 0x10000, v76
	s_delay_alu instid0(VALU_DEP_2) | instskip(NEXT) | instid1(VALU_DEP_2)
	v_cmp_eq_u32_e32 vcc_lo, 0, v4
	v_cndmask_b32_e32 v4, v5, v76, vcc_lo
; %bb.96:
	s_or_b32 exec_lo, exec_lo, s4
	v_and_b32_e32 v5, 0x7f800000, v77
	s_delay_alu instid0(VALU_DEP_1) | instskip(SKIP_1) | instid1(SALU_CYCLE_1)
	v_cmp_ne_u32_e32 vcc_lo, 0x7f800000, v5
                                        ; implicit-def: $vgpr5
	s_and_saveexec_b32 s4, vcc_lo
	s_xor_b32 s4, exec_lo, s4
; %bb.97:
	v_bfe_u32 v5, v77, 16, 1
	s_delay_alu instid0(VALU_DEP_1)
	v_add3_u32 v5, v77, v5, 0x7fff
; %bb.98:
	s_and_not1_saveexec_b32 s4, s4
; %bb.99:
	v_and_b32_e32 v5, 0xffff, v77
	v_or_b32_e32 v6, 0x10000, v77
	s_delay_alu instid0(VALU_DEP_2) | instskip(NEXT) | instid1(VALU_DEP_2)
	v_cmp_eq_u32_e32 vcc_lo, 0, v5
	v_cndmask_b32_e32 v5, v6, v77, vcc_lo
; %bb.100:
	s_or_b32 exec_lo, exec_lo, s4
	v_and_b32_e32 v6, 0x7f800000, v78
	s_delay_alu instid0(VALU_DEP_1) | instskip(SKIP_1) | instid1(SALU_CYCLE_1)
	v_cmp_ne_u32_e32 vcc_lo, 0x7f800000, v6
                                        ; implicit-def: $vgpr6
	s_and_saveexec_b32 s4, vcc_lo
	s_xor_b32 s4, exec_lo, s4
; %bb.101:
	v_bfe_u32 v6, v78, 16, 1
	s_delay_alu instid0(VALU_DEP_1)
	v_add3_u32 v6, v78, v6, 0x7fff
; %bb.102:
	s_and_not1_saveexec_b32 s4, s4
; %bb.103:
	v_and_b32_e32 v6, 0xffff, v78
	v_or_b32_e32 v7, 0x10000, v78
	s_delay_alu instid0(VALU_DEP_2) | instskip(NEXT) | instid1(VALU_DEP_2)
	v_cmp_eq_u32_e32 vcc_lo, 0, v6
	v_cndmask_b32_e32 v6, v7, v78, vcc_lo
; %bb.104:
	s_or_b32 exec_lo, exec_lo, s4
	v_and_b32_e32 v7, 0x7f800000, v79
	s_delay_alu instid0(VALU_DEP_1) | instskip(SKIP_1) | instid1(SALU_CYCLE_1)
	v_cmp_ne_u32_e32 vcc_lo, 0x7f800000, v7
                                        ; implicit-def: $vgpr7
	s_and_saveexec_b32 s4, vcc_lo
	s_xor_b32 s4, exec_lo, s4
; %bb.105:
	v_bfe_u32 v7, v79, 16, 1
	s_delay_alu instid0(VALU_DEP_1)
	v_add3_u32 v7, v79, v7, 0x7fff
; %bb.106:
	s_and_not1_saveexec_b32 s4, s4
; %bb.107:
	v_and_b32_e32 v7, 0xffff, v79
	v_or_b32_e32 v8, 0x10000, v79
	s_delay_alu instid0(VALU_DEP_2) | instskip(NEXT) | instid1(VALU_DEP_2)
	v_cmp_eq_u32_e32 vcc_lo, 0, v7
	v_cndmask_b32_e32 v7, v8, v79, vcc_lo
; %bb.108:
	s_or_b32 exec_lo, exec_lo, s4
	v_and_b32_e32 v8, 0x7f800000, v80
	s_delay_alu instid0(VALU_DEP_1) | instskip(SKIP_1) | instid1(SALU_CYCLE_1)
	v_cmp_ne_u32_e32 vcc_lo, 0x7f800000, v8
                                        ; implicit-def: $vgpr8
	s_and_saveexec_b32 s4, vcc_lo
	s_xor_b32 s4, exec_lo, s4
; %bb.109:
	v_bfe_u32 v8, v80, 16, 1
	s_delay_alu instid0(VALU_DEP_1)
	v_add3_u32 v8, v80, v8, 0x7fff
                                        ; implicit-def: $vgpr73_vgpr74_vgpr75_vgpr76_vgpr77_vgpr78_vgpr79_vgpr80
; %bb.110:
	s_and_not1_saveexec_b32 s4, s4
; %bb.111:
	v_and_b32_e32 v8, 0xffff, v80
	v_or_b32_e32 v9, 0x10000, v80
	s_delay_alu instid0(VALU_DEP_2) | instskip(NEXT) | instid1(VALU_DEP_2)
	v_cmp_eq_u32_e32 vcc_lo, 0, v8
	v_cndmask_b32_e32 v8, v9, v80, vcc_lo
; %bb.112:
	s_or_b32 exec_lo, exec_lo, s4
	s_delay_alu instid0(VALU_DEP_1)
	v_perm_b32 v7, v8, v7, 0x7060302
	v_perm_b32 v6, v6, v5, 0x7060302
	;; [unrolled: 1-line block ×4, first 2 shown]
	v_lshl_or_b32 v9, v83, 4, v90
	s_barrier
	buffer_gl0_inv
	v_cmp_eq_u32_e32 vcc_lo, 1, v87
	ds_store_b128 v9, v[4:7]
	s_waitcnt lgkmcnt(0)
	s_barrier
	buffer_gl0_inv
	ds_load_b128 v[1:4], v90
	ds_load_b128 v[5:8], v90 offset:16
	v_cmp_eq_u32_e64 s5, 2, v87
	v_cmp_eq_u32_e64 s4, 1, v88
	;; [unrolled: 1-line block ×5, first 2 shown]
	s_waitcnt lgkmcnt(1)
	v_lshrrev_b32_e32 v10, 16, v1
	s_waitcnt lgkmcnt(0)
	v_lshrrev_b32_e32 v14, 16, v5
	v_lshrrev_b32_e32 v15, 16, v6
	v_lshrrev_b32_e32 v11, 16, v2
	v_lshrrev_b32_e32 v12, 16, v3
	v_cndmask_b32_e64 v20, v1, v10, s4
	v_cndmask_b32_e32 v19, v5, v14, vcc_lo
	v_cndmask_b32_e64 v21, v5, v14, s4
	v_lshrrev_b32_e32 v16, 16, v7
	v_cmp_eq_u32_e64 s4, 1, v86
	v_lshrrev_b32_e32 v13, 16, v4
	v_cndmask_b32_e64 v19, v19, v6, s5
	v_lshrrev_b32_e32 v17, 16, v8
	s_delay_alu instid0(VALU_DEP_4) | instskip(SKIP_1) | instid1(VALU_DEP_4)
	v_cndmask_b32_e64 v22, v1, v10, s4
	v_cndmask_b32_e64 v23, v5, v14, s4
	v_cndmask_b32_e64 v19, v19, v15, s6
	v_cndmask_b32_e32 v18, v1, v10, vcc_lo
	v_cmp_eq_u32_e32 vcc_lo, 2, v88
	v_cmp_eq_u32_e64 s4, 2, v89
	v_cndmask_b32_e64 v22, v22, v2, s8
	v_cndmask_b32_e32 v20, v20, v2, vcc_lo
	v_cndmask_b32_e32 v21, v21, v6, vcc_lo
	v_cmp_eq_u32_e32 vcc_lo, 4, v87
	v_cndmask_b32_e32 v19, v19, v7, vcc_lo
	v_cndmask_b32_e64 v18, v18, v2, s5
	v_cmp_eq_u32_e64 s5, 3, v88
	s_delay_alu instid0(VALU_DEP_2) | instskip(NEXT) | instid1(VALU_DEP_2)
	v_cndmask_b32_e64 v18, v18, v11, s6
	v_cndmask_b32_e64 v21, v21, v15, s5
	v_cmp_eq_u32_e64 s6, 5, v87
	s_delay_alu instid0(VALU_DEP_3) | instskip(SKIP_1) | instid1(VALU_DEP_3)
	v_cndmask_b32_e32 v18, v18, v3, vcc_lo
	v_cmp_eq_u32_e32 vcc_lo, 4, v88
	v_cndmask_b32_e64 v19, v19, v16, s6
	s_delay_alu instid0(VALU_DEP_3) | instskip(SKIP_4) | instid1(VALU_DEP_3)
	v_cndmask_b32_e64 v18, v18, v12, s6
	v_cndmask_b32_e32 v21, v21, v7, vcc_lo
	v_cndmask_b32_e64 v20, v20, v11, s5
	v_cmp_eq_u32_e64 s5, 5, v88
	v_cmp_eq_u32_e64 s6, 6, v87
	v_cndmask_b32_e32 v20, v20, v3, vcc_lo
	s_delay_alu instid0(VALU_DEP_3) | instskip(SKIP_1) | instid1(VALU_DEP_4)
	v_cndmask_b32_e64 v21, v21, v16, s5
	v_cmp_eq_u32_e32 vcc_lo, 6, v88
	v_cndmask_b32_e64 v18, v18, v4, s6
	v_cndmask_b32_e64 v19, v19, v8, s6
	;; [unrolled: 1-line block ×3, first 2 shown]
	v_cmp_eq_u32_e64 s5, 1, v89
	v_cmp_eq_u32_e64 s6, 7, v87
	s_delay_alu instid0(VALU_DEP_3) | instskip(NEXT) | instid1(VALU_DEP_3)
	v_cndmask_b32_e32 v20, v20, v4, vcc_lo
	v_cndmask_b32_e64 v1, v1, v10, s5
	v_cndmask_b32_e64 v5, v5, v14, s5
	v_cmp_eq_u32_e64 s5, 3, v86
	v_cndmask_b32_e64 v14, v23, v6, s8
	v_cmp_eq_u32_e64 s8, 3, v89
	v_cndmask_b32_e64 v1, v1, v2, s4
	v_cndmask_b32_e64 v2, v5, v6, s4
	;; [unrolled: 1-line block ×3, first 2 shown]
	v_cmp_eq_u32_e64 s4, 4, v86
	v_cndmask_b32_e64 v6, v14, v15, s5
	v_cndmask_b32_e64 v1, v1, v11, s8
	v_cmp_eq_u32_e64 s5, 4, v89
	v_cndmask_b32_e64 v2, v2, v15, s8
	v_cndmask_b32_e64 v5, v10, v3, s4
	;; [unrolled: 3-line block ×3, first 2 shown]
	v_cndmask_b32_e64 v2, v2, v7, s5
	v_cmp_eq_u32_e64 s4, 5, v89
	v_cndmask_b32_e64 v5, v5, v12, s8
	v_cmp_eq_u32_e64 s5, 6, v86
	;; [unrolled: 2-line block ×3, first 2 shown]
	v_cndmask_b32_e64 v1, v1, v12, s4
	v_cndmask_b32_e64 v2, v2, v16, s4
	;; [unrolled: 1-line block ×4, first 2 shown]
	v_cmp_eq_u32_e64 s4, 7, v89
	v_cndmask_b32_e64 v1, v1, v4, s8
	v_cndmask_b32_e64 v2, v2, v8, s8
	v_cmp_eq_u32_e64 s5, 7, v86
	v_cndmask_b32_e32 v4, v21, v8, vcc_lo
	v_cndmask_b32_e64 v18, v18, v13, s6
	v_cndmask_b32_e64 v20, v20, v13, s7
	v_cndmask_b32_e64 v1, v1, v13, s4
	v_cndmask_b32_e64 v5, v5, v13, s5
	v_cndmask_b32_e64 v2, v2, v17, s4
	v_cndmask_b32_e64 v3, v3, v17, s5
	v_cndmask_b32_e64 v6, v4, v17, s7
	v_cndmask_b32_e64 v7, v19, v17, s6
	v_cmp_gt_u32_e32 vcc_lo, 32, v0
	v_perm_b32 v4, v2, v1, 0x5040100
	v_perm_b32 v3, v3, v5, 0x5040100
	v_perm_b32 v2, v6, v20, 0x5040100
	v_perm_b32 v1, v7, v18, 0x5040100
	s_and_b32 s2, vcc_lo, s2
	ds_store_b128 v9, v[1:4]
	s_waitcnt lgkmcnt(0)
	s_barrier
	buffer_gl0_inv
	s_and_saveexec_b32 s4, s2
	s_cbranch_execz .LBB562_2
; %bb.113:
	s_load_b64 s[4:5], s[0:1], 0x68
	v_lshlrev_b32_e32 v0, 10, v0
	v_add_nc_u32_e32 v2, s31, v83
	v_lshlrev_b32_e32 v3, 4, v84
	s_lshl_b32 s0, s36, 6
	s_delay_alu instid0(SALU_CYCLE_1) | instskip(NEXT) | instid1(VALU_DEP_2)
	s_mul_i32 s1, s0, s34
	v_mul_lo_u32 v1, v2, s0
	s_delay_alu instid0(VALU_DEP_2) | instskip(SKIP_2) | instid1(SALU_CYCLE_1)
	v_and_or_b32 v0, 0x3800, v0, v3
	v_add_nc_u32_e32 v2, 2, v2
	s_mul_i32 s6, s1, s9
	s_ashr_i32 s7, s6, 31
	s_delay_alu instid0(VALU_DEP_2)
	v_lshl_or_b32 v7, v83, 6, v0
	s_lshl_b64 s[6:7], s[6:7], 1
	v_mul_lo_u32 v11, v2, s0
	v_ashrrev_i32_e32 v2, 31, v1
	ds_load_b128 v[3:6], v7
	ds_load_b128 v[7:10], v7 offset:128
	s_waitcnt lgkmcnt(0)
	s_add_u32 s1, s4, s6
	s_addc_u32 s2, s5, s7
	s_lshl_b32 s4, s14, 6
	v_ashrrev_i32_e32 v12, 31, v11
	s_ashr_i32 s5, s4, 31
	v_lshlrev_b64 v[13:14], 1, v[1:2]
	s_lshl_b64 s[4:5], s[4:5], 1
	s_delay_alu instid0(SALU_CYCLE_1) | instskip(SKIP_4) | instid1(VALU_DEP_3)
	s_add_u32 s1, s1, s4
	s_addc_u32 s2, s2, s5
	v_add_co_u32 v1, vcc_lo, s1, v81
	v_add_co_ci_u32_e32 v2, vcc_lo, s2, v82, vcc_lo
	v_lshlrev_b64 v[11:12], 1, v[11:12]
	v_add_co_u32 v13, vcc_lo, v1, v13
	s_delay_alu instid0(VALU_DEP_3) | instskip(NEXT) | instid1(VALU_DEP_3)
	v_add_co_ci_u32_e32 v14, vcc_lo, v2, v14, vcc_lo
	v_add_co_u32 v11, vcc_lo, v1, v11
	s_delay_alu instid0(VALU_DEP_4)
	v_add_co_ci_u32_e32 v12, vcc_lo, v2, v12, vcc_lo
	s_clause 0x1
	global_store_b128 v[13:14], v[3:6], off
	global_store_b128 v[11:12], v[7:10], off
	s_and_b32 exec_lo, exec_lo, s3
	s_cbranch_execz .LBB562_2
; %bb.114:
	ds_load_b128 v[3:6], v0 offset:256
	s_add_i32 s1, s31, 4
	s_delay_alu instid0(SALU_CYCLE_1) | instskip(NEXT) | instid1(SALU_CYCLE_1)
	s_mul_i32 s0, s1, s0
	s_ashr_i32 s1, s0, 31
	s_delay_alu instid0(SALU_CYCLE_1) | instskip(NEXT) | instid1(SALU_CYCLE_1)
	s_lshl_b64 s[0:1], s[0:1], 1
	v_add_co_u32 v0, vcc_lo, v1, s0
	v_add_co_ci_u32_e32 v1, vcc_lo, s1, v2, vcc_lo
	s_waitcnt lgkmcnt(0)
	global_store_b128 v[0:1], v[3:6], off
	s_nop 0
	s_sendmsg sendmsg(MSG_DEALLOC_VGPRS)
	s_endpgm
	.section	.rodata,"a",@progbits
	.p2align	6, 0x0
	.amdhsa_kernel _Z39paged_attention_ll4mi_QKV_mfma16_kernelI14__hip_bfloat16S0_LN4vllm18Fp8KVCacheDataTypeE0ES0_Li32ELi64ELi256ELb0ELi5EL8MFMAType0EEvPKT_PKT0_S9_ifPKiSB_SB_iPKfiiiPfSE_PS4_PT2_iSD_SD_
		.amdhsa_group_segment_fixed_size 17472
		.amdhsa_private_segment_fixed_size 0
		.amdhsa_kernarg_size 400
		.amdhsa_user_sgpr_count 13
		.amdhsa_user_sgpr_dispatch_ptr 0
		.amdhsa_user_sgpr_queue_ptr 0
		.amdhsa_user_sgpr_kernarg_segment_ptr 1
		.amdhsa_user_sgpr_dispatch_id 0
		.amdhsa_user_sgpr_private_segment_size 0
		.amdhsa_wavefront_size32 1
		.amdhsa_uses_dynamic_stack 0
		.amdhsa_enable_private_segment 0
		.amdhsa_system_sgpr_workgroup_id_x 1
		.amdhsa_system_sgpr_workgroup_id_y 1
		.amdhsa_system_sgpr_workgroup_id_z 1
		.amdhsa_system_sgpr_workgroup_info 0
		.amdhsa_system_vgpr_workitem_id 0
		.amdhsa_next_free_vgpr 142
		.amdhsa_next_free_sgpr 39
		.amdhsa_reserve_vcc 1
		.amdhsa_float_round_mode_32 0
		.amdhsa_float_round_mode_16_64 0
		.amdhsa_float_denorm_mode_32 3
		.amdhsa_float_denorm_mode_16_64 3
		.amdhsa_dx10_clamp 1
		.amdhsa_ieee_mode 1
		.amdhsa_fp16_overflow 0
		.amdhsa_workgroup_processor_mode 1
		.amdhsa_memory_ordered 1
		.amdhsa_forward_progress 0
		.amdhsa_shared_vgpr_count 0
		.amdhsa_exception_fp_ieee_invalid_op 0
		.amdhsa_exception_fp_denorm_src 0
		.amdhsa_exception_fp_ieee_div_zero 0
		.amdhsa_exception_fp_ieee_overflow 0
		.amdhsa_exception_fp_ieee_underflow 0
		.amdhsa_exception_fp_ieee_inexact 0
		.amdhsa_exception_int_div_zero 0
	.end_amdhsa_kernel
	.section	.text._Z39paged_attention_ll4mi_QKV_mfma16_kernelI14__hip_bfloat16S0_LN4vllm18Fp8KVCacheDataTypeE0ES0_Li32ELi64ELi256ELb0ELi5EL8MFMAType0EEvPKT_PKT0_S9_ifPKiSB_SB_iPKfiiiPfSE_PS4_PT2_iSD_SD_,"axG",@progbits,_Z39paged_attention_ll4mi_QKV_mfma16_kernelI14__hip_bfloat16S0_LN4vllm18Fp8KVCacheDataTypeE0ES0_Li32ELi64ELi256ELb0ELi5EL8MFMAType0EEvPKT_PKT0_S9_ifPKiSB_SB_iPKfiiiPfSE_PS4_PT2_iSD_SD_,comdat
.Lfunc_end562:
	.size	_Z39paged_attention_ll4mi_QKV_mfma16_kernelI14__hip_bfloat16S0_LN4vllm18Fp8KVCacheDataTypeE0ES0_Li32ELi64ELi256ELb0ELi5EL8MFMAType0EEvPKT_PKT0_S9_ifPKiSB_SB_iPKfiiiPfSE_PS4_PT2_iSD_SD_, .Lfunc_end562-_Z39paged_attention_ll4mi_QKV_mfma16_kernelI14__hip_bfloat16S0_LN4vllm18Fp8KVCacheDataTypeE0ES0_Li32ELi64ELi256ELb0ELi5EL8MFMAType0EEvPKT_PKT0_S9_ifPKiSB_SB_iPKfiiiPfSE_PS4_PT2_iSD_SD_
                                        ; -- End function
	.section	.AMDGPU.csdata,"",@progbits
; Kernel info:
; codeLenInByte = 9408
; NumSgprs: 41
; NumVgprs: 142
; ScratchSize: 0
; MemoryBound: 0
; FloatMode: 240
; IeeeMode: 1
; LDSByteSize: 17472 bytes/workgroup (compile time only)
; SGPRBlocks: 5
; VGPRBlocks: 17
; NumSGPRsForWavesPerEU: 41
; NumVGPRsForWavesPerEU: 142
; Occupancy: 10
; WaveLimiterHint : 1
; COMPUTE_PGM_RSRC2:SCRATCH_EN: 0
; COMPUTE_PGM_RSRC2:USER_SGPR: 13
; COMPUTE_PGM_RSRC2:TRAP_HANDLER: 0
; COMPUTE_PGM_RSRC2:TGID_X_EN: 1
; COMPUTE_PGM_RSRC2:TGID_Y_EN: 1
; COMPUTE_PGM_RSRC2:TGID_Z_EN: 1
; COMPUTE_PGM_RSRC2:TIDIG_COMP_CNT: 0
	.section	.text._Z39paged_attention_ll4mi_QKV_mfma16_kernelI14__hip_bfloat16S0_LN4vllm18Fp8KVCacheDataTypeE0ES0_Li32ELi64ELi256ELb0ELi6EL8MFMAType0EEvPKT_PKT0_S9_ifPKiSB_SB_iPKfiiiPfSE_PS4_PT2_iSD_SD_,"axG",@progbits,_Z39paged_attention_ll4mi_QKV_mfma16_kernelI14__hip_bfloat16S0_LN4vllm18Fp8KVCacheDataTypeE0ES0_Li32ELi64ELi256ELb0ELi6EL8MFMAType0EEvPKT_PKT0_S9_ifPKiSB_SB_iPKfiiiPfSE_PS4_PT2_iSD_SD_,comdat
	.protected	_Z39paged_attention_ll4mi_QKV_mfma16_kernelI14__hip_bfloat16S0_LN4vllm18Fp8KVCacheDataTypeE0ES0_Li32ELi64ELi256ELb0ELi6EL8MFMAType0EEvPKT_PKT0_S9_ifPKiSB_SB_iPKfiiiPfSE_PS4_PT2_iSD_SD_ ; -- Begin function _Z39paged_attention_ll4mi_QKV_mfma16_kernelI14__hip_bfloat16S0_LN4vllm18Fp8KVCacheDataTypeE0ES0_Li32ELi64ELi256ELb0ELi6EL8MFMAType0EEvPKT_PKT0_S9_ifPKiSB_SB_iPKfiiiPfSE_PS4_PT2_iSD_SD_
	.globl	_Z39paged_attention_ll4mi_QKV_mfma16_kernelI14__hip_bfloat16S0_LN4vllm18Fp8KVCacheDataTypeE0ES0_Li32ELi64ELi256ELb0ELi6EL8MFMAType0EEvPKT_PKT0_S9_ifPKiSB_SB_iPKfiiiPfSE_PS4_PT2_iSD_SD_
	.p2align	8
	.type	_Z39paged_attention_ll4mi_QKV_mfma16_kernelI14__hip_bfloat16S0_LN4vllm18Fp8KVCacheDataTypeE0ES0_Li32ELi64ELi256ELb0ELi6EL8MFMAType0EEvPKT_PKT0_S9_ifPKiSB_SB_iPKfiiiPfSE_PS4_PT2_iSD_SD_,@function
_Z39paged_attention_ll4mi_QKV_mfma16_kernelI14__hip_bfloat16S0_LN4vllm18Fp8KVCacheDataTypeE0ES0_Li32ELi64ELi256ELb0ELi6EL8MFMAType0EEvPKT_PKT0_S9_ifPKiSB_SB_iPKfiiiPfSE_PS4_PT2_iSD_SD_: ; @_Z39paged_attention_ll4mi_QKV_mfma16_kernelI14__hip_bfloat16S0_LN4vllm18Fp8KVCacheDataTypeE0ES0_Li32ELi64ELi256ELb0ELi6EL8MFMAType0EEvPKT_PKT0_S9_ifPKiSB_SB_iPKfiiiPfSE_PS4_PT2_iSD_SD_
; %bb.0:
	s_load_b64 s[2:3], s[0:1], 0x30
	s_mov_b32 s30, s13
	s_waitcnt lgkmcnt(0)
	s_cmp_lg_u64 s[2:3], 0
	s_cselect_b32 s6, -1, 0
	s_ashr_i32 s31, s13, 31
	s_cmp_eq_u64 s[2:3], 0
	s_cbranch_scc1 .LBB563_3
; %bb.1:
	s_lshl_b64 s[4:5], s[30:31], 2
	s_delay_alu instid0(SALU_CYCLE_1) | instskip(SKIP_4) | instid1(SALU_CYCLE_1)
	s_add_u32 s4, s2, s4
	s_addc_u32 s5, s3, s5
	s_load_b64 s[4:5], s[4:5], 0x0
	s_waitcnt lgkmcnt(0)
	s_sub_i32 s4, s5, s4
	s_cmp_eq_u32 s4, 1
	s_cselect_b32 s4, -1, 0
	s_delay_alu instid0(SALU_CYCLE_1)
	s_and_not1_b32 vcc_lo, exec_lo, s4
	s_cbranch_vccz .LBB563_4
.LBB563_2:
	s_endpgm
.LBB563_3:
.LBB563_4:
	s_load_b64 s[8:9], s[0:1], 0x28
	s_lshl_b64 s[4:5], s[30:31], 2
	s_waitcnt lgkmcnt(0)
	s_add_u32 s8, s8, s4
	s_addc_u32 s9, s9, s5
	s_lshl_b32 s16, s14, 8
	s_load_b32 s18, s[8:9], 0x0
	s_waitcnt lgkmcnt(0)
	s_cmp_ge_i32 s16, s18
	s_cbranch_scc1 .LBB563_2
; %bb.5:
	s_and_not1_b32 vcc_lo, exec_lo, s6
	s_cbranch_vccnz .LBB563_7
; %bb.6:
	s_add_u32 s2, s2, s4
	s_addc_u32 s3, s3, s5
	s_load_b32 s17, s[2:3], 0x0
	s_branch .LBB563_8
.LBB563_7:
	s_mov_b32 s17, s30
.LBB563_8:
	s_clause 0x2
	s_load_b128 s[8:11], s[0:1], 0x8
	s_load_b64 s[12:13], s[0:1], 0x20
	s_load_b128 s[4:7], s[0:1], 0x48
	v_and_b32_e32 v73, 15, v0
	v_cmp_lt_u32_e32 vcc_lo, 0x5f, v0
	s_delay_alu instid0(VALU_DEP_2) | instskip(SKIP_2) | instid1(VALU_DEP_3)
	v_cmp_lt_u32_e64 s3, 7, v73
	v_lshlrev_b32_e32 v1, 3, v73
	v_cmp_gt_u32_e64 s2, 8, v73
	s_or_b32 s3, vcc_lo, s3
	s_waitcnt lgkmcnt(0)
	s_and_saveexec_b32 s7, s3
	s_delay_alu instid0(SALU_CYCLE_1)
	s_xor_b32 s3, exec_lo, s7
; %bb.9:
	v_mov_b32_e32 v2, 0
; %bb.10:
	s_or_saveexec_b32 s3, s3
	v_lshrrev_b32_e32 v74, 5, v0
	v_and_b32_e32 v75, 31, v0
	v_and_b32_e32 v84, 1, v0
	v_bfe_u32 v83, v0, 4, 1
	s_mul_i32 s31, s15, 6
	s_xor_b32 exec_lo, exec_lo, s3
	s_cbranch_execz .LBB563_12
; %bb.11:
	s_load_b64 s[20:21], s[0:1], 0x0
	v_lshl_or_b32 v7, v74, 1, v83
	s_mul_hi_i32 s23, s17, s4
	s_mul_i32 s22, s17, s4
	v_lshlrev_b32_e32 v4, 1, v1
	s_lshl_b64 s[22:23], s[22:23], 1
	v_add_lshl_u32 v2, v7, s31, 6
	v_lshlrev_b32_e32 v7, 6, v7
	v_lshlrev_b32_e32 v8, 10, v84
	s_delay_alu instid0(VALU_DEP_3) | instskip(NEXT) | instid1(VALU_DEP_1)
	v_ashrrev_i32_e32 v3, 31, v2
	v_lshlrev_b64 v[2:3], 1, v[2:3]
	s_waitcnt lgkmcnt(0)
	s_add_u32 s4, s20, s22
	s_addc_u32 s7, s21, s23
	s_delay_alu instid0(VALU_DEP_1) | instskip(NEXT) | instid1(VALU_DEP_2)
	v_add_co_u32 v2, vcc_lo, s4, v2
	v_add_co_ci_u32_e32 v3, vcc_lo, s7, v3, vcc_lo
	s_delay_alu instid0(VALU_DEP_2) | instskip(NEXT) | instid1(VALU_DEP_2)
	v_add_co_u32 v2, vcc_lo, v2, v4
	v_add_co_ci_u32_e32 v3, vcc_lo, 0, v3, vcc_lo
	global_load_b128 v[3:6], v[2:3], off
	v_lshlrev_b32_e32 v2, 10, v73
	s_delay_alu instid0(VALU_DEP_1) | instskip(NEXT) | instid1(VALU_DEP_1)
	v_and_b32_e32 v2, 0x3800, v2
	v_or3_b32 v7, v2, v8, v7
	v_mov_b32_e32 v2, 0
	s_waitcnt vmcnt(0)
	ds_store_b128 v7, v[3:6]
.LBB563_12:
	s_or_b32 exec_lo, exec_lo, s3
	v_and_b32_e32 v3, 0xef, v0
	s_add_i32 s3, s18, 31
	s_clause 0x1
	s_load_b32 s4, s[0:1], 0x38
	s_load_b32 s19, s[0:1], 0x1c
	s_ashr_i32 s7, s3, 31
	v_add_nc_u32_e32 v3, s16, v3
	s_lshr_b32 s7, s7, 27
	s_waitcnt lgkmcnt(0)
	s_add_i32 s3, s3, s7
	s_barrier
	v_ashrrev_i32_e32 v4, 31, v3
	v_cmp_gt_i32_e32 vcc_lo, s18, v3
	s_ashr_i32 s3, s3, 5
	buffer_gl0_inv
	s_add_i32 s3, s3, -1
	v_lshrrev_b32_e32 v5, 27, v4
	v_or_b32_e32 v4, 16, v3
	s_mul_i32 s6, s15, s6
	v_lshlrev_b64 v[81:82], 1, v[1:2]
	s_delay_alu instid0(VALU_DEP_3) | instskip(NEXT) | instid1(VALU_DEP_3)
	v_add_nc_u32_e32 v6, v3, v5
	v_add_nc_u32_e32 v5, v4, v5
	s_mul_i32 s20, s30, s4
	s_delay_alu instid0(SALU_CYCLE_1) | instskip(NEXT) | instid1(VALU_DEP_2)
	s_ashr_i32 s21, s20, 31
	v_ashrrev_i32_e32 v6, 5, v6
	s_delay_alu instid0(VALU_DEP_2) | instskip(SKIP_1) | instid1(SALU_CYCLE_1)
	v_ashrrev_i32_e32 v5, 5, v5
	s_lshl_b64 s[20:21], s[20:21], 2
	s_add_u32 s4, s12, s20
	s_delay_alu instid0(VALU_DEP_2) | instskip(SKIP_3) | instid1(SALU_CYCLE_1)
	v_cndmask_b32_e32 v3, s3, v6, vcc_lo
	v_cmp_gt_i32_e32 vcc_lo, s18, v4
	s_addc_u32 s17, s13, s21
	s_ashr_i32 s7, s6, 31
	s_lshl_b64 s[6:7], s[6:7], 1
	v_cndmask_b32_e32 v5, s3, v5, vcc_lo
	v_ashrrev_i32_e32 v4, 31, v3
	s_add_u32 s15, s8, s6
	s_addc_u32 s28, s9, s7
	s_lshl_b32 s8, s14, 3
	v_ashrrev_i32_e32 v6, 31, v5
	v_lshlrev_b64 v[3:4], 2, v[3:4]
	s_ashr_i32 s9, s8, 31
	s_delay_alu instid0(SALU_CYCLE_1) | instskip(NEXT) | instid1(VALU_DEP_2)
	s_lshl_b64 s[8:9], s[8:9], 2
	v_lshlrev_b64 v[5:6], 2, v[5:6]
	s_add_u32 s8, s4, s8
	s_delay_alu instid0(VALU_DEP_2) | instskip(SKIP_1) | instid1(VALU_DEP_3)
	v_add_co_u32 v3, vcc_lo, s4, v3
	v_add_co_ci_u32_e32 v4, vcc_lo, s17, v4, vcc_lo
	v_add_co_u32 v5, vcc_lo, s4, v5
	s_delay_alu instid0(VALU_DEP_4)
	v_add_co_ci_u32_e32 v6, vcc_lo, s17, v6, vcc_lo
	s_addc_u32 s9, s17, s9
	s_clause 0x1
	global_load_b32 v7, v[3:4], off
	global_load_b32 v8, v[5:6], off
	s_or_b32 s12, s16, 32
	s_delay_alu instid0(SALU_CYCLE_1) | instskip(SKIP_2) | instid1(SALU_CYCLE_1)
	s_ashr_i32 s13, s12, 5
	s_cmp_lt_i32 s12, s18
	s_cselect_b32 s12, s13, s3
	s_ashr_i32 s13, s12, 31
	s_delay_alu instid0(SALU_CYCLE_1) | instskip(NEXT) | instid1(SALU_CYCLE_1)
	s_lshl_b64 s[12:13], s[12:13], 2
	s_add_u32 s12, s4, s12
	s_addc_u32 s13, s17, s13
	s_or_b32 s20, s16, 64
	s_delay_alu instid0(SALU_CYCLE_1) | instskip(SKIP_2) | instid1(SALU_CYCLE_1)
	s_ashr_i32 s21, s20, 5
	s_cmp_lt_i32 s20, s18
	s_cselect_b32 s20, s21, s3
	s_ashr_i32 s21, s20, 31
	s_delay_alu instid0(SALU_CYCLE_1) | instskip(NEXT) | instid1(SALU_CYCLE_1)
	s_lshl_b64 s[20:21], s[20:21], 2
	s_add_u32 s20, s4, s20
	s_addc_u32 s21, s17, s21
	;; [unrolled: 10-line block ×5, first 2 shown]
	s_clause 0x5
	s_load_b32 s29, s[8:9], 0x0
	s_load_b32 s33, s[12:13], 0x0
	;; [unrolled: 1-line block ×6, first 2 shown]
	s_or_b32 s8, s16, 0xc0
	s_mov_b32 s20, 0
	s_ashr_i32 s9, s8, 5
	s_cmp_lt_i32 s8, s18
	s_mov_b32 s27, s20
	s_cselect_b32 s8, s9, s3
	s_mov_b32 s21, s20
	s_ashr_i32 s9, s8, 31
	s_mov_b32 s22, s20
	s_lshl_b64 s[8:9], s[8:9], 2
	s_mov_b32 s23, s20
	s_add_u32 s8, s4, s8
	s_mov_b32 s24, s20
	s_mov_b32 s25, s20
	;; [unrolled: 1-line block ×3, first 2 shown]
	s_addc_u32 s9, s17, s9
	v_mov_b32_e32 v117, s27
	v_dual_mov_b32 v110, s20 :: v_dual_lshlrev_b32 v85, 6, v73
	v_dual_mov_b32 v116, s26 :: v_dual_mov_b32 v115, s25
	v_dual_mov_b32 v114, s24 :: v_dual_mov_b32 v113, s23
	;; [unrolled: 1-line block ×3, first 2 shown]
	s_waitcnt lgkmcnt(0)
	s_mul_hi_i32 s13, s29, s5
	s_mul_i32 s12, s29, s5
	v_lshl_or_b32 v58, v74, 10, v85
	s_mul_hi_i32 s21, s33, s5
	s_mul_i32 s20, s33, s5
	s_mul_hi_i32 s25, s34, s5
	s_mul_i32 s24, s34, s5
	;; [unrolled: 2-line block ×4, first 2 shown]
	s_waitcnt vmcnt(1)
	v_mad_i64_i32 v[3:4], null, v7, s5, 0
	s_waitcnt vmcnt(0)
	v_mad_i64_i32 v[5:6], null, v8, s5, 0
	s_delay_alu instid0(VALU_DEP_2) | instskip(NEXT) | instid1(VALU_DEP_2)
	v_lshlrev_b64 v[3:4], 1, v[3:4]
	v_lshlrev_b64 v[1:2], 1, v[5:6]
	s_delay_alu instid0(VALU_DEP_2) | instskip(NEXT) | instid1(VALU_DEP_3)
	v_add_co_u32 v3, vcc_lo, s15, v3
	v_add_co_ci_u32_e32 v4, vcc_lo, s28, v4, vcc_lo
	s_delay_alu instid0(VALU_DEP_3) | instskip(NEXT) | instid1(VALU_DEP_4)
	v_add_co_u32 v1, vcc_lo, s15, v1
	v_add_co_ci_u32_e32 v2, vcc_lo, s28, v2, vcc_lo
	s_delay_alu instid0(VALU_DEP_4) | instskip(NEXT) | instid1(VALU_DEP_4)
	v_add_co_u32 v41, vcc_lo, v3, v81
	v_add_co_ci_u32_e32 v42, vcc_lo, v4, v82, vcc_lo
	s_delay_alu instid0(VALU_DEP_4) | instskip(NEXT) | instid1(VALU_DEP_4)
	v_add_co_u32 v43, vcc_lo, v1, v81
	v_add_co_ci_u32_e32 v44, vcc_lo, v2, v82, vcc_lo
	s_clause 0xf
	global_load_b128 v[1:4], v[41:42], off
	global_load_b128 v[5:8], v[41:42], off offset:512
	global_load_b128 v[9:12], v[43:44], off offset:256
	global_load_b128 v[13:16], v[43:44], off offset:768
	global_load_b128 v[17:20], v[41:42], off offset:1024
	global_load_b128 v[21:24], v[41:42], off offset:1536
	global_load_b128 v[25:28], v[43:44], off offset:1280
	global_load_b128 v[29:32], v[43:44], off offset:1792
	global_load_b128 v[33:36], v[41:42], off offset:2048
	global_load_b128 v[37:40], v[41:42], off offset:2560
	global_load_b128 v[86:89], v[43:44], off offset:2304
	global_load_b128 v[90:93], v[43:44], off offset:2816
	global_load_b128 v[94:97], v[41:42], off offset:3072
	global_load_b128 v[98:101], v[41:42], off offset:3584
	global_load_b128 v[102:105], v[43:44], off offset:3328
	global_load_b128 v[106:109], v[43:44], off offset:3840
	v_mul_lo_u16 v41, v73, 43
	s_or_b32 s15, s16, 0xe0
	s_delay_alu instid0(SALU_CYCLE_1) | instskip(SKIP_1) | instid1(VALU_DEP_1)
	s_ashr_i32 s22, s15, 5
	s_cmp_lt_i32 s15, s18
	v_lshrrev_b16 v41, 8, v41
	s_cselect_b32 s22, s22, s3
	s_delay_alu instid0(SALU_CYCLE_1) | instskip(NEXT) | instid1(VALU_DEP_1)
	s_ashr_i32 s23, s22, 31
	v_mul_lo_u16 v41, v41, 6
	s_lshl_b64 s[22:23], s[22:23], 2
	s_delay_alu instid0(SALU_CYCLE_1) | instskip(SKIP_1) | instid1(VALU_DEP_1)
	s_add_u32 s22, s4, s22
	s_addc_u32 s23, s17, s23
	v_sub_nc_u16 v41, v73, v41
	s_add_i32 s15, s16, 0x100
	s_delay_alu instid0(SALU_CYCLE_1) | instskip(SKIP_1) | instid1(VALU_DEP_1)
	s_ashr_i32 s28, s15, 5
	s_cmp_lt_i32 s15, s18
	v_and_b32_e32 v41, 0xff, v41
	s_cselect_b32 s28, s28, s3
	s_delay_alu instid0(SALU_CYCLE_1) | instskip(NEXT) | instid1(VALU_DEP_1)
	s_ashr_i32 s29, s28, 31
	v_lshlrev_b32_e32 v57, 6, v41
	ds_load_b128 v[41:44], v57
	ds_load_b128 v[45:48], v57 offset:1024
	ds_load_b128 v[49:52], v57 offset:2048
	ds_load_b128 v[53:56], v57 offset:3072
	ds_load_b128 v[118:121], v57 offset:4096
	ds_load_b128 v[122:125], v57 offset:5120
	ds_load_b128 v[126:129], v57 offset:6144
	ds_load_b128 v[130:133], v57 offset:7168
	s_lshl_b64 s[28:29], s[28:29], 2
	s_load_b32 s15, s[8:9], 0x0
	s_add_u32 s28, s4, s28
	s_addc_u32 s29, s17, s29
	s_add_u32 s3, s10, s6
	s_clause 0x1
	s_load_b32 s4, s[22:23], 0x0
	s_load_b32 s17, s[28:29], 0x0
	s_addc_u32 s28, s11, s7
	v_add_co_u32 v76, s3, s3, v58
	s_delay_alu instid0(VALU_DEP_1) | instskip(SKIP_2) | instid1(VALU_DEP_2)
	v_add_co_ci_u32_e64 v77, null, s28, 0, s3
	s_lshl_b64 s[6:7], s[12:13], 1
	s_lshl_b64 s[10:11], s[20:21], 1
	v_add_co_u32 v57, vcc_lo, v76, s6
	s_delay_alu instid0(VALU_DEP_2)
	v_add_co_ci_u32_e32 v58, vcc_lo, s7, v77, vcc_lo
	s_lshl_b64 s[12:13], s[24:25], 1
	s_lshl_b64 s[20:21], s[26:27], 1
	s_mul_hi_i32 s9, s36, s5
	s_mul_i32 s8, s36, s5
	s_lshl_b64 s[22:23], s[34:35], 1
	s_lshl_b64 s[8:9], s[8:9], 1
	s_waitcnt lgkmcnt(0)
	s_mul_hi_i32 s25, s15, s5
	s_mul_i32 s24, s15, s5
	s_clause 0x1
	global_load_b128 v[65:68], v[57:58], off
	global_load_b128 v[69:72], v[57:58], off offset:16
	s_lshl_b64 s[6:7], s[24:25], 1
	s_waitcnt vmcnt(16)
	v_wmma_f32_16x16x16_bf16 v[134:141], v[1:8], v[41:48], v[110:117]
	v_add_co_u32 v1, vcc_lo, v76, s10
	v_add_co_ci_u32_e32 v2, vcc_lo, s11, v77, vcc_lo
	s_waitcnt vmcnt(12)
	s_delay_alu instid0(VALU_DEP_3) | instskip(SKIP_3) | instid1(VALU_DEP_3)
	v_wmma_f32_16x16x16_bf16 v[134:141], v[17:24], v[49:56], v[134:141]
	v_add_co_u32 v3, vcc_lo, v76, s12
	v_add_co_ci_u32_e32 v4, vcc_lo, s13, v77, vcc_lo
	s_waitcnt vmcnt(8)
	v_wmma_f32_16x16x16_bf16 v[134:141], v[33:40], v[118:125], v[134:141]
	v_add_co_u32 v5, vcc_lo, v76, s20
	v_add_co_ci_u32_e32 v6, vcc_lo, s21, v77, vcc_lo
	s_waitcnt vmcnt(4)
	s_delay_alu instid0(VALU_DEP_3) | instskip(SKIP_2) | instid1(VALU_DEP_3)
	v_wmma_f32_16x16x16_bf16 v[134:141], v[94:101], v[126:133], v[134:141]
	v_add_co_u32 v7, vcc_lo, v76, s8
	v_add_co_ci_u32_e32 v8, vcc_lo, s9, v77, vcc_lo
	v_mul_f32_e32 v100, s19, v141
	v_wmma_f32_16x16x16_bf16 v[110:117], v[9:16], v[41:48], v[110:117]
	s_clause 0x1
	global_load_b128 v[57:60], v[1:2], off
	global_load_b128 v[61:64], v[1:2], off offset:16
	s_mul_hi_i32 s9, s4, s5
	s_mul_i32 s8, s4, s5
	v_wmma_f32_16x16x16_bf16 v[110:117], v[25:32], v[49:56], v[110:117]
	s_clause 0x5
	global_load_b128 v[49:52], v[3:4], off
	global_load_b128 v[53:56], v[3:4], off offset:16
	global_load_b128 v[41:44], v[5:6], off
	global_load_b128 v[45:48], v[5:6], off offset:16
	;; [unrolled: 2-line block ×3, first 2 shown]
	v_add_co_u32 v5, vcc_lo, v76, s22
	v_add_co_ci_u32_e32 v6, vcc_lo, s23, v77, vcc_lo
	v_add_co_u32 v17, vcc_lo, v76, s6
	v_add_co_ci_u32_e32 v18, vcc_lo, s7, v77, vcc_lo
	s_lshl_b64 s[6:7], s[8:9], 1
	s_mul_hi_i32 s9, s17, s5
	s_mul_i32 s8, s17, s5
	v_add_co_u32 v19, vcc_lo, v76, s6
	s_lshl_b64 s[4:5], s[8:9], 1
	v_add_co_ci_u32_e32 v20, vcc_lo, s7, v77, vcc_lo
	v_add_co_u32 v21, vcc_lo, v76, s4
	v_add_co_ci_u32_e32 v22, vcc_lo, s5, v77, vcc_lo
	s_clause 0x7
	global_load_b128 v[1:4], v[5:6], off
	global_load_b128 v[5:8], v[5:6], off offset:16
	global_load_b128 v[33:36], v[17:18], off
	global_load_b128 v[37:40], v[17:18], off offset:16
	;; [unrolled: 2-line block ×4, first 2 shown]
	v_and_b32_e32 v76, 0xe0, v0
	v_mbcnt_lo_u32_b32 v77, -1, 0
	v_wmma_f32_16x16x16_bf16 v[110:117], v[86:93], v[118:125], v[110:117]
	s_waitcnt vmcnt(0)
	s_barrier
	v_add_nc_u32_e32 v76, s16, v76
	v_xor_b32_e32 v78, 16, v77
	v_wmma_f32_16x16x16_bf16 v[110:117], v[102:109], v[126:133], v[110:117]
	v_mul_f32_e32 v97, s19, v134
	v_mul_f32_e32 v99, s19, v135
	v_or_b32_e32 v76, v76, v83
	v_cmp_gt_i32_e32 vcc_lo, 32, v78
	buffer_gl0_inv
	v_or_b32_e32 v79, 4, v76
	v_cndmask_b32_e32 v77, v77, v78, vcc_lo
	v_or_b32_e32 v78, 2, v76
	v_or_b32_e32 v80, 6, v76
	;; [unrolled: 1-line block ×3, first 2 shown]
	v_cmp_gt_i32_e32 vcc_lo, s18, v76
	v_or_b32_e32 v87, 10, v76
	v_cmp_gt_i32_e64 s3, s18, v78
	v_or_b32_e32 v88, 12, v76
	v_or_b32_e32 v89, 14, v76
	;; [unrolled: 1-line block ×10, first 2 shown]
	v_cndmask_b32_e64 v78, 0xff7fffff, v99, s3
	v_mul_f32_e32 v99, s19, v137
	v_cmp_gt_i32_e64 s4, s18, v80
	v_mul_f32_e32 v80, s19, v136
	v_cmp_gt_i32_e64 s5, s18, v79
	v_cmp_gt_i32_e64 s6, s18, v86
	v_mul_f32_e32 v86, s19, v116
	v_cndmask_b32_e32 v76, 0xff7fffff, v97, vcc_lo
	v_mul_f32_e32 v79, s19, v139
	v_cndmask_b32_e64 v80, 0xff7fffff, v80, s5
	v_cndmask_b32_e64 v99, 0xff7fffff, v99, s4
	v_cmp_gt_i32_e64 s7, s18, v87
	v_max3_f32 v76, v76, 0xff7fffff, v78
	v_dual_mul_f32 v78, s19, v138 :: v_dual_mul_f32 v97, s19, v140
	v_cmp_gt_i32_e64 s8, s18, v89
	s_delay_alu instid0(VALU_DEP_4) | instskip(NEXT) | instid1(VALU_DEP_4)
	v_cndmask_b32_e64 v79, 0xff7fffff, v79, s7
	v_max3_f32 v76, v76, v80, v99
	s_delay_alu instid0(VALU_DEP_4) | instskip(SKIP_3) | instid1(VALU_DEP_4)
	v_cndmask_b32_e64 v78, 0xff7fffff, v78, s6
	v_cmp_gt_i32_e64 s9, s18, v88
	v_dual_mul_f32 v88, s19, v111 :: v_dual_mul_f32 v89, s19, v110
	v_cndmask_b32_e64 v100, 0xff7fffff, v100, s8
	v_max3_f32 v76, v76, v78, v79
	s_delay_alu instid0(VALU_DEP_4) | instskip(SKIP_3) | instid1(VALU_DEP_4)
	v_cndmask_b32_e64 v97, 0xff7fffff, v97, s9
	v_cmp_gt_i32_e64 s10, s18, v90
	v_cmp_gt_i32_e64 s11, s18, v91
	v_dual_mul_f32 v78, s19, v113 :: v_dual_mul_f32 v79, s19, v112
	v_max3_f32 v76, v76, v97, v100
	s_delay_alu instid0(VALU_DEP_4) | instskip(NEXT) | instid1(VALU_DEP_4)
	v_cndmask_b32_e64 v89, 0xff7fffff, v89, s10
	v_cndmask_b32_e64 v88, 0xff7fffff, v88, s11
	v_cmp_gt_i32_e64 s12, s18, v92
	v_cmp_gt_i32_e64 s13, s18, v93
	v_mul_f32_e32 v87, s19, v115
	v_mul_f32_e32 v99, s19, v114
	v_max3_f32 v76, v76, v89, v88
	v_cndmask_b32_e64 v79, 0xff7fffff, v79, s12
	v_cndmask_b32_e64 v78, 0xff7fffff, v78, s13
	v_cmp_gt_i32_e64 s15, s18, v94
	v_cmp_gt_i32_e64 s16, s18, v95
	v_mul_f32_e32 v80, s19, v117
	v_cmp_gt_i32_e64 s17, s18, v96
	v_max3_f32 v76, v76, v79, v78
	v_cndmask_b32_e64 v88, 0xff7fffff, v99, s15
	v_cndmask_b32_e64 v87, 0xff7fffff, v87, s16
	v_cmp_gt_i32_e64 s18, s18, v98
	v_cndmask_b32_e64 v78, 0xff7fffff, v86, s17
	v_lshlrev_b32_e32 v99, 2, v77
	s_delay_alu instid0(VALU_DEP_4) | instskip(NEXT) | instid1(VALU_DEP_4)
	v_max3_f32 v76, v76, v88, v87
	v_cndmask_b32_e64 v79, 0xff7fffff, v80, s18
	s_delay_alu instid0(VALU_DEP_1) | instskip(SKIP_3) | instid1(VALU_DEP_1)
	v_max3_f32 v76, v76, v78, v79
	ds_bpermute_b32 v77, v99, v76
	s_waitcnt lgkmcnt(0)
	v_max_f32_e32 v77, v77, v77
	v_max_f32_e32 v76, v76, v77
	s_delay_alu instid0(VALU_DEP_1)
	v_fma_f32 v86, s19, v138, -v76
	v_fma_f32 v77, s19, v134, -v76
	;; [unrolled: 1-line block ×5, first 2 shown]
	v_mul_f32_e32 v86, 0x3fb8aa3b, v86
	v_fma_f32 v88, s19, v114, -v76
	s_delay_alu instid0(VALU_DEP_4) | instskip(NEXT) | instid1(VALU_DEP_4)
	v_dual_mul_f32 v78, 0x3fb8aa3b, v78 :: v_dual_mul_f32 v79, 0x3fb8aa3b, v79
	v_mul_f32_e32 v80, 0x3fb8aa3b, v80
	s_delay_alu instid0(VALU_DEP_4) | instskip(SKIP_1) | instid1(VALU_DEP_3)
	v_exp_f32_e32 v86, v86
	v_fma_f32 v87, s19, v140, -v76
	v_exp_f32_e32 v78, v78
	v_exp_f32_e32 v79, v79
	;; [unrolled: 1-line block ×3, first 2 shown]
	s_delay_alu instid0(VALU_DEP_1)
	v_dual_mul_f32 v88, 0x3fb8aa3b, v88 :: v_dual_mul_f32 v87, 0x3fb8aa3b, v87
	v_fma_f32 v100, s19, v117, -v76
	v_fma_f32 v90, s19, v116, -v76
	v_cndmask_b32_e64 v96, 0, v86, s6
	v_fma_f32 v86, s19, v111, -v76
	v_mul_f32_e32 v77, 0x3fb8aa3b, v77
	s_delay_alu instid0(TRANS32_DEP_3) | instskip(NEXT) | instid1(TRANS32_DEP_2)
	v_cndmask_b32_e64 v91, 0, v78, s3
	v_cndmask_b32_e64 v93, 0, v79, s5
	s_delay_alu instid0(TRANS32_DEP_1)
	v_cndmask_b32_e64 v95, 0, v80, s4
	v_mul_f32_e32 v86, 0x3fb8aa3b, v86
	v_exp_f32_e32 v77, v77
	v_fma_f32 v79, s19, v141, -v76
	v_fma_f32 v80, s19, v110, -v76
	v_exp_f32_e32 v87, v87
	v_exp_f32_e32 v86, v86
	s_delay_alu instid0(VALU_DEP_2) | instskip(NEXT) | instid1(VALU_DEP_2)
	v_dual_mul_f32 v100, 0x3fb8aa3b, v100 :: v_dual_mul_f32 v79, 0x3fb8aa3b, v79
	v_mul_f32_e32 v80, 0x3fb8aa3b, v80
	v_exp_f32_e32 v88, v88
	s_mov_b32 s3, exec_lo
	v_cndmask_b32_e32 v92, 0, v77, vcc_lo
	v_fma_f32 v77, s19, v139, -v76
	v_exp_f32_e32 v79, v79
	v_exp_f32_e32 v80, v80
	v_cndmask_b32_e64 v94, 0, v87, s9
	s_delay_alu instid0(VALU_DEP_2) | instskip(SKIP_2) | instid1(VALU_DEP_2)
	v_dual_add_f32 v78, 0, v92 :: v_dual_mul_f32 v77, 0x3fb8aa3b, v77
	v_fma_f32 v87, s19, v113, -v76
	v_exp_f32_e32 v100, v100
	v_add_f32_e32 v78, v78, v91
	s_delay_alu instid0(VALU_DEP_3) | instskip(SKIP_1) | instid1(VALU_DEP_2)
	v_exp_f32_e32 v77, v77
	v_cndmask_b32_e64 v98, 0, v79, s8
	v_dual_mul_f32 v87, 0x3fb8aa3b, v87 :: v_dual_add_f32 v78, v78, v93
	s_delay_alu instid0(VALU_DEP_1) | instskip(NEXT) | instid1(VALU_DEP_1)
	v_exp_f32_e32 v87, v87
	v_add_f32_e32 v78, v78, v95
	s_waitcnt_depctr 0xfff
	v_cndmask_b32_e64 v97, 0, v77, s7
	v_add_f32_e32 v77, v78, v96
	v_fma_f32 v78, s19, v112, -v76
	s_delay_alu instid0(VALU_DEP_1) | instskip(NEXT) | instid1(VALU_DEP_1)
	v_mul_f32_e32 v78, 0x3fb8aa3b, v78
	v_exp_f32_e32 v89, v78
	v_cndmask_b32_e64 v78, 0, v86, s11
	v_add_f32_e32 v77, v77, v97
	s_delay_alu instid0(VALU_DEP_1) | instskip(SKIP_2) | instid1(VALU_DEP_1)
	v_add_f32_e32 v79, v77, v94
	v_cndmask_b32_e64 v77, 0, v80, s10
	v_fma_f32 v80, s19, v115, -v76
	v_dual_add_f32 v79, v79, v98 :: v_dual_mul_f32 v80, 0x3fb8aa3b, v80
	s_delay_alu instid0(VALU_DEP_1) | instskip(NEXT) | instid1(TRANS32_DEP_1)
	v_add_f32_e32 v86, v79, v77
	v_cndmask_b32_e64 v79, 0, v89, s12
	v_mul_f32_e32 v89, 0x3fb8aa3b, v90
	s_delay_alu instid0(VALU_DEP_4) | instskip(SKIP_2) | instid1(VALU_DEP_3)
	v_exp_f32_e32 v90, v80
	v_cndmask_b32_e64 v80, 0, v87, s13
	v_add_f32_e32 v86, v86, v78
	v_exp_f32_e32 v89, v89
	s_delay_alu instid0(VALU_DEP_1) | instskip(SKIP_1) | instid1(VALU_DEP_2)
	v_add_f32_e32 v87, v86, v79
	v_cndmask_b32_e64 v86, 0, v88, s15
	v_add_f32_e32 v88, v87, v80
	s_delay_alu instid0(TRANS32_DEP_2) | instskip(NEXT) | instid1(VALU_DEP_2)
	v_cndmask_b32_e64 v87, 0, v90, s16
	v_add_f32_e32 v90, v88, v86
	s_waitcnt_depctr 0xfff
	v_cndmask_b32_e64 v88, 0, v89, s17
	v_add_f32_e32 v89, v90, v87
	s_delay_alu instid0(VALU_DEP_1) | instskip(SKIP_1) | instid1(VALU_DEP_1)
	v_add_f32_e32 v90, v89, v88
	v_cndmask_b32_e64 v89, 0, v100, s18
	v_add_f32_e32 v90, v90, v89
	ds_bpermute_b32 v99, v99, v90
	v_cmpx_gt_u32_e32 16, v75
	s_cbranch_execz .LBB563_14
; %bb.13:
	v_mul_u32_u24_e32 v75, 0x44, v74
	s_waitcnt lgkmcnt(0)
	v_add_f32_e32 v90, v90, v99
	s_delay_alu instid0(VALU_DEP_2) | instskip(NEXT) | instid1(VALU_DEP_1)
	v_lshl_add_u32 v75, v73, 2, v75
	v_add_nc_u32_e32 v75, 0x4000, v75
	ds_store_2addr_b32 v75, v76, v90 offset1:136
.LBB563_14:
	s_or_b32 exec_lo, exec_lo, s3
	v_lshlrev_b32_e32 v75, 2, v73
	s_waitcnt lgkmcnt(0)
	s_barrier
	buffer_gl0_inv
	v_cmp_eq_u32_e64 s3, 1, v74
	v_add_nc_u32_e32 v90, 0x4000, v75
	ds_load_2addr_b32 v[99:100], v90 offset1:17
	ds_load_2addr_b32 v[101:102], v90 offset0:34 offset1:51
	ds_load_2addr_b32 v[103:104], v90 offset0:68 offset1:85
	;; [unrolled: 1-line block ×4, first 2 shown]
	s_waitcnt lgkmcnt(4)
	v_max3_f32 v75, v99, 0xff7fffff, v100
	s_waitcnt lgkmcnt(3)
	s_delay_alu instid0(VALU_DEP_1) | instskip(SKIP_1) | instid1(VALU_DEP_1)
	v_max3_f32 v75, v75, v101, v102
	s_waitcnt lgkmcnt(2)
	v_max3_f32 v75, v75, v103, v104
	s_waitcnt lgkmcnt(1)
	s_delay_alu instid0(VALU_DEP_1) | instskip(NEXT) | instid1(VALU_DEP_1)
	v_max3_f32 v75, v75, v105, v106
	v_sub_f32_e32 v109, v100, v75
	v_sub_f32_e32 v76, v99, v75
	ds_load_2addr_b32 v[99:100], v90 offset0:170 offset1:187
	v_sub_f32_e32 v101, v101, v75
	v_dual_mul_f32 v109, 0x3fb8aa3b, v109 :: v_dual_mul_f32 v76, 0x3fb8aa3b, v76
	s_delay_alu instid0(VALU_DEP_2) | instskip(NEXT) | instid1(VALU_DEP_2)
	v_mul_f32_e32 v111, 0x3fb8aa3b, v101
	v_exp_f32_e32 v109, v109
	s_delay_alu instid0(VALU_DEP_2)
	v_exp_f32_e32 v110, v76
	v_sub_f32_e32 v76, v102, v75
	ds_load_2addr_b32 v[101:102], v90 offset0:204 offset1:221
	v_exp_f32_e32 v111, v111
	v_mul_f32_e32 v112, 0x3fb8aa3b, v76
	s_waitcnt lgkmcnt(2)
	v_fma_f32 v76, v110, v107, 0
	v_sub_f32_e32 v103, v103, v75
	s_delay_alu instid0(VALU_DEP_3) | instskip(NEXT) | instid1(VALU_DEP_2)
	v_exp_f32_e32 v112, v112
	v_dual_sub_f32 v107, v104, v75 :: v_dual_fmac_f32 v76, v109, v108
	s_waitcnt lgkmcnt(1)
	s_waitcnt_depctr 0xfff
	v_fmac_f32_e32 v76, v111, v99
	v_mul_f32_e32 v113, 0x3fb8aa3b, v103
	ds_load_2addr_b32 v[103:104], v90 offset0:238 offset1:255
	v_sub_f32_e32 v90, v105, v75
	v_dual_sub_f32 v99, v106, v75 :: v_dual_fmac_f32 v76, v112, v100
	v_mul_f32_e32 v105, 0x3fb8aa3b, v107
	v_exp_f32_e32 v107, v113
	s_delay_alu instid0(VALU_DEP_2)
	v_dual_mul_f32 v90, 0x3fb8aa3b, v90 :: v_dual_mul_f32 v99, 0x3fb8aa3b, v99
	s_waitcnt lgkmcnt(0)
	s_barrier
	buffer_gl0_inv
	v_exp_f32_e32 v90, v90
	v_exp_f32_e32 v99, v99
	v_fmac_f32_e32 v76, v107, v101
	v_exp_f32_e32 v105, v105
	s_waitcnt_depctr 0xfff
	v_fmac_f32_e32 v76, v105, v102
	s_delay_alu instid0(VALU_DEP_1) | instskip(NEXT) | instid1(VALU_DEP_1)
	v_fmac_f32_e32 v76, v90, v103
	v_fmac_f32_e32 v76, v99, v104
	s_delay_alu instid0(VALU_DEP_1) | instskip(NEXT) | instid1(VALU_DEP_1)
	v_add_f32_e32 v100, 0x358637bd, v76
	v_div_scale_f32 v101, null, v100, v100, 1.0
	v_div_scale_f32 v104, vcc_lo, 1.0, v100, 1.0
	s_delay_alu instid0(VALU_DEP_2) | instskip(SKIP_2) | instid1(VALU_DEP_1)
	v_rcp_f32_e32 v102, v101
	s_waitcnt_depctr 0xfff
	v_fma_f32 v103, -v101, v102, 1.0
	v_fmac_f32_e32 v102, v103, v102
	v_cndmask_b32_e64 v103, v110, v109, s3
	v_cmp_eq_u32_e64 s3, 2, v74
	s_delay_alu instid0(VALU_DEP_3) | instskip(NEXT) | instid1(VALU_DEP_2)
	v_mul_f32_e32 v106, v104, v102
	v_cndmask_b32_e64 v103, v103, v111, s3
	v_cmp_eq_u32_e64 s3, 3, v74
	s_delay_alu instid0(VALU_DEP_3) | instskip(NEXT) | instid1(VALU_DEP_2)
	v_fma_f32 v108, -v101, v106, v104
	v_cndmask_b32_e64 v103, v103, v112, s3
	v_cmp_eq_u32_e64 s3, 4, v74
	s_delay_alu instid0(VALU_DEP_3) | instskip(NEXT) | instid1(VALU_DEP_2)
	v_fmac_f32_e32 v106, v108, v102
	v_cndmask_b32_e64 v103, v103, v107, s3
	s_delay_alu instid0(VALU_DEP_2) | instskip(SKIP_1) | instid1(VALU_DEP_2)
	v_fma_f32 v101, -v101, v106, v104
	v_cmp_eq_u32_e64 s3, 5, v74
	v_div_fmas_f32 v101, v101, v102, v106
	s_delay_alu instid0(VALU_DEP_2) | instskip(SKIP_2) | instid1(VALU_DEP_3)
	v_cndmask_b32_e64 v103, v103, v105, s3
	v_cmp_eq_u32_e32 vcc_lo, 6, v74
	s_mov_b32 s3, exec_lo
	v_div_fixup_f32 v100, v101, v100, 1.0
	s_delay_alu instid0(VALU_DEP_3) | instskip(SKIP_1) | instid1(VALU_DEP_2)
	v_cndmask_b32_e32 v90, v103, v90, vcc_lo
	v_cmp_eq_u32_e32 vcc_lo, 7, v74
	v_cndmask_b32_e32 v90, v90, v99, vcc_lo
	s_delay_alu instid0(VALU_DEP_1) | instskip(NEXT) | instid1(VALU_DEP_1)
	v_mul_f32_e32 v90, v90, v100
	v_mul_f32_e32 v100, v90, v92
	;; [unrolled: 1-line block ×6, first 2 shown]
	v_and_b32_e32 v101, 0x7f800000, v100
	v_mul_f32_e32 v99, v90, v95
	v_mul_f32_e32 v95, v90, v91
	v_mul_f32_e32 v96, v90, v93
                                        ; implicit-def: $vgpr91
	s_delay_alu instid0(VALU_DEP_4)
	v_cmpx_ne_u32_e32 0x7f800000, v101
	s_xor_b32 s3, exec_lo, s3
; %bb.15:
	v_bfe_u32 v91, v100, 16, 1
	s_delay_alu instid0(VALU_DEP_1)
	v_add3_u32 v91, v100, v91, 0x7fff
                                        ; implicit-def: $vgpr100
; %bb.16:
	s_and_not1_saveexec_b32 s3, s3
; %bb.17:
	v_and_b32_e32 v91, 0xffff, v100
	v_or_b32_e32 v93, 0x10000, v100
	s_delay_alu instid0(VALU_DEP_2) | instskip(NEXT) | instid1(VALU_DEP_2)
	v_cmp_eq_u32_e32 vcc_lo, 0, v91
	v_cndmask_b32_e32 v91, v93, v100, vcc_lo
; %bb.18:
	s_or_b32 exec_lo, exec_lo, s3
	v_and_b32_e32 v93, 0x7f800000, v95
	s_delay_alu instid0(VALU_DEP_1) | instskip(SKIP_1) | instid1(SALU_CYCLE_1)
	v_cmp_ne_u32_e32 vcc_lo, 0x7f800000, v93
                                        ; implicit-def: $vgpr93
	s_and_saveexec_b32 s3, vcc_lo
	s_xor_b32 s3, exec_lo, s3
; %bb.19:
	v_bfe_u32 v93, v95, 16, 1
	s_delay_alu instid0(VALU_DEP_1)
	v_add3_u32 v93, v95, v93, 0x7fff
                                        ; implicit-def: $vgpr95
; %bb.20:
	s_and_not1_saveexec_b32 s3, s3
; %bb.21:
	v_and_b32_e32 v93, 0xffff, v95
	v_or_b32_e32 v100, 0x10000, v95
	s_delay_alu instid0(VALU_DEP_2) | instskip(NEXT) | instid1(VALU_DEP_2)
	v_cmp_eq_u32_e32 vcc_lo, 0, v93
	v_cndmask_b32_e32 v93, v100, v95, vcc_lo
; %bb.22:
	s_or_b32 exec_lo, exec_lo, s3
	v_and_b32_e32 v95, 0x7f800000, v96
	s_delay_alu instid0(VALU_DEP_1) | instskip(SKIP_1) | instid1(SALU_CYCLE_1)
	v_cmp_ne_u32_e32 vcc_lo, 0x7f800000, v95
                                        ; implicit-def: $vgpr95
	s_and_saveexec_b32 s3, vcc_lo
	s_xor_b32 s3, exec_lo, s3
; %bb.23:
	v_bfe_u32 v95, v96, 16, 1
	s_delay_alu instid0(VALU_DEP_1)
	v_add3_u32 v95, v96, v95, 0x7fff
                                        ; implicit-def: $vgpr96
; %bb.24:
	s_and_not1_saveexec_b32 s3, s3
; %bb.25:
	v_and_b32_e32 v95, 0xffff, v96
	v_or_b32_e32 v100, 0x10000, v96
	s_delay_alu instid0(VALU_DEP_2) | instskip(NEXT) | instid1(VALU_DEP_2)
	v_cmp_eq_u32_e32 vcc_lo, 0, v95
	v_cndmask_b32_e32 v95, v100, v96, vcc_lo
; %bb.26:
	s_or_b32 exec_lo, exec_lo, s3
	v_and_b32_e32 v96, 0x7f800000, v99
	s_delay_alu instid0(VALU_DEP_1) | instskip(SKIP_1) | instid1(SALU_CYCLE_1)
	v_cmp_ne_u32_e32 vcc_lo, 0x7f800000, v96
                                        ; implicit-def: $vgpr96
	s_and_saveexec_b32 s3, vcc_lo
	s_xor_b32 s3, exec_lo, s3
; %bb.27:
	v_bfe_u32 v96, v99, 16, 1
	s_delay_alu instid0(VALU_DEP_1)
	v_add3_u32 v96, v99, v96, 0x7fff
                                        ; implicit-def: $vgpr99
; %bb.28:
	s_and_not1_saveexec_b32 s3, s3
; %bb.29:
	v_and_b32_e32 v96, 0xffff, v99
	v_or_b32_e32 v100, 0x10000, v99
	s_delay_alu instid0(VALU_DEP_2) | instskip(NEXT) | instid1(VALU_DEP_2)
	v_cmp_eq_u32_e32 vcc_lo, 0, v96
	v_cndmask_b32_e32 v96, v100, v99, vcc_lo
; %bb.30:
	s_or_b32 exec_lo, exec_lo, s3
	v_and_b32_e32 v99, 0x7f800000, v98
	s_delay_alu instid0(VALU_DEP_1) | instskip(SKIP_1) | instid1(SALU_CYCLE_1)
	v_cmp_ne_u32_e32 vcc_lo, 0x7f800000, v99
                                        ; implicit-def: $vgpr99
	s_and_saveexec_b32 s3, vcc_lo
	s_xor_b32 s3, exec_lo, s3
; %bb.31:
	v_bfe_u32 v99, v98, 16, 1
	s_delay_alu instid0(VALU_DEP_1)
	v_add3_u32 v99, v98, v99, 0x7fff
                                        ; implicit-def: $vgpr98
; %bb.32:
	s_and_not1_saveexec_b32 s3, s3
; %bb.33:
	v_and_b32_e32 v99, 0xffff, v98
	v_or_b32_e32 v100, 0x10000, v98
	s_delay_alu instid0(VALU_DEP_2) | instskip(NEXT) | instid1(VALU_DEP_2)
	v_cmp_eq_u32_e32 vcc_lo, 0, v99
	v_cndmask_b32_e32 v99, v100, v98, vcc_lo
; %bb.34:
	s_or_b32 exec_lo, exec_lo, s3
	v_and_b32_e32 v98, 0x7f800000, v97
	s_delay_alu instid0(VALU_DEP_1) | instskip(SKIP_1) | instid1(SALU_CYCLE_1)
	v_cmp_ne_u32_e32 vcc_lo, 0x7f800000, v98
                                        ; implicit-def: $vgpr98
	s_and_saveexec_b32 s3, vcc_lo
	s_xor_b32 s3, exec_lo, s3
; %bb.35:
	v_bfe_u32 v98, v97, 16, 1
	s_delay_alu instid0(VALU_DEP_1)
	v_add3_u32 v98, v97, v98, 0x7fff
                                        ; implicit-def: $vgpr97
; %bb.36:
	s_and_not1_saveexec_b32 s3, s3
; %bb.37:
	v_and_b32_e32 v98, 0xffff, v97
	v_or_b32_e32 v100, 0x10000, v97
	s_delay_alu instid0(VALU_DEP_2) | instskip(NEXT) | instid1(VALU_DEP_2)
	v_cmp_eq_u32_e32 vcc_lo, 0, v98
	v_cndmask_b32_e32 v98, v100, v97, vcc_lo
; %bb.38:
	s_or_b32 exec_lo, exec_lo, s3
	v_and_b32_e32 v97, 0x7f800000, v94
	s_delay_alu instid0(VALU_DEP_1) | instskip(SKIP_1) | instid1(SALU_CYCLE_1)
	v_cmp_ne_u32_e32 vcc_lo, 0x7f800000, v97
                                        ; implicit-def: $vgpr97
	s_and_saveexec_b32 s3, vcc_lo
	s_xor_b32 s3, exec_lo, s3
; %bb.39:
	v_bfe_u32 v97, v94, 16, 1
	s_delay_alu instid0(VALU_DEP_1)
	v_add3_u32 v97, v94, v97, 0x7fff
                                        ; implicit-def: $vgpr94
; %bb.40:
	s_and_not1_saveexec_b32 s3, s3
; %bb.41:
	v_and_b32_e32 v97, 0xffff, v94
	v_or_b32_e32 v100, 0x10000, v94
	s_delay_alu instid0(VALU_DEP_2) | instskip(NEXT) | instid1(VALU_DEP_2)
	v_cmp_eq_u32_e32 vcc_lo, 0, v97
	v_cndmask_b32_e32 v97, v100, v94, vcc_lo
; %bb.42:
	s_or_b32 exec_lo, exec_lo, s3
	v_and_b32_e32 v94, 0x7f800000, v92
	s_delay_alu instid0(VALU_DEP_1) | instskip(SKIP_1) | instid1(SALU_CYCLE_1)
	v_cmp_ne_u32_e32 vcc_lo, 0x7f800000, v94
                                        ; implicit-def: $vgpr94
	s_and_saveexec_b32 s3, vcc_lo
	s_xor_b32 s3, exec_lo, s3
; %bb.43:
	v_bfe_u32 v94, v92, 16, 1
	s_delay_alu instid0(VALU_DEP_1)
	v_add3_u32 v94, v92, v94, 0x7fff
                                        ; implicit-def: $vgpr92
; %bb.44:
	s_and_not1_saveexec_b32 s3, s3
; %bb.45:
	v_and_b32_e32 v94, 0xffff, v92
	v_or_b32_e32 v100, 0x10000, v92
	s_delay_alu instid0(VALU_DEP_2) | instskip(NEXT) | instid1(VALU_DEP_2)
	v_cmp_eq_u32_e32 vcc_lo, 0, v94
	v_cndmask_b32_e32 v94, v100, v92, vcc_lo
; %bb.46:
	s_or_b32 exec_lo, exec_lo, s3
	s_load_b64 s[34:35], s[0:1], 0x94
	v_lshlrev_b32_e32 v92, 4, v83
	s_delay_alu instid0(VALU_DEP_2)
	v_perm_b32 v100, v94, v97, 0x7060302
	v_dual_mul_f32 v89, v90, v89 :: v_dual_lshlrev_b32 v94, 11, v74
	v_perm_b32 v97, v93, v91, 0x7060302
	v_mul_f32_e32 v93, v90, v77
	v_perm_b32 v99, v98, v99, 0x7060302
	v_perm_b32 v98, v96, v95, 0x7060302
	v_or3_b32 v77, v92, v94, v85
	v_mul_f32_e32 v88, v90, v88
	v_dual_mul_f32 v87, v90, v87 :: v_dual_and_b32 v94, 0x7f800000, v93
	v_mul_f32_e32 v86, v90, v86
	v_mul_f32_e32 v91, v90, v80
	;; [unrolled: 1-line block ×4, first 2 shown]
	s_mov_b32 s3, exec_lo
	ds_store_b128 v77, v[97:100]
                                        ; implicit-def: $vgpr78
	v_cmpx_ne_u32_e32 0x7f800000, v94
	s_xor_b32 s3, exec_lo, s3
; %bb.47:
	v_bfe_u32 v78, v93, 16, 1
	s_delay_alu instid0(VALU_DEP_1)
	v_add3_u32 v78, v93, v78, 0x7fff
                                        ; implicit-def: $vgpr93
; %bb.48:
	s_and_not1_saveexec_b32 s3, s3
; %bb.49:
	v_and_b32_e32 v78, 0xffff, v93
	v_or_b32_e32 v79, 0x10000, v93
	s_delay_alu instid0(VALU_DEP_2) | instskip(NEXT) | instid1(VALU_DEP_2)
	v_cmp_eq_u32_e32 vcc_lo, 0, v78
	v_cndmask_b32_e32 v78, v79, v93, vcc_lo
; %bb.50:
	s_or_b32 exec_lo, exec_lo, s3
	v_and_b32_e32 v79, 0x7f800000, v80
	s_delay_alu instid0(VALU_DEP_1) | instskip(SKIP_1) | instid1(SALU_CYCLE_1)
	v_cmp_ne_u32_e32 vcc_lo, 0x7f800000, v79
                                        ; implicit-def: $vgpr79
	s_and_saveexec_b32 s3, vcc_lo
	s_xor_b32 s3, exec_lo, s3
; %bb.51:
	v_bfe_u32 v79, v80, 16, 1
	s_delay_alu instid0(VALU_DEP_1)
	v_add3_u32 v79, v80, v79, 0x7fff
                                        ; implicit-def: $vgpr80
; %bb.52:
	s_and_not1_saveexec_b32 s3, s3
; %bb.53:
	v_and_b32_e32 v79, 0xffff, v80
	v_or_b32_e32 v90, 0x10000, v80
	s_delay_alu instid0(VALU_DEP_2) | instskip(NEXT) | instid1(VALU_DEP_2)
	v_cmp_eq_u32_e32 vcc_lo, 0, v79
	v_cndmask_b32_e32 v79, v90, v80, vcc_lo
; %bb.54:
	s_or_b32 exec_lo, exec_lo, s3
	v_and_b32_e32 v80, 0x7f800000, v92
	s_delay_alu instid0(VALU_DEP_1) | instskip(SKIP_1) | instid1(SALU_CYCLE_1)
	v_cmp_ne_u32_e32 vcc_lo, 0x7f800000, v80
                                        ; implicit-def: $vgpr80
	s_and_saveexec_b32 s3, vcc_lo
	s_xor_b32 s3, exec_lo, s3
; %bb.55:
	v_bfe_u32 v80, v92, 16, 1
	s_delay_alu instid0(VALU_DEP_1)
	v_add3_u32 v80, v92, v80, 0x7fff
                                        ; implicit-def: $vgpr92
; %bb.56:
	s_and_not1_saveexec_b32 s3, s3
; %bb.57:
	v_and_b32_e32 v80, 0xffff, v92
	v_or_b32_e32 v90, 0x10000, v92
	s_delay_alu instid0(VALU_DEP_2) | instskip(NEXT) | instid1(VALU_DEP_2)
	v_cmp_eq_u32_e32 vcc_lo, 0, v80
	v_cndmask_b32_e32 v80, v90, v92, vcc_lo
; %bb.58:
	s_or_b32 exec_lo, exec_lo, s3
	v_and_b32_e32 v90, 0x7f800000, v91
	s_delay_alu instid0(VALU_DEP_1) | instskip(SKIP_1) | instid1(SALU_CYCLE_1)
	v_cmp_ne_u32_e32 vcc_lo, 0x7f800000, v90
                                        ; implicit-def: $vgpr90
	s_and_saveexec_b32 s3, vcc_lo
	s_xor_b32 s3, exec_lo, s3
; %bb.59:
	v_bfe_u32 v90, v91, 16, 1
	s_delay_alu instid0(VALU_DEP_1)
	v_add3_u32 v90, v91, v90, 0x7fff
                                        ; implicit-def: $vgpr91
; %bb.60:
	s_and_not1_saveexec_b32 s3, s3
; %bb.61:
	v_and_b32_e32 v90, 0xffff, v91
	v_or_b32_e32 v92, 0x10000, v91
	s_delay_alu instid0(VALU_DEP_2) | instskip(NEXT) | instid1(VALU_DEP_2)
	v_cmp_eq_u32_e32 vcc_lo, 0, v90
	v_cndmask_b32_e32 v90, v92, v91, vcc_lo
; %bb.62:
	s_or_b32 exec_lo, exec_lo, s3
	v_and_b32_e32 v91, 0x7f800000, v86
	s_delay_alu instid0(VALU_DEP_1) | instskip(SKIP_1) | instid1(SALU_CYCLE_1)
	v_cmp_ne_u32_e32 vcc_lo, 0x7f800000, v91
                                        ; implicit-def: $vgpr91
	s_and_saveexec_b32 s3, vcc_lo
	s_xor_b32 s3, exec_lo, s3
; %bb.63:
	v_bfe_u32 v91, v86, 16, 1
	s_delay_alu instid0(VALU_DEP_1)
	v_add3_u32 v91, v86, v91, 0x7fff
                                        ; implicit-def: $vgpr86
; %bb.64:
	s_and_not1_saveexec_b32 s3, s3
; %bb.65:
	v_and_b32_e32 v91, 0xffff, v86
	v_or_b32_e32 v92, 0x10000, v86
	s_delay_alu instid0(VALU_DEP_2) | instskip(NEXT) | instid1(VALU_DEP_2)
	v_cmp_eq_u32_e32 vcc_lo, 0, v91
	v_cndmask_b32_e32 v91, v92, v86, vcc_lo
; %bb.66:
	s_or_b32 exec_lo, exec_lo, s3
	v_and_b32_e32 v86, 0x7f800000, v87
	s_delay_alu instid0(VALU_DEP_1) | instskip(SKIP_1) | instid1(SALU_CYCLE_1)
	v_cmp_ne_u32_e32 vcc_lo, 0x7f800000, v86
                                        ; implicit-def: $vgpr86
	s_and_saveexec_b32 s3, vcc_lo
	s_xor_b32 s3, exec_lo, s3
; %bb.67:
	v_bfe_u32 v86, v87, 16, 1
	s_delay_alu instid0(VALU_DEP_1)
	v_add3_u32 v86, v87, v86, 0x7fff
                                        ; implicit-def: $vgpr87
; %bb.68:
	s_and_not1_saveexec_b32 s3, s3
; %bb.69:
	v_and_b32_e32 v86, 0xffff, v87
	v_or_b32_e32 v92, 0x10000, v87
	s_delay_alu instid0(VALU_DEP_2) | instskip(NEXT) | instid1(VALU_DEP_2)
	v_cmp_eq_u32_e32 vcc_lo, 0, v86
	v_cndmask_b32_e32 v86, v92, v87, vcc_lo
; %bb.70:
	s_or_b32 exec_lo, exec_lo, s3
	v_and_b32_e32 v87, 0x7f800000, v88
	s_delay_alu instid0(VALU_DEP_1) | instskip(SKIP_1) | instid1(SALU_CYCLE_1)
	v_cmp_ne_u32_e32 vcc_lo, 0x7f800000, v87
                                        ; implicit-def: $vgpr87
	s_and_saveexec_b32 s3, vcc_lo
	s_xor_b32 s3, exec_lo, s3
; %bb.71:
	v_bfe_u32 v87, v88, 16, 1
	s_delay_alu instid0(VALU_DEP_1)
	v_add3_u32 v87, v88, v87, 0x7fff
                                        ; implicit-def: $vgpr88
; %bb.72:
	s_and_not1_saveexec_b32 s3, s3
; %bb.73:
	v_and_b32_e32 v87, 0xffff, v88
	v_or_b32_e32 v92, 0x10000, v88
	s_delay_alu instid0(VALU_DEP_2) | instskip(NEXT) | instid1(VALU_DEP_2)
	v_cmp_eq_u32_e32 vcc_lo, 0, v87
	v_cndmask_b32_e32 v87, v92, v88, vcc_lo
; %bb.74:
	s_or_b32 exec_lo, exec_lo, s3
	v_and_b32_e32 v88, 0x7f800000, v89
	s_delay_alu instid0(VALU_DEP_1) | instskip(SKIP_1) | instid1(SALU_CYCLE_1)
	v_cmp_ne_u32_e32 vcc_lo, 0x7f800000, v88
                                        ; implicit-def: $vgpr88
	s_and_saveexec_b32 s3, vcc_lo
	s_xor_b32 s3, exec_lo, s3
; %bb.75:
	v_bfe_u32 v88, v89, 16, 1
	s_delay_alu instid0(VALU_DEP_1)
	v_add3_u32 v88, v89, v88, 0x7fff
                                        ; implicit-def: $vgpr89
; %bb.76:
	s_and_not1_saveexec_b32 s3, s3
; %bb.77:
	v_and_b32_e32 v88, 0xffff, v89
	v_or_b32_e32 v92, 0x10000, v89
	s_delay_alu instid0(VALU_DEP_2) | instskip(NEXT) | instid1(VALU_DEP_2)
	v_cmp_eq_u32_e32 vcc_lo, 0, v88
	v_cndmask_b32_e32 v88, v92, v89, vcc_lo
; %bb.78:
	s_or_b32 exec_lo, exec_lo, s3
	s_delay_alu instid0(VALU_DEP_1)
	v_perm_b32 v89, v88, v87, 0x7060302
	v_perm_b32 v88, v86, v91, 0x7060302
	;; [unrolled: 1-line block ×4, first 2 shown]
	v_lshl_or_b32 v90, v74, 11, v85
	ds_store_b128 v77, v[86:89] offset:1024
	s_waitcnt lgkmcnt(0)
	s_barrier
	buffer_gl0_inv
	ds_load_b128 v[91:94], v90
	ds_load_b128 v[95:98], v90 offset:16
	v_lshlrev_b32_e32 v87, 2, v83
	s_delay_alu instid0(VALU_DEP_1)
	v_or_b32_e32 v88, 1, v87
	v_cmp_eq_u32_e32 vcc_lo, 1, v87
	v_cmp_eq_u32_e64 s4, 2, v87
	v_cmp_eq_u32_e64 s7, 3, v87
	;; [unrolled: 1-line block ×6, first 2 shown]
	v_or_b32_e32 v86, 2, v87
	v_cmp_eq_u32_e64 s10, 5, v87
	v_cmp_eq_u32_e64 s11, 4, v88
	;; [unrolled: 1-line block ×4, first 2 shown]
	s_waitcnt lgkmcnt(1)
	v_lshrrev_b32_e32 v74, 16, v91
	s_waitcnt lgkmcnt(0)
	v_lshrrev_b32_e32 v103, 16, v95
	v_lshrrev_b32_e32 v80, 16, v94
	;; [unrolled: 1-line block ×4, first 2 shown]
	v_cndmask_b32_e32 v89, v91, v74, vcc_lo
	v_cndmask_b32_e32 v99, v95, v103, vcc_lo
	v_cndmask_b32_e64 v100, v91, v74, s3
	v_lshrrev_b32_e32 v79, 16, v93
	v_lshrrev_b32_e32 v108, 16, v97
	v_cndmask_b32_e64 v89, v89, v92, s4
	v_cndmask_b32_e64 v99, v99, v96, s4
	;; [unrolled: 1-line block ×4, first 2 shown]
	v_cmp_eq_u32_e64 s5, 1, v86
	v_cndmask_b32_e64 v89, v89, v78, s7
	v_cndmask_b32_e64 v99, v99, v107, s7
	;; [unrolled: 1-line block ×4, first 2 shown]
	v_lshrrev_b32_e32 v109, 16, v98
	v_cndmask_b32_e64 v89, v89, v93, s9
	v_cndmask_b32_e64 v99, v99, v97, s9
	v_cndmask_b32_e64 v100, v100, v93, s11
	v_cndmask_b32_e64 v102, v91, v74, s5
	v_cndmask_b32_e64 v101, v101, v107, s8
	v_cndmask_b32_e64 v89, v89, v79, s10
	v_cndmask_b32_e64 v99, v99, v108, s10
	v_cndmask_b32_e64 v100, v100, v79, s13
	v_cmp_eq_u32_e64 s15, 7, v87
	v_cmp_eq_u32_e64 s16, 6, v88
	v_cndmask_b32_e64 v89, v89, v94, s12
	v_cndmask_b32_e64 v99, v99, v98, s12
	v_cmp_eq_u32_e64 s17, 2, v86
	v_cndmask_b32_e64 v101, v101, v97, s11
	v_cndmask_b32_e64 v100, v100, v94, s16
	;; [unrolled: 1-line block ×6, first 2 shown]
	v_cmp_eq_u32_e64 s18, 7, v88
	v_cmp_eq_u32_e64 s19, 3, v86
	;; [unrolled: 1-line block ×4, first 2 shown]
	v_cndmask_b32_e64 v99, v99, v96, s17
	v_cndmask_b32_e64 v112, v100, v80, s18
	;; [unrolled: 1-line block ×4, first 2 shown]
	v_or_b32_e32 v89, 3, v87
	v_cndmask_b32_e64 v105, v99, v107, s19
	v_cmp_eq_u32_e64 s24, 6, v86
	v_cndmask_b32_e64 v113, v100, v98, s16
	v_cndmask_b32_e64 v104, v101, v93, s20
	ds_load_b128 v[99:102], v90 offset:1024
	v_cmp_eq_u32_e64 s21, 1, v89
	v_cmp_eq_u32_e64 s23, 2, v89
	;; [unrolled: 1-line block ×3, first 2 shown]
	v_cndmask_b32_e64 v114, v104, v79, s22
	v_cmp_eq_u32_e64 s26, 4, v89
	v_cndmask_b32_e64 v74, v91, v74, s21
	v_cndmask_b32_e64 v91, v105, v97, s20
	v_cndmask_b32_e64 v95, v95, v103, s21
	ds_load_b128 v[103:106], v90 offset:1040
	v_cmp_eq_u32_e64 s28, 5, v89
	v_cndmask_b32_e64 v74, v74, v92, s23
	v_cndmask_b32_e64 v91, v91, v108, s22
	;; [unrolled: 1-line block ×3, first 2 shown]
	v_cmp_eq_u32_e64 s29, 6, v89
	v_cndmask_b32_e64 v95, v113, v109, s18
	v_cndmask_b32_e64 v74, v74, v78, s25
	;; [unrolled: 1-line block ×5, first 2 shown]
	s_waitcnt lgkmcnt(1)
	v_lshrrev_b32_e32 v96, 16, v99
	v_cndmask_b32_e64 v74, v74, v93, s26
	v_lshrrev_b32_e32 v107, 16, v100
	v_cndmask_b32_e64 v92, v92, v97, s26
	v_cmp_eq_u32_e64 s27, 7, v86
	v_cndmask_b32_e32 v93, v99, v96, vcc_lo
	v_cndmask_b32_e64 v74, v74, v79, s28
	s_delay_alu instid0(VALU_DEP_4)
	v_cndmask_b32_e64 v79, v92, v108, s28
	s_waitcnt lgkmcnt(0)
	v_lshrrev_b32_e32 v97, 16, v103
	v_cndmask_b32_e64 v92, v93, v100, s4
	v_cndmask_b32_e64 v93, v99, v96, s3
	v_cndmask_b32_e64 v74, v74, v94, s29
	v_cndmask_b32_e64 v79, v79, v98, s29
	v_cndmask_b32_e32 v108, v103, v97, vcc_lo
	v_cndmask_b32_e64 v92, v92, v107, s7
	v_cndmask_b32_e64 v93, v93, v100, s6
	v_lshrrev_b32_e32 v98, 16, v104
	v_cmp_eq_u32_e32 vcc_lo, 7, v89
	v_cndmask_b32_e64 v94, v108, v104, s4
	v_cndmask_b32_e64 v92, v92, v101, s9
	v_lshrrev_b32_e32 v108, 16, v101
	v_cndmask_b32_e64 v93, v93, v107, s8
	v_cndmask_b32_e32 v74, v74, v80, vcc_lo
	v_cndmask_b32_e64 v94, v94, v98, s7
	v_cndmask_b32_e32 v79, v79, v109, vcc_lo
	v_cndmask_b32_e64 v92, v92, v108, s10
	v_cndmask_b32_e64 v78, v78, v80, s27
	;; [unrolled: 1-line block ×4, first 2 shown]
	v_perm_b32 v94, v79, v74, 0x5040100
	v_cndmask_b32_e64 v79, v92, v102, s12
	v_perm_b32 v92, v95, v112, 0x5040100
	v_cndmask_b32_e64 v95, v99, v96, s5
	v_cndmask_b32_e64 v96, v99, v96, s21
	;; [unrolled: 1-line block ×16, first 2 shown]
	v_lshrrev_b32_e32 v109, 16, v105
	v_cndmask_b32_e64 v95, v95, v101, s20
	v_cndmask_b32_e64 v96, v96, v101, s26
	;; [unrolled: 1-line block ×6, first 2 shown]
	v_lshrrev_b32_e32 v80, 16, v102
	v_cndmask_b32_e64 v113, v93, v109, s10
	v_cndmask_b32_e64 v95, v95, v108, s22
	;; [unrolled: 1-line block ×6, first 2 shown]
	v_perm_b32 v93, v91, v78, 0x5040100
	v_cndmask_b32_e64 v74, v74, v102, s16
	v_cndmask_b32_e64 v78, v79, v80, s15
	v_cndmask_b32_e64 v79, v113, v106, s12
	v_lshrrev_b32_e32 v91, 16, v106
	v_cndmask_b32_e64 v95, v95, v102, s24
	v_cndmask_b32_e64 v96, v96, v102, s29
	;; [unrolled: 1-line block ×7, first 2 shown]
	v_cndmask_b32_e32 v80, v96, v80, vcc_lo
	v_cndmask_b32_e32 v96, v98, v91, vcc_lo
	v_cndmask_b32_e64 v99, v99, v91, s27
	v_cndmask_b32_e64 v100, v97, v91, s18
	v_cndmask_b32_e64 v79, v79, v91, s15
	v_perm_b32 v91, v111, v110, 0x5040100
	v_perm_b32 v98, v96, v80, 0x5040100
	;; [unrolled: 1-line block ×5, first 2 shown]
	s_mul_i32 s8, s35, 6
	s_mov_b32 s3, exec_lo
	ds_store_b128 v77, v[91:94]
	ds_store_b128 v77, v[95:98] offset:1024
	v_cmpx_gt_u32_e32 6, v0
	s_cbranch_execz .LBB563_80
; %bb.79:
	s_mul_i32 s4, s8, s30
	s_delay_alu instid0(SALU_CYCLE_1) | instskip(SKIP_1) | instid1(VALU_DEP_1)
	v_add3_u32 v77, s4, s31, v73
	s_load_b128 s[4:7], s[0:1], 0x58
	v_mad_u64_u32 v[73:74], null, v77, s34, s[14:15]
	s_delay_alu instid0(VALU_DEP_1) | instskip(NEXT) | instid1(VALU_DEP_1)
	v_ashrrev_i32_e32 v74, 31, v73
	v_lshlrev_b64 v[73:74], 2, v[73:74]
	s_waitcnt lgkmcnt(0)
	s_delay_alu instid0(VALU_DEP_1) | instskip(NEXT) | instid1(VALU_DEP_2)
	v_add_co_u32 v77, vcc_lo, s6, v73
	v_add_co_ci_u32_e32 v78, vcc_lo, s7, v74, vcc_lo
	v_add_co_u32 v73, vcc_lo, s4, v73
	v_add_co_ci_u32_e32 v74, vcc_lo, s5, v74, vcc_lo
	global_store_b32 v[77:78], v75, off
	global_store_b32 v[73:74], v76, off
.LBB563_80:
	s_or_b32 exec_lo, exec_lo, s3
	s_waitcnt lgkmcnt(0)
	s_waitcnt_vscnt null, 0x0
	s_barrier
	buffer_gl0_inv
	ds_load_b128 v[91:94], v85
	ds_load_b128 v[95:98], v85 offset:16
	ds_load_b128 v[103:106], v85 offset:1040
	;; [unrolled: 1-line block ×3, first 2 shown]
	v_mov_b32_e32 v73, 0
	ds_load_b128 v[111:114], v85 offset:2064
	ds_load_b128 v[107:110], v85 offset:2048
	;; [unrolled: 1-line block ×6, first 2 shown]
	v_mov_b32_e32 v74, v73
	v_mov_b32_e32 v75, v73
	;; [unrolled: 1-line block ×7, first 2 shown]
	s_waitcnt lgkmcnt(8)
	s_delay_alu instid0(VALU_DEP_1)
	v_wmma_f32_16x16x16_bf16 v[73:80], v[65:72], v[91:98], v[73:80]
	ds_load_b128 v[69:72], v85 offset:5136
	ds_load_b128 v[65:68], v85 offset:5120
	;; [unrolled: 1-line block ×4, first 2 shown]
	s_waitcnt lgkmcnt(10)
	v_wmma_f32_16x16x16_bf16 v[73:80], v[57:64], v[99:106], v[73:80]
	s_waitcnt lgkmcnt(8)
	s_delay_alu instid0(VALU_DEP_1)
	v_wmma_f32_16x16x16_bf16 v[73:80], v[57:64], v[107:114], v[73:80]
	ds_load_b128 v[61:64], v85 offset:7184
	ds_load_b128 v[57:60], v85 offset:7168
	;; [unrolled: 1-line block ×4, first 2 shown]
	s_waitcnt lgkmcnt(10)
	v_wmma_f32_16x16x16_bf16 v[73:80], v[49:56], v[115:122], v[73:80]
	s_waitcnt lgkmcnt(8)
	s_delay_alu instid0(VALU_DEP_1)
	v_wmma_f32_16x16x16_bf16 v[73:80], v[49:56], v[123:130], v[73:80]
	ds_load_b128 v[53:56], v85 offset:9232
	ds_load_b128 v[49:52], v85 offset:9216
	s_waitcnt lgkmcnt(8)
	v_wmma_f32_16x16x16_bf16 v[73:80], v[41:48], v[65:72], v[73:80]
	ds_load_b128 v[69:72], v85 offset:10256
	ds_load_b128 v[65:68], v85 offset:10240
	s_waitcnt lgkmcnt(8)
	;; [unrolled: 4-line block ×3, first 2 shown]
	v_wmma_f32_16x16x16_bf16 v[73:80], v[9:16], v[57:64], v[73:80]
	s_waitcnt lgkmcnt(6)
	s_delay_alu instid0(VALU_DEP_1)
	v_wmma_f32_16x16x16_bf16 v[73:80], v[9:16], v[99:106], v[73:80]
	ds_load_b128 v[13:16], v85 offset:12304
	ds_load_b128 v[9:12], v85 offset:12288
	s_waitcnt lgkmcnt(6)
	v_wmma_f32_16x16x16_bf16 v[73:80], v[1:8], v[49:56], v[73:80]
	ds_load_b128 v[53:56], v85 offset:13328
	ds_load_b128 v[49:52], v85 offset:13312
	s_waitcnt lgkmcnt(6)
	;; [unrolled: 4-line block ×4, first 2 shown]
	v_wmma_f32_16x16x16_bf16 v[73:80], v[33:40], v[9:16], v[73:80]
	s_waitcnt lgkmcnt(4)
	s_delay_alu instid0(VALU_DEP_1) | instskip(SKIP_1) | instid1(VALU_DEP_1)
	v_wmma_f32_16x16x16_bf16 v[73:80], v[25:32], v[49:56], v[73:80]
	s_waitcnt lgkmcnt(2)
	v_wmma_f32_16x16x16_bf16 v[73:80], v[25:32], v[1:8], v[73:80]
	s_waitcnt lgkmcnt(0)
	s_delay_alu instid0(VALU_DEP_1) | instskip(NEXT) | instid1(VALU_DEP_1)
	v_wmma_f32_16x16x16_bf16 v[73:80], v[17:24], v[41:48], v[73:80]
	v_and_b32_e32 v1, 0x7f800000, v73
	s_delay_alu instid0(VALU_DEP_1) | instskip(SKIP_1) | instid1(SALU_CYCLE_1)
	v_cmp_ne_u32_e32 vcc_lo, 0x7f800000, v1
                                        ; implicit-def: $vgpr1
	s_and_saveexec_b32 s3, vcc_lo
	s_xor_b32 s3, exec_lo, s3
; %bb.81:
	v_bfe_u32 v1, v73, 16, 1
	s_delay_alu instid0(VALU_DEP_1)
	v_add3_u32 v1, v73, v1, 0x7fff
; %bb.82:
	s_and_not1_saveexec_b32 s3, s3
; %bb.83:
	v_and_b32_e32 v1, 0xffff, v73
	v_or_b32_e32 v2, 0x10000, v73
	s_delay_alu instid0(VALU_DEP_2) | instskip(NEXT) | instid1(VALU_DEP_2)
	v_cmp_eq_u32_e32 vcc_lo, 0, v1
	v_cndmask_b32_e32 v1, v2, v73, vcc_lo
; %bb.84:
	s_or_b32 exec_lo, exec_lo, s3
	v_and_b32_e32 v2, 0x7f800000, v74
	s_delay_alu instid0(VALU_DEP_1) | instskip(SKIP_1) | instid1(SALU_CYCLE_1)
	v_cmp_ne_u32_e32 vcc_lo, 0x7f800000, v2
                                        ; implicit-def: $vgpr2
	s_and_saveexec_b32 s3, vcc_lo
	s_xor_b32 s3, exec_lo, s3
; %bb.85:
	v_bfe_u32 v2, v74, 16, 1
	s_delay_alu instid0(VALU_DEP_1)
	v_add3_u32 v2, v74, v2, 0x7fff
; %bb.86:
	s_and_not1_saveexec_b32 s3, s3
; %bb.87:
	v_and_b32_e32 v2, 0xffff, v74
	v_or_b32_e32 v3, 0x10000, v74
	s_delay_alu instid0(VALU_DEP_2) | instskip(NEXT) | instid1(VALU_DEP_2)
	v_cmp_eq_u32_e32 vcc_lo, 0, v2
	v_cndmask_b32_e32 v2, v3, v74, vcc_lo
; %bb.88:
	s_or_b32 exec_lo, exec_lo, s3
	v_and_b32_e32 v3, 0x7f800000, v75
	s_delay_alu instid0(VALU_DEP_1) | instskip(SKIP_1) | instid1(SALU_CYCLE_1)
	v_cmp_ne_u32_e32 vcc_lo, 0x7f800000, v3
                                        ; implicit-def: $vgpr3
	s_and_saveexec_b32 s3, vcc_lo
	s_xor_b32 s3, exec_lo, s3
; %bb.89:
	v_bfe_u32 v3, v75, 16, 1
	s_delay_alu instid0(VALU_DEP_1)
	v_add3_u32 v3, v75, v3, 0x7fff
; %bb.90:
	s_and_not1_saveexec_b32 s3, s3
; %bb.91:
	v_and_b32_e32 v3, 0xffff, v75
	v_or_b32_e32 v4, 0x10000, v75
	s_delay_alu instid0(VALU_DEP_2) | instskip(NEXT) | instid1(VALU_DEP_2)
	v_cmp_eq_u32_e32 vcc_lo, 0, v3
	v_cndmask_b32_e32 v3, v4, v75, vcc_lo
; %bb.92:
	s_or_b32 exec_lo, exec_lo, s3
	v_and_b32_e32 v4, 0x7f800000, v76
	s_delay_alu instid0(VALU_DEP_1) | instskip(SKIP_1) | instid1(SALU_CYCLE_1)
	v_cmp_ne_u32_e32 vcc_lo, 0x7f800000, v4
                                        ; implicit-def: $vgpr4
	s_and_saveexec_b32 s3, vcc_lo
	s_xor_b32 s3, exec_lo, s3
; %bb.93:
	v_bfe_u32 v4, v76, 16, 1
	s_delay_alu instid0(VALU_DEP_1)
	v_add3_u32 v4, v76, v4, 0x7fff
; %bb.94:
	s_and_not1_saveexec_b32 s3, s3
; %bb.95:
	v_and_b32_e32 v4, 0xffff, v76
	v_or_b32_e32 v5, 0x10000, v76
	s_delay_alu instid0(VALU_DEP_2) | instskip(NEXT) | instid1(VALU_DEP_2)
	v_cmp_eq_u32_e32 vcc_lo, 0, v4
	v_cndmask_b32_e32 v4, v5, v76, vcc_lo
; %bb.96:
	s_or_b32 exec_lo, exec_lo, s3
	v_and_b32_e32 v5, 0x7f800000, v77
	s_delay_alu instid0(VALU_DEP_1) | instskip(SKIP_1) | instid1(SALU_CYCLE_1)
	v_cmp_ne_u32_e32 vcc_lo, 0x7f800000, v5
                                        ; implicit-def: $vgpr5
	s_and_saveexec_b32 s3, vcc_lo
	s_xor_b32 s3, exec_lo, s3
; %bb.97:
	v_bfe_u32 v5, v77, 16, 1
	s_delay_alu instid0(VALU_DEP_1)
	v_add3_u32 v5, v77, v5, 0x7fff
; %bb.98:
	s_and_not1_saveexec_b32 s3, s3
; %bb.99:
	v_and_b32_e32 v5, 0xffff, v77
	v_or_b32_e32 v6, 0x10000, v77
	s_delay_alu instid0(VALU_DEP_2) | instskip(NEXT) | instid1(VALU_DEP_2)
	v_cmp_eq_u32_e32 vcc_lo, 0, v5
	v_cndmask_b32_e32 v5, v6, v77, vcc_lo
; %bb.100:
	s_or_b32 exec_lo, exec_lo, s3
	v_and_b32_e32 v6, 0x7f800000, v78
	s_delay_alu instid0(VALU_DEP_1) | instskip(SKIP_1) | instid1(SALU_CYCLE_1)
	v_cmp_ne_u32_e32 vcc_lo, 0x7f800000, v6
                                        ; implicit-def: $vgpr6
	s_and_saveexec_b32 s3, vcc_lo
	s_xor_b32 s3, exec_lo, s3
; %bb.101:
	v_bfe_u32 v6, v78, 16, 1
	s_delay_alu instid0(VALU_DEP_1)
	v_add3_u32 v6, v78, v6, 0x7fff
; %bb.102:
	s_and_not1_saveexec_b32 s3, s3
; %bb.103:
	v_and_b32_e32 v6, 0xffff, v78
	v_or_b32_e32 v7, 0x10000, v78
	s_delay_alu instid0(VALU_DEP_2) | instskip(NEXT) | instid1(VALU_DEP_2)
	v_cmp_eq_u32_e32 vcc_lo, 0, v6
	v_cndmask_b32_e32 v6, v7, v78, vcc_lo
; %bb.104:
	s_or_b32 exec_lo, exec_lo, s3
	v_and_b32_e32 v7, 0x7f800000, v79
	s_delay_alu instid0(VALU_DEP_1) | instskip(SKIP_1) | instid1(SALU_CYCLE_1)
	v_cmp_ne_u32_e32 vcc_lo, 0x7f800000, v7
                                        ; implicit-def: $vgpr7
	s_and_saveexec_b32 s3, vcc_lo
	s_xor_b32 s3, exec_lo, s3
; %bb.105:
	v_bfe_u32 v7, v79, 16, 1
	s_delay_alu instid0(VALU_DEP_1)
	v_add3_u32 v7, v79, v7, 0x7fff
; %bb.106:
	s_and_not1_saveexec_b32 s3, s3
; %bb.107:
	v_and_b32_e32 v7, 0xffff, v79
	v_or_b32_e32 v8, 0x10000, v79
	s_delay_alu instid0(VALU_DEP_2) | instskip(NEXT) | instid1(VALU_DEP_2)
	v_cmp_eq_u32_e32 vcc_lo, 0, v7
	v_cndmask_b32_e32 v7, v8, v79, vcc_lo
; %bb.108:
	s_or_b32 exec_lo, exec_lo, s3
	v_and_b32_e32 v8, 0x7f800000, v80
	s_delay_alu instid0(VALU_DEP_1) | instskip(SKIP_1) | instid1(SALU_CYCLE_1)
	v_cmp_ne_u32_e32 vcc_lo, 0x7f800000, v8
                                        ; implicit-def: $vgpr8
	s_and_saveexec_b32 s3, vcc_lo
	s_xor_b32 s3, exec_lo, s3
; %bb.109:
	v_bfe_u32 v8, v80, 16, 1
	s_delay_alu instid0(VALU_DEP_1)
	v_add3_u32 v8, v80, v8, 0x7fff
                                        ; implicit-def: $vgpr73_vgpr74_vgpr75_vgpr76_vgpr77_vgpr78_vgpr79_vgpr80
; %bb.110:
	s_and_not1_saveexec_b32 s3, s3
; %bb.111:
	v_and_b32_e32 v8, 0xffff, v80
	v_or_b32_e32 v9, 0x10000, v80
	s_delay_alu instid0(VALU_DEP_2) | instskip(NEXT) | instid1(VALU_DEP_2)
	v_cmp_eq_u32_e32 vcc_lo, 0, v8
	v_cndmask_b32_e32 v8, v9, v80, vcc_lo
; %bb.112:
	s_or_b32 exec_lo, exec_lo, s3
	s_delay_alu instid0(VALU_DEP_1)
	v_perm_b32 v7, v8, v7, 0x7060302
	v_perm_b32 v6, v6, v5, 0x7060302
	;; [unrolled: 1-line block ×4, first 2 shown]
	v_lshl_or_b32 v9, v83, 4, v90
	s_barrier
	buffer_gl0_inv
	v_cmp_eq_u32_e32 vcc_lo, 1, v87
	ds_store_b128 v9, v[4:7]
	s_waitcnt lgkmcnt(0)
	s_barrier
	buffer_gl0_inv
	ds_load_b128 v[1:4], v90
	ds_load_b128 v[5:8], v90 offset:16
	v_cmp_eq_u32_e64 s4, 2, v87
	v_cmp_eq_u32_e64 s3, 1, v88
	;; [unrolled: 1-line block ×5, first 2 shown]
	s_waitcnt lgkmcnt(1)
	v_lshrrev_b32_e32 v10, 16, v1
	s_waitcnt lgkmcnt(0)
	v_lshrrev_b32_e32 v14, 16, v5
	v_lshrrev_b32_e32 v15, 16, v6
	;; [unrolled: 1-line block ×4, first 2 shown]
	v_cndmask_b32_e64 v20, v1, v10, s3
	v_cndmask_b32_e32 v19, v5, v14, vcc_lo
	v_cndmask_b32_e64 v21, v5, v14, s3
	v_lshrrev_b32_e32 v16, 16, v7
	v_cmp_eq_u32_e64 s3, 1, v86
	v_lshrrev_b32_e32 v13, 16, v4
	v_cndmask_b32_e64 v19, v19, v6, s4
	v_lshrrev_b32_e32 v17, 16, v8
	s_delay_alu instid0(VALU_DEP_4) | instskip(SKIP_1) | instid1(VALU_DEP_4)
	v_cndmask_b32_e64 v22, v1, v10, s3
	v_cndmask_b32_e64 v23, v5, v14, s3
	;; [unrolled: 1-line block ×3, first 2 shown]
	v_cndmask_b32_e32 v18, v1, v10, vcc_lo
	v_cmp_eq_u32_e32 vcc_lo, 2, v88
	v_cmp_eq_u32_e64 s3, 2, v89
	v_cndmask_b32_e64 v22, v22, v2, s7
	v_cndmask_b32_e32 v20, v20, v2, vcc_lo
	v_cndmask_b32_e32 v21, v21, v6, vcc_lo
	v_cmp_eq_u32_e32 vcc_lo, 4, v87
	v_cndmask_b32_e32 v19, v19, v7, vcc_lo
	v_cndmask_b32_e64 v18, v18, v2, s4
	v_cmp_eq_u32_e64 s4, 3, v88
	s_delay_alu instid0(VALU_DEP_2) | instskip(NEXT) | instid1(VALU_DEP_2)
	v_cndmask_b32_e64 v18, v18, v11, s5
	v_cndmask_b32_e64 v21, v21, v15, s4
	v_cmp_eq_u32_e64 s5, 5, v87
	s_delay_alu instid0(VALU_DEP_3) | instskip(SKIP_1) | instid1(VALU_DEP_3)
	v_cndmask_b32_e32 v18, v18, v3, vcc_lo
	v_cmp_eq_u32_e32 vcc_lo, 4, v88
	v_cndmask_b32_e64 v19, v19, v16, s5
	s_delay_alu instid0(VALU_DEP_3) | instskip(SKIP_4) | instid1(VALU_DEP_3)
	v_cndmask_b32_e64 v18, v18, v12, s5
	v_cndmask_b32_e32 v21, v21, v7, vcc_lo
	v_cndmask_b32_e64 v20, v20, v11, s4
	v_cmp_eq_u32_e64 s4, 5, v88
	v_cmp_eq_u32_e64 s5, 6, v87
	v_cndmask_b32_e32 v20, v20, v3, vcc_lo
	s_delay_alu instid0(VALU_DEP_3) | instskip(SKIP_1) | instid1(VALU_DEP_4)
	v_cndmask_b32_e64 v21, v21, v16, s4
	v_cmp_eq_u32_e32 vcc_lo, 6, v88
	v_cndmask_b32_e64 v18, v18, v4, s5
	v_cndmask_b32_e64 v19, v19, v8, s5
	;; [unrolled: 1-line block ×3, first 2 shown]
	v_cmp_eq_u32_e64 s4, 1, v89
	v_cmp_eq_u32_e64 s5, 7, v87
	s_delay_alu instid0(VALU_DEP_3) | instskip(NEXT) | instid1(VALU_DEP_3)
	v_cndmask_b32_e32 v20, v20, v4, vcc_lo
	v_cndmask_b32_e64 v1, v1, v10, s4
	v_cndmask_b32_e64 v5, v5, v14, s4
	v_cmp_eq_u32_e64 s4, 3, v86
	v_cndmask_b32_e64 v14, v23, v6, s7
	v_cmp_eq_u32_e64 s7, 3, v89
	v_cndmask_b32_e64 v1, v1, v2, s3
	v_cndmask_b32_e64 v2, v5, v6, s3
	;; [unrolled: 1-line block ×3, first 2 shown]
	v_cmp_eq_u32_e64 s3, 4, v86
	v_cndmask_b32_e64 v6, v14, v15, s4
	v_cndmask_b32_e64 v1, v1, v11, s7
	v_cmp_eq_u32_e64 s4, 4, v89
	v_cndmask_b32_e64 v2, v2, v15, s7
	v_cndmask_b32_e64 v5, v10, v3, s3
	;; [unrolled: 3-line block ×3, first 2 shown]
	v_cndmask_b32_e64 v2, v2, v7, s4
	v_cmp_eq_u32_e64 s3, 5, v89
	v_cndmask_b32_e64 v5, v5, v12, s7
	v_cmp_eq_u32_e64 s4, 6, v86
	;; [unrolled: 2-line block ×3, first 2 shown]
	v_cndmask_b32_e64 v1, v1, v12, s3
	v_cndmask_b32_e64 v2, v2, v16, s3
	;; [unrolled: 1-line block ×4, first 2 shown]
	v_cmp_eq_u32_e64 s3, 7, v89
	v_cndmask_b32_e64 v1, v1, v4, s7
	v_cndmask_b32_e64 v2, v2, v8, s7
	v_cmp_eq_u32_e64 s4, 7, v86
	v_cndmask_b32_e32 v4, v21, v8, vcc_lo
	v_cndmask_b32_e64 v18, v18, v13, s5
	v_cndmask_b32_e64 v20, v20, v13, s6
	;; [unrolled: 1-line block ×8, first 2 shown]
	v_cmp_gt_u32_e32 vcc_lo, 32, v0
	v_perm_b32 v4, v2, v1, 0x5040100
	v_perm_b32 v3, v3, v5, 0x5040100
	;; [unrolled: 1-line block ×4, first 2 shown]
	s_and_b32 s2, vcc_lo, s2
	ds_store_b128 v9, v[1:4]
	s_waitcnt lgkmcnt(0)
	s_barrier
	buffer_gl0_inv
	s_and_saveexec_b32 s3, s2
	s_cbranch_execz .LBB563_2
; %bb.113:
	s_load_b64 s[0:1], s[0:1], 0x68
	s_lshl_b32 s4, s34, 6
	v_or_b32_e32 v3, s31, v83
	s_mul_i32 s2, s4, s30
	v_lshlrev_b32_e32 v0, 10, v0
	s_mul_i32 s2, s2, s8
	v_lshlrev_b32_e32 v1, 4, v84
	s_ashr_i32 s3, s2, 31
	v_mul_lo_u32 v12, v3, s4
	s_lshl_b64 s[2:3], s[2:3], 1
	v_lshlrev_b32_e32 v2, 6, v83
	v_and_b32_e32 v0, 0x3800, v0
	s_delay_alu instid0(VALU_DEP_1) | instskip(NEXT) | instid1(VALU_DEP_4)
	v_or3_b32 v8, v0, v1, v2
	v_ashrrev_i32_e32 v13, 31, v12
	ds_load_b128 v[0:3], v8
	ds_load_b128 v[4:7], v8 offset:128
	ds_load_b128 v[8:11], v8 offset:256
	s_waitcnt lgkmcnt(0)
	s_add_u32 s2, s0, s2
	s_addc_u32 s3, s1, s3
	s_lshl_b32 s0, s14, 6
	s_delay_alu instid0(SALU_CYCLE_1) | instskip(NEXT) | instid1(SALU_CYCLE_1)
	s_ashr_i32 s1, s0, 31
	s_lshl_b64 s[0:1], s[0:1], 1
	s_delay_alu instid0(SALU_CYCLE_1)
	s_add_u32 s0, s2, s0
	s_addc_u32 s1, s3, s1
	s_lshl_b32 s2, s34, 7
	v_add_co_u32 v18, vcc_lo, s0, v81
	v_add_nc_u32_e32 v14, s2, v12
	v_lshlrev_b64 v[12:13], 1, v[12:13]
	v_add_co_ci_u32_e32 v19, vcc_lo, s1, v82, vcc_lo
	s_delay_alu instid0(VALU_DEP_3) | instskip(SKIP_1) | instid1(VALU_DEP_4)
	v_add_nc_u32_e32 v16, s2, v14
	v_ashrrev_i32_e32 v15, 31, v14
	v_add_co_u32 v12, vcc_lo, v18, v12
	s_delay_alu instid0(VALU_DEP_4) | instskip(NEXT) | instid1(VALU_DEP_4)
	v_add_co_ci_u32_e32 v13, vcc_lo, v19, v13, vcc_lo
	v_ashrrev_i32_e32 v17, 31, v16
	s_delay_alu instid0(VALU_DEP_4) | instskip(NEXT) | instid1(VALU_DEP_2)
	v_lshlrev_b64 v[14:15], 1, v[14:15]
	v_lshlrev_b64 v[16:17], 1, v[16:17]
	s_delay_alu instid0(VALU_DEP_2) | instskip(NEXT) | instid1(VALU_DEP_3)
	v_add_co_u32 v14, vcc_lo, v18, v14
	v_add_co_ci_u32_e32 v15, vcc_lo, v19, v15, vcc_lo
	s_delay_alu instid0(VALU_DEP_3) | instskip(NEXT) | instid1(VALU_DEP_4)
	v_add_co_u32 v16, vcc_lo, v18, v16
	v_add_co_ci_u32_e32 v17, vcc_lo, v19, v17, vcc_lo
	s_clause 0x2
	global_store_b128 v[12:13], v[0:3], off
	global_store_b128 v[14:15], v[4:7], off
	;; [unrolled: 1-line block ×3, first 2 shown]
	s_nop 0
	s_sendmsg sendmsg(MSG_DEALLOC_VGPRS)
	s_endpgm
	.section	.rodata,"a",@progbits
	.p2align	6, 0x0
	.amdhsa_kernel _Z39paged_attention_ll4mi_QKV_mfma16_kernelI14__hip_bfloat16S0_LN4vllm18Fp8KVCacheDataTypeE0ES0_Li32ELi64ELi256ELb0ELi6EL8MFMAType0EEvPKT_PKT0_S9_ifPKiSB_SB_iPKfiiiPfSE_PS4_PT2_iSD_SD_
		.amdhsa_group_segment_fixed_size 17472
		.amdhsa_private_segment_fixed_size 0
		.amdhsa_kernarg_size 400
		.amdhsa_user_sgpr_count 13
		.amdhsa_user_sgpr_dispatch_ptr 0
		.amdhsa_user_sgpr_queue_ptr 0
		.amdhsa_user_sgpr_kernarg_segment_ptr 1
		.amdhsa_user_sgpr_dispatch_id 0
		.amdhsa_user_sgpr_private_segment_size 0
		.amdhsa_wavefront_size32 1
		.amdhsa_uses_dynamic_stack 0
		.amdhsa_enable_private_segment 0
		.amdhsa_system_sgpr_workgroup_id_x 1
		.amdhsa_system_sgpr_workgroup_id_y 1
		.amdhsa_system_sgpr_workgroup_id_z 1
		.amdhsa_system_sgpr_workgroup_info 0
		.amdhsa_system_vgpr_workitem_id 0
		.amdhsa_next_free_vgpr 142
		.amdhsa_next_free_sgpr 38
		.amdhsa_reserve_vcc 1
		.amdhsa_float_round_mode_32 0
		.amdhsa_float_round_mode_16_64 0
		.amdhsa_float_denorm_mode_32 3
		.amdhsa_float_denorm_mode_16_64 3
		.amdhsa_dx10_clamp 1
		.amdhsa_ieee_mode 1
		.amdhsa_fp16_overflow 0
		.amdhsa_workgroup_processor_mode 1
		.amdhsa_memory_ordered 1
		.amdhsa_forward_progress 0
		.amdhsa_shared_vgpr_count 0
		.amdhsa_exception_fp_ieee_invalid_op 0
		.amdhsa_exception_fp_denorm_src 0
		.amdhsa_exception_fp_ieee_div_zero 0
		.amdhsa_exception_fp_ieee_overflow 0
		.amdhsa_exception_fp_ieee_underflow 0
		.amdhsa_exception_fp_ieee_inexact 0
		.amdhsa_exception_int_div_zero 0
	.end_amdhsa_kernel
	.section	.text._Z39paged_attention_ll4mi_QKV_mfma16_kernelI14__hip_bfloat16S0_LN4vllm18Fp8KVCacheDataTypeE0ES0_Li32ELi64ELi256ELb0ELi6EL8MFMAType0EEvPKT_PKT0_S9_ifPKiSB_SB_iPKfiiiPfSE_PS4_PT2_iSD_SD_,"axG",@progbits,_Z39paged_attention_ll4mi_QKV_mfma16_kernelI14__hip_bfloat16S0_LN4vllm18Fp8KVCacheDataTypeE0ES0_Li32ELi64ELi256ELb0ELi6EL8MFMAType0EEvPKT_PKT0_S9_ifPKiSB_SB_iPKfiiiPfSE_PS4_PT2_iSD_SD_,comdat
.Lfunc_end563:
	.size	_Z39paged_attention_ll4mi_QKV_mfma16_kernelI14__hip_bfloat16S0_LN4vllm18Fp8KVCacheDataTypeE0ES0_Li32ELi64ELi256ELb0ELi6EL8MFMAType0EEvPKT_PKT0_S9_ifPKiSB_SB_iPKfiiiPfSE_PS4_PT2_iSD_SD_, .Lfunc_end563-_Z39paged_attention_ll4mi_QKV_mfma16_kernelI14__hip_bfloat16S0_LN4vllm18Fp8KVCacheDataTypeE0ES0_Li32ELi64ELi256ELb0ELi6EL8MFMAType0EEvPKT_PKT0_S9_ifPKiSB_SB_iPKfiiiPfSE_PS4_PT2_iSD_SD_
                                        ; -- End function
	.section	.AMDGPU.csdata,"",@progbits
; Kernel info:
; codeLenInByte = 9384
; NumSgprs: 40
; NumVgprs: 142
; ScratchSize: 0
; MemoryBound: 0
; FloatMode: 240
; IeeeMode: 1
; LDSByteSize: 17472 bytes/workgroup (compile time only)
; SGPRBlocks: 4
; VGPRBlocks: 17
; NumSGPRsForWavesPerEU: 40
; NumVGPRsForWavesPerEU: 142
; Occupancy: 10
; WaveLimiterHint : 1
; COMPUTE_PGM_RSRC2:SCRATCH_EN: 0
; COMPUTE_PGM_RSRC2:USER_SGPR: 13
; COMPUTE_PGM_RSRC2:TRAP_HANDLER: 0
; COMPUTE_PGM_RSRC2:TGID_X_EN: 1
; COMPUTE_PGM_RSRC2:TGID_Y_EN: 1
; COMPUTE_PGM_RSRC2:TGID_Z_EN: 1
; COMPUTE_PGM_RSRC2:TIDIG_COMP_CNT: 0
	.section	.text._Z39paged_attention_ll4mi_QKV_mfma16_kernelI14__hip_bfloat16S0_LN4vllm18Fp8KVCacheDataTypeE0ES0_Li32ELi64ELi256ELb0ELi7EL8MFMAType0EEvPKT_PKT0_S9_ifPKiSB_SB_iPKfiiiPfSE_PS4_PT2_iSD_SD_,"axG",@progbits,_Z39paged_attention_ll4mi_QKV_mfma16_kernelI14__hip_bfloat16S0_LN4vllm18Fp8KVCacheDataTypeE0ES0_Li32ELi64ELi256ELb0ELi7EL8MFMAType0EEvPKT_PKT0_S9_ifPKiSB_SB_iPKfiiiPfSE_PS4_PT2_iSD_SD_,comdat
	.protected	_Z39paged_attention_ll4mi_QKV_mfma16_kernelI14__hip_bfloat16S0_LN4vllm18Fp8KVCacheDataTypeE0ES0_Li32ELi64ELi256ELb0ELi7EL8MFMAType0EEvPKT_PKT0_S9_ifPKiSB_SB_iPKfiiiPfSE_PS4_PT2_iSD_SD_ ; -- Begin function _Z39paged_attention_ll4mi_QKV_mfma16_kernelI14__hip_bfloat16S0_LN4vllm18Fp8KVCacheDataTypeE0ES0_Li32ELi64ELi256ELb0ELi7EL8MFMAType0EEvPKT_PKT0_S9_ifPKiSB_SB_iPKfiiiPfSE_PS4_PT2_iSD_SD_
	.globl	_Z39paged_attention_ll4mi_QKV_mfma16_kernelI14__hip_bfloat16S0_LN4vllm18Fp8KVCacheDataTypeE0ES0_Li32ELi64ELi256ELb0ELi7EL8MFMAType0EEvPKT_PKT0_S9_ifPKiSB_SB_iPKfiiiPfSE_PS4_PT2_iSD_SD_
	.p2align	8
	.type	_Z39paged_attention_ll4mi_QKV_mfma16_kernelI14__hip_bfloat16S0_LN4vllm18Fp8KVCacheDataTypeE0ES0_Li32ELi64ELi256ELb0ELi7EL8MFMAType0EEvPKT_PKT0_S9_ifPKiSB_SB_iPKfiiiPfSE_PS4_PT2_iSD_SD_,@function
_Z39paged_attention_ll4mi_QKV_mfma16_kernelI14__hip_bfloat16S0_LN4vllm18Fp8KVCacheDataTypeE0ES0_Li32ELi64ELi256ELb0ELi7EL8MFMAType0EEvPKT_PKT0_S9_ifPKiSB_SB_iPKfiiiPfSE_PS4_PT2_iSD_SD_: ; @_Z39paged_attention_ll4mi_QKV_mfma16_kernelI14__hip_bfloat16S0_LN4vllm18Fp8KVCacheDataTypeE0ES0_Li32ELi64ELi256ELb0ELi7EL8MFMAType0EEvPKT_PKT0_S9_ifPKiSB_SB_iPKfiiiPfSE_PS4_PT2_iSD_SD_
; %bb.0:
	s_load_b64 s[2:3], s[0:1], 0x30
	s_mov_b32 s34, s13
	s_waitcnt lgkmcnt(0)
	s_cmp_lg_u64 s[2:3], 0
	s_cselect_b32 s6, -1, 0
	s_ashr_i32 s35, s13, 31
	s_cmp_eq_u64 s[2:3], 0
	s_cbranch_scc1 .LBB564_3
; %bb.1:
	s_lshl_b64 s[4:5], s[34:35], 2
	s_delay_alu instid0(SALU_CYCLE_1) | instskip(SKIP_4) | instid1(SALU_CYCLE_1)
	s_add_u32 s4, s2, s4
	s_addc_u32 s5, s3, s5
	s_load_b64 s[4:5], s[4:5], 0x0
	s_waitcnt lgkmcnt(0)
	s_sub_i32 s4, s5, s4
	s_cmp_eq_u32 s4, 1
	s_cselect_b32 s4, -1, 0
	s_delay_alu instid0(SALU_CYCLE_1)
	s_and_not1_b32 vcc_lo, exec_lo, s4
	s_cbranch_vccz .LBB564_4
.LBB564_2:
	s_nop 0
	s_sendmsg sendmsg(MSG_DEALLOC_VGPRS)
	s_endpgm
.LBB564_3:
.LBB564_4:
	s_load_b64 s[8:9], s[0:1], 0x28
	s_lshl_b64 s[4:5], s[34:35], 2
	s_waitcnt lgkmcnt(0)
	s_add_u32 s8, s8, s4
	s_addc_u32 s9, s9, s5
	s_lshl_b32 s16, s14, 8
	s_load_b32 s18, s[8:9], 0x0
	s_waitcnt lgkmcnt(0)
	s_cmp_ge_i32 s16, s18
	s_cbranch_scc1 .LBB564_2
; %bb.5:
	s_and_not1_b32 vcc_lo, exec_lo, s6
	s_cbranch_vccnz .LBB564_7
; %bb.6:
	s_add_u32 s2, s2, s4
	s_addc_u32 s3, s3, s5
	s_load_b32 s17, s[2:3], 0x0
	s_branch .LBB564_8
.LBB564_7:
	s_mov_b32 s17, s34
.LBB564_8:
	s_clause 0x2
	s_load_b128 s[8:11], s[0:1], 0x8
	s_load_b64 s[12:13], s[0:1], 0x20
	s_load_b128 s[4:7], s[0:1], 0x48
	v_lshrrev_b32_e32 v74, 5, v0
	v_bfe_u32 v83, v0, 4, 1
	v_and_b32_e32 v73, 15, v0
	s_delay_alu instid0(VALU_DEP_2) | instskip(NEXT) | instid1(VALU_DEP_2)
	v_lshl_or_b32 v3, v74, 1, v83
	v_cmp_lt_u32_e64 s3, 7, v73
	v_lshlrev_b32_e32 v1, 3, v73
	v_cmp_gt_u32_e64 s2, 8, v73
	s_delay_alu instid0(VALU_DEP_4) | instskip(NEXT) | instid1(VALU_DEP_4)
	v_cmp_lt_u32_e32 vcc_lo, 6, v3
	s_or_b32 s3, s3, vcc_lo
	s_waitcnt lgkmcnt(0)
	s_and_saveexec_b32 s7, s3
	s_delay_alu instid0(SALU_CYCLE_1)
	s_xor_b32 s3, exec_lo, s7
; %bb.9:
	v_mov_b32_e32 v2, 0
                                        ; implicit-def: $vgpr3
; %bb.10:
	s_or_saveexec_b32 s3, s3
	v_and_b32_e32 v75, 31, v0
	v_and_b32_e32 v84, 1, v0
	s_mul_i32 s31, s15, 7
	s_xor_b32 exec_lo, exec_lo, s3
	s_cbranch_execz .LBB564_12
; %bb.11:
	s_load_b64 s[20:21], s[0:1], 0x0
	v_add_lshl_u32 v4, v3, s31, 6
	s_mul_hi_i32 s23, s17, s4
	s_mul_i32 s22, s17, s4
	v_lshlrev_b32_e32 v2, 1, v1
	s_lshl_b64 s[22:23], s[22:23], 1
	v_ashrrev_i32_e32 v5, 31, v4
	v_lshlrev_b32_e32 v3, 6, v3
	v_lshlrev_b32_e32 v8, 10, v84
	s_delay_alu instid0(VALU_DEP_3) | instskip(SKIP_3) | instid1(VALU_DEP_1)
	v_lshlrev_b64 v[4:5], 1, v[4:5]
	s_waitcnt lgkmcnt(0)
	s_add_u32 s4, s20, s22
	s_addc_u32 s7, s21, s23
	v_add_co_u32 v4, vcc_lo, s4, v4
	s_delay_alu instid0(VALU_DEP_2) | instskip(NEXT) | instid1(VALU_DEP_2)
	v_add_co_ci_u32_e32 v5, vcc_lo, s7, v5, vcc_lo
	v_add_co_u32 v4, vcc_lo, v4, v2
	s_delay_alu instid0(VALU_DEP_2) | instskip(SKIP_3) | instid1(VALU_DEP_1)
	v_add_co_ci_u32_e32 v5, vcc_lo, 0, v5, vcc_lo
	v_lshlrev_b32_e32 v2, 10, v73
	global_load_b128 v[4:7], v[4:5], off
	v_and_b32_e32 v2, 0x3800, v2
	v_or3_b32 v3, v2, v8, v3
	v_mov_b32_e32 v2, 0
	s_waitcnt vmcnt(0)
	ds_store_b128 v3, v[4:7]
.LBB564_12:
	s_or_b32 exec_lo, exec_lo, s3
	v_and_b32_e32 v3, 0xef, v0
	s_add_i32 s3, s18, 31
	s_clause 0x1
	s_load_b32 s4, s[0:1], 0x38
	s_load_b32 s19, s[0:1], 0x1c
	s_ashr_i32 s7, s3, 31
	v_add_nc_u32_e32 v3, s16, v3
	s_lshr_b32 s7, s7, 27
	s_waitcnt lgkmcnt(0)
	s_add_i32 s3, s3, s7
	s_barrier
	v_ashrrev_i32_e32 v4, 31, v3
	v_cmp_gt_i32_e32 vcc_lo, s18, v3
	s_ashr_i32 s3, s3, 5
	buffer_gl0_inv
	s_add_i32 s3, s3, -1
	v_lshrrev_b32_e32 v5, 27, v4
	v_or_b32_e32 v4, 16, v3
	s_mul_i32 s6, s15, s6
	v_lshlrev_b64 v[81:82], 1, v[1:2]
	s_delay_alu instid0(VALU_DEP_3) | instskip(NEXT) | instid1(VALU_DEP_3)
	v_add_nc_u32_e32 v6, v3, v5
	v_add_nc_u32_e32 v5, v4, v5
	s_mul_i32 s20, s34, s4
	s_delay_alu instid0(SALU_CYCLE_1) | instskip(NEXT) | instid1(VALU_DEP_2)
	s_ashr_i32 s21, s20, 31
	v_ashrrev_i32_e32 v6, 5, v6
	s_delay_alu instid0(VALU_DEP_2) | instskip(SKIP_1) | instid1(SALU_CYCLE_1)
	v_ashrrev_i32_e32 v5, 5, v5
	s_lshl_b64 s[20:21], s[20:21], 2
	s_add_u32 s4, s12, s20
	s_delay_alu instid0(VALU_DEP_2) | instskip(SKIP_3) | instid1(SALU_CYCLE_1)
	v_cndmask_b32_e32 v3, s3, v6, vcc_lo
	v_cmp_gt_i32_e32 vcc_lo, s18, v4
	s_addc_u32 s17, s13, s21
	s_ashr_i32 s7, s6, 31
	s_lshl_b64 s[6:7], s[6:7], 1
	v_cndmask_b32_e32 v5, s3, v5, vcc_lo
	v_ashrrev_i32_e32 v4, 31, v3
	s_add_u32 s15, s8, s6
	s_addc_u32 s28, s9, s7
	s_lshl_b32 s8, s14, 3
	v_ashrrev_i32_e32 v6, 31, v5
	v_lshlrev_b64 v[3:4], 2, v[3:4]
	s_ashr_i32 s9, s8, 31
	s_delay_alu instid0(SALU_CYCLE_1) | instskip(NEXT) | instid1(VALU_DEP_2)
	s_lshl_b64 s[8:9], s[8:9], 2
	v_lshlrev_b64 v[5:6], 2, v[5:6]
	s_add_u32 s8, s4, s8
	s_delay_alu instid0(VALU_DEP_2) | instskip(SKIP_1) | instid1(VALU_DEP_3)
	v_add_co_u32 v3, vcc_lo, s4, v3
	v_add_co_ci_u32_e32 v4, vcc_lo, s17, v4, vcc_lo
	v_add_co_u32 v5, vcc_lo, s4, v5
	s_delay_alu instid0(VALU_DEP_4)
	v_add_co_ci_u32_e32 v6, vcc_lo, s17, v6, vcc_lo
	s_addc_u32 s9, s17, s9
	s_clause 0x1
	global_load_b32 v7, v[3:4], off
	global_load_b32 v8, v[5:6], off
	s_or_b32 s12, s16, 32
	s_delay_alu instid0(SALU_CYCLE_1) | instskip(SKIP_2) | instid1(SALU_CYCLE_1)
	s_ashr_i32 s13, s12, 5
	s_cmp_lt_i32 s12, s18
	s_cselect_b32 s12, s13, s3
	s_ashr_i32 s13, s12, 31
	s_delay_alu instid0(SALU_CYCLE_1) | instskip(NEXT) | instid1(SALU_CYCLE_1)
	s_lshl_b64 s[12:13], s[12:13], 2
	s_add_u32 s12, s4, s12
	s_addc_u32 s13, s17, s13
	s_or_b32 s20, s16, 64
	s_delay_alu instid0(SALU_CYCLE_1) | instskip(SKIP_2) | instid1(SALU_CYCLE_1)
	s_ashr_i32 s21, s20, 5
	s_cmp_lt_i32 s20, s18
	s_cselect_b32 s20, s21, s3
	s_ashr_i32 s21, s20, 31
	s_delay_alu instid0(SALU_CYCLE_1) | instskip(NEXT) | instid1(SALU_CYCLE_1)
	s_lshl_b64 s[20:21], s[20:21], 2
	s_add_u32 s20, s4, s20
	s_addc_u32 s21, s17, s21
	s_or_b32 s22, s16, 0x60
	s_delay_alu instid0(SALU_CYCLE_1) | instskip(SKIP_2) | instid1(SALU_CYCLE_1)
	s_ashr_i32 s23, s22, 5
	s_cmp_lt_i32 s22, s18
	s_cselect_b32 s22, s23, s3
	s_ashr_i32 s23, s22, 31
	s_delay_alu instid0(SALU_CYCLE_1) | instskip(NEXT) | instid1(SALU_CYCLE_1)
	s_lshl_b64 s[22:23], s[22:23], 2
	s_add_u32 s22, s4, s22
	s_addc_u32 s23, s17, s23
	s_or_b32 s24, s16, 0x80
	s_delay_alu instid0(SALU_CYCLE_1) | instskip(SKIP_2) | instid1(SALU_CYCLE_1)
	s_ashr_i32 s25, s24, 5
	s_cmp_lt_i32 s24, s18
	s_cselect_b32 s24, s25, s3
	s_ashr_i32 s25, s24, 31
	s_delay_alu instid0(SALU_CYCLE_1) | instskip(NEXT) | instid1(SALU_CYCLE_1)
	s_lshl_b64 s[24:25], s[24:25], 2
	s_add_u32 s24, s4, s24
	s_addc_u32 s25, s17, s25
	s_or_b32 s26, s16, 0xa0
	s_delay_alu instid0(SALU_CYCLE_1) | instskip(SKIP_2) | instid1(SALU_CYCLE_1)
	s_ashr_i32 s27, s26, 5
	s_cmp_lt_i32 s26, s18
	s_cselect_b32 s26, s27, s3
	s_ashr_i32 s27, s26, 31
	s_delay_alu instid0(SALU_CYCLE_1) | instskip(NEXT) | instid1(SALU_CYCLE_1)
	s_lshl_b64 s[26:27], s[26:27], 2
	s_add_u32 s26, s4, s26
	s_addc_u32 s27, s17, s27
	s_clause 0x5
	s_load_b32 s29, s[8:9], 0x0
	s_load_b32 s30, s[12:13], 0x0
	;; [unrolled: 1-line block ×6, first 2 shown]
	s_or_b32 s8, s16, 0xc0
	s_mov_b32 s20, 0
	s_ashr_i32 s9, s8, 5
	s_cmp_lt_i32 s8, s18
	s_mov_b32 s27, s20
	s_cselect_b32 s8, s9, s3
	s_mov_b32 s21, s20
	s_ashr_i32 s9, s8, 31
	s_mov_b32 s22, s20
	s_lshl_b64 s[8:9], s[8:9], 2
	s_mov_b32 s23, s20
	s_add_u32 s8, s4, s8
	s_mov_b32 s24, s20
	s_mov_b32 s25, s20
	;; [unrolled: 1-line block ×3, first 2 shown]
	s_addc_u32 s9, s17, s9
	v_mov_b32_e32 v117, s27
	v_dual_mov_b32 v110, s20 :: v_dual_lshlrev_b32 v85, 6, v73
	v_dual_mov_b32 v116, s26 :: v_dual_mov_b32 v115, s25
	v_dual_mov_b32 v114, s24 :: v_dual_mov_b32 v113, s23
	;; [unrolled: 1-line block ×3, first 2 shown]
	s_waitcnt lgkmcnt(0)
	s_mul_hi_i32 s13, s29, s5
	s_mul_i32 s12, s29, s5
	v_lshl_or_b32 v58, v74, 10, v85
	s_mul_hi_i32 s21, s30, s5
	s_mul_i32 s20, s30, s5
	s_mul_hi_i32 s25, s33, s5
	s_mul_i32 s24, s33, s5
	;; [unrolled: 2-line block ×3, first 2 shown]
	s_mul_hi_i32 s37, s38, s5
	s_waitcnt vmcnt(1)
	v_mad_i64_i32 v[3:4], null, v7, s5, 0
	s_waitcnt vmcnt(0)
	v_mad_i64_i32 v[5:6], null, v8, s5, 0
	s_delay_alu instid0(VALU_DEP_2) | instskip(NEXT) | instid1(VALU_DEP_2)
	v_lshlrev_b64 v[3:4], 1, v[3:4]
	v_lshlrev_b64 v[1:2], 1, v[5:6]
	s_delay_alu instid0(VALU_DEP_2) | instskip(NEXT) | instid1(VALU_DEP_3)
	v_add_co_u32 v3, vcc_lo, s15, v3
	v_add_co_ci_u32_e32 v4, vcc_lo, s28, v4, vcc_lo
	s_delay_alu instid0(VALU_DEP_3) | instskip(NEXT) | instid1(VALU_DEP_4)
	v_add_co_u32 v1, vcc_lo, s15, v1
	v_add_co_ci_u32_e32 v2, vcc_lo, s28, v2, vcc_lo
	s_delay_alu instid0(VALU_DEP_4) | instskip(NEXT) | instid1(VALU_DEP_4)
	v_add_co_u32 v41, vcc_lo, v3, v81
	v_add_co_ci_u32_e32 v42, vcc_lo, v4, v82, vcc_lo
	s_delay_alu instid0(VALU_DEP_4) | instskip(NEXT) | instid1(VALU_DEP_4)
	v_add_co_u32 v43, vcc_lo, v1, v81
	v_add_co_ci_u32_e32 v44, vcc_lo, v2, v82, vcc_lo
	s_clause 0xf
	global_load_b128 v[1:4], v[41:42], off
	global_load_b128 v[5:8], v[41:42], off offset:512
	global_load_b128 v[9:12], v[43:44], off offset:256
	;; [unrolled: 1-line block ×15, first 2 shown]
	v_mul_lo_u16 v41, v73, 37
	s_or_b32 s15, s16, 0xe0
	s_delay_alu instid0(SALU_CYCLE_1) | instskip(SKIP_1) | instid1(VALU_DEP_1)
	s_ashr_i32 s22, s15, 5
	s_cmp_lt_i32 s15, s18
	v_lshrrev_b16 v41, 8, v41
	s_cselect_b32 s22, s22, s3
	s_delay_alu instid0(SALU_CYCLE_1) | instskip(NEXT) | instid1(VALU_DEP_1)
	s_ashr_i32 s23, s22, 31
	v_mul_lo_u16 v41, v41, 7
	s_lshl_b64 s[22:23], s[22:23], 2
	s_delay_alu instid0(SALU_CYCLE_1) | instskip(SKIP_1) | instid1(VALU_DEP_1)
	s_add_u32 s22, s4, s22
	s_addc_u32 s23, s17, s23
	v_sub_nc_u16 v41, v73, v41
	s_add_i32 s15, s16, 0x100
	s_delay_alu instid0(SALU_CYCLE_1) | instskip(SKIP_1) | instid1(VALU_DEP_1)
	s_ashr_i32 s28, s15, 5
	s_cmp_lt_i32 s15, s18
	v_and_b32_e32 v41, 0xff, v41
	s_cselect_b32 s28, s28, s3
	s_delay_alu instid0(SALU_CYCLE_1) | instskip(NEXT) | instid1(VALU_DEP_1)
	s_ashr_i32 s29, s28, 31
	v_lshlrev_b32_e32 v57, 6, v41
	ds_load_b128 v[41:44], v57
	ds_load_b128 v[45:48], v57 offset:1024
	ds_load_b128 v[49:52], v57 offset:2048
	;; [unrolled: 1-line block ×7, first 2 shown]
	s_lshl_b64 s[28:29], s[28:29], 2
	s_load_b32 s15, s[8:9], 0x0
	s_add_u32 s28, s4, s28
	s_addc_u32 s29, s17, s29
	s_add_u32 s3, s10, s6
	s_clause 0x1
	s_load_b32 s4, s[22:23], 0x0
	s_load_b32 s17, s[28:29], 0x0
	s_addc_u32 s28, s11, s7
	v_add_co_u32 v76, s3, s3, v58
	s_delay_alu instid0(VALU_DEP_1) | instskip(SKIP_2) | instid1(VALU_DEP_2)
	v_add_co_ci_u32_e64 v77, null, s28, 0, s3
	s_lshl_b64 s[6:7], s[12:13], 1
	s_lshl_b64 s[10:11], s[20:21], 1
	v_add_co_u32 v57, vcc_lo, v76, s6
	s_delay_alu instid0(VALU_DEP_2)
	v_add_co_ci_u32_e32 v58, vcc_lo, s7, v77, vcc_lo
	s_lshl_b64 s[12:13], s[24:25], 1
	s_lshl_b64 s[20:21], s[26:27], 1
	s_mul_hi_i32 s9, s36, s5
	s_mul_i32 s8, s36, s5
	s_mul_i32 s36, s38, s5
	s_lshl_b64 s[8:9], s[8:9], 1
	s_lshl_b64 s[22:23], s[36:37], 1
	s_waitcnt lgkmcnt(0)
	s_mul_hi_i32 s25, s15, s5
	s_mul_i32 s24, s15, s5
	s_clause 0x1
	global_load_b128 v[65:68], v[57:58], off
	global_load_b128 v[69:72], v[57:58], off offset:16
	s_lshl_b64 s[6:7], s[24:25], 1
	s_waitcnt vmcnt(16)
	v_wmma_f32_16x16x16_bf16 v[134:141], v[1:8], v[41:48], v[110:117]
	v_add_co_u32 v1, vcc_lo, v76, s10
	v_add_co_ci_u32_e32 v2, vcc_lo, s11, v77, vcc_lo
	s_waitcnt vmcnt(12)
	s_delay_alu instid0(VALU_DEP_3) | instskip(SKIP_3) | instid1(VALU_DEP_3)
	v_wmma_f32_16x16x16_bf16 v[134:141], v[17:24], v[49:56], v[134:141]
	v_add_co_u32 v3, vcc_lo, v76, s12
	v_add_co_ci_u32_e32 v4, vcc_lo, s13, v77, vcc_lo
	s_waitcnt vmcnt(8)
	v_wmma_f32_16x16x16_bf16 v[134:141], v[33:40], v[118:125], v[134:141]
	v_add_co_u32 v5, vcc_lo, v76, s20
	v_add_co_ci_u32_e32 v6, vcc_lo, s21, v77, vcc_lo
	s_waitcnt vmcnt(4)
	s_delay_alu instid0(VALU_DEP_3) | instskip(SKIP_2) | instid1(VALU_DEP_3)
	v_wmma_f32_16x16x16_bf16 v[134:141], v[94:101], v[126:133], v[134:141]
	v_add_co_u32 v7, vcc_lo, v76, s8
	v_add_co_ci_u32_e32 v8, vcc_lo, s9, v77, vcc_lo
	v_mul_f32_e32 v100, s19, v141
	v_wmma_f32_16x16x16_bf16 v[110:117], v[9:16], v[41:48], v[110:117]
	s_clause 0x1
	global_load_b128 v[57:60], v[1:2], off
	global_load_b128 v[61:64], v[1:2], off offset:16
	s_mul_hi_i32 s9, s4, s5
	s_mul_i32 s8, s4, s5
	v_wmma_f32_16x16x16_bf16 v[110:117], v[25:32], v[49:56], v[110:117]
	s_clause 0x5
	global_load_b128 v[49:52], v[3:4], off
	global_load_b128 v[53:56], v[3:4], off offset:16
	global_load_b128 v[41:44], v[5:6], off
	global_load_b128 v[45:48], v[5:6], off offset:16
	;; [unrolled: 2-line block ×3, first 2 shown]
	v_add_co_u32 v5, vcc_lo, v76, s22
	v_add_co_ci_u32_e32 v6, vcc_lo, s23, v77, vcc_lo
	v_add_co_u32 v17, vcc_lo, v76, s6
	v_add_co_ci_u32_e32 v18, vcc_lo, s7, v77, vcc_lo
	s_lshl_b64 s[6:7], s[8:9], 1
	s_mul_hi_i32 s9, s17, s5
	s_mul_i32 s8, s17, s5
	v_add_co_u32 v19, vcc_lo, v76, s6
	s_lshl_b64 s[4:5], s[8:9], 1
	v_add_co_ci_u32_e32 v20, vcc_lo, s7, v77, vcc_lo
	v_add_co_u32 v21, vcc_lo, v76, s4
	v_add_co_ci_u32_e32 v22, vcc_lo, s5, v77, vcc_lo
	s_clause 0x7
	global_load_b128 v[1:4], v[5:6], off
	global_load_b128 v[5:8], v[5:6], off offset:16
	global_load_b128 v[33:36], v[17:18], off
	global_load_b128 v[37:40], v[17:18], off offset:16
	global_load_b128 v[25:28], v[19:20], off
	global_load_b128 v[29:32], v[19:20], off offset:16
	global_load_b128 v[17:20], v[21:22], off
	global_load_b128 v[21:24], v[21:22], off offset:16
	v_and_b32_e32 v76, 0xe0, v0
	v_mbcnt_lo_u32_b32 v77, -1, 0
	v_wmma_f32_16x16x16_bf16 v[110:117], v[86:93], v[118:125], v[110:117]
	s_waitcnt vmcnt(0)
	s_barrier
	v_add_nc_u32_e32 v76, s16, v76
	v_xor_b32_e32 v78, 16, v77
	v_wmma_f32_16x16x16_bf16 v[110:117], v[102:109], v[126:133], v[110:117]
	v_mul_f32_e32 v97, s19, v134
	v_mul_f32_e32 v99, s19, v135
	v_or_b32_e32 v76, v76, v83
	v_cmp_gt_i32_e32 vcc_lo, 32, v78
	buffer_gl0_inv
	v_or_b32_e32 v79, 4, v76
	v_cndmask_b32_e32 v77, v77, v78, vcc_lo
	v_or_b32_e32 v78, 2, v76
	v_or_b32_e32 v80, 6, v76
	;; [unrolled: 1-line block ×3, first 2 shown]
	v_cmp_gt_i32_e32 vcc_lo, s18, v76
	v_or_b32_e32 v87, 10, v76
	v_cmp_gt_i32_e64 s3, s18, v78
	v_or_b32_e32 v88, 12, v76
	v_or_b32_e32 v89, 14, v76
	;; [unrolled: 1-line block ×10, first 2 shown]
	v_cndmask_b32_e64 v78, 0xff7fffff, v99, s3
	v_mul_f32_e32 v99, s19, v137
	v_cmp_gt_i32_e64 s4, s18, v80
	v_mul_f32_e32 v80, s19, v136
	v_cmp_gt_i32_e64 s5, s18, v79
	v_cmp_gt_i32_e64 s6, s18, v86
	v_mul_f32_e32 v86, s19, v116
	v_cndmask_b32_e32 v76, 0xff7fffff, v97, vcc_lo
	v_mul_f32_e32 v79, s19, v139
	v_cndmask_b32_e64 v80, 0xff7fffff, v80, s5
	v_cndmask_b32_e64 v99, 0xff7fffff, v99, s4
	v_cmp_gt_i32_e64 s7, s18, v87
	v_max3_f32 v76, v76, 0xff7fffff, v78
	v_dual_mul_f32 v78, s19, v138 :: v_dual_mul_f32 v97, s19, v140
	v_cmp_gt_i32_e64 s8, s18, v89
	s_delay_alu instid0(VALU_DEP_4) | instskip(NEXT) | instid1(VALU_DEP_4)
	v_cndmask_b32_e64 v79, 0xff7fffff, v79, s7
	v_max3_f32 v76, v76, v80, v99
	s_delay_alu instid0(VALU_DEP_4) | instskip(SKIP_3) | instid1(VALU_DEP_4)
	v_cndmask_b32_e64 v78, 0xff7fffff, v78, s6
	v_cmp_gt_i32_e64 s9, s18, v88
	v_dual_mul_f32 v88, s19, v111 :: v_dual_mul_f32 v89, s19, v110
	v_cndmask_b32_e64 v100, 0xff7fffff, v100, s8
	v_max3_f32 v76, v76, v78, v79
	s_delay_alu instid0(VALU_DEP_4) | instskip(SKIP_3) | instid1(VALU_DEP_4)
	v_cndmask_b32_e64 v97, 0xff7fffff, v97, s9
	v_cmp_gt_i32_e64 s10, s18, v90
	v_cmp_gt_i32_e64 s11, s18, v91
	v_dual_mul_f32 v78, s19, v113 :: v_dual_mul_f32 v79, s19, v112
	v_max3_f32 v76, v76, v97, v100
	s_delay_alu instid0(VALU_DEP_4) | instskip(NEXT) | instid1(VALU_DEP_4)
	v_cndmask_b32_e64 v89, 0xff7fffff, v89, s10
	v_cndmask_b32_e64 v88, 0xff7fffff, v88, s11
	v_cmp_gt_i32_e64 s12, s18, v92
	v_cmp_gt_i32_e64 s13, s18, v93
	v_mul_f32_e32 v87, s19, v115
	v_mul_f32_e32 v99, s19, v114
	v_max3_f32 v76, v76, v89, v88
	v_cndmask_b32_e64 v79, 0xff7fffff, v79, s12
	v_cndmask_b32_e64 v78, 0xff7fffff, v78, s13
	v_cmp_gt_i32_e64 s15, s18, v94
	v_cmp_gt_i32_e64 s16, s18, v95
	v_mul_f32_e32 v80, s19, v117
	v_cmp_gt_i32_e64 s17, s18, v96
	v_max3_f32 v76, v76, v79, v78
	v_cndmask_b32_e64 v88, 0xff7fffff, v99, s15
	v_cndmask_b32_e64 v87, 0xff7fffff, v87, s16
	v_cmp_gt_i32_e64 s18, s18, v98
	v_cndmask_b32_e64 v78, 0xff7fffff, v86, s17
	v_lshlrev_b32_e32 v99, 2, v77
	s_delay_alu instid0(VALU_DEP_4) | instskip(NEXT) | instid1(VALU_DEP_4)
	v_max3_f32 v76, v76, v88, v87
	v_cndmask_b32_e64 v79, 0xff7fffff, v80, s18
	s_delay_alu instid0(VALU_DEP_1) | instskip(SKIP_3) | instid1(VALU_DEP_1)
	v_max3_f32 v76, v76, v78, v79
	ds_bpermute_b32 v77, v99, v76
	s_waitcnt lgkmcnt(0)
	v_max_f32_e32 v77, v77, v77
	v_max_f32_e32 v76, v76, v77
	s_delay_alu instid0(VALU_DEP_1)
	v_fma_f32 v86, s19, v138, -v76
	v_fma_f32 v77, s19, v134, -v76
	v_fma_f32 v78, s19, v135, -v76
	v_fma_f32 v79, s19, v136, -v76
	v_fma_f32 v80, s19, v137, -v76
	v_mul_f32_e32 v86, 0x3fb8aa3b, v86
	v_fma_f32 v88, s19, v114, -v76
	s_delay_alu instid0(VALU_DEP_4) | instskip(NEXT) | instid1(VALU_DEP_4)
	v_dual_mul_f32 v78, 0x3fb8aa3b, v78 :: v_dual_mul_f32 v79, 0x3fb8aa3b, v79
	v_mul_f32_e32 v80, 0x3fb8aa3b, v80
	s_delay_alu instid0(VALU_DEP_4) | instskip(SKIP_1) | instid1(VALU_DEP_3)
	v_exp_f32_e32 v86, v86
	v_fma_f32 v87, s19, v140, -v76
	v_exp_f32_e32 v78, v78
	v_exp_f32_e32 v79, v79
	;; [unrolled: 1-line block ×3, first 2 shown]
	s_delay_alu instid0(VALU_DEP_1)
	v_dual_mul_f32 v88, 0x3fb8aa3b, v88 :: v_dual_mul_f32 v87, 0x3fb8aa3b, v87
	v_fma_f32 v100, s19, v117, -v76
	v_fma_f32 v90, s19, v116, -v76
	v_cndmask_b32_e64 v96, 0, v86, s6
	v_fma_f32 v86, s19, v111, -v76
	v_mul_f32_e32 v77, 0x3fb8aa3b, v77
	s_delay_alu instid0(TRANS32_DEP_3) | instskip(NEXT) | instid1(TRANS32_DEP_2)
	v_cndmask_b32_e64 v91, 0, v78, s3
	v_cndmask_b32_e64 v93, 0, v79, s5
	s_delay_alu instid0(TRANS32_DEP_1)
	v_cndmask_b32_e64 v95, 0, v80, s4
	v_mul_f32_e32 v86, 0x3fb8aa3b, v86
	v_exp_f32_e32 v77, v77
	v_fma_f32 v79, s19, v141, -v76
	v_fma_f32 v80, s19, v110, -v76
	v_exp_f32_e32 v87, v87
	v_exp_f32_e32 v86, v86
	s_delay_alu instid0(VALU_DEP_2) | instskip(NEXT) | instid1(VALU_DEP_2)
	v_dual_mul_f32 v100, 0x3fb8aa3b, v100 :: v_dual_mul_f32 v79, 0x3fb8aa3b, v79
	v_mul_f32_e32 v80, 0x3fb8aa3b, v80
	v_exp_f32_e32 v88, v88
	v_cmp_gt_u32_e64 s3, 16, v75
	v_cndmask_b32_e32 v92, 0, v77, vcc_lo
	v_fma_f32 v77, s19, v139, -v76
	v_exp_f32_e32 v79, v79
	v_exp_f32_e32 v80, v80
	v_cndmask_b32_e64 v94, 0, v87, s9
	s_delay_alu instid0(VALU_DEP_2) | instskip(SKIP_2) | instid1(VALU_DEP_2)
	v_dual_add_f32 v78, 0, v92 :: v_dual_mul_f32 v77, 0x3fb8aa3b, v77
	v_fma_f32 v87, s19, v113, -v76
	v_exp_f32_e32 v100, v100
	v_add_f32_e32 v78, v78, v91
	s_delay_alu instid0(VALU_DEP_3) | instskip(SKIP_1) | instid1(VALU_DEP_2)
	v_exp_f32_e32 v77, v77
	v_cndmask_b32_e64 v98, 0, v79, s8
	v_dual_mul_f32 v87, 0x3fb8aa3b, v87 :: v_dual_add_f32 v78, v78, v93
	s_delay_alu instid0(VALU_DEP_1) | instskip(NEXT) | instid1(VALU_DEP_1)
	v_exp_f32_e32 v87, v87
	v_add_f32_e32 v78, v78, v95
	s_waitcnt_depctr 0xfff
	v_cndmask_b32_e64 v97, 0, v77, s7
	v_add_f32_e32 v77, v78, v96
	v_fma_f32 v78, s19, v112, -v76
	s_delay_alu instid0(VALU_DEP_1) | instskip(NEXT) | instid1(VALU_DEP_1)
	v_mul_f32_e32 v78, 0x3fb8aa3b, v78
	v_exp_f32_e32 v89, v78
	v_cndmask_b32_e64 v78, 0, v86, s11
	v_add_f32_e32 v77, v77, v97
	s_delay_alu instid0(VALU_DEP_1) | instskip(SKIP_2) | instid1(VALU_DEP_1)
	v_add_f32_e32 v79, v77, v94
	v_cndmask_b32_e64 v77, 0, v80, s10
	v_fma_f32 v80, s19, v115, -v76
	v_dual_add_f32 v79, v79, v98 :: v_dual_mul_f32 v80, 0x3fb8aa3b, v80
	s_delay_alu instid0(VALU_DEP_1) | instskip(NEXT) | instid1(TRANS32_DEP_1)
	v_add_f32_e32 v86, v79, v77
	v_cndmask_b32_e64 v79, 0, v89, s12
	v_mul_f32_e32 v89, 0x3fb8aa3b, v90
	s_delay_alu instid0(VALU_DEP_4) | instskip(SKIP_2) | instid1(VALU_DEP_3)
	v_exp_f32_e32 v90, v80
	v_cndmask_b32_e64 v80, 0, v87, s13
	v_add_f32_e32 v86, v86, v78
	v_exp_f32_e32 v89, v89
	s_delay_alu instid0(VALU_DEP_1) | instskip(SKIP_1) | instid1(VALU_DEP_2)
	v_add_f32_e32 v87, v86, v79
	v_cndmask_b32_e64 v86, 0, v88, s15
	v_add_f32_e32 v88, v87, v80
	s_delay_alu instid0(TRANS32_DEP_2) | instskip(NEXT) | instid1(VALU_DEP_2)
	v_cndmask_b32_e64 v87, 0, v90, s16
	v_add_f32_e32 v90, v88, v86
	s_waitcnt_depctr 0xfff
	v_cndmask_b32_e64 v88, 0, v89, s17
	v_add_f32_e32 v89, v90, v87
	s_delay_alu instid0(VALU_DEP_1) | instskip(SKIP_1) | instid1(VALU_DEP_1)
	v_add_f32_e32 v90, v89, v88
	v_cndmask_b32_e64 v89, 0, v100, s18
	v_add_f32_e32 v90, v90, v89
	ds_bpermute_b32 v99, v99, v90
	s_and_saveexec_b32 s4, s3
	s_cbranch_execz .LBB564_14
; %bb.13:
	v_mul_u32_u24_e32 v75, 0x44, v74
	s_waitcnt lgkmcnt(0)
	v_add_f32_e32 v90, v90, v99
	s_delay_alu instid0(VALU_DEP_2) | instskip(NEXT) | instid1(VALU_DEP_1)
	v_lshl_add_u32 v75, v73, 2, v75
	v_add_nc_u32_e32 v75, 0x4000, v75
	ds_store_2addr_b32 v75, v76, v90 offset1:136
.LBB564_14:
	s_or_b32 exec_lo, exec_lo, s4
	v_lshlrev_b32_e32 v75, 2, v73
	s_waitcnt lgkmcnt(0)
	s_barrier
	buffer_gl0_inv
	v_cmp_eq_u32_e64 s4, 1, v74
	v_add_nc_u32_e32 v90, 0x4000, v75
	ds_load_2addr_b32 v[99:100], v90 offset1:17
	ds_load_2addr_b32 v[101:102], v90 offset0:34 offset1:51
	ds_load_2addr_b32 v[103:104], v90 offset0:68 offset1:85
	;; [unrolled: 1-line block ×4, first 2 shown]
	s_waitcnt lgkmcnt(4)
	v_max3_f32 v75, v99, 0xff7fffff, v100
	s_waitcnt lgkmcnt(3)
	s_delay_alu instid0(VALU_DEP_1) | instskip(SKIP_1) | instid1(VALU_DEP_1)
	v_max3_f32 v75, v75, v101, v102
	s_waitcnt lgkmcnt(2)
	v_max3_f32 v75, v75, v103, v104
	s_waitcnt lgkmcnt(1)
	s_delay_alu instid0(VALU_DEP_1) | instskip(NEXT) | instid1(VALU_DEP_1)
	v_max3_f32 v75, v75, v105, v106
	v_sub_f32_e32 v109, v100, v75
	v_sub_f32_e32 v76, v99, v75
	ds_load_2addr_b32 v[99:100], v90 offset0:170 offset1:187
	v_sub_f32_e32 v101, v101, v75
	v_dual_mul_f32 v109, 0x3fb8aa3b, v109 :: v_dual_mul_f32 v76, 0x3fb8aa3b, v76
	s_delay_alu instid0(VALU_DEP_2) | instskip(NEXT) | instid1(VALU_DEP_2)
	v_mul_f32_e32 v111, 0x3fb8aa3b, v101
	v_exp_f32_e32 v109, v109
	s_delay_alu instid0(VALU_DEP_2)
	v_exp_f32_e32 v110, v76
	v_sub_f32_e32 v76, v102, v75
	ds_load_2addr_b32 v[101:102], v90 offset0:204 offset1:221
	v_exp_f32_e32 v111, v111
	v_mul_f32_e32 v112, 0x3fb8aa3b, v76
	s_waitcnt lgkmcnt(2)
	v_fma_f32 v76, v110, v107, 0
	v_sub_f32_e32 v103, v103, v75
	s_delay_alu instid0(VALU_DEP_3) | instskip(NEXT) | instid1(VALU_DEP_2)
	v_exp_f32_e32 v112, v112
	v_dual_sub_f32 v107, v104, v75 :: v_dual_fmac_f32 v76, v109, v108
	s_waitcnt lgkmcnt(1)
	s_waitcnt_depctr 0xfff
	v_fmac_f32_e32 v76, v111, v99
	v_mul_f32_e32 v113, 0x3fb8aa3b, v103
	ds_load_2addr_b32 v[103:104], v90 offset0:238 offset1:255
	v_sub_f32_e32 v90, v105, v75
	v_dual_sub_f32 v99, v106, v75 :: v_dual_fmac_f32 v76, v112, v100
	v_mul_f32_e32 v105, 0x3fb8aa3b, v107
	v_exp_f32_e32 v107, v113
	s_delay_alu instid0(VALU_DEP_2)
	v_dual_mul_f32 v90, 0x3fb8aa3b, v90 :: v_dual_mul_f32 v99, 0x3fb8aa3b, v99
	s_waitcnt lgkmcnt(0)
	s_barrier
	buffer_gl0_inv
	v_exp_f32_e32 v90, v90
	v_exp_f32_e32 v99, v99
	v_fmac_f32_e32 v76, v107, v101
	v_exp_f32_e32 v105, v105
	s_waitcnt_depctr 0xfff
	v_fmac_f32_e32 v76, v105, v102
	s_delay_alu instid0(VALU_DEP_1) | instskip(NEXT) | instid1(VALU_DEP_1)
	v_fmac_f32_e32 v76, v90, v103
	v_fmac_f32_e32 v76, v99, v104
	s_delay_alu instid0(VALU_DEP_1) | instskip(NEXT) | instid1(VALU_DEP_1)
	v_add_f32_e32 v100, 0x358637bd, v76
	v_div_scale_f32 v101, null, v100, v100, 1.0
	v_div_scale_f32 v104, vcc_lo, 1.0, v100, 1.0
	s_delay_alu instid0(VALU_DEP_2) | instskip(SKIP_2) | instid1(VALU_DEP_1)
	v_rcp_f32_e32 v102, v101
	s_waitcnt_depctr 0xfff
	v_fma_f32 v103, -v101, v102, 1.0
	v_fmac_f32_e32 v102, v103, v102
	v_cndmask_b32_e64 v103, v110, v109, s4
	v_cmp_eq_u32_e64 s4, 2, v74
	s_delay_alu instid0(VALU_DEP_3) | instskip(NEXT) | instid1(VALU_DEP_2)
	v_mul_f32_e32 v106, v104, v102
	v_cndmask_b32_e64 v103, v103, v111, s4
	v_cmp_eq_u32_e64 s4, 3, v74
	s_delay_alu instid0(VALU_DEP_3) | instskip(NEXT) | instid1(VALU_DEP_2)
	v_fma_f32 v108, -v101, v106, v104
	v_cndmask_b32_e64 v103, v103, v112, s4
	v_cmp_eq_u32_e64 s4, 4, v74
	s_delay_alu instid0(VALU_DEP_3) | instskip(NEXT) | instid1(VALU_DEP_2)
	v_fmac_f32_e32 v106, v108, v102
	v_cndmask_b32_e64 v103, v103, v107, s4
	s_delay_alu instid0(VALU_DEP_2) | instskip(SKIP_1) | instid1(VALU_DEP_2)
	v_fma_f32 v101, -v101, v106, v104
	v_cmp_eq_u32_e64 s4, 5, v74
	v_div_fmas_f32 v101, v101, v102, v106
	s_delay_alu instid0(VALU_DEP_2) | instskip(SKIP_2) | instid1(VALU_DEP_3)
	v_cndmask_b32_e64 v103, v103, v105, s4
	v_cmp_eq_u32_e32 vcc_lo, 6, v74
	s_mov_b32 s4, exec_lo
	v_div_fixup_f32 v100, v101, v100, 1.0
	s_delay_alu instid0(VALU_DEP_3) | instskip(SKIP_1) | instid1(VALU_DEP_2)
	v_cndmask_b32_e32 v90, v103, v90, vcc_lo
	v_cmp_eq_u32_e32 vcc_lo, 7, v74
	v_cndmask_b32_e32 v90, v90, v99, vcc_lo
	s_delay_alu instid0(VALU_DEP_1) | instskip(NEXT) | instid1(VALU_DEP_1)
	v_mul_f32_e32 v90, v90, v100
	v_mul_f32_e32 v100, v90, v92
	;; [unrolled: 1-line block ×6, first 2 shown]
	v_and_b32_e32 v101, 0x7f800000, v100
	v_mul_f32_e32 v99, v90, v95
	v_mul_f32_e32 v95, v90, v91
	;; [unrolled: 1-line block ×3, first 2 shown]
                                        ; implicit-def: $vgpr91
	s_delay_alu instid0(VALU_DEP_4)
	v_cmpx_ne_u32_e32 0x7f800000, v101
	s_xor_b32 s4, exec_lo, s4
; %bb.15:
	v_bfe_u32 v91, v100, 16, 1
	s_delay_alu instid0(VALU_DEP_1)
	v_add3_u32 v91, v100, v91, 0x7fff
                                        ; implicit-def: $vgpr100
; %bb.16:
	s_and_not1_saveexec_b32 s4, s4
; %bb.17:
	v_and_b32_e32 v91, 0xffff, v100
	v_or_b32_e32 v93, 0x10000, v100
	s_delay_alu instid0(VALU_DEP_2) | instskip(NEXT) | instid1(VALU_DEP_2)
	v_cmp_eq_u32_e32 vcc_lo, 0, v91
	v_cndmask_b32_e32 v91, v93, v100, vcc_lo
; %bb.18:
	s_or_b32 exec_lo, exec_lo, s4
	v_and_b32_e32 v93, 0x7f800000, v95
	s_delay_alu instid0(VALU_DEP_1) | instskip(SKIP_1) | instid1(SALU_CYCLE_1)
	v_cmp_ne_u32_e32 vcc_lo, 0x7f800000, v93
                                        ; implicit-def: $vgpr93
	s_and_saveexec_b32 s4, vcc_lo
	s_xor_b32 s4, exec_lo, s4
; %bb.19:
	v_bfe_u32 v93, v95, 16, 1
	s_delay_alu instid0(VALU_DEP_1)
	v_add3_u32 v93, v95, v93, 0x7fff
                                        ; implicit-def: $vgpr95
; %bb.20:
	s_and_not1_saveexec_b32 s4, s4
; %bb.21:
	v_and_b32_e32 v93, 0xffff, v95
	v_or_b32_e32 v100, 0x10000, v95
	s_delay_alu instid0(VALU_DEP_2) | instskip(NEXT) | instid1(VALU_DEP_2)
	v_cmp_eq_u32_e32 vcc_lo, 0, v93
	v_cndmask_b32_e32 v93, v100, v95, vcc_lo
; %bb.22:
	s_or_b32 exec_lo, exec_lo, s4
	v_and_b32_e32 v95, 0x7f800000, v96
	s_delay_alu instid0(VALU_DEP_1) | instskip(SKIP_1) | instid1(SALU_CYCLE_1)
	v_cmp_ne_u32_e32 vcc_lo, 0x7f800000, v95
                                        ; implicit-def: $vgpr95
	s_and_saveexec_b32 s4, vcc_lo
	s_xor_b32 s4, exec_lo, s4
; %bb.23:
	v_bfe_u32 v95, v96, 16, 1
	s_delay_alu instid0(VALU_DEP_1)
	v_add3_u32 v95, v96, v95, 0x7fff
                                        ; implicit-def: $vgpr96
; %bb.24:
	s_and_not1_saveexec_b32 s4, s4
; %bb.25:
	v_and_b32_e32 v95, 0xffff, v96
	v_or_b32_e32 v100, 0x10000, v96
	s_delay_alu instid0(VALU_DEP_2) | instskip(NEXT) | instid1(VALU_DEP_2)
	v_cmp_eq_u32_e32 vcc_lo, 0, v95
	v_cndmask_b32_e32 v95, v100, v96, vcc_lo
; %bb.26:
	s_or_b32 exec_lo, exec_lo, s4
	v_and_b32_e32 v96, 0x7f800000, v99
	s_delay_alu instid0(VALU_DEP_1) | instskip(SKIP_1) | instid1(SALU_CYCLE_1)
	v_cmp_ne_u32_e32 vcc_lo, 0x7f800000, v96
                                        ; implicit-def: $vgpr96
	s_and_saveexec_b32 s4, vcc_lo
	s_xor_b32 s4, exec_lo, s4
; %bb.27:
	v_bfe_u32 v96, v99, 16, 1
	s_delay_alu instid0(VALU_DEP_1)
	v_add3_u32 v96, v99, v96, 0x7fff
                                        ; implicit-def: $vgpr99
; %bb.28:
	s_and_not1_saveexec_b32 s4, s4
; %bb.29:
	v_and_b32_e32 v96, 0xffff, v99
	v_or_b32_e32 v100, 0x10000, v99
	s_delay_alu instid0(VALU_DEP_2) | instskip(NEXT) | instid1(VALU_DEP_2)
	v_cmp_eq_u32_e32 vcc_lo, 0, v96
	v_cndmask_b32_e32 v96, v100, v99, vcc_lo
; %bb.30:
	s_or_b32 exec_lo, exec_lo, s4
	v_and_b32_e32 v99, 0x7f800000, v98
	s_delay_alu instid0(VALU_DEP_1) | instskip(SKIP_1) | instid1(SALU_CYCLE_1)
	v_cmp_ne_u32_e32 vcc_lo, 0x7f800000, v99
                                        ; implicit-def: $vgpr99
	s_and_saveexec_b32 s4, vcc_lo
	s_xor_b32 s4, exec_lo, s4
; %bb.31:
	v_bfe_u32 v99, v98, 16, 1
	s_delay_alu instid0(VALU_DEP_1)
	v_add3_u32 v99, v98, v99, 0x7fff
                                        ; implicit-def: $vgpr98
; %bb.32:
	s_and_not1_saveexec_b32 s4, s4
; %bb.33:
	v_and_b32_e32 v99, 0xffff, v98
	v_or_b32_e32 v100, 0x10000, v98
	s_delay_alu instid0(VALU_DEP_2) | instskip(NEXT) | instid1(VALU_DEP_2)
	v_cmp_eq_u32_e32 vcc_lo, 0, v99
	v_cndmask_b32_e32 v99, v100, v98, vcc_lo
; %bb.34:
	s_or_b32 exec_lo, exec_lo, s4
	v_and_b32_e32 v98, 0x7f800000, v97
	s_delay_alu instid0(VALU_DEP_1) | instskip(SKIP_1) | instid1(SALU_CYCLE_1)
	v_cmp_ne_u32_e32 vcc_lo, 0x7f800000, v98
                                        ; implicit-def: $vgpr98
	s_and_saveexec_b32 s4, vcc_lo
	s_xor_b32 s4, exec_lo, s4
; %bb.35:
	v_bfe_u32 v98, v97, 16, 1
	s_delay_alu instid0(VALU_DEP_1)
	v_add3_u32 v98, v97, v98, 0x7fff
                                        ; implicit-def: $vgpr97
; %bb.36:
	s_and_not1_saveexec_b32 s4, s4
; %bb.37:
	v_and_b32_e32 v98, 0xffff, v97
	v_or_b32_e32 v100, 0x10000, v97
	s_delay_alu instid0(VALU_DEP_2) | instskip(NEXT) | instid1(VALU_DEP_2)
	v_cmp_eq_u32_e32 vcc_lo, 0, v98
	v_cndmask_b32_e32 v98, v100, v97, vcc_lo
; %bb.38:
	s_or_b32 exec_lo, exec_lo, s4
	v_and_b32_e32 v97, 0x7f800000, v94
	s_delay_alu instid0(VALU_DEP_1) | instskip(SKIP_1) | instid1(SALU_CYCLE_1)
	v_cmp_ne_u32_e32 vcc_lo, 0x7f800000, v97
                                        ; implicit-def: $vgpr97
	s_and_saveexec_b32 s4, vcc_lo
	s_xor_b32 s4, exec_lo, s4
; %bb.39:
	v_bfe_u32 v97, v94, 16, 1
	s_delay_alu instid0(VALU_DEP_1)
	v_add3_u32 v97, v94, v97, 0x7fff
                                        ; implicit-def: $vgpr94
; %bb.40:
	s_and_not1_saveexec_b32 s4, s4
; %bb.41:
	v_and_b32_e32 v97, 0xffff, v94
	v_or_b32_e32 v100, 0x10000, v94
	s_delay_alu instid0(VALU_DEP_2) | instskip(NEXT) | instid1(VALU_DEP_2)
	v_cmp_eq_u32_e32 vcc_lo, 0, v97
	v_cndmask_b32_e32 v97, v100, v94, vcc_lo
; %bb.42:
	s_or_b32 exec_lo, exec_lo, s4
	v_and_b32_e32 v94, 0x7f800000, v92
	s_delay_alu instid0(VALU_DEP_1) | instskip(SKIP_1) | instid1(SALU_CYCLE_1)
	v_cmp_ne_u32_e32 vcc_lo, 0x7f800000, v94
                                        ; implicit-def: $vgpr94
	s_and_saveexec_b32 s4, vcc_lo
	s_xor_b32 s4, exec_lo, s4
; %bb.43:
	v_bfe_u32 v94, v92, 16, 1
	s_delay_alu instid0(VALU_DEP_1)
	v_add3_u32 v94, v92, v94, 0x7fff
                                        ; implicit-def: $vgpr92
; %bb.44:
	s_and_not1_saveexec_b32 s4, s4
; %bb.45:
	v_and_b32_e32 v94, 0xffff, v92
	v_or_b32_e32 v100, 0x10000, v92
	s_delay_alu instid0(VALU_DEP_2) | instskip(NEXT) | instid1(VALU_DEP_2)
	v_cmp_eq_u32_e32 vcc_lo, 0, v94
	v_cndmask_b32_e32 v94, v100, v92, vcc_lo
; %bb.46:
	s_or_b32 exec_lo, exec_lo, s4
	s_load_b64 s[36:37], s[0:1], 0x94
	v_lshlrev_b32_e32 v92, 4, v83
	s_delay_alu instid0(VALU_DEP_2)
	v_perm_b32 v100, v94, v97, 0x7060302
	v_dual_mul_f32 v89, v90, v89 :: v_dual_lshlrev_b32 v94, 11, v74
	v_perm_b32 v97, v93, v91, 0x7060302
	v_mul_f32_e32 v93, v90, v77
	v_perm_b32 v99, v98, v99, 0x7060302
	v_perm_b32 v98, v96, v95, 0x7060302
	v_or3_b32 v77, v92, v94, v85
	v_mul_f32_e32 v88, v90, v88
	v_dual_mul_f32 v87, v90, v87 :: v_dual_and_b32 v94, 0x7f800000, v93
	v_mul_f32_e32 v86, v90, v86
	v_mul_f32_e32 v91, v90, v80
	;; [unrolled: 1-line block ×4, first 2 shown]
	s_mov_b32 s4, exec_lo
	ds_store_b128 v77, v[97:100]
                                        ; implicit-def: $vgpr78
	v_cmpx_ne_u32_e32 0x7f800000, v94
	s_xor_b32 s4, exec_lo, s4
; %bb.47:
	v_bfe_u32 v78, v93, 16, 1
	s_delay_alu instid0(VALU_DEP_1)
	v_add3_u32 v78, v93, v78, 0x7fff
                                        ; implicit-def: $vgpr93
; %bb.48:
	s_and_not1_saveexec_b32 s4, s4
; %bb.49:
	v_and_b32_e32 v78, 0xffff, v93
	v_or_b32_e32 v79, 0x10000, v93
	s_delay_alu instid0(VALU_DEP_2) | instskip(NEXT) | instid1(VALU_DEP_2)
	v_cmp_eq_u32_e32 vcc_lo, 0, v78
	v_cndmask_b32_e32 v78, v79, v93, vcc_lo
; %bb.50:
	s_or_b32 exec_lo, exec_lo, s4
	v_and_b32_e32 v79, 0x7f800000, v80
	s_delay_alu instid0(VALU_DEP_1) | instskip(SKIP_1) | instid1(SALU_CYCLE_1)
	v_cmp_ne_u32_e32 vcc_lo, 0x7f800000, v79
                                        ; implicit-def: $vgpr79
	s_and_saveexec_b32 s4, vcc_lo
	s_xor_b32 s4, exec_lo, s4
; %bb.51:
	v_bfe_u32 v79, v80, 16, 1
	s_delay_alu instid0(VALU_DEP_1)
	v_add3_u32 v79, v80, v79, 0x7fff
                                        ; implicit-def: $vgpr80
; %bb.52:
	s_and_not1_saveexec_b32 s4, s4
; %bb.53:
	v_and_b32_e32 v79, 0xffff, v80
	v_or_b32_e32 v90, 0x10000, v80
	s_delay_alu instid0(VALU_DEP_2) | instskip(NEXT) | instid1(VALU_DEP_2)
	v_cmp_eq_u32_e32 vcc_lo, 0, v79
	v_cndmask_b32_e32 v79, v90, v80, vcc_lo
; %bb.54:
	s_or_b32 exec_lo, exec_lo, s4
	v_and_b32_e32 v80, 0x7f800000, v92
	s_delay_alu instid0(VALU_DEP_1) | instskip(SKIP_1) | instid1(SALU_CYCLE_1)
	v_cmp_ne_u32_e32 vcc_lo, 0x7f800000, v80
                                        ; implicit-def: $vgpr80
	s_and_saveexec_b32 s4, vcc_lo
	s_xor_b32 s4, exec_lo, s4
; %bb.55:
	v_bfe_u32 v80, v92, 16, 1
	s_delay_alu instid0(VALU_DEP_1)
	v_add3_u32 v80, v92, v80, 0x7fff
                                        ; implicit-def: $vgpr92
; %bb.56:
	s_and_not1_saveexec_b32 s4, s4
; %bb.57:
	v_and_b32_e32 v80, 0xffff, v92
	v_or_b32_e32 v90, 0x10000, v92
	s_delay_alu instid0(VALU_DEP_2) | instskip(NEXT) | instid1(VALU_DEP_2)
	v_cmp_eq_u32_e32 vcc_lo, 0, v80
	v_cndmask_b32_e32 v80, v90, v92, vcc_lo
; %bb.58:
	s_or_b32 exec_lo, exec_lo, s4
	v_and_b32_e32 v90, 0x7f800000, v91
	s_delay_alu instid0(VALU_DEP_1) | instskip(SKIP_1) | instid1(SALU_CYCLE_1)
	v_cmp_ne_u32_e32 vcc_lo, 0x7f800000, v90
                                        ; implicit-def: $vgpr90
	s_and_saveexec_b32 s4, vcc_lo
	s_xor_b32 s4, exec_lo, s4
; %bb.59:
	v_bfe_u32 v90, v91, 16, 1
	s_delay_alu instid0(VALU_DEP_1)
	v_add3_u32 v90, v91, v90, 0x7fff
                                        ; implicit-def: $vgpr91
; %bb.60:
	s_and_not1_saveexec_b32 s4, s4
; %bb.61:
	v_and_b32_e32 v90, 0xffff, v91
	v_or_b32_e32 v92, 0x10000, v91
	s_delay_alu instid0(VALU_DEP_2) | instskip(NEXT) | instid1(VALU_DEP_2)
	v_cmp_eq_u32_e32 vcc_lo, 0, v90
	v_cndmask_b32_e32 v90, v92, v91, vcc_lo
; %bb.62:
	s_or_b32 exec_lo, exec_lo, s4
	v_and_b32_e32 v91, 0x7f800000, v86
	s_delay_alu instid0(VALU_DEP_1) | instskip(SKIP_1) | instid1(SALU_CYCLE_1)
	v_cmp_ne_u32_e32 vcc_lo, 0x7f800000, v91
                                        ; implicit-def: $vgpr91
	s_and_saveexec_b32 s4, vcc_lo
	s_xor_b32 s4, exec_lo, s4
; %bb.63:
	v_bfe_u32 v91, v86, 16, 1
	s_delay_alu instid0(VALU_DEP_1)
	v_add3_u32 v91, v86, v91, 0x7fff
                                        ; implicit-def: $vgpr86
; %bb.64:
	s_and_not1_saveexec_b32 s4, s4
; %bb.65:
	v_and_b32_e32 v91, 0xffff, v86
	v_or_b32_e32 v92, 0x10000, v86
	s_delay_alu instid0(VALU_DEP_2) | instskip(NEXT) | instid1(VALU_DEP_2)
	v_cmp_eq_u32_e32 vcc_lo, 0, v91
	v_cndmask_b32_e32 v91, v92, v86, vcc_lo
; %bb.66:
	s_or_b32 exec_lo, exec_lo, s4
	v_and_b32_e32 v86, 0x7f800000, v87
	s_delay_alu instid0(VALU_DEP_1) | instskip(SKIP_1) | instid1(SALU_CYCLE_1)
	v_cmp_ne_u32_e32 vcc_lo, 0x7f800000, v86
                                        ; implicit-def: $vgpr86
	s_and_saveexec_b32 s4, vcc_lo
	s_xor_b32 s4, exec_lo, s4
; %bb.67:
	v_bfe_u32 v86, v87, 16, 1
	s_delay_alu instid0(VALU_DEP_1)
	v_add3_u32 v86, v87, v86, 0x7fff
                                        ; implicit-def: $vgpr87
; %bb.68:
	s_and_not1_saveexec_b32 s4, s4
; %bb.69:
	v_and_b32_e32 v86, 0xffff, v87
	v_or_b32_e32 v92, 0x10000, v87
	s_delay_alu instid0(VALU_DEP_2) | instskip(NEXT) | instid1(VALU_DEP_2)
	v_cmp_eq_u32_e32 vcc_lo, 0, v86
	v_cndmask_b32_e32 v86, v92, v87, vcc_lo
; %bb.70:
	s_or_b32 exec_lo, exec_lo, s4
	v_and_b32_e32 v87, 0x7f800000, v88
	s_delay_alu instid0(VALU_DEP_1) | instskip(SKIP_1) | instid1(SALU_CYCLE_1)
	v_cmp_ne_u32_e32 vcc_lo, 0x7f800000, v87
                                        ; implicit-def: $vgpr87
	s_and_saveexec_b32 s4, vcc_lo
	s_xor_b32 s4, exec_lo, s4
; %bb.71:
	v_bfe_u32 v87, v88, 16, 1
	s_delay_alu instid0(VALU_DEP_1)
	v_add3_u32 v87, v88, v87, 0x7fff
                                        ; implicit-def: $vgpr88
; %bb.72:
	s_and_not1_saveexec_b32 s4, s4
; %bb.73:
	v_and_b32_e32 v87, 0xffff, v88
	v_or_b32_e32 v92, 0x10000, v88
	s_delay_alu instid0(VALU_DEP_2) | instskip(NEXT) | instid1(VALU_DEP_2)
	v_cmp_eq_u32_e32 vcc_lo, 0, v87
	v_cndmask_b32_e32 v87, v92, v88, vcc_lo
; %bb.74:
	s_or_b32 exec_lo, exec_lo, s4
	v_and_b32_e32 v88, 0x7f800000, v89
	s_delay_alu instid0(VALU_DEP_1) | instskip(SKIP_1) | instid1(SALU_CYCLE_1)
	v_cmp_ne_u32_e32 vcc_lo, 0x7f800000, v88
                                        ; implicit-def: $vgpr88
	s_and_saveexec_b32 s4, vcc_lo
	s_xor_b32 s4, exec_lo, s4
; %bb.75:
	v_bfe_u32 v88, v89, 16, 1
	s_delay_alu instid0(VALU_DEP_1)
	v_add3_u32 v88, v89, v88, 0x7fff
                                        ; implicit-def: $vgpr89
; %bb.76:
	s_and_not1_saveexec_b32 s4, s4
; %bb.77:
	v_and_b32_e32 v88, 0xffff, v89
	v_or_b32_e32 v92, 0x10000, v89
	s_delay_alu instid0(VALU_DEP_2) | instskip(NEXT) | instid1(VALU_DEP_2)
	v_cmp_eq_u32_e32 vcc_lo, 0, v88
	v_cndmask_b32_e32 v88, v92, v89, vcc_lo
; %bb.78:
	s_or_b32 exec_lo, exec_lo, s4
	s_delay_alu instid0(VALU_DEP_1)
	v_perm_b32 v89, v88, v87, 0x7060302
	v_perm_b32 v88, v86, v91, 0x7060302
	;; [unrolled: 1-line block ×4, first 2 shown]
	v_lshl_or_b32 v90, v74, 11, v85
	ds_store_b128 v77, v[86:89] offset:1024
	s_waitcnt lgkmcnt(0)
	s_barrier
	buffer_gl0_inv
	ds_load_b128 v[91:94], v90
	ds_load_b128 v[95:98], v90 offset:16
	v_lshlrev_b32_e32 v87, 2, v83
	s_delay_alu instid0(VALU_DEP_1)
	v_or_b32_e32 v88, 1, v87
	v_cmp_eq_u32_e32 vcc_lo, 1, v87
	v_cmp_eq_u32_e64 s5, 2, v87
	v_cmp_eq_u32_e64 s8, 3, v87
	;; [unrolled: 1-line block ×6, first 2 shown]
	v_or_b32_e32 v86, 2, v87
	v_cmp_eq_u32_e64 s11, 5, v87
	v_cmp_eq_u32_e64 s12, 4, v88
	v_cmp_eq_u32_e64 s13, 6, v87
	v_cmp_eq_u32_e64 s15, 5, v88
	s_waitcnt lgkmcnt(1)
	v_lshrrev_b32_e32 v74, 16, v91
	s_waitcnt lgkmcnt(0)
	v_lshrrev_b32_e32 v103, 16, v95
	v_lshrrev_b32_e32 v80, 16, v94
	;; [unrolled: 1-line block ×4, first 2 shown]
	v_cndmask_b32_e32 v89, v91, v74, vcc_lo
	v_cndmask_b32_e32 v99, v95, v103, vcc_lo
	v_cndmask_b32_e64 v100, v91, v74, s4
	v_lshrrev_b32_e32 v79, 16, v93
	v_lshrrev_b32_e32 v108, 16, v97
	v_cndmask_b32_e64 v89, v89, v92, s5
	v_cndmask_b32_e64 v99, v99, v96, s5
	v_cndmask_b32_e64 v100, v100, v92, s7
	v_cndmask_b32_e64 v101, v95, v103, s4
	v_cmp_eq_u32_e64 s6, 1, v86
	v_cndmask_b32_e64 v89, v89, v78, s8
	v_cndmask_b32_e64 v99, v99, v107, s8
	;; [unrolled: 1-line block ×4, first 2 shown]
	v_lshrrev_b32_e32 v109, 16, v98
	v_cndmask_b32_e64 v89, v89, v93, s10
	v_cndmask_b32_e64 v99, v99, v97, s10
	;; [unrolled: 1-line block ×8, first 2 shown]
	v_cmp_eq_u32_e64 s16, 7, v87
	v_cmp_eq_u32_e64 s17, 6, v88
	v_cndmask_b32_e64 v89, v89, v94, s13
	v_cndmask_b32_e64 v99, v99, v98, s13
	v_cmp_eq_u32_e64 s18, 2, v86
	v_cndmask_b32_e64 v101, v101, v97, s12
	v_cndmask_b32_e64 v100, v100, v94, s17
	;; [unrolled: 1-line block ×6, first 2 shown]
	v_cmp_eq_u32_e64 s19, 7, v88
	v_cmp_eq_u32_e64 s20, 3, v86
	;; [unrolled: 1-line block ×4, first 2 shown]
	v_cndmask_b32_e64 v99, v99, v96, s18
	v_cndmask_b32_e64 v112, v100, v80, s19
	;; [unrolled: 1-line block ×4, first 2 shown]
	v_or_b32_e32 v89, 3, v87
	v_cndmask_b32_e64 v105, v99, v107, s20
	v_cmp_eq_u32_e64 s25, 6, v86
	v_cndmask_b32_e64 v113, v100, v98, s17
	v_cndmask_b32_e64 v104, v101, v93, s21
	ds_load_b128 v[99:102], v90 offset:1024
	v_cmp_eq_u32_e64 s22, 1, v89
	v_cmp_eq_u32_e64 s24, 2, v89
	;; [unrolled: 1-line block ×3, first 2 shown]
	v_cndmask_b32_e64 v114, v104, v79, s23
	v_cmp_eq_u32_e64 s27, 4, v89
	v_cndmask_b32_e64 v74, v91, v74, s22
	v_cndmask_b32_e64 v91, v105, v97, s21
	;; [unrolled: 1-line block ×3, first 2 shown]
	ds_load_b128 v[103:106], v90 offset:1040
	v_cmp_eq_u32_e64 s29, 5, v89
	v_cndmask_b32_e64 v74, v74, v92, s24
	v_cndmask_b32_e64 v91, v91, v108, s23
	;; [unrolled: 1-line block ×3, first 2 shown]
	v_cmp_eq_u32_e64 s30, 6, v89
	v_cndmask_b32_e64 v95, v113, v109, s19
	v_cndmask_b32_e64 v74, v74, v78, s26
	;; [unrolled: 1-line block ×5, first 2 shown]
	s_waitcnt lgkmcnt(1)
	v_lshrrev_b32_e32 v96, 16, v99
	v_cndmask_b32_e64 v74, v74, v93, s27
	v_lshrrev_b32_e32 v107, 16, v100
	v_cndmask_b32_e64 v92, v92, v97, s27
	v_cmp_eq_u32_e64 s28, 7, v86
	v_cndmask_b32_e32 v93, v99, v96, vcc_lo
	v_cndmask_b32_e64 v74, v74, v79, s29
	s_delay_alu instid0(VALU_DEP_4)
	v_cndmask_b32_e64 v79, v92, v108, s29
	s_waitcnt lgkmcnt(0)
	v_lshrrev_b32_e32 v97, 16, v103
	v_cndmask_b32_e64 v92, v93, v100, s5
	v_cndmask_b32_e64 v93, v99, v96, s4
	;; [unrolled: 1-line block ×4, first 2 shown]
	v_cndmask_b32_e32 v108, v103, v97, vcc_lo
	v_cndmask_b32_e64 v92, v92, v107, s8
	v_cndmask_b32_e64 v93, v93, v100, s7
	v_lshrrev_b32_e32 v98, 16, v104
	v_cmp_eq_u32_e32 vcc_lo, 7, v89
	v_cndmask_b32_e64 v94, v108, v104, s5
	v_cndmask_b32_e64 v92, v92, v101, s10
	v_lshrrev_b32_e32 v108, 16, v101
	v_cndmask_b32_e64 v93, v93, v107, s9
	v_cndmask_b32_e32 v74, v74, v80, vcc_lo
	v_cndmask_b32_e64 v94, v94, v98, s8
	v_cndmask_b32_e32 v79, v79, v109, vcc_lo
	v_cndmask_b32_e64 v92, v92, v108, s11
	v_cndmask_b32_e64 v78, v78, v80, s28
	;; [unrolled: 1-line block ×4, first 2 shown]
	v_perm_b32 v94, v79, v74, 0x5040100
	v_cndmask_b32_e64 v79, v92, v102, s13
	v_perm_b32 v92, v95, v112, 0x5040100
	v_cndmask_b32_e64 v95, v99, v96, s6
	v_cndmask_b32_e64 v96, v99, v96, s22
	;; [unrolled: 1-line block ×16, first 2 shown]
	v_lshrrev_b32_e32 v109, 16, v105
	v_cndmask_b32_e64 v95, v95, v101, s21
	v_cndmask_b32_e64 v96, v96, v101, s27
	;; [unrolled: 1-line block ×6, first 2 shown]
	v_lshrrev_b32_e32 v80, 16, v102
	v_cndmask_b32_e64 v113, v93, v109, s11
	v_cndmask_b32_e64 v95, v95, v108, s23
	;; [unrolled: 1-line block ×6, first 2 shown]
	v_perm_b32 v93, v91, v78, 0x5040100
	v_cndmask_b32_e64 v74, v74, v102, s17
	v_cndmask_b32_e64 v78, v79, v80, s16
	;; [unrolled: 1-line block ×3, first 2 shown]
	v_lshrrev_b32_e32 v91, 16, v106
	v_cndmask_b32_e64 v95, v95, v102, s25
	v_cndmask_b32_e64 v96, v96, v102, s30
	;; [unrolled: 1-line block ×7, first 2 shown]
	v_cndmask_b32_e32 v80, v96, v80, vcc_lo
	v_cndmask_b32_e32 v96, v98, v91, vcc_lo
	v_cndmask_b32_e64 v99, v99, v91, s28
	v_cndmask_b32_e64 v100, v97, v91, s19
	;; [unrolled: 1-line block ×3, first 2 shown]
	v_perm_b32 v91, v111, v110, 0x5040100
	v_perm_b32 v98, v96, v80, 0x5040100
	;; [unrolled: 1-line block ×5, first 2 shown]
	s_mul_i32 s9, s37, 7
	s_mov_b32 s4, exec_lo
	ds_store_b128 v77, v[91:94]
	ds_store_b128 v77, v[95:98] offset:1024
	v_cmpx_gt_u32_e32 7, v0
	s_cbranch_execz .LBB564_80
; %bb.79:
	s_mul_i32 s5, s9, s34
	s_load_b128 s[16:19], s[0:1], 0x58
	v_add3_u32 v77, s5, s31, v73
	s_delay_alu instid0(VALU_DEP_1) | instskip(NEXT) | instid1(VALU_DEP_1)
	v_mad_u64_u32 v[73:74], null, v77, s36, s[14:15]
	v_ashrrev_i32_e32 v74, 31, v73
	s_delay_alu instid0(VALU_DEP_1) | instskip(SKIP_1) | instid1(VALU_DEP_1)
	v_lshlrev_b64 v[73:74], 2, v[73:74]
	s_waitcnt lgkmcnt(0)
	v_add_co_u32 v77, vcc_lo, s18, v73
	s_delay_alu instid0(VALU_DEP_2)
	v_add_co_ci_u32_e32 v78, vcc_lo, s19, v74, vcc_lo
	v_add_co_u32 v73, vcc_lo, s16, v73
	v_add_co_ci_u32_e32 v74, vcc_lo, s17, v74, vcc_lo
	global_store_b32 v[77:78], v75, off
	global_store_b32 v[73:74], v76, off
.LBB564_80:
	s_or_b32 exec_lo, exec_lo, s4
	s_waitcnt lgkmcnt(0)
	s_waitcnt_vscnt null, 0x0
	s_barrier
	buffer_gl0_inv
	ds_load_b128 v[91:94], v85
	ds_load_b128 v[95:98], v85 offset:16
	ds_load_b128 v[103:106], v85 offset:1040
	;; [unrolled: 1-line block ×3, first 2 shown]
	v_mov_b32_e32 v73, 0
	ds_load_b128 v[111:114], v85 offset:2064
	ds_load_b128 v[107:110], v85 offset:2048
	;; [unrolled: 1-line block ×6, first 2 shown]
	v_mov_b32_e32 v74, v73
	v_mov_b32_e32 v75, v73
	;; [unrolled: 1-line block ×7, first 2 shown]
	s_waitcnt lgkmcnt(8)
	s_delay_alu instid0(VALU_DEP_1)
	v_wmma_f32_16x16x16_bf16 v[73:80], v[65:72], v[91:98], v[73:80]
	ds_load_b128 v[69:72], v85 offset:5136
	ds_load_b128 v[65:68], v85 offset:5120
	;; [unrolled: 1-line block ×4, first 2 shown]
	s_waitcnt lgkmcnt(10)
	v_wmma_f32_16x16x16_bf16 v[73:80], v[57:64], v[99:106], v[73:80]
	s_waitcnt lgkmcnt(8)
	s_delay_alu instid0(VALU_DEP_1)
	v_wmma_f32_16x16x16_bf16 v[73:80], v[57:64], v[107:114], v[73:80]
	ds_load_b128 v[61:64], v85 offset:7184
	ds_load_b128 v[57:60], v85 offset:7168
	;; [unrolled: 1-line block ×4, first 2 shown]
	s_waitcnt lgkmcnt(10)
	v_wmma_f32_16x16x16_bf16 v[73:80], v[49:56], v[115:122], v[73:80]
	s_waitcnt lgkmcnt(8)
	s_delay_alu instid0(VALU_DEP_1)
	v_wmma_f32_16x16x16_bf16 v[73:80], v[49:56], v[123:130], v[73:80]
	ds_load_b128 v[53:56], v85 offset:9232
	ds_load_b128 v[49:52], v85 offset:9216
	s_waitcnt lgkmcnt(8)
	v_wmma_f32_16x16x16_bf16 v[73:80], v[41:48], v[65:72], v[73:80]
	ds_load_b128 v[69:72], v85 offset:10256
	ds_load_b128 v[65:68], v85 offset:10240
	s_waitcnt lgkmcnt(8)
	v_wmma_f32_16x16x16_bf16 v[73:80], v[41:48], v[91:98], v[73:80]
	ds_load_b128 v[45:48], v85 offset:11280
	ds_load_b128 v[41:44], v85 offset:11264
	s_waitcnt lgkmcnt(8)
	v_wmma_f32_16x16x16_bf16 v[73:80], v[9:16], v[57:64], v[73:80]
	s_waitcnt lgkmcnt(6)
	s_delay_alu instid0(VALU_DEP_1)
	v_wmma_f32_16x16x16_bf16 v[73:80], v[9:16], v[99:106], v[73:80]
	ds_load_b128 v[13:16], v85 offset:12304
	ds_load_b128 v[9:12], v85 offset:12288
	s_waitcnt lgkmcnt(6)
	v_wmma_f32_16x16x16_bf16 v[73:80], v[1:8], v[49:56], v[73:80]
	ds_load_b128 v[53:56], v85 offset:13328
	ds_load_b128 v[49:52], v85 offset:13312
	s_waitcnt lgkmcnt(6)
	;; [unrolled: 4-line block ×4, first 2 shown]
	v_wmma_f32_16x16x16_bf16 v[73:80], v[33:40], v[9:16], v[73:80]
	s_waitcnt lgkmcnt(4)
	s_delay_alu instid0(VALU_DEP_1) | instskip(SKIP_1) | instid1(VALU_DEP_1)
	v_wmma_f32_16x16x16_bf16 v[73:80], v[25:32], v[49:56], v[73:80]
	s_waitcnt lgkmcnt(2)
	v_wmma_f32_16x16x16_bf16 v[73:80], v[25:32], v[1:8], v[73:80]
	s_waitcnt lgkmcnt(0)
	s_delay_alu instid0(VALU_DEP_1) | instskip(NEXT) | instid1(VALU_DEP_1)
	v_wmma_f32_16x16x16_bf16 v[73:80], v[17:24], v[41:48], v[73:80]
	v_and_b32_e32 v1, 0x7f800000, v73
	s_delay_alu instid0(VALU_DEP_1) | instskip(SKIP_1) | instid1(SALU_CYCLE_1)
	v_cmp_ne_u32_e32 vcc_lo, 0x7f800000, v1
                                        ; implicit-def: $vgpr1
	s_and_saveexec_b32 s4, vcc_lo
	s_xor_b32 s4, exec_lo, s4
; %bb.81:
	v_bfe_u32 v1, v73, 16, 1
	s_delay_alu instid0(VALU_DEP_1)
	v_add3_u32 v1, v73, v1, 0x7fff
; %bb.82:
	s_and_not1_saveexec_b32 s4, s4
; %bb.83:
	v_and_b32_e32 v1, 0xffff, v73
	v_or_b32_e32 v2, 0x10000, v73
	s_delay_alu instid0(VALU_DEP_2) | instskip(NEXT) | instid1(VALU_DEP_2)
	v_cmp_eq_u32_e32 vcc_lo, 0, v1
	v_cndmask_b32_e32 v1, v2, v73, vcc_lo
; %bb.84:
	s_or_b32 exec_lo, exec_lo, s4
	v_and_b32_e32 v2, 0x7f800000, v74
	s_delay_alu instid0(VALU_DEP_1) | instskip(SKIP_1) | instid1(SALU_CYCLE_1)
	v_cmp_ne_u32_e32 vcc_lo, 0x7f800000, v2
                                        ; implicit-def: $vgpr2
	s_and_saveexec_b32 s4, vcc_lo
	s_xor_b32 s4, exec_lo, s4
; %bb.85:
	v_bfe_u32 v2, v74, 16, 1
	s_delay_alu instid0(VALU_DEP_1)
	v_add3_u32 v2, v74, v2, 0x7fff
; %bb.86:
	s_and_not1_saveexec_b32 s4, s4
; %bb.87:
	v_and_b32_e32 v2, 0xffff, v74
	v_or_b32_e32 v3, 0x10000, v74
	s_delay_alu instid0(VALU_DEP_2) | instskip(NEXT) | instid1(VALU_DEP_2)
	v_cmp_eq_u32_e32 vcc_lo, 0, v2
	v_cndmask_b32_e32 v2, v3, v74, vcc_lo
; %bb.88:
	s_or_b32 exec_lo, exec_lo, s4
	v_and_b32_e32 v3, 0x7f800000, v75
	s_delay_alu instid0(VALU_DEP_1) | instskip(SKIP_1) | instid1(SALU_CYCLE_1)
	v_cmp_ne_u32_e32 vcc_lo, 0x7f800000, v3
                                        ; implicit-def: $vgpr3
	s_and_saveexec_b32 s4, vcc_lo
	s_xor_b32 s4, exec_lo, s4
; %bb.89:
	v_bfe_u32 v3, v75, 16, 1
	s_delay_alu instid0(VALU_DEP_1)
	v_add3_u32 v3, v75, v3, 0x7fff
; %bb.90:
	s_and_not1_saveexec_b32 s4, s4
; %bb.91:
	v_and_b32_e32 v3, 0xffff, v75
	v_or_b32_e32 v4, 0x10000, v75
	s_delay_alu instid0(VALU_DEP_2) | instskip(NEXT) | instid1(VALU_DEP_2)
	v_cmp_eq_u32_e32 vcc_lo, 0, v3
	v_cndmask_b32_e32 v3, v4, v75, vcc_lo
; %bb.92:
	s_or_b32 exec_lo, exec_lo, s4
	v_and_b32_e32 v4, 0x7f800000, v76
	s_delay_alu instid0(VALU_DEP_1) | instskip(SKIP_1) | instid1(SALU_CYCLE_1)
	v_cmp_ne_u32_e32 vcc_lo, 0x7f800000, v4
                                        ; implicit-def: $vgpr4
	s_and_saveexec_b32 s4, vcc_lo
	s_xor_b32 s4, exec_lo, s4
; %bb.93:
	v_bfe_u32 v4, v76, 16, 1
	s_delay_alu instid0(VALU_DEP_1)
	v_add3_u32 v4, v76, v4, 0x7fff
; %bb.94:
	s_and_not1_saveexec_b32 s4, s4
; %bb.95:
	v_and_b32_e32 v4, 0xffff, v76
	v_or_b32_e32 v5, 0x10000, v76
	s_delay_alu instid0(VALU_DEP_2) | instskip(NEXT) | instid1(VALU_DEP_2)
	v_cmp_eq_u32_e32 vcc_lo, 0, v4
	v_cndmask_b32_e32 v4, v5, v76, vcc_lo
; %bb.96:
	s_or_b32 exec_lo, exec_lo, s4
	v_and_b32_e32 v5, 0x7f800000, v77
	s_delay_alu instid0(VALU_DEP_1) | instskip(SKIP_1) | instid1(SALU_CYCLE_1)
	v_cmp_ne_u32_e32 vcc_lo, 0x7f800000, v5
                                        ; implicit-def: $vgpr5
	s_and_saveexec_b32 s4, vcc_lo
	s_xor_b32 s4, exec_lo, s4
; %bb.97:
	v_bfe_u32 v5, v77, 16, 1
	s_delay_alu instid0(VALU_DEP_1)
	v_add3_u32 v5, v77, v5, 0x7fff
; %bb.98:
	s_and_not1_saveexec_b32 s4, s4
; %bb.99:
	v_and_b32_e32 v5, 0xffff, v77
	v_or_b32_e32 v6, 0x10000, v77
	s_delay_alu instid0(VALU_DEP_2) | instskip(NEXT) | instid1(VALU_DEP_2)
	v_cmp_eq_u32_e32 vcc_lo, 0, v5
	v_cndmask_b32_e32 v5, v6, v77, vcc_lo
; %bb.100:
	s_or_b32 exec_lo, exec_lo, s4
	v_and_b32_e32 v6, 0x7f800000, v78
	s_delay_alu instid0(VALU_DEP_1) | instskip(SKIP_1) | instid1(SALU_CYCLE_1)
	v_cmp_ne_u32_e32 vcc_lo, 0x7f800000, v6
                                        ; implicit-def: $vgpr6
	s_and_saveexec_b32 s4, vcc_lo
	s_xor_b32 s4, exec_lo, s4
; %bb.101:
	v_bfe_u32 v6, v78, 16, 1
	s_delay_alu instid0(VALU_DEP_1)
	v_add3_u32 v6, v78, v6, 0x7fff
; %bb.102:
	s_and_not1_saveexec_b32 s4, s4
; %bb.103:
	v_and_b32_e32 v6, 0xffff, v78
	v_or_b32_e32 v7, 0x10000, v78
	s_delay_alu instid0(VALU_DEP_2) | instskip(NEXT) | instid1(VALU_DEP_2)
	v_cmp_eq_u32_e32 vcc_lo, 0, v6
	v_cndmask_b32_e32 v6, v7, v78, vcc_lo
; %bb.104:
	s_or_b32 exec_lo, exec_lo, s4
	v_and_b32_e32 v7, 0x7f800000, v79
	s_delay_alu instid0(VALU_DEP_1) | instskip(SKIP_1) | instid1(SALU_CYCLE_1)
	v_cmp_ne_u32_e32 vcc_lo, 0x7f800000, v7
                                        ; implicit-def: $vgpr7
	s_and_saveexec_b32 s4, vcc_lo
	s_xor_b32 s4, exec_lo, s4
; %bb.105:
	v_bfe_u32 v7, v79, 16, 1
	s_delay_alu instid0(VALU_DEP_1)
	v_add3_u32 v7, v79, v7, 0x7fff
; %bb.106:
	s_and_not1_saveexec_b32 s4, s4
; %bb.107:
	v_and_b32_e32 v7, 0xffff, v79
	v_or_b32_e32 v8, 0x10000, v79
	s_delay_alu instid0(VALU_DEP_2) | instskip(NEXT) | instid1(VALU_DEP_2)
	v_cmp_eq_u32_e32 vcc_lo, 0, v7
	v_cndmask_b32_e32 v7, v8, v79, vcc_lo
; %bb.108:
	s_or_b32 exec_lo, exec_lo, s4
	v_and_b32_e32 v8, 0x7f800000, v80
	s_delay_alu instid0(VALU_DEP_1) | instskip(SKIP_1) | instid1(SALU_CYCLE_1)
	v_cmp_ne_u32_e32 vcc_lo, 0x7f800000, v8
                                        ; implicit-def: $vgpr8
	s_and_saveexec_b32 s4, vcc_lo
	s_xor_b32 s4, exec_lo, s4
; %bb.109:
	v_bfe_u32 v8, v80, 16, 1
	s_delay_alu instid0(VALU_DEP_1)
	v_add3_u32 v8, v80, v8, 0x7fff
                                        ; implicit-def: $vgpr73_vgpr74_vgpr75_vgpr76_vgpr77_vgpr78_vgpr79_vgpr80
; %bb.110:
	s_and_not1_saveexec_b32 s4, s4
; %bb.111:
	v_and_b32_e32 v8, 0xffff, v80
	v_or_b32_e32 v9, 0x10000, v80
	s_delay_alu instid0(VALU_DEP_2) | instskip(NEXT) | instid1(VALU_DEP_2)
	v_cmp_eq_u32_e32 vcc_lo, 0, v8
	v_cndmask_b32_e32 v8, v9, v80, vcc_lo
; %bb.112:
	s_or_b32 exec_lo, exec_lo, s4
	s_delay_alu instid0(VALU_DEP_1)
	v_perm_b32 v7, v8, v7, 0x7060302
	v_perm_b32 v6, v6, v5, 0x7060302
	;; [unrolled: 1-line block ×4, first 2 shown]
	v_lshl_or_b32 v9, v83, 4, v90
	s_barrier
	buffer_gl0_inv
	v_cmp_eq_u32_e32 vcc_lo, 1, v87
	ds_store_b128 v9, v[4:7]
	s_waitcnt lgkmcnt(0)
	s_barrier
	buffer_gl0_inv
	ds_load_b128 v[1:4], v90
	ds_load_b128 v[5:8], v90 offset:16
	v_cmp_eq_u32_e64 s5, 2, v87
	v_cmp_eq_u32_e64 s4, 1, v88
	;; [unrolled: 1-line block ×5, first 2 shown]
	s_waitcnt lgkmcnt(1)
	v_lshrrev_b32_e32 v10, 16, v1
	s_waitcnt lgkmcnt(0)
	v_lshrrev_b32_e32 v14, 16, v5
	v_lshrrev_b32_e32 v15, 16, v6
	;; [unrolled: 1-line block ×4, first 2 shown]
	v_cndmask_b32_e64 v20, v1, v10, s4
	v_cndmask_b32_e32 v19, v5, v14, vcc_lo
	v_cndmask_b32_e64 v21, v5, v14, s4
	v_lshrrev_b32_e32 v16, 16, v7
	v_cmp_eq_u32_e64 s4, 1, v86
	v_lshrrev_b32_e32 v13, 16, v4
	v_cndmask_b32_e64 v19, v19, v6, s5
	v_lshrrev_b32_e32 v17, 16, v8
	s_delay_alu instid0(VALU_DEP_4) | instskip(SKIP_1) | instid1(VALU_DEP_4)
	v_cndmask_b32_e64 v22, v1, v10, s4
	v_cndmask_b32_e64 v23, v5, v14, s4
	;; [unrolled: 1-line block ×3, first 2 shown]
	v_cndmask_b32_e32 v18, v1, v10, vcc_lo
	v_cmp_eq_u32_e32 vcc_lo, 2, v88
	v_cmp_eq_u32_e64 s4, 2, v89
	v_cndmask_b32_e64 v22, v22, v2, s8
	v_cndmask_b32_e32 v20, v20, v2, vcc_lo
	v_cndmask_b32_e32 v21, v21, v6, vcc_lo
	v_cmp_eq_u32_e32 vcc_lo, 4, v87
	v_cndmask_b32_e32 v19, v19, v7, vcc_lo
	v_cndmask_b32_e64 v18, v18, v2, s5
	v_cmp_eq_u32_e64 s5, 3, v88
	s_delay_alu instid0(VALU_DEP_2) | instskip(NEXT) | instid1(VALU_DEP_2)
	v_cndmask_b32_e64 v18, v18, v11, s6
	v_cndmask_b32_e64 v21, v21, v15, s5
	v_cmp_eq_u32_e64 s6, 5, v87
	s_delay_alu instid0(VALU_DEP_3) | instskip(SKIP_1) | instid1(VALU_DEP_3)
	v_cndmask_b32_e32 v18, v18, v3, vcc_lo
	v_cmp_eq_u32_e32 vcc_lo, 4, v88
	v_cndmask_b32_e64 v19, v19, v16, s6
	s_delay_alu instid0(VALU_DEP_3) | instskip(SKIP_4) | instid1(VALU_DEP_3)
	v_cndmask_b32_e64 v18, v18, v12, s6
	v_cndmask_b32_e32 v21, v21, v7, vcc_lo
	v_cndmask_b32_e64 v20, v20, v11, s5
	v_cmp_eq_u32_e64 s5, 5, v88
	v_cmp_eq_u32_e64 s6, 6, v87
	v_cndmask_b32_e32 v20, v20, v3, vcc_lo
	s_delay_alu instid0(VALU_DEP_3) | instskip(SKIP_1) | instid1(VALU_DEP_4)
	v_cndmask_b32_e64 v21, v21, v16, s5
	v_cmp_eq_u32_e32 vcc_lo, 6, v88
	v_cndmask_b32_e64 v18, v18, v4, s6
	v_cndmask_b32_e64 v19, v19, v8, s6
	;; [unrolled: 1-line block ×3, first 2 shown]
	v_cmp_eq_u32_e64 s5, 1, v89
	v_cmp_eq_u32_e64 s6, 7, v87
	s_delay_alu instid0(VALU_DEP_3) | instskip(NEXT) | instid1(VALU_DEP_3)
	v_cndmask_b32_e32 v20, v20, v4, vcc_lo
	v_cndmask_b32_e64 v1, v1, v10, s5
	v_cndmask_b32_e64 v5, v5, v14, s5
	v_cmp_eq_u32_e64 s5, 3, v86
	v_cndmask_b32_e64 v14, v23, v6, s8
	v_cmp_eq_u32_e64 s8, 3, v89
	v_cndmask_b32_e64 v1, v1, v2, s4
	v_cndmask_b32_e64 v2, v5, v6, s4
	;; [unrolled: 1-line block ×3, first 2 shown]
	v_cmp_eq_u32_e64 s4, 4, v86
	v_cndmask_b32_e64 v6, v14, v15, s5
	v_cndmask_b32_e64 v1, v1, v11, s8
	v_cmp_eq_u32_e64 s5, 4, v89
	v_cndmask_b32_e64 v2, v2, v15, s8
	v_cndmask_b32_e64 v5, v10, v3, s4
	;; [unrolled: 3-line block ×3, first 2 shown]
	v_cndmask_b32_e64 v2, v2, v7, s5
	v_cmp_eq_u32_e64 s4, 5, v89
	v_cndmask_b32_e64 v5, v5, v12, s8
	v_cmp_eq_u32_e64 s5, 6, v86
	;; [unrolled: 2-line block ×3, first 2 shown]
	v_cndmask_b32_e64 v1, v1, v12, s4
	v_cndmask_b32_e64 v2, v2, v16, s4
	;; [unrolled: 1-line block ×4, first 2 shown]
	v_cmp_eq_u32_e64 s4, 7, v89
	v_cndmask_b32_e64 v1, v1, v4, s8
	v_cndmask_b32_e64 v2, v2, v8, s8
	v_cmp_eq_u32_e64 s5, 7, v86
	v_cndmask_b32_e32 v4, v21, v8, vcc_lo
	v_cndmask_b32_e64 v18, v18, v13, s6
	v_cndmask_b32_e64 v20, v20, v13, s7
	;; [unrolled: 1-line block ×8, first 2 shown]
	v_cmp_gt_u32_e32 vcc_lo, 32, v0
	v_perm_b32 v4, v2, v1, 0x5040100
	v_perm_b32 v3, v3, v5, 0x5040100
	;; [unrolled: 1-line block ×4, first 2 shown]
	s_and_b32 s2, vcc_lo, s2
	ds_store_b128 v9, v[1:4]
	s_waitcnt lgkmcnt(0)
	s_barrier
	buffer_gl0_inv
	s_and_saveexec_b32 s4, s2
	s_cbranch_execz .LBB564_2
; %bb.113:
	s_load_b64 s[4:5], s[0:1], 0x68
	v_lshlrev_b32_e32 v0, 10, v0
	v_add_nc_u32_e32 v2, s31, v83
	v_lshlrev_b32_e32 v3, 4, v84
	s_lshl_b32 s0, s36, 6
	s_delay_alu instid0(SALU_CYCLE_1) | instskip(NEXT) | instid1(VALU_DEP_2)
	s_mul_i32 s1, s0, s34
	v_mul_lo_u32 v1, v2, s0
	s_delay_alu instid0(VALU_DEP_2)
	v_and_or_b32 v0, 0x3800, v0, v3
	v_add_nc_u32_e32 v3, 2, v2
	s_mul_i32 s6, s1, s9
	v_add_nc_u32_e32 v4, 4, v2
	s_ashr_i32 s7, s6, 31
	v_lshl_or_b32 v11, v83, 6, v0
	s_lshl_b64 s[6:7], s[6:7], 1
	v_mul_lo_u32 v15, v3, s0
	v_mul_lo_u32 v17, v4, s0
	v_ashrrev_i32_e32 v2, 31, v1
	ds_load_b128 v[3:6], v11
	ds_load_b128 v[7:10], v11 offset:128
	ds_load_b128 v[11:14], v11 offset:256
	s_waitcnt lgkmcnt(0)
	s_add_u32 s1, s4, s6
	s_addc_u32 s2, s5, s7
	s_lshl_b32 s4, s14, 6
	v_ashrrev_i32_e32 v16, 31, v15
	s_ashr_i32 s5, s4, 31
	v_lshlrev_b64 v[19:20], 1, v[1:2]
	s_lshl_b64 s[4:5], s[4:5], 1
	v_ashrrev_i32_e32 v18, 31, v17
	s_add_u32 s1, s1, s4
	s_addc_u32 s2, s2, s5
	v_add_co_u32 v1, vcc_lo, s1, v81
	v_add_co_ci_u32_e32 v2, vcc_lo, s2, v82, vcc_lo
	v_lshlrev_b64 v[15:16], 1, v[15:16]
	s_delay_alu instid0(VALU_DEP_3) | instskip(SKIP_1) | instid1(VALU_DEP_4)
	v_add_co_u32 v19, vcc_lo, v1, v19
	v_lshlrev_b64 v[17:18], 1, v[17:18]
	v_add_co_ci_u32_e32 v20, vcc_lo, v2, v20, vcc_lo
	s_delay_alu instid0(VALU_DEP_4) | instskip(SKIP_1) | instid1(VALU_DEP_4)
	v_add_co_u32 v15, vcc_lo, v1, v15
	v_add_co_ci_u32_e32 v16, vcc_lo, v2, v16, vcc_lo
	v_add_co_u32 v17, vcc_lo, v1, v17
	v_add_co_ci_u32_e32 v18, vcc_lo, v2, v18, vcc_lo
	s_clause 0x2
	global_store_b128 v[19:20], v[3:6], off
	global_store_b128 v[15:16], v[7:10], off
	;; [unrolled: 1-line block ×3, first 2 shown]
	s_and_b32 exec_lo, exec_lo, s3
	s_cbranch_execz .LBB564_2
; %bb.114:
	ds_load_b128 v[3:6], v0 offset:384
	s_add_i32 s1, s31, 6
	s_delay_alu instid0(SALU_CYCLE_1) | instskip(NEXT) | instid1(SALU_CYCLE_1)
	s_mul_i32 s0, s1, s0
	s_ashr_i32 s1, s0, 31
	s_delay_alu instid0(SALU_CYCLE_1) | instskip(NEXT) | instid1(SALU_CYCLE_1)
	s_lshl_b64 s[0:1], s[0:1], 1
	v_add_co_u32 v0, vcc_lo, v1, s0
	v_add_co_ci_u32_e32 v1, vcc_lo, s1, v2, vcc_lo
	s_waitcnt lgkmcnt(0)
	global_store_b128 v[0:1], v[3:6], off
	s_nop 0
	s_sendmsg sendmsg(MSG_DEALLOC_VGPRS)
	s_endpgm
	.section	.rodata,"a",@progbits
	.p2align	6, 0x0
	.amdhsa_kernel _Z39paged_attention_ll4mi_QKV_mfma16_kernelI14__hip_bfloat16S0_LN4vllm18Fp8KVCacheDataTypeE0ES0_Li32ELi64ELi256ELb0ELi7EL8MFMAType0EEvPKT_PKT0_S9_ifPKiSB_SB_iPKfiiiPfSE_PS4_PT2_iSD_SD_
		.amdhsa_group_segment_fixed_size 17472
		.amdhsa_private_segment_fixed_size 0
		.amdhsa_kernarg_size 400
		.amdhsa_user_sgpr_count 13
		.amdhsa_user_sgpr_dispatch_ptr 0
		.amdhsa_user_sgpr_queue_ptr 0
		.amdhsa_user_sgpr_kernarg_segment_ptr 1
		.amdhsa_user_sgpr_dispatch_id 0
		.amdhsa_user_sgpr_private_segment_size 0
		.amdhsa_wavefront_size32 1
		.amdhsa_uses_dynamic_stack 0
		.amdhsa_enable_private_segment 0
		.amdhsa_system_sgpr_workgroup_id_x 1
		.amdhsa_system_sgpr_workgroup_id_y 1
		.amdhsa_system_sgpr_workgroup_id_z 1
		.amdhsa_system_sgpr_workgroup_info 0
		.amdhsa_system_vgpr_workitem_id 0
		.amdhsa_next_free_vgpr 142
		.amdhsa_next_free_sgpr 39
		.amdhsa_reserve_vcc 1
		.amdhsa_float_round_mode_32 0
		.amdhsa_float_round_mode_16_64 0
		.amdhsa_float_denorm_mode_32 3
		.amdhsa_float_denorm_mode_16_64 3
		.amdhsa_dx10_clamp 1
		.amdhsa_ieee_mode 1
		.amdhsa_fp16_overflow 0
		.amdhsa_workgroup_processor_mode 1
		.amdhsa_memory_ordered 1
		.amdhsa_forward_progress 0
		.amdhsa_shared_vgpr_count 0
		.amdhsa_exception_fp_ieee_invalid_op 0
		.amdhsa_exception_fp_denorm_src 0
		.amdhsa_exception_fp_ieee_div_zero 0
		.amdhsa_exception_fp_ieee_overflow 0
		.amdhsa_exception_fp_ieee_underflow 0
		.amdhsa_exception_fp_ieee_inexact 0
		.amdhsa_exception_int_div_zero 0
	.end_amdhsa_kernel
	.section	.text._Z39paged_attention_ll4mi_QKV_mfma16_kernelI14__hip_bfloat16S0_LN4vllm18Fp8KVCacheDataTypeE0ES0_Li32ELi64ELi256ELb0ELi7EL8MFMAType0EEvPKT_PKT0_S9_ifPKiSB_SB_iPKfiiiPfSE_PS4_PT2_iSD_SD_,"axG",@progbits,_Z39paged_attention_ll4mi_QKV_mfma16_kernelI14__hip_bfloat16S0_LN4vllm18Fp8KVCacheDataTypeE0ES0_Li32ELi64ELi256ELb0ELi7EL8MFMAType0EEvPKT_PKT0_S9_ifPKiSB_SB_iPKfiiiPfSE_PS4_PT2_iSD_SD_,comdat
.Lfunc_end564:
	.size	_Z39paged_attention_ll4mi_QKV_mfma16_kernelI14__hip_bfloat16S0_LN4vllm18Fp8KVCacheDataTypeE0ES0_Li32ELi64ELi256ELb0ELi7EL8MFMAType0EEvPKT_PKT0_S9_ifPKiSB_SB_iPKfiiiPfSE_PS4_PT2_iSD_SD_, .Lfunc_end564-_Z39paged_attention_ll4mi_QKV_mfma16_kernelI14__hip_bfloat16S0_LN4vllm18Fp8KVCacheDataTypeE0ES0_Li32ELi64ELi256ELb0ELi7EL8MFMAType0EEvPKT_PKT0_S9_ifPKiSB_SB_iPKfiiiPfSE_PS4_PT2_iSD_SD_
                                        ; -- End function
	.section	.AMDGPU.csdata,"",@progbits
; Kernel info:
; codeLenInByte = 9452
; NumSgprs: 41
; NumVgprs: 142
; ScratchSize: 0
; MemoryBound: 0
; FloatMode: 240
; IeeeMode: 1
; LDSByteSize: 17472 bytes/workgroup (compile time only)
; SGPRBlocks: 5
; VGPRBlocks: 17
; NumSGPRsForWavesPerEU: 41
; NumVGPRsForWavesPerEU: 142
; Occupancy: 10
; WaveLimiterHint : 1
; COMPUTE_PGM_RSRC2:SCRATCH_EN: 0
; COMPUTE_PGM_RSRC2:USER_SGPR: 13
; COMPUTE_PGM_RSRC2:TRAP_HANDLER: 0
; COMPUTE_PGM_RSRC2:TGID_X_EN: 1
; COMPUTE_PGM_RSRC2:TGID_Y_EN: 1
; COMPUTE_PGM_RSRC2:TGID_Z_EN: 1
; COMPUTE_PGM_RSRC2:TIDIG_COMP_CNT: 0
	.section	.text._Z39paged_attention_ll4mi_QKV_mfma16_kernelI14__hip_bfloat16S0_LN4vllm18Fp8KVCacheDataTypeE0ES0_Li32ELi64ELi256ELb0ELi8EL8MFMAType0EEvPKT_PKT0_S9_ifPKiSB_SB_iPKfiiiPfSE_PS4_PT2_iSD_SD_,"axG",@progbits,_Z39paged_attention_ll4mi_QKV_mfma16_kernelI14__hip_bfloat16S0_LN4vllm18Fp8KVCacheDataTypeE0ES0_Li32ELi64ELi256ELb0ELi8EL8MFMAType0EEvPKT_PKT0_S9_ifPKiSB_SB_iPKfiiiPfSE_PS4_PT2_iSD_SD_,comdat
	.protected	_Z39paged_attention_ll4mi_QKV_mfma16_kernelI14__hip_bfloat16S0_LN4vllm18Fp8KVCacheDataTypeE0ES0_Li32ELi64ELi256ELb0ELi8EL8MFMAType0EEvPKT_PKT0_S9_ifPKiSB_SB_iPKfiiiPfSE_PS4_PT2_iSD_SD_ ; -- Begin function _Z39paged_attention_ll4mi_QKV_mfma16_kernelI14__hip_bfloat16S0_LN4vllm18Fp8KVCacheDataTypeE0ES0_Li32ELi64ELi256ELb0ELi8EL8MFMAType0EEvPKT_PKT0_S9_ifPKiSB_SB_iPKfiiiPfSE_PS4_PT2_iSD_SD_
	.globl	_Z39paged_attention_ll4mi_QKV_mfma16_kernelI14__hip_bfloat16S0_LN4vllm18Fp8KVCacheDataTypeE0ES0_Li32ELi64ELi256ELb0ELi8EL8MFMAType0EEvPKT_PKT0_S9_ifPKiSB_SB_iPKfiiiPfSE_PS4_PT2_iSD_SD_
	.p2align	8
	.type	_Z39paged_attention_ll4mi_QKV_mfma16_kernelI14__hip_bfloat16S0_LN4vllm18Fp8KVCacheDataTypeE0ES0_Li32ELi64ELi256ELb0ELi8EL8MFMAType0EEvPKT_PKT0_S9_ifPKiSB_SB_iPKfiiiPfSE_PS4_PT2_iSD_SD_,@function
_Z39paged_attention_ll4mi_QKV_mfma16_kernelI14__hip_bfloat16S0_LN4vllm18Fp8KVCacheDataTypeE0ES0_Li32ELi64ELi256ELb0ELi8EL8MFMAType0EEvPKT_PKT0_S9_ifPKiSB_SB_iPKfiiiPfSE_PS4_PT2_iSD_SD_: ; @_Z39paged_attention_ll4mi_QKV_mfma16_kernelI14__hip_bfloat16S0_LN4vllm18Fp8KVCacheDataTypeE0ES0_Li32ELi64ELi256ELb0ELi8EL8MFMAType0EEvPKT_PKT0_S9_ifPKiSB_SB_iPKfiiiPfSE_PS4_PT2_iSD_SD_
; %bb.0:
	s_load_b64 s[2:3], s[0:1], 0x30
	s_mov_b32 s30, s13
	s_waitcnt lgkmcnt(0)
	s_cmp_lg_u64 s[2:3], 0
	s_cselect_b32 s6, -1, 0
	s_ashr_i32 s31, s13, 31
	s_cmp_eq_u64 s[2:3], 0
	s_cbranch_scc1 .LBB565_3
; %bb.1:
	s_lshl_b64 s[4:5], s[30:31], 2
	s_delay_alu instid0(SALU_CYCLE_1) | instskip(SKIP_4) | instid1(SALU_CYCLE_1)
	s_add_u32 s4, s2, s4
	s_addc_u32 s5, s3, s5
	s_load_b64 s[4:5], s[4:5], 0x0
	s_waitcnt lgkmcnt(0)
	s_sub_i32 s4, s5, s4
	s_cmp_eq_u32 s4, 1
	s_cselect_b32 s4, -1, 0
	s_delay_alu instid0(SALU_CYCLE_1)
	s_and_not1_b32 vcc_lo, exec_lo, s4
	s_cbranch_vccz .LBB565_4
.LBB565_2:
	s_endpgm
.LBB565_3:
.LBB565_4:
	s_load_b64 s[8:9], s[0:1], 0x28
	s_lshl_b64 s[4:5], s[30:31], 2
	s_waitcnt lgkmcnt(0)
	s_add_u32 s8, s8, s4
	s_addc_u32 s9, s9, s5
	s_lshl_b32 s16, s14, 8
	s_load_b32 s18, s[8:9], 0x0
	s_waitcnt lgkmcnt(0)
	s_cmp_ge_i32 s16, s18
	s_cbranch_scc1 .LBB565_2
; %bb.5:
	s_and_not1_b32 vcc_lo, exec_lo, s6
	s_cbranch_vccnz .LBB565_7
; %bb.6:
	s_add_u32 s2, s2, s4
	s_addc_u32 s3, s3, s5
	s_load_b32 s17, s[2:3], 0x0
	s_branch .LBB565_8
.LBB565_7:
	s_mov_b32 s17, s30
.LBB565_8:
	s_clause 0x2
	s_load_b128 s[8:11], s[0:1], 0x8
	s_load_b64 s[12:13], s[0:1], 0x20
	s_load_b128 s[4:7], s[0:1], 0x48
	v_and_b32_e32 v74, 15, v0
	v_cmp_lt_u32_e32 vcc_lo, 0x7f, v0
	s_delay_alu instid0(VALU_DEP_2) | instskip(SKIP_2) | instid1(VALU_DEP_3)
	v_cmp_lt_u32_e64 s3, 7, v74
	v_lshlrev_b32_e32 v1, 3, v74
	v_cmp_gt_u32_e64 s2, 8, v74
	s_or_b32 s3, vcc_lo, s3
	s_waitcnt lgkmcnt(0)
	s_and_saveexec_b32 s7, s3
	s_delay_alu instid0(SALU_CYCLE_1)
	s_xor_b32 s3, exec_lo, s7
; %bb.9:
	v_mov_b32_e32 v2, 0
; %bb.10:
	s_or_saveexec_b32 s3, s3
	v_lshrrev_b32_e32 v73, 5, v0
	v_and_b32_e32 v75, 31, v0
	v_and_b32_e32 v84, 1, v0
	v_bfe_u32 v83, v0, 4, 1
	s_lshl_b32 s31, s15, 3
	s_xor_b32 exec_lo, exec_lo, s3
	s_cbranch_execz .LBB565_12
; %bb.11:
	s_delay_alu instid0(VALU_DEP_1)
	v_lshl_or_b32 v7, v73, 1, v83
	s_load_b64 s[20:21], s[0:1], 0x0
	s_mul_hi_i32 s23, s17, s4
	s_mul_i32 s22, s17, s4
	v_lshlrev_b32_e32 v4, 1, v1
	v_or_b32_e32 v2, s31, v7
	s_lshl_b64 s[22:23], s[22:23], 1
	v_lshlrev_b32_e32 v7, 6, v7
	v_lshlrev_b32_e32 v8, 10, v84
	s_delay_alu instid0(VALU_DEP_3) | instskip(NEXT) | instid1(VALU_DEP_1)
	v_lshlrev_b32_e32 v2, 6, v2
	v_ashrrev_i32_e32 v3, 31, v2
	s_delay_alu instid0(VALU_DEP_1) | instskip(SKIP_3) | instid1(VALU_DEP_1)
	v_lshlrev_b64 v[2:3], 1, v[2:3]
	s_waitcnt lgkmcnt(0)
	s_add_u32 s4, s20, s22
	s_addc_u32 s7, s21, s23
	v_add_co_u32 v2, vcc_lo, s4, v2
	s_delay_alu instid0(VALU_DEP_2) | instskip(NEXT) | instid1(VALU_DEP_2)
	v_add_co_ci_u32_e32 v3, vcc_lo, s7, v3, vcc_lo
	v_add_co_u32 v2, vcc_lo, v2, v4
	s_delay_alu instid0(VALU_DEP_2) | instskip(SKIP_2) | instid1(VALU_DEP_1)
	v_add_co_ci_u32_e32 v3, vcc_lo, 0, v3, vcc_lo
	global_load_b128 v[3:6], v[2:3], off
	v_lshlrev_b32_e32 v2, 10, v74
	v_and_b32_e32 v2, 0x3800, v2
	s_delay_alu instid0(VALU_DEP_1)
	v_or3_b32 v7, v2, v8, v7
	v_mov_b32_e32 v2, 0
	s_waitcnt vmcnt(0)
	ds_store_b128 v7, v[3:6]
.LBB565_12:
	s_or_b32 exec_lo, exec_lo, s3
	v_and_b32_e32 v3, 0xef, v0
	s_add_i32 s3, s18, 31
	s_clause 0x1
	s_load_b32 s4, s[0:1], 0x38
	s_load_b32 s19, s[0:1], 0x1c
	s_ashr_i32 s7, s3, 31
	v_add_nc_u32_e32 v3, s16, v3
	s_lshr_b32 s7, s7, 27
	s_waitcnt lgkmcnt(0)
	s_add_i32 s3, s3, s7
	s_barrier
	v_ashrrev_i32_e32 v4, 31, v3
	v_cmp_gt_i32_e32 vcc_lo, s18, v3
	s_ashr_i32 s3, s3, 5
	buffer_gl0_inv
	s_add_i32 s3, s3, -1
	v_lshrrev_b32_e32 v5, 27, v4
	v_or_b32_e32 v4, 16, v3
	s_mul_i32 s6, s15, s6
	v_lshlrev_b64 v[81:82], 1, v[1:2]
	s_delay_alu instid0(VALU_DEP_3) | instskip(NEXT) | instid1(VALU_DEP_3)
	v_add_nc_u32_e32 v6, v3, v5
	v_add_nc_u32_e32 v5, v4, v5
	s_mul_i32 s20, s30, s4
	s_delay_alu instid0(SALU_CYCLE_1) | instskip(NEXT) | instid1(VALU_DEP_2)
	s_ashr_i32 s21, s20, 31
	v_ashrrev_i32_e32 v6, 5, v6
	s_delay_alu instid0(VALU_DEP_2) | instskip(SKIP_1) | instid1(SALU_CYCLE_1)
	v_ashrrev_i32_e32 v5, 5, v5
	s_lshl_b64 s[20:21], s[20:21], 2
	s_add_u32 s4, s12, s20
	s_delay_alu instid0(VALU_DEP_2) | instskip(SKIP_3) | instid1(SALU_CYCLE_1)
	v_cndmask_b32_e32 v3, s3, v6, vcc_lo
	v_cmp_gt_i32_e32 vcc_lo, s18, v4
	s_addc_u32 s17, s13, s21
	s_ashr_i32 s7, s6, 31
	s_lshl_b64 s[6:7], s[6:7], 1
	v_cndmask_b32_e32 v5, s3, v5, vcc_lo
	v_ashrrev_i32_e32 v4, 31, v3
	s_add_u32 s15, s8, s6
	s_addc_u32 s28, s9, s7
	s_lshl_b32 s8, s14, 3
	v_ashrrev_i32_e32 v6, 31, v5
	v_lshlrev_b64 v[3:4], 2, v[3:4]
	s_ashr_i32 s9, s8, 31
	s_delay_alu instid0(SALU_CYCLE_1) | instskip(NEXT) | instid1(VALU_DEP_2)
	s_lshl_b64 s[8:9], s[8:9], 2
	v_lshlrev_b64 v[5:6], 2, v[5:6]
	s_add_u32 s8, s4, s8
	s_delay_alu instid0(VALU_DEP_2) | instskip(SKIP_1) | instid1(VALU_DEP_3)
	v_add_co_u32 v3, vcc_lo, s4, v3
	v_add_co_ci_u32_e32 v4, vcc_lo, s17, v4, vcc_lo
	v_add_co_u32 v5, vcc_lo, s4, v5
	s_delay_alu instid0(VALU_DEP_4)
	v_add_co_ci_u32_e32 v6, vcc_lo, s17, v6, vcc_lo
	s_addc_u32 s9, s17, s9
	s_clause 0x1
	global_load_b32 v7, v[3:4], off
	global_load_b32 v8, v[5:6], off
	s_or_b32 s12, s16, 32
	s_delay_alu instid0(SALU_CYCLE_1) | instskip(SKIP_2) | instid1(SALU_CYCLE_1)
	s_ashr_i32 s13, s12, 5
	s_cmp_lt_i32 s12, s18
	s_cselect_b32 s12, s13, s3
	s_ashr_i32 s13, s12, 31
	s_delay_alu instid0(SALU_CYCLE_1) | instskip(NEXT) | instid1(SALU_CYCLE_1)
	s_lshl_b64 s[12:13], s[12:13], 2
	s_add_u32 s12, s4, s12
	s_addc_u32 s13, s17, s13
	s_or_b32 s20, s16, 64
	s_delay_alu instid0(SALU_CYCLE_1) | instskip(SKIP_2) | instid1(SALU_CYCLE_1)
	s_ashr_i32 s21, s20, 5
	s_cmp_lt_i32 s20, s18
	s_cselect_b32 s20, s21, s3
	s_ashr_i32 s21, s20, 31
	s_delay_alu instid0(SALU_CYCLE_1) | instskip(NEXT) | instid1(SALU_CYCLE_1)
	s_lshl_b64 s[20:21], s[20:21], 2
	s_add_u32 s20, s4, s20
	s_addc_u32 s21, s17, s21
	;; [unrolled: 10-line block ×5, first 2 shown]
	s_clause 0x5
	s_load_b32 s29, s[8:9], 0x0
	s_load_b32 s33, s[12:13], 0x0
	;; [unrolled: 1-line block ×6, first 2 shown]
	s_mov_b32 s20, 0
	s_or_b32 s8, s16, 0xc0
	s_mov_b32 s21, s20
	s_mov_b32 s22, s20
	s_mov_b32 s23, s20
	s_mov_b32 s24, s20
	s_mov_b32 s25, s20
	s_mov_b32 s26, s20
	s_mov_b32 s27, s20
	s_ashr_i32 s9, s8, 5
	v_mov_b32_e32 v117, s27
	s_cmp_lt_i32 s8, s18
	v_mov_b32_e32 v116, s26
	s_cselect_b32 s8, s9, s3
	v_mov_b32_e32 v115, s25
	s_ashr_i32 s9, s8, 31
	v_dual_mov_b32 v114, s24 :: v_dual_mov_b32 v113, s23
	v_dual_mov_b32 v112, s22 :: v_dual_mov_b32 v111, s21
	s_lshl_b64 s[8:9], s[8:9], 2
	s_waitcnt lgkmcnt(0)
	s_mul_hi_i32 s13, s29, s5
	s_add_u32 s8, s4, s8
	s_addc_u32 s9, s17, s9
	s_mul_i32 s12, s29, s5
	v_mov_b32_e32 v110, s20
	s_mul_hi_i32 s21, s33, s5
	s_mul_i32 s20, s33, s5
	s_mul_hi_i32 s25, s34, s5
	s_mul_i32 s24, s34, s5
	;; [unrolled: 2-line block ×4, first 2 shown]
	s_waitcnt vmcnt(1)
	v_mad_i64_i32 v[3:4], null, v7, s5, 0
	s_waitcnt vmcnt(0)
	v_mad_i64_i32 v[5:6], null, v8, s5, 0
	s_delay_alu instid0(VALU_DEP_2) | instskip(NEXT) | instid1(VALU_DEP_2)
	v_lshlrev_b64 v[3:4], 1, v[3:4]
	v_lshlrev_b64 v[1:2], 1, v[5:6]
	s_delay_alu instid0(VALU_DEP_2) | instskip(NEXT) | instid1(VALU_DEP_3)
	v_add_co_u32 v3, vcc_lo, s15, v3
	v_add_co_ci_u32_e32 v4, vcc_lo, s28, v4, vcc_lo
	s_delay_alu instid0(VALU_DEP_3) | instskip(NEXT) | instid1(VALU_DEP_4)
	v_add_co_u32 v1, vcc_lo, s15, v1
	v_add_co_ci_u32_e32 v2, vcc_lo, s28, v2, vcc_lo
	s_delay_alu instid0(VALU_DEP_4) | instskip(NEXT) | instid1(VALU_DEP_4)
	v_add_co_u32 v41, vcc_lo, v3, v81
	v_add_co_ci_u32_e32 v42, vcc_lo, v4, v82, vcc_lo
	s_delay_alu instid0(VALU_DEP_4) | instskip(NEXT) | instid1(VALU_DEP_4)
	v_add_co_u32 v43, vcc_lo, v1, v81
	v_add_co_ci_u32_e32 v44, vcc_lo, v2, v82, vcc_lo
	s_clause 0xf
	global_load_b128 v[1:4], v[41:42], off
	global_load_b128 v[5:8], v[41:42], off offset:512
	global_load_b128 v[9:12], v[43:44], off offset:256
	;; [unrolled: 1-line block ×15, first 2 shown]
	v_and_b32_e32 v41, 7, v0
	s_or_b32 s15, s16, 0xe0
	s_delay_alu instid0(SALU_CYCLE_1) | instskip(SKIP_1) | instid1(VALU_DEP_1)
	s_ashr_i32 s22, s15, 5
	s_cmp_lt_i32 s15, s18
	v_lshlrev_b32_e32 v57, 6, v41
	ds_load_b128 v[41:44], v57
	ds_load_b128 v[45:48], v57 offset:1024
	ds_load_b128 v[49:52], v57 offset:2048
	;; [unrolled: 1-line block ×7, first 2 shown]
	s_cselect_b32 s22, s22, s3
	s_delay_alu instid0(SALU_CYCLE_1) | instskip(NEXT) | instid1(SALU_CYCLE_1)
	s_ashr_i32 s23, s22, 31
	s_lshl_b64 s[22:23], s[22:23], 2
	s_delay_alu instid0(SALU_CYCLE_1) | instskip(SKIP_2) | instid1(SALU_CYCLE_1)
	s_add_u32 s22, s4, s22
	s_addc_u32 s23, s17, s23
	s_add_i32 s15, s16, 0x100
	s_ashr_i32 s28, s15, 5
	s_cmp_lt_i32 s15, s18
	s_load_b32 s15, s[8:9], 0x0
	s_cselect_b32 s28, s28, s3
	s_mul_hi_i32 s9, s36, s5
	s_ashr_i32 s29, s28, 31
	s_mul_i32 s8, s36, s5
	s_lshl_b64 s[28:29], s[28:29], 2
	s_delay_alu instid0(SALU_CYCLE_1)
	s_add_u32 s28, s4, s28
	s_addc_u32 s29, s17, s29
	s_add_u32 s3, s10, s6
	s_clause 0x1
	s_load_b32 s4, s[22:23], 0x0
	s_load_b32 s17, s[28:29], 0x0
	s_addc_u32 s28, s11, s7
	s_lshl_b64 s[6:7], s[12:13], 1
	s_lshl_b64 s[10:11], s[20:21], 1
	;; [unrolled: 1-line block ×6, first 2 shown]
	s_waitcnt lgkmcnt(0)
	s_mul_hi_i32 s25, s15, s5
	s_mul_i32 s24, s15, s5
	s_waitcnt vmcnt(14)
	v_wmma_f32_16x16x16_bf16 v[134:141], v[1:8], v[41:48], v[110:117]
	s_waitcnt vmcnt(12)
	v_wmma_f32_16x16x16_bf16 v[110:117], v[9:16], v[41:48], v[110:117]
	s_waitcnt vmcnt(10)
	s_delay_alu instid0(VALU_DEP_2) | instskip(SKIP_1) | instid1(VALU_DEP_2)
	v_wmma_f32_16x16x16_bf16 v[134:141], v[17:24], v[49:56], v[134:141]
	s_waitcnt vmcnt(8)
	v_wmma_f32_16x16x16_bf16 v[110:117], v[25:32], v[49:56], v[110:117]
	s_waitcnt vmcnt(6)
	s_delay_alu instid0(VALU_DEP_2) | instskip(SKIP_1) | instid1(VALU_DEP_2)
	v_wmma_f32_16x16x16_bf16 v[134:141], v[33:40], v[118:125], v[134:141]
	s_waitcnt vmcnt(4)
	v_wmma_f32_16x16x16_bf16 v[110:117], v[86:93], v[118:125], v[110:117]
	s_waitcnt vmcnt(2)
	s_delay_alu instid0(VALU_DEP_2) | instskip(SKIP_3) | instid1(VALU_DEP_3)
	v_wmma_f32_16x16x16_bf16 v[134:141], v[94:101], v[126:133], v[134:141]
	v_lshlrev_b32_e32 v85, 6, v74
	s_waitcnt vmcnt(0)
	v_wmma_f32_16x16x16_bf16 v[110:117], v[102:109], v[126:133], v[110:117]
	v_mul_f32_e32 v100, s19, v141
	s_delay_alu instid0(VALU_DEP_3) | instskip(SKIP_2) | instid1(VALU_DEP_3)
	v_lshl_or_b32 v58, v73, 10, v85
	v_mul_f32_e32 v97, s19, v134
	v_mul_f32_e32 v99, s19, v135
	v_add_co_u32 v76, s3, s3, v58
	s_delay_alu instid0(VALU_DEP_1) | instskip(NEXT) | instid1(VALU_DEP_2)
	v_add_co_ci_u32_e64 v77, null, s28, 0, s3
	v_add_co_u32 v57, vcc_lo, v76, s6
	s_delay_alu instid0(VALU_DEP_2)
	v_add_co_ci_u32_e32 v58, vcc_lo, s7, v77, vcc_lo
	v_add_co_u32 v1, vcc_lo, v76, s10
	v_add_co_ci_u32_e32 v2, vcc_lo, s11, v77, vcc_lo
	v_add_co_u32 v3, vcc_lo, v76, s12
	;; [unrolled: 2-line block ×4, first 2 shown]
	v_add_co_ci_u32_e32 v8, vcc_lo, s9, v77, vcc_lo
	s_clause 0x9
	global_load_b128 v[65:68], v[57:58], off
	global_load_b128 v[69:72], v[57:58], off offset:16
	global_load_b128 v[57:60], v[1:2], off
	global_load_b128 v[61:64], v[1:2], off offset:16
	;; [unrolled: 2-line block ×5, first 2 shown]
	v_add_co_u32 v5, vcc_lo, v76, s22
	s_lshl_b64 s[6:7], s[24:25], 1
	v_add_co_ci_u32_e32 v6, vcc_lo, s23, v77, vcc_lo
	s_mul_hi_i32 s9, s4, s5
	s_mul_i32 s8, s4, s5
	v_add_co_u32 v17, vcc_lo, v76, s6
	v_add_co_ci_u32_e32 v18, vcc_lo, s7, v77, vcc_lo
	s_lshl_b64 s[6:7], s[8:9], 1
	s_mul_hi_i32 s9, s17, s5
	s_mul_i32 s8, s17, s5
	v_add_co_u32 v19, vcc_lo, v76, s6
	s_lshl_b64 s[4:5], s[8:9], 1
	v_add_co_ci_u32_e32 v20, vcc_lo, s7, v77, vcc_lo
	v_add_co_u32 v21, vcc_lo, v76, s4
	v_add_co_ci_u32_e32 v22, vcc_lo, s5, v77, vcc_lo
	s_clause 0x7
	global_load_b128 v[1:4], v[5:6], off
	global_load_b128 v[5:8], v[5:6], off offset:16
	global_load_b128 v[33:36], v[17:18], off
	global_load_b128 v[37:40], v[17:18], off offset:16
	;; [unrolled: 2-line block ×4, first 2 shown]
	v_and_b32_e32 v76, 0xe0, v0
	v_mbcnt_lo_u32_b32 v77, -1, 0
	s_waitcnt vmcnt(0)
	s_barrier
	buffer_gl0_inv
	v_add_nc_u32_e32 v76, s16, v76
	v_xor_b32_e32 v78, 16, v77
	s_delay_alu instid0(VALU_DEP_2) | instskip(NEXT) | instid1(VALU_DEP_2)
	v_or_b32_e32 v76, v76, v83
	v_cmp_gt_i32_e32 vcc_lo, 32, v78
	s_delay_alu instid0(VALU_DEP_2)
	v_or_b32_e32 v79, 4, v76
	v_cndmask_b32_e32 v77, v77, v78, vcc_lo
	v_or_b32_e32 v78, 2, v76
	v_or_b32_e32 v80, 6, v76
	;; [unrolled: 1-line block ×3, first 2 shown]
	v_cmp_gt_i32_e32 vcc_lo, s18, v76
	v_or_b32_e32 v87, 10, v76
	v_cmp_gt_i32_e64 s3, s18, v78
	v_or_b32_e32 v88, 12, v76
	v_or_b32_e32 v89, 14, v76
	;; [unrolled: 1-line block ×10, first 2 shown]
	v_cndmask_b32_e64 v78, 0xff7fffff, v99, s3
	v_mul_f32_e32 v99, s19, v137
	v_cmp_gt_i32_e64 s4, s18, v80
	v_mul_f32_e32 v80, s19, v136
	v_cmp_gt_i32_e64 s5, s18, v79
	v_cmp_gt_i32_e64 s6, s18, v86
	v_mul_f32_e32 v86, s19, v116
	v_cndmask_b32_e32 v76, 0xff7fffff, v97, vcc_lo
	v_mul_f32_e32 v79, s19, v139
	v_cndmask_b32_e64 v80, 0xff7fffff, v80, s5
	v_cndmask_b32_e64 v99, 0xff7fffff, v99, s4
	v_cmp_gt_i32_e64 s7, s18, v87
	v_max3_f32 v76, v76, 0xff7fffff, v78
	v_dual_mul_f32 v78, s19, v138 :: v_dual_mul_f32 v97, s19, v140
	v_cmp_gt_i32_e64 s8, s18, v89
	s_delay_alu instid0(VALU_DEP_4) | instskip(NEXT) | instid1(VALU_DEP_4)
	v_cndmask_b32_e64 v79, 0xff7fffff, v79, s7
	v_max3_f32 v76, v76, v80, v99
	s_delay_alu instid0(VALU_DEP_4) | instskip(SKIP_3) | instid1(VALU_DEP_4)
	v_cndmask_b32_e64 v78, 0xff7fffff, v78, s6
	v_cmp_gt_i32_e64 s9, s18, v88
	v_dual_mul_f32 v88, s19, v111 :: v_dual_mul_f32 v89, s19, v110
	v_cndmask_b32_e64 v100, 0xff7fffff, v100, s8
	v_max3_f32 v76, v76, v78, v79
	s_delay_alu instid0(VALU_DEP_4) | instskip(SKIP_3) | instid1(VALU_DEP_4)
	v_cndmask_b32_e64 v97, 0xff7fffff, v97, s9
	v_cmp_gt_i32_e64 s10, s18, v90
	v_cmp_gt_i32_e64 s11, s18, v91
	v_dual_mul_f32 v78, s19, v113 :: v_dual_mul_f32 v79, s19, v112
	v_max3_f32 v76, v76, v97, v100
	s_delay_alu instid0(VALU_DEP_4) | instskip(NEXT) | instid1(VALU_DEP_4)
	v_cndmask_b32_e64 v89, 0xff7fffff, v89, s10
	v_cndmask_b32_e64 v88, 0xff7fffff, v88, s11
	v_cmp_gt_i32_e64 s12, s18, v92
	v_cmp_gt_i32_e64 s13, s18, v93
	v_mul_f32_e32 v87, s19, v115
	v_mul_f32_e32 v99, s19, v114
	v_max3_f32 v76, v76, v89, v88
	v_cndmask_b32_e64 v79, 0xff7fffff, v79, s12
	v_cndmask_b32_e64 v78, 0xff7fffff, v78, s13
	v_cmp_gt_i32_e64 s15, s18, v94
	v_cmp_gt_i32_e64 s16, s18, v95
	v_mul_f32_e32 v80, s19, v117
	v_cmp_gt_i32_e64 s17, s18, v96
	v_max3_f32 v76, v76, v79, v78
	v_cndmask_b32_e64 v88, 0xff7fffff, v99, s15
	v_cndmask_b32_e64 v87, 0xff7fffff, v87, s16
	v_cmp_gt_i32_e64 s18, s18, v98
	v_cndmask_b32_e64 v78, 0xff7fffff, v86, s17
	v_lshlrev_b32_e32 v99, 2, v77
	s_delay_alu instid0(VALU_DEP_4) | instskip(NEXT) | instid1(VALU_DEP_4)
	v_max3_f32 v76, v76, v88, v87
	v_cndmask_b32_e64 v79, 0xff7fffff, v80, s18
	s_delay_alu instid0(VALU_DEP_1) | instskip(SKIP_3) | instid1(VALU_DEP_1)
	v_max3_f32 v76, v76, v78, v79
	ds_bpermute_b32 v77, v99, v76
	s_waitcnt lgkmcnt(0)
	v_max_f32_e32 v77, v77, v77
	v_max_f32_e32 v89, v76, v77
	s_delay_alu instid0(VALU_DEP_1)
	v_fma_f32 v78, s19, v136, -v89
	v_fma_f32 v76, s19, v134, -v89
	;; [unrolled: 1-line block ×5, first 2 shown]
	v_mul_f32_e32 v78, 0x3fb8aa3b, v78
	v_mul_f32_e32 v76, 0x3fb8aa3b, v76
	s_delay_alu instid0(VALU_DEP_4) | instskip(SKIP_1) | instid1(VALU_DEP_4)
	v_dual_mul_f32 v86, 0x3fb8aa3b, v86 :: v_dual_mul_f32 v77, 0x3fb8aa3b, v77
	v_fma_f32 v80, s19, v138, -v89
	v_exp_f32_e32 v78, v78
	s_delay_alu instid0(VALU_DEP_3) | instskip(NEXT) | instid1(VALU_DEP_2)
	v_exp_f32_e32 v76, v76
	v_exp_f32_e32 v86, v86
	;; [unrolled: 1-line block ×3, first 2 shown]
	v_mul_f32_e32 v80, 0x3fb8aa3b, v80
	s_delay_alu instid0(VALU_DEP_1) | instskip(SKIP_2) | instid1(TRANS32_DEP_3)
	v_exp_f32_e32 v80, v80
	v_cndmask_b32_e64 v92, 0, v78, s5
	v_fma_f32 v78, s19, v141, -v89
	v_cndmask_b32_e64 v93, 0, v86, s9
	v_mul_f32_e32 v79, 0x3fb8aa3b, v79
	s_delay_alu instid0(TRANS32_DEP_2) | instskip(SKIP_2) | instid1(VALU_DEP_3)
	v_cndmask_b32_e64 v90, 0, v77, s3
	s_mov_b32 s3, exec_lo
	v_mul_f32_e32 v78, 0x3fb8aa3b, v78
	v_exp_f32_e32 v79, v79
	s_delay_alu instid0(TRANS32_DEP_2) | instskip(SKIP_1) | instid1(VALU_DEP_3)
	v_cndmask_b32_e64 v95, 0, v80, s6
	v_fma_f32 v80, s19, v111, -v89
	v_exp_f32_e32 v78, v78
	s_delay_alu instid0(VALU_DEP_1)
	v_mul_f32_e32 v80, 0x3fb8aa3b, v80
	s_waitcnt_depctr 0xfff
	v_cndmask_b32_e64 v94, 0, v79, s4
	v_fma_f32 v79, s19, v110, -v89
	v_exp_f32_e32 v80, v80
	v_cndmask_b32_e64 v97, 0, v78, s8
	v_cndmask_b32_e32 v91, 0, v76, vcc_lo
	v_fma_f32 v76, s19, v139, -v89
	s_delay_alu instid0(VALU_DEP_1) | instskip(NEXT) | instid1(VALU_DEP_1)
	v_dual_add_f32 v77, 0, v91 :: v_dual_mul_f32 v76, 0x3fb8aa3b, v76
	v_add_f32_e32 v77, v77, v90
	s_delay_alu instid0(VALU_DEP_2) | instskip(NEXT) | instid1(VALU_DEP_1)
	v_exp_f32_e32 v76, v76
	v_add_f32_e32 v77, v77, v92
	s_delay_alu instid0(VALU_DEP_1) | instskip(SKIP_4) | instid1(VALU_DEP_1)
	v_add_f32_e32 v77, v77, v94
	s_waitcnt_depctr 0xfff
	v_cndmask_b32_e64 v96, 0, v76, s7
	v_add_f32_e32 v76, v77, v95
	v_fma_f32 v77, s19, v112, -v89
	v_dual_add_f32 v76, v76, v96 :: v_dual_mul_f32 v77, 0x3fb8aa3b, v77
	s_delay_alu instid0(VALU_DEP_1) | instskip(NEXT) | instid1(VALU_DEP_2)
	v_add_f32_e32 v78, v76, v93
	v_exp_f32_e32 v88, v77
	v_cndmask_b32_e64 v77, 0, v80, s11
	s_delay_alu instid0(VALU_DEP_2) | instskip(NEXT) | instid1(VALU_DEP_1)
	v_dual_mul_f32 v79, 0x3fb8aa3b, v79 :: v_dual_add_f32 v78, v78, v97
	v_exp_f32_e32 v79, v79
	s_waitcnt_depctr 0xfff
	v_cndmask_b32_e64 v76, 0, v79, s10
	s_delay_alu instid0(VALU_DEP_1)
	v_add_f32_e32 v80, v78, v76
	v_fma_f32 v86, s19, v113, -v89
	v_fma_f32 v87, s19, v114, -v89
	;; [unrolled: 1-line block ×4, first 2 shown]
	v_add_f32_e32 v80, v80, v77
	s_delay_alu instid0(VALU_DEP_4) | instskip(NEXT) | instid1(VALU_DEP_4)
	v_dual_mul_f32 v86, 0x3fb8aa3b, v86 :: v_dual_mul_f32 v87, 0x3fb8aa3b, v87
	v_mul_f32_e32 v79, 0x3fb8aa3b, v79
	v_cndmask_b32_e64 v78, 0, v88, s12
	v_mul_f32_e32 v88, 0x3fb8aa3b, v98
	s_delay_alu instid0(VALU_DEP_4) | instskip(SKIP_4) | instid1(VALU_DEP_1)
	v_exp_f32_e32 v86, v86
	v_exp_f32_e32 v87, v87
	;; [unrolled: 1-line block ×3, first 2 shown]
	v_fma_f32 v100, s19, v117, -v89
	v_exp_f32_e32 v88, v88
	v_mul_f32_e32 v100, 0x3fb8aa3b, v100
	v_cndmask_b32_e64 v79, 0, v86, s13
	v_add_f32_e32 v86, v80, v78
	s_delay_alu instid0(TRANS32_DEP_3) | instskip(NEXT) | instid1(VALU_DEP_4)
	v_cndmask_b32_e64 v80, 0, v87, s15
	v_exp_f32_e32 v100, v100
	s_delay_alu instid0(VALU_DEP_2) | instskip(NEXT) | instid1(TRANS32_DEP_3)
	v_add_f32_e32 v87, v86, v79
	v_cndmask_b32_e64 v86, 0, v98, s16
	s_delay_alu instid0(VALU_DEP_2) | instskip(NEXT) | instid1(TRANS32_DEP_2)
	v_add_f32_e32 v98, v87, v80
	v_cndmask_b32_e64 v87, 0, v88, s17
	s_delay_alu instid0(VALU_DEP_2) | instskip(NEXT) | instid1(VALU_DEP_1)
	v_add_f32_e32 v88, v98, v86
	v_add_f32_e32 v98, v88, v87
	s_delay_alu instid0(TRANS32_DEP_1) | instskip(NEXT) | instid1(VALU_DEP_1)
	v_cndmask_b32_e64 v88, 0, v100, s18
	v_add_f32_e32 v98, v98, v88
	ds_bpermute_b32 v99, v99, v98
	v_cmpx_gt_u32_e32 16, v75
	s_cbranch_execz .LBB565_14
; %bb.13:
	v_mul_u32_u24_e32 v75, 0x44, v73
	s_waitcnt lgkmcnt(0)
	v_add_f32_e32 v98, v98, v99
	s_delay_alu instid0(VALU_DEP_2) | instskip(NEXT) | instid1(VALU_DEP_1)
	v_lshl_add_u32 v75, v74, 2, v75
	v_add_nc_u32_e32 v75, 0x4000, v75
	ds_store_2addr_b32 v75, v89, v98 offset1:136
.LBB565_14:
	s_or_b32 exec_lo, exec_lo, s3
	v_lshlrev_b32_e32 v74, 2, v74
	s_waitcnt lgkmcnt(0)
	s_barrier
	buffer_gl0_inv
	v_cmp_eq_u32_e64 s3, 1, v73
	v_add_nc_u32_e32 v89, 0x4000, v74
	ds_load_2addr_b32 v[98:99], v89 offset1:17
	ds_load_2addr_b32 v[100:101], v89 offset0:34 offset1:51
	ds_load_2addr_b32 v[102:103], v89 offset0:68 offset1:85
	;; [unrolled: 1-line block ×4, first 2 shown]
	s_waitcnt lgkmcnt(4)
	v_max3_f32 v74, v98, 0xff7fffff, v99
	s_waitcnt lgkmcnt(3)
	s_delay_alu instid0(VALU_DEP_1) | instskip(SKIP_1) | instid1(VALU_DEP_1)
	v_max3_f32 v74, v74, v100, v101
	s_waitcnt lgkmcnt(2)
	v_max3_f32 v74, v74, v102, v103
	s_waitcnt lgkmcnt(1)
	s_delay_alu instid0(VALU_DEP_1) | instskip(NEXT) | instid1(VALU_DEP_1)
	v_max3_f32 v74, v74, v104, v105
	v_sub_f32_e32 v108, v99, v74
	v_sub_f32_e32 v75, v98, v74
	ds_load_2addr_b32 v[98:99], v89 offset0:170 offset1:187
	v_sub_f32_e32 v100, v100, v74
	v_dual_mul_f32 v108, 0x3fb8aa3b, v108 :: v_dual_mul_f32 v75, 0x3fb8aa3b, v75
	s_delay_alu instid0(VALU_DEP_2) | instskip(NEXT) | instid1(VALU_DEP_2)
	v_mul_f32_e32 v110, 0x3fb8aa3b, v100
	v_exp_f32_e32 v108, v108
	s_delay_alu instid0(VALU_DEP_2)
	v_exp_f32_e32 v109, v75
	v_sub_f32_e32 v75, v101, v74
	ds_load_2addr_b32 v[100:101], v89 offset0:204 offset1:221
	v_exp_f32_e32 v110, v110
	v_mul_f32_e32 v111, 0x3fb8aa3b, v75
	s_waitcnt lgkmcnt(2)
	v_fma_f32 v75, v109, v106, 0
	v_sub_f32_e32 v102, v102, v74
	s_delay_alu instid0(VALU_DEP_3) | instskip(NEXT) | instid1(VALU_DEP_2)
	v_exp_f32_e32 v111, v111
	v_dual_sub_f32 v106, v103, v74 :: v_dual_fmac_f32 v75, v108, v107
	s_waitcnt lgkmcnt(1)
	s_waitcnt_depctr 0xfff
	v_fmac_f32_e32 v75, v110, v98
	v_mul_f32_e32 v112, 0x3fb8aa3b, v102
	ds_load_2addr_b32 v[102:103], v89 offset0:238 offset1:255
	v_sub_f32_e32 v89, v104, v74
	v_dual_sub_f32 v98, v105, v74 :: v_dual_fmac_f32 v75, v111, v99
	v_mul_f32_e32 v104, 0x3fb8aa3b, v106
	v_exp_f32_e32 v106, v112
	s_delay_alu instid0(VALU_DEP_2)
	v_dual_mul_f32 v89, 0x3fb8aa3b, v89 :: v_dual_mul_f32 v98, 0x3fb8aa3b, v98
	s_waitcnt lgkmcnt(0)
	s_barrier
	buffer_gl0_inv
	v_exp_f32_e32 v89, v89
	v_exp_f32_e32 v98, v98
	v_fmac_f32_e32 v75, v106, v100
	v_exp_f32_e32 v104, v104
	s_waitcnt_depctr 0xfff
	v_fmac_f32_e32 v75, v104, v101
	s_delay_alu instid0(VALU_DEP_1) | instskip(NEXT) | instid1(VALU_DEP_1)
	v_fmac_f32_e32 v75, v89, v102
	v_fmac_f32_e32 v75, v98, v103
	s_delay_alu instid0(VALU_DEP_1) | instskip(NEXT) | instid1(VALU_DEP_1)
	v_add_f32_e32 v99, 0x358637bd, v75
	v_div_scale_f32 v100, null, v99, v99, 1.0
	v_div_scale_f32 v103, vcc_lo, 1.0, v99, 1.0
	s_delay_alu instid0(VALU_DEP_2) | instskip(SKIP_2) | instid1(VALU_DEP_1)
	v_rcp_f32_e32 v101, v100
	s_waitcnt_depctr 0xfff
	v_fma_f32 v102, -v100, v101, 1.0
	v_fmac_f32_e32 v101, v102, v101
	v_cndmask_b32_e64 v102, v109, v108, s3
	v_cmp_eq_u32_e64 s3, 2, v73
	s_delay_alu instid0(VALU_DEP_3) | instskip(NEXT) | instid1(VALU_DEP_2)
	v_mul_f32_e32 v105, v103, v101
	v_cndmask_b32_e64 v102, v102, v110, s3
	v_cmp_eq_u32_e64 s3, 3, v73
	s_delay_alu instid0(VALU_DEP_3) | instskip(NEXT) | instid1(VALU_DEP_2)
	v_fma_f32 v107, -v100, v105, v103
	v_cndmask_b32_e64 v102, v102, v111, s3
	v_cmp_eq_u32_e64 s3, 4, v73
	s_delay_alu instid0(VALU_DEP_3) | instskip(NEXT) | instid1(VALU_DEP_2)
	v_fmac_f32_e32 v105, v107, v101
	v_cndmask_b32_e64 v102, v102, v106, s3
	s_delay_alu instid0(VALU_DEP_2) | instskip(SKIP_1) | instid1(VALU_DEP_2)
	v_fma_f32 v100, -v100, v105, v103
	v_cmp_eq_u32_e64 s3, 5, v73
	v_div_fmas_f32 v100, v100, v101, v105
	s_delay_alu instid0(VALU_DEP_2) | instskip(SKIP_2) | instid1(VALU_DEP_3)
	v_cndmask_b32_e64 v102, v102, v104, s3
	v_cmp_eq_u32_e32 vcc_lo, 6, v73
	s_mov_b32 s3, exec_lo
	v_div_fixup_f32 v99, v100, v99, 1.0
	s_delay_alu instid0(VALU_DEP_3) | instskip(SKIP_1) | instid1(VALU_DEP_2)
	v_cndmask_b32_e32 v89, v102, v89, vcc_lo
	v_cmp_eq_u32_e32 vcc_lo, 7, v73
	v_cndmask_b32_e32 v89, v89, v98, vcc_lo
	s_delay_alu instid0(VALU_DEP_1) | instskip(NEXT) | instid1(VALU_DEP_1)
	v_mul_f32_e32 v89, v89, v99
	v_mul_f32_e32 v99, v89, v91
	;; [unrolled: 1-line block ×6, first 2 shown]
	v_and_b32_e32 v100, 0x7f800000, v99
	v_mul_f32_e32 v98, v89, v94
	v_mul_f32_e32 v94, v89, v90
	;; [unrolled: 1-line block ×3, first 2 shown]
                                        ; implicit-def: $vgpr90
	s_delay_alu instid0(VALU_DEP_4)
	v_cmpx_ne_u32_e32 0x7f800000, v100
	s_xor_b32 s3, exec_lo, s3
; %bb.15:
	v_bfe_u32 v90, v99, 16, 1
	s_delay_alu instid0(VALU_DEP_1)
	v_add3_u32 v90, v99, v90, 0x7fff
                                        ; implicit-def: $vgpr99
; %bb.16:
	s_and_not1_saveexec_b32 s3, s3
; %bb.17:
	v_and_b32_e32 v90, 0xffff, v99
	v_or_b32_e32 v92, 0x10000, v99
	s_delay_alu instid0(VALU_DEP_2) | instskip(NEXT) | instid1(VALU_DEP_2)
	v_cmp_eq_u32_e32 vcc_lo, 0, v90
	v_cndmask_b32_e32 v90, v92, v99, vcc_lo
; %bb.18:
	s_or_b32 exec_lo, exec_lo, s3
	v_and_b32_e32 v92, 0x7f800000, v94
	s_delay_alu instid0(VALU_DEP_1) | instskip(SKIP_1) | instid1(SALU_CYCLE_1)
	v_cmp_ne_u32_e32 vcc_lo, 0x7f800000, v92
                                        ; implicit-def: $vgpr92
	s_and_saveexec_b32 s3, vcc_lo
	s_xor_b32 s3, exec_lo, s3
; %bb.19:
	v_bfe_u32 v92, v94, 16, 1
	s_delay_alu instid0(VALU_DEP_1)
	v_add3_u32 v92, v94, v92, 0x7fff
                                        ; implicit-def: $vgpr94
; %bb.20:
	s_and_not1_saveexec_b32 s3, s3
; %bb.21:
	v_and_b32_e32 v92, 0xffff, v94
	v_or_b32_e32 v99, 0x10000, v94
	s_delay_alu instid0(VALU_DEP_2) | instskip(NEXT) | instid1(VALU_DEP_2)
	v_cmp_eq_u32_e32 vcc_lo, 0, v92
	v_cndmask_b32_e32 v92, v99, v94, vcc_lo
; %bb.22:
	s_or_b32 exec_lo, exec_lo, s3
	v_and_b32_e32 v94, 0x7f800000, v95
	s_delay_alu instid0(VALU_DEP_1) | instskip(SKIP_1) | instid1(SALU_CYCLE_1)
	v_cmp_ne_u32_e32 vcc_lo, 0x7f800000, v94
                                        ; implicit-def: $vgpr94
	s_and_saveexec_b32 s3, vcc_lo
	s_xor_b32 s3, exec_lo, s3
; %bb.23:
	v_bfe_u32 v94, v95, 16, 1
	s_delay_alu instid0(VALU_DEP_1)
	v_add3_u32 v94, v95, v94, 0x7fff
                                        ; implicit-def: $vgpr95
; %bb.24:
	s_and_not1_saveexec_b32 s3, s3
; %bb.25:
	v_and_b32_e32 v94, 0xffff, v95
	v_or_b32_e32 v99, 0x10000, v95
	s_delay_alu instid0(VALU_DEP_2) | instskip(NEXT) | instid1(VALU_DEP_2)
	v_cmp_eq_u32_e32 vcc_lo, 0, v94
	v_cndmask_b32_e32 v94, v99, v95, vcc_lo
; %bb.26:
	s_or_b32 exec_lo, exec_lo, s3
	v_and_b32_e32 v95, 0x7f800000, v98
	s_delay_alu instid0(VALU_DEP_1) | instskip(SKIP_1) | instid1(SALU_CYCLE_1)
	v_cmp_ne_u32_e32 vcc_lo, 0x7f800000, v95
                                        ; implicit-def: $vgpr95
	s_and_saveexec_b32 s3, vcc_lo
	s_xor_b32 s3, exec_lo, s3
; %bb.27:
	v_bfe_u32 v95, v98, 16, 1
	s_delay_alu instid0(VALU_DEP_1)
	v_add3_u32 v95, v98, v95, 0x7fff
                                        ; implicit-def: $vgpr98
; %bb.28:
	s_and_not1_saveexec_b32 s3, s3
; %bb.29:
	v_and_b32_e32 v95, 0xffff, v98
	v_or_b32_e32 v99, 0x10000, v98
	s_delay_alu instid0(VALU_DEP_2) | instskip(NEXT) | instid1(VALU_DEP_2)
	v_cmp_eq_u32_e32 vcc_lo, 0, v95
	v_cndmask_b32_e32 v95, v99, v98, vcc_lo
; %bb.30:
	s_or_b32 exec_lo, exec_lo, s3
	v_and_b32_e32 v98, 0x7f800000, v97
	s_delay_alu instid0(VALU_DEP_1) | instskip(SKIP_1) | instid1(SALU_CYCLE_1)
	v_cmp_ne_u32_e32 vcc_lo, 0x7f800000, v98
                                        ; implicit-def: $vgpr98
	s_and_saveexec_b32 s3, vcc_lo
	s_xor_b32 s3, exec_lo, s3
; %bb.31:
	v_bfe_u32 v98, v97, 16, 1
	s_delay_alu instid0(VALU_DEP_1)
	v_add3_u32 v98, v97, v98, 0x7fff
                                        ; implicit-def: $vgpr97
; %bb.32:
	s_and_not1_saveexec_b32 s3, s3
; %bb.33:
	v_and_b32_e32 v98, 0xffff, v97
	v_or_b32_e32 v99, 0x10000, v97
	s_delay_alu instid0(VALU_DEP_2) | instskip(NEXT) | instid1(VALU_DEP_2)
	v_cmp_eq_u32_e32 vcc_lo, 0, v98
	v_cndmask_b32_e32 v98, v99, v97, vcc_lo
; %bb.34:
	s_or_b32 exec_lo, exec_lo, s3
	v_and_b32_e32 v97, 0x7f800000, v96
	s_delay_alu instid0(VALU_DEP_1) | instskip(SKIP_1) | instid1(SALU_CYCLE_1)
	v_cmp_ne_u32_e32 vcc_lo, 0x7f800000, v97
                                        ; implicit-def: $vgpr97
	s_and_saveexec_b32 s3, vcc_lo
	s_xor_b32 s3, exec_lo, s3
; %bb.35:
	v_bfe_u32 v97, v96, 16, 1
	s_delay_alu instid0(VALU_DEP_1)
	v_add3_u32 v97, v96, v97, 0x7fff
                                        ; implicit-def: $vgpr96
; %bb.36:
	s_and_not1_saveexec_b32 s3, s3
; %bb.37:
	v_and_b32_e32 v97, 0xffff, v96
	v_or_b32_e32 v99, 0x10000, v96
	s_delay_alu instid0(VALU_DEP_2) | instskip(NEXT) | instid1(VALU_DEP_2)
	v_cmp_eq_u32_e32 vcc_lo, 0, v97
	v_cndmask_b32_e32 v97, v99, v96, vcc_lo
; %bb.38:
	s_or_b32 exec_lo, exec_lo, s3
	v_and_b32_e32 v96, 0x7f800000, v93
	s_delay_alu instid0(VALU_DEP_1) | instskip(SKIP_1) | instid1(SALU_CYCLE_1)
	v_cmp_ne_u32_e32 vcc_lo, 0x7f800000, v96
                                        ; implicit-def: $vgpr96
	s_and_saveexec_b32 s3, vcc_lo
	s_xor_b32 s3, exec_lo, s3
; %bb.39:
	v_bfe_u32 v96, v93, 16, 1
	s_delay_alu instid0(VALU_DEP_1)
	v_add3_u32 v96, v93, v96, 0x7fff
                                        ; implicit-def: $vgpr93
; %bb.40:
	s_and_not1_saveexec_b32 s3, s3
; %bb.41:
	v_and_b32_e32 v96, 0xffff, v93
	v_or_b32_e32 v99, 0x10000, v93
	s_delay_alu instid0(VALU_DEP_2) | instskip(NEXT) | instid1(VALU_DEP_2)
	v_cmp_eq_u32_e32 vcc_lo, 0, v96
	v_cndmask_b32_e32 v96, v99, v93, vcc_lo
; %bb.42:
	s_or_b32 exec_lo, exec_lo, s3
	v_and_b32_e32 v93, 0x7f800000, v91
	s_delay_alu instid0(VALU_DEP_1) | instskip(SKIP_1) | instid1(SALU_CYCLE_1)
	v_cmp_ne_u32_e32 vcc_lo, 0x7f800000, v93
                                        ; implicit-def: $vgpr93
	s_and_saveexec_b32 s3, vcc_lo
	s_xor_b32 s3, exec_lo, s3
; %bb.43:
	v_bfe_u32 v93, v91, 16, 1
	s_delay_alu instid0(VALU_DEP_1)
	v_add3_u32 v93, v91, v93, 0x7fff
                                        ; implicit-def: $vgpr91
; %bb.44:
	s_and_not1_saveexec_b32 s3, s3
; %bb.45:
	v_and_b32_e32 v93, 0xffff, v91
	v_or_b32_e32 v99, 0x10000, v91
	s_delay_alu instid0(VALU_DEP_2) | instskip(NEXT) | instid1(VALU_DEP_2)
	v_cmp_eq_u32_e32 vcc_lo, 0, v93
	v_cndmask_b32_e32 v93, v99, v91, vcc_lo
; %bb.46:
	s_or_b32 exec_lo, exec_lo, s3
	s_load_b64 s[34:35], s[0:1], 0x94
	v_lshlrev_b32_e32 v91, 4, v83
	s_delay_alu instid0(VALU_DEP_2)
	v_perm_b32 v99, v93, v96, 0x7060302
	v_dual_mul_f32 v88, v89, v88 :: v_dual_lshlrev_b32 v93, 11, v73
	v_perm_b32 v96, v92, v90, 0x7060302
	v_mul_f32_e32 v92, v89, v76
	v_perm_b32 v98, v97, v98, 0x7060302
	v_perm_b32 v97, v95, v94, 0x7060302
	v_or3_b32 v76, v91, v93, v85
	v_mul_f32_e32 v87, v89, v87
	v_dual_mul_f32 v86, v89, v86 :: v_dual_and_b32 v93, 0x7f800000, v92
	v_mul_f32_e32 v80, v89, v80
	v_mul_f32_e32 v90, v89, v79
	;; [unrolled: 1-line block ×4, first 2 shown]
	s_mov_b32 s3, exec_lo
	ds_store_b128 v76, v[96:99]
                                        ; implicit-def: $vgpr77
	v_cmpx_ne_u32_e32 0x7f800000, v93
	s_xor_b32 s3, exec_lo, s3
; %bb.47:
	v_bfe_u32 v77, v92, 16, 1
	s_delay_alu instid0(VALU_DEP_1)
	v_add3_u32 v77, v92, v77, 0x7fff
                                        ; implicit-def: $vgpr92
; %bb.48:
	s_and_not1_saveexec_b32 s3, s3
; %bb.49:
	v_and_b32_e32 v77, 0xffff, v92
	v_or_b32_e32 v78, 0x10000, v92
	s_delay_alu instid0(VALU_DEP_2) | instskip(NEXT) | instid1(VALU_DEP_2)
	v_cmp_eq_u32_e32 vcc_lo, 0, v77
	v_cndmask_b32_e32 v77, v78, v92, vcc_lo
; %bb.50:
	s_or_b32 exec_lo, exec_lo, s3
	v_and_b32_e32 v78, 0x7f800000, v79
	s_delay_alu instid0(VALU_DEP_1) | instskip(SKIP_1) | instid1(SALU_CYCLE_1)
	v_cmp_ne_u32_e32 vcc_lo, 0x7f800000, v78
                                        ; implicit-def: $vgpr78
	s_and_saveexec_b32 s3, vcc_lo
	s_xor_b32 s3, exec_lo, s3
; %bb.51:
	v_bfe_u32 v78, v79, 16, 1
	s_delay_alu instid0(VALU_DEP_1)
	v_add3_u32 v78, v79, v78, 0x7fff
                                        ; implicit-def: $vgpr79
; %bb.52:
	s_and_not1_saveexec_b32 s3, s3
; %bb.53:
	v_and_b32_e32 v78, 0xffff, v79
	v_or_b32_e32 v89, 0x10000, v79
	s_delay_alu instid0(VALU_DEP_2) | instskip(NEXT) | instid1(VALU_DEP_2)
	v_cmp_eq_u32_e32 vcc_lo, 0, v78
	v_cndmask_b32_e32 v78, v89, v79, vcc_lo
; %bb.54:
	s_or_b32 exec_lo, exec_lo, s3
	v_and_b32_e32 v79, 0x7f800000, v91
	s_delay_alu instid0(VALU_DEP_1) | instskip(SKIP_1) | instid1(SALU_CYCLE_1)
	v_cmp_ne_u32_e32 vcc_lo, 0x7f800000, v79
                                        ; implicit-def: $vgpr79
	s_and_saveexec_b32 s3, vcc_lo
	s_xor_b32 s3, exec_lo, s3
; %bb.55:
	v_bfe_u32 v79, v91, 16, 1
	s_delay_alu instid0(VALU_DEP_1)
	v_add3_u32 v79, v91, v79, 0x7fff
                                        ; implicit-def: $vgpr91
; %bb.56:
	s_and_not1_saveexec_b32 s3, s3
; %bb.57:
	v_and_b32_e32 v79, 0xffff, v91
	v_or_b32_e32 v89, 0x10000, v91
	s_delay_alu instid0(VALU_DEP_2) | instskip(NEXT) | instid1(VALU_DEP_2)
	v_cmp_eq_u32_e32 vcc_lo, 0, v79
	v_cndmask_b32_e32 v79, v89, v91, vcc_lo
; %bb.58:
	s_or_b32 exec_lo, exec_lo, s3
	v_and_b32_e32 v89, 0x7f800000, v90
	s_delay_alu instid0(VALU_DEP_1) | instskip(SKIP_1) | instid1(SALU_CYCLE_1)
	v_cmp_ne_u32_e32 vcc_lo, 0x7f800000, v89
                                        ; implicit-def: $vgpr89
	s_and_saveexec_b32 s3, vcc_lo
	s_xor_b32 s3, exec_lo, s3
; %bb.59:
	v_bfe_u32 v89, v90, 16, 1
	s_delay_alu instid0(VALU_DEP_1)
	v_add3_u32 v89, v90, v89, 0x7fff
                                        ; implicit-def: $vgpr90
; %bb.60:
	s_and_not1_saveexec_b32 s3, s3
; %bb.61:
	v_and_b32_e32 v89, 0xffff, v90
	v_or_b32_e32 v91, 0x10000, v90
	s_delay_alu instid0(VALU_DEP_2) | instskip(NEXT) | instid1(VALU_DEP_2)
	v_cmp_eq_u32_e32 vcc_lo, 0, v89
	v_cndmask_b32_e32 v89, v91, v90, vcc_lo
; %bb.62:
	s_or_b32 exec_lo, exec_lo, s3
	v_and_b32_e32 v90, 0x7f800000, v80
	s_delay_alu instid0(VALU_DEP_1) | instskip(SKIP_1) | instid1(SALU_CYCLE_1)
	v_cmp_ne_u32_e32 vcc_lo, 0x7f800000, v90
                                        ; implicit-def: $vgpr90
	s_and_saveexec_b32 s3, vcc_lo
	s_xor_b32 s3, exec_lo, s3
; %bb.63:
	v_bfe_u32 v90, v80, 16, 1
	s_delay_alu instid0(VALU_DEP_1)
	v_add3_u32 v90, v80, v90, 0x7fff
                                        ; implicit-def: $vgpr80
; %bb.64:
	s_and_not1_saveexec_b32 s3, s3
; %bb.65:
	v_and_b32_e32 v90, 0xffff, v80
	v_or_b32_e32 v91, 0x10000, v80
	s_delay_alu instid0(VALU_DEP_2) | instskip(NEXT) | instid1(VALU_DEP_2)
	v_cmp_eq_u32_e32 vcc_lo, 0, v90
	v_cndmask_b32_e32 v90, v91, v80, vcc_lo
; %bb.66:
	s_or_b32 exec_lo, exec_lo, s3
	v_and_b32_e32 v80, 0x7f800000, v86
	s_delay_alu instid0(VALU_DEP_1) | instskip(SKIP_1) | instid1(SALU_CYCLE_1)
	v_cmp_ne_u32_e32 vcc_lo, 0x7f800000, v80
                                        ; implicit-def: $vgpr80
	s_and_saveexec_b32 s3, vcc_lo
	s_xor_b32 s3, exec_lo, s3
; %bb.67:
	v_bfe_u32 v80, v86, 16, 1
	s_delay_alu instid0(VALU_DEP_1)
	v_add3_u32 v80, v86, v80, 0x7fff
                                        ; implicit-def: $vgpr86
; %bb.68:
	s_and_not1_saveexec_b32 s3, s3
; %bb.69:
	v_and_b32_e32 v80, 0xffff, v86
	v_or_b32_e32 v91, 0x10000, v86
	s_delay_alu instid0(VALU_DEP_2) | instskip(NEXT) | instid1(VALU_DEP_2)
	v_cmp_eq_u32_e32 vcc_lo, 0, v80
	v_cndmask_b32_e32 v80, v91, v86, vcc_lo
; %bb.70:
	s_or_b32 exec_lo, exec_lo, s3
	v_and_b32_e32 v86, 0x7f800000, v87
	s_delay_alu instid0(VALU_DEP_1) | instskip(SKIP_1) | instid1(SALU_CYCLE_1)
	v_cmp_ne_u32_e32 vcc_lo, 0x7f800000, v86
                                        ; implicit-def: $vgpr86
	s_and_saveexec_b32 s3, vcc_lo
	s_xor_b32 s3, exec_lo, s3
; %bb.71:
	v_bfe_u32 v86, v87, 16, 1
	s_delay_alu instid0(VALU_DEP_1)
	v_add3_u32 v86, v87, v86, 0x7fff
                                        ; implicit-def: $vgpr87
; %bb.72:
	s_and_not1_saveexec_b32 s3, s3
; %bb.73:
	v_and_b32_e32 v86, 0xffff, v87
	v_or_b32_e32 v91, 0x10000, v87
	s_delay_alu instid0(VALU_DEP_2) | instskip(NEXT) | instid1(VALU_DEP_2)
	v_cmp_eq_u32_e32 vcc_lo, 0, v86
	v_cndmask_b32_e32 v86, v91, v87, vcc_lo
; %bb.74:
	s_or_b32 exec_lo, exec_lo, s3
	v_and_b32_e32 v87, 0x7f800000, v88
	s_delay_alu instid0(VALU_DEP_1) | instskip(SKIP_1) | instid1(SALU_CYCLE_1)
	v_cmp_ne_u32_e32 vcc_lo, 0x7f800000, v87
                                        ; implicit-def: $vgpr87
	s_and_saveexec_b32 s3, vcc_lo
	s_xor_b32 s3, exec_lo, s3
; %bb.75:
	v_bfe_u32 v87, v88, 16, 1
	s_delay_alu instid0(VALU_DEP_1)
	v_add3_u32 v87, v88, v87, 0x7fff
                                        ; implicit-def: $vgpr88
; %bb.76:
	s_and_not1_saveexec_b32 s3, s3
; %bb.77:
	v_and_b32_e32 v87, 0xffff, v88
	v_or_b32_e32 v91, 0x10000, v88
	s_delay_alu instid0(VALU_DEP_2) | instskip(NEXT) | instid1(VALU_DEP_2)
	v_cmp_eq_u32_e32 vcc_lo, 0, v87
	v_cndmask_b32_e32 v87, v91, v88, vcc_lo
; %bb.78:
	s_or_b32 exec_lo, exec_lo, s3
	s_delay_alu instid0(VALU_DEP_1)
	v_perm_b32 v94, v87, v86, 0x7060302
	v_perm_b32 v93, v80, v90, 0x7060302
	;; [unrolled: 1-line block ×4, first 2 shown]
	v_lshl_or_b32 v90, v73, 11, v85
	ds_store_b128 v76, v[91:94] offset:1024
	s_waitcnt lgkmcnt(0)
	s_barrier
	buffer_gl0_inv
	ds_load_b128 v[77:80], v90
	ds_load_b128 v[91:94], v90 offset:16
	s_waitcnt lgkmcnt(1)
	v_lshrrev_b32_e32 v73, 16, v77
	s_waitcnt lgkmcnt(0)
	v_lshrrev_b32_e32 v108, 16, v94
	v_lshlrev_b32_e32 v87, 2, v83
	v_lshrrev_b32_e32 v99, 16, v91
	v_lshrrev_b32_e32 v103, 16, v78
	;; [unrolled: 1-line block ×4, first 2 shown]
	v_or_b32_e32 v88, 1, v87
	v_cmp_eq_u32_e32 vcc_lo, 1, v87
	v_cmp_eq_u32_e64 s4, 2, v87
	v_cmp_eq_u32_e64 s7, 3, v87
	;; [unrolled: 1-line block ×4, first 2 shown]
	v_cndmask_b32_e32 v89, v77, v73, vcc_lo
	v_cndmask_b32_e32 v95, v91, v99, vcc_lo
	v_cmp_eq_u32_e64 s6, 2, v88
	v_cmp_eq_u32_e64 s8, 3, v88
	v_cndmask_b32_e64 v96, v77, v73, s3
	v_cndmask_b32_e64 v89, v89, v78, s4
	;; [unrolled: 1-line block ×3, first 2 shown]
	v_or_b32_e32 v86, 2, v87
	v_lshrrev_b32_e32 v107, 16, v93
	v_cndmask_b32_e64 v96, v96, v78, s6
	v_cndmask_b32_e64 v89, v89, v103, s7
	;; [unrolled: 1-line block ×4, first 2 shown]
	v_cmp_eq_u32_e64 s10, 5, v87
	v_cndmask_b32_e64 v96, v96, v103, s8
	v_cndmask_b32_e64 v89, v89, v79, s9
	;; [unrolled: 1-line block ×3, first 2 shown]
	v_cmp_eq_u32_e64 s11, 4, v88
	v_cmp_eq_u32_e64 s5, 1, v86
	v_cndmask_b32_e64 v97, v97, v92, s6
	v_cndmask_b32_e64 v89, v89, v104, s10
	v_cmp_eq_u32_e64 s12, 6, v87
	v_cndmask_b32_e64 v96, v96, v79, s11
	v_cndmask_b32_e64 v95, v95, v107, s10
	v_cmp_eq_u32_e64 s13, 5, v88
	v_lshrrev_b32_e32 v105, 16, v80
	v_cndmask_b32_e64 v98, v77, v73, s5
	v_cndmask_b32_e64 v97, v97, v106, s8
	;; [unrolled: 1-line block ×4, first 2 shown]
	v_cmp_eq_u32_e64 s15, 7, v87
	v_cndmask_b32_e64 v95, v95, v94, s12
	v_cmp_eq_u32_e64 s16, 6, v88
	v_cmp_eq_u32_e64 s17, 2, v86
	v_cndmask_b32_e64 v97, v97, v93, s11
	v_cndmask_b32_e64 v109, v89, v105, s15
	;; [unrolled: 1-line block ×6, first 2 shown]
	v_cmp_eq_u32_e64 s18, 7, v88
	v_cmp_eq_u32_e64 s19, 3, v86
	v_cmp_eq_u32_e64 s20, 4, v86
	v_cmp_eq_u32_e64 s22, 5, v86
	v_cndmask_b32_e64 v95, v95, v92, s17
	v_cndmask_b32_e64 v111, v96, v105, s18
	;; [unrolled: 1-line block ×4, first 2 shown]
	v_or_b32_e32 v89, 3, v87
	v_cndmask_b32_e64 v101, v95, v106, s19
	v_cmp_eq_u32_e64 s24, 6, v86
	v_cndmask_b32_e64 v112, v96, v94, s16
	v_cndmask_b32_e64 v100, v97, v79, s20
	v_cmp_eq_u32_e64 s21, 1, v89
	ds_load_b128 v[95:98], v90 offset:1024
	v_cmp_eq_u32_e64 s23, 2, v89
	v_cmp_eq_u32_e64 s25, 3, v89
	v_cndmask_b32_e64 v113, v100, v104, s22
	v_cndmask_b32_e64 v73, v77, v73, s21
	;; [unrolled: 1-line block ×4, first 2 shown]
	ds_load_b128 v[99:102], v90 offset:1040
	v_cmp_eq_u32_e64 s26, 4, v89
	v_cndmask_b32_e64 v73, v73, v78, s23
	v_cmp_eq_u32_e64 s27, 7, v86
	v_cndmask_b32_e64 v78, v91, v92, s23
	v_cndmask_b32_e64 v92, v113, v80, s24
	v_cmp_eq_u32_e64 s28, 5, v89
	v_cndmask_b32_e64 v73, v73, v103, s25
	v_cndmask_b32_e64 v77, v77, v107, s22
	v_cndmask_b32_e64 v78, v78, v106, s25
	v_cmp_eq_u32_e64 s29, 6, v89
	v_cndmask_b32_e64 v91, v112, v108, s18
	v_cndmask_b32_e64 v73, v73, v79, s26
	s_waitcnt lgkmcnt(1)
	v_lshrrev_b32_e32 v103, 16, v95
	v_cndmask_b32_e64 v78, v78, v93, s26
	v_cndmask_b32_e64 v79, v92, v105, s27
	;; [unrolled: 1-line block ×4, first 2 shown]
	v_cndmask_b32_e32 v92, v95, v103, vcc_lo
	v_cndmask_b32_e64 v78, v78, v107, s28
	s_waitcnt lgkmcnt(0)
	v_lshrrev_b32_e32 v93, 16, v99
	v_lshrrev_b32_e32 v104, 16, v96
	v_cndmask_b32_e64 v106, v95, v103, s3
	v_cndmask_b32_e64 v92, v92, v96, s4
	;; [unrolled: 1-line block ×3, first 2 shown]
	v_cndmask_b32_e32 v107, v99, v93, vcc_lo
	v_cndmask_b32_e64 v78, v78, v94, s29
	v_cmp_eq_u32_e32 vcc_lo, 7, v89
	v_cndmask_b32_e64 v80, v92, v104, s7
	v_cndmask_b32_e64 v92, v106, v96, s6
	;; [unrolled: 1-line block ×3, first 2 shown]
	v_lshrrev_b32_e32 v106, 16, v100
	v_cndmask_b32_e64 v77, v77, v108, s27
	v_cndmask_b32_e32 v78, v78, v108, vcc_lo
	v_lshrrev_b32_e32 v108, 16, v101
	v_cndmask_b32_e64 v80, v80, v97, s9
	v_cndmask_b32_e64 v94, v94, v106, s7
	v_lshrrev_b32_e32 v107, 16, v97
	v_cndmask_b32_e32 v73, v73, v105, vcc_lo
	v_perm_b32 v79, v77, v79, 0x5040100
	v_cndmask_b32_e64 v92, v92, v104, s8
	v_cndmask_b32_e64 v94, v94, v101, s9
	;; [unrolled: 1-line block ×3, first 2 shown]
	v_perm_b32 v80, v78, v73, 0x5040100
	v_perm_b32 v78, v91, v111, 0x5040100
	v_cndmask_b32_e64 v111, v99, v93, s5
	v_cndmask_b32_e64 v94, v94, v108, s10
	;; [unrolled: 1-line block ×3, first 2 shown]
	s_delay_alu instid0(VALU_DEP_2)
	v_cndmask_b32_e64 v77, v94, v102, s12
	v_cndmask_b32_e64 v94, v95, v103, s5
	;; [unrolled: 1-line block ×22, first 2 shown]
	v_lshrrev_b32_e32 v105, 16, v98
	v_cndmask_b32_e64 v94, v94, v107, s22
	v_cndmask_b32_e64 v95, v95, v107, s28
	v_cndmask_b32_e64 v96, v96, v108, s28
	v_cndmask_b32_e64 v97, v97, v108, s22
	v_cndmask_b32_e64 v93, v93, v108, s13
	v_cndmask_b32_e64 v73, v73, v98, s16
	v_cndmask_b32_e64 v91, v92, v105, s15
	v_lshrrev_b32_e32 v92, 16, v102
	v_cndmask_b32_e64 v94, v94, v98, s24
	v_cndmask_b32_e64 v95, v95, v98, s29
	;; [unrolled: 1-line block ×7, first 2 shown]
	v_dual_cndmask_b32 v94, v95, v105 :: v_dual_cndmask_b32 v95, v96, v92
	v_cndmask_b32_e64 v96, v97, v92, s27
	v_cndmask_b32_e64 v97, v93, v92, s18
	;; [unrolled: 1-line block ×3, first 2 shown]
	v_perm_b32 v77, v110, v109, 0x5040100
	v_perm_b32 v94, v95, v94, 0x5040100
	;; [unrolled: 1-line block ×5, first 2 shown]
	s_lshl_b32 s8, s35, 3
	s_mov_b32 s3, exec_lo
	ds_store_b128 v76, v[77:80]
	ds_store_b128 v76, v[91:94] offset:1024
	v_cmpx_gt_u32_e32 8, v0
	s_cbranch_execz .LBB565_80
; %bb.79:
	v_or_b32_e32 v73, s31, v0
	s_load_b128 s[4:7], s[0:1], 0x58
	s_delay_alu instid0(VALU_DEP_1) | instskip(NEXT) | instid1(VALU_DEP_1)
	v_mad_u64_u32 v[76:77], null, s8, s30, v[73:74]
	v_mad_u64_u32 v[77:78], null, v76, s34, s[14:15]
	s_delay_alu instid0(VALU_DEP_1) | instskip(NEXT) | instid1(VALU_DEP_1)
	v_ashrrev_i32_e32 v78, 31, v77
	v_lshlrev_b64 v[76:77], 2, v[77:78]
	s_waitcnt lgkmcnt(0)
	s_delay_alu instid0(VALU_DEP_1) | instskip(NEXT) | instid1(VALU_DEP_2)
	v_add_co_u32 v78, vcc_lo, s6, v76
	v_add_co_ci_u32_e32 v79, vcc_lo, s7, v77, vcc_lo
	v_add_co_u32 v76, vcc_lo, s4, v76
	v_add_co_ci_u32_e32 v77, vcc_lo, s5, v77, vcc_lo
	global_store_b32 v[78:79], v74, off
	global_store_b32 v[76:77], v75, off
.LBB565_80:
	s_or_b32 exec_lo, exec_lo, s3
	s_waitcnt lgkmcnt(0)
	s_waitcnt_vscnt null, 0x0
	s_barrier
	buffer_gl0_inv
	ds_load_b128 v[91:94], v85
	ds_load_b128 v[95:98], v85 offset:16
	ds_load_b128 v[103:106], v85 offset:1040
	;; [unrolled: 1-line block ×3, first 2 shown]
	v_mov_b32_e32 v73, 0
	ds_load_b128 v[111:114], v85 offset:2064
	ds_load_b128 v[107:110], v85 offset:2048
	;; [unrolled: 1-line block ×6, first 2 shown]
	v_mov_b32_e32 v74, v73
	v_mov_b32_e32 v75, v73
	;; [unrolled: 1-line block ×7, first 2 shown]
	s_waitcnt lgkmcnt(8)
	s_delay_alu instid0(VALU_DEP_1)
	v_wmma_f32_16x16x16_bf16 v[73:80], v[65:72], v[91:98], v[73:80]
	ds_load_b128 v[69:72], v85 offset:5136
	ds_load_b128 v[65:68], v85 offset:5120
	;; [unrolled: 1-line block ×4, first 2 shown]
	s_waitcnt lgkmcnt(10)
	v_wmma_f32_16x16x16_bf16 v[73:80], v[57:64], v[99:106], v[73:80]
	s_waitcnt lgkmcnt(8)
	s_delay_alu instid0(VALU_DEP_1)
	v_wmma_f32_16x16x16_bf16 v[73:80], v[57:64], v[107:114], v[73:80]
	ds_load_b128 v[61:64], v85 offset:7184
	ds_load_b128 v[57:60], v85 offset:7168
	;; [unrolled: 1-line block ×4, first 2 shown]
	s_waitcnt lgkmcnt(10)
	v_wmma_f32_16x16x16_bf16 v[73:80], v[49:56], v[115:122], v[73:80]
	s_waitcnt lgkmcnt(8)
	s_delay_alu instid0(VALU_DEP_1)
	v_wmma_f32_16x16x16_bf16 v[73:80], v[49:56], v[123:130], v[73:80]
	ds_load_b128 v[53:56], v85 offset:9232
	ds_load_b128 v[49:52], v85 offset:9216
	s_waitcnt lgkmcnt(8)
	v_wmma_f32_16x16x16_bf16 v[73:80], v[41:48], v[65:72], v[73:80]
	ds_load_b128 v[69:72], v85 offset:10256
	ds_load_b128 v[65:68], v85 offset:10240
	s_waitcnt lgkmcnt(8)
	;; [unrolled: 4-line block ×3, first 2 shown]
	v_wmma_f32_16x16x16_bf16 v[73:80], v[9:16], v[57:64], v[73:80]
	s_waitcnt lgkmcnt(6)
	s_delay_alu instid0(VALU_DEP_1)
	v_wmma_f32_16x16x16_bf16 v[73:80], v[9:16], v[99:106], v[73:80]
	ds_load_b128 v[13:16], v85 offset:12304
	ds_load_b128 v[9:12], v85 offset:12288
	s_waitcnt lgkmcnt(6)
	v_wmma_f32_16x16x16_bf16 v[73:80], v[1:8], v[49:56], v[73:80]
	ds_load_b128 v[53:56], v85 offset:13328
	ds_load_b128 v[49:52], v85 offset:13312
	s_waitcnt lgkmcnt(6)
	v_wmma_f32_16x16x16_bf16 v[73:80], v[1:8], v[65:72], v[73:80]
	ds_load_b128 v[5:8], v85 offset:14352
	ds_load_b128 v[1:4], v85 offset:14336
	s_waitcnt lgkmcnt(6)
	v_wmma_f32_16x16x16_bf16 v[73:80], v[33:40], v[41:48], v[73:80]
	ds_load_b128 v[45:48], v85 offset:15376
	ds_load_b128 v[41:44], v85 offset:15360
	s_waitcnt lgkmcnt(6)
	v_wmma_f32_16x16x16_bf16 v[73:80], v[33:40], v[9:16], v[73:80]
	s_waitcnt lgkmcnt(4)
	s_delay_alu instid0(VALU_DEP_1) | instskip(SKIP_1) | instid1(VALU_DEP_1)
	v_wmma_f32_16x16x16_bf16 v[73:80], v[25:32], v[49:56], v[73:80]
	s_waitcnt lgkmcnt(2)
	v_wmma_f32_16x16x16_bf16 v[73:80], v[25:32], v[1:8], v[73:80]
	s_waitcnt lgkmcnt(0)
	s_delay_alu instid0(VALU_DEP_1) | instskip(NEXT) | instid1(VALU_DEP_1)
	v_wmma_f32_16x16x16_bf16 v[73:80], v[17:24], v[41:48], v[73:80]
	v_and_b32_e32 v1, 0x7f800000, v73
	s_delay_alu instid0(VALU_DEP_1) | instskip(SKIP_1) | instid1(SALU_CYCLE_1)
	v_cmp_ne_u32_e32 vcc_lo, 0x7f800000, v1
                                        ; implicit-def: $vgpr1
	s_and_saveexec_b32 s3, vcc_lo
	s_xor_b32 s3, exec_lo, s3
; %bb.81:
	v_bfe_u32 v1, v73, 16, 1
	s_delay_alu instid0(VALU_DEP_1)
	v_add3_u32 v1, v73, v1, 0x7fff
; %bb.82:
	s_and_not1_saveexec_b32 s3, s3
; %bb.83:
	v_and_b32_e32 v1, 0xffff, v73
	v_or_b32_e32 v2, 0x10000, v73
	s_delay_alu instid0(VALU_DEP_2) | instskip(NEXT) | instid1(VALU_DEP_2)
	v_cmp_eq_u32_e32 vcc_lo, 0, v1
	v_cndmask_b32_e32 v1, v2, v73, vcc_lo
; %bb.84:
	s_or_b32 exec_lo, exec_lo, s3
	v_and_b32_e32 v2, 0x7f800000, v74
	s_delay_alu instid0(VALU_DEP_1) | instskip(SKIP_1) | instid1(SALU_CYCLE_1)
	v_cmp_ne_u32_e32 vcc_lo, 0x7f800000, v2
                                        ; implicit-def: $vgpr2
	s_and_saveexec_b32 s3, vcc_lo
	s_xor_b32 s3, exec_lo, s3
; %bb.85:
	v_bfe_u32 v2, v74, 16, 1
	s_delay_alu instid0(VALU_DEP_1)
	v_add3_u32 v2, v74, v2, 0x7fff
; %bb.86:
	s_and_not1_saveexec_b32 s3, s3
; %bb.87:
	v_and_b32_e32 v2, 0xffff, v74
	v_or_b32_e32 v3, 0x10000, v74
	s_delay_alu instid0(VALU_DEP_2) | instskip(NEXT) | instid1(VALU_DEP_2)
	v_cmp_eq_u32_e32 vcc_lo, 0, v2
	v_cndmask_b32_e32 v2, v3, v74, vcc_lo
; %bb.88:
	s_or_b32 exec_lo, exec_lo, s3
	v_and_b32_e32 v3, 0x7f800000, v75
	s_delay_alu instid0(VALU_DEP_1) | instskip(SKIP_1) | instid1(SALU_CYCLE_1)
	v_cmp_ne_u32_e32 vcc_lo, 0x7f800000, v3
                                        ; implicit-def: $vgpr3
	s_and_saveexec_b32 s3, vcc_lo
	s_xor_b32 s3, exec_lo, s3
; %bb.89:
	v_bfe_u32 v3, v75, 16, 1
	s_delay_alu instid0(VALU_DEP_1)
	v_add3_u32 v3, v75, v3, 0x7fff
; %bb.90:
	s_and_not1_saveexec_b32 s3, s3
; %bb.91:
	v_and_b32_e32 v3, 0xffff, v75
	v_or_b32_e32 v4, 0x10000, v75
	s_delay_alu instid0(VALU_DEP_2) | instskip(NEXT) | instid1(VALU_DEP_2)
	v_cmp_eq_u32_e32 vcc_lo, 0, v3
	v_cndmask_b32_e32 v3, v4, v75, vcc_lo
; %bb.92:
	s_or_b32 exec_lo, exec_lo, s3
	v_and_b32_e32 v4, 0x7f800000, v76
	s_delay_alu instid0(VALU_DEP_1) | instskip(SKIP_1) | instid1(SALU_CYCLE_1)
	v_cmp_ne_u32_e32 vcc_lo, 0x7f800000, v4
                                        ; implicit-def: $vgpr4
	s_and_saveexec_b32 s3, vcc_lo
	s_xor_b32 s3, exec_lo, s3
; %bb.93:
	v_bfe_u32 v4, v76, 16, 1
	s_delay_alu instid0(VALU_DEP_1)
	v_add3_u32 v4, v76, v4, 0x7fff
; %bb.94:
	s_and_not1_saveexec_b32 s3, s3
; %bb.95:
	v_and_b32_e32 v4, 0xffff, v76
	v_or_b32_e32 v5, 0x10000, v76
	s_delay_alu instid0(VALU_DEP_2) | instskip(NEXT) | instid1(VALU_DEP_2)
	v_cmp_eq_u32_e32 vcc_lo, 0, v4
	v_cndmask_b32_e32 v4, v5, v76, vcc_lo
; %bb.96:
	s_or_b32 exec_lo, exec_lo, s3
	v_and_b32_e32 v5, 0x7f800000, v77
	s_delay_alu instid0(VALU_DEP_1) | instskip(SKIP_1) | instid1(SALU_CYCLE_1)
	v_cmp_ne_u32_e32 vcc_lo, 0x7f800000, v5
                                        ; implicit-def: $vgpr5
	s_and_saveexec_b32 s3, vcc_lo
	s_xor_b32 s3, exec_lo, s3
; %bb.97:
	v_bfe_u32 v5, v77, 16, 1
	s_delay_alu instid0(VALU_DEP_1)
	v_add3_u32 v5, v77, v5, 0x7fff
; %bb.98:
	s_and_not1_saveexec_b32 s3, s3
; %bb.99:
	v_and_b32_e32 v5, 0xffff, v77
	v_or_b32_e32 v6, 0x10000, v77
	s_delay_alu instid0(VALU_DEP_2) | instskip(NEXT) | instid1(VALU_DEP_2)
	v_cmp_eq_u32_e32 vcc_lo, 0, v5
	v_cndmask_b32_e32 v5, v6, v77, vcc_lo
; %bb.100:
	s_or_b32 exec_lo, exec_lo, s3
	v_and_b32_e32 v6, 0x7f800000, v78
	s_delay_alu instid0(VALU_DEP_1) | instskip(SKIP_1) | instid1(SALU_CYCLE_1)
	v_cmp_ne_u32_e32 vcc_lo, 0x7f800000, v6
                                        ; implicit-def: $vgpr6
	s_and_saveexec_b32 s3, vcc_lo
	s_xor_b32 s3, exec_lo, s3
; %bb.101:
	v_bfe_u32 v6, v78, 16, 1
	s_delay_alu instid0(VALU_DEP_1)
	v_add3_u32 v6, v78, v6, 0x7fff
; %bb.102:
	s_and_not1_saveexec_b32 s3, s3
; %bb.103:
	v_and_b32_e32 v6, 0xffff, v78
	v_or_b32_e32 v7, 0x10000, v78
	s_delay_alu instid0(VALU_DEP_2) | instskip(NEXT) | instid1(VALU_DEP_2)
	v_cmp_eq_u32_e32 vcc_lo, 0, v6
	v_cndmask_b32_e32 v6, v7, v78, vcc_lo
; %bb.104:
	s_or_b32 exec_lo, exec_lo, s3
	v_and_b32_e32 v7, 0x7f800000, v79
	s_delay_alu instid0(VALU_DEP_1) | instskip(SKIP_1) | instid1(SALU_CYCLE_1)
	v_cmp_ne_u32_e32 vcc_lo, 0x7f800000, v7
                                        ; implicit-def: $vgpr7
	s_and_saveexec_b32 s3, vcc_lo
	s_xor_b32 s3, exec_lo, s3
; %bb.105:
	v_bfe_u32 v7, v79, 16, 1
	s_delay_alu instid0(VALU_DEP_1)
	v_add3_u32 v7, v79, v7, 0x7fff
; %bb.106:
	s_and_not1_saveexec_b32 s3, s3
; %bb.107:
	v_and_b32_e32 v7, 0xffff, v79
	v_or_b32_e32 v8, 0x10000, v79
	s_delay_alu instid0(VALU_DEP_2) | instskip(NEXT) | instid1(VALU_DEP_2)
	v_cmp_eq_u32_e32 vcc_lo, 0, v7
	v_cndmask_b32_e32 v7, v8, v79, vcc_lo
; %bb.108:
	s_or_b32 exec_lo, exec_lo, s3
	v_and_b32_e32 v8, 0x7f800000, v80
	s_delay_alu instid0(VALU_DEP_1) | instskip(SKIP_1) | instid1(SALU_CYCLE_1)
	v_cmp_ne_u32_e32 vcc_lo, 0x7f800000, v8
                                        ; implicit-def: $vgpr8
	s_and_saveexec_b32 s3, vcc_lo
	s_xor_b32 s3, exec_lo, s3
; %bb.109:
	v_bfe_u32 v8, v80, 16, 1
	s_delay_alu instid0(VALU_DEP_1)
	v_add3_u32 v8, v80, v8, 0x7fff
                                        ; implicit-def: $vgpr73_vgpr74_vgpr75_vgpr76_vgpr77_vgpr78_vgpr79_vgpr80
; %bb.110:
	s_and_not1_saveexec_b32 s3, s3
; %bb.111:
	v_and_b32_e32 v8, 0xffff, v80
	v_or_b32_e32 v9, 0x10000, v80
	s_delay_alu instid0(VALU_DEP_2) | instskip(NEXT) | instid1(VALU_DEP_2)
	v_cmp_eq_u32_e32 vcc_lo, 0, v8
	v_cndmask_b32_e32 v8, v9, v80, vcc_lo
; %bb.112:
	s_or_b32 exec_lo, exec_lo, s3
	s_delay_alu instid0(VALU_DEP_1)
	v_perm_b32 v7, v8, v7, 0x7060302
	v_perm_b32 v6, v6, v5, 0x7060302
	;; [unrolled: 1-line block ×4, first 2 shown]
	v_lshl_or_b32 v9, v83, 4, v90
	s_barrier
	buffer_gl0_inv
	v_cmp_eq_u32_e32 vcc_lo, 1, v87
	ds_store_b128 v9, v[4:7]
	s_waitcnt lgkmcnt(0)
	s_barrier
	buffer_gl0_inv
	ds_load_b128 v[1:4], v90
	ds_load_b128 v[5:8], v90 offset:16
	v_cmp_eq_u32_e64 s4, 2, v87
	v_cmp_eq_u32_e64 s3, 1, v88
	;; [unrolled: 1-line block ×5, first 2 shown]
	s_waitcnt lgkmcnt(1)
	v_lshrrev_b32_e32 v10, 16, v1
	s_waitcnt lgkmcnt(0)
	v_lshrrev_b32_e32 v14, 16, v5
	v_lshrrev_b32_e32 v15, 16, v6
	;; [unrolled: 1-line block ×4, first 2 shown]
	v_cndmask_b32_e64 v20, v1, v10, s3
	v_cndmask_b32_e32 v19, v5, v14, vcc_lo
	v_cndmask_b32_e64 v21, v5, v14, s3
	v_lshrrev_b32_e32 v16, 16, v7
	v_cmp_eq_u32_e64 s3, 1, v86
	v_lshrrev_b32_e32 v13, 16, v4
	v_cndmask_b32_e64 v19, v19, v6, s4
	v_lshrrev_b32_e32 v17, 16, v8
	s_delay_alu instid0(VALU_DEP_4) | instskip(SKIP_1) | instid1(VALU_DEP_4)
	v_cndmask_b32_e64 v22, v1, v10, s3
	v_cndmask_b32_e64 v23, v5, v14, s3
	;; [unrolled: 1-line block ×3, first 2 shown]
	v_cndmask_b32_e32 v18, v1, v10, vcc_lo
	v_cmp_eq_u32_e32 vcc_lo, 2, v88
	v_cmp_eq_u32_e64 s3, 2, v89
	v_cndmask_b32_e64 v22, v22, v2, s7
	v_cndmask_b32_e32 v20, v20, v2, vcc_lo
	v_cndmask_b32_e32 v21, v21, v6, vcc_lo
	v_cmp_eq_u32_e32 vcc_lo, 4, v87
	v_cndmask_b32_e32 v19, v19, v7, vcc_lo
	v_cndmask_b32_e64 v18, v18, v2, s4
	v_cmp_eq_u32_e64 s4, 3, v88
	s_delay_alu instid0(VALU_DEP_2) | instskip(NEXT) | instid1(VALU_DEP_2)
	v_cndmask_b32_e64 v18, v18, v11, s5
	v_cndmask_b32_e64 v21, v21, v15, s4
	v_cmp_eq_u32_e64 s5, 5, v87
	s_delay_alu instid0(VALU_DEP_3) | instskip(SKIP_1) | instid1(VALU_DEP_3)
	v_cndmask_b32_e32 v18, v18, v3, vcc_lo
	v_cmp_eq_u32_e32 vcc_lo, 4, v88
	v_cndmask_b32_e64 v19, v19, v16, s5
	s_delay_alu instid0(VALU_DEP_3) | instskip(SKIP_4) | instid1(VALU_DEP_3)
	v_cndmask_b32_e64 v18, v18, v12, s5
	v_cndmask_b32_e32 v21, v21, v7, vcc_lo
	v_cndmask_b32_e64 v20, v20, v11, s4
	v_cmp_eq_u32_e64 s4, 5, v88
	v_cmp_eq_u32_e64 s5, 6, v87
	v_cndmask_b32_e32 v20, v20, v3, vcc_lo
	s_delay_alu instid0(VALU_DEP_3) | instskip(SKIP_1) | instid1(VALU_DEP_4)
	v_cndmask_b32_e64 v21, v21, v16, s4
	v_cmp_eq_u32_e32 vcc_lo, 6, v88
	v_cndmask_b32_e64 v18, v18, v4, s5
	v_cndmask_b32_e64 v19, v19, v8, s5
	;; [unrolled: 1-line block ×3, first 2 shown]
	v_cmp_eq_u32_e64 s4, 1, v89
	v_cmp_eq_u32_e64 s5, 7, v87
	s_delay_alu instid0(VALU_DEP_3) | instskip(NEXT) | instid1(VALU_DEP_3)
	v_cndmask_b32_e32 v20, v20, v4, vcc_lo
	v_cndmask_b32_e64 v1, v1, v10, s4
	v_cndmask_b32_e64 v5, v5, v14, s4
	v_cmp_eq_u32_e64 s4, 3, v86
	v_cndmask_b32_e64 v14, v23, v6, s7
	v_cmp_eq_u32_e64 s7, 3, v89
	v_cndmask_b32_e64 v1, v1, v2, s3
	v_cndmask_b32_e64 v2, v5, v6, s3
	;; [unrolled: 1-line block ×3, first 2 shown]
	v_cmp_eq_u32_e64 s3, 4, v86
	v_cndmask_b32_e64 v6, v14, v15, s4
	v_cndmask_b32_e64 v1, v1, v11, s7
	v_cmp_eq_u32_e64 s4, 4, v89
	v_cndmask_b32_e64 v2, v2, v15, s7
	v_cndmask_b32_e64 v5, v10, v3, s3
	;; [unrolled: 3-line block ×3, first 2 shown]
	v_cndmask_b32_e64 v2, v2, v7, s4
	v_cmp_eq_u32_e64 s3, 5, v89
	v_cndmask_b32_e64 v5, v5, v12, s7
	v_cmp_eq_u32_e64 s4, 6, v86
	;; [unrolled: 2-line block ×3, first 2 shown]
	v_cndmask_b32_e64 v1, v1, v12, s3
	v_cndmask_b32_e64 v2, v2, v16, s3
	;; [unrolled: 1-line block ×4, first 2 shown]
	v_cmp_eq_u32_e64 s3, 7, v89
	v_cndmask_b32_e64 v1, v1, v4, s7
	v_cndmask_b32_e64 v2, v2, v8, s7
	v_cmp_eq_u32_e64 s4, 7, v86
	v_cndmask_b32_e32 v4, v21, v8, vcc_lo
	v_cndmask_b32_e64 v18, v18, v13, s5
	v_cndmask_b32_e64 v20, v20, v13, s6
	;; [unrolled: 1-line block ×8, first 2 shown]
	v_cmp_gt_u32_e32 vcc_lo, 32, v0
	v_perm_b32 v4, v2, v1, 0x5040100
	v_perm_b32 v3, v3, v5, 0x5040100
	;; [unrolled: 1-line block ×4, first 2 shown]
	s_and_b32 s2, vcc_lo, s2
	ds_store_b128 v9, v[1:4]
	s_waitcnt lgkmcnt(0)
	s_barrier
	buffer_gl0_inv
	s_and_saveexec_b32 s3, s2
	s_cbranch_execz .LBB565_2
; %bb.113:
	s_load_b64 s[0:1], s[0:1], 0x68
	s_lshl_b32 s4, s34, 6
	v_or_b32_e32 v2, s31, v83
	s_mul_i32 s2, s4, s30
	v_lshlrev_b32_e32 v1, 10, v0
	s_mul_i32 s2, s2, s8
	v_lshlrev_b32_e32 v3, 4, v84
	v_mul_lo_u32 v0, v2, s4
	s_ashr_i32 s3, s2, 31
	v_lshlrev_b32_e32 v4, 6, v83
	v_and_b32_e32 v1, 0x3800, v1
	v_or_b32_e32 v5, 2, v2
	s_lshl_b64 s[2:3], s[2:3], 1
	v_or_b32_e32 v6, 4, v2
	v_or_b32_e32 v7, 6, v2
	v_or3_b32 v12, v1, v3, v4
	v_ashrrev_i32_e32 v1, 31, v0
	v_mul_lo_u32 v2, v5, s4
	v_mul_lo_u32 v16, v6, s4
	;; [unrolled: 1-line block ×3, first 2 shown]
	s_waitcnt lgkmcnt(0)
	s_add_u32 s2, s0, s2
	s_addc_u32 s3, s1, s3
	s_lshl_b32 s0, s14, 6
	v_lshlrev_b64 v[0:1], 1, v[0:1]
	s_ashr_i32 s1, s0, 31
	v_ashrrev_i32_e32 v3, 31, v2
	s_lshl_b64 s[0:1], s[0:1], 1
	v_ashrrev_i32_e32 v17, 31, v16
	s_add_u32 s0, s2, s0
	s_addc_u32 s1, s3, s1
	v_add_co_u32 v24, vcc_lo, s0, v81
	v_add_co_ci_u32_e32 v25, vcc_lo, s1, v82, vcc_lo
	v_lshlrev_b64 v[22:23], 1, v[2:3]
	s_delay_alu instid0(VALU_DEP_3) | instskip(NEXT) | instid1(VALU_DEP_3)
	v_add_co_u32 v18, vcc_lo, v24, v0
	v_add_co_ci_u32_e32 v19, vcc_lo, v25, v1, vcc_lo
	ds_load_b128 v[0:3], v12
	ds_load_b128 v[4:7], v12 offset:128
	ds_load_b128 v[8:11], v12 offset:256
	ds_load_b128 v[12:15], v12 offset:384
	v_ashrrev_i32_e32 v21, 31, v20
	v_lshlrev_b64 v[16:17], 1, v[16:17]
	v_add_co_u32 v22, vcc_lo, v24, v22
	v_add_co_ci_u32_e32 v23, vcc_lo, v25, v23, vcc_lo
	s_delay_alu instid0(VALU_DEP_4) | instskip(NEXT) | instid1(VALU_DEP_4)
	v_lshlrev_b64 v[20:21], 1, v[20:21]
	v_add_co_u32 v16, vcc_lo, v24, v16
	v_add_co_ci_u32_e32 v17, vcc_lo, v25, v17, vcc_lo
	s_delay_alu instid0(VALU_DEP_3) | instskip(NEXT) | instid1(VALU_DEP_4)
	v_add_co_u32 v20, vcc_lo, v24, v20
	v_add_co_ci_u32_e32 v21, vcc_lo, v25, v21, vcc_lo
	s_waitcnt lgkmcnt(3)
	global_store_b128 v[18:19], v[0:3], off
	s_waitcnt lgkmcnt(2)
	global_store_b128 v[22:23], v[4:7], off
	;; [unrolled: 2-line block ×4, first 2 shown]
	s_nop 0
	s_sendmsg sendmsg(MSG_DEALLOC_VGPRS)
	s_endpgm
	.section	.rodata,"a",@progbits
	.p2align	6, 0x0
	.amdhsa_kernel _Z39paged_attention_ll4mi_QKV_mfma16_kernelI14__hip_bfloat16S0_LN4vllm18Fp8KVCacheDataTypeE0ES0_Li32ELi64ELi256ELb0ELi8EL8MFMAType0EEvPKT_PKT0_S9_ifPKiSB_SB_iPKfiiiPfSE_PS4_PT2_iSD_SD_
		.amdhsa_group_segment_fixed_size 17472
		.amdhsa_private_segment_fixed_size 0
		.amdhsa_kernarg_size 400
		.amdhsa_user_sgpr_count 13
		.amdhsa_user_sgpr_dispatch_ptr 0
		.amdhsa_user_sgpr_queue_ptr 0
		.amdhsa_user_sgpr_kernarg_segment_ptr 1
		.amdhsa_user_sgpr_dispatch_id 0
		.amdhsa_user_sgpr_private_segment_size 0
		.amdhsa_wavefront_size32 1
		.amdhsa_uses_dynamic_stack 0
		.amdhsa_enable_private_segment 0
		.amdhsa_system_sgpr_workgroup_id_x 1
		.amdhsa_system_sgpr_workgroup_id_y 1
		.amdhsa_system_sgpr_workgroup_id_z 1
		.amdhsa_system_sgpr_workgroup_info 0
		.amdhsa_system_vgpr_workitem_id 0
		.amdhsa_next_free_vgpr 142
		.amdhsa_next_free_sgpr 38
		.amdhsa_reserve_vcc 1
		.amdhsa_float_round_mode_32 0
		.amdhsa_float_round_mode_16_64 0
		.amdhsa_float_denorm_mode_32 3
		.amdhsa_float_denorm_mode_16_64 3
		.amdhsa_dx10_clamp 1
		.amdhsa_ieee_mode 1
		.amdhsa_fp16_overflow 0
		.amdhsa_workgroup_processor_mode 1
		.amdhsa_memory_ordered 1
		.amdhsa_forward_progress 0
		.amdhsa_shared_vgpr_count 0
		.amdhsa_exception_fp_ieee_invalid_op 0
		.amdhsa_exception_fp_denorm_src 0
		.amdhsa_exception_fp_ieee_div_zero 0
		.amdhsa_exception_fp_ieee_overflow 0
		.amdhsa_exception_fp_ieee_underflow 0
		.amdhsa_exception_fp_ieee_inexact 0
		.amdhsa_exception_int_div_zero 0
	.end_amdhsa_kernel
	.section	.text._Z39paged_attention_ll4mi_QKV_mfma16_kernelI14__hip_bfloat16S0_LN4vllm18Fp8KVCacheDataTypeE0ES0_Li32ELi64ELi256ELb0ELi8EL8MFMAType0EEvPKT_PKT0_S9_ifPKiSB_SB_iPKfiiiPfSE_PS4_PT2_iSD_SD_,"axG",@progbits,_Z39paged_attention_ll4mi_QKV_mfma16_kernelI14__hip_bfloat16S0_LN4vllm18Fp8KVCacheDataTypeE0ES0_Li32ELi64ELi256ELb0ELi8EL8MFMAType0EEvPKT_PKT0_S9_ifPKiSB_SB_iPKfiiiPfSE_PS4_PT2_iSD_SD_,comdat
.Lfunc_end565:
	.size	_Z39paged_attention_ll4mi_QKV_mfma16_kernelI14__hip_bfloat16S0_LN4vllm18Fp8KVCacheDataTypeE0ES0_Li32ELi64ELi256ELb0ELi8EL8MFMAType0EEvPKT_PKT0_S9_ifPKiSB_SB_iPKfiiiPfSE_PS4_PT2_iSD_SD_, .Lfunc_end565-_Z39paged_attention_ll4mi_QKV_mfma16_kernelI14__hip_bfloat16S0_LN4vllm18Fp8KVCacheDataTypeE0ES0_Li32ELi64ELi256ELb0ELi8EL8MFMAType0EEvPKT_PKT0_S9_ifPKiSB_SB_iPKfiiiPfSE_PS4_PT2_iSD_SD_
                                        ; -- End function
	.section	.AMDGPU.csdata,"",@progbits
; Kernel info:
; codeLenInByte = 9448
; NumSgprs: 40
; NumVgprs: 142
; ScratchSize: 0
; MemoryBound: 0
; FloatMode: 240
; IeeeMode: 1
; LDSByteSize: 17472 bytes/workgroup (compile time only)
; SGPRBlocks: 4
; VGPRBlocks: 17
; NumSGPRsForWavesPerEU: 40
; NumVGPRsForWavesPerEU: 142
; Occupancy: 10
; WaveLimiterHint : 1
; COMPUTE_PGM_RSRC2:SCRATCH_EN: 0
; COMPUTE_PGM_RSRC2:USER_SGPR: 13
; COMPUTE_PGM_RSRC2:TRAP_HANDLER: 0
; COMPUTE_PGM_RSRC2:TGID_X_EN: 1
; COMPUTE_PGM_RSRC2:TGID_Y_EN: 1
; COMPUTE_PGM_RSRC2:TGID_Z_EN: 1
; COMPUTE_PGM_RSRC2:TIDIG_COMP_CNT: 0
	.section	.text._Z39paged_attention_ll4mi_QKV_mfma16_kernelI14__hip_bfloat16S0_LN4vllm18Fp8KVCacheDataTypeE0ES0_Li32ELi64ELi256ELb0ELi9EL8MFMAType0EEvPKT_PKT0_S9_ifPKiSB_SB_iPKfiiiPfSE_PS4_PT2_iSD_SD_,"axG",@progbits,_Z39paged_attention_ll4mi_QKV_mfma16_kernelI14__hip_bfloat16S0_LN4vllm18Fp8KVCacheDataTypeE0ES0_Li32ELi64ELi256ELb0ELi9EL8MFMAType0EEvPKT_PKT0_S9_ifPKiSB_SB_iPKfiiiPfSE_PS4_PT2_iSD_SD_,comdat
	.protected	_Z39paged_attention_ll4mi_QKV_mfma16_kernelI14__hip_bfloat16S0_LN4vllm18Fp8KVCacheDataTypeE0ES0_Li32ELi64ELi256ELb0ELi9EL8MFMAType0EEvPKT_PKT0_S9_ifPKiSB_SB_iPKfiiiPfSE_PS4_PT2_iSD_SD_ ; -- Begin function _Z39paged_attention_ll4mi_QKV_mfma16_kernelI14__hip_bfloat16S0_LN4vllm18Fp8KVCacheDataTypeE0ES0_Li32ELi64ELi256ELb0ELi9EL8MFMAType0EEvPKT_PKT0_S9_ifPKiSB_SB_iPKfiiiPfSE_PS4_PT2_iSD_SD_
	.globl	_Z39paged_attention_ll4mi_QKV_mfma16_kernelI14__hip_bfloat16S0_LN4vllm18Fp8KVCacheDataTypeE0ES0_Li32ELi64ELi256ELb0ELi9EL8MFMAType0EEvPKT_PKT0_S9_ifPKiSB_SB_iPKfiiiPfSE_PS4_PT2_iSD_SD_
	.p2align	8
	.type	_Z39paged_attention_ll4mi_QKV_mfma16_kernelI14__hip_bfloat16S0_LN4vllm18Fp8KVCacheDataTypeE0ES0_Li32ELi64ELi256ELb0ELi9EL8MFMAType0EEvPKT_PKT0_S9_ifPKiSB_SB_iPKfiiiPfSE_PS4_PT2_iSD_SD_,@function
_Z39paged_attention_ll4mi_QKV_mfma16_kernelI14__hip_bfloat16S0_LN4vllm18Fp8KVCacheDataTypeE0ES0_Li32ELi64ELi256ELb0ELi9EL8MFMAType0EEvPKT_PKT0_S9_ifPKiSB_SB_iPKfiiiPfSE_PS4_PT2_iSD_SD_: ; @_Z39paged_attention_ll4mi_QKV_mfma16_kernelI14__hip_bfloat16S0_LN4vllm18Fp8KVCacheDataTypeE0ES0_Li32ELi64ELi256ELb0ELi9EL8MFMAType0EEvPKT_PKT0_S9_ifPKiSB_SB_iPKfiiiPfSE_PS4_PT2_iSD_SD_
; %bb.0:
	s_load_b64 s[2:3], s[0:1], 0x30
	s_mov_b32 s34, s13
	s_waitcnt lgkmcnt(0)
	s_cmp_lg_u64 s[2:3], 0
	s_cselect_b32 s6, -1, 0
	s_ashr_i32 s35, s13, 31
	s_cmp_eq_u64 s[2:3], 0
	s_cbranch_scc1 .LBB566_3
; %bb.1:
	s_lshl_b64 s[4:5], s[34:35], 2
	s_delay_alu instid0(SALU_CYCLE_1) | instskip(SKIP_4) | instid1(SALU_CYCLE_1)
	s_add_u32 s4, s2, s4
	s_addc_u32 s5, s3, s5
	s_load_b64 s[4:5], s[4:5], 0x0
	s_waitcnt lgkmcnt(0)
	s_sub_i32 s4, s5, s4
	s_cmp_eq_u32 s4, 1
	s_cselect_b32 s4, -1, 0
	s_delay_alu instid0(SALU_CYCLE_1)
	s_and_not1_b32 vcc_lo, exec_lo, s4
	s_cbranch_vccz .LBB566_4
.LBB566_2:
	s_nop 0
	s_sendmsg sendmsg(MSG_DEALLOC_VGPRS)
	s_endpgm
.LBB566_3:
.LBB566_4:
	s_load_b64 s[8:9], s[0:1], 0x28
	s_lshl_b64 s[4:5], s[34:35], 2
	s_waitcnt lgkmcnt(0)
	s_add_u32 s8, s8, s4
	s_addc_u32 s9, s9, s5
	s_lshl_b32 s16, s14, 8
	s_load_b32 s18, s[8:9], 0x0
	s_waitcnt lgkmcnt(0)
	s_cmp_ge_i32 s16, s18
	s_cbranch_scc1 .LBB566_2
; %bb.5:
	s_and_not1_b32 vcc_lo, exec_lo, s6
	s_cbranch_vccnz .LBB566_7
; %bb.6:
	s_add_u32 s2, s2, s4
	s_addc_u32 s3, s3, s5
	s_load_b32 s17, s[2:3], 0x0
	s_branch .LBB566_8
.LBB566_7:
	s_mov_b32 s17, s34
.LBB566_8:
	s_clause 0x2
	s_load_b128 s[8:11], s[0:1], 0x8
	s_load_b64 s[12:13], s[0:1], 0x20
	s_load_b128 s[4:7], s[0:1], 0x48
	v_lshrrev_b32_e32 v74, 5, v0
	v_bfe_u32 v83, v0, 4, 1
	v_and_b32_e32 v73, 15, v0
	s_delay_alu instid0(VALU_DEP_2) | instskip(NEXT) | instid1(VALU_DEP_2)
	v_lshl_or_b32 v3, v74, 1, v83
	v_cmp_lt_u32_e64 s3, 7, v73
	v_lshlrev_b32_e32 v1, 3, v73
	v_cmp_gt_u32_e64 s2, 8, v73
	s_delay_alu instid0(VALU_DEP_4) | instskip(NEXT) | instid1(VALU_DEP_4)
	v_cmp_lt_u32_e32 vcc_lo, 8, v3
	s_or_b32 s3, s3, vcc_lo
	s_waitcnt lgkmcnt(0)
	s_and_saveexec_b32 s7, s3
	s_delay_alu instid0(SALU_CYCLE_1)
	s_xor_b32 s3, exec_lo, s7
; %bb.9:
	v_mov_b32_e32 v2, 0
                                        ; implicit-def: $vgpr3
; %bb.10:
	s_or_saveexec_b32 s3, s3
	v_and_b32_e32 v75, 31, v0
	v_and_b32_e32 v84, 1, v0
	s_mul_i32 s31, s15, 9
	s_xor_b32 exec_lo, exec_lo, s3
	s_cbranch_execz .LBB566_12
; %bb.11:
	s_load_b64 s[20:21], s[0:1], 0x0
	v_add_lshl_u32 v4, v3, s31, 6
	s_mul_hi_i32 s23, s17, s4
	s_mul_i32 s22, s17, s4
	v_lshlrev_b32_e32 v2, 1, v1
	s_lshl_b64 s[22:23], s[22:23], 1
	v_ashrrev_i32_e32 v5, 31, v4
	v_lshlrev_b32_e32 v3, 6, v3
	v_lshlrev_b32_e32 v8, 10, v84
	s_delay_alu instid0(VALU_DEP_3) | instskip(SKIP_3) | instid1(VALU_DEP_1)
	v_lshlrev_b64 v[4:5], 1, v[4:5]
	s_waitcnt lgkmcnt(0)
	s_add_u32 s4, s20, s22
	s_addc_u32 s7, s21, s23
	v_add_co_u32 v4, vcc_lo, s4, v4
	s_delay_alu instid0(VALU_DEP_2) | instskip(NEXT) | instid1(VALU_DEP_2)
	v_add_co_ci_u32_e32 v5, vcc_lo, s7, v5, vcc_lo
	v_add_co_u32 v4, vcc_lo, v4, v2
	s_delay_alu instid0(VALU_DEP_2) | instskip(SKIP_3) | instid1(VALU_DEP_1)
	v_add_co_ci_u32_e32 v5, vcc_lo, 0, v5, vcc_lo
	v_lshlrev_b32_e32 v2, 10, v73
	global_load_b128 v[4:7], v[4:5], off
	v_and_b32_e32 v2, 0x3800, v2
	v_or3_b32 v3, v2, v8, v3
	v_mov_b32_e32 v2, 0
	s_waitcnt vmcnt(0)
	ds_store_b128 v3, v[4:7]
.LBB566_12:
	s_or_b32 exec_lo, exec_lo, s3
	v_and_b32_e32 v3, 0xef, v0
	s_add_i32 s3, s18, 31
	s_clause 0x1
	s_load_b32 s4, s[0:1], 0x38
	s_load_b32 s19, s[0:1], 0x1c
	s_ashr_i32 s7, s3, 31
	v_add_nc_u32_e32 v3, s16, v3
	s_lshr_b32 s7, s7, 27
	s_waitcnt lgkmcnt(0)
	s_add_i32 s3, s3, s7
	s_barrier
	v_ashrrev_i32_e32 v4, 31, v3
	v_cmp_gt_i32_e32 vcc_lo, s18, v3
	s_ashr_i32 s3, s3, 5
	buffer_gl0_inv
	s_add_i32 s3, s3, -1
	v_lshrrev_b32_e32 v5, 27, v4
	v_or_b32_e32 v4, 16, v3
	s_mul_i32 s6, s15, s6
	v_lshlrev_b64 v[81:82], 1, v[1:2]
	s_delay_alu instid0(VALU_DEP_3) | instskip(NEXT) | instid1(VALU_DEP_3)
	v_add_nc_u32_e32 v6, v3, v5
	v_add_nc_u32_e32 v5, v4, v5
	s_mul_i32 s20, s34, s4
	s_delay_alu instid0(SALU_CYCLE_1) | instskip(NEXT) | instid1(VALU_DEP_2)
	s_ashr_i32 s21, s20, 31
	v_ashrrev_i32_e32 v6, 5, v6
	s_delay_alu instid0(VALU_DEP_2) | instskip(SKIP_1) | instid1(SALU_CYCLE_1)
	v_ashrrev_i32_e32 v5, 5, v5
	s_lshl_b64 s[20:21], s[20:21], 2
	s_add_u32 s4, s12, s20
	s_delay_alu instid0(VALU_DEP_2) | instskip(SKIP_3) | instid1(SALU_CYCLE_1)
	v_cndmask_b32_e32 v3, s3, v6, vcc_lo
	v_cmp_gt_i32_e32 vcc_lo, s18, v4
	s_addc_u32 s17, s13, s21
	s_ashr_i32 s7, s6, 31
	s_lshl_b64 s[6:7], s[6:7], 1
	v_cndmask_b32_e32 v5, s3, v5, vcc_lo
	v_ashrrev_i32_e32 v4, 31, v3
	s_add_u32 s15, s8, s6
	s_addc_u32 s28, s9, s7
	s_lshl_b32 s8, s14, 3
	v_ashrrev_i32_e32 v6, 31, v5
	v_lshlrev_b64 v[3:4], 2, v[3:4]
	s_ashr_i32 s9, s8, 31
	s_delay_alu instid0(SALU_CYCLE_1) | instskip(NEXT) | instid1(VALU_DEP_2)
	s_lshl_b64 s[8:9], s[8:9], 2
	v_lshlrev_b64 v[5:6], 2, v[5:6]
	s_add_u32 s8, s4, s8
	s_delay_alu instid0(VALU_DEP_2) | instskip(SKIP_1) | instid1(VALU_DEP_3)
	v_add_co_u32 v3, vcc_lo, s4, v3
	v_add_co_ci_u32_e32 v4, vcc_lo, s17, v4, vcc_lo
	v_add_co_u32 v5, vcc_lo, s4, v5
	s_delay_alu instid0(VALU_DEP_4)
	v_add_co_ci_u32_e32 v6, vcc_lo, s17, v6, vcc_lo
	s_addc_u32 s9, s17, s9
	s_clause 0x1
	global_load_b32 v7, v[3:4], off
	global_load_b32 v8, v[5:6], off
	s_or_b32 s12, s16, 32
	s_delay_alu instid0(SALU_CYCLE_1) | instskip(SKIP_2) | instid1(SALU_CYCLE_1)
	s_ashr_i32 s13, s12, 5
	s_cmp_lt_i32 s12, s18
	s_cselect_b32 s12, s13, s3
	s_ashr_i32 s13, s12, 31
	s_delay_alu instid0(SALU_CYCLE_1) | instskip(NEXT) | instid1(SALU_CYCLE_1)
	s_lshl_b64 s[12:13], s[12:13], 2
	s_add_u32 s12, s4, s12
	s_addc_u32 s13, s17, s13
	s_or_b32 s20, s16, 64
	s_delay_alu instid0(SALU_CYCLE_1) | instskip(SKIP_2) | instid1(SALU_CYCLE_1)
	s_ashr_i32 s21, s20, 5
	s_cmp_lt_i32 s20, s18
	s_cselect_b32 s20, s21, s3
	s_ashr_i32 s21, s20, 31
	s_delay_alu instid0(SALU_CYCLE_1) | instskip(NEXT) | instid1(SALU_CYCLE_1)
	s_lshl_b64 s[20:21], s[20:21], 2
	s_add_u32 s20, s4, s20
	s_addc_u32 s21, s17, s21
	;; [unrolled: 10-line block ×5, first 2 shown]
	s_clause 0x5
	s_load_b32 s29, s[8:9], 0x0
	s_load_b32 s30, s[12:13], 0x0
	;; [unrolled: 1-line block ×6, first 2 shown]
	s_mov_b32 s20, 0
	s_or_b32 s8, s16, 0xc0
	s_mov_b32 s21, s20
	s_mov_b32 s22, s20
	;; [unrolled: 1-line block ×7, first 2 shown]
	s_ashr_i32 s9, s8, 5
	v_mov_b32_e32 v117, s27
	s_cmp_lt_i32 s8, s18
	v_mov_b32_e32 v116, s26
	s_cselect_b32 s8, s9, s3
	v_mov_b32_e32 v115, s25
	s_ashr_i32 s9, s8, 31
	v_dual_mov_b32 v114, s24 :: v_dual_mov_b32 v113, s23
	v_dual_mov_b32 v112, s22 :: v_dual_mov_b32 v111, s21
	s_lshl_b64 s[8:9], s[8:9], 2
	s_waitcnt lgkmcnt(0)
	s_mul_hi_i32 s13, s29, s5
	s_add_u32 s8, s4, s8
	s_addc_u32 s9, s17, s9
	s_mul_i32 s12, s29, s5
	s_mul_hi_i32 s37, s38, s5
	v_mov_b32_e32 v110, s20
	s_mul_hi_i32 s21, s30, s5
	s_mul_i32 s20, s30, s5
	s_mul_hi_i32 s25, s33, s5
	s_mul_i32 s24, s33, s5
	;; [unrolled: 2-line block ×3, first 2 shown]
	s_waitcnt vmcnt(1)
	v_mad_i64_i32 v[3:4], null, v7, s5, 0
	s_waitcnt vmcnt(0)
	v_mad_i64_i32 v[5:6], null, v8, s5, 0
	s_delay_alu instid0(VALU_DEP_2) | instskip(NEXT) | instid1(VALU_DEP_2)
	v_lshlrev_b64 v[3:4], 1, v[3:4]
	v_lshlrev_b64 v[1:2], 1, v[5:6]
	s_delay_alu instid0(VALU_DEP_2) | instskip(NEXT) | instid1(VALU_DEP_3)
	v_add_co_u32 v3, vcc_lo, s15, v3
	v_add_co_ci_u32_e32 v4, vcc_lo, s28, v4, vcc_lo
	s_delay_alu instid0(VALU_DEP_3) | instskip(NEXT) | instid1(VALU_DEP_4)
	v_add_co_u32 v1, vcc_lo, s15, v1
	v_add_co_ci_u32_e32 v2, vcc_lo, s28, v2, vcc_lo
	s_delay_alu instid0(VALU_DEP_4) | instskip(NEXT) | instid1(VALU_DEP_4)
	v_add_co_u32 v41, vcc_lo, v3, v81
	v_add_co_ci_u32_e32 v42, vcc_lo, v4, v82, vcc_lo
	s_delay_alu instid0(VALU_DEP_4) | instskip(NEXT) | instid1(VALU_DEP_4)
	v_add_co_u32 v43, vcc_lo, v1, v81
	v_add_co_ci_u32_e32 v44, vcc_lo, v2, v82, vcc_lo
	s_clause 0xf
	global_load_b128 v[1:4], v[41:42], off
	global_load_b128 v[5:8], v[41:42], off offset:512
	global_load_b128 v[9:12], v[43:44], off offset:256
	;; [unrolled: 1-line block ×15, first 2 shown]
	v_add_nc_u32_e32 v41, -9, v73
	v_cmp_gt_u32_e32 vcc_lo, 9, v73
	s_or_b32 s15, s16, 0xe0
	s_delay_alu instid0(SALU_CYCLE_1) | instskip(SKIP_3) | instid1(SALU_CYCLE_1)
	s_ashr_i32 s22, s15, 5
	s_cmp_lt_i32 s15, s18
	v_cndmask_b32_e32 v41, v41, v73, vcc_lo
	s_cselect_b32 s22, s22, s3
	s_ashr_i32 s23, s22, 31
	s_delay_alu instid0(VALU_DEP_1)
	v_lshlrev_b32_e32 v57, 6, v41
	ds_load_b128 v[41:44], v57
	ds_load_b128 v[45:48], v57 offset:1024
	ds_load_b128 v[49:52], v57 offset:2048
	ds_load_b128 v[53:56], v57 offset:3072
	ds_load_b128 v[118:121], v57 offset:4096
	ds_load_b128 v[122:125], v57 offset:5120
	ds_load_b128 v[126:129], v57 offset:6144
	ds_load_b128 v[130:133], v57 offset:7168
	s_lshl_b64 s[22:23], s[22:23], 2
	s_delay_alu instid0(SALU_CYCLE_1) | instskip(SKIP_2) | instid1(SALU_CYCLE_1)
	s_add_u32 s22, s4, s22
	s_addc_u32 s23, s17, s23
	s_add_i32 s15, s16, 0x100
	s_ashr_i32 s28, s15, 5
	s_cmp_lt_i32 s15, s18
	s_load_b32 s15, s[8:9], 0x0
	s_cselect_b32 s28, s28, s3
	s_mul_hi_i32 s9, s36, s5
	s_ashr_i32 s29, s28, 31
	s_mul_i32 s8, s36, s5
	s_lshl_b64 s[28:29], s[28:29], 2
	s_mul_i32 s36, s38, s5
	s_add_u32 s28, s4, s28
	s_addc_u32 s29, s17, s29
	s_add_u32 s3, s10, s6
	s_clause 0x1
	s_load_b32 s4, s[22:23], 0x0
	s_load_b32 s17, s[28:29], 0x0
	s_addc_u32 s28, s11, s7
	s_lshl_b64 s[6:7], s[12:13], 1
	s_lshl_b64 s[10:11], s[20:21], 1
	;; [unrolled: 1-line block ×6, first 2 shown]
	s_waitcnt lgkmcnt(0)
	s_mul_hi_i32 s25, s15, s5
	s_mul_i32 s24, s15, s5
	s_waitcnt vmcnt(14)
	v_wmma_f32_16x16x16_bf16 v[134:141], v[1:8], v[41:48], v[110:117]
	s_waitcnt vmcnt(10)
	s_delay_alu instid0(VALU_DEP_1) | instskip(SKIP_1) | instid1(VALU_DEP_1)
	v_wmma_f32_16x16x16_bf16 v[134:141], v[17:24], v[49:56], v[134:141]
	s_waitcnt vmcnt(6)
	v_wmma_f32_16x16x16_bf16 v[134:141], v[33:40], v[118:125], v[134:141]
	s_waitcnt vmcnt(2)
	s_delay_alu instid0(VALU_DEP_1) | instskip(SKIP_1) | instid1(VALU_DEP_2)
	v_wmma_f32_16x16x16_bf16 v[134:141], v[94:101], v[126:133], v[134:141]
	v_lshlrev_b32_e32 v85, 6, v73
	v_mul_f32_e32 v100, s19, v141
	s_delay_alu instid0(VALU_DEP_2) | instskip(SKIP_2) | instid1(VALU_DEP_3)
	v_lshl_or_b32 v58, v74, 10, v85
	v_wmma_f32_16x16x16_bf16 v[110:117], v[9:16], v[41:48], v[110:117]
	v_mul_f32_e32 v99, s19, v135
	v_add_co_u32 v76, s3, s3, v58
	s_delay_alu instid0(VALU_DEP_1) | instskip(NEXT) | instid1(VALU_DEP_4)
	v_add_co_ci_u32_e64 v77, null, s28, 0, s3
	v_wmma_f32_16x16x16_bf16 v[110:117], v[25:32], v[49:56], v[110:117]
	s_delay_alu instid0(VALU_DEP_3) | instskip(NEXT) | instid1(VALU_DEP_3)
	v_add_co_u32 v57, vcc_lo, v76, s6
	v_add_co_ci_u32_e32 v58, vcc_lo, s7, v77, vcc_lo
	v_add_co_u32 v1, vcc_lo, v76, s10
	v_add_co_ci_u32_e32 v2, vcc_lo, s11, v77, vcc_lo
	;; [unrolled: 2-line block ×5, first 2 shown]
	s_clause 0x9
	global_load_b128 v[65:68], v[57:58], off
	global_load_b128 v[69:72], v[57:58], off offset:16
	global_load_b128 v[57:60], v[1:2], off
	global_load_b128 v[61:64], v[1:2], off offset:16
	;; [unrolled: 2-line block ×5, first 2 shown]
	v_add_co_u32 v5, vcc_lo, v76, s22
	s_lshl_b64 s[6:7], s[24:25], 1
	v_add_co_ci_u32_e32 v6, vcc_lo, s23, v77, vcc_lo
	s_mul_hi_i32 s9, s4, s5
	s_mul_i32 s8, s4, s5
	v_add_co_u32 v17, vcc_lo, v76, s6
	v_add_co_ci_u32_e32 v18, vcc_lo, s7, v77, vcc_lo
	s_lshl_b64 s[6:7], s[8:9], 1
	s_mul_hi_i32 s9, s17, s5
	s_mul_i32 s8, s17, s5
	v_add_co_u32 v19, vcc_lo, v76, s6
	s_lshl_b64 s[4:5], s[8:9], 1
	v_add_co_ci_u32_e32 v20, vcc_lo, s7, v77, vcc_lo
	v_add_co_u32 v21, vcc_lo, v76, s4
	v_add_co_ci_u32_e32 v22, vcc_lo, s5, v77, vcc_lo
	s_clause 0x7
	global_load_b128 v[1:4], v[5:6], off
	global_load_b128 v[5:8], v[5:6], off offset:16
	global_load_b128 v[33:36], v[17:18], off
	global_load_b128 v[37:40], v[17:18], off offset:16
	global_load_b128 v[25:28], v[19:20], off
	global_load_b128 v[29:32], v[19:20], off offset:16
	global_load_b128 v[17:20], v[21:22], off
	global_load_b128 v[21:24], v[21:22], off offset:16
	v_and_b32_e32 v76, 0xe0, v0
	v_mbcnt_lo_u32_b32 v77, -1, 0
	v_wmma_f32_16x16x16_bf16 v[110:117], v[86:93], v[118:125], v[110:117]
	s_waitcnt vmcnt(0)
	s_barrier
	v_add_nc_u32_e32 v76, s16, v76
	v_xor_b32_e32 v78, 16, v77
	v_wmma_f32_16x16x16_bf16 v[110:117], v[102:109], v[126:133], v[110:117]
	v_mul_f32_e32 v97, s19, v134
	buffer_gl0_inv
	v_or_b32_e32 v76, v76, v83
	v_cmp_gt_i32_e32 vcc_lo, 32, v78
	s_delay_alu instid0(VALU_DEP_2)
	v_or_b32_e32 v79, 4, v76
	v_cndmask_b32_e32 v77, v77, v78, vcc_lo
	v_or_b32_e32 v78, 2, v76
	v_or_b32_e32 v80, 6, v76
	v_cmp_gt_i32_e32 vcc_lo, s18, v76
	v_or_b32_e32 v86, 8, v76
	v_or_b32_e32 v87, 10, v76
	v_cmp_gt_i32_e64 s3, s18, v78
	v_or_b32_e32 v88, 12, v76
	v_or_b32_e32 v89, 14, v76
	;; [unrolled: 1-line block ×10, first 2 shown]
	v_cndmask_b32_e32 v76, 0xff7fffff, v97, vcc_lo
	v_cndmask_b32_e64 v78, 0xff7fffff, v99, s3
	v_mul_f32_e32 v99, s19, v137
	v_cmp_gt_i32_e64 s4, s18, v80
	v_mul_f32_e32 v80, s19, v136
	v_cmp_gt_i32_e64 s5, s18, v79
	v_max3_f32 v76, v76, 0xff7fffff, v78
	v_dual_mul_f32 v78, s19, v138 :: v_dual_mul_f32 v79, s19, v139
	v_cndmask_b32_e64 v99, 0xff7fffff, v99, s4
	s_delay_alu instid0(VALU_DEP_4)
	v_cndmask_b32_e64 v80, 0xff7fffff, v80, s5
	v_cmp_gt_i32_e64 s6, s18, v86
	v_cmp_gt_i32_e64 s7, s18, v87
	v_mul_f32_e32 v97, s19, v140
	v_cmp_gt_i32_e64 s8, s18, v89
	v_max3_f32 v76, v76, v80, v99
	v_cndmask_b32_e64 v78, 0xff7fffff, v78, s6
	v_cndmask_b32_e64 v79, 0xff7fffff, v79, s7
	v_cmp_gt_i32_e64 s9, s18, v88
	v_dual_mul_f32 v88, s19, v111 :: v_dual_mul_f32 v89, s19, v110
	v_cndmask_b32_e64 v100, 0xff7fffff, v100, s8
	s_delay_alu instid0(VALU_DEP_4) | instskip(NEXT) | instid1(VALU_DEP_4)
	v_max3_f32 v76, v76, v78, v79
	v_cndmask_b32_e64 v97, 0xff7fffff, v97, s9
	v_cmp_gt_i32_e64 s10, s18, v90
	v_cmp_gt_i32_e64 s11, s18, v91
	v_dual_mul_f32 v78, s19, v113 :: v_dual_mul_f32 v79, s19, v112
	s_delay_alu instid0(VALU_DEP_4) | instskip(NEXT) | instid1(VALU_DEP_4)
	v_max3_f32 v76, v76, v97, v100
	v_cndmask_b32_e64 v89, 0xff7fffff, v89, s10
	s_delay_alu instid0(VALU_DEP_4)
	v_cndmask_b32_e64 v88, 0xff7fffff, v88, s11
	v_cmp_gt_i32_e64 s12, s18, v92
	v_cmp_gt_i32_e64 s13, s18, v93
	v_mul_f32_e32 v87, s19, v115
	v_mul_f32_e32 v99, s19, v114
	v_max3_f32 v76, v76, v89, v88
	v_cndmask_b32_e64 v79, 0xff7fffff, v79, s12
	v_cndmask_b32_e64 v78, 0xff7fffff, v78, s13
	v_cmp_gt_i32_e64 s15, s18, v94
	v_cmp_gt_i32_e64 s16, s18, v95
	v_mul_f32_e32 v80, s19, v117
	v_mul_f32_e32 v86, s19, v116
	v_max3_f32 v76, v76, v79, v78
	v_cndmask_b32_e64 v88, 0xff7fffff, v99, s15
	v_cndmask_b32_e64 v87, 0xff7fffff, v87, s16
	v_cmp_gt_i32_e64 s17, s18, v96
	v_cmp_gt_i32_e64 s18, s18, v98
	v_lshlrev_b32_e32 v99, 2, v77
	s_delay_alu instid0(VALU_DEP_4) | instskip(NEXT) | instid1(VALU_DEP_4)
	v_max3_f32 v76, v76, v88, v87
	v_cndmask_b32_e64 v78, 0xff7fffff, v86, s17
	s_delay_alu instid0(VALU_DEP_4) | instskip(NEXT) | instid1(VALU_DEP_1)
	v_cndmask_b32_e64 v79, 0xff7fffff, v80, s18
	v_max3_f32 v76, v76, v78, v79
	ds_bpermute_b32 v77, v99, v76
	s_waitcnt lgkmcnt(0)
	v_max_f32_e32 v77, v77, v77
	s_delay_alu instid0(VALU_DEP_1) | instskip(NEXT) | instid1(VALU_DEP_1)
	v_max_f32_e32 v76, v76, v77
	v_fma_f32 v77, s19, v134, -v76
	v_fma_f32 v78, s19, v135, -v76
	v_fma_f32 v79, s19, v136, -v76
	v_fma_f32 v80, s19, v137, -v76
	v_fma_f32 v86, s19, v138, -v76
	s_delay_alu instid0(VALU_DEP_4) | instskip(SKIP_1) | instid1(VALU_DEP_4)
	v_dual_mul_f32 v77, 0x3fb8aa3b, v77 :: v_dual_mul_f32 v78, 0x3fb8aa3b, v78
	v_fma_f32 v88, s19, v114, -v76
	v_dual_mul_f32 v79, 0x3fb8aa3b, v79 :: v_dual_mul_f32 v80, 0x3fb8aa3b, v80
	s_delay_alu instid0(VALU_DEP_3) | instskip(NEXT) | instid1(VALU_DEP_3)
	v_exp_f32_e32 v77, v77
	v_exp_f32_e32 v78, v78
	s_delay_alu instid0(VALU_DEP_2) | instskip(NEXT) | instid1(VALU_DEP_2)
	v_mul_f32_e32 v88, 0x3fb8aa3b, v88
	v_exp_f32_e32 v79, v79
	v_mul_f32_e32 v86, 0x3fb8aa3b, v86
	v_exp_f32_e32 v80, v80
	v_fma_f32 v87, s19, v140, -v76
	v_fma_f32 v100, s19, v117, -v76
	;; [unrolled: 1-line block ×3, first 2 shown]
	v_exp_f32_e32 v86, v86
	v_cndmask_b32_e32 v92, 0, v77, vcc_lo
	v_fma_f32 v77, s19, v139, -v76
	v_cndmask_b32_e64 v91, 0, v78, s3
	v_cndmask_b32_e64 v93, 0, v79, s5
	v_fma_f32 v79, s19, v141, -v76
	s_delay_alu instid0(VALU_DEP_4) | instskip(SKIP_2) | instid1(TRANS32_DEP_1)
	v_dual_add_f32 v78, 0, v92 :: v_dual_mul_f32 v77, 0x3fb8aa3b, v77
	v_cndmask_b32_e64 v95, 0, v80, s4
	v_mul_f32_e32 v87, 0x3fb8aa3b, v87
	v_cndmask_b32_e64 v96, 0, v86, s6
	s_delay_alu instid0(VALU_DEP_4)
	v_add_f32_e32 v78, v78, v91
	v_exp_f32_e32 v77, v77
	v_fma_f32 v86, s19, v111, -v76
	v_fma_f32 v80, s19, v110, -v76
	v_exp_f32_e32 v87, v87
	v_add_f32_e32 v78, v78, v93
	v_mul_f32_e32 v100, 0x3fb8aa3b, v100
	v_mul_f32_e32 v86, 0x3fb8aa3b, v86
	;; [unrolled: 1-line block ×3, first 2 shown]
	v_exp_f32_e32 v88, v88
	v_add_f32_e32 v78, v78, v95
	v_cndmask_b32_e64 v97, 0, v77, s7
	v_exp_f32_e32 v86, v86
	v_exp_f32_e32 v80, v80
	v_cndmask_b32_e64 v94, 0, v87, s9
	v_add_f32_e32 v77, v78, v96
	v_fma_f32 v78, s19, v112, -v76
	v_fma_f32 v87, s19, v113, -v76
	v_exp_f32_e32 v100, v100
	v_cmp_gt_u32_e64 s3, 16, v75
	s_delay_alu instid0(VALU_DEP_3) | instskip(NEXT) | instid1(VALU_DEP_3)
	v_dual_add_f32 v77, v77, v97 :: v_dual_mul_f32 v78, 0x3fb8aa3b, v78
	v_mul_f32_e32 v87, 0x3fb8aa3b, v87
	s_delay_alu instid0(VALU_DEP_2) | instskip(SKIP_2) | instid1(VALU_DEP_3)
	v_exp_f32_e32 v89, v78
	v_cndmask_b32_e64 v78, 0, v86, s11
	v_mul_f32_e32 v79, 0x3fb8aa3b, v79
	v_exp_f32_e32 v87, v87
	s_delay_alu instid0(VALU_DEP_1)
	v_exp_f32_e32 v79, v79
	s_waitcnt_depctr 0xfff
	v_cndmask_b32_e64 v98, 0, v79, s8
	v_add_f32_e32 v79, v77, v94
	v_cndmask_b32_e64 v77, 0, v80, s10
	v_fma_f32 v80, s19, v115, -v76
	s_delay_alu instid0(VALU_DEP_1) | instskip(NEXT) | instid1(VALU_DEP_1)
	v_dual_add_f32 v79, v79, v98 :: v_dual_mul_f32 v80, 0x3fb8aa3b, v80
	v_add_f32_e32 v86, v79, v77
	v_cndmask_b32_e64 v79, 0, v89, s12
	v_mul_f32_e32 v89, 0x3fb8aa3b, v90
	s_delay_alu instid0(VALU_DEP_4) | instskip(SKIP_2) | instid1(VALU_DEP_3)
	v_exp_f32_e32 v90, v80
	v_cndmask_b32_e64 v80, 0, v87, s13
	v_add_f32_e32 v86, v86, v78
	v_exp_f32_e32 v89, v89
	s_delay_alu instid0(VALU_DEP_1) | instskip(SKIP_1) | instid1(VALU_DEP_2)
	v_add_f32_e32 v87, v86, v79
	v_cndmask_b32_e64 v86, 0, v88, s15
	v_add_f32_e32 v88, v87, v80
	s_delay_alu instid0(TRANS32_DEP_2) | instskip(NEXT) | instid1(VALU_DEP_2)
	v_cndmask_b32_e64 v87, 0, v90, s16
	v_add_f32_e32 v90, v88, v86
	s_waitcnt_depctr 0xfff
	v_cndmask_b32_e64 v88, 0, v89, s17
	v_add_f32_e32 v89, v90, v87
	s_delay_alu instid0(VALU_DEP_1) | instskip(SKIP_1) | instid1(VALU_DEP_1)
	v_add_f32_e32 v90, v89, v88
	v_cndmask_b32_e64 v89, 0, v100, s18
	v_add_f32_e32 v90, v90, v89
	ds_bpermute_b32 v99, v99, v90
	s_and_saveexec_b32 s4, s3
	s_cbranch_execz .LBB566_14
; %bb.13:
	v_mul_u32_u24_e32 v75, 0x44, v74
	s_waitcnt lgkmcnt(0)
	v_add_f32_e32 v90, v90, v99
	s_delay_alu instid0(VALU_DEP_2) | instskip(NEXT) | instid1(VALU_DEP_1)
	v_lshl_add_u32 v75, v73, 2, v75
	v_add_nc_u32_e32 v75, 0x4000, v75
	ds_store_2addr_b32 v75, v76, v90 offset1:136
.LBB566_14:
	s_or_b32 exec_lo, exec_lo, s4
	v_lshlrev_b32_e32 v75, 2, v73
	s_waitcnt lgkmcnt(0)
	s_barrier
	buffer_gl0_inv
	v_cmp_eq_u32_e64 s4, 1, v74
	v_add_nc_u32_e32 v90, 0x4000, v75
	ds_load_2addr_b32 v[99:100], v90 offset1:17
	ds_load_2addr_b32 v[101:102], v90 offset0:34 offset1:51
	ds_load_2addr_b32 v[103:104], v90 offset0:68 offset1:85
	;; [unrolled: 1-line block ×4, first 2 shown]
	s_waitcnt lgkmcnt(4)
	v_max3_f32 v75, v99, 0xff7fffff, v100
	s_waitcnt lgkmcnt(3)
	s_delay_alu instid0(VALU_DEP_1) | instskip(SKIP_1) | instid1(VALU_DEP_1)
	v_max3_f32 v75, v75, v101, v102
	s_waitcnt lgkmcnt(2)
	v_max3_f32 v75, v75, v103, v104
	s_waitcnt lgkmcnt(1)
	s_delay_alu instid0(VALU_DEP_1) | instskip(NEXT) | instid1(VALU_DEP_1)
	v_max3_f32 v75, v75, v105, v106
	v_sub_f32_e32 v109, v100, v75
	v_sub_f32_e32 v76, v99, v75
	ds_load_2addr_b32 v[99:100], v90 offset0:170 offset1:187
	v_sub_f32_e32 v101, v101, v75
	v_dual_mul_f32 v109, 0x3fb8aa3b, v109 :: v_dual_mul_f32 v76, 0x3fb8aa3b, v76
	s_delay_alu instid0(VALU_DEP_2) | instskip(NEXT) | instid1(VALU_DEP_2)
	v_mul_f32_e32 v111, 0x3fb8aa3b, v101
	v_exp_f32_e32 v109, v109
	s_delay_alu instid0(VALU_DEP_2)
	v_exp_f32_e32 v110, v76
	v_sub_f32_e32 v76, v102, v75
	ds_load_2addr_b32 v[101:102], v90 offset0:204 offset1:221
	v_exp_f32_e32 v111, v111
	v_mul_f32_e32 v112, 0x3fb8aa3b, v76
	s_waitcnt lgkmcnt(2)
	v_fma_f32 v76, v110, v107, 0
	v_sub_f32_e32 v103, v103, v75
	s_delay_alu instid0(VALU_DEP_3) | instskip(NEXT) | instid1(VALU_DEP_2)
	v_exp_f32_e32 v112, v112
	v_dual_sub_f32 v107, v104, v75 :: v_dual_fmac_f32 v76, v109, v108
	s_waitcnt lgkmcnt(1)
	s_waitcnt_depctr 0xfff
	v_fmac_f32_e32 v76, v111, v99
	v_mul_f32_e32 v113, 0x3fb8aa3b, v103
	ds_load_2addr_b32 v[103:104], v90 offset0:238 offset1:255
	v_sub_f32_e32 v90, v105, v75
	v_dual_sub_f32 v99, v106, v75 :: v_dual_fmac_f32 v76, v112, v100
	v_mul_f32_e32 v105, 0x3fb8aa3b, v107
	v_exp_f32_e32 v107, v113
	s_delay_alu instid0(VALU_DEP_2)
	v_dual_mul_f32 v90, 0x3fb8aa3b, v90 :: v_dual_mul_f32 v99, 0x3fb8aa3b, v99
	s_waitcnt lgkmcnt(0)
	s_barrier
	buffer_gl0_inv
	v_exp_f32_e32 v90, v90
	v_exp_f32_e32 v99, v99
	v_fmac_f32_e32 v76, v107, v101
	v_exp_f32_e32 v105, v105
	s_waitcnt_depctr 0xfff
	v_fmac_f32_e32 v76, v105, v102
	s_delay_alu instid0(VALU_DEP_1) | instskip(NEXT) | instid1(VALU_DEP_1)
	v_fmac_f32_e32 v76, v90, v103
	v_fmac_f32_e32 v76, v99, v104
	s_delay_alu instid0(VALU_DEP_1) | instskip(NEXT) | instid1(VALU_DEP_1)
	v_add_f32_e32 v100, 0x358637bd, v76
	v_div_scale_f32 v101, null, v100, v100, 1.0
	v_div_scale_f32 v104, vcc_lo, 1.0, v100, 1.0
	s_delay_alu instid0(VALU_DEP_2) | instskip(SKIP_2) | instid1(VALU_DEP_1)
	v_rcp_f32_e32 v102, v101
	s_waitcnt_depctr 0xfff
	v_fma_f32 v103, -v101, v102, 1.0
	v_fmac_f32_e32 v102, v103, v102
	v_cndmask_b32_e64 v103, v110, v109, s4
	v_cmp_eq_u32_e64 s4, 2, v74
	s_delay_alu instid0(VALU_DEP_3) | instskip(NEXT) | instid1(VALU_DEP_2)
	v_mul_f32_e32 v106, v104, v102
	v_cndmask_b32_e64 v103, v103, v111, s4
	v_cmp_eq_u32_e64 s4, 3, v74
	s_delay_alu instid0(VALU_DEP_3) | instskip(NEXT) | instid1(VALU_DEP_2)
	v_fma_f32 v108, -v101, v106, v104
	v_cndmask_b32_e64 v103, v103, v112, s4
	v_cmp_eq_u32_e64 s4, 4, v74
	s_delay_alu instid0(VALU_DEP_3) | instskip(NEXT) | instid1(VALU_DEP_2)
	v_fmac_f32_e32 v106, v108, v102
	v_cndmask_b32_e64 v103, v103, v107, s4
	s_delay_alu instid0(VALU_DEP_2) | instskip(SKIP_1) | instid1(VALU_DEP_2)
	v_fma_f32 v101, -v101, v106, v104
	v_cmp_eq_u32_e64 s4, 5, v74
	v_div_fmas_f32 v101, v101, v102, v106
	s_delay_alu instid0(VALU_DEP_2) | instskip(SKIP_2) | instid1(VALU_DEP_3)
	v_cndmask_b32_e64 v103, v103, v105, s4
	v_cmp_eq_u32_e32 vcc_lo, 6, v74
	s_mov_b32 s4, exec_lo
	v_div_fixup_f32 v100, v101, v100, 1.0
	s_delay_alu instid0(VALU_DEP_3) | instskip(SKIP_1) | instid1(VALU_DEP_2)
	v_cndmask_b32_e32 v90, v103, v90, vcc_lo
	v_cmp_eq_u32_e32 vcc_lo, 7, v74
	v_cndmask_b32_e32 v90, v90, v99, vcc_lo
	s_delay_alu instid0(VALU_DEP_1) | instskip(NEXT) | instid1(VALU_DEP_1)
	v_mul_f32_e32 v90, v90, v100
	v_mul_f32_e32 v100, v90, v92
	;; [unrolled: 1-line block ×6, first 2 shown]
	v_and_b32_e32 v101, 0x7f800000, v100
	v_mul_f32_e32 v99, v90, v95
	v_mul_f32_e32 v95, v90, v91
	;; [unrolled: 1-line block ×3, first 2 shown]
                                        ; implicit-def: $vgpr91
	s_delay_alu instid0(VALU_DEP_4)
	v_cmpx_ne_u32_e32 0x7f800000, v101
	s_xor_b32 s4, exec_lo, s4
; %bb.15:
	v_bfe_u32 v91, v100, 16, 1
	s_delay_alu instid0(VALU_DEP_1)
	v_add3_u32 v91, v100, v91, 0x7fff
                                        ; implicit-def: $vgpr100
; %bb.16:
	s_and_not1_saveexec_b32 s4, s4
; %bb.17:
	v_and_b32_e32 v91, 0xffff, v100
	v_or_b32_e32 v93, 0x10000, v100
	s_delay_alu instid0(VALU_DEP_2) | instskip(NEXT) | instid1(VALU_DEP_2)
	v_cmp_eq_u32_e32 vcc_lo, 0, v91
	v_cndmask_b32_e32 v91, v93, v100, vcc_lo
; %bb.18:
	s_or_b32 exec_lo, exec_lo, s4
	v_and_b32_e32 v93, 0x7f800000, v95
	s_delay_alu instid0(VALU_DEP_1) | instskip(SKIP_1) | instid1(SALU_CYCLE_1)
	v_cmp_ne_u32_e32 vcc_lo, 0x7f800000, v93
                                        ; implicit-def: $vgpr93
	s_and_saveexec_b32 s4, vcc_lo
	s_xor_b32 s4, exec_lo, s4
; %bb.19:
	v_bfe_u32 v93, v95, 16, 1
	s_delay_alu instid0(VALU_DEP_1)
	v_add3_u32 v93, v95, v93, 0x7fff
                                        ; implicit-def: $vgpr95
; %bb.20:
	s_and_not1_saveexec_b32 s4, s4
; %bb.21:
	v_and_b32_e32 v93, 0xffff, v95
	v_or_b32_e32 v100, 0x10000, v95
	s_delay_alu instid0(VALU_DEP_2) | instskip(NEXT) | instid1(VALU_DEP_2)
	v_cmp_eq_u32_e32 vcc_lo, 0, v93
	v_cndmask_b32_e32 v93, v100, v95, vcc_lo
; %bb.22:
	s_or_b32 exec_lo, exec_lo, s4
	v_and_b32_e32 v95, 0x7f800000, v96
	s_delay_alu instid0(VALU_DEP_1) | instskip(SKIP_1) | instid1(SALU_CYCLE_1)
	v_cmp_ne_u32_e32 vcc_lo, 0x7f800000, v95
                                        ; implicit-def: $vgpr95
	s_and_saveexec_b32 s4, vcc_lo
	s_xor_b32 s4, exec_lo, s4
; %bb.23:
	v_bfe_u32 v95, v96, 16, 1
	s_delay_alu instid0(VALU_DEP_1)
	v_add3_u32 v95, v96, v95, 0x7fff
                                        ; implicit-def: $vgpr96
; %bb.24:
	s_and_not1_saveexec_b32 s4, s4
; %bb.25:
	v_and_b32_e32 v95, 0xffff, v96
	v_or_b32_e32 v100, 0x10000, v96
	s_delay_alu instid0(VALU_DEP_2) | instskip(NEXT) | instid1(VALU_DEP_2)
	v_cmp_eq_u32_e32 vcc_lo, 0, v95
	v_cndmask_b32_e32 v95, v100, v96, vcc_lo
; %bb.26:
	s_or_b32 exec_lo, exec_lo, s4
	v_and_b32_e32 v96, 0x7f800000, v99
	s_delay_alu instid0(VALU_DEP_1) | instskip(SKIP_1) | instid1(SALU_CYCLE_1)
	v_cmp_ne_u32_e32 vcc_lo, 0x7f800000, v96
                                        ; implicit-def: $vgpr96
	s_and_saveexec_b32 s4, vcc_lo
	s_xor_b32 s4, exec_lo, s4
; %bb.27:
	v_bfe_u32 v96, v99, 16, 1
	s_delay_alu instid0(VALU_DEP_1)
	v_add3_u32 v96, v99, v96, 0x7fff
                                        ; implicit-def: $vgpr99
; %bb.28:
	s_and_not1_saveexec_b32 s4, s4
; %bb.29:
	v_and_b32_e32 v96, 0xffff, v99
	v_or_b32_e32 v100, 0x10000, v99
	s_delay_alu instid0(VALU_DEP_2) | instskip(NEXT) | instid1(VALU_DEP_2)
	v_cmp_eq_u32_e32 vcc_lo, 0, v96
	v_cndmask_b32_e32 v96, v100, v99, vcc_lo
; %bb.30:
	s_or_b32 exec_lo, exec_lo, s4
	v_and_b32_e32 v99, 0x7f800000, v98
	s_delay_alu instid0(VALU_DEP_1) | instskip(SKIP_1) | instid1(SALU_CYCLE_1)
	v_cmp_ne_u32_e32 vcc_lo, 0x7f800000, v99
                                        ; implicit-def: $vgpr99
	s_and_saveexec_b32 s4, vcc_lo
	s_xor_b32 s4, exec_lo, s4
; %bb.31:
	v_bfe_u32 v99, v98, 16, 1
	s_delay_alu instid0(VALU_DEP_1)
	v_add3_u32 v99, v98, v99, 0x7fff
                                        ; implicit-def: $vgpr98
; %bb.32:
	s_and_not1_saveexec_b32 s4, s4
; %bb.33:
	v_and_b32_e32 v99, 0xffff, v98
	v_or_b32_e32 v100, 0x10000, v98
	s_delay_alu instid0(VALU_DEP_2) | instskip(NEXT) | instid1(VALU_DEP_2)
	v_cmp_eq_u32_e32 vcc_lo, 0, v99
	v_cndmask_b32_e32 v99, v100, v98, vcc_lo
; %bb.34:
	s_or_b32 exec_lo, exec_lo, s4
	v_and_b32_e32 v98, 0x7f800000, v97
	s_delay_alu instid0(VALU_DEP_1) | instskip(SKIP_1) | instid1(SALU_CYCLE_1)
	v_cmp_ne_u32_e32 vcc_lo, 0x7f800000, v98
                                        ; implicit-def: $vgpr98
	s_and_saveexec_b32 s4, vcc_lo
	s_xor_b32 s4, exec_lo, s4
; %bb.35:
	v_bfe_u32 v98, v97, 16, 1
	s_delay_alu instid0(VALU_DEP_1)
	v_add3_u32 v98, v97, v98, 0x7fff
                                        ; implicit-def: $vgpr97
; %bb.36:
	s_and_not1_saveexec_b32 s4, s4
; %bb.37:
	v_and_b32_e32 v98, 0xffff, v97
	v_or_b32_e32 v100, 0x10000, v97
	s_delay_alu instid0(VALU_DEP_2) | instskip(NEXT) | instid1(VALU_DEP_2)
	v_cmp_eq_u32_e32 vcc_lo, 0, v98
	v_cndmask_b32_e32 v98, v100, v97, vcc_lo
; %bb.38:
	s_or_b32 exec_lo, exec_lo, s4
	v_and_b32_e32 v97, 0x7f800000, v94
	s_delay_alu instid0(VALU_DEP_1) | instskip(SKIP_1) | instid1(SALU_CYCLE_1)
	v_cmp_ne_u32_e32 vcc_lo, 0x7f800000, v97
                                        ; implicit-def: $vgpr97
	s_and_saveexec_b32 s4, vcc_lo
	s_xor_b32 s4, exec_lo, s4
; %bb.39:
	v_bfe_u32 v97, v94, 16, 1
	s_delay_alu instid0(VALU_DEP_1)
	v_add3_u32 v97, v94, v97, 0x7fff
                                        ; implicit-def: $vgpr94
; %bb.40:
	s_and_not1_saveexec_b32 s4, s4
; %bb.41:
	v_and_b32_e32 v97, 0xffff, v94
	v_or_b32_e32 v100, 0x10000, v94
	s_delay_alu instid0(VALU_DEP_2) | instskip(NEXT) | instid1(VALU_DEP_2)
	v_cmp_eq_u32_e32 vcc_lo, 0, v97
	v_cndmask_b32_e32 v97, v100, v94, vcc_lo
; %bb.42:
	s_or_b32 exec_lo, exec_lo, s4
	v_and_b32_e32 v94, 0x7f800000, v92
	s_delay_alu instid0(VALU_DEP_1) | instskip(SKIP_1) | instid1(SALU_CYCLE_1)
	v_cmp_ne_u32_e32 vcc_lo, 0x7f800000, v94
                                        ; implicit-def: $vgpr94
	s_and_saveexec_b32 s4, vcc_lo
	s_xor_b32 s4, exec_lo, s4
; %bb.43:
	v_bfe_u32 v94, v92, 16, 1
	s_delay_alu instid0(VALU_DEP_1)
	v_add3_u32 v94, v92, v94, 0x7fff
                                        ; implicit-def: $vgpr92
; %bb.44:
	s_and_not1_saveexec_b32 s4, s4
; %bb.45:
	v_and_b32_e32 v94, 0xffff, v92
	v_or_b32_e32 v100, 0x10000, v92
	s_delay_alu instid0(VALU_DEP_2) | instskip(NEXT) | instid1(VALU_DEP_2)
	v_cmp_eq_u32_e32 vcc_lo, 0, v94
	v_cndmask_b32_e32 v94, v100, v92, vcc_lo
; %bb.46:
	s_or_b32 exec_lo, exec_lo, s4
	s_load_b64 s[36:37], s[0:1], 0x94
	v_lshlrev_b32_e32 v92, 4, v83
	s_delay_alu instid0(VALU_DEP_2)
	v_perm_b32 v100, v94, v97, 0x7060302
	v_dual_mul_f32 v89, v90, v89 :: v_dual_lshlrev_b32 v94, 11, v74
	v_perm_b32 v97, v93, v91, 0x7060302
	v_mul_f32_e32 v93, v90, v77
	v_perm_b32 v99, v98, v99, 0x7060302
	v_perm_b32 v98, v96, v95, 0x7060302
	v_or3_b32 v77, v92, v94, v85
	v_mul_f32_e32 v88, v90, v88
	v_dual_mul_f32 v87, v90, v87 :: v_dual_and_b32 v94, 0x7f800000, v93
	v_mul_f32_e32 v86, v90, v86
	v_mul_f32_e32 v91, v90, v80
	;; [unrolled: 1-line block ×4, first 2 shown]
	s_mov_b32 s4, exec_lo
	ds_store_b128 v77, v[97:100]
                                        ; implicit-def: $vgpr78
	v_cmpx_ne_u32_e32 0x7f800000, v94
	s_xor_b32 s4, exec_lo, s4
; %bb.47:
	v_bfe_u32 v78, v93, 16, 1
	s_delay_alu instid0(VALU_DEP_1)
	v_add3_u32 v78, v93, v78, 0x7fff
                                        ; implicit-def: $vgpr93
; %bb.48:
	s_and_not1_saveexec_b32 s4, s4
; %bb.49:
	v_and_b32_e32 v78, 0xffff, v93
	v_or_b32_e32 v79, 0x10000, v93
	s_delay_alu instid0(VALU_DEP_2) | instskip(NEXT) | instid1(VALU_DEP_2)
	v_cmp_eq_u32_e32 vcc_lo, 0, v78
	v_cndmask_b32_e32 v78, v79, v93, vcc_lo
; %bb.50:
	s_or_b32 exec_lo, exec_lo, s4
	v_and_b32_e32 v79, 0x7f800000, v80
	s_delay_alu instid0(VALU_DEP_1) | instskip(SKIP_1) | instid1(SALU_CYCLE_1)
	v_cmp_ne_u32_e32 vcc_lo, 0x7f800000, v79
                                        ; implicit-def: $vgpr79
	s_and_saveexec_b32 s4, vcc_lo
	s_xor_b32 s4, exec_lo, s4
; %bb.51:
	v_bfe_u32 v79, v80, 16, 1
	s_delay_alu instid0(VALU_DEP_1)
	v_add3_u32 v79, v80, v79, 0x7fff
                                        ; implicit-def: $vgpr80
; %bb.52:
	s_and_not1_saveexec_b32 s4, s4
; %bb.53:
	v_and_b32_e32 v79, 0xffff, v80
	v_or_b32_e32 v90, 0x10000, v80
	s_delay_alu instid0(VALU_DEP_2) | instskip(NEXT) | instid1(VALU_DEP_2)
	v_cmp_eq_u32_e32 vcc_lo, 0, v79
	v_cndmask_b32_e32 v79, v90, v80, vcc_lo
; %bb.54:
	s_or_b32 exec_lo, exec_lo, s4
	v_and_b32_e32 v80, 0x7f800000, v92
	s_delay_alu instid0(VALU_DEP_1) | instskip(SKIP_1) | instid1(SALU_CYCLE_1)
	v_cmp_ne_u32_e32 vcc_lo, 0x7f800000, v80
                                        ; implicit-def: $vgpr80
	s_and_saveexec_b32 s4, vcc_lo
	s_xor_b32 s4, exec_lo, s4
; %bb.55:
	v_bfe_u32 v80, v92, 16, 1
	s_delay_alu instid0(VALU_DEP_1)
	v_add3_u32 v80, v92, v80, 0x7fff
                                        ; implicit-def: $vgpr92
; %bb.56:
	s_and_not1_saveexec_b32 s4, s4
; %bb.57:
	v_and_b32_e32 v80, 0xffff, v92
	v_or_b32_e32 v90, 0x10000, v92
	s_delay_alu instid0(VALU_DEP_2) | instskip(NEXT) | instid1(VALU_DEP_2)
	v_cmp_eq_u32_e32 vcc_lo, 0, v80
	v_cndmask_b32_e32 v80, v90, v92, vcc_lo
; %bb.58:
	s_or_b32 exec_lo, exec_lo, s4
	v_and_b32_e32 v90, 0x7f800000, v91
	s_delay_alu instid0(VALU_DEP_1) | instskip(SKIP_1) | instid1(SALU_CYCLE_1)
	v_cmp_ne_u32_e32 vcc_lo, 0x7f800000, v90
                                        ; implicit-def: $vgpr90
	s_and_saveexec_b32 s4, vcc_lo
	s_xor_b32 s4, exec_lo, s4
; %bb.59:
	v_bfe_u32 v90, v91, 16, 1
	s_delay_alu instid0(VALU_DEP_1)
	v_add3_u32 v90, v91, v90, 0x7fff
                                        ; implicit-def: $vgpr91
; %bb.60:
	s_and_not1_saveexec_b32 s4, s4
; %bb.61:
	v_and_b32_e32 v90, 0xffff, v91
	v_or_b32_e32 v92, 0x10000, v91
	s_delay_alu instid0(VALU_DEP_2) | instskip(NEXT) | instid1(VALU_DEP_2)
	v_cmp_eq_u32_e32 vcc_lo, 0, v90
	v_cndmask_b32_e32 v90, v92, v91, vcc_lo
; %bb.62:
	s_or_b32 exec_lo, exec_lo, s4
	v_and_b32_e32 v91, 0x7f800000, v86
	s_delay_alu instid0(VALU_DEP_1) | instskip(SKIP_1) | instid1(SALU_CYCLE_1)
	v_cmp_ne_u32_e32 vcc_lo, 0x7f800000, v91
                                        ; implicit-def: $vgpr91
	s_and_saveexec_b32 s4, vcc_lo
	s_xor_b32 s4, exec_lo, s4
; %bb.63:
	v_bfe_u32 v91, v86, 16, 1
	s_delay_alu instid0(VALU_DEP_1)
	v_add3_u32 v91, v86, v91, 0x7fff
                                        ; implicit-def: $vgpr86
; %bb.64:
	s_and_not1_saveexec_b32 s4, s4
; %bb.65:
	v_and_b32_e32 v91, 0xffff, v86
	v_or_b32_e32 v92, 0x10000, v86
	s_delay_alu instid0(VALU_DEP_2) | instskip(NEXT) | instid1(VALU_DEP_2)
	v_cmp_eq_u32_e32 vcc_lo, 0, v91
	v_cndmask_b32_e32 v91, v92, v86, vcc_lo
; %bb.66:
	s_or_b32 exec_lo, exec_lo, s4
	v_and_b32_e32 v86, 0x7f800000, v87
	s_delay_alu instid0(VALU_DEP_1) | instskip(SKIP_1) | instid1(SALU_CYCLE_1)
	v_cmp_ne_u32_e32 vcc_lo, 0x7f800000, v86
                                        ; implicit-def: $vgpr86
	s_and_saveexec_b32 s4, vcc_lo
	s_xor_b32 s4, exec_lo, s4
; %bb.67:
	v_bfe_u32 v86, v87, 16, 1
	s_delay_alu instid0(VALU_DEP_1)
	v_add3_u32 v86, v87, v86, 0x7fff
                                        ; implicit-def: $vgpr87
; %bb.68:
	s_and_not1_saveexec_b32 s4, s4
; %bb.69:
	v_and_b32_e32 v86, 0xffff, v87
	v_or_b32_e32 v92, 0x10000, v87
	s_delay_alu instid0(VALU_DEP_2) | instskip(NEXT) | instid1(VALU_DEP_2)
	v_cmp_eq_u32_e32 vcc_lo, 0, v86
	v_cndmask_b32_e32 v86, v92, v87, vcc_lo
; %bb.70:
	s_or_b32 exec_lo, exec_lo, s4
	v_and_b32_e32 v87, 0x7f800000, v88
	s_delay_alu instid0(VALU_DEP_1) | instskip(SKIP_1) | instid1(SALU_CYCLE_1)
	v_cmp_ne_u32_e32 vcc_lo, 0x7f800000, v87
                                        ; implicit-def: $vgpr87
	s_and_saveexec_b32 s4, vcc_lo
	s_xor_b32 s4, exec_lo, s4
; %bb.71:
	v_bfe_u32 v87, v88, 16, 1
	s_delay_alu instid0(VALU_DEP_1)
	v_add3_u32 v87, v88, v87, 0x7fff
                                        ; implicit-def: $vgpr88
; %bb.72:
	s_and_not1_saveexec_b32 s4, s4
; %bb.73:
	v_and_b32_e32 v87, 0xffff, v88
	v_or_b32_e32 v92, 0x10000, v88
	s_delay_alu instid0(VALU_DEP_2) | instskip(NEXT) | instid1(VALU_DEP_2)
	v_cmp_eq_u32_e32 vcc_lo, 0, v87
	v_cndmask_b32_e32 v87, v92, v88, vcc_lo
; %bb.74:
	s_or_b32 exec_lo, exec_lo, s4
	v_and_b32_e32 v88, 0x7f800000, v89
	s_delay_alu instid0(VALU_DEP_1) | instskip(SKIP_1) | instid1(SALU_CYCLE_1)
	v_cmp_ne_u32_e32 vcc_lo, 0x7f800000, v88
                                        ; implicit-def: $vgpr88
	s_and_saveexec_b32 s4, vcc_lo
	s_xor_b32 s4, exec_lo, s4
; %bb.75:
	v_bfe_u32 v88, v89, 16, 1
	s_delay_alu instid0(VALU_DEP_1)
	v_add3_u32 v88, v89, v88, 0x7fff
                                        ; implicit-def: $vgpr89
; %bb.76:
	s_and_not1_saveexec_b32 s4, s4
; %bb.77:
	v_and_b32_e32 v88, 0xffff, v89
	v_or_b32_e32 v92, 0x10000, v89
	s_delay_alu instid0(VALU_DEP_2) | instskip(NEXT) | instid1(VALU_DEP_2)
	v_cmp_eq_u32_e32 vcc_lo, 0, v88
	v_cndmask_b32_e32 v88, v92, v89, vcc_lo
; %bb.78:
	s_or_b32 exec_lo, exec_lo, s4
	s_delay_alu instid0(VALU_DEP_1)
	v_perm_b32 v89, v88, v87, 0x7060302
	v_perm_b32 v88, v86, v91, 0x7060302
	;; [unrolled: 1-line block ×4, first 2 shown]
	v_lshl_or_b32 v90, v74, 11, v85
	ds_store_b128 v77, v[86:89] offset:1024
	s_waitcnt lgkmcnt(0)
	s_barrier
	buffer_gl0_inv
	ds_load_b128 v[91:94], v90
	ds_load_b128 v[95:98], v90 offset:16
	v_lshlrev_b32_e32 v87, 2, v83
	s_delay_alu instid0(VALU_DEP_1)
	v_or_b32_e32 v88, 1, v87
	v_cmp_eq_u32_e32 vcc_lo, 1, v87
	v_cmp_eq_u32_e64 s5, 2, v87
	v_cmp_eq_u32_e64 s8, 3, v87
	;; [unrolled: 1-line block ×6, first 2 shown]
	v_or_b32_e32 v86, 2, v87
	v_cmp_eq_u32_e64 s11, 5, v87
	v_cmp_eq_u32_e64 s12, 4, v88
	;; [unrolled: 1-line block ×4, first 2 shown]
	s_waitcnt lgkmcnt(1)
	v_lshrrev_b32_e32 v74, 16, v91
	s_waitcnt lgkmcnt(0)
	v_lshrrev_b32_e32 v103, 16, v95
	v_lshrrev_b32_e32 v80, 16, v94
	;; [unrolled: 1-line block ×4, first 2 shown]
	v_cndmask_b32_e32 v89, v91, v74, vcc_lo
	v_cndmask_b32_e32 v99, v95, v103, vcc_lo
	v_cndmask_b32_e64 v100, v91, v74, s4
	v_lshrrev_b32_e32 v79, 16, v93
	v_lshrrev_b32_e32 v108, 16, v97
	v_cndmask_b32_e64 v89, v89, v92, s5
	v_cndmask_b32_e64 v99, v99, v96, s5
	v_cndmask_b32_e64 v100, v100, v92, s7
	v_cndmask_b32_e64 v101, v95, v103, s4
	v_cmp_eq_u32_e64 s6, 1, v86
	v_cndmask_b32_e64 v89, v89, v78, s8
	v_cndmask_b32_e64 v99, v99, v107, s8
	v_cndmask_b32_e64 v100, v100, v78, s9
	v_cndmask_b32_e64 v101, v101, v96, s7
	v_lshrrev_b32_e32 v109, 16, v98
	v_cndmask_b32_e64 v89, v89, v93, s10
	v_cndmask_b32_e64 v99, v99, v97, s10
	;; [unrolled: 1-line block ×8, first 2 shown]
	v_cmp_eq_u32_e64 s16, 7, v87
	v_cmp_eq_u32_e64 s17, 6, v88
	v_cndmask_b32_e64 v89, v89, v94, s13
	v_cndmask_b32_e64 v99, v99, v98, s13
	v_cmp_eq_u32_e64 s18, 2, v86
	v_cndmask_b32_e64 v101, v101, v97, s12
	v_cndmask_b32_e64 v100, v100, v94, s17
	;; [unrolled: 1-line block ×6, first 2 shown]
	v_cmp_eq_u32_e64 s19, 7, v88
	v_cmp_eq_u32_e64 s20, 3, v86
	;; [unrolled: 1-line block ×4, first 2 shown]
	v_cndmask_b32_e64 v99, v99, v96, s18
	v_cndmask_b32_e64 v112, v100, v80, s19
	;; [unrolled: 1-line block ×4, first 2 shown]
	v_or_b32_e32 v89, 3, v87
	v_cndmask_b32_e64 v105, v99, v107, s20
	v_cmp_eq_u32_e64 s25, 6, v86
	v_cndmask_b32_e64 v113, v100, v98, s17
	v_cndmask_b32_e64 v104, v101, v93, s21
	ds_load_b128 v[99:102], v90 offset:1024
	v_cmp_eq_u32_e64 s22, 1, v89
	v_cmp_eq_u32_e64 s24, 2, v89
	;; [unrolled: 1-line block ×3, first 2 shown]
	v_cndmask_b32_e64 v114, v104, v79, s23
	v_cmp_eq_u32_e64 s27, 4, v89
	v_cndmask_b32_e64 v74, v91, v74, s22
	v_cndmask_b32_e64 v91, v105, v97, s21
	v_cndmask_b32_e64 v95, v95, v103, s22
	ds_load_b128 v[103:106], v90 offset:1040
	v_cmp_eq_u32_e64 s29, 5, v89
	v_cndmask_b32_e64 v74, v74, v92, s24
	v_cndmask_b32_e64 v91, v91, v108, s23
	;; [unrolled: 1-line block ×3, first 2 shown]
	v_cmp_eq_u32_e64 s30, 6, v89
	v_cndmask_b32_e64 v95, v113, v109, s19
	v_cndmask_b32_e64 v74, v74, v78, s26
	;; [unrolled: 1-line block ×5, first 2 shown]
	s_waitcnt lgkmcnt(1)
	v_lshrrev_b32_e32 v96, 16, v99
	v_cndmask_b32_e64 v74, v74, v93, s27
	v_lshrrev_b32_e32 v107, 16, v100
	v_cndmask_b32_e64 v92, v92, v97, s27
	v_cmp_eq_u32_e64 s28, 7, v86
	v_cndmask_b32_e32 v93, v99, v96, vcc_lo
	v_cndmask_b32_e64 v74, v74, v79, s29
	s_delay_alu instid0(VALU_DEP_4)
	v_cndmask_b32_e64 v79, v92, v108, s29
	s_waitcnt lgkmcnt(0)
	v_lshrrev_b32_e32 v97, 16, v103
	v_cndmask_b32_e64 v92, v93, v100, s5
	v_cndmask_b32_e64 v93, v99, v96, s4
	;; [unrolled: 1-line block ×4, first 2 shown]
	v_cndmask_b32_e32 v108, v103, v97, vcc_lo
	v_cndmask_b32_e64 v92, v92, v107, s8
	v_cndmask_b32_e64 v93, v93, v100, s7
	v_lshrrev_b32_e32 v98, 16, v104
	v_cmp_eq_u32_e32 vcc_lo, 7, v89
	v_cndmask_b32_e64 v94, v108, v104, s5
	v_cndmask_b32_e64 v92, v92, v101, s10
	v_lshrrev_b32_e32 v108, 16, v101
	v_cndmask_b32_e64 v93, v93, v107, s9
	v_cndmask_b32_e32 v74, v74, v80, vcc_lo
	v_cndmask_b32_e64 v94, v94, v98, s8
	v_cndmask_b32_e32 v79, v79, v109, vcc_lo
	v_cndmask_b32_e64 v92, v92, v108, s11
	v_cndmask_b32_e64 v78, v78, v80, s28
	;; [unrolled: 1-line block ×4, first 2 shown]
	v_perm_b32 v94, v79, v74, 0x5040100
	v_cndmask_b32_e64 v79, v92, v102, s13
	v_perm_b32 v92, v95, v112, 0x5040100
	v_cndmask_b32_e64 v95, v99, v96, s6
	v_cndmask_b32_e64 v96, v99, v96, s22
	;; [unrolled: 1-line block ×16, first 2 shown]
	v_lshrrev_b32_e32 v109, 16, v105
	v_cndmask_b32_e64 v95, v95, v101, s21
	v_cndmask_b32_e64 v96, v96, v101, s27
	;; [unrolled: 1-line block ×6, first 2 shown]
	v_lshrrev_b32_e32 v80, 16, v102
	v_cndmask_b32_e64 v113, v93, v109, s11
	v_cndmask_b32_e64 v95, v95, v108, s23
	;; [unrolled: 1-line block ×6, first 2 shown]
	v_perm_b32 v93, v91, v78, 0x5040100
	v_cndmask_b32_e64 v74, v74, v102, s17
	v_cndmask_b32_e64 v78, v79, v80, s16
	;; [unrolled: 1-line block ×3, first 2 shown]
	v_lshrrev_b32_e32 v91, 16, v106
	v_cndmask_b32_e64 v95, v95, v102, s25
	v_cndmask_b32_e64 v96, v96, v102, s30
	;; [unrolled: 1-line block ×7, first 2 shown]
	v_cndmask_b32_e32 v80, v96, v80, vcc_lo
	v_cndmask_b32_e32 v96, v98, v91, vcc_lo
	v_cndmask_b32_e64 v99, v99, v91, s28
	v_cndmask_b32_e64 v100, v97, v91, s19
	v_cndmask_b32_e64 v79, v79, v91, s16
	v_perm_b32 v91, v111, v110, 0x5040100
	v_perm_b32 v98, v96, v80, 0x5040100
	;; [unrolled: 1-line block ×5, first 2 shown]
	s_mul_i32 s9, s37, 9
	s_mov_b32 s4, exec_lo
	ds_store_b128 v77, v[91:94]
	ds_store_b128 v77, v[95:98] offset:1024
	v_cmpx_gt_u32_e32 9, v0
	s_cbranch_execz .LBB566_80
; %bb.79:
	s_mul_i32 s5, s9, s34
	s_load_b128 s[16:19], s[0:1], 0x58
	v_add3_u32 v77, s5, s31, v73
	s_delay_alu instid0(VALU_DEP_1) | instskip(NEXT) | instid1(VALU_DEP_1)
	v_mad_u64_u32 v[73:74], null, v77, s36, s[14:15]
	v_ashrrev_i32_e32 v74, 31, v73
	s_delay_alu instid0(VALU_DEP_1) | instskip(SKIP_1) | instid1(VALU_DEP_1)
	v_lshlrev_b64 v[73:74], 2, v[73:74]
	s_waitcnt lgkmcnt(0)
	v_add_co_u32 v77, vcc_lo, s18, v73
	s_delay_alu instid0(VALU_DEP_2)
	v_add_co_ci_u32_e32 v78, vcc_lo, s19, v74, vcc_lo
	v_add_co_u32 v73, vcc_lo, s16, v73
	v_add_co_ci_u32_e32 v74, vcc_lo, s17, v74, vcc_lo
	global_store_b32 v[77:78], v75, off
	global_store_b32 v[73:74], v76, off
.LBB566_80:
	s_or_b32 exec_lo, exec_lo, s4
	s_waitcnt lgkmcnt(0)
	s_waitcnt_vscnt null, 0x0
	s_barrier
	buffer_gl0_inv
	ds_load_b128 v[91:94], v85
	ds_load_b128 v[95:98], v85 offset:16
	ds_load_b128 v[103:106], v85 offset:1040
	;; [unrolled: 1-line block ×3, first 2 shown]
	v_mov_b32_e32 v73, 0
	ds_load_b128 v[111:114], v85 offset:2064
	ds_load_b128 v[107:110], v85 offset:2048
	;; [unrolled: 1-line block ×6, first 2 shown]
	v_mov_b32_e32 v74, v73
	v_mov_b32_e32 v75, v73
	;; [unrolled: 1-line block ×7, first 2 shown]
	s_waitcnt lgkmcnt(8)
	s_delay_alu instid0(VALU_DEP_1)
	v_wmma_f32_16x16x16_bf16 v[73:80], v[65:72], v[91:98], v[73:80]
	ds_load_b128 v[69:72], v85 offset:5136
	ds_load_b128 v[65:68], v85 offset:5120
	;; [unrolled: 1-line block ×4, first 2 shown]
	s_waitcnt lgkmcnt(10)
	v_wmma_f32_16x16x16_bf16 v[73:80], v[57:64], v[99:106], v[73:80]
	s_waitcnt lgkmcnt(8)
	s_delay_alu instid0(VALU_DEP_1)
	v_wmma_f32_16x16x16_bf16 v[73:80], v[57:64], v[107:114], v[73:80]
	ds_load_b128 v[61:64], v85 offset:7184
	ds_load_b128 v[57:60], v85 offset:7168
	;; [unrolled: 1-line block ×4, first 2 shown]
	s_waitcnt lgkmcnt(10)
	v_wmma_f32_16x16x16_bf16 v[73:80], v[49:56], v[115:122], v[73:80]
	s_waitcnt lgkmcnt(8)
	s_delay_alu instid0(VALU_DEP_1)
	v_wmma_f32_16x16x16_bf16 v[73:80], v[49:56], v[123:130], v[73:80]
	ds_load_b128 v[53:56], v85 offset:9232
	ds_load_b128 v[49:52], v85 offset:9216
	s_waitcnt lgkmcnt(8)
	v_wmma_f32_16x16x16_bf16 v[73:80], v[41:48], v[65:72], v[73:80]
	ds_load_b128 v[69:72], v85 offset:10256
	ds_load_b128 v[65:68], v85 offset:10240
	s_waitcnt lgkmcnt(8)
	;; [unrolled: 4-line block ×3, first 2 shown]
	v_wmma_f32_16x16x16_bf16 v[73:80], v[9:16], v[57:64], v[73:80]
	s_waitcnt lgkmcnt(6)
	s_delay_alu instid0(VALU_DEP_1)
	v_wmma_f32_16x16x16_bf16 v[73:80], v[9:16], v[99:106], v[73:80]
	ds_load_b128 v[13:16], v85 offset:12304
	ds_load_b128 v[9:12], v85 offset:12288
	s_waitcnt lgkmcnt(6)
	v_wmma_f32_16x16x16_bf16 v[73:80], v[1:8], v[49:56], v[73:80]
	ds_load_b128 v[53:56], v85 offset:13328
	ds_load_b128 v[49:52], v85 offset:13312
	s_waitcnt lgkmcnt(6)
	v_wmma_f32_16x16x16_bf16 v[73:80], v[1:8], v[65:72], v[73:80]
	ds_load_b128 v[5:8], v85 offset:14352
	ds_load_b128 v[1:4], v85 offset:14336
	s_waitcnt lgkmcnt(6)
	v_wmma_f32_16x16x16_bf16 v[73:80], v[33:40], v[41:48], v[73:80]
	ds_load_b128 v[45:48], v85 offset:15376
	ds_load_b128 v[41:44], v85 offset:15360
	s_waitcnt lgkmcnt(6)
	v_wmma_f32_16x16x16_bf16 v[73:80], v[33:40], v[9:16], v[73:80]
	s_waitcnt lgkmcnt(4)
	s_delay_alu instid0(VALU_DEP_1) | instskip(SKIP_1) | instid1(VALU_DEP_1)
	v_wmma_f32_16x16x16_bf16 v[73:80], v[25:32], v[49:56], v[73:80]
	s_waitcnt lgkmcnt(2)
	v_wmma_f32_16x16x16_bf16 v[73:80], v[25:32], v[1:8], v[73:80]
	s_waitcnt lgkmcnt(0)
	s_delay_alu instid0(VALU_DEP_1) | instskip(NEXT) | instid1(VALU_DEP_1)
	v_wmma_f32_16x16x16_bf16 v[73:80], v[17:24], v[41:48], v[73:80]
	v_and_b32_e32 v1, 0x7f800000, v73
	s_delay_alu instid0(VALU_DEP_1) | instskip(SKIP_1) | instid1(SALU_CYCLE_1)
	v_cmp_ne_u32_e32 vcc_lo, 0x7f800000, v1
                                        ; implicit-def: $vgpr1
	s_and_saveexec_b32 s4, vcc_lo
	s_xor_b32 s4, exec_lo, s4
; %bb.81:
	v_bfe_u32 v1, v73, 16, 1
	s_delay_alu instid0(VALU_DEP_1)
	v_add3_u32 v1, v73, v1, 0x7fff
; %bb.82:
	s_and_not1_saveexec_b32 s4, s4
; %bb.83:
	v_and_b32_e32 v1, 0xffff, v73
	v_or_b32_e32 v2, 0x10000, v73
	s_delay_alu instid0(VALU_DEP_2) | instskip(NEXT) | instid1(VALU_DEP_2)
	v_cmp_eq_u32_e32 vcc_lo, 0, v1
	v_cndmask_b32_e32 v1, v2, v73, vcc_lo
; %bb.84:
	s_or_b32 exec_lo, exec_lo, s4
	v_and_b32_e32 v2, 0x7f800000, v74
	s_delay_alu instid0(VALU_DEP_1) | instskip(SKIP_1) | instid1(SALU_CYCLE_1)
	v_cmp_ne_u32_e32 vcc_lo, 0x7f800000, v2
                                        ; implicit-def: $vgpr2
	s_and_saveexec_b32 s4, vcc_lo
	s_xor_b32 s4, exec_lo, s4
; %bb.85:
	v_bfe_u32 v2, v74, 16, 1
	s_delay_alu instid0(VALU_DEP_1)
	v_add3_u32 v2, v74, v2, 0x7fff
; %bb.86:
	s_and_not1_saveexec_b32 s4, s4
; %bb.87:
	v_and_b32_e32 v2, 0xffff, v74
	v_or_b32_e32 v3, 0x10000, v74
	s_delay_alu instid0(VALU_DEP_2) | instskip(NEXT) | instid1(VALU_DEP_2)
	v_cmp_eq_u32_e32 vcc_lo, 0, v2
	v_cndmask_b32_e32 v2, v3, v74, vcc_lo
; %bb.88:
	s_or_b32 exec_lo, exec_lo, s4
	v_and_b32_e32 v3, 0x7f800000, v75
	s_delay_alu instid0(VALU_DEP_1) | instskip(SKIP_1) | instid1(SALU_CYCLE_1)
	v_cmp_ne_u32_e32 vcc_lo, 0x7f800000, v3
                                        ; implicit-def: $vgpr3
	s_and_saveexec_b32 s4, vcc_lo
	s_xor_b32 s4, exec_lo, s4
; %bb.89:
	v_bfe_u32 v3, v75, 16, 1
	s_delay_alu instid0(VALU_DEP_1)
	v_add3_u32 v3, v75, v3, 0x7fff
; %bb.90:
	s_and_not1_saveexec_b32 s4, s4
; %bb.91:
	v_and_b32_e32 v3, 0xffff, v75
	v_or_b32_e32 v4, 0x10000, v75
	s_delay_alu instid0(VALU_DEP_2) | instskip(NEXT) | instid1(VALU_DEP_2)
	v_cmp_eq_u32_e32 vcc_lo, 0, v3
	v_cndmask_b32_e32 v3, v4, v75, vcc_lo
; %bb.92:
	s_or_b32 exec_lo, exec_lo, s4
	v_and_b32_e32 v4, 0x7f800000, v76
	s_delay_alu instid0(VALU_DEP_1) | instskip(SKIP_1) | instid1(SALU_CYCLE_1)
	v_cmp_ne_u32_e32 vcc_lo, 0x7f800000, v4
                                        ; implicit-def: $vgpr4
	s_and_saveexec_b32 s4, vcc_lo
	s_xor_b32 s4, exec_lo, s4
; %bb.93:
	v_bfe_u32 v4, v76, 16, 1
	s_delay_alu instid0(VALU_DEP_1)
	v_add3_u32 v4, v76, v4, 0x7fff
; %bb.94:
	s_and_not1_saveexec_b32 s4, s4
; %bb.95:
	v_and_b32_e32 v4, 0xffff, v76
	v_or_b32_e32 v5, 0x10000, v76
	s_delay_alu instid0(VALU_DEP_2) | instskip(NEXT) | instid1(VALU_DEP_2)
	v_cmp_eq_u32_e32 vcc_lo, 0, v4
	v_cndmask_b32_e32 v4, v5, v76, vcc_lo
; %bb.96:
	s_or_b32 exec_lo, exec_lo, s4
	v_and_b32_e32 v5, 0x7f800000, v77
	s_delay_alu instid0(VALU_DEP_1) | instskip(SKIP_1) | instid1(SALU_CYCLE_1)
	v_cmp_ne_u32_e32 vcc_lo, 0x7f800000, v5
                                        ; implicit-def: $vgpr5
	s_and_saveexec_b32 s4, vcc_lo
	s_xor_b32 s4, exec_lo, s4
; %bb.97:
	v_bfe_u32 v5, v77, 16, 1
	s_delay_alu instid0(VALU_DEP_1)
	v_add3_u32 v5, v77, v5, 0x7fff
; %bb.98:
	s_and_not1_saveexec_b32 s4, s4
; %bb.99:
	v_and_b32_e32 v5, 0xffff, v77
	v_or_b32_e32 v6, 0x10000, v77
	s_delay_alu instid0(VALU_DEP_2) | instskip(NEXT) | instid1(VALU_DEP_2)
	v_cmp_eq_u32_e32 vcc_lo, 0, v5
	v_cndmask_b32_e32 v5, v6, v77, vcc_lo
; %bb.100:
	s_or_b32 exec_lo, exec_lo, s4
	v_and_b32_e32 v6, 0x7f800000, v78
	s_delay_alu instid0(VALU_DEP_1) | instskip(SKIP_1) | instid1(SALU_CYCLE_1)
	v_cmp_ne_u32_e32 vcc_lo, 0x7f800000, v6
                                        ; implicit-def: $vgpr6
	s_and_saveexec_b32 s4, vcc_lo
	s_xor_b32 s4, exec_lo, s4
; %bb.101:
	v_bfe_u32 v6, v78, 16, 1
	s_delay_alu instid0(VALU_DEP_1)
	v_add3_u32 v6, v78, v6, 0x7fff
; %bb.102:
	s_and_not1_saveexec_b32 s4, s4
; %bb.103:
	v_and_b32_e32 v6, 0xffff, v78
	v_or_b32_e32 v7, 0x10000, v78
	s_delay_alu instid0(VALU_DEP_2) | instskip(NEXT) | instid1(VALU_DEP_2)
	v_cmp_eq_u32_e32 vcc_lo, 0, v6
	v_cndmask_b32_e32 v6, v7, v78, vcc_lo
; %bb.104:
	s_or_b32 exec_lo, exec_lo, s4
	v_and_b32_e32 v7, 0x7f800000, v79
	s_delay_alu instid0(VALU_DEP_1) | instskip(SKIP_1) | instid1(SALU_CYCLE_1)
	v_cmp_ne_u32_e32 vcc_lo, 0x7f800000, v7
                                        ; implicit-def: $vgpr7
	s_and_saveexec_b32 s4, vcc_lo
	s_xor_b32 s4, exec_lo, s4
; %bb.105:
	v_bfe_u32 v7, v79, 16, 1
	s_delay_alu instid0(VALU_DEP_1)
	v_add3_u32 v7, v79, v7, 0x7fff
; %bb.106:
	s_and_not1_saveexec_b32 s4, s4
; %bb.107:
	v_and_b32_e32 v7, 0xffff, v79
	v_or_b32_e32 v8, 0x10000, v79
	s_delay_alu instid0(VALU_DEP_2) | instskip(NEXT) | instid1(VALU_DEP_2)
	v_cmp_eq_u32_e32 vcc_lo, 0, v7
	v_cndmask_b32_e32 v7, v8, v79, vcc_lo
; %bb.108:
	s_or_b32 exec_lo, exec_lo, s4
	v_and_b32_e32 v8, 0x7f800000, v80
	s_delay_alu instid0(VALU_DEP_1) | instskip(SKIP_1) | instid1(SALU_CYCLE_1)
	v_cmp_ne_u32_e32 vcc_lo, 0x7f800000, v8
                                        ; implicit-def: $vgpr8
	s_and_saveexec_b32 s4, vcc_lo
	s_xor_b32 s4, exec_lo, s4
; %bb.109:
	v_bfe_u32 v8, v80, 16, 1
	s_delay_alu instid0(VALU_DEP_1)
	v_add3_u32 v8, v80, v8, 0x7fff
                                        ; implicit-def: $vgpr73_vgpr74_vgpr75_vgpr76_vgpr77_vgpr78_vgpr79_vgpr80
; %bb.110:
	s_and_not1_saveexec_b32 s4, s4
; %bb.111:
	v_and_b32_e32 v8, 0xffff, v80
	v_or_b32_e32 v9, 0x10000, v80
	s_delay_alu instid0(VALU_DEP_2) | instskip(NEXT) | instid1(VALU_DEP_2)
	v_cmp_eq_u32_e32 vcc_lo, 0, v8
	v_cndmask_b32_e32 v8, v9, v80, vcc_lo
; %bb.112:
	s_or_b32 exec_lo, exec_lo, s4
	s_delay_alu instid0(VALU_DEP_1)
	v_perm_b32 v7, v8, v7, 0x7060302
	v_perm_b32 v6, v6, v5, 0x7060302
	;; [unrolled: 1-line block ×4, first 2 shown]
	v_lshl_or_b32 v9, v83, 4, v90
	s_barrier
	buffer_gl0_inv
	v_cmp_eq_u32_e32 vcc_lo, 1, v87
	ds_store_b128 v9, v[4:7]
	s_waitcnt lgkmcnt(0)
	s_barrier
	buffer_gl0_inv
	ds_load_b128 v[1:4], v90
	ds_load_b128 v[5:8], v90 offset:16
	v_cmp_eq_u32_e64 s5, 2, v87
	v_cmp_eq_u32_e64 s4, 1, v88
	;; [unrolled: 1-line block ×5, first 2 shown]
	s_waitcnt lgkmcnt(1)
	v_lshrrev_b32_e32 v10, 16, v1
	s_waitcnt lgkmcnt(0)
	v_lshrrev_b32_e32 v14, 16, v5
	v_lshrrev_b32_e32 v15, 16, v6
	;; [unrolled: 1-line block ×4, first 2 shown]
	v_cndmask_b32_e64 v20, v1, v10, s4
	v_cndmask_b32_e32 v19, v5, v14, vcc_lo
	v_cndmask_b32_e64 v21, v5, v14, s4
	v_lshrrev_b32_e32 v16, 16, v7
	v_cmp_eq_u32_e64 s4, 1, v86
	v_lshrrev_b32_e32 v13, 16, v4
	v_cndmask_b32_e64 v19, v19, v6, s5
	v_lshrrev_b32_e32 v17, 16, v8
	s_delay_alu instid0(VALU_DEP_4) | instskip(SKIP_1) | instid1(VALU_DEP_4)
	v_cndmask_b32_e64 v22, v1, v10, s4
	v_cndmask_b32_e64 v23, v5, v14, s4
	v_cndmask_b32_e64 v19, v19, v15, s6
	v_cndmask_b32_e32 v18, v1, v10, vcc_lo
	v_cmp_eq_u32_e32 vcc_lo, 2, v88
	v_cmp_eq_u32_e64 s4, 2, v89
	v_cndmask_b32_e64 v22, v22, v2, s8
	v_cndmask_b32_e32 v20, v20, v2, vcc_lo
	v_cndmask_b32_e32 v21, v21, v6, vcc_lo
	v_cmp_eq_u32_e32 vcc_lo, 4, v87
	v_cndmask_b32_e32 v19, v19, v7, vcc_lo
	v_cndmask_b32_e64 v18, v18, v2, s5
	v_cmp_eq_u32_e64 s5, 3, v88
	s_delay_alu instid0(VALU_DEP_2) | instskip(NEXT) | instid1(VALU_DEP_2)
	v_cndmask_b32_e64 v18, v18, v11, s6
	v_cndmask_b32_e64 v21, v21, v15, s5
	v_cmp_eq_u32_e64 s6, 5, v87
	s_delay_alu instid0(VALU_DEP_3) | instskip(SKIP_1) | instid1(VALU_DEP_3)
	v_cndmask_b32_e32 v18, v18, v3, vcc_lo
	v_cmp_eq_u32_e32 vcc_lo, 4, v88
	v_cndmask_b32_e64 v19, v19, v16, s6
	s_delay_alu instid0(VALU_DEP_3) | instskip(SKIP_4) | instid1(VALU_DEP_3)
	v_cndmask_b32_e64 v18, v18, v12, s6
	v_cndmask_b32_e32 v21, v21, v7, vcc_lo
	v_cndmask_b32_e64 v20, v20, v11, s5
	v_cmp_eq_u32_e64 s5, 5, v88
	v_cmp_eq_u32_e64 s6, 6, v87
	v_cndmask_b32_e32 v20, v20, v3, vcc_lo
	s_delay_alu instid0(VALU_DEP_3) | instskip(SKIP_1) | instid1(VALU_DEP_4)
	v_cndmask_b32_e64 v21, v21, v16, s5
	v_cmp_eq_u32_e32 vcc_lo, 6, v88
	v_cndmask_b32_e64 v18, v18, v4, s6
	v_cndmask_b32_e64 v19, v19, v8, s6
	;; [unrolled: 1-line block ×3, first 2 shown]
	v_cmp_eq_u32_e64 s5, 1, v89
	v_cmp_eq_u32_e64 s6, 7, v87
	s_delay_alu instid0(VALU_DEP_3) | instskip(NEXT) | instid1(VALU_DEP_3)
	v_cndmask_b32_e32 v20, v20, v4, vcc_lo
	v_cndmask_b32_e64 v1, v1, v10, s5
	v_cndmask_b32_e64 v5, v5, v14, s5
	v_cmp_eq_u32_e64 s5, 3, v86
	v_cndmask_b32_e64 v14, v23, v6, s8
	v_cmp_eq_u32_e64 s8, 3, v89
	v_cndmask_b32_e64 v1, v1, v2, s4
	v_cndmask_b32_e64 v2, v5, v6, s4
	;; [unrolled: 1-line block ×3, first 2 shown]
	v_cmp_eq_u32_e64 s4, 4, v86
	v_cndmask_b32_e64 v6, v14, v15, s5
	v_cndmask_b32_e64 v1, v1, v11, s8
	v_cmp_eq_u32_e64 s5, 4, v89
	v_cndmask_b32_e64 v2, v2, v15, s8
	v_cndmask_b32_e64 v5, v10, v3, s4
	;; [unrolled: 3-line block ×3, first 2 shown]
	v_cndmask_b32_e64 v2, v2, v7, s5
	v_cmp_eq_u32_e64 s4, 5, v89
	v_cndmask_b32_e64 v5, v5, v12, s8
	v_cmp_eq_u32_e64 s5, 6, v86
	v_cndmask_b32_e64 v3, v6, v16, s8
	v_cmp_eq_u32_e64 s8, 6, v89
	v_cndmask_b32_e64 v1, v1, v12, s4
	v_cndmask_b32_e64 v2, v2, v16, s4
	;; [unrolled: 1-line block ×4, first 2 shown]
	v_cmp_eq_u32_e64 s4, 7, v89
	v_cndmask_b32_e64 v1, v1, v4, s8
	v_cndmask_b32_e64 v2, v2, v8, s8
	v_cmp_eq_u32_e64 s5, 7, v86
	v_cndmask_b32_e32 v4, v21, v8, vcc_lo
	v_cndmask_b32_e64 v18, v18, v13, s6
	v_cndmask_b32_e64 v20, v20, v13, s7
	;; [unrolled: 1-line block ×8, first 2 shown]
	v_cmp_gt_u32_e32 vcc_lo, 32, v0
	v_perm_b32 v4, v2, v1, 0x5040100
	v_perm_b32 v3, v3, v5, 0x5040100
	;; [unrolled: 1-line block ×4, first 2 shown]
	s_and_b32 s2, vcc_lo, s2
	ds_store_b128 v9, v[1:4]
	s_waitcnt lgkmcnt(0)
	s_barrier
	buffer_gl0_inv
	s_and_saveexec_b32 s4, s2
	s_cbranch_execz .LBB566_2
; %bb.113:
	s_load_b64 s[4:5], s[0:1], 0x68
	v_lshlrev_b32_e32 v0, 10, v0
	v_lshlrev_b32_e32 v1, 4, v84
	s_lshl_b32 s0, s36, 6
	v_add_nc_u32_e32 v2, s31, v83
	s_mul_i32 s1, s0, s34
	s_delay_alu instid0(SALU_CYCLE_1) | instskip(SKIP_1) | instid1(VALU_DEP_2)
	s_mul_i32 s6, s1, s9
	v_and_or_b32 v0, 0x3800, v0, v1
	v_mul_lo_u32 v1, v2, s0
	s_ashr_i32 s7, s6, 31
	v_add_nc_u32_e32 v3, 2, v2
	s_lshl_b64 s[6:7], s[6:7], 1
	v_add_nc_u32_e32 v4, 4, v2
	v_add_nc_u32_e32 v5, 6, v2
	v_lshl_or_b32 v15, v83, 6, v0
	v_mul_lo_u32 v3, v3, s0
	v_ashrrev_i32_e32 v2, 31, v1
	v_mul_lo_u32 v19, v4, s0
	v_mul_lo_u32 v21, v5, s0
	s_waitcnt lgkmcnt(0)
	s_add_u32 s1, s4, s6
	s_addc_u32 s2, s5, s7
	s_lshl_b32 s4, s14, 6
	v_lshlrev_b64 v[5:6], 1, v[1:2]
	s_ashr_i32 s5, s4, 31
	v_ashrrev_i32_e32 v4, 31, v3
	s_lshl_b64 s[4:5], s[4:5], 1
	v_ashrrev_i32_e32 v20, 31, v19
	s_add_u32 s1, s1, s4
	s_addc_u32 s2, s2, s5
	v_add_co_u32 v1, vcc_lo, s1, v81
	v_add_co_ci_u32_e32 v2, vcc_lo, s2, v82, vcc_lo
	v_lshlrev_b64 v[25:26], 1, v[3:4]
	s_delay_alu instid0(VALU_DEP_3) | instskip(NEXT) | instid1(VALU_DEP_3)
	v_add_co_u32 v23, vcc_lo, v1, v5
	v_add_co_ci_u32_e32 v24, vcc_lo, v2, v6, vcc_lo
	ds_load_b128 v[3:6], v15
	ds_load_b128 v[7:10], v15 offset:128
	ds_load_b128 v[11:14], v15 offset:256
	;; [unrolled: 1-line block ×3, first 2 shown]
	v_ashrrev_i32_e32 v22, 31, v21
	v_lshlrev_b64 v[19:20], 1, v[19:20]
	v_add_co_u32 v25, vcc_lo, v1, v25
	v_add_co_ci_u32_e32 v26, vcc_lo, v2, v26, vcc_lo
	s_delay_alu instid0(VALU_DEP_4) | instskip(NEXT) | instid1(VALU_DEP_4)
	v_lshlrev_b64 v[21:22], 1, v[21:22]
	v_add_co_u32 v19, vcc_lo, v1, v19
	v_add_co_ci_u32_e32 v20, vcc_lo, v2, v20, vcc_lo
	s_delay_alu instid0(VALU_DEP_3) | instskip(NEXT) | instid1(VALU_DEP_4)
	v_add_co_u32 v21, vcc_lo, v1, v21
	v_add_co_ci_u32_e32 v22, vcc_lo, v2, v22, vcc_lo
	s_waitcnt lgkmcnt(3)
	global_store_b128 v[23:24], v[3:6], off
	s_waitcnt lgkmcnt(2)
	global_store_b128 v[25:26], v[7:10], off
	;; [unrolled: 2-line block ×4, first 2 shown]
	s_and_b32 exec_lo, exec_lo, s3
	s_cbranch_execz .LBB566_2
; %bb.114:
	ds_load_b128 v[3:6], v0 offset:512
	s_add_i32 s1, s31, 8
	s_delay_alu instid0(SALU_CYCLE_1) | instskip(NEXT) | instid1(SALU_CYCLE_1)
	s_mul_i32 s0, s1, s0
	s_ashr_i32 s1, s0, 31
	s_delay_alu instid0(SALU_CYCLE_1) | instskip(NEXT) | instid1(SALU_CYCLE_1)
	s_lshl_b64 s[0:1], s[0:1], 1
	v_add_co_u32 v0, vcc_lo, v1, s0
	v_add_co_ci_u32_e32 v1, vcc_lo, s1, v2, vcc_lo
	s_waitcnt lgkmcnt(0)
	global_store_b128 v[0:1], v[3:6], off
	s_nop 0
	s_sendmsg sendmsg(MSG_DEALLOC_VGPRS)
	s_endpgm
	.section	.rodata,"a",@progbits
	.p2align	6, 0x0
	.amdhsa_kernel _Z39paged_attention_ll4mi_QKV_mfma16_kernelI14__hip_bfloat16S0_LN4vllm18Fp8KVCacheDataTypeE0ES0_Li32ELi64ELi256ELb0ELi9EL8MFMAType0EEvPKT_PKT0_S9_ifPKiSB_SB_iPKfiiiPfSE_PS4_PT2_iSD_SD_
		.amdhsa_group_segment_fixed_size 17472
		.amdhsa_private_segment_fixed_size 0
		.amdhsa_kernarg_size 400
		.amdhsa_user_sgpr_count 13
		.amdhsa_user_sgpr_dispatch_ptr 0
		.amdhsa_user_sgpr_queue_ptr 0
		.amdhsa_user_sgpr_kernarg_segment_ptr 1
		.amdhsa_user_sgpr_dispatch_id 0
		.amdhsa_user_sgpr_private_segment_size 0
		.amdhsa_wavefront_size32 1
		.amdhsa_uses_dynamic_stack 0
		.amdhsa_enable_private_segment 0
		.amdhsa_system_sgpr_workgroup_id_x 1
		.amdhsa_system_sgpr_workgroup_id_y 1
		.amdhsa_system_sgpr_workgroup_id_z 1
		.amdhsa_system_sgpr_workgroup_info 0
		.amdhsa_system_vgpr_workitem_id 0
		.amdhsa_next_free_vgpr 142
		.amdhsa_next_free_sgpr 39
		.amdhsa_reserve_vcc 1
		.amdhsa_float_round_mode_32 0
		.amdhsa_float_round_mode_16_64 0
		.amdhsa_float_denorm_mode_32 3
		.amdhsa_float_denorm_mode_16_64 3
		.amdhsa_dx10_clamp 1
		.amdhsa_ieee_mode 1
		.amdhsa_fp16_overflow 0
		.amdhsa_workgroup_processor_mode 1
		.amdhsa_memory_ordered 1
		.amdhsa_forward_progress 0
		.amdhsa_shared_vgpr_count 0
		.amdhsa_exception_fp_ieee_invalid_op 0
		.amdhsa_exception_fp_denorm_src 0
		.amdhsa_exception_fp_ieee_div_zero 0
		.amdhsa_exception_fp_ieee_overflow 0
		.amdhsa_exception_fp_ieee_underflow 0
		.amdhsa_exception_fp_ieee_inexact 0
		.amdhsa_exception_int_div_zero 0
	.end_amdhsa_kernel
	.section	.text._Z39paged_attention_ll4mi_QKV_mfma16_kernelI14__hip_bfloat16S0_LN4vllm18Fp8KVCacheDataTypeE0ES0_Li32ELi64ELi256ELb0ELi9EL8MFMAType0EEvPKT_PKT0_S9_ifPKiSB_SB_iPKfiiiPfSE_PS4_PT2_iSD_SD_,"axG",@progbits,_Z39paged_attention_ll4mi_QKV_mfma16_kernelI14__hip_bfloat16S0_LN4vllm18Fp8KVCacheDataTypeE0ES0_Li32ELi64ELi256ELb0ELi9EL8MFMAType0EEvPKT_PKT0_S9_ifPKiSB_SB_iPKfiiiPfSE_PS4_PT2_iSD_SD_,comdat
.Lfunc_end566:
	.size	_Z39paged_attention_ll4mi_QKV_mfma16_kernelI14__hip_bfloat16S0_LN4vllm18Fp8KVCacheDataTypeE0ES0_Li32ELi64ELi256ELb0ELi9EL8MFMAType0EEvPKT_PKT0_S9_ifPKiSB_SB_iPKfiiiPfSE_PS4_PT2_iSD_SD_, .Lfunc_end566-_Z39paged_attention_ll4mi_QKV_mfma16_kernelI14__hip_bfloat16S0_LN4vllm18Fp8KVCacheDataTypeE0ES0_Li32ELi64ELi256ELb0ELi9EL8MFMAType0EEvPKT_PKT0_S9_ifPKiSB_SB_iPKfiiiPfSE_PS4_PT2_iSD_SD_
                                        ; -- End function
	.section	.AMDGPU.csdata,"",@progbits
; Kernel info:
; codeLenInByte = 9472
; NumSgprs: 41
; NumVgprs: 142
; ScratchSize: 0
; MemoryBound: 0
; FloatMode: 240
; IeeeMode: 1
; LDSByteSize: 17472 bytes/workgroup (compile time only)
; SGPRBlocks: 5
; VGPRBlocks: 17
; NumSGPRsForWavesPerEU: 41
; NumVGPRsForWavesPerEU: 142
; Occupancy: 10
; WaveLimiterHint : 1
; COMPUTE_PGM_RSRC2:SCRATCH_EN: 0
; COMPUTE_PGM_RSRC2:USER_SGPR: 13
; COMPUTE_PGM_RSRC2:TRAP_HANDLER: 0
; COMPUTE_PGM_RSRC2:TGID_X_EN: 1
; COMPUTE_PGM_RSRC2:TGID_Y_EN: 1
; COMPUTE_PGM_RSRC2:TGID_Z_EN: 1
; COMPUTE_PGM_RSRC2:TIDIG_COMP_CNT: 0
	.section	.text._Z39paged_attention_ll4mi_QKV_mfma16_kernelI14__hip_bfloat16S0_LN4vllm18Fp8KVCacheDataTypeE0ES0_Li32ELi64ELi256ELb0ELi10EL8MFMAType0EEvPKT_PKT0_S9_ifPKiSB_SB_iPKfiiiPfSE_PS4_PT2_iSD_SD_,"axG",@progbits,_Z39paged_attention_ll4mi_QKV_mfma16_kernelI14__hip_bfloat16S0_LN4vllm18Fp8KVCacheDataTypeE0ES0_Li32ELi64ELi256ELb0ELi10EL8MFMAType0EEvPKT_PKT0_S9_ifPKiSB_SB_iPKfiiiPfSE_PS4_PT2_iSD_SD_,comdat
	.protected	_Z39paged_attention_ll4mi_QKV_mfma16_kernelI14__hip_bfloat16S0_LN4vllm18Fp8KVCacheDataTypeE0ES0_Li32ELi64ELi256ELb0ELi10EL8MFMAType0EEvPKT_PKT0_S9_ifPKiSB_SB_iPKfiiiPfSE_PS4_PT2_iSD_SD_ ; -- Begin function _Z39paged_attention_ll4mi_QKV_mfma16_kernelI14__hip_bfloat16S0_LN4vllm18Fp8KVCacheDataTypeE0ES0_Li32ELi64ELi256ELb0ELi10EL8MFMAType0EEvPKT_PKT0_S9_ifPKiSB_SB_iPKfiiiPfSE_PS4_PT2_iSD_SD_
	.globl	_Z39paged_attention_ll4mi_QKV_mfma16_kernelI14__hip_bfloat16S0_LN4vllm18Fp8KVCacheDataTypeE0ES0_Li32ELi64ELi256ELb0ELi10EL8MFMAType0EEvPKT_PKT0_S9_ifPKiSB_SB_iPKfiiiPfSE_PS4_PT2_iSD_SD_
	.p2align	8
	.type	_Z39paged_attention_ll4mi_QKV_mfma16_kernelI14__hip_bfloat16S0_LN4vllm18Fp8KVCacheDataTypeE0ES0_Li32ELi64ELi256ELb0ELi10EL8MFMAType0EEvPKT_PKT0_S9_ifPKiSB_SB_iPKfiiiPfSE_PS4_PT2_iSD_SD_,@function
_Z39paged_attention_ll4mi_QKV_mfma16_kernelI14__hip_bfloat16S0_LN4vllm18Fp8KVCacheDataTypeE0ES0_Li32ELi64ELi256ELb0ELi10EL8MFMAType0EEvPKT_PKT0_S9_ifPKiSB_SB_iPKfiiiPfSE_PS4_PT2_iSD_SD_: ; @_Z39paged_attention_ll4mi_QKV_mfma16_kernelI14__hip_bfloat16S0_LN4vllm18Fp8KVCacheDataTypeE0ES0_Li32ELi64ELi256ELb0ELi10EL8MFMAType0EEvPKT_PKT0_S9_ifPKiSB_SB_iPKfiiiPfSE_PS4_PT2_iSD_SD_
; %bb.0:
	s_load_b64 s[2:3], s[0:1], 0x30
	s_mov_b32 s30, s13
	s_waitcnt lgkmcnt(0)
	s_cmp_lg_u64 s[2:3], 0
	s_cselect_b32 s6, -1, 0
	s_ashr_i32 s31, s13, 31
	s_cmp_eq_u64 s[2:3], 0
	s_cbranch_scc1 .LBB567_3
; %bb.1:
	s_lshl_b64 s[4:5], s[30:31], 2
	s_delay_alu instid0(SALU_CYCLE_1) | instskip(SKIP_4) | instid1(SALU_CYCLE_1)
	s_add_u32 s4, s2, s4
	s_addc_u32 s5, s3, s5
	s_load_b64 s[4:5], s[4:5], 0x0
	s_waitcnt lgkmcnt(0)
	s_sub_i32 s4, s5, s4
	s_cmp_eq_u32 s4, 1
	s_cselect_b32 s4, -1, 0
	s_delay_alu instid0(SALU_CYCLE_1)
	s_and_not1_b32 vcc_lo, exec_lo, s4
	s_cbranch_vccz .LBB567_4
.LBB567_2:
	s_endpgm
.LBB567_3:
.LBB567_4:
	s_load_b64 s[8:9], s[0:1], 0x28
	s_lshl_b64 s[4:5], s[30:31], 2
	s_waitcnt lgkmcnt(0)
	s_add_u32 s8, s8, s4
	s_addc_u32 s9, s9, s5
	s_lshl_b32 s16, s14, 8
	s_load_b32 s18, s[8:9], 0x0
	s_waitcnt lgkmcnt(0)
	s_cmp_ge_i32 s16, s18
	s_cbranch_scc1 .LBB567_2
; %bb.5:
	s_and_not1_b32 vcc_lo, exec_lo, s6
	s_cbranch_vccnz .LBB567_7
; %bb.6:
	s_add_u32 s2, s2, s4
	s_addc_u32 s3, s3, s5
	s_load_b32 s17, s[2:3], 0x0
	s_branch .LBB567_8
.LBB567_7:
	s_mov_b32 s17, s30
.LBB567_8:
	s_clause 0x2
	s_load_b128 s[8:11], s[0:1], 0x8
	s_load_b64 s[12:13], s[0:1], 0x20
	s_load_b128 s[4:7], s[0:1], 0x48
	v_and_b32_e32 v73, 15, v0
	v_cmp_lt_u32_e32 vcc_lo, 0x9f, v0
	s_delay_alu instid0(VALU_DEP_2) | instskip(SKIP_2) | instid1(VALU_DEP_3)
	v_cmp_lt_u32_e64 s3, 7, v73
	v_lshlrev_b32_e32 v1, 3, v73
	v_cmp_gt_u32_e64 s2, 8, v73
	s_or_b32 s3, vcc_lo, s3
	s_waitcnt lgkmcnt(0)
	s_and_saveexec_b32 s7, s3
	s_delay_alu instid0(SALU_CYCLE_1)
	s_xor_b32 s3, exec_lo, s7
; %bb.9:
	v_mov_b32_e32 v2, 0
; %bb.10:
	s_or_saveexec_b32 s3, s3
	v_lshrrev_b32_e32 v74, 5, v0
	v_and_b32_e32 v75, 31, v0
	v_and_b32_e32 v84, 1, v0
	v_bfe_u32 v83, v0, 4, 1
	s_mul_i32 s31, s15, 10
	s_xor_b32 exec_lo, exec_lo, s3
	s_cbranch_execz .LBB567_12
; %bb.11:
	s_load_b64 s[20:21], s[0:1], 0x0
	v_lshl_or_b32 v7, v74, 1, v83
	s_mul_hi_i32 s23, s17, s4
	s_mul_i32 s22, s17, s4
	v_lshlrev_b32_e32 v4, 1, v1
	s_lshl_b64 s[22:23], s[22:23], 1
	v_add_lshl_u32 v2, v7, s31, 6
	v_lshlrev_b32_e32 v7, 6, v7
	v_lshlrev_b32_e32 v8, 10, v84
	s_delay_alu instid0(VALU_DEP_3) | instskip(NEXT) | instid1(VALU_DEP_1)
	v_ashrrev_i32_e32 v3, 31, v2
	v_lshlrev_b64 v[2:3], 1, v[2:3]
	s_waitcnt lgkmcnt(0)
	s_add_u32 s4, s20, s22
	s_addc_u32 s7, s21, s23
	s_delay_alu instid0(VALU_DEP_1) | instskip(NEXT) | instid1(VALU_DEP_2)
	v_add_co_u32 v2, vcc_lo, s4, v2
	v_add_co_ci_u32_e32 v3, vcc_lo, s7, v3, vcc_lo
	s_delay_alu instid0(VALU_DEP_2) | instskip(NEXT) | instid1(VALU_DEP_2)
	v_add_co_u32 v2, vcc_lo, v2, v4
	v_add_co_ci_u32_e32 v3, vcc_lo, 0, v3, vcc_lo
	global_load_b128 v[3:6], v[2:3], off
	v_lshlrev_b32_e32 v2, 10, v73
	s_delay_alu instid0(VALU_DEP_1) | instskip(NEXT) | instid1(VALU_DEP_1)
	v_and_b32_e32 v2, 0x3800, v2
	v_or3_b32 v7, v2, v8, v7
	v_mov_b32_e32 v2, 0
	s_waitcnt vmcnt(0)
	ds_store_b128 v7, v[3:6]
.LBB567_12:
	s_or_b32 exec_lo, exec_lo, s3
	v_and_b32_e32 v3, 0xef, v0
	s_add_i32 s3, s18, 31
	s_clause 0x1
	s_load_b32 s4, s[0:1], 0x38
	s_load_b32 s19, s[0:1], 0x1c
	s_ashr_i32 s7, s3, 31
	v_add_nc_u32_e32 v3, s16, v3
	s_lshr_b32 s7, s7, 27
	s_waitcnt lgkmcnt(0)
	s_add_i32 s3, s3, s7
	s_barrier
	v_ashrrev_i32_e32 v4, 31, v3
	v_cmp_gt_i32_e32 vcc_lo, s18, v3
	s_ashr_i32 s3, s3, 5
	buffer_gl0_inv
	s_add_i32 s3, s3, -1
	v_lshrrev_b32_e32 v5, 27, v4
	v_or_b32_e32 v4, 16, v3
	s_mul_i32 s6, s15, s6
	v_lshlrev_b64 v[81:82], 1, v[1:2]
	s_delay_alu instid0(VALU_DEP_3) | instskip(NEXT) | instid1(VALU_DEP_3)
	v_add_nc_u32_e32 v6, v3, v5
	v_add_nc_u32_e32 v5, v4, v5
	s_mul_i32 s20, s30, s4
	s_delay_alu instid0(SALU_CYCLE_1) | instskip(NEXT) | instid1(VALU_DEP_2)
	s_ashr_i32 s21, s20, 31
	v_ashrrev_i32_e32 v6, 5, v6
	s_delay_alu instid0(VALU_DEP_2) | instskip(SKIP_1) | instid1(SALU_CYCLE_1)
	v_ashrrev_i32_e32 v5, 5, v5
	s_lshl_b64 s[20:21], s[20:21], 2
	s_add_u32 s4, s12, s20
	s_delay_alu instid0(VALU_DEP_2) | instskip(SKIP_3) | instid1(SALU_CYCLE_1)
	v_cndmask_b32_e32 v3, s3, v6, vcc_lo
	v_cmp_gt_i32_e32 vcc_lo, s18, v4
	s_addc_u32 s17, s13, s21
	s_ashr_i32 s7, s6, 31
	s_lshl_b64 s[6:7], s[6:7], 1
	v_cndmask_b32_e32 v5, s3, v5, vcc_lo
	v_ashrrev_i32_e32 v4, 31, v3
	s_add_u32 s15, s8, s6
	s_addc_u32 s28, s9, s7
	s_lshl_b32 s8, s14, 3
	v_ashrrev_i32_e32 v6, 31, v5
	v_lshlrev_b64 v[3:4], 2, v[3:4]
	s_ashr_i32 s9, s8, 31
	s_delay_alu instid0(SALU_CYCLE_1) | instskip(NEXT) | instid1(VALU_DEP_2)
	s_lshl_b64 s[8:9], s[8:9], 2
	v_lshlrev_b64 v[5:6], 2, v[5:6]
	s_add_u32 s8, s4, s8
	s_delay_alu instid0(VALU_DEP_2) | instskip(SKIP_1) | instid1(VALU_DEP_3)
	v_add_co_u32 v3, vcc_lo, s4, v3
	v_add_co_ci_u32_e32 v4, vcc_lo, s17, v4, vcc_lo
	v_add_co_u32 v5, vcc_lo, s4, v5
	s_delay_alu instid0(VALU_DEP_4)
	v_add_co_ci_u32_e32 v6, vcc_lo, s17, v6, vcc_lo
	s_addc_u32 s9, s17, s9
	s_clause 0x1
	global_load_b32 v7, v[3:4], off
	global_load_b32 v8, v[5:6], off
	s_or_b32 s12, s16, 32
	s_delay_alu instid0(SALU_CYCLE_1) | instskip(SKIP_2) | instid1(SALU_CYCLE_1)
	s_ashr_i32 s13, s12, 5
	s_cmp_lt_i32 s12, s18
	s_cselect_b32 s12, s13, s3
	s_ashr_i32 s13, s12, 31
	s_delay_alu instid0(SALU_CYCLE_1) | instskip(NEXT) | instid1(SALU_CYCLE_1)
	s_lshl_b64 s[12:13], s[12:13], 2
	s_add_u32 s12, s4, s12
	s_addc_u32 s13, s17, s13
	s_or_b32 s20, s16, 64
	s_delay_alu instid0(SALU_CYCLE_1) | instskip(SKIP_2) | instid1(SALU_CYCLE_1)
	s_ashr_i32 s21, s20, 5
	s_cmp_lt_i32 s20, s18
	s_cselect_b32 s20, s21, s3
	s_ashr_i32 s21, s20, 31
	s_delay_alu instid0(SALU_CYCLE_1) | instskip(NEXT) | instid1(SALU_CYCLE_1)
	s_lshl_b64 s[20:21], s[20:21], 2
	s_add_u32 s20, s4, s20
	s_addc_u32 s21, s17, s21
	;; [unrolled: 10-line block ×5, first 2 shown]
	s_clause 0x5
	s_load_b32 s29, s[8:9], 0x0
	s_load_b32 s33, s[12:13], 0x0
	;; [unrolled: 1-line block ×6, first 2 shown]
	s_mov_b32 s20, 0
	s_or_b32 s8, s16, 0xc0
	s_mov_b32 s21, s20
	s_mov_b32 s22, s20
	;; [unrolled: 1-line block ×7, first 2 shown]
	s_ashr_i32 s9, s8, 5
	v_mov_b32_e32 v117, s27
	s_cmp_lt_i32 s8, s18
	v_mov_b32_e32 v116, s26
	s_cselect_b32 s8, s9, s3
	v_mov_b32_e32 v115, s25
	s_ashr_i32 s9, s8, 31
	v_dual_mov_b32 v114, s24 :: v_dual_mov_b32 v113, s23
	v_dual_mov_b32 v112, s22 :: v_dual_mov_b32 v111, s21
	s_lshl_b64 s[8:9], s[8:9], 2
	s_waitcnt lgkmcnt(0)
	s_mul_hi_i32 s13, s29, s5
	s_add_u32 s8, s4, s8
	s_addc_u32 s9, s17, s9
	s_mul_i32 s12, s29, s5
	v_mov_b32_e32 v110, s20
	s_mul_hi_i32 s21, s33, s5
	s_mul_i32 s20, s33, s5
	s_mul_hi_i32 s25, s34, s5
	s_mul_i32 s24, s34, s5
	;; [unrolled: 2-line block ×4, first 2 shown]
	s_waitcnt vmcnt(1)
	v_mad_i64_i32 v[3:4], null, v7, s5, 0
	s_waitcnt vmcnt(0)
	v_mad_i64_i32 v[5:6], null, v8, s5, 0
	s_delay_alu instid0(VALU_DEP_2) | instskip(NEXT) | instid1(VALU_DEP_2)
	v_lshlrev_b64 v[3:4], 1, v[3:4]
	v_lshlrev_b64 v[1:2], 1, v[5:6]
	s_delay_alu instid0(VALU_DEP_2) | instskip(NEXT) | instid1(VALU_DEP_3)
	v_add_co_u32 v3, vcc_lo, s15, v3
	v_add_co_ci_u32_e32 v4, vcc_lo, s28, v4, vcc_lo
	s_delay_alu instid0(VALU_DEP_3) | instskip(NEXT) | instid1(VALU_DEP_4)
	v_add_co_u32 v1, vcc_lo, s15, v1
	v_add_co_ci_u32_e32 v2, vcc_lo, s28, v2, vcc_lo
	s_delay_alu instid0(VALU_DEP_4) | instskip(NEXT) | instid1(VALU_DEP_4)
	v_add_co_u32 v41, vcc_lo, v3, v81
	v_add_co_ci_u32_e32 v42, vcc_lo, v4, v82, vcc_lo
	s_delay_alu instid0(VALU_DEP_4) | instskip(NEXT) | instid1(VALU_DEP_4)
	v_add_co_u32 v43, vcc_lo, v1, v81
	v_add_co_ci_u32_e32 v44, vcc_lo, v2, v82, vcc_lo
	s_clause 0xf
	global_load_b128 v[1:4], v[41:42], off
	global_load_b128 v[5:8], v[41:42], off offset:512
	global_load_b128 v[9:12], v[43:44], off offset:256
	;; [unrolled: 1-line block ×15, first 2 shown]
	v_add_nc_u32_e32 v41, -10, v73
	v_cmp_gt_u32_e32 vcc_lo, 10, v73
	s_or_b32 s15, s16, 0xe0
	s_delay_alu instid0(SALU_CYCLE_1) | instskip(SKIP_3) | instid1(SALU_CYCLE_1)
	s_ashr_i32 s22, s15, 5
	s_cmp_lt_i32 s15, s18
	v_cndmask_b32_e32 v41, v41, v73, vcc_lo
	s_cselect_b32 s22, s22, s3
	s_ashr_i32 s23, s22, 31
	s_delay_alu instid0(VALU_DEP_1)
	v_lshlrev_b32_e32 v57, 6, v41
	ds_load_b128 v[41:44], v57
	ds_load_b128 v[45:48], v57 offset:1024
	ds_load_b128 v[49:52], v57 offset:2048
	;; [unrolled: 1-line block ×7, first 2 shown]
	s_lshl_b64 s[22:23], s[22:23], 2
	s_delay_alu instid0(SALU_CYCLE_1) | instskip(SKIP_2) | instid1(SALU_CYCLE_1)
	s_add_u32 s22, s4, s22
	s_addc_u32 s23, s17, s23
	s_add_i32 s15, s16, 0x100
	s_ashr_i32 s28, s15, 5
	s_cmp_lt_i32 s15, s18
	s_load_b32 s15, s[8:9], 0x0
	s_cselect_b32 s28, s28, s3
	s_mul_hi_i32 s9, s36, s5
	s_ashr_i32 s29, s28, 31
	s_mul_i32 s8, s36, s5
	s_lshl_b64 s[28:29], s[28:29], 2
	s_delay_alu instid0(SALU_CYCLE_1)
	s_add_u32 s28, s4, s28
	s_addc_u32 s29, s17, s29
	s_add_u32 s3, s10, s6
	s_clause 0x1
	s_load_b32 s4, s[22:23], 0x0
	s_load_b32 s17, s[28:29], 0x0
	s_addc_u32 s28, s11, s7
	s_lshl_b64 s[6:7], s[12:13], 1
	s_lshl_b64 s[10:11], s[20:21], 1
	s_lshl_b64 s[12:13], s[24:25], 1
	s_lshl_b64 s[20:21], s[26:27], 1
	s_lshl_b64 s[8:9], s[8:9], 1
	s_lshl_b64 s[22:23], s[34:35], 1
	s_waitcnt lgkmcnt(0)
	s_mul_hi_i32 s25, s15, s5
	s_mul_i32 s24, s15, s5
	s_waitcnt vmcnt(14)
	v_wmma_f32_16x16x16_bf16 v[134:141], v[1:8], v[41:48], v[110:117]
	s_waitcnt vmcnt(10)
	s_delay_alu instid0(VALU_DEP_1) | instskip(SKIP_1) | instid1(VALU_DEP_1)
	v_wmma_f32_16x16x16_bf16 v[134:141], v[17:24], v[49:56], v[134:141]
	s_waitcnt vmcnt(6)
	v_wmma_f32_16x16x16_bf16 v[134:141], v[33:40], v[118:125], v[134:141]
	s_waitcnt vmcnt(2)
	s_delay_alu instid0(VALU_DEP_1) | instskip(SKIP_1) | instid1(VALU_DEP_2)
	v_wmma_f32_16x16x16_bf16 v[134:141], v[94:101], v[126:133], v[134:141]
	v_lshlrev_b32_e32 v85, 6, v73
	v_mul_f32_e32 v100, s19, v141
	s_delay_alu instid0(VALU_DEP_2) | instskip(SKIP_2) | instid1(VALU_DEP_3)
	v_lshl_or_b32 v58, v74, 10, v85
	v_wmma_f32_16x16x16_bf16 v[110:117], v[9:16], v[41:48], v[110:117]
	v_mul_f32_e32 v99, s19, v135
	v_add_co_u32 v76, s3, s3, v58
	s_delay_alu instid0(VALU_DEP_1) | instskip(NEXT) | instid1(VALU_DEP_4)
	v_add_co_ci_u32_e64 v77, null, s28, 0, s3
	v_wmma_f32_16x16x16_bf16 v[110:117], v[25:32], v[49:56], v[110:117]
	s_delay_alu instid0(VALU_DEP_3) | instskip(NEXT) | instid1(VALU_DEP_3)
	v_add_co_u32 v57, vcc_lo, v76, s6
	v_add_co_ci_u32_e32 v58, vcc_lo, s7, v77, vcc_lo
	v_add_co_u32 v1, vcc_lo, v76, s10
	v_add_co_ci_u32_e32 v2, vcc_lo, s11, v77, vcc_lo
	;; [unrolled: 2-line block ×5, first 2 shown]
	s_clause 0x9
	global_load_b128 v[65:68], v[57:58], off
	global_load_b128 v[69:72], v[57:58], off offset:16
	global_load_b128 v[57:60], v[1:2], off
	global_load_b128 v[61:64], v[1:2], off offset:16
	;; [unrolled: 2-line block ×5, first 2 shown]
	v_add_co_u32 v5, vcc_lo, v76, s22
	s_lshl_b64 s[6:7], s[24:25], 1
	v_add_co_ci_u32_e32 v6, vcc_lo, s23, v77, vcc_lo
	s_mul_hi_i32 s9, s4, s5
	s_mul_i32 s8, s4, s5
	v_add_co_u32 v17, vcc_lo, v76, s6
	v_add_co_ci_u32_e32 v18, vcc_lo, s7, v77, vcc_lo
	s_lshl_b64 s[6:7], s[8:9], 1
	s_mul_hi_i32 s9, s17, s5
	s_mul_i32 s8, s17, s5
	v_add_co_u32 v19, vcc_lo, v76, s6
	s_lshl_b64 s[4:5], s[8:9], 1
	v_add_co_ci_u32_e32 v20, vcc_lo, s7, v77, vcc_lo
	v_add_co_u32 v21, vcc_lo, v76, s4
	v_add_co_ci_u32_e32 v22, vcc_lo, s5, v77, vcc_lo
	s_clause 0x7
	global_load_b128 v[1:4], v[5:6], off
	global_load_b128 v[5:8], v[5:6], off offset:16
	global_load_b128 v[33:36], v[17:18], off
	global_load_b128 v[37:40], v[17:18], off offset:16
	;; [unrolled: 2-line block ×4, first 2 shown]
	v_and_b32_e32 v76, 0xe0, v0
	v_mbcnt_lo_u32_b32 v77, -1, 0
	v_wmma_f32_16x16x16_bf16 v[110:117], v[86:93], v[118:125], v[110:117]
	s_waitcnt vmcnt(0)
	s_barrier
	v_add_nc_u32_e32 v76, s16, v76
	v_xor_b32_e32 v78, 16, v77
	v_wmma_f32_16x16x16_bf16 v[110:117], v[102:109], v[126:133], v[110:117]
	v_mul_f32_e32 v97, s19, v134
	buffer_gl0_inv
	v_or_b32_e32 v76, v76, v83
	v_cmp_gt_i32_e32 vcc_lo, 32, v78
	s_delay_alu instid0(VALU_DEP_2)
	v_or_b32_e32 v79, 4, v76
	v_cndmask_b32_e32 v77, v77, v78, vcc_lo
	v_or_b32_e32 v78, 2, v76
	v_or_b32_e32 v80, 6, v76
	v_cmp_gt_i32_e32 vcc_lo, s18, v76
	v_or_b32_e32 v86, 8, v76
	v_or_b32_e32 v87, 10, v76
	v_cmp_gt_i32_e64 s3, s18, v78
	v_or_b32_e32 v88, 12, v76
	v_or_b32_e32 v89, 14, v76
	;; [unrolled: 1-line block ×10, first 2 shown]
	v_cndmask_b32_e32 v76, 0xff7fffff, v97, vcc_lo
	v_cndmask_b32_e64 v78, 0xff7fffff, v99, s3
	v_mul_f32_e32 v99, s19, v137
	v_cmp_gt_i32_e64 s4, s18, v80
	v_mul_f32_e32 v80, s19, v136
	v_cmp_gt_i32_e64 s5, s18, v79
	v_max3_f32 v76, v76, 0xff7fffff, v78
	v_dual_mul_f32 v78, s19, v138 :: v_dual_mul_f32 v79, s19, v139
	v_cndmask_b32_e64 v99, 0xff7fffff, v99, s4
	s_delay_alu instid0(VALU_DEP_4)
	v_cndmask_b32_e64 v80, 0xff7fffff, v80, s5
	v_cmp_gt_i32_e64 s6, s18, v86
	v_cmp_gt_i32_e64 s7, s18, v87
	v_mul_f32_e32 v97, s19, v140
	v_cmp_gt_i32_e64 s8, s18, v89
	v_max3_f32 v76, v76, v80, v99
	v_cndmask_b32_e64 v78, 0xff7fffff, v78, s6
	v_cndmask_b32_e64 v79, 0xff7fffff, v79, s7
	v_cmp_gt_i32_e64 s9, s18, v88
	v_dual_mul_f32 v88, s19, v111 :: v_dual_mul_f32 v89, s19, v110
	v_cndmask_b32_e64 v100, 0xff7fffff, v100, s8
	s_delay_alu instid0(VALU_DEP_4) | instskip(NEXT) | instid1(VALU_DEP_4)
	v_max3_f32 v76, v76, v78, v79
	v_cndmask_b32_e64 v97, 0xff7fffff, v97, s9
	v_cmp_gt_i32_e64 s10, s18, v90
	v_cmp_gt_i32_e64 s11, s18, v91
	v_dual_mul_f32 v78, s19, v113 :: v_dual_mul_f32 v79, s19, v112
	s_delay_alu instid0(VALU_DEP_4) | instskip(NEXT) | instid1(VALU_DEP_4)
	v_max3_f32 v76, v76, v97, v100
	v_cndmask_b32_e64 v89, 0xff7fffff, v89, s10
	s_delay_alu instid0(VALU_DEP_4)
	v_cndmask_b32_e64 v88, 0xff7fffff, v88, s11
	v_cmp_gt_i32_e64 s12, s18, v92
	v_cmp_gt_i32_e64 s13, s18, v93
	v_mul_f32_e32 v87, s19, v115
	v_mul_f32_e32 v99, s19, v114
	v_max3_f32 v76, v76, v89, v88
	v_cndmask_b32_e64 v79, 0xff7fffff, v79, s12
	v_cndmask_b32_e64 v78, 0xff7fffff, v78, s13
	v_cmp_gt_i32_e64 s15, s18, v94
	v_cmp_gt_i32_e64 s16, s18, v95
	v_mul_f32_e32 v80, s19, v117
	v_mul_f32_e32 v86, s19, v116
	v_max3_f32 v76, v76, v79, v78
	v_cndmask_b32_e64 v88, 0xff7fffff, v99, s15
	v_cndmask_b32_e64 v87, 0xff7fffff, v87, s16
	v_cmp_gt_i32_e64 s17, s18, v96
	v_cmp_gt_i32_e64 s18, s18, v98
	v_lshlrev_b32_e32 v99, 2, v77
	s_delay_alu instid0(VALU_DEP_4) | instskip(NEXT) | instid1(VALU_DEP_4)
	v_max3_f32 v76, v76, v88, v87
	v_cndmask_b32_e64 v78, 0xff7fffff, v86, s17
	s_delay_alu instid0(VALU_DEP_4) | instskip(NEXT) | instid1(VALU_DEP_1)
	v_cndmask_b32_e64 v79, 0xff7fffff, v80, s18
	v_max3_f32 v76, v76, v78, v79
	ds_bpermute_b32 v77, v99, v76
	s_waitcnt lgkmcnt(0)
	v_max_f32_e32 v77, v77, v77
	s_delay_alu instid0(VALU_DEP_1) | instskip(NEXT) | instid1(VALU_DEP_1)
	v_max_f32_e32 v76, v76, v77
	v_fma_f32 v77, s19, v134, -v76
	v_fma_f32 v78, s19, v135, -v76
	;; [unrolled: 1-line block ×5, first 2 shown]
	s_delay_alu instid0(VALU_DEP_4) | instskip(SKIP_1) | instid1(VALU_DEP_4)
	v_dual_mul_f32 v77, 0x3fb8aa3b, v77 :: v_dual_mul_f32 v78, 0x3fb8aa3b, v78
	v_fma_f32 v88, s19, v114, -v76
	v_dual_mul_f32 v79, 0x3fb8aa3b, v79 :: v_dual_mul_f32 v80, 0x3fb8aa3b, v80
	s_delay_alu instid0(VALU_DEP_3) | instskip(NEXT) | instid1(VALU_DEP_3)
	v_exp_f32_e32 v77, v77
	v_exp_f32_e32 v78, v78
	s_delay_alu instid0(VALU_DEP_2) | instskip(NEXT) | instid1(VALU_DEP_2)
	v_mul_f32_e32 v88, 0x3fb8aa3b, v88
	v_exp_f32_e32 v79, v79
	v_mul_f32_e32 v86, 0x3fb8aa3b, v86
	v_exp_f32_e32 v80, v80
	v_fma_f32 v87, s19, v140, -v76
	v_fma_f32 v100, s19, v117, -v76
	v_fma_f32 v90, s19, v116, -v76
	v_exp_f32_e32 v86, v86
	v_cndmask_b32_e32 v92, 0, v77, vcc_lo
	v_fma_f32 v77, s19, v139, -v76
	v_cndmask_b32_e64 v91, 0, v78, s3
	v_cndmask_b32_e64 v93, 0, v79, s5
	v_fma_f32 v79, s19, v141, -v76
	s_delay_alu instid0(VALU_DEP_4) | instskip(SKIP_2) | instid1(TRANS32_DEP_1)
	v_dual_add_f32 v78, 0, v92 :: v_dual_mul_f32 v77, 0x3fb8aa3b, v77
	v_cndmask_b32_e64 v95, 0, v80, s4
	v_mul_f32_e32 v87, 0x3fb8aa3b, v87
	v_cndmask_b32_e64 v96, 0, v86, s6
	s_delay_alu instid0(VALU_DEP_4)
	v_add_f32_e32 v78, v78, v91
	v_exp_f32_e32 v77, v77
	v_fma_f32 v86, s19, v111, -v76
	v_fma_f32 v80, s19, v110, -v76
	v_exp_f32_e32 v87, v87
	v_add_f32_e32 v78, v78, v93
	v_mul_f32_e32 v100, 0x3fb8aa3b, v100
	v_mul_f32_e32 v86, 0x3fb8aa3b, v86
	;; [unrolled: 1-line block ×3, first 2 shown]
	v_exp_f32_e32 v88, v88
	v_add_f32_e32 v78, v78, v95
	v_cndmask_b32_e64 v97, 0, v77, s7
	v_exp_f32_e32 v86, v86
	v_exp_f32_e32 v80, v80
	v_cndmask_b32_e64 v94, 0, v87, s9
	v_add_f32_e32 v77, v78, v96
	v_fma_f32 v78, s19, v112, -v76
	v_fma_f32 v87, s19, v113, -v76
	v_exp_f32_e32 v100, v100
	s_mov_b32 s3, exec_lo
	s_delay_alu instid0(VALU_DEP_2) | instskip(NEXT) | instid1(VALU_DEP_2)
	v_dual_add_f32 v77, v77, v97 :: v_dual_mul_f32 v78, 0x3fb8aa3b, v78
	v_mul_f32_e32 v87, 0x3fb8aa3b, v87
	s_delay_alu instid0(VALU_DEP_2) | instskip(SKIP_2) | instid1(VALU_DEP_3)
	v_exp_f32_e32 v89, v78
	v_cndmask_b32_e64 v78, 0, v86, s11
	v_mul_f32_e32 v79, 0x3fb8aa3b, v79
	v_exp_f32_e32 v87, v87
	s_delay_alu instid0(VALU_DEP_1)
	v_exp_f32_e32 v79, v79
	s_waitcnt_depctr 0xfff
	v_cndmask_b32_e64 v98, 0, v79, s8
	v_add_f32_e32 v79, v77, v94
	v_cndmask_b32_e64 v77, 0, v80, s10
	v_fma_f32 v80, s19, v115, -v76
	s_delay_alu instid0(VALU_DEP_1) | instskip(NEXT) | instid1(VALU_DEP_1)
	v_dual_add_f32 v79, v79, v98 :: v_dual_mul_f32 v80, 0x3fb8aa3b, v80
	v_add_f32_e32 v86, v79, v77
	v_cndmask_b32_e64 v79, 0, v89, s12
	v_mul_f32_e32 v89, 0x3fb8aa3b, v90
	s_delay_alu instid0(VALU_DEP_4) | instskip(SKIP_2) | instid1(VALU_DEP_3)
	v_exp_f32_e32 v90, v80
	v_cndmask_b32_e64 v80, 0, v87, s13
	v_add_f32_e32 v86, v86, v78
	v_exp_f32_e32 v89, v89
	s_delay_alu instid0(VALU_DEP_1) | instskip(SKIP_1) | instid1(VALU_DEP_2)
	v_add_f32_e32 v87, v86, v79
	v_cndmask_b32_e64 v86, 0, v88, s15
	v_add_f32_e32 v88, v87, v80
	s_delay_alu instid0(TRANS32_DEP_2) | instskip(NEXT) | instid1(VALU_DEP_2)
	v_cndmask_b32_e64 v87, 0, v90, s16
	v_add_f32_e32 v90, v88, v86
	s_waitcnt_depctr 0xfff
	v_cndmask_b32_e64 v88, 0, v89, s17
	v_add_f32_e32 v89, v90, v87
	s_delay_alu instid0(VALU_DEP_1) | instskip(SKIP_1) | instid1(VALU_DEP_1)
	v_add_f32_e32 v90, v89, v88
	v_cndmask_b32_e64 v89, 0, v100, s18
	v_add_f32_e32 v90, v90, v89
	ds_bpermute_b32 v99, v99, v90
	v_cmpx_gt_u32_e32 16, v75
	s_cbranch_execz .LBB567_14
; %bb.13:
	v_mul_u32_u24_e32 v75, 0x44, v74
	s_waitcnt lgkmcnt(0)
	v_add_f32_e32 v90, v90, v99
	s_delay_alu instid0(VALU_DEP_2) | instskip(NEXT) | instid1(VALU_DEP_1)
	v_lshl_add_u32 v75, v73, 2, v75
	v_add_nc_u32_e32 v75, 0x4000, v75
	ds_store_2addr_b32 v75, v76, v90 offset1:136
.LBB567_14:
	s_or_b32 exec_lo, exec_lo, s3
	v_lshlrev_b32_e32 v75, 2, v73
	s_waitcnt lgkmcnt(0)
	s_barrier
	buffer_gl0_inv
	v_cmp_eq_u32_e64 s3, 1, v74
	v_add_nc_u32_e32 v90, 0x4000, v75
	ds_load_2addr_b32 v[99:100], v90 offset1:17
	ds_load_2addr_b32 v[101:102], v90 offset0:34 offset1:51
	ds_load_2addr_b32 v[103:104], v90 offset0:68 offset1:85
	;; [unrolled: 1-line block ×4, first 2 shown]
	s_waitcnt lgkmcnt(4)
	v_max3_f32 v75, v99, 0xff7fffff, v100
	s_waitcnt lgkmcnt(3)
	s_delay_alu instid0(VALU_DEP_1) | instskip(SKIP_1) | instid1(VALU_DEP_1)
	v_max3_f32 v75, v75, v101, v102
	s_waitcnt lgkmcnt(2)
	v_max3_f32 v75, v75, v103, v104
	s_waitcnt lgkmcnt(1)
	s_delay_alu instid0(VALU_DEP_1) | instskip(NEXT) | instid1(VALU_DEP_1)
	v_max3_f32 v75, v75, v105, v106
	v_sub_f32_e32 v109, v100, v75
	v_sub_f32_e32 v76, v99, v75
	ds_load_2addr_b32 v[99:100], v90 offset0:170 offset1:187
	v_sub_f32_e32 v101, v101, v75
	v_dual_mul_f32 v109, 0x3fb8aa3b, v109 :: v_dual_mul_f32 v76, 0x3fb8aa3b, v76
	s_delay_alu instid0(VALU_DEP_2) | instskip(NEXT) | instid1(VALU_DEP_2)
	v_mul_f32_e32 v111, 0x3fb8aa3b, v101
	v_exp_f32_e32 v109, v109
	s_delay_alu instid0(VALU_DEP_2)
	v_exp_f32_e32 v110, v76
	v_sub_f32_e32 v76, v102, v75
	ds_load_2addr_b32 v[101:102], v90 offset0:204 offset1:221
	v_exp_f32_e32 v111, v111
	v_mul_f32_e32 v112, 0x3fb8aa3b, v76
	s_waitcnt lgkmcnt(2)
	v_fma_f32 v76, v110, v107, 0
	v_sub_f32_e32 v103, v103, v75
	s_delay_alu instid0(VALU_DEP_3) | instskip(NEXT) | instid1(VALU_DEP_2)
	v_exp_f32_e32 v112, v112
	v_dual_sub_f32 v107, v104, v75 :: v_dual_fmac_f32 v76, v109, v108
	s_waitcnt lgkmcnt(1)
	s_waitcnt_depctr 0xfff
	v_fmac_f32_e32 v76, v111, v99
	v_mul_f32_e32 v113, 0x3fb8aa3b, v103
	ds_load_2addr_b32 v[103:104], v90 offset0:238 offset1:255
	v_sub_f32_e32 v90, v105, v75
	v_dual_sub_f32 v99, v106, v75 :: v_dual_fmac_f32 v76, v112, v100
	v_mul_f32_e32 v105, 0x3fb8aa3b, v107
	v_exp_f32_e32 v107, v113
	s_delay_alu instid0(VALU_DEP_2)
	v_dual_mul_f32 v90, 0x3fb8aa3b, v90 :: v_dual_mul_f32 v99, 0x3fb8aa3b, v99
	s_waitcnt lgkmcnt(0)
	s_barrier
	buffer_gl0_inv
	v_exp_f32_e32 v90, v90
	v_exp_f32_e32 v99, v99
	v_fmac_f32_e32 v76, v107, v101
	v_exp_f32_e32 v105, v105
	s_waitcnt_depctr 0xfff
	v_fmac_f32_e32 v76, v105, v102
	s_delay_alu instid0(VALU_DEP_1) | instskip(NEXT) | instid1(VALU_DEP_1)
	v_fmac_f32_e32 v76, v90, v103
	v_fmac_f32_e32 v76, v99, v104
	s_delay_alu instid0(VALU_DEP_1) | instskip(NEXT) | instid1(VALU_DEP_1)
	v_add_f32_e32 v100, 0x358637bd, v76
	v_div_scale_f32 v101, null, v100, v100, 1.0
	v_div_scale_f32 v104, vcc_lo, 1.0, v100, 1.0
	s_delay_alu instid0(VALU_DEP_2) | instskip(SKIP_2) | instid1(VALU_DEP_1)
	v_rcp_f32_e32 v102, v101
	s_waitcnt_depctr 0xfff
	v_fma_f32 v103, -v101, v102, 1.0
	v_fmac_f32_e32 v102, v103, v102
	v_cndmask_b32_e64 v103, v110, v109, s3
	v_cmp_eq_u32_e64 s3, 2, v74
	s_delay_alu instid0(VALU_DEP_3) | instskip(NEXT) | instid1(VALU_DEP_2)
	v_mul_f32_e32 v106, v104, v102
	v_cndmask_b32_e64 v103, v103, v111, s3
	v_cmp_eq_u32_e64 s3, 3, v74
	s_delay_alu instid0(VALU_DEP_3) | instskip(NEXT) | instid1(VALU_DEP_2)
	v_fma_f32 v108, -v101, v106, v104
	v_cndmask_b32_e64 v103, v103, v112, s3
	v_cmp_eq_u32_e64 s3, 4, v74
	s_delay_alu instid0(VALU_DEP_3) | instskip(NEXT) | instid1(VALU_DEP_2)
	v_fmac_f32_e32 v106, v108, v102
	v_cndmask_b32_e64 v103, v103, v107, s3
	s_delay_alu instid0(VALU_DEP_2) | instskip(SKIP_1) | instid1(VALU_DEP_2)
	v_fma_f32 v101, -v101, v106, v104
	v_cmp_eq_u32_e64 s3, 5, v74
	v_div_fmas_f32 v101, v101, v102, v106
	s_delay_alu instid0(VALU_DEP_2) | instskip(SKIP_2) | instid1(VALU_DEP_3)
	v_cndmask_b32_e64 v103, v103, v105, s3
	v_cmp_eq_u32_e32 vcc_lo, 6, v74
	s_mov_b32 s3, exec_lo
	v_div_fixup_f32 v100, v101, v100, 1.0
	s_delay_alu instid0(VALU_DEP_3) | instskip(SKIP_1) | instid1(VALU_DEP_2)
	v_cndmask_b32_e32 v90, v103, v90, vcc_lo
	v_cmp_eq_u32_e32 vcc_lo, 7, v74
	v_cndmask_b32_e32 v90, v90, v99, vcc_lo
	s_delay_alu instid0(VALU_DEP_1) | instskip(NEXT) | instid1(VALU_DEP_1)
	v_mul_f32_e32 v90, v90, v100
	v_mul_f32_e32 v100, v90, v92
	;; [unrolled: 1-line block ×6, first 2 shown]
	v_and_b32_e32 v101, 0x7f800000, v100
	v_mul_f32_e32 v99, v90, v95
	v_mul_f32_e32 v95, v90, v91
	;; [unrolled: 1-line block ×3, first 2 shown]
                                        ; implicit-def: $vgpr91
	s_delay_alu instid0(VALU_DEP_4)
	v_cmpx_ne_u32_e32 0x7f800000, v101
	s_xor_b32 s3, exec_lo, s3
; %bb.15:
	v_bfe_u32 v91, v100, 16, 1
	s_delay_alu instid0(VALU_DEP_1)
	v_add3_u32 v91, v100, v91, 0x7fff
                                        ; implicit-def: $vgpr100
; %bb.16:
	s_and_not1_saveexec_b32 s3, s3
; %bb.17:
	v_and_b32_e32 v91, 0xffff, v100
	v_or_b32_e32 v93, 0x10000, v100
	s_delay_alu instid0(VALU_DEP_2) | instskip(NEXT) | instid1(VALU_DEP_2)
	v_cmp_eq_u32_e32 vcc_lo, 0, v91
	v_cndmask_b32_e32 v91, v93, v100, vcc_lo
; %bb.18:
	s_or_b32 exec_lo, exec_lo, s3
	v_and_b32_e32 v93, 0x7f800000, v95
	s_delay_alu instid0(VALU_DEP_1) | instskip(SKIP_1) | instid1(SALU_CYCLE_1)
	v_cmp_ne_u32_e32 vcc_lo, 0x7f800000, v93
                                        ; implicit-def: $vgpr93
	s_and_saveexec_b32 s3, vcc_lo
	s_xor_b32 s3, exec_lo, s3
; %bb.19:
	v_bfe_u32 v93, v95, 16, 1
	s_delay_alu instid0(VALU_DEP_1)
	v_add3_u32 v93, v95, v93, 0x7fff
                                        ; implicit-def: $vgpr95
; %bb.20:
	s_and_not1_saveexec_b32 s3, s3
; %bb.21:
	v_and_b32_e32 v93, 0xffff, v95
	v_or_b32_e32 v100, 0x10000, v95
	s_delay_alu instid0(VALU_DEP_2) | instskip(NEXT) | instid1(VALU_DEP_2)
	v_cmp_eq_u32_e32 vcc_lo, 0, v93
	v_cndmask_b32_e32 v93, v100, v95, vcc_lo
; %bb.22:
	s_or_b32 exec_lo, exec_lo, s3
	v_and_b32_e32 v95, 0x7f800000, v96
	s_delay_alu instid0(VALU_DEP_1) | instskip(SKIP_1) | instid1(SALU_CYCLE_1)
	v_cmp_ne_u32_e32 vcc_lo, 0x7f800000, v95
                                        ; implicit-def: $vgpr95
	s_and_saveexec_b32 s3, vcc_lo
	s_xor_b32 s3, exec_lo, s3
; %bb.23:
	v_bfe_u32 v95, v96, 16, 1
	s_delay_alu instid0(VALU_DEP_1)
	v_add3_u32 v95, v96, v95, 0x7fff
                                        ; implicit-def: $vgpr96
; %bb.24:
	s_and_not1_saveexec_b32 s3, s3
; %bb.25:
	v_and_b32_e32 v95, 0xffff, v96
	v_or_b32_e32 v100, 0x10000, v96
	s_delay_alu instid0(VALU_DEP_2) | instskip(NEXT) | instid1(VALU_DEP_2)
	v_cmp_eq_u32_e32 vcc_lo, 0, v95
	v_cndmask_b32_e32 v95, v100, v96, vcc_lo
; %bb.26:
	s_or_b32 exec_lo, exec_lo, s3
	v_and_b32_e32 v96, 0x7f800000, v99
	s_delay_alu instid0(VALU_DEP_1) | instskip(SKIP_1) | instid1(SALU_CYCLE_1)
	v_cmp_ne_u32_e32 vcc_lo, 0x7f800000, v96
                                        ; implicit-def: $vgpr96
	s_and_saveexec_b32 s3, vcc_lo
	s_xor_b32 s3, exec_lo, s3
; %bb.27:
	v_bfe_u32 v96, v99, 16, 1
	s_delay_alu instid0(VALU_DEP_1)
	v_add3_u32 v96, v99, v96, 0x7fff
                                        ; implicit-def: $vgpr99
; %bb.28:
	s_and_not1_saveexec_b32 s3, s3
; %bb.29:
	v_and_b32_e32 v96, 0xffff, v99
	v_or_b32_e32 v100, 0x10000, v99
	s_delay_alu instid0(VALU_DEP_2) | instskip(NEXT) | instid1(VALU_DEP_2)
	v_cmp_eq_u32_e32 vcc_lo, 0, v96
	v_cndmask_b32_e32 v96, v100, v99, vcc_lo
; %bb.30:
	s_or_b32 exec_lo, exec_lo, s3
	v_and_b32_e32 v99, 0x7f800000, v98
	s_delay_alu instid0(VALU_DEP_1) | instskip(SKIP_1) | instid1(SALU_CYCLE_1)
	v_cmp_ne_u32_e32 vcc_lo, 0x7f800000, v99
                                        ; implicit-def: $vgpr99
	s_and_saveexec_b32 s3, vcc_lo
	s_xor_b32 s3, exec_lo, s3
; %bb.31:
	v_bfe_u32 v99, v98, 16, 1
	s_delay_alu instid0(VALU_DEP_1)
	v_add3_u32 v99, v98, v99, 0x7fff
                                        ; implicit-def: $vgpr98
; %bb.32:
	s_and_not1_saveexec_b32 s3, s3
; %bb.33:
	v_and_b32_e32 v99, 0xffff, v98
	v_or_b32_e32 v100, 0x10000, v98
	s_delay_alu instid0(VALU_DEP_2) | instskip(NEXT) | instid1(VALU_DEP_2)
	v_cmp_eq_u32_e32 vcc_lo, 0, v99
	v_cndmask_b32_e32 v99, v100, v98, vcc_lo
; %bb.34:
	s_or_b32 exec_lo, exec_lo, s3
	v_and_b32_e32 v98, 0x7f800000, v97
	s_delay_alu instid0(VALU_DEP_1) | instskip(SKIP_1) | instid1(SALU_CYCLE_1)
	v_cmp_ne_u32_e32 vcc_lo, 0x7f800000, v98
                                        ; implicit-def: $vgpr98
	s_and_saveexec_b32 s3, vcc_lo
	s_xor_b32 s3, exec_lo, s3
; %bb.35:
	v_bfe_u32 v98, v97, 16, 1
	s_delay_alu instid0(VALU_DEP_1)
	v_add3_u32 v98, v97, v98, 0x7fff
                                        ; implicit-def: $vgpr97
; %bb.36:
	s_and_not1_saveexec_b32 s3, s3
; %bb.37:
	v_and_b32_e32 v98, 0xffff, v97
	v_or_b32_e32 v100, 0x10000, v97
	s_delay_alu instid0(VALU_DEP_2) | instskip(NEXT) | instid1(VALU_DEP_2)
	v_cmp_eq_u32_e32 vcc_lo, 0, v98
	v_cndmask_b32_e32 v98, v100, v97, vcc_lo
; %bb.38:
	s_or_b32 exec_lo, exec_lo, s3
	v_and_b32_e32 v97, 0x7f800000, v94
	s_delay_alu instid0(VALU_DEP_1) | instskip(SKIP_1) | instid1(SALU_CYCLE_1)
	v_cmp_ne_u32_e32 vcc_lo, 0x7f800000, v97
                                        ; implicit-def: $vgpr97
	s_and_saveexec_b32 s3, vcc_lo
	s_xor_b32 s3, exec_lo, s3
; %bb.39:
	v_bfe_u32 v97, v94, 16, 1
	s_delay_alu instid0(VALU_DEP_1)
	v_add3_u32 v97, v94, v97, 0x7fff
                                        ; implicit-def: $vgpr94
; %bb.40:
	s_and_not1_saveexec_b32 s3, s3
; %bb.41:
	v_and_b32_e32 v97, 0xffff, v94
	v_or_b32_e32 v100, 0x10000, v94
	s_delay_alu instid0(VALU_DEP_2) | instskip(NEXT) | instid1(VALU_DEP_2)
	v_cmp_eq_u32_e32 vcc_lo, 0, v97
	v_cndmask_b32_e32 v97, v100, v94, vcc_lo
; %bb.42:
	s_or_b32 exec_lo, exec_lo, s3
	v_and_b32_e32 v94, 0x7f800000, v92
	s_delay_alu instid0(VALU_DEP_1) | instskip(SKIP_1) | instid1(SALU_CYCLE_1)
	v_cmp_ne_u32_e32 vcc_lo, 0x7f800000, v94
                                        ; implicit-def: $vgpr94
	s_and_saveexec_b32 s3, vcc_lo
	s_xor_b32 s3, exec_lo, s3
; %bb.43:
	v_bfe_u32 v94, v92, 16, 1
	s_delay_alu instid0(VALU_DEP_1)
	v_add3_u32 v94, v92, v94, 0x7fff
                                        ; implicit-def: $vgpr92
; %bb.44:
	s_and_not1_saveexec_b32 s3, s3
; %bb.45:
	v_and_b32_e32 v94, 0xffff, v92
	v_or_b32_e32 v100, 0x10000, v92
	s_delay_alu instid0(VALU_DEP_2) | instskip(NEXT) | instid1(VALU_DEP_2)
	v_cmp_eq_u32_e32 vcc_lo, 0, v94
	v_cndmask_b32_e32 v94, v100, v92, vcc_lo
; %bb.46:
	s_or_b32 exec_lo, exec_lo, s3
	s_load_b64 s[34:35], s[0:1], 0x94
	v_lshlrev_b32_e32 v92, 4, v83
	s_delay_alu instid0(VALU_DEP_2)
	v_perm_b32 v100, v94, v97, 0x7060302
	v_dual_mul_f32 v89, v90, v89 :: v_dual_lshlrev_b32 v94, 11, v74
	v_perm_b32 v97, v93, v91, 0x7060302
	v_mul_f32_e32 v93, v90, v77
	v_perm_b32 v99, v98, v99, 0x7060302
	v_perm_b32 v98, v96, v95, 0x7060302
	v_or3_b32 v77, v92, v94, v85
	v_mul_f32_e32 v88, v90, v88
	v_dual_mul_f32 v87, v90, v87 :: v_dual_and_b32 v94, 0x7f800000, v93
	v_mul_f32_e32 v86, v90, v86
	v_mul_f32_e32 v91, v90, v80
	;; [unrolled: 1-line block ×4, first 2 shown]
	s_mov_b32 s3, exec_lo
	ds_store_b128 v77, v[97:100]
                                        ; implicit-def: $vgpr78
	v_cmpx_ne_u32_e32 0x7f800000, v94
	s_xor_b32 s3, exec_lo, s3
; %bb.47:
	v_bfe_u32 v78, v93, 16, 1
	s_delay_alu instid0(VALU_DEP_1)
	v_add3_u32 v78, v93, v78, 0x7fff
                                        ; implicit-def: $vgpr93
; %bb.48:
	s_and_not1_saveexec_b32 s3, s3
; %bb.49:
	v_and_b32_e32 v78, 0xffff, v93
	v_or_b32_e32 v79, 0x10000, v93
	s_delay_alu instid0(VALU_DEP_2) | instskip(NEXT) | instid1(VALU_DEP_2)
	v_cmp_eq_u32_e32 vcc_lo, 0, v78
	v_cndmask_b32_e32 v78, v79, v93, vcc_lo
; %bb.50:
	s_or_b32 exec_lo, exec_lo, s3
	v_and_b32_e32 v79, 0x7f800000, v80
	s_delay_alu instid0(VALU_DEP_1) | instskip(SKIP_1) | instid1(SALU_CYCLE_1)
	v_cmp_ne_u32_e32 vcc_lo, 0x7f800000, v79
                                        ; implicit-def: $vgpr79
	s_and_saveexec_b32 s3, vcc_lo
	s_xor_b32 s3, exec_lo, s3
; %bb.51:
	v_bfe_u32 v79, v80, 16, 1
	s_delay_alu instid0(VALU_DEP_1)
	v_add3_u32 v79, v80, v79, 0x7fff
                                        ; implicit-def: $vgpr80
; %bb.52:
	s_and_not1_saveexec_b32 s3, s3
; %bb.53:
	v_and_b32_e32 v79, 0xffff, v80
	v_or_b32_e32 v90, 0x10000, v80
	s_delay_alu instid0(VALU_DEP_2) | instskip(NEXT) | instid1(VALU_DEP_2)
	v_cmp_eq_u32_e32 vcc_lo, 0, v79
	v_cndmask_b32_e32 v79, v90, v80, vcc_lo
; %bb.54:
	s_or_b32 exec_lo, exec_lo, s3
	v_and_b32_e32 v80, 0x7f800000, v92
	s_delay_alu instid0(VALU_DEP_1) | instskip(SKIP_1) | instid1(SALU_CYCLE_1)
	v_cmp_ne_u32_e32 vcc_lo, 0x7f800000, v80
                                        ; implicit-def: $vgpr80
	s_and_saveexec_b32 s3, vcc_lo
	s_xor_b32 s3, exec_lo, s3
; %bb.55:
	v_bfe_u32 v80, v92, 16, 1
	s_delay_alu instid0(VALU_DEP_1)
	v_add3_u32 v80, v92, v80, 0x7fff
                                        ; implicit-def: $vgpr92
; %bb.56:
	s_and_not1_saveexec_b32 s3, s3
; %bb.57:
	v_and_b32_e32 v80, 0xffff, v92
	v_or_b32_e32 v90, 0x10000, v92
	s_delay_alu instid0(VALU_DEP_2) | instskip(NEXT) | instid1(VALU_DEP_2)
	v_cmp_eq_u32_e32 vcc_lo, 0, v80
	v_cndmask_b32_e32 v80, v90, v92, vcc_lo
; %bb.58:
	s_or_b32 exec_lo, exec_lo, s3
	v_and_b32_e32 v90, 0x7f800000, v91
	s_delay_alu instid0(VALU_DEP_1) | instskip(SKIP_1) | instid1(SALU_CYCLE_1)
	v_cmp_ne_u32_e32 vcc_lo, 0x7f800000, v90
                                        ; implicit-def: $vgpr90
	s_and_saveexec_b32 s3, vcc_lo
	s_xor_b32 s3, exec_lo, s3
; %bb.59:
	v_bfe_u32 v90, v91, 16, 1
	s_delay_alu instid0(VALU_DEP_1)
	v_add3_u32 v90, v91, v90, 0x7fff
                                        ; implicit-def: $vgpr91
; %bb.60:
	s_and_not1_saveexec_b32 s3, s3
; %bb.61:
	v_and_b32_e32 v90, 0xffff, v91
	v_or_b32_e32 v92, 0x10000, v91
	s_delay_alu instid0(VALU_DEP_2) | instskip(NEXT) | instid1(VALU_DEP_2)
	v_cmp_eq_u32_e32 vcc_lo, 0, v90
	v_cndmask_b32_e32 v90, v92, v91, vcc_lo
; %bb.62:
	s_or_b32 exec_lo, exec_lo, s3
	v_and_b32_e32 v91, 0x7f800000, v86
	s_delay_alu instid0(VALU_DEP_1) | instskip(SKIP_1) | instid1(SALU_CYCLE_1)
	v_cmp_ne_u32_e32 vcc_lo, 0x7f800000, v91
                                        ; implicit-def: $vgpr91
	s_and_saveexec_b32 s3, vcc_lo
	s_xor_b32 s3, exec_lo, s3
; %bb.63:
	v_bfe_u32 v91, v86, 16, 1
	s_delay_alu instid0(VALU_DEP_1)
	v_add3_u32 v91, v86, v91, 0x7fff
                                        ; implicit-def: $vgpr86
; %bb.64:
	s_and_not1_saveexec_b32 s3, s3
; %bb.65:
	v_and_b32_e32 v91, 0xffff, v86
	v_or_b32_e32 v92, 0x10000, v86
	s_delay_alu instid0(VALU_DEP_2) | instskip(NEXT) | instid1(VALU_DEP_2)
	v_cmp_eq_u32_e32 vcc_lo, 0, v91
	v_cndmask_b32_e32 v91, v92, v86, vcc_lo
; %bb.66:
	s_or_b32 exec_lo, exec_lo, s3
	v_and_b32_e32 v86, 0x7f800000, v87
	s_delay_alu instid0(VALU_DEP_1) | instskip(SKIP_1) | instid1(SALU_CYCLE_1)
	v_cmp_ne_u32_e32 vcc_lo, 0x7f800000, v86
                                        ; implicit-def: $vgpr86
	s_and_saveexec_b32 s3, vcc_lo
	s_xor_b32 s3, exec_lo, s3
; %bb.67:
	v_bfe_u32 v86, v87, 16, 1
	s_delay_alu instid0(VALU_DEP_1)
	v_add3_u32 v86, v87, v86, 0x7fff
                                        ; implicit-def: $vgpr87
; %bb.68:
	s_and_not1_saveexec_b32 s3, s3
; %bb.69:
	v_and_b32_e32 v86, 0xffff, v87
	v_or_b32_e32 v92, 0x10000, v87
	s_delay_alu instid0(VALU_DEP_2) | instskip(NEXT) | instid1(VALU_DEP_2)
	v_cmp_eq_u32_e32 vcc_lo, 0, v86
	v_cndmask_b32_e32 v86, v92, v87, vcc_lo
; %bb.70:
	s_or_b32 exec_lo, exec_lo, s3
	v_and_b32_e32 v87, 0x7f800000, v88
	s_delay_alu instid0(VALU_DEP_1) | instskip(SKIP_1) | instid1(SALU_CYCLE_1)
	v_cmp_ne_u32_e32 vcc_lo, 0x7f800000, v87
                                        ; implicit-def: $vgpr87
	s_and_saveexec_b32 s3, vcc_lo
	s_xor_b32 s3, exec_lo, s3
; %bb.71:
	v_bfe_u32 v87, v88, 16, 1
	s_delay_alu instid0(VALU_DEP_1)
	v_add3_u32 v87, v88, v87, 0x7fff
                                        ; implicit-def: $vgpr88
; %bb.72:
	s_and_not1_saveexec_b32 s3, s3
; %bb.73:
	v_and_b32_e32 v87, 0xffff, v88
	v_or_b32_e32 v92, 0x10000, v88
	s_delay_alu instid0(VALU_DEP_2) | instskip(NEXT) | instid1(VALU_DEP_2)
	v_cmp_eq_u32_e32 vcc_lo, 0, v87
	v_cndmask_b32_e32 v87, v92, v88, vcc_lo
; %bb.74:
	s_or_b32 exec_lo, exec_lo, s3
	v_and_b32_e32 v88, 0x7f800000, v89
	s_delay_alu instid0(VALU_DEP_1) | instskip(SKIP_1) | instid1(SALU_CYCLE_1)
	v_cmp_ne_u32_e32 vcc_lo, 0x7f800000, v88
                                        ; implicit-def: $vgpr88
	s_and_saveexec_b32 s3, vcc_lo
	s_xor_b32 s3, exec_lo, s3
; %bb.75:
	v_bfe_u32 v88, v89, 16, 1
	s_delay_alu instid0(VALU_DEP_1)
	v_add3_u32 v88, v89, v88, 0x7fff
                                        ; implicit-def: $vgpr89
; %bb.76:
	s_and_not1_saveexec_b32 s3, s3
; %bb.77:
	v_and_b32_e32 v88, 0xffff, v89
	v_or_b32_e32 v92, 0x10000, v89
	s_delay_alu instid0(VALU_DEP_2) | instskip(NEXT) | instid1(VALU_DEP_2)
	v_cmp_eq_u32_e32 vcc_lo, 0, v88
	v_cndmask_b32_e32 v88, v92, v89, vcc_lo
; %bb.78:
	s_or_b32 exec_lo, exec_lo, s3
	s_delay_alu instid0(VALU_DEP_1)
	v_perm_b32 v89, v88, v87, 0x7060302
	v_perm_b32 v88, v86, v91, 0x7060302
	;; [unrolled: 1-line block ×4, first 2 shown]
	v_lshl_or_b32 v90, v74, 11, v85
	ds_store_b128 v77, v[86:89] offset:1024
	s_waitcnt lgkmcnt(0)
	s_barrier
	buffer_gl0_inv
	ds_load_b128 v[91:94], v90
	ds_load_b128 v[95:98], v90 offset:16
	v_lshlrev_b32_e32 v87, 2, v83
	s_delay_alu instid0(VALU_DEP_1)
	v_or_b32_e32 v88, 1, v87
	v_cmp_eq_u32_e32 vcc_lo, 1, v87
	v_cmp_eq_u32_e64 s4, 2, v87
	v_cmp_eq_u32_e64 s7, 3, v87
	;; [unrolled: 1-line block ×6, first 2 shown]
	v_or_b32_e32 v86, 2, v87
	v_cmp_eq_u32_e64 s10, 5, v87
	v_cmp_eq_u32_e64 s11, 4, v88
	;; [unrolled: 1-line block ×4, first 2 shown]
	s_waitcnt lgkmcnt(1)
	v_lshrrev_b32_e32 v74, 16, v91
	s_waitcnt lgkmcnt(0)
	v_lshrrev_b32_e32 v103, 16, v95
	v_lshrrev_b32_e32 v80, 16, v94
	;; [unrolled: 1-line block ×4, first 2 shown]
	v_cndmask_b32_e32 v89, v91, v74, vcc_lo
	v_cndmask_b32_e32 v99, v95, v103, vcc_lo
	v_cndmask_b32_e64 v100, v91, v74, s3
	v_lshrrev_b32_e32 v79, 16, v93
	v_lshrrev_b32_e32 v108, 16, v97
	v_cndmask_b32_e64 v89, v89, v92, s4
	v_cndmask_b32_e64 v99, v99, v96, s4
	;; [unrolled: 1-line block ×4, first 2 shown]
	v_cmp_eq_u32_e64 s5, 1, v86
	v_cndmask_b32_e64 v89, v89, v78, s7
	v_cndmask_b32_e64 v99, v99, v107, s7
	;; [unrolled: 1-line block ×4, first 2 shown]
	v_lshrrev_b32_e32 v109, 16, v98
	v_cndmask_b32_e64 v89, v89, v93, s9
	v_cndmask_b32_e64 v99, v99, v97, s9
	v_cndmask_b32_e64 v100, v100, v93, s11
	v_cndmask_b32_e64 v102, v91, v74, s5
	v_cndmask_b32_e64 v101, v101, v107, s8
	v_cndmask_b32_e64 v89, v89, v79, s10
	v_cndmask_b32_e64 v99, v99, v108, s10
	v_cndmask_b32_e64 v100, v100, v79, s13
	v_cmp_eq_u32_e64 s15, 7, v87
	v_cmp_eq_u32_e64 s16, 6, v88
	v_cndmask_b32_e64 v89, v89, v94, s12
	v_cndmask_b32_e64 v99, v99, v98, s12
	v_cmp_eq_u32_e64 s17, 2, v86
	v_cndmask_b32_e64 v101, v101, v97, s11
	v_cndmask_b32_e64 v100, v100, v94, s16
	;; [unrolled: 1-line block ×6, first 2 shown]
	v_cmp_eq_u32_e64 s18, 7, v88
	v_cmp_eq_u32_e64 s19, 3, v86
	;; [unrolled: 1-line block ×4, first 2 shown]
	v_cndmask_b32_e64 v99, v99, v96, s17
	v_cndmask_b32_e64 v112, v100, v80, s18
	;; [unrolled: 1-line block ×4, first 2 shown]
	v_or_b32_e32 v89, 3, v87
	v_cndmask_b32_e64 v105, v99, v107, s19
	v_cmp_eq_u32_e64 s24, 6, v86
	v_cndmask_b32_e64 v113, v100, v98, s16
	v_cndmask_b32_e64 v104, v101, v93, s20
	ds_load_b128 v[99:102], v90 offset:1024
	v_cmp_eq_u32_e64 s21, 1, v89
	v_cmp_eq_u32_e64 s23, 2, v89
	;; [unrolled: 1-line block ×3, first 2 shown]
	v_cndmask_b32_e64 v114, v104, v79, s22
	v_cmp_eq_u32_e64 s26, 4, v89
	v_cndmask_b32_e64 v74, v91, v74, s21
	v_cndmask_b32_e64 v91, v105, v97, s20
	;; [unrolled: 1-line block ×3, first 2 shown]
	ds_load_b128 v[103:106], v90 offset:1040
	v_cmp_eq_u32_e64 s28, 5, v89
	v_cndmask_b32_e64 v74, v74, v92, s23
	v_cndmask_b32_e64 v91, v91, v108, s22
	;; [unrolled: 1-line block ×3, first 2 shown]
	v_cmp_eq_u32_e64 s29, 6, v89
	v_cndmask_b32_e64 v95, v113, v109, s18
	v_cndmask_b32_e64 v74, v74, v78, s25
	;; [unrolled: 1-line block ×5, first 2 shown]
	s_waitcnt lgkmcnt(1)
	v_lshrrev_b32_e32 v96, 16, v99
	v_cndmask_b32_e64 v74, v74, v93, s26
	v_lshrrev_b32_e32 v107, 16, v100
	v_cndmask_b32_e64 v92, v92, v97, s26
	v_cmp_eq_u32_e64 s27, 7, v86
	v_cndmask_b32_e32 v93, v99, v96, vcc_lo
	v_cndmask_b32_e64 v74, v74, v79, s28
	s_delay_alu instid0(VALU_DEP_4)
	v_cndmask_b32_e64 v79, v92, v108, s28
	s_waitcnt lgkmcnt(0)
	v_lshrrev_b32_e32 v97, 16, v103
	v_cndmask_b32_e64 v92, v93, v100, s4
	v_cndmask_b32_e64 v93, v99, v96, s3
	;; [unrolled: 1-line block ×4, first 2 shown]
	v_cndmask_b32_e32 v108, v103, v97, vcc_lo
	v_cndmask_b32_e64 v92, v92, v107, s7
	v_cndmask_b32_e64 v93, v93, v100, s6
	v_lshrrev_b32_e32 v98, 16, v104
	v_cmp_eq_u32_e32 vcc_lo, 7, v89
	v_cndmask_b32_e64 v94, v108, v104, s4
	v_cndmask_b32_e64 v92, v92, v101, s9
	v_lshrrev_b32_e32 v108, 16, v101
	v_cndmask_b32_e64 v93, v93, v107, s8
	v_cndmask_b32_e32 v74, v74, v80, vcc_lo
	v_cndmask_b32_e64 v94, v94, v98, s7
	v_cndmask_b32_e32 v79, v79, v109, vcc_lo
	v_cndmask_b32_e64 v92, v92, v108, s10
	v_cndmask_b32_e64 v78, v78, v80, s27
	;; [unrolled: 1-line block ×4, first 2 shown]
	v_perm_b32 v94, v79, v74, 0x5040100
	v_cndmask_b32_e64 v79, v92, v102, s12
	v_perm_b32 v92, v95, v112, 0x5040100
	v_cndmask_b32_e64 v95, v99, v96, s5
	v_cndmask_b32_e64 v96, v99, v96, s21
	;; [unrolled: 1-line block ×16, first 2 shown]
	v_lshrrev_b32_e32 v109, 16, v105
	v_cndmask_b32_e64 v95, v95, v101, s20
	v_cndmask_b32_e64 v96, v96, v101, s26
	;; [unrolled: 1-line block ×6, first 2 shown]
	v_lshrrev_b32_e32 v80, 16, v102
	v_cndmask_b32_e64 v113, v93, v109, s10
	v_cndmask_b32_e64 v95, v95, v108, s22
	;; [unrolled: 1-line block ×6, first 2 shown]
	v_perm_b32 v93, v91, v78, 0x5040100
	v_cndmask_b32_e64 v74, v74, v102, s16
	v_cndmask_b32_e64 v78, v79, v80, s15
	;; [unrolled: 1-line block ×3, first 2 shown]
	v_lshrrev_b32_e32 v91, 16, v106
	v_cndmask_b32_e64 v95, v95, v102, s24
	v_cndmask_b32_e64 v96, v96, v102, s29
	;; [unrolled: 1-line block ×7, first 2 shown]
	v_cndmask_b32_e32 v80, v96, v80, vcc_lo
	v_cndmask_b32_e32 v96, v98, v91, vcc_lo
	v_cndmask_b32_e64 v99, v99, v91, s27
	v_cndmask_b32_e64 v100, v97, v91, s18
	;; [unrolled: 1-line block ×3, first 2 shown]
	v_perm_b32 v91, v111, v110, 0x5040100
	v_perm_b32 v98, v96, v80, 0x5040100
	;; [unrolled: 1-line block ×5, first 2 shown]
	s_mul_i32 s8, s35, 10
	s_mov_b32 s3, exec_lo
	ds_store_b128 v77, v[91:94]
	ds_store_b128 v77, v[95:98] offset:1024
	v_cmpx_gt_u32_e32 10, v0
	s_cbranch_execz .LBB567_80
; %bb.79:
	s_mul_i32 s4, s8, s30
	s_delay_alu instid0(SALU_CYCLE_1) | instskip(SKIP_1) | instid1(VALU_DEP_1)
	v_add3_u32 v77, s4, s31, v73
	s_load_b128 s[4:7], s[0:1], 0x58
	v_mad_u64_u32 v[73:74], null, v77, s34, s[14:15]
	s_delay_alu instid0(VALU_DEP_1) | instskip(NEXT) | instid1(VALU_DEP_1)
	v_ashrrev_i32_e32 v74, 31, v73
	v_lshlrev_b64 v[73:74], 2, v[73:74]
	s_waitcnt lgkmcnt(0)
	s_delay_alu instid0(VALU_DEP_1) | instskip(NEXT) | instid1(VALU_DEP_2)
	v_add_co_u32 v77, vcc_lo, s6, v73
	v_add_co_ci_u32_e32 v78, vcc_lo, s7, v74, vcc_lo
	v_add_co_u32 v73, vcc_lo, s4, v73
	v_add_co_ci_u32_e32 v74, vcc_lo, s5, v74, vcc_lo
	global_store_b32 v[77:78], v75, off
	global_store_b32 v[73:74], v76, off
.LBB567_80:
	s_or_b32 exec_lo, exec_lo, s3
	s_waitcnt lgkmcnt(0)
	s_waitcnt_vscnt null, 0x0
	s_barrier
	buffer_gl0_inv
	ds_load_b128 v[91:94], v85
	ds_load_b128 v[95:98], v85 offset:16
	ds_load_b128 v[103:106], v85 offset:1040
	;; [unrolled: 1-line block ×3, first 2 shown]
	v_mov_b32_e32 v73, 0
	ds_load_b128 v[111:114], v85 offset:2064
	ds_load_b128 v[107:110], v85 offset:2048
	;; [unrolled: 1-line block ×6, first 2 shown]
	v_mov_b32_e32 v74, v73
	v_mov_b32_e32 v75, v73
	;; [unrolled: 1-line block ×7, first 2 shown]
	s_waitcnt lgkmcnt(8)
	s_delay_alu instid0(VALU_DEP_1)
	v_wmma_f32_16x16x16_bf16 v[73:80], v[65:72], v[91:98], v[73:80]
	ds_load_b128 v[69:72], v85 offset:5136
	ds_load_b128 v[65:68], v85 offset:5120
	ds_load_b128 v[95:98], v85 offset:6160
	ds_load_b128 v[91:94], v85 offset:6144
	s_waitcnt lgkmcnt(10)
	v_wmma_f32_16x16x16_bf16 v[73:80], v[57:64], v[99:106], v[73:80]
	s_waitcnt lgkmcnt(8)
	s_delay_alu instid0(VALU_DEP_1)
	v_wmma_f32_16x16x16_bf16 v[73:80], v[57:64], v[107:114], v[73:80]
	ds_load_b128 v[61:64], v85 offset:7184
	ds_load_b128 v[57:60], v85 offset:7168
	;; [unrolled: 1-line block ×4, first 2 shown]
	s_waitcnt lgkmcnt(10)
	v_wmma_f32_16x16x16_bf16 v[73:80], v[49:56], v[115:122], v[73:80]
	s_waitcnt lgkmcnt(8)
	s_delay_alu instid0(VALU_DEP_1)
	v_wmma_f32_16x16x16_bf16 v[73:80], v[49:56], v[123:130], v[73:80]
	ds_load_b128 v[53:56], v85 offset:9232
	ds_load_b128 v[49:52], v85 offset:9216
	s_waitcnt lgkmcnt(8)
	v_wmma_f32_16x16x16_bf16 v[73:80], v[41:48], v[65:72], v[73:80]
	ds_load_b128 v[69:72], v85 offset:10256
	ds_load_b128 v[65:68], v85 offset:10240
	s_waitcnt lgkmcnt(8)
	;; [unrolled: 4-line block ×3, first 2 shown]
	v_wmma_f32_16x16x16_bf16 v[73:80], v[9:16], v[57:64], v[73:80]
	s_waitcnt lgkmcnt(6)
	s_delay_alu instid0(VALU_DEP_1)
	v_wmma_f32_16x16x16_bf16 v[73:80], v[9:16], v[99:106], v[73:80]
	ds_load_b128 v[13:16], v85 offset:12304
	ds_load_b128 v[9:12], v85 offset:12288
	s_waitcnt lgkmcnt(6)
	v_wmma_f32_16x16x16_bf16 v[73:80], v[1:8], v[49:56], v[73:80]
	ds_load_b128 v[53:56], v85 offset:13328
	ds_load_b128 v[49:52], v85 offset:13312
	s_waitcnt lgkmcnt(6)
	;; [unrolled: 4-line block ×4, first 2 shown]
	v_wmma_f32_16x16x16_bf16 v[73:80], v[33:40], v[9:16], v[73:80]
	s_waitcnt lgkmcnt(4)
	s_delay_alu instid0(VALU_DEP_1) | instskip(SKIP_1) | instid1(VALU_DEP_1)
	v_wmma_f32_16x16x16_bf16 v[73:80], v[25:32], v[49:56], v[73:80]
	s_waitcnt lgkmcnt(2)
	v_wmma_f32_16x16x16_bf16 v[73:80], v[25:32], v[1:8], v[73:80]
	s_waitcnt lgkmcnt(0)
	s_delay_alu instid0(VALU_DEP_1) | instskip(NEXT) | instid1(VALU_DEP_1)
	v_wmma_f32_16x16x16_bf16 v[73:80], v[17:24], v[41:48], v[73:80]
	v_and_b32_e32 v1, 0x7f800000, v73
	s_delay_alu instid0(VALU_DEP_1) | instskip(SKIP_1) | instid1(SALU_CYCLE_1)
	v_cmp_ne_u32_e32 vcc_lo, 0x7f800000, v1
                                        ; implicit-def: $vgpr1
	s_and_saveexec_b32 s3, vcc_lo
	s_xor_b32 s3, exec_lo, s3
; %bb.81:
	v_bfe_u32 v1, v73, 16, 1
	s_delay_alu instid0(VALU_DEP_1)
	v_add3_u32 v1, v73, v1, 0x7fff
; %bb.82:
	s_and_not1_saveexec_b32 s3, s3
; %bb.83:
	v_and_b32_e32 v1, 0xffff, v73
	v_or_b32_e32 v2, 0x10000, v73
	s_delay_alu instid0(VALU_DEP_2) | instskip(NEXT) | instid1(VALU_DEP_2)
	v_cmp_eq_u32_e32 vcc_lo, 0, v1
	v_cndmask_b32_e32 v1, v2, v73, vcc_lo
; %bb.84:
	s_or_b32 exec_lo, exec_lo, s3
	v_and_b32_e32 v2, 0x7f800000, v74
	s_delay_alu instid0(VALU_DEP_1) | instskip(SKIP_1) | instid1(SALU_CYCLE_1)
	v_cmp_ne_u32_e32 vcc_lo, 0x7f800000, v2
                                        ; implicit-def: $vgpr2
	s_and_saveexec_b32 s3, vcc_lo
	s_xor_b32 s3, exec_lo, s3
; %bb.85:
	v_bfe_u32 v2, v74, 16, 1
	s_delay_alu instid0(VALU_DEP_1)
	v_add3_u32 v2, v74, v2, 0x7fff
; %bb.86:
	s_and_not1_saveexec_b32 s3, s3
; %bb.87:
	v_and_b32_e32 v2, 0xffff, v74
	v_or_b32_e32 v3, 0x10000, v74
	s_delay_alu instid0(VALU_DEP_2) | instskip(NEXT) | instid1(VALU_DEP_2)
	v_cmp_eq_u32_e32 vcc_lo, 0, v2
	v_cndmask_b32_e32 v2, v3, v74, vcc_lo
; %bb.88:
	s_or_b32 exec_lo, exec_lo, s3
	v_and_b32_e32 v3, 0x7f800000, v75
	s_delay_alu instid0(VALU_DEP_1) | instskip(SKIP_1) | instid1(SALU_CYCLE_1)
	v_cmp_ne_u32_e32 vcc_lo, 0x7f800000, v3
                                        ; implicit-def: $vgpr3
	s_and_saveexec_b32 s3, vcc_lo
	s_xor_b32 s3, exec_lo, s3
; %bb.89:
	v_bfe_u32 v3, v75, 16, 1
	s_delay_alu instid0(VALU_DEP_1)
	v_add3_u32 v3, v75, v3, 0x7fff
; %bb.90:
	s_and_not1_saveexec_b32 s3, s3
; %bb.91:
	v_and_b32_e32 v3, 0xffff, v75
	v_or_b32_e32 v4, 0x10000, v75
	s_delay_alu instid0(VALU_DEP_2) | instskip(NEXT) | instid1(VALU_DEP_2)
	v_cmp_eq_u32_e32 vcc_lo, 0, v3
	v_cndmask_b32_e32 v3, v4, v75, vcc_lo
; %bb.92:
	s_or_b32 exec_lo, exec_lo, s3
	v_and_b32_e32 v4, 0x7f800000, v76
	s_delay_alu instid0(VALU_DEP_1) | instskip(SKIP_1) | instid1(SALU_CYCLE_1)
	v_cmp_ne_u32_e32 vcc_lo, 0x7f800000, v4
                                        ; implicit-def: $vgpr4
	s_and_saveexec_b32 s3, vcc_lo
	s_xor_b32 s3, exec_lo, s3
; %bb.93:
	v_bfe_u32 v4, v76, 16, 1
	s_delay_alu instid0(VALU_DEP_1)
	v_add3_u32 v4, v76, v4, 0x7fff
; %bb.94:
	s_and_not1_saveexec_b32 s3, s3
; %bb.95:
	v_and_b32_e32 v4, 0xffff, v76
	v_or_b32_e32 v5, 0x10000, v76
	s_delay_alu instid0(VALU_DEP_2) | instskip(NEXT) | instid1(VALU_DEP_2)
	v_cmp_eq_u32_e32 vcc_lo, 0, v4
	v_cndmask_b32_e32 v4, v5, v76, vcc_lo
; %bb.96:
	s_or_b32 exec_lo, exec_lo, s3
	v_and_b32_e32 v5, 0x7f800000, v77
	s_delay_alu instid0(VALU_DEP_1) | instskip(SKIP_1) | instid1(SALU_CYCLE_1)
	v_cmp_ne_u32_e32 vcc_lo, 0x7f800000, v5
                                        ; implicit-def: $vgpr5
	s_and_saveexec_b32 s3, vcc_lo
	s_xor_b32 s3, exec_lo, s3
; %bb.97:
	v_bfe_u32 v5, v77, 16, 1
	s_delay_alu instid0(VALU_DEP_1)
	v_add3_u32 v5, v77, v5, 0x7fff
; %bb.98:
	s_and_not1_saveexec_b32 s3, s3
; %bb.99:
	v_and_b32_e32 v5, 0xffff, v77
	v_or_b32_e32 v6, 0x10000, v77
	s_delay_alu instid0(VALU_DEP_2) | instskip(NEXT) | instid1(VALU_DEP_2)
	v_cmp_eq_u32_e32 vcc_lo, 0, v5
	v_cndmask_b32_e32 v5, v6, v77, vcc_lo
; %bb.100:
	s_or_b32 exec_lo, exec_lo, s3
	v_and_b32_e32 v6, 0x7f800000, v78
	s_delay_alu instid0(VALU_DEP_1) | instskip(SKIP_1) | instid1(SALU_CYCLE_1)
	v_cmp_ne_u32_e32 vcc_lo, 0x7f800000, v6
                                        ; implicit-def: $vgpr6
	s_and_saveexec_b32 s3, vcc_lo
	s_xor_b32 s3, exec_lo, s3
; %bb.101:
	v_bfe_u32 v6, v78, 16, 1
	s_delay_alu instid0(VALU_DEP_1)
	v_add3_u32 v6, v78, v6, 0x7fff
; %bb.102:
	s_and_not1_saveexec_b32 s3, s3
; %bb.103:
	v_and_b32_e32 v6, 0xffff, v78
	v_or_b32_e32 v7, 0x10000, v78
	s_delay_alu instid0(VALU_DEP_2) | instskip(NEXT) | instid1(VALU_DEP_2)
	v_cmp_eq_u32_e32 vcc_lo, 0, v6
	v_cndmask_b32_e32 v6, v7, v78, vcc_lo
; %bb.104:
	s_or_b32 exec_lo, exec_lo, s3
	v_and_b32_e32 v7, 0x7f800000, v79
	s_delay_alu instid0(VALU_DEP_1) | instskip(SKIP_1) | instid1(SALU_CYCLE_1)
	v_cmp_ne_u32_e32 vcc_lo, 0x7f800000, v7
                                        ; implicit-def: $vgpr7
	s_and_saveexec_b32 s3, vcc_lo
	s_xor_b32 s3, exec_lo, s3
; %bb.105:
	v_bfe_u32 v7, v79, 16, 1
	s_delay_alu instid0(VALU_DEP_1)
	v_add3_u32 v7, v79, v7, 0x7fff
; %bb.106:
	s_and_not1_saveexec_b32 s3, s3
; %bb.107:
	v_and_b32_e32 v7, 0xffff, v79
	v_or_b32_e32 v8, 0x10000, v79
	s_delay_alu instid0(VALU_DEP_2) | instskip(NEXT) | instid1(VALU_DEP_2)
	v_cmp_eq_u32_e32 vcc_lo, 0, v7
	v_cndmask_b32_e32 v7, v8, v79, vcc_lo
; %bb.108:
	s_or_b32 exec_lo, exec_lo, s3
	v_and_b32_e32 v8, 0x7f800000, v80
	s_delay_alu instid0(VALU_DEP_1) | instskip(SKIP_1) | instid1(SALU_CYCLE_1)
	v_cmp_ne_u32_e32 vcc_lo, 0x7f800000, v8
                                        ; implicit-def: $vgpr8
	s_and_saveexec_b32 s3, vcc_lo
	s_xor_b32 s3, exec_lo, s3
; %bb.109:
	v_bfe_u32 v8, v80, 16, 1
	s_delay_alu instid0(VALU_DEP_1)
	v_add3_u32 v8, v80, v8, 0x7fff
                                        ; implicit-def: $vgpr73_vgpr74_vgpr75_vgpr76_vgpr77_vgpr78_vgpr79_vgpr80
; %bb.110:
	s_and_not1_saveexec_b32 s3, s3
; %bb.111:
	v_and_b32_e32 v8, 0xffff, v80
	v_or_b32_e32 v9, 0x10000, v80
	s_delay_alu instid0(VALU_DEP_2) | instskip(NEXT) | instid1(VALU_DEP_2)
	v_cmp_eq_u32_e32 vcc_lo, 0, v8
	v_cndmask_b32_e32 v8, v9, v80, vcc_lo
; %bb.112:
	s_or_b32 exec_lo, exec_lo, s3
	s_delay_alu instid0(VALU_DEP_1)
	v_perm_b32 v7, v8, v7, 0x7060302
	v_perm_b32 v6, v6, v5, 0x7060302
	v_perm_b32 v5, v4, v3, 0x7060302
	v_perm_b32 v4, v2, v1, 0x7060302
	v_lshl_or_b32 v9, v83, 4, v90
	s_barrier
	buffer_gl0_inv
	v_cmp_eq_u32_e32 vcc_lo, 1, v87
	ds_store_b128 v9, v[4:7]
	s_waitcnt lgkmcnt(0)
	s_barrier
	buffer_gl0_inv
	ds_load_b128 v[1:4], v90
	ds_load_b128 v[5:8], v90 offset:16
	v_cmp_eq_u32_e64 s4, 2, v87
	v_cmp_eq_u32_e64 s3, 1, v88
	;; [unrolled: 1-line block ×5, first 2 shown]
	s_waitcnt lgkmcnt(1)
	v_lshrrev_b32_e32 v10, 16, v1
	s_waitcnt lgkmcnt(0)
	v_lshrrev_b32_e32 v14, 16, v5
	v_lshrrev_b32_e32 v15, 16, v6
	;; [unrolled: 1-line block ×4, first 2 shown]
	v_cndmask_b32_e64 v20, v1, v10, s3
	v_cndmask_b32_e32 v19, v5, v14, vcc_lo
	v_cndmask_b32_e64 v21, v5, v14, s3
	v_lshrrev_b32_e32 v16, 16, v7
	v_cmp_eq_u32_e64 s3, 1, v86
	v_lshrrev_b32_e32 v13, 16, v4
	v_cndmask_b32_e64 v19, v19, v6, s4
	v_lshrrev_b32_e32 v17, 16, v8
	s_delay_alu instid0(VALU_DEP_4) | instskip(SKIP_1) | instid1(VALU_DEP_4)
	v_cndmask_b32_e64 v22, v1, v10, s3
	v_cndmask_b32_e64 v23, v5, v14, s3
	;; [unrolled: 1-line block ×3, first 2 shown]
	v_cndmask_b32_e32 v18, v1, v10, vcc_lo
	v_cmp_eq_u32_e32 vcc_lo, 2, v88
	v_cmp_eq_u32_e64 s3, 2, v89
	v_cndmask_b32_e64 v22, v22, v2, s7
	v_cndmask_b32_e32 v20, v20, v2, vcc_lo
	v_cndmask_b32_e32 v21, v21, v6, vcc_lo
	v_cmp_eq_u32_e32 vcc_lo, 4, v87
	v_cndmask_b32_e32 v19, v19, v7, vcc_lo
	v_cndmask_b32_e64 v18, v18, v2, s4
	v_cmp_eq_u32_e64 s4, 3, v88
	s_delay_alu instid0(VALU_DEP_2) | instskip(NEXT) | instid1(VALU_DEP_2)
	v_cndmask_b32_e64 v18, v18, v11, s5
	v_cndmask_b32_e64 v21, v21, v15, s4
	v_cmp_eq_u32_e64 s5, 5, v87
	s_delay_alu instid0(VALU_DEP_3) | instskip(SKIP_1) | instid1(VALU_DEP_3)
	v_cndmask_b32_e32 v18, v18, v3, vcc_lo
	v_cmp_eq_u32_e32 vcc_lo, 4, v88
	v_cndmask_b32_e64 v19, v19, v16, s5
	s_delay_alu instid0(VALU_DEP_3) | instskip(SKIP_4) | instid1(VALU_DEP_3)
	v_cndmask_b32_e64 v18, v18, v12, s5
	v_cndmask_b32_e32 v21, v21, v7, vcc_lo
	v_cndmask_b32_e64 v20, v20, v11, s4
	v_cmp_eq_u32_e64 s4, 5, v88
	v_cmp_eq_u32_e64 s5, 6, v87
	v_cndmask_b32_e32 v20, v20, v3, vcc_lo
	s_delay_alu instid0(VALU_DEP_3) | instskip(SKIP_1) | instid1(VALU_DEP_4)
	v_cndmask_b32_e64 v21, v21, v16, s4
	v_cmp_eq_u32_e32 vcc_lo, 6, v88
	v_cndmask_b32_e64 v18, v18, v4, s5
	v_cndmask_b32_e64 v19, v19, v8, s5
	;; [unrolled: 1-line block ×3, first 2 shown]
	v_cmp_eq_u32_e64 s4, 1, v89
	v_cmp_eq_u32_e64 s5, 7, v87
	s_delay_alu instid0(VALU_DEP_3) | instskip(NEXT) | instid1(VALU_DEP_3)
	v_cndmask_b32_e32 v20, v20, v4, vcc_lo
	v_cndmask_b32_e64 v1, v1, v10, s4
	v_cndmask_b32_e64 v5, v5, v14, s4
	v_cmp_eq_u32_e64 s4, 3, v86
	v_cndmask_b32_e64 v14, v23, v6, s7
	v_cmp_eq_u32_e64 s7, 3, v89
	v_cndmask_b32_e64 v1, v1, v2, s3
	v_cndmask_b32_e64 v2, v5, v6, s3
	;; [unrolled: 1-line block ×3, first 2 shown]
	v_cmp_eq_u32_e64 s3, 4, v86
	v_cndmask_b32_e64 v6, v14, v15, s4
	v_cndmask_b32_e64 v1, v1, v11, s7
	v_cmp_eq_u32_e64 s4, 4, v89
	v_cndmask_b32_e64 v2, v2, v15, s7
	v_cndmask_b32_e64 v5, v10, v3, s3
	;; [unrolled: 3-line block ×3, first 2 shown]
	v_cndmask_b32_e64 v2, v2, v7, s4
	v_cmp_eq_u32_e64 s3, 5, v89
	v_cndmask_b32_e64 v5, v5, v12, s7
	v_cmp_eq_u32_e64 s4, 6, v86
	;; [unrolled: 2-line block ×3, first 2 shown]
	v_cndmask_b32_e64 v1, v1, v12, s3
	v_cndmask_b32_e64 v2, v2, v16, s3
	;; [unrolled: 1-line block ×4, first 2 shown]
	v_cmp_eq_u32_e64 s3, 7, v89
	v_cndmask_b32_e64 v1, v1, v4, s7
	v_cndmask_b32_e64 v2, v2, v8, s7
	v_cmp_eq_u32_e64 s4, 7, v86
	v_cndmask_b32_e32 v4, v21, v8, vcc_lo
	v_cndmask_b32_e64 v18, v18, v13, s5
	v_cndmask_b32_e64 v20, v20, v13, s6
	;; [unrolled: 1-line block ×8, first 2 shown]
	v_cmp_gt_u32_e32 vcc_lo, 32, v0
	v_perm_b32 v4, v2, v1, 0x5040100
	v_perm_b32 v3, v3, v5, 0x5040100
	;; [unrolled: 1-line block ×4, first 2 shown]
	s_and_b32 s2, vcc_lo, s2
	ds_store_b128 v9, v[1:4]
	s_waitcnt lgkmcnt(0)
	s_barrier
	buffer_gl0_inv
	s_and_saveexec_b32 s3, s2
	s_cbranch_execz .LBB567_2
; %bb.113:
	s_load_b64 s[0:1], s[0:1], 0x68
	s_lshl_b32 s4, s34, 6
	v_or_b32_e32 v2, s31, v83
	s_mul_i32 s2, s4, s30
	v_lshlrev_b32_e32 v0, 10, v0
	s_mul_i32 s2, s2, s8
	v_lshlrev_b32_e32 v1, 4, v84
	s_ashr_i32 s3, s2, 31
	v_mul_lo_u32 v20, v2, s4
	s_lshl_b64 s[2:3], s[2:3], 1
	v_lshlrev_b32_e32 v3, 6, v83
	v_and_b32_e32 v0, 0x3800, v0
	s_delay_alu instid0(VALU_DEP_1) | instskip(NEXT) | instid1(VALU_DEP_4)
	v_or3_b32 v16, v0, v1, v3
	v_ashrrev_i32_e32 v21, 31, v20
	ds_load_b128 v[0:3], v16
	ds_load_b128 v[4:7], v16 offset:128
	s_waitcnt lgkmcnt(0)
	s_add_u32 s2, s0, s2
	s_addc_u32 s3, s1, s3
	s_lshl_b32 s0, s14, 6
	ds_load_b128 v[8:11], v16 offset:256
	ds_load_b128 v[12:15], v16 offset:384
	;; [unrolled: 1-line block ×3, first 2 shown]
	s_ashr_i32 s1, s0, 31
	s_delay_alu instid0(SALU_CYCLE_1) | instskip(NEXT) | instid1(SALU_CYCLE_1)
	s_lshl_b64 s[0:1], s[0:1], 1
	s_add_u32 s0, s2, s0
	s_addc_u32 s1, s3, s1
	s_lshl_b32 s2, s34, 7
	v_add_co_u32 v30, vcc_lo, s0, v81
	v_add_nc_u32_e32 v22, s2, v20
	v_lshlrev_b64 v[20:21], 1, v[20:21]
	v_add_co_ci_u32_e32 v31, vcc_lo, s1, v82, vcc_lo
	s_delay_alu instid0(VALU_DEP_3) | instskip(SKIP_1) | instid1(VALU_DEP_4)
	v_add_nc_u32_e32 v24, s2, v22
	v_ashrrev_i32_e32 v23, 31, v22
	v_add_co_u32 v20, vcc_lo, v30, v20
	s_delay_alu instid0(VALU_DEP_4) | instskip(NEXT) | instid1(VALU_DEP_4)
	v_add_co_ci_u32_e32 v21, vcc_lo, v31, v21, vcc_lo
	v_add_nc_u32_e32 v26, s2, v24
	v_ashrrev_i32_e32 v25, 31, v24
	v_lshlrev_b64 v[22:23], 1, v[22:23]
	s_delay_alu instid0(VALU_DEP_3) | instskip(SKIP_1) | instid1(VALU_DEP_4)
	v_add_nc_u32_e32 v28, s2, v26
	v_ashrrev_i32_e32 v27, 31, v26
	v_lshlrev_b64 v[24:25], 1, v[24:25]
	s_delay_alu instid0(VALU_DEP_4) | instskip(NEXT) | instid1(VALU_DEP_4)
	v_add_co_u32 v22, vcc_lo, v30, v22
	v_ashrrev_i32_e32 v29, 31, v28
	s_delay_alu instid0(VALU_DEP_4) | instskip(SKIP_2) | instid1(VALU_DEP_4)
	v_lshlrev_b64 v[26:27], 1, v[26:27]
	v_add_co_ci_u32_e32 v23, vcc_lo, v31, v23, vcc_lo
	v_add_co_u32 v24, vcc_lo, v30, v24
	v_lshlrev_b64 v[28:29], 1, v[28:29]
	v_add_co_ci_u32_e32 v25, vcc_lo, v31, v25, vcc_lo
	v_add_co_u32 v26, vcc_lo, v30, v26
	v_add_co_ci_u32_e32 v27, vcc_lo, v31, v27, vcc_lo
	s_delay_alu instid0(VALU_DEP_4)
	v_add_co_u32 v28, vcc_lo, v30, v28
	v_add_co_ci_u32_e32 v29, vcc_lo, v31, v29, vcc_lo
	s_clause 0x1
	global_store_b128 v[20:21], v[0:3], off
	global_store_b128 v[22:23], v[4:7], off
	s_waitcnt lgkmcnt(2)
	global_store_b128 v[24:25], v[8:11], off
	s_waitcnt lgkmcnt(1)
	;; [unrolled: 2-line block ×3, first 2 shown]
	global_store_b128 v[28:29], v[16:19], off
	s_nop 0
	s_sendmsg sendmsg(MSG_DEALLOC_VGPRS)
	s_endpgm
	.section	.rodata,"a",@progbits
	.p2align	6, 0x0
	.amdhsa_kernel _Z39paged_attention_ll4mi_QKV_mfma16_kernelI14__hip_bfloat16S0_LN4vllm18Fp8KVCacheDataTypeE0ES0_Li32ELi64ELi256ELb0ELi10EL8MFMAType0EEvPKT_PKT0_S9_ifPKiSB_SB_iPKfiiiPfSE_PS4_PT2_iSD_SD_
		.amdhsa_group_segment_fixed_size 17472
		.amdhsa_private_segment_fixed_size 0
		.amdhsa_kernarg_size 400
		.amdhsa_user_sgpr_count 13
		.amdhsa_user_sgpr_dispatch_ptr 0
		.amdhsa_user_sgpr_queue_ptr 0
		.amdhsa_user_sgpr_kernarg_segment_ptr 1
		.amdhsa_user_sgpr_dispatch_id 0
		.amdhsa_user_sgpr_private_segment_size 0
		.amdhsa_wavefront_size32 1
		.amdhsa_uses_dynamic_stack 0
		.amdhsa_enable_private_segment 0
		.amdhsa_system_sgpr_workgroup_id_x 1
		.amdhsa_system_sgpr_workgroup_id_y 1
		.amdhsa_system_sgpr_workgroup_id_z 1
		.amdhsa_system_sgpr_workgroup_info 0
		.amdhsa_system_vgpr_workitem_id 0
		.amdhsa_next_free_vgpr 142
		.amdhsa_next_free_sgpr 38
		.amdhsa_reserve_vcc 1
		.amdhsa_float_round_mode_32 0
		.amdhsa_float_round_mode_16_64 0
		.amdhsa_float_denorm_mode_32 3
		.amdhsa_float_denorm_mode_16_64 3
		.amdhsa_dx10_clamp 1
		.amdhsa_ieee_mode 1
		.amdhsa_fp16_overflow 0
		.amdhsa_workgroup_processor_mode 1
		.amdhsa_memory_ordered 1
		.amdhsa_forward_progress 0
		.amdhsa_shared_vgpr_count 0
		.amdhsa_exception_fp_ieee_invalid_op 0
		.amdhsa_exception_fp_denorm_src 0
		.amdhsa_exception_fp_ieee_div_zero 0
		.amdhsa_exception_fp_ieee_overflow 0
		.amdhsa_exception_fp_ieee_underflow 0
		.amdhsa_exception_fp_ieee_inexact 0
		.amdhsa_exception_int_div_zero 0
	.end_amdhsa_kernel
	.section	.text._Z39paged_attention_ll4mi_QKV_mfma16_kernelI14__hip_bfloat16S0_LN4vllm18Fp8KVCacheDataTypeE0ES0_Li32ELi64ELi256ELb0ELi10EL8MFMAType0EEvPKT_PKT0_S9_ifPKiSB_SB_iPKfiiiPfSE_PS4_PT2_iSD_SD_,"axG",@progbits,_Z39paged_attention_ll4mi_QKV_mfma16_kernelI14__hip_bfloat16S0_LN4vllm18Fp8KVCacheDataTypeE0ES0_Li32ELi64ELi256ELb0ELi10EL8MFMAType0EEvPKT_PKT0_S9_ifPKiSB_SB_iPKfiiiPfSE_PS4_PT2_iSD_SD_,comdat
.Lfunc_end567:
	.size	_Z39paged_attention_ll4mi_QKV_mfma16_kernelI14__hip_bfloat16S0_LN4vllm18Fp8KVCacheDataTypeE0ES0_Li32ELi64ELi256ELb0ELi10EL8MFMAType0EEvPKT_PKT0_S9_ifPKiSB_SB_iPKfiiiPfSE_PS4_PT2_iSD_SD_, .Lfunc_end567-_Z39paged_attention_ll4mi_QKV_mfma16_kernelI14__hip_bfloat16S0_LN4vllm18Fp8KVCacheDataTypeE0ES0_Li32ELi64ELi256ELb0ELi10EL8MFMAType0EEvPKT_PKT0_S9_ifPKiSB_SB_iPKfiiiPfSE_PS4_PT2_iSD_SD_
                                        ; -- End function
	.section	.AMDGPU.csdata,"",@progbits
; Kernel info:
; codeLenInByte = 9444
; NumSgprs: 40
; NumVgprs: 142
; ScratchSize: 0
; MemoryBound: 0
; FloatMode: 240
; IeeeMode: 1
; LDSByteSize: 17472 bytes/workgroup (compile time only)
; SGPRBlocks: 4
; VGPRBlocks: 17
; NumSGPRsForWavesPerEU: 40
; NumVGPRsForWavesPerEU: 142
; Occupancy: 10
; WaveLimiterHint : 1
; COMPUTE_PGM_RSRC2:SCRATCH_EN: 0
; COMPUTE_PGM_RSRC2:USER_SGPR: 13
; COMPUTE_PGM_RSRC2:TRAP_HANDLER: 0
; COMPUTE_PGM_RSRC2:TGID_X_EN: 1
; COMPUTE_PGM_RSRC2:TGID_Y_EN: 1
; COMPUTE_PGM_RSRC2:TGID_Z_EN: 1
; COMPUTE_PGM_RSRC2:TIDIG_COMP_CNT: 0
	.section	.text._Z39paged_attention_ll4mi_QKV_mfma16_kernelI14__hip_bfloat16S0_LN4vllm18Fp8KVCacheDataTypeE0ES0_Li32ELi64ELi256ELb0ELi11EL8MFMAType0EEvPKT_PKT0_S9_ifPKiSB_SB_iPKfiiiPfSE_PS4_PT2_iSD_SD_,"axG",@progbits,_Z39paged_attention_ll4mi_QKV_mfma16_kernelI14__hip_bfloat16S0_LN4vllm18Fp8KVCacheDataTypeE0ES0_Li32ELi64ELi256ELb0ELi11EL8MFMAType0EEvPKT_PKT0_S9_ifPKiSB_SB_iPKfiiiPfSE_PS4_PT2_iSD_SD_,comdat
	.protected	_Z39paged_attention_ll4mi_QKV_mfma16_kernelI14__hip_bfloat16S0_LN4vllm18Fp8KVCacheDataTypeE0ES0_Li32ELi64ELi256ELb0ELi11EL8MFMAType0EEvPKT_PKT0_S9_ifPKiSB_SB_iPKfiiiPfSE_PS4_PT2_iSD_SD_ ; -- Begin function _Z39paged_attention_ll4mi_QKV_mfma16_kernelI14__hip_bfloat16S0_LN4vllm18Fp8KVCacheDataTypeE0ES0_Li32ELi64ELi256ELb0ELi11EL8MFMAType0EEvPKT_PKT0_S9_ifPKiSB_SB_iPKfiiiPfSE_PS4_PT2_iSD_SD_
	.globl	_Z39paged_attention_ll4mi_QKV_mfma16_kernelI14__hip_bfloat16S0_LN4vllm18Fp8KVCacheDataTypeE0ES0_Li32ELi64ELi256ELb0ELi11EL8MFMAType0EEvPKT_PKT0_S9_ifPKiSB_SB_iPKfiiiPfSE_PS4_PT2_iSD_SD_
	.p2align	8
	.type	_Z39paged_attention_ll4mi_QKV_mfma16_kernelI14__hip_bfloat16S0_LN4vllm18Fp8KVCacheDataTypeE0ES0_Li32ELi64ELi256ELb0ELi11EL8MFMAType0EEvPKT_PKT0_S9_ifPKiSB_SB_iPKfiiiPfSE_PS4_PT2_iSD_SD_,@function
_Z39paged_attention_ll4mi_QKV_mfma16_kernelI14__hip_bfloat16S0_LN4vllm18Fp8KVCacheDataTypeE0ES0_Li32ELi64ELi256ELb0ELi11EL8MFMAType0EEvPKT_PKT0_S9_ifPKiSB_SB_iPKfiiiPfSE_PS4_PT2_iSD_SD_: ; @_Z39paged_attention_ll4mi_QKV_mfma16_kernelI14__hip_bfloat16S0_LN4vllm18Fp8KVCacheDataTypeE0ES0_Li32ELi64ELi256ELb0ELi11EL8MFMAType0EEvPKT_PKT0_S9_ifPKiSB_SB_iPKfiiiPfSE_PS4_PT2_iSD_SD_
; %bb.0:
	s_load_b64 s[2:3], s[0:1], 0x30
	s_mov_b32 s34, s13
	s_waitcnt lgkmcnt(0)
	s_cmp_lg_u64 s[2:3], 0
	s_cselect_b32 s6, -1, 0
	s_ashr_i32 s35, s13, 31
	s_cmp_eq_u64 s[2:3], 0
	s_cbranch_scc1 .LBB568_3
; %bb.1:
	s_lshl_b64 s[4:5], s[34:35], 2
	s_delay_alu instid0(SALU_CYCLE_1) | instskip(SKIP_4) | instid1(SALU_CYCLE_1)
	s_add_u32 s4, s2, s4
	s_addc_u32 s5, s3, s5
	s_load_b64 s[4:5], s[4:5], 0x0
	s_waitcnt lgkmcnt(0)
	s_sub_i32 s4, s5, s4
	s_cmp_eq_u32 s4, 1
	s_cselect_b32 s4, -1, 0
	s_delay_alu instid0(SALU_CYCLE_1)
	s_and_not1_b32 vcc_lo, exec_lo, s4
	s_cbranch_vccz .LBB568_4
.LBB568_2:
	s_nop 0
	s_sendmsg sendmsg(MSG_DEALLOC_VGPRS)
	s_endpgm
.LBB568_3:
.LBB568_4:
	s_load_b64 s[8:9], s[0:1], 0x28
	s_lshl_b64 s[4:5], s[34:35], 2
	s_waitcnt lgkmcnt(0)
	s_add_u32 s8, s8, s4
	s_addc_u32 s9, s9, s5
	s_lshl_b32 s16, s14, 8
	s_load_b32 s18, s[8:9], 0x0
	s_waitcnt lgkmcnt(0)
	s_cmp_ge_i32 s16, s18
	s_cbranch_scc1 .LBB568_2
; %bb.5:
	s_and_not1_b32 vcc_lo, exec_lo, s6
	s_cbranch_vccnz .LBB568_7
; %bb.6:
	s_add_u32 s2, s2, s4
	s_addc_u32 s3, s3, s5
	s_load_b32 s17, s[2:3], 0x0
	s_branch .LBB568_8
.LBB568_7:
	s_mov_b32 s17, s34
.LBB568_8:
	s_clause 0x2
	s_load_b128 s[8:11], s[0:1], 0x8
	s_load_b64 s[12:13], s[0:1], 0x20
	s_load_b128 s[4:7], s[0:1], 0x48
	v_lshrrev_b32_e32 v74, 5, v0
	v_bfe_u32 v83, v0, 4, 1
	v_and_b32_e32 v73, 15, v0
	s_delay_alu instid0(VALU_DEP_2) | instskip(NEXT) | instid1(VALU_DEP_2)
	v_lshl_or_b32 v3, v74, 1, v83
	v_cmp_lt_u32_e64 s3, 7, v73
	v_lshlrev_b32_e32 v1, 3, v73
	v_cmp_gt_u32_e64 s2, 8, v73
	s_delay_alu instid0(VALU_DEP_4) | instskip(NEXT) | instid1(VALU_DEP_4)
	v_cmp_lt_u32_e32 vcc_lo, 10, v3
	s_or_b32 s3, s3, vcc_lo
	s_waitcnt lgkmcnt(0)
	s_and_saveexec_b32 s7, s3
	s_delay_alu instid0(SALU_CYCLE_1)
	s_xor_b32 s3, exec_lo, s7
; %bb.9:
	v_mov_b32_e32 v2, 0
                                        ; implicit-def: $vgpr3
; %bb.10:
	s_or_saveexec_b32 s3, s3
	v_and_b32_e32 v75, 31, v0
	v_and_b32_e32 v84, 1, v0
	s_mul_i32 s31, s15, 11
	s_xor_b32 exec_lo, exec_lo, s3
	s_cbranch_execz .LBB568_12
; %bb.11:
	s_load_b64 s[20:21], s[0:1], 0x0
	v_add_lshl_u32 v4, v3, s31, 6
	s_mul_hi_i32 s23, s17, s4
	s_mul_i32 s22, s17, s4
	v_lshlrev_b32_e32 v2, 1, v1
	s_lshl_b64 s[22:23], s[22:23], 1
	v_ashrrev_i32_e32 v5, 31, v4
	v_lshlrev_b32_e32 v3, 6, v3
	v_lshlrev_b32_e32 v8, 10, v84
	s_delay_alu instid0(VALU_DEP_3) | instskip(SKIP_3) | instid1(VALU_DEP_1)
	v_lshlrev_b64 v[4:5], 1, v[4:5]
	s_waitcnt lgkmcnt(0)
	s_add_u32 s4, s20, s22
	s_addc_u32 s7, s21, s23
	v_add_co_u32 v4, vcc_lo, s4, v4
	s_delay_alu instid0(VALU_DEP_2) | instskip(NEXT) | instid1(VALU_DEP_2)
	v_add_co_ci_u32_e32 v5, vcc_lo, s7, v5, vcc_lo
	v_add_co_u32 v4, vcc_lo, v4, v2
	s_delay_alu instid0(VALU_DEP_2) | instskip(SKIP_3) | instid1(VALU_DEP_1)
	v_add_co_ci_u32_e32 v5, vcc_lo, 0, v5, vcc_lo
	v_lshlrev_b32_e32 v2, 10, v73
	global_load_b128 v[4:7], v[4:5], off
	v_and_b32_e32 v2, 0x3800, v2
	v_or3_b32 v3, v2, v8, v3
	v_mov_b32_e32 v2, 0
	s_waitcnt vmcnt(0)
	ds_store_b128 v3, v[4:7]
.LBB568_12:
	s_or_b32 exec_lo, exec_lo, s3
	v_and_b32_e32 v3, 0xef, v0
	s_add_i32 s3, s18, 31
	s_clause 0x1
	s_load_b32 s4, s[0:1], 0x38
	s_load_b32 s19, s[0:1], 0x1c
	s_ashr_i32 s7, s3, 31
	v_add_nc_u32_e32 v3, s16, v3
	s_lshr_b32 s7, s7, 27
	s_waitcnt lgkmcnt(0)
	s_add_i32 s3, s3, s7
	s_barrier
	v_ashrrev_i32_e32 v4, 31, v3
	v_cmp_gt_i32_e32 vcc_lo, s18, v3
	s_ashr_i32 s3, s3, 5
	buffer_gl0_inv
	s_add_i32 s3, s3, -1
	v_lshrrev_b32_e32 v5, 27, v4
	v_or_b32_e32 v4, 16, v3
	s_mul_i32 s6, s15, s6
	v_lshlrev_b64 v[81:82], 1, v[1:2]
	s_delay_alu instid0(VALU_DEP_3) | instskip(NEXT) | instid1(VALU_DEP_3)
	v_add_nc_u32_e32 v6, v3, v5
	v_add_nc_u32_e32 v5, v4, v5
	s_mul_i32 s20, s34, s4
	s_delay_alu instid0(SALU_CYCLE_1) | instskip(NEXT) | instid1(VALU_DEP_2)
	s_ashr_i32 s21, s20, 31
	v_ashrrev_i32_e32 v6, 5, v6
	s_delay_alu instid0(VALU_DEP_2) | instskip(SKIP_1) | instid1(SALU_CYCLE_1)
	v_ashrrev_i32_e32 v5, 5, v5
	s_lshl_b64 s[20:21], s[20:21], 2
	s_add_u32 s4, s12, s20
	s_delay_alu instid0(VALU_DEP_2) | instskip(SKIP_3) | instid1(SALU_CYCLE_1)
	v_cndmask_b32_e32 v3, s3, v6, vcc_lo
	v_cmp_gt_i32_e32 vcc_lo, s18, v4
	s_addc_u32 s17, s13, s21
	s_ashr_i32 s7, s6, 31
	s_lshl_b64 s[6:7], s[6:7], 1
	v_cndmask_b32_e32 v5, s3, v5, vcc_lo
	v_ashrrev_i32_e32 v4, 31, v3
	s_add_u32 s15, s8, s6
	s_addc_u32 s28, s9, s7
	s_lshl_b32 s8, s14, 3
	v_ashrrev_i32_e32 v6, 31, v5
	v_lshlrev_b64 v[3:4], 2, v[3:4]
	s_ashr_i32 s9, s8, 31
	s_delay_alu instid0(SALU_CYCLE_1) | instskip(NEXT) | instid1(VALU_DEP_2)
	s_lshl_b64 s[8:9], s[8:9], 2
	v_lshlrev_b64 v[5:6], 2, v[5:6]
	s_add_u32 s8, s4, s8
	s_delay_alu instid0(VALU_DEP_2) | instskip(SKIP_1) | instid1(VALU_DEP_3)
	v_add_co_u32 v3, vcc_lo, s4, v3
	v_add_co_ci_u32_e32 v4, vcc_lo, s17, v4, vcc_lo
	v_add_co_u32 v5, vcc_lo, s4, v5
	s_delay_alu instid0(VALU_DEP_4)
	v_add_co_ci_u32_e32 v6, vcc_lo, s17, v6, vcc_lo
	s_addc_u32 s9, s17, s9
	s_clause 0x1
	global_load_b32 v7, v[3:4], off
	global_load_b32 v8, v[5:6], off
	s_or_b32 s12, s16, 32
	s_delay_alu instid0(SALU_CYCLE_1) | instskip(SKIP_2) | instid1(SALU_CYCLE_1)
	s_ashr_i32 s13, s12, 5
	s_cmp_lt_i32 s12, s18
	s_cselect_b32 s12, s13, s3
	s_ashr_i32 s13, s12, 31
	s_delay_alu instid0(SALU_CYCLE_1) | instskip(NEXT) | instid1(SALU_CYCLE_1)
	s_lshl_b64 s[12:13], s[12:13], 2
	s_add_u32 s12, s4, s12
	s_addc_u32 s13, s17, s13
	s_or_b32 s20, s16, 64
	s_delay_alu instid0(SALU_CYCLE_1) | instskip(SKIP_2) | instid1(SALU_CYCLE_1)
	s_ashr_i32 s21, s20, 5
	s_cmp_lt_i32 s20, s18
	s_cselect_b32 s20, s21, s3
	s_ashr_i32 s21, s20, 31
	s_delay_alu instid0(SALU_CYCLE_1) | instskip(NEXT) | instid1(SALU_CYCLE_1)
	s_lshl_b64 s[20:21], s[20:21], 2
	s_add_u32 s20, s4, s20
	s_addc_u32 s21, s17, s21
	;; [unrolled: 10-line block ×5, first 2 shown]
	s_clause 0x5
	s_load_b32 s29, s[8:9], 0x0
	s_load_b32 s30, s[12:13], 0x0
	;; [unrolled: 1-line block ×6, first 2 shown]
	s_mov_b32 s20, 0
	s_or_b32 s8, s16, 0xc0
	s_mov_b32 s21, s20
	s_mov_b32 s22, s20
	;; [unrolled: 1-line block ×7, first 2 shown]
	s_ashr_i32 s9, s8, 5
	v_mov_b32_e32 v117, s27
	s_cmp_lt_i32 s8, s18
	v_mov_b32_e32 v116, s26
	s_cselect_b32 s8, s9, s3
	v_mov_b32_e32 v115, s25
	s_ashr_i32 s9, s8, 31
	v_dual_mov_b32 v114, s24 :: v_dual_mov_b32 v113, s23
	v_dual_mov_b32 v112, s22 :: v_dual_mov_b32 v111, s21
	s_lshl_b64 s[8:9], s[8:9], 2
	s_waitcnt lgkmcnt(0)
	s_mul_hi_i32 s13, s29, s5
	s_add_u32 s8, s4, s8
	s_addc_u32 s9, s17, s9
	s_mul_i32 s12, s29, s5
	s_mul_hi_i32 s37, s38, s5
	v_mov_b32_e32 v110, s20
	s_mul_hi_i32 s21, s30, s5
	s_mul_i32 s20, s30, s5
	s_mul_hi_i32 s25, s33, s5
	s_mul_i32 s24, s33, s5
	;; [unrolled: 2-line block ×3, first 2 shown]
	s_waitcnt vmcnt(1)
	v_mad_i64_i32 v[3:4], null, v7, s5, 0
	s_waitcnt vmcnt(0)
	v_mad_i64_i32 v[5:6], null, v8, s5, 0
	s_delay_alu instid0(VALU_DEP_2) | instskip(NEXT) | instid1(VALU_DEP_2)
	v_lshlrev_b64 v[3:4], 1, v[3:4]
	v_lshlrev_b64 v[1:2], 1, v[5:6]
	s_delay_alu instid0(VALU_DEP_2) | instskip(NEXT) | instid1(VALU_DEP_3)
	v_add_co_u32 v3, vcc_lo, s15, v3
	v_add_co_ci_u32_e32 v4, vcc_lo, s28, v4, vcc_lo
	s_delay_alu instid0(VALU_DEP_3) | instskip(NEXT) | instid1(VALU_DEP_4)
	v_add_co_u32 v1, vcc_lo, s15, v1
	v_add_co_ci_u32_e32 v2, vcc_lo, s28, v2, vcc_lo
	s_delay_alu instid0(VALU_DEP_4) | instskip(NEXT) | instid1(VALU_DEP_4)
	v_add_co_u32 v41, vcc_lo, v3, v81
	v_add_co_ci_u32_e32 v42, vcc_lo, v4, v82, vcc_lo
	s_delay_alu instid0(VALU_DEP_4) | instskip(NEXT) | instid1(VALU_DEP_4)
	v_add_co_u32 v43, vcc_lo, v1, v81
	v_add_co_ci_u32_e32 v44, vcc_lo, v2, v82, vcc_lo
	s_clause 0xf
	global_load_b128 v[1:4], v[41:42], off
	global_load_b128 v[5:8], v[41:42], off offset:512
	global_load_b128 v[9:12], v[43:44], off offset:256
	;; [unrolled: 1-line block ×15, first 2 shown]
	v_add_nc_u32_e32 v41, -11, v73
	v_cmp_gt_u32_e32 vcc_lo, 11, v73
	s_or_b32 s15, s16, 0xe0
	s_delay_alu instid0(SALU_CYCLE_1) | instskip(SKIP_3) | instid1(SALU_CYCLE_1)
	s_ashr_i32 s22, s15, 5
	s_cmp_lt_i32 s15, s18
	v_cndmask_b32_e32 v41, v41, v73, vcc_lo
	s_cselect_b32 s22, s22, s3
	s_ashr_i32 s23, s22, 31
	s_delay_alu instid0(VALU_DEP_1)
	v_lshlrev_b32_e32 v57, 6, v41
	ds_load_b128 v[41:44], v57
	ds_load_b128 v[45:48], v57 offset:1024
	ds_load_b128 v[49:52], v57 offset:2048
	ds_load_b128 v[53:56], v57 offset:3072
	ds_load_b128 v[118:121], v57 offset:4096
	ds_load_b128 v[122:125], v57 offset:5120
	ds_load_b128 v[126:129], v57 offset:6144
	ds_load_b128 v[130:133], v57 offset:7168
	s_lshl_b64 s[22:23], s[22:23], 2
	s_delay_alu instid0(SALU_CYCLE_1) | instskip(SKIP_2) | instid1(SALU_CYCLE_1)
	s_add_u32 s22, s4, s22
	s_addc_u32 s23, s17, s23
	s_add_i32 s15, s16, 0x100
	s_ashr_i32 s28, s15, 5
	s_cmp_lt_i32 s15, s18
	s_load_b32 s15, s[8:9], 0x0
	s_cselect_b32 s28, s28, s3
	s_mul_hi_i32 s9, s36, s5
	s_ashr_i32 s29, s28, 31
	s_mul_i32 s8, s36, s5
	s_lshl_b64 s[28:29], s[28:29], 2
	s_mul_i32 s36, s38, s5
	s_add_u32 s28, s4, s28
	s_addc_u32 s29, s17, s29
	s_add_u32 s3, s10, s6
	s_clause 0x1
	s_load_b32 s4, s[22:23], 0x0
	s_load_b32 s17, s[28:29], 0x0
	s_addc_u32 s28, s11, s7
	s_lshl_b64 s[6:7], s[12:13], 1
	s_lshl_b64 s[10:11], s[20:21], 1
	;; [unrolled: 1-line block ×6, first 2 shown]
	s_waitcnt lgkmcnt(0)
	s_mul_hi_i32 s25, s15, s5
	s_mul_i32 s24, s15, s5
	s_waitcnt vmcnt(14)
	v_wmma_f32_16x16x16_bf16 v[134:141], v[1:8], v[41:48], v[110:117]
	s_waitcnt vmcnt(10)
	s_delay_alu instid0(VALU_DEP_1) | instskip(SKIP_1) | instid1(VALU_DEP_1)
	v_wmma_f32_16x16x16_bf16 v[134:141], v[17:24], v[49:56], v[134:141]
	s_waitcnt vmcnt(6)
	v_wmma_f32_16x16x16_bf16 v[134:141], v[33:40], v[118:125], v[134:141]
	s_waitcnt vmcnt(2)
	s_delay_alu instid0(VALU_DEP_1) | instskip(SKIP_1) | instid1(VALU_DEP_2)
	v_wmma_f32_16x16x16_bf16 v[134:141], v[94:101], v[126:133], v[134:141]
	v_lshlrev_b32_e32 v85, 6, v73
	v_mul_f32_e32 v100, s19, v141
	s_delay_alu instid0(VALU_DEP_2) | instskip(SKIP_2) | instid1(VALU_DEP_3)
	v_lshl_or_b32 v58, v74, 10, v85
	v_wmma_f32_16x16x16_bf16 v[110:117], v[9:16], v[41:48], v[110:117]
	v_mul_f32_e32 v99, s19, v135
	v_add_co_u32 v76, s3, s3, v58
	s_delay_alu instid0(VALU_DEP_1) | instskip(NEXT) | instid1(VALU_DEP_4)
	v_add_co_ci_u32_e64 v77, null, s28, 0, s3
	v_wmma_f32_16x16x16_bf16 v[110:117], v[25:32], v[49:56], v[110:117]
	s_delay_alu instid0(VALU_DEP_3) | instskip(NEXT) | instid1(VALU_DEP_3)
	v_add_co_u32 v57, vcc_lo, v76, s6
	v_add_co_ci_u32_e32 v58, vcc_lo, s7, v77, vcc_lo
	v_add_co_u32 v1, vcc_lo, v76, s10
	v_add_co_ci_u32_e32 v2, vcc_lo, s11, v77, vcc_lo
	;; [unrolled: 2-line block ×5, first 2 shown]
	s_clause 0x9
	global_load_b128 v[65:68], v[57:58], off
	global_load_b128 v[69:72], v[57:58], off offset:16
	global_load_b128 v[57:60], v[1:2], off
	global_load_b128 v[61:64], v[1:2], off offset:16
	;; [unrolled: 2-line block ×5, first 2 shown]
	v_add_co_u32 v5, vcc_lo, v76, s22
	s_lshl_b64 s[6:7], s[24:25], 1
	v_add_co_ci_u32_e32 v6, vcc_lo, s23, v77, vcc_lo
	s_mul_hi_i32 s9, s4, s5
	s_mul_i32 s8, s4, s5
	v_add_co_u32 v17, vcc_lo, v76, s6
	v_add_co_ci_u32_e32 v18, vcc_lo, s7, v77, vcc_lo
	s_lshl_b64 s[6:7], s[8:9], 1
	s_mul_hi_i32 s9, s17, s5
	s_mul_i32 s8, s17, s5
	v_add_co_u32 v19, vcc_lo, v76, s6
	s_lshl_b64 s[4:5], s[8:9], 1
	v_add_co_ci_u32_e32 v20, vcc_lo, s7, v77, vcc_lo
	v_add_co_u32 v21, vcc_lo, v76, s4
	v_add_co_ci_u32_e32 v22, vcc_lo, s5, v77, vcc_lo
	s_clause 0x7
	global_load_b128 v[1:4], v[5:6], off
	global_load_b128 v[5:8], v[5:6], off offset:16
	global_load_b128 v[33:36], v[17:18], off
	global_load_b128 v[37:40], v[17:18], off offset:16
	;; [unrolled: 2-line block ×4, first 2 shown]
	v_and_b32_e32 v76, 0xe0, v0
	v_mbcnt_lo_u32_b32 v77, -1, 0
	v_wmma_f32_16x16x16_bf16 v[110:117], v[86:93], v[118:125], v[110:117]
	s_waitcnt vmcnt(0)
	s_barrier
	v_add_nc_u32_e32 v76, s16, v76
	v_xor_b32_e32 v78, 16, v77
	v_wmma_f32_16x16x16_bf16 v[110:117], v[102:109], v[126:133], v[110:117]
	v_mul_f32_e32 v97, s19, v134
	buffer_gl0_inv
	v_or_b32_e32 v76, v76, v83
	v_cmp_gt_i32_e32 vcc_lo, 32, v78
	s_delay_alu instid0(VALU_DEP_2)
	v_or_b32_e32 v79, 4, v76
	v_cndmask_b32_e32 v77, v77, v78, vcc_lo
	v_or_b32_e32 v78, 2, v76
	v_or_b32_e32 v80, 6, v76
	v_cmp_gt_i32_e32 vcc_lo, s18, v76
	v_or_b32_e32 v86, 8, v76
	v_or_b32_e32 v87, 10, v76
	v_cmp_gt_i32_e64 s3, s18, v78
	v_or_b32_e32 v88, 12, v76
	v_or_b32_e32 v89, 14, v76
	;; [unrolled: 1-line block ×10, first 2 shown]
	v_cndmask_b32_e32 v76, 0xff7fffff, v97, vcc_lo
	v_cndmask_b32_e64 v78, 0xff7fffff, v99, s3
	v_mul_f32_e32 v99, s19, v137
	v_cmp_gt_i32_e64 s4, s18, v80
	v_mul_f32_e32 v80, s19, v136
	v_cmp_gt_i32_e64 s5, s18, v79
	v_max3_f32 v76, v76, 0xff7fffff, v78
	v_dual_mul_f32 v78, s19, v138 :: v_dual_mul_f32 v79, s19, v139
	v_cndmask_b32_e64 v99, 0xff7fffff, v99, s4
	s_delay_alu instid0(VALU_DEP_4)
	v_cndmask_b32_e64 v80, 0xff7fffff, v80, s5
	v_cmp_gt_i32_e64 s6, s18, v86
	v_cmp_gt_i32_e64 s7, s18, v87
	v_mul_f32_e32 v97, s19, v140
	v_cmp_gt_i32_e64 s8, s18, v89
	v_max3_f32 v76, v76, v80, v99
	v_cndmask_b32_e64 v78, 0xff7fffff, v78, s6
	v_cndmask_b32_e64 v79, 0xff7fffff, v79, s7
	v_cmp_gt_i32_e64 s9, s18, v88
	v_dual_mul_f32 v88, s19, v111 :: v_dual_mul_f32 v89, s19, v110
	v_cndmask_b32_e64 v100, 0xff7fffff, v100, s8
	s_delay_alu instid0(VALU_DEP_4) | instskip(NEXT) | instid1(VALU_DEP_4)
	v_max3_f32 v76, v76, v78, v79
	v_cndmask_b32_e64 v97, 0xff7fffff, v97, s9
	v_cmp_gt_i32_e64 s10, s18, v90
	v_cmp_gt_i32_e64 s11, s18, v91
	v_dual_mul_f32 v78, s19, v113 :: v_dual_mul_f32 v79, s19, v112
	s_delay_alu instid0(VALU_DEP_4) | instskip(NEXT) | instid1(VALU_DEP_4)
	v_max3_f32 v76, v76, v97, v100
	v_cndmask_b32_e64 v89, 0xff7fffff, v89, s10
	s_delay_alu instid0(VALU_DEP_4)
	v_cndmask_b32_e64 v88, 0xff7fffff, v88, s11
	v_cmp_gt_i32_e64 s12, s18, v92
	v_cmp_gt_i32_e64 s13, s18, v93
	v_mul_f32_e32 v87, s19, v115
	v_mul_f32_e32 v99, s19, v114
	v_max3_f32 v76, v76, v89, v88
	v_cndmask_b32_e64 v79, 0xff7fffff, v79, s12
	v_cndmask_b32_e64 v78, 0xff7fffff, v78, s13
	v_cmp_gt_i32_e64 s15, s18, v94
	v_cmp_gt_i32_e64 s16, s18, v95
	v_mul_f32_e32 v80, s19, v117
	v_mul_f32_e32 v86, s19, v116
	v_max3_f32 v76, v76, v79, v78
	v_cndmask_b32_e64 v88, 0xff7fffff, v99, s15
	v_cndmask_b32_e64 v87, 0xff7fffff, v87, s16
	v_cmp_gt_i32_e64 s17, s18, v96
	v_cmp_gt_i32_e64 s18, s18, v98
	v_lshlrev_b32_e32 v99, 2, v77
	s_delay_alu instid0(VALU_DEP_4) | instskip(NEXT) | instid1(VALU_DEP_4)
	v_max3_f32 v76, v76, v88, v87
	v_cndmask_b32_e64 v78, 0xff7fffff, v86, s17
	s_delay_alu instid0(VALU_DEP_4) | instskip(NEXT) | instid1(VALU_DEP_1)
	v_cndmask_b32_e64 v79, 0xff7fffff, v80, s18
	v_max3_f32 v76, v76, v78, v79
	ds_bpermute_b32 v77, v99, v76
	s_waitcnt lgkmcnt(0)
	v_max_f32_e32 v77, v77, v77
	s_delay_alu instid0(VALU_DEP_1) | instskip(NEXT) | instid1(VALU_DEP_1)
	v_max_f32_e32 v76, v76, v77
	v_fma_f32 v77, s19, v134, -v76
	v_fma_f32 v78, s19, v135, -v76
	;; [unrolled: 1-line block ×5, first 2 shown]
	s_delay_alu instid0(VALU_DEP_4) | instskip(SKIP_1) | instid1(VALU_DEP_4)
	v_dual_mul_f32 v77, 0x3fb8aa3b, v77 :: v_dual_mul_f32 v78, 0x3fb8aa3b, v78
	v_fma_f32 v88, s19, v114, -v76
	v_dual_mul_f32 v79, 0x3fb8aa3b, v79 :: v_dual_mul_f32 v80, 0x3fb8aa3b, v80
	s_delay_alu instid0(VALU_DEP_3) | instskip(NEXT) | instid1(VALU_DEP_3)
	v_exp_f32_e32 v77, v77
	v_exp_f32_e32 v78, v78
	s_delay_alu instid0(VALU_DEP_2) | instskip(NEXT) | instid1(VALU_DEP_2)
	v_mul_f32_e32 v88, 0x3fb8aa3b, v88
	v_exp_f32_e32 v79, v79
	v_mul_f32_e32 v86, 0x3fb8aa3b, v86
	v_exp_f32_e32 v80, v80
	v_fma_f32 v87, s19, v140, -v76
	v_fma_f32 v100, s19, v117, -v76
	;; [unrolled: 1-line block ×3, first 2 shown]
	v_exp_f32_e32 v86, v86
	v_cndmask_b32_e32 v92, 0, v77, vcc_lo
	v_fma_f32 v77, s19, v139, -v76
	v_cndmask_b32_e64 v91, 0, v78, s3
	v_cndmask_b32_e64 v93, 0, v79, s5
	v_fma_f32 v79, s19, v141, -v76
	s_delay_alu instid0(VALU_DEP_4) | instskip(SKIP_2) | instid1(TRANS32_DEP_1)
	v_dual_add_f32 v78, 0, v92 :: v_dual_mul_f32 v77, 0x3fb8aa3b, v77
	v_cndmask_b32_e64 v95, 0, v80, s4
	v_mul_f32_e32 v87, 0x3fb8aa3b, v87
	v_cndmask_b32_e64 v96, 0, v86, s6
	s_delay_alu instid0(VALU_DEP_4)
	v_add_f32_e32 v78, v78, v91
	v_exp_f32_e32 v77, v77
	v_fma_f32 v86, s19, v111, -v76
	v_fma_f32 v80, s19, v110, -v76
	v_exp_f32_e32 v87, v87
	v_add_f32_e32 v78, v78, v93
	v_mul_f32_e32 v100, 0x3fb8aa3b, v100
	v_mul_f32_e32 v86, 0x3fb8aa3b, v86
	;; [unrolled: 1-line block ×3, first 2 shown]
	v_exp_f32_e32 v88, v88
	v_add_f32_e32 v78, v78, v95
	v_cndmask_b32_e64 v97, 0, v77, s7
	v_exp_f32_e32 v86, v86
	v_exp_f32_e32 v80, v80
	v_cndmask_b32_e64 v94, 0, v87, s9
	v_add_f32_e32 v77, v78, v96
	v_fma_f32 v78, s19, v112, -v76
	v_fma_f32 v87, s19, v113, -v76
	v_exp_f32_e32 v100, v100
	v_cmp_gt_u32_e64 s3, 16, v75
	s_delay_alu instid0(VALU_DEP_3) | instskip(NEXT) | instid1(VALU_DEP_3)
	v_dual_add_f32 v77, v77, v97 :: v_dual_mul_f32 v78, 0x3fb8aa3b, v78
	v_mul_f32_e32 v87, 0x3fb8aa3b, v87
	s_delay_alu instid0(VALU_DEP_2) | instskip(SKIP_2) | instid1(VALU_DEP_3)
	v_exp_f32_e32 v89, v78
	v_cndmask_b32_e64 v78, 0, v86, s11
	v_mul_f32_e32 v79, 0x3fb8aa3b, v79
	v_exp_f32_e32 v87, v87
	s_delay_alu instid0(VALU_DEP_1)
	v_exp_f32_e32 v79, v79
	s_waitcnt_depctr 0xfff
	v_cndmask_b32_e64 v98, 0, v79, s8
	v_add_f32_e32 v79, v77, v94
	v_cndmask_b32_e64 v77, 0, v80, s10
	v_fma_f32 v80, s19, v115, -v76
	s_delay_alu instid0(VALU_DEP_1) | instskip(NEXT) | instid1(VALU_DEP_1)
	v_dual_add_f32 v79, v79, v98 :: v_dual_mul_f32 v80, 0x3fb8aa3b, v80
	v_add_f32_e32 v86, v79, v77
	v_cndmask_b32_e64 v79, 0, v89, s12
	v_mul_f32_e32 v89, 0x3fb8aa3b, v90
	s_delay_alu instid0(VALU_DEP_4) | instskip(SKIP_2) | instid1(VALU_DEP_3)
	v_exp_f32_e32 v90, v80
	v_cndmask_b32_e64 v80, 0, v87, s13
	v_add_f32_e32 v86, v86, v78
	v_exp_f32_e32 v89, v89
	s_delay_alu instid0(VALU_DEP_1) | instskip(SKIP_1) | instid1(VALU_DEP_2)
	v_add_f32_e32 v87, v86, v79
	v_cndmask_b32_e64 v86, 0, v88, s15
	v_add_f32_e32 v88, v87, v80
	s_delay_alu instid0(TRANS32_DEP_2) | instskip(NEXT) | instid1(VALU_DEP_2)
	v_cndmask_b32_e64 v87, 0, v90, s16
	v_add_f32_e32 v90, v88, v86
	s_waitcnt_depctr 0xfff
	v_cndmask_b32_e64 v88, 0, v89, s17
	v_add_f32_e32 v89, v90, v87
	s_delay_alu instid0(VALU_DEP_1) | instskip(SKIP_1) | instid1(VALU_DEP_1)
	v_add_f32_e32 v90, v89, v88
	v_cndmask_b32_e64 v89, 0, v100, s18
	v_add_f32_e32 v90, v90, v89
	ds_bpermute_b32 v99, v99, v90
	s_and_saveexec_b32 s4, s3
	s_cbranch_execz .LBB568_14
; %bb.13:
	v_mul_u32_u24_e32 v75, 0x44, v74
	s_waitcnt lgkmcnt(0)
	v_add_f32_e32 v90, v90, v99
	s_delay_alu instid0(VALU_DEP_2) | instskip(NEXT) | instid1(VALU_DEP_1)
	v_lshl_add_u32 v75, v73, 2, v75
	v_add_nc_u32_e32 v75, 0x4000, v75
	ds_store_2addr_b32 v75, v76, v90 offset1:136
.LBB568_14:
	s_or_b32 exec_lo, exec_lo, s4
	v_lshlrev_b32_e32 v75, 2, v73
	s_waitcnt lgkmcnt(0)
	s_barrier
	buffer_gl0_inv
	v_cmp_eq_u32_e64 s4, 1, v74
	v_add_nc_u32_e32 v90, 0x4000, v75
	ds_load_2addr_b32 v[99:100], v90 offset1:17
	ds_load_2addr_b32 v[101:102], v90 offset0:34 offset1:51
	ds_load_2addr_b32 v[103:104], v90 offset0:68 offset1:85
	;; [unrolled: 1-line block ×4, first 2 shown]
	s_waitcnt lgkmcnt(4)
	v_max3_f32 v75, v99, 0xff7fffff, v100
	s_waitcnt lgkmcnt(3)
	s_delay_alu instid0(VALU_DEP_1) | instskip(SKIP_1) | instid1(VALU_DEP_1)
	v_max3_f32 v75, v75, v101, v102
	s_waitcnt lgkmcnt(2)
	v_max3_f32 v75, v75, v103, v104
	s_waitcnt lgkmcnt(1)
	s_delay_alu instid0(VALU_DEP_1) | instskip(NEXT) | instid1(VALU_DEP_1)
	v_max3_f32 v75, v75, v105, v106
	v_sub_f32_e32 v109, v100, v75
	v_sub_f32_e32 v76, v99, v75
	ds_load_2addr_b32 v[99:100], v90 offset0:170 offset1:187
	v_sub_f32_e32 v101, v101, v75
	v_dual_mul_f32 v109, 0x3fb8aa3b, v109 :: v_dual_mul_f32 v76, 0x3fb8aa3b, v76
	s_delay_alu instid0(VALU_DEP_2) | instskip(NEXT) | instid1(VALU_DEP_2)
	v_mul_f32_e32 v111, 0x3fb8aa3b, v101
	v_exp_f32_e32 v109, v109
	s_delay_alu instid0(VALU_DEP_2)
	v_exp_f32_e32 v110, v76
	v_sub_f32_e32 v76, v102, v75
	ds_load_2addr_b32 v[101:102], v90 offset0:204 offset1:221
	v_exp_f32_e32 v111, v111
	v_mul_f32_e32 v112, 0x3fb8aa3b, v76
	s_waitcnt lgkmcnt(2)
	v_fma_f32 v76, v110, v107, 0
	v_sub_f32_e32 v103, v103, v75
	s_delay_alu instid0(VALU_DEP_3) | instskip(NEXT) | instid1(VALU_DEP_2)
	v_exp_f32_e32 v112, v112
	v_dual_sub_f32 v107, v104, v75 :: v_dual_fmac_f32 v76, v109, v108
	s_waitcnt lgkmcnt(1)
	s_waitcnt_depctr 0xfff
	v_fmac_f32_e32 v76, v111, v99
	v_mul_f32_e32 v113, 0x3fb8aa3b, v103
	ds_load_2addr_b32 v[103:104], v90 offset0:238 offset1:255
	v_sub_f32_e32 v90, v105, v75
	v_dual_sub_f32 v99, v106, v75 :: v_dual_fmac_f32 v76, v112, v100
	v_mul_f32_e32 v105, 0x3fb8aa3b, v107
	v_exp_f32_e32 v107, v113
	s_delay_alu instid0(VALU_DEP_2)
	v_dual_mul_f32 v90, 0x3fb8aa3b, v90 :: v_dual_mul_f32 v99, 0x3fb8aa3b, v99
	s_waitcnt lgkmcnt(0)
	s_barrier
	buffer_gl0_inv
	v_exp_f32_e32 v90, v90
	v_exp_f32_e32 v99, v99
	v_fmac_f32_e32 v76, v107, v101
	v_exp_f32_e32 v105, v105
	s_waitcnt_depctr 0xfff
	v_fmac_f32_e32 v76, v105, v102
	s_delay_alu instid0(VALU_DEP_1) | instskip(NEXT) | instid1(VALU_DEP_1)
	v_fmac_f32_e32 v76, v90, v103
	v_fmac_f32_e32 v76, v99, v104
	s_delay_alu instid0(VALU_DEP_1) | instskip(NEXT) | instid1(VALU_DEP_1)
	v_add_f32_e32 v100, 0x358637bd, v76
	v_div_scale_f32 v101, null, v100, v100, 1.0
	v_div_scale_f32 v104, vcc_lo, 1.0, v100, 1.0
	s_delay_alu instid0(VALU_DEP_2) | instskip(SKIP_2) | instid1(VALU_DEP_1)
	v_rcp_f32_e32 v102, v101
	s_waitcnt_depctr 0xfff
	v_fma_f32 v103, -v101, v102, 1.0
	v_fmac_f32_e32 v102, v103, v102
	v_cndmask_b32_e64 v103, v110, v109, s4
	v_cmp_eq_u32_e64 s4, 2, v74
	s_delay_alu instid0(VALU_DEP_3) | instskip(NEXT) | instid1(VALU_DEP_2)
	v_mul_f32_e32 v106, v104, v102
	v_cndmask_b32_e64 v103, v103, v111, s4
	v_cmp_eq_u32_e64 s4, 3, v74
	s_delay_alu instid0(VALU_DEP_3) | instskip(NEXT) | instid1(VALU_DEP_2)
	v_fma_f32 v108, -v101, v106, v104
	v_cndmask_b32_e64 v103, v103, v112, s4
	v_cmp_eq_u32_e64 s4, 4, v74
	s_delay_alu instid0(VALU_DEP_3) | instskip(NEXT) | instid1(VALU_DEP_2)
	v_fmac_f32_e32 v106, v108, v102
	v_cndmask_b32_e64 v103, v103, v107, s4
	s_delay_alu instid0(VALU_DEP_2) | instskip(SKIP_1) | instid1(VALU_DEP_2)
	v_fma_f32 v101, -v101, v106, v104
	v_cmp_eq_u32_e64 s4, 5, v74
	v_div_fmas_f32 v101, v101, v102, v106
	s_delay_alu instid0(VALU_DEP_2) | instskip(SKIP_2) | instid1(VALU_DEP_3)
	v_cndmask_b32_e64 v103, v103, v105, s4
	v_cmp_eq_u32_e32 vcc_lo, 6, v74
	s_mov_b32 s4, exec_lo
	v_div_fixup_f32 v100, v101, v100, 1.0
	s_delay_alu instid0(VALU_DEP_3) | instskip(SKIP_1) | instid1(VALU_DEP_2)
	v_cndmask_b32_e32 v90, v103, v90, vcc_lo
	v_cmp_eq_u32_e32 vcc_lo, 7, v74
	v_cndmask_b32_e32 v90, v90, v99, vcc_lo
	s_delay_alu instid0(VALU_DEP_1) | instskip(NEXT) | instid1(VALU_DEP_1)
	v_mul_f32_e32 v90, v90, v100
	v_mul_f32_e32 v100, v90, v92
	;; [unrolled: 1-line block ×6, first 2 shown]
	v_and_b32_e32 v101, 0x7f800000, v100
	v_mul_f32_e32 v99, v90, v95
	v_mul_f32_e32 v95, v90, v91
	;; [unrolled: 1-line block ×3, first 2 shown]
                                        ; implicit-def: $vgpr91
	s_delay_alu instid0(VALU_DEP_4)
	v_cmpx_ne_u32_e32 0x7f800000, v101
	s_xor_b32 s4, exec_lo, s4
; %bb.15:
	v_bfe_u32 v91, v100, 16, 1
	s_delay_alu instid0(VALU_DEP_1)
	v_add3_u32 v91, v100, v91, 0x7fff
                                        ; implicit-def: $vgpr100
; %bb.16:
	s_and_not1_saveexec_b32 s4, s4
; %bb.17:
	v_and_b32_e32 v91, 0xffff, v100
	v_or_b32_e32 v93, 0x10000, v100
	s_delay_alu instid0(VALU_DEP_2) | instskip(NEXT) | instid1(VALU_DEP_2)
	v_cmp_eq_u32_e32 vcc_lo, 0, v91
	v_cndmask_b32_e32 v91, v93, v100, vcc_lo
; %bb.18:
	s_or_b32 exec_lo, exec_lo, s4
	v_and_b32_e32 v93, 0x7f800000, v95
	s_delay_alu instid0(VALU_DEP_1) | instskip(SKIP_1) | instid1(SALU_CYCLE_1)
	v_cmp_ne_u32_e32 vcc_lo, 0x7f800000, v93
                                        ; implicit-def: $vgpr93
	s_and_saveexec_b32 s4, vcc_lo
	s_xor_b32 s4, exec_lo, s4
; %bb.19:
	v_bfe_u32 v93, v95, 16, 1
	s_delay_alu instid0(VALU_DEP_1)
	v_add3_u32 v93, v95, v93, 0x7fff
                                        ; implicit-def: $vgpr95
; %bb.20:
	s_and_not1_saveexec_b32 s4, s4
; %bb.21:
	v_and_b32_e32 v93, 0xffff, v95
	v_or_b32_e32 v100, 0x10000, v95
	s_delay_alu instid0(VALU_DEP_2) | instskip(NEXT) | instid1(VALU_DEP_2)
	v_cmp_eq_u32_e32 vcc_lo, 0, v93
	v_cndmask_b32_e32 v93, v100, v95, vcc_lo
; %bb.22:
	s_or_b32 exec_lo, exec_lo, s4
	v_and_b32_e32 v95, 0x7f800000, v96
	s_delay_alu instid0(VALU_DEP_1) | instskip(SKIP_1) | instid1(SALU_CYCLE_1)
	v_cmp_ne_u32_e32 vcc_lo, 0x7f800000, v95
                                        ; implicit-def: $vgpr95
	s_and_saveexec_b32 s4, vcc_lo
	s_xor_b32 s4, exec_lo, s4
; %bb.23:
	v_bfe_u32 v95, v96, 16, 1
	s_delay_alu instid0(VALU_DEP_1)
	v_add3_u32 v95, v96, v95, 0x7fff
                                        ; implicit-def: $vgpr96
; %bb.24:
	s_and_not1_saveexec_b32 s4, s4
; %bb.25:
	v_and_b32_e32 v95, 0xffff, v96
	v_or_b32_e32 v100, 0x10000, v96
	s_delay_alu instid0(VALU_DEP_2) | instskip(NEXT) | instid1(VALU_DEP_2)
	v_cmp_eq_u32_e32 vcc_lo, 0, v95
	v_cndmask_b32_e32 v95, v100, v96, vcc_lo
; %bb.26:
	s_or_b32 exec_lo, exec_lo, s4
	v_and_b32_e32 v96, 0x7f800000, v99
	s_delay_alu instid0(VALU_DEP_1) | instskip(SKIP_1) | instid1(SALU_CYCLE_1)
	v_cmp_ne_u32_e32 vcc_lo, 0x7f800000, v96
                                        ; implicit-def: $vgpr96
	s_and_saveexec_b32 s4, vcc_lo
	s_xor_b32 s4, exec_lo, s4
; %bb.27:
	v_bfe_u32 v96, v99, 16, 1
	s_delay_alu instid0(VALU_DEP_1)
	v_add3_u32 v96, v99, v96, 0x7fff
                                        ; implicit-def: $vgpr99
; %bb.28:
	s_and_not1_saveexec_b32 s4, s4
; %bb.29:
	v_and_b32_e32 v96, 0xffff, v99
	v_or_b32_e32 v100, 0x10000, v99
	s_delay_alu instid0(VALU_DEP_2) | instskip(NEXT) | instid1(VALU_DEP_2)
	v_cmp_eq_u32_e32 vcc_lo, 0, v96
	v_cndmask_b32_e32 v96, v100, v99, vcc_lo
; %bb.30:
	s_or_b32 exec_lo, exec_lo, s4
	v_and_b32_e32 v99, 0x7f800000, v98
	s_delay_alu instid0(VALU_DEP_1) | instskip(SKIP_1) | instid1(SALU_CYCLE_1)
	v_cmp_ne_u32_e32 vcc_lo, 0x7f800000, v99
                                        ; implicit-def: $vgpr99
	s_and_saveexec_b32 s4, vcc_lo
	s_xor_b32 s4, exec_lo, s4
; %bb.31:
	v_bfe_u32 v99, v98, 16, 1
	s_delay_alu instid0(VALU_DEP_1)
	v_add3_u32 v99, v98, v99, 0x7fff
                                        ; implicit-def: $vgpr98
; %bb.32:
	s_and_not1_saveexec_b32 s4, s4
; %bb.33:
	v_and_b32_e32 v99, 0xffff, v98
	v_or_b32_e32 v100, 0x10000, v98
	s_delay_alu instid0(VALU_DEP_2) | instskip(NEXT) | instid1(VALU_DEP_2)
	v_cmp_eq_u32_e32 vcc_lo, 0, v99
	v_cndmask_b32_e32 v99, v100, v98, vcc_lo
; %bb.34:
	s_or_b32 exec_lo, exec_lo, s4
	v_and_b32_e32 v98, 0x7f800000, v97
	s_delay_alu instid0(VALU_DEP_1) | instskip(SKIP_1) | instid1(SALU_CYCLE_1)
	v_cmp_ne_u32_e32 vcc_lo, 0x7f800000, v98
                                        ; implicit-def: $vgpr98
	s_and_saveexec_b32 s4, vcc_lo
	s_xor_b32 s4, exec_lo, s4
; %bb.35:
	v_bfe_u32 v98, v97, 16, 1
	s_delay_alu instid0(VALU_DEP_1)
	v_add3_u32 v98, v97, v98, 0x7fff
                                        ; implicit-def: $vgpr97
; %bb.36:
	s_and_not1_saveexec_b32 s4, s4
; %bb.37:
	v_and_b32_e32 v98, 0xffff, v97
	v_or_b32_e32 v100, 0x10000, v97
	s_delay_alu instid0(VALU_DEP_2) | instskip(NEXT) | instid1(VALU_DEP_2)
	v_cmp_eq_u32_e32 vcc_lo, 0, v98
	v_cndmask_b32_e32 v98, v100, v97, vcc_lo
; %bb.38:
	s_or_b32 exec_lo, exec_lo, s4
	v_and_b32_e32 v97, 0x7f800000, v94
	s_delay_alu instid0(VALU_DEP_1) | instskip(SKIP_1) | instid1(SALU_CYCLE_1)
	v_cmp_ne_u32_e32 vcc_lo, 0x7f800000, v97
                                        ; implicit-def: $vgpr97
	s_and_saveexec_b32 s4, vcc_lo
	s_xor_b32 s4, exec_lo, s4
; %bb.39:
	v_bfe_u32 v97, v94, 16, 1
	s_delay_alu instid0(VALU_DEP_1)
	v_add3_u32 v97, v94, v97, 0x7fff
                                        ; implicit-def: $vgpr94
; %bb.40:
	s_and_not1_saveexec_b32 s4, s4
; %bb.41:
	v_and_b32_e32 v97, 0xffff, v94
	v_or_b32_e32 v100, 0x10000, v94
	s_delay_alu instid0(VALU_DEP_2) | instskip(NEXT) | instid1(VALU_DEP_2)
	v_cmp_eq_u32_e32 vcc_lo, 0, v97
	v_cndmask_b32_e32 v97, v100, v94, vcc_lo
; %bb.42:
	s_or_b32 exec_lo, exec_lo, s4
	v_and_b32_e32 v94, 0x7f800000, v92
	s_delay_alu instid0(VALU_DEP_1) | instskip(SKIP_1) | instid1(SALU_CYCLE_1)
	v_cmp_ne_u32_e32 vcc_lo, 0x7f800000, v94
                                        ; implicit-def: $vgpr94
	s_and_saveexec_b32 s4, vcc_lo
	s_xor_b32 s4, exec_lo, s4
; %bb.43:
	v_bfe_u32 v94, v92, 16, 1
	s_delay_alu instid0(VALU_DEP_1)
	v_add3_u32 v94, v92, v94, 0x7fff
                                        ; implicit-def: $vgpr92
; %bb.44:
	s_and_not1_saveexec_b32 s4, s4
; %bb.45:
	v_and_b32_e32 v94, 0xffff, v92
	v_or_b32_e32 v100, 0x10000, v92
	s_delay_alu instid0(VALU_DEP_2) | instskip(NEXT) | instid1(VALU_DEP_2)
	v_cmp_eq_u32_e32 vcc_lo, 0, v94
	v_cndmask_b32_e32 v94, v100, v92, vcc_lo
; %bb.46:
	s_or_b32 exec_lo, exec_lo, s4
	s_load_b64 s[36:37], s[0:1], 0x94
	v_lshlrev_b32_e32 v92, 4, v83
	s_delay_alu instid0(VALU_DEP_2)
	v_perm_b32 v100, v94, v97, 0x7060302
	v_dual_mul_f32 v89, v90, v89 :: v_dual_lshlrev_b32 v94, 11, v74
	v_perm_b32 v97, v93, v91, 0x7060302
	v_mul_f32_e32 v93, v90, v77
	v_perm_b32 v99, v98, v99, 0x7060302
	v_perm_b32 v98, v96, v95, 0x7060302
	v_or3_b32 v77, v92, v94, v85
	v_mul_f32_e32 v88, v90, v88
	v_dual_mul_f32 v87, v90, v87 :: v_dual_and_b32 v94, 0x7f800000, v93
	v_mul_f32_e32 v86, v90, v86
	v_mul_f32_e32 v91, v90, v80
	;; [unrolled: 1-line block ×4, first 2 shown]
	s_mov_b32 s4, exec_lo
	ds_store_b128 v77, v[97:100]
                                        ; implicit-def: $vgpr78
	v_cmpx_ne_u32_e32 0x7f800000, v94
	s_xor_b32 s4, exec_lo, s4
; %bb.47:
	v_bfe_u32 v78, v93, 16, 1
	s_delay_alu instid0(VALU_DEP_1)
	v_add3_u32 v78, v93, v78, 0x7fff
                                        ; implicit-def: $vgpr93
; %bb.48:
	s_and_not1_saveexec_b32 s4, s4
; %bb.49:
	v_and_b32_e32 v78, 0xffff, v93
	v_or_b32_e32 v79, 0x10000, v93
	s_delay_alu instid0(VALU_DEP_2) | instskip(NEXT) | instid1(VALU_DEP_2)
	v_cmp_eq_u32_e32 vcc_lo, 0, v78
	v_cndmask_b32_e32 v78, v79, v93, vcc_lo
; %bb.50:
	s_or_b32 exec_lo, exec_lo, s4
	v_and_b32_e32 v79, 0x7f800000, v80
	s_delay_alu instid0(VALU_DEP_1) | instskip(SKIP_1) | instid1(SALU_CYCLE_1)
	v_cmp_ne_u32_e32 vcc_lo, 0x7f800000, v79
                                        ; implicit-def: $vgpr79
	s_and_saveexec_b32 s4, vcc_lo
	s_xor_b32 s4, exec_lo, s4
; %bb.51:
	v_bfe_u32 v79, v80, 16, 1
	s_delay_alu instid0(VALU_DEP_1)
	v_add3_u32 v79, v80, v79, 0x7fff
                                        ; implicit-def: $vgpr80
; %bb.52:
	s_and_not1_saveexec_b32 s4, s4
; %bb.53:
	v_and_b32_e32 v79, 0xffff, v80
	v_or_b32_e32 v90, 0x10000, v80
	s_delay_alu instid0(VALU_DEP_2) | instskip(NEXT) | instid1(VALU_DEP_2)
	v_cmp_eq_u32_e32 vcc_lo, 0, v79
	v_cndmask_b32_e32 v79, v90, v80, vcc_lo
; %bb.54:
	s_or_b32 exec_lo, exec_lo, s4
	v_and_b32_e32 v80, 0x7f800000, v92
	s_delay_alu instid0(VALU_DEP_1) | instskip(SKIP_1) | instid1(SALU_CYCLE_1)
	v_cmp_ne_u32_e32 vcc_lo, 0x7f800000, v80
                                        ; implicit-def: $vgpr80
	s_and_saveexec_b32 s4, vcc_lo
	s_xor_b32 s4, exec_lo, s4
; %bb.55:
	v_bfe_u32 v80, v92, 16, 1
	s_delay_alu instid0(VALU_DEP_1)
	v_add3_u32 v80, v92, v80, 0x7fff
                                        ; implicit-def: $vgpr92
; %bb.56:
	s_and_not1_saveexec_b32 s4, s4
; %bb.57:
	v_and_b32_e32 v80, 0xffff, v92
	v_or_b32_e32 v90, 0x10000, v92
	s_delay_alu instid0(VALU_DEP_2) | instskip(NEXT) | instid1(VALU_DEP_2)
	v_cmp_eq_u32_e32 vcc_lo, 0, v80
	v_cndmask_b32_e32 v80, v90, v92, vcc_lo
; %bb.58:
	s_or_b32 exec_lo, exec_lo, s4
	v_and_b32_e32 v90, 0x7f800000, v91
	s_delay_alu instid0(VALU_DEP_1) | instskip(SKIP_1) | instid1(SALU_CYCLE_1)
	v_cmp_ne_u32_e32 vcc_lo, 0x7f800000, v90
                                        ; implicit-def: $vgpr90
	s_and_saveexec_b32 s4, vcc_lo
	s_xor_b32 s4, exec_lo, s4
; %bb.59:
	v_bfe_u32 v90, v91, 16, 1
	s_delay_alu instid0(VALU_DEP_1)
	v_add3_u32 v90, v91, v90, 0x7fff
                                        ; implicit-def: $vgpr91
; %bb.60:
	s_and_not1_saveexec_b32 s4, s4
; %bb.61:
	v_and_b32_e32 v90, 0xffff, v91
	v_or_b32_e32 v92, 0x10000, v91
	s_delay_alu instid0(VALU_DEP_2) | instskip(NEXT) | instid1(VALU_DEP_2)
	v_cmp_eq_u32_e32 vcc_lo, 0, v90
	v_cndmask_b32_e32 v90, v92, v91, vcc_lo
; %bb.62:
	s_or_b32 exec_lo, exec_lo, s4
	v_and_b32_e32 v91, 0x7f800000, v86
	s_delay_alu instid0(VALU_DEP_1) | instskip(SKIP_1) | instid1(SALU_CYCLE_1)
	v_cmp_ne_u32_e32 vcc_lo, 0x7f800000, v91
                                        ; implicit-def: $vgpr91
	s_and_saveexec_b32 s4, vcc_lo
	s_xor_b32 s4, exec_lo, s4
; %bb.63:
	v_bfe_u32 v91, v86, 16, 1
	s_delay_alu instid0(VALU_DEP_1)
	v_add3_u32 v91, v86, v91, 0x7fff
                                        ; implicit-def: $vgpr86
; %bb.64:
	s_and_not1_saveexec_b32 s4, s4
; %bb.65:
	v_and_b32_e32 v91, 0xffff, v86
	v_or_b32_e32 v92, 0x10000, v86
	s_delay_alu instid0(VALU_DEP_2) | instskip(NEXT) | instid1(VALU_DEP_2)
	v_cmp_eq_u32_e32 vcc_lo, 0, v91
	v_cndmask_b32_e32 v91, v92, v86, vcc_lo
; %bb.66:
	s_or_b32 exec_lo, exec_lo, s4
	v_and_b32_e32 v86, 0x7f800000, v87
	s_delay_alu instid0(VALU_DEP_1) | instskip(SKIP_1) | instid1(SALU_CYCLE_1)
	v_cmp_ne_u32_e32 vcc_lo, 0x7f800000, v86
                                        ; implicit-def: $vgpr86
	s_and_saveexec_b32 s4, vcc_lo
	s_xor_b32 s4, exec_lo, s4
; %bb.67:
	v_bfe_u32 v86, v87, 16, 1
	s_delay_alu instid0(VALU_DEP_1)
	v_add3_u32 v86, v87, v86, 0x7fff
                                        ; implicit-def: $vgpr87
; %bb.68:
	s_and_not1_saveexec_b32 s4, s4
; %bb.69:
	v_and_b32_e32 v86, 0xffff, v87
	v_or_b32_e32 v92, 0x10000, v87
	s_delay_alu instid0(VALU_DEP_2) | instskip(NEXT) | instid1(VALU_DEP_2)
	v_cmp_eq_u32_e32 vcc_lo, 0, v86
	v_cndmask_b32_e32 v86, v92, v87, vcc_lo
; %bb.70:
	s_or_b32 exec_lo, exec_lo, s4
	v_and_b32_e32 v87, 0x7f800000, v88
	s_delay_alu instid0(VALU_DEP_1) | instskip(SKIP_1) | instid1(SALU_CYCLE_1)
	v_cmp_ne_u32_e32 vcc_lo, 0x7f800000, v87
                                        ; implicit-def: $vgpr87
	s_and_saveexec_b32 s4, vcc_lo
	s_xor_b32 s4, exec_lo, s4
; %bb.71:
	v_bfe_u32 v87, v88, 16, 1
	s_delay_alu instid0(VALU_DEP_1)
	v_add3_u32 v87, v88, v87, 0x7fff
                                        ; implicit-def: $vgpr88
; %bb.72:
	s_and_not1_saveexec_b32 s4, s4
; %bb.73:
	v_and_b32_e32 v87, 0xffff, v88
	v_or_b32_e32 v92, 0x10000, v88
	s_delay_alu instid0(VALU_DEP_2) | instskip(NEXT) | instid1(VALU_DEP_2)
	v_cmp_eq_u32_e32 vcc_lo, 0, v87
	v_cndmask_b32_e32 v87, v92, v88, vcc_lo
; %bb.74:
	s_or_b32 exec_lo, exec_lo, s4
	v_and_b32_e32 v88, 0x7f800000, v89
	s_delay_alu instid0(VALU_DEP_1) | instskip(SKIP_1) | instid1(SALU_CYCLE_1)
	v_cmp_ne_u32_e32 vcc_lo, 0x7f800000, v88
                                        ; implicit-def: $vgpr88
	s_and_saveexec_b32 s4, vcc_lo
	s_xor_b32 s4, exec_lo, s4
; %bb.75:
	v_bfe_u32 v88, v89, 16, 1
	s_delay_alu instid0(VALU_DEP_1)
	v_add3_u32 v88, v89, v88, 0x7fff
                                        ; implicit-def: $vgpr89
; %bb.76:
	s_and_not1_saveexec_b32 s4, s4
; %bb.77:
	v_and_b32_e32 v88, 0xffff, v89
	v_or_b32_e32 v92, 0x10000, v89
	s_delay_alu instid0(VALU_DEP_2) | instskip(NEXT) | instid1(VALU_DEP_2)
	v_cmp_eq_u32_e32 vcc_lo, 0, v88
	v_cndmask_b32_e32 v88, v92, v89, vcc_lo
; %bb.78:
	s_or_b32 exec_lo, exec_lo, s4
	s_delay_alu instid0(VALU_DEP_1)
	v_perm_b32 v89, v88, v87, 0x7060302
	v_perm_b32 v88, v86, v91, 0x7060302
	;; [unrolled: 1-line block ×4, first 2 shown]
	v_lshl_or_b32 v90, v74, 11, v85
	ds_store_b128 v77, v[86:89] offset:1024
	s_waitcnt lgkmcnt(0)
	s_barrier
	buffer_gl0_inv
	ds_load_b128 v[91:94], v90
	ds_load_b128 v[95:98], v90 offset:16
	v_lshlrev_b32_e32 v87, 2, v83
	s_delay_alu instid0(VALU_DEP_1)
	v_or_b32_e32 v88, 1, v87
	v_cmp_eq_u32_e32 vcc_lo, 1, v87
	v_cmp_eq_u32_e64 s5, 2, v87
	v_cmp_eq_u32_e64 s8, 3, v87
	;; [unrolled: 1-line block ×6, first 2 shown]
	v_or_b32_e32 v86, 2, v87
	v_cmp_eq_u32_e64 s11, 5, v87
	v_cmp_eq_u32_e64 s12, 4, v88
	;; [unrolled: 1-line block ×4, first 2 shown]
	s_waitcnt lgkmcnt(1)
	v_lshrrev_b32_e32 v74, 16, v91
	s_waitcnt lgkmcnt(0)
	v_lshrrev_b32_e32 v103, 16, v95
	v_lshrrev_b32_e32 v80, 16, v94
	;; [unrolled: 1-line block ×4, first 2 shown]
	v_cndmask_b32_e32 v89, v91, v74, vcc_lo
	v_cndmask_b32_e32 v99, v95, v103, vcc_lo
	v_cndmask_b32_e64 v100, v91, v74, s4
	v_lshrrev_b32_e32 v79, 16, v93
	v_lshrrev_b32_e32 v108, 16, v97
	v_cndmask_b32_e64 v89, v89, v92, s5
	v_cndmask_b32_e64 v99, v99, v96, s5
	v_cndmask_b32_e64 v100, v100, v92, s7
	v_cndmask_b32_e64 v101, v95, v103, s4
	v_cmp_eq_u32_e64 s6, 1, v86
	v_cndmask_b32_e64 v89, v89, v78, s8
	v_cndmask_b32_e64 v99, v99, v107, s8
	;; [unrolled: 1-line block ×4, first 2 shown]
	v_lshrrev_b32_e32 v109, 16, v98
	v_cndmask_b32_e64 v89, v89, v93, s10
	v_cndmask_b32_e64 v99, v99, v97, s10
	;; [unrolled: 1-line block ×8, first 2 shown]
	v_cmp_eq_u32_e64 s16, 7, v87
	v_cmp_eq_u32_e64 s17, 6, v88
	v_cndmask_b32_e64 v89, v89, v94, s13
	v_cndmask_b32_e64 v99, v99, v98, s13
	v_cmp_eq_u32_e64 s18, 2, v86
	v_cndmask_b32_e64 v101, v101, v97, s12
	v_cndmask_b32_e64 v100, v100, v94, s17
	;; [unrolled: 1-line block ×6, first 2 shown]
	v_cmp_eq_u32_e64 s19, 7, v88
	v_cmp_eq_u32_e64 s20, 3, v86
	;; [unrolled: 1-line block ×4, first 2 shown]
	v_cndmask_b32_e64 v99, v99, v96, s18
	v_cndmask_b32_e64 v112, v100, v80, s19
	;; [unrolled: 1-line block ×4, first 2 shown]
	v_or_b32_e32 v89, 3, v87
	v_cndmask_b32_e64 v105, v99, v107, s20
	v_cmp_eq_u32_e64 s25, 6, v86
	v_cndmask_b32_e64 v113, v100, v98, s17
	v_cndmask_b32_e64 v104, v101, v93, s21
	ds_load_b128 v[99:102], v90 offset:1024
	v_cmp_eq_u32_e64 s22, 1, v89
	v_cmp_eq_u32_e64 s24, 2, v89
	;; [unrolled: 1-line block ×3, first 2 shown]
	v_cndmask_b32_e64 v114, v104, v79, s23
	v_cmp_eq_u32_e64 s27, 4, v89
	v_cndmask_b32_e64 v74, v91, v74, s22
	v_cndmask_b32_e64 v91, v105, v97, s21
	;; [unrolled: 1-line block ×3, first 2 shown]
	ds_load_b128 v[103:106], v90 offset:1040
	v_cmp_eq_u32_e64 s29, 5, v89
	v_cndmask_b32_e64 v74, v74, v92, s24
	v_cndmask_b32_e64 v91, v91, v108, s23
	;; [unrolled: 1-line block ×3, first 2 shown]
	v_cmp_eq_u32_e64 s30, 6, v89
	v_cndmask_b32_e64 v95, v113, v109, s19
	v_cndmask_b32_e64 v74, v74, v78, s26
	;; [unrolled: 1-line block ×5, first 2 shown]
	s_waitcnt lgkmcnt(1)
	v_lshrrev_b32_e32 v96, 16, v99
	v_cndmask_b32_e64 v74, v74, v93, s27
	v_lshrrev_b32_e32 v107, 16, v100
	v_cndmask_b32_e64 v92, v92, v97, s27
	v_cmp_eq_u32_e64 s28, 7, v86
	v_cndmask_b32_e32 v93, v99, v96, vcc_lo
	v_cndmask_b32_e64 v74, v74, v79, s29
	s_delay_alu instid0(VALU_DEP_4)
	v_cndmask_b32_e64 v79, v92, v108, s29
	s_waitcnt lgkmcnt(0)
	v_lshrrev_b32_e32 v97, 16, v103
	v_cndmask_b32_e64 v92, v93, v100, s5
	v_cndmask_b32_e64 v93, v99, v96, s4
	;; [unrolled: 1-line block ×4, first 2 shown]
	v_cndmask_b32_e32 v108, v103, v97, vcc_lo
	v_cndmask_b32_e64 v92, v92, v107, s8
	v_cndmask_b32_e64 v93, v93, v100, s7
	v_lshrrev_b32_e32 v98, 16, v104
	v_cmp_eq_u32_e32 vcc_lo, 7, v89
	v_cndmask_b32_e64 v94, v108, v104, s5
	v_cndmask_b32_e64 v92, v92, v101, s10
	v_lshrrev_b32_e32 v108, 16, v101
	v_cndmask_b32_e64 v93, v93, v107, s9
	v_cndmask_b32_e32 v74, v74, v80, vcc_lo
	v_cndmask_b32_e64 v94, v94, v98, s8
	v_cndmask_b32_e32 v79, v79, v109, vcc_lo
	v_cndmask_b32_e64 v92, v92, v108, s11
	v_cndmask_b32_e64 v78, v78, v80, s28
	;; [unrolled: 1-line block ×4, first 2 shown]
	v_perm_b32 v94, v79, v74, 0x5040100
	v_cndmask_b32_e64 v79, v92, v102, s13
	v_perm_b32 v92, v95, v112, 0x5040100
	v_cndmask_b32_e64 v95, v99, v96, s6
	v_cndmask_b32_e64 v96, v99, v96, s22
	;; [unrolled: 1-line block ×16, first 2 shown]
	v_lshrrev_b32_e32 v109, 16, v105
	v_cndmask_b32_e64 v95, v95, v101, s21
	v_cndmask_b32_e64 v96, v96, v101, s27
	;; [unrolled: 1-line block ×6, first 2 shown]
	v_lshrrev_b32_e32 v80, 16, v102
	v_cndmask_b32_e64 v113, v93, v109, s11
	v_cndmask_b32_e64 v95, v95, v108, s23
	;; [unrolled: 1-line block ×6, first 2 shown]
	v_perm_b32 v93, v91, v78, 0x5040100
	v_cndmask_b32_e64 v74, v74, v102, s17
	v_cndmask_b32_e64 v78, v79, v80, s16
	;; [unrolled: 1-line block ×3, first 2 shown]
	v_lshrrev_b32_e32 v91, 16, v106
	v_cndmask_b32_e64 v95, v95, v102, s25
	v_cndmask_b32_e64 v96, v96, v102, s30
	;; [unrolled: 1-line block ×7, first 2 shown]
	v_cndmask_b32_e32 v80, v96, v80, vcc_lo
	v_cndmask_b32_e32 v96, v98, v91, vcc_lo
	v_cndmask_b32_e64 v99, v99, v91, s28
	v_cndmask_b32_e64 v100, v97, v91, s19
	;; [unrolled: 1-line block ×3, first 2 shown]
	v_perm_b32 v91, v111, v110, 0x5040100
	v_perm_b32 v98, v96, v80, 0x5040100
	;; [unrolled: 1-line block ×5, first 2 shown]
	s_mul_i32 s9, s37, 11
	s_mov_b32 s4, exec_lo
	ds_store_b128 v77, v[91:94]
	ds_store_b128 v77, v[95:98] offset:1024
	v_cmpx_gt_u32_e32 11, v0
	s_cbranch_execz .LBB568_80
; %bb.79:
	s_mul_i32 s5, s9, s34
	s_load_b128 s[16:19], s[0:1], 0x58
	v_add3_u32 v77, s5, s31, v73
	s_delay_alu instid0(VALU_DEP_1) | instskip(NEXT) | instid1(VALU_DEP_1)
	v_mad_u64_u32 v[73:74], null, v77, s36, s[14:15]
	v_ashrrev_i32_e32 v74, 31, v73
	s_delay_alu instid0(VALU_DEP_1) | instskip(SKIP_1) | instid1(VALU_DEP_1)
	v_lshlrev_b64 v[73:74], 2, v[73:74]
	s_waitcnt lgkmcnt(0)
	v_add_co_u32 v77, vcc_lo, s18, v73
	s_delay_alu instid0(VALU_DEP_2)
	v_add_co_ci_u32_e32 v78, vcc_lo, s19, v74, vcc_lo
	v_add_co_u32 v73, vcc_lo, s16, v73
	v_add_co_ci_u32_e32 v74, vcc_lo, s17, v74, vcc_lo
	global_store_b32 v[77:78], v75, off
	global_store_b32 v[73:74], v76, off
.LBB568_80:
	s_or_b32 exec_lo, exec_lo, s4
	s_waitcnt lgkmcnt(0)
	s_waitcnt_vscnt null, 0x0
	s_barrier
	buffer_gl0_inv
	ds_load_b128 v[91:94], v85
	ds_load_b128 v[95:98], v85 offset:16
	ds_load_b128 v[103:106], v85 offset:1040
	;; [unrolled: 1-line block ×3, first 2 shown]
	v_mov_b32_e32 v73, 0
	ds_load_b128 v[111:114], v85 offset:2064
	ds_load_b128 v[107:110], v85 offset:2048
	ds_load_b128 v[119:122], v85 offset:3088
	ds_load_b128 v[115:118], v85 offset:3072
	ds_load_b128 v[127:130], v85 offset:4112
	ds_load_b128 v[123:126], v85 offset:4096
	v_mov_b32_e32 v74, v73
	v_mov_b32_e32 v75, v73
	;; [unrolled: 1-line block ×7, first 2 shown]
	s_waitcnt lgkmcnt(8)
	s_delay_alu instid0(VALU_DEP_1)
	v_wmma_f32_16x16x16_bf16 v[73:80], v[65:72], v[91:98], v[73:80]
	ds_load_b128 v[69:72], v85 offset:5136
	ds_load_b128 v[65:68], v85 offset:5120
	;; [unrolled: 1-line block ×4, first 2 shown]
	s_waitcnt lgkmcnt(10)
	v_wmma_f32_16x16x16_bf16 v[73:80], v[57:64], v[99:106], v[73:80]
	s_waitcnt lgkmcnt(8)
	s_delay_alu instid0(VALU_DEP_1)
	v_wmma_f32_16x16x16_bf16 v[73:80], v[57:64], v[107:114], v[73:80]
	ds_load_b128 v[61:64], v85 offset:7184
	ds_load_b128 v[57:60], v85 offset:7168
	;; [unrolled: 1-line block ×4, first 2 shown]
	s_waitcnt lgkmcnt(10)
	v_wmma_f32_16x16x16_bf16 v[73:80], v[49:56], v[115:122], v[73:80]
	s_waitcnt lgkmcnt(8)
	s_delay_alu instid0(VALU_DEP_1)
	v_wmma_f32_16x16x16_bf16 v[73:80], v[49:56], v[123:130], v[73:80]
	ds_load_b128 v[53:56], v85 offset:9232
	ds_load_b128 v[49:52], v85 offset:9216
	s_waitcnt lgkmcnt(8)
	v_wmma_f32_16x16x16_bf16 v[73:80], v[41:48], v[65:72], v[73:80]
	ds_load_b128 v[69:72], v85 offset:10256
	ds_load_b128 v[65:68], v85 offset:10240
	s_waitcnt lgkmcnt(8)
	;; [unrolled: 4-line block ×3, first 2 shown]
	v_wmma_f32_16x16x16_bf16 v[73:80], v[9:16], v[57:64], v[73:80]
	s_waitcnt lgkmcnt(6)
	s_delay_alu instid0(VALU_DEP_1)
	v_wmma_f32_16x16x16_bf16 v[73:80], v[9:16], v[99:106], v[73:80]
	ds_load_b128 v[13:16], v85 offset:12304
	ds_load_b128 v[9:12], v85 offset:12288
	s_waitcnt lgkmcnt(6)
	v_wmma_f32_16x16x16_bf16 v[73:80], v[1:8], v[49:56], v[73:80]
	ds_load_b128 v[53:56], v85 offset:13328
	ds_load_b128 v[49:52], v85 offset:13312
	s_waitcnt lgkmcnt(6)
	;; [unrolled: 4-line block ×4, first 2 shown]
	v_wmma_f32_16x16x16_bf16 v[73:80], v[33:40], v[9:16], v[73:80]
	s_waitcnt lgkmcnt(4)
	s_delay_alu instid0(VALU_DEP_1) | instskip(SKIP_1) | instid1(VALU_DEP_1)
	v_wmma_f32_16x16x16_bf16 v[73:80], v[25:32], v[49:56], v[73:80]
	s_waitcnt lgkmcnt(2)
	v_wmma_f32_16x16x16_bf16 v[73:80], v[25:32], v[1:8], v[73:80]
	s_waitcnt lgkmcnt(0)
	s_delay_alu instid0(VALU_DEP_1) | instskip(NEXT) | instid1(VALU_DEP_1)
	v_wmma_f32_16x16x16_bf16 v[73:80], v[17:24], v[41:48], v[73:80]
	v_and_b32_e32 v1, 0x7f800000, v73
	s_delay_alu instid0(VALU_DEP_1) | instskip(SKIP_1) | instid1(SALU_CYCLE_1)
	v_cmp_ne_u32_e32 vcc_lo, 0x7f800000, v1
                                        ; implicit-def: $vgpr1
	s_and_saveexec_b32 s4, vcc_lo
	s_xor_b32 s4, exec_lo, s4
; %bb.81:
	v_bfe_u32 v1, v73, 16, 1
	s_delay_alu instid0(VALU_DEP_1)
	v_add3_u32 v1, v73, v1, 0x7fff
; %bb.82:
	s_and_not1_saveexec_b32 s4, s4
; %bb.83:
	v_and_b32_e32 v1, 0xffff, v73
	v_or_b32_e32 v2, 0x10000, v73
	s_delay_alu instid0(VALU_DEP_2) | instskip(NEXT) | instid1(VALU_DEP_2)
	v_cmp_eq_u32_e32 vcc_lo, 0, v1
	v_cndmask_b32_e32 v1, v2, v73, vcc_lo
; %bb.84:
	s_or_b32 exec_lo, exec_lo, s4
	v_and_b32_e32 v2, 0x7f800000, v74
	s_delay_alu instid0(VALU_DEP_1) | instskip(SKIP_1) | instid1(SALU_CYCLE_1)
	v_cmp_ne_u32_e32 vcc_lo, 0x7f800000, v2
                                        ; implicit-def: $vgpr2
	s_and_saveexec_b32 s4, vcc_lo
	s_xor_b32 s4, exec_lo, s4
; %bb.85:
	v_bfe_u32 v2, v74, 16, 1
	s_delay_alu instid0(VALU_DEP_1)
	v_add3_u32 v2, v74, v2, 0x7fff
; %bb.86:
	s_and_not1_saveexec_b32 s4, s4
; %bb.87:
	v_and_b32_e32 v2, 0xffff, v74
	v_or_b32_e32 v3, 0x10000, v74
	s_delay_alu instid0(VALU_DEP_2) | instskip(NEXT) | instid1(VALU_DEP_2)
	v_cmp_eq_u32_e32 vcc_lo, 0, v2
	v_cndmask_b32_e32 v2, v3, v74, vcc_lo
; %bb.88:
	s_or_b32 exec_lo, exec_lo, s4
	v_and_b32_e32 v3, 0x7f800000, v75
	s_delay_alu instid0(VALU_DEP_1) | instskip(SKIP_1) | instid1(SALU_CYCLE_1)
	v_cmp_ne_u32_e32 vcc_lo, 0x7f800000, v3
                                        ; implicit-def: $vgpr3
	s_and_saveexec_b32 s4, vcc_lo
	s_xor_b32 s4, exec_lo, s4
; %bb.89:
	v_bfe_u32 v3, v75, 16, 1
	s_delay_alu instid0(VALU_DEP_1)
	v_add3_u32 v3, v75, v3, 0x7fff
; %bb.90:
	s_and_not1_saveexec_b32 s4, s4
; %bb.91:
	v_and_b32_e32 v3, 0xffff, v75
	v_or_b32_e32 v4, 0x10000, v75
	s_delay_alu instid0(VALU_DEP_2) | instskip(NEXT) | instid1(VALU_DEP_2)
	v_cmp_eq_u32_e32 vcc_lo, 0, v3
	v_cndmask_b32_e32 v3, v4, v75, vcc_lo
; %bb.92:
	s_or_b32 exec_lo, exec_lo, s4
	v_and_b32_e32 v4, 0x7f800000, v76
	s_delay_alu instid0(VALU_DEP_1) | instskip(SKIP_1) | instid1(SALU_CYCLE_1)
	v_cmp_ne_u32_e32 vcc_lo, 0x7f800000, v4
                                        ; implicit-def: $vgpr4
	s_and_saveexec_b32 s4, vcc_lo
	s_xor_b32 s4, exec_lo, s4
; %bb.93:
	v_bfe_u32 v4, v76, 16, 1
	s_delay_alu instid0(VALU_DEP_1)
	v_add3_u32 v4, v76, v4, 0x7fff
; %bb.94:
	s_and_not1_saveexec_b32 s4, s4
; %bb.95:
	v_and_b32_e32 v4, 0xffff, v76
	v_or_b32_e32 v5, 0x10000, v76
	s_delay_alu instid0(VALU_DEP_2) | instskip(NEXT) | instid1(VALU_DEP_2)
	v_cmp_eq_u32_e32 vcc_lo, 0, v4
	v_cndmask_b32_e32 v4, v5, v76, vcc_lo
; %bb.96:
	s_or_b32 exec_lo, exec_lo, s4
	v_and_b32_e32 v5, 0x7f800000, v77
	s_delay_alu instid0(VALU_DEP_1) | instskip(SKIP_1) | instid1(SALU_CYCLE_1)
	v_cmp_ne_u32_e32 vcc_lo, 0x7f800000, v5
                                        ; implicit-def: $vgpr5
	s_and_saveexec_b32 s4, vcc_lo
	s_xor_b32 s4, exec_lo, s4
; %bb.97:
	v_bfe_u32 v5, v77, 16, 1
	s_delay_alu instid0(VALU_DEP_1)
	v_add3_u32 v5, v77, v5, 0x7fff
; %bb.98:
	s_and_not1_saveexec_b32 s4, s4
; %bb.99:
	v_and_b32_e32 v5, 0xffff, v77
	v_or_b32_e32 v6, 0x10000, v77
	s_delay_alu instid0(VALU_DEP_2) | instskip(NEXT) | instid1(VALU_DEP_2)
	v_cmp_eq_u32_e32 vcc_lo, 0, v5
	v_cndmask_b32_e32 v5, v6, v77, vcc_lo
; %bb.100:
	s_or_b32 exec_lo, exec_lo, s4
	v_and_b32_e32 v6, 0x7f800000, v78
	s_delay_alu instid0(VALU_DEP_1) | instskip(SKIP_1) | instid1(SALU_CYCLE_1)
	v_cmp_ne_u32_e32 vcc_lo, 0x7f800000, v6
                                        ; implicit-def: $vgpr6
	s_and_saveexec_b32 s4, vcc_lo
	s_xor_b32 s4, exec_lo, s4
; %bb.101:
	v_bfe_u32 v6, v78, 16, 1
	s_delay_alu instid0(VALU_DEP_1)
	v_add3_u32 v6, v78, v6, 0x7fff
; %bb.102:
	s_and_not1_saveexec_b32 s4, s4
; %bb.103:
	v_and_b32_e32 v6, 0xffff, v78
	v_or_b32_e32 v7, 0x10000, v78
	s_delay_alu instid0(VALU_DEP_2) | instskip(NEXT) | instid1(VALU_DEP_2)
	v_cmp_eq_u32_e32 vcc_lo, 0, v6
	v_cndmask_b32_e32 v6, v7, v78, vcc_lo
; %bb.104:
	s_or_b32 exec_lo, exec_lo, s4
	v_and_b32_e32 v7, 0x7f800000, v79
	s_delay_alu instid0(VALU_DEP_1) | instskip(SKIP_1) | instid1(SALU_CYCLE_1)
	v_cmp_ne_u32_e32 vcc_lo, 0x7f800000, v7
                                        ; implicit-def: $vgpr7
	s_and_saveexec_b32 s4, vcc_lo
	s_xor_b32 s4, exec_lo, s4
; %bb.105:
	v_bfe_u32 v7, v79, 16, 1
	s_delay_alu instid0(VALU_DEP_1)
	v_add3_u32 v7, v79, v7, 0x7fff
; %bb.106:
	s_and_not1_saveexec_b32 s4, s4
; %bb.107:
	v_and_b32_e32 v7, 0xffff, v79
	v_or_b32_e32 v8, 0x10000, v79
	s_delay_alu instid0(VALU_DEP_2) | instskip(NEXT) | instid1(VALU_DEP_2)
	v_cmp_eq_u32_e32 vcc_lo, 0, v7
	v_cndmask_b32_e32 v7, v8, v79, vcc_lo
; %bb.108:
	s_or_b32 exec_lo, exec_lo, s4
	v_and_b32_e32 v8, 0x7f800000, v80
	s_delay_alu instid0(VALU_DEP_1) | instskip(SKIP_1) | instid1(SALU_CYCLE_1)
	v_cmp_ne_u32_e32 vcc_lo, 0x7f800000, v8
                                        ; implicit-def: $vgpr8
	s_and_saveexec_b32 s4, vcc_lo
	s_xor_b32 s4, exec_lo, s4
; %bb.109:
	v_bfe_u32 v8, v80, 16, 1
	s_delay_alu instid0(VALU_DEP_1)
	v_add3_u32 v8, v80, v8, 0x7fff
                                        ; implicit-def: $vgpr73_vgpr74_vgpr75_vgpr76_vgpr77_vgpr78_vgpr79_vgpr80
; %bb.110:
	s_and_not1_saveexec_b32 s4, s4
; %bb.111:
	v_and_b32_e32 v8, 0xffff, v80
	v_or_b32_e32 v9, 0x10000, v80
	s_delay_alu instid0(VALU_DEP_2) | instskip(NEXT) | instid1(VALU_DEP_2)
	v_cmp_eq_u32_e32 vcc_lo, 0, v8
	v_cndmask_b32_e32 v8, v9, v80, vcc_lo
; %bb.112:
	s_or_b32 exec_lo, exec_lo, s4
	s_delay_alu instid0(VALU_DEP_1)
	v_perm_b32 v7, v8, v7, 0x7060302
	v_perm_b32 v6, v6, v5, 0x7060302
	;; [unrolled: 1-line block ×4, first 2 shown]
	v_lshl_or_b32 v9, v83, 4, v90
	s_barrier
	buffer_gl0_inv
	v_cmp_eq_u32_e32 vcc_lo, 1, v87
	ds_store_b128 v9, v[4:7]
	s_waitcnt lgkmcnt(0)
	s_barrier
	buffer_gl0_inv
	ds_load_b128 v[1:4], v90
	ds_load_b128 v[5:8], v90 offset:16
	v_cmp_eq_u32_e64 s5, 2, v87
	v_cmp_eq_u32_e64 s4, 1, v88
	;; [unrolled: 1-line block ×5, first 2 shown]
	s_waitcnt lgkmcnt(1)
	v_lshrrev_b32_e32 v10, 16, v1
	s_waitcnt lgkmcnt(0)
	v_lshrrev_b32_e32 v14, 16, v5
	v_lshrrev_b32_e32 v15, 16, v6
	v_lshrrev_b32_e32 v11, 16, v2
	v_lshrrev_b32_e32 v12, 16, v3
	v_cndmask_b32_e64 v20, v1, v10, s4
	v_cndmask_b32_e32 v19, v5, v14, vcc_lo
	v_cndmask_b32_e64 v21, v5, v14, s4
	v_lshrrev_b32_e32 v16, 16, v7
	v_cmp_eq_u32_e64 s4, 1, v86
	v_lshrrev_b32_e32 v13, 16, v4
	v_cndmask_b32_e64 v19, v19, v6, s5
	v_lshrrev_b32_e32 v17, 16, v8
	s_delay_alu instid0(VALU_DEP_4) | instskip(SKIP_1) | instid1(VALU_DEP_4)
	v_cndmask_b32_e64 v22, v1, v10, s4
	v_cndmask_b32_e64 v23, v5, v14, s4
	;; [unrolled: 1-line block ×3, first 2 shown]
	v_cndmask_b32_e32 v18, v1, v10, vcc_lo
	v_cmp_eq_u32_e32 vcc_lo, 2, v88
	v_cmp_eq_u32_e64 s4, 2, v89
	v_cndmask_b32_e64 v22, v22, v2, s8
	v_cndmask_b32_e32 v20, v20, v2, vcc_lo
	v_cndmask_b32_e32 v21, v21, v6, vcc_lo
	v_cmp_eq_u32_e32 vcc_lo, 4, v87
	v_cndmask_b32_e32 v19, v19, v7, vcc_lo
	v_cndmask_b32_e64 v18, v18, v2, s5
	v_cmp_eq_u32_e64 s5, 3, v88
	s_delay_alu instid0(VALU_DEP_2) | instskip(NEXT) | instid1(VALU_DEP_2)
	v_cndmask_b32_e64 v18, v18, v11, s6
	v_cndmask_b32_e64 v21, v21, v15, s5
	v_cmp_eq_u32_e64 s6, 5, v87
	s_delay_alu instid0(VALU_DEP_3) | instskip(SKIP_1) | instid1(VALU_DEP_3)
	v_cndmask_b32_e32 v18, v18, v3, vcc_lo
	v_cmp_eq_u32_e32 vcc_lo, 4, v88
	v_cndmask_b32_e64 v19, v19, v16, s6
	s_delay_alu instid0(VALU_DEP_3) | instskip(SKIP_4) | instid1(VALU_DEP_3)
	v_cndmask_b32_e64 v18, v18, v12, s6
	v_cndmask_b32_e32 v21, v21, v7, vcc_lo
	v_cndmask_b32_e64 v20, v20, v11, s5
	v_cmp_eq_u32_e64 s5, 5, v88
	v_cmp_eq_u32_e64 s6, 6, v87
	v_cndmask_b32_e32 v20, v20, v3, vcc_lo
	s_delay_alu instid0(VALU_DEP_3) | instskip(SKIP_1) | instid1(VALU_DEP_4)
	v_cndmask_b32_e64 v21, v21, v16, s5
	v_cmp_eq_u32_e32 vcc_lo, 6, v88
	v_cndmask_b32_e64 v18, v18, v4, s6
	v_cndmask_b32_e64 v19, v19, v8, s6
	;; [unrolled: 1-line block ×3, first 2 shown]
	v_cmp_eq_u32_e64 s5, 1, v89
	v_cmp_eq_u32_e64 s6, 7, v87
	s_delay_alu instid0(VALU_DEP_3) | instskip(NEXT) | instid1(VALU_DEP_3)
	v_cndmask_b32_e32 v20, v20, v4, vcc_lo
	v_cndmask_b32_e64 v1, v1, v10, s5
	v_cndmask_b32_e64 v5, v5, v14, s5
	v_cmp_eq_u32_e64 s5, 3, v86
	v_cndmask_b32_e64 v14, v23, v6, s8
	v_cmp_eq_u32_e64 s8, 3, v89
	v_cndmask_b32_e64 v1, v1, v2, s4
	v_cndmask_b32_e64 v2, v5, v6, s4
	;; [unrolled: 1-line block ×3, first 2 shown]
	v_cmp_eq_u32_e64 s4, 4, v86
	v_cndmask_b32_e64 v6, v14, v15, s5
	v_cndmask_b32_e64 v1, v1, v11, s8
	v_cmp_eq_u32_e64 s5, 4, v89
	v_cndmask_b32_e64 v2, v2, v15, s8
	v_cndmask_b32_e64 v5, v10, v3, s4
	;; [unrolled: 3-line block ×3, first 2 shown]
	v_cndmask_b32_e64 v2, v2, v7, s5
	v_cmp_eq_u32_e64 s4, 5, v89
	v_cndmask_b32_e64 v5, v5, v12, s8
	v_cmp_eq_u32_e64 s5, 6, v86
	;; [unrolled: 2-line block ×3, first 2 shown]
	v_cndmask_b32_e64 v1, v1, v12, s4
	v_cndmask_b32_e64 v2, v2, v16, s4
	;; [unrolled: 1-line block ×4, first 2 shown]
	v_cmp_eq_u32_e64 s4, 7, v89
	v_cndmask_b32_e64 v1, v1, v4, s8
	v_cndmask_b32_e64 v2, v2, v8, s8
	v_cmp_eq_u32_e64 s5, 7, v86
	v_cndmask_b32_e32 v4, v21, v8, vcc_lo
	v_cndmask_b32_e64 v18, v18, v13, s6
	v_cndmask_b32_e64 v20, v20, v13, s7
	;; [unrolled: 1-line block ×8, first 2 shown]
	v_cmp_gt_u32_e32 vcc_lo, 32, v0
	v_perm_b32 v4, v2, v1, 0x5040100
	v_perm_b32 v3, v3, v5, 0x5040100
	;; [unrolled: 1-line block ×4, first 2 shown]
	s_and_b32 s2, vcc_lo, s2
	ds_store_b128 v9, v[1:4]
	s_waitcnt lgkmcnt(0)
	s_barrier
	buffer_gl0_inv
	s_and_saveexec_b32 s4, s2
	s_cbranch_execz .LBB568_2
; %bb.113:
	s_load_b64 s[4:5], s[0:1], 0x68
	v_lshlrev_b32_e32 v0, 10, v0
	v_lshlrev_b32_e32 v1, 4, v84
	s_lshl_b32 s0, s36, 6
	v_add_nc_u32_e32 v7, s31, v83
	s_mul_i32 s1, s0, s34
	s_delay_alu instid0(SALU_CYCLE_1) | instskip(SKIP_1) | instid1(VALU_DEP_2)
	s_mul_i32 s6, s1, s9
	v_and_or_b32 v0, 0x3800, v0, v1
	v_mul_lo_u32 v1, v7, s0
	v_add_nc_u32_e32 v2, 2, v7
	s_ashr_i32 s7, s6, 31
	v_add_nc_u32_e32 v4, 4, v7
	s_lshl_b64 s[6:7], s[6:7], 1
	v_add_nc_u32_e32 v8, 6, v7
	v_mul_lo_u32 v3, v2, s0
	v_lshl_or_b32 v19, v83, 6, v0
	v_ashrrev_i32_e32 v2, 31, v1
	v_mul_lo_u32 v11, v4, s0
	v_mul_lo_u32 v25, v8, s0
	s_waitcnt lgkmcnt(0)
	s_add_u32 s1, s4, s6
	s_addc_u32 s2, s5, s7
	s_lshl_b32 s4, s14, 6
	v_lshlrev_b64 v[5:6], 1, v[1:2]
	s_ashr_i32 s5, s4, 31
	v_ashrrev_i32_e32 v4, 31, v3
	s_lshl_b64 s[4:5], s[4:5], 1
	v_ashrrev_i32_e32 v12, 31, v11
	s_add_u32 s1, s1, s4
	s_addc_u32 s2, s2, s5
	v_add_co_u32 v1, vcc_lo, s1, v81
	v_add_co_ci_u32_e32 v2, vcc_lo, s2, v82, vcc_lo
	v_lshlrev_b64 v[3:4], 1, v[3:4]
	s_delay_alu instid0(VALU_DEP_3) | instskip(SKIP_1) | instid1(VALU_DEP_4)
	v_add_co_u32 v23, vcc_lo, v1, v5
	v_add_nc_u32_e32 v5, 8, v7
	v_add_co_ci_u32_e32 v24, vcc_lo, v2, v6, vcc_lo
	s_delay_alu instid0(VALU_DEP_4) | instskip(NEXT) | instid1(VALU_DEP_3)
	v_add_co_u32 v27, vcc_lo, v1, v3
	v_mul_lo_u32 v29, v5, s0
	v_add_co_ci_u32_e32 v28, vcc_lo, v2, v4, vcc_lo
	ds_load_b128 v[3:6], v19
	ds_load_b128 v[7:10], v19 offset:128
	v_lshlrev_b64 v[31:32], 1, v[11:12]
	ds_load_b128 v[11:14], v19 offset:256
	ds_load_b128 v[15:18], v19 offset:384
	;; [unrolled: 1-line block ×3, first 2 shown]
	v_ashrrev_i32_e32 v26, 31, v25
	v_ashrrev_i32_e32 v30, 31, v29
	v_add_co_u32 v31, vcc_lo, v1, v31
	s_delay_alu instid0(VALU_DEP_3) | instskip(NEXT) | instid1(VALU_DEP_3)
	v_lshlrev_b64 v[25:26], 1, v[25:26]
	v_lshlrev_b64 v[29:30], 1, v[29:30]
	v_add_co_ci_u32_e32 v32, vcc_lo, v2, v32, vcc_lo
	s_delay_alu instid0(VALU_DEP_3) | instskip(NEXT) | instid1(VALU_DEP_4)
	v_add_co_u32 v25, vcc_lo, v1, v25
	v_add_co_ci_u32_e32 v26, vcc_lo, v2, v26, vcc_lo
	s_delay_alu instid0(VALU_DEP_4)
	v_add_co_u32 v29, vcc_lo, v1, v29
	v_add_co_ci_u32_e32 v30, vcc_lo, v2, v30, vcc_lo
	s_waitcnt lgkmcnt(4)
	global_store_b128 v[23:24], v[3:6], off
	s_waitcnt lgkmcnt(3)
	global_store_b128 v[27:28], v[7:10], off
	;; [unrolled: 2-line block ×5, first 2 shown]
	s_and_b32 exec_lo, exec_lo, s3
	s_cbranch_execz .LBB568_2
; %bb.114:
	ds_load_b128 v[3:6], v0 offset:640
	s_add_i32 s1, s31, 10
	s_delay_alu instid0(SALU_CYCLE_1) | instskip(NEXT) | instid1(SALU_CYCLE_1)
	s_mul_i32 s0, s1, s0
	s_ashr_i32 s1, s0, 31
	s_delay_alu instid0(SALU_CYCLE_1) | instskip(NEXT) | instid1(SALU_CYCLE_1)
	s_lshl_b64 s[0:1], s[0:1], 1
	v_add_co_u32 v0, vcc_lo, v1, s0
	v_add_co_ci_u32_e32 v1, vcc_lo, s1, v2, vcc_lo
	s_waitcnt lgkmcnt(0)
	global_store_b128 v[0:1], v[3:6], off
	s_nop 0
	s_sendmsg sendmsg(MSG_DEALLOC_VGPRS)
	s_endpgm
	.section	.rodata,"a",@progbits
	.p2align	6, 0x0
	.amdhsa_kernel _Z39paged_attention_ll4mi_QKV_mfma16_kernelI14__hip_bfloat16S0_LN4vllm18Fp8KVCacheDataTypeE0ES0_Li32ELi64ELi256ELb0ELi11EL8MFMAType0EEvPKT_PKT0_S9_ifPKiSB_SB_iPKfiiiPfSE_PS4_PT2_iSD_SD_
		.amdhsa_group_segment_fixed_size 17472
		.amdhsa_private_segment_fixed_size 0
		.amdhsa_kernarg_size 400
		.amdhsa_user_sgpr_count 13
		.amdhsa_user_sgpr_dispatch_ptr 0
		.amdhsa_user_sgpr_queue_ptr 0
		.amdhsa_user_sgpr_kernarg_segment_ptr 1
		.amdhsa_user_sgpr_dispatch_id 0
		.amdhsa_user_sgpr_private_segment_size 0
		.amdhsa_wavefront_size32 1
		.amdhsa_uses_dynamic_stack 0
		.amdhsa_enable_private_segment 0
		.amdhsa_system_sgpr_workgroup_id_x 1
		.amdhsa_system_sgpr_workgroup_id_y 1
		.amdhsa_system_sgpr_workgroup_id_z 1
		.amdhsa_system_sgpr_workgroup_info 0
		.amdhsa_system_vgpr_workitem_id 0
		.amdhsa_next_free_vgpr 142
		.amdhsa_next_free_sgpr 39
		.amdhsa_reserve_vcc 1
		.amdhsa_float_round_mode_32 0
		.amdhsa_float_round_mode_16_64 0
		.amdhsa_float_denorm_mode_32 3
		.amdhsa_float_denorm_mode_16_64 3
		.amdhsa_dx10_clamp 1
		.amdhsa_ieee_mode 1
		.amdhsa_fp16_overflow 0
		.amdhsa_workgroup_processor_mode 1
		.amdhsa_memory_ordered 1
		.amdhsa_forward_progress 0
		.amdhsa_shared_vgpr_count 0
		.amdhsa_exception_fp_ieee_invalid_op 0
		.amdhsa_exception_fp_denorm_src 0
		.amdhsa_exception_fp_ieee_div_zero 0
		.amdhsa_exception_fp_ieee_overflow 0
		.amdhsa_exception_fp_ieee_underflow 0
		.amdhsa_exception_fp_ieee_inexact 0
		.amdhsa_exception_int_div_zero 0
	.end_amdhsa_kernel
	.section	.text._Z39paged_attention_ll4mi_QKV_mfma16_kernelI14__hip_bfloat16S0_LN4vllm18Fp8KVCacheDataTypeE0ES0_Li32ELi64ELi256ELb0ELi11EL8MFMAType0EEvPKT_PKT0_S9_ifPKiSB_SB_iPKfiiiPfSE_PS4_PT2_iSD_SD_,"axG",@progbits,_Z39paged_attention_ll4mi_QKV_mfma16_kernelI14__hip_bfloat16S0_LN4vllm18Fp8KVCacheDataTypeE0ES0_Li32ELi64ELi256ELb0ELi11EL8MFMAType0EEvPKT_PKT0_S9_ifPKiSB_SB_iPKfiiiPfSE_PS4_PT2_iSD_SD_,comdat
.Lfunc_end568:
	.size	_Z39paged_attention_ll4mi_QKV_mfma16_kernelI14__hip_bfloat16S0_LN4vllm18Fp8KVCacheDataTypeE0ES0_Li32ELi64ELi256ELb0ELi11EL8MFMAType0EEvPKT_PKT0_S9_ifPKiSB_SB_iPKfiiiPfSE_PS4_PT2_iSD_SD_, .Lfunc_end568-_Z39paged_attention_ll4mi_QKV_mfma16_kernelI14__hip_bfloat16S0_LN4vllm18Fp8KVCacheDataTypeE0ES0_Li32ELi64ELi256ELb0ELi11EL8MFMAType0EEvPKT_PKT0_S9_ifPKiSB_SB_iPKfiiiPfSE_PS4_PT2_iSD_SD_
                                        ; -- End function
	.section	.AMDGPU.csdata,"",@progbits
; Kernel info:
; codeLenInByte = 9536
; NumSgprs: 41
; NumVgprs: 142
; ScratchSize: 0
; MemoryBound: 0
; FloatMode: 240
; IeeeMode: 1
; LDSByteSize: 17472 bytes/workgroup (compile time only)
; SGPRBlocks: 5
; VGPRBlocks: 17
; NumSGPRsForWavesPerEU: 41
; NumVGPRsForWavesPerEU: 142
; Occupancy: 10
; WaveLimiterHint : 1
; COMPUTE_PGM_RSRC2:SCRATCH_EN: 0
; COMPUTE_PGM_RSRC2:USER_SGPR: 13
; COMPUTE_PGM_RSRC2:TRAP_HANDLER: 0
; COMPUTE_PGM_RSRC2:TGID_X_EN: 1
; COMPUTE_PGM_RSRC2:TGID_Y_EN: 1
; COMPUTE_PGM_RSRC2:TGID_Z_EN: 1
; COMPUTE_PGM_RSRC2:TIDIG_COMP_CNT: 0
	.section	.text._Z39paged_attention_ll4mi_QKV_mfma16_kernelI14__hip_bfloat16S0_LN4vllm18Fp8KVCacheDataTypeE0ES0_Li32ELi64ELi256ELb0ELi12EL8MFMAType0EEvPKT_PKT0_S9_ifPKiSB_SB_iPKfiiiPfSE_PS4_PT2_iSD_SD_,"axG",@progbits,_Z39paged_attention_ll4mi_QKV_mfma16_kernelI14__hip_bfloat16S0_LN4vllm18Fp8KVCacheDataTypeE0ES0_Li32ELi64ELi256ELb0ELi12EL8MFMAType0EEvPKT_PKT0_S9_ifPKiSB_SB_iPKfiiiPfSE_PS4_PT2_iSD_SD_,comdat
	.protected	_Z39paged_attention_ll4mi_QKV_mfma16_kernelI14__hip_bfloat16S0_LN4vllm18Fp8KVCacheDataTypeE0ES0_Li32ELi64ELi256ELb0ELi12EL8MFMAType0EEvPKT_PKT0_S9_ifPKiSB_SB_iPKfiiiPfSE_PS4_PT2_iSD_SD_ ; -- Begin function _Z39paged_attention_ll4mi_QKV_mfma16_kernelI14__hip_bfloat16S0_LN4vllm18Fp8KVCacheDataTypeE0ES0_Li32ELi64ELi256ELb0ELi12EL8MFMAType0EEvPKT_PKT0_S9_ifPKiSB_SB_iPKfiiiPfSE_PS4_PT2_iSD_SD_
	.globl	_Z39paged_attention_ll4mi_QKV_mfma16_kernelI14__hip_bfloat16S0_LN4vllm18Fp8KVCacheDataTypeE0ES0_Li32ELi64ELi256ELb0ELi12EL8MFMAType0EEvPKT_PKT0_S9_ifPKiSB_SB_iPKfiiiPfSE_PS4_PT2_iSD_SD_
	.p2align	8
	.type	_Z39paged_attention_ll4mi_QKV_mfma16_kernelI14__hip_bfloat16S0_LN4vllm18Fp8KVCacheDataTypeE0ES0_Li32ELi64ELi256ELb0ELi12EL8MFMAType0EEvPKT_PKT0_S9_ifPKiSB_SB_iPKfiiiPfSE_PS4_PT2_iSD_SD_,@function
_Z39paged_attention_ll4mi_QKV_mfma16_kernelI14__hip_bfloat16S0_LN4vllm18Fp8KVCacheDataTypeE0ES0_Li32ELi64ELi256ELb0ELi12EL8MFMAType0EEvPKT_PKT0_S9_ifPKiSB_SB_iPKfiiiPfSE_PS4_PT2_iSD_SD_: ; @_Z39paged_attention_ll4mi_QKV_mfma16_kernelI14__hip_bfloat16S0_LN4vllm18Fp8KVCacheDataTypeE0ES0_Li32ELi64ELi256ELb0ELi12EL8MFMAType0EEvPKT_PKT0_S9_ifPKiSB_SB_iPKfiiiPfSE_PS4_PT2_iSD_SD_
; %bb.0:
	s_load_b64 s[2:3], s[0:1], 0x30
	s_mov_b32 s30, s13
	s_waitcnt lgkmcnt(0)
	s_cmp_lg_u64 s[2:3], 0
	s_cselect_b32 s6, -1, 0
	s_ashr_i32 s31, s13, 31
	s_cmp_eq_u64 s[2:3], 0
	s_cbranch_scc1 .LBB569_3
; %bb.1:
	s_lshl_b64 s[4:5], s[30:31], 2
	s_delay_alu instid0(SALU_CYCLE_1) | instskip(SKIP_4) | instid1(SALU_CYCLE_1)
	s_add_u32 s4, s2, s4
	s_addc_u32 s5, s3, s5
	s_load_b64 s[4:5], s[4:5], 0x0
	s_waitcnt lgkmcnt(0)
	s_sub_i32 s4, s5, s4
	s_cmp_eq_u32 s4, 1
	s_cselect_b32 s4, -1, 0
	s_delay_alu instid0(SALU_CYCLE_1)
	s_and_not1_b32 vcc_lo, exec_lo, s4
	s_cbranch_vccz .LBB569_4
.LBB569_2:
	s_endpgm
.LBB569_3:
.LBB569_4:
	s_load_b64 s[8:9], s[0:1], 0x28
	s_lshl_b64 s[4:5], s[30:31], 2
	s_waitcnt lgkmcnt(0)
	s_add_u32 s8, s8, s4
	s_addc_u32 s9, s9, s5
	s_lshl_b32 s16, s14, 8
	s_load_b32 s18, s[8:9], 0x0
	s_waitcnt lgkmcnt(0)
	s_cmp_ge_i32 s16, s18
	s_cbranch_scc1 .LBB569_2
; %bb.5:
	s_and_not1_b32 vcc_lo, exec_lo, s6
	s_cbranch_vccnz .LBB569_7
; %bb.6:
	s_add_u32 s2, s2, s4
	s_addc_u32 s3, s3, s5
	s_load_b32 s17, s[2:3], 0x0
	s_branch .LBB569_8
.LBB569_7:
	s_mov_b32 s17, s30
.LBB569_8:
	s_clause 0x2
	s_load_b128 s[8:11], s[0:1], 0x8
	s_load_b64 s[12:13], s[0:1], 0x20
	s_load_b128 s[4:7], s[0:1], 0x48
	v_and_b32_e32 v73, 15, v0
	v_cmp_lt_u32_e32 vcc_lo, 0xbf, v0
	s_delay_alu instid0(VALU_DEP_2) | instskip(SKIP_2) | instid1(VALU_DEP_3)
	v_cmp_lt_u32_e64 s3, 7, v73
	v_lshlrev_b32_e32 v1, 3, v73
	v_cmp_gt_u32_e64 s2, 8, v73
	s_or_b32 s3, vcc_lo, s3
	s_waitcnt lgkmcnt(0)
	s_and_saveexec_b32 s7, s3
	s_delay_alu instid0(SALU_CYCLE_1)
	s_xor_b32 s3, exec_lo, s7
; %bb.9:
	v_mov_b32_e32 v2, 0
; %bb.10:
	s_or_saveexec_b32 s3, s3
	v_lshrrev_b32_e32 v74, 5, v0
	v_and_b32_e32 v75, 31, v0
	v_and_b32_e32 v84, 1, v0
	v_bfe_u32 v83, v0, 4, 1
	s_mul_i32 s31, s15, 12
	s_xor_b32 exec_lo, exec_lo, s3
	s_cbranch_execz .LBB569_12
; %bb.11:
	s_load_b64 s[20:21], s[0:1], 0x0
	v_lshl_or_b32 v7, v74, 1, v83
	s_mul_hi_i32 s23, s17, s4
	s_mul_i32 s22, s17, s4
	v_lshlrev_b32_e32 v4, 1, v1
	s_lshl_b64 s[22:23], s[22:23], 1
	v_add_lshl_u32 v2, v7, s31, 6
	v_lshlrev_b32_e32 v7, 6, v7
	v_lshlrev_b32_e32 v8, 10, v84
	s_delay_alu instid0(VALU_DEP_3) | instskip(NEXT) | instid1(VALU_DEP_1)
	v_ashrrev_i32_e32 v3, 31, v2
	v_lshlrev_b64 v[2:3], 1, v[2:3]
	s_waitcnt lgkmcnt(0)
	s_add_u32 s4, s20, s22
	s_addc_u32 s7, s21, s23
	s_delay_alu instid0(VALU_DEP_1) | instskip(NEXT) | instid1(VALU_DEP_2)
	v_add_co_u32 v2, vcc_lo, s4, v2
	v_add_co_ci_u32_e32 v3, vcc_lo, s7, v3, vcc_lo
	s_delay_alu instid0(VALU_DEP_2) | instskip(NEXT) | instid1(VALU_DEP_2)
	v_add_co_u32 v2, vcc_lo, v2, v4
	v_add_co_ci_u32_e32 v3, vcc_lo, 0, v3, vcc_lo
	global_load_b128 v[3:6], v[2:3], off
	v_lshlrev_b32_e32 v2, 10, v73
	s_delay_alu instid0(VALU_DEP_1) | instskip(NEXT) | instid1(VALU_DEP_1)
	v_and_b32_e32 v2, 0x3800, v2
	v_or3_b32 v7, v2, v8, v7
	v_mov_b32_e32 v2, 0
	s_waitcnt vmcnt(0)
	ds_store_b128 v7, v[3:6]
.LBB569_12:
	s_or_b32 exec_lo, exec_lo, s3
	v_and_b32_e32 v3, 0xef, v0
	s_add_i32 s3, s18, 31
	s_clause 0x1
	s_load_b32 s4, s[0:1], 0x38
	s_load_b32 s19, s[0:1], 0x1c
	s_ashr_i32 s7, s3, 31
	v_add_nc_u32_e32 v3, s16, v3
	s_lshr_b32 s7, s7, 27
	s_waitcnt lgkmcnt(0)
	s_add_i32 s3, s3, s7
	s_barrier
	v_ashrrev_i32_e32 v4, 31, v3
	v_cmp_gt_i32_e32 vcc_lo, s18, v3
	s_ashr_i32 s3, s3, 5
	buffer_gl0_inv
	s_add_i32 s3, s3, -1
	v_lshrrev_b32_e32 v5, 27, v4
	v_or_b32_e32 v4, 16, v3
	s_mul_i32 s6, s15, s6
	v_lshlrev_b64 v[81:82], 1, v[1:2]
	s_delay_alu instid0(VALU_DEP_3) | instskip(NEXT) | instid1(VALU_DEP_3)
	v_add_nc_u32_e32 v6, v3, v5
	v_add_nc_u32_e32 v5, v4, v5
	s_mul_i32 s20, s30, s4
	s_delay_alu instid0(SALU_CYCLE_1) | instskip(NEXT) | instid1(VALU_DEP_2)
	s_ashr_i32 s21, s20, 31
	v_ashrrev_i32_e32 v6, 5, v6
	s_delay_alu instid0(VALU_DEP_2) | instskip(SKIP_1) | instid1(SALU_CYCLE_1)
	v_ashrrev_i32_e32 v5, 5, v5
	s_lshl_b64 s[20:21], s[20:21], 2
	s_add_u32 s4, s12, s20
	s_delay_alu instid0(VALU_DEP_2) | instskip(SKIP_3) | instid1(SALU_CYCLE_1)
	v_cndmask_b32_e32 v3, s3, v6, vcc_lo
	v_cmp_gt_i32_e32 vcc_lo, s18, v4
	s_addc_u32 s17, s13, s21
	s_ashr_i32 s7, s6, 31
	s_lshl_b64 s[6:7], s[6:7], 1
	v_cndmask_b32_e32 v5, s3, v5, vcc_lo
	v_ashrrev_i32_e32 v4, 31, v3
	s_add_u32 s15, s8, s6
	s_addc_u32 s28, s9, s7
	s_lshl_b32 s8, s14, 3
	v_ashrrev_i32_e32 v6, 31, v5
	v_lshlrev_b64 v[3:4], 2, v[3:4]
	s_ashr_i32 s9, s8, 31
	s_delay_alu instid0(SALU_CYCLE_1) | instskip(NEXT) | instid1(VALU_DEP_2)
	s_lshl_b64 s[8:9], s[8:9], 2
	v_lshlrev_b64 v[5:6], 2, v[5:6]
	s_add_u32 s8, s4, s8
	s_delay_alu instid0(VALU_DEP_2) | instskip(SKIP_1) | instid1(VALU_DEP_3)
	v_add_co_u32 v3, vcc_lo, s4, v3
	v_add_co_ci_u32_e32 v4, vcc_lo, s17, v4, vcc_lo
	v_add_co_u32 v5, vcc_lo, s4, v5
	s_delay_alu instid0(VALU_DEP_4)
	v_add_co_ci_u32_e32 v6, vcc_lo, s17, v6, vcc_lo
	s_addc_u32 s9, s17, s9
	s_clause 0x1
	global_load_b32 v7, v[3:4], off
	global_load_b32 v8, v[5:6], off
	s_or_b32 s12, s16, 32
	s_delay_alu instid0(SALU_CYCLE_1) | instskip(SKIP_2) | instid1(SALU_CYCLE_1)
	s_ashr_i32 s13, s12, 5
	s_cmp_lt_i32 s12, s18
	s_cselect_b32 s12, s13, s3
	s_ashr_i32 s13, s12, 31
	s_delay_alu instid0(SALU_CYCLE_1) | instskip(NEXT) | instid1(SALU_CYCLE_1)
	s_lshl_b64 s[12:13], s[12:13], 2
	s_add_u32 s12, s4, s12
	s_addc_u32 s13, s17, s13
	s_or_b32 s20, s16, 64
	s_delay_alu instid0(SALU_CYCLE_1) | instskip(SKIP_2) | instid1(SALU_CYCLE_1)
	s_ashr_i32 s21, s20, 5
	s_cmp_lt_i32 s20, s18
	s_cselect_b32 s20, s21, s3
	s_ashr_i32 s21, s20, 31
	s_delay_alu instid0(SALU_CYCLE_1) | instskip(NEXT) | instid1(SALU_CYCLE_1)
	s_lshl_b64 s[20:21], s[20:21], 2
	s_add_u32 s20, s4, s20
	s_addc_u32 s21, s17, s21
	;; [unrolled: 10-line block ×5, first 2 shown]
	s_clause 0x5
	s_load_b32 s29, s[8:9], 0x0
	s_load_b32 s33, s[12:13], 0x0
	;; [unrolled: 1-line block ×6, first 2 shown]
	s_mov_b32 s20, 0
	s_or_b32 s8, s16, 0xc0
	s_mov_b32 s21, s20
	s_mov_b32 s22, s20
	;; [unrolled: 1-line block ×7, first 2 shown]
	s_ashr_i32 s9, s8, 5
	v_mov_b32_e32 v117, s27
	s_cmp_lt_i32 s8, s18
	v_mov_b32_e32 v116, s26
	s_cselect_b32 s8, s9, s3
	v_mov_b32_e32 v115, s25
	s_ashr_i32 s9, s8, 31
	v_dual_mov_b32 v114, s24 :: v_dual_mov_b32 v113, s23
	v_dual_mov_b32 v112, s22 :: v_dual_mov_b32 v111, s21
	s_lshl_b64 s[8:9], s[8:9], 2
	s_waitcnt lgkmcnt(0)
	s_mul_hi_i32 s13, s29, s5
	s_add_u32 s8, s4, s8
	s_addc_u32 s9, s17, s9
	s_mul_i32 s12, s29, s5
	v_mov_b32_e32 v110, s20
	s_mul_hi_i32 s21, s33, s5
	s_mul_i32 s20, s33, s5
	s_mul_hi_i32 s25, s34, s5
	s_mul_i32 s24, s34, s5
	;; [unrolled: 2-line block ×4, first 2 shown]
	s_waitcnt vmcnt(1)
	v_mad_i64_i32 v[3:4], null, v7, s5, 0
	s_waitcnt vmcnt(0)
	v_mad_i64_i32 v[5:6], null, v8, s5, 0
	s_delay_alu instid0(VALU_DEP_2) | instskip(NEXT) | instid1(VALU_DEP_2)
	v_lshlrev_b64 v[3:4], 1, v[3:4]
	v_lshlrev_b64 v[1:2], 1, v[5:6]
	s_delay_alu instid0(VALU_DEP_2) | instskip(NEXT) | instid1(VALU_DEP_3)
	v_add_co_u32 v3, vcc_lo, s15, v3
	v_add_co_ci_u32_e32 v4, vcc_lo, s28, v4, vcc_lo
	s_delay_alu instid0(VALU_DEP_3) | instskip(NEXT) | instid1(VALU_DEP_4)
	v_add_co_u32 v1, vcc_lo, s15, v1
	v_add_co_ci_u32_e32 v2, vcc_lo, s28, v2, vcc_lo
	s_delay_alu instid0(VALU_DEP_4) | instskip(NEXT) | instid1(VALU_DEP_4)
	v_add_co_u32 v41, vcc_lo, v3, v81
	v_add_co_ci_u32_e32 v42, vcc_lo, v4, v82, vcc_lo
	s_delay_alu instid0(VALU_DEP_4) | instskip(NEXT) | instid1(VALU_DEP_4)
	v_add_co_u32 v43, vcc_lo, v1, v81
	v_add_co_ci_u32_e32 v44, vcc_lo, v2, v82, vcc_lo
	s_clause 0xf
	global_load_b128 v[1:4], v[41:42], off
	global_load_b128 v[5:8], v[41:42], off offset:512
	global_load_b128 v[9:12], v[43:44], off offset:256
	;; [unrolled: 1-line block ×15, first 2 shown]
	v_add_nc_u32_e32 v41, -12, v73
	v_cmp_gt_u32_e32 vcc_lo, 12, v73
	s_or_b32 s15, s16, 0xe0
	s_delay_alu instid0(SALU_CYCLE_1) | instskip(SKIP_3) | instid1(SALU_CYCLE_1)
	s_ashr_i32 s22, s15, 5
	s_cmp_lt_i32 s15, s18
	v_cndmask_b32_e32 v41, v41, v73, vcc_lo
	s_cselect_b32 s22, s22, s3
	s_ashr_i32 s23, s22, 31
	s_delay_alu instid0(VALU_DEP_1)
	v_lshlrev_b32_e32 v57, 6, v41
	ds_load_b128 v[41:44], v57
	ds_load_b128 v[45:48], v57 offset:1024
	ds_load_b128 v[49:52], v57 offset:2048
	;; [unrolled: 1-line block ×7, first 2 shown]
	s_lshl_b64 s[22:23], s[22:23], 2
	s_delay_alu instid0(SALU_CYCLE_1) | instskip(SKIP_2) | instid1(SALU_CYCLE_1)
	s_add_u32 s22, s4, s22
	s_addc_u32 s23, s17, s23
	s_add_i32 s15, s16, 0x100
	s_ashr_i32 s28, s15, 5
	s_cmp_lt_i32 s15, s18
	s_load_b32 s15, s[8:9], 0x0
	s_cselect_b32 s28, s28, s3
	s_mul_hi_i32 s9, s36, s5
	s_ashr_i32 s29, s28, 31
	s_mul_i32 s8, s36, s5
	s_lshl_b64 s[28:29], s[28:29], 2
	s_delay_alu instid0(SALU_CYCLE_1)
	s_add_u32 s28, s4, s28
	s_addc_u32 s29, s17, s29
	s_add_u32 s3, s10, s6
	s_clause 0x1
	s_load_b32 s4, s[22:23], 0x0
	s_load_b32 s17, s[28:29], 0x0
	s_addc_u32 s28, s11, s7
	s_lshl_b64 s[6:7], s[12:13], 1
	s_lshl_b64 s[10:11], s[20:21], 1
	;; [unrolled: 1-line block ×6, first 2 shown]
	s_waitcnt lgkmcnt(0)
	s_mul_hi_i32 s25, s15, s5
	s_mul_i32 s24, s15, s5
	s_waitcnt vmcnt(14)
	v_wmma_f32_16x16x16_bf16 v[134:141], v[1:8], v[41:48], v[110:117]
	s_waitcnt vmcnt(10)
	s_delay_alu instid0(VALU_DEP_1) | instskip(SKIP_1) | instid1(VALU_DEP_1)
	v_wmma_f32_16x16x16_bf16 v[134:141], v[17:24], v[49:56], v[134:141]
	s_waitcnt vmcnt(6)
	v_wmma_f32_16x16x16_bf16 v[134:141], v[33:40], v[118:125], v[134:141]
	s_waitcnt vmcnt(2)
	s_delay_alu instid0(VALU_DEP_1) | instskip(SKIP_1) | instid1(VALU_DEP_2)
	v_wmma_f32_16x16x16_bf16 v[134:141], v[94:101], v[126:133], v[134:141]
	v_lshlrev_b32_e32 v85, 6, v73
	v_mul_f32_e32 v100, s19, v141
	s_delay_alu instid0(VALU_DEP_2) | instskip(SKIP_2) | instid1(VALU_DEP_3)
	v_lshl_or_b32 v58, v74, 10, v85
	v_wmma_f32_16x16x16_bf16 v[110:117], v[9:16], v[41:48], v[110:117]
	v_mul_f32_e32 v99, s19, v135
	v_add_co_u32 v76, s3, s3, v58
	s_delay_alu instid0(VALU_DEP_1) | instskip(NEXT) | instid1(VALU_DEP_4)
	v_add_co_ci_u32_e64 v77, null, s28, 0, s3
	v_wmma_f32_16x16x16_bf16 v[110:117], v[25:32], v[49:56], v[110:117]
	s_delay_alu instid0(VALU_DEP_3) | instskip(NEXT) | instid1(VALU_DEP_3)
	v_add_co_u32 v57, vcc_lo, v76, s6
	v_add_co_ci_u32_e32 v58, vcc_lo, s7, v77, vcc_lo
	v_add_co_u32 v1, vcc_lo, v76, s10
	v_add_co_ci_u32_e32 v2, vcc_lo, s11, v77, vcc_lo
	;; [unrolled: 2-line block ×5, first 2 shown]
	s_clause 0x9
	global_load_b128 v[65:68], v[57:58], off
	global_load_b128 v[69:72], v[57:58], off offset:16
	global_load_b128 v[57:60], v[1:2], off
	global_load_b128 v[61:64], v[1:2], off offset:16
	;; [unrolled: 2-line block ×5, first 2 shown]
	v_add_co_u32 v5, vcc_lo, v76, s22
	s_lshl_b64 s[6:7], s[24:25], 1
	v_add_co_ci_u32_e32 v6, vcc_lo, s23, v77, vcc_lo
	s_mul_hi_i32 s9, s4, s5
	s_mul_i32 s8, s4, s5
	v_add_co_u32 v17, vcc_lo, v76, s6
	v_add_co_ci_u32_e32 v18, vcc_lo, s7, v77, vcc_lo
	s_lshl_b64 s[6:7], s[8:9], 1
	s_mul_hi_i32 s9, s17, s5
	s_mul_i32 s8, s17, s5
	v_add_co_u32 v19, vcc_lo, v76, s6
	s_lshl_b64 s[4:5], s[8:9], 1
	v_add_co_ci_u32_e32 v20, vcc_lo, s7, v77, vcc_lo
	v_add_co_u32 v21, vcc_lo, v76, s4
	v_add_co_ci_u32_e32 v22, vcc_lo, s5, v77, vcc_lo
	s_clause 0x7
	global_load_b128 v[1:4], v[5:6], off
	global_load_b128 v[5:8], v[5:6], off offset:16
	global_load_b128 v[33:36], v[17:18], off
	global_load_b128 v[37:40], v[17:18], off offset:16
	;; [unrolled: 2-line block ×4, first 2 shown]
	v_and_b32_e32 v76, 0xe0, v0
	v_mbcnt_lo_u32_b32 v77, -1, 0
	v_wmma_f32_16x16x16_bf16 v[110:117], v[86:93], v[118:125], v[110:117]
	s_waitcnt vmcnt(0)
	s_barrier
	v_add_nc_u32_e32 v76, s16, v76
	v_xor_b32_e32 v78, 16, v77
	v_wmma_f32_16x16x16_bf16 v[110:117], v[102:109], v[126:133], v[110:117]
	v_mul_f32_e32 v97, s19, v134
	buffer_gl0_inv
	v_or_b32_e32 v76, v76, v83
	v_cmp_gt_i32_e32 vcc_lo, 32, v78
	s_delay_alu instid0(VALU_DEP_2)
	v_or_b32_e32 v79, 4, v76
	v_cndmask_b32_e32 v77, v77, v78, vcc_lo
	v_or_b32_e32 v78, 2, v76
	v_or_b32_e32 v80, 6, v76
	v_cmp_gt_i32_e32 vcc_lo, s18, v76
	v_or_b32_e32 v86, 8, v76
	v_or_b32_e32 v87, 10, v76
	v_cmp_gt_i32_e64 s3, s18, v78
	v_or_b32_e32 v88, 12, v76
	v_or_b32_e32 v89, 14, v76
	;; [unrolled: 1-line block ×10, first 2 shown]
	v_cndmask_b32_e32 v76, 0xff7fffff, v97, vcc_lo
	v_cndmask_b32_e64 v78, 0xff7fffff, v99, s3
	v_mul_f32_e32 v99, s19, v137
	v_cmp_gt_i32_e64 s4, s18, v80
	v_mul_f32_e32 v80, s19, v136
	v_cmp_gt_i32_e64 s5, s18, v79
	v_max3_f32 v76, v76, 0xff7fffff, v78
	v_dual_mul_f32 v78, s19, v138 :: v_dual_mul_f32 v79, s19, v139
	v_cndmask_b32_e64 v99, 0xff7fffff, v99, s4
	s_delay_alu instid0(VALU_DEP_4)
	v_cndmask_b32_e64 v80, 0xff7fffff, v80, s5
	v_cmp_gt_i32_e64 s6, s18, v86
	v_cmp_gt_i32_e64 s7, s18, v87
	v_mul_f32_e32 v97, s19, v140
	v_cmp_gt_i32_e64 s8, s18, v89
	v_max3_f32 v76, v76, v80, v99
	v_cndmask_b32_e64 v78, 0xff7fffff, v78, s6
	v_cndmask_b32_e64 v79, 0xff7fffff, v79, s7
	v_cmp_gt_i32_e64 s9, s18, v88
	v_dual_mul_f32 v88, s19, v111 :: v_dual_mul_f32 v89, s19, v110
	v_cndmask_b32_e64 v100, 0xff7fffff, v100, s8
	s_delay_alu instid0(VALU_DEP_4) | instskip(NEXT) | instid1(VALU_DEP_4)
	v_max3_f32 v76, v76, v78, v79
	v_cndmask_b32_e64 v97, 0xff7fffff, v97, s9
	v_cmp_gt_i32_e64 s10, s18, v90
	v_cmp_gt_i32_e64 s11, s18, v91
	v_dual_mul_f32 v78, s19, v113 :: v_dual_mul_f32 v79, s19, v112
	s_delay_alu instid0(VALU_DEP_4) | instskip(NEXT) | instid1(VALU_DEP_4)
	v_max3_f32 v76, v76, v97, v100
	v_cndmask_b32_e64 v89, 0xff7fffff, v89, s10
	s_delay_alu instid0(VALU_DEP_4)
	v_cndmask_b32_e64 v88, 0xff7fffff, v88, s11
	v_cmp_gt_i32_e64 s12, s18, v92
	v_cmp_gt_i32_e64 s13, s18, v93
	v_mul_f32_e32 v87, s19, v115
	v_mul_f32_e32 v99, s19, v114
	v_max3_f32 v76, v76, v89, v88
	v_cndmask_b32_e64 v79, 0xff7fffff, v79, s12
	v_cndmask_b32_e64 v78, 0xff7fffff, v78, s13
	v_cmp_gt_i32_e64 s15, s18, v94
	v_cmp_gt_i32_e64 s16, s18, v95
	v_mul_f32_e32 v80, s19, v117
	v_mul_f32_e32 v86, s19, v116
	v_max3_f32 v76, v76, v79, v78
	v_cndmask_b32_e64 v88, 0xff7fffff, v99, s15
	v_cndmask_b32_e64 v87, 0xff7fffff, v87, s16
	v_cmp_gt_i32_e64 s17, s18, v96
	v_cmp_gt_i32_e64 s18, s18, v98
	v_lshlrev_b32_e32 v99, 2, v77
	s_delay_alu instid0(VALU_DEP_4) | instskip(NEXT) | instid1(VALU_DEP_4)
	v_max3_f32 v76, v76, v88, v87
	v_cndmask_b32_e64 v78, 0xff7fffff, v86, s17
	s_delay_alu instid0(VALU_DEP_4) | instskip(NEXT) | instid1(VALU_DEP_1)
	v_cndmask_b32_e64 v79, 0xff7fffff, v80, s18
	v_max3_f32 v76, v76, v78, v79
	ds_bpermute_b32 v77, v99, v76
	s_waitcnt lgkmcnt(0)
	v_max_f32_e32 v77, v77, v77
	s_delay_alu instid0(VALU_DEP_1) | instskip(NEXT) | instid1(VALU_DEP_1)
	v_max_f32_e32 v76, v76, v77
	v_fma_f32 v77, s19, v134, -v76
	v_fma_f32 v78, s19, v135, -v76
	;; [unrolled: 1-line block ×5, first 2 shown]
	s_delay_alu instid0(VALU_DEP_4) | instskip(SKIP_1) | instid1(VALU_DEP_4)
	v_dual_mul_f32 v77, 0x3fb8aa3b, v77 :: v_dual_mul_f32 v78, 0x3fb8aa3b, v78
	v_fma_f32 v88, s19, v114, -v76
	v_dual_mul_f32 v79, 0x3fb8aa3b, v79 :: v_dual_mul_f32 v80, 0x3fb8aa3b, v80
	s_delay_alu instid0(VALU_DEP_3) | instskip(NEXT) | instid1(VALU_DEP_3)
	v_exp_f32_e32 v77, v77
	v_exp_f32_e32 v78, v78
	s_delay_alu instid0(VALU_DEP_2) | instskip(NEXT) | instid1(VALU_DEP_2)
	v_mul_f32_e32 v88, 0x3fb8aa3b, v88
	v_exp_f32_e32 v79, v79
	v_mul_f32_e32 v86, 0x3fb8aa3b, v86
	v_exp_f32_e32 v80, v80
	v_fma_f32 v87, s19, v140, -v76
	v_fma_f32 v100, s19, v117, -v76
	;; [unrolled: 1-line block ×3, first 2 shown]
	v_exp_f32_e32 v86, v86
	v_cndmask_b32_e32 v92, 0, v77, vcc_lo
	v_fma_f32 v77, s19, v139, -v76
	v_cndmask_b32_e64 v91, 0, v78, s3
	v_cndmask_b32_e64 v93, 0, v79, s5
	v_fma_f32 v79, s19, v141, -v76
	s_delay_alu instid0(VALU_DEP_4) | instskip(SKIP_2) | instid1(TRANS32_DEP_1)
	v_dual_add_f32 v78, 0, v92 :: v_dual_mul_f32 v77, 0x3fb8aa3b, v77
	v_cndmask_b32_e64 v95, 0, v80, s4
	v_mul_f32_e32 v87, 0x3fb8aa3b, v87
	v_cndmask_b32_e64 v96, 0, v86, s6
	s_delay_alu instid0(VALU_DEP_4)
	v_add_f32_e32 v78, v78, v91
	v_exp_f32_e32 v77, v77
	v_fma_f32 v86, s19, v111, -v76
	v_fma_f32 v80, s19, v110, -v76
	v_exp_f32_e32 v87, v87
	v_add_f32_e32 v78, v78, v93
	v_mul_f32_e32 v100, 0x3fb8aa3b, v100
	v_mul_f32_e32 v86, 0x3fb8aa3b, v86
	;; [unrolled: 1-line block ×3, first 2 shown]
	v_exp_f32_e32 v88, v88
	v_add_f32_e32 v78, v78, v95
	v_cndmask_b32_e64 v97, 0, v77, s7
	v_exp_f32_e32 v86, v86
	v_exp_f32_e32 v80, v80
	v_cndmask_b32_e64 v94, 0, v87, s9
	v_add_f32_e32 v77, v78, v96
	v_fma_f32 v78, s19, v112, -v76
	v_fma_f32 v87, s19, v113, -v76
	v_exp_f32_e32 v100, v100
	s_mov_b32 s3, exec_lo
	s_delay_alu instid0(VALU_DEP_2) | instskip(NEXT) | instid1(VALU_DEP_2)
	v_dual_add_f32 v77, v77, v97 :: v_dual_mul_f32 v78, 0x3fb8aa3b, v78
	v_mul_f32_e32 v87, 0x3fb8aa3b, v87
	s_delay_alu instid0(VALU_DEP_2) | instskip(SKIP_2) | instid1(VALU_DEP_3)
	v_exp_f32_e32 v89, v78
	v_cndmask_b32_e64 v78, 0, v86, s11
	v_mul_f32_e32 v79, 0x3fb8aa3b, v79
	v_exp_f32_e32 v87, v87
	s_delay_alu instid0(VALU_DEP_1)
	v_exp_f32_e32 v79, v79
	s_waitcnt_depctr 0xfff
	v_cndmask_b32_e64 v98, 0, v79, s8
	v_add_f32_e32 v79, v77, v94
	v_cndmask_b32_e64 v77, 0, v80, s10
	v_fma_f32 v80, s19, v115, -v76
	s_delay_alu instid0(VALU_DEP_1) | instskip(NEXT) | instid1(VALU_DEP_1)
	v_dual_add_f32 v79, v79, v98 :: v_dual_mul_f32 v80, 0x3fb8aa3b, v80
	v_add_f32_e32 v86, v79, v77
	v_cndmask_b32_e64 v79, 0, v89, s12
	v_mul_f32_e32 v89, 0x3fb8aa3b, v90
	s_delay_alu instid0(VALU_DEP_4) | instskip(SKIP_2) | instid1(VALU_DEP_3)
	v_exp_f32_e32 v90, v80
	v_cndmask_b32_e64 v80, 0, v87, s13
	v_add_f32_e32 v86, v86, v78
	v_exp_f32_e32 v89, v89
	s_delay_alu instid0(VALU_DEP_1) | instskip(SKIP_1) | instid1(VALU_DEP_2)
	v_add_f32_e32 v87, v86, v79
	v_cndmask_b32_e64 v86, 0, v88, s15
	v_add_f32_e32 v88, v87, v80
	s_delay_alu instid0(TRANS32_DEP_2) | instskip(NEXT) | instid1(VALU_DEP_2)
	v_cndmask_b32_e64 v87, 0, v90, s16
	v_add_f32_e32 v90, v88, v86
	s_waitcnt_depctr 0xfff
	v_cndmask_b32_e64 v88, 0, v89, s17
	v_add_f32_e32 v89, v90, v87
	s_delay_alu instid0(VALU_DEP_1) | instskip(SKIP_1) | instid1(VALU_DEP_1)
	v_add_f32_e32 v90, v89, v88
	v_cndmask_b32_e64 v89, 0, v100, s18
	v_add_f32_e32 v90, v90, v89
	ds_bpermute_b32 v99, v99, v90
	v_cmpx_gt_u32_e32 16, v75
	s_cbranch_execz .LBB569_14
; %bb.13:
	v_mul_u32_u24_e32 v75, 0x44, v74
	s_waitcnt lgkmcnt(0)
	v_add_f32_e32 v90, v90, v99
	s_delay_alu instid0(VALU_DEP_2) | instskip(NEXT) | instid1(VALU_DEP_1)
	v_lshl_add_u32 v75, v73, 2, v75
	v_add_nc_u32_e32 v75, 0x4000, v75
	ds_store_2addr_b32 v75, v76, v90 offset1:136
.LBB569_14:
	s_or_b32 exec_lo, exec_lo, s3
	v_lshlrev_b32_e32 v75, 2, v73
	s_waitcnt lgkmcnt(0)
	s_barrier
	buffer_gl0_inv
	v_cmp_eq_u32_e64 s3, 1, v74
	v_add_nc_u32_e32 v90, 0x4000, v75
	ds_load_2addr_b32 v[99:100], v90 offset1:17
	ds_load_2addr_b32 v[101:102], v90 offset0:34 offset1:51
	ds_load_2addr_b32 v[103:104], v90 offset0:68 offset1:85
	;; [unrolled: 1-line block ×4, first 2 shown]
	s_waitcnt lgkmcnt(4)
	v_max3_f32 v75, v99, 0xff7fffff, v100
	s_waitcnt lgkmcnt(3)
	s_delay_alu instid0(VALU_DEP_1) | instskip(SKIP_1) | instid1(VALU_DEP_1)
	v_max3_f32 v75, v75, v101, v102
	s_waitcnt lgkmcnt(2)
	v_max3_f32 v75, v75, v103, v104
	s_waitcnt lgkmcnt(1)
	s_delay_alu instid0(VALU_DEP_1) | instskip(NEXT) | instid1(VALU_DEP_1)
	v_max3_f32 v75, v75, v105, v106
	v_sub_f32_e32 v109, v100, v75
	v_sub_f32_e32 v76, v99, v75
	ds_load_2addr_b32 v[99:100], v90 offset0:170 offset1:187
	v_sub_f32_e32 v101, v101, v75
	v_dual_mul_f32 v109, 0x3fb8aa3b, v109 :: v_dual_mul_f32 v76, 0x3fb8aa3b, v76
	s_delay_alu instid0(VALU_DEP_2) | instskip(NEXT) | instid1(VALU_DEP_2)
	v_mul_f32_e32 v111, 0x3fb8aa3b, v101
	v_exp_f32_e32 v109, v109
	s_delay_alu instid0(VALU_DEP_2)
	v_exp_f32_e32 v110, v76
	v_sub_f32_e32 v76, v102, v75
	ds_load_2addr_b32 v[101:102], v90 offset0:204 offset1:221
	v_exp_f32_e32 v111, v111
	v_mul_f32_e32 v112, 0x3fb8aa3b, v76
	s_waitcnt lgkmcnt(2)
	v_fma_f32 v76, v110, v107, 0
	v_sub_f32_e32 v103, v103, v75
	s_delay_alu instid0(VALU_DEP_3) | instskip(NEXT) | instid1(VALU_DEP_2)
	v_exp_f32_e32 v112, v112
	v_dual_sub_f32 v107, v104, v75 :: v_dual_fmac_f32 v76, v109, v108
	s_waitcnt lgkmcnt(1)
	s_waitcnt_depctr 0xfff
	v_fmac_f32_e32 v76, v111, v99
	v_mul_f32_e32 v113, 0x3fb8aa3b, v103
	ds_load_2addr_b32 v[103:104], v90 offset0:238 offset1:255
	v_sub_f32_e32 v90, v105, v75
	v_dual_sub_f32 v99, v106, v75 :: v_dual_fmac_f32 v76, v112, v100
	v_mul_f32_e32 v105, 0x3fb8aa3b, v107
	v_exp_f32_e32 v107, v113
	s_delay_alu instid0(VALU_DEP_2)
	v_dual_mul_f32 v90, 0x3fb8aa3b, v90 :: v_dual_mul_f32 v99, 0x3fb8aa3b, v99
	s_waitcnt lgkmcnt(0)
	s_barrier
	buffer_gl0_inv
	v_exp_f32_e32 v90, v90
	v_exp_f32_e32 v99, v99
	v_fmac_f32_e32 v76, v107, v101
	v_exp_f32_e32 v105, v105
	s_waitcnt_depctr 0xfff
	v_fmac_f32_e32 v76, v105, v102
	s_delay_alu instid0(VALU_DEP_1) | instskip(NEXT) | instid1(VALU_DEP_1)
	v_fmac_f32_e32 v76, v90, v103
	v_fmac_f32_e32 v76, v99, v104
	s_delay_alu instid0(VALU_DEP_1) | instskip(NEXT) | instid1(VALU_DEP_1)
	v_add_f32_e32 v100, 0x358637bd, v76
	v_div_scale_f32 v101, null, v100, v100, 1.0
	v_div_scale_f32 v104, vcc_lo, 1.0, v100, 1.0
	s_delay_alu instid0(VALU_DEP_2) | instskip(SKIP_2) | instid1(VALU_DEP_1)
	v_rcp_f32_e32 v102, v101
	s_waitcnt_depctr 0xfff
	v_fma_f32 v103, -v101, v102, 1.0
	v_fmac_f32_e32 v102, v103, v102
	v_cndmask_b32_e64 v103, v110, v109, s3
	v_cmp_eq_u32_e64 s3, 2, v74
	s_delay_alu instid0(VALU_DEP_3) | instskip(NEXT) | instid1(VALU_DEP_2)
	v_mul_f32_e32 v106, v104, v102
	v_cndmask_b32_e64 v103, v103, v111, s3
	v_cmp_eq_u32_e64 s3, 3, v74
	s_delay_alu instid0(VALU_DEP_3) | instskip(NEXT) | instid1(VALU_DEP_2)
	v_fma_f32 v108, -v101, v106, v104
	v_cndmask_b32_e64 v103, v103, v112, s3
	v_cmp_eq_u32_e64 s3, 4, v74
	s_delay_alu instid0(VALU_DEP_3) | instskip(NEXT) | instid1(VALU_DEP_2)
	v_fmac_f32_e32 v106, v108, v102
	v_cndmask_b32_e64 v103, v103, v107, s3
	s_delay_alu instid0(VALU_DEP_2) | instskip(SKIP_1) | instid1(VALU_DEP_2)
	v_fma_f32 v101, -v101, v106, v104
	v_cmp_eq_u32_e64 s3, 5, v74
	v_div_fmas_f32 v101, v101, v102, v106
	s_delay_alu instid0(VALU_DEP_2) | instskip(SKIP_2) | instid1(VALU_DEP_3)
	v_cndmask_b32_e64 v103, v103, v105, s3
	v_cmp_eq_u32_e32 vcc_lo, 6, v74
	s_mov_b32 s3, exec_lo
	v_div_fixup_f32 v100, v101, v100, 1.0
	s_delay_alu instid0(VALU_DEP_3) | instskip(SKIP_1) | instid1(VALU_DEP_2)
	v_cndmask_b32_e32 v90, v103, v90, vcc_lo
	v_cmp_eq_u32_e32 vcc_lo, 7, v74
	v_cndmask_b32_e32 v90, v90, v99, vcc_lo
	s_delay_alu instid0(VALU_DEP_1) | instskip(NEXT) | instid1(VALU_DEP_1)
	v_mul_f32_e32 v90, v90, v100
	v_mul_f32_e32 v100, v90, v92
	;; [unrolled: 1-line block ×6, first 2 shown]
	v_and_b32_e32 v101, 0x7f800000, v100
	v_mul_f32_e32 v99, v90, v95
	v_mul_f32_e32 v95, v90, v91
	;; [unrolled: 1-line block ×3, first 2 shown]
                                        ; implicit-def: $vgpr91
	s_delay_alu instid0(VALU_DEP_4)
	v_cmpx_ne_u32_e32 0x7f800000, v101
	s_xor_b32 s3, exec_lo, s3
; %bb.15:
	v_bfe_u32 v91, v100, 16, 1
	s_delay_alu instid0(VALU_DEP_1)
	v_add3_u32 v91, v100, v91, 0x7fff
                                        ; implicit-def: $vgpr100
; %bb.16:
	s_and_not1_saveexec_b32 s3, s3
; %bb.17:
	v_and_b32_e32 v91, 0xffff, v100
	v_or_b32_e32 v93, 0x10000, v100
	s_delay_alu instid0(VALU_DEP_2) | instskip(NEXT) | instid1(VALU_DEP_2)
	v_cmp_eq_u32_e32 vcc_lo, 0, v91
	v_cndmask_b32_e32 v91, v93, v100, vcc_lo
; %bb.18:
	s_or_b32 exec_lo, exec_lo, s3
	v_and_b32_e32 v93, 0x7f800000, v95
	s_delay_alu instid0(VALU_DEP_1) | instskip(SKIP_1) | instid1(SALU_CYCLE_1)
	v_cmp_ne_u32_e32 vcc_lo, 0x7f800000, v93
                                        ; implicit-def: $vgpr93
	s_and_saveexec_b32 s3, vcc_lo
	s_xor_b32 s3, exec_lo, s3
; %bb.19:
	v_bfe_u32 v93, v95, 16, 1
	s_delay_alu instid0(VALU_DEP_1)
	v_add3_u32 v93, v95, v93, 0x7fff
                                        ; implicit-def: $vgpr95
; %bb.20:
	s_and_not1_saveexec_b32 s3, s3
; %bb.21:
	v_and_b32_e32 v93, 0xffff, v95
	v_or_b32_e32 v100, 0x10000, v95
	s_delay_alu instid0(VALU_DEP_2) | instskip(NEXT) | instid1(VALU_DEP_2)
	v_cmp_eq_u32_e32 vcc_lo, 0, v93
	v_cndmask_b32_e32 v93, v100, v95, vcc_lo
; %bb.22:
	s_or_b32 exec_lo, exec_lo, s3
	v_and_b32_e32 v95, 0x7f800000, v96
	s_delay_alu instid0(VALU_DEP_1) | instskip(SKIP_1) | instid1(SALU_CYCLE_1)
	v_cmp_ne_u32_e32 vcc_lo, 0x7f800000, v95
                                        ; implicit-def: $vgpr95
	s_and_saveexec_b32 s3, vcc_lo
	s_xor_b32 s3, exec_lo, s3
; %bb.23:
	v_bfe_u32 v95, v96, 16, 1
	s_delay_alu instid0(VALU_DEP_1)
	v_add3_u32 v95, v96, v95, 0x7fff
                                        ; implicit-def: $vgpr96
; %bb.24:
	s_and_not1_saveexec_b32 s3, s3
; %bb.25:
	v_and_b32_e32 v95, 0xffff, v96
	v_or_b32_e32 v100, 0x10000, v96
	s_delay_alu instid0(VALU_DEP_2) | instskip(NEXT) | instid1(VALU_DEP_2)
	v_cmp_eq_u32_e32 vcc_lo, 0, v95
	v_cndmask_b32_e32 v95, v100, v96, vcc_lo
; %bb.26:
	s_or_b32 exec_lo, exec_lo, s3
	v_and_b32_e32 v96, 0x7f800000, v99
	s_delay_alu instid0(VALU_DEP_1) | instskip(SKIP_1) | instid1(SALU_CYCLE_1)
	v_cmp_ne_u32_e32 vcc_lo, 0x7f800000, v96
                                        ; implicit-def: $vgpr96
	s_and_saveexec_b32 s3, vcc_lo
	s_xor_b32 s3, exec_lo, s3
; %bb.27:
	v_bfe_u32 v96, v99, 16, 1
	s_delay_alu instid0(VALU_DEP_1)
	v_add3_u32 v96, v99, v96, 0x7fff
                                        ; implicit-def: $vgpr99
; %bb.28:
	s_and_not1_saveexec_b32 s3, s3
; %bb.29:
	v_and_b32_e32 v96, 0xffff, v99
	v_or_b32_e32 v100, 0x10000, v99
	s_delay_alu instid0(VALU_DEP_2) | instskip(NEXT) | instid1(VALU_DEP_2)
	v_cmp_eq_u32_e32 vcc_lo, 0, v96
	v_cndmask_b32_e32 v96, v100, v99, vcc_lo
; %bb.30:
	s_or_b32 exec_lo, exec_lo, s3
	v_and_b32_e32 v99, 0x7f800000, v98
	s_delay_alu instid0(VALU_DEP_1) | instskip(SKIP_1) | instid1(SALU_CYCLE_1)
	v_cmp_ne_u32_e32 vcc_lo, 0x7f800000, v99
                                        ; implicit-def: $vgpr99
	s_and_saveexec_b32 s3, vcc_lo
	s_xor_b32 s3, exec_lo, s3
; %bb.31:
	v_bfe_u32 v99, v98, 16, 1
	s_delay_alu instid0(VALU_DEP_1)
	v_add3_u32 v99, v98, v99, 0x7fff
                                        ; implicit-def: $vgpr98
; %bb.32:
	s_and_not1_saveexec_b32 s3, s3
; %bb.33:
	v_and_b32_e32 v99, 0xffff, v98
	v_or_b32_e32 v100, 0x10000, v98
	s_delay_alu instid0(VALU_DEP_2) | instskip(NEXT) | instid1(VALU_DEP_2)
	v_cmp_eq_u32_e32 vcc_lo, 0, v99
	v_cndmask_b32_e32 v99, v100, v98, vcc_lo
; %bb.34:
	s_or_b32 exec_lo, exec_lo, s3
	v_and_b32_e32 v98, 0x7f800000, v97
	s_delay_alu instid0(VALU_DEP_1) | instskip(SKIP_1) | instid1(SALU_CYCLE_1)
	v_cmp_ne_u32_e32 vcc_lo, 0x7f800000, v98
                                        ; implicit-def: $vgpr98
	s_and_saveexec_b32 s3, vcc_lo
	s_xor_b32 s3, exec_lo, s3
; %bb.35:
	v_bfe_u32 v98, v97, 16, 1
	s_delay_alu instid0(VALU_DEP_1)
	v_add3_u32 v98, v97, v98, 0x7fff
                                        ; implicit-def: $vgpr97
; %bb.36:
	s_and_not1_saveexec_b32 s3, s3
; %bb.37:
	v_and_b32_e32 v98, 0xffff, v97
	v_or_b32_e32 v100, 0x10000, v97
	s_delay_alu instid0(VALU_DEP_2) | instskip(NEXT) | instid1(VALU_DEP_2)
	v_cmp_eq_u32_e32 vcc_lo, 0, v98
	v_cndmask_b32_e32 v98, v100, v97, vcc_lo
; %bb.38:
	s_or_b32 exec_lo, exec_lo, s3
	v_and_b32_e32 v97, 0x7f800000, v94
	s_delay_alu instid0(VALU_DEP_1) | instskip(SKIP_1) | instid1(SALU_CYCLE_1)
	v_cmp_ne_u32_e32 vcc_lo, 0x7f800000, v97
                                        ; implicit-def: $vgpr97
	s_and_saveexec_b32 s3, vcc_lo
	s_xor_b32 s3, exec_lo, s3
; %bb.39:
	v_bfe_u32 v97, v94, 16, 1
	s_delay_alu instid0(VALU_DEP_1)
	v_add3_u32 v97, v94, v97, 0x7fff
                                        ; implicit-def: $vgpr94
; %bb.40:
	s_and_not1_saveexec_b32 s3, s3
; %bb.41:
	v_and_b32_e32 v97, 0xffff, v94
	v_or_b32_e32 v100, 0x10000, v94
	s_delay_alu instid0(VALU_DEP_2) | instskip(NEXT) | instid1(VALU_DEP_2)
	v_cmp_eq_u32_e32 vcc_lo, 0, v97
	v_cndmask_b32_e32 v97, v100, v94, vcc_lo
; %bb.42:
	s_or_b32 exec_lo, exec_lo, s3
	v_and_b32_e32 v94, 0x7f800000, v92
	s_delay_alu instid0(VALU_DEP_1) | instskip(SKIP_1) | instid1(SALU_CYCLE_1)
	v_cmp_ne_u32_e32 vcc_lo, 0x7f800000, v94
                                        ; implicit-def: $vgpr94
	s_and_saveexec_b32 s3, vcc_lo
	s_xor_b32 s3, exec_lo, s3
; %bb.43:
	v_bfe_u32 v94, v92, 16, 1
	s_delay_alu instid0(VALU_DEP_1)
	v_add3_u32 v94, v92, v94, 0x7fff
                                        ; implicit-def: $vgpr92
; %bb.44:
	s_and_not1_saveexec_b32 s3, s3
; %bb.45:
	v_and_b32_e32 v94, 0xffff, v92
	v_or_b32_e32 v100, 0x10000, v92
	s_delay_alu instid0(VALU_DEP_2) | instskip(NEXT) | instid1(VALU_DEP_2)
	v_cmp_eq_u32_e32 vcc_lo, 0, v94
	v_cndmask_b32_e32 v94, v100, v92, vcc_lo
; %bb.46:
	s_or_b32 exec_lo, exec_lo, s3
	s_load_b64 s[34:35], s[0:1], 0x94
	v_lshlrev_b32_e32 v92, 4, v83
	s_delay_alu instid0(VALU_DEP_2)
	v_perm_b32 v100, v94, v97, 0x7060302
	v_dual_mul_f32 v89, v90, v89 :: v_dual_lshlrev_b32 v94, 11, v74
	v_perm_b32 v97, v93, v91, 0x7060302
	v_mul_f32_e32 v93, v90, v77
	v_perm_b32 v99, v98, v99, 0x7060302
	v_perm_b32 v98, v96, v95, 0x7060302
	v_or3_b32 v77, v92, v94, v85
	v_mul_f32_e32 v88, v90, v88
	v_dual_mul_f32 v87, v90, v87 :: v_dual_and_b32 v94, 0x7f800000, v93
	v_mul_f32_e32 v86, v90, v86
	v_mul_f32_e32 v91, v90, v80
	;; [unrolled: 1-line block ×4, first 2 shown]
	s_mov_b32 s3, exec_lo
	ds_store_b128 v77, v[97:100]
                                        ; implicit-def: $vgpr78
	v_cmpx_ne_u32_e32 0x7f800000, v94
	s_xor_b32 s3, exec_lo, s3
; %bb.47:
	v_bfe_u32 v78, v93, 16, 1
	s_delay_alu instid0(VALU_DEP_1)
	v_add3_u32 v78, v93, v78, 0x7fff
                                        ; implicit-def: $vgpr93
; %bb.48:
	s_and_not1_saveexec_b32 s3, s3
; %bb.49:
	v_and_b32_e32 v78, 0xffff, v93
	v_or_b32_e32 v79, 0x10000, v93
	s_delay_alu instid0(VALU_DEP_2) | instskip(NEXT) | instid1(VALU_DEP_2)
	v_cmp_eq_u32_e32 vcc_lo, 0, v78
	v_cndmask_b32_e32 v78, v79, v93, vcc_lo
; %bb.50:
	s_or_b32 exec_lo, exec_lo, s3
	v_and_b32_e32 v79, 0x7f800000, v80
	s_delay_alu instid0(VALU_DEP_1) | instskip(SKIP_1) | instid1(SALU_CYCLE_1)
	v_cmp_ne_u32_e32 vcc_lo, 0x7f800000, v79
                                        ; implicit-def: $vgpr79
	s_and_saveexec_b32 s3, vcc_lo
	s_xor_b32 s3, exec_lo, s3
; %bb.51:
	v_bfe_u32 v79, v80, 16, 1
	s_delay_alu instid0(VALU_DEP_1)
	v_add3_u32 v79, v80, v79, 0x7fff
                                        ; implicit-def: $vgpr80
; %bb.52:
	s_and_not1_saveexec_b32 s3, s3
; %bb.53:
	v_and_b32_e32 v79, 0xffff, v80
	v_or_b32_e32 v90, 0x10000, v80
	s_delay_alu instid0(VALU_DEP_2) | instskip(NEXT) | instid1(VALU_DEP_2)
	v_cmp_eq_u32_e32 vcc_lo, 0, v79
	v_cndmask_b32_e32 v79, v90, v80, vcc_lo
; %bb.54:
	s_or_b32 exec_lo, exec_lo, s3
	v_and_b32_e32 v80, 0x7f800000, v92
	s_delay_alu instid0(VALU_DEP_1) | instskip(SKIP_1) | instid1(SALU_CYCLE_1)
	v_cmp_ne_u32_e32 vcc_lo, 0x7f800000, v80
                                        ; implicit-def: $vgpr80
	s_and_saveexec_b32 s3, vcc_lo
	s_xor_b32 s3, exec_lo, s3
; %bb.55:
	v_bfe_u32 v80, v92, 16, 1
	s_delay_alu instid0(VALU_DEP_1)
	v_add3_u32 v80, v92, v80, 0x7fff
                                        ; implicit-def: $vgpr92
; %bb.56:
	s_and_not1_saveexec_b32 s3, s3
; %bb.57:
	v_and_b32_e32 v80, 0xffff, v92
	v_or_b32_e32 v90, 0x10000, v92
	s_delay_alu instid0(VALU_DEP_2) | instskip(NEXT) | instid1(VALU_DEP_2)
	v_cmp_eq_u32_e32 vcc_lo, 0, v80
	v_cndmask_b32_e32 v80, v90, v92, vcc_lo
; %bb.58:
	s_or_b32 exec_lo, exec_lo, s3
	v_and_b32_e32 v90, 0x7f800000, v91
	s_delay_alu instid0(VALU_DEP_1) | instskip(SKIP_1) | instid1(SALU_CYCLE_1)
	v_cmp_ne_u32_e32 vcc_lo, 0x7f800000, v90
                                        ; implicit-def: $vgpr90
	s_and_saveexec_b32 s3, vcc_lo
	s_xor_b32 s3, exec_lo, s3
; %bb.59:
	v_bfe_u32 v90, v91, 16, 1
	s_delay_alu instid0(VALU_DEP_1)
	v_add3_u32 v90, v91, v90, 0x7fff
                                        ; implicit-def: $vgpr91
; %bb.60:
	s_and_not1_saveexec_b32 s3, s3
; %bb.61:
	v_and_b32_e32 v90, 0xffff, v91
	v_or_b32_e32 v92, 0x10000, v91
	s_delay_alu instid0(VALU_DEP_2) | instskip(NEXT) | instid1(VALU_DEP_2)
	v_cmp_eq_u32_e32 vcc_lo, 0, v90
	v_cndmask_b32_e32 v90, v92, v91, vcc_lo
; %bb.62:
	s_or_b32 exec_lo, exec_lo, s3
	v_and_b32_e32 v91, 0x7f800000, v86
	s_delay_alu instid0(VALU_DEP_1) | instskip(SKIP_1) | instid1(SALU_CYCLE_1)
	v_cmp_ne_u32_e32 vcc_lo, 0x7f800000, v91
                                        ; implicit-def: $vgpr91
	s_and_saveexec_b32 s3, vcc_lo
	s_xor_b32 s3, exec_lo, s3
; %bb.63:
	v_bfe_u32 v91, v86, 16, 1
	s_delay_alu instid0(VALU_DEP_1)
	v_add3_u32 v91, v86, v91, 0x7fff
                                        ; implicit-def: $vgpr86
; %bb.64:
	s_and_not1_saveexec_b32 s3, s3
; %bb.65:
	v_and_b32_e32 v91, 0xffff, v86
	v_or_b32_e32 v92, 0x10000, v86
	s_delay_alu instid0(VALU_DEP_2) | instskip(NEXT) | instid1(VALU_DEP_2)
	v_cmp_eq_u32_e32 vcc_lo, 0, v91
	v_cndmask_b32_e32 v91, v92, v86, vcc_lo
; %bb.66:
	s_or_b32 exec_lo, exec_lo, s3
	v_and_b32_e32 v86, 0x7f800000, v87
	s_delay_alu instid0(VALU_DEP_1) | instskip(SKIP_1) | instid1(SALU_CYCLE_1)
	v_cmp_ne_u32_e32 vcc_lo, 0x7f800000, v86
                                        ; implicit-def: $vgpr86
	s_and_saveexec_b32 s3, vcc_lo
	s_xor_b32 s3, exec_lo, s3
; %bb.67:
	v_bfe_u32 v86, v87, 16, 1
	s_delay_alu instid0(VALU_DEP_1)
	v_add3_u32 v86, v87, v86, 0x7fff
                                        ; implicit-def: $vgpr87
; %bb.68:
	s_and_not1_saveexec_b32 s3, s3
; %bb.69:
	v_and_b32_e32 v86, 0xffff, v87
	v_or_b32_e32 v92, 0x10000, v87
	s_delay_alu instid0(VALU_DEP_2) | instskip(NEXT) | instid1(VALU_DEP_2)
	v_cmp_eq_u32_e32 vcc_lo, 0, v86
	v_cndmask_b32_e32 v86, v92, v87, vcc_lo
; %bb.70:
	s_or_b32 exec_lo, exec_lo, s3
	v_and_b32_e32 v87, 0x7f800000, v88
	s_delay_alu instid0(VALU_DEP_1) | instskip(SKIP_1) | instid1(SALU_CYCLE_1)
	v_cmp_ne_u32_e32 vcc_lo, 0x7f800000, v87
                                        ; implicit-def: $vgpr87
	s_and_saveexec_b32 s3, vcc_lo
	s_xor_b32 s3, exec_lo, s3
; %bb.71:
	v_bfe_u32 v87, v88, 16, 1
	s_delay_alu instid0(VALU_DEP_1)
	v_add3_u32 v87, v88, v87, 0x7fff
                                        ; implicit-def: $vgpr88
; %bb.72:
	s_and_not1_saveexec_b32 s3, s3
; %bb.73:
	v_and_b32_e32 v87, 0xffff, v88
	v_or_b32_e32 v92, 0x10000, v88
	s_delay_alu instid0(VALU_DEP_2) | instskip(NEXT) | instid1(VALU_DEP_2)
	v_cmp_eq_u32_e32 vcc_lo, 0, v87
	v_cndmask_b32_e32 v87, v92, v88, vcc_lo
; %bb.74:
	s_or_b32 exec_lo, exec_lo, s3
	v_and_b32_e32 v88, 0x7f800000, v89
	s_delay_alu instid0(VALU_DEP_1) | instskip(SKIP_1) | instid1(SALU_CYCLE_1)
	v_cmp_ne_u32_e32 vcc_lo, 0x7f800000, v88
                                        ; implicit-def: $vgpr88
	s_and_saveexec_b32 s3, vcc_lo
	s_xor_b32 s3, exec_lo, s3
; %bb.75:
	v_bfe_u32 v88, v89, 16, 1
	s_delay_alu instid0(VALU_DEP_1)
	v_add3_u32 v88, v89, v88, 0x7fff
                                        ; implicit-def: $vgpr89
; %bb.76:
	s_and_not1_saveexec_b32 s3, s3
; %bb.77:
	v_and_b32_e32 v88, 0xffff, v89
	v_or_b32_e32 v92, 0x10000, v89
	s_delay_alu instid0(VALU_DEP_2) | instskip(NEXT) | instid1(VALU_DEP_2)
	v_cmp_eq_u32_e32 vcc_lo, 0, v88
	v_cndmask_b32_e32 v88, v92, v89, vcc_lo
; %bb.78:
	s_or_b32 exec_lo, exec_lo, s3
	s_delay_alu instid0(VALU_DEP_1)
	v_perm_b32 v89, v88, v87, 0x7060302
	v_perm_b32 v88, v86, v91, 0x7060302
	;; [unrolled: 1-line block ×4, first 2 shown]
	v_lshl_or_b32 v90, v74, 11, v85
	ds_store_b128 v77, v[86:89] offset:1024
	s_waitcnt lgkmcnt(0)
	s_barrier
	buffer_gl0_inv
	ds_load_b128 v[91:94], v90
	ds_load_b128 v[95:98], v90 offset:16
	v_lshlrev_b32_e32 v87, 2, v83
	s_delay_alu instid0(VALU_DEP_1)
	v_or_b32_e32 v88, 1, v87
	v_cmp_eq_u32_e32 vcc_lo, 1, v87
	v_cmp_eq_u32_e64 s4, 2, v87
	v_cmp_eq_u32_e64 s7, 3, v87
	;; [unrolled: 1-line block ×6, first 2 shown]
	v_or_b32_e32 v86, 2, v87
	v_cmp_eq_u32_e64 s10, 5, v87
	v_cmp_eq_u32_e64 s11, 4, v88
	;; [unrolled: 1-line block ×4, first 2 shown]
	s_waitcnt lgkmcnt(1)
	v_lshrrev_b32_e32 v74, 16, v91
	s_waitcnt lgkmcnt(0)
	v_lshrrev_b32_e32 v103, 16, v95
	v_lshrrev_b32_e32 v80, 16, v94
	;; [unrolled: 1-line block ×4, first 2 shown]
	v_cndmask_b32_e32 v89, v91, v74, vcc_lo
	v_cndmask_b32_e32 v99, v95, v103, vcc_lo
	v_cndmask_b32_e64 v100, v91, v74, s3
	v_lshrrev_b32_e32 v79, 16, v93
	v_lshrrev_b32_e32 v108, 16, v97
	v_cndmask_b32_e64 v89, v89, v92, s4
	v_cndmask_b32_e64 v99, v99, v96, s4
	;; [unrolled: 1-line block ×4, first 2 shown]
	v_cmp_eq_u32_e64 s5, 1, v86
	v_cndmask_b32_e64 v89, v89, v78, s7
	v_cndmask_b32_e64 v99, v99, v107, s7
	;; [unrolled: 1-line block ×4, first 2 shown]
	v_lshrrev_b32_e32 v109, 16, v98
	v_cndmask_b32_e64 v89, v89, v93, s9
	v_cndmask_b32_e64 v99, v99, v97, s9
	;; [unrolled: 1-line block ×8, first 2 shown]
	v_cmp_eq_u32_e64 s15, 7, v87
	v_cmp_eq_u32_e64 s16, 6, v88
	v_cndmask_b32_e64 v89, v89, v94, s12
	v_cndmask_b32_e64 v99, v99, v98, s12
	v_cmp_eq_u32_e64 s17, 2, v86
	v_cndmask_b32_e64 v101, v101, v97, s11
	v_cndmask_b32_e64 v100, v100, v94, s16
	;; [unrolled: 1-line block ×6, first 2 shown]
	v_cmp_eq_u32_e64 s18, 7, v88
	v_cmp_eq_u32_e64 s19, 3, v86
	;; [unrolled: 1-line block ×4, first 2 shown]
	v_cndmask_b32_e64 v99, v99, v96, s17
	v_cndmask_b32_e64 v112, v100, v80, s18
	;; [unrolled: 1-line block ×4, first 2 shown]
	v_or_b32_e32 v89, 3, v87
	v_cndmask_b32_e64 v105, v99, v107, s19
	v_cmp_eq_u32_e64 s24, 6, v86
	v_cndmask_b32_e64 v113, v100, v98, s16
	v_cndmask_b32_e64 v104, v101, v93, s20
	ds_load_b128 v[99:102], v90 offset:1024
	v_cmp_eq_u32_e64 s21, 1, v89
	v_cmp_eq_u32_e64 s23, 2, v89
	;; [unrolled: 1-line block ×3, first 2 shown]
	v_cndmask_b32_e64 v114, v104, v79, s22
	v_cmp_eq_u32_e64 s26, 4, v89
	v_cndmask_b32_e64 v74, v91, v74, s21
	v_cndmask_b32_e64 v91, v105, v97, s20
	;; [unrolled: 1-line block ×3, first 2 shown]
	ds_load_b128 v[103:106], v90 offset:1040
	v_cmp_eq_u32_e64 s28, 5, v89
	v_cndmask_b32_e64 v74, v74, v92, s23
	v_cndmask_b32_e64 v91, v91, v108, s22
	;; [unrolled: 1-line block ×3, first 2 shown]
	v_cmp_eq_u32_e64 s29, 6, v89
	v_cndmask_b32_e64 v95, v113, v109, s18
	v_cndmask_b32_e64 v74, v74, v78, s25
	;; [unrolled: 1-line block ×5, first 2 shown]
	s_waitcnt lgkmcnt(1)
	v_lshrrev_b32_e32 v96, 16, v99
	v_cndmask_b32_e64 v74, v74, v93, s26
	v_lshrrev_b32_e32 v107, 16, v100
	v_cndmask_b32_e64 v92, v92, v97, s26
	v_cmp_eq_u32_e64 s27, 7, v86
	v_cndmask_b32_e32 v93, v99, v96, vcc_lo
	v_cndmask_b32_e64 v74, v74, v79, s28
	s_delay_alu instid0(VALU_DEP_4)
	v_cndmask_b32_e64 v79, v92, v108, s28
	s_waitcnt lgkmcnt(0)
	v_lshrrev_b32_e32 v97, 16, v103
	v_cndmask_b32_e64 v92, v93, v100, s4
	v_cndmask_b32_e64 v93, v99, v96, s3
	;; [unrolled: 1-line block ×4, first 2 shown]
	v_cndmask_b32_e32 v108, v103, v97, vcc_lo
	v_cndmask_b32_e64 v92, v92, v107, s7
	v_cndmask_b32_e64 v93, v93, v100, s6
	v_lshrrev_b32_e32 v98, 16, v104
	v_cmp_eq_u32_e32 vcc_lo, 7, v89
	v_cndmask_b32_e64 v94, v108, v104, s4
	v_cndmask_b32_e64 v92, v92, v101, s9
	v_lshrrev_b32_e32 v108, 16, v101
	v_cndmask_b32_e64 v93, v93, v107, s8
	v_cndmask_b32_e32 v74, v74, v80, vcc_lo
	v_cndmask_b32_e64 v94, v94, v98, s7
	v_cndmask_b32_e32 v79, v79, v109, vcc_lo
	v_cndmask_b32_e64 v92, v92, v108, s10
	v_cndmask_b32_e64 v78, v78, v80, s27
	;; [unrolled: 1-line block ×4, first 2 shown]
	v_perm_b32 v94, v79, v74, 0x5040100
	v_cndmask_b32_e64 v79, v92, v102, s12
	v_perm_b32 v92, v95, v112, 0x5040100
	v_cndmask_b32_e64 v95, v99, v96, s5
	v_cndmask_b32_e64 v96, v99, v96, s21
	;; [unrolled: 1-line block ×16, first 2 shown]
	v_lshrrev_b32_e32 v109, 16, v105
	v_cndmask_b32_e64 v95, v95, v101, s20
	v_cndmask_b32_e64 v96, v96, v101, s26
	;; [unrolled: 1-line block ×6, first 2 shown]
	v_lshrrev_b32_e32 v80, 16, v102
	v_cndmask_b32_e64 v113, v93, v109, s10
	v_cndmask_b32_e64 v95, v95, v108, s22
	;; [unrolled: 1-line block ×6, first 2 shown]
	v_perm_b32 v93, v91, v78, 0x5040100
	v_cndmask_b32_e64 v74, v74, v102, s16
	v_cndmask_b32_e64 v78, v79, v80, s15
	;; [unrolled: 1-line block ×3, first 2 shown]
	v_lshrrev_b32_e32 v91, 16, v106
	v_cndmask_b32_e64 v95, v95, v102, s24
	v_cndmask_b32_e64 v96, v96, v102, s29
	;; [unrolled: 1-line block ×7, first 2 shown]
	v_cndmask_b32_e32 v80, v96, v80, vcc_lo
	v_cndmask_b32_e32 v96, v98, v91, vcc_lo
	v_cndmask_b32_e64 v99, v99, v91, s27
	v_cndmask_b32_e64 v100, v97, v91, s18
	;; [unrolled: 1-line block ×3, first 2 shown]
	v_perm_b32 v91, v111, v110, 0x5040100
	v_perm_b32 v98, v96, v80, 0x5040100
	;; [unrolled: 1-line block ×5, first 2 shown]
	s_mul_i32 s8, s35, 12
	s_mov_b32 s3, exec_lo
	ds_store_b128 v77, v[91:94]
	ds_store_b128 v77, v[95:98] offset:1024
	v_cmpx_gt_u32_e32 12, v0
	s_cbranch_execz .LBB569_80
; %bb.79:
	s_mul_i32 s4, s8, s30
	s_delay_alu instid0(SALU_CYCLE_1) | instskip(SKIP_1) | instid1(VALU_DEP_1)
	v_add3_u32 v77, s4, s31, v73
	s_load_b128 s[4:7], s[0:1], 0x58
	v_mad_u64_u32 v[73:74], null, v77, s34, s[14:15]
	s_delay_alu instid0(VALU_DEP_1) | instskip(NEXT) | instid1(VALU_DEP_1)
	v_ashrrev_i32_e32 v74, 31, v73
	v_lshlrev_b64 v[73:74], 2, v[73:74]
	s_waitcnt lgkmcnt(0)
	s_delay_alu instid0(VALU_DEP_1) | instskip(NEXT) | instid1(VALU_DEP_2)
	v_add_co_u32 v77, vcc_lo, s6, v73
	v_add_co_ci_u32_e32 v78, vcc_lo, s7, v74, vcc_lo
	v_add_co_u32 v73, vcc_lo, s4, v73
	v_add_co_ci_u32_e32 v74, vcc_lo, s5, v74, vcc_lo
	global_store_b32 v[77:78], v75, off
	global_store_b32 v[73:74], v76, off
.LBB569_80:
	s_or_b32 exec_lo, exec_lo, s3
	s_waitcnt lgkmcnt(0)
	s_waitcnt_vscnt null, 0x0
	s_barrier
	buffer_gl0_inv
	ds_load_b128 v[91:94], v85
	ds_load_b128 v[95:98], v85 offset:16
	ds_load_b128 v[103:106], v85 offset:1040
	;; [unrolled: 1-line block ×3, first 2 shown]
	v_mov_b32_e32 v73, 0
	ds_load_b128 v[111:114], v85 offset:2064
	ds_load_b128 v[107:110], v85 offset:2048
	;; [unrolled: 1-line block ×6, first 2 shown]
	v_mov_b32_e32 v74, v73
	v_mov_b32_e32 v75, v73
	;; [unrolled: 1-line block ×7, first 2 shown]
	s_waitcnt lgkmcnt(8)
	s_delay_alu instid0(VALU_DEP_1)
	v_wmma_f32_16x16x16_bf16 v[73:80], v[65:72], v[91:98], v[73:80]
	ds_load_b128 v[69:72], v85 offset:5136
	ds_load_b128 v[65:68], v85 offset:5120
	;; [unrolled: 1-line block ×4, first 2 shown]
	s_waitcnt lgkmcnt(10)
	v_wmma_f32_16x16x16_bf16 v[73:80], v[57:64], v[99:106], v[73:80]
	s_waitcnt lgkmcnt(8)
	s_delay_alu instid0(VALU_DEP_1)
	v_wmma_f32_16x16x16_bf16 v[73:80], v[57:64], v[107:114], v[73:80]
	ds_load_b128 v[61:64], v85 offset:7184
	ds_load_b128 v[57:60], v85 offset:7168
	ds_load_b128 v[103:106], v85 offset:8208
	ds_load_b128 v[99:102], v85 offset:8192
	s_waitcnt lgkmcnt(10)
	v_wmma_f32_16x16x16_bf16 v[73:80], v[49:56], v[115:122], v[73:80]
	s_waitcnt lgkmcnt(8)
	s_delay_alu instid0(VALU_DEP_1)
	v_wmma_f32_16x16x16_bf16 v[73:80], v[49:56], v[123:130], v[73:80]
	ds_load_b128 v[53:56], v85 offset:9232
	ds_load_b128 v[49:52], v85 offset:9216
	s_waitcnt lgkmcnt(8)
	v_wmma_f32_16x16x16_bf16 v[73:80], v[41:48], v[65:72], v[73:80]
	ds_load_b128 v[69:72], v85 offset:10256
	ds_load_b128 v[65:68], v85 offset:10240
	s_waitcnt lgkmcnt(8)
	;; [unrolled: 4-line block ×3, first 2 shown]
	v_wmma_f32_16x16x16_bf16 v[73:80], v[9:16], v[57:64], v[73:80]
	s_waitcnt lgkmcnt(6)
	s_delay_alu instid0(VALU_DEP_1)
	v_wmma_f32_16x16x16_bf16 v[73:80], v[9:16], v[99:106], v[73:80]
	ds_load_b128 v[13:16], v85 offset:12304
	ds_load_b128 v[9:12], v85 offset:12288
	s_waitcnt lgkmcnt(6)
	v_wmma_f32_16x16x16_bf16 v[73:80], v[1:8], v[49:56], v[73:80]
	ds_load_b128 v[53:56], v85 offset:13328
	ds_load_b128 v[49:52], v85 offset:13312
	s_waitcnt lgkmcnt(6)
	;; [unrolled: 4-line block ×4, first 2 shown]
	v_wmma_f32_16x16x16_bf16 v[73:80], v[33:40], v[9:16], v[73:80]
	s_waitcnt lgkmcnt(4)
	s_delay_alu instid0(VALU_DEP_1) | instskip(SKIP_1) | instid1(VALU_DEP_1)
	v_wmma_f32_16x16x16_bf16 v[73:80], v[25:32], v[49:56], v[73:80]
	s_waitcnt lgkmcnt(2)
	v_wmma_f32_16x16x16_bf16 v[73:80], v[25:32], v[1:8], v[73:80]
	s_waitcnt lgkmcnt(0)
	s_delay_alu instid0(VALU_DEP_1) | instskip(NEXT) | instid1(VALU_DEP_1)
	v_wmma_f32_16x16x16_bf16 v[73:80], v[17:24], v[41:48], v[73:80]
	v_and_b32_e32 v1, 0x7f800000, v73
	s_delay_alu instid0(VALU_DEP_1) | instskip(SKIP_1) | instid1(SALU_CYCLE_1)
	v_cmp_ne_u32_e32 vcc_lo, 0x7f800000, v1
                                        ; implicit-def: $vgpr1
	s_and_saveexec_b32 s3, vcc_lo
	s_xor_b32 s3, exec_lo, s3
; %bb.81:
	v_bfe_u32 v1, v73, 16, 1
	s_delay_alu instid0(VALU_DEP_1)
	v_add3_u32 v1, v73, v1, 0x7fff
; %bb.82:
	s_and_not1_saveexec_b32 s3, s3
; %bb.83:
	v_and_b32_e32 v1, 0xffff, v73
	v_or_b32_e32 v2, 0x10000, v73
	s_delay_alu instid0(VALU_DEP_2) | instskip(NEXT) | instid1(VALU_DEP_2)
	v_cmp_eq_u32_e32 vcc_lo, 0, v1
	v_cndmask_b32_e32 v1, v2, v73, vcc_lo
; %bb.84:
	s_or_b32 exec_lo, exec_lo, s3
	v_and_b32_e32 v2, 0x7f800000, v74
	s_delay_alu instid0(VALU_DEP_1) | instskip(SKIP_1) | instid1(SALU_CYCLE_1)
	v_cmp_ne_u32_e32 vcc_lo, 0x7f800000, v2
                                        ; implicit-def: $vgpr2
	s_and_saveexec_b32 s3, vcc_lo
	s_xor_b32 s3, exec_lo, s3
; %bb.85:
	v_bfe_u32 v2, v74, 16, 1
	s_delay_alu instid0(VALU_DEP_1)
	v_add3_u32 v2, v74, v2, 0x7fff
; %bb.86:
	s_and_not1_saveexec_b32 s3, s3
; %bb.87:
	v_and_b32_e32 v2, 0xffff, v74
	v_or_b32_e32 v3, 0x10000, v74
	s_delay_alu instid0(VALU_DEP_2) | instskip(NEXT) | instid1(VALU_DEP_2)
	v_cmp_eq_u32_e32 vcc_lo, 0, v2
	v_cndmask_b32_e32 v2, v3, v74, vcc_lo
; %bb.88:
	s_or_b32 exec_lo, exec_lo, s3
	v_and_b32_e32 v3, 0x7f800000, v75
	s_delay_alu instid0(VALU_DEP_1) | instskip(SKIP_1) | instid1(SALU_CYCLE_1)
	v_cmp_ne_u32_e32 vcc_lo, 0x7f800000, v3
                                        ; implicit-def: $vgpr3
	s_and_saveexec_b32 s3, vcc_lo
	s_xor_b32 s3, exec_lo, s3
; %bb.89:
	v_bfe_u32 v3, v75, 16, 1
	s_delay_alu instid0(VALU_DEP_1)
	v_add3_u32 v3, v75, v3, 0x7fff
; %bb.90:
	s_and_not1_saveexec_b32 s3, s3
; %bb.91:
	v_and_b32_e32 v3, 0xffff, v75
	v_or_b32_e32 v4, 0x10000, v75
	s_delay_alu instid0(VALU_DEP_2) | instskip(NEXT) | instid1(VALU_DEP_2)
	v_cmp_eq_u32_e32 vcc_lo, 0, v3
	v_cndmask_b32_e32 v3, v4, v75, vcc_lo
; %bb.92:
	s_or_b32 exec_lo, exec_lo, s3
	v_and_b32_e32 v4, 0x7f800000, v76
	s_delay_alu instid0(VALU_DEP_1) | instskip(SKIP_1) | instid1(SALU_CYCLE_1)
	v_cmp_ne_u32_e32 vcc_lo, 0x7f800000, v4
                                        ; implicit-def: $vgpr4
	s_and_saveexec_b32 s3, vcc_lo
	s_xor_b32 s3, exec_lo, s3
; %bb.93:
	v_bfe_u32 v4, v76, 16, 1
	s_delay_alu instid0(VALU_DEP_1)
	v_add3_u32 v4, v76, v4, 0x7fff
; %bb.94:
	s_and_not1_saveexec_b32 s3, s3
; %bb.95:
	v_and_b32_e32 v4, 0xffff, v76
	v_or_b32_e32 v5, 0x10000, v76
	s_delay_alu instid0(VALU_DEP_2) | instskip(NEXT) | instid1(VALU_DEP_2)
	v_cmp_eq_u32_e32 vcc_lo, 0, v4
	v_cndmask_b32_e32 v4, v5, v76, vcc_lo
; %bb.96:
	s_or_b32 exec_lo, exec_lo, s3
	v_and_b32_e32 v5, 0x7f800000, v77
	s_delay_alu instid0(VALU_DEP_1) | instskip(SKIP_1) | instid1(SALU_CYCLE_1)
	v_cmp_ne_u32_e32 vcc_lo, 0x7f800000, v5
                                        ; implicit-def: $vgpr5
	s_and_saveexec_b32 s3, vcc_lo
	s_xor_b32 s3, exec_lo, s3
; %bb.97:
	v_bfe_u32 v5, v77, 16, 1
	s_delay_alu instid0(VALU_DEP_1)
	v_add3_u32 v5, v77, v5, 0x7fff
; %bb.98:
	s_and_not1_saveexec_b32 s3, s3
; %bb.99:
	v_and_b32_e32 v5, 0xffff, v77
	v_or_b32_e32 v6, 0x10000, v77
	s_delay_alu instid0(VALU_DEP_2) | instskip(NEXT) | instid1(VALU_DEP_2)
	v_cmp_eq_u32_e32 vcc_lo, 0, v5
	v_cndmask_b32_e32 v5, v6, v77, vcc_lo
; %bb.100:
	s_or_b32 exec_lo, exec_lo, s3
	v_and_b32_e32 v6, 0x7f800000, v78
	s_delay_alu instid0(VALU_DEP_1) | instskip(SKIP_1) | instid1(SALU_CYCLE_1)
	v_cmp_ne_u32_e32 vcc_lo, 0x7f800000, v6
                                        ; implicit-def: $vgpr6
	s_and_saveexec_b32 s3, vcc_lo
	s_xor_b32 s3, exec_lo, s3
; %bb.101:
	v_bfe_u32 v6, v78, 16, 1
	s_delay_alu instid0(VALU_DEP_1)
	v_add3_u32 v6, v78, v6, 0x7fff
; %bb.102:
	s_and_not1_saveexec_b32 s3, s3
; %bb.103:
	v_and_b32_e32 v6, 0xffff, v78
	v_or_b32_e32 v7, 0x10000, v78
	s_delay_alu instid0(VALU_DEP_2) | instskip(NEXT) | instid1(VALU_DEP_2)
	v_cmp_eq_u32_e32 vcc_lo, 0, v6
	v_cndmask_b32_e32 v6, v7, v78, vcc_lo
; %bb.104:
	s_or_b32 exec_lo, exec_lo, s3
	v_and_b32_e32 v7, 0x7f800000, v79
	s_delay_alu instid0(VALU_DEP_1) | instskip(SKIP_1) | instid1(SALU_CYCLE_1)
	v_cmp_ne_u32_e32 vcc_lo, 0x7f800000, v7
                                        ; implicit-def: $vgpr7
	s_and_saveexec_b32 s3, vcc_lo
	s_xor_b32 s3, exec_lo, s3
; %bb.105:
	v_bfe_u32 v7, v79, 16, 1
	s_delay_alu instid0(VALU_DEP_1)
	v_add3_u32 v7, v79, v7, 0x7fff
; %bb.106:
	s_and_not1_saveexec_b32 s3, s3
; %bb.107:
	v_and_b32_e32 v7, 0xffff, v79
	v_or_b32_e32 v8, 0x10000, v79
	s_delay_alu instid0(VALU_DEP_2) | instskip(NEXT) | instid1(VALU_DEP_2)
	v_cmp_eq_u32_e32 vcc_lo, 0, v7
	v_cndmask_b32_e32 v7, v8, v79, vcc_lo
; %bb.108:
	s_or_b32 exec_lo, exec_lo, s3
	v_and_b32_e32 v8, 0x7f800000, v80
	s_delay_alu instid0(VALU_DEP_1) | instskip(SKIP_1) | instid1(SALU_CYCLE_1)
	v_cmp_ne_u32_e32 vcc_lo, 0x7f800000, v8
                                        ; implicit-def: $vgpr8
	s_and_saveexec_b32 s3, vcc_lo
	s_xor_b32 s3, exec_lo, s3
; %bb.109:
	v_bfe_u32 v8, v80, 16, 1
	s_delay_alu instid0(VALU_DEP_1)
	v_add3_u32 v8, v80, v8, 0x7fff
                                        ; implicit-def: $vgpr73_vgpr74_vgpr75_vgpr76_vgpr77_vgpr78_vgpr79_vgpr80
; %bb.110:
	s_and_not1_saveexec_b32 s3, s3
; %bb.111:
	v_and_b32_e32 v8, 0xffff, v80
	v_or_b32_e32 v9, 0x10000, v80
	s_delay_alu instid0(VALU_DEP_2) | instskip(NEXT) | instid1(VALU_DEP_2)
	v_cmp_eq_u32_e32 vcc_lo, 0, v8
	v_cndmask_b32_e32 v8, v9, v80, vcc_lo
; %bb.112:
	s_or_b32 exec_lo, exec_lo, s3
	s_delay_alu instid0(VALU_DEP_1)
	v_perm_b32 v7, v8, v7, 0x7060302
	v_perm_b32 v6, v6, v5, 0x7060302
	;; [unrolled: 1-line block ×4, first 2 shown]
	v_lshl_or_b32 v9, v83, 4, v90
	s_barrier
	buffer_gl0_inv
	v_cmp_eq_u32_e32 vcc_lo, 1, v87
	ds_store_b128 v9, v[4:7]
	s_waitcnt lgkmcnt(0)
	s_barrier
	buffer_gl0_inv
	ds_load_b128 v[1:4], v90
	ds_load_b128 v[5:8], v90 offset:16
	v_cmp_eq_u32_e64 s4, 2, v87
	v_cmp_eq_u32_e64 s3, 1, v88
	;; [unrolled: 1-line block ×5, first 2 shown]
	s_waitcnt lgkmcnt(1)
	v_lshrrev_b32_e32 v10, 16, v1
	s_waitcnt lgkmcnt(0)
	v_lshrrev_b32_e32 v14, 16, v5
	v_lshrrev_b32_e32 v15, 16, v6
	;; [unrolled: 1-line block ×4, first 2 shown]
	v_cndmask_b32_e64 v20, v1, v10, s3
	v_cndmask_b32_e32 v19, v5, v14, vcc_lo
	v_cndmask_b32_e64 v21, v5, v14, s3
	v_lshrrev_b32_e32 v16, 16, v7
	v_cmp_eq_u32_e64 s3, 1, v86
	v_lshrrev_b32_e32 v13, 16, v4
	v_cndmask_b32_e64 v19, v19, v6, s4
	v_lshrrev_b32_e32 v17, 16, v8
	s_delay_alu instid0(VALU_DEP_4) | instskip(SKIP_1) | instid1(VALU_DEP_4)
	v_cndmask_b32_e64 v22, v1, v10, s3
	v_cndmask_b32_e64 v23, v5, v14, s3
	;; [unrolled: 1-line block ×3, first 2 shown]
	v_cndmask_b32_e32 v18, v1, v10, vcc_lo
	v_cmp_eq_u32_e32 vcc_lo, 2, v88
	v_cmp_eq_u32_e64 s3, 2, v89
	v_cndmask_b32_e64 v22, v22, v2, s7
	v_cndmask_b32_e32 v20, v20, v2, vcc_lo
	v_cndmask_b32_e32 v21, v21, v6, vcc_lo
	v_cmp_eq_u32_e32 vcc_lo, 4, v87
	v_cndmask_b32_e32 v19, v19, v7, vcc_lo
	v_cndmask_b32_e64 v18, v18, v2, s4
	v_cmp_eq_u32_e64 s4, 3, v88
	s_delay_alu instid0(VALU_DEP_2) | instskip(NEXT) | instid1(VALU_DEP_2)
	v_cndmask_b32_e64 v18, v18, v11, s5
	v_cndmask_b32_e64 v21, v21, v15, s4
	v_cmp_eq_u32_e64 s5, 5, v87
	s_delay_alu instid0(VALU_DEP_3) | instskip(SKIP_1) | instid1(VALU_DEP_3)
	v_cndmask_b32_e32 v18, v18, v3, vcc_lo
	v_cmp_eq_u32_e32 vcc_lo, 4, v88
	v_cndmask_b32_e64 v19, v19, v16, s5
	s_delay_alu instid0(VALU_DEP_3) | instskip(SKIP_4) | instid1(VALU_DEP_3)
	v_cndmask_b32_e64 v18, v18, v12, s5
	v_cndmask_b32_e32 v21, v21, v7, vcc_lo
	v_cndmask_b32_e64 v20, v20, v11, s4
	v_cmp_eq_u32_e64 s4, 5, v88
	v_cmp_eq_u32_e64 s5, 6, v87
	v_cndmask_b32_e32 v20, v20, v3, vcc_lo
	s_delay_alu instid0(VALU_DEP_3) | instskip(SKIP_1) | instid1(VALU_DEP_4)
	v_cndmask_b32_e64 v21, v21, v16, s4
	v_cmp_eq_u32_e32 vcc_lo, 6, v88
	v_cndmask_b32_e64 v18, v18, v4, s5
	v_cndmask_b32_e64 v19, v19, v8, s5
	;; [unrolled: 1-line block ×3, first 2 shown]
	v_cmp_eq_u32_e64 s4, 1, v89
	v_cmp_eq_u32_e64 s5, 7, v87
	s_delay_alu instid0(VALU_DEP_3) | instskip(NEXT) | instid1(VALU_DEP_3)
	v_cndmask_b32_e32 v20, v20, v4, vcc_lo
	v_cndmask_b32_e64 v1, v1, v10, s4
	v_cndmask_b32_e64 v5, v5, v14, s4
	v_cmp_eq_u32_e64 s4, 3, v86
	v_cndmask_b32_e64 v14, v23, v6, s7
	v_cmp_eq_u32_e64 s7, 3, v89
	v_cndmask_b32_e64 v1, v1, v2, s3
	v_cndmask_b32_e64 v2, v5, v6, s3
	;; [unrolled: 1-line block ×3, first 2 shown]
	v_cmp_eq_u32_e64 s3, 4, v86
	v_cndmask_b32_e64 v6, v14, v15, s4
	v_cndmask_b32_e64 v1, v1, v11, s7
	v_cmp_eq_u32_e64 s4, 4, v89
	v_cndmask_b32_e64 v2, v2, v15, s7
	v_cndmask_b32_e64 v5, v10, v3, s3
	v_cmp_eq_u32_e64 s7, 5, v86
	v_cndmask_b32_e64 v6, v6, v7, s3
	v_cndmask_b32_e64 v1, v1, v3, s4
	v_cndmask_b32_e64 v2, v2, v7, s4
	v_cmp_eq_u32_e64 s3, 5, v89
	v_cndmask_b32_e64 v5, v5, v12, s7
	v_cmp_eq_u32_e64 s4, 6, v86
	;; [unrolled: 2-line block ×3, first 2 shown]
	v_cndmask_b32_e64 v1, v1, v12, s3
	v_cndmask_b32_e64 v2, v2, v16, s3
	;; [unrolled: 1-line block ×4, first 2 shown]
	v_cmp_eq_u32_e64 s3, 7, v89
	v_cndmask_b32_e64 v1, v1, v4, s7
	v_cndmask_b32_e64 v2, v2, v8, s7
	v_cmp_eq_u32_e64 s4, 7, v86
	v_cndmask_b32_e32 v4, v21, v8, vcc_lo
	v_cndmask_b32_e64 v18, v18, v13, s5
	v_cndmask_b32_e64 v20, v20, v13, s6
	;; [unrolled: 1-line block ×8, first 2 shown]
	v_cmp_gt_u32_e32 vcc_lo, 32, v0
	v_perm_b32 v4, v2, v1, 0x5040100
	v_perm_b32 v3, v3, v5, 0x5040100
	;; [unrolled: 1-line block ×4, first 2 shown]
	s_and_b32 s2, vcc_lo, s2
	ds_store_b128 v9, v[1:4]
	s_waitcnt lgkmcnt(0)
	s_barrier
	buffer_gl0_inv
	s_and_saveexec_b32 s3, s2
	s_cbranch_execz .LBB569_2
; %bb.113:
	s_load_b64 s[0:1], s[0:1], 0x68
	v_lshlrev_b32_e32 v0, 10, v0
	s_lshl_b32 s4, s34, 6
	v_or_b32_e32 v3, s31, v83
	s_mul_i32 s2, s4, s30
	v_lshlrev_b32_e32 v1, 4, v84
	s_mul_i32 s2, s2, s8
	v_lshlrev_b32_e32 v2, 6, v83
	v_and_b32_e32 v0, 0x3800, v0
	s_ashr_i32 s3, s2, 31
	v_mul_lo_u32 v4, v3, s4
	s_lshl_b64 s[2:3], s[2:3], 1
	s_delay_alu instid0(VALU_DEP_2) | instskip(NEXT) | instid1(VALU_DEP_2)
	v_or3_b32 v16, v0, v1, v2
	v_ashrrev_i32_e32 v5, 31, v4
	ds_load_b128 v[0:3], v16
	s_waitcnt lgkmcnt(0)
	s_add_u32 s2, s0, s2
	s_addc_u32 s3, s1, s3
	s_lshl_b32 s0, s14, 6
	v_lshlrev_b64 v[5:6], 1, v[4:5]
	s_ashr_i32 s1, s0, 31
	s_delay_alu instid0(SALU_CYCLE_1) | instskip(NEXT) | instid1(SALU_CYCLE_1)
	s_lshl_b64 s[0:1], s[0:1], 1
	s_add_u32 s0, s2, s0
	s_addc_u32 s1, s3, s1
	s_lshl_b32 s2, s34, 7
	v_add_co_u32 v30, vcc_lo, s0, v81
	v_add_nc_u32_e32 v8, s2, v4
	v_add_co_ci_u32_e32 v31, vcc_lo, s1, v82, vcc_lo
	s_delay_alu instid0(VALU_DEP_3) | instskip(NEXT) | instid1(VALU_DEP_3)
	v_add_co_u32 v12, vcc_lo, v30, v5
	v_add_nc_u32_e32 v10, s2, v8
	v_ashrrev_i32_e32 v9, 31, v8
	s_delay_alu instid0(VALU_DEP_4)
	v_add_co_ci_u32_e32 v13, vcc_lo, v31, v6, vcc_lo
	ds_load_b128 v[4:7], v16 offset:128
	v_ashrrev_i32_e32 v11, 31, v10
	v_lshlrev_b64 v[8:9], 1, v[8:9]
	v_add_nc_u32_e32 v14, s2, v10
	global_store_b128 v[12:13], v[0:3], off
	v_lshlrev_b64 v[0:1], 1, v[10:11]
	v_ashrrev_i32_e32 v15, 31, v14
	v_add_co_u32 v22, vcc_lo, v30, v8
	v_add_nc_u32_e32 v20, s2, v14
	v_add_co_ci_u32_e32 v23, vcc_lo, v31, v9, vcc_lo
	v_add_co_u32 v26, vcc_lo, v30, v0
	v_lshlrev_b64 v[24:25], 1, v[14:15]
	v_add_co_ci_u32_e32 v27, vcc_lo, v31, v1, vcc_lo
	ds_load_b128 v[0:3], v16 offset:256
	ds_load_b128 v[8:11], v16 offset:384
	ds_load_b128 v[12:15], v16 offset:512
	ds_load_b128 v[16:19], v16 offset:640
	v_add_nc_u32_e32 v28, s2, v20
	v_ashrrev_i32_e32 v21, 31, v20
	v_add_co_u32 v24, vcc_lo, v30, v24
	v_add_co_ci_u32_e32 v25, vcc_lo, v31, v25, vcc_lo
	s_delay_alu instid0(VALU_DEP_4) | instskip(NEXT) | instid1(VALU_DEP_4)
	v_ashrrev_i32_e32 v29, 31, v28
	v_lshlrev_b64 v[20:21], 1, v[20:21]
	s_delay_alu instid0(VALU_DEP_2) | instskip(NEXT) | instid1(VALU_DEP_2)
	v_lshlrev_b64 v[28:29], 1, v[28:29]
	v_add_co_u32 v20, vcc_lo, v30, v20
	s_delay_alu instid0(VALU_DEP_3) | instskip(NEXT) | instid1(VALU_DEP_3)
	v_add_co_ci_u32_e32 v21, vcc_lo, v31, v21, vcc_lo
	v_add_co_u32 v28, vcc_lo, v30, v28
	s_delay_alu instid0(VALU_DEP_4)
	v_add_co_ci_u32_e32 v29, vcc_lo, v31, v29, vcc_lo
	s_waitcnt lgkmcnt(4)
	global_store_b128 v[22:23], v[4:7], off
	s_waitcnt lgkmcnt(3)
	global_store_b128 v[26:27], v[0:3], off
	;; [unrolled: 2-line block ×5, first 2 shown]
	s_nop 0
	s_sendmsg sendmsg(MSG_DEALLOC_VGPRS)
	s_endpgm
	.section	.rodata,"a",@progbits
	.p2align	6, 0x0
	.amdhsa_kernel _Z39paged_attention_ll4mi_QKV_mfma16_kernelI14__hip_bfloat16S0_LN4vllm18Fp8KVCacheDataTypeE0ES0_Li32ELi64ELi256ELb0ELi12EL8MFMAType0EEvPKT_PKT0_S9_ifPKiSB_SB_iPKfiiiPfSE_PS4_PT2_iSD_SD_
		.amdhsa_group_segment_fixed_size 17472
		.amdhsa_private_segment_fixed_size 0
		.amdhsa_kernarg_size 400
		.amdhsa_user_sgpr_count 13
		.amdhsa_user_sgpr_dispatch_ptr 0
		.amdhsa_user_sgpr_queue_ptr 0
		.amdhsa_user_sgpr_kernarg_segment_ptr 1
		.amdhsa_user_sgpr_dispatch_id 0
		.amdhsa_user_sgpr_private_segment_size 0
		.amdhsa_wavefront_size32 1
		.amdhsa_uses_dynamic_stack 0
		.amdhsa_enable_private_segment 0
		.amdhsa_system_sgpr_workgroup_id_x 1
		.amdhsa_system_sgpr_workgroup_id_y 1
		.amdhsa_system_sgpr_workgroup_id_z 1
		.amdhsa_system_sgpr_workgroup_info 0
		.amdhsa_system_vgpr_workitem_id 0
		.amdhsa_next_free_vgpr 142
		.amdhsa_next_free_sgpr 38
		.amdhsa_reserve_vcc 1
		.amdhsa_float_round_mode_32 0
		.amdhsa_float_round_mode_16_64 0
		.amdhsa_float_denorm_mode_32 3
		.amdhsa_float_denorm_mode_16_64 3
		.amdhsa_dx10_clamp 1
		.amdhsa_ieee_mode 1
		.amdhsa_fp16_overflow 0
		.amdhsa_workgroup_processor_mode 1
		.amdhsa_memory_ordered 1
		.amdhsa_forward_progress 0
		.amdhsa_shared_vgpr_count 0
		.amdhsa_exception_fp_ieee_invalid_op 0
		.amdhsa_exception_fp_denorm_src 0
		.amdhsa_exception_fp_ieee_div_zero 0
		.amdhsa_exception_fp_ieee_overflow 0
		.amdhsa_exception_fp_ieee_underflow 0
		.amdhsa_exception_fp_ieee_inexact 0
		.amdhsa_exception_int_div_zero 0
	.end_amdhsa_kernel
	.section	.text._Z39paged_attention_ll4mi_QKV_mfma16_kernelI14__hip_bfloat16S0_LN4vllm18Fp8KVCacheDataTypeE0ES0_Li32ELi64ELi256ELb0ELi12EL8MFMAType0EEvPKT_PKT0_S9_ifPKiSB_SB_iPKfiiiPfSE_PS4_PT2_iSD_SD_,"axG",@progbits,_Z39paged_attention_ll4mi_QKV_mfma16_kernelI14__hip_bfloat16S0_LN4vllm18Fp8KVCacheDataTypeE0ES0_Li32ELi64ELi256ELb0ELi12EL8MFMAType0EEvPKT_PKT0_S9_ifPKiSB_SB_iPKfiiiPfSE_PS4_PT2_iSD_SD_,comdat
.Lfunc_end569:
	.size	_Z39paged_attention_ll4mi_QKV_mfma16_kernelI14__hip_bfloat16S0_LN4vllm18Fp8KVCacheDataTypeE0ES0_Li32ELi64ELi256ELb0ELi12EL8MFMAType0EEvPKT_PKT0_S9_ifPKiSB_SB_iPKfiiiPfSE_PS4_PT2_iSD_SD_, .Lfunc_end569-_Z39paged_attention_ll4mi_QKV_mfma16_kernelI14__hip_bfloat16S0_LN4vllm18Fp8KVCacheDataTypeE0ES0_Li32ELi64ELi256ELb0ELi12EL8MFMAType0EEvPKT_PKT0_S9_ifPKiSB_SB_iPKfiiiPfSE_PS4_PT2_iSD_SD_
                                        ; -- End function
	.section	.AMDGPU.csdata,"",@progbits
; Kernel info:
; codeLenInByte = 9492
; NumSgprs: 40
; NumVgprs: 142
; ScratchSize: 0
; MemoryBound: 0
; FloatMode: 240
; IeeeMode: 1
; LDSByteSize: 17472 bytes/workgroup (compile time only)
; SGPRBlocks: 4
; VGPRBlocks: 17
; NumSGPRsForWavesPerEU: 40
; NumVGPRsForWavesPerEU: 142
; Occupancy: 10
; WaveLimiterHint : 1
; COMPUTE_PGM_RSRC2:SCRATCH_EN: 0
; COMPUTE_PGM_RSRC2:USER_SGPR: 13
; COMPUTE_PGM_RSRC2:TRAP_HANDLER: 0
; COMPUTE_PGM_RSRC2:TGID_X_EN: 1
; COMPUTE_PGM_RSRC2:TGID_Y_EN: 1
; COMPUTE_PGM_RSRC2:TGID_Z_EN: 1
; COMPUTE_PGM_RSRC2:TIDIG_COMP_CNT: 0
	.section	.text._Z39paged_attention_ll4mi_QKV_mfma16_kernelI14__hip_bfloat16S0_LN4vllm18Fp8KVCacheDataTypeE0ES0_Li32ELi64ELi256ELb0ELi13EL8MFMAType0EEvPKT_PKT0_S9_ifPKiSB_SB_iPKfiiiPfSE_PS4_PT2_iSD_SD_,"axG",@progbits,_Z39paged_attention_ll4mi_QKV_mfma16_kernelI14__hip_bfloat16S0_LN4vllm18Fp8KVCacheDataTypeE0ES0_Li32ELi64ELi256ELb0ELi13EL8MFMAType0EEvPKT_PKT0_S9_ifPKiSB_SB_iPKfiiiPfSE_PS4_PT2_iSD_SD_,comdat
	.protected	_Z39paged_attention_ll4mi_QKV_mfma16_kernelI14__hip_bfloat16S0_LN4vllm18Fp8KVCacheDataTypeE0ES0_Li32ELi64ELi256ELb0ELi13EL8MFMAType0EEvPKT_PKT0_S9_ifPKiSB_SB_iPKfiiiPfSE_PS4_PT2_iSD_SD_ ; -- Begin function _Z39paged_attention_ll4mi_QKV_mfma16_kernelI14__hip_bfloat16S0_LN4vllm18Fp8KVCacheDataTypeE0ES0_Li32ELi64ELi256ELb0ELi13EL8MFMAType0EEvPKT_PKT0_S9_ifPKiSB_SB_iPKfiiiPfSE_PS4_PT2_iSD_SD_
	.globl	_Z39paged_attention_ll4mi_QKV_mfma16_kernelI14__hip_bfloat16S0_LN4vllm18Fp8KVCacheDataTypeE0ES0_Li32ELi64ELi256ELb0ELi13EL8MFMAType0EEvPKT_PKT0_S9_ifPKiSB_SB_iPKfiiiPfSE_PS4_PT2_iSD_SD_
	.p2align	8
	.type	_Z39paged_attention_ll4mi_QKV_mfma16_kernelI14__hip_bfloat16S0_LN4vllm18Fp8KVCacheDataTypeE0ES0_Li32ELi64ELi256ELb0ELi13EL8MFMAType0EEvPKT_PKT0_S9_ifPKiSB_SB_iPKfiiiPfSE_PS4_PT2_iSD_SD_,@function
_Z39paged_attention_ll4mi_QKV_mfma16_kernelI14__hip_bfloat16S0_LN4vllm18Fp8KVCacheDataTypeE0ES0_Li32ELi64ELi256ELb0ELi13EL8MFMAType0EEvPKT_PKT0_S9_ifPKiSB_SB_iPKfiiiPfSE_PS4_PT2_iSD_SD_: ; @_Z39paged_attention_ll4mi_QKV_mfma16_kernelI14__hip_bfloat16S0_LN4vllm18Fp8KVCacheDataTypeE0ES0_Li32ELi64ELi256ELb0ELi13EL8MFMAType0EEvPKT_PKT0_S9_ifPKiSB_SB_iPKfiiiPfSE_PS4_PT2_iSD_SD_
; %bb.0:
	s_load_b64 s[2:3], s[0:1], 0x30
	s_mov_b32 s34, s13
	s_waitcnt lgkmcnt(0)
	s_cmp_lg_u64 s[2:3], 0
	s_cselect_b32 s6, -1, 0
	s_ashr_i32 s35, s13, 31
	s_cmp_eq_u64 s[2:3], 0
	s_cbranch_scc1 .LBB570_3
; %bb.1:
	s_lshl_b64 s[4:5], s[34:35], 2
	s_delay_alu instid0(SALU_CYCLE_1) | instskip(SKIP_4) | instid1(SALU_CYCLE_1)
	s_add_u32 s4, s2, s4
	s_addc_u32 s5, s3, s5
	s_load_b64 s[4:5], s[4:5], 0x0
	s_waitcnt lgkmcnt(0)
	s_sub_i32 s4, s5, s4
	s_cmp_eq_u32 s4, 1
	s_cselect_b32 s4, -1, 0
	s_delay_alu instid0(SALU_CYCLE_1)
	s_and_not1_b32 vcc_lo, exec_lo, s4
	s_cbranch_vccz .LBB570_4
.LBB570_2:
	s_nop 0
	s_sendmsg sendmsg(MSG_DEALLOC_VGPRS)
	s_endpgm
.LBB570_3:
.LBB570_4:
	s_load_b64 s[8:9], s[0:1], 0x28
	s_lshl_b64 s[4:5], s[34:35], 2
	s_waitcnt lgkmcnt(0)
	s_add_u32 s8, s8, s4
	s_addc_u32 s9, s9, s5
	s_lshl_b32 s16, s14, 8
	s_load_b32 s18, s[8:9], 0x0
	s_waitcnt lgkmcnt(0)
	s_cmp_ge_i32 s16, s18
	s_cbranch_scc1 .LBB570_2
; %bb.5:
	s_and_not1_b32 vcc_lo, exec_lo, s6
	s_cbranch_vccnz .LBB570_7
; %bb.6:
	s_add_u32 s2, s2, s4
	s_addc_u32 s3, s3, s5
	s_load_b32 s17, s[2:3], 0x0
	s_branch .LBB570_8
.LBB570_7:
	s_mov_b32 s17, s34
.LBB570_8:
	s_clause 0x2
	s_load_b128 s[8:11], s[0:1], 0x8
	s_load_b64 s[12:13], s[0:1], 0x20
	s_load_b128 s[4:7], s[0:1], 0x48
	v_lshrrev_b32_e32 v74, 5, v0
	v_bfe_u32 v83, v0, 4, 1
	v_and_b32_e32 v73, 15, v0
	s_delay_alu instid0(VALU_DEP_2) | instskip(NEXT) | instid1(VALU_DEP_2)
	v_lshl_or_b32 v3, v74, 1, v83
	v_cmp_lt_u32_e64 s3, 7, v73
	v_lshlrev_b32_e32 v1, 3, v73
	v_cmp_gt_u32_e64 s2, 8, v73
	s_delay_alu instid0(VALU_DEP_4) | instskip(NEXT) | instid1(VALU_DEP_4)
	v_cmp_lt_u32_e32 vcc_lo, 12, v3
	s_or_b32 s3, s3, vcc_lo
	s_waitcnt lgkmcnt(0)
	s_and_saveexec_b32 s7, s3
	s_delay_alu instid0(SALU_CYCLE_1)
	s_xor_b32 s3, exec_lo, s7
; %bb.9:
	v_mov_b32_e32 v2, 0
                                        ; implicit-def: $vgpr3
; %bb.10:
	s_or_saveexec_b32 s3, s3
	v_and_b32_e32 v75, 31, v0
	v_and_b32_e32 v84, 1, v0
	s_mul_i32 s31, s15, 13
	s_xor_b32 exec_lo, exec_lo, s3
	s_cbranch_execz .LBB570_12
; %bb.11:
	s_load_b64 s[20:21], s[0:1], 0x0
	v_add_lshl_u32 v4, v3, s31, 6
	s_mul_hi_i32 s23, s17, s4
	s_mul_i32 s22, s17, s4
	v_lshlrev_b32_e32 v2, 1, v1
	s_lshl_b64 s[22:23], s[22:23], 1
	v_ashrrev_i32_e32 v5, 31, v4
	v_lshlrev_b32_e32 v3, 6, v3
	v_lshlrev_b32_e32 v8, 10, v84
	s_delay_alu instid0(VALU_DEP_3) | instskip(SKIP_3) | instid1(VALU_DEP_1)
	v_lshlrev_b64 v[4:5], 1, v[4:5]
	s_waitcnt lgkmcnt(0)
	s_add_u32 s4, s20, s22
	s_addc_u32 s7, s21, s23
	v_add_co_u32 v4, vcc_lo, s4, v4
	s_delay_alu instid0(VALU_DEP_2) | instskip(NEXT) | instid1(VALU_DEP_2)
	v_add_co_ci_u32_e32 v5, vcc_lo, s7, v5, vcc_lo
	v_add_co_u32 v4, vcc_lo, v4, v2
	s_delay_alu instid0(VALU_DEP_2) | instskip(SKIP_3) | instid1(VALU_DEP_1)
	v_add_co_ci_u32_e32 v5, vcc_lo, 0, v5, vcc_lo
	v_lshlrev_b32_e32 v2, 10, v73
	global_load_b128 v[4:7], v[4:5], off
	v_and_b32_e32 v2, 0x3800, v2
	v_or3_b32 v3, v2, v8, v3
	v_mov_b32_e32 v2, 0
	s_waitcnt vmcnt(0)
	ds_store_b128 v3, v[4:7]
.LBB570_12:
	s_or_b32 exec_lo, exec_lo, s3
	v_and_b32_e32 v3, 0xef, v0
	s_add_i32 s3, s18, 31
	s_clause 0x1
	s_load_b32 s4, s[0:1], 0x38
	s_load_b32 s19, s[0:1], 0x1c
	s_ashr_i32 s7, s3, 31
	v_add_nc_u32_e32 v3, s16, v3
	s_lshr_b32 s7, s7, 27
	s_waitcnt lgkmcnt(0)
	s_add_i32 s3, s3, s7
	s_barrier
	v_ashrrev_i32_e32 v4, 31, v3
	v_cmp_gt_i32_e32 vcc_lo, s18, v3
	s_ashr_i32 s3, s3, 5
	buffer_gl0_inv
	s_add_i32 s3, s3, -1
	v_lshrrev_b32_e32 v5, 27, v4
	v_or_b32_e32 v4, 16, v3
	s_mul_i32 s6, s15, s6
	v_lshlrev_b64 v[81:82], 1, v[1:2]
	s_delay_alu instid0(VALU_DEP_3) | instskip(NEXT) | instid1(VALU_DEP_3)
	v_add_nc_u32_e32 v6, v3, v5
	v_add_nc_u32_e32 v5, v4, v5
	s_mul_i32 s20, s34, s4
	s_delay_alu instid0(SALU_CYCLE_1) | instskip(NEXT) | instid1(VALU_DEP_2)
	s_ashr_i32 s21, s20, 31
	v_ashrrev_i32_e32 v6, 5, v6
	s_delay_alu instid0(VALU_DEP_2) | instskip(SKIP_1) | instid1(SALU_CYCLE_1)
	v_ashrrev_i32_e32 v5, 5, v5
	s_lshl_b64 s[20:21], s[20:21], 2
	s_add_u32 s4, s12, s20
	s_delay_alu instid0(VALU_DEP_2) | instskip(SKIP_3) | instid1(SALU_CYCLE_1)
	v_cndmask_b32_e32 v3, s3, v6, vcc_lo
	v_cmp_gt_i32_e32 vcc_lo, s18, v4
	s_addc_u32 s17, s13, s21
	s_ashr_i32 s7, s6, 31
	s_lshl_b64 s[6:7], s[6:7], 1
	v_cndmask_b32_e32 v5, s3, v5, vcc_lo
	v_ashrrev_i32_e32 v4, 31, v3
	s_add_u32 s15, s8, s6
	s_addc_u32 s28, s9, s7
	s_lshl_b32 s8, s14, 3
	v_ashrrev_i32_e32 v6, 31, v5
	v_lshlrev_b64 v[3:4], 2, v[3:4]
	s_ashr_i32 s9, s8, 31
	s_delay_alu instid0(SALU_CYCLE_1) | instskip(NEXT) | instid1(VALU_DEP_2)
	s_lshl_b64 s[8:9], s[8:9], 2
	v_lshlrev_b64 v[5:6], 2, v[5:6]
	s_add_u32 s8, s4, s8
	s_delay_alu instid0(VALU_DEP_2) | instskip(SKIP_1) | instid1(VALU_DEP_3)
	v_add_co_u32 v3, vcc_lo, s4, v3
	v_add_co_ci_u32_e32 v4, vcc_lo, s17, v4, vcc_lo
	v_add_co_u32 v5, vcc_lo, s4, v5
	s_delay_alu instid0(VALU_DEP_4)
	v_add_co_ci_u32_e32 v6, vcc_lo, s17, v6, vcc_lo
	s_addc_u32 s9, s17, s9
	s_clause 0x1
	global_load_b32 v7, v[3:4], off
	global_load_b32 v8, v[5:6], off
	s_or_b32 s12, s16, 32
	s_delay_alu instid0(SALU_CYCLE_1) | instskip(SKIP_2) | instid1(SALU_CYCLE_1)
	s_ashr_i32 s13, s12, 5
	s_cmp_lt_i32 s12, s18
	s_cselect_b32 s12, s13, s3
	s_ashr_i32 s13, s12, 31
	s_delay_alu instid0(SALU_CYCLE_1) | instskip(NEXT) | instid1(SALU_CYCLE_1)
	s_lshl_b64 s[12:13], s[12:13], 2
	s_add_u32 s12, s4, s12
	s_addc_u32 s13, s17, s13
	s_or_b32 s20, s16, 64
	s_delay_alu instid0(SALU_CYCLE_1) | instskip(SKIP_2) | instid1(SALU_CYCLE_1)
	s_ashr_i32 s21, s20, 5
	s_cmp_lt_i32 s20, s18
	s_cselect_b32 s20, s21, s3
	s_ashr_i32 s21, s20, 31
	s_delay_alu instid0(SALU_CYCLE_1) | instskip(NEXT) | instid1(SALU_CYCLE_1)
	s_lshl_b64 s[20:21], s[20:21], 2
	s_add_u32 s20, s4, s20
	s_addc_u32 s21, s17, s21
	;; [unrolled: 10-line block ×5, first 2 shown]
	s_clause 0x5
	s_load_b32 s29, s[8:9], 0x0
	s_load_b32 s30, s[12:13], 0x0
	s_load_b32 s33, s[20:21], 0x0
	s_load_b32 s35, s[22:23], 0x0
	s_load_b32 s36, s[24:25], 0x0
	s_load_b32 s38, s[26:27], 0x0
	s_mov_b32 s20, 0
	s_or_b32 s8, s16, 0xc0
	s_mov_b32 s21, s20
	s_mov_b32 s22, s20
	;; [unrolled: 1-line block ×7, first 2 shown]
	s_ashr_i32 s9, s8, 5
	v_mov_b32_e32 v117, s27
	s_cmp_lt_i32 s8, s18
	v_mov_b32_e32 v116, s26
	s_cselect_b32 s8, s9, s3
	v_mov_b32_e32 v115, s25
	s_ashr_i32 s9, s8, 31
	v_dual_mov_b32 v114, s24 :: v_dual_mov_b32 v113, s23
	v_dual_mov_b32 v112, s22 :: v_dual_mov_b32 v111, s21
	s_lshl_b64 s[8:9], s[8:9], 2
	s_waitcnt lgkmcnt(0)
	s_mul_hi_i32 s13, s29, s5
	s_add_u32 s8, s4, s8
	s_addc_u32 s9, s17, s9
	s_mul_i32 s12, s29, s5
	s_mul_hi_i32 s37, s38, s5
	v_mov_b32_e32 v110, s20
	s_mul_hi_i32 s21, s30, s5
	s_mul_i32 s20, s30, s5
	s_mul_hi_i32 s25, s33, s5
	s_mul_i32 s24, s33, s5
	;; [unrolled: 2-line block ×3, first 2 shown]
	s_waitcnt vmcnt(1)
	v_mad_i64_i32 v[3:4], null, v7, s5, 0
	s_waitcnt vmcnt(0)
	v_mad_i64_i32 v[5:6], null, v8, s5, 0
	s_delay_alu instid0(VALU_DEP_2) | instskip(NEXT) | instid1(VALU_DEP_2)
	v_lshlrev_b64 v[3:4], 1, v[3:4]
	v_lshlrev_b64 v[1:2], 1, v[5:6]
	s_delay_alu instid0(VALU_DEP_2) | instskip(NEXT) | instid1(VALU_DEP_3)
	v_add_co_u32 v3, vcc_lo, s15, v3
	v_add_co_ci_u32_e32 v4, vcc_lo, s28, v4, vcc_lo
	s_delay_alu instid0(VALU_DEP_3) | instskip(NEXT) | instid1(VALU_DEP_4)
	v_add_co_u32 v1, vcc_lo, s15, v1
	v_add_co_ci_u32_e32 v2, vcc_lo, s28, v2, vcc_lo
	s_delay_alu instid0(VALU_DEP_4) | instskip(NEXT) | instid1(VALU_DEP_4)
	v_add_co_u32 v41, vcc_lo, v3, v81
	v_add_co_ci_u32_e32 v42, vcc_lo, v4, v82, vcc_lo
	s_delay_alu instid0(VALU_DEP_4) | instskip(NEXT) | instid1(VALU_DEP_4)
	v_add_co_u32 v43, vcc_lo, v1, v81
	v_add_co_ci_u32_e32 v44, vcc_lo, v2, v82, vcc_lo
	s_clause 0xf
	global_load_b128 v[1:4], v[41:42], off
	global_load_b128 v[5:8], v[41:42], off offset:512
	global_load_b128 v[9:12], v[43:44], off offset:256
	;; [unrolled: 1-line block ×15, first 2 shown]
	v_add_nc_u32_e32 v41, -13, v73
	v_cmp_gt_u32_e32 vcc_lo, 13, v73
	s_or_b32 s15, s16, 0xe0
	s_delay_alu instid0(SALU_CYCLE_1) | instskip(SKIP_3) | instid1(SALU_CYCLE_1)
	s_ashr_i32 s22, s15, 5
	s_cmp_lt_i32 s15, s18
	v_cndmask_b32_e32 v41, v41, v73, vcc_lo
	s_cselect_b32 s22, s22, s3
	s_ashr_i32 s23, s22, 31
	s_delay_alu instid0(VALU_DEP_1)
	v_lshlrev_b32_e32 v57, 6, v41
	ds_load_b128 v[41:44], v57
	ds_load_b128 v[45:48], v57 offset:1024
	ds_load_b128 v[49:52], v57 offset:2048
	;; [unrolled: 1-line block ×7, first 2 shown]
	s_lshl_b64 s[22:23], s[22:23], 2
	s_delay_alu instid0(SALU_CYCLE_1) | instskip(SKIP_2) | instid1(SALU_CYCLE_1)
	s_add_u32 s22, s4, s22
	s_addc_u32 s23, s17, s23
	s_add_i32 s15, s16, 0x100
	s_ashr_i32 s28, s15, 5
	s_cmp_lt_i32 s15, s18
	s_load_b32 s15, s[8:9], 0x0
	s_cselect_b32 s28, s28, s3
	s_mul_hi_i32 s9, s36, s5
	s_ashr_i32 s29, s28, 31
	s_mul_i32 s8, s36, s5
	s_lshl_b64 s[28:29], s[28:29], 2
	s_mul_i32 s36, s38, s5
	s_add_u32 s28, s4, s28
	s_addc_u32 s29, s17, s29
	s_add_u32 s3, s10, s6
	s_clause 0x1
	s_load_b32 s4, s[22:23], 0x0
	s_load_b32 s17, s[28:29], 0x0
	s_addc_u32 s28, s11, s7
	s_lshl_b64 s[6:7], s[12:13], 1
	s_lshl_b64 s[10:11], s[20:21], 1
	;; [unrolled: 1-line block ×6, first 2 shown]
	s_waitcnt lgkmcnt(0)
	s_mul_hi_i32 s25, s15, s5
	s_mul_i32 s24, s15, s5
	s_waitcnt vmcnt(14)
	v_wmma_f32_16x16x16_bf16 v[134:141], v[1:8], v[41:48], v[110:117]
	s_waitcnt vmcnt(10)
	s_delay_alu instid0(VALU_DEP_1) | instskip(SKIP_1) | instid1(VALU_DEP_1)
	v_wmma_f32_16x16x16_bf16 v[134:141], v[17:24], v[49:56], v[134:141]
	s_waitcnt vmcnt(6)
	v_wmma_f32_16x16x16_bf16 v[134:141], v[33:40], v[118:125], v[134:141]
	s_waitcnt vmcnt(2)
	s_delay_alu instid0(VALU_DEP_1) | instskip(SKIP_1) | instid1(VALU_DEP_2)
	v_wmma_f32_16x16x16_bf16 v[134:141], v[94:101], v[126:133], v[134:141]
	v_lshlrev_b32_e32 v85, 6, v73
	v_mul_f32_e32 v100, s19, v141
	s_delay_alu instid0(VALU_DEP_2) | instskip(SKIP_2) | instid1(VALU_DEP_3)
	v_lshl_or_b32 v58, v74, 10, v85
	v_wmma_f32_16x16x16_bf16 v[110:117], v[9:16], v[41:48], v[110:117]
	v_mul_f32_e32 v99, s19, v135
	v_add_co_u32 v76, s3, s3, v58
	s_delay_alu instid0(VALU_DEP_1) | instskip(NEXT) | instid1(VALU_DEP_4)
	v_add_co_ci_u32_e64 v77, null, s28, 0, s3
	v_wmma_f32_16x16x16_bf16 v[110:117], v[25:32], v[49:56], v[110:117]
	s_delay_alu instid0(VALU_DEP_3) | instskip(NEXT) | instid1(VALU_DEP_3)
	v_add_co_u32 v57, vcc_lo, v76, s6
	v_add_co_ci_u32_e32 v58, vcc_lo, s7, v77, vcc_lo
	v_add_co_u32 v1, vcc_lo, v76, s10
	v_add_co_ci_u32_e32 v2, vcc_lo, s11, v77, vcc_lo
	;; [unrolled: 2-line block ×5, first 2 shown]
	s_clause 0x9
	global_load_b128 v[65:68], v[57:58], off
	global_load_b128 v[69:72], v[57:58], off offset:16
	global_load_b128 v[57:60], v[1:2], off
	global_load_b128 v[61:64], v[1:2], off offset:16
	;; [unrolled: 2-line block ×5, first 2 shown]
	v_add_co_u32 v5, vcc_lo, v76, s22
	s_lshl_b64 s[6:7], s[24:25], 1
	v_add_co_ci_u32_e32 v6, vcc_lo, s23, v77, vcc_lo
	s_mul_hi_i32 s9, s4, s5
	s_mul_i32 s8, s4, s5
	v_add_co_u32 v17, vcc_lo, v76, s6
	v_add_co_ci_u32_e32 v18, vcc_lo, s7, v77, vcc_lo
	s_lshl_b64 s[6:7], s[8:9], 1
	s_mul_hi_i32 s9, s17, s5
	s_mul_i32 s8, s17, s5
	v_add_co_u32 v19, vcc_lo, v76, s6
	s_lshl_b64 s[4:5], s[8:9], 1
	v_add_co_ci_u32_e32 v20, vcc_lo, s7, v77, vcc_lo
	v_add_co_u32 v21, vcc_lo, v76, s4
	v_add_co_ci_u32_e32 v22, vcc_lo, s5, v77, vcc_lo
	s_clause 0x7
	global_load_b128 v[1:4], v[5:6], off
	global_load_b128 v[5:8], v[5:6], off offset:16
	global_load_b128 v[33:36], v[17:18], off
	global_load_b128 v[37:40], v[17:18], off offset:16
	;; [unrolled: 2-line block ×4, first 2 shown]
	v_and_b32_e32 v76, 0xe0, v0
	v_mbcnt_lo_u32_b32 v77, -1, 0
	v_wmma_f32_16x16x16_bf16 v[110:117], v[86:93], v[118:125], v[110:117]
	s_waitcnt vmcnt(0)
	s_barrier
	v_add_nc_u32_e32 v76, s16, v76
	v_xor_b32_e32 v78, 16, v77
	v_wmma_f32_16x16x16_bf16 v[110:117], v[102:109], v[126:133], v[110:117]
	v_mul_f32_e32 v97, s19, v134
	buffer_gl0_inv
	v_or_b32_e32 v76, v76, v83
	v_cmp_gt_i32_e32 vcc_lo, 32, v78
	s_delay_alu instid0(VALU_DEP_2)
	v_or_b32_e32 v79, 4, v76
	v_cndmask_b32_e32 v77, v77, v78, vcc_lo
	v_or_b32_e32 v78, 2, v76
	v_or_b32_e32 v80, 6, v76
	v_cmp_gt_i32_e32 vcc_lo, s18, v76
	v_or_b32_e32 v86, 8, v76
	v_or_b32_e32 v87, 10, v76
	v_cmp_gt_i32_e64 s3, s18, v78
	v_or_b32_e32 v88, 12, v76
	v_or_b32_e32 v89, 14, v76
	;; [unrolled: 1-line block ×10, first 2 shown]
	v_cndmask_b32_e32 v76, 0xff7fffff, v97, vcc_lo
	v_cndmask_b32_e64 v78, 0xff7fffff, v99, s3
	v_mul_f32_e32 v99, s19, v137
	v_cmp_gt_i32_e64 s4, s18, v80
	v_mul_f32_e32 v80, s19, v136
	v_cmp_gt_i32_e64 s5, s18, v79
	v_max3_f32 v76, v76, 0xff7fffff, v78
	v_dual_mul_f32 v78, s19, v138 :: v_dual_mul_f32 v79, s19, v139
	v_cndmask_b32_e64 v99, 0xff7fffff, v99, s4
	s_delay_alu instid0(VALU_DEP_4)
	v_cndmask_b32_e64 v80, 0xff7fffff, v80, s5
	v_cmp_gt_i32_e64 s6, s18, v86
	v_cmp_gt_i32_e64 s7, s18, v87
	v_mul_f32_e32 v97, s19, v140
	v_cmp_gt_i32_e64 s8, s18, v89
	v_max3_f32 v76, v76, v80, v99
	v_cndmask_b32_e64 v78, 0xff7fffff, v78, s6
	v_cndmask_b32_e64 v79, 0xff7fffff, v79, s7
	v_cmp_gt_i32_e64 s9, s18, v88
	v_dual_mul_f32 v88, s19, v111 :: v_dual_mul_f32 v89, s19, v110
	v_cndmask_b32_e64 v100, 0xff7fffff, v100, s8
	s_delay_alu instid0(VALU_DEP_4) | instskip(NEXT) | instid1(VALU_DEP_4)
	v_max3_f32 v76, v76, v78, v79
	v_cndmask_b32_e64 v97, 0xff7fffff, v97, s9
	v_cmp_gt_i32_e64 s10, s18, v90
	v_cmp_gt_i32_e64 s11, s18, v91
	v_dual_mul_f32 v78, s19, v113 :: v_dual_mul_f32 v79, s19, v112
	s_delay_alu instid0(VALU_DEP_4) | instskip(NEXT) | instid1(VALU_DEP_4)
	v_max3_f32 v76, v76, v97, v100
	v_cndmask_b32_e64 v89, 0xff7fffff, v89, s10
	s_delay_alu instid0(VALU_DEP_4)
	v_cndmask_b32_e64 v88, 0xff7fffff, v88, s11
	v_cmp_gt_i32_e64 s12, s18, v92
	v_cmp_gt_i32_e64 s13, s18, v93
	v_mul_f32_e32 v87, s19, v115
	v_mul_f32_e32 v99, s19, v114
	v_max3_f32 v76, v76, v89, v88
	v_cndmask_b32_e64 v79, 0xff7fffff, v79, s12
	v_cndmask_b32_e64 v78, 0xff7fffff, v78, s13
	v_cmp_gt_i32_e64 s15, s18, v94
	v_cmp_gt_i32_e64 s16, s18, v95
	v_mul_f32_e32 v80, s19, v117
	v_mul_f32_e32 v86, s19, v116
	v_max3_f32 v76, v76, v79, v78
	v_cndmask_b32_e64 v88, 0xff7fffff, v99, s15
	v_cndmask_b32_e64 v87, 0xff7fffff, v87, s16
	v_cmp_gt_i32_e64 s17, s18, v96
	v_cmp_gt_i32_e64 s18, s18, v98
	v_lshlrev_b32_e32 v99, 2, v77
	s_delay_alu instid0(VALU_DEP_4) | instskip(NEXT) | instid1(VALU_DEP_4)
	v_max3_f32 v76, v76, v88, v87
	v_cndmask_b32_e64 v78, 0xff7fffff, v86, s17
	s_delay_alu instid0(VALU_DEP_4) | instskip(NEXT) | instid1(VALU_DEP_1)
	v_cndmask_b32_e64 v79, 0xff7fffff, v80, s18
	v_max3_f32 v76, v76, v78, v79
	ds_bpermute_b32 v77, v99, v76
	s_waitcnt lgkmcnt(0)
	v_max_f32_e32 v77, v77, v77
	s_delay_alu instid0(VALU_DEP_1) | instskip(NEXT) | instid1(VALU_DEP_1)
	v_max_f32_e32 v76, v76, v77
	v_fma_f32 v77, s19, v134, -v76
	v_fma_f32 v78, s19, v135, -v76
	;; [unrolled: 1-line block ×5, first 2 shown]
	s_delay_alu instid0(VALU_DEP_4) | instskip(SKIP_1) | instid1(VALU_DEP_4)
	v_dual_mul_f32 v77, 0x3fb8aa3b, v77 :: v_dual_mul_f32 v78, 0x3fb8aa3b, v78
	v_fma_f32 v88, s19, v114, -v76
	v_dual_mul_f32 v79, 0x3fb8aa3b, v79 :: v_dual_mul_f32 v80, 0x3fb8aa3b, v80
	s_delay_alu instid0(VALU_DEP_3) | instskip(NEXT) | instid1(VALU_DEP_3)
	v_exp_f32_e32 v77, v77
	v_exp_f32_e32 v78, v78
	s_delay_alu instid0(VALU_DEP_2) | instskip(NEXT) | instid1(VALU_DEP_2)
	v_mul_f32_e32 v88, 0x3fb8aa3b, v88
	v_exp_f32_e32 v79, v79
	v_mul_f32_e32 v86, 0x3fb8aa3b, v86
	v_exp_f32_e32 v80, v80
	v_fma_f32 v87, s19, v140, -v76
	v_fma_f32 v100, s19, v117, -v76
	v_fma_f32 v90, s19, v116, -v76
	v_exp_f32_e32 v86, v86
	v_cndmask_b32_e32 v92, 0, v77, vcc_lo
	v_fma_f32 v77, s19, v139, -v76
	v_cndmask_b32_e64 v91, 0, v78, s3
	v_cndmask_b32_e64 v93, 0, v79, s5
	v_fma_f32 v79, s19, v141, -v76
	s_delay_alu instid0(VALU_DEP_4) | instskip(SKIP_2) | instid1(TRANS32_DEP_1)
	v_dual_add_f32 v78, 0, v92 :: v_dual_mul_f32 v77, 0x3fb8aa3b, v77
	v_cndmask_b32_e64 v95, 0, v80, s4
	v_mul_f32_e32 v87, 0x3fb8aa3b, v87
	v_cndmask_b32_e64 v96, 0, v86, s6
	s_delay_alu instid0(VALU_DEP_4)
	v_add_f32_e32 v78, v78, v91
	v_exp_f32_e32 v77, v77
	v_fma_f32 v86, s19, v111, -v76
	v_fma_f32 v80, s19, v110, -v76
	v_exp_f32_e32 v87, v87
	v_add_f32_e32 v78, v78, v93
	v_mul_f32_e32 v100, 0x3fb8aa3b, v100
	v_mul_f32_e32 v86, 0x3fb8aa3b, v86
	v_mul_f32_e32 v80, 0x3fb8aa3b, v80
	v_exp_f32_e32 v88, v88
	v_add_f32_e32 v78, v78, v95
	v_cndmask_b32_e64 v97, 0, v77, s7
	v_exp_f32_e32 v86, v86
	v_exp_f32_e32 v80, v80
	v_cndmask_b32_e64 v94, 0, v87, s9
	v_add_f32_e32 v77, v78, v96
	v_fma_f32 v78, s19, v112, -v76
	v_fma_f32 v87, s19, v113, -v76
	v_exp_f32_e32 v100, v100
	v_cmp_gt_u32_e64 s3, 16, v75
	s_delay_alu instid0(VALU_DEP_3) | instskip(NEXT) | instid1(VALU_DEP_3)
	v_dual_add_f32 v77, v77, v97 :: v_dual_mul_f32 v78, 0x3fb8aa3b, v78
	v_mul_f32_e32 v87, 0x3fb8aa3b, v87
	s_delay_alu instid0(VALU_DEP_2) | instskip(SKIP_2) | instid1(VALU_DEP_3)
	v_exp_f32_e32 v89, v78
	v_cndmask_b32_e64 v78, 0, v86, s11
	v_mul_f32_e32 v79, 0x3fb8aa3b, v79
	v_exp_f32_e32 v87, v87
	s_delay_alu instid0(VALU_DEP_1)
	v_exp_f32_e32 v79, v79
	s_waitcnt_depctr 0xfff
	v_cndmask_b32_e64 v98, 0, v79, s8
	v_add_f32_e32 v79, v77, v94
	v_cndmask_b32_e64 v77, 0, v80, s10
	v_fma_f32 v80, s19, v115, -v76
	s_delay_alu instid0(VALU_DEP_1) | instskip(NEXT) | instid1(VALU_DEP_1)
	v_dual_add_f32 v79, v79, v98 :: v_dual_mul_f32 v80, 0x3fb8aa3b, v80
	v_add_f32_e32 v86, v79, v77
	v_cndmask_b32_e64 v79, 0, v89, s12
	v_mul_f32_e32 v89, 0x3fb8aa3b, v90
	s_delay_alu instid0(VALU_DEP_4) | instskip(SKIP_2) | instid1(VALU_DEP_3)
	v_exp_f32_e32 v90, v80
	v_cndmask_b32_e64 v80, 0, v87, s13
	v_add_f32_e32 v86, v86, v78
	v_exp_f32_e32 v89, v89
	s_delay_alu instid0(VALU_DEP_1) | instskip(SKIP_1) | instid1(VALU_DEP_2)
	v_add_f32_e32 v87, v86, v79
	v_cndmask_b32_e64 v86, 0, v88, s15
	v_add_f32_e32 v88, v87, v80
	s_delay_alu instid0(TRANS32_DEP_2) | instskip(NEXT) | instid1(VALU_DEP_2)
	v_cndmask_b32_e64 v87, 0, v90, s16
	v_add_f32_e32 v90, v88, v86
	s_waitcnt_depctr 0xfff
	v_cndmask_b32_e64 v88, 0, v89, s17
	v_add_f32_e32 v89, v90, v87
	s_delay_alu instid0(VALU_DEP_1) | instskip(SKIP_1) | instid1(VALU_DEP_1)
	v_add_f32_e32 v90, v89, v88
	v_cndmask_b32_e64 v89, 0, v100, s18
	v_add_f32_e32 v90, v90, v89
	ds_bpermute_b32 v99, v99, v90
	s_and_saveexec_b32 s4, s3
	s_cbranch_execz .LBB570_14
; %bb.13:
	v_mul_u32_u24_e32 v75, 0x44, v74
	s_waitcnt lgkmcnt(0)
	v_add_f32_e32 v90, v90, v99
	s_delay_alu instid0(VALU_DEP_2) | instskip(NEXT) | instid1(VALU_DEP_1)
	v_lshl_add_u32 v75, v73, 2, v75
	v_add_nc_u32_e32 v75, 0x4000, v75
	ds_store_2addr_b32 v75, v76, v90 offset1:136
.LBB570_14:
	s_or_b32 exec_lo, exec_lo, s4
	v_lshlrev_b32_e32 v75, 2, v73
	s_waitcnt lgkmcnt(0)
	s_barrier
	buffer_gl0_inv
	v_cmp_eq_u32_e64 s4, 1, v74
	v_add_nc_u32_e32 v90, 0x4000, v75
	ds_load_2addr_b32 v[99:100], v90 offset1:17
	ds_load_2addr_b32 v[101:102], v90 offset0:34 offset1:51
	ds_load_2addr_b32 v[103:104], v90 offset0:68 offset1:85
	;; [unrolled: 1-line block ×4, first 2 shown]
	s_waitcnt lgkmcnt(4)
	v_max3_f32 v75, v99, 0xff7fffff, v100
	s_waitcnt lgkmcnt(3)
	s_delay_alu instid0(VALU_DEP_1) | instskip(SKIP_1) | instid1(VALU_DEP_1)
	v_max3_f32 v75, v75, v101, v102
	s_waitcnt lgkmcnt(2)
	v_max3_f32 v75, v75, v103, v104
	s_waitcnt lgkmcnt(1)
	s_delay_alu instid0(VALU_DEP_1) | instskip(NEXT) | instid1(VALU_DEP_1)
	v_max3_f32 v75, v75, v105, v106
	v_sub_f32_e32 v109, v100, v75
	v_sub_f32_e32 v76, v99, v75
	ds_load_2addr_b32 v[99:100], v90 offset0:170 offset1:187
	v_sub_f32_e32 v101, v101, v75
	v_dual_mul_f32 v109, 0x3fb8aa3b, v109 :: v_dual_mul_f32 v76, 0x3fb8aa3b, v76
	s_delay_alu instid0(VALU_DEP_2) | instskip(NEXT) | instid1(VALU_DEP_2)
	v_mul_f32_e32 v111, 0x3fb8aa3b, v101
	v_exp_f32_e32 v109, v109
	s_delay_alu instid0(VALU_DEP_2)
	v_exp_f32_e32 v110, v76
	v_sub_f32_e32 v76, v102, v75
	ds_load_2addr_b32 v[101:102], v90 offset0:204 offset1:221
	v_exp_f32_e32 v111, v111
	v_mul_f32_e32 v112, 0x3fb8aa3b, v76
	s_waitcnt lgkmcnt(2)
	v_fma_f32 v76, v110, v107, 0
	v_sub_f32_e32 v103, v103, v75
	s_delay_alu instid0(VALU_DEP_3) | instskip(NEXT) | instid1(VALU_DEP_2)
	v_exp_f32_e32 v112, v112
	v_dual_sub_f32 v107, v104, v75 :: v_dual_fmac_f32 v76, v109, v108
	s_waitcnt lgkmcnt(1)
	s_waitcnt_depctr 0xfff
	v_fmac_f32_e32 v76, v111, v99
	v_mul_f32_e32 v113, 0x3fb8aa3b, v103
	ds_load_2addr_b32 v[103:104], v90 offset0:238 offset1:255
	v_sub_f32_e32 v90, v105, v75
	v_dual_sub_f32 v99, v106, v75 :: v_dual_fmac_f32 v76, v112, v100
	v_mul_f32_e32 v105, 0x3fb8aa3b, v107
	v_exp_f32_e32 v107, v113
	s_delay_alu instid0(VALU_DEP_2)
	v_dual_mul_f32 v90, 0x3fb8aa3b, v90 :: v_dual_mul_f32 v99, 0x3fb8aa3b, v99
	s_waitcnt lgkmcnt(0)
	s_barrier
	buffer_gl0_inv
	v_exp_f32_e32 v90, v90
	v_exp_f32_e32 v99, v99
	v_fmac_f32_e32 v76, v107, v101
	v_exp_f32_e32 v105, v105
	s_waitcnt_depctr 0xfff
	v_fmac_f32_e32 v76, v105, v102
	s_delay_alu instid0(VALU_DEP_1) | instskip(NEXT) | instid1(VALU_DEP_1)
	v_fmac_f32_e32 v76, v90, v103
	v_fmac_f32_e32 v76, v99, v104
	s_delay_alu instid0(VALU_DEP_1) | instskip(NEXT) | instid1(VALU_DEP_1)
	v_add_f32_e32 v100, 0x358637bd, v76
	v_div_scale_f32 v101, null, v100, v100, 1.0
	v_div_scale_f32 v104, vcc_lo, 1.0, v100, 1.0
	s_delay_alu instid0(VALU_DEP_2) | instskip(SKIP_2) | instid1(VALU_DEP_1)
	v_rcp_f32_e32 v102, v101
	s_waitcnt_depctr 0xfff
	v_fma_f32 v103, -v101, v102, 1.0
	v_fmac_f32_e32 v102, v103, v102
	v_cndmask_b32_e64 v103, v110, v109, s4
	v_cmp_eq_u32_e64 s4, 2, v74
	s_delay_alu instid0(VALU_DEP_3) | instskip(NEXT) | instid1(VALU_DEP_2)
	v_mul_f32_e32 v106, v104, v102
	v_cndmask_b32_e64 v103, v103, v111, s4
	v_cmp_eq_u32_e64 s4, 3, v74
	s_delay_alu instid0(VALU_DEP_3) | instskip(NEXT) | instid1(VALU_DEP_2)
	v_fma_f32 v108, -v101, v106, v104
	v_cndmask_b32_e64 v103, v103, v112, s4
	v_cmp_eq_u32_e64 s4, 4, v74
	s_delay_alu instid0(VALU_DEP_3) | instskip(NEXT) | instid1(VALU_DEP_2)
	v_fmac_f32_e32 v106, v108, v102
	v_cndmask_b32_e64 v103, v103, v107, s4
	s_delay_alu instid0(VALU_DEP_2) | instskip(SKIP_1) | instid1(VALU_DEP_2)
	v_fma_f32 v101, -v101, v106, v104
	v_cmp_eq_u32_e64 s4, 5, v74
	v_div_fmas_f32 v101, v101, v102, v106
	s_delay_alu instid0(VALU_DEP_2) | instskip(SKIP_2) | instid1(VALU_DEP_3)
	v_cndmask_b32_e64 v103, v103, v105, s4
	v_cmp_eq_u32_e32 vcc_lo, 6, v74
	s_mov_b32 s4, exec_lo
	v_div_fixup_f32 v100, v101, v100, 1.0
	s_delay_alu instid0(VALU_DEP_3) | instskip(SKIP_1) | instid1(VALU_DEP_2)
	v_cndmask_b32_e32 v90, v103, v90, vcc_lo
	v_cmp_eq_u32_e32 vcc_lo, 7, v74
	v_cndmask_b32_e32 v90, v90, v99, vcc_lo
	s_delay_alu instid0(VALU_DEP_1) | instskip(NEXT) | instid1(VALU_DEP_1)
	v_mul_f32_e32 v90, v90, v100
	v_mul_f32_e32 v100, v90, v92
	;; [unrolled: 1-line block ×6, first 2 shown]
	v_and_b32_e32 v101, 0x7f800000, v100
	v_mul_f32_e32 v99, v90, v95
	v_mul_f32_e32 v95, v90, v91
	v_mul_f32_e32 v96, v90, v93
                                        ; implicit-def: $vgpr91
	s_delay_alu instid0(VALU_DEP_4)
	v_cmpx_ne_u32_e32 0x7f800000, v101
	s_xor_b32 s4, exec_lo, s4
; %bb.15:
	v_bfe_u32 v91, v100, 16, 1
	s_delay_alu instid0(VALU_DEP_1)
	v_add3_u32 v91, v100, v91, 0x7fff
                                        ; implicit-def: $vgpr100
; %bb.16:
	s_and_not1_saveexec_b32 s4, s4
; %bb.17:
	v_and_b32_e32 v91, 0xffff, v100
	v_or_b32_e32 v93, 0x10000, v100
	s_delay_alu instid0(VALU_DEP_2) | instskip(NEXT) | instid1(VALU_DEP_2)
	v_cmp_eq_u32_e32 vcc_lo, 0, v91
	v_cndmask_b32_e32 v91, v93, v100, vcc_lo
; %bb.18:
	s_or_b32 exec_lo, exec_lo, s4
	v_and_b32_e32 v93, 0x7f800000, v95
	s_delay_alu instid0(VALU_DEP_1) | instskip(SKIP_1) | instid1(SALU_CYCLE_1)
	v_cmp_ne_u32_e32 vcc_lo, 0x7f800000, v93
                                        ; implicit-def: $vgpr93
	s_and_saveexec_b32 s4, vcc_lo
	s_xor_b32 s4, exec_lo, s4
; %bb.19:
	v_bfe_u32 v93, v95, 16, 1
	s_delay_alu instid0(VALU_DEP_1)
	v_add3_u32 v93, v95, v93, 0x7fff
                                        ; implicit-def: $vgpr95
; %bb.20:
	s_and_not1_saveexec_b32 s4, s4
; %bb.21:
	v_and_b32_e32 v93, 0xffff, v95
	v_or_b32_e32 v100, 0x10000, v95
	s_delay_alu instid0(VALU_DEP_2) | instskip(NEXT) | instid1(VALU_DEP_2)
	v_cmp_eq_u32_e32 vcc_lo, 0, v93
	v_cndmask_b32_e32 v93, v100, v95, vcc_lo
; %bb.22:
	s_or_b32 exec_lo, exec_lo, s4
	v_and_b32_e32 v95, 0x7f800000, v96
	s_delay_alu instid0(VALU_DEP_1) | instskip(SKIP_1) | instid1(SALU_CYCLE_1)
	v_cmp_ne_u32_e32 vcc_lo, 0x7f800000, v95
                                        ; implicit-def: $vgpr95
	s_and_saveexec_b32 s4, vcc_lo
	s_xor_b32 s4, exec_lo, s4
; %bb.23:
	v_bfe_u32 v95, v96, 16, 1
	s_delay_alu instid0(VALU_DEP_1)
	v_add3_u32 v95, v96, v95, 0x7fff
                                        ; implicit-def: $vgpr96
; %bb.24:
	s_and_not1_saveexec_b32 s4, s4
; %bb.25:
	v_and_b32_e32 v95, 0xffff, v96
	v_or_b32_e32 v100, 0x10000, v96
	s_delay_alu instid0(VALU_DEP_2) | instskip(NEXT) | instid1(VALU_DEP_2)
	v_cmp_eq_u32_e32 vcc_lo, 0, v95
	v_cndmask_b32_e32 v95, v100, v96, vcc_lo
; %bb.26:
	s_or_b32 exec_lo, exec_lo, s4
	v_and_b32_e32 v96, 0x7f800000, v99
	s_delay_alu instid0(VALU_DEP_1) | instskip(SKIP_1) | instid1(SALU_CYCLE_1)
	v_cmp_ne_u32_e32 vcc_lo, 0x7f800000, v96
                                        ; implicit-def: $vgpr96
	s_and_saveexec_b32 s4, vcc_lo
	s_xor_b32 s4, exec_lo, s4
; %bb.27:
	v_bfe_u32 v96, v99, 16, 1
	s_delay_alu instid0(VALU_DEP_1)
	v_add3_u32 v96, v99, v96, 0x7fff
                                        ; implicit-def: $vgpr99
; %bb.28:
	s_and_not1_saveexec_b32 s4, s4
; %bb.29:
	v_and_b32_e32 v96, 0xffff, v99
	v_or_b32_e32 v100, 0x10000, v99
	s_delay_alu instid0(VALU_DEP_2) | instskip(NEXT) | instid1(VALU_DEP_2)
	v_cmp_eq_u32_e32 vcc_lo, 0, v96
	v_cndmask_b32_e32 v96, v100, v99, vcc_lo
; %bb.30:
	s_or_b32 exec_lo, exec_lo, s4
	v_and_b32_e32 v99, 0x7f800000, v98
	s_delay_alu instid0(VALU_DEP_1) | instskip(SKIP_1) | instid1(SALU_CYCLE_1)
	v_cmp_ne_u32_e32 vcc_lo, 0x7f800000, v99
                                        ; implicit-def: $vgpr99
	s_and_saveexec_b32 s4, vcc_lo
	s_xor_b32 s4, exec_lo, s4
; %bb.31:
	v_bfe_u32 v99, v98, 16, 1
	s_delay_alu instid0(VALU_DEP_1)
	v_add3_u32 v99, v98, v99, 0x7fff
                                        ; implicit-def: $vgpr98
; %bb.32:
	s_and_not1_saveexec_b32 s4, s4
; %bb.33:
	v_and_b32_e32 v99, 0xffff, v98
	v_or_b32_e32 v100, 0x10000, v98
	s_delay_alu instid0(VALU_DEP_2) | instskip(NEXT) | instid1(VALU_DEP_2)
	v_cmp_eq_u32_e32 vcc_lo, 0, v99
	v_cndmask_b32_e32 v99, v100, v98, vcc_lo
; %bb.34:
	s_or_b32 exec_lo, exec_lo, s4
	v_and_b32_e32 v98, 0x7f800000, v97
	s_delay_alu instid0(VALU_DEP_1) | instskip(SKIP_1) | instid1(SALU_CYCLE_1)
	v_cmp_ne_u32_e32 vcc_lo, 0x7f800000, v98
                                        ; implicit-def: $vgpr98
	s_and_saveexec_b32 s4, vcc_lo
	s_xor_b32 s4, exec_lo, s4
; %bb.35:
	v_bfe_u32 v98, v97, 16, 1
	s_delay_alu instid0(VALU_DEP_1)
	v_add3_u32 v98, v97, v98, 0x7fff
                                        ; implicit-def: $vgpr97
; %bb.36:
	s_and_not1_saveexec_b32 s4, s4
; %bb.37:
	v_and_b32_e32 v98, 0xffff, v97
	v_or_b32_e32 v100, 0x10000, v97
	s_delay_alu instid0(VALU_DEP_2) | instskip(NEXT) | instid1(VALU_DEP_2)
	v_cmp_eq_u32_e32 vcc_lo, 0, v98
	v_cndmask_b32_e32 v98, v100, v97, vcc_lo
; %bb.38:
	s_or_b32 exec_lo, exec_lo, s4
	v_and_b32_e32 v97, 0x7f800000, v94
	s_delay_alu instid0(VALU_DEP_1) | instskip(SKIP_1) | instid1(SALU_CYCLE_1)
	v_cmp_ne_u32_e32 vcc_lo, 0x7f800000, v97
                                        ; implicit-def: $vgpr97
	s_and_saveexec_b32 s4, vcc_lo
	s_xor_b32 s4, exec_lo, s4
; %bb.39:
	v_bfe_u32 v97, v94, 16, 1
	s_delay_alu instid0(VALU_DEP_1)
	v_add3_u32 v97, v94, v97, 0x7fff
                                        ; implicit-def: $vgpr94
; %bb.40:
	s_and_not1_saveexec_b32 s4, s4
; %bb.41:
	v_and_b32_e32 v97, 0xffff, v94
	v_or_b32_e32 v100, 0x10000, v94
	s_delay_alu instid0(VALU_DEP_2) | instskip(NEXT) | instid1(VALU_DEP_2)
	v_cmp_eq_u32_e32 vcc_lo, 0, v97
	v_cndmask_b32_e32 v97, v100, v94, vcc_lo
; %bb.42:
	s_or_b32 exec_lo, exec_lo, s4
	v_and_b32_e32 v94, 0x7f800000, v92
	s_delay_alu instid0(VALU_DEP_1) | instskip(SKIP_1) | instid1(SALU_CYCLE_1)
	v_cmp_ne_u32_e32 vcc_lo, 0x7f800000, v94
                                        ; implicit-def: $vgpr94
	s_and_saveexec_b32 s4, vcc_lo
	s_xor_b32 s4, exec_lo, s4
; %bb.43:
	v_bfe_u32 v94, v92, 16, 1
	s_delay_alu instid0(VALU_DEP_1)
	v_add3_u32 v94, v92, v94, 0x7fff
                                        ; implicit-def: $vgpr92
; %bb.44:
	s_and_not1_saveexec_b32 s4, s4
; %bb.45:
	v_and_b32_e32 v94, 0xffff, v92
	v_or_b32_e32 v100, 0x10000, v92
	s_delay_alu instid0(VALU_DEP_2) | instskip(NEXT) | instid1(VALU_DEP_2)
	v_cmp_eq_u32_e32 vcc_lo, 0, v94
	v_cndmask_b32_e32 v94, v100, v92, vcc_lo
; %bb.46:
	s_or_b32 exec_lo, exec_lo, s4
	s_load_b64 s[36:37], s[0:1], 0x94
	v_lshlrev_b32_e32 v92, 4, v83
	s_delay_alu instid0(VALU_DEP_2)
	v_perm_b32 v100, v94, v97, 0x7060302
	v_dual_mul_f32 v89, v90, v89 :: v_dual_lshlrev_b32 v94, 11, v74
	v_perm_b32 v97, v93, v91, 0x7060302
	v_mul_f32_e32 v93, v90, v77
	v_perm_b32 v99, v98, v99, 0x7060302
	v_perm_b32 v98, v96, v95, 0x7060302
	v_or3_b32 v77, v92, v94, v85
	v_mul_f32_e32 v88, v90, v88
	v_dual_mul_f32 v87, v90, v87 :: v_dual_and_b32 v94, 0x7f800000, v93
	v_mul_f32_e32 v86, v90, v86
	v_mul_f32_e32 v91, v90, v80
	;; [unrolled: 1-line block ×4, first 2 shown]
	s_mov_b32 s4, exec_lo
	ds_store_b128 v77, v[97:100]
                                        ; implicit-def: $vgpr78
	v_cmpx_ne_u32_e32 0x7f800000, v94
	s_xor_b32 s4, exec_lo, s4
; %bb.47:
	v_bfe_u32 v78, v93, 16, 1
	s_delay_alu instid0(VALU_DEP_1)
	v_add3_u32 v78, v93, v78, 0x7fff
                                        ; implicit-def: $vgpr93
; %bb.48:
	s_and_not1_saveexec_b32 s4, s4
; %bb.49:
	v_and_b32_e32 v78, 0xffff, v93
	v_or_b32_e32 v79, 0x10000, v93
	s_delay_alu instid0(VALU_DEP_2) | instskip(NEXT) | instid1(VALU_DEP_2)
	v_cmp_eq_u32_e32 vcc_lo, 0, v78
	v_cndmask_b32_e32 v78, v79, v93, vcc_lo
; %bb.50:
	s_or_b32 exec_lo, exec_lo, s4
	v_and_b32_e32 v79, 0x7f800000, v80
	s_delay_alu instid0(VALU_DEP_1) | instskip(SKIP_1) | instid1(SALU_CYCLE_1)
	v_cmp_ne_u32_e32 vcc_lo, 0x7f800000, v79
                                        ; implicit-def: $vgpr79
	s_and_saveexec_b32 s4, vcc_lo
	s_xor_b32 s4, exec_lo, s4
; %bb.51:
	v_bfe_u32 v79, v80, 16, 1
	s_delay_alu instid0(VALU_DEP_1)
	v_add3_u32 v79, v80, v79, 0x7fff
                                        ; implicit-def: $vgpr80
; %bb.52:
	s_and_not1_saveexec_b32 s4, s4
; %bb.53:
	v_and_b32_e32 v79, 0xffff, v80
	v_or_b32_e32 v90, 0x10000, v80
	s_delay_alu instid0(VALU_DEP_2) | instskip(NEXT) | instid1(VALU_DEP_2)
	v_cmp_eq_u32_e32 vcc_lo, 0, v79
	v_cndmask_b32_e32 v79, v90, v80, vcc_lo
; %bb.54:
	s_or_b32 exec_lo, exec_lo, s4
	v_and_b32_e32 v80, 0x7f800000, v92
	s_delay_alu instid0(VALU_DEP_1) | instskip(SKIP_1) | instid1(SALU_CYCLE_1)
	v_cmp_ne_u32_e32 vcc_lo, 0x7f800000, v80
                                        ; implicit-def: $vgpr80
	s_and_saveexec_b32 s4, vcc_lo
	s_xor_b32 s4, exec_lo, s4
; %bb.55:
	v_bfe_u32 v80, v92, 16, 1
	s_delay_alu instid0(VALU_DEP_1)
	v_add3_u32 v80, v92, v80, 0x7fff
                                        ; implicit-def: $vgpr92
; %bb.56:
	s_and_not1_saveexec_b32 s4, s4
; %bb.57:
	v_and_b32_e32 v80, 0xffff, v92
	v_or_b32_e32 v90, 0x10000, v92
	s_delay_alu instid0(VALU_DEP_2) | instskip(NEXT) | instid1(VALU_DEP_2)
	v_cmp_eq_u32_e32 vcc_lo, 0, v80
	v_cndmask_b32_e32 v80, v90, v92, vcc_lo
; %bb.58:
	s_or_b32 exec_lo, exec_lo, s4
	v_and_b32_e32 v90, 0x7f800000, v91
	s_delay_alu instid0(VALU_DEP_1) | instskip(SKIP_1) | instid1(SALU_CYCLE_1)
	v_cmp_ne_u32_e32 vcc_lo, 0x7f800000, v90
                                        ; implicit-def: $vgpr90
	s_and_saveexec_b32 s4, vcc_lo
	s_xor_b32 s4, exec_lo, s4
; %bb.59:
	v_bfe_u32 v90, v91, 16, 1
	s_delay_alu instid0(VALU_DEP_1)
	v_add3_u32 v90, v91, v90, 0x7fff
                                        ; implicit-def: $vgpr91
; %bb.60:
	s_and_not1_saveexec_b32 s4, s4
; %bb.61:
	v_and_b32_e32 v90, 0xffff, v91
	v_or_b32_e32 v92, 0x10000, v91
	s_delay_alu instid0(VALU_DEP_2) | instskip(NEXT) | instid1(VALU_DEP_2)
	v_cmp_eq_u32_e32 vcc_lo, 0, v90
	v_cndmask_b32_e32 v90, v92, v91, vcc_lo
; %bb.62:
	s_or_b32 exec_lo, exec_lo, s4
	v_and_b32_e32 v91, 0x7f800000, v86
	s_delay_alu instid0(VALU_DEP_1) | instskip(SKIP_1) | instid1(SALU_CYCLE_1)
	v_cmp_ne_u32_e32 vcc_lo, 0x7f800000, v91
                                        ; implicit-def: $vgpr91
	s_and_saveexec_b32 s4, vcc_lo
	s_xor_b32 s4, exec_lo, s4
; %bb.63:
	v_bfe_u32 v91, v86, 16, 1
	s_delay_alu instid0(VALU_DEP_1)
	v_add3_u32 v91, v86, v91, 0x7fff
                                        ; implicit-def: $vgpr86
; %bb.64:
	s_and_not1_saveexec_b32 s4, s4
; %bb.65:
	v_and_b32_e32 v91, 0xffff, v86
	v_or_b32_e32 v92, 0x10000, v86
	s_delay_alu instid0(VALU_DEP_2) | instskip(NEXT) | instid1(VALU_DEP_2)
	v_cmp_eq_u32_e32 vcc_lo, 0, v91
	v_cndmask_b32_e32 v91, v92, v86, vcc_lo
; %bb.66:
	s_or_b32 exec_lo, exec_lo, s4
	v_and_b32_e32 v86, 0x7f800000, v87
	s_delay_alu instid0(VALU_DEP_1) | instskip(SKIP_1) | instid1(SALU_CYCLE_1)
	v_cmp_ne_u32_e32 vcc_lo, 0x7f800000, v86
                                        ; implicit-def: $vgpr86
	s_and_saveexec_b32 s4, vcc_lo
	s_xor_b32 s4, exec_lo, s4
; %bb.67:
	v_bfe_u32 v86, v87, 16, 1
	s_delay_alu instid0(VALU_DEP_1)
	v_add3_u32 v86, v87, v86, 0x7fff
                                        ; implicit-def: $vgpr87
; %bb.68:
	s_and_not1_saveexec_b32 s4, s4
; %bb.69:
	v_and_b32_e32 v86, 0xffff, v87
	v_or_b32_e32 v92, 0x10000, v87
	s_delay_alu instid0(VALU_DEP_2) | instskip(NEXT) | instid1(VALU_DEP_2)
	v_cmp_eq_u32_e32 vcc_lo, 0, v86
	v_cndmask_b32_e32 v86, v92, v87, vcc_lo
; %bb.70:
	s_or_b32 exec_lo, exec_lo, s4
	v_and_b32_e32 v87, 0x7f800000, v88
	s_delay_alu instid0(VALU_DEP_1) | instskip(SKIP_1) | instid1(SALU_CYCLE_1)
	v_cmp_ne_u32_e32 vcc_lo, 0x7f800000, v87
                                        ; implicit-def: $vgpr87
	s_and_saveexec_b32 s4, vcc_lo
	s_xor_b32 s4, exec_lo, s4
; %bb.71:
	v_bfe_u32 v87, v88, 16, 1
	s_delay_alu instid0(VALU_DEP_1)
	v_add3_u32 v87, v88, v87, 0x7fff
                                        ; implicit-def: $vgpr88
; %bb.72:
	s_and_not1_saveexec_b32 s4, s4
; %bb.73:
	v_and_b32_e32 v87, 0xffff, v88
	v_or_b32_e32 v92, 0x10000, v88
	s_delay_alu instid0(VALU_DEP_2) | instskip(NEXT) | instid1(VALU_DEP_2)
	v_cmp_eq_u32_e32 vcc_lo, 0, v87
	v_cndmask_b32_e32 v87, v92, v88, vcc_lo
; %bb.74:
	s_or_b32 exec_lo, exec_lo, s4
	v_and_b32_e32 v88, 0x7f800000, v89
	s_delay_alu instid0(VALU_DEP_1) | instskip(SKIP_1) | instid1(SALU_CYCLE_1)
	v_cmp_ne_u32_e32 vcc_lo, 0x7f800000, v88
                                        ; implicit-def: $vgpr88
	s_and_saveexec_b32 s4, vcc_lo
	s_xor_b32 s4, exec_lo, s4
; %bb.75:
	v_bfe_u32 v88, v89, 16, 1
	s_delay_alu instid0(VALU_DEP_1)
	v_add3_u32 v88, v89, v88, 0x7fff
                                        ; implicit-def: $vgpr89
; %bb.76:
	s_and_not1_saveexec_b32 s4, s4
; %bb.77:
	v_and_b32_e32 v88, 0xffff, v89
	v_or_b32_e32 v92, 0x10000, v89
	s_delay_alu instid0(VALU_DEP_2) | instskip(NEXT) | instid1(VALU_DEP_2)
	v_cmp_eq_u32_e32 vcc_lo, 0, v88
	v_cndmask_b32_e32 v88, v92, v89, vcc_lo
; %bb.78:
	s_or_b32 exec_lo, exec_lo, s4
	s_delay_alu instid0(VALU_DEP_1)
	v_perm_b32 v89, v88, v87, 0x7060302
	v_perm_b32 v88, v86, v91, 0x7060302
	;; [unrolled: 1-line block ×4, first 2 shown]
	v_lshl_or_b32 v90, v74, 11, v85
	ds_store_b128 v77, v[86:89] offset:1024
	s_waitcnt lgkmcnt(0)
	s_barrier
	buffer_gl0_inv
	ds_load_b128 v[91:94], v90
	ds_load_b128 v[95:98], v90 offset:16
	v_lshlrev_b32_e32 v87, 2, v83
	s_delay_alu instid0(VALU_DEP_1)
	v_or_b32_e32 v88, 1, v87
	v_cmp_eq_u32_e32 vcc_lo, 1, v87
	v_cmp_eq_u32_e64 s5, 2, v87
	v_cmp_eq_u32_e64 s8, 3, v87
	;; [unrolled: 1-line block ×6, first 2 shown]
	v_or_b32_e32 v86, 2, v87
	v_cmp_eq_u32_e64 s11, 5, v87
	v_cmp_eq_u32_e64 s12, 4, v88
	;; [unrolled: 1-line block ×4, first 2 shown]
	s_waitcnt lgkmcnt(1)
	v_lshrrev_b32_e32 v74, 16, v91
	s_waitcnt lgkmcnt(0)
	v_lshrrev_b32_e32 v103, 16, v95
	v_lshrrev_b32_e32 v80, 16, v94
	;; [unrolled: 1-line block ×4, first 2 shown]
	v_cndmask_b32_e32 v89, v91, v74, vcc_lo
	v_cndmask_b32_e32 v99, v95, v103, vcc_lo
	v_cndmask_b32_e64 v100, v91, v74, s4
	v_lshrrev_b32_e32 v79, 16, v93
	v_lshrrev_b32_e32 v108, 16, v97
	v_cndmask_b32_e64 v89, v89, v92, s5
	v_cndmask_b32_e64 v99, v99, v96, s5
	;; [unrolled: 1-line block ×4, first 2 shown]
	v_cmp_eq_u32_e64 s6, 1, v86
	v_cndmask_b32_e64 v89, v89, v78, s8
	v_cndmask_b32_e64 v99, v99, v107, s8
	;; [unrolled: 1-line block ×4, first 2 shown]
	v_lshrrev_b32_e32 v109, 16, v98
	v_cndmask_b32_e64 v89, v89, v93, s10
	v_cndmask_b32_e64 v99, v99, v97, s10
	;; [unrolled: 1-line block ×8, first 2 shown]
	v_cmp_eq_u32_e64 s16, 7, v87
	v_cmp_eq_u32_e64 s17, 6, v88
	v_cndmask_b32_e64 v89, v89, v94, s13
	v_cndmask_b32_e64 v99, v99, v98, s13
	v_cmp_eq_u32_e64 s18, 2, v86
	v_cndmask_b32_e64 v101, v101, v97, s12
	v_cndmask_b32_e64 v100, v100, v94, s17
	;; [unrolled: 1-line block ×6, first 2 shown]
	v_cmp_eq_u32_e64 s19, 7, v88
	v_cmp_eq_u32_e64 s20, 3, v86
	v_cmp_eq_u32_e64 s21, 4, v86
	v_cmp_eq_u32_e64 s23, 5, v86
	v_cndmask_b32_e64 v99, v99, v96, s18
	v_cndmask_b32_e64 v112, v100, v80, s19
	;; [unrolled: 1-line block ×4, first 2 shown]
	v_or_b32_e32 v89, 3, v87
	v_cndmask_b32_e64 v105, v99, v107, s20
	v_cmp_eq_u32_e64 s25, 6, v86
	v_cndmask_b32_e64 v113, v100, v98, s17
	v_cndmask_b32_e64 v104, v101, v93, s21
	ds_load_b128 v[99:102], v90 offset:1024
	v_cmp_eq_u32_e64 s22, 1, v89
	v_cmp_eq_u32_e64 s24, 2, v89
	;; [unrolled: 1-line block ×3, first 2 shown]
	v_cndmask_b32_e64 v114, v104, v79, s23
	v_cmp_eq_u32_e64 s27, 4, v89
	v_cndmask_b32_e64 v74, v91, v74, s22
	v_cndmask_b32_e64 v91, v105, v97, s21
	v_cndmask_b32_e64 v95, v95, v103, s22
	ds_load_b128 v[103:106], v90 offset:1040
	v_cmp_eq_u32_e64 s29, 5, v89
	v_cndmask_b32_e64 v74, v74, v92, s24
	v_cndmask_b32_e64 v91, v91, v108, s23
	;; [unrolled: 1-line block ×3, first 2 shown]
	v_cmp_eq_u32_e64 s30, 6, v89
	v_cndmask_b32_e64 v95, v113, v109, s19
	v_cndmask_b32_e64 v74, v74, v78, s26
	;; [unrolled: 1-line block ×5, first 2 shown]
	s_waitcnt lgkmcnt(1)
	v_lshrrev_b32_e32 v96, 16, v99
	v_cndmask_b32_e64 v74, v74, v93, s27
	v_lshrrev_b32_e32 v107, 16, v100
	v_cndmask_b32_e64 v92, v92, v97, s27
	v_cmp_eq_u32_e64 s28, 7, v86
	v_cndmask_b32_e32 v93, v99, v96, vcc_lo
	v_cndmask_b32_e64 v74, v74, v79, s29
	s_delay_alu instid0(VALU_DEP_4)
	v_cndmask_b32_e64 v79, v92, v108, s29
	s_waitcnt lgkmcnt(0)
	v_lshrrev_b32_e32 v97, 16, v103
	v_cndmask_b32_e64 v92, v93, v100, s5
	v_cndmask_b32_e64 v93, v99, v96, s4
	;; [unrolled: 1-line block ×4, first 2 shown]
	v_cndmask_b32_e32 v108, v103, v97, vcc_lo
	v_cndmask_b32_e64 v92, v92, v107, s8
	v_cndmask_b32_e64 v93, v93, v100, s7
	v_lshrrev_b32_e32 v98, 16, v104
	v_cmp_eq_u32_e32 vcc_lo, 7, v89
	v_cndmask_b32_e64 v94, v108, v104, s5
	v_cndmask_b32_e64 v92, v92, v101, s10
	v_lshrrev_b32_e32 v108, 16, v101
	v_cndmask_b32_e64 v93, v93, v107, s9
	v_cndmask_b32_e32 v74, v74, v80, vcc_lo
	v_cndmask_b32_e64 v94, v94, v98, s8
	v_cndmask_b32_e32 v79, v79, v109, vcc_lo
	v_cndmask_b32_e64 v92, v92, v108, s11
	v_cndmask_b32_e64 v78, v78, v80, s28
	;; [unrolled: 1-line block ×4, first 2 shown]
	v_perm_b32 v94, v79, v74, 0x5040100
	v_cndmask_b32_e64 v79, v92, v102, s13
	v_perm_b32 v92, v95, v112, 0x5040100
	v_cndmask_b32_e64 v95, v99, v96, s6
	v_cndmask_b32_e64 v96, v99, v96, s22
	;; [unrolled: 1-line block ×16, first 2 shown]
	v_lshrrev_b32_e32 v109, 16, v105
	v_cndmask_b32_e64 v95, v95, v101, s21
	v_cndmask_b32_e64 v96, v96, v101, s27
	;; [unrolled: 1-line block ×6, first 2 shown]
	v_lshrrev_b32_e32 v80, 16, v102
	v_cndmask_b32_e64 v113, v93, v109, s11
	v_cndmask_b32_e64 v95, v95, v108, s23
	;; [unrolled: 1-line block ×6, first 2 shown]
	v_perm_b32 v93, v91, v78, 0x5040100
	v_cndmask_b32_e64 v74, v74, v102, s17
	v_cndmask_b32_e64 v78, v79, v80, s16
	;; [unrolled: 1-line block ×3, first 2 shown]
	v_lshrrev_b32_e32 v91, 16, v106
	v_cndmask_b32_e64 v95, v95, v102, s25
	v_cndmask_b32_e64 v96, v96, v102, s30
	v_cndmask_b32_e64 v98, v98, v106, s30
	v_cndmask_b32_e64 v99, v99, v106, s25
	v_cndmask_b32_e64 v97, v97, v106, s17
	v_cndmask_b32_e64 v74, v74, v80, s19
	v_cndmask_b32_e64 v95, v95, v80, s28
	v_cndmask_b32_e32 v80, v96, v80, vcc_lo
	v_cndmask_b32_e32 v96, v98, v91, vcc_lo
	v_cndmask_b32_e64 v99, v99, v91, s28
	v_cndmask_b32_e64 v100, v97, v91, s19
	v_cndmask_b32_e64 v79, v79, v91, s16
	v_perm_b32 v91, v111, v110, 0x5040100
	v_perm_b32 v98, v96, v80, 0x5040100
	;; [unrolled: 1-line block ×5, first 2 shown]
	s_mul_i32 s9, s37, 13
	s_mov_b32 s4, exec_lo
	ds_store_b128 v77, v[91:94]
	ds_store_b128 v77, v[95:98] offset:1024
	v_cmpx_gt_u32_e32 13, v0
	s_cbranch_execz .LBB570_80
; %bb.79:
	s_mul_i32 s5, s9, s34
	s_load_b128 s[16:19], s[0:1], 0x58
	v_add3_u32 v77, s5, s31, v73
	s_delay_alu instid0(VALU_DEP_1) | instskip(NEXT) | instid1(VALU_DEP_1)
	v_mad_u64_u32 v[73:74], null, v77, s36, s[14:15]
	v_ashrrev_i32_e32 v74, 31, v73
	s_delay_alu instid0(VALU_DEP_1) | instskip(SKIP_1) | instid1(VALU_DEP_1)
	v_lshlrev_b64 v[73:74], 2, v[73:74]
	s_waitcnt lgkmcnt(0)
	v_add_co_u32 v77, vcc_lo, s18, v73
	s_delay_alu instid0(VALU_DEP_2)
	v_add_co_ci_u32_e32 v78, vcc_lo, s19, v74, vcc_lo
	v_add_co_u32 v73, vcc_lo, s16, v73
	v_add_co_ci_u32_e32 v74, vcc_lo, s17, v74, vcc_lo
	global_store_b32 v[77:78], v75, off
	global_store_b32 v[73:74], v76, off
.LBB570_80:
	s_or_b32 exec_lo, exec_lo, s4
	s_waitcnt lgkmcnt(0)
	s_waitcnt_vscnt null, 0x0
	s_barrier
	buffer_gl0_inv
	ds_load_b128 v[91:94], v85
	ds_load_b128 v[95:98], v85 offset:16
	ds_load_b128 v[103:106], v85 offset:1040
	;; [unrolled: 1-line block ×3, first 2 shown]
	v_mov_b32_e32 v73, 0
	ds_load_b128 v[111:114], v85 offset:2064
	ds_load_b128 v[107:110], v85 offset:2048
	;; [unrolled: 1-line block ×6, first 2 shown]
	v_mov_b32_e32 v74, v73
	v_mov_b32_e32 v75, v73
	;; [unrolled: 1-line block ×7, first 2 shown]
	s_waitcnt lgkmcnt(8)
	s_delay_alu instid0(VALU_DEP_1)
	v_wmma_f32_16x16x16_bf16 v[73:80], v[65:72], v[91:98], v[73:80]
	ds_load_b128 v[69:72], v85 offset:5136
	ds_load_b128 v[65:68], v85 offset:5120
	;; [unrolled: 1-line block ×4, first 2 shown]
	s_waitcnt lgkmcnt(10)
	v_wmma_f32_16x16x16_bf16 v[73:80], v[57:64], v[99:106], v[73:80]
	s_waitcnt lgkmcnt(8)
	s_delay_alu instid0(VALU_DEP_1)
	v_wmma_f32_16x16x16_bf16 v[73:80], v[57:64], v[107:114], v[73:80]
	ds_load_b128 v[61:64], v85 offset:7184
	ds_load_b128 v[57:60], v85 offset:7168
	;; [unrolled: 1-line block ×4, first 2 shown]
	s_waitcnt lgkmcnt(10)
	v_wmma_f32_16x16x16_bf16 v[73:80], v[49:56], v[115:122], v[73:80]
	s_waitcnt lgkmcnt(8)
	s_delay_alu instid0(VALU_DEP_1)
	v_wmma_f32_16x16x16_bf16 v[73:80], v[49:56], v[123:130], v[73:80]
	ds_load_b128 v[53:56], v85 offset:9232
	ds_load_b128 v[49:52], v85 offset:9216
	s_waitcnt lgkmcnt(8)
	v_wmma_f32_16x16x16_bf16 v[73:80], v[41:48], v[65:72], v[73:80]
	ds_load_b128 v[69:72], v85 offset:10256
	ds_load_b128 v[65:68], v85 offset:10240
	s_waitcnt lgkmcnt(8)
	;; [unrolled: 4-line block ×3, first 2 shown]
	v_wmma_f32_16x16x16_bf16 v[73:80], v[9:16], v[57:64], v[73:80]
	s_waitcnt lgkmcnt(6)
	s_delay_alu instid0(VALU_DEP_1)
	v_wmma_f32_16x16x16_bf16 v[73:80], v[9:16], v[99:106], v[73:80]
	ds_load_b128 v[13:16], v85 offset:12304
	ds_load_b128 v[9:12], v85 offset:12288
	s_waitcnt lgkmcnt(6)
	v_wmma_f32_16x16x16_bf16 v[73:80], v[1:8], v[49:56], v[73:80]
	ds_load_b128 v[53:56], v85 offset:13328
	ds_load_b128 v[49:52], v85 offset:13312
	s_waitcnt lgkmcnt(6)
	;; [unrolled: 4-line block ×4, first 2 shown]
	v_wmma_f32_16x16x16_bf16 v[73:80], v[33:40], v[9:16], v[73:80]
	s_waitcnt lgkmcnt(4)
	s_delay_alu instid0(VALU_DEP_1) | instskip(SKIP_1) | instid1(VALU_DEP_1)
	v_wmma_f32_16x16x16_bf16 v[73:80], v[25:32], v[49:56], v[73:80]
	s_waitcnt lgkmcnt(2)
	v_wmma_f32_16x16x16_bf16 v[73:80], v[25:32], v[1:8], v[73:80]
	s_waitcnt lgkmcnt(0)
	s_delay_alu instid0(VALU_DEP_1) | instskip(NEXT) | instid1(VALU_DEP_1)
	v_wmma_f32_16x16x16_bf16 v[73:80], v[17:24], v[41:48], v[73:80]
	v_and_b32_e32 v1, 0x7f800000, v73
	s_delay_alu instid0(VALU_DEP_1) | instskip(SKIP_1) | instid1(SALU_CYCLE_1)
	v_cmp_ne_u32_e32 vcc_lo, 0x7f800000, v1
                                        ; implicit-def: $vgpr1
	s_and_saveexec_b32 s4, vcc_lo
	s_xor_b32 s4, exec_lo, s4
; %bb.81:
	v_bfe_u32 v1, v73, 16, 1
	s_delay_alu instid0(VALU_DEP_1)
	v_add3_u32 v1, v73, v1, 0x7fff
; %bb.82:
	s_and_not1_saveexec_b32 s4, s4
; %bb.83:
	v_and_b32_e32 v1, 0xffff, v73
	v_or_b32_e32 v2, 0x10000, v73
	s_delay_alu instid0(VALU_DEP_2) | instskip(NEXT) | instid1(VALU_DEP_2)
	v_cmp_eq_u32_e32 vcc_lo, 0, v1
	v_cndmask_b32_e32 v1, v2, v73, vcc_lo
; %bb.84:
	s_or_b32 exec_lo, exec_lo, s4
	v_and_b32_e32 v2, 0x7f800000, v74
	s_delay_alu instid0(VALU_DEP_1) | instskip(SKIP_1) | instid1(SALU_CYCLE_1)
	v_cmp_ne_u32_e32 vcc_lo, 0x7f800000, v2
                                        ; implicit-def: $vgpr2
	s_and_saveexec_b32 s4, vcc_lo
	s_xor_b32 s4, exec_lo, s4
; %bb.85:
	v_bfe_u32 v2, v74, 16, 1
	s_delay_alu instid0(VALU_DEP_1)
	v_add3_u32 v2, v74, v2, 0x7fff
; %bb.86:
	s_and_not1_saveexec_b32 s4, s4
; %bb.87:
	v_and_b32_e32 v2, 0xffff, v74
	v_or_b32_e32 v3, 0x10000, v74
	s_delay_alu instid0(VALU_DEP_2) | instskip(NEXT) | instid1(VALU_DEP_2)
	v_cmp_eq_u32_e32 vcc_lo, 0, v2
	v_cndmask_b32_e32 v2, v3, v74, vcc_lo
; %bb.88:
	s_or_b32 exec_lo, exec_lo, s4
	v_and_b32_e32 v3, 0x7f800000, v75
	s_delay_alu instid0(VALU_DEP_1) | instskip(SKIP_1) | instid1(SALU_CYCLE_1)
	v_cmp_ne_u32_e32 vcc_lo, 0x7f800000, v3
                                        ; implicit-def: $vgpr3
	s_and_saveexec_b32 s4, vcc_lo
	s_xor_b32 s4, exec_lo, s4
; %bb.89:
	v_bfe_u32 v3, v75, 16, 1
	s_delay_alu instid0(VALU_DEP_1)
	v_add3_u32 v3, v75, v3, 0x7fff
; %bb.90:
	s_and_not1_saveexec_b32 s4, s4
; %bb.91:
	v_and_b32_e32 v3, 0xffff, v75
	v_or_b32_e32 v4, 0x10000, v75
	s_delay_alu instid0(VALU_DEP_2) | instskip(NEXT) | instid1(VALU_DEP_2)
	v_cmp_eq_u32_e32 vcc_lo, 0, v3
	v_cndmask_b32_e32 v3, v4, v75, vcc_lo
; %bb.92:
	s_or_b32 exec_lo, exec_lo, s4
	v_and_b32_e32 v4, 0x7f800000, v76
	s_delay_alu instid0(VALU_DEP_1) | instskip(SKIP_1) | instid1(SALU_CYCLE_1)
	v_cmp_ne_u32_e32 vcc_lo, 0x7f800000, v4
                                        ; implicit-def: $vgpr4
	s_and_saveexec_b32 s4, vcc_lo
	s_xor_b32 s4, exec_lo, s4
; %bb.93:
	v_bfe_u32 v4, v76, 16, 1
	s_delay_alu instid0(VALU_DEP_1)
	v_add3_u32 v4, v76, v4, 0x7fff
; %bb.94:
	s_and_not1_saveexec_b32 s4, s4
; %bb.95:
	v_and_b32_e32 v4, 0xffff, v76
	v_or_b32_e32 v5, 0x10000, v76
	s_delay_alu instid0(VALU_DEP_2) | instskip(NEXT) | instid1(VALU_DEP_2)
	v_cmp_eq_u32_e32 vcc_lo, 0, v4
	v_cndmask_b32_e32 v4, v5, v76, vcc_lo
; %bb.96:
	s_or_b32 exec_lo, exec_lo, s4
	v_and_b32_e32 v5, 0x7f800000, v77
	s_delay_alu instid0(VALU_DEP_1) | instskip(SKIP_1) | instid1(SALU_CYCLE_1)
	v_cmp_ne_u32_e32 vcc_lo, 0x7f800000, v5
                                        ; implicit-def: $vgpr5
	s_and_saveexec_b32 s4, vcc_lo
	s_xor_b32 s4, exec_lo, s4
; %bb.97:
	v_bfe_u32 v5, v77, 16, 1
	s_delay_alu instid0(VALU_DEP_1)
	v_add3_u32 v5, v77, v5, 0x7fff
; %bb.98:
	s_and_not1_saveexec_b32 s4, s4
; %bb.99:
	v_and_b32_e32 v5, 0xffff, v77
	v_or_b32_e32 v6, 0x10000, v77
	s_delay_alu instid0(VALU_DEP_2) | instskip(NEXT) | instid1(VALU_DEP_2)
	v_cmp_eq_u32_e32 vcc_lo, 0, v5
	v_cndmask_b32_e32 v5, v6, v77, vcc_lo
; %bb.100:
	s_or_b32 exec_lo, exec_lo, s4
	v_and_b32_e32 v6, 0x7f800000, v78
	s_delay_alu instid0(VALU_DEP_1) | instskip(SKIP_1) | instid1(SALU_CYCLE_1)
	v_cmp_ne_u32_e32 vcc_lo, 0x7f800000, v6
                                        ; implicit-def: $vgpr6
	s_and_saveexec_b32 s4, vcc_lo
	s_xor_b32 s4, exec_lo, s4
; %bb.101:
	v_bfe_u32 v6, v78, 16, 1
	s_delay_alu instid0(VALU_DEP_1)
	v_add3_u32 v6, v78, v6, 0x7fff
; %bb.102:
	s_and_not1_saveexec_b32 s4, s4
; %bb.103:
	v_and_b32_e32 v6, 0xffff, v78
	v_or_b32_e32 v7, 0x10000, v78
	s_delay_alu instid0(VALU_DEP_2) | instskip(NEXT) | instid1(VALU_DEP_2)
	v_cmp_eq_u32_e32 vcc_lo, 0, v6
	v_cndmask_b32_e32 v6, v7, v78, vcc_lo
; %bb.104:
	s_or_b32 exec_lo, exec_lo, s4
	v_and_b32_e32 v7, 0x7f800000, v79
	s_delay_alu instid0(VALU_DEP_1) | instskip(SKIP_1) | instid1(SALU_CYCLE_1)
	v_cmp_ne_u32_e32 vcc_lo, 0x7f800000, v7
                                        ; implicit-def: $vgpr7
	s_and_saveexec_b32 s4, vcc_lo
	s_xor_b32 s4, exec_lo, s4
; %bb.105:
	v_bfe_u32 v7, v79, 16, 1
	s_delay_alu instid0(VALU_DEP_1)
	v_add3_u32 v7, v79, v7, 0x7fff
; %bb.106:
	s_and_not1_saveexec_b32 s4, s4
; %bb.107:
	v_and_b32_e32 v7, 0xffff, v79
	v_or_b32_e32 v8, 0x10000, v79
	s_delay_alu instid0(VALU_DEP_2) | instskip(NEXT) | instid1(VALU_DEP_2)
	v_cmp_eq_u32_e32 vcc_lo, 0, v7
	v_cndmask_b32_e32 v7, v8, v79, vcc_lo
; %bb.108:
	s_or_b32 exec_lo, exec_lo, s4
	v_and_b32_e32 v8, 0x7f800000, v80
	s_delay_alu instid0(VALU_DEP_1) | instskip(SKIP_1) | instid1(SALU_CYCLE_1)
	v_cmp_ne_u32_e32 vcc_lo, 0x7f800000, v8
                                        ; implicit-def: $vgpr8
	s_and_saveexec_b32 s4, vcc_lo
	s_xor_b32 s4, exec_lo, s4
; %bb.109:
	v_bfe_u32 v8, v80, 16, 1
	s_delay_alu instid0(VALU_DEP_1)
	v_add3_u32 v8, v80, v8, 0x7fff
                                        ; implicit-def: $vgpr73_vgpr74_vgpr75_vgpr76_vgpr77_vgpr78_vgpr79_vgpr80
; %bb.110:
	s_and_not1_saveexec_b32 s4, s4
; %bb.111:
	v_and_b32_e32 v8, 0xffff, v80
	v_or_b32_e32 v9, 0x10000, v80
	s_delay_alu instid0(VALU_DEP_2) | instskip(NEXT) | instid1(VALU_DEP_2)
	v_cmp_eq_u32_e32 vcc_lo, 0, v8
	v_cndmask_b32_e32 v8, v9, v80, vcc_lo
; %bb.112:
	s_or_b32 exec_lo, exec_lo, s4
	s_delay_alu instid0(VALU_DEP_1)
	v_perm_b32 v7, v8, v7, 0x7060302
	v_perm_b32 v6, v6, v5, 0x7060302
	;; [unrolled: 1-line block ×4, first 2 shown]
	v_lshl_or_b32 v9, v83, 4, v90
	s_barrier
	buffer_gl0_inv
	v_cmp_eq_u32_e32 vcc_lo, 1, v87
	ds_store_b128 v9, v[4:7]
	s_waitcnt lgkmcnt(0)
	s_barrier
	buffer_gl0_inv
	ds_load_b128 v[1:4], v90
	ds_load_b128 v[5:8], v90 offset:16
	v_cmp_eq_u32_e64 s5, 2, v87
	v_cmp_eq_u32_e64 s4, 1, v88
	;; [unrolled: 1-line block ×5, first 2 shown]
	s_waitcnt lgkmcnt(1)
	v_lshrrev_b32_e32 v10, 16, v1
	s_waitcnt lgkmcnt(0)
	v_lshrrev_b32_e32 v14, 16, v5
	v_lshrrev_b32_e32 v15, 16, v6
	v_lshrrev_b32_e32 v11, 16, v2
	v_lshrrev_b32_e32 v12, 16, v3
	v_cndmask_b32_e64 v20, v1, v10, s4
	v_cndmask_b32_e32 v19, v5, v14, vcc_lo
	v_cndmask_b32_e64 v21, v5, v14, s4
	v_lshrrev_b32_e32 v16, 16, v7
	v_cmp_eq_u32_e64 s4, 1, v86
	v_lshrrev_b32_e32 v13, 16, v4
	v_cndmask_b32_e64 v19, v19, v6, s5
	v_lshrrev_b32_e32 v17, 16, v8
	s_delay_alu instid0(VALU_DEP_4) | instskip(SKIP_1) | instid1(VALU_DEP_4)
	v_cndmask_b32_e64 v22, v1, v10, s4
	v_cndmask_b32_e64 v23, v5, v14, s4
	v_cndmask_b32_e64 v19, v19, v15, s6
	v_cndmask_b32_e32 v18, v1, v10, vcc_lo
	v_cmp_eq_u32_e32 vcc_lo, 2, v88
	v_cmp_eq_u32_e64 s4, 2, v89
	v_cndmask_b32_e64 v22, v22, v2, s8
	v_cndmask_b32_e32 v20, v20, v2, vcc_lo
	v_cndmask_b32_e32 v21, v21, v6, vcc_lo
	v_cmp_eq_u32_e32 vcc_lo, 4, v87
	v_cndmask_b32_e32 v19, v19, v7, vcc_lo
	v_cndmask_b32_e64 v18, v18, v2, s5
	v_cmp_eq_u32_e64 s5, 3, v88
	s_delay_alu instid0(VALU_DEP_2) | instskip(NEXT) | instid1(VALU_DEP_2)
	v_cndmask_b32_e64 v18, v18, v11, s6
	v_cndmask_b32_e64 v21, v21, v15, s5
	v_cmp_eq_u32_e64 s6, 5, v87
	s_delay_alu instid0(VALU_DEP_3) | instskip(SKIP_1) | instid1(VALU_DEP_3)
	v_cndmask_b32_e32 v18, v18, v3, vcc_lo
	v_cmp_eq_u32_e32 vcc_lo, 4, v88
	v_cndmask_b32_e64 v19, v19, v16, s6
	s_delay_alu instid0(VALU_DEP_3) | instskip(SKIP_4) | instid1(VALU_DEP_3)
	v_cndmask_b32_e64 v18, v18, v12, s6
	v_cndmask_b32_e32 v21, v21, v7, vcc_lo
	v_cndmask_b32_e64 v20, v20, v11, s5
	v_cmp_eq_u32_e64 s5, 5, v88
	v_cmp_eq_u32_e64 s6, 6, v87
	v_cndmask_b32_e32 v20, v20, v3, vcc_lo
	s_delay_alu instid0(VALU_DEP_3) | instskip(SKIP_1) | instid1(VALU_DEP_4)
	v_cndmask_b32_e64 v21, v21, v16, s5
	v_cmp_eq_u32_e32 vcc_lo, 6, v88
	v_cndmask_b32_e64 v18, v18, v4, s6
	v_cndmask_b32_e64 v19, v19, v8, s6
	;; [unrolled: 1-line block ×3, first 2 shown]
	v_cmp_eq_u32_e64 s5, 1, v89
	v_cmp_eq_u32_e64 s6, 7, v87
	s_delay_alu instid0(VALU_DEP_3) | instskip(NEXT) | instid1(VALU_DEP_3)
	v_cndmask_b32_e32 v20, v20, v4, vcc_lo
	v_cndmask_b32_e64 v1, v1, v10, s5
	v_cndmask_b32_e64 v5, v5, v14, s5
	v_cmp_eq_u32_e64 s5, 3, v86
	v_cndmask_b32_e64 v14, v23, v6, s8
	v_cmp_eq_u32_e64 s8, 3, v89
	v_cndmask_b32_e64 v1, v1, v2, s4
	v_cndmask_b32_e64 v2, v5, v6, s4
	;; [unrolled: 1-line block ×3, first 2 shown]
	v_cmp_eq_u32_e64 s4, 4, v86
	v_cndmask_b32_e64 v6, v14, v15, s5
	v_cndmask_b32_e64 v1, v1, v11, s8
	v_cmp_eq_u32_e64 s5, 4, v89
	v_cndmask_b32_e64 v2, v2, v15, s8
	v_cndmask_b32_e64 v5, v10, v3, s4
	;; [unrolled: 3-line block ×3, first 2 shown]
	v_cndmask_b32_e64 v2, v2, v7, s5
	v_cmp_eq_u32_e64 s4, 5, v89
	v_cndmask_b32_e64 v5, v5, v12, s8
	v_cmp_eq_u32_e64 s5, 6, v86
	;; [unrolled: 2-line block ×3, first 2 shown]
	v_cndmask_b32_e64 v1, v1, v12, s4
	v_cndmask_b32_e64 v2, v2, v16, s4
	v_cndmask_b32_e64 v5, v5, v4, s5
	v_cndmask_b32_e64 v3, v3, v8, s5
	v_cmp_eq_u32_e64 s4, 7, v89
	v_cndmask_b32_e64 v1, v1, v4, s8
	v_cndmask_b32_e64 v2, v2, v8, s8
	v_cmp_eq_u32_e64 s5, 7, v86
	v_cndmask_b32_e32 v4, v21, v8, vcc_lo
	v_cndmask_b32_e64 v18, v18, v13, s6
	v_cndmask_b32_e64 v20, v20, v13, s7
	;; [unrolled: 1-line block ×8, first 2 shown]
	v_cmp_gt_u32_e32 vcc_lo, 32, v0
	v_perm_b32 v4, v2, v1, 0x5040100
	v_perm_b32 v3, v3, v5, 0x5040100
	;; [unrolled: 1-line block ×4, first 2 shown]
	s_and_b32 s2, vcc_lo, s2
	ds_store_b128 v9, v[1:4]
	s_waitcnt lgkmcnt(0)
	s_barrier
	buffer_gl0_inv
	s_and_saveexec_b32 s4, s2
	s_cbranch_execz .LBB570_2
; %bb.113:
	s_load_b64 s[4:5], s[0:1], 0x68
	v_lshlrev_b32_e32 v0, 10, v0
	v_lshlrev_b32_e32 v1, 4, v84
	s_lshl_b32 s0, s36, 6
	v_add_nc_u32_e32 v18, s31, v83
	s_mul_i32 s1, s0, s34
	s_delay_alu instid0(VALU_DEP_2) | instskip(SKIP_1) | instid1(VALU_DEP_2)
	v_and_or_b32 v0, 0x3800, v0, v1
	s_mul_i32 s6, s1, s9
	v_mul_lo_u32 v1, v18, s0
	s_ashr_i32 s7, s6, 31
	v_add_nc_u32_e32 v2, 2, v18
	v_lshl_or_b32 v19, v83, 6, v0
	s_lshl_b64 s[6:7], s[6:7], 1
	v_add_nc_u32_e32 v8, 4, v18
	v_add_nc_u32_e32 v15, 6, v18
	v_mul_lo_u32 v7, v2, s0
	ds_load_b128 v[3:6], v19
	v_ashrrev_i32_e32 v2, 31, v1
	v_mul_lo_u32 v11, v8, s0
	s_waitcnt lgkmcnt(0)
	s_add_u32 s1, s4, s6
	s_addc_u32 s2, s5, s7
	s_lshl_b32 s4, s14, 6
	v_lshlrev_b64 v[9:10], 1, v[1:2]
	s_ashr_i32 s5, s4, 31
	v_ashrrev_i32_e32 v8, 31, v7
	s_lshl_b64 s[4:5], s[4:5], 1
	v_ashrrev_i32_e32 v12, 31, v11
	s_add_u32 s1, s1, s4
	s_addc_u32 s2, s2, s5
	v_add_co_u32 v1, vcc_lo, s1, v81
	v_add_co_ci_u32_e32 v2, vcc_lo, s2, v82, vcc_lo
	v_mul_lo_u32 v15, v15, s0
	s_delay_alu instid0(VALU_DEP_3) | instskip(NEXT) | instid1(VALU_DEP_3)
	v_add_co_u32 v13, vcc_lo, v1, v9
	v_add_co_ci_u32_e32 v14, vcc_lo, v2, v10, vcc_lo
	v_lshlrev_b64 v[16:17], 1, v[7:8]
	ds_load_b128 v[7:10], v19 offset:128
	global_store_b128 v[13:14], v[3:6], off
	v_add_nc_u32_e32 v5, 8, v18
	v_lshlrev_b64 v[3:4], 1, v[11:12]
	v_add_co_u32 v23, vcc_lo, v1, v16
	v_ashrrev_i32_e32 v16, 31, v15
	s_delay_alu instid0(VALU_DEP_4) | instskip(SKIP_3) | instid1(VALU_DEP_3)
	v_mul_lo_u32 v25, v5, s0
	v_add_nc_u32_e32 v5, 10, v18
	v_add_co_ci_u32_e32 v24, vcc_lo, v2, v17, vcc_lo
	v_add_co_u32 v27, vcc_lo, v1, v3
	v_mul_lo_u32 v29, v5, s0
	v_add_co_ci_u32_e32 v28, vcc_lo, v2, v4, vcc_lo
	v_lshlrev_b64 v[31:32], 1, v[15:16]
	ds_load_b128 v[3:6], v19 offset:256
	ds_load_b128 v[11:14], v19 offset:384
	;; [unrolled: 1-line block ×4, first 2 shown]
	v_ashrrev_i32_e32 v26, 31, v25
	v_ashrrev_i32_e32 v30, 31, v29
	v_add_co_u32 v31, vcc_lo, v1, v31
	s_delay_alu instid0(VALU_DEP_3) | instskip(SKIP_1) | instid1(VALU_DEP_4)
	v_lshlrev_b64 v[25:26], 1, v[25:26]
	v_add_co_ci_u32_e32 v32, vcc_lo, v2, v32, vcc_lo
	v_lshlrev_b64 v[29:30], 1, v[29:30]
	s_delay_alu instid0(VALU_DEP_3) | instskip(NEXT) | instid1(VALU_DEP_4)
	v_add_co_u32 v25, vcc_lo, v1, v25
	v_add_co_ci_u32_e32 v26, vcc_lo, v2, v26, vcc_lo
	s_delay_alu instid0(VALU_DEP_3) | instskip(NEXT) | instid1(VALU_DEP_4)
	v_add_co_u32 v29, vcc_lo, v1, v29
	v_add_co_ci_u32_e32 v30, vcc_lo, v2, v30, vcc_lo
	s_waitcnt lgkmcnt(4)
	global_store_b128 v[23:24], v[7:10], off
	s_waitcnt lgkmcnt(3)
	global_store_b128 v[27:28], v[3:6], off
	s_waitcnt lgkmcnt(2)
	global_store_b128 v[31:32], v[11:14], off
	s_waitcnt lgkmcnt(1)
	global_store_b128 v[25:26], v[15:18], off
	s_waitcnt lgkmcnt(0)
	global_store_b128 v[29:30], v[19:22], off
	s_and_b32 exec_lo, exec_lo, s3
	s_cbranch_execz .LBB570_2
; %bb.114:
	ds_load_b128 v[3:6], v0 offset:768
	s_add_i32 s1, s31, 12
	s_delay_alu instid0(SALU_CYCLE_1) | instskip(NEXT) | instid1(SALU_CYCLE_1)
	s_mul_i32 s0, s1, s0
	s_ashr_i32 s1, s0, 31
	s_delay_alu instid0(SALU_CYCLE_1) | instskip(NEXT) | instid1(SALU_CYCLE_1)
	s_lshl_b64 s[0:1], s[0:1], 1
	v_add_co_u32 v0, vcc_lo, v1, s0
	v_add_co_ci_u32_e32 v1, vcc_lo, s1, v2, vcc_lo
	s_waitcnt lgkmcnt(0)
	global_store_b128 v[0:1], v[3:6], off
	s_nop 0
	s_sendmsg sendmsg(MSG_DEALLOC_VGPRS)
	s_endpgm
	.section	.rodata,"a",@progbits
	.p2align	6, 0x0
	.amdhsa_kernel _Z39paged_attention_ll4mi_QKV_mfma16_kernelI14__hip_bfloat16S0_LN4vllm18Fp8KVCacheDataTypeE0ES0_Li32ELi64ELi256ELb0ELi13EL8MFMAType0EEvPKT_PKT0_S9_ifPKiSB_SB_iPKfiiiPfSE_PS4_PT2_iSD_SD_
		.amdhsa_group_segment_fixed_size 17472
		.amdhsa_private_segment_fixed_size 0
		.amdhsa_kernarg_size 400
		.amdhsa_user_sgpr_count 13
		.amdhsa_user_sgpr_dispatch_ptr 0
		.amdhsa_user_sgpr_queue_ptr 0
		.amdhsa_user_sgpr_kernarg_segment_ptr 1
		.amdhsa_user_sgpr_dispatch_id 0
		.amdhsa_user_sgpr_private_segment_size 0
		.amdhsa_wavefront_size32 1
		.amdhsa_uses_dynamic_stack 0
		.amdhsa_enable_private_segment 0
		.amdhsa_system_sgpr_workgroup_id_x 1
		.amdhsa_system_sgpr_workgroup_id_y 1
		.amdhsa_system_sgpr_workgroup_id_z 1
		.amdhsa_system_sgpr_workgroup_info 0
		.amdhsa_system_vgpr_workitem_id 0
		.amdhsa_next_free_vgpr 142
		.amdhsa_next_free_sgpr 39
		.amdhsa_reserve_vcc 1
		.amdhsa_float_round_mode_32 0
		.amdhsa_float_round_mode_16_64 0
		.amdhsa_float_denorm_mode_32 3
		.amdhsa_float_denorm_mode_16_64 3
		.amdhsa_dx10_clamp 1
		.amdhsa_ieee_mode 1
		.amdhsa_fp16_overflow 0
		.amdhsa_workgroup_processor_mode 1
		.amdhsa_memory_ordered 1
		.amdhsa_forward_progress 0
		.amdhsa_shared_vgpr_count 0
		.amdhsa_exception_fp_ieee_invalid_op 0
		.amdhsa_exception_fp_denorm_src 0
		.amdhsa_exception_fp_ieee_div_zero 0
		.amdhsa_exception_fp_ieee_overflow 0
		.amdhsa_exception_fp_ieee_underflow 0
		.amdhsa_exception_fp_ieee_inexact 0
		.amdhsa_exception_int_div_zero 0
	.end_amdhsa_kernel
	.section	.text._Z39paged_attention_ll4mi_QKV_mfma16_kernelI14__hip_bfloat16S0_LN4vllm18Fp8KVCacheDataTypeE0ES0_Li32ELi64ELi256ELb0ELi13EL8MFMAType0EEvPKT_PKT0_S9_ifPKiSB_SB_iPKfiiiPfSE_PS4_PT2_iSD_SD_,"axG",@progbits,_Z39paged_attention_ll4mi_QKV_mfma16_kernelI14__hip_bfloat16S0_LN4vllm18Fp8KVCacheDataTypeE0ES0_Li32ELi64ELi256ELb0ELi13EL8MFMAType0EEvPKT_PKT0_S9_ifPKiSB_SB_iPKfiiiPfSE_PS4_PT2_iSD_SD_,comdat
.Lfunc_end570:
	.size	_Z39paged_attention_ll4mi_QKV_mfma16_kernelI14__hip_bfloat16S0_LN4vllm18Fp8KVCacheDataTypeE0ES0_Li32ELi64ELi256ELb0ELi13EL8MFMAType0EEvPKT_PKT0_S9_ifPKiSB_SB_iPKfiiiPfSE_PS4_PT2_iSD_SD_, .Lfunc_end570-_Z39paged_attention_ll4mi_QKV_mfma16_kernelI14__hip_bfloat16S0_LN4vllm18Fp8KVCacheDataTypeE0ES0_Li32ELi64ELi256ELb0ELi13EL8MFMAType0EEvPKT_PKT0_S9_ifPKiSB_SB_iPKfiiiPfSE_PS4_PT2_iSD_SD_
                                        ; -- End function
	.section	.AMDGPU.csdata,"",@progbits
; Kernel info:
; codeLenInByte = 9588
; NumSgprs: 41
; NumVgprs: 142
; ScratchSize: 0
; MemoryBound: 0
; FloatMode: 240
; IeeeMode: 1
; LDSByteSize: 17472 bytes/workgroup (compile time only)
; SGPRBlocks: 5
; VGPRBlocks: 17
; NumSGPRsForWavesPerEU: 41
; NumVGPRsForWavesPerEU: 142
; Occupancy: 10
; WaveLimiterHint : 1
; COMPUTE_PGM_RSRC2:SCRATCH_EN: 0
; COMPUTE_PGM_RSRC2:USER_SGPR: 13
; COMPUTE_PGM_RSRC2:TRAP_HANDLER: 0
; COMPUTE_PGM_RSRC2:TGID_X_EN: 1
; COMPUTE_PGM_RSRC2:TGID_Y_EN: 1
; COMPUTE_PGM_RSRC2:TGID_Z_EN: 1
; COMPUTE_PGM_RSRC2:TIDIG_COMP_CNT: 0
	.section	.text._Z39paged_attention_ll4mi_QKV_mfma16_kernelI14__hip_bfloat16S0_LN4vllm18Fp8KVCacheDataTypeE0ES0_Li32ELi64ELi256ELb0ELi14EL8MFMAType0EEvPKT_PKT0_S9_ifPKiSB_SB_iPKfiiiPfSE_PS4_PT2_iSD_SD_,"axG",@progbits,_Z39paged_attention_ll4mi_QKV_mfma16_kernelI14__hip_bfloat16S0_LN4vllm18Fp8KVCacheDataTypeE0ES0_Li32ELi64ELi256ELb0ELi14EL8MFMAType0EEvPKT_PKT0_S9_ifPKiSB_SB_iPKfiiiPfSE_PS4_PT2_iSD_SD_,comdat
	.protected	_Z39paged_attention_ll4mi_QKV_mfma16_kernelI14__hip_bfloat16S0_LN4vllm18Fp8KVCacheDataTypeE0ES0_Li32ELi64ELi256ELb0ELi14EL8MFMAType0EEvPKT_PKT0_S9_ifPKiSB_SB_iPKfiiiPfSE_PS4_PT2_iSD_SD_ ; -- Begin function _Z39paged_attention_ll4mi_QKV_mfma16_kernelI14__hip_bfloat16S0_LN4vllm18Fp8KVCacheDataTypeE0ES0_Li32ELi64ELi256ELb0ELi14EL8MFMAType0EEvPKT_PKT0_S9_ifPKiSB_SB_iPKfiiiPfSE_PS4_PT2_iSD_SD_
	.globl	_Z39paged_attention_ll4mi_QKV_mfma16_kernelI14__hip_bfloat16S0_LN4vllm18Fp8KVCacheDataTypeE0ES0_Li32ELi64ELi256ELb0ELi14EL8MFMAType0EEvPKT_PKT0_S9_ifPKiSB_SB_iPKfiiiPfSE_PS4_PT2_iSD_SD_
	.p2align	8
	.type	_Z39paged_attention_ll4mi_QKV_mfma16_kernelI14__hip_bfloat16S0_LN4vllm18Fp8KVCacheDataTypeE0ES0_Li32ELi64ELi256ELb0ELi14EL8MFMAType0EEvPKT_PKT0_S9_ifPKiSB_SB_iPKfiiiPfSE_PS4_PT2_iSD_SD_,@function
_Z39paged_attention_ll4mi_QKV_mfma16_kernelI14__hip_bfloat16S0_LN4vllm18Fp8KVCacheDataTypeE0ES0_Li32ELi64ELi256ELb0ELi14EL8MFMAType0EEvPKT_PKT0_S9_ifPKiSB_SB_iPKfiiiPfSE_PS4_PT2_iSD_SD_: ; @_Z39paged_attention_ll4mi_QKV_mfma16_kernelI14__hip_bfloat16S0_LN4vllm18Fp8KVCacheDataTypeE0ES0_Li32ELi64ELi256ELb0ELi14EL8MFMAType0EEvPKT_PKT0_S9_ifPKiSB_SB_iPKfiiiPfSE_PS4_PT2_iSD_SD_
; %bb.0:
	s_load_b64 s[2:3], s[0:1], 0x30
	s_mov_b32 s30, s13
	s_waitcnt lgkmcnt(0)
	s_cmp_lg_u64 s[2:3], 0
	s_cselect_b32 s6, -1, 0
	s_ashr_i32 s31, s13, 31
	s_cmp_eq_u64 s[2:3], 0
	s_cbranch_scc1 .LBB571_3
; %bb.1:
	s_lshl_b64 s[4:5], s[30:31], 2
	s_delay_alu instid0(SALU_CYCLE_1) | instskip(SKIP_4) | instid1(SALU_CYCLE_1)
	s_add_u32 s4, s2, s4
	s_addc_u32 s5, s3, s5
	s_load_b64 s[4:5], s[4:5], 0x0
	s_waitcnt lgkmcnt(0)
	s_sub_i32 s4, s5, s4
	s_cmp_eq_u32 s4, 1
	s_cselect_b32 s4, -1, 0
	s_delay_alu instid0(SALU_CYCLE_1)
	s_and_not1_b32 vcc_lo, exec_lo, s4
	s_cbranch_vccz .LBB571_4
.LBB571_2:
	s_endpgm
.LBB571_3:
.LBB571_4:
	s_load_b64 s[8:9], s[0:1], 0x28
	s_lshl_b64 s[4:5], s[30:31], 2
	s_waitcnt lgkmcnt(0)
	s_add_u32 s8, s8, s4
	s_addc_u32 s9, s9, s5
	s_lshl_b32 s16, s14, 8
	s_load_b32 s18, s[8:9], 0x0
	s_waitcnt lgkmcnt(0)
	s_cmp_ge_i32 s16, s18
	s_cbranch_scc1 .LBB571_2
; %bb.5:
	s_and_not1_b32 vcc_lo, exec_lo, s6
	s_cbranch_vccnz .LBB571_7
; %bb.6:
	s_add_u32 s2, s2, s4
	s_addc_u32 s3, s3, s5
	s_load_b32 s17, s[2:3], 0x0
	s_branch .LBB571_8
.LBB571_7:
	s_mov_b32 s17, s30
.LBB571_8:
	s_clause 0x2
	s_load_b128 s[8:11], s[0:1], 0x8
	s_load_b64 s[12:13], s[0:1], 0x20
	s_load_b128 s[4:7], s[0:1], 0x48
	v_and_b32_e32 v73, 15, v0
	v_cmp_lt_u32_e32 vcc_lo, 0xdf, v0
	s_delay_alu instid0(VALU_DEP_2) | instskip(SKIP_2) | instid1(VALU_DEP_3)
	v_cmp_lt_u32_e64 s3, 7, v73
	v_lshlrev_b32_e32 v1, 3, v73
	v_cmp_gt_u32_e64 s2, 8, v73
	s_or_b32 s3, vcc_lo, s3
	s_waitcnt lgkmcnt(0)
	s_and_saveexec_b32 s7, s3
	s_delay_alu instid0(SALU_CYCLE_1)
	s_xor_b32 s3, exec_lo, s7
; %bb.9:
	v_mov_b32_e32 v2, 0
; %bb.10:
	s_or_saveexec_b32 s3, s3
	v_lshrrev_b32_e32 v74, 5, v0
	v_and_b32_e32 v75, 31, v0
	v_and_b32_e32 v84, 1, v0
	v_bfe_u32 v83, v0, 4, 1
	s_mul_i32 s31, s15, 14
	s_xor_b32 exec_lo, exec_lo, s3
	s_cbranch_execz .LBB571_12
; %bb.11:
	s_load_b64 s[20:21], s[0:1], 0x0
	v_lshl_or_b32 v7, v74, 1, v83
	s_mul_hi_i32 s23, s17, s4
	s_mul_i32 s22, s17, s4
	v_lshlrev_b32_e32 v4, 1, v1
	s_lshl_b64 s[22:23], s[22:23], 1
	v_add_lshl_u32 v2, v7, s31, 6
	v_lshlrev_b32_e32 v7, 6, v7
	v_lshlrev_b32_e32 v8, 10, v84
	s_delay_alu instid0(VALU_DEP_3) | instskip(NEXT) | instid1(VALU_DEP_1)
	v_ashrrev_i32_e32 v3, 31, v2
	v_lshlrev_b64 v[2:3], 1, v[2:3]
	s_waitcnt lgkmcnt(0)
	s_add_u32 s4, s20, s22
	s_addc_u32 s7, s21, s23
	s_delay_alu instid0(VALU_DEP_1) | instskip(NEXT) | instid1(VALU_DEP_2)
	v_add_co_u32 v2, vcc_lo, s4, v2
	v_add_co_ci_u32_e32 v3, vcc_lo, s7, v3, vcc_lo
	s_delay_alu instid0(VALU_DEP_2) | instskip(NEXT) | instid1(VALU_DEP_2)
	v_add_co_u32 v2, vcc_lo, v2, v4
	v_add_co_ci_u32_e32 v3, vcc_lo, 0, v3, vcc_lo
	global_load_b128 v[3:6], v[2:3], off
	v_lshlrev_b32_e32 v2, 10, v73
	s_delay_alu instid0(VALU_DEP_1) | instskip(NEXT) | instid1(VALU_DEP_1)
	v_and_b32_e32 v2, 0x3800, v2
	v_or3_b32 v7, v2, v8, v7
	v_mov_b32_e32 v2, 0
	s_waitcnt vmcnt(0)
	ds_store_b128 v7, v[3:6]
.LBB571_12:
	s_or_b32 exec_lo, exec_lo, s3
	v_and_b32_e32 v3, 0xef, v0
	s_add_i32 s3, s18, 31
	s_clause 0x1
	s_load_b32 s4, s[0:1], 0x38
	s_load_b32 s19, s[0:1], 0x1c
	s_ashr_i32 s7, s3, 31
	v_add_nc_u32_e32 v3, s16, v3
	s_lshr_b32 s7, s7, 27
	s_waitcnt lgkmcnt(0)
	s_add_i32 s3, s3, s7
	s_barrier
	v_ashrrev_i32_e32 v4, 31, v3
	v_cmp_gt_i32_e32 vcc_lo, s18, v3
	s_ashr_i32 s3, s3, 5
	buffer_gl0_inv
	s_add_i32 s3, s3, -1
	v_lshrrev_b32_e32 v5, 27, v4
	v_or_b32_e32 v4, 16, v3
	s_mul_i32 s6, s15, s6
	v_lshlrev_b64 v[81:82], 1, v[1:2]
	s_delay_alu instid0(VALU_DEP_3) | instskip(NEXT) | instid1(VALU_DEP_3)
	v_add_nc_u32_e32 v6, v3, v5
	v_add_nc_u32_e32 v5, v4, v5
	s_mul_i32 s20, s30, s4
	s_delay_alu instid0(SALU_CYCLE_1) | instskip(NEXT) | instid1(VALU_DEP_2)
	s_ashr_i32 s21, s20, 31
	v_ashrrev_i32_e32 v6, 5, v6
	s_delay_alu instid0(VALU_DEP_2) | instskip(SKIP_1) | instid1(SALU_CYCLE_1)
	v_ashrrev_i32_e32 v5, 5, v5
	s_lshl_b64 s[20:21], s[20:21], 2
	s_add_u32 s4, s12, s20
	s_delay_alu instid0(VALU_DEP_2) | instskip(SKIP_3) | instid1(SALU_CYCLE_1)
	v_cndmask_b32_e32 v3, s3, v6, vcc_lo
	v_cmp_gt_i32_e32 vcc_lo, s18, v4
	s_addc_u32 s17, s13, s21
	s_ashr_i32 s7, s6, 31
	s_lshl_b64 s[6:7], s[6:7], 1
	v_cndmask_b32_e32 v5, s3, v5, vcc_lo
	v_ashrrev_i32_e32 v4, 31, v3
	s_add_u32 s15, s8, s6
	s_addc_u32 s28, s9, s7
	s_lshl_b32 s8, s14, 3
	v_ashrrev_i32_e32 v6, 31, v5
	v_lshlrev_b64 v[3:4], 2, v[3:4]
	s_ashr_i32 s9, s8, 31
	s_delay_alu instid0(SALU_CYCLE_1) | instskip(NEXT) | instid1(VALU_DEP_2)
	s_lshl_b64 s[8:9], s[8:9], 2
	v_lshlrev_b64 v[5:6], 2, v[5:6]
	s_add_u32 s8, s4, s8
	s_delay_alu instid0(VALU_DEP_2) | instskip(SKIP_1) | instid1(VALU_DEP_3)
	v_add_co_u32 v3, vcc_lo, s4, v3
	v_add_co_ci_u32_e32 v4, vcc_lo, s17, v4, vcc_lo
	v_add_co_u32 v5, vcc_lo, s4, v5
	s_delay_alu instid0(VALU_DEP_4)
	v_add_co_ci_u32_e32 v6, vcc_lo, s17, v6, vcc_lo
	s_addc_u32 s9, s17, s9
	s_clause 0x1
	global_load_b32 v7, v[3:4], off
	global_load_b32 v8, v[5:6], off
	s_or_b32 s12, s16, 32
	s_delay_alu instid0(SALU_CYCLE_1) | instskip(SKIP_2) | instid1(SALU_CYCLE_1)
	s_ashr_i32 s13, s12, 5
	s_cmp_lt_i32 s12, s18
	s_cselect_b32 s12, s13, s3
	s_ashr_i32 s13, s12, 31
	s_delay_alu instid0(SALU_CYCLE_1) | instskip(NEXT) | instid1(SALU_CYCLE_1)
	s_lshl_b64 s[12:13], s[12:13], 2
	s_add_u32 s12, s4, s12
	s_addc_u32 s13, s17, s13
	s_or_b32 s20, s16, 64
	s_delay_alu instid0(SALU_CYCLE_1) | instskip(SKIP_2) | instid1(SALU_CYCLE_1)
	s_ashr_i32 s21, s20, 5
	s_cmp_lt_i32 s20, s18
	s_cselect_b32 s20, s21, s3
	s_ashr_i32 s21, s20, 31
	s_delay_alu instid0(SALU_CYCLE_1) | instskip(NEXT) | instid1(SALU_CYCLE_1)
	s_lshl_b64 s[20:21], s[20:21], 2
	s_add_u32 s20, s4, s20
	s_addc_u32 s21, s17, s21
	;; [unrolled: 10-line block ×5, first 2 shown]
	s_clause 0x5
	s_load_b32 s29, s[8:9], 0x0
	s_load_b32 s33, s[12:13], 0x0
	s_load_b32 s34, s[20:21], 0x0
	s_load_b32 s35, s[22:23], 0x0
	s_load_b32 s36, s[24:25], 0x0
	s_load_b32 s37, s[26:27], 0x0
	s_mov_b32 s20, 0
	s_or_b32 s8, s16, 0xc0
	s_mov_b32 s21, s20
	s_mov_b32 s22, s20
	;; [unrolled: 1-line block ×7, first 2 shown]
	s_ashr_i32 s9, s8, 5
	v_mov_b32_e32 v117, s27
	s_cmp_lt_i32 s8, s18
	v_mov_b32_e32 v116, s26
	s_cselect_b32 s8, s9, s3
	v_mov_b32_e32 v115, s25
	s_ashr_i32 s9, s8, 31
	v_dual_mov_b32 v114, s24 :: v_dual_mov_b32 v113, s23
	v_dual_mov_b32 v112, s22 :: v_dual_mov_b32 v111, s21
	s_lshl_b64 s[8:9], s[8:9], 2
	s_waitcnt lgkmcnt(0)
	s_mul_hi_i32 s13, s29, s5
	s_add_u32 s8, s4, s8
	s_addc_u32 s9, s17, s9
	s_mul_i32 s12, s29, s5
	v_mov_b32_e32 v110, s20
	s_mul_hi_i32 s21, s33, s5
	s_mul_i32 s20, s33, s5
	s_mul_hi_i32 s25, s34, s5
	s_mul_i32 s24, s34, s5
	s_mul_hi_i32 s27, s35, s5
	s_mul_i32 s26, s35, s5
	s_mul_hi_i32 s35, s37, s5
	s_mul_i32 s34, s37, s5
	s_waitcnt vmcnt(1)
	v_mad_i64_i32 v[3:4], null, v7, s5, 0
	s_waitcnt vmcnt(0)
	v_mad_i64_i32 v[5:6], null, v8, s5, 0
	s_delay_alu instid0(VALU_DEP_2) | instskip(NEXT) | instid1(VALU_DEP_2)
	v_lshlrev_b64 v[3:4], 1, v[3:4]
	v_lshlrev_b64 v[1:2], 1, v[5:6]
	s_delay_alu instid0(VALU_DEP_2) | instskip(NEXT) | instid1(VALU_DEP_3)
	v_add_co_u32 v3, vcc_lo, s15, v3
	v_add_co_ci_u32_e32 v4, vcc_lo, s28, v4, vcc_lo
	s_delay_alu instid0(VALU_DEP_3) | instskip(NEXT) | instid1(VALU_DEP_4)
	v_add_co_u32 v1, vcc_lo, s15, v1
	v_add_co_ci_u32_e32 v2, vcc_lo, s28, v2, vcc_lo
	s_delay_alu instid0(VALU_DEP_4) | instskip(NEXT) | instid1(VALU_DEP_4)
	v_add_co_u32 v41, vcc_lo, v3, v81
	v_add_co_ci_u32_e32 v42, vcc_lo, v4, v82, vcc_lo
	s_delay_alu instid0(VALU_DEP_4) | instskip(NEXT) | instid1(VALU_DEP_4)
	v_add_co_u32 v43, vcc_lo, v1, v81
	v_add_co_ci_u32_e32 v44, vcc_lo, v2, v82, vcc_lo
	s_clause 0xf
	global_load_b128 v[1:4], v[41:42], off
	global_load_b128 v[5:8], v[41:42], off offset:512
	global_load_b128 v[9:12], v[43:44], off offset:256
	;; [unrolled: 1-line block ×15, first 2 shown]
	v_add_nc_u32_e32 v41, -14, v73
	v_cmp_gt_u32_e32 vcc_lo, 14, v73
	s_or_b32 s15, s16, 0xe0
	s_delay_alu instid0(SALU_CYCLE_1) | instskip(SKIP_3) | instid1(SALU_CYCLE_1)
	s_ashr_i32 s22, s15, 5
	s_cmp_lt_i32 s15, s18
	v_cndmask_b32_e32 v41, v41, v73, vcc_lo
	s_cselect_b32 s22, s22, s3
	s_ashr_i32 s23, s22, 31
	s_delay_alu instid0(VALU_DEP_1)
	v_lshlrev_b32_e32 v57, 6, v41
	ds_load_b128 v[41:44], v57
	ds_load_b128 v[45:48], v57 offset:1024
	ds_load_b128 v[49:52], v57 offset:2048
	;; [unrolled: 1-line block ×7, first 2 shown]
	s_lshl_b64 s[22:23], s[22:23], 2
	s_delay_alu instid0(SALU_CYCLE_1) | instskip(SKIP_2) | instid1(SALU_CYCLE_1)
	s_add_u32 s22, s4, s22
	s_addc_u32 s23, s17, s23
	s_add_i32 s15, s16, 0x100
	s_ashr_i32 s28, s15, 5
	s_cmp_lt_i32 s15, s18
	s_load_b32 s15, s[8:9], 0x0
	s_cselect_b32 s28, s28, s3
	s_mul_hi_i32 s9, s36, s5
	s_ashr_i32 s29, s28, 31
	s_mul_i32 s8, s36, s5
	s_lshl_b64 s[28:29], s[28:29], 2
	s_delay_alu instid0(SALU_CYCLE_1)
	s_add_u32 s28, s4, s28
	s_addc_u32 s29, s17, s29
	s_add_u32 s3, s10, s6
	s_clause 0x1
	s_load_b32 s4, s[22:23], 0x0
	s_load_b32 s17, s[28:29], 0x0
	s_addc_u32 s28, s11, s7
	s_lshl_b64 s[6:7], s[12:13], 1
	s_lshl_b64 s[10:11], s[20:21], 1
	;; [unrolled: 1-line block ×6, first 2 shown]
	s_waitcnt lgkmcnt(0)
	s_mul_hi_i32 s25, s15, s5
	s_mul_i32 s24, s15, s5
	s_waitcnt vmcnt(14)
	v_wmma_f32_16x16x16_bf16 v[134:141], v[1:8], v[41:48], v[110:117]
	s_waitcnt vmcnt(10)
	s_delay_alu instid0(VALU_DEP_1) | instskip(SKIP_1) | instid1(VALU_DEP_1)
	v_wmma_f32_16x16x16_bf16 v[134:141], v[17:24], v[49:56], v[134:141]
	s_waitcnt vmcnt(6)
	v_wmma_f32_16x16x16_bf16 v[134:141], v[33:40], v[118:125], v[134:141]
	s_waitcnt vmcnt(2)
	s_delay_alu instid0(VALU_DEP_1) | instskip(SKIP_1) | instid1(VALU_DEP_2)
	v_wmma_f32_16x16x16_bf16 v[134:141], v[94:101], v[126:133], v[134:141]
	v_lshlrev_b32_e32 v85, 6, v73
	v_mul_f32_e32 v100, s19, v141
	s_delay_alu instid0(VALU_DEP_2) | instskip(SKIP_2) | instid1(VALU_DEP_3)
	v_lshl_or_b32 v58, v74, 10, v85
	v_wmma_f32_16x16x16_bf16 v[110:117], v[9:16], v[41:48], v[110:117]
	v_mul_f32_e32 v99, s19, v135
	v_add_co_u32 v76, s3, s3, v58
	s_delay_alu instid0(VALU_DEP_1) | instskip(NEXT) | instid1(VALU_DEP_4)
	v_add_co_ci_u32_e64 v77, null, s28, 0, s3
	v_wmma_f32_16x16x16_bf16 v[110:117], v[25:32], v[49:56], v[110:117]
	s_delay_alu instid0(VALU_DEP_3) | instskip(NEXT) | instid1(VALU_DEP_3)
	v_add_co_u32 v57, vcc_lo, v76, s6
	v_add_co_ci_u32_e32 v58, vcc_lo, s7, v77, vcc_lo
	v_add_co_u32 v1, vcc_lo, v76, s10
	v_add_co_ci_u32_e32 v2, vcc_lo, s11, v77, vcc_lo
	;; [unrolled: 2-line block ×5, first 2 shown]
	s_clause 0x9
	global_load_b128 v[65:68], v[57:58], off
	global_load_b128 v[69:72], v[57:58], off offset:16
	global_load_b128 v[57:60], v[1:2], off
	global_load_b128 v[61:64], v[1:2], off offset:16
	;; [unrolled: 2-line block ×5, first 2 shown]
	v_add_co_u32 v5, vcc_lo, v76, s22
	s_lshl_b64 s[6:7], s[24:25], 1
	v_add_co_ci_u32_e32 v6, vcc_lo, s23, v77, vcc_lo
	s_mul_hi_i32 s9, s4, s5
	s_mul_i32 s8, s4, s5
	v_add_co_u32 v17, vcc_lo, v76, s6
	v_add_co_ci_u32_e32 v18, vcc_lo, s7, v77, vcc_lo
	s_lshl_b64 s[6:7], s[8:9], 1
	s_mul_hi_i32 s9, s17, s5
	s_mul_i32 s8, s17, s5
	v_add_co_u32 v19, vcc_lo, v76, s6
	s_lshl_b64 s[4:5], s[8:9], 1
	v_add_co_ci_u32_e32 v20, vcc_lo, s7, v77, vcc_lo
	v_add_co_u32 v21, vcc_lo, v76, s4
	v_add_co_ci_u32_e32 v22, vcc_lo, s5, v77, vcc_lo
	s_clause 0x7
	global_load_b128 v[1:4], v[5:6], off
	global_load_b128 v[5:8], v[5:6], off offset:16
	global_load_b128 v[33:36], v[17:18], off
	global_load_b128 v[37:40], v[17:18], off offset:16
	;; [unrolled: 2-line block ×4, first 2 shown]
	v_and_b32_e32 v76, 0xe0, v0
	v_mbcnt_lo_u32_b32 v77, -1, 0
	v_wmma_f32_16x16x16_bf16 v[110:117], v[86:93], v[118:125], v[110:117]
	s_waitcnt vmcnt(0)
	s_barrier
	v_add_nc_u32_e32 v76, s16, v76
	v_xor_b32_e32 v78, 16, v77
	v_wmma_f32_16x16x16_bf16 v[110:117], v[102:109], v[126:133], v[110:117]
	v_mul_f32_e32 v97, s19, v134
	buffer_gl0_inv
	v_or_b32_e32 v76, v76, v83
	v_cmp_gt_i32_e32 vcc_lo, 32, v78
	s_delay_alu instid0(VALU_DEP_2)
	v_or_b32_e32 v79, 4, v76
	v_cndmask_b32_e32 v77, v77, v78, vcc_lo
	v_or_b32_e32 v78, 2, v76
	v_or_b32_e32 v80, 6, v76
	v_cmp_gt_i32_e32 vcc_lo, s18, v76
	v_or_b32_e32 v86, 8, v76
	v_or_b32_e32 v87, 10, v76
	v_cmp_gt_i32_e64 s3, s18, v78
	v_or_b32_e32 v88, 12, v76
	v_or_b32_e32 v89, 14, v76
	;; [unrolled: 1-line block ×10, first 2 shown]
	v_cndmask_b32_e32 v76, 0xff7fffff, v97, vcc_lo
	v_cndmask_b32_e64 v78, 0xff7fffff, v99, s3
	v_mul_f32_e32 v99, s19, v137
	v_cmp_gt_i32_e64 s4, s18, v80
	v_mul_f32_e32 v80, s19, v136
	v_cmp_gt_i32_e64 s5, s18, v79
	v_max3_f32 v76, v76, 0xff7fffff, v78
	v_dual_mul_f32 v78, s19, v138 :: v_dual_mul_f32 v79, s19, v139
	v_cndmask_b32_e64 v99, 0xff7fffff, v99, s4
	s_delay_alu instid0(VALU_DEP_4)
	v_cndmask_b32_e64 v80, 0xff7fffff, v80, s5
	v_cmp_gt_i32_e64 s6, s18, v86
	v_cmp_gt_i32_e64 s7, s18, v87
	v_mul_f32_e32 v97, s19, v140
	v_cmp_gt_i32_e64 s8, s18, v89
	v_max3_f32 v76, v76, v80, v99
	v_cndmask_b32_e64 v78, 0xff7fffff, v78, s6
	v_cndmask_b32_e64 v79, 0xff7fffff, v79, s7
	v_cmp_gt_i32_e64 s9, s18, v88
	v_dual_mul_f32 v88, s19, v111 :: v_dual_mul_f32 v89, s19, v110
	v_cndmask_b32_e64 v100, 0xff7fffff, v100, s8
	s_delay_alu instid0(VALU_DEP_4) | instskip(NEXT) | instid1(VALU_DEP_4)
	v_max3_f32 v76, v76, v78, v79
	v_cndmask_b32_e64 v97, 0xff7fffff, v97, s9
	v_cmp_gt_i32_e64 s10, s18, v90
	v_cmp_gt_i32_e64 s11, s18, v91
	v_dual_mul_f32 v78, s19, v113 :: v_dual_mul_f32 v79, s19, v112
	s_delay_alu instid0(VALU_DEP_4) | instskip(NEXT) | instid1(VALU_DEP_4)
	v_max3_f32 v76, v76, v97, v100
	v_cndmask_b32_e64 v89, 0xff7fffff, v89, s10
	s_delay_alu instid0(VALU_DEP_4)
	v_cndmask_b32_e64 v88, 0xff7fffff, v88, s11
	v_cmp_gt_i32_e64 s12, s18, v92
	v_cmp_gt_i32_e64 s13, s18, v93
	v_mul_f32_e32 v87, s19, v115
	v_mul_f32_e32 v99, s19, v114
	v_max3_f32 v76, v76, v89, v88
	v_cndmask_b32_e64 v79, 0xff7fffff, v79, s12
	v_cndmask_b32_e64 v78, 0xff7fffff, v78, s13
	v_cmp_gt_i32_e64 s15, s18, v94
	v_cmp_gt_i32_e64 s16, s18, v95
	v_mul_f32_e32 v80, s19, v117
	v_mul_f32_e32 v86, s19, v116
	v_max3_f32 v76, v76, v79, v78
	v_cndmask_b32_e64 v88, 0xff7fffff, v99, s15
	v_cndmask_b32_e64 v87, 0xff7fffff, v87, s16
	v_cmp_gt_i32_e64 s17, s18, v96
	v_cmp_gt_i32_e64 s18, s18, v98
	v_lshlrev_b32_e32 v99, 2, v77
	s_delay_alu instid0(VALU_DEP_4) | instskip(NEXT) | instid1(VALU_DEP_4)
	v_max3_f32 v76, v76, v88, v87
	v_cndmask_b32_e64 v78, 0xff7fffff, v86, s17
	s_delay_alu instid0(VALU_DEP_4) | instskip(NEXT) | instid1(VALU_DEP_1)
	v_cndmask_b32_e64 v79, 0xff7fffff, v80, s18
	v_max3_f32 v76, v76, v78, v79
	ds_bpermute_b32 v77, v99, v76
	s_waitcnt lgkmcnt(0)
	v_max_f32_e32 v77, v77, v77
	s_delay_alu instid0(VALU_DEP_1) | instskip(NEXT) | instid1(VALU_DEP_1)
	v_max_f32_e32 v76, v76, v77
	v_fma_f32 v77, s19, v134, -v76
	v_fma_f32 v78, s19, v135, -v76
	v_fma_f32 v79, s19, v136, -v76
	v_fma_f32 v80, s19, v137, -v76
	v_fma_f32 v86, s19, v138, -v76
	s_delay_alu instid0(VALU_DEP_4) | instskip(SKIP_1) | instid1(VALU_DEP_4)
	v_dual_mul_f32 v77, 0x3fb8aa3b, v77 :: v_dual_mul_f32 v78, 0x3fb8aa3b, v78
	v_fma_f32 v88, s19, v114, -v76
	v_dual_mul_f32 v79, 0x3fb8aa3b, v79 :: v_dual_mul_f32 v80, 0x3fb8aa3b, v80
	s_delay_alu instid0(VALU_DEP_3) | instskip(NEXT) | instid1(VALU_DEP_3)
	v_exp_f32_e32 v77, v77
	v_exp_f32_e32 v78, v78
	s_delay_alu instid0(VALU_DEP_2) | instskip(NEXT) | instid1(VALU_DEP_2)
	v_mul_f32_e32 v88, 0x3fb8aa3b, v88
	v_exp_f32_e32 v79, v79
	v_mul_f32_e32 v86, 0x3fb8aa3b, v86
	v_exp_f32_e32 v80, v80
	v_fma_f32 v87, s19, v140, -v76
	v_fma_f32 v100, s19, v117, -v76
	;; [unrolled: 1-line block ×3, first 2 shown]
	v_exp_f32_e32 v86, v86
	v_cndmask_b32_e32 v92, 0, v77, vcc_lo
	v_fma_f32 v77, s19, v139, -v76
	v_cndmask_b32_e64 v91, 0, v78, s3
	v_cndmask_b32_e64 v93, 0, v79, s5
	v_fma_f32 v79, s19, v141, -v76
	s_delay_alu instid0(VALU_DEP_4) | instskip(SKIP_2) | instid1(TRANS32_DEP_1)
	v_dual_add_f32 v78, 0, v92 :: v_dual_mul_f32 v77, 0x3fb8aa3b, v77
	v_cndmask_b32_e64 v95, 0, v80, s4
	v_mul_f32_e32 v87, 0x3fb8aa3b, v87
	v_cndmask_b32_e64 v96, 0, v86, s6
	s_delay_alu instid0(VALU_DEP_4)
	v_add_f32_e32 v78, v78, v91
	v_exp_f32_e32 v77, v77
	v_fma_f32 v86, s19, v111, -v76
	v_fma_f32 v80, s19, v110, -v76
	v_exp_f32_e32 v87, v87
	v_add_f32_e32 v78, v78, v93
	v_mul_f32_e32 v100, 0x3fb8aa3b, v100
	v_mul_f32_e32 v86, 0x3fb8aa3b, v86
	;; [unrolled: 1-line block ×3, first 2 shown]
	v_exp_f32_e32 v88, v88
	v_add_f32_e32 v78, v78, v95
	v_cndmask_b32_e64 v97, 0, v77, s7
	v_exp_f32_e32 v86, v86
	v_exp_f32_e32 v80, v80
	v_cndmask_b32_e64 v94, 0, v87, s9
	v_add_f32_e32 v77, v78, v96
	v_fma_f32 v78, s19, v112, -v76
	v_fma_f32 v87, s19, v113, -v76
	v_exp_f32_e32 v100, v100
	s_mov_b32 s3, exec_lo
	s_delay_alu instid0(VALU_DEP_2) | instskip(NEXT) | instid1(VALU_DEP_2)
	v_dual_add_f32 v77, v77, v97 :: v_dual_mul_f32 v78, 0x3fb8aa3b, v78
	v_mul_f32_e32 v87, 0x3fb8aa3b, v87
	s_delay_alu instid0(VALU_DEP_2) | instskip(SKIP_2) | instid1(VALU_DEP_3)
	v_exp_f32_e32 v89, v78
	v_cndmask_b32_e64 v78, 0, v86, s11
	v_mul_f32_e32 v79, 0x3fb8aa3b, v79
	v_exp_f32_e32 v87, v87
	s_delay_alu instid0(VALU_DEP_1)
	v_exp_f32_e32 v79, v79
	s_waitcnt_depctr 0xfff
	v_cndmask_b32_e64 v98, 0, v79, s8
	v_add_f32_e32 v79, v77, v94
	v_cndmask_b32_e64 v77, 0, v80, s10
	v_fma_f32 v80, s19, v115, -v76
	s_delay_alu instid0(VALU_DEP_1) | instskip(NEXT) | instid1(VALU_DEP_1)
	v_dual_add_f32 v79, v79, v98 :: v_dual_mul_f32 v80, 0x3fb8aa3b, v80
	v_add_f32_e32 v86, v79, v77
	v_cndmask_b32_e64 v79, 0, v89, s12
	v_mul_f32_e32 v89, 0x3fb8aa3b, v90
	s_delay_alu instid0(VALU_DEP_4) | instskip(SKIP_2) | instid1(VALU_DEP_3)
	v_exp_f32_e32 v90, v80
	v_cndmask_b32_e64 v80, 0, v87, s13
	v_add_f32_e32 v86, v86, v78
	v_exp_f32_e32 v89, v89
	s_delay_alu instid0(VALU_DEP_1) | instskip(SKIP_1) | instid1(VALU_DEP_2)
	v_add_f32_e32 v87, v86, v79
	v_cndmask_b32_e64 v86, 0, v88, s15
	v_add_f32_e32 v88, v87, v80
	s_delay_alu instid0(TRANS32_DEP_2) | instskip(NEXT) | instid1(VALU_DEP_2)
	v_cndmask_b32_e64 v87, 0, v90, s16
	v_add_f32_e32 v90, v88, v86
	s_waitcnt_depctr 0xfff
	v_cndmask_b32_e64 v88, 0, v89, s17
	v_add_f32_e32 v89, v90, v87
	s_delay_alu instid0(VALU_DEP_1) | instskip(SKIP_1) | instid1(VALU_DEP_1)
	v_add_f32_e32 v90, v89, v88
	v_cndmask_b32_e64 v89, 0, v100, s18
	v_add_f32_e32 v90, v90, v89
	ds_bpermute_b32 v99, v99, v90
	v_cmpx_gt_u32_e32 16, v75
	s_cbranch_execz .LBB571_14
; %bb.13:
	v_mul_u32_u24_e32 v75, 0x44, v74
	s_waitcnt lgkmcnt(0)
	v_add_f32_e32 v90, v90, v99
	s_delay_alu instid0(VALU_DEP_2) | instskip(NEXT) | instid1(VALU_DEP_1)
	v_lshl_add_u32 v75, v73, 2, v75
	v_add_nc_u32_e32 v75, 0x4000, v75
	ds_store_2addr_b32 v75, v76, v90 offset1:136
.LBB571_14:
	s_or_b32 exec_lo, exec_lo, s3
	v_lshlrev_b32_e32 v75, 2, v73
	s_waitcnt lgkmcnt(0)
	s_barrier
	buffer_gl0_inv
	v_cmp_eq_u32_e64 s3, 1, v74
	v_add_nc_u32_e32 v90, 0x4000, v75
	ds_load_2addr_b32 v[99:100], v90 offset1:17
	ds_load_2addr_b32 v[101:102], v90 offset0:34 offset1:51
	ds_load_2addr_b32 v[103:104], v90 offset0:68 offset1:85
	;; [unrolled: 1-line block ×4, first 2 shown]
	s_waitcnt lgkmcnt(4)
	v_max3_f32 v75, v99, 0xff7fffff, v100
	s_waitcnt lgkmcnt(3)
	s_delay_alu instid0(VALU_DEP_1) | instskip(SKIP_1) | instid1(VALU_DEP_1)
	v_max3_f32 v75, v75, v101, v102
	s_waitcnt lgkmcnt(2)
	v_max3_f32 v75, v75, v103, v104
	s_waitcnt lgkmcnt(1)
	s_delay_alu instid0(VALU_DEP_1) | instskip(NEXT) | instid1(VALU_DEP_1)
	v_max3_f32 v75, v75, v105, v106
	v_sub_f32_e32 v109, v100, v75
	v_sub_f32_e32 v76, v99, v75
	ds_load_2addr_b32 v[99:100], v90 offset0:170 offset1:187
	v_sub_f32_e32 v101, v101, v75
	v_dual_mul_f32 v109, 0x3fb8aa3b, v109 :: v_dual_mul_f32 v76, 0x3fb8aa3b, v76
	s_delay_alu instid0(VALU_DEP_2) | instskip(NEXT) | instid1(VALU_DEP_2)
	v_mul_f32_e32 v111, 0x3fb8aa3b, v101
	v_exp_f32_e32 v109, v109
	s_delay_alu instid0(VALU_DEP_2)
	v_exp_f32_e32 v110, v76
	v_sub_f32_e32 v76, v102, v75
	ds_load_2addr_b32 v[101:102], v90 offset0:204 offset1:221
	v_exp_f32_e32 v111, v111
	v_mul_f32_e32 v112, 0x3fb8aa3b, v76
	s_waitcnt lgkmcnt(2)
	v_fma_f32 v76, v110, v107, 0
	v_sub_f32_e32 v103, v103, v75
	s_delay_alu instid0(VALU_DEP_3) | instskip(NEXT) | instid1(VALU_DEP_2)
	v_exp_f32_e32 v112, v112
	v_dual_sub_f32 v107, v104, v75 :: v_dual_fmac_f32 v76, v109, v108
	s_waitcnt lgkmcnt(1)
	s_waitcnt_depctr 0xfff
	v_fmac_f32_e32 v76, v111, v99
	v_mul_f32_e32 v113, 0x3fb8aa3b, v103
	ds_load_2addr_b32 v[103:104], v90 offset0:238 offset1:255
	v_sub_f32_e32 v90, v105, v75
	v_dual_sub_f32 v99, v106, v75 :: v_dual_fmac_f32 v76, v112, v100
	v_mul_f32_e32 v105, 0x3fb8aa3b, v107
	v_exp_f32_e32 v107, v113
	s_delay_alu instid0(VALU_DEP_2)
	v_dual_mul_f32 v90, 0x3fb8aa3b, v90 :: v_dual_mul_f32 v99, 0x3fb8aa3b, v99
	s_waitcnt lgkmcnt(0)
	s_barrier
	buffer_gl0_inv
	v_exp_f32_e32 v90, v90
	v_exp_f32_e32 v99, v99
	v_fmac_f32_e32 v76, v107, v101
	v_exp_f32_e32 v105, v105
	s_waitcnt_depctr 0xfff
	v_fmac_f32_e32 v76, v105, v102
	s_delay_alu instid0(VALU_DEP_1) | instskip(NEXT) | instid1(VALU_DEP_1)
	v_fmac_f32_e32 v76, v90, v103
	v_fmac_f32_e32 v76, v99, v104
	s_delay_alu instid0(VALU_DEP_1) | instskip(NEXT) | instid1(VALU_DEP_1)
	v_add_f32_e32 v100, 0x358637bd, v76
	v_div_scale_f32 v101, null, v100, v100, 1.0
	v_div_scale_f32 v104, vcc_lo, 1.0, v100, 1.0
	s_delay_alu instid0(VALU_DEP_2) | instskip(SKIP_2) | instid1(VALU_DEP_1)
	v_rcp_f32_e32 v102, v101
	s_waitcnt_depctr 0xfff
	v_fma_f32 v103, -v101, v102, 1.0
	v_fmac_f32_e32 v102, v103, v102
	v_cndmask_b32_e64 v103, v110, v109, s3
	v_cmp_eq_u32_e64 s3, 2, v74
	s_delay_alu instid0(VALU_DEP_3) | instskip(NEXT) | instid1(VALU_DEP_2)
	v_mul_f32_e32 v106, v104, v102
	v_cndmask_b32_e64 v103, v103, v111, s3
	v_cmp_eq_u32_e64 s3, 3, v74
	s_delay_alu instid0(VALU_DEP_3) | instskip(NEXT) | instid1(VALU_DEP_2)
	v_fma_f32 v108, -v101, v106, v104
	v_cndmask_b32_e64 v103, v103, v112, s3
	v_cmp_eq_u32_e64 s3, 4, v74
	s_delay_alu instid0(VALU_DEP_3) | instskip(NEXT) | instid1(VALU_DEP_2)
	v_fmac_f32_e32 v106, v108, v102
	v_cndmask_b32_e64 v103, v103, v107, s3
	s_delay_alu instid0(VALU_DEP_2) | instskip(SKIP_1) | instid1(VALU_DEP_2)
	v_fma_f32 v101, -v101, v106, v104
	v_cmp_eq_u32_e64 s3, 5, v74
	v_div_fmas_f32 v101, v101, v102, v106
	s_delay_alu instid0(VALU_DEP_2) | instskip(SKIP_2) | instid1(VALU_DEP_3)
	v_cndmask_b32_e64 v103, v103, v105, s3
	v_cmp_eq_u32_e32 vcc_lo, 6, v74
	s_mov_b32 s3, exec_lo
	v_div_fixup_f32 v100, v101, v100, 1.0
	s_delay_alu instid0(VALU_DEP_3) | instskip(SKIP_1) | instid1(VALU_DEP_2)
	v_cndmask_b32_e32 v90, v103, v90, vcc_lo
	v_cmp_eq_u32_e32 vcc_lo, 7, v74
	v_cndmask_b32_e32 v90, v90, v99, vcc_lo
	s_delay_alu instid0(VALU_DEP_1) | instskip(NEXT) | instid1(VALU_DEP_1)
	v_mul_f32_e32 v90, v90, v100
	v_mul_f32_e32 v100, v90, v92
	;; [unrolled: 1-line block ×6, first 2 shown]
	v_and_b32_e32 v101, 0x7f800000, v100
	v_mul_f32_e32 v99, v90, v95
	v_mul_f32_e32 v95, v90, v91
	;; [unrolled: 1-line block ×3, first 2 shown]
                                        ; implicit-def: $vgpr91
	s_delay_alu instid0(VALU_DEP_4)
	v_cmpx_ne_u32_e32 0x7f800000, v101
	s_xor_b32 s3, exec_lo, s3
; %bb.15:
	v_bfe_u32 v91, v100, 16, 1
	s_delay_alu instid0(VALU_DEP_1)
	v_add3_u32 v91, v100, v91, 0x7fff
                                        ; implicit-def: $vgpr100
; %bb.16:
	s_and_not1_saveexec_b32 s3, s3
; %bb.17:
	v_and_b32_e32 v91, 0xffff, v100
	v_or_b32_e32 v93, 0x10000, v100
	s_delay_alu instid0(VALU_DEP_2) | instskip(NEXT) | instid1(VALU_DEP_2)
	v_cmp_eq_u32_e32 vcc_lo, 0, v91
	v_cndmask_b32_e32 v91, v93, v100, vcc_lo
; %bb.18:
	s_or_b32 exec_lo, exec_lo, s3
	v_and_b32_e32 v93, 0x7f800000, v95
	s_delay_alu instid0(VALU_DEP_1) | instskip(SKIP_1) | instid1(SALU_CYCLE_1)
	v_cmp_ne_u32_e32 vcc_lo, 0x7f800000, v93
                                        ; implicit-def: $vgpr93
	s_and_saveexec_b32 s3, vcc_lo
	s_xor_b32 s3, exec_lo, s3
; %bb.19:
	v_bfe_u32 v93, v95, 16, 1
	s_delay_alu instid0(VALU_DEP_1)
	v_add3_u32 v93, v95, v93, 0x7fff
                                        ; implicit-def: $vgpr95
; %bb.20:
	s_and_not1_saveexec_b32 s3, s3
; %bb.21:
	v_and_b32_e32 v93, 0xffff, v95
	v_or_b32_e32 v100, 0x10000, v95
	s_delay_alu instid0(VALU_DEP_2) | instskip(NEXT) | instid1(VALU_DEP_2)
	v_cmp_eq_u32_e32 vcc_lo, 0, v93
	v_cndmask_b32_e32 v93, v100, v95, vcc_lo
; %bb.22:
	s_or_b32 exec_lo, exec_lo, s3
	v_and_b32_e32 v95, 0x7f800000, v96
	s_delay_alu instid0(VALU_DEP_1) | instskip(SKIP_1) | instid1(SALU_CYCLE_1)
	v_cmp_ne_u32_e32 vcc_lo, 0x7f800000, v95
                                        ; implicit-def: $vgpr95
	s_and_saveexec_b32 s3, vcc_lo
	s_xor_b32 s3, exec_lo, s3
; %bb.23:
	v_bfe_u32 v95, v96, 16, 1
	s_delay_alu instid0(VALU_DEP_1)
	v_add3_u32 v95, v96, v95, 0x7fff
                                        ; implicit-def: $vgpr96
; %bb.24:
	s_and_not1_saveexec_b32 s3, s3
; %bb.25:
	v_and_b32_e32 v95, 0xffff, v96
	v_or_b32_e32 v100, 0x10000, v96
	s_delay_alu instid0(VALU_DEP_2) | instskip(NEXT) | instid1(VALU_DEP_2)
	v_cmp_eq_u32_e32 vcc_lo, 0, v95
	v_cndmask_b32_e32 v95, v100, v96, vcc_lo
; %bb.26:
	s_or_b32 exec_lo, exec_lo, s3
	v_and_b32_e32 v96, 0x7f800000, v99
	s_delay_alu instid0(VALU_DEP_1) | instskip(SKIP_1) | instid1(SALU_CYCLE_1)
	v_cmp_ne_u32_e32 vcc_lo, 0x7f800000, v96
                                        ; implicit-def: $vgpr96
	s_and_saveexec_b32 s3, vcc_lo
	s_xor_b32 s3, exec_lo, s3
; %bb.27:
	v_bfe_u32 v96, v99, 16, 1
	s_delay_alu instid0(VALU_DEP_1)
	v_add3_u32 v96, v99, v96, 0x7fff
                                        ; implicit-def: $vgpr99
; %bb.28:
	s_and_not1_saveexec_b32 s3, s3
; %bb.29:
	v_and_b32_e32 v96, 0xffff, v99
	v_or_b32_e32 v100, 0x10000, v99
	s_delay_alu instid0(VALU_DEP_2) | instskip(NEXT) | instid1(VALU_DEP_2)
	v_cmp_eq_u32_e32 vcc_lo, 0, v96
	v_cndmask_b32_e32 v96, v100, v99, vcc_lo
; %bb.30:
	s_or_b32 exec_lo, exec_lo, s3
	v_and_b32_e32 v99, 0x7f800000, v98
	s_delay_alu instid0(VALU_DEP_1) | instskip(SKIP_1) | instid1(SALU_CYCLE_1)
	v_cmp_ne_u32_e32 vcc_lo, 0x7f800000, v99
                                        ; implicit-def: $vgpr99
	s_and_saveexec_b32 s3, vcc_lo
	s_xor_b32 s3, exec_lo, s3
; %bb.31:
	v_bfe_u32 v99, v98, 16, 1
	s_delay_alu instid0(VALU_DEP_1)
	v_add3_u32 v99, v98, v99, 0x7fff
                                        ; implicit-def: $vgpr98
; %bb.32:
	s_and_not1_saveexec_b32 s3, s3
; %bb.33:
	v_and_b32_e32 v99, 0xffff, v98
	v_or_b32_e32 v100, 0x10000, v98
	s_delay_alu instid0(VALU_DEP_2) | instskip(NEXT) | instid1(VALU_DEP_2)
	v_cmp_eq_u32_e32 vcc_lo, 0, v99
	v_cndmask_b32_e32 v99, v100, v98, vcc_lo
; %bb.34:
	s_or_b32 exec_lo, exec_lo, s3
	v_and_b32_e32 v98, 0x7f800000, v97
	s_delay_alu instid0(VALU_DEP_1) | instskip(SKIP_1) | instid1(SALU_CYCLE_1)
	v_cmp_ne_u32_e32 vcc_lo, 0x7f800000, v98
                                        ; implicit-def: $vgpr98
	s_and_saveexec_b32 s3, vcc_lo
	s_xor_b32 s3, exec_lo, s3
; %bb.35:
	v_bfe_u32 v98, v97, 16, 1
	s_delay_alu instid0(VALU_DEP_1)
	v_add3_u32 v98, v97, v98, 0x7fff
                                        ; implicit-def: $vgpr97
; %bb.36:
	s_and_not1_saveexec_b32 s3, s3
; %bb.37:
	v_and_b32_e32 v98, 0xffff, v97
	v_or_b32_e32 v100, 0x10000, v97
	s_delay_alu instid0(VALU_DEP_2) | instskip(NEXT) | instid1(VALU_DEP_2)
	v_cmp_eq_u32_e32 vcc_lo, 0, v98
	v_cndmask_b32_e32 v98, v100, v97, vcc_lo
; %bb.38:
	s_or_b32 exec_lo, exec_lo, s3
	v_and_b32_e32 v97, 0x7f800000, v94
	s_delay_alu instid0(VALU_DEP_1) | instskip(SKIP_1) | instid1(SALU_CYCLE_1)
	v_cmp_ne_u32_e32 vcc_lo, 0x7f800000, v97
                                        ; implicit-def: $vgpr97
	s_and_saveexec_b32 s3, vcc_lo
	s_xor_b32 s3, exec_lo, s3
; %bb.39:
	v_bfe_u32 v97, v94, 16, 1
	s_delay_alu instid0(VALU_DEP_1)
	v_add3_u32 v97, v94, v97, 0x7fff
                                        ; implicit-def: $vgpr94
; %bb.40:
	s_and_not1_saveexec_b32 s3, s3
; %bb.41:
	v_and_b32_e32 v97, 0xffff, v94
	v_or_b32_e32 v100, 0x10000, v94
	s_delay_alu instid0(VALU_DEP_2) | instskip(NEXT) | instid1(VALU_DEP_2)
	v_cmp_eq_u32_e32 vcc_lo, 0, v97
	v_cndmask_b32_e32 v97, v100, v94, vcc_lo
; %bb.42:
	s_or_b32 exec_lo, exec_lo, s3
	v_and_b32_e32 v94, 0x7f800000, v92
	s_delay_alu instid0(VALU_DEP_1) | instskip(SKIP_1) | instid1(SALU_CYCLE_1)
	v_cmp_ne_u32_e32 vcc_lo, 0x7f800000, v94
                                        ; implicit-def: $vgpr94
	s_and_saveexec_b32 s3, vcc_lo
	s_xor_b32 s3, exec_lo, s3
; %bb.43:
	v_bfe_u32 v94, v92, 16, 1
	s_delay_alu instid0(VALU_DEP_1)
	v_add3_u32 v94, v92, v94, 0x7fff
                                        ; implicit-def: $vgpr92
; %bb.44:
	s_and_not1_saveexec_b32 s3, s3
; %bb.45:
	v_and_b32_e32 v94, 0xffff, v92
	v_or_b32_e32 v100, 0x10000, v92
	s_delay_alu instid0(VALU_DEP_2) | instskip(NEXT) | instid1(VALU_DEP_2)
	v_cmp_eq_u32_e32 vcc_lo, 0, v94
	v_cndmask_b32_e32 v94, v100, v92, vcc_lo
; %bb.46:
	s_or_b32 exec_lo, exec_lo, s3
	s_load_b64 s[34:35], s[0:1], 0x94
	v_lshlrev_b32_e32 v92, 4, v83
	s_delay_alu instid0(VALU_DEP_2)
	v_perm_b32 v100, v94, v97, 0x7060302
	v_dual_mul_f32 v89, v90, v89 :: v_dual_lshlrev_b32 v94, 11, v74
	v_perm_b32 v97, v93, v91, 0x7060302
	v_mul_f32_e32 v93, v90, v77
	v_perm_b32 v99, v98, v99, 0x7060302
	v_perm_b32 v98, v96, v95, 0x7060302
	v_or3_b32 v77, v92, v94, v85
	v_mul_f32_e32 v88, v90, v88
	v_dual_mul_f32 v87, v90, v87 :: v_dual_and_b32 v94, 0x7f800000, v93
	v_mul_f32_e32 v86, v90, v86
	v_mul_f32_e32 v91, v90, v80
	;; [unrolled: 1-line block ×4, first 2 shown]
	s_mov_b32 s3, exec_lo
	ds_store_b128 v77, v[97:100]
                                        ; implicit-def: $vgpr78
	v_cmpx_ne_u32_e32 0x7f800000, v94
	s_xor_b32 s3, exec_lo, s3
; %bb.47:
	v_bfe_u32 v78, v93, 16, 1
	s_delay_alu instid0(VALU_DEP_1)
	v_add3_u32 v78, v93, v78, 0x7fff
                                        ; implicit-def: $vgpr93
; %bb.48:
	s_and_not1_saveexec_b32 s3, s3
; %bb.49:
	v_and_b32_e32 v78, 0xffff, v93
	v_or_b32_e32 v79, 0x10000, v93
	s_delay_alu instid0(VALU_DEP_2) | instskip(NEXT) | instid1(VALU_DEP_2)
	v_cmp_eq_u32_e32 vcc_lo, 0, v78
	v_cndmask_b32_e32 v78, v79, v93, vcc_lo
; %bb.50:
	s_or_b32 exec_lo, exec_lo, s3
	v_and_b32_e32 v79, 0x7f800000, v80
	s_delay_alu instid0(VALU_DEP_1) | instskip(SKIP_1) | instid1(SALU_CYCLE_1)
	v_cmp_ne_u32_e32 vcc_lo, 0x7f800000, v79
                                        ; implicit-def: $vgpr79
	s_and_saveexec_b32 s3, vcc_lo
	s_xor_b32 s3, exec_lo, s3
; %bb.51:
	v_bfe_u32 v79, v80, 16, 1
	s_delay_alu instid0(VALU_DEP_1)
	v_add3_u32 v79, v80, v79, 0x7fff
                                        ; implicit-def: $vgpr80
; %bb.52:
	s_and_not1_saveexec_b32 s3, s3
; %bb.53:
	v_and_b32_e32 v79, 0xffff, v80
	v_or_b32_e32 v90, 0x10000, v80
	s_delay_alu instid0(VALU_DEP_2) | instskip(NEXT) | instid1(VALU_DEP_2)
	v_cmp_eq_u32_e32 vcc_lo, 0, v79
	v_cndmask_b32_e32 v79, v90, v80, vcc_lo
; %bb.54:
	s_or_b32 exec_lo, exec_lo, s3
	v_and_b32_e32 v80, 0x7f800000, v92
	s_delay_alu instid0(VALU_DEP_1) | instskip(SKIP_1) | instid1(SALU_CYCLE_1)
	v_cmp_ne_u32_e32 vcc_lo, 0x7f800000, v80
                                        ; implicit-def: $vgpr80
	s_and_saveexec_b32 s3, vcc_lo
	s_xor_b32 s3, exec_lo, s3
; %bb.55:
	v_bfe_u32 v80, v92, 16, 1
	s_delay_alu instid0(VALU_DEP_1)
	v_add3_u32 v80, v92, v80, 0x7fff
                                        ; implicit-def: $vgpr92
; %bb.56:
	s_and_not1_saveexec_b32 s3, s3
; %bb.57:
	v_and_b32_e32 v80, 0xffff, v92
	v_or_b32_e32 v90, 0x10000, v92
	s_delay_alu instid0(VALU_DEP_2) | instskip(NEXT) | instid1(VALU_DEP_2)
	v_cmp_eq_u32_e32 vcc_lo, 0, v80
	v_cndmask_b32_e32 v80, v90, v92, vcc_lo
; %bb.58:
	s_or_b32 exec_lo, exec_lo, s3
	v_and_b32_e32 v90, 0x7f800000, v91
	s_delay_alu instid0(VALU_DEP_1) | instskip(SKIP_1) | instid1(SALU_CYCLE_1)
	v_cmp_ne_u32_e32 vcc_lo, 0x7f800000, v90
                                        ; implicit-def: $vgpr90
	s_and_saveexec_b32 s3, vcc_lo
	s_xor_b32 s3, exec_lo, s3
; %bb.59:
	v_bfe_u32 v90, v91, 16, 1
	s_delay_alu instid0(VALU_DEP_1)
	v_add3_u32 v90, v91, v90, 0x7fff
                                        ; implicit-def: $vgpr91
; %bb.60:
	s_and_not1_saveexec_b32 s3, s3
; %bb.61:
	v_and_b32_e32 v90, 0xffff, v91
	v_or_b32_e32 v92, 0x10000, v91
	s_delay_alu instid0(VALU_DEP_2) | instskip(NEXT) | instid1(VALU_DEP_2)
	v_cmp_eq_u32_e32 vcc_lo, 0, v90
	v_cndmask_b32_e32 v90, v92, v91, vcc_lo
; %bb.62:
	s_or_b32 exec_lo, exec_lo, s3
	v_and_b32_e32 v91, 0x7f800000, v86
	s_delay_alu instid0(VALU_DEP_1) | instskip(SKIP_1) | instid1(SALU_CYCLE_1)
	v_cmp_ne_u32_e32 vcc_lo, 0x7f800000, v91
                                        ; implicit-def: $vgpr91
	s_and_saveexec_b32 s3, vcc_lo
	s_xor_b32 s3, exec_lo, s3
; %bb.63:
	v_bfe_u32 v91, v86, 16, 1
	s_delay_alu instid0(VALU_DEP_1)
	v_add3_u32 v91, v86, v91, 0x7fff
                                        ; implicit-def: $vgpr86
; %bb.64:
	s_and_not1_saveexec_b32 s3, s3
; %bb.65:
	v_and_b32_e32 v91, 0xffff, v86
	v_or_b32_e32 v92, 0x10000, v86
	s_delay_alu instid0(VALU_DEP_2) | instskip(NEXT) | instid1(VALU_DEP_2)
	v_cmp_eq_u32_e32 vcc_lo, 0, v91
	v_cndmask_b32_e32 v91, v92, v86, vcc_lo
; %bb.66:
	s_or_b32 exec_lo, exec_lo, s3
	v_and_b32_e32 v86, 0x7f800000, v87
	s_delay_alu instid0(VALU_DEP_1) | instskip(SKIP_1) | instid1(SALU_CYCLE_1)
	v_cmp_ne_u32_e32 vcc_lo, 0x7f800000, v86
                                        ; implicit-def: $vgpr86
	s_and_saveexec_b32 s3, vcc_lo
	s_xor_b32 s3, exec_lo, s3
; %bb.67:
	v_bfe_u32 v86, v87, 16, 1
	s_delay_alu instid0(VALU_DEP_1)
	v_add3_u32 v86, v87, v86, 0x7fff
                                        ; implicit-def: $vgpr87
; %bb.68:
	s_and_not1_saveexec_b32 s3, s3
; %bb.69:
	v_and_b32_e32 v86, 0xffff, v87
	v_or_b32_e32 v92, 0x10000, v87
	s_delay_alu instid0(VALU_DEP_2) | instskip(NEXT) | instid1(VALU_DEP_2)
	v_cmp_eq_u32_e32 vcc_lo, 0, v86
	v_cndmask_b32_e32 v86, v92, v87, vcc_lo
; %bb.70:
	s_or_b32 exec_lo, exec_lo, s3
	v_and_b32_e32 v87, 0x7f800000, v88
	s_delay_alu instid0(VALU_DEP_1) | instskip(SKIP_1) | instid1(SALU_CYCLE_1)
	v_cmp_ne_u32_e32 vcc_lo, 0x7f800000, v87
                                        ; implicit-def: $vgpr87
	s_and_saveexec_b32 s3, vcc_lo
	s_xor_b32 s3, exec_lo, s3
; %bb.71:
	v_bfe_u32 v87, v88, 16, 1
	s_delay_alu instid0(VALU_DEP_1)
	v_add3_u32 v87, v88, v87, 0x7fff
                                        ; implicit-def: $vgpr88
; %bb.72:
	s_and_not1_saveexec_b32 s3, s3
; %bb.73:
	v_and_b32_e32 v87, 0xffff, v88
	v_or_b32_e32 v92, 0x10000, v88
	s_delay_alu instid0(VALU_DEP_2) | instskip(NEXT) | instid1(VALU_DEP_2)
	v_cmp_eq_u32_e32 vcc_lo, 0, v87
	v_cndmask_b32_e32 v87, v92, v88, vcc_lo
; %bb.74:
	s_or_b32 exec_lo, exec_lo, s3
	v_and_b32_e32 v88, 0x7f800000, v89
	s_delay_alu instid0(VALU_DEP_1) | instskip(SKIP_1) | instid1(SALU_CYCLE_1)
	v_cmp_ne_u32_e32 vcc_lo, 0x7f800000, v88
                                        ; implicit-def: $vgpr88
	s_and_saveexec_b32 s3, vcc_lo
	s_xor_b32 s3, exec_lo, s3
; %bb.75:
	v_bfe_u32 v88, v89, 16, 1
	s_delay_alu instid0(VALU_DEP_1)
	v_add3_u32 v88, v89, v88, 0x7fff
                                        ; implicit-def: $vgpr89
; %bb.76:
	s_and_not1_saveexec_b32 s3, s3
; %bb.77:
	v_and_b32_e32 v88, 0xffff, v89
	v_or_b32_e32 v92, 0x10000, v89
	s_delay_alu instid0(VALU_DEP_2) | instskip(NEXT) | instid1(VALU_DEP_2)
	v_cmp_eq_u32_e32 vcc_lo, 0, v88
	v_cndmask_b32_e32 v88, v92, v89, vcc_lo
; %bb.78:
	s_or_b32 exec_lo, exec_lo, s3
	s_delay_alu instid0(VALU_DEP_1)
	v_perm_b32 v89, v88, v87, 0x7060302
	v_perm_b32 v88, v86, v91, 0x7060302
	;; [unrolled: 1-line block ×4, first 2 shown]
	v_lshl_or_b32 v90, v74, 11, v85
	ds_store_b128 v77, v[86:89] offset:1024
	s_waitcnt lgkmcnt(0)
	s_barrier
	buffer_gl0_inv
	ds_load_b128 v[91:94], v90
	ds_load_b128 v[95:98], v90 offset:16
	v_lshlrev_b32_e32 v87, 2, v83
	s_delay_alu instid0(VALU_DEP_1)
	v_or_b32_e32 v88, 1, v87
	v_cmp_eq_u32_e32 vcc_lo, 1, v87
	v_cmp_eq_u32_e64 s4, 2, v87
	v_cmp_eq_u32_e64 s7, 3, v87
	;; [unrolled: 1-line block ×6, first 2 shown]
	v_or_b32_e32 v86, 2, v87
	v_cmp_eq_u32_e64 s10, 5, v87
	v_cmp_eq_u32_e64 s11, 4, v88
	;; [unrolled: 1-line block ×4, first 2 shown]
	s_waitcnt lgkmcnt(1)
	v_lshrrev_b32_e32 v74, 16, v91
	s_waitcnt lgkmcnt(0)
	v_lshrrev_b32_e32 v103, 16, v95
	v_lshrrev_b32_e32 v80, 16, v94
	;; [unrolled: 1-line block ×4, first 2 shown]
	v_cndmask_b32_e32 v89, v91, v74, vcc_lo
	v_cndmask_b32_e32 v99, v95, v103, vcc_lo
	v_cndmask_b32_e64 v100, v91, v74, s3
	v_lshrrev_b32_e32 v79, 16, v93
	v_lshrrev_b32_e32 v108, 16, v97
	v_cndmask_b32_e64 v89, v89, v92, s4
	v_cndmask_b32_e64 v99, v99, v96, s4
	;; [unrolled: 1-line block ×4, first 2 shown]
	v_cmp_eq_u32_e64 s5, 1, v86
	v_cndmask_b32_e64 v89, v89, v78, s7
	v_cndmask_b32_e64 v99, v99, v107, s7
	;; [unrolled: 1-line block ×4, first 2 shown]
	v_lshrrev_b32_e32 v109, 16, v98
	v_cndmask_b32_e64 v89, v89, v93, s9
	v_cndmask_b32_e64 v99, v99, v97, s9
	v_cndmask_b32_e64 v100, v100, v93, s11
	v_cndmask_b32_e64 v102, v91, v74, s5
	v_cndmask_b32_e64 v101, v101, v107, s8
	v_cndmask_b32_e64 v89, v89, v79, s10
	v_cndmask_b32_e64 v99, v99, v108, s10
	v_cndmask_b32_e64 v100, v100, v79, s13
	v_cmp_eq_u32_e64 s15, 7, v87
	v_cmp_eq_u32_e64 s16, 6, v88
	v_cndmask_b32_e64 v89, v89, v94, s12
	v_cndmask_b32_e64 v99, v99, v98, s12
	v_cmp_eq_u32_e64 s17, 2, v86
	v_cndmask_b32_e64 v101, v101, v97, s11
	v_cndmask_b32_e64 v100, v100, v94, s16
	;; [unrolled: 1-line block ×6, first 2 shown]
	v_cmp_eq_u32_e64 s18, 7, v88
	v_cmp_eq_u32_e64 s19, 3, v86
	v_cmp_eq_u32_e64 s20, 4, v86
	v_cmp_eq_u32_e64 s22, 5, v86
	v_cndmask_b32_e64 v99, v99, v96, s17
	v_cndmask_b32_e64 v112, v100, v80, s18
	;; [unrolled: 1-line block ×4, first 2 shown]
	v_or_b32_e32 v89, 3, v87
	v_cndmask_b32_e64 v105, v99, v107, s19
	v_cmp_eq_u32_e64 s24, 6, v86
	v_cndmask_b32_e64 v113, v100, v98, s16
	v_cndmask_b32_e64 v104, v101, v93, s20
	ds_load_b128 v[99:102], v90 offset:1024
	v_cmp_eq_u32_e64 s21, 1, v89
	v_cmp_eq_u32_e64 s23, 2, v89
	;; [unrolled: 1-line block ×3, first 2 shown]
	v_cndmask_b32_e64 v114, v104, v79, s22
	v_cmp_eq_u32_e64 s26, 4, v89
	v_cndmask_b32_e64 v74, v91, v74, s21
	v_cndmask_b32_e64 v91, v105, v97, s20
	;; [unrolled: 1-line block ×3, first 2 shown]
	ds_load_b128 v[103:106], v90 offset:1040
	v_cmp_eq_u32_e64 s28, 5, v89
	v_cndmask_b32_e64 v74, v74, v92, s23
	v_cndmask_b32_e64 v91, v91, v108, s22
	;; [unrolled: 1-line block ×3, first 2 shown]
	v_cmp_eq_u32_e64 s29, 6, v89
	v_cndmask_b32_e64 v95, v113, v109, s18
	v_cndmask_b32_e64 v74, v74, v78, s25
	;; [unrolled: 1-line block ×5, first 2 shown]
	s_waitcnt lgkmcnt(1)
	v_lshrrev_b32_e32 v96, 16, v99
	v_cndmask_b32_e64 v74, v74, v93, s26
	v_lshrrev_b32_e32 v107, 16, v100
	v_cndmask_b32_e64 v92, v92, v97, s26
	v_cmp_eq_u32_e64 s27, 7, v86
	v_cndmask_b32_e32 v93, v99, v96, vcc_lo
	v_cndmask_b32_e64 v74, v74, v79, s28
	s_delay_alu instid0(VALU_DEP_4)
	v_cndmask_b32_e64 v79, v92, v108, s28
	s_waitcnt lgkmcnt(0)
	v_lshrrev_b32_e32 v97, 16, v103
	v_cndmask_b32_e64 v92, v93, v100, s4
	v_cndmask_b32_e64 v93, v99, v96, s3
	;; [unrolled: 1-line block ×4, first 2 shown]
	v_cndmask_b32_e32 v108, v103, v97, vcc_lo
	v_cndmask_b32_e64 v92, v92, v107, s7
	v_cndmask_b32_e64 v93, v93, v100, s6
	v_lshrrev_b32_e32 v98, 16, v104
	v_cmp_eq_u32_e32 vcc_lo, 7, v89
	v_cndmask_b32_e64 v94, v108, v104, s4
	v_cndmask_b32_e64 v92, v92, v101, s9
	v_lshrrev_b32_e32 v108, 16, v101
	v_cndmask_b32_e64 v93, v93, v107, s8
	v_cndmask_b32_e32 v74, v74, v80, vcc_lo
	v_cndmask_b32_e64 v94, v94, v98, s7
	v_cndmask_b32_e32 v79, v79, v109, vcc_lo
	v_cndmask_b32_e64 v92, v92, v108, s10
	v_cndmask_b32_e64 v78, v78, v80, s27
	;; [unrolled: 1-line block ×4, first 2 shown]
	v_perm_b32 v94, v79, v74, 0x5040100
	v_cndmask_b32_e64 v79, v92, v102, s12
	v_perm_b32 v92, v95, v112, 0x5040100
	v_cndmask_b32_e64 v95, v99, v96, s5
	v_cndmask_b32_e64 v96, v99, v96, s21
	;; [unrolled: 1-line block ×16, first 2 shown]
	v_lshrrev_b32_e32 v109, 16, v105
	v_cndmask_b32_e64 v95, v95, v101, s20
	v_cndmask_b32_e64 v96, v96, v101, s26
	;; [unrolled: 1-line block ×6, first 2 shown]
	v_lshrrev_b32_e32 v80, 16, v102
	v_cndmask_b32_e64 v113, v93, v109, s10
	v_cndmask_b32_e64 v95, v95, v108, s22
	v_cndmask_b32_e64 v96, v96, v108, s28
	v_cndmask_b32_e64 v98, v98, v109, s28
	v_cndmask_b32_e64 v99, v99, v109, s22
	v_cndmask_b32_e64 v97, v97, v109, s13
	v_perm_b32 v93, v91, v78, 0x5040100
	v_cndmask_b32_e64 v74, v74, v102, s16
	v_cndmask_b32_e64 v78, v79, v80, s15
	v_cndmask_b32_e64 v79, v113, v106, s12
	v_lshrrev_b32_e32 v91, 16, v106
	v_cndmask_b32_e64 v95, v95, v102, s24
	v_cndmask_b32_e64 v96, v96, v102, s29
	;; [unrolled: 1-line block ×7, first 2 shown]
	v_cndmask_b32_e32 v80, v96, v80, vcc_lo
	v_cndmask_b32_e32 v96, v98, v91, vcc_lo
	v_cndmask_b32_e64 v99, v99, v91, s27
	v_cndmask_b32_e64 v100, v97, v91, s18
	;; [unrolled: 1-line block ×3, first 2 shown]
	v_perm_b32 v91, v111, v110, 0x5040100
	v_perm_b32 v98, v96, v80, 0x5040100
	v_perm_b32 v97, v99, v95, 0x5040100
	v_perm_b32 v96, v100, v74, 0x5040100
	v_perm_b32 v95, v79, v78, 0x5040100
	s_mul_i32 s8, s35, 14
	s_mov_b32 s3, exec_lo
	ds_store_b128 v77, v[91:94]
	ds_store_b128 v77, v[95:98] offset:1024
	v_cmpx_gt_u32_e32 14, v0
	s_cbranch_execz .LBB571_80
; %bb.79:
	s_mul_i32 s4, s8, s30
	s_delay_alu instid0(SALU_CYCLE_1) | instskip(SKIP_1) | instid1(VALU_DEP_1)
	v_add3_u32 v77, s4, s31, v73
	s_load_b128 s[4:7], s[0:1], 0x58
	v_mad_u64_u32 v[73:74], null, v77, s34, s[14:15]
	s_delay_alu instid0(VALU_DEP_1) | instskip(NEXT) | instid1(VALU_DEP_1)
	v_ashrrev_i32_e32 v74, 31, v73
	v_lshlrev_b64 v[73:74], 2, v[73:74]
	s_waitcnt lgkmcnt(0)
	s_delay_alu instid0(VALU_DEP_1) | instskip(NEXT) | instid1(VALU_DEP_2)
	v_add_co_u32 v77, vcc_lo, s6, v73
	v_add_co_ci_u32_e32 v78, vcc_lo, s7, v74, vcc_lo
	v_add_co_u32 v73, vcc_lo, s4, v73
	v_add_co_ci_u32_e32 v74, vcc_lo, s5, v74, vcc_lo
	global_store_b32 v[77:78], v75, off
	global_store_b32 v[73:74], v76, off
.LBB571_80:
	s_or_b32 exec_lo, exec_lo, s3
	s_waitcnt lgkmcnt(0)
	s_waitcnt_vscnt null, 0x0
	s_barrier
	buffer_gl0_inv
	ds_load_b128 v[91:94], v85
	ds_load_b128 v[95:98], v85 offset:16
	ds_load_b128 v[103:106], v85 offset:1040
	;; [unrolled: 1-line block ×3, first 2 shown]
	v_mov_b32_e32 v73, 0
	ds_load_b128 v[111:114], v85 offset:2064
	ds_load_b128 v[107:110], v85 offset:2048
	;; [unrolled: 1-line block ×6, first 2 shown]
	v_mov_b32_e32 v74, v73
	v_mov_b32_e32 v75, v73
	;; [unrolled: 1-line block ×7, first 2 shown]
	s_waitcnt lgkmcnt(8)
	s_delay_alu instid0(VALU_DEP_1)
	v_wmma_f32_16x16x16_bf16 v[73:80], v[65:72], v[91:98], v[73:80]
	ds_load_b128 v[69:72], v85 offset:5136
	ds_load_b128 v[65:68], v85 offset:5120
	;; [unrolled: 1-line block ×4, first 2 shown]
	s_waitcnt lgkmcnt(10)
	v_wmma_f32_16x16x16_bf16 v[73:80], v[57:64], v[99:106], v[73:80]
	s_waitcnt lgkmcnt(8)
	s_delay_alu instid0(VALU_DEP_1)
	v_wmma_f32_16x16x16_bf16 v[73:80], v[57:64], v[107:114], v[73:80]
	ds_load_b128 v[61:64], v85 offset:7184
	ds_load_b128 v[57:60], v85 offset:7168
	;; [unrolled: 1-line block ×4, first 2 shown]
	s_waitcnt lgkmcnt(10)
	v_wmma_f32_16x16x16_bf16 v[73:80], v[49:56], v[115:122], v[73:80]
	s_waitcnt lgkmcnt(8)
	s_delay_alu instid0(VALU_DEP_1)
	v_wmma_f32_16x16x16_bf16 v[73:80], v[49:56], v[123:130], v[73:80]
	ds_load_b128 v[53:56], v85 offset:9232
	ds_load_b128 v[49:52], v85 offset:9216
	s_waitcnt lgkmcnt(8)
	v_wmma_f32_16x16x16_bf16 v[73:80], v[41:48], v[65:72], v[73:80]
	ds_load_b128 v[69:72], v85 offset:10256
	ds_load_b128 v[65:68], v85 offset:10240
	s_waitcnt lgkmcnt(8)
	;; [unrolled: 4-line block ×3, first 2 shown]
	v_wmma_f32_16x16x16_bf16 v[73:80], v[9:16], v[57:64], v[73:80]
	s_waitcnt lgkmcnt(6)
	s_delay_alu instid0(VALU_DEP_1)
	v_wmma_f32_16x16x16_bf16 v[73:80], v[9:16], v[99:106], v[73:80]
	ds_load_b128 v[13:16], v85 offset:12304
	ds_load_b128 v[9:12], v85 offset:12288
	s_waitcnt lgkmcnt(6)
	v_wmma_f32_16x16x16_bf16 v[73:80], v[1:8], v[49:56], v[73:80]
	ds_load_b128 v[53:56], v85 offset:13328
	ds_load_b128 v[49:52], v85 offset:13312
	s_waitcnt lgkmcnt(6)
	;; [unrolled: 4-line block ×4, first 2 shown]
	v_wmma_f32_16x16x16_bf16 v[73:80], v[33:40], v[9:16], v[73:80]
	s_waitcnt lgkmcnt(4)
	s_delay_alu instid0(VALU_DEP_1) | instskip(SKIP_1) | instid1(VALU_DEP_1)
	v_wmma_f32_16x16x16_bf16 v[73:80], v[25:32], v[49:56], v[73:80]
	s_waitcnt lgkmcnt(2)
	v_wmma_f32_16x16x16_bf16 v[73:80], v[25:32], v[1:8], v[73:80]
	s_waitcnt lgkmcnt(0)
	s_delay_alu instid0(VALU_DEP_1) | instskip(NEXT) | instid1(VALU_DEP_1)
	v_wmma_f32_16x16x16_bf16 v[73:80], v[17:24], v[41:48], v[73:80]
	v_and_b32_e32 v1, 0x7f800000, v73
	s_delay_alu instid0(VALU_DEP_1) | instskip(SKIP_1) | instid1(SALU_CYCLE_1)
	v_cmp_ne_u32_e32 vcc_lo, 0x7f800000, v1
                                        ; implicit-def: $vgpr1
	s_and_saveexec_b32 s3, vcc_lo
	s_xor_b32 s3, exec_lo, s3
; %bb.81:
	v_bfe_u32 v1, v73, 16, 1
	s_delay_alu instid0(VALU_DEP_1)
	v_add3_u32 v1, v73, v1, 0x7fff
; %bb.82:
	s_and_not1_saveexec_b32 s3, s3
; %bb.83:
	v_and_b32_e32 v1, 0xffff, v73
	v_or_b32_e32 v2, 0x10000, v73
	s_delay_alu instid0(VALU_DEP_2) | instskip(NEXT) | instid1(VALU_DEP_2)
	v_cmp_eq_u32_e32 vcc_lo, 0, v1
	v_cndmask_b32_e32 v1, v2, v73, vcc_lo
; %bb.84:
	s_or_b32 exec_lo, exec_lo, s3
	v_and_b32_e32 v2, 0x7f800000, v74
	s_delay_alu instid0(VALU_DEP_1) | instskip(SKIP_1) | instid1(SALU_CYCLE_1)
	v_cmp_ne_u32_e32 vcc_lo, 0x7f800000, v2
                                        ; implicit-def: $vgpr2
	s_and_saveexec_b32 s3, vcc_lo
	s_xor_b32 s3, exec_lo, s3
; %bb.85:
	v_bfe_u32 v2, v74, 16, 1
	s_delay_alu instid0(VALU_DEP_1)
	v_add3_u32 v2, v74, v2, 0x7fff
; %bb.86:
	s_and_not1_saveexec_b32 s3, s3
; %bb.87:
	v_and_b32_e32 v2, 0xffff, v74
	v_or_b32_e32 v3, 0x10000, v74
	s_delay_alu instid0(VALU_DEP_2) | instskip(NEXT) | instid1(VALU_DEP_2)
	v_cmp_eq_u32_e32 vcc_lo, 0, v2
	v_cndmask_b32_e32 v2, v3, v74, vcc_lo
; %bb.88:
	s_or_b32 exec_lo, exec_lo, s3
	v_and_b32_e32 v3, 0x7f800000, v75
	s_delay_alu instid0(VALU_DEP_1) | instskip(SKIP_1) | instid1(SALU_CYCLE_1)
	v_cmp_ne_u32_e32 vcc_lo, 0x7f800000, v3
                                        ; implicit-def: $vgpr3
	s_and_saveexec_b32 s3, vcc_lo
	s_xor_b32 s3, exec_lo, s3
; %bb.89:
	v_bfe_u32 v3, v75, 16, 1
	s_delay_alu instid0(VALU_DEP_1)
	v_add3_u32 v3, v75, v3, 0x7fff
; %bb.90:
	s_and_not1_saveexec_b32 s3, s3
; %bb.91:
	v_and_b32_e32 v3, 0xffff, v75
	v_or_b32_e32 v4, 0x10000, v75
	s_delay_alu instid0(VALU_DEP_2) | instskip(NEXT) | instid1(VALU_DEP_2)
	v_cmp_eq_u32_e32 vcc_lo, 0, v3
	v_cndmask_b32_e32 v3, v4, v75, vcc_lo
; %bb.92:
	s_or_b32 exec_lo, exec_lo, s3
	v_and_b32_e32 v4, 0x7f800000, v76
	s_delay_alu instid0(VALU_DEP_1) | instskip(SKIP_1) | instid1(SALU_CYCLE_1)
	v_cmp_ne_u32_e32 vcc_lo, 0x7f800000, v4
                                        ; implicit-def: $vgpr4
	s_and_saveexec_b32 s3, vcc_lo
	s_xor_b32 s3, exec_lo, s3
; %bb.93:
	v_bfe_u32 v4, v76, 16, 1
	s_delay_alu instid0(VALU_DEP_1)
	v_add3_u32 v4, v76, v4, 0x7fff
; %bb.94:
	s_and_not1_saveexec_b32 s3, s3
; %bb.95:
	v_and_b32_e32 v4, 0xffff, v76
	v_or_b32_e32 v5, 0x10000, v76
	s_delay_alu instid0(VALU_DEP_2) | instskip(NEXT) | instid1(VALU_DEP_2)
	v_cmp_eq_u32_e32 vcc_lo, 0, v4
	v_cndmask_b32_e32 v4, v5, v76, vcc_lo
; %bb.96:
	s_or_b32 exec_lo, exec_lo, s3
	v_and_b32_e32 v5, 0x7f800000, v77
	s_delay_alu instid0(VALU_DEP_1) | instskip(SKIP_1) | instid1(SALU_CYCLE_1)
	v_cmp_ne_u32_e32 vcc_lo, 0x7f800000, v5
                                        ; implicit-def: $vgpr5
	s_and_saveexec_b32 s3, vcc_lo
	s_xor_b32 s3, exec_lo, s3
; %bb.97:
	v_bfe_u32 v5, v77, 16, 1
	s_delay_alu instid0(VALU_DEP_1)
	v_add3_u32 v5, v77, v5, 0x7fff
; %bb.98:
	s_and_not1_saveexec_b32 s3, s3
; %bb.99:
	v_and_b32_e32 v5, 0xffff, v77
	v_or_b32_e32 v6, 0x10000, v77
	s_delay_alu instid0(VALU_DEP_2) | instskip(NEXT) | instid1(VALU_DEP_2)
	v_cmp_eq_u32_e32 vcc_lo, 0, v5
	v_cndmask_b32_e32 v5, v6, v77, vcc_lo
; %bb.100:
	s_or_b32 exec_lo, exec_lo, s3
	v_and_b32_e32 v6, 0x7f800000, v78
	s_delay_alu instid0(VALU_DEP_1) | instskip(SKIP_1) | instid1(SALU_CYCLE_1)
	v_cmp_ne_u32_e32 vcc_lo, 0x7f800000, v6
                                        ; implicit-def: $vgpr6
	s_and_saveexec_b32 s3, vcc_lo
	s_xor_b32 s3, exec_lo, s3
; %bb.101:
	v_bfe_u32 v6, v78, 16, 1
	s_delay_alu instid0(VALU_DEP_1)
	v_add3_u32 v6, v78, v6, 0x7fff
; %bb.102:
	s_and_not1_saveexec_b32 s3, s3
; %bb.103:
	v_and_b32_e32 v6, 0xffff, v78
	v_or_b32_e32 v7, 0x10000, v78
	s_delay_alu instid0(VALU_DEP_2) | instskip(NEXT) | instid1(VALU_DEP_2)
	v_cmp_eq_u32_e32 vcc_lo, 0, v6
	v_cndmask_b32_e32 v6, v7, v78, vcc_lo
; %bb.104:
	s_or_b32 exec_lo, exec_lo, s3
	v_and_b32_e32 v7, 0x7f800000, v79
	s_delay_alu instid0(VALU_DEP_1) | instskip(SKIP_1) | instid1(SALU_CYCLE_1)
	v_cmp_ne_u32_e32 vcc_lo, 0x7f800000, v7
                                        ; implicit-def: $vgpr7
	s_and_saveexec_b32 s3, vcc_lo
	s_xor_b32 s3, exec_lo, s3
; %bb.105:
	v_bfe_u32 v7, v79, 16, 1
	s_delay_alu instid0(VALU_DEP_1)
	v_add3_u32 v7, v79, v7, 0x7fff
; %bb.106:
	s_and_not1_saveexec_b32 s3, s3
; %bb.107:
	v_and_b32_e32 v7, 0xffff, v79
	v_or_b32_e32 v8, 0x10000, v79
	s_delay_alu instid0(VALU_DEP_2) | instskip(NEXT) | instid1(VALU_DEP_2)
	v_cmp_eq_u32_e32 vcc_lo, 0, v7
	v_cndmask_b32_e32 v7, v8, v79, vcc_lo
; %bb.108:
	s_or_b32 exec_lo, exec_lo, s3
	v_and_b32_e32 v8, 0x7f800000, v80
	s_delay_alu instid0(VALU_DEP_1) | instskip(SKIP_1) | instid1(SALU_CYCLE_1)
	v_cmp_ne_u32_e32 vcc_lo, 0x7f800000, v8
                                        ; implicit-def: $vgpr8
	s_and_saveexec_b32 s3, vcc_lo
	s_xor_b32 s3, exec_lo, s3
; %bb.109:
	v_bfe_u32 v8, v80, 16, 1
	s_delay_alu instid0(VALU_DEP_1)
	v_add3_u32 v8, v80, v8, 0x7fff
                                        ; implicit-def: $vgpr73_vgpr74_vgpr75_vgpr76_vgpr77_vgpr78_vgpr79_vgpr80
; %bb.110:
	s_and_not1_saveexec_b32 s3, s3
; %bb.111:
	v_and_b32_e32 v8, 0xffff, v80
	v_or_b32_e32 v9, 0x10000, v80
	s_delay_alu instid0(VALU_DEP_2) | instskip(NEXT) | instid1(VALU_DEP_2)
	v_cmp_eq_u32_e32 vcc_lo, 0, v8
	v_cndmask_b32_e32 v8, v9, v80, vcc_lo
; %bb.112:
	s_or_b32 exec_lo, exec_lo, s3
	s_delay_alu instid0(VALU_DEP_1)
	v_perm_b32 v7, v8, v7, 0x7060302
	v_perm_b32 v6, v6, v5, 0x7060302
	;; [unrolled: 1-line block ×4, first 2 shown]
	v_lshl_or_b32 v9, v83, 4, v90
	s_barrier
	buffer_gl0_inv
	v_cmp_eq_u32_e32 vcc_lo, 1, v87
	ds_store_b128 v9, v[4:7]
	s_waitcnt lgkmcnt(0)
	s_barrier
	buffer_gl0_inv
	ds_load_b128 v[1:4], v90
	ds_load_b128 v[5:8], v90 offset:16
	v_cmp_eq_u32_e64 s4, 2, v87
	v_cmp_eq_u32_e64 s3, 1, v88
	v_cmp_eq_u32_e64 s5, 3, v87
	v_cmp_eq_u32_e64 s7, 2, v86
	v_cmp_eq_u32_e64 s6, 7, v88
	s_waitcnt lgkmcnt(1)
	v_lshrrev_b32_e32 v10, 16, v1
	s_waitcnt lgkmcnt(0)
	v_lshrrev_b32_e32 v14, 16, v5
	v_lshrrev_b32_e32 v15, 16, v6
	v_lshrrev_b32_e32 v11, 16, v2
	v_lshrrev_b32_e32 v12, 16, v3
	v_cndmask_b32_e64 v20, v1, v10, s3
	v_cndmask_b32_e32 v19, v5, v14, vcc_lo
	v_cndmask_b32_e64 v21, v5, v14, s3
	v_lshrrev_b32_e32 v16, 16, v7
	v_cmp_eq_u32_e64 s3, 1, v86
	v_lshrrev_b32_e32 v13, 16, v4
	v_cndmask_b32_e64 v19, v19, v6, s4
	v_lshrrev_b32_e32 v17, 16, v8
	s_delay_alu instid0(VALU_DEP_4) | instskip(SKIP_1) | instid1(VALU_DEP_4)
	v_cndmask_b32_e64 v22, v1, v10, s3
	v_cndmask_b32_e64 v23, v5, v14, s3
	;; [unrolled: 1-line block ×3, first 2 shown]
	v_cndmask_b32_e32 v18, v1, v10, vcc_lo
	v_cmp_eq_u32_e32 vcc_lo, 2, v88
	v_cmp_eq_u32_e64 s3, 2, v89
	v_cndmask_b32_e64 v22, v22, v2, s7
	v_cndmask_b32_e32 v20, v20, v2, vcc_lo
	v_cndmask_b32_e32 v21, v21, v6, vcc_lo
	v_cmp_eq_u32_e32 vcc_lo, 4, v87
	v_cndmask_b32_e32 v19, v19, v7, vcc_lo
	v_cndmask_b32_e64 v18, v18, v2, s4
	v_cmp_eq_u32_e64 s4, 3, v88
	s_delay_alu instid0(VALU_DEP_2) | instskip(NEXT) | instid1(VALU_DEP_2)
	v_cndmask_b32_e64 v18, v18, v11, s5
	v_cndmask_b32_e64 v21, v21, v15, s4
	v_cmp_eq_u32_e64 s5, 5, v87
	s_delay_alu instid0(VALU_DEP_3) | instskip(SKIP_1) | instid1(VALU_DEP_3)
	v_cndmask_b32_e32 v18, v18, v3, vcc_lo
	v_cmp_eq_u32_e32 vcc_lo, 4, v88
	v_cndmask_b32_e64 v19, v19, v16, s5
	s_delay_alu instid0(VALU_DEP_3) | instskip(SKIP_4) | instid1(VALU_DEP_3)
	v_cndmask_b32_e64 v18, v18, v12, s5
	v_cndmask_b32_e32 v21, v21, v7, vcc_lo
	v_cndmask_b32_e64 v20, v20, v11, s4
	v_cmp_eq_u32_e64 s4, 5, v88
	v_cmp_eq_u32_e64 s5, 6, v87
	v_cndmask_b32_e32 v20, v20, v3, vcc_lo
	s_delay_alu instid0(VALU_DEP_3) | instskip(SKIP_1) | instid1(VALU_DEP_4)
	v_cndmask_b32_e64 v21, v21, v16, s4
	v_cmp_eq_u32_e32 vcc_lo, 6, v88
	v_cndmask_b32_e64 v18, v18, v4, s5
	v_cndmask_b32_e64 v19, v19, v8, s5
	;; [unrolled: 1-line block ×3, first 2 shown]
	v_cmp_eq_u32_e64 s4, 1, v89
	v_cmp_eq_u32_e64 s5, 7, v87
	s_delay_alu instid0(VALU_DEP_3) | instskip(NEXT) | instid1(VALU_DEP_3)
	v_cndmask_b32_e32 v20, v20, v4, vcc_lo
	v_cndmask_b32_e64 v1, v1, v10, s4
	v_cndmask_b32_e64 v5, v5, v14, s4
	v_cmp_eq_u32_e64 s4, 3, v86
	v_cndmask_b32_e64 v14, v23, v6, s7
	v_cmp_eq_u32_e64 s7, 3, v89
	v_cndmask_b32_e64 v1, v1, v2, s3
	v_cndmask_b32_e64 v2, v5, v6, s3
	;; [unrolled: 1-line block ×3, first 2 shown]
	v_cmp_eq_u32_e64 s3, 4, v86
	v_cndmask_b32_e64 v6, v14, v15, s4
	v_cndmask_b32_e64 v1, v1, v11, s7
	v_cmp_eq_u32_e64 s4, 4, v89
	v_cndmask_b32_e64 v2, v2, v15, s7
	v_cndmask_b32_e64 v5, v10, v3, s3
	;; [unrolled: 3-line block ×3, first 2 shown]
	v_cndmask_b32_e64 v2, v2, v7, s4
	v_cmp_eq_u32_e64 s3, 5, v89
	v_cndmask_b32_e64 v5, v5, v12, s7
	v_cmp_eq_u32_e64 s4, 6, v86
	;; [unrolled: 2-line block ×3, first 2 shown]
	v_cndmask_b32_e64 v1, v1, v12, s3
	v_cndmask_b32_e64 v2, v2, v16, s3
	;; [unrolled: 1-line block ×4, first 2 shown]
	v_cmp_eq_u32_e64 s3, 7, v89
	v_cndmask_b32_e64 v1, v1, v4, s7
	v_cndmask_b32_e64 v2, v2, v8, s7
	v_cmp_eq_u32_e64 s4, 7, v86
	v_cndmask_b32_e32 v4, v21, v8, vcc_lo
	v_cndmask_b32_e64 v18, v18, v13, s5
	v_cndmask_b32_e64 v20, v20, v13, s6
	;; [unrolled: 1-line block ×8, first 2 shown]
	v_cmp_gt_u32_e32 vcc_lo, 32, v0
	v_perm_b32 v4, v2, v1, 0x5040100
	v_perm_b32 v3, v3, v5, 0x5040100
	;; [unrolled: 1-line block ×4, first 2 shown]
	s_and_b32 s2, vcc_lo, s2
	ds_store_b128 v9, v[1:4]
	s_waitcnt lgkmcnt(0)
	s_barrier
	buffer_gl0_inv
	s_and_saveexec_b32 s3, s2
	s_cbranch_execz .LBB571_2
; %bb.113:
	s_load_b64 s[0:1], s[0:1], 0x68
	v_lshlrev_b32_e32 v0, 10, v0
	s_lshl_b32 s4, s34, 6
	v_or_b32_e32 v3, s31, v83
	s_mul_i32 s2, s4, s30
	v_lshlrev_b32_e32 v1, 4, v84
	v_lshlrev_b32_e32 v2, 6, v83
	v_and_b32_e32 v0, 0x3800, v0
	s_mul_i32 s2, s2, s8
	v_mul_lo_u32 v8, v3, s4
	s_ashr_i32 s3, s2, 31
	s_delay_alu instid0(SALU_CYCLE_1)
	s_lshl_b64 s[2:3], s[2:3], 1
	v_or3_b32 v16, v0, v1, v2
	ds_load_b128 v[0:3], v16
	ds_load_b128 v[4:7], v16 offset:128
	v_ashrrev_i32_e32 v9, 31, v8
	s_waitcnt lgkmcnt(0)
	s_add_u32 s2, s0, s2
	s_addc_u32 s3, s1, s3
	s_lshl_b32 s0, s14, 6
	s_delay_alu instid0(SALU_CYCLE_1) | instskip(SKIP_2) | instid1(SALU_CYCLE_1)
	s_ashr_i32 s1, s0, 31
	v_lshlrev_b64 v[9:10], 1, v[8:9]
	s_lshl_b64 s[0:1], s[0:1], 1
	s_add_u32 s0, s2, s0
	s_addc_u32 s1, s3, s1
	s_lshl_b32 s2, s34, 7
	v_add_co_u32 v30, vcc_lo, s0, v81
	v_add_nc_u32_e32 v11, s2, v8
	v_add_co_ci_u32_e32 v31, vcc_lo, s1, v82, vcc_lo
	s_delay_alu instid0(VALU_DEP_3) | instskip(NEXT) | instid1(VALU_DEP_3)
	v_add_co_u32 v9, vcc_lo, v30, v9
	v_add_nc_u32_e32 v8, s2, v11
	s_delay_alu instid0(VALU_DEP_3) | instskip(SKIP_1) | instid1(VALU_DEP_3)
	v_add_co_ci_u32_e32 v10, vcc_lo, v31, v10, vcc_lo
	v_ashrrev_i32_e32 v12, 31, v11
	v_add_nc_u32_e32 v13, s2, v8
	global_store_b128 v[9:10], v[0:3], off
	v_ashrrev_i32_e32 v9, 31, v8
	v_lshlrev_b64 v[11:12], 1, v[11:12]
	v_ashrrev_i32_e32 v14, 31, v13
	v_add_nc_u32_e32 v10, s2, v13
	s_delay_alu instid0(VALU_DEP_4) | instskip(NEXT) | instid1(VALU_DEP_4)
	v_lshlrev_b64 v[2:3], 1, v[8:9]
	v_add_co_u32 v0, vcc_lo, v30, v11
	s_delay_alu instid0(VALU_DEP_4)
	v_lshlrev_b64 v[8:9], 1, v[13:14]
	v_add_co_ci_u32_e32 v1, vcc_lo, v31, v12, vcc_lo
	v_ashrrev_i32_e32 v11, 31, v10
	v_add_co_u32 v22, vcc_lo, v30, v2
	v_add_nc_u32_e32 v20, s2, v10
	v_add_co_ci_u32_e32 v23, vcc_lo, v31, v3, vcc_lo
	v_add_co_u32 v24, vcc_lo, v30, v8
	global_store_b128 v[0:1], v[4:7], off
	v_add_co_ci_u32_e32 v25, vcc_lo, v31, v9, vcc_lo
	ds_load_b128 v[0:3], v16 offset:256
	ds_load_b128 v[4:7], v16 offset:384
	v_lshlrev_b64 v[26:27], 1, v[10:11]
	ds_load_b128 v[8:11], v16 offset:512
	ds_load_b128 v[12:15], v16 offset:640
	;; [unrolled: 1-line block ×3, first 2 shown]
	v_add_nc_u32_e32 v28, s2, v20
	v_ashrrev_i32_e32 v21, 31, v20
	v_add_co_u32 v26, vcc_lo, v30, v26
	s_delay_alu instid0(VALU_DEP_3) | instskip(NEXT) | instid1(VALU_DEP_3)
	v_ashrrev_i32_e32 v29, 31, v28
	v_lshlrev_b64 v[20:21], 1, v[20:21]
	v_add_co_ci_u32_e32 v27, vcc_lo, v31, v27, vcc_lo
	s_delay_alu instid0(VALU_DEP_3) | instskip(NEXT) | instid1(VALU_DEP_3)
	v_lshlrev_b64 v[28:29], 1, v[28:29]
	v_add_co_u32 v20, vcc_lo, v30, v20
	s_delay_alu instid0(VALU_DEP_4) | instskip(NEXT) | instid1(VALU_DEP_3)
	v_add_co_ci_u32_e32 v21, vcc_lo, v31, v21, vcc_lo
	v_add_co_u32 v28, vcc_lo, v30, v28
	s_delay_alu instid0(VALU_DEP_4)
	v_add_co_ci_u32_e32 v29, vcc_lo, v31, v29, vcc_lo
	s_waitcnt lgkmcnt(4)
	global_store_b128 v[22:23], v[0:3], off
	s_waitcnt lgkmcnt(3)
	global_store_b128 v[24:25], v[4:7], off
	;; [unrolled: 2-line block ×5, first 2 shown]
	s_nop 0
	s_sendmsg sendmsg(MSG_DEALLOC_VGPRS)
	s_endpgm
	.section	.rodata,"a",@progbits
	.p2align	6, 0x0
	.amdhsa_kernel _Z39paged_attention_ll4mi_QKV_mfma16_kernelI14__hip_bfloat16S0_LN4vllm18Fp8KVCacheDataTypeE0ES0_Li32ELi64ELi256ELb0ELi14EL8MFMAType0EEvPKT_PKT0_S9_ifPKiSB_SB_iPKfiiiPfSE_PS4_PT2_iSD_SD_
		.amdhsa_group_segment_fixed_size 17472
		.amdhsa_private_segment_fixed_size 0
		.amdhsa_kernarg_size 400
		.amdhsa_user_sgpr_count 13
		.amdhsa_user_sgpr_dispatch_ptr 0
		.amdhsa_user_sgpr_queue_ptr 0
		.amdhsa_user_sgpr_kernarg_segment_ptr 1
		.amdhsa_user_sgpr_dispatch_id 0
		.amdhsa_user_sgpr_private_segment_size 0
		.amdhsa_wavefront_size32 1
		.amdhsa_uses_dynamic_stack 0
		.amdhsa_enable_private_segment 0
		.amdhsa_system_sgpr_workgroup_id_x 1
		.amdhsa_system_sgpr_workgroup_id_y 1
		.amdhsa_system_sgpr_workgroup_id_z 1
		.amdhsa_system_sgpr_workgroup_info 0
		.amdhsa_system_vgpr_workitem_id 0
		.amdhsa_next_free_vgpr 142
		.amdhsa_next_free_sgpr 38
		.amdhsa_reserve_vcc 1
		.amdhsa_float_round_mode_32 0
		.amdhsa_float_round_mode_16_64 0
		.amdhsa_float_denorm_mode_32 3
		.amdhsa_float_denorm_mode_16_64 3
		.amdhsa_dx10_clamp 1
		.amdhsa_ieee_mode 1
		.amdhsa_fp16_overflow 0
		.amdhsa_workgroup_processor_mode 1
		.amdhsa_memory_ordered 1
		.amdhsa_forward_progress 0
		.amdhsa_shared_vgpr_count 0
		.amdhsa_exception_fp_ieee_invalid_op 0
		.amdhsa_exception_fp_denorm_src 0
		.amdhsa_exception_fp_ieee_div_zero 0
		.amdhsa_exception_fp_ieee_overflow 0
		.amdhsa_exception_fp_ieee_underflow 0
		.amdhsa_exception_fp_ieee_inexact 0
		.amdhsa_exception_int_div_zero 0
	.end_amdhsa_kernel
	.section	.text._Z39paged_attention_ll4mi_QKV_mfma16_kernelI14__hip_bfloat16S0_LN4vllm18Fp8KVCacheDataTypeE0ES0_Li32ELi64ELi256ELb0ELi14EL8MFMAType0EEvPKT_PKT0_S9_ifPKiSB_SB_iPKfiiiPfSE_PS4_PT2_iSD_SD_,"axG",@progbits,_Z39paged_attention_ll4mi_QKV_mfma16_kernelI14__hip_bfloat16S0_LN4vllm18Fp8KVCacheDataTypeE0ES0_Li32ELi64ELi256ELb0ELi14EL8MFMAType0EEvPKT_PKT0_S9_ifPKiSB_SB_iPKfiiiPfSE_PS4_PT2_iSD_SD_,comdat
.Lfunc_end571:
	.size	_Z39paged_attention_ll4mi_QKV_mfma16_kernelI14__hip_bfloat16S0_LN4vllm18Fp8KVCacheDataTypeE0ES0_Li32ELi64ELi256ELb0ELi14EL8MFMAType0EEvPKT_PKT0_S9_ifPKiSB_SB_iPKfiiiPfSE_PS4_PT2_iSD_SD_, .Lfunc_end571-_Z39paged_attention_ll4mi_QKV_mfma16_kernelI14__hip_bfloat16S0_LN4vllm18Fp8KVCacheDataTypeE0ES0_Li32ELi64ELi256ELb0ELi14EL8MFMAType0EEvPKT_PKT0_S9_ifPKiSB_SB_iPKfiiiPfSE_PS4_PT2_iSD_SD_
                                        ; -- End function
	.section	.AMDGPU.csdata,"",@progbits
; Kernel info:
; codeLenInByte = 9544
; NumSgprs: 40
; NumVgprs: 142
; ScratchSize: 0
; MemoryBound: 0
; FloatMode: 240
; IeeeMode: 1
; LDSByteSize: 17472 bytes/workgroup (compile time only)
; SGPRBlocks: 4
; VGPRBlocks: 17
; NumSGPRsForWavesPerEU: 40
; NumVGPRsForWavesPerEU: 142
; Occupancy: 10
; WaveLimiterHint : 1
; COMPUTE_PGM_RSRC2:SCRATCH_EN: 0
; COMPUTE_PGM_RSRC2:USER_SGPR: 13
; COMPUTE_PGM_RSRC2:TRAP_HANDLER: 0
; COMPUTE_PGM_RSRC2:TGID_X_EN: 1
; COMPUTE_PGM_RSRC2:TGID_Y_EN: 1
; COMPUTE_PGM_RSRC2:TGID_Z_EN: 1
; COMPUTE_PGM_RSRC2:TIDIG_COMP_CNT: 0
	.section	.text._Z39paged_attention_ll4mi_QKV_mfma16_kernelI14__hip_bfloat16S0_LN4vllm18Fp8KVCacheDataTypeE0ES0_Li32ELi64ELi256ELb0ELi15EL8MFMAType0EEvPKT_PKT0_S9_ifPKiSB_SB_iPKfiiiPfSE_PS4_PT2_iSD_SD_,"axG",@progbits,_Z39paged_attention_ll4mi_QKV_mfma16_kernelI14__hip_bfloat16S0_LN4vllm18Fp8KVCacheDataTypeE0ES0_Li32ELi64ELi256ELb0ELi15EL8MFMAType0EEvPKT_PKT0_S9_ifPKiSB_SB_iPKfiiiPfSE_PS4_PT2_iSD_SD_,comdat
	.protected	_Z39paged_attention_ll4mi_QKV_mfma16_kernelI14__hip_bfloat16S0_LN4vllm18Fp8KVCacheDataTypeE0ES0_Li32ELi64ELi256ELb0ELi15EL8MFMAType0EEvPKT_PKT0_S9_ifPKiSB_SB_iPKfiiiPfSE_PS4_PT2_iSD_SD_ ; -- Begin function _Z39paged_attention_ll4mi_QKV_mfma16_kernelI14__hip_bfloat16S0_LN4vllm18Fp8KVCacheDataTypeE0ES0_Li32ELi64ELi256ELb0ELi15EL8MFMAType0EEvPKT_PKT0_S9_ifPKiSB_SB_iPKfiiiPfSE_PS4_PT2_iSD_SD_
	.globl	_Z39paged_attention_ll4mi_QKV_mfma16_kernelI14__hip_bfloat16S0_LN4vllm18Fp8KVCacheDataTypeE0ES0_Li32ELi64ELi256ELb0ELi15EL8MFMAType0EEvPKT_PKT0_S9_ifPKiSB_SB_iPKfiiiPfSE_PS4_PT2_iSD_SD_
	.p2align	8
	.type	_Z39paged_attention_ll4mi_QKV_mfma16_kernelI14__hip_bfloat16S0_LN4vllm18Fp8KVCacheDataTypeE0ES0_Li32ELi64ELi256ELb0ELi15EL8MFMAType0EEvPKT_PKT0_S9_ifPKiSB_SB_iPKfiiiPfSE_PS4_PT2_iSD_SD_,@function
_Z39paged_attention_ll4mi_QKV_mfma16_kernelI14__hip_bfloat16S0_LN4vllm18Fp8KVCacheDataTypeE0ES0_Li32ELi64ELi256ELb0ELi15EL8MFMAType0EEvPKT_PKT0_S9_ifPKiSB_SB_iPKfiiiPfSE_PS4_PT2_iSD_SD_: ; @_Z39paged_attention_ll4mi_QKV_mfma16_kernelI14__hip_bfloat16S0_LN4vllm18Fp8KVCacheDataTypeE0ES0_Li32ELi64ELi256ELb0ELi15EL8MFMAType0EEvPKT_PKT0_S9_ifPKiSB_SB_iPKfiiiPfSE_PS4_PT2_iSD_SD_
; %bb.0:
	s_load_b64 s[2:3], s[0:1], 0x30
	s_mov_b32 s34, s13
	s_waitcnt lgkmcnt(0)
	s_cmp_lg_u64 s[2:3], 0
	s_cselect_b32 s6, -1, 0
	s_ashr_i32 s35, s13, 31
	s_cmp_eq_u64 s[2:3], 0
	s_cbranch_scc1 .LBB572_3
; %bb.1:
	s_lshl_b64 s[4:5], s[34:35], 2
	s_delay_alu instid0(SALU_CYCLE_1) | instskip(SKIP_4) | instid1(SALU_CYCLE_1)
	s_add_u32 s4, s2, s4
	s_addc_u32 s5, s3, s5
	s_load_b64 s[4:5], s[4:5], 0x0
	s_waitcnt lgkmcnt(0)
	s_sub_i32 s4, s5, s4
	s_cmp_eq_u32 s4, 1
	s_cselect_b32 s4, -1, 0
	s_delay_alu instid0(SALU_CYCLE_1)
	s_and_not1_b32 vcc_lo, exec_lo, s4
	s_cbranch_vccz .LBB572_4
.LBB572_2:
	s_nop 0
	s_sendmsg sendmsg(MSG_DEALLOC_VGPRS)
	s_endpgm
.LBB572_3:
.LBB572_4:
	s_load_b64 s[8:9], s[0:1], 0x28
	s_lshl_b64 s[4:5], s[34:35], 2
	s_waitcnt lgkmcnt(0)
	s_add_u32 s8, s8, s4
	s_addc_u32 s9, s9, s5
	s_lshl_b32 s16, s14, 8
	s_load_b32 s18, s[8:9], 0x0
	s_waitcnt lgkmcnt(0)
	s_cmp_ge_i32 s16, s18
	s_cbranch_scc1 .LBB572_2
; %bb.5:
	s_and_not1_b32 vcc_lo, exec_lo, s6
	s_cbranch_vccnz .LBB572_7
; %bb.6:
	s_add_u32 s2, s2, s4
	s_addc_u32 s3, s3, s5
	s_load_b32 s17, s[2:3], 0x0
	s_branch .LBB572_8
.LBB572_7:
	s_mov_b32 s17, s34
.LBB572_8:
	s_clause 0x2
	s_load_b128 s[8:11], s[0:1], 0x8
	s_load_b64 s[12:13], s[0:1], 0x20
	s_load_b128 s[4:7], s[0:1], 0x48
	v_lshrrev_b32_e32 v74, 5, v0
	v_bfe_u32 v83, v0, 4, 1
	v_and_b32_e32 v73, 15, v0
	s_delay_alu instid0(VALU_DEP_2) | instskip(NEXT) | instid1(VALU_DEP_2)
	v_lshl_or_b32 v3, v74, 1, v83
	v_cmp_lt_u32_e64 s3, 7, v73
	v_lshlrev_b32_e32 v1, 3, v73
	v_cmp_gt_u32_e64 s2, 8, v73
	s_delay_alu instid0(VALU_DEP_4) | instskip(NEXT) | instid1(VALU_DEP_4)
	v_cmp_lt_u32_e32 vcc_lo, 14, v3
	s_or_b32 s3, s3, vcc_lo
	s_waitcnt lgkmcnt(0)
	s_and_saveexec_b32 s7, s3
	s_delay_alu instid0(SALU_CYCLE_1)
	s_xor_b32 s3, exec_lo, s7
; %bb.9:
	v_mov_b32_e32 v2, 0
                                        ; implicit-def: $vgpr3
; %bb.10:
	s_or_saveexec_b32 s3, s3
	v_and_b32_e32 v75, 31, v0
	v_and_b32_e32 v84, 1, v0
	s_mul_i32 s31, s15, 15
	s_xor_b32 exec_lo, exec_lo, s3
	s_cbranch_execz .LBB572_12
; %bb.11:
	s_load_b64 s[20:21], s[0:1], 0x0
	v_add_lshl_u32 v4, v3, s31, 6
	s_mul_hi_i32 s23, s17, s4
	s_mul_i32 s22, s17, s4
	v_lshlrev_b32_e32 v2, 1, v1
	s_lshl_b64 s[22:23], s[22:23], 1
	v_ashrrev_i32_e32 v5, 31, v4
	v_lshlrev_b32_e32 v3, 6, v3
	v_lshlrev_b32_e32 v8, 10, v84
	s_delay_alu instid0(VALU_DEP_3) | instskip(SKIP_3) | instid1(VALU_DEP_1)
	v_lshlrev_b64 v[4:5], 1, v[4:5]
	s_waitcnt lgkmcnt(0)
	s_add_u32 s4, s20, s22
	s_addc_u32 s7, s21, s23
	v_add_co_u32 v4, vcc_lo, s4, v4
	s_delay_alu instid0(VALU_DEP_2) | instskip(NEXT) | instid1(VALU_DEP_2)
	v_add_co_ci_u32_e32 v5, vcc_lo, s7, v5, vcc_lo
	v_add_co_u32 v4, vcc_lo, v4, v2
	s_delay_alu instid0(VALU_DEP_2) | instskip(SKIP_3) | instid1(VALU_DEP_1)
	v_add_co_ci_u32_e32 v5, vcc_lo, 0, v5, vcc_lo
	v_lshlrev_b32_e32 v2, 10, v73
	global_load_b128 v[4:7], v[4:5], off
	v_and_b32_e32 v2, 0x3800, v2
	v_or3_b32 v3, v2, v8, v3
	v_mov_b32_e32 v2, 0
	s_waitcnt vmcnt(0)
	ds_store_b128 v3, v[4:7]
.LBB572_12:
	s_or_b32 exec_lo, exec_lo, s3
	v_and_b32_e32 v3, 0xef, v0
	s_add_i32 s3, s18, 31
	s_clause 0x1
	s_load_b32 s4, s[0:1], 0x38
	s_load_b32 s19, s[0:1], 0x1c
	s_ashr_i32 s7, s3, 31
	v_add_nc_u32_e32 v3, s16, v3
	s_lshr_b32 s7, s7, 27
	s_waitcnt lgkmcnt(0)
	s_add_i32 s3, s3, s7
	s_barrier
	v_ashrrev_i32_e32 v4, 31, v3
	v_cmp_gt_i32_e32 vcc_lo, s18, v3
	s_ashr_i32 s3, s3, 5
	buffer_gl0_inv
	s_add_i32 s3, s3, -1
	v_lshrrev_b32_e32 v5, 27, v4
	v_or_b32_e32 v4, 16, v3
	s_mul_i32 s6, s15, s6
	v_lshlrev_b64 v[81:82], 1, v[1:2]
	s_delay_alu instid0(VALU_DEP_3) | instskip(NEXT) | instid1(VALU_DEP_3)
	v_add_nc_u32_e32 v6, v3, v5
	v_add_nc_u32_e32 v5, v4, v5
	s_mul_i32 s20, s34, s4
	s_delay_alu instid0(SALU_CYCLE_1) | instskip(NEXT) | instid1(VALU_DEP_2)
	s_ashr_i32 s21, s20, 31
	v_ashrrev_i32_e32 v6, 5, v6
	s_delay_alu instid0(VALU_DEP_2) | instskip(SKIP_1) | instid1(SALU_CYCLE_1)
	v_ashrrev_i32_e32 v5, 5, v5
	s_lshl_b64 s[20:21], s[20:21], 2
	s_add_u32 s4, s12, s20
	s_delay_alu instid0(VALU_DEP_2) | instskip(SKIP_3) | instid1(SALU_CYCLE_1)
	v_cndmask_b32_e32 v3, s3, v6, vcc_lo
	v_cmp_gt_i32_e32 vcc_lo, s18, v4
	s_addc_u32 s17, s13, s21
	s_ashr_i32 s7, s6, 31
	s_lshl_b64 s[6:7], s[6:7], 1
	v_cndmask_b32_e32 v5, s3, v5, vcc_lo
	v_ashrrev_i32_e32 v4, 31, v3
	s_add_u32 s15, s8, s6
	s_addc_u32 s28, s9, s7
	s_lshl_b32 s8, s14, 3
	v_ashrrev_i32_e32 v6, 31, v5
	v_lshlrev_b64 v[3:4], 2, v[3:4]
	s_ashr_i32 s9, s8, 31
	s_delay_alu instid0(SALU_CYCLE_1) | instskip(NEXT) | instid1(VALU_DEP_2)
	s_lshl_b64 s[8:9], s[8:9], 2
	v_lshlrev_b64 v[5:6], 2, v[5:6]
	s_add_u32 s8, s4, s8
	s_delay_alu instid0(VALU_DEP_2) | instskip(SKIP_1) | instid1(VALU_DEP_3)
	v_add_co_u32 v3, vcc_lo, s4, v3
	v_add_co_ci_u32_e32 v4, vcc_lo, s17, v4, vcc_lo
	v_add_co_u32 v5, vcc_lo, s4, v5
	s_delay_alu instid0(VALU_DEP_4)
	v_add_co_ci_u32_e32 v6, vcc_lo, s17, v6, vcc_lo
	s_addc_u32 s9, s17, s9
	s_clause 0x1
	global_load_b32 v7, v[3:4], off
	global_load_b32 v8, v[5:6], off
	s_or_b32 s12, s16, 32
	s_delay_alu instid0(SALU_CYCLE_1) | instskip(SKIP_2) | instid1(SALU_CYCLE_1)
	s_ashr_i32 s13, s12, 5
	s_cmp_lt_i32 s12, s18
	s_cselect_b32 s12, s13, s3
	s_ashr_i32 s13, s12, 31
	s_delay_alu instid0(SALU_CYCLE_1) | instskip(NEXT) | instid1(SALU_CYCLE_1)
	s_lshl_b64 s[12:13], s[12:13], 2
	s_add_u32 s12, s4, s12
	s_addc_u32 s13, s17, s13
	s_or_b32 s20, s16, 64
	s_delay_alu instid0(SALU_CYCLE_1) | instskip(SKIP_2) | instid1(SALU_CYCLE_1)
	s_ashr_i32 s21, s20, 5
	s_cmp_lt_i32 s20, s18
	s_cselect_b32 s20, s21, s3
	s_ashr_i32 s21, s20, 31
	s_delay_alu instid0(SALU_CYCLE_1) | instskip(NEXT) | instid1(SALU_CYCLE_1)
	s_lshl_b64 s[20:21], s[20:21], 2
	s_add_u32 s20, s4, s20
	s_addc_u32 s21, s17, s21
	;; [unrolled: 10-line block ×5, first 2 shown]
	s_clause 0x5
	s_load_b32 s29, s[8:9], 0x0
	s_load_b32 s30, s[12:13], 0x0
	;; [unrolled: 1-line block ×6, first 2 shown]
	s_mov_b32 s20, 0
	s_or_b32 s8, s16, 0xc0
	s_mov_b32 s21, s20
	s_mov_b32 s22, s20
	;; [unrolled: 1-line block ×7, first 2 shown]
	s_ashr_i32 s9, s8, 5
	v_mov_b32_e32 v117, s27
	s_cmp_lt_i32 s8, s18
	v_mov_b32_e32 v116, s26
	s_cselect_b32 s8, s9, s3
	v_mov_b32_e32 v115, s25
	s_ashr_i32 s9, s8, 31
	v_dual_mov_b32 v114, s24 :: v_dual_mov_b32 v113, s23
	v_dual_mov_b32 v112, s22 :: v_dual_mov_b32 v111, s21
	s_lshl_b64 s[8:9], s[8:9], 2
	s_waitcnt lgkmcnt(0)
	s_mul_hi_i32 s13, s29, s5
	s_add_u32 s8, s4, s8
	s_addc_u32 s9, s17, s9
	s_mul_i32 s12, s29, s5
	s_mul_hi_i32 s37, s38, s5
	v_mov_b32_e32 v110, s20
	s_mul_hi_i32 s21, s30, s5
	s_mul_i32 s20, s30, s5
	s_mul_hi_i32 s25, s33, s5
	s_mul_i32 s24, s33, s5
	;; [unrolled: 2-line block ×3, first 2 shown]
	s_waitcnt vmcnt(1)
	v_mad_i64_i32 v[3:4], null, v7, s5, 0
	s_waitcnt vmcnt(0)
	v_mad_i64_i32 v[5:6], null, v8, s5, 0
	s_delay_alu instid0(VALU_DEP_2) | instskip(NEXT) | instid1(VALU_DEP_2)
	v_lshlrev_b64 v[3:4], 1, v[3:4]
	v_lshlrev_b64 v[1:2], 1, v[5:6]
	s_delay_alu instid0(VALU_DEP_2) | instskip(NEXT) | instid1(VALU_DEP_3)
	v_add_co_u32 v3, vcc_lo, s15, v3
	v_add_co_ci_u32_e32 v4, vcc_lo, s28, v4, vcc_lo
	s_delay_alu instid0(VALU_DEP_3) | instskip(NEXT) | instid1(VALU_DEP_4)
	v_add_co_u32 v1, vcc_lo, s15, v1
	v_add_co_ci_u32_e32 v2, vcc_lo, s28, v2, vcc_lo
	s_delay_alu instid0(VALU_DEP_4) | instskip(NEXT) | instid1(VALU_DEP_4)
	v_add_co_u32 v41, vcc_lo, v3, v81
	v_add_co_ci_u32_e32 v42, vcc_lo, v4, v82, vcc_lo
	s_delay_alu instid0(VALU_DEP_4) | instskip(NEXT) | instid1(VALU_DEP_4)
	v_add_co_u32 v43, vcc_lo, v1, v81
	v_add_co_ci_u32_e32 v44, vcc_lo, v2, v82, vcc_lo
	s_clause 0xf
	global_load_b128 v[1:4], v[41:42], off
	global_load_b128 v[5:8], v[41:42], off offset:512
	global_load_b128 v[9:12], v[43:44], off offset:256
	global_load_b128 v[13:16], v[43:44], off offset:768
	global_load_b128 v[17:20], v[41:42], off offset:1024
	global_load_b128 v[21:24], v[41:42], off offset:1536
	global_load_b128 v[25:28], v[43:44], off offset:1280
	global_load_b128 v[29:32], v[43:44], off offset:1792
	global_load_b128 v[33:36], v[41:42], off offset:2048
	global_load_b128 v[37:40], v[41:42], off offset:2560
	global_load_b128 v[86:89], v[43:44], off offset:2304
	global_load_b128 v[90:93], v[43:44], off offset:2816
	global_load_b128 v[94:97], v[41:42], off offset:3072
	global_load_b128 v[98:101], v[41:42], off offset:3584
	global_load_b128 v[102:105], v[43:44], off offset:3328
	global_load_b128 v[106:109], v[43:44], off offset:3840
	v_cmp_ne_u32_e32 vcc_lo, 15, v73
	s_or_b32 s15, s16, 0xe0
	s_delay_alu instid0(SALU_CYCLE_1) | instskip(SKIP_3) | instid1(SALU_CYCLE_1)
	s_ashr_i32 s22, s15, 5
	s_cmp_lt_i32 s15, s18
	v_cndmask_b32_e32 v41, 0, v73, vcc_lo
	s_cselect_b32 s22, s22, s3
	s_ashr_i32 s23, s22, 31
	s_delay_alu instid0(VALU_DEP_1)
	v_lshlrev_b32_e32 v57, 6, v41
	ds_load_b128 v[41:44], v57
	ds_load_b128 v[45:48], v57 offset:1024
	ds_load_b128 v[49:52], v57 offset:2048
	;; [unrolled: 1-line block ×7, first 2 shown]
	s_lshl_b64 s[22:23], s[22:23], 2
	s_delay_alu instid0(SALU_CYCLE_1) | instskip(SKIP_2) | instid1(SALU_CYCLE_1)
	s_add_u32 s22, s4, s22
	s_addc_u32 s23, s17, s23
	s_add_i32 s15, s16, 0x100
	s_ashr_i32 s28, s15, 5
	s_cmp_lt_i32 s15, s18
	s_load_b32 s15, s[8:9], 0x0
	s_cselect_b32 s28, s28, s3
	s_mul_hi_i32 s9, s36, s5
	s_ashr_i32 s29, s28, 31
	s_mul_i32 s8, s36, s5
	s_lshl_b64 s[28:29], s[28:29], 2
	s_mul_i32 s36, s38, s5
	s_add_u32 s28, s4, s28
	s_addc_u32 s29, s17, s29
	s_add_u32 s3, s10, s6
	s_clause 0x1
	s_load_b32 s4, s[22:23], 0x0
	s_load_b32 s17, s[28:29], 0x0
	s_addc_u32 s28, s11, s7
	s_lshl_b64 s[6:7], s[12:13], 1
	s_lshl_b64 s[10:11], s[20:21], 1
	;; [unrolled: 1-line block ×6, first 2 shown]
	s_waitcnt lgkmcnt(0)
	s_mul_hi_i32 s25, s15, s5
	s_mul_i32 s24, s15, s5
	s_waitcnt vmcnt(14)
	v_wmma_f32_16x16x16_bf16 v[134:141], v[1:8], v[41:48], v[110:117]
	s_waitcnt vmcnt(10)
	s_delay_alu instid0(VALU_DEP_1) | instskip(SKIP_1) | instid1(VALU_DEP_1)
	v_wmma_f32_16x16x16_bf16 v[134:141], v[17:24], v[49:56], v[134:141]
	s_waitcnt vmcnt(6)
	v_wmma_f32_16x16x16_bf16 v[134:141], v[33:40], v[118:125], v[134:141]
	s_waitcnt vmcnt(2)
	s_delay_alu instid0(VALU_DEP_1) | instskip(SKIP_1) | instid1(VALU_DEP_2)
	v_wmma_f32_16x16x16_bf16 v[134:141], v[94:101], v[126:133], v[134:141]
	v_lshlrev_b32_e32 v85, 6, v73
	v_mul_f32_e32 v100, s19, v141
	s_delay_alu instid0(VALU_DEP_2) | instskip(SKIP_1) | instid1(VALU_DEP_2)
	v_lshl_or_b32 v58, v74, 10, v85
	v_wmma_f32_16x16x16_bf16 v[110:117], v[9:16], v[41:48], v[110:117]
	v_add_co_u32 v76, s3, s3, v58
	s_delay_alu instid0(VALU_DEP_1) | instskip(NEXT) | instid1(VALU_DEP_3)
	v_add_co_ci_u32_e64 v77, null, s28, 0, s3
	v_wmma_f32_16x16x16_bf16 v[110:117], v[25:32], v[49:56], v[110:117]
	s_delay_alu instid0(VALU_DEP_3) | instskip(NEXT) | instid1(VALU_DEP_3)
	v_add_co_u32 v57, vcc_lo, v76, s6
	v_add_co_ci_u32_e32 v58, vcc_lo, s7, v77, vcc_lo
	v_add_co_u32 v1, vcc_lo, v76, s10
	v_add_co_ci_u32_e32 v2, vcc_lo, s11, v77, vcc_lo
	;; [unrolled: 2-line block ×5, first 2 shown]
	s_clause 0x9
	global_load_b128 v[65:68], v[57:58], off
	global_load_b128 v[69:72], v[57:58], off offset:16
	global_load_b128 v[57:60], v[1:2], off
	global_load_b128 v[61:64], v[1:2], off offset:16
	global_load_b128 v[49:52], v[3:4], off
	global_load_b128 v[53:56], v[3:4], off offset:16
	global_load_b128 v[41:44], v[5:6], off
	global_load_b128 v[45:48], v[5:6], off offset:16
	global_load_b128 v[9:12], v[7:8], off
	global_load_b128 v[13:16], v[7:8], off offset:16
	v_add_co_u32 v5, vcc_lo, v76, s22
	s_lshl_b64 s[6:7], s[24:25], 1
	v_add_co_ci_u32_e32 v6, vcc_lo, s23, v77, vcc_lo
	s_mul_hi_i32 s9, s4, s5
	s_mul_i32 s8, s4, s5
	v_add_co_u32 v17, vcc_lo, v76, s6
	v_add_co_ci_u32_e32 v18, vcc_lo, s7, v77, vcc_lo
	s_lshl_b64 s[6:7], s[8:9], 1
	s_mul_hi_i32 s9, s17, s5
	s_mul_i32 s8, s17, s5
	v_add_co_u32 v19, vcc_lo, v76, s6
	s_lshl_b64 s[4:5], s[8:9], 1
	v_add_co_ci_u32_e32 v20, vcc_lo, s7, v77, vcc_lo
	v_add_co_u32 v21, vcc_lo, v76, s4
	v_add_co_ci_u32_e32 v22, vcc_lo, s5, v77, vcc_lo
	s_clause 0x7
	global_load_b128 v[1:4], v[5:6], off
	global_load_b128 v[5:8], v[5:6], off offset:16
	global_load_b128 v[33:36], v[17:18], off
	global_load_b128 v[37:40], v[17:18], off offset:16
	;; [unrolled: 2-line block ×4, first 2 shown]
	v_and_b32_e32 v76, 0xe0, v0
	v_mbcnt_lo_u32_b32 v77, -1, 0
	v_wmma_f32_16x16x16_bf16 v[110:117], v[86:93], v[118:125], v[110:117]
	s_waitcnt vmcnt(0)
	s_barrier
	v_add_nc_u32_e32 v76, s16, v76
	v_xor_b32_e32 v78, 16, v77
	v_wmma_f32_16x16x16_bf16 v[110:117], v[102:109], v[126:133], v[110:117]
	v_mul_f32_e32 v97, s19, v134
	v_mul_f32_e32 v99, s19, v135
	v_or_b32_e32 v76, v76, v83
	v_cmp_gt_i32_e32 vcc_lo, 32, v78
	buffer_gl0_inv
	v_or_b32_e32 v79, 4, v76
	v_cndmask_b32_e32 v77, v77, v78, vcc_lo
	v_or_b32_e32 v78, 2, v76
	v_or_b32_e32 v80, 6, v76
	;; [unrolled: 1-line block ×3, first 2 shown]
	v_cmp_gt_i32_e32 vcc_lo, s18, v76
	v_or_b32_e32 v87, 10, v76
	v_cmp_gt_i32_e64 s3, s18, v78
	v_or_b32_e32 v88, 12, v76
	v_or_b32_e32 v89, 14, v76
	;; [unrolled: 1-line block ×10, first 2 shown]
	v_cndmask_b32_e64 v78, 0xff7fffff, v99, s3
	v_mul_f32_e32 v99, s19, v137
	v_cmp_gt_i32_e64 s4, s18, v80
	v_mul_f32_e32 v80, s19, v136
	v_cmp_gt_i32_e64 s5, s18, v79
	v_cmp_gt_i32_e64 s6, s18, v86
	v_mul_f32_e32 v86, s19, v116
	v_cndmask_b32_e32 v76, 0xff7fffff, v97, vcc_lo
	v_mul_f32_e32 v79, s19, v139
	v_cndmask_b32_e64 v80, 0xff7fffff, v80, s5
	v_cndmask_b32_e64 v99, 0xff7fffff, v99, s4
	v_cmp_gt_i32_e64 s7, s18, v87
	v_max3_f32 v76, v76, 0xff7fffff, v78
	v_dual_mul_f32 v78, s19, v138 :: v_dual_mul_f32 v97, s19, v140
	v_cmp_gt_i32_e64 s8, s18, v89
	s_delay_alu instid0(VALU_DEP_4) | instskip(NEXT) | instid1(VALU_DEP_4)
	v_cndmask_b32_e64 v79, 0xff7fffff, v79, s7
	v_max3_f32 v76, v76, v80, v99
	s_delay_alu instid0(VALU_DEP_4) | instskip(SKIP_3) | instid1(VALU_DEP_4)
	v_cndmask_b32_e64 v78, 0xff7fffff, v78, s6
	v_cmp_gt_i32_e64 s9, s18, v88
	v_dual_mul_f32 v88, s19, v111 :: v_dual_mul_f32 v89, s19, v110
	v_cndmask_b32_e64 v100, 0xff7fffff, v100, s8
	v_max3_f32 v76, v76, v78, v79
	s_delay_alu instid0(VALU_DEP_4) | instskip(SKIP_3) | instid1(VALU_DEP_4)
	v_cndmask_b32_e64 v97, 0xff7fffff, v97, s9
	v_cmp_gt_i32_e64 s10, s18, v90
	v_cmp_gt_i32_e64 s11, s18, v91
	v_dual_mul_f32 v78, s19, v113 :: v_dual_mul_f32 v79, s19, v112
	v_max3_f32 v76, v76, v97, v100
	s_delay_alu instid0(VALU_DEP_4) | instskip(NEXT) | instid1(VALU_DEP_4)
	v_cndmask_b32_e64 v89, 0xff7fffff, v89, s10
	v_cndmask_b32_e64 v88, 0xff7fffff, v88, s11
	v_cmp_gt_i32_e64 s12, s18, v92
	v_cmp_gt_i32_e64 s13, s18, v93
	v_mul_f32_e32 v87, s19, v115
	v_mul_f32_e32 v99, s19, v114
	v_max3_f32 v76, v76, v89, v88
	v_cndmask_b32_e64 v79, 0xff7fffff, v79, s12
	v_cndmask_b32_e64 v78, 0xff7fffff, v78, s13
	v_cmp_gt_i32_e64 s15, s18, v94
	v_cmp_gt_i32_e64 s16, s18, v95
	v_mul_f32_e32 v80, s19, v117
	v_cmp_gt_i32_e64 s17, s18, v96
	v_max3_f32 v76, v76, v79, v78
	v_cndmask_b32_e64 v88, 0xff7fffff, v99, s15
	v_cndmask_b32_e64 v87, 0xff7fffff, v87, s16
	v_cmp_gt_i32_e64 s18, s18, v98
	v_cndmask_b32_e64 v78, 0xff7fffff, v86, s17
	v_lshlrev_b32_e32 v99, 2, v77
	s_delay_alu instid0(VALU_DEP_4) | instskip(NEXT) | instid1(VALU_DEP_4)
	v_max3_f32 v76, v76, v88, v87
	v_cndmask_b32_e64 v79, 0xff7fffff, v80, s18
	s_delay_alu instid0(VALU_DEP_1) | instskip(SKIP_3) | instid1(VALU_DEP_1)
	v_max3_f32 v76, v76, v78, v79
	ds_bpermute_b32 v77, v99, v76
	s_waitcnt lgkmcnt(0)
	v_max_f32_e32 v77, v77, v77
	v_max_f32_e32 v76, v76, v77
	s_delay_alu instid0(VALU_DEP_1)
	v_fma_f32 v86, s19, v138, -v76
	v_fma_f32 v77, s19, v134, -v76
	;; [unrolled: 1-line block ×5, first 2 shown]
	v_mul_f32_e32 v86, 0x3fb8aa3b, v86
	v_fma_f32 v88, s19, v114, -v76
	s_delay_alu instid0(VALU_DEP_4) | instskip(NEXT) | instid1(VALU_DEP_4)
	v_dual_mul_f32 v78, 0x3fb8aa3b, v78 :: v_dual_mul_f32 v79, 0x3fb8aa3b, v79
	v_mul_f32_e32 v80, 0x3fb8aa3b, v80
	s_delay_alu instid0(VALU_DEP_4) | instskip(SKIP_1) | instid1(VALU_DEP_3)
	v_exp_f32_e32 v86, v86
	v_fma_f32 v87, s19, v140, -v76
	v_exp_f32_e32 v78, v78
	v_exp_f32_e32 v79, v79
	;; [unrolled: 1-line block ×3, first 2 shown]
	s_delay_alu instid0(VALU_DEP_1)
	v_dual_mul_f32 v88, 0x3fb8aa3b, v88 :: v_dual_mul_f32 v87, 0x3fb8aa3b, v87
	v_fma_f32 v100, s19, v117, -v76
	v_fma_f32 v90, s19, v116, -v76
	v_cndmask_b32_e64 v96, 0, v86, s6
	v_fma_f32 v86, s19, v111, -v76
	v_mul_f32_e32 v77, 0x3fb8aa3b, v77
	s_delay_alu instid0(TRANS32_DEP_3) | instskip(NEXT) | instid1(TRANS32_DEP_2)
	v_cndmask_b32_e64 v91, 0, v78, s3
	v_cndmask_b32_e64 v93, 0, v79, s5
	s_delay_alu instid0(TRANS32_DEP_1)
	v_cndmask_b32_e64 v95, 0, v80, s4
	v_mul_f32_e32 v86, 0x3fb8aa3b, v86
	v_exp_f32_e32 v77, v77
	v_fma_f32 v79, s19, v141, -v76
	v_fma_f32 v80, s19, v110, -v76
	v_exp_f32_e32 v87, v87
	v_exp_f32_e32 v86, v86
	s_delay_alu instid0(VALU_DEP_2) | instskip(NEXT) | instid1(VALU_DEP_2)
	v_dual_mul_f32 v100, 0x3fb8aa3b, v100 :: v_dual_mul_f32 v79, 0x3fb8aa3b, v79
	v_mul_f32_e32 v80, 0x3fb8aa3b, v80
	v_exp_f32_e32 v88, v88
	v_cmp_gt_u32_e64 s3, 16, v75
	v_cndmask_b32_e32 v92, 0, v77, vcc_lo
	v_fma_f32 v77, s19, v139, -v76
	v_exp_f32_e32 v79, v79
	v_exp_f32_e32 v80, v80
	v_cndmask_b32_e64 v94, 0, v87, s9
	s_delay_alu instid0(VALU_DEP_2) | instskip(SKIP_2) | instid1(VALU_DEP_2)
	v_dual_add_f32 v78, 0, v92 :: v_dual_mul_f32 v77, 0x3fb8aa3b, v77
	v_fma_f32 v87, s19, v113, -v76
	v_exp_f32_e32 v100, v100
	v_add_f32_e32 v78, v78, v91
	s_delay_alu instid0(VALU_DEP_3) | instskip(SKIP_1) | instid1(VALU_DEP_2)
	v_exp_f32_e32 v77, v77
	v_cndmask_b32_e64 v98, 0, v79, s8
	v_dual_mul_f32 v87, 0x3fb8aa3b, v87 :: v_dual_add_f32 v78, v78, v93
	s_delay_alu instid0(VALU_DEP_1) | instskip(NEXT) | instid1(VALU_DEP_1)
	v_exp_f32_e32 v87, v87
	v_add_f32_e32 v78, v78, v95
	s_waitcnt_depctr 0xfff
	v_cndmask_b32_e64 v97, 0, v77, s7
	v_add_f32_e32 v77, v78, v96
	v_fma_f32 v78, s19, v112, -v76
	s_delay_alu instid0(VALU_DEP_1) | instskip(NEXT) | instid1(VALU_DEP_1)
	v_mul_f32_e32 v78, 0x3fb8aa3b, v78
	v_exp_f32_e32 v89, v78
	v_cndmask_b32_e64 v78, 0, v86, s11
	v_add_f32_e32 v77, v77, v97
	s_delay_alu instid0(VALU_DEP_1) | instskip(SKIP_2) | instid1(VALU_DEP_1)
	v_add_f32_e32 v79, v77, v94
	v_cndmask_b32_e64 v77, 0, v80, s10
	v_fma_f32 v80, s19, v115, -v76
	v_dual_add_f32 v79, v79, v98 :: v_dual_mul_f32 v80, 0x3fb8aa3b, v80
	s_delay_alu instid0(VALU_DEP_1) | instskip(NEXT) | instid1(TRANS32_DEP_1)
	v_add_f32_e32 v86, v79, v77
	v_cndmask_b32_e64 v79, 0, v89, s12
	v_mul_f32_e32 v89, 0x3fb8aa3b, v90
	s_delay_alu instid0(VALU_DEP_4) | instskip(SKIP_2) | instid1(VALU_DEP_3)
	v_exp_f32_e32 v90, v80
	v_cndmask_b32_e64 v80, 0, v87, s13
	v_add_f32_e32 v86, v86, v78
	v_exp_f32_e32 v89, v89
	s_delay_alu instid0(VALU_DEP_1) | instskip(SKIP_1) | instid1(VALU_DEP_2)
	v_add_f32_e32 v87, v86, v79
	v_cndmask_b32_e64 v86, 0, v88, s15
	v_add_f32_e32 v88, v87, v80
	s_delay_alu instid0(TRANS32_DEP_2) | instskip(NEXT) | instid1(VALU_DEP_2)
	v_cndmask_b32_e64 v87, 0, v90, s16
	v_add_f32_e32 v90, v88, v86
	s_waitcnt_depctr 0xfff
	v_cndmask_b32_e64 v88, 0, v89, s17
	v_add_f32_e32 v89, v90, v87
	s_delay_alu instid0(VALU_DEP_1) | instskip(SKIP_1) | instid1(VALU_DEP_1)
	v_add_f32_e32 v90, v89, v88
	v_cndmask_b32_e64 v89, 0, v100, s18
	v_add_f32_e32 v90, v90, v89
	ds_bpermute_b32 v99, v99, v90
	s_and_saveexec_b32 s4, s3
	s_cbranch_execz .LBB572_14
; %bb.13:
	v_mul_u32_u24_e32 v75, 0x44, v74
	s_waitcnt lgkmcnt(0)
	v_add_f32_e32 v90, v90, v99
	s_delay_alu instid0(VALU_DEP_2) | instskip(NEXT) | instid1(VALU_DEP_1)
	v_lshl_add_u32 v75, v73, 2, v75
	v_add_nc_u32_e32 v75, 0x4000, v75
	ds_store_2addr_b32 v75, v76, v90 offset1:136
.LBB572_14:
	s_or_b32 exec_lo, exec_lo, s4
	v_lshlrev_b32_e32 v75, 2, v73
	s_waitcnt lgkmcnt(0)
	s_barrier
	buffer_gl0_inv
	v_cmp_eq_u32_e64 s4, 1, v74
	v_add_nc_u32_e32 v90, 0x4000, v75
	ds_load_2addr_b32 v[99:100], v90 offset1:17
	ds_load_2addr_b32 v[101:102], v90 offset0:34 offset1:51
	ds_load_2addr_b32 v[103:104], v90 offset0:68 offset1:85
	ds_load_2addr_b32 v[105:106], v90 offset0:102 offset1:119
	ds_load_2addr_b32 v[107:108], v90 offset0:136 offset1:153
	s_waitcnt lgkmcnt(4)
	v_max3_f32 v75, v99, 0xff7fffff, v100
	s_waitcnt lgkmcnt(3)
	s_delay_alu instid0(VALU_DEP_1) | instskip(SKIP_1) | instid1(VALU_DEP_1)
	v_max3_f32 v75, v75, v101, v102
	s_waitcnt lgkmcnt(2)
	v_max3_f32 v75, v75, v103, v104
	s_waitcnt lgkmcnt(1)
	s_delay_alu instid0(VALU_DEP_1) | instskip(NEXT) | instid1(VALU_DEP_1)
	v_max3_f32 v75, v75, v105, v106
	v_sub_f32_e32 v109, v100, v75
	v_sub_f32_e32 v76, v99, v75
	ds_load_2addr_b32 v[99:100], v90 offset0:170 offset1:187
	v_sub_f32_e32 v101, v101, v75
	v_dual_mul_f32 v109, 0x3fb8aa3b, v109 :: v_dual_mul_f32 v76, 0x3fb8aa3b, v76
	s_delay_alu instid0(VALU_DEP_2) | instskip(NEXT) | instid1(VALU_DEP_2)
	v_mul_f32_e32 v111, 0x3fb8aa3b, v101
	v_exp_f32_e32 v109, v109
	s_delay_alu instid0(VALU_DEP_2)
	v_exp_f32_e32 v110, v76
	v_sub_f32_e32 v76, v102, v75
	ds_load_2addr_b32 v[101:102], v90 offset0:204 offset1:221
	v_exp_f32_e32 v111, v111
	v_mul_f32_e32 v112, 0x3fb8aa3b, v76
	s_waitcnt lgkmcnt(2)
	v_fma_f32 v76, v110, v107, 0
	v_sub_f32_e32 v103, v103, v75
	s_delay_alu instid0(VALU_DEP_3) | instskip(NEXT) | instid1(VALU_DEP_2)
	v_exp_f32_e32 v112, v112
	v_dual_sub_f32 v107, v104, v75 :: v_dual_fmac_f32 v76, v109, v108
	s_waitcnt lgkmcnt(1)
	s_waitcnt_depctr 0xfff
	v_fmac_f32_e32 v76, v111, v99
	v_mul_f32_e32 v113, 0x3fb8aa3b, v103
	ds_load_2addr_b32 v[103:104], v90 offset0:238 offset1:255
	v_sub_f32_e32 v90, v105, v75
	v_dual_sub_f32 v99, v106, v75 :: v_dual_fmac_f32 v76, v112, v100
	v_mul_f32_e32 v105, 0x3fb8aa3b, v107
	v_exp_f32_e32 v107, v113
	s_delay_alu instid0(VALU_DEP_2)
	v_dual_mul_f32 v90, 0x3fb8aa3b, v90 :: v_dual_mul_f32 v99, 0x3fb8aa3b, v99
	s_waitcnt lgkmcnt(0)
	s_barrier
	buffer_gl0_inv
	v_exp_f32_e32 v90, v90
	v_exp_f32_e32 v99, v99
	v_fmac_f32_e32 v76, v107, v101
	v_exp_f32_e32 v105, v105
	s_waitcnt_depctr 0xfff
	v_fmac_f32_e32 v76, v105, v102
	s_delay_alu instid0(VALU_DEP_1) | instskip(NEXT) | instid1(VALU_DEP_1)
	v_fmac_f32_e32 v76, v90, v103
	v_fmac_f32_e32 v76, v99, v104
	s_delay_alu instid0(VALU_DEP_1) | instskip(NEXT) | instid1(VALU_DEP_1)
	v_add_f32_e32 v100, 0x358637bd, v76
	v_div_scale_f32 v101, null, v100, v100, 1.0
	v_div_scale_f32 v104, vcc_lo, 1.0, v100, 1.0
	s_delay_alu instid0(VALU_DEP_2) | instskip(SKIP_2) | instid1(VALU_DEP_1)
	v_rcp_f32_e32 v102, v101
	s_waitcnt_depctr 0xfff
	v_fma_f32 v103, -v101, v102, 1.0
	v_fmac_f32_e32 v102, v103, v102
	v_cndmask_b32_e64 v103, v110, v109, s4
	v_cmp_eq_u32_e64 s4, 2, v74
	s_delay_alu instid0(VALU_DEP_3) | instskip(NEXT) | instid1(VALU_DEP_2)
	v_mul_f32_e32 v106, v104, v102
	v_cndmask_b32_e64 v103, v103, v111, s4
	v_cmp_eq_u32_e64 s4, 3, v74
	s_delay_alu instid0(VALU_DEP_3) | instskip(NEXT) | instid1(VALU_DEP_2)
	v_fma_f32 v108, -v101, v106, v104
	v_cndmask_b32_e64 v103, v103, v112, s4
	v_cmp_eq_u32_e64 s4, 4, v74
	s_delay_alu instid0(VALU_DEP_3) | instskip(NEXT) | instid1(VALU_DEP_2)
	v_fmac_f32_e32 v106, v108, v102
	v_cndmask_b32_e64 v103, v103, v107, s4
	s_delay_alu instid0(VALU_DEP_2) | instskip(SKIP_1) | instid1(VALU_DEP_2)
	v_fma_f32 v101, -v101, v106, v104
	v_cmp_eq_u32_e64 s4, 5, v74
	v_div_fmas_f32 v101, v101, v102, v106
	s_delay_alu instid0(VALU_DEP_2) | instskip(SKIP_2) | instid1(VALU_DEP_3)
	v_cndmask_b32_e64 v103, v103, v105, s4
	v_cmp_eq_u32_e32 vcc_lo, 6, v74
	s_mov_b32 s4, exec_lo
	v_div_fixup_f32 v100, v101, v100, 1.0
	s_delay_alu instid0(VALU_DEP_3) | instskip(SKIP_1) | instid1(VALU_DEP_2)
	v_cndmask_b32_e32 v90, v103, v90, vcc_lo
	v_cmp_eq_u32_e32 vcc_lo, 7, v74
	v_cndmask_b32_e32 v90, v90, v99, vcc_lo
	s_delay_alu instid0(VALU_DEP_1) | instskip(NEXT) | instid1(VALU_DEP_1)
	v_mul_f32_e32 v90, v90, v100
	v_mul_f32_e32 v100, v90, v92
	;; [unrolled: 1-line block ×6, first 2 shown]
	v_and_b32_e32 v101, 0x7f800000, v100
	v_mul_f32_e32 v99, v90, v95
	v_mul_f32_e32 v95, v90, v91
	;; [unrolled: 1-line block ×3, first 2 shown]
                                        ; implicit-def: $vgpr91
	s_delay_alu instid0(VALU_DEP_4)
	v_cmpx_ne_u32_e32 0x7f800000, v101
	s_xor_b32 s4, exec_lo, s4
; %bb.15:
	v_bfe_u32 v91, v100, 16, 1
	s_delay_alu instid0(VALU_DEP_1)
	v_add3_u32 v91, v100, v91, 0x7fff
                                        ; implicit-def: $vgpr100
; %bb.16:
	s_and_not1_saveexec_b32 s4, s4
; %bb.17:
	v_and_b32_e32 v91, 0xffff, v100
	v_or_b32_e32 v93, 0x10000, v100
	s_delay_alu instid0(VALU_DEP_2) | instskip(NEXT) | instid1(VALU_DEP_2)
	v_cmp_eq_u32_e32 vcc_lo, 0, v91
	v_cndmask_b32_e32 v91, v93, v100, vcc_lo
; %bb.18:
	s_or_b32 exec_lo, exec_lo, s4
	v_and_b32_e32 v93, 0x7f800000, v95
	s_delay_alu instid0(VALU_DEP_1) | instskip(SKIP_1) | instid1(SALU_CYCLE_1)
	v_cmp_ne_u32_e32 vcc_lo, 0x7f800000, v93
                                        ; implicit-def: $vgpr93
	s_and_saveexec_b32 s4, vcc_lo
	s_xor_b32 s4, exec_lo, s4
; %bb.19:
	v_bfe_u32 v93, v95, 16, 1
	s_delay_alu instid0(VALU_DEP_1)
	v_add3_u32 v93, v95, v93, 0x7fff
                                        ; implicit-def: $vgpr95
; %bb.20:
	s_and_not1_saveexec_b32 s4, s4
; %bb.21:
	v_and_b32_e32 v93, 0xffff, v95
	v_or_b32_e32 v100, 0x10000, v95
	s_delay_alu instid0(VALU_DEP_2) | instskip(NEXT) | instid1(VALU_DEP_2)
	v_cmp_eq_u32_e32 vcc_lo, 0, v93
	v_cndmask_b32_e32 v93, v100, v95, vcc_lo
; %bb.22:
	s_or_b32 exec_lo, exec_lo, s4
	v_and_b32_e32 v95, 0x7f800000, v96
	s_delay_alu instid0(VALU_DEP_1) | instskip(SKIP_1) | instid1(SALU_CYCLE_1)
	v_cmp_ne_u32_e32 vcc_lo, 0x7f800000, v95
                                        ; implicit-def: $vgpr95
	s_and_saveexec_b32 s4, vcc_lo
	s_xor_b32 s4, exec_lo, s4
; %bb.23:
	v_bfe_u32 v95, v96, 16, 1
	s_delay_alu instid0(VALU_DEP_1)
	v_add3_u32 v95, v96, v95, 0x7fff
                                        ; implicit-def: $vgpr96
; %bb.24:
	s_and_not1_saveexec_b32 s4, s4
; %bb.25:
	v_and_b32_e32 v95, 0xffff, v96
	v_or_b32_e32 v100, 0x10000, v96
	s_delay_alu instid0(VALU_DEP_2) | instskip(NEXT) | instid1(VALU_DEP_2)
	v_cmp_eq_u32_e32 vcc_lo, 0, v95
	v_cndmask_b32_e32 v95, v100, v96, vcc_lo
; %bb.26:
	s_or_b32 exec_lo, exec_lo, s4
	v_and_b32_e32 v96, 0x7f800000, v99
	s_delay_alu instid0(VALU_DEP_1) | instskip(SKIP_1) | instid1(SALU_CYCLE_1)
	v_cmp_ne_u32_e32 vcc_lo, 0x7f800000, v96
                                        ; implicit-def: $vgpr96
	s_and_saveexec_b32 s4, vcc_lo
	s_xor_b32 s4, exec_lo, s4
; %bb.27:
	v_bfe_u32 v96, v99, 16, 1
	s_delay_alu instid0(VALU_DEP_1)
	v_add3_u32 v96, v99, v96, 0x7fff
                                        ; implicit-def: $vgpr99
; %bb.28:
	s_and_not1_saveexec_b32 s4, s4
; %bb.29:
	v_and_b32_e32 v96, 0xffff, v99
	v_or_b32_e32 v100, 0x10000, v99
	s_delay_alu instid0(VALU_DEP_2) | instskip(NEXT) | instid1(VALU_DEP_2)
	v_cmp_eq_u32_e32 vcc_lo, 0, v96
	v_cndmask_b32_e32 v96, v100, v99, vcc_lo
; %bb.30:
	s_or_b32 exec_lo, exec_lo, s4
	v_and_b32_e32 v99, 0x7f800000, v98
	s_delay_alu instid0(VALU_DEP_1) | instskip(SKIP_1) | instid1(SALU_CYCLE_1)
	v_cmp_ne_u32_e32 vcc_lo, 0x7f800000, v99
                                        ; implicit-def: $vgpr99
	s_and_saveexec_b32 s4, vcc_lo
	s_xor_b32 s4, exec_lo, s4
; %bb.31:
	v_bfe_u32 v99, v98, 16, 1
	s_delay_alu instid0(VALU_DEP_1)
	v_add3_u32 v99, v98, v99, 0x7fff
                                        ; implicit-def: $vgpr98
; %bb.32:
	s_and_not1_saveexec_b32 s4, s4
; %bb.33:
	v_and_b32_e32 v99, 0xffff, v98
	v_or_b32_e32 v100, 0x10000, v98
	s_delay_alu instid0(VALU_DEP_2) | instskip(NEXT) | instid1(VALU_DEP_2)
	v_cmp_eq_u32_e32 vcc_lo, 0, v99
	v_cndmask_b32_e32 v99, v100, v98, vcc_lo
; %bb.34:
	s_or_b32 exec_lo, exec_lo, s4
	v_and_b32_e32 v98, 0x7f800000, v97
	s_delay_alu instid0(VALU_DEP_1) | instskip(SKIP_1) | instid1(SALU_CYCLE_1)
	v_cmp_ne_u32_e32 vcc_lo, 0x7f800000, v98
                                        ; implicit-def: $vgpr98
	s_and_saveexec_b32 s4, vcc_lo
	s_xor_b32 s4, exec_lo, s4
; %bb.35:
	v_bfe_u32 v98, v97, 16, 1
	s_delay_alu instid0(VALU_DEP_1)
	v_add3_u32 v98, v97, v98, 0x7fff
                                        ; implicit-def: $vgpr97
; %bb.36:
	s_and_not1_saveexec_b32 s4, s4
; %bb.37:
	v_and_b32_e32 v98, 0xffff, v97
	v_or_b32_e32 v100, 0x10000, v97
	s_delay_alu instid0(VALU_DEP_2) | instskip(NEXT) | instid1(VALU_DEP_2)
	v_cmp_eq_u32_e32 vcc_lo, 0, v98
	v_cndmask_b32_e32 v98, v100, v97, vcc_lo
; %bb.38:
	s_or_b32 exec_lo, exec_lo, s4
	v_and_b32_e32 v97, 0x7f800000, v94
	s_delay_alu instid0(VALU_DEP_1) | instskip(SKIP_1) | instid1(SALU_CYCLE_1)
	v_cmp_ne_u32_e32 vcc_lo, 0x7f800000, v97
                                        ; implicit-def: $vgpr97
	s_and_saveexec_b32 s4, vcc_lo
	s_xor_b32 s4, exec_lo, s4
; %bb.39:
	v_bfe_u32 v97, v94, 16, 1
	s_delay_alu instid0(VALU_DEP_1)
	v_add3_u32 v97, v94, v97, 0x7fff
                                        ; implicit-def: $vgpr94
; %bb.40:
	s_and_not1_saveexec_b32 s4, s4
; %bb.41:
	v_and_b32_e32 v97, 0xffff, v94
	v_or_b32_e32 v100, 0x10000, v94
	s_delay_alu instid0(VALU_DEP_2) | instskip(NEXT) | instid1(VALU_DEP_2)
	v_cmp_eq_u32_e32 vcc_lo, 0, v97
	v_cndmask_b32_e32 v97, v100, v94, vcc_lo
; %bb.42:
	s_or_b32 exec_lo, exec_lo, s4
	v_and_b32_e32 v94, 0x7f800000, v92
	s_delay_alu instid0(VALU_DEP_1) | instskip(SKIP_1) | instid1(SALU_CYCLE_1)
	v_cmp_ne_u32_e32 vcc_lo, 0x7f800000, v94
                                        ; implicit-def: $vgpr94
	s_and_saveexec_b32 s4, vcc_lo
	s_xor_b32 s4, exec_lo, s4
; %bb.43:
	v_bfe_u32 v94, v92, 16, 1
	s_delay_alu instid0(VALU_DEP_1)
	v_add3_u32 v94, v92, v94, 0x7fff
                                        ; implicit-def: $vgpr92
; %bb.44:
	s_and_not1_saveexec_b32 s4, s4
; %bb.45:
	v_and_b32_e32 v94, 0xffff, v92
	v_or_b32_e32 v100, 0x10000, v92
	s_delay_alu instid0(VALU_DEP_2) | instskip(NEXT) | instid1(VALU_DEP_2)
	v_cmp_eq_u32_e32 vcc_lo, 0, v94
	v_cndmask_b32_e32 v94, v100, v92, vcc_lo
; %bb.46:
	s_or_b32 exec_lo, exec_lo, s4
	s_load_b64 s[36:37], s[0:1], 0x94
	v_lshlrev_b32_e32 v92, 4, v83
	s_delay_alu instid0(VALU_DEP_2)
	v_perm_b32 v100, v94, v97, 0x7060302
	v_dual_mul_f32 v89, v90, v89 :: v_dual_lshlrev_b32 v94, 11, v74
	v_perm_b32 v97, v93, v91, 0x7060302
	v_mul_f32_e32 v93, v90, v77
	v_perm_b32 v99, v98, v99, 0x7060302
	v_perm_b32 v98, v96, v95, 0x7060302
	v_or3_b32 v77, v92, v94, v85
	v_mul_f32_e32 v88, v90, v88
	v_dual_mul_f32 v87, v90, v87 :: v_dual_and_b32 v94, 0x7f800000, v93
	v_mul_f32_e32 v86, v90, v86
	v_mul_f32_e32 v91, v90, v80
	;; [unrolled: 1-line block ×4, first 2 shown]
	s_mov_b32 s4, exec_lo
	ds_store_b128 v77, v[97:100]
                                        ; implicit-def: $vgpr78
	v_cmpx_ne_u32_e32 0x7f800000, v94
	s_xor_b32 s4, exec_lo, s4
; %bb.47:
	v_bfe_u32 v78, v93, 16, 1
	s_delay_alu instid0(VALU_DEP_1)
	v_add3_u32 v78, v93, v78, 0x7fff
                                        ; implicit-def: $vgpr93
; %bb.48:
	s_and_not1_saveexec_b32 s4, s4
; %bb.49:
	v_and_b32_e32 v78, 0xffff, v93
	v_or_b32_e32 v79, 0x10000, v93
	s_delay_alu instid0(VALU_DEP_2) | instskip(NEXT) | instid1(VALU_DEP_2)
	v_cmp_eq_u32_e32 vcc_lo, 0, v78
	v_cndmask_b32_e32 v78, v79, v93, vcc_lo
; %bb.50:
	s_or_b32 exec_lo, exec_lo, s4
	v_and_b32_e32 v79, 0x7f800000, v80
	s_delay_alu instid0(VALU_DEP_1) | instskip(SKIP_1) | instid1(SALU_CYCLE_1)
	v_cmp_ne_u32_e32 vcc_lo, 0x7f800000, v79
                                        ; implicit-def: $vgpr79
	s_and_saveexec_b32 s4, vcc_lo
	s_xor_b32 s4, exec_lo, s4
; %bb.51:
	v_bfe_u32 v79, v80, 16, 1
	s_delay_alu instid0(VALU_DEP_1)
	v_add3_u32 v79, v80, v79, 0x7fff
                                        ; implicit-def: $vgpr80
; %bb.52:
	s_and_not1_saveexec_b32 s4, s4
; %bb.53:
	v_and_b32_e32 v79, 0xffff, v80
	v_or_b32_e32 v90, 0x10000, v80
	s_delay_alu instid0(VALU_DEP_2) | instskip(NEXT) | instid1(VALU_DEP_2)
	v_cmp_eq_u32_e32 vcc_lo, 0, v79
	v_cndmask_b32_e32 v79, v90, v80, vcc_lo
; %bb.54:
	s_or_b32 exec_lo, exec_lo, s4
	v_and_b32_e32 v80, 0x7f800000, v92
	s_delay_alu instid0(VALU_DEP_1) | instskip(SKIP_1) | instid1(SALU_CYCLE_1)
	v_cmp_ne_u32_e32 vcc_lo, 0x7f800000, v80
                                        ; implicit-def: $vgpr80
	s_and_saveexec_b32 s4, vcc_lo
	s_xor_b32 s4, exec_lo, s4
; %bb.55:
	v_bfe_u32 v80, v92, 16, 1
	s_delay_alu instid0(VALU_DEP_1)
	v_add3_u32 v80, v92, v80, 0x7fff
                                        ; implicit-def: $vgpr92
; %bb.56:
	s_and_not1_saveexec_b32 s4, s4
; %bb.57:
	v_and_b32_e32 v80, 0xffff, v92
	v_or_b32_e32 v90, 0x10000, v92
	s_delay_alu instid0(VALU_DEP_2) | instskip(NEXT) | instid1(VALU_DEP_2)
	v_cmp_eq_u32_e32 vcc_lo, 0, v80
	v_cndmask_b32_e32 v80, v90, v92, vcc_lo
; %bb.58:
	s_or_b32 exec_lo, exec_lo, s4
	v_and_b32_e32 v90, 0x7f800000, v91
	s_delay_alu instid0(VALU_DEP_1) | instskip(SKIP_1) | instid1(SALU_CYCLE_1)
	v_cmp_ne_u32_e32 vcc_lo, 0x7f800000, v90
                                        ; implicit-def: $vgpr90
	s_and_saveexec_b32 s4, vcc_lo
	s_xor_b32 s4, exec_lo, s4
; %bb.59:
	v_bfe_u32 v90, v91, 16, 1
	s_delay_alu instid0(VALU_DEP_1)
	v_add3_u32 v90, v91, v90, 0x7fff
                                        ; implicit-def: $vgpr91
; %bb.60:
	s_and_not1_saveexec_b32 s4, s4
; %bb.61:
	v_and_b32_e32 v90, 0xffff, v91
	v_or_b32_e32 v92, 0x10000, v91
	s_delay_alu instid0(VALU_DEP_2) | instskip(NEXT) | instid1(VALU_DEP_2)
	v_cmp_eq_u32_e32 vcc_lo, 0, v90
	v_cndmask_b32_e32 v90, v92, v91, vcc_lo
; %bb.62:
	s_or_b32 exec_lo, exec_lo, s4
	v_and_b32_e32 v91, 0x7f800000, v86
	s_delay_alu instid0(VALU_DEP_1) | instskip(SKIP_1) | instid1(SALU_CYCLE_1)
	v_cmp_ne_u32_e32 vcc_lo, 0x7f800000, v91
                                        ; implicit-def: $vgpr91
	s_and_saveexec_b32 s4, vcc_lo
	s_xor_b32 s4, exec_lo, s4
; %bb.63:
	v_bfe_u32 v91, v86, 16, 1
	s_delay_alu instid0(VALU_DEP_1)
	v_add3_u32 v91, v86, v91, 0x7fff
                                        ; implicit-def: $vgpr86
; %bb.64:
	s_and_not1_saveexec_b32 s4, s4
; %bb.65:
	v_and_b32_e32 v91, 0xffff, v86
	v_or_b32_e32 v92, 0x10000, v86
	s_delay_alu instid0(VALU_DEP_2) | instskip(NEXT) | instid1(VALU_DEP_2)
	v_cmp_eq_u32_e32 vcc_lo, 0, v91
	v_cndmask_b32_e32 v91, v92, v86, vcc_lo
; %bb.66:
	s_or_b32 exec_lo, exec_lo, s4
	v_and_b32_e32 v86, 0x7f800000, v87
	s_delay_alu instid0(VALU_DEP_1) | instskip(SKIP_1) | instid1(SALU_CYCLE_1)
	v_cmp_ne_u32_e32 vcc_lo, 0x7f800000, v86
                                        ; implicit-def: $vgpr86
	s_and_saveexec_b32 s4, vcc_lo
	s_xor_b32 s4, exec_lo, s4
; %bb.67:
	v_bfe_u32 v86, v87, 16, 1
	s_delay_alu instid0(VALU_DEP_1)
	v_add3_u32 v86, v87, v86, 0x7fff
                                        ; implicit-def: $vgpr87
; %bb.68:
	s_and_not1_saveexec_b32 s4, s4
; %bb.69:
	v_and_b32_e32 v86, 0xffff, v87
	v_or_b32_e32 v92, 0x10000, v87
	s_delay_alu instid0(VALU_DEP_2) | instskip(NEXT) | instid1(VALU_DEP_2)
	v_cmp_eq_u32_e32 vcc_lo, 0, v86
	v_cndmask_b32_e32 v86, v92, v87, vcc_lo
; %bb.70:
	s_or_b32 exec_lo, exec_lo, s4
	v_and_b32_e32 v87, 0x7f800000, v88
	s_delay_alu instid0(VALU_DEP_1) | instskip(SKIP_1) | instid1(SALU_CYCLE_1)
	v_cmp_ne_u32_e32 vcc_lo, 0x7f800000, v87
                                        ; implicit-def: $vgpr87
	s_and_saveexec_b32 s4, vcc_lo
	s_xor_b32 s4, exec_lo, s4
; %bb.71:
	v_bfe_u32 v87, v88, 16, 1
	s_delay_alu instid0(VALU_DEP_1)
	v_add3_u32 v87, v88, v87, 0x7fff
                                        ; implicit-def: $vgpr88
; %bb.72:
	s_and_not1_saveexec_b32 s4, s4
; %bb.73:
	v_and_b32_e32 v87, 0xffff, v88
	v_or_b32_e32 v92, 0x10000, v88
	s_delay_alu instid0(VALU_DEP_2) | instskip(NEXT) | instid1(VALU_DEP_2)
	v_cmp_eq_u32_e32 vcc_lo, 0, v87
	v_cndmask_b32_e32 v87, v92, v88, vcc_lo
; %bb.74:
	s_or_b32 exec_lo, exec_lo, s4
	v_and_b32_e32 v88, 0x7f800000, v89
	s_delay_alu instid0(VALU_DEP_1) | instskip(SKIP_1) | instid1(SALU_CYCLE_1)
	v_cmp_ne_u32_e32 vcc_lo, 0x7f800000, v88
                                        ; implicit-def: $vgpr88
	s_and_saveexec_b32 s4, vcc_lo
	s_xor_b32 s4, exec_lo, s4
; %bb.75:
	v_bfe_u32 v88, v89, 16, 1
	s_delay_alu instid0(VALU_DEP_1)
	v_add3_u32 v88, v89, v88, 0x7fff
                                        ; implicit-def: $vgpr89
; %bb.76:
	s_and_not1_saveexec_b32 s4, s4
; %bb.77:
	v_and_b32_e32 v88, 0xffff, v89
	v_or_b32_e32 v92, 0x10000, v89
	s_delay_alu instid0(VALU_DEP_2) | instskip(NEXT) | instid1(VALU_DEP_2)
	v_cmp_eq_u32_e32 vcc_lo, 0, v88
	v_cndmask_b32_e32 v88, v92, v89, vcc_lo
; %bb.78:
	s_or_b32 exec_lo, exec_lo, s4
	s_delay_alu instid0(VALU_DEP_1)
	v_perm_b32 v89, v88, v87, 0x7060302
	v_perm_b32 v88, v86, v91, 0x7060302
	v_perm_b32 v87, v90, v80, 0x7060302
	v_perm_b32 v86, v79, v78, 0x7060302
	v_lshl_or_b32 v90, v74, 11, v85
	ds_store_b128 v77, v[86:89] offset:1024
	s_waitcnt lgkmcnt(0)
	s_barrier
	buffer_gl0_inv
	ds_load_b128 v[91:94], v90
	ds_load_b128 v[95:98], v90 offset:16
	v_lshlrev_b32_e32 v87, 2, v83
	s_delay_alu instid0(VALU_DEP_1)
	v_or_b32_e32 v88, 1, v87
	v_cmp_eq_u32_e32 vcc_lo, 1, v87
	v_cmp_eq_u32_e64 s5, 2, v87
	v_cmp_eq_u32_e64 s8, 3, v87
	;; [unrolled: 1-line block ×6, first 2 shown]
	v_or_b32_e32 v86, 2, v87
	v_cmp_eq_u32_e64 s11, 5, v87
	v_cmp_eq_u32_e64 s12, 4, v88
	;; [unrolled: 1-line block ×4, first 2 shown]
	s_waitcnt lgkmcnt(1)
	v_lshrrev_b32_e32 v74, 16, v91
	s_waitcnt lgkmcnt(0)
	v_lshrrev_b32_e32 v103, 16, v95
	v_lshrrev_b32_e32 v80, 16, v94
	;; [unrolled: 1-line block ×4, first 2 shown]
	v_cndmask_b32_e32 v89, v91, v74, vcc_lo
	v_cndmask_b32_e32 v99, v95, v103, vcc_lo
	v_cndmask_b32_e64 v100, v91, v74, s4
	v_lshrrev_b32_e32 v79, 16, v93
	v_lshrrev_b32_e32 v108, 16, v97
	v_cndmask_b32_e64 v89, v89, v92, s5
	v_cndmask_b32_e64 v99, v99, v96, s5
	;; [unrolled: 1-line block ×4, first 2 shown]
	v_cmp_eq_u32_e64 s6, 1, v86
	v_cndmask_b32_e64 v89, v89, v78, s8
	v_cndmask_b32_e64 v99, v99, v107, s8
	;; [unrolled: 1-line block ×4, first 2 shown]
	v_lshrrev_b32_e32 v109, 16, v98
	v_cndmask_b32_e64 v89, v89, v93, s10
	v_cndmask_b32_e64 v99, v99, v97, s10
	;; [unrolled: 1-line block ×8, first 2 shown]
	v_cmp_eq_u32_e64 s16, 7, v87
	v_cmp_eq_u32_e64 s17, 6, v88
	v_cndmask_b32_e64 v89, v89, v94, s13
	v_cndmask_b32_e64 v99, v99, v98, s13
	v_cmp_eq_u32_e64 s18, 2, v86
	v_cndmask_b32_e64 v101, v101, v97, s12
	v_cndmask_b32_e64 v100, v100, v94, s17
	;; [unrolled: 1-line block ×6, first 2 shown]
	v_cmp_eq_u32_e64 s19, 7, v88
	v_cmp_eq_u32_e64 s20, 3, v86
	;; [unrolled: 1-line block ×4, first 2 shown]
	v_cndmask_b32_e64 v99, v99, v96, s18
	v_cndmask_b32_e64 v112, v100, v80, s19
	;; [unrolled: 1-line block ×4, first 2 shown]
	v_or_b32_e32 v89, 3, v87
	v_cndmask_b32_e64 v105, v99, v107, s20
	v_cmp_eq_u32_e64 s25, 6, v86
	v_cndmask_b32_e64 v113, v100, v98, s17
	v_cndmask_b32_e64 v104, v101, v93, s21
	ds_load_b128 v[99:102], v90 offset:1024
	v_cmp_eq_u32_e64 s22, 1, v89
	v_cmp_eq_u32_e64 s24, 2, v89
	;; [unrolled: 1-line block ×3, first 2 shown]
	v_cndmask_b32_e64 v114, v104, v79, s23
	v_cmp_eq_u32_e64 s27, 4, v89
	v_cndmask_b32_e64 v74, v91, v74, s22
	v_cndmask_b32_e64 v91, v105, v97, s21
	v_cndmask_b32_e64 v95, v95, v103, s22
	ds_load_b128 v[103:106], v90 offset:1040
	v_cmp_eq_u32_e64 s29, 5, v89
	v_cndmask_b32_e64 v74, v74, v92, s24
	v_cndmask_b32_e64 v91, v91, v108, s23
	;; [unrolled: 1-line block ×3, first 2 shown]
	v_cmp_eq_u32_e64 s30, 6, v89
	v_cndmask_b32_e64 v95, v113, v109, s19
	v_cndmask_b32_e64 v74, v74, v78, s26
	;; [unrolled: 1-line block ×5, first 2 shown]
	s_waitcnt lgkmcnt(1)
	v_lshrrev_b32_e32 v96, 16, v99
	v_cndmask_b32_e64 v74, v74, v93, s27
	v_lshrrev_b32_e32 v107, 16, v100
	v_cndmask_b32_e64 v92, v92, v97, s27
	v_cmp_eq_u32_e64 s28, 7, v86
	v_cndmask_b32_e32 v93, v99, v96, vcc_lo
	v_cndmask_b32_e64 v74, v74, v79, s29
	s_delay_alu instid0(VALU_DEP_4)
	v_cndmask_b32_e64 v79, v92, v108, s29
	s_waitcnt lgkmcnt(0)
	v_lshrrev_b32_e32 v97, 16, v103
	v_cndmask_b32_e64 v92, v93, v100, s5
	v_cndmask_b32_e64 v93, v99, v96, s4
	;; [unrolled: 1-line block ×4, first 2 shown]
	v_cndmask_b32_e32 v108, v103, v97, vcc_lo
	v_cndmask_b32_e64 v92, v92, v107, s8
	v_cndmask_b32_e64 v93, v93, v100, s7
	v_lshrrev_b32_e32 v98, 16, v104
	v_cmp_eq_u32_e32 vcc_lo, 7, v89
	v_cndmask_b32_e64 v94, v108, v104, s5
	v_cndmask_b32_e64 v92, v92, v101, s10
	v_lshrrev_b32_e32 v108, 16, v101
	v_cndmask_b32_e64 v93, v93, v107, s9
	v_cndmask_b32_e32 v74, v74, v80, vcc_lo
	v_cndmask_b32_e64 v94, v94, v98, s8
	v_cndmask_b32_e32 v79, v79, v109, vcc_lo
	v_cndmask_b32_e64 v92, v92, v108, s11
	v_cndmask_b32_e64 v78, v78, v80, s28
	;; [unrolled: 1-line block ×4, first 2 shown]
	v_perm_b32 v94, v79, v74, 0x5040100
	v_cndmask_b32_e64 v79, v92, v102, s13
	v_perm_b32 v92, v95, v112, 0x5040100
	v_cndmask_b32_e64 v95, v99, v96, s6
	v_cndmask_b32_e64 v96, v99, v96, s22
	;; [unrolled: 1-line block ×16, first 2 shown]
	v_lshrrev_b32_e32 v109, 16, v105
	v_cndmask_b32_e64 v95, v95, v101, s21
	v_cndmask_b32_e64 v96, v96, v101, s27
	;; [unrolled: 1-line block ×6, first 2 shown]
	v_lshrrev_b32_e32 v80, 16, v102
	v_cndmask_b32_e64 v113, v93, v109, s11
	v_cndmask_b32_e64 v95, v95, v108, s23
	;; [unrolled: 1-line block ×6, first 2 shown]
	v_perm_b32 v93, v91, v78, 0x5040100
	v_cndmask_b32_e64 v74, v74, v102, s17
	v_cndmask_b32_e64 v78, v79, v80, s16
	;; [unrolled: 1-line block ×3, first 2 shown]
	v_lshrrev_b32_e32 v91, 16, v106
	v_cndmask_b32_e64 v95, v95, v102, s25
	v_cndmask_b32_e64 v96, v96, v102, s30
	;; [unrolled: 1-line block ×7, first 2 shown]
	v_cndmask_b32_e32 v80, v96, v80, vcc_lo
	v_cndmask_b32_e32 v96, v98, v91, vcc_lo
	v_cndmask_b32_e64 v99, v99, v91, s28
	v_cndmask_b32_e64 v100, v97, v91, s19
	;; [unrolled: 1-line block ×3, first 2 shown]
	v_perm_b32 v91, v111, v110, 0x5040100
	v_perm_b32 v98, v96, v80, 0x5040100
	;; [unrolled: 1-line block ×5, first 2 shown]
	s_mul_i32 s9, s37, 15
	s_mov_b32 s4, exec_lo
	ds_store_b128 v77, v[91:94]
	ds_store_b128 v77, v[95:98] offset:1024
	v_cmpx_gt_u32_e32 15, v0
	s_cbranch_execz .LBB572_80
; %bb.79:
	s_mul_i32 s5, s9, s34
	s_load_b128 s[16:19], s[0:1], 0x58
	v_add3_u32 v77, s5, s31, v73
	s_delay_alu instid0(VALU_DEP_1) | instskip(NEXT) | instid1(VALU_DEP_1)
	v_mad_u64_u32 v[73:74], null, v77, s36, s[14:15]
	v_ashrrev_i32_e32 v74, 31, v73
	s_delay_alu instid0(VALU_DEP_1) | instskip(SKIP_1) | instid1(VALU_DEP_1)
	v_lshlrev_b64 v[73:74], 2, v[73:74]
	s_waitcnt lgkmcnt(0)
	v_add_co_u32 v77, vcc_lo, s18, v73
	s_delay_alu instid0(VALU_DEP_2)
	v_add_co_ci_u32_e32 v78, vcc_lo, s19, v74, vcc_lo
	v_add_co_u32 v73, vcc_lo, s16, v73
	v_add_co_ci_u32_e32 v74, vcc_lo, s17, v74, vcc_lo
	global_store_b32 v[77:78], v75, off
	global_store_b32 v[73:74], v76, off
.LBB572_80:
	s_or_b32 exec_lo, exec_lo, s4
	s_waitcnt lgkmcnt(0)
	s_waitcnt_vscnt null, 0x0
	s_barrier
	buffer_gl0_inv
	ds_load_b128 v[91:94], v85
	ds_load_b128 v[95:98], v85 offset:16
	ds_load_b128 v[103:106], v85 offset:1040
	;; [unrolled: 1-line block ×3, first 2 shown]
	v_mov_b32_e32 v73, 0
	ds_load_b128 v[111:114], v85 offset:2064
	ds_load_b128 v[107:110], v85 offset:2048
	;; [unrolled: 1-line block ×6, first 2 shown]
	v_mov_b32_e32 v74, v73
	v_mov_b32_e32 v75, v73
	;; [unrolled: 1-line block ×7, first 2 shown]
	s_waitcnt lgkmcnt(8)
	s_delay_alu instid0(VALU_DEP_1)
	v_wmma_f32_16x16x16_bf16 v[73:80], v[65:72], v[91:98], v[73:80]
	ds_load_b128 v[69:72], v85 offset:5136
	ds_load_b128 v[65:68], v85 offset:5120
	ds_load_b128 v[95:98], v85 offset:6160
	ds_load_b128 v[91:94], v85 offset:6144
	s_waitcnt lgkmcnt(10)
	v_wmma_f32_16x16x16_bf16 v[73:80], v[57:64], v[99:106], v[73:80]
	s_waitcnt lgkmcnt(8)
	s_delay_alu instid0(VALU_DEP_1)
	v_wmma_f32_16x16x16_bf16 v[73:80], v[57:64], v[107:114], v[73:80]
	ds_load_b128 v[61:64], v85 offset:7184
	ds_load_b128 v[57:60], v85 offset:7168
	;; [unrolled: 1-line block ×4, first 2 shown]
	s_waitcnt lgkmcnt(10)
	v_wmma_f32_16x16x16_bf16 v[73:80], v[49:56], v[115:122], v[73:80]
	s_waitcnt lgkmcnt(8)
	s_delay_alu instid0(VALU_DEP_1)
	v_wmma_f32_16x16x16_bf16 v[73:80], v[49:56], v[123:130], v[73:80]
	ds_load_b128 v[53:56], v85 offset:9232
	ds_load_b128 v[49:52], v85 offset:9216
	s_waitcnt lgkmcnt(8)
	v_wmma_f32_16x16x16_bf16 v[73:80], v[41:48], v[65:72], v[73:80]
	ds_load_b128 v[69:72], v85 offset:10256
	ds_load_b128 v[65:68], v85 offset:10240
	s_waitcnt lgkmcnt(8)
	;; [unrolled: 4-line block ×3, first 2 shown]
	v_wmma_f32_16x16x16_bf16 v[73:80], v[9:16], v[57:64], v[73:80]
	s_waitcnt lgkmcnt(6)
	s_delay_alu instid0(VALU_DEP_1)
	v_wmma_f32_16x16x16_bf16 v[73:80], v[9:16], v[99:106], v[73:80]
	ds_load_b128 v[13:16], v85 offset:12304
	ds_load_b128 v[9:12], v85 offset:12288
	s_waitcnt lgkmcnt(6)
	v_wmma_f32_16x16x16_bf16 v[73:80], v[1:8], v[49:56], v[73:80]
	ds_load_b128 v[53:56], v85 offset:13328
	ds_load_b128 v[49:52], v85 offset:13312
	s_waitcnt lgkmcnt(6)
	;; [unrolled: 4-line block ×4, first 2 shown]
	v_wmma_f32_16x16x16_bf16 v[73:80], v[33:40], v[9:16], v[73:80]
	s_waitcnt lgkmcnt(4)
	s_delay_alu instid0(VALU_DEP_1) | instskip(SKIP_1) | instid1(VALU_DEP_1)
	v_wmma_f32_16x16x16_bf16 v[73:80], v[25:32], v[49:56], v[73:80]
	s_waitcnt lgkmcnt(2)
	v_wmma_f32_16x16x16_bf16 v[73:80], v[25:32], v[1:8], v[73:80]
	s_waitcnt lgkmcnt(0)
	s_delay_alu instid0(VALU_DEP_1) | instskip(NEXT) | instid1(VALU_DEP_1)
	v_wmma_f32_16x16x16_bf16 v[73:80], v[17:24], v[41:48], v[73:80]
	v_and_b32_e32 v1, 0x7f800000, v73
	s_delay_alu instid0(VALU_DEP_1) | instskip(SKIP_1) | instid1(SALU_CYCLE_1)
	v_cmp_ne_u32_e32 vcc_lo, 0x7f800000, v1
                                        ; implicit-def: $vgpr1
	s_and_saveexec_b32 s4, vcc_lo
	s_xor_b32 s4, exec_lo, s4
; %bb.81:
	v_bfe_u32 v1, v73, 16, 1
	s_delay_alu instid0(VALU_DEP_1)
	v_add3_u32 v1, v73, v1, 0x7fff
; %bb.82:
	s_and_not1_saveexec_b32 s4, s4
; %bb.83:
	v_and_b32_e32 v1, 0xffff, v73
	v_or_b32_e32 v2, 0x10000, v73
	s_delay_alu instid0(VALU_DEP_2) | instskip(NEXT) | instid1(VALU_DEP_2)
	v_cmp_eq_u32_e32 vcc_lo, 0, v1
	v_cndmask_b32_e32 v1, v2, v73, vcc_lo
; %bb.84:
	s_or_b32 exec_lo, exec_lo, s4
	v_and_b32_e32 v2, 0x7f800000, v74
	s_delay_alu instid0(VALU_DEP_1) | instskip(SKIP_1) | instid1(SALU_CYCLE_1)
	v_cmp_ne_u32_e32 vcc_lo, 0x7f800000, v2
                                        ; implicit-def: $vgpr2
	s_and_saveexec_b32 s4, vcc_lo
	s_xor_b32 s4, exec_lo, s4
; %bb.85:
	v_bfe_u32 v2, v74, 16, 1
	s_delay_alu instid0(VALU_DEP_1)
	v_add3_u32 v2, v74, v2, 0x7fff
; %bb.86:
	s_and_not1_saveexec_b32 s4, s4
; %bb.87:
	v_and_b32_e32 v2, 0xffff, v74
	v_or_b32_e32 v3, 0x10000, v74
	s_delay_alu instid0(VALU_DEP_2) | instskip(NEXT) | instid1(VALU_DEP_2)
	v_cmp_eq_u32_e32 vcc_lo, 0, v2
	v_cndmask_b32_e32 v2, v3, v74, vcc_lo
; %bb.88:
	s_or_b32 exec_lo, exec_lo, s4
	v_and_b32_e32 v3, 0x7f800000, v75
	s_delay_alu instid0(VALU_DEP_1) | instskip(SKIP_1) | instid1(SALU_CYCLE_1)
	v_cmp_ne_u32_e32 vcc_lo, 0x7f800000, v3
                                        ; implicit-def: $vgpr3
	s_and_saveexec_b32 s4, vcc_lo
	s_xor_b32 s4, exec_lo, s4
; %bb.89:
	v_bfe_u32 v3, v75, 16, 1
	s_delay_alu instid0(VALU_DEP_1)
	v_add3_u32 v3, v75, v3, 0x7fff
; %bb.90:
	s_and_not1_saveexec_b32 s4, s4
; %bb.91:
	v_and_b32_e32 v3, 0xffff, v75
	v_or_b32_e32 v4, 0x10000, v75
	s_delay_alu instid0(VALU_DEP_2) | instskip(NEXT) | instid1(VALU_DEP_2)
	v_cmp_eq_u32_e32 vcc_lo, 0, v3
	v_cndmask_b32_e32 v3, v4, v75, vcc_lo
; %bb.92:
	s_or_b32 exec_lo, exec_lo, s4
	v_and_b32_e32 v4, 0x7f800000, v76
	s_delay_alu instid0(VALU_DEP_1) | instskip(SKIP_1) | instid1(SALU_CYCLE_1)
	v_cmp_ne_u32_e32 vcc_lo, 0x7f800000, v4
                                        ; implicit-def: $vgpr4
	s_and_saveexec_b32 s4, vcc_lo
	s_xor_b32 s4, exec_lo, s4
; %bb.93:
	v_bfe_u32 v4, v76, 16, 1
	s_delay_alu instid0(VALU_DEP_1)
	v_add3_u32 v4, v76, v4, 0x7fff
; %bb.94:
	s_and_not1_saveexec_b32 s4, s4
; %bb.95:
	v_and_b32_e32 v4, 0xffff, v76
	v_or_b32_e32 v5, 0x10000, v76
	s_delay_alu instid0(VALU_DEP_2) | instskip(NEXT) | instid1(VALU_DEP_2)
	v_cmp_eq_u32_e32 vcc_lo, 0, v4
	v_cndmask_b32_e32 v4, v5, v76, vcc_lo
; %bb.96:
	s_or_b32 exec_lo, exec_lo, s4
	v_and_b32_e32 v5, 0x7f800000, v77
	s_delay_alu instid0(VALU_DEP_1) | instskip(SKIP_1) | instid1(SALU_CYCLE_1)
	v_cmp_ne_u32_e32 vcc_lo, 0x7f800000, v5
                                        ; implicit-def: $vgpr5
	s_and_saveexec_b32 s4, vcc_lo
	s_xor_b32 s4, exec_lo, s4
; %bb.97:
	v_bfe_u32 v5, v77, 16, 1
	s_delay_alu instid0(VALU_DEP_1)
	v_add3_u32 v5, v77, v5, 0x7fff
; %bb.98:
	s_and_not1_saveexec_b32 s4, s4
; %bb.99:
	v_and_b32_e32 v5, 0xffff, v77
	v_or_b32_e32 v6, 0x10000, v77
	s_delay_alu instid0(VALU_DEP_2) | instskip(NEXT) | instid1(VALU_DEP_2)
	v_cmp_eq_u32_e32 vcc_lo, 0, v5
	v_cndmask_b32_e32 v5, v6, v77, vcc_lo
; %bb.100:
	s_or_b32 exec_lo, exec_lo, s4
	v_and_b32_e32 v6, 0x7f800000, v78
	s_delay_alu instid0(VALU_DEP_1) | instskip(SKIP_1) | instid1(SALU_CYCLE_1)
	v_cmp_ne_u32_e32 vcc_lo, 0x7f800000, v6
                                        ; implicit-def: $vgpr6
	s_and_saveexec_b32 s4, vcc_lo
	s_xor_b32 s4, exec_lo, s4
; %bb.101:
	v_bfe_u32 v6, v78, 16, 1
	s_delay_alu instid0(VALU_DEP_1)
	v_add3_u32 v6, v78, v6, 0x7fff
; %bb.102:
	s_and_not1_saveexec_b32 s4, s4
; %bb.103:
	v_and_b32_e32 v6, 0xffff, v78
	v_or_b32_e32 v7, 0x10000, v78
	s_delay_alu instid0(VALU_DEP_2) | instskip(NEXT) | instid1(VALU_DEP_2)
	v_cmp_eq_u32_e32 vcc_lo, 0, v6
	v_cndmask_b32_e32 v6, v7, v78, vcc_lo
; %bb.104:
	s_or_b32 exec_lo, exec_lo, s4
	v_and_b32_e32 v7, 0x7f800000, v79
	s_delay_alu instid0(VALU_DEP_1) | instskip(SKIP_1) | instid1(SALU_CYCLE_1)
	v_cmp_ne_u32_e32 vcc_lo, 0x7f800000, v7
                                        ; implicit-def: $vgpr7
	s_and_saveexec_b32 s4, vcc_lo
	s_xor_b32 s4, exec_lo, s4
; %bb.105:
	v_bfe_u32 v7, v79, 16, 1
	s_delay_alu instid0(VALU_DEP_1)
	v_add3_u32 v7, v79, v7, 0x7fff
; %bb.106:
	s_and_not1_saveexec_b32 s4, s4
; %bb.107:
	v_and_b32_e32 v7, 0xffff, v79
	v_or_b32_e32 v8, 0x10000, v79
	s_delay_alu instid0(VALU_DEP_2) | instskip(NEXT) | instid1(VALU_DEP_2)
	v_cmp_eq_u32_e32 vcc_lo, 0, v7
	v_cndmask_b32_e32 v7, v8, v79, vcc_lo
; %bb.108:
	s_or_b32 exec_lo, exec_lo, s4
	v_and_b32_e32 v8, 0x7f800000, v80
	s_delay_alu instid0(VALU_DEP_1) | instskip(SKIP_1) | instid1(SALU_CYCLE_1)
	v_cmp_ne_u32_e32 vcc_lo, 0x7f800000, v8
                                        ; implicit-def: $vgpr8
	s_and_saveexec_b32 s4, vcc_lo
	s_xor_b32 s4, exec_lo, s4
; %bb.109:
	v_bfe_u32 v8, v80, 16, 1
	s_delay_alu instid0(VALU_DEP_1)
	v_add3_u32 v8, v80, v8, 0x7fff
                                        ; implicit-def: $vgpr73_vgpr74_vgpr75_vgpr76_vgpr77_vgpr78_vgpr79_vgpr80
; %bb.110:
	s_and_not1_saveexec_b32 s4, s4
; %bb.111:
	v_and_b32_e32 v8, 0xffff, v80
	v_or_b32_e32 v9, 0x10000, v80
	s_delay_alu instid0(VALU_DEP_2) | instskip(NEXT) | instid1(VALU_DEP_2)
	v_cmp_eq_u32_e32 vcc_lo, 0, v8
	v_cndmask_b32_e32 v8, v9, v80, vcc_lo
; %bb.112:
	s_or_b32 exec_lo, exec_lo, s4
	s_delay_alu instid0(VALU_DEP_1)
	v_perm_b32 v7, v8, v7, 0x7060302
	v_perm_b32 v6, v6, v5, 0x7060302
	;; [unrolled: 1-line block ×4, first 2 shown]
	v_lshl_or_b32 v9, v83, 4, v90
	s_barrier
	buffer_gl0_inv
	v_cmp_eq_u32_e32 vcc_lo, 1, v87
	ds_store_b128 v9, v[4:7]
	s_waitcnt lgkmcnt(0)
	s_barrier
	buffer_gl0_inv
	ds_load_b128 v[1:4], v90
	ds_load_b128 v[5:8], v90 offset:16
	v_cmp_eq_u32_e64 s5, 2, v87
	v_cmp_eq_u32_e64 s4, 1, v88
	;; [unrolled: 1-line block ×5, first 2 shown]
	s_waitcnt lgkmcnt(1)
	v_lshrrev_b32_e32 v10, 16, v1
	s_waitcnt lgkmcnt(0)
	v_lshrrev_b32_e32 v14, 16, v5
	v_lshrrev_b32_e32 v15, 16, v6
	;; [unrolled: 1-line block ×4, first 2 shown]
	v_cndmask_b32_e64 v20, v1, v10, s4
	v_cndmask_b32_e32 v19, v5, v14, vcc_lo
	v_cndmask_b32_e64 v21, v5, v14, s4
	v_lshrrev_b32_e32 v16, 16, v7
	v_cmp_eq_u32_e64 s4, 1, v86
	v_lshrrev_b32_e32 v13, 16, v4
	v_cndmask_b32_e64 v19, v19, v6, s5
	v_lshrrev_b32_e32 v17, 16, v8
	s_delay_alu instid0(VALU_DEP_4) | instskip(SKIP_1) | instid1(VALU_DEP_4)
	v_cndmask_b32_e64 v22, v1, v10, s4
	v_cndmask_b32_e64 v23, v5, v14, s4
	;; [unrolled: 1-line block ×3, first 2 shown]
	v_cndmask_b32_e32 v18, v1, v10, vcc_lo
	v_cmp_eq_u32_e32 vcc_lo, 2, v88
	v_cmp_eq_u32_e64 s4, 2, v89
	v_cndmask_b32_e64 v22, v22, v2, s8
	v_cndmask_b32_e32 v20, v20, v2, vcc_lo
	v_cndmask_b32_e32 v21, v21, v6, vcc_lo
	v_cmp_eq_u32_e32 vcc_lo, 4, v87
	v_cndmask_b32_e32 v19, v19, v7, vcc_lo
	v_cndmask_b32_e64 v18, v18, v2, s5
	v_cmp_eq_u32_e64 s5, 3, v88
	s_delay_alu instid0(VALU_DEP_2) | instskip(NEXT) | instid1(VALU_DEP_2)
	v_cndmask_b32_e64 v18, v18, v11, s6
	v_cndmask_b32_e64 v21, v21, v15, s5
	v_cmp_eq_u32_e64 s6, 5, v87
	s_delay_alu instid0(VALU_DEP_3) | instskip(SKIP_1) | instid1(VALU_DEP_3)
	v_cndmask_b32_e32 v18, v18, v3, vcc_lo
	v_cmp_eq_u32_e32 vcc_lo, 4, v88
	v_cndmask_b32_e64 v19, v19, v16, s6
	s_delay_alu instid0(VALU_DEP_3) | instskip(SKIP_4) | instid1(VALU_DEP_3)
	v_cndmask_b32_e64 v18, v18, v12, s6
	v_cndmask_b32_e32 v21, v21, v7, vcc_lo
	v_cndmask_b32_e64 v20, v20, v11, s5
	v_cmp_eq_u32_e64 s5, 5, v88
	v_cmp_eq_u32_e64 s6, 6, v87
	v_cndmask_b32_e32 v20, v20, v3, vcc_lo
	s_delay_alu instid0(VALU_DEP_3) | instskip(SKIP_1) | instid1(VALU_DEP_4)
	v_cndmask_b32_e64 v21, v21, v16, s5
	v_cmp_eq_u32_e32 vcc_lo, 6, v88
	v_cndmask_b32_e64 v18, v18, v4, s6
	v_cndmask_b32_e64 v19, v19, v8, s6
	;; [unrolled: 1-line block ×3, first 2 shown]
	v_cmp_eq_u32_e64 s5, 1, v89
	v_cmp_eq_u32_e64 s6, 7, v87
	s_delay_alu instid0(VALU_DEP_3) | instskip(NEXT) | instid1(VALU_DEP_3)
	v_cndmask_b32_e32 v20, v20, v4, vcc_lo
	v_cndmask_b32_e64 v1, v1, v10, s5
	v_cndmask_b32_e64 v5, v5, v14, s5
	v_cmp_eq_u32_e64 s5, 3, v86
	v_cndmask_b32_e64 v14, v23, v6, s8
	v_cmp_eq_u32_e64 s8, 3, v89
	v_cndmask_b32_e64 v1, v1, v2, s4
	v_cndmask_b32_e64 v2, v5, v6, s4
	;; [unrolled: 1-line block ×3, first 2 shown]
	v_cmp_eq_u32_e64 s4, 4, v86
	v_cndmask_b32_e64 v6, v14, v15, s5
	v_cndmask_b32_e64 v1, v1, v11, s8
	v_cmp_eq_u32_e64 s5, 4, v89
	v_cndmask_b32_e64 v2, v2, v15, s8
	v_cndmask_b32_e64 v5, v10, v3, s4
	;; [unrolled: 3-line block ×3, first 2 shown]
	v_cndmask_b32_e64 v2, v2, v7, s5
	v_cmp_eq_u32_e64 s4, 5, v89
	v_cndmask_b32_e64 v5, v5, v12, s8
	v_cmp_eq_u32_e64 s5, 6, v86
	;; [unrolled: 2-line block ×3, first 2 shown]
	v_cndmask_b32_e64 v1, v1, v12, s4
	v_cndmask_b32_e64 v2, v2, v16, s4
	;; [unrolled: 1-line block ×4, first 2 shown]
	v_cmp_eq_u32_e64 s4, 7, v89
	v_cndmask_b32_e64 v1, v1, v4, s8
	v_cndmask_b32_e64 v2, v2, v8, s8
	v_cmp_eq_u32_e64 s5, 7, v86
	v_cndmask_b32_e32 v4, v21, v8, vcc_lo
	v_cndmask_b32_e64 v18, v18, v13, s6
	v_cndmask_b32_e64 v20, v20, v13, s7
	;; [unrolled: 1-line block ×8, first 2 shown]
	v_cmp_gt_u32_e32 vcc_lo, 32, v0
	v_perm_b32 v4, v2, v1, 0x5040100
	v_perm_b32 v3, v3, v5, 0x5040100
	;; [unrolled: 1-line block ×4, first 2 shown]
	s_and_b32 s2, vcc_lo, s2
	ds_store_b128 v9, v[1:4]
	s_waitcnt lgkmcnt(0)
	s_barrier
	buffer_gl0_inv
	s_and_saveexec_b32 s4, s2
	s_cbranch_execz .LBB572_2
; %bb.113:
	s_load_b64 s[4:5], s[0:1], 0x68
	v_add_nc_u32_e32 v20, s31, v83
	v_lshlrev_b32_e32 v0, 10, v0
	v_lshlrev_b32_e32 v1, 4, v84
	s_lshl_b32 s0, s36, 6
	s_delay_alu instid0(SALU_CYCLE_1)
	s_mul_i32 s1, s0, s34
	v_add_nc_u32_e32 v2, 2, v20
	s_mul_i32 s6, s1, s9
	v_and_or_b32 v0, 0x3800, v0, v1
	v_mul_lo_u32 v1, v20, s0
	s_ashr_i32 s7, s6, 31
	v_mul_lo_u32 v11, v2, s0
	s_lshl_b64 s[6:7], s[6:7], 1
	v_add_nc_u32_e32 v3, 4, v20
	v_lshl_or_b32 v21, v83, 6, v0
	v_add_nc_u32_e32 v16, 6, v20
	v_ashrrev_i32_e32 v2, 31, v1
	s_delay_alu instid0(VALU_DEP_4)
	v_mul_lo_u32 v13, v3, s0
	s_waitcnt lgkmcnt(0)
	s_add_u32 s1, s4, s6
	s_addc_u32 s2, s5, s7
	s_lshl_b32 s4, s14, 6
	ds_load_b128 v[3:6], v21
	ds_load_b128 v[7:10], v21 offset:128
	s_ashr_i32 s5, s4, 31
	v_ashrrev_i32_e32 v12, 31, v11
	s_lshl_b64 s[4:5], s[4:5], 1
	v_lshlrev_b64 v[14:15], 1, v[1:2]
	s_add_u32 s1, s1, s4
	s_addc_u32 s2, s2, s5
	v_add_co_u32 v1, vcc_lo, s1, v81
	v_add_co_ci_u32_e32 v2, vcc_lo, s2, v82, vcc_lo
	v_lshlrev_b64 v[11:12], 1, v[11:12]
	s_delay_alu instid0(VALU_DEP_3) | instskip(SKIP_1) | instid1(VALU_DEP_4)
	v_add_co_u32 v18, vcc_lo, v1, v14
	v_mul_lo_u32 v16, v16, s0
	v_add_co_ci_u32_e32 v19, vcc_lo, v2, v15, vcc_lo
	s_delay_alu instid0(VALU_DEP_4)
	v_add_co_u32 v11, vcc_lo, v1, v11
	v_ashrrev_i32_e32 v14, 31, v13
	v_add_co_ci_u32_e32 v12, vcc_lo, v2, v12, vcc_lo
	v_add_nc_u32_e32 v15, 8, v20
	v_ashrrev_i32_e32 v17, 31, v16
	s_waitcnt lgkmcnt(1)
	global_store_b128 v[18:19], v[3:6], off
	v_lshlrev_b64 v[3:4], 1, v[13:14]
	s_waitcnt lgkmcnt(0)
	global_store_b128 v[11:12], v[7:10], off
	v_mul_lo_u32 v11, v15, s0
	v_add_nc_u32_e32 v7, 10, v20
	v_lshlrev_b64 v[5:6], 1, v[16:17]
	v_add_co_u32 v23, vcc_lo, v1, v3
	v_add_nc_u32_e32 v3, 12, v20
	s_delay_alu instid0(VALU_DEP_4)
	v_mul_lo_u32 v25, v7, s0
	v_ashrrev_i32_e32 v12, 31, v11
	v_add_co_ci_u32_e32 v24, vcc_lo, v2, v4, vcc_lo
	v_add_co_u32 v27, vcc_lo, v1, v5
	v_mul_lo_u32 v29, v3, s0
	v_add_co_ci_u32_e32 v28, vcc_lo, v2, v6, vcc_lo
	ds_load_b128 v[3:6], v21 offset:256
	ds_load_b128 v[7:10], v21 offset:384
	v_lshlrev_b64 v[31:32], 1, v[11:12]
	ds_load_b128 v[11:14], v21 offset:512
	ds_load_b128 v[15:18], v21 offset:640
	;; [unrolled: 1-line block ×3, first 2 shown]
	v_ashrrev_i32_e32 v26, 31, v25
	v_ashrrev_i32_e32 v30, 31, v29
	v_add_co_u32 v31, vcc_lo, v1, v31
	s_delay_alu instid0(VALU_DEP_3) | instskip(NEXT) | instid1(VALU_DEP_3)
	v_lshlrev_b64 v[25:26], 1, v[25:26]
	v_lshlrev_b64 v[29:30], 1, v[29:30]
	v_add_co_ci_u32_e32 v32, vcc_lo, v2, v32, vcc_lo
	s_delay_alu instid0(VALU_DEP_3) | instskip(NEXT) | instid1(VALU_DEP_4)
	v_add_co_u32 v25, vcc_lo, v1, v25
	v_add_co_ci_u32_e32 v26, vcc_lo, v2, v26, vcc_lo
	s_delay_alu instid0(VALU_DEP_4)
	v_add_co_u32 v29, vcc_lo, v1, v29
	v_add_co_ci_u32_e32 v30, vcc_lo, v2, v30, vcc_lo
	s_waitcnt lgkmcnt(4)
	global_store_b128 v[23:24], v[3:6], off
	s_waitcnt lgkmcnt(3)
	global_store_b128 v[27:28], v[7:10], off
	;; [unrolled: 2-line block ×5, first 2 shown]
	s_and_b32 exec_lo, exec_lo, s3
	s_cbranch_execz .LBB572_2
; %bb.114:
	ds_load_b128 v[3:6], v0 offset:896
	s_add_i32 s1, s31, 14
	s_delay_alu instid0(SALU_CYCLE_1) | instskip(NEXT) | instid1(SALU_CYCLE_1)
	s_mul_i32 s0, s1, s0
	s_ashr_i32 s1, s0, 31
	s_delay_alu instid0(SALU_CYCLE_1) | instskip(NEXT) | instid1(SALU_CYCLE_1)
	s_lshl_b64 s[0:1], s[0:1], 1
	v_add_co_u32 v0, vcc_lo, v1, s0
	v_add_co_ci_u32_e32 v1, vcc_lo, s1, v2, vcc_lo
	s_waitcnt lgkmcnt(0)
	global_store_b128 v[0:1], v[3:6], off
	s_nop 0
	s_sendmsg sendmsg(MSG_DEALLOC_VGPRS)
	s_endpgm
	.section	.rodata,"a",@progbits
	.p2align	6, 0x0
	.amdhsa_kernel _Z39paged_attention_ll4mi_QKV_mfma16_kernelI14__hip_bfloat16S0_LN4vllm18Fp8KVCacheDataTypeE0ES0_Li32ELi64ELi256ELb0ELi15EL8MFMAType0EEvPKT_PKT0_S9_ifPKiSB_SB_iPKfiiiPfSE_PS4_PT2_iSD_SD_
		.amdhsa_group_segment_fixed_size 17472
		.amdhsa_private_segment_fixed_size 0
		.amdhsa_kernarg_size 400
		.amdhsa_user_sgpr_count 13
		.amdhsa_user_sgpr_dispatch_ptr 0
		.amdhsa_user_sgpr_queue_ptr 0
		.amdhsa_user_sgpr_kernarg_segment_ptr 1
		.amdhsa_user_sgpr_dispatch_id 0
		.amdhsa_user_sgpr_private_segment_size 0
		.amdhsa_wavefront_size32 1
		.amdhsa_uses_dynamic_stack 0
		.amdhsa_enable_private_segment 0
		.amdhsa_system_sgpr_workgroup_id_x 1
		.amdhsa_system_sgpr_workgroup_id_y 1
		.amdhsa_system_sgpr_workgroup_id_z 1
		.amdhsa_system_sgpr_workgroup_info 0
		.amdhsa_system_vgpr_workitem_id 0
		.amdhsa_next_free_vgpr 142
		.amdhsa_next_free_sgpr 39
		.amdhsa_reserve_vcc 1
		.amdhsa_float_round_mode_32 0
		.amdhsa_float_round_mode_16_64 0
		.amdhsa_float_denorm_mode_32 3
		.amdhsa_float_denorm_mode_16_64 3
		.amdhsa_dx10_clamp 1
		.amdhsa_ieee_mode 1
		.amdhsa_fp16_overflow 0
		.amdhsa_workgroup_processor_mode 1
		.amdhsa_memory_ordered 1
		.amdhsa_forward_progress 0
		.amdhsa_shared_vgpr_count 0
		.amdhsa_exception_fp_ieee_invalid_op 0
		.amdhsa_exception_fp_denorm_src 0
		.amdhsa_exception_fp_ieee_div_zero 0
		.amdhsa_exception_fp_ieee_overflow 0
		.amdhsa_exception_fp_ieee_underflow 0
		.amdhsa_exception_fp_ieee_inexact 0
		.amdhsa_exception_int_div_zero 0
	.end_amdhsa_kernel
	.section	.text._Z39paged_attention_ll4mi_QKV_mfma16_kernelI14__hip_bfloat16S0_LN4vllm18Fp8KVCacheDataTypeE0ES0_Li32ELi64ELi256ELb0ELi15EL8MFMAType0EEvPKT_PKT0_S9_ifPKiSB_SB_iPKfiiiPfSE_PS4_PT2_iSD_SD_,"axG",@progbits,_Z39paged_attention_ll4mi_QKV_mfma16_kernelI14__hip_bfloat16S0_LN4vllm18Fp8KVCacheDataTypeE0ES0_Li32ELi64ELi256ELb0ELi15EL8MFMAType0EEvPKT_PKT0_S9_ifPKiSB_SB_iPKfiiiPfSE_PS4_PT2_iSD_SD_,comdat
.Lfunc_end572:
	.size	_Z39paged_attention_ll4mi_QKV_mfma16_kernelI14__hip_bfloat16S0_LN4vllm18Fp8KVCacheDataTypeE0ES0_Li32ELi64ELi256ELb0ELi15EL8MFMAType0EEvPKT_PKT0_S9_ifPKiSB_SB_iPKfiiiPfSE_PS4_PT2_iSD_SD_, .Lfunc_end572-_Z39paged_attention_ll4mi_QKV_mfma16_kernelI14__hip_bfloat16S0_LN4vllm18Fp8KVCacheDataTypeE0ES0_Li32ELi64ELi256ELb0ELi15EL8MFMAType0EEvPKT_PKT0_S9_ifPKiSB_SB_iPKfiiiPfSE_PS4_PT2_iSD_SD_
                                        ; -- End function
	.section	.AMDGPU.csdata,"",@progbits
; Kernel info:
; codeLenInByte = 9656
; NumSgprs: 41
; NumVgprs: 142
; ScratchSize: 0
; MemoryBound: 0
; FloatMode: 240
; IeeeMode: 1
; LDSByteSize: 17472 bytes/workgroup (compile time only)
; SGPRBlocks: 5
; VGPRBlocks: 17
; NumSGPRsForWavesPerEU: 41
; NumVGPRsForWavesPerEU: 142
; Occupancy: 10
; WaveLimiterHint : 1
; COMPUTE_PGM_RSRC2:SCRATCH_EN: 0
; COMPUTE_PGM_RSRC2:USER_SGPR: 13
; COMPUTE_PGM_RSRC2:TRAP_HANDLER: 0
; COMPUTE_PGM_RSRC2:TGID_X_EN: 1
; COMPUTE_PGM_RSRC2:TGID_Y_EN: 1
; COMPUTE_PGM_RSRC2:TGID_Z_EN: 1
; COMPUTE_PGM_RSRC2:TIDIG_COMP_CNT: 0
	.section	.text._Z39paged_attention_ll4mi_QKV_mfma16_kernelI14__hip_bfloat16S0_LN4vllm18Fp8KVCacheDataTypeE0ES0_Li32ELi64ELi256ELb0ELi16EL8MFMAType0EEvPKT_PKT0_S9_ifPKiSB_SB_iPKfiiiPfSE_PS4_PT2_iSD_SD_,"axG",@progbits,_Z39paged_attention_ll4mi_QKV_mfma16_kernelI14__hip_bfloat16S0_LN4vllm18Fp8KVCacheDataTypeE0ES0_Li32ELi64ELi256ELb0ELi16EL8MFMAType0EEvPKT_PKT0_S9_ifPKiSB_SB_iPKfiiiPfSE_PS4_PT2_iSD_SD_,comdat
	.protected	_Z39paged_attention_ll4mi_QKV_mfma16_kernelI14__hip_bfloat16S0_LN4vllm18Fp8KVCacheDataTypeE0ES0_Li32ELi64ELi256ELb0ELi16EL8MFMAType0EEvPKT_PKT0_S9_ifPKiSB_SB_iPKfiiiPfSE_PS4_PT2_iSD_SD_ ; -- Begin function _Z39paged_attention_ll4mi_QKV_mfma16_kernelI14__hip_bfloat16S0_LN4vllm18Fp8KVCacheDataTypeE0ES0_Li32ELi64ELi256ELb0ELi16EL8MFMAType0EEvPKT_PKT0_S9_ifPKiSB_SB_iPKfiiiPfSE_PS4_PT2_iSD_SD_
	.globl	_Z39paged_attention_ll4mi_QKV_mfma16_kernelI14__hip_bfloat16S0_LN4vllm18Fp8KVCacheDataTypeE0ES0_Li32ELi64ELi256ELb0ELi16EL8MFMAType0EEvPKT_PKT0_S9_ifPKiSB_SB_iPKfiiiPfSE_PS4_PT2_iSD_SD_
	.p2align	8
	.type	_Z39paged_attention_ll4mi_QKV_mfma16_kernelI14__hip_bfloat16S0_LN4vllm18Fp8KVCacheDataTypeE0ES0_Li32ELi64ELi256ELb0ELi16EL8MFMAType0EEvPKT_PKT0_S9_ifPKiSB_SB_iPKfiiiPfSE_PS4_PT2_iSD_SD_,@function
_Z39paged_attention_ll4mi_QKV_mfma16_kernelI14__hip_bfloat16S0_LN4vllm18Fp8KVCacheDataTypeE0ES0_Li32ELi64ELi256ELb0ELi16EL8MFMAType0EEvPKT_PKT0_S9_ifPKiSB_SB_iPKfiiiPfSE_PS4_PT2_iSD_SD_: ; @_Z39paged_attention_ll4mi_QKV_mfma16_kernelI14__hip_bfloat16S0_LN4vllm18Fp8KVCacheDataTypeE0ES0_Li32ELi64ELi256ELb0ELi16EL8MFMAType0EEvPKT_PKT0_S9_ifPKiSB_SB_iPKfiiiPfSE_PS4_PT2_iSD_SD_
; %bb.0:
	s_load_b64 s[2:3], s[0:1], 0x30
	s_mov_b32 s30, s13
	s_waitcnt lgkmcnt(0)
	s_cmp_lg_u64 s[2:3], 0
	s_cselect_b32 s6, -1, 0
	s_ashr_i32 s31, s13, 31
	s_cmp_eq_u64 s[2:3], 0
	s_cbranch_scc1 .LBB573_3
; %bb.1:
	s_lshl_b64 s[4:5], s[30:31], 2
	s_delay_alu instid0(SALU_CYCLE_1) | instskip(SKIP_4) | instid1(SALU_CYCLE_1)
	s_add_u32 s4, s2, s4
	s_addc_u32 s5, s3, s5
	s_load_b64 s[4:5], s[4:5], 0x0
	s_waitcnt lgkmcnt(0)
	s_sub_i32 s4, s5, s4
	s_cmp_eq_u32 s4, 1
	s_cselect_b32 s4, -1, 0
	s_delay_alu instid0(SALU_CYCLE_1)
	s_and_not1_b32 vcc_lo, exec_lo, s4
	s_cbranch_vccz .LBB573_4
.LBB573_2:
	s_endpgm
.LBB573_3:
.LBB573_4:
	s_load_b64 s[8:9], s[0:1], 0x28
	s_lshl_b64 s[4:5], s[30:31], 2
	s_waitcnt lgkmcnt(0)
	s_add_u32 s8, s8, s4
	s_addc_u32 s9, s9, s5
	s_lshl_b32 s16, s14, 8
	s_load_b32 s18, s[8:9], 0x0
	s_waitcnt lgkmcnt(0)
	s_cmp_ge_i32 s16, s18
	s_cbranch_scc1 .LBB573_2
; %bb.5:
	s_and_not1_b32 vcc_lo, exec_lo, s6
	s_cbranch_vccnz .LBB573_7
; %bb.6:
	s_add_u32 s2, s2, s4
	s_addc_u32 s3, s3, s5
	s_load_b32 s17, s[2:3], 0x0
	s_branch .LBB573_8
.LBB573_7:
	s_mov_b32 s17, s30
.LBB573_8:
	s_clause 0x2
	s_load_b128 s[8:11], s[0:1], 0x8
	s_load_b64 s[12:13], s[0:1], 0x20
	s_load_b128 s[4:7], s[0:1], 0x48
	v_and_b32_e32 v74, 15, v0
	v_cmp_lt_u32_e32 vcc_lo, 0xff, v0
	s_delay_alu instid0(VALU_DEP_2) | instskip(SKIP_2) | instid1(VALU_DEP_3)
	v_cmp_lt_u32_e64 s3, 7, v74
	v_lshlrev_b32_e32 v1, 3, v74
	v_cmp_gt_u32_e64 s2, 8, v74
	s_or_b32 s3, vcc_lo, s3
	s_waitcnt lgkmcnt(0)
	s_and_saveexec_b32 s7, s3
	s_delay_alu instid0(SALU_CYCLE_1)
	s_xor_b32 s3, exec_lo, s7
; %bb.9:
	v_mov_b32_e32 v2, 0
; %bb.10:
	s_or_saveexec_b32 s3, s3
	v_lshrrev_b32_e32 v73, 5, v0
	v_and_b32_e32 v75, 31, v0
	v_and_b32_e32 v84, 1, v0
	v_bfe_u32 v83, v0, 4, 1
	s_lshl_b32 s31, s15, 4
	s_xor_b32 exec_lo, exec_lo, s3
	s_cbranch_execz .LBB573_12
; %bb.11:
	s_delay_alu instid0(VALU_DEP_1)
	v_lshl_or_b32 v7, v73, 1, v83
	s_load_b64 s[20:21], s[0:1], 0x0
	s_mul_hi_i32 s23, s17, s4
	s_mul_i32 s22, s17, s4
	v_lshlrev_b32_e32 v4, 1, v1
	v_or_b32_e32 v2, s31, v7
	s_lshl_b64 s[22:23], s[22:23], 1
	v_lshlrev_b32_e32 v7, 6, v7
	v_lshlrev_b32_e32 v8, 10, v84
	s_delay_alu instid0(VALU_DEP_3) | instskip(NEXT) | instid1(VALU_DEP_1)
	v_lshlrev_b32_e32 v2, 6, v2
	v_ashrrev_i32_e32 v3, 31, v2
	s_delay_alu instid0(VALU_DEP_1) | instskip(SKIP_3) | instid1(VALU_DEP_1)
	v_lshlrev_b64 v[2:3], 1, v[2:3]
	s_waitcnt lgkmcnt(0)
	s_add_u32 s4, s20, s22
	s_addc_u32 s7, s21, s23
	v_add_co_u32 v2, vcc_lo, s4, v2
	s_delay_alu instid0(VALU_DEP_2) | instskip(NEXT) | instid1(VALU_DEP_2)
	v_add_co_ci_u32_e32 v3, vcc_lo, s7, v3, vcc_lo
	v_add_co_u32 v2, vcc_lo, v2, v4
	s_delay_alu instid0(VALU_DEP_2) | instskip(SKIP_2) | instid1(VALU_DEP_1)
	v_add_co_ci_u32_e32 v3, vcc_lo, 0, v3, vcc_lo
	global_load_b128 v[3:6], v[2:3], off
	v_lshlrev_b32_e32 v2, 10, v74
	v_and_b32_e32 v2, 0x3800, v2
	s_delay_alu instid0(VALU_DEP_1)
	v_or3_b32 v7, v2, v8, v7
	v_mov_b32_e32 v2, 0
	s_waitcnt vmcnt(0)
	ds_store_b128 v7, v[3:6]
.LBB573_12:
	s_or_b32 exec_lo, exec_lo, s3
	v_and_b32_e32 v3, 0xef, v0
	s_add_i32 s3, s18, 31
	s_clause 0x1
	s_load_b32 s4, s[0:1], 0x38
	s_load_b32 s19, s[0:1], 0x1c
	s_ashr_i32 s7, s3, 31
	v_add_nc_u32_e32 v3, s16, v3
	s_lshr_b32 s7, s7, 27
	s_waitcnt lgkmcnt(0)
	s_add_i32 s3, s3, s7
	s_barrier
	v_ashrrev_i32_e32 v4, 31, v3
	v_cmp_gt_i32_e32 vcc_lo, s18, v3
	s_ashr_i32 s3, s3, 5
	buffer_gl0_inv
	s_add_i32 s3, s3, -1
	v_lshrrev_b32_e32 v5, 27, v4
	v_or_b32_e32 v4, 16, v3
	s_mul_i32 s6, s15, s6
	v_lshlrev_b64 v[81:82], 1, v[1:2]
	s_delay_alu instid0(VALU_DEP_3) | instskip(NEXT) | instid1(VALU_DEP_3)
	v_add_nc_u32_e32 v6, v3, v5
	v_add_nc_u32_e32 v5, v4, v5
	s_mul_i32 s20, s30, s4
	s_delay_alu instid0(SALU_CYCLE_1) | instskip(NEXT) | instid1(VALU_DEP_2)
	s_ashr_i32 s21, s20, 31
	v_ashrrev_i32_e32 v6, 5, v6
	s_delay_alu instid0(VALU_DEP_2) | instskip(SKIP_1) | instid1(SALU_CYCLE_1)
	v_ashrrev_i32_e32 v5, 5, v5
	s_lshl_b64 s[20:21], s[20:21], 2
	s_add_u32 s4, s12, s20
	s_delay_alu instid0(VALU_DEP_2) | instskip(SKIP_3) | instid1(SALU_CYCLE_1)
	v_cndmask_b32_e32 v3, s3, v6, vcc_lo
	v_cmp_gt_i32_e32 vcc_lo, s18, v4
	s_addc_u32 s17, s13, s21
	s_ashr_i32 s7, s6, 31
	s_lshl_b64 s[6:7], s[6:7], 1
	v_cndmask_b32_e32 v5, s3, v5, vcc_lo
	v_ashrrev_i32_e32 v4, 31, v3
	s_add_u32 s15, s8, s6
	s_addc_u32 s28, s9, s7
	s_lshl_b32 s8, s14, 3
	v_ashrrev_i32_e32 v6, 31, v5
	v_lshlrev_b64 v[3:4], 2, v[3:4]
	s_ashr_i32 s9, s8, 31
	s_delay_alu instid0(SALU_CYCLE_1) | instskip(NEXT) | instid1(VALU_DEP_2)
	s_lshl_b64 s[8:9], s[8:9], 2
	v_lshlrev_b64 v[5:6], 2, v[5:6]
	s_add_u32 s8, s4, s8
	s_delay_alu instid0(VALU_DEP_2) | instskip(SKIP_1) | instid1(VALU_DEP_3)
	v_add_co_u32 v3, vcc_lo, s4, v3
	v_add_co_ci_u32_e32 v4, vcc_lo, s17, v4, vcc_lo
	v_add_co_u32 v5, vcc_lo, s4, v5
	s_delay_alu instid0(VALU_DEP_4)
	v_add_co_ci_u32_e32 v6, vcc_lo, s17, v6, vcc_lo
	s_addc_u32 s9, s17, s9
	s_clause 0x1
	global_load_b32 v7, v[3:4], off
	global_load_b32 v8, v[5:6], off
	s_or_b32 s12, s16, 32
	s_delay_alu instid0(SALU_CYCLE_1) | instskip(SKIP_2) | instid1(SALU_CYCLE_1)
	s_ashr_i32 s13, s12, 5
	s_cmp_lt_i32 s12, s18
	s_cselect_b32 s12, s13, s3
	s_ashr_i32 s13, s12, 31
	s_delay_alu instid0(SALU_CYCLE_1) | instskip(NEXT) | instid1(SALU_CYCLE_1)
	s_lshl_b64 s[12:13], s[12:13], 2
	s_add_u32 s12, s4, s12
	s_addc_u32 s13, s17, s13
	s_or_b32 s20, s16, 64
	s_delay_alu instid0(SALU_CYCLE_1) | instskip(SKIP_2) | instid1(SALU_CYCLE_1)
	s_ashr_i32 s21, s20, 5
	s_cmp_lt_i32 s20, s18
	s_cselect_b32 s20, s21, s3
	s_ashr_i32 s21, s20, 31
	s_delay_alu instid0(SALU_CYCLE_1) | instskip(NEXT) | instid1(SALU_CYCLE_1)
	s_lshl_b64 s[20:21], s[20:21], 2
	s_add_u32 s20, s4, s20
	s_addc_u32 s21, s17, s21
	;; [unrolled: 10-line block ×5, first 2 shown]
	s_clause 0x5
	s_load_b32 s29, s[8:9], 0x0
	s_load_b32 s33, s[12:13], 0x0
	;; [unrolled: 1-line block ×6, first 2 shown]
	s_or_b32 s8, s16, 0xc0
	s_mov_b32 s20, 0
	s_ashr_i32 s9, s8, 5
	s_cmp_lt_i32 s8, s18
	s_mov_b32 s21, s20
	s_cselect_b32 s8, s9, s3
	s_mov_b32 s22, s20
	s_ashr_i32 s9, s8, 31
	s_mov_b32 s23, s20
	s_lshl_b64 s[8:9], s[8:9], 2
	s_mov_b32 s24, s20
	s_mov_b32 s25, s20
	;; [unrolled: 1-line block ×4, first 2 shown]
	v_lshlrev_b32_e32 v85, 6, v74
	s_add_u32 s8, s4, s8
	s_addc_u32 s9, s17, s9
	v_dual_mov_b32 v117, s27 :: v_dual_mov_b32 v110, s20
	v_dual_mov_b32 v116, s26 :: v_dual_mov_b32 v115, s25
	;; [unrolled: 1-line block ×4, first 2 shown]
	s_waitcnt lgkmcnt(0)
	s_mul_hi_i32 s13, s29, s5
	s_mul_i32 s12, s29, s5
	v_lshl_or_b32 v57, v73, 10, v85
	s_mul_hi_i32 s21, s33, s5
	s_mul_i32 s20, s33, s5
	s_mul_hi_i32 s25, s34, s5
	s_mul_i32 s24, s34, s5
	s_mul_hi_i32 s27, s35, s5
	s_mul_i32 s26, s35, s5
	s_mul_hi_i32 s35, s37, s5
	s_mul_i32 s34, s37, s5
	s_waitcnt vmcnt(1)
	v_mad_i64_i32 v[3:4], null, v7, s5, 0
	s_waitcnt vmcnt(0)
	v_mad_i64_i32 v[5:6], null, v8, s5, 0
	s_delay_alu instid0(VALU_DEP_2) | instskip(NEXT) | instid1(VALU_DEP_2)
	v_lshlrev_b64 v[3:4], 1, v[3:4]
	v_lshlrev_b64 v[1:2], 1, v[5:6]
	s_delay_alu instid0(VALU_DEP_2) | instskip(NEXT) | instid1(VALU_DEP_3)
	v_add_co_u32 v3, vcc_lo, s15, v3
	v_add_co_ci_u32_e32 v4, vcc_lo, s28, v4, vcc_lo
	s_delay_alu instid0(VALU_DEP_3) | instskip(NEXT) | instid1(VALU_DEP_4)
	v_add_co_u32 v1, vcc_lo, s15, v1
	v_add_co_ci_u32_e32 v2, vcc_lo, s28, v2, vcc_lo
	s_delay_alu instid0(VALU_DEP_4) | instskip(NEXT) | instid1(VALU_DEP_4)
	v_add_co_u32 v41, vcc_lo, v3, v81
	v_add_co_ci_u32_e32 v42, vcc_lo, v4, v82, vcc_lo
	s_delay_alu instid0(VALU_DEP_4) | instskip(NEXT) | instid1(VALU_DEP_4)
	v_add_co_u32 v43, vcc_lo, v1, v81
	v_add_co_ci_u32_e32 v44, vcc_lo, v2, v82, vcc_lo
	s_clause 0xf
	global_load_b128 v[1:4], v[41:42], off
	global_load_b128 v[5:8], v[41:42], off offset:512
	global_load_b128 v[9:12], v[43:44], off offset:256
	;; [unrolled: 1-line block ×15, first 2 shown]
	s_or_b32 s15, s16, 0xe0
	ds_load_b128 v[41:44], v85
	ds_load_b128 v[45:48], v85 offset:1024
	ds_load_b128 v[49:52], v85 offset:2048
	;; [unrolled: 1-line block ×3, first 2 shown]
	s_ashr_i32 s22, s15, 5
	s_cmp_lt_i32 s15, s18
	ds_load_b128 v[118:121], v85 offset:4096
	ds_load_b128 v[122:125], v85 offset:5120
	s_cselect_b32 s22, s22, s3
	ds_load_b128 v[126:129], v85 offset:6144
	ds_load_b128 v[130:133], v85 offset:7168
	s_ashr_i32 s23, s22, 31
	s_delay_alu instid0(SALU_CYCLE_1) | instskip(NEXT) | instid1(SALU_CYCLE_1)
	s_lshl_b64 s[22:23], s[22:23], 2
	s_add_u32 s22, s4, s22
	s_addc_u32 s23, s17, s23
	s_add_i32 s15, s16, 0x100
	s_delay_alu instid0(SALU_CYCLE_1)
	s_ashr_i32 s28, s15, 5
	s_cmp_lt_i32 s15, s18
	s_load_b32 s15, s[8:9], 0x0
	s_cselect_b32 s28, s28, s3
	s_mul_hi_i32 s9, s36, s5
	s_ashr_i32 s29, s28, 31
	s_mul_i32 s8, s36, s5
	s_lshl_b64 s[28:29], s[28:29], 2
	s_delay_alu instid0(SALU_CYCLE_1)
	s_add_u32 s28, s4, s28
	s_addc_u32 s29, s17, s29
	s_add_u32 s3, s10, s6
	s_clause 0x1
	s_load_b32 s4, s[22:23], 0x0
	s_load_b32 s17, s[28:29], 0x0
	s_addc_u32 s28, s11, s7
	v_add_co_u32 v76, s3, s3, v57
	s_delay_alu instid0(VALU_DEP_1) | instskip(SKIP_2) | instid1(VALU_DEP_2)
	v_add_co_ci_u32_e64 v77, null, s28, 0, s3
	s_lshl_b64 s[6:7], s[12:13], 1
	s_lshl_b64 s[10:11], s[20:21], 1
	v_add_co_u32 v57, vcc_lo, v76, s6
	s_delay_alu instid0(VALU_DEP_2)
	v_add_co_ci_u32_e32 v58, vcc_lo, s7, v77, vcc_lo
	s_lshl_b64 s[12:13], s[24:25], 1
	s_lshl_b64 s[20:21], s[26:27], 1
	;; [unrolled: 1-line block ×4, first 2 shown]
	s_waitcnt lgkmcnt(0)
	s_mul_hi_i32 s25, s15, s5
	s_mul_i32 s24, s15, s5
	s_clause 0x1
	global_load_b128 v[65:68], v[57:58], off
	global_load_b128 v[69:72], v[57:58], off offset:16
	s_lshl_b64 s[6:7], s[24:25], 1
	s_waitcnt vmcnt(16)
	v_wmma_f32_16x16x16_bf16 v[134:141], v[1:8], v[41:48], v[110:117]
	v_add_co_u32 v1, vcc_lo, v76, s10
	v_add_co_ci_u32_e32 v2, vcc_lo, s11, v77, vcc_lo
	s_waitcnt vmcnt(12)
	s_delay_alu instid0(VALU_DEP_3) | instskip(SKIP_3) | instid1(VALU_DEP_3)
	v_wmma_f32_16x16x16_bf16 v[134:141], v[17:24], v[49:56], v[134:141]
	v_add_co_u32 v3, vcc_lo, v76, s12
	v_add_co_ci_u32_e32 v4, vcc_lo, s13, v77, vcc_lo
	s_waitcnt vmcnt(8)
	v_wmma_f32_16x16x16_bf16 v[134:141], v[33:40], v[118:125], v[134:141]
	v_add_co_u32 v5, vcc_lo, v76, s20
	v_add_co_ci_u32_e32 v6, vcc_lo, s21, v77, vcc_lo
	s_waitcnt vmcnt(4)
	s_delay_alu instid0(VALU_DEP_3) | instskip(SKIP_2) | instid1(VALU_DEP_3)
	v_wmma_f32_16x16x16_bf16 v[134:141], v[94:101], v[126:133], v[134:141]
	v_add_co_u32 v7, vcc_lo, v76, s8
	v_add_co_ci_u32_e32 v8, vcc_lo, s9, v77, vcc_lo
	v_mul_f32_e32 v100, s19, v141
	v_wmma_f32_16x16x16_bf16 v[110:117], v[9:16], v[41:48], v[110:117]
	s_clause 0x1
	global_load_b128 v[57:60], v[1:2], off
	global_load_b128 v[61:64], v[1:2], off offset:16
	s_mul_hi_i32 s9, s4, s5
	s_mul_i32 s8, s4, s5
	v_mul_f32_e32 v99, s19, v135
	v_wmma_f32_16x16x16_bf16 v[110:117], v[25:32], v[49:56], v[110:117]
	s_clause 0x5
	global_load_b128 v[49:52], v[3:4], off
	global_load_b128 v[53:56], v[3:4], off offset:16
	global_load_b128 v[41:44], v[5:6], off
	global_load_b128 v[45:48], v[5:6], off offset:16
	;; [unrolled: 2-line block ×3, first 2 shown]
	v_add_co_u32 v5, vcc_lo, v76, s22
	v_add_co_ci_u32_e32 v6, vcc_lo, s23, v77, vcc_lo
	v_add_co_u32 v17, vcc_lo, v76, s6
	v_add_co_ci_u32_e32 v18, vcc_lo, s7, v77, vcc_lo
	s_lshl_b64 s[6:7], s[8:9], 1
	s_mul_hi_i32 s9, s17, s5
	s_mul_i32 s8, s17, s5
	v_add_co_u32 v19, vcc_lo, v76, s6
	s_lshl_b64 s[4:5], s[8:9], 1
	v_add_co_ci_u32_e32 v20, vcc_lo, s7, v77, vcc_lo
	v_add_co_u32 v21, vcc_lo, v76, s4
	v_add_co_ci_u32_e32 v22, vcc_lo, s5, v77, vcc_lo
	s_clause 0x7
	global_load_b128 v[1:4], v[5:6], off
	global_load_b128 v[5:8], v[5:6], off offset:16
	global_load_b128 v[33:36], v[17:18], off
	global_load_b128 v[37:40], v[17:18], off offset:16
	global_load_b128 v[25:28], v[19:20], off
	global_load_b128 v[29:32], v[19:20], off offset:16
	global_load_b128 v[17:20], v[21:22], off
	global_load_b128 v[21:24], v[21:22], off offset:16
	v_and_b32_e32 v76, 0xe0, v0
	v_mbcnt_lo_u32_b32 v77, -1, 0
	v_wmma_f32_16x16x16_bf16 v[110:117], v[86:93], v[118:125], v[110:117]
	s_waitcnt vmcnt(0)
	s_barrier
	v_add_nc_u32_e32 v76, s16, v76
	v_xor_b32_e32 v78, 16, v77
	v_wmma_f32_16x16x16_bf16 v[110:117], v[102:109], v[126:133], v[110:117]
	v_mul_f32_e32 v97, s19, v134
	buffer_gl0_inv
	v_or_b32_e32 v76, v76, v83
	v_cmp_gt_i32_e32 vcc_lo, 32, v78
	s_delay_alu instid0(VALU_DEP_2)
	v_or_b32_e32 v79, 4, v76
	v_cndmask_b32_e32 v77, v77, v78, vcc_lo
	v_or_b32_e32 v78, 2, v76
	v_or_b32_e32 v80, 6, v76
	v_cmp_gt_i32_e32 vcc_lo, s18, v76
	v_or_b32_e32 v86, 8, v76
	v_or_b32_e32 v87, 10, v76
	v_cmp_gt_i32_e64 s3, s18, v78
	v_or_b32_e32 v88, 12, v76
	v_or_b32_e32 v89, 14, v76
	;; [unrolled: 1-line block ×10, first 2 shown]
	v_cndmask_b32_e32 v76, 0xff7fffff, v97, vcc_lo
	v_cndmask_b32_e64 v78, 0xff7fffff, v99, s3
	v_mul_f32_e32 v99, s19, v137
	v_cmp_gt_i32_e64 s4, s18, v80
	v_mul_f32_e32 v80, s19, v136
	v_cmp_gt_i32_e64 s5, s18, v79
	v_max3_f32 v76, v76, 0xff7fffff, v78
	v_dual_mul_f32 v78, s19, v138 :: v_dual_mul_f32 v79, s19, v139
	v_cmp_gt_i32_e64 s6, s18, v86
	s_delay_alu instid0(VALU_DEP_4)
	v_cndmask_b32_e64 v80, 0xff7fffff, v80, s5
	v_cmp_gt_i32_e64 s7, s18, v87
	v_mul_f32_e32 v86, s19, v116
	v_cndmask_b32_e64 v99, 0xff7fffff, v99, s4
	v_mul_f32_e32 v97, s19, v140
	v_cndmask_b32_e64 v78, 0xff7fffff, v78, s6
	v_cndmask_b32_e64 v79, 0xff7fffff, v79, s7
	v_cmp_gt_i32_e64 s8, s18, v89
	v_max3_f32 v76, v76, v80, v99
	v_cmp_gt_i32_e64 s9, s18, v88
	v_dual_mul_f32 v99, s19, v114 :: v_dual_mul_f32 v88, s19, v111
	v_mul_f32_e32 v89, s19, v110
	s_delay_alu instid0(VALU_DEP_4)
	v_max3_f32 v76, v76, v78, v79
	v_mul_f32_e32 v78, s19, v113
	v_cndmask_b32_e64 v97, 0xff7fffff, v97, s9
	v_cndmask_b32_e64 v100, 0xff7fffff, v100, s8
	v_cmp_gt_i32_e64 s10, s18, v90
	v_cmp_gt_i32_e64 s11, s18, v91
	v_mul_f32_e32 v79, s19, v112
	v_cmp_gt_i32_e64 s12, s18, v92
	v_max3_f32 v76, v76, v97, v100
	v_cndmask_b32_e64 v89, 0xff7fffff, v89, s10
	v_cndmask_b32_e64 v88, 0xff7fffff, v88, s11
	v_cmp_gt_i32_e64 s13, s18, v93
	v_mul_f32_e32 v87, s19, v115
	v_cndmask_b32_e64 v79, 0xff7fffff, v79, s12
	v_cmp_gt_i32_e64 s15, s18, v94
	v_max3_f32 v76, v76, v89, v88
	v_cndmask_b32_e64 v78, 0xff7fffff, v78, s13
	v_cmp_gt_i32_e64 s16, s18, v95
	v_mul_f32_e32 v80, s19, v117
	v_cndmask_b32_e64 v88, 0xff7fffff, v99, s15
	v_cmp_gt_i32_e64 s17, s18, v96
	v_max3_f32 v76, v76, v79, v78
	v_cndmask_b32_e64 v87, 0xff7fffff, v87, s16
	v_cmp_gt_i32_e64 s18, s18, v98
	v_lshlrev_b32_e32 v99, 2, v77
	v_cndmask_b32_e64 v78, 0xff7fffff, v86, s17
	s_delay_alu instid0(VALU_DEP_4) | instskip(NEXT) | instid1(VALU_DEP_4)
	v_max3_f32 v76, v76, v88, v87
	v_cndmask_b32_e64 v79, 0xff7fffff, v80, s18
	s_delay_alu instid0(VALU_DEP_1) | instskip(SKIP_3) | instid1(VALU_DEP_1)
	v_max3_f32 v76, v76, v78, v79
	ds_bpermute_b32 v77, v99, v76
	s_waitcnt lgkmcnt(0)
	v_max_f32_e32 v77, v77, v77
	v_max_f32_e32 v89, v76, v77
	s_delay_alu instid0(VALU_DEP_1) | instskip(NEXT) | instid1(VALU_DEP_1)
	v_fma_f32 v80, s19, v138, -v89
	v_mul_f32_e32 v80, 0x3fb8aa3b, v80
	s_delay_alu instid0(VALU_DEP_1) | instskip(SKIP_3) | instid1(VALU_DEP_1)
	v_exp_f32_e32 v80, v80
	s_waitcnt_depctr 0xfff
	v_cndmask_b32_e64 v95, 0, v80, s6
	v_fma_f32 v80, s19, v111, -v89
	v_mul_f32_e32 v80, 0x3fb8aa3b, v80
	v_fma_f32 v78, s19, v136, -v89
	v_fma_f32 v86, s19, v140, -v89
	;; [unrolled: 1-line block ×5, first 2 shown]
	v_mul_f32_e32 v78, 0x3fb8aa3b, v78
	v_mul_f32_e32 v86, 0x3fb8aa3b, v86
	;; [unrolled: 1-line block ×3, first 2 shown]
	v_fma_f32 v98, s19, v116, -v89
	v_fma_f32 v100, s19, v117, -v89
	v_exp_f32_e32 v78, v78
	v_exp_f32_e32 v86, v86
	v_exp_f32_e32 v76, v76
	v_exp_f32_e32 v80, v80
	v_mul_f32_e32 v100, 0x3fb8aa3b, v100
	v_fma_f32 v87, s19, v114, -v89
	s_delay_alu instid0(VALU_DEP_2)
	v_exp_f32_e32 v100, v100
	v_cndmask_b32_e64 v92, 0, v78, s5
	v_fma_f32 v78, s19, v141, -v89
	v_cndmask_b32_e64 v93, 0, v86, s9
	v_fma_f32 v86, s19, v113, -v89
	v_mul_f32_e32 v77, 0x3fb8aa3b, v77
	s_delay_alu instid0(VALU_DEP_4) | instskip(NEXT) | instid1(VALU_DEP_3)
	v_dual_mul_f32 v79, 0x3fb8aa3b, v79 :: v_dual_mul_f32 v78, 0x3fb8aa3b, v78
	v_dual_mul_f32 v87, 0x3fb8aa3b, v87 :: v_dual_mul_f32 v86, 0x3fb8aa3b, v86
	s_delay_alu instid0(VALU_DEP_3) | instskip(NEXT) | instid1(VALU_DEP_2)
	v_exp_f32_e32 v77, v77
	v_exp_f32_e32 v79, v79
	s_delay_alu instid0(VALU_DEP_2) | instskip(NEXT) | instid1(VALU_DEP_1)
	v_exp_f32_e32 v78, v78
	v_exp_f32_e32 v87, v87
	;; [unrolled: 1-line block ×3, first 2 shown]
	v_cndmask_b32_e64 v90, 0, v77, s3
	v_cndmask_b32_e64 v94, 0, v79, s4
	s_delay_alu instid0(TRANS32_DEP_3) | instskip(SKIP_4) | instid1(VALU_DEP_2)
	v_cndmask_b32_e64 v97, 0, v78, s8
	v_cndmask_b32_e32 v91, 0, v76, vcc_lo
	v_fma_f32 v76, s19, v139, -v89
	v_fma_f32 v79, s19, v110, -v89
	s_mov_b32 s3, exec_lo
	v_dual_add_f32 v77, 0, v91 :: v_dual_mul_f32 v76, 0x3fb8aa3b, v76
	s_delay_alu instid0(VALU_DEP_1) | instskip(NEXT) | instid1(VALU_DEP_2)
	v_add_f32_e32 v77, v77, v90
	v_exp_f32_e32 v76, v76
	s_delay_alu instid0(VALU_DEP_1) | instskip(NEXT) | instid1(VALU_DEP_1)
	v_add_f32_e32 v77, v77, v92
	v_add_f32_e32 v77, v77, v94
	s_waitcnt_depctr 0xfff
	v_cndmask_b32_e64 v96, 0, v76, s7
	v_add_f32_e32 v76, v77, v95
	v_fma_f32 v77, s19, v112, -v89
	s_delay_alu instid0(VALU_DEP_1) | instskip(NEXT) | instid1(VALU_DEP_1)
	v_dual_add_f32 v76, v76, v96 :: v_dual_mul_f32 v77, 0x3fb8aa3b, v77
	v_add_f32_e32 v78, v76, v93
	s_delay_alu instid0(VALU_DEP_2) | instskip(SKIP_1) | instid1(VALU_DEP_2)
	v_exp_f32_e32 v88, v77
	v_cndmask_b32_e64 v77, 0, v80, s11
	v_dual_mul_f32 v79, 0x3fb8aa3b, v79 :: v_dual_add_f32 v78, v78, v97
	s_delay_alu instid0(VALU_DEP_1) | instskip(SKIP_3) | instid1(VALU_DEP_1)
	v_exp_f32_e32 v79, v79
	s_waitcnt_depctr 0xfff
	v_cndmask_b32_e64 v76, 0, v79, s10
	v_fma_f32 v79, s19, v115, -v89
	v_dual_add_f32 v80, v78, v76 :: v_dual_mul_f32 v79, 0x3fb8aa3b, v79
	v_cndmask_b32_e64 v78, 0, v88, s12
	v_mul_f32_e32 v88, 0x3fb8aa3b, v98
	s_delay_alu instid0(VALU_DEP_3) | instskip(NEXT) | instid1(VALU_DEP_4)
	v_add_f32_e32 v80, v80, v77
	v_exp_f32_e32 v98, v79
	v_cndmask_b32_e64 v79, 0, v86, s13
	s_delay_alu instid0(VALU_DEP_3) | instskip(NEXT) | instid1(VALU_DEP_2)
	v_exp_f32_e32 v88, v88
	v_add_f32_e32 v86, v80, v78
	v_cndmask_b32_e64 v80, 0, v87, s15
	s_delay_alu instid0(VALU_DEP_2) | instskip(SKIP_4) | instid1(VALU_DEP_2)
	v_add_f32_e32 v87, v86, v79
	s_waitcnt_depctr 0xfff
	v_cndmask_b32_e64 v86, 0, v98, s16
	v_add_f32_e32 v98, v87, v80
	v_cndmask_b32_e64 v87, 0, v88, s17
	v_add_f32_e32 v88, v98, v86
	s_delay_alu instid0(VALU_DEP_1) | instskip(SKIP_1) | instid1(VALU_DEP_1)
	v_add_f32_e32 v98, v88, v87
	v_cndmask_b32_e64 v88, 0, v100, s18
	v_add_f32_e32 v98, v98, v88
	ds_bpermute_b32 v99, v99, v98
	v_cmpx_gt_u32_e32 16, v75
	s_cbranch_execz .LBB573_14
; %bb.13:
	v_mul_u32_u24_e32 v75, 0x44, v73
	s_waitcnt lgkmcnt(0)
	v_add_f32_e32 v98, v98, v99
	s_delay_alu instid0(VALU_DEP_2) | instskip(NEXT) | instid1(VALU_DEP_1)
	v_lshl_add_u32 v75, v74, 2, v75
	v_add_nc_u32_e32 v75, 0x4000, v75
	ds_store_2addr_b32 v75, v89, v98 offset1:136
.LBB573_14:
	s_or_b32 exec_lo, exec_lo, s3
	v_lshlrev_b32_e32 v74, 2, v74
	s_waitcnt lgkmcnt(0)
	s_barrier
	buffer_gl0_inv
	v_cmp_eq_u32_e64 s3, 1, v73
	v_add_nc_u32_e32 v89, 0x4000, v74
	ds_load_2addr_b32 v[98:99], v89 offset1:17
	ds_load_2addr_b32 v[100:101], v89 offset0:34 offset1:51
	ds_load_2addr_b32 v[102:103], v89 offset0:68 offset1:85
	;; [unrolled: 1-line block ×4, first 2 shown]
	s_waitcnt lgkmcnt(4)
	v_max3_f32 v74, v98, 0xff7fffff, v99
	s_waitcnt lgkmcnt(3)
	s_delay_alu instid0(VALU_DEP_1) | instskip(SKIP_1) | instid1(VALU_DEP_1)
	v_max3_f32 v74, v74, v100, v101
	s_waitcnt lgkmcnt(2)
	v_max3_f32 v74, v74, v102, v103
	s_waitcnt lgkmcnt(1)
	s_delay_alu instid0(VALU_DEP_1) | instskip(NEXT) | instid1(VALU_DEP_1)
	v_max3_f32 v74, v74, v104, v105
	v_sub_f32_e32 v108, v99, v74
	v_sub_f32_e32 v75, v98, v74
	ds_load_2addr_b32 v[98:99], v89 offset0:170 offset1:187
	v_sub_f32_e32 v100, v100, v74
	v_dual_mul_f32 v108, 0x3fb8aa3b, v108 :: v_dual_mul_f32 v75, 0x3fb8aa3b, v75
	s_delay_alu instid0(VALU_DEP_2) | instskip(NEXT) | instid1(VALU_DEP_2)
	v_mul_f32_e32 v110, 0x3fb8aa3b, v100
	v_exp_f32_e32 v108, v108
	s_delay_alu instid0(VALU_DEP_2)
	v_exp_f32_e32 v109, v75
	v_sub_f32_e32 v75, v101, v74
	ds_load_2addr_b32 v[100:101], v89 offset0:204 offset1:221
	v_exp_f32_e32 v110, v110
	v_mul_f32_e32 v111, 0x3fb8aa3b, v75
	s_waitcnt lgkmcnt(2)
	v_fma_f32 v75, v109, v106, 0
	v_sub_f32_e32 v102, v102, v74
	s_delay_alu instid0(VALU_DEP_3) | instskip(NEXT) | instid1(VALU_DEP_2)
	v_exp_f32_e32 v111, v111
	v_dual_sub_f32 v106, v103, v74 :: v_dual_fmac_f32 v75, v108, v107
	s_waitcnt lgkmcnt(1)
	s_waitcnt_depctr 0xfff
	v_fmac_f32_e32 v75, v110, v98
	v_mul_f32_e32 v112, 0x3fb8aa3b, v102
	ds_load_2addr_b32 v[102:103], v89 offset0:238 offset1:255
	v_sub_f32_e32 v89, v104, v74
	v_dual_sub_f32 v98, v105, v74 :: v_dual_fmac_f32 v75, v111, v99
	v_mul_f32_e32 v104, 0x3fb8aa3b, v106
	v_exp_f32_e32 v106, v112
	s_delay_alu instid0(VALU_DEP_2)
	v_dual_mul_f32 v89, 0x3fb8aa3b, v89 :: v_dual_mul_f32 v98, 0x3fb8aa3b, v98
	s_waitcnt lgkmcnt(0)
	s_barrier
	buffer_gl0_inv
	v_exp_f32_e32 v89, v89
	v_exp_f32_e32 v98, v98
	v_fmac_f32_e32 v75, v106, v100
	v_exp_f32_e32 v104, v104
	s_waitcnt_depctr 0xfff
	v_fmac_f32_e32 v75, v104, v101
	s_delay_alu instid0(VALU_DEP_1) | instskip(NEXT) | instid1(VALU_DEP_1)
	v_fmac_f32_e32 v75, v89, v102
	v_fmac_f32_e32 v75, v98, v103
	s_delay_alu instid0(VALU_DEP_1) | instskip(NEXT) | instid1(VALU_DEP_1)
	v_add_f32_e32 v99, 0x358637bd, v75
	v_div_scale_f32 v100, null, v99, v99, 1.0
	v_div_scale_f32 v103, vcc_lo, 1.0, v99, 1.0
	s_delay_alu instid0(VALU_DEP_2) | instskip(SKIP_2) | instid1(VALU_DEP_1)
	v_rcp_f32_e32 v101, v100
	s_waitcnt_depctr 0xfff
	v_fma_f32 v102, -v100, v101, 1.0
	v_fmac_f32_e32 v101, v102, v101
	v_cndmask_b32_e64 v102, v109, v108, s3
	v_cmp_eq_u32_e64 s3, 2, v73
	s_delay_alu instid0(VALU_DEP_3) | instskip(NEXT) | instid1(VALU_DEP_2)
	v_mul_f32_e32 v105, v103, v101
	v_cndmask_b32_e64 v102, v102, v110, s3
	v_cmp_eq_u32_e64 s3, 3, v73
	s_delay_alu instid0(VALU_DEP_3) | instskip(NEXT) | instid1(VALU_DEP_2)
	v_fma_f32 v107, -v100, v105, v103
	v_cndmask_b32_e64 v102, v102, v111, s3
	v_cmp_eq_u32_e64 s3, 4, v73
	s_delay_alu instid0(VALU_DEP_3) | instskip(NEXT) | instid1(VALU_DEP_2)
	v_fmac_f32_e32 v105, v107, v101
	v_cndmask_b32_e64 v102, v102, v106, s3
	s_delay_alu instid0(VALU_DEP_2) | instskip(SKIP_1) | instid1(VALU_DEP_2)
	v_fma_f32 v100, -v100, v105, v103
	v_cmp_eq_u32_e64 s3, 5, v73
	v_div_fmas_f32 v100, v100, v101, v105
	s_delay_alu instid0(VALU_DEP_2) | instskip(SKIP_2) | instid1(VALU_DEP_3)
	v_cndmask_b32_e64 v102, v102, v104, s3
	v_cmp_eq_u32_e32 vcc_lo, 6, v73
	s_mov_b32 s3, exec_lo
	v_div_fixup_f32 v99, v100, v99, 1.0
	s_delay_alu instid0(VALU_DEP_3) | instskip(SKIP_1) | instid1(VALU_DEP_2)
	v_cndmask_b32_e32 v89, v102, v89, vcc_lo
	v_cmp_eq_u32_e32 vcc_lo, 7, v73
	v_cndmask_b32_e32 v89, v89, v98, vcc_lo
	s_delay_alu instid0(VALU_DEP_1) | instskip(NEXT) | instid1(VALU_DEP_1)
	v_mul_f32_e32 v89, v89, v99
	v_mul_f32_e32 v99, v89, v91
	;; [unrolled: 1-line block ×6, first 2 shown]
	v_and_b32_e32 v100, 0x7f800000, v99
	v_mul_f32_e32 v98, v89, v94
	v_mul_f32_e32 v94, v89, v90
	;; [unrolled: 1-line block ×3, first 2 shown]
                                        ; implicit-def: $vgpr90
	s_delay_alu instid0(VALU_DEP_4)
	v_cmpx_ne_u32_e32 0x7f800000, v100
	s_xor_b32 s3, exec_lo, s3
; %bb.15:
	v_bfe_u32 v90, v99, 16, 1
	s_delay_alu instid0(VALU_DEP_1)
	v_add3_u32 v90, v99, v90, 0x7fff
                                        ; implicit-def: $vgpr99
; %bb.16:
	s_and_not1_saveexec_b32 s3, s3
; %bb.17:
	v_and_b32_e32 v90, 0xffff, v99
	v_or_b32_e32 v92, 0x10000, v99
	s_delay_alu instid0(VALU_DEP_2) | instskip(NEXT) | instid1(VALU_DEP_2)
	v_cmp_eq_u32_e32 vcc_lo, 0, v90
	v_cndmask_b32_e32 v90, v92, v99, vcc_lo
; %bb.18:
	s_or_b32 exec_lo, exec_lo, s3
	v_and_b32_e32 v92, 0x7f800000, v94
	s_delay_alu instid0(VALU_DEP_1) | instskip(SKIP_1) | instid1(SALU_CYCLE_1)
	v_cmp_ne_u32_e32 vcc_lo, 0x7f800000, v92
                                        ; implicit-def: $vgpr92
	s_and_saveexec_b32 s3, vcc_lo
	s_xor_b32 s3, exec_lo, s3
; %bb.19:
	v_bfe_u32 v92, v94, 16, 1
	s_delay_alu instid0(VALU_DEP_1)
	v_add3_u32 v92, v94, v92, 0x7fff
                                        ; implicit-def: $vgpr94
; %bb.20:
	s_and_not1_saveexec_b32 s3, s3
; %bb.21:
	v_and_b32_e32 v92, 0xffff, v94
	v_or_b32_e32 v99, 0x10000, v94
	s_delay_alu instid0(VALU_DEP_2) | instskip(NEXT) | instid1(VALU_DEP_2)
	v_cmp_eq_u32_e32 vcc_lo, 0, v92
	v_cndmask_b32_e32 v92, v99, v94, vcc_lo
; %bb.22:
	s_or_b32 exec_lo, exec_lo, s3
	v_and_b32_e32 v94, 0x7f800000, v95
	s_delay_alu instid0(VALU_DEP_1) | instskip(SKIP_1) | instid1(SALU_CYCLE_1)
	v_cmp_ne_u32_e32 vcc_lo, 0x7f800000, v94
                                        ; implicit-def: $vgpr94
	s_and_saveexec_b32 s3, vcc_lo
	s_xor_b32 s3, exec_lo, s3
; %bb.23:
	v_bfe_u32 v94, v95, 16, 1
	s_delay_alu instid0(VALU_DEP_1)
	v_add3_u32 v94, v95, v94, 0x7fff
                                        ; implicit-def: $vgpr95
; %bb.24:
	s_and_not1_saveexec_b32 s3, s3
; %bb.25:
	v_and_b32_e32 v94, 0xffff, v95
	v_or_b32_e32 v99, 0x10000, v95
	s_delay_alu instid0(VALU_DEP_2) | instskip(NEXT) | instid1(VALU_DEP_2)
	v_cmp_eq_u32_e32 vcc_lo, 0, v94
	v_cndmask_b32_e32 v94, v99, v95, vcc_lo
; %bb.26:
	s_or_b32 exec_lo, exec_lo, s3
	v_and_b32_e32 v95, 0x7f800000, v98
	s_delay_alu instid0(VALU_DEP_1) | instskip(SKIP_1) | instid1(SALU_CYCLE_1)
	v_cmp_ne_u32_e32 vcc_lo, 0x7f800000, v95
                                        ; implicit-def: $vgpr95
	s_and_saveexec_b32 s3, vcc_lo
	s_xor_b32 s3, exec_lo, s3
; %bb.27:
	v_bfe_u32 v95, v98, 16, 1
	s_delay_alu instid0(VALU_DEP_1)
	v_add3_u32 v95, v98, v95, 0x7fff
                                        ; implicit-def: $vgpr98
; %bb.28:
	s_and_not1_saveexec_b32 s3, s3
; %bb.29:
	v_and_b32_e32 v95, 0xffff, v98
	v_or_b32_e32 v99, 0x10000, v98
	s_delay_alu instid0(VALU_DEP_2) | instskip(NEXT) | instid1(VALU_DEP_2)
	v_cmp_eq_u32_e32 vcc_lo, 0, v95
	v_cndmask_b32_e32 v95, v99, v98, vcc_lo
; %bb.30:
	s_or_b32 exec_lo, exec_lo, s3
	v_and_b32_e32 v98, 0x7f800000, v97
	s_delay_alu instid0(VALU_DEP_1) | instskip(SKIP_1) | instid1(SALU_CYCLE_1)
	v_cmp_ne_u32_e32 vcc_lo, 0x7f800000, v98
                                        ; implicit-def: $vgpr98
	s_and_saveexec_b32 s3, vcc_lo
	s_xor_b32 s3, exec_lo, s3
; %bb.31:
	v_bfe_u32 v98, v97, 16, 1
	s_delay_alu instid0(VALU_DEP_1)
	v_add3_u32 v98, v97, v98, 0x7fff
                                        ; implicit-def: $vgpr97
; %bb.32:
	s_and_not1_saveexec_b32 s3, s3
; %bb.33:
	v_and_b32_e32 v98, 0xffff, v97
	v_or_b32_e32 v99, 0x10000, v97
	s_delay_alu instid0(VALU_DEP_2) | instskip(NEXT) | instid1(VALU_DEP_2)
	v_cmp_eq_u32_e32 vcc_lo, 0, v98
	v_cndmask_b32_e32 v98, v99, v97, vcc_lo
; %bb.34:
	s_or_b32 exec_lo, exec_lo, s3
	v_and_b32_e32 v97, 0x7f800000, v96
	s_delay_alu instid0(VALU_DEP_1) | instskip(SKIP_1) | instid1(SALU_CYCLE_1)
	v_cmp_ne_u32_e32 vcc_lo, 0x7f800000, v97
                                        ; implicit-def: $vgpr97
	s_and_saveexec_b32 s3, vcc_lo
	s_xor_b32 s3, exec_lo, s3
; %bb.35:
	v_bfe_u32 v97, v96, 16, 1
	s_delay_alu instid0(VALU_DEP_1)
	v_add3_u32 v97, v96, v97, 0x7fff
                                        ; implicit-def: $vgpr96
; %bb.36:
	s_and_not1_saveexec_b32 s3, s3
; %bb.37:
	v_and_b32_e32 v97, 0xffff, v96
	v_or_b32_e32 v99, 0x10000, v96
	s_delay_alu instid0(VALU_DEP_2) | instskip(NEXT) | instid1(VALU_DEP_2)
	v_cmp_eq_u32_e32 vcc_lo, 0, v97
	v_cndmask_b32_e32 v97, v99, v96, vcc_lo
; %bb.38:
	s_or_b32 exec_lo, exec_lo, s3
	v_and_b32_e32 v96, 0x7f800000, v93
	s_delay_alu instid0(VALU_DEP_1) | instskip(SKIP_1) | instid1(SALU_CYCLE_1)
	v_cmp_ne_u32_e32 vcc_lo, 0x7f800000, v96
                                        ; implicit-def: $vgpr96
	s_and_saveexec_b32 s3, vcc_lo
	s_xor_b32 s3, exec_lo, s3
; %bb.39:
	v_bfe_u32 v96, v93, 16, 1
	s_delay_alu instid0(VALU_DEP_1)
	v_add3_u32 v96, v93, v96, 0x7fff
                                        ; implicit-def: $vgpr93
; %bb.40:
	s_and_not1_saveexec_b32 s3, s3
; %bb.41:
	v_and_b32_e32 v96, 0xffff, v93
	v_or_b32_e32 v99, 0x10000, v93
	s_delay_alu instid0(VALU_DEP_2) | instskip(NEXT) | instid1(VALU_DEP_2)
	v_cmp_eq_u32_e32 vcc_lo, 0, v96
	v_cndmask_b32_e32 v96, v99, v93, vcc_lo
; %bb.42:
	s_or_b32 exec_lo, exec_lo, s3
	v_and_b32_e32 v93, 0x7f800000, v91
	s_delay_alu instid0(VALU_DEP_1) | instskip(SKIP_1) | instid1(SALU_CYCLE_1)
	v_cmp_ne_u32_e32 vcc_lo, 0x7f800000, v93
                                        ; implicit-def: $vgpr93
	s_and_saveexec_b32 s3, vcc_lo
	s_xor_b32 s3, exec_lo, s3
; %bb.43:
	v_bfe_u32 v93, v91, 16, 1
	s_delay_alu instid0(VALU_DEP_1)
	v_add3_u32 v93, v91, v93, 0x7fff
                                        ; implicit-def: $vgpr91
; %bb.44:
	s_and_not1_saveexec_b32 s3, s3
; %bb.45:
	v_and_b32_e32 v93, 0xffff, v91
	v_or_b32_e32 v99, 0x10000, v91
	s_delay_alu instid0(VALU_DEP_2) | instskip(NEXT) | instid1(VALU_DEP_2)
	v_cmp_eq_u32_e32 vcc_lo, 0, v93
	v_cndmask_b32_e32 v93, v99, v91, vcc_lo
; %bb.46:
	s_or_b32 exec_lo, exec_lo, s3
	s_load_b64 s[34:35], s[0:1], 0x94
	v_lshlrev_b32_e32 v91, 4, v83
	s_delay_alu instid0(VALU_DEP_2)
	v_perm_b32 v99, v93, v96, 0x7060302
	v_dual_mul_f32 v88, v89, v88 :: v_dual_lshlrev_b32 v93, 11, v73
	v_perm_b32 v96, v92, v90, 0x7060302
	v_mul_f32_e32 v92, v89, v76
	v_perm_b32 v98, v97, v98, 0x7060302
	v_perm_b32 v97, v95, v94, 0x7060302
	v_or3_b32 v76, v91, v93, v85
	v_mul_f32_e32 v87, v89, v87
	v_dual_mul_f32 v86, v89, v86 :: v_dual_and_b32 v93, 0x7f800000, v92
	v_mul_f32_e32 v80, v89, v80
	v_mul_f32_e32 v90, v89, v79
	;; [unrolled: 1-line block ×4, first 2 shown]
	s_mov_b32 s3, exec_lo
	ds_store_b128 v76, v[96:99]
                                        ; implicit-def: $vgpr77
	v_cmpx_ne_u32_e32 0x7f800000, v93
	s_xor_b32 s3, exec_lo, s3
; %bb.47:
	v_bfe_u32 v77, v92, 16, 1
	s_delay_alu instid0(VALU_DEP_1)
	v_add3_u32 v77, v92, v77, 0x7fff
                                        ; implicit-def: $vgpr92
; %bb.48:
	s_and_not1_saveexec_b32 s3, s3
; %bb.49:
	v_and_b32_e32 v77, 0xffff, v92
	v_or_b32_e32 v78, 0x10000, v92
	s_delay_alu instid0(VALU_DEP_2) | instskip(NEXT) | instid1(VALU_DEP_2)
	v_cmp_eq_u32_e32 vcc_lo, 0, v77
	v_cndmask_b32_e32 v77, v78, v92, vcc_lo
; %bb.50:
	s_or_b32 exec_lo, exec_lo, s3
	v_and_b32_e32 v78, 0x7f800000, v79
	s_delay_alu instid0(VALU_DEP_1) | instskip(SKIP_1) | instid1(SALU_CYCLE_1)
	v_cmp_ne_u32_e32 vcc_lo, 0x7f800000, v78
                                        ; implicit-def: $vgpr78
	s_and_saveexec_b32 s3, vcc_lo
	s_xor_b32 s3, exec_lo, s3
; %bb.51:
	v_bfe_u32 v78, v79, 16, 1
	s_delay_alu instid0(VALU_DEP_1)
	v_add3_u32 v78, v79, v78, 0x7fff
                                        ; implicit-def: $vgpr79
; %bb.52:
	s_and_not1_saveexec_b32 s3, s3
; %bb.53:
	v_and_b32_e32 v78, 0xffff, v79
	v_or_b32_e32 v89, 0x10000, v79
	s_delay_alu instid0(VALU_DEP_2) | instskip(NEXT) | instid1(VALU_DEP_2)
	v_cmp_eq_u32_e32 vcc_lo, 0, v78
	v_cndmask_b32_e32 v78, v89, v79, vcc_lo
; %bb.54:
	s_or_b32 exec_lo, exec_lo, s3
	v_and_b32_e32 v79, 0x7f800000, v91
	s_delay_alu instid0(VALU_DEP_1) | instskip(SKIP_1) | instid1(SALU_CYCLE_1)
	v_cmp_ne_u32_e32 vcc_lo, 0x7f800000, v79
                                        ; implicit-def: $vgpr79
	s_and_saveexec_b32 s3, vcc_lo
	s_xor_b32 s3, exec_lo, s3
; %bb.55:
	v_bfe_u32 v79, v91, 16, 1
	s_delay_alu instid0(VALU_DEP_1)
	v_add3_u32 v79, v91, v79, 0x7fff
                                        ; implicit-def: $vgpr91
; %bb.56:
	s_and_not1_saveexec_b32 s3, s3
; %bb.57:
	v_and_b32_e32 v79, 0xffff, v91
	v_or_b32_e32 v89, 0x10000, v91
	s_delay_alu instid0(VALU_DEP_2) | instskip(NEXT) | instid1(VALU_DEP_2)
	v_cmp_eq_u32_e32 vcc_lo, 0, v79
	v_cndmask_b32_e32 v79, v89, v91, vcc_lo
; %bb.58:
	s_or_b32 exec_lo, exec_lo, s3
	v_and_b32_e32 v89, 0x7f800000, v90
	s_delay_alu instid0(VALU_DEP_1) | instskip(SKIP_1) | instid1(SALU_CYCLE_1)
	v_cmp_ne_u32_e32 vcc_lo, 0x7f800000, v89
                                        ; implicit-def: $vgpr89
	s_and_saveexec_b32 s3, vcc_lo
	s_xor_b32 s3, exec_lo, s3
; %bb.59:
	v_bfe_u32 v89, v90, 16, 1
	s_delay_alu instid0(VALU_DEP_1)
	v_add3_u32 v89, v90, v89, 0x7fff
                                        ; implicit-def: $vgpr90
; %bb.60:
	s_and_not1_saveexec_b32 s3, s3
; %bb.61:
	v_and_b32_e32 v89, 0xffff, v90
	v_or_b32_e32 v91, 0x10000, v90
	s_delay_alu instid0(VALU_DEP_2) | instskip(NEXT) | instid1(VALU_DEP_2)
	v_cmp_eq_u32_e32 vcc_lo, 0, v89
	v_cndmask_b32_e32 v89, v91, v90, vcc_lo
; %bb.62:
	s_or_b32 exec_lo, exec_lo, s3
	v_and_b32_e32 v90, 0x7f800000, v80
	s_delay_alu instid0(VALU_DEP_1) | instskip(SKIP_1) | instid1(SALU_CYCLE_1)
	v_cmp_ne_u32_e32 vcc_lo, 0x7f800000, v90
                                        ; implicit-def: $vgpr90
	s_and_saveexec_b32 s3, vcc_lo
	s_xor_b32 s3, exec_lo, s3
; %bb.63:
	v_bfe_u32 v90, v80, 16, 1
	s_delay_alu instid0(VALU_DEP_1)
	v_add3_u32 v90, v80, v90, 0x7fff
                                        ; implicit-def: $vgpr80
; %bb.64:
	s_and_not1_saveexec_b32 s3, s3
; %bb.65:
	v_and_b32_e32 v90, 0xffff, v80
	v_or_b32_e32 v91, 0x10000, v80
	s_delay_alu instid0(VALU_DEP_2) | instskip(NEXT) | instid1(VALU_DEP_2)
	v_cmp_eq_u32_e32 vcc_lo, 0, v90
	v_cndmask_b32_e32 v90, v91, v80, vcc_lo
; %bb.66:
	s_or_b32 exec_lo, exec_lo, s3
	v_and_b32_e32 v80, 0x7f800000, v86
	s_delay_alu instid0(VALU_DEP_1) | instskip(SKIP_1) | instid1(SALU_CYCLE_1)
	v_cmp_ne_u32_e32 vcc_lo, 0x7f800000, v80
                                        ; implicit-def: $vgpr80
	s_and_saveexec_b32 s3, vcc_lo
	s_xor_b32 s3, exec_lo, s3
; %bb.67:
	v_bfe_u32 v80, v86, 16, 1
	s_delay_alu instid0(VALU_DEP_1)
	v_add3_u32 v80, v86, v80, 0x7fff
                                        ; implicit-def: $vgpr86
; %bb.68:
	s_and_not1_saveexec_b32 s3, s3
; %bb.69:
	v_and_b32_e32 v80, 0xffff, v86
	v_or_b32_e32 v91, 0x10000, v86
	s_delay_alu instid0(VALU_DEP_2) | instskip(NEXT) | instid1(VALU_DEP_2)
	v_cmp_eq_u32_e32 vcc_lo, 0, v80
	v_cndmask_b32_e32 v80, v91, v86, vcc_lo
; %bb.70:
	s_or_b32 exec_lo, exec_lo, s3
	v_and_b32_e32 v86, 0x7f800000, v87
	s_delay_alu instid0(VALU_DEP_1) | instskip(SKIP_1) | instid1(SALU_CYCLE_1)
	v_cmp_ne_u32_e32 vcc_lo, 0x7f800000, v86
                                        ; implicit-def: $vgpr86
	s_and_saveexec_b32 s3, vcc_lo
	s_xor_b32 s3, exec_lo, s3
; %bb.71:
	v_bfe_u32 v86, v87, 16, 1
	s_delay_alu instid0(VALU_DEP_1)
	v_add3_u32 v86, v87, v86, 0x7fff
                                        ; implicit-def: $vgpr87
; %bb.72:
	s_and_not1_saveexec_b32 s3, s3
; %bb.73:
	v_and_b32_e32 v86, 0xffff, v87
	v_or_b32_e32 v91, 0x10000, v87
	s_delay_alu instid0(VALU_DEP_2) | instskip(NEXT) | instid1(VALU_DEP_2)
	v_cmp_eq_u32_e32 vcc_lo, 0, v86
	v_cndmask_b32_e32 v86, v91, v87, vcc_lo
; %bb.74:
	s_or_b32 exec_lo, exec_lo, s3
	v_and_b32_e32 v87, 0x7f800000, v88
	s_delay_alu instid0(VALU_DEP_1) | instskip(SKIP_1) | instid1(SALU_CYCLE_1)
	v_cmp_ne_u32_e32 vcc_lo, 0x7f800000, v87
                                        ; implicit-def: $vgpr87
	s_and_saveexec_b32 s3, vcc_lo
	s_xor_b32 s3, exec_lo, s3
; %bb.75:
	v_bfe_u32 v87, v88, 16, 1
	s_delay_alu instid0(VALU_DEP_1)
	v_add3_u32 v87, v88, v87, 0x7fff
                                        ; implicit-def: $vgpr88
; %bb.76:
	s_and_not1_saveexec_b32 s3, s3
; %bb.77:
	v_and_b32_e32 v87, 0xffff, v88
	v_or_b32_e32 v91, 0x10000, v88
	s_delay_alu instid0(VALU_DEP_2) | instskip(NEXT) | instid1(VALU_DEP_2)
	v_cmp_eq_u32_e32 vcc_lo, 0, v87
	v_cndmask_b32_e32 v87, v91, v88, vcc_lo
; %bb.78:
	s_or_b32 exec_lo, exec_lo, s3
	s_delay_alu instid0(VALU_DEP_1)
	v_perm_b32 v94, v87, v86, 0x7060302
	v_perm_b32 v93, v80, v90, 0x7060302
	;; [unrolled: 1-line block ×4, first 2 shown]
	v_lshl_or_b32 v90, v73, 11, v85
	ds_store_b128 v76, v[91:94] offset:1024
	s_waitcnt lgkmcnt(0)
	s_barrier
	buffer_gl0_inv
	ds_load_b128 v[77:80], v90
	ds_load_b128 v[91:94], v90 offset:16
	s_waitcnt lgkmcnt(1)
	v_lshrrev_b32_e32 v73, 16, v77
	s_waitcnt lgkmcnt(0)
	v_lshrrev_b32_e32 v108, 16, v94
	v_lshlrev_b32_e32 v87, 2, v83
	v_lshrrev_b32_e32 v99, 16, v91
	v_lshrrev_b32_e32 v103, 16, v78
	;; [unrolled: 1-line block ×4, first 2 shown]
	v_or_b32_e32 v88, 1, v87
	v_cmp_eq_u32_e32 vcc_lo, 1, v87
	v_cmp_eq_u32_e64 s4, 2, v87
	v_cmp_eq_u32_e64 s7, 3, v87
	;; [unrolled: 1-line block ×4, first 2 shown]
	v_cndmask_b32_e32 v89, v77, v73, vcc_lo
	v_cndmask_b32_e32 v95, v91, v99, vcc_lo
	v_cmp_eq_u32_e64 s6, 2, v88
	v_cmp_eq_u32_e64 s8, 3, v88
	v_cndmask_b32_e64 v96, v77, v73, s3
	v_cndmask_b32_e64 v89, v89, v78, s4
	;; [unrolled: 1-line block ×3, first 2 shown]
	v_or_b32_e32 v86, 2, v87
	v_lshrrev_b32_e32 v107, 16, v93
	v_cndmask_b32_e64 v96, v96, v78, s6
	v_cndmask_b32_e64 v89, v89, v103, s7
	;; [unrolled: 1-line block ×4, first 2 shown]
	v_cmp_eq_u32_e64 s10, 5, v87
	v_cndmask_b32_e64 v96, v96, v103, s8
	v_cndmask_b32_e64 v89, v89, v79, s9
	;; [unrolled: 1-line block ×3, first 2 shown]
	v_cmp_eq_u32_e64 s11, 4, v88
	v_cmp_eq_u32_e64 s5, 1, v86
	v_cndmask_b32_e64 v97, v97, v92, s6
	v_cndmask_b32_e64 v89, v89, v104, s10
	v_cmp_eq_u32_e64 s12, 6, v87
	v_cndmask_b32_e64 v96, v96, v79, s11
	v_cndmask_b32_e64 v95, v95, v107, s10
	v_cmp_eq_u32_e64 s13, 5, v88
	v_lshrrev_b32_e32 v105, 16, v80
	v_cndmask_b32_e64 v98, v77, v73, s5
	v_cndmask_b32_e64 v97, v97, v106, s8
	;; [unrolled: 1-line block ×4, first 2 shown]
	v_cmp_eq_u32_e64 s15, 7, v87
	v_cndmask_b32_e64 v95, v95, v94, s12
	v_cmp_eq_u32_e64 s16, 6, v88
	v_cmp_eq_u32_e64 s17, 2, v86
	v_cndmask_b32_e64 v97, v97, v93, s11
	v_cndmask_b32_e64 v109, v89, v105, s15
	;; [unrolled: 1-line block ×6, first 2 shown]
	v_cmp_eq_u32_e64 s18, 7, v88
	v_cmp_eq_u32_e64 s19, 3, v86
	v_cmp_eq_u32_e64 s20, 4, v86
	v_cmp_eq_u32_e64 s22, 5, v86
	v_cndmask_b32_e64 v95, v95, v92, s17
	v_cndmask_b32_e64 v111, v96, v105, s18
	;; [unrolled: 1-line block ×4, first 2 shown]
	v_or_b32_e32 v89, 3, v87
	v_cndmask_b32_e64 v101, v95, v106, s19
	v_cmp_eq_u32_e64 s24, 6, v86
	v_cndmask_b32_e64 v112, v96, v94, s16
	v_cndmask_b32_e64 v100, v97, v79, s20
	v_cmp_eq_u32_e64 s21, 1, v89
	ds_load_b128 v[95:98], v90 offset:1024
	v_cmp_eq_u32_e64 s23, 2, v89
	v_cmp_eq_u32_e64 s25, 3, v89
	v_cndmask_b32_e64 v113, v100, v104, s22
	v_cndmask_b32_e64 v73, v77, v73, s21
	;; [unrolled: 1-line block ×4, first 2 shown]
	ds_load_b128 v[99:102], v90 offset:1040
	v_cmp_eq_u32_e64 s26, 4, v89
	v_cndmask_b32_e64 v73, v73, v78, s23
	v_cmp_eq_u32_e64 s27, 7, v86
	v_cndmask_b32_e64 v78, v91, v92, s23
	v_cndmask_b32_e64 v92, v113, v80, s24
	v_cmp_eq_u32_e64 s28, 5, v89
	v_cndmask_b32_e64 v73, v73, v103, s25
	v_cndmask_b32_e64 v77, v77, v107, s22
	;; [unrolled: 1-line block ×3, first 2 shown]
	v_cmp_eq_u32_e64 s29, 6, v89
	v_cndmask_b32_e64 v91, v112, v108, s18
	v_cndmask_b32_e64 v73, v73, v79, s26
	s_waitcnt lgkmcnt(1)
	v_lshrrev_b32_e32 v103, 16, v95
	v_cndmask_b32_e64 v78, v78, v93, s26
	v_cndmask_b32_e64 v79, v92, v105, s27
	;; [unrolled: 1-line block ×4, first 2 shown]
	v_cndmask_b32_e32 v92, v95, v103, vcc_lo
	v_cndmask_b32_e64 v78, v78, v107, s28
	s_waitcnt lgkmcnt(0)
	v_lshrrev_b32_e32 v93, 16, v99
	v_lshrrev_b32_e32 v104, 16, v96
	v_cndmask_b32_e64 v106, v95, v103, s3
	v_cndmask_b32_e64 v92, v92, v96, s4
	;; [unrolled: 1-line block ×3, first 2 shown]
	v_cndmask_b32_e32 v107, v99, v93, vcc_lo
	v_cndmask_b32_e64 v78, v78, v94, s29
	v_cmp_eq_u32_e32 vcc_lo, 7, v89
	v_cndmask_b32_e64 v80, v92, v104, s7
	v_cndmask_b32_e64 v92, v106, v96, s6
	;; [unrolled: 1-line block ×3, first 2 shown]
	v_lshrrev_b32_e32 v106, 16, v100
	v_cndmask_b32_e64 v77, v77, v108, s27
	v_cndmask_b32_e32 v78, v78, v108, vcc_lo
	v_lshrrev_b32_e32 v108, 16, v101
	v_cndmask_b32_e64 v80, v80, v97, s9
	v_cndmask_b32_e64 v94, v94, v106, s7
	v_lshrrev_b32_e32 v107, 16, v97
	v_cndmask_b32_e32 v73, v73, v105, vcc_lo
	v_perm_b32 v79, v77, v79, 0x5040100
	v_cndmask_b32_e64 v92, v92, v104, s8
	v_cndmask_b32_e64 v94, v94, v101, s9
	;; [unrolled: 1-line block ×3, first 2 shown]
	v_perm_b32 v80, v78, v73, 0x5040100
	v_perm_b32 v78, v91, v111, 0x5040100
	v_cndmask_b32_e64 v111, v99, v93, s5
	v_cndmask_b32_e64 v94, v94, v108, s10
	;; [unrolled: 1-line block ×3, first 2 shown]
	s_delay_alu instid0(VALU_DEP_2)
	v_cndmask_b32_e64 v77, v94, v102, s12
	v_cndmask_b32_e64 v94, v95, v103, s5
	;; [unrolled: 1-line block ×22, first 2 shown]
	v_lshrrev_b32_e32 v105, 16, v98
	v_cndmask_b32_e64 v94, v94, v107, s22
	v_cndmask_b32_e64 v95, v95, v107, s28
	;; [unrolled: 1-line block ×7, first 2 shown]
	v_lshrrev_b32_e32 v92, 16, v102
	v_cndmask_b32_e64 v94, v94, v98, s24
	v_cndmask_b32_e64 v95, v95, v98, s29
	;; [unrolled: 1-line block ×7, first 2 shown]
	v_dual_cndmask_b32 v94, v95, v105 :: v_dual_cndmask_b32 v95, v96, v92
	v_cndmask_b32_e64 v96, v97, v92, s27
	v_cndmask_b32_e64 v97, v93, v92, s18
	;; [unrolled: 1-line block ×3, first 2 shown]
	v_perm_b32 v77, v110, v109, 0x5040100
	v_perm_b32 v94, v95, v94, 0x5040100
	;; [unrolled: 1-line block ×5, first 2 shown]
	s_lshl_b32 s8, s35, 4
	s_mov_b32 s3, exec_lo
	ds_store_b128 v76, v[77:80]
	ds_store_b128 v76, v[91:94] offset:1024
	v_cmpx_gt_u32_e32 16, v0
	s_cbranch_execz .LBB573_80
; %bb.79:
	v_or_b32_e32 v73, s31, v0
	s_load_b128 s[4:7], s[0:1], 0x58
	s_delay_alu instid0(VALU_DEP_1) | instskip(NEXT) | instid1(VALU_DEP_1)
	v_mad_u64_u32 v[76:77], null, s8, s30, v[73:74]
	v_mad_u64_u32 v[77:78], null, v76, s34, s[14:15]
	s_delay_alu instid0(VALU_DEP_1) | instskip(NEXT) | instid1(VALU_DEP_1)
	v_ashrrev_i32_e32 v78, 31, v77
	v_lshlrev_b64 v[76:77], 2, v[77:78]
	s_waitcnt lgkmcnt(0)
	s_delay_alu instid0(VALU_DEP_1) | instskip(NEXT) | instid1(VALU_DEP_2)
	v_add_co_u32 v78, vcc_lo, s6, v76
	v_add_co_ci_u32_e32 v79, vcc_lo, s7, v77, vcc_lo
	v_add_co_u32 v76, vcc_lo, s4, v76
	v_add_co_ci_u32_e32 v77, vcc_lo, s5, v77, vcc_lo
	global_store_b32 v[78:79], v74, off
	global_store_b32 v[76:77], v75, off
.LBB573_80:
	s_or_b32 exec_lo, exec_lo, s3
	s_waitcnt lgkmcnt(0)
	s_waitcnt_vscnt null, 0x0
	s_barrier
	buffer_gl0_inv
	ds_load_b128 v[91:94], v85
	ds_load_b128 v[95:98], v85 offset:16
	ds_load_b128 v[103:106], v85 offset:1040
	;; [unrolled: 1-line block ×3, first 2 shown]
	v_mov_b32_e32 v73, 0
	ds_load_b128 v[111:114], v85 offset:2064
	ds_load_b128 v[107:110], v85 offset:2048
	;; [unrolled: 1-line block ×6, first 2 shown]
	v_mov_b32_e32 v74, v73
	v_mov_b32_e32 v75, v73
	;; [unrolled: 1-line block ×7, first 2 shown]
	s_waitcnt lgkmcnt(8)
	s_delay_alu instid0(VALU_DEP_1)
	v_wmma_f32_16x16x16_bf16 v[73:80], v[65:72], v[91:98], v[73:80]
	ds_load_b128 v[69:72], v85 offset:5136
	ds_load_b128 v[65:68], v85 offset:5120
	;; [unrolled: 1-line block ×4, first 2 shown]
	s_waitcnt lgkmcnt(10)
	v_wmma_f32_16x16x16_bf16 v[73:80], v[57:64], v[99:106], v[73:80]
	s_waitcnt lgkmcnt(8)
	s_delay_alu instid0(VALU_DEP_1)
	v_wmma_f32_16x16x16_bf16 v[73:80], v[57:64], v[107:114], v[73:80]
	ds_load_b128 v[61:64], v85 offset:7184
	ds_load_b128 v[57:60], v85 offset:7168
	;; [unrolled: 1-line block ×4, first 2 shown]
	s_waitcnt lgkmcnt(10)
	v_wmma_f32_16x16x16_bf16 v[73:80], v[49:56], v[115:122], v[73:80]
	s_waitcnt lgkmcnt(8)
	s_delay_alu instid0(VALU_DEP_1)
	v_wmma_f32_16x16x16_bf16 v[73:80], v[49:56], v[123:130], v[73:80]
	ds_load_b128 v[53:56], v85 offset:9232
	ds_load_b128 v[49:52], v85 offset:9216
	s_waitcnt lgkmcnt(8)
	v_wmma_f32_16x16x16_bf16 v[73:80], v[41:48], v[65:72], v[73:80]
	ds_load_b128 v[69:72], v85 offset:10256
	ds_load_b128 v[65:68], v85 offset:10240
	s_waitcnt lgkmcnt(8)
	;; [unrolled: 4-line block ×3, first 2 shown]
	v_wmma_f32_16x16x16_bf16 v[73:80], v[9:16], v[57:64], v[73:80]
	s_waitcnt lgkmcnt(6)
	s_delay_alu instid0(VALU_DEP_1)
	v_wmma_f32_16x16x16_bf16 v[73:80], v[9:16], v[99:106], v[73:80]
	ds_load_b128 v[13:16], v85 offset:12304
	ds_load_b128 v[9:12], v85 offset:12288
	s_waitcnt lgkmcnt(6)
	v_wmma_f32_16x16x16_bf16 v[73:80], v[1:8], v[49:56], v[73:80]
	ds_load_b128 v[53:56], v85 offset:13328
	ds_load_b128 v[49:52], v85 offset:13312
	s_waitcnt lgkmcnt(6)
	;; [unrolled: 4-line block ×4, first 2 shown]
	v_wmma_f32_16x16x16_bf16 v[73:80], v[33:40], v[9:16], v[73:80]
	s_waitcnt lgkmcnt(4)
	s_delay_alu instid0(VALU_DEP_1) | instskip(SKIP_1) | instid1(VALU_DEP_1)
	v_wmma_f32_16x16x16_bf16 v[73:80], v[25:32], v[49:56], v[73:80]
	s_waitcnt lgkmcnt(2)
	v_wmma_f32_16x16x16_bf16 v[73:80], v[25:32], v[1:8], v[73:80]
	s_waitcnt lgkmcnt(0)
	s_delay_alu instid0(VALU_DEP_1) | instskip(NEXT) | instid1(VALU_DEP_1)
	v_wmma_f32_16x16x16_bf16 v[73:80], v[17:24], v[41:48], v[73:80]
	v_and_b32_e32 v1, 0x7f800000, v73
	s_delay_alu instid0(VALU_DEP_1) | instskip(SKIP_1) | instid1(SALU_CYCLE_1)
	v_cmp_ne_u32_e32 vcc_lo, 0x7f800000, v1
                                        ; implicit-def: $vgpr1
	s_and_saveexec_b32 s3, vcc_lo
	s_xor_b32 s3, exec_lo, s3
; %bb.81:
	v_bfe_u32 v1, v73, 16, 1
	s_delay_alu instid0(VALU_DEP_1)
	v_add3_u32 v1, v73, v1, 0x7fff
; %bb.82:
	s_and_not1_saveexec_b32 s3, s3
; %bb.83:
	v_and_b32_e32 v1, 0xffff, v73
	v_or_b32_e32 v2, 0x10000, v73
	s_delay_alu instid0(VALU_DEP_2) | instskip(NEXT) | instid1(VALU_DEP_2)
	v_cmp_eq_u32_e32 vcc_lo, 0, v1
	v_cndmask_b32_e32 v1, v2, v73, vcc_lo
; %bb.84:
	s_or_b32 exec_lo, exec_lo, s3
	v_and_b32_e32 v2, 0x7f800000, v74
	s_delay_alu instid0(VALU_DEP_1) | instskip(SKIP_1) | instid1(SALU_CYCLE_1)
	v_cmp_ne_u32_e32 vcc_lo, 0x7f800000, v2
                                        ; implicit-def: $vgpr2
	s_and_saveexec_b32 s3, vcc_lo
	s_xor_b32 s3, exec_lo, s3
; %bb.85:
	v_bfe_u32 v2, v74, 16, 1
	s_delay_alu instid0(VALU_DEP_1)
	v_add3_u32 v2, v74, v2, 0x7fff
; %bb.86:
	s_and_not1_saveexec_b32 s3, s3
; %bb.87:
	v_and_b32_e32 v2, 0xffff, v74
	v_or_b32_e32 v3, 0x10000, v74
	s_delay_alu instid0(VALU_DEP_2) | instskip(NEXT) | instid1(VALU_DEP_2)
	v_cmp_eq_u32_e32 vcc_lo, 0, v2
	v_cndmask_b32_e32 v2, v3, v74, vcc_lo
; %bb.88:
	s_or_b32 exec_lo, exec_lo, s3
	v_and_b32_e32 v3, 0x7f800000, v75
	s_delay_alu instid0(VALU_DEP_1) | instskip(SKIP_1) | instid1(SALU_CYCLE_1)
	v_cmp_ne_u32_e32 vcc_lo, 0x7f800000, v3
                                        ; implicit-def: $vgpr3
	s_and_saveexec_b32 s3, vcc_lo
	s_xor_b32 s3, exec_lo, s3
; %bb.89:
	v_bfe_u32 v3, v75, 16, 1
	s_delay_alu instid0(VALU_DEP_1)
	v_add3_u32 v3, v75, v3, 0x7fff
; %bb.90:
	s_and_not1_saveexec_b32 s3, s3
; %bb.91:
	v_and_b32_e32 v3, 0xffff, v75
	v_or_b32_e32 v4, 0x10000, v75
	s_delay_alu instid0(VALU_DEP_2) | instskip(NEXT) | instid1(VALU_DEP_2)
	v_cmp_eq_u32_e32 vcc_lo, 0, v3
	v_cndmask_b32_e32 v3, v4, v75, vcc_lo
; %bb.92:
	s_or_b32 exec_lo, exec_lo, s3
	v_and_b32_e32 v4, 0x7f800000, v76
	s_delay_alu instid0(VALU_DEP_1) | instskip(SKIP_1) | instid1(SALU_CYCLE_1)
	v_cmp_ne_u32_e32 vcc_lo, 0x7f800000, v4
                                        ; implicit-def: $vgpr4
	s_and_saveexec_b32 s3, vcc_lo
	s_xor_b32 s3, exec_lo, s3
; %bb.93:
	v_bfe_u32 v4, v76, 16, 1
	s_delay_alu instid0(VALU_DEP_1)
	v_add3_u32 v4, v76, v4, 0x7fff
; %bb.94:
	s_and_not1_saveexec_b32 s3, s3
; %bb.95:
	v_and_b32_e32 v4, 0xffff, v76
	v_or_b32_e32 v5, 0x10000, v76
	s_delay_alu instid0(VALU_DEP_2) | instskip(NEXT) | instid1(VALU_DEP_2)
	v_cmp_eq_u32_e32 vcc_lo, 0, v4
	v_cndmask_b32_e32 v4, v5, v76, vcc_lo
; %bb.96:
	s_or_b32 exec_lo, exec_lo, s3
	v_and_b32_e32 v5, 0x7f800000, v77
	s_delay_alu instid0(VALU_DEP_1) | instskip(SKIP_1) | instid1(SALU_CYCLE_1)
	v_cmp_ne_u32_e32 vcc_lo, 0x7f800000, v5
                                        ; implicit-def: $vgpr5
	s_and_saveexec_b32 s3, vcc_lo
	s_xor_b32 s3, exec_lo, s3
; %bb.97:
	v_bfe_u32 v5, v77, 16, 1
	s_delay_alu instid0(VALU_DEP_1)
	v_add3_u32 v5, v77, v5, 0x7fff
; %bb.98:
	s_and_not1_saveexec_b32 s3, s3
; %bb.99:
	v_and_b32_e32 v5, 0xffff, v77
	v_or_b32_e32 v6, 0x10000, v77
	s_delay_alu instid0(VALU_DEP_2) | instskip(NEXT) | instid1(VALU_DEP_2)
	v_cmp_eq_u32_e32 vcc_lo, 0, v5
	v_cndmask_b32_e32 v5, v6, v77, vcc_lo
; %bb.100:
	s_or_b32 exec_lo, exec_lo, s3
	v_and_b32_e32 v6, 0x7f800000, v78
	s_delay_alu instid0(VALU_DEP_1) | instskip(SKIP_1) | instid1(SALU_CYCLE_1)
	v_cmp_ne_u32_e32 vcc_lo, 0x7f800000, v6
                                        ; implicit-def: $vgpr6
	s_and_saveexec_b32 s3, vcc_lo
	s_xor_b32 s3, exec_lo, s3
; %bb.101:
	v_bfe_u32 v6, v78, 16, 1
	s_delay_alu instid0(VALU_DEP_1)
	v_add3_u32 v6, v78, v6, 0x7fff
; %bb.102:
	s_and_not1_saveexec_b32 s3, s3
; %bb.103:
	v_and_b32_e32 v6, 0xffff, v78
	v_or_b32_e32 v7, 0x10000, v78
	s_delay_alu instid0(VALU_DEP_2) | instskip(NEXT) | instid1(VALU_DEP_2)
	v_cmp_eq_u32_e32 vcc_lo, 0, v6
	v_cndmask_b32_e32 v6, v7, v78, vcc_lo
; %bb.104:
	s_or_b32 exec_lo, exec_lo, s3
	v_and_b32_e32 v7, 0x7f800000, v79
	s_delay_alu instid0(VALU_DEP_1) | instskip(SKIP_1) | instid1(SALU_CYCLE_1)
	v_cmp_ne_u32_e32 vcc_lo, 0x7f800000, v7
                                        ; implicit-def: $vgpr7
	s_and_saveexec_b32 s3, vcc_lo
	s_xor_b32 s3, exec_lo, s3
; %bb.105:
	v_bfe_u32 v7, v79, 16, 1
	s_delay_alu instid0(VALU_DEP_1)
	v_add3_u32 v7, v79, v7, 0x7fff
; %bb.106:
	s_and_not1_saveexec_b32 s3, s3
; %bb.107:
	v_and_b32_e32 v7, 0xffff, v79
	v_or_b32_e32 v8, 0x10000, v79
	s_delay_alu instid0(VALU_DEP_2) | instskip(NEXT) | instid1(VALU_DEP_2)
	v_cmp_eq_u32_e32 vcc_lo, 0, v7
	v_cndmask_b32_e32 v7, v8, v79, vcc_lo
; %bb.108:
	s_or_b32 exec_lo, exec_lo, s3
	v_and_b32_e32 v8, 0x7f800000, v80
	s_delay_alu instid0(VALU_DEP_1) | instskip(SKIP_1) | instid1(SALU_CYCLE_1)
	v_cmp_ne_u32_e32 vcc_lo, 0x7f800000, v8
                                        ; implicit-def: $vgpr8
	s_and_saveexec_b32 s3, vcc_lo
	s_xor_b32 s3, exec_lo, s3
; %bb.109:
	v_bfe_u32 v8, v80, 16, 1
	s_delay_alu instid0(VALU_DEP_1)
	v_add3_u32 v8, v80, v8, 0x7fff
                                        ; implicit-def: $vgpr73_vgpr74_vgpr75_vgpr76_vgpr77_vgpr78_vgpr79_vgpr80
; %bb.110:
	s_and_not1_saveexec_b32 s3, s3
; %bb.111:
	v_and_b32_e32 v8, 0xffff, v80
	v_or_b32_e32 v9, 0x10000, v80
	s_delay_alu instid0(VALU_DEP_2) | instskip(NEXT) | instid1(VALU_DEP_2)
	v_cmp_eq_u32_e32 vcc_lo, 0, v8
	v_cndmask_b32_e32 v8, v9, v80, vcc_lo
; %bb.112:
	s_or_b32 exec_lo, exec_lo, s3
	s_delay_alu instid0(VALU_DEP_1)
	v_perm_b32 v7, v8, v7, 0x7060302
	v_perm_b32 v6, v6, v5, 0x7060302
	;; [unrolled: 1-line block ×4, first 2 shown]
	v_lshl_or_b32 v9, v83, 4, v90
	s_barrier
	buffer_gl0_inv
	v_cmp_eq_u32_e32 vcc_lo, 1, v87
	ds_store_b128 v9, v[4:7]
	s_waitcnt lgkmcnt(0)
	s_barrier
	buffer_gl0_inv
	ds_load_b128 v[1:4], v90
	ds_load_b128 v[5:8], v90 offset:16
	v_cmp_eq_u32_e64 s4, 2, v87
	v_cmp_eq_u32_e64 s3, 1, v88
	v_cmp_eq_u32_e64 s5, 3, v87
	v_cmp_eq_u32_e64 s7, 2, v86
	v_cmp_eq_u32_e64 s6, 7, v88
	s_waitcnt lgkmcnt(1)
	v_lshrrev_b32_e32 v10, 16, v1
	s_waitcnt lgkmcnt(0)
	v_lshrrev_b32_e32 v14, 16, v5
	v_lshrrev_b32_e32 v15, 16, v6
	;; [unrolled: 1-line block ×4, first 2 shown]
	v_cndmask_b32_e64 v20, v1, v10, s3
	v_cndmask_b32_e32 v19, v5, v14, vcc_lo
	v_cndmask_b32_e64 v21, v5, v14, s3
	v_lshrrev_b32_e32 v16, 16, v7
	v_cmp_eq_u32_e64 s3, 1, v86
	v_lshrrev_b32_e32 v13, 16, v4
	v_cndmask_b32_e64 v19, v19, v6, s4
	v_lshrrev_b32_e32 v17, 16, v8
	s_delay_alu instid0(VALU_DEP_4) | instskip(SKIP_1) | instid1(VALU_DEP_4)
	v_cndmask_b32_e64 v22, v1, v10, s3
	v_cndmask_b32_e64 v23, v5, v14, s3
	;; [unrolled: 1-line block ×3, first 2 shown]
	v_cndmask_b32_e32 v18, v1, v10, vcc_lo
	v_cmp_eq_u32_e32 vcc_lo, 2, v88
	v_cmp_eq_u32_e64 s3, 2, v89
	v_cndmask_b32_e64 v22, v22, v2, s7
	v_cndmask_b32_e32 v20, v20, v2, vcc_lo
	v_cndmask_b32_e32 v21, v21, v6, vcc_lo
	v_cmp_eq_u32_e32 vcc_lo, 4, v87
	v_cndmask_b32_e32 v19, v19, v7, vcc_lo
	v_cndmask_b32_e64 v18, v18, v2, s4
	v_cmp_eq_u32_e64 s4, 3, v88
	s_delay_alu instid0(VALU_DEP_2) | instskip(NEXT) | instid1(VALU_DEP_2)
	v_cndmask_b32_e64 v18, v18, v11, s5
	v_cndmask_b32_e64 v21, v21, v15, s4
	v_cmp_eq_u32_e64 s5, 5, v87
	s_delay_alu instid0(VALU_DEP_3) | instskip(SKIP_1) | instid1(VALU_DEP_3)
	v_cndmask_b32_e32 v18, v18, v3, vcc_lo
	v_cmp_eq_u32_e32 vcc_lo, 4, v88
	v_cndmask_b32_e64 v19, v19, v16, s5
	s_delay_alu instid0(VALU_DEP_3) | instskip(SKIP_4) | instid1(VALU_DEP_3)
	v_cndmask_b32_e64 v18, v18, v12, s5
	v_cndmask_b32_e32 v21, v21, v7, vcc_lo
	v_cndmask_b32_e64 v20, v20, v11, s4
	v_cmp_eq_u32_e64 s4, 5, v88
	v_cmp_eq_u32_e64 s5, 6, v87
	v_cndmask_b32_e32 v20, v20, v3, vcc_lo
	s_delay_alu instid0(VALU_DEP_3) | instskip(SKIP_1) | instid1(VALU_DEP_4)
	v_cndmask_b32_e64 v21, v21, v16, s4
	v_cmp_eq_u32_e32 vcc_lo, 6, v88
	v_cndmask_b32_e64 v18, v18, v4, s5
	v_cndmask_b32_e64 v19, v19, v8, s5
	;; [unrolled: 1-line block ×3, first 2 shown]
	v_cmp_eq_u32_e64 s4, 1, v89
	v_cmp_eq_u32_e64 s5, 7, v87
	s_delay_alu instid0(VALU_DEP_3) | instskip(NEXT) | instid1(VALU_DEP_3)
	v_cndmask_b32_e32 v20, v20, v4, vcc_lo
	v_cndmask_b32_e64 v1, v1, v10, s4
	v_cndmask_b32_e64 v5, v5, v14, s4
	v_cmp_eq_u32_e64 s4, 3, v86
	v_cndmask_b32_e64 v14, v23, v6, s7
	v_cmp_eq_u32_e64 s7, 3, v89
	v_cndmask_b32_e64 v1, v1, v2, s3
	v_cndmask_b32_e64 v2, v5, v6, s3
	;; [unrolled: 1-line block ×3, first 2 shown]
	v_cmp_eq_u32_e64 s3, 4, v86
	v_cndmask_b32_e64 v6, v14, v15, s4
	v_cndmask_b32_e64 v1, v1, v11, s7
	v_cmp_eq_u32_e64 s4, 4, v89
	v_cndmask_b32_e64 v2, v2, v15, s7
	v_cndmask_b32_e64 v5, v10, v3, s3
	;; [unrolled: 3-line block ×3, first 2 shown]
	v_cndmask_b32_e64 v2, v2, v7, s4
	v_cmp_eq_u32_e64 s3, 5, v89
	v_cndmask_b32_e64 v5, v5, v12, s7
	v_cmp_eq_u32_e64 s4, 6, v86
	;; [unrolled: 2-line block ×3, first 2 shown]
	v_cndmask_b32_e64 v1, v1, v12, s3
	v_cndmask_b32_e64 v2, v2, v16, s3
	;; [unrolled: 1-line block ×4, first 2 shown]
	v_cmp_eq_u32_e64 s3, 7, v89
	v_cndmask_b32_e64 v1, v1, v4, s7
	v_cndmask_b32_e64 v2, v2, v8, s7
	v_cmp_eq_u32_e64 s4, 7, v86
	v_cndmask_b32_e32 v4, v21, v8, vcc_lo
	v_cndmask_b32_e64 v18, v18, v13, s5
	v_cndmask_b32_e64 v20, v20, v13, s6
	;; [unrolled: 1-line block ×8, first 2 shown]
	v_cmp_gt_u32_e32 vcc_lo, 32, v0
	v_perm_b32 v4, v2, v1, 0x5040100
	v_perm_b32 v3, v3, v5, 0x5040100
	;; [unrolled: 1-line block ×4, first 2 shown]
	s_and_b32 s2, vcc_lo, s2
	ds_store_b128 v9, v[1:4]
	s_waitcnt lgkmcnt(0)
	s_barrier
	buffer_gl0_inv
	s_and_saveexec_b32 s3, s2
	s_cbranch_execz .LBB573_2
; %bb.113:
	s_load_b64 s[0:1], s[0:1], 0x68
	v_lshlrev_b32_e32 v0, 10, v0
	s_lshl_b32 s4, s34, 6
	v_or_b32_e32 v23, s31, v83
	s_mul_i32 s2, s4, s30
	v_lshlrev_b32_e32 v1, 4, v84
	v_lshlrev_b32_e32 v2, 6, v83
	s_mul_i32 s2, s2, s8
	v_and_b32_e32 v0, 0x3800, v0
	v_mul_lo_u32 v8, v23, s4
	s_ashr_i32 s3, s2, 31
	v_or_b32_e32 v3, 2, v23
	s_lshl_b64 s[2:3], s[2:3], 1
	v_or3_b32 v27, v0, v1, v2
	v_or_b32_e32 v11, 4, v23
	v_or_b32_e32 v18, 6, v23
	v_mul_lo_u32 v10, v3, s4
	v_ashrrev_i32_e32 v9, 31, v8
	ds_load_b128 v[0:3], v27
	ds_load_b128 v[4:7], v27 offset:128
	v_mul_lo_u32 v12, v11, s4
	s_waitcnt lgkmcnt(0)
	s_add_u32 s2, s0, s2
	s_addc_u32 s3, s1, s3
	s_lshl_b32 s0, s14, 6
	v_lshlrev_b64 v[8:9], 1, v[8:9]
	s_ashr_i32 s1, s0, 31
	v_ashrrev_i32_e32 v11, 31, v10
	s_lshl_b64 s[0:1], s[0:1], 1
	v_ashrrev_i32_e32 v13, 31, v12
	s_add_u32 s0, s2, s0
	s_addc_u32 s1, s3, s1
	v_add_co_u32 v30, vcc_lo, s0, v81
	v_add_co_ci_u32_e32 v31, vcc_lo, s1, v82, vcc_lo
	v_lshlrev_b64 v[16:17], 1, v[10:11]
	s_delay_alu instid0(VALU_DEP_3) | instskip(NEXT) | instid1(VALU_DEP_3)
	v_add_co_u32 v14, vcc_lo, v30, v8
	v_add_co_ci_u32_e32 v15, vcc_lo, v31, v9, vcc_lo
	ds_load_b128 v[8:11], v27 offset:256
	v_mul_lo_u32 v18, v18, s4
	v_or_b32_e32 v19, 8, v23
	v_add_co_u32 v16, vcc_lo, v30, v16
	global_store_b128 v[14:15], v[0:3], off
	v_lshlrev_b64 v[0:1], 1, v[12:13]
	v_add_co_ci_u32_e32 v17, vcc_lo, v31, v17, vcc_lo
	v_mul_lo_u32 v12, v19, s4
	v_ashrrev_i32_e32 v19, 31, v18
	v_or_b32_e32 v14, 10, v23
	global_store_b128 v[16:17], v[4:7], off
	v_add_co_u32 v4, vcc_lo, v30, v0
	v_add_co_ci_u32_e32 v5, vcc_lo, v31, v1, vcc_lo
	ds_load_b128 v[0:3], v27 offset:384
	v_ashrrev_i32_e32 v13, 31, v12
	v_lshlrev_b64 v[6:7], 1, v[18:19]
	v_mul_lo_u32 v14, v14, s4
	s_waitcnt lgkmcnt(1)
	global_store_b128 v[4:5], v[8:11], off
	v_or_b32_e32 v8, 12, v23
	v_lshlrev_b64 v[4:5], 1, v[12:13]
	v_add_co_u32 v20, vcc_lo, v30, v6
	v_or_b32_e32 v6, 14, v23
	v_ashrrev_i32_e32 v15, 31, v14
	v_mul_lo_u32 v22, v8, s4
	v_add_co_ci_u32_e32 v21, vcc_lo, v31, v7, vcc_lo
	v_add_co_u32 v24, vcc_lo, v30, v4
	v_mul_lo_u32 v26, v6, s4
	v_add_co_ci_u32_e32 v25, vcc_lo, v31, v5, vcc_lo
	v_lshlrev_b64 v[28:29], 1, v[14:15]
	ds_load_b128 v[4:7], v27 offset:512
	ds_load_b128 v[8:11], v27 offset:640
	;; [unrolled: 1-line block ×4, first 2 shown]
	v_ashrrev_i32_e32 v23, 31, v22
	v_ashrrev_i32_e32 v27, 31, v26
	v_add_co_u32 v28, vcc_lo, v30, v28
	s_delay_alu instid0(VALU_DEP_3) | instskip(SKIP_1) | instid1(VALU_DEP_4)
	v_lshlrev_b64 v[22:23], 1, v[22:23]
	v_add_co_ci_u32_e32 v29, vcc_lo, v31, v29, vcc_lo
	v_lshlrev_b64 v[26:27], 1, v[26:27]
	s_delay_alu instid0(VALU_DEP_3) | instskip(NEXT) | instid1(VALU_DEP_4)
	v_add_co_u32 v22, vcc_lo, v30, v22
	v_add_co_ci_u32_e32 v23, vcc_lo, v31, v23, vcc_lo
	s_delay_alu instid0(VALU_DEP_3) | instskip(NEXT) | instid1(VALU_DEP_4)
	v_add_co_u32 v26, vcc_lo, v30, v26
	v_add_co_ci_u32_e32 v27, vcc_lo, v31, v27, vcc_lo
	s_waitcnt lgkmcnt(4)
	global_store_b128 v[20:21], v[0:3], off
	s_waitcnt lgkmcnt(3)
	global_store_b128 v[24:25], v[4:7], off
	;; [unrolled: 2-line block ×5, first 2 shown]
	s_nop 0
	s_sendmsg sendmsg(MSG_DEALLOC_VGPRS)
	s_endpgm
	.section	.rodata,"a",@progbits
	.p2align	6, 0x0
	.amdhsa_kernel _Z39paged_attention_ll4mi_QKV_mfma16_kernelI14__hip_bfloat16S0_LN4vllm18Fp8KVCacheDataTypeE0ES0_Li32ELi64ELi256ELb0ELi16EL8MFMAType0EEvPKT_PKT0_S9_ifPKiSB_SB_iPKfiiiPfSE_PS4_PT2_iSD_SD_
		.amdhsa_group_segment_fixed_size 17472
		.amdhsa_private_segment_fixed_size 0
		.amdhsa_kernarg_size 400
		.amdhsa_user_sgpr_count 13
		.amdhsa_user_sgpr_dispatch_ptr 0
		.amdhsa_user_sgpr_queue_ptr 0
		.amdhsa_user_sgpr_kernarg_segment_ptr 1
		.amdhsa_user_sgpr_dispatch_id 0
		.amdhsa_user_sgpr_private_segment_size 0
		.amdhsa_wavefront_size32 1
		.amdhsa_uses_dynamic_stack 0
		.amdhsa_enable_private_segment 0
		.amdhsa_system_sgpr_workgroup_id_x 1
		.amdhsa_system_sgpr_workgroup_id_y 1
		.amdhsa_system_sgpr_workgroup_id_z 1
		.amdhsa_system_sgpr_workgroup_info 0
		.amdhsa_system_vgpr_workitem_id 0
		.amdhsa_next_free_vgpr 142
		.amdhsa_next_free_sgpr 38
		.amdhsa_reserve_vcc 1
		.amdhsa_float_round_mode_32 0
		.amdhsa_float_round_mode_16_64 0
		.amdhsa_float_denorm_mode_32 3
		.amdhsa_float_denorm_mode_16_64 3
		.amdhsa_dx10_clamp 1
		.amdhsa_ieee_mode 1
		.amdhsa_fp16_overflow 0
		.amdhsa_workgroup_processor_mode 1
		.amdhsa_memory_ordered 1
		.amdhsa_forward_progress 0
		.amdhsa_shared_vgpr_count 0
		.amdhsa_exception_fp_ieee_invalid_op 0
		.amdhsa_exception_fp_denorm_src 0
		.amdhsa_exception_fp_ieee_div_zero 0
		.amdhsa_exception_fp_ieee_overflow 0
		.amdhsa_exception_fp_ieee_underflow 0
		.amdhsa_exception_fp_ieee_inexact 0
		.amdhsa_exception_int_div_zero 0
	.end_amdhsa_kernel
	.section	.text._Z39paged_attention_ll4mi_QKV_mfma16_kernelI14__hip_bfloat16S0_LN4vllm18Fp8KVCacheDataTypeE0ES0_Li32ELi64ELi256ELb0ELi16EL8MFMAType0EEvPKT_PKT0_S9_ifPKiSB_SB_iPKfiiiPfSE_PS4_PT2_iSD_SD_,"axG",@progbits,_Z39paged_attention_ll4mi_QKV_mfma16_kernelI14__hip_bfloat16S0_LN4vllm18Fp8KVCacheDataTypeE0ES0_Li32ELi64ELi256ELb0ELi16EL8MFMAType0EEvPKT_PKT0_S9_ifPKiSB_SB_iPKfiiiPfSE_PS4_PT2_iSD_SD_,comdat
.Lfunc_end573:
	.size	_Z39paged_attention_ll4mi_QKV_mfma16_kernelI14__hip_bfloat16S0_LN4vllm18Fp8KVCacheDataTypeE0ES0_Li32ELi64ELi256ELb0ELi16EL8MFMAType0EEvPKT_PKT0_S9_ifPKiSB_SB_iPKfiiiPfSE_PS4_PT2_iSD_SD_, .Lfunc_end573-_Z39paged_attention_ll4mi_QKV_mfma16_kernelI14__hip_bfloat16S0_LN4vllm18Fp8KVCacheDataTypeE0ES0_Li32ELi64ELi256ELb0ELi16EL8MFMAType0EEvPKT_PKT0_S9_ifPKiSB_SB_iPKfiiiPfSE_PS4_PT2_iSD_SD_
                                        ; -- End function
	.section	.AMDGPU.csdata,"",@progbits
; Kernel info:
; codeLenInByte = 9616
; NumSgprs: 40
; NumVgprs: 142
; ScratchSize: 0
; MemoryBound: 0
; FloatMode: 240
; IeeeMode: 1
; LDSByteSize: 17472 bytes/workgroup (compile time only)
; SGPRBlocks: 4
; VGPRBlocks: 17
; NumSGPRsForWavesPerEU: 40
; NumVGPRsForWavesPerEU: 142
; Occupancy: 10
; WaveLimiterHint : 1
; COMPUTE_PGM_RSRC2:SCRATCH_EN: 0
; COMPUTE_PGM_RSRC2:USER_SGPR: 13
; COMPUTE_PGM_RSRC2:TRAP_HANDLER: 0
; COMPUTE_PGM_RSRC2:TGID_X_EN: 1
; COMPUTE_PGM_RSRC2:TGID_Y_EN: 1
; COMPUTE_PGM_RSRC2:TGID_Z_EN: 1
; COMPUTE_PGM_RSRC2:TIDIG_COMP_CNT: 0
	.section	.text._Z39paged_attention_ll4mi_QKV_mfma16_kernelI14__hip_bfloat16S0_LN4vllm18Fp8KVCacheDataTypeE0ES0_Li32ELi64ELi256ELb0ELi1EL8MFMAType0EEvPKT_PKT0_S9_ifPKiSB_SB_iPKfiiiPfSE_PS4_PT2_iSD_SD_,"axG",@progbits,_Z39paged_attention_ll4mi_QKV_mfma16_kernelI14__hip_bfloat16S0_LN4vllm18Fp8KVCacheDataTypeE0ES0_Li32ELi64ELi256ELb0ELi1EL8MFMAType0EEvPKT_PKT0_S9_ifPKiSB_SB_iPKfiiiPfSE_PS4_PT2_iSD_SD_,comdat
	.protected	_Z39paged_attention_ll4mi_QKV_mfma16_kernelI14__hip_bfloat16S0_LN4vllm18Fp8KVCacheDataTypeE0ES0_Li32ELi64ELi256ELb0ELi1EL8MFMAType0EEvPKT_PKT0_S9_ifPKiSB_SB_iPKfiiiPfSE_PS4_PT2_iSD_SD_ ; -- Begin function _Z39paged_attention_ll4mi_QKV_mfma16_kernelI14__hip_bfloat16S0_LN4vllm18Fp8KVCacheDataTypeE0ES0_Li32ELi64ELi256ELb0ELi1EL8MFMAType0EEvPKT_PKT0_S9_ifPKiSB_SB_iPKfiiiPfSE_PS4_PT2_iSD_SD_
	.globl	_Z39paged_attention_ll4mi_QKV_mfma16_kernelI14__hip_bfloat16S0_LN4vllm18Fp8KVCacheDataTypeE0ES0_Li32ELi64ELi256ELb0ELi1EL8MFMAType0EEvPKT_PKT0_S9_ifPKiSB_SB_iPKfiiiPfSE_PS4_PT2_iSD_SD_
	.p2align	8
	.type	_Z39paged_attention_ll4mi_QKV_mfma16_kernelI14__hip_bfloat16S0_LN4vllm18Fp8KVCacheDataTypeE0ES0_Li32ELi64ELi256ELb0ELi1EL8MFMAType0EEvPKT_PKT0_S9_ifPKiSB_SB_iPKfiiiPfSE_PS4_PT2_iSD_SD_,@function
_Z39paged_attention_ll4mi_QKV_mfma16_kernelI14__hip_bfloat16S0_LN4vllm18Fp8KVCacheDataTypeE0ES0_Li32ELi64ELi256ELb0ELi1EL8MFMAType0EEvPKT_PKT0_S9_ifPKiSB_SB_iPKfiiiPfSE_PS4_PT2_iSD_SD_: ; @_Z39paged_attention_ll4mi_QKV_mfma16_kernelI14__hip_bfloat16S0_LN4vllm18Fp8KVCacheDataTypeE0ES0_Li32ELi64ELi256ELb0ELi1EL8MFMAType0EEvPKT_PKT0_S9_ifPKiSB_SB_iPKfiiiPfSE_PS4_PT2_iSD_SD_
; %bb.0:
	s_load_b64 s[4:5], s[0:1], 0x30
	s_mov_b32 s34, s13
	s_waitcnt lgkmcnt(0)
	s_cmp_lg_u64 s[4:5], 0
	s_cselect_b32 s6, -1, 0
	s_ashr_i32 s35, s13, 31
	s_cmp_eq_u64 s[4:5], 0
	s_cbranch_scc1 .LBB574_3
; %bb.1:
	s_lshl_b64 s[2:3], s[34:35], 2
	s_delay_alu instid0(SALU_CYCLE_1) | instskip(SKIP_4) | instid1(SALU_CYCLE_1)
	s_add_u32 s2, s4, s2
	s_addc_u32 s3, s5, s3
	s_load_b64 s[2:3], s[2:3], 0x0
	s_waitcnt lgkmcnt(0)
	s_sub_i32 s2, s3, s2
	s_cmp_eq_u32 s2, 1
	s_cselect_b32 s2, -1, 0
	s_delay_alu instid0(SALU_CYCLE_1)
	s_and_not1_b32 vcc_lo, exec_lo, s2
	s_cbranch_vccz .LBB574_4
.LBB574_2:
	s_endpgm
.LBB574_3:
.LBB574_4:
	s_load_b64 s[2:3], s[0:1], 0x28
	s_lshl_b64 s[8:9], s[34:35], 2
	s_waitcnt lgkmcnt(0)
	s_add_u32 s2, s2, s8
	s_addc_u32 s3, s3, s9
	s_lshl_b32 s12, s14, 8
	s_load_b32 s33, s[2:3], 0x0
	s_waitcnt lgkmcnt(0)
	s_cmp_ge_i32 s12, s33
	s_cbranch_scc1 .LBB574_2
; %bb.5:
	s_clause 0x1
	s_load_b128 s[56:59], s[0:1], 0x8
	s_load_b64 s[2:3], s[0:1], 0x20
	s_and_not1_b32 vcc_lo, exec_lo, s6
	s_mov_b64 s[6:7], s[34:35]
	s_cbranch_vccnz .LBB574_7
; %bb.6:
	s_add_u32 s4, s4, s8
	s_addc_u32 s5, s5, s9
	s_load_b32 s6, s[4:5], 0x0
.LBB574_7:
	s_load_b128 s[52:55], s[0:1], 0x48
	v_and_b32_e32 v89, 15, v0
	s_mov_b32 s13, exec_lo
                                        ; implicit-def: $sgpr36
                                        ; implicit-def: $sgpr16
                                        ; implicit-def: $sgpr24
                                        ; implicit-def: $sgpr4
	s_delay_alu instid0(VALU_DEP_1)
	v_cmpx_eq_u32_e32 0, v89
	s_cbranch_execz .LBB574_9
; %bb.8:
	s_load_b64 s[4:5], s[0:1], 0x0
	s_waitcnt lgkmcnt(0)
	s_mul_hi_i32 s7, s6, s52
	s_mul_i32 s6, s6, s52
	s_delay_alu instid0(SALU_CYCLE_1) | instskip(NEXT) | instid1(SALU_CYCLE_1)
	s_lshl_b64 s[6:7], s[6:7], 1
	s_add_u32 s6, s4, s6
	s_addc_u32 s7, s5, s7
	s_lshl_b32 s4, s15, 6
	s_delay_alu instid0(SALU_CYCLE_1) | instskip(NEXT) | instid1(SALU_CYCLE_1)
	s_ashr_i32 s5, s4, 31
	s_lshl_b64 s[4:5], s[4:5], 1
	s_delay_alu instid0(SALU_CYCLE_1)
	s_add_u32 s4, s6, s4
	s_addc_u32 s5, s7, s5
	s_clause 0x3
	s_load_b256 s[36:43], s[4:5], 0x0
	s_load_b256 s[16:23], s[4:5], 0x20
	;; [unrolled: 1-line block ×4, first 2 shown]
.LBB574_9:
	s_or_b32 exec_lo, exec_lo, s13
	v_and_b32_e32 v1, 0xef, v0
	s_add_i32 s13, s33, 31
	s_load_b32 s44, s[0:1], 0x38
	s_ashr_i32 s35, s13, 31
	s_waitcnt lgkmcnt(0)
	v_dual_mov_b32 v107, s23 :: v_dual_mov_b32 v102, s18
	v_add_nc_u32_e32 v1, s12, v1
	s_lshr_b32 s35, s35, 27
	v_dual_mov_b32 v105, s21 :: v_dual_mov_b32 v100, s16
	s_add_i32 s13, s13, s35
	s_delay_alu instid0(VALU_DEP_2)
	v_ashrrev_i32_e32 v2, 31, v1
	v_or_b32_e32 v3, 16, v1
	s_ashr_i32 s13, s13, 5
	v_cmp_gt_i32_e32 vcc_lo, s33, v1
	s_add_i32 s13, s13, -1
	v_lshrrev_b32_e32 v2, 27, v2
	s_load_b32 s35, s[0:1], 0x1c
	v_mov_b32_e32 v103, s19
	v_mov_b32_e32 v101, s17
	v_dual_mov_b32 v115, s31 :: v_dual_mov_b32 v110, s26
	v_add_nc_u32_e32 v4, v1, v2
	s_mul_i32 s44, s34, s44
	v_mov_b32_e32 v114, s30
	s_ashr_i32 s45, s44, 31
	v_dual_mov_b32 v113, s29 :: v_dual_mov_b32 v108, s24
	v_ashrrev_i32_e32 v4, 5, v4
	v_add_nc_u32_e32 v2, v3, v2
	s_lshl_b64 s[44:45], s[44:45], 2
	v_mov_b32_e32 v112, s28
	s_add_u32 s52, s2, s44
	v_cndmask_b32_e32 v1, s13, v4, vcc_lo
	v_ashrrev_i32_e32 v2, 5, v2
	v_cmp_gt_i32_e32 vcc_lo, s33, v3
	v_lshlrev_b32_e32 v90, 6, v89
	s_addc_u32 s55, s3, s45
	s_mul_i32 s2, s15, s54
	v_lshrrev_b32_e32 v91, 5, v0
	v_cndmask_b32_e32 v3, s13, v2, vcc_lo
	v_ashrrev_i32_e32 v2, 31, v1
	s_ashr_i32 s3, s2, 31
	v_mov_b32_e32 v106, s22
	s_lshl_b64 s[2:3], s[2:3], 1
	v_ashrrev_i32_e32 v4, 31, v3
	v_lshlrev_b64 v[1:2], 2, v[1:2]
	s_add_u32 s63, s56, s2
	s_addc_u32 s68, s57, s3
	s_lshl_b32 s44, s14, 3
	v_lshlrev_b64 v[3:4], 2, v[3:4]
	s_ashr_i32 s45, s44, 31
	v_add_co_u32 v1, vcc_lo, s52, v1
	v_add_co_ci_u32_e32 v2, vcc_lo, s55, v2, vcc_lo
	s_delay_alu instid0(VALU_DEP_3) | instskip(NEXT) | instid1(VALU_DEP_4)
	v_add_co_u32 v3, vcc_lo, s52, v3
	v_add_co_ci_u32_e32 v4, vcc_lo, s55, v4, vcc_lo
	s_clause 0x1
	global_load_b32 v5, v[1:2], off
	global_load_b32 v6, v[3:4], off
	s_lshl_b64 s[44:45], s[44:45], 2
	v_mov_b32_e32 v104, s20
	s_add_u32 s44, s52, s44
	s_addc_u32 s45, s55, s45
	s_or_b32 s46, s12, 32
	v_lshl_or_b32 v49, v91, 10, v90
	s_ashr_i32 s47, s46, 5
	s_cmp_lt_i32 s46, s33
	s_cselect_b32 s46, s47, s13
	s_delay_alu instid0(SALU_CYCLE_1) | instskip(NEXT) | instid1(SALU_CYCLE_1)
	s_ashr_i32 s47, s46, 31
	s_lshl_b64 s[46:47], s[46:47], 2
	s_delay_alu instid0(SALU_CYCLE_1) | instskip(SKIP_2) | instid1(SALU_CYCLE_1)
	s_add_u32 s46, s52, s46
	s_addc_u32 s47, s55, s47
	s_or_b32 s48, s12, 64
	s_ashr_i32 s49, s48, 5
	s_cmp_lt_i32 s48, s33
	s_cselect_b32 s48, s49, s13
	s_delay_alu instid0(SALU_CYCLE_1) | instskip(NEXT) | instid1(SALU_CYCLE_1)
	s_ashr_i32 s49, s48, 31
	s_lshl_b64 s[48:49], s[48:49], 2
	s_delay_alu instid0(SALU_CYCLE_1) | instskip(SKIP_2) | instid1(SALU_CYCLE_1)
	s_add_u32 s48, s52, s48
	s_addc_u32 s49, s55, s49
	s_or_b32 s50, s12, 0x60
	;; [unrolled: 10-line block ×4, first 2 shown]
	s_ashr_i32 s56, s54, 5
	s_cmp_lt_i32 s54, s33
	s_cselect_b32 s56, s56, s13
	s_delay_alu instid0(SALU_CYCLE_1) | instskip(NEXT) | instid1(SALU_CYCLE_1)
	s_ashr_i32 s57, s56, 31
	s_lshl_b64 s[56:57], s[56:57], 2
	s_delay_alu instid0(SALU_CYCLE_1)
	s_add_u32 s66, s52, s56
	s_addc_u32 s67, s55, s57
	s_clause 0x5
	s_load_b32 s62, s[44:45], 0x0
	s_load_b32 s61, s[46:47], 0x0
	;; [unrolled: 1-line block ×6, first 2 shown]
	s_or_b32 s16, s12, 0xc0
	s_mov_b32 s44, 0
	s_ashr_i32 s17, s16, 5
	s_mov_b32 s45, s44
	s_mov_b32 s46, s44
	s_mov_b32 s47, s44
	s_mov_b32 s48, s44
	s_mov_b32 s49, s44
	s_mov_b32 s50, s44
	s_mov_b32 s51, s44
	v_mov_b32_e32 v111, s27
	v_mov_b32_e32 v109, s25
	v_dual_mov_b32 v123, s51 :: v_dual_mov_b32 v118, s46
	s_waitcnt lgkmcnt(0)
	s_mul_hi_i32 s19, s62, s53
	s_mul_i32 s18, s62, s53
	s_mul_hi_i32 s21, s61, s53
	s_mul_hi_i32 s25, s60, s53
	s_mul_i32 s24, s60, s53
	s_mul_hi_i32 s27, s57, s53
	s_mul_i32 s26, s57, s53
	v_dual_mov_b32 v122, s50 :: v_dual_mov_b32 v121, s49
	v_mov_b32_e32 v116, s44
	v_dual_mov_b32 v120, s48 :: v_dual_mov_b32 v119, s47
	v_mov_b32_e32 v117, s45
	s_mul_hi_i32 s31, s54, s53
	s_mul_i32 s30, s54, s53
	s_cmp_lt_i32 s16, s33
	s_cselect_b32 s16, s17, s13
	s_delay_alu instid0(SALU_CYCLE_1) | instskip(NEXT) | instid1(SALU_CYCLE_1)
	s_ashr_i32 s17, s16, 31
	s_lshl_b64 s[16:17], s[16:17], 2
	s_delay_alu instid0(SALU_CYCLE_1) | instskip(SKIP_2) | instid1(SALU_CYCLE_1)
	s_add_u32 s16, s52, s16
	s_addc_u32 s17, s55, s17
	s_or_b32 s20, s12, 0xe0
	s_ashr_i32 s22, s20, 5
	s_cmp_lt_i32 s20, s33
	s_mul_i32 s20, s61, s53
	s_cselect_b32 s22, s22, s13
	s_delay_alu instid0(SALU_CYCLE_1) | instskip(NEXT) | instid1(SALU_CYCLE_1)
	s_ashr_i32 s23, s22, 31
	s_lshl_b64 s[22:23], s[22:23], 2
	s_delay_alu instid0(SALU_CYCLE_1) | instskip(SKIP_2) | instid1(SALU_CYCLE_1)
	s_add_u32 s22, s52, s22
	s_addc_u32 s23, s55, s23
	s_add_i32 s28, s12, 0x100
	s_ashr_i32 s29, s28, 5
	s_cmp_lt_i32 s28, s33
	s_cselect_b32 s28, s29, s13
	s_delay_alu instid0(SALU_CYCLE_1) | instskip(NEXT) | instid1(SALU_CYCLE_1)
	s_ashr_i32 s29, s28, 31
	s_lshl_b64 s[28:29], s[28:29], 2
	s_delay_alu instid0(SALU_CYCLE_1) | instskip(SKIP_2) | instid1(SALU_CYCLE_1)
	s_add_u32 s28, s52, s28
	s_addc_u32 s29, s55, s29
	s_add_u32 s13, s58, s2
	v_add_co_u32 v136, s13, s13, v49
	s_waitcnt vmcnt(1)
	v_mad_i64_i32 v[1:2], null, v5, s53, 0
	s_waitcnt vmcnt(0)
	v_mad_i64_i32 v[3:4], null, v6, s53, 0
	v_lshlrev_b32_e32 v5, 4, v89
	s_delay_alu instid0(VALU_DEP_3) | instskip(NEXT) | instid1(VALU_DEP_3)
	v_lshlrev_b64 v[1:2], 1, v[1:2]
	v_lshlrev_b64 v[3:4], 1, v[3:4]
	s_delay_alu instid0(VALU_DEP_2) | instskip(NEXT) | instid1(VALU_DEP_3)
	v_add_co_u32 v1, vcc_lo, s63, v1
	v_add_co_ci_u32_e32 v2, vcc_lo, s68, v2, vcc_lo
	s_delay_alu instid0(VALU_DEP_3) | instskip(NEXT) | instid1(VALU_DEP_4)
	v_add_co_u32 v3, vcc_lo, s63, v3
	v_add_co_ci_u32_e32 v4, vcc_lo, s68, v4, vcc_lo
	s_delay_alu instid0(VALU_DEP_4) | instskip(NEXT) | instid1(VALU_DEP_4)
	v_add_co_u32 v41, vcc_lo, v1, v5
	v_add_co_ci_u32_e32 v42, vcc_lo, 0, v2, vcc_lo
	s_delay_alu instid0(VALU_DEP_4) | instskip(NEXT) | instid1(VALU_DEP_4)
	v_add_co_u32 v43, vcc_lo, v3, v5
	v_add_co_ci_u32_e32 v44, vcc_lo, 0, v4, vcc_lo
	s_clause 0xf
	global_load_b128 v[1:4], v[41:42], off
	global_load_b128 v[5:8], v[41:42], off offset:512
	global_load_b128 v[9:12], v[43:44], off offset:256
	global_load_b128 v[13:16], v[43:44], off offset:768
	global_load_b128 v[17:20], v[41:42], off offset:1024
	global_load_b128 v[21:24], v[41:42], off offset:1536
	global_load_b128 v[25:28], v[43:44], off offset:1280
	global_load_b128 v[29:32], v[43:44], off offset:1792
	global_load_b128 v[33:36], v[41:42], off offset:2048
	global_load_b128 v[37:40], v[41:42], off offset:2560
	global_load_b128 v[92:95], v[43:44], off offset:2304
	global_load_b128 v[96:99], v[43:44], off offset:2816
	global_load_b128 v[81:84], v[41:42], off offset:3072
	global_load_b128 v[85:88], v[41:42], off offset:3584
	global_load_b128 v[73:76], v[43:44], off offset:3328
	global_load_b128 v[77:80], v[43:44], off offset:3840
	v_mov_b32_e32 v48, s43
	v_dual_mov_b32 v44, s39 :: v_dual_mov_b32 v43, s38
	v_mov_b32_e32 v41, s36
	v_dual_mov_b32 v47, s42 :: v_dual_mov_b32 v46, s41
	v_dual_mov_b32 v45, s40 :: v_dual_mov_b32 v42, s37
	s_clause 0x2
	s_load_b32 s36, s[16:17], 0x0
	s_load_b32 s37, s[22:23], 0x0
	;; [unrolled: 1-line block ×3, first 2 shown]
	s_addc_u32 s29, s59, s3
	s_lshl_b64 s[2:3], s[18:19], 1
	s_lshl_b64 s[18:19], s[20:21], 1
	;; [unrolled: 1-line block ×4, first 2 shown]
	s_mul_hi_i32 s17, s56, s53
	s_mul_i32 s16, s56, s53
	s_lshl_b64 s[24:25], s[30:31], 1
	s_lshl_b64 s[16:17], s[16:17], 1
	v_add_co_ci_u32_e64 v137, null, s29, 0, s13
	v_add_co_u32 v49, vcc_lo, v136, s2
	s_delay_alu instid0(VALU_DEP_2)
	v_add_co_ci_u32_e32 v50, vcc_lo, s3, v137, vcc_lo
	v_add_co_u32 v51, vcc_lo, v136, s18
	s_waitcnt lgkmcnt(0)
	s_mul_hi_i32 s27, s36, s53
	s_mul_i32 s26, s36, s53
	v_add_co_ci_u32_e32 v52, vcc_lo, s19, v137, vcc_lo
	s_lshl_b64 s[26:27], s[26:27], 1
	v_add_co_u32 v53, vcc_lo, v136, s20
	v_add_co_ci_u32_e32 v54, vcc_lo, s21, v137, vcc_lo
	v_add_co_u32 v132, vcc_lo, v136, s22
	s_clause 0x5
	global_load_b128 v[65:68], v[49:50], off
	global_load_b128 v[69:72], v[49:50], off offset:16
	global_load_b128 v[57:60], v[51:52], off
	global_load_b128 v[61:64], v[51:52], off offset:16
	;; [unrolled: 2-line block ×3, first 2 shown]
	v_add_co_ci_u32_e32 v133, vcc_lo, s23, v137, vcc_lo
	v_add_co_u32 v134, vcc_lo, v136, s16
	s_mul_hi_i32 s3, s37, s53
	s_mul_i32 s2, s37, s53
	s_mul_i32 s16, s28, s53
	v_add_co_ci_u32_e32 v135, vcc_lo, s17, v137, vcc_lo
	s_lshl_b64 s[2:3], s[2:3], 1
	s_mul_hi_i32 s17, s28, s53
	s_waitcnt vmcnt(20)
	v_wmma_f32_16x16x16_bf16 v[124:131], v[1:8], v[41:48], v[116:123]
	v_add_co_u32 v1, vcc_lo, v136, s24
	s_waitcnt vmcnt(18)
	v_wmma_f32_16x16x16_bf16 v[116:123], v[9:16], v[41:48], v[116:123]
	v_add_co_ci_u32_e32 v2, vcc_lo, s25, v137, vcc_lo
	v_add_co_u32 v5, vcc_lo, v136, s26
	v_add_co_ci_u32_e32 v6, vcc_lo, s27, v137, vcc_lo
	s_waitcnt vmcnt(14)
	v_wmma_f32_16x16x16_bf16 v[116:123], v[25:32], v[100:107], v[116:123]
	v_add_co_u32 v25, vcc_lo, v136, s2
	v_add_co_ci_u32_e32 v26, vcc_lo, s3, v137, vcc_lo
	s_lshl_b64 s[2:3], s[16:17], 1
	v_wmma_f32_16x16x16_bf16 v[124:131], v[17:24], v[100:107], v[124:131]
	v_add_co_u32 v29, vcc_lo, v136, s2
	v_add_co_ci_u32_e32 v30, vcc_lo, s3, v137, vcc_lo
	s_clause 0x5
	global_load_b128 v[41:44], v[132:133], off
	global_load_b128 v[45:48], v[132:133], off offset:16
	global_load_b128 v[17:20], v[134:135], off
	global_load_b128 v[21:24], v[134:135], off offset:16
	global_load_b128 v[9:12], v[1:2], off
	global_load_b128 v[13:16], v[1:2], off offset:16
	s_waitcnt vmcnt(18)
	v_wmma_f32_16x16x16_bf16 v[124:131], v[33:40], v[108:115], v[124:131]
	s_clause 0x5
	global_load_b128 v[1:4], v[5:6], off
	global_load_b128 v[5:8], v[5:6], off offset:16
	global_load_b128 v[33:36], v[25:26], off
	global_load_b128 v[37:40], v[25:26], off offset:16
	;; [unrolled: 2-line block ×3, first 2 shown]
	s_waitcnt vmcnt(22)
	v_wmma_f32_16x16x16_bf16 v[116:123], v[92:99], v[108:115], v[116:123]
	v_dual_mov_b32 v99, s11 :: v_dual_mov_b32 v94, s6
	v_dual_mov_b32 v98, s10 :: v_dual_mov_b32 v97, s9
	v_mov_b32_e32 v92, s4
	v_dual_mov_b32 v96, s8 :: v_dual_mov_b32 v95, s7
	v_mov_b32_e32 v93, s5
	s_waitcnt vmcnt(0)
	s_barrier
	buffer_gl0_inv
	v_wmma_f32_16x16x16_bf16 v[124:131], v[81:88], v[92:99], v[124:131]
	v_and_b32_e32 v82, 0xe0, v0
	v_mbcnt_lo_u32_b32 v83, -1, 0
	v_bfe_u32 v81, v0, 4, 1
	s_delay_alu instid0(VALU_DEP_3) | instskip(NEXT) | instid1(VALU_DEP_3)
	v_add_nc_u32_e32 v82, s12, v82
	v_xor_b32_e32 v84, 16, v83
	v_wmma_f32_16x16x16_bf16 v[116:123], v[73:80], v[92:99], v[116:123]
	v_dual_mul_f32 v97, s35, v124 :: v_dual_mul_f32 v98, s35, v127
	s_delay_alu instid0(VALU_DEP_4) | instskip(NEXT) | instid1(VALU_DEP_4)
	v_or_b32_e32 v82, v82, v81
	v_cmp_gt_i32_e32 vcc_lo, 32, v84
	v_dual_mul_f32 v99, s35, v125 :: v_dual_mul_f32 v94, s35, v131
	v_dual_mul_f32 v95, s35, v130 :: v_dual_mul_f32 v96, s35, v129
	v_cndmask_b32_e32 v83, v83, v84, vcc_lo
	v_or_b32_e32 v84, 2, v82
	v_or_b32_e32 v85, 4, v82
	;; [unrolled: 1-line block ×3, first 2 shown]
	v_cmp_gt_i32_e32 vcc_lo, s33, v82
	v_or_b32_e32 v87, 8, v82
	v_cmp_gt_i32_e64 s2, s33, v84
	v_or_b32_e32 v88, 10, v82
	v_or_b32_e32 v73, 12, v82
	;; [unrolled: 1-line block ×11, first 2 shown]
	v_mul_f32_e32 v82, s35, v126
	v_cndmask_b32_e32 v97, 0xff7fffff, v97, vcc_lo
	v_cndmask_b32_e64 v84, 0xff7fffff, v99, s2
	v_cmp_gt_i32_e64 s3, s33, v85
	v_cmp_gt_i32_e64 s4, s33, v86
	v_mul_f32_e32 v86, s35, v128
	v_cmp_gt_i32_e64 s5, s33, v88
	v_max3_f32 v84, v97, 0xff7fffff, v84
	v_mul_f32_e32 v97, s35, v123
	v_cndmask_b32_e64 v82, 0xff7fffff, v82, s3
	v_cndmask_b32_e64 v85, 0xff7fffff, v98, s4
	v_cmp_gt_i32_e64 s6, s33, v87
	v_cndmask_b32_e64 v96, 0xff7fffff, v96, s5
	v_cmp_gt_i32_e64 s7, s33, v73
	v_cmp_gt_i32_e64 s8, s33, v74
	v_max3_f32 v82, v84, v82, v85
	v_cndmask_b32_e64 v86, 0xff7fffff, v86, s6
	v_dual_mul_f32 v88, s35, v118 :: v_dual_mul_f32 v87, s35, v117
	v_mul_f32_e32 v73, s35, v116
	v_cndmask_b32_e64 v95, 0xff7fffff, v95, s7
	v_cndmask_b32_e64 v74, 0xff7fffff, v94, s8
	v_max3_f32 v82, v82, v86, v96
	v_cmp_gt_i32_e64 s9, s33, v75
	v_cmp_gt_i32_e64 s10, s33, v76
	v_dual_mul_f32 v84, s35, v120 :: v_dual_mul_f32 v85, s35, v119
	s_delay_alu instid0(VALU_DEP_4) | instskip(NEXT) | instid1(VALU_DEP_4)
	v_max3_f32 v74, v82, v95, v74
	v_cndmask_b32_e64 v73, 0xff7fffff, v73, s9
	s_delay_alu instid0(VALU_DEP_4) | instskip(SKIP_3) | instid1(VALU_DEP_4)
	v_cndmask_b32_e64 v75, 0xff7fffff, v87, s10
	v_cmp_gt_i32_e64 s11, s33, v77
	v_cmp_gt_i32_e64 s12, s33, v78
	v_dual_mul_f32 v98, s35, v122 :: v_dual_mul_f32 v99, s35, v121
	v_max3_f32 v73, v74, v73, v75
	s_delay_alu instid0(VALU_DEP_4) | instskip(NEXT) | instid1(VALU_DEP_4)
	v_cndmask_b32_e64 v76, 0xff7fffff, v88, s11
	v_cndmask_b32_e64 v77, 0xff7fffff, v85, s12
	v_cmp_gt_i32_e64 s13, s33, v79
	v_cmp_gt_i32_e64 s16, s33, v80
	;; [unrolled: 1-line block ×4, first 2 shown]
	v_max3_f32 v73, v73, v76, v77
	v_cndmask_b32_e64 v74, 0xff7fffff, v84, s13
	v_cndmask_b32_e64 v75, 0xff7fffff, v99, s16
	;; [unrolled: 1-line block ×4, first 2 shown]
	v_lshlrev_b32_e32 v84, 2, v83
	s_delay_alu instid0(VALU_DEP_4) | instskip(NEXT) | instid1(VALU_DEP_1)
	v_max3_f32 v73, v73, v74, v75
	v_max3_f32 v73, v73, v76, v77
	ds_bpermute_b32 v74, v84, v73
	s_waitcnt lgkmcnt(0)
	v_max_f32_e32 v74, v74, v74
	s_delay_alu instid0(VALU_DEP_1) | instskip(NEXT) | instid1(VALU_DEP_1)
	v_max_f32_e32 v73, v73, v74
	v_fma_f32 v76, s35, v126, -v73
	s_delay_alu instid0(VALU_DEP_1)
	v_mul_f32_e32 v76, 0x3fb8aa3b, v76
	v_fma_f32 v74, s35, v124, -v73
	v_fma_f32 v75, s35, v125, -v73
	;; [unrolled: 1-line block ×4, first 2 shown]
	v_exp_f32_e32 v76, v76
	s_delay_alu instid0(VALU_DEP_3) | instskip(SKIP_2) | instid1(VALU_DEP_3)
	v_dual_mul_f32 v74, 0x3fb8aa3b, v74 :: v_dual_mul_f32 v75, 0x3fb8aa3b, v75
	v_fma_f32 v79, s35, v130, -v73
	v_fma_f32 v96, s35, v123, -v73
	v_exp_f32_e32 v74, v74
	s_delay_alu instid0(VALU_DEP_3) | instskip(SKIP_2) | instid1(TRANS32_DEP_3)
	v_exp_f32_e32 v75, v75
	v_mul_f32_e32 v77, 0x3fb8aa3b, v77
	v_mul_f32_e32 v79, 0x3fb8aa3b, v79
	v_cndmask_b32_e64 v87, 0, v76, s3
	v_fma_f32 v76, s35, v131, -v73
	s_mov_b32 s3, exec_lo
	s_delay_alu instid0(VALU_DEP_3) | instskip(NEXT) | instid1(TRANS32_DEP_3)
	v_exp_f32_e32 v79, v79
	v_cndmask_b32_e32 v86, 0, v74, vcc_lo
	v_fma_f32 v74, s35, v129, -v73
	s_delay_alu instid0(TRANS32_DEP_2)
	v_cndmask_b32_e64 v85, 0, v75, s2
	v_mul_f32_e32 v76, 0x3fb8aa3b, v76
	v_exp_f32_e32 v77, v77
	v_add_f32_e32 v75, 0, v86
	v_mul_f32_e32 v78, 0x3fb8aa3b, v78
	v_mul_f32_e32 v74, 0x3fb8aa3b, v74
	v_exp_f32_e32 v76, v76
	v_cndmask_b32_e64 v88, 0, v79, s7
	v_add_f32_e32 v75, v75, v85
	v_exp_f32_e32 v78, v78
	v_exp_f32_e32 v74, v74
	v_fma_f32 v79, s35, v119, -v73
	v_cndmask_b32_e64 v92, 0, v77, s4
	v_fma_f32 v77, s35, v116, -v73
	s_delay_alu instid0(TRANS32_DEP_3) | instskip(SKIP_2) | instid1(TRANS32_DEP_2)
	v_cndmask_b32_e64 v95, 0, v76, s8
	v_fma_f32 v76, s35, v120, -v73
	v_mul_f32_e32 v79, 0x3fb8aa3b, v79
	v_cndmask_b32_e64 v93, 0, v78, s6
	v_fma_f32 v78, s35, v117, -v73
	v_add_f32_e32 v75, v75, v87
	v_cndmask_b32_e64 v94, 0, v74, s5
	v_mul_f32_e32 v82, 0x3fb8aa3b, v76
	v_exp_f32_e32 v79, v79
	s_delay_alu instid0(VALU_DEP_3) | instskip(NEXT) | instid1(VALU_DEP_2)
	v_dual_mul_f32 v78, 0x3fb8aa3b, v78 :: v_dual_add_f32 v75, v75, v92
	v_exp_f32_e32 v82, v82
	s_delay_alu instid0(VALU_DEP_1) | instskip(NEXT) | instid1(VALU_DEP_1)
	v_exp_f32_e32 v78, v78
	v_add_f32_e32 v74, v75, v93
	v_fma_f32 v75, s35, v118, -v73
	s_delay_alu instid0(VALU_DEP_1)
	v_dual_mul_f32 v75, 0x3fb8aa3b, v75 :: v_dual_add_f32 v74, v74, v94
	v_mul_f32_e32 v77, 0x3fb8aa3b, v77
	s_waitcnt_depctr 0xfff
	v_cndmask_b32_e64 v76, 0, v78, s10
	v_fma_f32 v78, s35, v122, -v73
	v_exp_f32_e32 v80, v75
	v_add_f32_e32 v74, v74, v88
	v_exp_f32_e32 v77, v77
	s_waitcnt_depctr 0xfff
	v_cndmask_b32_e64 v75, 0, v77, s9
	v_fma_f32 v77, s35, v121, -v73
	s_delay_alu instid0(VALU_DEP_1) | instskip(NEXT) | instid1(VALU_DEP_1)
	v_dual_add_f32 v74, v74, v95 :: v_dual_mul_f32 v83, 0x3fb8aa3b, v77
	v_add_f32_e32 v74, v74, v75
	v_cndmask_b32_e64 v77, 0, v80, s11
	v_mul_f32_e32 v80, 0x3fb8aa3b, v78
	v_cndmask_b32_e64 v78, 0, v79, s12
	v_exp_f32_e32 v83, v83
	v_add_f32_e32 v74, v74, v76
	v_cndmask_b32_e64 v79, 0, v82, s13
	v_exp_f32_e32 v97, v80
	v_mul_f32_e32 v82, 0x3fb8aa3b, v96
	v_and_b32_e32 v96, 31, v0
	v_add_f32_e32 v74, v74, v77
	s_delay_alu instid0(TRANS32_DEP_2) | instskip(NEXT) | instid1(VALU_DEP_2)
	v_cndmask_b32_e64 v80, 0, v83, s16
	v_add_f32_e32 v74, v74, v78
	v_exp_f32_e32 v83, v82
	s_delay_alu instid0(TRANS32_DEP_2) | instskip(SKIP_1) | instid1(VALU_DEP_3)
	v_cndmask_b32_e64 v82, 0, v97, s17
	v_cmp_lt_u32_e64 s2, 15, v96
	v_add_f32_e32 v74, v74, v79
	s_delay_alu instid0(VALU_DEP_1) | instskip(SKIP_3) | instid1(VALU_DEP_1)
	v_add_f32_e32 v74, v74, v80
	s_waitcnt_depctr 0xfff
	v_cndmask_b32_e64 v83, 0, v83, s18
	v_add_f32_e32 v74, v74, v82
	v_add_f32_e32 v74, v74, v83
	ds_bpermute_b32 v84, v84, v74
	v_cmpx_gt_u32_e32 16, v96
	s_cbranch_execz .LBB574_11
; %bb.10:
	v_mul_u32_u24_e32 v96, 0x44, v91
	s_waitcnt lgkmcnt(0)
	v_add_f32_e32 v74, v74, v84
	s_delay_alu instid0(VALU_DEP_2) | instskip(NEXT) | instid1(VALU_DEP_1)
	v_lshl_add_u32 v96, v89, 2, v96
	v_add_nc_u32_e32 v84, 0x4000, v96
	ds_store_2addr_b32 v84, v73, v74 offset1:136
.LBB574_11:
	s_or_b32 exec_lo, exec_lo, s3
	v_lshlrev_b32_e32 v73, 2, v89
	s_waitcnt lgkmcnt(0)
	s_barrier
	buffer_gl0_inv
	v_cmp_eq_u32_e64 s3, 1, v91
	v_add_nc_u32_e32 v84, 0x4000, v73
	ds_load_2addr_b32 v[96:97], v84 offset1:17
	ds_load_2addr_b32 v[98:99], v84 offset0:34 offset1:51
	ds_load_2addr_b32 v[100:101], v84 offset0:68 offset1:85
	;; [unrolled: 1-line block ×4, first 2 shown]
	s_waitcnt lgkmcnt(4)
	v_max3_f32 v73, v96, 0xff7fffff, v97
	s_waitcnt lgkmcnt(3)
	s_delay_alu instid0(VALU_DEP_1) | instskip(SKIP_1) | instid1(VALU_DEP_1)
	v_max3_f32 v73, v73, v98, v99
	s_waitcnt lgkmcnt(2)
	v_max3_f32 v73, v73, v100, v101
	s_waitcnt lgkmcnt(1)
	s_delay_alu instid0(VALU_DEP_1) | instskip(NEXT) | instid1(VALU_DEP_1)
	v_max3_f32 v73, v73, v102, v103
	v_sub_f32_e32 v74, v96, v73
	v_sub_f32_e32 v98, v98, v73
	;; [unrolled: 1-line block ×3, first 2 shown]
	s_delay_alu instid0(VALU_DEP_3) | instskip(NEXT) | instid1(VALU_DEP_3)
	v_mul_f32_e32 v74, 0x3fb8aa3b, v74
	v_mul_f32_e32 v108, 0x3fb8aa3b, v98
	s_delay_alu instid0(VALU_DEP_3) | instskip(NEXT) | instid1(VALU_DEP_3)
	v_mul_f32_e32 v110, 0x3fb8aa3b, v100
	v_exp_f32_e32 v107, v74
	v_sub_f32_e32 v74, v99, v73
	v_sub_f32_e32 v106, v97, v73
	ds_load_2addr_b32 v[96:97], v84 offset0:170 offset1:187
	ds_load_2addr_b32 v[98:99], v84 offset0:204 offset1:221
	v_exp_f32_e32 v108, v108
	v_mul_f32_e32 v109, 0x3fb8aa3b, v74
	v_mul_f32_e32 v106, 0x3fb8aa3b, v106
	s_waitcnt lgkmcnt(2)
	v_fma_f32 v74, v107, v104, 0
	v_sub_f32_e32 v104, v101, v73
	s_delay_alu instid0(VALU_DEP_3)
	v_exp_f32_e32 v106, v106
	v_exp_f32_e32 v109, v109
	ds_load_2addr_b32 v[100:101], v84 offset0:238 offset1:255
	v_sub_f32_e32 v84, v102, v73
	v_mul_f32_e32 v102, 0x3fb8aa3b, v104
	v_exp_f32_e32 v104, v110
	s_waitcnt lgkmcnt(0)
	s_barrier
	v_mul_f32_e32 v84, 0x3fb8aa3b, v84
	v_exp_f32_e32 v102, v102
	v_fmac_f32_e32 v74, v106, v105
	buffer_gl0_inv
	v_exp_f32_e32 v84, v84
	v_fmac_f32_e32 v74, v108, v96
	v_sub_f32_e32 v96, v103, v73
	s_delay_alu instid0(VALU_DEP_2) | instskip(NEXT) | instid1(VALU_DEP_2)
	v_fmac_f32_e32 v74, v109, v97
	v_mul_f32_e32 v96, 0x3fb8aa3b, v96
	s_delay_alu instid0(VALU_DEP_2) | instskip(NEXT) | instid1(VALU_DEP_2)
	v_fmac_f32_e32 v74, v104, v98
	v_exp_f32_e32 v96, v96
	s_delay_alu instid0(VALU_DEP_1)
	v_fmac_f32_e32 v74, v102, v99
	s_delay_alu instid0(TRANS32_DEP_2) | instid1(VALU_DEP_1)
	v_fmac_f32_e32 v74, v84, v100
	s_waitcnt_depctr 0xfff
	v_fmac_f32_e32 v74, v96, v101
	s_delay_alu instid0(VALU_DEP_1) | instskip(NEXT) | instid1(VALU_DEP_1)
	v_add_f32_e32 v97, 0x358637bd, v74
	v_div_scale_f32 v98, null, v97, v97, 1.0
	v_div_scale_f32 v101, vcc_lo, 1.0, v97, 1.0
	s_delay_alu instid0(VALU_DEP_2) | instskip(SKIP_2) | instid1(VALU_DEP_1)
	v_rcp_f32_e32 v99, v98
	s_waitcnt_depctr 0xfff
	v_fma_f32 v100, -v98, v99, 1.0
	v_fmac_f32_e32 v99, v100, v99
	v_cndmask_b32_e64 v100, v107, v106, s3
	v_cmp_eq_u32_e64 s3, 2, v91
	s_delay_alu instid0(VALU_DEP_3) | instskip(NEXT) | instid1(VALU_DEP_2)
	v_mul_f32_e32 v103, v101, v99
	v_cndmask_b32_e64 v100, v100, v108, s3
	v_cmp_eq_u32_e64 s3, 3, v91
	s_delay_alu instid0(VALU_DEP_3) | instskip(NEXT) | instid1(VALU_DEP_2)
	v_fma_f32 v105, -v98, v103, v101
	v_cndmask_b32_e64 v100, v100, v109, s3
	v_cmp_eq_u32_e64 s3, 4, v91
	s_delay_alu instid0(VALU_DEP_3) | instskip(NEXT) | instid1(VALU_DEP_2)
	v_fmac_f32_e32 v103, v105, v99
	v_cndmask_b32_e64 v100, v100, v104, s3
	s_delay_alu instid0(VALU_DEP_2) | instskip(SKIP_1) | instid1(VALU_DEP_2)
	v_fma_f32 v98, -v98, v103, v101
	v_cmp_eq_u32_e64 s3, 5, v91
	v_div_fmas_f32 v98, v98, v99, v103
	s_delay_alu instid0(VALU_DEP_2) | instskip(SKIP_2) | instid1(VALU_DEP_3)
	v_cndmask_b32_e64 v100, v100, v102, s3
	v_cmp_eq_u32_e32 vcc_lo, 6, v91
	s_mov_b32 s3, exec_lo
	v_div_fixup_f32 v97, v98, v97, 1.0
	s_delay_alu instid0(VALU_DEP_3) | instskip(SKIP_1) | instid1(VALU_DEP_2)
	v_cndmask_b32_e32 v84, v100, v84, vcc_lo
	v_cmp_eq_u32_e32 vcc_lo, 7, v91
	v_cndmask_b32_e32 v84, v84, v96, vcc_lo
	s_delay_alu instid0(VALU_DEP_1) | instskip(NEXT) | instid1(VALU_DEP_1)
	v_mul_f32_e32 v84, v84, v97
	v_mul_f32_e32 v97, v84, v86
	;; [unrolled: 1-line block ×6, first 2 shown]
	v_dual_mul_f32 v93, v84, v87 :: v_dual_and_b32 v98, 0x7f800000, v97
	v_mul_f32_e32 v96, v84, v92
	v_mul_f32_e32 v92, v84, v85
                                        ; implicit-def: $vgpr85
	s_delay_alu instid0(VALU_DEP_3)
	v_cmpx_ne_u32_e32 0x7f800000, v98
	s_xor_b32 s3, exec_lo, s3
; %bb.12:
	v_bfe_u32 v85, v97, 16, 1
	s_delay_alu instid0(VALU_DEP_1)
	v_add3_u32 v85, v97, v85, 0x7fff
                                        ; implicit-def: $vgpr97
; %bb.13:
	s_and_not1_saveexec_b32 s3, s3
; %bb.14:
	v_and_b32_e32 v85, 0xffff, v97
	v_or_b32_e32 v87, 0x10000, v97
	s_delay_alu instid0(VALU_DEP_2) | instskip(NEXT) | instid1(VALU_DEP_2)
	v_cmp_eq_u32_e32 vcc_lo, 0, v85
	v_cndmask_b32_e32 v85, v87, v97, vcc_lo
; %bb.15:
	s_or_b32 exec_lo, exec_lo, s3
	v_and_b32_e32 v87, 0x7f800000, v92
	s_delay_alu instid0(VALU_DEP_1) | instskip(SKIP_1) | instid1(SALU_CYCLE_1)
	v_cmp_ne_u32_e32 vcc_lo, 0x7f800000, v87
                                        ; implicit-def: $vgpr87
	s_and_saveexec_b32 s3, vcc_lo
	s_xor_b32 s3, exec_lo, s3
; %bb.16:
	v_bfe_u32 v87, v92, 16, 1
	s_delay_alu instid0(VALU_DEP_1)
	v_add3_u32 v87, v92, v87, 0x7fff
                                        ; implicit-def: $vgpr92
; %bb.17:
	s_and_not1_saveexec_b32 s3, s3
; %bb.18:
	v_and_b32_e32 v87, 0xffff, v92
	v_or_b32_e32 v97, 0x10000, v92
	s_delay_alu instid0(VALU_DEP_2) | instskip(NEXT) | instid1(VALU_DEP_2)
	v_cmp_eq_u32_e32 vcc_lo, 0, v87
	v_cndmask_b32_e32 v87, v97, v92, vcc_lo
; %bb.19:
	s_or_b32 exec_lo, exec_lo, s3
	v_and_b32_e32 v92, 0x7f800000, v93
	s_delay_alu instid0(VALU_DEP_1) | instskip(SKIP_1) | instid1(SALU_CYCLE_1)
	v_cmp_ne_u32_e32 vcc_lo, 0x7f800000, v92
                                        ; implicit-def: $vgpr92
	s_and_saveexec_b32 s3, vcc_lo
	s_xor_b32 s3, exec_lo, s3
; %bb.20:
	v_bfe_u32 v92, v93, 16, 1
	s_delay_alu instid0(VALU_DEP_1)
	v_add3_u32 v92, v93, v92, 0x7fff
                                        ; implicit-def: $vgpr93
; %bb.21:
	s_and_not1_saveexec_b32 s3, s3
; %bb.22:
	v_and_b32_e32 v92, 0xffff, v93
	v_or_b32_e32 v97, 0x10000, v93
	s_delay_alu instid0(VALU_DEP_2) | instskip(NEXT) | instid1(VALU_DEP_2)
	v_cmp_eq_u32_e32 vcc_lo, 0, v92
	v_cndmask_b32_e32 v92, v97, v93, vcc_lo
; %bb.23:
	s_or_b32 exec_lo, exec_lo, s3
	v_and_b32_e32 v93, 0x7f800000, v96
	s_delay_alu instid0(VALU_DEP_1) | instskip(SKIP_1) | instid1(SALU_CYCLE_1)
	v_cmp_ne_u32_e32 vcc_lo, 0x7f800000, v93
                                        ; implicit-def: $vgpr93
	s_and_saveexec_b32 s3, vcc_lo
	s_xor_b32 s3, exec_lo, s3
; %bb.24:
	v_bfe_u32 v93, v96, 16, 1
	s_delay_alu instid0(VALU_DEP_1)
	v_add3_u32 v93, v96, v93, 0x7fff
                                        ; implicit-def: $vgpr96
; %bb.25:
	s_and_not1_saveexec_b32 s3, s3
; %bb.26:
	v_and_b32_e32 v93, 0xffff, v96
	v_or_b32_e32 v97, 0x10000, v96
	s_delay_alu instid0(VALU_DEP_2) | instskip(NEXT) | instid1(VALU_DEP_2)
	v_cmp_eq_u32_e32 vcc_lo, 0, v93
	v_cndmask_b32_e32 v93, v97, v96, vcc_lo
; %bb.27:
	s_or_b32 exec_lo, exec_lo, s3
	v_and_b32_e32 v96, 0x7f800000, v95
	s_delay_alu instid0(VALU_DEP_1) | instskip(SKIP_1) | instid1(SALU_CYCLE_1)
	v_cmp_ne_u32_e32 vcc_lo, 0x7f800000, v96
                                        ; implicit-def: $vgpr96
	s_and_saveexec_b32 s3, vcc_lo
	s_xor_b32 s3, exec_lo, s3
; %bb.28:
	v_bfe_u32 v96, v95, 16, 1
	s_delay_alu instid0(VALU_DEP_1)
	v_add3_u32 v96, v95, v96, 0x7fff
                                        ; implicit-def: $vgpr95
; %bb.29:
	s_and_not1_saveexec_b32 s3, s3
; %bb.30:
	v_and_b32_e32 v96, 0xffff, v95
	v_or_b32_e32 v97, 0x10000, v95
	s_delay_alu instid0(VALU_DEP_2) | instskip(NEXT) | instid1(VALU_DEP_2)
	v_cmp_eq_u32_e32 vcc_lo, 0, v96
	v_cndmask_b32_e32 v96, v97, v95, vcc_lo
; %bb.31:
	s_or_b32 exec_lo, exec_lo, s3
	v_and_b32_e32 v95, 0x7f800000, v94
	s_delay_alu instid0(VALU_DEP_1) | instskip(SKIP_1) | instid1(SALU_CYCLE_1)
	v_cmp_ne_u32_e32 vcc_lo, 0x7f800000, v95
                                        ; implicit-def: $vgpr95
	s_and_saveexec_b32 s3, vcc_lo
	s_xor_b32 s3, exec_lo, s3
; %bb.32:
	v_bfe_u32 v95, v94, 16, 1
	s_delay_alu instid0(VALU_DEP_1)
	v_add3_u32 v95, v94, v95, 0x7fff
                                        ; implicit-def: $vgpr94
; %bb.33:
	s_and_not1_saveexec_b32 s3, s3
; %bb.34:
	v_and_b32_e32 v95, 0xffff, v94
	v_or_b32_e32 v97, 0x10000, v94
	s_delay_alu instid0(VALU_DEP_2) | instskip(NEXT) | instid1(VALU_DEP_2)
	v_cmp_eq_u32_e32 vcc_lo, 0, v95
	v_cndmask_b32_e32 v95, v97, v94, vcc_lo
; %bb.35:
	s_or_b32 exec_lo, exec_lo, s3
	v_and_b32_e32 v94, 0x7f800000, v88
	s_delay_alu instid0(VALU_DEP_1) | instskip(SKIP_1) | instid1(SALU_CYCLE_1)
	v_cmp_ne_u32_e32 vcc_lo, 0x7f800000, v94
                                        ; implicit-def: $vgpr94
	s_and_saveexec_b32 s3, vcc_lo
	s_xor_b32 s3, exec_lo, s3
; %bb.36:
	v_bfe_u32 v94, v88, 16, 1
	s_delay_alu instid0(VALU_DEP_1)
	v_add3_u32 v94, v88, v94, 0x7fff
                                        ; implicit-def: $vgpr88
; %bb.37:
	s_and_not1_saveexec_b32 s3, s3
; %bb.38:
	v_and_b32_e32 v94, 0xffff, v88
	v_or_b32_e32 v97, 0x10000, v88
	s_delay_alu instid0(VALU_DEP_2) | instskip(NEXT) | instid1(VALU_DEP_2)
	v_cmp_eq_u32_e32 vcc_lo, 0, v94
	v_cndmask_b32_e32 v94, v97, v88, vcc_lo
; %bb.39:
	s_or_b32 exec_lo, exec_lo, s3
	v_and_b32_e32 v88, 0x7f800000, v86
	s_delay_alu instid0(VALU_DEP_1) | instskip(SKIP_1) | instid1(SALU_CYCLE_1)
	v_cmp_ne_u32_e32 vcc_lo, 0x7f800000, v88
                                        ; implicit-def: $vgpr88
	s_and_saveexec_b32 s3, vcc_lo
	s_xor_b32 s3, exec_lo, s3
; %bb.40:
	v_bfe_u32 v88, v86, 16, 1
	s_delay_alu instid0(VALU_DEP_1)
	v_add3_u32 v88, v86, v88, 0x7fff
                                        ; implicit-def: $vgpr86
; %bb.41:
	s_and_not1_saveexec_b32 s3, s3
; %bb.42:
	v_and_b32_e32 v88, 0xffff, v86
	v_or_b32_e32 v97, 0x10000, v86
	s_delay_alu instid0(VALU_DEP_2) | instskip(NEXT) | instid1(VALU_DEP_2)
	v_cmp_eq_u32_e32 vcc_lo, 0, v88
	v_cndmask_b32_e32 v88, v97, v86, vcc_lo
; %bb.43:
	s_or_b32 exec_lo, exec_lo, s3
	s_load_b64 s[36:37], s[0:1], 0x94
	v_lshlrev_b32_e32 v86, 4, v81
	s_delay_alu instid0(VALU_DEP_2)
	v_perm_b32 v97, v88, v94, 0x7060302
	v_lshlrev_b32_e32 v88, 11, v91
	v_perm_b32 v94, v87, v85, 0x7060302
	v_mul_f32_e32 v85, v84, v78
	v_mul_f32_e32 v87, v84, v75
	v_perm_b32 v96, v95, v96, 0x7060302
	v_perm_b32 v95, v93, v92, 0x7060302
	v_or3_b32 v75, v86, v88, v90
	v_mul_f32_e32 v83, v84, v83
	v_mul_f32_e32 v82, v84, v82
	;; [unrolled: 1-line block ×3, first 2 shown]
	v_and_b32_e32 v88, 0x7f800000, v87
	v_mul_f32_e32 v79, v84, v79
	v_mul_f32_e32 v86, v84, v77
	;; [unrolled: 1-line block ×3, first 2 shown]
	s_mov_b32 s3, exec_lo
	ds_store_b128 v75, v[94:97]
                                        ; implicit-def: $vgpr76
	v_cmpx_ne_u32_e32 0x7f800000, v88
	s_xor_b32 s3, exec_lo, s3
; %bb.44:
	v_bfe_u32 v76, v87, 16, 1
	s_delay_alu instid0(VALU_DEP_1)
	v_add3_u32 v76, v87, v76, 0x7fff
                                        ; implicit-def: $vgpr87
; %bb.45:
	s_and_not1_saveexec_b32 s3, s3
; %bb.46:
	v_and_b32_e32 v76, 0xffff, v87
	v_or_b32_e32 v77, 0x10000, v87
	s_delay_alu instid0(VALU_DEP_2) | instskip(NEXT) | instid1(VALU_DEP_2)
	v_cmp_eq_u32_e32 vcc_lo, 0, v76
	v_cndmask_b32_e32 v76, v77, v87, vcc_lo
; %bb.47:
	s_or_b32 exec_lo, exec_lo, s3
	v_and_b32_e32 v77, 0x7f800000, v78
	s_delay_alu instid0(VALU_DEP_1) | instskip(SKIP_1) | instid1(SALU_CYCLE_1)
	v_cmp_ne_u32_e32 vcc_lo, 0x7f800000, v77
                                        ; implicit-def: $vgpr77
	s_and_saveexec_b32 s3, vcc_lo
	s_xor_b32 s3, exec_lo, s3
; %bb.48:
	v_bfe_u32 v77, v78, 16, 1
	s_delay_alu instid0(VALU_DEP_1)
	v_add3_u32 v77, v78, v77, 0x7fff
                                        ; implicit-def: $vgpr78
; %bb.49:
	s_and_not1_saveexec_b32 s3, s3
; %bb.50:
	v_and_b32_e32 v77, 0xffff, v78
	v_or_b32_e32 v84, 0x10000, v78
	s_delay_alu instid0(VALU_DEP_2) | instskip(NEXT) | instid1(VALU_DEP_2)
	v_cmp_eq_u32_e32 vcc_lo, 0, v77
	v_cndmask_b32_e32 v77, v84, v78, vcc_lo
; %bb.51:
	s_or_b32 exec_lo, exec_lo, s3
	v_and_b32_e32 v78, 0x7f800000, v86
	s_delay_alu instid0(VALU_DEP_1) | instskip(SKIP_1) | instid1(SALU_CYCLE_1)
	v_cmp_ne_u32_e32 vcc_lo, 0x7f800000, v78
                                        ; implicit-def: $vgpr78
	s_and_saveexec_b32 s3, vcc_lo
	s_xor_b32 s3, exec_lo, s3
; %bb.52:
	v_bfe_u32 v78, v86, 16, 1
	s_delay_alu instid0(VALU_DEP_1)
	v_add3_u32 v78, v86, v78, 0x7fff
                                        ; implicit-def: $vgpr86
; %bb.53:
	s_and_not1_saveexec_b32 s3, s3
; %bb.54:
	v_and_b32_e32 v78, 0xffff, v86
	v_or_b32_e32 v84, 0x10000, v86
	s_delay_alu instid0(VALU_DEP_2) | instskip(NEXT) | instid1(VALU_DEP_2)
	v_cmp_eq_u32_e32 vcc_lo, 0, v78
	v_cndmask_b32_e32 v78, v84, v86, vcc_lo
; %bb.55:
	s_or_b32 exec_lo, exec_lo, s3
	v_and_b32_e32 v84, 0x7f800000, v85
	s_delay_alu instid0(VALU_DEP_1) | instskip(SKIP_1) | instid1(SALU_CYCLE_1)
	v_cmp_ne_u32_e32 vcc_lo, 0x7f800000, v84
                                        ; implicit-def: $vgpr84
	s_and_saveexec_b32 s3, vcc_lo
	s_xor_b32 s3, exec_lo, s3
; %bb.56:
	v_bfe_u32 v84, v85, 16, 1
	s_delay_alu instid0(VALU_DEP_1)
	v_add3_u32 v84, v85, v84, 0x7fff
                                        ; implicit-def: $vgpr85
; %bb.57:
	s_and_not1_saveexec_b32 s3, s3
; %bb.58:
	v_and_b32_e32 v84, 0xffff, v85
	v_or_b32_e32 v86, 0x10000, v85
	s_delay_alu instid0(VALU_DEP_2) | instskip(NEXT) | instid1(VALU_DEP_2)
	v_cmp_eq_u32_e32 vcc_lo, 0, v84
	v_cndmask_b32_e32 v84, v86, v85, vcc_lo
; %bb.59:
	s_or_b32 exec_lo, exec_lo, s3
	v_and_b32_e32 v85, 0x7f800000, v79
	s_delay_alu instid0(VALU_DEP_1) | instskip(SKIP_1) | instid1(SALU_CYCLE_1)
	v_cmp_ne_u32_e32 vcc_lo, 0x7f800000, v85
                                        ; implicit-def: $vgpr85
	s_and_saveexec_b32 s3, vcc_lo
	s_xor_b32 s3, exec_lo, s3
; %bb.60:
	v_bfe_u32 v85, v79, 16, 1
	s_delay_alu instid0(VALU_DEP_1)
	v_add3_u32 v85, v79, v85, 0x7fff
                                        ; implicit-def: $vgpr79
; %bb.61:
	s_and_not1_saveexec_b32 s3, s3
; %bb.62:
	v_and_b32_e32 v85, 0xffff, v79
	v_or_b32_e32 v86, 0x10000, v79
	s_delay_alu instid0(VALU_DEP_2) | instskip(NEXT) | instid1(VALU_DEP_2)
	v_cmp_eq_u32_e32 vcc_lo, 0, v85
	v_cndmask_b32_e32 v85, v86, v79, vcc_lo
; %bb.63:
	s_or_b32 exec_lo, exec_lo, s3
	v_and_b32_e32 v79, 0x7f800000, v80
	s_delay_alu instid0(VALU_DEP_1) | instskip(SKIP_1) | instid1(SALU_CYCLE_1)
	v_cmp_ne_u32_e32 vcc_lo, 0x7f800000, v79
                                        ; implicit-def: $vgpr79
	s_and_saveexec_b32 s3, vcc_lo
	s_xor_b32 s3, exec_lo, s3
; %bb.64:
	v_bfe_u32 v79, v80, 16, 1
	s_delay_alu instid0(VALU_DEP_1)
	v_add3_u32 v79, v80, v79, 0x7fff
                                        ; implicit-def: $vgpr80
; %bb.65:
	s_and_not1_saveexec_b32 s3, s3
; %bb.66:
	v_and_b32_e32 v79, 0xffff, v80
	v_or_b32_e32 v86, 0x10000, v80
	s_delay_alu instid0(VALU_DEP_2) | instskip(NEXT) | instid1(VALU_DEP_2)
	v_cmp_eq_u32_e32 vcc_lo, 0, v79
	v_cndmask_b32_e32 v79, v86, v80, vcc_lo
; %bb.67:
	s_or_b32 exec_lo, exec_lo, s3
	v_and_b32_e32 v80, 0x7f800000, v82
	s_delay_alu instid0(VALU_DEP_1) | instskip(SKIP_1) | instid1(SALU_CYCLE_1)
	v_cmp_ne_u32_e32 vcc_lo, 0x7f800000, v80
                                        ; implicit-def: $vgpr80
	s_and_saveexec_b32 s3, vcc_lo
	s_xor_b32 s3, exec_lo, s3
; %bb.68:
	v_bfe_u32 v80, v82, 16, 1
	s_delay_alu instid0(VALU_DEP_1)
	v_add3_u32 v80, v82, v80, 0x7fff
                                        ; implicit-def: $vgpr82
; %bb.69:
	s_and_not1_saveexec_b32 s3, s3
; %bb.70:
	v_and_b32_e32 v80, 0xffff, v82
	v_or_b32_e32 v86, 0x10000, v82
	s_delay_alu instid0(VALU_DEP_2) | instskip(NEXT) | instid1(VALU_DEP_2)
	v_cmp_eq_u32_e32 vcc_lo, 0, v80
	v_cndmask_b32_e32 v80, v86, v82, vcc_lo
; %bb.71:
	s_or_b32 exec_lo, exec_lo, s3
	v_and_b32_e32 v82, 0x7f800000, v83
	s_delay_alu instid0(VALU_DEP_1) | instskip(SKIP_1) | instid1(SALU_CYCLE_1)
	v_cmp_ne_u32_e32 vcc_lo, 0x7f800000, v82
                                        ; implicit-def: $vgpr82
	s_and_saveexec_b32 s3, vcc_lo
	s_xor_b32 s3, exec_lo, s3
; %bb.72:
	v_bfe_u32 v82, v83, 16, 1
	s_delay_alu instid0(VALU_DEP_1)
	v_add3_u32 v82, v83, v82, 0x7fff
                                        ; implicit-def: $vgpr83
; %bb.73:
	s_and_not1_saveexec_b32 s3, s3
; %bb.74:
	v_and_b32_e32 v82, 0xffff, v83
	v_or_b32_e32 v86, 0x10000, v83
	s_delay_alu instid0(VALU_DEP_2) | instskip(NEXT) | instid1(VALU_DEP_2)
	v_cmp_eq_u32_e32 vcc_lo, 0, v82
	v_cndmask_b32_e32 v82, v86, v83, vcc_lo
; %bb.75:
	s_or_b32 exec_lo, exec_lo, s3
	s_delay_alu instid0(VALU_DEP_1)
	v_perm_b32 v80, v82, v80, 0x7060302
	v_perm_b32 v79, v79, v85, 0x7060302
	;; [unrolled: 1-line block ×4, first 2 shown]
	v_lshl_or_b32 v86, v91, 11, v90
	ds_store_b128 v75, v[77:80] offset:1024
	s_waitcnt lgkmcnt(0)
	s_barrier
	buffer_gl0_inv
	ds_load_b128 v[76:79], v86
	ds_load_b128 v[91:94], v86 offset:16
	s_waitcnt lgkmcnt(1)
	v_lshrrev_b32_e32 v103, 16, v79
	v_lshlrev_b32_e32 v83, 2, v81
	v_lshrrev_b32_e32 v80, 16, v76
	s_waitcnt lgkmcnt(0)
	v_lshrrev_b32_e32 v99, 16, v91
	v_lshrrev_b32_e32 v106, 16, v94
	;; [unrolled: 1-line block ×3, first 2 shown]
	v_or_b32_e32 v84, 1, v83
	v_cmp_eq_u32_e32 vcc_lo, 1, v83
	v_cmp_eq_u32_e64 s4, 2, v83
	v_lshrrev_b32_e32 v104, 16, v92
	v_cmp_eq_u32_e64 s7, 3, v83
	v_cmp_eq_u32_e64 s3, 1, v84
	v_cndmask_b32_e32 v85, v76, v80, vcc_lo
	v_cndmask_b32_e32 v95, v91, v99, vcc_lo
	v_cmp_eq_u32_e64 s6, 2, v84
	v_cmp_eq_u32_e64 s8, 3, v84
	v_cndmask_b32_e64 v96, v76, v80, s3
	v_cndmask_b32_e64 v85, v85, v77, s4
	;; [unrolled: 1-line block ×3, first 2 shown]
	v_cmp_eq_u32_e64 s9, 4, v83
	v_or_b32_e32 v82, 2, v83
	v_cndmask_b32_e64 v96, v96, v77, s6
	v_cndmask_b32_e64 v85, v85, v87, s7
	;; [unrolled: 1-line block ×3, first 2 shown]
	v_lshrrev_b32_e32 v88, 16, v78
	v_lshrrev_b32_e32 v105, 16, v93
	v_cndmask_b32_e64 v97, v91, v99, s3
	v_cndmask_b32_e64 v96, v96, v87, s8
	;; [unrolled: 1-line block ×3, first 2 shown]
	v_cmp_eq_u32_e64 s10, 5, v83
	v_cndmask_b32_e64 v95, v95, v93, s9
	v_cmp_eq_u32_e64 s11, 4, v84
	v_cmp_eq_u32_e64 s5, 1, v82
	v_cndmask_b32_e64 v97, v97, v92, s6
	v_cndmask_b32_e64 v85, v85, v88, s10
	v_cmp_eq_u32_e64 s12, 6, v83
	v_cndmask_b32_e64 v96, v96, v78, s11
	v_cndmask_b32_e64 v95, v95, v105, s10
	;; [unrolled: 3-line block ×3, first 2 shown]
	v_cndmask_b32_e64 v85, v85, v79, s12
	v_cmp_eq_u32_e64 s16, 7, v83
	v_cndmask_b32_e64 v96, v96, v88, s13
	v_cndmask_b32_e64 v95, v95, v94, s12
	v_cmp_eq_u32_e64 s17, 6, v84
	v_cmp_eq_u32_e64 s18, 2, v82
	v_cndmask_b32_e64 v97, v97, v93, s11
	v_cndmask_b32_e64 v107, v85, v103, s16
	;; [unrolled: 1-line block ×6, first 2 shown]
	v_cmp_eq_u32_e64 s19, 7, v84
	v_cmp_eq_u32_e64 s20, 3, v82
	;; [unrolled: 1-line block ×4, first 2 shown]
	v_cndmask_b32_e64 v95, v95, v92, s18
	v_cndmask_b32_e64 v109, v96, v103, s19
	;; [unrolled: 1-line block ×4, first 2 shown]
	v_or_b32_e32 v85, 3, v83
	v_cndmask_b32_e64 v101, v95, v104, s20
	v_cmp_eq_u32_e64 s25, 6, v82
	v_cndmask_b32_e64 v110, v96, v94, s17
	v_cndmask_b32_e64 v100, v97, v78, s21
	ds_load_b128 v[95:98], v86 offset:1024
	v_cmp_eq_u32_e64 s22, 1, v85
	v_cmp_eq_u32_e64 s24, 2, v85
	;; [unrolled: 1-line block ×3, first 2 shown]
	v_cndmask_b32_e64 v111, v100, v88, s23
	v_cmp_eq_u32_e64 s27, 4, v85
	v_cndmask_b32_e64 v76, v76, v80, s22
	v_cndmask_b32_e64 v80, v101, v93, s21
	;; [unrolled: 1-line block ×3, first 2 shown]
	ds_load_b128 v[99:102], v86 offset:1040
	v_cmp_eq_u32_e64 s28, 7, v82
	v_cndmask_b32_e64 v76, v76, v77, s24
	v_cndmask_b32_e64 v77, v80, v105, s23
	;; [unrolled: 1-line block ×3, first 2 shown]
	v_cmp_eq_u32_e64 s29, 5, v85
	v_cmp_eq_u32_e64 s30, 6, v85
	v_cndmask_b32_e64 v76, v76, v87, s26
	v_cndmask_b32_e64 v87, v111, v79, s25
	;; [unrolled: 1-line block ×4, first 2 shown]
	s_waitcnt lgkmcnt(1)
	v_lshrrev_b32_e32 v92, 16, v95
	v_cndmask_b32_e64 v76, v76, v78, s27
	v_cndmask_b32_e64 v91, v110, v106, s19
	;; [unrolled: 1-line block ×4, first 2 shown]
	v_cndmask_b32_e32 v87, v95, v92, vcc_lo
	v_cndmask_b32_e64 v76, v76, v88, s29
	v_lshrrev_b32_e32 v93, 16, v96
	v_cndmask_b32_e64 v104, v95, v92, s3
	s_waitcnt lgkmcnt(0)
	v_lshrrev_b32_e32 v88, 16, v99
	v_cndmask_b32_e64 v87, v87, v96, s4
	v_cndmask_b32_e64 v78, v78, v105, s29
	v_cndmask_b32_e64 v76, v76, v79, s30
	v_cndmask_b32_e64 v77, v77, v106, s28
	v_cndmask_b32_e32 v105, v99, v88, vcc_lo
	v_cndmask_b32_e64 v79, v87, v93, s7
	v_cndmask_b32_e64 v87, v104, v96, s6
	v_cndmask_b32_e64 v78, v78, v94, s30
	v_lshrrev_b32_e32 v104, 16, v100
	v_cndmask_b32_e64 v94, v105, v100, s4
	v_cmp_eq_u32_e32 vcc_lo, 7, v85
	v_cndmask_b32_e64 v87, v87, v93, s8
	v_cndmask_b32_e64 v79, v79, v97, s9
	v_lshrrev_b32_e32 v105, 16, v97
	v_cndmask_b32_e64 v94, v94, v104, s7
	v_cndmask_b32_e32 v76, v76, v103, vcc_lo
	v_cndmask_b32_e32 v78, v78, v106, vcc_lo
	v_cndmask_b32_e64 v87, v87, v97, s11
	v_cndmask_b32_e64 v103, v79, v105, s10
	;; [unrolled: 1-line block ×3, first 2 shown]
	v_lshrrev_b32_e32 v106, 16, v101
	v_perm_b32 v79, v78, v76, 0x5040100
	v_cndmask_b32_e64 v76, v87, v105, s13
	v_cndmask_b32_e64 v87, v103, v98, s12
	v_lshrrev_b32_e32 v103, 16, v98
	v_cndmask_b32_e64 v94, v94, v106, s10
	v_perm_b32 v78, v77, v80, 0x5040100
	v_cndmask_b32_e64 v76, v76, v98, s17
	v_perm_b32 v77, v91, v109, 0x5040100
	v_cndmask_b32_e64 v80, v87, v103, s16
	v_cndmask_b32_e64 v87, v94, v102, s12
	;; [unrolled: 1-line block ×13, first 2 shown]
	v_lshrrev_b32_e32 v91, 16, v102
	v_cndmask_b32_e64 v76, v76, v93, s20
	v_cndmask_b32_e64 v92, v92, v93, s26
	;; [unrolled: 1-line block ×21, first 2 shown]
	v_cndmask_b32_e32 v92, v92, v103, vcc_lo
	v_cndmask_b32_e32 v93, v93, v91, vcc_lo
	v_cndmask_b32_e64 v96, v94, v91, s28
	v_cndmask_b32_e64 v88, v88, v91, s19
	;; [unrolled: 1-line block ×3, first 2 shown]
	v_perm_b32 v76, v108, v107, 0x5040100
	v_perm_b32 v94, v93, v92, 0x5040100
	;; [unrolled: 1-line block ×5, first 2 shown]
	s_mov_b32 s3, exec_lo
	ds_store_b128 v75, v[76:79]
	ds_store_b128 v75, v[91:94] offset:1024
	v_cmpx_eq_u32_e32 0, v0
	s_cbranch_execz .LBB574_77
; %bb.76:
	s_load_b128 s[4:7], s[0:1], 0x58
	s_mul_i32 s8, s37, s34
	v_mov_b32_e32 v75, 0
	s_add_i32 s8, s8, s15
	s_delay_alu instid0(SALU_CYCLE_1) | instskip(NEXT) | instid1(SALU_CYCLE_1)
	s_mul_i32 s8, s8, s36
	s_add_i32 s8, s8, s14
	s_delay_alu instid0(SALU_CYCLE_1) | instskip(NEXT) | instid1(SALU_CYCLE_1)
	s_ashr_i32 s9, s8, 31
	s_lshl_b64 s[8:9], s[8:9], 2
	s_waitcnt lgkmcnt(0)
	s_add_u32 s6, s6, s8
	s_addc_u32 s7, s7, s9
	s_add_u32 s4, s4, s8
	s_addc_u32 s5, s5, s9
	s_clause 0x1
	global_store_b32 v75, v73, s[6:7]
	global_store_b32 v75, v74, s[4:5]
.LBB574_77:
	s_or_b32 exec_lo, exec_lo, s3
	s_waitcnt lgkmcnt(0)
	s_waitcnt_vscnt null, 0x0
	s_barrier
	buffer_gl0_inv
	ds_load_b128 v[91:94], v90
	ds_load_b128 v[95:98], v90 offset:16
	ds_load_b128 v[103:106], v90 offset:1040
	;; [unrolled: 1-line block ×3, first 2 shown]
	v_mov_b32_e32 v73, 0
	ds_load_b128 v[111:114], v90 offset:2064
	ds_load_b128 v[107:110], v90 offset:2048
	ds_load_b128 v[119:122], v90 offset:3088
	ds_load_b128 v[115:118], v90 offset:3072
	v_mov_b32_e32 v74, v73
	v_mov_b32_e32 v75, v73
	v_mov_b32_e32 v76, v73
	v_mov_b32_e32 v77, v73
	v_mov_b32_e32 v78, v73
	v_mov_b32_e32 v79, v73
	v_mov_b32_e32 v80, v73
	s_waitcnt lgkmcnt(6)
	s_delay_alu instid0(VALU_DEP_1)
	v_wmma_f32_16x16x16_bf16 v[73:80], v[65:72], v[91:98], v[73:80]
	ds_load_b128 v[69:72], v90 offset:4112
	ds_load_b128 v[65:68], v90 offset:4096
	ds_load_b128 v[95:98], v90 offset:5136
	ds_load_b128 v[91:94], v90 offset:5120
	s_waitcnt lgkmcnt(8)
	v_wmma_f32_16x16x16_bf16 v[73:80], v[57:64], v[99:106], v[73:80]
	ds_load_b128 v[103:106], v90 offset:6160
	ds_load_b128 v[99:102], v90 offset:6144
	s_waitcnt lgkmcnt(8)
	v_wmma_f32_16x16x16_bf16 v[73:80], v[57:64], v[107:114], v[73:80]
	ds_load_b128 v[61:64], v90 offset:7184
	ds_load_b128 v[57:60], v90 offset:7168
	;; [unrolled: 1-line block ×4, first 2 shown]
	s_waitcnt lgkmcnt(10)
	v_wmma_f32_16x16x16_bf16 v[73:80], v[49:56], v[115:122], v[73:80]
	s_waitcnt lgkmcnt(8)
	s_delay_alu instid0(VALU_DEP_1)
	v_wmma_f32_16x16x16_bf16 v[73:80], v[49:56], v[65:72], v[73:80]
	ds_load_b128 v[53:56], v90 offset:9232
	ds_load_b128 v[49:52], v90 offset:9216
	;; [unrolled: 1-line block ×4, first 2 shown]
	s_waitcnt lgkmcnt(10)
	v_wmma_f32_16x16x16_bf16 v[73:80], v[41:48], v[91:98], v[73:80]
	s_waitcnt lgkmcnt(8)
	s_delay_alu instid0(VALU_DEP_1)
	v_wmma_f32_16x16x16_bf16 v[73:80], v[41:48], v[99:106], v[73:80]
	ds_load_b128 v[45:48], v90 offset:11280
	ds_load_b128 v[41:44], v90 offset:11264
	s_waitcnt lgkmcnt(8)
	v_wmma_f32_16x16x16_bf16 v[73:80], v[17:24], v[57:64], v[73:80]
	s_waitcnt lgkmcnt(6)
	s_delay_alu instid0(VALU_DEP_1)
	v_wmma_f32_16x16x16_bf16 v[73:80], v[17:24], v[107:114], v[73:80]
	ds_load_b128 v[21:24], v90 offset:12304
	ds_load_b128 v[17:20], v90 offset:12288
	s_waitcnt lgkmcnt(6)
	v_wmma_f32_16x16x16_bf16 v[73:80], v[9:16], v[49:56], v[73:80]
	ds_load_b128 v[53:56], v90 offset:13328
	ds_load_b128 v[49:52], v90 offset:13312
	s_waitcnt lgkmcnt(6)
	;; [unrolled: 4-line block ×4, first 2 shown]
	v_wmma_f32_16x16x16_bf16 v[73:80], v[1:8], v[17:24], v[73:80]
	s_waitcnt lgkmcnt(4)
	s_delay_alu instid0(VALU_DEP_1) | instskip(SKIP_1) | instid1(VALU_DEP_1)
	v_wmma_f32_16x16x16_bf16 v[73:80], v[33:40], v[49:56], v[73:80]
	s_waitcnt lgkmcnt(2)
	v_wmma_f32_16x16x16_bf16 v[73:80], v[33:40], v[9:16], v[73:80]
	s_waitcnt lgkmcnt(0)
	s_delay_alu instid0(VALU_DEP_1) | instskip(NEXT) | instid1(VALU_DEP_1)
	v_wmma_f32_16x16x16_bf16 v[73:80], v[25:32], v[41:48], v[73:80]
	v_and_b32_e32 v1, 0x7f800000, v73
	s_delay_alu instid0(VALU_DEP_1) | instskip(SKIP_1) | instid1(SALU_CYCLE_1)
	v_cmp_ne_u32_e32 vcc_lo, 0x7f800000, v1
                                        ; implicit-def: $vgpr1
	s_and_saveexec_b32 s3, vcc_lo
	s_xor_b32 s3, exec_lo, s3
; %bb.78:
	v_bfe_u32 v1, v73, 16, 1
	s_delay_alu instid0(VALU_DEP_1)
	v_add3_u32 v1, v73, v1, 0x7fff
; %bb.79:
	s_and_not1_saveexec_b32 s3, s3
; %bb.80:
	v_and_b32_e32 v1, 0xffff, v73
	v_or_b32_e32 v2, 0x10000, v73
	s_delay_alu instid0(VALU_DEP_2) | instskip(NEXT) | instid1(VALU_DEP_2)
	v_cmp_eq_u32_e32 vcc_lo, 0, v1
	v_cndmask_b32_e32 v1, v2, v73, vcc_lo
; %bb.81:
	s_or_b32 exec_lo, exec_lo, s3
	v_and_b32_e32 v2, 0x7f800000, v74
	s_delay_alu instid0(VALU_DEP_1) | instskip(SKIP_1) | instid1(SALU_CYCLE_1)
	v_cmp_ne_u32_e32 vcc_lo, 0x7f800000, v2
                                        ; implicit-def: $vgpr2
	s_and_saveexec_b32 s3, vcc_lo
	s_xor_b32 s3, exec_lo, s3
; %bb.82:
	v_bfe_u32 v2, v74, 16, 1
	s_delay_alu instid0(VALU_DEP_1)
	v_add3_u32 v2, v74, v2, 0x7fff
; %bb.83:
	s_and_not1_saveexec_b32 s3, s3
; %bb.84:
	v_and_b32_e32 v2, 0xffff, v74
	v_or_b32_e32 v3, 0x10000, v74
	s_delay_alu instid0(VALU_DEP_2) | instskip(NEXT) | instid1(VALU_DEP_2)
	v_cmp_eq_u32_e32 vcc_lo, 0, v2
	v_cndmask_b32_e32 v2, v3, v74, vcc_lo
; %bb.85:
	s_or_b32 exec_lo, exec_lo, s3
	v_and_b32_e32 v3, 0x7f800000, v75
	s_delay_alu instid0(VALU_DEP_1) | instskip(SKIP_1) | instid1(SALU_CYCLE_1)
	v_cmp_ne_u32_e32 vcc_lo, 0x7f800000, v3
                                        ; implicit-def: $vgpr3
	s_and_saveexec_b32 s3, vcc_lo
	s_xor_b32 s3, exec_lo, s3
; %bb.86:
	v_bfe_u32 v3, v75, 16, 1
	s_delay_alu instid0(VALU_DEP_1)
	v_add3_u32 v3, v75, v3, 0x7fff
; %bb.87:
	s_and_not1_saveexec_b32 s3, s3
; %bb.88:
	v_and_b32_e32 v3, 0xffff, v75
	v_or_b32_e32 v4, 0x10000, v75
	s_delay_alu instid0(VALU_DEP_2) | instskip(NEXT) | instid1(VALU_DEP_2)
	v_cmp_eq_u32_e32 vcc_lo, 0, v3
	v_cndmask_b32_e32 v3, v4, v75, vcc_lo
; %bb.89:
	s_or_b32 exec_lo, exec_lo, s3
	v_and_b32_e32 v4, 0x7f800000, v76
	s_delay_alu instid0(VALU_DEP_1) | instskip(SKIP_1) | instid1(SALU_CYCLE_1)
	v_cmp_ne_u32_e32 vcc_lo, 0x7f800000, v4
                                        ; implicit-def: $vgpr4
	s_and_saveexec_b32 s3, vcc_lo
	s_xor_b32 s3, exec_lo, s3
; %bb.90:
	v_bfe_u32 v4, v76, 16, 1
	s_delay_alu instid0(VALU_DEP_1)
	v_add3_u32 v4, v76, v4, 0x7fff
; %bb.91:
	s_and_not1_saveexec_b32 s3, s3
; %bb.92:
	v_and_b32_e32 v4, 0xffff, v76
	v_or_b32_e32 v5, 0x10000, v76
	s_delay_alu instid0(VALU_DEP_2) | instskip(NEXT) | instid1(VALU_DEP_2)
	v_cmp_eq_u32_e32 vcc_lo, 0, v4
	v_cndmask_b32_e32 v4, v5, v76, vcc_lo
; %bb.93:
	s_or_b32 exec_lo, exec_lo, s3
	v_and_b32_e32 v5, 0x7f800000, v77
	s_delay_alu instid0(VALU_DEP_1) | instskip(SKIP_1) | instid1(SALU_CYCLE_1)
	v_cmp_ne_u32_e32 vcc_lo, 0x7f800000, v5
                                        ; implicit-def: $vgpr5
	s_and_saveexec_b32 s3, vcc_lo
	s_xor_b32 s3, exec_lo, s3
; %bb.94:
	v_bfe_u32 v5, v77, 16, 1
	s_delay_alu instid0(VALU_DEP_1)
	v_add3_u32 v5, v77, v5, 0x7fff
; %bb.95:
	s_and_not1_saveexec_b32 s3, s3
; %bb.96:
	v_and_b32_e32 v5, 0xffff, v77
	v_or_b32_e32 v6, 0x10000, v77
	s_delay_alu instid0(VALU_DEP_2) | instskip(NEXT) | instid1(VALU_DEP_2)
	v_cmp_eq_u32_e32 vcc_lo, 0, v5
	v_cndmask_b32_e32 v5, v6, v77, vcc_lo
; %bb.97:
	s_or_b32 exec_lo, exec_lo, s3
	v_and_b32_e32 v6, 0x7f800000, v78
	s_delay_alu instid0(VALU_DEP_1) | instskip(SKIP_1) | instid1(SALU_CYCLE_1)
	v_cmp_ne_u32_e32 vcc_lo, 0x7f800000, v6
                                        ; implicit-def: $vgpr6
	s_and_saveexec_b32 s3, vcc_lo
	s_xor_b32 s3, exec_lo, s3
; %bb.98:
	v_bfe_u32 v6, v78, 16, 1
	s_delay_alu instid0(VALU_DEP_1)
	v_add3_u32 v6, v78, v6, 0x7fff
; %bb.99:
	s_and_not1_saveexec_b32 s3, s3
; %bb.100:
	v_and_b32_e32 v6, 0xffff, v78
	v_or_b32_e32 v7, 0x10000, v78
	s_delay_alu instid0(VALU_DEP_2) | instskip(NEXT) | instid1(VALU_DEP_2)
	v_cmp_eq_u32_e32 vcc_lo, 0, v6
	v_cndmask_b32_e32 v6, v7, v78, vcc_lo
; %bb.101:
	s_or_b32 exec_lo, exec_lo, s3
	v_and_b32_e32 v7, 0x7f800000, v79
	s_delay_alu instid0(VALU_DEP_1) | instskip(SKIP_1) | instid1(SALU_CYCLE_1)
	v_cmp_ne_u32_e32 vcc_lo, 0x7f800000, v7
                                        ; implicit-def: $vgpr7
	s_and_saveexec_b32 s3, vcc_lo
	s_xor_b32 s3, exec_lo, s3
; %bb.102:
	v_bfe_u32 v7, v79, 16, 1
	s_delay_alu instid0(VALU_DEP_1)
	v_add3_u32 v7, v79, v7, 0x7fff
; %bb.103:
	s_and_not1_saveexec_b32 s3, s3
; %bb.104:
	v_and_b32_e32 v7, 0xffff, v79
	v_or_b32_e32 v8, 0x10000, v79
	s_delay_alu instid0(VALU_DEP_2) | instskip(NEXT) | instid1(VALU_DEP_2)
	v_cmp_eq_u32_e32 vcc_lo, 0, v7
	v_cndmask_b32_e32 v7, v8, v79, vcc_lo
; %bb.105:
	s_or_b32 exec_lo, exec_lo, s3
	v_and_b32_e32 v8, 0x7f800000, v80
	s_delay_alu instid0(VALU_DEP_1) | instskip(SKIP_1) | instid1(SALU_CYCLE_1)
	v_cmp_ne_u32_e32 vcc_lo, 0x7f800000, v8
                                        ; implicit-def: $vgpr8
	s_and_saveexec_b32 s3, vcc_lo
	s_xor_b32 s3, exec_lo, s3
; %bb.106:
	v_bfe_u32 v8, v80, 16, 1
	s_delay_alu instid0(VALU_DEP_1)
	v_add3_u32 v8, v80, v8, 0x7fff
                                        ; implicit-def: $vgpr73_vgpr74_vgpr75_vgpr76_vgpr77_vgpr78_vgpr79_vgpr80
; %bb.107:
	s_and_not1_saveexec_b32 s3, s3
; %bb.108:
	v_and_b32_e32 v8, 0xffff, v80
	v_or_b32_e32 v9, 0x10000, v80
	s_delay_alu instid0(VALU_DEP_2) | instskip(NEXT) | instid1(VALU_DEP_2)
	v_cmp_eq_u32_e32 vcc_lo, 0, v8
	v_cndmask_b32_e32 v8, v9, v80, vcc_lo
; %bb.109:
	s_or_b32 exec_lo, exec_lo, s3
	s_delay_alu instid0(VALU_DEP_1)
	v_perm_b32 v7, v8, v7, 0x7060302
	v_perm_b32 v6, v6, v5, 0x7060302
	;; [unrolled: 1-line block ×4, first 2 shown]
	v_lshl_or_b32 v9, v81, 4, v86
	s_barrier
	buffer_gl0_inv
	v_cmp_eq_u32_e32 vcc_lo, 1, v83
	ds_store_b128 v9, v[4:7]
	s_waitcnt lgkmcnt(0)
	s_barrier
	buffer_gl0_inv
	ds_load_b128 v[1:4], v86
	ds_load_b128 v[5:8], v86 offset:16
	v_cmp_eq_u32_e64 s4, 2, v83
	v_cmp_eq_u32_e64 s3, 1, v84
	;; [unrolled: 1-line block ×5, first 2 shown]
	s_waitcnt lgkmcnt(1)
	v_lshrrev_b32_e32 v10, 16, v1
	s_waitcnt lgkmcnt(0)
	v_lshrrev_b32_e32 v14, 16, v5
	v_lshrrev_b32_e32 v15, 16, v6
	;; [unrolled: 1-line block ×4, first 2 shown]
	v_cndmask_b32_e64 v20, v1, v10, s3
	v_cndmask_b32_e32 v19, v5, v14, vcc_lo
	v_cndmask_b32_e64 v21, v5, v14, s3
	v_lshrrev_b32_e32 v16, 16, v7
	v_cmp_eq_u32_e64 s3, 1, v82
	v_lshrrev_b32_e32 v13, 16, v4
	v_cndmask_b32_e64 v19, v19, v6, s4
	v_lshrrev_b32_e32 v17, 16, v8
	s_delay_alu instid0(VALU_DEP_4) | instskip(SKIP_1) | instid1(VALU_DEP_4)
	v_cndmask_b32_e64 v22, v1, v10, s3
	v_cndmask_b32_e64 v23, v5, v14, s3
	;; [unrolled: 1-line block ×3, first 2 shown]
	v_cndmask_b32_e32 v18, v1, v10, vcc_lo
	v_cmp_eq_u32_e32 vcc_lo, 2, v84
	v_cmp_eq_u32_e64 s3, 2, v85
	v_cndmask_b32_e64 v22, v22, v2, s7
	v_cndmask_b32_e32 v20, v20, v2, vcc_lo
	v_cndmask_b32_e32 v21, v21, v6, vcc_lo
	v_cmp_eq_u32_e32 vcc_lo, 4, v83
	v_cndmask_b32_e32 v19, v19, v7, vcc_lo
	v_cndmask_b32_e64 v18, v18, v2, s4
	v_cmp_eq_u32_e64 s4, 3, v84
	s_delay_alu instid0(VALU_DEP_2) | instskip(NEXT) | instid1(VALU_DEP_2)
	v_cndmask_b32_e64 v18, v18, v11, s5
	v_cndmask_b32_e64 v21, v21, v15, s4
	v_cmp_eq_u32_e64 s5, 5, v83
	s_delay_alu instid0(VALU_DEP_3) | instskip(SKIP_1) | instid1(VALU_DEP_3)
	v_cndmask_b32_e32 v18, v18, v3, vcc_lo
	v_cmp_eq_u32_e32 vcc_lo, 4, v84
	v_cndmask_b32_e64 v19, v19, v16, s5
	s_delay_alu instid0(VALU_DEP_3) | instskip(SKIP_4) | instid1(VALU_DEP_3)
	v_cndmask_b32_e64 v18, v18, v12, s5
	v_cndmask_b32_e32 v21, v21, v7, vcc_lo
	v_cndmask_b32_e64 v20, v20, v11, s4
	v_cmp_eq_u32_e64 s4, 5, v84
	v_cmp_eq_u32_e64 s5, 6, v83
	v_cndmask_b32_e32 v20, v20, v3, vcc_lo
	s_delay_alu instid0(VALU_DEP_3) | instskip(SKIP_1) | instid1(VALU_DEP_4)
	v_cndmask_b32_e64 v21, v21, v16, s4
	v_cmp_eq_u32_e32 vcc_lo, 6, v84
	v_cndmask_b32_e64 v18, v18, v4, s5
	v_cndmask_b32_e64 v19, v19, v8, s5
	;; [unrolled: 1-line block ×3, first 2 shown]
	v_cmp_eq_u32_e64 s4, 1, v85
	v_cmp_eq_u32_e64 s5, 7, v83
	s_delay_alu instid0(VALU_DEP_3) | instskip(NEXT) | instid1(VALU_DEP_3)
	v_cndmask_b32_e32 v20, v20, v4, vcc_lo
	v_cndmask_b32_e64 v1, v1, v10, s4
	v_cndmask_b32_e64 v5, v5, v14, s4
	v_cmp_eq_u32_e64 s4, 3, v82
	v_cndmask_b32_e64 v14, v23, v6, s7
	v_cmp_eq_u32_e64 s7, 3, v85
	v_cndmask_b32_e64 v1, v1, v2, s3
	v_cndmask_b32_e64 v2, v5, v6, s3
	v_cndmask_b32_e64 v10, v22, v11, s4
	v_cmp_eq_u32_e64 s3, 4, v82
	v_cndmask_b32_e64 v6, v14, v15, s4
	v_cndmask_b32_e64 v1, v1, v11, s7
	v_cmp_eq_u32_e64 s4, 4, v85
	v_cndmask_b32_e64 v2, v2, v15, s7
	v_cndmask_b32_e64 v5, v10, v3, s3
	;; [unrolled: 3-line block ×3, first 2 shown]
	v_cndmask_b32_e64 v2, v2, v7, s4
	v_cmp_eq_u32_e64 s3, 5, v85
	v_cndmask_b32_e64 v5, v5, v12, s7
	v_cndmask_b32_e64 v3, v6, v16, s7
	v_cmp_eq_u32_e64 s7, 6, v85
	v_cmp_eq_u32_e64 s4, 6, v82
	v_cndmask_b32_e64 v1, v1, v12, s3
	v_cndmask_b32_e64 v2, v2, v16, s3
	v_cmp_eq_u32_e64 s3, 7, v85
	v_cndmask_b32_e64 v18, v18, v13, s5
	v_cndmask_b32_e64 v5, v5, v4, s4
	;; [unrolled: 1-line block ×5, first 2 shown]
	v_cmp_eq_u32_e64 s4, 7, v82
	v_cndmask_b32_e32 v4, v21, v8, vcc_lo
	v_cndmask_b32_e64 v1, v1, v13, s3
	v_cndmask_b32_e64 v2, v2, v17, s3
	v_cmp_lt_u32_e32 vcc_lo, 31, v0
	v_cmp_lt_u32_e64 s3, 7, v89
	v_cndmask_b32_e64 v20, v20, v13, s6
	v_cndmask_b32_e64 v5, v5, v13, s4
	;; [unrolled: 1-line block ×5, first 2 shown]
	s_or_b32 s3, vcc_lo, s3
	v_perm_b32 v4, v2, v1, 0x5040100
	v_perm_b32 v3, v3, v5, 0x5040100
	v_perm_b32 v2, v6, v20, 0x5040100
	v_perm_b32 v1, v7, v18, 0x5040100
	s_or_b32 s2, s2, s3
	s_delay_alu instid0(SALU_CYCLE_1)
	s_xor_b32 s2, s2, -1
	ds_store_b128 v9, v[1:4]
	s_waitcnt lgkmcnt(0)
	s_barrier
	buffer_gl0_inv
	s_and_saveexec_b32 s3, s2
	s_cbranch_execz .LBB574_2
; %bb.110:
	s_load_b64 s[0:1], s[0:1], 0x68
	v_lshlrev_b32_e32 v1, 10, v0
	v_and_b32_e32 v0, 1, v0
	v_lshlrev_b32_e32 v2, 6, v81
	s_lshl_b32 s4, s36, 6
	v_lshlrev_b32_e32 v4, 3, v89
	v_and_b32_e32 v1, 0x3800, v1
	v_lshlrev_b32_e32 v0, 4, v0
	s_mul_i32 s2, s4, s34
	s_delay_alu instid0(SALU_CYCLE_1) | instskip(SKIP_1) | instid1(VALU_DEP_2)
	s_mul_i32 s2, s2, s37
	v_lshlrev_b32_e32 v4, 1, v4
	v_or3_b32 v0, v1, v2, v0
	s_ashr_i32 s3, s2, 31
	s_delay_alu instid0(SALU_CYCLE_1)
	s_lshl_b64 s[2:3], s[2:3], 1
	ds_load_b128 v[0:3], v0
	s_waitcnt lgkmcnt(0)
	s_add_u32 s5, s0, s2
	s_addc_u32 s3, s1, s3
	s_lshl_b32 s0, s14, 6
	s_mul_i32 s2, s4, s15
	s_ashr_i32 s1, s0, 31
	s_delay_alu instid0(SALU_CYCLE_1) | instskip(NEXT) | instid1(SALU_CYCLE_1)
	s_lshl_b64 s[0:1], s[0:1], 1
	s_add_u32 s4, s5, s0
	s_addc_u32 s5, s3, s1
	s_ashr_i32 s3, s2, 31
	s_delay_alu instid0(SALU_CYCLE_1) | instskip(NEXT) | instid1(SALU_CYCLE_1)
	s_lshl_b64 s[0:1], s[2:3], 1
	s_add_u32 s0, s4, s0
	s_addc_u32 s1, s5, s1
	global_store_b128 v4, v[0:3], s[0:1]
	s_nop 0
	s_sendmsg sendmsg(MSG_DEALLOC_VGPRS)
	s_endpgm
	.section	.rodata,"a",@progbits
	.p2align	6, 0x0
	.amdhsa_kernel _Z39paged_attention_ll4mi_QKV_mfma16_kernelI14__hip_bfloat16S0_LN4vllm18Fp8KVCacheDataTypeE0ES0_Li32ELi64ELi256ELb0ELi1EL8MFMAType0EEvPKT_PKT0_S9_ifPKiSB_SB_iPKfiiiPfSE_PS4_PT2_iSD_SD_
		.amdhsa_group_segment_fixed_size 17472
		.amdhsa_private_segment_fixed_size 0
		.amdhsa_kernarg_size 400
		.amdhsa_user_sgpr_count 13
		.amdhsa_user_sgpr_dispatch_ptr 0
		.amdhsa_user_sgpr_queue_ptr 0
		.amdhsa_user_sgpr_kernarg_segment_ptr 1
		.amdhsa_user_sgpr_dispatch_id 0
		.amdhsa_user_sgpr_private_segment_size 0
		.amdhsa_wavefront_size32 1
		.amdhsa_uses_dynamic_stack 0
		.amdhsa_enable_private_segment 0
		.amdhsa_system_sgpr_workgroup_id_x 1
		.amdhsa_system_sgpr_workgroup_id_y 1
		.amdhsa_system_sgpr_workgroup_id_z 1
		.amdhsa_system_sgpr_workgroup_info 0
		.amdhsa_system_vgpr_workitem_id 0
		.amdhsa_next_free_vgpr 138
		.amdhsa_next_free_sgpr 69
		.amdhsa_reserve_vcc 1
		.amdhsa_float_round_mode_32 0
		.amdhsa_float_round_mode_16_64 0
		.amdhsa_float_denorm_mode_32 3
		.amdhsa_float_denorm_mode_16_64 3
		.amdhsa_dx10_clamp 1
		.amdhsa_ieee_mode 1
		.amdhsa_fp16_overflow 0
		.amdhsa_workgroup_processor_mode 1
		.amdhsa_memory_ordered 1
		.amdhsa_forward_progress 0
		.amdhsa_shared_vgpr_count 0
		.amdhsa_exception_fp_ieee_invalid_op 0
		.amdhsa_exception_fp_denorm_src 0
		.amdhsa_exception_fp_ieee_div_zero 0
		.amdhsa_exception_fp_ieee_overflow 0
		.amdhsa_exception_fp_ieee_underflow 0
		.amdhsa_exception_fp_ieee_inexact 0
		.amdhsa_exception_int_div_zero 0
	.end_amdhsa_kernel
	.section	.text._Z39paged_attention_ll4mi_QKV_mfma16_kernelI14__hip_bfloat16S0_LN4vllm18Fp8KVCacheDataTypeE0ES0_Li32ELi64ELi256ELb0ELi1EL8MFMAType0EEvPKT_PKT0_S9_ifPKiSB_SB_iPKfiiiPfSE_PS4_PT2_iSD_SD_,"axG",@progbits,_Z39paged_attention_ll4mi_QKV_mfma16_kernelI14__hip_bfloat16S0_LN4vllm18Fp8KVCacheDataTypeE0ES0_Li32ELi64ELi256ELb0ELi1EL8MFMAType0EEvPKT_PKT0_S9_ifPKiSB_SB_iPKfiiiPfSE_PS4_PT2_iSD_SD_,comdat
.Lfunc_end574:
	.size	_Z39paged_attention_ll4mi_QKV_mfma16_kernelI14__hip_bfloat16S0_LN4vllm18Fp8KVCacheDataTypeE0ES0_Li32ELi64ELi256ELb0ELi1EL8MFMAType0EEvPKT_PKT0_S9_ifPKiSB_SB_iPKfiiiPfSE_PS4_PT2_iSD_SD_, .Lfunc_end574-_Z39paged_attention_ll4mi_QKV_mfma16_kernelI14__hip_bfloat16S0_LN4vllm18Fp8KVCacheDataTypeE0ES0_Li32ELi64ELi256ELb0ELi1EL8MFMAType0EEvPKT_PKT0_S9_ifPKiSB_SB_iPKfiiiPfSE_PS4_PT2_iSD_SD_
                                        ; -- End function
	.section	.AMDGPU.csdata,"",@progbits
; Kernel info:
; codeLenInByte = 9120
; NumSgprs: 71
; NumVgprs: 138
; ScratchSize: 0
; MemoryBound: 1
; FloatMode: 240
; IeeeMode: 1
; LDSByteSize: 17472 bytes/workgroup (compile time only)
; SGPRBlocks: 8
; VGPRBlocks: 17
; NumSGPRsForWavesPerEU: 71
; NumVGPRsForWavesPerEU: 138
; Occupancy: 10
; WaveLimiterHint : 1
; COMPUTE_PGM_RSRC2:SCRATCH_EN: 0
; COMPUTE_PGM_RSRC2:USER_SGPR: 13
; COMPUTE_PGM_RSRC2:TRAP_HANDLER: 0
; COMPUTE_PGM_RSRC2:TGID_X_EN: 1
; COMPUTE_PGM_RSRC2:TGID_Y_EN: 1
; COMPUTE_PGM_RSRC2:TGID_Z_EN: 1
; COMPUTE_PGM_RSRC2:TIDIG_COMP_CNT: 0
	.section	.text._Z39paged_attention_ll4mi_QKV_mfma16_kernelI14__hip_bfloat16S0_LN4vllm18Fp8KVCacheDataTypeE0ES0_Li32ELi64ELi256ELb0ELi2EL8MFMAType0EEvPKT_PKT0_S9_ifPKiSB_SB_iPKfiiiPfSE_PS4_PT2_iSD_SD_,"axG",@progbits,_Z39paged_attention_ll4mi_QKV_mfma16_kernelI14__hip_bfloat16S0_LN4vllm18Fp8KVCacheDataTypeE0ES0_Li32ELi64ELi256ELb0ELi2EL8MFMAType0EEvPKT_PKT0_S9_ifPKiSB_SB_iPKfiiiPfSE_PS4_PT2_iSD_SD_,comdat
	.protected	_Z39paged_attention_ll4mi_QKV_mfma16_kernelI14__hip_bfloat16S0_LN4vllm18Fp8KVCacheDataTypeE0ES0_Li32ELi64ELi256ELb0ELi2EL8MFMAType0EEvPKT_PKT0_S9_ifPKiSB_SB_iPKfiiiPfSE_PS4_PT2_iSD_SD_ ; -- Begin function _Z39paged_attention_ll4mi_QKV_mfma16_kernelI14__hip_bfloat16S0_LN4vllm18Fp8KVCacheDataTypeE0ES0_Li32ELi64ELi256ELb0ELi2EL8MFMAType0EEvPKT_PKT0_S9_ifPKiSB_SB_iPKfiiiPfSE_PS4_PT2_iSD_SD_
	.globl	_Z39paged_attention_ll4mi_QKV_mfma16_kernelI14__hip_bfloat16S0_LN4vllm18Fp8KVCacheDataTypeE0ES0_Li32ELi64ELi256ELb0ELi2EL8MFMAType0EEvPKT_PKT0_S9_ifPKiSB_SB_iPKfiiiPfSE_PS4_PT2_iSD_SD_
	.p2align	8
	.type	_Z39paged_attention_ll4mi_QKV_mfma16_kernelI14__hip_bfloat16S0_LN4vllm18Fp8KVCacheDataTypeE0ES0_Li32ELi64ELi256ELb0ELi2EL8MFMAType0EEvPKT_PKT0_S9_ifPKiSB_SB_iPKfiiiPfSE_PS4_PT2_iSD_SD_,@function
_Z39paged_attention_ll4mi_QKV_mfma16_kernelI14__hip_bfloat16S0_LN4vllm18Fp8KVCacheDataTypeE0ES0_Li32ELi64ELi256ELb0ELi2EL8MFMAType0EEvPKT_PKT0_S9_ifPKiSB_SB_iPKfiiiPfSE_PS4_PT2_iSD_SD_: ; @_Z39paged_attention_ll4mi_QKV_mfma16_kernelI14__hip_bfloat16S0_LN4vllm18Fp8KVCacheDataTypeE0ES0_Li32ELi64ELi256ELb0ELi2EL8MFMAType0EEvPKT_PKT0_S9_ifPKiSB_SB_iPKfiiiPfSE_PS4_PT2_iSD_SD_
; %bb.0:
	s_load_b64 s[2:3], s[0:1], 0x30
	s_mov_b32 s30, s13
	s_waitcnt lgkmcnt(0)
	s_cmp_lg_u64 s[2:3], 0
	s_cselect_b32 s6, -1, 0
	s_ashr_i32 s31, s13, 31
	s_cmp_eq_u64 s[2:3], 0
	s_cbranch_scc1 .LBB575_3
; %bb.1:
	s_lshl_b64 s[4:5], s[30:31], 2
	s_delay_alu instid0(SALU_CYCLE_1) | instskip(SKIP_4) | instid1(SALU_CYCLE_1)
	s_add_u32 s4, s2, s4
	s_addc_u32 s5, s3, s5
	s_load_b64 s[4:5], s[4:5], 0x0
	s_waitcnt lgkmcnt(0)
	s_sub_i32 s4, s5, s4
	s_cmp_eq_u32 s4, 1
	s_cselect_b32 s4, -1, 0
	s_delay_alu instid0(SALU_CYCLE_1)
	s_and_not1_b32 vcc_lo, exec_lo, s4
	s_cbranch_vccz .LBB575_4
.LBB575_2:
	s_endpgm
.LBB575_3:
.LBB575_4:
	s_load_b64 s[8:9], s[0:1], 0x28
	s_lshl_b64 s[4:5], s[30:31], 2
	s_waitcnt lgkmcnt(0)
	s_add_u32 s8, s8, s4
	s_addc_u32 s9, s9, s5
	s_lshl_b32 s16, s14, 8
	s_load_b32 s17, s[8:9], 0x0
	s_waitcnt lgkmcnt(0)
	s_cmp_ge_i32 s16, s17
	s_cbranch_scc1 .LBB575_2
; %bb.5:
	s_and_not1_b32 vcc_lo, exec_lo, s6
	s_cbranch_vccnz .LBB575_7
; %bb.6:
	s_add_u32 s2, s2, s4
	s_addc_u32 s3, s3, s5
	s_load_b32 s3, s[2:3], 0x0
	s_branch .LBB575_8
.LBB575_7:
	s_mov_b32 s3, s30
.LBB575_8:
	s_clause 0x2
	s_load_b128 s[8:11], s[0:1], 0x8
	s_load_b64 s[12:13], s[0:1], 0x20
	s_load_b128 s[4:7], s[0:1], 0x48
	v_and_b32_e32 v73, 15, v0
	v_cmp_gt_u32_e32 vcc_lo, 32, v0
	v_bfe_u32 v86, v0, 4, 1
	s_lshl_b32 s31, s15, 1
	s_delay_alu instid0(VALU_DEP_3) | instskip(SKIP_1) | instid1(VALU_DEP_2)
	v_cmp_gt_u32_e64 s2, 8, v73
	v_lshlrev_b32_e32 v1, 3, v73
	s_and_b32 s29, vcc_lo, s2
	s_delay_alu instid0(SALU_CYCLE_1) | instskip(SKIP_2) | instid1(SALU_CYCLE_1)
	s_xor_b32 s2, s29, -1
	s_waitcnt lgkmcnt(0)
	s_and_saveexec_b32 s7, s2
	s_xor_b32 s2, exec_lo, s7
; %bb.9:
	v_mov_b32_e32 v2, 0
; %bb.10:
	s_or_saveexec_b32 s2, s2
	v_and_b32_e32 v74, 31, v0
	v_and_b32_e32 v85, 1, v0
	v_or_b32_e32 v84, s31, v86
	v_lshlrev_b32_e32 v83, 6, v86
	s_xor_b32 exec_lo, exec_lo, s2
	s_cbranch_execz .LBB575_12
; %bb.11:
	s_load_b64 s[18:19], s[0:1], 0x0
	v_lshlrev_b32_e32 v2, 6, v84
	s_mul_hi_i32 s21, s3, s4
	s_mul_i32 s20, s3, s4
	v_lshlrev_b32_e32 v4, 1, v1
	s_lshl_b64 s[20:21], s[20:21], 1
	v_ashrrev_i32_e32 v3, 31, v2
	v_lshlrev_b32_e32 v7, 10, v85
	s_delay_alu instid0(VALU_DEP_2) | instskip(SKIP_3) | instid1(VALU_DEP_1)
	v_lshlrev_b64 v[2:3], 1, v[2:3]
	s_waitcnt lgkmcnt(0)
	s_add_u32 s3, s18, s20
	s_addc_u32 s4, s19, s21
	v_add_co_u32 v2, vcc_lo, s3, v2
	s_delay_alu instid0(VALU_DEP_2) | instskip(NEXT) | instid1(VALU_DEP_2)
	v_add_co_ci_u32_e32 v3, vcc_lo, s4, v3, vcc_lo
	v_add_co_u32 v2, vcc_lo, v2, v4
	s_delay_alu instid0(VALU_DEP_2) | instskip(SKIP_2) | instid1(VALU_DEP_1)
	v_add_co_ci_u32_e32 v3, vcc_lo, 0, v3, vcc_lo
	global_load_b128 v[3:6], v[2:3], off
	v_lshlrev_b32_e32 v2, 10, v73
	v_and_b32_e32 v2, 0x3800, v2
	s_delay_alu instid0(VALU_DEP_1)
	v_or3_b32 v7, v2, v7, v83
	v_mov_b32_e32 v2, 0
	s_waitcnt vmcnt(0)
	ds_store_b128 v7, v[3:6]
.LBB575_12:
	s_or_b32 exec_lo, exec_lo, s2
	v_and_b32_e32 v3, 0xef, v0
	s_add_i32 s3, s17, 31
	s_clause 0x1
	s_load_b32 s2, s[0:1], 0x38
	s_load_b32 s18, s[0:1], 0x1c
	s_ashr_i32 s4, s3, 31
	v_add_nc_u32_e32 v3, s16, v3
	s_lshr_b32 s4, s4, 27
	s_waitcnt lgkmcnt(0)
	s_add_i32 s3, s3, s4
	s_barrier
	v_ashrrev_i32_e32 v4, 31, v3
	v_cmp_gt_i32_e32 vcc_lo, s17, v3
	s_ashr_i32 s4, s3, 5
	buffer_gl0_inv
	s_add_i32 s4, s4, -1
	v_lshrrev_b32_e32 v5, 27, v4
	v_or_b32_e32 v4, 16, v3
	v_lshlrev_b64 v[81:82], 1, v[1:2]
	v_lshrrev_b32_e32 v75, 5, v0
	v_lshlrev_b32_e32 v78, 6, v85
	v_add_nc_u32_e32 v6, v3, v5
	v_add_nc_u32_e32 v5, v4, v5
	s_mul_i32 s2, s30, s2
	s_delay_alu instid0(SALU_CYCLE_1) | instskip(NEXT) | instid1(VALU_DEP_2)
	s_ashr_i32 s3, s2, 31
	v_ashrrev_i32_e32 v6, 5, v6
	s_delay_alu instid0(VALU_DEP_2) | instskip(SKIP_1) | instid1(SALU_CYCLE_1)
	v_ashrrev_i32_e32 v5, 5, v5
	s_lshl_b64 s[2:3], s[2:3], 2
	s_add_u32 s19, s12, s2
	s_delay_alu instid0(VALU_DEP_2) | instskip(SKIP_3) | instid1(SALU_CYCLE_1)
	v_cndmask_b32_e32 v3, s4, v6, vcc_lo
	v_cmp_gt_i32_e32 vcc_lo, s17, v4
	s_addc_u32 s28, s13, s3
	s_mul_i32 s2, s15, s6
	s_ashr_i32 s3, s2, 31
	v_cndmask_b32_e32 v5, s4, v5, vcc_lo
	v_ashrrev_i32_e32 v4, 31, v3
	s_lshl_b64 s[2:3], s[2:3], 1
	s_delay_alu instid0(SALU_CYCLE_1) | instskip(NEXT) | instid1(VALU_DEP_2)
	s_add_u32 s15, s8, s2
	v_ashrrev_i32_e32 v6, 31, v5
	s_delay_alu instid0(VALU_DEP_2) | instskip(SKIP_2) | instid1(VALU_DEP_2)
	v_lshlrev_b64 v[3:4], 2, v[3:4]
	s_addc_u32 s26, s9, s3
	s_lshl_b32 s6, s14, 3
	v_lshlrev_b64 v[5:6], 2, v[5:6]
	s_ashr_i32 s7, s6, 31
	s_delay_alu instid0(VALU_DEP_2) | instskip(SKIP_1) | instid1(VALU_DEP_3)
	v_add_co_u32 v3, vcc_lo, s19, v3
	v_add_co_ci_u32_e32 v4, vcc_lo, s28, v4, vcc_lo
	v_add_co_u32 v5, vcc_lo, s19, v5
	s_delay_alu instid0(VALU_DEP_4)
	v_add_co_ci_u32_e32 v6, vcc_lo, s28, v6, vcc_lo
	s_lshl_b64 s[6:7], s[6:7], 2
	s_clause 0x1
	global_load_b32 v7, v[3:4], off
	global_load_b32 v8, v[5:6], off
	s_add_u32 s6, s19, s6
	s_addc_u32 s7, s28, s7
	s_or_b32 s8, s16, 32
	s_delay_alu instid0(SALU_CYCLE_1) | instskip(SKIP_2) | instid1(SALU_CYCLE_1)
	s_ashr_i32 s9, s8, 5
	s_cmp_lt_i32 s8, s17
	s_cselect_b32 s8, s9, s4
	s_ashr_i32 s9, s8, 31
	s_delay_alu instid0(SALU_CYCLE_1) | instskip(NEXT) | instid1(SALU_CYCLE_1)
	s_lshl_b64 s[8:9], s[8:9], 2
	s_add_u32 s8, s19, s8
	s_addc_u32 s9, s28, s9
	s_or_b32 s12, s16, 64
	s_delay_alu instid0(SALU_CYCLE_1) | instskip(SKIP_2) | instid1(SALU_CYCLE_1)
	s_ashr_i32 s13, s12, 5
	s_cmp_lt_i32 s12, s17
	s_cselect_b32 s12, s13, s4
	s_ashr_i32 s13, s12, 31
	s_delay_alu instid0(SALU_CYCLE_1) | instskip(NEXT) | instid1(SALU_CYCLE_1)
	s_lshl_b64 s[12:13], s[12:13], 2
	s_add_u32 s12, s19, s12
	s_addc_u32 s13, s28, s13
	s_or_b32 s20, s16, 0x60
	s_delay_alu instid0(SALU_CYCLE_1) | instskip(SKIP_2) | instid1(SALU_CYCLE_1)
	s_ashr_i32 s21, s20, 5
	s_cmp_lt_i32 s20, s17
	s_cselect_b32 s20, s21, s4
	s_ashr_i32 s21, s20, 31
	s_delay_alu instid0(SALU_CYCLE_1) | instskip(NEXT) | instid1(SALU_CYCLE_1)
	s_lshl_b64 s[20:21], s[20:21], 2
	s_add_u32 s20, s19, s20
	s_addc_u32 s21, s28, s21
	s_or_b32 s22, s16, 0x80
	s_delay_alu instid0(SALU_CYCLE_1) | instskip(SKIP_2) | instid1(SALU_CYCLE_1)
	s_ashr_i32 s23, s22, 5
	s_cmp_lt_i32 s22, s17
	s_cselect_b32 s22, s23, s4
	s_ashr_i32 s23, s22, 31
	s_delay_alu instid0(SALU_CYCLE_1) | instskip(NEXT) | instid1(SALU_CYCLE_1)
	s_lshl_b64 s[22:23], s[22:23], 2
	s_add_u32 s22, s19, s22
	s_addc_u32 s23, s28, s23
	s_or_b32 s24, s16, 0xa0
	s_delay_alu instid0(SALU_CYCLE_1) | instskip(SKIP_2) | instid1(SALU_CYCLE_1)
	s_ashr_i32 s25, s24, 5
	s_cmp_lt_i32 s24, s17
	s_cselect_b32 s24, s25, s4
	s_ashr_i32 s25, s24, 31
	s_delay_alu instid0(SALU_CYCLE_1) | instskip(NEXT) | instid1(SALU_CYCLE_1)
	s_lshl_b64 s[24:25], s[24:25], 2
	s_add_u32 s24, s19, s24
	s_addc_u32 s25, s28, s25
	s_clause 0x5
	s_load_b32 s33, s[6:7], 0x0
	s_load_b32 s34, s[8:9], 0x0
	;; [unrolled: 1-line block ×6, first 2 shown]
	s_or_b32 s6, s16, 0xc0
	s_mov_b32 s20, 0
	s_ashr_i32 s7, s6, 5
	s_cmp_lt_i32 s6, s17
	s_mov_b32 s27, s20
	s_cselect_b32 s6, s7, s4
	s_mov_b32 s21, s20
	s_ashr_i32 s7, s6, 31
	s_mov_b32 s22, s20
	s_lshl_b64 s[6:7], s[6:7], 2
	s_mov_b32 s23, s20
	s_add_u32 s6, s19, s6
	s_addc_u32 s7, s28, s7
	s_or_b32 s12, s16, 0xe0
	s_mov_b32 s24, s20
	s_mov_b32 s25, s20
	s_waitcnt lgkmcnt(0)
	s_mul_hi_i32 s9, s33, s5
	s_mul_i32 s8, s33, s5
	s_mul_hi_i32 s13, s34, s5
	s_waitcnt vmcnt(1)
	v_mad_i64_i32 v[3:4], null, v7, s5, 0
	s_waitcnt vmcnt(0)
	v_mad_i64_i32 v[5:6], null, v8, s5, 0
	s_delay_alu instid0(VALU_DEP_2) | instskip(NEXT) | instid1(VALU_DEP_2)
	v_lshlrev_b64 v[3:4], 1, v[3:4]
	v_lshlrev_b64 v[1:2], 1, v[5:6]
	s_delay_alu instid0(VALU_DEP_2) | instskip(NEXT) | instid1(VALU_DEP_3)
	v_add_co_u32 v3, vcc_lo, s15, v3
	v_add_co_ci_u32_e32 v4, vcc_lo, s26, v4, vcc_lo
	s_delay_alu instid0(VALU_DEP_3) | instskip(NEXT) | instid1(VALU_DEP_4)
	v_add_co_u32 v1, vcc_lo, s15, v1
	v_add_co_ci_u32_e32 v2, vcc_lo, s26, v2, vcc_lo
	s_delay_alu instid0(VALU_DEP_4) | instskip(NEXT) | instid1(VALU_DEP_4)
	v_add_co_u32 v41, vcc_lo, v3, v81
	v_add_co_ci_u32_e32 v42, vcc_lo, v4, v82, vcc_lo
	s_delay_alu instid0(VALU_DEP_4) | instskip(NEXT) | instid1(VALU_DEP_4)
	v_add_co_u32 v43, vcc_lo, v1, v81
	v_add_co_ci_u32_e32 v44, vcc_lo, v2, v82, vcc_lo
	s_clause 0xf
	global_load_b128 v[1:4], v[41:42], off
	global_load_b128 v[5:8], v[41:42], off offset:512
	global_load_b128 v[9:12], v[43:44], off offset:256
	;; [unrolled: 1-line block ×15, first 2 shown]
	s_ashr_i32 s15, s12, 5
	s_mov_b32 s26, s20
	s_cmp_lt_i32 s12, s17
	v_mov_b32_e32 v119, s27
	v_dual_mov_b32 v112, s20 :: v_dual_lshlrev_b32 v87, 6, v73
	v_dual_mov_b32 v118, s26 :: v_dual_mov_b32 v117, s25
	v_dual_mov_b32 v116, s24 :: v_dual_mov_b32 v115, s23
	;; [unrolled: 1-line block ×3, first 2 shown]
	s_cselect_b32 s20, s15, s4
	v_lshl_or_b32 v49, v75, 10, v87
	s_ashr_i32 s21, s20, 31
	ds_load_b128 v[41:44], v78
	ds_load_b128 v[45:48], v78 offset:1024
	s_lshl_b64 s[20:21], s[20:21], 2
	ds_load_b128 v[120:123], v78 offset:2048
	ds_load_b128 v[124:127], v78 offset:3072
	s_add_u32 s20, s19, s20
	s_addc_u32 s21, s28, s21
	s_add_i32 s15, s16, 0x100
	ds_load_b128 v[128:131], v78 offset:4096
	ds_load_b128 v[132:135], v78 offset:5120
	s_ashr_i32 s26, s15, 5
	s_cmp_lt_i32 s15, s17
	s_load_b32 s15, s[6:7], 0x0
	s_cselect_b32 s26, s26, s4
	s_mul_i32 s12, s34, s5
	s_ashr_i32 s27, s26, 31
	s_mul_hi_i32 s23, s35, s5
	s_lshl_b64 s[26:27], s[26:27], 2
	s_mul_i32 s22, s35, s5
	s_add_u32 s26, s19, s26
	s_addc_u32 s27, s28, s27
	s_add_u32 s4, s10, s2
	s_clause 0x1
	s_load_b32 s19, s[20:21], 0x0
	s_load_b32 s26, s[26:27], 0x0
	s_addc_u32 s27, s11, s3
	v_add_co_u32 v79, s4, s4, v49
	s_delay_alu instid0(VALU_DEP_1) | instskip(SKIP_2) | instid1(VALU_DEP_2)
	v_add_co_ci_u32_e64 v80, null, s27, 0, s4
	s_lshl_b64 s[2:3], s[8:9], 1
	s_lshl_b64 s[8:9], s[12:13], 1
	v_add_co_u32 v49, vcc_lo, v79, s2
	s_delay_alu instid0(VALU_DEP_2)
	v_add_co_ci_u32_e32 v50, vcc_lo, s3, v80, vcc_lo
	v_add_co_u32 v51, vcc_lo, v79, s8
	s_lshl_b64 s[10:11], s[22:23], 1
	s_mul_hi_i32 s25, s36, s5
	s_mul_i32 s24, s36, s5
	v_add_co_ci_u32_e32 v52, vcc_lo, s9, v80, vcc_lo
	v_add_co_u32 v53, vcc_lo, v79, s10
	s_lshl_b64 s[12:13], s[24:25], 1
	s_mul_hi_i32 s7, s37, s5
	s_mul_i32 s6, s37, s5
	;; [unrolled: 5-line block ×3, first 2 shown]
	v_add_co_ci_u32_e32 v77, vcc_lo, s13, v80, vcc_lo
	s_lshl_b64 s[20:21], s[34:35], 1
	s_waitcnt lgkmcnt(0)
	s_mul_hi_i32 s23, s15, s5
	s_mul_i32 s22, s15, s5
	s_mul_hi_i32 s3, s19, s5
	s_lshl_b64 s[22:23], s[22:23], 1
	s_mul_i32 s2, s19, s5
	s_clause 0x3
	global_load_b128 v[65:68], v[49:50], off
	global_load_b128 v[69:72], v[49:50], off offset:16
	global_load_b128 v[57:60], v[51:52], off
	global_load_b128 v[61:64], v[51:52], off offset:16
	s_lshl_b64 s[2:3], s[2:3], 1
	s_clause 0x1
	global_load_b128 v[49:52], v[53:54], off
	global_load_b128 v[53:56], v[53:54], off offset:16
	s_waitcnt vmcnt(20)
	v_wmma_f32_16x16x16_bf16 v[136:143], v[1:8], v[41:48], v[112:119]
	v_add_co_u32 v1, vcc_lo, v79, s6
	v_add_co_ci_u32_e32 v2, vcc_lo, s7, v80, vcc_lo
	v_add_co_u32 v5, vcc_lo, v79, s20
	v_add_co_ci_u32_e32 v6, vcc_lo, s21, v80, vcc_lo
	s_waitcnt vmcnt(16)
	v_wmma_f32_16x16x16_bf16 v[136:143], v[17:24], v[120:127], v[136:143]
	v_add_co_u32 v17, vcc_lo, v79, s22
	v_add_co_ci_u32_e32 v18, vcc_lo, s23, v80, vcc_lo
	v_add_co_u32 v19, vcc_lo, v79, s2
	v_add_co_ci_u32_e32 v20, vcc_lo, s3, v80, vcc_lo
	s_mul_hi_i32 s3, s26, s5
	s_mul_i32 s2, s26, s5
	v_wmma_f32_16x16x16_bf16 v[112:119], v[9:16], v[41:48], v[112:119]
	s_lshl_b64 s[2:3], s[2:3], 1
	s_clause 0x3
	global_load_b128 v[41:44], v[76:77], off
	global_load_b128 v[45:48], v[76:77], off offset:16
	global_load_b128 v[9:12], v[1:2], off
	global_load_b128 v[13:16], v[1:2], off offset:16
	v_add_co_u32 v21, vcc_lo, v79, s2
	s_waitcnt vmcnt(18)
	v_wmma_f32_16x16x16_bf16 v[112:119], v[25:32], v[120:127], v[112:119]
	v_add_co_ci_u32_e32 v22, vcc_lo, s3, v80, vcc_lo
	s_waitcnt vmcnt(16)
	v_wmma_f32_16x16x16_bf16 v[136:143], v[33:40], v[128:135], v[136:143]
	s_clause 0x5
	global_load_b128 v[1:4], v[5:6], off
	global_load_b128 v[5:8], v[5:6], off offset:16
	global_load_b128 v[33:36], v[17:18], off
	global_load_b128 v[37:40], v[17:18], off offset:16
	global_load_b128 v[25:28], v[19:20], off
	global_load_b128 v[29:32], v[19:20], off offset:16
	s_waitcnt vmcnt(20)
	v_wmma_f32_16x16x16_bf16 v[112:119], v[88:95], v[128:135], v[112:119]
	ds_load_b128 v[88:91], v78 offset:6144
	ds_load_b128 v[92:95], v78 offset:7168
	s_clause 0x1
	global_load_b128 v[17:20], v[21:22], off
	global_load_b128 v[21:24], v[21:22], off offset:16
	v_and_b32_e32 v76, 0xe0, v0
	v_mbcnt_lo_u32_b32 v77, -1, 0
	s_waitcnt vmcnt(0) lgkmcnt(0)
	s_barrier
	buffer_gl0_inv
	v_add_nc_u32_e32 v76, s16, v76
	v_xor_b32_e32 v78, 16, v77
	s_delay_alu instid0(VALU_DEP_2) | instskip(NEXT) | instid1(VALU_DEP_2)
	v_or_b32_e32 v76, v76, v86
	v_cmp_gt_i32_e32 vcc_lo, 32, v78
	s_delay_alu instid0(VALU_DEP_2)
	v_or_b32_e32 v79, 4, v76
	v_or_b32_e32 v80, 6, v76
	v_wmma_f32_16x16x16_bf16 v[136:143], v[96:103], v[88:95], v[136:143]
	v_cndmask_b32_e32 v77, v77, v78, vcc_lo
	v_or_b32_e32 v78, 2, v76
	v_cmp_gt_i32_e32 vcc_lo, s17, v76
	v_wmma_f32_16x16x16_bf16 v[112:119], v[104:111], v[88:95], v[112:119]
	v_mul_f32_e32 v100, s18, v137
	v_mul_f32_e32 v98, s18, v136
	v_cmp_gt_i32_e64 s2, s17, v78
	v_or_b32_e32 v88, 8, v76
	v_or_b32_e32 v89, 10, v76
	v_or_b32_e32 v90, 12, v76
	v_or_b32_e32 v91, 14, v76
	v_or_b32_e32 v92, 16, v76
	v_or_b32_e32 v93, 18, v76
	v_or_b32_e32 v94, 20, v76
	v_or_b32_e32 v95, 22, v76
	v_or_b32_e32 v96, 24, v76
	v_or_b32_e32 v97, 26, v76
	v_or_b32_e32 v99, 28, v76
	v_or_b32_e32 v101, 30, v76
	v_cndmask_b32_e32 v76, 0xff7fffff, v98, vcc_lo
	v_cndmask_b32_e64 v78, 0xff7fffff, v100, s2
	v_mul_f32_e32 v100, s18, v139
	v_cmp_gt_i32_e64 s3, s17, v80
	v_mul_f32_e32 v80, s18, v138
	v_cmp_gt_i32_e64 s4, s17, v79
	v_dual_mul_f32 v98, s18, v143 :: v_dual_mul_f32 v79, s18, v141
	v_cmp_gt_i32_e64 s5, s17, v88
	v_cmp_gt_i32_e64 s6, s17, v89
	s_delay_alu instid0(VALU_DEP_4)
	v_cndmask_b32_e64 v80, 0xff7fffff, v80, s4
	v_mul_f32_e32 v89, s18, v118
	v_cndmask_b32_e64 v100, 0xff7fffff, v100, s3
	v_cmp_gt_i32_e64 s7, s17, v91
	v_cmp_gt_i32_e64 s8, s17, v90
	;; [unrolled: 1-line block ×10, first 2 shown]
	v_lshlrev_b32_e32 v101, 2, v77
	v_max3_f32 v76, v76, 0xff7fffff, v78
	v_dual_mul_f32 v78, s18, v140 :: v_dual_mul_f32 v91, s18, v113
	v_cndmask_b32_e64 v79, 0xff7fffff, v79, s6
	v_mul_f32_e32 v90, s18, v112
	s_delay_alu instid0(VALU_DEP_4) | instskip(NEXT) | instid1(VALU_DEP_4)
	v_max3_f32 v76, v76, v80, v100
	v_cndmask_b32_e64 v78, 0xff7fffff, v78, s5
	v_mul_f32_e32 v80, s18, v142
	v_cndmask_b32_e64 v98, 0xff7fffff, v98, s7
	v_mul_f32_e32 v92, s18, v114
	v_cndmask_b32_e64 v90, 0xff7fffff, v90, s9
	v_max3_f32 v76, v76, v78, v79
	v_cndmask_b32_e64 v80, 0xff7fffff, v80, s8
	v_mul_f32_e32 v79, s18, v115
	v_cndmask_b32_e64 v91, 0xff7fffff, v91, s10
	v_mul_f32_e32 v100, s18, v117
	v_mul_f32_e32 v78, s18, v116
	v_max3_f32 v76, v76, v80, v98
	v_cndmask_b32_e64 v80, 0xff7fffff, v92, s11
	v_cndmask_b32_e64 v79, 0xff7fffff, v79, s12
	v_mul_f32_e32 v88, s18, v119
	v_cndmask_b32_e64 v78, 0xff7fffff, v78, s13
	v_max3_f32 v76, v76, v90, v91
	v_cndmask_b32_e64 v90, 0xff7fffff, v100, s15
	s_delay_alu instid0(VALU_DEP_2) | instskip(SKIP_2) | instid1(VALU_DEP_3)
	v_max3_f32 v76, v76, v80, v79
	v_cndmask_b32_e64 v79, 0xff7fffff, v89, s16
	v_cndmask_b32_e64 v80, 0xff7fffff, v88, s17
	v_max3_f32 v76, v76, v78, v90
	s_delay_alu instid0(VALU_DEP_1) | instskip(SKIP_3) | instid1(VALU_DEP_1)
	v_max3_f32 v76, v76, v79, v80
	ds_bpermute_b32 v77, v101, v76
	s_waitcnt lgkmcnt(0)
	v_max_f32_e32 v77, v77, v77
	v_max_f32_e32 v91, v76, v77
	s_delay_alu instid0(VALU_DEP_1)
	v_fma_f32 v77, s18, v137, -v91
	v_fma_f32 v78, s18, v138, -v91
	;; [unrolled: 1-line block ×5, first 2 shown]
	v_mul_f32_e32 v77, 0x3fb8aa3b, v77
	v_fma_f32 v88, s18, v142, -v91
	v_fma_f32 v89, s18, v116, -v91
	v_mul_f32_e32 v79, 0x3fb8aa3b, v79
	v_fma_f32 v100, s18, v118, -v91
	v_exp_f32_e32 v77, v77
	s_delay_alu instid0(VALU_DEP_3) | instskip(NEXT) | instid1(VALU_DEP_3)
	v_dual_mul_f32 v88, 0x3fb8aa3b, v88 :: v_dual_mul_f32 v89, 0x3fb8aa3b, v89
	v_exp_f32_e32 v79, v79
	v_fma_f32 v102, s18, v119, -v91
	s_delay_alu instid0(VALU_DEP_2) | instskip(NEXT) | instid1(VALU_DEP_2)
	v_exp_f32_e32 v88, v88
	v_exp_f32_e32 v89, v89
	s_delay_alu instid0(VALU_DEP_1) | instskip(SKIP_3) | instid1(TRANS32_DEP_3)
	v_mul_f32_e32 v102, 0x3fb8aa3b, v102
	v_cndmask_b32_e64 v92, 0, v77, s2
	v_mul_f32_e32 v78, 0x3fb8aa3b, v78
	s_mov_b32 s2, exec_lo
	v_cndmask_b32_e64 v96, 0, v79, s3
	v_fma_f32 v79, s18, v112, -v91
	v_mul_f32_e32 v80, 0x3fb8aa3b, v80
	v_exp_f32_e32 v78, v78
	v_cndmask_b32_e64 v95, 0, v88, s8
	v_fma_f32 v88, s18, v115, -v91
	v_mul_f32_e32 v79, 0x3fb8aa3b, v79
	v_exp_f32_e32 v80, v80
	v_exp_f32_e32 v102, v102
	s_delay_alu instid0(VALU_DEP_2) | instskip(NEXT) | instid1(VALU_DEP_2)
	v_mul_f32_e32 v88, 0x3fb8aa3b, v88
	v_exp_f32_e32 v79, v79
	v_cndmask_b32_e64 v94, 0, v78, s4
	v_mul_f32_e32 v76, 0x3fb8aa3b, v76
	v_fma_f32 v78, s18, v143, -v91
	v_exp_f32_e32 v88, v88
	v_cndmask_b32_e64 v97, 0, v80, s5
	v_fma_f32 v80, s18, v113, -v91
	v_exp_f32_e32 v76, v76
	s_delay_alu instid0(VALU_DEP_1) | instskip(NEXT) | instid1(VALU_DEP_1)
	v_mul_f32_e32 v80, 0x3fb8aa3b, v80
	v_exp_f32_e32 v80, v80
	s_waitcnt_depctr 0xfff
	v_cndmask_b32_e32 v93, 0, v76, vcc_lo
	v_fma_f32 v76, s18, v141, -v91
	s_delay_alu instid0(VALU_DEP_1) | instskip(NEXT) | instid1(VALU_DEP_1)
	v_dual_add_f32 v77, 0, v93 :: v_dual_mul_f32 v76, 0x3fb8aa3b, v76
	v_add_f32_e32 v77, v77, v92
	s_delay_alu instid0(VALU_DEP_2) | instskip(NEXT) | instid1(VALU_DEP_1)
	v_exp_f32_e32 v76, v76
	v_add_f32_e32 v77, v77, v94
	s_delay_alu instid0(VALU_DEP_1) | instskip(NEXT) | instid1(VALU_DEP_1)
	v_dual_mul_f32 v78, 0x3fb8aa3b, v78 :: v_dual_add_f32 v77, v77, v96
	v_exp_f32_e32 v78, v78
	s_waitcnt_depctr 0xfff
	v_cndmask_b32_e64 v98, 0, v76, s6
	v_add_f32_e32 v76, v77, v97
	v_fma_f32 v77, s18, v114, -v91
	s_delay_alu instid0(VALU_DEP_1) | instskip(SKIP_1) | instid1(VALU_DEP_2)
	v_dual_add_f32 v76, v76, v98 :: v_dual_mul_f32 v77, 0x3fb8aa3b, v77
	v_cndmask_b32_e64 v99, 0, v78, s7
	v_add_f32_e32 v78, v76, v95
	s_delay_alu instid0(VALU_DEP_3) | instskip(SKIP_4) | instid1(VALU_DEP_1)
	v_exp_f32_e32 v90, v77
	v_cndmask_b32_e64 v76, 0, v79, s9
	v_fma_f32 v79, s18, v117, -v91
	v_cndmask_b32_e64 v77, 0, v80, s10
	v_add_f32_e32 v78, v78, v99
	v_dual_mul_f32 v79, 0x3fb8aa3b, v79 :: v_dual_add_f32 v80, v78, v76
	s_waitcnt_depctr 0xfff
	v_cndmask_b32_e64 v78, 0, v90, s11
	v_mul_f32_e32 v90, 0x3fb8aa3b, v100
	v_exp_f32_e32 v100, v79
	v_cndmask_b32_e64 v79, 0, v88, s12
	v_add_f32_e32 v80, v80, v77
	s_delay_alu instid0(VALU_DEP_3) | instskip(NEXT) | instid1(VALU_DEP_1)
	v_exp_f32_e32 v90, v90
	v_add_f32_e32 v88, v80, v78
	v_cndmask_b32_e64 v80, 0, v89, s13
	s_delay_alu instid0(VALU_DEP_2) | instskip(NEXT) | instid1(TRANS32_DEP_2)
	v_add_f32_e32 v89, v88, v79
	v_cndmask_b32_e64 v88, 0, v100, s15
	s_delay_alu instid0(VALU_DEP_2) | instskip(SKIP_3) | instid1(VALU_DEP_1)
	v_add_f32_e32 v100, v89, v80
	s_waitcnt_depctr 0xfff
	v_cndmask_b32_e64 v89, 0, v90, s16
	v_add_f32_e32 v90, v100, v88
	v_add_f32_e32 v100, v90, v89
	v_cndmask_b32_e64 v90, 0, v102, s17
	s_delay_alu instid0(VALU_DEP_1)
	v_add_f32_e32 v100, v100, v90
	ds_bpermute_b32 v101, v101, v100
	v_cmpx_gt_u32_e32 16, v74
	s_cbranch_execz .LBB575_14
; %bb.13:
	v_mul_u32_u24_e32 v74, 0x44, v75
	s_waitcnt lgkmcnt(0)
	v_add_f32_e32 v100, v100, v101
	s_delay_alu instid0(VALU_DEP_2) | instskip(NEXT) | instid1(VALU_DEP_1)
	v_lshl_add_u32 v74, v73, 2, v74
	v_add_nc_u32_e32 v74, 0x4000, v74
	ds_store_2addr_b32 v74, v91, v100 offset1:136
.LBB575_14:
	s_or_b32 exec_lo, exec_lo, s2
	v_lshlrev_b32_e32 v73, 2, v73
	s_waitcnt lgkmcnt(0)
	s_barrier
	buffer_gl0_inv
	v_cmp_eq_u32_e64 s2, 1, v75
	v_add_nc_u32_e32 v91, 0x4000, v73
	ds_load_2addr_b32 v[100:101], v91 offset1:17
	ds_load_2addr_b32 v[102:103], v91 offset0:34 offset1:51
	ds_load_2addr_b32 v[104:105], v91 offset0:68 offset1:85
	;; [unrolled: 1-line block ×4, first 2 shown]
	s_waitcnt lgkmcnt(4)
	v_max3_f32 v73, v100, 0xff7fffff, v101
	s_waitcnt lgkmcnt(3)
	s_delay_alu instid0(VALU_DEP_1) | instskip(SKIP_1) | instid1(VALU_DEP_1)
	v_max3_f32 v73, v73, v102, v103
	s_waitcnt lgkmcnt(2)
	v_max3_f32 v73, v73, v104, v105
	s_waitcnt lgkmcnt(1)
	s_delay_alu instid0(VALU_DEP_1) | instskip(NEXT) | instid1(VALU_DEP_1)
	v_max3_f32 v73, v73, v106, v107
	v_sub_f32_e32 v74, v100, v73
	v_sub_f32_e32 v102, v102, v73
	;; [unrolled: 1-line block ×3, first 2 shown]
	s_delay_alu instid0(VALU_DEP_3) | instskip(NEXT) | instid1(VALU_DEP_3)
	v_mul_f32_e32 v74, 0x3fb8aa3b, v74
	v_mul_f32_e32 v112, 0x3fb8aa3b, v102
	s_delay_alu instid0(VALU_DEP_3) | instskip(NEXT) | instid1(VALU_DEP_3)
	v_mul_f32_e32 v114, 0x3fb8aa3b, v104
	v_exp_f32_e32 v111, v74
	v_sub_f32_e32 v74, v103, v73
	v_sub_f32_e32 v110, v101, v73
	ds_load_2addr_b32 v[100:101], v91 offset0:170 offset1:187
	v_exp_f32_e32 v112, v112
	v_mul_f32_e32 v113, 0x3fb8aa3b, v74
	v_mul_f32_e32 v110, 0x3fb8aa3b, v110
	s_waitcnt lgkmcnt(1)
	v_fma_f32 v74, v111, v108, 0
	v_sub_f32_e32 v108, v105, v73
	s_delay_alu instid0(VALU_DEP_3) | instskip(SKIP_4) | instid1(VALU_DEP_1)
	v_exp_f32_e32 v110, v110
	v_exp_f32_e32 v113, v113
	s_waitcnt_depctr 0xfff
	v_fmac_f32_e32 v74, v110, v109
	s_waitcnt lgkmcnt(0)
	v_fmac_f32_e32 v74, v112, v100
	ds_load_2addr_b32 v[102:103], v91 offset0:204 offset1:221
	ds_load_2addr_b32 v[104:105], v91 offset0:238 offset1:255
	v_dual_sub_f32 v91, v106, v73 :: v_dual_mul_f32 v106, 0x3fb8aa3b, v108
	v_exp_f32_e32 v108, v114
	v_sub_f32_e32 v100, v107, v73
	s_delay_alu instid0(VALU_DEP_2) | instskip(NEXT) | instid1(VALU_DEP_3)
	v_dual_fmac_f32 v74, v113, v101 :: v_dual_mul_f32 v91, 0x3fb8aa3b, v91
	v_exp_f32_e32 v106, v106
	s_waitcnt lgkmcnt(0)
	s_delay_alu instid0(VALU_DEP_2)
	v_mul_f32_e32 v100, 0x3fb8aa3b, v100
	s_barrier
	v_exp_f32_e32 v91, v91
	buffer_gl0_inv
	v_exp_f32_e32 v100, v100
	v_fmac_f32_e32 v74, v108, v102
	s_delay_alu instid0(VALU_DEP_1) | instskip(NEXT) | instid1(VALU_DEP_1)
	v_fmac_f32_e32 v74, v106, v103
	v_fmac_f32_e32 v74, v91, v104
	s_waitcnt_depctr 0xfff
	v_fmac_f32_e32 v74, v100, v105
	s_delay_alu instid0(VALU_DEP_1) | instskip(NEXT) | instid1(VALU_DEP_1)
	v_add_f32_e32 v101, 0x358637bd, v74
	v_div_scale_f32 v102, null, v101, v101, 1.0
	v_div_scale_f32 v105, vcc_lo, 1.0, v101, 1.0
	s_delay_alu instid0(VALU_DEP_2) | instskip(SKIP_2) | instid1(VALU_DEP_1)
	v_rcp_f32_e32 v103, v102
	s_waitcnt_depctr 0xfff
	v_fma_f32 v104, -v102, v103, 1.0
	v_fmac_f32_e32 v103, v104, v103
	v_cndmask_b32_e64 v104, v111, v110, s2
	v_cmp_eq_u32_e64 s2, 2, v75
	s_delay_alu instid0(VALU_DEP_3) | instskip(NEXT) | instid1(VALU_DEP_2)
	v_mul_f32_e32 v107, v105, v103
	v_cndmask_b32_e64 v104, v104, v112, s2
	v_cmp_eq_u32_e64 s2, 3, v75
	s_delay_alu instid0(VALU_DEP_3) | instskip(NEXT) | instid1(VALU_DEP_2)
	v_fma_f32 v109, -v102, v107, v105
	v_cndmask_b32_e64 v104, v104, v113, s2
	v_cmp_eq_u32_e64 s2, 4, v75
	s_delay_alu instid0(VALU_DEP_3) | instskip(NEXT) | instid1(VALU_DEP_2)
	v_fmac_f32_e32 v107, v109, v103
	v_cndmask_b32_e64 v104, v104, v108, s2
	s_delay_alu instid0(VALU_DEP_2) | instskip(SKIP_1) | instid1(VALU_DEP_2)
	v_fma_f32 v102, -v102, v107, v105
	v_cmp_eq_u32_e64 s2, 5, v75
	v_div_fmas_f32 v102, v102, v103, v107
	s_delay_alu instid0(VALU_DEP_2) | instskip(SKIP_2) | instid1(VALU_DEP_3)
	v_cndmask_b32_e64 v104, v104, v106, s2
	v_cmp_eq_u32_e32 vcc_lo, 6, v75
	s_mov_b32 s2, exec_lo
	v_div_fixup_f32 v101, v102, v101, 1.0
	s_delay_alu instid0(VALU_DEP_3) | instskip(SKIP_1) | instid1(VALU_DEP_2)
	v_cndmask_b32_e32 v91, v104, v91, vcc_lo
	v_cmp_eq_u32_e32 vcc_lo, 7, v75
	v_cndmask_b32_e32 v91, v91, v100, vcc_lo
	s_delay_alu instid0(VALU_DEP_1) | instskip(NEXT) | instid1(VALU_DEP_1)
	v_mul_f32_e32 v91, v91, v101
	v_mul_f32_e32 v101, v91, v93
	;; [unrolled: 1-line block ×6, first 2 shown]
	v_dual_mul_f32 v97, v91, v94 :: v_dual_and_b32 v102, 0x7f800000, v101
	v_mul_f32_e32 v100, v91, v96
	v_mul_f32_e32 v96, v91, v92
                                        ; implicit-def: $vgpr92
	s_delay_alu instid0(VALU_DEP_3)
	v_cmpx_ne_u32_e32 0x7f800000, v102
	s_xor_b32 s2, exec_lo, s2
; %bb.15:
	v_bfe_u32 v92, v101, 16, 1
	s_delay_alu instid0(VALU_DEP_1)
	v_add3_u32 v92, v101, v92, 0x7fff
                                        ; implicit-def: $vgpr101
; %bb.16:
	s_and_not1_saveexec_b32 s2, s2
; %bb.17:
	v_and_b32_e32 v92, 0xffff, v101
	v_or_b32_e32 v94, 0x10000, v101
	s_delay_alu instid0(VALU_DEP_2) | instskip(NEXT) | instid1(VALU_DEP_2)
	v_cmp_eq_u32_e32 vcc_lo, 0, v92
	v_cndmask_b32_e32 v92, v94, v101, vcc_lo
; %bb.18:
	s_or_b32 exec_lo, exec_lo, s2
	v_and_b32_e32 v94, 0x7f800000, v96
	s_delay_alu instid0(VALU_DEP_1) | instskip(SKIP_1) | instid1(SALU_CYCLE_1)
	v_cmp_ne_u32_e32 vcc_lo, 0x7f800000, v94
                                        ; implicit-def: $vgpr94
	s_and_saveexec_b32 s2, vcc_lo
	s_xor_b32 s2, exec_lo, s2
; %bb.19:
	v_bfe_u32 v94, v96, 16, 1
	s_delay_alu instid0(VALU_DEP_1)
	v_add3_u32 v94, v96, v94, 0x7fff
                                        ; implicit-def: $vgpr96
; %bb.20:
	s_and_not1_saveexec_b32 s2, s2
; %bb.21:
	v_and_b32_e32 v94, 0xffff, v96
	v_or_b32_e32 v101, 0x10000, v96
	s_delay_alu instid0(VALU_DEP_2) | instskip(NEXT) | instid1(VALU_DEP_2)
	v_cmp_eq_u32_e32 vcc_lo, 0, v94
	v_cndmask_b32_e32 v94, v101, v96, vcc_lo
; %bb.22:
	s_or_b32 exec_lo, exec_lo, s2
	v_and_b32_e32 v96, 0x7f800000, v97
	s_delay_alu instid0(VALU_DEP_1) | instskip(SKIP_1) | instid1(SALU_CYCLE_1)
	v_cmp_ne_u32_e32 vcc_lo, 0x7f800000, v96
                                        ; implicit-def: $vgpr96
	s_and_saveexec_b32 s2, vcc_lo
	s_xor_b32 s2, exec_lo, s2
; %bb.23:
	v_bfe_u32 v96, v97, 16, 1
	s_delay_alu instid0(VALU_DEP_1)
	v_add3_u32 v96, v97, v96, 0x7fff
                                        ; implicit-def: $vgpr97
; %bb.24:
	s_and_not1_saveexec_b32 s2, s2
; %bb.25:
	v_and_b32_e32 v96, 0xffff, v97
	v_or_b32_e32 v101, 0x10000, v97
	s_delay_alu instid0(VALU_DEP_2) | instskip(NEXT) | instid1(VALU_DEP_2)
	v_cmp_eq_u32_e32 vcc_lo, 0, v96
	v_cndmask_b32_e32 v96, v101, v97, vcc_lo
; %bb.26:
	s_or_b32 exec_lo, exec_lo, s2
	v_and_b32_e32 v97, 0x7f800000, v100
	s_delay_alu instid0(VALU_DEP_1) | instskip(SKIP_1) | instid1(SALU_CYCLE_1)
	v_cmp_ne_u32_e32 vcc_lo, 0x7f800000, v97
                                        ; implicit-def: $vgpr97
	s_and_saveexec_b32 s2, vcc_lo
	s_xor_b32 s2, exec_lo, s2
; %bb.27:
	v_bfe_u32 v97, v100, 16, 1
	s_delay_alu instid0(VALU_DEP_1)
	v_add3_u32 v97, v100, v97, 0x7fff
                                        ; implicit-def: $vgpr100
; %bb.28:
	s_and_not1_saveexec_b32 s2, s2
; %bb.29:
	v_and_b32_e32 v97, 0xffff, v100
	v_or_b32_e32 v101, 0x10000, v100
	s_delay_alu instid0(VALU_DEP_2) | instskip(NEXT) | instid1(VALU_DEP_2)
	v_cmp_eq_u32_e32 vcc_lo, 0, v97
	v_cndmask_b32_e32 v97, v101, v100, vcc_lo
; %bb.30:
	s_or_b32 exec_lo, exec_lo, s2
	v_and_b32_e32 v100, 0x7f800000, v99
	s_delay_alu instid0(VALU_DEP_1) | instskip(SKIP_1) | instid1(SALU_CYCLE_1)
	v_cmp_ne_u32_e32 vcc_lo, 0x7f800000, v100
                                        ; implicit-def: $vgpr100
	s_and_saveexec_b32 s2, vcc_lo
	s_xor_b32 s2, exec_lo, s2
; %bb.31:
	v_bfe_u32 v100, v99, 16, 1
	s_delay_alu instid0(VALU_DEP_1)
	v_add3_u32 v100, v99, v100, 0x7fff
                                        ; implicit-def: $vgpr99
; %bb.32:
	s_and_not1_saveexec_b32 s2, s2
; %bb.33:
	v_and_b32_e32 v100, 0xffff, v99
	v_or_b32_e32 v101, 0x10000, v99
	s_delay_alu instid0(VALU_DEP_2) | instskip(NEXT) | instid1(VALU_DEP_2)
	v_cmp_eq_u32_e32 vcc_lo, 0, v100
	v_cndmask_b32_e32 v100, v101, v99, vcc_lo
; %bb.34:
	s_or_b32 exec_lo, exec_lo, s2
	v_and_b32_e32 v99, 0x7f800000, v98
	s_delay_alu instid0(VALU_DEP_1) | instskip(SKIP_1) | instid1(SALU_CYCLE_1)
	v_cmp_ne_u32_e32 vcc_lo, 0x7f800000, v99
                                        ; implicit-def: $vgpr99
	s_and_saveexec_b32 s2, vcc_lo
	s_xor_b32 s2, exec_lo, s2
; %bb.35:
	v_bfe_u32 v99, v98, 16, 1
	s_delay_alu instid0(VALU_DEP_1)
	v_add3_u32 v99, v98, v99, 0x7fff
                                        ; implicit-def: $vgpr98
; %bb.36:
	s_and_not1_saveexec_b32 s2, s2
; %bb.37:
	v_and_b32_e32 v99, 0xffff, v98
	v_or_b32_e32 v101, 0x10000, v98
	s_delay_alu instid0(VALU_DEP_2) | instskip(NEXT) | instid1(VALU_DEP_2)
	v_cmp_eq_u32_e32 vcc_lo, 0, v99
	v_cndmask_b32_e32 v99, v101, v98, vcc_lo
; %bb.38:
	s_or_b32 exec_lo, exec_lo, s2
	v_and_b32_e32 v98, 0x7f800000, v95
	s_delay_alu instid0(VALU_DEP_1) | instskip(SKIP_1) | instid1(SALU_CYCLE_1)
	v_cmp_ne_u32_e32 vcc_lo, 0x7f800000, v98
                                        ; implicit-def: $vgpr98
	s_and_saveexec_b32 s2, vcc_lo
	s_xor_b32 s2, exec_lo, s2
; %bb.39:
	v_bfe_u32 v98, v95, 16, 1
	s_delay_alu instid0(VALU_DEP_1)
	v_add3_u32 v98, v95, v98, 0x7fff
                                        ; implicit-def: $vgpr95
; %bb.40:
	s_and_not1_saveexec_b32 s2, s2
; %bb.41:
	v_and_b32_e32 v98, 0xffff, v95
	v_or_b32_e32 v101, 0x10000, v95
	s_delay_alu instid0(VALU_DEP_2) | instskip(NEXT) | instid1(VALU_DEP_2)
	v_cmp_eq_u32_e32 vcc_lo, 0, v98
	v_cndmask_b32_e32 v98, v101, v95, vcc_lo
; %bb.42:
	s_or_b32 exec_lo, exec_lo, s2
	v_and_b32_e32 v95, 0x7f800000, v93
	s_delay_alu instid0(VALU_DEP_1) | instskip(SKIP_1) | instid1(SALU_CYCLE_1)
	v_cmp_ne_u32_e32 vcc_lo, 0x7f800000, v95
                                        ; implicit-def: $vgpr95
	s_and_saveexec_b32 s2, vcc_lo
	s_xor_b32 s2, exec_lo, s2
; %bb.43:
	v_bfe_u32 v95, v93, 16, 1
	s_delay_alu instid0(VALU_DEP_1)
	v_add3_u32 v95, v93, v95, 0x7fff
                                        ; implicit-def: $vgpr93
; %bb.44:
	s_and_not1_saveexec_b32 s2, s2
; %bb.45:
	v_and_b32_e32 v95, 0xffff, v93
	v_or_b32_e32 v101, 0x10000, v93
	s_delay_alu instid0(VALU_DEP_2) | instskip(NEXT) | instid1(VALU_DEP_2)
	v_cmp_eq_u32_e32 vcc_lo, 0, v95
	v_cndmask_b32_e32 v95, v101, v93, vcc_lo
; %bb.46:
	s_or_b32 exec_lo, exec_lo, s2
	s_load_b64 s[34:35], s[0:1], 0x94
	v_lshlrev_b32_e32 v93, 4, v86
	s_delay_alu instid0(VALU_DEP_2)
	v_perm_b32 v101, v95, v98, 0x7060302
	v_dual_mul_f32 v90, v91, v90 :: v_dual_lshlrev_b32 v95, 11, v75
	v_perm_b32 v98, v94, v92, 0x7060302
	v_mul_f32_e32 v94, v91, v76
	v_perm_b32 v100, v99, v100, 0x7060302
	v_perm_b32 v99, v97, v96, 0x7060302
	v_or3_b32 v76, v93, v95, v87
	v_mul_f32_e32 v89, v91, v89
	v_dual_mul_f32 v88, v91, v88 :: v_dual_and_b32 v95, 0x7f800000, v94
	v_mul_f32_e32 v80, v91, v80
	v_mul_f32_e32 v92, v91, v79
	;; [unrolled: 1-line block ×4, first 2 shown]
	s_mov_b32 s2, exec_lo
	ds_store_b128 v76, v[98:101]
                                        ; implicit-def: $vgpr77
	v_cmpx_ne_u32_e32 0x7f800000, v95
	s_xor_b32 s2, exec_lo, s2
; %bb.47:
	v_bfe_u32 v77, v94, 16, 1
	s_delay_alu instid0(VALU_DEP_1)
	v_add3_u32 v77, v94, v77, 0x7fff
                                        ; implicit-def: $vgpr94
; %bb.48:
	s_and_not1_saveexec_b32 s2, s2
; %bb.49:
	v_and_b32_e32 v77, 0xffff, v94
	v_or_b32_e32 v78, 0x10000, v94
	s_delay_alu instid0(VALU_DEP_2) | instskip(NEXT) | instid1(VALU_DEP_2)
	v_cmp_eq_u32_e32 vcc_lo, 0, v77
	v_cndmask_b32_e32 v77, v78, v94, vcc_lo
; %bb.50:
	s_or_b32 exec_lo, exec_lo, s2
	v_and_b32_e32 v78, 0x7f800000, v79
	s_delay_alu instid0(VALU_DEP_1) | instskip(SKIP_1) | instid1(SALU_CYCLE_1)
	v_cmp_ne_u32_e32 vcc_lo, 0x7f800000, v78
                                        ; implicit-def: $vgpr78
	s_and_saveexec_b32 s2, vcc_lo
	s_xor_b32 s2, exec_lo, s2
; %bb.51:
	v_bfe_u32 v78, v79, 16, 1
	s_delay_alu instid0(VALU_DEP_1)
	v_add3_u32 v78, v79, v78, 0x7fff
                                        ; implicit-def: $vgpr79
; %bb.52:
	s_and_not1_saveexec_b32 s2, s2
; %bb.53:
	v_and_b32_e32 v78, 0xffff, v79
	v_or_b32_e32 v91, 0x10000, v79
	s_delay_alu instid0(VALU_DEP_2) | instskip(NEXT) | instid1(VALU_DEP_2)
	v_cmp_eq_u32_e32 vcc_lo, 0, v78
	v_cndmask_b32_e32 v78, v91, v79, vcc_lo
; %bb.54:
	s_or_b32 exec_lo, exec_lo, s2
	v_and_b32_e32 v79, 0x7f800000, v93
	s_delay_alu instid0(VALU_DEP_1) | instskip(SKIP_1) | instid1(SALU_CYCLE_1)
	v_cmp_ne_u32_e32 vcc_lo, 0x7f800000, v79
                                        ; implicit-def: $vgpr79
	s_and_saveexec_b32 s2, vcc_lo
	s_xor_b32 s2, exec_lo, s2
; %bb.55:
	v_bfe_u32 v79, v93, 16, 1
	s_delay_alu instid0(VALU_DEP_1)
	v_add3_u32 v79, v93, v79, 0x7fff
                                        ; implicit-def: $vgpr93
; %bb.56:
	s_and_not1_saveexec_b32 s2, s2
; %bb.57:
	v_and_b32_e32 v79, 0xffff, v93
	v_or_b32_e32 v91, 0x10000, v93
	s_delay_alu instid0(VALU_DEP_2) | instskip(NEXT) | instid1(VALU_DEP_2)
	v_cmp_eq_u32_e32 vcc_lo, 0, v79
	v_cndmask_b32_e32 v79, v91, v93, vcc_lo
; %bb.58:
	s_or_b32 exec_lo, exec_lo, s2
	v_and_b32_e32 v91, 0x7f800000, v92
	s_delay_alu instid0(VALU_DEP_1) | instskip(SKIP_1) | instid1(SALU_CYCLE_1)
	v_cmp_ne_u32_e32 vcc_lo, 0x7f800000, v91
                                        ; implicit-def: $vgpr91
	s_and_saveexec_b32 s2, vcc_lo
	s_xor_b32 s2, exec_lo, s2
; %bb.59:
	v_bfe_u32 v91, v92, 16, 1
	s_delay_alu instid0(VALU_DEP_1)
	v_add3_u32 v91, v92, v91, 0x7fff
                                        ; implicit-def: $vgpr92
; %bb.60:
	s_and_not1_saveexec_b32 s2, s2
; %bb.61:
	v_and_b32_e32 v91, 0xffff, v92
	v_or_b32_e32 v93, 0x10000, v92
	s_delay_alu instid0(VALU_DEP_2) | instskip(NEXT) | instid1(VALU_DEP_2)
	v_cmp_eq_u32_e32 vcc_lo, 0, v91
	v_cndmask_b32_e32 v91, v93, v92, vcc_lo
; %bb.62:
	s_or_b32 exec_lo, exec_lo, s2
	v_and_b32_e32 v92, 0x7f800000, v80
	s_delay_alu instid0(VALU_DEP_1) | instskip(SKIP_1) | instid1(SALU_CYCLE_1)
	v_cmp_ne_u32_e32 vcc_lo, 0x7f800000, v92
                                        ; implicit-def: $vgpr92
	s_and_saveexec_b32 s2, vcc_lo
	s_xor_b32 s2, exec_lo, s2
; %bb.63:
	v_bfe_u32 v92, v80, 16, 1
	s_delay_alu instid0(VALU_DEP_1)
	v_add3_u32 v92, v80, v92, 0x7fff
                                        ; implicit-def: $vgpr80
; %bb.64:
	s_and_not1_saveexec_b32 s2, s2
; %bb.65:
	v_and_b32_e32 v92, 0xffff, v80
	v_or_b32_e32 v93, 0x10000, v80
	s_delay_alu instid0(VALU_DEP_2) | instskip(NEXT) | instid1(VALU_DEP_2)
	v_cmp_eq_u32_e32 vcc_lo, 0, v92
	v_cndmask_b32_e32 v92, v93, v80, vcc_lo
; %bb.66:
	s_or_b32 exec_lo, exec_lo, s2
	v_and_b32_e32 v80, 0x7f800000, v88
	s_delay_alu instid0(VALU_DEP_1) | instskip(SKIP_1) | instid1(SALU_CYCLE_1)
	v_cmp_ne_u32_e32 vcc_lo, 0x7f800000, v80
                                        ; implicit-def: $vgpr80
	s_and_saveexec_b32 s2, vcc_lo
	s_xor_b32 s2, exec_lo, s2
; %bb.67:
	v_bfe_u32 v80, v88, 16, 1
	s_delay_alu instid0(VALU_DEP_1)
	v_add3_u32 v80, v88, v80, 0x7fff
                                        ; implicit-def: $vgpr88
; %bb.68:
	s_and_not1_saveexec_b32 s2, s2
; %bb.69:
	v_and_b32_e32 v80, 0xffff, v88
	v_or_b32_e32 v93, 0x10000, v88
	s_delay_alu instid0(VALU_DEP_2) | instskip(NEXT) | instid1(VALU_DEP_2)
	v_cmp_eq_u32_e32 vcc_lo, 0, v80
	v_cndmask_b32_e32 v80, v93, v88, vcc_lo
; %bb.70:
	s_or_b32 exec_lo, exec_lo, s2
	v_and_b32_e32 v88, 0x7f800000, v89
	s_delay_alu instid0(VALU_DEP_1) | instskip(SKIP_1) | instid1(SALU_CYCLE_1)
	v_cmp_ne_u32_e32 vcc_lo, 0x7f800000, v88
                                        ; implicit-def: $vgpr88
	s_and_saveexec_b32 s2, vcc_lo
	s_xor_b32 s2, exec_lo, s2
; %bb.71:
	v_bfe_u32 v88, v89, 16, 1
	s_delay_alu instid0(VALU_DEP_1)
	v_add3_u32 v88, v89, v88, 0x7fff
                                        ; implicit-def: $vgpr89
; %bb.72:
	s_and_not1_saveexec_b32 s2, s2
; %bb.73:
	v_and_b32_e32 v88, 0xffff, v89
	v_or_b32_e32 v93, 0x10000, v89
	s_delay_alu instid0(VALU_DEP_2) | instskip(NEXT) | instid1(VALU_DEP_2)
	v_cmp_eq_u32_e32 vcc_lo, 0, v88
	v_cndmask_b32_e32 v88, v93, v89, vcc_lo
; %bb.74:
	s_or_b32 exec_lo, exec_lo, s2
	v_and_b32_e32 v89, 0x7f800000, v90
	s_delay_alu instid0(VALU_DEP_1) | instskip(SKIP_1) | instid1(SALU_CYCLE_1)
	v_cmp_ne_u32_e32 vcc_lo, 0x7f800000, v89
                                        ; implicit-def: $vgpr89
	s_and_saveexec_b32 s2, vcc_lo
	s_xor_b32 s2, exec_lo, s2
; %bb.75:
	v_bfe_u32 v89, v90, 16, 1
	s_delay_alu instid0(VALU_DEP_1)
	v_add3_u32 v89, v90, v89, 0x7fff
                                        ; implicit-def: $vgpr90
; %bb.76:
	s_and_not1_saveexec_b32 s2, s2
; %bb.77:
	v_and_b32_e32 v89, 0xffff, v90
	v_or_b32_e32 v93, 0x10000, v90
	s_delay_alu instid0(VALU_DEP_2) | instskip(NEXT) | instid1(VALU_DEP_2)
	v_cmp_eq_u32_e32 vcc_lo, 0, v89
	v_cndmask_b32_e32 v89, v93, v90, vcc_lo
; %bb.78:
	s_or_b32 exec_lo, exec_lo, s2
	s_delay_alu instid0(VALU_DEP_1)
	v_perm_b32 v96, v89, v88, 0x7060302
	v_perm_b32 v95, v80, v92, 0x7060302
	;; [unrolled: 1-line block ×4, first 2 shown]
	v_lshl_or_b32 v92, v75, 11, v87
	v_lshlrev_b32_e32 v89, 2, v86
	ds_store_b128 v76, v[93:96] offset:1024
	s_waitcnt lgkmcnt(0)
	s_barrier
	buffer_gl0_inv
	ds_load_b128 v[77:80], v92
	ds_load_b128 v[93:96], v92 offset:16
	v_or_b32_e32 v90, 1, v89
	v_cmp_eq_u32_e32 vcc_lo, 1, v89
	v_cmp_eq_u32_e64 s3, 2, v89
	v_cmp_eq_u32_e64 s6, 3, v89
	v_cmp_eq_u32_e64 s8, 4, v89
	v_cmp_eq_u32_e64 s2, 1, v90
	v_cmp_eq_u32_e64 s5, 2, v90
	v_cmp_eq_u32_e64 s7, 3, v90
	v_or_b32_e32 v88, 2, v89
	v_cmp_eq_u32_e64 s9, 5, v89
	v_cmp_eq_u32_e64 s10, 4, v90
	;; [unrolled: 1-line block ×9, first 2 shown]
	s_waitcnt lgkmcnt(1)
	v_lshrrev_b32_e32 v75, 16, v77
	s_waitcnt lgkmcnt(0)
	v_lshrrev_b32_e32 v101, 16, v93
	v_lshrrev_b32_e32 v110, 16, v96
	;; [unrolled: 1-line block ×4, first 2 shown]
	v_cndmask_b32_e32 v91, v77, v75, vcc_lo
	v_cndmask_b32_e32 v97, v93, v101, vcc_lo
	v_cndmask_b32_e64 v98, v77, v75, s2
	v_lshrrev_b32_e32 v106, 16, v79
	v_lshrrev_b32_e32 v109, 16, v95
	v_cndmask_b32_e64 v91, v91, v78, s3
	v_cndmask_b32_e64 v97, v97, v94, s3
	;; [unrolled: 1-line block ×4, first 2 shown]
	v_lshrrev_b32_e32 v107, 16, v80
	v_cndmask_b32_e64 v91, v91, v105, s6
	v_cndmask_b32_e64 v97, v97, v108, s6
	;; [unrolled: 1-line block ×9, first 2 shown]
	v_cmp_eq_u32_e64 s18, 3, v88
	v_cndmask_b32_e64 v91, v91, v106, s9
	v_cndmask_b32_e64 v97, v97, v109, s9
	;; [unrolled: 1-line block ×4, first 2 shown]
	v_cmp_eq_u32_e64 s19, 4, v88
	v_cndmask_b32_e64 v91, v91, v80, s11
	v_cndmask_b32_e64 v97, v97, v96, s11
	;; [unrolled: 1-line block ×3, first 2 shown]
	v_cmp_eq_u32_e64 s21, 5, v88
	v_cmp_eq_u32_e64 s23, 6, v88
	v_cndmask_b32_e64 v111, v91, v107, s13
	v_cndmask_b32_e64 v112, v97, v110, s13
	;; [unrolled: 1-line block ×6, first 2 shown]
	v_cmp_eq_u32_e64 s26, 7, v88
	v_cndmask_b32_e64 v99, v91, v105, s18
	v_cndmask_b32_e64 v97, v97, v94, s16
	v_or_b32_e32 v91, 3, v89
	v_cndmask_b32_e64 v114, v98, v96, s15
	s_delay_alu instid0(VALU_DEP_4) | instskip(NEXT) | instid1(VALU_DEP_4)
	v_cndmask_b32_e64 v102, v99, v79, s19
	v_cndmask_b32_e64 v103, v97, v108, s18
	s_delay_alu instid0(VALU_DEP_4)
	v_cmp_eq_u32_e64 s20, 1, v91
	ds_load_b128 v[97:100], v92 offset:1024
	v_cmp_eq_u32_e64 s22, 2, v91
	v_cndmask_b32_e64 v115, v102, v106, s21
	v_cmp_eq_u32_e64 s24, 3, v91
	v_cndmask_b32_e64 v75, v77, v75, s20
	v_cndmask_b32_e64 v77, v103, v95, s19
	;; [unrolled: 1-line block ×3, first 2 shown]
	ds_load_b128 v[101:104], v92 offset:1040
	v_cmp_eq_u32_e64 s25, 4, v91
	v_cndmask_b32_e64 v75, v75, v78, s22
	v_cmp_eq_u32_e64 s27, 5, v91
	v_cndmask_b32_e64 v78, v93, v94, s22
	v_cndmask_b32_e64 v94, v115, v80, s23
	;; [unrolled: 1-line block ×4, first 2 shown]
	v_cmp_eq_u32_e64 s28, 6, v91
	v_cndmask_b32_e64 v78, v78, v108, s24
	v_cndmask_b32_e64 v93, v114, v110, s17
	;; [unrolled: 1-line block ×4, first 2 shown]
	s_waitcnt lgkmcnt(1)
	v_lshrrev_b32_e32 v105, 16, v97
	v_cndmask_b32_e64 v78, v78, v95, s25
	v_cndmask_b32_e64 v79, v94, v107, s26
	;; [unrolled: 1-line block ×4, first 2 shown]
	v_cndmask_b32_e32 v94, v97, v105, vcc_lo
	v_cndmask_b32_e64 v78, v78, v109, s27
	s_waitcnt lgkmcnt(0)
	v_lshrrev_b32_e32 v95, 16, v101
	v_lshrrev_b32_e32 v106, 16, v98
	v_cndmask_b32_e64 v108, v97, v105, s2
	v_cndmask_b32_e64 v94, v94, v98, s3
	;; [unrolled: 1-line block ×3, first 2 shown]
	v_cndmask_b32_e32 v109, v101, v95, vcc_lo
	v_cndmask_b32_e64 v78, v78, v96, s28
	v_cmp_eq_u32_e32 vcc_lo, 7, v91
	v_cndmask_b32_e64 v80, v94, v106, s6
	v_cndmask_b32_e64 v94, v108, v98, s5
	;; [unrolled: 1-line block ×3, first 2 shown]
	v_lshrrev_b32_e32 v108, 16, v102
	v_cndmask_b32_e32 v78, v78, v110, vcc_lo
	v_lshrrev_b32_e32 v110, 16, v103
	v_cndmask_b32_e64 v80, v80, v99, s8
	v_lshrrev_b32_e32 v109, 16, v99
	v_cndmask_b32_e64 v96, v96, v108, s6
	v_cndmask_b32_e32 v75, v75, v107, vcc_lo
	v_perm_b32 v79, v77, v79, 0x5040100
	v_cndmask_b32_e64 v94, v94, v106, s7
	v_cndmask_b32_e64 v107, v80, v109, s9
	;; [unrolled: 1-line block ×3, first 2 shown]
	v_perm_b32 v80, v78, v75, 0x5040100
	v_perm_b32 v78, v93, v113, 0x5040100
	v_cndmask_b32_e64 v113, v101, v95, s4
	v_cndmask_b32_e64 v94, v94, v99, s10
	;; [unrolled: 1-line block ×3, first 2 shown]
	s_delay_alu instid0(VALU_DEP_2) | instskip(NEXT) | instid1(VALU_DEP_2)
	v_cndmask_b32_e64 v75, v94, v109, s12
	v_cndmask_b32_e64 v77, v96, v104, s11
	;; [unrolled: 1-line block ×22, first 2 shown]
	v_lshrrev_b32_e32 v107, 16, v100
	v_cndmask_b32_e64 v96, v96, v109, s21
	v_cndmask_b32_e64 v97, v97, v109, s27
	;; [unrolled: 1-line block ×7, first 2 shown]
	v_lshrrev_b32_e32 v94, 16, v104
	v_cndmask_b32_e64 v96, v96, v100, s23
	v_cndmask_b32_e64 v97, v97, v100, s28
	;; [unrolled: 1-line block ×7, first 2 shown]
	v_dual_cndmask_b32 v96, v97, v107 :: v_dual_cndmask_b32 v97, v98, v94
	v_cndmask_b32_e64 v98, v99, v94, s26
	v_cndmask_b32_e64 v99, v95, v94, s17
	;; [unrolled: 1-line block ×3, first 2 shown]
	v_perm_b32 v77, v112, v111, 0x5040100
	v_perm_b32 v96, v97, v96, 0x5040100
	;; [unrolled: 1-line block ×5, first 2 shown]
	s_lshl_b32 s7, s35, 1
	s_mov_b32 s2, exec_lo
	ds_store_b128 v76, v[77:80]
	ds_store_b128 v76, v[93:96] offset:1024
	v_cmpx_gt_u32_e32 2, v0
	s_cbranch_execz .LBB575_80
; %bb.79:
	v_or_b32_e32 v75, s31, v0
	s_load_b128 s[8:11], s[0:1], 0x58
	s_delay_alu instid0(VALU_DEP_1) | instskip(NEXT) | instid1(VALU_DEP_1)
	v_mad_u64_u32 v[76:77], null, s7, s30, v[75:76]
	v_mad_u64_u32 v[77:78], null, v76, s34, s[14:15]
	s_delay_alu instid0(VALU_DEP_1) | instskip(NEXT) | instid1(VALU_DEP_1)
	v_ashrrev_i32_e32 v78, 31, v77
	v_lshlrev_b64 v[75:76], 2, v[77:78]
	s_waitcnt lgkmcnt(0)
	s_delay_alu instid0(VALU_DEP_1) | instskip(NEXT) | instid1(VALU_DEP_2)
	v_add_co_u32 v77, vcc_lo, s10, v75
	v_add_co_ci_u32_e32 v78, vcc_lo, s11, v76, vcc_lo
	v_add_co_u32 v75, vcc_lo, s8, v75
	v_add_co_ci_u32_e32 v76, vcc_lo, s9, v76, vcc_lo
	global_store_b32 v[77:78], v73, off
	global_store_b32 v[75:76], v74, off
.LBB575_80:
	s_or_b32 exec_lo, exec_lo, s2
	s_waitcnt lgkmcnt(0)
	s_waitcnt_vscnt null, 0x0
	s_barrier
	buffer_gl0_inv
	ds_load_b128 v[93:96], v87
	ds_load_b128 v[97:100], v87 offset:16
	ds_load_b128 v[105:108], v87 offset:1040
	;; [unrolled: 1-line block ×3, first 2 shown]
	v_mov_b32_e32 v73, 0
	ds_load_b128 v[113:116], v87 offset:2064
	ds_load_b128 v[109:112], v87 offset:2048
	;; [unrolled: 1-line block ×6, first 2 shown]
	v_mov_b32_e32 v74, v73
	v_mov_b32_e32 v75, v73
	;; [unrolled: 1-line block ×7, first 2 shown]
	s_waitcnt lgkmcnt(8)
	s_delay_alu instid0(VALU_DEP_1)
	v_wmma_f32_16x16x16_bf16 v[73:80], v[65:72], v[93:100], v[73:80]
	ds_load_b128 v[69:72], v87 offset:5136
	ds_load_b128 v[65:68], v87 offset:5120
	ds_load_b128 v[97:100], v87 offset:6160
	ds_load_b128 v[93:96], v87 offset:6144
	s_waitcnt lgkmcnt(10)
	v_wmma_f32_16x16x16_bf16 v[73:80], v[57:64], v[101:108], v[73:80]
	s_waitcnt lgkmcnt(8)
	s_delay_alu instid0(VALU_DEP_1)
	v_wmma_f32_16x16x16_bf16 v[73:80], v[57:64], v[109:116], v[73:80]
	ds_load_b128 v[61:64], v87 offset:7184
	ds_load_b128 v[57:60], v87 offset:7168
	;; [unrolled: 1-line block ×4, first 2 shown]
	s_waitcnt lgkmcnt(10)
	v_wmma_f32_16x16x16_bf16 v[73:80], v[49:56], v[117:124], v[73:80]
	s_waitcnt lgkmcnt(8)
	s_delay_alu instid0(VALU_DEP_1)
	v_wmma_f32_16x16x16_bf16 v[73:80], v[49:56], v[125:132], v[73:80]
	ds_load_b128 v[53:56], v87 offset:9232
	ds_load_b128 v[49:52], v87 offset:9216
	s_waitcnt lgkmcnt(8)
	v_wmma_f32_16x16x16_bf16 v[73:80], v[41:48], v[65:72], v[73:80]
	ds_load_b128 v[69:72], v87 offset:10256
	ds_load_b128 v[65:68], v87 offset:10240
	s_waitcnt lgkmcnt(8)
	;; [unrolled: 4-line block ×3, first 2 shown]
	v_wmma_f32_16x16x16_bf16 v[73:80], v[9:16], v[57:64], v[73:80]
	s_waitcnt lgkmcnt(6)
	s_delay_alu instid0(VALU_DEP_1)
	v_wmma_f32_16x16x16_bf16 v[73:80], v[9:16], v[101:108], v[73:80]
	ds_load_b128 v[13:16], v87 offset:12304
	ds_load_b128 v[9:12], v87 offset:12288
	s_waitcnt lgkmcnt(6)
	v_wmma_f32_16x16x16_bf16 v[73:80], v[1:8], v[49:56], v[73:80]
	ds_load_b128 v[53:56], v87 offset:13328
	ds_load_b128 v[49:52], v87 offset:13312
	s_waitcnt lgkmcnt(6)
	v_wmma_f32_16x16x16_bf16 v[73:80], v[1:8], v[65:72], v[73:80]
	ds_load_b128 v[5:8], v87 offset:14352
	ds_load_b128 v[1:4], v87 offset:14336
	s_waitcnt lgkmcnt(6)
	v_wmma_f32_16x16x16_bf16 v[73:80], v[33:40], v[41:48], v[73:80]
	ds_load_b128 v[45:48], v87 offset:15376
	ds_load_b128 v[41:44], v87 offset:15360
	s_waitcnt lgkmcnt(6)
	v_wmma_f32_16x16x16_bf16 v[73:80], v[33:40], v[9:16], v[73:80]
	s_waitcnt lgkmcnt(4)
	s_delay_alu instid0(VALU_DEP_1) | instskip(SKIP_1) | instid1(VALU_DEP_1)
	v_wmma_f32_16x16x16_bf16 v[73:80], v[25:32], v[49:56], v[73:80]
	s_waitcnt lgkmcnt(2)
	v_wmma_f32_16x16x16_bf16 v[73:80], v[25:32], v[1:8], v[73:80]
	s_waitcnt lgkmcnt(0)
	s_delay_alu instid0(VALU_DEP_1) | instskip(NEXT) | instid1(VALU_DEP_1)
	v_wmma_f32_16x16x16_bf16 v[73:80], v[17:24], v[41:48], v[73:80]
	v_and_b32_e32 v1, 0x7f800000, v73
	s_delay_alu instid0(VALU_DEP_1) | instskip(SKIP_1) | instid1(SALU_CYCLE_1)
	v_cmp_ne_u32_e32 vcc_lo, 0x7f800000, v1
                                        ; implicit-def: $vgpr1
	s_and_saveexec_b32 s2, vcc_lo
	s_xor_b32 s2, exec_lo, s2
; %bb.81:
	v_bfe_u32 v1, v73, 16, 1
	s_delay_alu instid0(VALU_DEP_1)
	v_add3_u32 v1, v73, v1, 0x7fff
; %bb.82:
	s_and_not1_saveexec_b32 s2, s2
; %bb.83:
	v_and_b32_e32 v1, 0xffff, v73
	v_or_b32_e32 v2, 0x10000, v73
	s_delay_alu instid0(VALU_DEP_2) | instskip(NEXT) | instid1(VALU_DEP_2)
	v_cmp_eq_u32_e32 vcc_lo, 0, v1
	v_cndmask_b32_e32 v1, v2, v73, vcc_lo
; %bb.84:
	s_or_b32 exec_lo, exec_lo, s2
	v_and_b32_e32 v2, 0x7f800000, v74
	s_delay_alu instid0(VALU_DEP_1) | instskip(SKIP_1) | instid1(SALU_CYCLE_1)
	v_cmp_ne_u32_e32 vcc_lo, 0x7f800000, v2
                                        ; implicit-def: $vgpr2
	s_and_saveexec_b32 s2, vcc_lo
	s_xor_b32 s2, exec_lo, s2
; %bb.85:
	v_bfe_u32 v2, v74, 16, 1
	s_delay_alu instid0(VALU_DEP_1)
	v_add3_u32 v2, v74, v2, 0x7fff
; %bb.86:
	s_and_not1_saveexec_b32 s2, s2
; %bb.87:
	v_and_b32_e32 v2, 0xffff, v74
	v_or_b32_e32 v3, 0x10000, v74
	s_delay_alu instid0(VALU_DEP_2) | instskip(NEXT) | instid1(VALU_DEP_2)
	v_cmp_eq_u32_e32 vcc_lo, 0, v2
	v_cndmask_b32_e32 v2, v3, v74, vcc_lo
; %bb.88:
	s_or_b32 exec_lo, exec_lo, s2
	v_and_b32_e32 v3, 0x7f800000, v75
	s_delay_alu instid0(VALU_DEP_1) | instskip(SKIP_1) | instid1(SALU_CYCLE_1)
	v_cmp_ne_u32_e32 vcc_lo, 0x7f800000, v3
                                        ; implicit-def: $vgpr3
	s_and_saveexec_b32 s2, vcc_lo
	s_xor_b32 s2, exec_lo, s2
; %bb.89:
	v_bfe_u32 v3, v75, 16, 1
	s_delay_alu instid0(VALU_DEP_1)
	v_add3_u32 v3, v75, v3, 0x7fff
; %bb.90:
	s_and_not1_saveexec_b32 s2, s2
; %bb.91:
	v_and_b32_e32 v3, 0xffff, v75
	v_or_b32_e32 v4, 0x10000, v75
	s_delay_alu instid0(VALU_DEP_2) | instskip(NEXT) | instid1(VALU_DEP_2)
	v_cmp_eq_u32_e32 vcc_lo, 0, v3
	v_cndmask_b32_e32 v3, v4, v75, vcc_lo
; %bb.92:
	s_or_b32 exec_lo, exec_lo, s2
	v_and_b32_e32 v4, 0x7f800000, v76
	s_delay_alu instid0(VALU_DEP_1) | instskip(SKIP_1) | instid1(SALU_CYCLE_1)
	v_cmp_ne_u32_e32 vcc_lo, 0x7f800000, v4
                                        ; implicit-def: $vgpr4
	s_and_saveexec_b32 s2, vcc_lo
	s_xor_b32 s2, exec_lo, s2
; %bb.93:
	v_bfe_u32 v4, v76, 16, 1
	s_delay_alu instid0(VALU_DEP_1)
	v_add3_u32 v4, v76, v4, 0x7fff
; %bb.94:
	s_and_not1_saveexec_b32 s2, s2
; %bb.95:
	v_and_b32_e32 v4, 0xffff, v76
	v_or_b32_e32 v5, 0x10000, v76
	s_delay_alu instid0(VALU_DEP_2) | instskip(NEXT) | instid1(VALU_DEP_2)
	v_cmp_eq_u32_e32 vcc_lo, 0, v4
	v_cndmask_b32_e32 v4, v5, v76, vcc_lo
; %bb.96:
	s_or_b32 exec_lo, exec_lo, s2
	v_and_b32_e32 v5, 0x7f800000, v77
	s_delay_alu instid0(VALU_DEP_1) | instskip(SKIP_1) | instid1(SALU_CYCLE_1)
	v_cmp_ne_u32_e32 vcc_lo, 0x7f800000, v5
                                        ; implicit-def: $vgpr5
	s_and_saveexec_b32 s2, vcc_lo
	s_xor_b32 s2, exec_lo, s2
; %bb.97:
	v_bfe_u32 v5, v77, 16, 1
	s_delay_alu instid0(VALU_DEP_1)
	v_add3_u32 v5, v77, v5, 0x7fff
; %bb.98:
	s_and_not1_saveexec_b32 s2, s2
; %bb.99:
	v_and_b32_e32 v5, 0xffff, v77
	v_or_b32_e32 v6, 0x10000, v77
	s_delay_alu instid0(VALU_DEP_2) | instskip(NEXT) | instid1(VALU_DEP_2)
	v_cmp_eq_u32_e32 vcc_lo, 0, v5
	v_cndmask_b32_e32 v5, v6, v77, vcc_lo
; %bb.100:
	s_or_b32 exec_lo, exec_lo, s2
	v_and_b32_e32 v6, 0x7f800000, v78
	s_delay_alu instid0(VALU_DEP_1) | instskip(SKIP_1) | instid1(SALU_CYCLE_1)
	v_cmp_ne_u32_e32 vcc_lo, 0x7f800000, v6
                                        ; implicit-def: $vgpr6
	s_and_saveexec_b32 s2, vcc_lo
	s_xor_b32 s2, exec_lo, s2
; %bb.101:
	v_bfe_u32 v6, v78, 16, 1
	s_delay_alu instid0(VALU_DEP_1)
	v_add3_u32 v6, v78, v6, 0x7fff
; %bb.102:
	s_and_not1_saveexec_b32 s2, s2
; %bb.103:
	v_and_b32_e32 v6, 0xffff, v78
	v_or_b32_e32 v7, 0x10000, v78
	s_delay_alu instid0(VALU_DEP_2) | instskip(NEXT) | instid1(VALU_DEP_2)
	v_cmp_eq_u32_e32 vcc_lo, 0, v6
	v_cndmask_b32_e32 v6, v7, v78, vcc_lo
; %bb.104:
	s_or_b32 exec_lo, exec_lo, s2
	v_and_b32_e32 v7, 0x7f800000, v79
	s_delay_alu instid0(VALU_DEP_1) | instskip(SKIP_1) | instid1(SALU_CYCLE_1)
	v_cmp_ne_u32_e32 vcc_lo, 0x7f800000, v7
                                        ; implicit-def: $vgpr7
	s_and_saveexec_b32 s2, vcc_lo
	s_xor_b32 s2, exec_lo, s2
; %bb.105:
	v_bfe_u32 v7, v79, 16, 1
	s_delay_alu instid0(VALU_DEP_1)
	v_add3_u32 v7, v79, v7, 0x7fff
; %bb.106:
	s_and_not1_saveexec_b32 s2, s2
; %bb.107:
	v_and_b32_e32 v7, 0xffff, v79
	v_or_b32_e32 v8, 0x10000, v79
	s_delay_alu instid0(VALU_DEP_2) | instskip(NEXT) | instid1(VALU_DEP_2)
	v_cmp_eq_u32_e32 vcc_lo, 0, v7
	v_cndmask_b32_e32 v7, v8, v79, vcc_lo
; %bb.108:
	s_or_b32 exec_lo, exec_lo, s2
	v_and_b32_e32 v8, 0x7f800000, v80
	s_delay_alu instid0(VALU_DEP_1) | instskip(SKIP_1) | instid1(SALU_CYCLE_1)
	v_cmp_ne_u32_e32 vcc_lo, 0x7f800000, v8
                                        ; implicit-def: $vgpr8
	s_and_saveexec_b32 s2, vcc_lo
	s_xor_b32 s2, exec_lo, s2
; %bb.109:
	v_bfe_u32 v8, v80, 16, 1
	s_delay_alu instid0(VALU_DEP_1)
	v_add3_u32 v8, v80, v8, 0x7fff
                                        ; implicit-def: $vgpr73_vgpr74_vgpr75_vgpr76_vgpr77_vgpr78_vgpr79_vgpr80
; %bb.110:
	s_and_not1_saveexec_b32 s2, s2
; %bb.111:
	v_and_b32_e32 v8, 0xffff, v80
	v_or_b32_e32 v9, 0x10000, v80
	s_delay_alu instid0(VALU_DEP_2) | instskip(NEXT) | instid1(VALU_DEP_2)
	v_cmp_eq_u32_e32 vcc_lo, 0, v8
	v_cndmask_b32_e32 v8, v9, v80, vcc_lo
; %bb.112:
	s_or_b32 exec_lo, exec_lo, s2
	s_delay_alu instid0(VALU_DEP_1)
	v_perm_b32 v7, v8, v7, 0x7060302
	v_perm_b32 v6, v6, v5, 0x7060302
	;; [unrolled: 1-line block ×4, first 2 shown]
	v_lshl_or_b32 v9, v86, 4, v92
	s_barrier
	buffer_gl0_inv
	v_cmp_eq_u32_e32 vcc_lo, 1, v89
	ds_store_b128 v9, v[4:7]
	s_waitcnt lgkmcnt(0)
	s_barrier
	buffer_gl0_inv
	ds_load_b128 v[1:4], v92
	ds_load_b128 v[5:8], v92 offset:16
	v_cmp_eq_u32_e64 s3, 2, v89
	v_cmp_eq_u32_e64 s2, 1, v90
	;; [unrolled: 1-line block ×5, first 2 shown]
	s_waitcnt lgkmcnt(1)
	v_lshrrev_b32_e32 v10, 16, v1
	s_waitcnt lgkmcnt(0)
	v_lshrrev_b32_e32 v14, 16, v5
	v_lshrrev_b32_e32 v15, 16, v6
	;; [unrolled: 1-line block ×4, first 2 shown]
	v_cndmask_b32_e64 v20, v1, v10, s2
	v_cndmask_b32_e32 v19, v5, v14, vcc_lo
	v_cndmask_b32_e64 v21, v5, v14, s2
	v_lshrrev_b32_e32 v16, 16, v7
	v_cmp_eq_u32_e64 s2, 1, v88
	v_lshrrev_b32_e32 v13, 16, v4
	v_cndmask_b32_e64 v19, v19, v6, s3
	v_lshrrev_b32_e32 v17, 16, v8
	s_delay_alu instid0(VALU_DEP_4) | instskip(SKIP_1) | instid1(VALU_DEP_4)
	v_cndmask_b32_e64 v22, v1, v10, s2
	v_cndmask_b32_e64 v23, v5, v14, s2
	;; [unrolled: 1-line block ×3, first 2 shown]
	v_cndmask_b32_e32 v18, v1, v10, vcc_lo
	v_cmp_eq_u32_e32 vcc_lo, 2, v90
	v_cmp_eq_u32_e64 s2, 2, v91
	v_cndmask_b32_e64 v22, v22, v2, s6
	v_cndmask_b32_e32 v20, v20, v2, vcc_lo
	v_cndmask_b32_e32 v21, v21, v6, vcc_lo
	v_cmp_eq_u32_e32 vcc_lo, 4, v89
	v_cndmask_b32_e32 v19, v19, v7, vcc_lo
	v_cndmask_b32_e64 v18, v18, v2, s3
	v_cmp_eq_u32_e64 s3, 3, v90
	s_delay_alu instid0(VALU_DEP_2) | instskip(NEXT) | instid1(VALU_DEP_2)
	v_cndmask_b32_e64 v18, v18, v11, s4
	v_cndmask_b32_e64 v21, v21, v15, s3
	v_cmp_eq_u32_e64 s4, 5, v89
	s_delay_alu instid0(VALU_DEP_3) | instskip(SKIP_1) | instid1(VALU_DEP_3)
	v_cndmask_b32_e32 v18, v18, v3, vcc_lo
	v_cmp_eq_u32_e32 vcc_lo, 4, v90
	v_cndmask_b32_e64 v19, v19, v16, s4
	s_delay_alu instid0(VALU_DEP_3) | instskip(SKIP_4) | instid1(VALU_DEP_3)
	v_cndmask_b32_e64 v18, v18, v12, s4
	v_cndmask_b32_e32 v21, v21, v7, vcc_lo
	v_cndmask_b32_e64 v20, v20, v11, s3
	v_cmp_eq_u32_e64 s3, 5, v90
	v_cmp_eq_u32_e64 s4, 6, v89
	v_cndmask_b32_e32 v20, v20, v3, vcc_lo
	s_delay_alu instid0(VALU_DEP_3) | instskip(SKIP_1) | instid1(VALU_DEP_4)
	v_cndmask_b32_e64 v21, v21, v16, s3
	v_cmp_eq_u32_e32 vcc_lo, 6, v90
	v_cndmask_b32_e64 v18, v18, v4, s4
	v_cndmask_b32_e64 v19, v19, v8, s4
	;; [unrolled: 1-line block ×3, first 2 shown]
	v_cmp_eq_u32_e64 s3, 1, v91
	v_cmp_eq_u32_e64 s4, 7, v89
	s_delay_alu instid0(VALU_DEP_3) | instskip(NEXT) | instid1(VALU_DEP_3)
	v_cndmask_b32_e32 v20, v20, v4, vcc_lo
	v_cndmask_b32_e64 v1, v1, v10, s3
	v_cndmask_b32_e64 v5, v5, v14, s3
	v_cmp_eq_u32_e64 s3, 3, v88
	v_cndmask_b32_e64 v14, v23, v6, s6
	v_cmp_eq_u32_e64 s6, 3, v91
	v_cndmask_b32_e64 v1, v1, v2, s2
	v_cndmask_b32_e64 v2, v5, v6, s2
	;; [unrolled: 1-line block ×3, first 2 shown]
	v_cmp_eq_u32_e64 s2, 4, v88
	v_cndmask_b32_e64 v6, v14, v15, s3
	v_cndmask_b32_e64 v1, v1, v11, s6
	v_cmp_eq_u32_e64 s3, 4, v91
	v_cndmask_b32_e64 v2, v2, v15, s6
	v_cndmask_b32_e64 v5, v10, v3, s2
	;; [unrolled: 3-line block ×3, first 2 shown]
	v_cndmask_b32_e64 v2, v2, v7, s3
	v_cmp_eq_u32_e64 s2, 5, v91
	v_cndmask_b32_e64 v5, v5, v12, s6
	v_cmp_eq_u32_e64 s3, 6, v88
	;; [unrolled: 2-line block ×3, first 2 shown]
	v_cndmask_b32_e64 v1, v1, v12, s2
	v_cndmask_b32_e64 v2, v2, v16, s2
	;; [unrolled: 1-line block ×4, first 2 shown]
	v_cmp_eq_u32_e64 s2, 7, v91
	v_cndmask_b32_e64 v1, v1, v4, s6
	v_cndmask_b32_e64 v2, v2, v8, s6
	v_cmp_eq_u32_e64 s3, 7, v88
	v_cndmask_b32_e32 v4, v21, v8, vcc_lo
	v_cndmask_b32_e64 v18, v18, v13, s4
	v_cndmask_b32_e64 v20, v20, v13, s5
	;; [unrolled: 1-line block ×8, first 2 shown]
	s_delay_alu instid0(VALU_DEP_4) | instskip(NEXT) | instid1(VALU_DEP_4)
	v_perm_b32 v4, v2, v1, 0x5040100
	v_perm_b32 v3, v3, v5, 0x5040100
	s_delay_alu instid0(VALU_DEP_4) | instskip(NEXT) | instid1(VALU_DEP_4)
	v_perm_b32 v2, v6, v20, 0x5040100
	v_perm_b32 v1, v7, v18, 0x5040100
	ds_store_b128 v9, v[1:4]
	s_waitcnt lgkmcnt(0)
	s_barrier
	buffer_gl0_inv
	s_and_saveexec_b32 s2, s29
	s_cbranch_execz .LBB575_2
; %bb.113:
	s_load_b64 s[0:1], s[0:1], 0x68
	v_lshlrev_b32_e32 v0, 10, v0
	s_lshl_b32 s2, s34, 6
	v_lshlrev_b32_e32 v1, 4, v85
	v_mul_lo_u32 v4, s2, v84
	s_mul_i32 s3, s2, s30
	v_and_b32_e32 v0, 0x3800, v0
	s_mul_i32 s2, s3, s7
	s_delay_alu instid0(SALU_CYCLE_1) | instskip(NEXT) | instid1(VALU_DEP_1)
	s_ashr_i32 s3, s2, 31
	v_or3_b32 v0, v0, v83, v1
	s_lshl_b64 s[2:3], s[2:3], 1
	s_delay_alu instid0(VALU_DEP_3)
	v_ashrrev_i32_e32 v5, 31, v4
	ds_load_b128 v[0:3], v0
	v_lshlrev_b64 v[4:5], 1, v[4:5]
	s_waitcnt lgkmcnt(0)
	s_add_u32 s2, s0, s2
	s_addc_u32 s3, s1, s3
	s_lshl_b32 s0, s14, 6
	s_delay_alu instid0(SALU_CYCLE_1) | instskip(NEXT) | instid1(SALU_CYCLE_1)
	s_ashr_i32 s1, s0, 31
	s_lshl_b64 s[0:1], s[0:1], 1
	s_delay_alu instid0(SALU_CYCLE_1) | instskip(SKIP_3) | instid1(VALU_DEP_2)
	s_add_u32 s0, s2, s0
	s_addc_u32 s1, s3, s1
	v_add_co_u32 v4, vcc_lo, s0, v4
	v_add_co_ci_u32_e32 v5, vcc_lo, s1, v5, vcc_lo
	v_add_co_u32 v4, vcc_lo, v4, v81
	s_delay_alu instid0(VALU_DEP_2)
	v_add_co_ci_u32_e32 v5, vcc_lo, v5, v82, vcc_lo
	global_store_b128 v[4:5], v[0:3], off
	s_nop 0
	s_sendmsg sendmsg(MSG_DEALLOC_VGPRS)
	s_endpgm
	.section	.rodata,"a",@progbits
	.p2align	6, 0x0
	.amdhsa_kernel _Z39paged_attention_ll4mi_QKV_mfma16_kernelI14__hip_bfloat16S0_LN4vllm18Fp8KVCacheDataTypeE0ES0_Li32ELi64ELi256ELb0ELi2EL8MFMAType0EEvPKT_PKT0_S9_ifPKiSB_SB_iPKfiiiPfSE_PS4_PT2_iSD_SD_
		.amdhsa_group_segment_fixed_size 17472
		.amdhsa_private_segment_fixed_size 0
		.amdhsa_kernarg_size 400
		.amdhsa_user_sgpr_count 13
		.amdhsa_user_sgpr_dispatch_ptr 0
		.amdhsa_user_sgpr_queue_ptr 0
		.amdhsa_user_sgpr_kernarg_segment_ptr 1
		.amdhsa_user_sgpr_dispatch_id 0
		.amdhsa_user_sgpr_private_segment_size 0
		.amdhsa_wavefront_size32 1
		.amdhsa_uses_dynamic_stack 0
		.amdhsa_enable_private_segment 0
		.amdhsa_system_sgpr_workgroup_id_x 1
		.amdhsa_system_sgpr_workgroup_id_y 1
		.amdhsa_system_sgpr_workgroup_id_z 1
		.amdhsa_system_sgpr_workgroup_info 0
		.amdhsa_system_vgpr_workitem_id 0
		.amdhsa_next_free_vgpr 144
		.amdhsa_next_free_sgpr 39
		.amdhsa_reserve_vcc 1
		.amdhsa_float_round_mode_32 0
		.amdhsa_float_round_mode_16_64 0
		.amdhsa_float_denorm_mode_32 3
		.amdhsa_float_denorm_mode_16_64 3
		.amdhsa_dx10_clamp 1
		.amdhsa_ieee_mode 1
		.amdhsa_fp16_overflow 0
		.amdhsa_workgroup_processor_mode 1
		.amdhsa_memory_ordered 1
		.amdhsa_forward_progress 0
		.amdhsa_shared_vgpr_count 0
		.amdhsa_exception_fp_ieee_invalid_op 0
		.amdhsa_exception_fp_denorm_src 0
		.amdhsa_exception_fp_ieee_div_zero 0
		.amdhsa_exception_fp_ieee_overflow 0
		.amdhsa_exception_fp_ieee_underflow 0
		.amdhsa_exception_fp_ieee_inexact 0
		.amdhsa_exception_int_div_zero 0
	.end_amdhsa_kernel
	.section	.text._Z39paged_attention_ll4mi_QKV_mfma16_kernelI14__hip_bfloat16S0_LN4vllm18Fp8KVCacheDataTypeE0ES0_Li32ELi64ELi256ELb0ELi2EL8MFMAType0EEvPKT_PKT0_S9_ifPKiSB_SB_iPKfiiiPfSE_PS4_PT2_iSD_SD_,"axG",@progbits,_Z39paged_attention_ll4mi_QKV_mfma16_kernelI14__hip_bfloat16S0_LN4vllm18Fp8KVCacheDataTypeE0ES0_Li32ELi64ELi256ELb0ELi2EL8MFMAType0EEvPKT_PKT0_S9_ifPKiSB_SB_iPKfiiiPfSE_PS4_PT2_iSD_SD_,comdat
.Lfunc_end575:
	.size	_Z39paged_attention_ll4mi_QKV_mfma16_kernelI14__hip_bfloat16S0_LN4vllm18Fp8KVCacheDataTypeE0ES0_Li32ELi64ELi256ELb0ELi2EL8MFMAType0EEvPKT_PKT0_S9_ifPKiSB_SB_iPKfiiiPfSE_PS4_PT2_iSD_SD_, .Lfunc_end575-_Z39paged_attention_ll4mi_QKV_mfma16_kernelI14__hip_bfloat16S0_LN4vllm18Fp8KVCacheDataTypeE0ES0_Li32ELi64ELi256ELb0ELi2EL8MFMAType0EEvPKT_PKT0_S9_ifPKiSB_SB_iPKfiiiPfSE_PS4_PT2_iSD_SD_
                                        ; -- End function
	.section	.AMDGPU.csdata,"",@progbits
; Kernel info:
; codeLenInByte = 9216
; NumSgprs: 41
; NumVgprs: 144
; ScratchSize: 0
; MemoryBound: 0
; FloatMode: 240
; IeeeMode: 1
; LDSByteSize: 17472 bytes/workgroup (compile time only)
; SGPRBlocks: 5
; VGPRBlocks: 17
; NumSGPRsForWavesPerEU: 41
; NumVGPRsForWavesPerEU: 144
; Occupancy: 10
; WaveLimiterHint : 1
; COMPUTE_PGM_RSRC2:SCRATCH_EN: 0
; COMPUTE_PGM_RSRC2:USER_SGPR: 13
; COMPUTE_PGM_RSRC2:TRAP_HANDLER: 0
; COMPUTE_PGM_RSRC2:TGID_X_EN: 1
; COMPUTE_PGM_RSRC2:TGID_Y_EN: 1
; COMPUTE_PGM_RSRC2:TGID_Z_EN: 1
; COMPUTE_PGM_RSRC2:TIDIG_COMP_CNT: 0
	.section	.text._Z39paged_attention_ll4mi_QKV_mfma16_kernelI14__hip_bfloat16S0_LN4vllm18Fp8KVCacheDataTypeE0ES0_Li32ELi64ELi256ELb0ELi3EL8MFMAType0EEvPKT_PKT0_S9_ifPKiSB_SB_iPKfiiiPfSE_PS4_PT2_iSD_SD_,"axG",@progbits,_Z39paged_attention_ll4mi_QKV_mfma16_kernelI14__hip_bfloat16S0_LN4vllm18Fp8KVCacheDataTypeE0ES0_Li32ELi64ELi256ELb0ELi3EL8MFMAType0EEvPKT_PKT0_S9_ifPKiSB_SB_iPKfiiiPfSE_PS4_PT2_iSD_SD_,comdat
	.protected	_Z39paged_attention_ll4mi_QKV_mfma16_kernelI14__hip_bfloat16S0_LN4vllm18Fp8KVCacheDataTypeE0ES0_Li32ELi64ELi256ELb0ELi3EL8MFMAType0EEvPKT_PKT0_S9_ifPKiSB_SB_iPKfiiiPfSE_PS4_PT2_iSD_SD_ ; -- Begin function _Z39paged_attention_ll4mi_QKV_mfma16_kernelI14__hip_bfloat16S0_LN4vllm18Fp8KVCacheDataTypeE0ES0_Li32ELi64ELi256ELb0ELi3EL8MFMAType0EEvPKT_PKT0_S9_ifPKiSB_SB_iPKfiiiPfSE_PS4_PT2_iSD_SD_
	.globl	_Z39paged_attention_ll4mi_QKV_mfma16_kernelI14__hip_bfloat16S0_LN4vllm18Fp8KVCacheDataTypeE0ES0_Li32ELi64ELi256ELb0ELi3EL8MFMAType0EEvPKT_PKT0_S9_ifPKiSB_SB_iPKfiiiPfSE_PS4_PT2_iSD_SD_
	.p2align	8
	.type	_Z39paged_attention_ll4mi_QKV_mfma16_kernelI14__hip_bfloat16S0_LN4vllm18Fp8KVCacheDataTypeE0ES0_Li32ELi64ELi256ELb0ELi3EL8MFMAType0EEvPKT_PKT0_S9_ifPKiSB_SB_iPKfiiiPfSE_PS4_PT2_iSD_SD_,@function
_Z39paged_attention_ll4mi_QKV_mfma16_kernelI14__hip_bfloat16S0_LN4vllm18Fp8KVCacheDataTypeE0ES0_Li32ELi64ELi256ELb0ELi3EL8MFMAType0EEvPKT_PKT0_S9_ifPKiSB_SB_iPKfiiiPfSE_PS4_PT2_iSD_SD_: ; @_Z39paged_attention_ll4mi_QKV_mfma16_kernelI14__hip_bfloat16S0_LN4vllm18Fp8KVCacheDataTypeE0ES0_Li32ELi64ELi256ELb0ELi3EL8MFMAType0EEvPKT_PKT0_S9_ifPKiSB_SB_iPKfiiiPfSE_PS4_PT2_iSD_SD_
; %bb.0:
	s_load_b64 s[2:3], s[0:1], 0x30
	s_mov_b32 s34, s13
	s_waitcnt lgkmcnt(0)
	s_cmp_lg_u64 s[2:3], 0
	s_cselect_b32 s6, -1, 0
	s_ashr_i32 s35, s13, 31
	s_cmp_eq_u64 s[2:3], 0
	s_cbranch_scc1 .LBB576_3
; %bb.1:
	s_lshl_b64 s[4:5], s[34:35], 2
	s_delay_alu instid0(SALU_CYCLE_1) | instskip(SKIP_4) | instid1(SALU_CYCLE_1)
	s_add_u32 s4, s2, s4
	s_addc_u32 s5, s3, s5
	s_load_b64 s[4:5], s[4:5], 0x0
	s_waitcnt lgkmcnt(0)
	s_sub_i32 s4, s5, s4
	s_cmp_eq_u32 s4, 1
	s_cselect_b32 s4, -1, 0
	s_delay_alu instid0(SALU_CYCLE_1)
	s_and_not1_b32 vcc_lo, exec_lo, s4
	s_cbranch_vccz .LBB576_4
.LBB576_2:
	s_nop 0
	s_sendmsg sendmsg(MSG_DEALLOC_VGPRS)
	s_endpgm
.LBB576_3:
.LBB576_4:
	s_load_b64 s[8:9], s[0:1], 0x28
	s_lshl_b64 s[4:5], s[34:35], 2
	s_waitcnt lgkmcnt(0)
	s_add_u32 s8, s8, s4
	s_addc_u32 s9, s9, s5
	s_lshl_b32 s16, s14, 8
	s_load_b32 s18, s[8:9], 0x0
	s_waitcnt lgkmcnt(0)
	s_cmp_ge_i32 s16, s18
	s_cbranch_scc1 .LBB576_2
; %bb.5:
	s_and_not1_b32 vcc_lo, exec_lo, s6
	s_cbranch_vccnz .LBB576_7
; %bb.6:
	s_add_u32 s2, s2, s4
	s_addc_u32 s3, s3, s5
	s_load_b32 s17, s[2:3], 0x0
	s_branch .LBB576_8
.LBB576_7:
	s_mov_b32 s17, s34
.LBB576_8:
	s_clause 0x2
	s_load_b128 s[8:11], s[0:1], 0x8
	s_load_b64 s[12:13], s[0:1], 0x20
	s_load_b128 s[4:7], s[0:1], 0x48
	v_lshrrev_b32_e32 v74, 5, v0
	v_bfe_u32 v83, v0, 4, 1
	v_and_b32_e32 v73, 15, v0
	s_delay_alu instid0(VALU_DEP_2) | instskip(NEXT) | instid1(VALU_DEP_2)
	v_lshl_or_b32 v3, v74, 1, v83
	v_cmp_lt_u32_e64 s3, 7, v73
	v_lshlrev_b32_e32 v1, 3, v73
	v_cmp_gt_u32_e64 s2, 8, v73
	s_delay_alu instid0(VALU_DEP_4) | instskip(NEXT) | instid1(VALU_DEP_4)
	v_cmp_lt_u32_e32 vcc_lo, 2, v3
	s_or_b32 s3, s3, vcc_lo
	s_waitcnt lgkmcnt(0)
	s_and_saveexec_b32 s7, s3
	s_delay_alu instid0(SALU_CYCLE_1)
	s_xor_b32 s3, exec_lo, s7
; %bb.9:
	v_mov_b32_e32 v2, 0
                                        ; implicit-def: $vgpr3
; %bb.10:
	s_or_saveexec_b32 s3, s3
	v_and_b32_e32 v75, 31, v0
	v_and_b32_e32 v84, 1, v0
	s_mul_i32 s31, s15, 3
	s_xor_b32 exec_lo, exec_lo, s3
	s_cbranch_execz .LBB576_12
; %bb.11:
	s_load_b64 s[20:21], s[0:1], 0x0
	v_add_lshl_u32 v4, v3, s31, 6
	s_mul_hi_i32 s23, s17, s4
	s_mul_i32 s22, s17, s4
	v_lshlrev_b32_e32 v2, 1, v1
	s_lshl_b64 s[22:23], s[22:23], 1
	v_ashrrev_i32_e32 v5, 31, v4
	v_lshlrev_b32_e32 v3, 6, v3
	v_lshlrev_b32_e32 v8, 10, v84
	s_delay_alu instid0(VALU_DEP_3) | instskip(SKIP_3) | instid1(VALU_DEP_1)
	v_lshlrev_b64 v[4:5], 1, v[4:5]
	s_waitcnt lgkmcnt(0)
	s_add_u32 s4, s20, s22
	s_addc_u32 s7, s21, s23
	v_add_co_u32 v4, vcc_lo, s4, v4
	s_delay_alu instid0(VALU_DEP_2) | instskip(NEXT) | instid1(VALU_DEP_2)
	v_add_co_ci_u32_e32 v5, vcc_lo, s7, v5, vcc_lo
	v_add_co_u32 v4, vcc_lo, v4, v2
	s_delay_alu instid0(VALU_DEP_2) | instskip(SKIP_3) | instid1(VALU_DEP_1)
	v_add_co_ci_u32_e32 v5, vcc_lo, 0, v5, vcc_lo
	v_lshlrev_b32_e32 v2, 10, v73
	global_load_b128 v[4:7], v[4:5], off
	v_and_b32_e32 v2, 0x3800, v2
	v_or3_b32 v3, v2, v8, v3
	v_mov_b32_e32 v2, 0
	s_waitcnt vmcnt(0)
	ds_store_b128 v3, v[4:7]
.LBB576_12:
	s_or_b32 exec_lo, exec_lo, s3
	v_and_b32_e32 v3, 0xef, v0
	s_add_i32 s3, s18, 31
	s_clause 0x1
	s_load_b32 s4, s[0:1], 0x38
	s_load_b32 s19, s[0:1], 0x1c
	s_ashr_i32 s7, s3, 31
	v_add_nc_u32_e32 v3, s16, v3
	s_lshr_b32 s7, s7, 27
	s_waitcnt lgkmcnt(0)
	s_add_i32 s3, s3, s7
	s_barrier
	v_ashrrev_i32_e32 v4, 31, v3
	v_cmp_gt_i32_e32 vcc_lo, s18, v3
	s_ashr_i32 s3, s3, 5
	buffer_gl0_inv
	s_add_i32 s3, s3, -1
	v_lshrrev_b32_e32 v5, 27, v4
	v_or_b32_e32 v4, 16, v3
	s_mul_i32 s6, s15, s6
	v_lshlrev_b64 v[81:82], 1, v[1:2]
	s_delay_alu instid0(VALU_DEP_3) | instskip(NEXT) | instid1(VALU_DEP_3)
	v_add_nc_u32_e32 v6, v3, v5
	v_add_nc_u32_e32 v5, v4, v5
	s_mul_i32 s20, s34, s4
	s_delay_alu instid0(SALU_CYCLE_1) | instskip(NEXT) | instid1(VALU_DEP_2)
	s_ashr_i32 s21, s20, 31
	v_ashrrev_i32_e32 v6, 5, v6
	s_delay_alu instid0(VALU_DEP_2) | instskip(SKIP_1) | instid1(SALU_CYCLE_1)
	v_ashrrev_i32_e32 v5, 5, v5
	s_lshl_b64 s[20:21], s[20:21], 2
	s_add_u32 s4, s12, s20
	s_delay_alu instid0(VALU_DEP_2) | instskip(SKIP_3) | instid1(SALU_CYCLE_1)
	v_cndmask_b32_e32 v3, s3, v6, vcc_lo
	v_cmp_gt_i32_e32 vcc_lo, s18, v4
	s_addc_u32 s17, s13, s21
	s_ashr_i32 s7, s6, 31
	s_lshl_b64 s[6:7], s[6:7], 1
	v_cndmask_b32_e32 v5, s3, v5, vcc_lo
	v_ashrrev_i32_e32 v4, 31, v3
	s_add_u32 s15, s8, s6
	s_addc_u32 s28, s9, s7
	s_lshl_b32 s8, s14, 3
	v_ashrrev_i32_e32 v6, 31, v5
	v_lshlrev_b64 v[3:4], 2, v[3:4]
	s_ashr_i32 s9, s8, 31
	s_delay_alu instid0(SALU_CYCLE_1) | instskip(NEXT) | instid1(VALU_DEP_2)
	s_lshl_b64 s[8:9], s[8:9], 2
	v_lshlrev_b64 v[5:6], 2, v[5:6]
	s_add_u32 s8, s4, s8
	s_delay_alu instid0(VALU_DEP_2) | instskip(SKIP_1) | instid1(VALU_DEP_3)
	v_add_co_u32 v3, vcc_lo, s4, v3
	v_add_co_ci_u32_e32 v4, vcc_lo, s17, v4, vcc_lo
	v_add_co_u32 v5, vcc_lo, s4, v5
	s_delay_alu instid0(VALU_DEP_4)
	v_add_co_ci_u32_e32 v6, vcc_lo, s17, v6, vcc_lo
	s_addc_u32 s9, s17, s9
	s_clause 0x1
	global_load_b32 v7, v[3:4], off
	global_load_b32 v8, v[5:6], off
	s_or_b32 s12, s16, 32
	s_delay_alu instid0(SALU_CYCLE_1) | instskip(SKIP_2) | instid1(SALU_CYCLE_1)
	s_ashr_i32 s13, s12, 5
	s_cmp_lt_i32 s12, s18
	s_cselect_b32 s12, s13, s3
	s_ashr_i32 s13, s12, 31
	s_delay_alu instid0(SALU_CYCLE_1) | instskip(NEXT) | instid1(SALU_CYCLE_1)
	s_lshl_b64 s[12:13], s[12:13], 2
	s_add_u32 s12, s4, s12
	s_addc_u32 s13, s17, s13
	s_or_b32 s20, s16, 64
	s_delay_alu instid0(SALU_CYCLE_1) | instskip(SKIP_2) | instid1(SALU_CYCLE_1)
	s_ashr_i32 s21, s20, 5
	s_cmp_lt_i32 s20, s18
	s_cselect_b32 s20, s21, s3
	s_ashr_i32 s21, s20, 31
	s_delay_alu instid0(SALU_CYCLE_1) | instskip(NEXT) | instid1(SALU_CYCLE_1)
	s_lshl_b64 s[20:21], s[20:21], 2
	s_add_u32 s20, s4, s20
	s_addc_u32 s21, s17, s21
	;; [unrolled: 10-line block ×5, first 2 shown]
	s_clause 0x5
	s_load_b32 s29, s[8:9], 0x0
	s_load_b32 s30, s[12:13], 0x0
	s_load_b32 s33, s[20:21], 0x0
	s_load_b32 s35, s[22:23], 0x0
	s_load_b32 s36, s[24:25], 0x0
	s_load_b32 s38, s[26:27], 0x0
	s_or_b32 s8, s16, 0xc0
	s_mov_b32 s20, 0
	s_ashr_i32 s9, s8, 5
	s_cmp_lt_i32 s8, s18
	s_mov_b32 s27, s20
	s_cselect_b32 s8, s9, s3
	s_mov_b32 s21, s20
	s_ashr_i32 s9, s8, 31
	s_mov_b32 s22, s20
	s_lshl_b64 s[8:9], s[8:9], 2
	s_mov_b32 s23, s20
	s_add_u32 s8, s4, s8
	s_mov_b32 s24, s20
	s_mov_b32 s25, s20
	;; [unrolled: 1-line block ×3, first 2 shown]
	s_addc_u32 s9, s17, s9
	v_mov_b32_e32 v117, s27
	v_dual_mov_b32 v110, s20 :: v_dual_lshlrev_b32 v85, 6, v73
	v_dual_mov_b32 v116, s26 :: v_dual_mov_b32 v115, s25
	v_dual_mov_b32 v114, s24 :: v_dual_mov_b32 v113, s23
	;; [unrolled: 1-line block ×3, first 2 shown]
	s_waitcnt lgkmcnt(0)
	s_mul_hi_i32 s13, s29, s5
	s_mul_i32 s12, s29, s5
	v_lshl_or_b32 v58, v74, 10, v85
	s_mul_hi_i32 s21, s30, s5
	s_mul_i32 s20, s30, s5
	s_mul_hi_i32 s25, s33, s5
	s_mul_i32 s24, s33, s5
	;; [unrolled: 2-line block ×3, first 2 shown]
	s_mul_hi_i32 s37, s38, s5
	s_waitcnt vmcnt(1)
	v_mad_i64_i32 v[3:4], null, v7, s5, 0
	s_waitcnt vmcnt(0)
	v_mad_i64_i32 v[5:6], null, v8, s5, 0
	s_delay_alu instid0(VALU_DEP_2) | instskip(NEXT) | instid1(VALU_DEP_2)
	v_lshlrev_b64 v[3:4], 1, v[3:4]
	v_lshlrev_b64 v[1:2], 1, v[5:6]
	s_delay_alu instid0(VALU_DEP_2) | instskip(NEXT) | instid1(VALU_DEP_3)
	v_add_co_u32 v3, vcc_lo, s15, v3
	v_add_co_ci_u32_e32 v4, vcc_lo, s28, v4, vcc_lo
	s_delay_alu instid0(VALU_DEP_3) | instskip(NEXT) | instid1(VALU_DEP_4)
	v_add_co_u32 v1, vcc_lo, s15, v1
	v_add_co_ci_u32_e32 v2, vcc_lo, s28, v2, vcc_lo
	s_delay_alu instid0(VALU_DEP_4) | instskip(NEXT) | instid1(VALU_DEP_4)
	v_add_co_u32 v41, vcc_lo, v3, v81
	v_add_co_ci_u32_e32 v42, vcc_lo, v4, v82, vcc_lo
	s_delay_alu instid0(VALU_DEP_4) | instskip(NEXT) | instid1(VALU_DEP_4)
	v_add_co_u32 v43, vcc_lo, v1, v81
	v_add_co_ci_u32_e32 v44, vcc_lo, v2, v82, vcc_lo
	s_clause 0xf
	global_load_b128 v[1:4], v[41:42], off
	global_load_b128 v[5:8], v[41:42], off offset:512
	global_load_b128 v[9:12], v[43:44], off offset:256
	;; [unrolled: 1-line block ×15, first 2 shown]
	v_mul_lo_u16 v41, 0x56, v73
	s_or_b32 s15, s16, 0xe0
	s_delay_alu instid0(SALU_CYCLE_1) | instskip(SKIP_1) | instid1(VALU_DEP_1)
	s_ashr_i32 s22, s15, 5
	s_cmp_lt_i32 s15, s18
	v_lshrrev_b16 v41, 8, v41
	s_cselect_b32 s22, s22, s3
	s_delay_alu instid0(SALU_CYCLE_1) | instskip(NEXT) | instid1(VALU_DEP_1)
	s_ashr_i32 s23, s22, 31
	v_mul_lo_u16 v41, v41, 3
	s_lshl_b64 s[22:23], s[22:23], 2
	s_delay_alu instid0(SALU_CYCLE_1) | instskip(SKIP_1) | instid1(VALU_DEP_1)
	s_add_u32 s22, s4, s22
	s_addc_u32 s23, s17, s23
	v_sub_nc_u16 v41, v73, v41
	s_add_i32 s15, s16, 0x100
	s_delay_alu instid0(SALU_CYCLE_1) | instskip(SKIP_1) | instid1(VALU_DEP_1)
	s_ashr_i32 s28, s15, 5
	s_cmp_lt_i32 s15, s18
	v_and_b32_e32 v41, 0xff, v41
	s_cselect_b32 s28, s28, s3
	s_delay_alu instid0(SALU_CYCLE_1) | instskip(NEXT) | instid1(VALU_DEP_1)
	s_ashr_i32 s29, s28, 31
	v_lshlrev_b32_e32 v57, 6, v41
	ds_load_b128 v[41:44], v57
	ds_load_b128 v[45:48], v57 offset:1024
	ds_load_b128 v[49:52], v57 offset:2048
	;; [unrolled: 1-line block ×7, first 2 shown]
	s_lshl_b64 s[28:29], s[28:29], 2
	s_load_b32 s15, s[8:9], 0x0
	s_add_u32 s28, s4, s28
	s_addc_u32 s29, s17, s29
	s_add_u32 s3, s10, s6
	s_clause 0x1
	s_load_b32 s4, s[22:23], 0x0
	s_load_b32 s17, s[28:29], 0x0
	s_addc_u32 s28, s11, s7
	v_add_co_u32 v76, s3, s3, v58
	s_delay_alu instid0(VALU_DEP_1) | instskip(SKIP_2) | instid1(VALU_DEP_2)
	v_add_co_ci_u32_e64 v77, null, s28, 0, s3
	s_lshl_b64 s[6:7], s[12:13], 1
	s_lshl_b64 s[10:11], s[20:21], 1
	v_add_co_u32 v57, vcc_lo, v76, s6
	s_delay_alu instid0(VALU_DEP_2)
	v_add_co_ci_u32_e32 v58, vcc_lo, s7, v77, vcc_lo
	s_lshl_b64 s[12:13], s[24:25], 1
	s_lshl_b64 s[20:21], s[26:27], 1
	s_mul_hi_i32 s9, s36, s5
	s_mul_i32 s8, s36, s5
	s_mul_i32 s36, s38, s5
	s_lshl_b64 s[8:9], s[8:9], 1
	s_lshl_b64 s[22:23], s[36:37], 1
	s_waitcnt lgkmcnt(0)
	s_mul_hi_i32 s25, s15, s5
	s_mul_i32 s24, s15, s5
	s_clause 0x1
	global_load_b128 v[65:68], v[57:58], off
	global_load_b128 v[69:72], v[57:58], off offset:16
	s_lshl_b64 s[6:7], s[24:25], 1
	s_waitcnt vmcnt(16)
	v_wmma_f32_16x16x16_bf16 v[134:141], v[1:8], v[41:48], v[110:117]
	v_add_co_u32 v1, vcc_lo, v76, s10
	v_add_co_ci_u32_e32 v2, vcc_lo, s11, v77, vcc_lo
	s_waitcnt vmcnt(12)
	s_delay_alu instid0(VALU_DEP_3) | instskip(SKIP_3) | instid1(VALU_DEP_3)
	v_wmma_f32_16x16x16_bf16 v[134:141], v[17:24], v[49:56], v[134:141]
	v_add_co_u32 v3, vcc_lo, v76, s12
	v_add_co_ci_u32_e32 v4, vcc_lo, s13, v77, vcc_lo
	s_waitcnt vmcnt(8)
	v_wmma_f32_16x16x16_bf16 v[134:141], v[33:40], v[118:125], v[134:141]
	v_add_co_u32 v5, vcc_lo, v76, s20
	v_add_co_ci_u32_e32 v6, vcc_lo, s21, v77, vcc_lo
	s_waitcnt vmcnt(4)
	s_delay_alu instid0(VALU_DEP_3) | instskip(SKIP_2) | instid1(VALU_DEP_3)
	v_wmma_f32_16x16x16_bf16 v[134:141], v[94:101], v[126:133], v[134:141]
	v_add_co_u32 v7, vcc_lo, v76, s8
	v_add_co_ci_u32_e32 v8, vcc_lo, s9, v77, vcc_lo
	v_mul_f32_e32 v100, s19, v141
	v_wmma_f32_16x16x16_bf16 v[110:117], v[9:16], v[41:48], v[110:117]
	s_clause 0x1
	global_load_b128 v[57:60], v[1:2], off
	global_load_b128 v[61:64], v[1:2], off offset:16
	s_mul_hi_i32 s9, s4, s5
	s_mul_i32 s8, s4, s5
	v_wmma_f32_16x16x16_bf16 v[110:117], v[25:32], v[49:56], v[110:117]
	s_clause 0x5
	global_load_b128 v[49:52], v[3:4], off
	global_load_b128 v[53:56], v[3:4], off offset:16
	global_load_b128 v[41:44], v[5:6], off
	global_load_b128 v[45:48], v[5:6], off offset:16
	;; [unrolled: 2-line block ×3, first 2 shown]
	v_add_co_u32 v5, vcc_lo, v76, s22
	v_add_co_ci_u32_e32 v6, vcc_lo, s23, v77, vcc_lo
	v_add_co_u32 v17, vcc_lo, v76, s6
	v_add_co_ci_u32_e32 v18, vcc_lo, s7, v77, vcc_lo
	s_lshl_b64 s[6:7], s[8:9], 1
	s_mul_hi_i32 s9, s17, s5
	s_mul_i32 s8, s17, s5
	v_add_co_u32 v19, vcc_lo, v76, s6
	s_lshl_b64 s[4:5], s[8:9], 1
	v_add_co_ci_u32_e32 v20, vcc_lo, s7, v77, vcc_lo
	v_add_co_u32 v21, vcc_lo, v76, s4
	v_add_co_ci_u32_e32 v22, vcc_lo, s5, v77, vcc_lo
	s_clause 0x7
	global_load_b128 v[1:4], v[5:6], off
	global_load_b128 v[5:8], v[5:6], off offset:16
	global_load_b128 v[33:36], v[17:18], off
	global_load_b128 v[37:40], v[17:18], off offset:16
	;; [unrolled: 2-line block ×4, first 2 shown]
	v_and_b32_e32 v76, 0xe0, v0
	v_mbcnt_lo_u32_b32 v77, -1, 0
	v_wmma_f32_16x16x16_bf16 v[110:117], v[86:93], v[118:125], v[110:117]
	s_waitcnt vmcnt(0)
	s_barrier
	v_add_nc_u32_e32 v76, s16, v76
	v_xor_b32_e32 v78, 16, v77
	v_wmma_f32_16x16x16_bf16 v[110:117], v[102:109], v[126:133], v[110:117]
	v_mul_f32_e32 v97, s19, v134
	v_mul_f32_e32 v99, s19, v135
	v_or_b32_e32 v76, v76, v83
	v_cmp_gt_i32_e32 vcc_lo, 32, v78
	buffer_gl0_inv
	v_or_b32_e32 v79, 4, v76
	v_cndmask_b32_e32 v77, v77, v78, vcc_lo
	v_or_b32_e32 v78, 2, v76
	v_or_b32_e32 v80, 6, v76
	;; [unrolled: 1-line block ×3, first 2 shown]
	v_cmp_gt_i32_e32 vcc_lo, s18, v76
	v_or_b32_e32 v87, 10, v76
	v_cmp_gt_i32_e64 s3, s18, v78
	v_or_b32_e32 v88, 12, v76
	v_or_b32_e32 v89, 14, v76
	;; [unrolled: 1-line block ×10, first 2 shown]
	v_cndmask_b32_e64 v78, 0xff7fffff, v99, s3
	v_mul_f32_e32 v99, s19, v137
	v_cmp_gt_i32_e64 s4, s18, v80
	v_mul_f32_e32 v80, s19, v136
	v_cmp_gt_i32_e64 s5, s18, v79
	v_cmp_gt_i32_e64 s6, s18, v86
	v_mul_f32_e32 v86, s19, v116
	v_cndmask_b32_e32 v76, 0xff7fffff, v97, vcc_lo
	v_mul_f32_e32 v79, s19, v139
	v_cndmask_b32_e64 v80, 0xff7fffff, v80, s5
	v_cndmask_b32_e64 v99, 0xff7fffff, v99, s4
	v_cmp_gt_i32_e64 s7, s18, v87
	v_max3_f32 v76, v76, 0xff7fffff, v78
	v_dual_mul_f32 v78, s19, v138 :: v_dual_mul_f32 v97, s19, v140
	v_cmp_gt_i32_e64 s8, s18, v89
	s_delay_alu instid0(VALU_DEP_4) | instskip(NEXT) | instid1(VALU_DEP_4)
	v_cndmask_b32_e64 v79, 0xff7fffff, v79, s7
	v_max3_f32 v76, v76, v80, v99
	s_delay_alu instid0(VALU_DEP_4) | instskip(SKIP_3) | instid1(VALU_DEP_4)
	v_cndmask_b32_e64 v78, 0xff7fffff, v78, s6
	v_cmp_gt_i32_e64 s9, s18, v88
	v_dual_mul_f32 v88, s19, v111 :: v_dual_mul_f32 v89, s19, v110
	v_cndmask_b32_e64 v100, 0xff7fffff, v100, s8
	v_max3_f32 v76, v76, v78, v79
	s_delay_alu instid0(VALU_DEP_4) | instskip(SKIP_3) | instid1(VALU_DEP_4)
	v_cndmask_b32_e64 v97, 0xff7fffff, v97, s9
	v_cmp_gt_i32_e64 s10, s18, v90
	v_cmp_gt_i32_e64 s11, s18, v91
	v_dual_mul_f32 v78, s19, v113 :: v_dual_mul_f32 v79, s19, v112
	v_max3_f32 v76, v76, v97, v100
	s_delay_alu instid0(VALU_DEP_4) | instskip(NEXT) | instid1(VALU_DEP_4)
	v_cndmask_b32_e64 v89, 0xff7fffff, v89, s10
	v_cndmask_b32_e64 v88, 0xff7fffff, v88, s11
	v_cmp_gt_i32_e64 s12, s18, v92
	v_cmp_gt_i32_e64 s13, s18, v93
	v_mul_f32_e32 v87, s19, v115
	v_mul_f32_e32 v99, s19, v114
	v_max3_f32 v76, v76, v89, v88
	v_cndmask_b32_e64 v79, 0xff7fffff, v79, s12
	v_cndmask_b32_e64 v78, 0xff7fffff, v78, s13
	v_cmp_gt_i32_e64 s15, s18, v94
	v_cmp_gt_i32_e64 s16, s18, v95
	v_mul_f32_e32 v80, s19, v117
	v_cmp_gt_i32_e64 s17, s18, v96
	v_max3_f32 v76, v76, v79, v78
	v_cndmask_b32_e64 v88, 0xff7fffff, v99, s15
	v_cndmask_b32_e64 v87, 0xff7fffff, v87, s16
	v_cmp_gt_i32_e64 s18, s18, v98
	v_cndmask_b32_e64 v78, 0xff7fffff, v86, s17
	v_lshlrev_b32_e32 v99, 2, v77
	s_delay_alu instid0(VALU_DEP_4) | instskip(NEXT) | instid1(VALU_DEP_4)
	v_max3_f32 v76, v76, v88, v87
	v_cndmask_b32_e64 v79, 0xff7fffff, v80, s18
	s_delay_alu instid0(VALU_DEP_1) | instskip(SKIP_3) | instid1(VALU_DEP_1)
	v_max3_f32 v76, v76, v78, v79
	ds_bpermute_b32 v77, v99, v76
	s_waitcnt lgkmcnt(0)
	v_max_f32_e32 v77, v77, v77
	v_max_f32_e32 v76, v76, v77
	s_delay_alu instid0(VALU_DEP_1)
	v_fma_f32 v86, s19, v138, -v76
	v_fma_f32 v77, s19, v134, -v76
	;; [unrolled: 1-line block ×5, first 2 shown]
	v_mul_f32_e32 v86, 0x3fb8aa3b, v86
	v_fma_f32 v88, s19, v114, -v76
	s_delay_alu instid0(VALU_DEP_4) | instskip(NEXT) | instid1(VALU_DEP_4)
	v_dual_mul_f32 v78, 0x3fb8aa3b, v78 :: v_dual_mul_f32 v79, 0x3fb8aa3b, v79
	v_mul_f32_e32 v80, 0x3fb8aa3b, v80
	s_delay_alu instid0(VALU_DEP_4) | instskip(SKIP_1) | instid1(VALU_DEP_3)
	v_exp_f32_e32 v86, v86
	v_fma_f32 v87, s19, v140, -v76
	v_exp_f32_e32 v78, v78
	v_exp_f32_e32 v79, v79
	v_exp_f32_e32 v80, v80
	s_delay_alu instid0(VALU_DEP_1)
	v_dual_mul_f32 v88, 0x3fb8aa3b, v88 :: v_dual_mul_f32 v87, 0x3fb8aa3b, v87
	v_fma_f32 v100, s19, v117, -v76
	v_fma_f32 v90, s19, v116, -v76
	v_cndmask_b32_e64 v96, 0, v86, s6
	v_fma_f32 v86, s19, v111, -v76
	v_mul_f32_e32 v77, 0x3fb8aa3b, v77
	s_delay_alu instid0(TRANS32_DEP_3) | instskip(NEXT) | instid1(TRANS32_DEP_2)
	v_cndmask_b32_e64 v91, 0, v78, s3
	v_cndmask_b32_e64 v93, 0, v79, s5
	s_delay_alu instid0(TRANS32_DEP_1)
	v_cndmask_b32_e64 v95, 0, v80, s4
	v_mul_f32_e32 v86, 0x3fb8aa3b, v86
	v_exp_f32_e32 v77, v77
	v_fma_f32 v79, s19, v141, -v76
	v_fma_f32 v80, s19, v110, -v76
	v_exp_f32_e32 v87, v87
	v_exp_f32_e32 v86, v86
	s_delay_alu instid0(VALU_DEP_2) | instskip(NEXT) | instid1(VALU_DEP_2)
	v_dual_mul_f32 v100, 0x3fb8aa3b, v100 :: v_dual_mul_f32 v79, 0x3fb8aa3b, v79
	v_mul_f32_e32 v80, 0x3fb8aa3b, v80
	v_exp_f32_e32 v88, v88
	v_cmp_gt_u32_e64 s3, 16, v75
	v_cndmask_b32_e32 v92, 0, v77, vcc_lo
	v_fma_f32 v77, s19, v139, -v76
	v_exp_f32_e32 v79, v79
	v_exp_f32_e32 v80, v80
	v_cndmask_b32_e64 v94, 0, v87, s9
	s_delay_alu instid0(VALU_DEP_2) | instskip(SKIP_2) | instid1(VALU_DEP_2)
	v_dual_add_f32 v78, 0, v92 :: v_dual_mul_f32 v77, 0x3fb8aa3b, v77
	v_fma_f32 v87, s19, v113, -v76
	v_exp_f32_e32 v100, v100
	v_add_f32_e32 v78, v78, v91
	s_delay_alu instid0(VALU_DEP_3) | instskip(SKIP_1) | instid1(VALU_DEP_2)
	v_exp_f32_e32 v77, v77
	v_cndmask_b32_e64 v98, 0, v79, s8
	v_dual_mul_f32 v87, 0x3fb8aa3b, v87 :: v_dual_add_f32 v78, v78, v93
	s_delay_alu instid0(VALU_DEP_1) | instskip(NEXT) | instid1(VALU_DEP_1)
	v_exp_f32_e32 v87, v87
	v_add_f32_e32 v78, v78, v95
	s_waitcnt_depctr 0xfff
	v_cndmask_b32_e64 v97, 0, v77, s7
	v_add_f32_e32 v77, v78, v96
	v_fma_f32 v78, s19, v112, -v76
	s_delay_alu instid0(VALU_DEP_1) | instskip(NEXT) | instid1(VALU_DEP_1)
	v_mul_f32_e32 v78, 0x3fb8aa3b, v78
	v_exp_f32_e32 v89, v78
	v_cndmask_b32_e64 v78, 0, v86, s11
	v_add_f32_e32 v77, v77, v97
	s_delay_alu instid0(VALU_DEP_1) | instskip(SKIP_2) | instid1(VALU_DEP_1)
	v_add_f32_e32 v79, v77, v94
	v_cndmask_b32_e64 v77, 0, v80, s10
	v_fma_f32 v80, s19, v115, -v76
	v_dual_add_f32 v79, v79, v98 :: v_dual_mul_f32 v80, 0x3fb8aa3b, v80
	s_delay_alu instid0(VALU_DEP_1) | instskip(NEXT) | instid1(TRANS32_DEP_1)
	v_add_f32_e32 v86, v79, v77
	v_cndmask_b32_e64 v79, 0, v89, s12
	v_mul_f32_e32 v89, 0x3fb8aa3b, v90
	s_delay_alu instid0(VALU_DEP_4) | instskip(SKIP_2) | instid1(VALU_DEP_3)
	v_exp_f32_e32 v90, v80
	v_cndmask_b32_e64 v80, 0, v87, s13
	v_add_f32_e32 v86, v86, v78
	v_exp_f32_e32 v89, v89
	s_delay_alu instid0(VALU_DEP_1) | instskip(SKIP_1) | instid1(VALU_DEP_2)
	v_add_f32_e32 v87, v86, v79
	v_cndmask_b32_e64 v86, 0, v88, s15
	v_add_f32_e32 v88, v87, v80
	s_delay_alu instid0(TRANS32_DEP_2) | instskip(NEXT) | instid1(VALU_DEP_2)
	v_cndmask_b32_e64 v87, 0, v90, s16
	v_add_f32_e32 v90, v88, v86
	s_waitcnt_depctr 0xfff
	v_cndmask_b32_e64 v88, 0, v89, s17
	v_add_f32_e32 v89, v90, v87
	s_delay_alu instid0(VALU_DEP_1) | instskip(SKIP_1) | instid1(VALU_DEP_1)
	v_add_f32_e32 v90, v89, v88
	v_cndmask_b32_e64 v89, 0, v100, s18
	v_add_f32_e32 v90, v90, v89
	ds_bpermute_b32 v99, v99, v90
	s_and_saveexec_b32 s4, s3
	s_cbranch_execz .LBB576_14
; %bb.13:
	v_mul_u32_u24_e32 v75, 0x44, v74
	s_waitcnt lgkmcnt(0)
	v_add_f32_e32 v90, v90, v99
	s_delay_alu instid0(VALU_DEP_2) | instskip(NEXT) | instid1(VALU_DEP_1)
	v_lshl_add_u32 v75, v73, 2, v75
	v_add_nc_u32_e32 v75, 0x4000, v75
	ds_store_2addr_b32 v75, v76, v90 offset1:136
.LBB576_14:
	s_or_b32 exec_lo, exec_lo, s4
	v_lshlrev_b32_e32 v75, 2, v73
	s_waitcnt lgkmcnt(0)
	s_barrier
	buffer_gl0_inv
	v_cmp_eq_u32_e64 s4, 1, v74
	v_add_nc_u32_e32 v90, 0x4000, v75
	ds_load_2addr_b32 v[99:100], v90 offset1:17
	ds_load_2addr_b32 v[101:102], v90 offset0:34 offset1:51
	ds_load_2addr_b32 v[103:104], v90 offset0:68 offset1:85
	;; [unrolled: 1-line block ×4, first 2 shown]
	s_waitcnt lgkmcnt(4)
	v_max3_f32 v75, v99, 0xff7fffff, v100
	s_waitcnt lgkmcnt(3)
	s_delay_alu instid0(VALU_DEP_1) | instskip(SKIP_1) | instid1(VALU_DEP_1)
	v_max3_f32 v75, v75, v101, v102
	s_waitcnt lgkmcnt(2)
	v_max3_f32 v75, v75, v103, v104
	s_waitcnt lgkmcnt(1)
	s_delay_alu instid0(VALU_DEP_1) | instskip(NEXT) | instid1(VALU_DEP_1)
	v_max3_f32 v75, v75, v105, v106
	v_sub_f32_e32 v109, v100, v75
	v_sub_f32_e32 v76, v99, v75
	ds_load_2addr_b32 v[99:100], v90 offset0:170 offset1:187
	v_sub_f32_e32 v101, v101, v75
	v_dual_mul_f32 v109, 0x3fb8aa3b, v109 :: v_dual_mul_f32 v76, 0x3fb8aa3b, v76
	s_delay_alu instid0(VALU_DEP_2) | instskip(NEXT) | instid1(VALU_DEP_2)
	v_mul_f32_e32 v111, 0x3fb8aa3b, v101
	v_exp_f32_e32 v109, v109
	s_delay_alu instid0(VALU_DEP_2)
	v_exp_f32_e32 v110, v76
	v_sub_f32_e32 v76, v102, v75
	ds_load_2addr_b32 v[101:102], v90 offset0:204 offset1:221
	v_exp_f32_e32 v111, v111
	v_mul_f32_e32 v112, 0x3fb8aa3b, v76
	s_waitcnt lgkmcnt(2)
	v_fma_f32 v76, v110, v107, 0
	v_sub_f32_e32 v103, v103, v75
	s_delay_alu instid0(VALU_DEP_3) | instskip(NEXT) | instid1(VALU_DEP_2)
	v_exp_f32_e32 v112, v112
	v_dual_sub_f32 v107, v104, v75 :: v_dual_fmac_f32 v76, v109, v108
	s_waitcnt lgkmcnt(1)
	s_waitcnt_depctr 0xfff
	v_fmac_f32_e32 v76, v111, v99
	v_mul_f32_e32 v113, 0x3fb8aa3b, v103
	ds_load_2addr_b32 v[103:104], v90 offset0:238 offset1:255
	v_sub_f32_e32 v90, v105, v75
	v_dual_sub_f32 v99, v106, v75 :: v_dual_fmac_f32 v76, v112, v100
	v_mul_f32_e32 v105, 0x3fb8aa3b, v107
	v_exp_f32_e32 v107, v113
	s_delay_alu instid0(VALU_DEP_2)
	v_dual_mul_f32 v90, 0x3fb8aa3b, v90 :: v_dual_mul_f32 v99, 0x3fb8aa3b, v99
	s_waitcnt lgkmcnt(0)
	s_barrier
	buffer_gl0_inv
	v_exp_f32_e32 v90, v90
	v_exp_f32_e32 v99, v99
	v_fmac_f32_e32 v76, v107, v101
	v_exp_f32_e32 v105, v105
	s_waitcnt_depctr 0xfff
	v_fmac_f32_e32 v76, v105, v102
	s_delay_alu instid0(VALU_DEP_1) | instskip(NEXT) | instid1(VALU_DEP_1)
	v_fmac_f32_e32 v76, v90, v103
	v_fmac_f32_e32 v76, v99, v104
	s_delay_alu instid0(VALU_DEP_1) | instskip(NEXT) | instid1(VALU_DEP_1)
	v_add_f32_e32 v100, 0x358637bd, v76
	v_div_scale_f32 v101, null, v100, v100, 1.0
	v_div_scale_f32 v104, vcc_lo, 1.0, v100, 1.0
	s_delay_alu instid0(VALU_DEP_2) | instskip(SKIP_2) | instid1(VALU_DEP_1)
	v_rcp_f32_e32 v102, v101
	s_waitcnt_depctr 0xfff
	v_fma_f32 v103, -v101, v102, 1.0
	v_fmac_f32_e32 v102, v103, v102
	v_cndmask_b32_e64 v103, v110, v109, s4
	v_cmp_eq_u32_e64 s4, 2, v74
	s_delay_alu instid0(VALU_DEP_3) | instskip(NEXT) | instid1(VALU_DEP_2)
	v_mul_f32_e32 v106, v104, v102
	v_cndmask_b32_e64 v103, v103, v111, s4
	v_cmp_eq_u32_e64 s4, 3, v74
	s_delay_alu instid0(VALU_DEP_3) | instskip(NEXT) | instid1(VALU_DEP_2)
	v_fma_f32 v108, -v101, v106, v104
	v_cndmask_b32_e64 v103, v103, v112, s4
	v_cmp_eq_u32_e64 s4, 4, v74
	s_delay_alu instid0(VALU_DEP_3) | instskip(NEXT) | instid1(VALU_DEP_2)
	v_fmac_f32_e32 v106, v108, v102
	v_cndmask_b32_e64 v103, v103, v107, s4
	s_delay_alu instid0(VALU_DEP_2) | instskip(SKIP_1) | instid1(VALU_DEP_2)
	v_fma_f32 v101, -v101, v106, v104
	v_cmp_eq_u32_e64 s4, 5, v74
	v_div_fmas_f32 v101, v101, v102, v106
	s_delay_alu instid0(VALU_DEP_2) | instskip(SKIP_2) | instid1(VALU_DEP_3)
	v_cndmask_b32_e64 v103, v103, v105, s4
	v_cmp_eq_u32_e32 vcc_lo, 6, v74
	s_mov_b32 s4, exec_lo
	v_div_fixup_f32 v100, v101, v100, 1.0
	s_delay_alu instid0(VALU_DEP_3) | instskip(SKIP_1) | instid1(VALU_DEP_2)
	v_cndmask_b32_e32 v90, v103, v90, vcc_lo
	v_cmp_eq_u32_e32 vcc_lo, 7, v74
	v_cndmask_b32_e32 v90, v90, v99, vcc_lo
	s_delay_alu instid0(VALU_DEP_1) | instskip(NEXT) | instid1(VALU_DEP_1)
	v_mul_f32_e32 v90, v90, v100
	v_mul_f32_e32 v100, v90, v92
	;; [unrolled: 1-line block ×6, first 2 shown]
	v_and_b32_e32 v101, 0x7f800000, v100
	v_mul_f32_e32 v99, v90, v95
	v_mul_f32_e32 v95, v90, v91
	;; [unrolled: 1-line block ×3, first 2 shown]
                                        ; implicit-def: $vgpr91
	s_delay_alu instid0(VALU_DEP_4)
	v_cmpx_ne_u32_e32 0x7f800000, v101
	s_xor_b32 s4, exec_lo, s4
; %bb.15:
	v_bfe_u32 v91, v100, 16, 1
	s_delay_alu instid0(VALU_DEP_1)
	v_add3_u32 v91, v100, v91, 0x7fff
                                        ; implicit-def: $vgpr100
; %bb.16:
	s_and_not1_saveexec_b32 s4, s4
; %bb.17:
	v_and_b32_e32 v91, 0xffff, v100
	v_or_b32_e32 v93, 0x10000, v100
	s_delay_alu instid0(VALU_DEP_2) | instskip(NEXT) | instid1(VALU_DEP_2)
	v_cmp_eq_u32_e32 vcc_lo, 0, v91
	v_cndmask_b32_e32 v91, v93, v100, vcc_lo
; %bb.18:
	s_or_b32 exec_lo, exec_lo, s4
	v_and_b32_e32 v93, 0x7f800000, v95
	s_delay_alu instid0(VALU_DEP_1) | instskip(SKIP_1) | instid1(SALU_CYCLE_1)
	v_cmp_ne_u32_e32 vcc_lo, 0x7f800000, v93
                                        ; implicit-def: $vgpr93
	s_and_saveexec_b32 s4, vcc_lo
	s_xor_b32 s4, exec_lo, s4
; %bb.19:
	v_bfe_u32 v93, v95, 16, 1
	s_delay_alu instid0(VALU_DEP_1)
	v_add3_u32 v93, v95, v93, 0x7fff
                                        ; implicit-def: $vgpr95
; %bb.20:
	s_and_not1_saveexec_b32 s4, s4
; %bb.21:
	v_and_b32_e32 v93, 0xffff, v95
	v_or_b32_e32 v100, 0x10000, v95
	s_delay_alu instid0(VALU_DEP_2) | instskip(NEXT) | instid1(VALU_DEP_2)
	v_cmp_eq_u32_e32 vcc_lo, 0, v93
	v_cndmask_b32_e32 v93, v100, v95, vcc_lo
; %bb.22:
	s_or_b32 exec_lo, exec_lo, s4
	v_and_b32_e32 v95, 0x7f800000, v96
	s_delay_alu instid0(VALU_DEP_1) | instskip(SKIP_1) | instid1(SALU_CYCLE_1)
	v_cmp_ne_u32_e32 vcc_lo, 0x7f800000, v95
                                        ; implicit-def: $vgpr95
	s_and_saveexec_b32 s4, vcc_lo
	s_xor_b32 s4, exec_lo, s4
; %bb.23:
	v_bfe_u32 v95, v96, 16, 1
	s_delay_alu instid0(VALU_DEP_1)
	v_add3_u32 v95, v96, v95, 0x7fff
                                        ; implicit-def: $vgpr96
; %bb.24:
	s_and_not1_saveexec_b32 s4, s4
; %bb.25:
	v_and_b32_e32 v95, 0xffff, v96
	v_or_b32_e32 v100, 0x10000, v96
	s_delay_alu instid0(VALU_DEP_2) | instskip(NEXT) | instid1(VALU_DEP_2)
	v_cmp_eq_u32_e32 vcc_lo, 0, v95
	v_cndmask_b32_e32 v95, v100, v96, vcc_lo
; %bb.26:
	s_or_b32 exec_lo, exec_lo, s4
	v_and_b32_e32 v96, 0x7f800000, v99
	s_delay_alu instid0(VALU_DEP_1) | instskip(SKIP_1) | instid1(SALU_CYCLE_1)
	v_cmp_ne_u32_e32 vcc_lo, 0x7f800000, v96
                                        ; implicit-def: $vgpr96
	s_and_saveexec_b32 s4, vcc_lo
	s_xor_b32 s4, exec_lo, s4
; %bb.27:
	v_bfe_u32 v96, v99, 16, 1
	s_delay_alu instid0(VALU_DEP_1)
	v_add3_u32 v96, v99, v96, 0x7fff
                                        ; implicit-def: $vgpr99
; %bb.28:
	s_and_not1_saveexec_b32 s4, s4
; %bb.29:
	v_and_b32_e32 v96, 0xffff, v99
	v_or_b32_e32 v100, 0x10000, v99
	s_delay_alu instid0(VALU_DEP_2) | instskip(NEXT) | instid1(VALU_DEP_2)
	v_cmp_eq_u32_e32 vcc_lo, 0, v96
	v_cndmask_b32_e32 v96, v100, v99, vcc_lo
; %bb.30:
	s_or_b32 exec_lo, exec_lo, s4
	v_and_b32_e32 v99, 0x7f800000, v98
	s_delay_alu instid0(VALU_DEP_1) | instskip(SKIP_1) | instid1(SALU_CYCLE_1)
	v_cmp_ne_u32_e32 vcc_lo, 0x7f800000, v99
                                        ; implicit-def: $vgpr99
	s_and_saveexec_b32 s4, vcc_lo
	s_xor_b32 s4, exec_lo, s4
; %bb.31:
	v_bfe_u32 v99, v98, 16, 1
	s_delay_alu instid0(VALU_DEP_1)
	v_add3_u32 v99, v98, v99, 0x7fff
                                        ; implicit-def: $vgpr98
; %bb.32:
	s_and_not1_saveexec_b32 s4, s4
; %bb.33:
	v_and_b32_e32 v99, 0xffff, v98
	v_or_b32_e32 v100, 0x10000, v98
	s_delay_alu instid0(VALU_DEP_2) | instskip(NEXT) | instid1(VALU_DEP_2)
	v_cmp_eq_u32_e32 vcc_lo, 0, v99
	v_cndmask_b32_e32 v99, v100, v98, vcc_lo
; %bb.34:
	s_or_b32 exec_lo, exec_lo, s4
	v_and_b32_e32 v98, 0x7f800000, v97
	s_delay_alu instid0(VALU_DEP_1) | instskip(SKIP_1) | instid1(SALU_CYCLE_1)
	v_cmp_ne_u32_e32 vcc_lo, 0x7f800000, v98
                                        ; implicit-def: $vgpr98
	s_and_saveexec_b32 s4, vcc_lo
	s_xor_b32 s4, exec_lo, s4
; %bb.35:
	v_bfe_u32 v98, v97, 16, 1
	s_delay_alu instid0(VALU_DEP_1)
	v_add3_u32 v98, v97, v98, 0x7fff
                                        ; implicit-def: $vgpr97
; %bb.36:
	s_and_not1_saveexec_b32 s4, s4
; %bb.37:
	v_and_b32_e32 v98, 0xffff, v97
	v_or_b32_e32 v100, 0x10000, v97
	s_delay_alu instid0(VALU_DEP_2) | instskip(NEXT) | instid1(VALU_DEP_2)
	v_cmp_eq_u32_e32 vcc_lo, 0, v98
	v_cndmask_b32_e32 v98, v100, v97, vcc_lo
; %bb.38:
	s_or_b32 exec_lo, exec_lo, s4
	v_and_b32_e32 v97, 0x7f800000, v94
	s_delay_alu instid0(VALU_DEP_1) | instskip(SKIP_1) | instid1(SALU_CYCLE_1)
	v_cmp_ne_u32_e32 vcc_lo, 0x7f800000, v97
                                        ; implicit-def: $vgpr97
	s_and_saveexec_b32 s4, vcc_lo
	s_xor_b32 s4, exec_lo, s4
; %bb.39:
	v_bfe_u32 v97, v94, 16, 1
	s_delay_alu instid0(VALU_DEP_1)
	v_add3_u32 v97, v94, v97, 0x7fff
                                        ; implicit-def: $vgpr94
; %bb.40:
	s_and_not1_saveexec_b32 s4, s4
; %bb.41:
	v_and_b32_e32 v97, 0xffff, v94
	v_or_b32_e32 v100, 0x10000, v94
	s_delay_alu instid0(VALU_DEP_2) | instskip(NEXT) | instid1(VALU_DEP_2)
	v_cmp_eq_u32_e32 vcc_lo, 0, v97
	v_cndmask_b32_e32 v97, v100, v94, vcc_lo
; %bb.42:
	s_or_b32 exec_lo, exec_lo, s4
	v_and_b32_e32 v94, 0x7f800000, v92
	s_delay_alu instid0(VALU_DEP_1) | instskip(SKIP_1) | instid1(SALU_CYCLE_1)
	v_cmp_ne_u32_e32 vcc_lo, 0x7f800000, v94
                                        ; implicit-def: $vgpr94
	s_and_saveexec_b32 s4, vcc_lo
	s_xor_b32 s4, exec_lo, s4
; %bb.43:
	v_bfe_u32 v94, v92, 16, 1
	s_delay_alu instid0(VALU_DEP_1)
	v_add3_u32 v94, v92, v94, 0x7fff
                                        ; implicit-def: $vgpr92
; %bb.44:
	s_and_not1_saveexec_b32 s4, s4
; %bb.45:
	v_and_b32_e32 v94, 0xffff, v92
	v_or_b32_e32 v100, 0x10000, v92
	s_delay_alu instid0(VALU_DEP_2) | instskip(NEXT) | instid1(VALU_DEP_2)
	v_cmp_eq_u32_e32 vcc_lo, 0, v94
	v_cndmask_b32_e32 v94, v100, v92, vcc_lo
; %bb.46:
	s_or_b32 exec_lo, exec_lo, s4
	s_load_b64 s[36:37], s[0:1], 0x94
	v_lshlrev_b32_e32 v92, 4, v83
	s_delay_alu instid0(VALU_DEP_2)
	v_perm_b32 v100, v94, v97, 0x7060302
	v_dual_mul_f32 v89, v90, v89 :: v_dual_lshlrev_b32 v94, 11, v74
	v_perm_b32 v97, v93, v91, 0x7060302
	v_mul_f32_e32 v93, v90, v77
	v_perm_b32 v99, v98, v99, 0x7060302
	v_perm_b32 v98, v96, v95, 0x7060302
	v_or3_b32 v77, v92, v94, v85
	v_mul_f32_e32 v88, v90, v88
	v_dual_mul_f32 v87, v90, v87 :: v_dual_and_b32 v94, 0x7f800000, v93
	v_mul_f32_e32 v86, v90, v86
	v_mul_f32_e32 v91, v90, v80
	;; [unrolled: 1-line block ×4, first 2 shown]
	s_mov_b32 s4, exec_lo
	ds_store_b128 v77, v[97:100]
                                        ; implicit-def: $vgpr78
	v_cmpx_ne_u32_e32 0x7f800000, v94
	s_xor_b32 s4, exec_lo, s4
; %bb.47:
	v_bfe_u32 v78, v93, 16, 1
	s_delay_alu instid0(VALU_DEP_1)
	v_add3_u32 v78, v93, v78, 0x7fff
                                        ; implicit-def: $vgpr93
; %bb.48:
	s_and_not1_saveexec_b32 s4, s4
; %bb.49:
	v_and_b32_e32 v78, 0xffff, v93
	v_or_b32_e32 v79, 0x10000, v93
	s_delay_alu instid0(VALU_DEP_2) | instskip(NEXT) | instid1(VALU_DEP_2)
	v_cmp_eq_u32_e32 vcc_lo, 0, v78
	v_cndmask_b32_e32 v78, v79, v93, vcc_lo
; %bb.50:
	s_or_b32 exec_lo, exec_lo, s4
	v_and_b32_e32 v79, 0x7f800000, v80
	s_delay_alu instid0(VALU_DEP_1) | instskip(SKIP_1) | instid1(SALU_CYCLE_1)
	v_cmp_ne_u32_e32 vcc_lo, 0x7f800000, v79
                                        ; implicit-def: $vgpr79
	s_and_saveexec_b32 s4, vcc_lo
	s_xor_b32 s4, exec_lo, s4
; %bb.51:
	v_bfe_u32 v79, v80, 16, 1
	s_delay_alu instid0(VALU_DEP_1)
	v_add3_u32 v79, v80, v79, 0x7fff
                                        ; implicit-def: $vgpr80
; %bb.52:
	s_and_not1_saveexec_b32 s4, s4
; %bb.53:
	v_and_b32_e32 v79, 0xffff, v80
	v_or_b32_e32 v90, 0x10000, v80
	s_delay_alu instid0(VALU_DEP_2) | instskip(NEXT) | instid1(VALU_DEP_2)
	v_cmp_eq_u32_e32 vcc_lo, 0, v79
	v_cndmask_b32_e32 v79, v90, v80, vcc_lo
; %bb.54:
	s_or_b32 exec_lo, exec_lo, s4
	v_and_b32_e32 v80, 0x7f800000, v92
	s_delay_alu instid0(VALU_DEP_1) | instskip(SKIP_1) | instid1(SALU_CYCLE_1)
	v_cmp_ne_u32_e32 vcc_lo, 0x7f800000, v80
                                        ; implicit-def: $vgpr80
	s_and_saveexec_b32 s4, vcc_lo
	s_xor_b32 s4, exec_lo, s4
; %bb.55:
	v_bfe_u32 v80, v92, 16, 1
	s_delay_alu instid0(VALU_DEP_1)
	v_add3_u32 v80, v92, v80, 0x7fff
                                        ; implicit-def: $vgpr92
; %bb.56:
	s_and_not1_saveexec_b32 s4, s4
; %bb.57:
	v_and_b32_e32 v80, 0xffff, v92
	v_or_b32_e32 v90, 0x10000, v92
	s_delay_alu instid0(VALU_DEP_2) | instskip(NEXT) | instid1(VALU_DEP_2)
	v_cmp_eq_u32_e32 vcc_lo, 0, v80
	v_cndmask_b32_e32 v80, v90, v92, vcc_lo
; %bb.58:
	s_or_b32 exec_lo, exec_lo, s4
	v_and_b32_e32 v90, 0x7f800000, v91
	s_delay_alu instid0(VALU_DEP_1) | instskip(SKIP_1) | instid1(SALU_CYCLE_1)
	v_cmp_ne_u32_e32 vcc_lo, 0x7f800000, v90
                                        ; implicit-def: $vgpr90
	s_and_saveexec_b32 s4, vcc_lo
	s_xor_b32 s4, exec_lo, s4
; %bb.59:
	v_bfe_u32 v90, v91, 16, 1
	s_delay_alu instid0(VALU_DEP_1)
	v_add3_u32 v90, v91, v90, 0x7fff
                                        ; implicit-def: $vgpr91
; %bb.60:
	s_and_not1_saveexec_b32 s4, s4
; %bb.61:
	v_and_b32_e32 v90, 0xffff, v91
	v_or_b32_e32 v92, 0x10000, v91
	s_delay_alu instid0(VALU_DEP_2) | instskip(NEXT) | instid1(VALU_DEP_2)
	v_cmp_eq_u32_e32 vcc_lo, 0, v90
	v_cndmask_b32_e32 v90, v92, v91, vcc_lo
; %bb.62:
	s_or_b32 exec_lo, exec_lo, s4
	v_and_b32_e32 v91, 0x7f800000, v86
	s_delay_alu instid0(VALU_DEP_1) | instskip(SKIP_1) | instid1(SALU_CYCLE_1)
	v_cmp_ne_u32_e32 vcc_lo, 0x7f800000, v91
                                        ; implicit-def: $vgpr91
	s_and_saveexec_b32 s4, vcc_lo
	s_xor_b32 s4, exec_lo, s4
; %bb.63:
	v_bfe_u32 v91, v86, 16, 1
	s_delay_alu instid0(VALU_DEP_1)
	v_add3_u32 v91, v86, v91, 0x7fff
                                        ; implicit-def: $vgpr86
; %bb.64:
	s_and_not1_saveexec_b32 s4, s4
; %bb.65:
	v_and_b32_e32 v91, 0xffff, v86
	v_or_b32_e32 v92, 0x10000, v86
	s_delay_alu instid0(VALU_DEP_2) | instskip(NEXT) | instid1(VALU_DEP_2)
	v_cmp_eq_u32_e32 vcc_lo, 0, v91
	v_cndmask_b32_e32 v91, v92, v86, vcc_lo
; %bb.66:
	s_or_b32 exec_lo, exec_lo, s4
	v_and_b32_e32 v86, 0x7f800000, v87
	s_delay_alu instid0(VALU_DEP_1) | instskip(SKIP_1) | instid1(SALU_CYCLE_1)
	v_cmp_ne_u32_e32 vcc_lo, 0x7f800000, v86
                                        ; implicit-def: $vgpr86
	s_and_saveexec_b32 s4, vcc_lo
	s_xor_b32 s4, exec_lo, s4
; %bb.67:
	v_bfe_u32 v86, v87, 16, 1
	s_delay_alu instid0(VALU_DEP_1)
	v_add3_u32 v86, v87, v86, 0x7fff
                                        ; implicit-def: $vgpr87
; %bb.68:
	s_and_not1_saveexec_b32 s4, s4
; %bb.69:
	v_and_b32_e32 v86, 0xffff, v87
	v_or_b32_e32 v92, 0x10000, v87
	s_delay_alu instid0(VALU_DEP_2) | instskip(NEXT) | instid1(VALU_DEP_2)
	v_cmp_eq_u32_e32 vcc_lo, 0, v86
	v_cndmask_b32_e32 v86, v92, v87, vcc_lo
; %bb.70:
	s_or_b32 exec_lo, exec_lo, s4
	v_and_b32_e32 v87, 0x7f800000, v88
	s_delay_alu instid0(VALU_DEP_1) | instskip(SKIP_1) | instid1(SALU_CYCLE_1)
	v_cmp_ne_u32_e32 vcc_lo, 0x7f800000, v87
                                        ; implicit-def: $vgpr87
	s_and_saveexec_b32 s4, vcc_lo
	s_xor_b32 s4, exec_lo, s4
; %bb.71:
	v_bfe_u32 v87, v88, 16, 1
	s_delay_alu instid0(VALU_DEP_1)
	v_add3_u32 v87, v88, v87, 0x7fff
                                        ; implicit-def: $vgpr88
; %bb.72:
	s_and_not1_saveexec_b32 s4, s4
; %bb.73:
	v_and_b32_e32 v87, 0xffff, v88
	v_or_b32_e32 v92, 0x10000, v88
	s_delay_alu instid0(VALU_DEP_2) | instskip(NEXT) | instid1(VALU_DEP_2)
	v_cmp_eq_u32_e32 vcc_lo, 0, v87
	v_cndmask_b32_e32 v87, v92, v88, vcc_lo
; %bb.74:
	s_or_b32 exec_lo, exec_lo, s4
	v_and_b32_e32 v88, 0x7f800000, v89
	s_delay_alu instid0(VALU_DEP_1) | instskip(SKIP_1) | instid1(SALU_CYCLE_1)
	v_cmp_ne_u32_e32 vcc_lo, 0x7f800000, v88
                                        ; implicit-def: $vgpr88
	s_and_saveexec_b32 s4, vcc_lo
	s_xor_b32 s4, exec_lo, s4
; %bb.75:
	v_bfe_u32 v88, v89, 16, 1
	s_delay_alu instid0(VALU_DEP_1)
	v_add3_u32 v88, v89, v88, 0x7fff
                                        ; implicit-def: $vgpr89
; %bb.76:
	s_and_not1_saveexec_b32 s4, s4
; %bb.77:
	v_and_b32_e32 v88, 0xffff, v89
	v_or_b32_e32 v92, 0x10000, v89
	s_delay_alu instid0(VALU_DEP_2) | instskip(NEXT) | instid1(VALU_DEP_2)
	v_cmp_eq_u32_e32 vcc_lo, 0, v88
	v_cndmask_b32_e32 v88, v92, v89, vcc_lo
; %bb.78:
	s_or_b32 exec_lo, exec_lo, s4
	s_delay_alu instid0(VALU_DEP_1)
	v_perm_b32 v89, v88, v87, 0x7060302
	v_perm_b32 v88, v86, v91, 0x7060302
	;; [unrolled: 1-line block ×4, first 2 shown]
	v_lshl_or_b32 v90, v74, 11, v85
	ds_store_b128 v77, v[86:89] offset:1024
	s_waitcnt lgkmcnt(0)
	s_barrier
	buffer_gl0_inv
	ds_load_b128 v[91:94], v90
	ds_load_b128 v[95:98], v90 offset:16
	v_lshlrev_b32_e32 v87, 2, v83
	s_delay_alu instid0(VALU_DEP_1)
	v_or_b32_e32 v88, 1, v87
	v_cmp_eq_u32_e32 vcc_lo, 1, v87
	v_cmp_eq_u32_e64 s5, 2, v87
	v_cmp_eq_u32_e64 s8, 3, v87
	;; [unrolled: 1-line block ×6, first 2 shown]
	v_or_b32_e32 v86, 2, v87
	v_cmp_eq_u32_e64 s11, 5, v87
	v_cmp_eq_u32_e64 s12, 4, v88
	;; [unrolled: 1-line block ×4, first 2 shown]
	s_waitcnt lgkmcnt(1)
	v_lshrrev_b32_e32 v74, 16, v91
	s_waitcnt lgkmcnt(0)
	v_lshrrev_b32_e32 v103, 16, v95
	v_lshrrev_b32_e32 v80, 16, v94
	;; [unrolled: 1-line block ×4, first 2 shown]
	v_cndmask_b32_e32 v89, v91, v74, vcc_lo
	v_cndmask_b32_e32 v99, v95, v103, vcc_lo
	v_cndmask_b32_e64 v100, v91, v74, s4
	v_lshrrev_b32_e32 v79, 16, v93
	v_lshrrev_b32_e32 v108, 16, v97
	v_cndmask_b32_e64 v89, v89, v92, s5
	v_cndmask_b32_e64 v99, v99, v96, s5
	;; [unrolled: 1-line block ×4, first 2 shown]
	v_cmp_eq_u32_e64 s6, 1, v86
	v_cndmask_b32_e64 v89, v89, v78, s8
	v_cndmask_b32_e64 v99, v99, v107, s8
	;; [unrolled: 1-line block ×4, first 2 shown]
	v_lshrrev_b32_e32 v109, 16, v98
	v_cndmask_b32_e64 v89, v89, v93, s10
	v_cndmask_b32_e64 v99, v99, v97, s10
	;; [unrolled: 1-line block ×8, first 2 shown]
	v_cmp_eq_u32_e64 s16, 7, v87
	v_cmp_eq_u32_e64 s17, 6, v88
	v_cndmask_b32_e64 v89, v89, v94, s13
	v_cndmask_b32_e64 v99, v99, v98, s13
	v_cmp_eq_u32_e64 s18, 2, v86
	v_cndmask_b32_e64 v101, v101, v97, s12
	v_cndmask_b32_e64 v100, v100, v94, s17
	;; [unrolled: 1-line block ×6, first 2 shown]
	v_cmp_eq_u32_e64 s19, 7, v88
	v_cmp_eq_u32_e64 s20, 3, v86
	;; [unrolled: 1-line block ×4, first 2 shown]
	v_cndmask_b32_e64 v99, v99, v96, s18
	v_cndmask_b32_e64 v112, v100, v80, s19
	v_cndmask_b32_e64 v100, v101, v108, s15
	v_cndmask_b32_e64 v101, v89, v78, s20
	v_or_b32_e32 v89, 3, v87
	v_cndmask_b32_e64 v105, v99, v107, s20
	v_cmp_eq_u32_e64 s25, 6, v86
	v_cndmask_b32_e64 v113, v100, v98, s17
	v_cndmask_b32_e64 v104, v101, v93, s21
	ds_load_b128 v[99:102], v90 offset:1024
	v_cmp_eq_u32_e64 s22, 1, v89
	v_cmp_eq_u32_e64 s24, 2, v89
	;; [unrolled: 1-line block ×3, first 2 shown]
	v_cndmask_b32_e64 v114, v104, v79, s23
	v_cmp_eq_u32_e64 s27, 4, v89
	v_cndmask_b32_e64 v74, v91, v74, s22
	v_cndmask_b32_e64 v91, v105, v97, s21
	;; [unrolled: 1-line block ×3, first 2 shown]
	ds_load_b128 v[103:106], v90 offset:1040
	v_cmp_eq_u32_e64 s29, 5, v89
	v_cndmask_b32_e64 v74, v74, v92, s24
	v_cndmask_b32_e64 v91, v91, v108, s23
	;; [unrolled: 1-line block ×3, first 2 shown]
	v_cmp_eq_u32_e64 s30, 6, v89
	v_cndmask_b32_e64 v95, v113, v109, s19
	v_cndmask_b32_e64 v74, v74, v78, s26
	;; [unrolled: 1-line block ×5, first 2 shown]
	s_waitcnt lgkmcnt(1)
	v_lshrrev_b32_e32 v96, 16, v99
	v_cndmask_b32_e64 v74, v74, v93, s27
	v_lshrrev_b32_e32 v107, 16, v100
	v_cndmask_b32_e64 v92, v92, v97, s27
	v_cmp_eq_u32_e64 s28, 7, v86
	v_cndmask_b32_e32 v93, v99, v96, vcc_lo
	v_cndmask_b32_e64 v74, v74, v79, s29
	s_delay_alu instid0(VALU_DEP_4)
	v_cndmask_b32_e64 v79, v92, v108, s29
	s_waitcnt lgkmcnt(0)
	v_lshrrev_b32_e32 v97, 16, v103
	v_cndmask_b32_e64 v92, v93, v100, s5
	v_cndmask_b32_e64 v93, v99, v96, s4
	;; [unrolled: 1-line block ×4, first 2 shown]
	v_cndmask_b32_e32 v108, v103, v97, vcc_lo
	v_cndmask_b32_e64 v92, v92, v107, s8
	v_cndmask_b32_e64 v93, v93, v100, s7
	v_lshrrev_b32_e32 v98, 16, v104
	v_cmp_eq_u32_e32 vcc_lo, 7, v89
	v_cndmask_b32_e64 v94, v108, v104, s5
	v_cndmask_b32_e64 v92, v92, v101, s10
	v_lshrrev_b32_e32 v108, 16, v101
	v_cndmask_b32_e64 v93, v93, v107, s9
	v_cndmask_b32_e32 v74, v74, v80, vcc_lo
	v_cndmask_b32_e64 v94, v94, v98, s8
	v_cndmask_b32_e32 v79, v79, v109, vcc_lo
	v_cndmask_b32_e64 v92, v92, v108, s11
	v_cndmask_b32_e64 v78, v78, v80, s28
	;; [unrolled: 1-line block ×4, first 2 shown]
	v_perm_b32 v94, v79, v74, 0x5040100
	v_cndmask_b32_e64 v79, v92, v102, s13
	v_perm_b32 v92, v95, v112, 0x5040100
	v_cndmask_b32_e64 v95, v99, v96, s6
	v_cndmask_b32_e64 v96, v99, v96, s22
	v_cndmask_b32_e64 v99, v103, v97, s22
	v_cndmask_b32_e64 v112, v103, v97, s6
	v_cndmask_b32_e64 v97, v103, v97, s4
	v_cndmask_b32_e64 v95, v95, v100, s18
	v_cndmask_b32_e64 v96, v96, v100, s24
	v_cndmask_b32_e64 v99, v99, v104, s24
	v_cndmask_b32_e64 v100, v112, v104, s18
	v_cndmask_b32_e64 v97, v97, v104, s7
	v_cndmask_b32_e64 v95, v95, v107, s20
	v_cndmask_b32_e64 v96, v96, v107, s26
	v_cndmask_b32_e64 v99, v99, v98, s26
	v_cndmask_b32_e64 v100, v100, v98, s20
	v_cndmask_b32_e64 v97, v97, v98, s9
	v_cndmask_b32_e64 v91, v91, v109, s28
	v_lshrrev_b32_e32 v109, 16, v105
	v_cndmask_b32_e64 v95, v95, v101, s21
	v_cndmask_b32_e64 v96, v96, v101, s27
	;; [unrolled: 1-line block ×6, first 2 shown]
	v_lshrrev_b32_e32 v80, 16, v102
	v_cndmask_b32_e64 v113, v93, v109, s11
	v_cndmask_b32_e64 v95, v95, v108, s23
	;; [unrolled: 1-line block ×6, first 2 shown]
	v_perm_b32 v93, v91, v78, 0x5040100
	v_cndmask_b32_e64 v74, v74, v102, s17
	v_cndmask_b32_e64 v78, v79, v80, s16
	;; [unrolled: 1-line block ×3, first 2 shown]
	v_lshrrev_b32_e32 v91, 16, v106
	v_cndmask_b32_e64 v95, v95, v102, s25
	v_cndmask_b32_e64 v96, v96, v102, s30
	;; [unrolled: 1-line block ×7, first 2 shown]
	v_cndmask_b32_e32 v80, v96, v80, vcc_lo
	v_cndmask_b32_e32 v96, v98, v91, vcc_lo
	v_cndmask_b32_e64 v99, v99, v91, s28
	v_cndmask_b32_e64 v100, v97, v91, s19
	;; [unrolled: 1-line block ×3, first 2 shown]
	v_perm_b32 v91, v111, v110, 0x5040100
	v_perm_b32 v98, v96, v80, 0x5040100
	;; [unrolled: 1-line block ×5, first 2 shown]
	s_mul_i32 s9, s37, 3
	s_mov_b32 s4, exec_lo
	ds_store_b128 v77, v[91:94]
	ds_store_b128 v77, v[95:98] offset:1024
	v_cmpx_gt_u32_e32 3, v0
	s_cbranch_execz .LBB576_80
; %bb.79:
	s_mul_i32 s5, s9, s34
	s_load_b128 s[16:19], s[0:1], 0x58
	v_add3_u32 v77, s5, s31, v73
	s_delay_alu instid0(VALU_DEP_1) | instskip(NEXT) | instid1(VALU_DEP_1)
	v_mad_u64_u32 v[73:74], null, v77, s36, s[14:15]
	v_ashrrev_i32_e32 v74, 31, v73
	s_delay_alu instid0(VALU_DEP_1) | instskip(SKIP_1) | instid1(VALU_DEP_1)
	v_lshlrev_b64 v[73:74], 2, v[73:74]
	s_waitcnt lgkmcnt(0)
	v_add_co_u32 v77, vcc_lo, s18, v73
	s_delay_alu instid0(VALU_DEP_2)
	v_add_co_ci_u32_e32 v78, vcc_lo, s19, v74, vcc_lo
	v_add_co_u32 v73, vcc_lo, s16, v73
	v_add_co_ci_u32_e32 v74, vcc_lo, s17, v74, vcc_lo
	global_store_b32 v[77:78], v75, off
	global_store_b32 v[73:74], v76, off
.LBB576_80:
	s_or_b32 exec_lo, exec_lo, s4
	s_waitcnt lgkmcnt(0)
	s_waitcnt_vscnt null, 0x0
	s_barrier
	buffer_gl0_inv
	ds_load_b128 v[91:94], v85
	ds_load_b128 v[95:98], v85 offset:16
	ds_load_b128 v[103:106], v85 offset:1040
	;; [unrolled: 1-line block ×3, first 2 shown]
	v_mov_b32_e32 v73, 0
	ds_load_b128 v[111:114], v85 offset:2064
	ds_load_b128 v[107:110], v85 offset:2048
	;; [unrolled: 1-line block ×6, first 2 shown]
	v_mov_b32_e32 v74, v73
	v_mov_b32_e32 v75, v73
	;; [unrolled: 1-line block ×7, first 2 shown]
	s_waitcnt lgkmcnt(8)
	s_delay_alu instid0(VALU_DEP_1)
	v_wmma_f32_16x16x16_bf16 v[73:80], v[65:72], v[91:98], v[73:80]
	ds_load_b128 v[69:72], v85 offset:5136
	ds_load_b128 v[65:68], v85 offset:5120
	;; [unrolled: 1-line block ×4, first 2 shown]
	s_waitcnt lgkmcnt(10)
	v_wmma_f32_16x16x16_bf16 v[73:80], v[57:64], v[99:106], v[73:80]
	s_waitcnt lgkmcnt(8)
	s_delay_alu instid0(VALU_DEP_1)
	v_wmma_f32_16x16x16_bf16 v[73:80], v[57:64], v[107:114], v[73:80]
	ds_load_b128 v[61:64], v85 offset:7184
	ds_load_b128 v[57:60], v85 offset:7168
	;; [unrolled: 1-line block ×4, first 2 shown]
	s_waitcnt lgkmcnt(10)
	v_wmma_f32_16x16x16_bf16 v[73:80], v[49:56], v[115:122], v[73:80]
	s_waitcnt lgkmcnt(8)
	s_delay_alu instid0(VALU_DEP_1)
	v_wmma_f32_16x16x16_bf16 v[73:80], v[49:56], v[123:130], v[73:80]
	ds_load_b128 v[53:56], v85 offset:9232
	ds_load_b128 v[49:52], v85 offset:9216
	s_waitcnt lgkmcnt(8)
	v_wmma_f32_16x16x16_bf16 v[73:80], v[41:48], v[65:72], v[73:80]
	ds_load_b128 v[69:72], v85 offset:10256
	ds_load_b128 v[65:68], v85 offset:10240
	s_waitcnt lgkmcnt(8)
	;; [unrolled: 4-line block ×3, first 2 shown]
	v_wmma_f32_16x16x16_bf16 v[73:80], v[9:16], v[57:64], v[73:80]
	s_waitcnt lgkmcnt(6)
	s_delay_alu instid0(VALU_DEP_1)
	v_wmma_f32_16x16x16_bf16 v[73:80], v[9:16], v[99:106], v[73:80]
	ds_load_b128 v[13:16], v85 offset:12304
	ds_load_b128 v[9:12], v85 offset:12288
	s_waitcnt lgkmcnt(6)
	v_wmma_f32_16x16x16_bf16 v[73:80], v[1:8], v[49:56], v[73:80]
	ds_load_b128 v[53:56], v85 offset:13328
	ds_load_b128 v[49:52], v85 offset:13312
	s_waitcnt lgkmcnt(6)
	;; [unrolled: 4-line block ×4, first 2 shown]
	v_wmma_f32_16x16x16_bf16 v[73:80], v[33:40], v[9:16], v[73:80]
	s_waitcnt lgkmcnt(4)
	s_delay_alu instid0(VALU_DEP_1) | instskip(SKIP_1) | instid1(VALU_DEP_1)
	v_wmma_f32_16x16x16_bf16 v[73:80], v[25:32], v[49:56], v[73:80]
	s_waitcnt lgkmcnt(2)
	v_wmma_f32_16x16x16_bf16 v[73:80], v[25:32], v[1:8], v[73:80]
	s_waitcnt lgkmcnt(0)
	s_delay_alu instid0(VALU_DEP_1) | instskip(NEXT) | instid1(VALU_DEP_1)
	v_wmma_f32_16x16x16_bf16 v[73:80], v[17:24], v[41:48], v[73:80]
	v_and_b32_e32 v1, 0x7f800000, v73
	s_delay_alu instid0(VALU_DEP_1) | instskip(SKIP_1) | instid1(SALU_CYCLE_1)
	v_cmp_ne_u32_e32 vcc_lo, 0x7f800000, v1
                                        ; implicit-def: $vgpr1
	s_and_saveexec_b32 s4, vcc_lo
	s_xor_b32 s4, exec_lo, s4
; %bb.81:
	v_bfe_u32 v1, v73, 16, 1
	s_delay_alu instid0(VALU_DEP_1)
	v_add3_u32 v1, v73, v1, 0x7fff
; %bb.82:
	s_and_not1_saveexec_b32 s4, s4
; %bb.83:
	v_and_b32_e32 v1, 0xffff, v73
	v_or_b32_e32 v2, 0x10000, v73
	s_delay_alu instid0(VALU_DEP_2) | instskip(NEXT) | instid1(VALU_DEP_2)
	v_cmp_eq_u32_e32 vcc_lo, 0, v1
	v_cndmask_b32_e32 v1, v2, v73, vcc_lo
; %bb.84:
	s_or_b32 exec_lo, exec_lo, s4
	v_and_b32_e32 v2, 0x7f800000, v74
	s_delay_alu instid0(VALU_DEP_1) | instskip(SKIP_1) | instid1(SALU_CYCLE_1)
	v_cmp_ne_u32_e32 vcc_lo, 0x7f800000, v2
                                        ; implicit-def: $vgpr2
	s_and_saveexec_b32 s4, vcc_lo
	s_xor_b32 s4, exec_lo, s4
; %bb.85:
	v_bfe_u32 v2, v74, 16, 1
	s_delay_alu instid0(VALU_DEP_1)
	v_add3_u32 v2, v74, v2, 0x7fff
; %bb.86:
	s_and_not1_saveexec_b32 s4, s4
; %bb.87:
	v_and_b32_e32 v2, 0xffff, v74
	v_or_b32_e32 v3, 0x10000, v74
	s_delay_alu instid0(VALU_DEP_2) | instskip(NEXT) | instid1(VALU_DEP_2)
	v_cmp_eq_u32_e32 vcc_lo, 0, v2
	v_cndmask_b32_e32 v2, v3, v74, vcc_lo
; %bb.88:
	s_or_b32 exec_lo, exec_lo, s4
	v_and_b32_e32 v3, 0x7f800000, v75
	s_delay_alu instid0(VALU_DEP_1) | instskip(SKIP_1) | instid1(SALU_CYCLE_1)
	v_cmp_ne_u32_e32 vcc_lo, 0x7f800000, v3
                                        ; implicit-def: $vgpr3
	s_and_saveexec_b32 s4, vcc_lo
	s_xor_b32 s4, exec_lo, s4
; %bb.89:
	v_bfe_u32 v3, v75, 16, 1
	s_delay_alu instid0(VALU_DEP_1)
	v_add3_u32 v3, v75, v3, 0x7fff
; %bb.90:
	s_and_not1_saveexec_b32 s4, s4
; %bb.91:
	v_and_b32_e32 v3, 0xffff, v75
	v_or_b32_e32 v4, 0x10000, v75
	s_delay_alu instid0(VALU_DEP_2) | instskip(NEXT) | instid1(VALU_DEP_2)
	v_cmp_eq_u32_e32 vcc_lo, 0, v3
	v_cndmask_b32_e32 v3, v4, v75, vcc_lo
; %bb.92:
	s_or_b32 exec_lo, exec_lo, s4
	v_and_b32_e32 v4, 0x7f800000, v76
	s_delay_alu instid0(VALU_DEP_1) | instskip(SKIP_1) | instid1(SALU_CYCLE_1)
	v_cmp_ne_u32_e32 vcc_lo, 0x7f800000, v4
                                        ; implicit-def: $vgpr4
	s_and_saveexec_b32 s4, vcc_lo
	s_xor_b32 s4, exec_lo, s4
; %bb.93:
	v_bfe_u32 v4, v76, 16, 1
	s_delay_alu instid0(VALU_DEP_1)
	v_add3_u32 v4, v76, v4, 0x7fff
; %bb.94:
	s_and_not1_saveexec_b32 s4, s4
; %bb.95:
	v_and_b32_e32 v4, 0xffff, v76
	v_or_b32_e32 v5, 0x10000, v76
	s_delay_alu instid0(VALU_DEP_2) | instskip(NEXT) | instid1(VALU_DEP_2)
	v_cmp_eq_u32_e32 vcc_lo, 0, v4
	v_cndmask_b32_e32 v4, v5, v76, vcc_lo
; %bb.96:
	s_or_b32 exec_lo, exec_lo, s4
	v_and_b32_e32 v5, 0x7f800000, v77
	s_delay_alu instid0(VALU_DEP_1) | instskip(SKIP_1) | instid1(SALU_CYCLE_1)
	v_cmp_ne_u32_e32 vcc_lo, 0x7f800000, v5
                                        ; implicit-def: $vgpr5
	s_and_saveexec_b32 s4, vcc_lo
	s_xor_b32 s4, exec_lo, s4
; %bb.97:
	v_bfe_u32 v5, v77, 16, 1
	s_delay_alu instid0(VALU_DEP_1)
	v_add3_u32 v5, v77, v5, 0x7fff
; %bb.98:
	s_and_not1_saveexec_b32 s4, s4
; %bb.99:
	v_and_b32_e32 v5, 0xffff, v77
	v_or_b32_e32 v6, 0x10000, v77
	s_delay_alu instid0(VALU_DEP_2) | instskip(NEXT) | instid1(VALU_DEP_2)
	v_cmp_eq_u32_e32 vcc_lo, 0, v5
	v_cndmask_b32_e32 v5, v6, v77, vcc_lo
; %bb.100:
	s_or_b32 exec_lo, exec_lo, s4
	v_and_b32_e32 v6, 0x7f800000, v78
	s_delay_alu instid0(VALU_DEP_1) | instskip(SKIP_1) | instid1(SALU_CYCLE_1)
	v_cmp_ne_u32_e32 vcc_lo, 0x7f800000, v6
                                        ; implicit-def: $vgpr6
	s_and_saveexec_b32 s4, vcc_lo
	s_xor_b32 s4, exec_lo, s4
; %bb.101:
	v_bfe_u32 v6, v78, 16, 1
	s_delay_alu instid0(VALU_DEP_1)
	v_add3_u32 v6, v78, v6, 0x7fff
; %bb.102:
	s_and_not1_saveexec_b32 s4, s4
; %bb.103:
	v_and_b32_e32 v6, 0xffff, v78
	v_or_b32_e32 v7, 0x10000, v78
	s_delay_alu instid0(VALU_DEP_2) | instskip(NEXT) | instid1(VALU_DEP_2)
	v_cmp_eq_u32_e32 vcc_lo, 0, v6
	v_cndmask_b32_e32 v6, v7, v78, vcc_lo
; %bb.104:
	s_or_b32 exec_lo, exec_lo, s4
	v_and_b32_e32 v7, 0x7f800000, v79
	s_delay_alu instid0(VALU_DEP_1) | instskip(SKIP_1) | instid1(SALU_CYCLE_1)
	v_cmp_ne_u32_e32 vcc_lo, 0x7f800000, v7
                                        ; implicit-def: $vgpr7
	s_and_saveexec_b32 s4, vcc_lo
	s_xor_b32 s4, exec_lo, s4
; %bb.105:
	v_bfe_u32 v7, v79, 16, 1
	s_delay_alu instid0(VALU_DEP_1)
	v_add3_u32 v7, v79, v7, 0x7fff
; %bb.106:
	s_and_not1_saveexec_b32 s4, s4
; %bb.107:
	v_and_b32_e32 v7, 0xffff, v79
	v_or_b32_e32 v8, 0x10000, v79
	s_delay_alu instid0(VALU_DEP_2) | instskip(NEXT) | instid1(VALU_DEP_2)
	v_cmp_eq_u32_e32 vcc_lo, 0, v7
	v_cndmask_b32_e32 v7, v8, v79, vcc_lo
; %bb.108:
	s_or_b32 exec_lo, exec_lo, s4
	v_and_b32_e32 v8, 0x7f800000, v80
	s_delay_alu instid0(VALU_DEP_1) | instskip(SKIP_1) | instid1(SALU_CYCLE_1)
	v_cmp_ne_u32_e32 vcc_lo, 0x7f800000, v8
                                        ; implicit-def: $vgpr8
	s_and_saveexec_b32 s4, vcc_lo
	s_xor_b32 s4, exec_lo, s4
; %bb.109:
	v_bfe_u32 v8, v80, 16, 1
	s_delay_alu instid0(VALU_DEP_1)
	v_add3_u32 v8, v80, v8, 0x7fff
                                        ; implicit-def: $vgpr73_vgpr74_vgpr75_vgpr76_vgpr77_vgpr78_vgpr79_vgpr80
; %bb.110:
	s_and_not1_saveexec_b32 s4, s4
; %bb.111:
	v_and_b32_e32 v8, 0xffff, v80
	v_or_b32_e32 v9, 0x10000, v80
	s_delay_alu instid0(VALU_DEP_2) | instskip(NEXT) | instid1(VALU_DEP_2)
	v_cmp_eq_u32_e32 vcc_lo, 0, v8
	v_cndmask_b32_e32 v8, v9, v80, vcc_lo
; %bb.112:
	s_or_b32 exec_lo, exec_lo, s4
	s_delay_alu instid0(VALU_DEP_1)
	v_perm_b32 v7, v8, v7, 0x7060302
	v_perm_b32 v6, v6, v5, 0x7060302
	;; [unrolled: 1-line block ×4, first 2 shown]
	v_lshl_or_b32 v9, v83, 4, v90
	s_barrier
	buffer_gl0_inv
	v_cmp_eq_u32_e32 vcc_lo, 1, v87
	ds_store_b128 v9, v[4:7]
	s_waitcnt lgkmcnt(0)
	s_barrier
	buffer_gl0_inv
	ds_load_b128 v[1:4], v90
	ds_load_b128 v[5:8], v90 offset:16
	v_cmp_eq_u32_e64 s5, 2, v87
	v_cmp_eq_u32_e64 s4, 1, v88
	;; [unrolled: 1-line block ×5, first 2 shown]
	s_waitcnt lgkmcnt(1)
	v_lshrrev_b32_e32 v10, 16, v1
	s_waitcnt lgkmcnt(0)
	v_lshrrev_b32_e32 v14, 16, v5
	v_lshrrev_b32_e32 v15, 16, v6
	;; [unrolled: 1-line block ×4, first 2 shown]
	v_cndmask_b32_e64 v20, v1, v10, s4
	v_cndmask_b32_e32 v19, v5, v14, vcc_lo
	v_cndmask_b32_e64 v21, v5, v14, s4
	v_lshrrev_b32_e32 v16, 16, v7
	v_cmp_eq_u32_e64 s4, 1, v86
	v_lshrrev_b32_e32 v13, 16, v4
	v_cndmask_b32_e64 v19, v19, v6, s5
	v_lshrrev_b32_e32 v17, 16, v8
	s_delay_alu instid0(VALU_DEP_4) | instskip(SKIP_1) | instid1(VALU_DEP_4)
	v_cndmask_b32_e64 v22, v1, v10, s4
	v_cndmask_b32_e64 v23, v5, v14, s4
	;; [unrolled: 1-line block ×3, first 2 shown]
	v_cndmask_b32_e32 v18, v1, v10, vcc_lo
	v_cmp_eq_u32_e32 vcc_lo, 2, v88
	v_cmp_eq_u32_e64 s4, 2, v89
	v_cndmask_b32_e64 v22, v22, v2, s8
	v_cndmask_b32_e32 v20, v20, v2, vcc_lo
	v_cndmask_b32_e32 v21, v21, v6, vcc_lo
	v_cmp_eq_u32_e32 vcc_lo, 4, v87
	v_cndmask_b32_e32 v19, v19, v7, vcc_lo
	v_cndmask_b32_e64 v18, v18, v2, s5
	v_cmp_eq_u32_e64 s5, 3, v88
	s_delay_alu instid0(VALU_DEP_2) | instskip(NEXT) | instid1(VALU_DEP_2)
	v_cndmask_b32_e64 v18, v18, v11, s6
	v_cndmask_b32_e64 v21, v21, v15, s5
	v_cmp_eq_u32_e64 s6, 5, v87
	s_delay_alu instid0(VALU_DEP_3) | instskip(SKIP_1) | instid1(VALU_DEP_3)
	v_cndmask_b32_e32 v18, v18, v3, vcc_lo
	v_cmp_eq_u32_e32 vcc_lo, 4, v88
	v_cndmask_b32_e64 v19, v19, v16, s6
	s_delay_alu instid0(VALU_DEP_3) | instskip(SKIP_4) | instid1(VALU_DEP_3)
	v_cndmask_b32_e64 v18, v18, v12, s6
	v_cndmask_b32_e32 v21, v21, v7, vcc_lo
	v_cndmask_b32_e64 v20, v20, v11, s5
	v_cmp_eq_u32_e64 s5, 5, v88
	v_cmp_eq_u32_e64 s6, 6, v87
	v_cndmask_b32_e32 v20, v20, v3, vcc_lo
	s_delay_alu instid0(VALU_DEP_3) | instskip(SKIP_1) | instid1(VALU_DEP_4)
	v_cndmask_b32_e64 v21, v21, v16, s5
	v_cmp_eq_u32_e32 vcc_lo, 6, v88
	v_cndmask_b32_e64 v18, v18, v4, s6
	v_cndmask_b32_e64 v19, v19, v8, s6
	;; [unrolled: 1-line block ×3, first 2 shown]
	v_cmp_eq_u32_e64 s5, 1, v89
	v_cmp_eq_u32_e64 s6, 7, v87
	s_delay_alu instid0(VALU_DEP_3) | instskip(NEXT) | instid1(VALU_DEP_3)
	v_cndmask_b32_e32 v20, v20, v4, vcc_lo
	v_cndmask_b32_e64 v1, v1, v10, s5
	v_cndmask_b32_e64 v5, v5, v14, s5
	v_cmp_eq_u32_e64 s5, 3, v86
	v_cndmask_b32_e64 v14, v23, v6, s8
	v_cmp_eq_u32_e64 s8, 3, v89
	v_cndmask_b32_e64 v1, v1, v2, s4
	v_cndmask_b32_e64 v2, v5, v6, s4
	;; [unrolled: 1-line block ×3, first 2 shown]
	v_cmp_eq_u32_e64 s4, 4, v86
	v_cndmask_b32_e64 v6, v14, v15, s5
	v_cndmask_b32_e64 v1, v1, v11, s8
	v_cmp_eq_u32_e64 s5, 4, v89
	v_cndmask_b32_e64 v2, v2, v15, s8
	v_cndmask_b32_e64 v5, v10, v3, s4
	;; [unrolled: 3-line block ×3, first 2 shown]
	v_cndmask_b32_e64 v2, v2, v7, s5
	v_cmp_eq_u32_e64 s4, 5, v89
	v_cndmask_b32_e64 v5, v5, v12, s8
	v_cmp_eq_u32_e64 s5, 6, v86
	;; [unrolled: 2-line block ×3, first 2 shown]
	v_cndmask_b32_e64 v1, v1, v12, s4
	v_cndmask_b32_e64 v2, v2, v16, s4
	;; [unrolled: 1-line block ×4, first 2 shown]
	v_cmp_eq_u32_e64 s4, 7, v89
	v_cndmask_b32_e64 v1, v1, v4, s8
	v_cndmask_b32_e64 v2, v2, v8, s8
	v_cmp_eq_u32_e64 s5, 7, v86
	v_cndmask_b32_e32 v4, v21, v8, vcc_lo
	v_cndmask_b32_e64 v18, v18, v13, s6
	v_cndmask_b32_e64 v20, v20, v13, s7
	;; [unrolled: 1-line block ×8, first 2 shown]
	v_cmp_gt_u32_e32 vcc_lo, 32, v0
	v_perm_b32 v4, v2, v1, 0x5040100
	v_perm_b32 v3, v3, v5, 0x5040100
	;; [unrolled: 1-line block ×4, first 2 shown]
	s_and_b32 s2, vcc_lo, s2
	ds_store_b128 v9, v[1:4]
	s_waitcnt lgkmcnt(0)
	s_barrier
	buffer_gl0_inv
	s_and_saveexec_b32 s4, s2
	s_cbranch_execz .LBB576_2
; %bb.113:
	s_load_b64 s[4:5], s[0:1], 0x68
	v_lshlrev_b32_e32 v0, 10, v0
	v_lshlrev_b32_e32 v2, 4, v84
	v_add_nc_u32_e32 v1, s31, v83
	s_lshl_b32 s0, s36, 6
	s_delay_alu instid0(SALU_CYCLE_1) | instskip(NEXT) | instid1(VALU_DEP_2)
	s_mul_i32 s1, s0, s34
	v_and_or_b32 v0, 0x3800, v0, v2
	s_mul_i32 s6, s1, s9
	v_mul_lo_u32 v1, v1, s0
	s_ashr_i32 s7, s6, 31
	s_delay_alu instid0(VALU_DEP_2) | instskip(SKIP_1) | instid1(VALU_DEP_2)
	v_lshl_or_b32 v3, v83, 6, v0
	s_lshl_b64 s[6:7], s[6:7], 1
	v_ashrrev_i32_e32 v2, 31, v1
	ds_load_b128 v[3:6], v3
	s_waitcnt lgkmcnt(0)
	s_add_u32 s1, s4, s6
	s_addc_u32 s2, s5, s7
	s_lshl_b32 s4, s14, 6
	v_lshlrev_b64 v[7:8], 1, v[1:2]
	s_ashr_i32 s5, s4, 31
	s_delay_alu instid0(SALU_CYCLE_1) | instskip(NEXT) | instid1(SALU_CYCLE_1)
	s_lshl_b64 s[4:5], s[4:5], 1
	s_add_u32 s1, s1, s4
	s_addc_u32 s2, s2, s5
	v_add_co_u32 v1, vcc_lo, s1, v81
	v_add_co_ci_u32_e32 v2, vcc_lo, s2, v82, vcc_lo
	s_delay_alu instid0(VALU_DEP_2) | instskip(NEXT) | instid1(VALU_DEP_2)
	v_add_co_u32 v7, vcc_lo, v1, v7
	v_add_co_ci_u32_e32 v8, vcc_lo, v2, v8, vcc_lo
	global_store_b128 v[7:8], v[3:6], off
	s_and_b32 exec_lo, exec_lo, s3
	s_cbranch_execz .LBB576_2
; %bb.114:
	ds_load_b128 v[3:6], v0 offset:128
	s_add_i32 s1, s31, 2
	s_delay_alu instid0(SALU_CYCLE_1) | instskip(NEXT) | instid1(SALU_CYCLE_1)
	s_mul_i32 s0, s1, s0
	s_ashr_i32 s1, s0, 31
	s_delay_alu instid0(SALU_CYCLE_1) | instskip(NEXT) | instid1(SALU_CYCLE_1)
	s_lshl_b64 s[0:1], s[0:1], 1
	v_add_co_u32 v0, vcc_lo, v1, s0
	v_add_co_ci_u32_e32 v1, vcc_lo, s1, v2, vcc_lo
	s_waitcnt lgkmcnt(0)
	global_store_b128 v[0:1], v[3:6], off
	s_nop 0
	s_sendmsg sendmsg(MSG_DEALLOC_VGPRS)
	s_endpgm
	.section	.rodata,"a",@progbits
	.p2align	6, 0x0
	.amdhsa_kernel _Z39paged_attention_ll4mi_QKV_mfma16_kernelI14__hip_bfloat16S0_LN4vllm18Fp8KVCacheDataTypeE0ES0_Li32ELi64ELi256ELb0ELi3EL8MFMAType0EEvPKT_PKT0_S9_ifPKiSB_SB_iPKfiiiPfSE_PS4_PT2_iSD_SD_
		.amdhsa_group_segment_fixed_size 17472
		.amdhsa_private_segment_fixed_size 0
		.amdhsa_kernarg_size 400
		.amdhsa_user_sgpr_count 13
		.amdhsa_user_sgpr_dispatch_ptr 0
		.amdhsa_user_sgpr_queue_ptr 0
		.amdhsa_user_sgpr_kernarg_segment_ptr 1
		.amdhsa_user_sgpr_dispatch_id 0
		.amdhsa_user_sgpr_private_segment_size 0
		.amdhsa_wavefront_size32 1
		.amdhsa_uses_dynamic_stack 0
		.amdhsa_enable_private_segment 0
		.amdhsa_system_sgpr_workgroup_id_x 1
		.amdhsa_system_sgpr_workgroup_id_y 1
		.amdhsa_system_sgpr_workgroup_id_z 1
		.amdhsa_system_sgpr_workgroup_info 0
		.amdhsa_system_vgpr_workitem_id 0
		.amdhsa_next_free_vgpr 142
		.amdhsa_next_free_sgpr 39
		.amdhsa_reserve_vcc 1
		.amdhsa_float_round_mode_32 0
		.amdhsa_float_round_mode_16_64 0
		.amdhsa_float_denorm_mode_32 3
		.amdhsa_float_denorm_mode_16_64 3
		.amdhsa_dx10_clamp 1
		.amdhsa_ieee_mode 1
		.amdhsa_fp16_overflow 0
		.amdhsa_workgroup_processor_mode 1
		.amdhsa_memory_ordered 1
		.amdhsa_forward_progress 0
		.amdhsa_shared_vgpr_count 0
		.amdhsa_exception_fp_ieee_invalid_op 0
		.amdhsa_exception_fp_denorm_src 0
		.amdhsa_exception_fp_ieee_div_zero 0
		.amdhsa_exception_fp_ieee_overflow 0
		.amdhsa_exception_fp_ieee_underflow 0
		.amdhsa_exception_fp_ieee_inexact 0
		.amdhsa_exception_int_div_zero 0
	.end_amdhsa_kernel
	.section	.text._Z39paged_attention_ll4mi_QKV_mfma16_kernelI14__hip_bfloat16S0_LN4vllm18Fp8KVCacheDataTypeE0ES0_Li32ELi64ELi256ELb0ELi3EL8MFMAType0EEvPKT_PKT0_S9_ifPKiSB_SB_iPKfiiiPfSE_PS4_PT2_iSD_SD_,"axG",@progbits,_Z39paged_attention_ll4mi_QKV_mfma16_kernelI14__hip_bfloat16S0_LN4vllm18Fp8KVCacheDataTypeE0ES0_Li32ELi64ELi256ELb0ELi3EL8MFMAType0EEvPKT_PKT0_S9_ifPKiSB_SB_iPKfiiiPfSE_PS4_PT2_iSD_SD_,comdat
.Lfunc_end576:
	.size	_Z39paged_attention_ll4mi_QKV_mfma16_kernelI14__hip_bfloat16S0_LN4vllm18Fp8KVCacheDataTypeE0ES0_Li32ELi64ELi256ELb0ELi3EL8MFMAType0EEvPKT_PKT0_S9_ifPKiSB_SB_iPKfiiiPfSE_PS4_PT2_iSD_SD_, .Lfunc_end576-_Z39paged_attention_ll4mi_QKV_mfma16_kernelI14__hip_bfloat16S0_LN4vllm18Fp8KVCacheDataTypeE0ES0_Li32ELi64ELi256ELb0ELi3EL8MFMAType0EEvPKT_PKT0_S9_ifPKiSB_SB_iPKfiiiPfSE_PS4_PT2_iSD_SD_
                                        ; -- End function
	.section	.AMDGPU.csdata,"",@progbits
; Kernel info:
; codeLenInByte = 9348
; NumSgprs: 41
; NumVgprs: 142
; ScratchSize: 0
; MemoryBound: 0
; FloatMode: 240
; IeeeMode: 1
; LDSByteSize: 17472 bytes/workgroup (compile time only)
; SGPRBlocks: 5
; VGPRBlocks: 17
; NumSGPRsForWavesPerEU: 41
; NumVGPRsForWavesPerEU: 142
; Occupancy: 10
; WaveLimiterHint : 1
; COMPUTE_PGM_RSRC2:SCRATCH_EN: 0
; COMPUTE_PGM_RSRC2:USER_SGPR: 13
; COMPUTE_PGM_RSRC2:TRAP_HANDLER: 0
; COMPUTE_PGM_RSRC2:TGID_X_EN: 1
; COMPUTE_PGM_RSRC2:TGID_Y_EN: 1
; COMPUTE_PGM_RSRC2:TGID_Z_EN: 1
; COMPUTE_PGM_RSRC2:TIDIG_COMP_CNT: 0
	.section	.text._Z39paged_attention_ll4mi_QKV_mfma16_kernelI14__hip_bfloat16S0_LN4vllm18Fp8KVCacheDataTypeE0ES0_Li32ELi64ELi256ELb0ELi4EL8MFMAType0EEvPKT_PKT0_S9_ifPKiSB_SB_iPKfiiiPfSE_PS4_PT2_iSD_SD_,"axG",@progbits,_Z39paged_attention_ll4mi_QKV_mfma16_kernelI14__hip_bfloat16S0_LN4vllm18Fp8KVCacheDataTypeE0ES0_Li32ELi64ELi256ELb0ELi4EL8MFMAType0EEvPKT_PKT0_S9_ifPKiSB_SB_iPKfiiiPfSE_PS4_PT2_iSD_SD_,comdat
	.protected	_Z39paged_attention_ll4mi_QKV_mfma16_kernelI14__hip_bfloat16S0_LN4vllm18Fp8KVCacheDataTypeE0ES0_Li32ELi64ELi256ELb0ELi4EL8MFMAType0EEvPKT_PKT0_S9_ifPKiSB_SB_iPKfiiiPfSE_PS4_PT2_iSD_SD_ ; -- Begin function _Z39paged_attention_ll4mi_QKV_mfma16_kernelI14__hip_bfloat16S0_LN4vllm18Fp8KVCacheDataTypeE0ES0_Li32ELi64ELi256ELb0ELi4EL8MFMAType0EEvPKT_PKT0_S9_ifPKiSB_SB_iPKfiiiPfSE_PS4_PT2_iSD_SD_
	.globl	_Z39paged_attention_ll4mi_QKV_mfma16_kernelI14__hip_bfloat16S0_LN4vllm18Fp8KVCacheDataTypeE0ES0_Li32ELi64ELi256ELb0ELi4EL8MFMAType0EEvPKT_PKT0_S9_ifPKiSB_SB_iPKfiiiPfSE_PS4_PT2_iSD_SD_
	.p2align	8
	.type	_Z39paged_attention_ll4mi_QKV_mfma16_kernelI14__hip_bfloat16S0_LN4vllm18Fp8KVCacheDataTypeE0ES0_Li32ELi64ELi256ELb0ELi4EL8MFMAType0EEvPKT_PKT0_S9_ifPKiSB_SB_iPKfiiiPfSE_PS4_PT2_iSD_SD_,@function
_Z39paged_attention_ll4mi_QKV_mfma16_kernelI14__hip_bfloat16S0_LN4vllm18Fp8KVCacheDataTypeE0ES0_Li32ELi64ELi256ELb0ELi4EL8MFMAType0EEvPKT_PKT0_S9_ifPKiSB_SB_iPKfiiiPfSE_PS4_PT2_iSD_SD_: ; @_Z39paged_attention_ll4mi_QKV_mfma16_kernelI14__hip_bfloat16S0_LN4vllm18Fp8KVCacheDataTypeE0ES0_Li32ELi64ELi256ELb0ELi4EL8MFMAType0EEvPKT_PKT0_S9_ifPKiSB_SB_iPKfiiiPfSE_PS4_PT2_iSD_SD_
; %bb.0:
	s_load_b64 s[2:3], s[0:1], 0x30
	s_mov_b32 s30, s13
	s_waitcnt lgkmcnt(0)
	s_cmp_lg_u64 s[2:3], 0
	s_cselect_b32 s6, -1, 0
	s_ashr_i32 s31, s13, 31
	s_cmp_eq_u64 s[2:3], 0
	s_cbranch_scc1 .LBB577_3
; %bb.1:
	s_lshl_b64 s[4:5], s[30:31], 2
	s_delay_alu instid0(SALU_CYCLE_1) | instskip(SKIP_4) | instid1(SALU_CYCLE_1)
	s_add_u32 s4, s2, s4
	s_addc_u32 s5, s3, s5
	s_load_b64 s[4:5], s[4:5], 0x0
	s_waitcnt lgkmcnt(0)
	s_sub_i32 s4, s5, s4
	s_cmp_eq_u32 s4, 1
	s_cselect_b32 s4, -1, 0
	s_delay_alu instid0(SALU_CYCLE_1)
	s_and_not1_b32 vcc_lo, exec_lo, s4
	s_cbranch_vccz .LBB577_4
.LBB577_2:
	s_endpgm
.LBB577_3:
.LBB577_4:
	s_load_b64 s[8:9], s[0:1], 0x28
	s_lshl_b64 s[4:5], s[30:31], 2
	s_waitcnt lgkmcnt(0)
	s_add_u32 s8, s8, s4
	s_addc_u32 s9, s9, s5
	s_lshl_b32 s16, s14, 8
	s_load_b32 s18, s[8:9], 0x0
	s_waitcnt lgkmcnt(0)
	s_cmp_ge_i32 s16, s18
	s_cbranch_scc1 .LBB577_2
; %bb.5:
	s_and_not1_b32 vcc_lo, exec_lo, s6
	s_cbranch_vccnz .LBB577_7
; %bb.6:
	s_add_u32 s2, s2, s4
	s_addc_u32 s3, s3, s5
	s_load_b32 s17, s[2:3], 0x0
	s_branch .LBB577_8
.LBB577_7:
	s_mov_b32 s17, s30
.LBB577_8:
	s_clause 0x2
	s_load_b128 s[8:11], s[0:1], 0x8
	s_load_b64 s[12:13], s[0:1], 0x20
	s_load_b128 s[4:7], s[0:1], 0x48
	v_and_b32_e32 v74, 15, v0
	v_cmp_lt_u32_e32 vcc_lo, 63, v0
	s_delay_alu instid0(VALU_DEP_2) | instskip(SKIP_2) | instid1(VALU_DEP_3)
	v_cmp_lt_u32_e64 s3, 7, v74
	v_lshlrev_b32_e32 v1, 3, v74
	v_cmp_gt_u32_e64 s2, 8, v74
	s_or_b32 s3, vcc_lo, s3
	s_waitcnt lgkmcnt(0)
	s_and_saveexec_b32 s7, s3
	s_delay_alu instid0(SALU_CYCLE_1)
	s_xor_b32 s3, exec_lo, s7
; %bb.9:
	v_mov_b32_e32 v2, 0
; %bb.10:
	s_or_saveexec_b32 s3, s3
	v_lshrrev_b32_e32 v73, 5, v0
	v_and_b32_e32 v75, 31, v0
	v_and_b32_e32 v84, 1, v0
	v_bfe_u32 v83, v0, 4, 1
	s_lshl_b32 s31, s15, 2
	s_xor_b32 exec_lo, exec_lo, s3
	s_cbranch_execz .LBB577_12
; %bb.11:
	s_delay_alu instid0(VALU_DEP_1)
	v_lshl_or_b32 v7, v73, 1, v83
	s_load_b64 s[20:21], s[0:1], 0x0
	s_mul_hi_i32 s23, s17, s4
	s_mul_i32 s22, s17, s4
	v_lshlrev_b32_e32 v4, 1, v1
	v_or_b32_e32 v2, s31, v7
	s_lshl_b64 s[22:23], s[22:23], 1
	v_lshlrev_b32_e32 v7, 6, v7
	v_lshlrev_b32_e32 v8, 10, v84
	s_delay_alu instid0(VALU_DEP_3) | instskip(NEXT) | instid1(VALU_DEP_1)
	v_lshlrev_b32_e32 v2, 6, v2
	v_ashrrev_i32_e32 v3, 31, v2
	s_delay_alu instid0(VALU_DEP_1) | instskip(SKIP_3) | instid1(VALU_DEP_1)
	v_lshlrev_b64 v[2:3], 1, v[2:3]
	s_waitcnt lgkmcnt(0)
	s_add_u32 s4, s20, s22
	s_addc_u32 s7, s21, s23
	v_add_co_u32 v2, vcc_lo, s4, v2
	s_delay_alu instid0(VALU_DEP_2) | instskip(NEXT) | instid1(VALU_DEP_2)
	v_add_co_ci_u32_e32 v3, vcc_lo, s7, v3, vcc_lo
	v_add_co_u32 v2, vcc_lo, v2, v4
	s_delay_alu instid0(VALU_DEP_2) | instskip(SKIP_2) | instid1(VALU_DEP_1)
	v_add_co_ci_u32_e32 v3, vcc_lo, 0, v3, vcc_lo
	global_load_b128 v[3:6], v[2:3], off
	v_lshlrev_b32_e32 v2, 10, v74
	v_and_b32_e32 v2, 0x3800, v2
	s_delay_alu instid0(VALU_DEP_1)
	v_or3_b32 v7, v2, v8, v7
	v_mov_b32_e32 v2, 0
	s_waitcnt vmcnt(0)
	ds_store_b128 v7, v[3:6]
.LBB577_12:
	s_or_b32 exec_lo, exec_lo, s3
	v_and_b32_e32 v3, 0xef, v0
	s_add_i32 s3, s18, 31
	s_clause 0x1
	s_load_b32 s4, s[0:1], 0x38
	s_load_b32 s19, s[0:1], 0x1c
	s_ashr_i32 s7, s3, 31
	v_add_nc_u32_e32 v3, s16, v3
	s_lshr_b32 s7, s7, 27
	s_waitcnt lgkmcnt(0)
	s_add_i32 s3, s3, s7
	s_barrier
	v_ashrrev_i32_e32 v4, 31, v3
	v_cmp_gt_i32_e32 vcc_lo, s18, v3
	s_ashr_i32 s3, s3, 5
	buffer_gl0_inv
	s_add_i32 s3, s3, -1
	v_lshrrev_b32_e32 v5, 27, v4
	v_or_b32_e32 v4, 16, v3
	s_mul_i32 s6, s15, s6
	v_lshlrev_b64 v[81:82], 1, v[1:2]
	s_delay_alu instid0(VALU_DEP_3) | instskip(NEXT) | instid1(VALU_DEP_3)
	v_add_nc_u32_e32 v6, v3, v5
	v_add_nc_u32_e32 v5, v4, v5
	s_mul_i32 s20, s30, s4
	s_delay_alu instid0(SALU_CYCLE_1) | instskip(NEXT) | instid1(VALU_DEP_2)
	s_ashr_i32 s21, s20, 31
	v_ashrrev_i32_e32 v6, 5, v6
	s_delay_alu instid0(VALU_DEP_2) | instskip(SKIP_1) | instid1(SALU_CYCLE_1)
	v_ashrrev_i32_e32 v5, 5, v5
	s_lshl_b64 s[20:21], s[20:21], 2
	s_add_u32 s4, s12, s20
	s_delay_alu instid0(VALU_DEP_2) | instskip(SKIP_3) | instid1(SALU_CYCLE_1)
	v_cndmask_b32_e32 v3, s3, v6, vcc_lo
	v_cmp_gt_i32_e32 vcc_lo, s18, v4
	s_addc_u32 s17, s13, s21
	s_ashr_i32 s7, s6, 31
	s_lshl_b64 s[6:7], s[6:7], 1
	v_cndmask_b32_e32 v5, s3, v5, vcc_lo
	v_ashrrev_i32_e32 v4, 31, v3
	s_add_u32 s15, s8, s6
	s_addc_u32 s28, s9, s7
	s_lshl_b32 s8, s14, 3
	v_ashrrev_i32_e32 v6, 31, v5
	v_lshlrev_b64 v[3:4], 2, v[3:4]
	s_ashr_i32 s9, s8, 31
	s_delay_alu instid0(SALU_CYCLE_1) | instskip(NEXT) | instid1(VALU_DEP_2)
	s_lshl_b64 s[8:9], s[8:9], 2
	v_lshlrev_b64 v[5:6], 2, v[5:6]
	s_add_u32 s8, s4, s8
	s_delay_alu instid0(VALU_DEP_2) | instskip(SKIP_1) | instid1(VALU_DEP_3)
	v_add_co_u32 v3, vcc_lo, s4, v3
	v_add_co_ci_u32_e32 v4, vcc_lo, s17, v4, vcc_lo
	v_add_co_u32 v5, vcc_lo, s4, v5
	s_delay_alu instid0(VALU_DEP_4)
	v_add_co_ci_u32_e32 v6, vcc_lo, s17, v6, vcc_lo
	s_addc_u32 s9, s17, s9
	s_clause 0x1
	global_load_b32 v7, v[3:4], off
	global_load_b32 v8, v[5:6], off
	s_or_b32 s12, s16, 32
	s_delay_alu instid0(SALU_CYCLE_1) | instskip(SKIP_2) | instid1(SALU_CYCLE_1)
	s_ashr_i32 s13, s12, 5
	s_cmp_lt_i32 s12, s18
	s_cselect_b32 s12, s13, s3
	s_ashr_i32 s13, s12, 31
	s_delay_alu instid0(SALU_CYCLE_1) | instskip(NEXT) | instid1(SALU_CYCLE_1)
	s_lshl_b64 s[12:13], s[12:13], 2
	s_add_u32 s12, s4, s12
	s_addc_u32 s13, s17, s13
	s_or_b32 s20, s16, 64
	s_delay_alu instid0(SALU_CYCLE_1) | instskip(SKIP_2) | instid1(SALU_CYCLE_1)
	s_ashr_i32 s21, s20, 5
	s_cmp_lt_i32 s20, s18
	s_cselect_b32 s20, s21, s3
	s_ashr_i32 s21, s20, 31
	s_delay_alu instid0(SALU_CYCLE_1) | instskip(NEXT) | instid1(SALU_CYCLE_1)
	s_lshl_b64 s[20:21], s[20:21], 2
	s_add_u32 s20, s4, s20
	s_addc_u32 s21, s17, s21
	;; [unrolled: 10-line block ×5, first 2 shown]
	s_clause 0x5
	s_load_b32 s29, s[8:9], 0x0
	s_load_b32 s33, s[12:13], 0x0
	;; [unrolled: 1-line block ×6, first 2 shown]
	s_mov_b32 s20, 0
	s_or_b32 s8, s16, 0xc0
	s_mov_b32 s21, s20
	s_mov_b32 s22, s20
	;; [unrolled: 1-line block ×7, first 2 shown]
	s_ashr_i32 s9, s8, 5
	v_mov_b32_e32 v117, s27
	s_cmp_lt_i32 s8, s18
	v_mov_b32_e32 v116, s26
	s_cselect_b32 s8, s9, s3
	v_mov_b32_e32 v115, s25
	s_ashr_i32 s9, s8, 31
	v_dual_mov_b32 v114, s24 :: v_dual_mov_b32 v113, s23
	v_dual_mov_b32 v112, s22 :: v_dual_mov_b32 v111, s21
	s_lshl_b64 s[8:9], s[8:9], 2
	s_waitcnt lgkmcnt(0)
	s_mul_hi_i32 s13, s29, s5
	s_add_u32 s8, s4, s8
	s_addc_u32 s9, s17, s9
	s_mul_i32 s12, s29, s5
	v_mov_b32_e32 v110, s20
	s_mul_hi_i32 s21, s33, s5
	s_mul_i32 s20, s33, s5
	s_mul_hi_i32 s25, s34, s5
	s_mul_i32 s24, s34, s5
	s_mul_hi_i32 s27, s35, s5
	s_mul_i32 s26, s35, s5
	s_mul_hi_i32 s35, s37, s5
	s_mul_i32 s34, s37, s5
	s_waitcnt vmcnt(1)
	v_mad_i64_i32 v[3:4], null, v7, s5, 0
	s_waitcnt vmcnt(0)
	v_mad_i64_i32 v[5:6], null, v8, s5, 0
	s_delay_alu instid0(VALU_DEP_2) | instskip(NEXT) | instid1(VALU_DEP_2)
	v_lshlrev_b64 v[3:4], 1, v[3:4]
	v_lshlrev_b64 v[1:2], 1, v[5:6]
	s_delay_alu instid0(VALU_DEP_2) | instskip(NEXT) | instid1(VALU_DEP_3)
	v_add_co_u32 v3, vcc_lo, s15, v3
	v_add_co_ci_u32_e32 v4, vcc_lo, s28, v4, vcc_lo
	s_delay_alu instid0(VALU_DEP_3) | instskip(NEXT) | instid1(VALU_DEP_4)
	v_add_co_u32 v1, vcc_lo, s15, v1
	v_add_co_ci_u32_e32 v2, vcc_lo, s28, v2, vcc_lo
	s_delay_alu instid0(VALU_DEP_4) | instskip(NEXT) | instid1(VALU_DEP_4)
	v_add_co_u32 v41, vcc_lo, v3, v81
	v_add_co_ci_u32_e32 v42, vcc_lo, v4, v82, vcc_lo
	s_delay_alu instid0(VALU_DEP_4) | instskip(NEXT) | instid1(VALU_DEP_4)
	v_add_co_u32 v43, vcc_lo, v1, v81
	v_add_co_ci_u32_e32 v44, vcc_lo, v2, v82, vcc_lo
	s_clause 0xf
	global_load_b128 v[1:4], v[41:42], off
	global_load_b128 v[5:8], v[41:42], off offset:512
	global_load_b128 v[9:12], v[43:44], off offset:256
	;; [unrolled: 1-line block ×15, first 2 shown]
	v_and_b32_e32 v41, 3, v0
	s_or_b32 s15, s16, 0xe0
	s_delay_alu instid0(SALU_CYCLE_1) | instskip(SKIP_1) | instid1(VALU_DEP_1)
	s_ashr_i32 s22, s15, 5
	s_cmp_lt_i32 s15, s18
	v_lshlrev_b32_e32 v57, 6, v41
	ds_load_b128 v[41:44], v57
	ds_load_b128 v[45:48], v57 offset:1024
	ds_load_b128 v[49:52], v57 offset:2048
	;; [unrolled: 1-line block ×7, first 2 shown]
	s_cselect_b32 s22, s22, s3
	s_delay_alu instid0(SALU_CYCLE_1) | instskip(NEXT) | instid1(SALU_CYCLE_1)
	s_ashr_i32 s23, s22, 31
	s_lshl_b64 s[22:23], s[22:23], 2
	s_delay_alu instid0(SALU_CYCLE_1) | instskip(SKIP_2) | instid1(SALU_CYCLE_1)
	s_add_u32 s22, s4, s22
	s_addc_u32 s23, s17, s23
	s_add_i32 s15, s16, 0x100
	s_ashr_i32 s28, s15, 5
	s_cmp_lt_i32 s15, s18
	s_load_b32 s15, s[8:9], 0x0
	s_cselect_b32 s28, s28, s3
	s_mul_hi_i32 s9, s36, s5
	s_ashr_i32 s29, s28, 31
	s_mul_i32 s8, s36, s5
	s_lshl_b64 s[28:29], s[28:29], 2
	s_delay_alu instid0(SALU_CYCLE_1)
	s_add_u32 s28, s4, s28
	s_addc_u32 s29, s17, s29
	s_add_u32 s3, s10, s6
	s_clause 0x1
	s_load_b32 s4, s[22:23], 0x0
	s_load_b32 s17, s[28:29], 0x0
	s_addc_u32 s28, s11, s7
	s_lshl_b64 s[6:7], s[12:13], 1
	s_lshl_b64 s[10:11], s[20:21], 1
	;; [unrolled: 1-line block ×6, first 2 shown]
	s_waitcnt lgkmcnt(0)
	s_mul_hi_i32 s25, s15, s5
	s_mul_i32 s24, s15, s5
	s_waitcnt vmcnt(14)
	v_wmma_f32_16x16x16_bf16 v[134:141], v[1:8], v[41:48], v[110:117]
	s_waitcnt vmcnt(12)
	v_wmma_f32_16x16x16_bf16 v[110:117], v[9:16], v[41:48], v[110:117]
	s_waitcnt vmcnt(10)
	s_delay_alu instid0(VALU_DEP_2) | instskip(SKIP_1) | instid1(VALU_DEP_2)
	v_wmma_f32_16x16x16_bf16 v[134:141], v[17:24], v[49:56], v[134:141]
	s_waitcnt vmcnt(8)
	v_wmma_f32_16x16x16_bf16 v[110:117], v[25:32], v[49:56], v[110:117]
	s_waitcnt vmcnt(6)
	s_delay_alu instid0(VALU_DEP_2) | instskip(SKIP_1) | instid1(VALU_DEP_2)
	v_wmma_f32_16x16x16_bf16 v[134:141], v[33:40], v[118:125], v[134:141]
	s_waitcnt vmcnt(4)
	v_wmma_f32_16x16x16_bf16 v[110:117], v[86:93], v[118:125], v[110:117]
	s_waitcnt vmcnt(2)
	s_delay_alu instid0(VALU_DEP_2) | instskip(SKIP_3) | instid1(VALU_DEP_3)
	v_wmma_f32_16x16x16_bf16 v[134:141], v[94:101], v[126:133], v[134:141]
	v_lshlrev_b32_e32 v85, 6, v74
	s_waitcnt vmcnt(0)
	v_wmma_f32_16x16x16_bf16 v[110:117], v[102:109], v[126:133], v[110:117]
	v_mul_f32_e32 v100, s19, v141
	s_delay_alu instid0(VALU_DEP_3) | instskip(SKIP_2) | instid1(VALU_DEP_3)
	v_lshl_or_b32 v58, v73, 10, v85
	v_mul_f32_e32 v97, s19, v134
	v_mul_f32_e32 v99, s19, v135
	v_add_co_u32 v76, s3, s3, v58
	s_delay_alu instid0(VALU_DEP_1) | instskip(NEXT) | instid1(VALU_DEP_2)
	v_add_co_ci_u32_e64 v77, null, s28, 0, s3
	v_add_co_u32 v57, vcc_lo, v76, s6
	s_delay_alu instid0(VALU_DEP_2)
	v_add_co_ci_u32_e32 v58, vcc_lo, s7, v77, vcc_lo
	v_add_co_u32 v1, vcc_lo, v76, s10
	v_add_co_ci_u32_e32 v2, vcc_lo, s11, v77, vcc_lo
	v_add_co_u32 v3, vcc_lo, v76, s12
	v_add_co_ci_u32_e32 v4, vcc_lo, s13, v77, vcc_lo
	v_add_co_u32 v5, vcc_lo, v76, s20
	v_add_co_ci_u32_e32 v6, vcc_lo, s21, v77, vcc_lo
	v_add_co_u32 v7, vcc_lo, v76, s8
	v_add_co_ci_u32_e32 v8, vcc_lo, s9, v77, vcc_lo
	s_clause 0x9
	global_load_b128 v[65:68], v[57:58], off
	global_load_b128 v[69:72], v[57:58], off offset:16
	global_load_b128 v[57:60], v[1:2], off
	global_load_b128 v[61:64], v[1:2], off offset:16
	;; [unrolled: 2-line block ×5, first 2 shown]
	v_add_co_u32 v5, vcc_lo, v76, s22
	s_lshl_b64 s[6:7], s[24:25], 1
	v_add_co_ci_u32_e32 v6, vcc_lo, s23, v77, vcc_lo
	s_mul_hi_i32 s9, s4, s5
	s_mul_i32 s8, s4, s5
	v_add_co_u32 v17, vcc_lo, v76, s6
	v_add_co_ci_u32_e32 v18, vcc_lo, s7, v77, vcc_lo
	s_lshl_b64 s[6:7], s[8:9], 1
	s_mul_hi_i32 s9, s17, s5
	s_mul_i32 s8, s17, s5
	v_add_co_u32 v19, vcc_lo, v76, s6
	s_lshl_b64 s[4:5], s[8:9], 1
	v_add_co_ci_u32_e32 v20, vcc_lo, s7, v77, vcc_lo
	v_add_co_u32 v21, vcc_lo, v76, s4
	v_add_co_ci_u32_e32 v22, vcc_lo, s5, v77, vcc_lo
	s_clause 0x7
	global_load_b128 v[1:4], v[5:6], off
	global_load_b128 v[5:8], v[5:6], off offset:16
	global_load_b128 v[33:36], v[17:18], off
	global_load_b128 v[37:40], v[17:18], off offset:16
	;; [unrolled: 2-line block ×4, first 2 shown]
	v_and_b32_e32 v76, 0xe0, v0
	v_mbcnt_lo_u32_b32 v77, -1, 0
	s_waitcnt vmcnt(0)
	s_barrier
	buffer_gl0_inv
	v_add_nc_u32_e32 v76, s16, v76
	v_xor_b32_e32 v78, 16, v77
	s_delay_alu instid0(VALU_DEP_2) | instskip(NEXT) | instid1(VALU_DEP_2)
	v_or_b32_e32 v76, v76, v83
	v_cmp_gt_i32_e32 vcc_lo, 32, v78
	s_delay_alu instid0(VALU_DEP_2)
	v_or_b32_e32 v79, 4, v76
	v_cndmask_b32_e32 v77, v77, v78, vcc_lo
	v_or_b32_e32 v78, 2, v76
	v_or_b32_e32 v80, 6, v76
	;; [unrolled: 1-line block ×3, first 2 shown]
	v_cmp_gt_i32_e32 vcc_lo, s18, v76
	v_or_b32_e32 v87, 10, v76
	v_cmp_gt_i32_e64 s3, s18, v78
	v_or_b32_e32 v88, 12, v76
	v_or_b32_e32 v89, 14, v76
	;; [unrolled: 1-line block ×10, first 2 shown]
	v_cndmask_b32_e64 v78, 0xff7fffff, v99, s3
	v_mul_f32_e32 v99, s19, v137
	v_cmp_gt_i32_e64 s4, s18, v80
	v_mul_f32_e32 v80, s19, v136
	v_cmp_gt_i32_e64 s5, s18, v79
	v_cmp_gt_i32_e64 s6, s18, v86
	v_mul_f32_e32 v86, s19, v116
	v_cndmask_b32_e32 v76, 0xff7fffff, v97, vcc_lo
	v_mul_f32_e32 v79, s19, v139
	v_cndmask_b32_e64 v80, 0xff7fffff, v80, s5
	v_cndmask_b32_e64 v99, 0xff7fffff, v99, s4
	v_cmp_gt_i32_e64 s7, s18, v87
	v_max3_f32 v76, v76, 0xff7fffff, v78
	v_dual_mul_f32 v78, s19, v138 :: v_dual_mul_f32 v97, s19, v140
	v_cmp_gt_i32_e64 s8, s18, v89
	s_delay_alu instid0(VALU_DEP_4) | instskip(NEXT) | instid1(VALU_DEP_4)
	v_cndmask_b32_e64 v79, 0xff7fffff, v79, s7
	v_max3_f32 v76, v76, v80, v99
	s_delay_alu instid0(VALU_DEP_4) | instskip(SKIP_3) | instid1(VALU_DEP_4)
	v_cndmask_b32_e64 v78, 0xff7fffff, v78, s6
	v_cmp_gt_i32_e64 s9, s18, v88
	v_dual_mul_f32 v88, s19, v111 :: v_dual_mul_f32 v89, s19, v110
	v_cndmask_b32_e64 v100, 0xff7fffff, v100, s8
	v_max3_f32 v76, v76, v78, v79
	s_delay_alu instid0(VALU_DEP_4) | instskip(SKIP_3) | instid1(VALU_DEP_4)
	v_cndmask_b32_e64 v97, 0xff7fffff, v97, s9
	v_cmp_gt_i32_e64 s10, s18, v90
	v_cmp_gt_i32_e64 s11, s18, v91
	v_dual_mul_f32 v78, s19, v113 :: v_dual_mul_f32 v79, s19, v112
	v_max3_f32 v76, v76, v97, v100
	s_delay_alu instid0(VALU_DEP_4) | instskip(NEXT) | instid1(VALU_DEP_4)
	v_cndmask_b32_e64 v89, 0xff7fffff, v89, s10
	v_cndmask_b32_e64 v88, 0xff7fffff, v88, s11
	v_cmp_gt_i32_e64 s12, s18, v92
	v_cmp_gt_i32_e64 s13, s18, v93
	v_mul_f32_e32 v87, s19, v115
	v_mul_f32_e32 v99, s19, v114
	v_max3_f32 v76, v76, v89, v88
	v_cndmask_b32_e64 v79, 0xff7fffff, v79, s12
	v_cndmask_b32_e64 v78, 0xff7fffff, v78, s13
	v_cmp_gt_i32_e64 s15, s18, v94
	v_cmp_gt_i32_e64 s16, s18, v95
	v_mul_f32_e32 v80, s19, v117
	v_cmp_gt_i32_e64 s17, s18, v96
	v_max3_f32 v76, v76, v79, v78
	v_cndmask_b32_e64 v88, 0xff7fffff, v99, s15
	v_cndmask_b32_e64 v87, 0xff7fffff, v87, s16
	v_cmp_gt_i32_e64 s18, s18, v98
	v_cndmask_b32_e64 v78, 0xff7fffff, v86, s17
	v_lshlrev_b32_e32 v99, 2, v77
	s_delay_alu instid0(VALU_DEP_4) | instskip(NEXT) | instid1(VALU_DEP_4)
	v_max3_f32 v76, v76, v88, v87
	v_cndmask_b32_e64 v79, 0xff7fffff, v80, s18
	s_delay_alu instid0(VALU_DEP_1) | instskip(SKIP_3) | instid1(VALU_DEP_1)
	v_max3_f32 v76, v76, v78, v79
	ds_bpermute_b32 v77, v99, v76
	s_waitcnt lgkmcnt(0)
	v_max_f32_e32 v77, v77, v77
	v_max_f32_e32 v89, v76, v77
	s_delay_alu instid0(VALU_DEP_1)
	v_fma_f32 v78, s19, v136, -v89
	v_fma_f32 v76, s19, v134, -v89
	;; [unrolled: 1-line block ×5, first 2 shown]
	v_mul_f32_e32 v78, 0x3fb8aa3b, v78
	v_mul_f32_e32 v76, 0x3fb8aa3b, v76
	s_delay_alu instid0(VALU_DEP_4) | instskip(SKIP_1) | instid1(VALU_DEP_4)
	v_dual_mul_f32 v86, 0x3fb8aa3b, v86 :: v_dual_mul_f32 v77, 0x3fb8aa3b, v77
	v_fma_f32 v80, s19, v138, -v89
	v_exp_f32_e32 v78, v78
	s_delay_alu instid0(VALU_DEP_3) | instskip(NEXT) | instid1(VALU_DEP_2)
	v_exp_f32_e32 v76, v76
	v_exp_f32_e32 v86, v86
	;; [unrolled: 1-line block ×3, first 2 shown]
	v_mul_f32_e32 v80, 0x3fb8aa3b, v80
	s_delay_alu instid0(VALU_DEP_1) | instskip(SKIP_2) | instid1(TRANS32_DEP_3)
	v_exp_f32_e32 v80, v80
	v_cndmask_b32_e64 v92, 0, v78, s5
	v_fma_f32 v78, s19, v141, -v89
	v_cndmask_b32_e64 v93, 0, v86, s9
	v_mul_f32_e32 v79, 0x3fb8aa3b, v79
	s_delay_alu instid0(TRANS32_DEP_2) | instskip(SKIP_2) | instid1(VALU_DEP_3)
	v_cndmask_b32_e64 v90, 0, v77, s3
	s_mov_b32 s3, exec_lo
	v_mul_f32_e32 v78, 0x3fb8aa3b, v78
	v_exp_f32_e32 v79, v79
	s_delay_alu instid0(TRANS32_DEP_2) | instskip(SKIP_1) | instid1(VALU_DEP_3)
	v_cndmask_b32_e64 v95, 0, v80, s6
	v_fma_f32 v80, s19, v111, -v89
	v_exp_f32_e32 v78, v78
	s_delay_alu instid0(VALU_DEP_1)
	v_mul_f32_e32 v80, 0x3fb8aa3b, v80
	s_waitcnt_depctr 0xfff
	v_cndmask_b32_e64 v94, 0, v79, s4
	v_fma_f32 v79, s19, v110, -v89
	v_exp_f32_e32 v80, v80
	v_cndmask_b32_e64 v97, 0, v78, s8
	v_cndmask_b32_e32 v91, 0, v76, vcc_lo
	v_fma_f32 v76, s19, v139, -v89
	s_delay_alu instid0(VALU_DEP_1) | instskip(NEXT) | instid1(VALU_DEP_1)
	v_dual_add_f32 v77, 0, v91 :: v_dual_mul_f32 v76, 0x3fb8aa3b, v76
	v_add_f32_e32 v77, v77, v90
	s_delay_alu instid0(VALU_DEP_2) | instskip(NEXT) | instid1(VALU_DEP_1)
	v_exp_f32_e32 v76, v76
	v_add_f32_e32 v77, v77, v92
	s_delay_alu instid0(VALU_DEP_1) | instskip(SKIP_4) | instid1(VALU_DEP_1)
	v_add_f32_e32 v77, v77, v94
	s_waitcnt_depctr 0xfff
	v_cndmask_b32_e64 v96, 0, v76, s7
	v_add_f32_e32 v76, v77, v95
	v_fma_f32 v77, s19, v112, -v89
	v_dual_add_f32 v76, v76, v96 :: v_dual_mul_f32 v77, 0x3fb8aa3b, v77
	s_delay_alu instid0(VALU_DEP_1) | instskip(NEXT) | instid1(VALU_DEP_2)
	v_add_f32_e32 v78, v76, v93
	v_exp_f32_e32 v88, v77
	v_cndmask_b32_e64 v77, 0, v80, s11
	s_delay_alu instid0(VALU_DEP_2) | instskip(NEXT) | instid1(VALU_DEP_1)
	v_dual_mul_f32 v79, 0x3fb8aa3b, v79 :: v_dual_add_f32 v78, v78, v97
	v_exp_f32_e32 v79, v79
	s_waitcnt_depctr 0xfff
	v_cndmask_b32_e64 v76, 0, v79, s10
	s_delay_alu instid0(VALU_DEP_1)
	v_add_f32_e32 v80, v78, v76
	v_fma_f32 v86, s19, v113, -v89
	v_fma_f32 v87, s19, v114, -v89
	;; [unrolled: 1-line block ×4, first 2 shown]
	v_add_f32_e32 v80, v80, v77
	s_delay_alu instid0(VALU_DEP_4) | instskip(NEXT) | instid1(VALU_DEP_4)
	v_dual_mul_f32 v86, 0x3fb8aa3b, v86 :: v_dual_mul_f32 v87, 0x3fb8aa3b, v87
	v_mul_f32_e32 v79, 0x3fb8aa3b, v79
	v_cndmask_b32_e64 v78, 0, v88, s12
	v_mul_f32_e32 v88, 0x3fb8aa3b, v98
	s_delay_alu instid0(VALU_DEP_4) | instskip(SKIP_4) | instid1(VALU_DEP_1)
	v_exp_f32_e32 v86, v86
	v_exp_f32_e32 v87, v87
	;; [unrolled: 1-line block ×3, first 2 shown]
	v_fma_f32 v100, s19, v117, -v89
	v_exp_f32_e32 v88, v88
	v_mul_f32_e32 v100, 0x3fb8aa3b, v100
	v_cndmask_b32_e64 v79, 0, v86, s13
	v_add_f32_e32 v86, v80, v78
	s_delay_alu instid0(TRANS32_DEP_3) | instskip(NEXT) | instid1(VALU_DEP_4)
	v_cndmask_b32_e64 v80, 0, v87, s15
	v_exp_f32_e32 v100, v100
	s_delay_alu instid0(VALU_DEP_2) | instskip(NEXT) | instid1(TRANS32_DEP_3)
	v_add_f32_e32 v87, v86, v79
	v_cndmask_b32_e64 v86, 0, v98, s16
	s_delay_alu instid0(VALU_DEP_2) | instskip(NEXT) | instid1(TRANS32_DEP_2)
	v_add_f32_e32 v98, v87, v80
	v_cndmask_b32_e64 v87, 0, v88, s17
	s_delay_alu instid0(VALU_DEP_2) | instskip(NEXT) | instid1(VALU_DEP_1)
	v_add_f32_e32 v88, v98, v86
	v_add_f32_e32 v98, v88, v87
	s_delay_alu instid0(TRANS32_DEP_1) | instskip(NEXT) | instid1(VALU_DEP_1)
	v_cndmask_b32_e64 v88, 0, v100, s18
	v_add_f32_e32 v98, v98, v88
	ds_bpermute_b32 v99, v99, v98
	v_cmpx_gt_u32_e32 16, v75
	s_cbranch_execz .LBB577_14
; %bb.13:
	v_mul_u32_u24_e32 v75, 0x44, v73
	s_waitcnt lgkmcnt(0)
	v_add_f32_e32 v98, v98, v99
	s_delay_alu instid0(VALU_DEP_2) | instskip(NEXT) | instid1(VALU_DEP_1)
	v_lshl_add_u32 v75, v74, 2, v75
	v_add_nc_u32_e32 v75, 0x4000, v75
	ds_store_2addr_b32 v75, v89, v98 offset1:136
.LBB577_14:
	s_or_b32 exec_lo, exec_lo, s3
	v_lshlrev_b32_e32 v74, 2, v74
	s_waitcnt lgkmcnt(0)
	s_barrier
	buffer_gl0_inv
	v_cmp_eq_u32_e64 s3, 1, v73
	v_add_nc_u32_e32 v89, 0x4000, v74
	ds_load_2addr_b32 v[98:99], v89 offset1:17
	ds_load_2addr_b32 v[100:101], v89 offset0:34 offset1:51
	ds_load_2addr_b32 v[102:103], v89 offset0:68 offset1:85
	;; [unrolled: 1-line block ×4, first 2 shown]
	s_waitcnt lgkmcnt(4)
	v_max3_f32 v74, v98, 0xff7fffff, v99
	s_waitcnt lgkmcnt(3)
	s_delay_alu instid0(VALU_DEP_1) | instskip(SKIP_1) | instid1(VALU_DEP_1)
	v_max3_f32 v74, v74, v100, v101
	s_waitcnt lgkmcnt(2)
	v_max3_f32 v74, v74, v102, v103
	s_waitcnt lgkmcnt(1)
	s_delay_alu instid0(VALU_DEP_1) | instskip(NEXT) | instid1(VALU_DEP_1)
	v_max3_f32 v74, v74, v104, v105
	v_sub_f32_e32 v108, v99, v74
	v_sub_f32_e32 v75, v98, v74
	ds_load_2addr_b32 v[98:99], v89 offset0:170 offset1:187
	v_sub_f32_e32 v100, v100, v74
	v_dual_mul_f32 v108, 0x3fb8aa3b, v108 :: v_dual_mul_f32 v75, 0x3fb8aa3b, v75
	s_delay_alu instid0(VALU_DEP_2) | instskip(NEXT) | instid1(VALU_DEP_2)
	v_mul_f32_e32 v110, 0x3fb8aa3b, v100
	v_exp_f32_e32 v108, v108
	s_delay_alu instid0(VALU_DEP_2)
	v_exp_f32_e32 v109, v75
	v_sub_f32_e32 v75, v101, v74
	ds_load_2addr_b32 v[100:101], v89 offset0:204 offset1:221
	v_exp_f32_e32 v110, v110
	v_mul_f32_e32 v111, 0x3fb8aa3b, v75
	s_waitcnt lgkmcnt(2)
	v_fma_f32 v75, v109, v106, 0
	v_sub_f32_e32 v102, v102, v74
	s_delay_alu instid0(VALU_DEP_3) | instskip(NEXT) | instid1(VALU_DEP_2)
	v_exp_f32_e32 v111, v111
	v_dual_sub_f32 v106, v103, v74 :: v_dual_fmac_f32 v75, v108, v107
	s_waitcnt lgkmcnt(1)
	s_waitcnt_depctr 0xfff
	v_fmac_f32_e32 v75, v110, v98
	v_mul_f32_e32 v112, 0x3fb8aa3b, v102
	ds_load_2addr_b32 v[102:103], v89 offset0:238 offset1:255
	v_sub_f32_e32 v89, v104, v74
	v_dual_sub_f32 v98, v105, v74 :: v_dual_fmac_f32 v75, v111, v99
	v_mul_f32_e32 v104, 0x3fb8aa3b, v106
	v_exp_f32_e32 v106, v112
	s_delay_alu instid0(VALU_DEP_2)
	v_dual_mul_f32 v89, 0x3fb8aa3b, v89 :: v_dual_mul_f32 v98, 0x3fb8aa3b, v98
	s_waitcnt lgkmcnt(0)
	s_barrier
	buffer_gl0_inv
	v_exp_f32_e32 v89, v89
	v_exp_f32_e32 v98, v98
	v_fmac_f32_e32 v75, v106, v100
	v_exp_f32_e32 v104, v104
	s_waitcnt_depctr 0xfff
	v_fmac_f32_e32 v75, v104, v101
	s_delay_alu instid0(VALU_DEP_1) | instskip(NEXT) | instid1(VALU_DEP_1)
	v_fmac_f32_e32 v75, v89, v102
	v_fmac_f32_e32 v75, v98, v103
	s_delay_alu instid0(VALU_DEP_1) | instskip(NEXT) | instid1(VALU_DEP_1)
	v_add_f32_e32 v99, 0x358637bd, v75
	v_div_scale_f32 v100, null, v99, v99, 1.0
	v_div_scale_f32 v103, vcc_lo, 1.0, v99, 1.0
	s_delay_alu instid0(VALU_DEP_2) | instskip(SKIP_2) | instid1(VALU_DEP_1)
	v_rcp_f32_e32 v101, v100
	s_waitcnt_depctr 0xfff
	v_fma_f32 v102, -v100, v101, 1.0
	v_fmac_f32_e32 v101, v102, v101
	v_cndmask_b32_e64 v102, v109, v108, s3
	v_cmp_eq_u32_e64 s3, 2, v73
	s_delay_alu instid0(VALU_DEP_3) | instskip(NEXT) | instid1(VALU_DEP_2)
	v_mul_f32_e32 v105, v103, v101
	v_cndmask_b32_e64 v102, v102, v110, s3
	v_cmp_eq_u32_e64 s3, 3, v73
	s_delay_alu instid0(VALU_DEP_3) | instskip(NEXT) | instid1(VALU_DEP_2)
	v_fma_f32 v107, -v100, v105, v103
	v_cndmask_b32_e64 v102, v102, v111, s3
	v_cmp_eq_u32_e64 s3, 4, v73
	s_delay_alu instid0(VALU_DEP_3) | instskip(NEXT) | instid1(VALU_DEP_2)
	v_fmac_f32_e32 v105, v107, v101
	v_cndmask_b32_e64 v102, v102, v106, s3
	s_delay_alu instid0(VALU_DEP_2) | instskip(SKIP_1) | instid1(VALU_DEP_2)
	v_fma_f32 v100, -v100, v105, v103
	v_cmp_eq_u32_e64 s3, 5, v73
	v_div_fmas_f32 v100, v100, v101, v105
	s_delay_alu instid0(VALU_DEP_2) | instskip(SKIP_2) | instid1(VALU_DEP_3)
	v_cndmask_b32_e64 v102, v102, v104, s3
	v_cmp_eq_u32_e32 vcc_lo, 6, v73
	s_mov_b32 s3, exec_lo
	v_div_fixup_f32 v99, v100, v99, 1.0
	s_delay_alu instid0(VALU_DEP_3) | instskip(SKIP_1) | instid1(VALU_DEP_2)
	v_cndmask_b32_e32 v89, v102, v89, vcc_lo
	v_cmp_eq_u32_e32 vcc_lo, 7, v73
	v_cndmask_b32_e32 v89, v89, v98, vcc_lo
	s_delay_alu instid0(VALU_DEP_1) | instskip(NEXT) | instid1(VALU_DEP_1)
	v_mul_f32_e32 v89, v89, v99
	v_mul_f32_e32 v99, v89, v91
	;; [unrolled: 1-line block ×6, first 2 shown]
	v_and_b32_e32 v100, 0x7f800000, v99
	v_mul_f32_e32 v98, v89, v94
	v_mul_f32_e32 v94, v89, v90
	;; [unrolled: 1-line block ×3, first 2 shown]
                                        ; implicit-def: $vgpr90
	s_delay_alu instid0(VALU_DEP_4)
	v_cmpx_ne_u32_e32 0x7f800000, v100
	s_xor_b32 s3, exec_lo, s3
; %bb.15:
	v_bfe_u32 v90, v99, 16, 1
	s_delay_alu instid0(VALU_DEP_1)
	v_add3_u32 v90, v99, v90, 0x7fff
                                        ; implicit-def: $vgpr99
; %bb.16:
	s_and_not1_saveexec_b32 s3, s3
; %bb.17:
	v_and_b32_e32 v90, 0xffff, v99
	v_or_b32_e32 v92, 0x10000, v99
	s_delay_alu instid0(VALU_DEP_2) | instskip(NEXT) | instid1(VALU_DEP_2)
	v_cmp_eq_u32_e32 vcc_lo, 0, v90
	v_cndmask_b32_e32 v90, v92, v99, vcc_lo
; %bb.18:
	s_or_b32 exec_lo, exec_lo, s3
	v_and_b32_e32 v92, 0x7f800000, v94
	s_delay_alu instid0(VALU_DEP_1) | instskip(SKIP_1) | instid1(SALU_CYCLE_1)
	v_cmp_ne_u32_e32 vcc_lo, 0x7f800000, v92
                                        ; implicit-def: $vgpr92
	s_and_saveexec_b32 s3, vcc_lo
	s_xor_b32 s3, exec_lo, s3
; %bb.19:
	v_bfe_u32 v92, v94, 16, 1
	s_delay_alu instid0(VALU_DEP_1)
	v_add3_u32 v92, v94, v92, 0x7fff
                                        ; implicit-def: $vgpr94
; %bb.20:
	s_and_not1_saveexec_b32 s3, s3
; %bb.21:
	v_and_b32_e32 v92, 0xffff, v94
	v_or_b32_e32 v99, 0x10000, v94
	s_delay_alu instid0(VALU_DEP_2) | instskip(NEXT) | instid1(VALU_DEP_2)
	v_cmp_eq_u32_e32 vcc_lo, 0, v92
	v_cndmask_b32_e32 v92, v99, v94, vcc_lo
; %bb.22:
	s_or_b32 exec_lo, exec_lo, s3
	v_and_b32_e32 v94, 0x7f800000, v95
	s_delay_alu instid0(VALU_DEP_1) | instskip(SKIP_1) | instid1(SALU_CYCLE_1)
	v_cmp_ne_u32_e32 vcc_lo, 0x7f800000, v94
                                        ; implicit-def: $vgpr94
	s_and_saveexec_b32 s3, vcc_lo
	s_xor_b32 s3, exec_lo, s3
; %bb.23:
	v_bfe_u32 v94, v95, 16, 1
	s_delay_alu instid0(VALU_DEP_1)
	v_add3_u32 v94, v95, v94, 0x7fff
                                        ; implicit-def: $vgpr95
; %bb.24:
	s_and_not1_saveexec_b32 s3, s3
; %bb.25:
	v_and_b32_e32 v94, 0xffff, v95
	v_or_b32_e32 v99, 0x10000, v95
	s_delay_alu instid0(VALU_DEP_2) | instskip(NEXT) | instid1(VALU_DEP_2)
	v_cmp_eq_u32_e32 vcc_lo, 0, v94
	v_cndmask_b32_e32 v94, v99, v95, vcc_lo
; %bb.26:
	s_or_b32 exec_lo, exec_lo, s3
	v_and_b32_e32 v95, 0x7f800000, v98
	s_delay_alu instid0(VALU_DEP_1) | instskip(SKIP_1) | instid1(SALU_CYCLE_1)
	v_cmp_ne_u32_e32 vcc_lo, 0x7f800000, v95
                                        ; implicit-def: $vgpr95
	s_and_saveexec_b32 s3, vcc_lo
	s_xor_b32 s3, exec_lo, s3
; %bb.27:
	v_bfe_u32 v95, v98, 16, 1
	s_delay_alu instid0(VALU_DEP_1)
	v_add3_u32 v95, v98, v95, 0x7fff
                                        ; implicit-def: $vgpr98
; %bb.28:
	s_and_not1_saveexec_b32 s3, s3
; %bb.29:
	v_and_b32_e32 v95, 0xffff, v98
	v_or_b32_e32 v99, 0x10000, v98
	s_delay_alu instid0(VALU_DEP_2) | instskip(NEXT) | instid1(VALU_DEP_2)
	v_cmp_eq_u32_e32 vcc_lo, 0, v95
	v_cndmask_b32_e32 v95, v99, v98, vcc_lo
; %bb.30:
	s_or_b32 exec_lo, exec_lo, s3
	v_and_b32_e32 v98, 0x7f800000, v97
	s_delay_alu instid0(VALU_DEP_1) | instskip(SKIP_1) | instid1(SALU_CYCLE_1)
	v_cmp_ne_u32_e32 vcc_lo, 0x7f800000, v98
                                        ; implicit-def: $vgpr98
	s_and_saveexec_b32 s3, vcc_lo
	s_xor_b32 s3, exec_lo, s3
; %bb.31:
	v_bfe_u32 v98, v97, 16, 1
	s_delay_alu instid0(VALU_DEP_1)
	v_add3_u32 v98, v97, v98, 0x7fff
                                        ; implicit-def: $vgpr97
; %bb.32:
	s_and_not1_saveexec_b32 s3, s3
; %bb.33:
	v_and_b32_e32 v98, 0xffff, v97
	v_or_b32_e32 v99, 0x10000, v97
	s_delay_alu instid0(VALU_DEP_2) | instskip(NEXT) | instid1(VALU_DEP_2)
	v_cmp_eq_u32_e32 vcc_lo, 0, v98
	v_cndmask_b32_e32 v98, v99, v97, vcc_lo
; %bb.34:
	s_or_b32 exec_lo, exec_lo, s3
	v_and_b32_e32 v97, 0x7f800000, v96
	s_delay_alu instid0(VALU_DEP_1) | instskip(SKIP_1) | instid1(SALU_CYCLE_1)
	v_cmp_ne_u32_e32 vcc_lo, 0x7f800000, v97
                                        ; implicit-def: $vgpr97
	s_and_saveexec_b32 s3, vcc_lo
	s_xor_b32 s3, exec_lo, s3
; %bb.35:
	v_bfe_u32 v97, v96, 16, 1
	s_delay_alu instid0(VALU_DEP_1)
	v_add3_u32 v97, v96, v97, 0x7fff
                                        ; implicit-def: $vgpr96
; %bb.36:
	s_and_not1_saveexec_b32 s3, s3
; %bb.37:
	v_and_b32_e32 v97, 0xffff, v96
	v_or_b32_e32 v99, 0x10000, v96
	s_delay_alu instid0(VALU_DEP_2) | instskip(NEXT) | instid1(VALU_DEP_2)
	v_cmp_eq_u32_e32 vcc_lo, 0, v97
	v_cndmask_b32_e32 v97, v99, v96, vcc_lo
; %bb.38:
	s_or_b32 exec_lo, exec_lo, s3
	v_and_b32_e32 v96, 0x7f800000, v93
	s_delay_alu instid0(VALU_DEP_1) | instskip(SKIP_1) | instid1(SALU_CYCLE_1)
	v_cmp_ne_u32_e32 vcc_lo, 0x7f800000, v96
                                        ; implicit-def: $vgpr96
	s_and_saveexec_b32 s3, vcc_lo
	s_xor_b32 s3, exec_lo, s3
; %bb.39:
	v_bfe_u32 v96, v93, 16, 1
	s_delay_alu instid0(VALU_DEP_1)
	v_add3_u32 v96, v93, v96, 0x7fff
                                        ; implicit-def: $vgpr93
; %bb.40:
	s_and_not1_saveexec_b32 s3, s3
; %bb.41:
	v_and_b32_e32 v96, 0xffff, v93
	v_or_b32_e32 v99, 0x10000, v93
	s_delay_alu instid0(VALU_DEP_2) | instskip(NEXT) | instid1(VALU_DEP_2)
	v_cmp_eq_u32_e32 vcc_lo, 0, v96
	v_cndmask_b32_e32 v96, v99, v93, vcc_lo
; %bb.42:
	s_or_b32 exec_lo, exec_lo, s3
	v_and_b32_e32 v93, 0x7f800000, v91
	s_delay_alu instid0(VALU_DEP_1) | instskip(SKIP_1) | instid1(SALU_CYCLE_1)
	v_cmp_ne_u32_e32 vcc_lo, 0x7f800000, v93
                                        ; implicit-def: $vgpr93
	s_and_saveexec_b32 s3, vcc_lo
	s_xor_b32 s3, exec_lo, s3
; %bb.43:
	v_bfe_u32 v93, v91, 16, 1
	s_delay_alu instid0(VALU_DEP_1)
	v_add3_u32 v93, v91, v93, 0x7fff
                                        ; implicit-def: $vgpr91
; %bb.44:
	s_and_not1_saveexec_b32 s3, s3
; %bb.45:
	v_and_b32_e32 v93, 0xffff, v91
	v_or_b32_e32 v99, 0x10000, v91
	s_delay_alu instid0(VALU_DEP_2) | instskip(NEXT) | instid1(VALU_DEP_2)
	v_cmp_eq_u32_e32 vcc_lo, 0, v93
	v_cndmask_b32_e32 v93, v99, v91, vcc_lo
; %bb.46:
	s_or_b32 exec_lo, exec_lo, s3
	s_load_b64 s[34:35], s[0:1], 0x94
	v_lshlrev_b32_e32 v91, 4, v83
	s_delay_alu instid0(VALU_DEP_2)
	v_perm_b32 v99, v93, v96, 0x7060302
	v_dual_mul_f32 v88, v89, v88 :: v_dual_lshlrev_b32 v93, 11, v73
	v_perm_b32 v96, v92, v90, 0x7060302
	v_mul_f32_e32 v92, v89, v76
	v_perm_b32 v98, v97, v98, 0x7060302
	v_perm_b32 v97, v95, v94, 0x7060302
	v_or3_b32 v76, v91, v93, v85
	v_mul_f32_e32 v87, v89, v87
	v_dual_mul_f32 v86, v89, v86 :: v_dual_and_b32 v93, 0x7f800000, v92
	v_mul_f32_e32 v80, v89, v80
	v_mul_f32_e32 v90, v89, v79
	;; [unrolled: 1-line block ×4, first 2 shown]
	s_mov_b32 s3, exec_lo
	ds_store_b128 v76, v[96:99]
                                        ; implicit-def: $vgpr77
	v_cmpx_ne_u32_e32 0x7f800000, v93
	s_xor_b32 s3, exec_lo, s3
; %bb.47:
	v_bfe_u32 v77, v92, 16, 1
	s_delay_alu instid0(VALU_DEP_1)
	v_add3_u32 v77, v92, v77, 0x7fff
                                        ; implicit-def: $vgpr92
; %bb.48:
	s_and_not1_saveexec_b32 s3, s3
; %bb.49:
	v_and_b32_e32 v77, 0xffff, v92
	v_or_b32_e32 v78, 0x10000, v92
	s_delay_alu instid0(VALU_DEP_2) | instskip(NEXT) | instid1(VALU_DEP_2)
	v_cmp_eq_u32_e32 vcc_lo, 0, v77
	v_cndmask_b32_e32 v77, v78, v92, vcc_lo
; %bb.50:
	s_or_b32 exec_lo, exec_lo, s3
	v_and_b32_e32 v78, 0x7f800000, v79
	s_delay_alu instid0(VALU_DEP_1) | instskip(SKIP_1) | instid1(SALU_CYCLE_1)
	v_cmp_ne_u32_e32 vcc_lo, 0x7f800000, v78
                                        ; implicit-def: $vgpr78
	s_and_saveexec_b32 s3, vcc_lo
	s_xor_b32 s3, exec_lo, s3
; %bb.51:
	v_bfe_u32 v78, v79, 16, 1
	s_delay_alu instid0(VALU_DEP_1)
	v_add3_u32 v78, v79, v78, 0x7fff
                                        ; implicit-def: $vgpr79
; %bb.52:
	s_and_not1_saveexec_b32 s3, s3
; %bb.53:
	v_and_b32_e32 v78, 0xffff, v79
	v_or_b32_e32 v89, 0x10000, v79
	s_delay_alu instid0(VALU_DEP_2) | instskip(NEXT) | instid1(VALU_DEP_2)
	v_cmp_eq_u32_e32 vcc_lo, 0, v78
	v_cndmask_b32_e32 v78, v89, v79, vcc_lo
; %bb.54:
	s_or_b32 exec_lo, exec_lo, s3
	v_and_b32_e32 v79, 0x7f800000, v91
	s_delay_alu instid0(VALU_DEP_1) | instskip(SKIP_1) | instid1(SALU_CYCLE_1)
	v_cmp_ne_u32_e32 vcc_lo, 0x7f800000, v79
                                        ; implicit-def: $vgpr79
	s_and_saveexec_b32 s3, vcc_lo
	s_xor_b32 s3, exec_lo, s3
; %bb.55:
	v_bfe_u32 v79, v91, 16, 1
	s_delay_alu instid0(VALU_DEP_1)
	v_add3_u32 v79, v91, v79, 0x7fff
                                        ; implicit-def: $vgpr91
; %bb.56:
	s_and_not1_saveexec_b32 s3, s3
; %bb.57:
	v_and_b32_e32 v79, 0xffff, v91
	v_or_b32_e32 v89, 0x10000, v91
	s_delay_alu instid0(VALU_DEP_2) | instskip(NEXT) | instid1(VALU_DEP_2)
	v_cmp_eq_u32_e32 vcc_lo, 0, v79
	v_cndmask_b32_e32 v79, v89, v91, vcc_lo
; %bb.58:
	s_or_b32 exec_lo, exec_lo, s3
	v_and_b32_e32 v89, 0x7f800000, v90
	s_delay_alu instid0(VALU_DEP_1) | instskip(SKIP_1) | instid1(SALU_CYCLE_1)
	v_cmp_ne_u32_e32 vcc_lo, 0x7f800000, v89
                                        ; implicit-def: $vgpr89
	s_and_saveexec_b32 s3, vcc_lo
	s_xor_b32 s3, exec_lo, s3
; %bb.59:
	v_bfe_u32 v89, v90, 16, 1
	s_delay_alu instid0(VALU_DEP_1)
	v_add3_u32 v89, v90, v89, 0x7fff
                                        ; implicit-def: $vgpr90
; %bb.60:
	s_and_not1_saveexec_b32 s3, s3
; %bb.61:
	v_and_b32_e32 v89, 0xffff, v90
	v_or_b32_e32 v91, 0x10000, v90
	s_delay_alu instid0(VALU_DEP_2) | instskip(NEXT) | instid1(VALU_DEP_2)
	v_cmp_eq_u32_e32 vcc_lo, 0, v89
	v_cndmask_b32_e32 v89, v91, v90, vcc_lo
; %bb.62:
	s_or_b32 exec_lo, exec_lo, s3
	v_and_b32_e32 v90, 0x7f800000, v80
	s_delay_alu instid0(VALU_DEP_1) | instskip(SKIP_1) | instid1(SALU_CYCLE_1)
	v_cmp_ne_u32_e32 vcc_lo, 0x7f800000, v90
                                        ; implicit-def: $vgpr90
	s_and_saveexec_b32 s3, vcc_lo
	s_xor_b32 s3, exec_lo, s3
; %bb.63:
	v_bfe_u32 v90, v80, 16, 1
	s_delay_alu instid0(VALU_DEP_1)
	v_add3_u32 v90, v80, v90, 0x7fff
                                        ; implicit-def: $vgpr80
; %bb.64:
	s_and_not1_saveexec_b32 s3, s3
; %bb.65:
	v_and_b32_e32 v90, 0xffff, v80
	v_or_b32_e32 v91, 0x10000, v80
	s_delay_alu instid0(VALU_DEP_2) | instskip(NEXT) | instid1(VALU_DEP_2)
	v_cmp_eq_u32_e32 vcc_lo, 0, v90
	v_cndmask_b32_e32 v90, v91, v80, vcc_lo
; %bb.66:
	s_or_b32 exec_lo, exec_lo, s3
	v_and_b32_e32 v80, 0x7f800000, v86
	s_delay_alu instid0(VALU_DEP_1) | instskip(SKIP_1) | instid1(SALU_CYCLE_1)
	v_cmp_ne_u32_e32 vcc_lo, 0x7f800000, v80
                                        ; implicit-def: $vgpr80
	s_and_saveexec_b32 s3, vcc_lo
	s_xor_b32 s3, exec_lo, s3
; %bb.67:
	v_bfe_u32 v80, v86, 16, 1
	s_delay_alu instid0(VALU_DEP_1)
	v_add3_u32 v80, v86, v80, 0x7fff
                                        ; implicit-def: $vgpr86
; %bb.68:
	s_and_not1_saveexec_b32 s3, s3
; %bb.69:
	v_and_b32_e32 v80, 0xffff, v86
	v_or_b32_e32 v91, 0x10000, v86
	s_delay_alu instid0(VALU_DEP_2) | instskip(NEXT) | instid1(VALU_DEP_2)
	v_cmp_eq_u32_e32 vcc_lo, 0, v80
	v_cndmask_b32_e32 v80, v91, v86, vcc_lo
; %bb.70:
	s_or_b32 exec_lo, exec_lo, s3
	v_and_b32_e32 v86, 0x7f800000, v87
	s_delay_alu instid0(VALU_DEP_1) | instskip(SKIP_1) | instid1(SALU_CYCLE_1)
	v_cmp_ne_u32_e32 vcc_lo, 0x7f800000, v86
                                        ; implicit-def: $vgpr86
	s_and_saveexec_b32 s3, vcc_lo
	s_xor_b32 s3, exec_lo, s3
; %bb.71:
	v_bfe_u32 v86, v87, 16, 1
	s_delay_alu instid0(VALU_DEP_1)
	v_add3_u32 v86, v87, v86, 0x7fff
                                        ; implicit-def: $vgpr87
; %bb.72:
	s_and_not1_saveexec_b32 s3, s3
; %bb.73:
	v_and_b32_e32 v86, 0xffff, v87
	v_or_b32_e32 v91, 0x10000, v87
	s_delay_alu instid0(VALU_DEP_2) | instskip(NEXT) | instid1(VALU_DEP_2)
	v_cmp_eq_u32_e32 vcc_lo, 0, v86
	v_cndmask_b32_e32 v86, v91, v87, vcc_lo
; %bb.74:
	s_or_b32 exec_lo, exec_lo, s3
	v_and_b32_e32 v87, 0x7f800000, v88
	s_delay_alu instid0(VALU_DEP_1) | instskip(SKIP_1) | instid1(SALU_CYCLE_1)
	v_cmp_ne_u32_e32 vcc_lo, 0x7f800000, v87
                                        ; implicit-def: $vgpr87
	s_and_saveexec_b32 s3, vcc_lo
	s_xor_b32 s3, exec_lo, s3
; %bb.75:
	v_bfe_u32 v87, v88, 16, 1
	s_delay_alu instid0(VALU_DEP_1)
	v_add3_u32 v87, v88, v87, 0x7fff
                                        ; implicit-def: $vgpr88
; %bb.76:
	s_and_not1_saveexec_b32 s3, s3
; %bb.77:
	v_and_b32_e32 v87, 0xffff, v88
	v_or_b32_e32 v91, 0x10000, v88
	s_delay_alu instid0(VALU_DEP_2) | instskip(NEXT) | instid1(VALU_DEP_2)
	v_cmp_eq_u32_e32 vcc_lo, 0, v87
	v_cndmask_b32_e32 v87, v91, v88, vcc_lo
; %bb.78:
	s_or_b32 exec_lo, exec_lo, s3
	s_delay_alu instid0(VALU_DEP_1)
	v_perm_b32 v94, v87, v86, 0x7060302
	v_perm_b32 v93, v80, v90, 0x7060302
	v_perm_b32 v92, v89, v79, 0x7060302
	v_perm_b32 v91, v78, v77, 0x7060302
	v_lshl_or_b32 v90, v73, 11, v85
	ds_store_b128 v76, v[91:94] offset:1024
	s_waitcnt lgkmcnt(0)
	s_barrier
	buffer_gl0_inv
	ds_load_b128 v[77:80], v90
	ds_load_b128 v[91:94], v90 offset:16
	s_waitcnt lgkmcnt(1)
	v_lshrrev_b32_e32 v73, 16, v77
	s_waitcnt lgkmcnt(0)
	v_lshrrev_b32_e32 v108, 16, v94
	v_lshlrev_b32_e32 v87, 2, v83
	v_lshrrev_b32_e32 v99, 16, v91
	v_lshrrev_b32_e32 v103, 16, v78
	v_lshrrev_b32_e32 v106, 16, v92
	v_lshrrev_b32_e32 v104, 16, v79
	v_or_b32_e32 v88, 1, v87
	v_cmp_eq_u32_e32 vcc_lo, 1, v87
	v_cmp_eq_u32_e64 s4, 2, v87
	v_cmp_eq_u32_e64 s7, 3, v87
	;; [unrolled: 1-line block ×4, first 2 shown]
	v_cndmask_b32_e32 v89, v77, v73, vcc_lo
	v_cndmask_b32_e32 v95, v91, v99, vcc_lo
	v_cmp_eq_u32_e64 s6, 2, v88
	v_cmp_eq_u32_e64 s8, 3, v88
	v_cndmask_b32_e64 v96, v77, v73, s3
	v_cndmask_b32_e64 v89, v89, v78, s4
	;; [unrolled: 1-line block ×3, first 2 shown]
	v_or_b32_e32 v86, 2, v87
	v_lshrrev_b32_e32 v107, 16, v93
	v_cndmask_b32_e64 v96, v96, v78, s6
	v_cndmask_b32_e64 v89, v89, v103, s7
	;; [unrolled: 1-line block ×4, first 2 shown]
	v_cmp_eq_u32_e64 s10, 5, v87
	v_cndmask_b32_e64 v96, v96, v103, s8
	v_cndmask_b32_e64 v89, v89, v79, s9
	;; [unrolled: 1-line block ×3, first 2 shown]
	v_cmp_eq_u32_e64 s11, 4, v88
	v_cmp_eq_u32_e64 s5, 1, v86
	v_cndmask_b32_e64 v97, v97, v92, s6
	v_cndmask_b32_e64 v89, v89, v104, s10
	v_cmp_eq_u32_e64 s12, 6, v87
	v_cndmask_b32_e64 v96, v96, v79, s11
	v_cndmask_b32_e64 v95, v95, v107, s10
	v_cmp_eq_u32_e64 s13, 5, v88
	v_lshrrev_b32_e32 v105, 16, v80
	v_cndmask_b32_e64 v98, v77, v73, s5
	v_cndmask_b32_e64 v97, v97, v106, s8
	;; [unrolled: 1-line block ×4, first 2 shown]
	v_cmp_eq_u32_e64 s15, 7, v87
	v_cndmask_b32_e64 v95, v95, v94, s12
	v_cmp_eq_u32_e64 s16, 6, v88
	v_cmp_eq_u32_e64 s17, 2, v86
	v_cndmask_b32_e64 v97, v97, v93, s11
	v_cndmask_b32_e64 v109, v89, v105, s15
	;; [unrolled: 1-line block ×6, first 2 shown]
	v_cmp_eq_u32_e64 s18, 7, v88
	v_cmp_eq_u32_e64 s19, 3, v86
	;; [unrolled: 1-line block ×4, first 2 shown]
	v_cndmask_b32_e64 v95, v95, v92, s17
	v_cndmask_b32_e64 v111, v96, v105, s18
	;; [unrolled: 1-line block ×4, first 2 shown]
	v_or_b32_e32 v89, 3, v87
	v_cndmask_b32_e64 v101, v95, v106, s19
	v_cmp_eq_u32_e64 s24, 6, v86
	v_cndmask_b32_e64 v112, v96, v94, s16
	v_cndmask_b32_e64 v100, v97, v79, s20
	v_cmp_eq_u32_e64 s21, 1, v89
	ds_load_b128 v[95:98], v90 offset:1024
	v_cmp_eq_u32_e64 s23, 2, v89
	v_cmp_eq_u32_e64 s25, 3, v89
	v_cndmask_b32_e64 v113, v100, v104, s22
	v_cndmask_b32_e64 v73, v77, v73, s21
	v_cndmask_b32_e64 v77, v101, v93, s20
	v_cndmask_b32_e64 v91, v91, v99, s21
	ds_load_b128 v[99:102], v90 offset:1040
	v_cmp_eq_u32_e64 s26, 4, v89
	v_cndmask_b32_e64 v73, v73, v78, s23
	v_cmp_eq_u32_e64 s27, 7, v86
	v_cndmask_b32_e64 v78, v91, v92, s23
	v_cndmask_b32_e64 v92, v113, v80, s24
	v_cmp_eq_u32_e64 s28, 5, v89
	v_cndmask_b32_e64 v73, v73, v103, s25
	v_cndmask_b32_e64 v77, v77, v107, s22
	;; [unrolled: 1-line block ×3, first 2 shown]
	v_cmp_eq_u32_e64 s29, 6, v89
	v_cndmask_b32_e64 v91, v112, v108, s18
	v_cndmask_b32_e64 v73, v73, v79, s26
	s_waitcnt lgkmcnt(1)
	v_lshrrev_b32_e32 v103, 16, v95
	v_cndmask_b32_e64 v78, v78, v93, s26
	v_cndmask_b32_e64 v79, v92, v105, s27
	;; [unrolled: 1-line block ×4, first 2 shown]
	v_cndmask_b32_e32 v92, v95, v103, vcc_lo
	v_cndmask_b32_e64 v78, v78, v107, s28
	s_waitcnt lgkmcnt(0)
	v_lshrrev_b32_e32 v93, 16, v99
	v_lshrrev_b32_e32 v104, 16, v96
	v_cndmask_b32_e64 v106, v95, v103, s3
	v_cndmask_b32_e64 v92, v92, v96, s4
	;; [unrolled: 1-line block ×3, first 2 shown]
	v_cndmask_b32_e32 v107, v99, v93, vcc_lo
	v_cndmask_b32_e64 v78, v78, v94, s29
	v_cmp_eq_u32_e32 vcc_lo, 7, v89
	v_cndmask_b32_e64 v80, v92, v104, s7
	v_cndmask_b32_e64 v92, v106, v96, s6
	;; [unrolled: 1-line block ×3, first 2 shown]
	v_lshrrev_b32_e32 v106, 16, v100
	v_cndmask_b32_e64 v77, v77, v108, s27
	v_cndmask_b32_e32 v78, v78, v108, vcc_lo
	v_lshrrev_b32_e32 v108, 16, v101
	v_cndmask_b32_e64 v80, v80, v97, s9
	v_cndmask_b32_e64 v94, v94, v106, s7
	v_lshrrev_b32_e32 v107, 16, v97
	v_cndmask_b32_e32 v73, v73, v105, vcc_lo
	v_perm_b32 v79, v77, v79, 0x5040100
	v_cndmask_b32_e64 v92, v92, v104, s8
	v_cndmask_b32_e64 v94, v94, v101, s9
	;; [unrolled: 1-line block ×3, first 2 shown]
	v_perm_b32 v80, v78, v73, 0x5040100
	v_perm_b32 v78, v91, v111, 0x5040100
	v_cndmask_b32_e64 v111, v99, v93, s5
	v_cndmask_b32_e64 v94, v94, v108, s10
	;; [unrolled: 1-line block ×3, first 2 shown]
	s_delay_alu instid0(VALU_DEP_2)
	v_cndmask_b32_e64 v77, v94, v102, s12
	v_cndmask_b32_e64 v94, v95, v103, s5
	;; [unrolled: 1-line block ×22, first 2 shown]
	v_lshrrev_b32_e32 v105, 16, v98
	v_cndmask_b32_e64 v94, v94, v107, s22
	v_cndmask_b32_e64 v95, v95, v107, s28
	;; [unrolled: 1-line block ×7, first 2 shown]
	v_lshrrev_b32_e32 v92, 16, v102
	v_cndmask_b32_e64 v94, v94, v98, s24
	v_cndmask_b32_e64 v95, v95, v98, s29
	;; [unrolled: 1-line block ×7, first 2 shown]
	v_dual_cndmask_b32 v94, v95, v105 :: v_dual_cndmask_b32 v95, v96, v92
	v_cndmask_b32_e64 v96, v97, v92, s27
	v_cndmask_b32_e64 v97, v93, v92, s18
	;; [unrolled: 1-line block ×3, first 2 shown]
	v_perm_b32 v77, v110, v109, 0x5040100
	v_perm_b32 v94, v95, v94, 0x5040100
	;; [unrolled: 1-line block ×5, first 2 shown]
	s_lshl_b32 s8, s35, 2
	s_mov_b32 s3, exec_lo
	ds_store_b128 v76, v[77:80]
	ds_store_b128 v76, v[91:94] offset:1024
	v_cmpx_gt_u32_e32 4, v0
	s_cbranch_execz .LBB577_80
; %bb.79:
	v_or_b32_e32 v73, s31, v0
	s_load_b128 s[4:7], s[0:1], 0x58
	s_delay_alu instid0(VALU_DEP_1) | instskip(NEXT) | instid1(VALU_DEP_1)
	v_mad_u64_u32 v[76:77], null, s8, s30, v[73:74]
	v_mad_u64_u32 v[77:78], null, v76, s34, s[14:15]
	s_delay_alu instid0(VALU_DEP_1) | instskip(NEXT) | instid1(VALU_DEP_1)
	v_ashrrev_i32_e32 v78, 31, v77
	v_lshlrev_b64 v[76:77], 2, v[77:78]
	s_waitcnt lgkmcnt(0)
	s_delay_alu instid0(VALU_DEP_1) | instskip(NEXT) | instid1(VALU_DEP_2)
	v_add_co_u32 v78, vcc_lo, s6, v76
	v_add_co_ci_u32_e32 v79, vcc_lo, s7, v77, vcc_lo
	v_add_co_u32 v76, vcc_lo, s4, v76
	v_add_co_ci_u32_e32 v77, vcc_lo, s5, v77, vcc_lo
	global_store_b32 v[78:79], v74, off
	global_store_b32 v[76:77], v75, off
.LBB577_80:
	s_or_b32 exec_lo, exec_lo, s3
	s_waitcnt lgkmcnt(0)
	s_waitcnt_vscnt null, 0x0
	s_barrier
	buffer_gl0_inv
	ds_load_b128 v[91:94], v85
	ds_load_b128 v[95:98], v85 offset:16
	ds_load_b128 v[103:106], v85 offset:1040
	;; [unrolled: 1-line block ×3, first 2 shown]
	v_mov_b32_e32 v73, 0
	ds_load_b128 v[111:114], v85 offset:2064
	ds_load_b128 v[107:110], v85 offset:2048
	;; [unrolled: 1-line block ×6, first 2 shown]
	v_mov_b32_e32 v74, v73
	v_mov_b32_e32 v75, v73
	;; [unrolled: 1-line block ×7, first 2 shown]
	s_waitcnt lgkmcnt(8)
	s_delay_alu instid0(VALU_DEP_1)
	v_wmma_f32_16x16x16_bf16 v[73:80], v[65:72], v[91:98], v[73:80]
	ds_load_b128 v[69:72], v85 offset:5136
	ds_load_b128 v[65:68], v85 offset:5120
	;; [unrolled: 1-line block ×4, first 2 shown]
	s_waitcnt lgkmcnt(10)
	v_wmma_f32_16x16x16_bf16 v[73:80], v[57:64], v[99:106], v[73:80]
	s_waitcnt lgkmcnt(8)
	s_delay_alu instid0(VALU_DEP_1)
	v_wmma_f32_16x16x16_bf16 v[73:80], v[57:64], v[107:114], v[73:80]
	ds_load_b128 v[61:64], v85 offset:7184
	ds_load_b128 v[57:60], v85 offset:7168
	;; [unrolled: 1-line block ×4, first 2 shown]
	s_waitcnt lgkmcnt(10)
	v_wmma_f32_16x16x16_bf16 v[73:80], v[49:56], v[115:122], v[73:80]
	s_waitcnt lgkmcnt(8)
	s_delay_alu instid0(VALU_DEP_1)
	v_wmma_f32_16x16x16_bf16 v[73:80], v[49:56], v[123:130], v[73:80]
	ds_load_b128 v[53:56], v85 offset:9232
	ds_load_b128 v[49:52], v85 offset:9216
	s_waitcnt lgkmcnt(8)
	v_wmma_f32_16x16x16_bf16 v[73:80], v[41:48], v[65:72], v[73:80]
	ds_load_b128 v[69:72], v85 offset:10256
	ds_load_b128 v[65:68], v85 offset:10240
	s_waitcnt lgkmcnt(8)
	;; [unrolled: 4-line block ×3, first 2 shown]
	v_wmma_f32_16x16x16_bf16 v[73:80], v[9:16], v[57:64], v[73:80]
	s_waitcnt lgkmcnt(6)
	s_delay_alu instid0(VALU_DEP_1)
	v_wmma_f32_16x16x16_bf16 v[73:80], v[9:16], v[99:106], v[73:80]
	ds_load_b128 v[13:16], v85 offset:12304
	ds_load_b128 v[9:12], v85 offset:12288
	s_waitcnt lgkmcnt(6)
	v_wmma_f32_16x16x16_bf16 v[73:80], v[1:8], v[49:56], v[73:80]
	ds_load_b128 v[53:56], v85 offset:13328
	ds_load_b128 v[49:52], v85 offset:13312
	s_waitcnt lgkmcnt(6)
	;; [unrolled: 4-line block ×4, first 2 shown]
	v_wmma_f32_16x16x16_bf16 v[73:80], v[33:40], v[9:16], v[73:80]
	s_waitcnt lgkmcnt(4)
	s_delay_alu instid0(VALU_DEP_1) | instskip(SKIP_1) | instid1(VALU_DEP_1)
	v_wmma_f32_16x16x16_bf16 v[73:80], v[25:32], v[49:56], v[73:80]
	s_waitcnt lgkmcnt(2)
	v_wmma_f32_16x16x16_bf16 v[73:80], v[25:32], v[1:8], v[73:80]
	s_waitcnt lgkmcnt(0)
	s_delay_alu instid0(VALU_DEP_1) | instskip(NEXT) | instid1(VALU_DEP_1)
	v_wmma_f32_16x16x16_bf16 v[73:80], v[17:24], v[41:48], v[73:80]
	v_and_b32_e32 v1, 0x7f800000, v73
	s_delay_alu instid0(VALU_DEP_1) | instskip(SKIP_1) | instid1(SALU_CYCLE_1)
	v_cmp_ne_u32_e32 vcc_lo, 0x7f800000, v1
                                        ; implicit-def: $vgpr1
	s_and_saveexec_b32 s3, vcc_lo
	s_xor_b32 s3, exec_lo, s3
; %bb.81:
	v_bfe_u32 v1, v73, 16, 1
	s_delay_alu instid0(VALU_DEP_1)
	v_add3_u32 v1, v73, v1, 0x7fff
; %bb.82:
	s_and_not1_saveexec_b32 s3, s3
; %bb.83:
	v_and_b32_e32 v1, 0xffff, v73
	v_or_b32_e32 v2, 0x10000, v73
	s_delay_alu instid0(VALU_DEP_2) | instskip(NEXT) | instid1(VALU_DEP_2)
	v_cmp_eq_u32_e32 vcc_lo, 0, v1
	v_cndmask_b32_e32 v1, v2, v73, vcc_lo
; %bb.84:
	s_or_b32 exec_lo, exec_lo, s3
	v_and_b32_e32 v2, 0x7f800000, v74
	s_delay_alu instid0(VALU_DEP_1) | instskip(SKIP_1) | instid1(SALU_CYCLE_1)
	v_cmp_ne_u32_e32 vcc_lo, 0x7f800000, v2
                                        ; implicit-def: $vgpr2
	s_and_saveexec_b32 s3, vcc_lo
	s_xor_b32 s3, exec_lo, s3
; %bb.85:
	v_bfe_u32 v2, v74, 16, 1
	s_delay_alu instid0(VALU_DEP_1)
	v_add3_u32 v2, v74, v2, 0x7fff
; %bb.86:
	s_and_not1_saveexec_b32 s3, s3
; %bb.87:
	v_and_b32_e32 v2, 0xffff, v74
	v_or_b32_e32 v3, 0x10000, v74
	s_delay_alu instid0(VALU_DEP_2) | instskip(NEXT) | instid1(VALU_DEP_2)
	v_cmp_eq_u32_e32 vcc_lo, 0, v2
	v_cndmask_b32_e32 v2, v3, v74, vcc_lo
; %bb.88:
	s_or_b32 exec_lo, exec_lo, s3
	v_and_b32_e32 v3, 0x7f800000, v75
	s_delay_alu instid0(VALU_DEP_1) | instskip(SKIP_1) | instid1(SALU_CYCLE_1)
	v_cmp_ne_u32_e32 vcc_lo, 0x7f800000, v3
                                        ; implicit-def: $vgpr3
	s_and_saveexec_b32 s3, vcc_lo
	s_xor_b32 s3, exec_lo, s3
; %bb.89:
	v_bfe_u32 v3, v75, 16, 1
	s_delay_alu instid0(VALU_DEP_1)
	v_add3_u32 v3, v75, v3, 0x7fff
; %bb.90:
	s_and_not1_saveexec_b32 s3, s3
; %bb.91:
	v_and_b32_e32 v3, 0xffff, v75
	v_or_b32_e32 v4, 0x10000, v75
	s_delay_alu instid0(VALU_DEP_2) | instskip(NEXT) | instid1(VALU_DEP_2)
	v_cmp_eq_u32_e32 vcc_lo, 0, v3
	v_cndmask_b32_e32 v3, v4, v75, vcc_lo
; %bb.92:
	s_or_b32 exec_lo, exec_lo, s3
	v_and_b32_e32 v4, 0x7f800000, v76
	s_delay_alu instid0(VALU_DEP_1) | instskip(SKIP_1) | instid1(SALU_CYCLE_1)
	v_cmp_ne_u32_e32 vcc_lo, 0x7f800000, v4
                                        ; implicit-def: $vgpr4
	s_and_saveexec_b32 s3, vcc_lo
	s_xor_b32 s3, exec_lo, s3
; %bb.93:
	v_bfe_u32 v4, v76, 16, 1
	s_delay_alu instid0(VALU_DEP_1)
	v_add3_u32 v4, v76, v4, 0x7fff
; %bb.94:
	s_and_not1_saveexec_b32 s3, s3
; %bb.95:
	v_and_b32_e32 v4, 0xffff, v76
	v_or_b32_e32 v5, 0x10000, v76
	s_delay_alu instid0(VALU_DEP_2) | instskip(NEXT) | instid1(VALU_DEP_2)
	v_cmp_eq_u32_e32 vcc_lo, 0, v4
	v_cndmask_b32_e32 v4, v5, v76, vcc_lo
; %bb.96:
	s_or_b32 exec_lo, exec_lo, s3
	v_and_b32_e32 v5, 0x7f800000, v77
	s_delay_alu instid0(VALU_DEP_1) | instskip(SKIP_1) | instid1(SALU_CYCLE_1)
	v_cmp_ne_u32_e32 vcc_lo, 0x7f800000, v5
                                        ; implicit-def: $vgpr5
	s_and_saveexec_b32 s3, vcc_lo
	s_xor_b32 s3, exec_lo, s3
; %bb.97:
	v_bfe_u32 v5, v77, 16, 1
	s_delay_alu instid0(VALU_DEP_1)
	v_add3_u32 v5, v77, v5, 0x7fff
; %bb.98:
	s_and_not1_saveexec_b32 s3, s3
; %bb.99:
	v_and_b32_e32 v5, 0xffff, v77
	v_or_b32_e32 v6, 0x10000, v77
	s_delay_alu instid0(VALU_DEP_2) | instskip(NEXT) | instid1(VALU_DEP_2)
	v_cmp_eq_u32_e32 vcc_lo, 0, v5
	v_cndmask_b32_e32 v5, v6, v77, vcc_lo
; %bb.100:
	s_or_b32 exec_lo, exec_lo, s3
	v_and_b32_e32 v6, 0x7f800000, v78
	s_delay_alu instid0(VALU_DEP_1) | instskip(SKIP_1) | instid1(SALU_CYCLE_1)
	v_cmp_ne_u32_e32 vcc_lo, 0x7f800000, v6
                                        ; implicit-def: $vgpr6
	s_and_saveexec_b32 s3, vcc_lo
	s_xor_b32 s3, exec_lo, s3
; %bb.101:
	v_bfe_u32 v6, v78, 16, 1
	s_delay_alu instid0(VALU_DEP_1)
	v_add3_u32 v6, v78, v6, 0x7fff
; %bb.102:
	s_and_not1_saveexec_b32 s3, s3
; %bb.103:
	v_and_b32_e32 v6, 0xffff, v78
	v_or_b32_e32 v7, 0x10000, v78
	s_delay_alu instid0(VALU_DEP_2) | instskip(NEXT) | instid1(VALU_DEP_2)
	v_cmp_eq_u32_e32 vcc_lo, 0, v6
	v_cndmask_b32_e32 v6, v7, v78, vcc_lo
; %bb.104:
	s_or_b32 exec_lo, exec_lo, s3
	v_and_b32_e32 v7, 0x7f800000, v79
	s_delay_alu instid0(VALU_DEP_1) | instskip(SKIP_1) | instid1(SALU_CYCLE_1)
	v_cmp_ne_u32_e32 vcc_lo, 0x7f800000, v7
                                        ; implicit-def: $vgpr7
	s_and_saveexec_b32 s3, vcc_lo
	s_xor_b32 s3, exec_lo, s3
; %bb.105:
	v_bfe_u32 v7, v79, 16, 1
	s_delay_alu instid0(VALU_DEP_1)
	v_add3_u32 v7, v79, v7, 0x7fff
; %bb.106:
	s_and_not1_saveexec_b32 s3, s3
; %bb.107:
	v_and_b32_e32 v7, 0xffff, v79
	v_or_b32_e32 v8, 0x10000, v79
	s_delay_alu instid0(VALU_DEP_2) | instskip(NEXT) | instid1(VALU_DEP_2)
	v_cmp_eq_u32_e32 vcc_lo, 0, v7
	v_cndmask_b32_e32 v7, v8, v79, vcc_lo
; %bb.108:
	s_or_b32 exec_lo, exec_lo, s3
	v_and_b32_e32 v8, 0x7f800000, v80
	s_delay_alu instid0(VALU_DEP_1) | instskip(SKIP_1) | instid1(SALU_CYCLE_1)
	v_cmp_ne_u32_e32 vcc_lo, 0x7f800000, v8
                                        ; implicit-def: $vgpr8
	s_and_saveexec_b32 s3, vcc_lo
	s_xor_b32 s3, exec_lo, s3
; %bb.109:
	v_bfe_u32 v8, v80, 16, 1
	s_delay_alu instid0(VALU_DEP_1)
	v_add3_u32 v8, v80, v8, 0x7fff
                                        ; implicit-def: $vgpr73_vgpr74_vgpr75_vgpr76_vgpr77_vgpr78_vgpr79_vgpr80
; %bb.110:
	s_and_not1_saveexec_b32 s3, s3
; %bb.111:
	v_and_b32_e32 v8, 0xffff, v80
	v_or_b32_e32 v9, 0x10000, v80
	s_delay_alu instid0(VALU_DEP_2) | instskip(NEXT) | instid1(VALU_DEP_2)
	v_cmp_eq_u32_e32 vcc_lo, 0, v8
	v_cndmask_b32_e32 v8, v9, v80, vcc_lo
; %bb.112:
	s_or_b32 exec_lo, exec_lo, s3
	s_delay_alu instid0(VALU_DEP_1)
	v_perm_b32 v7, v8, v7, 0x7060302
	v_perm_b32 v6, v6, v5, 0x7060302
	;; [unrolled: 1-line block ×4, first 2 shown]
	v_lshl_or_b32 v9, v83, 4, v90
	s_barrier
	buffer_gl0_inv
	v_cmp_eq_u32_e32 vcc_lo, 1, v87
	ds_store_b128 v9, v[4:7]
	s_waitcnt lgkmcnt(0)
	s_barrier
	buffer_gl0_inv
	ds_load_b128 v[1:4], v90
	ds_load_b128 v[5:8], v90 offset:16
	v_cmp_eq_u32_e64 s4, 2, v87
	v_cmp_eq_u32_e64 s3, 1, v88
	v_cmp_eq_u32_e64 s5, 3, v87
	v_cmp_eq_u32_e64 s7, 2, v86
	v_cmp_eq_u32_e64 s6, 7, v88
	s_waitcnt lgkmcnt(1)
	v_lshrrev_b32_e32 v10, 16, v1
	s_waitcnt lgkmcnt(0)
	v_lshrrev_b32_e32 v14, 16, v5
	v_lshrrev_b32_e32 v15, 16, v6
	;; [unrolled: 1-line block ×4, first 2 shown]
	v_cndmask_b32_e64 v20, v1, v10, s3
	v_cndmask_b32_e32 v19, v5, v14, vcc_lo
	v_cndmask_b32_e64 v21, v5, v14, s3
	v_lshrrev_b32_e32 v16, 16, v7
	v_cmp_eq_u32_e64 s3, 1, v86
	v_lshrrev_b32_e32 v13, 16, v4
	v_cndmask_b32_e64 v19, v19, v6, s4
	v_lshrrev_b32_e32 v17, 16, v8
	s_delay_alu instid0(VALU_DEP_4) | instskip(SKIP_1) | instid1(VALU_DEP_4)
	v_cndmask_b32_e64 v22, v1, v10, s3
	v_cndmask_b32_e64 v23, v5, v14, s3
	;; [unrolled: 1-line block ×3, first 2 shown]
	v_cndmask_b32_e32 v18, v1, v10, vcc_lo
	v_cmp_eq_u32_e32 vcc_lo, 2, v88
	v_cmp_eq_u32_e64 s3, 2, v89
	v_cndmask_b32_e64 v22, v22, v2, s7
	v_cndmask_b32_e32 v20, v20, v2, vcc_lo
	v_cndmask_b32_e32 v21, v21, v6, vcc_lo
	v_cmp_eq_u32_e32 vcc_lo, 4, v87
	v_cndmask_b32_e32 v19, v19, v7, vcc_lo
	v_cndmask_b32_e64 v18, v18, v2, s4
	v_cmp_eq_u32_e64 s4, 3, v88
	s_delay_alu instid0(VALU_DEP_2) | instskip(NEXT) | instid1(VALU_DEP_2)
	v_cndmask_b32_e64 v18, v18, v11, s5
	v_cndmask_b32_e64 v21, v21, v15, s4
	v_cmp_eq_u32_e64 s5, 5, v87
	s_delay_alu instid0(VALU_DEP_3) | instskip(SKIP_1) | instid1(VALU_DEP_3)
	v_cndmask_b32_e32 v18, v18, v3, vcc_lo
	v_cmp_eq_u32_e32 vcc_lo, 4, v88
	v_cndmask_b32_e64 v19, v19, v16, s5
	s_delay_alu instid0(VALU_DEP_3) | instskip(SKIP_4) | instid1(VALU_DEP_3)
	v_cndmask_b32_e64 v18, v18, v12, s5
	v_cndmask_b32_e32 v21, v21, v7, vcc_lo
	v_cndmask_b32_e64 v20, v20, v11, s4
	v_cmp_eq_u32_e64 s4, 5, v88
	v_cmp_eq_u32_e64 s5, 6, v87
	v_cndmask_b32_e32 v20, v20, v3, vcc_lo
	s_delay_alu instid0(VALU_DEP_3) | instskip(SKIP_1) | instid1(VALU_DEP_4)
	v_cndmask_b32_e64 v21, v21, v16, s4
	v_cmp_eq_u32_e32 vcc_lo, 6, v88
	v_cndmask_b32_e64 v18, v18, v4, s5
	v_cndmask_b32_e64 v19, v19, v8, s5
	;; [unrolled: 1-line block ×3, first 2 shown]
	v_cmp_eq_u32_e64 s4, 1, v89
	v_cmp_eq_u32_e64 s5, 7, v87
	s_delay_alu instid0(VALU_DEP_3) | instskip(NEXT) | instid1(VALU_DEP_3)
	v_cndmask_b32_e32 v20, v20, v4, vcc_lo
	v_cndmask_b32_e64 v1, v1, v10, s4
	v_cndmask_b32_e64 v5, v5, v14, s4
	v_cmp_eq_u32_e64 s4, 3, v86
	v_cndmask_b32_e64 v14, v23, v6, s7
	v_cmp_eq_u32_e64 s7, 3, v89
	v_cndmask_b32_e64 v1, v1, v2, s3
	v_cndmask_b32_e64 v2, v5, v6, s3
	;; [unrolled: 1-line block ×3, first 2 shown]
	v_cmp_eq_u32_e64 s3, 4, v86
	v_cndmask_b32_e64 v6, v14, v15, s4
	v_cndmask_b32_e64 v1, v1, v11, s7
	v_cmp_eq_u32_e64 s4, 4, v89
	v_cndmask_b32_e64 v2, v2, v15, s7
	v_cndmask_b32_e64 v5, v10, v3, s3
	;; [unrolled: 3-line block ×3, first 2 shown]
	v_cndmask_b32_e64 v2, v2, v7, s4
	v_cmp_eq_u32_e64 s3, 5, v89
	v_cndmask_b32_e64 v5, v5, v12, s7
	v_cmp_eq_u32_e64 s4, 6, v86
	;; [unrolled: 2-line block ×3, first 2 shown]
	v_cndmask_b32_e64 v1, v1, v12, s3
	v_cndmask_b32_e64 v2, v2, v16, s3
	;; [unrolled: 1-line block ×4, first 2 shown]
	v_cmp_eq_u32_e64 s3, 7, v89
	v_cndmask_b32_e64 v1, v1, v4, s7
	v_cndmask_b32_e64 v2, v2, v8, s7
	v_cmp_eq_u32_e64 s4, 7, v86
	v_cndmask_b32_e32 v4, v21, v8, vcc_lo
	v_cndmask_b32_e64 v18, v18, v13, s5
	v_cndmask_b32_e64 v20, v20, v13, s6
	;; [unrolled: 1-line block ×8, first 2 shown]
	v_cmp_gt_u32_e32 vcc_lo, 32, v0
	v_perm_b32 v4, v2, v1, 0x5040100
	v_perm_b32 v3, v3, v5, 0x5040100
	;; [unrolled: 1-line block ×4, first 2 shown]
	s_and_b32 s2, vcc_lo, s2
	ds_store_b128 v9, v[1:4]
	s_waitcnt lgkmcnt(0)
	s_barrier
	buffer_gl0_inv
	s_and_saveexec_b32 s3, s2
	s_cbranch_execz .LBB577_2
; %bb.113:
	s_load_b64 s[0:1], s[0:1], 0x68
	v_lshlrev_b32_e32 v0, 10, v0
	v_or_b32_e32 v1, s31, v83
	s_lshl_b32 s4, s34, 6
	v_lshlrev_b32_e32 v2, 4, v84
	s_mul_i32 s2, s4, s30
	v_lshlrev_b32_e32 v3, 6, v83
	v_mul_lo_u32 v8, v1, s4
	v_and_b32_e32 v0, 0x3800, v0
	v_or_b32_e32 v1, 2, v1
	s_mul_i32 s2, s2, s8
	s_delay_alu instid0(SALU_CYCLE_1) | instskip(NEXT) | instid1(VALU_DEP_2)
	s_ashr_i32 s3, s2, 31
	v_or3_b32 v4, v0, v2, v3
	s_lshl_b64 s[2:3], s[2:3], 1
	v_mul_lo_u32 v10, v1, s4
	v_ashrrev_i32_e32 v9, 31, v8
	ds_load_b128 v[0:3], v4
	ds_load_b128 v[4:7], v4 offset:128
	s_waitcnt lgkmcnt(0)
	s_add_u32 s2, s0, s2
	s_addc_u32 s3, s1, s3
	s_lshl_b32 s0, s14, 6
	v_ashrrev_i32_e32 v11, 31, v10
	s_ashr_i32 s1, s0, 31
	v_lshlrev_b64 v[8:9], 1, v[8:9]
	s_lshl_b64 s[0:1], s[0:1], 1
	s_delay_alu instid0(SALU_CYCLE_1) | instskip(SKIP_4) | instid1(VALU_DEP_3)
	s_add_u32 s0, s2, s0
	s_addc_u32 s1, s3, s1
	v_add_co_u32 v12, vcc_lo, s0, v81
	v_add_co_ci_u32_e32 v13, vcc_lo, s1, v82, vcc_lo
	v_lshlrev_b64 v[10:11], 1, v[10:11]
	v_add_co_u32 v8, vcc_lo, v12, v8
	s_delay_alu instid0(VALU_DEP_3) | instskip(NEXT) | instid1(VALU_DEP_3)
	v_add_co_ci_u32_e32 v9, vcc_lo, v13, v9, vcc_lo
	v_add_co_u32 v10, vcc_lo, v12, v10
	s_delay_alu instid0(VALU_DEP_4)
	v_add_co_ci_u32_e32 v11, vcc_lo, v13, v11, vcc_lo
	s_clause 0x1
	global_store_b128 v[8:9], v[0:3], off
	global_store_b128 v[10:11], v[4:7], off
	s_nop 0
	s_sendmsg sendmsg(MSG_DEALLOC_VGPRS)
	s_endpgm
	.section	.rodata,"a",@progbits
	.p2align	6, 0x0
	.amdhsa_kernel _Z39paged_attention_ll4mi_QKV_mfma16_kernelI14__hip_bfloat16S0_LN4vllm18Fp8KVCacheDataTypeE0ES0_Li32ELi64ELi256ELb0ELi4EL8MFMAType0EEvPKT_PKT0_S9_ifPKiSB_SB_iPKfiiiPfSE_PS4_PT2_iSD_SD_
		.amdhsa_group_segment_fixed_size 17472
		.amdhsa_private_segment_fixed_size 0
		.amdhsa_kernarg_size 400
		.amdhsa_user_sgpr_count 13
		.amdhsa_user_sgpr_dispatch_ptr 0
		.amdhsa_user_sgpr_queue_ptr 0
		.amdhsa_user_sgpr_kernarg_segment_ptr 1
		.amdhsa_user_sgpr_dispatch_id 0
		.amdhsa_user_sgpr_private_segment_size 0
		.amdhsa_wavefront_size32 1
		.amdhsa_uses_dynamic_stack 0
		.amdhsa_enable_private_segment 0
		.amdhsa_system_sgpr_workgroup_id_x 1
		.amdhsa_system_sgpr_workgroup_id_y 1
		.amdhsa_system_sgpr_workgroup_id_z 1
		.amdhsa_system_sgpr_workgroup_info 0
		.amdhsa_system_vgpr_workitem_id 0
		.amdhsa_next_free_vgpr 142
		.amdhsa_next_free_sgpr 38
		.amdhsa_reserve_vcc 1
		.amdhsa_float_round_mode_32 0
		.amdhsa_float_round_mode_16_64 0
		.amdhsa_float_denorm_mode_32 3
		.amdhsa_float_denorm_mode_16_64 3
		.amdhsa_dx10_clamp 1
		.amdhsa_ieee_mode 1
		.amdhsa_fp16_overflow 0
		.amdhsa_workgroup_processor_mode 1
		.amdhsa_memory_ordered 1
		.amdhsa_forward_progress 0
		.amdhsa_shared_vgpr_count 0
		.amdhsa_exception_fp_ieee_invalid_op 0
		.amdhsa_exception_fp_denorm_src 0
		.amdhsa_exception_fp_ieee_div_zero 0
		.amdhsa_exception_fp_ieee_overflow 0
		.amdhsa_exception_fp_ieee_underflow 0
		.amdhsa_exception_fp_ieee_inexact 0
		.amdhsa_exception_int_div_zero 0
	.end_amdhsa_kernel
	.section	.text._Z39paged_attention_ll4mi_QKV_mfma16_kernelI14__hip_bfloat16S0_LN4vllm18Fp8KVCacheDataTypeE0ES0_Li32ELi64ELi256ELb0ELi4EL8MFMAType0EEvPKT_PKT0_S9_ifPKiSB_SB_iPKfiiiPfSE_PS4_PT2_iSD_SD_,"axG",@progbits,_Z39paged_attention_ll4mi_QKV_mfma16_kernelI14__hip_bfloat16S0_LN4vllm18Fp8KVCacheDataTypeE0ES0_Li32ELi64ELi256ELb0ELi4EL8MFMAType0EEvPKT_PKT0_S9_ifPKiSB_SB_iPKfiiiPfSE_PS4_PT2_iSD_SD_,comdat
.Lfunc_end577:
	.size	_Z39paged_attention_ll4mi_QKV_mfma16_kernelI14__hip_bfloat16S0_LN4vllm18Fp8KVCacheDataTypeE0ES0_Li32ELi64ELi256ELb0ELi4EL8MFMAType0EEvPKT_PKT0_S9_ifPKiSB_SB_iPKfiiiPfSE_PS4_PT2_iSD_SD_, .Lfunc_end577-_Z39paged_attention_ll4mi_QKV_mfma16_kernelI14__hip_bfloat16S0_LN4vllm18Fp8KVCacheDataTypeE0ES0_Li32ELi64ELi256ELb0ELi4EL8MFMAType0EEvPKT_PKT0_S9_ifPKiSB_SB_iPKfiiiPfSE_PS4_PT2_iSD_SD_
                                        ; -- End function
	.section	.AMDGPU.csdata,"",@progbits
; Kernel info:
; codeLenInByte = 9332
; NumSgprs: 40
; NumVgprs: 142
; ScratchSize: 0
; MemoryBound: 0
; FloatMode: 240
; IeeeMode: 1
; LDSByteSize: 17472 bytes/workgroup (compile time only)
; SGPRBlocks: 4
; VGPRBlocks: 17
; NumSGPRsForWavesPerEU: 40
; NumVGPRsForWavesPerEU: 142
; Occupancy: 10
; WaveLimiterHint : 1
; COMPUTE_PGM_RSRC2:SCRATCH_EN: 0
; COMPUTE_PGM_RSRC2:USER_SGPR: 13
; COMPUTE_PGM_RSRC2:TRAP_HANDLER: 0
; COMPUTE_PGM_RSRC2:TGID_X_EN: 1
; COMPUTE_PGM_RSRC2:TGID_Y_EN: 1
; COMPUTE_PGM_RSRC2:TGID_Z_EN: 1
; COMPUTE_PGM_RSRC2:TIDIG_COMP_CNT: 0
	.section	.text._Z38paged_attention_ll4mi_QKV_mfma4_kernelI14__hip_bfloat16S0_LN4vllm18Fp8KVCacheDataTypeE0EhLi16ELi128ELi256ELb1ELi1EEvPKT_PKT0_S8_ifPKiSA_SA_iPKfiiiPfSD_PS3_PT2_iSC_SC_,"axG",@progbits,_Z38paged_attention_ll4mi_QKV_mfma4_kernelI14__hip_bfloat16S0_LN4vllm18Fp8KVCacheDataTypeE0EhLi16ELi128ELi256ELb1ELi1EEvPKT_PKT0_S8_ifPKiSA_SA_iPKfiiiPfSD_PS3_PT2_iSC_SC_,comdat
	.protected	_Z38paged_attention_ll4mi_QKV_mfma4_kernelI14__hip_bfloat16S0_LN4vllm18Fp8KVCacheDataTypeE0EhLi16ELi128ELi256ELb1ELi1EEvPKT_PKT0_S8_ifPKiSA_SA_iPKfiiiPfSD_PS3_PT2_iSC_SC_ ; -- Begin function _Z38paged_attention_ll4mi_QKV_mfma4_kernelI14__hip_bfloat16S0_LN4vllm18Fp8KVCacheDataTypeE0EhLi16ELi128ELi256ELb1ELi1EEvPKT_PKT0_S8_ifPKiSA_SA_iPKfiiiPfSD_PS3_PT2_iSC_SC_
	.globl	_Z38paged_attention_ll4mi_QKV_mfma4_kernelI14__hip_bfloat16S0_LN4vllm18Fp8KVCacheDataTypeE0EhLi16ELi128ELi256ELb1ELi1EEvPKT_PKT0_S8_ifPKiSA_SA_iPKfiiiPfSD_PS3_PT2_iSC_SC_
	.p2align	8
	.type	_Z38paged_attention_ll4mi_QKV_mfma4_kernelI14__hip_bfloat16S0_LN4vllm18Fp8KVCacheDataTypeE0EhLi16ELi128ELi256ELb1ELi1EEvPKT_PKT0_S8_ifPKiSA_SA_iPKfiiiPfSD_PS3_PT2_iSC_SC_,@function
_Z38paged_attention_ll4mi_QKV_mfma4_kernelI14__hip_bfloat16S0_LN4vllm18Fp8KVCacheDataTypeE0EhLi16ELi128ELi256ELb1ELi1EEvPKT_PKT0_S8_ifPKiSA_SA_iPKfiiiPfSD_PS3_PT2_iSC_SC_: ; @_Z38paged_attention_ll4mi_QKV_mfma4_kernelI14__hip_bfloat16S0_LN4vllm18Fp8KVCacheDataTypeE0EhLi16ELi128ELi256ELb1ELi1EEvPKT_PKT0_S8_ifPKiSA_SA_iPKfiiiPfSD_PS3_PT2_iSC_SC_
; %bb.0:
	s_add_u32 s8, s0, 0x90
	s_addc_u32 s9, s1, 0
	s_getpc_b64 s[0:1]
	s_add_u32 s0, s0, __PRETTY_FUNCTION__._Z38paged_attention_ll4mi_QKV_mfma4_kernelI14__hip_bfloat16S0_LN4vllm18Fp8KVCacheDataTypeE0EhLi16ELi128ELi256ELb1ELi1EEvPKT_PKT0_S8_ifPKiSA_SA_iPKfiiiPfSD_PS3_PT2_iSC_SC_@rel32@lo+4
	s_addc_u32 s1, s1, __PRETTY_FUNCTION__._Z38paged_attention_ll4mi_QKV_mfma4_kernelI14__hip_bfloat16S0_LN4vllm18Fp8KVCacheDataTypeE0EhLi16ELi128ELi256ELb1ELi1EEvPKT_PKT0_S8_ifPKiSA_SA_iPKfiiiPfSD_PS3_PT2_iSC_SC_@rel32@hi+12
	s_delay_alu instid0(SALU_CYCLE_1) | instskip(SKIP_4) | instid1(SALU_CYCLE_1)
	v_dual_mov_b32 v0, s0 :: v_dual_mov_b32 v1, s1
	s_mov_b32 s32, 0
	s_getpc_b64 s[2:3]
	s_add_u32 s2, s2, __assert_fail@rel32@lo+4
	s_addc_u32 s3, s3, __assert_fail@rel32@hi+12
	s_swappc_b64 s[30:31], s[2:3]
	.section	.rodata,"a",@progbits
	.p2align	6, 0x0
	.amdhsa_kernel _Z38paged_attention_ll4mi_QKV_mfma4_kernelI14__hip_bfloat16S0_LN4vllm18Fp8KVCacheDataTypeE0EhLi16ELi128ELi256ELb1ELi1EEvPKT_PKT0_S8_ifPKiSA_SA_iPKfiiiPfSD_PS3_PT2_iSC_SC_
		.amdhsa_group_segment_fixed_size 0
		.amdhsa_private_segment_fixed_size 64
		.amdhsa_kernarg_size 400
		.amdhsa_user_sgpr_count 15
		.amdhsa_user_sgpr_dispatch_ptr 0
		.amdhsa_user_sgpr_queue_ptr 0
		.amdhsa_user_sgpr_kernarg_segment_ptr 1
		.amdhsa_user_sgpr_dispatch_id 0
		.amdhsa_user_sgpr_private_segment_size 0
		.amdhsa_wavefront_size32 1
		.amdhsa_uses_dynamic_stack 0
		.amdhsa_enable_private_segment 1
		.amdhsa_system_sgpr_workgroup_id_x 1
		.amdhsa_system_sgpr_workgroup_id_y 0
		.amdhsa_system_sgpr_workgroup_id_z 0
		.amdhsa_system_sgpr_workgroup_info 0
		.amdhsa_system_vgpr_workitem_id 0
		.amdhsa_next_free_vgpr 41
		.amdhsa_next_free_sgpr 34
		.amdhsa_reserve_vcc 1
		.amdhsa_float_round_mode_32 0
		.amdhsa_float_round_mode_16_64 0
		.amdhsa_float_denorm_mode_32 3
		.amdhsa_float_denorm_mode_16_64 3
		.amdhsa_dx10_clamp 1
		.amdhsa_ieee_mode 1
		.amdhsa_fp16_overflow 0
		.amdhsa_workgroup_processor_mode 1
		.amdhsa_memory_ordered 1
		.amdhsa_forward_progress 0
		.amdhsa_shared_vgpr_count 0
		.amdhsa_exception_fp_ieee_invalid_op 0
		.amdhsa_exception_fp_denorm_src 0
		.amdhsa_exception_fp_ieee_div_zero 0
		.amdhsa_exception_fp_ieee_overflow 0
		.amdhsa_exception_fp_ieee_underflow 0
		.amdhsa_exception_fp_ieee_inexact 0
		.amdhsa_exception_int_div_zero 0
	.end_amdhsa_kernel
	.section	.text._Z38paged_attention_ll4mi_QKV_mfma4_kernelI14__hip_bfloat16S0_LN4vllm18Fp8KVCacheDataTypeE0EhLi16ELi128ELi256ELb1ELi1EEvPKT_PKT0_S8_ifPKiSA_SA_iPKfiiiPfSD_PS3_PT2_iSC_SC_,"axG",@progbits,_Z38paged_attention_ll4mi_QKV_mfma4_kernelI14__hip_bfloat16S0_LN4vllm18Fp8KVCacheDataTypeE0EhLi16ELi128ELi256ELb1ELi1EEvPKT_PKT0_S8_ifPKiSA_SA_iPKfiiiPfSD_PS3_PT2_iSC_SC_,comdat
.Lfunc_end578:
	.size	_Z38paged_attention_ll4mi_QKV_mfma4_kernelI14__hip_bfloat16S0_LN4vllm18Fp8KVCacheDataTypeE0EhLi16ELi128ELi256ELb1ELi1EEvPKT_PKT0_S8_ifPKiSA_SA_iPKfiiiPfSD_PS3_PT2_iSC_SC_, .Lfunc_end578-_Z38paged_attention_ll4mi_QKV_mfma4_kernelI14__hip_bfloat16S0_LN4vllm18Fp8KVCacheDataTypeE0EhLi16ELi128ELi256ELb1ELi1EEvPKT_PKT0_S8_ifPKiSA_SA_iPKfiiiPfSD_PS3_PT2_iSC_SC_
                                        ; -- End function
	.section	.AMDGPU.csdata,"",@progbits
; Kernel info:
; codeLenInByte = 72
; NumSgprs: 36
; NumVgprs: 41
; ScratchSize: 64
; MemoryBound: 0
; FloatMode: 240
; IeeeMode: 1
; LDSByteSize: 0 bytes/workgroup (compile time only)
; SGPRBlocks: 4
; VGPRBlocks: 5
; NumSGPRsForWavesPerEU: 36
; NumVGPRsForWavesPerEU: 41
; Occupancy: 16
; WaveLimiterHint : 1
; COMPUTE_PGM_RSRC2:SCRATCH_EN: 1
; COMPUTE_PGM_RSRC2:USER_SGPR: 15
; COMPUTE_PGM_RSRC2:TRAP_HANDLER: 0
; COMPUTE_PGM_RSRC2:TGID_X_EN: 1
; COMPUTE_PGM_RSRC2:TGID_Y_EN: 0
; COMPUTE_PGM_RSRC2:TGID_Z_EN: 0
; COMPUTE_PGM_RSRC2:TIDIG_COMP_CNT: 0
	.section	.text._Z38paged_attention_ll4mi_QKV_mfma4_kernelI14__hip_bfloat16S0_LN4vllm18Fp8KVCacheDataTypeE0EhLi16ELi128ELi256ELb1ELi2EEvPKT_PKT0_S8_ifPKiSA_SA_iPKfiiiPfSD_PS3_PT2_iSC_SC_,"axG",@progbits,_Z38paged_attention_ll4mi_QKV_mfma4_kernelI14__hip_bfloat16S0_LN4vllm18Fp8KVCacheDataTypeE0EhLi16ELi128ELi256ELb1ELi2EEvPKT_PKT0_S8_ifPKiSA_SA_iPKfiiiPfSD_PS3_PT2_iSC_SC_,comdat
	.protected	_Z38paged_attention_ll4mi_QKV_mfma4_kernelI14__hip_bfloat16S0_LN4vllm18Fp8KVCacheDataTypeE0EhLi16ELi128ELi256ELb1ELi2EEvPKT_PKT0_S8_ifPKiSA_SA_iPKfiiiPfSD_PS3_PT2_iSC_SC_ ; -- Begin function _Z38paged_attention_ll4mi_QKV_mfma4_kernelI14__hip_bfloat16S0_LN4vllm18Fp8KVCacheDataTypeE0EhLi16ELi128ELi256ELb1ELi2EEvPKT_PKT0_S8_ifPKiSA_SA_iPKfiiiPfSD_PS3_PT2_iSC_SC_
	.globl	_Z38paged_attention_ll4mi_QKV_mfma4_kernelI14__hip_bfloat16S0_LN4vllm18Fp8KVCacheDataTypeE0EhLi16ELi128ELi256ELb1ELi2EEvPKT_PKT0_S8_ifPKiSA_SA_iPKfiiiPfSD_PS3_PT2_iSC_SC_
	.p2align	8
	.type	_Z38paged_attention_ll4mi_QKV_mfma4_kernelI14__hip_bfloat16S0_LN4vllm18Fp8KVCacheDataTypeE0EhLi16ELi128ELi256ELb1ELi2EEvPKT_PKT0_S8_ifPKiSA_SA_iPKfiiiPfSD_PS3_PT2_iSC_SC_,@function
_Z38paged_attention_ll4mi_QKV_mfma4_kernelI14__hip_bfloat16S0_LN4vllm18Fp8KVCacheDataTypeE0EhLi16ELi128ELi256ELb1ELi2EEvPKT_PKT0_S8_ifPKiSA_SA_iPKfiiiPfSD_PS3_PT2_iSC_SC_: ; @_Z38paged_attention_ll4mi_QKV_mfma4_kernelI14__hip_bfloat16S0_LN4vllm18Fp8KVCacheDataTypeE0EhLi16ELi128ELi256ELb1ELi2EEvPKT_PKT0_S8_ifPKiSA_SA_iPKfiiiPfSD_PS3_PT2_iSC_SC_
; %bb.0:
	s_add_u32 s8, s0, 0x90
	s_addc_u32 s9, s1, 0
	s_getpc_b64 s[0:1]
	s_add_u32 s0, s0, __PRETTY_FUNCTION__._Z38paged_attention_ll4mi_QKV_mfma4_kernelI14__hip_bfloat16S0_LN4vllm18Fp8KVCacheDataTypeE0EhLi16ELi128ELi256ELb1ELi2EEvPKT_PKT0_S8_ifPKiSA_SA_iPKfiiiPfSD_PS3_PT2_iSC_SC_@rel32@lo+4
	s_addc_u32 s1, s1, __PRETTY_FUNCTION__._Z38paged_attention_ll4mi_QKV_mfma4_kernelI14__hip_bfloat16S0_LN4vllm18Fp8KVCacheDataTypeE0EhLi16ELi128ELi256ELb1ELi2EEvPKT_PKT0_S8_ifPKiSA_SA_iPKfiiiPfSD_PS3_PT2_iSC_SC_@rel32@hi+12
	s_delay_alu instid0(SALU_CYCLE_1) | instskip(SKIP_4) | instid1(SALU_CYCLE_1)
	v_dual_mov_b32 v0, s0 :: v_dual_mov_b32 v1, s1
	s_mov_b32 s32, 0
	s_getpc_b64 s[2:3]
	s_add_u32 s2, s2, __assert_fail@rel32@lo+4
	s_addc_u32 s3, s3, __assert_fail@rel32@hi+12
	s_swappc_b64 s[30:31], s[2:3]
	.section	.rodata,"a",@progbits
	.p2align	6, 0x0
	.amdhsa_kernel _Z38paged_attention_ll4mi_QKV_mfma4_kernelI14__hip_bfloat16S0_LN4vllm18Fp8KVCacheDataTypeE0EhLi16ELi128ELi256ELb1ELi2EEvPKT_PKT0_S8_ifPKiSA_SA_iPKfiiiPfSD_PS3_PT2_iSC_SC_
		.amdhsa_group_segment_fixed_size 0
		.amdhsa_private_segment_fixed_size 64
		.amdhsa_kernarg_size 400
		.amdhsa_user_sgpr_count 15
		.amdhsa_user_sgpr_dispatch_ptr 0
		.amdhsa_user_sgpr_queue_ptr 0
		.amdhsa_user_sgpr_kernarg_segment_ptr 1
		.amdhsa_user_sgpr_dispatch_id 0
		.amdhsa_user_sgpr_private_segment_size 0
		.amdhsa_wavefront_size32 1
		.amdhsa_uses_dynamic_stack 0
		.amdhsa_enable_private_segment 1
		.amdhsa_system_sgpr_workgroup_id_x 1
		.amdhsa_system_sgpr_workgroup_id_y 0
		.amdhsa_system_sgpr_workgroup_id_z 0
		.amdhsa_system_sgpr_workgroup_info 0
		.amdhsa_system_vgpr_workitem_id 0
		.amdhsa_next_free_vgpr 41
		.amdhsa_next_free_sgpr 34
		.amdhsa_reserve_vcc 1
		.amdhsa_float_round_mode_32 0
		.amdhsa_float_round_mode_16_64 0
		.amdhsa_float_denorm_mode_32 3
		.amdhsa_float_denorm_mode_16_64 3
		.amdhsa_dx10_clamp 1
		.amdhsa_ieee_mode 1
		.amdhsa_fp16_overflow 0
		.amdhsa_workgroup_processor_mode 1
		.amdhsa_memory_ordered 1
		.amdhsa_forward_progress 0
		.amdhsa_shared_vgpr_count 0
		.amdhsa_exception_fp_ieee_invalid_op 0
		.amdhsa_exception_fp_denorm_src 0
		.amdhsa_exception_fp_ieee_div_zero 0
		.amdhsa_exception_fp_ieee_overflow 0
		.amdhsa_exception_fp_ieee_underflow 0
		.amdhsa_exception_fp_ieee_inexact 0
		.amdhsa_exception_int_div_zero 0
	.end_amdhsa_kernel
	.section	.text._Z38paged_attention_ll4mi_QKV_mfma4_kernelI14__hip_bfloat16S0_LN4vllm18Fp8KVCacheDataTypeE0EhLi16ELi128ELi256ELb1ELi2EEvPKT_PKT0_S8_ifPKiSA_SA_iPKfiiiPfSD_PS3_PT2_iSC_SC_,"axG",@progbits,_Z38paged_attention_ll4mi_QKV_mfma4_kernelI14__hip_bfloat16S0_LN4vllm18Fp8KVCacheDataTypeE0EhLi16ELi128ELi256ELb1ELi2EEvPKT_PKT0_S8_ifPKiSA_SA_iPKfiiiPfSD_PS3_PT2_iSC_SC_,comdat
.Lfunc_end579:
	.size	_Z38paged_attention_ll4mi_QKV_mfma4_kernelI14__hip_bfloat16S0_LN4vllm18Fp8KVCacheDataTypeE0EhLi16ELi128ELi256ELb1ELi2EEvPKT_PKT0_S8_ifPKiSA_SA_iPKfiiiPfSD_PS3_PT2_iSC_SC_, .Lfunc_end579-_Z38paged_attention_ll4mi_QKV_mfma4_kernelI14__hip_bfloat16S0_LN4vllm18Fp8KVCacheDataTypeE0EhLi16ELi128ELi256ELb1ELi2EEvPKT_PKT0_S8_ifPKiSA_SA_iPKfiiiPfSD_PS3_PT2_iSC_SC_
                                        ; -- End function
	.section	.AMDGPU.csdata,"",@progbits
; Kernel info:
; codeLenInByte = 72
; NumSgprs: 36
; NumVgprs: 41
; ScratchSize: 64
; MemoryBound: 0
; FloatMode: 240
; IeeeMode: 1
; LDSByteSize: 0 bytes/workgroup (compile time only)
; SGPRBlocks: 4
; VGPRBlocks: 5
; NumSGPRsForWavesPerEU: 36
; NumVGPRsForWavesPerEU: 41
; Occupancy: 16
; WaveLimiterHint : 1
; COMPUTE_PGM_RSRC2:SCRATCH_EN: 1
; COMPUTE_PGM_RSRC2:USER_SGPR: 15
; COMPUTE_PGM_RSRC2:TRAP_HANDLER: 0
; COMPUTE_PGM_RSRC2:TGID_X_EN: 1
; COMPUTE_PGM_RSRC2:TGID_Y_EN: 0
; COMPUTE_PGM_RSRC2:TGID_Z_EN: 0
; COMPUTE_PGM_RSRC2:TIDIG_COMP_CNT: 0
	.section	.text._Z38paged_attention_ll4mi_QKV_mfma4_kernelI14__hip_bfloat16S0_LN4vllm18Fp8KVCacheDataTypeE0EhLi16ELi128ELi256ELb1ELi3EEvPKT_PKT0_S8_ifPKiSA_SA_iPKfiiiPfSD_PS3_PT2_iSC_SC_,"axG",@progbits,_Z38paged_attention_ll4mi_QKV_mfma4_kernelI14__hip_bfloat16S0_LN4vllm18Fp8KVCacheDataTypeE0EhLi16ELi128ELi256ELb1ELi3EEvPKT_PKT0_S8_ifPKiSA_SA_iPKfiiiPfSD_PS3_PT2_iSC_SC_,comdat
	.protected	_Z38paged_attention_ll4mi_QKV_mfma4_kernelI14__hip_bfloat16S0_LN4vllm18Fp8KVCacheDataTypeE0EhLi16ELi128ELi256ELb1ELi3EEvPKT_PKT0_S8_ifPKiSA_SA_iPKfiiiPfSD_PS3_PT2_iSC_SC_ ; -- Begin function _Z38paged_attention_ll4mi_QKV_mfma4_kernelI14__hip_bfloat16S0_LN4vllm18Fp8KVCacheDataTypeE0EhLi16ELi128ELi256ELb1ELi3EEvPKT_PKT0_S8_ifPKiSA_SA_iPKfiiiPfSD_PS3_PT2_iSC_SC_
	.globl	_Z38paged_attention_ll4mi_QKV_mfma4_kernelI14__hip_bfloat16S0_LN4vllm18Fp8KVCacheDataTypeE0EhLi16ELi128ELi256ELb1ELi3EEvPKT_PKT0_S8_ifPKiSA_SA_iPKfiiiPfSD_PS3_PT2_iSC_SC_
	.p2align	8
	.type	_Z38paged_attention_ll4mi_QKV_mfma4_kernelI14__hip_bfloat16S0_LN4vllm18Fp8KVCacheDataTypeE0EhLi16ELi128ELi256ELb1ELi3EEvPKT_PKT0_S8_ifPKiSA_SA_iPKfiiiPfSD_PS3_PT2_iSC_SC_,@function
_Z38paged_attention_ll4mi_QKV_mfma4_kernelI14__hip_bfloat16S0_LN4vllm18Fp8KVCacheDataTypeE0EhLi16ELi128ELi256ELb1ELi3EEvPKT_PKT0_S8_ifPKiSA_SA_iPKfiiiPfSD_PS3_PT2_iSC_SC_: ; @_Z38paged_attention_ll4mi_QKV_mfma4_kernelI14__hip_bfloat16S0_LN4vllm18Fp8KVCacheDataTypeE0EhLi16ELi128ELi256ELb1ELi3EEvPKT_PKT0_S8_ifPKiSA_SA_iPKfiiiPfSD_PS3_PT2_iSC_SC_
; %bb.0:
	s_add_u32 s8, s0, 0x90
	s_addc_u32 s9, s1, 0
	s_getpc_b64 s[0:1]
	s_add_u32 s0, s0, __PRETTY_FUNCTION__._Z38paged_attention_ll4mi_QKV_mfma4_kernelI14__hip_bfloat16S0_LN4vllm18Fp8KVCacheDataTypeE0EhLi16ELi128ELi256ELb1ELi3EEvPKT_PKT0_S8_ifPKiSA_SA_iPKfiiiPfSD_PS3_PT2_iSC_SC_@rel32@lo+4
	s_addc_u32 s1, s1, __PRETTY_FUNCTION__._Z38paged_attention_ll4mi_QKV_mfma4_kernelI14__hip_bfloat16S0_LN4vllm18Fp8KVCacheDataTypeE0EhLi16ELi128ELi256ELb1ELi3EEvPKT_PKT0_S8_ifPKiSA_SA_iPKfiiiPfSD_PS3_PT2_iSC_SC_@rel32@hi+12
	s_delay_alu instid0(SALU_CYCLE_1) | instskip(SKIP_4) | instid1(SALU_CYCLE_1)
	v_dual_mov_b32 v0, s0 :: v_dual_mov_b32 v1, s1
	s_mov_b32 s32, 0
	s_getpc_b64 s[2:3]
	s_add_u32 s2, s2, __assert_fail@rel32@lo+4
	s_addc_u32 s3, s3, __assert_fail@rel32@hi+12
	s_swappc_b64 s[30:31], s[2:3]
	.section	.rodata,"a",@progbits
	.p2align	6, 0x0
	.amdhsa_kernel _Z38paged_attention_ll4mi_QKV_mfma4_kernelI14__hip_bfloat16S0_LN4vllm18Fp8KVCacheDataTypeE0EhLi16ELi128ELi256ELb1ELi3EEvPKT_PKT0_S8_ifPKiSA_SA_iPKfiiiPfSD_PS3_PT2_iSC_SC_
		.amdhsa_group_segment_fixed_size 0
		.amdhsa_private_segment_fixed_size 64
		.amdhsa_kernarg_size 400
		.amdhsa_user_sgpr_count 15
		.amdhsa_user_sgpr_dispatch_ptr 0
		.amdhsa_user_sgpr_queue_ptr 0
		.amdhsa_user_sgpr_kernarg_segment_ptr 1
		.amdhsa_user_sgpr_dispatch_id 0
		.amdhsa_user_sgpr_private_segment_size 0
		.amdhsa_wavefront_size32 1
		.amdhsa_uses_dynamic_stack 0
		.amdhsa_enable_private_segment 1
		.amdhsa_system_sgpr_workgroup_id_x 1
		.amdhsa_system_sgpr_workgroup_id_y 0
		.amdhsa_system_sgpr_workgroup_id_z 0
		.amdhsa_system_sgpr_workgroup_info 0
		.amdhsa_system_vgpr_workitem_id 0
		.amdhsa_next_free_vgpr 41
		.amdhsa_next_free_sgpr 34
		.amdhsa_reserve_vcc 1
		.amdhsa_float_round_mode_32 0
		.amdhsa_float_round_mode_16_64 0
		.amdhsa_float_denorm_mode_32 3
		.amdhsa_float_denorm_mode_16_64 3
		.amdhsa_dx10_clamp 1
		.amdhsa_ieee_mode 1
		.amdhsa_fp16_overflow 0
		.amdhsa_workgroup_processor_mode 1
		.amdhsa_memory_ordered 1
		.amdhsa_forward_progress 0
		.amdhsa_shared_vgpr_count 0
		.amdhsa_exception_fp_ieee_invalid_op 0
		.amdhsa_exception_fp_denorm_src 0
		.amdhsa_exception_fp_ieee_div_zero 0
		.amdhsa_exception_fp_ieee_overflow 0
		.amdhsa_exception_fp_ieee_underflow 0
		.amdhsa_exception_fp_ieee_inexact 0
		.amdhsa_exception_int_div_zero 0
	.end_amdhsa_kernel
	.section	.text._Z38paged_attention_ll4mi_QKV_mfma4_kernelI14__hip_bfloat16S0_LN4vllm18Fp8KVCacheDataTypeE0EhLi16ELi128ELi256ELb1ELi3EEvPKT_PKT0_S8_ifPKiSA_SA_iPKfiiiPfSD_PS3_PT2_iSC_SC_,"axG",@progbits,_Z38paged_attention_ll4mi_QKV_mfma4_kernelI14__hip_bfloat16S0_LN4vllm18Fp8KVCacheDataTypeE0EhLi16ELi128ELi256ELb1ELi3EEvPKT_PKT0_S8_ifPKiSA_SA_iPKfiiiPfSD_PS3_PT2_iSC_SC_,comdat
.Lfunc_end580:
	.size	_Z38paged_attention_ll4mi_QKV_mfma4_kernelI14__hip_bfloat16S0_LN4vllm18Fp8KVCacheDataTypeE0EhLi16ELi128ELi256ELb1ELi3EEvPKT_PKT0_S8_ifPKiSA_SA_iPKfiiiPfSD_PS3_PT2_iSC_SC_, .Lfunc_end580-_Z38paged_attention_ll4mi_QKV_mfma4_kernelI14__hip_bfloat16S0_LN4vllm18Fp8KVCacheDataTypeE0EhLi16ELi128ELi256ELb1ELi3EEvPKT_PKT0_S8_ifPKiSA_SA_iPKfiiiPfSD_PS3_PT2_iSC_SC_
                                        ; -- End function
	.section	.AMDGPU.csdata,"",@progbits
; Kernel info:
; codeLenInByte = 72
; NumSgprs: 36
; NumVgprs: 41
; ScratchSize: 64
; MemoryBound: 0
; FloatMode: 240
; IeeeMode: 1
; LDSByteSize: 0 bytes/workgroup (compile time only)
; SGPRBlocks: 4
; VGPRBlocks: 5
; NumSGPRsForWavesPerEU: 36
; NumVGPRsForWavesPerEU: 41
; Occupancy: 16
; WaveLimiterHint : 1
; COMPUTE_PGM_RSRC2:SCRATCH_EN: 1
; COMPUTE_PGM_RSRC2:USER_SGPR: 15
; COMPUTE_PGM_RSRC2:TRAP_HANDLER: 0
; COMPUTE_PGM_RSRC2:TGID_X_EN: 1
; COMPUTE_PGM_RSRC2:TGID_Y_EN: 0
; COMPUTE_PGM_RSRC2:TGID_Z_EN: 0
; COMPUTE_PGM_RSRC2:TIDIG_COMP_CNT: 0
	.section	.text._Z38paged_attention_ll4mi_QKV_mfma4_kernelI14__hip_bfloat16S0_LN4vllm18Fp8KVCacheDataTypeE0EhLi16ELi128ELi256ELb1ELi4EEvPKT_PKT0_S8_ifPKiSA_SA_iPKfiiiPfSD_PS3_PT2_iSC_SC_,"axG",@progbits,_Z38paged_attention_ll4mi_QKV_mfma4_kernelI14__hip_bfloat16S0_LN4vllm18Fp8KVCacheDataTypeE0EhLi16ELi128ELi256ELb1ELi4EEvPKT_PKT0_S8_ifPKiSA_SA_iPKfiiiPfSD_PS3_PT2_iSC_SC_,comdat
	.protected	_Z38paged_attention_ll4mi_QKV_mfma4_kernelI14__hip_bfloat16S0_LN4vllm18Fp8KVCacheDataTypeE0EhLi16ELi128ELi256ELb1ELi4EEvPKT_PKT0_S8_ifPKiSA_SA_iPKfiiiPfSD_PS3_PT2_iSC_SC_ ; -- Begin function _Z38paged_attention_ll4mi_QKV_mfma4_kernelI14__hip_bfloat16S0_LN4vllm18Fp8KVCacheDataTypeE0EhLi16ELi128ELi256ELb1ELi4EEvPKT_PKT0_S8_ifPKiSA_SA_iPKfiiiPfSD_PS3_PT2_iSC_SC_
	.globl	_Z38paged_attention_ll4mi_QKV_mfma4_kernelI14__hip_bfloat16S0_LN4vllm18Fp8KVCacheDataTypeE0EhLi16ELi128ELi256ELb1ELi4EEvPKT_PKT0_S8_ifPKiSA_SA_iPKfiiiPfSD_PS3_PT2_iSC_SC_
	.p2align	8
	.type	_Z38paged_attention_ll4mi_QKV_mfma4_kernelI14__hip_bfloat16S0_LN4vllm18Fp8KVCacheDataTypeE0EhLi16ELi128ELi256ELb1ELi4EEvPKT_PKT0_S8_ifPKiSA_SA_iPKfiiiPfSD_PS3_PT2_iSC_SC_,@function
_Z38paged_attention_ll4mi_QKV_mfma4_kernelI14__hip_bfloat16S0_LN4vllm18Fp8KVCacheDataTypeE0EhLi16ELi128ELi256ELb1ELi4EEvPKT_PKT0_S8_ifPKiSA_SA_iPKfiiiPfSD_PS3_PT2_iSC_SC_: ; @_Z38paged_attention_ll4mi_QKV_mfma4_kernelI14__hip_bfloat16S0_LN4vllm18Fp8KVCacheDataTypeE0EhLi16ELi128ELi256ELb1ELi4EEvPKT_PKT0_S8_ifPKiSA_SA_iPKfiiiPfSD_PS3_PT2_iSC_SC_
; %bb.0:
	s_add_u32 s8, s0, 0x90
	s_addc_u32 s9, s1, 0
	s_getpc_b64 s[0:1]
	s_add_u32 s0, s0, __PRETTY_FUNCTION__._Z38paged_attention_ll4mi_QKV_mfma4_kernelI14__hip_bfloat16S0_LN4vllm18Fp8KVCacheDataTypeE0EhLi16ELi128ELi256ELb1ELi4EEvPKT_PKT0_S8_ifPKiSA_SA_iPKfiiiPfSD_PS3_PT2_iSC_SC_@rel32@lo+4
	s_addc_u32 s1, s1, __PRETTY_FUNCTION__._Z38paged_attention_ll4mi_QKV_mfma4_kernelI14__hip_bfloat16S0_LN4vllm18Fp8KVCacheDataTypeE0EhLi16ELi128ELi256ELb1ELi4EEvPKT_PKT0_S8_ifPKiSA_SA_iPKfiiiPfSD_PS3_PT2_iSC_SC_@rel32@hi+12
	s_delay_alu instid0(SALU_CYCLE_1) | instskip(SKIP_4) | instid1(SALU_CYCLE_1)
	v_dual_mov_b32 v0, s0 :: v_dual_mov_b32 v1, s1
	s_mov_b32 s32, 0
	s_getpc_b64 s[2:3]
	s_add_u32 s2, s2, __assert_fail@rel32@lo+4
	s_addc_u32 s3, s3, __assert_fail@rel32@hi+12
	s_swappc_b64 s[30:31], s[2:3]
	.section	.rodata,"a",@progbits
	.p2align	6, 0x0
	.amdhsa_kernel _Z38paged_attention_ll4mi_QKV_mfma4_kernelI14__hip_bfloat16S0_LN4vllm18Fp8KVCacheDataTypeE0EhLi16ELi128ELi256ELb1ELi4EEvPKT_PKT0_S8_ifPKiSA_SA_iPKfiiiPfSD_PS3_PT2_iSC_SC_
		.amdhsa_group_segment_fixed_size 0
		.amdhsa_private_segment_fixed_size 64
		.amdhsa_kernarg_size 400
		.amdhsa_user_sgpr_count 15
		.amdhsa_user_sgpr_dispatch_ptr 0
		.amdhsa_user_sgpr_queue_ptr 0
		.amdhsa_user_sgpr_kernarg_segment_ptr 1
		.amdhsa_user_sgpr_dispatch_id 0
		.amdhsa_user_sgpr_private_segment_size 0
		.amdhsa_wavefront_size32 1
		.amdhsa_uses_dynamic_stack 0
		.amdhsa_enable_private_segment 1
		.amdhsa_system_sgpr_workgroup_id_x 1
		.amdhsa_system_sgpr_workgroup_id_y 0
		.amdhsa_system_sgpr_workgroup_id_z 0
		.amdhsa_system_sgpr_workgroup_info 0
		.amdhsa_system_vgpr_workitem_id 0
		.amdhsa_next_free_vgpr 41
		.amdhsa_next_free_sgpr 34
		.amdhsa_reserve_vcc 1
		.amdhsa_float_round_mode_32 0
		.amdhsa_float_round_mode_16_64 0
		.amdhsa_float_denorm_mode_32 3
		.amdhsa_float_denorm_mode_16_64 3
		.amdhsa_dx10_clamp 1
		.amdhsa_ieee_mode 1
		.amdhsa_fp16_overflow 0
		.amdhsa_workgroup_processor_mode 1
		.amdhsa_memory_ordered 1
		.amdhsa_forward_progress 0
		.amdhsa_shared_vgpr_count 0
		.amdhsa_exception_fp_ieee_invalid_op 0
		.amdhsa_exception_fp_denorm_src 0
		.amdhsa_exception_fp_ieee_div_zero 0
		.amdhsa_exception_fp_ieee_overflow 0
		.amdhsa_exception_fp_ieee_underflow 0
		.amdhsa_exception_fp_ieee_inexact 0
		.amdhsa_exception_int_div_zero 0
	.end_amdhsa_kernel
	.section	.text._Z38paged_attention_ll4mi_QKV_mfma4_kernelI14__hip_bfloat16S0_LN4vllm18Fp8KVCacheDataTypeE0EhLi16ELi128ELi256ELb1ELi4EEvPKT_PKT0_S8_ifPKiSA_SA_iPKfiiiPfSD_PS3_PT2_iSC_SC_,"axG",@progbits,_Z38paged_attention_ll4mi_QKV_mfma4_kernelI14__hip_bfloat16S0_LN4vllm18Fp8KVCacheDataTypeE0EhLi16ELi128ELi256ELb1ELi4EEvPKT_PKT0_S8_ifPKiSA_SA_iPKfiiiPfSD_PS3_PT2_iSC_SC_,comdat
.Lfunc_end581:
	.size	_Z38paged_attention_ll4mi_QKV_mfma4_kernelI14__hip_bfloat16S0_LN4vllm18Fp8KVCacheDataTypeE0EhLi16ELi128ELi256ELb1ELi4EEvPKT_PKT0_S8_ifPKiSA_SA_iPKfiiiPfSD_PS3_PT2_iSC_SC_, .Lfunc_end581-_Z38paged_attention_ll4mi_QKV_mfma4_kernelI14__hip_bfloat16S0_LN4vllm18Fp8KVCacheDataTypeE0EhLi16ELi128ELi256ELb1ELi4EEvPKT_PKT0_S8_ifPKiSA_SA_iPKfiiiPfSD_PS3_PT2_iSC_SC_
                                        ; -- End function
	.section	.AMDGPU.csdata,"",@progbits
; Kernel info:
; codeLenInByte = 72
; NumSgprs: 36
; NumVgprs: 41
; ScratchSize: 64
; MemoryBound: 0
; FloatMode: 240
; IeeeMode: 1
; LDSByteSize: 0 bytes/workgroup (compile time only)
; SGPRBlocks: 4
; VGPRBlocks: 5
; NumSGPRsForWavesPerEU: 36
; NumVGPRsForWavesPerEU: 41
; Occupancy: 16
; WaveLimiterHint : 1
; COMPUTE_PGM_RSRC2:SCRATCH_EN: 1
; COMPUTE_PGM_RSRC2:USER_SGPR: 15
; COMPUTE_PGM_RSRC2:TRAP_HANDLER: 0
; COMPUTE_PGM_RSRC2:TGID_X_EN: 1
; COMPUTE_PGM_RSRC2:TGID_Y_EN: 0
; COMPUTE_PGM_RSRC2:TGID_Z_EN: 0
; COMPUTE_PGM_RSRC2:TIDIG_COMP_CNT: 0
	.section	.text._Z39paged_attention_ll4mi_QKV_mfma16_kernelI14__hip_bfloat16S0_LN4vllm18Fp8KVCacheDataTypeE0EhLi16ELi128ELi256ELb1ELi5EL8MFMAType0EEvPKT_PKT0_S9_ifPKiSB_SB_iPKfiiiPfSE_PS4_PT2_iSD_SD_,"axG",@progbits,_Z39paged_attention_ll4mi_QKV_mfma16_kernelI14__hip_bfloat16S0_LN4vllm18Fp8KVCacheDataTypeE0EhLi16ELi128ELi256ELb1ELi5EL8MFMAType0EEvPKT_PKT0_S9_ifPKiSB_SB_iPKfiiiPfSE_PS4_PT2_iSD_SD_,comdat
	.protected	_Z39paged_attention_ll4mi_QKV_mfma16_kernelI14__hip_bfloat16S0_LN4vllm18Fp8KVCacheDataTypeE0EhLi16ELi128ELi256ELb1ELi5EL8MFMAType0EEvPKT_PKT0_S9_ifPKiSB_SB_iPKfiiiPfSE_PS4_PT2_iSD_SD_ ; -- Begin function _Z39paged_attention_ll4mi_QKV_mfma16_kernelI14__hip_bfloat16S0_LN4vllm18Fp8KVCacheDataTypeE0EhLi16ELi128ELi256ELb1ELi5EL8MFMAType0EEvPKT_PKT0_S9_ifPKiSB_SB_iPKfiiiPfSE_PS4_PT2_iSD_SD_
	.globl	_Z39paged_attention_ll4mi_QKV_mfma16_kernelI14__hip_bfloat16S0_LN4vllm18Fp8KVCacheDataTypeE0EhLi16ELi128ELi256ELb1ELi5EL8MFMAType0EEvPKT_PKT0_S9_ifPKiSB_SB_iPKfiiiPfSE_PS4_PT2_iSD_SD_
	.p2align	8
	.type	_Z39paged_attention_ll4mi_QKV_mfma16_kernelI14__hip_bfloat16S0_LN4vllm18Fp8KVCacheDataTypeE0EhLi16ELi128ELi256ELb1ELi5EL8MFMAType0EEvPKT_PKT0_S9_ifPKiSB_SB_iPKfiiiPfSE_PS4_PT2_iSD_SD_,@function
_Z39paged_attention_ll4mi_QKV_mfma16_kernelI14__hip_bfloat16S0_LN4vllm18Fp8KVCacheDataTypeE0EhLi16ELi128ELi256ELb1ELi5EL8MFMAType0EEvPKT_PKT0_S9_ifPKiSB_SB_iPKfiiiPfSE_PS4_PT2_iSD_SD_: ; @_Z39paged_attention_ll4mi_QKV_mfma16_kernelI14__hip_bfloat16S0_LN4vllm18Fp8KVCacheDataTypeE0EhLi16ELi128ELi256ELb1ELi5EL8MFMAType0EEvPKT_PKT0_S9_ifPKiSB_SB_iPKfiiiPfSE_PS4_PT2_iSD_SD_
; %bb.0:
	s_load_b64 s[4:5], s[0:1], 0x30
	s_mov_b32 s30, s13
	s_waitcnt lgkmcnt(0)
	s_cmp_lg_u64 s[4:5], 0
	s_cselect_b32 s8, -1, 0
	s_ashr_i32 s31, s13, 31
	s_cmp_eq_u64 s[4:5], 0
	s_cbranch_scc1 .LBB582_3
; %bb.1:
	s_lshl_b64 s[2:3], s[30:31], 2
	s_delay_alu instid0(SALU_CYCLE_1) | instskip(SKIP_4) | instid1(SALU_CYCLE_1)
	s_add_u32 s2, s4, s2
	s_addc_u32 s3, s5, s3
	s_load_b64 s[2:3], s[2:3], 0x0
	s_waitcnt lgkmcnt(0)
	s_sub_i32 s2, s3, s2
	s_cmp_eq_u32 s2, 1
	s_cselect_b32 s2, -1, 0
	s_delay_alu instid0(SALU_CYCLE_1)
	s_and_not1_b32 vcc_lo, exec_lo, s2
	s_cbranch_vccz .LBB582_4
.LBB582_2:
	s_nop 0
	s_sendmsg sendmsg(MSG_DEALLOC_VGPRS)
	s_endpgm
.LBB582_3:
.LBB582_4:
	s_load_b64 s[2:3], s[0:1], 0x28
	s_lshl_b64 s[6:7], s[30:31], 2
	s_waitcnt lgkmcnt(0)
	s_add_u32 s2, s2, s6
	s_addc_u32 s3, s3, s7
	s_lshl_b32 s29, s14, 8
	s_load_b32 s28, s[2:3], 0x0
	s_waitcnt lgkmcnt(0)
	s_cmp_ge_i32 s29, s28
	s_cbranch_scc1 .LBB582_2
; %bb.5:
	s_clause 0x1
	s_load_b128 s[20:23], s[0:1], 0x8
	s_load_b64 s[2:3], s[0:1], 0x20
	s_and_not1_b32 vcc_lo, exec_lo, s8
	s_cbranch_vccnz .LBB582_7
; %bb.6:
	s_add_u32 s4, s4, s6
	s_addc_u32 s5, s5, s7
	s_load_b32 s5, s[4:5], 0x0
	s_branch .LBB582_8
.LBB582_7:
	s_mov_b32 s5, s30
.LBB582_8:
	s_load_b128 s[16:19], s[0:1], 0x48
	v_and_b32_e32 v140, 15, v0
	v_lshrrev_b32_e32 v141, 5, v0
	v_bfe_u32 v138, v0, 4, 1
	v_and_b32_e32 v142, 31, v0
	v_and_b32_e32 v139, 1, v0
	v_lshlrev_b32_e32 v2, 3, v140
	s_mul_i32 s31, s15, 5
	v_lshl_or_b32 v1, v141, 1, v138
	s_mov_b32 s4, exec_lo
	s_delay_alu instid0(VALU_DEP_2) | instskip(NEXT) | instid1(VALU_DEP_2)
	v_lshlrev_b32_e32 v137, 1, v2
	v_cmpx_gt_u32_e32 5, v1
	s_cbranch_execz .LBB582_10
; %bb.9:
	s_load_b64 s[6:7], s[0:1], 0x0
	v_add_lshl_u32 v2, v1, s31, 7
	s_waitcnt lgkmcnt(0)
	s_mul_hi_i32 s9, s5, s16
	s_mul_i32 s8, s5, s16
	v_lshlrev_b32_e32 v6, 10, v140
	s_lshl_b64 s[8:9], s[8:9], 1
	v_ashrrev_i32_e32 v3, 31, v2
	v_lshlrev_b32_e32 v1, 6, v1
	v_lshlrev_b32_e32 v7, 10, v139
	v_and_b32_e32 v6, 0x3800, v6
	s_delay_alu instid0(VALU_DEP_4) | instskip(NEXT) | instid1(VALU_DEP_2)
	v_lshlrev_b64 v[2:3], 1, v[2:3]
	v_or3_b32 v1, v6, v7, v1
	s_add_u32 s5, s6, s8
	s_addc_u32 s6, s7, s9
	s_delay_alu instid0(VALU_DEP_2) | instskip(NEXT) | instid1(VALU_DEP_3)
	v_add_co_u32 v2, vcc_lo, s5, v2
	v_add_co_ci_u32_e32 v3, vcc_lo, s6, v3, vcc_lo
	s_delay_alu instid0(VALU_DEP_2) | instskip(NEXT) | instid1(VALU_DEP_2)
	v_add_co_u32 v2, vcc_lo, v2, v137
	v_add_co_ci_u32_e32 v3, vcc_lo, 0, v3, vcc_lo
	global_load_b128 v[2:5], v[2:3], off
	s_waitcnt vmcnt(0)
	ds_store_b128 v1, v[2:5]
.LBB582_10:
	s_or_b32 exec_lo, exec_lo, s4
	v_and_b32_e32 v1, 0xef, v0
	s_waitcnt lgkmcnt(0)
	s_add_i32 s5, s28, 15
	s_clause 0x1
	s_load_b32 s4, s[0:1], 0x38
	s_load_b32 s33, s[0:1], 0x1c
	s_ashr_i32 s6, s5, 31
	v_add_nc_u32_e32 v1, s29, v1
	s_lshr_b32 s6, s6, 28
	s_waitcnt lgkmcnt(0)
	s_add_i32 s5, s5, s6
	s_barrier
	v_ashrrev_i32_e32 v2, 31, v1
	v_cmp_gt_i32_e32 vcc_lo, s28, v1
	s_ashr_i32 s16, s5, 4
	buffer_gl0_inv
	s_add_i32 s16, s16, -1
	v_lshrrev_b32_e32 v3, 28, v2
	v_or_b32_e32 v2, 16, v1
	v_mul_lo_u16 v105, v140, 52
	v_lshlrev_b32_e32 v106, 5, v140
	s_delay_alu instid0(VALU_DEP_4) | instskip(NEXT) | instid1(VALU_DEP_4)
	v_add_nc_u32_e32 v4, v1, v3
	v_add_nc_u32_e32 v3, v2, v3
	s_mul_i32 s4, s30, s4
	v_lshrrev_b16 v105, 8, v105
	s_ashr_i32 s5, s4, 31
	v_ashrrev_i32_e32 v4, 4, v4
	v_ashrrev_i32_e32 v3, 4, v3
	s_lshl_b64 s[4:5], s[4:5], 2
	v_mul_lo_u16 v105, v105, 5
	s_add_u32 s34, s2, s4
	v_cndmask_b32_e32 v1, s16, v4, vcc_lo
	v_cmp_gt_i32_e32 vcc_lo, s28, v2
	s_addc_u32 s35, s3, s5
	s_mul_i32 s2, s15, s18
	v_sub_nc_u16 v105, v140, v105
	v_ashrrev_i32_e32 v2, 31, v1
	v_cndmask_b32_e32 v3, s16, v3, vcc_lo
	s_ashr_i32 s3, s2, 31
	v_lshl_or_b32 v125, v141, 9, v106
	s_lshl_b64 s[2:3], s[2:3], 1
	v_lshlrev_b64 v[1:2], 2, v[1:2]
	v_ashrrev_i32_e32 v4, 31, v3
	s_add_u32 s24, s20, s2
	s_addc_u32 s25, s21, s3
	s_lshl_b32 s4, s14, 4
	v_and_b32_e32 v105, 0xff, v105
	v_lshlrev_b64 v[3:4], 2, v[3:4]
	v_add_co_u32 v1, vcc_lo, s34, v1
	v_add_co_ci_u32_e32 v2, vcc_lo, s35, v2, vcc_lo
	s_ashr_i32 s5, s4, 31
	s_delay_alu instid0(VALU_DEP_3) | instskip(NEXT) | instid1(VALU_DEP_4)
	v_add_co_u32 v3, vcc_lo, s34, v3
	v_add_co_ci_u32_e32 v4, vcc_lo, s35, v4, vcc_lo
	s_lshl_b64 s[4:5], s[4:5], 2
	s_clause 0x1
	global_load_b32 v5, v[1:2], off
	global_load_b32 v6, v[3:4], off
	s_add_u32 s4, s34, s4
	s_addc_u32 s5, s35, s5
	s_or_b32 s6, s29, 16
	v_lshlrev_b32_e32 v3, 4, v0
	s_ashr_i32 s7, s6, 4
	s_cmp_lt_i32 s6, s28
	v_lshlrev_b32_e32 v215, 6, v105
	s_cselect_b32 s6, s7, s16
	s_delay_alu instid0(SALU_CYCLE_1) | instskip(NEXT) | instid1(SALU_CYCLE_1)
	s_ashr_i32 s7, s6, 31
	s_lshl_b64 s[6:7], s[6:7], 2
	s_delay_alu instid0(SALU_CYCLE_1) | instskip(SKIP_2) | instid1(SALU_CYCLE_1)
	s_add_u32 s6, s34, s6
	s_addc_u32 s7, s35, s7
	s_or_b32 s8, s29, 32
	s_ashr_i32 s9, s8, 4
	s_cmp_lt_i32 s8, s28
	s_cselect_b32 s8, s9, s16
	s_delay_alu instid0(SALU_CYCLE_1) | instskip(NEXT) | instid1(SALU_CYCLE_1)
	s_ashr_i32 s9, s8, 31
	s_lshl_b64 s[8:9], s[8:9], 2
	s_delay_alu instid0(SALU_CYCLE_1) | instskip(SKIP_2) | instid1(SALU_CYCLE_1)
	s_add_u32 s8, s34, s8
	s_addc_u32 s9, s35, s9
	s_or_b32 s10, s29, 48
	s_ashr_i32 s11, s10, 4
	s_cmp_lt_i32 s10, s28
	s_cselect_b32 s10, s11, s16
	s_delay_alu instid0(SALU_CYCLE_1) | instskip(NEXT) | instid1(SALU_CYCLE_1)
	s_ashr_i32 s11, s10, 31
	s_lshl_b64 s[10:11], s[10:11], 2
	s_delay_alu instid0(SALU_CYCLE_1) | instskip(SKIP_2) | instid1(SALU_CYCLE_1)
	s_add_u32 s10, s34, s10
	s_addc_u32 s11, s35, s11
	s_or_b32 s12, s29, 64
	s_ashr_i32 s13, s12, 4
	s_cmp_lt_i32 s12, s28
	s_cselect_b32 s12, s13, s16
	s_delay_alu instid0(SALU_CYCLE_1) | instskip(NEXT) | instid1(SALU_CYCLE_1)
	s_ashr_i32 s13, s12, 31
	s_lshl_b64 s[12:13], s[12:13], 2
	s_delay_alu instid0(SALU_CYCLE_1) | instskip(SKIP_2) | instid1(SALU_CYCLE_1)
	s_add_u32 s18, s34, s12
	s_addc_u32 s19, s35, s13
	s_or_b32 s12, s29, 0x50
	s_ashr_i32 s13, s12, 4
	s_cmp_lt_i32 s12, s28
	s_cselect_b32 s12, s13, s16
	s_delay_alu instid0(SALU_CYCLE_1) | instskip(NEXT) | instid1(SALU_CYCLE_1)
	s_ashr_i32 s13, s12, 31
	s_lshl_b64 s[12:13], s[12:13], 2
	s_delay_alu instid0(SALU_CYCLE_1)
	s_add_u32 s20, s34, s12
	s_addc_u32 s21, s35, s13
	s_clause 0x5
	s_load_b32 s38, s[4:5], 0x0
	s_load_b32 s37, s[6:7], 0x0
	;; [unrolled: 1-line block ×6, first 2 shown]
	s_waitcnt vmcnt(1)
	v_mad_i64_i32 v[1:2], null, v5, s17, 0
	v_and_b32_e32 v5, 0xf0, v3
	s_waitcnt vmcnt(0)
	v_mad_i64_i32 v[3:4], null, v6, s17, 0
	s_delay_alu instid0(VALU_DEP_2) | instskip(NEXT) | instid1(VALU_DEP_4)
	v_add_co_u32 v5, s4, s24, v5
	v_lshlrev_b64 v[1:2], 1, v[1:2]
	v_add_co_ci_u32_e64 v6, null, s25, 0, s4
	s_delay_alu instid0(VALU_DEP_4) | instskip(SKIP_1) | instid1(VALU_DEP_3)
	v_lshlrev_b64 v[3:4], 1, v[3:4]
	s_or_b32 s4, s29, 0x60
	v_add_co_u32 v121, vcc_lo, v5, v1
	s_delay_alu instid0(VALU_DEP_3) | instskip(NEXT) | instid1(VALU_DEP_3)
	v_add_co_ci_u32_e32 v122, vcc_lo, v6, v2, vcc_lo
	v_add_co_u32 v123, vcc_lo, v5, v3
	s_delay_alu instid0(VALU_DEP_4)
	v_add_co_ci_u32_e32 v124, vcc_lo, v6, v4, vcc_lo
	s_clause 0x19
	global_load_b128 v[89:92], v[121:122], off
	global_load_b128 v[93:96], v[121:122], off offset:256
	global_load_b128 v[97:100], v[123:124], off
	global_load_b128 v[101:104], v[123:124], off offset:256
	global_load_b128 v[81:84], v[121:122], off offset:512
	;; [unrolled: 1-line block ×23, first 2 shown]
	s_ashr_i32 s5, s4, 4
	s_cmp_lt_i32 s4, s28
	ds_load_b128 v[105:108], v215
	ds_load_b128 v[109:112], v215 offset:1024
	s_cselect_b32 s4, s5, s16
	ds_load_b128 v[113:116], v215 offset:2048
	ds_load_b128 v[117:120], v215 offset:3072
	s_ashr_i32 s5, s4, 31
	ds_load_b128 v[143:146], v215 offset:4096
	ds_load_b128 v[147:150], v215 offset:5120
	s_lshl_b64 s[6:7], s[4:5], 2
	ds_load_b128 v[151:154], v215 offset:6144
	ds_load_b128 v[155:158], v215 offset:7168
	s_add_u32 s18, s34, s6
	s_addc_u32 s19, s35, s7
	s_or_b32 s5, s29, 0x70
	ds_load_b128 v[159:162], v215 offset:8192
	ds_load_b128 v[163:166], v215 offset:9216
	s_ashr_i32 s6, s5, 4
	s_cmp_lt_i32 s5, s28
	s_clause 0x1
	global_load_b128 v[167:170], v[123:124], off offset:3072
	global_load_b128 v[171:174], v[123:124], off offset:3328
	s_cselect_b32 s8, s6, s16
	s_mov_b32 s4, 0
	s_ashr_i32 s9, s8, 31
	s_mov_b32 s5, s4
	s_lshl_b64 s[8:9], s[8:9], 2
	s_mov_b32 s6, s4
	s_add_u32 s20, s34, s8
	s_addc_u32 s21, s35, s9
	s_clause 0x1
	s_load_b32 s44, s[18:19], 0x0
	s_load_b32 s45, s[20:21], 0x0
	s_clause 0x3
	global_load_b128 v[175:178], v[121:122], off offset:3584
	global_load_b128 v[179:182], v[121:122], off offset:3840
	;; [unrolled: 1-line block ×4, first 2 shown]
	s_or_b32 s8, s29, 0x80
	s_mov_b32 s7, s4
	s_ashr_i32 s9, s8, 4
	s_cmp_lt_i32 s8, s28
	s_mov_b32 s8, s4
	s_cselect_b32 s10, s9, s16
	s_mov_b32 s9, s4
	s_ashr_i32 s11, s10, 31
	s_delay_alu instid0(SALU_CYCLE_1)
	s_lshl_b64 s[24:25], s[10:11], 2
	s_mov_b32 s10, s4
	s_add_u32 s24, s34, s24
	s_addc_u32 s25, s35, s25
	s_or_b32 s11, s29, 0x90
	s_load_b32 s46, s[24:25], 0x0
	s_ashr_i32 s26, s11, 4
	s_cmp_lt_i32 s11, s28
	s_mov_b32 s11, s4
	s_cselect_b32 s26, s26, s16
	v_mov_b32_e32 v136, s11
	s_ashr_i32 s27, s26, 31
	v_dual_mov_b32 v135, s10 :: v_dual_mov_b32 v134, s9
	v_dual_mov_b32 v133, s8 :: v_dual_mov_b32 v132, s7
	;; [unrolled: 1-line block ×3, first 2 shown]
	v_mov_b32_e32 v129, s4
	s_lshl_b64 s[4:5], s[26:27], 2
	s_waitcnt lgkmcnt(0)
	s_mul_hi_i32 s7, s37, s17
	s_add_u32 s26, s34, s4
	s_addc_u32 s27, s35, s5
	s_or_b32 s4, s29, 0xa0
	s_load_b32 s39, s[26:27], 0x0
	s_ashr_i32 s5, s4, 4
	s_cmp_lt_i32 s4, s28
	s_cselect_b32 s4, s5, s16
	s_delay_alu instid0(SALU_CYCLE_1) | instskip(NEXT) | instid1(SALU_CYCLE_1)
	s_ashr_i32 s5, s4, 31
	s_lshl_b64 s[4:5], s[4:5], 2
	s_delay_alu instid0(SALU_CYCLE_1)
	s_add_u32 s40, s34, s4
	s_addc_u32 s41, s35, s5
	s_or_b32 s4, s29, 0xb0
	s_mul_hi_i32 s5, s38, s17
	s_ashr_i32 s6, s4, 4
	s_cmp_lt_i32 s4, s28
	s_mul_i32 s4, s38, s17
	s_load_b32 s38, s[40:41], 0x0
	s_cselect_b32 s8, s6, s16
	s_mul_i32 s6, s37, s17
	s_ashr_i32 s9, s8, 31
	s_mul_hi_i32 s27, s46, s17
	s_lshl_b64 s[10:11], s[8:9], 2
	s_mul_hi_i32 s9, s36, s17
	s_add_u32 s42, s34, s10
	s_addc_u32 s43, s35, s11
	s_or_b32 s10, s29, 0xc0
	s_mul_i32 s8, s36, s17
	s_ashr_i32 s36, s10, 4
	s_cmp_lt_i32 s10, s28
	s_mul_i32 s26, s46, s17
	s_cselect_b32 s36, s36, s16
	s_mul_hi_i32 s11, s13, s17
	s_ashr_i32 s37, s36, 31
	s_mul_i32 s10, s13, s17
	s_lshl_b64 s[36:37], s[36:37], 2
	s_mul_hi_i32 s13, s12, s17
	s_add_u32 s20, s34, s36
	s_addc_u32 s21, s35, s37
	s_or_b32 s18, s29, 0xd0
	s_mul_i32 s12, s12, s17
	s_ashr_i32 s19, s18, 4
	s_cmp_lt_i32 s18, s28
	s_mul_i32 s18, s15, s17
	s_cselect_b32 s24, s19, s16
	s_mul_hi_i32 s19, s15, s17
	s_ashr_i32 s25, s24, 31
	s_waitcnt lgkmcnt(0)
	s_mul_hi_i32 s41, s39, s17
	s_lshl_b64 s[24:25], s[24:25], 2
	s_delay_alu instid0(SALU_CYCLE_1)
	s_add_u32 s24, s34, s24
	s_addc_u32 s25, s35, s25
	s_or_b32 s40, s29, 0xe0
	s_clause 0x2
	s_load_b32 s37, s[42:43], 0x0
	s_load_b32 s36, s[20:21], 0x0
	;; [unrolled: 1-line block ×3, first 2 shown]
	s_ashr_i32 s47, s40, 4
	s_cmp_lt_i32 s40, s28
	s_mul_hi_i32 s21, s44, s17
	s_cselect_b32 s42, s47, s16
	s_mul_i32 s20, s44, s17
	s_ashr_i32 s43, s42, 31
	s_mul_hi_i32 s25, s45, s17
	s_lshl_b64 s[42:43], s[42:43], 2
	s_mul_i32 s24, s45, s17
	s_add_u32 s42, s34, s42
	s_addc_u32 s43, s35, s43
	s_or_b32 s44, s29, 0xf0
	s_mul_i32 s40, s39, s17
	s_ashr_i32 s46, s44, 4
	s_cmp_lt_i32 s44, s28
	s_mul_hi_i32 s39, s38, s17
	s_cselect_b32 s46, s46, s16
	s_mul_i32 s38, s38, s17
	s_ashr_i32 s47, s46, 31
	s_waitcnt lgkmcnt(0)
	s_mul_hi_i32 s49, s15, s17
	s_lshl_b64 s[46:47], s[46:47], 2
	s_mul_i32 s48, s15, s17
	s_add_u32 s34, s34, s46
	s_addc_u32 s35, s35, s47
	s_add_u32 s15, s22, s2
	s_addc_u32 s16, s23, s3
	v_add_co_u32 v216, s15, s15, v125
	s_delay_alu instid0(VALU_DEP_1) | instskip(SKIP_2) | instid1(VALU_DEP_2)
	v_add_co_ci_u32_e64 v217, null, s16, 0, s15
	s_lshl_b64 s[2:3], s[4:5], 1
	s_lshl_b64 s[4:5], s[6:7], 1
	v_add_co_u32 v125, vcc_lo, v216, s2
	s_delay_alu instid0(VALU_DEP_2)
	v_add_co_ci_u32_e32 v126, vcc_lo, s3, v217, vcc_lo
	v_add_co_u32 v199, vcc_lo, v216, s4
	s_lshl_b64 s[6:7], s[8:9], 1
	v_add_co_ci_u32_e32 v200, vcc_lo, s5, v217, vcc_lo
	s_lshl_b64 s[8:9], s[10:11], 1
	s_lshl_b64 s[10:11], s[12:13], 1
	;; [unrolled: 1-line block ×8, first 2 shown]
	s_mul_hi_i32 s45, s37, s17
	s_mul_i32 s44, s37, s17
	s_mul_hi_i32 s37, s36, s17
	s_lshl_b64 s[38:39], s[44:45], 1
	s_mul_i32 s36, s36, s17
	s_clause 0x1
	s_load_b32 s15, s[42:43], 0x0
	s_load_b32 s16, s[34:35], 0x0
	s_lshl_b64 s[36:37], s[36:37], 1
	s_lshl_b64 s[40:41], s[48:49], 1
	s_waitcnt lgkmcnt(0)
	s_mul_hi_i32 s3, s15, s17
	s_mul_i32 s2, s15, s17
	s_mul_hi_i32 s5, s16, s17
	s_lshl_b64 s[2:3], s[2:3], 1
	s_mul_i32 s4, s16, s17
	s_waitcnt vmcnt(30)
	v_wmma_f32_16x16x16_bf16 v[191:198], v[89:96], v[105:112], v[129:136]
	v_add_co_u32 v89, vcc_lo, v216, s6
	v_add_co_ci_u32_e32 v90, vcc_lo, s7, v217, vcc_lo
	v_add_co_u32 v91, vcc_lo, v216, s8
	v_add_co_ci_u32_e32 v92, vcc_lo, s9, v217, vcc_lo
	;; [unrolled: 2-line block ×5, first 2 shown]
	v_add_co_u32 v205, vcc_lo, v216, s20
	s_waitcnt vmcnt(28)
	v_wmma_f32_16x16x16_bf16 v[129:136], v[97:104], v[105:112], v[129:136]
	v_add_co_ci_u32_e32 v206, vcc_lo, s21, v217, vcc_lo
	v_add_co_u32 v207, vcc_lo, v216, s22
	v_add_co_ci_u32_e32 v208, vcc_lo, s23, v217, vcc_lo
	v_add_co_u32 v209, vcc_lo, v216, s24
	s_waitcnt vmcnt(26)
	v_wmma_f32_16x16x16_bf16 v[191:198], v[81:88], v[113:120], v[191:198]
	s_waitcnt vmcnt(24)
	v_wmma_f32_16x16x16_bf16 v[129:136], v[73:80], v[113:120], v[129:136]
	v_add_co_ci_u32_e32 v210, vcc_lo, s25, v217, vcc_lo
	v_add_co_u32 v211, vcc_lo, v216, s26
	v_add_co_ci_u32_e32 v212, vcc_lo, s27, v217, vcc_lo
	v_add_co_u32 v213, vcc_lo, v216, s38
	s_waitcnt vmcnt(22)
	v_wmma_f32_16x16x16_bf16 v[191:198], v[65:72], v[143:150], v[191:198]
	s_waitcnt vmcnt(20)
	v_wmma_f32_16x16x16_bf16 v[129:136], v[57:64], v[143:150], v[129:136]
	v_add_co_ci_u32_e32 v214, vcc_lo, s39, v217, vcc_lo
	v_add_co_u32 v143, vcc_lo, v216, s36
	s_waitcnt vmcnt(18)
	v_wmma_f32_16x16x16_bf16 v[191:198], v[49:56], v[151:158], v[191:198]
	s_waitcnt vmcnt(16)
	v_wmma_f32_16x16x16_bf16 v[129:136], v[41:48], v[151:158], v[129:136]
	v_add_co_ci_u32_e32 v144, vcc_lo, s37, v217, vcc_lo
	s_clause 0x15
	global_load_b128 v[121:124], v[125:126], off
	global_load_b128 v[125:128], v[125:126], off offset:16
	global_load_b128 v[113:116], v[199:200], off
	global_load_b128 v[117:120], v[199:200], off offset:16
	;; [unrolled: 2-line block ×11, first 2 shown]
	s_waitcnt vmcnt(36)
	v_wmma_f32_16x16x16_bf16 v[191:198], v[17:24], v[159:166], v[191:198]
	s_clause 0x1
	global_load_b128 v[17:20], v[213:214], off
	global_load_b128 v[21:24], v[213:214], off offset:16
	s_waitcnt vmcnt(36)
	v_wmma_f32_16x16x16_bf16 v[129:136], v[1:8], v[159:166], v[129:136]
	s_clause 0x1
	global_load_b128 v[1:4], v[143:144], off
	global_load_b128 v[5:8], v[143:144], off offset:16
	ds_load_b128 v[143:146], v215 offset:10240
	ds_load_b128 v[147:150], v215 offset:11264
	;; [unrolled: 1-line block ×4, first 2 shown]
	v_add_co_u32 v199, vcc_lo, v216, s40
	v_add_co_ci_u32_e32 v200, vcc_lo, s41, v217, vcc_lo
	v_add_co_u32 v159, vcc_lo, v216, s2
	v_add_co_ci_u32_e32 v160, vcc_lo, s3, v217, vcc_lo
	s_lshl_b64 s[2:3], s[4:5], 1
	s_delay_alu instid0(SALU_CYCLE_1)
	v_add_co_u32 v161, vcc_lo, v216, s2
	v_add_co_ci_u32_e32 v162, vcc_lo, s3, v217, vcc_lo
	s_waitcnt vmcnt(36) lgkmcnt(2)
	v_wmma_f32_16x16x16_bf16 v[191:198], v[33:40], v[143:150], v[191:198]
	s_waitcnt vmcnt(34)
	v_wmma_f32_16x16x16_bf16 v[129:136], v[25:32], v[143:150], v[129:136]
	s_clause 0x3
	global_load_b128 v[25:28], v[199:200], off
	global_load_b128 v[29:32], v[199:200], off offset:16
	global_load_b128 v[33:36], v[159:160], off
	global_load_b128 v[37:40], v[159:160], off offset:16
	v_and_b32_e32 v143, 0xe0, v0
	v_mbcnt_lo_u32_b32 v159, -1, 0
	s_waitcnt vmcnt(36) lgkmcnt(0)
	v_wmma_f32_16x16x16_bf16 v[191:198], v[9:16], v[151:158], v[191:198]
	s_clause 0x1
	global_load_b128 v[9:12], v[161:162], off
	global_load_b128 v[13:16], v[161:162], off offset:16
	s_waitcnt vmcnt(36)
	v_wmma_f32_16x16x16_bf16 v[129:136], v[167:174], v[151:158], v[129:136]
	v_add_nc_u32_e32 v160, s29, v143
	ds_load_b128 v[143:146], v215 offset:14336
	ds_load_b128 v[147:150], v215 offset:15360
	v_xor_b32_e32 v151, 16, v159
	s_waitcnt vmcnt(0) lgkmcnt(0)
	s_barrier
	v_or_b32_e32 v152, v160, v138
	buffer_gl0_inv
	v_cmp_gt_i32_e32 vcc_lo, 32, v151
	v_or_b32_e32 v153, 2, v152
	v_or_b32_e32 v154, 4, v152
	;; [unrolled: 1-line block ×5, first 2 shown]
	v_cmp_gt_i32_e64 s2, s28, v153
	v_cmp_gt_i32_e64 s3, s28, v154
	;; [unrolled: 1-line block ×3, first 2 shown]
	v_or_b32_e32 v158, 12, v152
	v_cmp_gt_i32_e64 s5, s28, v156
	v_cmp_gt_i32_e64 s6, s28, v157
	v_wmma_f32_16x16x16_bf16 v[191:198], v[175:182], v[143:150], v[191:198]
	v_wmma_f32_16x16x16_bf16 v[129:136], v[183:190], v[143:150], v[129:136]
	v_cndmask_b32_e32 v151, v159, v151, vcc_lo
	v_cmp_gt_i32_e32 vcc_lo, s28, v152
	v_or_b32_e32 v159, 14, v152
	v_dual_mul_f32 v149, s33, v192 :: v_dual_mul_f32 v150, s33, v191
	v_dual_mul_f32 v147, s33, v194 :: v_dual_mul_f32 v148, s33, v193
	;; [unrolled: 1-line block ×3, first 2 shown]
	s_delay_alu instid0(VALU_DEP_3) | instskip(NEXT) | instid1(VALU_DEP_4)
	v_cndmask_b32_e32 v150, 0xff7fffff, v150, vcc_lo
	v_cndmask_b32_e64 v149, 0xff7fffff, v149, s2
	v_mul_f32_e32 v146, s33, v195
	v_cndmask_b32_e64 v148, 0xff7fffff, v148, s3
	v_cndmask_b32_e64 v147, 0xff7fffff, v147, s4
	v_or_b32_e32 v160, 16, v152
	v_max3_f32 v149, v150, 0xff7fffff, v149
	v_or_b32_e32 v161, 18, v152
	v_dual_mul_f32 v143, s33, v198 :: v_dual_mul_f32 v144, s33, v197
	v_cndmask_b32_e64 v146, 0xff7fffff, v146, s5
	v_cndmask_b32_e64 v145, 0xff7fffff, v145, s6
	v_max3_f32 v147, v149, v148, v147
	v_cmp_gt_i32_e64 s7, s28, v158
	v_cmp_gt_i32_e64 s8, s28, v159
	v_or_b32_e32 v162, 20, v152
	v_or_b32_e32 v163, 22, v152
	v_mul_f32_e32 v175, s33, v129
	v_cndmask_b32_e64 v144, 0xff7fffff, v144, s7
	v_cndmask_b32_e64 v143, 0xff7fffff, v143, s8
	v_max3_f32 v145, v147, v146, v145
	v_cmp_gt_i32_e64 s9, s28, v160
	v_cmp_gt_i32_e64 s10, s28, v161
	v_or_b32_e32 v164, 24, v152
	v_or_b32_e32 v165, 26, v152
	v_dual_mul_f32 v172, s33, v132 :: v_dual_mul_f32 v173, s33, v131
	v_cndmask_b32_e64 v146, 0xff7fffff, v175, s9
	v_cndmask_b32_e64 v147, 0xff7fffff, v174, s10
	v_max3_f32 v143, v145, v144, v143
	v_cmp_gt_i32_e64 s11, s28, v162
	v_cmp_gt_i32_e64 s12, s28, v163
	v_or_b32_e32 v166, 28, v152
	v_or_b32_e32 v167, 30, v152
	v_dual_mul_f32 v170, s33, v134 :: v_dual_mul_f32 v171, s33, v133
	v_cndmask_b32_e64 v144, 0xff7fffff, v173, s11
	v_cndmask_b32_e64 v145, 0xff7fffff, v172, s12
	v_max3_f32 v143, v143, v146, v147
	v_cmp_gt_i32_e64 s13, s28, v164
	v_cmp_gt_i32_e64 s15, s28, v165
	v_dual_mul_f32 v168, s33, v136 :: v_dual_mul_f32 v169, s33, v135
	s_delay_alu instid0(VALU_DEP_4) | instskip(NEXT) | instid1(VALU_DEP_4)
	v_max3_f32 v143, v143, v144, v145
	v_cndmask_b32_e64 v146, 0xff7fffff, v171, s13
	s_delay_alu instid0(VALU_DEP_4) | instskip(SKIP_3) | instid1(VALU_DEP_4)
	v_cndmask_b32_e64 v147, 0xff7fffff, v170, s15
	v_cmp_gt_i32_e64 s16, s28, v166
	v_cmp_gt_i32_e64 s17, s28, v167
	v_lshlrev_b32_e32 v154, 2, v151
	v_max3_f32 v143, v143, v146, v147
	s_delay_alu instid0(VALU_DEP_4) | instskip(NEXT) | instid1(VALU_DEP_4)
	v_cndmask_b32_e64 v144, 0xff7fffff, v169, s16
	v_cndmask_b32_e64 v145, 0xff7fffff, v168, s17
	s_delay_alu instid0(VALU_DEP_1) | instskip(SKIP_3) | instid1(VALU_DEP_1)
	v_max3_f32 v143, v143, v144, v145
	ds_bpermute_b32 v144, v154, v143
	s_waitcnt lgkmcnt(0)
	v_max_f32_e32 v144, v144, v144
	v_max_f32_e32 v153, v143, v144
	s_delay_alu instid0(VALU_DEP_1) | instskip(SKIP_4) | instid1(VALU_DEP_4)
	v_fma_f32 v143, s33, v191, -v153
	v_fma_f32 v144, s33, v192, -v153
	;; [unrolled: 1-line block ×5, first 2 shown]
	v_dual_mul_f32 v143, 0x3fb8aa3b, v143 :: v_dual_mul_f32 v144, 0x3fb8aa3b, v144
	s_delay_alu instid0(VALU_DEP_4) | instskip(SKIP_2) | instid1(VALU_DEP_4)
	v_mul_f32_e32 v130, 0x3fb8aa3b, v130
	v_fma_f32 v132, s33, v132, -v153
	v_mul_f32_e32 v145, 0x3fb8aa3b, v145
	v_exp_f32_e32 v143, v143
	v_exp_f32_e32 v147, v144
	v_fma_f32 v148, s33, v195, -v153
	v_mul_f32_e32 v132, 0x3fb8aa3b, v132
	v_mul_f32_e32 v146, 0x3fb8aa3b, v146
	v_exp_f32_e32 v145, v145
	v_fma_f32 v151, s33, v197, -v153
	v_mul_f32_e32 v148, 0x3fb8aa3b, v148
	v_fma_f32 v134, s33, v134, -v153
	v_exp_f32_e32 v149, v146
	v_cndmask_b32_e32 v144, 0, v143, vcc_lo
	v_fma_f32 v143, s33, v196, -v153
	v_cndmask_b32_e64 v146, 0, v147, s2
	v_exp_f32_e32 v148, v148
	s_delay_alu instid0(VALU_DEP_3) | instskip(NEXT) | instid1(VALU_DEP_3)
	v_dual_mul_f32 v151, 0x3fb8aa3b, v151 :: v_dual_add_f32 v150, 0, v144
	v_dual_mul_f32 v143, 0x3fb8aa3b, v143 :: v_dual_mul_f32 v134, 0x3fb8aa3b, v134
	v_cndmask_b32_e64 v147, 0, v145, s3
	s_delay_alu instid0(TRANS32_DEP_2) | instskip(NEXT) | instid1(VALU_DEP_4)
	v_cndmask_b32_e64 v149, 0, v149, s4
	v_add_f32_e32 v145, v150, v146
	v_fma_f32 v150, s33, v198, -v153
	v_exp_f32_e32 v143, v143
	v_fma_f32 v129, s33, v129, -v153
	v_exp_f32_e32 v155, v151
	s_delay_alu instid0(VALU_DEP_2) | instskip(SKIP_1) | instid1(VALU_DEP_3)
	v_dual_add_f32 v145, v145, v147 :: v_dual_mul_f32 v152, 0x3fb8aa3b, v150
	v_cndmask_b32_e64 v150, 0, v148, s5
	v_mul_f32_e32 v129, 0x3fb8aa3b, v129
	v_fma_f32 v131, s33, v131, -v153
	s_delay_alu instid0(VALU_DEP_4) | instskip(SKIP_1) | instid1(TRANS32_DEP_3)
	v_add_f32_e32 v145, v145, v149
	v_exp_f32_e32 v152, v152
	v_cndmask_b32_e64 v151, 0, v143, s6
	v_exp_f32_e32 v129, v129
	s_delay_alu instid0(TRANS32_DEP_3)
	v_cndmask_b32_e64 v148, 0, v155, s7
	v_add_f32_e32 v143, v145, v150
	v_mul_f32_e32 v131, 0x3fb8aa3b, v131
	v_exp_f32_e32 v130, v130
	v_fma_f32 v133, s33, v133, -v153
	v_fma_f32 v136, s33, v136, -v153
	v_add_f32_e32 v143, v143, v151
	v_cndmask_b32_e64 v152, 0, v152, s8
	v_exp_f32_e32 v145, v131
	v_cndmask_b32_e64 v131, 0, v129, s9
	v_mul_f32_e32 v133, 0x3fb8aa3b, v133
	v_add_f32_e32 v143, v143, v148
	v_cmp_gt_u32_e64 s2, 16, v142
	s_delay_alu instid0(VALU_DEP_2)
	v_add_f32_e32 v129, v143, v152
	v_exp_f32_e32 v143, v132
	v_cndmask_b32_e64 v132, 0, v130, s10
	v_fma_f32 v130, s33, v135, -v153
	v_exp_f32_e32 v135, v133
	v_add_f32_e32 v129, v129, v131
	v_cndmask_b32_e64 v133, 0, v145, s11
	v_exp_f32_e32 v145, v134
	s_delay_alu instid0(VALU_DEP_2) | instskip(NEXT) | instid1(TRANS32_DEP_3)
	v_dual_mul_f32 v130, 0x3fb8aa3b, v130 :: v_dual_add_f32 v129, v129, v132
	v_cndmask_b32_e64 v134, 0, v143, s12
	v_mul_f32_e32 v143, 0x3fb8aa3b, v136
	s_delay_alu instid0(VALU_DEP_3) | instskip(NEXT) | instid1(TRANS32_DEP_3)
	v_exp_f32_e32 v130, v130
	v_cndmask_b32_e64 v135, 0, v135, s13
	v_add_f32_e32 v129, v129, v133
	s_delay_alu instid0(TRANS32_DEP_2) | instskip(SKIP_1) | instid1(VALU_DEP_2)
	v_cndmask_b32_e64 v136, 0, v145, s15
	v_exp_f32_e32 v145, v143
	v_add_f32_e32 v129, v129, v134
	s_waitcnt_depctr 0xfff
	v_cndmask_b32_e64 v143, 0, v130, s16
	v_add_f32_e32 v129, v129, v135
	v_cndmask_b32_e64 v145, 0, v145, s17
	s_delay_alu instid0(VALU_DEP_2) | instskip(NEXT) | instid1(VALU_DEP_1)
	v_add_f32_e32 v129, v129, v136
	v_add_f32_e32 v129, v129, v143
	s_delay_alu instid0(VALU_DEP_1)
	v_add_f32_e32 v129, v129, v145
	ds_bpermute_b32 v130, v154, v129
	s_and_saveexec_b32 s3, s2
	s_cbranch_execz .LBB582_12
; %bb.11:
	v_mul_u32_u24_e32 v142, 0x44, v141
	s_waitcnt lgkmcnt(0)
	v_add_f32_e32 v129, v129, v130
	s_delay_alu instid0(VALU_DEP_2) | instskip(NEXT) | instid1(VALU_DEP_1)
	v_lshl_add_u32 v142, v140, 2, v142
	v_add_nc_u32_e32 v130, 0x4000, v142
	ds_store_2addr_b32 v130, v153, v129 offset1:136
.LBB582_12:
	s_or_b32 exec_lo, exec_lo, s3
	v_lshlrev_b32_e32 v129, 2, v140
	s_waitcnt lgkmcnt(0)
	s_barrier
	buffer_gl0_inv
	v_cmp_eq_u32_e64 s3, 1, v141
	v_add_nc_u32_e32 v142, 0x4000, v129
	ds_load_2addr_b32 v[153:154], v142 offset1:17
	ds_load_2addr_b32 v[155:156], v142 offset0:34 offset1:51
	ds_load_2addr_b32 v[157:158], v142 offset0:68 offset1:85
	;; [unrolled: 1-line block ×4, first 2 shown]
	s_waitcnt lgkmcnt(4)
	v_max3_f32 v129, v153, 0xff7fffff, v154
	s_waitcnt lgkmcnt(3)
	s_delay_alu instid0(VALU_DEP_1) | instskip(SKIP_1) | instid1(VALU_DEP_1)
	v_max3_f32 v129, v129, v155, v156
	s_waitcnt lgkmcnt(2)
	v_max3_f32 v129, v129, v157, v158
	s_waitcnt lgkmcnt(1)
	s_delay_alu instid0(VALU_DEP_1) | instskip(NEXT) | instid1(VALU_DEP_1)
	v_max3_f32 v129, v129, v159, v160
	v_sub_f32_e32 v163, v154, v129
	v_sub_f32_e32 v130, v153, v129
	ds_load_2addr_b32 v[153:154], v142 offset0:170 offset1:187
	v_sub_f32_e32 v155, v155, v129
	v_dual_mul_f32 v163, 0x3fb8aa3b, v163 :: v_dual_mul_f32 v130, 0x3fb8aa3b, v130
	s_delay_alu instid0(VALU_DEP_2) | instskip(NEXT) | instid1(VALU_DEP_2)
	v_mul_f32_e32 v165, 0x3fb8aa3b, v155
	v_exp_f32_e32 v163, v163
	s_delay_alu instid0(VALU_DEP_2)
	v_exp_f32_e32 v164, v130
	v_sub_f32_e32 v130, v156, v129
	ds_load_2addr_b32 v[155:156], v142 offset0:204 offset1:221
	v_exp_f32_e32 v165, v165
	v_mul_f32_e32 v166, 0x3fb8aa3b, v130
	s_waitcnt lgkmcnt(2)
	v_fma_f32 v130, v164, v161, 0
	v_sub_f32_e32 v157, v157, v129
	s_delay_alu instid0(VALU_DEP_3) | instskip(NEXT) | instid1(VALU_DEP_2)
	v_exp_f32_e32 v166, v166
	v_dual_sub_f32 v161, v158, v129 :: v_dual_fmac_f32 v130, v163, v162
	s_waitcnt lgkmcnt(1)
	s_waitcnt_depctr 0xfff
	v_fmac_f32_e32 v130, v165, v153
	v_mul_f32_e32 v167, 0x3fb8aa3b, v157
	ds_load_2addr_b32 v[157:158], v142 offset0:238 offset1:255
	v_sub_f32_e32 v142, v159, v129
	v_dual_sub_f32 v153, v160, v129 :: v_dual_fmac_f32 v130, v166, v154
	v_mul_f32_e32 v159, 0x3fb8aa3b, v161
	v_exp_f32_e32 v161, v167
	s_delay_alu instid0(VALU_DEP_2)
	v_dual_mul_f32 v142, 0x3fb8aa3b, v142 :: v_dual_mul_f32 v153, 0x3fb8aa3b, v153
	s_waitcnt lgkmcnt(0)
	s_barrier
	buffer_gl0_inv
	v_exp_f32_e32 v142, v142
	v_exp_f32_e32 v153, v153
	v_fmac_f32_e32 v130, v161, v155
	v_exp_f32_e32 v159, v159
	s_waitcnt_depctr 0xfff
	v_fmac_f32_e32 v130, v159, v156
	s_delay_alu instid0(VALU_DEP_1) | instskip(NEXT) | instid1(VALU_DEP_1)
	v_fmac_f32_e32 v130, v142, v157
	v_fmac_f32_e32 v130, v153, v158
	s_delay_alu instid0(VALU_DEP_1) | instskip(NEXT) | instid1(VALU_DEP_1)
	v_add_f32_e32 v154, 0x358637bd, v130
	v_div_scale_f32 v155, null, v154, v154, 1.0
	v_div_scale_f32 v158, vcc_lo, 1.0, v154, 1.0
	s_delay_alu instid0(VALU_DEP_2) | instskip(SKIP_2) | instid1(VALU_DEP_1)
	v_rcp_f32_e32 v156, v155
	s_waitcnt_depctr 0xfff
	v_fma_f32 v157, -v155, v156, 1.0
	v_fmac_f32_e32 v156, v157, v156
	v_cndmask_b32_e64 v157, v164, v163, s3
	v_cmp_eq_u32_e64 s3, 2, v141
	s_delay_alu instid0(VALU_DEP_3) | instskip(NEXT) | instid1(VALU_DEP_2)
	v_mul_f32_e32 v160, v158, v156
	v_cndmask_b32_e64 v157, v157, v165, s3
	v_cmp_eq_u32_e64 s3, 3, v141
	s_delay_alu instid0(VALU_DEP_3) | instskip(NEXT) | instid1(VALU_DEP_2)
	v_fma_f32 v162, -v155, v160, v158
	v_cndmask_b32_e64 v157, v157, v166, s3
	v_cmp_eq_u32_e64 s3, 4, v141
	s_delay_alu instid0(VALU_DEP_3) | instskip(NEXT) | instid1(VALU_DEP_2)
	v_fmac_f32_e32 v160, v162, v156
	v_cndmask_b32_e64 v157, v157, v161, s3
	s_delay_alu instid0(VALU_DEP_2) | instskip(SKIP_1) | instid1(VALU_DEP_2)
	v_fma_f32 v155, -v155, v160, v158
	v_cmp_eq_u32_e64 s3, 5, v141
	v_div_fmas_f32 v155, v155, v156, v160
	s_delay_alu instid0(VALU_DEP_2) | instskip(SKIP_2) | instid1(VALU_DEP_3)
	v_cndmask_b32_e64 v157, v157, v159, s3
	v_cmp_eq_u32_e32 vcc_lo, 6, v141
	s_mov_b32 s3, exec_lo
	v_div_fixup_f32 v154, v155, v154, 1.0
	s_delay_alu instid0(VALU_DEP_3) | instskip(SKIP_1) | instid1(VALU_DEP_2)
	v_cndmask_b32_e32 v142, v157, v142, vcc_lo
	v_cmp_eq_u32_e32 vcc_lo, 7, v141
	v_cndmask_b32_e32 v142, v142, v153, vcc_lo
	s_delay_alu instid0(VALU_DEP_1) | instskip(NEXT) | instid1(VALU_DEP_1)
	v_mul_f32_e32 v142, v142, v154
	v_mul_f32_e32 v153, v142, v149
	;; [unrolled: 1-line block ×7, first 2 shown]
	v_dual_mul_f32 v150, v142, v147 :: v_dual_and_b32 v155, 0x7f800000, v154
	v_mul_f32_e32 v149, v142, v146
                                        ; implicit-def: $vgpr146
	s_delay_alu instid0(VALU_DEP_2)
	v_cmpx_ne_u32_e32 0x7f800000, v155
	s_xor_b32 s3, exec_lo, s3
; %bb.13:
	v_bfe_u32 v146, v154, 16, 1
	s_delay_alu instid0(VALU_DEP_1)
	v_add3_u32 v146, v154, v146, 0x7fff
                                        ; implicit-def: $vgpr154
; %bb.14:
	s_and_not1_saveexec_b32 s3, s3
; %bb.15:
	v_and_b32_e32 v146, 0xffff, v154
	v_or_b32_e32 v147, 0x10000, v154
	s_delay_alu instid0(VALU_DEP_2) | instskip(NEXT) | instid1(VALU_DEP_2)
	v_cmp_eq_u32_e32 vcc_lo, 0, v146
	v_cndmask_b32_e32 v146, v147, v154, vcc_lo
; %bb.16:
	s_or_b32 exec_lo, exec_lo, s3
	v_and_b32_e32 v147, 0x7f800000, v149
	s_delay_alu instid0(VALU_DEP_1) | instskip(SKIP_1) | instid1(SALU_CYCLE_1)
	v_cmp_ne_u32_e32 vcc_lo, 0x7f800000, v147
                                        ; implicit-def: $vgpr147
	s_and_saveexec_b32 s3, vcc_lo
	s_xor_b32 s3, exec_lo, s3
; %bb.17:
	v_bfe_u32 v147, v149, 16, 1
	s_delay_alu instid0(VALU_DEP_1)
	v_add3_u32 v147, v149, v147, 0x7fff
                                        ; implicit-def: $vgpr149
; %bb.18:
	s_and_not1_saveexec_b32 s3, s3
; %bb.19:
	v_and_b32_e32 v147, 0xffff, v149
	v_or_b32_e32 v154, 0x10000, v149
	s_delay_alu instid0(VALU_DEP_2) | instskip(NEXT) | instid1(VALU_DEP_2)
	v_cmp_eq_u32_e32 vcc_lo, 0, v147
	v_cndmask_b32_e32 v147, v154, v149, vcc_lo
; %bb.20:
	s_or_b32 exec_lo, exec_lo, s3
	v_and_b32_e32 v149, 0x7f800000, v150
	s_delay_alu instid0(VALU_DEP_1) | instskip(SKIP_1) | instid1(SALU_CYCLE_1)
	v_cmp_ne_u32_e32 vcc_lo, 0x7f800000, v149
                                        ; implicit-def: $vgpr149
	s_and_saveexec_b32 s3, vcc_lo
	s_xor_b32 s3, exec_lo, s3
; %bb.21:
	v_bfe_u32 v149, v150, 16, 1
	s_delay_alu instid0(VALU_DEP_1)
	v_add3_u32 v149, v150, v149, 0x7fff
                                        ; implicit-def: $vgpr150
; %bb.22:
	s_and_not1_saveexec_b32 s3, s3
; %bb.23:
	v_and_b32_e32 v149, 0xffff, v150
	v_or_b32_e32 v154, 0x10000, v150
	s_delay_alu instid0(VALU_DEP_2) | instskip(NEXT) | instid1(VALU_DEP_2)
	v_cmp_eq_u32_e32 vcc_lo, 0, v149
	v_cndmask_b32_e32 v149, v154, v150, vcc_lo
; %bb.24:
	s_or_b32 exec_lo, exec_lo, s3
	v_and_b32_e32 v150, 0x7f800000, v153
	s_delay_alu instid0(VALU_DEP_1) | instskip(SKIP_1) | instid1(SALU_CYCLE_1)
	v_cmp_ne_u32_e32 vcc_lo, 0x7f800000, v150
                                        ; implicit-def: $vgpr150
	s_and_saveexec_b32 s3, vcc_lo
	s_xor_b32 s3, exec_lo, s3
; %bb.25:
	v_bfe_u32 v150, v153, 16, 1
	s_delay_alu instid0(VALU_DEP_1)
	v_add3_u32 v150, v153, v150, 0x7fff
                                        ; implicit-def: $vgpr153
; %bb.26:
	s_and_not1_saveexec_b32 s3, s3
; %bb.27:
	v_and_b32_e32 v150, 0xffff, v153
	v_or_b32_e32 v154, 0x10000, v153
	s_delay_alu instid0(VALU_DEP_2) | instskip(NEXT) | instid1(VALU_DEP_2)
	v_cmp_eq_u32_e32 vcc_lo, 0, v150
	v_cndmask_b32_e32 v150, v154, v153, vcc_lo
; %bb.28:
	s_or_b32 exec_lo, exec_lo, s3
	v_and_b32_e32 v153, 0x7f800000, v152
	s_delay_alu instid0(VALU_DEP_1) | instskip(SKIP_1) | instid1(SALU_CYCLE_1)
	v_cmp_ne_u32_e32 vcc_lo, 0x7f800000, v153
                                        ; implicit-def: $vgpr153
	s_and_saveexec_b32 s3, vcc_lo
	s_xor_b32 s3, exec_lo, s3
; %bb.29:
	v_bfe_u32 v153, v152, 16, 1
	s_delay_alu instid0(VALU_DEP_1)
	v_add3_u32 v153, v152, v153, 0x7fff
                                        ; implicit-def: $vgpr152
; %bb.30:
	s_and_not1_saveexec_b32 s3, s3
; %bb.31:
	v_and_b32_e32 v153, 0xffff, v152
	v_or_b32_e32 v154, 0x10000, v152
	s_delay_alu instid0(VALU_DEP_2) | instskip(NEXT) | instid1(VALU_DEP_2)
	v_cmp_eq_u32_e32 vcc_lo, 0, v153
	v_cndmask_b32_e32 v153, v154, v152, vcc_lo
; %bb.32:
	s_or_b32 exec_lo, exec_lo, s3
	v_and_b32_e32 v152, 0x7f800000, v151
	s_delay_alu instid0(VALU_DEP_1) | instskip(SKIP_1) | instid1(SALU_CYCLE_1)
	v_cmp_ne_u32_e32 vcc_lo, 0x7f800000, v152
                                        ; implicit-def: $vgpr152
	s_and_saveexec_b32 s3, vcc_lo
	s_xor_b32 s3, exec_lo, s3
; %bb.33:
	v_bfe_u32 v152, v151, 16, 1
	s_delay_alu instid0(VALU_DEP_1)
	v_add3_u32 v152, v151, v152, 0x7fff
                                        ; implicit-def: $vgpr151
; %bb.34:
	s_and_not1_saveexec_b32 s3, s3
; %bb.35:
	v_and_b32_e32 v152, 0xffff, v151
	v_or_b32_e32 v154, 0x10000, v151
	s_delay_alu instid0(VALU_DEP_2) | instskip(NEXT) | instid1(VALU_DEP_2)
	v_cmp_eq_u32_e32 vcc_lo, 0, v152
	v_cndmask_b32_e32 v152, v154, v151, vcc_lo
; %bb.36:
	s_or_b32 exec_lo, exec_lo, s3
	v_and_b32_e32 v151, 0x7f800000, v148
	s_delay_alu instid0(VALU_DEP_1) | instskip(SKIP_1) | instid1(SALU_CYCLE_1)
	v_cmp_ne_u32_e32 vcc_lo, 0x7f800000, v151
                                        ; implicit-def: $vgpr151
	s_and_saveexec_b32 s3, vcc_lo
	s_xor_b32 s3, exec_lo, s3
; %bb.37:
	v_bfe_u32 v151, v148, 16, 1
	s_delay_alu instid0(VALU_DEP_1)
	v_add3_u32 v151, v148, v151, 0x7fff
                                        ; implicit-def: $vgpr148
; %bb.38:
	s_and_not1_saveexec_b32 s3, s3
; %bb.39:
	v_and_b32_e32 v151, 0xffff, v148
	v_or_b32_e32 v154, 0x10000, v148
	s_delay_alu instid0(VALU_DEP_2) | instskip(NEXT) | instid1(VALU_DEP_2)
	v_cmp_eq_u32_e32 vcc_lo, 0, v151
	v_cndmask_b32_e32 v151, v154, v148, vcc_lo
; %bb.40:
	s_or_b32 exec_lo, exec_lo, s3
	v_and_b32_e32 v148, 0x7f800000, v144
	s_delay_alu instid0(VALU_DEP_1) | instskip(SKIP_1) | instid1(SALU_CYCLE_1)
	v_cmp_ne_u32_e32 vcc_lo, 0x7f800000, v148
                                        ; implicit-def: $vgpr148
	s_and_saveexec_b32 s3, vcc_lo
	s_xor_b32 s3, exec_lo, s3
; %bb.41:
	v_bfe_u32 v148, v144, 16, 1
	s_delay_alu instid0(VALU_DEP_1)
	v_add3_u32 v148, v144, v148, 0x7fff
                                        ; implicit-def: $vgpr144
; %bb.42:
	s_and_not1_saveexec_b32 s3, s3
; %bb.43:
	v_and_b32_e32 v148, 0xffff, v144
	v_or_b32_e32 v154, 0x10000, v144
	s_delay_alu instid0(VALU_DEP_2) | instskip(NEXT) | instid1(VALU_DEP_2)
	v_cmp_eq_u32_e32 vcc_lo, 0, v148
	v_cndmask_b32_e32 v148, v154, v144, vcc_lo
; %bb.44:
	s_or_b32 exec_lo, exec_lo, s3
	s_load_b64 s[34:35], s[0:1], 0x94
	v_lshlrev_b32_e32 v155, 4, v138
	s_delay_alu instid0(VALU_DEP_2)
	v_perm_b32 v154, v148, v151, 0x7060302
	v_mul_f32_e32 v148, v142, v131
	v_dual_mul_f32 v145, v142, v145 :: v_dual_lshlrev_b32 v144, 6, v140
	v_dual_mul_f32 v143, v142, v143 :: v_dual_lshlrev_b32 v156, 11, v141
	v_perm_b32 v153, v152, v153, 0x7060302
	v_perm_b32 v152, v150, v149, 0x7060302
	;; [unrolled: 1-line block ×3, first 2 shown]
	s_delay_alu instid0(VALU_DEP_4)
	v_or3_b32 v131, v155, v156, v144
	v_mul_f32_e32 v136, v142, v136
	v_dual_mul_f32 v146, v142, v134 :: v_dual_and_b32 v149, 0x7f800000, v148
	v_mul_f32_e32 v135, v142, v135
	v_mul_f32_e32 v147, v142, v133
	;; [unrolled: 1-line block ×3, first 2 shown]
	s_mov_b32 s3, exec_lo
	ds_store_b128 v131, v[151:154]
                                        ; implicit-def: $vgpr132
	v_cmpx_ne_u32_e32 0x7f800000, v149
	s_xor_b32 s3, exec_lo, s3
; %bb.45:
	v_bfe_u32 v132, v148, 16, 1
	s_delay_alu instid0(VALU_DEP_1)
	v_add3_u32 v132, v148, v132, 0x7fff
                                        ; implicit-def: $vgpr148
; %bb.46:
	s_and_not1_saveexec_b32 s3, s3
; %bb.47:
	v_and_b32_e32 v132, 0xffff, v148
	v_or_b32_e32 v133, 0x10000, v148
	s_delay_alu instid0(VALU_DEP_2) | instskip(NEXT) | instid1(VALU_DEP_2)
	v_cmp_eq_u32_e32 vcc_lo, 0, v132
	v_cndmask_b32_e32 v132, v133, v148, vcc_lo
; %bb.48:
	s_or_b32 exec_lo, exec_lo, s3
	v_and_b32_e32 v133, 0x7f800000, v134
	s_delay_alu instid0(VALU_DEP_1) | instskip(SKIP_1) | instid1(SALU_CYCLE_1)
	v_cmp_ne_u32_e32 vcc_lo, 0x7f800000, v133
                                        ; implicit-def: $vgpr133
	s_and_saveexec_b32 s3, vcc_lo
	s_xor_b32 s3, exec_lo, s3
; %bb.49:
	v_bfe_u32 v133, v134, 16, 1
	s_delay_alu instid0(VALU_DEP_1)
	v_add3_u32 v133, v134, v133, 0x7fff
                                        ; implicit-def: $vgpr134
; %bb.50:
	s_and_not1_saveexec_b32 s3, s3
; %bb.51:
	v_and_b32_e32 v133, 0xffff, v134
	v_or_b32_e32 v142, 0x10000, v134
	s_delay_alu instid0(VALU_DEP_2) | instskip(NEXT) | instid1(VALU_DEP_2)
	v_cmp_eq_u32_e32 vcc_lo, 0, v133
	v_cndmask_b32_e32 v133, v142, v134, vcc_lo
; %bb.52:
	s_or_b32 exec_lo, exec_lo, s3
	v_and_b32_e32 v134, 0x7f800000, v147
	s_delay_alu instid0(VALU_DEP_1) | instskip(SKIP_1) | instid1(SALU_CYCLE_1)
	v_cmp_ne_u32_e32 vcc_lo, 0x7f800000, v134
                                        ; implicit-def: $vgpr134
	s_and_saveexec_b32 s3, vcc_lo
	s_xor_b32 s3, exec_lo, s3
; %bb.53:
	v_bfe_u32 v134, v147, 16, 1
	s_delay_alu instid0(VALU_DEP_1)
	v_add3_u32 v134, v147, v134, 0x7fff
                                        ; implicit-def: $vgpr147
; %bb.54:
	s_and_not1_saveexec_b32 s3, s3
; %bb.55:
	v_and_b32_e32 v134, 0xffff, v147
	v_or_b32_e32 v142, 0x10000, v147
	s_delay_alu instid0(VALU_DEP_2) | instskip(NEXT) | instid1(VALU_DEP_2)
	v_cmp_eq_u32_e32 vcc_lo, 0, v134
	v_cndmask_b32_e32 v134, v142, v147, vcc_lo
; %bb.56:
	s_or_b32 exec_lo, exec_lo, s3
	v_and_b32_e32 v142, 0x7f800000, v146
	s_delay_alu instid0(VALU_DEP_1) | instskip(SKIP_1) | instid1(SALU_CYCLE_1)
	v_cmp_ne_u32_e32 vcc_lo, 0x7f800000, v142
                                        ; implicit-def: $vgpr142
	s_and_saveexec_b32 s3, vcc_lo
	s_xor_b32 s3, exec_lo, s3
; %bb.57:
	v_bfe_u32 v142, v146, 16, 1
	s_delay_alu instid0(VALU_DEP_1)
	v_add3_u32 v142, v146, v142, 0x7fff
                                        ; implicit-def: $vgpr146
; %bb.58:
	s_and_not1_saveexec_b32 s3, s3
; %bb.59:
	v_and_b32_e32 v142, 0xffff, v146
	v_or_b32_e32 v147, 0x10000, v146
	s_delay_alu instid0(VALU_DEP_2) | instskip(NEXT) | instid1(VALU_DEP_2)
	v_cmp_eq_u32_e32 vcc_lo, 0, v142
	v_cndmask_b32_e32 v142, v147, v146, vcc_lo
; %bb.60:
	s_or_b32 exec_lo, exec_lo, s3
	v_and_b32_e32 v146, 0x7f800000, v135
	s_delay_alu instid0(VALU_DEP_1) | instskip(SKIP_1) | instid1(SALU_CYCLE_1)
	v_cmp_ne_u32_e32 vcc_lo, 0x7f800000, v146
                                        ; implicit-def: $vgpr146
	s_and_saveexec_b32 s3, vcc_lo
	s_xor_b32 s3, exec_lo, s3
; %bb.61:
	v_bfe_u32 v146, v135, 16, 1
	s_delay_alu instid0(VALU_DEP_1)
	v_add3_u32 v146, v135, v146, 0x7fff
                                        ; implicit-def: $vgpr135
; %bb.62:
	s_and_not1_saveexec_b32 s3, s3
; %bb.63:
	v_and_b32_e32 v146, 0xffff, v135
	v_or_b32_e32 v147, 0x10000, v135
	s_delay_alu instid0(VALU_DEP_2) | instskip(NEXT) | instid1(VALU_DEP_2)
	v_cmp_eq_u32_e32 vcc_lo, 0, v146
	v_cndmask_b32_e32 v146, v147, v135, vcc_lo
; %bb.64:
	s_or_b32 exec_lo, exec_lo, s3
	v_and_b32_e32 v135, 0x7f800000, v136
	s_delay_alu instid0(VALU_DEP_1) | instskip(SKIP_1) | instid1(SALU_CYCLE_1)
	v_cmp_ne_u32_e32 vcc_lo, 0x7f800000, v135
                                        ; implicit-def: $vgpr135
	s_and_saveexec_b32 s3, vcc_lo
	s_xor_b32 s3, exec_lo, s3
; %bb.65:
	v_bfe_u32 v135, v136, 16, 1
	s_delay_alu instid0(VALU_DEP_1)
	v_add3_u32 v135, v136, v135, 0x7fff
                                        ; implicit-def: $vgpr136
; %bb.66:
	s_and_not1_saveexec_b32 s3, s3
; %bb.67:
	v_and_b32_e32 v135, 0xffff, v136
	v_or_b32_e32 v147, 0x10000, v136
	s_delay_alu instid0(VALU_DEP_2) | instskip(NEXT) | instid1(VALU_DEP_2)
	v_cmp_eq_u32_e32 vcc_lo, 0, v135
	v_cndmask_b32_e32 v135, v147, v136, vcc_lo
; %bb.68:
	s_or_b32 exec_lo, exec_lo, s3
	v_and_b32_e32 v136, 0x7f800000, v143
	s_delay_alu instid0(VALU_DEP_1) | instskip(SKIP_1) | instid1(SALU_CYCLE_1)
	v_cmp_ne_u32_e32 vcc_lo, 0x7f800000, v136
                                        ; implicit-def: $vgpr136
	s_and_saveexec_b32 s3, vcc_lo
	s_xor_b32 s3, exec_lo, s3
; %bb.69:
	v_bfe_u32 v136, v143, 16, 1
	s_delay_alu instid0(VALU_DEP_1)
	v_add3_u32 v136, v143, v136, 0x7fff
                                        ; implicit-def: $vgpr143
; %bb.70:
	s_and_not1_saveexec_b32 s3, s3
; %bb.71:
	v_and_b32_e32 v136, 0xffff, v143
	v_or_b32_e32 v147, 0x10000, v143
	s_delay_alu instid0(VALU_DEP_2) | instskip(NEXT) | instid1(VALU_DEP_2)
	v_cmp_eq_u32_e32 vcc_lo, 0, v136
	v_cndmask_b32_e32 v136, v147, v143, vcc_lo
; %bb.72:
	s_or_b32 exec_lo, exec_lo, s3
	v_and_b32_e32 v143, 0x7f800000, v145
	s_delay_alu instid0(VALU_DEP_1) | instskip(SKIP_1) | instid1(SALU_CYCLE_1)
	v_cmp_ne_u32_e32 vcc_lo, 0x7f800000, v143
                                        ; implicit-def: $vgpr143
	s_and_saveexec_b32 s3, vcc_lo
	s_xor_b32 s3, exec_lo, s3
; %bb.73:
	v_bfe_u32 v143, v145, 16, 1
	s_delay_alu instid0(VALU_DEP_1)
	v_add3_u32 v143, v145, v143, 0x7fff
                                        ; implicit-def: $vgpr145
; %bb.74:
	s_and_not1_saveexec_b32 s3, s3
; %bb.75:
	v_and_b32_e32 v143, 0xffff, v145
	v_or_b32_e32 v147, 0x10000, v145
	s_delay_alu instid0(VALU_DEP_2) | instskip(NEXT) | instid1(VALU_DEP_2)
	v_cmp_eq_u32_e32 vcc_lo, 0, v143
	v_cndmask_b32_e32 v143, v147, v145, vcc_lo
; %bb.76:
	s_or_b32 exec_lo, exec_lo, s3
	s_delay_alu instid0(VALU_DEP_1)
	v_perm_b32 v136, v143, v136, 0x7060302
	v_perm_b32 v135, v135, v146, 0x7060302
	;; [unrolled: 1-line block ×4, first 2 shown]
	v_lshl_or_b32 v145, v141, 11, v144
	v_lshlrev_b32_e32 v142, 2, v138
	ds_store_b128 v131, v[133:136] offset:1024
	s_waitcnt lgkmcnt(0)
	s_barrier
	buffer_gl0_inv
	ds_load_b128 v[132:135], v145
	ds_load_b128 v[147:150], v145 offset:16
	v_or_b32_e32 v143, 1, v142
	v_cmp_eq_u32_e64 s12, 1, v142
	v_cmp_eq_u32_e64 s11, 2, v142
	;; [unrolled: 1-line block ×3, first 2 shown]
	v_or_b32_e32 v141, 2, v142
	v_cmp_eq_u32_e64 s7, 1, v143
	v_cmp_eq_u32_e64 s6, 2, v143
	;; [unrolled: 1-line block ×8, first 2 shown]
	v_cmp_eq_u32_e32 vcc_lo, 5, v143
	v_cmp_eq_u32_e64 s10, 2, v141
	v_cmp_eq_u32_e64 s4, 6, v143
	;; [unrolled: 1-line block ×4, first 2 shown]
	s_waitcnt lgkmcnt(1)
	v_lshrrev_b32_e32 v136, 16, v132
	s_waitcnt lgkmcnt(0)
	v_lshrrev_b32_e32 v155, 16, v147
	v_lshrrev_b32_e32 v161, 16, v148
	;; [unrolled: 1-line block ×4, first 2 shown]
	v_cndmask_b32_e64 v146, v132, v136, s12
	v_cndmask_b32_e64 v151, v147, v155, s12
	;; [unrolled: 1-line block ×4, first 2 shown]
	v_lshrrev_b32_e32 v160, 16, v134
	v_cndmask_b32_e64 v146, v146, v133, s11
	v_cndmask_b32_e64 v151, v151, v148, s11
	v_cndmask_b32_e64 v152, v152, v133, s6
	v_cndmask_b32_e64 v153, v153, v148, s6
	v_cndmask_b32_e64 v154, v132, v136, s8
	v_cndmask_b32_e64 v146, v146, v159, s16
	v_cndmask_b32_e64 v151, v151, v161, s16
	v_cndmask_b32_e64 v152, v152, v159, s5
	v_lshrrev_b32_e32 v164, 16, v150
	v_cndmask_b32_e64 v153, v153, v161, s5
	v_cndmask_b32_e64 v146, v146, v134, s17
	v_cndmask_b32_e64 v151, v151, v149, s17
	v_cndmask_b32_e64 v152, v152, v134, s3
	v_cndmask_b32_e64 v154, v154, v133, s10
	v_lshrrev_b32_e32 v162, 16, v135
	v_cndmask_b32_e64 v146, v146, v160, s13
	v_cndmask_b32_e64 v151, v151, v163, s13
	v_cndmask_b32_e32 v152, v152, v160, vcc_lo
	v_cndmask_b32_e64 v153, v153, v149, s3
	v_cmp_eq_u32_e64 s19, 7, v143
	v_cndmask_b32_e64 v146, v146, v135, s15
	v_cndmask_b32_e64 v151, v151, v150, s15
	v_cndmask_b32_e64 v152, v152, v135, s4
	v_cndmask_b32_e64 v154, v154, v159, s18
	v_cmp_eq_u32_e64 s20, 4, v141
	v_cndmask_b32_e64 v165, v146, v162, s9
	v_cndmask_b32_e64 v166, v151, v164, s9
	;; [unrolled: 1-line block ×3, first 2 shown]
	v_or_b32_e32 v146, 3, v142
	v_cndmask_b32_e64 v167, v152, v162, s19
	v_cndmask_b32_e32 v156, v153, v163, vcc_lo
	v_cndmask_b32_e64 v158, v154, v134, s20
	v_cndmask_b32_e64 v157, v151, v148, s10
	ds_load_b128 v[151:154], v145 offset:1024
	v_cmp_eq_u32_e64 s21, 1, v146
	v_cmp_eq_u32_e64 s22, 5, v141
	;; [unrolled: 1-line block ×3, first 2 shown]
	v_cndmask_b32_e64 v157, v157, v161, s18
	v_cmp_eq_u32_e64 s24, 3, v146
	v_cndmask_b32_e64 v132, v132, v136, s21
	v_cndmask_b32_e64 v136, v156, v150, s4
	;; [unrolled: 1-line block ×5, first 2 shown]
	ds_load_b128 v[155:158], v145 offset:1040
	v_cndmask_b32_e64 v132, v132, v133, s23
	v_cmp_eq_u32_e64 s26, 4, v146
	v_cmp_eq_u32_e64 s28, 5, v146
	v_cndmask_b32_e64 v147, v147, v148, s23
	v_cmp_eq_u32_e64 s25, 6, v141
	v_cndmask_b32_e64 v132, v132, v159, s24
	;; [unrolled: 2-line block ×3, first 2 shown]
	v_cndmask_b32_e64 v147, v147, v161, s24
	s_waitcnt lgkmcnt(1)
	v_lshrrev_b32_e32 v159, 16, v151
	v_cndmask_b32_e64 v132, v132, v134, s26
	v_cndmask_b32_e64 v148, v168, v135, s25
	;; [unrolled: 1-line block ×6, first 2 shown]
	v_lshrrev_b32_e32 v160, 16, v152
	v_cndmask_b32_e64 v161, v151, v159, s7
	v_cndmask_b32_e64 v134, v134, v163, s28
	s_waitcnt lgkmcnt(0)
	v_lshrrev_b32_e32 v149, 16, v155
	v_cndmask_b32_e64 v147, v147, v152, s11
	v_cndmask_b32_e64 v132, v132, v135, s29
	v_cmp_eq_u32_e64 s27, 7, v141
	v_cndmask_b32_e64 v134, v134, v150, s29
	v_cndmask_b32_e64 v163, v155, v149, s12
	;; [unrolled: 1-line block ×4, first 2 shown]
	v_lshrrev_b32_e32 v161, 16, v156
	v_cndmask_b32_e64 v136, v136, v164, s19
	v_cndmask_b32_e64 v150, v163, v156, s11
	v_cmp_eq_u32_e64 s11, 7, v146
	v_cndmask_b32_e64 v147, v147, v160, s5
	v_cndmask_b32_e64 v135, v135, v153, s17
	v_lshrrev_b32_e32 v163, 16, v153
	v_cndmask_b32_e64 v150, v150, v161, s16
	v_cndmask_b32_e64 v132, v132, v162, s11
	;; [unrolled: 1-line block ×8, first 2 shown]
	v_lshrrev_b32_e32 v164, 16, v157
	v_perm_b32 v135, v134, v132, 0x5040100
	v_cndmask_b32_e32 v132, v147, v163, vcc_lo
	v_cndmask_b32_e64 v147, v162, v154, s15
	v_lshrrev_b32_e32 v162, 16, v154
	v_cndmask_b32_e64 v150, v150, v164, s13
	v_perm_b32 v134, v133, v148, 0x5040100
	v_cndmask_b32_e64 v132, v132, v154, s4
	v_perm_b32 v133, v136, v167, 0x5040100
	v_cndmask_b32_e64 v136, v147, v162, s9
	v_cndmask_b32_e64 v147, v150, v158, s15
	;; [unrolled: 1-line block ×27, first 2 shown]
	v_cndmask_b32_e32 v149, v149, v164, vcc_lo
	v_lshrrev_b32_e32 v148, 16, v158
	v_cndmask_b32_e64 v132, v132, v154, s25
	v_cndmask_b32_e64 v150, v150, v154, s29
	;; [unrolled: 1-line block ×11, first 2 shown]
	v_perm_b32 v132, v166, v165, 0x5040100
	v_perm_b32 v150, v151, v150, 0x5040100
	v_perm_b32 v149, v152, v153, 0x5040100
	v_perm_b32 v148, v154, v167, 0x5040100
	v_perm_b32 v147, v147, v136, 0x5040100
	s_mul_i32 s8, s35, 5
	s_mov_b32 s3, exec_lo
	ds_store_b128 v131, v[132:135]
	ds_store_b128 v131, v[147:150] offset:1024
	v_cmpx_gt_u32_e32 5, v0
	s_cbranch_execz .LBB582_78
; %bb.77:
	s_mul_i32 s4, s8, s30
	s_delay_alu instid0(SALU_CYCLE_1) | instskip(SKIP_1) | instid1(VALU_DEP_1)
	v_add3_u32 v133, s4, s31, v140
	s_load_b128 s[4:7], s[0:1], 0x58
	v_mad_u64_u32 v[131:132], null, v133, s34, s[14:15]
	s_delay_alu instid0(VALU_DEP_1) | instskip(NEXT) | instid1(VALU_DEP_1)
	v_ashrrev_i32_e32 v132, 31, v131
	v_lshlrev_b64 v[131:132], 2, v[131:132]
	s_waitcnt lgkmcnt(0)
	s_delay_alu instid0(VALU_DEP_1) | instskip(NEXT) | instid1(VALU_DEP_2)
	v_add_co_u32 v133, vcc_lo, s6, v131
	v_add_co_ci_u32_e32 v134, vcc_lo, s7, v132, vcc_lo
	v_add_co_u32 v131, vcc_lo, s4, v131
	v_add_co_ci_u32_e32 v132, vcc_lo, s5, v132, vcc_lo
	global_store_b32 v[133:134], v129, off
	global_store_b32 v[131:132], v130, off
.LBB582_78:
	s_or_b32 exec_lo, exec_lo, s3
	s_waitcnt lgkmcnt(0)
	s_waitcnt_vscnt null, 0x0
	s_barrier
	buffer_gl0_inv
	ds_load_b128 v[147:150], v144
	ds_load_b128 v[151:154], v144 offset:16
	ds_load_b128 v[159:162], v144 offset:1040
	;; [unrolled: 1-line block ×3, first 2 shown]
	v_mov_b32_e32 v129, 0
	ds_load_b128 v[167:170], v144 offset:2064
	ds_load_b128 v[163:166], v144 offset:2048
	ds_load_b128 v[175:178], v144 offset:3088
	ds_load_b128 v[171:174], v144 offset:3072
	ds_load_b128 v[183:186], v144 offset:4112
	ds_load_b128 v[179:182], v144 offset:4096
	v_mov_b32_e32 v130, v129
	v_mov_b32_e32 v131, v129
	;; [unrolled: 1-line block ×7, first 2 shown]
	s_waitcnt lgkmcnt(8)
	s_delay_alu instid0(VALU_DEP_1)
	v_wmma_f32_16x16x16_bf16 v[129:136], v[121:128], v[147:154], v[129:136]
	ds_load_b128 v[125:128], v144 offset:5136
	ds_load_b128 v[121:124], v144 offset:5120
	s_waitcnt lgkmcnt(8)
	v_wmma_f32_16x16x16_bf16 v[129:136], v[113:120], v[155:162], v[129:136]
	ds_load_b128 v[117:120], v144 offset:6160
	ds_load_b128 v[113:116], v144 offset:6144
	s_waitcnt lgkmcnt(8)
	v_wmma_f32_16x16x16_bf16 v[129:136], v[105:112], v[163:170], v[129:136]
	ds_load_b128 v[109:112], v144 offset:7184
	ds_load_b128 v[105:108], v144 offset:7168
	s_waitcnt lgkmcnt(8)
	v_wmma_f32_16x16x16_bf16 v[129:136], v[97:104], v[171:178], v[129:136]
	ds_load_b128 v[101:104], v144 offset:8208
	ds_load_b128 v[97:100], v144 offset:8192
	s_waitcnt lgkmcnt(8)
	v_wmma_f32_16x16x16_bf16 v[129:136], v[89:96], v[179:186], v[129:136]
	ds_load_b128 v[93:96], v144 offset:9232
	ds_load_b128 v[89:92], v144 offset:9216
	s_waitcnt lgkmcnt(8)
	v_wmma_f32_16x16x16_bf16 v[129:136], v[81:88], v[121:128], v[129:136]
	ds_load_b128 v[85:88], v144 offset:10256
	ds_load_b128 v[81:84], v144 offset:10240
	s_waitcnt lgkmcnt(8)
	v_wmma_f32_16x16x16_bf16 v[129:136], v[73:80], v[113:120], v[129:136]
	ds_load_b128 v[77:80], v144 offset:11280
	ds_load_b128 v[73:76], v144 offset:11264
	s_waitcnt lgkmcnt(8)
	v_wmma_f32_16x16x16_bf16 v[129:136], v[57:64], v[105:112], v[129:136]
	ds_load_b128 v[61:64], v144 offset:12304
	ds_load_b128 v[57:60], v144 offset:12288
	s_waitcnt lgkmcnt(8)
	v_wmma_f32_16x16x16_bf16 v[129:136], v[65:72], v[97:104], v[129:136]
	s_waitcnt lgkmcnt(6)
	s_delay_alu instid0(VALU_DEP_1)
	v_wmma_f32_16x16x16_bf16 v[129:136], v[49:56], v[89:96], v[129:136]
	ds_load_b128 v[53:56], v144 offset:13328
	ds_load_b128 v[49:52], v144 offset:13312
	s_waitcnt lgkmcnt(6)
	v_wmma_f32_16x16x16_bf16 v[129:136], v[41:48], v[81:88], v[129:136]
	ds_load_b128 v[45:48], v144 offset:14352
	ds_load_b128 v[41:44], v144 offset:14336
	s_waitcnt lgkmcnt(6)
	;; [unrolled: 4-line block ×3, first 2 shown]
	v_wmma_f32_16x16x16_bf16 v[129:136], v[1:8], v[57:64], v[129:136]
	s_waitcnt lgkmcnt(4)
	s_delay_alu instid0(VALU_DEP_1) | instskip(SKIP_1) | instid1(VALU_DEP_1)
	v_wmma_f32_16x16x16_bf16 v[129:136], v[25:32], v[49:56], v[129:136]
	s_waitcnt lgkmcnt(2)
	v_wmma_f32_16x16x16_bf16 v[129:136], v[33:40], v[41:48], v[129:136]
	s_waitcnt lgkmcnt(0)
	s_delay_alu instid0(VALU_DEP_1) | instskip(NEXT) | instid1(VALU_DEP_1)
	v_wmma_f32_16x16x16_bf16 v[129:136], v[9:16], v[17:24], v[129:136]
	v_and_b32_e32 v1, 0x7f800000, v129
	s_delay_alu instid0(VALU_DEP_1) | instskip(SKIP_1) | instid1(SALU_CYCLE_1)
	v_cmp_ne_u32_e32 vcc_lo, 0x7f800000, v1
                                        ; implicit-def: $vgpr1
	s_and_saveexec_b32 s3, vcc_lo
	s_xor_b32 s3, exec_lo, s3
; %bb.79:
	v_bfe_u32 v1, v129, 16, 1
	s_delay_alu instid0(VALU_DEP_1)
	v_add3_u32 v1, v129, v1, 0x7fff
; %bb.80:
	s_and_not1_saveexec_b32 s3, s3
; %bb.81:
	v_and_b32_e32 v1, 0xffff, v129
	v_or_b32_e32 v2, 0x10000, v129
	s_delay_alu instid0(VALU_DEP_2) | instskip(NEXT) | instid1(VALU_DEP_2)
	v_cmp_eq_u32_e32 vcc_lo, 0, v1
	v_cndmask_b32_e32 v1, v2, v129, vcc_lo
; %bb.82:
	s_or_b32 exec_lo, exec_lo, s3
	v_and_b32_e32 v2, 0x7f800000, v130
	s_delay_alu instid0(VALU_DEP_1) | instskip(SKIP_1) | instid1(SALU_CYCLE_1)
	v_cmp_ne_u32_e32 vcc_lo, 0x7f800000, v2
                                        ; implicit-def: $vgpr2
	s_and_saveexec_b32 s3, vcc_lo
	s_xor_b32 s3, exec_lo, s3
; %bb.83:
	v_bfe_u32 v2, v130, 16, 1
	s_delay_alu instid0(VALU_DEP_1)
	v_add3_u32 v2, v130, v2, 0x7fff
; %bb.84:
	s_and_not1_saveexec_b32 s3, s3
; %bb.85:
	v_and_b32_e32 v2, 0xffff, v130
	v_or_b32_e32 v3, 0x10000, v130
	s_delay_alu instid0(VALU_DEP_2) | instskip(NEXT) | instid1(VALU_DEP_2)
	v_cmp_eq_u32_e32 vcc_lo, 0, v2
	v_cndmask_b32_e32 v2, v3, v130, vcc_lo
; %bb.86:
	s_or_b32 exec_lo, exec_lo, s3
	v_and_b32_e32 v3, 0x7f800000, v131
	s_delay_alu instid0(VALU_DEP_1) | instskip(SKIP_1) | instid1(SALU_CYCLE_1)
	v_cmp_ne_u32_e32 vcc_lo, 0x7f800000, v3
                                        ; implicit-def: $vgpr3
	s_and_saveexec_b32 s3, vcc_lo
	s_xor_b32 s3, exec_lo, s3
; %bb.87:
	v_bfe_u32 v3, v131, 16, 1
	s_delay_alu instid0(VALU_DEP_1)
	v_add3_u32 v3, v131, v3, 0x7fff
; %bb.88:
	s_and_not1_saveexec_b32 s3, s3
; %bb.89:
	v_and_b32_e32 v3, 0xffff, v131
	v_or_b32_e32 v4, 0x10000, v131
	s_delay_alu instid0(VALU_DEP_2) | instskip(NEXT) | instid1(VALU_DEP_2)
	v_cmp_eq_u32_e32 vcc_lo, 0, v3
	v_cndmask_b32_e32 v3, v4, v131, vcc_lo
; %bb.90:
	s_or_b32 exec_lo, exec_lo, s3
	v_and_b32_e32 v4, 0x7f800000, v132
	s_delay_alu instid0(VALU_DEP_1) | instskip(SKIP_1) | instid1(SALU_CYCLE_1)
	v_cmp_ne_u32_e32 vcc_lo, 0x7f800000, v4
                                        ; implicit-def: $vgpr4
	s_and_saveexec_b32 s3, vcc_lo
	s_xor_b32 s3, exec_lo, s3
; %bb.91:
	v_bfe_u32 v4, v132, 16, 1
	s_delay_alu instid0(VALU_DEP_1)
	v_add3_u32 v4, v132, v4, 0x7fff
; %bb.92:
	s_and_not1_saveexec_b32 s3, s3
; %bb.93:
	v_and_b32_e32 v4, 0xffff, v132
	v_or_b32_e32 v5, 0x10000, v132
	s_delay_alu instid0(VALU_DEP_2) | instskip(NEXT) | instid1(VALU_DEP_2)
	v_cmp_eq_u32_e32 vcc_lo, 0, v4
	v_cndmask_b32_e32 v4, v5, v132, vcc_lo
; %bb.94:
	s_or_b32 exec_lo, exec_lo, s3
	v_and_b32_e32 v5, 0x7f800000, v133
	s_delay_alu instid0(VALU_DEP_1) | instskip(SKIP_1) | instid1(SALU_CYCLE_1)
	v_cmp_ne_u32_e32 vcc_lo, 0x7f800000, v5
                                        ; implicit-def: $vgpr5
	s_and_saveexec_b32 s3, vcc_lo
	s_xor_b32 s3, exec_lo, s3
; %bb.95:
	v_bfe_u32 v5, v133, 16, 1
	s_delay_alu instid0(VALU_DEP_1)
	v_add3_u32 v5, v133, v5, 0x7fff
; %bb.96:
	s_and_not1_saveexec_b32 s3, s3
; %bb.97:
	v_and_b32_e32 v5, 0xffff, v133
	v_or_b32_e32 v6, 0x10000, v133
	s_delay_alu instid0(VALU_DEP_2) | instskip(NEXT) | instid1(VALU_DEP_2)
	v_cmp_eq_u32_e32 vcc_lo, 0, v5
	v_cndmask_b32_e32 v5, v6, v133, vcc_lo
; %bb.98:
	s_or_b32 exec_lo, exec_lo, s3
	v_and_b32_e32 v6, 0x7f800000, v134
	s_delay_alu instid0(VALU_DEP_1) | instskip(SKIP_1) | instid1(SALU_CYCLE_1)
	v_cmp_ne_u32_e32 vcc_lo, 0x7f800000, v6
                                        ; implicit-def: $vgpr6
	s_and_saveexec_b32 s3, vcc_lo
	s_xor_b32 s3, exec_lo, s3
; %bb.99:
	v_bfe_u32 v6, v134, 16, 1
	s_delay_alu instid0(VALU_DEP_1)
	v_add3_u32 v6, v134, v6, 0x7fff
; %bb.100:
	s_and_not1_saveexec_b32 s3, s3
; %bb.101:
	v_and_b32_e32 v6, 0xffff, v134
	v_or_b32_e32 v7, 0x10000, v134
	s_delay_alu instid0(VALU_DEP_2) | instskip(NEXT) | instid1(VALU_DEP_2)
	v_cmp_eq_u32_e32 vcc_lo, 0, v6
	v_cndmask_b32_e32 v6, v7, v134, vcc_lo
; %bb.102:
	s_or_b32 exec_lo, exec_lo, s3
	v_and_b32_e32 v7, 0x7f800000, v135
	s_delay_alu instid0(VALU_DEP_1) | instskip(SKIP_1) | instid1(SALU_CYCLE_1)
	v_cmp_ne_u32_e32 vcc_lo, 0x7f800000, v7
                                        ; implicit-def: $vgpr7
	s_and_saveexec_b32 s3, vcc_lo
	s_xor_b32 s3, exec_lo, s3
; %bb.103:
	v_bfe_u32 v7, v135, 16, 1
	s_delay_alu instid0(VALU_DEP_1)
	v_add3_u32 v7, v135, v7, 0x7fff
; %bb.104:
	s_and_not1_saveexec_b32 s3, s3
; %bb.105:
	v_and_b32_e32 v7, 0xffff, v135
	v_or_b32_e32 v8, 0x10000, v135
	s_delay_alu instid0(VALU_DEP_2) | instskip(NEXT) | instid1(VALU_DEP_2)
	v_cmp_eq_u32_e32 vcc_lo, 0, v7
	v_cndmask_b32_e32 v7, v8, v135, vcc_lo
; %bb.106:
	s_or_b32 exec_lo, exec_lo, s3
	v_and_b32_e32 v8, 0x7f800000, v136
	s_delay_alu instid0(VALU_DEP_1) | instskip(SKIP_1) | instid1(SALU_CYCLE_1)
	v_cmp_ne_u32_e32 vcc_lo, 0x7f800000, v8
                                        ; implicit-def: $vgpr8
	s_and_saveexec_b32 s3, vcc_lo
	s_xor_b32 s3, exec_lo, s3
; %bb.107:
	v_bfe_u32 v8, v136, 16, 1
	s_delay_alu instid0(VALU_DEP_1)
	v_add3_u32 v8, v136, v8, 0x7fff
                                        ; implicit-def: $vgpr129_vgpr130_vgpr131_vgpr132_vgpr133_vgpr134_vgpr135_vgpr136
; %bb.108:
	s_and_not1_saveexec_b32 s3, s3
; %bb.109:
	v_and_b32_e32 v8, 0xffff, v136
	v_or_b32_e32 v9, 0x10000, v136
	s_delay_alu instid0(VALU_DEP_2) | instskip(NEXT) | instid1(VALU_DEP_2)
	v_cmp_eq_u32_e32 vcc_lo, 0, v8
	v_cndmask_b32_e32 v8, v9, v136, vcc_lo
; %bb.110:
	s_or_b32 exec_lo, exec_lo, s3
	s_delay_alu instid0(VALU_DEP_1)
	v_perm_b32 v7, v8, v7, 0x7060302
	v_perm_b32 v6, v6, v5, 0x7060302
	;; [unrolled: 1-line block ×4, first 2 shown]
	v_lshl_or_b32 v9, v138, 4, v145
	s_barrier
	buffer_gl0_inv
	v_cmp_eq_u32_e32 vcc_lo, 1, v142
	ds_store_b128 v9, v[4:7]
	s_waitcnt lgkmcnt(0)
	s_barrier
	buffer_gl0_inv
	ds_load_b128 v[1:4], v145
	ds_load_b128 v[5:8], v145 offset:16
	v_cmp_eq_u32_e64 s4, 2, v142
	v_cmp_eq_u32_e64 s3, 1, v143
	;; [unrolled: 1-line block ×5, first 2 shown]
	s_waitcnt lgkmcnt(1)
	v_lshrrev_b32_e32 v10, 16, v1
	s_waitcnt lgkmcnt(0)
	v_lshrrev_b32_e32 v14, 16, v5
	v_lshrrev_b32_e32 v15, 16, v6
	;; [unrolled: 1-line block ×4, first 2 shown]
	v_cndmask_b32_e64 v20, v1, v10, s3
	v_cndmask_b32_e32 v19, v5, v14, vcc_lo
	v_cndmask_b32_e64 v21, v5, v14, s3
	v_lshrrev_b32_e32 v16, 16, v7
	v_cmp_eq_u32_e64 s3, 1, v141
	v_lshrrev_b32_e32 v13, 16, v4
	v_cndmask_b32_e64 v19, v19, v6, s4
	v_lshrrev_b32_e32 v17, 16, v8
	s_delay_alu instid0(VALU_DEP_4) | instskip(SKIP_1) | instid1(VALU_DEP_4)
	v_cndmask_b32_e64 v22, v1, v10, s3
	v_cndmask_b32_e64 v23, v5, v14, s3
	;; [unrolled: 1-line block ×3, first 2 shown]
	v_cndmask_b32_e32 v18, v1, v10, vcc_lo
	v_cmp_eq_u32_e32 vcc_lo, 2, v143
	v_cmp_eq_u32_e64 s3, 2, v146
	v_cndmask_b32_e64 v22, v22, v2, s7
	v_cndmask_b32_e32 v20, v20, v2, vcc_lo
	v_cndmask_b32_e32 v21, v21, v6, vcc_lo
	v_cmp_eq_u32_e32 vcc_lo, 4, v142
	v_cndmask_b32_e32 v19, v19, v7, vcc_lo
	v_cndmask_b32_e64 v18, v18, v2, s4
	v_cmp_eq_u32_e64 s4, 3, v143
	s_delay_alu instid0(VALU_DEP_2) | instskip(NEXT) | instid1(VALU_DEP_2)
	v_cndmask_b32_e64 v18, v18, v11, s5
	v_cndmask_b32_e64 v21, v21, v15, s4
	v_cmp_eq_u32_e64 s5, 5, v142
	s_delay_alu instid0(VALU_DEP_3) | instskip(SKIP_1) | instid1(VALU_DEP_3)
	v_cndmask_b32_e32 v18, v18, v3, vcc_lo
	v_cmp_eq_u32_e32 vcc_lo, 4, v143
	v_cndmask_b32_e64 v19, v19, v16, s5
	s_delay_alu instid0(VALU_DEP_3) | instskip(SKIP_4) | instid1(VALU_DEP_3)
	v_cndmask_b32_e64 v18, v18, v12, s5
	v_cndmask_b32_e32 v21, v21, v7, vcc_lo
	v_cndmask_b32_e64 v20, v20, v11, s4
	v_cmp_eq_u32_e64 s4, 5, v143
	v_cmp_eq_u32_e64 s5, 6, v142
	v_cndmask_b32_e32 v20, v20, v3, vcc_lo
	s_delay_alu instid0(VALU_DEP_3) | instskip(SKIP_1) | instid1(VALU_DEP_4)
	v_cndmask_b32_e64 v21, v21, v16, s4
	v_cmp_eq_u32_e32 vcc_lo, 6, v143
	v_cndmask_b32_e64 v18, v18, v4, s5
	v_cndmask_b32_e64 v19, v19, v8, s5
	;; [unrolled: 1-line block ×3, first 2 shown]
	v_cmp_eq_u32_e64 s4, 1, v146
	v_cmp_eq_u32_e64 s5, 7, v142
	s_delay_alu instid0(VALU_DEP_3) | instskip(NEXT) | instid1(VALU_DEP_3)
	v_cndmask_b32_e32 v20, v20, v4, vcc_lo
	v_cndmask_b32_e64 v1, v1, v10, s4
	v_cndmask_b32_e64 v5, v5, v14, s4
	v_cmp_eq_u32_e64 s4, 3, v141
	v_cndmask_b32_e64 v14, v23, v6, s7
	v_cmp_eq_u32_e64 s7, 3, v146
	v_cndmask_b32_e64 v1, v1, v2, s3
	v_cndmask_b32_e64 v2, v5, v6, s3
	;; [unrolled: 1-line block ×3, first 2 shown]
	v_cmp_eq_u32_e64 s3, 4, v141
	v_cndmask_b32_e64 v6, v14, v15, s4
	v_cndmask_b32_e64 v1, v1, v11, s7
	v_cmp_eq_u32_e64 s4, 4, v146
	v_cndmask_b32_e64 v2, v2, v15, s7
	v_cndmask_b32_e64 v5, v10, v3, s3
	;; [unrolled: 3-line block ×3, first 2 shown]
	v_cndmask_b32_e64 v2, v2, v7, s4
	v_cmp_eq_u32_e64 s3, 5, v146
	v_cndmask_b32_e64 v5, v5, v12, s7
	v_cmp_eq_u32_e64 s4, 6, v141
	v_cndmask_b32_e64 v3, v6, v16, s7
	v_cmp_eq_u32_e64 s7, 6, v146
	v_cndmask_b32_e64 v1, v1, v12, s3
	v_cndmask_b32_e64 v2, v2, v16, s3
	;; [unrolled: 1-line block ×4, first 2 shown]
	v_cmp_eq_u32_e64 s3, 7, v146
	v_cndmask_b32_e64 v1, v1, v4, s7
	v_cndmask_b32_e64 v2, v2, v8, s7
	v_cmp_eq_u32_e64 s4, 7, v141
	v_cndmask_b32_e32 v4, v21, v8, vcc_lo
	v_cndmask_b32_e64 v18, v18, v13, s5
	v_cndmask_b32_e64 v20, v20, v13, s6
	;; [unrolled: 1-line block ×8, first 2 shown]
	s_mov_b32 s3, exec_lo
	v_perm_b32 v4, v2, v1, 0x5040100
	v_perm_b32 v3, v3, v5, 0x5040100
	;; [unrolled: 1-line block ×4, first 2 shown]
	ds_store_b128 v9, v[1:4]
	s_waitcnt lgkmcnt(0)
	s_barrier
	buffer_gl0_inv
	v_cmpx_gt_u32_e32 32, v0
	s_cbranch_execz .LBB582_2
; %bb.111:
	s_load_b64 s[4:5], s[0:1], 0x68
	v_lshlrev_b32_e32 v0, 10, v0
	v_add_nc_u32_e32 v2, s31, v138
	v_lshlrev_b32_e32 v3, 4, v139
	s_lshl_b32 s0, s34, 7
	s_delay_alu instid0(SALU_CYCLE_1) | instskip(NEXT) | instid1(VALU_DEP_2)
	s_mul_i32 s1, s0, s30
	v_mul_lo_u32 v1, v2, s0
	s_delay_alu instid0(VALU_DEP_2) | instskip(SKIP_2) | instid1(SALU_CYCLE_1)
	v_and_or_b32 v0, 0x3800, v0, v3
	v_add_nc_u32_e32 v2, 2, v2
	s_mul_i32 s6, s1, s8
	s_ashr_i32 s7, s6, 31
	s_delay_alu instid0(VALU_DEP_2)
	v_lshl_or_b32 v7, v138, 6, v0
	s_lshl_b64 s[6:7], s[6:7], 1
	v_mul_lo_u32 v11, v2, s0
	v_ashrrev_i32_e32 v2, 31, v1
	ds_load_b128 v[3:6], v7
	ds_load_b128 v[7:10], v7 offset:128
	s_waitcnt lgkmcnt(0)
	s_add_u32 s1, s4, s6
	s_addc_u32 s3, s5, s7
	s_lshl_b32 s4, s14, 7
	v_ashrrev_i32_e32 v12, 31, v11
	s_ashr_i32 s5, s4, 31
	v_lshlrev_b64 v[13:14], 1, v[1:2]
	s_lshl_b64 s[4:5], s[4:5], 1
	s_delay_alu instid0(SALU_CYCLE_1) | instskip(SKIP_2) | instid1(VALU_DEP_1)
	s_add_u32 s1, s1, s4
	s_addc_u32 s3, s3, s5
	v_add_co_u32 v1, s1, s1, v137
	v_add_co_ci_u32_e64 v2, null, s3, 0, s1
	v_lshlrev_b64 v[11:12], 1, v[11:12]
	s_delay_alu instid0(VALU_DEP_3) | instskip(NEXT) | instid1(VALU_DEP_3)
	v_add_co_u32 v13, vcc_lo, v1, v13
	v_add_co_ci_u32_e32 v14, vcc_lo, v2, v14, vcc_lo
	s_delay_alu instid0(VALU_DEP_3) | instskip(NEXT) | instid1(VALU_DEP_4)
	v_add_co_u32 v11, vcc_lo, v1, v11
	v_add_co_ci_u32_e32 v12, vcc_lo, v2, v12, vcc_lo
	s_clause 0x1
	global_store_b128 v[13:14], v[3:6], off
	global_store_b128 v[11:12], v[7:10], off
	s_and_b32 exec_lo, exec_lo, s2
	s_cbranch_execz .LBB582_2
; %bb.112:
	ds_load_b128 v[3:6], v0 offset:256
	s_add_i32 s1, s31, 4
	s_delay_alu instid0(SALU_CYCLE_1) | instskip(NEXT) | instid1(SALU_CYCLE_1)
	s_mul_i32 s0, s1, s0
	s_ashr_i32 s1, s0, 31
	s_delay_alu instid0(SALU_CYCLE_1) | instskip(NEXT) | instid1(SALU_CYCLE_1)
	s_lshl_b64 s[0:1], s[0:1], 1
	v_add_co_u32 v0, vcc_lo, v1, s0
	v_add_co_ci_u32_e32 v1, vcc_lo, s1, v2, vcc_lo
	s_waitcnt lgkmcnt(0)
	global_store_b128 v[0:1], v[3:6], off
	s_nop 0
	s_sendmsg sendmsg(MSG_DEALLOC_VGPRS)
	s_endpgm
	.section	.rodata,"a",@progbits
	.p2align	6, 0x0
	.amdhsa_kernel _Z39paged_attention_ll4mi_QKV_mfma16_kernelI14__hip_bfloat16S0_LN4vllm18Fp8KVCacheDataTypeE0EhLi16ELi128ELi256ELb1ELi5EL8MFMAType0EEvPKT_PKT0_S9_ifPKiSB_SB_iPKfiiiPfSE_PS4_PT2_iSD_SD_
		.amdhsa_group_segment_fixed_size 17472
		.amdhsa_private_segment_fixed_size 0
		.amdhsa_kernarg_size 400
		.amdhsa_user_sgpr_count 13
		.amdhsa_user_sgpr_dispatch_ptr 0
		.amdhsa_user_sgpr_queue_ptr 0
		.amdhsa_user_sgpr_kernarg_segment_ptr 1
		.amdhsa_user_sgpr_dispatch_id 0
		.amdhsa_user_sgpr_private_segment_size 0
		.amdhsa_wavefront_size32 1
		.amdhsa_uses_dynamic_stack 0
		.amdhsa_enable_private_segment 0
		.amdhsa_system_sgpr_workgroup_id_x 1
		.amdhsa_system_sgpr_workgroup_id_y 1
		.amdhsa_system_sgpr_workgroup_id_z 1
		.amdhsa_system_sgpr_workgroup_info 0
		.amdhsa_system_vgpr_workitem_id 0
		.amdhsa_next_free_vgpr 218
		.amdhsa_next_free_sgpr 50
		.amdhsa_reserve_vcc 1
		.amdhsa_float_round_mode_32 0
		.amdhsa_float_round_mode_16_64 0
		.amdhsa_float_denorm_mode_32 3
		.amdhsa_float_denorm_mode_16_64 3
		.amdhsa_dx10_clamp 1
		.amdhsa_ieee_mode 1
		.amdhsa_fp16_overflow 0
		.amdhsa_workgroup_processor_mode 1
		.amdhsa_memory_ordered 1
		.amdhsa_forward_progress 0
		.amdhsa_shared_vgpr_count 0
		.amdhsa_exception_fp_ieee_invalid_op 0
		.amdhsa_exception_fp_denorm_src 0
		.amdhsa_exception_fp_ieee_div_zero 0
		.amdhsa_exception_fp_ieee_overflow 0
		.amdhsa_exception_fp_ieee_underflow 0
		.amdhsa_exception_fp_ieee_inexact 0
		.amdhsa_exception_int_div_zero 0
	.end_amdhsa_kernel
	.section	.text._Z39paged_attention_ll4mi_QKV_mfma16_kernelI14__hip_bfloat16S0_LN4vllm18Fp8KVCacheDataTypeE0EhLi16ELi128ELi256ELb1ELi5EL8MFMAType0EEvPKT_PKT0_S9_ifPKiSB_SB_iPKfiiiPfSE_PS4_PT2_iSD_SD_,"axG",@progbits,_Z39paged_attention_ll4mi_QKV_mfma16_kernelI14__hip_bfloat16S0_LN4vllm18Fp8KVCacheDataTypeE0EhLi16ELi128ELi256ELb1ELi5EL8MFMAType0EEvPKT_PKT0_S9_ifPKiSB_SB_iPKfiiiPfSE_PS4_PT2_iSD_SD_,comdat
.Lfunc_end582:
	.size	_Z39paged_attention_ll4mi_QKV_mfma16_kernelI14__hip_bfloat16S0_LN4vllm18Fp8KVCacheDataTypeE0EhLi16ELi128ELi256ELb1ELi5EL8MFMAType0EEvPKT_PKT0_S9_ifPKiSB_SB_iPKfiiiPfSE_PS4_PT2_iSD_SD_, .Lfunc_end582-_Z39paged_attention_ll4mi_QKV_mfma16_kernelI14__hip_bfloat16S0_LN4vllm18Fp8KVCacheDataTypeE0EhLi16ELi128ELi256ELb1ELi5EL8MFMAType0EEvPKT_PKT0_S9_ifPKiSB_SB_iPKfiiiPfSE_PS4_PT2_iSD_SD_
                                        ; -- End function
	.section	.AMDGPU.csdata,"",@progbits
; Kernel info:
; codeLenInByte = 10220
; NumSgprs: 52
; NumVgprs: 218
; ScratchSize: 0
; MemoryBound: 0
; FloatMode: 240
; IeeeMode: 1
; LDSByteSize: 17472 bytes/workgroup (compile time only)
; SGPRBlocks: 6
; VGPRBlocks: 27
; NumSGPRsForWavesPerEU: 52
; NumVGPRsForWavesPerEU: 218
; Occupancy: 6
; WaveLimiterHint : 1
; COMPUTE_PGM_RSRC2:SCRATCH_EN: 0
; COMPUTE_PGM_RSRC2:USER_SGPR: 13
; COMPUTE_PGM_RSRC2:TRAP_HANDLER: 0
; COMPUTE_PGM_RSRC2:TGID_X_EN: 1
; COMPUTE_PGM_RSRC2:TGID_Y_EN: 1
; COMPUTE_PGM_RSRC2:TGID_Z_EN: 1
; COMPUTE_PGM_RSRC2:TIDIG_COMP_CNT: 0
	.section	.text._Z39paged_attention_ll4mi_QKV_mfma16_kernelI14__hip_bfloat16S0_LN4vllm18Fp8KVCacheDataTypeE0EhLi16ELi128ELi256ELb1ELi6EL8MFMAType0EEvPKT_PKT0_S9_ifPKiSB_SB_iPKfiiiPfSE_PS4_PT2_iSD_SD_,"axG",@progbits,_Z39paged_attention_ll4mi_QKV_mfma16_kernelI14__hip_bfloat16S0_LN4vllm18Fp8KVCacheDataTypeE0EhLi16ELi128ELi256ELb1ELi6EL8MFMAType0EEvPKT_PKT0_S9_ifPKiSB_SB_iPKfiiiPfSE_PS4_PT2_iSD_SD_,comdat
	.protected	_Z39paged_attention_ll4mi_QKV_mfma16_kernelI14__hip_bfloat16S0_LN4vllm18Fp8KVCacheDataTypeE0EhLi16ELi128ELi256ELb1ELi6EL8MFMAType0EEvPKT_PKT0_S9_ifPKiSB_SB_iPKfiiiPfSE_PS4_PT2_iSD_SD_ ; -- Begin function _Z39paged_attention_ll4mi_QKV_mfma16_kernelI14__hip_bfloat16S0_LN4vllm18Fp8KVCacheDataTypeE0EhLi16ELi128ELi256ELb1ELi6EL8MFMAType0EEvPKT_PKT0_S9_ifPKiSB_SB_iPKfiiiPfSE_PS4_PT2_iSD_SD_
	.globl	_Z39paged_attention_ll4mi_QKV_mfma16_kernelI14__hip_bfloat16S0_LN4vllm18Fp8KVCacheDataTypeE0EhLi16ELi128ELi256ELb1ELi6EL8MFMAType0EEvPKT_PKT0_S9_ifPKiSB_SB_iPKfiiiPfSE_PS4_PT2_iSD_SD_
	.p2align	8
	.type	_Z39paged_attention_ll4mi_QKV_mfma16_kernelI14__hip_bfloat16S0_LN4vllm18Fp8KVCacheDataTypeE0EhLi16ELi128ELi256ELb1ELi6EL8MFMAType0EEvPKT_PKT0_S9_ifPKiSB_SB_iPKfiiiPfSE_PS4_PT2_iSD_SD_,@function
_Z39paged_attention_ll4mi_QKV_mfma16_kernelI14__hip_bfloat16S0_LN4vllm18Fp8KVCacheDataTypeE0EhLi16ELi128ELi256ELb1ELi6EL8MFMAType0EEvPKT_PKT0_S9_ifPKiSB_SB_iPKfiiiPfSE_PS4_PT2_iSD_SD_: ; @_Z39paged_attention_ll4mi_QKV_mfma16_kernelI14__hip_bfloat16S0_LN4vllm18Fp8KVCacheDataTypeE0EhLi16ELi128ELi256ELb1ELi6EL8MFMAType0EEvPKT_PKT0_S9_ifPKiSB_SB_iPKfiiiPfSE_PS4_PT2_iSD_SD_
; %bb.0:
	s_load_b64 s[4:5], s[0:1], 0x30
	s_mov_b32 s30, s13
	s_waitcnt lgkmcnt(0)
	s_cmp_lg_u64 s[4:5], 0
	s_cselect_b32 s8, -1, 0
	s_ashr_i32 s31, s13, 31
	s_cmp_eq_u64 s[4:5], 0
	s_cbranch_scc1 .LBB583_3
; %bb.1:
	s_lshl_b64 s[2:3], s[30:31], 2
	s_delay_alu instid0(SALU_CYCLE_1) | instskip(SKIP_4) | instid1(SALU_CYCLE_1)
	s_add_u32 s2, s4, s2
	s_addc_u32 s3, s5, s3
	s_load_b64 s[2:3], s[2:3], 0x0
	s_waitcnt lgkmcnt(0)
	s_sub_i32 s2, s3, s2
	s_cmp_eq_u32 s2, 1
	s_cselect_b32 s2, -1, 0
	s_delay_alu instid0(SALU_CYCLE_1)
	s_and_not1_b32 vcc_lo, exec_lo, s2
	s_cbranch_vccz .LBB583_4
.LBB583_2:
	s_endpgm
.LBB583_3:
.LBB583_4:
	s_load_b64 s[2:3], s[0:1], 0x28
	s_lshl_b64 s[6:7], s[30:31], 2
	s_waitcnt lgkmcnt(0)
	s_add_u32 s2, s2, s6
	s_addc_u32 s3, s3, s7
	s_lshl_b32 s31, s14, 8
	s_load_b32 s28, s[2:3], 0x0
	s_waitcnt lgkmcnt(0)
	s_cmp_ge_i32 s31, s28
	s_cbranch_scc1 .LBB583_2
; %bb.5:
	s_clause 0x1
	s_load_b128 s[20:23], s[0:1], 0x8
	s_load_b64 s[2:3], s[0:1], 0x20
	s_and_not1_b32 vcc_lo, exec_lo, s8
	s_cbranch_vccnz .LBB583_7
; %bb.6:
	s_add_u32 s4, s4, s6
	s_addc_u32 s5, s5, s7
	s_load_b32 s5, s[4:5], 0x0
	s_branch .LBB583_8
.LBB583_7:
	s_mov_b32 s5, s30
.LBB583_8:
	s_load_b128 s[16:19], s[0:1], 0x48
	v_and_b32_e32 v140, 15, v0
	v_lshrrev_b32_e32 v141, 5, v0
	v_and_b32_e32 v142, 31, v0
	v_and_b32_e32 v139, 1, v0
	v_bfe_u32 v138, v0, 4, 1
	v_lshlrev_b32_e32 v1, 3, v140
	s_mul_i32 s29, s15, 6
	s_mov_b32 s4, exec_lo
	s_delay_alu instid0(VALU_DEP_1)
	v_lshlrev_b32_e32 v137, 1, v1
	v_cmpx_gt_u32_e32 0x60, v0
	s_cbranch_execz .LBB583_10
; %bb.9:
	s_load_b64 s[6:7], s[0:1], 0x0
	v_lshl_or_b32 v5, v141, 1, v138
	s_waitcnt lgkmcnt(0)
	s_mul_hi_i32 s9, s5, s16
	s_mul_i32 s8, s5, s16
	v_lshlrev_b32_e32 v6, 10, v140
	s_lshl_b64 s[8:9], s[8:9], 1
	v_add_lshl_u32 v1, v5, s29, 7
	v_lshlrev_b32_e32 v5, 6, v5
	v_lshlrev_b32_e32 v7, 10, v139
	v_and_b32_e32 v6, 0x3800, v6
	s_delay_alu instid0(VALU_DEP_4) | instskip(NEXT) | instid1(VALU_DEP_2)
	v_ashrrev_i32_e32 v2, 31, v1
	v_or3_b32 v5, v6, v7, v5
	s_delay_alu instid0(VALU_DEP_2) | instskip(SKIP_2) | instid1(VALU_DEP_1)
	v_lshlrev_b64 v[1:2], 1, v[1:2]
	s_add_u32 s5, s6, s8
	s_addc_u32 s6, s7, s9
	v_add_co_u32 v1, vcc_lo, s5, v1
	s_delay_alu instid0(VALU_DEP_2) | instskip(NEXT) | instid1(VALU_DEP_2)
	v_add_co_ci_u32_e32 v2, vcc_lo, s6, v2, vcc_lo
	v_add_co_u32 v1, vcc_lo, v1, v137
	s_delay_alu instid0(VALU_DEP_2)
	v_add_co_ci_u32_e32 v2, vcc_lo, 0, v2, vcc_lo
	global_load_b128 v[1:4], v[1:2], off
	s_waitcnt vmcnt(0)
	ds_store_b128 v5, v[1:4]
.LBB583_10:
	s_or_b32 exec_lo, exec_lo, s4
	v_and_b32_e32 v1, 0xef, v0
	s_waitcnt lgkmcnt(0)
	s_add_i32 s5, s28, 15
	s_clause 0x1
	s_load_b32 s4, s[0:1], 0x38
	s_load_b32 s33, s[0:1], 0x1c
	s_ashr_i32 s6, s5, 31
	v_add_nc_u32_e32 v1, s31, v1
	s_lshr_b32 s6, s6, 28
	s_waitcnt lgkmcnt(0)
	s_add_i32 s5, s5, s6
	s_barrier
	v_ashrrev_i32_e32 v2, 31, v1
	v_cmp_gt_i32_e32 vcc_lo, s28, v1
	s_ashr_i32 s16, s5, 4
	buffer_gl0_inv
	s_add_i32 s16, s16, -1
	v_lshrrev_b32_e32 v3, 28, v2
	v_or_b32_e32 v2, 16, v1
	v_mul_lo_u16 v105, v140, 43
	v_lshlrev_b32_e32 v106, 5, v140
	s_delay_alu instid0(VALU_DEP_4) | instskip(NEXT) | instid1(VALU_DEP_4)
	v_add_nc_u32_e32 v4, v1, v3
	v_add_nc_u32_e32 v3, v2, v3
	s_mul_i32 s4, s30, s4
	v_lshrrev_b16 v105, 8, v105
	s_ashr_i32 s5, s4, 31
	v_ashrrev_i32_e32 v4, 4, v4
	v_ashrrev_i32_e32 v3, 4, v3
	s_lshl_b64 s[4:5], s[4:5], 2
	v_mul_lo_u16 v105, v105, 6
	s_add_u32 s34, s2, s4
	v_cndmask_b32_e32 v1, s16, v4, vcc_lo
	v_cmp_gt_i32_e32 vcc_lo, s28, v2
	s_addc_u32 s35, s3, s5
	s_mul_i32 s2, s15, s18
	v_sub_nc_u16 v105, v140, v105
	v_ashrrev_i32_e32 v2, 31, v1
	v_cndmask_b32_e32 v3, s16, v3, vcc_lo
	s_ashr_i32 s3, s2, 31
	v_lshl_or_b32 v125, v141, 9, v106
	s_lshl_b64 s[2:3], s[2:3], 1
	v_lshlrev_b64 v[1:2], 2, v[1:2]
	v_ashrrev_i32_e32 v4, 31, v3
	s_add_u32 s24, s20, s2
	s_addc_u32 s25, s21, s3
	s_lshl_b32 s4, s14, 4
	v_and_b32_e32 v105, 0xff, v105
	v_lshlrev_b64 v[3:4], 2, v[3:4]
	v_add_co_u32 v1, vcc_lo, s34, v1
	v_add_co_ci_u32_e32 v2, vcc_lo, s35, v2, vcc_lo
	s_ashr_i32 s5, s4, 31
	s_delay_alu instid0(VALU_DEP_3) | instskip(NEXT) | instid1(VALU_DEP_4)
	v_add_co_u32 v3, vcc_lo, s34, v3
	v_add_co_ci_u32_e32 v4, vcc_lo, s35, v4, vcc_lo
	s_lshl_b64 s[4:5], s[4:5], 2
	s_clause 0x1
	global_load_b32 v5, v[1:2], off
	global_load_b32 v6, v[3:4], off
	s_add_u32 s4, s34, s4
	s_addc_u32 s5, s35, s5
	s_or_b32 s6, s31, 16
	v_lshlrev_b32_e32 v3, 4, v0
	s_ashr_i32 s7, s6, 4
	s_cmp_lt_i32 s6, s28
	v_lshlrev_b32_e32 v215, 6, v105
	s_cselect_b32 s6, s7, s16
	s_delay_alu instid0(SALU_CYCLE_1) | instskip(NEXT) | instid1(SALU_CYCLE_1)
	s_ashr_i32 s7, s6, 31
	s_lshl_b64 s[6:7], s[6:7], 2
	s_delay_alu instid0(SALU_CYCLE_1) | instskip(SKIP_2) | instid1(SALU_CYCLE_1)
	s_add_u32 s6, s34, s6
	s_addc_u32 s7, s35, s7
	s_or_b32 s8, s31, 32
	s_ashr_i32 s9, s8, 4
	s_cmp_lt_i32 s8, s28
	s_cselect_b32 s8, s9, s16
	s_delay_alu instid0(SALU_CYCLE_1) | instskip(NEXT) | instid1(SALU_CYCLE_1)
	s_ashr_i32 s9, s8, 31
	s_lshl_b64 s[8:9], s[8:9], 2
	s_delay_alu instid0(SALU_CYCLE_1) | instskip(SKIP_2) | instid1(SALU_CYCLE_1)
	s_add_u32 s8, s34, s8
	s_addc_u32 s9, s35, s9
	s_or_b32 s10, s31, 48
	s_ashr_i32 s11, s10, 4
	s_cmp_lt_i32 s10, s28
	;; [unrolled: 10-line block ×4, first 2 shown]
	s_cselect_b32 s12, s13, s16
	s_delay_alu instid0(SALU_CYCLE_1) | instskip(NEXT) | instid1(SALU_CYCLE_1)
	s_ashr_i32 s13, s12, 31
	s_lshl_b64 s[12:13], s[12:13], 2
	s_delay_alu instid0(SALU_CYCLE_1)
	s_add_u32 s20, s34, s12
	s_addc_u32 s21, s35, s13
	s_clause 0x5
	s_load_b32 s38, s[4:5], 0x0
	s_load_b32 s37, s[6:7], 0x0
	;; [unrolled: 1-line block ×6, first 2 shown]
	s_waitcnt vmcnt(1)
	v_mad_i64_i32 v[1:2], null, v5, s17, 0
	v_and_b32_e32 v5, 0xf0, v3
	s_waitcnt vmcnt(0)
	v_mad_i64_i32 v[3:4], null, v6, s17, 0
	s_delay_alu instid0(VALU_DEP_2) | instskip(NEXT) | instid1(VALU_DEP_4)
	v_add_co_u32 v5, s4, s24, v5
	v_lshlrev_b64 v[1:2], 1, v[1:2]
	v_add_co_ci_u32_e64 v6, null, s25, 0, s4
	s_delay_alu instid0(VALU_DEP_4) | instskip(SKIP_1) | instid1(VALU_DEP_3)
	v_lshlrev_b64 v[3:4], 1, v[3:4]
	s_or_b32 s4, s31, 0x60
	v_add_co_u32 v121, vcc_lo, v5, v1
	s_delay_alu instid0(VALU_DEP_3) | instskip(NEXT) | instid1(VALU_DEP_3)
	v_add_co_ci_u32_e32 v122, vcc_lo, v6, v2, vcc_lo
	v_add_co_u32 v123, vcc_lo, v5, v3
	s_delay_alu instid0(VALU_DEP_4)
	v_add_co_ci_u32_e32 v124, vcc_lo, v6, v4, vcc_lo
	s_clause 0x19
	global_load_b128 v[89:92], v[121:122], off
	global_load_b128 v[93:96], v[121:122], off offset:256
	global_load_b128 v[97:100], v[123:124], off
	global_load_b128 v[101:104], v[123:124], off offset:256
	global_load_b128 v[81:84], v[121:122], off offset:512
	;; [unrolled: 1-line block ×23, first 2 shown]
	s_ashr_i32 s5, s4, 4
	s_cmp_lt_i32 s4, s28
	ds_load_b128 v[105:108], v215
	ds_load_b128 v[109:112], v215 offset:1024
	s_cselect_b32 s4, s5, s16
	ds_load_b128 v[113:116], v215 offset:2048
	ds_load_b128 v[117:120], v215 offset:3072
	s_ashr_i32 s5, s4, 31
	ds_load_b128 v[143:146], v215 offset:4096
	ds_load_b128 v[147:150], v215 offset:5120
	s_lshl_b64 s[6:7], s[4:5], 2
	ds_load_b128 v[151:154], v215 offset:6144
	ds_load_b128 v[155:158], v215 offset:7168
	s_add_u32 s18, s34, s6
	s_addc_u32 s19, s35, s7
	s_or_b32 s5, s31, 0x70
	ds_load_b128 v[159:162], v215 offset:8192
	ds_load_b128 v[163:166], v215 offset:9216
	s_ashr_i32 s6, s5, 4
	s_cmp_lt_i32 s5, s28
	s_clause 0x1
	global_load_b128 v[167:170], v[123:124], off offset:3072
	global_load_b128 v[171:174], v[123:124], off offset:3328
	s_cselect_b32 s8, s6, s16
	s_mov_b32 s4, 0
	s_ashr_i32 s9, s8, 31
	s_mov_b32 s5, s4
	s_lshl_b64 s[8:9], s[8:9], 2
	s_mov_b32 s6, s4
	s_add_u32 s20, s34, s8
	s_addc_u32 s21, s35, s9
	s_clause 0x1
	s_load_b32 s44, s[18:19], 0x0
	s_load_b32 s45, s[20:21], 0x0
	s_clause 0x3
	global_load_b128 v[175:178], v[121:122], off offset:3584
	global_load_b128 v[179:182], v[121:122], off offset:3840
	;; [unrolled: 1-line block ×4, first 2 shown]
	s_or_b32 s8, s31, 0x80
	s_mov_b32 s7, s4
	s_ashr_i32 s9, s8, 4
	s_cmp_lt_i32 s8, s28
	s_mov_b32 s8, s4
	s_cselect_b32 s10, s9, s16
	s_mov_b32 s9, s4
	s_ashr_i32 s11, s10, 31
	s_delay_alu instid0(SALU_CYCLE_1)
	s_lshl_b64 s[24:25], s[10:11], 2
	s_mov_b32 s10, s4
	s_add_u32 s24, s34, s24
	s_addc_u32 s25, s35, s25
	s_or_b32 s11, s31, 0x90
	s_load_b32 s46, s[24:25], 0x0
	s_ashr_i32 s26, s11, 4
	s_cmp_lt_i32 s11, s28
	s_mov_b32 s11, s4
	s_cselect_b32 s26, s26, s16
	v_mov_b32_e32 v136, s11
	s_ashr_i32 s27, s26, 31
	v_dual_mov_b32 v135, s10 :: v_dual_mov_b32 v134, s9
	v_dual_mov_b32 v133, s8 :: v_dual_mov_b32 v132, s7
	;; [unrolled: 1-line block ×3, first 2 shown]
	v_mov_b32_e32 v129, s4
	s_lshl_b64 s[4:5], s[26:27], 2
	s_waitcnt lgkmcnt(0)
	s_mul_hi_i32 s7, s37, s17
	s_add_u32 s26, s34, s4
	s_addc_u32 s27, s35, s5
	s_or_b32 s4, s31, 0xa0
	s_load_b32 s39, s[26:27], 0x0
	s_ashr_i32 s5, s4, 4
	s_cmp_lt_i32 s4, s28
	s_cselect_b32 s4, s5, s16
	s_delay_alu instid0(SALU_CYCLE_1) | instskip(NEXT) | instid1(SALU_CYCLE_1)
	s_ashr_i32 s5, s4, 31
	s_lshl_b64 s[4:5], s[4:5], 2
	s_delay_alu instid0(SALU_CYCLE_1)
	s_add_u32 s40, s34, s4
	s_addc_u32 s41, s35, s5
	s_or_b32 s4, s31, 0xb0
	s_mul_hi_i32 s5, s38, s17
	s_ashr_i32 s6, s4, 4
	s_cmp_lt_i32 s4, s28
	s_mul_i32 s4, s38, s17
	s_load_b32 s38, s[40:41], 0x0
	s_cselect_b32 s8, s6, s16
	s_mul_i32 s6, s37, s17
	s_ashr_i32 s9, s8, 31
	s_mul_hi_i32 s27, s46, s17
	s_lshl_b64 s[10:11], s[8:9], 2
	s_mul_hi_i32 s9, s36, s17
	s_add_u32 s42, s34, s10
	s_addc_u32 s43, s35, s11
	s_or_b32 s10, s31, 0xc0
	s_mul_i32 s8, s36, s17
	s_ashr_i32 s36, s10, 4
	s_cmp_lt_i32 s10, s28
	s_mul_i32 s26, s46, s17
	s_cselect_b32 s36, s36, s16
	s_mul_hi_i32 s11, s13, s17
	s_ashr_i32 s37, s36, 31
	s_mul_i32 s10, s13, s17
	s_lshl_b64 s[36:37], s[36:37], 2
	s_mul_hi_i32 s13, s12, s17
	s_add_u32 s20, s34, s36
	s_addc_u32 s21, s35, s37
	s_or_b32 s18, s31, 0xd0
	s_mul_i32 s12, s12, s17
	s_ashr_i32 s19, s18, 4
	s_cmp_lt_i32 s18, s28
	s_mul_i32 s18, s15, s17
	s_cselect_b32 s24, s19, s16
	s_mul_hi_i32 s19, s15, s17
	s_ashr_i32 s25, s24, 31
	s_waitcnt lgkmcnt(0)
	s_mul_hi_i32 s41, s39, s17
	s_lshl_b64 s[24:25], s[24:25], 2
	s_delay_alu instid0(SALU_CYCLE_1)
	s_add_u32 s24, s34, s24
	s_addc_u32 s25, s35, s25
	s_or_b32 s40, s31, 0xe0
	s_clause 0x2
	s_load_b32 s37, s[42:43], 0x0
	s_load_b32 s36, s[20:21], 0x0
	;; [unrolled: 1-line block ×3, first 2 shown]
	s_ashr_i32 s47, s40, 4
	s_cmp_lt_i32 s40, s28
	s_mul_hi_i32 s21, s44, s17
	s_cselect_b32 s42, s47, s16
	s_mul_i32 s20, s44, s17
	s_ashr_i32 s43, s42, 31
	s_mul_hi_i32 s25, s45, s17
	s_lshl_b64 s[42:43], s[42:43], 2
	s_mul_i32 s24, s45, s17
	s_add_u32 s42, s34, s42
	s_addc_u32 s43, s35, s43
	s_or_b32 s44, s31, 0xf0
	s_mul_i32 s40, s39, s17
	s_ashr_i32 s46, s44, 4
	s_cmp_lt_i32 s44, s28
	s_mul_hi_i32 s39, s38, s17
	s_cselect_b32 s46, s46, s16
	s_mul_i32 s38, s38, s17
	s_ashr_i32 s47, s46, 31
	s_waitcnt lgkmcnt(0)
	s_mul_hi_i32 s49, s15, s17
	s_lshl_b64 s[46:47], s[46:47], 2
	s_mul_i32 s48, s15, s17
	s_add_u32 s34, s34, s46
	s_addc_u32 s35, s35, s47
	s_add_u32 s15, s22, s2
	s_addc_u32 s16, s23, s3
	v_add_co_u32 v216, s15, s15, v125
	s_delay_alu instid0(VALU_DEP_1) | instskip(SKIP_2) | instid1(VALU_DEP_2)
	v_add_co_ci_u32_e64 v217, null, s16, 0, s15
	s_lshl_b64 s[2:3], s[4:5], 1
	s_lshl_b64 s[4:5], s[6:7], 1
	v_add_co_u32 v125, vcc_lo, v216, s2
	s_delay_alu instid0(VALU_DEP_2)
	v_add_co_ci_u32_e32 v126, vcc_lo, s3, v217, vcc_lo
	v_add_co_u32 v199, vcc_lo, v216, s4
	s_lshl_b64 s[6:7], s[8:9], 1
	v_add_co_ci_u32_e32 v200, vcc_lo, s5, v217, vcc_lo
	s_lshl_b64 s[8:9], s[10:11], 1
	s_lshl_b64 s[10:11], s[12:13], 1
	;; [unrolled: 1-line block ×8, first 2 shown]
	s_mul_hi_i32 s45, s37, s17
	s_mul_i32 s44, s37, s17
	s_mul_hi_i32 s37, s36, s17
	s_lshl_b64 s[38:39], s[44:45], 1
	s_mul_i32 s36, s36, s17
	s_clause 0x1
	s_load_b32 s15, s[42:43], 0x0
	s_load_b32 s16, s[34:35], 0x0
	s_lshl_b64 s[36:37], s[36:37], 1
	s_lshl_b64 s[40:41], s[48:49], 1
	s_waitcnt lgkmcnt(0)
	s_mul_hi_i32 s3, s15, s17
	s_mul_i32 s2, s15, s17
	s_mul_hi_i32 s5, s16, s17
	s_lshl_b64 s[2:3], s[2:3], 1
	s_mul_i32 s4, s16, s17
	s_waitcnt vmcnt(30)
	v_wmma_f32_16x16x16_bf16 v[191:198], v[89:96], v[105:112], v[129:136]
	v_add_co_u32 v89, vcc_lo, v216, s6
	v_add_co_ci_u32_e32 v90, vcc_lo, s7, v217, vcc_lo
	v_add_co_u32 v91, vcc_lo, v216, s8
	v_add_co_ci_u32_e32 v92, vcc_lo, s9, v217, vcc_lo
	;; [unrolled: 2-line block ×5, first 2 shown]
	v_add_co_u32 v205, vcc_lo, v216, s20
	s_waitcnt vmcnt(28)
	v_wmma_f32_16x16x16_bf16 v[129:136], v[97:104], v[105:112], v[129:136]
	v_add_co_ci_u32_e32 v206, vcc_lo, s21, v217, vcc_lo
	v_add_co_u32 v207, vcc_lo, v216, s22
	v_add_co_ci_u32_e32 v208, vcc_lo, s23, v217, vcc_lo
	v_add_co_u32 v209, vcc_lo, v216, s24
	s_waitcnt vmcnt(26)
	v_wmma_f32_16x16x16_bf16 v[191:198], v[81:88], v[113:120], v[191:198]
	s_waitcnt vmcnt(24)
	v_wmma_f32_16x16x16_bf16 v[129:136], v[73:80], v[113:120], v[129:136]
	v_add_co_ci_u32_e32 v210, vcc_lo, s25, v217, vcc_lo
	v_add_co_u32 v211, vcc_lo, v216, s26
	v_add_co_ci_u32_e32 v212, vcc_lo, s27, v217, vcc_lo
	v_add_co_u32 v213, vcc_lo, v216, s38
	s_waitcnt vmcnt(22)
	v_wmma_f32_16x16x16_bf16 v[191:198], v[65:72], v[143:150], v[191:198]
	s_waitcnt vmcnt(20)
	v_wmma_f32_16x16x16_bf16 v[129:136], v[57:64], v[143:150], v[129:136]
	v_add_co_ci_u32_e32 v214, vcc_lo, s39, v217, vcc_lo
	v_add_co_u32 v143, vcc_lo, v216, s36
	s_waitcnt vmcnt(18)
	v_wmma_f32_16x16x16_bf16 v[191:198], v[49:56], v[151:158], v[191:198]
	s_waitcnt vmcnt(16)
	v_wmma_f32_16x16x16_bf16 v[129:136], v[41:48], v[151:158], v[129:136]
	v_add_co_ci_u32_e32 v144, vcc_lo, s37, v217, vcc_lo
	s_clause 0x15
	global_load_b128 v[121:124], v[125:126], off
	global_load_b128 v[125:128], v[125:126], off offset:16
	global_load_b128 v[113:116], v[199:200], off
	global_load_b128 v[117:120], v[199:200], off offset:16
	;; [unrolled: 2-line block ×11, first 2 shown]
	s_waitcnt vmcnt(36)
	v_wmma_f32_16x16x16_bf16 v[191:198], v[17:24], v[159:166], v[191:198]
	s_clause 0x1
	global_load_b128 v[17:20], v[213:214], off
	global_load_b128 v[21:24], v[213:214], off offset:16
	s_waitcnt vmcnt(36)
	v_wmma_f32_16x16x16_bf16 v[129:136], v[1:8], v[159:166], v[129:136]
	s_clause 0x1
	global_load_b128 v[1:4], v[143:144], off
	global_load_b128 v[5:8], v[143:144], off offset:16
	ds_load_b128 v[143:146], v215 offset:10240
	ds_load_b128 v[147:150], v215 offset:11264
	;; [unrolled: 1-line block ×4, first 2 shown]
	v_add_co_u32 v199, vcc_lo, v216, s40
	v_add_co_ci_u32_e32 v200, vcc_lo, s41, v217, vcc_lo
	v_add_co_u32 v159, vcc_lo, v216, s2
	v_add_co_ci_u32_e32 v160, vcc_lo, s3, v217, vcc_lo
	s_lshl_b64 s[2:3], s[4:5], 1
	s_delay_alu instid0(SALU_CYCLE_1)
	v_add_co_u32 v161, vcc_lo, v216, s2
	v_add_co_ci_u32_e32 v162, vcc_lo, s3, v217, vcc_lo
	s_waitcnt vmcnt(36) lgkmcnt(2)
	v_wmma_f32_16x16x16_bf16 v[191:198], v[33:40], v[143:150], v[191:198]
	s_waitcnt vmcnt(34)
	v_wmma_f32_16x16x16_bf16 v[129:136], v[25:32], v[143:150], v[129:136]
	s_clause 0x3
	global_load_b128 v[25:28], v[199:200], off
	global_load_b128 v[29:32], v[199:200], off offset:16
	global_load_b128 v[33:36], v[159:160], off
	global_load_b128 v[37:40], v[159:160], off offset:16
	v_and_b32_e32 v143, 0xe0, v0
	v_mbcnt_lo_u32_b32 v159, -1, 0
	s_waitcnt vmcnt(36) lgkmcnt(0)
	v_wmma_f32_16x16x16_bf16 v[191:198], v[9:16], v[151:158], v[191:198]
	s_clause 0x1
	global_load_b128 v[9:12], v[161:162], off
	global_load_b128 v[13:16], v[161:162], off offset:16
	s_waitcnt vmcnt(36)
	v_wmma_f32_16x16x16_bf16 v[129:136], v[167:174], v[151:158], v[129:136]
	v_add_nc_u32_e32 v160, s31, v143
	ds_load_b128 v[143:146], v215 offset:14336
	ds_load_b128 v[147:150], v215 offset:15360
	v_xor_b32_e32 v151, 16, v159
	s_waitcnt vmcnt(0) lgkmcnt(0)
	s_barrier
	v_or_b32_e32 v152, v160, v138
	buffer_gl0_inv
	v_cmp_gt_i32_e32 vcc_lo, 32, v151
	v_or_b32_e32 v153, 2, v152
	v_or_b32_e32 v154, 4, v152
	;; [unrolled: 1-line block ×5, first 2 shown]
	v_cmp_gt_i32_e64 s2, s28, v153
	v_cmp_gt_i32_e64 s3, s28, v154
	;; [unrolled: 1-line block ×3, first 2 shown]
	v_or_b32_e32 v158, 12, v152
	v_cmp_gt_i32_e64 s5, s28, v156
	v_cmp_gt_i32_e64 s6, s28, v157
	v_wmma_f32_16x16x16_bf16 v[191:198], v[175:182], v[143:150], v[191:198]
	v_wmma_f32_16x16x16_bf16 v[129:136], v[183:190], v[143:150], v[129:136]
	v_cndmask_b32_e32 v151, v159, v151, vcc_lo
	v_cmp_gt_i32_e32 vcc_lo, s28, v152
	v_or_b32_e32 v159, 14, v152
	v_dual_mul_f32 v149, s33, v192 :: v_dual_mul_f32 v150, s33, v191
	v_dual_mul_f32 v147, s33, v194 :: v_dual_mul_f32 v148, s33, v193
	;; [unrolled: 1-line block ×3, first 2 shown]
	s_delay_alu instid0(VALU_DEP_3) | instskip(NEXT) | instid1(VALU_DEP_4)
	v_cndmask_b32_e32 v150, 0xff7fffff, v150, vcc_lo
	v_cndmask_b32_e64 v149, 0xff7fffff, v149, s2
	v_mul_f32_e32 v146, s33, v195
	v_cndmask_b32_e64 v148, 0xff7fffff, v148, s3
	v_cndmask_b32_e64 v147, 0xff7fffff, v147, s4
	v_or_b32_e32 v160, 16, v152
	v_max3_f32 v149, v150, 0xff7fffff, v149
	v_or_b32_e32 v161, 18, v152
	v_dual_mul_f32 v143, s33, v198 :: v_dual_mul_f32 v144, s33, v197
	v_cndmask_b32_e64 v146, 0xff7fffff, v146, s5
	v_cndmask_b32_e64 v145, 0xff7fffff, v145, s6
	v_max3_f32 v147, v149, v148, v147
	v_cmp_gt_i32_e64 s7, s28, v158
	v_cmp_gt_i32_e64 s8, s28, v159
	v_or_b32_e32 v162, 20, v152
	v_or_b32_e32 v163, 22, v152
	v_mul_f32_e32 v175, s33, v129
	v_cndmask_b32_e64 v144, 0xff7fffff, v144, s7
	v_cndmask_b32_e64 v143, 0xff7fffff, v143, s8
	v_max3_f32 v145, v147, v146, v145
	v_cmp_gt_i32_e64 s9, s28, v160
	v_cmp_gt_i32_e64 s10, s28, v161
	v_or_b32_e32 v164, 24, v152
	v_or_b32_e32 v165, 26, v152
	v_dual_mul_f32 v172, s33, v132 :: v_dual_mul_f32 v173, s33, v131
	v_cndmask_b32_e64 v146, 0xff7fffff, v175, s9
	v_cndmask_b32_e64 v147, 0xff7fffff, v174, s10
	v_max3_f32 v143, v145, v144, v143
	v_cmp_gt_i32_e64 s11, s28, v162
	v_cmp_gt_i32_e64 s12, s28, v163
	v_or_b32_e32 v166, 28, v152
	v_or_b32_e32 v167, 30, v152
	v_dual_mul_f32 v170, s33, v134 :: v_dual_mul_f32 v171, s33, v133
	v_cndmask_b32_e64 v144, 0xff7fffff, v173, s11
	v_cndmask_b32_e64 v145, 0xff7fffff, v172, s12
	v_max3_f32 v143, v143, v146, v147
	v_cmp_gt_i32_e64 s13, s28, v164
	v_cmp_gt_i32_e64 s15, s28, v165
	v_dual_mul_f32 v168, s33, v136 :: v_dual_mul_f32 v169, s33, v135
	s_delay_alu instid0(VALU_DEP_4) | instskip(NEXT) | instid1(VALU_DEP_4)
	v_max3_f32 v143, v143, v144, v145
	v_cndmask_b32_e64 v146, 0xff7fffff, v171, s13
	s_delay_alu instid0(VALU_DEP_4) | instskip(SKIP_3) | instid1(VALU_DEP_4)
	v_cndmask_b32_e64 v147, 0xff7fffff, v170, s15
	v_cmp_gt_i32_e64 s16, s28, v166
	v_cmp_gt_i32_e64 s17, s28, v167
	v_lshlrev_b32_e32 v154, 2, v151
	v_max3_f32 v143, v143, v146, v147
	s_delay_alu instid0(VALU_DEP_4) | instskip(NEXT) | instid1(VALU_DEP_4)
	v_cndmask_b32_e64 v144, 0xff7fffff, v169, s16
	v_cndmask_b32_e64 v145, 0xff7fffff, v168, s17
	s_delay_alu instid0(VALU_DEP_1) | instskip(SKIP_3) | instid1(VALU_DEP_1)
	v_max3_f32 v143, v143, v144, v145
	ds_bpermute_b32 v144, v154, v143
	s_waitcnt lgkmcnt(0)
	v_max_f32_e32 v144, v144, v144
	v_max_f32_e32 v153, v143, v144
	s_delay_alu instid0(VALU_DEP_1) | instskip(SKIP_4) | instid1(VALU_DEP_4)
	v_fma_f32 v143, s33, v191, -v153
	v_fma_f32 v144, s33, v192, -v153
	;; [unrolled: 1-line block ×5, first 2 shown]
	v_dual_mul_f32 v143, 0x3fb8aa3b, v143 :: v_dual_mul_f32 v144, 0x3fb8aa3b, v144
	s_delay_alu instid0(VALU_DEP_4) | instskip(SKIP_2) | instid1(VALU_DEP_4)
	v_mul_f32_e32 v130, 0x3fb8aa3b, v130
	v_fma_f32 v132, s33, v132, -v153
	v_mul_f32_e32 v145, 0x3fb8aa3b, v145
	v_exp_f32_e32 v143, v143
	v_exp_f32_e32 v147, v144
	v_fma_f32 v148, s33, v195, -v153
	v_mul_f32_e32 v132, 0x3fb8aa3b, v132
	v_mul_f32_e32 v146, 0x3fb8aa3b, v146
	v_exp_f32_e32 v145, v145
	v_fma_f32 v151, s33, v197, -v153
	v_mul_f32_e32 v148, 0x3fb8aa3b, v148
	v_fma_f32 v134, s33, v134, -v153
	v_exp_f32_e32 v149, v146
	v_cndmask_b32_e32 v144, 0, v143, vcc_lo
	v_fma_f32 v143, s33, v196, -v153
	v_cndmask_b32_e64 v146, 0, v147, s2
	v_exp_f32_e32 v148, v148
	s_delay_alu instid0(VALU_DEP_3) | instskip(NEXT) | instid1(VALU_DEP_3)
	v_dual_mul_f32 v151, 0x3fb8aa3b, v151 :: v_dual_add_f32 v150, 0, v144
	v_dual_mul_f32 v143, 0x3fb8aa3b, v143 :: v_dual_mul_f32 v134, 0x3fb8aa3b, v134
	v_cndmask_b32_e64 v147, 0, v145, s3
	s_delay_alu instid0(TRANS32_DEP_2) | instskip(NEXT) | instid1(VALU_DEP_4)
	v_cndmask_b32_e64 v149, 0, v149, s4
	v_add_f32_e32 v145, v150, v146
	v_fma_f32 v150, s33, v198, -v153
	v_exp_f32_e32 v143, v143
	v_fma_f32 v129, s33, v129, -v153
	v_exp_f32_e32 v155, v151
	s_delay_alu instid0(VALU_DEP_2) | instskip(SKIP_1) | instid1(VALU_DEP_3)
	v_dual_add_f32 v145, v145, v147 :: v_dual_mul_f32 v152, 0x3fb8aa3b, v150
	v_cndmask_b32_e64 v150, 0, v148, s5
	v_mul_f32_e32 v129, 0x3fb8aa3b, v129
	v_fma_f32 v131, s33, v131, -v153
	s_delay_alu instid0(VALU_DEP_4) | instskip(SKIP_1) | instid1(TRANS32_DEP_3)
	v_add_f32_e32 v145, v145, v149
	v_exp_f32_e32 v152, v152
	v_cndmask_b32_e64 v151, 0, v143, s6
	v_exp_f32_e32 v129, v129
	s_delay_alu instid0(TRANS32_DEP_3)
	v_cndmask_b32_e64 v148, 0, v155, s7
	v_add_f32_e32 v143, v145, v150
	v_mul_f32_e32 v131, 0x3fb8aa3b, v131
	v_exp_f32_e32 v130, v130
	v_fma_f32 v133, s33, v133, -v153
	v_fma_f32 v136, s33, v136, -v153
	v_add_f32_e32 v143, v143, v151
	v_cndmask_b32_e64 v152, 0, v152, s8
	v_exp_f32_e32 v145, v131
	v_cndmask_b32_e64 v131, 0, v129, s9
	v_mul_f32_e32 v133, 0x3fb8aa3b, v133
	v_add_f32_e32 v143, v143, v148
	s_mov_b32 s2, exec_lo
	s_delay_alu instid0(VALU_DEP_1)
	v_add_f32_e32 v129, v143, v152
	v_exp_f32_e32 v143, v132
	v_cndmask_b32_e64 v132, 0, v130, s10
	v_fma_f32 v130, s33, v135, -v153
	v_exp_f32_e32 v135, v133
	v_add_f32_e32 v129, v129, v131
	v_cndmask_b32_e64 v133, 0, v145, s11
	v_exp_f32_e32 v145, v134
	s_delay_alu instid0(VALU_DEP_2) | instskip(NEXT) | instid1(TRANS32_DEP_3)
	v_dual_mul_f32 v130, 0x3fb8aa3b, v130 :: v_dual_add_f32 v129, v129, v132
	v_cndmask_b32_e64 v134, 0, v143, s12
	v_mul_f32_e32 v143, 0x3fb8aa3b, v136
	s_delay_alu instid0(VALU_DEP_3) | instskip(NEXT) | instid1(TRANS32_DEP_3)
	v_exp_f32_e32 v130, v130
	v_cndmask_b32_e64 v135, 0, v135, s13
	v_add_f32_e32 v129, v129, v133
	s_delay_alu instid0(TRANS32_DEP_2) | instskip(SKIP_1) | instid1(VALU_DEP_2)
	v_cndmask_b32_e64 v136, 0, v145, s15
	v_exp_f32_e32 v145, v143
	v_add_f32_e32 v129, v129, v134
	s_waitcnt_depctr 0xfff
	v_cndmask_b32_e64 v143, 0, v130, s16
	v_add_f32_e32 v129, v129, v135
	v_cndmask_b32_e64 v145, 0, v145, s17
	s_delay_alu instid0(VALU_DEP_2) | instskip(NEXT) | instid1(VALU_DEP_1)
	v_add_f32_e32 v129, v129, v136
	v_add_f32_e32 v129, v129, v143
	s_delay_alu instid0(VALU_DEP_1)
	v_add_f32_e32 v129, v129, v145
	ds_bpermute_b32 v130, v154, v129
	v_cmpx_gt_u32_e32 16, v142
	s_cbranch_execz .LBB583_12
; %bb.11:
	v_mul_u32_u24_e32 v142, 0x44, v141
	s_waitcnt lgkmcnt(0)
	v_add_f32_e32 v129, v129, v130
	s_delay_alu instid0(VALU_DEP_2) | instskip(NEXT) | instid1(VALU_DEP_1)
	v_lshl_add_u32 v142, v140, 2, v142
	v_add_nc_u32_e32 v130, 0x4000, v142
	ds_store_2addr_b32 v130, v153, v129 offset1:136
.LBB583_12:
	s_or_b32 exec_lo, exec_lo, s2
	v_lshlrev_b32_e32 v129, 2, v140
	s_waitcnt lgkmcnt(0)
	s_barrier
	buffer_gl0_inv
	v_cmp_eq_u32_e64 s2, 1, v141
	v_add_nc_u32_e32 v142, 0x4000, v129
	ds_load_2addr_b32 v[153:154], v142 offset1:17
	ds_load_2addr_b32 v[155:156], v142 offset0:34 offset1:51
	ds_load_2addr_b32 v[157:158], v142 offset0:68 offset1:85
	;; [unrolled: 1-line block ×4, first 2 shown]
	s_waitcnt lgkmcnt(4)
	v_max3_f32 v129, v153, 0xff7fffff, v154
	s_waitcnt lgkmcnt(3)
	s_delay_alu instid0(VALU_DEP_1) | instskip(SKIP_1) | instid1(VALU_DEP_1)
	v_max3_f32 v129, v129, v155, v156
	s_waitcnt lgkmcnt(2)
	v_max3_f32 v129, v129, v157, v158
	s_waitcnt lgkmcnt(1)
	s_delay_alu instid0(VALU_DEP_1) | instskip(NEXT) | instid1(VALU_DEP_1)
	v_max3_f32 v129, v129, v159, v160
	v_sub_f32_e32 v163, v154, v129
	v_sub_f32_e32 v130, v153, v129
	ds_load_2addr_b32 v[153:154], v142 offset0:170 offset1:187
	v_sub_f32_e32 v155, v155, v129
	v_dual_mul_f32 v163, 0x3fb8aa3b, v163 :: v_dual_mul_f32 v130, 0x3fb8aa3b, v130
	s_delay_alu instid0(VALU_DEP_2) | instskip(NEXT) | instid1(VALU_DEP_2)
	v_mul_f32_e32 v165, 0x3fb8aa3b, v155
	v_exp_f32_e32 v163, v163
	s_delay_alu instid0(VALU_DEP_2)
	v_exp_f32_e32 v164, v130
	v_sub_f32_e32 v130, v156, v129
	ds_load_2addr_b32 v[155:156], v142 offset0:204 offset1:221
	v_exp_f32_e32 v165, v165
	v_mul_f32_e32 v166, 0x3fb8aa3b, v130
	s_waitcnt lgkmcnt(2)
	v_fma_f32 v130, v164, v161, 0
	v_sub_f32_e32 v157, v157, v129
	s_delay_alu instid0(VALU_DEP_3) | instskip(NEXT) | instid1(VALU_DEP_2)
	v_exp_f32_e32 v166, v166
	v_dual_sub_f32 v161, v158, v129 :: v_dual_fmac_f32 v130, v163, v162
	s_waitcnt lgkmcnt(1)
	s_waitcnt_depctr 0xfff
	v_fmac_f32_e32 v130, v165, v153
	v_mul_f32_e32 v167, 0x3fb8aa3b, v157
	ds_load_2addr_b32 v[157:158], v142 offset0:238 offset1:255
	v_sub_f32_e32 v142, v159, v129
	v_dual_sub_f32 v153, v160, v129 :: v_dual_fmac_f32 v130, v166, v154
	v_mul_f32_e32 v159, 0x3fb8aa3b, v161
	v_exp_f32_e32 v161, v167
	s_delay_alu instid0(VALU_DEP_2)
	v_dual_mul_f32 v142, 0x3fb8aa3b, v142 :: v_dual_mul_f32 v153, 0x3fb8aa3b, v153
	s_waitcnt lgkmcnt(0)
	s_barrier
	buffer_gl0_inv
	v_exp_f32_e32 v142, v142
	v_exp_f32_e32 v153, v153
	v_fmac_f32_e32 v130, v161, v155
	v_exp_f32_e32 v159, v159
	s_waitcnt_depctr 0xfff
	v_fmac_f32_e32 v130, v159, v156
	s_delay_alu instid0(VALU_DEP_1) | instskip(NEXT) | instid1(VALU_DEP_1)
	v_fmac_f32_e32 v130, v142, v157
	v_fmac_f32_e32 v130, v153, v158
	s_delay_alu instid0(VALU_DEP_1) | instskip(NEXT) | instid1(VALU_DEP_1)
	v_add_f32_e32 v154, 0x358637bd, v130
	v_div_scale_f32 v155, null, v154, v154, 1.0
	v_div_scale_f32 v158, vcc_lo, 1.0, v154, 1.0
	s_delay_alu instid0(VALU_DEP_2) | instskip(SKIP_2) | instid1(VALU_DEP_1)
	v_rcp_f32_e32 v156, v155
	s_waitcnt_depctr 0xfff
	v_fma_f32 v157, -v155, v156, 1.0
	v_fmac_f32_e32 v156, v157, v156
	v_cndmask_b32_e64 v157, v164, v163, s2
	v_cmp_eq_u32_e64 s2, 2, v141
	s_delay_alu instid0(VALU_DEP_3) | instskip(NEXT) | instid1(VALU_DEP_2)
	v_mul_f32_e32 v160, v158, v156
	v_cndmask_b32_e64 v157, v157, v165, s2
	v_cmp_eq_u32_e64 s2, 3, v141
	s_delay_alu instid0(VALU_DEP_3) | instskip(NEXT) | instid1(VALU_DEP_2)
	v_fma_f32 v162, -v155, v160, v158
	v_cndmask_b32_e64 v157, v157, v166, s2
	v_cmp_eq_u32_e64 s2, 4, v141
	s_delay_alu instid0(VALU_DEP_3) | instskip(NEXT) | instid1(VALU_DEP_2)
	v_fmac_f32_e32 v160, v162, v156
	v_cndmask_b32_e64 v157, v157, v161, s2
	s_delay_alu instid0(VALU_DEP_2) | instskip(SKIP_1) | instid1(VALU_DEP_2)
	v_fma_f32 v155, -v155, v160, v158
	v_cmp_eq_u32_e64 s2, 5, v141
	v_div_fmas_f32 v155, v155, v156, v160
	s_delay_alu instid0(VALU_DEP_2) | instskip(SKIP_2) | instid1(VALU_DEP_3)
	v_cndmask_b32_e64 v157, v157, v159, s2
	v_cmp_eq_u32_e32 vcc_lo, 6, v141
	s_mov_b32 s2, exec_lo
	v_div_fixup_f32 v154, v155, v154, 1.0
	s_delay_alu instid0(VALU_DEP_3) | instskip(SKIP_1) | instid1(VALU_DEP_2)
	v_cndmask_b32_e32 v142, v157, v142, vcc_lo
	v_cmp_eq_u32_e32 vcc_lo, 7, v141
	v_cndmask_b32_e32 v142, v142, v153, vcc_lo
	s_delay_alu instid0(VALU_DEP_1) | instskip(NEXT) | instid1(VALU_DEP_1)
	v_mul_f32_e32 v142, v142, v154
	v_mul_f32_e32 v153, v142, v149
	;; [unrolled: 1-line block ×7, first 2 shown]
	v_dual_mul_f32 v150, v142, v147 :: v_dual_and_b32 v155, 0x7f800000, v154
	v_mul_f32_e32 v149, v142, v146
                                        ; implicit-def: $vgpr146
	s_delay_alu instid0(VALU_DEP_2)
	v_cmpx_ne_u32_e32 0x7f800000, v155
	s_xor_b32 s2, exec_lo, s2
; %bb.13:
	v_bfe_u32 v146, v154, 16, 1
	s_delay_alu instid0(VALU_DEP_1)
	v_add3_u32 v146, v154, v146, 0x7fff
                                        ; implicit-def: $vgpr154
; %bb.14:
	s_and_not1_saveexec_b32 s2, s2
; %bb.15:
	v_and_b32_e32 v146, 0xffff, v154
	v_or_b32_e32 v147, 0x10000, v154
	s_delay_alu instid0(VALU_DEP_2) | instskip(NEXT) | instid1(VALU_DEP_2)
	v_cmp_eq_u32_e32 vcc_lo, 0, v146
	v_cndmask_b32_e32 v146, v147, v154, vcc_lo
; %bb.16:
	s_or_b32 exec_lo, exec_lo, s2
	v_and_b32_e32 v147, 0x7f800000, v149
	s_delay_alu instid0(VALU_DEP_1) | instskip(SKIP_1) | instid1(SALU_CYCLE_1)
	v_cmp_ne_u32_e32 vcc_lo, 0x7f800000, v147
                                        ; implicit-def: $vgpr147
	s_and_saveexec_b32 s2, vcc_lo
	s_xor_b32 s2, exec_lo, s2
; %bb.17:
	v_bfe_u32 v147, v149, 16, 1
	s_delay_alu instid0(VALU_DEP_1)
	v_add3_u32 v147, v149, v147, 0x7fff
                                        ; implicit-def: $vgpr149
; %bb.18:
	s_and_not1_saveexec_b32 s2, s2
; %bb.19:
	v_and_b32_e32 v147, 0xffff, v149
	v_or_b32_e32 v154, 0x10000, v149
	s_delay_alu instid0(VALU_DEP_2) | instskip(NEXT) | instid1(VALU_DEP_2)
	v_cmp_eq_u32_e32 vcc_lo, 0, v147
	v_cndmask_b32_e32 v147, v154, v149, vcc_lo
; %bb.20:
	s_or_b32 exec_lo, exec_lo, s2
	v_and_b32_e32 v149, 0x7f800000, v150
	s_delay_alu instid0(VALU_DEP_1) | instskip(SKIP_1) | instid1(SALU_CYCLE_1)
	v_cmp_ne_u32_e32 vcc_lo, 0x7f800000, v149
                                        ; implicit-def: $vgpr149
	s_and_saveexec_b32 s2, vcc_lo
	s_xor_b32 s2, exec_lo, s2
; %bb.21:
	v_bfe_u32 v149, v150, 16, 1
	s_delay_alu instid0(VALU_DEP_1)
	v_add3_u32 v149, v150, v149, 0x7fff
                                        ; implicit-def: $vgpr150
; %bb.22:
	s_and_not1_saveexec_b32 s2, s2
; %bb.23:
	v_and_b32_e32 v149, 0xffff, v150
	v_or_b32_e32 v154, 0x10000, v150
	s_delay_alu instid0(VALU_DEP_2) | instskip(NEXT) | instid1(VALU_DEP_2)
	v_cmp_eq_u32_e32 vcc_lo, 0, v149
	v_cndmask_b32_e32 v149, v154, v150, vcc_lo
; %bb.24:
	s_or_b32 exec_lo, exec_lo, s2
	v_and_b32_e32 v150, 0x7f800000, v153
	s_delay_alu instid0(VALU_DEP_1) | instskip(SKIP_1) | instid1(SALU_CYCLE_1)
	v_cmp_ne_u32_e32 vcc_lo, 0x7f800000, v150
                                        ; implicit-def: $vgpr150
	s_and_saveexec_b32 s2, vcc_lo
	s_xor_b32 s2, exec_lo, s2
; %bb.25:
	v_bfe_u32 v150, v153, 16, 1
	s_delay_alu instid0(VALU_DEP_1)
	v_add3_u32 v150, v153, v150, 0x7fff
                                        ; implicit-def: $vgpr153
; %bb.26:
	s_and_not1_saveexec_b32 s2, s2
; %bb.27:
	v_and_b32_e32 v150, 0xffff, v153
	v_or_b32_e32 v154, 0x10000, v153
	s_delay_alu instid0(VALU_DEP_2) | instskip(NEXT) | instid1(VALU_DEP_2)
	v_cmp_eq_u32_e32 vcc_lo, 0, v150
	v_cndmask_b32_e32 v150, v154, v153, vcc_lo
; %bb.28:
	s_or_b32 exec_lo, exec_lo, s2
	v_and_b32_e32 v153, 0x7f800000, v152
	s_delay_alu instid0(VALU_DEP_1) | instskip(SKIP_1) | instid1(SALU_CYCLE_1)
	v_cmp_ne_u32_e32 vcc_lo, 0x7f800000, v153
                                        ; implicit-def: $vgpr153
	s_and_saveexec_b32 s2, vcc_lo
	s_xor_b32 s2, exec_lo, s2
; %bb.29:
	v_bfe_u32 v153, v152, 16, 1
	s_delay_alu instid0(VALU_DEP_1)
	v_add3_u32 v153, v152, v153, 0x7fff
                                        ; implicit-def: $vgpr152
; %bb.30:
	s_and_not1_saveexec_b32 s2, s2
; %bb.31:
	v_and_b32_e32 v153, 0xffff, v152
	v_or_b32_e32 v154, 0x10000, v152
	s_delay_alu instid0(VALU_DEP_2) | instskip(NEXT) | instid1(VALU_DEP_2)
	v_cmp_eq_u32_e32 vcc_lo, 0, v153
	v_cndmask_b32_e32 v153, v154, v152, vcc_lo
; %bb.32:
	s_or_b32 exec_lo, exec_lo, s2
	v_and_b32_e32 v152, 0x7f800000, v151
	s_delay_alu instid0(VALU_DEP_1) | instskip(SKIP_1) | instid1(SALU_CYCLE_1)
	v_cmp_ne_u32_e32 vcc_lo, 0x7f800000, v152
                                        ; implicit-def: $vgpr152
	s_and_saveexec_b32 s2, vcc_lo
	s_xor_b32 s2, exec_lo, s2
; %bb.33:
	v_bfe_u32 v152, v151, 16, 1
	s_delay_alu instid0(VALU_DEP_1)
	v_add3_u32 v152, v151, v152, 0x7fff
                                        ; implicit-def: $vgpr151
; %bb.34:
	s_and_not1_saveexec_b32 s2, s2
; %bb.35:
	v_and_b32_e32 v152, 0xffff, v151
	v_or_b32_e32 v154, 0x10000, v151
	s_delay_alu instid0(VALU_DEP_2) | instskip(NEXT) | instid1(VALU_DEP_2)
	v_cmp_eq_u32_e32 vcc_lo, 0, v152
	v_cndmask_b32_e32 v152, v154, v151, vcc_lo
; %bb.36:
	s_or_b32 exec_lo, exec_lo, s2
	v_and_b32_e32 v151, 0x7f800000, v148
	s_delay_alu instid0(VALU_DEP_1) | instskip(SKIP_1) | instid1(SALU_CYCLE_1)
	v_cmp_ne_u32_e32 vcc_lo, 0x7f800000, v151
                                        ; implicit-def: $vgpr151
	s_and_saveexec_b32 s2, vcc_lo
	s_xor_b32 s2, exec_lo, s2
; %bb.37:
	v_bfe_u32 v151, v148, 16, 1
	s_delay_alu instid0(VALU_DEP_1)
	v_add3_u32 v151, v148, v151, 0x7fff
                                        ; implicit-def: $vgpr148
; %bb.38:
	s_and_not1_saveexec_b32 s2, s2
; %bb.39:
	v_and_b32_e32 v151, 0xffff, v148
	v_or_b32_e32 v154, 0x10000, v148
	s_delay_alu instid0(VALU_DEP_2) | instskip(NEXT) | instid1(VALU_DEP_2)
	v_cmp_eq_u32_e32 vcc_lo, 0, v151
	v_cndmask_b32_e32 v151, v154, v148, vcc_lo
; %bb.40:
	s_or_b32 exec_lo, exec_lo, s2
	v_and_b32_e32 v148, 0x7f800000, v144
	s_delay_alu instid0(VALU_DEP_1) | instskip(SKIP_1) | instid1(SALU_CYCLE_1)
	v_cmp_ne_u32_e32 vcc_lo, 0x7f800000, v148
                                        ; implicit-def: $vgpr148
	s_and_saveexec_b32 s2, vcc_lo
	s_xor_b32 s2, exec_lo, s2
; %bb.41:
	v_bfe_u32 v148, v144, 16, 1
	s_delay_alu instid0(VALU_DEP_1)
	v_add3_u32 v148, v144, v148, 0x7fff
                                        ; implicit-def: $vgpr144
; %bb.42:
	s_and_not1_saveexec_b32 s2, s2
; %bb.43:
	v_and_b32_e32 v148, 0xffff, v144
	v_or_b32_e32 v154, 0x10000, v144
	s_delay_alu instid0(VALU_DEP_2) | instskip(NEXT) | instid1(VALU_DEP_2)
	v_cmp_eq_u32_e32 vcc_lo, 0, v148
	v_cndmask_b32_e32 v148, v154, v144, vcc_lo
; %bb.44:
	s_or_b32 exec_lo, exec_lo, s2
	s_load_b64 s[34:35], s[0:1], 0x94
	v_lshlrev_b32_e32 v155, 4, v138
	s_delay_alu instid0(VALU_DEP_2)
	v_perm_b32 v154, v148, v151, 0x7060302
	v_mul_f32_e32 v148, v142, v131
	v_dual_mul_f32 v145, v142, v145 :: v_dual_lshlrev_b32 v144, 6, v140
	v_dual_mul_f32 v143, v142, v143 :: v_dual_lshlrev_b32 v156, 11, v141
	v_perm_b32 v153, v152, v153, 0x7060302
	v_perm_b32 v152, v150, v149, 0x7060302
	;; [unrolled: 1-line block ×3, first 2 shown]
	s_delay_alu instid0(VALU_DEP_4)
	v_or3_b32 v131, v155, v156, v144
	v_mul_f32_e32 v136, v142, v136
	v_dual_mul_f32 v146, v142, v134 :: v_dual_and_b32 v149, 0x7f800000, v148
	v_mul_f32_e32 v135, v142, v135
	v_mul_f32_e32 v147, v142, v133
	;; [unrolled: 1-line block ×3, first 2 shown]
	s_mov_b32 s2, exec_lo
	ds_store_b128 v131, v[151:154]
                                        ; implicit-def: $vgpr132
	v_cmpx_ne_u32_e32 0x7f800000, v149
	s_xor_b32 s2, exec_lo, s2
; %bb.45:
	v_bfe_u32 v132, v148, 16, 1
	s_delay_alu instid0(VALU_DEP_1)
	v_add3_u32 v132, v148, v132, 0x7fff
                                        ; implicit-def: $vgpr148
; %bb.46:
	s_and_not1_saveexec_b32 s2, s2
; %bb.47:
	v_and_b32_e32 v132, 0xffff, v148
	v_or_b32_e32 v133, 0x10000, v148
	s_delay_alu instid0(VALU_DEP_2) | instskip(NEXT) | instid1(VALU_DEP_2)
	v_cmp_eq_u32_e32 vcc_lo, 0, v132
	v_cndmask_b32_e32 v132, v133, v148, vcc_lo
; %bb.48:
	s_or_b32 exec_lo, exec_lo, s2
	v_and_b32_e32 v133, 0x7f800000, v134
	s_delay_alu instid0(VALU_DEP_1) | instskip(SKIP_1) | instid1(SALU_CYCLE_1)
	v_cmp_ne_u32_e32 vcc_lo, 0x7f800000, v133
                                        ; implicit-def: $vgpr133
	s_and_saveexec_b32 s2, vcc_lo
	s_xor_b32 s2, exec_lo, s2
; %bb.49:
	v_bfe_u32 v133, v134, 16, 1
	s_delay_alu instid0(VALU_DEP_1)
	v_add3_u32 v133, v134, v133, 0x7fff
                                        ; implicit-def: $vgpr134
; %bb.50:
	s_and_not1_saveexec_b32 s2, s2
; %bb.51:
	v_and_b32_e32 v133, 0xffff, v134
	v_or_b32_e32 v142, 0x10000, v134
	s_delay_alu instid0(VALU_DEP_2) | instskip(NEXT) | instid1(VALU_DEP_2)
	v_cmp_eq_u32_e32 vcc_lo, 0, v133
	v_cndmask_b32_e32 v133, v142, v134, vcc_lo
; %bb.52:
	s_or_b32 exec_lo, exec_lo, s2
	v_and_b32_e32 v134, 0x7f800000, v147
	s_delay_alu instid0(VALU_DEP_1) | instskip(SKIP_1) | instid1(SALU_CYCLE_1)
	v_cmp_ne_u32_e32 vcc_lo, 0x7f800000, v134
                                        ; implicit-def: $vgpr134
	s_and_saveexec_b32 s2, vcc_lo
	s_xor_b32 s2, exec_lo, s2
; %bb.53:
	v_bfe_u32 v134, v147, 16, 1
	s_delay_alu instid0(VALU_DEP_1)
	v_add3_u32 v134, v147, v134, 0x7fff
                                        ; implicit-def: $vgpr147
; %bb.54:
	s_and_not1_saveexec_b32 s2, s2
; %bb.55:
	v_and_b32_e32 v134, 0xffff, v147
	v_or_b32_e32 v142, 0x10000, v147
	s_delay_alu instid0(VALU_DEP_2) | instskip(NEXT) | instid1(VALU_DEP_2)
	v_cmp_eq_u32_e32 vcc_lo, 0, v134
	v_cndmask_b32_e32 v134, v142, v147, vcc_lo
; %bb.56:
	s_or_b32 exec_lo, exec_lo, s2
	v_and_b32_e32 v142, 0x7f800000, v146
	s_delay_alu instid0(VALU_DEP_1) | instskip(SKIP_1) | instid1(SALU_CYCLE_1)
	v_cmp_ne_u32_e32 vcc_lo, 0x7f800000, v142
                                        ; implicit-def: $vgpr142
	s_and_saveexec_b32 s2, vcc_lo
	s_xor_b32 s2, exec_lo, s2
; %bb.57:
	v_bfe_u32 v142, v146, 16, 1
	s_delay_alu instid0(VALU_DEP_1)
	v_add3_u32 v142, v146, v142, 0x7fff
                                        ; implicit-def: $vgpr146
; %bb.58:
	s_and_not1_saveexec_b32 s2, s2
; %bb.59:
	v_and_b32_e32 v142, 0xffff, v146
	v_or_b32_e32 v147, 0x10000, v146
	s_delay_alu instid0(VALU_DEP_2) | instskip(NEXT) | instid1(VALU_DEP_2)
	v_cmp_eq_u32_e32 vcc_lo, 0, v142
	v_cndmask_b32_e32 v142, v147, v146, vcc_lo
; %bb.60:
	s_or_b32 exec_lo, exec_lo, s2
	v_and_b32_e32 v146, 0x7f800000, v135
	s_delay_alu instid0(VALU_DEP_1) | instskip(SKIP_1) | instid1(SALU_CYCLE_1)
	v_cmp_ne_u32_e32 vcc_lo, 0x7f800000, v146
                                        ; implicit-def: $vgpr146
	s_and_saveexec_b32 s2, vcc_lo
	s_xor_b32 s2, exec_lo, s2
; %bb.61:
	v_bfe_u32 v146, v135, 16, 1
	s_delay_alu instid0(VALU_DEP_1)
	v_add3_u32 v146, v135, v146, 0x7fff
                                        ; implicit-def: $vgpr135
; %bb.62:
	s_and_not1_saveexec_b32 s2, s2
; %bb.63:
	v_and_b32_e32 v146, 0xffff, v135
	v_or_b32_e32 v147, 0x10000, v135
	s_delay_alu instid0(VALU_DEP_2) | instskip(NEXT) | instid1(VALU_DEP_2)
	v_cmp_eq_u32_e32 vcc_lo, 0, v146
	v_cndmask_b32_e32 v146, v147, v135, vcc_lo
; %bb.64:
	s_or_b32 exec_lo, exec_lo, s2
	v_and_b32_e32 v135, 0x7f800000, v136
	s_delay_alu instid0(VALU_DEP_1) | instskip(SKIP_1) | instid1(SALU_CYCLE_1)
	v_cmp_ne_u32_e32 vcc_lo, 0x7f800000, v135
                                        ; implicit-def: $vgpr135
	s_and_saveexec_b32 s2, vcc_lo
	s_xor_b32 s2, exec_lo, s2
; %bb.65:
	v_bfe_u32 v135, v136, 16, 1
	s_delay_alu instid0(VALU_DEP_1)
	v_add3_u32 v135, v136, v135, 0x7fff
                                        ; implicit-def: $vgpr136
; %bb.66:
	s_and_not1_saveexec_b32 s2, s2
; %bb.67:
	v_and_b32_e32 v135, 0xffff, v136
	v_or_b32_e32 v147, 0x10000, v136
	s_delay_alu instid0(VALU_DEP_2) | instskip(NEXT) | instid1(VALU_DEP_2)
	v_cmp_eq_u32_e32 vcc_lo, 0, v135
	v_cndmask_b32_e32 v135, v147, v136, vcc_lo
; %bb.68:
	s_or_b32 exec_lo, exec_lo, s2
	v_and_b32_e32 v136, 0x7f800000, v143
	s_delay_alu instid0(VALU_DEP_1) | instskip(SKIP_1) | instid1(SALU_CYCLE_1)
	v_cmp_ne_u32_e32 vcc_lo, 0x7f800000, v136
                                        ; implicit-def: $vgpr136
	s_and_saveexec_b32 s2, vcc_lo
	s_xor_b32 s2, exec_lo, s2
; %bb.69:
	v_bfe_u32 v136, v143, 16, 1
	s_delay_alu instid0(VALU_DEP_1)
	v_add3_u32 v136, v143, v136, 0x7fff
                                        ; implicit-def: $vgpr143
; %bb.70:
	s_and_not1_saveexec_b32 s2, s2
; %bb.71:
	v_and_b32_e32 v136, 0xffff, v143
	v_or_b32_e32 v147, 0x10000, v143
	s_delay_alu instid0(VALU_DEP_2) | instskip(NEXT) | instid1(VALU_DEP_2)
	v_cmp_eq_u32_e32 vcc_lo, 0, v136
	v_cndmask_b32_e32 v136, v147, v143, vcc_lo
; %bb.72:
	s_or_b32 exec_lo, exec_lo, s2
	v_and_b32_e32 v143, 0x7f800000, v145
	s_delay_alu instid0(VALU_DEP_1) | instskip(SKIP_1) | instid1(SALU_CYCLE_1)
	v_cmp_ne_u32_e32 vcc_lo, 0x7f800000, v143
                                        ; implicit-def: $vgpr143
	s_and_saveexec_b32 s2, vcc_lo
	s_xor_b32 s2, exec_lo, s2
; %bb.73:
	v_bfe_u32 v143, v145, 16, 1
	s_delay_alu instid0(VALU_DEP_1)
	v_add3_u32 v143, v145, v143, 0x7fff
                                        ; implicit-def: $vgpr145
; %bb.74:
	s_and_not1_saveexec_b32 s2, s2
; %bb.75:
	v_and_b32_e32 v143, 0xffff, v145
	v_or_b32_e32 v147, 0x10000, v145
	s_delay_alu instid0(VALU_DEP_2) | instskip(NEXT) | instid1(VALU_DEP_2)
	v_cmp_eq_u32_e32 vcc_lo, 0, v143
	v_cndmask_b32_e32 v143, v147, v145, vcc_lo
; %bb.76:
	s_or_b32 exec_lo, exec_lo, s2
	s_delay_alu instid0(VALU_DEP_1)
	v_perm_b32 v136, v143, v136, 0x7060302
	v_perm_b32 v135, v135, v146, 0x7060302
	;; [unrolled: 1-line block ×4, first 2 shown]
	v_lshl_or_b32 v145, v141, 11, v144
	v_lshlrev_b32_e32 v142, 2, v138
	ds_store_b128 v131, v[133:136] offset:1024
	s_waitcnt lgkmcnt(0)
	s_barrier
	buffer_gl0_inv
	ds_load_b128 v[132:135], v145
	ds_load_b128 v[147:150], v145 offset:16
	v_or_b32_e32 v143, 1, v142
	v_cmp_eq_u32_e64 s11, 1, v142
	v_cmp_eq_u32_e64 s10, 2, v142
	;; [unrolled: 1-line block ×3, first 2 shown]
	v_or_b32_e32 v141, 2, v142
	v_cmp_eq_u32_e64 s6, 1, v143
	v_cmp_eq_u32_e64 s5, 2, v143
	;; [unrolled: 1-line block ×8, first 2 shown]
	v_cmp_eq_u32_e32 vcc_lo, 5, v143
	v_cmp_eq_u32_e64 s9, 2, v141
	v_cmp_eq_u32_e64 s3, 6, v143
	;; [unrolled: 1-line block ×4, first 2 shown]
	s_waitcnt lgkmcnt(1)
	v_lshrrev_b32_e32 v136, 16, v132
	s_waitcnt lgkmcnt(0)
	v_lshrrev_b32_e32 v155, 16, v147
	v_lshrrev_b32_e32 v161, 16, v148
	;; [unrolled: 1-line block ×4, first 2 shown]
	v_cndmask_b32_e64 v146, v132, v136, s11
	v_cndmask_b32_e64 v151, v147, v155, s11
	;; [unrolled: 1-line block ×4, first 2 shown]
	v_lshrrev_b32_e32 v160, 16, v134
	v_cndmask_b32_e64 v146, v146, v133, s10
	v_cndmask_b32_e64 v151, v151, v148, s10
	;; [unrolled: 1-line block ×8, first 2 shown]
	v_lshrrev_b32_e32 v164, 16, v150
	v_cndmask_b32_e64 v153, v153, v161, s4
	v_cndmask_b32_e64 v146, v146, v134, s16
	;; [unrolled: 1-line block ×5, first 2 shown]
	v_lshrrev_b32_e32 v162, 16, v135
	v_cndmask_b32_e64 v146, v146, v160, s12
	v_cndmask_b32_e64 v151, v151, v163, s12
	v_cndmask_b32_e32 v152, v152, v160, vcc_lo
	v_cndmask_b32_e64 v153, v153, v149, s2
	v_cmp_eq_u32_e64 s18, 7, v143
	v_cndmask_b32_e64 v146, v146, v135, s13
	v_cndmask_b32_e64 v151, v151, v150, s13
	;; [unrolled: 1-line block ×4, first 2 shown]
	v_cmp_eq_u32_e64 s19, 4, v141
	v_cndmask_b32_e64 v165, v146, v162, s8
	v_cndmask_b32_e64 v166, v151, v164, s8
	;; [unrolled: 1-line block ×3, first 2 shown]
	v_or_b32_e32 v146, 3, v142
	v_cndmask_b32_e64 v167, v152, v162, s18
	v_cndmask_b32_e32 v156, v153, v163, vcc_lo
	v_cndmask_b32_e64 v158, v154, v134, s19
	v_cndmask_b32_e64 v157, v151, v148, s9
	ds_load_b128 v[151:154], v145 offset:1024
	v_cmp_eq_u32_e64 s20, 1, v146
	v_cmp_eq_u32_e64 s21, 5, v141
	;; [unrolled: 1-line block ×3, first 2 shown]
	v_cndmask_b32_e64 v157, v157, v161, s17
	v_cmp_eq_u32_e64 s23, 3, v146
	v_cndmask_b32_e64 v132, v132, v136, s20
	v_cndmask_b32_e64 v136, v156, v150, s3
	;; [unrolled: 1-line block ×5, first 2 shown]
	ds_load_b128 v[155:158], v145 offset:1040
	v_cndmask_b32_e64 v132, v132, v133, s22
	v_cmp_eq_u32_e64 s25, 4, v146
	v_cmp_eq_u32_e64 s27, 5, v146
	v_cndmask_b32_e64 v147, v147, v148, s22
	v_cmp_eq_u32_e64 s24, 6, v141
	v_cndmask_b32_e64 v132, v132, v159, s23
	v_cmp_eq_u32_e64 s28, 6, v146
	v_cndmask_b32_e64 v133, v169, v163, s21
	v_cndmask_b32_e64 v147, v147, v161, s23
	s_waitcnt lgkmcnt(1)
	v_lshrrev_b32_e32 v159, 16, v151
	v_cndmask_b32_e64 v132, v132, v134, s25
	v_cndmask_b32_e64 v148, v168, v135, s24
	;; [unrolled: 1-line block ×6, first 2 shown]
	v_lshrrev_b32_e32 v160, 16, v152
	v_cndmask_b32_e64 v161, v151, v159, s6
	v_cndmask_b32_e64 v134, v134, v163, s27
	s_waitcnt lgkmcnt(0)
	v_lshrrev_b32_e32 v149, 16, v155
	v_cndmask_b32_e64 v147, v147, v152, s10
	v_cndmask_b32_e64 v132, v132, v135, s28
	v_cmp_eq_u32_e64 s26, 7, v141
	v_cndmask_b32_e64 v134, v134, v150, s28
	v_cndmask_b32_e64 v163, v155, v149, s11
	;; [unrolled: 1-line block ×4, first 2 shown]
	v_lshrrev_b32_e32 v161, 16, v156
	v_cndmask_b32_e64 v136, v136, v164, s18
	v_cndmask_b32_e64 v150, v163, v156, s10
	v_cmp_eq_u32_e64 s10, 7, v146
	v_cndmask_b32_e64 v147, v147, v160, s4
	v_cndmask_b32_e64 v135, v135, v153, s16
	v_lshrrev_b32_e32 v163, 16, v153
	v_cndmask_b32_e64 v150, v150, v161, s15
	v_cndmask_b32_e64 v132, v132, v162, s10
	;; [unrolled: 1-line block ×8, first 2 shown]
	v_lshrrev_b32_e32 v164, 16, v157
	v_perm_b32 v135, v134, v132, 0x5040100
	v_cndmask_b32_e32 v132, v147, v163, vcc_lo
	v_cndmask_b32_e64 v147, v162, v154, s13
	v_lshrrev_b32_e32 v162, 16, v154
	v_cndmask_b32_e64 v150, v150, v164, s12
	v_perm_b32 v134, v133, v148, 0x5040100
	v_cndmask_b32_e64 v132, v132, v154, s3
	v_perm_b32 v133, v136, v167, 0x5040100
	v_cndmask_b32_e64 v136, v147, v162, s8
	v_cndmask_b32_e64 v147, v150, v158, s13
	;; [unrolled: 1-line block ×27, first 2 shown]
	v_cndmask_b32_e32 v149, v149, v164, vcc_lo
	v_lshrrev_b32_e32 v148, 16, v158
	v_cndmask_b32_e64 v132, v132, v154, s24
	v_cndmask_b32_e64 v150, v150, v154, s28
	;; [unrolled: 1-line block ×11, first 2 shown]
	v_perm_b32 v132, v166, v165, 0x5040100
	v_perm_b32 v150, v151, v150, 0x5040100
	;; [unrolled: 1-line block ×5, first 2 shown]
	s_mul_i32 s7, s35, 6
	s_mov_b32 s2, exec_lo
	ds_store_b128 v131, v[132:135]
	ds_store_b128 v131, v[147:150] offset:1024
	v_cmpx_gt_u32_e32 6, v0
	s_cbranch_execz .LBB583_78
; %bb.77:
	s_mul_i32 s3, s7, s30
	s_load_b128 s[8:11], s[0:1], 0x58
	v_add3_u32 v133, s3, s29, v140
	s_delay_alu instid0(VALU_DEP_1) | instskip(NEXT) | instid1(VALU_DEP_1)
	v_mad_u64_u32 v[131:132], null, v133, s34, s[14:15]
	v_ashrrev_i32_e32 v132, 31, v131
	s_delay_alu instid0(VALU_DEP_1) | instskip(SKIP_1) | instid1(VALU_DEP_1)
	v_lshlrev_b64 v[131:132], 2, v[131:132]
	s_waitcnt lgkmcnt(0)
	v_add_co_u32 v133, vcc_lo, s10, v131
	s_delay_alu instid0(VALU_DEP_2)
	v_add_co_ci_u32_e32 v134, vcc_lo, s11, v132, vcc_lo
	v_add_co_u32 v131, vcc_lo, s8, v131
	v_add_co_ci_u32_e32 v132, vcc_lo, s9, v132, vcc_lo
	global_store_b32 v[133:134], v129, off
	global_store_b32 v[131:132], v130, off
.LBB583_78:
	s_or_b32 exec_lo, exec_lo, s2
	s_waitcnt lgkmcnt(0)
	s_waitcnt_vscnt null, 0x0
	s_barrier
	buffer_gl0_inv
	ds_load_b128 v[147:150], v144
	ds_load_b128 v[151:154], v144 offset:16
	ds_load_b128 v[159:162], v144 offset:1040
	;; [unrolled: 1-line block ×3, first 2 shown]
	v_mov_b32_e32 v129, 0
	ds_load_b128 v[167:170], v144 offset:2064
	ds_load_b128 v[163:166], v144 offset:2048
	;; [unrolled: 1-line block ×6, first 2 shown]
	v_mov_b32_e32 v130, v129
	v_mov_b32_e32 v131, v129
	v_mov_b32_e32 v132, v129
	v_mov_b32_e32 v133, v129
	v_mov_b32_e32 v134, v129
	v_mov_b32_e32 v135, v129
	v_mov_b32_e32 v136, v129
	s_waitcnt lgkmcnt(8)
	s_delay_alu instid0(VALU_DEP_1)
	v_wmma_f32_16x16x16_bf16 v[129:136], v[121:128], v[147:154], v[129:136]
	ds_load_b128 v[125:128], v144 offset:5136
	ds_load_b128 v[121:124], v144 offset:5120
	s_waitcnt lgkmcnt(8)
	v_wmma_f32_16x16x16_bf16 v[129:136], v[113:120], v[155:162], v[129:136]
	ds_load_b128 v[117:120], v144 offset:6160
	ds_load_b128 v[113:116], v144 offset:6144
	s_waitcnt lgkmcnt(8)
	;; [unrolled: 4-line block ×8, first 2 shown]
	v_wmma_f32_16x16x16_bf16 v[129:136], v[65:72], v[97:104], v[129:136]
	s_waitcnt lgkmcnt(6)
	s_delay_alu instid0(VALU_DEP_1)
	v_wmma_f32_16x16x16_bf16 v[129:136], v[49:56], v[89:96], v[129:136]
	ds_load_b128 v[53:56], v144 offset:13328
	ds_load_b128 v[49:52], v144 offset:13312
	s_waitcnt lgkmcnt(6)
	v_wmma_f32_16x16x16_bf16 v[129:136], v[41:48], v[81:88], v[129:136]
	ds_load_b128 v[45:48], v144 offset:14352
	ds_load_b128 v[41:44], v144 offset:14336
	s_waitcnt lgkmcnt(6)
	;; [unrolled: 4-line block ×3, first 2 shown]
	v_wmma_f32_16x16x16_bf16 v[129:136], v[1:8], v[57:64], v[129:136]
	s_waitcnt lgkmcnt(4)
	s_delay_alu instid0(VALU_DEP_1) | instskip(SKIP_1) | instid1(VALU_DEP_1)
	v_wmma_f32_16x16x16_bf16 v[129:136], v[25:32], v[49:56], v[129:136]
	s_waitcnt lgkmcnt(2)
	v_wmma_f32_16x16x16_bf16 v[129:136], v[33:40], v[41:48], v[129:136]
	s_waitcnt lgkmcnt(0)
	s_delay_alu instid0(VALU_DEP_1) | instskip(NEXT) | instid1(VALU_DEP_1)
	v_wmma_f32_16x16x16_bf16 v[129:136], v[9:16], v[17:24], v[129:136]
	v_and_b32_e32 v1, 0x7f800000, v129
	s_delay_alu instid0(VALU_DEP_1) | instskip(SKIP_1) | instid1(SALU_CYCLE_1)
	v_cmp_ne_u32_e32 vcc_lo, 0x7f800000, v1
                                        ; implicit-def: $vgpr1
	s_and_saveexec_b32 s2, vcc_lo
	s_xor_b32 s2, exec_lo, s2
; %bb.79:
	v_bfe_u32 v1, v129, 16, 1
	s_delay_alu instid0(VALU_DEP_1)
	v_add3_u32 v1, v129, v1, 0x7fff
; %bb.80:
	s_and_not1_saveexec_b32 s2, s2
; %bb.81:
	v_and_b32_e32 v1, 0xffff, v129
	v_or_b32_e32 v2, 0x10000, v129
	s_delay_alu instid0(VALU_DEP_2) | instskip(NEXT) | instid1(VALU_DEP_2)
	v_cmp_eq_u32_e32 vcc_lo, 0, v1
	v_cndmask_b32_e32 v1, v2, v129, vcc_lo
; %bb.82:
	s_or_b32 exec_lo, exec_lo, s2
	v_and_b32_e32 v2, 0x7f800000, v130
	s_delay_alu instid0(VALU_DEP_1) | instskip(SKIP_1) | instid1(SALU_CYCLE_1)
	v_cmp_ne_u32_e32 vcc_lo, 0x7f800000, v2
                                        ; implicit-def: $vgpr2
	s_and_saveexec_b32 s2, vcc_lo
	s_xor_b32 s2, exec_lo, s2
; %bb.83:
	v_bfe_u32 v2, v130, 16, 1
	s_delay_alu instid0(VALU_DEP_1)
	v_add3_u32 v2, v130, v2, 0x7fff
; %bb.84:
	s_and_not1_saveexec_b32 s2, s2
; %bb.85:
	v_and_b32_e32 v2, 0xffff, v130
	v_or_b32_e32 v3, 0x10000, v130
	s_delay_alu instid0(VALU_DEP_2) | instskip(NEXT) | instid1(VALU_DEP_2)
	v_cmp_eq_u32_e32 vcc_lo, 0, v2
	v_cndmask_b32_e32 v2, v3, v130, vcc_lo
; %bb.86:
	s_or_b32 exec_lo, exec_lo, s2
	v_and_b32_e32 v3, 0x7f800000, v131
	s_delay_alu instid0(VALU_DEP_1) | instskip(SKIP_1) | instid1(SALU_CYCLE_1)
	v_cmp_ne_u32_e32 vcc_lo, 0x7f800000, v3
                                        ; implicit-def: $vgpr3
	s_and_saveexec_b32 s2, vcc_lo
	s_xor_b32 s2, exec_lo, s2
; %bb.87:
	v_bfe_u32 v3, v131, 16, 1
	s_delay_alu instid0(VALU_DEP_1)
	v_add3_u32 v3, v131, v3, 0x7fff
; %bb.88:
	s_and_not1_saveexec_b32 s2, s2
; %bb.89:
	v_and_b32_e32 v3, 0xffff, v131
	v_or_b32_e32 v4, 0x10000, v131
	s_delay_alu instid0(VALU_DEP_2) | instskip(NEXT) | instid1(VALU_DEP_2)
	v_cmp_eq_u32_e32 vcc_lo, 0, v3
	v_cndmask_b32_e32 v3, v4, v131, vcc_lo
; %bb.90:
	s_or_b32 exec_lo, exec_lo, s2
	v_and_b32_e32 v4, 0x7f800000, v132
	s_delay_alu instid0(VALU_DEP_1) | instskip(SKIP_1) | instid1(SALU_CYCLE_1)
	v_cmp_ne_u32_e32 vcc_lo, 0x7f800000, v4
                                        ; implicit-def: $vgpr4
	s_and_saveexec_b32 s2, vcc_lo
	s_xor_b32 s2, exec_lo, s2
; %bb.91:
	v_bfe_u32 v4, v132, 16, 1
	s_delay_alu instid0(VALU_DEP_1)
	v_add3_u32 v4, v132, v4, 0x7fff
; %bb.92:
	s_and_not1_saveexec_b32 s2, s2
; %bb.93:
	v_and_b32_e32 v4, 0xffff, v132
	v_or_b32_e32 v5, 0x10000, v132
	s_delay_alu instid0(VALU_DEP_2) | instskip(NEXT) | instid1(VALU_DEP_2)
	v_cmp_eq_u32_e32 vcc_lo, 0, v4
	v_cndmask_b32_e32 v4, v5, v132, vcc_lo
; %bb.94:
	s_or_b32 exec_lo, exec_lo, s2
	v_and_b32_e32 v5, 0x7f800000, v133
	s_delay_alu instid0(VALU_DEP_1) | instskip(SKIP_1) | instid1(SALU_CYCLE_1)
	v_cmp_ne_u32_e32 vcc_lo, 0x7f800000, v5
                                        ; implicit-def: $vgpr5
	s_and_saveexec_b32 s2, vcc_lo
	s_xor_b32 s2, exec_lo, s2
; %bb.95:
	v_bfe_u32 v5, v133, 16, 1
	s_delay_alu instid0(VALU_DEP_1)
	v_add3_u32 v5, v133, v5, 0x7fff
; %bb.96:
	s_and_not1_saveexec_b32 s2, s2
; %bb.97:
	v_and_b32_e32 v5, 0xffff, v133
	v_or_b32_e32 v6, 0x10000, v133
	s_delay_alu instid0(VALU_DEP_2) | instskip(NEXT) | instid1(VALU_DEP_2)
	v_cmp_eq_u32_e32 vcc_lo, 0, v5
	v_cndmask_b32_e32 v5, v6, v133, vcc_lo
; %bb.98:
	s_or_b32 exec_lo, exec_lo, s2
	v_and_b32_e32 v6, 0x7f800000, v134
	s_delay_alu instid0(VALU_DEP_1) | instskip(SKIP_1) | instid1(SALU_CYCLE_1)
	v_cmp_ne_u32_e32 vcc_lo, 0x7f800000, v6
                                        ; implicit-def: $vgpr6
	s_and_saveexec_b32 s2, vcc_lo
	s_xor_b32 s2, exec_lo, s2
; %bb.99:
	v_bfe_u32 v6, v134, 16, 1
	s_delay_alu instid0(VALU_DEP_1)
	v_add3_u32 v6, v134, v6, 0x7fff
; %bb.100:
	s_and_not1_saveexec_b32 s2, s2
; %bb.101:
	v_and_b32_e32 v6, 0xffff, v134
	v_or_b32_e32 v7, 0x10000, v134
	s_delay_alu instid0(VALU_DEP_2) | instskip(NEXT) | instid1(VALU_DEP_2)
	v_cmp_eq_u32_e32 vcc_lo, 0, v6
	v_cndmask_b32_e32 v6, v7, v134, vcc_lo
; %bb.102:
	s_or_b32 exec_lo, exec_lo, s2
	v_and_b32_e32 v7, 0x7f800000, v135
	s_delay_alu instid0(VALU_DEP_1) | instskip(SKIP_1) | instid1(SALU_CYCLE_1)
	v_cmp_ne_u32_e32 vcc_lo, 0x7f800000, v7
                                        ; implicit-def: $vgpr7
	s_and_saveexec_b32 s2, vcc_lo
	s_xor_b32 s2, exec_lo, s2
; %bb.103:
	v_bfe_u32 v7, v135, 16, 1
	s_delay_alu instid0(VALU_DEP_1)
	v_add3_u32 v7, v135, v7, 0x7fff
; %bb.104:
	s_and_not1_saveexec_b32 s2, s2
; %bb.105:
	v_and_b32_e32 v7, 0xffff, v135
	v_or_b32_e32 v8, 0x10000, v135
	s_delay_alu instid0(VALU_DEP_2) | instskip(NEXT) | instid1(VALU_DEP_2)
	v_cmp_eq_u32_e32 vcc_lo, 0, v7
	v_cndmask_b32_e32 v7, v8, v135, vcc_lo
; %bb.106:
	s_or_b32 exec_lo, exec_lo, s2
	v_and_b32_e32 v8, 0x7f800000, v136
	s_delay_alu instid0(VALU_DEP_1) | instskip(SKIP_1) | instid1(SALU_CYCLE_1)
	v_cmp_ne_u32_e32 vcc_lo, 0x7f800000, v8
                                        ; implicit-def: $vgpr8
	s_and_saveexec_b32 s2, vcc_lo
	s_xor_b32 s2, exec_lo, s2
; %bb.107:
	v_bfe_u32 v8, v136, 16, 1
	s_delay_alu instid0(VALU_DEP_1)
	v_add3_u32 v8, v136, v8, 0x7fff
                                        ; implicit-def: $vgpr129_vgpr130_vgpr131_vgpr132_vgpr133_vgpr134_vgpr135_vgpr136
; %bb.108:
	s_and_not1_saveexec_b32 s2, s2
; %bb.109:
	v_and_b32_e32 v8, 0xffff, v136
	v_or_b32_e32 v9, 0x10000, v136
	s_delay_alu instid0(VALU_DEP_2) | instskip(NEXT) | instid1(VALU_DEP_2)
	v_cmp_eq_u32_e32 vcc_lo, 0, v8
	v_cndmask_b32_e32 v8, v9, v136, vcc_lo
; %bb.110:
	s_or_b32 exec_lo, exec_lo, s2
	s_delay_alu instid0(VALU_DEP_1)
	v_perm_b32 v7, v8, v7, 0x7060302
	v_perm_b32 v6, v6, v5, 0x7060302
	;; [unrolled: 1-line block ×4, first 2 shown]
	v_lshl_or_b32 v9, v138, 4, v145
	s_barrier
	buffer_gl0_inv
	v_cmp_eq_u32_e32 vcc_lo, 1, v142
	ds_store_b128 v9, v[4:7]
	s_waitcnt lgkmcnt(0)
	s_barrier
	buffer_gl0_inv
	ds_load_b128 v[1:4], v145
	ds_load_b128 v[5:8], v145 offset:16
	v_cmp_eq_u32_e64 s3, 2, v142
	v_cmp_eq_u32_e64 s2, 1, v143
	;; [unrolled: 1-line block ×5, first 2 shown]
	s_waitcnt lgkmcnt(1)
	v_lshrrev_b32_e32 v10, 16, v1
	s_waitcnt lgkmcnt(0)
	v_lshrrev_b32_e32 v14, 16, v5
	v_lshrrev_b32_e32 v15, 16, v6
	v_lshrrev_b32_e32 v11, 16, v2
	v_lshrrev_b32_e32 v12, 16, v3
	v_cndmask_b32_e64 v20, v1, v10, s2
	v_cndmask_b32_e32 v19, v5, v14, vcc_lo
	v_cndmask_b32_e64 v21, v5, v14, s2
	v_lshrrev_b32_e32 v16, 16, v7
	v_cmp_eq_u32_e64 s2, 1, v141
	v_lshrrev_b32_e32 v13, 16, v4
	v_cndmask_b32_e64 v19, v19, v6, s3
	v_lshrrev_b32_e32 v17, 16, v8
	s_delay_alu instid0(VALU_DEP_4) | instskip(SKIP_1) | instid1(VALU_DEP_4)
	v_cndmask_b32_e64 v22, v1, v10, s2
	v_cndmask_b32_e64 v23, v5, v14, s2
	;; [unrolled: 1-line block ×3, first 2 shown]
	v_cndmask_b32_e32 v18, v1, v10, vcc_lo
	v_cmp_eq_u32_e32 vcc_lo, 2, v143
	v_cmp_eq_u32_e64 s2, 2, v146
	v_cndmask_b32_e64 v22, v22, v2, s6
	v_cndmask_b32_e32 v20, v20, v2, vcc_lo
	v_cndmask_b32_e32 v21, v21, v6, vcc_lo
	v_cmp_eq_u32_e32 vcc_lo, 4, v142
	v_cndmask_b32_e32 v19, v19, v7, vcc_lo
	v_cndmask_b32_e64 v18, v18, v2, s3
	v_cmp_eq_u32_e64 s3, 3, v143
	s_delay_alu instid0(VALU_DEP_2) | instskip(NEXT) | instid1(VALU_DEP_2)
	v_cndmask_b32_e64 v18, v18, v11, s4
	v_cndmask_b32_e64 v21, v21, v15, s3
	v_cmp_eq_u32_e64 s4, 5, v142
	s_delay_alu instid0(VALU_DEP_3) | instskip(SKIP_1) | instid1(VALU_DEP_3)
	v_cndmask_b32_e32 v18, v18, v3, vcc_lo
	v_cmp_eq_u32_e32 vcc_lo, 4, v143
	v_cndmask_b32_e64 v19, v19, v16, s4
	s_delay_alu instid0(VALU_DEP_3) | instskip(SKIP_4) | instid1(VALU_DEP_3)
	v_cndmask_b32_e64 v18, v18, v12, s4
	v_cndmask_b32_e32 v21, v21, v7, vcc_lo
	v_cndmask_b32_e64 v20, v20, v11, s3
	v_cmp_eq_u32_e64 s3, 5, v143
	v_cmp_eq_u32_e64 s4, 6, v142
	v_cndmask_b32_e32 v20, v20, v3, vcc_lo
	s_delay_alu instid0(VALU_DEP_3) | instskip(SKIP_1) | instid1(VALU_DEP_4)
	v_cndmask_b32_e64 v21, v21, v16, s3
	v_cmp_eq_u32_e32 vcc_lo, 6, v143
	v_cndmask_b32_e64 v18, v18, v4, s4
	v_cndmask_b32_e64 v19, v19, v8, s4
	;; [unrolled: 1-line block ×3, first 2 shown]
	v_cmp_eq_u32_e64 s3, 1, v146
	v_cmp_eq_u32_e64 s4, 7, v142
	s_delay_alu instid0(VALU_DEP_3) | instskip(NEXT) | instid1(VALU_DEP_3)
	v_cndmask_b32_e32 v20, v20, v4, vcc_lo
	v_cndmask_b32_e64 v1, v1, v10, s3
	v_cndmask_b32_e64 v5, v5, v14, s3
	v_cmp_eq_u32_e64 s3, 3, v141
	v_cndmask_b32_e64 v14, v23, v6, s6
	v_cmp_eq_u32_e64 s6, 3, v146
	v_cndmask_b32_e64 v1, v1, v2, s2
	v_cndmask_b32_e64 v2, v5, v6, s2
	;; [unrolled: 1-line block ×3, first 2 shown]
	v_cmp_eq_u32_e64 s2, 4, v141
	v_cndmask_b32_e64 v6, v14, v15, s3
	v_cndmask_b32_e64 v1, v1, v11, s6
	v_cmp_eq_u32_e64 s3, 4, v146
	v_cndmask_b32_e64 v2, v2, v15, s6
	v_cndmask_b32_e64 v5, v10, v3, s2
	v_cmp_eq_u32_e64 s6, 5, v141
	v_cndmask_b32_e64 v6, v6, v7, s2
	v_cndmask_b32_e64 v1, v1, v3, s3
	v_cndmask_b32_e64 v2, v2, v7, s3
	v_cmp_eq_u32_e64 s2, 5, v146
	v_cndmask_b32_e64 v5, v5, v12, s6
	v_cmp_eq_u32_e64 s3, 6, v141
	;; [unrolled: 2-line block ×3, first 2 shown]
	v_cndmask_b32_e64 v1, v1, v12, s2
	v_cndmask_b32_e64 v2, v2, v16, s2
	;; [unrolled: 1-line block ×4, first 2 shown]
	v_cmp_eq_u32_e64 s2, 7, v146
	v_cndmask_b32_e64 v1, v1, v4, s6
	v_cndmask_b32_e64 v2, v2, v8, s6
	v_cmp_eq_u32_e64 s3, 7, v141
	v_cndmask_b32_e32 v4, v21, v8, vcc_lo
	v_cndmask_b32_e64 v18, v18, v13, s4
	v_cndmask_b32_e64 v20, v20, v13, s5
	;; [unrolled: 1-line block ×8, first 2 shown]
	s_mov_b32 s2, exec_lo
	v_perm_b32 v4, v2, v1, 0x5040100
	v_perm_b32 v3, v3, v5, 0x5040100
	;; [unrolled: 1-line block ×4, first 2 shown]
	ds_store_b128 v9, v[1:4]
	s_waitcnt lgkmcnt(0)
	s_barrier
	buffer_gl0_inv
	v_cmpx_gt_u32_e32 32, v0
	s_cbranch_execz .LBB583_2
; %bb.111:
	s_load_b64 s[0:1], s[0:1], 0x68
	s_lshl_b32 s4, s34, 7
	v_or_b32_e32 v3, s29, v138
	s_mul_i32 s2, s4, s30
	v_lshlrev_b32_e32 v0, 10, v0
	s_mul_i32 s2, s2, s7
	v_lshlrev_b32_e32 v1, 4, v139
	s_ashr_i32 s3, s2, 31
	v_mul_lo_u32 v12, v3, s4
	s_lshl_b64 s[2:3], s[2:3], 1
	v_lshlrev_b32_e32 v2, 6, v138
	v_and_b32_e32 v0, 0x3800, v0
	s_delay_alu instid0(VALU_DEP_1) | instskip(NEXT) | instid1(VALU_DEP_4)
	v_or3_b32 v8, v0, v1, v2
	v_ashrrev_i32_e32 v13, 31, v12
	ds_load_b128 v[0:3], v8
	ds_load_b128 v[4:7], v8 offset:128
	ds_load_b128 v[8:11], v8 offset:256
	s_waitcnt lgkmcnt(0)
	s_add_u32 s2, s0, s2
	s_addc_u32 s3, s1, s3
	s_lshl_b32 s0, s14, 7
	s_delay_alu instid0(SALU_CYCLE_1) | instskip(NEXT) | instid1(SALU_CYCLE_1)
	s_ashr_i32 s1, s0, 31
	s_lshl_b64 s[0:1], s[0:1], 1
	s_delay_alu instid0(SALU_CYCLE_1)
	s_add_u32 s0, s2, s0
	s_addc_u32 s1, s3, s1
	s_lshl_b32 s2, s34, 8
	v_add_co_u32 v18, s0, s0, v137
	v_add_nc_u32_e32 v14, s2, v12
	v_lshlrev_b64 v[12:13], 1, v[12:13]
	v_add_co_ci_u32_e64 v19, null, s1, 0, s0
	s_delay_alu instid0(VALU_DEP_3) | instskip(SKIP_1) | instid1(VALU_DEP_4)
	v_add_nc_u32_e32 v16, s2, v14
	v_ashrrev_i32_e32 v15, 31, v14
	v_add_co_u32 v12, vcc_lo, v18, v12
	s_delay_alu instid0(VALU_DEP_4) | instskip(NEXT) | instid1(VALU_DEP_4)
	v_add_co_ci_u32_e32 v13, vcc_lo, v19, v13, vcc_lo
	v_ashrrev_i32_e32 v17, 31, v16
	s_delay_alu instid0(VALU_DEP_4) | instskip(NEXT) | instid1(VALU_DEP_2)
	v_lshlrev_b64 v[14:15], 1, v[14:15]
	v_lshlrev_b64 v[16:17], 1, v[16:17]
	s_delay_alu instid0(VALU_DEP_2) | instskip(NEXT) | instid1(VALU_DEP_3)
	v_add_co_u32 v14, vcc_lo, v18, v14
	v_add_co_ci_u32_e32 v15, vcc_lo, v19, v15, vcc_lo
	s_delay_alu instid0(VALU_DEP_3) | instskip(NEXT) | instid1(VALU_DEP_4)
	v_add_co_u32 v16, vcc_lo, v18, v16
	v_add_co_ci_u32_e32 v17, vcc_lo, v19, v17, vcc_lo
	s_clause 0x2
	global_store_b128 v[12:13], v[0:3], off
	global_store_b128 v[14:15], v[4:7], off
	;; [unrolled: 1-line block ×3, first 2 shown]
	s_nop 0
	s_sendmsg sendmsg(MSG_DEALLOC_VGPRS)
	s_endpgm
	.section	.rodata,"a",@progbits
	.p2align	6, 0x0
	.amdhsa_kernel _Z39paged_attention_ll4mi_QKV_mfma16_kernelI14__hip_bfloat16S0_LN4vllm18Fp8KVCacheDataTypeE0EhLi16ELi128ELi256ELb1ELi6EL8MFMAType0EEvPKT_PKT0_S9_ifPKiSB_SB_iPKfiiiPfSE_PS4_PT2_iSD_SD_
		.amdhsa_group_segment_fixed_size 17472
		.amdhsa_private_segment_fixed_size 0
		.amdhsa_kernarg_size 400
		.amdhsa_user_sgpr_count 13
		.amdhsa_user_sgpr_dispatch_ptr 0
		.amdhsa_user_sgpr_queue_ptr 0
		.amdhsa_user_sgpr_kernarg_segment_ptr 1
		.amdhsa_user_sgpr_dispatch_id 0
		.amdhsa_user_sgpr_private_segment_size 0
		.amdhsa_wavefront_size32 1
		.amdhsa_uses_dynamic_stack 0
		.amdhsa_enable_private_segment 0
		.amdhsa_system_sgpr_workgroup_id_x 1
		.amdhsa_system_sgpr_workgroup_id_y 1
		.amdhsa_system_sgpr_workgroup_id_z 1
		.amdhsa_system_sgpr_workgroup_info 0
		.amdhsa_system_vgpr_workitem_id 0
		.amdhsa_next_free_vgpr 218
		.amdhsa_next_free_sgpr 50
		.amdhsa_reserve_vcc 1
		.amdhsa_float_round_mode_32 0
		.amdhsa_float_round_mode_16_64 0
		.amdhsa_float_denorm_mode_32 3
		.amdhsa_float_denorm_mode_16_64 3
		.amdhsa_dx10_clamp 1
		.amdhsa_ieee_mode 1
		.amdhsa_fp16_overflow 0
		.amdhsa_workgroup_processor_mode 1
		.amdhsa_memory_ordered 1
		.amdhsa_forward_progress 0
		.amdhsa_shared_vgpr_count 0
		.amdhsa_exception_fp_ieee_invalid_op 0
		.amdhsa_exception_fp_denorm_src 0
		.amdhsa_exception_fp_ieee_div_zero 0
		.amdhsa_exception_fp_ieee_overflow 0
		.amdhsa_exception_fp_ieee_underflow 0
		.amdhsa_exception_fp_ieee_inexact 0
		.amdhsa_exception_int_div_zero 0
	.end_amdhsa_kernel
	.section	.text._Z39paged_attention_ll4mi_QKV_mfma16_kernelI14__hip_bfloat16S0_LN4vllm18Fp8KVCacheDataTypeE0EhLi16ELi128ELi256ELb1ELi6EL8MFMAType0EEvPKT_PKT0_S9_ifPKiSB_SB_iPKfiiiPfSE_PS4_PT2_iSD_SD_,"axG",@progbits,_Z39paged_attention_ll4mi_QKV_mfma16_kernelI14__hip_bfloat16S0_LN4vllm18Fp8KVCacheDataTypeE0EhLi16ELi128ELi256ELb1ELi6EL8MFMAType0EEvPKT_PKT0_S9_ifPKiSB_SB_iPKfiiiPfSE_PS4_PT2_iSD_SD_,comdat
.Lfunc_end583:
	.size	_Z39paged_attention_ll4mi_QKV_mfma16_kernelI14__hip_bfloat16S0_LN4vllm18Fp8KVCacheDataTypeE0EhLi16ELi128ELi256ELb1ELi6EL8MFMAType0EEvPKT_PKT0_S9_ifPKiSB_SB_iPKfiiiPfSE_PS4_PT2_iSD_SD_, .Lfunc_end583-_Z39paged_attention_ll4mi_QKV_mfma16_kernelI14__hip_bfloat16S0_LN4vllm18Fp8KVCacheDataTypeE0EhLi16ELi128ELi256ELb1ELi6EL8MFMAType0EEvPKT_PKT0_S9_ifPKiSB_SB_iPKfiiiPfSE_PS4_PT2_iSD_SD_
                                        ; -- End function
	.section	.AMDGPU.csdata,"",@progbits
; Kernel info:
; codeLenInByte = 10200
; NumSgprs: 52
; NumVgprs: 218
; ScratchSize: 0
; MemoryBound: 0
; FloatMode: 240
; IeeeMode: 1
; LDSByteSize: 17472 bytes/workgroup (compile time only)
; SGPRBlocks: 6
; VGPRBlocks: 27
; NumSGPRsForWavesPerEU: 52
; NumVGPRsForWavesPerEU: 218
; Occupancy: 6
; WaveLimiterHint : 1
; COMPUTE_PGM_RSRC2:SCRATCH_EN: 0
; COMPUTE_PGM_RSRC2:USER_SGPR: 13
; COMPUTE_PGM_RSRC2:TRAP_HANDLER: 0
; COMPUTE_PGM_RSRC2:TGID_X_EN: 1
; COMPUTE_PGM_RSRC2:TGID_Y_EN: 1
; COMPUTE_PGM_RSRC2:TGID_Z_EN: 1
; COMPUTE_PGM_RSRC2:TIDIG_COMP_CNT: 0
	.section	.text._Z39paged_attention_ll4mi_QKV_mfma16_kernelI14__hip_bfloat16S0_LN4vllm18Fp8KVCacheDataTypeE0EhLi16ELi128ELi256ELb1ELi7EL8MFMAType0EEvPKT_PKT0_S9_ifPKiSB_SB_iPKfiiiPfSE_PS4_PT2_iSD_SD_,"axG",@progbits,_Z39paged_attention_ll4mi_QKV_mfma16_kernelI14__hip_bfloat16S0_LN4vllm18Fp8KVCacheDataTypeE0EhLi16ELi128ELi256ELb1ELi7EL8MFMAType0EEvPKT_PKT0_S9_ifPKiSB_SB_iPKfiiiPfSE_PS4_PT2_iSD_SD_,comdat
	.protected	_Z39paged_attention_ll4mi_QKV_mfma16_kernelI14__hip_bfloat16S0_LN4vllm18Fp8KVCacheDataTypeE0EhLi16ELi128ELi256ELb1ELi7EL8MFMAType0EEvPKT_PKT0_S9_ifPKiSB_SB_iPKfiiiPfSE_PS4_PT2_iSD_SD_ ; -- Begin function _Z39paged_attention_ll4mi_QKV_mfma16_kernelI14__hip_bfloat16S0_LN4vllm18Fp8KVCacheDataTypeE0EhLi16ELi128ELi256ELb1ELi7EL8MFMAType0EEvPKT_PKT0_S9_ifPKiSB_SB_iPKfiiiPfSE_PS4_PT2_iSD_SD_
	.globl	_Z39paged_attention_ll4mi_QKV_mfma16_kernelI14__hip_bfloat16S0_LN4vllm18Fp8KVCacheDataTypeE0EhLi16ELi128ELi256ELb1ELi7EL8MFMAType0EEvPKT_PKT0_S9_ifPKiSB_SB_iPKfiiiPfSE_PS4_PT2_iSD_SD_
	.p2align	8
	.type	_Z39paged_attention_ll4mi_QKV_mfma16_kernelI14__hip_bfloat16S0_LN4vllm18Fp8KVCacheDataTypeE0EhLi16ELi128ELi256ELb1ELi7EL8MFMAType0EEvPKT_PKT0_S9_ifPKiSB_SB_iPKfiiiPfSE_PS4_PT2_iSD_SD_,@function
_Z39paged_attention_ll4mi_QKV_mfma16_kernelI14__hip_bfloat16S0_LN4vllm18Fp8KVCacheDataTypeE0EhLi16ELi128ELi256ELb1ELi7EL8MFMAType0EEvPKT_PKT0_S9_ifPKiSB_SB_iPKfiiiPfSE_PS4_PT2_iSD_SD_: ; @_Z39paged_attention_ll4mi_QKV_mfma16_kernelI14__hip_bfloat16S0_LN4vllm18Fp8KVCacheDataTypeE0EhLi16ELi128ELi256ELb1ELi7EL8MFMAType0EEvPKT_PKT0_S9_ifPKiSB_SB_iPKfiiiPfSE_PS4_PT2_iSD_SD_
; %bb.0:
	s_load_b64 s[4:5], s[0:1], 0x30
	s_mov_b32 s30, s13
	s_waitcnt lgkmcnt(0)
	s_cmp_lg_u64 s[4:5], 0
	s_cselect_b32 s8, -1, 0
	s_ashr_i32 s31, s13, 31
	s_cmp_eq_u64 s[4:5], 0
	s_cbranch_scc1 .LBB584_3
; %bb.1:
	s_lshl_b64 s[2:3], s[30:31], 2
	s_delay_alu instid0(SALU_CYCLE_1) | instskip(SKIP_4) | instid1(SALU_CYCLE_1)
	s_add_u32 s2, s4, s2
	s_addc_u32 s3, s5, s3
	s_load_b64 s[2:3], s[2:3], 0x0
	s_waitcnt lgkmcnt(0)
	s_sub_i32 s2, s3, s2
	s_cmp_eq_u32 s2, 1
	s_cselect_b32 s2, -1, 0
	s_delay_alu instid0(SALU_CYCLE_1)
	s_and_not1_b32 vcc_lo, exec_lo, s2
	s_cbranch_vccz .LBB584_4
.LBB584_2:
	s_nop 0
	s_sendmsg sendmsg(MSG_DEALLOC_VGPRS)
	s_endpgm
.LBB584_3:
.LBB584_4:
	s_load_b64 s[2:3], s[0:1], 0x28
	s_lshl_b64 s[6:7], s[30:31], 2
	s_waitcnt lgkmcnt(0)
	s_add_u32 s2, s2, s6
	s_addc_u32 s3, s3, s7
	s_lshl_b32 s29, s14, 8
	s_load_b32 s28, s[2:3], 0x0
	s_waitcnt lgkmcnt(0)
	s_cmp_ge_i32 s29, s28
	s_cbranch_scc1 .LBB584_2
; %bb.5:
	s_clause 0x1
	s_load_b128 s[20:23], s[0:1], 0x8
	s_load_b64 s[2:3], s[0:1], 0x20
	s_and_not1_b32 vcc_lo, exec_lo, s8
	s_cbranch_vccnz .LBB584_7
; %bb.6:
	s_add_u32 s4, s4, s6
	s_addc_u32 s5, s5, s7
	s_load_b32 s5, s[4:5], 0x0
	s_branch .LBB584_8
.LBB584_7:
	s_mov_b32 s5, s30
.LBB584_8:
	s_load_b128 s[16:19], s[0:1], 0x48
	v_and_b32_e32 v140, 15, v0
	v_lshrrev_b32_e32 v141, 5, v0
	v_bfe_u32 v138, v0, 4, 1
	v_and_b32_e32 v142, 31, v0
	v_and_b32_e32 v139, 1, v0
	v_lshlrev_b32_e32 v2, 3, v140
	s_mul_i32 s31, s15, 7
	v_lshl_or_b32 v1, v141, 1, v138
	s_mov_b32 s4, exec_lo
	s_delay_alu instid0(VALU_DEP_2) | instskip(NEXT) | instid1(VALU_DEP_2)
	v_lshlrev_b32_e32 v137, 1, v2
	v_cmpx_gt_u32_e32 7, v1
	s_cbranch_execz .LBB584_10
; %bb.9:
	s_load_b64 s[6:7], s[0:1], 0x0
	v_add_lshl_u32 v2, v1, s31, 7
	s_waitcnt lgkmcnt(0)
	s_mul_hi_i32 s9, s5, s16
	s_mul_i32 s8, s5, s16
	v_lshlrev_b32_e32 v6, 10, v140
	s_lshl_b64 s[8:9], s[8:9], 1
	v_ashrrev_i32_e32 v3, 31, v2
	v_lshlrev_b32_e32 v1, 6, v1
	v_lshlrev_b32_e32 v7, 10, v139
	v_and_b32_e32 v6, 0x3800, v6
	s_delay_alu instid0(VALU_DEP_4) | instskip(NEXT) | instid1(VALU_DEP_2)
	v_lshlrev_b64 v[2:3], 1, v[2:3]
	v_or3_b32 v1, v6, v7, v1
	s_add_u32 s5, s6, s8
	s_addc_u32 s6, s7, s9
	s_delay_alu instid0(VALU_DEP_2) | instskip(NEXT) | instid1(VALU_DEP_3)
	v_add_co_u32 v2, vcc_lo, s5, v2
	v_add_co_ci_u32_e32 v3, vcc_lo, s6, v3, vcc_lo
	s_delay_alu instid0(VALU_DEP_2) | instskip(NEXT) | instid1(VALU_DEP_2)
	v_add_co_u32 v2, vcc_lo, v2, v137
	v_add_co_ci_u32_e32 v3, vcc_lo, 0, v3, vcc_lo
	global_load_b128 v[2:5], v[2:3], off
	s_waitcnt vmcnt(0)
	ds_store_b128 v1, v[2:5]
.LBB584_10:
	s_or_b32 exec_lo, exec_lo, s4
	v_and_b32_e32 v1, 0xef, v0
	s_waitcnt lgkmcnt(0)
	s_add_i32 s5, s28, 15
	s_clause 0x1
	s_load_b32 s4, s[0:1], 0x38
	s_load_b32 s33, s[0:1], 0x1c
	s_ashr_i32 s6, s5, 31
	v_add_nc_u32_e32 v1, s29, v1
	s_lshr_b32 s6, s6, 28
	s_waitcnt lgkmcnt(0)
	s_add_i32 s5, s5, s6
	s_barrier
	v_ashrrev_i32_e32 v2, 31, v1
	v_cmp_gt_i32_e32 vcc_lo, s28, v1
	s_ashr_i32 s16, s5, 4
	buffer_gl0_inv
	s_add_i32 s16, s16, -1
	v_lshrrev_b32_e32 v3, 28, v2
	v_or_b32_e32 v2, 16, v1
	v_mul_lo_u16 v105, v140, 37
	v_lshlrev_b32_e32 v106, 5, v140
	s_delay_alu instid0(VALU_DEP_4) | instskip(NEXT) | instid1(VALU_DEP_4)
	v_add_nc_u32_e32 v4, v1, v3
	v_add_nc_u32_e32 v3, v2, v3
	s_mul_i32 s4, s30, s4
	v_lshrrev_b16 v105, 8, v105
	s_ashr_i32 s5, s4, 31
	v_ashrrev_i32_e32 v4, 4, v4
	v_ashrrev_i32_e32 v3, 4, v3
	s_lshl_b64 s[4:5], s[4:5], 2
	v_mul_lo_u16 v105, v105, 7
	s_add_u32 s34, s2, s4
	v_cndmask_b32_e32 v1, s16, v4, vcc_lo
	v_cmp_gt_i32_e32 vcc_lo, s28, v2
	s_addc_u32 s35, s3, s5
	s_mul_i32 s2, s15, s18
	v_sub_nc_u16 v105, v140, v105
	v_ashrrev_i32_e32 v2, 31, v1
	v_cndmask_b32_e32 v3, s16, v3, vcc_lo
	s_ashr_i32 s3, s2, 31
	v_lshl_or_b32 v125, v141, 9, v106
	s_lshl_b64 s[2:3], s[2:3], 1
	v_lshlrev_b64 v[1:2], 2, v[1:2]
	v_ashrrev_i32_e32 v4, 31, v3
	s_add_u32 s24, s20, s2
	s_addc_u32 s25, s21, s3
	s_lshl_b32 s4, s14, 4
	v_and_b32_e32 v105, 0xff, v105
	v_lshlrev_b64 v[3:4], 2, v[3:4]
	v_add_co_u32 v1, vcc_lo, s34, v1
	v_add_co_ci_u32_e32 v2, vcc_lo, s35, v2, vcc_lo
	s_ashr_i32 s5, s4, 31
	s_delay_alu instid0(VALU_DEP_3) | instskip(NEXT) | instid1(VALU_DEP_4)
	v_add_co_u32 v3, vcc_lo, s34, v3
	v_add_co_ci_u32_e32 v4, vcc_lo, s35, v4, vcc_lo
	s_lshl_b64 s[4:5], s[4:5], 2
	s_clause 0x1
	global_load_b32 v5, v[1:2], off
	global_load_b32 v6, v[3:4], off
	s_add_u32 s4, s34, s4
	s_addc_u32 s5, s35, s5
	s_or_b32 s6, s29, 16
	v_lshlrev_b32_e32 v3, 4, v0
	s_ashr_i32 s7, s6, 4
	s_cmp_lt_i32 s6, s28
	v_lshlrev_b32_e32 v215, 6, v105
	s_cselect_b32 s6, s7, s16
	s_delay_alu instid0(SALU_CYCLE_1) | instskip(NEXT) | instid1(SALU_CYCLE_1)
	s_ashr_i32 s7, s6, 31
	s_lshl_b64 s[6:7], s[6:7], 2
	s_delay_alu instid0(SALU_CYCLE_1) | instskip(SKIP_2) | instid1(SALU_CYCLE_1)
	s_add_u32 s6, s34, s6
	s_addc_u32 s7, s35, s7
	s_or_b32 s8, s29, 32
	s_ashr_i32 s9, s8, 4
	s_cmp_lt_i32 s8, s28
	s_cselect_b32 s8, s9, s16
	s_delay_alu instid0(SALU_CYCLE_1) | instskip(NEXT) | instid1(SALU_CYCLE_1)
	s_ashr_i32 s9, s8, 31
	s_lshl_b64 s[8:9], s[8:9], 2
	s_delay_alu instid0(SALU_CYCLE_1) | instskip(SKIP_2) | instid1(SALU_CYCLE_1)
	s_add_u32 s8, s34, s8
	s_addc_u32 s9, s35, s9
	s_or_b32 s10, s29, 48
	s_ashr_i32 s11, s10, 4
	s_cmp_lt_i32 s10, s28
	;; [unrolled: 10-line block ×4, first 2 shown]
	s_cselect_b32 s12, s13, s16
	s_delay_alu instid0(SALU_CYCLE_1) | instskip(NEXT) | instid1(SALU_CYCLE_1)
	s_ashr_i32 s13, s12, 31
	s_lshl_b64 s[12:13], s[12:13], 2
	s_delay_alu instid0(SALU_CYCLE_1)
	s_add_u32 s20, s34, s12
	s_addc_u32 s21, s35, s13
	s_clause 0x5
	s_load_b32 s38, s[4:5], 0x0
	s_load_b32 s37, s[6:7], 0x0
	;; [unrolled: 1-line block ×6, first 2 shown]
	s_waitcnt vmcnt(1)
	v_mad_i64_i32 v[1:2], null, v5, s17, 0
	v_and_b32_e32 v5, 0xf0, v3
	s_waitcnt vmcnt(0)
	v_mad_i64_i32 v[3:4], null, v6, s17, 0
	s_delay_alu instid0(VALU_DEP_2) | instskip(NEXT) | instid1(VALU_DEP_4)
	v_add_co_u32 v5, s4, s24, v5
	v_lshlrev_b64 v[1:2], 1, v[1:2]
	v_add_co_ci_u32_e64 v6, null, s25, 0, s4
	s_delay_alu instid0(VALU_DEP_4) | instskip(SKIP_1) | instid1(VALU_DEP_3)
	v_lshlrev_b64 v[3:4], 1, v[3:4]
	s_or_b32 s4, s29, 0x60
	v_add_co_u32 v121, vcc_lo, v5, v1
	s_delay_alu instid0(VALU_DEP_3) | instskip(NEXT) | instid1(VALU_DEP_3)
	v_add_co_ci_u32_e32 v122, vcc_lo, v6, v2, vcc_lo
	v_add_co_u32 v123, vcc_lo, v5, v3
	s_delay_alu instid0(VALU_DEP_4)
	v_add_co_ci_u32_e32 v124, vcc_lo, v6, v4, vcc_lo
	s_clause 0x19
	global_load_b128 v[89:92], v[121:122], off
	global_load_b128 v[93:96], v[121:122], off offset:256
	global_load_b128 v[97:100], v[123:124], off
	global_load_b128 v[101:104], v[123:124], off offset:256
	global_load_b128 v[81:84], v[121:122], off offset:512
	;; [unrolled: 1-line block ×23, first 2 shown]
	s_ashr_i32 s5, s4, 4
	s_cmp_lt_i32 s4, s28
	ds_load_b128 v[105:108], v215
	ds_load_b128 v[109:112], v215 offset:1024
	s_cselect_b32 s4, s5, s16
	ds_load_b128 v[113:116], v215 offset:2048
	ds_load_b128 v[117:120], v215 offset:3072
	s_ashr_i32 s5, s4, 31
	ds_load_b128 v[143:146], v215 offset:4096
	ds_load_b128 v[147:150], v215 offset:5120
	s_lshl_b64 s[6:7], s[4:5], 2
	ds_load_b128 v[151:154], v215 offset:6144
	ds_load_b128 v[155:158], v215 offset:7168
	s_add_u32 s18, s34, s6
	s_addc_u32 s19, s35, s7
	s_or_b32 s5, s29, 0x70
	ds_load_b128 v[159:162], v215 offset:8192
	ds_load_b128 v[163:166], v215 offset:9216
	s_ashr_i32 s6, s5, 4
	s_cmp_lt_i32 s5, s28
	s_clause 0x1
	global_load_b128 v[167:170], v[123:124], off offset:3072
	global_load_b128 v[171:174], v[123:124], off offset:3328
	s_cselect_b32 s8, s6, s16
	s_mov_b32 s4, 0
	s_ashr_i32 s9, s8, 31
	s_mov_b32 s5, s4
	s_lshl_b64 s[8:9], s[8:9], 2
	s_mov_b32 s6, s4
	s_add_u32 s20, s34, s8
	s_addc_u32 s21, s35, s9
	s_clause 0x1
	s_load_b32 s44, s[18:19], 0x0
	s_load_b32 s45, s[20:21], 0x0
	s_clause 0x3
	global_load_b128 v[175:178], v[121:122], off offset:3584
	global_load_b128 v[179:182], v[121:122], off offset:3840
	;; [unrolled: 1-line block ×4, first 2 shown]
	s_or_b32 s8, s29, 0x80
	s_mov_b32 s7, s4
	s_ashr_i32 s9, s8, 4
	s_cmp_lt_i32 s8, s28
	s_mov_b32 s8, s4
	s_cselect_b32 s10, s9, s16
	s_mov_b32 s9, s4
	s_ashr_i32 s11, s10, 31
	s_delay_alu instid0(SALU_CYCLE_1)
	s_lshl_b64 s[24:25], s[10:11], 2
	s_mov_b32 s10, s4
	s_add_u32 s24, s34, s24
	s_addc_u32 s25, s35, s25
	s_or_b32 s11, s29, 0x90
	s_load_b32 s46, s[24:25], 0x0
	s_ashr_i32 s26, s11, 4
	s_cmp_lt_i32 s11, s28
	s_mov_b32 s11, s4
	s_cselect_b32 s26, s26, s16
	v_mov_b32_e32 v136, s11
	s_ashr_i32 s27, s26, 31
	v_dual_mov_b32 v135, s10 :: v_dual_mov_b32 v134, s9
	v_dual_mov_b32 v133, s8 :: v_dual_mov_b32 v132, s7
	;; [unrolled: 1-line block ×3, first 2 shown]
	v_mov_b32_e32 v129, s4
	s_lshl_b64 s[4:5], s[26:27], 2
	s_waitcnt lgkmcnt(0)
	s_mul_hi_i32 s7, s37, s17
	s_add_u32 s26, s34, s4
	s_addc_u32 s27, s35, s5
	s_or_b32 s4, s29, 0xa0
	s_load_b32 s39, s[26:27], 0x0
	s_ashr_i32 s5, s4, 4
	s_cmp_lt_i32 s4, s28
	s_cselect_b32 s4, s5, s16
	s_delay_alu instid0(SALU_CYCLE_1) | instskip(NEXT) | instid1(SALU_CYCLE_1)
	s_ashr_i32 s5, s4, 31
	s_lshl_b64 s[4:5], s[4:5], 2
	s_delay_alu instid0(SALU_CYCLE_1)
	s_add_u32 s40, s34, s4
	s_addc_u32 s41, s35, s5
	s_or_b32 s4, s29, 0xb0
	s_mul_hi_i32 s5, s38, s17
	s_ashr_i32 s6, s4, 4
	s_cmp_lt_i32 s4, s28
	s_mul_i32 s4, s38, s17
	s_load_b32 s38, s[40:41], 0x0
	s_cselect_b32 s8, s6, s16
	s_mul_i32 s6, s37, s17
	s_ashr_i32 s9, s8, 31
	s_mul_hi_i32 s27, s46, s17
	s_lshl_b64 s[10:11], s[8:9], 2
	s_mul_hi_i32 s9, s36, s17
	s_add_u32 s42, s34, s10
	s_addc_u32 s43, s35, s11
	s_or_b32 s10, s29, 0xc0
	s_mul_i32 s8, s36, s17
	s_ashr_i32 s36, s10, 4
	s_cmp_lt_i32 s10, s28
	s_mul_i32 s26, s46, s17
	s_cselect_b32 s36, s36, s16
	s_mul_hi_i32 s11, s13, s17
	s_ashr_i32 s37, s36, 31
	s_mul_i32 s10, s13, s17
	s_lshl_b64 s[36:37], s[36:37], 2
	s_mul_hi_i32 s13, s12, s17
	s_add_u32 s20, s34, s36
	s_addc_u32 s21, s35, s37
	s_or_b32 s18, s29, 0xd0
	s_mul_i32 s12, s12, s17
	s_ashr_i32 s19, s18, 4
	s_cmp_lt_i32 s18, s28
	s_mul_i32 s18, s15, s17
	s_cselect_b32 s24, s19, s16
	s_mul_hi_i32 s19, s15, s17
	s_ashr_i32 s25, s24, 31
	s_waitcnt lgkmcnt(0)
	s_mul_hi_i32 s41, s39, s17
	s_lshl_b64 s[24:25], s[24:25], 2
	s_delay_alu instid0(SALU_CYCLE_1)
	s_add_u32 s24, s34, s24
	s_addc_u32 s25, s35, s25
	s_or_b32 s40, s29, 0xe0
	s_clause 0x2
	s_load_b32 s37, s[42:43], 0x0
	s_load_b32 s36, s[20:21], 0x0
	;; [unrolled: 1-line block ×3, first 2 shown]
	s_ashr_i32 s47, s40, 4
	s_cmp_lt_i32 s40, s28
	s_mul_hi_i32 s21, s44, s17
	s_cselect_b32 s42, s47, s16
	s_mul_i32 s20, s44, s17
	s_ashr_i32 s43, s42, 31
	s_mul_hi_i32 s25, s45, s17
	s_lshl_b64 s[42:43], s[42:43], 2
	s_mul_i32 s24, s45, s17
	s_add_u32 s42, s34, s42
	s_addc_u32 s43, s35, s43
	s_or_b32 s44, s29, 0xf0
	s_mul_i32 s40, s39, s17
	s_ashr_i32 s46, s44, 4
	s_cmp_lt_i32 s44, s28
	s_mul_hi_i32 s39, s38, s17
	s_cselect_b32 s46, s46, s16
	s_mul_i32 s38, s38, s17
	s_ashr_i32 s47, s46, 31
	s_waitcnt lgkmcnt(0)
	s_mul_hi_i32 s49, s15, s17
	s_lshl_b64 s[46:47], s[46:47], 2
	s_mul_i32 s48, s15, s17
	s_add_u32 s34, s34, s46
	s_addc_u32 s35, s35, s47
	s_add_u32 s15, s22, s2
	s_addc_u32 s16, s23, s3
	v_add_co_u32 v216, s15, s15, v125
	s_delay_alu instid0(VALU_DEP_1) | instskip(SKIP_2) | instid1(VALU_DEP_2)
	v_add_co_ci_u32_e64 v217, null, s16, 0, s15
	s_lshl_b64 s[2:3], s[4:5], 1
	s_lshl_b64 s[4:5], s[6:7], 1
	v_add_co_u32 v125, vcc_lo, v216, s2
	s_delay_alu instid0(VALU_DEP_2)
	v_add_co_ci_u32_e32 v126, vcc_lo, s3, v217, vcc_lo
	v_add_co_u32 v199, vcc_lo, v216, s4
	s_lshl_b64 s[6:7], s[8:9], 1
	v_add_co_ci_u32_e32 v200, vcc_lo, s5, v217, vcc_lo
	s_lshl_b64 s[8:9], s[10:11], 1
	s_lshl_b64 s[10:11], s[12:13], 1
	;; [unrolled: 1-line block ×8, first 2 shown]
	s_mul_hi_i32 s45, s37, s17
	s_mul_i32 s44, s37, s17
	s_mul_hi_i32 s37, s36, s17
	s_lshl_b64 s[38:39], s[44:45], 1
	s_mul_i32 s36, s36, s17
	s_clause 0x1
	s_load_b32 s15, s[42:43], 0x0
	s_load_b32 s16, s[34:35], 0x0
	s_lshl_b64 s[36:37], s[36:37], 1
	s_lshl_b64 s[40:41], s[48:49], 1
	s_waitcnt lgkmcnt(0)
	s_mul_hi_i32 s3, s15, s17
	s_mul_i32 s2, s15, s17
	s_mul_hi_i32 s5, s16, s17
	s_lshl_b64 s[2:3], s[2:3], 1
	s_mul_i32 s4, s16, s17
	s_waitcnt vmcnt(30)
	v_wmma_f32_16x16x16_bf16 v[191:198], v[89:96], v[105:112], v[129:136]
	v_add_co_u32 v89, vcc_lo, v216, s6
	v_add_co_ci_u32_e32 v90, vcc_lo, s7, v217, vcc_lo
	v_add_co_u32 v91, vcc_lo, v216, s8
	v_add_co_ci_u32_e32 v92, vcc_lo, s9, v217, vcc_lo
	v_add_co_u32 v93, vcc_lo, v216, s10
	v_add_co_ci_u32_e32 v94, vcc_lo, s11, v217, vcc_lo
	v_add_co_u32 v201, vcc_lo, v216, s12
	v_add_co_ci_u32_e32 v202, vcc_lo, s13, v217, vcc_lo
	v_add_co_u32 v203, vcc_lo, v216, s18
	v_add_co_ci_u32_e32 v204, vcc_lo, s19, v217, vcc_lo
	v_add_co_u32 v205, vcc_lo, v216, s20
	s_waitcnt vmcnt(28)
	v_wmma_f32_16x16x16_bf16 v[129:136], v[97:104], v[105:112], v[129:136]
	v_add_co_ci_u32_e32 v206, vcc_lo, s21, v217, vcc_lo
	v_add_co_u32 v207, vcc_lo, v216, s22
	v_add_co_ci_u32_e32 v208, vcc_lo, s23, v217, vcc_lo
	v_add_co_u32 v209, vcc_lo, v216, s24
	s_waitcnt vmcnt(26)
	v_wmma_f32_16x16x16_bf16 v[191:198], v[81:88], v[113:120], v[191:198]
	s_waitcnt vmcnt(24)
	v_wmma_f32_16x16x16_bf16 v[129:136], v[73:80], v[113:120], v[129:136]
	v_add_co_ci_u32_e32 v210, vcc_lo, s25, v217, vcc_lo
	v_add_co_u32 v211, vcc_lo, v216, s26
	v_add_co_ci_u32_e32 v212, vcc_lo, s27, v217, vcc_lo
	v_add_co_u32 v213, vcc_lo, v216, s38
	s_waitcnt vmcnt(22)
	v_wmma_f32_16x16x16_bf16 v[191:198], v[65:72], v[143:150], v[191:198]
	s_waitcnt vmcnt(20)
	v_wmma_f32_16x16x16_bf16 v[129:136], v[57:64], v[143:150], v[129:136]
	v_add_co_ci_u32_e32 v214, vcc_lo, s39, v217, vcc_lo
	v_add_co_u32 v143, vcc_lo, v216, s36
	s_waitcnt vmcnt(18)
	v_wmma_f32_16x16x16_bf16 v[191:198], v[49:56], v[151:158], v[191:198]
	s_waitcnt vmcnt(16)
	v_wmma_f32_16x16x16_bf16 v[129:136], v[41:48], v[151:158], v[129:136]
	v_add_co_ci_u32_e32 v144, vcc_lo, s37, v217, vcc_lo
	s_clause 0x15
	global_load_b128 v[121:124], v[125:126], off
	global_load_b128 v[125:128], v[125:126], off offset:16
	global_load_b128 v[113:116], v[199:200], off
	global_load_b128 v[117:120], v[199:200], off offset:16
	;; [unrolled: 2-line block ×11, first 2 shown]
	s_waitcnt vmcnt(36)
	v_wmma_f32_16x16x16_bf16 v[191:198], v[17:24], v[159:166], v[191:198]
	s_clause 0x1
	global_load_b128 v[17:20], v[213:214], off
	global_load_b128 v[21:24], v[213:214], off offset:16
	s_waitcnt vmcnt(36)
	v_wmma_f32_16x16x16_bf16 v[129:136], v[1:8], v[159:166], v[129:136]
	s_clause 0x1
	global_load_b128 v[1:4], v[143:144], off
	global_load_b128 v[5:8], v[143:144], off offset:16
	ds_load_b128 v[143:146], v215 offset:10240
	ds_load_b128 v[147:150], v215 offset:11264
	;; [unrolled: 1-line block ×4, first 2 shown]
	v_add_co_u32 v199, vcc_lo, v216, s40
	v_add_co_ci_u32_e32 v200, vcc_lo, s41, v217, vcc_lo
	v_add_co_u32 v159, vcc_lo, v216, s2
	v_add_co_ci_u32_e32 v160, vcc_lo, s3, v217, vcc_lo
	s_lshl_b64 s[2:3], s[4:5], 1
	s_delay_alu instid0(SALU_CYCLE_1)
	v_add_co_u32 v161, vcc_lo, v216, s2
	v_add_co_ci_u32_e32 v162, vcc_lo, s3, v217, vcc_lo
	s_waitcnt vmcnt(36) lgkmcnt(2)
	v_wmma_f32_16x16x16_bf16 v[191:198], v[33:40], v[143:150], v[191:198]
	s_waitcnt vmcnt(34)
	v_wmma_f32_16x16x16_bf16 v[129:136], v[25:32], v[143:150], v[129:136]
	s_clause 0x3
	global_load_b128 v[25:28], v[199:200], off
	global_load_b128 v[29:32], v[199:200], off offset:16
	global_load_b128 v[33:36], v[159:160], off
	global_load_b128 v[37:40], v[159:160], off offset:16
	v_and_b32_e32 v143, 0xe0, v0
	v_mbcnt_lo_u32_b32 v159, -1, 0
	s_waitcnt vmcnt(36) lgkmcnt(0)
	v_wmma_f32_16x16x16_bf16 v[191:198], v[9:16], v[151:158], v[191:198]
	s_clause 0x1
	global_load_b128 v[9:12], v[161:162], off
	global_load_b128 v[13:16], v[161:162], off offset:16
	s_waitcnt vmcnt(36)
	v_wmma_f32_16x16x16_bf16 v[129:136], v[167:174], v[151:158], v[129:136]
	v_add_nc_u32_e32 v160, s29, v143
	ds_load_b128 v[143:146], v215 offset:14336
	ds_load_b128 v[147:150], v215 offset:15360
	v_xor_b32_e32 v151, 16, v159
	s_waitcnt vmcnt(0) lgkmcnt(0)
	s_barrier
	v_or_b32_e32 v152, v160, v138
	buffer_gl0_inv
	v_cmp_gt_i32_e32 vcc_lo, 32, v151
	v_or_b32_e32 v153, 2, v152
	v_or_b32_e32 v154, 4, v152
	;; [unrolled: 1-line block ×5, first 2 shown]
	v_cmp_gt_i32_e64 s2, s28, v153
	v_cmp_gt_i32_e64 s3, s28, v154
	;; [unrolled: 1-line block ×3, first 2 shown]
	v_or_b32_e32 v158, 12, v152
	v_cmp_gt_i32_e64 s5, s28, v156
	v_cmp_gt_i32_e64 s6, s28, v157
	v_wmma_f32_16x16x16_bf16 v[191:198], v[175:182], v[143:150], v[191:198]
	v_wmma_f32_16x16x16_bf16 v[129:136], v[183:190], v[143:150], v[129:136]
	v_cndmask_b32_e32 v151, v159, v151, vcc_lo
	v_cmp_gt_i32_e32 vcc_lo, s28, v152
	v_or_b32_e32 v159, 14, v152
	v_dual_mul_f32 v149, s33, v192 :: v_dual_mul_f32 v150, s33, v191
	v_dual_mul_f32 v147, s33, v194 :: v_dual_mul_f32 v148, s33, v193
	;; [unrolled: 1-line block ×3, first 2 shown]
	s_delay_alu instid0(VALU_DEP_3) | instskip(NEXT) | instid1(VALU_DEP_4)
	v_cndmask_b32_e32 v150, 0xff7fffff, v150, vcc_lo
	v_cndmask_b32_e64 v149, 0xff7fffff, v149, s2
	v_mul_f32_e32 v146, s33, v195
	v_cndmask_b32_e64 v148, 0xff7fffff, v148, s3
	v_cndmask_b32_e64 v147, 0xff7fffff, v147, s4
	v_or_b32_e32 v160, 16, v152
	v_max3_f32 v149, v150, 0xff7fffff, v149
	v_or_b32_e32 v161, 18, v152
	v_dual_mul_f32 v143, s33, v198 :: v_dual_mul_f32 v144, s33, v197
	v_cndmask_b32_e64 v146, 0xff7fffff, v146, s5
	v_cndmask_b32_e64 v145, 0xff7fffff, v145, s6
	v_max3_f32 v147, v149, v148, v147
	v_cmp_gt_i32_e64 s7, s28, v158
	v_cmp_gt_i32_e64 s8, s28, v159
	v_or_b32_e32 v162, 20, v152
	v_or_b32_e32 v163, 22, v152
	v_mul_f32_e32 v175, s33, v129
	v_cndmask_b32_e64 v144, 0xff7fffff, v144, s7
	v_cndmask_b32_e64 v143, 0xff7fffff, v143, s8
	v_max3_f32 v145, v147, v146, v145
	v_cmp_gt_i32_e64 s9, s28, v160
	v_cmp_gt_i32_e64 s10, s28, v161
	v_or_b32_e32 v164, 24, v152
	v_or_b32_e32 v165, 26, v152
	v_dual_mul_f32 v172, s33, v132 :: v_dual_mul_f32 v173, s33, v131
	v_cndmask_b32_e64 v146, 0xff7fffff, v175, s9
	v_cndmask_b32_e64 v147, 0xff7fffff, v174, s10
	v_max3_f32 v143, v145, v144, v143
	v_cmp_gt_i32_e64 s11, s28, v162
	v_cmp_gt_i32_e64 s12, s28, v163
	v_or_b32_e32 v166, 28, v152
	v_or_b32_e32 v167, 30, v152
	v_dual_mul_f32 v170, s33, v134 :: v_dual_mul_f32 v171, s33, v133
	v_cndmask_b32_e64 v144, 0xff7fffff, v173, s11
	v_cndmask_b32_e64 v145, 0xff7fffff, v172, s12
	v_max3_f32 v143, v143, v146, v147
	v_cmp_gt_i32_e64 s13, s28, v164
	v_cmp_gt_i32_e64 s15, s28, v165
	v_dual_mul_f32 v168, s33, v136 :: v_dual_mul_f32 v169, s33, v135
	s_delay_alu instid0(VALU_DEP_4) | instskip(NEXT) | instid1(VALU_DEP_4)
	v_max3_f32 v143, v143, v144, v145
	v_cndmask_b32_e64 v146, 0xff7fffff, v171, s13
	s_delay_alu instid0(VALU_DEP_4) | instskip(SKIP_3) | instid1(VALU_DEP_4)
	v_cndmask_b32_e64 v147, 0xff7fffff, v170, s15
	v_cmp_gt_i32_e64 s16, s28, v166
	v_cmp_gt_i32_e64 s17, s28, v167
	v_lshlrev_b32_e32 v154, 2, v151
	v_max3_f32 v143, v143, v146, v147
	s_delay_alu instid0(VALU_DEP_4) | instskip(NEXT) | instid1(VALU_DEP_4)
	v_cndmask_b32_e64 v144, 0xff7fffff, v169, s16
	v_cndmask_b32_e64 v145, 0xff7fffff, v168, s17
	s_delay_alu instid0(VALU_DEP_1) | instskip(SKIP_3) | instid1(VALU_DEP_1)
	v_max3_f32 v143, v143, v144, v145
	ds_bpermute_b32 v144, v154, v143
	s_waitcnt lgkmcnt(0)
	v_max_f32_e32 v144, v144, v144
	v_max_f32_e32 v153, v143, v144
	s_delay_alu instid0(VALU_DEP_1) | instskip(SKIP_4) | instid1(VALU_DEP_4)
	v_fma_f32 v143, s33, v191, -v153
	v_fma_f32 v144, s33, v192, -v153
	;; [unrolled: 1-line block ×5, first 2 shown]
	v_dual_mul_f32 v143, 0x3fb8aa3b, v143 :: v_dual_mul_f32 v144, 0x3fb8aa3b, v144
	s_delay_alu instid0(VALU_DEP_4) | instskip(SKIP_2) | instid1(VALU_DEP_4)
	v_mul_f32_e32 v130, 0x3fb8aa3b, v130
	v_fma_f32 v132, s33, v132, -v153
	v_mul_f32_e32 v145, 0x3fb8aa3b, v145
	v_exp_f32_e32 v143, v143
	v_exp_f32_e32 v147, v144
	v_fma_f32 v148, s33, v195, -v153
	v_mul_f32_e32 v132, 0x3fb8aa3b, v132
	v_mul_f32_e32 v146, 0x3fb8aa3b, v146
	v_exp_f32_e32 v145, v145
	v_fma_f32 v151, s33, v197, -v153
	v_mul_f32_e32 v148, 0x3fb8aa3b, v148
	v_fma_f32 v134, s33, v134, -v153
	v_exp_f32_e32 v149, v146
	v_cndmask_b32_e32 v144, 0, v143, vcc_lo
	v_fma_f32 v143, s33, v196, -v153
	v_cndmask_b32_e64 v146, 0, v147, s2
	v_exp_f32_e32 v148, v148
	s_delay_alu instid0(VALU_DEP_3) | instskip(NEXT) | instid1(VALU_DEP_3)
	v_dual_mul_f32 v151, 0x3fb8aa3b, v151 :: v_dual_add_f32 v150, 0, v144
	v_dual_mul_f32 v143, 0x3fb8aa3b, v143 :: v_dual_mul_f32 v134, 0x3fb8aa3b, v134
	v_cndmask_b32_e64 v147, 0, v145, s3
	s_delay_alu instid0(TRANS32_DEP_2) | instskip(NEXT) | instid1(VALU_DEP_4)
	v_cndmask_b32_e64 v149, 0, v149, s4
	v_add_f32_e32 v145, v150, v146
	v_fma_f32 v150, s33, v198, -v153
	v_exp_f32_e32 v143, v143
	v_fma_f32 v129, s33, v129, -v153
	v_exp_f32_e32 v155, v151
	s_delay_alu instid0(VALU_DEP_2) | instskip(SKIP_1) | instid1(VALU_DEP_3)
	v_dual_add_f32 v145, v145, v147 :: v_dual_mul_f32 v152, 0x3fb8aa3b, v150
	v_cndmask_b32_e64 v150, 0, v148, s5
	v_mul_f32_e32 v129, 0x3fb8aa3b, v129
	v_fma_f32 v131, s33, v131, -v153
	s_delay_alu instid0(VALU_DEP_4) | instskip(SKIP_1) | instid1(TRANS32_DEP_3)
	v_add_f32_e32 v145, v145, v149
	v_exp_f32_e32 v152, v152
	v_cndmask_b32_e64 v151, 0, v143, s6
	v_exp_f32_e32 v129, v129
	s_delay_alu instid0(TRANS32_DEP_3)
	v_cndmask_b32_e64 v148, 0, v155, s7
	v_add_f32_e32 v143, v145, v150
	v_mul_f32_e32 v131, 0x3fb8aa3b, v131
	v_exp_f32_e32 v130, v130
	v_fma_f32 v133, s33, v133, -v153
	v_fma_f32 v136, s33, v136, -v153
	v_add_f32_e32 v143, v143, v151
	v_cndmask_b32_e64 v152, 0, v152, s8
	v_exp_f32_e32 v145, v131
	v_cndmask_b32_e64 v131, 0, v129, s9
	v_mul_f32_e32 v133, 0x3fb8aa3b, v133
	v_add_f32_e32 v143, v143, v148
	v_cmp_gt_u32_e64 s2, 16, v142
	s_delay_alu instid0(VALU_DEP_2)
	v_add_f32_e32 v129, v143, v152
	v_exp_f32_e32 v143, v132
	v_cndmask_b32_e64 v132, 0, v130, s10
	v_fma_f32 v130, s33, v135, -v153
	v_exp_f32_e32 v135, v133
	v_add_f32_e32 v129, v129, v131
	v_cndmask_b32_e64 v133, 0, v145, s11
	v_exp_f32_e32 v145, v134
	s_delay_alu instid0(VALU_DEP_2) | instskip(NEXT) | instid1(TRANS32_DEP_3)
	v_dual_mul_f32 v130, 0x3fb8aa3b, v130 :: v_dual_add_f32 v129, v129, v132
	v_cndmask_b32_e64 v134, 0, v143, s12
	v_mul_f32_e32 v143, 0x3fb8aa3b, v136
	s_delay_alu instid0(VALU_DEP_3) | instskip(NEXT) | instid1(TRANS32_DEP_3)
	v_exp_f32_e32 v130, v130
	v_cndmask_b32_e64 v135, 0, v135, s13
	v_add_f32_e32 v129, v129, v133
	s_delay_alu instid0(TRANS32_DEP_2) | instskip(SKIP_1) | instid1(VALU_DEP_2)
	v_cndmask_b32_e64 v136, 0, v145, s15
	v_exp_f32_e32 v145, v143
	v_add_f32_e32 v129, v129, v134
	s_waitcnt_depctr 0xfff
	v_cndmask_b32_e64 v143, 0, v130, s16
	v_add_f32_e32 v129, v129, v135
	v_cndmask_b32_e64 v145, 0, v145, s17
	s_delay_alu instid0(VALU_DEP_2) | instskip(NEXT) | instid1(VALU_DEP_1)
	v_add_f32_e32 v129, v129, v136
	v_add_f32_e32 v129, v129, v143
	s_delay_alu instid0(VALU_DEP_1)
	v_add_f32_e32 v129, v129, v145
	ds_bpermute_b32 v130, v154, v129
	s_and_saveexec_b32 s3, s2
	s_cbranch_execz .LBB584_12
; %bb.11:
	v_mul_u32_u24_e32 v142, 0x44, v141
	s_waitcnt lgkmcnt(0)
	v_add_f32_e32 v129, v129, v130
	s_delay_alu instid0(VALU_DEP_2) | instskip(NEXT) | instid1(VALU_DEP_1)
	v_lshl_add_u32 v142, v140, 2, v142
	v_add_nc_u32_e32 v130, 0x4000, v142
	ds_store_2addr_b32 v130, v153, v129 offset1:136
.LBB584_12:
	s_or_b32 exec_lo, exec_lo, s3
	v_lshlrev_b32_e32 v129, 2, v140
	s_waitcnt lgkmcnt(0)
	s_barrier
	buffer_gl0_inv
	v_cmp_eq_u32_e64 s3, 1, v141
	v_add_nc_u32_e32 v142, 0x4000, v129
	ds_load_2addr_b32 v[153:154], v142 offset1:17
	ds_load_2addr_b32 v[155:156], v142 offset0:34 offset1:51
	ds_load_2addr_b32 v[157:158], v142 offset0:68 offset1:85
	;; [unrolled: 1-line block ×4, first 2 shown]
	s_waitcnt lgkmcnt(4)
	v_max3_f32 v129, v153, 0xff7fffff, v154
	s_waitcnt lgkmcnt(3)
	s_delay_alu instid0(VALU_DEP_1) | instskip(SKIP_1) | instid1(VALU_DEP_1)
	v_max3_f32 v129, v129, v155, v156
	s_waitcnt lgkmcnt(2)
	v_max3_f32 v129, v129, v157, v158
	s_waitcnt lgkmcnt(1)
	s_delay_alu instid0(VALU_DEP_1) | instskip(NEXT) | instid1(VALU_DEP_1)
	v_max3_f32 v129, v129, v159, v160
	v_sub_f32_e32 v163, v154, v129
	v_sub_f32_e32 v130, v153, v129
	ds_load_2addr_b32 v[153:154], v142 offset0:170 offset1:187
	v_sub_f32_e32 v155, v155, v129
	v_dual_mul_f32 v163, 0x3fb8aa3b, v163 :: v_dual_mul_f32 v130, 0x3fb8aa3b, v130
	s_delay_alu instid0(VALU_DEP_2) | instskip(NEXT) | instid1(VALU_DEP_2)
	v_mul_f32_e32 v165, 0x3fb8aa3b, v155
	v_exp_f32_e32 v163, v163
	s_delay_alu instid0(VALU_DEP_2)
	v_exp_f32_e32 v164, v130
	v_sub_f32_e32 v130, v156, v129
	ds_load_2addr_b32 v[155:156], v142 offset0:204 offset1:221
	v_exp_f32_e32 v165, v165
	v_mul_f32_e32 v166, 0x3fb8aa3b, v130
	s_waitcnt lgkmcnt(2)
	v_fma_f32 v130, v164, v161, 0
	v_sub_f32_e32 v157, v157, v129
	s_delay_alu instid0(VALU_DEP_3) | instskip(NEXT) | instid1(VALU_DEP_2)
	v_exp_f32_e32 v166, v166
	v_dual_sub_f32 v161, v158, v129 :: v_dual_fmac_f32 v130, v163, v162
	s_waitcnt lgkmcnt(1)
	s_waitcnt_depctr 0xfff
	v_fmac_f32_e32 v130, v165, v153
	v_mul_f32_e32 v167, 0x3fb8aa3b, v157
	ds_load_2addr_b32 v[157:158], v142 offset0:238 offset1:255
	v_sub_f32_e32 v142, v159, v129
	v_dual_sub_f32 v153, v160, v129 :: v_dual_fmac_f32 v130, v166, v154
	v_mul_f32_e32 v159, 0x3fb8aa3b, v161
	v_exp_f32_e32 v161, v167
	s_delay_alu instid0(VALU_DEP_2)
	v_dual_mul_f32 v142, 0x3fb8aa3b, v142 :: v_dual_mul_f32 v153, 0x3fb8aa3b, v153
	s_waitcnt lgkmcnt(0)
	s_barrier
	buffer_gl0_inv
	v_exp_f32_e32 v142, v142
	v_exp_f32_e32 v153, v153
	v_fmac_f32_e32 v130, v161, v155
	v_exp_f32_e32 v159, v159
	s_waitcnt_depctr 0xfff
	v_fmac_f32_e32 v130, v159, v156
	s_delay_alu instid0(VALU_DEP_1) | instskip(NEXT) | instid1(VALU_DEP_1)
	v_fmac_f32_e32 v130, v142, v157
	v_fmac_f32_e32 v130, v153, v158
	s_delay_alu instid0(VALU_DEP_1) | instskip(NEXT) | instid1(VALU_DEP_1)
	v_add_f32_e32 v154, 0x358637bd, v130
	v_div_scale_f32 v155, null, v154, v154, 1.0
	v_div_scale_f32 v158, vcc_lo, 1.0, v154, 1.0
	s_delay_alu instid0(VALU_DEP_2) | instskip(SKIP_2) | instid1(VALU_DEP_1)
	v_rcp_f32_e32 v156, v155
	s_waitcnt_depctr 0xfff
	v_fma_f32 v157, -v155, v156, 1.0
	v_fmac_f32_e32 v156, v157, v156
	v_cndmask_b32_e64 v157, v164, v163, s3
	v_cmp_eq_u32_e64 s3, 2, v141
	s_delay_alu instid0(VALU_DEP_3) | instskip(NEXT) | instid1(VALU_DEP_2)
	v_mul_f32_e32 v160, v158, v156
	v_cndmask_b32_e64 v157, v157, v165, s3
	v_cmp_eq_u32_e64 s3, 3, v141
	s_delay_alu instid0(VALU_DEP_3) | instskip(NEXT) | instid1(VALU_DEP_2)
	v_fma_f32 v162, -v155, v160, v158
	v_cndmask_b32_e64 v157, v157, v166, s3
	v_cmp_eq_u32_e64 s3, 4, v141
	s_delay_alu instid0(VALU_DEP_3) | instskip(NEXT) | instid1(VALU_DEP_2)
	v_fmac_f32_e32 v160, v162, v156
	v_cndmask_b32_e64 v157, v157, v161, s3
	s_delay_alu instid0(VALU_DEP_2) | instskip(SKIP_1) | instid1(VALU_DEP_2)
	v_fma_f32 v155, -v155, v160, v158
	v_cmp_eq_u32_e64 s3, 5, v141
	v_div_fmas_f32 v155, v155, v156, v160
	s_delay_alu instid0(VALU_DEP_2) | instskip(SKIP_2) | instid1(VALU_DEP_3)
	v_cndmask_b32_e64 v157, v157, v159, s3
	v_cmp_eq_u32_e32 vcc_lo, 6, v141
	s_mov_b32 s3, exec_lo
	v_div_fixup_f32 v154, v155, v154, 1.0
	s_delay_alu instid0(VALU_DEP_3) | instskip(SKIP_1) | instid1(VALU_DEP_2)
	v_cndmask_b32_e32 v142, v157, v142, vcc_lo
	v_cmp_eq_u32_e32 vcc_lo, 7, v141
	v_cndmask_b32_e32 v142, v142, v153, vcc_lo
	s_delay_alu instid0(VALU_DEP_1) | instskip(NEXT) | instid1(VALU_DEP_1)
	v_mul_f32_e32 v142, v142, v154
	v_mul_f32_e32 v153, v142, v149
	;; [unrolled: 1-line block ×7, first 2 shown]
	v_dual_mul_f32 v150, v142, v147 :: v_dual_and_b32 v155, 0x7f800000, v154
	v_mul_f32_e32 v149, v142, v146
                                        ; implicit-def: $vgpr146
	s_delay_alu instid0(VALU_DEP_2)
	v_cmpx_ne_u32_e32 0x7f800000, v155
	s_xor_b32 s3, exec_lo, s3
; %bb.13:
	v_bfe_u32 v146, v154, 16, 1
	s_delay_alu instid0(VALU_DEP_1)
	v_add3_u32 v146, v154, v146, 0x7fff
                                        ; implicit-def: $vgpr154
; %bb.14:
	s_and_not1_saveexec_b32 s3, s3
; %bb.15:
	v_and_b32_e32 v146, 0xffff, v154
	v_or_b32_e32 v147, 0x10000, v154
	s_delay_alu instid0(VALU_DEP_2) | instskip(NEXT) | instid1(VALU_DEP_2)
	v_cmp_eq_u32_e32 vcc_lo, 0, v146
	v_cndmask_b32_e32 v146, v147, v154, vcc_lo
; %bb.16:
	s_or_b32 exec_lo, exec_lo, s3
	v_and_b32_e32 v147, 0x7f800000, v149
	s_delay_alu instid0(VALU_DEP_1) | instskip(SKIP_1) | instid1(SALU_CYCLE_1)
	v_cmp_ne_u32_e32 vcc_lo, 0x7f800000, v147
                                        ; implicit-def: $vgpr147
	s_and_saveexec_b32 s3, vcc_lo
	s_xor_b32 s3, exec_lo, s3
; %bb.17:
	v_bfe_u32 v147, v149, 16, 1
	s_delay_alu instid0(VALU_DEP_1)
	v_add3_u32 v147, v149, v147, 0x7fff
                                        ; implicit-def: $vgpr149
; %bb.18:
	s_and_not1_saveexec_b32 s3, s3
; %bb.19:
	v_and_b32_e32 v147, 0xffff, v149
	v_or_b32_e32 v154, 0x10000, v149
	s_delay_alu instid0(VALU_DEP_2) | instskip(NEXT) | instid1(VALU_DEP_2)
	v_cmp_eq_u32_e32 vcc_lo, 0, v147
	v_cndmask_b32_e32 v147, v154, v149, vcc_lo
; %bb.20:
	s_or_b32 exec_lo, exec_lo, s3
	v_and_b32_e32 v149, 0x7f800000, v150
	s_delay_alu instid0(VALU_DEP_1) | instskip(SKIP_1) | instid1(SALU_CYCLE_1)
	v_cmp_ne_u32_e32 vcc_lo, 0x7f800000, v149
                                        ; implicit-def: $vgpr149
	s_and_saveexec_b32 s3, vcc_lo
	s_xor_b32 s3, exec_lo, s3
; %bb.21:
	v_bfe_u32 v149, v150, 16, 1
	s_delay_alu instid0(VALU_DEP_1)
	v_add3_u32 v149, v150, v149, 0x7fff
                                        ; implicit-def: $vgpr150
; %bb.22:
	s_and_not1_saveexec_b32 s3, s3
; %bb.23:
	v_and_b32_e32 v149, 0xffff, v150
	v_or_b32_e32 v154, 0x10000, v150
	s_delay_alu instid0(VALU_DEP_2) | instskip(NEXT) | instid1(VALU_DEP_2)
	v_cmp_eq_u32_e32 vcc_lo, 0, v149
	v_cndmask_b32_e32 v149, v154, v150, vcc_lo
; %bb.24:
	s_or_b32 exec_lo, exec_lo, s3
	v_and_b32_e32 v150, 0x7f800000, v153
	s_delay_alu instid0(VALU_DEP_1) | instskip(SKIP_1) | instid1(SALU_CYCLE_1)
	v_cmp_ne_u32_e32 vcc_lo, 0x7f800000, v150
                                        ; implicit-def: $vgpr150
	s_and_saveexec_b32 s3, vcc_lo
	s_xor_b32 s3, exec_lo, s3
; %bb.25:
	v_bfe_u32 v150, v153, 16, 1
	s_delay_alu instid0(VALU_DEP_1)
	v_add3_u32 v150, v153, v150, 0x7fff
                                        ; implicit-def: $vgpr153
; %bb.26:
	s_and_not1_saveexec_b32 s3, s3
; %bb.27:
	v_and_b32_e32 v150, 0xffff, v153
	v_or_b32_e32 v154, 0x10000, v153
	s_delay_alu instid0(VALU_DEP_2) | instskip(NEXT) | instid1(VALU_DEP_2)
	v_cmp_eq_u32_e32 vcc_lo, 0, v150
	v_cndmask_b32_e32 v150, v154, v153, vcc_lo
; %bb.28:
	s_or_b32 exec_lo, exec_lo, s3
	v_and_b32_e32 v153, 0x7f800000, v152
	s_delay_alu instid0(VALU_DEP_1) | instskip(SKIP_1) | instid1(SALU_CYCLE_1)
	v_cmp_ne_u32_e32 vcc_lo, 0x7f800000, v153
                                        ; implicit-def: $vgpr153
	s_and_saveexec_b32 s3, vcc_lo
	s_xor_b32 s3, exec_lo, s3
; %bb.29:
	v_bfe_u32 v153, v152, 16, 1
	s_delay_alu instid0(VALU_DEP_1)
	v_add3_u32 v153, v152, v153, 0x7fff
                                        ; implicit-def: $vgpr152
; %bb.30:
	s_and_not1_saveexec_b32 s3, s3
; %bb.31:
	v_and_b32_e32 v153, 0xffff, v152
	v_or_b32_e32 v154, 0x10000, v152
	s_delay_alu instid0(VALU_DEP_2) | instskip(NEXT) | instid1(VALU_DEP_2)
	v_cmp_eq_u32_e32 vcc_lo, 0, v153
	v_cndmask_b32_e32 v153, v154, v152, vcc_lo
; %bb.32:
	s_or_b32 exec_lo, exec_lo, s3
	v_and_b32_e32 v152, 0x7f800000, v151
	s_delay_alu instid0(VALU_DEP_1) | instskip(SKIP_1) | instid1(SALU_CYCLE_1)
	v_cmp_ne_u32_e32 vcc_lo, 0x7f800000, v152
                                        ; implicit-def: $vgpr152
	s_and_saveexec_b32 s3, vcc_lo
	s_xor_b32 s3, exec_lo, s3
; %bb.33:
	v_bfe_u32 v152, v151, 16, 1
	s_delay_alu instid0(VALU_DEP_1)
	v_add3_u32 v152, v151, v152, 0x7fff
                                        ; implicit-def: $vgpr151
; %bb.34:
	s_and_not1_saveexec_b32 s3, s3
; %bb.35:
	v_and_b32_e32 v152, 0xffff, v151
	v_or_b32_e32 v154, 0x10000, v151
	s_delay_alu instid0(VALU_DEP_2) | instskip(NEXT) | instid1(VALU_DEP_2)
	v_cmp_eq_u32_e32 vcc_lo, 0, v152
	v_cndmask_b32_e32 v152, v154, v151, vcc_lo
; %bb.36:
	s_or_b32 exec_lo, exec_lo, s3
	v_and_b32_e32 v151, 0x7f800000, v148
	s_delay_alu instid0(VALU_DEP_1) | instskip(SKIP_1) | instid1(SALU_CYCLE_1)
	v_cmp_ne_u32_e32 vcc_lo, 0x7f800000, v151
                                        ; implicit-def: $vgpr151
	s_and_saveexec_b32 s3, vcc_lo
	s_xor_b32 s3, exec_lo, s3
; %bb.37:
	v_bfe_u32 v151, v148, 16, 1
	s_delay_alu instid0(VALU_DEP_1)
	v_add3_u32 v151, v148, v151, 0x7fff
                                        ; implicit-def: $vgpr148
; %bb.38:
	s_and_not1_saveexec_b32 s3, s3
; %bb.39:
	v_and_b32_e32 v151, 0xffff, v148
	v_or_b32_e32 v154, 0x10000, v148
	s_delay_alu instid0(VALU_DEP_2) | instskip(NEXT) | instid1(VALU_DEP_2)
	v_cmp_eq_u32_e32 vcc_lo, 0, v151
	v_cndmask_b32_e32 v151, v154, v148, vcc_lo
; %bb.40:
	s_or_b32 exec_lo, exec_lo, s3
	v_and_b32_e32 v148, 0x7f800000, v144
	s_delay_alu instid0(VALU_DEP_1) | instskip(SKIP_1) | instid1(SALU_CYCLE_1)
	v_cmp_ne_u32_e32 vcc_lo, 0x7f800000, v148
                                        ; implicit-def: $vgpr148
	s_and_saveexec_b32 s3, vcc_lo
	s_xor_b32 s3, exec_lo, s3
; %bb.41:
	v_bfe_u32 v148, v144, 16, 1
	s_delay_alu instid0(VALU_DEP_1)
	v_add3_u32 v148, v144, v148, 0x7fff
                                        ; implicit-def: $vgpr144
; %bb.42:
	s_and_not1_saveexec_b32 s3, s3
; %bb.43:
	v_and_b32_e32 v148, 0xffff, v144
	v_or_b32_e32 v154, 0x10000, v144
	s_delay_alu instid0(VALU_DEP_2) | instskip(NEXT) | instid1(VALU_DEP_2)
	v_cmp_eq_u32_e32 vcc_lo, 0, v148
	v_cndmask_b32_e32 v148, v154, v144, vcc_lo
; %bb.44:
	s_or_b32 exec_lo, exec_lo, s3
	s_load_b64 s[34:35], s[0:1], 0x94
	v_lshlrev_b32_e32 v155, 4, v138
	s_delay_alu instid0(VALU_DEP_2)
	v_perm_b32 v154, v148, v151, 0x7060302
	v_mul_f32_e32 v148, v142, v131
	v_dual_mul_f32 v145, v142, v145 :: v_dual_lshlrev_b32 v144, 6, v140
	v_dual_mul_f32 v143, v142, v143 :: v_dual_lshlrev_b32 v156, 11, v141
	v_perm_b32 v153, v152, v153, 0x7060302
	v_perm_b32 v152, v150, v149, 0x7060302
	;; [unrolled: 1-line block ×3, first 2 shown]
	s_delay_alu instid0(VALU_DEP_4)
	v_or3_b32 v131, v155, v156, v144
	v_mul_f32_e32 v136, v142, v136
	v_dual_mul_f32 v146, v142, v134 :: v_dual_and_b32 v149, 0x7f800000, v148
	v_mul_f32_e32 v135, v142, v135
	v_mul_f32_e32 v147, v142, v133
	v_mul_f32_e32 v134, v142, v132
	s_mov_b32 s3, exec_lo
	ds_store_b128 v131, v[151:154]
                                        ; implicit-def: $vgpr132
	v_cmpx_ne_u32_e32 0x7f800000, v149
	s_xor_b32 s3, exec_lo, s3
; %bb.45:
	v_bfe_u32 v132, v148, 16, 1
	s_delay_alu instid0(VALU_DEP_1)
	v_add3_u32 v132, v148, v132, 0x7fff
                                        ; implicit-def: $vgpr148
; %bb.46:
	s_and_not1_saveexec_b32 s3, s3
; %bb.47:
	v_and_b32_e32 v132, 0xffff, v148
	v_or_b32_e32 v133, 0x10000, v148
	s_delay_alu instid0(VALU_DEP_2) | instskip(NEXT) | instid1(VALU_DEP_2)
	v_cmp_eq_u32_e32 vcc_lo, 0, v132
	v_cndmask_b32_e32 v132, v133, v148, vcc_lo
; %bb.48:
	s_or_b32 exec_lo, exec_lo, s3
	v_and_b32_e32 v133, 0x7f800000, v134
	s_delay_alu instid0(VALU_DEP_1) | instskip(SKIP_1) | instid1(SALU_CYCLE_1)
	v_cmp_ne_u32_e32 vcc_lo, 0x7f800000, v133
                                        ; implicit-def: $vgpr133
	s_and_saveexec_b32 s3, vcc_lo
	s_xor_b32 s3, exec_lo, s3
; %bb.49:
	v_bfe_u32 v133, v134, 16, 1
	s_delay_alu instid0(VALU_DEP_1)
	v_add3_u32 v133, v134, v133, 0x7fff
                                        ; implicit-def: $vgpr134
; %bb.50:
	s_and_not1_saveexec_b32 s3, s3
; %bb.51:
	v_and_b32_e32 v133, 0xffff, v134
	v_or_b32_e32 v142, 0x10000, v134
	s_delay_alu instid0(VALU_DEP_2) | instskip(NEXT) | instid1(VALU_DEP_2)
	v_cmp_eq_u32_e32 vcc_lo, 0, v133
	v_cndmask_b32_e32 v133, v142, v134, vcc_lo
; %bb.52:
	s_or_b32 exec_lo, exec_lo, s3
	v_and_b32_e32 v134, 0x7f800000, v147
	s_delay_alu instid0(VALU_DEP_1) | instskip(SKIP_1) | instid1(SALU_CYCLE_1)
	v_cmp_ne_u32_e32 vcc_lo, 0x7f800000, v134
                                        ; implicit-def: $vgpr134
	s_and_saveexec_b32 s3, vcc_lo
	s_xor_b32 s3, exec_lo, s3
; %bb.53:
	v_bfe_u32 v134, v147, 16, 1
	s_delay_alu instid0(VALU_DEP_1)
	v_add3_u32 v134, v147, v134, 0x7fff
                                        ; implicit-def: $vgpr147
; %bb.54:
	s_and_not1_saveexec_b32 s3, s3
; %bb.55:
	v_and_b32_e32 v134, 0xffff, v147
	v_or_b32_e32 v142, 0x10000, v147
	s_delay_alu instid0(VALU_DEP_2) | instskip(NEXT) | instid1(VALU_DEP_2)
	v_cmp_eq_u32_e32 vcc_lo, 0, v134
	v_cndmask_b32_e32 v134, v142, v147, vcc_lo
; %bb.56:
	s_or_b32 exec_lo, exec_lo, s3
	v_and_b32_e32 v142, 0x7f800000, v146
	s_delay_alu instid0(VALU_DEP_1) | instskip(SKIP_1) | instid1(SALU_CYCLE_1)
	v_cmp_ne_u32_e32 vcc_lo, 0x7f800000, v142
                                        ; implicit-def: $vgpr142
	s_and_saveexec_b32 s3, vcc_lo
	s_xor_b32 s3, exec_lo, s3
; %bb.57:
	v_bfe_u32 v142, v146, 16, 1
	s_delay_alu instid0(VALU_DEP_1)
	v_add3_u32 v142, v146, v142, 0x7fff
                                        ; implicit-def: $vgpr146
; %bb.58:
	s_and_not1_saveexec_b32 s3, s3
; %bb.59:
	v_and_b32_e32 v142, 0xffff, v146
	v_or_b32_e32 v147, 0x10000, v146
	s_delay_alu instid0(VALU_DEP_2) | instskip(NEXT) | instid1(VALU_DEP_2)
	v_cmp_eq_u32_e32 vcc_lo, 0, v142
	v_cndmask_b32_e32 v142, v147, v146, vcc_lo
; %bb.60:
	s_or_b32 exec_lo, exec_lo, s3
	v_and_b32_e32 v146, 0x7f800000, v135
	s_delay_alu instid0(VALU_DEP_1) | instskip(SKIP_1) | instid1(SALU_CYCLE_1)
	v_cmp_ne_u32_e32 vcc_lo, 0x7f800000, v146
                                        ; implicit-def: $vgpr146
	s_and_saveexec_b32 s3, vcc_lo
	s_xor_b32 s3, exec_lo, s3
; %bb.61:
	v_bfe_u32 v146, v135, 16, 1
	s_delay_alu instid0(VALU_DEP_1)
	v_add3_u32 v146, v135, v146, 0x7fff
                                        ; implicit-def: $vgpr135
; %bb.62:
	s_and_not1_saveexec_b32 s3, s3
; %bb.63:
	v_and_b32_e32 v146, 0xffff, v135
	v_or_b32_e32 v147, 0x10000, v135
	s_delay_alu instid0(VALU_DEP_2) | instskip(NEXT) | instid1(VALU_DEP_2)
	v_cmp_eq_u32_e32 vcc_lo, 0, v146
	v_cndmask_b32_e32 v146, v147, v135, vcc_lo
; %bb.64:
	s_or_b32 exec_lo, exec_lo, s3
	v_and_b32_e32 v135, 0x7f800000, v136
	s_delay_alu instid0(VALU_DEP_1) | instskip(SKIP_1) | instid1(SALU_CYCLE_1)
	v_cmp_ne_u32_e32 vcc_lo, 0x7f800000, v135
                                        ; implicit-def: $vgpr135
	s_and_saveexec_b32 s3, vcc_lo
	s_xor_b32 s3, exec_lo, s3
; %bb.65:
	v_bfe_u32 v135, v136, 16, 1
	s_delay_alu instid0(VALU_DEP_1)
	v_add3_u32 v135, v136, v135, 0x7fff
                                        ; implicit-def: $vgpr136
; %bb.66:
	s_and_not1_saveexec_b32 s3, s3
; %bb.67:
	v_and_b32_e32 v135, 0xffff, v136
	v_or_b32_e32 v147, 0x10000, v136
	s_delay_alu instid0(VALU_DEP_2) | instskip(NEXT) | instid1(VALU_DEP_2)
	v_cmp_eq_u32_e32 vcc_lo, 0, v135
	v_cndmask_b32_e32 v135, v147, v136, vcc_lo
; %bb.68:
	s_or_b32 exec_lo, exec_lo, s3
	v_and_b32_e32 v136, 0x7f800000, v143
	s_delay_alu instid0(VALU_DEP_1) | instskip(SKIP_1) | instid1(SALU_CYCLE_1)
	v_cmp_ne_u32_e32 vcc_lo, 0x7f800000, v136
                                        ; implicit-def: $vgpr136
	s_and_saveexec_b32 s3, vcc_lo
	s_xor_b32 s3, exec_lo, s3
; %bb.69:
	v_bfe_u32 v136, v143, 16, 1
	s_delay_alu instid0(VALU_DEP_1)
	v_add3_u32 v136, v143, v136, 0x7fff
                                        ; implicit-def: $vgpr143
; %bb.70:
	s_and_not1_saveexec_b32 s3, s3
; %bb.71:
	v_and_b32_e32 v136, 0xffff, v143
	v_or_b32_e32 v147, 0x10000, v143
	s_delay_alu instid0(VALU_DEP_2) | instskip(NEXT) | instid1(VALU_DEP_2)
	v_cmp_eq_u32_e32 vcc_lo, 0, v136
	v_cndmask_b32_e32 v136, v147, v143, vcc_lo
; %bb.72:
	s_or_b32 exec_lo, exec_lo, s3
	v_and_b32_e32 v143, 0x7f800000, v145
	s_delay_alu instid0(VALU_DEP_1) | instskip(SKIP_1) | instid1(SALU_CYCLE_1)
	v_cmp_ne_u32_e32 vcc_lo, 0x7f800000, v143
                                        ; implicit-def: $vgpr143
	s_and_saveexec_b32 s3, vcc_lo
	s_xor_b32 s3, exec_lo, s3
; %bb.73:
	v_bfe_u32 v143, v145, 16, 1
	s_delay_alu instid0(VALU_DEP_1)
	v_add3_u32 v143, v145, v143, 0x7fff
                                        ; implicit-def: $vgpr145
; %bb.74:
	s_and_not1_saveexec_b32 s3, s3
; %bb.75:
	v_and_b32_e32 v143, 0xffff, v145
	v_or_b32_e32 v147, 0x10000, v145
	s_delay_alu instid0(VALU_DEP_2) | instskip(NEXT) | instid1(VALU_DEP_2)
	v_cmp_eq_u32_e32 vcc_lo, 0, v143
	v_cndmask_b32_e32 v143, v147, v145, vcc_lo
; %bb.76:
	s_or_b32 exec_lo, exec_lo, s3
	s_delay_alu instid0(VALU_DEP_1)
	v_perm_b32 v136, v143, v136, 0x7060302
	v_perm_b32 v135, v135, v146, 0x7060302
	;; [unrolled: 1-line block ×4, first 2 shown]
	v_lshl_or_b32 v145, v141, 11, v144
	v_lshlrev_b32_e32 v142, 2, v138
	ds_store_b128 v131, v[133:136] offset:1024
	s_waitcnt lgkmcnt(0)
	s_barrier
	buffer_gl0_inv
	ds_load_b128 v[132:135], v145
	ds_load_b128 v[147:150], v145 offset:16
	v_or_b32_e32 v143, 1, v142
	v_cmp_eq_u32_e64 s12, 1, v142
	v_cmp_eq_u32_e64 s11, 2, v142
	;; [unrolled: 1-line block ×3, first 2 shown]
	v_or_b32_e32 v141, 2, v142
	v_cmp_eq_u32_e64 s7, 1, v143
	v_cmp_eq_u32_e64 s6, 2, v143
	;; [unrolled: 1-line block ×8, first 2 shown]
	v_cmp_eq_u32_e32 vcc_lo, 5, v143
	v_cmp_eq_u32_e64 s10, 2, v141
	v_cmp_eq_u32_e64 s4, 6, v143
	v_cmp_eq_u32_e64 s9, 7, v142
	v_cmp_eq_u32_e64 s18, 3, v141
	s_waitcnt lgkmcnt(1)
	v_lshrrev_b32_e32 v136, 16, v132
	s_waitcnt lgkmcnt(0)
	v_lshrrev_b32_e32 v155, 16, v147
	v_lshrrev_b32_e32 v161, 16, v148
	;; [unrolled: 1-line block ×4, first 2 shown]
	v_cndmask_b32_e64 v146, v132, v136, s12
	v_cndmask_b32_e64 v151, v147, v155, s12
	;; [unrolled: 1-line block ×4, first 2 shown]
	v_lshrrev_b32_e32 v160, 16, v134
	v_cndmask_b32_e64 v146, v146, v133, s11
	v_cndmask_b32_e64 v151, v151, v148, s11
	;; [unrolled: 1-line block ×8, first 2 shown]
	v_lshrrev_b32_e32 v164, 16, v150
	v_cndmask_b32_e64 v153, v153, v161, s5
	v_cndmask_b32_e64 v146, v146, v134, s17
	v_cndmask_b32_e64 v151, v151, v149, s17
	v_cndmask_b32_e64 v152, v152, v134, s3
	v_cndmask_b32_e64 v154, v154, v133, s10
	v_lshrrev_b32_e32 v162, 16, v135
	v_cndmask_b32_e64 v146, v146, v160, s13
	v_cndmask_b32_e64 v151, v151, v163, s13
	v_cndmask_b32_e32 v152, v152, v160, vcc_lo
	v_cndmask_b32_e64 v153, v153, v149, s3
	v_cmp_eq_u32_e64 s19, 7, v143
	v_cndmask_b32_e64 v146, v146, v135, s15
	v_cndmask_b32_e64 v151, v151, v150, s15
	;; [unrolled: 1-line block ×4, first 2 shown]
	v_cmp_eq_u32_e64 s20, 4, v141
	v_cndmask_b32_e64 v165, v146, v162, s9
	v_cndmask_b32_e64 v166, v151, v164, s9
	v_cndmask_b32_e64 v151, v147, v155, s8
	v_or_b32_e32 v146, 3, v142
	v_cndmask_b32_e64 v167, v152, v162, s19
	v_cndmask_b32_e32 v156, v153, v163, vcc_lo
	v_cndmask_b32_e64 v158, v154, v134, s20
	v_cndmask_b32_e64 v157, v151, v148, s10
	ds_load_b128 v[151:154], v145 offset:1024
	v_cmp_eq_u32_e64 s21, 1, v146
	v_cmp_eq_u32_e64 s22, 5, v141
	;; [unrolled: 1-line block ×3, first 2 shown]
	v_cndmask_b32_e64 v157, v157, v161, s18
	v_cmp_eq_u32_e64 s24, 3, v146
	v_cndmask_b32_e64 v132, v132, v136, s21
	v_cndmask_b32_e64 v136, v156, v150, s4
	;; [unrolled: 1-line block ×5, first 2 shown]
	ds_load_b128 v[155:158], v145 offset:1040
	v_cndmask_b32_e64 v132, v132, v133, s23
	v_cmp_eq_u32_e64 s26, 4, v146
	v_cmp_eq_u32_e64 s28, 5, v146
	v_cndmask_b32_e64 v147, v147, v148, s23
	v_cmp_eq_u32_e64 s25, 6, v141
	v_cndmask_b32_e64 v132, v132, v159, s24
	;; [unrolled: 2-line block ×3, first 2 shown]
	v_cndmask_b32_e64 v147, v147, v161, s24
	s_waitcnt lgkmcnt(1)
	v_lshrrev_b32_e32 v159, 16, v151
	v_cndmask_b32_e64 v132, v132, v134, s26
	v_cndmask_b32_e64 v148, v168, v135, s25
	;; [unrolled: 1-line block ×6, first 2 shown]
	v_lshrrev_b32_e32 v160, 16, v152
	v_cndmask_b32_e64 v161, v151, v159, s7
	v_cndmask_b32_e64 v134, v134, v163, s28
	s_waitcnt lgkmcnt(0)
	v_lshrrev_b32_e32 v149, 16, v155
	v_cndmask_b32_e64 v147, v147, v152, s11
	v_cndmask_b32_e64 v132, v132, v135, s29
	v_cmp_eq_u32_e64 s27, 7, v141
	v_cndmask_b32_e64 v134, v134, v150, s29
	v_cndmask_b32_e64 v163, v155, v149, s12
	;; [unrolled: 1-line block ×4, first 2 shown]
	v_lshrrev_b32_e32 v161, 16, v156
	v_cndmask_b32_e64 v136, v136, v164, s19
	v_cndmask_b32_e64 v150, v163, v156, s11
	v_cmp_eq_u32_e64 s11, 7, v146
	v_cndmask_b32_e64 v147, v147, v160, s5
	v_cndmask_b32_e64 v135, v135, v153, s17
	v_lshrrev_b32_e32 v163, 16, v153
	v_cndmask_b32_e64 v150, v150, v161, s16
	v_cndmask_b32_e64 v132, v132, v162, s11
	;; [unrolled: 1-line block ×8, first 2 shown]
	v_lshrrev_b32_e32 v164, 16, v157
	v_perm_b32 v135, v134, v132, 0x5040100
	v_cndmask_b32_e32 v132, v147, v163, vcc_lo
	v_cndmask_b32_e64 v147, v162, v154, s15
	v_lshrrev_b32_e32 v162, 16, v154
	v_cndmask_b32_e64 v150, v150, v164, s13
	v_perm_b32 v134, v133, v148, 0x5040100
	v_cndmask_b32_e64 v132, v132, v154, s4
	v_perm_b32 v133, v136, v167, 0x5040100
	v_cndmask_b32_e64 v136, v147, v162, s9
	v_cndmask_b32_e64 v147, v150, v158, s15
	;; [unrolled: 1-line block ×27, first 2 shown]
	v_cndmask_b32_e32 v149, v149, v164, vcc_lo
	v_lshrrev_b32_e32 v148, 16, v158
	v_cndmask_b32_e64 v132, v132, v154, s25
	v_cndmask_b32_e64 v150, v150, v154, s29
	;; [unrolled: 1-line block ×11, first 2 shown]
	v_perm_b32 v132, v166, v165, 0x5040100
	v_perm_b32 v150, v151, v150, 0x5040100
	;; [unrolled: 1-line block ×5, first 2 shown]
	s_mul_i32 s8, s35, 7
	s_mov_b32 s3, exec_lo
	ds_store_b128 v131, v[132:135]
	ds_store_b128 v131, v[147:150] offset:1024
	v_cmpx_gt_u32_e32 7, v0
	s_cbranch_execz .LBB584_78
; %bb.77:
	s_mul_i32 s4, s8, s30
	s_delay_alu instid0(SALU_CYCLE_1) | instskip(SKIP_1) | instid1(VALU_DEP_1)
	v_add3_u32 v133, s4, s31, v140
	s_load_b128 s[4:7], s[0:1], 0x58
	v_mad_u64_u32 v[131:132], null, v133, s34, s[14:15]
	s_delay_alu instid0(VALU_DEP_1) | instskip(NEXT) | instid1(VALU_DEP_1)
	v_ashrrev_i32_e32 v132, 31, v131
	v_lshlrev_b64 v[131:132], 2, v[131:132]
	s_waitcnt lgkmcnt(0)
	s_delay_alu instid0(VALU_DEP_1) | instskip(NEXT) | instid1(VALU_DEP_2)
	v_add_co_u32 v133, vcc_lo, s6, v131
	v_add_co_ci_u32_e32 v134, vcc_lo, s7, v132, vcc_lo
	v_add_co_u32 v131, vcc_lo, s4, v131
	v_add_co_ci_u32_e32 v132, vcc_lo, s5, v132, vcc_lo
	global_store_b32 v[133:134], v129, off
	global_store_b32 v[131:132], v130, off
.LBB584_78:
	s_or_b32 exec_lo, exec_lo, s3
	s_waitcnt lgkmcnt(0)
	s_waitcnt_vscnt null, 0x0
	s_barrier
	buffer_gl0_inv
	ds_load_b128 v[147:150], v144
	ds_load_b128 v[151:154], v144 offset:16
	ds_load_b128 v[159:162], v144 offset:1040
	;; [unrolled: 1-line block ×3, first 2 shown]
	v_mov_b32_e32 v129, 0
	ds_load_b128 v[167:170], v144 offset:2064
	ds_load_b128 v[163:166], v144 offset:2048
	;; [unrolled: 1-line block ×6, first 2 shown]
	v_mov_b32_e32 v130, v129
	v_mov_b32_e32 v131, v129
	;; [unrolled: 1-line block ×7, first 2 shown]
	s_waitcnt lgkmcnt(8)
	s_delay_alu instid0(VALU_DEP_1)
	v_wmma_f32_16x16x16_bf16 v[129:136], v[121:128], v[147:154], v[129:136]
	ds_load_b128 v[125:128], v144 offset:5136
	ds_load_b128 v[121:124], v144 offset:5120
	s_waitcnt lgkmcnt(8)
	v_wmma_f32_16x16x16_bf16 v[129:136], v[113:120], v[155:162], v[129:136]
	ds_load_b128 v[117:120], v144 offset:6160
	ds_load_b128 v[113:116], v144 offset:6144
	s_waitcnt lgkmcnt(8)
	;; [unrolled: 4-line block ×8, first 2 shown]
	v_wmma_f32_16x16x16_bf16 v[129:136], v[65:72], v[97:104], v[129:136]
	s_waitcnt lgkmcnt(6)
	s_delay_alu instid0(VALU_DEP_1)
	v_wmma_f32_16x16x16_bf16 v[129:136], v[49:56], v[89:96], v[129:136]
	ds_load_b128 v[53:56], v144 offset:13328
	ds_load_b128 v[49:52], v144 offset:13312
	s_waitcnt lgkmcnt(6)
	v_wmma_f32_16x16x16_bf16 v[129:136], v[41:48], v[81:88], v[129:136]
	ds_load_b128 v[45:48], v144 offset:14352
	ds_load_b128 v[41:44], v144 offset:14336
	s_waitcnt lgkmcnt(6)
	v_wmma_f32_16x16x16_bf16 v[129:136], v[17:24], v[73:80], v[129:136]
	ds_load_b128 v[21:24], v144 offset:15376
	ds_load_b128 v[17:20], v144 offset:15360
	s_waitcnt lgkmcnt(6)
	v_wmma_f32_16x16x16_bf16 v[129:136], v[1:8], v[57:64], v[129:136]
	s_waitcnt lgkmcnt(4)
	s_delay_alu instid0(VALU_DEP_1) | instskip(SKIP_1) | instid1(VALU_DEP_1)
	v_wmma_f32_16x16x16_bf16 v[129:136], v[25:32], v[49:56], v[129:136]
	s_waitcnt lgkmcnt(2)
	v_wmma_f32_16x16x16_bf16 v[129:136], v[33:40], v[41:48], v[129:136]
	s_waitcnt lgkmcnt(0)
	s_delay_alu instid0(VALU_DEP_1) | instskip(NEXT) | instid1(VALU_DEP_1)
	v_wmma_f32_16x16x16_bf16 v[129:136], v[9:16], v[17:24], v[129:136]
	v_and_b32_e32 v1, 0x7f800000, v129
	s_delay_alu instid0(VALU_DEP_1) | instskip(SKIP_1) | instid1(SALU_CYCLE_1)
	v_cmp_ne_u32_e32 vcc_lo, 0x7f800000, v1
                                        ; implicit-def: $vgpr1
	s_and_saveexec_b32 s3, vcc_lo
	s_xor_b32 s3, exec_lo, s3
; %bb.79:
	v_bfe_u32 v1, v129, 16, 1
	s_delay_alu instid0(VALU_DEP_1)
	v_add3_u32 v1, v129, v1, 0x7fff
; %bb.80:
	s_and_not1_saveexec_b32 s3, s3
; %bb.81:
	v_and_b32_e32 v1, 0xffff, v129
	v_or_b32_e32 v2, 0x10000, v129
	s_delay_alu instid0(VALU_DEP_2) | instskip(NEXT) | instid1(VALU_DEP_2)
	v_cmp_eq_u32_e32 vcc_lo, 0, v1
	v_cndmask_b32_e32 v1, v2, v129, vcc_lo
; %bb.82:
	s_or_b32 exec_lo, exec_lo, s3
	v_and_b32_e32 v2, 0x7f800000, v130
	s_delay_alu instid0(VALU_DEP_1) | instskip(SKIP_1) | instid1(SALU_CYCLE_1)
	v_cmp_ne_u32_e32 vcc_lo, 0x7f800000, v2
                                        ; implicit-def: $vgpr2
	s_and_saveexec_b32 s3, vcc_lo
	s_xor_b32 s3, exec_lo, s3
; %bb.83:
	v_bfe_u32 v2, v130, 16, 1
	s_delay_alu instid0(VALU_DEP_1)
	v_add3_u32 v2, v130, v2, 0x7fff
; %bb.84:
	s_and_not1_saveexec_b32 s3, s3
; %bb.85:
	v_and_b32_e32 v2, 0xffff, v130
	v_or_b32_e32 v3, 0x10000, v130
	s_delay_alu instid0(VALU_DEP_2) | instskip(NEXT) | instid1(VALU_DEP_2)
	v_cmp_eq_u32_e32 vcc_lo, 0, v2
	v_cndmask_b32_e32 v2, v3, v130, vcc_lo
; %bb.86:
	s_or_b32 exec_lo, exec_lo, s3
	v_and_b32_e32 v3, 0x7f800000, v131
	s_delay_alu instid0(VALU_DEP_1) | instskip(SKIP_1) | instid1(SALU_CYCLE_1)
	v_cmp_ne_u32_e32 vcc_lo, 0x7f800000, v3
                                        ; implicit-def: $vgpr3
	s_and_saveexec_b32 s3, vcc_lo
	s_xor_b32 s3, exec_lo, s3
; %bb.87:
	v_bfe_u32 v3, v131, 16, 1
	s_delay_alu instid0(VALU_DEP_1)
	v_add3_u32 v3, v131, v3, 0x7fff
; %bb.88:
	s_and_not1_saveexec_b32 s3, s3
; %bb.89:
	v_and_b32_e32 v3, 0xffff, v131
	v_or_b32_e32 v4, 0x10000, v131
	s_delay_alu instid0(VALU_DEP_2) | instskip(NEXT) | instid1(VALU_DEP_2)
	v_cmp_eq_u32_e32 vcc_lo, 0, v3
	v_cndmask_b32_e32 v3, v4, v131, vcc_lo
; %bb.90:
	s_or_b32 exec_lo, exec_lo, s3
	v_and_b32_e32 v4, 0x7f800000, v132
	s_delay_alu instid0(VALU_DEP_1) | instskip(SKIP_1) | instid1(SALU_CYCLE_1)
	v_cmp_ne_u32_e32 vcc_lo, 0x7f800000, v4
                                        ; implicit-def: $vgpr4
	s_and_saveexec_b32 s3, vcc_lo
	s_xor_b32 s3, exec_lo, s3
; %bb.91:
	v_bfe_u32 v4, v132, 16, 1
	s_delay_alu instid0(VALU_DEP_1)
	v_add3_u32 v4, v132, v4, 0x7fff
; %bb.92:
	s_and_not1_saveexec_b32 s3, s3
; %bb.93:
	v_and_b32_e32 v4, 0xffff, v132
	v_or_b32_e32 v5, 0x10000, v132
	s_delay_alu instid0(VALU_DEP_2) | instskip(NEXT) | instid1(VALU_DEP_2)
	v_cmp_eq_u32_e32 vcc_lo, 0, v4
	v_cndmask_b32_e32 v4, v5, v132, vcc_lo
; %bb.94:
	s_or_b32 exec_lo, exec_lo, s3
	v_and_b32_e32 v5, 0x7f800000, v133
	s_delay_alu instid0(VALU_DEP_1) | instskip(SKIP_1) | instid1(SALU_CYCLE_1)
	v_cmp_ne_u32_e32 vcc_lo, 0x7f800000, v5
                                        ; implicit-def: $vgpr5
	s_and_saveexec_b32 s3, vcc_lo
	s_xor_b32 s3, exec_lo, s3
; %bb.95:
	v_bfe_u32 v5, v133, 16, 1
	s_delay_alu instid0(VALU_DEP_1)
	v_add3_u32 v5, v133, v5, 0x7fff
; %bb.96:
	s_and_not1_saveexec_b32 s3, s3
; %bb.97:
	v_and_b32_e32 v5, 0xffff, v133
	v_or_b32_e32 v6, 0x10000, v133
	s_delay_alu instid0(VALU_DEP_2) | instskip(NEXT) | instid1(VALU_DEP_2)
	v_cmp_eq_u32_e32 vcc_lo, 0, v5
	v_cndmask_b32_e32 v5, v6, v133, vcc_lo
; %bb.98:
	s_or_b32 exec_lo, exec_lo, s3
	v_and_b32_e32 v6, 0x7f800000, v134
	s_delay_alu instid0(VALU_DEP_1) | instskip(SKIP_1) | instid1(SALU_CYCLE_1)
	v_cmp_ne_u32_e32 vcc_lo, 0x7f800000, v6
                                        ; implicit-def: $vgpr6
	s_and_saveexec_b32 s3, vcc_lo
	s_xor_b32 s3, exec_lo, s3
; %bb.99:
	v_bfe_u32 v6, v134, 16, 1
	s_delay_alu instid0(VALU_DEP_1)
	v_add3_u32 v6, v134, v6, 0x7fff
; %bb.100:
	s_and_not1_saveexec_b32 s3, s3
; %bb.101:
	v_and_b32_e32 v6, 0xffff, v134
	v_or_b32_e32 v7, 0x10000, v134
	s_delay_alu instid0(VALU_DEP_2) | instskip(NEXT) | instid1(VALU_DEP_2)
	v_cmp_eq_u32_e32 vcc_lo, 0, v6
	v_cndmask_b32_e32 v6, v7, v134, vcc_lo
; %bb.102:
	s_or_b32 exec_lo, exec_lo, s3
	v_and_b32_e32 v7, 0x7f800000, v135
	s_delay_alu instid0(VALU_DEP_1) | instskip(SKIP_1) | instid1(SALU_CYCLE_1)
	v_cmp_ne_u32_e32 vcc_lo, 0x7f800000, v7
                                        ; implicit-def: $vgpr7
	s_and_saveexec_b32 s3, vcc_lo
	s_xor_b32 s3, exec_lo, s3
; %bb.103:
	v_bfe_u32 v7, v135, 16, 1
	s_delay_alu instid0(VALU_DEP_1)
	v_add3_u32 v7, v135, v7, 0x7fff
; %bb.104:
	s_and_not1_saveexec_b32 s3, s3
; %bb.105:
	v_and_b32_e32 v7, 0xffff, v135
	v_or_b32_e32 v8, 0x10000, v135
	s_delay_alu instid0(VALU_DEP_2) | instskip(NEXT) | instid1(VALU_DEP_2)
	v_cmp_eq_u32_e32 vcc_lo, 0, v7
	v_cndmask_b32_e32 v7, v8, v135, vcc_lo
; %bb.106:
	s_or_b32 exec_lo, exec_lo, s3
	v_and_b32_e32 v8, 0x7f800000, v136
	s_delay_alu instid0(VALU_DEP_1) | instskip(SKIP_1) | instid1(SALU_CYCLE_1)
	v_cmp_ne_u32_e32 vcc_lo, 0x7f800000, v8
                                        ; implicit-def: $vgpr8
	s_and_saveexec_b32 s3, vcc_lo
	s_xor_b32 s3, exec_lo, s3
; %bb.107:
	v_bfe_u32 v8, v136, 16, 1
	s_delay_alu instid0(VALU_DEP_1)
	v_add3_u32 v8, v136, v8, 0x7fff
                                        ; implicit-def: $vgpr129_vgpr130_vgpr131_vgpr132_vgpr133_vgpr134_vgpr135_vgpr136
; %bb.108:
	s_and_not1_saveexec_b32 s3, s3
; %bb.109:
	v_and_b32_e32 v8, 0xffff, v136
	v_or_b32_e32 v9, 0x10000, v136
	s_delay_alu instid0(VALU_DEP_2) | instskip(NEXT) | instid1(VALU_DEP_2)
	v_cmp_eq_u32_e32 vcc_lo, 0, v8
	v_cndmask_b32_e32 v8, v9, v136, vcc_lo
; %bb.110:
	s_or_b32 exec_lo, exec_lo, s3
	s_delay_alu instid0(VALU_DEP_1)
	v_perm_b32 v7, v8, v7, 0x7060302
	v_perm_b32 v6, v6, v5, 0x7060302
	;; [unrolled: 1-line block ×4, first 2 shown]
	v_lshl_or_b32 v9, v138, 4, v145
	s_barrier
	buffer_gl0_inv
	v_cmp_eq_u32_e32 vcc_lo, 1, v142
	ds_store_b128 v9, v[4:7]
	s_waitcnt lgkmcnt(0)
	s_barrier
	buffer_gl0_inv
	ds_load_b128 v[1:4], v145
	ds_load_b128 v[5:8], v145 offset:16
	v_cmp_eq_u32_e64 s4, 2, v142
	v_cmp_eq_u32_e64 s3, 1, v143
	;; [unrolled: 1-line block ×5, first 2 shown]
	s_waitcnt lgkmcnt(1)
	v_lshrrev_b32_e32 v10, 16, v1
	s_waitcnt lgkmcnt(0)
	v_lshrrev_b32_e32 v14, 16, v5
	v_lshrrev_b32_e32 v15, 16, v6
	;; [unrolled: 1-line block ×4, first 2 shown]
	v_cndmask_b32_e64 v20, v1, v10, s3
	v_cndmask_b32_e32 v19, v5, v14, vcc_lo
	v_cndmask_b32_e64 v21, v5, v14, s3
	v_lshrrev_b32_e32 v16, 16, v7
	v_cmp_eq_u32_e64 s3, 1, v141
	v_lshrrev_b32_e32 v13, 16, v4
	v_cndmask_b32_e64 v19, v19, v6, s4
	v_lshrrev_b32_e32 v17, 16, v8
	s_delay_alu instid0(VALU_DEP_4) | instskip(SKIP_1) | instid1(VALU_DEP_4)
	v_cndmask_b32_e64 v22, v1, v10, s3
	v_cndmask_b32_e64 v23, v5, v14, s3
	;; [unrolled: 1-line block ×3, first 2 shown]
	v_cndmask_b32_e32 v18, v1, v10, vcc_lo
	v_cmp_eq_u32_e32 vcc_lo, 2, v143
	v_cmp_eq_u32_e64 s3, 2, v146
	v_cndmask_b32_e64 v22, v22, v2, s7
	v_cndmask_b32_e32 v20, v20, v2, vcc_lo
	v_cndmask_b32_e32 v21, v21, v6, vcc_lo
	v_cmp_eq_u32_e32 vcc_lo, 4, v142
	v_cndmask_b32_e32 v19, v19, v7, vcc_lo
	v_cndmask_b32_e64 v18, v18, v2, s4
	v_cmp_eq_u32_e64 s4, 3, v143
	s_delay_alu instid0(VALU_DEP_2) | instskip(NEXT) | instid1(VALU_DEP_2)
	v_cndmask_b32_e64 v18, v18, v11, s5
	v_cndmask_b32_e64 v21, v21, v15, s4
	v_cmp_eq_u32_e64 s5, 5, v142
	s_delay_alu instid0(VALU_DEP_3) | instskip(SKIP_1) | instid1(VALU_DEP_3)
	v_cndmask_b32_e32 v18, v18, v3, vcc_lo
	v_cmp_eq_u32_e32 vcc_lo, 4, v143
	v_cndmask_b32_e64 v19, v19, v16, s5
	s_delay_alu instid0(VALU_DEP_3) | instskip(SKIP_4) | instid1(VALU_DEP_3)
	v_cndmask_b32_e64 v18, v18, v12, s5
	v_cndmask_b32_e32 v21, v21, v7, vcc_lo
	v_cndmask_b32_e64 v20, v20, v11, s4
	v_cmp_eq_u32_e64 s4, 5, v143
	v_cmp_eq_u32_e64 s5, 6, v142
	v_cndmask_b32_e32 v20, v20, v3, vcc_lo
	s_delay_alu instid0(VALU_DEP_3) | instskip(SKIP_1) | instid1(VALU_DEP_4)
	v_cndmask_b32_e64 v21, v21, v16, s4
	v_cmp_eq_u32_e32 vcc_lo, 6, v143
	v_cndmask_b32_e64 v18, v18, v4, s5
	v_cndmask_b32_e64 v19, v19, v8, s5
	;; [unrolled: 1-line block ×3, first 2 shown]
	v_cmp_eq_u32_e64 s4, 1, v146
	v_cmp_eq_u32_e64 s5, 7, v142
	s_delay_alu instid0(VALU_DEP_3) | instskip(NEXT) | instid1(VALU_DEP_3)
	v_cndmask_b32_e32 v20, v20, v4, vcc_lo
	v_cndmask_b32_e64 v1, v1, v10, s4
	v_cndmask_b32_e64 v5, v5, v14, s4
	v_cmp_eq_u32_e64 s4, 3, v141
	v_cndmask_b32_e64 v14, v23, v6, s7
	v_cmp_eq_u32_e64 s7, 3, v146
	v_cndmask_b32_e64 v1, v1, v2, s3
	v_cndmask_b32_e64 v2, v5, v6, s3
	;; [unrolled: 1-line block ×3, first 2 shown]
	v_cmp_eq_u32_e64 s3, 4, v141
	v_cndmask_b32_e64 v6, v14, v15, s4
	v_cndmask_b32_e64 v1, v1, v11, s7
	v_cmp_eq_u32_e64 s4, 4, v146
	v_cndmask_b32_e64 v2, v2, v15, s7
	v_cndmask_b32_e64 v5, v10, v3, s3
	;; [unrolled: 3-line block ×3, first 2 shown]
	v_cndmask_b32_e64 v2, v2, v7, s4
	v_cmp_eq_u32_e64 s3, 5, v146
	v_cndmask_b32_e64 v5, v5, v12, s7
	v_cmp_eq_u32_e64 s4, 6, v141
	;; [unrolled: 2-line block ×3, first 2 shown]
	v_cndmask_b32_e64 v1, v1, v12, s3
	v_cndmask_b32_e64 v2, v2, v16, s3
	;; [unrolled: 1-line block ×4, first 2 shown]
	v_cmp_eq_u32_e64 s3, 7, v146
	v_cndmask_b32_e64 v1, v1, v4, s7
	v_cndmask_b32_e64 v2, v2, v8, s7
	v_cmp_eq_u32_e64 s4, 7, v141
	v_cndmask_b32_e32 v4, v21, v8, vcc_lo
	v_cndmask_b32_e64 v18, v18, v13, s5
	v_cndmask_b32_e64 v20, v20, v13, s6
	v_cndmask_b32_e64 v1, v1, v13, s3
	v_cndmask_b32_e64 v5, v5, v13, s4
	v_cndmask_b32_e64 v2, v2, v17, s3
	v_cndmask_b32_e64 v3, v3, v17, s4
	v_cndmask_b32_e64 v6, v4, v17, s6
	v_cndmask_b32_e64 v7, v19, v17, s5
	s_mov_b32 s3, exec_lo
	v_perm_b32 v4, v2, v1, 0x5040100
	v_perm_b32 v3, v3, v5, 0x5040100
	;; [unrolled: 1-line block ×4, first 2 shown]
	ds_store_b128 v9, v[1:4]
	s_waitcnt lgkmcnt(0)
	s_barrier
	buffer_gl0_inv
	v_cmpx_gt_u32_e32 32, v0
	s_cbranch_execz .LBB584_2
; %bb.111:
	s_load_b64 s[4:5], s[0:1], 0x68
	v_lshlrev_b32_e32 v0, 10, v0
	v_add_nc_u32_e32 v2, s31, v138
	v_lshlrev_b32_e32 v3, 4, v139
	s_lshl_b32 s0, s34, 7
	s_delay_alu instid0(SALU_CYCLE_1) | instskip(NEXT) | instid1(VALU_DEP_2)
	s_mul_i32 s1, s0, s30
	v_mul_lo_u32 v1, v2, s0
	s_delay_alu instid0(VALU_DEP_2)
	v_and_or_b32 v0, 0x3800, v0, v3
	v_add_nc_u32_e32 v3, 2, v2
	s_mul_i32 s6, s1, s8
	v_add_nc_u32_e32 v4, 4, v2
	s_ashr_i32 s7, s6, 31
	v_lshl_or_b32 v11, v138, 6, v0
	s_lshl_b64 s[6:7], s[6:7], 1
	v_mul_lo_u32 v15, v3, s0
	v_mul_lo_u32 v17, v4, s0
	v_ashrrev_i32_e32 v2, 31, v1
	ds_load_b128 v[3:6], v11
	ds_load_b128 v[7:10], v11 offset:128
	ds_load_b128 v[11:14], v11 offset:256
	s_waitcnt lgkmcnt(0)
	s_add_u32 s1, s4, s6
	s_addc_u32 s3, s5, s7
	s_lshl_b32 s4, s14, 7
	v_ashrrev_i32_e32 v16, 31, v15
	s_ashr_i32 s5, s4, 31
	v_lshlrev_b64 v[19:20], 1, v[1:2]
	s_lshl_b64 s[4:5], s[4:5], 1
	v_ashrrev_i32_e32 v18, 31, v17
	s_add_u32 s1, s1, s4
	s_addc_u32 s3, s3, s5
	v_add_co_u32 v1, s1, s1, v137
	s_delay_alu instid0(VALU_DEP_1) | instskip(SKIP_1) | instid1(VALU_DEP_3)
	v_add_co_ci_u32_e64 v2, null, s3, 0, s1
	v_lshlrev_b64 v[15:16], 1, v[15:16]
	v_add_co_u32 v19, vcc_lo, v1, v19
	v_lshlrev_b64 v[17:18], 1, v[17:18]
	s_delay_alu instid0(VALU_DEP_4) | instskip(NEXT) | instid1(VALU_DEP_4)
	v_add_co_ci_u32_e32 v20, vcc_lo, v2, v20, vcc_lo
	v_add_co_u32 v15, vcc_lo, v1, v15
	v_add_co_ci_u32_e32 v16, vcc_lo, v2, v16, vcc_lo
	s_delay_alu instid0(VALU_DEP_4)
	v_add_co_u32 v17, vcc_lo, v1, v17
	v_add_co_ci_u32_e32 v18, vcc_lo, v2, v18, vcc_lo
	s_clause 0x2
	global_store_b128 v[19:20], v[3:6], off
	global_store_b128 v[15:16], v[7:10], off
	;; [unrolled: 1-line block ×3, first 2 shown]
	s_and_b32 exec_lo, exec_lo, s2
	s_cbranch_execz .LBB584_2
; %bb.112:
	ds_load_b128 v[3:6], v0 offset:384
	s_add_i32 s1, s31, 6
	s_delay_alu instid0(SALU_CYCLE_1) | instskip(NEXT) | instid1(SALU_CYCLE_1)
	s_mul_i32 s0, s1, s0
	s_ashr_i32 s1, s0, 31
	s_delay_alu instid0(SALU_CYCLE_1) | instskip(NEXT) | instid1(SALU_CYCLE_1)
	s_lshl_b64 s[0:1], s[0:1], 1
	v_add_co_u32 v0, vcc_lo, v1, s0
	v_add_co_ci_u32_e32 v1, vcc_lo, s1, v2, vcc_lo
	s_waitcnt lgkmcnt(0)
	global_store_b128 v[0:1], v[3:6], off
	s_nop 0
	s_sendmsg sendmsg(MSG_DEALLOC_VGPRS)
	s_endpgm
	.section	.rodata,"a",@progbits
	.p2align	6, 0x0
	.amdhsa_kernel _Z39paged_attention_ll4mi_QKV_mfma16_kernelI14__hip_bfloat16S0_LN4vllm18Fp8KVCacheDataTypeE0EhLi16ELi128ELi256ELb1ELi7EL8MFMAType0EEvPKT_PKT0_S9_ifPKiSB_SB_iPKfiiiPfSE_PS4_PT2_iSD_SD_
		.amdhsa_group_segment_fixed_size 17472
		.amdhsa_private_segment_fixed_size 0
		.amdhsa_kernarg_size 400
		.amdhsa_user_sgpr_count 13
		.amdhsa_user_sgpr_dispatch_ptr 0
		.amdhsa_user_sgpr_queue_ptr 0
		.amdhsa_user_sgpr_kernarg_segment_ptr 1
		.amdhsa_user_sgpr_dispatch_id 0
		.amdhsa_user_sgpr_private_segment_size 0
		.amdhsa_wavefront_size32 1
		.amdhsa_uses_dynamic_stack 0
		.amdhsa_enable_private_segment 0
		.amdhsa_system_sgpr_workgroup_id_x 1
		.amdhsa_system_sgpr_workgroup_id_y 1
		.amdhsa_system_sgpr_workgroup_id_z 1
		.amdhsa_system_sgpr_workgroup_info 0
		.amdhsa_system_vgpr_workitem_id 0
		.amdhsa_next_free_vgpr 218
		.amdhsa_next_free_sgpr 50
		.amdhsa_reserve_vcc 1
		.amdhsa_float_round_mode_32 0
		.amdhsa_float_round_mode_16_64 0
		.amdhsa_float_denorm_mode_32 3
		.amdhsa_float_denorm_mode_16_64 3
		.amdhsa_dx10_clamp 1
		.amdhsa_ieee_mode 1
		.amdhsa_fp16_overflow 0
		.amdhsa_workgroup_processor_mode 1
		.amdhsa_memory_ordered 1
		.amdhsa_forward_progress 0
		.amdhsa_shared_vgpr_count 0
		.amdhsa_exception_fp_ieee_invalid_op 0
		.amdhsa_exception_fp_denorm_src 0
		.amdhsa_exception_fp_ieee_div_zero 0
		.amdhsa_exception_fp_ieee_overflow 0
		.amdhsa_exception_fp_ieee_underflow 0
		.amdhsa_exception_fp_ieee_inexact 0
		.amdhsa_exception_int_div_zero 0
	.end_amdhsa_kernel
	.section	.text._Z39paged_attention_ll4mi_QKV_mfma16_kernelI14__hip_bfloat16S0_LN4vllm18Fp8KVCacheDataTypeE0EhLi16ELi128ELi256ELb1ELi7EL8MFMAType0EEvPKT_PKT0_S9_ifPKiSB_SB_iPKfiiiPfSE_PS4_PT2_iSD_SD_,"axG",@progbits,_Z39paged_attention_ll4mi_QKV_mfma16_kernelI14__hip_bfloat16S0_LN4vllm18Fp8KVCacheDataTypeE0EhLi16ELi128ELi256ELb1ELi7EL8MFMAType0EEvPKT_PKT0_S9_ifPKiSB_SB_iPKfiiiPfSE_PS4_PT2_iSD_SD_,comdat
.Lfunc_end584:
	.size	_Z39paged_attention_ll4mi_QKV_mfma16_kernelI14__hip_bfloat16S0_LN4vllm18Fp8KVCacheDataTypeE0EhLi16ELi128ELi256ELb1ELi7EL8MFMAType0EEvPKT_PKT0_S9_ifPKiSB_SB_iPKfiiiPfSE_PS4_PT2_iSD_SD_, .Lfunc_end584-_Z39paged_attention_ll4mi_QKV_mfma16_kernelI14__hip_bfloat16S0_LN4vllm18Fp8KVCacheDataTypeE0EhLi16ELi128ELi256ELb1ELi7EL8MFMAType0EEvPKT_PKT0_S9_ifPKiSB_SB_iPKfiiiPfSE_PS4_PT2_iSD_SD_
                                        ; -- End function
	.section	.AMDGPU.csdata,"",@progbits
; Kernel info:
; codeLenInByte = 10268
; NumSgprs: 52
; NumVgprs: 218
; ScratchSize: 0
; MemoryBound: 0
; FloatMode: 240
; IeeeMode: 1
; LDSByteSize: 17472 bytes/workgroup (compile time only)
; SGPRBlocks: 6
; VGPRBlocks: 27
; NumSGPRsForWavesPerEU: 52
; NumVGPRsForWavesPerEU: 218
; Occupancy: 6
; WaveLimiterHint : 1
; COMPUTE_PGM_RSRC2:SCRATCH_EN: 0
; COMPUTE_PGM_RSRC2:USER_SGPR: 13
; COMPUTE_PGM_RSRC2:TRAP_HANDLER: 0
; COMPUTE_PGM_RSRC2:TGID_X_EN: 1
; COMPUTE_PGM_RSRC2:TGID_Y_EN: 1
; COMPUTE_PGM_RSRC2:TGID_Z_EN: 1
; COMPUTE_PGM_RSRC2:TIDIG_COMP_CNT: 0
	.section	.text._Z39paged_attention_ll4mi_QKV_mfma16_kernelI14__hip_bfloat16S0_LN4vllm18Fp8KVCacheDataTypeE0EhLi16ELi128ELi256ELb1ELi8EL8MFMAType0EEvPKT_PKT0_S9_ifPKiSB_SB_iPKfiiiPfSE_PS4_PT2_iSD_SD_,"axG",@progbits,_Z39paged_attention_ll4mi_QKV_mfma16_kernelI14__hip_bfloat16S0_LN4vllm18Fp8KVCacheDataTypeE0EhLi16ELi128ELi256ELb1ELi8EL8MFMAType0EEvPKT_PKT0_S9_ifPKiSB_SB_iPKfiiiPfSE_PS4_PT2_iSD_SD_,comdat
	.protected	_Z39paged_attention_ll4mi_QKV_mfma16_kernelI14__hip_bfloat16S0_LN4vllm18Fp8KVCacheDataTypeE0EhLi16ELi128ELi256ELb1ELi8EL8MFMAType0EEvPKT_PKT0_S9_ifPKiSB_SB_iPKfiiiPfSE_PS4_PT2_iSD_SD_ ; -- Begin function _Z39paged_attention_ll4mi_QKV_mfma16_kernelI14__hip_bfloat16S0_LN4vllm18Fp8KVCacheDataTypeE0EhLi16ELi128ELi256ELb1ELi8EL8MFMAType0EEvPKT_PKT0_S9_ifPKiSB_SB_iPKfiiiPfSE_PS4_PT2_iSD_SD_
	.globl	_Z39paged_attention_ll4mi_QKV_mfma16_kernelI14__hip_bfloat16S0_LN4vllm18Fp8KVCacheDataTypeE0EhLi16ELi128ELi256ELb1ELi8EL8MFMAType0EEvPKT_PKT0_S9_ifPKiSB_SB_iPKfiiiPfSE_PS4_PT2_iSD_SD_
	.p2align	8
	.type	_Z39paged_attention_ll4mi_QKV_mfma16_kernelI14__hip_bfloat16S0_LN4vllm18Fp8KVCacheDataTypeE0EhLi16ELi128ELi256ELb1ELi8EL8MFMAType0EEvPKT_PKT0_S9_ifPKiSB_SB_iPKfiiiPfSE_PS4_PT2_iSD_SD_,@function
_Z39paged_attention_ll4mi_QKV_mfma16_kernelI14__hip_bfloat16S0_LN4vllm18Fp8KVCacheDataTypeE0EhLi16ELi128ELi256ELb1ELi8EL8MFMAType0EEvPKT_PKT0_S9_ifPKiSB_SB_iPKfiiiPfSE_PS4_PT2_iSD_SD_: ; @_Z39paged_attention_ll4mi_QKV_mfma16_kernelI14__hip_bfloat16S0_LN4vllm18Fp8KVCacheDataTypeE0EhLi16ELi128ELi256ELb1ELi8EL8MFMAType0EEvPKT_PKT0_S9_ifPKiSB_SB_iPKfiiiPfSE_PS4_PT2_iSD_SD_
; %bb.0:
	s_load_b64 s[4:5], s[0:1], 0x30
	s_mov_b32 s30, s13
	s_waitcnt lgkmcnt(0)
	s_cmp_lg_u64 s[4:5], 0
	s_cselect_b32 s12, -1, 0
	s_ashr_i32 s31, s13, 31
	s_cmp_eq_u64 s[4:5], 0
	s_cbranch_scc1 .LBB585_3
; %bb.1:
	s_lshl_b64 s[2:3], s[30:31], 2
	s_delay_alu instid0(SALU_CYCLE_1) | instskip(SKIP_4) | instid1(SALU_CYCLE_1)
	s_add_u32 s2, s4, s2
	s_addc_u32 s3, s5, s3
	s_load_b64 s[2:3], s[2:3], 0x0
	s_waitcnt lgkmcnt(0)
	s_sub_i32 s2, s3, s2
	s_cmp_eq_u32 s2, 1
	s_cselect_b32 s2, -1, 0
	s_delay_alu instid0(SALU_CYCLE_1)
	s_and_not1_b32 vcc_lo, exec_lo, s2
	s_cbranch_vccz .LBB585_4
.LBB585_2:
	s_endpgm
.LBB585_3:
.LBB585_4:
	s_load_b64 s[2:3], s[0:1], 0x28
	s_lshl_b64 s[6:7], s[30:31], 2
	s_waitcnt lgkmcnt(0)
	s_add_u32 s2, s2, s6
	s_addc_u32 s3, s3, s7
	s_lshl_b32 s31, s14, 8
	s_load_b32 s28, s[2:3], 0x0
	s_waitcnt lgkmcnt(0)
	s_cmp_ge_i32 s31, s28
	s_cbranch_scc1 .LBB585_2
; %bb.5:
	s_clause 0x1
	s_load_b128 s[8:11], s[0:1], 0x8
	s_load_b64 s[2:3], s[0:1], 0x20
	s_and_not1_b32 vcc_lo, exec_lo, s12
	s_cbranch_vccnz .LBB585_7
; %bb.6:
	s_add_u32 s4, s4, s6
	s_addc_u32 s5, s5, s7
	s_load_b32 s12, s[4:5], 0x0
	s_branch .LBB585_8
.LBB585_7:
	s_mov_b32 s12, s30
.LBB585_8:
	s_load_b128 s[4:7], s[0:1], 0x48
	v_and_b32_e32 v141, 15, v0
	v_lshrrev_b32_e32 v140, 5, v0
	v_and_b32_e32 v142, 31, v0
	v_and_b32_e32 v139, 1, v0
	v_bfe_u32 v138, v0, 4, 1
	v_lshlrev_b32_e32 v1, 3, v141
	s_lshl_b32 s29, s15, 3
	s_waitcnt lgkmcnt(0)
	s_mov_b32 s7, exec_lo
	s_delay_alu instid0(VALU_DEP_1)
	v_lshlrev_b32_e32 v137, 1, v1
	v_cmpx_gt_u32_e32 0x80, v0
	s_cbranch_execz .LBB585_10
; %bb.9:
	v_lshl_or_b32 v5, v140, 1, v138
	s_load_b64 s[16:17], s[0:1], 0x0
	s_mul_hi_i32 s13, s12, s4
	s_mul_i32 s12, s12, s4
	v_lshlrev_b32_e32 v6, 10, v141
	v_or_b32_e32 v1, s29, v5
	s_lshl_b64 s[12:13], s[12:13], 1
	v_lshlrev_b32_e32 v5, 6, v5
	v_lshlrev_b32_e32 v7, 10, v139
	v_and_b32_e32 v6, 0x3800, v6
	v_lshlrev_b32_e32 v1, 7, v1
	s_delay_alu instid0(VALU_DEP_2) | instskip(NEXT) | instid1(VALU_DEP_2)
	v_or3_b32 v5, v6, v7, v5
	v_ashrrev_i32_e32 v2, 31, v1
	s_delay_alu instid0(VALU_DEP_1) | instskip(SKIP_3) | instid1(VALU_DEP_1)
	v_lshlrev_b64 v[1:2], 1, v[1:2]
	s_waitcnt lgkmcnt(0)
	s_add_u32 s4, s16, s12
	s_addc_u32 s12, s17, s13
	v_add_co_u32 v1, vcc_lo, s4, v1
	s_delay_alu instid0(VALU_DEP_2) | instskip(NEXT) | instid1(VALU_DEP_2)
	v_add_co_ci_u32_e32 v2, vcc_lo, s12, v2, vcc_lo
	v_add_co_u32 v1, vcc_lo, v1, v137
	s_delay_alu instid0(VALU_DEP_2)
	v_add_co_ci_u32_e32 v2, vcc_lo, 0, v2, vcc_lo
	global_load_b128 v[1:4], v[1:2], off
	s_waitcnt vmcnt(0)
	ds_store_b128 v5, v[1:4]
.LBB585_10:
	s_or_b32 exec_lo, exec_lo, s7
	s_mov_b32 s36, 0
	s_add_i32 s4, s28, 15
	s_mov_b32 s37, s36
	s_mov_b32 s38, s36
	;; [unrolled: 1-line block ×7, first 2 shown]
	s_delay_alu instid0(SALU_CYCLE_1)
	v_dual_mov_b32 v136, s43 :: v_dual_and_b32 v1, 0xef, v0
	v_mov_b32_e32 v134, s41
	s_clause 0x1
	s_load_b32 s7, s[0:1], 0x38
	s_load_b32 s33, s[0:1], 0x1c
	v_add_nc_u32_e32 v1, s31, v1
	s_ashr_i32 s12, s4, 31
	s_waitcnt lgkmcnt(0)
	s_lshr_b32 s12, s12, 28
	s_barrier
	v_ashrrev_i32_e32 v2, 31, v1
	s_add_i32 s4, s4, s12
	v_cmp_gt_i32_e32 vcc_lo, s28, v1
	v_mov_b32_e32 v135, s42
	s_ashr_i32 s4, s4, 4
	v_lshrrev_b32_e32 v3, 28, v2
	v_or_b32_e32 v2, 16, v1
	s_add_i32 s4, s4, -1
	v_mov_b32_e32 v132, s39
	buffer_gl0_inv
	v_add_nc_u32_e32 v4, v1, v3
	v_add_nc_u32_e32 v3, v2, v3
	v_and_b32_e32 v105, 7, v0
	v_lshlrev_b32_e32 v106, 5, v141
	s_mul_i32 s12, s30, s7
	v_ashrrev_i32_e32 v4, 4, v4
	v_ashrrev_i32_e32 v3, 4, v3
	s_ashr_i32 s13, s12, 31
	v_lshlrev_b32_e32 v215, 6, v105
	s_lshl_b64 s[12:13], s[12:13], 2
	v_cndmask_b32_e32 v1, s4, v4, vcc_lo
	v_cmp_gt_i32_e32 vcc_lo, s28, v2
	s_add_u32 s34, s2, s12
	s_addc_u32 s35, s3, s13
	s_mul_i32 s2, s15, s6
	v_ashrrev_i32_e32 v2, 31, v1
	v_cndmask_b32_e32 v3, s4, v3, vcc_lo
	s_ashr_i32 s3, s2, 31
	v_lshl_or_b32 v125, v140, 9, v106
	s_lshl_b64 s[2:3], s[2:3], 1
	v_lshlrev_b64 v[1:2], 2, v[1:2]
	v_ashrrev_i32_e32 v4, 31, v3
	s_add_u32 s22, s8, s2
	s_addc_u32 s23, s9, s3
	s_lshl_b32 s6, s14, 4
	v_mov_b32_e32 v133, s40
	v_lshlrev_b64 v[3:4], 2, v[3:4]
	v_add_co_u32 v1, vcc_lo, s34, v1
	v_add_co_ci_u32_e32 v2, vcc_lo, s35, v2, vcc_lo
	s_ashr_i32 s7, s6, 31
	s_delay_alu instid0(VALU_DEP_3) | instskip(NEXT) | instid1(VALU_DEP_4)
	v_add_co_u32 v3, vcc_lo, s34, v3
	v_add_co_ci_u32_e32 v4, vcc_lo, s35, v4, vcc_lo
	s_clause 0x1
	global_load_b32 v5, v[1:2], off
	global_load_b32 v6, v[3:4], off
	s_lshl_b64 s[6:7], s[6:7], 2
	v_dual_mov_b32 v130, s37 :: v_dual_lshlrev_b32 v3, 4, v0
	s_add_u32 s6, s34, s6
	s_addc_u32 s7, s35, s7
	s_or_b32 s8, s31, 16
	v_mov_b32_e32 v131, s38
	s_ashr_i32 s9, s8, 4
	s_cmp_lt_i32 s8, s28
	v_mov_b32_e32 v129, s36
	s_cselect_b32 s8, s9, s4
	s_delay_alu instid0(SALU_CYCLE_1) | instskip(NEXT) | instid1(SALU_CYCLE_1)
	s_ashr_i32 s9, s8, 31
	s_lshl_b64 s[8:9], s[8:9], 2
	s_delay_alu instid0(SALU_CYCLE_1) | instskip(SKIP_2) | instid1(SALU_CYCLE_1)
	s_add_u32 s8, s34, s8
	s_addc_u32 s9, s35, s9
	s_or_b32 s12, s31, 32
	s_ashr_i32 s13, s12, 4
	s_cmp_lt_i32 s12, s28
	s_cselect_b32 s12, s13, s4
	s_delay_alu instid0(SALU_CYCLE_1) | instskip(NEXT) | instid1(SALU_CYCLE_1)
	s_ashr_i32 s13, s12, 31
	s_lshl_b64 s[12:13], s[12:13], 2
	s_delay_alu instid0(SALU_CYCLE_1) | instskip(SKIP_2) | instid1(SALU_CYCLE_1)
	s_add_u32 s12, s34, s12
	s_addc_u32 s13, s35, s13
	s_or_b32 s15, s31, 48
	s_ashr_i32 s16, s15, 4
	s_cmp_lt_i32 s15, s28
	s_cselect_b32 s16, s16, s4
	s_delay_alu instid0(SALU_CYCLE_1) | instskip(NEXT) | instid1(SALU_CYCLE_1)
	s_ashr_i32 s17, s16, 31
	s_lshl_b64 s[16:17], s[16:17], 2
	s_delay_alu instid0(SALU_CYCLE_1) | instskip(SKIP_2) | instid1(SALU_CYCLE_1)
	s_add_u32 s16, s34, s16
	s_addc_u32 s17, s35, s17
	s_or_b32 s15, s31, 64
	s_ashr_i32 s18, s15, 4
	s_cmp_lt_i32 s15, s28
	s_cselect_b32 s18, s18, s4
	s_delay_alu instid0(SALU_CYCLE_1) | instskip(NEXT) | instid1(SALU_CYCLE_1)
	s_ashr_i32 s19, s18, 31
	s_lshl_b64 s[18:19], s[18:19], 2
	s_delay_alu instid0(SALU_CYCLE_1) | instskip(SKIP_2) | instid1(SALU_CYCLE_1)
	s_add_u32 s18, s34, s18
	s_addc_u32 s19, s35, s19
	s_or_b32 s15, s31, 0x50
	s_ashr_i32 s20, s15, 4
	s_cmp_lt_i32 s15, s28
	s_cselect_b32 s20, s20, s4
	s_delay_alu instid0(SALU_CYCLE_1) | instskip(NEXT) | instid1(SALU_CYCLE_1)
	s_ashr_i32 s21, s20, 31
	s_lshl_b64 s[20:21], s[20:21], 2
	s_delay_alu instid0(SALU_CYCLE_1)
	s_add_u32 s20, s34, s20
	s_addc_u32 s21, s35, s21
	s_clause 0x5
	s_load_b32 s6, s[6:7], 0x0
	s_load_b32 s8, s[8:9], 0x0
	;; [unrolled: 1-line block ×6, first 2 shown]
	s_waitcnt vmcnt(1)
	v_mad_i64_i32 v[1:2], null, v5, s5, 0
	v_and_b32_e32 v5, 0xf0, v3
	s_waitcnt vmcnt(0)
	v_mad_i64_i32 v[3:4], null, v6, s5, 0
	s_delay_alu instid0(VALU_DEP_2) | instskip(NEXT) | instid1(VALU_DEP_4)
	v_add_co_u32 v5, s7, s22, v5
	v_lshlrev_b64 v[1:2], 1, v[1:2]
	v_add_co_ci_u32_e64 v6, null, s23, 0, s7
	s_delay_alu instid0(VALU_DEP_4) | instskip(SKIP_1) | instid1(VALU_DEP_3)
	v_lshlrev_b64 v[3:4], 1, v[3:4]
	s_or_b32 s7, s31, 0x60
	v_add_co_u32 v121, vcc_lo, v5, v1
	s_delay_alu instid0(VALU_DEP_3) | instskip(NEXT) | instid1(VALU_DEP_3)
	v_add_co_ci_u32_e32 v122, vcc_lo, v6, v2, vcc_lo
	v_add_co_u32 v123, vcc_lo, v5, v3
	s_delay_alu instid0(VALU_DEP_4)
	v_add_co_ci_u32_e32 v124, vcc_lo, v6, v4, vcc_lo
	s_clause 0x19
	global_load_b128 v[89:92], v[121:122], off
	global_load_b128 v[93:96], v[121:122], off offset:256
	global_load_b128 v[97:100], v[123:124], off
	global_load_b128 v[101:104], v[123:124], off offset:256
	global_load_b128 v[81:84], v[121:122], off offset:512
	;; [unrolled: 1-line block ×23, first 2 shown]
	s_ashr_i32 s9, s7, 4
	s_cmp_lt_i32 s7, s28
	ds_load_b128 v[105:108], v215
	ds_load_b128 v[109:112], v215 offset:1024
	s_cselect_b32 s20, s9, s4
	ds_load_b128 v[113:116], v215 offset:2048
	ds_load_b128 v[117:120], v215 offset:3072
	s_ashr_i32 s21, s20, 31
	ds_load_b128 v[143:146], v215 offset:4096
	ds_load_b128 v[147:150], v215 offset:5120
	s_lshl_b64 s[20:21], s[20:21], 2
	ds_load_b128 v[151:154], v215 offset:6144
	ds_load_b128 v[155:158], v215 offset:7168
	s_add_u32 s20, s34, s20
	s_addc_u32 s21, s35, s21
	s_or_b32 s7, s31, 0x70
	ds_load_b128 v[159:162], v215 offset:8192
	ds_load_b128 v[163:166], v215 offset:9216
	s_ashr_i32 s9, s7, 4
	s_cmp_lt_i32 s7, s28
	s_clause 0x1
	global_load_b128 v[167:170], v[123:124], off offset:3072
	global_load_b128 v[171:174], v[123:124], off offset:3328
	s_cselect_b32 s22, s9, s4
	s_delay_alu instid0(SALU_CYCLE_1) | instskip(NEXT) | instid1(SALU_CYCLE_1)
	s_ashr_i32 s23, s22, 31
	s_lshl_b64 s[22:23], s[22:23], 2
	s_delay_alu instid0(SALU_CYCLE_1)
	s_add_u32 s22, s34, s22
	s_addc_u32 s23, s35, s23
	s_clause 0x1
	s_load_b32 s42, s[20:21], 0x0
	s_load_b32 s43, s[22:23], 0x0
	s_clause 0x3
	global_load_b128 v[175:178], v[121:122], off offset:3584
	global_load_b128 v[179:182], v[121:122], off offset:3840
	;; [unrolled: 1-line block ×4, first 2 shown]
	s_or_b32 s7, s31, 0x80
	s_delay_alu instid0(SALU_CYCLE_1) | instskip(SKIP_2) | instid1(SALU_CYCLE_1)
	s_ashr_i32 s9, s7, 4
	s_cmp_lt_i32 s7, s28
	s_cselect_b32 s24, s9, s4
	s_ashr_i32 s25, s24, 31
	s_delay_alu instid0(SALU_CYCLE_1) | instskip(NEXT) | instid1(SALU_CYCLE_1)
	s_lshl_b64 s[24:25], s[24:25], 2
	s_add_u32 s24, s34, s24
	s_addc_u32 s25, s35, s25
	s_or_b32 s7, s31, 0x90
	s_load_b32 s44, s[24:25], 0x0
	s_ashr_i32 s9, s7, 4
	s_cmp_lt_i32 s7, s28
	s_cselect_b32 s26, s9, s4
	s_delay_alu instid0(SALU_CYCLE_1) | instskip(NEXT) | instid1(SALU_CYCLE_1)
	s_ashr_i32 s27, s26, 31
	s_lshl_b64 s[26:27], s[26:27], 2
	s_delay_alu instid0(SALU_CYCLE_1) | instskip(SKIP_2) | instid1(SALU_CYCLE_1)
	s_add_u32 s26, s34, s26
	s_addc_u32 s27, s35, s27
	s_or_b32 s7, s31, 0xa0
	s_ashr_i32 s9, s7, 4
	s_cmp_lt_i32 s7, s28
	s_waitcnt lgkmcnt(0)
	s_mul_hi_i32 s7, s6, s5
	s_cselect_b32 s36, s9, s4
	s_mul_i32 s6, s6, s5
	s_ashr_i32 s37, s36, 31
	s_delay_alu instid0(SALU_CYCLE_1) | instskip(NEXT) | instid1(SALU_CYCLE_1)
	s_lshl_b64 s[36:37], s[36:37], 2
	s_add_u32 s36, s34, s36
	s_addc_u32 s37, s35, s37
	s_or_b32 s9, s31, 0xb0
	s_delay_alu instid0(SALU_CYCLE_1)
	s_ashr_i32 s13, s9, 4
	s_cmp_lt_i32 s9, s28
	s_mul_hi_i32 s9, s8, s5
	s_cselect_b32 s38, s13, s4
	s_mul_i32 s8, s8, s5
	s_ashr_i32 s39, s38, 31
	s_mul_hi_i32 s13, s12, s5
	s_lshl_b64 s[38:39], s[38:39], 2
	s_mul_i32 s12, s12, s5
	s_add_u32 s40, s34, s38
	s_addc_u32 s41, s35, s39
	s_or_b32 s17, s31, 0xc0
	s_delay_alu instid0(SALU_CYCLE_1)
	s_ashr_i32 s19, s17, 4
	s_cmp_lt_i32 s17, s28
	s_mul_hi_i32 s17, s16, s5
	s_cselect_b32 s38, s19, s4
	s_mul_i32 s16, s16, s5
	s_ashr_i32 s39, s38, 31
	s_mul_hi_i32 s19, s18, s5
	s_lshl_b64 s[38:39], s[38:39], 2
	s_mul_i32 s18, s18, s5
	s_add_u32 s22, s34, s38
	s_addc_u32 s23, s35, s39
	s_clause 0x1
	s_load_b32 s39, s[26:27], 0x0
	s_load_b32 s38, s[36:37], 0x0
	s_or_b32 s20, s31, 0xd0
	s_mul_hi_i32 s27, s44, s5
	s_ashr_i32 s21, s20, 4
	s_cmp_lt_i32 s20, s28
	s_mul_i32 s20, s15, s5
	s_cselect_b32 s24, s21, s4
	s_mul_hi_i32 s21, s15, s5
	s_ashr_i32 s25, s24, 31
	s_mul_i32 s26, s44, s5
	s_lshl_b64 s[24:25], s[24:25], 2
	s_delay_alu instid0(SALU_CYCLE_1)
	s_add_u32 s24, s34, s24
	s_addc_u32 s25, s35, s25
	s_or_b32 s45, s31, 0xe0
	s_clause 0x2
	s_load_b32 s37, s[40:41], 0x0
	s_load_b32 s36, s[22:23], 0x0
	s_load_b32 s15, s[24:25], 0x0
	s_ashr_i32 s46, s45, 4
	s_cmp_lt_i32 s45, s28
	s_mul_hi_i32 s23, s42, s5
	s_mul_i32 s22, s42, s5
	s_cselect_b32 s42, s46, s4
	s_mul_hi_i32 s25, s43, s5
	s_mul_i32 s24, s43, s5
	s_ashr_i32 s43, s42, 31
	s_waitcnt lgkmcnt(0)
	s_mul_hi_i32 s41, s39, s5
	s_lshl_b64 s[42:43], s[42:43], 2
	s_mul_i32 s40, s39, s5
	s_add_u32 s42, s34, s42
	s_addc_u32 s43, s35, s43
	s_or_b32 s44, s31, 0xf0
	s_mul_hi_i32 s39, s38, s5
	s_ashr_i32 s46, s44, 4
	s_cmp_lt_i32 s44, s28
	s_mul_i32 s38, s38, s5
	s_cselect_b32 s46, s46, s4
	s_mul_hi_i32 s49, s15, s5
	s_ashr_i32 s47, s46, 31
	s_mul_i32 s48, s15, s5
	s_lshl_b64 s[46:47], s[46:47], 2
	s_mul_hi_i32 s45, s37, s5
	s_add_u32 s34, s34, s46
	s_addc_u32 s35, s35, s47
	s_add_u32 s4, s10, s2
	s_addc_u32 s15, s11, s3
	v_add_co_u32 v216, s4, s4, v125
	s_delay_alu instid0(VALU_DEP_1) | instskip(SKIP_2) | instid1(VALU_DEP_2)
	v_add_co_ci_u32_e64 v217, null, s15, 0, s4
	s_lshl_b64 s[2:3], s[6:7], 1
	s_lshl_b64 s[6:7], s[8:9], 1
	v_add_co_u32 v125, vcc_lo, v216, s2
	s_delay_alu instid0(VALU_DEP_2)
	v_add_co_ci_u32_e32 v126, vcc_lo, s3, v217, vcc_lo
	v_add_co_u32 v199, vcc_lo, v216, s6
	s_lshl_b64 s[8:9], s[12:13], 1
	v_add_co_ci_u32_e32 v200, vcc_lo, s7, v217, vcc_lo
	s_lshl_b64 s[10:11], s[16:17], 1
	s_lshl_b64 s[12:13], s[18:19], 1
	;; [unrolled: 1-line block ×8, first 2 shown]
	s_mul_i32 s44, s37, s5
	s_mul_hi_i32 s37, s36, s5
	s_lshl_b64 s[38:39], s[44:45], 1
	s_mul_i32 s36, s36, s5
	s_clause 0x1
	s_load_b32 s4, s[42:43], 0x0
	s_load_b32 s15, s[34:35], 0x0
	s_lshl_b64 s[36:37], s[36:37], 1
	s_lshl_b64 s[40:41], s[48:49], 1
	s_waitcnt lgkmcnt(0)
	s_mul_hi_i32 s3, s4, s5
	s_mul_i32 s2, s4, s5
	s_mul_hi_i32 s7, s15, s5
	s_lshl_b64 s[2:3], s[2:3], 1
	s_mul_i32 s6, s15, s5
	s_waitcnt vmcnt(30)
	v_wmma_f32_16x16x16_bf16 v[191:198], v[89:96], v[105:112], v[129:136]
	v_add_co_u32 v89, vcc_lo, v216, s8
	v_add_co_ci_u32_e32 v90, vcc_lo, s9, v217, vcc_lo
	v_add_co_u32 v91, vcc_lo, v216, s10
	v_add_co_ci_u32_e32 v92, vcc_lo, s11, v217, vcc_lo
	;; [unrolled: 2-line block ×5, first 2 shown]
	v_add_co_u32 v205, vcc_lo, v216, s20
	s_waitcnt vmcnt(28)
	v_wmma_f32_16x16x16_bf16 v[129:136], v[97:104], v[105:112], v[129:136]
	v_add_co_ci_u32_e32 v206, vcc_lo, s21, v217, vcc_lo
	v_add_co_u32 v207, vcc_lo, v216, s22
	v_add_co_ci_u32_e32 v208, vcc_lo, s23, v217, vcc_lo
	v_add_co_u32 v209, vcc_lo, v216, s24
	s_waitcnt vmcnt(26)
	v_wmma_f32_16x16x16_bf16 v[191:198], v[81:88], v[113:120], v[191:198]
	s_waitcnt vmcnt(24)
	v_wmma_f32_16x16x16_bf16 v[129:136], v[73:80], v[113:120], v[129:136]
	v_add_co_ci_u32_e32 v210, vcc_lo, s25, v217, vcc_lo
	v_add_co_u32 v211, vcc_lo, v216, s26
	v_add_co_ci_u32_e32 v212, vcc_lo, s27, v217, vcc_lo
	v_add_co_u32 v213, vcc_lo, v216, s38
	s_waitcnt vmcnt(22)
	v_wmma_f32_16x16x16_bf16 v[191:198], v[65:72], v[143:150], v[191:198]
	s_waitcnt vmcnt(20)
	v_wmma_f32_16x16x16_bf16 v[129:136], v[57:64], v[143:150], v[129:136]
	v_add_co_ci_u32_e32 v214, vcc_lo, s39, v217, vcc_lo
	v_add_co_u32 v143, vcc_lo, v216, s36
	s_waitcnt vmcnt(18)
	v_wmma_f32_16x16x16_bf16 v[191:198], v[49:56], v[151:158], v[191:198]
	s_waitcnt vmcnt(16)
	v_wmma_f32_16x16x16_bf16 v[129:136], v[41:48], v[151:158], v[129:136]
	v_add_co_ci_u32_e32 v144, vcc_lo, s37, v217, vcc_lo
	s_clause 0x15
	global_load_b128 v[121:124], v[125:126], off
	global_load_b128 v[125:128], v[125:126], off offset:16
	global_load_b128 v[113:116], v[199:200], off
	global_load_b128 v[117:120], v[199:200], off offset:16
	;; [unrolled: 2-line block ×11, first 2 shown]
	s_waitcnt vmcnt(36)
	v_wmma_f32_16x16x16_bf16 v[191:198], v[17:24], v[159:166], v[191:198]
	s_clause 0x1
	global_load_b128 v[17:20], v[213:214], off
	global_load_b128 v[21:24], v[213:214], off offset:16
	s_waitcnt vmcnt(36)
	v_wmma_f32_16x16x16_bf16 v[129:136], v[1:8], v[159:166], v[129:136]
	s_clause 0x1
	global_load_b128 v[1:4], v[143:144], off
	global_load_b128 v[5:8], v[143:144], off offset:16
	ds_load_b128 v[143:146], v215 offset:10240
	ds_load_b128 v[147:150], v215 offset:11264
	;; [unrolled: 1-line block ×4, first 2 shown]
	v_add_co_u32 v199, vcc_lo, v216, s40
	v_add_co_ci_u32_e32 v200, vcc_lo, s41, v217, vcc_lo
	v_add_co_u32 v159, vcc_lo, v216, s2
	v_add_co_ci_u32_e32 v160, vcc_lo, s3, v217, vcc_lo
	s_lshl_b64 s[2:3], s[6:7], 1
	s_delay_alu instid0(SALU_CYCLE_1)
	v_add_co_u32 v161, vcc_lo, v216, s2
	v_add_co_ci_u32_e32 v162, vcc_lo, s3, v217, vcc_lo
	s_waitcnt vmcnt(36) lgkmcnt(2)
	v_wmma_f32_16x16x16_bf16 v[191:198], v[33:40], v[143:150], v[191:198]
	s_waitcnt vmcnt(34)
	v_wmma_f32_16x16x16_bf16 v[129:136], v[25:32], v[143:150], v[129:136]
	s_clause 0x3
	global_load_b128 v[25:28], v[199:200], off
	global_load_b128 v[29:32], v[199:200], off offset:16
	global_load_b128 v[33:36], v[159:160], off
	global_load_b128 v[37:40], v[159:160], off offset:16
	v_and_b32_e32 v143, 0xe0, v0
	v_mbcnt_lo_u32_b32 v159, -1, 0
	s_waitcnt vmcnt(36) lgkmcnt(0)
	v_wmma_f32_16x16x16_bf16 v[191:198], v[9:16], v[151:158], v[191:198]
	s_clause 0x1
	global_load_b128 v[9:12], v[161:162], off
	global_load_b128 v[13:16], v[161:162], off offset:16
	s_waitcnt vmcnt(36)
	v_wmma_f32_16x16x16_bf16 v[129:136], v[167:174], v[151:158], v[129:136]
	v_add_nc_u32_e32 v160, s31, v143
	ds_load_b128 v[143:146], v215 offset:14336
	ds_load_b128 v[147:150], v215 offset:15360
	v_xor_b32_e32 v151, 16, v159
	s_waitcnt vmcnt(0) lgkmcnt(0)
	s_barrier
	v_or_b32_e32 v152, v160, v138
	buffer_gl0_inv
	v_cmp_gt_i32_e32 vcc_lo, 32, v151
	v_or_b32_e32 v153, 2, v152
	v_or_b32_e32 v154, 4, v152
	;; [unrolled: 1-line block ×5, first 2 shown]
	v_cmp_gt_i32_e64 s2, s28, v153
	v_cmp_gt_i32_e64 s3, s28, v154
	;; [unrolled: 1-line block ×3, first 2 shown]
	v_or_b32_e32 v158, 12, v152
	v_cmp_gt_i32_e64 s5, s28, v156
	v_cmp_gt_i32_e64 s6, s28, v157
	v_wmma_f32_16x16x16_bf16 v[191:198], v[175:182], v[143:150], v[191:198]
	v_wmma_f32_16x16x16_bf16 v[129:136], v[183:190], v[143:150], v[129:136]
	v_cndmask_b32_e32 v151, v159, v151, vcc_lo
	v_cmp_gt_i32_e32 vcc_lo, s28, v152
	v_or_b32_e32 v159, 14, v152
	v_dual_mul_f32 v149, s33, v192 :: v_dual_mul_f32 v150, s33, v191
	v_dual_mul_f32 v147, s33, v194 :: v_dual_mul_f32 v148, s33, v193
	;; [unrolled: 1-line block ×3, first 2 shown]
	s_delay_alu instid0(VALU_DEP_3) | instskip(NEXT) | instid1(VALU_DEP_4)
	v_cndmask_b32_e32 v150, 0xff7fffff, v150, vcc_lo
	v_cndmask_b32_e64 v149, 0xff7fffff, v149, s2
	v_mul_f32_e32 v146, s33, v195
	v_cndmask_b32_e64 v148, 0xff7fffff, v148, s3
	v_cndmask_b32_e64 v147, 0xff7fffff, v147, s4
	v_or_b32_e32 v160, 16, v152
	v_max3_f32 v149, v150, 0xff7fffff, v149
	v_or_b32_e32 v161, 18, v152
	v_mul_f32_e32 v144, s33, v197
	v_dual_mul_f32 v172, s33, v132 :: v_dual_mul_f32 v143, s33, v198
	v_lshlrev_b32_e32 v154, 2, v151
	v_cndmask_b32_e64 v146, 0xff7fffff, v146, s5
	v_cndmask_b32_e64 v145, 0xff7fffff, v145, s6
	v_max3_f32 v147, v149, v148, v147
	v_cmp_gt_i32_e64 s7, s28, v158
	v_cmp_gt_i32_e64 s8, s28, v159
	v_or_b32_e32 v162, 20, v152
	v_or_b32_e32 v163, 22, v152
	v_mul_f32_e32 v175, s33, v129
	v_cndmask_b32_e64 v144, 0xff7fffff, v144, s7
	v_cndmask_b32_e64 v143, 0xff7fffff, v143, s8
	v_max3_f32 v145, v147, v146, v145
	v_cmp_gt_i32_e64 s9, s28, v160
	v_cmp_gt_i32_e64 s10, s28, v161
	v_or_b32_e32 v164, 24, v152
	v_or_b32_e32 v165, 26, v152
	v_mul_f32_e32 v173, s33, v131
	v_cndmask_b32_e64 v146, 0xff7fffff, v175, s9
	v_cndmask_b32_e64 v147, 0xff7fffff, v174, s10
	v_max3_f32 v143, v145, v144, v143
	v_cmp_gt_i32_e64 s11, s28, v162
	v_cmp_gt_i32_e64 s12, s28, v163
	v_or_b32_e32 v166, 28, v152
	v_or_b32_e32 v167, 30, v152
	v_dual_mul_f32 v170, s33, v134 :: v_dual_mul_f32 v171, s33, v133
	v_cndmask_b32_e64 v144, 0xff7fffff, v173, s11
	v_cndmask_b32_e64 v145, 0xff7fffff, v172, s12
	v_max3_f32 v143, v143, v146, v147
	v_cmp_gt_i32_e64 s13, s28, v164
	v_cmp_gt_i32_e64 s15, s28, v165
	v_dual_mul_f32 v168, s33, v136 :: v_dual_mul_f32 v169, s33, v135
	s_delay_alu instid0(VALU_DEP_4) | instskip(NEXT) | instid1(VALU_DEP_4)
	v_max3_f32 v143, v143, v144, v145
	v_cndmask_b32_e64 v146, 0xff7fffff, v171, s13
	s_delay_alu instid0(VALU_DEP_4) | instskip(SKIP_2) | instid1(VALU_DEP_3)
	v_cndmask_b32_e64 v147, 0xff7fffff, v170, s15
	v_cmp_gt_i32_e64 s16, s28, v166
	v_cmp_gt_i32_e64 s17, s28, v167
	v_max3_f32 v143, v143, v146, v147
	s_delay_alu instid0(VALU_DEP_3) | instskip(NEXT) | instid1(VALU_DEP_3)
	v_cndmask_b32_e64 v144, 0xff7fffff, v169, s16
	v_cndmask_b32_e64 v145, 0xff7fffff, v168, s17
	s_delay_alu instid0(VALU_DEP_1) | instskip(SKIP_3) | instid1(VALU_DEP_1)
	v_max3_f32 v143, v143, v144, v145
	ds_bpermute_b32 v144, v154, v143
	s_waitcnt lgkmcnt(0)
	v_max_f32_e32 v144, v144, v144
	v_max_f32_e32 v153, v143, v144
	s_delay_alu instid0(VALU_DEP_1)
	v_fma_f32 v146, s33, v194, -v153
	v_fma_f32 v143, s33, v191, -v153
	;; [unrolled: 1-line block ×5, first 2 shown]
	v_mul_f32_e32 v146, 0x3fb8aa3b, v146
	v_fma_f32 v150, s33, v197, -v153
	s_delay_alu instid0(VALU_DEP_4) | instskip(NEXT) | instid1(VALU_DEP_4)
	v_dual_mul_f32 v147, 0x3fb8aa3b, v147 :: v_dual_mul_f32 v144, 0x3fb8aa3b, v144
	v_mul_f32_e32 v130, 0x3fb8aa3b, v130
	s_delay_alu instid0(VALU_DEP_4) | instskip(NEXT) | instid1(VALU_DEP_3)
	v_exp_f32_e32 v149, v146
	v_mul_f32_e32 v150, 0x3fb8aa3b, v150
	s_delay_alu instid0(VALU_DEP_3)
	v_exp_f32_e32 v151, v147
	v_exp_f32_e32 v144, v144
	v_fma_f32 v145, s33, v193, -v153
	v_fma_f32 v148, s33, v196, -v153
	v_exp_f32_e32 v152, v150
	v_fma_f32 v129, s33, v129, -v153
	v_fma_f32 v131, s33, v131, -v153
	;; [unrolled: 1-line block ×3, first 2 shown]
	v_cndmask_b32_e64 v149, 0, v149, s4
	v_mul_f32_e32 v143, 0x3fb8aa3b, v143
	v_cndmask_b32_e64 v150, 0, v151, s5
	v_cndmask_b32_e64 v146, 0, v144, s2
	v_dual_mul_f32 v148, 0x3fb8aa3b, v148 :: v_dual_mul_f32 v131, 0x3fb8aa3b, v131
	v_mul_f32_e32 v132, 0x3fb8aa3b, v132
	v_exp_f32_e32 v143, v143
	v_exp_f32_e32 v130, v130
	s_delay_alu instid0(VALU_DEP_2)
	v_exp_f32_e32 v148, v148
	v_fma_f32 v133, s33, v133, -v153
	v_fma_f32 v134, s33, v134, -v153
	;; [unrolled: 1-line block ×3, first 2 shown]
	s_mov_b32 s2, exec_lo
	s_delay_alu instid0(TRANS32_DEP_3) | instid1(VALU_DEP_2)
	v_dual_mul_f32 v134, 0x3fb8aa3b, v134 :: v_dual_cndmask_b32 v143, 0, v143
	s_waitcnt_depctr 0xfff
	v_cndmask_b32_e64 v151, 0, v148, s6
	v_cndmask_b32_e64 v148, 0, v152, s7
	v_add_f32_e32 v144, 0, v143
	s_delay_alu instid0(VALU_DEP_1) | instskip(NEXT) | instid1(VALU_DEP_1)
	v_dual_add_f32 v144, v144, v146 :: v_dual_mul_f32 v145, 0x3fb8aa3b, v145
	v_exp_f32_e32 v145, v145
	s_waitcnt_depctr 0xfff
	v_cndmask_b32_e64 v147, 0, v145, s3
	v_fma_f32 v145, s33, v198, -v153
	s_delay_alu instid0(VALU_DEP_2) | instskip(NEXT) | instid1(VALU_DEP_1)
	v_add_f32_e32 v144, v144, v147
	v_add_f32_e32 v144, v144, v149
	s_delay_alu instid0(VALU_DEP_1) | instskip(NEXT) | instid1(VALU_DEP_1)
	v_dual_add_f32 v144, v144, v150 :: v_dual_mul_f32 v145, 0x3fb8aa3b, v145
	v_dual_add_f32 v144, v144, v151 :: v_dual_mul_f32 v129, 0x3fb8aa3b, v129
	s_delay_alu instid0(VALU_DEP_2) | instskip(NEXT) | instid1(VALU_DEP_1)
	v_exp_f32_e32 v145, v145
	v_add_f32_e32 v144, v144, v148
	s_delay_alu instid0(VALU_DEP_2) | instskip(SKIP_4) | instid1(VALU_DEP_2)
	v_exp_f32_e32 v129, v129
	s_waitcnt_depctr 0xfff
	v_cndmask_b32_e64 v152, 0, v145, s8
	v_exp_f32_e32 v145, v131
	v_cndmask_b32_e64 v131, 0, v129, s9
	v_add_f32_e32 v129, v144, v152
	v_exp_f32_e32 v144, v132
	v_cndmask_b32_e64 v132, 0, v130, s10
	v_fma_f32 v130, s33, v135, -v153
	v_mul_f32_e32 v133, 0x3fb8aa3b, v133
	s_delay_alu instid0(VALU_DEP_2) | instskip(NEXT) | instid1(VALU_DEP_2)
	v_dual_add_f32 v129, v129, v131 :: v_dual_mul_f32 v130, 0x3fb8aa3b, v130
	v_exp_f32_e32 v135, v133
	s_delay_alu instid0(TRANS32_DEP_3) | instskip(SKIP_1) | instid1(TRANS32_DEP_3)
	v_cndmask_b32_e64 v133, 0, v145, s11
	v_exp_f32_e32 v145, v134
	v_cndmask_b32_e64 v134, 0, v144, s12
	v_mul_f32_e32 v144, 0x3fb8aa3b, v136
	v_add_f32_e32 v129, v129, v132
	v_exp_f32_e32 v130, v130
	s_delay_alu instid0(VALU_DEP_1) | instskip(NEXT) | instid1(TRANS32_DEP_3)
	v_add_f32_e32 v129, v129, v133
	v_cndmask_b32_e64 v135, 0, v135, s13
	s_delay_alu instid0(TRANS32_DEP_2) | instskip(SKIP_1) | instid1(VALU_DEP_3)
	v_cndmask_b32_e64 v136, 0, v145, s15
	v_exp_f32_e32 v145, v144
	v_add_f32_e32 v129, v129, v134
	s_waitcnt_depctr 0xfff
	v_cndmask_b32_e64 v144, 0, v130, s16
	v_add_f32_e32 v129, v129, v135
	v_cndmask_b32_e64 v145, 0, v145, s17
	s_delay_alu instid0(VALU_DEP_2) | instskip(NEXT) | instid1(VALU_DEP_1)
	v_add_f32_e32 v129, v129, v136
	v_add_f32_e32 v129, v129, v144
	s_delay_alu instid0(VALU_DEP_1)
	v_add_f32_e32 v129, v129, v145
	ds_bpermute_b32 v130, v154, v129
	v_cmpx_gt_u32_e32 16, v142
	s_cbranch_execz .LBB585_12
; %bb.11:
	v_mul_u32_u24_e32 v142, 0x44, v140
	s_waitcnt lgkmcnt(0)
	v_add_f32_e32 v129, v129, v130
	s_delay_alu instid0(VALU_DEP_2) | instskip(NEXT) | instid1(VALU_DEP_1)
	v_lshl_add_u32 v142, v141, 2, v142
	v_add_nc_u32_e32 v130, 0x4000, v142
	ds_store_2addr_b32 v130, v153, v129 offset1:136
.LBB585_12:
	s_or_b32 exec_lo, exec_lo, s2
	v_lshlrev_b32_e32 v129, 2, v141
	s_waitcnt lgkmcnt(0)
	s_barrier
	buffer_gl0_inv
	v_cmp_eq_u32_e64 s2, 1, v140
	v_add_nc_u32_e32 v142, 0x4000, v129
	ds_load_2addr_b32 v[153:154], v142 offset1:17
	ds_load_2addr_b32 v[155:156], v142 offset0:34 offset1:51
	ds_load_2addr_b32 v[157:158], v142 offset0:68 offset1:85
	;; [unrolled: 1-line block ×4, first 2 shown]
	s_waitcnt lgkmcnt(4)
	v_max3_f32 v129, v153, 0xff7fffff, v154
	s_waitcnt lgkmcnt(3)
	s_delay_alu instid0(VALU_DEP_1) | instskip(SKIP_1) | instid1(VALU_DEP_1)
	v_max3_f32 v129, v129, v155, v156
	s_waitcnt lgkmcnt(2)
	v_max3_f32 v129, v129, v157, v158
	s_waitcnt lgkmcnt(1)
	s_delay_alu instid0(VALU_DEP_1) | instskip(NEXT) | instid1(VALU_DEP_1)
	v_max3_f32 v129, v129, v159, v160
	v_sub_f32_e32 v163, v154, v129
	v_sub_f32_e32 v130, v153, v129
	ds_load_2addr_b32 v[153:154], v142 offset0:170 offset1:187
	v_sub_f32_e32 v155, v155, v129
	v_dual_mul_f32 v163, 0x3fb8aa3b, v163 :: v_dual_mul_f32 v130, 0x3fb8aa3b, v130
	s_delay_alu instid0(VALU_DEP_2) | instskip(NEXT) | instid1(VALU_DEP_2)
	v_mul_f32_e32 v165, 0x3fb8aa3b, v155
	v_exp_f32_e32 v163, v163
	s_delay_alu instid0(VALU_DEP_2)
	v_exp_f32_e32 v164, v130
	v_sub_f32_e32 v130, v156, v129
	ds_load_2addr_b32 v[155:156], v142 offset0:204 offset1:221
	v_exp_f32_e32 v165, v165
	v_mul_f32_e32 v166, 0x3fb8aa3b, v130
	s_waitcnt lgkmcnt(2)
	v_fma_f32 v130, v164, v161, 0
	v_sub_f32_e32 v157, v157, v129
	s_delay_alu instid0(VALU_DEP_3) | instskip(NEXT) | instid1(VALU_DEP_2)
	v_exp_f32_e32 v166, v166
	v_dual_sub_f32 v161, v158, v129 :: v_dual_fmac_f32 v130, v163, v162
	s_waitcnt lgkmcnt(1)
	s_waitcnt_depctr 0xfff
	v_fmac_f32_e32 v130, v165, v153
	v_mul_f32_e32 v167, 0x3fb8aa3b, v157
	ds_load_2addr_b32 v[157:158], v142 offset0:238 offset1:255
	v_sub_f32_e32 v142, v159, v129
	v_dual_sub_f32 v153, v160, v129 :: v_dual_fmac_f32 v130, v166, v154
	v_mul_f32_e32 v159, 0x3fb8aa3b, v161
	v_exp_f32_e32 v161, v167
	s_delay_alu instid0(VALU_DEP_2)
	v_dual_mul_f32 v142, 0x3fb8aa3b, v142 :: v_dual_mul_f32 v153, 0x3fb8aa3b, v153
	s_waitcnt lgkmcnt(0)
	s_barrier
	buffer_gl0_inv
	v_exp_f32_e32 v142, v142
	v_exp_f32_e32 v153, v153
	v_fmac_f32_e32 v130, v161, v155
	v_exp_f32_e32 v159, v159
	s_waitcnt_depctr 0xfff
	v_fmac_f32_e32 v130, v159, v156
	s_delay_alu instid0(VALU_DEP_1) | instskip(NEXT) | instid1(VALU_DEP_1)
	v_fmac_f32_e32 v130, v142, v157
	v_fmac_f32_e32 v130, v153, v158
	s_delay_alu instid0(VALU_DEP_1) | instskip(NEXT) | instid1(VALU_DEP_1)
	v_add_f32_e32 v154, 0x358637bd, v130
	v_div_scale_f32 v155, null, v154, v154, 1.0
	v_div_scale_f32 v158, vcc_lo, 1.0, v154, 1.0
	s_delay_alu instid0(VALU_DEP_2) | instskip(SKIP_2) | instid1(VALU_DEP_1)
	v_rcp_f32_e32 v156, v155
	s_waitcnt_depctr 0xfff
	v_fma_f32 v157, -v155, v156, 1.0
	v_fmac_f32_e32 v156, v157, v156
	v_cndmask_b32_e64 v157, v164, v163, s2
	v_cmp_eq_u32_e64 s2, 2, v140
	s_delay_alu instid0(VALU_DEP_3) | instskip(NEXT) | instid1(VALU_DEP_2)
	v_mul_f32_e32 v160, v158, v156
	v_cndmask_b32_e64 v157, v157, v165, s2
	v_cmp_eq_u32_e64 s2, 3, v140
	s_delay_alu instid0(VALU_DEP_3) | instskip(NEXT) | instid1(VALU_DEP_2)
	v_fma_f32 v162, -v155, v160, v158
	v_cndmask_b32_e64 v157, v157, v166, s2
	v_cmp_eq_u32_e64 s2, 4, v140
	s_delay_alu instid0(VALU_DEP_3) | instskip(NEXT) | instid1(VALU_DEP_2)
	v_fmac_f32_e32 v160, v162, v156
	v_cndmask_b32_e64 v157, v157, v161, s2
	s_delay_alu instid0(VALU_DEP_2) | instskip(SKIP_1) | instid1(VALU_DEP_2)
	v_fma_f32 v155, -v155, v160, v158
	v_cmp_eq_u32_e64 s2, 5, v140
	v_div_fmas_f32 v155, v155, v156, v160
	s_delay_alu instid0(VALU_DEP_2) | instskip(SKIP_2) | instid1(VALU_DEP_3)
	v_cndmask_b32_e64 v157, v157, v159, s2
	v_cmp_eq_u32_e32 vcc_lo, 6, v140
	s_mov_b32 s2, exec_lo
	v_div_fixup_f32 v154, v155, v154, 1.0
	s_delay_alu instid0(VALU_DEP_3) | instskip(SKIP_1) | instid1(VALU_DEP_2)
	v_cndmask_b32_e32 v142, v157, v142, vcc_lo
	v_cmp_eq_u32_e32 vcc_lo, 7, v140
	v_cndmask_b32_e32 v142, v142, v153, vcc_lo
	s_delay_alu instid0(VALU_DEP_1) | instskip(NEXT) | instid1(VALU_DEP_1)
	v_mul_f32_e32 v142, v142, v154
	v_mul_f32_e32 v151, v142, v151
	;; [unrolled: 1-line block ×7, first 2 shown]
	v_dual_mul_f32 v150, v142, v147 :: v_dual_and_b32 v155, 0x7f800000, v154
	v_mul_f32_e32 v149, v142, v146
                                        ; implicit-def: $vgpr146
	s_delay_alu instid0(VALU_DEP_2)
	v_cmpx_ne_u32_e32 0x7f800000, v155
	s_xor_b32 s2, exec_lo, s2
; %bb.13:
	v_bfe_u32 v146, v154, 16, 1
	s_delay_alu instid0(VALU_DEP_1)
	v_add3_u32 v146, v154, v146, 0x7fff
                                        ; implicit-def: $vgpr154
; %bb.14:
	s_and_not1_saveexec_b32 s2, s2
; %bb.15:
	v_and_b32_e32 v146, 0xffff, v154
	v_or_b32_e32 v147, 0x10000, v154
	s_delay_alu instid0(VALU_DEP_2) | instskip(NEXT) | instid1(VALU_DEP_2)
	v_cmp_eq_u32_e32 vcc_lo, 0, v146
	v_cndmask_b32_e32 v146, v147, v154, vcc_lo
; %bb.16:
	s_or_b32 exec_lo, exec_lo, s2
	v_and_b32_e32 v147, 0x7f800000, v149
	s_delay_alu instid0(VALU_DEP_1) | instskip(SKIP_1) | instid1(SALU_CYCLE_1)
	v_cmp_ne_u32_e32 vcc_lo, 0x7f800000, v147
                                        ; implicit-def: $vgpr147
	s_and_saveexec_b32 s2, vcc_lo
	s_xor_b32 s2, exec_lo, s2
; %bb.17:
	v_bfe_u32 v147, v149, 16, 1
	s_delay_alu instid0(VALU_DEP_1)
	v_add3_u32 v147, v149, v147, 0x7fff
                                        ; implicit-def: $vgpr149
; %bb.18:
	s_and_not1_saveexec_b32 s2, s2
; %bb.19:
	v_and_b32_e32 v147, 0xffff, v149
	v_or_b32_e32 v154, 0x10000, v149
	s_delay_alu instid0(VALU_DEP_2) | instskip(NEXT) | instid1(VALU_DEP_2)
	v_cmp_eq_u32_e32 vcc_lo, 0, v147
	v_cndmask_b32_e32 v147, v154, v149, vcc_lo
; %bb.20:
	s_or_b32 exec_lo, exec_lo, s2
	v_and_b32_e32 v149, 0x7f800000, v150
	s_delay_alu instid0(VALU_DEP_1) | instskip(SKIP_1) | instid1(SALU_CYCLE_1)
	v_cmp_ne_u32_e32 vcc_lo, 0x7f800000, v149
                                        ; implicit-def: $vgpr149
	s_and_saveexec_b32 s2, vcc_lo
	s_xor_b32 s2, exec_lo, s2
; %bb.21:
	v_bfe_u32 v149, v150, 16, 1
	s_delay_alu instid0(VALU_DEP_1)
	v_add3_u32 v149, v150, v149, 0x7fff
                                        ; implicit-def: $vgpr150
; %bb.22:
	s_and_not1_saveexec_b32 s2, s2
; %bb.23:
	v_and_b32_e32 v149, 0xffff, v150
	v_or_b32_e32 v154, 0x10000, v150
	s_delay_alu instid0(VALU_DEP_2) | instskip(NEXT) | instid1(VALU_DEP_2)
	v_cmp_eq_u32_e32 vcc_lo, 0, v149
	v_cndmask_b32_e32 v149, v154, v150, vcc_lo
; %bb.24:
	s_or_b32 exec_lo, exec_lo, s2
	v_and_b32_e32 v150, 0x7f800000, v153
	s_delay_alu instid0(VALU_DEP_1) | instskip(SKIP_1) | instid1(SALU_CYCLE_1)
	v_cmp_ne_u32_e32 vcc_lo, 0x7f800000, v150
                                        ; implicit-def: $vgpr150
	s_and_saveexec_b32 s2, vcc_lo
	s_xor_b32 s2, exec_lo, s2
; %bb.25:
	v_bfe_u32 v150, v153, 16, 1
	s_delay_alu instid0(VALU_DEP_1)
	v_add3_u32 v150, v153, v150, 0x7fff
                                        ; implicit-def: $vgpr153
; %bb.26:
	s_and_not1_saveexec_b32 s2, s2
; %bb.27:
	v_and_b32_e32 v150, 0xffff, v153
	v_or_b32_e32 v154, 0x10000, v153
	s_delay_alu instid0(VALU_DEP_2) | instskip(NEXT) | instid1(VALU_DEP_2)
	v_cmp_eq_u32_e32 vcc_lo, 0, v150
	v_cndmask_b32_e32 v150, v154, v153, vcc_lo
; %bb.28:
	s_or_b32 exec_lo, exec_lo, s2
	v_and_b32_e32 v153, 0x7f800000, v152
	s_delay_alu instid0(VALU_DEP_1) | instskip(SKIP_1) | instid1(SALU_CYCLE_1)
	v_cmp_ne_u32_e32 vcc_lo, 0x7f800000, v153
                                        ; implicit-def: $vgpr153
	s_and_saveexec_b32 s2, vcc_lo
	s_xor_b32 s2, exec_lo, s2
; %bb.29:
	v_bfe_u32 v153, v152, 16, 1
	s_delay_alu instid0(VALU_DEP_1)
	v_add3_u32 v153, v152, v153, 0x7fff
                                        ; implicit-def: $vgpr152
; %bb.30:
	s_and_not1_saveexec_b32 s2, s2
; %bb.31:
	v_and_b32_e32 v153, 0xffff, v152
	v_or_b32_e32 v154, 0x10000, v152
	s_delay_alu instid0(VALU_DEP_2) | instskip(NEXT) | instid1(VALU_DEP_2)
	v_cmp_eq_u32_e32 vcc_lo, 0, v153
	v_cndmask_b32_e32 v153, v154, v152, vcc_lo
; %bb.32:
	s_or_b32 exec_lo, exec_lo, s2
	v_and_b32_e32 v152, 0x7f800000, v151
	s_delay_alu instid0(VALU_DEP_1) | instskip(SKIP_1) | instid1(SALU_CYCLE_1)
	v_cmp_ne_u32_e32 vcc_lo, 0x7f800000, v152
                                        ; implicit-def: $vgpr152
	s_and_saveexec_b32 s2, vcc_lo
	s_xor_b32 s2, exec_lo, s2
; %bb.33:
	v_bfe_u32 v152, v151, 16, 1
	s_delay_alu instid0(VALU_DEP_1)
	v_add3_u32 v152, v151, v152, 0x7fff
                                        ; implicit-def: $vgpr151
; %bb.34:
	s_and_not1_saveexec_b32 s2, s2
; %bb.35:
	v_and_b32_e32 v152, 0xffff, v151
	v_or_b32_e32 v154, 0x10000, v151
	s_delay_alu instid0(VALU_DEP_2) | instskip(NEXT) | instid1(VALU_DEP_2)
	v_cmp_eq_u32_e32 vcc_lo, 0, v152
	v_cndmask_b32_e32 v152, v154, v151, vcc_lo
; %bb.36:
	s_or_b32 exec_lo, exec_lo, s2
	v_and_b32_e32 v151, 0x7f800000, v148
	s_delay_alu instid0(VALU_DEP_1) | instskip(SKIP_1) | instid1(SALU_CYCLE_1)
	v_cmp_ne_u32_e32 vcc_lo, 0x7f800000, v151
                                        ; implicit-def: $vgpr151
	s_and_saveexec_b32 s2, vcc_lo
	s_xor_b32 s2, exec_lo, s2
; %bb.37:
	v_bfe_u32 v151, v148, 16, 1
	s_delay_alu instid0(VALU_DEP_1)
	v_add3_u32 v151, v148, v151, 0x7fff
                                        ; implicit-def: $vgpr148
; %bb.38:
	s_and_not1_saveexec_b32 s2, s2
; %bb.39:
	v_and_b32_e32 v151, 0xffff, v148
	v_or_b32_e32 v154, 0x10000, v148
	s_delay_alu instid0(VALU_DEP_2) | instskip(NEXT) | instid1(VALU_DEP_2)
	v_cmp_eq_u32_e32 vcc_lo, 0, v151
	v_cndmask_b32_e32 v151, v154, v148, vcc_lo
; %bb.40:
	s_or_b32 exec_lo, exec_lo, s2
	v_and_b32_e32 v148, 0x7f800000, v143
	s_delay_alu instid0(VALU_DEP_1) | instskip(SKIP_1) | instid1(SALU_CYCLE_1)
	v_cmp_ne_u32_e32 vcc_lo, 0x7f800000, v148
                                        ; implicit-def: $vgpr148
	s_and_saveexec_b32 s2, vcc_lo
	s_xor_b32 s2, exec_lo, s2
; %bb.41:
	v_bfe_u32 v148, v143, 16, 1
	s_delay_alu instid0(VALU_DEP_1)
	v_add3_u32 v148, v143, v148, 0x7fff
                                        ; implicit-def: $vgpr143
; %bb.42:
	s_and_not1_saveexec_b32 s2, s2
; %bb.43:
	v_and_b32_e32 v148, 0xffff, v143
	v_or_b32_e32 v154, 0x10000, v143
	s_delay_alu instid0(VALU_DEP_2) | instskip(NEXT) | instid1(VALU_DEP_2)
	v_cmp_eq_u32_e32 vcc_lo, 0, v148
	v_cndmask_b32_e32 v148, v154, v143, vcc_lo
; %bb.44:
	s_or_b32 exec_lo, exec_lo, s2
	s_load_b64 s[34:35], s[0:1], 0x94
	v_dual_mul_f32 v144, v142, v144 :: v_dual_lshlrev_b32 v155, 4, v138
	s_delay_alu instid0(VALU_DEP_2)
	v_perm_b32 v154, v148, v151, 0x7060302
	v_dual_mul_f32 v136, v142, v136 :: v_dual_lshlrev_b32 v143, 6, v141
	v_lshlrev_b32_e32 v141, 11, v140
	v_perm_b32 v151, v147, v146, 0x7060302
	v_mul_f32_e32 v146, v142, v133
	v_mul_f32_e32 v147, v142, v131
	v_perm_b32 v153, v152, v153, 0x7060302
	v_perm_b32 v152, v150, v149, 0x7060302
	v_or3_b32 v131, v155, v141, v143
	s_delay_alu instid0(VALU_DEP_4)
	v_dual_mul_f32 v141, v142, v145 :: v_dual_and_b32 v148, 0x7f800000, v147
	v_mul_f32_e32 v135, v142, v135
	v_mul_f32_e32 v145, v142, v134
	v_mul_f32_e32 v134, v142, v132
	s_mov_b32 s2, exec_lo
	ds_store_b128 v131, v[151:154]
                                        ; implicit-def: $vgpr132
	v_cmpx_ne_u32_e32 0x7f800000, v148
	s_xor_b32 s2, exec_lo, s2
; %bb.45:
	v_bfe_u32 v132, v147, 16, 1
	s_delay_alu instid0(VALU_DEP_1)
	v_add3_u32 v132, v147, v132, 0x7fff
                                        ; implicit-def: $vgpr147
; %bb.46:
	s_and_not1_saveexec_b32 s2, s2
; %bb.47:
	v_and_b32_e32 v132, 0xffff, v147
	v_or_b32_e32 v133, 0x10000, v147
	s_delay_alu instid0(VALU_DEP_2) | instskip(NEXT) | instid1(VALU_DEP_2)
	v_cmp_eq_u32_e32 vcc_lo, 0, v132
	v_cndmask_b32_e32 v132, v133, v147, vcc_lo
; %bb.48:
	s_or_b32 exec_lo, exec_lo, s2
	v_and_b32_e32 v133, 0x7f800000, v134
	s_delay_alu instid0(VALU_DEP_1) | instskip(SKIP_1) | instid1(SALU_CYCLE_1)
	v_cmp_ne_u32_e32 vcc_lo, 0x7f800000, v133
                                        ; implicit-def: $vgpr133
	s_and_saveexec_b32 s2, vcc_lo
	s_xor_b32 s2, exec_lo, s2
; %bb.49:
	v_bfe_u32 v133, v134, 16, 1
	s_delay_alu instid0(VALU_DEP_1)
	v_add3_u32 v133, v134, v133, 0x7fff
                                        ; implicit-def: $vgpr134
; %bb.50:
	s_and_not1_saveexec_b32 s2, s2
; %bb.51:
	v_and_b32_e32 v133, 0xffff, v134
	v_or_b32_e32 v142, 0x10000, v134
	s_delay_alu instid0(VALU_DEP_2) | instskip(NEXT) | instid1(VALU_DEP_2)
	v_cmp_eq_u32_e32 vcc_lo, 0, v133
	v_cndmask_b32_e32 v133, v142, v134, vcc_lo
; %bb.52:
	s_or_b32 exec_lo, exec_lo, s2
	v_and_b32_e32 v134, 0x7f800000, v146
	s_delay_alu instid0(VALU_DEP_1) | instskip(SKIP_1) | instid1(SALU_CYCLE_1)
	v_cmp_ne_u32_e32 vcc_lo, 0x7f800000, v134
                                        ; implicit-def: $vgpr134
	s_and_saveexec_b32 s2, vcc_lo
	s_xor_b32 s2, exec_lo, s2
; %bb.53:
	v_bfe_u32 v134, v146, 16, 1
	s_delay_alu instid0(VALU_DEP_1)
	v_add3_u32 v134, v146, v134, 0x7fff
                                        ; implicit-def: $vgpr146
; %bb.54:
	s_and_not1_saveexec_b32 s2, s2
; %bb.55:
	v_and_b32_e32 v134, 0xffff, v146
	v_or_b32_e32 v142, 0x10000, v146
	s_delay_alu instid0(VALU_DEP_2) | instskip(NEXT) | instid1(VALU_DEP_2)
	v_cmp_eq_u32_e32 vcc_lo, 0, v134
	v_cndmask_b32_e32 v134, v142, v146, vcc_lo
; %bb.56:
	s_or_b32 exec_lo, exec_lo, s2
	v_and_b32_e32 v142, 0x7f800000, v145
	s_delay_alu instid0(VALU_DEP_1) | instskip(SKIP_1) | instid1(SALU_CYCLE_1)
	v_cmp_ne_u32_e32 vcc_lo, 0x7f800000, v142
                                        ; implicit-def: $vgpr142
	s_and_saveexec_b32 s2, vcc_lo
	s_xor_b32 s2, exec_lo, s2
; %bb.57:
	v_bfe_u32 v142, v145, 16, 1
	s_delay_alu instid0(VALU_DEP_1)
	v_add3_u32 v142, v145, v142, 0x7fff
                                        ; implicit-def: $vgpr145
; %bb.58:
	s_and_not1_saveexec_b32 s2, s2
; %bb.59:
	v_and_b32_e32 v142, 0xffff, v145
	v_or_b32_e32 v146, 0x10000, v145
	s_delay_alu instid0(VALU_DEP_2) | instskip(NEXT) | instid1(VALU_DEP_2)
	v_cmp_eq_u32_e32 vcc_lo, 0, v142
	v_cndmask_b32_e32 v142, v146, v145, vcc_lo
; %bb.60:
	s_or_b32 exec_lo, exec_lo, s2
	v_and_b32_e32 v145, 0x7f800000, v135
	s_delay_alu instid0(VALU_DEP_1) | instskip(SKIP_1) | instid1(SALU_CYCLE_1)
	v_cmp_ne_u32_e32 vcc_lo, 0x7f800000, v145
                                        ; implicit-def: $vgpr145
	s_and_saveexec_b32 s2, vcc_lo
	s_xor_b32 s2, exec_lo, s2
; %bb.61:
	v_bfe_u32 v145, v135, 16, 1
	s_delay_alu instid0(VALU_DEP_1)
	v_add3_u32 v145, v135, v145, 0x7fff
                                        ; implicit-def: $vgpr135
; %bb.62:
	s_and_not1_saveexec_b32 s2, s2
; %bb.63:
	v_and_b32_e32 v145, 0xffff, v135
	v_or_b32_e32 v146, 0x10000, v135
	s_delay_alu instid0(VALU_DEP_2) | instskip(NEXT) | instid1(VALU_DEP_2)
	v_cmp_eq_u32_e32 vcc_lo, 0, v145
	v_cndmask_b32_e32 v145, v146, v135, vcc_lo
; %bb.64:
	s_or_b32 exec_lo, exec_lo, s2
	v_and_b32_e32 v135, 0x7f800000, v136
	s_delay_alu instid0(VALU_DEP_1) | instskip(SKIP_1) | instid1(SALU_CYCLE_1)
	v_cmp_ne_u32_e32 vcc_lo, 0x7f800000, v135
                                        ; implicit-def: $vgpr135
	s_and_saveexec_b32 s2, vcc_lo
	s_xor_b32 s2, exec_lo, s2
; %bb.65:
	v_bfe_u32 v135, v136, 16, 1
	s_delay_alu instid0(VALU_DEP_1)
	v_add3_u32 v135, v136, v135, 0x7fff
                                        ; implicit-def: $vgpr136
; %bb.66:
	s_and_not1_saveexec_b32 s2, s2
; %bb.67:
	v_and_b32_e32 v135, 0xffff, v136
	v_or_b32_e32 v146, 0x10000, v136
	s_delay_alu instid0(VALU_DEP_2) | instskip(NEXT) | instid1(VALU_DEP_2)
	v_cmp_eq_u32_e32 vcc_lo, 0, v135
	v_cndmask_b32_e32 v135, v146, v136, vcc_lo
; %bb.68:
	s_or_b32 exec_lo, exec_lo, s2
	v_and_b32_e32 v136, 0x7f800000, v144
	s_delay_alu instid0(VALU_DEP_1) | instskip(SKIP_1) | instid1(SALU_CYCLE_1)
	v_cmp_ne_u32_e32 vcc_lo, 0x7f800000, v136
                                        ; implicit-def: $vgpr136
	s_and_saveexec_b32 s2, vcc_lo
	s_xor_b32 s2, exec_lo, s2
; %bb.69:
	v_bfe_u32 v136, v144, 16, 1
	s_delay_alu instid0(VALU_DEP_1)
	v_add3_u32 v136, v144, v136, 0x7fff
                                        ; implicit-def: $vgpr144
; %bb.70:
	s_and_not1_saveexec_b32 s2, s2
; %bb.71:
	v_and_b32_e32 v136, 0xffff, v144
	v_or_b32_e32 v146, 0x10000, v144
	s_delay_alu instid0(VALU_DEP_2) | instskip(NEXT) | instid1(VALU_DEP_2)
	v_cmp_eq_u32_e32 vcc_lo, 0, v136
	v_cndmask_b32_e32 v136, v146, v144, vcc_lo
; %bb.72:
	s_or_b32 exec_lo, exec_lo, s2
	v_and_b32_e32 v144, 0x7f800000, v141
	s_delay_alu instid0(VALU_DEP_1) | instskip(SKIP_1) | instid1(SALU_CYCLE_1)
	v_cmp_ne_u32_e32 vcc_lo, 0x7f800000, v144
                                        ; implicit-def: $vgpr144
	s_and_saveexec_b32 s2, vcc_lo
	s_xor_b32 s2, exec_lo, s2
; %bb.73:
	v_bfe_u32 v144, v141, 16, 1
	s_delay_alu instid0(VALU_DEP_1)
	v_add3_u32 v144, v141, v144, 0x7fff
                                        ; implicit-def: $vgpr141
; %bb.74:
	s_and_not1_saveexec_b32 s2, s2
; %bb.75:
	v_and_b32_e32 v144, 0xffff, v141
	v_or_b32_e32 v146, 0x10000, v141
	s_delay_alu instid0(VALU_DEP_2) | instskip(NEXT) | instid1(VALU_DEP_2)
	v_cmp_eq_u32_e32 vcc_lo, 0, v144
	v_cndmask_b32_e32 v144, v146, v141, vcc_lo
; %bb.76:
	s_or_b32 exec_lo, exec_lo, s2
	s_delay_alu instid0(VALU_DEP_1)
	v_perm_b32 v136, v144, v136, 0x7060302
	v_perm_b32 v135, v135, v145, 0x7060302
	;; [unrolled: 1-line block ×4, first 2 shown]
	v_lshl_or_b32 v144, v140, 11, v143
	v_lshlrev_b32_e32 v141, 2, v138
	ds_store_b128 v131, v[133:136] offset:1024
	s_waitcnt lgkmcnt(0)
	s_barrier
	buffer_gl0_inv
	ds_load_b128 v[132:135], v144
	ds_load_b128 v[146:149], v144 offset:16
	v_or_b32_e32 v142, 1, v141
	v_cmp_eq_u32_e64 s11, 1, v141
	v_cmp_eq_u32_e64 s10, 2, v141
	;; [unrolled: 1-line block ×3, first 2 shown]
	v_or_b32_e32 v140, 2, v141
	v_cmp_eq_u32_e64 s6, 1, v142
	v_cmp_eq_u32_e64 s5, 2, v142
	;; [unrolled: 1-line block ×8, first 2 shown]
	v_cmp_eq_u32_e32 vcc_lo, 5, v142
	v_cmp_eq_u32_e64 s9, 2, v140
	v_cmp_eq_u32_e64 s3, 6, v142
	;; [unrolled: 1-line block ×4, first 2 shown]
	s_waitcnt lgkmcnt(1)
	v_lshrrev_b32_e32 v136, 16, v132
	s_waitcnt lgkmcnt(0)
	v_lshrrev_b32_e32 v154, 16, v146
	v_lshrrev_b32_e32 v160, 16, v147
	;; [unrolled: 1-line block ×4, first 2 shown]
	v_cndmask_b32_e64 v145, v132, v136, s11
	v_cndmask_b32_e64 v150, v146, v154, s11
	;; [unrolled: 1-line block ×4, first 2 shown]
	v_lshrrev_b32_e32 v159, 16, v134
	v_cndmask_b32_e64 v145, v145, v133, s10
	v_cndmask_b32_e64 v150, v150, v147, s10
	;; [unrolled: 1-line block ×8, first 2 shown]
	v_lshrrev_b32_e32 v163, 16, v149
	v_cndmask_b32_e64 v152, v152, v160, s4
	v_cndmask_b32_e64 v145, v145, v134, s16
	;; [unrolled: 1-line block ×5, first 2 shown]
	v_lshrrev_b32_e32 v161, 16, v135
	v_cndmask_b32_e64 v145, v145, v159, s12
	v_cndmask_b32_e64 v150, v150, v162, s12
	v_cndmask_b32_e32 v151, v151, v159, vcc_lo
	v_cndmask_b32_e64 v152, v152, v148, s2
	v_cmp_eq_u32_e64 s18, 7, v142
	v_cndmask_b32_e64 v145, v145, v135, s13
	v_cndmask_b32_e64 v150, v150, v149, s13
	v_cndmask_b32_e64 v151, v151, v135, s3
	v_cndmask_b32_e64 v153, v153, v158, s17
	v_cmp_eq_u32_e64 s19, 4, v140
	v_cndmask_b32_e64 v164, v145, v161, s8
	v_cndmask_b32_e64 v165, v150, v163, s8
	;; [unrolled: 1-line block ×3, first 2 shown]
	v_or_b32_e32 v145, 3, v141
	v_cndmask_b32_e64 v166, v151, v161, s18
	v_cndmask_b32_e32 v155, v152, v162, vcc_lo
	v_cndmask_b32_e64 v157, v153, v134, s19
	v_cndmask_b32_e64 v156, v150, v147, s9
	ds_load_b128 v[150:153], v144 offset:1024
	v_cmp_eq_u32_e64 s20, 1, v145
	v_cmp_eq_u32_e64 s21, 5, v140
	;; [unrolled: 1-line block ×3, first 2 shown]
	v_cndmask_b32_e64 v156, v156, v160, s17
	v_cmp_eq_u32_e64 s23, 3, v145
	v_cndmask_b32_e64 v132, v132, v136, s20
	v_cndmask_b32_e64 v136, v155, v149, s3
	;; [unrolled: 1-line block ×5, first 2 shown]
	ds_load_b128 v[154:157], v144 offset:1040
	v_cndmask_b32_e64 v132, v132, v133, s22
	v_cmp_eq_u32_e64 s25, 4, v145
	v_cmp_eq_u32_e64 s27, 5, v145
	v_cndmask_b32_e64 v146, v146, v147, s22
	v_cmp_eq_u32_e64 s24, 6, v140
	v_cndmask_b32_e64 v132, v132, v158, s23
	v_cmp_eq_u32_e64 s28, 6, v145
	v_cndmask_b32_e64 v133, v168, v162, s21
	v_cndmask_b32_e64 v146, v146, v160, s23
	s_waitcnt lgkmcnt(1)
	v_lshrrev_b32_e32 v158, 16, v150
	v_cndmask_b32_e64 v132, v132, v134, s25
	v_cndmask_b32_e64 v147, v167, v135, s24
	;; [unrolled: 1-line block ×6, first 2 shown]
	v_lshrrev_b32_e32 v159, 16, v151
	v_cndmask_b32_e64 v160, v150, v158, s6
	v_cndmask_b32_e64 v134, v134, v162, s27
	s_waitcnt lgkmcnt(0)
	v_lshrrev_b32_e32 v148, 16, v154
	v_cndmask_b32_e64 v146, v146, v151, s10
	v_cndmask_b32_e64 v132, v132, v135, s28
	v_cmp_eq_u32_e64 s26, 7, v140
	v_cndmask_b32_e64 v134, v134, v149, s28
	v_cndmask_b32_e64 v162, v154, v148, s11
	;; [unrolled: 1-line block ×4, first 2 shown]
	v_lshrrev_b32_e32 v160, 16, v155
	v_cndmask_b32_e64 v136, v136, v163, s18
	v_cndmask_b32_e64 v149, v162, v155, s10
	v_cmp_eq_u32_e64 s10, 7, v145
	v_cndmask_b32_e64 v146, v146, v159, s4
	v_cndmask_b32_e64 v135, v135, v152, s16
	v_lshrrev_b32_e32 v162, 16, v152
	v_cndmask_b32_e64 v149, v149, v160, s15
	v_cndmask_b32_e64 v132, v132, v161, s10
	;; [unrolled: 1-line block ×8, first 2 shown]
	v_lshrrev_b32_e32 v163, 16, v156
	v_perm_b32 v135, v134, v132, 0x5040100
	v_cndmask_b32_e32 v132, v146, v162, vcc_lo
	v_cndmask_b32_e64 v146, v161, v153, s13
	v_lshrrev_b32_e32 v161, 16, v153
	v_cndmask_b32_e64 v149, v149, v163, s12
	v_perm_b32 v134, v133, v147, 0x5040100
	v_cndmask_b32_e64 v132, v132, v153, s3
	v_perm_b32 v133, v136, v166, 0x5040100
	v_cndmask_b32_e64 v136, v146, v161, s8
	v_cndmask_b32_e64 v146, v149, v157, s13
	;; [unrolled: 1-line block ×27, first 2 shown]
	v_cndmask_b32_e32 v148, v148, v163, vcc_lo
	v_lshrrev_b32_e32 v147, 16, v157
	v_cndmask_b32_e64 v132, v132, v153, s24
	v_cndmask_b32_e64 v149, v149, v153, s28
	;; [unrolled: 1-line block ×11, first 2 shown]
	v_perm_b32 v132, v165, v164, 0x5040100
	v_perm_b32 v149, v150, v149, 0x5040100
	;; [unrolled: 1-line block ×5, first 2 shown]
	s_lshl_b32 s7, s35, 3
	s_mov_b32 s2, exec_lo
	ds_store_b128 v131, v[132:135]
	ds_store_b128 v131, v[146:149] offset:1024
	v_cmpx_gt_u32_e32 8, v0
	s_cbranch_execz .LBB585_78
; %bb.77:
	v_or_b32_e32 v131, s29, v0
	s_load_b128 s[8:11], s[0:1], 0x58
	s_delay_alu instid0(VALU_DEP_1) | instskip(NEXT) | instid1(VALU_DEP_1)
	v_mad_u64_u32 v[132:133], null, s7, s30, v[131:132]
	v_mad_u64_u32 v[133:134], null, v132, s34, s[14:15]
	s_delay_alu instid0(VALU_DEP_1) | instskip(NEXT) | instid1(VALU_DEP_1)
	v_ashrrev_i32_e32 v134, 31, v133
	v_lshlrev_b64 v[131:132], 2, v[133:134]
	s_waitcnt lgkmcnt(0)
	s_delay_alu instid0(VALU_DEP_1) | instskip(NEXT) | instid1(VALU_DEP_2)
	v_add_co_u32 v133, vcc_lo, s10, v131
	v_add_co_ci_u32_e32 v134, vcc_lo, s11, v132, vcc_lo
	v_add_co_u32 v131, vcc_lo, s8, v131
	v_add_co_ci_u32_e32 v132, vcc_lo, s9, v132, vcc_lo
	global_store_b32 v[133:134], v129, off
	global_store_b32 v[131:132], v130, off
.LBB585_78:
	s_or_b32 exec_lo, exec_lo, s2
	s_waitcnt lgkmcnt(0)
	s_waitcnt_vscnt null, 0x0
	s_barrier
	buffer_gl0_inv
	ds_load_b128 v[146:149], v143
	ds_load_b128 v[150:153], v143 offset:16
	ds_load_b128 v[158:161], v143 offset:1040
	;; [unrolled: 1-line block ×3, first 2 shown]
	v_mov_b32_e32 v129, 0
	ds_load_b128 v[166:169], v143 offset:2064
	ds_load_b128 v[162:165], v143 offset:2048
	;; [unrolled: 1-line block ×6, first 2 shown]
	v_mov_b32_e32 v130, v129
	v_mov_b32_e32 v131, v129
	;; [unrolled: 1-line block ×7, first 2 shown]
	s_waitcnt lgkmcnt(8)
	s_delay_alu instid0(VALU_DEP_1)
	v_wmma_f32_16x16x16_bf16 v[129:136], v[121:128], v[146:153], v[129:136]
	ds_load_b128 v[125:128], v143 offset:5136
	ds_load_b128 v[121:124], v143 offset:5120
	s_waitcnt lgkmcnt(8)
	v_wmma_f32_16x16x16_bf16 v[129:136], v[113:120], v[154:161], v[129:136]
	ds_load_b128 v[117:120], v143 offset:6160
	ds_load_b128 v[113:116], v143 offset:6144
	s_waitcnt lgkmcnt(8)
	;; [unrolled: 4-line block ×8, first 2 shown]
	v_wmma_f32_16x16x16_bf16 v[129:136], v[65:72], v[97:104], v[129:136]
	s_waitcnt lgkmcnt(6)
	s_delay_alu instid0(VALU_DEP_1)
	v_wmma_f32_16x16x16_bf16 v[129:136], v[49:56], v[89:96], v[129:136]
	ds_load_b128 v[53:56], v143 offset:13328
	ds_load_b128 v[49:52], v143 offset:13312
	s_waitcnt lgkmcnt(6)
	v_wmma_f32_16x16x16_bf16 v[129:136], v[41:48], v[81:88], v[129:136]
	ds_load_b128 v[45:48], v143 offset:14352
	ds_load_b128 v[41:44], v143 offset:14336
	s_waitcnt lgkmcnt(6)
	;; [unrolled: 4-line block ×3, first 2 shown]
	v_wmma_f32_16x16x16_bf16 v[129:136], v[1:8], v[57:64], v[129:136]
	s_waitcnt lgkmcnt(4)
	s_delay_alu instid0(VALU_DEP_1) | instskip(SKIP_1) | instid1(VALU_DEP_1)
	v_wmma_f32_16x16x16_bf16 v[129:136], v[25:32], v[49:56], v[129:136]
	s_waitcnt lgkmcnt(2)
	v_wmma_f32_16x16x16_bf16 v[129:136], v[33:40], v[41:48], v[129:136]
	s_waitcnt lgkmcnt(0)
	s_delay_alu instid0(VALU_DEP_1) | instskip(NEXT) | instid1(VALU_DEP_1)
	v_wmma_f32_16x16x16_bf16 v[129:136], v[9:16], v[17:24], v[129:136]
	v_and_b32_e32 v1, 0x7f800000, v129
	s_delay_alu instid0(VALU_DEP_1) | instskip(SKIP_1) | instid1(SALU_CYCLE_1)
	v_cmp_ne_u32_e32 vcc_lo, 0x7f800000, v1
                                        ; implicit-def: $vgpr1
	s_and_saveexec_b32 s2, vcc_lo
	s_xor_b32 s2, exec_lo, s2
; %bb.79:
	v_bfe_u32 v1, v129, 16, 1
	s_delay_alu instid0(VALU_DEP_1)
	v_add3_u32 v1, v129, v1, 0x7fff
; %bb.80:
	s_and_not1_saveexec_b32 s2, s2
; %bb.81:
	v_and_b32_e32 v1, 0xffff, v129
	v_or_b32_e32 v2, 0x10000, v129
	s_delay_alu instid0(VALU_DEP_2) | instskip(NEXT) | instid1(VALU_DEP_2)
	v_cmp_eq_u32_e32 vcc_lo, 0, v1
	v_cndmask_b32_e32 v1, v2, v129, vcc_lo
; %bb.82:
	s_or_b32 exec_lo, exec_lo, s2
	v_and_b32_e32 v2, 0x7f800000, v130
	s_delay_alu instid0(VALU_DEP_1) | instskip(SKIP_1) | instid1(SALU_CYCLE_1)
	v_cmp_ne_u32_e32 vcc_lo, 0x7f800000, v2
                                        ; implicit-def: $vgpr2
	s_and_saveexec_b32 s2, vcc_lo
	s_xor_b32 s2, exec_lo, s2
; %bb.83:
	v_bfe_u32 v2, v130, 16, 1
	s_delay_alu instid0(VALU_DEP_1)
	v_add3_u32 v2, v130, v2, 0x7fff
; %bb.84:
	s_and_not1_saveexec_b32 s2, s2
; %bb.85:
	v_and_b32_e32 v2, 0xffff, v130
	v_or_b32_e32 v3, 0x10000, v130
	s_delay_alu instid0(VALU_DEP_2) | instskip(NEXT) | instid1(VALU_DEP_2)
	v_cmp_eq_u32_e32 vcc_lo, 0, v2
	v_cndmask_b32_e32 v2, v3, v130, vcc_lo
; %bb.86:
	s_or_b32 exec_lo, exec_lo, s2
	v_and_b32_e32 v3, 0x7f800000, v131
	s_delay_alu instid0(VALU_DEP_1) | instskip(SKIP_1) | instid1(SALU_CYCLE_1)
	v_cmp_ne_u32_e32 vcc_lo, 0x7f800000, v3
                                        ; implicit-def: $vgpr3
	s_and_saveexec_b32 s2, vcc_lo
	s_xor_b32 s2, exec_lo, s2
; %bb.87:
	v_bfe_u32 v3, v131, 16, 1
	s_delay_alu instid0(VALU_DEP_1)
	v_add3_u32 v3, v131, v3, 0x7fff
; %bb.88:
	s_and_not1_saveexec_b32 s2, s2
; %bb.89:
	v_and_b32_e32 v3, 0xffff, v131
	v_or_b32_e32 v4, 0x10000, v131
	s_delay_alu instid0(VALU_DEP_2) | instskip(NEXT) | instid1(VALU_DEP_2)
	v_cmp_eq_u32_e32 vcc_lo, 0, v3
	v_cndmask_b32_e32 v3, v4, v131, vcc_lo
; %bb.90:
	s_or_b32 exec_lo, exec_lo, s2
	v_and_b32_e32 v4, 0x7f800000, v132
	s_delay_alu instid0(VALU_DEP_1) | instskip(SKIP_1) | instid1(SALU_CYCLE_1)
	v_cmp_ne_u32_e32 vcc_lo, 0x7f800000, v4
                                        ; implicit-def: $vgpr4
	s_and_saveexec_b32 s2, vcc_lo
	s_xor_b32 s2, exec_lo, s2
; %bb.91:
	v_bfe_u32 v4, v132, 16, 1
	s_delay_alu instid0(VALU_DEP_1)
	v_add3_u32 v4, v132, v4, 0x7fff
; %bb.92:
	s_and_not1_saveexec_b32 s2, s2
; %bb.93:
	v_and_b32_e32 v4, 0xffff, v132
	v_or_b32_e32 v5, 0x10000, v132
	s_delay_alu instid0(VALU_DEP_2) | instskip(NEXT) | instid1(VALU_DEP_2)
	v_cmp_eq_u32_e32 vcc_lo, 0, v4
	v_cndmask_b32_e32 v4, v5, v132, vcc_lo
; %bb.94:
	s_or_b32 exec_lo, exec_lo, s2
	v_and_b32_e32 v5, 0x7f800000, v133
	s_delay_alu instid0(VALU_DEP_1) | instskip(SKIP_1) | instid1(SALU_CYCLE_1)
	v_cmp_ne_u32_e32 vcc_lo, 0x7f800000, v5
                                        ; implicit-def: $vgpr5
	s_and_saveexec_b32 s2, vcc_lo
	s_xor_b32 s2, exec_lo, s2
; %bb.95:
	v_bfe_u32 v5, v133, 16, 1
	s_delay_alu instid0(VALU_DEP_1)
	v_add3_u32 v5, v133, v5, 0x7fff
; %bb.96:
	s_and_not1_saveexec_b32 s2, s2
; %bb.97:
	v_and_b32_e32 v5, 0xffff, v133
	v_or_b32_e32 v6, 0x10000, v133
	s_delay_alu instid0(VALU_DEP_2) | instskip(NEXT) | instid1(VALU_DEP_2)
	v_cmp_eq_u32_e32 vcc_lo, 0, v5
	v_cndmask_b32_e32 v5, v6, v133, vcc_lo
; %bb.98:
	s_or_b32 exec_lo, exec_lo, s2
	v_and_b32_e32 v6, 0x7f800000, v134
	s_delay_alu instid0(VALU_DEP_1) | instskip(SKIP_1) | instid1(SALU_CYCLE_1)
	v_cmp_ne_u32_e32 vcc_lo, 0x7f800000, v6
                                        ; implicit-def: $vgpr6
	s_and_saveexec_b32 s2, vcc_lo
	s_xor_b32 s2, exec_lo, s2
; %bb.99:
	v_bfe_u32 v6, v134, 16, 1
	s_delay_alu instid0(VALU_DEP_1)
	v_add3_u32 v6, v134, v6, 0x7fff
; %bb.100:
	s_and_not1_saveexec_b32 s2, s2
; %bb.101:
	v_and_b32_e32 v6, 0xffff, v134
	v_or_b32_e32 v7, 0x10000, v134
	s_delay_alu instid0(VALU_DEP_2) | instskip(NEXT) | instid1(VALU_DEP_2)
	v_cmp_eq_u32_e32 vcc_lo, 0, v6
	v_cndmask_b32_e32 v6, v7, v134, vcc_lo
; %bb.102:
	s_or_b32 exec_lo, exec_lo, s2
	v_and_b32_e32 v7, 0x7f800000, v135
	s_delay_alu instid0(VALU_DEP_1) | instskip(SKIP_1) | instid1(SALU_CYCLE_1)
	v_cmp_ne_u32_e32 vcc_lo, 0x7f800000, v7
                                        ; implicit-def: $vgpr7
	s_and_saveexec_b32 s2, vcc_lo
	s_xor_b32 s2, exec_lo, s2
; %bb.103:
	v_bfe_u32 v7, v135, 16, 1
	s_delay_alu instid0(VALU_DEP_1)
	v_add3_u32 v7, v135, v7, 0x7fff
; %bb.104:
	s_and_not1_saveexec_b32 s2, s2
; %bb.105:
	v_and_b32_e32 v7, 0xffff, v135
	v_or_b32_e32 v8, 0x10000, v135
	s_delay_alu instid0(VALU_DEP_2) | instskip(NEXT) | instid1(VALU_DEP_2)
	v_cmp_eq_u32_e32 vcc_lo, 0, v7
	v_cndmask_b32_e32 v7, v8, v135, vcc_lo
; %bb.106:
	s_or_b32 exec_lo, exec_lo, s2
	v_and_b32_e32 v8, 0x7f800000, v136
	s_delay_alu instid0(VALU_DEP_1) | instskip(SKIP_1) | instid1(SALU_CYCLE_1)
	v_cmp_ne_u32_e32 vcc_lo, 0x7f800000, v8
                                        ; implicit-def: $vgpr8
	s_and_saveexec_b32 s2, vcc_lo
	s_xor_b32 s2, exec_lo, s2
; %bb.107:
	v_bfe_u32 v8, v136, 16, 1
	s_delay_alu instid0(VALU_DEP_1)
	v_add3_u32 v8, v136, v8, 0x7fff
                                        ; implicit-def: $vgpr129_vgpr130_vgpr131_vgpr132_vgpr133_vgpr134_vgpr135_vgpr136
; %bb.108:
	s_and_not1_saveexec_b32 s2, s2
; %bb.109:
	v_and_b32_e32 v8, 0xffff, v136
	v_or_b32_e32 v9, 0x10000, v136
	s_delay_alu instid0(VALU_DEP_2) | instskip(NEXT) | instid1(VALU_DEP_2)
	v_cmp_eq_u32_e32 vcc_lo, 0, v8
	v_cndmask_b32_e32 v8, v9, v136, vcc_lo
; %bb.110:
	s_or_b32 exec_lo, exec_lo, s2
	s_delay_alu instid0(VALU_DEP_1)
	v_perm_b32 v7, v8, v7, 0x7060302
	v_perm_b32 v6, v6, v5, 0x7060302
	;; [unrolled: 1-line block ×4, first 2 shown]
	v_lshl_or_b32 v9, v138, 4, v144
	s_barrier
	buffer_gl0_inv
	v_cmp_eq_u32_e32 vcc_lo, 1, v141
	ds_store_b128 v9, v[4:7]
	s_waitcnt lgkmcnt(0)
	s_barrier
	buffer_gl0_inv
	ds_load_b128 v[1:4], v144
	ds_load_b128 v[5:8], v144 offset:16
	v_cmp_eq_u32_e64 s3, 2, v141
	v_cmp_eq_u32_e64 s2, 1, v142
	;; [unrolled: 1-line block ×5, first 2 shown]
	s_waitcnt lgkmcnt(1)
	v_lshrrev_b32_e32 v10, 16, v1
	s_waitcnt lgkmcnt(0)
	v_lshrrev_b32_e32 v14, 16, v5
	v_lshrrev_b32_e32 v15, 16, v6
	;; [unrolled: 1-line block ×4, first 2 shown]
	v_cndmask_b32_e64 v20, v1, v10, s2
	v_cndmask_b32_e32 v19, v5, v14, vcc_lo
	v_cndmask_b32_e64 v21, v5, v14, s2
	v_lshrrev_b32_e32 v16, 16, v7
	v_cmp_eq_u32_e64 s2, 1, v140
	v_lshrrev_b32_e32 v13, 16, v4
	v_cndmask_b32_e64 v19, v19, v6, s3
	v_lshrrev_b32_e32 v17, 16, v8
	s_delay_alu instid0(VALU_DEP_4) | instskip(SKIP_1) | instid1(VALU_DEP_4)
	v_cndmask_b32_e64 v22, v1, v10, s2
	v_cndmask_b32_e64 v23, v5, v14, s2
	;; [unrolled: 1-line block ×3, first 2 shown]
	v_cndmask_b32_e32 v18, v1, v10, vcc_lo
	v_cmp_eq_u32_e32 vcc_lo, 2, v142
	v_cmp_eq_u32_e64 s2, 2, v145
	v_cndmask_b32_e64 v22, v22, v2, s6
	v_cndmask_b32_e32 v20, v20, v2, vcc_lo
	v_cndmask_b32_e32 v21, v21, v6, vcc_lo
	v_cmp_eq_u32_e32 vcc_lo, 4, v141
	v_cndmask_b32_e32 v19, v19, v7, vcc_lo
	v_cndmask_b32_e64 v18, v18, v2, s3
	v_cmp_eq_u32_e64 s3, 3, v142
	s_delay_alu instid0(VALU_DEP_2) | instskip(NEXT) | instid1(VALU_DEP_2)
	v_cndmask_b32_e64 v18, v18, v11, s4
	v_cndmask_b32_e64 v21, v21, v15, s3
	v_cmp_eq_u32_e64 s4, 5, v141
	s_delay_alu instid0(VALU_DEP_3) | instskip(SKIP_1) | instid1(VALU_DEP_3)
	v_cndmask_b32_e32 v18, v18, v3, vcc_lo
	v_cmp_eq_u32_e32 vcc_lo, 4, v142
	v_cndmask_b32_e64 v19, v19, v16, s4
	s_delay_alu instid0(VALU_DEP_3) | instskip(SKIP_4) | instid1(VALU_DEP_3)
	v_cndmask_b32_e64 v18, v18, v12, s4
	v_cndmask_b32_e32 v21, v21, v7, vcc_lo
	v_cndmask_b32_e64 v20, v20, v11, s3
	v_cmp_eq_u32_e64 s3, 5, v142
	v_cmp_eq_u32_e64 s4, 6, v141
	v_cndmask_b32_e32 v20, v20, v3, vcc_lo
	s_delay_alu instid0(VALU_DEP_3) | instskip(SKIP_1) | instid1(VALU_DEP_4)
	v_cndmask_b32_e64 v21, v21, v16, s3
	v_cmp_eq_u32_e32 vcc_lo, 6, v142
	v_cndmask_b32_e64 v18, v18, v4, s4
	v_cndmask_b32_e64 v19, v19, v8, s4
	;; [unrolled: 1-line block ×3, first 2 shown]
	v_cmp_eq_u32_e64 s3, 1, v145
	v_cmp_eq_u32_e64 s4, 7, v141
	s_delay_alu instid0(VALU_DEP_3) | instskip(NEXT) | instid1(VALU_DEP_3)
	v_cndmask_b32_e32 v20, v20, v4, vcc_lo
	v_cndmask_b32_e64 v1, v1, v10, s3
	v_cndmask_b32_e64 v5, v5, v14, s3
	v_cmp_eq_u32_e64 s3, 3, v140
	v_cndmask_b32_e64 v14, v23, v6, s6
	v_cmp_eq_u32_e64 s6, 3, v145
	v_cndmask_b32_e64 v1, v1, v2, s2
	v_cndmask_b32_e64 v2, v5, v6, s2
	;; [unrolled: 1-line block ×3, first 2 shown]
	v_cmp_eq_u32_e64 s2, 4, v140
	v_cndmask_b32_e64 v6, v14, v15, s3
	v_cndmask_b32_e64 v1, v1, v11, s6
	v_cmp_eq_u32_e64 s3, 4, v145
	v_cndmask_b32_e64 v2, v2, v15, s6
	v_cndmask_b32_e64 v5, v10, v3, s2
	;; [unrolled: 3-line block ×3, first 2 shown]
	v_cndmask_b32_e64 v2, v2, v7, s3
	v_cmp_eq_u32_e64 s2, 5, v145
	v_cndmask_b32_e64 v5, v5, v12, s6
	v_cmp_eq_u32_e64 s3, 6, v140
	;; [unrolled: 2-line block ×3, first 2 shown]
	v_cndmask_b32_e64 v1, v1, v12, s2
	v_cndmask_b32_e64 v2, v2, v16, s2
	;; [unrolled: 1-line block ×4, first 2 shown]
	v_cmp_eq_u32_e64 s2, 7, v145
	v_cndmask_b32_e64 v1, v1, v4, s6
	v_cndmask_b32_e64 v2, v2, v8, s6
	v_cmp_eq_u32_e64 s3, 7, v140
	v_cndmask_b32_e32 v4, v21, v8, vcc_lo
	v_cndmask_b32_e64 v18, v18, v13, s4
	v_cndmask_b32_e64 v20, v20, v13, s5
	;; [unrolled: 1-line block ×8, first 2 shown]
	s_mov_b32 s2, exec_lo
	v_perm_b32 v4, v2, v1, 0x5040100
	v_perm_b32 v3, v3, v5, 0x5040100
	;; [unrolled: 1-line block ×4, first 2 shown]
	ds_store_b128 v9, v[1:4]
	s_waitcnt lgkmcnt(0)
	s_barrier
	buffer_gl0_inv
	v_cmpx_gt_u32_e32 32, v0
	s_cbranch_execz .LBB585_2
; %bb.111:
	s_load_b64 s[0:1], s[0:1], 0x68
	s_lshl_b32 s4, s34, 7
	v_or_b32_e32 v2, s29, v138
	s_mul_i32 s2, s4, s30
	v_lshlrev_b32_e32 v1, 10, v0
	s_mul_i32 s2, s2, s7
	v_lshlrev_b32_e32 v3, 4, v139
	v_mul_lo_u32 v0, v2, s4
	s_ashr_i32 s3, s2, 31
	v_lshlrev_b32_e32 v4, 6, v138
	v_and_b32_e32 v1, 0x3800, v1
	v_or_b32_e32 v5, 2, v2
	s_lshl_b64 s[2:3], s[2:3], 1
	v_or_b32_e32 v6, 4, v2
	v_or_b32_e32 v7, 6, v2
	v_or3_b32 v12, v1, v3, v4
	v_ashrrev_i32_e32 v1, 31, v0
	v_mul_lo_u32 v2, v5, s4
	v_mul_lo_u32 v16, v6, s4
	;; [unrolled: 1-line block ×3, first 2 shown]
	s_waitcnt lgkmcnt(0)
	s_add_u32 s2, s0, s2
	s_addc_u32 s3, s1, s3
	s_lshl_b32 s0, s14, 7
	v_lshlrev_b64 v[0:1], 1, v[0:1]
	s_ashr_i32 s1, s0, 31
	v_ashrrev_i32_e32 v3, 31, v2
	s_lshl_b64 s[0:1], s[0:1], 1
	v_ashrrev_i32_e32 v17, 31, v16
	s_add_u32 s0, s2, s0
	s_addc_u32 s1, s3, s1
	v_add_co_u32 v24, s0, s0, v137
	s_delay_alu instid0(VALU_DEP_1) | instskip(SKIP_1) | instid1(VALU_DEP_3)
	v_add_co_ci_u32_e64 v25, null, s1, 0, s0
	v_lshlrev_b64 v[22:23], 1, v[2:3]
	v_add_co_u32 v18, vcc_lo, v24, v0
	s_delay_alu instid0(VALU_DEP_3)
	v_add_co_ci_u32_e32 v19, vcc_lo, v25, v1, vcc_lo
	ds_load_b128 v[0:3], v12
	ds_load_b128 v[4:7], v12 offset:128
	ds_load_b128 v[8:11], v12 offset:256
	;; [unrolled: 1-line block ×3, first 2 shown]
	v_ashrrev_i32_e32 v21, 31, v20
	v_lshlrev_b64 v[16:17], 1, v[16:17]
	v_add_co_u32 v22, vcc_lo, v24, v22
	v_add_co_ci_u32_e32 v23, vcc_lo, v25, v23, vcc_lo
	s_delay_alu instid0(VALU_DEP_4) | instskip(NEXT) | instid1(VALU_DEP_4)
	v_lshlrev_b64 v[20:21], 1, v[20:21]
	v_add_co_u32 v16, vcc_lo, v24, v16
	v_add_co_ci_u32_e32 v17, vcc_lo, v25, v17, vcc_lo
	s_delay_alu instid0(VALU_DEP_3) | instskip(NEXT) | instid1(VALU_DEP_4)
	v_add_co_u32 v20, vcc_lo, v24, v20
	v_add_co_ci_u32_e32 v21, vcc_lo, v25, v21, vcc_lo
	s_waitcnt lgkmcnt(3)
	global_store_b128 v[18:19], v[0:3], off
	s_waitcnt lgkmcnt(2)
	global_store_b128 v[22:23], v[4:7], off
	;; [unrolled: 2-line block ×4, first 2 shown]
	s_nop 0
	s_sendmsg sendmsg(MSG_DEALLOC_VGPRS)
	s_endpgm
	.section	.rodata,"a",@progbits
	.p2align	6, 0x0
	.amdhsa_kernel _Z39paged_attention_ll4mi_QKV_mfma16_kernelI14__hip_bfloat16S0_LN4vllm18Fp8KVCacheDataTypeE0EhLi16ELi128ELi256ELb1ELi8EL8MFMAType0EEvPKT_PKT0_S9_ifPKiSB_SB_iPKfiiiPfSE_PS4_PT2_iSD_SD_
		.amdhsa_group_segment_fixed_size 17472
		.amdhsa_private_segment_fixed_size 0
		.amdhsa_kernarg_size 400
		.amdhsa_user_sgpr_count 13
		.amdhsa_user_sgpr_dispatch_ptr 0
		.amdhsa_user_sgpr_queue_ptr 0
		.amdhsa_user_sgpr_kernarg_segment_ptr 1
		.amdhsa_user_sgpr_dispatch_id 0
		.amdhsa_user_sgpr_private_segment_size 0
		.amdhsa_wavefront_size32 1
		.amdhsa_uses_dynamic_stack 0
		.amdhsa_enable_private_segment 0
		.amdhsa_system_sgpr_workgroup_id_x 1
		.amdhsa_system_sgpr_workgroup_id_y 1
		.amdhsa_system_sgpr_workgroup_id_z 1
		.amdhsa_system_sgpr_workgroup_info 0
		.amdhsa_system_vgpr_workitem_id 0
		.amdhsa_next_free_vgpr 218
		.amdhsa_next_free_sgpr 50
		.amdhsa_reserve_vcc 1
		.amdhsa_float_round_mode_32 0
		.amdhsa_float_round_mode_16_64 0
		.amdhsa_float_denorm_mode_32 3
		.amdhsa_float_denorm_mode_16_64 3
		.amdhsa_dx10_clamp 1
		.amdhsa_ieee_mode 1
		.amdhsa_fp16_overflow 0
		.amdhsa_workgroup_processor_mode 1
		.amdhsa_memory_ordered 1
		.amdhsa_forward_progress 0
		.amdhsa_shared_vgpr_count 0
		.amdhsa_exception_fp_ieee_invalid_op 0
		.amdhsa_exception_fp_denorm_src 0
		.amdhsa_exception_fp_ieee_div_zero 0
		.amdhsa_exception_fp_ieee_overflow 0
		.amdhsa_exception_fp_ieee_underflow 0
		.amdhsa_exception_fp_ieee_inexact 0
		.amdhsa_exception_int_div_zero 0
	.end_amdhsa_kernel
	.section	.text._Z39paged_attention_ll4mi_QKV_mfma16_kernelI14__hip_bfloat16S0_LN4vllm18Fp8KVCacheDataTypeE0EhLi16ELi128ELi256ELb1ELi8EL8MFMAType0EEvPKT_PKT0_S9_ifPKiSB_SB_iPKfiiiPfSE_PS4_PT2_iSD_SD_,"axG",@progbits,_Z39paged_attention_ll4mi_QKV_mfma16_kernelI14__hip_bfloat16S0_LN4vllm18Fp8KVCacheDataTypeE0EhLi16ELi128ELi256ELb1ELi8EL8MFMAType0EEvPKT_PKT0_S9_ifPKiSB_SB_iPKfiiiPfSE_PS4_PT2_iSD_SD_,comdat
.Lfunc_end585:
	.size	_Z39paged_attention_ll4mi_QKV_mfma16_kernelI14__hip_bfloat16S0_LN4vllm18Fp8KVCacheDataTypeE0EhLi16ELi128ELi256ELb1ELi8EL8MFMAType0EEvPKT_PKT0_S9_ifPKiSB_SB_iPKfiiiPfSE_PS4_PT2_iSD_SD_, .Lfunc_end585-_Z39paged_attention_ll4mi_QKV_mfma16_kernelI14__hip_bfloat16S0_LN4vllm18Fp8KVCacheDataTypeE0EhLi16ELi128ELi256ELb1ELi8EL8MFMAType0EEvPKT_PKT0_S9_ifPKiSB_SB_iPKfiiiPfSE_PS4_PT2_iSD_SD_
                                        ; -- End function
	.section	.AMDGPU.csdata,"",@progbits
; Kernel info:
; codeLenInByte = 10276
; NumSgprs: 52
; NumVgprs: 218
; ScratchSize: 0
; MemoryBound: 0
; FloatMode: 240
; IeeeMode: 1
; LDSByteSize: 17472 bytes/workgroup (compile time only)
; SGPRBlocks: 6
; VGPRBlocks: 27
; NumSGPRsForWavesPerEU: 52
; NumVGPRsForWavesPerEU: 218
; Occupancy: 6
; WaveLimiterHint : 1
; COMPUTE_PGM_RSRC2:SCRATCH_EN: 0
; COMPUTE_PGM_RSRC2:USER_SGPR: 13
; COMPUTE_PGM_RSRC2:TRAP_HANDLER: 0
; COMPUTE_PGM_RSRC2:TGID_X_EN: 1
; COMPUTE_PGM_RSRC2:TGID_Y_EN: 1
; COMPUTE_PGM_RSRC2:TGID_Z_EN: 1
; COMPUTE_PGM_RSRC2:TIDIG_COMP_CNT: 0
	.section	.text._Z39paged_attention_ll4mi_QKV_mfma16_kernelI14__hip_bfloat16S0_LN4vllm18Fp8KVCacheDataTypeE0EhLi16ELi128ELi256ELb1ELi9EL8MFMAType0EEvPKT_PKT0_S9_ifPKiSB_SB_iPKfiiiPfSE_PS4_PT2_iSD_SD_,"axG",@progbits,_Z39paged_attention_ll4mi_QKV_mfma16_kernelI14__hip_bfloat16S0_LN4vllm18Fp8KVCacheDataTypeE0EhLi16ELi128ELi256ELb1ELi9EL8MFMAType0EEvPKT_PKT0_S9_ifPKiSB_SB_iPKfiiiPfSE_PS4_PT2_iSD_SD_,comdat
	.protected	_Z39paged_attention_ll4mi_QKV_mfma16_kernelI14__hip_bfloat16S0_LN4vllm18Fp8KVCacheDataTypeE0EhLi16ELi128ELi256ELb1ELi9EL8MFMAType0EEvPKT_PKT0_S9_ifPKiSB_SB_iPKfiiiPfSE_PS4_PT2_iSD_SD_ ; -- Begin function _Z39paged_attention_ll4mi_QKV_mfma16_kernelI14__hip_bfloat16S0_LN4vllm18Fp8KVCacheDataTypeE0EhLi16ELi128ELi256ELb1ELi9EL8MFMAType0EEvPKT_PKT0_S9_ifPKiSB_SB_iPKfiiiPfSE_PS4_PT2_iSD_SD_
	.globl	_Z39paged_attention_ll4mi_QKV_mfma16_kernelI14__hip_bfloat16S0_LN4vllm18Fp8KVCacheDataTypeE0EhLi16ELi128ELi256ELb1ELi9EL8MFMAType0EEvPKT_PKT0_S9_ifPKiSB_SB_iPKfiiiPfSE_PS4_PT2_iSD_SD_
	.p2align	8
	.type	_Z39paged_attention_ll4mi_QKV_mfma16_kernelI14__hip_bfloat16S0_LN4vllm18Fp8KVCacheDataTypeE0EhLi16ELi128ELi256ELb1ELi9EL8MFMAType0EEvPKT_PKT0_S9_ifPKiSB_SB_iPKfiiiPfSE_PS4_PT2_iSD_SD_,@function
_Z39paged_attention_ll4mi_QKV_mfma16_kernelI14__hip_bfloat16S0_LN4vllm18Fp8KVCacheDataTypeE0EhLi16ELi128ELi256ELb1ELi9EL8MFMAType0EEvPKT_PKT0_S9_ifPKiSB_SB_iPKfiiiPfSE_PS4_PT2_iSD_SD_: ; @_Z39paged_attention_ll4mi_QKV_mfma16_kernelI14__hip_bfloat16S0_LN4vllm18Fp8KVCacheDataTypeE0EhLi16ELi128ELi256ELb1ELi9EL8MFMAType0EEvPKT_PKT0_S9_ifPKiSB_SB_iPKfiiiPfSE_PS4_PT2_iSD_SD_
; %bb.0:
	s_load_b64 s[4:5], s[0:1], 0x30
	s_mov_b32 s30, s13
	s_waitcnt lgkmcnt(0)
	s_cmp_lg_u64 s[4:5], 0
	s_cselect_b32 s8, -1, 0
	s_ashr_i32 s31, s13, 31
	s_cmp_eq_u64 s[4:5], 0
	s_cbranch_scc1 .LBB586_3
; %bb.1:
	s_lshl_b64 s[2:3], s[30:31], 2
	s_delay_alu instid0(SALU_CYCLE_1) | instskip(SKIP_4) | instid1(SALU_CYCLE_1)
	s_add_u32 s2, s4, s2
	s_addc_u32 s3, s5, s3
	s_load_b64 s[2:3], s[2:3], 0x0
	s_waitcnt lgkmcnt(0)
	s_sub_i32 s2, s3, s2
	s_cmp_eq_u32 s2, 1
	s_cselect_b32 s2, -1, 0
	s_delay_alu instid0(SALU_CYCLE_1)
	s_and_not1_b32 vcc_lo, exec_lo, s2
	s_cbranch_vccz .LBB586_4
.LBB586_2:
	s_nop 0
	s_sendmsg sendmsg(MSG_DEALLOC_VGPRS)
	s_endpgm
.LBB586_3:
.LBB586_4:
	s_load_b64 s[2:3], s[0:1], 0x28
	s_lshl_b64 s[6:7], s[30:31], 2
	s_waitcnt lgkmcnt(0)
	s_add_u32 s2, s2, s6
	s_addc_u32 s3, s3, s7
	s_lshl_b32 s29, s14, 8
	s_load_b32 s28, s[2:3], 0x0
	s_waitcnt lgkmcnt(0)
	s_cmp_ge_i32 s29, s28
	s_cbranch_scc1 .LBB586_2
; %bb.5:
	s_clause 0x1
	s_load_b128 s[20:23], s[0:1], 0x8
	s_load_b64 s[2:3], s[0:1], 0x20
	s_and_not1_b32 vcc_lo, exec_lo, s8
	s_cbranch_vccnz .LBB586_7
; %bb.6:
	s_add_u32 s4, s4, s6
	s_addc_u32 s5, s5, s7
	s_load_b32 s5, s[4:5], 0x0
	s_branch .LBB586_8
.LBB586_7:
	s_mov_b32 s5, s30
.LBB586_8:
	s_load_b128 s[16:19], s[0:1], 0x48
	v_and_b32_e32 v140, 15, v0
	v_lshrrev_b32_e32 v141, 5, v0
	v_bfe_u32 v138, v0, 4, 1
	v_and_b32_e32 v142, 31, v0
	v_and_b32_e32 v139, 1, v0
	v_lshlrev_b32_e32 v2, 3, v140
	s_mul_i32 s31, s15, 9
	v_lshl_or_b32 v1, v141, 1, v138
	s_mov_b32 s4, exec_lo
	s_delay_alu instid0(VALU_DEP_2) | instskip(NEXT) | instid1(VALU_DEP_2)
	v_lshlrev_b32_e32 v137, 1, v2
	v_cmpx_gt_u32_e32 9, v1
	s_cbranch_execz .LBB586_10
; %bb.9:
	s_load_b64 s[6:7], s[0:1], 0x0
	v_add_lshl_u32 v2, v1, s31, 7
	s_waitcnt lgkmcnt(0)
	s_mul_hi_i32 s9, s5, s16
	s_mul_i32 s8, s5, s16
	v_lshlrev_b32_e32 v6, 10, v140
	s_lshl_b64 s[8:9], s[8:9], 1
	v_ashrrev_i32_e32 v3, 31, v2
	v_lshlrev_b32_e32 v1, 6, v1
	v_lshlrev_b32_e32 v7, 10, v139
	v_and_b32_e32 v6, 0x3800, v6
	s_delay_alu instid0(VALU_DEP_4) | instskip(NEXT) | instid1(VALU_DEP_2)
	v_lshlrev_b64 v[2:3], 1, v[2:3]
	v_or3_b32 v1, v6, v7, v1
	s_add_u32 s5, s6, s8
	s_addc_u32 s6, s7, s9
	s_delay_alu instid0(VALU_DEP_2) | instskip(NEXT) | instid1(VALU_DEP_3)
	v_add_co_u32 v2, vcc_lo, s5, v2
	v_add_co_ci_u32_e32 v3, vcc_lo, s6, v3, vcc_lo
	s_delay_alu instid0(VALU_DEP_2) | instskip(NEXT) | instid1(VALU_DEP_2)
	v_add_co_u32 v2, vcc_lo, v2, v137
	v_add_co_ci_u32_e32 v3, vcc_lo, 0, v3, vcc_lo
	global_load_b128 v[2:5], v[2:3], off
	s_waitcnt vmcnt(0)
	ds_store_b128 v1, v[2:5]
.LBB586_10:
	s_or_b32 exec_lo, exec_lo, s4
	v_and_b32_e32 v1, 0xef, v0
	s_waitcnt lgkmcnt(0)
	s_add_i32 s5, s28, 15
	s_clause 0x1
	s_load_b32 s4, s[0:1], 0x38
	s_load_b32 s33, s[0:1], 0x1c
	s_ashr_i32 s6, s5, 31
	v_add_nc_u32_e32 v1, s29, v1
	s_lshr_b32 s6, s6, 28
	s_waitcnt lgkmcnt(0)
	s_add_i32 s5, s5, s6
	s_barrier
	v_ashrrev_i32_e32 v2, 31, v1
	v_cmp_gt_i32_e32 vcc_lo, s28, v1
	s_ashr_i32 s16, s5, 4
	buffer_gl0_inv
	s_add_i32 s16, s16, -1
	v_lshrrev_b32_e32 v3, 28, v2
	v_or_b32_e32 v2, 16, v1
	v_add_nc_u32_e32 v105, -9, v140
	v_lshlrev_b32_e32 v106, 5, v140
	s_delay_alu instid0(VALU_DEP_4) | instskip(NEXT) | instid1(VALU_DEP_4)
	v_add_nc_u32_e32 v4, v1, v3
	v_add_nc_u32_e32 v3, v2, v3
	s_mul_i32 s4, s30, s4
	s_delay_alu instid0(VALU_DEP_3) | instskip(SKIP_4) | instid1(SALU_CYCLE_1)
	v_lshl_or_b32 v125, v141, 9, v106
	s_ashr_i32 s5, s4, 31
	v_ashrrev_i32_e32 v4, 4, v4
	v_ashrrev_i32_e32 v3, 4, v3
	s_lshl_b64 s[4:5], s[4:5], 2
	s_add_u32 s34, s2, s4
	s_delay_alu instid0(VALU_DEP_2) | instskip(SKIP_3) | instid1(VALU_DEP_2)
	v_cndmask_b32_e32 v1, s16, v4, vcc_lo
	v_cmp_gt_i32_e32 vcc_lo, s28, v2
	s_addc_u32 s35, s3, s5
	s_mul_i32 s2, s15, s18
	v_ashrrev_i32_e32 v2, 31, v1
	v_cndmask_b32_e32 v3, s16, v3, vcc_lo
	s_ashr_i32 s3, s2, 31
	s_delay_alu instid0(SALU_CYCLE_1) | instskip(NEXT) | instid1(VALU_DEP_2)
	s_lshl_b64 s[2:3], s[2:3], 1
	v_lshlrev_b64 v[1:2], 2, v[1:2]
	s_delay_alu instid0(VALU_DEP_2) | instskip(SKIP_3) | instid1(VALU_DEP_1)
	v_ashrrev_i32_e32 v4, 31, v3
	s_add_u32 s24, s20, s2
	s_addc_u32 s25, s21, s3
	s_lshl_b32 s4, s14, 4
	v_lshlrev_b64 v[3:4], 2, v[3:4]
	v_add_co_u32 v1, vcc_lo, s34, v1
	v_add_co_ci_u32_e32 v2, vcc_lo, s35, v2, vcc_lo
	s_ashr_i32 s5, s4, 31
	s_delay_alu instid0(VALU_DEP_3) | instskip(NEXT) | instid1(VALU_DEP_4)
	v_add_co_u32 v3, vcc_lo, s34, v3
	v_add_co_ci_u32_e32 v4, vcc_lo, s35, v4, vcc_lo
	s_lshl_b64 s[4:5], s[4:5], 2
	s_clause 0x1
	global_load_b32 v5, v[1:2], off
	global_load_b32 v6, v[3:4], off
	s_add_u32 s4, s34, s4
	s_addc_u32 s5, s35, s5
	s_or_b32 s6, s29, 16
	v_lshlrev_b32_e32 v3, 4, v0
	s_ashr_i32 s7, s6, 4
	s_cmp_lt_i32 s6, s28
	s_cselect_b32 s6, s7, s16
	s_delay_alu instid0(SALU_CYCLE_1) | instskip(NEXT) | instid1(SALU_CYCLE_1)
	s_ashr_i32 s7, s6, 31
	s_lshl_b64 s[6:7], s[6:7], 2
	s_delay_alu instid0(SALU_CYCLE_1) | instskip(SKIP_2) | instid1(SALU_CYCLE_1)
	s_add_u32 s6, s34, s6
	s_addc_u32 s7, s35, s7
	s_or_b32 s8, s29, 32
	s_ashr_i32 s9, s8, 4
	s_cmp_lt_i32 s8, s28
	s_cselect_b32 s8, s9, s16
	s_delay_alu instid0(SALU_CYCLE_1) | instskip(NEXT) | instid1(SALU_CYCLE_1)
	s_ashr_i32 s9, s8, 31
	s_lshl_b64 s[8:9], s[8:9], 2
	s_delay_alu instid0(SALU_CYCLE_1) | instskip(SKIP_2) | instid1(SALU_CYCLE_1)
	s_add_u32 s8, s34, s8
	s_addc_u32 s9, s35, s9
	s_or_b32 s10, s29, 48
	;; [unrolled: 10-line block ×4, first 2 shown]
	s_ashr_i32 s13, s12, 4
	s_cmp_lt_i32 s12, s28
	s_cselect_b32 s12, s13, s16
	s_delay_alu instid0(SALU_CYCLE_1) | instskip(NEXT) | instid1(SALU_CYCLE_1)
	s_ashr_i32 s13, s12, 31
	s_lshl_b64 s[12:13], s[12:13], 2
	s_delay_alu instid0(SALU_CYCLE_1)
	s_add_u32 s20, s34, s12
	s_addc_u32 s21, s35, s13
	s_clause 0x5
	s_load_b32 s36, s[4:5], 0x0
	s_load_b32 s27, s[6:7], 0x0
	;; [unrolled: 1-line block ×6, first 2 shown]
	s_waitcnt vmcnt(1)
	v_mad_i64_i32 v[1:2], null, v5, s17, 0
	v_and_b32_e32 v5, 0xf0, v3
	s_waitcnt vmcnt(0)
	v_mad_i64_i32 v[3:4], null, v6, s17, 0
	s_delay_alu instid0(VALU_DEP_2) | instskip(NEXT) | instid1(VALU_DEP_4)
	v_add_co_u32 v5, s4, s24, v5
	v_lshlrev_b64 v[1:2], 1, v[1:2]
	v_add_co_ci_u32_e64 v6, null, s25, 0, s4
	s_delay_alu instid0(VALU_DEP_4) | instskip(SKIP_1) | instid1(VALU_DEP_3)
	v_lshlrev_b64 v[3:4], 1, v[3:4]
	s_or_b32 s4, s29, 0x60
	v_add_co_u32 v121, vcc_lo, v5, v1
	s_delay_alu instid0(VALU_DEP_3) | instskip(NEXT) | instid1(VALU_DEP_3)
	v_add_co_ci_u32_e32 v122, vcc_lo, v6, v2, vcc_lo
	v_add_co_u32 v123, vcc_lo, v5, v3
	s_delay_alu instid0(VALU_DEP_4)
	v_add_co_ci_u32_e32 v124, vcc_lo, v6, v4, vcc_lo
	s_clause 0x19
	global_load_b128 v[89:92], v[121:122], off
	global_load_b128 v[93:96], v[121:122], off offset:256
	global_load_b128 v[97:100], v[123:124], off
	global_load_b128 v[101:104], v[123:124], off offset:256
	global_load_b128 v[81:84], v[121:122], off offset:512
	;; [unrolled: 1-line block ×23, first 2 shown]
	s_ashr_i32 s5, s4, 4
	s_cmp_lt_i32 s4, s28
	v_cmp_gt_u32_e32 vcc_lo, 9, v140
	s_cselect_b32 s4, s5, s16
	s_delay_alu instid0(SALU_CYCLE_1) | instskip(NEXT) | instid1(SALU_CYCLE_1)
	s_ashr_i32 s5, s4, 31
	s_lshl_b64 s[4:5], s[4:5], 2
	v_cndmask_b32_e32 v105, v105, v140, vcc_lo
	s_add_u32 s18, s34, s4
	s_addc_u32 s19, s35, s5
	s_or_b32 s4, s29, 0x70
	s_delay_alu instid0(SALU_CYCLE_1)
	s_ashr_i32 s5, s4, 4
	s_cmp_lt_i32 s4, s28
	v_lshlrev_b32_e32 v215, 6, v105
	s_cselect_b32 s6, s5, s16
	ds_load_b128 v[105:108], v215
	ds_load_b128 v[109:112], v215 offset:1024
	s_ashr_i32 s7, s6, 31
	ds_load_b128 v[113:116], v215 offset:2048
	ds_load_b128 v[117:120], v215 offset:3072
	;; [unrolled: 1-line block ×8, first 2 shown]
	s_clause 0x1
	global_load_b128 v[167:170], v[123:124], off offset:3072
	global_load_b128 v[171:174], v[123:124], off offset:3328
	s_lshl_b64 s[6:7], s[6:7], 2
	s_mov_b32 s4, 0
	s_add_u32 s20, s34, s6
	s_addc_u32 s21, s35, s7
	s_clause 0x1
	s_load_b32 s42, s[18:19], 0x0
	s_load_b32 s43, s[20:21], 0x0
	s_clause 0x3
	global_load_b128 v[175:178], v[121:122], off offset:3584
	global_load_b128 v[179:182], v[121:122], off offset:3840
	;; [unrolled: 1-line block ×4, first 2 shown]
	s_or_b32 s7, s29, 0x80
	s_mov_b32 s5, s4
	s_ashr_i32 s8, s7, 4
	s_cmp_lt_i32 s7, s28
	s_mov_b32 s6, s4
	s_cselect_b32 s10, s8, s16
	s_mov_b32 s7, s4
	s_ashr_i32 s11, s10, 31
	s_mov_b32 s8, s4
	s_lshl_b64 s[24:25], s[10:11], 2
	s_mov_b32 s9, s4
	s_add_u32 s24, s34, s24
	s_addc_u32 s25, s35, s25
	s_or_b32 s11, s29, 0x90
	s_mov_b32 s10, s4
	s_ashr_i32 s37, s11, 4
	s_cmp_lt_i32 s11, s28
	s_mov_b32 s11, s4
	s_cselect_b32 s38, s37, s16
	v_mov_b32_e32 v136, s11
	s_ashr_i32 s39, s38, 31
	v_dual_mov_b32 v135, s10 :: v_dual_mov_b32 v134, s9
	v_dual_mov_b32 v133, s8 :: v_dual_mov_b32 v132, s7
	;; [unrolled: 1-line block ×3, first 2 shown]
	v_mov_b32_e32 v129, s4
	s_lshl_b64 s[4:5], s[38:39], 2
	s_waitcnt lgkmcnt(0)
	s_mul_hi_i32 s7, s27, s17
	s_add_u32 s38, s34, s4
	s_addc_u32 s39, s35, s5
	s_or_b32 s4, s29, 0xa0
	s_load_b32 s39, s[38:39], 0x0
	s_ashr_i32 s5, s4, 4
	s_cmp_lt_i32 s4, s28
	s_cselect_b32 s4, s5, s16
	s_delay_alu instid0(SALU_CYCLE_1) | instskip(NEXT) | instid1(SALU_CYCLE_1)
	s_ashr_i32 s5, s4, 31
	s_lshl_b64 s[4:5], s[4:5], 2
	s_delay_alu instid0(SALU_CYCLE_1)
	s_add_u32 s40, s34, s4
	s_addc_u32 s41, s35, s5
	s_or_b32 s4, s29, 0xb0
	s_mul_hi_i32 s5, s36, s17
	s_ashr_i32 s6, s4, 4
	s_cmp_lt_i32 s4, s28
	s_mul_i32 s4, s36, s17
	s_cselect_b32 s8, s6, s16
	s_mul_i32 s6, s27, s17
	s_ashr_i32 s9, s8, 31
	s_load_b32 s38, s[40:41], 0x0
	s_lshl_b64 s[10:11], s[8:9], 2
	s_mul_hi_i32 s9, s26, s17
	s_add_u32 s36, s34, s10
	s_addc_u32 s37, s35, s11
	s_or_b32 s10, s29, 0xc0
	s_mul_i32 s8, s26, s17
	s_ashr_i32 s26, s10, 4
	s_cmp_lt_i32 s10, s28
	s_mul_hi_i32 s11, s13, s17
	s_cselect_b32 s26, s26, s16
	s_mul_i32 s10, s13, s17
	s_ashr_i32 s27, s26, 31
	s_mul_hi_i32 s13, s12, s17
	s_lshl_b64 s[26:27], s[26:27], 2
	s_mul_i32 s12, s12, s17
	s_add_u32 s20, s34, s26
	s_addc_u32 s21, s35, s27
	s_or_b32 s18, s29, 0xd0
	s_load_b32 s26, s[24:25], 0x0
	s_ashr_i32 s19, s18, 4
	s_cmp_lt_i32 s18, s28
	s_mul_i32 s18, s15, s17
	s_cselect_b32 s24, s19, s16
	s_mul_hi_i32 s19, s15, s17
	s_ashr_i32 s25, s24, 31
	s_waitcnt lgkmcnt(0)
	s_mul_hi_i32 s41, s39, s17
	s_lshl_b64 s[24:25], s[24:25], 2
	s_delay_alu instid0(SALU_CYCLE_1)
	s_add_u32 s24, s34, s24
	s_addc_u32 s25, s35, s25
	s_or_b32 s40, s29, 0xe0
	s_clause 0x2
	s_load_b32 s37, s[36:37], 0x0
	s_load_b32 s36, s[20:21], 0x0
	;; [unrolled: 1-line block ×3, first 2 shown]
	s_ashr_i32 s44, s40, 4
	s_cmp_lt_i32 s40, s28
	s_mul_hi_i32 s21, s42, s17
	s_mul_i32 s20, s42, s17
	s_cselect_b32 s42, s44, s16
	s_mul_hi_i32 s25, s43, s17
	s_mul_i32 s24, s43, s17
	s_ashr_i32 s43, s42, 31
	s_mul_hi_i32 s27, s26, s17
	s_lshl_b64 s[42:43], s[42:43], 2
	s_mul_i32 s26, s26, s17
	s_add_u32 s42, s34, s42
	s_addc_u32 s43, s35, s43
	s_or_b32 s44, s29, 0xf0
	s_mul_i32 s40, s39, s17
	s_ashr_i32 s46, s44, 4
	s_cmp_lt_i32 s44, s28
	s_mul_hi_i32 s39, s38, s17
	s_cselect_b32 s46, s46, s16
	s_waitcnt lgkmcnt(0)
	s_mul_hi_i32 s49, s15, s17
	s_ashr_i32 s47, s46, 31
	s_mul_i32 s48, s15, s17
	s_lshl_b64 s[46:47], s[46:47], 2
	s_mul_i32 s38, s38, s17
	s_add_u32 s34, s34, s46
	s_addc_u32 s35, s35, s47
	s_add_u32 s15, s22, s2
	s_addc_u32 s16, s23, s3
	v_add_co_u32 v216, s15, s15, v125
	s_delay_alu instid0(VALU_DEP_1) | instskip(SKIP_2) | instid1(VALU_DEP_2)
	v_add_co_ci_u32_e64 v217, null, s16, 0, s15
	s_lshl_b64 s[2:3], s[4:5], 1
	s_lshl_b64 s[4:5], s[6:7], 1
	v_add_co_u32 v125, vcc_lo, v216, s2
	s_delay_alu instid0(VALU_DEP_2)
	v_add_co_ci_u32_e32 v126, vcc_lo, s3, v217, vcc_lo
	v_add_co_u32 v199, vcc_lo, v216, s4
	s_lshl_b64 s[6:7], s[8:9], 1
	v_add_co_ci_u32_e32 v200, vcc_lo, s5, v217, vcc_lo
	s_lshl_b64 s[8:9], s[10:11], 1
	s_lshl_b64 s[10:11], s[12:13], 1
	;; [unrolled: 1-line block ×8, first 2 shown]
	s_mul_hi_i32 s45, s37, s17
	s_mul_i32 s44, s37, s17
	s_mul_hi_i32 s37, s36, s17
	s_lshl_b64 s[38:39], s[44:45], 1
	s_mul_i32 s36, s36, s17
	s_clause 0x1
	s_load_b32 s15, s[42:43], 0x0
	s_load_b32 s16, s[34:35], 0x0
	s_lshl_b64 s[36:37], s[36:37], 1
	s_lshl_b64 s[40:41], s[48:49], 1
	s_waitcnt lgkmcnt(0)
	s_mul_hi_i32 s3, s15, s17
	s_mul_i32 s2, s15, s17
	s_mul_hi_i32 s5, s16, s17
	s_lshl_b64 s[2:3], s[2:3], 1
	s_mul_i32 s4, s16, s17
	s_waitcnt vmcnt(30)
	v_wmma_f32_16x16x16_bf16 v[191:198], v[89:96], v[105:112], v[129:136]
	v_add_co_u32 v89, vcc_lo, v216, s6
	v_add_co_ci_u32_e32 v90, vcc_lo, s7, v217, vcc_lo
	v_add_co_u32 v91, vcc_lo, v216, s8
	v_add_co_ci_u32_e32 v92, vcc_lo, s9, v217, vcc_lo
	;; [unrolled: 2-line block ×5, first 2 shown]
	v_add_co_u32 v205, vcc_lo, v216, s20
	s_waitcnt vmcnt(28)
	v_wmma_f32_16x16x16_bf16 v[129:136], v[97:104], v[105:112], v[129:136]
	v_add_co_ci_u32_e32 v206, vcc_lo, s21, v217, vcc_lo
	v_add_co_u32 v207, vcc_lo, v216, s22
	v_add_co_ci_u32_e32 v208, vcc_lo, s23, v217, vcc_lo
	v_add_co_u32 v209, vcc_lo, v216, s24
	s_waitcnt vmcnt(26)
	v_wmma_f32_16x16x16_bf16 v[191:198], v[81:88], v[113:120], v[191:198]
	s_waitcnt vmcnt(24)
	v_wmma_f32_16x16x16_bf16 v[129:136], v[73:80], v[113:120], v[129:136]
	v_add_co_ci_u32_e32 v210, vcc_lo, s25, v217, vcc_lo
	v_add_co_u32 v211, vcc_lo, v216, s26
	v_add_co_ci_u32_e32 v212, vcc_lo, s27, v217, vcc_lo
	v_add_co_u32 v213, vcc_lo, v216, s38
	s_waitcnt vmcnt(22)
	v_wmma_f32_16x16x16_bf16 v[191:198], v[65:72], v[143:150], v[191:198]
	s_waitcnt vmcnt(20)
	v_wmma_f32_16x16x16_bf16 v[129:136], v[57:64], v[143:150], v[129:136]
	v_add_co_ci_u32_e32 v214, vcc_lo, s39, v217, vcc_lo
	v_add_co_u32 v143, vcc_lo, v216, s36
	s_waitcnt vmcnt(18)
	v_wmma_f32_16x16x16_bf16 v[191:198], v[49:56], v[151:158], v[191:198]
	s_waitcnt vmcnt(16)
	v_wmma_f32_16x16x16_bf16 v[129:136], v[41:48], v[151:158], v[129:136]
	v_add_co_ci_u32_e32 v144, vcc_lo, s37, v217, vcc_lo
	s_clause 0x15
	global_load_b128 v[121:124], v[125:126], off
	global_load_b128 v[125:128], v[125:126], off offset:16
	global_load_b128 v[113:116], v[199:200], off
	global_load_b128 v[117:120], v[199:200], off offset:16
	;; [unrolled: 2-line block ×11, first 2 shown]
	s_waitcnt vmcnt(36)
	v_wmma_f32_16x16x16_bf16 v[191:198], v[17:24], v[159:166], v[191:198]
	s_clause 0x1
	global_load_b128 v[17:20], v[213:214], off
	global_load_b128 v[21:24], v[213:214], off offset:16
	s_waitcnt vmcnt(36)
	v_wmma_f32_16x16x16_bf16 v[129:136], v[1:8], v[159:166], v[129:136]
	s_clause 0x1
	global_load_b128 v[1:4], v[143:144], off
	global_load_b128 v[5:8], v[143:144], off offset:16
	ds_load_b128 v[143:146], v215 offset:10240
	ds_load_b128 v[147:150], v215 offset:11264
	;; [unrolled: 1-line block ×4, first 2 shown]
	v_add_co_u32 v199, vcc_lo, v216, s40
	v_add_co_ci_u32_e32 v200, vcc_lo, s41, v217, vcc_lo
	v_add_co_u32 v159, vcc_lo, v216, s2
	v_add_co_ci_u32_e32 v160, vcc_lo, s3, v217, vcc_lo
	s_lshl_b64 s[2:3], s[4:5], 1
	s_delay_alu instid0(SALU_CYCLE_1)
	v_add_co_u32 v161, vcc_lo, v216, s2
	v_add_co_ci_u32_e32 v162, vcc_lo, s3, v217, vcc_lo
	s_waitcnt vmcnt(36) lgkmcnt(2)
	v_wmma_f32_16x16x16_bf16 v[191:198], v[25:32], v[143:150], v[191:198]
	s_waitcnt vmcnt(34)
	v_wmma_f32_16x16x16_bf16 v[129:136], v[33:40], v[143:150], v[129:136]
	s_clause 0x3
	global_load_b128 v[25:28], v[199:200], off
	global_load_b128 v[29:32], v[199:200], off offset:16
	global_load_b128 v[33:36], v[159:160], off
	global_load_b128 v[37:40], v[159:160], off offset:16
	v_and_b32_e32 v143, 0xe0, v0
	v_mbcnt_lo_u32_b32 v159, -1, 0
	s_waitcnt vmcnt(36) lgkmcnt(0)
	v_wmma_f32_16x16x16_bf16 v[191:198], v[9:16], v[151:158], v[191:198]
	s_clause 0x1
	global_load_b128 v[9:12], v[161:162], off
	global_load_b128 v[13:16], v[161:162], off offset:16
	s_waitcnt vmcnt(36)
	v_wmma_f32_16x16x16_bf16 v[129:136], v[167:174], v[151:158], v[129:136]
	v_add_nc_u32_e32 v160, s29, v143
	ds_load_b128 v[143:146], v215 offset:14336
	ds_load_b128 v[147:150], v215 offset:15360
	v_xor_b32_e32 v151, 16, v159
	s_waitcnt vmcnt(0) lgkmcnt(0)
	s_barrier
	v_or_b32_e32 v152, v160, v138
	buffer_gl0_inv
	v_cmp_gt_i32_e32 vcc_lo, 32, v151
	v_or_b32_e32 v153, 2, v152
	v_or_b32_e32 v154, 4, v152
	v_or_b32_e32 v155, 6, v152
	v_or_b32_e32 v156, 8, v152
	v_or_b32_e32 v157, 10, v152
	v_cmp_gt_i32_e64 s2, s28, v153
	v_cmp_gt_i32_e64 s3, s28, v154
	;; [unrolled: 1-line block ×3, first 2 shown]
	v_or_b32_e32 v158, 12, v152
	v_cmp_gt_i32_e64 s5, s28, v156
	v_cmp_gt_i32_e64 s6, s28, v157
	v_wmma_f32_16x16x16_bf16 v[191:198], v[175:182], v[143:150], v[191:198]
	v_wmma_f32_16x16x16_bf16 v[129:136], v[183:190], v[143:150], v[129:136]
	v_cndmask_b32_e32 v151, v159, v151, vcc_lo
	v_cmp_gt_i32_e32 vcc_lo, s28, v152
	v_or_b32_e32 v159, 14, v152
	v_dual_mul_f32 v149, s33, v192 :: v_dual_mul_f32 v150, s33, v191
	v_dual_mul_f32 v147, s33, v194 :: v_dual_mul_f32 v148, s33, v193
	v_mul_f32_e32 v145, s33, v196
	s_delay_alu instid0(VALU_DEP_3) | instskip(NEXT) | instid1(VALU_DEP_4)
	v_cndmask_b32_e64 v149, 0xff7fffff, v149, s2
	v_cndmask_b32_e32 v150, 0xff7fffff, v150, vcc_lo
	v_mul_f32_e32 v146, s33, v195
	v_cndmask_b32_e64 v148, 0xff7fffff, v148, s3
	v_cndmask_b32_e64 v147, 0xff7fffff, v147, s4
	v_or_b32_e32 v160, 16, v152
	v_max3_f32 v149, v150, 0xff7fffff, v149
	v_or_b32_e32 v161, 18, v152
	v_dual_mul_f32 v143, s33, v198 :: v_dual_mul_f32 v144, s33, v197
	v_cndmask_b32_e64 v146, 0xff7fffff, v146, s5
	v_cndmask_b32_e64 v145, 0xff7fffff, v145, s6
	v_max3_f32 v147, v149, v148, v147
	v_cmp_gt_i32_e64 s7, s28, v158
	v_cmp_gt_i32_e64 s8, s28, v159
	v_or_b32_e32 v162, 20, v152
	v_or_b32_e32 v163, 22, v152
	v_dual_mul_f32 v174, s33, v130 :: v_dual_mul_f32 v175, s33, v129
	v_cndmask_b32_e64 v144, 0xff7fffff, v144, s7
	v_cndmask_b32_e64 v143, 0xff7fffff, v143, s8
	v_max3_f32 v145, v147, v146, v145
	v_cmp_gt_i32_e64 s9, s28, v160
	v_cmp_gt_i32_e64 s10, s28, v161
	v_or_b32_e32 v164, 24, v152
	;; [unrolled: 8-line block ×3, first 2 shown]
	v_or_b32_e32 v167, 30, v152
	v_dual_mul_f32 v170, s33, v134 :: v_dual_mul_f32 v171, s33, v133
	v_cndmask_b32_e64 v144, 0xff7fffff, v173, s11
	v_cndmask_b32_e64 v145, 0xff7fffff, v172, s12
	v_max3_f32 v143, v143, v146, v147
	v_cmp_gt_i32_e64 s13, s28, v164
	v_cmp_gt_i32_e64 s15, s28, v165
	v_dual_mul_f32 v168, s33, v136 :: v_dual_mul_f32 v169, s33, v135
	s_delay_alu instid0(VALU_DEP_4) | instskip(NEXT) | instid1(VALU_DEP_4)
	v_max3_f32 v143, v143, v144, v145
	v_cndmask_b32_e64 v146, 0xff7fffff, v171, s13
	s_delay_alu instid0(VALU_DEP_4) | instskip(SKIP_3) | instid1(VALU_DEP_4)
	v_cndmask_b32_e64 v147, 0xff7fffff, v170, s15
	v_cmp_gt_i32_e64 s16, s28, v166
	v_cmp_gt_i32_e64 s17, s28, v167
	v_lshlrev_b32_e32 v154, 2, v151
	v_max3_f32 v143, v143, v146, v147
	s_delay_alu instid0(VALU_DEP_4) | instskip(NEXT) | instid1(VALU_DEP_4)
	v_cndmask_b32_e64 v144, 0xff7fffff, v169, s16
	v_cndmask_b32_e64 v145, 0xff7fffff, v168, s17
	s_delay_alu instid0(VALU_DEP_1) | instskip(SKIP_3) | instid1(VALU_DEP_1)
	v_max3_f32 v143, v143, v144, v145
	ds_bpermute_b32 v144, v154, v143
	s_waitcnt lgkmcnt(0)
	v_max_f32_e32 v144, v144, v144
	v_max_f32_e32 v153, v143, v144
	s_delay_alu instid0(VALU_DEP_1) | instskip(SKIP_4) | instid1(VALU_DEP_4)
	v_fma_f32 v143, s33, v191, -v153
	v_fma_f32 v144, s33, v192, -v153
	;; [unrolled: 1-line block ×5, first 2 shown]
	v_dual_mul_f32 v143, 0x3fb8aa3b, v143 :: v_dual_mul_f32 v144, 0x3fb8aa3b, v144
	s_delay_alu instid0(VALU_DEP_4) | instskip(SKIP_2) | instid1(VALU_DEP_4)
	v_mul_f32_e32 v132, 0x3fb8aa3b, v132
	v_fma_f32 v134, s33, v134, -v153
	v_mul_f32_e32 v145, 0x3fb8aa3b, v145
	v_exp_f32_e32 v143, v143
	v_exp_f32_e32 v147, v144
	v_fma_f32 v148, s33, v195, -v153
	v_mul_f32_e32 v134, 0x3fb8aa3b, v134
	v_mul_f32_e32 v146, 0x3fb8aa3b, v146
	v_exp_f32_e32 v145, v145
	v_fma_f32 v151, s33, v197, -v153
	v_mul_f32_e32 v148, 0x3fb8aa3b, v148
	v_fma_f32 v129, s33, v129, -v153
	v_exp_f32_e32 v149, v146
	v_cndmask_b32_e32 v144, 0, v143, vcc_lo
	v_fma_f32 v143, s33, v196, -v153
	v_cndmask_b32_e64 v146, 0, v147, s2
	v_exp_f32_e32 v148, v148
	s_delay_alu instid0(VALU_DEP_3) | instskip(NEXT) | instid1(VALU_DEP_3)
	v_dual_mul_f32 v151, 0x3fb8aa3b, v151 :: v_dual_add_f32 v150, 0, v144
	v_mul_f32_e32 v143, 0x3fb8aa3b, v143
	v_cndmask_b32_e64 v147, 0, v145, s3
	v_fma_f32 v130, s33, v130, -v153
	s_delay_alu instid0(TRANS32_DEP_2)
	v_cndmask_b32_e64 v149, 0, v149, s4
	v_add_f32_e32 v145, v150, v146
	v_fma_f32 v150, s33, v198, -v153
	v_exp_f32_e32 v143, v143
	v_exp_f32_e32 v155, v151
	v_mul_f32_e32 v129, 0x3fb8aa3b, v129
	s_delay_alu instid0(VALU_DEP_2) | instskip(SKIP_2) | instid1(VALU_DEP_3)
	v_dual_add_f32 v145, v145, v147 :: v_dual_mul_f32 v152, 0x3fb8aa3b, v150
	v_cndmask_b32_e64 v150, 0, v148, s5
	v_fma_f32 v131, s33, v131, -v153
	v_dual_mul_f32 v130, 0x3fb8aa3b, v130 :: v_dual_add_f32 v145, v145, v149
	s_delay_alu instid0(VALU_DEP_4) | instskip(NEXT) | instid1(TRANS32_DEP_3)
	v_exp_f32_e32 v152, v152
	v_cndmask_b32_e64 v151, 0, v143, s6
	v_exp_f32_e32 v129, v129
	s_delay_alu instid0(TRANS32_DEP_3)
	v_cndmask_b32_e64 v148, 0, v155, s7
	v_add_f32_e32 v143, v145, v150
	v_mul_f32_e32 v131, 0x3fb8aa3b, v131
	v_exp_f32_e32 v130, v130
	v_fma_f32 v133, s33, v133, -v153
	v_fma_f32 v136, s33, v136, -v153
	v_add_f32_e32 v143, v143, v151
	v_cndmask_b32_e64 v152, 0, v152, s8
	v_exp_f32_e32 v145, v131
	v_cndmask_b32_e64 v131, 0, v129, s9
	v_mul_f32_e32 v133, 0x3fb8aa3b, v133
	v_add_f32_e32 v143, v143, v148
	v_cmp_gt_u32_e64 s2, 16, v142
	s_delay_alu instid0(VALU_DEP_2)
	v_add_f32_e32 v129, v143, v152
	v_exp_f32_e32 v143, v132
	v_cndmask_b32_e64 v132, 0, v130, s10
	v_fma_f32 v130, s33, v135, -v153
	v_exp_f32_e32 v135, v133
	v_add_f32_e32 v129, v129, v131
	v_cndmask_b32_e64 v133, 0, v145, s11
	v_exp_f32_e32 v145, v134
	s_delay_alu instid0(VALU_DEP_2) | instskip(NEXT) | instid1(TRANS32_DEP_3)
	v_dual_mul_f32 v130, 0x3fb8aa3b, v130 :: v_dual_add_f32 v129, v129, v132
	v_cndmask_b32_e64 v134, 0, v143, s12
	v_mul_f32_e32 v143, 0x3fb8aa3b, v136
	s_delay_alu instid0(VALU_DEP_3) | instskip(NEXT) | instid1(TRANS32_DEP_3)
	v_exp_f32_e32 v130, v130
	v_cndmask_b32_e64 v135, 0, v135, s13
	v_add_f32_e32 v129, v129, v133
	s_delay_alu instid0(TRANS32_DEP_2) | instskip(SKIP_1) | instid1(VALU_DEP_2)
	v_cndmask_b32_e64 v136, 0, v145, s15
	v_exp_f32_e32 v145, v143
	v_add_f32_e32 v129, v129, v134
	s_waitcnt_depctr 0xfff
	v_cndmask_b32_e64 v143, 0, v130, s16
	v_add_f32_e32 v129, v129, v135
	v_cndmask_b32_e64 v145, 0, v145, s17
	s_delay_alu instid0(VALU_DEP_2) | instskip(NEXT) | instid1(VALU_DEP_1)
	v_add_f32_e32 v129, v129, v136
	v_add_f32_e32 v129, v129, v143
	s_delay_alu instid0(VALU_DEP_1)
	v_add_f32_e32 v129, v129, v145
	ds_bpermute_b32 v130, v154, v129
	s_and_saveexec_b32 s3, s2
	s_cbranch_execz .LBB586_12
; %bb.11:
	v_mul_u32_u24_e32 v142, 0x44, v141
	s_waitcnt lgkmcnt(0)
	v_add_f32_e32 v129, v129, v130
	s_delay_alu instid0(VALU_DEP_2) | instskip(NEXT) | instid1(VALU_DEP_1)
	v_lshl_add_u32 v142, v140, 2, v142
	v_add_nc_u32_e32 v130, 0x4000, v142
	ds_store_2addr_b32 v130, v153, v129 offset1:136
.LBB586_12:
	s_or_b32 exec_lo, exec_lo, s3
	v_lshlrev_b32_e32 v129, 2, v140
	s_waitcnt lgkmcnt(0)
	s_barrier
	buffer_gl0_inv
	v_cmp_eq_u32_e64 s3, 1, v141
	v_add_nc_u32_e32 v142, 0x4000, v129
	ds_load_2addr_b32 v[153:154], v142 offset1:17
	ds_load_2addr_b32 v[155:156], v142 offset0:34 offset1:51
	ds_load_2addr_b32 v[157:158], v142 offset0:68 offset1:85
	;; [unrolled: 1-line block ×4, first 2 shown]
	s_waitcnt lgkmcnt(4)
	v_max3_f32 v129, v153, 0xff7fffff, v154
	s_waitcnt lgkmcnt(3)
	s_delay_alu instid0(VALU_DEP_1) | instskip(SKIP_1) | instid1(VALU_DEP_1)
	v_max3_f32 v129, v129, v155, v156
	s_waitcnt lgkmcnt(2)
	v_max3_f32 v129, v129, v157, v158
	s_waitcnt lgkmcnt(1)
	s_delay_alu instid0(VALU_DEP_1) | instskip(NEXT) | instid1(VALU_DEP_1)
	v_max3_f32 v129, v129, v159, v160
	v_sub_f32_e32 v163, v154, v129
	v_sub_f32_e32 v130, v153, v129
	ds_load_2addr_b32 v[153:154], v142 offset0:170 offset1:187
	v_sub_f32_e32 v155, v155, v129
	v_dual_mul_f32 v163, 0x3fb8aa3b, v163 :: v_dual_mul_f32 v130, 0x3fb8aa3b, v130
	s_delay_alu instid0(VALU_DEP_2) | instskip(NEXT) | instid1(VALU_DEP_2)
	v_mul_f32_e32 v165, 0x3fb8aa3b, v155
	v_exp_f32_e32 v163, v163
	s_delay_alu instid0(VALU_DEP_2)
	v_exp_f32_e32 v164, v130
	v_sub_f32_e32 v130, v156, v129
	ds_load_2addr_b32 v[155:156], v142 offset0:204 offset1:221
	v_exp_f32_e32 v165, v165
	v_mul_f32_e32 v166, 0x3fb8aa3b, v130
	s_waitcnt lgkmcnt(2)
	v_fma_f32 v130, v164, v161, 0
	v_sub_f32_e32 v157, v157, v129
	s_delay_alu instid0(VALU_DEP_3) | instskip(NEXT) | instid1(VALU_DEP_2)
	v_exp_f32_e32 v166, v166
	v_dual_sub_f32 v161, v158, v129 :: v_dual_fmac_f32 v130, v163, v162
	s_waitcnt lgkmcnt(1)
	s_waitcnt_depctr 0xfff
	v_fmac_f32_e32 v130, v165, v153
	v_mul_f32_e32 v167, 0x3fb8aa3b, v157
	ds_load_2addr_b32 v[157:158], v142 offset0:238 offset1:255
	v_sub_f32_e32 v142, v159, v129
	v_dual_sub_f32 v153, v160, v129 :: v_dual_fmac_f32 v130, v166, v154
	v_mul_f32_e32 v159, 0x3fb8aa3b, v161
	v_exp_f32_e32 v161, v167
	s_delay_alu instid0(VALU_DEP_2)
	v_dual_mul_f32 v142, 0x3fb8aa3b, v142 :: v_dual_mul_f32 v153, 0x3fb8aa3b, v153
	s_waitcnt lgkmcnt(0)
	s_barrier
	buffer_gl0_inv
	v_exp_f32_e32 v142, v142
	v_exp_f32_e32 v153, v153
	v_fmac_f32_e32 v130, v161, v155
	v_exp_f32_e32 v159, v159
	s_waitcnt_depctr 0xfff
	v_fmac_f32_e32 v130, v159, v156
	s_delay_alu instid0(VALU_DEP_1) | instskip(NEXT) | instid1(VALU_DEP_1)
	v_fmac_f32_e32 v130, v142, v157
	v_fmac_f32_e32 v130, v153, v158
	s_delay_alu instid0(VALU_DEP_1) | instskip(NEXT) | instid1(VALU_DEP_1)
	v_add_f32_e32 v154, 0x358637bd, v130
	v_div_scale_f32 v155, null, v154, v154, 1.0
	v_div_scale_f32 v158, vcc_lo, 1.0, v154, 1.0
	s_delay_alu instid0(VALU_DEP_2) | instskip(SKIP_2) | instid1(VALU_DEP_1)
	v_rcp_f32_e32 v156, v155
	s_waitcnt_depctr 0xfff
	v_fma_f32 v157, -v155, v156, 1.0
	v_fmac_f32_e32 v156, v157, v156
	v_cndmask_b32_e64 v157, v164, v163, s3
	v_cmp_eq_u32_e64 s3, 2, v141
	s_delay_alu instid0(VALU_DEP_3) | instskip(NEXT) | instid1(VALU_DEP_2)
	v_mul_f32_e32 v160, v158, v156
	v_cndmask_b32_e64 v157, v157, v165, s3
	v_cmp_eq_u32_e64 s3, 3, v141
	s_delay_alu instid0(VALU_DEP_3) | instskip(NEXT) | instid1(VALU_DEP_2)
	v_fma_f32 v162, -v155, v160, v158
	v_cndmask_b32_e64 v157, v157, v166, s3
	v_cmp_eq_u32_e64 s3, 4, v141
	s_delay_alu instid0(VALU_DEP_3) | instskip(NEXT) | instid1(VALU_DEP_2)
	v_fmac_f32_e32 v160, v162, v156
	v_cndmask_b32_e64 v157, v157, v161, s3
	s_delay_alu instid0(VALU_DEP_2) | instskip(SKIP_1) | instid1(VALU_DEP_2)
	v_fma_f32 v155, -v155, v160, v158
	v_cmp_eq_u32_e64 s3, 5, v141
	v_div_fmas_f32 v155, v155, v156, v160
	s_delay_alu instid0(VALU_DEP_2) | instskip(SKIP_2) | instid1(VALU_DEP_3)
	v_cndmask_b32_e64 v157, v157, v159, s3
	v_cmp_eq_u32_e32 vcc_lo, 6, v141
	s_mov_b32 s3, exec_lo
	v_div_fixup_f32 v154, v155, v154, 1.0
	s_delay_alu instid0(VALU_DEP_3) | instskip(SKIP_1) | instid1(VALU_DEP_2)
	v_cndmask_b32_e32 v142, v157, v142, vcc_lo
	v_cmp_eq_u32_e32 vcc_lo, 7, v141
	v_cndmask_b32_e32 v142, v142, v153, vcc_lo
	s_delay_alu instid0(VALU_DEP_1) | instskip(NEXT) | instid1(VALU_DEP_1)
	v_mul_f32_e32 v142, v142, v154
	v_mul_f32_e32 v153, v142, v149
	;; [unrolled: 1-line block ×7, first 2 shown]
	v_dual_mul_f32 v150, v142, v147 :: v_dual_and_b32 v155, 0x7f800000, v154
	v_mul_f32_e32 v149, v142, v146
                                        ; implicit-def: $vgpr146
	s_delay_alu instid0(VALU_DEP_2)
	v_cmpx_ne_u32_e32 0x7f800000, v155
	s_xor_b32 s3, exec_lo, s3
; %bb.13:
	v_bfe_u32 v146, v154, 16, 1
	s_delay_alu instid0(VALU_DEP_1)
	v_add3_u32 v146, v154, v146, 0x7fff
                                        ; implicit-def: $vgpr154
; %bb.14:
	s_and_not1_saveexec_b32 s3, s3
; %bb.15:
	v_and_b32_e32 v146, 0xffff, v154
	v_or_b32_e32 v147, 0x10000, v154
	s_delay_alu instid0(VALU_DEP_2) | instskip(NEXT) | instid1(VALU_DEP_2)
	v_cmp_eq_u32_e32 vcc_lo, 0, v146
	v_cndmask_b32_e32 v146, v147, v154, vcc_lo
; %bb.16:
	s_or_b32 exec_lo, exec_lo, s3
	v_and_b32_e32 v147, 0x7f800000, v149
	s_delay_alu instid0(VALU_DEP_1) | instskip(SKIP_1) | instid1(SALU_CYCLE_1)
	v_cmp_ne_u32_e32 vcc_lo, 0x7f800000, v147
                                        ; implicit-def: $vgpr147
	s_and_saveexec_b32 s3, vcc_lo
	s_xor_b32 s3, exec_lo, s3
; %bb.17:
	v_bfe_u32 v147, v149, 16, 1
	s_delay_alu instid0(VALU_DEP_1)
	v_add3_u32 v147, v149, v147, 0x7fff
                                        ; implicit-def: $vgpr149
; %bb.18:
	s_and_not1_saveexec_b32 s3, s3
; %bb.19:
	v_and_b32_e32 v147, 0xffff, v149
	v_or_b32_e32 v154, 0x10000, v149
	s_delay_alu instid0(VALU_DEP_2) | instskip(NEXT) | instid1(VALU_DEP_2)
	v_cmp_eq_u32_e32 vcc_lo, 0, v147
	v_cndmask_b32_e32 v147, v154, v149, vcc_lo
; %bb.20:
	s_or_b32 exec_lo, exec_lo, s3
	v_and_b32_e32 v149, 0x7f800000, v150
	s_delay_alu instid0(VALU_DEP_1) | instskip(SKIP_1) | instid1(SALU_CYCLE_1)
	v_cmp_ne_u32_e32 vcc_lo, 0x7f800000, v149
                                        ; implicit-def: $vgpr149
	s_and_saveexec_b32 s3, vcc_lo
	s_xor_b32 s3, exec_lo, s3
; %bb.21:
	v_bfe_u32 v149, v150, 16, 1
	s_delay_alu instid0(VALU_DEP_1)
	v_add3_u32 v149, v150, v149, 0x7fff
                                        ; implicit-def: $vgpr150
; %bb.22:
	s_and_not1_saveexec_b32 s3, s3
; %bb.23:
	v_and_b32_e32 v149, 0xffff, v150
	v_or_b32_e32 v154, 0x10000, v150
	s_delay_alu instid0(VALU_DEP_2) | instskip(NEXT) | instid1(VALU_DEP_2)
	v_cmp_eq_u32_e32 vcc_lo, 0, v149
	v_cndmask_b32_e32 v149, v154, v150, vcc_lo
; %bb.24:
	s_or_b32 exec_lo, exec_lo, s3
	v_and_b32_e32 v150, 0x7f800000, v153
	s_delay_alu instid0(VALU_DEP_1) | instskip(SKIP_1) | instid1(SALU_CYCLE_1)
	v_cmp_ne_u32_e32 vcc_lo, 0x7f800000, v150
                                        ; implicit-def: $vgpr150
	s_and_saveexec_b32 s3, vcc_lo
	s_xor_b32 s3, exec_lo, s3
; %bb.25:
	v_bfe_u32 v150, v153, 16, 1
	s_delay_alu instid0(VALU_DEP_1)
	v_add3_u32 v150, v153, v150, 0x7fff
                                        ; implicit-def: $vgpr153
; %bb.26:
	s_and_not1_saveexec_b32 s3, s3
; %bb.27:
	v_and_b32_e32 v150, 0xffff, v153
	v_or_b32_e32 v154, 0x10000, v153
	s_delay_alu instid0(VALU_DEP_2) | instskip(NEXT) | instid1(VALU_DEP_2)
	v_cmp_eq_u32_e32 vcc_lo, 0, v150
	v_cndmask_b32_e32 v150, v154, v153, vcc_lo
; %bb.28:
	s_or_b32 exec_lo, exec_lo, s3
	v_and_b32_e32 v153, 0x7f800000, v152
	s_delay_alu instid0(VALU_DEP_1) | instskip(SKIP_1) | instid1(SALU_CYCLE_1)
	v_cmp_ne_u32_e32 vcc_lo, 0x7f800000, v153
                                        ; implicit-def: $vgpr153
	s_and_saveexec_b32 s3, vcc_lo
	s_xor_b32 s3, exec_lo, s3
; %bb.29:
	v_bfe_u32 v153, v152, 16, 1
	s_delay_alu instid0(VALU_DEP_1)
	v_add3_u32 v153, v152, v153, 0x7fff
                                        ; implicit-def: $vgpr152
; %bb.30:
	s_and_not1_saveexec_b32 s3, s3
; %bb.31:
	v_and_b32_e32 v153, 0xffff, v152
	v_or_b32_e32 v154, 0x10000, v152
	s_delay_alu instid0(VALU_DEP_2) | instskip(NEXT) | instid1(VALU_DEP_2)
	v_cmp_eq_u32_e32 vcc_lo, 0, v153
	v_cndmask_b32_e32 v153, v154, v152, vcc_lo
; %bb.32:
	s_or_b32 exec_lo, exec_lo, s3
	v_and_b32_e32 v152, 0x7f800000, v151
	s_delay_alu instid0(VALU_DEP_1) | instskip(SKIP_1) | instid1(SALU_CYCLE_1)
	v_cmp_ne_u32_e32 vcc_lo, 0x7f800000, v152
                                        ; implicit-def: $vgpr152
	s_and_saveexec_b32 s3, vcc_lo
	s_xor_b32 s3, exec_lo, s3
; %bb.33:
	v_bfe_u32 v152, v151, 16, 1
	s_delay_alu instid0(VALU_DEP_1)
	v_add3_u32 v152, v151, v152, 0x7fff
                                        ; implicit-def: $vgpr151
; %bb.34:
	s_and_not1_saveexec_b32 s3, s3
; %bb.35:
	v_and_b32_e32 v152, 0xffff, v151
	v_or_b32_e32 v154, 0x10000, v151
	s_delay_alu instid0(VALU_DEP_2) | instskip(NEXT) | instid1(VALU_DEP_2)
	v_cmp_eq_u32_e32 vcc_lo, 0, v152
	v_cndmask_b32_e32 v152, v154, v151, vcc_lo
; %bb.36:
	s_or_b32 exec_lo, exec_lo, s3
	v_and_b32_e32 v151, 0x7f800000, v148
	s_delay_alu instid0(VALU_DEP_1) | instskip(SKIP_1) | instid1(SALU_CYCLE_1)
	v_cmp_ne_u32_e32 vcc_lo, 0x7f800000, v151
                                        ; implicit-def: $vgpr151
	s_and_saveexec_b32 s3, vcc_lo
	s_xor_b32 s3, exec_lo, s3
; %bb.37:
	v_bfe_u32 v151, v148, 16, 1
	s_delay_alu instid0(VALU_DEP_1)
	v_add3_u32 v151, v148, v151, 0x7fff
                                        ; implicit-def: $vgpr148
; %bb.38:
	s_and_not1_saveexec_b32 s3, s3
; %bb.39:
	v_and_b32_e32 v151, 0xffff, v148
	v_or_b32_e32 v154, 0x10000, v148
	s_delay_alu instid0(VALU_DEP_2) | instskip(NEXT) | instid1(VALU_DEP_2)
	v_cmp_eq_u32_e32 vcc_lo, 0, v151
	v_cndmask_b32_e32 v151, v154, v148, vcc_lo
; %bb.40:
	s_or_b32 exec_lo, exec_lo, s3
	v_and_b32_e32 v148, 0x7f800000, v144
	s_delay_alu instid0(VALU_DEP_1) | instskip(SKIP_1) | instid1(SALU_CYCLE_1)
	v_cmp_ne_u32_e32 vcc_lo, 0x7f800000, v148
                                        ; implicit-def: $vgpr148
	s_and_saveexec_b32 s3, vcc_lo
	s_xor_b32 s3, exec_lo, s3
; %bb.41:
	v_bfe_u32 v148, v144, 16, 1
	s_delay_alu instid0(VALU_DEP_1)
	v_add3_u32 v148, v144, v148, 0x7fff
                                        ; implicit-def: $vgpr144
; %bb.42:
	s_and_not1_saveexec_b32 s3, s3
; %bb.43:
	v_and_b32_e32 v148, 0xffff, v144
	v_or_b32_e32 v154, 0x10000, v144
	s_delay_alu instid0(VALU_DEP_2) | instskip(NEXT) | instid1(VALU_DEP_2)
	v_cmp_eq_u32_e32 vcc_lo, 0, v148
	v_cndmask_b32_e32 v148, v154, v144, vcc_lo
; %bb.44:
	s_or_b32 exec_lo, exec_lo, s3
	s_load_b64 s[34:35], s[0:1], 0x94
	v_lshlrev_b32_e32 v155, 4, v138
	s_delay_alu instid0(VALU_DEP_2)
	v_perm_b32 v154, v148, v151, 0x7060302
	v_mul_f32_e32 v148, v142, v131
	v_dual_mul_f32 v145, v142, v145 :: v_dual_lshlrev_b32 v144, 6, v140
	v_dual_mul_f32 v143, v142, v143 :: v_dual_lshlrev_b32 v156, 11, v141
	v_perm_b32 v153, v152, v153, 0x7060302
	v_perm_b32 v152, v150, v149, 0x7060302
	;; [unrolled: 1-line block ×3, first 2 shown]
	s_delay_alu instid0(VALU_DEP_4)
	v_or3_b32 v131, v155, v156, v144
	v_mul_f32_e32 v136, v142, v136
	v_dual_mul_f32 v146, v142, v134 :: v_dual_and_b32 v149, 0x7f800000, v148
	v_mul_f32_e32 v135, v142, v135
	v_mul_f32_e32 v147, v142, v133
	;; [unrolled: 1-line block ×3, first 2 shown]
	s_mov_b32 s3, exec_lo
	ds_store_b128 v131, v[151:154]
                                        ; implicit-def: $vgpr132
	v_cmpx_ne_u32_e32 0x7f800000, v149
	s_xor_b32 s3, exec_lo, s3
; %bb.45:
	v_bfe_u32 v132, v148, 16, 1
	s_delay_alu instid0(VALU_DEP_1)
	v_add3_u32 v132, v148, v132, 0x7fff
                                        ; implicit-def: $vgpr148
; %bb.46:
	s_and_not1_saveexec_b32 s3, s3
; %bb.47:
	v_and_b32_e32 v132, 0xffff, v148
	v_or_b32_e32 v133, 0x10000, v148
	s_delay_alu instid0(VALU_DEP_2) | instskip(NEXT) | instid1(VALU_DEP_2)
	v_cmp_eq_u32_e32 vcc_lo, 0, v132
	v_cndmask_b32_e32 v132, v133, v148, vcc_lo
; %bb.48:
	s_or_b32 exec_lo, exec_lo, s3
	v_and_b32_e32 v133, 0x7f800000, v134
	s_delay_alu instid0(VALU_DEP_1) | instskip(SKIP_1) | instid1(SALU_CYCLE_1)
	v_cmp_ne_u32_e32 vcc_lo, 0x7f800000, v133
                                        ; implicit-def: $vgpr133
	s_and_saveexec_b32 s3, vcc_lo
	s_xor_b32 s3, exec_lo, s3
; %bb.49:
	v_bfe_u32 v133, v134, 16, 1
	s_delay_alu instid0(VALU_DEP_1)
	v_add3_u32 v133, v134, v133, 0x7fff
                                        ; implicit-def: $vgpr134
; %bb.50:
	s_and_not1_saveexec_b32 s3, s3
; %bb.51:
	v_and_b32_e32 v133, 0xffff, v134
	v_or_b32_e32 v142, 0x10000, v134
	s_delay_alu instid0(VALU_DEP_2) | instskip(NEXT) | instid1(VALU_DEP_2)
	v_cmp_eq_u32_e32 vcc_lo, 0, v133
	v_cndmask_b32_e32 v133, v142, v134, vcc_lo
; %bb.52:
	s_or_b32 exec_lo, exec_lo, s3
	v_and_b32_e32 v134, 0x7f800000, v147
	s_delay_alu instid0(VALU_DEP_1) | instskip(SKIP_1) | instid1(SALU_CYCLE_1)
	v_cmp_ne_u32_e32 vcc_lo, 0x7f800000, v134
                                        ; implicit-def: $vgpr134
	s_and_saveexec_b32 s3, vcc_lo
	s_xor_b32 s3, exec_lo, s3
; %bb.53:
	v_bfe_u32 v134, v147, 16, 1
	s_delay_alu instid0(VALU_DEP_1)
	v_add3_u32 v134, v147, v134, 0x7fff
                                        ; implicit-def: $vgpr147
; %bb.54:
	s_and_not1_saveexec_b32 s3, s3
; %bb.55:
	v_and_b32_e32 v134, 0xffff, v147
	v_or_b32_e32 v142, 0x10000, v147
	s_delay_alu instid0(VALU_DEP_2) | instskip(NEXT) | instid1(VALU_DEP_2)
	v_cmp_eq_u32_e32 vcc_lo, 0, v134
	v_cndmask_b32_e32 v134, v142, v147, vcc_lo
; %bb.56:
	s_or_b32 exec_lo, exec_lo, s3
	v_and_b32_e32 v142, 0x7f800000, v146
	s_delay_alu instid0(VALU_DEP_1) | instskip(SKIP_1) | instid1(SALU_CYCLE_1)
	v_cmp_ne_u32_e32 vcc_lo, 0x7f800000, v142
                                        ; implicit-def: $vgpr142
	s_and_saveexec_b32 s3, vcc_lo
	s_xor_b32 s3, exec_lo, s3
; %bb.57:
	v_bfe_u32 v142, v146, 16, 1
	s_delay_alu instid0(VALU_DEP_1)
	v_add3_u32 v142, v146, v142, 0x7fff
                                        ; implicit-def: $vgpr146
; %bb.58:
	s_and_not1_saveexec_b32 s3, s3
; %bb.59:
	v_and_b32_e32 v142, 0xffff, v146
	v_or_b32_e32 v147, 0x10000, v146
	s_delay_alu instid0(VALU_DEP_2) | instskip(NEXT) | instid1(VALU_DEP_2)
	v_cmp_eq_u32_e32 vcc_lo, 0, v142
	v_cndmask_b32_e32 v142, v147, v146, vcc_lo
; %bb.60:
	s_or_b32 exec_lo, exec_lo, s3
	v_and_b32_e32 v146, 0x7f800000, v135
	s_delay_alu instid0(VALU_DEP_1) | instskip(SKIP_1) | instid1(SALU_CYCLE_1)
	v_cmp_ne_u32_e32 vcc_lo, 0x7f800000, v146
                                        ; implicit-def: $vgpr146
	s_and_saveexec_b32 s3, vcc_lo
	s_xor_b32 s3, exec_lo, s3
; %bb.61:
	v_bfe_u32 v146, v135, 16, 1
	s_delay_alu instid0(VALU_DEP_1)
	v_add3_u32 v146, v135, v146, 0x7fff
                                        ; implicit-def: $vgpr135
; %bb.62:
	s_and_not1_saveexec_b32 s3, s3
; %bb.63:
	v_and_b32_e32 v146, 0xffff, v135
	v_or_b32_e32 v147, 0x10000, v135
	s_delay_alu instid0(VALU_DEP_2) | instskip(NEXT) | instid1(VALU_DEP_2)
	v_cmp_eq_u32_e32 vcc_lo, 0, v146
	v_cndmask_b32_e32 v146, v147, v135, vcc_lo
; %bb.64:
	s_or_b32 exec_lo, exec_lo, s3
	v_and_b32_e32 v135, 0x7f800000, v136
	s_delay_alu instid0(VALU_DEP_1) | instskip(SKIP_1) | instid1(SALU_CYCLE_1)
	v_cmp_ne_u32_e32 vcc_lo, 0x7f800000, v135
                                        ; implicit-def: $vgpr135
	s_and_saveexec_b32 s3, vcc_lo
	s_xor_b32 s3, exec_lo, s3
; %bb.65:
	v_bfe_u32 v135, v136, 16, 1
	s_delay_alu instid0(VALU_DEP_1)
	v_add3_u32 v135, v136, v135, 0x7fff
                                        ; implicit-def: $vgpr136
; %bb.66:
	s_and_not1_saveexec_b32 s3, s3
; %bb.67:
	v_and_b32_e32 v135, 0xffff, v136
	v_or_b32_e32 v147, 0x10000, v136
	s_delay_alu instid0(VALU_DEP_2) | instskip(NEXT) | instid1(VALU_DEP_2)
	v_cmp_eq_u32_e32 vcc_lo, 0, v135
	v_cndmask_b32_e32 v135, v147, v136, vcc_lo
; %bb.68:
	s_or_b32 exec_lo, exec_lo, s3
	v_and_b32_e32 v136, 0x7f800000, v143
	s_delay_alu instid0(VALU_DEP_1) | instskip(SKIP_1) | instid1(SALU_CYCLE_1)
	v_cmp_ne_u32_e32 vcc_lo, 0x7f800000, v136
                                        ; implicit-def: $vgpr136
	s_and_saveexec_b32 s3, vcc_lo
	s_xor_b32 s3, exec_lo, s3
; %bb.69:
	v_bfe_u32 v136, v143, 16, 1
	s_delay_alu instid0(VALU_DEP_1)
	v_add3_u32 v136, v143, v136, 0x7fff
                                        ; implicit-def: $vgpr143
; %bb.70:
	s_and_not1_saveexec_b32 s3, s3
; %bb.71:
	v_and_b32_e32 v136, 0xffff, v143
	v_or_b32_e32 v147, 0x10000, v143
	s_delay_alu instid0(VALU_DEP_2) | instskip(NEXT) | instid1(VALU_DEP_2)
	v_cmp_eq_u32_e32 vcc_lo, 0, v136
	v_cndmask_b32_e32 v136, v147, v143, vcc_lo
; %bb.72:
	s_or_b32 exec_lo, exec_lo, s3
	v_and_b32_e32 v143, 0x7f800000, v145
	s_delay_alu instid0(VALU_DEP_1) | instskip(SKIP_1) | instid1(SALU_CYCLE_1)
	v_cmp_ne_u32_e32 vcc_lo, 0x7f800000, v143
                                        ; implicit-def: $vgpr143
	s_and_saveexec_b32 s3, vcc_lo
	s_xor_b32 s3, exec_lo, s3
; %bb.73:
	v_bfe_u32 v143, v145, 16, 1
	s_delay_alu instid0(VALU_DEP_1)
	v_add3_u32 v143, v145, v143, 0x7fff
                                        ; implicit-def: $vgpr145
; %bb.74:
	s_and_not1_saveexec_b32 s3, s3
; %bb.75:
	v_and_b32_e32 v143, 0xffff, v145
	v_or_b32_e32 v147, 0x10000, v145
	s_delay_alu instid0(VALU_DEP_2) | instskip(NEXT) | instid1(VALU_DEP_2)
	v_cmp_eq_u32_e32 vcc_lo, 0, v143
	v_cndmask_b32_e32 v143, v147, v145, vcc_lo
; %bb.76:
	s_or_b32 exec_lo, exec_lo, s3
	s_delay_alu instid0(VALU_DEP_1)
	v_perm_b32 v136, v143, v136, 0x7060302
	v_perm_b32 v135, v135, v146, 0x7060302
	v_perm_b32 v134, v142, v134, 0x7060302
	v_perm_b32 v133, v133, v132, 0x7060302
	v_lshl_or_b32 v145, v141, 11, v144
	v_lshlrev_b32_e32 v142, 2, v138
	ds_store_b128 v131, v[133:136] offset:1024
	s_waitcnt lgkmcnt(0)
	s_barrier
	buffer_gl0_inv
	ds_load_b128 v[132:135], v145
	ds_load_b128 v[147:150], v145 offset:16
	v_or_b32_e32 v143, 1, v142
	v_cmp_eq_u32_e64 s12, 1, v142
	v_cmp_eq_u32_e64 s11, 2, v142
	;; [unrolled: 1-line block ×3, first 2 shown]
	v_or_b32_e32 v141, 2, v142
	v_cmp_eq_u32_e64 s7, 1, v143
	v_cmp_eq_u32_e64 s6, 2, v143
	v_cmp_eq_u32_e64 s17, 4, v142
	v_cmp_eq_u32_e64 s5, 3, v143
	v_cmp_eq_u32_e64 s13, 5, v142
	v_cmp_eq_u32_e64 s8, 1, v141
	v_cmp_eq_u32_e64 s3, 4, v143
	v_cmp_eq_u32_e64 s15, 6, v142
	v_cmp_eq_u32_e32 vcc_lo, 5, v143
	v_cmp_eq_u32_e64 s10, 2, v141
	v_cmp_eq_u32_e64 s4, 6, v143
	;; [unrolled: 1-line block ×4, first 2 shown]
	s_waitcnt lgkmcnt(1)
	v_lshrrev_b32_e32 v136, 16, v132
	s_waitcnt lgkmcnt(0)
	v_lshrrev_b32_e32 v155, 16, v147
	v_lshrrev_b32_e32 v161, 16, v148
	;; [unrolled: 1-line block ×4, first 2 shown]
	v_cndmask_b32_e64 v146, v132, v136, s12
	v_cndmask_b32_e64 v151, v147, v155, s12
	;; [unrolled: 1-line block ×4, first 2 shown]
	v_lshrrev_b32_e32 v160, 16, v134
	v_cndmask_b32_e64 v146, v146, v133, s11
	v_cndmask_b32_e64 v151, v151, v148, s11
	;; [unrolled: 1-line block ×8, first 2 shown]
	v_lshrrev_b32_e32 v164, 16, v150
	v_cndmask_b32_e64 v153, v153, v161, s5
	v_cndmask_b32_e64 v146, v146, v134, s17
	;; [unrolled: 1-line block ×5, first 2 shown]
	v_lshrrev_b32_e32 v162, 16, v135
	v_cndmask_b32_e64 v146, v146, v160, s13
	v_cndmask_b32_e64 v151, v151, v163, s13
	v_cndmask_b32_e32 v152, v152, v160, vcc_lo
	v_cndmask_b32_e64 v153, v153, v149, s3
	v_cmp_eq_u32_e64 s19, 7, v143
	v_cndmask_b32_e64 v146, v146, v135, s15
	v_cndmask_b32_e64 v151, v151, v150, s15
	;; [unrolled: 1-line block ×4, first 2 shown]
	v_cmp_eq_u32_e64 s20, 4, v141
	v_cndmask_b32_e64 v165, v146, v162, s9
	v_cndmask_b32_e64 v166, v151, v164, s9
	;; [unrolled: 1-line block ×3, first 2 shown]
	v_or_b32_e32 v146, 3, v142
	v_cndmask_b32_e64 v167, v152, v162, s19
	v_cndmask_b32_e32 v156, v153, v163, vcc_lo
	v_cndmask_b32_e64 v158, v154, v134, s20
	v_cndmask_b32_e64 v157, v151, v148, s10
	ds_load_b128 v[151:154], v145 offset:1024
	v_cmp_eq_u32_e64 s21, 1, v146
	v_cmp_eq_u32_e64 s22, 5, v141
	;; [unrolled: 1-line block ×3, first 2 shown]
	v_cndmask_b32_e64 v157, v157, v161, s18
	v_cmp_eq_u32_e64 s24, 3, v146
	v_cndmask_b32_e64 v132, v132, v136, s21
	v_cndmask_b32_e64 v136, v156, v150, s4
	;; [unrolled: 1-line block ×5, first 2 shown]
	ds_load_b128 v[155:158], v145 offset:1040
	v_cndmask_b32_e64 v132, v132, v133, s23
	v_cmp_eq_u32_e64 s26, 4, v146
	v_cmp_eq_u32_e64 s28, 5, v146
	v_cndmask_b32_e64 v147, v147, v148, s23
	v_cmp_eq_u32_e64 s25, 6, v141
	v_cndmask_b32_e64 v132, v132, v159, s24
	;; [unrolled: 2-line block ×3, first 2 shown]
	v_cndmask_b32_e64 v147, v147, v161, s24
	s_waitcnt lgkmcnt(1)
	v_lshrrev_b32_e32 v159, 16, v151
	v_cndmask_b32_e64 v132, v132, v134, s26
	v_cndmask_b32_e64 v148, v168, v135, s25
	;; [unrolled: 1-line block ×6, first 2 shown]
	v_lshrrev_b32_e32 v160, 16, v152
	v_cndmask_b32_e64 v161, v151, v159, s7
	v_cndmask_b32_e64 v134, v134, v163, s28
	s_waitcnt lgkmcnt(0)
	v_lshrrev_b32_e32 v149, 16, v155
	v_cndmask_b32_e64 v147, v147, v152, s11
	v_cndmask_b32_e64 v132, v132, v135, s29
	v_cmp_eq_u32_e64 s27, 7, v141
	v_cndmask_b32_e64 v134, v134, v150, s29
	v_cndmask_b32_e64 v163, v155, v149, s12
	;; [unrolled: 1-line block ×4, first 2 shown]
	v_lshrrev_b32_e32 v161, 16, v156
	v_cndmask_b32_e64 v136, v136, v164, s19
	v_cndmask_b32_e64 v150, v163, v156, s11
	v_cmp_eq_u32_e64 s11, 7, v146
	v_cndmask_b32_e64 v147, v147, v160, s5
	v_cndmask_b32_e64 v135, v135, v153, s17
	v_lshrrev_b32_e32 v163, 16, v153
	v_cndmask_b32_e64 v150, v150, v161, s16
	v_cndmask_b32_e64 v132, v132, v162, s11
	;; [unrolled: 1-line block ×8, first 2 shown]
	v_lshrrev_b32_e32 v164, 16, v157
	v_perm_b32 v135, v134, v132, 0x5040100
	v_cndmask_b32_e32 v132, v147, v163, vcc_lo
	v_cndmask_b32_e64 v147, v162, v154, s15
	v_lshrrev_b32_e32 v162, 16, v154
	v_cndmask_b32_e64 v150, v150, v164, s13
	v_perm_b32 v134, v133, v148, 0x5040100
	v_cndmask_b32_e64 v132, v132, v154, s4
	v_perm_b32 v133, v136, v167, 0x5040100
	v_cndmask_b32_e64 v136, v147, v162, s9
	v_cndmask_b32_e64 v147, v150, v158, s15
	;; [unrolled: 1-line block ×27, first 2 shown]
	v_cndmask_b32_e32 v149, v149, v164, vcc_lo
	v_lshrrev_b32_e32 v148, 16, v158
	v_cndmask_b32_e64 v132, v132, v154, s25
	v_cndmask_b32_e64 v150, v150, v154, s29
	;; [unrolled: 1-line block ×11, first 2 shown]
	v_perm_b32 v132, v166, v165, 0x5040100
	v_perm_b32 v150, v151, v150, 0x5040100
	;; [unrolled: 1-line block ×5, first 2 shown]
	s_mul_i32 s8, s35, 9
	s_mov_b32 s3, exec_lo
	ds_store_b128 v131, v[132:135]
	ds_store_b128 v131, v[147:150] offset:1024
	v_cmpx_gt_u32_e32 9, v0
	s_cbranch_execz .LBB586_78
; %bb.77:
	s_mul_i32 s4, s8, s30
	s_delay_alu instid0(SALU_CYCLE_1) | instskip(SKIP_1) | instid1(VALU_DEP_1)
	v_add3_u32 v133, s4, s31, v140
	s_load_b128 s[4:7], s[0:1], 0x58
	v_mad_u64_u32 v[131:132], null, v133, s34, s[14:15]
	s_delay_alu instid0(VALU_DEP_1) | instskip(NEXT) | instid1(VALU_DEP_1)
	v_ashrrev_i32_e32 v132, 31, v131
	v_lshlrev_b64 v[131:132], 2, v[131:132]
	s_waitcnt lgkmcnt(0)
	s_delay_alu instid0(VALU_DEP_1) | instskip(NEXT) | instid1(VALU_DEP_2)
	v_add_co_u32 v133, vcc_lo, s6, v131
	v_add_co_ci_u32_e32 v134, vcc_lo, s7, v132, vcc_lo
	v_add_co_u32 v131, vcc_lo, s4, v131
	v_add_co_ci_u32_e32 v132, vcc_lo, s5, v132, vcc_lo
	global_store_b32 v[133:134], v129, off
	global_store_b32 v[131:132], v130, off
.LBB586_78:
	s_or_b32 exec_lo, exec_lo, s3
	s_waitcnt lgkmcnt(0)
	s_waitcnt_vscnt null, 0x0
	s_barrier
	buffer_gl0_inv
	ds_load_b128 v[147:150], v144
	ds_load_b128 v[151:154], v144 offset:16
	ds_load_b128 v[159:162], v144 offset:1040
	;; [unrolled: 1-line block ×3, first 2 shown]
	v_mov_b32_e32 v129, 0
	ds_load_b128 v[167:170], v144 offset:2064
	ds_load_b128 v[163:166], v144 offset:2048
	;; [unrolled: 1-line block ×6, first 2 shown]
	v_mov_b32_e32 v130, v129
	v_mov_b32_e32 v131, v129
	;; [unrolled: 1-line block ×7, first 2 shown]
	s_waitcnt lgkmcnt(8)
	s_delay_alu instid0(VALU_DEP_1)
	v_wmma_f32_16x16x16_bf16 v[129:136], v[121:128], v[147:154], v[129:136]
	ds_load_b128 v[125:128], v144 offset:5136
	ds_load_b128 v[121:124], v144 offset:5120
	s_waitcnt lgkmcnt(8)
	v_wmma_f32_16x16x16_bf16 v[129:136], v[113:120], v[155:162], v[129:136]
	ds_load_b128 v[117:120], v144 offset:6160
	ds_load_b128 v[113:116], v144 offset:6144
	s_waitcnt lgkmcnt(8)
	;; [unrolled: 4-line block ×8, first 2 shown]
	v_wmma_f32_16x16x16_bf16 v[129:136], v[65:72], v[97:104], v[129:136]
	s_waitcnt lgkmcnt(6)
	s_delay_alu instid0(VALU_DEP_1)
	v_wmma_f32_16x16x16_bf16 v[129:136], v[49:56], v[89:96], v[129:136]
	ds_load_b128 v[53:56], v144 offset:13328
	ds_load_b128 v[49:52], v144 offset:13312
	s_waitcnt lgkmcnt(6)
	v_wmma_f32_16x16x16_bf16 v[129:136], v[41:48], v[81:88], v[129:136]
	ds_load_b128 v[45:48], v144 offset:14352
	ds_load_b128 v[41:44], v144 offset:14336
	s_waitcnt lgkmcnt(6)
	;; [unrolled: 4-line block ×3, first 2 shown]
	v_wmma_f32_16x16x16_bf16 v[129:136], v[1:8], v[57:64], v[129:136]
	s_waitcnt lgkmcnt(4)
	s_delay_alu instid0(VALU_DEP_1) | instskip(SKIP_1) | instid1(VALU_DEP_1)
	v_wmma_f32_16x16x16_bf16 v[129:136], v[25:32], v[49:56], v[129:136]
	s_waitcnt lgkmcnt(2)
	v_wmma_f32_16x16x16_bf16 v[129:136], v[33:40], v[41:48], v[129:136]
	s_waitcnt lgkmcnt(0)
	s_delay_alu instid0(VALU_DEP_1) | instskip(NEXT) | instid1(VALU_DEP_1)
	v_wmma_f32_16x16x16_bf16 v[129:136], v[9:16], v[17:24], v[129:136]
	v_and_b32_e32 v1, 0x7f800000, v129
	s_delay_alu instid0(VALU_DEP_1) | instskip(SKIP_1) | instid1(SALU_CYCLE_1)
	v_cmp_ne_u32_e32 vcc_lo, 0x7f800000, v1
                                        ; implicit-def: $vgpr1
	s_and_saveexec_b32 s3, vcc_lo
	s_xor_b32 s3, exec_lo, s3
; %bb.79:
	v_bfe_u32 v1, v129, 16, 1
	s_delay_alu instid0(VALU_DEP_1)
	v_add3_u32 v1, v129, v1, 0x7fff
; %bb.80:
	s_and_not1_saveexec_b32 s3, s3
; %bb.81:
	v_and_b32_e32 v1, 0xffff, v129
	v_or_b32_e32 v2, 0x10000, v129
	s_delay_alu instid0(VALU_DEP_2) | instskip(NEXT) | instid1(VALU_DEP_2)
	v_cmp_eq_u32_e32 vcc_lo, 0, v1
	v_cndmask_b32_e32 v1, v2, v129, vcc_lo
; %bb.82:
	s_or_b32 exec_lo, exec_lo, s3
	v_and_b32_e32 v2, 0x7f800000, v130
	s_delay_alu instid0(VALU_DEP_1) | instskip(SKIP_1) | instid1(SALU_CYCLE_1)
	v_cmp_ne_u32_e32 vcc_lo, 0x7f800000, v2
                                        ; implicit-def: $vgpr2
	s_and_saveexec_b32 s3, vcc_lo
	s_xor_b32 s3, exec_lo, s3
; %bb.83:
	v_bfe_u32 v2, v130, 16, 1
	s_delay_alu instid0(VALU_DEP_1)
	v_add3_u32 v2, v130, v2, 0x7fff
; %bb.84:
	s_and_not1_saveexec_b32 s3, s3
; %bb.85:
	v_and_b32_e32 v2, 0xffff, v130
	v_or_b32_e32 v3, 0x10000, v130
	s_delay_alu instid0(VALU_DEP_2) | instskip(NEXT) | instid1(VALU_DEP_2)
	v_cmp_eq_u32_e32 vcc_lo, 0, v2
	v_cndmask_b32_e32 v2, v3, v130, vcc_lo
; %bb.86:
	s_or_b32 exec_lo, exec_lo, s3
	v_and_b32_e32 v3, 0x7f800000, v131
	s_delay_alu instid0(VALU_DEP_1) | instskip(SKIP_1) | instid1(SALU_CYCLE_1)
	v_cmp_ne_u32_e32 vcc_lo, 0x7f800000, v3
                                        ; implicit-def: $vgpr3
	s_and_saveexec_b32 s3, vcc_lo
	s_xor_b32 s3, exec_lo, s3
; %bb.87:
	v_bfe_u32 v3, v131, 16, 1
	s_delay_alu instid0(VALU_DEP_1)
	v_add3_u32 v3, v131, v3, 0x7fff
; %bb.88:
	s_and_not1_saveexec_b32 s3, s3
; %bb.89:
	v_and_b32_e32 v3, 0xffff, v131
	v_or_b32_e32 v4, 0x10000, v131
	s_delay_alu instid0(VALU_DEP_2) | instskip(NEXT) | instid1(VALU_DEP_2)
	v_cmp_eq_u32_e32 vcc_lo, 0, v3
	v_cndmask_b32_e32 v3, v4, v131, vcc_lo
; %bb.90:
	s_or_b32 exec_lo, exec_lo, s3
	v_and_b32_e32 v4, 0x7f800000, v132
	s_delay_alu instid0(VALU_DEP_1) | instskip(SKIP_1) | instid1(SALU_CYCLE_1)
	v_cmp_ne_u32_e32 vcc_lo, 0x7f800000, v4
                                        ; implicit-def: $vgpr4
	s_and_saveexec_b32 s3, vcc_lo
	s_xor_b32 s3, exec_lo, s3
; %bb.91:
	v_bfe_u32 v4, v132, 16, 1
	s_delay_alu instid0(VALU_DEP_1)
	v_add3_u32 v4, v132, v4, 0x7fff
; %bb.92:
	s_and_not1_saveexec_b32 s3, s3
; %bb.93:
	v_and_b32_e32 v4, 0xffff, v132
	v_or_b32_e32 v5, 0x10000, v132
	s_delay_alu instid0(VALU_DEP_2) | instskip(NEXT) | instid1(VALU_DEP_2)
	v_cmp_eq_u32_e32 vcc_lo, 0, v4
	v_cndmask_b32_e32 v4, v5, v132, vcc_lo
; %bb.94:
	s_or_b32 exec_lo, exec_lo, s3
	v_and_b32_e32 v5, 0x7f800000, v133
	s_delay_alu instid0(VALU_DEP_1) | instskip(SKIP_1) | instid1(SALU_CYCLE_1)
	v_cmp_ne_u32_e32 vcc_lo, 0x7f800000, v5
                                        ; implicit-def: $vgpr5
	s_and_saveexec_b32 s3, vcc_lo
	s_xor_b32 s3, exec_lo, s3
; %bb.95:
	v_bfe_u32 v5, v133, 16, 1
	s_delay_alu instid0(VALU_DEP_1)
	v_add3_u32 v5, v133, v5, 0x7fff
; %bb.96:
	s_and_not1_saveexec_b32 s3, s3
; %bb.97:
	v_and_b32_e32 v5, 0xffff, v133
	v_or_b32_e32 v6, 0x10000, v133
	s_delay_alu instid0(VALU_DEP_2) | instskip(NEXT) | instid1(VALU_DEP_2)
	v_cmp_eq_u32_e32 vcc_lo, 0, v5
	v_cndmask_b32_e32 v5, v6, v133, vcc_lo
; %bb.98:
	s_or_b32 exec_lo, exec_lo, s3
	v_and_b32_e32 v6, 0x7f800000, v134
	s_delay_alu instid0(VALU_DEP_1) | instskip(SKIP_1) | instid1(SALU_CYCLE_1)
	v_cmp_ne_u32_e32 vcc_lo, 0x7f800000, v6
                                        ; implicit-def: $vgpr6
	s_and_saveexec_b32 s3, vcc_lo
	s_xor_b32 s3, exec_lo, s3
; %bb.99:
	v_bfe_u32 v6, v134, 16, 1
	s_delay_alu instid0(VALU_DEP_1)
	v_add3_u32 v6, v134, v6, 0x7fff
; %bb.100:
	s_and_not1_saveexec_b32 s3, s3
; %bb.101:
	v_and_b32_e32 v6, 0xffff, v134
	v_or_b32_e32 v7, 0x10000, v134
	s_delay_alu instid0(VALU_DEP_2) | instskip(NEXT) | instid1(VALU_DEP_2)
	v_cmp_eq_u32_e32 vcc_lo, 0, v6
	v_cndmask_b32_e32 v6, v7, v134, vcc_lo
; %bb.102:
	s_or_b32 exec_lo, exec_lo, s3
	v_and_b32_e32 v7, 0x7f800000, v135
	s_delay_alu instid0(VALU_DEP_1) | instskip(SKIP_1) | instid1(SALU_CYCLE_1)
	v_cmp_ne_u32_e32 vcc_lo, 0x7f800000, v7
                                        ; implicit-def: $vgpr7
	s_and_saveexec_b32 s3, vcc_lo
	s_xor_b32 s3, exec_lo, s3
; %bb.103:
	v_bfe_u32 v7, v135, 16, 1
	s_delay_alu instid0(VALU_DEP_1)
	v_add3_u32 v7, v135, v7, 0x7fff
; %bb.104:
	s_and_not1_saveexec_b32 s3, s3
; %bb.105:
	v_and_b32_e32 v7, 0xffff, v135
	v_or_b32_e32 v8, 0x10000, v135
	s_delay_alu instid0(VALU_DEP_2) | instskip(NEXT) | instid1(VALU_DEP_2)
	v_cmp_eq_u32_e32 vcc_lo, 0, v7
	v_cndmask_b32_e32 v7, v8, v135, vcc_lo
; %bb.106:
	s_or_b32 exec_lo, exec_lo, s3
	v_and_b32_e32 v8, 0x7f800000, v136
	s_delay_alu instid0(VALU_DEP_1) | instskip(SKIP_1) | instid1(SALU_CYCLE_1)
	v_cmp_ne_u32_e32 vcc_lo, 0x7f800000, v8
                                        ; implicit-def: $vgpr8
	s_and_saveexec_b32 s3, vcc_lo
	s_xor_b32 s3, exec_lo, s3
; %bb.107:
	v_bfe_u32 v8, v136, 16, 1
	s_delay_alu instid0(VALU_DEP_1)
	v_add3_u32 v8, v136, v8, 0x7fff
                                        ; implicit-def: $vgpr129_vgpr130_vgpr131_vgpr132_vgpr133_vgpr134_vgpr135_vgpr136
; %bb.108:
	s_and_not1_saveexec_b32 s3, s3
; %bb.109:
	v_and_b32_e32 v8, 0xffff, v136
	v_or_b32_e32 v9, 0x10000, v136
	s_delay_alu instid0(VALU_DEP_2) | instskip(NEXT) | instid1(VALU_DEP_2)
	v_cmp_eq_u32_e32 vcc_lo, 0, v8
	v_cndmask_b32_e32 v8, v9, v136, vcc_lo
; %bb.110:
	s_or_b32 exec_lo, exec_lo, s3
	s_delay_alu instid0(VALU_DEP_1)
	v_perm_b32 v7, v8, v7, 0x7060302
	v_perm_b32 v6, v6, v5, 0x7060302
	;; [unrolled: 1-line block ×4, first 2 shown]
	v_lshl_or_b32 v9, v138, 4, v145
	s_barrier
	buffer_gl0_inv
	v_cmp_eq_u32_e32 vcc_lo, 1, v142
	ds_store_b128 v9, v[4:7]
	s_waitcnt lgkmcnt(0)
	s_barrier
	buffer_gl0_inv
	ds_load_b128 v[1:4], v145
	ds_load_b128 v[5:8], v145 offset:16
	v_cmp_eq_u32_e64 s4, 2, v142
	v_cmp_eq_u32_e64 s3, 1, v143
	;; [unrolled: 1-line block ×5, first 2 shown]
	s_waitcnt lgkmcnt(1)
	v_lshrrev_b32_e32 v10, 16, v1
	s_waitcnt lgkmcnt(0)
	v_lshrrev_b32_e32 v14, 16, v5
	v_lshrrev_b32_e32 v15, 16, v6
	v_lshrrev_b32_e32 v11, 16, v2
	v_lshrrev_b32_e32 v12, 16, v3
	v_cndmask_b32_e64 v20, v1, v10, s3
	v_cndmask_b32_e32 v19, v5, v14, vcc_lo
	v_cndmask_b32_e64 v21, v5, v14, s3
	v_lshrrev_b32_e32 v16, 16, v7
	v_cmp_eq_u32_e64 s3, 1, v141
	v_lshrrev_b32_e32 v13, 16, v4
	v_cndmask_b32_e64 v19, v19, v6, s4
	v_lshrrev_b32_e32 v17, 16, v8
	s_delay_alu instid0(VALU_DEP_4) | instskip(SKIP_1) | instid1(VALU_DEP_4)
	v_cndmask_b32_e64 v22, v1, v10, s3
	v_cndmask_b32_e64 v23, v5, v14, s3
	;; [unrolled: 1-line block ×3, first 2 shown]
	v_cndmask_b32_e32 v18, v1, v10, vcc_lo
	v_cmp_eq_u32_e32 vcc_lo, 2, v143
	v_cmp_eq_u32_e64 s3, 2, v146
	v_cndmask_b32_e64 v22, v22, v2, s7
	v_cndmask_b32_e32 v20, v20, v2, vcc_lo
	v_cndmask_b32_e32 v21, v21, v6, vcc_lo
	v_cmp_eq_u32_e32 vcc_lo, 4, v142
	v_cndmask_b32_e32 v19, v19, v7, vcc_lo
	v_cndmask_b32_e64 v18, v18, v2, s4
	v_cmp_eq_u32_e64 s4, 3, v143
	s_delay_alu instid0(VALU_DEP_2) | instskip(NEXT) | instid1(VALU_DEP_2)
	v_cndmask_b32_e64 v18, v18, v11, s5
	v_cndmask_b32_e64 v21, v21, v15, s4
	v_cmp_eq_u32_e64 s5, 5, v142
	s_delay_alu instid0(VALU_DEP_3) | instskip(SKIP_1) | instid1(VALU_DEP_3)
	v_cndmask_b32_e32 v18, v18, v3, vcc_lo
	v_cmp_eq_u32_e32 vcc_lo, 4, v143
	v_cndmask_b32_e64 v19, v19, v16, s5
	s_delay_alu instid0(VALU_DEP_3) | instskip(SKIP_4) | instid1(VALU_DEP_3)
	v_cndmask_b32_e64 v18, v18, v12, s5
	v_cndmask_b32_e32 v21, v21, v7, vcc_lo
	v_cndmask_b32_e64 v20, v20, v11, s4
	v_cmp_eq_u32_e64 s4, 5, v143
	v_cmp_eq_u32_e64 s5, 6, v142
	v_cndmask_b32_e32 v20, v20, v3, vcc_lo
	s_delay_alu instid0(VALU_DEP_3) | instskip(SKIP_1) | instid1(VALU_DEP_4)
	v_cndmask_b32_e64 v21, v21, v16, s4
	v_cmp_eq_u32_e32 vcc_lo, 6, v143
	v_cndmask_b32_e64 v18, v18, v4, s5
	v_cndmask_b32_e64 v19, v19, v8, s5
	;; [unrolled: 1-line block ×3, first 2 shown]
	v_cmp_eq_u32_e64 s4, 1, v146
	v_cmp_eq_u32_e64 s5, 7, v142
	s_delay_alu instid0(VALU_DEP_3) | instskip(NEXT) | instid1(VALU_DEP_3)
	v_cndmask_b32_e32 v20, v20, v4, vcc_lo
	v_cndmask_b32_e64 v1, v1, v10, s4
	v_cndmask_b32_e64 v5, v5, v14, s4
	v_cmp_eq_u32_e64 s4, 3, v141
	v_cndmask_b32_e64 v14, v23, v6, s7
	v_cmp_eq_u32_e64 s7, 3, v146
	v_cndmask_b32_e64 v1, v1, v2, s3
	v_cndmask_b32_e64 v2, v5, v6, s3
	;; [unrolled: 1-line block ×3, first 2 shown]
	v_cmp_eq_u32_e64 s3, 4, v141
	v_cndmask_b32_e64 v6, v14, v15, s4
	v_cndmask_b32_e64 v1, v1, v11, s7
	v_cmp_eq_u32_e64 s4, 4, v146
	v_cndmask_b32_e64 v2, v2, v15, s7
	v_cndmask_b32_e64 v5, v10, v3, s3
	;; [unrolled: 3-line block ×3, first 2 shown]
	v_cndmask_b32_e64 v2, v2, v7, s4
	v_cmp_eq_u32_e64 s3, 5, v146
	v_cndmask_b32_e64 v5, v5, v12, s7
	v_cmp_eq_u32_e64 s4, 6, v141
	;; [unrolled: 2-line block ×3, first 2 shown]
	v_cndmask_b32_e64 v1, v1, v12, s3
	v_cndmask_b32_e64 v2, v2, v16, s3
	v_cndmask_b32_e64 v5, v5, v4, s4
	v_cndmask_b32_e64 v3, v3, v8, s4
	v_cmp_eq_u32_e64 s3, 7, v146
	v_cndmask_b32_e64 v1, v1, v4, s7
	v_cndmask_b32_e64 v2, v2, v8, s7
	v_cmp_eq_u32_e64 s4, 7, v141
	v_cndmask_b32_e32 v4, v21, v8, vcc_lo
	v_cndmask_b32_e64 v18, v18, v13, s5
	v_cndmask_b32_e64 v20, v20, v13, s6
	;; [unrolled: 1-line block ×8, first 2 shown]
	s_mov_b32 s3, exec_lo
	v_perm_b32 v4, v2, v1, 0x5040100
	v_perm_b32 v3, v3, v5, 0x5040100
	v_perm_b32 v2, v6, v20, 0x5040100
	v_perm_b32 v1, v7, v18, 0x5040100
	ds_store_b128 v9, v[1:4]
	s_waitcnt lgkmcnt(0)
	s_barrier
	buffer_gl0_inv
	v_cmpx_gt_u32_e32 32, v0
	s_cbranch_execz .LBB586_2
; %bb.111:
	s_load_b64 s[4:5], s[0:1], 0x68
	v_lshlrev_b32_e32 v0, 10, v0
	v_lshlrev_b32_e32 v1, 4, v139
	s_lshl_b32 s0, s34, 7
	v_add_nc_u32_e32 v2, s31, v138
	s_mul_i32 s1, s0, s30
	s_delay_alu instid0(SALU_CYCLE_1) | instskip(SKIP_1) | instid1(VALU_DEP_2)
	s_mul_i32 s6, s1, s8
	v_and_or_b32 v0, 0x3800, v0, v1
	v_mul_lo_u32 v1, v2, s0
	s_ashr_i32 s7, s6, 31
	v_add_nc_u32_e32 v3, 2, v2
	s_lshl_b64 s[6:7], s[6:7], 1
	v_add_nc_u32_e32 v4, 4, v2
	v_add_nc_u32_e32 v5, 6, v2
	v_lshl_or_b32 v15, v138, 6, v0
	v_mul_lo_u32 v3, v3, s0
	v_ashrrev_i32_e32 v2, 31, v1
	v_mul_lo_u32 v19, v4, s0
	v_mul_lo_u32 v21, v5, s0
	s_waitcnt lgkmcnt(0)
	s_add_u32 s1, s4, s6
	s_addc_u32 s3, s5, s7
	s_lshl_b32 s4, s14, 7
	v_lshlrev_b64 v[5:6], 1, v[1:2]
	s_ashr_i32 s5, s4, 31
	v_ashrrev_i32_e32 v4, 31, v3
	s_lshl_b64 s[4:5], s[4:5], 1
	v_ashrrev_i32_e32 v20, 31, v19
	s_add_u32 s1, s1, s4
	s_addc_u32 s3, s3, s5
	v_add_co_u32 v1, s1, s1, v137
	s_delay_alu instid0(VALU_DEP_1) | instskip(SKIP_1) | instid1(VALU_DEP_3)
	v_add_co_ci_u32_e64 v2, null, s3, 0, s1
	v_lshlrev_b64 v[25:26], 1, v[3:4]
	v_add_co_u32 v23, vcc_lo, v1, v5
	s_delay_alu instid0(VALU_DEP_3)
	v_add_co_ci_u32_e32 v24, vcc_lo, v2, v6, vcc_lo
	ds_load_b128 v[3:6], v15
	ds_load_b128 v[7:10], v15 offset:128
	ds_load_b128 v[11:14], v15 offset:256
	;; [unrolled: 1-line block ×3, first 2 shown]
	v_ashrrev_i32_e32 v22, 31, v21
	v_lshlrev_b64 v[19:20], 1, v[19:20]
	v_add_co_u32 v25, vcc_lo, v1, v25
	v_add_co_ci_u32_e32 v26, vcc_lo, v2, v26, vcc_lo
	s_delay_alu instid0(VALU_DEP_4) | instskip(NEXT) | instid1(VALU_DEP_4)
	v_lshlrev_b64 v[21:22], 1, v[21:22]
	v_add_co_u32 v19, vcc_lo, v1, v19
	v_add_co_ci_u32_e32 v20, vcc_lo, v2, v20, vcc_lo
	s_delay_alu instid0(VALU_DEP_3) | instskip(NEXT) | instid1(VALU_DEP_4)
	v_add_co_u32 v21, vcc_lo, v1, v21
	v_add_co_ci_u32_e32 v22, vcc_lo, v2, v22, vcc_lo
	s_waitcnt lgkmcnt(3)
	global_store_b128 v[23:24], v[3:6], off
	s_waitcnt lgkmcnt(2)
	global_store_b128 v[25:26], v[7:10], off
	s_waitcnt lgkmcnt(1)
	global_store_b128 v[19:20], v[11:14], off
	s_waitcnt lgkmcnt(0)
	global_store_b128 v[21:22], v[15:18], off
	s_and_b32 exec_lo, exec_lo, s2
	s_cbranch_execz .LBB586_2
; %bb.112:
	ds_load_b128 v[3:6], v0 offset:512
	s_add_i32 s1, s31, 8
	s_delay_alu instid0(SALU_CYCLE_1) | instskip(NEXT) | instid1(SALU_CYCLE_1)
	s_mul_i32 s0, s1, s0
	s_ashr_i32 s1, s0, 31
	s_delay_alu instid0(SALU_CYCLE_1) | instskip(NEXT) | instid1(SALU_CYCLE_1)
	s_lshl_b64 s[0:1], s[0:1], 1
	v_add_co_u32 v0, vcc_lo, v1, s0
	v_add_co_ci_u32_e32 v1, vcc_lo, s1, v2, vcc_lo
	s_waitcnt lgkmcnt(0)
	global_store_b128 v[0:1], v[3:6], off
	s_nop 0
	s_sendmsg sendmsg(MSG_DEALLOC_VGPRS)
	s_endpgm
	.section	.rodata,"a",@progbits
	.p2align	6, 0x0
	.amdhsa_kernel _Z39paged_attention_ll4mi_QKV_mfma16_kernelI14__hip_bfloat16S0_LN4vllm18Fp8KVCacheDataTypeE0EhLi16ELi128ELi256ELb1ELi9EL8MFMAType0EEvPKT_PKT0_S9_ifPKiSB_SB_iPKfiiiPfSE_PS4_PT2_iSD_SD_
		.amdhsa_group_segment_fixed_size 17472
		.amdhsa_private_segment_fixed_size 0
		.amdhsa_kernarg_size 400
		.amdhsa_user_sgpr_count 13
		.amdhsa_user_sgpr_dispatch_ptr 0
		.amdhsa_user_sgpr_queue_ptr 0
		.amdhsa_user_sgpr_kernarg_segment_ptr 1
		.amdhsa_user_sgpr_dispatch_id 0
		.amdhsa_user_sgpr_private_segment_size 0
		.amdhsa_wavefront_size32 1
		.amdhsa_uses_dynamic_stack 0
		.amdhsa_enable_private_segment 0
		.amdhsa_system_sgpr_workgroup_id_x 1
		.amdhsa_system_sgpr_workgroup_id_y 1
		.amdhsa_system_sgpr_workgroup_id_z 1
		.amdhsa_system_sgpr_workgroup_info 0
		.amdhsa_system_vgpr_workitem_id 0
		.amdhsa_next_free_vgpr 218
		.amdhsa_next_free_sgpr 50
		.amdhsa_reserve_vcc 1
		.amdhsa_float_round_mode_32 0
		.amdhsa_float_round_mode_16_64 0
		.amdhsa_float_denorm_mode_32 3
		.amdhsa_float_denorm_mode_16_64 3
		.amdhsa_dx10_clamp 1
		.amdhsa_ieee_mode 1
		.amdhsa_fp16_overflow 0
		.amdhsa_workgroup_processor_mode 1
		.amdhsa_memory_ordered 1
		.amdhsa_forward_progress 0
		.amdhsa_shared_vgpr_count 0
		.amdhsa_exception_fp_ieee_invalid_op 0
		.amdhsa_exception_fp_denorm_src 0
		.amdhsa_exception_fp_ieee_div_zero 0
		.amdhsa_exception_fp_ieee_overflow 0
		.amdhsa_exception_fp_ieee_underflow 0
		.amdhsa_exception_fp_ieee_inexact 0
		.amdhsa_exception_int_div_zero 0
	.end_amdhsa_kernel
	.section	.text._Z39paged_attention_ll4mi_QKV_mfma16_kernelI14__hip_bfloat16S0_LN4vllm18Fp8KVCacheDataTypeE0EhLi16ELi128ELi256ELb1ELi9EL8MFMAType0EEvPKT_PKT0_S9_ifPKiSB_SB_iPKfiiiPfSE_PS4_PT2_iSD_SD_,"axG",@progbits,_Z39paged_attention_ll4mi_QKV_mfma16_kernelI14__hip_bfloat16S0_LN4vllm18Fp8KVCacheDataTypeE0EhLi16ELi128ELi256ELb1ELi9EL8MFMAType0EEvPKT_PKT0_S9_ifPKiSB_SB_iPKfiiiPfSE_PS4_PT2_iSD_SD_,comdat
.Lfunc_end586:
	.size	_Z39paged_attention_ll4mi_QKV_mfma16_kernelI14__hip_bfloat16S0_LN4vllm18Fp8KVCacheDataTypeE0EhLi16ELi128ELi256ELb1ELi9EL8MFMAType0EEvPKT_PKT0_S9_ifPKiSB_SB_iPKfiiiPfSE_PS4_PT2_iSD_SD_, .Lfunc_end586-_Z39paged_attention_ll4mi_QKV_mfma16_kernelI14__hip_bfloat16S0_LN4vllm18Fp8KVCacheDataTypeE0EhLi16ELi128ELi256ELb1ELi9EL8MFMAType0EEvPKT_PKT0_S9_ifPKiSB_SB_iPKfiiiPfSE_PS4_PT2_iSD_SD_
                                        ; -- End function
	.section	.AMDGPU.csdata,"",@progbits
; Kernel info:
; codeLenInByte = 10328
; NumSgprs: 52
; NumVgprs: 218
; ScratchSize: 0
; MemoryBound: 0
; FloatMode: 240
; IeeeMode: 1
; LDSByteSize: 17472 bytes/workgroup (compile time only)
; SGPRBlocks: 6
; VGPRBlocks: 27
; NumSGPRsForWavesPerEU: 52
; NumVGPRsForWavesPerEU: 218
; Occupancy: 6
; WaveLimiterHint : 1
; COMPUTE_PGM_RSRC2:SCRATCH_EN: 0
; COMPUTE_PGM_RSRC2:USER_SGPR: 13
; COMPUTE_PGM_RSRC2:TRAP_HANDLER: 0
; COMPUTE_PGM_RSRC2:TGID_X_EN: 1
; COMPUTE_PGM_RSRC2:TGID_Y_EN: 1
; COMPUTE_PGM_RSRC2:TGID_Z_EN: 1
; COMPUTE_PGM_RSRC2:TIDIG_COMP_CNT: 0
	.section	.text._Z39paged_attention_ll4mi_QKV_mfma16_kernelI14__hip_bfloat16S0_LN4vllm18Fp8KVCacheDataTypeE0EhLi16ELi128ELi256ELb1ELi10EL8MFMAType0EEvPKT_PKT0_S9_ifPKiSB_SB_iPKfiiiPfSE_PS4_PT2_iSD_SD_,"axG",@progbits,_Z39paged_attention_ll4mi_QKV_mfma16_kernelI14__hip_bfloat16S0_LN4vllm18Fp8KVCacheDataTypeE0EhLi16ELi128ELi256ELb1ELi10EL8MFMAType0EEvPKT_PKT0_S9_ifPKiSB_SB_iPKfiiiPfSE_PS4_PT2_iSD_SD_,comdat
	.protected	_Z39paged_attention_ll4mi_QKV_mfma16_kernelI14__hip_bfloat16S0_LN4vllm18Fp8KVCacheDataTypeE0EhLi16ELi128ELi256ELb1ELi10EL8MFMAType0EEvPKT_PKT0_S9_ifPKiSB_SB_iPKfiiiPfSE_PS4_PT2_iSD_SD_ ; -- Begin function _Z39paged_attention_ll4mi_QKV_mfma16_kernelI14__hip_bfloat16S0_LN4vllm18Fp8KVCacheDataTypeE0EhLi16ELi128ELi256ELb1ELi10EL8MFMAType0EEvPKT_PKT0_S9_ifPKiSB_SB_iPKfiiiPfSE_PS4_PT2_iSD_SD_
	.globl	_Z39paged_attention_ll4mi_QKV_mfma16_kernelI14__hip_bfloat16S0_LN4vllm18Fp8KVCacheDataTypeE0EhLi16ELi128ELi256ELb1ELi10EL8MFMAType0EEvPKT_PKT0_S9_ifPKiSB_SB_iPKfiiiPfSE_PS4_PT2_iSD_SD_
	.p2align	8
	.type	_Z39paged_attention_ll4mi_QKV_mfma16_kernelI14__hip_bfloat16S0_LN4vllm18Fp8KVCacheDataTypeE0EhLi16ELi128ELi256ELb1ELi10EL8MFMAType0EEvPKT_PKT0_S9_ifPKiSB_SB_iPKfiiiPfSE_PS4_PT2_iSD_SD_,@function
_Z39paged_attention_ll4mi_QKV_mfma16_kernelI14__hip_bfloat16S0_LN4vllm18Fp8KVCacheDataTypeE0EhLi16ELi128ELi256ELb1ELi10EL8MFMAType0EEvPKT_PKT0_S9_ifPKiSB_SB_iPKfiiiPfSE_PS4_PT2_iSD_SD_: ; @_Z39paged_attention_ll4mi_QKV_mfma16_kernelI14__hip_bfloat16S0_LN4vllm18Fp8KVCacheDataTypeE0EhLi16ELi128ELi256ELb1ELi10EL8MFMAType0EEvPKT_PKT0_S9_ifPKiSB_SB_iPKfiiiPfSE_PS4_PT2_iSD_SD_
; %bb.0:
	s_load_b64 s[4:5], s[0:1], 0x30
	s_mov_b32 s30, s13
	s_waitcnt lgkmcnt(0)
	s_cmp_lg_u64 s[4:5], 0
	s_cselect_b32 s8, -1, 0
	s_ashr_i32 s31, s13, 31
	s_cmp_eq_u64 s[4:5], 0
	s_cbranch_scc1 .LBB587_3
; %bb.1:
	s_lshl_b64 s[2:3], s[30:31], 2
	s_delay_alu instid0(SALU_CYCLE_1) | instskip(SKIP_4) | instid1(SALU_CYCLE_1)
	s_add_u32 s2, s4, s2
	s_addc_u32 s3, s5, s3
	s_load_b64 s[2:3], s[2:3], 0x0
	s_waitcnt lgkmcnt(0)
	s_sub_i32 s2, s3, s2
	s_cmp_eq_u32 s2, 1
	s_cselect_b32 s2, -1, 0
	s_delay_alu instid0(SALU_CYCLE_1)
	s_and_not1_b32 vcc_lo, exec_lo, s2
	s_cbranch_vccz .LBB587_4
.LBB587_2:
	s_endpgm
.LBB587_3:
.LBB587_4:
	s_load_b64 s[2:3], s[0:1], 0x28
	s_lshl_b64 s[6:7], s[30:31], 2
	s_waitcnt lgkmcnt(0)
	s_add_u32 s2, s2, s6
	s_addc_u32 s3, s3, s7
	s_lshl_b32 s31, s14, 8
	s_load_b32 s28, s[2:3], 0x0
	s_waitcnt lgkmcnt(0)
	s_cmp_ge_i32 s31, s28
	s_cbranch_scc1 .LBB587_2
; %bb.5:
	s_clause 0x1
	s_load_b128 s[20:23], s[0:1], 0x8
	s_load_b64 s[2:3], s[0:1], 0x20
	s_and_not1_b32 vcc_lo, exec_lo, s8
	s_cbranch_vccnz .LBB587_7
; %bb.6:
	s_add_u32 s4, s4, s6
	s_addc_u32 s5, s5, s7
	s_load_b32 s5, s[4:5], 0x0
	s_branch .LBB587_8
.LBB587_7:
	s_mov_b32 s5, s30
.LBB587_8:
	s_load_b128 s[16:19], s[0:1], 0x48
	v_and_b32_e32 v140, 15, v0
	v_lshrrev_b32_e32 v141, 5, v0
	v_and_b32_e32 v142, 31, v0
	v_and_b32_e32 v139, 1, v0
	v_bfe_u32 v138, v0, 4, 1
	v_lshlrev_b32_e32 v1, 3, v140
	s_mul_i32 s29, s15, 10
	s_mov_b32 s4, exec_lo
	s_delay_alu instid0(VALU_DEP_1)
	v_lshlrev_b32_e32 v137, 1, v1
	v_cmpx_gt_u32_e32 0xa0, v0
	s_cbranch_execz .LBB587_10
; %bb.9:
	s_load_b64 s[6:7], s[0:1], 0x0
	v_lshl_or_b32 v5, v141, 1, v138
	s_waitcnt lgkmcnt(0)
	s_mul_hi_i32 s9, s5, s16
	s_mul_i32 s8, s5, s16
	v_lshlrev_b32_e32 v6, 10, v140
	s_lshl_b64 s[8:9], s[8:9], 1
	v_add_lshl_u32 v1, v5, s29, 7
	v_lshlrev_b32_e32 v5, 6, v5
	v_lshlrev_b32_e32 v7, 10, v139
	v_and_b32_e32 v6, 0x3800, v6
	s_delay_alu instid0(VALU_DEP_4) | instskip(NEXT) | instid1(VALU_DEP_2)
	v_ashrrev_i32_e32 v2, 31, v1
	v_or3_b32 v5, v6, v7, v5
	s_delay_alu instid0(VALU_DEP_2) | instskip(SKIP_2) | instid1(VALU_DEP_1)
	v_lshlrev_b64 v[1:2], 1, v[1:2]
	s_add_u32 s5, s6, s8
	s_addc_u32 s6, s7, s9
	v_add_co_u32 v1, vcc_lo, s5, v1
	s_delay_alu instid0(VALU_DEP_2) | instskip(NEXT) | instid1(VALU_DEP_2)
	v_add_co_ci_u32_e32 v2, vcc_lo, s6, v2, vcc_lo
	v_add_co_u32 v1, vcc_lo, v1, v137
	s_delay_alu instid0(VALU_DEP_2)
	v_add_co_ci_u32_e32 v2, vcc_lo, 0, v2, vcc_lo
	global_load_b128 v[1:4], v[1:2], off
	s_waitcnt vmcnt(0)
	ds_store_b128 v5, v[1:4]
.LBB587_10:
	s_or_b32 exec_lo, exec_lo, s4
	v_and_b32_e32 v1, 0xef, v0
	s_waitcnt lgkmcnt(0)
	s_add_i32 s5, s28, 15
	s_clause 0x1
	s_load_b32 s4, s[0:1], 0x38
	s_load_b32 s33, s[0:1], 0x1c
	s_ashr_i32 s6, s5, 31
	v_add_nc_u32_e32 v1, s31, v1
	s_lshr_b32 s6, s6, 28
	s_waitcnt lgkmcnt(0)
	s_add_i32 s5, s5, s6
	s_barrier
	v_ashrrev_i32_e32 v2, 31, v1
	v_cmp_gt_i32_e32 vcc_lo, s28, v1
	s_ashr_i32 s16, s5, 4
	buffer_gl0_inv
	s_add_i32 s16, s16, -1
	v_lshrrev_b32_e32 v3, 28, v2
	v_or_b32_e32 v2, 16, v1
	v_add_nc_u32_e32 v105, -10, v140
	v_lshlrev_b32_e32 v106, 5, v140
	s_delay_alu instid0(VALU_DEP_4) | instskip(NEXT) | instid1(VALU_DEP_4)
	v_add_nc_u32_e32 v4, v1, v3
	v_add_nc_u32_e32 v3, v2, v3
	s_mul_i32 s4, s30, s4
	s_delay_alu instid0(VALU_DEP_3) | instskip(SKIP_4) | instid1(SALU_CYCLE_1)
	v_lshl_or_b32 v125, v141, 9, v106
	s_ashr_i32 s5, s4, 31
	v_ashrrev_i32_e32 v4, 4, v4
	v_ashrrev_i32_e32 v3, 4, v3
	s_lshl_b64 s[4:5], s[4:5], 2
	s_add_u32 s34, s2, s4
	s_delay_alu instid0(VALU_DEP_2) | instskip(SKIP_3) | instid1(VALU_DEP_2)
	v_cndmask_b32_e32 v1, s16, v4, vcc_lo
	v_cmp_gt_i32_e32 vcc_lo, s28, v2
	s_addc_u32 s35, s3, s5
	s_mul_i32 s2, s15, s18
	v_ashrrev_i32_e32 v2, 31, v1
	v_cndmask_b32_e32 v3, s16, v3, vcc_lo
	s_ashr_i32 s3, s2, 31
	s_delay_alu instid0(SALU_CYCLE_1) | instskip(NEXT) | instid1(VALU_DEP_2)
	s_lshl_b64 s[2:3], s[2:3], 1
	v_lshlrev_b64 v[1:2], 2, v[1:2]
	s_delay_alu instid0(VALU_DEP_2) | instskip(SKIP_3) | instid1(VALU_DEP_1)
	v_ashrrev_i32_e32 v4, 31, v3
	s_add_u32 s24, s20, s2
	s_addc_u32 s25, s21, s3
	s_lshl_b32 s4, s14, 4
	v_lshlrev_b64 v[3:4], 2, v[3:4]
	v_add_co_u32 v1, vcc_lo, s34, v1
	v_add_co_ci_u32_e32 v2, vcc_lo, s35, v2, vcc_lo
	s_ashr_i32 s5, s4, 31
	s_delay_alu instid0(VALU_DEP_3) | instskip(NEXT) | instid1(VALU_DEP_4)
	v_add_co_u32 v3, vcc_lo, s34, v3
	v_add_co_ci_u32_e32 v4, vcc_lo, s35, v4, vcc_lo
	s_lshl_b64 s[4:5], s[4:5], 2
	s_clause 0x1
	global_load_b32 v5, v[1:2], off
	global_load_b32 v6, v[3:4], off
	s_add_u32 s4, s34, s4
	s_addc_u32 s5, s35, s5
	s_or_b32 s6, s31, 16
	v_lshlrev_b32_e32 v3, 4, v0
	s_ashr_i32 s7, s6, 4
	s_cmp_lt_i32 s6, s28
	s_cselect_b32 s6, s7, s16
	s_delay_alu instid0(SALU_CYCLE_1) | instskip(NEXT) | instid1(SALU_CYCLE_1)
	s_ashr_i32 s7, s6, 31
	s_lshl_b64 s[6:7], s[6:7], 2
	s_delay_alu instid0(SALU_CYCLE_1) | instskip(SKIP_2) | instid1(SALU_CYCLE_1)
	s_add_u32 s6, s34, s6
	s_addc_u32 s7, s35, s7
	s_or_b32 s8, s31, 32
	s_ashr_i32 s9, s8, 4
	s_cmp_lt_i32 s8, s28
	s_cselect_b32 s8, s9, s16
	s_delay_alu instid0(SALU_CYCLE_1) | instskip(NEXT) | instid1(SALU_CYCLE_1)
	s_ashr_i32 s9, s8, 31
	s_lshl_b64 s[8:9], s[8:9], 2
	s_delay_alu instid0(SALU_CYCLE_1) | instskip(SKIP_2) | instid1(SALU_CYCLE_1)
	s_add_u32 s8, s34, s8
	s_addc_u32 s9, s35, s9
	s_or_b32 s10, s31, 48
	;; [unrolled: 10-line block ×4, first 2 shown]
	s_ashr_i32 s13, s12, 4
	s_cmp_lt_i32 s12, s28
	s_cselect_b32 s12, s13, s16
	s_delay_alu instid0(SALU_CYCLE_1) | instskip(NEXT) | instid1(SALU_CYCLE_1)
	s_ashr_i32 s13, s12, 31
	s_lshl_b64 s[12:13], s[12:13], 2
	s_delay_alu instid0(SALU_CYCLE_1)
	s_add_u32 s20, s34, s12
	s_addc_u32 s21, s35, s13
	s_clause 0x5
	s_load_b32 s36, s[4:5], 0x0
	s_load_b32 s27, s[6:7], 0x0
	;; [unrolled: 1-line block ×6, first 2 shown]
	s_waitcnt vmcnt(1)
	v_mad_i64_i32 v[1:2], null, v5, s17, 0
	v_and_b32_e32 v5, 0xf0, v3
	s_waitcnt vmcnt(0)
	v_mad_i64_i32 v[3:4], null, v6, s17, 0
	s_delay_alu instid0(VALU_DEP_2) | instskip(NEXT) | instid1(VALU_DEP_4)
	v_add_co_u32 v5, s4, s24, v5
	v_lshlrev_b64 v[1:2], 1, v[1:2]
	v_add_co_ci_u32_e64 v6, null, s25, 0, s4
	s_delay_alu instid0(VALU_DEP_4) | instskip(SKIP_1) | instid1(VALU_DEP_3)
	v_lshlrev_b64 v[3:4], 1, v[3:4]
	s_or_b32 s4, s31, 0x60
	v_add_co_u32 v121, vcc_lo, v5, v1
	s_delay_alu instid0(VALU_DEP_3) | instskip(NEXT) | instid1(VALU_DEP_3)
	v_add_co_ci_u32_e32 v122, vcc_lo, v6, v2, vcc_lo
	v_add_co_u32 v123, vcc_lo, v5, v3
	s_delay_alu instid0(VALU_DEP_4)
	v_add_co_ci_u32_e32 v124, vcc_lo, v6, v4, vcc_lo
	s_clause 0x19
	global_load_b128 v[89:92], v[121:122], off
	global_load_b128 v[93:96], v[121:122], off offset:256
	global_load_b128 v[97:100], v[123:124], off
	global_load_b128 v[101:104], v[123:124], off offset:256
	global_load_b128 v[81:84], v[121:122], off offset:512
	global_load_b128 v[85:88], v[121:122], off offset:768
	global_load_b128 v[73:76], v[123:124], off offset:512
	global_load_b128 v[77:80], v[123:124], off offset:768
	global_load_b128 v[65:68], v[121:122], off offset:1024
	global_load_b128 v[69:72], v[121:122], off offset:1280
	global_load_b128 v[57:60], v[123:124], off offset:1024
	global_load_b128 v[61:64], v[123:124], off offset:1280
	global_load_b128 v[49:52], v[121:122], off offset:1536
	global_load_b128 v[53:56], v[121:122], off offset:1792
	global_load_b128 v[41:44], v[123:124], off offset:1536
	global_load_b128 v[45:48], v[123:124], off offset:1792
	global_load_b128 v[17:20], v[121:122], off offset:2048
	global_load_b128 v[21:24], v[121:122], off offset:2304
	global_load_b128 v[1:4], v[123:124], off offset:2048
	global_load_b128 v[5:8], v[123:124], off offset:2304
	global_load_b128 v[25:28], v[121:122], off offset:2560
	global_load_b128 v[29:32], v[121:122], off offset:2816
	global_load_b128 v[33:36], v[123:124], off offset:2560
	global_load_b128 v[37:40], v[123:124], off offset:2816
	global_load_b128 v[9:12], v[121:122], off offset:3072
	global_load_b128 v[13:16], v[121:122], off offset:3328
	s_ashr_i32 s5, s4, 4
	s_cmp_lt_i32 s4, s28
	v_cmp_gt_u32_e32 vcc_lo, 10, v140
	s_cselect_b32 s4, s5, s16
	s_delay_alu instid0(SALU_CYCLE_1) | instskip(NEXT) | instid1(SALU_CYCLE_1)
	s_ashr_i32 s5, s4, 31
	s_lshl_b64 s[4:5], s[4:5], 2
	v_cndmask_b32_e32 v105, v105, v140, vcc_lo
	s_add_u32 s18, s34, s4
	s_addc_u32 s19, s35, s5
	s_or_b32 s4, s31, 0x70
	s_delay_alu instid0(SALU_CYCLE_1)
	s_ashr_i32 s5, s4, 4
	s_cmp_lt_i32 s4, s28
	v_lshlrev_b32_e32 v215, 6, v105
	s_cselect_b32 s6, s5, s16
	ds_load_b128 v[105:108], v215
	ds_load_b128 v[109:112], v215 offset:1024
	s_ashr_i32 s7, s6, 31
	ds_load_b128 v[113:116], v215 offset:2048
	ds_load_b128 v[117:120], v215 offset:3072
	;; [unrolled: 1-line block ×8, first 2 shown]
	s_clause 0x1
	global_load_b128 v[167:170], v[123:124], off offset:3072
	global_load_b128 v[171:174], v[123:124], off offset:3328
	s_lshl_b64 s[6:7], s[6:7], 2
	s_mov_b32 s4, 0
	s_add_u32 s20, s34, s6
	s_addc_u32 s21, s35, s7
	s_clause 0x1
	s_load_b32 s42, s[18:19], 0x0
	s_load_b32 s43, s[20:21], 0x0
	s_clause 0x3
	global_load_b128 v[175:178], v[121:122], off offset:3584
	global_load_b128 v[179:182], v[121:122], off offset:3840
	;; [unrolled: 1-line block ×4, first 2 shown]
	s_or_b32 s7, s31, 0x80
	s_mov_b32 s5, s4
	s_ashr_i32 s8, s7, 4
	s_cmp_lt_i32 s7, s28
	s_mov_b32 s6, s4
	s_cselect_b32 s10, s8, s16
	s_mov_b32 s7, s4
	s_ashr_i32 s11, s10, 31
	s_mov_b32 s8, s4
	s_lshl_b64 s[24:25], s[10:11], 2
	s_mov_b32 s9, s4
	s_add_u32 s24, s34, s24
	s_addc_u32 s25, s35, s25
	s_or_b32 s11, s31, 0x90
	s_mov_b32 s10, s4
	s_ashr_i32 s37, s11, 4
	s_cmp_lt_i32 s11, s28
	s_mov_b32 s11, s4
	s_cselect_b32 s38, s37, s16
	v_mov_b32_e32 v136, s11
	s_ashr_i32 s39, s38, 31
	v_dual_mov_b32 v135, s10 :: v_dual_mov_b32 v134, s9
	v_dual_mov_b32 v133, s8 :: v_dual_mov_b32 v132, s7
	;; [unrolled: 1-line block ×3, first 2 shown]
	v_mov_b32_e32 v129, s4
	s_lshl_b64 s[4:5], s[38:39], 2
	s_waitcnt lgkmcnt(0)
	s_mul_hi_i32 s7, s27, s17
	s_add_u32 s38, s34, s4
	s_addc_u32 s39, s35, s5
	s_or_b32 s4, s31, 0xa0
	s_load_b32 s39, s[38:39], 0x0
	s_ashr_i32 s5, s4, 4
	s_cmp_lt_i32 s4, s28
	s_cselect_b32 s4, s5, s16
	s_delay_alu instid0(SALU_CYCLE_1) | instskip(NEXT) | instid1(SALU_CYCLE_1)
	s_ashr_i32 s5, s4, 31
	s_lshl_b64 s[4:5], s[4:5], 2
	s_delay_alu instid0(SALU_CYCLE_1)
	s_add_u32 s40, s34, s4
	s_addc_u32 s41, s35, s5
	s_or_b32 s4, s31, 0xb0
	s_mul_hi_i32 s5, s36, s17
	s_ashr_i32 s6, s4, 4
	s_cmp_lt_i32 s4, s28
	s_mul_i32 s4, s36, s17
	s_cselect_b32 s8, s6, s16
	s_mul_i32 s6, s27, s17
	s_ashr_i32 s9, s8, 31
	s_load_b32 s38, s[40:41], 0x0
	s_lshl_b64 s[10:11], s[8:9], 2
	s_mul_hi_i32 s9, s26, s17
	s_add_u32 s36, s34, s10
	s_addc_u32 s37, s35, s11
	s_or_b32 s10, s31, 0xc0
	s_mul_i32 s8, s26, s17
	s_ashr_i32 s26, s10, 4
	s_cmp_lt_i32 s10, s28
	s_mul_hi_i32 s11, s13, s17
	s_cselect_b32 s26, s26, s16
	s_mul_i32 s10, s13, s17
	s_ashr_i32 s27, s26, 31
	s_mul_hi_i32 s13, s12, s17
	s_lshl_b64 s[26:27], s[26:27], 2
	s_mul_i32 s12, s12, s17
	s_add_u32 s20, s34, s26
	s_addc_u32 s21, s35, s27
	s_or_b32 s18, s31, 0xd0
	s_load_b32 s26, s[24:25], 0x0
	s_ashr_i32 s19, s18, 4
	s_cmp_lt_i32 s18, s28
	s_mul_i32 s18, s15, s17
	s_cselect_b32 s24, s19, s16
	s_mul_hi_i32 s19, s15, s17
	s_ashr_i32 s25, s24, 31
	s_waitcnt lgkmcnt(0)
	s_mul_hi_i32 s41, s39, s17
	s_lshl_b64 s[24:25], s[24:25], 2
	s_delay_alu instid0(SALU_CYCLE_1)
	s_add_u32 s24, s34, s24
	s_addc_u32 s25, s35, s25
	s_or_b32 s40, s31, 0xe0
	s_clause 0x2
	s_load_b32 s37, s[36:37], 0x0
	s_load_b32 s36, s[20:21], 0x0
	;; [unrolled: 1-line block ×3, first 2 shown]
	s_ashr_i32 s44, s40, 4
	s_cmp_lt_i32 s40, s28
	s_mul_hi_i32 s21, s42, s17
	s_mul_i32 s20, s42, s17
	s_cselect_b32 s42, s44, s16
	s_mul_hi_i32 s25, s43, s17
	s_mul_i32 s24, s43, s17
	s_ashr_i32 s43, s42, 31
	s_mul_hi_i32 s27, s26, s17
	s_lshl_b64 s[42:43], s[42:43], 2
	s_mul_i32 s26, s26, s17
	s_add_u32 s42, s34, s42
	s_addc_u32 s43, s35, s43
	s_or_b32 s44, s31, 0xf0
	s_mul_i32 s40, s39, s17
	s_ashr_i32 s46, s44, 4
	s_cmp_lt_i32 s44, s28
	s_mul_hi_i32 s39, s38, s17
	s_cselect_b32 s46, s46, s16
	s_waitcnt lgkmcnt(0)
	s_mul_hi_i32 s49, s15, s17
	s_ashr_i32 s47, s46, 31
	s_mul_i32 s48, s15, s17
	s_lshl_b64 s[46:47], s[46:47], 2
	s_mul_i32 s38, s38, s17
	s_add_u32 s34, s34, s46
	s_addc_u32 s35, s35, s47
	s_add_u32 s15, s22, s2
	s_addc_u32 s16, s23, s3
	v_add_co_u32 v216, s15, s15, v125
	s_delay_alu instid0(VALU_DEP_1) | instskip(SKIP_2) | instid1(VALU_DEP_2)
	v_add_co_ci_u32_e64 v217, null, s16, 0, s15
	s_lshl_b64 s[2:3], s[4:5], 1
	s_lshl_b64 s[4:5], s[6:7], 1
	v_add_co_u32 v125, vcc_lo, v216, s2
	s_delay_alu instid0(VALU_DEP_2)
	v_add_co_ci_u32_e32 v126, vcc_lo, s3, v217, vcc_lo
	v_add_co_u32 v199, vcc_lo, v216, s4
	s_lshl_b64 s[6:7], s[8:9], 1
	v_add_co_ci_u32_e32 v200, vcc_lo, s5, v217, vcc_lo
	s_lshl_b64 s[8:9], s[10:11], 1
	s_lshl_b64 s[10:11], s[12:13], 1
	;; [unrolled: 1-line block ×8, first 2 shown]
	s_mul_hi_i32 s45, s37, s17
	s_mul_i32 s44, s37, s17
	s_mul_hi_i32 s37, s36, s17
	s_lshl_b64 s[38:39], s[44:45], 1
	s_mul_i32 s36, s36, s17
	s_clause 0x1
	s_load_b32 s15, s[42:43], 0x0
	s_load_b32 s16, s[34:35], 0x0
	s_lshl_b64 s[36:37], s[36:37], 1
	s_lshl_b64 s[40:41], s[48:49], 1
	s_waitcnt lgkmcnt(0)
	s_mul_hi_i32 s3, s15, s17
	s_mul_i32 s2, s15, s17
	s_mul_hi_i32 s5, s16, s17
	s_lshl_b64 s[2:3], s[2:3], 1
	s_mul_i32 s4, s16, s17
	s_waitcnt vmcnt(30)
	v_wmma_f32_16x16x16_bf16 v[191:198], v[89:96], v[105:112], v[129:136]
	v_add_co_u32 v89, vcc_lo, v216, s6
	v_add_co_ci_u32_e32 v90, vcc_lo, s7, v217, vcc_lo
	v_add_co_u32 v91, vcc_lo, v216, s8
	v_add_co_ci_u32_e32 v92, vcc_lo, s9, v217, vcc_lo
	;; [unrolled: 2-line block ×5, first 2 shown]
	v_add_co_u32 v205, vcc_lo, v216, s20
	s_waitcnt vmcnt(28)
	v_wmma_f32_16x16x16_bf16 v[129:136], v[97:104], v[105:112], v[129:136]
	v_add_co_ci_u32_e32 v206, vcc_lo, s21, v217, vcc_lo
	v_add_co_u32 v207, vcc_lo, v216, s22
	v_add_co_ci_u32_e32 v208, vcc_lo, s23, v217, vcc_lo
	v_add_co_u32 v209, vcc_lo, v216, s24
	s_waitcnt vmcnt(26)
	v_wmma_f32_16x16x16_bf16 v[191:198], v[81:88], v[113:120], v[191:198]
	s_waitcnt vmcnt(24)
	v_wmma_f32_16x16x16_bf16 v[129:136], v[73:80], v[113:120], v[129:136]
	v_add_co_ci_u32_e32 v210, vcc_lo, s25, v217, vcc_lo
	v_add_co_u32 v211, vcc_lo, v216, s26
	v_add_co_ci_u32_e32 v212, vcc_lo, s27, v217, vcc_lo
	v_add_co_u32 v213, vcc_lo, v216, s38
	s_waitcnt vmcnt(22)
	v_wmma_f32_16x16x16_bf16 v[191:198], v[65:72], v[143:150], v[191:198]
	s_waitcnt vmcnt(20)
	v_wmma_f32_16x16x16_bf16 v[129:136], v[57:64], v[143:150], v[129:136]
	v_add_co_ci_u32_e32 v214, vcc_lo, s39, v217, vcc_lo
	v_add_co_u32 v143, vcc_lo, v216, s36
	s_waitcnt vmcnt(18)
	v_wmma_f32_16x16x16_bf16 v[191:198], v[49:56], v[151:158], v[191:198]
	s_waitcnt vmcnt(16)
	v_wmma_f32_16x16x16_bf16 v[129:136], v[41:48], v[151:158], v[129:136]
	v_add_co_ci_u32_e32 v144, vcc_lo, s37, v217, vcc_lo
	s_clause 0x15
	global_load_b128 v[121:124], v[125:126], off
	global_load_b128 v[125:128], v[125:126], off offset:16
	global_load_b128 v[113:116], v[199:200], off
	global_load_b128 v[117:120], v[199:200], off offset:16
	global_load_b128 v[105:108], v[89:90], off
	global_load_b128 v[109:112], v[89:90], off offset:16
	global_load_b128 v[97:100], v[91:92], off
	global_load_b128 v[101:104], v[91:92], off offset:16
	global_load_b128 v[89:92], v[93:94], off
	global_load_b128 v[93:96], v[93:94], off offset:16
	global_load_b128 v[81:84], v[201:202], off
	global_load_b128 v[85:88], v[201:202], off offset:16
	global_load_b128 v[73:76], v[203:204], off
	global_load_b128 v[77:80], v[203:204], off offset:16
	global_load_b128 v[57:60], v[205:206], off
	global_load_b128 v[61:64], v[205:206], off offset:16
	global_load_b128 v[65:68], v[207:208], off
	global_load_b128 v[69:72], v[207:208], off offset:16
	global_load_b128 v[49:52], v[209:210], off
	global_load_b128 v[53:56], v[209:210], off offset:16
	global_load_b128 v[41:44], v[211:212], off
	global_load_b128 v[45:48], v[211:212], off offset:16
	s_waitcnt vmcnt(36)
	v_wmma_f32_16x16x16_bf16 v[191:198], v[17:24], v[159:166], v[191:198]
	s_clause 0x1
	global_load_b128 v[17:20], v[213:214], off
	global_load_b128 v[21:24], v[213:214], off offset:16
	s_waitcnt vmcnt(36)
	v_wmma_f32_16x16x16_bf16 v[129:136], v[1:8], v[159:166], v[129:136]
	s_clause 0x1
	global_load_b128 v[1:4], v[143:144], off
	global_load_b128 v[5:8], v[143:144], off offset:16
	ds_load_b128 v[143:146], v215 offset:10240
	ds_load_b128 v[147:150], v215 offset:11264
	;; [unrolled: 1-line block ×4, first 2 shown]
	v_add_co_u32 v199, vcc_lo, v216, s40
	v_add_co_ci_u32_e32 v200, vcc_lo, s41, v217, vcc_lo
	v_add_co_u32 v159, vcc_lo, v216, s2
	v_add_co_ci_u32_e32 v160, vcc_lo, s3, v217, vcc_lo
	s_lshl_b64 s[2:3], s[4:5], 1
	s_delay_alu instid0(SALU_CYCLE_1)
	v_add_co_u32 v161, vcc_lo, v216, s2
	v_add_co_ci_u32_e32 v162, vcc_lo, s3, v217, vcc_lo
	s_waitcnt vmcnt(36) lgkmcnt(2)
	v_wmma_f32_16x16x16_bf16 v[191:198], v[25:32], v[143:150], v[191:198]
	s_waitcnt vmcnt(34)
	v_wmma_f32_16x16x16_bf16 v[129:136], v[33:40], v[143:150], v[129:136]
	s_clause 0x3
	global_load_b128 v[25:28], v[199:200], off
	global_load_b128 v[29:32], v[199:200], off offset:16
	global_load_b128 v[33:36], v[159:160], off
	global_load_b128 v[37:40], v[159:160], off offset:16
	v_and_b32_e32 v143, 0xe0, v0
	v_mbcnt_lo_u32_b32 v159, -1, 0
	s_waitcnt vmcnt(36) lgkmcnt(0)
	v_wmma_f32_16x16x16_bf16 v[191:198], v[9:16], v[151:158], v[191:198]
	s_clause 0x1
	global_load_b128 v[9:12], v[161:162], off
	global_load_b128 v[13:16], v[161:162], off offset:16
	s_waitcnt vmcnt(36)
	v_wmma_f32_16x16x16_bf16 v[129:136], v[167:174], v[151:158], v[129:136]
	v_add_nc_u32_e32 v160, s31, v143
	ds_load_b128 v[143:146], v215 offset:14336
	ds_load_b128 v[147:150], v215 offset:15360
	v_xor_b32_e32 v151, 16, v159
	s_waitcnt vmcnt(0) lgkmcnt(0)
	s_barrier
	v_or_b32_e32 v152, v160, v138
	buffer_gl0_inv
	v_cmp_gt_i32_e32 vcc_lo, 32, v151
	v_or_b32_e32 v153, 2, v152
	v_or_b32_e32 v154, 4, v152
	;; [unrolled: 1-line block ×5, first 2 shown]
	v_cmp_gt_i32_e64 s2, s28, v153
	v_cmp_gt_i32_e64 s3, s28, v154
	v_cmp_gt_i32_e64 s4, s28, v155
	v_or_b32_e32 v158, 12, v152
	v_cmp_gt_i32_e64 s5, s28, v156
	v_cmp_gt_i32_e64 s6, s28, v157
	v_wmma_f32_16x16x16_bf16 v[191:198], v[175:182], v[143:150], v[191:198]
	v_wmma_f32_16x16x16_bf16 v[129:136], v[183:190], v[143:150], v[129:136]
	v_cndmask_b32_e32 v151, v159, v151, vcc_lo
	v_cmp_gt_i32_e32 vcc_lo, s28, v152
	v_or_b32_e32 v159, 14, v152
	v_dual_mul_f32 v149, s33, v192 :: v_dual_mul_f32 v150, s33, v191
	v_dual_mul_f32 v147, s33, v194 :: v_dual_mul_f32 v148, s33, v193
	v_mul_f32_e32 v145, s33, v196
	s_delay_alu instid0(VALU_DEP_3) | instskip(NEXT) | instid1(VALU_DEP_4)
	v_cndmask_b32_e64 v149, 0xff7fffff, v149, s2
	v_cndmask_b32_e32 v150, 0xff7fffff, v150, vcc_lo
	v_mul_f32_e32 v146, s33, v195
	v_cndmask_b32_e64 v148, 0xff7fffff, v148, s3
	v_cndmask_b32_e64 v147, 0xff7fffff, v147, s4
	v_or_b32_e32 v160, 16, v152
	v_max3_f32 v149, v150, 0xff7fffff, v149
	v_or_b32_e32 v161, 18, v152
	v_dual_mul_f32 v143, s33, v198 :: v_dual_mul_f32 v144, s33, v197
	v_cndmask_b32_e64 v146, 0xff7fffff, v146, s5
	v_cndmask_b32_e64 v145, 0xff7fffff, v145, s6
	v_max3_f32 v147, v149, v148, v147
	v_cmp_gt_i32_e64 s7, s28, v158
	v_cmp_gt_i32_e64 s8, s28, v159
	v_or_b32_e32 v162, 20, v152
	v_or_b32_e32 v163, 22, v152
	v_dual_mul_f32 v174, s33, v130 :: v_dual_mul_f32 v175, s33, v129
	v_cndmask_b32_e64 v144, 0xff7fffff, v144, s7
	v_cndmask_b32_e64 v143, 0xff7fffff, v143, s8
	v_max3_f32 v145, v147, v146, v145
	v_cmp_gt_i32_e64 s9, s28, v160
	v_cmp_gt_i32_e64 s10, s28, v161
	v_or_b32_e32 v164, 24, v152
	;; [unrolled: 8-line block ×3, first 2 shown]
	v_or_b32_e32 v167, 30, v152
	v_dual_mul_f32 v170, s33, v134 :: v_dual_mul_f32 v171, s33, v133
	v_cndmask_b32_e64 v144, 0xff7fffff, v173, s11
	v_cndmask_b32_e64 v145, 0xff7fffff, v172, s12
	v_max3_f32 v143, v143, v146, v147
	v_cmp_gt_i32_e64 s13, s28, v164
	v_cmp_gt_i32_e64 s15, s28, v165
	v_dual_mul_f32 v168, s33, v136 :: v_dual_mul_f32 v169, s33, v135
	s_delay_alu instid0(VALU_DEP_4) | instskip(NEXT) | instid1(VALU_DEP_4)
	v_max3_f32 v143, v143, v144, v145
	v_cndmask_b32_e64 v146, 0xff7fffff, v171, s13
	s_delay_alu instid0(VALU_DEP_4) | instskip(SKIP_3) | instid1(VALU_DEP_4)
	v_cndmask_b32_e64 v147, 0xff7fffff, v170, s15
	v_cmp_gt_i32_e64 s16, s28, v166
	v_cmp_gt_i32_e64 s17, s28, v167
	v_lshlrev_b32_e32 v154, 2, v151
	v_max3_f32 v143, v143, v146, v147
	s_delay_alu instid0(VALU_DEP_4) | instskip(NEXT) | instid1(VALU_DEP_4)
	v_cndmask_b32_e64 v144, 0xff7fffff, v169, s16
	v_cndmask_b32_e64 v145, 0xff7fffff, v168, s17
	s_delay_alu instid0(VALU_DEP_1) | instskip(SKIP_3) | instid1(VALU_DEP_1)
	v_max3_f32 v143, v143, v144, v145
	ds_bpermute_b32 v144, v154, v143
	s_waitcnt lgkmcnt(0)
	v_max_f32_e32 v144, v144, v144
	v_max_f32_e32 v153, v143, v144
	s_delay_alu instid0(VALU_DEP_1) | instskip(SKIP_4) | instid1(VALU_DEP_4)
	v_fma_f32 v143, s33, v191, -v153
	v_fma_f32 v144, s33, v192, -v153
	;; [unrolled: 1-line block ×5, first 2 shown]
	v_dual_mul_f32 v143, 0x3fb8aa3b, v143 :: v_dual_mul_f32 v144, 0x3fb8aa3b, v144
	s_delay_alu instid0(VALU_DEP_4) | instskip(SKIP_2) | instid1(VALU_DEP_4)
	v_mul_f32_e32 v132, 0x3fb8aa3b, v132
	v_fma_f32 v134, s33, v134, -v153
	v_mul_f32_e32 v145, 0x3fb8aa3b, v145
	v_exp_f32_e32 v143, v143
	v_exp_f32_e32 v147, v144
	v_fma_f32 v148, s33, v195, -v153
	v_mul_f32_e32 v134, 0x3fb8aa3b, v134
	v_mul_f32_e32 v146, 0x3fb8aa3b, v146
	v_exp_f32_e32 v145, v145
	v_fma_f32 v151, s33, v197, -v153
	v_mul_f32_e32 v148, 0x3fb8aa3b, v148
	v_fma_f32 v129, s33, v129, -v153
	v_exp_f32_e32 v149, v146
	v_cndmask_b32_e32 v144, 0, v143, vcc_lo
	v_fma_f32 v143, s33, v196, -v153
	v_cndmask_b32_e64 v146, 0, v147, s2
	v_exp_f32_e32 v148, v148
	s_delay_alu instid0(VALU_DEP_3) | instskip(NEXT) | instid1(VALU_DEP_3)
	v_dual_mul_f32 v151, 0x3fb8aa3b, v151 :: v_dual_add_f32 v150, 0, v144
	v_mul_f32_e32 v143, 0x3fb8aa3b, v143
	v_cndmask_b32_e64 v147, 0, v145, s3
	v_fma_f32 v130, s33, v130, -v153
	s_delay_alu instid0(TRANS32_DEP_2)
	v_cndmask_b32_e64 v149, 0, v149, s4
	v_add_f32_e32 v145, v150, v146
	v_fma_f32 v150, s33, v198, -v153
	v_exp_f32_e32 v143, v143
	v_exp_f32_e32 v155, v151
	v_mul_f32_e32 v129, 0x3fb8aa3b, v129
	s_delay_alu instid0(VALU_DEP_2) | instskip(SKIP_2) | instid1(VALU_DEP_3)
	v_dual_add_f32 v145, v145, v147 :: v_dual_mul_f32 v152, 0x3fb8aa3b, v150
	v_cndmask_b32_e64 v150, 0, v148, s5
	v_fma_f32 v131, s33, v131, -v153
	v_dual_mul_f32 v130, 0x3fb8aa3b, v130 :: v_dual_add_f32 v145, v145, v149
	s_delay_alu instid0(VALU_DEP_4) | instskip(NEXT) | instid1(TRANS32_DEP_3)
	v_exp_f32_e32 v152, v152
	v_cndmask_b32_e64 v151, 0, v143, s6
	v_exp_f32_e32 v129, v129
	s_delay_alu instid0(TRANS32_DEP_3)
	v_cndmask_b32_e64 v148, 0, v155, s7
	v_add_f32_e32 v143, v145, v150
	v_mul_f32_e32 v131, 0x3fb8aa3b, v131
	v_exp_f32_e32 v130, v130
	v_fma_f32 v133, s33, v133, -v153
	v_fma_f32 v136, s33, v136, -v153
	v_add_f32_e32 v143, v143, v151
	v_cndmask_b32_e64 v152, 0, v152, s8
	v_exp_f32_e32 v145, v131
	v_cndmask_b32_e64 v131, 0, v129, s9
	v_mul_f32_e32 v133, 0x3fb8aa3b, v133
	v_add_f32_e32 v143, v143, v148
	s_mov_b32 s2, exec_lo
	s_delay_alu instid0(VALU_DEP_1)
	v_add_f32_e32 v129, v143, v152
	v_exp_f32_e32 v143, v132
	v_cndmask_b32_e64 v132, 0, v130, s10
	v_fma_f32 v130, s33, v135, -v153
	v_exp_f32_e32 v135, v133
	v_add_f32_e32 v129, v129, v131
	v_cndmask_b32_e64 v133, 0, v145, s11
	v_exp_f32_e32 v145, v134
	s_delay_alu instid0(VALU_DEP_2) | instskip(NEXT) | instid1(TRANS32_DEP_3)
	v_dual_mul_f32 v130, 0x3fb8aa3b, v130 :: v_dual_add_f32 v129, v129, v132
	v_cndmask_b32_e64 v134, 0, v143, s12
	v_mul_f32_e32 v143, 0x3fb8aa3b, v136
	s_delay_alu instid0(VALU_DEP_3) | instskip(NEXT) | instid1(TRANS32_DEP_3)
	v_exp_f32_e32 v130, v130
	v_cndmask_b32_e64 v135, 0, v135, s13
	v_add_f32_e32 v129, v129, v133
	s_delay_alu instid0(TRANS32_DEP_2) | instskip(SKIP_1) | instid1(VALU_DEP_2)
	v_cndmask_b32_e64 v136, 0, v145, s15
	v_exp_f32_e32 v145, v143
	v_add_f32_e32 v129, v129, v134
	s_waitcnt_depctr 0xfff
	v_cndmask_b32_e64 v143, 0, v130, s16
	v_add_f32_e32 v129, v129, v135
	v_cndmask_b32_e64 v145, 0, v145, s17
	s_delay_alu instid0(VALU_DEP_2) | instskip(NEXT) | instid1(VALU_DEP_1)
	v_add_f32_e32 v129, v129, v136
	v_add_f32_e32 v129, v129, v143
	s_delay_alu instid0(VALU_DEP_1)
	v_add_f32_e32 v129, v129, v145
	ds_bpermute_b32 v130, v154, v129
	v_cmpx_gt_u32_e32 16, v142
	s_cbranch_execz .LBB587_12
; %bb.11:
	v_mul_u32_u24_e32 v142, 0x44, v141
	s_waitcnt lgkmcnt(0)
	v_add_f32_e32 v129, v129, v130
	s_delay_alu instid0(VALU_DEP_2) | instskip(NEXT) | instid1(VALU_DEP_1)
	v_lshl_add_u32 v142, v140, 2, v142
	v_add_nc_u32_e32 v130, 0x4000, v142
	ds_store_2addr_b32 v130, v153, v129 offset1:136
.LBB587_12:
	s_or_b32 exec_lo, exec_lo, s2
	v_lshlrev_b32_e32 v129, 2, v140
	s_waitcnt lgkmcnt(0)
	s_barrier
	buffer_gl0_inv
	v_cmp_eq_u32_e64 s2, 1, v141
	v_add_nc_u32_e32 v142, 0x4000, v129
	ds_load_2addr_b32 v[153:154], v142 offset1:17
	ds_load_2addr_b32 v[155:156], v142 offset0:34 offset1:51
	ds_load_2addr_b32 v[157:158], v142 offset0:68 offset1:85
	;; [unrolled: 1-line block ×4, first 2 shown]
	s_waitcnt lgkmcnt(4)
	v_max3_f32 v129, v153, 0xff7fffff, v154
	s_waitcnt lgkmcnt(3)
	s_delay_alu instid0(VALU_DEP_1) | instskip(SKIP_1) | instid1(VALU_DEP_1)
	v_max3_f32 v129, v129, v155, v156
	s_waitcnt lgkmcnt(2)
	v_max3_f32 v129, v129, v157, v158
	s_waitcnt lgkmcnt(1)
	s_delay_alu instid0(VALU_DEP_1) | instskip(NEXT) | instid1(VALU_DEP_1)
	v_max3_f32 v129, v129, v159, v160
	v_sub_f32_e32 v163, v154, v129
	v_sub_f32_e32 v130, v153, v129
	ds_load_2addr_b32 v[153:154], v142 offset0:170 offset1:187
	v_sub_f32_e32 v155, v155, v129
	v_dual_mul_f32 v163, 0x3fb8aa3b, v163 :: v_dual_mul_f32 v130, 0x3fb8aa3b, v130
	s_delay_alu instid0(VALU_DEP_2) | instskip(NEXT) | instid1(VALU_DEP_2)
	v_mul_f32_e32 v165, 0x3fb8aa3b, v155
	v_exp_f32_e32 v163, v163
	s_delay_alu instid0(VALU_DEP_2)
	v_exp_f32_e32 v164, v130
	v_sub_f32_e32 v130, v156, v129
	ds_load_2addr_b32 v[155:156], v142 offset0:204 offset1:221
	v_exp_f32_e32 v165, v165
	v_mul_f32_e32 v166, 0x3fb8aa3b, v130
	s_waitcnt lgkmcnt(2)
	v_fma_f32 v130, v164, v161, 0
	v_sub_f32_e32 v157, v157, v129
	s_delay_alu instid0(VALU_DEP_3) | instskip(NEXT) | instid1(VALU_DEP_2)
	v_exp_f32_e32 v166, v166
	v_dual_sub_f32 v161, v158, v129 :: v_dual_fmac_f32 v130, v163, v162
	s_waitcnt lgkmcnt(1)
	s_waitcnt_depctr 0xfff
	v_fmac_f32_e32 v130, v165, v153
	v_mul_f32_e32 v167, 0x3fb8aa3b, v157
	ds_load_2addr_b32 v[157:158], v142 offset0:238 offset1:255
	v_sub_f32_e32 v142, v159, v129
	v_dual_sub_f32 v153, v160, v129 :: v_dual_fmac_f32 v130, v166, v154
	v_mul_f32_e32 v159, 0x3fb8aa3b, v161
	v_exp_f32_e32 v161, v167
	s_delay_alu instid0(VALU_DEP_2)
	v_dual_mul_f32 v142, 0x3fb8aa3b, v142 :: v_dual_mul_f32 v153, 0x3fb8aa3b, v153
	s_waitcnt lgkmcnt(0)
	s_barrier
	buffer_gl0_inv
	v_exp_f32_e32 v142, v142
	v_exp_f32_e32 v153, v153
	v_fmac_f32_e32 v130, v161, v155
	v_exp_f32_e32 v159, v159
	s_waitcnt_depctr 0xfff
	v_fmac_f32_e32 v130, v159, v156
	s_delay_alu instid0(VALU_DEP_1) | instskip(NEXT) | instid1(VALU_DEP_1)
	v_fmac_f32_e32 v130, v142, v157
	v_fmac_f32_e32 v130, v153, v158
	s_delay_alu instid0(VALU_DEP_1) | instskip(NEXT) | instid1(VALU_DEP_1)
	v_add_f32_e32 v154, 0x358637bd, v130
	v_div_scale_f32 v155, null, v154, v154, 1.0
	v_div_scale_f32 v158, vcc_lo, 1.0, v154, 1.0
	s_delay_alu instid0(VALU_DEP_2) | instskip(SKIP_2) | instid1(VALU_DEP_1)
	v_rcp_f32_e32 v156, v155
	s_waitcnt_depctr 0xfff
	v_fma_f32 v157, -v155, v156, 1.0
	v_fmac_f32_e32 v156, v157, v156
	v_cndmask_b32_e64 v157, v164, v163, s2
	v_cmp_eq_u32_e64 s2, 2, v141
	s_delay_alu instid0(VALU_DEP_3) | instskip(NEXT) | instid1(VALU_DEP_2)
	v_mul_f32_e32 v160, v158, v156
	v_cndmask_b32_e64 v157, v157, v165, s2
	v_cmp_eq_u32_e64 s2, 3, v141
	s_delay_alu instid0(VALU_DEP_3) | instskip(NEXT) | instid1(VALU_DEP_2)
	v_fma_f32 v162, -v155, v160, v158
	v_cndmask_b32_e64 v157, v157, v166, s2
	v_cmp_eq_u32_e64 s2, 4, v141
	s_delay_alu instid0(VALU_DEP_3) | instskip(NEXT) | instid1(VALU_DEP_2)
	v_fmac_f32_e32 v160, v162, v156
	v_cndmask_b32_e64 v157, v157, v161, s2
	s_delay_alu instid0(VALU_DEP_2) | instskip(SKIP_1) | instid1(VALU_DEP_2)
	v_fma_f32 v155, -v155, v160, v158
	v_cmp_eq_u32_e64 s2, 5, v141
	v_div_fmas_f32 v155, v155, v156, v160
	s_delay_alu instid0(VALU_DEP_2) | instskip(SKIP_2) | instid1(VALU_DEP_3)
	v_cndmask_b32_e64 v157, v157, v159, s2
	v_cmp_eq_u32_e32 vcc_lo, 6, v141
	s_mov_b32 s2, exec_lo
	v_div_fixup_f32 v154, v155, v154, 1.0
	s_delay_alu instid0(VALU_DEP_3) | instskip(SKIP_1) | instid1(VALU_DEP_2)
	v_cndmask_b32_e32 v142, v157, v142, vcc_lo
	v_cmp_eq_u32_e32 vcc_lo, 7, v141
	v_cndmask_b32_e32 v142, v142, v153, vcc_lo
	s_delay_alu instid0(VALU_DEP_1) | instskip(NEXT) | instid1(VALU_DEP_1)
	v_mul_f32_e32 v142, v142, v154
	v_mul_f32_e32 v153, v142, v149
	;; [unrolled: 1-line block ×7, first 2 shown]
	v_dual_mul_f32 v150, v142, v147 :: v_dual_and_b32 v155, 0x7f800000, v154
	v_mul_f32_e32 v149, v142, v146
                                        ; implicit-def: $vgpr146
	s_delay_alu instid0(VALU_DEP_2)
	v_cmpx_ne_u32_e32 0x7f800000, v155
	s_xor_b32 s2, exec_lo, s2
; %bb.13:
	v_bfe_u32 v146, v154, 16, 1
	s_delay_alu instid0(VALU_DEP_1)
	v_add3_u32 v146, v154, v146, 0x7fff
                                        ; implicit-def: $vgpr154
; %bb.14:
	s_and_not1_saveexec_b32 s2, s2
; %bb.15:
	v_and_b32_e32 v146, 0xffff, v154
	v_or_b32_e32 v147, 0x10000, v154
	s_delay_alu instid0(VALU_DEP_2) | instskip(NEXT) | instid1(VALU_DEP_2)
	v_cmp_eq_u32_e32 vcc_lo, 0, v146
	v_cndmask_b32_e32 v146, v147, v154, vcc_lo
; %bb.16:
	s_or_b32 exec_lo, exec_lo, s2
	v_and_b32_e32 v147, 0x7f800000, v149
	s_delay_alu instid0(VALU_DEP_1) | instskip(SKIP_1) | instid1(SALU_CYCLE_1)
	v_cmp_ne_u32_e32 vcc_lo, 0x7f800000, v147
                                        ; implicit-def: $vgpr147
	s_and_saveexec_b32 s2, vcc_lo
	s_xor_b32 s2, exec_lo, s2
; %bb.17:
	v_bfe_u32 v147, v149, 16, 1
	s_delay_alu instid0(VALU_DEP_1)
	v_add3_u32 v147, v149, v147, 0x7fff
                                        ; implicit-def: $vgpr149
; %bb.18:
	s_and_not1_saveexec_b32 s2, s2
; %bb.19:
	v_and_b32_e32 v147, 0xffff, v149
	v_or_b32_e32 v154, 0x10000, v149
	s_delay_alu instid0(VALU_DEP_2) | instskip(NEXT) | instid1(VALU_DEP_2)
	v_cmp_eq_u32_e32 vcc_lo, 0, v147
	v_cndmask_b32_e32 v147, v154, v149, vcc_lo
; %bb.20:
	s_or_b32 exec_lo, exec_lo, s2
	v_and_b32_e32 v149, 0x7f800000, v150
	s_delay_alu instid0(VALU_DEP_1) | instskip(SKIP_1) | instid1(SALU_CYCLE_1)
	v_cmp_ne_u32_e32 vcc_lo, 0x7f800000, v149
                                        ; implicit-def: $vgpr149
	s_and_saveexec_b32 s2, vcc_lo
	s_xor_b32 s2, exec_lo, s2
; %bb.21:
	v_bfe_u32 v149, v150, 16, 1
	s_delay_alu instid0(VALU_DEP_1)
	v_add3_u32 v149, v150, v149, 0x7fff
                                        ; implicit-def: $vgpr150
; %bb.22:
	s_and_not1_saveexec_b32 s2, s2
; %bb.23:
	v_and_b32_e32 v149, 0xffff, v150
	v_or_b32_e32 v154, 0x10000, v150
	s_delay_alu instid0(VALU_DEP_2) | instskip(NEXT) | instid1(VALU_DEP_2)
	v_cmp_eq_u32_e32 vcc_lo, 0, v149
	v_cndmask_b32_e32 v149, v154, v150, vcc_lo
; %bb.24:
	s_or_b32 exec_lo, exec_lo, s2
	v_and_b32_e32 v150, 0x7f800000, v153
	s_delay_alu instid0(VALU_DEP_1) | instskip(SKIP_1) | instid1(SALU_CYCLE_1)
	v_cmp_ne_u32_e32 vcc_lo, 0x7f800000, v150
                                        ; implicit-def: $vgpr150
	s_and_saveexec_b32 s2, vcc_lo
	s_xor_b32 s2, exec_lo, s2
; %bb.25:
	v_bfe_u32 v150, v153, 16, 1
	s_delay_alu instid0(VALU_DEP_1)
	v_add3_u32 v150, v153, v150, 0x7fff
                                        ; implicit-def: $vgpr153
; %bb.26:
	s_and_not1_saveexec_b32 s2, s2
; %bb.27:
	v_and_b32_e32 v150, 0xffff, v153
	v_or_b32_e32 v154, 0x10000, v153
	s_delay_alu instid0(VALU_DEP_2) | instskip(NEXT) | instid1(VALU_DEP_2)
	v_cmp_eq_u32_e32 vcc_lo, 0, v150
	v_cndmask_b32_e32 v150, v154, v153, vcc_lo
; %bb.28:
	s_or_b32 exec_lo, exec_lo, s2
	v_and_b32_e32 v153, 0x7f800000, v152
	s_delay_alu instid0(VALU_DEP_1) | instskip(SKIP_1) | instid1(SALU_CYCLE_1)
	v_cmp_ne_u32_e32 vcc_lo, 0x7f800000, v153
                                        ; implicit-def: $vgpr153
	s_and_saveexec_b32 s2, vcc_lo
	s_xor_b32 s2, exec_lo, s2
; %bb.29:
	v_bfe_u32 v153, v152, 16, 1
	s_delay_alu instid0(VALU_DEP_1)
	v_add3_u32 v153, v152, v153, 0x7fff
                                        ; implicit-def: $vgpr152
; %bb.30:
	s_and_not1_saveexec_b32 s2, s2
; %bb.31:
	v_and_b32_e32 v153, 0xffff, v152
	v_or_b32_e32 v154, 0x10000, v152
	s_delay_alu instid0(VALU_DEP_2) | instskip(NEXT) | instid1(VALU_DEP_2)
	v_cmp_eq_u32_e32 vcc_lo, 0, v153
	v_cndmask_b32_e32 v153, v154, v152, vcc_lo
; %bb.32:
	s_or_b32 exec_lo, exec_lo, s2
	v_and_b32_e32 v152, 0x7f800000, v151
	s_delay_alu instid0(VALU_DEP_1) | instskip(SKIP_1) | instid1(SALU_CYCLE_1)
	v_cmp_ne_u32_e32 vcc_lo, 0x7f800000, v152
                                        ; implicit-def: $vgpr152
	s_and_saveexec_b32 s2, vcc_lo
	s_xor_b32 s2, exec_lo, s2
; %bb.33:
	v_bfe_u32 v152, v151, 16, 1
	s_delay_alu instid0(VALU_DEP_1)
	v_add3_u32 v152, v151, v152, 0x7fff
                                        ; implicit-def: $vgpr151
; %bb.34:
	s_and_not1_saveexec_b32 s2, s2
; %bb.35:
	v_and_b32_e32 v152, 0xffff, v151
	v_or_b32_e32 v154, 0x10000, v151
	s_delay_alu instid0(VALU_DEP_2) | instskip(NEXT) | instid1(VALU_DEP_2)
	v_cmp_eq_u32_e32 vcc_lo, 0, v152
	v_cndmask_b32_e32 v152, v154, v151, vcc_lo
; %bb.36:
	s_or_b32 exec_lo, exec_lo, s2
	v_and_b32_e32 v151, 0x7f800000, v148
	s_delay_alu instid0(VALU_DEP_1) | instskip(SKIP_1) | instid1(SALU_CYCLE_1)
	v_cmp_ne_u32_e32 vcc_lo, 0x7f800000, v151
                                        ; implicit-def: $vgpr151
	s_and_saveexec_b32 s2, vcc_lo
	s_xor_b32 s2, exec_lo, s2
; %bb.37:
	v_bfe_u32 v151, v148, 16, 1
	s_delay_alu instid0(VALU_DEP_1)
	v_add3_u32 v151, v148, v151, 0x7fff
                                        ; implicit-def: $vgpr148
; %bb.38:
	s_and_not1_saveexec_b32 s2, s2
; %bb.39:
	v_and_b32_e32 v151, 0xffff, v148
	v_or_b32_e32 v154, 0x10000, v148
	s_delay_alu instid0(VALU_DEP_2) | instskip(NEXT) | instid1(VALU_DEP_2)
	v_cmp_eq_u32_e32 vcc_lo, 0, v151
	v_cndmask_b32_e32 v151, v154, v148, vcc_lo
; %bb.40:
	s_or_b32 exec_lo, exec_lo, s2
	v_and_b32_e32 v148, 0x7f800000, v144
	s_delay_alu instid0(VALU_DEP_1) | instskip(SKIP_1) | instid1(SALU_CYCLE_1)
	v_cmp_ne_u32_e32 vcc_lo, 0x7f800000, v148
                                        ; implicit-def: $vgpr148
	s_and_saveexec_b32 s2, vcc_lo
	s_xor_b32 s2, exec_lo, s2
; %bb.41:
	v_bfe_u32 v148, v144, 16, 1
	s_delay_alu instid0(VALU_DEP_1)
	v_add3_u32 v148, v144, v148, 0x7fff
                                        ; implicit-def: $vgpr144
; %bb.42:
	s_and_not1_saveexec_b32 s2, s2
; %bb.43:
	v_and_b32_e32 v148, 0xffff, v144
	v_or_b32_e32 v154, 0x10000, v144
	s_delay_alu instid0(VALU_DEP_2) | instskip(NEXT) | instid1(VALU_DEP_2)
	v_cmp_eq_u32_e32 vcc_lo, 0, v148
	v_cndmask_b32_e32 v148, v154, v144, vcc_lo
; %bb.44:
	s_or_b32 exec_lo, exec_lo, s2
	s_load_b64 s[34:35], s[0:1], 0x94
	v_lshlrev_b32_e32 v155, 4, v138
	s_delay_alu instid0(VALU_DEP_2)
	v_perm_b32 v154, v148, v151, 0x7060302
	v_mul_f32_e32 v148, v142, v131
	v_dual_mul_f32 v145, v142, v145 :: v_dual_lshlrev_b32 v144, 6, v140
	v_dual_mul_f32 v143, v142, v143 :: v_dual_lshlrev_b32 v156, 11, v141
	v_perm_b32 v153, v152, v153, 0x7060302
	v_perm_b32 v152, v150, v149, 0x7060302
	;; [unrolled: 1-line block ×3, first 2 shown]
	s_delay_alu instid0(VALU_DEP_4)
	v_or3_b32 v131, v155, v156, v144
	v_mul_f32_e32 v136, v142, v136
	v_dual_mul_f32 v146, v142, v134 :: v_dual_and_b32 v149, 0x7f800000, v148
	v_mul_f32_e32 v135, v142, v135
	v_mul_f32_e32 v147, v142, v133
	;; [unrolled: 1-line block ×3, first 2 shown]
	s_mov_b32 s2, exec_lo
	ds_store_b128 v131, v[151:154]
                                        ; implicit-def: $vgpr132
	v_cmpx_ne_u32_e32 0x7f800000, v149
	s_xor_b32 s2, exec_lo, s2
; %bb.45:
	v_bfe_u32 v132, v148, 16, 1
	s_delay_alu instid0(VALU_DEP_1)
	v_add3_u32 v132, v148, v132, 0x7fff
                                        ; implicit-def: $vgpr148
; %bb.46:
	s_and_not1_saveexec_b32 s2, s2
; %bb.47:
	v_and_b32_e32 v132, 0xffff, v148
	v_or_b32_e32 v133, 0x10000, v148
	s_delay_alu instid0(VALU_DEP_2) | instskip(NEXT) | instid1(VALU_DEP_2)
	v_cmp_eq_u32_e32 vcc_lo, 0, v132
	v_cndmask_b32_e32 v132, v133, v148, vcc_lo
; %bb.48:
	s_or_b32 exec_lo, exec_lo, s2
	v_and_b32_e32 v133, 0x7f800000, v134
	s_delay_alu instid0(VALU_DEP_1) | instskip(SKIP_1) | instid1(SALU_CYCLE_1)
	v_cmp_ne_u32_e32 vcc_lo, 0x7f800000, v133
                                        ; implicit-def: $vgpr133
	s_and_saveexec_b32 s2, vcc_lo
	s_xor_b32 s2, exec_lo, s2
; %bb.49:
	v_bfe_u32 v133, v134, 16, 1
	s_delay_alu instid0(VALU_DEP_1)
	v_add3_u32 v133, v134, v133, 0x7fff
                                        ; implicit-def: $vgpr134
; %bb.50:
	s_and_not1_saveexec_b32 s2, s2
; %bb.51:
	v_and_b32_e32 v133, 0xffff, v134
	v_or_b32_e32 v142, 0x10000, v134
	s_delay_alu instid0(VALU_DEP_2) | instskip(NEXT) | instid1(VALU_DEP_2)
	v_cmp_eq_u32_e32 vcc_lo, 0, v133
	v_cndmask_b32_e32 v133, v142, v134, vcc_lo
; %bb.52:
	s_or_b32 exec_lo, exec_lo, s2
	v_and_b32_e32 v134, 0x7f800000, v147
	s_delay_alu instid0(VALU_DEP_1) | instskip(SKIP_1) | instid1(SALU_CYCLE_1)
	v_cmp_ne_u32_e32 vcc_lo, 0x7f800000, v134
                                        ; implicit-def: $vgpr134
	s_and_saveexec_b32 s2, vcc_lo
	s_xor_b32 s2, exec_lo, s2
; %bb.53:
	v_bfe_u32 v134, v147, 16, 1
	s_delay_alu instid0(VALU_DEP_1)
	v_add3_u32 v134, v147, v134, 0x7fff
                                        ; implicit-def: $vgpr147
; %bb.54:
	s_and_not1_saveexec_b32 s2, s2
; %bb.55:
	v_and_b32_e32 v134, 0xffff, v147
	v_or_b32_e32 v142, 0x10000, v147
	s_delay_alu instid0(VALU_DEP_2) | instskip(NEXT) | instid1(VALU_DEP_2)
	v_cmp_eq_u32_e32 vcc_lo, 0, v134
	v_cndmask_b32_e32 v134, v142, v147, vcc_lo
; %bb.56:
	s_or_b32 exec_lo, exec_lo, s2
	v_and_b32_e32 v142, 0x7f800000, v146
	s_delay_alu instid0(VALU_DEP_1) | instskip(SKIP_1) | instid1(SALU_CYCLE_1)
	v_cmp_ne_u32_e32 vcc_lo, 0x7f800000, v142
                                        ; implicit-def: $vgpr142
	s_and_saveexec_b32 s2, vcc_lo
	s_xor_b32 s2, exec_lo, s2
; %bb.57:
	v_bfe_u32 v142, v146, 16, 1
	s_delay_alu instid0(VALU_DEP_1)
	v_add3_u32 v142, v146, v142, 0x7fff
                                        ; implicit-def: $vgpr146
; %bb.58:
	s_and_not1_saveexec_b32 s2, s2
; %bb.59:
	v_and_b32_e32 v142, 0xffff, v146
	v_or_b32_e32 v147, 0x10000, v146
	s_delay_alu instid0(VALU_DEP_2) | instskip(NEXT) | instid1(VALU_DEP_2)
	v_cmp_eq_u32_e32 vcc_lo, 0, v142
	v_cndmask_b32_e32 v142, v147, v146, vcc_lo
; %bb.60:
	s_or_b32 exec_lo, exec_lo, s2
	v_and_b32_e32 v146, 0x7f800000, v135
	s_delay_alu instid0(VALU_DEP_1) | instskip(SKIP_1) | instid1(SALU_CYCLE_1)
	v_cmp_ne_u32_e32 vcc_lo, 0x7f800000, v146
                                        ; implicit-def: $vgpr146
	s_and_saveexec_b32 s2, vcc_lo
	s_xor_b32 s2, exec_lo, s2
; %bb.61:
	v_bfe_u32 v146, v135, 16, 1
	s_delay_alu instid0(VALU_DEP_1)
	v_add3_u32 v146, v135, v146, 0x7fff
                                        ; implicit-def: $vgpr135
; %bb.62:
	s_and_not1_saveexec_b32 s2, s2
; %bb.63:
	v_and_b32_e32 v146, 0xffff, v135
	v_or_b32_e32 v147, 0x10000, v135
	s_delay_alu instid0(VALU_DEP_2) | instskip(NEXT) | instid1(VALU_DEP_2)
	v_cmp_eq_u32_e32 vcc_lo, 0, v146
	v_cndmask_b32_e32 v146, v147, v135, vcc_lo
; %bb.64:
	s_or_b32 exec_lo, exec_lo, s2
	v_and_b32_e32 v135, 0x7f800000, v136
	s_delay_alu instid0(VALU_DEP_1) | instskip(SKIP_1) | instid1(SALU_CYCLE_1)
	v_cmp_ne_u32_e32 vcc_lo, 0x7f800000, v135
                                        ; implicit-def: $vgpr135
	s_and_saveexec_b32 s2, vcc_lo
	s_xor_b32 s2, exec_lo, s2
; %bb.65:
	v_bfe_u32 v135, v136, 16, 1
	s_delay_alu instid0(VALU_DEP_1)
	v_add3_u32 v135, v136, v135, 0x7fff
                                        ; implicit-def: $vgpr136
; %bb.66:
	s_and_not1_saveexec_b32 s2, s2
; %bb.67:
	v_and_b32_e32 v135, 0xffff, v136
	v_or_b32_e32 v147, 0x10000, v136
	s_delay_alu instid0(VALU_DEP_2) | instskip(NEXT) | instid1(VALU_DEP_2)
	v_cmp_eq_u32_e32 vcc_lo, 0, v135
	v_cndmask_b32_e32 v135, v147, v136, vcc_lo
; %bb.68:
	s_or_b32 exec_lo, exec_lo, s2
	v_and_b32_e32 v136, 0x7f800000, v143
	s_delay_alu instid0(VALU_DEP_1) | instskip(SKIP_1) | instid1(SALU_CYCLE_1)
	v_cmp_ne_u32_e32 vcc_lo, 0x7f800000, v136
                                        ; implicit-def: $vgpr136
	s_and_saveexec_b32 s2, vcc_lo
	s_xor_b32 s2, exec_lo, s2
; %bb.69:
	v_bfe_u32 v136, v143, 16, 1
	s_delay_alu instid0(VALU_DEP_1)
	v_add3_u32 v136, v143, v136, 0x7fff
                                        ; implicit-def: $vgpr143
; %bb.70:
	s_and_not1_saveexec_b32 s2, s2
; %bb.71:
	v_and_b32_e32 v136, 0xffff, v143
	v_or_b32_e32 v147, 0x10000, v143
	s_delay_alu instid0(VALU_DEP_2) | instskip(NEXT) | instid1(VALU_DEP_2)
	v_cmp_eq_u32_e32 vcc_lo, 0, v136
	v_cndmask_b32_e32 v136, v147, v143, vcc_lo
; %bb.72:
	s_or_b32 exec_lo, exec_lo, s2
	v_and_b32_e32 v143, 0x7f800000, v145
	s_delay_alu instid0(VALU_DEP_1) | instskip(SKIP_1) | instid1(SALU_CYCLE_1)
	v_cmp_ne_u32_e32 vcc_lo, 0x7f800000, v143
                                        ; implicit-def: $vgpr143
	s_and_saveexec_b32 s2, vcc_lo
	s_xor_b32 s2, exec_lo, s2
; %bb.73:
	v_bfe_u32 v143, v145, 16, 1
	s_delay_alu instid0(VALU_DEP_1)
	v_add3_u32 v143, v145, v143, 0x7fff
                                        ; implicit-def: $vgpr145
; %bb.74:
	s_and_not1_saveexec_b32 s2, s2
; %bb.75:
	v_and_b32_e32 v143, 0xffff, v145
	v_or_b32_e32 v147, 0x10000, v145
	s_delay_alu instid0(VALU_DEP_2) | instskip(NEXT) | instid1(VALU_DEP_2)
	v_cmp_eq_u32_e32 vcc_lo, 0, v143
	v_cndmask_b32_e32 v143, v147, v145, vcc_lo
; %bb.76:
	s_or_b32 exec_lo, exec_lo, s2
	s_delay_alu instid0(VALU_DEP_1)
	v_perm_b32 v136, v143, v136, 0x7060302
	v_perm_b32 v135, v135, v146, 0x7060302
	v_perm_b32 v134, v142, v134, 0x7060302
	v_perm_b32 v133, v133, v132, 0x7060302
	v_lshl_or_b32 v145, v141, 11, v144
	v_lshlrev_b32_e32 v142, 2, v138
	ds_store_b128 v131, v[133:136] offset:1024
	s_waitcnt lgkmcnt(0)
	s_barrier
	buffer_gl0_inv
	ds_load_b128 v[132:135], v145
	ds_load_b128 v[147:150], v145 offset:16
	v_or_b32_e32 v143, 1, v142
	v_cmp_eq_u32_e64 s11, 1, v142
	v_cmp_eq_u32_e64 s10, 2, v142
	;; [unrolled: 1-line block ×3, first 2 shown]
	v_or_b32_e32 v141, 2, v142
	v_cmp_eq_u32_e64 s6, 1, v143
	v_cmp_eq_u32_e64 s5, 2, v143
	;; [unrolled: 1-line block ×8, first 2 shown]
	v_cmp_eq_u32_e32 vcc_lo, 5, v143
	v_cmp_eq_u32_e64 s9, 2, v141
	v_cmp_eq_u32_e64 s3, 6, v143
	;; [unrolled: 1-line block ×4, first 2 shown]
	s_waitcnt lgkmcnt(1)
	v_lshrrev_b32_e32 v136, 16, v132
	s_waitcnt lgkmcnt(0)
	v_lshrrev_b32_e32 v155, 16, v147
	v_lshrrev_b32_e32 v161, 16, v148
	;; [unrolled: 1-line block ×4, first 2 shown]
	v_cndmask_b32_e64 v146, v132, v136, s11
	v_cndmask_b32_e64 v151, v147, v155, s11
	;; [unrolled: 1-line block ×4, first 2 shown]
	v_lshrrev_b32_e32 v160, 16, v134
	v_cndmask_b32_e64 v146, v146, v133, s10
	v_cndmask_b32_e64 v151, v151, v148, s10
	;; [unrolled: 1-line block ×8, first 2 shown]
	v_lshrrev_b32_e32 v164, 16, v150
	v_cndmask_b32_e64 v153, v153, v161, s4
	v_cndmask_b32_e64 v146, v146, v134, s16
	;; [unrolled: 1-line block ×5, first 2 shown]
	v_lshrrev_b32_e32 v162, 16, v135
	v_cndmask_b32_e64 v146, v146, v160, s12
	v_cndmask_b32_e64 v151, v151, v163, s12
	v_cndmask_b32_e32 v152, v152, v160, vcc_lo
	v_cndmask_b32_e64 v153, v153, v149, s2
	v_cmp_eq_u32_e64 s18, 7, v143
	v_cndmask_b32_e64 v146, v146, v135, s13
	v_cndmask_b32_e64 v151, v151, v150, s13
	;; [unrolled: 1-line block ×4, first 2 shown]
	v_cmp_eq_u32_e64 s19, 4, v141
	v_cndmask_b32_e64 v165, v146, v162, s8
	v_cndmask_b32_e64 v166, v151, v164, s8
	v_cndmask_b32_e64 v151, v147, v155, s7
	v_or_b32_e32 v146, 3, v142
	v_cndmask_b32_e64 v167, v152, v162, s18
	v_cndmask_b32_e32 v156, v153, v163, vcc_lo
	v_cndmask_b32_e64 v158, v154, v134, s19
	v_cndmask_b32_e64 v157, v151, v148, s9
	ds_load_b128 v[151:154], v145 offset:1024
	v_cmp_eq_u32_e64 s20, 1, v146
	v_cmp_eq_u32_e64 s21, 5, v141
	;; [unrolled: 1-line block ×3, first 2 shown]
	v_cndmask_b32_e64 v157, v157, v161, s17
	v_cmp_eq_u32_e64 s23, 3, v146
	v_cndmask_b32_e64 v132, v132, v136, s20
	v_cndmask_b32_e64 v136, v156, v150, s3
	;; [unrolled: 1-line block ×5, first 2 shown]
	ds_load_b128 v[155:158], v145 offset:1040
	v_cndmask_b32_e64 v132, v132, v133, s22
	v_cmp_eq_u32_e64 s25, 4, v146
	v_cmp_eq_u32_e64 s27, 5, v146
	v_cndmask_b32_e64 v147, v147, v148, s22
	v_cmp_eq_u32_e64 s24, 6, v141
	v_cndmask_b32_e64 v132, v132, v159, s23
	v_cmp_eq_u32_e64 s28, 6, v146
	v_cndmask_b32_e64 v133, v169, v163, s21
	v_cndmask_b32_e64 v147, v147, v161, s23
	s_waitcnt lgkmcnt(1)
	v_lshrrev_b32_e32 v159, 16, v151
	v_cndmask_b32_e64 v132, v132, v134, s25
	v_cndmask_b32_e64 v148, v168, v135, s24
	;; [unrolled: 1-line block ×6, first 2 shown]
	v_lshrrev_b32_e32 v160, 16, v152
	v_cndmask_b32_e64 v161, v151, v159, s6
	v_cndmask_b32_e64 v134, v134, v163, s27
	s_waitcnt lgkmcnt(0)
	v_lshrrev_b32_e32 v149, 16, v155
	v_cndmask_b32_e64 v147, v147, v152, s10
	v_cndmask_b32_e64 v132, v132, v135, s28
	v_cmp_eq_u32_e64 s26, 7, v141
	v_cndmask_b32_e64 v134, v134, v150, s28
	v_cndmask_b32_e64 v163, v155, v149, s11
	;; [unrolled: 1-line block ×4, first 2 shown]
	v_lshrrev_b32_e32 v161, 16, v156
	v_cndmask_b32_e64 v136, v136, v164, s18
	v_cndmask_b32_e64 v150, v163, v156, s10
	v_cmp_eq_u32_e64 s10, 7, v146
	v_cndmask_b32_e64 v147, v147, v160, s4
	v_cndmask_b32_e64 v135, v135, v153, s16
	v_lshrrev_b32_e32 v163, 16, v153
	v_cndmask_b32_e64 v150, v150, v161, s15
	v_cndmask_b32_e64 v132, v132, v162, s10
	;; [unrolled: 1-line block ×8, first 2 shown]
	v_lshrrev_b32_e32 v164, 16, v157
	v_perm_b32 v135, v134, v132, 0x5040100
	v_cndmask_b32_e32 v132, v147, v163, vcc_lo
	v_cndmask_b32_e64 v147, v162, v154, s13
	v_lshrrev_b32_e32 v162, 16, v154
	v_cndmask_b32_e64 v150, v150, v164, s12
	v_perm_b32 v134, v133, v148, 0x5040100
	v_cndmask_b32_e64 v132, v132, v154, s3
	v_perm_b32 v133, v136, v167, 0x5040100
	v_cndmask_b32_e64 v136, v147, v162, s8
	v_cndmask_b32_e64 v147, v150, v158, s13
	;; [unrolled: 1-line block ×27, first 2 shown]
	v_cndmask_b32_e32 v149, v149, v164, vcc_lo
	v_lshrrev_b32_e32 v148, 16, v158
	v_cndmask_b32_e64 v132, v132, v154, s24
	v_cndmask_b32_e64 v150, v150, v154, s28
	;; [unrolled: 1-line block ×11, first 2 shown]
	v_perm_b32 v132, v166, v165, 0x5040100
	v_perm_b32 v150, v151, v150, 0x5040100
	;; [unrolled: 1-line block ×5, first 2 shown]
	s_mul_i32 s7, s35, 10
	s_mov_b32 s2, exec_lo
	ds_store_b128 v131, v[132:135]
	ds_store_b128 v131, v[147:150] offset:1024
	v_cmpx_gt_u32_e32 10, v0
	s_cbranch_execz .LBB587_78
; %bb.77:
	s_mul_i32 s3, s7, s30
	s_load_b128 s[8:11], s[0:1], 0x58
	v_add3_u32 v133, s3, s29, v140
	s_delay_alu instid0(VALU_DEP_1) | instskip(NEXT) | instid1(VALU_DEP_1)
	v_mad_u64_u32 v[131:132], null, v133, s34, s[14:15]
	v_ashrrev_i32_e32 v132, 31, v131
	s_delay_alu instid0(VALU_DEP_1) | instskip(SKIP_1) | instid1(VALU_DEP_1)
	v_lshlrev_b64 v[131:132], 2, v[131:132]
	s_waitcnt lgkmcnt(0)
	v_add_co_u32 v133, vcc_lo, s10, v131
	s_delay_alu instid0(VALU_DEP_2)
	v_add_co_ci_u32_e32 v134, vcc_lo, s11, v132, vcc_lo
	v_add_co_u32 v131, vcc_lo, s8, v131
	v_add_co_ci_u32_e32 v132, vcc_lo, s9, v132, vcc_lo
	global_store_b32 v[133:134], v129, off
	global_store_b32 v[131:132], v130, off
.LBB587_78:
	s_or_b32 exec_lo, exec_lo, s2
	s_waitcnt lgkmcnt(0)
	s_waitcnt_vscnt null, 0x0
	s_barrier
	buffer_gl0_inv
	ds_load_b128 v[147:150], v144
	ds_load_b128 v[151:154], v144 offset:16
	ds_load_b128 v[159:162], v144 offset:1040
	;; [unrolled: 1-line block ×3, first 2 shown]
	v_mov_b32_e32 v129, 0
	ds_load_b128 v[167:170], v144 offset:2064
	ds_load_b128 v[163:166], v144 offset:2048
	;; [unrolled: 1-line block ×6, first 2 shown]
	v_mov_b32_e32 v130, v129
	v_mov_b32_e32 v131, v129
	;; [unrolled: 1-line block ×7, first 2 shown]
	s_waitcnt lgkmcnt(8)
	s_delay_alu instid0(VALU_DEP_1)
	v_wmma_f32_16x16x16_bf16 v[129:136], v[121:128], v[147:154], v[129:136]
	ds_load_b128 v[125:128], v144 offset:5136
	ds_load_b128 v[121:124], v144 offset:5120
	s_waitcnt lgkmcnt(8)
	v_wmma_f32_16x16x16_bf16 v[129:136], v[113:120], v[155:162], v[129:136]
	ds_load_b128 v[117:120], v144 offset:6160
	ds_load_b128 v[113:116], v144 offset:6144
	s_waitcnt lgkmcnt(8)
	;; [unrolled: 4-line block ×8, first 2 shown]
	v_wmma_f32_16x16x16_bf16 v[129:136], v[65:72], v[97:104], v[129:136]
	s_waitcnt lgkmcnt(6)
	s_delay_alu instid0(VALU_DEP_1)
	v_wmma_f32_16x16x16_bf16 v[129:136], v[49:56], v[89:96], v[129:136]
	ds_load_b128 v[53:56], v144 offset:13328
	ds_load_b128 v[49:52], v144 offset:13312
	s_waitcnt lgkmcnt(6)
	v_wmma_f32_16x16x16_bf16 v[129:136], v[41:48], v[81:88], v[129:136]
	ds_load_b128 v[45:48], v144 offset:14352
	ds_load_b128 v[41:44], v144 offset:14336
	s_waitcnt lgkmcnt(6)
	;; [unrolled: 4-line block ×3, first 2 shown]
	v_wmma_f32_16x16x16_bf16 v[129:136], v[1:8], v[57:64], v[129:136]
	s_waitcnt lgkmcnt(4)
	s_delay_alu instid0(VALU_DEP_1) | instskip(SKIP_1) | instid1(VALU_DEP_1)
	v_wmma_f32_16x16x16_bf16 v[129:136], v[25:32], v[49:56], v[129:136]
	s_waitcnt lgkmcnt(2)
	v_wmma_f32_16x16x16_bf16 v[129:136], v[33:40], v[41:48], v[129:136]
	s_waitcnt lgkmcnt(0)
	s_delay_alu instid0(VALU_DEP_1) | instskip(NEXT) | instid1(VALU_DEP_1)
	v_wmma_f32_16x16x16_bf16 v[129:136], v[9:16], v[17:24], v[129:136]
	v_and_b32_e32 v1, 0x7f800000, v129
	s_delay_alu instid0(VALU_DEP_1) | instskip(SKIP_1) | instid1(SALU_CYCLE_1)
	v_cmp_ne_u32_e32 vcc_lo, 0x7f800000, v1
                                        ; implicit-def: $vgpr1
	s_and_saveexec_b32 s2, vcc_lo
	s_xor_b32 s2, exec_lo, s2
; %bb.79:
	v_bfe_u32 v1, v129, 16, 1
	s_delay_alu instid0(VALU_DEP_1)
	v_add3_u32 v1, v129, v1, 0x7fff
; %bb.80:
	s_and_not1_saveexec_b32 s2, s2
; %bb.81:
	v_and_b32_e32 v1, 0xffff, v129
	v_or_b32_e32 v2, 0x10000, v129
	s_delay_alu instid0(VALU_DEP_2) | instskip(NEXT) | instid1(VALU_DEP_2)
	v_cmp_eq_u32_e32 vcc_lo, 0, v1
	v_cndmask_b32_e32 v1, v2, v129, vcc_lo
; %bb.82:
	s_or_b32 exec_lo, exec_lo, s2
	v_and_b32_e32 v2, 0x7f800000, v130
	s_delay_alu instid0(VALU_DEP_1) | instskip(SKIP_1) | instid1(SALU_CYCLE_1)
	v_cmp_ne_u32_e32 vcc_lo, 0x7f800000, v2
                                        ; implicit-def: $vgpr2
	s_and_saveexec_b32 s2, vcc_lo
	s_xor_b32 s2, exec_lo, s2
; %bb.83:
	v_bfe_u32 v2, v130, 16, 1
	s_delay_alu instid0(VALU_DEP_1)
	v_add3_u32 v2, v130, v2, 0x7fff
; %bb.84:
	s_and_not1_saveexec_b32 s2, s2
; %bb.85:
	v_and_b32_e32 v2, 0xffff, v130
	v_or_b32_e32 v3, 0x10000, v130
	s_delay_alu instid0(VALU_DEP_2) | instskip(NEXT) | instid1(VALU_DEP_2)
	v_cmp_eq_u32_e32 vcc_lo, 0, v2
	v_cndmask_b32_e32 v2, v3, v130, vcc_lo
; %bb.86:
	s_or_b32 exec_lo, exec_lo, s2
	v_and_b32_e32 v3, 0x7f800000, v131
	s_delay_alu instid0(VALU_DEP_1) | instskip(SKIP_1) | instid1(SALU_CYCLE_1)
	v_cmp_ne_u32_e32 vcc_lo, 0x7f800000, v3
                                        ; implicit-def: $vgpr3
	s_and_saveexec_b32 s2, vcc_lo
	s_xor_b32 s2, exec_lo, s2
; %bb.87:
	v_bfe_u32 v3, v131, 16, 1
	s_delay_alu instid0(VALU_DEP_1)
	v_add3_u32 v3, v131, v3, 0x7fff
; %bb.88:
	s_and_not1_saveexec_b32 s2, s2
; %bb.89:
	v_and_b32_e32 v3, 0xffff, v131
	v_or_b32_e32 v4, 0x10000, v131
	s_delay_alu instid0(VALU_DEP_2) | instskip(NEXT) | instid1(VALU_DEP_2)
	v_cmp_eq_u32_e32 vcc_lo, 0, v3
	v_cndmask_b32_e32 v3, v4, v131, vcc_lo
; %bb.90:
	s_or_b32 exec_lo, exec_lo, s2
	v_and_b32_e32 v4, 0x7f800000, v132
	s_delay_alu instid0(VALU_DEP_1) | instskip(SKIP_1) | instid1(SALU_CYCLE_1)
	v_cmp_ne_u32_e32 vcc_lo, 0x7f800000, v4
                                        ; implicit-def: $vgpr4
	s_and_saveexec_b32 s2, vcc_lo
	s_xor_b32 s2, exec_lo, s2
; %bb.91:
	v_bfe_u32 v4, v132, 16, 1
	s_delay_alu instid0(VALU_DEP_1)
	v_add3_u32 v4, v132, v4, 0x7fff
; %bb.92:
	s_and_not1_saveexec_b32 s2, s2
; %bb.93:
	v_and_b32_e32 v4, 0xffff, v132
	v_or_b32_e32 v5, 0x10000, v132
	s_delay_alu instid0(VALU_DEP_2) | instskip(NEXT) | instid1(VALU_DEP_2)
	v_cmp_eq_u32_e32 vcc_lo, 0, v4
	v_cndmask_b32_e32 v4, v5, v132, vcc_lo
; %bb.94:
	s_or_b32 exec_lo, exec_lo, s2
	v_and_b32_e32 v5, 0x7f800000, v133
	s_delay_alu instid0(VALU_DEP_1) | instskip(SKIP_1) | instid1(SALU_CYCLE_1)
	v_cmp_ne_u32_e32 vcc_lo, 0x7f800000, v5
                                        ; implicit-def: $vgpr5
	s_and_saveexec_b32 s2, vcc_lo
	s_xor_b32 s2, exec_lo, s2
; %bb.95:
	v_bfe_u32 v5, v133, 16, 1
	s_delay_alu instid0(VALU_DEP_1)
	v_add3_u32 v5, v133, v5, 0x7fff
; %bb.96:
	s_and_not1_saveexec_b32 s2, s2
; %bb.97:
	v_and_b32_e32 v5, 0xffff, v133
	v_or_b32_e32 v6, 0x10000, v133
	s_delay_alu instid0(VALU_DEP_2) | instskip(NEXT) | instid1(VALU_DEP_2)
	v_cmp_eq_u32_e32 vcc_lo, 0, v5
	v_cndmask_b32_e32 v5, v6, v133, vcc_lo
; %bb.98:
	s_or_b32 exec_lo, exec_lo, s2
	v_and_b32_e32 v6, 0x7f800000, v134
	s_delay_alu instid0(VALU_DEP_1) | instskip(SKIP_1) | instid1(SALU_CYCLE_1)
	v_cmp_ne_u32_e32 vcc_lo, 0x7f800000, v6
                                        ; implicit-def: $vgpr6
	s_and_saveexec_b32 s2, vcc_lo
	s_xor_b32 s2, exec_lo, s2
; %bb.99:
	v_bfe_u32 v6, v134, 16, 1
	s_delay_alu instid0(VALU_DEP_1)
	v_add3_u32 v6, v134, v6, 0x7fff
; %bb.100:
	s_and_not1_saveexec_b32 s2, s2
; %bb.101:
	v_and_b32_e32 v6, 0xffff, v134
	v_or_b32_e32 v7, 0x10000, v134
	s_delay_alu instid0(VALU_DEP_2) | instskip(NEXT) | instid1(VALU_DEP_2)
	v_cmp_eq_u32_e32 vcc_lo, 0, v6
	v_cndmask_b32_e32 v6, v7, v134, vcc_lo
; %bb.102:
	s_or_b32 exec_lo, exec_lo, s2
	v_and_b32_e32 v7, 0x7f800000, v135
	s_delay_alu instid0(VALU_DEP_1) | instskip(SKIP_1) | instid1(SALU_CYCLE_1)
	v_cmp_ne_u32_e32 vcc_lo, 0x7f800000, v7
                                        ; implicit-def: $vgpr7
	s_and_saveexec_b32 s2, vcc_lo
	s_xor_b32 s2, exec_lo, s2
; %bb.103:
	v_bfe_u32 v7, v135, 16, 1
	s_delay_alu instid0(VALU_DEP_1)
	v_add3_u32 v7, v135, v7, 0x7fff
; %bb.104:
	s_and_not1_saveexec_b32 s2, s2
; %bb.105:
	v_and_b32_e32 v7, 0xffff, v135
	v_or_b32_e32 v8, 0x10000, v135
	s_delay_alu instid0(VALU_DEP_2) | instskip(NEXT) | instid1(VALU_DEP_2)
	v_cmp_eq_u32_e32 vcc_lo, 0, v7
	v_cndmask_b32_e32 v7, v8, v135, vcc_lo
; %bb.106:
	s_or_b32 exec_lo, exec_lo, s2
	v_and_b32_e32 v8, 0x7f800000, v136
	s_delay_alu instid0(VALU_DEP_1) | instskip(SKIP_1) | instid1(SALU_CYCLE_1)
	v_cmp_ne_u32_e32 vcc_lo, 0x7f800000, v8
                                        ; implicit-def: $vgpr8
	s_and_saveexec_b32 s2, vcc_lo
	s_xor_b32 s2, exec_lo, s2
; %bb.107:
	v_bfe_u32 v8, v136, 16, 1
	s_delay_alu instid0(VALU_DEP_1)
	v_add3_u32 v8, v136, v8, 0x7fff
                                        ; implicit-def: $vgpr129_vgpr130_vgpr131_vgpr132_vgpr133_vgpr134_vgpr135_vgpr136
; %bb.108:
	s_and_not1_saveexec_b32 s2, s2
; %bb.109:
	v_and_b32_e32 v8, 0xffff, v136
	v_or_b32_e32 v9, 0x10000, v136
	s_delay_alu instid0(VALU_DEP_2) | instskip(NEXT) | instid1(VALU_DEP_2)
	v_cmp_eq_u32_e32 vcc_lo, 0, v8
	v_cndmask_b32_e32 v8, v9, v136, vcc_lo
; %bb.110:
	s_or_b32 exec_lo, exec_lo, s2
	s_delay_alu instid0(VALU_DEP_1)
	v_perm_b32 v7, v8, v7, 0x7060302
	v_perm_b32 v6, v6, v5, 0x7060302
	;; [unrolled: 1-line block ×4, first 2 shown]
	v_lshl_or_b32 v9, v138, 4, v145
	s_barrier
	buffer_gl0_inv
	v_cmp_eq_u32_e32 vcc_lo, 1, v142
	ds_store_b128 v9, v[4:7]
	s_waitcnt lgkmcnt(0)
	s_barrier
	buffer_gl0_inv
	ds_load_b128 v[1:4], v145
	ds_load_b128 v[5:8], v145 offset:16
	v_cmp_eq_u32_e64 s3, 2, v142
	v_cmp_eq_u32_e64 s2, 1, v143
	v_cmp_eq_u32_e64 s4, 3, v142
	v_cmp_eq_u32_e64 s6, 2, v141
	v_cmp_eq_u32_e64 s5, 7, v143
	s_waitcnt lgkmcnt(1)
	v_lshrrev_b32_e32 v10, 16, v1
	s_waitcnt lgkmcnt(0)
	v_lshrrev_b32_e32 v14, 16, v5
	v_lshrrev_b32_e32 v15, 16, v6
	;; [unrolled: 1-line block ×4, first 2 shown]
	v_cndmask_b32_e64 v20, v1, v10, s2
	v_cndmask_b32_e32 v19, v5, v14, vcc_lo
	v_cndmask_b32_e64 v21, v5, v14, s2
	v_lshrrev_b32_e32 v16, 16, v7
	v_cmp_eq_u32_e64 s2, 1, v141
	v_lshrrev_b32_e32 v13, 16, v4
	v_cndmask_b32_e64 v19, v19, v6, s3
	v_lshrrev_b32_e32 v17, 16, v8
	s_delay_alu instid0(VALU_DEP_4) | instskip(SKIP_1) | instid1(VALU_DEP_4)
	v_cndmask_b32_e64 v22, v1, v10, s2
	v_cndmask_b32_e64 v23, v5, v14, s2
	;; [unrolled: 1-line block ×3, first 2 shown]
	v_cndmask_b32_e32 v18, v1, v10, vcc_lo
	v_cmp_eq_u32_e32 vcc_lo, 2, v143
	v_cmp_eq_u32_e64 s2, 2, v146
	v_cndmask_b32_e64 v22, v22, v2, s6
	v_cndmask_b32_e32 v20, v20, v2, vcc_lo
	v_cndmask_b32_e32 v21, v21, v6, vcc_lo
	v_cmp_eq_u32_e32 vcc_lo, 4, v142
	v_cndmask_b32_e32 v19, v19, v7, vcc_lo
	v_cndmask_b32_e64 v18, v18, v2, s3
	v_cmp_eq_u32_e64 s3, 3, v143
	s_delay_alu instid0(VALU_DEP_2) | instskip(NEXT) | instid1(VALU_DEP_2)
	v_cndmask_b32_e64 v18, v18, v11, s4
	v_cndmask_b32_e64 v21, v21, v15, s3
	v_cmp_eq_u32_e64 s4, 5, v142
	s_delay_alu instid0(VALU_DEP_3) | instskip(SKIP_1) | instid1(VALU_DEP_3)
	v_cndmask_b32_e32 v18, v18, v3, vcc_lo
	v_cmp_eq_u32_e32 vcc_lo, 4, v143
	v_cndmask_b32_e64 v19, v19, v16, s4
	s_delay_alu instid0(VALU_DEP_3) | instskip(SKIP_4) | instid1(VALU_DEP_3)
	v_cndmask_b32_e64 v18, v18, v12, s4
	v_cndmask_b32_e32 v21, v21, v7, vcc_lo
	v_cndmask_b32_e64 v20, v20, v11, s3
	v_cmp_eq_u32_e64 s3, 5, v143
	v_cmp_eq_u32_e64 s4, 6, v142
	v_cndmask_b32_e32 v20, v20, v3, vcc_lo
	s_delay_alu instid0(VALU_DEP_3) | instskip(SKIP_1) | instid1(VALU_DEP_4)
	v_cndmask_b32_e64 v21, v21, v16, s3
	v_cmp_eq_u32_e32 vcc_lo, 6, v143
	v_cndmask_b32_e64 v18, v18, v4, s4
	v_cndmask_b32_e64 v19, v19, v8, s4
	;; [unrolled: 1-line block ×3, first 2 shown]
	v_cmp_eq_u32_e64 s3, 1, v146
	v_cmp_eq_u32_e64 s4, 7, v142
	s_delay_alu instid0(VALU_DEP_3) | instskip(NEXT) | instid1(VALU_DEP_3)
	v_cndmask_b32_e32 v20, v20, v4, vcc_lo
	v_cndmask_b32_e64 v1, v1, v10, s3
	v_cndmask_b32_e64 v5, v5, v14, s3
	v_cmp_eq_u32_e64 s3, 3, v141
	v_cndmask_b32_e64 v14, v23, v6, s6
	v_cmp_eq_u32_e64 s6, 3, v146
	v_cndmask_b32_e64 v1, v1, v2, s2
	v_cndmask_b32_e64 v2, v5, v6, s2
	;; [unrolled: 1-line block ×3, first 2 shown]
	v_cmp_eq_u32_e64 s2, 4, v141
	v_cndmask_b32_e64 v6, v14, v15, s3
	v_cndmask_b32_e64 v1, v1, v11, s6
	v_cmp_eq_u32_e64 s3, 4, v146
	v_cndmask_b32_e64 v2, v2, v15, s6
	v_cndmask_b32_e64 v5, v10, v3, s2
	;; [unrolled: 3-line block ×3, first 2 shown]
	v_cndmask_b32_e64 v2, v2, v7, s3
	v_cmp_eq_u32_e64 s2, 5, v146
	v_cndmask_b32_e64 v5, v5, v12, s6
	v_cmp_eq_u32_e64 s3, 6, v141
	;; [unrolled: 2-line block ×3, first 2 shown]
	v_cndmask_b32_e64 v1, v1, v12, s2
	v_cndmask_b32_e64 v2, v2, v16, s2
	;; [unrolled: 1-line block ×4, first 2 shown]
	v_cmp_eq_u32_e64 s2, 7, v146
	v_cndmask_b32_e64 v1, v1, v4, s6
	v_cndmask_b32_e64 v2, v2, v8, s6
	v_cmp_eq_u32_e64 s3, 7, v141
	v_cndmask_b32_e32 v4, v21, v8, vcc_lo
	v_cndmask_b32_e64 v18, v18, v13, s4
	v_cndmask_b32_e64 v20, v20, v13, s5
	;; [unrolled: 1-line block ×8, first 2 shown]
	s_mov_b32 s2, exec_lo
	v_perm_b32 v4, v2, v1, 0x5040100
	v_perm_b32 v3, v3, v5, 0x5040100
	;; [unrolled: 1-line block ×4, first 2 shown]
	ds_store_b128 v9, v[1:4]
	s_waitcnt lgkmcnt(0)
	s_barrier
	buffer_gl0_inv
	v_cmpx_gt_u32_e32 32, v0
	s_cbranch_execz .LBB587_2
; %bb.111:
	s_load_b64 s[0:1], s[0:1], 0x68
	s_lshl_b32 s4, s34, 7
	v_or_b32_e32 v2, s29, v138
	s_mul_i32 s2, s4, s30
	v_lshlrev_b32_e32 v0, 10, v0
	s_mul_i32 s2, s2, s7
	v_lshlrev_b32_e32 v1, 4, v139
	s_ashr_i32 s3, s2, 31
	v_mul_lo_u32 v20, v2, s4
	s_lshl_b64 s[2:3], s[2:3], 1
	v_lshlrev_b32_e32 v3, 6, v138
	v_and_b32_e32 v0, 0x3800, v0
	s_delay_alu instid0(VALU_DEP_1) | instskip(NEXT) | instid1(VALU_DEP_4)
	v_or3_b32 v16, v0, v1, v3
	v_ashrrev_i32_e32 v21, 31, v20
	ds_load_b128 v[0:3], v16
	ds_load_b128 v[4:7], v16 offset:128
	s_waitcnt lgkmcnt(0)
	s_add_u32 s2, s0, s2
	s_addc_u32 s3, s1, s3
	s_lshl_b32 s0, s14, 7
	ds_load_b128 v[8:11], v16 offset:256
	ds_load_b128 v[12:15], v16 offset:384
	;; [unrolled: 1-line block ×3, first 2 shown]
	s_ashr_i32 s1, s0, 31
	s_delay_alu instid0(SALU_CYCLE_1) | instskip(NEXT) | instid1(SALU_CYCLE_1)
	s_lshl_b64 s[0:1], s[0:1], 1
	s_add_u32 s0, s2, s0
	s_addc_u32 s1, s3, s1
	s_lshl_b32 s2, s34, 8
	v_add_co_u32 v30, s0, s0, v137
	v_add_nc_u32_e32 v22, s2, v20
	v_lshlrev_b64 v[20:21], 1, v[20:21]
	v_add_co_ci_u32_e64 v31, null, s1, 0, s0
	s_delay_alu instid0(VALU_DEP_3) | instskip(SKIP_1) | instid1(VALU_DEP_4)
	v_add_nc_u32_e32 v24, s2, v22
	v_ashrrev_i32_e32 v23, 31, v22
	v_add_co_u32 v20, vcc_lo, v30, v20
	s_delay_alu instid0(VALU_DEP_4) | instskip(NEXT) | instid1(VALU_DEP_4)
	v_add_co_ci_u32_e32 v21, vcc_lo, v31, v21, vcc_lo
	v_add_nc_u32_e32 v26, s2, v24
	v_ashrrev_i32_e32 v25, 31, v24
	v_lshlrev_b64 v[22:23], 1, v[22:23]
	s_delay_alu instid0(VALU_DEP_3) | instskip(SKIP_1) | instid1(VALU_DEP_4)
	v_add_nc_u32_e32 v28, s2, v26
	v_ashrrev_i32_e32 v27, 31, v26
	v_lshlrev_b64 v[24:25], 1, v[24:25]
	s_delay_alu instid0(VALU_DEP_4) | instskip(NEXT) | instid1(VALU_DEP_4)
	v_add_co_u32 v22, vcc_lo, v30, v22
	v_ashrrev_i32_e32 v29, 31, v28
	s_delay_alu instid0(VALU_DEP_4) | instskip(SKIP_2) | instid1(VALU_DEP_4)
	v_lshlrev_b64 v[26:27], 1, v[26:27]
	v_add_co_ci_u32_e32 v23, vcc_lo, v31, v23, vcc_lo
	v_add_co_u32 v24, vcc_lo, v30, v24
	v_lshlrev_b64 v[28:29], 1, v[28:29]
	v_add_co_ci_u32_e32 v25, vcc_lo, v31, v25, vcc_lo
	v_add_co_u32 v26, vcc_lo, v30, v26
	v_add_co_ci_u32_e32 v27, vcc_lo, v31, v27, vcc_lo
	s_delay_alu instid0(VALU_DEP_4)
	v_add_co_u32 v28, vcc_lo, v30, v28
	v_add_co_ci_u32_e32 v29, vcc_lo, v31, v29, vcc_lo
	s_clause 0x1
	global_store_b128 v[20:21], v[0:3], off
	global_store_b128 v[22:23], v[4:7], off
	s_waitcnt lgkmcnt(2)
	global_store_b128 v[24:25], v[8:11], off
	s_waitcnt lgkmcnt(1)
	;; [unrolled: 2-line block ×3, first 2 shown]
	global_store_b128 v[28:29], v[16:19], off
	s_nop 0
	s_sendmsg sendmsg(MSG_DEALLOC_VGPRS)
	s_endpgm
	.section	.rodata,"a",@progbits
	.p2align	6, 0x0
	.amdhsa_kernel _Z39paged_attention_ll4mi_QKV_mfma16_kernelI14__hip_bfloat16S0_LN4vllm18Fp8KVCacheDataTypeE0EhLi16ELi128ELi256ELb1ELi10EL8MFMAType0EEvPKT_PKT0_S9_ifPKiSB_SB_iPKfiiiPfSE_PS4_PT2_iSD_SD_
		.amdhsa_group_segment_fixed_size 17472
		.amdhsa_private_segment_fixed_size 0
		.amdhsa_kernarg_size 400
		.amdhsa_user_sgpr_count 13
		.amdhsa_user_sgpr_dispatch_ptr 0
		.amdhsa_user_sgpr_queue_ptr 0
		.amdhsa_user_sgpr_kernarg_segment_ptr 1
		.amdhsa_user_sgpr_dispatch_id 0
		.amdhsa_user_sgpr_private_segment_size 0
		.amdhsa_wavefront_size32 1
		.amdhsa_uses_dynamic_stack 0
		.amdhsa_enable_private_segment 0
		.amdhsa_system_sgpr_workgroup_id_x 1
		.amdhsa_system_sgpr_workgroup_id_y 1
		.amdhsa_system_sgpr_workgroup_id_z 1
		.amdhsa_system_sgpr_workgroup_info 0
		.amdhsa_system_vgpr_workitem_id 0
		.amdhsa_next_free_vgpr 218
		.amdhsa_next_free_sgpr 50
		.amdhsa_reserve_vcc 1
		.amdhsa_float_round_mode_32 0
		.amdhsa_float_round_mode_16_64 0
		.amdhsa_float_denorm_mode_32 3
		.amdhsa_float_denorm_mode_16_64 3
		.amdhsa_dx10_clamp 1
		.amdhsa_ieee_mode 1
		.amdhsa_fp16_overflow 0
		.amdhsa_workgroup_processor_mode 1
		.amdhsa_memory_ordered 1
		.amdhsa_forward_progress 0
		.amdhsa_shared_vgpr_count 0
		.amdhsa_exception_fp_ieee_invalid_op 0
		.amdhsa_exception_fp_denorm_src 0
		.amdhsa_exception_fp_ieee_div_zero 0
		.amdhsa_exception_fp_ieee_overflow 0
		.amdhsa_exception_fp_ieee_underflow 0
		.amdhsa_exception_fp_ieee_inexact 0
		.amdhsa_exception_int_div_zero 0
	.end_amdhsa_kernel
	.section	.text._Z39paged_attention_ll4mi_QKV_mfma16_kernelI14__hip_bfloat16S0_LN4vllm18Fp8KVCacheDataTypeE0EhLi16ELi128ELi256ELb1ELi10EL8MFMAType0EEvPKT_PKT0_S9_ifPKiSB_SB_iPKfiiiPfSE_PS4_PT2_iSD_SD_,"axG",@progbits,_Z39paged_attention_ll4mi_QKV_mfma16_kernelI14__hip_bfloat16S0_LN4vllm18Fp8KVCacheDataTypeE0EhLi16ELi128ELi256ELb1ELi10EL8MFMAType0EEvPKT_PKT0_S9_ifPKiSB_SB_iPKfiiiPfSE_PS4_PT2_iSD_SD_,comdat
.Lfunc_end587:
	.size	_Z39paged_attention_ll4mi_QKV_mfma16_kernelI14__hip_bfloat16S0_LN4vllm18Fp8KVCacheDataTypeE0EhLi16ELi128ELi256ELb1ELi10EL8MFMAType0EEvPKT_PKT0_S9_ifPKiSB_SB_iPKfiiiPfSE_PS4_PT2_iSD_SD_, .Lfunc_end587-_Z39paged_attention_ll4mi_QKV_mfma16_kernelI14__hip_bfloat16S0_LN4vllm18Fp8KVCacheDataTypeE0EhLi16ELi128ELi256ELb1ELi10EL8MFMAType0EEvPKT_PKT0_S9_ifPKiSB_SB_iPKfiiiPfSE_PS4_PT2_iSD_SD_
                                        ; -- End function
	.section	.AMDGPU.csdata,"",@progbits
; Kernel info:
; codeLenInByte = 10296
; NumSgprs: 52
; NumVgprs: 218
; ScratchSize: 0
; MemoryBound: 0
; FloatMode: 240
; IeeeMode: 1
; LDSByteSize: 17472 bytes/workgroup (compile time only)
; SGPRBlocks: 6
; VGPRBlocks: 27
; NumSGPRsForWavesPerEU: 52
; NumVGPRsForWavesPerEU: 218
; Occupancy: 6
; WaveLimiterHint : 1
; COMPUTE_PGM_RSRC2:SCRATCH_EN: 0
; COMPUTE_PGM_RSRC2:USER_SGPR: 13
; COMPUTE_PGM_RSRC2:TRAP_HANDLER: 0
; COMPUTE_PGM_RSRC2:TGID_X_EN: 1
; COMPUTE_PGM_RSRC2:TGID_Y_EN: 1
; COMPUTE_PGM_RSRC2:TGID_Z_EN: 1
; COMPUTE_PGM_RSRC2:TIDIG_COMP_CNT: 0
	.section	.text._Z39paged_attention_ll4mi_QKV_mfma16_kernelI14__hip_bfloat16S0_LN4vllm18Fp8KVCacheDataTypeE0EhLi16ELi128ELi256ELb1ELi11EL8MFMAType0EEvPKT_PKT0_S9_ifPKiSB_SB_iPKfiiiPfSE_PS4_PT2_iSD_SD_,"axG",@progbits,_Z39paged_attention_ll4mi_QKV_mfma16_kernelI14__hip_bfloat16S0_LN4vllm18Fp8KVCacheDataTypeE0EhLi16ELi128ELi256ELb1ELi11EL8MFMAType0EEvPKT_PKT0_S9_ifPKiSB_SB_iPKfiiiPfSE_PS4_PT2_iSD_SD_,comdat
	.protected	_Z39paged_attention_ll4mi_QKV_mfma16_kernelI14__hip_bfloat16S0_LN4vllm18Fp8KVCacheDataTypeE0EhLi16ELi128ELi256ELb1ELi11EL8MFMAType0EEvPKT_PKT0_S9_ifPKiSB_SB_iPKfiiiPfSE_PS4_PT2_iSD_SD_ ; -- Begin function _Z39paged_attention_ll4mi_QKV_mfma16_kernelI14__hip_bfloat16S0_LN4vllm18Fp8KVCacheDataTypeE0EhLi16ELi128ELi256ELb1ELi11EL8MFMAType0EEvPKT_PKT0_S9_ifPKiSB_SB_iPKfiiiPfSE_PS4_PT2_iSD_SD_
	.globl	_Z39paged_attention_ll4mi_QKV_mfma16_kernelI14__hip_bfloat16S0_LN4vllm18Fp8KVCacheDataTypeE0EhLi16ELi128ELi256ELb1ELi11EL8MFMAType0EEvPKT_PKT0_S9_ifPKiSB_SB_iPKfiiiPfSE_PS4_PT2_iSD_SD_
	.p2align	8
	.type	_Z39paged_attention_ll4mi_QKV_mfma16_kernelI14__hip_bfloat16S0_LN4vllm18Fp8KVCacheDataTypeE0EhLi16ELi128ELi256ELb1ELi11EL8MFMAType0EEvPKT_PKT0_S9_ifPKiSB_SB_iPKfiiiPfSE_PS4_PT2_iSD_SD_,@function
_Z39paged_attention_ll4mi_QKV_mfma16_kernelI14__hip_bfloat16S0_LN4vllm18Fp8KVCacheDataTypeE0EhLi16ELi128ELi256ELb1ELi11EL8MFMAType0EEvPKT_PKT0_S9_ifPKiSB_SB_iPKfiiiPfSE_PS4_PT2_iSD_SD_: ; @_Z39paged_attention_ll4mi_QKV_mfma16_kernelI14__hip_bfloat16S0_LN4vllm18Fp8KVCacheDataTypeE0EhLi16ELi128ELi256ELb1ELi11EL8MFMAType0EEvPKT_PKT0_S9_ifPKiSB_SB_iPKfiiiPfSE_PS4_PT2_iSD_SD_
; %bb.0:
	s_load_b64 s[4:5], s[0:1], 0x30
	s_mov_b32 s30, s13
	s_waitcnt lgkmcnt(0)
	s_cmp_lg_u64 s[4:5], 0
	s_cselect_b32 s8, -1, 0
	s_ashr_i32 s31, s13, 31
	s_cmp_eq_u64 s[4:5], 0
	s_cbranch_scc1 .LBB588_3
; %bb.1:
	s_lshl_b64 s[2:3], s[30:31], 2
	s_delay_alu instid0(SALU_CYCLE_1) | instskip(SKIP_4) | instid1(SALU_CYCLE_1)
	s_add_u32 s2, s4, s2
	s_addc_u32 s3, s5, s3
	s_load_b64 s[2:3], s[2:3], 0x0
	s_waitcnt lgkmcnt(0)
	s_sub_i32 s2, s3, s2
	s_cmp_eq_u32 s2, 1
	s_cselect_b32 s2, -1, 0
	s_delay_alu instid0(SALU_CYCLE_1)
	s_and_not1_b32 vcc_lo, exec_lo, s2
	s_cbranch_vccz .LBB588_4
.LBB588_2:
	s_nop 0
	s_sendmsg sendmsg(MSG_DEALLOC_VGPRS)
	s_endpgm
.LBB588_3:
.LBB588_4:
	s_load_b64 s[2:3], s[0:1], 0x28
	s_lshl_b64 s[6:7], s[30:31], 2
	s_waitcnt lgkmcnt(0)
	s_add_u32 s2, s2, s6
	s_addc_u32 s3, s3, s7
	s_lshl_b32 s29, s14, 8
	s_load_b32 s28, s[2:3], 0x0
	s_waitcnt lgkmcnt(0)
	s_cmp_ge_i32 s29, s28
	s_cbranch_scc1 .LBB588_2
; %bb.5:
	s_clause 0x1
	s_load_b128 s[20:23], s[0:1], 0x8
	s_load_b64 s[2:3], s[0:1], 0x20
	s_and_not1_b32 vcc_lo, exec_lo, s8
	s_cbranch_vccnz .LBB588_7
; %bb.6:
	s_add_u32 s4, s4, s6
	s_addc_u32 s5, s5, s7
	s_load_b32 s5, s[4:5], 0x0
	s_branch .LBB588_8
.LBB588_7:
	s_mov_b32 s5, s30
.LBB588_8:
	s_load_b128 s[16:19], s[0:1], 0x48
	v_and_b32_e32 v140, 15, v0
	v_lshrrev_b32_e32 v141, 5, v0
	v_bfe_u32 v138, v0, 4, 1
	v_and_b32_e32 v142, 31, v0
	v_and_b32_e32 v139, 1, v0
	v_lshlrev_b32_e32 v2, 3, v140
	s_mul_i32 s31, s15, 11
	v_lshl_or_b32 v1, v141, 1, v138
	s_mov_b32 s4, exec_lo
	s_delay_alu instid0(VALU_DEP_2) | instskip(NEXT) | instid1(VALU_DEP_2)
	v_lshlrev_b32_e32 v137, 1, v2
	v_cmpx_gt_u32_e32 11, v1
	s_cbranch_execz .LBB588_10
; %bb.9:
	s_load_b64 s[6:7], s[0:1], 0x0
	v_add_lshl_u32 v2, v1, s31, 7
	s_waitcnt lgkmcnt(0)
	s_mul_hi_i32 s9, s5, s16
	s_mul_i32 s8, s5, s16
	v_lshlrev_b32_e32 v6, 10, v140
	s_lshl_b64 s[8:9], s[8:9], 1
	v_ashrrev_i32_e32 v3, 31, v2
	v_lshlrev_b32_e32 v1, 6, v1
	v_lshlrev_b32_e32 v7, 10, v139
	v_and_b32_e32 v6, 0x3800, v6
	s_delay_alu instid0(VALU_DEP_4) | instskip(NEXT) | instid1(VALU_DEP_2)
	v_lshlrev_b64 v[2:3], 1, v[2:3]
	v_or3_b32 v1, v6, v7, v1
	s_add_u32 s5, s6, s8
	s_addc_u32 s6, s7, s9
	s_delay_alu instid0(VALU_DEP_2) | instskip(NEXT) | instid1(VALU_DEP_3)
	v_add_co_u32 v2, vcc_lo, s5, v2
	v_add_co_ci_u32_e32 v3, vcc_lo, s6, v3, vcc_lo
	s_delay_alu instid0(VALU_DEP_2) | instskip(NEXT) | instid1(VALU_DEP_2)
	v_add_co_u32 v2, vcc_lo, v2, v137
	v_add_co_ci_u32_e32 v3, vcc_lo, 0, v3, vcc_lo
	global_load_b128 v[2:5], v[2:3], off
	s_waitcnt vmcnt(0)
	ds_store_b128 v1, v[2:5]
.LBB588_10:
	s_or_b32 exec_lo, exec_lo, s4
	v_and_b32_e32 v1, 0xef, v0
	s_waitcnt lgkmcnt(0)
	s_add_i32 s5, s28, 15
	s_clause 0x1
	s_load_b32 s4, s[0:1], 0x38
	s_load_b32 s33, s[0:1], 0x1c
	s_ashr_i32 s6, s5, 31
	v_add_nc_u32_e32 v1, s29, v1
	s_lshr_b32 s6, s6, 28
	s_waitcnt lgkmcnt(0)
	s_add_i32 s5, s5, s6
	s_barrier
	v_ashrrev_i32_e32 v2, 31, v1
	v_cmp_gt_i32_e32 vcc_lo, s28, v1
	s_ashr_i32 s16, s5, 4
	buffer_gl0_inv
	s_add_i32 s16, s16, -1
	v_lshrrev_b32_e32 v3, 28, v2
	v_or_b32_e32 v2, 16, v1
	v_add_nc_u32_e32 v105, -11, v140
	v_lshlrev_b32_e32 v106, 5, v140
	s_delay_alu instid0(VALU_DEP_4) | instskip(NEXT) | instid1(VALU_DEP_4)
	v_add_nc_u32_e32 v4, v1, v3
	v_add_nc_u32_e32 v3, v2, v3
	s_mul_i32 s4, s30, s4
	s_delay_alu instid0(VALU_DEP_3) | instskip(SKIP_4) | instid1(SALU_CYCLE_1)
	v_lshl_or_b32 v125, v141, 9, v106
	s_ashr_i32 s5, s4, 31
	v_ashrrev_i32_e32 v4, 4, v4
	v_ashrrev_i32_e32 v3, 4, v3
	s_lshl_b64 s[4:5], s[4:5], 2
	s_add_u32 s34, s2, s4
	s_delay_alu instid0(VALU_DEP_2) | instskip(SKIP_3) | instid1(VALU_DEP_2)
	v_cndmask_b32_e32 v1, s16, v4, vcc_lo
	v_cmp_gt_i32_e32 vcc_lo, s28, v2
	s_addc_u32 s35, s3, s5
	s_mul_i32 s2, s15, s18
	v_ashrrev_i32_e32 v2, 31, v1
	v_cndmask_b32_e32 v3, s16, v3, vcc_lo
	s_ashr_i32 s3, s2, 31
	s_delay_alu instid0(SALU_CYCLE_1) | instskip(NEXT) | instid1(VALU_DEP_2)
	s_lshl_b64 s[2:3], s[2:3], 1
	v_lshlrev_b64 v[1:2], 2, v[1:2]
	s_delay_alu instid0(VALU_DEP_2) | instskip(SKIP_3) | instid1(VALU_DEP_1)
	v_ashrrev_i32_e32 v4, 31, v3
	s_add_u32 s24, s20, s2
	s_addc_u32 s25, s21, s3
	s_lshl_b32 s4, s14, 4
	v_lshlrev_b64 v[3:4], 2, v[3:4]
	v_add_co_u32 v1, vcc_lo, s34, v1
	v_add_co_ci_u32_e32 v2, vcc_lo, s35, v2, vcc_lo
	s_ashr_i32 s5, s4, 31
	s_delay_alu instid0(VALU_DEP_3) | instskip(NEXT) | instid1(VALU_DEP_4)
	v_add_co_u32 v3, vcc_lo, s34, v3
	v_add_co_ci_u32_e32 v4, vcc_lo, s35, v4, vcc_lo
	s_lshl_b64 s[4:5], s[4:5], 2
	s_clause 0x1
	global_load_b32 v5, v[1:2], off
	global_load_b32 v6, v[3:4], off
	s_add_u32 s4, s34, s4
	s_addc_u32 s5, s35, s5
	s_or_b32 s6, s29, 16
	v_lshlrev_b32_e32 v3, 4, v0
	s_ashr_i32 s7, s6, 4
	s_cmp_lt_i32 s6, s28
	s_cselect_b32 s6, s7, s16
	s_delay_alu instid0(SALU_CYCLE_1) | instskip(NEXT) | instid1(SALU_CYCLE_1)
	s_ashr_i32 s7, s6, 31
	s_lshl_b64 s[6:7], s[6:7], 2
	s_delay_alu instid0(SALU_CYCLE_1) | instskip(SKIP_2) | instid1(SALU_CYCLE_1)
	s_add_u32 s6, s34, s6
	s_addc_u32 s7, s35, s7
	s_or_b32 s8, s29, 32
	s_ashr_i32 s9, s8, 4
	s_cmp_lt_i32 s8, s28
	s_cselect_b32 s8, s9, s16
	s_delay_alu instid0(SALU_CYCLE_1) | instskip(NEXT) | instid1(SALU_CYCLE_1)
	s_ashr_i32 s9, s8, 31
	s_lshl_b64 s[8:9], s[8:9], 2
	s_delay_alu instid0(SALU_CYCLE_1) | instskip(SKIP_2) | instid1(SALU_CYCLE_1)
	s_add_u32 s8, s34, s8
	s_addc_u32 s9, s35, s9
	s_or_b32 s10, s29, 48
	;; [unrolled: 10-line block ×4, first 2 shown]
	s_ashr_i32 s13, s12, 4
	s_cmp_lt_i32 s12, s28
	s_cselect_b32 s12, s13, s16
	s_delay_alu instid0(SALU_CYCLE_1) | instskip(NEXT) | instid1(SALU_CYCLE_1)
	s_ashr_i32 s13, s12, 31
	s_lshl_b64 s[12:13], s[12:13], 2
	s_delay_alu instid0(SALU_CYCLE_1)
	s_add_u32 s20, s34, s12
	s_addc_u32 s21, s35, s13
	s_clause 0x5
	s_load_b32 s36, s[4:5], 0x0
	s_load_b32 s27, s[6:7], 0x0
	;; [unrolled: 1-line block ×6, first 2 shown]
	s_waitcnt vmcnt(1)
	v_mad_i64_i32 v[1:2], null, v5, s17, 0
	v_and_b32_e32 v5, 0xf0, v3
	s_waitcnt vmcnt(0)
	v_mad_i64_i32 v[3:4], null, v6, s17, 0
	s_delay_alu instid0(VALU_DEP_2) | instskip(NEXT) | instid1(VALU_DEP_4)
	v_add_co_u32 v5, s4, s24, v5
	v_lshlrev_b64 v[1:2], 1, v[1:2]
	v_add_co_ci_u32_e64 v6, null, s25, 0, s4
	s_delay_alu instid0(VALU_DEP_4) | instskip(SKIP_1) | instid1(VALU_DEP_3)
	v_lshlrev_b64 v[3:4], 1, v[3:4]
	s_or_b32 s4, s29, 0x60
	v_add_co_u32 v121, vcc_lo, v5, v1
	s_delay_alu instid0(VALU_DEP_3) | instskip(NEXT) | instid1(VALU_DEP_3)
	v_add_co_ci_u32_e32 v122, vcc_lo, v6, v2, vcc_lo
	v_add_co_u32 v123, vcc_lo, v5, v3
	s_delay_alu instid0(VALU_DEP_4)
	v_add_co_ci_u32_e32 v124, vcc_lo, v6, v4, vcc_lo
	s_clause 0x19
	global_load_b128 v[89:92], v[121:122], off
	global_load_b128 v[93:96], v[121:122], off offset:256
	global_load_b128 v[97:100], v[123:124], off
	global_load_b128 v[101:104], v[123:124], off offset:256
	global_load_b128 v[81:84], v[121:122], off offset:512
	;; [unrolled: 1-line block ×23, first 2 shown]
	s_ashr_i32 s5, s4, 4
	s_cmp_lt_i32 s4, s28
	v_cmp_gt_u32_e32 vcc_lo, 11, v140
	s_cselect_b32 s4, s5, s16
	s_delay_alu instid0(SALU_CYCLE_1) | instskip(NEXT) | instid1(SALU_CYCLE_1)
	s_ashr_i32 s5, s4, 31
	s_lshl_b64 s[4:5], s[4:5], 2
	v_cndmask_b32_e32 v105, v105, v140, vcc_lo
	s_add_u32 s18, s34, s4
	s_addc_u32 s19, s35, s5
	s_or_b32 s4, s29, 0x70
	s_delay_alu instid0(SALU_CYCLE_1)
	s_ashr_i32 s5, s4, 4
	s_cmp_lt_i32 s4, s28
	v_lshlrev_b32_e32 v215, 6, v105
	s_cselect_b32 s6, s5, s16
	ds_load_b128 v[105:108], v215
	ds_load_b128 v[109:112], v215 offset:1024
	s_ashr_i32 s7, s6, 31
	ds_load_b128 v[113:116], v215 offset:2048
	ds_load_b128 v[117:120], v215 offset:3072
	;; [unrolled: 1-line block ×8, first 2 shown]
	s_clause 0x1
	global_load_b128 v[167:170], v[123:124], off offset:3072
	global_load_b128 v[171:174], v[123:124], off offset:3328
	s_lshl_b64 s[6:7], s[6:7], 2
	s_mov_b32 s4, 0
	s_add_u32 s20, s34, s6
	s_addc_u32 s21, s35, s7
	s_clause 0x1
	s_load_b32 s42, s[18:19], 0x0
	s_load_b32 s43, s[20:21], 0x0
	s_clause 0x3
	global_load_b128 v[175:178], v[121:122], off offset:3584
	global_load_b128 v[179:182], v[121:122], off offset:3840
	;; [unrolled: 1-line block ×4, first 2 shown]
	s_or_b32 s7, s29, 0x80
	s_mov_b32 s5, s4
	s_ashr_i32 s8, s7, 4
	s_cmp_lt_i32 s7, s28
	s_mov_b32 s6, s4
	s_cselect_b32 s10, s8, s16
	s_mov_b32 s7, s4
	s_ashr_i32 s11, s10, 31
	s_mov_b32 s8, s4
	s_lshl_b64 s[24:25], s[10:11], 2
	s_mov_b32 s9, s4
	s_add_u32 s24, s34, s24
	s_addc_u32 s25, s35, s25
	s_or_b32 s11, s29, 0x90
	s_mov_b32 s10, s4
	s_ashr_i32 s37, s11, 4
	s_cmp_lt_i32 s11, s28
	s_mov_b32 s11, s4
	s_cselect_b32 s38, s37, s16
	v_mov_b32_e32 v136, s11
	s_ashr_i32 s39, s38, 31
	v_dual_mov_b32 v135, s10 :: v_dual_mov_b32 v134, s9
	v_dual_mov_b32 v133, s8 :: v_dual_mov_b32 v132, s7
	;; [unrolled: 1-line block ×3, first 2 shown]
	v_mov_b32_e32 v129, s4
	s_lshl_b64 s[4:5], s[38:39], 2
	s_waitcnt lgkmcnt(0)
	s_mul_hi_i32 s7, s27, s17
	s_add_u32 s38, s34, s4
	s_addc_u32 s39, s35, s5
	s_or_b32 s4, s29, 0xa0
	s_load_b32 s39, s[38:39], 0x0
	s_ashr_i32 s5, s4, 4
	s_cmp_lt_i32 s4, s28
	s_cselect_b32 s4, s5, s16
	s_delay_alu instid0(SALU_CYCLE_1) | instskip(NEXT) | instid1(SALU_CYCLE_1)
	s_ashr_i32 s5, s4, 31
	s_lshl_b64 s[4:5], s[4:5], 2
	s_delay_alu instid0(SALU_CYCLE_1)
	s_add_u32 s40, s34, s4
	s_addc_u32 s41, s35, s5
	s_or_b32 s4, s29, 0xb0
	s_mul_hi_i32 s5, s36, s17
	s_ashr_i32 s6, s4, 4
	s_cmp_lt_i32 s4, s28
	s_mul_i32 s4, s36, s17
	s_cselect_b32 s8, s6, s16
	s_mul_i32 s6, s27, s17
	s_ashr_i32 s9, s8, 31
	s_load_b32 s38, s[40:41], 0x0
	s_lshl_b64 s[10:11], s[8:9], 2
	s_mul_hi_i32 s9, s26, s17
	s_add_u32 s36, s34, s10
	s_addc_u32 s37, s35, s11
	s_or_b32 s10, s29, 0xc0
	s_mul_i32 s8, s26, s17
	s_ashr_i32 s26, s10, 4
	s_cmp_lt_i32 s10, s28
	s_mul_hi_i32 s11, s13, s17
	s_cselect_b32 s26, s26, s16
	s_mul_i32 s10, s13, s17
	s_ashr_i32 s27, s26, 31
	s_mul_hi_i32 s13, s12, s17
	s_lshl_b64 s[26:27], s[26:27], 2
	s_mul_i32 s12, s12, s17
	s_add_u32 s20, s34, s26
	s_addc_u32 s21, s35, s27
	s_or_b32 s18, s29, 0xd0
	s_load_b32 s26, s[24:25], 0x0
	s_ashr_i32 s19, s18, 4
	s_cmp_lt_i32 s18, s28
	s_mul_i32 s18, s15, s17
	s_cselect_b32 s24, s19, s16
	s_mul_hi_i32 s19, s15, s17
	s_ashr_i32 s25, s24, 31
	s_waitcnt lgkmcnt(0)
	s_mul_hi_i32 s41, s39, s17
	s_lshl_b64 s[24:25], s[24:25], 2
	s_delay_alu instid0(SALU_CYCLE_1)
	s_add_u32 s24, s34, s24
	s_addc_u32 s25, s35, s25
	s_or_b32 s40, s29, 0xe0
	s_clause 0x2
	s_load_b32 s37, s[36:37], 0x0
	s_load_b32 s36, s[20:21], 0x0
	s_load_b32 s15, s[24:25], 0x0
	s_ashr_i32 s44, s40, 4
	s_cmp_lt_i32 s40, s28
	s_mul_hi_i32 s21, s42, s17
	s_mul_i32 s20, s42, s17
	s_cselect_b32 s42, s44, s16
	s_mul_hi_i32 s25, s43, s17
	s_mul_i32 s24, s43, s17
	s_ashr_i32 s43, s42, 31
	s_mul_hi_i32 s27, s26, s17
	s_lshl_b64 s[42:43], s[42:43], 2
	s_mul_i32 s26, s26, s17
	s_add_u32 s42, s34, s42
	s_addc_u32 s43, s35, s43
	s_or_b32 s44, s29, 0xf0
	s_mul_i32 s40, s39, s17
	s_ashr_i32 s46, s44, 4
	s_cmp_lt_i32 s44, s28
	s_mul_hi_i32 s39, s38, s17
	s_cselect_b32 s46, s46, s16
	s_waitcnt lgkmcnt(0)
	s_mul_hi_i32 s49, s15, s17
	s_ashr_i32 s47, s46, 31
	s_mul_i32 s48, s15, s17
	s_lshl_b64 s[46:47], s[46:47], 2
	s_mul_i32 s38, s38, s17
	s_add_u32 s34, s34, s46
	s_addc_u32 s35, s35, s47
	s_add_u32 s15, s22, s2
	s_addc_u32 s16, s23, s3
	v_add_co_u32 v216, s15, s15, v125
	s_delay_alu instid0(VALU_DEP_1) | instskip(SKIP_2) | instid1(VALU_DEP_2)
	v_add_co_ci_u32_e64 v217, null, s16, 0, s15
	s_lshl_b64 s[2:3], s[4:5], 1
	s_lshl_b64 s[4:5], s[6:7], 1
	v_add_co_u32 v125, vcc_lo, v216, s2
	s_delay_alu instid0(VALU_DEP_2)
	v_add_co_ci_u32_e32 v126, vcc_lo, s3, v217, vcc_lo
	v_add_co_u32 v199, vcc_lo, v216, s4
	s_lshl_b64 s[6:7], s[8:9], 1
	v_add_co_ci_u32_e32 v200, vcc_lo, s5, v217, vcc_lo
	s_lshl_b64 s[8:9], s[10:11], 1
	s_lshl_b64 s[10:11], s[12:13], 1
	;; [unrolled: 1-line block ×8, first 2 shown]
	s_mul_hi_i32 s45, s37, s17
	s_mul_i32 s44, s37, s17
	s_mul_hi_i32 s37, s36, s17
	s_lshl_b64 s[38:39], s[44:45], 1
	s_mul_i32 s36, s36, s17
	s_clause 0x1
	s_load_b32 s15, s[42:43], 0x0
	s_load_b32 s16, s[34:35], 0x0
	s_lshl_b64 s[36:37], s[36:37], 1
	s_lshl_b64 s[40:41], s[48:49], 1
	s_waitcnt lgkmcnt(0)
	s_mul_hi_i32 s3, s15, s17
	s_mul_i32 s2, s15, s17
	s_mul_hi_i32 s5, s16, s17
	s_lshl_b64 s[2:3], s[2:3], 1
	s_mul_i32 s4, s16, s17
	s_waitcnt vmcnt(30)
	v_wmma_f32_16x16x16_bf16 v[191:198], v[89:96], v[105:112], v[129:136]
	v_add_co_u32 v89, vcc_lo, v216, s6
	v_add_co_ci_u32_e32 v90, vcc_lo, s7, v217, vcc_lo
	v_add_co_u32 v91, vcc_lo, v216, s8
	v_add_co_ci_u32_e32 v92, vcc_lo, s9, v217, vcc_lo
	;; [unrolled: 2-line block ×5, first 2 shown]
	v_add_co_u32 v205, vcc_lo, v216, s20
	s_waitcnt vmcnt(28)
	v_wmma_f32_16x16x16_bf16 v[129:136], v[97:104], v[105:112], v[129:136]
	v_add_co_ci_u32_e32 v206, vcc_lo, s21, v217, vcc_lo
	v_add_co_u32 v207, vcc_lo, v216, s22
	v_add_co_ci_u32_e32 v208, vcc_lo, s23, v217, vcc_lo
	v_add_co_u32 v209, vcc_lo, v216, s24
	s_waitcnt vmcnt(26)
	v_wmma_f32_16x16x16_bf16 v[191:198], v[81:88], v[113:120], v[191:198]
	s_waitcnt vmcnt(24)
	v_wmma_f32_16x16x16_bf16 v[129:136], v[73:80], v[113:120], v[129:136]
	v_add_co_ci_u32_e32 v210, vcc_lo, s25, v217, vcc_lo
	v_add_co_u32 v211, vcc_lo, v216, s26
	v_add_co_ci_u32_e32 v212, vcc_lo, s27, v217, vcc_lo
	v_add_co_u32 v213, vcc_lo, v216, s38
	s_waitcnt vmcnt(22)
	v_wmma_f32_16x16x16_bf16 v[191:198], v[65:72], v[143:150], v[191:198]
	s_waitcnt vmcnt(20)
	v_wmma_f32_16x16x16_bf16 v[129:136], v[57:64], v[143:150], v[129:136]
	v_add_co_ci_u32_e32 v214, vcc_lo, s39, v217, vcc_lo
	v_add_co_u32 v143, vcc_lo, v216, s36
	s_waitcnt vmcnt(18)
	v_wmma_f32_16x16x16_bf16 v[191:198], v[49:56], v[151:158], v[191:198]
	s_waitcnt vmcnt(16)
	v_wmma_f32_16x16x16_bf16 v[129:136], v[41:48], v[151:158], v[129:136]
	v_add_co_ci_u32_e32 v144, vcc_lo, s37, v217, vcc_lo
	s_clause 0x15
	global_load_b128 v[121:124], v[125:126], off
	global_load_b128 v[125:128], v[125:126], off offset:16
	global_load_b128 v[113:116], v[199:200], off
	global_load_b128 v[117:120], v[199:200], off offset:16
	;; [unrolled: 2-line block ×11, first 2 shown]
	s_waitcnt vmcnt(36)
	v_wmma_f32_16x16x16_bf16 v[191:198], v[17:24], v[159:166], v[191:198]
	s_clause 0x1
	global_load_b128 v[17:20], v[213:214], off
	global_load_b128 v[21:24], v[213:214], off offset:16
	s_waitcnt vmcnt(36)
	v_wmma_f32_16x16x16_bf16 v[129:136], v[1:8], v[159:166], v[129:136]
	s_clause 0x1
	global_load_b128 v[1:4], v[143:144], off
	global_load_b128 v[5:8], v[143:144], off offset:16
	ds_load_b128 v[143:146], v215 offset:10240
	ds_load_b128 v[147:150], v215 offset:11264
	;; [unrolled: 1-line block ×4, first 2 shown]
	v_add_co_u32 v199, vcc_lo, v216, s40
	v_add_co_ci_u32_e32 v200, vcc_lo, s41, v217, vcc_lo
	v_add_co_u32 v159, vcc_lo, v216, s2
	v_add_co_ci_u32_e32 v160, vcc_lo, s3, v217, vcc_lo
	s_lshl_b64 s[2:3], s[4:5], 1
	s_delay_alu instid0(SALU_CYCLE_1)
	v_add_co_u32 v161, vcc_lo, v216, s2
	v_add_co_ci_u32_e32 v162, vcc_lo, s3, v217, vcc_lo
	s_waitcnt vmcnt(36) lgkmcnt(2)
	v_wmma_f32_16x16x16_bf16 v[191:198], v[25:32], v[143:150], v[191:198]
	s_waitcnt vmcnt(34)
	v_wmma_f32_16x16x16_bf16 v[129:136], v[33:40], v[143:150], v[129:136]
	s_clause 0x3
	global_load_b128 v[25:28], v[199:200], off
	global_load_b128 v[29:32], v[199:200], off offset:16
	global_load_b128 v[33:36], v[159:160], off
	global_load_b128 v[37:40], v[159:160], off offset:16
	v_and_b32_e32 v143, 0xe0, v0
	v_mbcnt_lo_u32_b32 v159, -1, 0
	s_waitcnt vmcnt(36) lgkmcnt(0)
	v_wmma_f32_16x16x16_bf16 v[191:198], v[9:16], v[151:158], v[191:198]
	s_clause 0x1
	global_load_b128 v[9:12], v[161:162], off
	global_load_b128 v[13:16], v[161:162], off offset:16
	s_waitcnt vmcnt(36)
	v_wmma_f32_16x16x16_bf16 v[129:136], v[167:174], v[151:158], v[129:136]
	v_add_nc_u32_e32 v160, s29, v143
	ds_load_b128 v[143:146], v215 offset:14336
	ds_load_b128 v[147:150], v215 offset:15360
	v_xor_b32_e32 v151, 16, v159
	s_waitcnt vmcnt(0) lgkmcnt(0)
	s_barrier
	v_or_b32_e32 v152, v160, v138
	buffer_gl0_inv
	v_cmp_gt_i32_e32 vcc_lo, 32, v151
	v_or_b32_e32 v153, 2, v152
	v_or_b32_e32 v154, 4, v152
	;; [unrolled: 1-line block ×5, first 2 shown]
	v_cmp_gt_i32_e64 s2, s28, v153
	v_cmp_gt_i32_e64 s3, s28, v154
	;; [unrolled: 1-line block ×3, first 2 shown]
	v_or_b32_e32 v158, 12, v152
	v_cmp_gt_i32_e64 s5, s28, v156
	v_cmp_gt_i32_e64 s6, s28, v157
	v_wmma_f32_16x16x16_bf16 v[191:198], v[175:182], v[143:150], v[191:198]
	v_wmma_f32_16x16x16_bf16 v[129:136], v[183:190], v[143:150], v[129:136]
	v_cndmask_b32_e32 v151, v159, v151, vcc_lo
	v_cmp_gt_i32_e32 vcc_lo, s28, v152
	v_or_b32_e32 v159, 14, v152
	v_dual_mul_f32 v149, s33, v192 :: v_dual_mul_f32 v150, s33, v191
	v_dual_mul_f32 v147, s33, v194 :: v_dual_mul_f32 v148, s33, v193
	v_mul_f32_e32 v145, s33, v196
	s_delay_alu instid0(VALU_DEP_3) | instskip(NEXT) | instid1(VALU_DEP_4)
	v_cndmask_b32_e64 v149, 0xff7fffff, v149, s2
	v_cndmask_b32_e32 v150, 0xff7fffff, v150, vcc_lo
	v_mul_f32_e32 v146, s33, v195
	v_cndmask_b32_e64 v148, 0xff7fffff, v148, s3
	v_cndmask_b32_e64 v147, 0xff7fffff, v147, s4
	v_or_b32_e32 v160, 16, v152
	v_max3_f32 v149, v150, 0xff7fffff, v149
	v_or_b32_e32 v161, 18, v152
	v_dual_mul_f32 v143, s33, v198 :: v_dual_mul_f32 v144, s33, v197
	v_cndmask_b32_e64 v146, 0xff7fffff, v146, s5
	v_cndmask_b32_e64 v145, 0xff7fffff, v145, s6
	v_max3_f32 v147, v149, v148, v147
	v_cmp_gt_i32_e64 s7, s28, v158
	v_cmp_gt_i32_e64 s8, s28, v159
	v_or_b32_e32 v162, 20, v152
	v_or_b32_e32 v163, 22, v152
	v_dual_mul_f32 v174, s33, v130 :: v_dual_mul_f32 v175, s33, v129
	v_cndmask_b32_e64 v144, 0xff7fffff, v144, s7
	v_cndmask_b32_e64 v143, 0xff7fffff, v143, s8
	v_max3_f32 v145, v147, v146, v145
	v_cmp_gt_i32_e64 s9, s28, v160
	v_cmp_gt_i32_e64 s10, s28, v161
	v_or_b32_e32 v164, 24, v152
	;; [unrolled: 8-line block ×3, first 2 shown]
	v_or_b32_e32 v167, 30, v152
	v_dual_mul_f32 v170, s33, v134 :: v_dual_mul_f32 v171, s33, v133
	v_cndmask_b32_e64 v144, 0xff7fffff, v173, s11
	v_cndmask_b32_e64 v145, 0xff7fffff, v172, s12
	v_max3_f32 v143, v143, v146, v147
	v_cmp_gt_i32_e64 s13, s28, v164
	v_cmp_gt_i32_e64 s15, s28, v165
	v_dual_mul_f32 v168, s33, v136 :: v_dual_mul_f32 v169, s33, v135
	s_delay_alu instid0(VALU_DEP_4) | instskip(NEXT) | instid1(VALU_DEP_4)
	v_max3_f32 v143, v143, v144, v145
	v_cndmask_b32_e64 v146, 0xff7fffff, v171, s13
	s_delay_alu instid0(VALU_DEP_4) | instskip(SKIP_3) | instid1(VALU_DEP_4)
	v_cndmask_b32_e64 v147, 0xff7fffff, v170, s15
	v_cmp_gt_i32_e64 s16, s28, v166
	v_cmp_gt_i32_e64 s17, s28, v167
	v_lshlrev_b32_e32 v154, 2, v151
	v_max3_f32 v143, v143, v146, v147
	s_delay_alu instid0(VALU_DEP_4) | instskip(NEXT) | instid1(VALU_DEP_4)
	v_cndmask_b32_e64 v144, 0xff7fffff, v169, s16
	v_cndmask_b32_e64 v145, 0xff7fffff, v168, s17
	s_delay_alu instid0(VALU_DEP_1) | instskip(SKIP_3) | instid1(VALU_DEP_1)
	v_max3_f32 v143, v143, v144, v145
	ds_bpermute_b32 v144, v154, v143
	s_waitcnt lgkmcnt(0)
	v_max_f32_e32 v144, v144, v144
	v_max_f32_e32 v153, v143, v144
	s_delay_alu instid0(VALU_DEP_1) | instskip(SKIP_4) | instid1(VALU_DEP_4)
	v_fma_f32 v143, s33, v191, -v153
	v_fma_f32 v144, s33, v192, -v153
	;; [unrolled: 1-line block ×5, first 2 shown]
	v_dual_mul_f32 v143, 0x3fb8aa3b, v143 :: v_dual_mul_f32 v144, 0x3fb8aa3b, v144
	s_delay_alu instid0(VALU_DEP_4) | instskip(SKIP_2) | instid1(VALU_DEP_4)
	v_mul_f32_e32 v132, 0x3fb8aa3b, v132
	v_fma_f32 v134, s33, v134, -v153
	v_mul_f32_e32 v145, 0x3fb8aa3b, v145
	v_exp_f32_e32 v143, v143
	v_exp_f32_e32 v147, v144
	v_fma_f32 v148, s33, v195, -v153
	v_mul_f32_e32 v134, 0x3fb8aa3b, v134
	v_mul_f32_e32 v146, 0x3fb8aa3b, v146
	v_exp_f32_e32 v145, v145
	v_fma_f32 v151, s33, v197, -v153
	v_mul_f32_e32 v148, 0x3fb8aa3b, v148
	v_fma_f32 v129, s33, v129, -v153
	v_exp_f32_e32 v149, v146
	v_cndmask_b32_e32 v144, 0, v143, vcc_lo
	v_fma_f32 v143, s33, v196, -v153
	v_cndmask_b32_e64 v146, 0, v147, s2
	v_exp_f32_e32 v148, v148
	s_delay_alu instid0(VALU_DEP_3) | instskip(NEXT) | instid1(VALU_DEP_3)
	v_dual_mul_f32 v151, 0x3fb8aa3b, v151 :: v_dual_add_f32 v150, 0, v144
	v_mul_f32_e32 v143, 0x3fb8aa3b, v143
	v_cndmask_b32_e64 v147, 0, v145, s3
	v_fma_f32 v130, s33, v130, -v153
	s_delay_alu instid0(TRANS32_DEP_2)
	v_cndmask_b32_e64 v149, 0, v149, s4
	v_add_f32_e32 v145, v150, v146
	v_fma_f32 v150, s33, v198, -v153
	v_exp_f32_e32 v143, v143
	v_exp_f32_e32 v155, v151
	v_mul_f32_e32 v129, 0x3fb8aa3b, v129
	s_delay_alu instid0(VALU_DEP_2) | instskip(SKIP_2) | instid1(VALU_DEP_3)
	v_dual_add_f32 v145, v145, v147 :: v_dual_mul_f32 v152, 0x3fb8aa3b, v150
	v_cndmask_b32_e64 v150, 0, v148, s5
	v_fma_f32 v131, s33, v131, -v153
	v_dual_mul_f32 v130, 0x3fb8aa3b, v130 :: v_dual_add_f32 v145, v145, v149
	s_delay_alu instid0(VALU_DEP_4) | instskip(NEXT) | instid1(TRANS32_DEP_3)
	v_exp_f32_e32 v152, v152
	v_cndmask_b32_e64 v151, 0, v143, s6
	v_exp_f32_e32 v129, v129
	s_delay_alu instid0(TRANS32_DEP_3)
	v_cndmask_b32_e64 v148, 0, v155, s7
	v_add_f32_e32 v143, v145, v150
	v_mul_f32_e32 v131, 0x3fb8aa3b, v131
	v_exp_f32_e32 v130, v130
	v_fma_f32 v133, s33, v133, -v153
	v_fma_f32 v136, s33, v136, -v153
	v_add_f32_e32 v143, v143, v151
	v_cndmask_b32_e64 v152, 0, v152, s8
	v_exp_f32_e32 v145, v131
	v_cndmask_b32_e64 v131, 0, v129, s9
	v_mul_f32_e32 v133, 0x3fb8aa3b, v133
	v_add_f32_e32 v143, v143, v148
	v_cmp_gt_u32_e64 s2, 16, v142
	s_delay_alu instid0(VALU_DEP_2)
	v_add_f32_e32 v129, v143, v152
	v_exp_f32_e32 v143, v132
	v_cndmask_b32_e64 v132, 0, v130, s10
	v_fma_f32 v130, s33, v135, -v153
	v_exp_f32_e32 v135, v133
	v_add_f32_e32 v129, v129, v131
	v_cndmask_b32_e64 v133, 0, v145, s11
	v_exp_f32_e32 v145, v134
	s_delay_alu instid0(VALU_DEP_2) | instskip(NEXT) | instid1(TRANS32_DEP_3)
	v_dual_mul_f32 v130, 0x3fb8aa3b, v130 :: v_dual_add_f32 v129, v129, v132
	v_cndmask_b32_e64 v134, 0, v143, s12
	v_mul_f32_e32 v143, 0x3fb8aa3b, v136
	s_delay_alu instid0(VALU_DEP_3) | instskip(NEXT) | instid1(TRANS32_DEP_3)
	v_exp_f32_e32 v130, v130
	v_cndmask_b32_e64 v135, 0, v135, s13
	v_add_f32_e32 v129, v129, v133
	s_delay_alu instid0(TRANS32_DEP_2) | instskip(SKIP_1) | instid1(VALU_DEP_2)
	v_cndmask_b32_e64 v136, 0, v145, s15
	v_exp_f32_e32 v145, v143
	v_add_f32_e32 v129, v129, v134
	s_waitcnt_depctr 0xfff
	v_cndmask_b32_e64 v143, 0, v130, s16
	v_add_f32_e32 v129, v129, v135
	v_cndmask_b32_e64 v145, 0, v145, s17
	s_delay_alu instid0(VALU_DEP_2) | instskip(NEXT) | instid1(VALU_DEP_1)
	v_add_f32_e32 v129, v129, v136
	v_add_f32_e32 v129, v129, v143
	s_delay_alu instid0(VALU_DEP_1)
	v_add_f32_e32 v129, v129, v145
	ds_bpermute_b32 v130, v154, v129
	s_and_saveexec_b32 s3, s2
	s_cbranch_execz .LBB588_12
; %bb.11:
	v_mul_u32_u24_e32 v142, 0x44, v141
	s_waitcnt lgkmcnt(0)
	v_add_f32_e32 v129, v129, v130
	s_delay_alu instid0(VALU_DEP_2) | instskip(NEXT) | instid1(VALU_DEP_1)
	v_lshl_add_u32 v142, v140, 2, v142
	v_add_nc_u32_e32 v130, 0x4000, v142
	ds_store_2addr_b32 v130, v153, v129 offset1:136
.LBB588_12:
	s_or_b32 exec_lo, exec_lo, s3
	v_lshlrev_b32_e32 v129, 2, v140
	s_waitcnt lgkmcnt(0)
	s_barrier
	buffer_gl0_inv
	v_cmp_eq_u32_e64 s3, 1, v141
	v_add_nc_u32_e32 v142, 0x4000, v129
	ds_load_2addr_b32 v[153:154], v142 offset1:17
	ds_load_2addr_b32 v[155:156], v142 offset0:34 offset1:51
	ds_load_2addr_b32 v[157:158], v142 offset0:68 offset1:85
	;; [unrolled: 1-line block ×4, first 2 shown]
	s_waitcnt lgkmcnt(4)
	v_max3_f32 v129, v153, 0xff7fffff, v154
	s_waitcnt lgkmcnt(3)
	s_delay_alu instid0(VALU_DEP_1) | instskip(SKIP_1) | instid1(VALU_DEP_1)
	v_max3_f32 v129, v129, v155, v156
	s_waitcnt lgkmcnt(2)
	v_max3_f32 v129, v129, v157, v158
	s_waitcnt lgkmcnt(1)
	s_delay_alu instid0(VALU_DEP_1) | instskip(NEXT) | instid1(VALU_DEP_1)
	v_max3_f32 v129, v129, v159, v160
	v_sub_f32_e32 v163, v154, v129
	v_sub_f32_e32 v130, v153, v129
	ds_load_2addr_b32 v[153:154], v142 offset0:170 offset1:187
	v_sub_f32_e32 v155, v155, v129
	v_dual_mul_f32 v163, 0x3fb8aa3b, v163 :: v_dual_mul_f32 v130, 0x3fb8aa3b, v130
	s_delay_alu instid0(VALU_DEP_2) | instskip(NEXT) | instid1(VALU_DEP_2)
	v_mul_f32_e32 v165, 0x3fb8aa3b, v155
	v_exp_f32_e32 v163, v163
	s_delay_alu instid0(VALU_DEP_2)
	v_exp_f32_e32 v164, v130
	v_sub_f32_e32 v130, v156, v129
	ds_load_2addr_b32 v[155:156], v142 offset0:204 offset1:221
	v_exp_f32_e32 v165, v165
	v_mul_f32_e32 v166, 0x3fb8aa3b, v130
	s_waitcnt lgkmcnt(2)
	v_fma_f32 v130, v164, v161, 0
	v_sub_f32_e32 v157, v157, v129
	s_delay_alu instid0(VALU_DEP_3) | instskip(NEXT) | instid1(VALU_DEP_2)
	v_exp_f32_e32 v166, v166
	v_dual_sub_f32 v161, v158, v129 :: v_dual_fmac_f32 v130, v163, v162
	s_waitcnt lgkmcnt(1)
	s_waitcnt_depctr 0xfff
	v_fmac_f32_e32 v130, v165, v153
	v_mul_f32_e32 v167, 0x3fb8aa3b, v157
	ds_load_2addr_b32 v[157:158], v142 offset0:238 offset1:255
	v_sub_f32_e32 v142, v159, v129
	v_dual_sub_f32 v153, v160, v129 :: v_dual_fmac_f32 v130, v166, v154
	v_mul_f32_e32 v159, 0x3fb8aa3b, v161
	v_exp_f32_e32 v161, v167
	s_delay_alu instid0(VALU_DEP_2)
	v_dual_mul_f32 v142, 0x3fb8aa3b, v142 :: v_dual_mul_f32 v153, 0x3fb8aa3b, v153
	s_waitcnt lgkmcnt(0)
	s_barrier
	buffer_gl0_inv
	v_exp_f32_e32 v142, v142
	v_exp_f32_e32 v153, v153
	v_fmac_f32_e32 v130, v161, v155
	v_exp_f32_e32 v159, v159
	s_waitcnt_depctr 0xfff
	v_fmac_f32_e32 v130, v159, v156
	s_delay_alu instid0(VALU_DEP_1) | instskip(NEXT) | instid1(VALU_DEP_1)
	v_fmac_f32_e32 v130, v142, v157
	v_fmac_f32_e32 v130, v153, v158
	s_delay_alu instid0(VALU_DEP_1) | instskip(NEXT) | instid1(VALU_DEP_1)
	v_add_f32_e32 v154, 0x358637bd, v130
	v_div_scale_f32 v155, null, v154, v154, 1.0
	v_div_scale_f32 v158, vcc_lo, 1.0, v154, 1.0
	s_delay_alu instid0(VALU_DEP_2) | instskip(SKIP_2) | instid1(VALU_DEP_1)
	v_rcp_f32_e32 v156, v155
	s_waitcnt_depctr 0xfff
	v_fma_f32 v157, -v155, v156, 1.0
	v_fmac_f32_e32 v156, v157, v156
	v_cndmask_b32_e64 v157, v164, v163, s3
	v_cmp_eq_u32_e64 s3, 2, v141
	s_delay_alu instid0(VALU_DEP_3) | instskip(NEXT) | instid1(VALU_DEP_2)
	v_mul_f32_e32 v160, v158, v156
	v_cndmask_b32_e64 v157, v157, v165, s3
	v_cmp_eq_u32_e64 s3, 3, v141
	s_delay_alu instid0(VALU_DEP_3) | instskip(NEXT) | instid1(VALU_DEP_2)
	v_fma_f32 v162, -v155, v160, v158
	v_cndmask_b32_e64 v157, v157, v166, s3
	v_cmp_eq_u32_e64 s3, 4, v141
	s_delay_alu instid0(VALU_DEP_3) | instskip(NEXT) | instid1(VALU_DEP_2)
	v_fmac_f32_e32 v160, v162, v156
	v_cndmask_b32_e64 v157, v157, v161, s3
	s_delay_alu instid0(VALU_DEP_2) | instskip(SKIP_1) | instid1(VALU_DEP_2)
	v_fma_f32 v155, -v155, v160, v158
	v_cmp_eq_u32_e64 s3, 5, v141
	v_div_fmas_f32 v155, v155, v156, v160
	s_delay_alu instid0(VALU_DEP_2) | instskip(SKIP_2) | instid1(VALU_DEP_3)
	v_cndmask_b32_e64 v157, v157, v159, s3
	v_cmp_eq_u32_e32 vcc_lo, 6, v141
	s_mov_b32 s3, exec_lo
	v_div_fixup_f32 v154, v155, v154, 1.0
	s_delay_alu instid0(VALU_DEP_3) | instskip(SKIP_1) | instid1(VALU_DEP_2)
	v_cndmask_b32_e32 v142, v157, v142, vcc_lo
	v_cmp_eq_u32_e32 vcc_lo, 7, v141
	v_cndmask_b32_e32 v142, v142, v153, vcc_lo
	s_delay_alu instid0(VALU_DEP_1) | instskip(NEXT) | instid1(VALU_DEP_1)
	v_mul_f32_e32 v142, v142, v154
	v_mul_f32_e32 v153, v142, v149
	;; [unrolled: 1-line block ×7, first 2 shown]
	v_dual_mul_f32 v150, v142, v147 :: v_dual_and_b32 v155, 0x7f800000, v154
	v_mul_f32_e32 v149, v142, v146
                                        ; implicit-def: $vgpr146
	s_delay_alu instid0(VALU_DEP_2)
	v_cmpx_ne_u32_e32 0x7f800000, v155
	s_xor_b32 s3, exec_lo, s3
; %bb.13:
	v_bfe_u32 v146, v154, 16, 1
	s_delay_alu instid0(VALU_DEP_1)
	v_add3_u32 v146, v154, v146, 0x7fff
                                        ; implicit-def: $vgpr154
; %bb.14:
	s_and_not1_saveexec_b32 s3, s3
; %bb.15:
	v_and_b32_e32 v146, 0xffff, v154
	v_or_b32_e32 v147, 0x10000, v154
	s_delay_alu instid0(VALU_DEP_2) | instskip(NEXT) | instid1(VALU_DEP_2)
	v_cmp_eq_u32_e32 vcc_lo, 0, v146
	v_cndmask_b32_e32 v146, v147, v154, vcc_lo
; %bb.16:
	s_or_b32 exec_lo, exec_lo, s3
	v_and_b32_e32 v147, 0x7f800000, v149
	s_delay_alu instid0(VALU_DEP_1) | instskip(SKIP_1) | instid1(SALU_CYCLE_1)
	v_cmp_ne_u32_e32 vcc_lo, 0x7f800000, v147
                                        ; implicit-def: $vgpr147
	s_and_saveexec_b32 s3, vcc_lo
	s_xor_b32 s3, exec_lo, s3
; %bb.17:
	v_bfe_u32 v147, v149, 16, 1
	s_delay_alu instid0(VALU_DEP_1)
	v_add3_u32 v147, v149, v147, 0x7fff
                                        ; implicit-def: $vgpr149
; %bb.18:
	s_and_not1_saveexec_b32 s3, s3
; %bb.19:
	v_and_b32_e32 v147, 0xffff, v149
	v_or_b32_e32 v154, 0x10000, v149
	s_delay_alu instid0(VALU_DEP_2) | instskip(NEXT) | instid1(VALU_DEP_2)
	v_cmp_eq_u32_e32 vcc_lo, 0, v147
	v_cndmask_b32_e32 v147, v154, v149, vcc_lo
; %bb.20:
	s_or_b32 exec_lo, exec_lo, s3
	v_and_b32_e32 v149, 0x7f800000, v150
	s_delay_alu instid0(VALU_DEP_1) | instskip(SKIP_1) | instid1(SALU_CYCLE_1)
	v_cmp_ne_u32_e32 vcc_lo, 0x7f800000, v149
                                        ; implicit-def: $vgpr149
	s_and_saveexec_b32 s3, vcc_lo
	s_xor_b32 s3, exec_lo, s3
; %bb.21:
	v_bfe_u32 v149, v150, 16, 1
	s_delay_alu instid0(VALU_DEP_1)
	v_add3_u32 v149, v150, v149, 0x7fff
                                        ; implicit-def: $vgpr150
; %bb.22:
	s_and_not1_saveexec_b32 s3, s3
; %bb.23:
	v_and_b32_e32 v149, 0xffff, v150
	v_or_b32_e32 v154, 0x10000, v150
	s_delay_alu instid0(VALU_DEP_2) | instskip(NEXT) | instid1(VALU_DEP_2)
	v_cmp_eq_u32_e32 vcc_lo, 0, v149
	v_cndmask_b32_e32 v149, v154, v150, vcc_lo
; %bb.24:
	s_or_b32 exec_lo, exec_lo, s3
	v_and_b32_e32 v150, 0x7f800000, v153
	s_delay_alu instid0(VALU_DEP_1) | instskip(SKIP_1) | instid1(SALU_CYCLE_1)
	v_cmp_ne_u32_e32 vcc_lo, 0x7f800000, v150
                                        ; implicit-def: $vgpr150
	s_and_saveexec_b32 s3, vcc_lo
	s_xor_b32 s3, exec_lo, s3
; %bb.25:
	v_bfe_u32 v150, v153, 16, 1
	s_delay_alu instid0(VALU_DEP_1)
	v_add3_u32 v150, v153, v150, 0x7fff
                                        ; implicit-def: $vgpr153
; %bb.26:
	s_and_not1_saveexec_b32 s3, s3
; %bb.27:
	v_and_b32_e32 v150, 0xffff, v153
	v_or_b32_e32 v154, 0x10000, v153
	s_delay_alu instid0(VALU_DEP_2) | instskip(NEXT) | instid1(VALU_DEP_2)
	v_cmp_eq_u32_e32 vcc_lo, 0, v150
	v_cndmask_b32_e32 v150, v154, v153, vcc_lo
; %bb.28:
	s_or_b32 exec_lo, exec_lo, s3
	v_and_b32_e32 v153, 0x7f800000, v152
	s_delay_alu instid0(VALU_DEP_1) | instskip(SKIP_1) | instid1(SALU_CYCLE_1)
	v_cmp_ne_u32_e32 vcc_lo, 0x7f800000, v153
                                        ; implicit-def: $vgpr153
	s_and_saveexec_b32 s3, vcc_lo
	s_xor_b32 s3, exec_lo, s3
; %bb.29:
	v_bfe_u32 v153, v152, 16, 1
	s_delay_alu instid0(VALU_DEP_1)
	v_add3_u32 v153, v152, v153, 0x7fff
                                        ; implicit-def: $vgpr152
; %bb.30:
	s_and_not1_saveexec_b32 s3, s3
; %bb.31:
	v_and_b32_e32 v153, 0xffff, v152
	v_or_b32_e32 v154, 0x10000, v152
	s_delay_alu instid0(VALU_DEP_2) | instskip(NEXT) | instid1(VALU_DEP_2)
	v_cmp_eq_u32_e32 vcc_lo, 0, v153
	v_cndmask_b32_e32 v153, v154, v152, vcc_lo
; %bb.32:
	s_or_b32 exec_lo, exec_lo, s3
	v_and_b32_e32 v152, 0x7f800000, v151
	s_delay_alu instid0(VALU_DEP_1) | instskip(SKIP_1) | instid1(SALU_CYCLE_1)
	v_cmp_ne_u32_e32 vcc_lo, 0x7f800000, v152
                                        ; implicit-def: $vgpr152
	s_and_saveexec_b32 s3, vcc_lo
	s_xor_b32 s3, exec_lo, s3
; %bb.33:
	v_bfe_u32 v152, v151, 16, 1
	s_delay_alu instid0(VALU_DEP_1)
	v_add3_u32 v152, v151, v152, 0x7fff
                                        ; implicit-def: $vgpr151
; %bb.34:
	s_and_not1_saveexec_b32 s3, s3
; %bb.35:
	v_and_b32_e32 v152, 0xffff, v151
	v_or_b32_e32 v154, 0x10000, v151
	s_delay_alu instid0(VALU_DEP_2) | instskip(NEXT) | instid1(VALU_DEP_2)
	v_cmp_eq_u32_e32 vcc_lo, 0, v152
	v_cndmask_b32_e32 v152, v154, v151, vcc_lo
; %bb.36:
	s_or_b32 exec_lo, exec_lo, s3
	v_and_b32_e32 v151, 0x7f800000, v148
	s_delay_alu instid0(VALU_DEP_1) | instskip(SKIP_1) | instid1(SALU_CYCLE_1)
	v_cmp_ne_u32_e32 vcc_lo, 0x7f800000, v151
                                        ; implicit-def: $vgpr151
	s_and_saveexec_b32 s3, vcc_lo
	s_xor_b32 s3, exec_lo, s3
; %bb.37:
	v_bfe_u32 v151, v148, 16, 1
	s_delay_alu instid0(VALU_DEP_1)
	v_add3_u32 v151, v148, v151, 0x7fff
                                        ; implicit-def: $vgpr148
; %bb.38:
	s_and_not1_saveexec_b32 s3, s3
; %bb.39:
	v_and_b32_e32 v151, 0xffff, v148
	v_or_b32_e32 v154, 0x10000, v148
	s_delay_alu instid0(VALU_DEP_2) | instskip(NEXT) | instid1(VALU_DEP_2)
	v_cmp_eq_u32_e32 vcc_lo, 0, v151
	v_cndmask_b32_e32 v151, v154, v148, vcc_lo
; %bb.40:
	s_or_b32 exec_lo, exec_lo, s3
	v_and_b32_e32 v148, 0x7f800000, v144
	s_delay_alu instid0(VALU_DEP_1) | instskip(SKIP_1) | instid1(SALU_CYCLE_1)
	v_cmp_ne_u32_e32 vcc_lo, 0x7f800000, v148
                                        ; implicit-def: $vgpr148
	s_and_saveexec_b32 s3, vcc_lo
	s_xor_b32 s3, exec_lo, s3
; %bb.41:
	v_bfe_u32 v148, v144, 16, 1
	s_delay_alu instid0(VALU_DEP_1)
	v_add3_u32 v148, v144, v148, 0x7fff
                                        ; implicit-def: $vgpr144
; %bb.42:
	s_and_not1_saveexec_b32 s3, s3
; %bb.43:
	v_and_b32_e32 v148, 0xffff, v144
	v_or_b32_e32 v154, 0x10000, v144
	s_delay_alu instid0(VALU_DEP_2) | instskip(NEXT) | instid1(VALU_DEP_2)
	v_cmp_eq_u32_e32 vcc_lo, 0, v148
	v_cndmask_b32_e32 v148, v154, v144, vcc_lo
; %bb.44:
	s_or_b32 exec_lo, exec_lo, s3
	s_load_b64 s[34:35], s[0:1], 0x94
	v_lshlrev_b32_e32 v155, 4, v138
	s_delay_alu instid0(VALU_DEP_2)
	v_perm_b32 v154, v148, v151, 0x7060302
	v_mul_f32_e32 v148, v142, v131
	v_dual_mul_f32 v145, v142, v145 :: v_dual_lshlrev_b32 v144, 6, v140
	v_dual_mul_f32 v143, v142, v143 :: v_dual_lshlrev_b32 v156, 11, v141
	v_perm_b32 v153, v152, v153, 0x7060302
	v_perm_b32 v152, v150, v149, 0x7060302
	;; [unrolled: 1-line block ×3, first 2 shown]
	s_delay_alu instid0(VALU_DEP_4)
	v_or3_b32 v131, v155, v156, v144
	v_mul_f32_e32 v136, v142, v136
	v_dual_mul_f32 v146, v142, v134 :: v_dual_and_b32 v149, 0x7f800000, v148
	v_mul_f32_e32 v135, v142, v135
	v_mul_f32_e32 v147, v142, v133
	;; [unrolled: 1-line block ×3, first 2 shown]
	s_mov_b32 s3, exec_lo
	ds_store_b128 v131, v[151:154]
                                        ; implicit-def: $vgpr132
	v_cmpx_ne_u32_e32 0x7f800000, v149
	s_xor_b32 s3, exec_lo, s3
; %bb.45:
	v_bfe_u32 v132, v148, 16, 1
	s_delay_alu instid0(VALU_DEP_1)
	v_add3_u32 v132, v148, v132, 0x7fff
                                        ; implicit-def: $vgpr148
; %bb.46:
	s_and_not1_saveexec_b32 s3, s3
; %bb.47:
	v_and_b32_e32 v132, 0xffff, v148
	v_or_b32_e32 v133, 0x10000, v148
	s_delay_alu instid0(VALU_DEP_2) | instskip(NEXT) | instid1(VALU_DEP_2)
	v_cmp_eq_u32_e32 vcc_lo, 0, v132
	v_cndmask_b32_e32 v132, v133, v148, vcc_lo
; %bb.48:
	s_or_b32 exec_lo, exec_lo, s3
	v_and_b32_e32 v133, 0x7f800000, v134
	s_delay_alu instid0(VALU_DEP_1) | instskip(SKIP_1) | instid1(SALU_CYCLE_1)
	v_cmp_ne_u32_e32 vcc_lo, 0x7f800000, v133
                                        ; implicit-def: $vgpr133
	s_and_saveexec_b32 s3, vcc_lo
	s_xor_b32 s3, exec_lo, s3
; %bb.49:
	v_bfe_u32 v133, v134, 16, 1
	s_delay_alu instid0(VALU_DEP_1)
	v_add3_u32 v133, v134, v133, 0x7fff
                                        ; implicit-def: $vgpr134
; %bb.50:
	s_and_not1_saveexec_b32 s3, s3
; %bb.51:
	v_and_b32_e32 v133, 0xffff, v134
	v_or_b32_e32 v142, 0x10000, v134
	s_delay_alu instid0(VALU_DEP_2) | instskip(NEXT) | instid1(VALU_DEP_2)
	v_cmp_eq_u32_e32 vcc_lo, 0, v133
	v_cndmask_b32_e32 v133, v142, v134, vcc_lo
; %bb.52:
	s_or_b32 exec_lo, exec_lo, s3
	v_and_b32_e32 v134, 0x7f800000, v147
	s_delay_alu instid0(VALU_DEP_1) | instskip(SKIP_1) | instid1(SALU_CYCLE_1)
	v_cmp_ne_u32_e32 vcc_lo, 0x7f800000, v134
                                        ; implicit-def: $vgpr134
	s_and_saveexec_b32 s3, vcc_lo
	s_xor_b32 s3, exec_lo, s3
; %bb.53:
	v_bfe_u32 v134, v147, 16, 1
	s_delay_alu instid0(VALU_DEP_1)
	v_add3_u32 v134, v147, v134, 0x7fff
                                        ; implicit-def: $vgpr147
; %bb.54:
	s_and_not1_saveexec_b32 s3, s3
; %bb.55:
	v_and_b32_e32 v134, 0xffff, v147
	v_or_b32_e32 v142, 0x10000, v147
	s_delay_alu instid0(VALU_DEP_2) | instskip(NEXT) | instid1(VALU_DEP_2)
	v_cmp_eq_u32_e32 vcc_lo, 0, v134
	v_cndmask_b32_e32 v134, v142, v147, vcc_lo
; %bb.56:
	s_or_b32 exec_lo, exec_lo, s3
	v_and_b32_e32 v142, 0x7f800000, v146
	s_delay_alu instid0(VALU_DEP_1) | instskip(SKIP_1) | instid1(SALU_CYCLE_1)
	v_cmp_ne_u32_e32 vcc_lo, 0x7f800000, v142
                                        ; implicit-def: $vgpr142
	s_and_saveexec_b32 s3, vcc_lo
	s_xor_b32 s3, exec_lo, s3
; %bb.57:
	v_bfe_u32 v142, v146, 16, 1
	s_delay_alu instid0(VALU_DEP_1)
	v_add3_u32 v142, v146, v142, 0x7fff
                                        ; implicit-def: $vgpr146
; %bb.58:
	s_and_not1_saveexec_b32 s3, s3
; %bb.59:
	v_and_b32_e32 v142, 0xffff, v146
	v_or_b32_e32 v147, 0x10000, v146
	s_delay_alu instid0(VALU_DEP_2) | instskip(NEXT) | instid1(VALU_DEP_2)
	v_cmp_eq_u32_e32 vcc_lo, 0, v142
	v_cndmask_b32_e32 v142, v147, v146, vcc_lo
; %bb.60:
	s_or_b32 exec_lo, exec_lo, s3
	v_and_b32_e32 v146, 0x7f800000, v135
	s_delay_alu instid0(VALU_DEP_1) | instskip(SKIP_1) | instid1(SALU_CYCLE_1)
	v_cmp_ne_u32_e32 vcc_lo, 0x7f800000, v146
                                        ; implicit-def: $vgpr146
	s_and_saveexec_b32 s3, vcc_lo
	s_xor_b32 s3, exec_lo, s3
; %bb.61:
	v_bfe_u32 v146, v135, 16, 1
	s_delay_alu instid0(VALU_DEP_1)
	v_add3_u32 v146, v135, v146, 0x7fff
                                        ; implicit-def: $vgpr135
; %bb.62:
	s_and_not1_saveexec_b32 s3, s3
; %bb.63:
	v_and_b32_e32 v146, 0xffff, v135
	v_or_b32_e32 v147, 0x10000, v135
	s_delay_alu instid0(VALU_DEP_2) | instskip(NEXT) | instid1(VALU_DEP_2)
	v_cmp_eq_u32_e32 vcc_lo, 0, v146
	v_cndmask_b32_e32 v146, v147, v135, vcc_lo
; %bb.64:
	s_or_b32 exec_lo, exec_lo, s3
	v_and_b32_e32 v135, 0x7f800000, v136
	s_delay_alu instid0(VALU_DEP_1) | instskip(SKIP_1) | instid1(SALU_CYCLE_1)
	v_cmp_ne_u32_e32 vcc_lo, 0x7f800000, v135
                                        ; implicit-def: $vgpr135
	s_and_saveexec_b32 s3, vcc_lo
	s_xor_b32 s3, exec_lo, s3
; %bb.65:
	v_bfe_u32 v135, v136, 16, 1
	s_delay_alu instid0(VALU_DEP_1)
	v_add3_u32 v135, v136, v135, 0x7fff
                                        ; implicit-def: $vgpr136
; %bb.66:
	s_and_not1_saveexec_b32 s3, s3
; %bb.67:
	v_and_b32_e32 v135, 0xffff, v136
	v_or_b32_e32 v147, 0x10000, v136
	s_delay_alu instid0(VALU_DEP_2) | instskip(NEXT) | instid1(VALU_DEP_2)
	v_cmp_eq_u32_e32 vcc_lo, 0, v135
	v_cndmask_b32_e32 v135, v147, v136, vcc_lo
; %bb.68:
	s_or_b32 exec_lo, exec_lo, s3
	v_and_b32_e32 v136, 0x7f800000, v143
	s_delay_alu instid0(VALU_DEP_1) | instskip(SKIP_1) | instid1(SALU_CYCLE_1)
	v_cmp_ne_u32_e32 vcc_lo, 0x7f800000, v136
                                        ; implicit-def: $vgpr136
	s_and_saveexec_b32 s3, vcc_lo
	s_xor_b32 s3, exec_lo, s3
; %bb.69:
	v_bfe_u32 v136, v143, 16, 1
	s_delay_alu instid0(VALU_DEP_1)
	v_add3_u32 v136, v143, v136, 0x7fff
                                        ; implicit-def: $vgpr143
; %bb.70:
	s_and_not1_saveexec_b32 s3, s3
; %bb.71:
	v_and_b32_e32 v136, 0xffff, v143
	v_or_b32_e32 v147, 0x10000, v143
	s_delay_alu instid0(VALU_DEP_2) | instskip(NEXT) | instid1(VALU_DEP_2)
	v_cmp_eq_u32_e32 vcc_lo, 0, v136
	v_cndmask_b32_e32 v136, v147, v143, vcc_lo
; %bb.72:
	s_or_b32 exec_lo, exec_lo, s3
	v_and_b32_e32 v143, 0x7f800000, v145
	s_delay_alu instid0(VALU_DEP_1) | instskip(SKIP_1) | instid1(SALU_CYCLE_1)
	v_cmp_ne_u32_e32 vcc_lo, 0x7f800000, v143
                                        ; implicit-def: $vgpr143
	s_and_saveexec_b32 s3, vcc_lo
	s_xor_b32 s3, exec_lo, s3
; %bb.73:
	v_bfe_u32 v143, v145, 16, 1
	s_delay_alu instid0(VALU_DEP_1)
	v_add3_u32 v143, v145, v143, 0x7fff
                                        ; implicit-def: $vgpr145
; %bb.74:
	s_and_not1_saveexec_b32 s3, s3
; %bb.75:
	v_and_b32_e32 v143, 0xffff, v145
	v_or_b32_e32 v147, 0x10000, v145
	s_delay_alu instid0(VALU_DEP_2) | instskip(NEXT) | instid1(VALU_DEP_2)
	v_cmp_eq_u32_e32 vcc_lo, 0, v143
	v_cndmask_b32_e32 v143, v147, v145, vcc_lo
; %bb.76:
	s_or_b32 exec_lo, exec_lo, s3
	s_delay_alu instid0(VALU_DEP_1)
	v_perm_b32 v136, v143, v136, 0x7060302
	v_perm_b32 v135, v135, v146, 0x7060302
	;; [unrolled: 1-line block ×4, first 2 shown]
	v_lshl_or_b32 v145, v141, 11, v144
	v_lshlrev_b32_e32 v142, 2, v138
	ds_store_b128 v131, v[133:136] offset:1024
	s_waitcnt lgkmcnt(0)
	s_barrier
	buffer_gl0_inv
	ds_load_b128 v[132:135], v145
	ds_load_b128 v[147:150], v145 offset:16
	v_or_b32_e32 v143, 1, v142
	v_cmp_eq_u32_e64 s12, 1, v142
	v_cmp_eq_u32_e64 s11, 2, v142
	;; [unrolled: 1-line block ×3, first 2 shown]
	v_or_b32_e32 v141, 2, v142
	v_cmp_eq_u32_e64 s7, 1, v143
	v_cmp_eq_u32_e64 s6, 2, v143
	;; [unrolled: 1-line block ×8, first 2 shown]
	v_cmp_eq_u32_e32 vcc_lo, 5, v143
	v_cmp_eq_u32_e64 s10, 2, v141
	v_cmp_eq_u32_e64 s4, 6, v143
	;; [unrolled: 1-line block ×4, first 2 shown]
	s_waitcnt lgkmcnt(1)
	v_lshrrev_b32_e32 v136, 16, v132
	s_waitcnt lgkmcnt(0)
	v_lshrrev_b32_e32 v155, 16, v147
	v_lshrrev_b32_e32 v161, 16, v148
	;; [unrolled: 1-line block ×4, first 2 shown]
	v_cndmask_b32_e64 v146, v132, v136, s12
	v_cndmask_b32_e64 v151, v147, v155, s12
	;; [unrolled: 1-line block ×4, first 2 shown]
	v_lshrrev_b32_e32 v160, 16, v134
	v_cndmask_b32_e64 v146, v146, v133, s11
	v_cndmask_b32_e64 v151, v151, v148, s11
	;; [unrolled: 1-line block ×8, first 2 shown]
	v_lshrrev_b32_e32 v164, 16, v150
	v_cndmask_b32_e64 v153, v153, v161, s5
	v_cndmask_b32_e64 v146, v146, v134, s17
	;; [unrolled: 1-line block ×5, first 2 shown]
	v_lshrrev_b32_e32 v162, 16, v135
	v_cndmask_b32_e64 v146, v146, v160, s13
	v_cndmask_b32_e64 v151, v151, v163, s13
	v_cndmask_b32_e32 v152, v152, v160, vcc_lo
	v_cndmask_b32_e64 v153, v153, v149, s3
	v_cmp_eq_u32_e64 s19, 7, v143
	v_cndmask_b32_e64 v146, v146, v135, s15
	v_cndmask_b32_e64 v151, v151, v150, s15
	;; [unrolled: 1-line block ×4, first 2 shown]
	v_cmp_eq_u32_e64 s20, 4, v141
	v_cndmask_b32_e64 v165, v146, v162, s9
	v_cndmask_b32_e64 v166, v151, v164, s9
	v_cndmask_b32_e64 v151, v147, v155, s8
	v_or_b32_e32 v146, 3, v142
	v_cndmask_b32_e64 v167, v152, v162, s19
	v_cndmask_b32_e32 v156, v153, v163, vcc_lo
	v_cndmask_b32_e64 v158, v154, v134, s20
	v_cndmask_b32_e64 v157, v151, v148, s10
	ds_load_b128 v[151:154], v145 offset:1024
	v_cmp_eq_u32_e64 s21, 1, v146
	v_cmp_eq_u32_e64 s22, 5, v141
	;; [unrolled: 1-line block ×3, first 2 shown]
	v_cndmask_b32_e64 v157, v157, v161, s18
	v_cmp_eq_u32_e64 s24, 3, v146
	v_cndmask_b32_e64 v132, v132, v136, s21
	v_cndmask_b32_e64 v136, v156, v150, s4
	;; [unrolled: 1-line block ×5, first 2 shown]
	ds_load_b128 v[155:158], v145 offset:1040
	v_cndmask_b32_e64 v132, v132, v133, s23
	v_cmp_eq_u32_e64 s26, 4, v146
	v_cmp_eq_u32_e64 s28, 5, v146
	v_cndmask_b32_e64 v147, v147, v148, s23
	v_cmp_eq_u32_e64 s25, 6, v141
	v_cndmask_b32_e64 v132, v132, v159, s24
	;; [unrolled: 2-line block ×3, first 2 shown]
	v_cndmask_b32_e64 v147, v147, v161, s24
	s_waitcnt lgkmcnt(1)
	v_lshrrev_b32_e32 v159, 16, v151
	v_cndmask_b32_e64 v132, v132, v134, s26
	v_cndmask_b32_e64 v148, v168, v135, s25
	;; [unrolled: 1-line block ×6, first 2 shown]
	v_lshrrev_b32_e32 v160, 16, v152
	v_cndmask_b32_e64 v161, v151, v159, s7
	v_cndmask_b32_e64 v134, v134, v163, s28
	s_waitcnt lgkmcnt(0)
	v_lshrrev_b32_e32 v149, 16, v155
	v_cndmask_b32_e64 v147, v147, v152, s11
	v_cndmask_b32_e64 v132, v132, v135, s29
	v_cmp_eq_u32_e64 s27, 7, v141
	v_cndmask_b32_e64 v134, v134, v150, s29
	v_cndmask_b32_e64 v163, v155, v149, s12
	v_cndmask_b32_e64 v135, v147, v160, s16
	v_cndmask_b32_e64 v147, v161, v152, s6
	v_lshrrev_b32_e32 v161, 16, v156
	v_cndmask_b32_e64 v136, v136, v164, s19
	v_cndmask_b32_e64 v150, v163, v156, s11
	v_cmp_eq_u32_e64 s11, 7, v146
	v_cndmask_b32_e64 v147, v147, v160, s5
	v_cndmask_b32_e64 v135, v135, v153, s17
	v_lshrrev_b32_e32 v163, 16, v153
	v_cndmask_b32_e64 v150, v150, v161, s16
	v_cndmask_b32_e64 v132, v132, v162, s11
	;; [unrolled: 1-line block ×8, first 2 shown]
	v_lshrrev_b32_e32 v164, 16, v157
	v_perm_b32 v135, v134, v132, 0x5040100
	v_cndmask_b32_e32 v132, v147, v163, vcc_lo
	v_cndmask_b32_e64 v147, v162, v154, s15
	v_lshrrev_b32_e32 v162, 16, v154
	v_cndmask_b32_e64 v150, v150, v164, s13
	v_perm_b32 v134, v133, v148, 0x5040100
	v_cndmask_b32_e64 v132, v132, v154, s4
	v_perm_b32 v133, v136, v167, 0x5040100
	v_cndmask_b32_e64 v136, v147, v162, s9
	v_cndmask_b32_e64 v147, v150, v158, s15
	;; [unrolled: 1-line block ×27, first 2 shown]
	v_cndmask_b32_e32 v149, v149, v164, vcc_lo
	v_lshrrev_b32_e32 v148, 16, v158
	v_cndmask_b32_e64 v132, v132, v154, s25
	v_cndmask_b32_e64 v150, v150, v154, s29
	;; [unrolled: 1-line block ×11, first 2 shown]
	v_perm_b32 v132, v166, v165, 0x5040100
	v_perm_b32 v150, v151, v150, 0x5040100
	;; [unrolled: 1-line block ×5, first 2 shown]
	s_mul_i32 s8, s35, 11
	s_mov_b32 s3, exec_lo
	ds_store_b128 v131, v[132:135]
	ds_store_b128 v131, v[147:150] offset:1024
	v_cmpx_gt_u32_e32 11, v0
	s_cbranch_execz .LBB588_78
; %bb.77:
	s_mul_i32 s4, s8, s30
	s_delay_alu instid0(SALU_CYCLE_1) | instskip(SKIP_1) | instid1(VALU_DEP_1)
	v_add3_u32 v133, s4, s31, v140
	s_load_b128 s[4:7], s[0:1], 0x58
	v_mad_u64_u32 v[131:132], null, v133, s34, s[14:15]
	s_delay_alu instid0(VALU_DEP_1) | instskip(NEXT) | instid1(VALU_DEP_1)
	v_ashrrev_i32_e32 v132, 31, v131
	v_lshlrev_b64 v[131:132], 2, v[131:132]
	s_waitcnt lgkmcnt(0)
	s_delay_alu instid0(VALU_DEP_1) | instskip(NEXT) | instid1(VALU_DEP_2)
	v_add_co_u32 v133, vcc_lo, s6, v131
	v_add_co_ci_u32_e32 v134, vcc_lo, s7, v132, vcc_lo
	v_add_co_u32 v131, vcc_lo, s4, v131
	v_add_co_ci_u32_e32 v132, vcc_lo, s5, v132, vcc_lo
	global_store_b32 v[133:134], v129, off
	global_store_b32 v[131:132], v130, off
.LBB588_78:
	s_or_b32 exec_lo, exec_lo, s3
	s_waitcnt lgkmcnt(0)
	s_waitcnt_vscnt null, 0x0
	s_barrier
	buffer_gl0_inv
	ds_load_b128 v[147:150], v144
	ds_load_b128 v[151:154], v144 offset:16
	ds_load_b128 v[159:162], v144 offset:1040
	;; [unrolled: 1-line block ×3, first 2 shown]
	v_mov_b32_e32 v129, 0
	ds_load_b128 v[167:170], v144 offset:2064
	ds_load_b128 v[163:166], v144 offset:2048
	;; [unrolled: 1-line block ×6, first 2 shown]
	v_mov_b32_e32 v130, v129
	v_mov_b32_e32 v131, v129
	;; [unrolled: 1-line block ×7, first 2 shown]
	s_waitcnt lgkmcnt(8)
	s_delay_alu instid0(VALU_DEP_1)
	v_wmma_f32_16x16x16_bf16 v[129:136], v[121:128], v[147:154], v[129:136]
	ds_load_b128 v[125:128], v144 offset:5136
	ds_load_b128 v[121:124], v144 offset:5120
	s_waitcnt lgkmcnt(8)
	v_wmma_f32_16x16x16_bf16 v[129:136], v[113:120], v[155:162], v[129:136]
	ds_load_b128 v[117:120], v144 offset:6160
	ds_load_b128 v[113:116], v144 offset:6144
	s_waitcnt lgkmcnt(8)
	;; [unrolled: 4-line block ×8, first 2 shown]
	v_wmma_f32_16x16x16_bf16 v[129:136], v[65:72], v[97:104], v[129:136]
	s_waitcnt lgkmcnt(6)
	s_delay_alu instid0(VALU_DEP_1)
	v_wmma_f32_16x16x16_bf16 v[129:136], v[49:56], v[89:96], v[129:136]
	ds_load_b128 v[53:56], v144 offset:13328
	ds_load_b128 v[49:52], v144 offset:13312
	s_waitcnt lgkmcnt(6)
	v_wmma_f32_16x16x16_bf16 v[129:136], v[41:48], v[81:88], v[129:136]
	ds_load_b128 v[45:48], v144 offset:14352
	ds_load_b128 v[41:44], v144 offset:14336
	s_waitcnt lgkmcnt(6)
	;; [unrolled: 4-line block ×3, first 2 shown]
	v_wmma_f32_16x16x16_bf16 v[129:136], v[1:8], v[57:64], v[129:136]
	s_waitcnt lgkmcnt(4)
	s_delay_alu instid0(VALU_DEP_1) | instskip(SKIP_1) | instid1(VALU_DEP_1)
	v_wmma_f32_16x16x16_bf16 v[129:136], v[25:32], v[49:56], v[129:136]
	s_waitcnt lgkmcnt(2)
	v_wmma_f32_16x16x16_bf16 v[129:136], v[33:40], v[41:48], v[129:136]
	s_waitcnt lgkmcnt(0)
	s_delay_alu instid0(VALU_DEP_1) | instskip(NEXT) | instid1(VALU_DEP_1)
	v_wmma_f32_16x16x16_bf16 v[129:136], v[9:16], v[17:24], v[129:136]
	v_and_b32_e32 v1, 0x7f800000, v129
	s_delay_alu instid0(VALU_DEP_1) | instskip(SKIP_1) | instid1(SALU_CYCLE_1)
	v_cmp_ne_u32_e32 vcc_lo, 0x7f800000, v1
                                        ; implicit-def: $vgpr1
	s_and_saveexec_b32 s3, vcc_lo
	s_xor_b32 s3, exec_lo, s3
; %bb.79:
	v_bfe_u32 v1, v129, 16, 1
	s_delay_alu instid0(VALU_DEP_1)
	v_add3_u32 v1, v129, v1, 0x7fff
; %bb.80:
	s_and_not1_saveexec_b32 s3, s3
; %bb.81:
	v_and_b32_e32 v1, 0xffff, v129
	v_or_b32_e32 v2, 0x10000, v129
	s_delay_alu instid0(VALU_DEP_2) | instskip(NEXT) | instid1(VALU_DEP_2)
	v_cmp_eq_u32_e32 vcc_lo, 0, v1
	v_cndmask_b32_e32 v1, v2, v129, vcc_lo
; %bb.82:
	s_or_b32 exec_lo, exec_lo, s3
	v_and_b32_e32 v2, 0x7f800000, v130
	s_delay_alu instid0(VALU_DEP_1) | instskip(SKIP_1) | instid1(SALU_CYCLE_1)
	v_cmp_ne_u32_e32 vcc_lo, 0x7f800000, v2
                                        ; implicit-def: $vgpr2
	s_and_saveexec_b32 s3, vcc_lo
	s_xor_b32 s3, exec_lo, s3
; %bb.83:
	v_bfe_u32 v2, v130, 16, 1
	s_delay_alu instid0(VALU_DEP_1)
	v_add3_u32 v2, v130, v2, 0x7fff
; %bb.84:
	s_and_not1_saveexec_b32 s3, s3
; %bb.85:
	v_and_b32_e32 v2, 0xffff, v130
	v_or_b32_e32 v3, 0x10000, v130
	s_delay_alu instid0(VALU_DEP_2) | instskip(NEXT) | instid1(VALU_DEP_2)
	v_cmp_eq_u32_e32 vcc_lo, 0, v2
	v_cndmask_b32_e32 v2, v3, v130, vcc_lo
; %bb.86:
	s_or_b32 exec_lo, exec_lo, s3
	v_and_b32_e32 v3, 0x7f800000, v131
	s_delay_alu instid0(VALU_DEP_1) | instskip(SKIP_1) | instid1(SALU_CYCLE_1)
	v_cmp_ne_u32_e32 vcc_lo, 0x7f800000, v3
                                        ; implicit-def: $vgpr3
	s_and_saveexec_b32 s3, vcc_lo
	s_xor_b32 s3, exec_lo, s3
; %bb.87:
	v_bfe_u32 v3, v131, 16, 1
	s_delay_alu instid0(VALU_DEP_1)
	v_add3_u32 v3, v131, v3, 0x7fff
; %bb.88:
	s_and_not1_saveexec_b32 s3, s3
; %bb.89:
	v_and_b32_e32 v3, 0xffff, v131
	v_or_b32_e32 v4, 0x10000, v131
	s_delay_alu instid0(VALU_DEP_2) | instskip(NEXT) | instid1(VALU_DEP_2)
	v_cmp_eq_u32_e32 vcc_lo, 0, v3
	v_cndmask_b32_e32 v3, v4, v131, vcc_lo
; %bb.90:
	s_or_b32 exec_lo, exec_lo, s3
	v_and_b32_e32 v4, 0x7f800000, v132
	s_delay_alu instid0(VALU_DEP_1) | instskip(SKIP_1) | instid1(SALU_CYCLE_1)
	v_cmp_ne_u32_e32 vcc_lo, 0x7f800000, v4
                                        ; implicit-def: $vgpr4
	s_and_saveexec_b32 s3, vcc_lo
	s_xor_b32 s3, exec_lo, s3
; %bb.91:
	v_bfe_u32 v4, v132, 16, 1
	s_delay_alu instid0(VALU_DEP_1)
	v_add3_u32 v4, v132, v4, 0x7fff
; %bb.92:
	s_and_not1_saveexec_b32 s3, s3
; %bb.93:
	v_and_b32_e32 v4, 0xffff, v132
	v_or_b32_e32 v5, 0x10000, v132
	s_delay_alu instid0(VALU_DEP_2) | instskip(NEXT) | instid1(VALU_DEP_2)
	v_cmp_eq_u32_e32 vcc_lo, 0, v4
	v_cndmask_b32_e32 v4, v5, v132, vcc_lo
; %bb.94:
	s_or_b32 exec_lo, exec_lo, s3
	v_and_b32_e32 v5, 0x7f800000, v133
	s_delay_alu instid0(VALU_DEP_1) | instskip(SKIP_1) | instid1(SALU_CYCLE_1)
	v_cmp_ne_u32_e32 vcc_lo, 0x7f800000, v5
                                        ; implicit-def: $vgpr5
	s_and_saveexec_b32 s3, vcc_lo
	s_xor_b32 s3, exec_lo, s3
; %bb.95:
	v_bfe_u32 v5, v133, 16, 1
	s_delay_alu instid0(VALU_DEP_1)
	v_add3_u32 v5, v133, v5, 0x7fff
; %bb.96:
	s_and_not1_saveexec_b32 s3, s3
; %bb.97:
	v_and_b32_e32 v5, 0xffff, v133
	v_or_b32_e32 v6, 0x10000, v133
	s_delay_alu instid0(VALU_DEP_2) | instskip(NEXT) | instid1(VALU_DEP_2)
	v_cmp_eq_u32_e32 vcc_lo, 0, v5
	v_cndmask_b32_e32 v5, v6, v133, vcc_lo
; %bb.98:
	s_or_b32 exec_lo, exec_lo, s3
	v_and_b32_e32 v6, 0x7f800000, v134
	s_delay_alu instid0(VALU_DEP_1) | instskip(SKIP_1) | instid1(SALU_CYCLE_1)
	v_cmp_ne_u32_e32 vcc_lo, 0x7f800000, v6
                                        ; implicit-def: $vgpr6
	s_and_saveexec_b32 s3, vcc_lo
	s_xor_b32 s3, exec_lo, s3
; %bb.99:
	v_bfe_u32 v6, v134, 16, 1
	s_delay_alu instid0(VALU_DEP_1)
	v_add3_u32 v6, v134, v6, 0x7fff
; %bb.100:
	s_and_not1_saveexec_b32 s3, s3
; %bb.101:
	v_and_b32_e32 v6, 0xffff, v134
	v_or_b32_e32 v7, 0x10000, v134
	s_delay_alu instid0(VALU_DEP_2) | instskip(NEXT) | instid1(VALU_DEP_2)
	v_cmp_eq_u32_e32 vcc_lo, 0, v6
	v_cndmask_b32_e32 v6, v7, v134, vcc_lo
; %bb.102:
	s_or_b32 exec_lo, exec_lo, s3
	v_and_b32_e32 v7, 0x7f800000, v135
	s_delay_alu instid0(VALU_DEP_1) | instskip(SKIP_1) | instid1(SALU_CYCLE_1)
	v_cmp_ne_u32_e32 vcc_lo, 0x7f800000, v7
                                        ; implicit-def: $vgpr7
	s_and_saveexec_b32 s3, vcc_lo
	s_xor_b32 s3, exec_lo, s3
; %bb.103:
	v_bfe_u32 v7, v135, 16, 1
	s_delay_alu instid0(VALU_DEP_1)
	v_add3_u32 v7, v135, v7, 0x7fff
; %bb.104:
	s_and_not1_saveexec_b32 s3, s3
; %bb.105:
	v_and_b32_e32 v7, 0xffff, v135
	v_or_b32_e32 v8, 0x10000, v135
	s_delay_alu instid0(VALU_DEP_2) | instskip(NEXT) | instid1(VALU_DEP_2)
	v_cmp_eq_u32_e32 vcc_lo, 0, v7
	v_cndmask_b32_e32 v7, v8, v135, vcc_lo
; %bb.106:
	s_or_b32 exec_lo, exec_lo, s3
	v_and_b32_e32 v8, 0x7f800000, v136
	s_delay_alu instid0(VALU_DEP_1) | instskip(SKIP_1) | instid1(SALU_CYCLE_1)
	v_cmp_ne_u32_e32 vcc_lo, 0x7f800000, v8
                                        ; implicit-def: $vgpr8
	s_and_saveexec_b32 s3, vcc_lo
	s_xor_b32 s3, exec_lo, s3
; %bb.107:
	v_bfe_u32 v8, v136, 16, 1
	s_delay_alu instid0(VALU_DEP_1)
	v_add3_u32 v8, v136, v8, 0x7fff
                                        ; implicit-def: $vgpr129_vgpr130_vgpr131_vgpr132_vgpr133_vgpr134_vgpr135_vgpr136
; %bb.108:
	s_and_not1_saveexec_b32 s3, s3
; %bb.109:
	v_and_b32_e32 v8, 0xffff, v136
	v_or_b32_e32 v9, 0x10000, v136
	s_delay_alu instid0(VALU_DEP_2) | instskip(NEXT) | instid1(VALU_DEP_2)
	v_cmp_eq_u32_e32 vcc_lo, 0, v8
	v_cndmask_b32_e32 v8, v9, v136, vcc_lo
; %bb.110:
	s_or_b32 exec_lo, exec_lo, s3
	s_delay_alu instid0(VALU_DEP_1)
	v_perm_b32 v7, v8, v7, 0x7060302
	v_perm_b32 v6, v6, v5, 0x7060302
	;; [unrolled: 1-line block ×4, first 2 shown]
	v_lshl_or_b32 v9, v138, 4, v145
	s_barrier
	buffer_gl0_inv
	v_cmp_eq_u32_e32 vcc_lo, 1, v142
	ds_store_b128 v9, v[4:7]
	s_waitcnt lgkmcnt(0)
	s_barrier
	buffer_gl0_inv
	ds_load_b128 v[1:4], v145
	ds_load_b128 v[5:8], v145 offset:16
	v_cmp_eq_u32_e64 s4, 2, v142
	v_cmp_eq_u32_e64 s3, 1, v143
	;; [unrolled: 1-line block ×5, first 2 shown]
	s_waitcnt lgkmcnt(1)
	v_lshrrev_b32_e32 v10, 16, v1
	s_waitcnt lgkmcnt(0)
	v_lshrrev_b32_e32 v14, 16, v5
	v_lshrrev_b32_e32 v15, 16, v6
	;; [unrolled: 1-line block ×4, first 2 shown]
	v_cndmask_b32_e64 v20, v1, v10, s3
	v_cndmask_b32_e32 v19, v5, v14, vcc_lo
	v_cndmask_b32_e64 v21, v5, v14, s3
	v_lshrrev_b32_e32 v16, 16, v7
	v_cmp_eq_u32_e64 s3, 1, v141
	v_lshrrev_b32_e32 v13, 16, v4
	v_cndmask_b32_e64 v19, v19, v6, s4
	v_lshrrev_b32_e32 v17, 16, v8
	s_delay_alu instid0(VALU_DEP_4) | instskip(SKIP_1) | instid1(VALU_DEP_4)
	v_cndmask_b32_e64 v22, v1, v10, s3
	v_cndmask_b32_e64 v23, v5, v14, s3
	;; [unrolled: 1-line block ×3, first 2 shown]
	v_cndmask_b32_e32 v18, v1, v10, vcc_lo
	v_cmp_eq_u32_e32 vcc_lo, 2, v143
	v_cmp_eq_u32_e64 s3, 2, v146
	v_cndmask_b32_e64 v22, v22, v2, s7
	v_cndmask_b32_e32 v20, v20, v2, vcc_lo
	v_cndmask_b32_e32 v21, v21, v6, vcc_lo
	v_cmp_eq_u32_e32 vcc_lo, 4, v142
	v_cndmask_b32_e32 v19, v19, v7, vcc_lo
	v_cndmask_b32_e64 v18, v18, v2, s4
	v_cmp_eq_u32_e64 s4, 3, v143
	s_delay_alu instid0(VALU_DEP_2) | instskip(NEXT) | instid1(VALU_DEP_2)
	v_cndmask_b32_e64 v18, v18, v11, s5
	v_cndmask_b32_e64 v21, v21, v15, s4
	v_cmp_eq_u32_e64 s5, 5, v142
	s_delay_alu instid0(VALU_DEP_3) | instskip(SKIP_1) | instid1(VALU_DEP_3)
	v_cndmask_b32_e32 v18, v18, v3, vcc_lo
	v_cmp_eq_u32_e32 vcc_lo, 4, v143
	v_cndmask_b32_e64 v19, v19, v16, s5
	s_delay_alu instid0(VALU_DEP_3) | instskip(SKIP_4) | instid1(VALU_DEP_3)
	v_cndmask_b32_e64 v18, v18, v12, s5
	v_cndmask_b32_e32 v21, v21, v7, vcc_lo
	v_cndmask_b32_e64 v20, v20, v11, s4
	v_cmp_eq_u32_e64 s4, 5, v143
	v_cmp_eq_u32_e64 s5, 6, v142
	v_cndmask_b32_e32 v20, v20, v3, vcc_lo
	s_delay_alu instid0(VALU_DEP_3) | instskip(SKIP_1) | instid1(VALU_DEP_4)
	v_cndmask_b32_e64 v21, v21, v16, s4
	v_cmp_eq_u32_e32 vcc_lo, 6, v143
	v_cndmask_b32_e64 v18, v18, v4, s5
	v_cndmask_b32_e64 v19, v19, v8, s5
	;; [unrolled: 1-line block ×3, first 2 shown]
	v_cmp_eq_u32_e64 s4, 1, v146
	v_cmp_eq_u32_e64 s5, 7, v142
	s_delay_alu instid0(VALU_DEP_3) | instskip(NEXT) | instid1(VALU_DEP_3)
	v_cndmask_b32_e32 v20, v20, v4, vcc_lo
	v_cndmask_b32_e64 v1, v1, v10, s4
	v_cndmask_b32_e64 v5, v5, v14, s4
	v_cmp_eq_u32_e64 s4, 3, v141
	v_cndmask_b32_e64 v14, v23, v6, s7
	v_cmp_eq_u32_e64 s7, 3, v146
	v_cndmask_b32_e64 v1, v1, v2, s3
	v_cndmask_b32_e64 v2, v5, v6, s3
	;; [unrolled: 1-line block ×3, first 2 shown]
	v_cmp_eq_u32_e64 s3, 4, v141
	v_cndmask_b32_e64 v6, v14, v15, s4
	v_cndmask_b32_e64 v1, v1, v11, s7
	v_cmp_eq_u32_e64 s4, 4, v146
	v_cndmask_b32_e64 v2, v2, v15, s7
	v_cndmask_b32_e64 v5, v10, v3, s3
	;; [unrolled: 3-line block ×3, first 2 shown]
	v_cndmask_b32_e64 v2, v2, v7, s4
	v_cmp_eq_u32_e64 s3, 5, v146
	v_cndmask_b32_e64 v5, v5, v12, s7
	v_cmp_eq_u32_e64 s4, 6, v141
	;; [unrolled: 2-line block ×3, first 2 shown]
	v_cndmask_b32_e64 v1, v1, v12, s3
	v_cndmask_b32_e64 v2, v2, v16, s3
	;; [unrolled: 1-line block ×4, first 2 shown]
	v_cmp_eq_u32_e64 s3, 7, v146
	v_cndmask_b32_e64 v1, v1, v4, s7
	v_cndmask_b32_e64 v2, v2, v8, s7
	v_cmp_eq_u32_e64 s4, 7, v141
	v_cndmask_b32_e32 v4, v21, v8, vcc_lo
	v_cndmask_b32_e64 v18, v18, v13, s5
	v_cndmask_b32_e64 v20, v20, v13, s6
	;; [unrolled: 1-line block ×8, first 2 shown]
	s_mov_b32 s3, exec_lo
	v_perm_b32 v4, v2, v1, 0x5040100
	v_perm_b32 v3, v3, v5, 0x5040100
	;; [unrolled: 1-line block ×4, first 2 shown]
	ds_store_b128 v9, v[1:4]
	s_waitcnt lgkmcnt(0)
	s_barrier
	buffer_gl0_inv
	v_cmpx_gt_u32_e32 32, v0
	s_cbranch_execz .LBB588_2
; %bb.111:
	s_load_b64 s[4:5], s[0:1], 0x68
	v_lshlrev_b32_e32 v0, 10, v0
	v_lshlrev_b32_e32 v1, 4, v139
	s_lshl_b32 s0, s34, 7
	v_add_nc_u32_e32 v7, s31, v138
	s_mul_i32 s1, s0, s30
	s_delay_alu instid0(SALU_CYCLE_1) | instskip(SKIP_1) | instid1(VALU_DEP_2)
	s_mul_i32 s6, s1, s8
	v_and_or_b32 v0, 0x3800, v0, v1
	v_mul_lo_u32 v1, v7, s0
	v_add_nc_u32_e32 v2, 2, v7
	s_ashr_i32 s7, s6, 31
	v_add_nc_u32_e32 v4, 4, v7
	s_lshl_b64 s[6:7], s[6:7], 1
	v_add_nc_u32_e32 v8, 6, v7
	v_mul_lo_u32 v3, v2, s0
	v_lshl_or_b32 v19, v138, 6, v0
	v_ashrrev_i32_e32 v2, 31, v1
	v_mul_lo_u32 v11, v4, s0
	v_mul_lo_u32 v25, v8, s0
	s_waitcnt lgkmcnt(0)
	s_add_u32 s1, s4, s6
	s_addc_u32 s3, s5, s7
	s_lshl_b32 s4, s14, 7
	v_lshlrev_b64 v[5:6], 1, v[1:2]
	s_ashr_i32 s5, s4, 31
	v_ashrrev_i32_e32 v4, 31, v3
	s_lshl_b64 s[4:5], s[4:5], 1
	v_ashrrev_i32_e32 v12, 31, v11
	s_add_u32 s1, s1, s4
	s_addc_u32 s3, s3, s5
	v_add_co_u32 v1, s1, s1, v137
	s_delay_alu instid0(VALU_DEP_1) | instskip(SKIP_1) | instid1(VALU_DEP_3)
	v_add_co_ci_u32_e64 v2, null, s3, 0, s1
	v_lshlrev_b64 v[3:4], 1, v[3:4]
	v_add_co_u32 v23, vcc_lo, v1, v5
	v_add_nc_u32_e32 v5, 8, v7
	s_delay_alu instid0(VALU_DEP_4) | instskip(NEXT) | instid1(VALU_DEP_4)
	v_add_co_ci_u32_e32 v24, vcc_lo, v2, v6, vcc_lo
	v_add_co_u32 v27, vcc_lo, v1, v3
	s_delay_alu instid0(VALU_DEP_3)
	v_mul_lo_u32 v29, v5, s0
	v_add_co_ci_u32_e32 v28, vcc_lo, v2, v4, vcc_lo
	ds_load_b128 v[3:6], v19
	ds_load_b128 v[7:10], v19 offset:128
	v_lshlrev_b64 v[31:32], 1, v[11:12]
	ds_load_b128 v[11:14], v19 offset:256
	ds_load_b128 v[15:18], v19 offset:384
	;; [unrolled: 1-line block ×3, first 2 shown]
	v_ashrrev_i32_e32 v26, 31, v25
	v_ashrrev_i32_e32 v30, 31, v29
	v_add_co_u32 v31, vcc_lo, v1, v31
	s_delay_alu instid0(VALU_DEP_3) | instskip(NEXT) | instid1(VALU_DEP_3)
	v_lshlrev_b64 v[25:26], 1, v[25:26]
	v_lshlrev_b64 v[29:30], 1, v[29:30]
	v_add_co_ci_u32_e32 v32, vcc_lo, v2, v32, vcc_lo
	s_delay_alu instid0(VALU_DEP_3) | instskip(NEXT) | instid1(VALU_DEP_4)
	v_add_co_u32 v25, vcc_lo, v1, v25
	v_add_co_ci_u32_e32 v26, vcc_lo, v2, v26, vcc_lo
	s_delay_alu instid0(VALU_DEP_4)
	v_add_co_u32 v29, vcc_lo, v1, v29
	v_add_co_ci_u32_e32 v30, vcc_lo, v2, v30, vcc_lo
	s_waitcnt lgkmcnt(4)
	global_store_b128 v[23:24], v[3:6], off
	s_waitcnt lgkmcnt(3)
	global_store_b128 v[27:28], v[7:10], off
	;; [unrolled: 2-line block ×5, first 2 shown]
	s_and_b32 exec_lo, exec_lo, s2
	s_cbranch_execz .LBB588_2
; %bb.112:
	ds_load_b128 v[3:6], v0 offset:640
	s_add_i32 s1, s31, 10
	s_delay_alu instid0(SALU_CYCLE_1) | instskip(NEXT) | instid1(SALU_CYCLE_1)
	s_mul_i32 s0, s1, s0
	s_ashr_i32 s1, s0, 31
	s_delay_alu instid0(SALU_CYCLE_1) | instskip(NEXT) | instid1(SALU_CYCLE_1)
	s_lshl_b64 s[0:1], s[0:1], 1
	v_add_co_u32 v0, vcc_lo, v1, s0
	v_add_co_ci_u32_e32 v1, vcc_lo, s1, v2, vcc_lo
	s_waitcnt lgkmcnt(0)
	global_store_b128 v[0:1], v[3:6], off
	s_nop 0
	s_sendmsg sendmsg(MSG_DEALLOC_VGPRS)
	s_endpgm
	.section	.rodata,"a",@progbits
	.p2align	6, 0x0
	.amdhsa_kernel _Z39paged_attention_ll4mi_QKV_mfma16_kernelI14__hip_bfloat16S0_LN4vllm18Fp8KVCacheDataTypeE0EhLi16ELi128ELi256ELb1ELi11EL8MFMAType0EEvPKT_PKT0_S9_ifPKiSB_SB_iPKfiiiPfSE_PS4_PT2_iSD_SD_
		.amdhsa_group_segment_fixed_size 17472
		.amdhsa_private_segment_fixed_size 0
		.amdhsa_kernarg_size 400
		.amdhsa_user_sgpr_count 13
		.amdhsa_user_sgpr_dispatch_ptr 0
		.amdhsa_user_sgpr_queue_ptr 0
		.amdhsa_user_sgpr_kernarg_segment_ptr 1
		.amdhsa_user_sgpr_dispatch_id 0
		.amdhsa_user_sgpr_private_segment_size 0
		.amdhsa_wavefront_size32 1
		.amdhsa_uses_dynamic_stack 0
		.amdhsa_enable_private_segment 0
		.amdhsa_system_sgpr_workgroup_id_x 1
		.amdhsa_system_sgpr_workgroup_id_y 1
		.amdhsa_system_sgpr_workgroup_id_z 1
		.amdhsa_system_sgpr_workgroup_info 0
		.amdhsa_system_vgpr_workitem_id 0
		.amdhsa_next_free_vgpr 218
		.amdhsa_next_free_sgpr 50
		.amdhsa_reserve_vcc 1
		.amdhsa_float_round_mode_32 0
		.amdhsa_float_round_mode_16_64 0
		.amdhsa_float_denorm_mode_32 3
		.amdhsa_float_denorm_mode_16_64 3
		.amdhsa_dx10_clamp 1
		.amdhsa_ieee_mode 1
		.amdhsa_fp16_overflow 0
		.amdhsa_workgroup_processor_mode 1
		.amdhsa_memory_ordered 1
		.amdhsa_forward_progress 0
		.amdhsa_shared_vgpr_count 0
		.amdhsa_exception_fp_ieee_invalid_op 0
		.amdhsa_exception_fp_denorm_src 0
		.amdhsa_exception_fp_ieee_div_zero 0
		.amdhsa_exception_fp_ieee_overflow 0
		.amdhsa_exception_fp_ieee_underflow 0
		.amdhsa_exception_fp_ieee_inexact 0
		.amdhsa_exception_int_div_zero 0
	.end_amdhsa_kernel
	.section	.text._Z39paged_attention_ll4mi_QKV_mfma16_kernelI14__hip_bfloat16S0_LN4vllm18Fp8KVCacheDataTypeE0EhLi16ELi128ELi256ELb1ELi11EL8MFMAType0EEvPKT_PKT0_S9_ifPKiSB_SB_iPKfiiiPfSE_PS4_PT2_iSD_SD_,"axG",@progbits,_Z39paged_attention_ll4mi_QKV_mfma16_kernelI14__hip_bfloat16S0_LN4vllm18Fp8KVCacheDataTypeE0EhLi16ELi128ELi256ELb1ELi11EL8MFMAType0EEvPKT_PKT0_S9_ifPKiSB_SB_iPKfiiiPfSE_PS4_PT2_iSD_SD_,comdat
.Lfunc_end588:
	.size	_Z39paged_attention_ll4mi_QKV_mfma16_kernelI14__hip_bfloat16S0_LN4vllm18Fp8KVCacheDataTypeE0EhLi16ELi128ELi256ELb1ELi11EL8MFMAType0EEvPKT_PKT0_S9_ifPKiSB_SB_iPKfiiiPfSE_PS4_PT2_iSD_SD_, .Lfunc_end588-_Z39paged_attention_ll4mi_QKV_mfma16_kernelI14__hip_bfloat16S0_LN4vllm18Fp8KVCacheDataTypeE0EhLi16ELi128ELi256ELb1ELi11EL8MFMAType0EEvPKT_PKT0_S9_ifPKiSB_SB_iPKfiiiPfSE_PS4_PT2_iSD_SD_
                                        ; -- End function
	.section	.AMDGPU.csdata,"",@progbits
; Kernel info:
; codeLenInByte = 10392
; NumSgprs: 52
; NumVgprs: 218
; ScratchSize: 0
; MemoryBound: 0
; FloatMode: 240
; IeeeMode: 1
; LDSByteSize: 17472 bytes/workgroup (compile time only)
; SGPRBlocks: 6
; VGPRBlocks: 27
; NumSGPRsForWavesPerEU: 52
; NumVGPRsForWavesPerEU: 218
; Occupancy: 6
; WaveLimiterHint : 1
; COMPUTE_PGM_RSRC2:SCRATCH_EN: 0
; COMPUTE_PGM_RSRC2:USER_SGPR: 13
; COMPUTE_PGM_RSRC2:TRAP_HANDLER: 0
; COMPUTE_PGM_RSRC2:TGID_X_EN: 1
; COMPUTE_PGM_RSRC2:TGID_Y_EN: 1
; COMPUTE_PGM_RSRC2:TGID_Z_EN: 1
; COMPUTE_PGM_RSRC2:TIDIG_COMP_CNT: 0
	.section	.text._Z39paged_attention_ll4mi_QKV_mfma16_kernelI14__hip_bfloat16S0_LN4vllm18Fp8KVCacheDataTypeE0EhLi16ELi128ELi256ELb1ELi12EL8MFMAType0EEvPKT_PKT0_S9_ifPKiSB_SB_iPKfiiiPfSE_PS4_PT2_iSD_SD_,"axG",@progbits,_Z39paged_attention_ll4mi_QKV_mfma16_kernelI14__hip_bfloat16S0_LN4vllm18Fp8KVCacheDataTypeE0EhLi16ELi128ELi256ELb1ELi12EL8MFMAType0EEvPKT_PKT0_S9_ifPKiSB_SB_iPKfiiiPfSE_PS4_PT2_iSD_SD_,comdat
	.protected	_Z39paged_attention_ll4mi_QKV_mfma16_kernelI14__hip_bfloat16S0_LN4vllm18Fp8KVCacheDataTypeE0EhLi16ELi128ELi256ELb1ELi12EL8MFMAType0EEvPKT_PKT0_S9_ifPKiSB_SB_iPKfiiiPfSE_PS4_PT2_iSD_SD_ ; -- Begin function _Z39paged_attention_ll4mi_QKV_mfma16_kernelI14__hip_bfloat16S0_LN4vllm18Fp8KVCacheDataTypeE0EhLi16ELi128ELi256ELb1ELi12EL8MFMAType0EEvPKT_PKT0_S9_ifPKiSB_SB_iPKfiiiPfSE_PS4_PT2_iSD_SD_
	.globl	_Z39paged_attention_ll4mi_QKV_mfma16_kernelI14__hip_bfloat16S0_LN4vllm18Fp8KVCacheDataTypeE0EhLi16ELi128ELi256ELb1ELi12EL8MFMAType0EEvPKT_PKT0_S9_ifPKiSB_SB_iPKfiiiPfSE_PS4_PT2_iSD_SD_
	.p2align	8
	.type	_Z39paged_attention_ll4mi_QKV_mfma16_kernelI14__hip_bfloat16S0_LN4vllm18Fp8KVCacheDataTypeE0EhLi16ELi128ELi256ELb1ELi12EL8MFMAType0EEvPKT_PKT0_S9_ifPKiSB_SB_iPKfiiiPfSE_PS4_PT2_iSD_SD_,@function
_Z39paged_attention_ll4mi_QKV_mfma16_kernelI14__hip_bfloat16S0_LN4vllm18Fp8KVCacheDataTypeE0EhLi16ELi128ELi256ELb1ELi12EL8MFMAType0EEvPKT_PKT0_S9_ifPKiSB_SB_iPKfiiiPfSE_PS4_PT2_iSD_SD_: ; @_Z39paged_attention_ll4mi_QKV_mfma16_kernelI14__hip_bfloat16S0_LN4vllm18Fp8KVCacheDataTypeE0EhLi16ELi128ELi256ELb1ELi12EL8MFMAType0EEvPKT_PKT0_S9_ifPKiSB_SB_iPKfiiiPfSE_PS4_PT2_iSD_SD_
; %bb.0:
	s_load_b64 s[4:5], s[0:1], 0x30
	s_mov_b32 s30, s13
	s_waitcnt lgkmcnt(0)
	s_cmp_lg_u64 s[4:5], 0
	s_cselect_b32 s8, -1, 0
	s_ashr_i32 s31, s13, 31
	s_cmp_eq_u64 s[4:5], 0
	s_cbranch_scc1 .LBB589_3
; %bb.1:
	s_lshl_b64 s[2:3], s[30:31], 2
	s_delay_alu instid0(SALU_CYCLE_1) | instskip(SKIP_4) | instid1(SALU_CYCLE_1)
	s_add_u32 s2, s4, s2
	s_addc_u32 s3, s5, s3
	s_load_b64 s[2:3], s[2:3], 0x0
	s_waitcnt lgkmcnt(0)
	s_sub_i32 s2, s3, s2
	s_cmp_eq_u32 s2, 1
	s_cselect_b32 s2, -1, 0
	s_delay_alu instid0(SALU_CYCLE_1)
	s_and_not1_b32 vcc_lo, exec_lo, s2
	s_cbranch_vccz .LBB589_4
.LBB589_2:
	s_endpgm
.LBB589_3:
.LBB589_4:
	s_load_b64 s[2:3], s[0:1], 0x28
	s_lshl_b64 s[6:7], s[30:31], 2
	s_waitcnt lgkmcnt(0)
	s_add_u32 s2, s2, s6
	s_addc_u32 s3, s3, s7
	s_lshl_b32 s31, s14, 8
	s_load_b32 s28, s[2:3], 0x0
	s_waitcnt lgkmcnt(0)
	s_cmp_ge_i32 s31, s28
	s_cbranch_scc1 .LBB589_2
; %bb.5:
	s_clause 0x1
	s_load_b128 s[20:23], s[0:1], 0x8
	s_load_b64 s[2:3], s[0:1], 0x20
	s_and_not1_b32 vcc_lo, exec_lo, s8
	s_cbranch_vccnz .LBB589_7
; %bb.6:
	s_add_u32 s4, s4, s6
	s_addc_u32 s5, s5, s7
	s_load_b32 s5, s[4:5], 0x0
	s_branch .LBB589_8
.LBB589_7:
	s_mov_b32 s5, s30
.LBB589_8:
	s_load_b128 s[16:19], s[0:1], 0x48
	v_and_b32_e32 v140, 15, v0
	v_lshrrev_b32_e32 v141, 5, v0
	v_and_b32_e32 v142, 31, v0
	v_and_b32_e32 v139, 1, v0
	v_bfe_u32 v138, v0, 4, 1
	v_lshlrev_b32_e32 v1, 3, v140
	s_mul_i32 s29, s15, 12
	s_mov_b32 s4, exec_lo
	s_delay_alu instid0(VALU_DEP_1)
	v_lshlrev_b32_e32 v137, 1, v1
	v_cmpx_gt_u32_e32 0xc0, v0
	s_cbranch_execz .LBB589_10
; %bb.9:
	s_load_b64 s[6:7], s[0:1], 0x0
	v_lshl_or_b32 v5, v141, 1, v138
	s_waitcnt lgkmcnt(0)
	s_mul_hi_i32 s9, s5, s16
	s_mul_i32 s8, s5, s16
	v_lshlrev_b32_e32 v6, 10, v140
	s_lshl_b64 s[8:9], s[8:9], 1
	v_add_lshl_u32 v1, v5, s29, 7
	v_lshlrev_b32_e32 v5, 6, v5
	v_lshlrev_b32_e32 v7, 10, v139
	v_and_b32_e32 v6, 0x3800, v6
	s_delay_alu instid0(VALU_DEP_4) | instskip(NEXT) | instid1(VALU_DEP_2)
	v_ashrrev_i32_e32 v2, 31, v1
	v_or3_b32 v5, v6, v7, v5
	s_delay_alu instid0(VALU_DEP_2) | instskip(SKIP_2) | instid1(VALU_DEP_1)
	v_lshlrev_b64 v[1:2], 1, v[1:2]
	s_add_u32 s5, s6, s8
	s_addc_u32 s6, s7, s9
	v_add_co_u32 v1, vcc_lo, s5, v1
	s_delay_alu instid0(VALU_DEP_2) | instskip(NEXT) | instid1(VALU_DEP_2)
	v_add_co_ci_u32_e32 v2, vcc_lo, s6, v2, vcc_lo
	v_add_co_u32 v1, vcc_lo, v1, v137
	s_delay_alu instid0(VALU_DEP_2)
	v_add_co_ci_u32_e32 v2, vcc_lo, 0, v2, vcc_lo
	global_load_b128 v[1:4], v[1:2], off
	s_waitcnt vmcnt(0)
	ds_store_b128 v5, v[1:4]
.LBB589_10:
	s_or_b32 exec_lo, exec_lo, s4
	v_and_b32_e32 v1, 0xef, v0
	s_waitcnt lgkmcnt(0)
	s_add_i32 s5, s28, 15
	s_clause 0x1
	s_load_b32 s4, s[0:1], 0x38
	s_load_b32 s33, s[0:1], 0x1c
	s_ashr_i32 s6, s5, 31
	v_add_nc_u32_e32 v1, s31, v1
	s_lshr_b32 s6, s6, 28
	s_waitcnt lgkmcnt(0)
	s_add_i32 s5, s5, s6
	s_barrier
	v_ashrrev_i32_e32 v2, 31, v1
	v_cmp_gt_i32_e32 vcc_lo, s28, v1
	s_ashr_i32 s16, s5, 4
	buffer_gl0_inv
	s_add_i32 s16, s16, -1
	v_lshrrev_b32_e32 v3, 28, v2
	v_or_b32_e32 v2, 16, v1
	v_add_nc_u32_e32 v105, -12, v140
	v_lshlrev_b32_e32 v106, 5, v140
	s_delay_alu instid0(VALU_DEP_4) | instskip(NEXT) | instid1(VALU_DEP_4)
	v_add_nc_u32_e32 v4, v1, v3
	v_add_nc_u32_e32 v3, v2, v3
	s_mul_i32 s4, s30, s4
	s_delay_alu instid0(VALU_DEP_3) | instskip(SKIP_4) | instid1(SALU_CYCLE_1)
	v_lshl_or_b32 v125, v141, 9, v106
	s_ashr_i32 s5, s4, 31
	v_ashrrev_i32_e32 v4, 4, v4
	v_ashrrev_i32_e32 v3, 4, v3
	s_lshl_b64 s[4:5], s[4:5], 2
	s_add_u32 s34, s2, s4
	s_delay_alu instid0(VALU_DEP_2) | instskip(SKIP_3) | instid1(VALU_DEP_2)
	v_cndmask_b32_e32 v1, s16, v4, vcc_lo
	v_cmp_gt_i32_e32 vcc_lo, s28, v2
	s_addc_u32 s35, s3, s5
	s_mul_i32 s2, s15, s18
	v_ashrrev_i32_e32 v2, 31, v1
	v_cndmask_b32_e32 v3, s16, v3, vcc_lo
	s_ashr_i32 s3, s2, 31
	s_delay_alu instid0(SALU_CYCLE_1) | instskip(NEXT) | instid1(VALU_DEP_2)
	s_lshl_b64 s[2:3], s[2:3], 1
	v_lshlrev_b64 v[1:2], 2, v[1:2]
	s_delay_alu instid0(VALU_DEP_2) | instskip(SKIP_3) | instid1(VALU_DEP_1)
	v_ashrrev_i32_e32 v4, 31, v3
	s_add_u32 s24, s20, s2
	s_addc_u32 s25, s21, s3
	s_lshl_b32 s4, s14, 4
	v_lshlrev_b64 v[3:4], 2, v[3:4]
	v_add_co_u32 v1, vcc_lo, s34, v1
	v_add_co_ci_u32_e32 v2, vcc_lo, s35, v2, vcc_lo
	s_ashr_i32 s5, s4, 31
	s_delay_alu instid0(VALU_DEP_3) | instskip(NEXT) | instid1(VALU_DEP_4)
	v_add_co_u32 v3, vcc_lo, s34, v3
	v_add_co_ci_u32_e32 v4, vcc_lo, s35, v4, vcc_lo
	s_lshl_b64 s[4:5], s[4:5], 2
	s_clause 0x1
	global_load_b32 v5, v[1:2], off
	global_load_b32 v6, v[3:4], off
	s_add_u32 s4, s34, s4
	s_addc_u32 s5, s35, s5
	s_or_b32 s6, s31, 16
	v_lshlrev_b32_e32 v3, 4, v0
	s_ashr_i32 s7, s6, 4
	s_cmp_lt_i32 s6, s28
	s_cselect_b32 s6, s7, s16
	s_delay_alu instid0(SALU_CYCLE_1) | instskip(NEXT) | instid1(SALU_CYCLE_1)
	s_ashr_i32 s7, s6, 31
	s_lshl_b64 s[6:7], s[6:7], 2
	s_delay_alu instid0(SALU_CYCLE_1) | instskip(SKIP_2) | instid1(SALU_CYCLE_1)
	s_add_u32 s6, s34, s6
	s_addc_u32 s7, s35, s7
	s_or_b32 s8, s31, 32
	s_ashr_i32 s9, s8, 4
	s_cmp_lt_i32 s8, s28
	s_cselect_b32 s8, s9, s16
	s_delay_alu instid0(SALU_CYCLE_1) | instskip(NEXT) | instid1(SALU_CYCLE_1)
	s_ashr_i32 s9, s8, 31
	s_lshl_b64 s[8:9], s[8:9], 2
	s_delay_alu instid0(SALU_CYCLE_1) | instskip(SKIP_2) | instid1(SALU_CYCLE_1)
	s_add_u32 s8, s34, s8
	s_addc_u32 s9, s35, s9
	s_or_b32 s10, s31, 48
	;; [unrolled: 10-line block ×4, first 2 shown]
	s_ashr_i32 s13, s12, 4
	s_cmp_lt_i32 s12, s28
	s_cselect_b32 s12, s13, s16
	s_delay_alu instid0(SALU_CYCLE_1) | instskip(NEXT) | instid1(SALU_CYCLE_1)
	s_ashr_i32 s13, s12, 31
	s_lshl_b64 s[12:13], s[12:13], 2
	s_delay_alu instid0(SALU_CYCLE_1)
	s_add_u32 s20, s34, s12
	s_addc_u32 s21, s35, s13
	s_clause 0x5
	s_load_b32 s36, s[4:5], 0x0
	s_load_b32 s27, s[6:7], 0x0
	;; [unrolled: 1-line block ×6, first 2 shown]
	s_waitcnt vmcnt(1)
	v_mad_i64_i32 v[1:2], null, v5, s17, 0
	v_and_b32_e32 v5, 0xf0, v3
	s_waitcnt vmcnt(0)
	v_mad_i64_i32 v[3:4], null, v6, s17, 0
	s_delay_alu instid0(VALU_DEP_2) | instskip(NEXT) | instid1(VALU_DEP_4)
	v_add_co_u32 v5, s4, s24, v5
	v_lshlrev_b64 v[1:2], 1, v[1:2]
	v_add_co_ci_u32_e64 v6, null, s25, 0, s4
	s_delay_alu instid0(VALU_DEP_4) | instskip(SKIP_1) | instid1(VALU_DEP_3)
	v_lshlrev_b64 v[3:4], 1, v[3:4]
	s_or_b32 s4, s31, 0x60
	v_add_co_u32 v121, vcc_lo, v5, v1
	s_delay_alu instid0(VALU_DEP_3) | instskip(NEXT) | instid1(VALU_DEP_3)
	v_add_co_ci_u32_e32 v122, vcc_lo, v6, v2, vcc_lo
	v_add_co_u32 v123, vcc_lo, v5, v3
	s_delay_alu instid0(VALU_DEP_4)
	v_add_co_ci_u32_e32 v124, vcc_lo, v6, v4, vcc_lo
	s_clause 0x19
	global_load_b128 v[89:92], v[121:122], off
	global_load_b128 v[93:96], v[121:122], off offset:256
	global_load_b128 v[97:100], v[123:124], off
	global_load_b128 v[101:104], v[123:124], off offset:256
	global_load_b128 v[81:84], v[121:122], off offset:512
	;; [unrolled: 1-line block ×23, first 2 shown]
	s_ashr_i32 s5, s4, 4
	s_cmp_lt_i32 s4, s28
	v_cmp_gt_u32_e32 vcc_lo, 12, v140
	s_cselect_b32 s4, s5, s16
	s_delay_alu instid0(SALU_CYCLE_1) | instskip(NEXT) | instid1(SALU_CYCLE_1)
	s_ashr_i32 s5, s4, 31
	s_lshl_b64 s[4:5], s[4:5], 2
	v_cndmask_b32_e32 v105, v105, v140, vcc_lo
	s_add_u32 s18, s34, s4
	s_addc_u32 s19, s35, s5
	s_or_b32 s4, s31, 0x70
	s_delay_alu instid0(SALU_CYCLE_1)
	s_ashr_i32 s5, s4, 4
	s_cmp_lt_i32 s4, s28
	v_lshlrev_b32_e32 v215, 6, v105
	s_cselect_b32 s6, s5, s16
	ds_load_b128 v[105:108], v215
	ds_load_b128 v[109:112], v215 offset:1024
	s_ashr_i32 s7, s6, 31
	ds_load_b128 v[113:116], v215 offset:2048
	ds_load_b128 v[117:120], v215 offset:3072
	;; [unrolled: 1-line block ×8, first 2 shown]
	s_clause 0x1
	global_load_b128 v[167:170], v[123:124], off offset:3072
	global_load_b128 v[171:174], v[123:124], off offset:3328
	s_lshl_b64 s[6:7], s[6:7], 2
	s_mov_b32 s4, 0
	s_add_u32 s20, s34, s6
	s_addc_u32 s21, s35, s7
	s_clause 0x1
	s_load_b32 s42, s[18:19], 0x0
	s_load_b32 s43, s[20:21], 0x0
	s_clause 0x3
	global_load_b128 v[175:178], v[121:122], off offset:3584
	global_load_b128 v[179:182], v[121:122], off offset:3840
	;; [unrolled: 1-line block ×4, first 2 shown]
	s_or_b32 s7, s31, 0x80
	s_mov_b32 s5, s4
	s_ashr_i32 s8, s7, 4
	s_cmp_lt_i32 s7, s28
	s_mov_b32 s6, s4
	s_cselect_b32 s10, s8, s16
	s_mov_b32 s7, s4
	s_ashr_i32 s11, s10, 31
	s_mov_b32 s8, s4
	s_lshl_b64 s[24:25], s[10:11], 2
	s_mov_b32 s9, s4
	s_add_u32 s24, s34, s24
	s_addc_u32 s25, s35, s25
	s_or_b32 s11, s31, 0x90
	s_mov_b32 s10, s4
	s_ashr_i32 s37, s11, 4
	s_cmp_lt_i32 s11, s28
	s_mov_b32 s11, s4
	s_cselect_b32 s38, s37, s16
	v_mov_b32_e32 v136, s11
	s_ashr_i32 s39, s38, 31
	v_dual_mov_b32 v135, s10 :: v_dual_mov_b32 v134, s9
	v_dual_mov_b32 v133, s8 :: v_dual_mov_b32 v132, s7
	;; [unrolled: 1-line block ×3, first 2 shown]
	v_mov_b32_e32 v129, s4
	s_lshl_b64 s[4:5], s[38:39], 2
	s_waitcnt lgkmcnt(0)
	s_mul_hi_i32 s7, s27, s17
	s_add_u32 s38, s34, s4
	s_addc_u32 s39, s35, s5
	s_or_b32 s4, s31, 0xa0
	s_load_b32 s39, s[38:39], 0x0
	s_ashr_i32 s5, s4, 4
	s_cmp_lt_i32 s4, s28
	s_cselect_b32 s4, s5, s16
	s_delay_alu instid0(SALU_CYCLE_1) | instskip(NEXT) | instid1(SALU_CYCLE_1)
	s_ashr_i32 s5, s4, 31
	s_lshl_b64 s[4:5], s[4:5], 2
	s_delay_alu instid0(SALU_CYCLE_1)
	s_add_u32 s40, s34, s4
	s_addc_u32 s41, s35, s5
	s_or_b32 s4, s31, 0xb0
	s_mul_hi_i32 s5, s36, s17
	s_ashr_i32 s6, s4, 4
	s_cmp_lt_i32 s4, s28
	s_mul_i32 s4, s36, s17
	s_cselect_b32 s8, s6, s16
	s_mul_i32 s6, s27, s17
	s_ashr_i32 s9, s8, 31
	s_load_b32 s38, s[40:41], 0x0
	s_lshl_b64 s[10:11], s[8:9], 2
	s_mul_hi_i32 s9, s26, s17
	s_add_u32 s36, s34, s10
	s_addc_u32 s37, s35, s11
	s_or_b32 s10, s31, 0xc0
	s_mul_i32 s8, s26, s17
	s_ashr_i32 s26, s10, 4
	s_cmp_lt_i32 s10, s28
	s_mul_hi_i32 s11, s13, s17
	s_cselect_b32 s26, s26, s16
	s_mul_i32 s10, s13, s17
	s_ashr_i32 s27, s26, 31
	s_mul_hi_i32 s13, s12, s17
	s_lshl_b64 s[26:27], s[26:27], 2
	s_mul_i32 s12, s12, s17
	s_add_u32 s20, s34, s26
	s_addc_u32 s21, s35, s27
	s_or_b32 s18, s31, 0xd0
	s_load_b32 s26, s[24:25], 0x0
	s_ashr_i32 s19, s18, 4
	s_cmp_lt_i32 s18, s28
	s_mul_i32 s18, s15, s17
	s_cselect_b32 s24, s19, s16
	s_mul_hi_i32 s19, s15, s17
	s_ashr_i32 s25, s24, 31
	s_waitcnt lgkmcnt(0)
	s_mul_hi_i32 s41, s39, s17
	s_lshl_b64 s[24:25], s[24:25], 2
	s_delay_alu instid0(SALU_CYCLE_1)
	s_add_u32 s24, s34, s24
	s_addc_u32 s25, s35, s25
	s_or_b32 s40, s31, 0xe0
	s_clause 0x2
	s_load_b32 s37, s[36:37], 0x0
	s_load_b32 s36, s[20:21], 0x0
	;; [unrolled: 1-line block ×3, first 2 shown]
	s_ashr_i32 s44, s40, 4
	s_cmp_lt_i32 s40, s28
	s_mul_hi_i32 s21, s42, s17
	s_mul_i32 s20, s42, s17
	s_cselect_b32 s42, s44, s16
	s_mul_hi_i32 s25, s43, s17
	s_mul_i32 s24, s43, s17
	s_ashr_i32 s43, s42, 31
	s_mul_hi_i32 s27, s26, s17
	s_lshl_b64 s[42:43], s[42:43], 2
	s_mul_i32 s26, s26, s17
	s_add_u32 s42, s34, s42
	s_addc_u32 s43, s35, s43
	s_or_b32 s44, s31, 0xf0
	s_mul_i32 s40, s39, s17
	s_ashr_i32 s46, s44, 4
	s_cmp_lt_i32 s44, s28
	s_mul_hi_i32 s39, s38, s17
	s_cselect_b32 s46, s46, s16
	s_waitcnt lgkmcnt(0)
	s_mul_hi_i32 s49, s15, s17
	s_ashr_i32 s47, s46, 31
	s_mul_i32 s48, s15, s17
	s_lshl_b64 s[46:47], s[46:47], 2
	s_mul_i32 s38, s38, s17
	s_add_u32 s34, s34, s46
	s_addc_u32 s35, s35, s47
	s_add_u32 s15, s22, s2
	s_addc_u32 s16, s23, s3
	v_add_co_u32 v216, s15, s15, v125
	s_delay_alu instid0(VALU_DEP_1) | instskip(SKIP_2) | instid1(VALU_DEP_2)
	v_add_co_ci_u32_e64 v217, null, s16, 0, s15
	s_lshl_b64 s[2:3], s[4:5], 1
	s_lshl_b64 s[4:5], s[6:7], 1
	v_add_co_u32 v125, vcc_lo, v216, s2
	s_delay_alu instid0(VALU_DEP_2)
	v_add_co_ci_u32_e32 v126, vcc_lo, s3, v217, vcc_lo
	v_add_co_u32 v199, vcc_lo, v216, s4
	s_lshl_b64 s[6:7], s[8:9], 1
	v_add_co_ci_u32_e32 v200, vcc_lo, s5, v217, vcc_lo
	s_lshl_b64 s[8:9], s[10:11], 1
	s_lshl_b64 s[10:11], s[12:13], 1
	;; [unrolled: 1-line block ×8, first 2 shown]
	s_mul_hi_i32 s45, s37, s17
	s_mul_i32 s44, s37, s17
	s_mul_hi_i32 s37, s36, s17
	s_lshl_b64 s[38:39], s[44:45], 1
	s_mul_i32 s36, s36, s17
	s_clause 0x1
	s_load_b32 s15, s[42:43], 0x0
	s_load_b32 s16, s[34:35], 0x0
	s_lshl_b64 s[36:37], s[36:37], 1
	s_lshl_b64 s[40:41], s[48:49], 1
	s_waitcnt lgkmcnt(0)
	s_mul_hi_i32 s3, s15, s17
	s_mul_i32 s2, s15, s17
	s_mul_hi_i32 s5, s16, s17
	s_lshl_b64 s[2:3], s[2:3], 1
	s_mul_i32 s4, s16, s17
	s_waitcnt vmcnt(30)
	v_wmma_f32_16x16x16_bf16 v[191:198], v[89:96], v[105:112], v[129:136]
	v_add_co_u32 v89, vcc_lo, v216, s6
	v_add_co_ci_u32_e32 v90, vcc_lo, s7, v217, vcc_lo
	v_add_co_u32 v91, vcc_lo, v216, s8
	v_add_co_ci_u32_e32 v92, vcc_lo, s9, v217, vcc_lo
	;; [unrolled: 2-line block ×5, first 2 shown]
	v_add_co_u32 v205, vcc_lo, v216, s20
	s_waitcnt vmcnt(28)
	v_wmma_f32_16x16x16_bf16 v[129:136], v[97:104], v[105:112], v[129:136]
	v_add_co_ci_u32_e32 v206, vcc_lo, s21, v217, vcc_lo
	v_add_co_u32 v207, vcc_lo, v216, s22
	v_add_co_ci_u32_e32 v208, vcc_lo, s23, v217, vcc_lo
	v_add_co_u32 v209, vcc_lo, v216, s24
	s_waitcnt vmcnt(26)
	v_wmma_f32_16x16x16_bf16 v[191:198], v[81:88], v[113:120], v[191:198]
	s_waitcnt vmcnt(24)
	v_wmma_f32_16x16x16_bf16 v[129:136], v[73:80], v[113:120], v[129:136]
	v_add_co_ci_u32_e32 v210, vcc_lo, s25, v217, vcc_lo
	v_add_co_u32 v211, vcc_lo, v216, s26
	v_add_co_ci_u32_e32 v212, vcc_lo, s27, v217, vcc_lo
	v_add_co_u32 v213, vcc_lo, v216, s38
	s_waitcnt vmcnt(22)
	v_wmma_f32_16x16x16_bf16 v[191:198], v[65:72], v[143:150], v[191:198]
	s_waitcnt vmcnt(20)
	v_wmma_f32_16x16x16_bf16 v[129:136], v[57:64], v[143:150], v[129:136]
	v_add_co_ci_u32_e32 v214, vcc_lo, s39, v217, vcc_lo
	v_add_co_u32 v143, vcc_lo, v216, s36
	s_waitcnt vmcnt(18)
	v_wmma_f32_16x16x16_bf16 v[191:198], v[49:56], v[151:158], v[191:198]
	s_waitcnt vmcnt(16)
	v_wmma_f32_16x16x16_bf16 v[129:136], v[41:48], v[151:158], v[129:136]
	v_add_co_ci_u32_e32 v144, vcc_lo, s37, v217, vcc_lo
	s_clause 0x15
	global_load_b128 v[121:124], v[125:126], off
	global_load_b128 v[125:128], v[125:126], off offset:16
	global_load_b128 v[113:116], v[199:200], off
	global_load_b128 v[117:120], v[199:200], off offset:16
	;; [unrolled: 2-line block ×11, first 2 shown]
	s_waitcnt vmcnt(36)
	v_wmma_f32_16x16x16_bf16 v[191:198], v[17:24], v[159:166], v[191:198]
	s_clause 0x1
	global_load_b128 v[17:20], v[213:214], off
	global_load_b128 v[21:24], v[213:214], off offset:16
	s_waitcnt vmcnt(36)
	v_wmma_f32_16x16x16_bf16 v[129:136], v[1:8], v[159:166], v[129:136]
	s_clause 0x1
	global_load_b128 v[1:4], v[143:144], off
	global_load_b128 v[5:8], v[143:144], off offset:16
	ds_load_b128 v[143:146], v215 offset:10240
	ds_load_b128 v[147:150], v215 offset:11264
	;; [unrolled: 1-line block ×4, first 2 shown]
	v_add_co_u32 v199, vcc_lo, v216, s40
	v_add_co_ci_u32_e32 v200, vcc_lo, s41, v217, vcc_lo
	v_add_co_u32 v159, vcc_lo, v216, s2
	v_add_co_ci_u32_e32 v160, vcc_lo, s3, v217, vcc_lo
	s_lshl_b64 s[2:3], s[4:5], 1
	s_delay_alu instid0(SALU_CYCLE_1)
	v_add_co_u32 v161, vcc_lo, v216, s2
	v_add_co_ci_u32_e32 v162, vcc_lo, s3, v217, vcc_lo
	s_waitcnt vmcnt(36) lgkmcnt(2)
	v_wmma_f32_16x16x16_bf16 v[191:198], v[25:32], v[143:150], v[191:198]
	s_waitcnt vmcnt(34)
	v_wmma_f32_16x16x16_bf16 v[129:136], v[33:40], v[143:150], v[129:136]
	s_clause 0x3
	global_load_b128 v[25:28], v[199:200], off
	global_load_b128 v[29:32], v[199:200], off offset:16
	global_load_b128 v[33:36], v[159:160], off
	global_load_b128 v[37:40], v[159:160], off offset:16
	v_and_b32_e32 v143, 0xe0, v0
	v_mbcnt_lo_u32_b32 v159, -1, 0
	s_waitcnt vmcnt(36) lgkmcnt(0)
	v_wmma_f32_16x16x16_bf16 v[191:198], v[9:16], v[151:158], v[191:198]
	s_clause 0x1
	global_load_b128 v[9:12], v[161:162], off
	global_load_b128 v[13:16], v[161:162], off offset:16
	s_waitcnt vmcnt(36)
	v_wmma_f32_16x16x16_bf16 v[129:136], v[167:174], v[151:158], v[129:136]
	v_add_nc_u32_e32 v160, s31, v143
	ds_load_b128 v[143:146], v215 offset:14336
	ds_load_b128 v[147:150], v215 offset:15360
	v_xor_b32_e32 v151, 16, v159
	s_waitcnt vmcnt(0) lgkmcnt(0)
	s_barrier
	v_or_b32_e32 v152, v160, v138
	buffer_gl0_inv
	v_cmp_gt_i32_e32 vcc_lo, 32, v151
	v_or_b32_e32 v153, 2, v152
	v_or_b32_e32 v154, 4, v152
	;; [unrolled: 1-line block ×5, first 2 shown]
	v_cmp_gt_i32_e64 s2, s28, v153
	v_cmp_gt_i32_e64 s3, s28, v154
	;; [unrolled: 1-line block ×3, first 2 shown]
	v_or_b32_e32 v158, 12, v152
	v_cmp_gt_i32_e64 s5, s28, v156
	v_cmp_gt_i32_e64 s6, s28, v157
	v_wmma_f32_16x16x16_bf16 v[191:198], v[175:182], v[143:150], v[191:198]
	v_wmma_f32_16x16x16_bf16 v[129:136], v[183:190], v[143:150], v[129:136]
	v_cndmask_b32_e32 v151, v159, v151, vcc_lo
	v_cmp_gt_i32_e32 vcc_lo, s28, v152
	v_or_b32_e32 v159, 14, v152
	v_dual_mul_f32 v149, s33, v192 :: v_dual_mul_f32 v150, s33, v191
	v_dual_mul_f32 v147, s33, v194 :: v_dual_mul_f32 v148, s33, v193
	v_mul_f32_e32 v145, s33, v196
	s_delay_alu instid0(VALU_DEP_3) | instskip(NEXT) | instid1(VALU_DEP_4)
	v_cndmask_b32_e64 v149, 0xff7fffff, v149, s2
	v_cndmask_b32_e32 v150, 0xff7fffff, v150, vcc_lo
	v_mul_f32_e32 v146, s33, v195
	v_cndmask_b32_e64 v148, 0xff7fffff, v148, s3
	v_cndmask_b32_e64 v147, 0xff7fffff, v147, s4
	v_or_b32_e32 v160, 16, v152
	v_max3_f32 v149, v150, 0xff7fffff, v149
	v_or_b32_e32 v161, 18, v152
	v_dual_mul_f32 v143, s33, v198 :: v_dual_mul_f32 v144, s33, v197
	v_cndmask_b32_e64 v146, 0xff7fffff, v146, s5
	v_cndmask_b32_e64 v145, 0xff7fffff, v145, s6
	v_max3_f32 v147, v149, v148, v147
	v_cmp_gt_i32_e64 s7, s28, v158
	v_cmp_gt_i32_e64 s8, s28, v159
	v_or_b32_e32 v162, 20, v152
	v_or_b32_e32 v163, 22, v152
	v_dual_mul_f32 v174, s33, v130 :: v_dual_mul_f32 v175, s33, v129
	v_cndmask_b32_e64 v144, 0xff7fffff, v144, s7
	v_cndmask_b32_e64 v143, 0xff7fffff, v143, s8
	v_max3_f32 v145, v147, v146, v145
	v_cmp_gt_i32_e64 s9, s28, v160
	v_cmp_gt_i32_e64 s10, s28, v161
	v_or_b32_e32 v164, 24, v152
	;; [unrolled: 8-line block ×3, first 2 shown]
	v_or_b32_e32 v167, 30, v152
	v_dual_mul_f32 v170, s33, v134 :: v_dual_mul_f32 v171, s33, v133
	v_cndmask_b32_e64 v144, 0xff7fffff, v173, s11
	v_cndmask_b32_e64 v145, 0xff7fffff, v172, s12
	v_max3_f32 v143, v143, v146, v147
	v_cmp_gt_i32_e64 s13, s28, v164
	v_cmp_gt_i32_e64 s15, s28, v165
	v_dual_mul_f32 v168, s33, v136 :: v_dual_mul_f32 v169, s33, v135
	s_delay_alu instid0(VALU_DEP_4) | instskip(NEXT) | instid1(VALU_DEP_4)
	v_max3_f32 v143, v143, v144, v145
	v_cndmask_b32_e64 v146, 0xff7fffff, v171, s13
	s_delay_alu instid0(VALU_DEP_4) | instskip(SKIP_3) | instid1(VALU_DEP_4)
	v_cndmask_b32_e64 v147, 0xff7fffff, v170, s15
	v_cmp_gt_i32_e64 s16, s28, v166
	v_cmp_gt_i32_e64 s17, s28, v167
	v_lshlrev_b32_e32 v154, 2, v151
	v_max3_f32 v143, v143, v146, v147
	s_delay_alu instid0(VALU_DEP_4) | instskip(NEXT) | instid1(VALU_DEP_4)
	v_cndmask_b32_e64 v144, 0xff7fffff, v169, s16
	v_cndmask_b32_e64 v145, 0xff7fffff, v168, s17
	s_delay_alu instid0(VALU_DEP_1) | instskip(SKIP_3) | instid1(VALU_DEP_1)
	v_max3_f32 v143, v143, v144, v145
	ds_bpermute_b32 v144, v154, v143
	s_waitcnt lgkmcnt(0)
	v_max_f32_e32 v144, v144, v144
	v_max_f32_e32 v153, v143, v144
	s_delay_alu instid0(VALU_DEP_1) | instskip(SKIP_4) | instid1(VALU_DEP_4)
	v_fma_f32 v143, s33, v191, -v153
	v_fma_f32 v144, s33, v192, -v153
	v_fma_f32 v132, s33, v132, -v153
	v_fma_f32 v145, s33, v193, -v153
	v_fma_f32 v146, s33, v194, -v153
	v_dual_mul_f32 v143, 0x3fb8aa3b, v143 :: v_dual_mul_f32 v144, 0x3fb8aa3b, v144
	s_delay_alu instid0(VALU_DEP_4) | instskip(SKIP_2) | instid1(VALU_DEP_4)
	v_mul_f32_e32 v132, 0x3fb8aa3b, v132
	v_fma_f32 v134, s33, v134, -v153
	v_mul_f32_e32 v145, 0x3fb8aa3b, v145
	v_exp_f32_e32 v143, v143
	v_exp_f32_e32 v147, v144
	v_fma_f32 v148, s33, v195, -v153
	v_mul_f32_e32 v134, 0x3fb8aa3b, v134
	v_mul_f32_e32 v146, 0x3fb8aa3b, v146
	v_exp_f32_e32 v145, v145
	v_fma_f32 v151, s33, v197, -v153
	v_mul_f32_e32 v148, 0x3fb8aa3b, v148
	v_fma_f32 v129, s33, v129, -v153
	v_exp_f32_e32 v149, v146
	v_cndmask_b32_e32 v144, 0, v143, vcc_lo
	v_fma_f32 v143, s33, v196, -v153
	v_cndmask_b32_e64 v146, 0, v147, s2
	v_exp_f32_e32 v148, v148
	s_delay_alu instid0(VALU_DEP_3) | instskip(NEXT) | instid1(VALU_DEP_3)
	v_dual_mul_f32 v151, 0x3fb8aa3b, v151 :: v_dual_add_f32 v150, 0, v144
	v_mul_f32_e32 v143, 0x3fb8aa3b, v143
	v_cndmask_b32_e64 v147, 0, v145, s3
	v_fma_f32 v130, s33, v130, -v153
	s_delay_alu instid0(TRANS32_DEP_2)
	v_cndmask_b32_e64 v149, 0, v149, s4
	v_add_f32_e32 v145, v150, v146
	v_fma_f32 v150, s33, v198, -v153
	v_exp_f32_e32 v143, v143
	v_exp_f32_e32 v155, v151
	v_mul_f32_e32 v129, 0x3fb8aa3b, v129
	s_delay_alu instid0(VALU_DEP_2) | instskip(SKIP_2) | instid1(VALU_DEP_3)
	v_dual_add_f32 v145, v145, v147 :: v_dual_mul_f32 v152, 0x3fb8aa3b, v150
	v_cndmask_b32_e64 v150, 0, v148, s5
	v_fma_f32 v131, s33, v131, -v153
	v_dual_mul_f32 v130, 0x3fb8aa3b, v130 :: v_dual_add_f32 v145, v145, v149
	s_delay_alu instid0(VALU_DEP_4) | instskip(NEXT) | instid1(TRANS32_DEP_3)
	v_exp_f32_e32 v152, v152
	v_cndmask_b32_e64 v151, 0, v143, s6
	v_exp_f32_e32 v129, v129
	s_delay_alu instid0(TRANS32_DEP_3)
	v_cndmask_b32_e64 v148, 0, v155, s7
	v_add_f32_e32 v143, v145, v150
	v_mul_f32_e32 v131, 0x3fb8aa3b, v131
	v_exp_f32_e32 v130, v130
	v_fma_f32 v133, s33, v133, -v153
	v_fma_f32 v136, s33, v136, -v153
	v_add_f32_e32 v143, v143, v151
	v_cndmask_b32_e64 v152, 0, v152, s8
	v_exp_f32_e32 v145, v131
	v_cndmask_b32_e64 v131, 0, v129, s9
	v_mul_f32_e32 v133, 0x3fb8aa3b, v133
	v_add_f32_e32 v143, v143, v148
	s_mov_b32 s2, exec_lo
	s_delay_alu instid0(VALU_DEP_1)
	v_add_f32_e32 v129, v143, v152
	v_exp_f32_e32 v143, v132
	v_cndmask_b32_e64 v132, 0, v130, s10
	v_fma_f32 v130, s33, v135, -v153
	v_exp_f32_e32 v135, v133
	v_add_f32_e32 v129, v129, v131
	v_cndmask_b32_e64 v133, 0, v145, s11
	v_exp_f32_e32 v145, v134
	s_delay_alu instid0(VALU_DEP_2) | instskip(NEXT) | instid1(TRANS32_DEP_3)
	v_dual_mul_f32 v130, 0x3fb8aa3b, v130 :: v_dual_add_f32 v129, v129, v132
	v_cndmask_b32_e64 v134, 0, v143, s12
	v_mul_f32_e32 v143, 0x3fb8aa3b, v136
	s_delay_alu instid0(VALU_DEP_3) | instskip(NEXT) | instid1(TRANS32_DEP_3)
	v_exp_f32_e32 v130, v130
	v_cndmask_b32_e64 v135, 0, v135, s13
	v_add_f32_e32 v129, v129, v133
	s_delay_alu instid0(TRANS32_DEP_2) | instskip(SKIP_1) | instid1(VALU_DEP_2)
	v_cndmask_b32_e64 v136, 0, v145, s15
	v_exp_f32_e32 v145, v143
	v_add_f32_e32 v129, v129, v134
	s_waitcnt_depctr 0xfff
	v_cndmask_b32_e64 v143, 0, v130, s16
	v_add_f32_e32 v129, v129, v135
	v_cndmask_b32_e64 v145, 0, v145, s17
	s_delay_alu instid0(VALU_DEP_2) | instskip(NEXT) | instid1(VALU_DEP_1)
	v_add_f32_e32 v129, v129, v136
	v_add_f32_e32 v129, v129, v143
	s_delay_alu instid0(VALU_DEP_1)
	v_add_f32_e32 v129, v129, v145
	ds_bpermute_b32 v130, v154, v129
	v_cmpx_gt_u32_e32 16, v142
	s_cbranch_execz .LBB589_12
; %bb.11:
	v_mul_u32_u24_e32 v142, 0x44, v141
	s_waitcnt lgkmcnt(0)
	v_add_f32_e32 v129, v129, v130
	s_delay_alu instid0(VALU_DEP_2) | instskip(NEXT) | instid1(VALU_DEP_1)
	v_lshl_add_u32 v142, v140, 2, v142
	v_add_nc_u32_e32 v130, 0x4000, v142
	ds_store_2addr_b32 v130, v153, v129 offset1:136
.LBB589_12:
	s_or_b32 exec_lo, exec_lo, s2
	v_lshlrev_b32_e32 v129, 2, v140
	s_waitcnt lgkmcnt(0)
	s_barrier
	buffer_gl0_inv
	v_cmp_eq_u32_e64 s2, 1, v141
	v_add_nc_u32_e32 v142, 0x4000, v129
	ds_load_2addr_b32 v[153:154], v142 offset1:17
	ds_load_2addr_b32 v[155:156], v142 offset0:34 offset1:51
	ds_load_2addr_b32 v[157:158], v142 offset0:68 offset1:85
	;; [unrolled: 1-line block ×4, first 2 shown]
	s_waitcnt lgkmcnt(4)
	v_max3_f32 v129, v153, 0xff7fffff, v154
	s_waitcnt lgkmcnt(3)
	s_delay_alu instid0(VALU_DEP_1) | instskip(SKIP_1) | instid1(VALU_DEP_1)
	v_max3_f32 v129, v129, v155, v156
	s_waitcnt lgkmcnt(2)
	v_max3_f32 v129, v129, v157, v158
	s_waitcnt lgkmcnt(1)
	s_delay_alu instid0(VALU_DEP_1) | instskip(NEXT) | instid1(VALU_DEP_1)
	v_max3_f32 v129, v129, v159, v160
	v_sub_f32_e32 v163, v154, v129
	v_sub_f32_e32 v130, v153, v129
	ds_load_2addr_b32 v[153:154], v142 offset0:170 offset1:187
	v_sub_f32_e32 v155, v155, v129
	v_dual_mul_f32 v163, 0x3fb8aa3b, v163 :: v_dual_mul_f32 v130, 0x3fb8aa3b, v130
	s_delay_alu instid0(VALU_DEP_2) | instskip(NEXT) | instid1(VALU_DEP_2)
	v_mul_f32_e32 v165, 0x3fb8aa3b, v155
	v_exp_f32_e32 v163, v163
	s_delay_alu instid0(VALU_DEP_2)
	v_exp_f32_e32 v164, v130
	v_sub_f32_e32 v130, v156, v129
	ds_load_2addr_b32 v[155:156], v142 offset0:204 offset1:221
	v_exp_f32_e32 v165, v165
	v_mul_f32_e32 v166, 0x3fb8aa3b, v130
	s_waitcnt lgkmcnt(2)
	v_fma_f32 v130, v164, v161, 0
	v_sub_f32_e32 v157, v157, v129
	s_delay_alu instid0(VALU_DEP_3) | instskip(NEXT) | instid1(VALU_DEP_2)
	v_exp_f32_e32 v166, v166
	v_dual_sub_f32 v161, v158, v129 :: v_dual_fmac_f32 v130, v163, v162
	s_waitcnt lgkmcnt(1)
	s_waitcnt_depctr 0xfff
	v_fmac_f32_e32 v130, v165, v153
	v_mul_f32_e32 v167, 0x3fb8aa3b, v157
	ds_load_2addr_b32 v[157:158], v142 offset0:238 offset1:255
	v_sub_f32_e32 v142, v159, v129
	v_dual_sub_f32 v153, v160, v129 :: v_dual_fmac_f32 v130, v166, v154
	v_mul_f32_e32 v159, 0x3fb8aa3b, v161
	v_exp_f32_e32 v161, v167
	s_delay_alu instid0(VALU_DEP_2)
	v_dual_mul_f32 v142, 0x3fb8aa3b, v142 :: v_dual_mul_f32 v153, 0x3fb8aa3b, v153
	s_waitcnt lgkmcnt(0)
	s_barrier
	buffer_gl0_inv
	v_exp_f32_e32 v142, v142
	v_exp_f32_e32 v153, v153
	v_fmac_f32_e32 v130, v161, v155
	v_exp_f32_e32 v159, v159
	s_waitcnt_depctr 0xfff
	v_fmac_f32_e32 v130, v159, v156
	s_delay_alu instid0(VALU_DEP_1) | instskip(NEXT) | instid1(VALU_DEP_1)
	v_fmac_f32_e32 v130, v142, v157
	v_fmac_f32_e32 v130, v153, v158
	s_delay_alu instid0(VALU_DEP_1) | instskip(NEXT) | instid1(VALU_DEP_1)
	v_add_f32_e32 v154, 0x358637bd, v130
	v_div_scale_f32 v155, null, v154, v154, 1.0
	v_div_scale_f32 v158, vcc_lo, 1.0, v154, 1.0
	s_delay_alu instid0(VALU_DEP_2) | instskip(SKIP_2) | instid1(VALU_DEP_1)
	v_rcp_f32_e32 v156, v155
	s_waitcnt_depctr 0xfff
	v_fma_f32 v157, -v155, v156, 1.0
	v_fmac_f32_e32 v156, v157, v156
	v_cndmask_b32_e64 v157, v164, v163, s2
	v_cmp_eq_u32_e64 s2, 2, v141
	s_delay_alu instid0(VALU_DEP_3) | instskip(NEXT) | instid1(VALU_DEP_2)
	v_mul_f32_e32 v160, v158, v156
	v_cndmask_b32_e64 v157, v157, v165, s2
	v_cmp_eq_u32_e64 s2, 3, v141
	s_delay_alu instid0(VALU_DEP_3) | instskip(NEXT) | instid1(VALU_DEP_2)
	v_fma_f32 v162, -v155, v160, v158
	v_cndmask_b32_e64 v157, v157, v166, s2
	v_cmp_eq_u32_e64 s2, 4, v141
	s_delay_alu instid0(VALU_DEP_3) | instskip(NEXT) | instid1(VALU_DEP_2)
	v_fmac_f32_e32 v160, v162, v156
	v_cndmask_b32_e64 v157, v157, v161, s2
	s_delay_alu instid0(VALU_DEP_2) | instskip(SKIP_1) | instid1(VALU_DEP_2)
	v_fma_f32 v155, -v155, v160, v158
	v_cmp_eq_u32_e64 s2, 5, v141
	v_div_fmas_f32 v155, v155, v156, v160
	s_delay_alu instid0(VALU_DEP_2) | instskip(SKIP_2) | instid1(VALU_DEP_3)
	v_cndmask_b32_e64 v157, v157, v159, s2
	v_cmp_eq_u32_e32 vcc_lo, 6, v141
	s_mov_b32 s2, exec_lo
	v_div_fixup_f32 v154, v155, v154, 1.0
	s_delay_alu instid0(VALU_DEP_3) | instskip(SKIP_1) | instid1(VALU_DEP_2)
	v_cndmask_b32_e32 v142, v157, v142, vcc_lo
	v_cmp_eq_u32_e32 vcc_lo, 7, v141
	v_cndmask_b32_e32 v142, v142, v153, vcc_lo
	s_delay_alu instid0(VALU_DEP_1) | instskip(NEXT) | instid1(VALU_DEP_1)
	v_mul_f32_e32 v142, v142, v154
	v_mul_f32_e32 v153, v142, v149
	;; [unrolled: 1-line block ×7, first 2 shown]
	v_dual_mul_f32 v150, v142, v147 :: v_dual_and_b32 v155, 0x7f800000, v154
	v_mul_f32_e32 v149, v142, v146
                                        ; implicit-def: $vgpr146
	s_delay_alu instid0(VALU_DEP_2)
	v_cmpx_ne_u32_e32 0x7f800000, v155
	s_xor_b32 s2, exec_lo, s2
; %bb.13:
	v_bfe_u32 v146, v154, 16, 1
	s_delay_alu instid0(VALU_DEP_1)
	v_add3_u32 v146, v154, v146, 0x7fff
                                        ; implicit-def: $vgpr154
; %bb.14:
	s_and_not1_saveexec_b32 s2, s2
; %bb.15:
	v_and_b32_e32 v146, 0xffff, v154
	v_or_b32_e32 v147, 0x10000, v154
	s_delay_alu instid0(VALU_DEP_2) | instskip(NEXT) | instid1(VALU_DEP_2)
	v_cmp_eq_u32_e32 vcc_lo, 0, v146
	v_cndmask_b32_e32 v146, v147, v154, vcc_lo
; %bb.16:
	s_or_b32 exec_lo, exec_lo, s2
	v_and_b32_e32 v147, 0x7f800000, v149
	s_delay_alu instid0(VALU_DEP_1) | instskip(SKIP_1) | instid1(SALU_CYCLE_1)
	v_cmp_ne_u32_e32 vcc_lo, 0x7f800000, v147
                                        ; implicit-def: $vgpr147
	s_and_saveexec_b32 s2, vcc_lo
	s_xor_b32 s2, exec_lo, s2
; %bb.17:
	v_bfe_u32 v147, v149, 16, 1
	s_delay_alu instid0(VALU_DEP_1)
	v_add3_u32 v147, v149, v147, 0x7fff
                                        ; implicit-def: $vgpr149
; %bb.18:
	s_and_not1_saveexec_b32 s2, s2
; %bb.19:
	v_and_b32_e32 v147, 0xffff, v149
	v_or_b32_e32 v154, 0x10000, v149
	s_delay_alu instid0(VALU_DEP_2) | instskip(NEXT) | instid1(VALU_DEP_2)
	v_cmp_eq_u32_e32 vcc_lo, 0, v147
	v_cndmask_b32_e32 v147, v154, v149, vcc_lo
; %bb.20:
	s_or_b32 exec_lo, exec_lo, s2
	v_and_b32_e32 v149, 0x7f800000, v150
	s_delay_alu instid0(VALU_DEP_1) | instskip(SKIP_1) | instid1(SALU_CYCLE_1)
	v_cmp_ne_u32_e32 vcc_lo, 0x7f800000, v149
                                        ; implicit-def: $vgpr149
	s_and_saveexec_b32 s2, vcc_lo
	s_xor_b32 s2, exec_lo, s2
; %bb.21:
	v_bfe_u32 v149, v150, 16, 1
	s_delay_alu instid0(VALU_DEP_1)
	v_add3_u32 v149, v150, v149, 0x7fff
                                        ; implicit-def: $vgpr150
; %bb.22:
	s_and_not1_saveexec_b32 s2, s2
; %bb.23:
	v_and_b32_e32 v149, 0xffff, v150
	v_or_b32_e32 v154, 0x10000, v150
	s_delay_alu instid0(VALU_DEP_2) | instskip(NEXT) | instid1(VALU_DEP_2)
	v_cmp_eq_u32_e32 vcc_lo, 0, v149
	v_cndmask_b32_e32 v149, v154, v150, vcc_lo
; %bb.24:
	s_or_b32 exec_lo, exec_lo, s2
	v_and_b32_e32 v150, 0x7f800000, v153
	s_delay_alu instid0(VALU_DEP_1) | instskip(SKIP_1) | instid1(SALU_CYCLE_1)
	v_cmp_ne_u32_e32 vcc_lo, 0x7f800000, v150
                                        ; implicit-def: $vgpr150
	s_and_saveexec_b32 s2, vcc_lo
	s_xor_b32 s2, exec_lo, s2
; %bb.25:
	v_bfe_u32 v150, v153, 16, 1
	s_delay_alu instid0(VALU_DEP_1)
	v_add3_u32 v150, v153, v150, 0x7fff
                                        ; implicit-def: $vgpr153
; %bb.26:
	s_and_not1_saveexec_b32 s2, s2
; %bb.27:
	v_and_b32_e32 v150, 0xffff, v153
	v_or_b32_e32 v154, 0x10000, v153
	s_delay_alu instid0(VALU_DEP_2) | instskip(NEXT) | instid1(VALU_DEP_2)
	v_cmp_eq_u32_e32 vcc_lo, 0, v150
	v_cndmask_b32_e32 v150, v154, v153, vcc_lo
; %bb.28:
	s_or_b32 exec_lo, exec_lo, s2
	v_and_b32_e32 v153, 0x7f800000, v152
	s_delay_alu instid0(VALU_DEP_1) | instskip(SKIP_1) | instid1(SALU_CYCLE_1)
	v_cmp_ne_u32_e32 vcc_lo, 0x7f800000, v153
                                        ; implicit-def: $vgpr153
	s_and_saveexec_b32 s2, vcc_lo
	s_xor_b32 s2, exec_lo, s2
; %bb.29:
	v_bfe_u32 v153, v152, 16, 1
	s_delay_alu instid0(VALU_DEP_1)
	v_add3_u32 v153, v152, v153, 0x7fff
                                        ; implicit-def: $vgpr152
; %bb.30:
	s_and_not1_saveexec_b32 s2, s2
; %bb.31:
	v_and_b32_e32 v153, 0xffff, v152
	v_or_b32_e32 v154, 0x10000, v152
	s_delay_alu instid0(VALU_DEP_2) | instskip(NEXT) | instid1(VALU_DEP_2)
	v_cmp_eq_u32_e32 vcc_lo, 0, v153
	v_cndmask_b32_e32 v153, v154, v152, vcc_lo
; %bb.32:
	s_or_b32 exec_lo, exec_lo, s2
	v_and_b32_e32 v152, 0x7f800000, v151
	s_delay_alu instid0(VALU_DEP_1) | instskip(SKIP_1) | instid1(SALU_CYCLE_1)
	v_cmp_ne_u32_e32 vcc_lo, 0x7f800000, v152
                                        ; implicit-def: $vgpr152
	s_and_saveexec_b32 s2, vcc_lo
	s_xor_b32 s2, exec_lo, s2
; %bb.33:
	v_bfe_u32 v152, v151, 16, 1
	s_delay_alu instid0(VALU_DEP_1)
	v_add3_u32 v152, v151, v152, 0x7fff
                                        ; implicit-def: $vgpr151
; %bb.34:
	s_and_not1_saveexec_b32 s2, s2
; %bb.35:
	v_and_b32_e32 v152, 0xffff, v151
	v_or_b32_e32 v154, 0x10000, v151
	s_delay_alu instid0(VALU_DEP_2) | instskip(NEXT) | instid1(VALU_DEP_2)
	v_cmp_eq_u32_e32 vcc_lo, 0, v152
	v_cndmask_b32_e32 v152, v154, v151, vcc_lo
; %bb.36:
	s_or_b32 exec_lo, exec_lo, s2
	v_and_b32_e32 v151, 0x7f800000, v148
	s_delay_alu instid0(VALU_DEP_1) | instskip(SKIP_1) | instid1(SALU_CYCLE_1)
	v_cmp_ne_u32_e32 vcc_lo, 0x7f800000, v151
                                        ; implicit-def: $vgpr151
	s_and_saveexec_b32 s2, vcc_lo
	s_xor_b32 s2, exec_lo, s2
; %bb.37:
	v_bfe_u32 v151, v148, 16, 1
	s_delay_alu instid0(VALU_DEP_1)
	v_add3_u32 v151, v148, v151, 0x7fff
                                        ; implicit-def: $vgpr148
; %bb.38:
	s_and_not1_saveexec_b32 s2, s2
; %bb.39:
	v_and_b32_e32 v151, 0xffff, v148
	v_or_b32_e32 v154, 0x10000, v148
	s_delay_alu instid0(VALU_DEP_2) | instskip(NEXT) | instid1(VALU_DEP_2)
	v_cmp_eq_u32_e32 vcc_lo, 0, v151
	v_cndmask_b32_e32 v151, v154, v148, vcc_lo
; %bb.40:
	s_or_b32 exec_lo, exec_lo, s2
	v_and_b32_e32 v148, 0x7f800000, v144
	s_delay_alu instid0(VALU_DEP_1) | instskip(SKIP_1) | instid1(SALU_CYCLE_1)
	v_cmp_ne_u32_e32 vcc_lo, 0x7f800000, v148
                                        ; implicit-def: $vgpr148
	s_and_saveexec_b32 s2, vcc_lo
	s_xor_b32 s2, exec_lo, s2
; %bb.41:
	v_bfe_u32 v148, v144, 16, 1
	s_delay_alu instid0(VALU_DEP_1)
	v_add3_u32 v148, v144, v148, 0x7fff
                                        ; implicit-def: $vgpr144
; %bb.42:
	s_and_not1_saveexec_b32 s2, s2
; %bb.43:
	v_and_b32_e32 v148, 0xffff, v144
	v_or_b32_e32 v154, 0x10000, v144
	s_delay_alu instid0(VALU_DEP_2) | instskip(NEXT) | instid1(VALU_DEP_2)
	v_cmp_eq_u32_e32 vcc_lo, 0, v148
	v_cndmask_b32_e32 v148, v154, v144, vcc_lo
; %bb.44:
	s_or_b32 exec_lo, exec_lo, s2
	s_load_b64 s[34:35], s[0:1], 0x94
	v_lshlrev_b32_e32 v155, 4, v138
	s_delay_alu instid0(VALU_DEP_2)
	v_perm_b32 v154, v148, v151, 0x7060302
	v_mul_f32_e32 v148, v142, v131
	v_dual_mul_f32 v145, v142, v145 :: v_dual_lshlrev_b32 v144, 6, v140
	v_dual_mul_f32 v143, v142, v143 :: v_dual_lshlrev_b32 v156, 11, v141
	v_perm_b32 v153, v152, v153, 0x7060302
	v_perm_b32 v152, v150, v149, 0x7060302
	;; [unrolled: 1-line block ×3, first 2 shown]
	s_delay_alu instid0(VALU_DEP_4)
	v_or3_b32 v131, v155, v156, v144
	v_mul_f32_e32 v136, v142, v136
	v_dual_mul_f32 v146, v142, v134 :: v_dual_and_b32 v149, 0x7f800000, v148
	v_mul_f32_e32 v135, v142, v135
	v_mul_f32_e32 v147, v142, v133
	;; [unrolled: 1-line block ×3, first 2 shown]
	s_mov_b32 s2, exec_lo
	ds_store_b128 v131, v[151:154]
                                        ; implicit-def: $vgpr132
	v_cmpx_ne_u32_e32 0x7f800000, v149
	s_xor_b32 s2, exec_lo, s2
; %bb.45:
	v_bfe_u32 v132, v148, 16, 1
	s_delay_alu instid0(VALU_DEP_1)
	v_add3_u32 v132, v148, v132, 0x7fff
                                        ; implicit-def: $vgpr148
; %bb.46:
	s_and_not1_saveexec_b32 s2, s2
; %bb.47:
	v_and_b32_e32 v132, 0xffff, v148
	v_or_b32_e32 v133, 0x10000, v148
	s_delay_alu instid0(VALU_DEP_2) | instskip(NEXT) | instid1(VALU_DEP_2)
	v_cmp_eq_u32_e32 vcc_lo, 0, v132
	v_cndmask_b32_e32 v132, v133, v148, vcc_lo
; %bb.48:
	s_or_b32 exec_lo, exec_lo, s2
	v_and_b32_e32 v133, 0x7f800000, v134
	s_delay_alu instid0(VALU_DEP_1) | instskip(SKIP_1) | instid1(SALU_CYCLE_1)
	v_cmp_ne_u32_e32 vcc_lo, 0x7f800000, v133
                                        ; implicit-def: $vgpr133
	s_and_saveexec_b32 s2, vcc_lo
	s_xor_b32 s2, exec_lo, s2
; %bb.49:
	v_bfe_u32 v133, v134, 16, 1
	s_delay_alu instid0(VALU_DEP_1)
	v_add3_u32 v133, v134, v133, 0x7fff
                                        ; implicit-def: $vgpr134
; %bb.50:
	s_and_not1_saveexec_b32 s2, s2
; %bb.51:
	v_and_b32_e32 v133, 0xffff, v134
	v_or_b32_e32 v142, 0x10000, v134
	s_delay_alu instid0(VALU_DEP_2) | instskip(NEXT) | instid1(VALU_DEP_2)
	v_cmp_eq_u32_e32 vcc_lo, 0, v133
	v_cndmask_b32_e32 v133, v142, v134, vcc_lo
; %bb.52:
	s_or_b32 exec_lo, exec_lo, s2
	v_and_b32_e32 v134, 0x7f800000, v147
	s_delay_alu instid0(VALU_DEP_1) | instskip(SKIP_1) | instid1(SALU_CYCLE_1)
	v_cmp_ne_u32_e32 vcc_lo, 0x7f800000, v134
                                        ; implicit-def: $vgpr134
	s_and_saveexec_b32 s2, vcc_lo
	s_xor_b32 s2, exec_lo, s2
; %bb.53:
	v_bfe_u32 v134, v147, 16, 1
	s_delay_alu instid0(VALU_DEP_1)
	v_add3_u32 v134, v147, v134, 0x7fff
                                        ; implicit-def: $vgpr147
; %bb.54:
	s_and_not1_saveexec_b32 s2, s2
; %bb.55:
	v_and_b32_e32 v134, 0xffff, v147
	v_or_b32_e32 v142, 0x10000, v147
	s_delay_alu instid0(VALU_DEP_2) | instskip(NEXT) | instid1(VALU_DEP_2)
	v_cmp_eq_u32_e32 vcc_lo, 0, v134
	v_cndmask_b32_e32 v134, v142, v147, vcc_lo
; %bb.56:
	s_or_b32 exec_lo, exec_lo, s2
	v_and_b32_e32 v142, 0x7f800000, v146
	s_delay_alu instid0(VALU_DEP_1) | instskip(SKIP_1) | instid1(SALU_CYCLE_1)
	v_cmp_ne_u32_e32 vcc_lo, 0x7f800000, v142
                                        ; implicit-def: $vgpr142
	s_and_saveexec_b32 s2, vcc_lo
	s_xor_b32 s2, exec_lo, s2
; %bb.57:
	v_bfe_u32 v142, v146, 16, 1
	s_delay_alu instid0(VALU_DEP_1)
	v_add3_u32 v142, v146, v142, 0x7fff
                                        ; implicit-def: $vgpr146
; %bb.58:
	s_and_not1_saveexec_b32 s2, s2
; %bb.59:
	v_and_b32_e32 v142, 0xffff, v146
	v_or_b32_e32 v147, 0x10000, v146
	s_delay_alu instid0(VALU_DEP_2) | instskip(NEXT) | instid1(VALU_DEP_2)
	v_cmp_eq_u32_e32 vcc_lo, 0, v142
	v_cndmask_b32_e32 v142, v147, v146, vcc_lo
; %bb.60:
	s_or_b32 exec_lo, exec_lo, s2
	v_and_b32_e32 v146, 0x7f800000, v135
	s_delay_alu instid0(VALU_DEP_1) | instskip(SKIP_1) | instid1(SALU_CYCLE_1)
	v_cmp_ne_u32_e32 vcc_lo, 0x7f800000, v146
                                        ; implicit-def: $vgpr146
	s_and_saveexec_b32 s2, vcc_lo
	s_xor_b32 s2, exec_lo, s2
; %bb.61:
	v_bfe_u32 v146, v135, 16, 1
	s_delay_alu instid0(VALU_DEP_1)
	v_add3_u32 v146, v135, v146, 0x7fff
                                        ; implicit-def: $vgpr135
; %bb.62:
	s_and_not1_saveexec_b32 s2, s2
; %bb.63:
	v_and_b32_e32 v146, 0xffff, v135
	v_or_b32_e32 v147, 0x10000, v135
	s_delay_alu instid0(VALU_DEP_2) | instskip(NEXT) | instid1(VALU_DEP_2)
	v_cmp_eq_u32_e32 vcc_lo, 0, v146
	v_cndmask_b32_e32 v146, v147, v135, vcc_lo
; %bb.64:
	s_or_b32 exec_lo, exec_lo, s2
	v_and_b32_e32 v135, 0x7f800000, v136
	s_delay_alu instid0(VALU_DEP_1) | instskip(SKIP_1) | instid1(SALU_CYCLE_1)
	v_cmp_ne_u32_e32 vcc_lo, 0x7f800000, v135
                                        ; implicit-def: $vgpr135
	s_and_saveexec_b32 s2, vcc_lo
	s_xor_b32 s2, exec_lo, s2
; %bb.65:
	v_bfe_u32 v135, v136, 16, 1
	s_delay_alu instid0(VALU_DEP_1)
	v_add3_u32 v135, v136, v135, 0x7fff
                                        ; implicit-def: $vgpr136
; %bb.66:
	s_and_not1_saveexec_b32 s2, s2
; %bb.67:
	v_and_b32_e32 v135, 0xffff, v136
	v_or_b32_e32 v147, 0x10000, v136
	s_delay_alu instid0(VALU_DEP_2) | instskip(NEXT) | instid1(VALU_DEP_2)
	v_cmp_eq_u32_e32 vcc_lo, 0, v135
	v_cndmask_b32_e32 v135, v147, v136, vcc_lo
; %bb.68:
	s_or_b32 exec_lo, exec_lo, s2
	v_and_b32_e32 v136, 0x7f800000, v143
	s_delay_alu instid0(VALU_DEP_1) | instskip(SKIP_1) | instid1(SALU_CYCLE_1)
	v_cmp_ne_u32_e32 vcc_lo, 0x7f800000, v136
                                        ; implicit-def: $vgpr136
	s_and_saveexec_b32 s2, vcc_lo
	s_xor_b32 s2, exec_lo, s2
; %bb.69:
	v_bfe_u32 v136, v143, 16, 1
	s_delay_alu instid0(VALU_DEP_1)
	v_add3_u32 v136, v143, v136, 0x7fff
                                        ; implicit-def: $vgpr143
; %bb.70:
	s_and_not1_saveexec_b32 s2, s2
; %bb.71:
	v_and_b32_e32 v136, 0xffff, v143
	v_or_b32_e32 v147, 0x10000, v143
	s_delay_alu instid0(VALU_DEP_2) | instskip(NEXT) | instid1(VALU_DEP_2)
	v_cmp_eq_u32_e32 vcc_lo, 0, v136
	v_cndmask_b32_e32 v136, v147, v143, vcc_lo
; %bb.72:
	s_or_b32 exec_lo, exec_lo, s2
	v_and_b32_e32 v143, 0x7f800000, v145
	s_delay_alu instid0(VALU_DEP_1) | instskip(SKIP_1) | instid1(SALU_CYCLE_1)
	v_cmp_ne_u32_e32 vcc_lo, 0x7f800000, v143
                                        ; implicit-def: $vgpr143
	s_and_saveexec_b32 s2, vcc_lo
	s_xor_b32 s2, exec_lo, s2
; %bb.73:
	v_bfe_u32 v143, v145, 16, 1
	s_delay_alu instid0(VALU_DEP_1)
	v_add3_u32 v143, v145, v143, 0x7fff
                                        ; implicit-def: $vgpr145
; %bb.74:
	s_and_not1_saveexec_b32 s2, s2
; %bb.75:
	v_and_b32_e32 v143, 0xffff, v145
	v_or_b32_e32 v147, 0x10000, v145
	s_delay_alu instid0(VALU_DEP_2) | instskip(NEXT) | instid1(VALU_DEP_2)
	v_cmp_eq_u32_e32 vcc_lo, 0, v143
	v_cndmask_b32_e32 v143, v147, v145, vcc_lo
; %bb.76:
	s_or_b32 exec_lo, exec_lo, s2
	s_delay_alu instid0(VALU_DEP_1)
	v_perm_b32 v136, v143, v136, 0x7060302
	v_perm_b32 v135, v135, v146, 0x7060302
	;; [unrolled: 1-line block ×4, first 2 shown]
	v_lshl_or_b32 v145, v141, 11, v144
	v_lshlrev_b32_e32 v142, 2, v138
	ds_store_b128 v131, v[133:136] offset:1024
	s_waitcnt lgkmcnt(0)
	s_barrier
	buffer_gl0_inv
	ds_load_b128 v[132:135], v145
	ds_load_b128 v[147:150], v145 offset:16
	v_or_b32_e32 v143, 1, v142
	v_cmp_eq_u32_e64 s11, 1, v142
	v_cmp_eq_u32_e64 s10, 2, v142
	v_cmp_eq_u32_e64 s15, 3, v142
	v_or_b32_e32 v141, 2, v142
	v_cmp_eq_u32_e64 s6, 1, v143
	v_cmp_eq_u32_e64 s5, 2, v143
	v_cmp_eq_u32_e64 s16, 4, v142
	v_cmp_eq_u32_e64 s4, 3, v143
	v_cmp_eq_u32_e64 s12, 5, v142
	v_cmp_eq_u32_e64 s7, 1, v141
	v_cmp_eq_u32_e64 s2, 4, v143
	v_cmp_eq_u32_e64 s13, 6, v142
	v_cmp_eq_u32_e32 vcc_lo, 5, v143
	v_cmp_eq_u32_e64 s9, 2, v141
	v_cmp_eq_u32_e64 s3, 6, v143
	;; [unrolled: 1-line block ×4, first 2 shown]
	s_waitcnt lgkmcnt(1)
	v_lshrrev_b32_e32 v136, 16, v132
	s_waitcnt lgkmcnt(0)
	v_lshrrev_b32_e32 v155, 16, v147
	v_lshrrev_b32_e32 v161, 16, v148
	;; [unrolled: 1-line block ×4, first 2 shown]
	v_cndmask_b32_e64 v146, v132, v136, s11
	v_cndmask_b32_e64 v151, v147, v155, s11
	;; [unrolled: 1-line block ×4, first 2 shown]
	v_lshrrev_b32_e32 v160, 16, v134
	v_cndmask_b32_e64 v146, v146, v133, s10
	v_cndmask_b32_e64 v151, v151, v148, s10
	;; [unrolled: 1-line block ×8, first 2 shown]
	v_lshrrev_b32_e32 v164, 16, v150
	v_cndmask_b32_e64 v153, v153, v161, s4
	v_cndmask_b32_e64 v146, v146, v134, s16
	;; [unrolled: 1-line block ×5, first 2 shown]
	v_lshrrev_b32_e32 v162, 16, v135
	v_cndmask_b32_e64 v146, v146, v160, s12
	v_cndmask_b32_e64 v151, v151, v163, s12
	v_cndmask_b32_e32 v152, v152, v160, vcc_lo
	v_cndmask_b32_e64 v153, v153, v149, s2
	v_cmp_eq_u32_e64 s18, 7, v143
	v_cndmask_b32_e64 v146, v146, v135, s13
	v_cndmask_b32_e64 v151, v151, v150, s13
	;; [unrolled: 1-line block ×4, first 2 shown]
	v_cmp_eq_u32_e64 s19, 4, v141
	v_cndmask_b32_e64 v165, v146, v162, s8
	v_cndmask_b32_e64 v166, v151, v164, s8
	;; [unrolled: 1-line block ×3, first 2 shown]
	v_or_b32_e32 v146, 3, v142
	v_cndmask_b32_e64 v167, v152, v162, s18
	v_cndmask_b32_e32 v156, v153, v163, vcc_lo
	v_cndmask_b32_e64 v158, v154, v134, s19
	v_cndmask_b32_e64 v157, v151, v148, s9
	ds_load_b128 v[151:154], v145 offset:1024
	v_cmp_eq_u32_e64 s20, 1, v146
	v_cmp_eq_u32_e64 s21, 5, v141
	;; [unrolled: 1-line block ×3, first 2 shown]
	v_cndmask_b32_e64 v157, v157, v161, s17
	v_cmp_eq_u32_e64 s23, 3, v146
	v_cndmask_b32_e64 v132, v132, v136, s20
	v_cndmask_b32_e64 v136, v156, v150, s3
	;; [unrolled: 1-line block ×5, first 2 shown]
	ds_load_b128 v[155:158], v145 offset:1040
	v_cndmask_b32_e64 v132, v132, v133, s22
	v_cmp_eq_u32_e64 s25, 4, v146
	v_cmp_eq_u32_e64 s27, 5, v146
	v_cndmask_b32_e64 v147, v147, v148, s22
	v_cmp_eq_u32_e64 s24, 6, v141
	v_cndmask_b32_e64 v132, v132, v159, s23
	;; [unrolled: 2-line block ×3, first 2 shown]
	v_cndmask_b32_e64 v147, v147, v161, s23
	s_waitcnt lgkmcnt(1)
	v_lshrrev_b32_e32 v159, 16, v151
	v_cndmask_b32_e64 v132, v132, v134, s25
	v_cndmask_b32_e64 v148, v168, v135, s24
	;; [unrolled: 1-line block ×6, first 2 shown]
	v_lshrrev_b32_e32 v160, 16, v152
	v_cndmask_b32_e64 v161, v151, v159, s6
	v_cndmask_b32_e64 v134, v134, v163, s27
	s_waitcnt lgkmcnt(0)
	v_lshrrev_b32_e32 v149, 16, v155
	v_cndmask_b32_e64 v147, v147, v152, s10
	v_cndmask_b32_e64 v132, v132, v135, s28
	v_cmp_eq_u32_e64 s26, 7, v141
	v_cndmask_b32_e64 v134, v134, v150, s28
	v_cndmask_b32_e64 v163, v155, v149, s11
	;; [unrolled: 1-line block ×4, first 2 shown]
	v_lshrrev_b32_e32 v161, 16, v156
	v_cndmask_b32_e64 v136, v136, v164, s18
	v_cndmask_b32_e64 v150, v163, v156, s10
	v_cmp_eq_u32_e64 s10, 7, v146
	v_cndmask_b32_e64 v147, v147, v160, s4
	v_cndmask_b32_e64 v135, v135, v153, s16
	v_lshrrev_b32_e32 v163, 16, v153
	v_cndmask_b32_e64 v150, v150, v161, s15
	v_cndmask_b32_e64 v132, v132, v162, s10
	;; [unrolled: 1-line block ×8, first 2 shown]
	v_lshrrev_b32_e32 v164, 16, v157
	v_perm_b32 v135, v134, v132, 0x5040100
	v_cndmask_b32_e32 v132, v147, v163, vcc_lo
	v_cndmask_b32_e64 v147, v162, v154, s13
	v_lshrrev_b32_e32 v162, 16, v154
	v_cndmask_b32_e64 v150, v150, v164, s12
	v_perm_b32 v134, v133, v148, 0x5040100
	v_cndmask_b32_e64 v132, v132, v154, s3
	v_perm_b32 v133, v136, v167, 0x5040100
	v_cndmask_b32_e64 v136, v147, v162, s8
	v_cndmask_b32_e64 v147, v150, v158, s13
	;; [unrolled: 1-line block ×27, first 2 shown]
	v_cndmask_b32_e32 v149, v149, v164, vcc_lo
	v_lshrrev_b32_e32 v148, 16, v158
	v_cndmask_b32_e64 v132, v132, v154, s24
	v_cndmask_b32_e64 v150, v150, v154, s28
	;; [unrolled: 1-line block ×11, first 2 shown]
	v_perm_b32 v132, v166, v165, 0x5040100
	v_perm_b32 v150, v151, v150, 0x5040100
	;; [unrolled: 1-line block ×5, first 2 shown]
	s_mul_i32 s7, s35, 12
	s_mov_b32 s2, exec_lo
	ds_store_b128 v131, v[132:135]
	ds_store_b128 v131, v[147:150] offset:1024
	v_cmpx_gt_u32_e32 12, v0
	s_cbranch_execz .LBB589_78
; %bb.77:
	s_mul_i32 s3, s7, s30
	s_load_b128 s[8:11], s[0:1], 0x58
	v_add3_u32 v133, s3, s29, v140
	s_delay_alu instid0(VALU_DEP_1) | instskip(NEXT) | instid1(VALU_DEP_1)
	v_mad_u64_u32 v[131:132], null, v133, s34, s[14:15]
	v_ashrrev_i32_e32 v132, 31, v131
	s_delay_alu instid0(VALU_DEP_1) | instskip(SKIP_1) | instid1(VALU_DEP_1)
	v_lshlrev_b64 v[131:132], 2, v[131:132]
	s_waitcnt lgkmcnt(0)
	v_add_co_u32 v133, vcc_lo, s10, v131
	s_delay_alu instid0(VALU_DEP_2)
	v_add_co_ci_u32_e32 v134, vcc_lo, s11, v132, vcc_lo
	v_add_co_u32 v131, vcc_lo, s8, v131
	v_add_co_ci_u32_e32 v132, vcc_lo, s9, v132, vcc_lo
	global_store_b32 v[133:134], v129, off
	global_store_b32 v[131:132], v130, off
.LBB589_78:
	s_or_b32 exec_lo, exec_lo, s2
	s_waitcnt lgkmcnt(0)
	s_waitcnt_vscnt null, 0x0
	s_barrier
	buffer_gl0_inv
	ds_load_b128 v[147:150], v144
	ds_load_b128 v[151:154], v144 offset:16
	ds_load_b128 v[159:162], v144 offset:1040
	;; [unrolled: 1-line block ×3, first 2 shown]
	v_mov_b32_e32 v129, 0
	ds_load_b128 v[167:170], v144 offset:2064
	ds_load_b128 v[163:166], v144 offset:2048
	;; [unrolled: 1-line block ×6, first 2 shown]
	v_mov_b32_e32 v130, v129
	v_mov_b32_e32 v131, v129
	;; [unrolled: 1-line block ×7, first 2 shown]
	s_waitcnt lgkmcnt(8)
	s_delay_alu instid0(VALU_DEP_1)
	v_wmma_f32_16x16x16_bf16 v[129:136], v[121:128], v[147:154], v[129:136]
	ds_load_b128 v[125:128], v144 offset:5136
	ds_load_b128 v[121:124], v144 offset:5120
	s_waitcnt lgkmcnt(8)
	v_wmma_f32_16x16x16_bf16 v[129:136], v[113:120], v[155:162], v[129:136]
	ds_load_b128 v[117:120], v144 offset:6160
	ds_load_b128 v[113:116], v144 offset:6144
	s_waitcnt lgkmcnt(8)
	;; [unrolled: 4-line block ×8, first 2 shown]
	v_wmma_f32_16x16x16_bf16 v[129:136], v[65:72], v[97:104], v[129:136]
	s_waitcnt lgkmcnt(6)
	s_delay_alu instid0(VALU_DEP_1)
	v_wmma_f32_16x16x16_bf16 v[129:136], v[49:56], v[89:96], v[129:136]
	ds_load_b128 v[53:56], v144 offset:13328
	ds_load_b128 v[49:52], v144 offset:13312
	s_waitcnt lgkmcnt(6)
	v_wmma_f32_16x16x16_bf16 v[129:136], v[41:48], v[81:88], v[129:136]
	ds_load_b128 v[45:48], v144 offset:14352
	ds_load_b128 v[41:44], v144 offset:14336
	s_waitcnt lgkmcnt(6)
	;; [unrolled: 4-line block ×3, first 2 shown]
	v_wmma_f32_16x16x16_bf16 v[129:136], v[1:8], v[57:64], v[129:136]
	s_waitcnt lgkmcnt(4)
	s_delay_alu instid0(VALU_DEP_1) | instskip(SKIP_1) | instid1(VALU_DEP_1)
	v_wmma_f32_16x16x16_bf16 v[129:136], v[25:32], v[49:56], v[129:136]
	s_waitcnt lgkmcnt(2)
	v_wmma_f32_16x16x16_bf16 v[129:136], v[33:40], v[41:48], v[129:136]
	s_waitcnt lgkmcnt(0)
	s_delay_alu instid0(VALU_DEP_1) | instskip(NEXT) | instid1(VALU_DEP_1)
	v_wmma_f32_16x16x16_bf16 v[129:136], v[9:16], v[17:24], v[129:136]
	v_and_b32_e32 v1, 0x7f800000, v129
	s_delay_alu instid0(VALU_DEP_1) | instskip(SKIP_1) | instid1(SALU_CYCLE_1)
	v_cmp_ne_u32_e32 vcc_lo, 0x7f800000, v1
                                        ; implicit-def: $vgpr1
	s_and_saveexec_b32 s2, vcc_lo
	s_xor_b32 s2, exec_lo, s2
; %bb.79:
	v_bfe_u32 v1, v129, 16, 1
	s_delay_alu instid0(VALU_DEP_1)
	v_add3_u32 v1, v129, v1, 0x7fff
; %bb.80:
	s_and_not1_saveexec_b32 s2, s2
; %bb.81:
	v_and_b32_e32 v1, 0xffff, v129
	v_or_b32_e32 v2, 0x10000, v129
	s_delay_alu instid0(VALU_DEP_2) | instskip(NEXT) | instid1(VALU_DEP_2)
	v_cmp_eq_u32_e32 vcc_lo, 0, v1
	v_cndmask_b32_e32 v1, v2, v129, vcc_lo
; %bb.82:
	s_or_b32 exec_lo, exec_lo, s2
	v_and_b32_e32 v2, 0x7f800000, v130
	s_delay_alu instid0(VALU_DEP_1) | instskip(SKIP_1) | instid1(SALU_CYCLE_1)
	v_cmp_ne_u32_e32 vcc_lo, 0x7f800000, v2
                                        ; implicit-def: $vgpr2
	s_and_saveexec_b32 s2, vcc_lo
	s_xor_b32 s2, exec_lo, s2
; %bb.83:
	v_bfe_u32 v2, v130, 16, 1
	s_delay_alu instid0(VALU_DEP_1)
	v_add3_u32 v2, v130, v2, 0x7fff
; %bb.84:
	s_and_not1_saveexec_b32 s2, s2
; %bb.85:
	v_and_b32_e32 v2, 0xffff, v130
	v_or_b32_e32 v3, 0x10000, v130
	s_delay_alu instid0(VALU_DEP_2) | instskip(NEXT) | instid1(VALU_DEP_2)
	v_cmp_eq_u32_e32 vcc_lo, 0, v2
	v_cndmask_b32_e32 v2, v3, v130, vcc_lo
; %bb.86:
	s_or_b32 exec_lo, exec_lo, s2
	v_and_b32_e32 v3, 0x7f800000, v131
	s_delay_alu instid0(VALU_DEP_1) | instskip(SKIP_1) | instid1(SALU_CYCLE_1)
	v_cmp_ne_u32_e32 vcc_lo, 0x7f800000, v3
                                        ; implicit-def: $vgpr3
	s_and_saveexec_b32 s2, vcc_lo
	s_xor_b32 s2, exec_lo, s2
; %bb.87:
	v_bfe_u32 v3, v131, 16, 1
	s_delay_alu instid0(VALU_DEP_1)
	v_add3_u32 v3, v131, v3, 0x7fff
; %bb.88:
	s_and_not1_saveexec_b32 s2, s2
; %bb.89:
	v_and_b32_e32 v3, 0xffff, v131
	v_or_b32_e32 v4, 0x10000, v131
	s_delay_alu instid0(VALU_DEP_2) | instskip(NEXT) | instid1(VALU_DEP_2)
	v_cmp_eq_u32_e32 vcc_lo, 0, v3
	v_cndmask_b32_e32 v3, v4, v131, vcc_lo
; %bb.90:
	s_or_b32 exec_lo, exec_lo, s2
	v_and_b32_e32 v4, 0x7f800000, v132
	s_delay_alu instid0(VALU_DEP_1) | instskip(SKIP_1) | instid1(SALU_CYCLE_1)
	v_cmp_ne_u32_e32 vcc_lo, 0x7f800000, v4
                                        ; implicit-def: $vgpr4
	s_and_saveexec_b32 s2, vcc_lo
	s_xor_b32 s2, exec_lo, s2
; %bb.91:
	v_bfe_u32 v4, v132, 16, 1
	s_delay_alu instid0(VALU_DEP_1)
	v_add3_u32 v4, v132, v4, 0x7fff
; %bb.92:
	s_and_not1_saveexec_b32 s2, s2
; %bb.93:
	v_and_b32_e32 v4, 0xffff, v132
	v_or_b32_e32 v5, 0x10000, v132
	s_delay_alu instid0(VALU_DEP_2) | instskip(NEXT) | instid1(VALU_DEP_2)
	v_cmp_eq_u32_e32 vcc_lo, 0, v4
	v_cndmask_b32_e32 v4, v5, v132, vcc_lo
; %bb.94:
	s_or_b32 exec_lo, exec_lo, s2
	v_and_b32_e32 v5, 0x7f800000, v133
	s_delay_alu instid0(VALU_DEP_1) | instskip(SKIP_1) | instid1(SALU_CYCLE_1)
	v_cmp_ne_u32_e32 vcc_lo, 0x7f800000, v5
                                        ; implicit-def: $vgpr5
	s_and_saveexec_b32 s2, vcc_lo
	s_xor_b32 s2, exec_lo, s2
; %bb.95:
	v_bfe_u32 v5, v133, 16, 1
	s_delay_alu instid0(VALU_DEP_1)
	v_add3_u32 v5, v133, v5, 0x7fff
; %bb.96:
	s_and_not1_saveexec_b32 s2, s2
; %bb.97:
	v_and_b32_e32 v5, 0xffff, v133
	v_or_b32_e32 v6, 0x10000, v133
	s_delay_alu instid0(VALU_DEP_2) | instskip(NEXT) | instid1(VALU_DEP_2)
	v_cmp_eq_u32_e32 vcc_lo, 0, v5
	v_cndmask_b32_e32 v5, v6, v133, vcc_lo
; %bb.98:
	s_or_b32 exec_lo, exec_lo, s2
	v_and_b32_e32 v6, 0x7f800000, v134
	s_delay_alu instid0(VALU_DEP_1) | instskip(SKIP_1) | instid1(SALU_CYCLE_1)
	v_cmp_ne_u32_e32 vcc_lo, 0x7f800000, v6
                                        ; implicit-def: $vgpr6
	s_and_saveexec_b32 s2, vcc_lo
	s_xor_b32 s2, exec_lo, s2
; %bb.99:
	v_bfe_u32 v6, v134, 16, 1
	s_delay_alu instid0(VALU_DEP_1)
	v_add3_u32 v6, v134, v6, 0x7fff
; %bb.100:
	s_and_not1_saveexec_b32 s2, s2
; %bb.101:
	v_and_b32_e32 v6, 0xffff, v134
	v_or_b32_e32 v7, 0x10000, v134
	s_delay_alu instid0(VALU_DEP_2) | instskip(NEXT) | instid1(VALU_DEP_2)
	v_cmp_eq_u32_e32 vcc_lo, 0, v6
	v_cndmask_b32_e32 v6, v7, v134, vcc_lo
; %bb.102:
	s_or_b32 exec_lo, exec_lo, s2
	v_and_b32_e32 v7, 0x7f800000, v135
	s_delay_alu instid0(VALU_DEP_1) | instskip(SKIP_1) | instid1(SALU_CYCLE_1)
	v_cmp_ne_u32_e32 vcc_lo, 0x7f800000, v7
                                        ; implicit-def: $vgpr7
	s_and_saveexec_b32 s2, vcc_lo
	s_xor_b32 s2, exec_lo, s2
; %bb.103:
	v_bfe_u32 v7, v135, 16, 1
	s_delay_alu instid0(VALU_DEP_1)
	v_add3_u32 v7, v135, v7, 0x7fff
; %bb.104:
	s_and_not1_saveexec_b32 s2, s2
; %bb.105:
	v_and_b32_e32 v7, 0xffff, v135
	v_or_b32_e32 v8, 0x10000, v135
	s_delay_alu instid0(VALU_DEP_2) | instskip(NEXT) | instid1(VALU_DEP_2)
	v_cmp_eq_u32_e32 vcc_lo, 0, v7
	v_cndmask_b32_e32 v7, v8, v135, vcc_lo
; %bb.106:
	s_or_b32 exec_lo, exec_lo, s2
	v_and_b32_e32 v8, 0x7f800000, v136
	s_delay_alu instid0(VALU_DEP_1) | instskip(SKIP_1) | instid1(SALU_CYCLE_1)
	v_cmp_ne_u32_e32 vcc_lo, 0x7f800000, v8
                                        ; implicit-def: $vgpr8
	s_and_saveexec_b32 s2, vcc_lo
	s_xor_b32 s2, exec_lo, s2
; %bb.107:
	v_bfe_u32 v8, v136, 16, 1
	s_delay_alu instid0(VALU_DEP_1)
	v_add3_u32 v8, v136, v8, 0x7fff
                                        ; implicit-def: $vgpr129_vgpr130_vgpr131_vgpr132_vgpr133_vgpr134_vgpr135_vgpr136
; %bb.108:
	s_and_not1_saveexec_b32 s2, s2
; %bb.109:
	v_and_b32_e32 v8, 0xffff, v136
	v_or_b32_e32 v9, 0x10000, v136
	s_delay_alu instid0(VALU_DEP_2) | instskip(NEXT) | instid1(VALU_DEP_2)
	v_cmp_eq_u32_e32 vcc_lo, 0, v8
	v_cndmask_b32_e32 v8, v9, v136, vcc_lo
; %bb.110:
	s_or_b32 exec_lo, exec_lo, s2
	s_delay_alu instid0(VALU_DEP_1)
	v_perm_b32 v7, v8, v7, 0x7060302
	v_perm_b32 v6, v6, v5, 0x7060302
	;; [unrolled: 1-line block ×4, first 2 shown]
	v_lshl_or_b32 v9, v138, 4, v145
	s_barrier
	buffer_gl0_inv
	v_cmp_eq_u32_e32 vcc_lo, 1, v142
	ds_store_b128 v9, v[4:7]
	s_waitcnt lgkmcnt(0)
	s_barrier
	buffer_gl0_inv
	ds_load_b128 v[1:4], v145
	ds_load_b128 v[5:8], v145 offset:16
	v_cmp_eq_u32_e64 s3, 2, v142
	v_cmp_eq_u32_e64 s2, 1, v143
	v_cmp_eq_u32_e64 s4, 3, v142
	v_cmp_eq_u32_e64 s6, 2, v141
	v_cmp_eq_u32_e64 s5, 7, v143
	s_waitcnt lgkmcnt(1)
	v_lshrrev_b32_e32 v10, 16, v1
	s_waitcnt lgkmcnt(0)
	v_lshrrev_b32_e32 v14, 16, v5
	v_lshrrev_b32_e32 v15, 16, v6
	;; [unrolled: 1-line block ×4, first 2 shown]
	v_cndmask_b32_e64 v20, v1, v10, s2
	v_cndmask_b32_e32 v19, v5, v14, vcc_lo
	v_cndmask_b32_e64 v21, v5, v14, s2
	v_lshrrev_b32_e32 v16, 16, v7
	v_cmp_eq_u32_e64 s2, 1, v141
	v_lshrrev_b32_e32 v13, 16, v4
	v_cndmask_b32_e64 v19, v19, v6, s3
	v_lshrrev_b32_e32 v17, 16, v8
	s_delay_alu instid0(VALU_DEP_4) | instskip(SKIP_1) | instid1(VALU_DEP_4)
	v_cndmask_b32_e64 v22, v1, v10, s2
	v_cndmask_b32_e64 v23, v5, v14, s2
	;; [unrolled: 1-line block ×3, first 2 shown]
	v_cndmask_b32_e32 v18, v1, v10, vcc_lo
	v_cmp_eq_u32_e32 vcc_lo, 2, v143
	v_cmp_eq_u32_e64 s2, 2, v146
	v_cndmask_b32_e64 v22, v22, v2, s6
	v_cndmask_b32_e32 v20, v20, v2, vcc_lo
	v_cndmask_b32_e32 v21, v21, v6, vcc_lo
	v_cmp_eq_u32_e32 vcc_lo, 4, v142
	v_cndmask_b32_e32 v19, v19, v7, vcc_lo
	v_cndmask_b32_e64 v18, v18, v2, s3
	v_cmp_eq_u32_e64 s3, 3, v143
	s_delay_alu instid0(VALU_DEP_2) | instskip(NEXT) | instid1(VALU_DEP_2)
	v_cndmask_b32_e64 v18, v18, v11, s4
	v_cndmask_b32_e64 v21, v21, v15, s3
	v_cmp_eq_u32_e64 s4, 5, v142
	s_delay_alu instid0(VALU_DEP_3) | instskip(SKIP_1) | instid1(VALU_DEP_3)
	v_cndmask_b32_e32 v18, v18, v3, vcc_lo
	v_cmp_eq_u32_e32 vcc_lo, 4, v143
	v_cndmask_b32_e64 v19, v19, v16, s4
	s_delay_alu instid0(VALU_DEP_3) | instskip(SKIP_4) | instid1(VALU_DEP_3)
	v_cndmask_b32_e64 v18, v18, v12, s4
	v_cndmask_b32_e32 v21, v21, v7, vcc_lo
	v_cndmask_b32_e64 v20, v20, v11, s3
	v_cmp_eq_u32_e64 s3, 5, v143
	v_cmp_eq_u32_e64 s4, 6, v142
	v_cndmask_b32_e32 v20, v20, v3, vcc_lo
	s_delay_alu instid0(VALU_DEP_3) | instskip(SKIP_1) | instid1(VALU_DEP_4)
	v_cndmask_b32_e64 v21, v21, v16, s3
	v_cmp_eq_u32_e32 vcc_lo, 6, v143
	v_cndmask_b32_e64 v18, v18, v4, s4
	v_cndmask_b32_e64 v19, v19, v8, s4
	;; [unrolled: 1-line block ×3, first 2 shown]
	v_cmp_eq_u32_e64 s3, 1, v146
	v_cmp_eq_u32_e64 s4, 7, v142
	s_delay_alu instid0(VALU_DEP_3) | instskip(NEXT) | instid1(VALU_DEP_3)
	v_cndmask_b32_e32 v20, v20, v4, vcc_lo
	v_cndmask_b32_e64 v1, v1, v10, s3
	v_cndmask_b32_e64 v5, v5, v14, s3
	v_cmp_eq_u32_e64 s3, 3, v141
	v_cndmask_b32_e64 v14, v23, v6, s6
	v_cmp_eq_u32_e64 s6, 3, v146
	v_cndmask_b32_e64 v1, v1, v2, s2
	v_cndmask_b32_e64 v2, v5, v6, s2
	;; [unrolled: 1-line block ×3, first 2 shown]
	v_cmp_eq_u32_e64 s2, 4, v141
	v_cndmask_b32_e64 v6, v14, v15, s3
	v_cndmask_b32_e64 v1, v1, v11, s6
	v_cmp_eq_u32_e64 s3, 4, v146
	v_cndmask_b32_e64 v2, v2, v15, s6
	v_cndmask_b32_e64 v5, v10, v3, s2
	;; [unrolled: 3-line block ×3, first 2 shown]
	v_cndmask_b32_e64 v2, v2, v7, s3
	v_cmp_eq_u32_e64 s2, 5, v146
	v_cndmask_b32_e64 v5, v5, v12, s6
	v_cmp_eq_u32_e64 s3, 6, v141
	v_cndmask_b32_e64 v3, v6, v16, s6
	v_cmp_eq_u32_e64 s6, 6, v146
	v_cndmask_b32_e64 v1, v1, v12, s2
	v_cndmask_b32_e64 v2, v2, v16, s2
	;; [unrolled: 1-line block ×4, first 2 shown]
	v_cmp_eq_u32_e64 s2, 7, v146
	v_cndmask_b32_e64 v1, v1, v4, s6
	v_cndmask_b32_e64 v2, v2, v8, s6
	v_cmp_eq_u32_e64 s3, 7, v141
	v_cndmask_b32_e32 v4, v21, v8, vcc_lo
	v_cndmask_b32_e64 v18, v18, v13, s4
	v_cndmask_b32_e64 v20, v20, v13, s5
	;; [unrolled: 1-line block ×8, first 2 shown]
	s_mov_b32 s2, exec_lo
	v_perm_b32 v4, v2, v1, 0x5040100
	v_perm_b32 v3, v3, v5, 0x5040100
	;; [unrolled: 1-line block ×4, first 2 shown]
	ds_store_b128 v9, v[1:4]
	s_waitcnt lgkmcnt(0)
	s_barrier
	buffer_gl0_inv
	v_cmpx_gt_u32_e32 32, v0
	s_cbranch_execz .LBB589_2
; %bb.111:
	s_load_b64 s[0:1], s[0:1], 0x68
	v_lshlrev_b32_e32 v0, 10, v0
	s_lshl_b32 s4, s34, 7
	v_or_b32_e32 v3, s29, v138
	s_mul_i32 s2, s4, s30
	v_lshlrev_b32_e32 v1, 4, v139
	s_mul_i32 s2, s2, s7
	v_lshlrev_b32_e32 v2, 6, v138
	v_and_b32_e32 v0, 0x3800, v0
	s_ashr_i32 s3, s2, 31
	v_mul_lo_u32 v4, v3, s4
	s_lshl_b64 s[2:3], s[2:3], 1
	s_delay_alu instid0(VALU_DEP_2) | instskip(NEXT) | instid1(VALU_DEP_2)
	v_or3_b32 v16, v0, v1, v2
	v_ashrrev_i32_e32 v5, 31, v4
	ds_load_b128 v[0:3], v16
	s_waitcnt lgkmcnt(0)
	s_add_u32 s2, s0, s2
	s_addc_u32 s3, s1, s3
	s_lshl_b32 s0, s14, 7
	v_lshlrev_b64 v[5:6], 1, v[4:5]
	s_ashr_i32 s1, s0, 31
	s_delay_alu instid0(SALU_CYCLE_1) | instskip(NEXT) | instid1(SALU_CYCLE_1)
	s_lshl_b64 s[0:1], s[0:1], 1
	s_add_u32 s0, s2, s0
	s_addc_u32 s1, s3, s1
	s_lshl_b32 s2, s34, 8
	v_add_co_u32 v30, s0, s0, v137
	v_add_nc_u32_e32 v8, s2, v4
	v_add_co_ci_u32_e64 v31, null, s1, 0, s0
	s_delay_alu instid0(VALU_DEP_3) | instskip(NEXT) | instid1(VALU_DEP_3)
	v_add_co_u32 v12, vcc_lo, v30, v5
	v_add_nc_u32_e32 v10, s2, v8
	v_ashrrev_i32_e32 v9, 31, v8
	s_delay_alu instid0(VALU_DEP_4)
	v_add_co_ci_u32_e32 v13, vcc_lo, v31, v6, vcc_lo
	ds_load_b128 v[4:7], v16 offset:128
	v_ashrrev_i32_e32 v11, 31, v10
	v_lshlrev_b64 v[8:9], 1, v[8:9]
	v_add_nc_u32_e32 v14, s2, v10
	global_store_b128 v[12:13], v[0:3], off
	v_lshlrev_b64 v[0:1], 1, v[10:11]
	v_ashrrev_i32_e32 v15, 31, v14
	v_add_co_u32 v22, vcc_lo, v30, v8
	v_add_nc_u32_e32 v20, s2, v14
	v_add_co_ci_u32_e32 v23, vcc_lo, v31, v9, vcc_lo
	v_add_co_u32 v26, vcc_lo, v30, v0
	v_lshlrev_b64 v[24:25], 1, v[14:15]
	v_add_co_ci_u32_e32 v27, vcc_lo, v31, v1, vcc_lo
	ds_load_b128 v[0:3], v16 offset:256
	ds_load_b128 v[8:11], v16 offset:384
	;; [unrolled: 1-line block ×4, first 2 shown]
	v_add_nc_u32_e32 v28, s2, v20
	v_ashrrev_i32_e32 v21, 31, v20
	v_add_co_u32 v24, vcc_lo, v30, v24
	v_add_co_ci_u32_e32 v25, vcc_lo, v31, v25, vcc_lo
	s_delay_alu instid0(VALU_DEP_4) | instskip(NEXT) | instid1(VALU_DEP_4)
	v_ashrrev_i32_e32 v29, 31, v28
	v_lshlrev_b64 v[20:21], 1, v[20:21]
	s_delay_alu instid0(VALU_DEP_2) | instskip(NEXT) | instid1(VALU_DEP_2)
	v_lshlrev_b64 v[28:29], 1, v[28:29]
	v_add_co_u32 v20, vcc_lo, v30, v20
	s_delay_alu instid0(VALU_DEP_3) | instskip(NEXT) | instid1(VALU_DEP_3)
	v_add_co_ci_u32_e32 v21, vcc_lo, v31, v21, vcc_lo
	v_add_co_u32 v28, vcc_lo, v30, v28
	s_delay_alu instid0(VALU_DEP_4)
	v_add_co_ci_u32_e32 v29, vcc_lo, v31, v29, vcc_lo
	s_waitcnt lgkmcnt(4)
	global_store_b128 v[22:23], v[4:7], off
	s_waitcnt lgkmcnt(3)
	global_store_b128 v[26:27], v[0:3], off
	;; [unrolled: 2-line block ×5, first 2 shown]
	s_nop 0
	s_sendmsg sendmsg(MSG_DEALLOC_VGPRS)
	s_endpgm
	.section	.rodata,"a",@progbits
	.p2align	6, 0x0
	.amdhsa_kernel _Z39paged_attention_ll4mi_QKV_mfma16_kernelI14__hip_bfloat16S0_LN4vllm18Fp8KVCacheDataTypeE0EhLi16ELi128ELi256ELb1ELi12EL8MFMAType0EEvPKT_PKT0_S9_ifPKiSB_SB_iPKfiiiPfSE_PS4_PT2_iSD_SD_
		.amdhsa_group_segment_fixed_size 17472
		.amdhsa_private_segment_fixed_size 0
		.amdhsa_kernarg_size 400
		.amdhsa_user_sgpr_count 13
		.amdhsa_user_sgpr_dispatch_ptr 0
		.amdhsa_user_sgpr_queue_ptr 0
		.amdhsa_user_sgpr_kernarg_segment_ptr 1
		.amdhsa_user_sgpr_dispatch_id 0
		.amdhsa_user_sgpr_private_segment_size 0
		.amdhsa_wavefront_size32 1
		.amdhsa_uses_dynamic_stack 0
		.amdhsa_enable_private_segment 0
		.amdhsa_system_sgpr_workgroup_id_x 1
		.amdhsa_system_sgpr_workgroup_id_y 1
		.amdhsa_system_sgpr_workgroup_id_z 1
		.amdhsa_system_sgpr_workgroup_info 0
		.amdhsa_system_vgpr_workitem_id 0
		.amdhsa_next_free_vgpr 218
		.amdhsa_next_free_sgpr 50
		.amdhsa_reserve_vcc 1
		.amdhsa_float_round_mode_32 0
		.amdhsa_float_round_mode_16_64 0
		.amdhsa_float_denorm_mode_32 3
		.amdhsa_float_denorm_mode_16_64 3
		.amdhsa_dx10_clamp 1
		.amdhsa_ieee_mode 1
		.amdhsa_fp16_overflow 0
		.amdhsa_workgroup_processor_mode 1
		.amdhsa_memory_ordered 1
		.amdhsa_forward_progress 0
		.amdhsa_shared_vgpr_count 0
		.amdhsa_exception_fp_ieee_invalid_op 0
		.amdhsa_exception_fp_denorm_src 0
		.amdhsa_exception_fp_ieee_div_zero 0
		.amdhsa_exception_fp_ieee_overflow 0
		.amdhsa_exception_fp_ieee_underflow 0
		.amdhsa_exception_fp_ieee_inexact 0
		.amdhsa_exception_int_div_zero 0
	.end_amdhsa_kernel
	.section	.text._Z39paged_attention_ll4mi_QKV_mfma16_kernelI14__hip_bfloat16S0_LN4vllm18Fp8KVCacheDataTypeE0EhLi16ELi128ELi256ELb1ELi12EL8MFMAType0EEvPKT_PKT0_S9_ifPKiSB_SB_iPKfiiiPfSE_PS4_PT2_iSD_SD_,"axG",@progbits,_Z39paged_attention_ll4mi_QKV_mfma16_kernelI14__hip_bfloat16S0_LN4vllm18Fp8KVCacheDataTypeE0EhLi16ELi128ELi256ELb1ELi12EL8MFMAType0EEvPKT_PKT0_S9_ifPKiSB_SB_iPKfiiiPfSE_PS4_PT2_iSD_SD_,comdat
.Lfunc_end589:
	.size	_Z39paged_attention_ll4mi_QKV_mfma16_kernelI14__hip_bfloat16S0_LN4vllm18Fp8KVCacheDataTypeE0EhLi16ELi128ELi256ELb1ELi12EL8MFMAType0EEvPKT_PKT0_S9_ifPKiSB_SB_iPKfiiiPfSE_PS4_PT2_iSD_SD_, .Lfunc_end589-_Z39paged_attention_ll4mi_QKV_mfma16_kernelI14__hip_bfloat16S0_LN4vllm18Fp8KVCacheDataTypeE0EhLi16ELi128ELi256ELb1ELi12EL8MFMAType0EEvPKT_PKT0_S9_ifPKiSB_SB_iPKfiiiPfSE_PS4_PT2_iSD_SD_
                                        ; -- End function
	.section	.AMDGPU.csdata,"",@progbits
; Kernel info:
; codeLenInByte = 10344
; NumSgprs: 52
; NumVgprs: 218
; ScratchSize: 0
; MemoryBound: 0
; FloatMode: 240
; IeeeMode: 1
; LDSByteSize: 17472 bytes/workgroup (compile time only)
; SGPRBlocks: 6
; VGPRBlocks: 27
; NumSGPRsForWavesPerEU: 52
; NumVGPRsForWavesPerEU: 218
; Occupancy: 6
; WaveLimiterHint : 1
; COMPUTE_PGM_RSRC2:SCRATCH_EN: 0
; COMPUTE_PGM_RSRC2:USER_SGPR: 13
; COMPUTE_PGM_RSRC2:TRAP_HANDLER: 0
; COMPUTE_PGM_RSRC2:TGID_X_EN: 1
; COMPUTE_PGM_RSRC2:TGID_Y_EN: 1
; COMPUTE_PGM_RSRC2:TGID_Z_EN: 1
; COMPUTE_PGM_RSRC2:TIDIG_COMP_CNT: 0
	.section	.text._Z39paged_attention_ll4mi_QKV_mfma16_kernelI14__hip_bfloat16S0_LN4vllm18Fp8KVCacheDataTypeE0EhLi16ELi128ELi256ELb1ELi13EL8MFMAType0EEvPKT_PKT0_S9_ifPKiSB_SB_iPKfiiiPfSE_PS4_PT2_iSD_SD_,"axG",@progbits,_Z39paged_attention_ll4mi_QKV_mfma16_kernelI14__hip_bfloat16S0_LN4vllm18Fp8KVCacheDataTypeE0EhLi16ELi128ELi256ELb1ELi13EL8MFMAType0EEvPKT_PKT0_S9_ifPKiSB_SB_iPKfiiiPfSE_PS4_PT2_iSD_SD_,comdat
	.protected	_Z39paged_attention_ll4mi_QKV_mfma16_kernelI14__hip_bfloat16S0_LN4vllm18Fp8KVCacheDataTypeE0EhLi16ELi128ELi256ELb1ELi13EL8MFMAType0EEvPKT_PKT0_S9_ifPKiSB_SB_iPKfiiiPfSE_PS4_PT2_iSD_SD_ ; -- Begin function _Z39paged_attention_ll4mi_QKV_mfma16_kernelI14__hip_bfloat16S0_LN4vllm18Fp8KVCacheDataTypeE0EhLi16ELi128ELi256ELb1ELi13EL8MFMAType0EEvPKT_PKT0_S9_ifPKiSB_SB_iPKfiiiPfSE_PS4_PT2_iSD_SD_
	.globl	_Z39paged_attention_ll4mi_QKV_mfma16_kernelI14__hip_bfloat16S0_LN4vllm18Fp8KVCacheDataTypeE0EhLi16ELi128ELi256ELb1ELi13EL8MFMAType0EEvPKT_PKT0_S9_ifPKiSB_SB_iPKfiiiPfSE_PS4_PT2_iSD_SD_
	.p2align	8
	.type	_Z39paged_attention_ll4mi_QKV_mfma16_kernelI14__hip_bfloat16S0_LN4vllm18Fp8KVCacheDataTypeE0EhLi16ELi128ELi256ELb1ELi13EL8MFMAType0EEvPKT_PKT0_S9_ifPKiSB_SB_iPKfiiiPfSE_PS4_PT2_iSD_SD_,@function
_Z39paged_attention_ll4mi_QKV_mfma16_kernelI14__hip_bfloat16S0_LN4vllm18Fp8KVCacheDataTypeE0EhLi16ELi128ELi256ELb1ELi13EL8MFMAType0EEvPKT_PKT0_S9_ifPKiSB_SB_iPKfiiiPfSE_PS4_PT2_iSD_SD_: ; @_Z39paged_attention_ll4mi_QKV_mfma16_kernelI14__hip_bfloat16S0_LN4vllm18Fp8KVCacheDataTypeE0EhLi16ELi128ELi256ELb1ELi13EL8MFMAType0EEvPKT_PKT0_S9_ifPKiSB_SB_iPKfiiiPfSE_PS4_PT2_iSD_SD_
; %bb.0:
	s_load_b64 s[4:5], s[0:1], 0x30
	s_mov_b32 s30, s13
	s_waitcnt lgkmcnt(0)
	s_cmp_lg_u64 s[4:5], 0
	s_cselect_b32 s8, -1, 0
	s_ashr_i32 s31, s13, 31
	s_cmp_eq_u64 s[4:5], 0
	s_cbranch_scc1 .LBB590_3
; %bb.1:
	s_lshl_b64 s[2:3], s[30:31], 2
	s_delay_alu instid0(SALU_CYCLE_1) | instskip(SKIP_4) | instid1(SALU_CYCLE_1)
	s_add_u32 s2, s4, s2
	s_addc_u32 s3, s5, s3
	s_load_b64 s[2:3], s[2:3], 0x0
	s_waitcnt lgkmcnt(0)
	s_sub_i32 s2, s3, s2
	s_cmp_eq_u32 s2, 1
	s_cselect_b32 s2, -1, 0
	s_delay_alu instid0(SALU_CYCLE_1)
	s_and_not1_b32 vcc_lo, exec_lo, s2
	s_cbranch_vccz .LBB590_4
.LBB590_2:
	s_nop 0
	s_sendmsg sendmsg(MSG_DEALLOC_VGPRS)
	s_endpgm
.LBB590_3:
.LBB590_4:
	s_load_b64 s[2:3], s[0:1], 0x28
	s_lshl_b64 s[6:7], s[30:31], 2
	s_waitcnt lgkmcnt(0)
	s_add_u32 s2, s2, s6
	s_addc_u32 s3, s3, s7
	s_lshl_b32 s29, s14, 8
	s_load_b32 s28, s[2:3], 0x0
	s_waitcnt lgkmcnt(0)
	s_cmp_ge_i32 s29, s28
	s_cbranch_scc1 .LBB590_2
; %bb.5:
	s_clause 0x1
	s_load_b128 s[20:23], s[0:1], 0x8
	s_load_b64 s[2:3], s[0:1], 0x20
	s_and_not1_b32 vcc_lo, exec_lo, s8
	s_cbranch_vccnz .LBB590_7
; %bb.6:
	s_add_u32 s4, s4, s6
	s_addc_u32 s5, s5, s7
	s_load_b32 s5, s[4:5], 0x0
	s_branch .LBB590_8
.LBB590_7:
	s_mov_b32 s5, s30
.LBB590_8:
	s_load_b128 s[16:19], s[0:1], 0x48
	v_and_b32_e32 v140, 15, v0
	v_lshrrev_b32_e32 v141, 5, v0
	v_bfe_u32 v138, v0, 4, 1
	v_and_b32_e32 v142, 31, v0
	v_and_b32_e32 v139, 1, v0
	v_lshlrev_b32_e32 v2, 3, v140
	s_mul_i32 s31, s15, 13
	v_lshl_or_b32 v1, v141, 1, v138
	s_mov_b32 s4, exec_lo
	s_delay_alu instid0(VALU_DEP_2) | instskip(NEXT) | instid1(VALU_DEP_2)
	v_lshlrev_b32_e32 v137, 1, v2
	v_cmpx_gt_u32_e32 13, v1
	s_cbranch_execz .LBB590_10
; %bb.9:
	s_load_b64 s[6:7], s[0:1], 0x0
	v_add_lshl_u32 v2, v1, s31, 7
	s_waitcnt lgkmcnt(0)
	s_mul_hi_i32 s9, s5, s16
	s_mul_i32 s8, s5, s16
	v_lshlrev_b32_e32 v6, 10, v140
	s_lshl_b64 s[8:9], s[8:9], 1
	v_ashrrev_i32_e32 v3, 31, v2
	v_lshlrev_b32_e32 v1, 6, v1
	v_lshlrev_b32_e32 v7, 10, v139
	v_and_b32_e32 v6, 0x3800, v6
	s_delay_alu instid0(VALU_DEP_4) | instskip(NEXT) | instid1(VALU_DEP_2)
	v_lshlrev_b64 v[2:3], 1, v[2:3]
	v_or3_b32 v1, v6, v7, v1
	s_add_u32 s5, s6, s8
	s_addc_u32 s6, s7, s9
	s_delay_alu instid0(VALU_DEP_2) | instskip(NEXT) | instid1(VALU_DEP_3)
	v_add_co_u32 v2, vcc_lo, s5, v2
	v_add_co_ci_u32_e32 v3, vcc_lo, s6, v3, vcc_lo
	s_delay_alu instid0(VALU_DEP_2) | instskip(NEXT) | instid1(VALU_DEP_2)
	v_add_co_u32 v2, vcc_lo, v2, v137
	v_add_co_ci_u32_e32 v3, vcc_lo, 0, v3, vcc_lo
	global_load_b128 v[2:5], v[2:3], off
	s_waitcnt vmcnt(0)
	ds_store_b128 v1, v[2:5]
.LBB590_10:
	s_or_b32 exec_lo, exec_lo, s4
	v_and_b32_e32 v1, 0xef, v0
	s_waitcnt lgkmcnt(0)
	s_add_i32 s5, s28, 15
	s_clause 0x1
	s_load_b32 s4, s[0:1], 0x38
	s_load_b32 s33, s[0:1], 0x1c
	s_ashr_i32 s6, s5, 31
	v_add_nc_u32_e32 v1, s29, v1
	s_lshr_b32 s6, s6, 28
	s_waitcnt lgkmcnt(0)
	s_add_i32 s5, s5, s6
	s_barrier
	v_ashrrev_i32_e32 v2, 31, v1
	v_cmp_gt_i32_e32 vcc_lo, s28, v1
	s_ashr_i32 s16, s5, 4
	buffer_gl0_inv
	s_add_i32 s16, s16, -1
	v_lshrrev_b32_e32 v3, 28, v2
	v_or_b32_e32 v2, 16, v1
	v_add_nc_u32_e32 v105, -13, v140
	v_lshlrev_b32_e32 v106, 5, v140
	s_delay_alu instid0(VALU_DEP_4) | instskip(NEXT) | instid1(VALU_DEP_4)
	v_add_nc_u32_e32 v4, v1, v3
	v_add_nc_u32_e32 v3, v2, v3
	s_mul_i32 s4, s30, s4
	s_delay_alu instid0(VALU_DEP_3) | instskip(SKIP_4) | instid1(SALU_CYCLE_1)
	v_lshl_or_b32 v125, v141, 9, v106
	s_ashr_i32 s5, s4, 31
	v_ashrrev_i32_e32 v4, 4, v4
	v_ashrrev_i32_e32 v3, 4, v3
	s_lshl_b64 s[4:5], s[4:5], 2
	s_add_u32 s34, s2, s4
	s_delay_alu instid0(VALU_DEP_2) | instskip(SKIP_3) | instid1(VALU_DEP_2)
	v_cndmask_b32_e32 v1, s16, v4, vcc_lo
	v_cmp_gt_i32_e32 vcc_lo, s28, v2
	s_addc_u32 s35, s3, s5
	s_mul_i32 s2, s15, s18
	v_ashrrev_i32_e32 v2, 31, v1
	v_cndmask_b32_e32 v3, s16, v3, vcc_lo
	s_ashr_i32 s3, s2, 31
	s_delay_alu instid0(SALU_CYCLE_1) | instskip(NEXT) | instid1(VALU_DEP_2)
	s_lshl_b64 s[2:3], s[2:3], 1
	v_lshlrev_b64 v[1:2], 2, v[1:2]
	s_delay_alu instid0(VALU_DEP_2) | instskip(SKIP_3) | instid1(VALU_DEP_1)
	v_ashrrev_i32_e32 v4, 31, v3
	s_add_u32 s24, s20, s2
	s_addc_u32 s25, s21, s3
	s_lshl_b32 s4, s14, 4
	v_lshlrev_b64 v[3:4], 2, v[3:4]
	v_add_co_u32 v1, vcc_lo, s34, v1
	v_add_co_ci_u32_e32 v2, vcc_lo, s35, v2, vcc_lo
	s_ashr_i32 s5, s4, 31
	s_delay_alu instid0(VALU_DEP_3) | instskip(NEXT) | instid1(VALU_DEP_4)
	v_add_co_u32 v3, vcc_lo, s34, v3
	v_add_co_ci_u32_e32 v4, vcc_lo, s35, v4, vcc_lo
	s_lshl_b64 s[4:5], s[4:5], 2
	s_clause 0x1
	global_load_b32 v5, v[1:2], off
	global_load_b32 v6, v[3:4], off
	s_add_u32 s4, s34, s4
	s_addc_u32 s5, s35, s5
	s_or_b32 s6, s29, 16
	v_lshlrev_b32_e32 v3, 4, v0
	s_ashr_i32 s7, s6, 4
	s_cmp_lt_i32 s6, s28
	s_cselect_b32 s6, s7, s16
	s_delay_alu instid0(SALU_CYCLE_1) | instskip(NEXT) | instid1(SALU_CYCLE_1)
	s_ashr_i32 s7, s6, 31
	s_lshl_b64 s[6:7], s[6:7], 2
	s_delay_alu instid0(SALU_CYCLE_1) | instskip(SKIP_2) | instid1(SALU_CYCLE_1)
	s_add_u32 s6, s34, s6
	s_addc_u32 s7, s35, s7
	s_or_b32 s8, s29, 32
	s_ashr_i32 s9, s8, 4
	s_cmp_lt_i32 s8, s28
	s_cselect_b32 s8, s9, s16
	s_delay_alu instid0(SALU_CYCLE_1) | instskip(NEXT) | instid1(SALU_CYCLE_1)
	s_ashr_i32 s9, s8, 31
	s_lshl_b64 s[8:9], s[8:9], 2
	s_delay_alu instid0(SALU_CYCLE_1) | instskip(SKIP_2) | instid1(SALU_CYCLE_1)
	s_add_u32 s8, s34, s8
	s_addc_u32 s9, s35, s9
	s_or_b32 s10, s29, 48
	;; [unrolled: 10-line block ×4, first 2 shown]
	s_ashr_i32 s13, s12, 4
	s_cmp_lt_i32 s12, s28
	s_cselect_b32 s12, s13, s16
	s_delay_alu instid0(SALU_CYCLE_1) | instskip(NEXT) | instid1(SALU_CYCLE_1)
	s_ashr_i32 s13, s12, 31
	s_lshl_b64 s[12:13], s[12:13], 2
	s_delay_alu instid0(SALU_CYCLE_1)
	s_add_u32 s20, s34, s12
	s_addc_u32 s21, s35, s13
	s_clause 0x5
	s_load_b32 s36, s[4:5], 0x0
	s_load_b32 s27, s[6:7], 0x0
	;; [unrolled: 1-line block ×6, first 2 shown]
	s_waitcnt vmcnt(1)
	v_mad_i64_i32 v[1:2], null, v5, s17, 0
	v_and_b32_e32 v5, 0xf0, v3
	s_waitcnt vmcnt(0)
	v_mad_i64_i32 v[3:4], null, v6, s17, 0
	s_delay_alu instid0(VALU_DEP_2) | instskip(NEXT) | instid1(VALU_DEP_4)
	v_add_co_u32 v5, s4, s24, v5
	v_lshlrev_b64 v[1:2], 1, v[1:2]
	v_add_co_ci_u32_e64 v6, null, s25, 0, s4
	s_delay_alu instid0(VALU_DEP_4) | instskip(SKIP_1) | instid1(VALU_DEP_3)
	v_lshlrev_b64 v[3:4], 1, v[3:4]
	s_or_b32 s4, s29, 0x60
	v_add_co_u32 v121, vcc_lo, v5, v1
	s_delay_alu instid0(VALU_DEP_3) | instskip(NEXT) | instid1(VALU_DEP_3)
	v_add_co_ci_u32_e32 v122, vcc_lo, v6, v2, vcc_lo
	v_add_co_u32 v123, vcc_lo, v5, v3
	s_delay_alu instid0(VALU_DEP_4)
	v_add_co_ci_u32_e32 v124, vcc_lo, v6, v4, vcc_lo
	s_clause 0x19
	global_load_b128 v[89:92], v[121:122], off
	global_load_b128 v[93:96], v[121:122], off offset:256
	global_load_b128 v[97:100], v[123:124], off
	global_load_b128 v[101:104], v[123:124], off offset:256
	global_load_b128 v[81:84], v[121:122], off offset:512
	;; [unrolled: 1-line block ×23, first 2 shown]
	s_ashr_i32 s5, s4, 4
	s_cmp_lt_i32 s4, s28
	v_cmp_gt_u32_e32 vcc_lo, 13, v140
	s_cselect_b32 s4, s5, s16
	s_delay_alu instid0(SALU_CYCLE_1) | instskip(NEXT) | instid1(SALU_CYCLE_1)
	s_ashr_i32 s5, s4, 31
	s_lshl_b64 s[4:5], s[4:5], 2
	v_cndmask_b32_e32 v105, v105, v140, vcc_lo
	s_add_u32 s18, s34, s4
	s_addc_u32 s19, s35, s5
	s_or_b32 s4, s29, 0x70
	s_delay_alu instid0(SALU_CYCLE_1)
	s_ashr_i32 s5, s4, 4
	s_cmp_lt_i32 s4, s28
	v_lshlrev_b32_e32 v215, 6, v105
	s_cselect_b32 s6, s5, s16
	ds_load_b128 v[105:108], v215
	ds_load_b128 v[109:112], v215 offset:1024
	s_ashr_i32 s7, s6, 31
	ds_load_b128 v[113:116], v215 offset:2048
	ds_load_b128 v[117:120], v215 offset:3072
	;; [unrolled: 1-line block ×8, first 2 shown]
	s_clause 0x1
	global_load_b128 v[167:170], v[123:124], off offset:3072
	global_load_b128 v[171:174], v[123:124], off offset:3328
	s_lshl_b64 s[6:7], s[6:7], 2
	s_mov_b32 s4, 0
	s_add_u32 s20, s34, s6
	s_addc_u32 s21, s35, s7
	s_clause 0x1
	s_load_b32 s42, s[18:19], 0x0
	s_load_b32 s43, s[20:21], 0x0
	s_clause 0x3
	global_load_b128 v[175:178], v[121:122], off offset:3584
	global_load_b128 v[179:182], v[121:122], off offset:3840
	;; [unrolled: 1-line block ×4, first 2 shown]
	s_or_b32 s7, s29, 0x80
	s_mov_b32 s5, s4
	s_ashr_i32 s8, s7, 4
	s_cmp_lt_i32 s7, s28
	s_mov_b32 s6, s4
	s_cselect_b32 s10, s8, s16
	s_mov_b32 s7, s4
	s_ashr_i32 s11, s10, 31
	s_mov_b32 s8, s4
	s_lshl_b64 s[24:25], s[10:11], 2
	s_mov_b32 s9, s4
	s_add_u32 s24, s34, s24
	s_addc_u32 s25, s35, s25
	s_or_b32 s11, s29, 0x90
	s_mov_b32 s10, s4
	s_ashr_i32 s37, s11, 4
	s_cmp_lt_i32 s11, s28
	s_mov_b32 s11, s4
	s_cselect_b32 s38, s37, s16
	v_mov_b32_e32 v136, s11
	s_ashr_i32 s39, s38, 31
	v_dual_mov_b32 v135, s10 :: v_dual_mov_b32 v134, s9
	v_dual_mov_b32 v133, s8 :: v_dual_mov_b32 v132, s7
	;; [unrolled: 1-line block ×3, first 2 shown]
	v_mov_b32_e32 v129, s4
	s_lshl_b64 s[4:5], s[38:39], 2
	s_waitcnt lgkmcnt(0)
	s_mul_hi_i32 s7, s27, s17
	s_add_u32 s38, s34, s4
	s_addc_u32 s39, s35, s5
	s_or_b32 s4, s29, 0xa0
	s_load_b32 s39, s[38:39], 0x0
	s_ashr_i32 s5, s4, 4
	s_cmp_lt_i32 s4, s28
	s_cselect_b32 s4, s5, s16
	s_delay_alu instid0(SALU_CYCLE_1) | instskip(NEXT) | instid1(SALU_CYCLE_1)
	s_ashr_i32 s5, s4, 31
	s_lshl_b64 s[4:5], s[4:5], 2
	s_delay_alu instid0(SALU_CYCLE_1)
	s_add_u32 s40, s34, s4
	s_addc_u32 s41, s35, s5
	s_or_b32 s4, s29, 0xb0
	s_mul_hi_i32 s5, s36, s17
	s_ashr_i32 s6, s4, 4
	s_cmp_lt_i32 s4, s28
	s_mul_i32 s4, s36, s17
	s_cselect_b32 s8, s6, s16
	s_mul_i32 s6, s27, s17
	s_ashr_i32 s9, s8, 31
	s_load_b32 s38, s[40:41], 0x0
	s_lshl_b64 s[10:11], s[8:9], 2
	s_mul_hi_i32 s9, s26, s17
	s_add_u32 s36, s34, s10
	s_addc_u32 s37, s35, s11
	s_or_b32 s10, s29, 0xc0
	s_mul_i32 s8, s26, s17
	s_ashr_i32 s26, s10, 4
	s_cmp_lt_i32 s10, s28
	s_mul_hi_i32 s11, s13, s17
	s_cselect_b32 s26, s26, s16
	s_mul_i32 s10, s13, s17
	s_ashr_i32 s27, s26, 31
	s_mul_hi_i32 s13, s12, s17
	s_lshl_b64 s[26:27], s[26:27], 2
	s_mul_i32 s12, s12, s17
	s_add_u32 s20, s34, s26
	s_addc_u32 s21, s35, s27
	s_or_b32 s18, s29, 0xd0
	s_load_b32 s26, s[24:25], 0x0
	s_ashr_i32 s19, s18, 4
	s_cmp_lt_i32 s18, s28
	s_mul_i32 s18, s15, s17
	s_cselect_b32 s24, s19, s16
	s_mul_hi_i32 s19, s15, s17
	s_ashr_i32 s25, s24, 31
	s_waitcnt lgkmcnt(0)
	s_mul_hi_i32 s41, s39, s17
	s_lshl_b64 s[24:25], s[24:25], 2
	s_delay_alu instid0(SALU_CYCLE_1)
	s_add_u32 s24, s34, s24
	s_addc_u32 s25, s35, s25
	s_or_b32 s40, s29, 0xe0
	s_clause 0x2
	s_load_b32 s37, s[36:37], 0x0
	s_load_b32 s36, s[20:21], 0x0
	s_load_b32 s15, s[24:25], 0x0
	s_ashr_i32 s44, s40, 4
	s_cmp_lt_i32 s40, s28
	s_mul_hi_i32 s21, s42, s17
	s_mul_i32 s20, s42, s17
	s_cselect_b32 s42, s44, s16
	s_mul_hi_i32 s25, s43, s17
	s_mul_i32 s24, s43, s17
	s_ashr_i32 s43, s42, 31
	s_mul_hi_i32 s27, s26, s17
	s_lshl_b64 s[42:43], s[42:43], 2
	s_mul_i32 s26, s26, s17
	s_add_u32 s42, s34, s42
	s_addc_u32 s43, s35, s43
	s_or_b32 s44, s29, 0xf0
	s_mul_i32 s40, s39, s17
	s_ashr_i32 s46, s44, 4
	s_cmp_lt_i32 s44, s28
	s_mul_hi_i32 s39, s38, s17
	s_cselect_b32 s46, s46, s16
	s_waitcnt lgkmcnt(0)
	s_mul_hi_i32 s49, s15, s17
	s_ashr_i32 s47, s46, 31
	s_mul_i32 s48, s15, s17
	s_lshl_b64 s[46:47], s[46:47], 2
	s_mul_i32 s38, s38, s17
	s_add_u32 s34, s34, s46
	s_addc_u32 s35, s35, s47
	s_add_u32 s15, s22, s2
	s_addc_u32 s16, s23, s3
	v_add_co_u32 v216, s15, s15, v125
	s_delay_alu instid0(VALU_DEP_1) | instskip(SKIP_2) | instid1(VALU_DEP_2)
	v_add_co_ci_u32_e64 v217, null, s16, 0, s15
	s_lshl_b64 s[2:3], s[4:5], 1
	s_lshl_b64 s[4:5], s[6:7], 1
	v_add_co_u32 v125, vcc_lo, v216, s2
	s_delay_alu instid0(VALU_DEP_2)
	v_add_co_ci_u32_e32 v126, vcc_lo, s3, v217, vcc_lo
	v_add_co_u32 v199, vcc_lo, v216, s4
	s_lshl_b64 s[6:7], s[8:9], 1
	v_add_co_ci_u32_e32 v200, vcc_lo, s5, v217, vcc_lo
	s_lshl_b64 s[8:9], s[10:11], 1
	s_lshl_b64 s[10:11], s[12:13], 1
	;; [unrolled: 1-line block ×8, first 2 shown]
	s_mul_hi_i32 s45, s37, s17
	s_mul_i32 s44, s37, s17
	s_mul_hi_i32 s37, s36, s17
	s_lshl_b64 s[38:39], s[44:45], 1
	s_mul_i32 s36, s36, s17
	s_clause 0x1
	s_load_b32 s15, s[42:43], 0x0
	s_load_b32 s16, s[34:35], 0x0
	s_lshl_b64 s[36:37], s[36:37], 1
	s_lshl_b64 s[40:41], s[48:49], 1
	s_waitcnt lgkmcnt(0)
	s_mul_hi_i32 s3, s15, s17
	s_mul_i32 s2, s15, s17
	s_mul_hi_i32 s5, s16, s17
	s_lshl_b64 s[2:3], s[2:3], 1
	s_mul_i32 s4, s16, s17
	s_waitcnt vmcnt(30)
	v_wmma_f32_16x16x16_bf16 v[191:198], v[89:96], v[105:112], v[129:136]
	v_add_co_u32 v89, vcc_lo, v216, s6
	v_add_co_ci_u32_e32 v90, vcc_lo, s7, v217, vcc_lo
	v_add_co_u32 v91, vcc_lo, v216, s8
	v_add_co_ci_u32_e32 v92, vcc_lo, s9, v217, vcc_lo
	v_add_co_u32 v93, vcc_lo, v216, s10
	v_add_co_ci_u32_e32 v94, vcc_lo, s11, v217, vcc_lo
	v_add_co_u32 v201, vcc_lo, v216, s12
	v_add_co_ci_u32_e32 v202, vcc_lo, s13, v217, vcc_lo
	v_add_co_u32 v203, vcc_lo, v216, s18
	v_add_co_ci_u32_e32 v204, vcc_lo, s19, v217, vcc_lo
	v_add_co_u32 v205, vcc_lo, v216, s20
	s_waitcnt vmcnt(28)
	v_wmma_f32_16x16x16_bf16 v[129:136], v[97:104], v[105:112], v[129:136]
	v_add_co_ci_u32_e32 v206, vcc_lo, s21, v217, vcc_lo
	v_add_co_u32 v207, vcc_lo, v216, s22
	v_add_co_ci_u32_e32 v208, vcc_lo, s23, v217, vcc_lo
	v_add_co_u32 v209, vcc_lo, v216, s24
	s_waitcnt vmcnt(26)
	v_wmma_f32_16x16x16_bf16 v[191:198], v[81:88], v[113:120], v[191:198]
	s_waitcnt vmcnt(24)
	v_wmma_f32_16x16x16_bf16 v[129:136], v[73:80], v[113:120], v[129:136]
	v_add_co_ci_u32_e32 v210, vcc_lo, s25, v217, vcc_lo
	v_add_co_u32 v211, vcc_lo, v216, s26
	v_add_co_ci_u32_e32 v212, vcc_lo, s27, v217, vcc_lo
	v_add_co_u32 v213, vcc_lo, v216, s38
	s_waitcnt vmcnt(22)
	v_wmma_f32_16x16x16_bf16 v[191:198], v[65:72], v[143:150], v[191:198]
	s_waitcnt vmcnt(20)
	v_wmma_f32_16x16x16_bf16 v[129:136], v[57:64], v[143:150], v[129:136]
	v_add_co_ci_u32_e32 v214, vcc_lo, s39, v217, vcc_lo
	v_add_co_u32 v143, vcc_lo, v216, s36
	s_waitcnt vmcnt(18)
	v_wmma_f32_16x16x16_bf16 v[191:198], v[49:56], v[151:158], v[191:198]
	s_waitcnt vmcnt(16)
	v_wmma_f32_16x16x16_bf16 v[129:136], v[41:48], v[151:158], v[129:136]
	v_add_co_ci_u32_e32 v144, vcc_lo, s37, v217, vcc_lo
	s_clause 0x15
	global_load_b128 v[121:124], v[125:126], off
	global_load_b128 v[125:128], v[125:126], off offset:16
	global_load_b128 v[113:116], v[199:200], off
	global_load_b128 v[117:120], v[199:200], off offset:16
	;; [unrolled: 2-line block ×11, first 2 shown]
	s_waitcnt vmcnt(36)
	v_wmma_f32_16x16x16_bf16 v[191:198], v[17:24], v[159:166], v[191:198]
	s_clause 0x1
	global_load_b128 v[17:20], v[213:214], off
	global_load_b128 v[21:24], v[213:214], off offset:16
	s_waitcnt vmcnt(36)
	v_wmma_f32_16x16x16_bf16 v[129:136], v[1:8], v[159:166], v[129:136]
	s_clause 0x1
	global_load_b128 v[1:4], v[143:144], off
	global_load_b128 v[5:8], v[143:144], off offset:16
	ds_load_b128 v[143:146], v215 offset:10240
	ds_load_b128 v[147:150], v215 offset:11264
	;; [unrolled: 1-line block ×4, first 2 shown]
	v_add_co_u32 v199, vcc_lo, v216, s40
	v_add_co_ci_u32_e32 v200, vcc_lo, s41, v217, vcc_lo
	v_add_co_u32 v159, vcc_lo, v216, s2
	v_add_co_ci_u32_e32 v160, vcc_lo, s3, v217, vcc_lo
	s_lshl_b64 s[2:3], s[4:5], 1
	s_delay_alu instid0(SALU_CYCLE_1)
	v_add_co_u32 v161, vcc_lo, v216, s2
	v_add_co_ci_u32_e32 v162, vcc_lo, s3, v217, vcc_lo
	s_waitcnt vmcnt(36) lgkmcnt(2)
	v_wmma_f32_16x16x16_bf16 v[191:198], v[25:32], v[143:150], v[191:198]
	s_waitcnt vmcnt(34)
	v_wmma_f32_16x16x16_bf16 v[129:136], v[33:40], v[143:150], v[129:136]
	s_clause 0x3
	global_load_b128 v[25:28], v[199:200], off
	global_load_b128 v[29:32], v[199:200], off offset:16
	global_load_b128 v[33:36], v[159:160], off
	global_load_b128 v[37:40], v[159:160], off offset:16
	v_and_b32_e32 v143, 0xe0, v0
	v_mbcnt_lo_u32_b32 v159, -1, 0
	s_waitcnt vmcnt(36) lgkmcnt(0)
	v_wmma_f32_16x16x16_bf16 v[191:198], v[9:16], v[151:158], v[191:198]
	s_clause 0x1
	global_load_b128 v[9:12], v[161:162], off
	global_load_b128 v[13:16], v[161:162], off offset:16
	s_waitcnt vmcnt(36)
	v_wmma_f32_16x16x16_bf16 v[129:136], v[167:174], v[151:158], v[129:136]
	v_add_nc_u32_e32 v160, s29, v143
	ds_load_b128 v[143:146], v215 offset:14336
	ds_load_b128 v[147:150], v215 offset:15360
	v_xor_b32_e32 v151, 16, v159
	s_waitcnt vmcnt(0) lgkmcnt(0)
	s_barrier
	v_or_b32_e32 v152, v160, v138
	buffer_gl0_inv
	v_cmp_gt_i32_e32 vcc_lo, 32, v151
	v_or_b32_e32 v153, 2, v152
	v_or_b32_e32 v154, 4, v152
	;; [unrolled: 1-line block ×5, first 2 shown]
	v_cmp_gt_i32_e64 s2, s28, v153
	v_cmp_gt_i32_e64 s3, s28, v154
	;; [unrolled: 1-line block ×3, first 2 shown]
	v_or_b32_e32 v158, 12, v152
	v_cmp_gt_i32_e64 s5, s28, v156
	v_cmp_gt_i32_e64 s6, s28, v157
	v_wmma_f32_16x16x16_bf16 v[191:198], v[175:182], v[143:150], v[191:198]
	v_wmma_f32_16x16x16_bf16 v[129:136], v[183:190], v[143:150], v[129:136]
	v_cndmask_b32_e32 v151, v159, v151, vcc_lo
	v_cmp_gt_i32_e32 vcc_lo, s28, v152
	v_or_b32_e32 v159, 14, v152
	v_dual_mul_f32 v149, s33, v192 :: v_dual_mul_f32 v150, s33, v191
	v_dual_mul_f32 v147, s33, v194 :: v_dual_mul_f32 v148, s33, v193
	v_mul_f32_e32 v145, s33, v196
	s_delay_alu instid0(VALU_DEP_3) | instskip(NEXT) | instid1(VALU_DEP_4)
	v_cndmask_b32_e64 v149, 0xff7fffff, v149, s2
	v_cndmask_b32_e32 v150, 0xff7fffff, v150, vcc_lo
	v_mul_f32_e32 v146, s33, v195
	v_cndmask_b32_e64 v148, 0xff7fffff, v148, s3
	v_cndmask_b32_e64 v147, 0xff7fffff, v147, s4
	v_or_b32_e32 v160, 16, v152
	v_max3_f32 v149, v150, 0xff7fffff, v149
	v_or_b32_e32 v161, 18, v152
	v_dual_mul_f32 v143, s33, v198 :: v_dual_mul_f32 v144, s33, v197
	v_cndmask_b32_e64 v146, 0xff7fffff, v146, s5
	v_cndmask_b32_e64 v145, 0xff7fffff, v145, s6
	v_max3_f32 v147, v149, v148, v147
	v_cmp_gt_i32_e64 s7, s28, v158
	v_cmp_gt_i32_e64 s8, s28, v159
	v_or_b32_e32 v162, 20, v152
	v_or_b32_e32 v163, 22, v152
	v_dual_mul_f32 v174, s33, v130 :: v_dual_mul_f32 v175, s33, v129
	v_cndmask_b32_e64 v144, 0xff7fffff, v144, s7
	v_cndmask_b32_e64 v143, 0xff7fffff, v143, s8
	v_max3_f32 v145, v147, v146, v145
	v_cmp_gt_i32_e64 s9, s28, v160
	v_cmp_gt_i32_e64 s10, s28, v161
	v_or_b32_e32 v164, 24, v152
	;; [unrolled: 8-line block ×3, first 2 shown]
	v_or_b32_e32 v167, 30, v152
	v_dual_mul_f32 v170, s33, v134 :: v_dual_mul_f32 v171, s33, v133
	v_cndmask_b32_e64 v144, 0xff7fffff, v173, s11
	v_cndmask_b32_e64 v145, 0xff7fffff, v172, s12
	v_max3_f32 v143, v143, v146, v147
	v_cmp_gt_i32_e64 s13, s28, v164
	v_cmp_gt_i32_e64 s15, s28, v165
	v_dual_mul_f32 v168, s33, v136 :: v_dual_mul_f32 v169, s33, v135
	s_delay_alu instid0(VALU_DEP_4) | instskip(NEXT) | instid1(VALU_DEP_4)
	v_max3_f32 v143, v143, v144, v145
	v_cndmask_b32_e64 v146, 0xff7fffff, v171, s13
	s_delay_alu instid0(VALU_DEP_4) | instskip(SKIP_3) | instid1(VALU_DEP_4)
	v_cndmask_b32_e64 v147, 0xff7fffff, v170, s15
	v_cmp_gt_i32_e64 s16, s28, v166
	v_cmp_gt_i32_e64 s17, s28, v167
	v_lshlrev_b32_e32 v154, 2, v151
	v_max3_f32 v143, v143, v146, v147
	s_delay_alu instid0(VALU_DEP_4) | instskip(NEXT) | instid1(VALU_DEP_4)
	v_cndmask_b32_e64 v144, 0xff7fffff, v169, s16
	v_cndmask_b32_e64 v145, 0xff7fffff, v168, s17
	s_delay_alu instid0(VALU_DEP_1) | instskip(SKIP_3) | instid1(VALU_DEP_1)
	v_max3_f32 v143, v143, v144, v145
	ds_bpermute_b32 v144, v154, v143
	s_waitcnt lgkmcnt(0)
	v_max_f32_e32 v144, v144, v144
	v_max_f32_e32 v153, v143, v144
	s_delay_alu instid0(VALU_DEP_1) | instskip(SKIP_4) | instid1(VALU_DEP_4)
	v_fma_f32 v143, s33, v191, -v153
	v_fma_f32 v144, s33, v192, -v153
	;; [unrolled: 1-line block ×5, first 2 shown]
	v_dual_mul_f32 v143, 0x3fb8aa3b, v143 :: v_dual_mul_f32 v144, 0x3fb8aa3b, v144
	s_delay_alu instid0(VALU_DEP_4) | instskip(SKIP_2) | instid1(VALU_DEP_4)
	v_mul_f32_e32 v132, 0x3fb8aa3b, v132
	v_fma_f32 v134, s33, v134, -v153
	v_mul_f32_e32 v145, 0x3fb8aa3b, v145
	v_exp_f32_e32 v143, v143
	v_exp_f32_e32 v147, v144
	v_fma_f32 v148, s33, v195, -v153
	v_mul_f32_e32 v134, 0x3fb8aa3b, v134
	v_mul_f32_e32 v146, 0x3fb8aa3b, v146
	v_exp_f32_e32 v145, v145
	v_fma_f32 v151, s33, v197, -v153
	v_mul_f32_e32 v148, 0x3fb8aa3b, v148
	v_fma_f32 v129, s33, v129, -v153
	v_exp_f32_e32 v149, v146
	v_cndmask_b32_e32 v144, 0, v143, vcc_lo
	v_fma_f32 v143, s33, v196, -v153
	v_cndmask_b32_e64 v146, 0, v147, s2
	v_exp_f32_e32 v148, v148
	s_delay_alu instid0(VALU_DEP_3) | instskip(NEXT) | instid1(VALU_DEP_3)
	v_dual_mul_f32 v151, 0x3fb8aa3b, v151 :: v_dual_add_f32 v150, 0, v144
	v_mul_f32_e32 v143, 0x3fb8aa3b, v143
	v_cndmask_b32_e64 v147, 0, v145, s3
	v_fma_f32 v130, s33, v130, -v153
	s_delay_alu instid0(TRANS32_DEP_2)
	v_cndmask_b32_e64 v149, 0, v149, s4
	v_add_f32_e32 v145, v150, v146
	v_fma_f32 v150, s33, v198, -v153
	v_exp_f32_e32 v143, v143
	v_exp_f32_e32 v155, v151
	v_mul_f32_e32 v129, 0x3fb8aa3b, v129
	s_delay_alu instid0(VALU_DEP_2) | instskip(SKIP_2) | instid1(VALU_DEP_3)
	v_dual_add_f32 v145, v145, v147 :: v_dual_mul_f32 v152, 0x3fb8aa3b, v150
	v_cndmask_b32_e64 v150, 0, v148, s5
	v_fma_f32 v131, s33, v131, -v153
	v_dual_mul_f32 v130, 0x3fb8aa3b, v130 :: v_dual_add_f32 v145, v145, v149
	s_delay_alu instid0(VALU_DEP_4) | instskip(NEXT) | instid1(TRANS32_DEP_3)
	v_exp_f32_e32 v152, v152
	v_cndmask_b32_e64 v151, 0, v143, s6
	v_exp_f32_e32 v129, v129
	s_delay_alu instid0(TRANS32_DEP_3)
	v_cndmask_b32_e64 v148, 0, v155, s7
	v_add_f32_e32 v143, v145, v150
	v_mul_f32_e32 v131, 0x3fb8aa3b, v131
	v_exp_f32_e32 v130, v130
	v_fma_f32 v133, s33, v133, -v153
	v_fma_f32 v136, s33, v136, -v153
	v_add_f32_e32 v143, v143, v151
	v_cndmask_b32_e64 v152, 0, v152, s8
	v_exp_f32_e32 v145, v131
	v_cndmask_b32_e64 v131, 0, v129, s9
	v_mul_f32_e32 v133, 0x3fb8aa3b, v133
	v_add_f32_e32 v143, v143, v148
	v_cmp_gt_u32_e64 s2, 16, v142
	s_delay_alu instid0(VALU_DEP_2)
	v_add_f32_e32 v129, v143, v152
	v_exp_f32_e32 v143, v132
	v_cndmask_b32_e64 v132, 0, v130, s10
	v_fma_f32 v130, s33, v135, -v153
	v_exp_f32_e32 v135, v133
	v_add_f32_e32 v129, v129, v131
	v_cndmask_b32_e64 v133, 0, v145, s11
	v_exp_f32_e32 v145, v134
	s_delay_alu instid0(VALU_DEP_2) | instskip(NEXT) | instid1(TRANS32_DEP_3)
	v_dual_mul_f32 v130, 0x3fb8aa3b, v130 :: v_dual_add_f32 v129, v129, v132
	v_cndmask_b32_e64 v134, 0, v143, s12
	v_mul_f32_e32 v143, 0x3fb8aa3b, v136
	s_delay_alu instid0(VALU_DEP_3) | instskip(NEXT) | instid1(TRANS32_DEP_3)
	v_exp_f32_e32 v130, v130
	v_cndmask_b32_e64 v135, 0, v135, s13
	v_add_f32_e32 v129, v129, v133
	s_delay_alu instid0(TRANS32_DEP_2) | instskip(SKIP_1) | instid1(VALU_DEP_2)
	v_cndmask_b32_e64 v136, 0, v145, s15
	v_exp_f32_e32 v145, v143
	v_add_f32_e32 v129, v129, v134
	s_waitcnt_depctr 0xfff
	v_cndmask_b32_e64 v143, 0, v130, s16
	v_add_f32_e32 v129, v129, v135
	v_cndmask_b32_e64 v145, 0, v145, s17
	s_delay_alu instid0(VALU_DEP_2) | instskip(NEXT) | instid1(VALU_DEP_1)
	v_add_f32_e32 v129, v129, v136
	v_add_f32_e32 v129, v129, v143
	s_delay_alu instid0(VALU_DEP_1)
	v_add_f32_e32 v129, v129, v145
	ds_bpermute_b32 v130, v154, v129
	s_and_saveexec_b32 s3, s2
	s_cbranch_execz .LBB590_12
; %bb.11:
	v_mul_u32_u24_e32 v142, 0x44, v141
	s_waitcnt lgkmcnt(0)
	v_add_f32_e32 v129, v129, v130
	s_delay_alu instid0(VALU_DEP_2) | instskip(NEXT) | instid1(VALU_DEP_1)
	v_lshl_add_u32 v142, v140, 2, v142
	v_add_nc_u32_e32 v130, 0x4000, v142
	ds_store_2addr_b32 v130, v153, v129 offset1:136
.LBB590_12:
	s_or_b32 exec_lo, exec_lo, s3
	v_lshlrev_b32_e32 v129, 2, v140
	s_waitcnt lgkmcnt(0)
	s_barrier
	buffer_gl0_inv
	v_cmp_eq_u32_e64 s3, 1, v141
	v_add_nc_u32_e32 v142, 0x4000, v129
	ds_load_2addr_b32 v[153:154], v142 offset1:17
	ds_load_2addr_b32 v[155:156], v142 offset0:34 offset1:51
	ds_load_2addr_b32 v[157:158], v142 offset0:68 offset1:85
	;; [unrolled: 1-line block ×4, first 2 shown]
	s_waitcnt lgkmcnt(4)
	v_max3_f32 v129, v153, 0xff7fffff, v154
	s_waitcnt lgkmcnt(3)
	s_delay_alu instid0(VALU_DEP_1) | instskip(SKIP_1) | instid1(VALU_DEP_1)
	v_max3_f32 v129, v129, v155, v156
	s_waitcnt lgkmcnt(2)
	v_max3_f32 v129, v129, v157, v158
	s_waitcnt lgkmcnt(1)
	s_delay_alu instid0(VALU_DEP_1) | instskip(NEXT) | instid1(VALU_DEP_1)
	v_max3_f32 v129, v129, v159, v160
	v_sub_f32_e32 v163, v154, v129
	v_sub_f32_e32 v130, v153, v129
	ds_load_2addr_b32 v[153:154], v142 offset0:170 offset1:187
	v_sub_f32_e32 v155, v155, v129
	v_dual_mul_f32 v163, 0x3fb8aa3b, v163 :: v_dual_mul_f32 v130, 0x3fb8aa3b, v130
	s_delay_alu instid0(VALU_DEP_2) | instskip(NEXT) | instid1(VALU_DEP_2)
	v_mul_f32_e32 v165, 0x3fb8aa3b, v155
	v_exp_f32_e32 v163, v163
	s_delay_alu instid0(VALU_DEP_2)
	v_exp_f32_e32 v164, v130
	v_sub_f32_e32 v130, v156, v129
	ds_load_2addr_b32 v[155:156], v142 offset0:204 offset1:221
	v_exp_f32_e32 v165, v165
	v_mul_f32_e32 v166, 0x3fb8aa3b, v130
	s_waitcnt lgkmcnt(2)
	v_fma_f32 v130, v164, v161, 0
	v_sub_f32_e32 v157, v157, v129
	s_delay_alu instid0(VALU_DEP_3) | instskip(NEXT) | instid1(VALU_DEP_2)
	v_exp_f32_e32 v166, v166
	v_dual_sub_f32 v161, v158, v129 :: v_dual_fmac_f32 v130, v163, v162
	s_waitcnt lgkmcnt(1)
	s_waitcnt_depctr 0xfff
	v_fmac_f32_e32 v130, v165, v153
	v_mul_f32_e32 v167, 0x3fb8aa3b, v157
	ds_load_2addr_b32 v[157:158], v142 offset0:238 offset1:255
	v_sub_f32_e32 v142, v159, v129
	v_dual_sub_f32 v153, v160, v129 :: v_dual_fmac_f32 v130, v166, v154
	v_mul_f32_e32 v159, 0x3fb8aa3b, v161
	v_exp_f32_e32 v161, v167
	s_delay_alu instid0(VALU_DEP_2)
	v_dual_mul_f32 v142, 0x3fb8aa3b, v142 :: v_dual_mul_f32 v153, 0x3fb8aa3b, v153
	s_waitcnt lgkmcnt(0)
	s_barrier
	buffer_gl0_inv
	v_exp_f32_e32 v142, v142
	v_exp_f32_e32 v153, v153
	v_fmac_f32_e32 v130, v161, v155
	v_exp_f32_e32 v159, v159
	s_waitcnt_depctr 0xfff
	v_fmac_f32_e32 v130, v159, v156
	s_delay_alu instid0(VALU_DEP_1) | instskip(NEXT) | instid1(VALU_DEP_1)
	v_fmac_f32_e32 v130, v142, v157
	v_fmac_f32_e32 v130, v153, v158
	s_delay_alu instid0(VALU_DEP_1) | instskip(NEXT) | instid1(VALU_DEP_1)
	v_add_f32_e32 v154, 0x358637bd, v130
	v_div_scale_f32 v155, null, v154, v154, 1.0
	v_div_scale_f32 v158, vcc_lo, 1.0, v154, 1.0
	s_delay_alu instid0(VALU_DEP_2) | instskip(SKIP_2) | instid1(VALU_DEP_1)
	v_rcp_f32_e32 v156, v155
	s_waitcnt_depctr 0xfff
	v_fma_f32 v157, -v155, v156, 1.0
	v_fmac_f32_e32 v156, v157, v156
	v_cndmask_b32_e64 v157, v164, v163, s3
	v_cmp_eq_u32_e64 s3, 2, v141
	s_delay_alu instid0(VALU_DEP_3) | instskip(NEXT) | instid1(VALU_DEP_2)
	v_mul_f32_e32 v160, v158, v156
	v_cndmask_b32_e64 v157, v157, v165, s3
	v_cmp_eq_u32_e64 s3, 3, v141
	s_delay_alu instid0(VALU_DEP_3) | instskip(NEXT) | instid1(VALU_DEP_2)
	v_fma_f32 v162, -v155, v160, v158
	v_cndmask_b32_e64 v157, v157, v166, s3
	v_cmp_eq_u32_e64 s3, 4, v141
	s_delay_alu instid0(VALU_DEP_3) | instskip(NEXT) | instid1(VALU_DEP_2)
	v_fmac_f32_e32 v160, v162, v156
	v_cndmask_b32_e64 v157, v157, v161, s3
	s_delay_alu instid0(VALU_DEP_2) | instskip(SKIP_1) | instid1(VALU_DEP_2)
	v_fma_f32 v155, -v155, v160, v158
	v_cmp_eq_u32_e64 s3, 5, v141
	v_div_fmas_f32 v155, v155, v156, v160
	s_delay_alu instid0(VALU_DEP_2) | instskip(SKIP_2) | instid1(VALU_DEP_3)
	v_cndmask_b32_e64 v157, v157, v159, s3
	v_cmp_eq_u32_e32 vcc_lo, 6, v141
	s_mov_b32 s3, exec_lo
	v_div_fixup_f32 v154, v155, v154, 1.0
	s_delay_alu instid0(VALU_DEP_3) | instskip(SKIP_1) | instid1(VALU_DEP_2)
	v_cndmask_b32_e32 v142, v157, v142, vcc_lo
	v_cmp_eq_u32_e32 vcc_lo, 7, v141
	v_cndmask_b32_e32 v142, v142, v153, vcc_lo
	s_delay_alu instid0(VALU_DEP_1) | instskip(NEXT) | instid1(VALU_DEP_1)
	v_mul_f32_e32 v142, v142, v154
	v_mul_f32_e32 v153, v142, v149
	;; [unrolled: 1-line block ×7, first 2 shown]
	v_dual_mul_f32 v150, v142, v147 :: v_dual_and_b32 v155, 0x7f800000, v154
	v_mul_f32_e32 v149, v142, v146
                                        ; implicit-def: $vgpr146
	s_delay_alu instid0(VALU_DEP_2)
	v_cmpx_ne_u32_e32 0x7f800000, v155
	s_xor_b32 s3, exec_lo, s3
; %bb.13:
	v_bfe_u32 v146, v154, 16, 1
	s_delay_alu instid0(VALU_DEP_1)
	v_add3_u32 v146, v154, v146, 0x7fff
                                        ; implicit-def: $vgpr154
; %bb.14:
	s_and_not1_saveexec_b32 s3, s3
; %bb.15:
	v_and_b32_e32 v146, 0xffff, v154
	v_or_b32_e32 v147, 0x10000, v154
	s_delay_alu instid0(VALU_DEP_2) | instskip(NEXT) | instid1(VALU_DEP_2)
	v_cmp_eq_u32_e32 vcc_lo, 0, v146
	v_cndmask_b32_e32 v146, v147, v154, vcc_lo
; %bb.16:
	s_or_b32 exec_lo, exec_lo, s3
	v_and_b32_e32 v147, 0x7f800000, v149
	s_delay_alu instid0(VALU_DEP_1) | instskip(SKIP_1) | instid1(SALU_CYCLE_1)
	v_cmp_ne_u32_e32 vcc_lo, 0x7f800000, v147
                                        ; implicit-def: $vgpr147
	s_and_saveexec_b32 s3, vcc_lo
	s_xor_b32 s3, exec_lo, s3
; %bb.17:
	v_bfe_u32 v147, v149, 16, 1
	s_delay_alu instid0(VALU_DEP_1)
	v_add3_u32 v147, v149, v147, 0x7fff
                                        ; implicit-def: $vgpr149
; %bb.18:
	s_and_not1_saveexec_b32 s3, s3
; %bb.19:
	v_and_b32_e32 v147, 0xffff, v149
	v_or_b32_e32 v154, 0x10000, v149
	s_delay_alu instid0(VALU_DEP_2) | instskip(NEXT) | instid1(VALU_DEP_2)
	v_cmp_eq_u32_e32 vcc_lo, 0, v147
	v_cndmask_b32_e32 v147, v154, v149, vcc_lo
; %bb.20:
	s_or_b32 exec_lo, exec_lo, s3
	v_and_b32_e32 v149, 0x7f800000, v150
	s_delay_alu instid0(VALU_DEP_1) | instskip(SKIP_1) | instid1(SALU_CYCLE_1)
	v_cmp_ne_u32_e32 vcc_lo, 0x7f800000, v149
                                        ; implicit-def: $vgpr149
	s_and_saveexec_b32 s3, vcc_lo
	s_xor_b32 s3, exec_lo, s3
; %bb.21:
	v_bfe_u32 v149, v150, 16, 1
	s_delay_alu instid0(VALU_DEP_1)
	v_add3_u32 v149, v150, v149, 0x7fff
                                        ; implicit-def: $vgpr150
; %bb.22:
	s_and_not1_saveexec_b32 s3, s3
; %bb.23:
	v_and_b32_e32 v149, 0xffff, v150
	v_or_b32_e32 v154, 0x10000, v150
	s_delay_alu instid0(VALU_DEP_2) | instskip(NEXT) | instid1(VALU_DEP_2)
	v_cmp_eq_u32_e32 vcc_lo, 0, v149
	v_cndmask_b32_e32 v149, v154, v150, vcc_lo
; %bb.24:
	s_or_b32 exec_lo, exec_lo, s3
	v_and_b32_e32 v150, 0x7f800000, v153
	s_delay_alu instid0(VALU_DEP_1) | instskip(SKIP_1) | instid1(SALU_CYCLE_1)
	v_cmp_ne_u32_e32 vcc_lo, 0x7f800000, v150
                                        ; implicit-def: $vgpr150
	s_and_saveexec_b32 s3, vcc_lo
	s_xor_b32 s3, exec_lo, s3
; %bb.25:
	v_bfe_u32 v150, v153, 16, 1
	s_delay_alu instid0(VALU_DEP_1)
	v_add3_u32 v150, v153, v150, 0x7fff
                                        ; implicit-def: $vgpr153
; %bb.26:
	s_and_not1_saveexec_b32 s3, s3
; %bb.27:
	v_and_b32_e32 v150, 0xffff, v153
	v_or_b32_e32 v154, 0x10000, v153
	s_delay_alu instid0(VALU_DEP_2) | instskip(NEXT) | instid1(VALU_DEP_2)
	v_cmp_eq_u32_e32 vcc_lo, 0, v150
	v_cndmask_b32_e32 v150, v154, v153, vcc_lo
; %bb.28:
	s_or_b32 exec_lo, exec_lo, s3
	v_and_b32_e32 v153, 0x7f800000, v152
	s_delay_alu instid0(VALU_DEP_1) | instskip(SKIP_1) | instid1(SALU_CYCLE_1)
	v_cmp_ne_u32_e32 vcc_lo, 0x7f800000, v153
                                        ; implicit-def: $vgpr153
	s_and_saveexec_b32 s3, vcc_lo
	s_xor_b32 s3, exec_lo, s3
; %bb.29:
	v_bfe_u32 v153, v152, 16, 1
	s_delay_alu instid0(VALU_DEP_1)
	v_add3_u32 v153, v152, v153, 0x7fff
                                        ; implicit-def: $vgpr152
; %bb.30:
	s_and_not1_saveexec_b32 s3, s3
; %bb.31:
	v_and_b32_e32 v153, 0xffff, v152
	v_or_b32_e32 v154, 0x10000, v152
	s_delay_alu instid0(VALU_DEP_2) | instskip(NEXT) | instid1(VALU_DEP_2)
	v_cmp_eq_u32_e32 vcc_lo, 0, v153
	v_cndmask_b32_e32 v153, v154, v152, vcc_lo
; %bb.32:
	s_or_b32 exec_lo, exec_lo, s3
	v_and_b32_e32 v152, 0x7f800000, v151
	s_delay_alu instid0(VALU_DEP_1) | instskip(SKIP_1) | instid1(SALU_CYCLE_1)
	v_cmp_ne_u32_e32 vcc_lo, 0x7f800000, v152
                                        ; implicit-def: $vgpr152
	s_and_saveexec_b32 s3, vcc_lo
	s_xor_b32 s3, exec_lo, s3
; %bb.33:
	v_bfe_u32 v152, v151, 16, 1
	s_delay_alu instid0(VALU_DEP_1)
	v_add3_u32 v152, v151, v152, 0x7fff
                                        ; implicit-def: $vgpr151
; %bb.34:
	s_and_not1_saveexec_b32 s3, s3
; %bb.35:
	v_and_b32_e32 v152, 0xffff, v151
	v_or_b32_e32 v154, 0x10000, v151
	s_delay_alu instid0(VALU_DEP_2) | instskip(NEXT) | instid1(VALU_DEP_2)
	v_cmp_eq_u32_e32 vcc_lo, 0, v152
	v_cndmask_b32_e32 v152, v154, v151, vcc_lo
; %bb.36:
	s_or_b32 exec_lo, exec_lo, s3
	v_and_b32_e32 v151, 0x7f800000, v148
	s_delay_alu instid0(VALU_DEP_1) | instskip(SKIP_1) | instid1(SALU_CYCLE_1)
	v_cmp_ne_u32_e32 vcc_lo, 0x7f800000, v151
                                        ; implicit-def: $vgpr151
	s_and_saveexec_b32 s3, vcc_lo
	s_xor_b32 s3, exec_lo, s3
; %bb.37:
	v_bfe_u32 v151, v148, 16, 1
	s_delay_alu instid0(VALU_DEP_1)
	v_add3_u32 v151, v148, v151, 0x7fff
                                        ; implicit-def: $vgpr148
; %bb.38:
	s_and_not1_saveexec_b32 s3, s3
; %bb.39:
	v_and_b32_e32 v151, 0xffff, v148
	v_or_b32_e32 v154, 0x10000, v148
	s_delay_alu instid0(VALU_DEP_2) | instskip(NEXT) | instid1(VALU_DEP_2)
	v_cmp_eq_u32_e32 vcc_lo, 0, v151
	v_cndmask_b32_e32 v151, v154, v148, vcc_lo
; %bb.40:
	s_or_b32 exec_lo, exec_lo, s3
	v_and_b32_e32 v148, 0x7f800000, v144
	s_delay_alu instid0(VALU_DEP_1) | instskip(SKIP_1) | instid1(SALU_CYCLE_1)
	v_cmp_ne_u32_e32 vcc_lo, 0x7f800000, v148
                                        ; implicit-def: $vgpr148
	s_and_saveexec_b32 s3, vcc_lo
	s_xor_b32 s3, exec_lo, s3
; %bb.41:
	v_bfe_u32 v148, v144, 16, 1
	s_delay_alu instid0(VALU_DEP_1)
	v_add3_u32 v148, v144, v148, 0x7fff
                                        ; implicit-def: $vgpr144
; %bb.42:
	s_and_not1_saveexec_b32 s3, s3
; %bb.43:
	v_and_b32_e32 v148, 0xffff, v144
	v_or_b32_e32 v154, 0x10000, v144
	s_delay_alu instid0(VALU_DEP_2) | instskip(NEXT) | instid1(VALU_DEP_2)
	v_cmp_eq_u32_e32 vcc_lo, 0, v148
	v_cndmask_b32_e32 v148, v154, v144, vcc_lo
; %bb.44:
	s_or_b32 exec_lo, exec_lo, s3
	s_load_b64 s[34:35], s[0:1], 0x94
	v_lshlrev_b32_e32 v155, 4, v138
	s_delay_alu instid0(VALU_DEP_2)
	v_perm_b32 v154, v148, v151, 0x7060302
	v_mul_f32_e32 v148, v142, v131
	v_dual_mul_f32 v145, v142, v145 :: v_dual_lshlrev_b32 v144, 6, v140
	v_dual_mul_f32 v143, v142, v143 :: v_dual_lshlrev_b32 v156, 11, v141
	v_perm_b32 v153, v152, v153, 0x7060302
	v_perm_b32 v152, v150, v149, 0x7060302
	;; [unrolled: 1-line block ×3, first 2 shown]
	s_delay_alu instid0(VALU_DEP_4)
	v_or3_b32 v131, v155, v156, v144
	v_mul_f32_e32 v136, v142, v136
	v_dual_mul_f32 v146, v142, v134 :: v_dual_and_b32 v149, 0x7f800000, v148
	v_mul_f32_e32 v135, v142, v135
	v_mul_f32_e32 v147, v142, v133
	;; [unrolled: 1-line block ×3, first 2 shown]
	s_mov_b32 s3, exec_lo
	ds_store_b128 v131, v[151:154]
                                        ; implicit-def: $vgpr132
	v_cmpx_ne_u32_e32 0x7f800000, v149
	s_xor_b32 s3, exec_lo, s3
; %bb.45:
	v_bfe_u32 v132, v148, 16, 1
	s_delay_alu instid0(VALU_DEP_1)
	v_add3_u32 v132, v148, v132, 0x7fff
                                        ; implicit-def: $vgpr148
; %bb.46:
	s_and_not1_saveexec_b32 s3, s3
; %bb.47:
	v_and_b32_e32 v132, 0xffff, v148
	v_or_b32_e32 v133, 0x10000, v148
	s_delay_alu instid0(VALU_DEP_2) | instskip(NEXT) | instid1(VALU_DEP_2)
	v_cmp_eq_u32_e32 vcc_lo, 0, v132
	v_cndmask_b32_e32 v132, v133, v148, vcc_lo
; %bb.48:
	s_or_b32 exec_lo, exec_lo, s3
	v_and_b32_e32 v133, 0x7f800000, v134
	s_delay_alu instid0(VALU_DEP_1) | instskip(SKIP_1) | instid1(SALU_CYCLE_1)
	v_cmp_ne_u32_e32 vcc_lo, 0x7f800000, v133
                                        ; implicit-def: $vgpr133
	s_and_saveexec_b32 s3, vcc_lo
	s_xor_b32 s3, exec_lo, s3
; %bb.49:
	v_bfe_u32 v133, v134, 16, 1
	s_delay_alu instid0(VALU_DEP_1)
	v_add3_u32 v133, v134, v133, 0x7fff
                                        ; implicit-def: $vgpr134
; %bb.50:
	s_and_not1_saveexec_b32 s3, s3
; %bb.51:
	v_and_b32_e32 v133, 0xffff, v134
	v_or_b32_e32 v142, 0x10000, v134
	s_delay_alu instid0(VALU_DEP_2) | instskip(NEXT) | instid1(VALU_DEP_2)
	v_cmp_eq_u32_e32 vcc_lo, 0, v133
	v_cndmask_b32_e32 v133, v142, v134, vcc_lo
; %bb.52:
	s_or_b32 exec_lo, exec_lo, s3
	v_and_b32_e32 v134, 0x7f800000, v147
	s_delay_alu instid0(VALU_DEP_1) | instskip(SKIP_1) | instid1(SALU_CYCLE_1)
	v_cmp_ne_u32_e32 vcc_lo, 0x7f800000, v134
                                        ; implicit-def: $vgpr134
	s_and_saveexec_b32 s3, vcc_lo
	s_xor_b32 s3, exec_lo, s3
; %bb.53:
	v_bfe_u32 v134, v147, 16, 1
	s_delay_alu instid0(VALU_DEP_1)
	v_add3_u32 v134, v147, v134, 0x7fff
                                        ; implicit-def: $vgpr147
; %bb.54:
	s_and_not1_saveexec_b32 s3, s3
; %bb.55:
	v_and_b32_e32 v134, 0xffff, v147
	v_or_b32_e32 v142, 0x10000, v147
	s_delay_alu instid0(VALU_DEP_2) | instskip(NEXT) | instid1(VALU_DEP_2)
	v_cmp_eq_u32_e32 vcc_lo, 0, v134
	v_cndmask_b32_e32 v134, v142, v147, vcc_lo
; %bb.56:
	s_or_b32 exec_lo, exec_lo, s3
	v_and_b32_e32 v142, 0x7f800000, v146
	s_delay_alu instid0(VALU_DEP_1) | instskip(SKIP_1) | instid1(SALU_CYCLE_1)
	v_cmp_ne_u32_e32 vcc_lo, 0x7f800000, v142
                                        ; implicit-def: $vgpr142
	s_and_saveexec_b32 s3, vcc_lo
	s_xor_b32 s3, exec_lo, s3
; %bb.57:
	v_bfe_u32 v142, v146, 16, 1
	s_delay_alu instid0(VALU_DEP_1)
	v_add3_u32 v142, v146, v142, 0x7fff
                                        ; implicit-def: $vgpr146
; %bb.58:
	s_and_not1_saveexec_b32 s3, s3
; %bb.59:
	v_and_b32_e32 v142, 0xffff, v146
	v_or_b32_e32 v147, 0x10000, v146
	s_delay_alu instid0(VALU_DEP_2) | instskip(NEXT) | instid1(VALU_DEP_2)
	v_cmp_eq_u32_e32 vcc_lo, 0, v142
	v_cndmask_b32_e32 v142, v147, v146, vcc_lo
; %bb.60:
	s_or_b32 exec_lo, exec_lo, s3
	v_and_b32_e32 v146, 0x7f800000, v135
	s_delay_alu instid0(VALU_DEP_1) | instskip(SKIP_1) | instid1(SALU_CYCLE_1)
	v_cmp_ne_u32_e32 vcc_lo, 0x7f800000, v146
                                        ; implicit-def: $vgpr146
	s_and_saveexec_b32 s3, vcc_lo
	s_xor_b32 s3, exec_lo, s3
; %bb.61:
	v_bfe_u32 v146, v135, 16, 1
	s_delay_alu instid0(VALU_DEP_1)
	v_add3_u32 v146, v135, v146, 0x7fff
                                        ; implicit-def: $vgpr135
; %bb.62:
	s_and_not1_saveexec_b32 s3, s3
; %bb.63:
	v_and_b32_e32 v146, 0xffff, v135
	v_or_b32_e32 v147, 0x10000, v135
	s_delay_alu instid0(VALU_DEP_2) | instskip(NEXT) | instid1(VALU_DEP_2)
	v_cmp_eq_u32_e32 vcc_lo, 0, v146
	v_cndmask_b32_e32 v146, v147, v135, vcc_lo
; %bb.64:
	s_or_b32 exec_lo, exec_lo, s3
	v_and_b32_e32 v135, 0x7f800000, v136
	s_delay_alu instid0(VALU_DEP_1) | instskip(SKIP_1) | instid1(SALU_CYCLE_1)
	v_cmp_ne_u32_e32 vcc_lo, 0x7f800000, v135
                                        ; implicit-def: $vgpr135
	s_and_saveexec_b32 s3, vcc_lo
	s_xor_b32 s3, exec_lo, s3
; %bb.65:
	v_bfe_u32 v135, v136, 16, 1
	s_delay_alu instid0(VALU_DEP_1)
	v_add3_u32 v135, v136, v135, 0x7fff
                                        ; implicit-def: $vgpr136
; %bb.66:
	s_and_not1_saveexec_b32 s3, s3
; %bb.67:
	v_and_b32_e32 v135, 0xffff, v136
	v_or_b32_e32 v147, 0x10000, v136
	s_delay_alu instid0(VALU_DEP_2) | instskip(NEXT) | instid1(VALU_DEP_2)
	v_cmp_eq_u32_e32 vcc_lo, 0, v135
	v_cndmask_b32_e32 v135, v147, v136, vcc_lo
; %bb.68:
	s_or_b32 exec_lo, exec_lo, s3
	v_and_b32_e32 v136, 0x7f800000, v143
	s_delay_alu instid0(VALU_DEP_1) | instskip(SKIP_1) | instid1(SALU_CYCLE_1)
	v_cmp_ne_u32_e32 vcc_lo, 0x7f800000, v136
                                        ; implicit-def: $vgpr136
	s_and_saveexec_b32 s3, vcc_lo
	s_xor_b32 s3, exec_lo, s3
; %bb.69:
	v_bfe_u32 v136, v143, 16, 1
	s_delay_alu instid0(VALU_DEP_1)
	v_add3_u32 v136, v143, v136, 0x7fff
                                        ; implicit-def: $vgpr143
; %bb.70:
	s_and_not1_saveexec_b32 s3, s3
; %bb.71:
	v_and_b32_e32 v136, 0xffff, v143
	v_or_b32_e32 v147, 0x10000, v143
	s_delay_alu instid0(VALU_DEP_2) | instskip(NEXT) | instid1(VALU_DEP_2)
	v_cmp_eq_u32_e32 vcc_lo, 0, v136
	v_cndmask_b32_e32 v136, v147, v143, vcc_lo
; %bb.72:
	s_or_b32 exec_lo, exec_lo, s3
	v_and_b32_e32 v143, 0x7f800000, v145
	s_delay_alu instid0(VALU_DEP_1) | instskip(SKIP_1) | instid1(SALU_CYCLE_1)
	v_cmp_ne_u32_e32 vcc_lo, 0x7f800000, v143
                                        ; implicit-def: $vgpr143
	s_and_saveexec_b32 s3, vcc_lo
	s_xor_b32 s3, exec_lo, s3
; %bb.73:
	v_bfe_u32 v143, v145, 16, 1
	s_delay_alu instid0(VALU_DEP_1)
	v_add3_u32 v143, v145, v143, 0x7fff
                                        ; implicit-def: $vgpr145
; %bb.74:
	s_and_not1_saveexec_b32 s3, s3
; %bb.75:
	v_and_b32_e32 v143, 0xffff, v145
	v_or_b32_e32 v147, 0x10000, v145
	s_delay_alu instid0(VALU_DEP_2) | instskip(NEXT) | instid1(VALU_DEP_2)
	v_cmp_eq_u32_e32 vcc_lo, 0, v143
	v_cndmask_b32_e32 v143, v147, v145, vcc_lo
; %bb.76:
	s_or_b32 exec_lo, exec_lo, s3
	s_delay_alu instid0(VALU_DEP_1)
	v_perm_b32 v136, v143, v136, 0x7060302
	v_perm_b32 v135, v135, v146, 0x7060302
	;; [unrolled: 1-line block ×4, first 2 shown]
	v_lshl_or_b32 v145, v141, 11, v144
	v_lshlrev_b32_e32 v142, 2, v138
	ds_store_b128 v131, v[133:136] offset:1024
	s_waitcnt lgkmcnt(0)
	s_barrier
	buffer_gl0_inv
	ds_load_b128 v[132:135], v145
	ds_load_b128 v[147:150], v145 offset:16
	v_or_b32_e32 v143, 1, v142
	v_cmp_eq_u32_e64 s12, 1, v142
	v_cmp_eq_u32_e64 s11, 2, v142
	;; [unrolled: 1-line block ×3, first 2 shown]
	v_or_b32_e32 v141, 2, v142
	v_cmp_eq_u32_e64 s7, 1, v143
	v_cmp_eq_u32_e64 s6, 2, v143
	;; [unrolled: 1-line block ×8, first 2 shown]
	v_cmp_eq_u32_e32 vcc_lo, 5, v143
	v_cmp_eq_u32_e64 s10, 2, v141
	v_cmp_eq_u32_e64 s4, 6, v143
	;; [unrolled: 1-line block ×4, first 2 shown]
	s_waitcnt lgkmcnt(1)
	v_lshrrev_b32_e32 v136, 16, v132
	s_waitcnt lgkmcnt(0)
	v_lshrrev_b32_e32 v155, 16, v147
	v_lshrrev_b32_e32 v161, 16, v148
	;; [unrolled: 1-line block ×4, first 2 shown]
	v_cndmask_b32_e64 v146, v132, v136, s12
	v_cndmask_b32_e64 v151, v147, v155, s12
	;; [unrolled: 1-line block ×4, first 2 shown]
	v_lshrrev_b32_e32 v160, 16, v134
	v_cndmask_b32_e64 v146, v146, v133, s11
	v_cndmask_b32_e64 v151, v151, v148, s11
	;; [unrolled: 1-line block ×8, first 2 shown]
	v_lshrrev_b32_e32 v164, 16, v150
	v_cndmask_b32_e64 v153, v153, v161, s5
	v_cndmask_b32_e64 v146, v146, v134, s17
	;; [unrolled: 1-line block ×5, first 2 shown]
	v_lshrrev_b32_e32 v162, 16, v135
	v_cndmask_b32_e64 v146, v146, v160, s13
	v_cndmask_b32_e64 v151, v151, v163, s13
	v_cndmask_b32_e32 v152, v152, v160, vcc_lo
	v_cndmask_b32_e64 v153, v153, v149, s3
	v_cmp_eq_u32_e64 s19, 7, v143
	v_cndmask_b32_e64 v146, v146, v135, s15
	v_cndmask_b32_e64 v151, v151, v150, s15
	;; [unrolled: 1-line block ×4, first 2 shown]
	v_cmp_eq_u32_e64 s20, 4, v141
	v_cndmask_b32_e64 v165, v146, v162, s9
	v_cndmask_b32_e64 v166, v151, v164, s9
	;; [unrolled: 1-line block ×3, first 2 shown]
	v_or_b32_e32 v146, 3, v142
	v_cndmask_b32_e64 v167, v152, v162, s19
	v_cndmask_b32_e32 v156, v153, v163, vcc_lo
	v_cndmask_b32_e64 v158, v154, v134, s20
	v_cndmask_b32_e64 v157, v151, v148, s10
	ds_load_b128 v[151:154], v145 offset:1024
	v_cmp_eq_u32_e64 s21, 1, v146
	v_cmp_eq_u32_e64 s22, 5, v141
	;; [unrolled: 1-line block ×3, first 2 shown]
	v_cndmask_b32_e64 v157, v157, v161, s18
	v_cmp_eq_u32_e64 s24, 3, v146
	v_cndmask_b32_e64 v132, v132, v136, s21
	v_cndmask_b32_e64 v136, v156, v150, s4
	;; [unrolled: 1-line block ×5, first 2 shown]
	ds_load_b128 v[155:158], v145 offset:1040
	v_cndmask_b32_e64 v132, v132, v133, s23
	v_cmp_eq_u32_e64 s26, 4, v146
	v_cmp_eq_u32_e64 s28, 5, v146
	v_cndmask_b32_e64 v147, v147, v148, s23
	v_cmp_eq_u32_e64 s25, 6, v141
	v_cndmask_b32_e64 v132, v132, v159, s24
	;; [unrolled: 2-line block ×3, first 2 shown]
	v_cndmask_b32_e64 v147, v147, v161, s24
	s_waitcnt lgkmcnt(1)
	v_lshrrev_b32_e32 v159, 16, v151
	v_cndmask_b32_e64 v132, v132, v134, s26
	v_cndmask_b32_e64 v148, v168, v135, s25
	;; [unrolled: 1-line block ×6, first 2 shown]
	v_lshrrev_b32_e32 v160, 16, v152
	v_cndmask_b32_e64 v161, v151, v159, s7
	v_cndmask_b32_e64 v134, v134, v163, s28
	s_waitcnt lgkmcnt(0)
	v_lshrrev_b32_e32 v149, 16, v155
	v_cndmask_b32_e64 v147, v147, v152, s11
	v_cndmask_b32_e64 v132, v132, v135, s29
	v_cmp_eq_u32_e64 s27, 7, v141
	v_cndmask_b32_e64 v134, v134, v150, s29
	v_cndmask_b32_e64 v163, v155, v149, s12
	;; [unrolled: 1-line block ×4, first 2 shown]
	v_lshrrev_b32_e32 v161, 16, v156
	v_cndmask_b32_e64 v136, v136, v164, s19
	v_cndmask_b32_e64 v150, v163, v156, s11
	v_cmp_eq_u32_e64 s11, 7, v146
	v_cndmask_b32_e64 v147, v147, v160, s5
	v_cndmask_b32_e64 v135, v135, v153, s17
	v_lshrrev_b32_e32 v163, 16, v153
	v_cndmask_b32_e64 v150, v150, v161, s16
	v_cndmask_b32_e64 v132, v132, v162, s11
	;; [unrolled: 1-line block ×8, first 2 shown]
	v_lshrrev_b32_e32 v164, 16, v157
	v_perm_b32 v135, v134, v132, 0x5040100
	v_cndmask_b32_e32 v132, v147, v163, vcc_lo
	v_cndmask_b32_e64 v147, v162, v154, s15
	v_lshrrev_b32_e32 v162, 16, v154
	v_cndmask_b32_e64 v150, v150, v164, s13
	v_perm_b32 v134, v133, v148, 0x5040100
	v_cndmask_b32_e64 v132, v132, v154, s4
	v_perm_b32 v133, v136, v167, 0x5040100
	v_cndmask_b32_e64 v136, v147, v162, s9
	v_cndmask_b32_e64 v147, v150, v158, s15
	;; [unrolled: 1-line block ×27, first 2 shown]
	v_cndmask_b32_e32 v149, v149, v164, vcc_lo
	v_lshrrev_b32_e32 v148, 16, v158
	v_cndmask_b32_e64 v132, v132, v154, s25
	v_cndmask_b32_e64 v150, v150, v154, s29
	;; [unrolled: 1-line block ×11, first 2 shown]
	v_perm_b32 v132, v166, v165, 0x5040100
	v_perm_b32 v150, v151, v150, 0x5040100
	v_perm_b32 v149, v152, v153, 0x5040100
	v_perm_b32 v148, v154, v167, 0x5040100
	v_perm_b32 v147, v147, v136, 0x5040100
	s_mul_i32 s8, s35, 13
	s_mov_b32 s3, exec_lo
	ds_store_b128 v131, v[132:135]
	ds_store_b128 v131, v[147:150] offset:1024
	v_cmpx_gt_u32_e32 13, v0
	s_cbranch_execz .LBB590_78
; %bb.77:
	s_mul_i32 s4, s8, s30
	s_delay_alu instid0(SALU_CYCLE_1) | instskip(SKIP_1) | instid1(VALU_DEP_1)
	v_add3_u32 v133, s4, s31, v140
	s_load_b128 s[4:7], s[0:1], 0x58
	v_mad_u64_u32 v[131:132], null, v133, s34, s[14:15]
	s_delay_alu instid0(VALU_DEP_1) | instskip(NEXT) | instid1(VALU_DEP_1)
	v_ashrrev_i32_e32 v132, 31, v131
	v_lshlrev_b64 v[131:132], 2, v[131:132]
	s_waitcnt lgkmcnt(0)
	s_delay_alu instid0(VALU_DEP_1) | instskip(NEXT) | instid1(VALU_DEP_2)
	v_add_co_u32 v133, vcc_lo, s6, v131
	v_add_co_ci_u32_e32 v134, vcc_lo, s7, v132, vcc_lo
	v_add_co_u32 v131, vcc_lo, s4, v131
	v_add_co_ci_u32_e32 v132, vcc_lo, s5, v132, vcc_lo
	global_store_b32 v[133:134], v129, off
	global_store_b32 v[131:132], v130, off
.LBB590_78:
	s_or_b32 exec_lo, exec_lo, s3
	s_waitcnt lgkmcnt(0)
	s_waitcnt_vscnt null, 0x0
	s_barrier
	buffer_gl0_inv
	ds_load_b128 v[147:150], v144
	ds_load_b128 v[151:154], v144 offset:16
	ds_load_b128 v[159:162], v144 offset:1040
	;; [unrolled: 1-line block ×3, first 2 shown]
	v_mov_b32_e32 v129, 0
	ds_load_b128 v[167:170], v144 offset:2064
	ds_load_b128 v[163:166], v144 offset:2048
	;; [unrolled: 1-line block ×6, first 2 shown]
	v_mov_b32_e32 v130, v129
	v_mov_b32_e32 v131, v129
	;; [unrolled: 1-line block ×7, first 2 shown]
	s_waitcnt lgkmcnt(8)
	s_delay_alu instid0(VALU_DEP_1)
	v_wmma_f32_16x16x16_bf16 v[129:136], v[121:128], v[147:154], v[129:136]
	ds_load_b128 v[125:128], v144 offset:5136
	ds_load_b128 v[121:124], v144 offset:5120
	s_waitcnt lgkmcnt(8)
	v_wmma_f32_16x16x16_bf16 v[129:136], v[113:120], v[155:162], v[129:136]
	ds_load_b128 v[117:120], v144 offset:6160
	ds_load_b128 v[113:116], v144 offset:6144
	s_waitcnt lgkmcnt(8)
	;; [unrolled: 4-line block ×8, first 2 shown]
	v_wmma_f32_16x16x16_bf16 v[129:136], v[65:72], v[97:104], v[129:136]
	s_waitcnt lgkmcnt(6)
	s_delay_alu instid0(VALU_DEP_1)
	v_wmma_f32_16x16x16_bf16 v[129:136], v[49:56], v[89:96], v[129:136]
	ds_load_b128 v[53:56], v144 offset:13328
	ds_load_b128 v[49:52], v144 offset:13312
	s_waitcnt lgkmcnt(6)
	v_wmma_f32_16x16x16_bf16 v[129:136], v[41:48], v[81:88], v[129:136]
	ds_load_b128 v[45:48], v144 offset:14352
	ds_load_b128 v[41:44], v144 offset:14336
	s_waitcnt lgkmcnt(6)
	;; [unrolled: 4-line block ×3, first 2 shown]
	v_wmma_f32_16x16x16_bf16 v[129:136], v[1:8], v[57:64], v[129:136]
	s_waitcnt lgkmcnt(4)
	s_delay_alu instid0(VALU_DEP_1) | instskip(SKIP_1) | instid1(VALU_DEP_1)
	v_wmma_f32_16x16x16_bf16 v[129:136], v[25:32], v[49:56], v[129:136]
	s_waitcnt lgkmcnt(2)
	v_wmma_f32_16x16x16_bf16 v[129:136], v[33:40], v[41:48], v[129:136]
	s_waitcnt lgkmcnt(0)
	s_delay_alu instid0(VALU_DEP_1) | instskip(NEXT) | instid1(VALU_DEP_1)
	v_wmma_f32_16x16x16_bf16 v[129:136], v[9:16], v[17:24], v[129:136]
	v_and_b32_e32 v1, 0x7f800000, v129
	s_delay_alu instid0(VALU_DEP_1) | instskip(SKIP_1) | instid1(SALU_CYCLE_1)
	v_cmp_ne_u32_e32 vcc_lo, 0x7f800000, v1
                                        ; implicit-def: $vgpr1
	s_and_saveexec_b32 s3, vcc_lo
	s_xor_b32 s3, exec_lo, s3
; %bb.79:
	v_bfe_u32 v1, v129, 16, 1
	s_delay_alu instid0(VALU_DEP_1)
	v_add3_u32 v1, v129, v1, 0x7fff
; %bb.80:
	s_and_not1_saveexec_b32 s3, s3
; %bb.81:
	v_and_b32_e32 v1, 0xffff, v129
	v_or_b32_e32 v2, 0x10000, v129
	s_delay_alu instid0(VALU_DEP_2) | instskip(NEXT) | instid1(VALU_DEP_2)
	v_cmp_eq_u32_e32 vcc_lo, 0, v1
	v_cndmask_b32_e32 v1, v2, v129, vcc_lo
; %bb.82:
	s_or_b32 exec_lo, exec_lo, s3
	v_and_b32_e32 v2, 0x7f800000, v130
	s_delay_alu instid0(VALU_DEP_1) | instskip(SKIP_1) | instid1(SALU_CYCLE_1)
	v_cmp_ne_u32_e32 vcc_lo, 0x7f800000, v2
                                        ; implicit-def: $vgpr2
	s_and_saveexec_b32 s3, vcc_lo
	s_xor_b32 s3, exec_lo, s3
; %bb.83:
	v_bfe_u32 v2, v130, 16, 1
	s_delay_alu instid0(VALU_DEP_1)
	v_add3_u32 v2, v130, v2, 0x7fff
; %bb.84:
	s_and_not1_saveexec_b32 s3, s3
; %bb.85:
	v_and_b32_e32 v2, 0xffff, v130
	v_or_b32_e32 v3, 0x10000, v130
	s_delay_alu instid0(VALU_DEP_2) | instskip(NEXT) | instid1(VALU_DEP_2)
	v_cmp_eq_u32_e32 vcc_lo, 0, v2
	v_cndmask_b32_e32 v2, v3, v130, vcc_lo
; %bb.86:
	s_or_b32 exec_lo, exec_lo, s3
	v_and_b32_e32 v3, 0x7f800000, v131
	s_delay_alu instid0(VALU_DEP_1) | instskip(SKIP_1) | instid1(SALU_CYCLE_1)
	v_cmp_ne_u32_e32 vcc_lo, 0x7f800000, v3
                                        ; implicit-def: $vgpr3
	s_and_saveexec_b32 s3, vcc_lo
	s_xor_b32 s3, exec_lo, s3
; %bb.87:
	v_bfe_u32 v3, v131, 16, 1
	s_delay_alu instid0(VALU_DEP_1)
	v_add3_u32 v3, v131, v3, 0x7fff
; %bb.88:
	s_and_not1_saveexec_b32 s3, s3
; %bb.89:
	v_and_b32_e32 v3, 0xffff, v131
	v_or_b32_e32 v4, 0x10000, v131
	s_delay_alu instid0(VALU_DEP_2) | instskip(NEXT) | instid1(VALU_DEP_2)
	v_cmp_eq_u32_e32 vcc_lo, 0, v3
	v_cndmask_b32_e32 v3, v4, v131, vcc_lo
; %bb.90:
	s_or_b32 exec_lo, exec_lo, s3
	v_and_b32_e32 v4, 0x7f800000, v132
	s_delay_alu instid0(VALU_DEP_1) | instskip(SKIP_1) | instid1(SALU_CYCLE_1)
	v_cmp_ne_u32_e32 vcc_lo, 0x7f800000, v4
                                        ; implicit-def: $vgpr4
	s_and_saveexec_b32 s3, vcc_lo
	s_xor_b32 s3, exec_lo, s3
; %bb.91:
	v_bfe_u32 v4, v132, 16, 1
	s_delay_alu instid0(VALU_DEP_1)
	v_add3_u32 v4, v132, v4, 0x7fff
; %bb.92:
	s_and_not1_saveexec_b32 s3, s3
; %bb.93:
	v_and_b32_e32 v4, 0xffff, v132
	v_or_b32_e32 v5, 0x10000, v132
	s_delay_alu instid0(VALU_DEP_2) | instskip(NEXT) | instid1(VALU_DEP_2)
	v_cmp_eq_u32_e32 vcc_lo, 0, v4
	v_cndmask_b32_e32 v4, v5, v132, vcc_lo
; %bb.94:
	s_or_b32 exec_lo, exec_lo, s3
	v_and_b32_e32 v5, 0x7f800000, v133
	s_delay_alu instid0(VALU_DEP_1) | instskip(SKIP_1) | instid1(SALU_CYCLE_1)
	v_cmp_ne_u32_e32 vcc_lo, 0x7f800000, v5
                                        ; implicit-def: $vgpr5
	s_and_saveexec_b32 s3, vcc_lo
	s_xor_b32 s3, exec_lo, s3
; %bb.95:
	v_bfe_u32 v5, v133, 16, 1
	s_delay_alu instid0(VALU_DEP_1)
	v_add3_u32 v5, v133, v5, 0x7fff
; %bb.96:
	s_and_not1_saveexec_b32 s3, s3
; %bb.97:
	v_and_b32_e32 v5, 0xffff, v133
	v_or_b32_e32 v6, 0x10000, v133
	s_delay_alu instid0(VALU_DEP_2) | instskip(NEXT) | instid1(VALU_DEP_2)
	v_cmp_eq_u32_e32 vcc_lo, 0, v5
	v_cndmask_b32_e32 v5, v6, v133, vcc_lo
; %bb.98:
	s_or_b32 exec_lo, exec_lo, s3
	v_and_b32_e32 v6, 0x7f800000, v134
	s_delay_alu instid0(VALU_DEP_1) | instskip(SKIP_1) | instid1(SALU_CYCLE_1)
	v_cmp_ne_u32_e32 vcc_lo, 0x7f800000, v6
                                        ; implicit-def: $vgpr6
	s_and_saveexec_b32 s3, vcc_lo
	s_xor_b32 s3, exec_lo, s3
; %bb.99:
	v_bfe_u32 v6, v134, 16, 1
	s_delay_alu instid0(VALU_DEP_1)
	v_add3_u32 v6, v134, v6, 0x7fff
; %bb.100:
	s_and_not1_saveexec_b32 s3, s3
; %bb.101:
	v_and_b32_e32 v6, 0xffff, v134
	v_or_b32_e32 v7, 0x10000, v134
	s_delay_alu instid0(VALU_DEP_2) | instskip(NEXT) | instid1(VALU_DEP_2)
	v_cmp_eq_u32_e32 vcc_lo, 0, v6
	v_cndmask_b32_e32 v6, v7, v134, vcc_lo
; %bb.102:
	s_or_b32 exec_lo, exec_lo, s3
	v_and_b32_e32 v7, 0x7f800000, v135
	s_delay_alu instid0(VALU_DEP_1) | instskip(SKIP_1) | instid1(SALU_CYCLE_1)
	v_cmp_ne_u32_e32 vcc_lo, 0x7f800000, v7
                                        ; implicit-def: $vgpr7
	s_and_saveexec_b32 s3, vcc_lo
	s_xor_b32 s3, exec_lo, s3
; %bb.103:
	v_bfe_u32 v7, v135, 16, 1
	s_delay_alu instid0(VALU_DEP_1)
	v_add3_u32 v7, v135, v7, 0x7fff
; %bb.104:
	s_and_not1_saveexec_b32 s3, s3
; %bb.105:
	v_and_b32_e32 v7, 0xffff, v135
	v_or_b32_e32 v8, 0x10000, v135
	s_delay_alu instid0(VALU_DEP_2) | instskip(NEXT) | instid1(VALU_DEP_2)
	v_cmp_eq_u32_e32 vcc_lo, 0, v7
	v_cndmask_b32_e32 v7, v8, v135, vcc_lo
; %bb.106:
	s_or_b32 exec_lo, exec_lo, s3
	v_and_b32_e32 v8, 0x7f800000, v136
	s_delay_alu instid0(VALU_DEP_1) | instskip(SKIP_1) | instid1(SALU_CYCLE_1)
	v_cmp_ne_u32_e32 vcc_lo, 0x7f800000, v8
                                        ; implicit-def: $vgpr8
	s_and_saveexec_b32 s3, vcc_lo
	s_xor_b32 s3, exec_lo, s3
; %bb.107:
	v_bfe_u32 v8, v136, 16, 1
	s_delay_alu instid0(VALU_DEP_1)
	v_add3_u32 v8, v136, v8, 0x7fff
                                        ; implicit-def: $vgpr129_vgpr130_vgpr131_vgpr132_vgpr133_vgpr134_vgpr135_vgpr136
; %bb.108:
	s_and_not1_saveexec_b32 s3, s3
; %bb.109:
	v_and_b32_e32 v8, 0xffff, v136
	v_or_b32_e32 v9, 0x10000, v136
	s_delay_alu instid0(VALU_DEP_2) | instskip(NEXT) | instid1(VALU_DEP_2)
	v_cmp_eq_u32_e32 vcc_lo, 0, v8
	v_cndmask_b32_e32 v8, v9, v136, vcc_lo
; %bb.110:
	s_or_b32 exec_lo, exec_lo, s3
	s_delay_alu instid0(VALU_DEP_1)
	v_perm_b32 v7, v8, v7, 0x7060302
	v_perm_b32 v6, v6, v5, 0x7060302
	;; [unrolled: 1-line block ×4, first 2 shown]
	v_lshl_or_b32 v9, v138, 4, v145
	s_barrier
	buffer_gl0_inv
	v_cmp_eq_u32_e32 vcc_lo, 1, v142
	ds_store_b128 v9, v[4:7]
	s_waitcnt lgkmcnt(0)
	s_barrier
	buffer_gl0_inv
	ds_load_b128 v[1:4], v145
	ds_load_b128 v[5:8], v145 offset:16
	v_cmp_eq_u32_e64 s4, 2, v142
	v_cmp_eq_u32_e64 s3, 1, v143
	;; [unrolled: 1-line block ×5, first 2 shown]
	s_waitcnt lgkmcnt(1)
	v_lshrrev_b32_e32 v10, 16, v1
	s_waitcnt lgkmcnt(0)
	v_lshrrev_b32_e32 v14, 16, v5
	v_lshrrev_b32_e32 v15, 16, v6
	v_lshrrev_b32_e32 v11, 16, v2
	v_lshrrev_b32_e32 v12, 16, v3
	v_cndmask_b32_e64 v20, v1, v10, s3
	v_cndmask_b32_e32 v19, v5, v14, vcc_lo
	v_cndmask_b32_e64 v21, v5, v14, s3
	v_lshrrev_b32_e32 v16, 16, v7
	v_cmp_eq_u32_e64 s3, 1, v141
	v_lshrrev_b32_e32 v13, 16, v4
	v_cndmask_b32_e64 v19, v19, v6, s4
	v_lshrrev_b32_e32 v17, 16, v8
	s_delay_alu instid0(VALU_DEP_4) | instskip(SKIP_1) | instid1(VALU_DEP_4)
	v_cndmask_b32_e64 v22, v1, v10, s3
	v_cndmask_b32_e64 v23, v5, v14, s3
	;; [unrolled: 1-line block ×3, first 2 shown]
	v_cndmask_b32_e32 v18, v1, v10, vcc_lo
	v_cmp_eq_u32_e32 vcc_lo, 2, v143
	v_cmp_eq_u32_e64 s3, 2, v146
	v_cndmask_b32_e64 v22, v22, v2, s7
	v_cndmask_b32_e32 v20, v20, v2, vcc_lo
	v_cndmask_b32_e32 v21, v21, v6, vcc_lo
	v_cmp_eq_u32_e32 vcc_lo, 4, v142
	v_cndmask_b32_e32 v19, v19, v7, vcc_lo
	v_cndmask_b32_e64 v18, v18, v2, s4
	v_cmp_eq_u32_e64 s4, 3, v143
	s_delay_alu instid0(VALU_DEP_2) | instskip(NEXT) | instid1(VALU_DEP_2)
	v_cndmask_b32_e64 v18, v18, v11, s5
	v_cndmask_b32_e64 v21, v21, v15, s4
	v_cmp_eq_u32_e64 s5, 5, v142
	s_delay_alu instid0(VALU_DEP_3) | instskip(SKIP_1) | instid1(VALU_DEP_3)
	v_cndmask_b32_e32 v18, v18, v3, vcc_lo
	v_cmp_eq_u32_e32 vcc_lo, 4, v143
	v_cndmask_b32_e64 v19, v19, v16, s5
	s_delay_alu instid0(VALU_DEP_3) | instskip(SKIP_4) | instid1(VALU_DEP_3)
	v_cndmask_b32_e64 v18, v18, v12, s5
	v_cndmask_b32_e32 v21, v21, v7, vcc_lo
	v_cndmask_b32_e64 v20, v20, v11, s4
	v_cmp_eq_u32_e64 s4, 5, v143
	v_cmp_eq_u32_e64 s5, 6, v142
	v_cndmask_b32_e32 v20, v20, v3, vcc_lo
	s_delay_alu instid0(VALU_DEP_3) | instskip(SKIP_1) | instid1(VALU_DEP_4)
	v_cndmask_b32_e64 v21, v21, v16, s4
	v_cmp_eq_u32_e32 vcc_lo, 6, v143
	v_cndmask_b32_e64 v18, v18, v4, s5
	v_cndmask_b32_e64 v19, v19, v8, s5
	;; [unrolled: 1-line block ×3, first 2 shown]
	v_cmp_eq_u32_e64 s4, 1, v146
	v_cmp_eq_u32_e64 s5, 7, v142
	s_delay_alu instid0(VALU_DEP_3) | instskip(NEXT) | instid1(VALU_DEP_3)
	v_cndmask_b32_e32 v20, v20, v4, vcc_lo
	v_cndmask_b32_e64 v1, v1, v10, s4
	v_cndmask_b32_e64 v5, v5, v14, s4
	v_cmp_eq_u32_e64 s4, 3, v141
	v_cndmask_b32_e64 v14, v23, v6, s7
	v_cmp_eq_u32_e64 s7, 3, v146
	v_cndmask_b32_e64 v1, v1, v2, s3
	v_cndmask_b32_e64 v2, v5, v6, s3
	;; [unrolled: 1-line block ×3, first 2 shown]
	v_cmp_eq_u32_e64 s3, 4, v141
	v_cndmask_b32_e64 v6, v14, v15, s4
	v_cndmask_b32_e64 v1, v1, v11, s7
	v_cmp_eq_u32_e64 s4, 4, v146
	v_cndmask_b32_e64 v2, v2, v15, s7
	v_cndmask_b32_e64 v5, v10, v3, s3
	;; [unrolled: 3-line block ×3, first 2 shown]
	v_cndmask_b32_e64 v2, v2, v7, s4
	v_cmp_eq_u32_e64 s3, 5, v146
	v_cndmask_b32_e64 v5, v5, v12, s7
	v_cmp_eq_u32_e64 s4, 6, v141
	;; [unrolled: 2-line block ×3, first 2 shown]
	v_cndmask_b32_e64 v1, v1, v12, s3
	v_cndmask_b32_e64 v2, v2, v16, s3
	;; [unrolled: 1-line block ×4, first 2 shown]
	v_cmp_eq_u32_e64 s3, 7, v146
	v_cndmask_b32_e64 v1, v1, v4, s7
	v_cndmask_b32_e64 v2, v2, v8, s7
	v_cmp_eq_u32_e64 s4, 7, v141
	v_cndmask_b32_e32 v4, v21, v8, vcc_lo
	v_cndmask_b32_e64 v18, v18, v13, s5
	v_cndmask_b32_e64 v20, v20, v13, s6
	;; [unrolled: 1-line block ×8, first 2 shown]
	s_mov_b32 s3, exec_lo
	v_perm_b32 v4, v2, v1, 0x5040100
	v_perm_b32 v3, v3, v5, 0x5040100
	;; [unrolled: 1-line block ×4, first 2 shown]
	ds_store_b128 v9, v[1:4]
	s_waitcnt lgkmcnt(0)
	s_barrier
	buffer_gl0_inv
	v_cmpx_gt_u32_e32 32, v0
	s_cbranch_execz .LBB590_2
; %bb.111:
	s_load_b64 s[4:5], s[0:1], 0x68
	v_lshlrev_b32_e32 v0, 10, v0
	v_lshlrev_b32_e32 v1, 4, v139
	s_lshl_b32 s0, s34, 7
	v_add_nc_u32_e32 v18, s31, v138
	s_mul_i32 s1, s0, s30
	s_delay_alu instid0(VALU_DEP_2) | instskip(SKIP_1) | instid1(VALU_DEP_2)
	v_and_or_b32 v0, 0x3800, v0, v1
	s_mul_i32 s6, s1, s8
	v_mul_lo_u32 v1, v18, s0
	s_ashr_i32 s7, s6, 31
	v_add_nc_u32_e32 v2, 2, v18
	v_lshl_or_b32 v19, v138, 6, v0
	s_lshl_b64 s[6:7], s[6:7], 1
	v_add_nc_u32_e32 v8, 4, v18
	v_add_nc_u32_e32 v15, 6, v18
	v_mul_lo_u32 v7, v2, s0
	ds_load_b128 v[3:6], v19
	v_ashrrev_i32_e32 v2, 31, v1
	v_mul_lo_u32 v11, v8, s0
	s_waitcnt lgkmcnt(0)
	s_add_u32 s1, s4, s6
	s_addc_u32 s3, s5, s7
	s_lshl_b32 s4, s14, 7
	v_lshlrev_b64 v[9:10], 1, v[1:2]
	s_ashr_i32 s5, s4, 31
	v_ashrrev_i32_e32 v8, 31, v7
	s_lshl_b64 s[4:5], s[4:5], 1
	v_ashrrev_i32_e32 v12, 31, v11
	s_add_u32 s1, s1, s4
	s_addc_u32 s3, s3, s5
	v_add_co_u32 v1, s1, s1, v137
	s_delay_alu instid0(VALU_DEP_1) | instskip(SKIP_1) | instid1(VALU_DEP_3)
	v_add_co_ci_u32_e64 v2, null, s3, 0, s1
	v_mul_lo_u32 v15, v15, s0
	v_add_co_u32 v13, vcc_lo, v1, v9
	s_delay_alu instid0(VALU_DEP_3)
	v_add_co_ci_u32_e32 v14, vcc_lo, v2, v10, vcc_lo
	v_lshlrev_b64 v[16:17], 1, v[7:8]
	ds_load_b128 v[7:10], v19 offset:128
	global_store_b128 v[13:14], v[3:6], off
	v_add_nc_u32_e32 v5, 8, v18
	v_lshlrev_b64 v[3:4], 1, v[11:12]
	v_add_co_u32 v23, vcc_lo, v1, v16
	v_ashrrev_i32_e32 v16, 31, v15
	s_delay_alu instid0(VALU_DEP_4) | instskip(SKIP_3) | instid1(VALU_DEP_3)
	v_mul_lo_u32 v25, v5, s0
	v_add_nc_u32_e32 v5, 10, v18
	v_add_co_ci_u32_e32 v24, vcc_lo, v2, v17, vcc_lo
	v_add_co_u32 v27, vcc_lo, v1, v3
	v_mul_lo_u32 v29, v5, s0
	v_add_co_ci_u32_e32 v28, vcc_lo, v2, v4, vcc_lo
	v_lshlrev_b64 v[31:32], 1, v[15:16]
	ds_load_b128 v[3:6], v19 offset:256
	ds_load_b128 v[11:14], v19 offset:384
	;; [unrolled: 1-line block ×4, first 2 shown]
	v_ashrrev_i32_e32 v26, 31, v25
	v_ashrrev_i32_e32 v30, 31, v29
	v_add_co_u32 v31, vcc_lo, v1, v31
	s_delay_alu instid0(VALU_DEP_3) | instskip(SKIP_1) | instid1(VALU_DEP_4)
	v_lshlrev_b64 v[25:26], 1, v[25:26]
	v_add_co_ci_u32_e32 v32, vcc_lo, v2, v32, vcc_lo
	v_lshlrev_b64 v[29:30], 1, v[29:30]
	s_delay_alu instid0(VALU_DEP_3) | instskip(NEXT) | instid1(VALU_DEP_4)
	v_add_co_u32 v25, vcc_lo, v1, v25
	v_add_co_ci_u32_e32 v26, vcc_lo, v2, v26, vcc_lo
	s_delay_alu instid0(VALU_DEP_3) | instskip(NEXT) | instid1(VALU_DEP_4)
	v_add_co_u32 v29, vcc_lo, v1, v29
	v_add_co_ci_u32_e32 v30, vcc_lo, v2, v30, vcc_lo
	s_waitcnt lgkmcnt(4)
	global_store_b128 v[23:24], v[7:10], off
	s_waitcnt lgkmcnt(3)
	global_store_b128 v[27:28], v[3:6], off
	;; [unrolled: 2-line block ×5, first 2 shown]
	s_and_b32 exec_lo, exec_lo, s2
	s_cbranch_execz .LBB590_2
; %bb.112:
	ds_load_b128 v[3:6], v0 offset:768
	s_add_i32 s1, s31, 12
	s_delay_alu instid0(SALU_CYCLE_1) | instskip(NEXT) | instid1(SALU_CYCLE_1)
	s_mul_i32 s0, s1, s0
	s_ashr_i32 s1, s0, 31
	s_delay_alu instid0(SALU_CYCLE_1) | instskip(NEXT) | instid1(SALU_CYCLE_1)
	s_lshl_b64 s[0:1], s[0:1], 1
	v_add_co_u32 v0, vcc_lo, v1, s0
	v_add_co_ci_u32_e32 v1, vcc_lo, s1, v2, vcc_lo
	s_waitcnt lgkmcnt(0)
	global_store_b128 v[0:1], v[3:6], off
	s_nop 0
	s_sendmsg sendmsg(MSG_DEALLOC_VGPRS)
	s_endpgm
	.section	.rodata,"a",@progbits
	.p2align	6, 0x0
	.amdhsa_kernel _Z39paged_attention_ll4mi_QKV_mfma16_kernelI14__hip_bfloat16S0_LN4vllm18Fp8KVCacheDataTypeE0EhLi16ELi128ELi256ELb1ELi13EL8MFMAType0EEvPKT_PKT0_S9_ifPKiSB_SB_iPKfiiiPfSE_PS4_PT2_iSD_SD_
		.amdhsa_group_segment_fixed_size 17472
		.amdhsa_private_segment_fixed_size 0
		.amdhsa_kernarg_size 400
		.amdhsa_user_sgpr_count 13
		.amdhsa_user_sgpr_dispatch_ptr 0
		.amdhsa_user_sgpr_queue_ptr 0
		.amdhsa_user_sgpr_kernarg_segment_ptr 1
		.amdhsa_user_sgpr_dispatch_id 0
		.amdhsa_user_sgpr_private_segment_size 0
		.amdhsa_wavefront_size32 1
		.amdhsa_uses_dynamic_stack 0
		.amdhsa_enable_private_segment 0
		.amdhsa_system_sgpr_workgroup_id_x 1
		.amdhsa_system_sgpr_workgroup_id_y 1
		.amdhsa_system_sgpr_workgroup_id_z 1
		.amdhsa_system_sgpr_workgroup_info 0
		.amdhsa_system_vgpr_workitem_id 0
		.amdhsa_next_free_vgpr 218
		.amdhsa_next_free_sgpr 50
		.amdhsa_reserve_vcc 1
		.amdhsa_float_round_mode_32 0
		.amdhsa_float_round_mode_16_64 0
		.amdhsa_float_denorm_mode_32 3
		.amdhsa_float_denorm_mode_16_64 3
		.amdhsa_dx10_clamp 1
		.amdhsa_ieee_mode 1
		.amdhsa_fp16_overflow 0
		.amdhsa_workgroup_processor_mode 1
		.amdhsa_memory_ordered 1
		.amdhsa_forward_progress 0
		.amdhsa_shared_vgpr_count 0
		.amdhsa_exception_fp_ieee_invalid_op 0
		.amdhsa_exception_fp_denorm_src 0
		.amdhsa_exception_fp_ieee_div_zero 0
		.amdhsa_exception_fp_ieee_overflow 0
		.amdhsa_exception_fp_ieee_underflow 0
		.amdhsa_exception_fp_ieee_inexact 0
		.amdhsa_exception_int_div_zero 0
	.end_amdhsa_kernel
	.section	.text._Z39paged_attention_ll4mi_QKV_mfma16_kernelI14__hip_bfloat16S0_LN4vllm18Fp8KVCacheDataTypeE0EhLi16ELi128ELi256ELb1ELi13EL8MFMAType0EEvPKT_PKT0_S9_ifPKiSB_SB_iPKfiiiPfSE_PS4_PT2_iSD_SD_,"axG",@progbits,_Z39paged_attention_ll4mi_QKV_mfma16_kernelI14__hip_bfloat16S0_LN4vllm18Fp8KVCacheDataTypeE0EhLi16ELi128ELi256ELb1ELi13EL8MFMAType0EEvPKT_PKT0_S9_ifPKiSB_SB_iPKfiiiPfSE_PS4_PT2_iSD_SD_,comdat
.Lfunc_end590:
	.size	_Z39paged_attention_ll4mi_QKV_mfma16_kernelI14__hip_bfloat16S0_LN4vllm18Fp8KVCacheDataTypeE0EhLi16ELi128ELi256ELb1ELi13EL8MFMAType0EEvPKT_PKT0_S9_ifPKiSB_SB_iPKfiiiPfSE_PS4_PT2_iSD_SD_, .Lfunc_end590-_Z39paged_attention_ll4mi_QKV_mfma16_kernelI14__hip_bfloat16S0_LN4vllm18Fp8KVCacheDataTypeE0EhLi16ELi128ELi256ELb1ELi13EL8MFMAType0EEvPKT_PKT0_S9_ifPKiSB_SB_iPKfiiiPfSE_PS4_PT2_iSD_SD_
                                        ; -- End function
	.section	.AMDGPU.csdata,"",@progbits
; Kernel info:
; codeLenInByte = 10444
; NumSgprs: 52
; NumVgprs: 218
; ScratchSize: 0
; MemoryBound: 0
; FloatMode: 240
; IeeeMode: 1
; LDSByteSize: 17472 bytes/workgroup (compile time only)
; SGPRBlocks: 6
; VGPRBlocks: 27
; NumSGPRsForWavesPerEU: 52
; NumVGPRsForWavesPerEU: 218
; Occupancy: 6
; WaveLimiterHint : 1
; COMPUTE_PGM_RSRC2:SCRATCH_EN: 0
; COMPUTE_PGM_RSRC2:USER_SGPR: 13
; COMPUTE_PGM_RSRC2:TRAP_HANDLER: 0
; COMPUTE_PGM_RSRC2:TGID_X_EN: 1
; COMPUTE_PGM_RSRC2:TGID_Y_EN: 1
; COMPUTE_PGM_RSRC2:TGID_Z_EN: 1
; COMPUTE_PGM_RSRC2:TIDIG_COMP_CNT: 0
	.section	.text._Z39paged_attention_ll4mi_QKV_mfma16_kernelI14__hip_bfloat16S0_LN4vllm18Fp8KVCacheDataTypeE0EhLi16ELi128ELi256ELb1ELi14EL8MFMAType0EEvPKT_PKT0_S9_ifPKiSB_SB_iPKfiiiPfSE_PS4_PT2_iSD_SD_,"axG",@progbits,_Z39paged_attention_ll4mi_QKV_mfma16_kernelI14__hip_bfloat16S0_LN4vllm18Fp8KVCacheDataTypeE0EhLi16ELi128ELi256ELb1ELi14EL8MFMAType0EEvPKT_PKT0_S9_ifPKiSB_SB_iPKfiiiPfSE_PS4_PT2_iSD_SD_,comdat
	.protected	_Z39paged_attention_ll4mi_QKV_mfma16_kernelI14__hip_bfloat16S0_LN4vllm18Fp8KVCacheDataTypeE0EhLi16ELi128ELi256ELb1ELi14EL8MFMAType0EEvPKT_PKT0_S9_ifPKiSB_SB_iPKfiiiPfSE_PS4_PT2_iSD_SD_ ; -- Begin function _Z39paged_attention_ll4mi_QKV_mfma16_kernelI14__hip_bfloat16S0_LN4vllm18Fp8KVCacheDataTypeE0EhLi16ELi128ELi256ELb1ELi14EL8MFMAType0EEvPKT_PKT0_S9_ifPKiSB_SB_iPKfiiiPfSE_PS4_PT2_iSD_SD_
	.globl	_Z39paged_attention_ll4mi_QKV_mfma16_kernelI14__hip_bfloat16S0_LN4vllm18Fp8KVCacheDataTypeE0EhLi16ELi128ELi256ELb1ELi14EL8MFMAType0EEvPKT_PKT0_S9_ifPKiSB_SB_iPKfiiiPfSE_PS4_PT2_iSD_SD_
	.p2align	8
	.type	_Z39paged_attention_ll4mi_QKV_mfma16_kernelI14__hip_bfloat16S0_LN4vllm18Fp8KVCacheDataTypeE0EhLi16ELi128ELi256ELb1ELi14EL8MFMAType0EEvPKT_PKT0_S9_ifPKiSB_SB_iPKfiiiPfSE_PS4_PT2_iSD_SD_,@function
_Z39paged_attention_ll4mi_QKV_mfma16_kernelI14__hip_bfloat16S0_LN4vllm18Fp8KVCacheDataTypeE0EhLi16ELi128ELi256ELb1ELi14EL8MFMAType0EEvPKT_PKT0_S9_ifPKiSB_SB_iPKfiiiPfSE_PS4_PT2_iSD_SD_: ; @_Z39paged_attention_ll4mi_QKV_mfma16_kernelI14__hip_bfloat16S0_LN4vllm18Fp8KVCacheDataTypeE0EhLi16ELi128ELi256ELb1ELi14EL8MFMAType0EEvPKT_PKT0_S9_ifPKiSB_SB_iPKfiiiPfSE_PS4_PT2_iSD_SD_
; %bb.0:
	s_load_b64 s[4:5], s[0:1], 0x30
	s_mov_b32 s30, s13
	s_waitcnt lgkmcnt(0)
	s_cmp_lg_u64 s[4:5], 0
	s_cselect_b32 s8, -1, 0
	s_ashr_i32 s31, s13, 31
	s_cmp_eq_u64 s[4:5], 0
	s_cbranch_scc1 .LBB591_3
; %bb.1:
	s_lshl_b64 s[2:3], s[30:31], 2
	s_delay_alu instid0(SALU_CYCLE_1) | instskip(SKIP_4) | instid1(SALU_CYCLE_1)
	s_add_u32 s2, s4, s2
	s_addc_u32 s3, s5, s3
	s_load_b64 s[2:3], s[2:3], 0x0
	s_waitcnt lgkmcnt(0)
	s_sub_i32 s2, s3, s2
	s_cmp_eq_u32 s2, 1
	s_cselect_b32 s2, -1, 0
	s_delay_alu instid0(SALU_CYCLE_1)
	s_and_not1_b32 vcc_lo, exec_lo, s2
	s_cbranch_vccz .LBB591_4
.LBB591_2:
	s_endpgm
.LBB591_3:
.LBB591_4:
	s_load_b64 s[2:3], s[0:1], 0x28
	s_lshl_b64 s[6:7], s[30:31], 2
	s_waitcnt lgkmcnt(0)
	s_add_u32 s2, s2, s6
	s_addc_u32 s3, s3, s7
	s_lshl_b32 s31, s14, 8
	s_load_b32 s28, s[2:3], 0x0
	s_waitcnt lgkmcnt(0)
	s_cmp_ge_i32 s31, s28
	s_cbranch_scc1 .LBB591_2
; %bb.5:
	s_clause 0x1
	s_load_b128 s[20:23], s[0:1], 0x8
	s_load_b64 s[2:3], s[0:1], 0x20
	s_and_not1_b32 vcc_lo, exec_lo, s8
	s_cbranch_vccnz .LBB591_7
; %bb.6:
	s_add_u32 s4, s4, s6
	s_addc_u32 s5, s5, s7
	s_load_b32 s5, s[4:5], 0x0
	s_branch .LBB591_8
.LBB591_7:
	s_mov_b32 s5, s30
.LBB591_8:
	s_load_b128 s[16:19], s[0:1], 0x48
	v_and_b32_e32 v140, 15, v0
	v_lshrrev_b32_e32 v141, 5, v0
	v_and_b32_e32 v142, 31, v0
	v_and_b32_e32 v139, 1, v0
	v_bfe_u32 v138, v0, 4, 1
	v_lshlrev_b32_e32 v1, 3, v140
	s_mul_i32 s29, s15, 14
	s_mov_b32 s4, exec_lo
	s_delay_alu instid0(VALU_DEP_1)
	v_lshlrev_b32_e32 v137, 1, v1
	v_cmpx_gt_u32_e32 0xe0, v0
	s_cbranch_execz .LBB591_10
; %bb.9:
	s_load_b64 s[6:7], s[0:1], 0x0
	v_lshl_or_b32 v5, v141, 1, v138
	s_waitcnt lgkmcnt(0)
	s_mul_hi_i32 s9, s5, s16
	s_mul_i32 s8, s5, s16
	v_lshlrev_b32_e32 v6, 10, v140
	s_lshl_b64 s[8:9], s[8:9], 1
	v_add_lshl_u32 v1, v5, s29, 7
	v_lshlrev_b32_e32 v5, 6, v5
	v_lshlrev_b32_e32 v7, 10, v139
	v_and_b32_e32 v6, 0x3800, v6
	s_delay_alu instid0(VALU_DEP_4) | instskip(NEXT) | instid1(VALU_DEP_2)
	v_ashrrev_i32_e32 v2, 31, v1
	v_or3_b32 v5, v6, v7, v5
	s_delay_alu instid0(VALU_DEP_2) | instskip(SKIP_2) | instid1(VALU_DEP_1)
	v_lshlrev_b64 v[1:2], 1, v[1:2]
	s_add_u32 s5, s6, s8
	s_addc_u32 s6, s7, s9
	v_add_co_u32 v1, vcc_lo, s5, v1
	s_delay_alu instid0(VALU_DEP_2) | instskip(NEXT) | instid1(VALU_DEP_2)
	v_add_co_ci_u32_e32 v2, vcc_lo, s6, v2, vcc_lo
	v_add_co_u32 v1, vcc_lo, v1, v137
	s_delay_alu instid0(VALU_DEP_2)
	v_add_co_ci_u32_e32 v2, vcc_lo, 0, v2, vcc_lo
	global_load_b128 v[1:4], v[1:2], off
	s_waitcnt vmcnt(0)
	ds_store_b128 v5, v[1:4]
.LBB591_10:
	s_or_b32 exec_lo, exec_lo, s4
	v_and_b32_e32 v1, 0xef, v0
	s_waitcnt lgkmcnt(0)
	s_add_i32 s5, s28, 15
	s_clause 0x1
	s_load_b32 s4, s[0:1], 0x38
	s_load_b32 s33, s[0:1], 0x1c
	s_ashr_i32 s6, s5, 31
	v_add_nc_u32_e32 v1, s31, v1
	s_lshr_b32 s6, s6, 28
	s_waitcnt lgkmcnt(0)
	s_add_i32 s5, s5, s6
	s_barrier
	v_ashrrev_i32_e32 v2, 31, v1
	v_cmp_gt_i32_e32 vcc_lo, s28, v1
	s_ashr_i32 s16, s5, 4
	buffer_gl0_inv
	s_add_i32 s16, s16, -1
	v_lshrrev_b32_e32 v3, 28, v2
	v_or_b32_e32 v2, 16, v1
	v_add_nc_u32_e32 v105, -14, v140
	v_lshlrev_b32_e32 v106, 5, v140
	s_delay_alu instid0(VALU_DEP_4) | instskip(NEXT) | instid1(VALU_DEP_4)
	v_add_nc_u32_e32 v4, v1, v3
	v_add_nc_u32_e32 v3, v2, v3
	s_mul_i32 s4, s30, s4
	s_delay_alu instid0(VALU_DEP_3) | instskip(SKIP_4) | instid1(SALU_CYCLE_1)
	v_lshl_or_b32 v125, v141, 9, v106
	s_ashr_i32 s5, s4, 31
	v_ashrrev_i32_e32 v4, 4, v4
	v_ashrrev_i32_e32 v3, 4, v3
	s_lshl_b64 s[4:5], s[4:5], 2
	s_add_u32 s34, s2, s4
	s_delay_alu instid0(VALU_DEP_2) | instskip(SKIP_3) | instid1(VALU_DEP_2)
	v_cndmask_b32_e32 v1, s16, v4, vcc_lo
	v_cmp_gt_i32_e32 vcc_lo, s28, v2
	s_addc_u32 s35, s3, s5
	s_mul_i32 s2, s15, s18
	v_ashrrev_i32_e32 v2, 31, v1
	v_cndmask_b32_e32 v3, s16, v3, vcc_lo
	s_ashr_i32 s3, s2, 31
	s_delay_alu instid0(SALU_CYCLE_1) | instskip(NEXT) | instid1(VALU_DEP_2)
	s_lshl_b64 s[2:3], s[2:3], 1
	v_lshlrev_b64 v[1:2], 2, v[1:2]
	s_delay_alu instid0(VALU_DEP_2) | instskip(SKIP_3) | instid1(VALU_DEP_1)
	v_ashrrev_i32_e32 v4, 31, v3
	s_add_u32 s24, s20, s2
	s_addc_u32 s25, s21, s3
	s_lshl_b32 s4, s14, 4
	v_lshlrev_b64 v[3:4], 2, v[3:4]
	v_add_co_u32 v1, vcc_lo, s34, v1
	v_add_co_ci_u32_e32 v2, vcc_lo, s35, v2, vcc_lo
	s_ashr_i32 s5, s4, 31
	s_delay_alu instid0(VALU_DEP_3) | instskip(NEXT) | instid1(VALU_DEP_4)
	v_add_co_u32 v3, vcc_lo, s34, v3
	v_add_co_ci_u32_e32 v4, vcc_lo, s35, v4, vcc_lo
	s_lshl_b64 s[4:5], s[4:5], 2
	s_clause 0x1
	global_load_b32 v5, v[1:2], off
	global_load_b32 v6, v[3:4], off
	s_add_u32 s4, s34, s4
	s_addc_u32 s5, s35, s5
	s_or_b32 s6, s31, 16
	v_lshlrev_b32_e32 v3, 4, v0
	s_ashr_i32 s7, s6, 4
	s_cmp_lt_i32 s6, s28
	s_cselect_b32 s6, s7, s16
	s_delay_alu instid0(SALU_CYCLE_1) | instskip(NEXT) | instid1(SALU_CYCLE_1)
	s_ashr_i32 s7, s6, 31
	s_lshl_b64 s[6:7], s[6:7], 2
	s_delay_alu instid0(SALU_CYCLE_1) | instskip(SKIP_2) | instid1(SALU_CYCLE_1)
	s_add_u32 s6, s34, s6
	s_addc_u32 s7, s35, s7
	s_or_b32 s8, s31, 32
	s_ashr_i32 s9, s8, 4
	s_cmp_lt_i32 s8, s28
	s_cselect_b32 s8, s9, s16
	s_delay_alu instid0(SALU_CYCLE_1) | instskip(NEXT) | instid1(SALU_CYCLE_1)
	s_ashr_i32 s9, s8, 31
	s_lshl_b64 s[8:9], s[8:9], 2
	s_delay_alu instid0(SALU_CYCLE_1) | instskip(SKIP_2) | instid1(SALU_CYCLE_1)
	s_add_u32 s8, s34, s8
	s_addc_u32 s9, s35, s9
	s_or_b32 s10, s31, 48
	;; [unrolled: 10-line block ×4, first 2 shown]
	s_ashr_i32 s13, s12, 4
	s_cmp_lt_i32 s12, s28
	s_cselect_b32 s12, s13, s16
	s_delay_alu instid0(SALU_CYCLE_1) | instskip(NEXT) | instid1(SALU_CYCLE_1)
	s_ashr_i32 s13, s12, 31
	s_lshl_b64 s[12:13], s[12:13], 2
	s_delay_alu instid0(SALU_CYCLE_1)
	s_add_u32 s20, s34, s12
	s_addc_u32 s21, s35, s13
	s_clause 0x5
	s_load_b32 s36, s[4:5], 0x0
	s_load_b32 s27, s[6:7], 0x0
	;; [unrolled: 1-line block ×6, first 2 shown]
	s_waitcnt vmcnt(1)
	v_mad_i64_i32 v[1:2], null, v5, s17, 0
	v_and_b32_e32 v5, 0xf0, v3
	s_waitcnt vmcnt(0)
	v_mad_i64_i32 v[3:4], null, v6, s17, 0
	s_delay_alu instid0(VALU_DEP_2) | instskip(NEXT) | instid1(VALU_DEP_4)
	v_add_co_u32 v5, s4, s24, v5
	v_lshlrev_b64 v[1:2], 1, v[1:2]
	v_add_co_ci_u32_e64 v6, null, s25, 0, s4
	s_delay_alu instid0(VALU_DEP_4) | instskip(SKIP_1) | instid1(VALU_DEP_3)
	v_lshlrev_b64 v[3:4], 1, v[3:4]
	s_or_b32 s4, s31, 0x60
	v_add_co_u32 v121, vcc_lo, v5, v1
	s_delay_alu instid0(VALU_DEP_3) | instskip(NEXT) | instid1(VALU_DEP_3)
	v_add_co_ci_u32_e32 v122, vcc_lo, v6, v2, vcc_lo
	v_add_co_u32 v123, vcc_lo, v5, v3
	s_delay_alu instid0(VALU_DEP_4)
	v_add_co_ci_u32_e32 v124, vcc_lo, v6, v4, vcc_lo
	s_clause 0x19
	global_load_b128 v[89:92], v[121:122], off
	global_load_b128 v[93:96], v[121:122], off offset:256
	global_load_b128 v[97:100], v[123:124], off
	global_load_b128 v[101:104], v[123:124], off offset:256
	global_load_b128 v[81:84], v[121:122], off offset:512
	;; [unrolled: 1-line block ×23, first 2 shown]
	s_ashr_i32 s5, s4, 4
	s_cmp_lt_i32 s4, s28
	v_cmp_gt_u32_e32 vcc_lo, 14, v140
	s_cselect_b32 s4, s5, s16
	s_delay_alu instid0(SALU_CYCLE_1) | instskip(NEXT) | instid1(SALU_CYCLE_1)
	s_ashr_i32 s5, s4, 31
	s_lshl_b64 s[4:5], s[4:5], 2
	v_cndmask_b32_e32 v105, v105, v140, vcc_lo
	s_add_u32 s18, s34, s4
	s_addc_u32 s19, s35, s5
	s_or_b32 s4, s31, 0x70
	s_delay_alu instid0(SALU_CYCLE_1)
	s_ashr_i32 s5, s4, 4
	s_cmp_lt_i32 s4, s28
	v_lshlrev_b32_e32 v215, 6, v105
	s_cselect_b32 s6, s5, s16
	ds_load_b128 v[105:108], v215
	ds_load_b128 v[109:112], v215 offset:1024
	s_ashr_i32 s7, s6, 31
	ds_load_b128 v[113:116], v215 offset:2048
	ds_load_b128 v[117:120], v215 offset:3072
	;; [unrolled: 1-line block ×8, first 2 shown]
	s_clause 0x1
	global_load_b128 v[167:170], v[123:124], off offset:3072
	global_load_b128 v[171:174], v[123:124], off offset:3328
	s_lshl_b64 s[6:7], s[6:7], 2
	s_mov_b32 s4, 0
	s_add_u32 s20, s34, s6
	s_addc_u32 s21, s35, s7
	s_clause 0x1
	s_load_b32 s42, s[18:19], 0x0
	s_load_b32 s43, s[20:21], 0x0
	s_clause 0x3
	global_load_b128 v[175:178], v[121:122], off offset:3584
	global_load_b128 v[179:182], v[121:122], off offset:3840
	;; [unrolled: 1-line block ×4, first 2 shown]
	s_or_b32 s7, s31, 0x80
	s_mov_b32 s5, s4
	s_ashr_i32 s8, s7, 4
	s_cmp_lt_i32 s7, s28
	s_mov_b32 s6, s4
	s_cselect_b32 s10, s8, s16
	s_mov_b32 s7, s4
	s_ashr_i32 s11, s10, 31
	s_mov_b32 s8, s4
	s_lshl_b64 s[24:25], s[10:11], 2
	s_mov_b32 s9, s4
	s_add_u32 s24, s34, s24
	s_addc_u32 s25, s35, s25
	s_or_b32 s11, s31, 0x90
	s_mov_b32 s10, s4
	s_ashr_i32 s37, s11, 4
	s_cmp_lt_i32 s11, s28
	s_mov_b32 s11, s4
	s_cselect_b32 s38, s37, s16
	v_mov_b32_e32 v136, s11
	s_ashr_i32 s39, s38, 31
	v_dual_mov_b32 v135, s10 :: v_dual_mov_b32 v134, s9
	v_dual_mov_b32 v133, s8 :: v_dual_mov_b32 v132, s7
	;; [unrolled: 1-line block ×3, first 2 shown]
	v_mov_b32_e32 v129, s4
	s_lshl_b64 s[4:5], s[38:39], 2
	s_waitcnt lgkmcnt(0)
	s_mul_hi_i32 s7, s27, s17
	s_add_u32 s38, s34, s4
	s_addc_u32 s39, s35, s5
	s_or_b32 s4, s31, 0xa0
	s_load_b32 s39, s[38:39], 0x0
	s_ashr_i32 s5, s4, 4
	s_cmp_lt_i32 s4, s28
	s_cselect_b32 s4, s5, s16
	s_delay_alu instid0(SALU_CYCLE_1) | instskip(NEXT) | instid1(SALU_CYCLE_1)
	s_ashr_i32 s5, s4, 31
	s_lshl_b64 s[4:5], s[4:5], 2
	s_delay_alu instid0(SALU_CYCLE_1)
	s_add_u32 s40, s34, s4
	s_addc_u32 s41, s35, s5
	s_or_b32 s4, s31, 0xb0
	s_mul_hi_i32 s5, s36, s17
	s_ashr_i32 s6, s4, 4
	s_cmp_lt_i32 s4, s28
	s_mul_i32 s4, s36, s17
	s_cselect_b32 s8, s6, s16
	s_mul_i32 s6, s27, s17
	s_ashr_i32 s9, s8, 31
	s_load_b32 s38, s[40:41], 0x0
	s_lshl_b64 s[10:11], s[8:9], 2
	s_mul_hi_i32 s9, s26, s17
	s_add_u32 s36, s34, s10
	s_addc_u32 s37, s35, s11
	s_or_b32 s10, s31, 0xc0
	s_mul_i32 s8, s26, s17
	s_ashr_i32 s26, s10, 4
	s_cmp_lt_i32 s10, s28
	s_mul_hi_i32 s11, s13, s17
	s_cselect_b32 s26, s26, s16
	s_mul_i32 s10, s13, s17
	s_ashr_i32 s27, s26, 31
	s_mul_hi_i32 s13, s12, s17
	s_lshl_b64 s[26:27], s[26:27], 2
	s_mul_i32 s12, s12, s17
	s_add_u32 s20, s34, s26
	s_addc_u32 s21, s35, s27
	s_or_b32 s18, s31, 0xd0
	s_load_b32 s26, s[24:25], 0x0
	s_ashr_i32 s19, s18, 4
	s_cmp_lt_i32 s18, s28
	s_mul_i32 s18, s15, s17
	s_cselect_b32 s24, s19, s16
	s_mul_hi_i32 s19, s15, s17
	s_ashr_i32 s25, s24, 31
	s_waitcnt lgkmcnt(0)
	s_mul_hi_i32 s41, s39, s17
	s_lshl_b64 s[24:25], s[24:25], 2
	s_delay_alu instid0(SALU_CYCLE_1)
	s_add_u32 s24, s34, s24
	s_addc_u32 s25, s35, s25
	s_or_b32 s40, s31, 0xe0
	s_clause 0x2
	s_load_b32 s37, s[36:37], 0x0
	s_load_b32 s36, s[20:21], 0x0
	;; [unrolled: 1-line block ×3, first 2 shown]
	s_ashr_i32 s44, s40, 4
	s_cmp_lt_i32 s40, s28
	s_mul_hi_i32 s21, s42, s17
	s_mul_i32 s20, s42, s17
	s_cselect_b32 s42, s44, s16
	s_mul_hi_i32 s25, s43, s17
	s_mul_i32 s24, s43, s17
	s_ashr_i32 s43, s42, 31
	s_mul_hi_i32 s27, s26, s17
	s_lshl_b64 s[42:43], s[42:43], 2
	s_mul_i32 s26, s26, s17
	s_add_u32 s42, s34, s42
	s_addc_u32 s43, s35, s43
	s_or_b32 s44, s31, 0xf0
	s_mul_i32 s40, s39, s17
	s_ashr_i32 s46, s44, 4
	s_cmp_lt_i32 s44, s28
	s_mul_hi_i32 s39, s38, s17
	s_cselect_b32 s46, s46, s16
	s_waitcnt lgkmcnt(0)
	s_mul_hi_i32 s49, s15, s17
	s_ashr_i32 s47, s46, 31
	s_mul_i32 s48, s15, s17
	s_lshl_b64 s[46:47], s[46:47], 2
	s_mul_i32 s38, s38, s17
	s_add_u32 s34, s34, s46
	s_addc_u32 s35, s35, s47
	s_add_u32 s15, s22, s2
	s_addc_u32 s16, s23, s3
	v_add_co_u32 v216, s15, s15, v125
	s_delay_alu instid0(VALU_DEP_1) | instskip(SKIP_2) | instid1(VALU_DEP_2)
	v_add_co_ci_u32_e64 v217, null, s16, 0, s15
	s_lshl_b64 s[2:3], s[4:5], 1
	s_lshl_b64 s[4:5], s[6:7], 1
	v_add_co_u32 v125, vcc_lo, v216, s2
	s_delay_alu instid0(VALU_DEP_2)
	v_add_co_ci_u32_e32 v126, vcc_lo, s3, v217, vcc_lo
	v_add_co_u32 v199, vcc_lo, v216, s4
	s_lshl_b64 s[6:7], s[8:9], 1
	v_add_co_ci_u32_e32 v200, vcc_lo, s5, v217, vcc_lo
	s_lshl_b64 s[8:9], s[10:11], 1
	s_lshl_b64 s[10:11], s[12:13], 1
	s_lshl_b64 s[12:13], s[18:19], 1
	s_lshl_b64 s[18:19], s[20:21], 1
	s_lshl_b64 s[20:21], s[24:25], 1
	s_lshl_b64 s[22:23], s[26:27], 1
	s_lshl_b64 s[24:25], s[40:41], 1
	s_lshl_b64 s[26:27], s[38:39], 1
	s_mul_hi_i32 s45, s37, s17
	s_mul_i32 s44, s37, s17
	s_mul_hi_i32 s37, s36, s17
	s_lshl_b64 s[38:39], s[44:45], 1
	s_mul_i32 s36, s36, s17
	s_clause 0x1
	s_load_b32 s15, s[42:43], 0x0
	s_load_b32 s16, s[34:35], 0x0
	s_lshl_b64 s[36:37], s[36:37], 1
	s_lshl_b64 s[40:41], s[48:49], 1
	s_waitcnt lgkmcnt(0)
	s_mul_hi_i32 s3, s15, s17
	s_mul_i32 s2, s15, s17
	s_mul_hi_i32 s5, s16, s17
	s_lshl_b64 s[2:3], s[2:3], 1
	s_mul_i32 s4, s16, s17
	s_waitcnt vmcnt(30)
	v_wmma_f32_16x16x16_bf16 v[191:198], v[89:96], v[105:112], v[129:136]
	v_add_co_u32 v89, vcc_lo, v216, s6
	v_add_co_ci_u32_e32 v90, vcc_lo, s7, v217, vcc_lo
	v_add_co_u32 v91, vcc_lo, v216, s8
	v_add_co_ci_u32_e32 v92, vcc_lo, s9, v217, vcc_lo
	;; [unrolled: 2-line block ×5, first 2 shown]
	v_add_co_u32 v205, vcc_lo, v216, s20
	s_waitcnt vmcnt(28)
	v_wmma_f32_16x16x16_bf16 v[129:136], v[97:104], v[105:112], v[129:136]
	v_add_co_ci_u32_e32 v206, vcc_lo, s21, v217, vcc_lo
	v_add_co_u32 v207, vcc_lo, v216, s22
	v_add_co_ci_u32_e32 v208, vcc_lo, s23, v217, vcc_lo
	v_add_co_u32 v209, vcc_lo, v216, s24
	s_waitcnt vmcnt(26)
	v_wmma_f32_16x16x16_bf16 v[191:198], v[81:88], v[113:120], v[191:198]
	s_waitcnt vmcnt(24)
	v_wmma_f32_16x16x16_bf16 v[129:136], v[73:80], v[113:120], v[129:136]
	v_add_co_ci_u32_e32 v210, vcc_lo, s25, v217, vcc_lo
	v_add_co_u32 v211, vcc_lo, v216, s26
	v_add_co_ci_u32_e32 v212, vcc_lo, s27, v217, vcc_lo
	v_add_co_u32 v213, vcc_lo, v216, s38
	s_waitcnt vmcnt(22)
	v_wmma_f32_16x16x16_bf16 v[191:198], v[65:72], v[143:150], v[191:198]
	s_waitcnt vmcnt(20)
	v_wmma_f32_16x16x16_bf16 v[129:136], v[57:64], v[143:150], v[129:136]
	v_add_co_ci_u32_e32 v214, vcc_lo, s39, v217, vcc_lo
	v_add_co_u32 v143, vcc_lo, v216, s36
	s_waitcnt vmcnt(18)
	v_wmma_f32_16x16x16_bf16 v[191:198], v[49:56], v[151:158], v[191:198]
	s_waitcnt vmcnt(16)
	v_wmma_f32_16x16x16_bf16 v[129:136], v[41:48], v[151:158], v[129:136]
	v_add_co_ci_u32_e32 v144, vcc_lo, s37, v217, vcc_lo
	s_clause 0x15
	global_load_b128 v[121:124], v[125:126], off
	global_load_b128 v[125:128], v[125:126], off offset:16
	global_load_b128 v[113:116], v[199:200], off
	global_load_b128 v[117:120], v[199:200], off offset:16
	;; [unrolled: 2-line block ×11, first 2 shown]
	s_waitcnt vmcnt(36)
	v_wmma_f32_16x16x16_bf16 v[191:198], v[17:24], v[159:166], v[191:198]
	s_clause 0x1
	global_load_b128 v[17:20], v[213:214], off
	global_load_b128 v[21:24], v[213:214], off offset:16
	s_waitcnt vmcnt(36)
	v_wmma_f32_16x16x16_bf16 v[129:136], v[1:8], v[159:166], v[129:136]
	s_clause 0x1
	global_load_b128 v[1:4], v[143:144], off
	global_load_b128 v[5:8], v[143:144], off offset:16
	ds_load_b128 v[143:146], v215 offset:10240
	ds_load_b128 v[147:150], v215 offset:11264
	;; [unrolled: 1-line block ×4, first 2 shown]
	v_add_co_u32 v199, vcc_lo, v216, s40
	v_add_co_ci_u32_e32 v200, vcc_lo, s41, v217, vcc_lo
	v_add_co_u32 v159, vcc_lo, v216, s2
	v_add_co_ci_u32_e32 v160, vcc_lo, s3, v217, vcc_lo
	s_lshl_b64 s[2:3], s[4:5], 1
	s_delay_alu instid0(SALU_CYCLE_1)
	v_add_co_u32 v161, vcc_lo, v216, s2
	v_add_co_ci_u32_e32 v162, vcc_lo, s3, v217, vcc_lo
	s_waitcnt vmcnt(36) lgkmcnt(2)
	v_wmma_f32_16x16x16_bf16 v[191:198], v[25:32], v[143:150], v[191:198]
	s_waitcnt vmcnt(34)
	v_wmma_f32_16x16x16_bf16 v[129:136], v[33:40], v[143:150], v[129:136]
	s_clause 0x3
	global_load_b128 v[25:28], v[199:200], off
	global_load_b128 v[29:32], v[199:200], off offset:16
	global_load_b128 v[33:36], v[159:160], off
	global_load_b128 v[37:40], v[159:160], off offset:16
	v_and_b32_e32 v143, 0xe0, v0
	v_mbcnt_lo_u32_b32 v159, -1, 0
	s_waitcnt vmcnt(36) lgkmcnt(0)
	v_wmma_f32_16x16x16_bf16 v[191:198], v[9:16], v[151:158], v[191:198]
	s_clause 0x1
	global_load_b128 v[9:12], v[161:162], off
	global_load_b128 v[13:16], v[161:162], off offset:16
	s_waitcnt vmcnt(36)
	v_wmma_f32_16x16x16_bf16 v[129:136], v[167:174], v[151:158], v[129:136]
	v_add_nc_u32_e32 v160, s31, v143
	ds_load_b128 v[143:146], v215 offset:14336
	ds_load_b128 v[147:150], v215 offset:15360
	v_xor_b32_e32 v151, 16, v159
	s_waitcnt vmcnt(0) lgkmcnt(0)
	s_barrier
	v_or_b32_e32 v152, v160, v138
	buffer_gl0_inv
	v_cmp_gt_i32_e32 vcc_lo, 32, v151
	v_or_b32_e32 v153, 2, v152
	v_or_b32_e32 v154, 4, v152
	;; [unrolled: 1-line block ×5, first 2 shown]
	v_cmp_gt_i32_e64 s2, s28, v153
	v_cmp_gt_i32_e64 s3, s28, v154
	;; [unrolled: 1-line block ×3, first 2 shown]
	v_or_b32_e32 v158, 12, v152
	v_cmp_gt_i32_e64 s5, s28, v156
	v_cmp_gt_i32_e64 s6, s28, v157
	v_wmma_f32_16x16x16_bf16 v[191:198], v[175:182], v[143:150], v[191:198]
	v_wmma_f32_16x16x16_bf16 v[129:136], v[183:190], v[143:150], v[129:136]
	v_cndmask_b32_e32 v151, v159, v151, vcc_lo
	v_cmp_gt_i32_e32 vcc_lo, s28, v152
	v_or_b32_e32 v159, 14, v152
	v_dual_mul_f32 v149, s33, v192 :: v_dual_mul_f32 v150, s33, v191
	v_dual_mul_f32 v147, s33, v194 :: v_dual_mul_f32 v148, s33, v193
	v_mul_f32_e32 v145, s33, v196
	s_delay_alu instid0(VALU_DEP_3) | instskip(NEXT) | instid1(VALU_DEP_4)
	v_cndmask_b32_e64 v149, 0xff7fffff, v149, s2
	v_cndmask_b32_e32 v150, 0xff7fffff, v150, vcc_lo
	v_mul_f32_e32 v146, s33, v195
	v_cndmask_b32_e64 v148, 0xff7fffff, v148, s3
	v_cndmask_b32_e64 v147, 0xff7fffff, v147, s4
	v_or_b32_e32 v160, 16, v152
	v_max3_f32 v149, v150, 0xff7fffff, v149
	v_or_b32_e32 v161, 18, v152
	v_dual_mul_f32 v143, s33, v198 :: v_dual_mul_f32 v144, s33, v197
	v_cndmask_b32_e64 v146, 0xff7fffff, v146, s5
	v_cndmask_b32_e64 v145, 0xff7fffff, v145, s6
	v_max3_f32 v147, v149, v148, v147
	v_cmp_gt_i32_e64 s7, s28, v158
	v_cmp_gt_i32_e64 s8, s28, v159
	v_or_b32_e32 v162, 20, v152
	v_or_b32_e32 v163, 22, v152
	v_dual_mul_f32 v174, s33, v130 :: v_dual_mul_f32 v175, s33, v129
	v_cndmask_b32_e64 v144, 0xff7fffff, v144, s7
	v_cndmask_b32_e64 v143, 0xff7fffff, v143, s8
	v_max3_f32 v145, v147, v146, v145
	v_cmp_gt_i32_e64 s9, s28, v160
	v_cmp_gt_i32_e64 s10, s28, v161
	v_or_b32_e32 v164, 24, v152
	;; [unrolled: 8-line block ×3, first 2 shown]
	v_or_b32_e32 v167, 30, v152
	v_dual_mul_f32 v170, s33, v134 :: v_dual_mul_f32 v171, s33, v133
	v_cndmask_b32_e64 v144, 0xff7fffff, v173, s11
	v_cndmask_b32_e64 v145, 0xff7fffff, v172, s12
	v_max3_f32 v143, v143, v146, v147
	v_cmp_gt_i32_e64 s13, s28, v164
	v_cmp_gt_i32_e64 s15, s28, v165
	v_dual_mul_f32 v168, s33, v136 :: v_dual_mul_f32 v169, s33, v135
	s_delay_alu instid0(VALU_DEP_4) | instskip(NEXT) | instid1(VALU_DEP_4)
	v_max3_f32 v143, v143, v144, v145
	v_cndmask_b32_e64 v146, 0xff7fffff, v171, s13
	s_delay_alu instid0(VALU_DEP_4) | instskip(SKIP_3) | instid1(VALU_DEP_4)
	v_cndmask_b32_e64 v147, 0xff7fffff, v170, s15
	v_cmp_gt_i32_e64 s16, s28, v166
	v_cmp_gt_i32_e64 s17, s28, v167
	v_lshlrev_b32_e32 v154, 2, v151
	v_max3_f32 v143, v143, v146, v147
	s_delay_alu instid0(VALU_DEP_4) | instskip(NEXT) | instid1(VALU_DEP_4)
	v_cndmask_b32_e64 v144, 0xff7fffff, v169, s16
	v_cndmask_b32_e64 v145, 0xff7fffff, v168, s17
	s_delay_alu instid0(VALU_DEP_1) | instskip(SKIP_3) | instid1(VALU_DEP_1)
	v_max3_f32 v143, v143, v144, v145
	ds_bpermute_b32 v144, v154, v143
	s_waitcnt lgkmcnt(0)
	v_max_f32_e32 v144, v144, v144
	v_max_f32_e32 v153, v143, v144
	s_delay_alu instid0(VALU_DEP_1) | instskip(SKIP_4) | instid1(VALU_DEP_4)
	v_fma_f32 v143, s33, v191, -v153
	v_fma_f32 v144, s33, v192, -v153
	;; [unrolled: 1-line block ×5, first 2 shown]
	v_dual_mul_f32 v143, 0x3fb8aa3b, v143 :: v_dual_mul_f32 v144, 0x3fb8aa3b, v144
	s_delay_alu instid0(VALU_DEP_4) | instskip(SKIP_2) | instid1(VALU_DEP_4)
	v_mul_f32_e32 v132, 0x3fb8aa3b, v132
	v_fma_f32 v134, s33, v134, -v153
	v_mul_f32_e32 v145, 0x3fb8aa3b, v145
	v_exp_f32_e32 v143, v143
	v_exp_f32_e32 v147, v144
	v_fma_f32 v148, s33, v195, -v153
	v_mul_f32_e32 v134, 0x3fb8aa3b, v134
	v_mul_f32_e32 v146, 0x3fb8aa3b, v146
	v_exp_f32_e32 v145, v145
	v_fma_f32 v151, s33, v197, -v153
	v_mul_f32_e32 v148, 0x3fb8aa3b, v148
	v_fma_f32 v129, s33, v129, -v153
	v_exp_f32_e32 v149, v146
	v_cndmask_b32_e32 v144, 0, v143, vcc_lo
	v_fma_f32 v143, s33, v196, -v153
	v_cndmask_b32_e64 v146, 0, v147, s2
	v_exp_f32_e32 v148, v148
	s_delay_alu instid0(VALU_DEP_3) | instskip(NEXT) | instid1(VALU_DEP_3)
	v_dual_mul_f32 v151, 0x3fb8aa3b, v151 :: v_dual_add_f32 v150, 0, v144
	v_mul_f32_e32 v143, 0x3fb8aa3b, v143
	v_cndmask_b32_e64 v147, 0, v145, s3
	v_fma_f32 v130, s33, v130, -v153
	s_delay_alu instid0(TRANS32_DEP_2)
	v_cndmask_b32_e64 v149, 0, v149, s4
	v_add_f32_e32 v145, v150, v146
	v_fma_f32 v150, s33, v198, -v153
	v_exp_f32_e32 v143, v143
	v_exp_f32_e32 v155, v151
	v_mul_f32_e32 v129, 0x3fb8aa3b, v129
	s_delay_alu instid0(VALU_DEP_2) | instskip(SKIP_2) | instid1(VALU_DEP_3)
	v_dual_add_f32 v145, v145, v147 :: v_dual_mul_f32 v152, 0x3fb8aa3b, v150
	v_cndmask_b32_e64 v150, 0, v148, s5
	v_fma_f32 v131, s33, v131, -v153
	v_dual_mul_f32 v130, 0x3fb8aa3b, v130 :: v_dual_add_f32 v145, v145, v149
	s_delay_alu instid0(VALU_DEP_4) | instskip(NEXT) | instid1(TRANS32_DEP_3)
	v_exp_f32_e32 v152, v152
	v_cndmask_b32_e64 v151, 0, v143, s6
	v_exp_f32_e32 v129, v129
	s_delay_alu instid0(TRANS32_DEP_3)
	v_cndmask_b32_e64 v148, 0, v155, s7
	v_add_f32_e32 v143, v145, v150
	v_mul_f32_e32 v131, 0x3fb8aa3b, v131
	v_exp_f32_e32 v130, v130
	v_fma_f32 v133, s33, v133, -v153
	v_fma_f32 v136, s33, v136, -v153
	v_add_f32_e32 v143, v143, v151
	v_cndmask_b32_e64 v152, 0, v152, s8
	v_exp_f32_e32 v145, v131
	v_cndmask_b32_e64 v131, 0, v129, s9
	v_mul_f32_e32 v133, 0x3fb8aa3b, v133
	v_add_f32_e32 v143, v143, v148
	s_mov_b32 s2, exec_lo
	s_delay_alu instid0(VALU_DEP_1)
	v_add_f32_e32 v129, v143, v152
	v_exp_f32_e32 v143, v132
	v_cndmask_b32_e64 v132, 0, v130, s10
	v_fma_f32 v130, s33, v135, -v153
	v_exp_f32_e32 v135, v133
	v_add_f32_e32 v129, v129, v131
	v_cndmask_b32_e64 v133, 0, v145, s11
	v_exp_f32_e32 v145, v134
	s_delay_alu instid0(VALU_DEP_2) | instskip(NEXT) | instid1(TRANS32_DEP_3)
	v_dual_mul_f32 v130, 0x3fb8aa3b, v130 :: v_dual_add_f32 v129, v129, v132
	v_cndmask_b32_e64 v134, 0, v143, s12
	v_mul_f32_e32 v143, 0x3fb8aa3b, v136
	s_delay_alu instid0(VALU_DEP_3) | instskip(NEXT) | instid1(TRANS32_DEP_3)
	v_exp_f32_e32 v130, v130
	v_cndmask_b32_e64 v135, 0, v135, s13
	v_add_f32_e32 v129, v129, v133
	s_delay_alu instid0(TRANS32_DEP_2) | instskip(SKIP_1) | instid1(VALU_DEP_2)
	v_cndmask_b32_e64 v136, 0, v145, s15
	v_exp_f32_e32 v145, v143
	v_add_f32_e32 v129, v129, v134
	s_waitcnt_depctr 0xfff
	v_cndmask_b32_e64 v143, 0, v130, s16
	v_add_f32_e32 v129, v129, v135
	v_cndmask_b32_e64 v145, 0, v145, s17
	s_delay_alu instid0(VALU_DEP_2) | instskip(NEXT) | instid1(VALU_DEP_1)
	v_add_f32_e32 v129, v129, v136
	v_add_f32_e32 v129, v129, v143
	s_delay_alu instid0(VALU_DEP_1)
	v_add_f32_e32 v129, v129, v145
	ds_bpermute_b32 v130, v154, v129
	v_cmpx_gt_u32_e32 16, v142
	s_cbranch_execz .LBB591_12
; %bb.11:
	v_mul_u32_u24_e32 v142, 0x44, v141
	s_waitcnt lgkmcnt(0)
	v_add_f32_e32 v129, v129, v130
	s_delay_alu instid0(VALU_DEP_2) | instskip(NEXT) | instid1(VALU_DEP_1)
	v_lshl_add_u32 v142, v140, 2, v142
	v_add_nc_u32_e32 v130, 0x4000, v142
	ds_store_2addr_b32 v130, v153, v129 offset1:136
.LBB591_12:
	s_or_b32 exec_lo, exec_lo, s2
	v_lshlrev_b32_e32 v129, 2, v140
	s_waitcnt lgkmcnt(0)
	s_barrier
	buffer_gl0_inv
	v_cmp_eq_u32_e64 s2, 1, v141
	v_add_nc_u32_e32 v142, 0x4000, v129
	ds_load_2addr_b32 v[153:154], v142 offset1:17
	ds_load_2addr_b32 v[155:156], v142 offset0:34 offset1:51
	ds_load_2addr_b32 v[157:158], v142 offset0:68 offset1:85
	;; [unrolled: 1-line block ×4, first 2 shown]
	s_waitcnt lgkmcnt(4)
	v_max3_f32 v129, v153, 0xff7fffff, v154
	s_waitcnt lgkmcnt(3)
	s_delay_alu instid0(VALU_DEP_1) | instskip(SKIP_1) | instid1(VALU_DEP_1)
	v_max3_f32 v129, v129, v155, v156
	s_waitcnt lgkmcnt(2)
	v_max3_f32 v129, v129, v157, v158
	s_waitcnt lgkmcnt(1)
	s_delay_alu instid0(VALU_DEP_1) | instskip(NEXT) | instid1(VALU_DEP_1)
	v_max3_f32 v129, v129, v159, v160
	v_sub_f32_e32 v163, v154, v129
	v_sub_f32_e32 v130, v153, v129
	ds_load_2addr_b32 v[153:154], v142 offset0:170 offset1:187
	v_sub_f32_e32 v155, v155, v129
	v_dual_mul_f32 v163, 0x3fb8aa3b, v163 :: v_dual_mul_f32 v130, 0x3fb8aa3b, v130
	s_delay_alu instid0(VALU_DEP_2) | instskip(NEXT) | instid1(VALU_DEP_2)
	v_mul_f32_e32 v165, 0x3fb8aa3b, v155
	v_exp_f32_e32 v163, v163
	s_delay_alu instid0(VALU_DEP_2)
	v_exp_f32_e32 v164, v130
	v_sub_f32_e32 v130, v156, v129
	ds_load_2addr_b32 v[155:156], v142 offset0:204 offset1:221
	v_exp_f32_e32 v165, v165
	v_mul_f32_e32 v166, 0x3fb8aa3b, v130
	s_waitcnt lgkmcnt(2)
	v_fma_f32 v130, v164, v161, 0
	v_sub_f32_e32 v157, v157, v129
	s_delay_alu instid0(VALU_DEP_3) | instskip(NEXT) | instid1(VALU_DEP_2)
	v_exp_f32_e32 v166, v166
	v_dual_sub_f32 v161, v158, v129 :: v_dual_fmac_f32 v130, v163, v162
	s_waitcnt lgkmcnt(1)
	s_waitcnt_depctr 0xfff
	v_fmac_f32_e32 v130, v165, v153
	v_mul_f32_e32 v167, 0x3fb8aa3b, v157
	ds_load_2addr_b32 v[157:158], v142 offset0:238 offset1:255
	v_sub_f32_e32 v142, v159, v129
	v_dual_sub_f32 v153, v160, v129 :: v_dual_fmac_f32 v130, v166, v154
	v_mul_f32_e32 v159, 0x3fb8aa3b, v161
	v_exp_f32_e32 v161, v167
	s_delay_alu instid0(VALU_DEP_2)
	v_dual_mul_f32 v142, 0x3fb8aa3b, v142 :: v_dual_mul_f32 v153, 0x3fb8aa3b, v153
	s_waitcnt lgkmcnt(0)
	s_barrier
	buffer_gl0_inv
	v_exp_f32_e32 v142, v142
	v_exp_f32_e32 v153, v153
	v_fmac_f32_e32 v130, v161, v155
	v_exp_f32_e32 v159, v159
	s_waitcnt_depctr 0xfff
	v_fmac_f32_e32 v130, v159, v156
	s_delay_alu instid0(VALU_DEP_1) | instskip(NEXT) | instid1(VALU_DEP_1)
	v_fmac_f32_e32 v130, v142, v157
	v_fmac_f32_e32 v130, v153, v158
	s_delay_alu instid0(VALU_DEP_1) | instskip(NEXT) | instid1(VALU_DEP_1)
	v_add_f32_e32 v154, 0x358637bd, v130
	v_div_scale_f32 v155, null, v154, v154, 1.0
	v_div_scale_f32 v158, vcc_lo, 1.0, v154, 1.0
	s_delay_alu instid0(VALU_DEP_2) | instskip(SKIP_2) | instid1(VALU_DEP_1)
	v_rcp_f32_e32 v156, v155
	s_waitcnt_depctr 0xfff
	v_fma_f32 v157, -v155, v156, 1.0
	v_fmac_f32_e32 v156, v157, v156
	v_cndmask_b32_e64 v157, v164, v163, s2
	v_cmp_eq_u32_e64 s2, 2, v141
	s_delay_alu instid0(VALU_DEP_3) | instskip(NEXT) | instid1(VALU_DEP_2)
	v_mul_f32_e32 v160, v158, v156
	v_cndmask_b32_e64 v157, v157, v165, s2
	v_cmp_eq_u32_e64 s2, 3, v141
	s_delay_alu instid0(VALU_DEP_3) | instskip(NEXT) | instid1(VALU_DEP_2)
	v_fma_f32 v162, -v155, v160, v158
	v_cndmask_b32_e64 v157, v157, v166, s2
	v_cmp_eq_u32_e64 s2, 4, v141
	s_delay_alu instid0(VALU_DEP_3) | instskip(NEXT) | instid1(VALU_DEP_2)
	v_fmac_f32_e32 v160, v162, v156
	v_cndmask_b32_e64 v157, v157, v161, s2
	s_delay_alu instid0(VALU_DEP_2) | instskip(SKIP_1) | instid1(VALU_DEP_2)
	v_fma_f32 v155, -v155, v160, v158
	v_cmp_eq_u32_e64 s2, 5, v141
	v_div_fmas_f32 v155, v155, v156, v160
	s_delay_alu instid0(VALU_DEP_2) | instskip(SKIP_2) | instid1(VALU_DEP_3)
	v_cndmask_b32_e64 v157, v157, v159, s2
	v_cmp_eq_u32_e32 vcc_lo, 6, v141
	s_mov_b32 s2, exec_lo
	v_div_fixup_f32 v154, v155, v154, 1.0
	s_delay_alu instid0(VALU_DEP_3) | instskip(SKIP_1) | instid1(VALU_DEP_2)
	v_cndmask_b32_e32 v142, v157, v142, vcc_lo
	v_cmp_eq_u32_e32 vcc_lo, 7, v141
	v_cndmask_b32_e32 v142, v142, v153, vcc_lo
	s_delay_alu instid0(VALU_DEP_1) | instskip(NEXT) | instid1(VALU_DEP_1)
	v_mul_f32_e32 v142, v142, v154
	v_mul_f32_e32 v153, v142, v149
	;; [unrolled: 1-line block ×7, first 2 shown]
	v_dual_mul_f32 v150, v142, v147 :: v_dual_and_b32 v155, 0x7f800000, v154
	v_mul_f32_e32 v149, v142, v146
                                        ; implicit-def: $vgpr146
	s_delay_alu instid0(VALU_DEP_2)
	v_cmpx_ne_u32_e32 0x7f800000, v155
	s_xor_b32 s2, exec_lo, s2
; %bb.13:
	v_bfe_u32 v146, v154, 16, 1
	s_delay_alu instid0(VALU_DEP_1)
	v_add3_u32 v146, v154, v146, 0x7fff
                                        ; implicit-def: $vgpr154
; %bb.14:
	s_and_not1_saveexec_b32 s2, s2
; %bb.15:
	v_and_b32_e32 v146, 0xffff, v154
	v_or_b32_e32 v147, 0x10000, v154
	s_delay_alu instid0(VALU_DEP_2) | instskip(NEXT) | instid1(VALU_DEP_2)
	v_cmp_eq_u32_e32 vcc_lo, 0, v146
	v_cndmask_b32_e32 v146, v147, v154, vcc_lo
; %bb.16:
	s_or_b32 exec_lo, exec_lo, s2
	v_and_b32_e32 v147, 0x7f800000, v149
	s_delay_alu instid0(VALU_DEP_1) | instskip(SKIP_1) | instid1(SALU_CYCLE_1)
	v_cmp_ne_u32_e32 vcc_lo, 0x7f800000, v147
                                        ; implicit-def: $vgpr147
	s_and_saveexec_b32 s2, vcc_lo
	s_xor_b32 s2, exec_lo, s2
; %bb.17:
	v_bfe_u32 v147, v149, 16, 1
	s_delay_alu instid0(VALU_DEP_1)
	v_add3_u32 v147, v149, v147, 0x7fff
                                        ; implicit-def: $vgpr149
; %bb.18:
	s_and_not1_saveexec_b32 s2, s2
; %bb.19:
	v_and_b32_e32 v147, 0xffff, v149
	v_or_b32_e32 v154, 0x10000, v149
	s_delay_alu instid0(VALU_DEP_2) | instskip(NEXT) | instid1(VALU_DEP_2)
	v_cmp_eq_u32_e32 vcc_lo, 0, v147
	v_cndmask_b32_e32 v147, v154, v149, vcc_lo
; %bb.20:
	s_or_b32 exec_lo, exec_lo, s2
	v_and_b32_e32 v149, 0x7f800000, v150
	s_delay_alu instid0(VALU_DEP_1) | instskip(SKIP_1) | instid1(SALU_CYCLE_1)
	v_cmp_ne_u32_e32 vcc_lo, 0x7f800000, v149
                                        ; implicit-def: $vgpr149
	s_and_saveexec_b32 s2, vcc_lo
	s_xor_b32 s2, exec_lo, s2
; %bb.21:
	v_bfe_u32 v149, v150, 16, 1
	s_delay_alu instid0(VALU_DEP_1)
	v_add3_u32 v149, v150, v149, 0x7fff
                                        ; implicit-def: $vgpr150
; %bb.22:
	s_and_not1_saveexec_b32 s2, s2
; %bb.23:
	v_and_b32_e32 v149, 0xffff, v150
	v_or_b32_e32 v154, 0x10000, v150
	s_delay_alu instid0(VALU_DEP_2) | instskip(NEXT) | instid1(VALU_DEP_2)
	v_cmp_eq_u32_e32 vcc_lo, 0, v149
	v_cndmask_b32_e32 v149, v154, v150, vcc_lo
; %bb.24:
	s_or_b32 exec_lo, exec_lo, s2
	v_and_b32_e32 v150, 0x7f800000, v153
	s_delay_alu instid0(VALU_DEP_1) | instskip(SKIP_1) | instid1(SALU_CYCLE_1)
	v_cmp_ne_u32_e32 vcc_lo, 0x7f800000, v150
                                        ; implicit-def: $vgpr150
	s_and_saveexec_b32 s2, vcc_lo
	s_xor_b32 s2, exec_lo, s2
; %bb.25:
	v_bfe_u32 v150, v153, 16, 1
	s_delay_alu instid0(VALU_DEP_1)
	v_add3_u32 v150, v153, v150, 0x7fff
                                        ; implicit-def: $vgpr153
; %bb.26:
	s_and_not1_saveexec_b32 s2, s2
; %bb.27:
	v_and_b32_e32 v150, 0xffff, v153
	v_or_b32_e32 v154, 0x10000, v153
	s_delay_alu instid0(VALU_DEP_2) | instskip(NEXT) | instid1(VALU_DEP_2)
	v_cmp_eq_u32_e32 vcc_lo, 0, v150
	v_cndmask_b32_e32 v150, v154, v153, vcc_lo
; %bb.28:
	s_or_b32 exec_lo, exec_lo, s2
	v_and_b32_e32 v153, 0x7f800000, v152
	s_delay_alu instid0(VALU_DEP_1) | instskip(SKIP_1) | instid1(SALU_CYCLE_1)
	v_cmp_ne_u32_e32 vcc_lo, 0x7f800000, v153
                                        ; implicit-def: $vgpr153
	s_and_saveexec_b32 s2, vcc_lo
	s_xor_b32 s2, exec_lo, s2
; %bb.29:
	v_bfe_u32 v153, v152, 16, 1
	s_delay_alu instid0(VALU_DEP_1)
	v_add3_u32 v153, v152, v153, 0x7fff
                                        ; implicit-def: $vgpr152
; %bb.30:
	s_and_not1_saveexec_b32 s2, s2
; %bb.31:
	v_and_b32_e32 v153, 0xffff, v152
	v_or_b32_e32 v154, 0x10000, v152
	s_delay_alu instid0(VALU_DEP_2) | instskip(NEXT) | instid1(VALU_DEP_2)
	v_cmp_eq_u32_e32 vcc_lo, 0, v153
	v_cndmask_b32_e32 v153, v154, v152, vcc_lo
; %bb.32:
	s_or_b32 exec_lo, exec_lo, s2
	v_and_b32_e32 v152, 0x7f800000, v151
	s_delay_alu instid0(VALU_DEP_1) | instskip(SKIP_1) | instid1(SALU_CYCLE_1)
	v_cmp_ne_u32_e32 vcc_lo, 0x7f800000, v152
                                        ; implicit-def: $vgpr152
	s_and_saveexec_b32 s2, vcc_lo
	s_xor_b32 s2, exec_lo, s2
; %bb.33:
	v_bfe_u32 v152, v151, 16, 1
	s_delay_alu instid0(VALU_DEP_1)
	v_add3_u32 v152, v151, v152, 0x7fff
                                        ; implicit-def: $vgpr151
; %bb.34:
	s_and_not1_saveexec_b32 s2, s2
; %bb.35:
	v_and_b32_e32 v152, 0xffff, v151
	v_or_b32_e32 v154, 0x10000, v151
	s_delay_alu instid0(VALU_DEP_2) | instskip(NEXT) | instid1(VALU_DEP_2)
	v_cmp_eq_u32_e32 vcc_lo, 0, v152
	v_cndmask_b32_e32 v152, v154, v151, vcc_lo
; %bb.36:
	s_or_b32 exec_lo, exec_lo, s2
	v_and_b32_e32 v151, 0x7f800000, v148
	s_delay_alu instid0(VALU_DEP_1) | instskip(SKIP_1) | instid1(SALU_CYCLE_1)
	v_cmp_ne_u32_e32 vcc_lo, 0x7f800000, v151
                                        ; implicit-def: $vgpr151
	s_and_saveexec_b32 s2, vcc_lo
	s_xor_b32 s2, exec_lo, s2
; %bb.37:
	v_bfe_u32 v151, v148, 16, 1
	s_delay_alu instid0(VALU_DEP_1)
	v_add3_u32 v151, v148, v151, 0x7fff
                                        ; implicit-def: $vgpr148
; %bb.38:
	s_and_not1_saveexec_b32 s2, s2
; %bb.39:
	v_and_b32_e32 v151, 0xffff, v148
	v_or_b32_e32 v154, 0x10000, v148
	s_delay_alu instid0(VALU_DEP_2) | instskip(NEXT) | instid1(VALU_DEP_2)
	v_cmp_eq_u32_e32 vcc_lo, 0, v151
	v_cndmask_b32_e32 v151, v154, v148, vcc_lo
; %bb.40:
	s_or_b32 exec_lo, exec_lo, s2
	v_and_b32_e32 v148, 0x7f800000, v144
	s_delay_alu instid0(VALU_DEP_1) | instskip(SKIP_1) | instid1(SALU_CYCLE_1)
	v_cmp_ne_u32_e32 vcc_lo, 0x7f800000, v148
                                        ; implicit-def: $vgpr148
	s_and_saveexec_b32 s2, vcc_lo
	s_xor_b32 s2, exec_lo, s2
; %bb.41:
	v_bfe_u32 v148, v144, 16, 1
	s_delay_alu instid0(VALU_DEP_1)
	v_add3_u32 v148, v144, v148, 0x7fff
                                        ; implicit-def: $vgpr144
; %bb.42:
	s_and_not1_saveexec_b32 s2, s2
; %bb.43:
	v_and_b32_e32 v148, 0xffff, v144
	v_or_b32_e32 v154, 0x10000, v144
	s_delay_alu instid0(VALU_DEP_2) | instskip(NEXT) | instid1(VALU_DEP_2)
	v_cmp_eq_u32_e32 vcc_lo, 0, v148
	v_cndmask_b32_e32 v148, v154, v144, vcc_lo
; %bb.44:
	s_or_b32 exec_lo, exec_lo, s2
	s_load_b64 s[34:35], s[0:1], 0x94
	v_lshlrev_b32_e32 v155, 4, v138
	s_delay_alu instid0(VALU_DEP_2)
	v_perm_b32 v154, v148, v151, 0x7060302
	v_mul_f32_e32 v148, v142, v131
	v_dual_mul_f32 v145, v142, v145 :: v_dual_lshlrev_b32 v144, 6, v140
	v_dual_mul_f32 v143, v142, v143 :: v_dual_lshlrev_b32 v156, 11, v141
	v_perm_b32 v153, v152, v153, 0x7060302
	v_perm_b32 v152, v150, v149, 0x7060302
	;; [unrolled: 1-line block ×3, first 2 shown]
	s_delay_alu instid0(VALU_DEP_4)
	v_or3_b32 v131, v155, v156, v144
	v_mul_f32_e32 v136, v142, v136
	v_dual_mul_f32 v146, v142, v134 :: v_dual_and_b32 v149, 0x7f800000, v148
	v_mul_f32_e32 v135, v142, v135
	v_mul_f32_e32 v147, v142, v133
	v_mul_f32_e32 v134, v142, v132
	s_mov_b32 s2, exec_lo
	ds_store_b128 v131, v[151:154]
                                        ; implicit-def: $vgpr132
	v_cmpx_ne_u32_e32 0x7f800000, v149
	s_xor_b32 s2, exec_lo, s2
; %bb.45:
	v_bfe_u32 v132, v148, 16, 1
	s_delay_alu instid0(VALU_DEP_1)
	v_add3_u32 v132, v148, v132, 0x7fff
                                        ; implicit-def: $vgpr148
; %bb.46:
	s_and_not1_saveexec_b32 s2, s2
; %bb.47:
	v_and_b32_e32 v132, 0xffff, v148
	v_or_b32_e32 v133, 0x10000, v148
	s_delay_alu instid0(VALU_DEP_2) | instskip(NEXT) | instid1(VALU_DEP_2)
	v_cmp_eq_u32_e32 vcc_lo, 0, v132
	v_cndmask_b32_e32 v132, v133, v148, vcc_lo
; %bb.48:
	s_or_b32 exec_lo, exec_lo, s2
	v_and_b32_e32 v133, 0x7f800000, v134
	s_delay_alu instid0(VALU_DEP_1) | instskip(SKIP_1) | instid1(SALU_CYCLE_1)
	v_cmp_ne_u32_e32 vcc_lo, 0x7f800000, v133
                                        ; implicit-def: $vgpr133
	s_and_saveexec_b32 s2, vcc_lo
	s_xor_b32 s2, exec_lo, s2
; %bb.49:
	v_bfe_u32 v133, v134, 16, 1
	s_delay_alu instid0(VALU_DEP_1)
	v_add3_u32 v133, v134, v133, 0x7fff
                                        ; implicit-def: $vgpr134
; %bb.50:
	s_and_not1_saveexec_b32 s2, s2
; %bb.51:
	v_and_b32_e32 v133, 0xffff, v134
	v_or_b32_e32 v142, 0x10000, v134
	s_delay_alu instid0(VALU_DEP_2) | instskip(NEXT) | instid1(VALU_DEP_2)
	v_cmp_eq_u32_e32 vcc_lo, 0, v133
	v_cndmask_b32_e32 v133, v142, v134, vcc_lo
; %bb.52:
	s_or_b32 exec_lo, exec_lo, s2
	v_and_b32_e32 v134, 0x7f800000, v147
	s_delay_alu instid0(VALU_DEP_1) | instskip(SKIP_1) | instid1(SALU_CYCLE_1)
	v_cmp_ne_u32_e32 vcc_lo, 0x7f800000, v134
                                        ; implicit-def: $vgpr134
	s_and_saveexec_b32 s2, vcc_lo
	s_xor_b32 s2, exec_lo, s2
; %bb.53:
	v_bfe_u32 v134, v147, 16, 1
	s_delay_alu instid0(VALU_DEP_1)
	v_add3_u32 v134, v147, v134, 0x7fff
                                        ; implicit-def: $vgpr147
; %bb.54:
	s_and_not1_saveexec_b32 s2, s2
; %bb.55:
	v_and_b32_e32 v134, 0xffff, v147
	v_or_b32_e32 v142, 0x10000, v147
	s_delay_alu instid0(VALU_DEP_2) | instskip(NEXT) | instid1(VALU_DEP_2)
	v_cmp_eq_u32_e32 vcc_lo, 0, v134
	v_cndmask_b32_e32 v134, v142, v147, vcc_lo
; %bb.56:
	s_or_b32 exec_lo, exec_lo, s2
	v_and_b32_e32 v142, 0x7f800000, v146
	s_delay_alu instid0(VALU_DEP_1) | instskip(SKIP_1) | instid1(SALU_CYCLE_1)
	v_cmp_ne_u32_e32 vcc_lo, 0x7f800000, v142
                                        ; implicit-def: $vgpr142
	s_and_saveexec_b32 s2, vcc_lo
	s_xor_b32 s2, exec_lo, s2
; %bb.57:
	v_bfe_u32 v142, v146, 16, 1
	s_delay_alu instid0(VALU_DEP_1)
	v_add3_u32 v142, v146, v142, 0x7fff
                                        ; implicit-def: $vgpr146
; %bb.58:
	s_and_not1_saveexec_b32 s2, s2
; %bb.59:
	v_and_b32_e32 v142, 0xffff, v146
	v_or_b32_e32 v147, 0x10000, v146
	s_delay_alu instid0(VALU_DEP_2) | instskip(NEXT) | instid1(VALU_DEP_2)
	v_cmp_eq_u32_e32 vcc_lo, 0, v142
	v_cndmask_b32_e32 v142, v147, v146, vcc_lo
; %bb.60:
	s_or_b32 exec_lo, exec_lo, s2
	v_and_b32_e32 v146, 0x7f800000, v135
	s_delay_alu instid0(VALU_DEP_1) | instskip(SKIP_1) | instid1(SALU_CYCLE_1)
	v_cmp_ne_u32_e32 vcc_lo, 0x7f800000, v146
                                        ; implicit-def: $vgpr146
	s_and_saveexec_b32 s2, vcc_lo
	s_xor_b32 s2, exec_lo, s2
; %bb.61:
	v_bfe_u32 v146, v135, 16, 1
	s_delay_alu instid0(VALU_DEP_1)
	v_add3_u32 v146, v135, v146, 0x7fff
                                        ; implicit-def: $vgpr135
; %bb.62:
	s_and_not1_saveexec_b32 s2, s2
; %bb.63:
	v_and_b32_e32 v146, 0xffff, v135
	v_or_b32_e32 v147, 0x10000, v135
	s_delay_alu instid0(VALU_DEP_2) | instskip(NEXT) | instid1(VALU_DEP_2)
	v_cmp_eq_u32_e32 vcc_lo, 0, v146
	v_cndmask_b32_e32 v146, v147, v135, vcc_lo
; %bb.64:
	s_or_b32 exec_lo, exec_lo, s2
	v_and_b32_e32 v135, 0x7f800000, v136
	s_delay_alu instid0(VALU_DEP_1) | instskip(SKIP_1) | instid1(SALU_CYCLE_1)
	v_cmp_ne_u32_e32 vcc_lo, 0x7f800000, v135
                                        ; implicit-def: $vgpr135
	s_and_saveexec_b32 s2, vcc_lo
	s_xor_b32 s2, exec_lo, s2
; %bb.65:
	v_bfe_u32 v135, v136, 16, 1
	s_delay_alu instid0(VALU_DEP_1)
	v_add3_u32 v135, v136, v135, 0x7fff
                                        ; implicit-def: $vgpr136
; %bb.66:
	s_and_not1_saveexec_b32 s2, s2
; %bb.67:
	v_and_b32_e32 v135, 0xffff, v136
	v_or_b32_e32 v147, 0x10000, v136
	s_delay_alu instid0(VALU_DEP_2) | instskip(NEXT) | instid1(VALU_DEP_2)
	v_cmp_eq_u32_e32 vcc_lo, 0, v135
	v_cndmask_b32_e32 v135, v147, v136, vcc_lo
; %bb.68:
	s_or_b32 exec_lo, exec_lo, s2
	v_and_b32_e32 v136, 0x7f800000, v143
	s_delay_alu instid0(VALU_DEP_1) | instskip(SKIP_1) | instid1(SALU_CYCLE_1)
	v_cmp_ne_u32_e32 vcc_lo, 0x7f800000, v136
                                        ; implicit-def: $vgpr136
	s_and_saveexec_b32 s2, vcc_lo
	s_xor_b32 s2, exec_lo, s2
; %bb.69:
	v_bfe_u32 v136, v143, 16, 1
	s_delay_alu instid0(VALU_DEP_1)
	v_add3_u32 v136, v143, v136, 0x7fff
                                        ; implicit-def: $vgpr143
; %bb.70:
	s_and_not1_saveexec_b32 s2, s2
; %bb.71:
	v_and_b32_e32 v136, 0xffff, v143
	v_or_b32_e32 v147, 0x10000, v143
	s_delay_alu instid0(VALU_DEP_2) | instskip(NEXT) | instid1(VALU_DEP_2)
	v_cmp_eq_u32_e32 vcc_lo, 0, v136
	v_cndmask_b32_e32 v136, v147, v143, vcc_lo
; %bb.72:
	s_or_b32 exec_lo, exec_lo, s2
	v_and_b32_e32 v143, 0x7f800000, v145
	s_delay_alu instid0(VALU_DEP_1) | instskip(SKIP_1) | instid1(SALU_CYCLE_1)
	v_cmp_ne_u32_e32 vcc_lo, 0x7f800000, v143
                                        ; implicit-def: $vgpr143
	s_and_saveexec_b32 s2, vcc_lo
	s_xor_b32 s2, exec_lo, s2
; %bb.73:
	v_bfe_u32 v143, v145, 16, 1
	s_delay_alu instid0(VALU_DEP_1)
	v_add3_u32 v143, v145, v143, 0x7fff
                                        ; implicit-def: $vgpr145
; %bb.74:
	s_and_not1_saveexec_b32 s2, s2
; %bb.75:
	v_and_b32_e32 v143, 0xffff, v145
	v_or_b32_e32 v147, 0x10000, v145
	s_delay_alu instid0(VALU_DEP_2) | instskip(NEXT) | instid1(VALU_DEP_2)
	v_cmp_eq_u32_e32 vcc_lo, 0, v143
	v_cndmask_b32_e32 v143, v147, v145, vcc_lo
; %bb.76:
	s_or_b32 exec_lo, exec_lo, s2
	s_delay_alu instid0(VALU_DEP_1)
	v_perm_b32 v136, v143, v136, 0x7060302
	v_perm_b32 v135, v135, v146, 0x7060302
	;; [unrolled: 1-line block ×4, first 2 shown]
	v_lshl_or_b32 v145, v141, 11, v144
	v_lshlrev_b32_e32 v142, 2, v138
	ds_store_b128 v131, v[133:136] offset:1024
	s_waitcnt lgkmcnt(0)
	s_barrier
	buffer_gl0_inv
	ds_load_b128 v[132:135], v145
	ds_load_b128 v[147:150], v145 offset:16
	v_or_b32_e32 v143, 1, v142
	v_cmp_eq_u32_e64 s11, 1, v142
	v_cmp_eq_u32_e64 s10, 2, v142
	;; [unrolled: 1-line block ×3, first 2 shown]
	v_or_b32_e32 v141, 2, v142
	v_cmp_eq_u32_e64 s6, 1, v143
	v_cmp_eq_u32_e64 s5, 2, v143
	;; [unrolled: 1-line block ×8, first 2 shown]
	v_cmp_eq_u32_e32 vcc_lo, 5, v143
	v_cmp_eq_u32_e64 s9, 2, v141
	v_cmp_eq_u32_e64 s3, 6, v143
	;; [unrolled: 1-line block ×4, first 2 shown]
	s_waitcnt lgkmcnt(1)
	v_lshrrev_b32_e32 v136, 16, v132
	s_waitcnt lgkmcnt(0)
	v_lshrrev_b32_e32 v155, 16, v147
	v_lshrrev_b32_e32 v161, 16, v148
	;; [unrolled: 1-line block ×4, first 2 shown]
	v_cndmask_b32_e64 v146, v132, v136, s11
	v_cndmask_b32_e64 v151, v147, v155, s11
	;; [unrolled: 1-line block ×4, first 2 shown]
	v_lshrrev_b32_e32 v160, 16, v134
	v_cndmask_b32_e64 v146, v146, v133, s10
	v_cndmask_b32_e64 v151, v151, v148, s10
	v_cndmask_b32_e64 v152, v152, v133, s5
	v_cndmask_b32_e64 v153, v153, v148, s5
	v_cndmask_b32_e64 v154, v132, v136, s7
	v_cndmask_b32_e64 v146, v146, v159, s15
	v_cndmask_b32_e64 v151, v151, v161, s15
	v_cndmask_b32_e64 v152, v152, v159, s4
	v_lshrrev_b32_e32 v164, 16, v150
	v_cndmask_b32_e64 v153, v153, v161, s4
	v_cndmask_b32_e64 v146, v146, v134, s16
	;; [unrolled: 1-line block ×5, first 2 shown]
	v_lshrrev_b32_e32 v162, 16, v135
	v_cndmask_b32_e64 v146, v146, v160, s12
	v_cndmask_b32_e64 v151, v151, v163, s12
	v_cndmask_b32_e32 v152, v152, v160, vcc_lo
	v_cndmask_b32_e64 v153, v153, v149, s2
	v_cmp_eq_u32_e64 s18, 7, v143
	v_cndmask_b32_e64 v146, v146, v135, s13
	v_cndmask_b32_e64 v151, v151, v150, s13
	;; [unrolled: 1-line block ×4, first 2 shown]
	v_cmp_eq_u32_e64 s19, 4, v141
	v_cndmask_b32_e64 v165, v146, v162, s8
	v_cndmask_b32_e64 v166, v151, v164, s8
	;; [unrolled: 1-line block ×3, first 2 shown]
	v_or_b32_e32 v146, 3, v142
	v_cndmask_b32_e64 v167, v152, v162, s18
	v_cndmask_b32_e32 v156, v153, v163, vcc_lo
	v_cndmask_b32_e64 v158, v154, v134, s19
	v_cndmask_b32_e64 v157, v151, v148, s9
	ds_load_b128 v[151:154], v145 offset:1024
	v_cmp_eq_u32_e64 s20, 1, v146
	v_cmp_eq_u32_e64 s21, 5, v141
	;; [unrolled: 1-line block ×3, first 2 shown]
	v_cndmask_b32_e64 v157, v157, v161, s17
	v_cmp_eq_u32_e64 s23, 3, v146
	v_cndmask_b32_e64 v132, v132, v136, s20
	v_cndmask_b32_e64 v136, v156, v150, s3
	;; [unrolled: 1-line block ×5, first 2 shown]
	ds_load_b128 v[155:158], v145 offset:1040
	v_cndmask_b32_e64 v132, v132, v133, s22
	v_cmp_eq_u32_e64 s25, 4, v146
	v_cmp_eq_u32_e64 s27, 5, v146
	v_cndmask_b32_e64 v147, v147, v148, s22
	v_cmp_eq_u32_e64 s24, 6, v141
	v_cndmask_b32_e64 v132, v132, v159, s23
	;; [unrolled: 2-line block ×3, first 2 shown]
	v_cndmask_b32_e64 v147, v147, v161, s23
	s_waitcnt lgkmcnt(1)
	v_lshrrev_b32_e32 v159, 16, v151
	v_cndmask_b32_e64 v132, v132, v134, s25
	v_cndmask_b32_e64 v148, v168, v135, s24
	;; [unrolled: 1-line block ×6, first 2 shown]
	v_lshrrev_b32_e32 v160, 16, v152
	v_cndmask_b32_e64 v161, v151, v159, s6
	v_cndmask_b32_e64 v134, v134, v163, s27
	s_waitcnt lgkmcnt(0)
	v_lshrrev_b32_e32 v149, 16, v155
	v_cndmask_b32_e64 v147, v147, v152, s10
	v_cndmask_b32_e64 v132, v132, v135, s28
	v_cmp_eq_u32_e64 s26, 7, v141
	v_cndmask_b32_e64 v134, v134, v150, s28
	v_cndmask_b32_e64 v163, v155, v149, s11
	;; [unrolled: 1-line block ×4, first 2 shown]
	v_lshrrev_b32_e32 v161, 16, v156
	v_cndmask_b32_e64 v136, v136, v164, s18
	v_cndmask_b32_e64 v150, v163, v156, s10
	v_cmp_eq_u32_e64 s10, 7, v146
	v_cndmask_b32_e64 v147, v147, v160, s4
	v_cndmask_b32_e64 v135, v135, v153, s16
	v_lshrrev_b32_e32 v163, 16, v153
	v_cndmask_b32_e64 v150, v150, v161, s15
	v_cndmask_b32_e64 v132, v132, v162, s10
	;; [unrolled: 1-line block ×8, first 2 shown]
	v_lshrrev_b32_e32 v164, 16, v157
	v_perm_b32 v135, v134, v132, 0x5040100
	v_cndmask_b32_e32 v132, v147, v163, vcc_lo
	v_cndmask_b32_e64 v147, v162, v154, s13
	v_lshrrev_b32_e32 v162, 16, v154
	v_cndmask_b32_e64 v150, v150, v164, s12
	v_perm_b32 v134, v133, v148, 0x5040100
	v_cndmask_b32_e64 v132, v132, v154, s3
	v_perm_b32 v133, v136, v167, 0x5040100
	v_cndmask_b32_e64 v136, v147, v162, s8
	v_cndmask_b32_e64 v147, v150, v158, s13
	v_cndmask_b32_e64 v150, v151, v159, s20
	v_cndmask_b32_e64 v167, v132, v162, s18
	v_cndmask_b32_e64 v132, v151, v159, s7
	v_cndmask_b32_e64 v151, v155, v149, s20
	v_cndmask_b32_e64 v159, v155, v149, s7
	v_cndmask_b32_e64 v149, v155, v149, s6
	v_cndmask_b32_e64 v150, v150, v152, s22
	v_cndmask_b32_e64 v132, v132, v152, s9
	v_cndmask_b32_e64 v151, v151, v156, s22
	v_cndmask_b32_e64 v152, v159, v156, s9
	v_cndmask_b32_e64 v149, v149, v156, s5
	v_cndmask_b32_e64 v150, v150, v160, s23
	v_cndmask_b32_e64 v132, v132, v160, s17
	v_cndmask_b32_e64 v151, v151, v161, s23
	v_cndmask_b32_e64 v152, v152, v161, s17
	v_cndmask_b32_e64 v149, v149, v161, s4
	v_cndmask_b32_e64 v150, v150, v153, s25
	v_cndmask_b32_e64 v132, v132, v153, s19
	v_cndmask_b32_e64 v151, v151, v157, s25
	v_cndmask_b32_e64 v152, v152, v157, s19
	v_cndmask_b32_e64 v149, v149, v157, s2
	v_cndmask_b32_e64 v150, v150, v163, s27
	v_cndmask_b32_e64 v132, v132, v163, s21
	v_cndmask_b32_e64 v151, v151, v164, s27
	v_cndmask_b32_e64 v152, v152, v164, s21
	v_cndmask_b32_e32 v149, v149, v164, vcc_lo
	v_lshrrev_b32_e32 v148, 16, v158
	v_cndmask_b32_e64 v132, v132, v154, s24
	v_cndmask_b32_e64 v150, v150, v154, s28
	;; [unrolled: 1-line block ×11, first 2 shown]
	v_perm_b32 v132, v166, v165, 0x5040100
	v_perm_b32 v150, v151, v150, 0x5040100
	;; [unrolled: 1-line block ×5, first 2 shown]
	s_mul_i32 s7, s35, 14
	s_mov_b32 s2, exec_lo
	ds_store_b128 v131, v[132:135]
	ds_store_b128 v131, v[147:150] offset:1024
	v_cmpx_gt_u32_e32 14, v0
	s_cbranch_execz .LBB591_78
; %bb.77:
	s_mul_i32 s3, s7, s30
	s_load_b128 s[8:11], s[0:1], 0x58
	v_add3_u32 v133, s3, s29, v140
	s_delay_alu instid0(VALU_DEP_1) | instskip(NEXT) | instid1(VALU_DEP_1)
	v_mad_u64_u32 v[131:132], null, v133, s34, s[14:15]
	v_ashrrev_i32_e32 v132, 31, v131
	s_delay_alu instid0(VALU_DEP_1) | instskip(SKIP_1) | instid1(VALU_DEP_1)
	v_lshlrev_b64 v[131:132], 2, v[131:132]
	s_waitcnt lgkmcnt(0)
	v_add_co_u32 v133, vcc_lo, s10, v131
	s_delay_alu instid0(VALU_DEP_2)
	v_add_co_ci_u32_e32 v134, vcc_lo, s11, v132, vcc_lo
	v_add_co_u32 v131, vcc_lo, s8, v131
	v_add_co_ci_u32_e32 v132, vcc_lo, s9, v132, vcc_lo
	global_store_b32 v[133:134], v129, off
	global_store_b32 v[131:132], v130, off
.LBB591_78:
	s_or_b32 exec_lo, exec_lo, s2
	s_waitcnt lgkmcnt(0)
	s_waitcnt_vscnt null, 0x0
	s_barrier
	buffer_gl0_inv
	ds_load_b128 v[147:150], v144
	ds_load_b128 v[151:154], v144 offset:16
	ds_load_b128 v[159:162], v144 offset:1040
	;; [unrolled: 1-line block ×3, first 2 shown]
	v_mov_b32_e32 v129, 0
	ds_load_b128 v[167:170], v144 offset:2064
	ds_load_b128 v[163:166], v144 offset:2048
	;; [unrolled: 1-line block ×6, first 2 shown]
	v_mov_b32_e32 v130, v129
	v_mov_b32_e32 v131, v129
	v_mov_b32_e32 v132, v129
	v_mov_b32_e32 v133, v129
	v_mov_b32_e32 v134, v129
	v_mov_b32_e32 v135, v129
	v_mov_b32_e32 v136, v129
	s_waitcnt lgkmcnt(8)
	s_delay_alu instid0(VALU_DEP_1)
	v_wmma_f32_16x16x16_bf16 v[129:136], v[121:128], v[147:154], v[129:136]
	ds_load_b128 v[125:128], v144 offset:5136
	ds_load_b128 v[121:124], v144 offset:5120
	s_waitcnt lgkmcnt(8)
	v_wmma_f32_16x16x16_bf16 v[129:136], v[113:120], v[155:162], v[129:136]
	ds_load_b128 v[117:120], v144 offset:6160
	ds_load_b128 v[113:116], v144 offset:6144
	s_waitcnt lgkmcnt(8)
	;; [unrolled: 4-line block ×8, first 2 shown]
	v_wmma_f32_16x16x16_bf16 v[129:136], v[65:72], v[97:104], v[129:136]
	s_waitcnt lgkmcnt(6)
	s_delay_alu instid0(VALU_DEP_1)
	v_wmma_f32_16x16x16_bf16 v[129:136], v[49:56], v[89:96], v[129:136]
	ds_load_b128 v[53:56], v144 offset:13328
	ds_load_b128 v[49:52], v144 offset:13312
	s_waitcnt lgkmcnt(6)
	v_wmma_f32_16x16x16_bf16 v[129:136], v[41:48], v[81:88], v[129:136]
	ds_load_b128 v[45:48], v144 offset:14352
	ds_load_b128 v[41:44], v144 offset:14336
	s_waitcnt lgkmcnt(6)
	;; [unrolled: 4-line block ×3, first 2 shown]
	v_wmma_f32_16x16x16_bf16 v[129:136], v[1:8], v[57:64], v[129:136]
	s_waitcnt lgkmcnt(4)
	s_delay_alu instid0(VALU_DEP_1) | instskip(SKIP_1) | instid1(VALU_DEP_1)
	v_wmma_f32_16x16x16_bf16 v[129:136], v[25:32], v[49:56], v[129:136]
	s_waitcnt lgkmcnt(2)
	v_wmma_f32_16x16x16_bf16 v[129:136], v[33:40], v[41:48], v[129:136]
	s_waitcnt lgkmcnt(0)
	s_delay_alu instid0(VALU_DEP_1) | instskip(NEXT) | instid1(VALU_DEP_1)
	v_wmma_f32_16x16x16_bf16 v[129:136], v[9:16], v[17:24], v[129:136]
	v_and_b32_e32 v1, 0x7f800000, v129
	s_delay_alu instid0(VALU_DEP_1) | instskip(SKIP_1) | instid1(SALU_CYCLE_1)
	v_cmp_ne_u32_e32 vcc_lo, 0x7f800000, v1
                                        ; implicit-def: $vgpr1
	s_and_saveexec_b32 s2, vcc_lo
	s_xor_b32 s2, exec_lo, s2
; %bb.79:
	v_bfe_u32 v1, v129, 16, 1
	s_delay_alu instid0(VALU_DEP_1)
	v_add3_u32 v1, v129, v1, 0x7fff
; %bb.80:
	s_and_not1_saveexec_b32 s2, s2
; %bb.81:
	v_and_b32_e32 v1, 0xffff, v129
	v_or_b32_e32 v2, 0x10000, v129
	s_delay_alu instid0(VALU_DEP_2) | instskip(NEXT) | instid1(VALU_DEP_2)
	v_cmp_eq_u32_e32 vcc_lo, 0, v1
	v_cndmask_b32_e32 v1, v2, v129, vcc_lo
; %bb.82:
	s_or_b32 exec_lo, exec_lo, s2
	v_and_b32_e32 v2, 0x7f800000, v130
	s_delay_alu instid0(VALU_DEP_1) | instskip(SKIP_1) | instid1(SALU_CYCLE_1)
	v_cmp_ne_u32_e32 vcc_lo, 0x7f800000, v2
                                        ; implicit-def: $vgpr2
	s_and_saveexec_b32 s2, vcc_lo
	s_xor_b32 s2, exec_lo, s2
; %bb.83:
	v_bfe_u32 v2, v130, 16, 1
	s_delay_alu instid0(VALU_DEP_1)
	v_add3_u32 v2, v130, v2, 0x7fff
; %bb.84:
	s_and_not1_saveexec_b32 s2, s2
; %bb.85:
	v_and_b32_e32 v2, 0xffff, v130
	v_or_b32_e32 v3, 0x10000, v130
	s_delay_alu instid0(VALU_DEP_2) | instskip(NEXT) | instid1(VALU_DEP_2)
	v_cmp_eq_u32_e32 vcc_lo, 0, v2
	v_cndmask_b32_e32 v2, v3, v130, vcc_lo
; %bb.86:
	s_or_b32 exec_lo, exec_lo, s2
	v_and_b32_e32 v3, 0x7f800000, v131
	s_delay_alu instid0(VALU_DEP_1) | instskip(SKIP_1) | instid1(SALU_CYCLE_1)
	v_cmp_ne_u32_e32 vcc_lo, 0x7f800000, v3
                                        ; implicit-def: $vgpr3
	s_and_saveexec_b32 s2, vcc_lo
	s_xor_b32 s2, exec_lo, s2
; %bb.87:
	v_bfe_u32 v3, v131, 16, 1
	s_delay_alu instid0(VALU_DEP_1)
	v_add3_u32 v3, v131, v3, 0x7fff
; %bb.88:
	s_and_not1_saveexec_b32 s2, s2
; %bb.89:
	v_and_b32_e32 v3, 0xffff, v131
	v_or_b32_e32 v4, 0x10000, v131
	s_delay_alu instid0(VALU_DEP_2) | instskip(NEXT) | instid1(VALU_DEP_2)
	v_cmp_eq_u32_e32 vcc_lo, 0, v3
	v_cndmask_b32_e32 v3, v4, v131, vcc_lo
; %bb.90:
	s_or_b32 exec_lo, exec_lo, s2
	v_and_b32_e32 v4, 0x7f800000, v132
	s_delay_alu instid0(VALU_DEP_1) | instskip(SKIP_1) | instid1(SALU_CYCLE_1)
	v_cmp_ne_u32_e32 vcc_lo, 0x7f800000, v4
                                        ; implicit-def: $vgpr4
	s_and_saveexec_b32 s2, vcc_lo
	s_xor_b32 s2, exec_lo, s2
; %bb.91:
	v_bfe_u32 v4, v132, 16, 1
	s_delay_alu instid0(VALU_DEP_1)
	v_add3_u32 v4, v132, v4, 0x7fff
; %bb.92:
	s_and_not1_saveexec_b32 s2, s2
; %bb.93:
	v_and_b32_e32 v4, 0xffff, v132
	v_or_b32_e32 v5, 0x10000, v132
	s_delay_alu instid0(VALU_DEP_2) | instskip(NEXT) | instid1(VALU_DEP_2)
	v_cmp_eq_u32_e32 vcc_lo, 0, v4
	v_cndmask_b32_e32 v4, v5, v132, vcc_lo
; %bb.94:
	s_or_b32 exec_lo, exec_lo, s2
	v_and_b32_e32 v5, 0x7f800000, v133
	s_delay_alu instid0(VALU_DEP_1) | instskip(SKIP_1) | instid1(SALU_CYCLE_1)
	v_cmp_ne_u32_e32 vcc_lo, 0x7f800000, v5
                                        ; implicit-def: $vgpr5
	s_and_saveexec_b32 s2, vcc_lo
	s_xor_b32 s2, exec_lo, s2
; %bb.95:
	v_bfe_u32 v5, v133, 16, 1
	s_delay_alu instid0(VALU_DEP_1)
	v_add3_u32 v5, v133, v5, 0x7fff
; %bb.96:
	s_and_not1_saveexec_b32 s2, s2
; %bb.97:
	v_and_b32_e32 v5, 0xffff, v133
	v_or_b32_e32 v6, 0x10000, v133
	s_delay_alu instid0(VALU_DEP_2) | instskip(NEXT) | instid1(VALU_DEP_2)
	v_cmp_eq_u32_e32 vcc_lo, 0, v5
	v_cndmask_b32_e32 v5, v6, v133, vcc_lo
; %bb.98:
	s_or_b32 exec_lo, exec_lo, s2
	v_and_b32_e32 v6, 0x7f800000, v134
	s_delay_alu instid0(VALU_DEP_1) | instskip(SKIP_1) | instid1(SALU_CYCLE_1)
	v_cmp_ne_u32_e32 vcc_lo, 0x7f800000, v6
                                        ; implicit-def: $vgpr6
	s_and_saveexec_b32 s2, vcc_lo
	s_xor_b32 s2, exec_lo, s2
; %bb.99:
	v_bfe_u32 v6, v134, 16, 1
	s_delay_alu instid0(VALU_DEP_1)
	v_add3_u32 v6, v134, v6, 0x7fff
; %bb.100:
	s_and_not1_saveexec_b32 s2, s2
; %bb.101:
	v_and_b32_e32 v6, 0xffff, v134
	v_or_b32_e32 v7, 0x10000, v134
	s_delay_alu instid0(VALU_DEP_2) | instskip(NEXT) | instid1(VALU_DEP_2)
	v_cmp_eq_u32_e32 vcc_lo, 0, v6
	v_cndmask_b32_e32 v6, v7, v134, vcc_lo
; %bb.102:
	s_or_b32 exec_lo, exec_lo, s2
	v_and_b32_e32 v7, 0x7f800000, v135
	s_delay_alu instid0(VALU_DEP_1) | instskip(SKIP_1) | instid1(SALU_CYCLE_1)
	v_cmp_ne_u32_e32 vcc_lo, 0x7f800000, v7
                                        ; implicit-def: $vgpr7
	s_and_saveexec_b32 s2, vcc_lo
	s_xor_b32 s2, exec_lo, s2
; %bb.103:
	v_bfe_u32 v7, v135, 16, 1
	s_delay_alu instid0(VALU_DEP_1)
	v_add3_u32 v7, v135, v7, 0x7fff
; %bb.104:
	s_and_not1_saveexec_b32 s2, s2
; %bb.105:
	v_and_b32_e32 v7, 0xffff, v135
	v_or_b32_e32 v8, 0x10000, v135
	s_delay_alu instid0(VALU_DEP_2) | instskip(NEXT) | instid1(VALU_DEP_2)
	v_cmp_eq_u32_e32 vcc_lo, 0, v7
	v_cndmask_b32_e32 v7, v8, v135, vcc_lo
; %bb.106:
	s_or_b32 exec_lo, exec_lo, s2
	v_and_b32_e32 v8, 0x7f800000, v136
	s_delay_alu instid0(VALU_DEP_1) | instskip(SKIP_1) | instid1(SALU_CYCLE_1)
	v_cmp_ne_u32_e32 vcc_lo, 0x7f800000, v8
                                        ; implicit-def: $vgpr8
	s_and_saveexec_b32 s2, vcc_lo
	s_xor_b32 s2, exec_lo, s2
; %bb.107:
	v_bfe_u32 v8, v136, 16, 1
	s_delay_alu instid0(VALU_DEP_1)
	v_add3_u32 v8, v136, v8, 0x7fff
                                        ; implicit-def: $vgpr129_vgpr130_vgpr131_vgpr132_vgpr133_vgpr134_vgpr135_vgpr136
; %bb.108:
	s_and_not1_saveexec_b32 s2, s2
; %bb.109:
	v_and_b32_e32 v8, 0xffff, v136
	v_or_b32_e32 v9, 0x10000, v136
	s_delay_alu instid0(VALU_DEP_2) | instskip(NEXT) | instid1(VALU_DEP_2)
	v_cmp_eq_u32_e32 vcc_lo, 0, v8
	v_cndmask_b32_e32 v8, v9, v136, vcc_lo
; %bb.110:
	s_or_b32 exec_lo, exec_lo, s2
	s_delay_alu instid0(VALU_DEP_1)
	v_perm_b32 v7, v8, v7, 0x7060302
	v_perm_b32 v6, v6, v5, 0x7060302
	;; [unrolled: 1-line block ×4, first 2 shown]
	v_lshl_or_b32 v9, v138, 4, v145
	s_barrier
	buffer_gl0_inv
	v_cmp_eq_u32_e32 vcc_lo, 1, v142
	ds_store_b128 v9, v[4:7]
	s_waitcnt lgkmcnt(0)
	s_barrier
	buffer_gl0_inv
	ds_load_b128 v[1:4], v145
	ds_load_b128 v[5:8], v145 offset:16
	v_cmp_eq_u32_e64 s3, 2, v142
	v_cmp_eq_u32_e64 s2, 1, v143
	v_cmp_eq_u32_e64 s4, 3, v142
	v_cmp_eq_u32_e64 s6, 2, v141
	v_cmp_eq_u32_e64 s5, 7, v143
	s_waitcnt lgkmcnt(1)
	v_lshrrev_b32_e32 v10, 16, v1
	s_waitcnt lgkmcnt(0)
	v_lshrrev_b32_e32 v14, 16, v5
	v_lshrrev_b32_e32 v15, 16, v6
	;; [unrolled: 1-line block ×4, first 2 shown]
	v_cndmask_b32_e64 v20, v1, v10, s2
	v_cndmask_b32_e32 v19, v5, v14, vcc_lo
	v_cndmask_b32_e64 v21, v5, v14, s2
	v_lshrrev_b32_e32 v16, 16, v7
	v_cmp_eq_u32_e64 s2, 1, v141
	v_lshrrev_b32_e32 v13, 16, v4
	v_cndmask_b32_e64 v19, v19, v6, s3
	v_lshrrev_b32_e32 v17, 16, v8
	s_delay_alu instid0(VALU_DEP_4) | instskip(SKIP_1) | instid1(VALU_DEP_4)
	v_cndmask_b32_e64 v22, v1, v10, s2
	v_cndmask_b32_e64 v23, v5, v14, s2
	;; [unrolled: 1-line block ×3, first 2 shown]
	v_cndmask_b32_e32 v18, v1, v10, vcc_lo
	v_cmp_eq_u32_e32 vcc_lo, 2, v143
	v_cmp_eq_u32_e64 s2, 2, v146
	v_cndmask_b32_e64 v22, v22, v2, s6
	v_cndmask_b32_e32 v20, v20, v2, vcc_lo
	v_cndmask_b32_e32 v21, v21, v6, vcc_lo
	v_cmp_eq_u32_e32 vcc_lo, 4, v142
	v_cndmask_b32_e32 v19, v19, v7, vcc_lo
	v_cndmask_b32_e64 v18, v18, v2, s3
	v_cmp_eq_u32_e64 s3, 3, v143
	s_delay_alu instid0(VALU_DEP_2) | instskip(NEXT) | instid1(VALU_DEP_2)
	v_cndmask_b32_e64 v18, v18, v11, s4
	v_cndmask_b32_e64 v21, v21, v15, s3
	v_cmp_eq_u32_e64 s4, 5, v142
	s_delay_alu instid0(VALU_DEP_3) | instskip(SKIP_1) | instid1(VALU_DEP_3)
	v_cndmask_b32_e32 v18, v18, v3, vcc_lo
	v_cmp_eq_u32_e32 vcc_lo, 4, v143
	v_cndmask_b32_e64 v19, v19, v16, s4
	s_delay_alu instid0(VALU_DEP_3) | instskip(SKIP_4) | instid1(VALU_DEP_3)
	v_cndmask_b32_e64 v18, v18, v12, s4
	v_cndmask_b32_e32 v21, v21, v7, vcc_lo
	v_cndmask_b32_e64 v20, v20, v11, s3
	v_cmp_eq_u32_e64 s3, 5, v143
	v_cmp_eq_u32_e64 s4, 6, v142
	v_cndmask_b32_e32 v20, v20, v3, vcc_lo
	s_delay_alu instid0(VALU_DEP_3) | instskip(SKIP_1) | instid1(VALU_DEP_4)
	v_cndmask_b32_e64 v21, v21, v16, s3
	v_cmp_eq_u32_e32 vcc_lo, 6, v143
	v_cndmask_b32_e64 v18, v18, v4, s4
	v_cndmask_b32_e64 v19, v19, v8, s4
	;; [unrolled: 1-line block ×3, first 2 shown]
	v_cmp_eq_u32_e64 s3, 1, v146
	v_cmp_eq_u32_e64 s4, 7, v142
	s_delay_alu instid0(VALU_DEP_3) | instskip(NEXT) | instid1(VALU_DEP_3)
	v_cndmask_b32_e32 v20, v20, v4, vcc_lo
	v_cndmask_b32_e64 v1, v1, v10, s3
	v_cndmask_b32_e64 v5, v5, v14, s3
	v_cmp_eq_u32_e64 s3, 3, v141
	v_cndmask_b32_e64 v14, v23, v6, s6
	v_cmp_eq_u32_e64 s6, 3, v146
	v_cndmask_b32_e64 v1, v1, v2, s2
	v_cndmask_b32_e64 v2, v5, v6, s2
	v_cndmask_b32_e64 v10, v22, v11, s3
	v_cmp_eq_u32_e64 s2, 4, v141
	v_cndmask_b32_e64 v6, v14, v15, s3
	v_cndmask_b32_e64 v1, v1, v11, s6
	v_cmp_eq_u32_e64 s3, 4, v146
	v_cndmask_b32_e64 v2, v2, v15, s6
	v_cndmask_b32_e64 v5, v10, v3, s2
	;; [unrolled: 3-line block ×3, first 2 shown]
	v_cndmask_b32_e64 v2, v2, v7, s3
	v_cmp_eq_u32_e64 s2, 5, v146
	v_cndmask_b32_e64 v5, v5, v12, s6
	v_cmp_eq_u32_e64 s3, 6, v141
	;; [unrolled: 2-line block ×3, first 2 shown]
	v_cndmask_b32_e64 v1, v1, v12, s2
	v_cndmask_b32_e64 v2, v2, v16, s2
	;; [unrolled: 1-line block ×4, first 2 shown]
	v_cmp_eq_u32_e64 s2, 7, v146
	v_cndmask_b32_e64 v1, v1, v4, s6
	v_cndmask_b32_e64 v2, v2, v8, s6
	v_cmp_eq_u32_e64 s3, 7, v141
	v_cndmask_b32_e32 v4, v21, v8, vcc_lo
	v_cndmask_b32_e64 v18, v18, v13, s4
	v_cndmask_b32_e64 v20, v20, v13, s5
	;; [unrolled: 1-line block ×8, first 2 shown]
	s_mov_b32 s2, exec_lo
	v_perm_b32 v4, v2, v1, 0x5040100
	v_perm_b32 v3, v3, v5, 0x5040100
	;; [unrolled: 1-line block ×4, first 2 shown]
	ds_store_b128 v9, v[1:4]
	s_waitcnt lgkmcnt(0)
	s_barrier
	buffer_gl0_inv
	v_cmpx_gt_u32_e32 32, v0
	s_cbranch_execz .LBB591_2
; %bb.111:
	s_load_b64 s[0:1], s[0:1], 0x68
	v_lshlrev_b32_e32 v0, 10, v0
	s_lshl_b32 s4, s34, 7
	v_or_b32_e32 v3, s29, v138
	s_mul_i32 s2, s4, s30
	v_lshlrev_b32_e32 v1, 4, v139
	v_lshlrev_b32_e32 v2, 6, v138
	v_and_b32_e32 v0, 0x3800, v0
	s_mul_i32 s2, s2, s7
	v_mul_lo_u32 v8, v3, s4
	s_ashr_i32 s3, s2, 31
	s_delay_alu instid0(SALU_CYCLE_1)
	s_lshl_b64 s[2:3], s[2:3], 1
	v_or3_b32 v16, v0, v1, v2
	ds_load_b128 v[0:3], v16
	ds_load_b128 v[4:7], v16 offset:128
	v_ashrrev_i32_e32 v9, 31, v8
	s_waitcnt lgkmcnt(0)
	s_add_u32 s2, s0, s2
	s_addc_u32 s3, s1, s3
	s_lshl_b32 s0, s14, 7
	s_delay_alu instid0(SALU_CYCLE_1) | instskip(SKIP_2) | instid1(SALU_CYCLE_1)
	s_ashr_i32 s1, s0, 31
	v_lshlrev_b64 v[9:10], 1, v[8:9]
	s_lshl_b64 s[0:1], s[0:1], 1
	s_add_u32 s0, s2, s0
	s_addc_u32 s1, s3, s1
	s_lshl_b32 s2, s34, 8
	v_add_co_u32 v30, s0, s0, v137
	v_add_nc_u32_e32 v11, s2, v8
	v_add_co_ci_u32_e64 v31, null, s1, 0, s0
	s_delay_alu instid0(VALU_DEP_3) | instskip(NEXT) | instid1(VALU_DEP_3)
	v_add_co_u32 v9, vcc_lo, v30, v9
	v_add_nc_u32_e32 v8, s2, v11
	s_delay_alu instid0(VALU_DEP_3) | instskip(SKIP_1) | instid1(VALU_DEP_3)
	v_add_co_ci_u32_e32 v10, vcc_lo, v31, v10, vcc_lo
	v_ashrrev_i32_e32 v12, 31, v11
	v_add_nc_u32_e32 v13, s2, v8
	global_store_b128 v[9:10], v[0:3], off
	v_ashrrev_i32_e32 v9, 31, v8
	v_lshlrev_b64 v[11:12], 1, v[11:12]
	v_ashrrev_i32_e32 v14, 31, v13
	v_add_nc_u32_e32 v10, s2, v13
	s_delay_alu instid0(VALU_DEP_4) | instskip(NEXT) | instid1(VALU_DEP_4)
	v_lshlrev_b64 v[2:3], 1, v[8:9]
	v_add_co_u32 v0, vcc_lo, v30, v11
	s_delay_alu instid0(VALU_DEP_4)
	v_lshlrev_b64 v[8:9], 1, v[13:14]
	v_add_co_ci_u32_e32 v1, vcc_lo, v31, v12, vcc_lo
	v_ashrrev_i32_e32 v11, 31, v10
	v_add_co_u32 v22, vcc_lo, v30, v2
	v_add_nc_u32_e32 v20, s2, v10
	v_add_co_ci_u32_e32 v23, vcc_lo, v31, v3, vcc_lo
	v_add_co_u32 v24, vcc_lo, v30, v8
	global_store_b128 v[0:1], v[4:7], off
	v_add_co_ci_u32_e32 v25, vcc_lo, v31, v9, vcc_lo
	ds_load_b128 v[0:3], v16 offset:256
	ds_load_b128 v[4:7], v16 offset:384
	v_lshlrev_b64 v[26:27], 1, v[10:11]
	ds_load_b128 v[8:11], v16 offset:512
	ds_load_b128 v[12:15], v16 offset:640
	;; [unrolled: 1-line block ×3, first 2 shown]
	v_add_nc_u32_e32 v28, s2, v20
	v_ashrrev_i32_e32 v21, 31, v20
	v_add_co_u32 v26, vcc_lo, v30, v26
	s_delay_alu instid0(VALU_DEP_3) | instskip(NEXT) | instid1(VALU_DEP_3)
	v_ashrrev_i32_e32 v29, 31, v28
	v_lshlrev_b64 v[20:21], 1, v[20:21]
	v_add_co_ci_u32_e32 v27, vcc_lo, v31, v27, vcc_lo
	s_delay_alu instid0(VALU_DEP_3) | instskip(NEXT) | instid1(VALU_DEP_3)
	v_lshlrev_b64 v[28:29], 1, v[28:29]
	v_add_co_u32 v20, vcc_lo, v30, v20
	s_delay_alu instid0(VALU_DEP_4) | instskip(NEXT) | instid1(VALU_DEP_3)
	v_add_co_ci_u32_e32 v21, vcc_lo, v31, v21, vcc_lo
	v_add_co_u32 v28, vcc_lo, v30, v28
	s_delay_alu instid0(VALU_DEP_4)
	v_add_co_ci_u32_e32 v29, vcc_lo, v31, v29, vcc_lo
	s_waitcnt lgkmcnt(4)
	global_store_b128 v[22:23], v[0:3], off
	s_waitcnt lgkmcnt(3)
	global_store_b128 v[24:25], v[4:7], off
	;; [unrolled: 2-line block ×5, first 2 shown]
	s_nop 0
	s_sendmsg sendmsg(MSG_DEALLOC_VGPRS)
	s_endpgm
	.section	.rodata,"a",@progbits
	.p2align	6, 0x0
	.amdhsa_kernel _Z39paged_attention_ll4mi_QKV_mfma16_kernelI14__hip_bfloat16S0_LN4vllm18Fp8KVCacheDataTypeE0EhLi16ELi128ELi256ELb1ELi14EL8MFMAType0EEvPKT_PKT0_S9_ifPKiSB_SB_iPKfiiiPfSE_PS4_PT2_iSD_SD_
		.amdhsa_group_segment_fixed_size 17472
		.amdhsa_private_segment_fixed_size 0
		.amdhsa_kernarg_size 400
		.amdhsa_user_sgpr_count 13
		.amdhsa_user_sgpr_dispatch_ptr 0
		.amdhsa_user_sgpr_queue_ptr 0
		.amdhsa_user_sgpr_kernarg_segment_ptr 1
		.amdhsa_user_sgpr_dispatch_id 0
		.amdhsa_user_sgpr_private_segment_size 0
		.amdhsa_wavefront_size32 1
		.amdhsa_uses_dynamic_stack 0
		.amdhsa_enable_private_segment 0
		.amdhsa_system_sgpr_workgroup_id_x 1
		.amdhsa_system_sgpr_workgroup_id_y 1
		.amdhsa_system_sgpr_workgroup_id_z 1
		.amdhsa_system_sgpr_workgroup_info 0
		.amdhsa_system_vgpr_workitem_id 0
		.amdhsa_next_free_vgpr 218
		.amdhsa_next_free_sgpr 50
		.amdhsa_reserve_vcc 1
		.amdhsa_float_round_mode_32 0
		.amdhsa_float_round_mode_16_64 0
		.amdhsa_float_denorm_mode_32 3
		.amdhsa_float_denorm_mode_16_64 3
		.amdhsa_dx10_clamp 1
		.amdhsa_ieee_mode 1
		.amdhsa_fp16_overflow 0
		.amdhsa_workgroup_processor_mode 1
		.amdhsa_memory_ordered 1
		.amdhsa_forward_progress 0
		.amdhsa_shared_vgpr_count 0
		.amdhsa_exception_fp_ieee_invalid_op 0
		.amdhsa_exception_fp_denorm_src 0
		.amdhsa_exception_fp_ieee_div_zero 0
		.amdhsa_exception_fp_ieee_overflow 0
		.amdhsa_exception_fp_ieee_underflow 0
		.amdhsa_exception_fp_ieee_inexact 0
		.amdhsa_exception_int_div_zero 0
	.end_amdhsa_kernel
	.section	.text._Z39paged_attention_ll4mi_QKV_mfma16_kernelI14__hip_bfloat16S0_LN4vllm18Fp8KVCacheDataTypeE0EhLi16ELi128ELi256ELb1ELi14EL8MFMAType0EEvPKT_PKT0_S9_ifPKiSB_SB_iPKfiiiPfSE_PS4_PT2_iSD_SD_,"axG",@progbits,_Z39paged_attention_ll4mi_QKV_mfma16_kernelI14__hip_bfloat16S0_LN4vllm18Fp8KVCacheDataTypeE0EhLi16ELi128ELi256ELb1ELi14EL8MFMAType0EEvPKT_PKT0_S9_ifPKiSB_SB_iPKfiiiPfSE_PS4_PT2_iSD_SD_,comdat
.Lfunc_end591:
	.size	_Z39paged_attention_ll4mi_QKV_mfma16_kernelI14__hip_bfloat16S0_LN4vllm18Fp8KVCacheDataTypeE0EhLi16ELi128ELi256ELb1ELi14EL8MFMAType0EEvPKT_PKT0_S9_ifPKiSB_SB_iPKfiiiPfSE_PS4_PT2_iSD_SD_, .Lfunc_end591-_Z39paged_attention_ll4mi_QKV_mfma16_kernelI14__hip_bfloat16S0_LN4vllm18Fp8KVCacheDataTypeE0EhLi16ELi128ELi256ELb1ELi14EL8MFMAType0EEvPKT_PKT0_S9_ifPKiSB_SB_iPKfiiiPfSE_PS4_PT2_iSD_SD_
                                        ; -- End function
	.section	.AMDGPU.csdata,"",@progbits
; Kernel info:
; codeLenInByte = 10396
; NumSgprs: 52
; NumVgprs: 218
; ScratchSize: 0
; MemoryBound: 0
; FloatMode: 240
; IeeeMode: 1
; LDSByteSize: 17472 bytes/workgroup (compile time only)
; SGPRBlocks: 6
; VGPRBlocks: 27
; NumSGPRsForWavesPerEU: 52
; NumVGPRsForWavesPerEU: 218
; Occupancy: 6
; WaveLimiterHint : 1
; COMPUTE_PGM_RSRC2:SCRATCH_EN: 0
; COMPUTE_PGM_RSRC2:USER_SGPR: 13
; COMPUTE_PGM_RSRC2:TRAP_HANDLER: 0
; COMPUTE_PGM_RSRC2:TGID_X_EN: 1
; COMPUTE_PGM_RSRC2:TGID_Y_EN: 1
; COMPUTE_PGM_RSRC2:TGID_Z_EN: 1
; COMPUTE_PGM_RSRC2:TIDIG_COMP_CNT: 0
	.section	.text._Z39paged_attention_ll4mi_QKV_mfma16_kernelI14__hip_bfloat16S0_LN4vllm18Fp8KVCacheDataTypeE0EhLi16ELi128ELi256ELb1ELi15EL8MFMAType0EEvPKT_PKT0_S9_ifPKiSB_SB_iPKfiiiPfSE_PS4_PT2_iSD_SD_,"axG",@progbits,_Z39paged_attention_ll4mi_QKV_mfma16_kernelI14__hip_bfloat16S0_LN4vllm18Fp8KVCacheDataTypeE0EhLi16ELi128ELi256ELb1ELi15EL8MFMAType0EEvPKT_PKT0_S9_ifPKiSB_SB_iPKfiiiPfSE_PS4_PT2_iSD_SD_,comdat
	.protected	_Z39paged_attention_ll4mi_QKV_mfma16_kernelI14__hip_bfloat16S0_LN4vllm18Fp8KVCacheDataTypeE0EhLi16ELi128ELi256ELb1ELi15EL8MFMAType0EEvPKT_PKT0_S9_ifPKiSB_SB_iPKfiiiPfSE_PS4_PT2_iSD_SD_ ; -- Begin function _Z39paged_attention_ll4mi_QKV_mfma16_kernelI14__hip_bfloat16S0_LN4vllm18Fp8KVCacheDataTypeE0EhLi16ELi128ELi256ELb1ELi15EL8MFMAType0EEvPKT_PKT0_S9_ifPKiSB_SB_iPKfiiiPfSE_PS4_PT2_iSD_SD_
	.globl	_Z39paged_attention_ll4mi_QKV_mfma16_kernelI14__hip_bfloat16S0_LN4vllm18Fp8KVCacheDataTypeE0EhLi16ELi128ELi256ELb1ELi15EL8MFMAType0EEvPKT_PKT0_S9_ifPKiSB_SB_iPKfiiiPfSE_PS4_PT2_iSD_SD_
	.p2align	8
	.type	_Z39paged_attention_ll4mi_QKV_mfma16_kernelI14__hip_bfloat16S0_LN4vllm18Fp8KVCacheDataTypeE0EhLi16ELi128ELi256ELb1ELi15EL8MFMAType0EEvPKT_PKT0_S9_ifPKiSB_SB_iPKfiiiPfSE_PS4_PT2_iSD_SD_,@function
_Z39paged_attention_ll4mi_QKV_mfma16_kernelI14__hip_bfloat16S0_LN4vllm18Fp8KVCacheDataTypeE0EhLi16ELi128ELi256ELb1ELi15EL8MFMAType0EEvPKT_PKT0_S9_ifPKiSB_SB_iPKfiiiPfSE_PS4_PT2_iSD_SD_: ; @_Z39paged_attention_ll4mi_QKV_mfma16_kernelI14__hip_bfloat16S0_LN4vllm18Fp8KVCacheDataTypeE0EhLi16ELi128ELi256ELb1ELi15EL8MFMAType0EEvPKT_PKT0_S9_ifPKiSB_SB_iPKfiiiPfSE_PS4_PT2_iSD_SD_
; %bb.0:
	s_load_b64 s[4:5], s[0:1], 0x30
	s_mov_b32 s30, s13
	s_waitcnt lgkmcnt(0)
	s_cmp_lg_u64 s[4:5], 0
	s_cselect_b32 s12, -1, 0
	s_ashr_i32 s31, s13, 31
	s_cmp_eq_u64 s[4:5], 0
	s_cbranch_scc1 .LBB592_3
; %bb.1:
	s_lshl_b64 s[2:3], s[30:31], 2
	s_delay_alu instid0(SALU_CYCLE_1) | instskip(SKIP_4) | instid1(SALU_CYCLE_1)
	s_add_u32 s2, s4, s2
	s_addc_u32 s3, s5, s3
	s_load_b64 s[2:3], s[2:3], 0x0
	s_waitcnt lgkmcnt(0)
	s_sub_i32 s2, s3, s2
	s_cmp_eq_u32 s2, 1
	s_cselect_b32 s2, -1, 0
	s_delay_alu instid0(SALU_CYCLE_1)
	s_and_not1_b32 vcc_lo, exec_lo, s2
	s_cbranch_vccz .LBB592_4
.LBB592_2:
	s_nop 0
	s_sendmsg sendmsg(MSG_DEALLOC_VGPRS)
	s_endpgm
.LBB592_3:
.LBB592_4:
	s_load_b64 s[2:3], s[0:1], 0x28
	s_lshl_b64 s[6:7], s[30:31], 2
	s_waitcnt lgkmcnt(0)
	s_add_u32 s2, s2, s6
	s_addc_u32 s3, s3, s7
	s_lshl_b32 s29, s14, 8
	s_load_b32 s28, s[2:3], 0x0
	s_waitcnt lgkmcnt(0)
	s_cmp_ge_i32 s29, s28
	s_cbranch_scc1 .LBB592_2
; %bb.5:
	s_clause 0x1
	s_load_b128 s[8:11], s[0:1], 0x8
	s_load_b64 s[2:3], s[0:1], 0x20
	s_and_not1_b32 vcc_lo, exec_lo, s12
	s_cbranch_vccnz .LBB592_7
; %bb.6:
	s_add_u32 s4, s4, s6
	s_addc_u32 s5, s5, s7
	s_load_b32 s12, s[4:5], 0x0
	s_branch .LBB592_8
.LBB592_7:
	s_mov_b32 s12, s30
.LBB592_8:
	s_load_b128 s[4:7], s[0:1], 0x48
	v_and_b32_e32 v140, 15, v0
	v_lshrrev_b32_e32 v141, 5, v0
	v_bfe_u32 v138, v0, 4, 1
	v_and_b32_e32 v142, 31, v0
	v_and_b32_e32 v139, 1, v0
	v_lshlrev_b32_e32 v2, 3, v140
	s_mul_i32 s31, s15, 15
	v_lshl_or_b32 v1, v141, 1, v138
	s_waitcnt lgkmcnt(0)
	s_mov_b32 s7, exec_lo
	v_lshlrev_b32_e32 v137, 1, v2
	s_delay_alu instid0(VALU_DEP_2)
	v_cmpx_gt_u32_e32 15, v1
	s_cbranch_execz .LBB592_10
; %bb.9:
	s_load_b64 s[16:17], s[0:1], 0x0
	v_add_lshl_u32 v2, v1, s31, 7
	s_mul_hi_i32 s13, s12, s4
	s_mul_i32 s12, s12, s4
	v_lshlrev_b32_e32 v6, 10, v140
	s_lshl_b64 s[12:13], s[12:13], 1
	v_ashrrev_i32_e32 v3, 31, v2
	v_lshlrev_b32_e32 v1, 6, v1
	v_lshlrev_b32_e32 v7, 10, v139
	v_and_b32_e32 v6, 0x3800, v6
	s_delay_alu instid0(VALU_DEP_4) | instskip(NEXT) | instid1(VALU_DEP_2)
	v_lshlrev_b64 v[2:3], 1, v[2:3]
	v_or3_b32 v1, v6, v7, v1
	s_waitcnt lgkmcnt(0)
	s_add_u32 s4, s16, s12
	s_addc_u32 s12, s17, s13
	s_delay_alu instid0(VALU_DEP_2) | instskip(SKIP_1) | instid1(VALU_DEP_2)
	v_add_co_u32 v2, vcc_lo, s4, v2
	v_add_co_ci_u32_e32 v3, vcc_lo, s12, v3, vcc_lo
	v_add_co_u32 v2, vcc_lo, v2, v137
	s_delay_alu instid0(VALU_DEP_2)
	v_add_co_ci_u32_e32 v3, vcc_lo, 0, v3, vcc_lo
	global_load_b128 v[2:5], v[2:3], off
	s_waitcnt vmcnt(0)
	ds_store_b128 v1, v[2:5]
.LBB592_10:
	s_or_b32 exec_lo, exec_lo, s7
	s_mov_b32 s36, 0
	s_add_i32 s4, s28, 15
	s_mov_b32 s37, s36
	s_mov_b32 s38, s36
	;; [unrolled: 1-line block ×7, first 2 shown]
	s_delay_alu instid0(SALU_CYCLE_1)
	v_dual_mov_b32 v136, s43 :: v_dual_and_b32 v1, 0xef, v0
	v_mov_b32_e32 v134, s41
	s_clause 0x1
	s_load_b32 s7, s[0:1], 0x38
	s_load_b32 s33, s[0:1], 0x1c
	v_add_nc_u32_e32 v1, s29, v1
	s_ashr_i32 s12, s4, 31
	s_waitcnt lgkmcnt(0)
	s_lshr_b32 s12, s12, 28
	s_barrier
	v_ashrrev_i32_e32 v2, 31, v1
	s_add_i32 s4, s4, s12
	v_cmp_gt_i32_e32 vcc_lo, s28, v1
	s_ashr_i32 s4, s4, 4
	v_mov_b32_e32 v132, s39
	v_lshrrev_b32_e32 v3, 28, v2
	v_or_b32_e32 v2, 16, v1
	s_add_i32 s4, s4, -1
	buffer_gl0_inv
	v_dual_mov_b32 v135, s42 :: v_dual_add_nc_u32 v4, v1, v3
	v_add_nc_u32_e32 v3, v2, v3
	v_mov_b32_e32 v133, s40
	s_mul_i32 s12, s30, s7
	v_mov_b32_e32 v131, s38
	v_ashrrev_i32_e32 v4, 4, v4
	v_ashrrev_i32_e32 v3, 4, v3
	s_ashr_i32 s13, s12, 31
	v_lshlrev_b32_e32 v106, 5, v140
	s_lshl_b64 s[12:13], s[12:13], 2
	v_cndmask_b32_e32 v1, s4, v4, vcc_lo
	v_cmp_gt_i32_e32 vcc_lo, s28, v2
	s_add_u32 s34, s2, s12
	s_addc_u32 s35, s3, s13
	s_mul_i32 s2, s15, s6
	v_ashrrev_i32_e32 v2, 31, v1
	v_cndmask_b32_e32 v3, s4, v3, vcc_lo
	s_ashr_i32 s3, s2, 31
	v_lshl_or_b32 v125, v141, 9, v106
	s_lshl_b64 s[2:3], s[2:3], 1
	v_lshlrev_b64 v[1:2], 2, v[1:2]
	v_ashrrev_i32_e32 v4, 31, v3
	s_add_u32 s22, s8, s2
	s_addc_u32 s23, s9, s3
	s_lshl_b32 s6, s14, 4
	v_mov_b32_e32 v129, s36
	v_lshlrev_b64 v[3:4], 2, v[3:4]
	v_add_co_u32 v1, vcc_lo, s34, v1
	v_add_co_ci_u32_e32 v2, vcc_lo, s35, v2, vcc_lo
	s_ashr_i32 s7, s6, 31
	s_delay_alu instid0(VALU_DEP_3) | instskip(NEXT) | instid1(VALU_DEP_4)
	v_add_co_u32 v3, vcc_lo, s34, v3
	v_add_co_ci_u32_e32 v4, vcc_lo, s35, v4, vcc_lo
	s_clause 0x1
	global_load_b32 v5, v[1:2], off
	global_load_b32 v6, v[3:4], off
	s_lshl_b64 s[6:7], s[6:7], 2
	v_dual_mov_b32 v130, s37 :: v_dual_lshlrev_b32 v3, 4, v0
	s_add_u32 s6, s34, s6
	s_addc_u32 s7, s35, s7
	s_or_b32 s8, s29, 16
	s_delay_alu instid0(SALU_CYCLE_1) | instskip(SKIP_2) | instid1(SALU_CYCLE_1)
	s_ashr_i32 s9, s8, 4
	s_cmp_lt_i32 s8, s28
	s_cselect_b32 s8, s9, s4
	s_ashr_i32 s9, s8, 31
	s_delay_alu instid0(SALU_CYCLE_1) | instskip(NEXT) | instid1(SALU_CYCLE_1)
	s_lshl_b64 s[8:9], s[8:9], 2
	s_add_u32 s8, s34, s8
	s_addc_u32 s9, s35, s9
	s_or_b32 s12, s29, 32
	s_delay_alu instid0(SALU_CYCLE_1) | instskip(SKIP_2) | instid1(SALU_CYCLE_1)
	s_ashr_i32 s13, s12, 4
	s_cmp_lt_i32 s12, s28
	s_cselect_b32 s12, s13, s4
	s_ashr_i32 s13, s12, 31
	s_delay_alu instid0(SALU_CYCLE_1) | instskip(NEXT) | instid1(SALU_CYCLE_1)
	s_lshl_b64 s[12:13], s[12:13], 2
	;; [unrolled: 10-line block ×5, first 2 shown]
	s_add_u32 s20, s34, s20
	s_addc_u32 s21, s35, s21
	s_clause 0x5
	s_load_b32 s6, s[6:7], 0x0
	s_load_b32 s8, s[8:9], 0x0
	;; [unrolled: 1-line block ×6, first 2 shown]
	s_waitcnt vmcnt(1)
	v_mad_i64_i32 v[1:2], null, v5, s5, 0
	v_and_b32_e32 v5, 0xf0, v3
	s_waitcnt vmcnt(0)
	v_mad_i64_i32 v[3:4], null, v6, s5, 0
	s_delay_alu instid0(VALU_DEP_2) | instskip(NEXT) | instid1(VALU_DEP_4)
	v_add_co_u32 v5, s7, s22, v5
	v_lshlrev_b64 v[1:2], 1, v[1:2]
	v_add_co_ci_u32_e64 v6, null, s23, 0, s7
	s_delay_alu instid0(VALU_DEP_4) | instskip(SKIP_1) | instid1(VALU_DEP_3)
	v_lshlrev_b64 v[3:4], 1, v[3:4]
	s_or_b32 s7, s29, 0x60
	v_add_co_u32 v121, vcc_lo, v5, v1
	s_delay_alu instid0(VALU_DEP_3) | instskip(NEXT) | instid1(VALU_DEP_3)
	v_add_co_ci_u32_e32 v122, vcc_lo, v6, v2, vcc_lo
	v_add_co_u32 v123, vcc_lo, v5, v3
	s_delay_alu instid0(VALU_DEP_4)
	v_add_co_ci_u32_e32 v124, vcc_lo, v6, v4, vcc_lo
	s_clause 0x19
	global_load_b128 v[89:92], v[121:122], off
	global_load_b128 v[93:96], v[121:122], off offset:256
	global_load_b128 v[97:100], v[123:124], off
	global_load_b128 v[101:104], v[123:124], off offset:256
	global_load_b128 v[81:84], v[121:122], off offset:512
	;; [unrolled: 1-line block ×23, first 2 shown]
	s_ashr_i32 s9, s7, 4
	s_cmp_lt_i32 s7, s28
	v_cmp_ne_u32_e32 vcc_lo, 15, v140
	s_cselect_b32 s20, s9, s4
	s_delay_alu instid0(SALU_CYCLE_1) | instskip(NEXT) | instid1(SALU_CYCLE_1)
	s_ashr_i32 s21, s20, 31
	s_lshl_b64 s[20:21], s[20:21], 2
	v_cndmask_b32_e32 v105, 0, v140, vcc_lo
	s_add_u32 s20, s34, s20
	s_addc_u32 s21, s35, s21
	s_or_b32 s7, s29, 0x70
	s_delay_alu instid0(SALU_CYCLE_1)
	s_ashr_i32 s9, s7, 4
	s_cmp_lt_i32 s7, s28
	v_lshlrev_b32_e32 v215, 6, v105
	s_cselect_b32 s22, s9, s4
	ds_load_b128 v[105:108], v215
	ds_load_b128 v[109:112], v215 offset:1024
	s_ashr_i32 s23, s22, 31
	ds_load_b128 v[113:116], v215 offset:2048
	ds_load_b128 v[117:120], v215 offset:3072
	;; [unrolled: 1-line block ×8, first 2 shown]
	s_clause 0x1
	global_load_b128 v[167:170], v[123:124], off offset:3072
	global_load_b128 v[171:174], v[123:124], off offset:3328
	s_lshl_b64 s[22:23], s[22:23], 2
	s_delay_alu instid0(SALU_CYCLE_1)
	s_add_u32 s22, s34, s22
	s_addc_u32 s23, s35, s23
	s_clause 0x1
	s_load_b32 s42, s[20:21], 0x0
	s_load_b32 s43, s[22:23], 0x0
	s_clause 0x3
	global_load_b128 v[175:178], v[121:122], off offset:3584
	global_load_b128 v[179:182], v[121:122], off offset:3840
	;; [unrolled: 1-line block ×4, first 2 shown]
	s_or_b32 s7, s29, 0x80
	s_delay_alu instid0(SALU_CYCLE_1) | instskip(SKIP_2) | instid1(SALU_CYCLE_1)
	s_ashr_i32 s9, s7, 4
	s_cmp_lt_i32 s7, s28
	s_cselect_b32 s24, s9, s4
	s_ashr_i32 s25, s24, 31
	s_delay_alu instid0(SALU_CYCLE_1) | instskip(NEXT) | instid1(SALU_CYCLE_1)
	s_lshl_b64 s[24:25], s[24:25], 2
	s_add_u32 s24, s34, s24
	s_addc_u32 s25, s35, s25
	s_or_b32 s7, s29, 0x90
	s_load_b32 s44, s[24:25], 0x0
	s_ashr_i32 s9, s7, 4
	s_cmp_lt_i32 s7, s28
	s_cselect_b32 s26, s9, s4
	s_delay_alu instid0(SALU_CYCLE_1) | instskip(NEXT) | instid1(SALU_CYCLE_1)
	s_ashr_i32 s27, s26, 31
	s_lshl_b64 s[26:27], s[26:27], 2
	s_delay_alu instid0(SALU_CYCLE_1) | instskip(SKIP_2) | instid1(SALU_CYCLE_1)
	s_add_u32 s26, s34, s26
	s_addc_u32 s27, s35, s27
	s_or_b32 s7, s29, 0xa0
	s_ashr_i32 s9, s7, 4
	s_cmp_lt_i32 s7, s28
	s_waitcnt lgkmcnt(0)
	s_mul_hi_i32 s7, s6, s5
	s_cselect_b32 s36, s9, s4
	s_mul_i32 s6, s6, s5
	s_ashr_i32 s37, s36, 31
	s_delay_alu instid0(SALU_CYCLE_1) | instskip(NEXT) | instid1(SALU_CYCLE_1)
	s_lshl_b64 s[36:37], s[36:37], 2
	s_add_u32 s36, s34, s36
	s_addc_u32 s37, s35, s37
	s_or_b32 s9, s29, 0xb0
	s_delay_alu instid0(SALU_CYCLE_1)
	s_ashr_i32 s13, s9, 4
	s_cmp_lt_i32 s9, s28
	s_mul_hi_i32 s9, s8, s5
	s_cselect_b32 s38, s13, s4
	s_mul_i32 s8, s8, s5
	s_ashr_i32 s39, s38, 31
	s_mul_hi_i32 s13, s12, s5
	s_lshl_b64 s[38:39], s[38:39], 2
	s_mul_i32 s12, s12, s5
	s_add_u32 s40, s34, s38
	s_addc_u32 s41, s35, s39
	s_or_b32 s17, s29, 0xc0
	s_delay_alu instid0(SALU_CYCLE_1)
	s_ashr_i32 s19, s17, 4
	s_cmp_lt_i32 s17, s28
	s_mul_hi_i32 s17, s16, s5
	s_cselect_b32 s38, s19, s4
	s_mul_i32 s16, s16, s5
	s_ashr_i32 s39, s38, 31
	s_mul_hi_i32 s19, s18, s5
	s_lshl_b64 s[38:39], s[38:39], 2
	s_mul_i32 s18, s18, s5
	s_add_u32 s22, s34, s38
	s_addc_u32 s23, s35, s39
	s_clause 0x1
	s_load_b32 s39, s[26:27], 0x0
	s_load_b32 s38, s[36:37], 0x0
	s_or_b32 s20, s29, 0xd0
	s_mul_hi_i32 s27, s44, s5
	s_ashr_i32 s21, s20, 4
	s_cmp_lt_i32 s20, s28
	s_mul_i32 s20, s15, s5
	s_cselect_b32 s24, s21, s4
	s_mul_hi_i32 s21, s15, s5
	s_ashr_i32 s25, s24, 31
	s_mul_i32 s26, s44, s5
	s_lshl_b64 s[24:25], s[24:25], 2
	s_delay_alu instid0(SALU_CYCLE_1)
	s_add_u32 s24, s34, s24
	s_addc_u32 s25, s35, s25
	s_or_b32 s45, s29, 0xe0
	s_clause 0x2
	s_load_b32 s37, s[40:41], 0x0
	s_load_b32 s36, s[22:23], 0x0
	;; [unrolled: 1-line block ×3, first 2 shown]
	s_ashr_i32 s46, s45, 4
	s_cmp_lt_i32 s45, s28
	s_mul_hi_i32 s23, s42, s5
	s_mul_i32 s22, s42, s5
	s_cselect_b32 s42, s46, s4
	s_mul_hi_i32 s25, s43, s5
	s_mul_i32 s24, s43, s5
	s_ashr_i32 s43, s42, 31
	s_waitcnt lgkmcnt(0)
	s_mul_hi_i32 s41, s39, s5
	s_lshl_b64 s[42:43], s[42:43], 2
	s_mul_i32 s40, s39, s5
	s_add_u32 s42, s34, s42
	s_addc_u32 s43, s35, s43
	s_or_b32 s44, s29, 0xf0
	s_mul_hi_i32 s39, s38, s5
	s_ashr_i32 s46, s44, 4
	s_cmp_lt_i32 s44, s28
	s_mul_i32 s38, s38, s5
	s_cselect_b32 s46, s46, s4
	s_mul_hi_i32 s49, s15, s5
	s_ashr_i32 s47, s46, 31
	s_mul_i32 s48, s15, s5
	s_lshl_b64 s[46:47], s[46:47], 2
	s_mul_hi_i32 s45, s37, s5
	s_add_u32 s34, s34, s46
	s_addc_u32 s35, s35, s47
	s_add_u32 s4, s10, s2
	s_addc_u32 s15, s11, s3
	v_add_co_u32 v216, s4, s4, v125
	s_delay_alu instid0(VALU_DEP_1) | instskip(SKIP_2) | instid1(VALU_DEP_2)
	v_add_co_ci_u32_e64 v217, null, s15, 0, s4
	s_lshl_b64 s[2:3], s[6:7], 1
	s_lshl_b64 s[6:7], s[8:9], 1
	v_add_co_u32 v125, vcc_lo, v216, s2
	s_delay_alu instid0(VALU_DEP_2)
	v_add_co_ci_u32_e32 v126, vcc_lo, s3, v217, vcc_lo
	v_add_co_u32 v199, vcc_lo, v216, s6
	s_lshl_b64 s[8:9], s[12:13], 1
	v_add_co_ci_u32_e32 v200, vcc_lo, s7, v217, vcc_lo
	s_lshl_b64 s[10:11], s[16:17], 1
	s_lshl_b64 s[12:13], s[18:19], 1
	;; [unrolled: 1-line block ×8, first 2 shown]
	s_mul_i32 s44, s37, s5
	s_mul_hi_i32 s37, s36, s5
	s_lshl_b64 s[38:39], s[44:45], 1
	s_mul_i32 s36, s36, s5
	s_clause 0x1
	s_load_b32 s4, s[42:43], 0x0
	s_load_b32 s15, s[34:35], 0x0
	s_lshl_b64 s[36:37], s[36:37], 1
	s_lshl_b64 s[40:41], s[48:49], 1
	s_waitcnt lgkmcnt(0)
	s_mul_hi_i32 s3, s4, s5
	s_mul_i32 s2, s4, s5
	s_mul_hi_i32 s7, s15, s5
	s_lshl_b64 s[2:3], s[2:3], 1
	s_mul_i32 s6, s15, s5
	s_waitcnt vmcnt(30)
	v_wmma_f32_16x16x16_bf16 v[191:198], v[89:96], v[105:112], v[129:136]
	v_add_co_u32 v89, vcc_lo, v216, s8
	v_add_co_ci_u32_e32 v90, vcc_lo, s9, v217, vcc_lo
	v_add_co_u32 v91, vcc_lo, v216, s10
	v_add_co_ci_u32_e32 v92, vcc_lo, s11, v217, vcc_lo
	;; [unrolled: 2-line block ×5, first 2 shown]
	v_add_co_u32 v205, vcc_lo, v216, s20
	s_waitcnt vmcnt(28)
	v_wmma_f32_16x16x16_bf16 v[129:136], v[97:104], v[105:112], v[129:136]
	v_add_co_ci_u32_e32 v206, vcc_lo, s21, v217, vcc_lo
	v_add_co_u32 v207, vcc_lo, v216, s22
	v_add_co_ci_u32_e32 v208, vcc_lo, s23, v217, vcc_lo
	v_add_co_u32 v209, vcc_lo, v216, s24
	s_waitcnt vmcnt(26)
	v_wmma_f32_16x16x16_bf16 v[191:198], v[81:88], v[113:120], v[191:198]
	s_waitcnt vmcnt(24)
	v_wmma_f32_16x16x16_bf16 v[129:136], v[73:80], v[113:120], v[129:136]
	v_add_co_ci_u32_e32 v210, vcc_lo, s25, v217, vcc_lo
	v_add_co_u32 v211, vcc_lo, v216, s26
	v_add_co_ci_u32_e32 v212, vcc_lo, s27, v217, vcc_lo
	v_add_co_u32 v213, vcc_lo, v216, s38
	s_waitcnt vmcnt(22)
	v_wmma_f32_16x16x16_bf16 v[191:198], v[65:72], v[143:150], v[191:198]
	s_waitcnt vmcnt(20)
	v_wmma_f32_16x16x16_bf16 v[129:136], v[57:64], v[143:150], v[129:136]
	v_add_co_ci_u32_e32 v214, vcc_lo, s39, v217, vcc_lo
	v_add_co_u32 v143, vcc_lo, v216, s36
	s_waitcnt vmcnt(18)
	v_wmma_f32_16x16x16_bf16 v[191:198], v[49:56], v[151:158], v[191:198]
	s_waitcnt vmcnt(16)
	v_wmma_f32_16x16x16_bf16 v[129:136], v[41:48], v[151:158], v[129:136]
	v_add_co_ci_u32_e32 v144, vcc_lo, s37, v217, vcc_lo
	s_clause 0x15
	global_load_b128 v[121:124], v[125:126], off
	global_load_b128 v[125:128], v[125:126], off offset:16
	global_load_b128 v[113:116], v[199:200], off
	global_load_b128 v[117:120], v[199:200], off offset:16
	;; [unrolled: 2-line block ×11, first 2 shown]
	s_waitcnt vmcnt(36)
	v_wmma_f32_16x16x16_bf16 v[191:198], v[17:24], v[159:166], v[191:198]
	s_clause 0x1
	global_load_b128 v[17:20], v[213:214], off
	global_load_b128 v[21:24], v[213:214], off offset:16
	s_waitcnt vmcnt(36)
	v_wmma_f32_16x16x16_bf16 v[129:136], v[1:8], v[159:166], v[129:136]
	s_clause 0x1
	global_load_b128 v[1:4], v[143:144], off
	global_load_b128 v[5:8], v[143:144], off offset:16
	ds_load_b128 v[143:146], v215 offset:10240
	ds_load_b128 v[147:150], v215 offset:11264
	;; [unrolled: 1-line block ×4, first 2 shown]
	v_add_co_u32 v199, vcc_lo, v216, s40
	v_add_co_ci_u32_e32 v200, vcc_lo, s41, v217, vcc_lo
	v_add_co_u32 v159, vcc_lo, v216, s2
	v_add_co_ci_u32_e32 v160, vcc_lo, s3, v217, vcc_lo
	s_lshl_b64 s[2:3], s[6:7], 1
	s_delay_alu instid0(SALU_CYCLE_1)
	v_add_co_u32 v161, vcc_lo, v216, s2
	v_add_co_ci_u32_e32 v162, vcc_lo, s3, v217, vcc_lo
	s_waitcnt vmcnt(36) lgkmcnt(2)
	v_wmma_f32_16x16x16_bf16 v[191:198], v[25:32], v[143:150], v[191:198]
	s_waitcnt vmcnt(34)
	v_wmma_f32_16x16x16_bf16 v[129:136], v[33:40], v[143:150], v[129:136]
	s_clause 0x3
	global_load_b128 v[25:28], v[199:200], off
	global_load_b128 v[29:32], v[199:200], off offset:16
	global_load_b128 v[33:36], v[159:160], off
	global_load_b128 v[37:40], v[159:160], off offset:16
	v_and_b32_e32 v143, 0xe0, v0
	v_mbcnt_lo_u32_b32 v159, -1, 0
	s_waitcnt vmcnt(36) lgkmcnt(0)
	v_wmma_f32_16x16x16_bf16 v[191:198], v[9:16], v[151:158], v[191:198]
	s_clause 0x1
	global_load_b128 v[9:12], v[161:162], off
	global_load_b128 v[13:16], v[161:162], off offset:16
	s_waitcnt vmcnt(36)
	v_wmma_f32_16x16x16_bf16 v[129:136], v[167:174], v[151:158], v[129:136]
	v_add_nc_u32_e32 v160, s29, v143
	ds_load_b128 v[143:146], v215 offset:14336
	ds_load_b128 v[147:150], v215 offset:15360
	v_xor_b32_e32 v151, 16, v159
	s_waitcnt vmcnt(0) lgkmcnt(0)
	s_barrier
	v_or_b32_e32 v152, v160, v138
	buffer_gl0_inv
	v_cmp_gt_i32_e32 vcc_lo, 32, v151
	v_or_b32_e32 v153, 2, v152
	v_or_b32_e32 v154, 4, v152
	;; [unrolled: 1-line block ×5, first 2 shown]
	v_cmp_gt_i32_e64 s2, s28, v153
	v_cmp_gt_i32_e64 s3, s28, v154
	;; [unrolled: 1-line block ×3, first 2 shown]
	v_or_b32_e32 v158, 12, v152
	v_cmp_gt_i32_e64 s5, s28, v156
	v_cmp_gt_i32_e64 s6, s28, v157
	v_wmma_f32_16x16x16_bf16 v[191:198], v[175:182], v[143:150], v[191:198]
	v_wmma_f32_16x16x16_bf16 v[129:136], v[183:190], v[143:150], v[129:136]
	v_cndmask_b32_e32 v151, v159, v151, vcc_lo
	v_cmp_gt_i32_e32 vcc_lo, s28, v152
	v_or_b32_e32 v159, 14, v152
	v_dual_mul_f32 v149, s33, v192 :: v_dual_mul_f32 v150, s33, v191
	v_dual_mul_f32 v147, s33, v194 :: v_dual_mul_f32 v148, s33, v193
	;; [unrolled: 1-line block ×3, first 2 shown]
	s_delay_alu instid0(VALU_DEP_3) | instskip(NEXT) | instid1(VALU_DEP_4)
	v_cndmask_b32_e32 v150, 0xff7fffff, v150, vcc_lo
	v_cndmask_b32_e64 v149, 0xff7fffff, v149, s2
	v_mul_f32_e32 v146, s33, v195
	v_cndmask_b32_e64 v148, 0xff7fffff, v148, s3
	v_cndmask_b32_e64 v147, 0xff7fffff, v147, s4
	v_or_b32_e32 v160, 16, v152
	v_max3_f32 v149, v150, 0xff7fffff, v149
	v_or_b32_e32 v161, 18, v152
	v_dual_mul_f32 v143, s33, v198 :: v_dual_mul_f32 v144, s33, v197
	v_cndmask_b32_e64 v146, 0xff7fffff, v146, s5
	v_cndmask_b32_e64 v145, 0xff7fffff, v145, s6
	v_max3_f32 v147, v149, v148, v147
	v_cmp_gt_i32_e64 s7, s28, v158
	v_cmp_gt_i32_e64 s8, s28, v159
	v_or_b32_e32 v162, 20, v152
	v_or_b32_e32 v163, 22, v152
	v_mul_f32_e32 v175, s33, v129
	v_cndmask_b32_e64 v144, 0xff7fffff, v144, s7
	v_cndmask_b32_e64 v143, 0xff7fffff, v143, s8
	v_max3_f32 v145, v147, v146, v145
	v_cmp_gt_i32_e64 s9, s28, v160
	v_cmp_gt_i32_e64 s10, s28, v161
	v_or_b32_e32 v164, 24, v152
	v_or_b32_e32 v165, 26, v152
	v_dual_mul_f32 v172, s33, v132 :: v_dual_mul_f32 v173, s33, v131
	v_cndmask_b32_e64 v146, 0xff7fffff, v175, s9
	v_cndmask_b32_e64 v147, 0xff7fffff, v174, s10
	v_max3_f32 v143, v145, v144, v143
	v_cmp_gt_i32_e64 s11, s28, v162
	v_cmp_gt_i32_e64 s12, s28, v163
	v_or_b32_e32 v166, 28, v152
	v_or_b32_e32 v167, 30, v152
	v_dual_mul_f32 v170, s33, v134 :: v_dual_mul_f32 v171, s33, v133
	v_cndmask_b32_e64 v144, 0xff7fffff, v173, s11
	v_cndmask_b32_e64 v145, 0xff7fffff, v172, s12
	v_max3_f32 v143, v143, v146, v147
	v_cmp_gt_i32_e64 s13, s28, v164
	v_cmp_gt_i32_e64 s15, s28, v165
	v_dual_mul_f32 v168, s33, v136 :: v_dual_mul_f32 v169, s33, v135
	s_delay_alu instid0(VALU_DEP_4) | instskip(NEXT) | instid1(VALU_DEP_4)
	v_max3_f32 v143, v143, v144, v145
	v_cndmask_b32_e64 v146, 0xff7fffff, v171, s13
	s_delay_alu instid0(VALU_DEP_4) | instskip(SKIP_3) | instid1(VALU_DEP_4)
	v_cndmask_b32_e64 v147, 0xff7fffff, v170, s15
	v_cmp_gt_i32_e64 s16, s28, v166
	v_cmp_gt_i32_e64 s17, s28, v167
	v_lshlrev_b32_e32 v154, 2, v151
	v_max3_f32 v143, v143, v146, v147
	s_delay_alu instid0(VALU_DEP_4) | instskip(NEXT) | instid1(VALU_DEP_4)
	v_cndmask_b32_e64 v144, 0xff7fffff, v169, s16
	v_cndmask_b32_e64 v145, 0xff7fffff, v168, s17
	s_delay_alu instid0(VALU_DEP_1) | instskip(SKIP_3) | instid1(VALU_DEP_1)
	v_max3_f32 v143, v143, v144, v145
	ds_bpermute_b32 v144, v154, v143
	s_waitcnt lgkmcnt(0)
	v_max_f32_e32 v144, v144, v144
	v_max_f32_e32 v153, v143, v144
	s_delay_alu instid0(VALU_DEP_1) | instskip(SKIP_4) | instid1(VALU_DEP_4)
	v_fma_f32 v143, s33, v191, -v153
	v_fma_f32 v144, s33, v192, -v153
	;; [unrolled: 1-line block ×5, first 2 shown]
	v_dual_mul_f32 v143, 0x3fb8aa3b, v143 :: v_dual_mul_f32 v144, 0x3fb8aa3b, v144
	s_delay_alu instid0(VALU_DEP_4) | instskip(SKIP_2) | instid1(VALU_DEP_4)
	v_mul_f32_e32 v130, 0x3fb8aa3b, v130
	v_fma_f32 v132, s33, v132, -v153
	v_mul_f32_e32 v145, 0x3fb8aa3b, v145
	v_exp_f32_e32 v143, v143
	v_exp_f32_e32 v147, v144
	v_fma_f32 v148, s33, v195, -v153
	v_mul_f32_e32 v132, 0x3fb8aa3b, v132
	v_mul_f32_e32 v146, 0x3fb8aa3b, v146
	v_exp_f32_e32 v145, v145
	v_fma_f32 v151, s33, v197, -v153
	v_mul_f32_e32 v148, 0x3fb8aa3b, v148
	v_fma_f32 v134, s33, v134, -v153
	v_exp_f32_e32 v149, v146
	v_cndmask_b32_e32 v144, 0, v143, vcc_lo
	v_fma_f32 v143, s33, v196, -v153
	v_cndmask_b32_e64 v146, 0, v147, s2
	v_exp_f32_e32 v148, v148
	s_delay_alu instid0(VALU_DEP_3) | instskip(NEXT) | instid1(VALU_DEP_3)
	v_dual_mul_f32 v151, 0x3fb8aa3b, v151 :: v_dual_add_f32 v150, 0, v144
	v_dual_mul_f32 v143, 0x3fb8aa3b, v143 :: v_dual_mul_f32 v134, 0x3fb8aa3b, v134
	v_cndmask_b32_e64 v147, 0, v145, s3
	s_delay_alu instid0(TRANS32_DEP_2) | instskip(NEXT) | instid1(VALU_DEP_4)
	v_cndmask_b32_e64 v149, 0, v149, s4
	v_add_f32_e32 v145, v150, v146
	v_fma_f32 v150, s33, v198, -v153
	v_exp_f32_e32 v143, v143
	v_fma_f32 v129, s33, v129, -v153
	v_exp_f32_e32 v155, v151
	s_delay_alu instid0(VALU_DEP_2) | instskip(SKIP_1) | instid1(VALU_DEP_3)
	v_dual_add_f32 v145, v145, v147 :: v_dual_mul_f32 v152, 0x3fb8aa3b, v150
	v_cndmask_b32_e64 v150, 0, v148, s5
	v_mul_f32_e32 v129, 0x3fb8aa3b, v129
	v_fma_f32 v131, s33, v131, -v153
	s_delay_alu instid0(VALU_DEP_4) | instskip(SKIP_1) | instid1(TRANS32_DEP_3)
	v_add_f32_e32 v145, v145, v149
	v_exp_f32_e32 v152, v152
	v_cndmask_b32_e64 v151, 0, v143, s6
	v_exp_f32_e32 v129, v129
	s_delay_alu instid0(TRANS32_DEP_3)
	v_cndmask_b32_e64 v148, 0, v155, s7
	v_add_f32_e32 v143, v145, v150
	v_mul_f32_e32 v131, 0x3fb8aa3b, v131
	v_exp_f32_e32 v130, v130
	v_fma_f32 v133, s33, v133, -v153
	v_fma_f32 v136, s33, v136, -v153
	v_add_f32_e32 v143, v143, v151
	v_cndmask_b32_e64 v152, 0, v152, s8
	v_exp_f32_e32 v145, v131
	v_cndmask_b32_e64 v131, 0, v129, s9
	v_mul_f32_e32 v133, 0x3fb8aa3b, v133
	v_add_f32_e32 v143, v143, v148
	v_cmp_gt_u32_e64 s2, 16, v142
	s_delay_alu instid0(VALU_DEP_2)
	v_add_f32_e32 v129, v143, v152
	v_exp_f32_e32 v143, v132
	v_cndmask_b32_e64 v132, 0, v130, s10
	v_fma_f32 v130, s33, v135, -v153
	v_exp_f32_e32 v135, v133
	v_add_f32_e32 v129, v129, v131
	v_cndmask_b32_e64 v133, 0, v145, s11
	v_exp_f32_e32 v145, v134
	s_delay_alu instid0(VALU_DEP_2) | instskip(NEXT) | instid1(TRANS32_DEP_3)
	v_dual_mul_f32 v130, 0x3fb8aa3b, v130 :: v_dual_add_f32 v129, v129, v132
	v_cndmask_b32_e64 v134, 0, v143, s12
	v_mul_f32_e32 v143, 0x3fb8aa3b, v136
	s_delay_alu instid0(VALU_DEP_3) | instskip(NEXT) | instid1(TRANS32_DEP_3)
	v_exp_f32_e32 v130, v130
	v_cndmask_b32_e64 v135, 0, v135, s13
	v_add_f32_e32 v129, v129, v133
	s_delay_alu instid0(TRANS32_DEP_2) | instskip(SKIP_1) | instid1(VALU_DEP_2)
	v_cndmask_b32_e64 v136, 0, v145, s15
	v_exp_f32_e32 v145, v143
	v_add_f32_e32 v129, v129, v134
	s_waitcnt_depctr 0xfff
	v_cndmask_b32_e64 v143, 0, v130, s16
	v_add_f32_e32 v129, v129, v135
	v_cndmask_b32_e64 v145, 0, v145, s17
	s_delay_alu instid0(VALU_DEP_2) | instskip(NEXT) | instid1(VALU_DEP_1)
	v_add_f32_e32 v129, v129, v136
	v_add_f32_e32 v129, v129, v143
	s_delay_alu instid0(VALU_DEP_1)
	v_add_f32_e32 v129, v129, v145
	ds_bpermute_b32 v130, v154, v129
	s_and_saveexec_b32 s3, s2
	s_cbranch_execz .LBB592_12
; %bb.11:
	v_mul_u32_u24_e32 v142, 0x44, v141
	s_waitcnt lgkmcnt(0)
	v_add_f32_e32 v129, v129, v130
	s_delay_alu instid0(VALU_DEP_2) | instskip(NEXT) | instid1(VALU_DEP_1)
	v_lshl_add_u32 v142, v140, 2, v142
	v_add_nc_u32_e32 v130, 0x4000, v142
	ds_store_2addr_b32 v130, v153, v129 offset1:136
.LBB592_12:
	s_or_b32 exec_lo, exec_lo, s3
	v_lshlrev_b32_e32 v129, 2, v140
	s_waitcnt lgkmcnt(0)
	s_barrier
	buffer_gl0_inv
	v_cmp_eq_u32_e64 s3, 1, v141
	v_add_nc_u32_e32 v142, 0x4000, v129
	ds_load_2addr_b32 v[153:154], v142 offset1:17
	ds_load_2addr_b32 v[155:156], v142 offset0:34 offset1:51
	ds_load_2addr_b32 v[157:158], v142 offset0:68 offset1:85
	;; [unrolled: 1-line block ×4, first 2 shown]
	s_waitcnt lgkmcnt(4)
	v_max3_f32 v129, v153, 0xff7fffff, v154
	s_waitcnt lgkmcnt(3)
	s_delay_alu instid0(VALU_DEP_1) | instskip(SKIP_1) | instid1(VALU_DEP_1)
	v_max3_f32 v129, v129, v155, v156
	s_waitcnt lgkmcnt(2)
	v_max3_f32 v129, v129, v157, v158
	s_waitcnt lgkmcnt(1)
	s_delay_alu instid0(VALU_DEP_1) | instskip(NEXT) | instid1(VALU_DEP_1)
	v_max3_f32 v129, v129, v159, v160
	v_sub_f32_e32 v163, v154, v129
	v_sub_f32_e32 v130, v153, v129
	ds_load_2addr_b32 v[153:154], v142 offset0:170 offset1:187
	v_sub_f32_e32 v155, v155, v129
	v_dual_mul_f32 v163, 0x3fb8aa3b, v163 :: v_dual_mul_f32 v130, 0x3fb8aa3b, v130
	s_delay_alu instid0(VALU_DEP_2) | instskip(NEXT) | instid1(VALU_DEP_2)
	v_mul_f32_e32 v165, 0x3fb8aa3b, v155
	v_exp_f32_e32 v163, v163
	s_delay_alu instid0(VALU_DEP_2)
	v_exp_f32_e32 v164, v130
	v_sub_f32_e32 v130, v156, v129
	ds_load_2addr_b32 v[155:156], v142 offset0:204 offset1:221
	v_exp_f32_e32 v165, v165
	v_mul_f32_e32 v166, 0x3fb8aa3b, v130
	s_waitcnt lgkmcnt(2)
	v_fma_f32 v130, v164, v161, 0
	v_sub_f32_e32 v157, v157, v129
	s_delay_alu instid0(VALU_DEP_3) | instskip(NEXT) | instid1(VALU_DEP_2)
	v_exp_f32_e32 v166, v166
	v_dual_sub_f32 v161, v158, v129 :: v_dual_fmac_f32 v130, v163, v162
	s_waitcnt lgkmcnt(1)
	s_waitcnt_depctr 0xfff
	v_fmac_f32_e32 v130, v165, v153
	v_mul_f32_e32 v167, 0x3fb8aa3b, v157
	ds_load_2addr_b32 v[157:158], v142 offset0:238 offset1:255
	v_sub_f32_e32 v142, v159, v129
	v_dual_sub_f32 v153, v160, v129 :: v_dual_fmac_f32 v130, v166, v154
	v_mul_f32_e32 v159, 0x3fb8aa3b, v161
	v_exp_f32_e32 v161, v167
	s_delay_alu instid0(VALU_DEP_2)
	v_dual_mul_f32 v142, 0x3fb8aa3b, v142 :: v_dual_mul_f32 v153, 0x3fb8aa3b, v153
	s_waitcnt lgkmcnt(0)
	s_barrier
	buffer_gl0_inv
	v_exp_f32_e32 v142, v142
	v_exp_f32_e32 v153, v153
	v_fmac_f32_e32 v130, v161, v155
	v_exp_f32_e32 v159, v159
	s_waitcnt_depctr 0xfff
	v_fmac_f32_e32 v130, v159, v156
	s_delay_alu instid0(VALU_DEP_1) | instskip(NEXT) | instid1(VALU_DEP_1)
	v_fmac_f32_e32 v130, v142, v157
	v_fmac_f32_e32 v130, v153, v158
	s_delay_alu instid0(VALU_DEP_1) | instskip(NEXT) | instid1(VALU_DEP_1)
	v_add_f32_e32 v154, 0x358637bd, v130
	v_div_scale_f32 v155, null, v154, v154, 1.0
	v_div_scale_f32 v158, vcc_lo, 1.0, v154, 1.0
	s_delay_alu instid0(VALU_DEP_2) | instskip(SKIP_2) | instid1(VALU_DEP_1)
	v_rcp_f32_e32 v156, v155
	s_waitcnt_depctr 0xfff
	v_fma_f32 v157, -v155, v156, 1.0
	v_fmac_f32_e32 v156, v157, v156
	v_cndmask_b32_e64 v157, v164, v163, s3
	v_cmp_eq_u32_e64 s3, 2, v141
	s_delay_alu instid0(VALU_DEP_3) | instskip(NEXT) | instid1(VALU_DEP_2)
	v_mul_f32_e32 v160, v158, v156
	v_cndmask_b32_e64 v157, v157, v165, s3
	v_cmp_eq_u32_e64 s3, 3, v141
	s_delay_alu instid0(VALU_DEP_3) | instskip(NEXT) | instid1(VALU_DEP_2)
	v_fma_f32 v162, -v155, v160, v158
	v_cndmask_b32_e64 v157, v157, v166, s3
	v_cmp_eq_u32_e64 s3, 4, v141
	s_delay_alu instid0(VALU_DEP_3) | instskip(NEXT) | instid1(VALU_DEP_2)
	v_fmac_f32_e32 v160, v162, v156
	v_cndmask_b32_e64 v157, v157, v161, s3
	s_delay_alu instid0(VALU_DEP_2) | instskip(SKIP_1) | instid1(VALU_DEP_2)
	v_fma_f32 v155, -v155, v160, v158
	v_cmp_eq_u32_e64 s3, 5, v141
	v_div_fmas_f32 v155, v155, v156, v160
	s_delay_alu instid0(VALU_DEP_2) | instskip(SKIP_2) | instid1(VALU_DEP_3)
	v_cndmask_b32_e64 v157, v157, v159, s3
	v_cmp_eq_u32_e32 vcc_lo, 6, v141
	s_mov_b32 s3, exec_lo
	v_div_fixup_f32 v154, v155, v154, 1.0
	s_delay_alu instid0(VALU_DEP_3) | instskip(SKIP_1) | instid1(VALU_DEP_2)
	v_cndmask_b32_e32 v142, v157, v142, vcc_lo
	v_cmp_eq_u32_e32 vcc_lo, 7, v141
	v_cndmask_b32_e32 v142, v142, v153, vcc_lo
	s_delay_alu instid0(VALU_DEP_1) | instskip(NEXT) | instid1(VALU_DEP_1)
	v_mul_f32_e32 v142, v142, v154
	v_mul_f32_e32 v153, v142, v149
	;; [unrolled: 1-line block ×7, first 2 shown]
	v_dual_mul_f32 v150, v142, v147 :: v_dual_and_b32 v155, 0x7f800000, v154
	v_mul_f32_e32 v149, v142, v146
                                        ; implicit-def: $vgpr146
	s_delay_alu instid0(VALU_DEP_2)
	v_cmpx_ne_u32_e32 0x7f800000, v155
	s_xor_b32 s3, exec_lo, s3
; %bb.13:
	v_bfe_u32 v146, v154, 16, 1
	s_delay_alu instid0(VALU_DEP_1)
	v_add3_u32 v146, v154, v146, 0x7fff
                                        ; implicit-def: $vgpr154
; %bb.14:
	s_and_not1_saveexec_b32 s3, s3
; %bb.15:
	v_and_b32_e32 v146, 0xffff, v154
	v_or_b32_e32 v147, 0x10000, v154
	s_delay_alu instid0(VALU_DEP_2) | instskip(NEXT) | instid1(VALU_DEP_2)
	v_cmp_eq_u32_e32 vcc_lo, 0, v146
	v_cndmask_b32_e32 v146, v147, v154, vcc_lo
; %bb.16:
	s_or_b32 exec_lo, exec_lo, s3
	v_and_b32_e32 v147, 0x7f800000, v149
	s_delay_alu instid0(VALU_DEP_1) | instskip(SKIP_1) | instid1(SALU_CYCLE_1)
	v_cmp_ne_u32_e32 vcc_lo, 0x7f800000, v147
                                        ; implicit-def: $vgpr147
	s_and_saveexec_b32 s3, vcc_lo
	s_xor_b32 s3, exec_lo, s3
; %bb.17:
	v_bfe_u32 v147, v149, 16, 1
	s_delay_alu instid0(VALU_DEP_1)
	v_add3_u32 v147, v149, v147, 0x7fff
                                        ; implicit-def: $vgpr149
; %bb.18:
	s_and_not1_saveexec_b32 s3, s3
; %bb.19:
	v_and_b32_e32 v147, 0xffff, v149
	v_or_b32_e32 v154, 0x10000, v149
	s_delay_alu instid0(VALU_DEP_2) | instskip(NEXT) | instid1(VALU_DEP_2)
	v_cmp_eq_u32_e32 vcc_lo, 0, v147
	v_cndmask_b32_e32 v147, v154, v149, vcc_lo
; %bb.20:
	s_or_b32 exec_lo, exec_lo, s3
	v_and_b32_e32 v149, 0x7f800000, v150
	s_delay_alu instid0(VALU_DEP_1) | instskip(SKIP_1) | instid1(SALU_CYCLE_1)
	v_cmp_ne_u32_e32 vcc_lo, 0x7f800000, v149
                                        ; implicit-def: $vgpr149
	s_and_saveexec_b32 s3, vcc_lo
	s_xor_b32 s3, exec_lo, s3
; %bb.21:
	v_bfe_u32 v149, v150, 16, 1
	s_delay_alu instid0(VALU_DEP_1)
	v_add3_u32 v149, v150, v149, 0x7fff
                                        ; implicit-def: $vgpr150
; %bb.22:
	s_and_not1_saveexec_b32 s3, s3
; %bb.23:
	v_and_b32_e32 v149, 0xffff, v150
	v_or_b32_e32 v154, 0x10000, v150
	s_delay_alu instid0(VALU_DEP_2) | instskip(NEXT) | instid1(VALU_DEP_2)
	v_cmp_eq_u32_e32 vcc_lo, 0, v149
	v_cndmask_b32_e32 v149, v154, v150, vcc_lo
; %bb.24:
	s_or_b32 exec_lo, exec_lo, s3
	v_and_b32_e32 v150, 0x7f800000, v153
	s_delay_alu instid0(VALU_DEP_1) | instskip(SKIP_1) | instid1(SALU_CYCLE_1)
	v_cmp_ne_u32_e32 vcc_lo, 0x7f800000, v150
                                        ; implicit-def: $vgpr150
	s_and_saveexec_b32 s3, vcc_lo
	s_xor_b32 s3, exec_lo, s3
; %bb.25:
	v_bfe_u32 v150, v153, 16, 1
	s_delay_alu instid0(VALU_DEP_1)
	v_add3_u32 v150, v153, v150, 0x7fff
                                        ; implicit-def: $vgpr153
; %bb.26:
	s_and_not1_saveexec_b32 s3, s3
; %bb.27:
	v_and_b32_e32 v150, 0xffff, v153
	v_or_b32_e32 v154, 0x10000, v153
	s_delay_alu instid0(VALU_DEP_2) | instskip(NEXT) | instid1(VALU_DEP_2)
	v_cmp_eq_u32_e32 vcc_lo, 0, v150
	v_cndmask_b32_e32 v150, v154, v153, vcc_lo
; %bb.28:
	s_or_b32 exec_lo, exec_lo, s3
	v_and_b32_e32 v153, 0x7f800000, v152
	s_delay_alu instid0(VALU_DEP_1) | instskip(SKIP_1) | instid1(SALU_CYCLE_1)
	v_cmp_ne_u32_e32 vcc_lo, 0x7f800000, v153
                                        ; implicit-def: $vgpr153
	s_and_saveexec_b32 s3, vcc_lo
	s_xor_b32 s3, exec_lo, s3
; %bb.29:
	v_bfe_u32 v153, v152, 16, 1
	s_delay_alu instid0(VALU_DEP_1)
	v_add3_u32 v153, v152, v153, 0x7fff
                                        ; implicit-def: $vgpr152
; %bb.30:
	s_and_not1_saveexec_b32 s3, s3
; %bb.31:
	v_and_b32_e32 v153, 0xffff, v152
	v_or_b32_e32 v154, 0x10000, v152
	s_delay_alu instid0(VALU_DEP_2) | instskip(NEXT) | instid1(VALU_DEP_2)
	v_cmp_eq_u32_e32 vcc_lo, 0, v153
	v_cndmask_b32_e32 v153, v154, v152, vcc_lo
; %bb.32:
	s_or_b32 exec_lo, exec_lo, s3
	v_and_b32_e32 v152, 0x7f800000, v151
	s_delay_alu instid0(VALU_DEP_1) | instskip(SKIP_1) | instid1(SALU_CYCLE_1)
	v_cmp_ne_u32_e32 vcc_lo, 0x7f800000, v152
                                        ; implicit-def: $vgpr152
	s_and_saveexec_b32 s3, vcc_lo
	s_xor_b32 s3, exec_lo, s3
; %bb.33:
	v_bfe_u32 v152, v151, 16, 1
	s_delay_alu instid0(VALU_DEP_1)
	v_add3_u32 v152, v151, v152, 0x7fff
                                        ; implicit-def: $vgpr151
; %bb.34:
	s_and_not1_saveexec_b32 s3, s3
; %bb.35:
	v_and_b32_e32 v152, 0xffff, v151
	v_or_b32_e32 v154, 0x10000, v151
	s_delay_alu instid0(VALU_DEP_2) | instskip(NEXT) | instid1(VALU_DEP_2)
	v_cmp_eq_u32_e32 vcc_lo, 0, v152
	v_cndmask_b32_e32 v152, v154, v151, vcc_lo
; %bb.36:
	s_or_b32 exec_lo, exec_lo, s3
	v_and_b32_e32 v151, 0x7f800000, v148
	s_delay_alu instid0(VALU_DEP_1) | instskip(SKIP_1) | instid1(SALU_CYCLE_1)
	v_cmp_ne_u32_e32 vcc_lo, 0x7f800000, v151
                                        ; implicit-def: $vgpr151
	s_and_saveexec_b32 s3, vcc_lo
	s_xor_b32 s3, exec_lo, s3
; %bb.37:
	v_bfe_u32 v151, v148, 16, 1
	s_delay_alu instid0(VALU_DEP_1)
	v_add3_u32 v151, v148, v151, 0x7fff
                                        ; implicit-def: $vgpr148
; %bb.38:
	s_and_not1_saveexec_b32 s3, s3
; %bb.39:
	v_and_b32_e32 v151, 0xffff, v148
	v_or_b32_e32 v154, 0x10000, v148
	s_delay_alu instid0(VALU_DEP_2) | instskip(NEXT) | instid1(VALU_DEP_2)
	v_cmp_eq_u32_e32 vcc_lo, 0, v151
	v_cndmask_b32_e32 v151, v154, v148, vcc_lo
; %bb.40:
	s_or_b32 exec_lo, exec_lo, s3
	v_and_b32_e32 v148, 0x7f800000, v144
	s_delay_alu instid0(VALU_DEP_1) | instskip(SKIP_1) | instid1(SALU_CYCLE_1)
	v_cmp_ne_u32_e32 vcc_lo, 0x7f800000, v148
                                        ; implicit-def: $vgpr148
	s_and_saveexec_b32 s3, vcc_lo
	s_xor_b32 s3, exec_lo, s3
; %bb.41:
	v_bfe_u32 v148, v144, 16, 1
	s_delay_alu instid0(VALU_DEP_1)
	v_add3_u32 v148, v144, v148, 0x7fff
                                        ; implicit-def: $vgpr144
; %bb.42:
	s_and_not1_saveexec_b32 s3, s3
; %bb.43:
	v_and_b32_e32 v148, 0xffff, v144
	v_or_b32_e32 v154, 0x10000, v144
	s_delay_alu instid0(VALU_DEP_2) | instskip(NEXT) | instid1(VALU_DEP_2)
	v_cmp_eq_u32_e32 vcc_lo, 0, v148
	v_cndmask_b32_e32 v148, v154, v144, vcc_lo
; %bb.44:
	s_or_b32 exec_lo, exec_lo, s3
	s_load_b64 s[34:35], s[0:1], 0x94
	v_lshlrev_b32_e32 v155, 4, v138
	s_delay_alu instid0(VALU_DEP_2)
	v_perm_b32 v154, v148, v151, 0x7060302
	v_mul_f32_e32 v148, v142, v131
	v_dual_mul_f32 v145, v142, v145 :: v_dual_lshlrev_b32 v144, 6, v140
	v_dual_mul_f32 v143, v142, v143 :: v_dual_lshlrev_b32 v156, 11, v141
	v_perm_b32 v153, v152, v153, 0x7060302
	v_perm_b32 v152, v150, v149, 0x7060302
	;; [unrolled: 1-line block ×3, first 2 shown]
	s_delay_alu instid0(VALU_DEP_4)
	v_or3_b32 v131, v155, v156, v144
	v_mul_f32_e32 v136, v142, v136
	v_dual_mul_f32 v146, v142, v134 :: v_dual_and_b32 v149, 0x7f800000, v148
	v_mul_f32_e32 v135, v142, v135
	v_mul_f32_e32 v147, v142, v133
	v_mul_f32_e32 v134, v142, v132
	s_mov_b32 s3, exec_lo
	ds_store_b128 v131, v[151:154]
                                        ; implicit-def: $vgpr132
	v_cmpx_ne_u32_e32 0x7f800000, v149
	s_xor_b32 s3, exec_lo, s3
; %bb.45:
	v_bfe_u32 v132, v148, 16, 1
	s_delay_alu instid0(VALU_DEP_1)
	v_add3_u32 v132, v148, v132, 0x7fff
                                        ; implicit-def: $vgpr148
; %bb.46:
	s_and_not1_saveexec_b32 s3, s3
; %bb.47:
	v_and_b32_e32 v132, 0xffff, v148
	v_or_b32_e32 v133, 0x10000, v148
	s_delay_alu instid0(VALU_DEP_2) | instskip(NEXT) | instid1(VALU_DEP_2)
	v_cmp_eq_u32_e32 vcc_lo, 0, v132
	v_cndmask_b32_e32 v132, v133, v148, vcc_lo
; %bb.48:
	s_or_b32 exec_lo, exec_lo, s3
	v_and_b32_e32 v133, 0x7f800000, v134
	s_delay_alu instid0(VALU_DEP_1) | instskip(SKIP_1) | instid1(SALU_CYCLE_1)
	v_cmp_ne_u32_e32 vcc_lo, 0x7f800000, v133
                                        ; implicit-def: $vgpr133
	s_and_saveexec_b32 s3, vcc_lo
	s_xor_b32 s3, exec_lo, s3
; %bb.49:
	v_bfe_u32 v133, v134, 16, 1
	s_delay_alu instid0(VALU_DEP_1)
	v_add3_u32 v133, v134, v133, 0x7fff
                                        ; implicit-def: $vgpr134
; %bb.50:
	s_and_not1_saveexec_b32 s3, s3
; %bb.51:
	v_and_b32_e32 v133, 0xffff, v134
	v_or_b32_e32 v142, 0x10000, v134
	s_delay_alu instid0(VALU_DEP_2) | instskip(NEXT) | instid1(VALU_DEP_2)
	v_cmp_eq_u32_e32 vcc_lo, 0, v133
	v_cndmask_b32_e32 v133, v142, v134, vcc_lo
; %bb.52:
	s_or_b32 exec_lo, exec_lo, s3
	v_and_b32_e32 v134, 0x7f800000, v147
	s_delay_alu instid0(VALU_DEP_1) | instskip(SKIP_1) | instid1(SALU_CYCLE_1)
	v_cmp_ne_u32_e32 vcc_lo, 0x7f800000, v134
                                        ; implicit-def: $vgpr134
	s_and_saveexec_b32 s3, vcc_lo
	s_xor_b32 s3, exec_lo, s3
; %bb.53:
	v_bfe_u32 v134, v147, 16, 1
	s_delay_alu instid0(VALU_DEP_1)
	v_add3_u32 v134, v147, v134, 0x7fff
                                        ; implicit-def: $vgpr147
; %bb.54:
	s_and_not1_saveexec_b32 s3, s3
; %bb.55:
	v_and_b32_e32 v134, 0xffff, v147
	v_or_b32_e32 v142, 0x10000, v147
	s_delay_alu instid0(VALU_DEP_2) | instskip(NEXT) | instid1(VALU_DEP_2)
	v_cmp_eq_u32_e32 vcc_lo, 0, v134
	v_cndmask_b32_e32 v134, v142, v147, vcc_lo
; %bb.56:
	s_or_b32 exec_lo, exec_lo, s3
	v_and_b32_e32 v142, 0x7f800000, v146
	s_delay_alu instid0(VALU_DEP_1) | instskip(SKIP_1) | instid1(SALU_CYCLE_1)
	v_cmp_ne_u32_e32 vcc_lo, 0x7f800000, v142
                                        ; implicit-def: $vgpr142
	s_and_saveexec_b32 s3, vcc_lo
	s_xor_b32 s3, exec_lo, s3
; %bb.57:
	v_bfe_u32 v142, v146, 16, 1
	s_delay_alu instid0(VALU_DEP_1)
	v_add3_u32 v142, v146, v142, 0x7fff
                                        ; implicit-def: $vgpr146
; %bb.58:
	s_and_not1_saveexec_b32 s3, s3
; %bb.59:
	v_and_b32_e32 v142, 0xffff, v146
	v_or_b32_e32 v147, 0x10000, v146
	s_delay_alu instid0(VALU_DEP_2) | instskip(NEXT) | instid1(VALU_DEP_2)
	v_cmp_eq_u32_e32 vcc_lo, 0, v142
	v_cndmask_b32_e32 v142, v147, v146, vcc_lo
; %bb.60:
	s_or_b32 exec_lo, exec_lo, s3
	v_and_b32_e32 v146, 0x7f800000, v135
	s_delay_alu instid0(VALU_DEP_1) | instskip(SKIP_1) | instid1(SALU_CYCLE_1)
	v_cmp_ne_u32_e32 vcc_lo, 0x7f800000, v146
                                        ; implicit-def: $vgpr146
	s_and_saveexec_b32 s3, vcc_lo
	s_xor_b32 s3, exec_lo, s3
; %bb.61:
	v_bfe_u32 v146, v135, 16, 1
	s_delay_alu instid0(VALU_DEP_1)
	v_add3_u32 v146, v135, v146, 0x7fff
                                        ; implicit-def: $vgpr135
; %bb.62:
	s_and_not1_saveexec_b32 s3, s3
; %bb.63:
	v_and_b32_e32 v146, 0xffff, v135
	v_or_b32_e32 v147, 0x10000, v135
	s_delay_alu instid0(VALU_DEP_2) | instskip(NEXT) | instid1(VALU_DEP_2)
	v_cmp_eq_u32_e32 vcc_lo, 0, v146
	v_cndmask_b32_e32 v146, v147, v135, vcc_lo
; %bb.64:
	s_or_b32 exec_lo, exec_lo, s3
	v_and_b32_e32 v135, 0x7f800000, v136
	s_delay_alu instid0(VALU_DEP_1) | instskip(SKIP_1) | instid1(SALU_CYCLE_1)
	v_cmp_ne_u32_e32 vcc_lo, 0x7f800000, v135
                                        ; implicit-def: $vgpr135
	s_and_saveexec_b32 s3, vcc_lo
	s_xor_b32 s3, exec_lo, s3
; %bb.65:
	v_bfe_u32 v135, v136, 16, 1
	s_delay_alu instid0(VALU_DEP_1)
	v_add3_u32 v135, v136, v135, 0x7fff
                                        ; implicit-def: $vgpr136
; %bb.66:
	s_and_not1_saveexec_b32 s3, s3
; %bb.67:
	v_and_b32_e32 v135, 0xffff, v136
	v_or_b32_e32 v147, 0x10000, v136
	s_delay_alu instid0(VALU_DEP_2) | instskip(NEXT) | instid1(VALU_DEP_2)
	v_cmp_eq_u32_e32 vcc_lo, 0, v135
	v_cndmask_b32_e32 v135, v147, v136, vcc_lo
; %bb.68:
	s_or_b32 exec_lo, exec_lo, s3
	v_and_b32_e32 v136, 0x7f800000, v143
	s_delay_alu instid0(VALU_DEP_1) | instskip(SKIP_1) | instid1(SALU_CYCLE_1)
	v_cmp_ne_u32_e32 vcc_lo, 0x7f800000, v136
                                        ; implicit-def: $vgpr136
	s_and_saveexec_b32 s3, vcc_lo
	s_xor_b32 s3, exec_lo, s3
; %bb.69:
	v_bfe_u32 v136, v143, 16, 1
	s_delay_alu instid0(VALU_DEP_1)
	v_add3_u32 v136, v143, v136, 0x7fff
                                        ; implicit-def: $vgpr143
; %bb.70:
	s_and_not1_saveexec_b32 s3, s3
; %bb.71:
	v_and_b32_e32 v136, 0xffff, v143
	v_or_b32_e32 v147, 0x10000, v143
	s_delay_alu instid0(VALU_DEP_2) | instskip(NEXT) | instid1(VALU_DEP_2)
	v_cmp_eq_u32_e32 vcc_lo, 0, v136
	v_cndmask_b32_e32 v136, v147, v143, vcc_lo
; %bb.72:
	s_or_b32 exec_lo, exec_lo, s3
	v_and_b32_e32 v143, 0x7f800000, v145
	s_delay_alu instid0(VALU_DEP_1) | instskip(SKIP_1) | instid1(SALU_CYCLE_1)
	v_cmp_ne_u32_e32 vcc_lo, 0x7f800000, v143
                                        ; implicit-def: $vgpr143
	s_and_saveexec_b32 s3, vcc_lo
	s_xor_b32 s3, exec_lo, s3
; %bb.73:
	v_bfe_u32 v143, v145, 16, 1
	s_delay_alu instid0(VALU_DEP_1)
	v_add3_u32 v143, v145, v143, 0x7fff
                                        ; implicit-def: $vgpr145
; %bb.74:
	s_and_not1_saveexec_b32 s3, s3
; %bb.75:
	v_and_b32_e32 v143, 0xffff, v145
	v_or_b32_e32 v147, 0x10000, v145
	s_delay_alu instid0(VALU_DEP_2) | instskip(NEXT) | instid1(VALU_DEP_2)
	v_cmp_eq_u32_e32 vcc_lo, 0, v143
	v_cndmask_b32_e32 v143, v147, v145, vcc_lo
; %bb.76:
	s_or_b32 exec_lo, exec_lo, s3
	s_delay_alu instid0(VALU_DEP_1)
	v_perm_b32 v136, v143, v136, 0x7060302
	v_perm_b32 v135, v135, v146, 0x7060302
	;; [unrolled: 1-line block ×4, first 2 shown]
	v_lshl_or_b32 v145, v141, 11, v144
	v_lshlrev_b32_e32 v142, 2, v138
	ds_store_b128 v131, v[133:136] offset:1024
	s_waitcnt lgkmcnt(0)
	s_barrier
	buffer_gl0_inv
	ds_load_b128 v[132:135], v145
	ds_load_b128 v[147:150], v145 offset:16
	v_or_b32_e32 v143, 1, v142
	v_cmp_eq_u32_e64 s12, 1, v142
	v_cmp_eq_u32_e64 s11, 2, v142
	;; [unrolled: 1-line block ×3, first 2 shown]
	v_or_b32_e32 v141, 2, v142
	v_cmp_eq_u32_e64 s7, 1, v143
	v_cmp_eq_u32_e64 s6, 2, v143
	;; [unrolled: 1-line block ×8, first 2 shown]
	v_cmp_eq_u32_e32 vcc_lo, 5, v143
	v_cmp_eq_u32_e64 s10, 2, v141
	v_cmp_eq_u32_e64 s4, 6, v143
	;; [unrolled: 1-line block ×4, first 2 shown]
	s_waitcnt lgkmcnt(1)
	v_lshrrev_b32_e32 v136, 16, v132
	s_waitcnt lgkmcnt(0)
	v_lshrrev_b32_e32 v155, 16, v147
	v_lshrrev_b32_e32 v161, 16, v148
	;; [unrolled: 1-line block ×4, first 2 shown]
	v_cndmask_b32_e64 v146, v132, v136, s12
	v_cndmask_b32_e64 v151, v147, v155, s12
	v_cndmask_b32_e64 v152, v132, v136, s7
	v_cndmask_b32_e64 v153, v147, v155, s7
	v_lshrrev_b32_e32 v160, 16, v134
	v_cndmask_b32_e64 v146, v146, v133, s11
	v_cndmask_b32_e64 v151, v151, v148, s11
	v_cndmask_b32_e64 v152, v152, v133, s6
	v_cndmask_b32_e64 v153, v153, v148, s6
	v_cndmask_b32_e64 v154, v132, v136, s8
	v_cndmask_b32_e64 v146, v146, v159, s16
	v_cndmask_b32_e64 v151, v151, v161, s16
	v_cndmask_b32_e64 v152, v152, v159, s5
	v_lshrrev_b32_e32 v164, 16, v150
	v_cndmask_b32_e64 v153, v153, v161, s5
	v_cndmask_b32_e64 v146, v146, v134, s17
	;; [unrolled: 1-line block ×5, first 2 shown]
	v_lshrrev_b32_e32 v162, 16, v135
	v_cndmask_b32_e64 v146, v146, v160, s13
	v_cndmask_b32_e64 v151, v151, v163, s13
	v_cndmask_b32_e32 v152, v152, v160, vcc_lo
	v_cndmask_b32_e64 v153, v153, v149, s3
	v_cmp_eq_u32_e64 s19, 7, v143
	v_cndmask_b32_e64 v146, v146, v135, s15
	v_cndmask_b32_e64 v151, v151, v150, s15
	;; [unrolled: 1-line block ×4, first 2 shown]
	v_cmp_eq_u32_e64 s20, 4, v141
	v_cndmask_b32_e64 v165, v146, v162, s9
	v_cndmask_b32_e64 v166, v151, v164, s9
	v_cndmask_b32_e64 v151, v147, v155, s8
	v_or_b32_e32 v146, 3, v142
	v_cndmask_b32_e64 v167, v152, v162, s19
	v_cndmask_b32_e32 v156, v153, v163, vcc_lo
	v_cndmask_b32_e64 v158, v154, v134, s20
	v_cndmask_b32_e64 v157, v151, v148, s10
	ds_load_b128 v[151:154], v145 offset:1024
	v_cmp_eq_u32_e64 s21, 1, v146
	v_cmp_eq_u32_e64 s22, 5, v141
	;; [unrolled: 1-line block ×3, first 2 shown]
	v_cndmask_b32_e64 v157, v157, v161, s18
	v_cmp_eq_u32_e64 s24, 3, v146
	v_cndmask_b32_e64 v132, v132, v136, s21
	v_cndmask_b32_e64 v136, v156, v150, s4
	;; [unrolled: 1-line block ×5, first 2 shown]
	ds_load_b128 v[155:158], v145 offset:1040
	v_cndmask_b32_e64 v132, v132, v133, s23
	v_cmp_eq_u32_e64 s26, 4, v146
	v_cmp_eq_u32_e64 s28, 5, v146
	v_cndmask_b32_e64 v147, v147, v148, s23
	v_cmp_eq_u32_e64 s25, 6, v141
	v_cndmask_b32_e64 v132, v132, v159, s24
	;; [unrolled: 2-line block ×3, first 2 shown]
	v_cndmask_b32_e64 v147, v147, v161, s24
	s_waitcnt lgkmcnt(1)
	v_lshrrev_b32_e32 v159, 16, v151
	v_cndmask_b32_e64 v132, v132, v134, s26
	v_cndmask_b32_e64 v148, v168, v135, s25
	v_cndmask_b32_e64 v133, v133, v150, s25
	v_cndmask_b32_e64 v134, v147, v149, s26
	v_cndmask_b32_e64 v147, v151, v159, s12
	v_cndmask_b32_e64 v132, v132, v160, s28
	v_lshrrev_b32_e32 v160, 16, v152
	v_cndmask_b32_e64 v161, v151, v159, s7
	v_cndmask_b32_e64 v134, v134, v163, s28
	s_waitcnt lgkmcnt(0)
	v_lshrrev_b32_e32 v149, 16, v155
	v_cndmask_b32_e64 v147, v147, v152, s11
	v_cndmask_b32_e64 v132, v132, v135, s29
	v_cmp_eq_u32_e64 s27, 7, v141
	v_cndmask_b32_e64 v134, v134, v150, s29
	v_cndmask_b32_e64 v163, v155, v149, s12
	;; [unrolled: 1-line block ×4, first 2 shown]
	v_lshrrev_b32_e32 v161, 16, v156
	v_cndmask_b32_e64 v136, v136, v164, s19
	v_cndmask_b32_e64 v150, v163, v156, s11
	v_cmp_eq_u32_e64 s11, 7, v146
	v_cndmask_b32_e64 v147, v147, v160, s5
	v_cndmask_b32_e64 v135, v135, v153, s17
	v_lshrrev_b32_e32 v163, 16, v153
	v_cndmask_b32_e64 v150, v150, v161, s16
	v_cndmask_b32_e64 v132, v132, v162, s11
	;; [unrolled: 1-line block ×8, first 2 shown]
	v_lshrrev_b32_e32 v164, 16, v157
	v_perm_b32 v135, v134, v132, 0x5040100
	v_cndmask_b32_e32 v132, v147, v163, vcc_lo
	v_cndmask_b32_e64 v147, v162, v154, s15
	v_lshrrev_b32_e32 v162, 16, v154
	v_cndmask_b32_e64 v150, v150, v164, s13
	v_perm_b32 v134, v133, v148, 0x5040100
	v_cndmask_b32_e64 v132, v132, v154, s4
	v_perm_b32 v133, v136, v167, 0x5040100
	v_cndmask_b32_e64 v136, v147, v162, s9
	v_cndmask_b32_e64 v147, v150, v158, s15
	;; [unrolled: 1-line block ×27, first 2 shown]
	v_cndmask_b32_e32 v149, v149, v164, vcc_lo
	v_lshrrev_b32_e32 v148, 16, v158
	v_cndmask_b32_e64 v132, v132, v154, s25
	v_cndmask_b32_e64 v150, v150, v154, s29
	;; [unrolled: 1-line block ×11, first 2 shown]
	v_perm_b32 v132, v166, v165, 0x5040100
	v_perm_b32 v150, v151, v150, 0x5040100
	;; [unrolled: 1-line block ×5, first 2 shown]
	s_mul_i32 s8, s35, 15
	s_mov_b32 s3, exec_lo
	ds_store_b128 v131, v[132:135]
	ds_store_b128 v131, v[147:150] offset:1024
	v_cmpx_gt_u32_e32 15, v0
	s_cbranch_execz .LBB592_78
; %bb.77:
	s_mul_i32 s4, s8, s30
	s_delay_alu instid0(SALU_CYCLE_1) | instskip(SKIP_1) | instid1(VALU_DEP_1)
	v_add3_u32 v133, s4, s31, v140
	s_load_b128 s[4:7], s[0:1], 0x58
	v_mad_u64_u32 v[131:132], null, v133, s34, s[14:15]
	s_delay_alu instid0(VALU_DEP_1) | instskip(NEXT) | instid1(VALU_DEP_1)
	v_ashrrev_i32_e32 v132, 31, v131
	v_lshlrev_b64 v[131:132], 2, v[131:132]
	s_waitcnt lgkmcnt(0)
	s_delay_alu instid0(VALU_DEP_1) | instskip(NEXT) | instid1(VALU_DEP_2)
	v_add_co_u32 v133, vcc_lo, s6, v131
	v_add_co_ci_u32_e32 v134, vcc_lo, s7, v132, vcc_lo
	v_add_co_u32 v131, vcc_lo, s4, v131
	v_add_co_ci_u32_e32 v132, vcc_lo, s5, v132, vcc_lo
	global_store_b32 v[133:134], v129, off
	global_store_b32 v[131:132], v130, off
.LBB592_78:
	s_or_b32 exec_lo, exec_lo, s3
	s_waitcnt lgkmcnt(0)
	s_waitcnt_vscnt null, 0x0
	s_barrier
	buffer_gl0_inv
	ds_load_b128 v[147:150], v144
	ds_load_b128 v[151:154], v144 offset:16
	ds_load_b128 v[159:162], v144 offset:1040
	;; [unrolled: 1-line block ×3, first 2 shown]
	v_mov_b32_e32 v129, 0
	ds_load_b128 v[167:170], v144 offset:2064
	ds_load_b128 v[163:166], v144 offset:2048
	;; [unrolled: 1-line block ×6, first 2 shown]
	v_mov_b32_e32 v130, v129
	v_mov_b32_e32 v131, v129
	v_mov_b32_e32 v132, v129
	v_mov_b32_e32 v133, v129
	v_mov_b32_e32 v134, v129
	v_mov_b32_e32 v135, v129
	v_mov_b32_e32 v136, v129
	s_waitcnt lgkmcnt(8)
	s_delay_alu instid0(VALU_DEP_1)
	v_wmma_f32_16x16x16_bf16 v[129:136], v[121:128], v[147:154], v[129:136]
	ds_load_b128 v[125:128], v144 offset:5136
	ds_load_b128 v[121:124], v144 offset:5120
	s_waitcnt lgkmcnt(8)
	v_wmma_f32_16x16x16_bf16 v[129:136], v[113:120], v[155:162], v[129:136]
	ds_load_b128 v[117:120], v144 offset:6160
	ds_load_b128 v[113:116], v144 offset:6144
	s_waitcnt lgkmcnt(8)
	;; [unrolled: 4-line block ×8, first 2 shown]
	v_wmma_f32_16x16x16_bf16 v[129:136], v[65:72], v[97:104], v[129:136]
	s_waitcnt lgkmcnt(6)
	s_delay_alu instid0(VALU_DEP_1)
	v_wmma_f32_16x16x16_bf16 v[129:136], v[49:56], v[89:96], v[129:136]
	ds_load_b128 v[53:56], v144 offset:13328
	ds_load_b128 v[49:52], v144 offset:13312
	s_waitcnt lgkmcnt(6)
	v_wmma_f32_16x16x16_bf16 v[129:136], v[41:48], v[81:88], v[129:136]
	ds_load_b128 v[45:48], v144 offset:14352
	ds_load_b128 v[41:44], v144 offset:14336
	s_waitcnt lgkmcnt(6)
	;; [unrolled: 4-line block ×3, first 2 shown]
	v_wmma_f32_16x16x16_bf16 v[129:136], v[1:8], v[57:64], v[129:136]
	s_waitcnt lgkmcnt(4)
	s_delay_alu instid0(VALU_DEP_1) | instskip(SKIP_1) | instid1(VALU_DEP_1)
	v_wmma_f32_16x16x16_bf16 v[129:136], v[25:32], v[49:56], v[129:136]
	s_waitcnt lgkmcnt(2)
	v_wmma_f32_16x16x16_bf16 v[129:136], v[33:40], v[41:48], v[129:136]
	s_waitcnt lgkmcnt(0)
	s_delay_alu instid0(VALU_DEP_1) | instskip(NEXT) | instid1(VALU_DEP_1)
	v_wmma_f32_16x16x16_bf16 v[129:136], v[9:16], v[17:24], v[129:136]
	v_and_b32_e32 v1, 0x7f800000, v129
	s_delay_alu instid0(VALU_DEP_1) | instskip(SKIP_1) | instid1(SALU_CYCLE_1)
	v_cmp_ne_u32_e32 vcc_lo, 0x7f800000, v1
                                        ; implicit-def: $vgpr1
	s_and_saveexec_b32 s3, vcc_lo
	s_xor_b32 s3, exec_lo, s3
; %bb.79:
	v_bfe_u32 v1, v129, 16, 1
	s_delay_alu instid0(VALU_DEP_1)
	v_add3_u32 v1, v129, v1, 0x7fff
; %bb.80:
	s_and_not1_saveexec_b32 s3, s3
; %bb.81:
	v_and_b32_e32 v1, 0xffff, v129
	v_or_b32_e32 v2, 0x10000, v129
	s_delay_alu instid0(VALU_DEP_2) | instskip(NEXT) | instid1(VALU_DEP_2)
	v_cmp_eq_u32_e32 vcc_lo, 0, v1
	v_cndmask_b32_e32 v1, v2, v129, vcc_lo
; %bb.82:
	s_or_b32 exec_lo, exec_lo, s3
	v_and_b32_e32 v2, 0x7f800000, v130
	s_delay_alu instid0(VALU_DEP_1) | instskip(SKIP_1) | instid1(SALU_CYCLE_1)
	v_cmp_ne_u32_e32 vcc_lo, 0x7f800000, v2
                                        ; implicit-def: $vgpr2
	s_and_saveexec_b32 s3, vcc_lo
	s_xor_b32 s3, exec_lo, s3
; %bb.83:
	v_bfe_u32 v2, v130, 16, 1
	s_delay_alu instid0(VALU_DEP_1)
	v_add3_u32 v2, v130, v2, 0x7fff
; %bb.84:
	s_and_not1_saveexec_b32 s3, s3
; %bb.85:
	v_and_b32_e32 v2, 0xffff, v130
	v_or_b32_e32 v3, 0x10000, v130
	s_delay_alu instid0(VALU_DEP_2) | instskip(NEXT) | instid1(VALU_DEP_2)
	v_cmp_eq_u32_e32 vcc_lo, 0, v2
	v_cndmask_b32_e32 v2, v3, v130, vcc_lo
; %bb.86:
	s_or_b32 exec_lo, exec_lo, s3
	v_and_b32_e32 v3, 0x7f800000, v131
	s_delay_alu instid0(VALU_DEP_1) | instskip(SKIP_1) | instid1(SALU_CYCLE_1)
	v_cmp_ne_u32_e32 vcc_lo, 0x7f800000, v3
                                        ; implicit-def: $vgpr3
	s_and_saveexec_b32 s3, vcc_lo
	s_xor_b32 s3, exec_lo, s3
; %bb.87:
	v_bfe_u32 v3, v131, 16, 1
	s_delay_alu instid0(VALU_DEP_1)
	v_add3_u32 v3, v131, v3, 0x7fff
; %bb.88:
	s_and_not1_saveexec_b32 s3, s3
; %bb.89:
	v_and_b32_e32 v3, 0xffff, v131
	v_or_b32_e32 v4, 0x10000, v131
	s_delay_alu instid0(VALU_DEP_2) | instskip(NEXT) | instid1(VALU_DEP_2)
	v_cmp_eq_u32_e32 vcc_lo, 0, v3
	v_cndmask_b32_e32 v3, v4, v131, vcc_lo
; %bb.90:
	s_or_b32 exec_lo, exec_lo, s3
	v_and_b32_e32 v4, 0x7f800000, v132
	s_delay_alu instid0(VALU_DEP_1) | instskip(SKIP_1) | instid1(SALU_CYCLE_1)
	v_cmp_ne_u32_e32 vcc_lo, 0x7f800000, v4
                                        ; implicit-def: $vgpr4
	s_and_saveexec_b32 s3, vcc_lo
	s_xor_b32 s3, exec_lo, s3
; %bb.91:
	v_bfe_u32 v4, v132, 16, 1
	s_delay_alu instid0(VALU_DEP_1)
	v_add3_u32 v4, v132, v4, 0x7fff
; %bb.92:
	s_and_not1_saveexec_b32 s3, s3
; %bb.93:
	v_and_b32_e32 v4, 0xffff, v132
	v_or_b32_e32 v5, 0x10000, v132
	s_delay_alu instid0(VALU_DEP_2) | instskip(NEXT) | instid1(VALU_DEP_2)
	v_cmp_eq_u32_e32 vcc_lo, 0, v4
	v_cndmask_b32_e32 v4, v5, v132, vcc_lo
; %bb.94:
	s_or_b32 exec_lo, exec_lo, s3
	v_and_b32_e32 v5, 0x7f800000, v133
	s_delay_alu instid0(VALU_DEP_1) | instskip(SKIP_1) | instid1(SALU_CYCLE_1)
	v_cmp_ne_u32_e32 vcc_lo, 0x7f800000, v5
                                        ; implicit-def: $vgpr5
	s_and_saveexec_b32 s3, vcc_lo
	s_xor_b32 s3, exec_lo, s3
; %bb.95:
	v_bfe_u32 v5, v133, 16, 1
	s_delay_alu instid0(VALU_DEP_1)
	v_add3_u32 v5, v133, v5, 0x7fff
; %bb.96:
	s_and_not1_saveexec_b32 s3, s3
; %bb.97:
	v_and_b32_e32 v5, 0xffff, v133
	v_or_b32_e32 v6, 0x10000, v133
	s_delay_alu instid0(VALU_DEP_2) | instskip(NEXT) | instid1(VALU_DEP_2)
	v_cmp_eq_u32_e32 vcc_lo, 0, v5
	v_cndmask_b32_e32 v5, v6, v133, vcc_lo
; %bb.98:
	s_or_b32 exec_lo, exec_lo, s3
	v_and_b32_e32 v6, 0x7f800000, v134
	s_delay_alu instid0(VALU_DEP_1) | instskip(SKIP_1) | instid1(SALU_CYCLE_1)
	v_cmp_ne_u32_e32 vcc_lo, 0x7f800000, v6
                                        ; implicit-def: $vgpr6
	s_and_saveexec_b32 s3, vcc_lo
	s_xor_b32 s3, exec_lo, s3
; %bb.99:
	v_bfe_u32 v6, v134, 16, 1
	s_delay_alu instid0(VALU_DEP_1)
	v_add3_u32 v6, v134, v6, 0x7fff
; %bb.100:
	s_and_not1_saveexec_b32 s3, s3
; %bb.101:
	v_and_b32_e32 v6, 0xffff, v134
	v_or_b32_e32 v7, 0x10000, v134
	s_delay_alu instid0(VALU_DEP_2) | instskip(NEXT) | instid1(VALU_DEP_2)
	v_cmp_eq_u32_e32 vcc_lo, 0, v6
	v_cndmask_b32_e32 v6, v7, v134, vcc_lo
; %bb.102:
	s_or_b32 exec_lo, exec_lo, s3
	v_and_b32_e32 v7, 0x7f800000, v135
	s_delay_alu instid0(VALU_DEP_1) | instskip(SKIP_1) | instid1(SALU_CYCLE_1)
	v_cmp_ne_u32_e32 vcc_lo, 0x7f800000, v7
                                        ; implicit-def: $vgpr7
	s_and_saveexec_b32 s3, vcc_lo
	s_xor_b32 s3, exec_lo, s3
; %bb.103:
	v_bfe_u32 v7, v135, 16, 1
	s_delay_alu instid0(VALU_DEP_1)
	v_add3_u32 v7, v135, v7, 0x7fff
; %bb.104:
	s_and_not1_saveexec_b32 s3, s3
; %bb.105:
	v_and_b32_e32 v7, 0xffff, v135
	v_or_b32_e32 v8, 0x10000, v135
	s_delay_alu instid0(VALU_DEP_2) | instskip(NEXT) | instid1(VALU_DEP_2)
	v_cmp_eq_u32_e32 vcc_lo, 0, v7
	v_cndmask_b32_e32 v7, v8, v135, vcc_lo
; %bb.106:
	s_or_b32 exec_lo, exec_lo, s3
	v_and_b32_e32 v8, 0x7f800000, v136
	s_delay_alu instid0(VALU_DEP_1) | instskip(SKIP_1) | instid1(SALU_CYCLE_1)
	v_cmp_ne_u32_e32 vcc_lo, 0x7f800000, v8
                                        ; implicit-def: $vgpr8
	s_and_saveexec_b32 s3, vcc_lo
	s_xor_b32 s3, exec_lo, s3
; %bb.107:
	v_bfe_u32 v8, v136, 16, 1
	s_delay_alu instid0(VALU_DEP_1)
	v_add3_u32 v8, v136, v8, 0x7fff
                                        ; implicit-def: $vgpr129_vgpr130_vgpr131_vgpr132_vgpr133_vgpr134_vgpr135_vgpr136
; %bb.108:
	s_and_not1_saveexec_b32 s3, s3
; %bb.109:
	v_and_b32_e32 v8, 0xffff, v136
	v_or_b32_e32 v9, 0x10000, v136
	s_delay_alu instid0(VALU_DEP_2) | instskip(NEXT) | instid1(VALU_DEP_2)
	v_cmp_eq_u32_e32 vcc_lo, 0, v8
	v_cndmask_b32_e32 v8, v9, v136, vcc_lo
; %bb.110:
	s_or_b32 exec_lo, exec_lo, s3
	s_delay_alu instid0(VALU_DEP_1)
	v_perm_b32 v7, v8, v7, 0x7060302
	v_perm_b32 v6, v6, v5, 0x7060302
	;; [unrolled: 1-line block ×4, first 2 shown]
	v_lshl_or_b32 v9, v138, 4, v145
	s_barrier
	buffer_gl0_inv
	v_cmp_eq_u32_e32 vcc_lo, 1, v142
	ds_store_b128 v9, v[4:7]
	s_waitcnt lgkmcnt(0)
	s_barrier
	buffer_gl0_inv
	ds_load_b128 v[1:4], v145
	ds_load_b128 v[5:8], v145 offset:16
	v_cmp_eq_u32_e64 s4, 2, v142
	v_cmp_eq_u32_e64 s3, 1, v143
	;; [unrolled: 1-line block ×5, first 2 shown]
	s_waitcnt lgkmcnt(1)
	v_lshrrev_b32_e32 v10, 16, v1
	s_waitcnt lgkmcnt(0)
	v_lshrrev_b32_e32 v14, 16, v5
	v_lshrrev_b32_e32 v15, 16, v6
	;; [unrolled: 1-line block ×4, first 2 shown]
	v_cndmask_b32_e64 v20, v1, v10, s3
	v_cndmask_b32_e32 v19, v5, v14, vcc_lo
	v_cndmask_b32_e64 v21, v5, v14, s3
	v_lshrrev_b32_e32 v16, 16, v7
	v_cmp_eq_u32_e64 s3, 1, v141
	v_lshrrev_b32_e32 v13, 16, v4
	v_cndmask_b32_e64 v19, v19, v6, s4
	v_lshrrev_b32_e32 v17, 16, v8
	s_delay_alu instid0(VALU_DEP_4) | instskip(SKIP_1) | instid1(VALU_DEP_4)
	v_cndmask_b32_e64 v22, v1, v10, s3
	v_cndmask_b32_e64 v23, v5, v14, s3
	;; [unrolled: 1-line block ×3, first 2 shown]
	v_cndmask_b32_e32 v18, v1, v10, vcc_lo
	v_cmp_eq_u32_e32 vcc_lo, 2, v143
	v_cmp_eq_u32_e64 s3, 2, v146
	v_cndmask_b32_e64 v22, v22, v2, s7
	v_cndmask_b32_e32 v20, v20, v2, vcc_lo
	v_cndmask_b32_e32 v21, v21, v6, vcc_lo
	v_cmp_eq_u32_e32 vcc_lo, 4, v142
	v_cndmask_b32_e32 v19, v19, v7, vcc_lo
	v_cndmask_b32_e64 v18, v18, v2, s4
	v_cmp_eq_u32_e64 s4, 3, v143
	s_delay_alu instid0(VALU_DEP_2) | instskip(NEXT) | instid1(VALU_DEP_2)
	v_cndmask_b32_e64 v18, v18, v11, s5
	v_cndmask_b32_e64 v21, v21, v15, s4
	v_cmp_eq_u32_e64 s5, 5, v142
	s_delay_alu instid0(VALU_DEP_3) | instskip(SKIP_1) | instid1(VALU_DEP_3)
	v_cndmask_b32_e32 v18, v18, v3, vcc_lo
	v_cmp_eq_u32_e32 vcc_lo, 4, v143
	v_cndmask_b32_e64 v19, v19, v16, s5
	s_delay_alu instid0(VALU_DEP_3) | instskip(SKIP_4) | instid1(VALU_DEP_3)
	v_cndmask_b32_e64 v18, v18, v12, s5
	v_cndmask_b32_e32 v21, v21, v7, vcc_lo
	v_cndmask_b32_e64 v20, v20, v11, s4
	v_cmp_eq_u32_e64 s4, 5, v143
	v_cmp_eq_u32_e64 s5, 6, v142
	v_cndmask_b32_e32 v20, v20, v3, vcc_lo
	s_delay_alu instid0(VALU_DEP_3) | instskip(SKIP_1) | instid1(VALU_DEP_4)
	v_cndmask_b32_e64 v21, v21, v16, s4
	v_cmp_eq_u32_e32 vcc_lo, 6, v143
	v_cndmask_b32_e64 v18, v18, v4, s5
	v_cndmask_b32_e64 v19, v19, v8, s5
	;; [unrolled: 1-line block ×3, first 2 shown]
	v_cmp_eq_u32_e64 s4, 1, v146
	v_cmp_eq_u32_e64 s5, 7, v142
	s_delay_alu instid0(VALU_DEP_3) | instskip(NEXT) | instid1(VALU_DEP_3)
	v_cndmask_b32_e32 v20, v20, v4, vcc_lo
	v_cndmask_b32_e64 v1, v1, v10, s4
	v_cndmask_b32_e64 v5, v5, v14, s4
	v_cmp_eq_u32_e64 s4, 3, v141
	v_cndmask_b32_e64 v14, v23, v6, s7
	v_cmp_eq_u32_e64 s7, 3, v146
	v_cndmask_b32_e64 v1, v1, v2, s3
	v_cndmask_b32_e64 v2, v5, v6, s3
	v_cndmask_b32_e64 v10, v22, v11, s4
	v_cmp_eq_u32_e64 s3, 4, v141
	v_cndmask_b32_e64 v6, v14, v15, s4
	v_cndmask_b32_e64 v1, v1, v11, s7
	v_cmp_eq_u32_e64 s4, 4, v146
	v_cndmask_b32_e64 v2, v2, v15, s7
	v_cndmask_b32_e64 v5, v10, v3, s3
	;; [unrolled: 3-line block ×3, first 2 shown]
	v_cndmask_b32_e64 v2, v2, v7, s4
	v_cmp_eq_u32_e64 s3, 5, v146
	v_cndmask_b32_e64 v5, v5, v12, s7
	v_cmp_eq_u32_e64 s4, 6, v141
	;; [unrolled: 2-line block ×3, first 2 shown]
	v_cndmask_b32_e64 v1, v1, v12, s3
	v_cndmask_b32_e64 v2, v2, v16, s3
	;; [unrolled: 1-line block ×4, first 2 shown]
	v_cmp_eq_u32_e64 s3, 7, v146
	v_cndmask_b32_e64 v1, v1, v4, s7
	v_cndmask_b32_e64 v2, v2, v8, s7
	v_cmp_eq_u32_e64 s4, 7, v141
	v_cndmask_b32_e32 v4, v21, v8, vcc_lo
	v_cndmask_b32_e64 v18, v18, v13, s5
	v_cndmask_b32_e64 v20, v20, v13, s6
	;; [unrolled: 1-line block ×8, first 2 shown]
	s_mov_b32 s3, exec_lo
	v_perm_b32 v4, v2, v1, 0x5040100
	v_perm_b32 v3, v3, v5, 0x5040100
	;; [unrolled: 1-line block ×4, first 2 shown]
	ds_store_b128 v9, v[1:4]
	s_waitcnt lgkmcnt(0)
	s_barrier
	buffer_gl0_inv
	v_cmpx_gt_u32_e32 32, v0
	s_cbranch_execz .LBB592_2
; %bb.111:
	s_load_b64 s[4:5], s[0:1], 0x68
	v_add_nc_u32_e32 v20, s31, v138
	v_lshlrev_b32_e32 v0, 10, v0
	v_lshlrev_b32_e32 v1, 4, v139
	s_lshl_b32 s0, s34, 7
	s_delay_alu instid0(SALU_CYCLE_1)
	s_mul_i32 s1, s0, s30
	v_add_nc_u32_e32 v2, 2, v20
	s_mul_i32 s6, s1, s8
	v_and_or_b32 v0, 0x3800, v0, v1
	v_mul_lo_u32 v1, v20, s0
	s_ashr_i32 s7, s6, 31
	v_mul_lo_u32 v11, v2, s0
	s_lshl_b64 s[6:7], s[6:7], 1
	v_add_nc_u32_e32 v3, 4, v20
	v_lshl_or_b32 v21, v138, 6, v0
	v_add_nc_u32_e32 v16, 6, v20
	v_ashrrev_i32_e32 v2, 31, v1
	s_delay_alu instid0(VALU_DEP_4)
	v_mul_lo_u32 v13, v3, s0
	s_waitcnt lgkmcnt(0)
	s_add_u32 s1, s4, s6
	s_addc_u32 s3, s5, s7
	s_lshl_b32 s4, s14, 7
	ds_load_b128 v[3:6], v21
	ds_load_b128 v[7:10], v21 offset:128
	s_ashr_i32 s5, s4, 31
	v_ashrrev_i32_e32 v12, 31, v11
	s_lshl_b64 s[4:5], s[4:5], 1
	v_lshlrev_b64 v[14:15], 1, v[1:2]
	s_add_u32 s1, s1, s4
	s_addc_u32 s3, s3, s5
	v_add_co_u32 v1, s1, s1, v137
	s_delay_alu instid0(VALU_DEP_1) | instskip(SKIP_1) | instid1(VALU_DEP_3)
	v_add_co_ci_u32_e64 v2, null, s3, 0, s1
	v_lshlrev_b64 v[11:12], 1, v[11:12]
	v_add_co_u32 v18, vcc_lo, v1, v14
	v_mul_lo_u32 v16, v16, s0
	s_delay_alu instid0(VALU_DEP_4) | instskip(NEXT) | instid1(VALU_DEP_4)
	v_add_co_ci_u32_e32 v19, vcc_lo, v2, v15, vcc_lo
	v_add_co_u32 v11, vcc_lo, v1, v11
	v_ashrrev_i32_e32 v14, 31, v13
	v_add_co_ci_u32_e32 v12, vcc_lo, v2, v12, vcc_lo
	v_add_nc_u32_e32 v15, 8, v20
	v_ashrrev_i32_e32 v17, 31, v16
	s_waitcnt lgkmcnt(1)
	global_store_b128 v[18:19], v[3:6], off
	v_lshlrev_b64 v[3:4], 1, v[13:14]
	s_waitcnt lgkmcnt(0)
	global_store_b128 v[11:12], v[7:10], off
	v_mul_lo_u32 v11, v15, s0
	v_add_nc_u32_e32 v7, 10, v20
	v_lshlrev_b64 v[5:6], 1, v[16:17]
	v_add_co_u32 v23, vcc_lo, v1, v3
	v_add_nc_u32_e32 v3, 12, v20
	s_delay_alu instid0(VALU_DEP_4)
	v_mul_lo_u32 v25, v7, s0
	v_ashrrev_i32_e32 v12, 31, v11
	v_add_co_ci_u32_e32 v24, vcc_lo, v2, v4, vcc_lo
	v_add_co_u32 v27, vcc_lo, v1, v5
	v_mul_lo_u32 v29, v3, s0
	v_add_co_ci_u32_e32 v28, vcc_lo, v2, v6, vcc_lo
	ds_load_b128 v[3:6], v21 offset:256
	ds_load_b128 v[7:10], v21 offset:384
	v_lshlrev_b64 v[31:32], 1, v[11:12]
	ds_load_b128 v[11:14], v21 offset:512
	ds_load_b128 v[15:18], v21 offset:640
	;; [unrolled: 1-line block ×3, first 2 shown]
	v_ashrrev_i32_e32 v26, 31, v25
	v_ashrrev_i32_e32 v30, 31, v29
	v_add_co_u32 v31, vcc_lo, v1, v31
	s_delay_alu instid0(VALU_DEP_3) | instskip(NEXT) | instid1(VALU_DEP_3)
	v_lshlrev_b64 v[25:26], 1, v[25:26]
	v_lshlrev_b64 v[29:30], 1, v[29:30]
	v_add_co_ci_u32_e32 v32, vcc_lo, v2, v32, vcc_lo
	s_delay_alu instid0(VALU_DEP_3) | instskip(NEXT) | instid1(VALU_DEP_4)
	v_add_co_u32 v25, vcc_lo, v1, v25
	v_add_co_ci_u32_e32 v26, vcc_lo, v2, v26, vcc_lo
	s_delay_alu instid0(VALU_DEP_4)
	v_add_co_u32 v29, vcc_lo, v1, v29
	v_add_co_ci_u32_e32 v30, vcc_lo, v2, v30, vcc_lo
	s_waitcnt lgkmcnt(4)
	global_store_b128 v[23:24], v[3:6], off
	s_waitcnt lgkmcnt(3)
	global_store_b128 v[27:28], v[7:10], off
	;; [unrolled: 2-line block ×5, first 2 shown]
	s_and_b32 exec_lo, exec_lo, s2
	s_cbranch_execz .LBB592_2
; %bb.112:
	ds_load_b128 v[3:6], v0 offset:896
	s_add_i32 s1, s31, 14
	s_delay_alu instid0(SALU_CYCLE_1) | instskip(NEXT) | instid1(SALU_CYCLE_1)
	s_mul_i32 s0, s1, s0
	s_ashr_i32 s1, s0, 31
	s_delay_alu instid0(SALU_CYCLE_1) | instskip(NEXT) | instid1(SALU_CYCLE_1)
	s_lshl_b64 s[0:1], s[0:1], 1
	v_add_co_u32 v0, vcc_lo, v1, s0
	v_add_co_ci_u32_e32 v1, vcc_lo, s1, v2, vcc_lo
	s_waitcnt lgkmcnt(0)
	global_store_b128 v[0:1], v[3:6], off
	s_nop 0
	s_sendmsg sendmsg(MSG_DEALLOC_VGPRS)
	s_endpgm
	.section	.rodata,"a",@progbits
	.p2align	6, 0x0
	.amdhsa_kernel _Z39paged_attention_ll4mi_QKV_mfma16_kernelI14__hip_bfloat16S0_LN4vllm18Fp8KVCacheDataTypeE0EhLi16ELi128ELi256ELb1ELi15EL8MFMAType0EEvPKT_PKT0_S9_ifPKiSB_SB_iPKfiiiPfSE_PS4_PT2_iSD_SD_
		.amdhsa_group_segment_fixed_size 17472
		.amdhsa_private_segment_fixed_size 0
		.amdhsa_kernarg_size 400
		.amdhsa_user_sgpr_count 13
		.amdhsa_user_sgpr_dispatch_ptr 0
		.amdhsa_user_sgpr_queue_ptr 0
		.amdhsa_user_sgpr_kernarg_segment_ptr 1
		.amdhsa_user_sgpr_dispatch_id 0
		.amdhsa_user_sgpr_private_segment_size 0
		.amdhsa_wavefront_size32 1
		.amdhsa_uses_dynamic_stack 0
		.amdhsa_enable_private_segment 0
		.amdhsa_system_sgpr_workgroup_id_x 1
		.amdhsa_system_sgpr_workgroup_id_y 1
		.amdhsa_system_sgpr_workgroup_id_z 1
		.amdhsa_system_sgpr_workgroup_info 0
		.amdhsa_system_vgpr_workitem_id 0
		.amdhsa_next_free_vgpr 218
		.amdhsa_next_free_sgpr 50
		.amdhsa_reserve_vcc 1
		.amdhsa_float_round_mode_32 0
		.amdhsa_float_round_mode_16_64 0
		.amdhsa_float_denorm_mode_32 3
		.amdhsa_float_denorm_mode_16_64 3
		.amdhsa_dx10_clamp 1
		.amdhsa_ieee_mode 1
		.amdhsa_fp16_overflow 0
		.amdhsa_workgroup_processor_mode 1
		.amdhsa_memory_ordered 1
		.amdhsa_forward_progress 0
		.amdhsa_shared_vgpr_count 0
		.amdhsa_exception_fp_ieee_invalid_op 0
		.amdhsa_exception_fp_denorm_src 0
		.amdhsa_exception_fp_ieee_div_zero 0
		.amdhsa_exception_fp_ieee_overflow 0
		.amdhsa_exception_fp_ieee_underflow 0
		.amdhsa_exception_fp_ieee_inexact 0
		.amdhsa_exception_int_div_zero 0
	.end_amdhsa_kernel
	.section	.text._Z39paged_attention_ll4mi_QKV_mfma16_kernelI14__hip_bfloat16S0_LN4vllm18Fp8KVCacheDataTypeE0EhLi16ELi128ELi256ELb1ELi15EL8MFMAType0EEvPKT_PKT0_S9_ifPKiSB_SB_iPKfiiiPfSE_PS4_PT2_iSD_SD_,"axG",@progbits,_Z39paged_attention_ll4mi_QKV_mfma16_kernelI14__hip_bfloat16S0_LN4vllm18Fp8KVCacheDataTypeE0EhLi16ELi128ELi256ELb1ELi15EL8MFMAType0EEvPKT_PKT0_S9_ifPKiSB_SB_iPKfiiiPfSE_PS4_PT2_iSD_SD_,comdat
.Lfunc_end592:
	.size	_Z39paged_attention_ll4mi_QKV_mfma16_kernelI14__hip_bfloat16S0_LN4vllm18Fp8KVCacheDataTypeE0EhLi16ELi128ELi256ELb1ELi15EL8MFMAType0EEvPKT_PKT0_S9_ifPKiSB_SB_iPKfiiiPfSE_PS4_PT2_iSD_SD_, .Lfunc_end592-_Z39paged_attention_ll4mi_QKV_mfma16_kernelI14__hip_bfloat16S0_LN4vllm18Fp8KVCacheDataTypeE0EhLi16ELi128ELi256ELb1ELi15EL8MFMAType0EEvPKT_PKT0_S9_ifPKiSB_SB_iPKfiiiPfSE_PS4_PT2_iSD_SD_
                                        ; -- End function
	.section	.AMDGPU.csdata,"",@progbits
; Kernel info:
; codeLenInByte = 10508
; NumSgprs: 52
; NumVgprs: 218
; ScratchSize: 0
; MemoryBound: 0
; FloatMode: 240
; IeeeMode: 1
; LDSByteSize: 17472 bytes/workgroup (compile time only)
; SGPRBlocks: 6
; VGPRBlocks: 27
; NumSGPRsForWavesPerEU: 52
; NumVGPRsForWavesPerEU: 218
; Occupancy: 6
; WaveLimiterHint : 1
; COMPUTE_PGM_RSRC2:SCRATCH_EN: 0
; COMPUTE_PGM_RSRC2:USER_SGPR: 13
; COMPUTE_PGM_RSRC2:TRAP_HANDLER: 0
; COMPUTE_PGM_RSRC2:TGID_X_EN: 1
; COMPUTE_PGM_RSRC2:TGID_Y_EN: 1
; COMPUTE_PGM_RSRC2:TGID_Z_EN: 1
; COMPUTE_PGM_RSRC2:TIDIG_COMP_CNT: 0
	.section	.text._Z39paged_attention_ll4mi_QKV_mfma16_kernelI14__hip_bfloat16S0_LN4vllm18Fp8KVCacheDataTypeE0EhLi16ELi128ELi256ELb1ELi16EL8MFMAType0EEvPKT_PKT0_S9_ifPKiSB_SB_iPKfiiiPfSE_PS4_PT2_iSD_SD_,"axG",@progbits,_Z39paged_attention_ll4mi_QKV_mfma16_kernelI14__hip_bfloat16S0_LN4vllm18Fp8KVCacheDataTypeE0EhLi16ELi128ELi256ELb1ELi16EL8MFMAType0EEvPKT_PKT0_S9_ifPKiSB_SB_iPKfiiiPfSE_PS4_PT2_iSD_SD_,comdat
	.protected	_Z39paged_attention_ll4mi_QKV_mfma16_kernelI14__hip_bfloat16S0_LN4vllm18Fp8KVCacheDataTypeE0EhLi16ELi128ELi256ELb1ELi16EL8MFMAType0EEvPKT_PKT0_S9_ifPKiSB_SB_iPKfiiiPfSE_PS4_PT2_iSD_SD_ ; -- Begin function _Z39paged_attention_ll4mi_QKV_mfma16_kernelI14__hip_bfloat16S0_LN4vllm18Fp8KVCacheDataTypeE0EhLi16ELi128ELi256ELb1ELi16EL8MFMAType0EEvPKT_PKT0_S9_ifPKiSB_SB_iPKfiiiPfSE_PS4_PT2_iSD_SD_
	.globl	_Z39paged_attention_ll4mi_QKV_mfma16_kernelI14__hip_bfloat16S0_LN4vllm18Fp8KVCacheDataTypeE0EhLi16ELi128ELi256ELb1ELi16EL8MFMAType0EEvPKT_PKT0_S9_ifPKiSB_SB_iPKfiiiPfSE_PS4_PT2_iSD_SD_
	.p2align	8
	.type	_Z39paged_attention_ll4mi_QKV_mfma16_kernelI14__hip_bfloat16S0_LN4vllm18Fp8KVCacheDataTypeE0EhLi16ELi128ELi256ELb1ELi16EL8MFMAType0EEvPKT_PKT0_S9_ifPKiSB_SB_iPKfiiiPfSE_PS4_PT2_iSD_SD_,@function
_Z39paged_attention_ll4mi_QKV_mfma16_kernelI14__hip_bfloat16S0_LN4vllm18Fp8KVCacheDataTypeE0EhLi16ELi128ELi256ELb1ELi16EL8MFMAType0EEvPKT_PKT0_S9_ifPKiSB_SB_iPKfiiiPfSE_PS4_PT2_iSD_SD_: ; @_Z39paged_attention_ll4mi_QKV_mfma16_kernelI14__hip_bfloat16S0_LN4vllm18Fp8KVCacheDataTypeE0EhLi16ELi128ELi256ELb1ELi16EL8MFMAType0EEvPKT_PKT0_S9_ifPKiSB_SB_iPKfiiiPfSE_PS4_PT2_iSD_SD_
; %bb.0:
	s_load_b64 s[4:5], s[0:1], 0x30
	s_mov_b32 s30, s13
	s_waitcnt lgkmcnt(0)
	s_cmp_lg_u64 s[4:5], 0
	s_cselect_b32 s12, -1, 0
	s_ashr_i32 s31, s13, 31
	s_cmp_eq_u64 s[4:5], 0
	s_cbranch_scc1 .LBB593_3
; %bb.1:
	s_lshl_b64 s[2:3], s[30:31], 2
	s_delay_alu instid0(SALU_CYCLE_1) | instskip(SKIP_4) | instid1(SALU_CYCLE_1)
	s_add_u32 s2, s4, s2
	s_addc_u32 s3, s5, s3
	s_load_b64 s[2:3], s[2:3], 0x0
	s_waitcnt lgkmcnt(0)
	s_sub_i32 s2, s3, s2
	s_cmp_eq_u32 s2, 1
	s_cselect_b32 s2, -1, 0
	s_delay_alu instid0(SALU_CYCLE_1)
	s_and_not1_b32 vcc_lo, exec_lo, s2
	s_cbranch_vccz .LBB593_4
.LBB593_2:
	s_endpgm
.LBB593_3:
.LBB593_4:
	s_load_b64 s[2:3], s[0:1], 0x28
	s_lshl_b64 s[6:7], s[30:31], 2
	s_waitcnt lgkmcnt(0)
	s_add_u32 s2, s2, s6
	s_addc_u32 s3, s3, s7
	s_lshl_b32 s31, s14, 8
	s_load_b32 s28, s[2:3], 0x0
	s_waitcnt lgkmcnt(0)
	s_cmp_ge_i32 s31, s28
	s_cbranch_scc1 .LBB593_2
; %bb.5:
	s_clause 0x1
	s_load_b128 s[8:11], s[0:1], 0x8
	s_load_b64 s[2:3], s[0:1], 0x20
	s_and_not1_b32 vcc_lo, exec_lo, s12
	s_cbranch_vccnz .LBB593_7
; %bb.6:
	s_add_u32 s4, s4, s6
	s_addc_u32 s5, s5, s7
	s_load_b32 s12, s[4:5], 0x0
	s_branch .LBB593_8
.LBB593_7:
	s_mov_b32 s12, s30
.LBB593_8:
	s_load_b128 s[4:7], s[0:1], 0x48
	v_and_b32_e32 v142, 15, v0
	v_lshrrev_b32_e32 v140, 5, v0
	v_and_b32_e32 v143, 31, v0
	v_and_b32_e32 v139, 1, v0
	v_bfe_u32 v138, v0, 4, 1
	v_lshlrev_b32_e32 v1, 3, v142
	s_lshl_b32 s29, s15, 4
	s_waitcnt lgkmcnt(0)
	s_mov_b32 s7, exec_lo
	s_delay_alu instid0(VALU_DEP_1)
	v_lshlrev_b32_e32 v137, 1, v1
	v_cmpx_gt_u32_e32 0x100, v0
	s_cbranch_execz .LBB593_10
; %bb.9:
	v_lshl_or_b32 v5, v140, 1, v138
	s_load_b64 s[16:17], s[0:1], 0x0
	s_mul_hi_i32 s13, s12, s4
	s_mul_i32 s12, s12, s4
	v_lshlrev_b32_e32 v6, 10, v142
	v_or_b32_e32 v1, s29, v5
	s_lshl_b64 s[12:13], s[12:13], 1
	v_lshlrev_b32_e32 v5, 6, v5
	v_lshlrev_b32_e32 v7, 10, v139
	v_and_b32_e32 v6, 0x3800, v6
	v_lshlrev_b32_e32 v1, 7, v1
	s_delay_alu instid0(VALU_DEP_2) | instskip(NEXT) | instid1(VALU_DEP_2)
	v_or3_b32 v5, v6, v7, v5
	v_ashrrev_i32_e32 v2, 31, v1
	s_delay_alu instid0(VALU_DEP_1) | instskip(SKIP_3) | instid1(VALU_DEP_1)
	v_lshlrev_b64 v[1:2], 1, v[1:2]
	s_waitcnt lgkmcnt(0)
	s_add_u32 s4, s16, s12
	s_addc_u32 s12, s17, s13
	v_add_co_u32 v1, vcc_lo, s4, v1
	s_delay_alu instid0(VALU_DEP_2) | instskip(NEXT) | instid1(VALU_DEP_2)
	v_add_co_ci_u32_e32 v2, vcc_lo, s12, v2, vcc_lo
	v_add_co_u32 v1, vcc_lo, v1, v137
	s_delay_alu instid0(VALU_DEP_2)
	v_add_co_ci_u32_e32 v2, vcc_lo, 0, v2, vcc_lo
	global_load_b128 v[1:4], v[1:2], off
	s_waitcnt vmcnt(0)
	ds_store_b128 v5, v[1:4]
.LBB593_10:
	s_or_b32 exec_lo, exec_lo, s7
	s_mov_b32 s36, 0
	s_add_i32 s4, s28, 15
	s_mov_b32 s37, s36
	s_mov_b32 s38, s36
	s_mov_b32 s39, s36
	s_mov_b32 s40, s36
	s_mov_b32 s41, s36
	s_mov_b32 s42, s36
	s_mov_b32 s43, s36
	s_delay_alu instid0(SALU_CYCLE_1)
	v_dual_mov_b32 v136, s43 :: v_dual_and_b32 v1, 0xef, v0
	v_mov_b32_e32 v134, s41
	s_clause 0x1
	s_load_b32 s7, s[0:1], 0x38
	s_load_b32 s33, s[0:1], 0x1c
	v_add_nc_u32_e32 v1, s31, v1
	s_ashr_i32 s12, s4, 31
	s_waitcnt lgkmcnt(0)
	s_lshr_b32 s12, s12, 28
	s_barrier
	v_ashrrev_i32_e32 v2, 31, v1
	s_add_i32 s4, s4, s12
	v_cmp_gt_i32_e32 vcc_lo, s28, v1
	v_mov_b32_e32 v135, s42
	s_ashr_i32 s4, s4, 4
	v_lshrrev_b32_e32 v3, 28, v2
	v_or_b32_e32 v2, 16, v1
	s_add_i32 s4, s4, -1
	v_mov_b32_e32 v132, s39
	buffer_gl0_inv
	v_add_nc_u32_e32 v4, v1, v3
	v_add_nc_u32_e32 v3, v2, v3
	v_lshlrev_b32_e32 v141, 6, v142
	s_mul_i32 s12, s30, s7
	v_mov_b32_e32 v133, s40
	v_ashrrev_i32_e32 v4, 4, v4
	v_ashrrev_i32_e32 v3, 4, v3
	s_ashr_i32 s13, s12, 31
	v_mov_b32_e32 v131, s38
	s_lshl_b64 s[12:13], s[12:13], 2
	v_cndmask_b32_e32 v1, s4, v4, vcc_lo
	v_cmp_gt_i32_e32 vcc_lo, s28, v2
	s_add_u32 s34, s2, s12
	s_addc_u32 s35, s3, s13
	s_mul_i32 s2, s15, s6
	v_ashrrev_i32_e32 v2, 31, v1
	v_cndmask_b32_e32 v3, s4, v3, vcc_lo
	s_ashr_i32 s3, s2, 31
	v_mov_b32_e32 v129, s36
	s_lshl_b64 s[2:3], s[2:3], 1
	v_lshlrev_b64 v[1:2], 2, v[1:2]
	v_ashrrev_i32_e32 v4, 31, v3
	s_add_u32 s22, s8, s2
	s_addc_u32 s23, s9, s3
	s_lshl_b32 s6, s14, 4
	v_lshlrev_b32_e32 v125, 5, v142
	v_lshlrev_b64 v[3:4], 2, v[3:4]
	v_add_co_u32 v1, vcc_lo, s34, v1
	v_add_co_ci_u32_e32 v2, vcc_lo, s35, v2, vcc_lo
	s_ashr_i32 s7, s6, 31
	s_delay_alu instid0(VALU_DEP_3) | instskip(NEXT) | instid1(VALU_DEP_4)
	v_add_co_u32 v3, vcc_lo, s34, v3
	v_add_co_ci_u32_e32 v4, vcc_lo, s35, v4, vcc_lo
	s_clause 0x1
	global_load_b32 v5, v[1:2], off
	global_load_b32 v6, v[3:4], off
	s_lshl_b64 s[6:7], s[6:7], 2
	v_dual_mov_b32 v130, s37 :: v_dual_lshlrev_b32 v3, 4, v0
	s_add_u32 s6, s34, s6
	s_addc_u32 s7, s35, s7
	s_or_b32 s8, s31, 16
	v_lshl_or_b32 v125, v140, 9, v125
	s_ashr_i32 s9, s8, 4
	s_cmp_lt_i32 s8, s28
	s_cselect_b32 s8, s9, s4
	s_delay_alu instid0(SALU_CYCLE_1) | instskip(NEXT) | instid1(SALU_CYCLE_1)
	s_ashr_i32 s9, s8, 31
	s_lshl_b64 s[8:9], s[8:9], 2
	s_delay_alu instid0(SALU_CYCLE_1) | instskip(SKIP_2) | instid1(SALU_CYCLE_1)
	s_add_u32 s8, s34, s8
	s_addc_u32 s9, s35, s9
	s_or_b32 s12, s31, 32
	s_ashr_i32 s13, s12, 4
	s_cmp_lt_i32 s12, s28
	s_cselect_b32 s12, s13, s4
	s_delay_alu instid0(SALU_CYCLE_1) | instskip(NEXT) | instid1(SALU_CYCLE_1)
	s_ashr_i32 s13, s12, 31
	s_lshl_b64 s[12:13], s[12:13], 2
	s_delay_alu instid0(SALU_CYCLE_1) | instskip(SKIP_2) | instid1(SALU_CYCLE_1)
	s_add_u32 s12, s34, s12
	s_addc_u32 s13, s35, s13
	s_or_b32 s15, s31, 48
	;; [unrolled: 10-line block ×4, first 2 shown]
	s_ashr_i32 s20, s15, 4
	s_cmp_lt_i32 s15, s28
	s_cselect_b32 s20, s20, s4
	s_delay_alu instid0(SALU_CYCLE_1) | instskip(NEXT) | instid1(SALU_CYCLE_1)
	s_ashr_i32 s21, s20, 31
	s_lshl_b64 s[20:21], s[20:21], 2
	s_delay_alu instid0(SALU_CYCLE_1)
	s_add_u32 s20, s34, s20
	s_addc_u32 s21, s35, s21
	s_clause 0x5
	s_load_b32 s6, s[6:7], 0x0
	s_load_b32 s8, s[8:9], 0x0
	;; [unrolled: 1-line block ×6, first 2 shown]
	s_waitcnt vmcnt(1)
	v_mad_i64_i32 v[1:2], null, v5, s5, 0
	v_and_b32_e32 v5, 0xf0, v3
	s_waitcnt vmcnt(0)
	v_mad_i64_i32 v[3:4], null, v6, s5, 0
	s_delay_alu instid0(VALU_DEP_2) | instskip(NEXT) | instid1(VALU_DEP_4)
	v_add_co_u32 v5, s7, s22, v5
	v_lshlrev_b64 v[1:2], 1, v[1:2]
	v_add_co_ci_u32_e64 v6, null, s23, 0, s7
	s_delay_alu instid0(VALU_DEP_4) | instskip(SKIP_1) | instid1(VALU_DEP_3)
	v_lshlrev_b64 v[3:4], 1, v[3:4]
	s_or_b32 s7, s31, 0x60
	v_add_co_u32 v121, vcc_lo, v5, v1
	s_delay_alu instid0(VALU_DEP_3) | instskip(NEXT) | instid1(VALU_DEP_3)
	v_add_co_ci_u32_e32 v122, vcc_lo, v6, v2, vcc_lo
	v_add_co_u32 v123, vcc_lo, v5, v3
	s_delay_alu instid0(VALU_DEP_4)
	v_add_co_ci_u32_e32 v124, vcc_lo, v6, v4, vcc_lo
	s_clause 0x19
	global_load_b128 v[89:92], v[121:122], off
	global_load_b128 v[93:96], v[121:122], off offset:256
	global_load_b128 v[97:100], v[123:124], off
	global_load_b128 v[101:104], v[123:124], off offset:256
	global_load_b128 v[81:84], v[121:122], off offset:512
	;; [unrolled: 1-line block ×23, first 2 shown]
	s_ashr_i32 s9, s7, 4
	s_cmp_lt_i32 s7, s28
	ds_load_b128 v[105:108], v141
	ds_load_b128 v[109:112], v141 offset:1024
	s_cselect_b32 s20, s9, s4
	ds_load_b128 v[113:116], v141 offset:2048
	ds_load_b128 v[117:120], v141 offset:3072
	s_ashr_i32 s21, s20, 31
	ds_load_b128 v[144:147], v141 offset:4096
	ds_load_b128 v[148:151], v141 offset:5120
	s_lshl_b64 s[20:21], s[20:21], 2
	ds_load_b128 v[152:155], v141 offset:6144
	ds_load_b128 v[156:159], v141 offset:7168
	s_add_u32 s20, s34, s20
	s_addc_u32 s21, s35, s21
	s_or_b32 s7, s31, 0x70
	ds_load_b128 v[160:163], v141 offset:8192
	ds_load_b128 v[164:167], v141 offset:9216
	s_ashr_i32 s9, s7, 4
	s_cmp_lt_i32 s7, s28
	s_clause 0x1
	global_load_b128 v[168:171], v[123:124], off offset:3072
	global_load_b128 v[172:175], v[123:124], off offset:3328
	s_cselect_b32 s22, s9, s4
	s_delay_alu instid0(SALU_CYCLE_1) | instskip(NEXT) | instid1(SALU_CYCLE_1)
	s_ashr_i32 s23, s22, 31
	s_lshl_b64 s[22:23], s[22:23], 2
	s_delay_alu instid0(SALU_CYCLE_1)
	s_add_u32 s22, s34, s22
	s_addc_u32 s23, s35, s23
	s_clause 0x1
	s_load_b32 s42, s[20:21], 0x0
	s_load_b32 s43, s[22:23], 0x0
	s_clause 0x3
	global_load_b128 v[176:179], v[121:122], off offset:3584
	global_load_b128 v[180:183], v[121:122], off offset:3840
	;; [unrolled: 1-line block ×4, first 2 shown]
	s_or_b32 s7, s31, 0x80
	s_delay_alu instid0(SALU_CYCLE_1) | instskip(SKIP_2) | instid1(SALU_CYCLE_1)
	s_ashr_i32 s9, s7, 4
	s_cmp_lt_i32 s7, s28
	s_cselect_b32 s24, s9, s4
	s_ashr_i32 s25, s24, 31
	s_delay_alu instid0(SALU_CYCLE_1) | instskip(NEXT) | instid1(SALU_CYCLE_1)
	s_lshl_b64 s[24:25], s[24:25], 2
	s_add_u32 s24, s34, s24
	s_addc_u32 s25, s35, s25
	s_or_b32 s7, s31, 0x90
	s_load_b32 s44, s[24:25], 0x0
	s_ashr_i32 s9, s7, 4
	s_cmp_lt_i32 s7, s28
	s_cselect_b32 s26, s9, s4
	s_delay_alu instid0(SALU_CYCLE_1) | instskip(NEXT) | instid1(SALU_CYCLE_1)
	s_ashr_i32 s27, s26, 31
	s_lshl_b64 s[26:27], s[26:27], 2
	s_delay_alu instid0(SALU_CYCLE_1) | instskip(SKIP_2) | instid1(SALU_CYCLE_1)
	s_add_u32 s26, s34, s26
	s_addc_u32 s27, s35, s27
	s_or_b32 s7, s31, 0xa0
	s_ashr_i32 s9, s7, 4
	s_cmp_lt_i32 s7, s28
	s_waitcnt lgkmcnt(0)
	s_mul_hi_i32 s7, s6, s5
	s_cselect_b32 s36, s9, s4
	s_mul_i32 s6, s6, s5
	s_ashr_i32 s37, s36, 31
	s_delay_alu instid0(SALU_CYCLE_1) | instskip(NEXT) | instid1(SALU_CYCLE_1)
	s_lshl_b64 s[36:37], s[36:37], 2
	s_add_u32 s36, s34, s36
	s_addc_u32 s37, s35, s37
	s_or_b32 s9, s31, 0xb0
	s_delay_alu instid0(SALU_CYCLE_1)
	s_ashr_i32 s13, s9, 4
	s_cmp_lt_i32 s9, s28
	s_mul_hi_i32 s9, s8, s5
	s_cselect_b32 s38, s13, s4
	s_mul_i32 s8, s8, s5
	s_ashr_i32 s39, s38, 31
	s_mul_hi_i32 s13, s12, s5
	s_lshl_b64 s[38:39], s[38:39], 2
	s_mul_i32 s12, s12, s5
	s_add_u32 s40, s34, s38
	s_addc_u32 s41, s35, s39
	s_or_b32 s17, s31, 0xc0
	s_delay_alu instid0(SALU_CYCLE_1)
	s_ashr_i32 s19, s17, 4
	s_cmp_lt_i32 s17, s28
	s_mul_hi_i32 s17, s16, s5
	s_cselect_b32 s38, s19, s4
	s_mul_i32 s16, s16, s5
	s_ashr_i32 s39, s38, 31
	s_mul_hi_i32 s19, s18, s5
	s_lshl_b64 s[38:39], s[38:39], 2
	s_mul_i32 s18, s18, s5
	s_add_u32 s22, s34, s38
	s_addc_u32 s23, s35, s39
	s_clause 0x1
	s_load_b32 s39, s[26:27], 0x0
	s_load_b32 s38, s[36:37], 0x0
	s_or_b32 s20, s31, 0xd0
	s_mul_hi_i32 s27, s44, s5
	s_ashr_i32 s21, s20, 4
	s_cmp_lt_i32 s20, s28
	s_mul_i32 s20, s15, s5
	s_cselect_b32 s24, s21, s4
	s_mul_hi_i32 s21, s15, s5
	s_ashr_i32 s25, s24, 31
	s_mul_i32 s26, s44, s5
	s_lshl_b64 s[24:25], s[24:25], 2
	s_delay_alu instid0(SALU_CYCLE_1)
	s_add_u32 s24, s34, s24
	s_addc_u32 s25, s35, s25
	s_or_b32 s45, s31, 0xe0
	s_clause 0x2
	s_load_b32 s37, s[40:41], 0x0
	s_load_b32 s36, s[22:23], 0x0
	;; [unrolled: 1-line block ×3, first 2 shown]
	s_ashr_i32 s46, s45, 4
	s_cmp_lt_i32 s45, s28
	s_mul_hi_i32 s23, s42, s5
	s_mul_i32 s22, s42, s5
	s_cselect_b32 s42, s46, s4
	s_mul_hi_i32 s25, s43, s5
	s_mul_i32 s24, s43, s5
	s_ashr_i32 s43, s42, 31
	s_waitcnt lgkmcnt(0)
	s_mul_hi_i32 s41, s39, s5
	s_lshl_b64 s[42:43], s[42:43], 2
	s_mul_i32 s40, s39, s5
	s_add_u32 s42, s34, s42
	s_addc_u32 s43, s35, s43
	s_or_b32 s44, s31, 0xf0
	s_mul_hi_i32 s39, s38, s5
	s_ashr_i32 s46, s44, 4
	s_cmp_lt_i32 s44, s28
	s_mul_i32 s38, s38, s5
	s_cselect_b32 s46, s46, s4
	s_mul_hi_i32 s49, s15, s5
	s_ashr_i32 s47, s46, 31
	s_mul_i32 s48, s15, s5
	s_lshl_b64 s[46:47], s[46:47], 2
	s_mul_hi_i32 s45, s37, s5
	s_add_u32 s34, s34, s46
	s_addc_u32 s35, s35, s47
	s_add_u32 s4, s10, s2
	s_addc_u32 s15, s11, s3
	v_add_co_u32 v216, s4, s4, v125
	s_delay_alu instid0(VALU_DEP_1) | instskip(SKIP_2) | instid1(VALU_DEP_2)
	v_add_co_ci_u32_e64 v217, null, s15, 0, s4
	s_lshl_b64 s[2:3], s[6:7], 1
	s_lshl_b64 s[6:7], s[8:9], 1
	v_add_co_u32 v125, vcc_lo, v216, s2
	s_delay_alu instid0(VALU_DEP_2)
	v_add_co_ci_u32_e32 v126, vcc_lo, s3, v217, vcc_lo
	v_add_co_u32 v200, vcc_lo, v216, s6
	s_lshl_b64 s[8:9], s[12:13], 1
	v_add_co_ci_u32_e32 v201, vcc_lo, s7, v217, vcc_lo
	s_lshl_b64 s[10:11], s[16:17], 1
	s_lshl_b64 s[12:13], s[18:19], 1
	;; [unrolled: 1-line block ×8, first 2 shown]
	s_mul_i32 s44, s37, s5
	s_mul_hi_i32 s37, s36, s5
	s_lshl_b64 s[38:39], s[44:45], 1
	s_mul_i32 s36, s36, s5
	s_clause 0x1
	s_load_b32 s4, s[42:43], 0x0
	s_load_b32 s15, s[34:35], 0x0
	s_lshl_b64 s[36:37], s[36:37], 1
	s_lshl_b64 s[40:41], s[48:49], 1
	s_waitcnt lgkmcnt(0)
	s_mul_hi_i32 s3, s4, s5
	s_mul_i32 s2, s4, s5
	s_mul_hi_i32 s7, s15, s5
	s_lshl_b64 s[2:3], s[2:3], 1
	s_mul_i32 s6, s15, s5
	s_waitcnt vmcnt(30)
	v_wmma_f32_16x16x16_bf16 v[192:199], v[89:96], v[105:112], v[129:136]
	v_add_co_u32 v89, vcc_lo, v216, s8
	v_add_co_ci_u32_e32 v90, vcc_lo, s9, v217, vcc_lo
	v_add_co_u32 v91, vcc_lo, v216, s10
	v_add_co_ci_u32_e32 v92, vcc_lo, s11, v217, vcc_lo
	;; [unrolled: 2-line block ×5, first 2 shown]
	v_add_co_u32 v206, vcc_lo, v216, s20
	s_waitcnt vmcnt(28)
	v_wmma_f32_16x16x16_bf16 v[129:136], v[97:104], v[105:112], v[129:136]
	v_add_co_ci_u32_e32 v207, vcc_lo, s21, v217, vcc_lo
	v_add_co_u32 v208, vcc_lo, v216, s22
	v_add_co_ci_u32_e32 v209, vcc_lo, s23, v217, vcc_lo
	v_add_co_u32 v210, vcc_lo, v216, s24
	s_waitcnt vmcnt(26)
	v_wmma_f32_16x16x16_bf16 v[192:199], v[81:88], v[113:120], v[192:199]
	s_waitcnt vmcnt(24)
	v_wmma_f32_16x16x16_bf16 v[129:136], v[73:80], v[113:120], v[129:136]
	v_add_co_ci_u32_e32 v211, vcc_lo, s25, v217, vcc_lo
	v_add_co_u32 v212, vcc_lo, v216, s26
	v_add_co_ci_u32_e32 v213, vcc_lo, s27, v217, vcc_lo
	v_add_co_u32 v214, vcc_lo, v216, s38
	s_waitcnt vmcnt(22)
	v_wmma_f32_16x16x16_bf16 v[192:199], v[65:72], v[144:151], v[192:199]
	s_waitcnt vmcnt(20)
	v_wmma_f32_16x16x16_bf16 v[129:136], v[57:64], v[144:151], v[129:136]
	v_add_co_ci_u32_e32 v215, vcc_lo, s39, v217, vcc_lo
	v_add_co_u32 v144, vcc_lo, v216, s36
	s_waitcnt vmcnt(18)
	v_wmma_f32_16x16x16_bf16 v[192:199], v[49:56], v[152:159], v[192:199]
	s_waitcnt vmcnt(16)
	v_wmma_f32_16x16x16_bf16 v[129:136], v[41:48], v[152:159], v[129:136]
	v_add_co_ci_u32_e32 v145, vcc_lo, s37, v217, vcc_lo
	s_clause 0x15
	global_load_b128 v[121:124], v[125:126], off
	global_load_b128 v[125:128], v[125:126], off offset:16
	global_load_b128 v[113:116], v[200:201], off
	global_load_b128 v[117:120], v[200:201], off offset:16
	;; [unrolled: 2-line block ×11, first 2 shown]
	s_waitcnt vmcnt(36)
	v_wmma_f32_16x16x16_bf16 v[192:199], v[17:24], v[160:167], v[192:199]
	s_clause 0x1
	global_load_b128 v[17:20], v[214:215], off
	global_load_b128 v[21:24], v[214:215], off offset:16
	s_waitcnt vmcnt(36)
	v_wmma_f32_16x16x16_bf16 v[129:136], v[1:8], v[160:167], v[129:136]
	s_clause 0x1
	global_load_b128 v[1:4], v[144:145], off
	global_load_b128 v[5:8], v[144:145], off offset:16
	ds_load_b128 v[144:147], v141 offset:10240
	ds_load_b128 v[148:151], v141 offset:11264
	;; [unrolled: 1-line block ×4, first 2 shown]
	v_add_co_u32 v200, vcc_lo, v216, s40
	v_add_co_ci_u32_e32 v201, vcc_lo, s41, v217, vcc_lo
	v_add_co_u32 v160, vcc_lo, v216, s2
	v_add_co_ci_u32_e32 v161, vcc_lo, s3, v217, vcc_lo
	s_lshl_b64 s[2:3], s[6:7], 1
	s_delay_alu instid0(SALU_CYCLE_1)
	v_add_co_u32 v162, vcc_lo, v216, s2
	v_add_co_ci_u32_e32 v163, vcc_lo, s3, v217, vcc_lo
	s_waitcnt vmcnt(36) lgkmcnt(2)
	v_wmma_f32_16x16x16_bf16 v[192:199], v[33:40], v[144:151], v[192:199]
	s_waitcnt vmcnt(34)
	v_wmma_f32_16x16x16_bf16 v[129:136], v[25:32], v[144:151], v[129:136]
	s_clause 0x3
	global_load_b128 v[25:28], v[200:201], off
	global_load_b128 v[29:32], v[200:201], off offset:16
	global_load_b128 v[33:36], v[160:161], off
	global_load_b128 v[37:40], v[160:161], off offset:16
	v_and_b32_e32 v144, 0xe0, v0
	v_mbcnt_lo_u32_b32 v160, -1, 0
	s_waitcnt vmcnt(36) lgkmcnt(0)
	v_wmma_f32_16x16x16_bf16 v[192:199], v[9:16], v[152:159], v[192:199]
	s_clause 0x1
	global_load_b128 v[9:12], v[162:163], off
	global_load_b128 v[13:16], v[162:163], off offset:16
	s_waitcnt vmcnt(36)
	v_wmma_f32_16x16x16_bf16 v[129:136], v[168:175], v[152:159], v[129:136]
	v_add_nc_u32_e32 v161, s31, v144
	ds_load_b128 v[144:147], v141 offset:14336
	ds_load_b128 v[148:151], v141 offset:15360
	v_xor_b32_e32 v152, 16, v160
	s_waitcnt vmcnt(0) lgkmcnt(0)
	s_barrier
	buffer_gl0_inv
	v_cmp_gt_i32_e32 vcc_lo, 32, v152
	v_cndmask_b32_e32 v152, v160, v152, vcc_lo
	v_wmma_f32_16x16x16_bf16 v[129:136], v[184:191], v[144:151], v[129:136]
	v_wmma_f32_16x16x16_bf16 v[192:199], v[176:183], v[144:151], v[192:199]
	s_delay_alu instid0(VALU_DEP_2) | instskip(SKIP_1) | instid1(VALU_DEP_3)
	v_mul_f32_e32 v170, s33, v135
	v_or_b32_e32 v153, v161, v138
	v_dual_mul_f32 v150, s33, v193 :: v_dual_mul_f32 v151, s33, v192
	s_delay_alu instid0(VALU_DEP_4) | instskip(SKIP_1) | instid1(VALU_DEP_4)
	v_dual_mul_f32 v148, s33, v195 :: v_dual_mul_f32 v149, s33, v194
	v_mul_f32_e32 v176, s33, v129
	v_or_b32_e32 v154, 2, v153
	v_or_b32_e32 v155, 4, v153
	;; [unrolled: 1-line block ×3, first 2 shown]
	v_cmp_gt_i32_e32 vcc_lo, s28, v153
	v_or_b32_e32 v157, 8, v153
	v_cmp_gt_i32_e64 s2, s28, v154
	v_or_b32_e32 v158, 10, v153
	v_cmp_gt_i32_e64 s3, s28, v155
	v_cndmask_b32_e32 v151, 0xff7fffff, v151, vcc_lo
	v_cmp_gt_i32_e64 s4, s28, v156
	v_cndmask_b32_e64 v150, 0xff7fffff, v150, s2
	v_or_b32_e32 v159, 12, v153
	v_or_b32_e32 v160, 14, v153
	v_dual_mul_f32 v146, s33, v197 :: v_dual_mul_f32 v147, s33, v196
	v_mul_f32_e32 v174, s33, v131
	v_cndmask_b32_e64 v149, 0xff7fffff, v149, s3
	v_cndmask_b32_e64 v148, 0xff7fffff, v148, s4
	v_max3_f32 v150, v151, 0xff7fffff, v150
	v_cmp_gt_i32_e64 s5, s28, v157
	v_cmp_gt_i32_e64 s6, s28, v158
	v_or_b32_e32 v161, 16, v153
	v_or_b32_e32 v162, 18, v153
	v_dual_mul_f32 v144, s33, v199 :: v_dual_mul_f32 v145, s33, v198
	v_mul_f32_e32 v172, s33, v133
	v_cndmask_b32_e64 v147, 0xff7fffff, v147, s5
	v_cndmask_b32_e64 v146, 0xff7fffff, v146, s6
	v_max3_f32 v148, v150, v149, v148
	v_cmp_gt_i32_e64 s7, s28, v159
	v_cmp_gt_i32_e64 s8, s28, v160
	v_or_b32_e32 v163, 20, v153
	v_or_b32_e32 v164, 22, v153
	v_mul_f32_e32 v175, s33, v130
	v_cndmask_b32_e64 v145, 0xff7fffff, v145, s7
	v_cndmask_b32_e64 v144, 0xff7fffff, v144, s8
	v_max3_f32 v146, v148, v147, v146
	v_cmp_gt_i32_e64 s9, s28, v161
	v_cmp_gt_i32_e64 s10, s28, v162
	v_or_b32_e32 v165, 24, v153
	v_or_b32_e32 v166, 26, v153
	;; [unrolled: 8-line block ×3, first 2 shown]
	v_mul_f32_e32 v171, s33, v134
	v_cndmask_b32_e64 v145, 0xff7fffff, v174, s11
	v_cndmask_b32_e64 v146, 0xff7fffff, v173, s12
	v_max3_f32 v144, v144, v147, v148
	v_cmp_gt_i32_e64 s13, s28, v165
	v_cmp_gt_i32_e64 s15, s28, v166
	v_mul_f32_e32 v169, s33, v136
	v_cmp_gt_i32_e64 s16, s28, v167
	v_max3_f32 v144, v144, v145, v146
	v_cndmask_b32_e64 v147, 0xff7fffff, v172, s13
	v_cndmask_b32_e64 v148, 0xff7fffff, v171, s15
	v_cmp_gt_i32_e64 s17, s28, v168
	v_cndmask_b32_e64 v145, 0xff7fffff, v170, s16
	v_lshlrev_b32_e32 v155, 2, v152
	s_delay_alu instid0(VALU_DEP_4) | instskip(NEXT) | instid1(VALU_DEP_4)
	v_max3_f32 v144, v144, v147, v148
	v_cndmask_b32_e64 v146, 0xff7fffff, v169, s17
	s_delay_alu instid0(VALU_DEP_1) | instskip(SKIP_3) | instid1(VALU_DEP_1)
	v_max3_f32 v144, v144, v145, v146
	ds_bpermute_b32 v145, v155, v144
	s_waitcnt lgkmcnt(0)
	v_max_f32_e32 v145, v145, v145
	v_max_f32_e32 v154, v144, v145
	s_delay_alu instid0(VALU_DEP_1)
	v_fma_f32 v144, s33, v192, -v154
	v_fma_f32 v146, s33, v194, -v154
	;; [unrolled: 1-line block ×5, first 2 shown]
	v_mul_f32_e32 v144, 0x3fb8aa3b, v144
	v_mul_f32_e32 v146, 0x3fb8aa3b, v146
	v_fma_f32 v152, s33, v199, -v154
	s_delay_alu instid0(VALU_DEP_4) | instskip(NEXT) | instid1(VALU_DEP_4)
	v_dual_mul_f32 v147, 0x3fb8aa3b, v147 :: v_dual_mul_f32 v148, 0x3fb8aa3b, v148
	v_exp_f32_e32 v144, v144
	s_delay_alu instid0(VALU_DEP_3) | instskip(NEXT) | instid1(VALU_DEP_2)
	v_exp_f32_e32 v149, v146
	v_mul_f32_e32 v152, 0x3fb8aa3b, v152
	s_delay_alu instid0(VALU_DEP_2)
	v_exp_f32_e32 v150, v147
	v_fma_f32 v132, s33, v132, -v154
	v_fma_f32 v151, s33, v198, -v154
	v_exp_f32_e32 v148, v148
	v_fma_f32 v136, s33, v136, -v154
	v_fma_f32 v129, s33, v129, -v154
	v_mul_f32_e32 v132, 0x3fb8aa3b, v132
	v_cndmask_b32_e32 v146, 0, v144, vcc_lo
	v_fma_f32 v144, s33, v197, -v154
	v_mul_f32_e32 v145, 0x3fb8aa3b, v145
	v_cndmask_b32_e64 v149, 0, v149, s3
	v_mul_f32_e32 v151, 0x3fb8aa3b, v151
	v_cndmask_b32_e64 v150, 0, v150, s4
	v_mul_f32_e32 v144, 0x3fb8aa3b, v144
	v_exp_f32_e32 v145, v145
	v_fma_f32 v130, s33, v130, -v154
	v_exp_f32_e32 v153, v151
	v_cndmask_b32_e64 v151, 0, v148, s5
	v_exp_f32_e32 v144, v144
	v_mul_f32_e32 v129, 0x3fb8aa3b, v129
	v_exp_f32_e32 v156, v152
	v_fma_f32 v131, s33, v131, -v154
	v_mul_f32_e32 v130, 0x3fb8aa3b, v130
	v_fma_f32 v133, s33, v133, -v154
	v_cndmask_b32_e64 v147, 0, v145, s2
	v_add_f32_e32 v145, 0, v146
	v_exp_f32_e32 v129, v129
	v_cndmask_b32_e64 v148, 0, v153, s7
	v_cndmask_b32_e64 v152, 0, v144, s6
	v_mul_f32_e32 v131, 0x3fb8aa3b, v131
	v_add_f32_e32 v145, v145, v147
	v_exp_f32_e32 v130, v130
	v_cndmask_b32_e64 v153, 0, v156, s8
	v_fma_f32 v134, s33, v134, -v154
	v_mul_f32_e32 v133, 0x3fb8aa3b, v133
	v_add_f32_e32 v145, v145, v149
	s_mov_b32 s2, exec_lo
	s_delay_alu instid0(VALU_DEP_3) | instskip(NEXT) | instid1(VALU_DEP_2)
	v_mul_f32_e32 v134, 0x3fb8aa3b, v134
	v_add_f32_e32 v145, v145, v150
	s_delay_alu instid0(VALU_DEP_1) | instskip(SKIP_2) | instid1(VALU_DEP_2)
	v_add_f32_e32 v144, v145, v151
	v_exp_f32_e32 v145, v131
	v_cndmask_b32_e64 v131, 0, v129, s9
	v_add_f32_e32 v144, v144, v152
	s_delay_alu instid0(VALU_DEP_1) | instskip(NEXT) | instid1(VALU_DEP_1)
	v_add_f32_e32 v144, v144, v148
	v_add_f32_e32 v129, v144, v153
	v_exp_f32_e32 v144, v132
	v_cndmask_b32_e64 v132, 0, v130, s10
	v_fma_f32 v130, s33, v135, -v154
	v_exp_f32_e32 v135, v133
	v_add_f32_e32 v129, v129, v131
	v_cndmask_b32_e64 v133, 0, v145, s11
	v_exp_f32_e32 v145, v134
	s_delay_alu instid0(VALU_DEP_2) | instskip(NEXT) | instid1(TRANS32_DEP_3)
	v_dual_mul_f32 v130, 0x3fb8aa3b, v130 :: v_dual_add_f32 v129, v129, v132
	v_cndmask_b32_e64 v134, 0, v144, s12
	v_mul_f32_e32 v144, 0x3fb8aa3b, v136
	s_delay_alu instid0(VALU_DEP_3) | instskip(NEXT) | instid1(TRANS32_DEP_3)
	v_exp_f32_e32 v130, v130
	v_cndmask_b32_e64 v135, 0, v135, s13
	v_add_f32_e32 v129, v129, v133
	s_delay_alu instid0(TRANS32_DEP_2) | instskip(SKIP_1) | instid1(VALU_DEP_2)
	v_cndmask_b32_e64 v136, 0, v145, s15
	v_exp_f32_e32 v145, v144
	v_add_f32_e32 v129, v129, v134
	s_waitcnt_depctr 0xfff
	v_cndmask_b32_e64 v144, 0, v130, s16
	v_add_f32_e32 v129, v129, v135
	v_cndmask_b32_e64 v145, 0, v145, s17
	s_delay_alu instid0(VALU_DEP_2) | instskip(NEXT) | instid1(VALU_DEP_1)
	v_add_f32_e32 v129, v129, v136
	v_add_f32_e32 v129, v129, v144
	s_delay_alu instid0(VALU_DEP_1)
	v_add_f32_e32 v129, v129, v145
	ds_bpermute_b32 v130, v155, v129
	v_cmpx_gt_u32_e32 16, v143
	s_cbranch_execz .LBB593_12
; %bb.11:
	v_mul_u32_u24_e32 v143, 0x44, v140
	s_delay_alu instid0(VALU_DEP_1) | instskip(SKIP_1) | instid1(VALU_DEP_1)
	v_lshl_add_u32 v143, v142, 2, v143
	s_waitcnt lgkmcnt(0)
	v_dual_add_f32 v129, v129, v130 :: v_dual_add_nc_u32 v130, 0x4000, v143
	ds_store_2addr_b32 v130, v154, v129 offset1:136
.LBB593_12:
	s_or_b32 exec_lo, exec_lo, s2
	v_lshlrev_b32_e32 v129, 2, v142
	s_waitcnt lgkmcnt(0)
	s_barrier
	buffer_gl0_inv
	v_cmp_eq_u32_e64 s2, 1, v140
	v_add_nc_u32_e32 v162, 0x4000, v129
	ds_load_2addr_b32 v[142:143], v162 offset1:17
	ds_load_2addr_b32 v[154:155], v162 offset0:34 offset1:51
	ds_load_2addr_b32 v[156:157], v162 offset0:68 offset1:85
	ds_load_2addr_b32 v[158:159], v162 offset0:102 offset1:119
	ds_load_2addr_b32 v[160:161], v162 offset0:136 offset1:153
	s_waitcnt lgkmcnt(4)
	v_max3_f32 v129, v142, 0xff7fffff, v143
	s_waitcnt lgkmcnt(3)
	s_delay_alu instid0(VALU_DEP_1) | instskip(SKIP_1) | instid1(VALU_DEP_1)
	v_max3_f32 v129, v129, v154, v155
	s_waitcnt lgkmcnt(2)
	v_max3_f32 v129, v129, v156, v157
	s_waitcnt lgkmcnt(1)
	s_delay_alu instid0(VALU_DEP_1) | instskip(NEXT) | instid1(VALU_DEP_1)
	v_max3_f32 v129, v129, v158, v159
	v_sub_f32_e32 v163, v143, v129
	v_sub_f32_e32 v130, v142, v129
	ds_load_2addr_b32 v[142:143], v162 offset0:170 offset1:187
	v_sub_f32_e32 v156, v156, v129
	v_dual_sub_f32 v154, v154, v129 :: v_dual_mul_f32 v163, 0x3fb8aa3b, v163
	v_mul_f32_e32 v130, 0x3fb8aa3b, v130
	s_delay_alu instid0(VALU_DEP_3) | instskip(NEXT) | instid1(VALU_DEP_3)
	v_dual_sub_f32 v158, v158, v129 :: v_dual_mul_f32 v167, 0x3fb8aa3b, v156
	v_mul_f32_e32 v165, 0x3fb8aa3b, v154
	s_delay_alu instid0(VALU_DEP_4) | instskip(NEXT) | instid1(VALU_DEP_3)
	v_exp_f32_e32 v163, v163
	v_exp_f32_e32 v164, v130
	v_sub_f32_e32 v130, v155, v129
	ds_load_2addr_b32 v[154:155], v162 offset0:204 offset1:221
	v_mul_f32_e32 v158, 0x3fb8aa3b, v158
	v_exp_f32_e32 v165, v165
	v_mul_f32_e32 v166, 0x3fb8aa3b, v130
	s_waitcnt lgkmcnt(2)
	v_fma_f32 v130, v164, v160, 0
	v_sub_f32_e32 v160, v157, v129
	s_delay_alu instid0(VALU_DEP_3)
	v_exp_f32_e32 v166, v166
	ds_load_2addr_b32 v[156:157], v162 offset0:238 offset1:255
	s_waitcnt lgkmcnt(0)
	v_fmac_f32_e32 v130, v163, v161
	v_mul_f32_e32 v160, 0x3fb8aa3b, v160
	v_exp_f32_e32 v161, v167
	s_barrier
	buffer_gl0_inv
	v_fmac_f32_e32 v130, v165, v142
	v_sub_f32_e32 v142, v159, v129
	v_exp_f32_e32 v159, v160
	s_delay_alu instid0(VALU_DEP_2) | instskip(NEXT) | instid1(VALU_DEP_2)
	v_fmac_f32_e32 v130, v166, v143
	v_mul_f32_e32 v142, 0x3fb8aa3b, v142
	v_exp_f32_e32 v143, v158
	s_delay_alu instid0(VALU_DEP_2) | instskip(NEXT) | instid1(VALU_DEP_2)
	v_fmac_f32_e32 v130, v161, v154
	v_exp_f32_e32 v142, v142
	s_delay_alu instid0(TRANS32_DEP_3) | instid1(VALU_DEP_1)
	v_fmac_f32_e32 v130, v159, v155
	s_waitcnt_depctr 0xfff
	v_fmac_f32_e32 v130, v143, v156
	s_delay_alu instid0(VALU_DEP_1) | instskip(NEXT) | instid1(VALU_DEP_1)
	v_fmac_f32_e32 v130, v142, v157
	v_add_f32_e32 v154, 0x358637bd, v130
	s_delay_alu instid0(VALU_DEP_1) | instskip(SKIP_1) | instid1(VALU_DEP_2)
	v_div_scale_f32 v155, null, v154, v154, 1.0
	v_div_scale_f32 v158, vcc_lo, 1.0, v154, 1.0
	v_rcp_f32_e32 v156, v155
	s_waitcnt_depctr 0xfff
	v_fma_f32 v157, -v155, v156, 1.0
	s_delay_alu instid0(VALU_DEP_1) | instskip(SKIP_2) | instid1(VALU_DEP_3)
	v_fmac_f32_e32 v156, v157, v156
	v_cndmask_b32_e64 v157, v164, v163, s2
	v_cmp_eq_u32_e64 s2, 2, v140
	v_mul_f32_e32 v160, v158, v156
	s_delay_alu instid0(VALU_DEP_2) | instskip(SKIP_1) | instid1(VALU_DEP_3)
	v_cndmask_b32_e64 v157, v157, v165, s2
	v_cmp_eq_u32_e64 s2, 3, v140
	v_fma_f32 v162, -v155, v160, v158
	s_delay_alu instid0(VALU_DEP_2) | instskip(SKIP_1) | instid1(VALU_DEP_3)
	v_cndmask_b32_e64 v157, v157, v166, s2
	v_cmp_eq_u32_e64 s2, 4, v140
	v_fmac_f32_e32 v160, v162, v156
	s_delay_alu instid0(VALU_DEP_2) | instskip(NEXT) | instid1(VALU_DEP_2)
	v_cndmask_b32_e64 v157, v157, v161, s2
	v_fma_f32 v155, -v155, v160, v158
	v_cmp_eq_u32_e64 s2, 5, v140
	s_delay_alu instid0(VALU_DEP_2) | instskip(NEXT) | instid1(VALU_DEP_2)
	v_div_fmas_f32 v155, v155, v156, v160
	v_cndmask_b32_e64 v157, v157, v159, s2
	v_cmp_eq_u32_e32 vcc_lo, 6, v140
	s_delay_alu instid0(VALU_DEP_3) | instskip(NEXT) | instid1(VALU_DEP_3)
	v_div_fixup_f32 v154, v155, v154, 1.0
	v_cndmask_b32_e32 v143, v157, v143, vcc_lo
	v_cmp_eq_u32_e32 vcc_lo, 7, v140
	s_delay_alu instid0(VALU_DEP_2) | instskip(NEXT) | instid1(VALU_DEP_1)
	v_cndmask_b32_e32 v142, v143, v142, vcc_lo
	v_mul_f32_e32 v142, v142, v154
	s_delay_alu instid0(VALU_DEP_1)
	v_mul_f32_e32 v154, v142, v146
	v_mul_f32_e32 v146, v142, v153
	;; [unrolled: 1-line block ×5, first 2 shown]
	v_and_b32_e32 v143, 0x7f800000, v154
	v_mul_f32_e32 v153, v142, v150
	v_mul_f32_e32 v150, v142, v149
	;; [unrolled: 1-line block ×3, first 2 shown]
	s_delay_alu instid0(VALU_DEP_4) | instskip(SKIP_1) | instid1(SALU_CYCLE_1)
	v_cmp_ne_u32_e32 vcc_lo, 0x7f800000, v143
                                        ; implicit-def: $vgpr143
	s_and_saveexec_b32 s2, vcc_lo
	s_xor_b32 s2, exec_lo, s2
; %bb.13:
	v_bfe_u32 v143, v154, 16, 1
	s_delay_alu instid0(VALU_DEP_1)
	v_add3_u32 v143, v154, v143, 0x7fff
                                        ; implicit-def: $vgpr154
; %bb.14:
	s_and_not1_saveexec_b32 s2, s2
; %bb.15:
	v_and_b32_e32 v143, 0xffff, v154
	v_or_b32_e32 v147, 0x10000, v154
	s_delay_alu instid0(VALU_DEP_2) | instskip(NEXT) | instid1(VALU_DEP_2)
	v_cmp_eq_u32_e32 vcc_lo, 0, v143
	v_cndmask_b32_e32 v143, v147, v154, vcc_lo
; %bb.16:
	s_or_b32 exec_lo, exec_lo, s2
	v_and_b32_e32 v147, 0x7f800000, v149
	s_delay_alu instid0(VALU_DEP_1) | instskip(SKIP_1) | instid1(SALU_CYCLE_1)
	v_cmp_ne_u32_e32 vcc_lo, 0x7f800000, v147
                                        ; implicit-def: $vgpr147
	s_and_saveexec_b32 s2, vcc_lo
	s_xor_b32 s2, exec_lo, s2
; %bb.17:
	v_bfe_u32 v147, v149, 16, 1
	s_delay_alu instid0(VALU_DEP_1)
	v_add3_u32 v147, v149, v147, 0x7fff
                                        ; implicit-def: $vgpr149
; %bb.18:
	s_and_not1_saveexec_b32 s2, s2
; %bb.19:
	v_and_b32_e32 v147, 0xffff, v149
	v_or_b32_e32 v154, 0x10000, v149
	s_delay_alu instid0(VALU_DEP_2) | instskip(NEXT) | instid1(VALU_DEP_2)
	v_cmp_eq_u32_e32 vcc_lo, 0, v147
	v_cndmask_b32_e32 v147, v154, v149, vcc_lo
; %bb.20:
	s_or_b32 exec_lo, exec_lo, s2
	v_and_b32_e32 v149, 0x7f800000, v150
	s_delay_alu instid0(VALU_DEP_1) | instskip(SKIP_1) | instid1(SALU_CYCLE_1)
	v_cmp_ne_u32_e32 vcc_lo, 0x7f800000, v149
                                        ; implicit-def: $vgpr149
	s_and_saveexec_b32 s2, vcc_lo
	s_xor_b32 s2, exec_lo, s2
; %bb.21:
	v_bfe_u32 v149, v150, 16, 1
	s_delay_alu instid0(VALU_DEP_1)
	v_add3_u32 v149, v150, v149, 0x7fff
                                        ; implicit-def: $vgpr150
; %bb.22:
	s_and_not1_saveexec_b32 s2, s2
; %bb.23:
	v_and_b32_e32 v149, 0xffff, v150
	v_or_b32_e32 v154, 0x10000, v150
	s_delay_alu instid0(VALU_DEP_2) | instskip(NEXT) | instid1(VALU_DEP_2)
	v_cmp_eq_u32_e32 vcc_lo, 0, v149
	v_cndmask_b32_e32 v149, v154, v150, vcc_lo
; %bb.24:
	s_or_b32 exec_lo, exec_lo, s2
	v_and_b32_e32 v150, 0x7f800000, v153
	s_delay_alu instid0(VALU_DEP_1) | instskip(SKIP_1) | instid1(SALU_CYCLE_1)
	v_cmp_ne_u32_e32 vcc_lo, 0x7f800000, v150
                                        ; implicit-def: $vgpr150
	s_and_saveexec_b32 s2, vcc_lo
	s_xor_b32 s2, exec_lo, s2
; %bb.25:
	v_bfe_u32 v150, v153, 16, 1
	s_delay_alu instid0(VALU_DEP_1)
	v_add3_u32 v150, v153, v150, 0x7fff
                                        ; implicit-def: $vgpr153
; %bb.26:
	s_and_not1_saveexec_b32 s2, s2
; %bb.27:
	v_and_b32_e32 v150, 0xffff, v153
	v_or_b32_e32 v154, 0x10000, v153
	s_delay_alu instid0(VALU_DEP_2) | instskip(NEXT) | instid1(VALU_DEP_2)
	v_cmp_eq_u32_e32 vcc_lo, 0, v150
	v_cndmask_b32_e32 v150, v154, v153, vcc_lo
; %bb.28:
	s_or_b32 exec_lo, exec_lo, s2
	v_and_b32_e32 v153, 0x7f800000, v151
	s_delay_alu instid0(VALU_DEP_1) | instskip(SKIP_1) | instid1(SALU_CYCLE_1)
	v_cmp_ne_u32_e32 vcc_lo, 0x7f800000, v153
                                        ; implicit-def: $vgpr153
	s_and_saveexec_b32 s2, vcc_lo
	s_xor_b32 s2, exec_lo, s2
; %bb.29:
	v_bfe_u32 v153, v151, 16, 1
	s_delay_alu instid0(VALU_DEP_1)
	v_add3_u32 v153, v151, v153, 0x7fff
                                        ; implicit-def: $vgpr151
; %bb.30:
	s_and_not1_saveexec_b32 s2, s2
; %bb.31:
	v_and_b32_e32 v153, 0xffff, v151
	v_or_b32_e32 v154, 0x10000, v151
	s_delay_alu instid0(VALU_DEP_2) | instskip(NEXT) | instid1(VALU_DEP_2)
	v_cmp_eq_u32_e32 vcc_lo, 0, v153
	v_cndmask_b32_e32 v153, v154, v151, vcc_lo
; %bb.32:
	s_or_b32 exec_lo, exec_lo, s2
	v_and_b32_e32 v151, 0x7f800000, v152
	s_delay_alu instid0(VALU_DEP_1) | instskip(SKIP_1) | instid1(SALU_CYCLE_1)
	v_cmp_ne_u32_e32 vcc_lo, 0x7f800000, v151
                                        ; implicit-def: $vgpr151
	s_and_saveexec_b32 s2, vcc_lo
	s_xor_b32 s2, exec_lo, s2
; %bb.33:
	v_bfe_u32 v151, v152, 16, 1
	s_delay_alu instid0(VALU_DEP_1)
	v_add3_u32 v151, v152, v151, 0x7fff
                                        ; implicit-def: $vgpr152
; %bb.34:
	s_and_not1_saveexec_b32 s2, s2
; %bb.35:
	v_and_b32_e32 v151, 0xffff, v152
	v_or_b32_e32 v154, 0x10000, v152
	s_delay_alu instid0(VALU_DEP_2) | instskip(NEXT) | instid1(VALU_DEP_2)
	v_cmp_eq_u32_e32 vcc_lo, 0, v151
	v_cndmask_b32_e32 v151, v154, v152, vcc_lo
; %bb.36:
	s_or_b32 exec_lo, exec_lo, s2
	v_and_b32_e32 v152, 0x7f800000, v148
	s_delay_alu instid0(VALU_DEP_1) | instskip(SKIP_1) | instid1(SALU_CYCLE_1)
	v_cmp_ne_u32_e32 vcc_lo, 0x7f800000, v152
                                        ; implicit-def: $vgpr152
	s_and_saveexec_b32 s2, vcc_lo
	s_xor_b32 s2, exec_lo, s2
; %bb.37:
	v_bfe_u32 v152, v148, 16, 1
	s_delay_alu instid0(VALU_DEP_1)
	v_add3_u32 v152, v148, v152, 0x7fff
                                        ; implicit-def: $vgpr148
; %bb.38:
	s_and_not1_saveexec_b32 s2, s2
; %bb.39:
	v_and_b32_e32 v152, 0xffff, v148
	v_or_b32_e32 v154, 0x10000, v148
	s_delay_alu instid0(VALU_DEP_2) | instskip(NEXT) | instid1(VALU_DEP_2)
	v_cmp_eq_u32_e32 vcc_lo, 0, v152
	v_cndmask_b32_e32 v152, v154, v148, vcc_lo
; %bb.40:
	s_or_b32 exec_lo, exec_lo, s2
	v_and_b32_e32 v148, 0x7f800000, v146
	s_delay_alu instid0(VALU_DEP_1) | instskip(SKIP_1) | instid1(SALU_CYCLE_1)
	v_cmp_ne_u32_e32 vcc_lo, 0x7f800000, v148
                                        ; implicit-def: $vgpr148
	s_and_saveexec_b32 s2, vcc_lo
	s_xor_b32 s2, exec_lo, s2
; %bb.41:
	v_bfe_u32 v148, v146, 16, 1
	s_delay_alu instid0(VALU_DEP_1)
	v_add3_u32 v148, v146, v148, 0x7fff
                                        ; implicit-def: $vgpr146
; %bb.42:
	s_and_not1_saveexec_b32 s2, s2
; %bb.43:
	v_and_b32_e32 v148, 0xffff, v146
	v_or_b32_e32 v154, 0x10000, v146
	s_delay_alu instid0(VALU_DEP_2) | instskip(NEXT) | instid1(VALU_DEP_2)
	v_cmp_eq_u32_e32 vcc_lo, 0, v148
	v_cndmask_b32_e32 v148, v154, v146, vcc_lo
; %bb.44:
	s_or_b32 exec_lo, exec_lo, s2
	s_load_b64 s[34:35], s[0:1], 0x94
	v_lshlrev_b32_e32 v146, 4, v138
	s_delay_alu instid0(VALU_DEP_2)
	v_perm_b32 v152, v148, v152, 0x7060302
	v_lshlrev_b32_e32 v148, 11, v140
	v_perm_b32 v150, v150, v149, 0x7060302
	v_perm_b32 v149, v147, v143, 0x7060302
	v_mul_f32_e32 v143, v142, v145
	v_mul_f32_e32 v147, v142, v131
	v_perm_b32 v151, v151, v153, 0x7060302
	v_or3_b32 v131, v146, v148, v141
	v_mul_f32_e32 v144, v142, v144
	v_mul_f32_e32 v136, v142, v136
	v_dual_mul_f32 v145, v142, v134 :: v_dual_and_b32 v148, 0x7f800000, v147
	v_mul_f32_e32 v135, v142, v135
	v_mul_f32_e32 v146, v142, v133
	;; [unrolled: 1-line block ×3, first 2 shown]
	s_mov_b32 s2, exec_lo
	ds_store_b128 v131, v[149:152]
                                        ; implicit-def: $vgpr132
	v_cmpx_ne_u32_e32 0x7f800000, v148
	s_xor_b32 s2, exec_lo, s2
; %bb.45:
	v_bfe_u32 v132, v147, 16, 1
	s_delay_alu instid0(VALU_DEP_1)
	v_add3_u32 v132, v147, v132, 0x7fff
                                        ; implicit-def: $vgpr147
; %bb.46:
	s_and_not1_saveexec_b32 s2, s2
; %bb.47:
	v_and_b32_e32 v132, 0xffff, v147
	v_or_b32_e32 v133, 0x10000, v147
	s_delay_alu instid0(VALU_DEP_2) | instskip(NEXT) | instid1(VALU_DEP_2)
	v_cmp_eq_u32_e32 vcc_lo, 0, v132
	v_cndmask_b32_e32 v132, v133, v147, vcc_lo
; %bb.48:
	s_or_b32 exec_lo, exec_lo, s2
	v_and_b32_e32 v133, 0x7f800000, v134
	s_delay_alu instid0(VALU_DEP_1) | instskip(SKIP_1) | instid1(SALU_CYCLE_1)
	v_cmp_ne_u32_e32 vcc_lo, 0x7f800000, v133
                                        ; implicit-def: $vgpr133
	s_and_saveexec_b32 s2, vcc_lo
	s_xor_b32 s2, exec_lo, s2
; %bb.49:
	v_bfe_u32 v133, v134, 16, 1
	s_delay_alu instid0(VALU_DEP_1)
	v_add3_u32 v133, v134, v133, 0x7fff
                                        ; implicit-def: $vgpr134
; %bb.50:
	s_and_not1_saveexec_b32 s2, s2
; %bb.51:
	v_and_b32_e32 v133, 0xffff, v134
	v_or_b32_e32 v142, 0x10000, v134
	s_delay_alu instid0(VALU_DEP_2) | instskip(NEXT) | instid1(VALU_DEP_2)
	v_cmp_eq_u32_e32 vcc_lo, 0, v133
	v_cndmask_b32_e32 v133, v142, v134, vcc_lo
; %bb.52:
	s_or_b32 exec_lo, exec_lo, s2
	v_and_b32_e32 v134, 0x7f800000, v146
	s_delay_alu instid0(VALU_DEP_1) | instskip(SKIP_1) | instid1(SALU_CYCLE_1)
	v_cmp_ne_u32_e32 vcc_lo, 0x7f800000, v134
                                        ; implicit-def: $vgpr134
	s_and_saveexec_b32 s2, vcc_lo
	s_xor_b32 s2, exec_lo, s2
; %bb.53:
	v_bfe_u32 v134, v146, 16, 1
	s_delay_alu instid0(VALU_DEP_1)
	v_add3_u32 v134, v146, v134, 0x7fff
                                        ; implicit-def: $vgpr146
; %bb.54:
	s_and_not1_saveexec_b32 s2, s2
; %bb.55:
	v_and_b32_e32 v134, 0xffff, v146
	v_or_b32_e32 v142, 0x10000, v146
	s_delay_alu instid0(VALU_DEP_2) | instskip(NEXT) | instid1(VALU_DEP_2)
	v_cmp_eq_u32_e32 vcc_lo, 0, v134
	v_cndmask_b32_e32 v134, v142, v146, vcc_lo
; %bb.56:
	s_or_b32 exec_lo, exec_lo, s2
	v_and_b32_e32 v142, 0x7f800000, v145
	s_delay_alu instid0(VALU_DEP_1) | instskip(SKIP_1) | instid1(SALU_CYCLE_1)
	v_cmp_ne_u32_e32 vcc_lo, 0x7f800000, v142
                                        ; implicit-def: $vgpr142
	s_and_saveexec_b32 s2, vcc_lo
	s_xor_b32 s2, exec_lo, s2
; %bb.57:
	v_bfe_u32 v142, v145, 16, 1
	s_delay_alu instid0(VALU_DEP_1)
	v_add3_u32 v142, v145, v142, 0x7fff
                                        ; implicit-def: $vgpr145
; %bb.58:
	s_and_not1_saveexec_b32 s2, s2
; %bb.59:
	v_and_b32_e32 v142, 0xffff, v145
	v_or_b32_e32 v146, 0x10000, v145
	s_delay_alu instid0(VALU_DEP_2) | instskip(NEXT) | instid1(VALU_DEP_2)
	v_cmp_eq_u32_e32 vcc_lo, 0, v142
	v_cndmask_b32_e32 v142, v146, v145, vcc_lo
; %bb.60:
	s_or_b32 exec_lo, exec_lo, s2
	v_and_b32_e32 v145, 0x7f800000, v135
	s_delay_alu instid0(VALU_DEP_1) | instskip(SKIP_1) | instid1(SALU_CYCLE_1)
	v_cmp_ne_u32_e32 vcc_lo, 0x7f800000, v145
                                        ; implicit-def: $vgpr145
	s_and_saveexec_b32 s2, vcc_lo
	s_xor_b32 s2, exec_lo, s2
; %bb.61:
	v_bfe_u32 v145, v135, 16, 1
	s_delay_alu instid0(VALU_DEP_1)
	v_add3_u32 v145, v135, v145, 0x7fff
                                        ; implicit-def: $vgpr135
; %bb.62:
	s_and_not1_saveexec_b32 s2, s2
; %bb.63:
	v_and_b32_e32 v145, 0xffff, v135
	v_or_b32_e32 v146, 0x10000, v135
	s_delay_alu instid0(VALU_DEP_2) | instskip(NEXT) | instid1(VALU_DEP_2)
	v_cmp_eq_u32_e32 vcc_lo, 0, v145
	v_cndmask_b32_e32 v145, v146, v135, vcc_lo
; %bb.64:
	s_or_b32 exec_lo, exec_lo, s2
	v_and_b32_e32 v135, 0x7f800000, v136
	s_delay_alu instid0(VALU_DEP_1) | instskip(SKIP_1) | instid1(SALU_CYCLE_1)
	v_cmp_ne_u32_e32 vcc_lo, 0x7f800000, v135
                                        ; implicit-def: $vgpr135
	s_and_saveexec_b32 s2, vcc_lo
	s_xor_b32 s2, exec_lo, s2
; %bb.65:
	v_bfe_u32 v135, v136, 16, 1
	s_delay_alu instid0(VALU_DEP_1)
	v_add3_u32 v135, v136, v135, 0x7fff
                                        ; implicit-def: $vgpr136
; %bb.66:
	s_and_not1_saveexec_b32 s2, s2
; %bb.67:
	v_and_b32_e32 v135, 0xffff, v136
	v_or_b32_e32 v146, 0x10000, v136
	s_delay_alu instid0(VALU_DEP_2) | instskip(NEXT) | instid1(VALU_DEP_2)
	v_cmp_eq_u32_e32 vcc_lo, 0, v135
	v_cndmask_b32_e32 v135, v146, v136, vcc_lo
; %bb.68:
	s_or_b32 exec_lo, exec_lo, s2
	v_and_b32_e32 v136, 0x7f800000, v144
	s_delay_alu instid0(VALU_DEP_1) | instskip(SKIP_1) | instid1(SALU_CYCLE_1)
	v_cmp_ne_u32_e32 vcc_lo, 0x7f800000, v136
                                        ; implicit-def: $vgpr136
	s_and_saveexec_b32 s2, vcc_lo
	s_xor_b32 s2, exec_lo, s2
; %bb.69:
	v_bfe_u32 v136, v144, 16, 1
	s_delay_alu instid0(VALU_DEP_1)
	v_add3_u32 v136, v144, v136, 0x7fff
                                        ; implicit-def: $vgpr144
; %bb.70:
	s_and_not1_saveexec_b32 s2, s2
; %bb.71:
	v_and_b32_e32 v136, 0xffff, v144
	v_or_b32_e32 v146, 0x10000, v144
	s_delay_alu instid0(VALU_DEP_2) | instskip(NEXT) | instid1(VALU_DEP_2)
	v_cmp_eq_u32_e32 vcc_lo, 0, v136
	v_cndmask_b32_e32 v136, v146, v144, vcc_lo
; %bb.72:
	s_or_b32 exec_lo, exec_lo, s2
	v_and_b32_e32 v144, 0x7f800000, v143
	s_delay_alu instid0(VALU_DEP_1) | instskip(SKIP_1) | instid1(SALU_CYCLE_1)
	v_cmp_ne_u32_e32 vcc_lo, 0x7f800000, v144
                                        ; implicit-def: $vgpr144
	s_and_saveexec_b32 s2, vcc_lo
	s_xor_b32 s2, exec_lo, s2
; %bb.73:
	v_bfe_u32 v144, v143, 16, 1
	s_delay_alu instid0(VALU_DEP_1)
	v_add3_u32 v144, v143, v144, 0x7fff
                                        ; implicit-def: $vgpr143
; %bb.74:
	s_and_not1_saveexec_b32 s2, s2
; %bb.75:
	v_and_b32_e32 v144, 0xffff, v143
	v_or_b32_e32 v146, 0x10000, v143
	s_delay_alu instid0(VALU_DEP_2) | instskip(NEXT) | instid1(VALU_DEP_2)
	v_cmp_eq_u32_e32 vcc_lo, 0, v144
	v_cndmask_b32_e32 v144, v146, v143, vcc_lo
; %bb.76:
	s_or_b32 exec_lo, exec_lo, s2
	s_delay_alu instid0(VALU_DEP_1)
	v_perm_b32 v136, v144, v136, 0x7060302
	v_perm_b32 v135, v135, v145, 0x7060302
	;; [unrolled: 1-line block ×4, first 2 shown]
	v_lshl_or_b32 v144, v140, 11, v141
	ds_store_b128 v131, v[133:136] offset:1024
	s_waitcnt lgkmcnt(0)
	s_barrier
	buffer_gl0_inv
	ds_load_b128 v[132:135], v144
	ds_load_b128 v[146:149], v144 offset:16
	s_waitcnt lgkmcnt(1)
	v_lshrrev_b32_e32 v159, 16, v134
	v_lshlrev_b32_e32 v142, 2, v138
	v_lshrrev_b32_e32 v136, 16, v132
	v_lshrrev_b32_e32 v158, 16, v133
	s_waitcnt lgkmcnt(0)
	v_lshrrev_b32_e32 v154, 16, v146
	v_lshrrev_b32_e32 v160, 16, v147
	v_or_b32_e32 v143, 1, v142
	v_lshrrev_b32_e32 v162, 16, v148
	v_lshrrev_b32_e32 v163, 16, v149
	v_lshrrev_b32_e32 v161, 16, v135
	s_delay_alu instid0(VALU_DEP_4)
	v_cmp_eq_u32_e64 s6, 1, v143
	v_cmp_eq_u32_e64 s5, 2, v143
	;; [unrolled: 1-line block ×4, first 2 shown]
	v_cmp_eq_u32_e32 vcc_lo, 5, v143
	v_cndmask_b32_e64 v151, v132, v136, s6
	v_cndmask_b32_e64 v152, v146, v154, s6
	v_cmp_eq_u32_e64 s3, 6, v143
	v_cmp_eq_u32_e64 s18, 7, v143
	s_delay_alu instid0(VALU_DEP_4) | instskip(NEXT) | instid1(VALU_DEP_4)
	v_cndmask_b32_e64 v151, v151, v133, s5
	v_cndmask_b32_e64 v152, v152, v147, s5
	s_delay_alu instid0(VALU_DEP_2) | instskip(NEXT) | instid1(VALU_DEP_2)
	v_cndmask_b32_e64 v151, v151, v158, s4
	v_cndmask_b32_e64 v152, v152, v160, s4
	s_delay_alu instid0(VALU_DEP_2) | instskip(NEXT) | instid1(VALU_DEP_2)
	v_cndmask_b32_e64 v151, v151, v134, s2
	v_cndmask_b32_e64 v152, v152, v148, s2
	s_delay_alu instid0(VALU_DEP_2)
	v_cndmask_b32_e32 v151, v151, v159, vcc_lo
	v_cmp_eq_u32_e64 s11, 1, v142
	v_cmp_eq_u32_e64 s10, 2, v142
	v_cmp_eq_u32_e64 s15, 3, v142
	v_or_b32_e32 v140, 2, v142
	v_cmp_eq_u32_e64 s16, 4, v142
	v_cndmask_b32_e64 v150, v146, v154, s11
	v_cndmask_b32_e64 v145, v132, v136, s11
	v_cmp_eq_u32_e64 s12, 5, v142
	v_cmp_eq_u32_e64 s7, 1, v140
	;; [unrolled: 1-line block ×3, first 2 shown]
	v_cndmask_b32_e64 v150, v150, v147, s10
	v_cndmask_b32_e64 v145, v145, v133, s10
	v_cmp_eq_u32_e64 s9, 2, v140
	v_cndmask_b32_e64 v153, v132, v136, s7
	v_cmp_eq_u32_e64 s8, 7, v142
	v_cndmask_b32_e64 v150, v150, v160, s15
	v_cndmask_b32_e64 v145, v145, v158, s15
	v_cmp_eq_u32_e64 s17, 3, v140
	v_cndmask_b32_e64 v153, v153, v133, s9
	v_cndmask_b32_e64 v151, v151, v135, s3
	v_cndmask_b32_e64 v150, v150, v148, s16
	v_cndmask_b32_e64 v145, v145, v134, s16
	v_cmp_eq_u32_e64 s19, 4, v140
	v_cndmask_b32_e64 v153, v153, v158, s17
	v_cndmask_b32_e64 v166, v151, v161, s18
	;; [unrolled: 1-line block ×4, first 2 shown]
	v_cndmask_b32_e32 v155, v152, v162, vcc_lo
	v_cndmask_b32_e64 v157, v153, v134, s19
	v_cmp_eq_u32_e64 s21, 5, v140
	v_cndmask_b32_e64 v150, v150, v149, s13
	v_cndmask_b32_e64 v145, v145, v135, s13
	v_cmp_eq_u32_e64 s24, 6, v140
	v_cmp_eq_u32_e64 s26, 7, v140
	v_cndmask_b32_e64 v167, v157, v159, s21
	v_cndmask_b32_e64 v165, v150, v163, s8
	;; [unrolled: 1-line block ×4, first 2 shown]
	v_or_b32_e32 v145, 3, v142
	s_delay_alu instid0(VALU_DEP_3)
	v_cndmask_b32_e64 v156, v150, v147, s9
	ds_load_b128 v[150:153], v144 offset:1024
	v_cmp_eq_u32_e64 s20, 1, v145
	v_cmp_eq_u32_e64 s22, 2, v145
	;; [unrolled: 1-line block ×3, first 2 shown]
	v_cndmask_b32_e64 v156, v156, v160, s17
	v_cmp_eq_u32_e64 s25, 4, v145
	v_cndmask_b32_e64 v132, v132, v136, s20
	v_cndmask_b32_e64 v136, v155, v149, s3
	;; [unrolled: 1-line block ×4, first 2 shown]
	ds_load_b128 v[154:157], v144 offset:1040
	v_cndmask_b32_e64 v132, v132, v133, s22
	v_cmp_eq_u32_e64 s27, 5, v145
	v_cndmask_b32_e64 v146, v146, v147, s22
	v_cmp_eq_u32_e64 s28, 6, v145
	v_cndmask_b32_e64 v133, v168, v162, s21
	v_cndmask_b32_e64 v132, v132, v158, s23
	;; [unrolled: 1-line block ×5, first 2 shown]
	s_waitcnt lgkmcnt(1)
	v_lshrrev_b32_e32 v158, 16, v150
	v_cndmask_b32_e64 v132, v132, v134, s25
	v_cndmask_b32_e64 v133, v133, v149, s24
	;; [unrolled: 1-line block ×6, first 2 shown]
	v_lshrrev_b32_e32 v159, 16, v151
	v_cndmask_b32_e64 v160, v150, v158, s6
	v_cndmask_b32_e64 v134, v134, v162, s27
	s_waitcnt lgkmcnt(0)
	v_lshrrev_b32_e32 v148, 16, v154
	v_cndmask_b32_e64 v146, v146, v151, s10
	v_cndmask_b32_e64 v132, v132, v135, s28
	v_cndmask_b32_e64 v133, v133, v163, s26
	v_cndmask_b32_e64 v134, v134, v149, s28
	v_cndmask_b32_e64 v162, v154, v148, s11
	v_cndmask_b32_e64 v135, v146, v159, s15
	v_cndmask_b32_e64 v146, v160, v151, s5
	v_lshrrev_b32_e32 v160, 16, v155
	s_delay_alu instid0(VALU_DEP_4) | instskip(SKIP_1) | instid1(VALU_DEP_4)
	v_cndmask_b32_e64 v149, v162, v155, s10
	v_cmp_eq_u32_e64 s10, 7, v145
	v_cndmask_b32_e64 v146, v146, v159, s4
	v_cndmask_b32_e64 v135, v135, v152, s16
	v_lshrrev_b32_e32 v162, 16, v152
	v_cndmask_b32_e64 v149, v149, v160, s15
	v_cndmask_b32_e64 v132, v132, v161, s10
	;; [unrolled: 1-line block ×6, first 2 shown]
	v_lshrrev_b32_e32 v163, 16, v156
	v_perm_b32 v135, v134, v132, 0x5040100
	v_cndmask_b32_e32 v132, v146, v162, vcc_lo
	v_cndmask_b32_e64 v146, v161, v153, s13
	v_lshrrev_b32_e32 v161, 16, v153
	v_cndmask_b32_e64 v149, v149, v163, s12
	v_perm_b32 v134, v133, v147, 0x5040100
	v_cndmask_b32_e64 v132, v132, v153, s3
	v_perm_b32 v133, v136, v166, 0x5040100
	v_cndmask_b32_e64 v136, v146, v161, s8
	v_cndmask_b32_e64 v146, v149, v157, s13
	;; [unrolled: 1-line block ×27, first 2 shown]
	v_cndmask_b32_e32 v148, v148, v163, vcc_lo
	v_lshrrev_b32_e32 v147, 16, v157
	v_cndmask_b32_e64 v132, v132, v153, s24
	v_cndmask_b32_e64 v149, v149, v153, s28
	;; [unrolled: 1-line block ×11, first 2 shown]
	v_perm_b32 v132, v165, v164, 0x5040100
	v_perm_b32 v149, v150, v149, 0x5040100
	;; [unrolled: 1-line block ×5, first 2 shown]
	s_lshl_b32 s7, s35, 4
	s_mov_b32 s2, exec_lo
	ds_store_b128 v131, v[132:135]
	ds_store_b128 v131, v[146:149] offset:1024
	v_cmpx_gt_u32_e32 16, v0
	s_cbranch_execz .LBB593_78
; %bb.77:
	v_or_b32_e32 v131, s29, v0
	s_load_b128 s[8:11], s[0:1], 0x58
	s_delay_alu instid0(VALU_DEP_1) | instskip(NEXT) | instid1(VALU_DEP_1)
	v_mad_u64_u32 v[132:133], null, s7, s30, v[131:132]
	v_mad_u64_u32 v[133:134], null, v132, s34, s[14:15]
	s_delay_alu instid0(VALU_DEP_1) | instskip(NEXT) | instid1(VALU_DEP_1)
	v_ashrrev_i32_e32 v134, 31, v133
	v_lshlrev_b64 v[131:132], 2, v[133:134]
	s_waitcnt lgkmcnt(0)
	s_delay_alu instid0(VALU_DEP_1) | instskip(NEXT) | instid1(VALU_DEP_2)
	v_add_co_u32 v133, vcc_lo, s10, v131
	v_add_co_ci_u32_e32 v134, vcc_lo, s11, v132, vcc_lo
	v_add_co_u32 v131, vcc_lo, s8, v131
	v_add_co_ci_u32_e32 v132, vcc_lo, s9, v132, vcc_lo
	global_store_b32 v[133:134], v129, off
	global_store_b32 v[131:132], v130, off
.LBB593_78:
	s_or_b32 exec_lo, exec_lo, s2
	s_waitcnt lgkmcnt(0)
	s_waitcnt_vscnt null, 0x0
	s_barrier
	buffer_gl0_inv
	ds_load_b128 v[146:149], v141
	ds_load_b128 v[150:153], v141 offset:16
	ds_load_b128 v[158:161], v141 offset:1040
	;; [unrolled: 1-line block ×3, first 2 shown]
	v_mov_b32_e32 v129, 0
	ds_load_b128 v[166:169], v141 offset:2064
	ds_load_b128 v[162:165], v141 offset:2048
	;; [unrolled: 1-line block ×6, first 2 shown]
	v_mov_b32_e32 v130, v129
	v_mov_b32_e32 v131, v129
	;; [unrolled: 1-line block ×7, first 2 shown]
	s_waitcnt lgkmcnt(8)
	s_delay_alu instid0(VALU_DEP_1)
	v_wmma_f32_16x16x16_bf16 v[129:136], v[121:128], v[146:153], v[129:136]
	ds_load_b128 v[125:128], v141 offset:5136
	ds_load_b128 v[121:124], v141 offset:5120
	s_waitcnt lgkmcnt(8)
	v_wmma_f32_16x16x16_bf16 v[129:136], v[113:120], v[154:161], v[129:136]
	ds_load_b128 v[117:120], v141 offset:6160
	ds_load_b128 v[113:116], v141 offset:6144
	s_waitcnt lgkmcnt(8)
	;; [unrolled: 4-line block ×8, first 2 shown]
	v_wmma_f32_16x16x16_bf16 v[129:136], v[65:72], v[97:104], v[129:136]
	s_waitcnt lgkmcnt(6)
	s_delay_alu instid0(VALU_DEP_1)
	v_wmma_f32_16x16x16_bf16 v[129:136], v[49:56], v[89:96], v[129:136]
	ds_load_b128 v[53:56], v141 offset:13328
	ds_load_b128 v[49:52], v141 offset:13312
	s_waitcnt lgkmcnt(6)
	v_wmma_f32_16x16x16_bf16 v[129:136], v[41:48], v[81:88], v[129:136]
	ds_load_b128 v[45:48], v141 offset:14352
	ds_load_b128 v[41:44], v141 offset:14336
	s_waitcnt lgkmcnt(6)
	;; [unrolled: 4-line block ×3, first 2 shown]
	v_wmma_f32_16x16x16_bf16 v[129:136], v[1:8], v[57:64], v[129:136]
	s_waitcnt lgkmcnt(4)
	s_delay_alu instid0(VALU_DEP_1) | instskip(SKIP_1) | instid1(VALU_DEP_1)
	v_wmma_f32_16x16x16_bf16 v[129:136], v[25:32], v[49:56], v[129:136]
	s_waitcnt lgkmcnt(2)
	v_wmma_f32_16x16x16_bf16 v[129:136], v[33:40], v[41:48], v[129:136]
	s_waitcnt lgkmcnt(0)
	s_delay_alu instid0(VALU_DEP_1) | instskip(NEXT) | instid1(VALU_DEP_1)
	v_wmma_f32_16x16x16_bf16 v[129:136], v[9:16], v[17:24], v[129:136]
	v_and_b32_e32 v1, 0x7f800000, v129
	s_delay_alu instid0(VALU_DEP_1) | instskip(SKIP_1) | instid1(SALU_CYCLE_1)
	v_cmp_ne_u32_e32 vcc_lo, 0x7f800000, v1
                                        ; implicit-def: $vgpr1
	s_and_saveexec_b32 s2, vcc_lo
	s_xor_b32 s2, exec_lo, s2
; %bb.79:
	v_bfe_u32 v1, v129, 16, 1
	s_delay_alu instid0(VALU_DEP_1)
	v_add3_u32 v1, v129, v1, 0x7fff
; %bb.80:
	s_and_not1_saveexec_b32 s2, s2
; %bb.81:
	v_and_b32_e32 v1, 0xffff, v129
	v_or_b32_e32 v2, 0x10000, v129
	s_delay_alu instid0(VALU_DEP_2) | instskip(NEXT) | instid1(VALU_DEP_2)
	v_cmp_eq_u32_e32 vcc_lo, 0, v1
	v_cndmask_b32_e32 v1, v2, v129, vcc_lo
; %bb.82:
	s_or_b32 exec_lo, exec_lo, s2
	v_and_b32_e32 v2, 0x7f800000, v130
	s_delay_alu instid0(VALU_DEP_1) | instskip(SKIP_1) | instid1(SALU_CYCLE_1)
	v_cmp_ne_u32_e32 vcc_lo, 0x7f800000, v2
                                        ; implicit-def: $vgpr2
	s_and_saveexec_b32 s2, vcc_lo
	s_xor_b32 s2, exec_lo, s2
; %bb.83:
	v_bfe_u32 v2, v130, 16, 1
	s_delay_alu instid0(VALU_DEP_1)
	v_add3_u32 v2, v130, v2, 0x7fff
; %bb.84:
	s_and_not1_saveexec_b32 s2, s2
; %bb.85:
	v_and_b32_e32 v2, 0xffff, v130
	v_or_b32_e32 v3, 0x10000, v130
	s_delay_alu instid0(VALU_DEP_2) | instskip(NEXT) | instid1(VALU_DEP_2)
	v_cmp_eq_u32_e32 vcc_lo, 0, v2
	v_cndmask_b32_e32 v2, v3, v130, vcc_lo
; %bb.86:
	s_or_b32 exec_lo, exec_lo, s2
	v_and_b32_e32 v3, 0x7f800000, v131
	s_delay_alu instid0(VALU_DEP_1) | instskip(SKIP_1) | instid1(SALU_CYCLE_1)
	v_cmp_ne_u32_e32 vcc_lo, 0x7f800000, v3
                                        ; implicit-def: $vgpr3
	s_and_saveexec_b32 s2, vcc_lo
	s_xor_b32 s2, exec_lo, s2
; %bb.87:
	v_bfe_u32 v3, v131, 16, 1
	s_delay_alu instid0(VALU_DEP_1)
	v_add3_u32 v3, v131, v3, 0x7fff
; %bb.88:
	s_and_not1_saveexec_b32 s2, s2
; %bb.89:
	v_and_b32_e32 v3, 0xffff, v131
	v_or_b32_e32 v4, 0x10000, v131
	s_delay_alu instid0(VALU_DEP_2) | instskip(NEXT) | instid1(VALU_DEP_2)
	v_cmp_eq_u32_e32 vcc_lo, 0, v3
	v_cndmask_b32_e32 v3, v4, v131, vcc_lo
; %bb.90:
	s_or_b32 exec_lo, exec_lo, s2
	v_and_b32_e32 v4, 0x7f800000, v132
	s_delay_alu instid0(VALU_DEP_1) | instskip(SKIP_1) | instid1(SALU_CYCLE_1)
	v_cmp_ne_u32_e32 vcc_lo, 0x7f800000, v4
                                        ; implicit-def: $vgpr4
	s_and_saveexec_b32 s2, vcc_lo
	s_xor_b32 s2, exec_lo, s2
; %bb.91:
	v_bfe_u32 v4, v132, 16, 1
	s_delay_alu instid0(VALU_DEP_1)
	v_add3_u32 v4, v132, v4, 0x7fff
; %bb.92:
	s_and_not1_saveexec_b32 s2, s2
; %bb.93:
	v_and_b32_e32 v4, 0xffff, v132
	v_or_b32_e32 v5, 0x10000, v132
	s_delay_alu instid0(VALU_DEP_2) | instskip(NEXT) | instid1(VALU_DEP_2)
	v_cmp_eq_u32_e32 vcc_lo, 0, v4
	v_cndmask_b32_e32 v4, v5, v132, vcc_lo
; %bb.94:
	s_or_b32 exec_lo, exec_lo, s2
	v_and_b32_e32 v5, 0x7f800000, v133
	s_delay_alu instid0(VALU_DEP_1) | instskip(SKIP_1) | instid1(SALU_CYCLE_1)
	v_cmp_ne_u32_e32 vcc_lo, 0x7f800000, v5
                                        ; implicit-def: $vgpr5
	s_and_saveexec_b32 s2, vcc_lo
	s_xor_b32 s2, exec_lo, s2
; %bb.95:
	v_bfe_u32 v5, v133, 16, 1
	s_delay_alu instid0(VALU_DEP_1)
	v_add3_u32 v5, v133, v5, 0x7fff
; %bb.96:
	s_and_not1_saveexec_b32 s2, s2
; %bb.97:
	v_and_b32_e32 v5, 0xffff, v133
	v_or_b32_e32 v6, 0x10000, v133
	s_delay_alu instid0(VALU_DEP_2) | instskip(NEXT) | instid1(VALU_DEP_2)
	v_cmp_eq_u32_e32 vcc_lo, 0, v5
	v_cndmask_b32_e32 v5, v6, v133, vcc_lo
; %bb.98:
	s_or_b32 exec_lo, exec_lo, s2
	v_and_b32_e32 v6, 0x7f800000, v134
	s_delay_alu instid0(VALU_DEP_1) | instskip(SKIP_1) | instid1(SALU_CYCLE_1)
	v_cmp_ne_u32_e32 vcc_lo, 0x7f800000, v6
                                        ; implicit-def: $vgpr6
	s_and_saveexec_b32 s2, vcc_lo
	s_xor_b32 s2, exec_lo, s2
; %bb.99:
	v_bfe_u32 v6, v134, 16, 1
	s_delay_alu instid0(VALU_DEP_1)
	v_add3_u32 v6, v134, v6, 0x7fff
; %bb.100:
	s_and_not1_saveexec_b32 s2, s2
; %bb.101:
	v_and_b32_e32 v6, 0xffff, v134
	v_or_b32_e32 v7, 0x10000, v134
	s_delay_alu instid0(VALU_DEP_2) | instskip(NEXT) | instid1(VALU_DEP_2)
	v_cmp_eq_u32_e32 vcc_lo, 0, v6
	v_cndmask_b32_e32 v6, v7, v134, vcc_lo
; %bb.102:
	s_or_b32 exec_lo, exec_lo, s2
	v_and_b32_e32 v7, 0x7f800000, v135
	s_delay_alu instid0(VALU_DEP_1) | instskip(SKIP_1) | instid1(SALU_CYCLE_1)
	v_cmp_ne_u32_e32 vcc_lo, 0x7f800000, v7
                                        ; implicit-def: $vgpr7
	s_and_saveexec_b32 s2, vcc_lo
	s_xor_b32 s2, exec_lo, s2
; %bb.103:
	v_bfe_u32 v7, v135, 16, 1
	s_delay_alu instid0(VALU_DEP_1)
	v_add3_u32 v7, v135, v7, 0x7fff
; %bb.104:
	s_and_not1_saveexec_b32 s2, s2
; %bb.105:
	v_and_b32_e32 v7, 0xffff, v135
	v_or_b32_e32 v8, 0x10000, v135
	s_delay_alu instid0(VALU_DEP_2) | instskip(NEXT) | instid1(VALU_DEP_2)
	v_cmp_eq_u32_e32 vcc_lo, 0, v7
	v_cndmask_b32_e32 v7, v8, v135, vcc_lo
; %bb.106:
	s_or_b32 exec_lo, exec_lo, s2
	v_and_b32_e32 v8, 0x7f800000, v136
	s_delay_alu instid0(VALU_DEP_1) | instskip(SKIP_1) | instid1(SALU_CYCLE_1)
	v_cmp_ne_u32_e32 vcc_lo, 0x7f800000, v8
                                        ; implicit-def: $vgpr8
	s_and_saveexec_b32 s2, vcc_lo
	s_xor_b32 s2, exec_lo, s2
; %bb.107:
	v_bfe_u32 v8, v136, 16, 1
	s_delay_alu instid0(VALU_DEP_1)
	v_add3_u32 v8, v136, v8, 0x7fff
                                        ; implicit-def: $vgpr129_vgpr130_vgpr131_vgpr132_vgpr133_vgpr134_vgpr135_vgpr136
; %bb.108:
	s_and_not1_saveexec_b32 s2, s2
; %bb.109:
	v_and_b32_e32 v8, 0xffff, v136
	v_or_b32_e32 v9, 0x10000, v136
	s_delay_alu instid0(VALU_DEP_2) | instskip(NEXT) | instid1(VALU_DEP_2)
	v_cmp_eq_u32_e32 vcc_lo, 0, v8
	v_cndmask_b32_e32 v8, v9, v136, vcc_lo
; %bb.110:
	s_or_b32 exec_lo, exec_lo, s2
	s_delay_alu instid0(VALU_DEP_1)
	v_perm_b32 v7, v8, v7, 0x7060302
	v_perm_b32 v6, v6, v5, 0x7060302
	v_perm_b32 v5, v4, v3, 0x7060302
	v_perm_b32 v4, v2, v1, 0x7060302
	v_lshl_or_b32 v9, v138, 4, v144
	s_barrier
	buffer_gl0_inv
	v_cmp_eq_u32_e32 vcc_lo, 1, v142
	ds_store_b128 v9, v[4:7]
	s_waitcnt lgkmcnt(0)
	s_barrier
	buffer_gl0_inv
	ds_load_b128 v[1:4], v144
	ds_load_b128 v[5:8], v144 offset:16
	v_cmp_eq_u32_e64 s3, 2, v142
	v_cmp_eq_u32_e64 s2, 1, v143
	;; [unrolled: 1-line block ×5, first 2 shown]
	s_waitcnt lgkmcnt(1)
	v_lshrrev_b32_e32 v10, 16, v1
	s_waitcnt lgkmcnt(0)
	v_lshrrev_b32_e32 v14, 16, v5
	v_lshrrev_b32_e32 v15, 16, v6
	;; [unrolled: 1-line block ×4, first 2 shown]
	v_cndmask_b32_e64 v20, v1, v10, s2
	v_cndmask_b32_e32 v19, v5, v14, vcc_lo
	v_cndmask_b32_e64 v21, v5, v14, s2
	v_lshrrev_b32_e32 v16, 16, v7
	v_cmp_eq_u32_e64 s2, 1, v140
	v_lshrrev_b32_e32 v13, 16, v4
	v_cndmask_b32_e64 v19, v19, v6, s3
	v_lshrrev_b32_e32 v17, 16, v8
	s_delay_alu instid0(VALU_DEP_4) | instskip(SKIP_1) | instid1(VALU_DEP_4)
	v_cndmask_b32_e64 v22, v1, v10, s2
	v_cndmask_b32_e64 v23, v5, v14, s2
	;; [unrolled: 1-line block ×3, first 2 shown]
	v_cndmask_b32_e32 v18, v1, v10, vcc_lo
	v_cmp_eq_u32_e32 vcc_lo, 2, v143
	v_cmp_eq_u32_e64 s2, 2, v145
	v_cndmask_b32_e64 v22, v22, v2, s6
	v_cndmask_b32_e32 v20, v20, v2, vcc_lo
	v_cndmask_b32_e32 v21, v21, v6, vcc_lo
	v_cmp_eq_u32_e32 vcc_lo, 4, v142
	v_cndmask_b32_e32 v19, v19, v7, vcc_lo
	v_cndmask_b32_e64 v18, v18, v2, s3
	v_cmp_eq_u32_e64 s3, 3, v143
	s_delay_alu instid0(VALU_DEP_2) | instskip(NEXT) | instid1(VALU_DEP_2)
	v_cndmask_b32_e64 v18, v18, v11, s4
	v_cndmask_b32_e64 v21, v21, v15, s3
	v_cmp_eq_u32_e64 s4, 5, v142
	s_delay_alu instid0(VALU_DEP_3) | instskip(SKIP_1) | instid1(VALU_DEP_3)
	v_cndmask_b32_e32 v18, v18, v3, vcc_lo
	v_cmp_eq_u32_e32 vcc_lo, 4, v143
	v_cndmask_b32_e64 v19, v19, v16, s4
	s_delay_alu instid0(VALU_DEP_3) | instskip(SKIP_4) | instid1(VALU_DEP_3)
	v_cndmask_b32_e64 v18, v18, v12, s4
	v_cndmask_b32_e32 v21, v21, v7, vcc_lo
	v_cndmask_b32_e64 v20, v20, v11, s3
	v_cmp_eq_u32_e64 s3, 5, v143
	v_cmp_eq_u32_e64 s4, 6, v142
	v_cndmask_b32_e32 v20, v20, v3, vcc_lo
	s_delay_alu instid0(VALU_DEP_3) | instskip(SKIP_1) | instid1(VALU_DEP_4)
	v_cndmask_b32_e64 v21, v21, v16, s3
	v_cmp_eq_u32_e32 vcc_lo, 6, v143
	v_cndmask_b32_e64 v18, v18, v4, s4
	v_cndmask_b32_e64 v19, v19, v8, s4
	;; [unrolled: 1-line block ×3, first 2 shown]
	v_cmp_eq_u32_e64 s3, 1, v145
	v_cmp_eq_u32_e64 s4, 7, v142
	s_delay_alu instid0(VALU_DEP_3) | instskip(NEXT) | instid1(VALU_DEP_3)
	v_cndmask_b32_e32 v20, v20, v4, vcc_lo
	v_cndmask_b32_e64 v1, v1, v10, s3
	v_cndmask_b32_e64 v5, v5, v14, s3
	v_cmp_eq_u32_e64 s3, 3, v140
	v_cndmask_b32_e64 v14, v23, v6, s6
	v_cmp_eq_u32_e64 s6, 3, v145
	v_cndmask_b32_e64 v1, v1, v2, s2
	v_cndmask_b32_e64 v2, v5, v6, s2
	v_cndmask_b32_e64 v10, v22, v11, s3
	v_cmp_eq_u32_e64 s2, 4, v140
	v_cndmask_b32_e64 v6, v14, v15, s3
	v_cndmask_b32_e64 v1, v1, v11, s6
	v_cmp_eq_u32_e64 s3, 4, v145
	v_cndmask_b32_e64 v2, v2, v15, s6
	v_cndmask_b32_e64 v5, v10, v3, s2
	;; [unrolled: 3-line block ×3, first 2 shown]
	v_cndmask_b32_e64 v2, v2, v7, s3
	v_cmp_eq_u32_e64 s2, 5, v145
	v_cndmask_b32_e64 v5, v5, v12, s6
	v_cmp_eq_u32_e64 s3, 6, v140
	;; [unrolled: 2-line block ×3, first 2 shown]
	v_cndmask_b32_e64 v1, v1, v12, s2
	v_cndmask_b32_e64 v2, v2, v16, s2
	;; [unrolled: 1-line block ×4, first 2 shown]
	v_cmp_eq_u32_e64 s2, 7, v145
	v_cndmask_b32_e64 v1, v1, v4, s6
	v_cndmask_b32_e64 v2, v2, v8, s6
	v_cmp_eq_u32_e64 s3, 7, v140
	v_cndmask_b32_e32 v4, v21, v8, vcc_lo
	v_cndmask_b32_e64 v18, v18, v13, s4
	v_cndmask_b32_e64 v20, v20, v13, s5
	;; [unrolled: 1-line block ×8, first 2 shown]
	s_mov_b32 s2, exec_lo
	v_perm_b32 v4, v2, v1, 0x5040100
	v_perm_b32 v3, v3, v5, 0x5040100
	;; [unrolled: 1-line block ×4, first 2 shown]
	ds_store_b128 v9, v[1:4]
	s_waitcnt lgkmcnt(0)
	s_barrier
	buffer_gl0_inv
	v_cmpx_gt_u32_e32 32, v0
	s_cbranch_execz .LBB593_2
; %bb.111:
	s_load_b64 s[0:1], s[0:1], 0x68
	v_lshlrev_b32_e32 v0, 10, v0
	s_lshl_b32 s4, s34, 7
	v_or_b32_e32 v23, s29, v138
	s_mul_i32 s2, s4, s30
	v_lshlrev_b32_e32 v1, 4, v139
	v_lshlrev_b32_e32 v2, 6, v138
	s_mul_i32 s2, s2, s7
	v_and_b32_e32 v0, 0x3800, v0
	v_mul_lo_u32 v8, v23, s4
	s_ashr_i32 s3, s2, 31
	v_or_b32_e32 v3, 2, v23
	s_lshl_b64 s[2:3], s[2:3], 1
	v_or3_b32 v27, v0, v1, v2
	v_or_b32_e32 v11, 4, v23
	v_or_b32_e32 v18, 6, v23
	v_mul_lo_u32 v10, v3, s4
	v_ashrrev_i32_e32 v9, 31, v8
	ds_load_b128 v[0:3], v27
	ds_load_b128 v[4:7], v27 offset:128
	v_mul_lo_u32 v12, v11, s4
	s_waitcnt lgkmcnt(0)
	s_add_u32 s2, s0, s2
	s_addc_u32 s3, s1, s3
	s_lshl_b32 s0, s14, 7
	v_lshlrev_b64 v[8:9], 1, v[8:9]
	s_ashr_i32 s1, s0, 31
	v_ashrrev_i32_e32 v11, 31, v10
	s_lshl_b64 s[0:1], s[0:1], 1
	v_ashrrev_i32_e32 v13, 31, v12
	s_add_u32 s0, s2, s0
	s_addc_u32 s1, s3, s1
	v_add_co_u32 v30, s0, s0, v137
	s_delay_alu instid0(VALU_DEP_1) | instskip(SKIP_1) | instid1(VALU_DEP_3)
	v_add_co_ci_u32_e64 v31, null, s1, 0, s0
	v_lshlrev_b64 v[16:17], 1, v[10:11]
	v_add_co_u32 v14, vcc_lo, v30, v8
	s_delay_alu instid0(VALU_DEP_3)
	v_add_co_ci_u32_e32 v15, vcc_lo, v31, v9, vcc_lo
	ds_load_b128 v[8:11], v27 offset:256
	v_mul_lo_u32 v18, v18, s4
	v_or_b32_e32 v19, 8, v23
	v_add_co_u32 v16, vcc_lo, v30, v16
	global_store_b128 v[14:15], v[0:3], off
	v_lshlrev_b64 v[0:1], 1, v[12:13]
	v_add_co_ci_u32_e32 v17, vcc_lo, v31, v17, vcc_lo
	v_mul_lo_u32 v12, v19, s4
	v_ashrrev_i32_e32 v19, 31, v18
	v_or_b32_e32 v14, 10, v23
	global_store_b128 v[16:17], v[4:7], off
	v_add_co_u32 v4, vcc_lo, v30, v0
	v_add_co_ci_u32_e32 v5, vcc_lo, v31, v1, vcc_lo
	ds_load_b128 v[0:3], v27 offset:384
	v_ashrrev_i32_e32 v13, 31, v12
	v_lshlrev_b64 v[6:7], 1, v[18:19]
	v_mul_lo_u32 v14, v14, s4
	s_waitcnt lgkmcnt(1)
	global_store_b128 v[4:5], v[8:11], off
	v_or_b32_e32 v8, 12, v23
	v_lshlrev_b64 v[4:5], 1, v[12:13]
	v_add_co_u32 v20, vcc_lo, v30, v6
	v_or_b32_e32 v6, 14, v23
	v_ashrrev_i32_e32 v15, 31, v14
	v_mul_lo_u32 v22, v8, s4
	v_add_co_ci_u32_e32 v21, vcc_lo, v31, v7, vcc_lo
	v_add_co_u32 v24, vcc_lo, v30, v4
	v_mul_lo_u32 v26, v6, s4
	v_add_co_ci_u32_e32 v25, vcc_lo, v31, v5, vcc_lo
	v_lshlrev_b64 v[28:29], 1, v[14:15]
	ds_load_b128 v[4:7], v27 offset:512
	ds_load_b128 v[8:11], v27 offset:640
	;; [unrolled: 1-line block ×4, first 2 shown]
	v_ashrrev_i32_e32 v23, 31, v22
	v_ashrrev_i32_e32 v27, 31, v26
	v_add_co_u32 v28, vcc_lo, v30, v28
	s_delay_alu instid0(VALU_DEP_3) | instskip(SKIP_1) | instid1(VALU_DEP_4)
	v_lshlrev_b64 v[22:23], 1, v[22:23]
	v_add_co_ci_u32_e32 v29, vcc_lo, v31, v29, vcc_lo
	v_lshlrev_b64 v[26:27], 1, v[26:27]
	s_delay_alu instid0(VALU_DEP_3) | instskip(NEXT) | instid1(VALU_DEP_4)
	v_add_co_u32 v22, vcc_lo, v30, v22
	v_add_co_ci_u32_e32 v23, vcc_lo, v31, v23, vcc_lo
	s_delay_alu instid0(VALU_DEP_3) | instskip(NEXT) | instid1(VALU_DEP_4)
	v_add_co_u32 v26, vcc_lo, v30, v26
	v_add_co_ci_u32_e32 v27, vcc_lo, v31, v27, vcc_lo
	s_waitcnt lgkmcnt(4)
	global_store_b128 v[20:21], v[0:3], off
	s_waitcnt lgkmcnt(3)
	global_store_b128 v[24:25], v[4:7], off
	;; [unrolled: 2-line block ×5, first 2 shown]
	s_nop 0
	s_sendmsg sendmsg(MSG_DEALLOC_VGPRS)
	s_endpgm
	.section	.rodata,"a",@progbits
	.p2align	6, 0x0
	.amdhsa_kernel _Z39paged_attention_ll4mi_QKV_mfma16_kernelI14__hip_bfloat16S0_LN4vllm18Fp8KVCacheDataTypeE0EhLi16ELi128ELi256ELb1ELi16EL8MFMAType0EEvPKT_PKT0_S9_ifPKiSB_SB_iPKfiiiPfSE_PS4_PT2_iSD_SD_
		.amdhsa_group_segment_fixed_size 17472
		.amdhsa_private_segment_fixed_size 0
		.amdhsa_kernarg_size 400
		.amdhsa_user_sgpr_count 13
		.amdhsa_user_sgpr_dispatch_ptr 0
		.amdhsa_user_sgpr_queue_ptr 0
		.amdhsa_user_sgpr_kernarg_segment_ptr 1
		.amdhsa_user_sgpr_dispatch_id 0
		.amdhsa_user_sgpr_private_segment_size 0
		.amdhsa_wavefront_size32 1
		.amdhsa_uses_dynamic_stack 0
		.amdhsa_enable_private_segment 0
		.amdhsa_system_sgpr_workgroup_id_x 1
		.amdhsa_system_sgpr_workgroup_id_y 1
		.amdhsa_system_sgpr_workgroup_id_z 1
		.amdhsa_system_sgpr_workgroup_info 0
		.amdhsa_system_vgpr_workitem_id 0
		.amdhsa_next_free_vgpr 218
		.amdhsa_next_free_sgpr 50
		.amdhsa_reserve_vcc 1
		.amdhsa_float_round_mode_32 0
		.amdhsa_float_round_mode_16_64 0
		.amdhsa_float_denorm_mode_32 3
		.amdhsa_float_denorm_mode_16_64 3
		.amdhsa_dx10_clamp 1
		.amdhsa_ieee_mode 1
		.amdhsa_fp16_overflow 0
		.amdhsa_workgroup_processor_mode 1
		.amdhsa_memory_ordered 1
		.amdhsa_forward_progress 0
		.amdhsa_shared_vgpr_count 0
		.amdhsa_exception_fp_ieee_invalid_op 0
		.amdhsa_exception_fp_denorm_src 0
		.amdhsa_exception_fp_ieee_div_zero 0
		.amdhsa_exception_fp_ieee_overflow 0
		.amdhsa_exception_fp_ieee_underflow 0
		.amdhsa_exception_fp_ieee_inexact 0
		.amdhsa_exception_int_div_zero 0
	.end_amdhsa_kernel
	.section	.text._Z39paged_attention_ll4mi_QKV_mfma16_kernelI14__hip_bfloat16S0_LN4vllm18Fp8KVCacheDataTypeE0EhLi16ELi128ELi256ELb1ELi16EL8MFMAType0EEvPKT_PKT0_S9_ifPKiSB_SB_iPKfiiiPfSE_PS4_PT2_iSD_SD_,"axG",@progbits,_Z39paged_attention_ll4mi_QKV_mfma16_kernelI14__hip_bfloat16S0_LN4vllm18Fp8KVCacheDataTypeE0EhLi16ELi128ELi256ELb1ELi16EL8MFMAType0EEvPKT_PKT0_S9_ifPKiSB_SB_iPKfiiiPfSE_PS4_PT2_iSD_SD_,comdat
.Lfunc_end593:
	.size	_Z39paged_attention_ll4mi_QKV_mfma16_kernelI14__hip_bfloat16S0_LN4vllm18Fp8KVCacheDataTypeE0EhLi16ELi128ELi256ELb1ELi16EL8MFMAType0EEvPKT_PKT0_S9_ifPKiSB_SB_iPKfiiiPfSE_PS4_PT2_iSD_SD_, .Lfunc_end593-_Z39paged_attention_ll4mi_QKV_mfma16_kernelI14__hip_bfloat16S0_LN4vllm18Fp8KVCacheDataTypeE0EhLi16ELi128ELi256ELb1ELi16EL8MFMAType0EEvPKT_PKT0_S9_ifPKiSB_SB_iPKfiiiPfSE_PS4_PT2_iSD_SD_
                                        ; -- End function
	.section	.AMDGPU.csdata,"",@progbits
; Kernel info:
; codeLenInByte = 10488
; NumSgprs: 52
; NumVgprs: 218
; ScratchSize: 0
; MemoryBound: 0
; FloatMode: 240
; IeeeMode: 1
; LDSByteSize: 17472 bytes/workgroup (compile time only)
; SGPRBlocks: 6
; VGPRBlocks: 27
; NumSGPRsForWavesPerEU: 52
; NumVGPRsForWavesPerEU: 218
; Occupancy: 6
; WaveLimiterHint : 1
; COMPUTE_PGM_RSRC2:SCRATCH_EN: 0
; COMPUTE_PGM_RSRC2:USER_SGPR: 13
; COMPUTE_PGM_RSRC2:TRAP_HANDLER: 0
; COMPUTE_PGM_RSRC2:TGID_X_EN: 1
; COMPUTE_PGM_RSRC2:TGID_Y_EN: 1
; COMPUTE_PGM_RSRC2:TGID_Z_EN: 1
; COMPUTE_PGM_RSRC2:TIDIG_COMP_CNT: 0
	.section	.text._Z35paged_attention_ll4mi_reduce_kernelI14__hip_bfloat16hLi128ELi128ELi256ELi1EEvPT0_PKfS4_PKT_PKiS9_iS4_,"axG",@progbits,_Z35paged_attention_ll4mi_reduce_kernelI14__hip_bfloat16hLi128ELi128ELi256ELi1EEvPT0_PKfS4_PKT_PKiS9_iS4_,comdat
	.protected	_Z35paged_attention_ll4mi_reduce_kernelI14__hip_bfloat16hLi128ELi128ELi256ELi1EEvPT0_PKfS4_PKT_PKiS9_iS4_ ; -- Begin function _Z35paged_attention_ll4mi_reduce_kernelI14__hip_bfloat16hLi128ELi128ELi256ELi1EEvPT0_PKfS4_PKT_PKiS9_iS4_
	.globl	_Z35paged_attention_ll4mi_reduce_kernelI14__hip_bfloat16hLi128ELi128ELi256ELi1EEvPT0_PKfS4_PKT_PKiS9_iS4_
	.p2align	8
	.type	_Z35paged_attention_ll4mi_reduce_kernelI14__hip_bfloat16hLi128ELi128ELi256ELi1EEvPT0_PKfS4_PKT_PKiS9_iS4_,@function
_Z35paged_attention_ll4mi_reduce_kernelI14__hip_bfloat16hLi128ELi128ELi256ELi1EEvPT0_PKfS4_PKT_PKiS9_iS4_: ; @_Z35paged_attention_ll4mi_reduce_kernelI14__hip_bfloat16hLi128ELi128ELi256ELi1EEvPT0_PKfS4_PKT_PKiS9_iS4_
; %bb.0:
	s_load_b64 s[16:17], s[0:1], 0x28
	s_mov_b32 s12, s15
	s_waitcnt lgkmcnt(0)
	s_cmp_lg_u64 s[16:17], 0
	s_cselect_b32 s15, -1, 0
	s_delay_alu instid0(SALU_CYCLE_1)
	s_and_b32 vcc_lo, exec_lo, s15
	s_cbranch_vccz .LBB594_20
; %bb.1:
	s_add_i32 s2, s12, 1
	s_mov_b32 s3, 0
	s_delay_alu instid0(SALU_CYCLE_1) | instskip(SKIP_4) | instid1(SALU_CYCLE_1)
	s_lshl_b64 s[4:5], s[2:3], 2
	s_mov_b32 s13, s3
	s_add_u32 s4, s16, s4
	s_addc_u32 s5, s17, s5
	s_lshl_b64 s[6:7], s[12:13], 2
	s_add_u32 s6, s16, s6
	s_addc_u32 s7, s17, s7
	s_clause 0x1
	s_load_b32 s2, s[4:5], 0x0
	s_load_b32 s4, s[6:7], 0x0
	s_waitcnt lgkmcnt(0)
	s_sub_i32 s2, s2, s4
	s_delay_alu instid0(SALU_CYCLE_1)
	s_cmp_eq_u32 s2, 1
	s_cselect_b32 s2, -1, 0
	s_cbranch_execnz .LBB594_3
.LBB594_2:
	s_mov_b32 s13, 0
	s_mov_b32 s2, -1
.LBB594_3:
	s_delay_alu instid0(SALU_CYCLE_1)
	s_and_not1_b32 vcc_lo, exec_lo, s2
	s_cbranch_vccz .LBB594_5
; %bb.4:
	s_endpgm
.LBB594_5:
	s_clause 0x1
	s_load_b128 s[4:7], s[0:1], 0x18
	s_load_b32 s8, s[0:1], 0x30
	s_lshl_b64 s[18:19], s[12:13], 2
	s_waitcnt lgkmcnt(0)
	s_add_u32 s2, s6, s18
	s_addc_u32 s3, s7, s19
	s_mov_b32 s7, exec_lo
	s_load_b32 s23, s[2:3], 0x0
	s_load_b32 s22, s[0:1], 0x40
	s_waitcnt lgkmcnt(0)
	s_add_i32 s3, s23, 0xff
	s_delay_alu instid0(SALU_CYCLE_1) | instskip(NEXT) | instid1(SALU_CYCLE_1)
	s_ashr_i32 s2, s3, 31
	s_lshr_b32 s6, s2, 24
	s_mul_i32 s2, s12, s8
	s_add_i32 s3, s3, s6
	s_mul_i32 s6, s14, s8
	v_cmpx_lt_u32_e32 31, v0
	s_xor_b32 s7, exec_lo, s7
	s_delay_alu instid0(SALU_CYCLE_1)
	s_or_saveexec_b32 s24, s7
	v_mov_b32_e32 v1, s6
	s_ashr_i32 s3, s3, 8
	s_mul_i32 s20, s2, s22
	s_xor_b32 exec_lo, exec_lo, s24
	s_cbranch_execz .LBB594_9
; %bb.6:
	s_load_b128 s[8:11], s[0:1], 0x8
	s_mov_b32 s21, 0
	v_cmp_gt_i32_e32 vcc_lo, s3, v0
	s_lshl_b64 s[26:27], s[20:21], 2
	s_mov_b32 s7, s21
	s_waitcnt lgkmcnt(0)
	s_add_u32 s2, s10, s26
	s_addc_u32 s21, s11, s27
	s_lshl_b64 s[10:11], s[6:7], 2
	s_delay_alu instid0(SALU_CYCLE_1) | instskip(SKIP_2) | instid1(SALU_CYCLE_1)
	s_add_u32 s2, s2, s10
	s_addc_u32 s7, s21, s11
	s_add_i32 s21, s3, -1
	v_cndmask_b32_e32 v1, s21, v0, vcc_lo
	s_delay_alu instid0(VALU_DEP_1) | instskip(NEXT) | instid1(VALU_DEP_1)
	v_ashrrev_i32_e32 v2, 31, v1
	v_lshlrev_b64 v[1:2], 2, v[1:2]
	s_delay_alu instid0(VALU_DEP_1) | instskip(NEXT) | instid1(VALU_DEP_1)
	v_add_co_u32 v3, s2, s2, v1
	v_add_co_ci_u32_e64 v4, s2, s7, v2, s2
	s_add_u32 s2, s8, s26
	s_addc_u32 s7, s9, s27
	s_add_u32 s2, s2, s10
	global_load_b32 v3, v[3:4], off
	s_addc_u32 s7, s7, s11
	v_add_co_u32 v1, s2, s2, v1
	s_delay_alu instid0(VALU_DEP_1) | instskip(SKIP_2) | instid1(VALU_DEP_1)
	v_add_co_ci_u32_e64 v2, s2, s7, v2, s2
	global_load_b32 v1, v[1:2], off
	v_mbcnt_lo_u32_b32 v2, -1, 0
	v_xor_b32_e32 v4, 16, v2
	v_xor_b32_e32 v6, 8, v2
	;; [unrolled: 1-line block ×5, first 2 shown]
	v_cmp_gt_i32_e64 s2, 32, v4
	s_delay_alu instid0(VALU_DEP_1) | instskip(SKIP_1) | instid1(VALU_DEP_2)
	v_cndmask_b32_e64 v4, v2, v4, s2
	v_cmp_gt_i32_e64 s2, 32, v6
	v_lshlrev_b32_e32 v4, 2, v4
	s_delay_alu instid0(VALU_DEP_2) | instskip(SKIP_1) | instid1(VALU_DEP_2)
	v_cndmask_b32_e64 v6, v2, v6, s2
	v_cmp_gt_i32_e64 s2, 32, v8
	v_lshlrev_b32_e32 v6, 2, v6
	s_delay_alu instid0(VALU_DEP_2) | instskip(SKIP_1) | instid1(VALU_DEP_2)
	v_cndmask_b32_e64 v8, v2, v8, s2
	v_cmp_gt_i32_e64 s2, 32, v9
	v_lshlrev_b32_e32 v8, 2, v8
	s_delay_alu instid0(VALU_DEP_2) | instskip(SKIP_1) | instid1(VALU_DEP_2)
	v_cndmask_b32_e64 v9, v2, v9, s2
	v_cmp_gt_i32_e64 s2, 32, v10
	v_lshlrev_b32_e32 v9, 2, v9
	s_delay_alu instid0(VALU_DEP_2) | instskip(SKIP_1) | instid1(VALU_DEP_1)
	v_cndmask_b32_e64 v2, v2, v10, s2
	s_waitcnt vmcnt(1)
	v_dual_max_f32 v7, v3, v3 :: v_dual_lshlrev_b32 v2, 2, v2
	ds_bpermute_b32 v5, v4, v3
	s_waitcnt lgkmcnt(0)
	v_max_f32_e32 v5, v5, v5
	s_delay_alu instid0(VALU_DEP_1) | instskip(SKIP_3) | instid1(VALU_DEP_1)
	v_max_f32_e32 v5, v7, v5
	ds_bpermute_b32 v7, v6, v5
	s_waitcnt lgkmcnt(0)
	v_max_f32_e32 v7, v7, v7
	v_max_f32_e32 v5, v5, v7
	ds_bpermute_b32 v7, v8, v5
	s_waitcnt lgkmcnt(0)
	v_max_f32_e32 v7, v7, v7
	s_delay_alu instid0(VALU_DEP_1) | instskip(SKIP_3) | instid1(VALU_DEP_1)
	v_max_f32_e32 v5, v5, v7
	ds_bpermute_b32 v7, v9, v5
	s_waitcnt lgkmcnt(0)
	v_max_f32_e32 v7, v7, v7
	v_max_f32_e32 v5, v5, v7
	ds_bpermute_b32 v7, v2, v5
	s_waitcnt lgkmcnt(0)
	v_max_f32_e32 v7, v7, v7
	s_delay_alu instid0(VALU_DEP_1) | instskip(NEXT) | instid1(VALU_DEP_1)
	v_max_f32_e32 v5, v5, v7
	v_sub_f32_e32 v3, v3, v5
	s_delay_alu instid0(VALU_DEP_1) | instskip(SKIP_1) | instid1(VALU_DEP_2)
	v_mul_f32_e32 v5, 0x3fb8aa3b, v3
	v_cmp_ngt_f32_e64 s2, 0xc2ce8ed0, v3
	v_fma_f32 v7, 0x3fb8aa3b, v3, -v5
	v_rndne_f32_e32 v10, v5
	s_delay_alu instid0(VALU_DEP_2) | instskip(NEXT) | instid1(VALU_DEP_2)
	v_fmamk_f32 v7, v3, 0x32a5705f, v7
	v_sub_f32_e32 v5, v5, v10
	s_delay_alu instid0(VALU_DEP_1) | instskip(SKIP_1) | instid1(VALU_DEP_2)
	v_add_f32_e32 v5, v5, v7
	v_cvt_i32_f32_e32 v7, v10
	v_exp_f32_e32 v5, v5
	s_waitcnt_depctr 0xfff
	v_ldexp_f32 v5, v5, v7
	s_delay_alu instid0(VALU_DEP_1) | instskip(SKIP_1) | instid1(VALU_DEP_1)
	v_cndmask_b32_e64 v5, 0, v5, s2
	v_cmp_nlt_f32_e64 s2, 0x42b17218, v3
	v_cndmask_b32_e64 v3, 0x7f800000, v5, s2
	s_mov_b32 s2, exec_lo
	s_delay_alu instid0(VALU_DEP_1) | instskip(SKIP_1) | instid1(VALU_DEP_1)
	v_cndmask_b32_e32 v3, 0, v3, vcc_lo
	s_waitcnt vmcnt(0)
	v_mul_f32_e32 v3, v3, v1
	ds_bpermute_b32 v1, v4, v3
	s_waitcnt lgkmcnt(0)
	v_add_f32_e32 v1, v3, v1
	ds_bpermute_b32 v4, v6, v1
	s_waitcnt lgkmcnt(0)
	v_add_f32_e32 v1, v1, v4
	;; [unrolled: 3-line block ×4, first 2 shown]
	v_lshlrev_b32_e32 v4, 2, v0
	ds_bpermute_b32 v2, v2, v1
	ds_store_b32 v4, v3
	v_cmpx_eq_u32_e32 0, v0
	s_cbranch_execz .LBB594_8
; %bb.7:
	s_waitcnt lgkmcnt(1)
	v_dual_add_f32 v1, v1, v2 :: v_dual_mov_b32 v2, 0
	ds_store_b32 v2, v1 offset:128
.LBB594_8:
	s_or_b32 exec_lo, exec_lo, s2
	v_mov_b32_e32 v1, s6
.LBB594_9:
	s_or_b32 exec_lo, exec_lo, s24
	s_lshl_b32 s6, s20, 7
	s_mov_b32 s7, 0
	s_waitcnt lgkmcnt(1)
	v_dual_mov_b32 v2, 0 :: v_dual_lshlrev_b32 v1, 7, v1
	s_lshl_b64 s[6:7], s[6:7], 1
	v_dual_mov_b32 v33, 0 :: v_dual_mov_b32 v34, 0
	s_add_u32 s9, s4, s6
	s_addc_u32 s33, s5, s7
	s_lshl_b32 s8, s3, 7
	v_lshlrev_b64 v[3:4], 1, v[1:2]
	s_addk_i32 s8, 0xff80
	s_cmp_lt_i32 s23, 1
	v_lshlrev_b32_e32 v1, 1, v0
	s_cselect_b32 s2, s8, 0
	v_mov_b32_e32 v35, 0
	s_ashr_i32 s3, s2, 31
	v_add_co_u32 v3, vcc_lo, s9, v3
	s_lshl_b64 s[2:3], s[2:3], 1
	s_cmpk_lt_i32 s23, 0x101
	v_add_co_ci_u32_e32 v4, vcc_lo, s33, v4, vcc_lo
	s_cselect_b32 s4, s8, 0x80
	v_add_co_u32 v18, vcc_lo, v3, v1
	s_ashr_i32 s5, s4, 31
	s_delay_alu instid0(VALU_DEP_2)
	v_add_co_ci_u32_e32 v19, vcc_lo, 0, v4, vcc_lo
	s_lshl_b64 s[4:5], s[4:5], 1
	s_cmpk_lt_i32 s23, 0x201
	v_add_co_u32 v3, vcc_lo, v18, s2
	s_cselect_b32 s6, s8, 0x100
	v_add_co_ci_u32_e32 v4, vcc_lo, s3, v19, vcc_lo
	s_ashr_i32 s7, s6, 31
	v_add_co_u32 v5, vcc_lo, v18, s4
	s_lshl_b64 s[6:7], s[6:7], 1
	s_cmpk_lt_i32 s23, 0x301
	v_add_co_ci_u32_e32 v6, vcc_lo, s5, v19, vcc_lo
	s_cselect_b32 s10, s8, 0x180
	v_add_co_u32 v7, vcc_lo, v18, s6
	s_ashr_i32 s11, s10, 31
	v_add_co_ci_u32_e32 v8, vcc_lo, s7, v19, vcc_lo
	s_lshl_b64 s[10:11], s[10:11], 1
	s_cmpk_lt_i32 s23, 0x401
	v_add_co_u32 v12, vcc_lo, v18, s10
	s_cselect_b32 s20, s8, 0x200
	v_add_co_ci_u32_e32 v13, vcc_lo, s11, v19, vcc_lo
	s_ashr_i32 s21, s20, 31
	v_mov_b32_e32 v32, 0
	s_lshl_b64 s[20:21], s[20:21], 1
	s_cmpk_lt_i32 s23, 0x501
	v_add_co_u32 v14, vcc_lo, v18, s20
	s_cselect_b32 s24, s8, 0x280
	v_add_co_ci_u32_e32 v15, vcc_lo, s21, v19, vcc_lo
	s_ashr_i32 s25, s24, 31
	s_delay_alu instid0(SALU_CYCLE_1)
	s_lshl_b64 s[24:25], s[24:25], 1
	s_cmpk_lt_i32 s23, 0x601
	v_add_co_u32 v16, vcc_lo, v18, s24
	s_cselect_b32 s26, s8, 0x300
	v_add_co_ci_u32_e32 v17, vcc_lo, s25, v19, vcc_lo
	s_ashr_i32 s27, s26, 31
	s_delay_alu instid0(SALU_CYCLE_1)
	;; [unrolled: 7-line block ×3, first 2 shown]
	s_lshl_b64 s[28:29], s[28:29], 1
	s_cmpk_lt_i32 s23, 0x801
	v_add_co_u32 v22, vcc_lo, v18, s28
	s_cselect_b32 s30, s8, 0x400
	v_add_co_ci_u32_e32 v23, vcc_lo, s29, v19, vcc_lo
	s_ashr_i32 s31, s30, 31
	s_clause 0x7
	global_load_u16 v11, v[3:4], off
	global_load_u16 v9, v[5:6], off
	;; [unrolled: 1-line block ×8, first 2 shown]
	s_lshl_b64 s[30:31], s[30:31], 1
	s_cmpk_lt_i32 s23, 0x901
	v_add_co_u32 v12, vcc_lo, v18, s30
	s_cselect_b32 s34, s8, 0x480
	v_add_co_ci_u32_e32 v13, vcc_lo, s31, v19, vcc_lo
	s_ashr_i32 s35, s34, 31
	s_delay_alu instid0(SALU_CYCLE_1)
	s_lshl_b64 s[34:35], s[34:35], 1
	s_cmpk_lt_i32 s23, 0xa01
	v_add_co_u32 v14, vcc_lo, v18, s34
	s_cselect_b32 s36, s8, 0x500
	v_add_co_ci_u32_e32 v15, vcc_lo, s35, v19, vcc_lo
	s_ashr_i32 s37, s36, 31
	s_delay_alu instid0(SALU_CYCLE_1)
	;; [unrolled: 7-line block ×7, first 2 shown]
	s_lshl_b64 s[2:3], s[4:5], 1
	s_cmpk_gt_i32 s23, 0x1000
	v_add_co_u32 v30, vcc_lo, v18, s2
	v_add_co_ci_u32_e32 v31, vcc_lo, s3, v19, vcc_lo
	s_clause 0x7
	global_load_u16 v17, v[12:13], off
	global_load_u16 v16, v[14:15], off
	;; [unrolled: 1-line block ×8, first 2 shown]
	v_dual_mov_b32 v20, 0 :: v_dual_mov_b32 v21, 0
	v_dual_mov_b32 v22, 0 :: v_dual_mov_b32 v23, 0
	;; [unrolled: 1-line block ×6, first 2 shown]
	s_cselect_b32 s2, -1, 0
	s_cmpk_lt_i32 s23, 0x1001
	s_waitcnt vmcnt(0) lgkmcnt(0)
	s_barrier
	buffer_gl0_inv
	s_cbranch_scc1 .LBB594_11
; %bb.10:
	s_cmpk_lt_u32 s23, 0x1101
	s_cselect_b32 s4, s8, 0x880
	s_delay_alu instid0(SALU_CYCLE_1) | instskip(NEXT) | instid1(SALU_CYCLE_1)
	s_ashr_i32 s5, s4, 31
	s_lshl_b64 s[4:5], s[4:5], 1
	s_cmpk_lt_u32 s23, 0x1201
	v_add_co_u32 v20, vcc_lo, v18, s4
	s_cselect_b32 s6, s8, 0x900
	v_add_co_ci_u32_e32 v21, vcc_lo, s5, v19, vcc_lo
	s_ashr_i32 s7, s6, 31
	s_delay_alu instid0(SALU_CYCLE_1)
	s_lshl_b64 s[6:7], s[6:7], 1
	s_cmpk_lt_u32 s23, 0x1301
	v_add_co_u32 v22, vcc_lo, v18, s6
	s_cselect_b32 s10, s8, 0x980
	v_add_co_ci_u32_e32 v23, vcc_lo, s7, v19, vcc_lo
	s_ashr_i32 s11, s10, 31
	s_delay_alu instid0(SALU_CYCLE_1)
	;; [unrolled: 7-line block ×13, first 2 shown]
	s_lshl_b64 s[4:5], s[20:21], 1
	s_cmpk_lt_u32 s23, 0x1f01
	v_add_co_u32 v46, vcc_lo, v18, s4
	s_cselect_b32 s6, s8, 0xf80
	v_add_co_ci_u32_e32 v47, vcc_lo, s5, v19, vcc_lo
	s_ashr_i32 s7, s6, 31
	v_add_co_u32 v48, vcc_lo, 0x1000, v18
	s_lshl_b64 s[4:5], s[6:7], 1
	v_add_co_ci_u32_e32 v49, vcc_lo, 0, v19, vcc_lo
	v_add_co_u32 v18, vcc_lo, v18, s4
	v_add_co_ci_u32_e32 v19, vcc_lo, s5, v19, vcc_lo
	s_clause 0xf
	global_load_u16 v48, v[48:49], off
	global_load_u16 v20, v[20:21], off
	global_load_u16 v21, v[22:23], off
	global_load_u16 v22, v[24:25], off
	global_load_u16 v23, v[26:27], off
	global_load_u16 v24, v[28:29], off
	global_load_u16 v25, v[30:31], off
	global_load_u16 v26, v[32:33], off
	global_load_u16 v27, v[34:35], off
	global_load_u16 v36, v[36:37], off
	global_load_u16 v37, v[38:39], off
	global_load_u16 v38, v[40:41], off
	global_load_u16 v39, v[42:43], off
	global_load_u16 v40, v[44:45], off
	global_load_u16 v18, v[18:19], off
	global_load_u16 v19, v[46:47], off
	s_waitcnt vmcnt(15)
	v_lshlrev_b32_e32 v35, 16, v48
	s_waitcnt vmcnt(14)
	v_lshlrev_b32_e32 v34, 16, v20
	;; [unrolled: 2-line block ×16, first 2 shown]
.LBB594_11:
	ds_load_b128 v[36:39], v2
	ds_load_b128 v[40:43], v2 offset:16
	v_lshlrev_b32_e32 v11, 16, v11
	v_lshlrev_b32_e32 v8, 16, v8
	;; [unrolled: 1-line block ×7, first 2 shown]
	s_and_not1_b32 vcc_lo, exec_lo, s2
	v_lshlrev_b32_e32 v4, 16, v4
	s_waitcnt lgkmcnt(1)
	v_fma_f32 v9, v36, v11, 0
	s_delay_alu instid0(VALU_DEP_1) | instskip(NEXT) | instid1(VALU_DEP_1)
	v_fmac_f32_e32 v9, v37, v18
	v_dual_fmac_f32 v9, v38, v8 :: v_dual_lshlrev_b32 v8, 16, v17
	s_delay_alu instid0(VALU_DEP_1) | instskip(SKIP_3) | instid1(VALU_DEP_1)
	v_fmac_f32_e32 v9, v39, v6
	ds_load_b128 v[36:39], v2 offset:32
	s_waitcnt lgkmcnt(1)
	v_fmac_f32_e32 v9, v40, v5
	v_fmac_f32_e32 v9, v41, v4
	s_delay_alu instid0(VALU_DEP_1) | instskip(SKIP_4) | instid1(VALU_DEP_2)
	v_fmac_f32_e32 v9, v42, v3
	ds_load_b128 v[3:6], v2 offset:48
	v_fmac_f32_e32 v9, v43, v1
	v_lshlrev_b32_e32 v1, 16, v16
	s_waitcnt lgkmcnt(1)
	v_dual_fmac_f32 v9, v36, v8 :: v_dual_lshlrev_b32 v8, 16, v15
	s_delay_alu instid0(VALU_DEP_1) | instskip(SKIP_1) | instid1(VALU_DEP_2)
	v_fmac_f32_e32 v9, v37, v1
	v_lshlrev_b32_e32 v1, 16, v14
	v_dual_fmac_f32 v9, v38, v8 :: v_dual_lshlrev_b32 v8, 16, v13
	s_delay_alu instid0(VALU_DEP_1) | instskip(SKIP_2) | instid1(VALU_DEP_2)
	v_fmac_f32_e32 v9, v39, v1
	v_lshlrev_b32_e32 v1, 16, v12
	s_waitcnt lgkmcnt(0)
	v_fmac_f32_e32 v9, v3, v8
	v_lshlrev_b32_e32 v3, 16, v10
	s_delay_alu instid0(VALU_DEP_2) | instskip(SKIP_1) | instid1(VALU_DEP_2)
	v_fmac_f32_e32 v9, v4, v1
	v_lshlrev_b32_e32 v1, 16, v7
	v_fmac_f32_e32 v9, v5, v3
	s_delay_alu instid0(VALU_DEP_1)
	v_fmac_f32_e32 v9, v6, v1
	s_cbranch_vccnz .LBB594_13
; %bb.12:
	ds_load_b128 v[3:6], v2 offset:64
	ds_load_b128 v[10:13], v2 offset:80
	s_waitcnt lgkmcnt(1)
	v_fmac_f32_e32 v9, v3, v35
	s_delay_alu instid0(VALU_DEP_1) | instskip(NEXT) | instid1(VALU_DEP_1)
	v_fmac_f32_e32 v9, v4, v34
	v_fmac_f32_e32 v9, v5, v33
	s_delay_alu instid0(VALU_DEP_1) | instskip(SKIP_3) | instid1(VALU_DEP_1)
	v_fmac_f32_e32 v9, v6, v32
	ds_load_b128 v[3:6], v2 offset:96
	s_waitcnt lgkmcnt(1)
	v_fmac_f32_e32 v9, v10, v31
	v_fmac_f32_e32 v9, v11, v30
	s_delay_alu instid0(VALU_DEP_1) | instskip(NEXT) | instid1(VALU_DEP_1)
	v_fmac_f32_e32 v9, v12, v29
	v_fmac_f32_e32 v9, v13, v28
	ds_load_b128 v[10:13], v2 offset:112
	s_waitcnt lgkmcnt(1)
	v_fmac_f32_e32 v9, v3, v27
	s_delay_alu instid0(VALU_DEP_1) | instskip(NEXT) | instid1(VALU_DEP_1)
	v_fmac_f32_e32 v9, v4, v26
	v_fmac_f32_e32 v9, v5, v25
	s_delay_alu instid0(VALU_DEP_1) | instskip(SKIP_1) | instid1(VALU_DEP_1)
	v_fmac_f32_e32 v9, v6, v24
	s_waitcnt lgkmcnt(0)
	v_fmac_f32_e32 v9, v10, v23
	s_delay_alu instid0(VALU_DEP_1) | instskip(NEXT) | instid1(VALU_DEP_1)
	v_fmac_f32_e32 v9, v11, v22
	v_fmac_f32_e32 v9, v12, v21
	s_delay_alu instid0(VALU_DEP_1)
	v_fmac_f32_e32 v9, v13, v20
.LBB594_13:
	ds_load_b32 v1, v2 offset:128
	s_and_not1_b32 vcc_lo, exec_lo, s15
	s_cbranch_vccnz .LBB594_15
; %bb.14:
	s_add_u32 s2, s16, s18
	s_addc_u32 s3, s17, s19
	s_mov_b32 s13, 0
	s_load_b32 s12, s[2:3], 0x0
.LBB594_15:
	s_waitcnt lgkmcnt(0)
	v_add_f32_e32 v1, 0x358637bd, v1
	s_load_b64 s[0:1], s[0:1], 0x0
	s_delay_alu instid0(VALU_DEP_1) | instskip(NEXT) | instid1(VALU_DEP_1)
	v_div_scale_f32 v2, null, v1, v1, 1.0
	v_rcp_f32_e32 v3, v2
	s_waitcnt_depctr 0xfff
	v_fma_f32 v4, -v2, v3, 1.0
	s_delay_alu instid0(VALU_DEP_1) | instskip(SKIP_1) | instid1(VALU_DEP_1)
	v_fmac_f32_e32 v3, v4, v3
	v_div_scale_f32 v4, vcc_lo, 1.0, v1, 1.0
	v_mul_f32_e32 v5, v4, v3
	s_delay_alu instid0(VALU_DEP_1) | instskip(NEXT) | instid1(VALU_DEP_1)
	v_fma_f32 v6, -v2, v5, v4
	v_fmac_f32_e32 v5, v6, v3
	s_delay_alu instid0(VALU_DEP_1) | instskip(NEXT) | instid1(VALU_DEP_1)
	v_fma_f32 v2, -v2, v5, v4
	v_div_fmas_f32 v2, v2, v3, v5
	s_delay_alu instid0(VALU_DEP_1) | instskip(NEXT) | instid1(VALU_DEP_1)
	v_div_fixup_f32 v1, v2, v1, 1.0
	v_mul_f32_e32 v2, v9, v1
	s_delay_alu instid0(VALU_DEP_1) | instskip(NEXT) | instid1(VALU_DEP_1)
	v_and_b32_e32 v1, 0x7f800000, v2
	v_cmp_ne_u32_e32 vcc_lo, 0x7f800000, v1
                                        ; implicit-def: $vgpr1
	s_and_saveexec_b32 s2, vcc_lo
	s_delay_alu instid0(SALU_CYCLE_1)
	s_xor_b32 s2, exec_lo, s2
; %bb.16:
	v_bfe_u32 v1, v2, 16, 1
	s_delay_alu instid0(VALU_DEP_1)
	v_add3_u32 v1, v2, v1, 0x7fff
                                        ; implicit-def: $vgpr2
; %bb.17:
	s_and_not1_saveexec_b32 s2, s2
; %bb.18:
	v_and_b32_e32 v1, 0xffff, v2
	v_or_b32_e32 v3, 0x10000, v2
	s_delay_alu instid0(VALU_DEP_2) | instskip(NEXT) | instid1(VALU_DEP_2)
	v_cmp_eq_u32_e32 vcc_lo, 0, v1
	v_cndmask_b32_e32 v1, v3, v2, vcc_lo
; %bb.19:
	s_or_b32 exec_lo, exec_lo, s2
	s_mul_i32 s3, s22, s13
	s_mul_hi_u32 s4, s22, s12
	s_mul_i32 s2, s22, s12
	s_add_i32 s3, s4, s3
	s_mov_b32 s15, 0
	s_lshl_b64 s[2:3], s[2:3], 7
	v_and_b32_e32 v1, 0xffff0000, v1
	s_waitcnt lgkmcnt(0)
	s_add_u32 s2, s0, s2
	s_addc_u32 s3, s1, s3
	s_lshl_b64 s[0:1], s[14:15], 7
	s_delay_alu instid0(SALU_CYCLE_1)
	s_add_u32 s0, s2, s0
	s_addc_u32 s1, s3, s1
	v_add_co_u32 v0, s0, s0, v0
	v_cvt_i32_f32_e32 v2, v1
	v_add_co_ci_u32_e64 v1, null, s1, 0, s0
	global_store_b8 v[0:1], v2, off
	s_nop 0
	s_sendmsg sendmsg(MSG_DEALLOC_VGPRS)
	s_endpgm
.LBB594_20:
	s_mov_b32 s2, 0
	s_branch .LBB594_2
	.section	.rodata,"a",@progbits
	.p2align	6, 0x0
	.amdhsa_kernel _Z35paged_attention_ll4mi_reduce_kernelI14__hip_bfloat16hLi128ELi128ELi256ELi1EEvPT0_PKfS4_PKT_PKiS9_iS4_
		.amdhsa_group_segment_fixed_size 132
		.amdhsa_private_segment_fixed_size 0
		.amdhsa_kernarg_size 320
		.amdhsa_user_sgpr_count 14
		.amdhsa_user_sgpr_dispatch_ptr 0
		.amdhsa_user_sgpr_queue_ptr 0
		.amdhsa_user_sgpr_kernarg_segment_ptr 1
		.amdhsa_user_sgpr_dispatch_id 0
		.amdhsa_user_sgpr_private_segment_size 0
		.amdhsa_wavefront_size32 1
		.amdhsa_uses_dynamic_stack 0
		.amdhsa_enable_private_segment 0
		.amdhsa_system_sgpr_workgroup_id_x 1
		.amdhsa_system_sgpr_workgroup_id_y 1
		.amdhsa_system_sgpr_workgroup_id_z 0
		.amdhsa_system_sgpr_workgroup_info 0
		.amdhsa_system_vgpr_workitem_id 0
		.amdhsa_next_free_vgpr 50
		.amdhsa_next_free_sgpr 40
		.amdhsa_reserve_vcc 1
		.amdhsa_float_round_mode_32 0
		.amdhsa_float_round_mode_16_64 0
		.amdhsa_float_denorm_mode_32 3
		.amdhsa_float_denorm_mode_16_64 3
		.amdhsa_dx10_clamp 1
		.amdhsa_ieee_mode 1
		.amdhsa_fp16_overflow 0
		.amdhsa_workgroup_processor_mode 1
		.amdhsa_memory_ordered 1
		.amdhsa_forward_progress 0
		.amdhsa_shared_vgpr_count 0
		.amdhsa_exception_fp_ieee_invalid_op 0
		.amdhsa_exception_fp_denorm_src 0
		.amdhsa_exception_fp_ieee_div_zero 0
		.amdhsa_exception_fp_ieee_overflow 0
		.amdhsa_exception_fp_ieee_underflow 0
		.amdhsa_exception_fp_ieee_inexact 0
		.amdhsa_exception_int_div_zero 0
	.end_amdhsa_kernel
	.section	.text._Z35paged_attention_ll4mi_reduce_kernelI14__hip_bfloat16hLi128ELi128ELi256ELi1EEvPT0_PKfS4_PKT_PKiS9_iS4_,"axG",@progbits,_Z35paged_attention_ll4mi_reduce_kernelI14__hip_bfloat16hLi128ELi128ELi256ELi1EEvPT0_PKfS4_PKT_PKiS9_iS4_,comdat
.Lfunc_end594:
	.size	_Z35paged_attention_ll4mi_reduce_kernelI14__hip_bfloat16hLi128ELi128ELi256ELi1EEvPT0_PKfS4_PKT_PKiS9_iS4_, .Lfunc_end594-_Z35paged_attention_ll4mi_reduce_kernelI14__hip_bfloat16hLi128ELi128ELi256ELi1EEvPT0_PKfS4_PKT_PKiS9_iS4_
                                        ; -- End function
	.section	.AMDGPU.csdata,"",@progbits
; Kernel info:
; codeLenInByte = 3340
; NumSgprs: 42
; NumVgprs: 50
; ScratchSize: 0
; MemoryBound: 0
; FloatMode: 240
; IeeeMode: 1
; LDSByteSize: 132 bytes/workgroup (compile time only)
; SGPRBlocks: 5
; VGPRBlocks: 6
; NumSGPRsForWavesPerEU: 42
; NumVGPRsForWavesPerEU: 50
; Occupancy: 16
; WaveLimiterHint : 1
; COMPUTE_PGM_RSRC2:SCRATCH_EN: 0
; COMPUTE_PGM_RSRC2:USER_SGPR: 14
; COMPUTE_PGM_RSRC2:TRAP_HANDLER: 0
; COMPUTE_PGM_RSRC2:TGID_X_EN: 1
; COMPUTE_PGM_RSRC2:TGID_Y_EN: 1
; COMPUTE_PGM_RSRC2:TGID_Z_EN: 0
; COMPUTE_PGM_RSRC2:TIDIG_COMP_CNT: 0
	.section	.text._Z35paged_attention_ll4mi_reduce_kernelI14__hip_bfloat16hLi128ELi128ELi256ELi2EEvPT0_PKfS4_PKT_PKiS9_iS4_,"axG",@progbits,_Z35paged_attention_ll4mi_reduce_kernelI14__hip_bfloat16hLi128ELi128ELi256ELi2EEvPT0_PKfS4_PKT_PKiS9_iS4_,comdat
	.protected	_Z35paged_attention_ll4mi_reduce_kernelI14__hip_bfloat16hLi128ELi128ELi256ELi2EEvPT0_PKfS4_PKT_PKiS9_iS4_ ; -- Begin function _Z35paged_attention_ll4mi_reduce_kernelI14__hip_bfloat16hLi128ELi128ELi256ELi2EEvPT0_PKfS4_PKT_PKiS9_iS4_
	.globl	_Z35paged_attention_ll4mi_reduce_kernelI14__hip_bfloat16hLi128ELi128ELi256ELi2EEvPT0_PKfS4_PKT_PKiS9_iS4_
	.p2align	8
	.type	_Z35paged_attention_ll4mi_reduce_kernelI14__hip_bfloat16hLi128ELi128ELi256ELi2EEvPT0_PKfS4_PKT_PKiS9_iS4_,@function
_Z35paged_attention_ll4mi_reduce_kernelI14__hip_bfloat16hLi128ELi128ELi256ELi2EEvPT0_PKfS4_PKT_PKiS9_iS4_: ; @_Z35paged_attention_ll4mi_reduce_kernelI14__hip_bfloat16hLi128ELi128ELi256ELi2EEvPT0_PKfS4_PKT_PKiS9_iS4_
; %bb.0:
	s_load_b64 s[12:13], s[0:1], 0x28
	s_mov_b32 s2, s15
	s_waitcnt lgkmcnt(0)
	s_cmp_lg_u64 s[12:13], 0
	s_cselect_b32 s15, -1, 0
	s_delay_alu instid0(SALU_CYCLE_1)
	s_and_b32 vcc_lo, exec_lo, s15
	s_cbranch_vccz .LBB595_20
; %bb.1:
	s_add_i32 s4, s2, 1
	s_mov_b32 s5, 0
	s_delay_alu instid0(SALU_CYCLE_1) | instskip(SKIP_4) | instid1(SALU_CYCLE_1)
	s_lshl_b64 s[6:7], s[4:5], 2
	s_mov_b32 s3, s5
	s_add_u32 s6, s12, s6
	s_addc_u32 s7, s13, s7
	s_lshl_b64 s[8:9], s[2:3], 2
	s_add_u32 s8, s12, s8
	s_addc_u32 s9, s13, s9
	s_clause 0x1
	s_load_b32 s4, s[6:7], 0x0
	s_load_b32 s6, s[8:9], 0x0
	s_waitcnt lgkmcnt(0)
	s_sub_i32 s4, s4, s6
	s_delay_alu instid0(SALU_CYCLE_1)
	s_cmp_eq_u32 s4, 1
	s_cselect_b32 s4, -1, 0
	s_cbranch_execnz .LBB595_3
.LBB595_2:
	s_mov_b32 s3, 0
	s_mov_b32 s4, -1
.LBB595_3:
	s_delay_alu instid0(SALU_CYCLE_1)
	s_and_not1_b32 vcc_lo, exec_lo, s4
	s_cbranch_vccz .LBB595_5
; %bb.4:
	s_endpgm
.LBB595_5:
	s_clause 0x1
	s_load_b128 s[4:7], s[0:1], 0x18
	s_load_b32 s9, s[0:1], 0x30
	s_lshl_b64 s[16:17], s[2:3], 2
	s_waitcnt lgkmcnt(0)
	s_add_u32 s6, s6, s16
	s_addc_u32 s7, s7, s17
	s_load_b32 s20, s[6:7], 0x0
	s_load_b32 s33, s[0:1], 0x40
	s_mul_i32 s7, s2, s9
	s_waitcnt lgkmcnt(0)
	s_add_i32 s50, s20, 0xff
	s_delay_alu instid0(SALU_CYCLE_1) | instskip(NEXT) | instid1(SALU_CYCLE_1)
	s_ashr_i32 s6, s50, 31
	s_lshr_b32 s6, s6, 24
	s_delay_alu instid0(SALU_CYCLE_1) | instskip(SKIP_4) | instid1(SALU_CYCLE_1)
	s_add_i32 s8, s50, s6
	s_mul_i32 s6, s14, s9
	s_mov_b32 s9, exec_lo
	v_cmpx_lt_u32_e32 31, v0
	s_xor_b32 s9, exec_lo, s9
	s_or_saveexec_b32 s22, s9
	v_mov_b32_e32 v1, s6
	s_ashr_i32 s21, s8, 8
	s_mul_i32 s18, s7, s33
	s_xor_b32 exec_lo, exec_lo, s22
	s_cbranch_execz .LBB595_9
; %bb.6:
	v_or_b32_e32 v1, 32, v0
	s_load_b128 s[8:11], s[0:1], 0x8
	s_add_i32 s7, s21, -1
	s_mov_b32 s19, 0
	s_delay_alu instid0(SALU_CYCLE_1) | instskip(SKIP_3) | instid1(VALU_DEP_2)
	s_lshl_b64 s[24:25], s[18:19], 2
	v_cmp_gt_i32_e32 vcc_lo, s21, v1
	v_cndmask_b32_e32 v1, s7, v1, vcc_lo
	v_cmp_gt_i32_e32 vcc_lo, s21, v0
	v_ashrrev_i32_e32 v2, 31, v1
	v_cndmask_b32_e32 v3, s7, v0, vcc_lo
	s_mov_b32 s7, s19
	s_delay_alu instid0(VALU_DEP_2) | instskip(NEXT) | instid1(VALU_DEP_2)
	v_lshlrev_b64 v[1:2], 2, v[1:2]
	v_ashrrev_i32_e32 v4, 31, v3
	s_waitcnt lgkmcnt(0)
	s_add_u32 s19, s10, s24
	s_addc_u32 s23, s11, s25
	s_lshl_b64 s[10:11], s[6:7], 2
	v_lshlrev_b64 v[3:4], 2, v[3:4]
	s_add_u32 s7, s19, s10
	s_addc_u32 s19, s23, s11
	v_add_co_u32 v5, vcc_lo, s7, v1
	v_add_co_ci_u32_e32 v6, vcc_lo, s19, v2, vcc_lo
	s_delay_alu instid0(VALU_DEP_3)
	v_add_co_u32 v7, vcc_lo, s7, v3
	v_add_co_ci_u32_e32 v8, vcc_lo, s19, v4, vcc_lo
	s_clause 0x1
	global_load_b32 v5, v[5:6], off
	global_load_b32 v6, v[7:8], off
	s_add_u32 s7, s8, s24
	s_addc_u32 s8, s9, s25
	s_add_u32 s7, s7, s10
	s_addc_u32 s8, s8, s11
	v_add_co_u32 v3, vcc_lo, s7, v3
	v_add_co_ci_u32_e32 v4, vcc_lo, s8, v4, vcc_lo
	v_add_co_u32 v1, vcc_lo, s7, v1
	v_add_co_ci_u32_e32 v2, vcc_lo, s8, v2, vcc_lo
	s_clause 0x1
	global_load_b32 v3, v[3:4], off
	global_load_b32 v1, v[1:2], off
	v_mbcnt_lo_u32_b32 v2, -1, 0
	s_mov_b32 s7, exec_lo
	s_delay_alu instid0(VALU_DEP_1)
	v_xor_b32_e32 v4, 16, v2
	v_xor_b32_e32 v9, 8, v2
	v_xor_b32_e32 v10, 4, v2
	v_xor_b32_e32 v11, 2, v2
	v_xor_b32_e32 v12, 1, v2
	v_cmp_gt_i32_e32 vcc_lo, 32, v4
	v_cndmask_b32_e32 v4, v2, v4, vcc_lo
	v_cmp_gt_i32_e32 vcc_lo, 32, v9
	s_waitcnt vmcnt(2)
	v_dual_max_f32 v7, v5, v5 :: v_dual_max_f32 v8, v6, v6
	s_delay_alu instid0(VALU_DEP_1)
	v_dual_max_f32 v7, v8, v7 :: v_dual_lshlrev_b32 v4, 2, v4
	ds_bpermute_b32 v8, v4, v7
	v_cndmask_b32_e32 v9, v2, v9, vcc_lo
	v_cmp_gt_i32_e32 vcc_lo, 32, v10
	v_cndmask_b32_e32 v10, v2, v10, vcc_lo
	v_cmp_gt_i32_e32 vcc_lo, 32, v11
	s_delay_alu instid0(VALU_DEP_2) | instskip(SKIP_1) | instid1(VALU_DEP_2)
	v_dual_cndmask_b32 v11, v2, v11 :: v_dual_lshlrev_b32 v10, 2, v10
	v_cmp_gt_i32_e32 vcc_lo, 32, v12
	v_dual_cndmask_b32 v2, v2, v12 :: v_dual_lshlrev_b32 v11, 2, v11
	s_waitcnt lgkmcnt(0)
	v_dual_max_f32 v8, v8, v8 :: v_dual_lshlrev_b32 v9, 2, v9
	s_delay_alu instid0(VALU_DEP_1) | instskip(SKIP_3) | instid1(VALU_DEP_1)
	v_dual_max_f32 v7, v7, v8 :: v_dual_lshlrev_b32 v2, 2, v2
	ds_bpermute_b32 v8, v9, v7
	s_waitcnt lgkmcnt(0)
	v_max_f32_e32 v8, v8, v8
	v_max_f32_e32 v7, v7, v8
	ds_bpermute_b32 v8, v10, v7
	s_waitcnt lgkmcnt(0)
	v_max_f32_e32 v8, v8, v8
	s_delay_alu instid0(VALU_DEP_1) | instskip(SKIP_3) | instid1(VALU_DEP_1)
	v_max_f32_e32 v7, v7, v8
	ds_bpermute_b32 v8, v11, v7
	s_waitcnt lgkmcnt(0)
	v_max_f32_e32 v8, v8, v8
	v_max_f32_e32 v7, v7, v8
	ds_bpermute_b32 v8, v2, v7
	s_waitcnt lgkmcnt(0)
	v_max_f32_e32 v8, v8, v8
	s_delay_alu instid0(VALU_DEP_1) | instskip(NEXT) | instid1(VALU_DEP_1)
	v_max_f32_e32 v7, v7, v8
	v_sub_f32_e32 v5, v5, v7
	s_delay_alu instid0(VALU_DEP_1) | instskip(NEXT) | instid1(VALU_DEP_1)
	v_mul_f32_e32 v8, 0x3fb8aa3b, v5
	v_rndne_f32_e32 v15, v8
	v_fma_f32 v14, 0x3fb8aa3b, v5, -v8
	s_delay_alu instid0(VALU_DEP_2) | instskip(SKIP_1) | instid1(VALU_DEP_3)
	v_sub_f32_e32 v8, v8, v15
	v_sub_f32_e32 v6, v6, v7
	v_fmac_f32_e32 v14, 0x32a5705f, v5
	s_delay_alu instid0(VALU_DEP_2) | instskip(NEXT) | instid1(VALU_DEP_1)
	v_mul_f32_e32 v7, 0x3fb8aa3b, v6
	v_fma_f32 v12, 0x3fb8aa3b, v6, -v7
	v_rndne_f32_e32 v13, v7
	s_delay_alu instid0(VALU_DEP_1) | instskip(NEXT) | instid1(VALU_DEP_1)
	v_dual_fmac_f32 v12, 0x32a5705f, v6 :: v_dual_sub_f32 v7, v7, v13
	v_add_f32_e32 v7, v7, v12
	v_cvt_i32_f32_e32 v12, v13
	v_cmp_ngt_f32_e32 vcc_lo, 0xc2ce8ed0, v6
	v_cvt_i32_f32_e32 v13, v15
	s_delay_alu instid0(VALU_DEP_4) | instskip(SKIP_4) | instid1(VALU_DEP_3)
	v_exp_f32_e32 v7, v7
	s_waitcnt_depctr 0xfff
	v_ldexp_f32 v7, v7, v12
	v_add_f32_e32 v8, v8, v14
	v_sub_nc_u32_e32 v12, s21, v0
	v_cndmask_b32_e32 v7, 0, v7, vcc_lo
	s_delay_alu instid0(VALU_DEP_3) | instskip(SKIP_3) | instid1(VALU_DEP_1)
	v_exp_f32_e32 v8, v8
	v_cmp_ngt_f32_e32 vcc_lo, 0xc2ce8ed0, v5
	s_waitcnt_depctr 0xfff
	v_ldexp_f32 v8, v8, v13
	v_cndmask_b32_e32 v8, 0, v8, vcc_lo
	v_cmp_nlt_f32_e32 vcc_lo, 0x42b17218, v6
	v_dual_cndmask_b32 v6, 0x7f800000, v7 :: v_dual_lshlrev_b32 v7, 2, v0
	v_cmp_nlt_f32_e32 vcc_lo, 0x42b17218, v5
	s_delay_alu instid0(VALU_DEP_4) | instskip(SKIP_1) | instid1(VALU_DEP_4)
	v_cndmask_b32_e32 v5, 0x7f800000, v8, vcc_lo
	v_cmp_lt_i32_e32 vcc_lo, 0, v12
	v_cndmask_b32_e32 v6, 0, v6, vcc_lo
	v_cmp_lt_i32_e32 vcc_lo, 32, v12
	s_delay_alu instid0(VALU_DEP_4) | instskip(SKIP_1) | instid1(VALU_DEP_1)
	v_cndmask_b32_e32 v5, 0, v5, vcc_lo
	s_waitcnt vmcnt(0)
	v_dual_mul_f32 v3, v3, v6 :: v_dual_mul_f32 v6, v1, v5
	ds_store_2addr_b32 v7, v3, v6 offset1:32
	v_fmac_f32_e32 v3, v1, v5
	ds_bpermute_b32 v1, v4, v3
	s_waitcnt lgkmcnt(0)
	v_add_f32_e32 v1, v3, v1
	ds_bpermute_b32 v3, v9, v1
	s_waitcnt lgkmcnt(0)
	v_add_f32_e32 v1, v1, v3
	;; [unrolled: 3-line block ×4, first 2 shown]
	ds_bpermute_b32 v2, v2, v1
	v_cmpx_eq_u32_e32 0, v0
	s_cbranch_execz .LBB595_8
; %bb.7:
	s_waitcnt lgkmcnt(0)
	v_dual_add_f32 v1, v1, v2 :: v_dual_mov_b32 v2, 0
	ds_store_b32 v2, v1 offset:256
.LBB595_8:
	s_or_b32 exec_lo, exec_lo, s7
	v_mov_b32_e32 v1, s6
.LBB595_9:
	s_or_b32 exec_lo, exec_lo, s22
	s_lshl_b32 s6, s18, 7
	s_mov_b32 s7, 0
	s_waitcnt lgkmcnt(0)
	v_dual_mov_b32 v2, 0 :: v_dual_lshlrev_b32 v1, 7, v1
	s_lshl_b64 s[6:7], s[6:7], 1
	v_dual_mov_b32 v33, 0 :: v_dual_mov_b32 v34, 0
	s_add_u32 s34, s4, s6
	s_addc_u32 s35, s5, s7
	s_lshl_b32 s51, s21, 7
	v_lshlrev_b64 v[3:4], 1, v[1:2]
	s_addk_i32 s51, 0xff80
	s_cmpk_lt_i32 s50, 0x100
	v_lshlrev_b32_e32 v1, 1, v0
	s_cselect_b32 s4, s51, 0
	v_mov_b32_e32 v35, 0
	s_ashr_i32 s5, s4, 31
	v_add_co_u32 v3, vcc_lo, s34, v3
	s_lshl_b64 s[4:5], s[4:5], 1
	s_cmpk_lt_i32 s50, 0x200
	v_add_co_ci_u32_e32 v4, vcc_lo, s35, v4, vcc_lo
	s_cselect_b32 s6, s51, 0x80
	v_add_co_u32 v1, vcc_lo, v3, v1
	s_ashr_i32 s7, s6, 31
	s_delay_alu instid0(VALU_DEP_2)
	v_add_co_ci_u32_e32 v3, vcc_lo, 0, v4, vcc_lo
	s_lshl_b64 s[6:7], s[6:7], 1
	s_cmpk_lt_i32 s50, 0x300
	v_add_co_u32 v4, vcc_lo, v1, s4
	s_cselect_b32 s8, s51, 0x100
	v_add_co_ci_u32_e32 v5, vcc_lo, s5, v3, vcc_lo
	s_ashr_i32 s9, s8, 31
	v_add_co_u32 v6, vcc_lo, v1, s6
	s_lshl_b64 s[8:9], s[8:9], 1
	s_cmpk_lt_i32 s50, 0x400
	v_add_co_ci_u32_e32 v7, vcc_lo, s7, v3, vcc_lo
	s_cselect_b32 s10, s51, 0x180
	v_add_co_u32 v8, vcc_lo, v1, s8
	s_ashr_i32 s11, s10, 31
	v_add_co_ci_u32_e32 v9, vcc_lo, s9, v3, vcc_lo
	s_lshl_b64 s[10:11], s[10:11], 1
	s_cmpk_lt_i32 s50, 0x500
	v_add_co_u32 v14, vcc_lo, v1, s10
	s_cselect_b32 s18, s51, 0x200
	v_add_co_ci_u32_e32 v15, vcc_lo, s11, v3, vcc_lo
	s_ashr_i32 s19, s18, 31
	v_mov_b32_e32 v32, 0
	s_lshl_b64 s[18:19], s[18:19], 1
	s_cmpk_lt_i32 s50, 0x600
	v_add_co_u32 v16, vcc_lo, v1, s18
	s_cselect_b32 s22, s51, 0x280
	v_add_co_ci_u32_e32 v17, vcc_lo, s19, v3, vcc_lo
	s_ashr_i32 s23, s22, 31
	s_delay_alu instid0(SALU_CYCLE_1)
	s_lshl_b64 s[22:23], s[22:23], 1
	s_cmpk_lt_i32 s50, 0x700
	v_add_co_u32 v18, vcc_lo, v1, s22
	s_cselect_b32 s24, s51, 0x300
	v_add_co_ci_u32_e32 v19, vcc_lo, s23, v3, vcc_lo
	s_ashr_i32 s25, s24, 31
	s_delay_alu instid0(SALU_CYCLE_1)
	;; [unrolled: 7-line block ×3, first 2 shown]
	s_lshl_b64 s[26:27], s[26:27], 1
	s_cmpk_lt_i32 s50, 0x900
	v_add_co_u32 v22, vcc_lo, v1, s26
	s_cselect_b32 s28, s51, 0x400
	v_add_co_ci_u32_e32 v23, vcc_lo, s27, v3, vcc_lo
	s_ashr_i32 s29, s28, 31
	s_clause 0x7
	global_load_u16 v13, v[4:5], off
	global_load_u16 v4, v[6:7], off
	;; [unrolled: 1-line block ×8, first 2 shown]
	s_lshl_b64 s[28:29], s[28:29], 1
	s_cmpk_lt_i32 s50, 0xa00
	v_add_co_u32 v14, vcc_lo, v1, s28
	s_cselect_b32 s30, s51, 0x480
	v_add_co_ci_u32_e32 v15, vcc_lo, s29, v3, vcc_lo
	s_ashr_i32 s31, s30, 31
	s_delay_alu instid0(SALU_CYCLE_1)
	s_lshl_b64 s[30:31], s[30:31], 1
	s_cmpk_lt_i32 s50, 0xb00
	v_add_co_u32 v16, vcc_lo, v1, s30
	s_cselect_b32 s34, s51, 0x500
	v_add_co_ci_u32_e32 v17, vcc_lo, s31, v3, vcc_lo
	s_ashr_i32 s35, s34, 31
	s_delay_alu instid0(SALU_CYCLE_1)
	;; [unrolled: 7-line block ×7, first 2 shown]
	s_lshl_b64 s[4:5], s[6:7], 1
	s_cmpk_gt_i32 s20, 0x1000
	v_add_co_u32 v30, vcc_lo, v1, s4
	v_add_co_ci_u32_e32 v31, vcc_lo, s5, v3, vcc_lo
	s_clause 0x7
	global_load_u16 v19, v[14:15], off
	global_load_u16 v18, v[16:17], off
	global_load_u16 v17, v[20:21], off
	global_load_u16 v16, v[22:23], off
	global_load_u16 v15, v[24:25], off
	global_load_u16 v14, v[26:27], off
	global_load_u16 v12, v[28:29], off
	global_load_u16 v10, v[30:31], off
	v_dual_mov_b32 v20, 0 :: v_dual_mov_b32 v21, 0
	v_dual_mov_b32 v22, 0 :: v_dual_mov_b32 v23, 0
	;; [unrolled: 1-line block ×6, first 2 shown]
	s_cselect_b32 s6, -1, 0
	s_cmpk_lt_i32 s20, 0x1001
	s_waitcnt vmcnt(0)
	s_barrier
	buffer_gl0_inv
	s_cbranch_scc1 .LBB595_11
; %bb.10:
	s_cmpk_lt_i32 s50, 0x1100
	s_cselect_b32 s4, s51, 0x800
	s_delay_alu instid0(SALU_CYCLE_1) | instskip(NEXT) | instid1(SALU_CYCLE_1)
	s_ashr_i32 s5, s4, 31
	s_lshl_b64 s[4:5], s[4:5], 1
	s_cmpk_lt_i32 s50, 0x1200
	v_add_co_u32 v20, vcc_lo, v1, s4
	s_cselect_b32 s8, s51, 0x880
	v_add_co_ci_u32_e32 v21, vcc_lo, s5, v3, vcc_lo
	s_ashr_i32 s9, s8, 31
	s_delay_alu instid0(SALU_CYCLE_1)
	s_lshl_b64 s[8:9], s[8:9], 1
	s_cmpk_lt_i32 s50, 0x1300
	v_add_co_u32 v22, vcc_lo, v1, s8
	s_cselect_b32 s10, s51, 0x900
	v_add_co_ci_u32_e32 v23, vcc_lo, s9, v3, vcc_lo
	s_ashr_i32 s11, s10, 31
	s_delay_alu instid0(SALU_CYCLE_1)
	;; [unrolled: 7-line block ×14, first 2 shown]
	s_lshl_b64 s[4:5], s[18:19], 1
	s_cmpk_lt_i32 s50, 0x2000
	v_add_co_u32 v48, vcc_lo, v1, s4
	s_cselect_b32 s8, s51, 0xf80
	v_add_co_ci_u32_e32 v49, vcc_lo, s5, v3, vcc_lo
	s_ashr_i32 s9, s8, 31
	s_delay_alu instid0(SALU_CYCLE_1) | instskip(NEXT) | instid1(SALU_CYCLE_1)
	s_lshl_b64 s[4:5], s[8:9], 1
	v_add_co_u32 v50, vcc_lo, v1, s4
	v_add_co_ci_u32_e32 v51, vcc_lo, s5, v3, vcc_lo
	s_clause 0xf
	global_load_u16 v20, v[20:21], off
	global_load_u16 v21, v[22:23], off
	;; [unrolled: 1-line block ×16, first 2 shown]
	s_waitcnt vmcnt(15)
	v_lshlrev_b32_e32 v35, 16, v20
	s_waitcnt vmcnt(14)
	v_lshlrev_b32_e32 v34, 16, v21
	;; [unrolled: 2-line block ×16, first 2 shown]
.LBB595_11:
	ds_load_b128 v[36:39], v2
	ds_load_b128 v[40:43], v2 offset:16
	v_lshlrev_b32_e32 v44, 16, v4
	v_lshlrev_b32_e32 v13, 16, v13
	;; [unrolled: 1-line block ×4, first 2 shown]
	s_and_not1_b32 vcc_lo, exec_lo, s6
	v_lshlrev_b32_e32 v5, 16, v5
	s_waitcnt lgkmcnt(1)
	v_fma_f32 v4, v36, v13, 0
	s_delay_alu instid0(VALU_DEP_1) | instskip(SKIP_1) | instid1(VALU_DEP_1)
	v_dual_fmac_f32 v4, v37, v44 :: v_dual_lshlrev_b32 v9, 16, v9
	v_lshlrev_b32_e32 v11, 16, v11
	v_dual_fmac_f32 v4, v38, v11 :: v_dual_lshlrev_b32 v11, 16, v18
	s_delay_alu instid0(VALU_DEP_1) | instskip(SKIP_3) | instid1(VALU_DEP_1)
	v_dual_fmac_f32 v4, v39, v9 :: v_dual_lshlrev_b32 v7, 16, v7
	ds_load_b128 v[36:39], v2 offset:32
	s_waitcnt lgkmcnt(1)
	v_dual_fmac_f32 v4, v40, v8 :: v_dual_lshlrev_b32 v9, 16, v19
	v_fmac_f32_e32 v4, v41, v7
	s_delay_alu instid0(VALU_DEP_1) | instskip(NEXT) | instid1(VALU_DEP_1)
	v_fmac_f32_e32 v4, v42, v6
	v_fmac_f32_e32 v4, v43, v5
	ds_load_b128 v[5:8], v2 offset:48
	s_waitcnt lgkmcnt(1)
	v_fmac_f32_e32 v4, v36, v9
	s_delay_alu instid0(VALU_DEP_1) | instskip(NEXT) | instid1(VALU_DEP_1)
	v_dual_fmac_f32 v4, v37, v11 :: v_dual_lshlrev_b32 v9, 16, v17
	v_dual_fmac_f32 v4, v38, v9 :: v_dual_lshlrev_b32 v11, 16, v16
	v_lshlrev_b32_e32 v9, 16, v15
	s_delay_alu instid0(VALU_DEP_2) | instskip(SKIP_1) | instid1(VALU_DEP_1)
	v_dual_fmac_f32 v4, v39, v11 :: v_dual_lshlrev_b32 v11, 16, v14
	s_waitcnt lgkmcnt(0)
	v_dual_fmac_f32 v4, v5, v9 :: v_dual_lshlrev_b32 v5, 16, v12
	s_delay_alu instid0(VALU_DEP_1) | instskip(NEXT) | instid1(VALU_DEP_1)
	v_fmac_f32_e32 v4, v6, v11
	v_dual_fmac_f32 v4, v7, v5 :: v_dual_lshlrev_b32 v5, 16, v10
	s_delay_alu instid0(VALU_DEP_1)
	v_fmac_f32_e32 v4, v8, v5
	s_cbranch_vccz .LBB595_21
; %bb.12:
	s_cmpk_lt_i32 s20, 0x2001
	s_cbranch_scc0 .LBB595_22
.LBB595_13:
	v_mov_b32_e32 v1, 0
	s_and_not1_b32 vcc_lo, exec_lo, s15
	ds_load_b32 v1, v1 offset:256
	s_cbranch_vccnz .LBB595_15
.LBB595_14:
	s_add_u32 s2, s12, s16
	s_addc_u32 s3, s13, s17
	s_load_b32 s2, s[2:3], 0x0
	s_mov_b32 s3, 0
.LBB595_15:
	s_waitcnt lgkmcnt(0)
	v_add_f32_e32 v1, 0x358637bd, v1
	s_load_b64 s[0:1], s[0:1], 0x0
	s_delay_alu instid0(VALU_DEP_1) | instskip(NEXT) | instid1(VALU_DEP_1)
	v_div_scale_f32 v2, null, v1, v1, 1.0
	v_rcp_f32_e32 v3, v2
	s_waitcnt_depctr 0xfff
	v_fma_f32 v5, -v2, v3, 1.0
	s_delay_alu instid0(VALU_DEP_1) | instskip(SKIP_1) | instid1(VALU_DEP_1)
	v_fmac_f32_e32 v3, v5, v3
	v_div_scale_f32 v5, vcc_lo, 1.0, v1, 1.0
	v_mul_f32_e32 v6, v5, v3
	s_delay_alu instid0(VALU_DEP_1) | instskip(NEXT) | instid1(VALU_DEP_1)
	v_fma_f32 v7, -v2, v6, v5
	v_fmac_f32_e32 v6, v7, v3
	s_delay_alu instid0(VALU_DEP_1) | instskip(NEXT) | instid1(VALU_DEP_1)
	v_fma_f32 v2, -v2, v6, v5
	v_div_fmas_f32 v2, v2, v3, v6
	s_delay_alu instid0(VALU_DEP_1) | instskip(NEXT) | instid1(VALU_DEP_1)
	v_div_fixup_f32 v1, v2, v1, 1.0
	v_mul_f32_e32 v2, v4, v1
	s_delay_alu instid0(VALU_DEP_1) | instskip(NEXT) | instid1(VALU_DEP_1)
	v_and_b32_e32 v1, 0x7f800000, v2
	v_cmp_ne_u32_e32 vcc_lo, 0x7f800000, v1
                                        ; implicit-def: $vgpr1
	s_and_saveexec_b32 s4, vcc_lo
	s_delay_alu instid0(SALU_CYCLE_1)
	s_xor_b32 s4, exec_lo, s4
; %bb.16:
	v_bfe_u32 v1, v2, 16, 1
	s_delay_alu instid0(VALU_DEP_1)
	v_add3_u32 v1, v2, v1, 0x7fff
                                        ; implicit-def: $vgpr2
; %bb.17:
	s_and_not1_saveexec_b32 s4, s4
; %bb.18:
	v_and_b32_e32 v1, 0xffff, v2
	v_or_b32_e32 v3, 0x10000, v2
	s_delay_alu instid0(VALU_DEP_2) | instskip(NEXT) | instid1(VALU_DEP_2)
	v_cmp_eq_u32_e32 vcc_lo, 0, v1
	v_cndmask_b32_e32 v1, v3, v2, vcc_lo
; %bb.19:
	s_or_b32 exec_lo, exec_lo, s4
	s_mul_i32 s3, s33, s3
	s_mul_hi_u32 s4, s33, s2
	s_mul_i32 s2, s33, s2
	s_add_i32 s3, s4, s3
	s_mov_b32 s15, 0
	s_lshl_b64 s[2:3], s[2:3], 7
	v_and_b32_e32 v1, 0xffff0000, v1
	s_waitcnt lgkmcnt(0)
	s_add_u32 s2, s0, s2
	s_addc_u32 s3, s1, s3
	s_lshl_b64 s[0:1], s[14:15], 7
	s_delay_alu instid0(SALU_CYCLE_1)
	s_add_u32 s0, s2, s0
	s_addc_u32 s1, s3, s1
	v_add_co_u32 v0, s0, s0, v0
	v_cvt_i32_f32_e32 v2, v1
	v_add_co_ci_u32_e64 v1, null, s1, 0, s0
	global_store_b8 v[0:1], v2, off
	s_nop 0
	s_sendmsg sendmsg(MSG_DEALLOC_VGPRS)
	s_endpgm
.LBB595_20:
	s_mov_b32 s4, 0
	s_branch .LBB595_2
.LBB595_21:
	ds_load_b128 v[5:8], v2 offset:64
	ds_load_b128 v[9:12], v2 offset:80
	s_waitcnt lgkmcnt(1)
	v_fmac_f32_e32 v4, v5, v35
	s_delay_alu instid0(VALU_DEP_1) | instskip(NEXT) | instid1(VALU_DEP_1)
	v_fmac_f32_e32 v4, v6, v34
	v_fmac_f32_e32 v4, v7, v33
	s_delay_alu instid0(VALU_DEP_1) | instskip(SKIP_3) | instid1(VALU_DEP_1)
	v_fmac_f32_e32 v4, v8, v32
	ds_load_b128 v[5:8], v2 offset:96
	s_waitcnt lgkmcnt(1)
	v_fmac_f32_e32 v4, v9, v31
	v_fmac_f32_e32 v4, v10, v30
	s_delay_alu instid0(VALU_DEP_1) | instskip(NEXT) | instid1(VALU_DEP_1)
	v_fmac_f32_e32 v4, v11, v29
	v_fmac_f32_e32 v4, v12, v28
	ds_load_b128 v[9:12], v2 offset:112
	s_waitcnt lgkmcnt(1)
	v_fmac_f32_e32 v4, v5, v27
	s_delay_alu instid0(VALU_DEP_1) | instskip(NEXT) | instid1(VALU_DEP_1)
	v_fmac_f32_e32 v4, v6, v26
	v_fmac_f32_e32 v4, v7, v25
	s_delay_alu instid0(VALU_DEP_1) | instskip(SKIP_1) | instid1(VALU_DEP_1)
	v_fmac_f32_e32 v4, v8, v24
	s_waitcnt lgkmcnt(0)
	v_fmac_f32_e32 v4, v9, v23
	s_delay_alu instid0(VALU_DEP_1) | instskip(NEXT) | instid1(VALU_DEP_1)
	v_fmac_f32_e32 v4, v10, v22
	v_fmac_f32_e32 v4, v11, v21
	s_delay_alu instid0(VALU_DEP_1)
	v_fmac_f32_e32 v4, v12, v20
	s_cmpk_lt_i32 s20, 0x2001
	s_cbranch_scc1 .LBB595_13
.LBB595_22:
	s_cmpk_lt_i32 s50, 0x2100
	s_cselect_b32 s4, s51, 0x1000
	s_delay_alu instid0(SALU_CYCLE_1) | instskip(NEXT) | instid1(SALU_CYCLE_1)
	s_ashr_i32 s5, s4, 31
	s_lshl_b64 s[40:41], s[4:5], 1
	s_cmpk_lt_i32 s50, 0x2200
	v_add_co_u32 v5, vcc_lo, v1, s40
	s_cselect_b32 s4, s51, 0x1080
	v_add_co_ci_u32_e32 v6, vcc_lo, s41, v3, vcc_lo
	s_ashr_i32 s5, s4, 31
	s_delay_alu instid0(SALU_CYCLE_1)
	s_lshl_b64 s[42:43], s[4:5], 1
	s_cmpk_lt_i32 s50, 0x2300
	v_add_co_u32 v7, vcc_lo, v1, s42
	s_cselect_b32 s4, s51, 0x1100
	v_add_co_ci_u32_e32 v8, vcc_lo, s43, v3, vcc_lo
	s_ashr_i32 s5, s4, 31
	s_delay_alu instid0(SALU_CYCLE_1)
	;; [unrolled: 7-line block ×4, first 2 shown]
	s_lshl_b64 s[48:49], s[4:5], 1
	s_cmpk_lt_i32 s50, 0x2600
	v_add_co_u32 v13, vcc_lo, v1, s48
	s_cselect_b32 s4, s51, 0x1280
	v_add_co_ci_u32_e32 v14, vcc_lo, s49, v3, vcc_lo
	s_ashr_i32 s5, s4, 31
	s_clause 0x4
	global_load_u16 v15, v[5:6], off
	global_load_u16 v16, v[7:8], off
	;; [unrolled: 1-line block ×5, first 2 shown]
	s_lshl_b64 s[4:5], s[4:5], 1
	s_cmpk_lt_i32 s50, 0x2700
	v_add_co_u32 v5, vcc_lo, v1, s4
	s_cselect_b32 s6, s51, 0x1300
	v_add_co_ci_u32_e32 v6, vcc_lo, s5, v3, vcc_lo
	s_ashr_i32 s7, s6, 31
	s_delay_alu instid0(SALU_CYCLE_1)
	s_lshl_b64 s[6:7], s[6:7], 1
	s_cmpk_lt_i32 s50, 0x2800
	v_add_co_u32 v7, vcc_lo, v1, s6
	s_cselect_b32 s8, s51, 0x1380
	v_add_co_ci_u32_e32 v8, vcc_lo, s7, v3, vcc_lo
	s_ashr_i32 s9, s8, 31
	global_load_u16 v20, v[5:6], off
	s_lshl_b64 s[10:11], s[8:9], 1
	s_cmpk_lt_i32 s50, 0x2900
	v_add_co_u32 v9, vcc_lo, v1, s10
	s_cselect_b32 s8, s51, 0x1400
	v_add_co_ci_u32_e32 v10, vcc_lo, s11, v3, vcc_lo
	s_ashr_i32 s9, s8, 31
	s_clause 0x1
	global_load_u16 v21, v[7:8], off
	global_load_u16 v22, v[9:10], off
	s_lshl_b64 s[22:23], s[8:9], 1
	s_cmpk_lt_i32 s50, 0x2a00
	v_add_co_u32 v11, vcc_lo, v1, s22
	s_cselect_b32 s8, s51, 0x1480
	v_add_co_ci_u32_e32 v12, vcc_lo, s23, v3, vcc_lo
	s_ashr_i32 s9, s8, 31
	s_delay_alu instid0(SALU_CYCLE_1)
	s_lshl_b64 s[28:29], s[8:9], 1
	s_cmpk_lt_i32 s50, 0x2b00
	v_add_co_u32 v13, vcc_lo, v1, s28
	s_cselect_b32 s8, s51, 0x1500
	v_add_co_ci_u32_e32 v14, vcc_lo, s29, v3, vcc_lo
	s_ashr_i32 s9, s8, 31
	s_clause 0x1
	global_load_u16 v23, v[11:12], off
	global_load_u16 v13, v[13:14], off
	s_lshl_b64 s[8:9], s[8:9], 1
	s_cmpk_lt_i32 s50, 0x2c00
	v_add_co_u32 v5, vcc_lo, v1, s8
	s_cselect_b32 s18, s51, 0x1580
	v_add_co_ci_u32_e32 v6, vcc_lo, s9, v3, vcc_lo
	s_ashr_i32 s19, s18, 31
	s_delay_alu instid0(SALU_CYCLE_1)
	s_lshl_b64 s[18:19], s[18:19], 1
	s_cmpk_lt_i32 s50, 0x2d00
	v_add_co_u32 v7, vcc_lo, v1, s18
	s_cselect_b32 s20, s51, 0x1600
	v_add_co_ci_u32_e32 v8, vcc_lo, s19, v3, vcc_lo
	s_ashr_i32 s21, s20, 31
	global_load_u16 v14, v[5:6], off
	s_lshl_b64 s[24:25], s[20:21], 1
	s_cmpk_lt_i32 s50, 0x2e00
	v_add_co_u32 v9, vcc_lo, v1, s24
	s_cselect_b32 s20, s51, 0x1680
	v_add_co_ci_u32_e32 v10, vcc_lo, s25, v3, vcc_lo
	s_ashr_i32 s21, s20, 31
	s_delay_alu instid0(SALU_CYCLE_1)
	s_lshl_b64 s[30:31], s[20:21], 1
	s_cmpk_lt_i32 s50, 0x2f00
	v_add_co_u32 v11, vcc_lo, v1, s30
	s_cselect_b32 s20, s51, 0x1700
	v_add_co_ci_u32_e32 v12, vcc_lo, s31, v3, vcc_lo
	s_ashr_i32 s21, s20, 31
	s_clause 0x2
	global_load_u16 v24, v[7:8], off
	global_load_u16 v25, v[9:10], off
	;; [unrolled: 1-line block ×3, first 2 shown]
	s_lshl_b64 s[20:21], s[20:21], 1
	s_cmpk_lt_i32 s50, 0x3000
	v_add_co_u32 v5, vcc_lo, v1, s20
	s_cselect_b32 s26, s51, 0x1780
	v_add_co_ci_u32_e32 v6, vcc_lo, s21, v3, vcc_lo
	s_ashr_i32 s27, s26, 31
	s_delay_alu instid0(SALU_CYCLE_1)
	s_lshl_b64 s[26:27], s[26:27], 1
	s_cmpk_lt_i32 s50, 0x3100
	v_add_co_u32 v7, vcc_lo, v1, s26
	s_cselect_b32 s34, s51, 0x1800
	v_add_co_ci_u32_e32 v8, vcc_lo, s27, v3, vcc_lo
	s_ashr_i32 s35, s34, 31
	global_load_u16 v27, v[5:6], off
	s_lshl_b64 s[34:35], s[34:35], 1
	global_load_u16 v28, v[7:8], off
	s_cmpk_lt_i32 s50, 0x3200
	v_add_co_u32 v9, vcc_lo, v1, s34
	s_cselect_b32 s36, s51, 0x1880
	v_add_co_ci_u32_e32 v10, vcc_lo, s35, v3, vcc_lo
	s_ashr_i32 s37, s36, 31
	s_delay_alu instid0(SALU_CYCLE_1)
	s_lshl_b64 s[36:37], s[36:37], 1
	global_load_u16 v29, v[9:10], off
	s_cmpk_lt_i32 s50, 0x3300
	v_add_co_u32 v5, vcc_lo, v1, s36
	s_cselect_b32 s38, s51, 0x1900
	v_add_co_ci_u32_e32 v6, vcc_lo, s37, v3, vcc_lo
	s_ashr_i32 s39, s38, 31
	s_delay_alu instid0(SALU_CYCLE_1)
	s_lshl_b64 s[38:39], s[38:39], 1
	s_cmpk_lt_i32 s50, 0x3400
	v_add_co_u32 v7, vcc_lo, v1, s38
	s_cselect_b32 s52, s51, 0x1980
	v_add_co_ci_u32_e32 v8, vcc_lo, s39, v3, vcc_lo
	s_ashr_i32 s53, s52, 31
	global_load_u16 v30, v[5:6], off
	s_lshl_b64 s[40:41], s[52:53], 1
	global_load_u16 v31, v[7:8], off
	s_cmpk_lt_i32 s50, 0x3500
	v_add_co_u32 v9, vcc_lo, v1, s40
	s_cselect_b32 s42, s51, 0x1a00
	v_add_co_ci_u32_e32 v10, vcc_lo, s41, v3, vcc_lo
	s_ashr_i32 s43, s42, 31
	s_delay_alu instid0(SALU_CYCLE_1)
	s_lshl_b64 s[42:43], s[42:43], 1
	s_cmpk_lt_i32 s50, 0x3600
	v_add_co_u32 v5, vcc_lo, v1, s42
	s_cselect_b32 s44, s51, 0x1a80
	v_add_co_ci_u32_e32 v6, vcc_lo, s43, v3, vcc_lo
	s_ashr_i32 s45, s44, 31
	global_load_u16 v32, v[9:10], off
	s_lshl_b64 s[4:5], s[44:45], 1
	s_cmpk_lt_i32 s50, 0x3700
	v_add_co_u32 v7, vcc_lo, v1, s4
	s_cselect_b32 s6, s51, 0x1b00
	v_add_co_ci_u32_e32 v8, vcc_lo, s5, v3, vcc_lo
	s_ashr_i32 s7, s6, 31
	global_load_u16 v33, v[5:6], off
	s_lshl_b64 s[6:7], s[6:7], 1
	global_load_u16 v34, v[7:8], off
	s_cmpk_lt_i32 s50, 0x3800
	v_add_co_u32 v5, vcc_lo, v1, s6
	s_cselect_b32 s10, s51, 0x1b80
	v_add_co_ci_u32_e32 v6, vcc_lo, s7, v3, vcc_lo
	s_ashr_i32 s11, s10, 31
	s_delay_alu instid0(SALU_CYCLE_1)
	s_lshl_b64 s[8:9], s[10:11], 1
	s_cmpk_lt_i32 s50, 0x3900
	v_add_co_u32 v7, vcc_lo, v1, s8
	s_cselect_b32 s10, s51, 0x1c00
	v_add_co_ci_u32_e32 v8, vcc_lo, s9, v3, vcc_lo
	s_ashr_i32 s11, s10, 31
	global_load_u16 v35, v[5:6], off
	s_lshl_b64 s[10:11], s[10:11], 1
	global_load_u16 v36, v[7:8], off
	s_cmpk_lt_i32 s50, 0x3a00
	v_add_co_u32 v5, vcc_lo, v1, s10
	s_cselect_b32 s18, s51, 0x1c80
	v_add_co_ci_u32_e32 v6, vcc_lo, s11, v3, vcc_lo
	s_ashr_i32 s19, s18, 31
	s_delay_alu instid0(SALU_CYCLE_1)
	;; [unrolled: 15-line block ×5, first 2 shown]
	s_lshl_b64 s[4:5], s[6:7], 1
	global_load_u16 v43, v[5:6], off
	v_add_co_u32 v1, vcc_lo, v1, s4
	v_add_co_ci_u32_e32 v2, vcc_lo, s5, v3, vcc_lo
	global_load_u16 v1, v[1:2], off
	s_waitcnt vmcnt(31)
	v_dual_mov_b32 v2, 0 :: v_dual_lshlrev_b32 v3, 16, v15
	ds_load_b128 v[5:8], v2 offset:128
	ds_load_b128 v[9:12], v2 offset:144
	s_waitcnt vmcnt(30) lgkmcnt(1)
	v_dual_fmac_f32 v4, v5, v3 :: v_dual_lshlrev_b32 v3, 16, v16
	s_waitcnt vmcnt(29)
	s_delay_alu instid0(VALU_DEP_1) | instskip(SKIP_1) | instid1(VALU_DEP_1)
	v_dual_fmac_f32 v4, v6, v3 :: v_dual_lshlrev_b32 v3, 16, v17
	s_waitcnt vmcnt(28)
	v_dual_fmac_f32 v4, v7, v3 :: v_dual_lshlrev_b32 v3, 16, v18
	s_delay_alu instid0(VALU_DEP_1)
	v_fmac_f32_e32 v4, v8, v3
	s_waitcnt vmcnt(27)
	v_lshlrev_b32_e32 v3, 16, v19
	ds_load_b128 v[5:8], v2 offset:160
	s_waitcnt vmcnt(26) lgkmcnt(1)
	v_dual_fmac_f32 v4, v9, v3 :: v_dual_lshlrev_b32 v3, 16, v20
	s_waitcnt vmcnt(25)
	s_delay_alu instid0(VALU_DEP_1) | instskip(SKIP_1) | instid1(VALU_DEP_1)
	v_dual_fmac_f32 v4, v10, v3 :: v_dual_lshlrev_b32 v3, 16, v21
	s_waitcnt vmcnt(24)
	v_dual_fmac_f32 v4, v11, v3 :: v_dual_lshlrev_b32 v3, 16, v22
	s_delay_alu instid0(VALU_DEP_1)
	v_fmac_f32_e32 v4, v12, v3
	s_waitcnt vmcnt(23)
	v_lshlrev_b32_e32 v3, 16, v23
	ds_load_b128 v[9:12], v2 offset:176
	s_waitcnt vmcnt(22) lgkmcnt(1)
	v_dual_fmac_f32 v4, v5, v3 :: v_dual_lshlrev_b32 v3, 16, v13
	s_waitcnt vmcnt(21)
	s_delay_alu instid0(VALU_DEP_1) | instskip(SKIP_1) | instid1(VALU_DEP_1)
	v_dual_fmac_f32 v4, v6, v3 :: v_dual_lshlrev_b32 v3, 16, v14
	s_waitcnt vmcnt(20)
	v_dual_fmac_f32 v4, v7, v3 :: v_dual_lshlrev_b32 v3, 16, v24
	s_waitcnt vmcnt(19)
	s_delay_alu instid0(VALU_DEP_1) | instskip(SKIP_3) | instid1(VALU_DEP_1)
	v_dual_fmac_f32 v4, v8, v3 :: v_dual_lshlrev_b32 v3, 16, v25
	ds_load_b128 v[5:8], v2 offset:192
	s_waitcnt vmcnt(18) lgkmcnt(1)
	v_dual_fmac_f32 v4, v9, v3 :: v_dual_lshlrev_b32 v3, 16, v26
	v_fmac_f32_e32 v4, v10, v3
	s_waitcnt vmcnt(17)
	v_lshlrev_b32_e32 v3, 16, v27
	s_waitcnt vmcnt(16)
	s_delay_alu instid0(VALU_DEP_1) | instskip(SKIP_1) | instid1(VALU_DEP_1)
	v_dual_fmac_f32 v4, v11, v3 :: v_dual_lshlrev_b32 v3, 16, v28
	s_waitcnt vmcnt(15)
	v_dual_fmac_f32 v4, v12, v3 :: v_dual_lshlrev_b32 v3, 16, v29
	ds_load_b128 v[9:12], v2 offset:208
	s_waitcnt vmcnt(14) lgkmcnt(1)
	v_dual_fmac_f32 v4, v5, v3 :: v_dual_lshlrev_b32 v3, 16, v30
	s_delay_alu instid0(VALU_DEP_1) | instskip(SKIP_3) | instid1(VALU_DEP_1)
	v_fmac_f32_e32 v4, v6, v3
	s_waitcnt vmcnt(13)
	v_lshlrev_b32_e32 v3, 16, v31
	s_waitcnt vmcnt(12)
	v_dual_fmac_f32 v4, v7, v3 :: v_dual_lshlrev_b32 v3, 16, v32
	s_delay_alu instid0(VALU_DEP_1) | instskip(SKIP_4) | instid1(VALU_DEP_1)
	v_fmac_f32_e32 v4, v8, v3
	ds_load_b128 v[5:8], v2 offset:224
	s_waitcnt vmcnt(11)
	v_lshlrev_b32_e32 v3, 16, v33
	s_waitcnt vmcnt(0) lgkmcnt(1)
	v_dual_fmac_f32 v4, v9, v3 :: v_dual_lshlrev_b32 v1, 16, v1
	v_lshlrev_b32_e32 v3, 16, v34
	s_delay_alu instid0(VALU_DEP_1) | instskip(SKIP_1) | instid1(VALU_DEP_1)
	v_fmac_f32_e32 v4, v10, v3
	v_lshlrev_b32_e32 v3, 16, v35
	v_dual_fmac_f32 v4, v11, v3 :: v_dual_lshlrev_b32 v3, 16, v36
	s_delay_alu instid0(VALU_DEP_1) | instskip(SKIP_4) | instid1(VALU_DEP_1)
	v_dual_fmac_f32 v4, v12, v3 :: v_dual_lshlrev_b32 v3, 16, v37
	ds_load_b128 v[9:12], v2 offset:240
	v_lshlrev_b32_e32 v2, 16, v38
	s_waitcnt lgkmcnt(1)
	v_fmac_f32_e32 v4, v5, v3
	v_fmac_f32_e32 v4, v6, v2
	v_lshlrev_b32_e32 v2, 16, v39
	s_delay_alu instid0(VALU_DEP_1) | instskip(SKIP_1) | instid1(VALU_DEP_1)
	v_fmac_f32_e32 v4, v7, v2
	v_lshlrev_b32_e32 v2, 16, v40
	v_fmac_f32_e32 v4, v8, v2
	v_lshlrev_b32_e32 v2, 16, v41
	s_waitcnt lgkmcnt(0)
	s_delay_alu instid0(VALU_DEP_1) | instskip(SKIP_1) | instid1(VALU_DEP_1)
	v_fmac_f32_e32 v4, v9, v2
	v_lshlrev_b32_e32 v2, 16, v42
	v_fmac_f32_e32 v4, v10, v2
	v_lshlrev_b32_e32 v2, 16, v43
	s_delay_alu instid0(VALU_DEP_1) | instskip(NEXT) | instid1(VALU_DEP_1)
	v_fmac_f32_e32 v4, v11, v2
	v_dual_fmac_f32 v4, v12, v1 :: v_dual_mov_b32 v1, 0
	s_and_not1_b32 vcc_lo, exec_lo, s15
	ds_load_b32 v1, v1 offset:256
	s_cbranch_vccz .LBB595_14
	s_branch .LBB595_15
	.section	.rodata,"a",@progbits
	.p2align	6, 0x0
	.amdhsa_kernel _Z35paged_attention_ll4mi_reduce_kernelI14__hip_bfloat16hLi128ELi128ELi256ELi2EEvPT0_PKfS4_PKT_PKiS9_iS4_
		.amdhsa_group_segment_fixed_size 260
		.amdhsa_private_segment_fixed_size 0
		.amdhsa_kernarg_size 320
		.amdhsa_user_sgpr_count 14
		.amdhsa_user_sgpr_dispatch_ptr 0
		.amdhsa_user_sgpr_queue_ptr 0
		.amdhsa_user_sgpr_kernarg_segment_ptr 1
		.amdhsa_user_sgpr_dispatch_id 0
		.amdhsa_user_sgpr_private_segment_size 0
		.amdhsa_wavefront_size32 1
		.amdhsa_uses_dynamic_stack 0
		.amdhsa_enable_private_segment 0
		.amdhsa_system_sgpr_workgroup_id_x 1
		.amdhsa_system_sgpr_workgroup_id_y 1
		.amdhsa_system_sgpr_workgroup_id_z 0
		.amdhsa_system_sgpr_workgroup_info 0
		.amdhsa_system_vgpr_workitem_id 0
		.amdhsa_next_free_vgpr 52
		.amdhsa_next_free_sgpr 54
		.amdhsa_reserve_vcc 1
		.amdhsa_float_round_mode_32 0
		.amdhsa_float_round_mode_16_64 0
		.amdhsa_float_denorm_mode_32 3
		.amdhsa_float_denorm_mode_16_64 3
		.amdhsa_dx10_clamp 1
		.amdhsa_ieee_mode 1
		.amdhsa_fp16_overflow 0
		.amdhsa_workgroup_processor_mode 1
		.amdhsa_memory_ordered 1
		.amdhsa_forward_progress 0
		.amdhsa_shared_vgpr_count 0
		.amdhsa_exception_fp_ieee_invalid_op 0
		.amdhsa_exception_fp_denorm_src 0
		.amdhsa_exception_fp_ieee_div_zero 0
		.amdhsa_exception_fp_ieee_overflow 0
		.amdhsa_exception_fp_ieee_underflow 0
		.amdhsa_exception_fp_ieee_inexact 0
		.amdhsa_exception_int_div_zero 0
	.end_amdhsa_kernel
	.section	.text._Z35paged_attention_ll4mi_reduce_kernelI14__hip_bfloat16hLi128ELi128ELi256ELi2EEvPT0_PKfS4_PKT_PKiS9_iS4_,"axG",@progbits,_Z35paged_attention_ll4mi_reduce_kernelI14__hip_bfloat16hLi128ELi128ELi256ELi2EEvPT0_PKfS4_PKT_PKiS9_iS4_,comdat
.Lfunc_end595:
	.size	_Z35paged_attention_ll4mi_reduce_kernelI14__hip_bfloat16hLi128ELi128ELi256ELi2EEvPT0_PKfS4_PKT_PKiS9_iS4_, .Lfunc_end595-_Z35paged_attention_ll4mi_reduce_kernelI14__hip_bfloat16hLi128ELi128ELi256ELi2EEvPT0_PKfS4_PKT_PKiS9_iS4_
                                        ; -- End function
	.section	.AMDGPU.csdata,"",@progbits
; Kernel info:
; codeLenInByte = 5384
; NumSgprs: 56
; NumVgprs: 52
; ScratchSize: 0
; MemoryBound: 0
; FloatMode: 240
; IeeeMode: 1
; LDSByteSize: 260 bytes/workgroup (compile time only)
; SGPRBlocks: 6
; VGPRBlocks: 6
; NumSGPRsForWavesPerEU: 56
; NumVGPRsForWavesPerEU: 52
; Occupancy: 16
; WaveLimiterHint : 0
; COMPUTE_PGM_RSRC2:SCRATCH_EN: 0
; COMPUTE_PGM_RSRC2:USER_SGPR: 14
; COMPUTE_PGM_RSRC2:TRAP_HANDLER: 0
; COMPUTE_PGM_RSRC2:TGID_X_EN: 1
; COMPUTE_PGM_RSRC2:TGID_Y_EN: 1
; COMPUTE_PGM_RSRC2:TGID_Z_EN: 0
; COMPUTE_PGM_RSRC2:TIDIG_COMP_CNT: 0
	.section	.text._Z35paged_attention_ll4mi_reduce_kernelI14__hip_bfloat16hLi128ELi128ELi256ELi3EEvPT0_PKfS4_PKT_PKiS9_iS4_,"axG",@progbits,_Z35paged_attention_ll4mi_reduce_kernelI14__hip_bfloat16hLi128ELi128ELi256ELi3EEvPT0_PKfS4_PKT_PKiS9_iS4_,comdat
	.protected	_Z35paged_attention_ll4mi_reduce_kernelI14__hip_bfloat16hLi128ELi128ELi256ELi3EEvPT0_PKfS4_PKT_PKiS9_iS4_ ; -- Begin function _Z35paged_attention_ll4mi_reduce_kernelI14__hip_bfloat16hLi128ELi128ELi256ELi3EEvPT0_PKfS4_PKT_PKiS9_iS4_
	.globl	_Z35paged_attention_ll4mi_reduce_kernelI14__hip_bfloat16hLi128ELi128ELi256ELi3EEvPT0_PKfS4_PKT_PKiS9_iS4_
	.p2align	8
	.type	_Z35paged_attention_ll4mi_reduce_kernelI14__hip_bfloat16hLi128ELi128ELi256ELi3EEvPT0_PKfS4_PKT_PKiS9_iS4_,@function
_Z35paged_attention_ll4mi_reduce_kernelI14__hip_bfloat16hLi128ELi128ELi256ELi3EEvPT0_PKfS4_PKT_PKiS9_iS4_: ; @_Z35paged_attention_ll4mi_reduce_kernelI14__hip_bfloat16hLi128ELi128ELi256ELi3EEvPT0_PKfS4_PKT_PKiS9_iS4_
; %bb.0:
	s_load_b64 s[12:13], s[0:1], 0x28
	s_mov_b32 s2, s15
	s_waitcnt lgkmcnt(0)
	s_cmp_lg_u64 s[12:13], 0
	s_cselect_b32 s15, -1, 0
	s_delay_alu instid0(SALU_CYCLE_1)
	s_and_b32 vcc_lo, exec_lo, s15
	s_cbranch_vccz .LBB596_21
; %bb.1:
	s_add_i32 s4, s2, 1
	s_mov_b32 s5, 0
	s_delay_alu instid0(SALU_CYCLE_1) | instskip(SKIP_4) | instid1(SALU_CYCLE_1)
	s_lshl_b64 s[6:7], s[4:5], 2
	s_mov_b32 s3, s5
	s_add_u32 s6, s12, s6
	s_addc_u32 s7, s13, s7
	s_lshl_b64 s[8:9], s[2:3], 2
	s_add_u32 s8, s12, s8
	s_addc_u32 s9, s13, s9
	s_clause 0x1
	s_load_b32 s4, s[6:7], 0x0
	s_load_b32 s6, s[8:9], 0x0
	s_waitcnt lgkmcnt(0)
	s_sub_i32 s4, s4, s6
	s_delay_alu instid0(SALU_CYCLE_1)
	s_cmp_eq_u32 s4, 1
	s_cselect_b32 s4, -1, 0
	s_cbranch_execnz .LBB596_3
.LBB596_2:
	s_mov_b32 s3, 0
	s_mov_b32 s4, -1
.LBB596_3:
	s_delay_alu instid0(SALU_CYCLE_1)
	s_and_not1_b32 vcc_lo, exec_lo, s4
	s_cbranch_vccz .LBB596_5
; %bb.4:
	s_endpgm
.LBB596_5:
	s_clause 0x1
	s_load_b128 s[4:7], s[0:1], 0x18
	s_load_b32 s9, s[0:1], 0x30
	s_lshl_b64 s[16:17], s[2:3], 2
	s_waitcnt lgkmcnt(0)
	s_add_u32 s6, s6, s16
	s_addc_u32 s7, s7, s17
	s_load_b32 s20, s[6:7], 0x0
	s_load_b32 s33, s[0:1], 0x40
	s_mul_i32 s7, s2, s9
	s_waitcnt lgkmcnt(0)
	s_add_i32 s50, s20, 0xff
	s_delay_alu instid0(SALU_CYCLE_1) | instskip(NEXT) | instid1(SALU_CYCLE_1)
	s_ashr_i32 s6, s50, 31
	s_lshr_b32 s6, s6, 24
	s_delay_alu instid0(SALU_CYCLE_1) | instskip(SKIP_4) | instid1(SALU_CYCLE_1)
	s_add_i32 s8, s50, s6
	s_mul_i32 s6, s14, s9
	s_mov_b32 s9, exec_lo
	v_cmpx_lt_u32_e32 31, v0
	s_xor_b32 s9, exec_lo, s9
	s_or_saveexec_b32 s22, s9
	v_mov_b32_e32 v1, s6
	s_ashr_i32 s21, s8, 8
	s_mul_i32 s18, s7, s33
	s_xor_b32 exec_lo, exec_lo, s22
	s_cbranch_execz .LBB596_9
; %bb.6:
	s_load_b128 s[8:11], s[0:1], 0x8
	v_or_b32_e32 v2, 32, v0
	v_cmp_gt_i32_e32 vcc_lo, s21, v0
	s_add_i32 s7, s21, -1
	v_or_b32_e32 v4, 64, v0
	s_mov_b32 s19, 0
	v_cndmask_b32_e32 v1, s7, v0, vcc_lo
	v_cmp_gt_i32_e32 vcc_lo, s21, v2
	s_lshl_b64 s[24:25], s[18:19], 2
	v_cndmask_b32_e32 v3, s7, v2, vcc_lo
	v_cmp_gt_i32_e32 vcc_lo, s21, v4
	v_ashrrev_i32_e32 v2, 31, v1
	v_cndmask_b32_e32 v5, s7, v4, vcc_lo
	s_delay_alu instid0(VALU_DEP_4) | instskip(SKIP_1) | instid1(VALU_DEP_3)
	v_ashrrev_i32_e32 v4, 31, v3
	s_mov_b32 s7, s19
	v_lshlrev_b64 v[1:2], 2, v[1:2]
	s_waitcnt lgkmcnt(0)
	s_add_u32 s19, s10, s24
	v_ashrrev_i32_e32 v6, 31, v5
	s_addc_u32 s23, s11, s25
	s_lshl_b64 s[10:11], s[6:7], 2
	v_lshlrev_b64 v[3:4], 2, v[3:4]
	s_add_u32 s7, s19, s10
	s_addc_u32 s19, s23, s11
	v_add_co_u32 v7, vcc_lo, s7, v1
	v_lshlrev_b64 v[5:6], 2, v[5:6]
	v_add_co_ci_u32_e32 v8, vcc_lo, s19, v2, vcc_lo
	v_add_co_u32 v9, vcc_lo, s7, v3
	v_add_co_ci_u32_e32 v10, vcc_lo, s19, v4, vcc_lo
	s_delay_alu instid0(VALU_DEP_4)
	v_add_co_u32 v11, vcc_lo, s7, v5
	v_add_co_ci_u32_e32 v12, vcc_lo, s19, v6, vcc_lo
	s_clause 0x2
	global_load_b32 v7, v[7:8], off
	global_load_b32 v8, v[9:10], off
	;; [unrolled: 1-line block ×3, first 2 shown]
	s_add_u32 s7, s8, s24
	s_addc_u32 s8, s9, s25
	s_add_u32 s7, s7, s10
	s_addc_u32 s8, s8, s11
	v_add_co_u32 v1, vcc_lo, s7, v1
	v_add_co_ci_u32_e32 v2, vcc_lo, s8, v2, vcc_lo
	v_add_co_u32 v3, vcc_lo, s7, v3
	v_add_co_ci_u32_e32 v4, vcc_lo, s8, v4, vcc_lo
	;; [unrolled: 2-line block ×3, first 2 shown]
	s_clause 0x2
	global_load_b32 v1, v[1:2], off
	global_load_b32 v2, v[3:4], off
	;; [unrolled: 1-line block ×3, first 2 shown]
	v_mbcnt_lo_u32_b32 v4, -1, 0
	s_mov_b32 s7, exec_lo
	s_delay_alu instid0(VALU_DEP_1)
	v_xor_b32_e32 v5, 16, v4
	v_xor_b32_e32 v11, 8, v4
	;; [unrolled: 1-line block ×5, first 2 shown]
	v_cmp_gt_i32_e32 vcc_lo, 32, v5
	v_cndmask_b32_e32 v5, v4, v5, vcc_lo
	v_cmp_gt_i32_e32 vcc_lo, 32, v11
	v_cndmask_b32_e32 v11, v4, v11, vcc_lo
	v_cmp_gt_i32_e32 vcc_lo, 32, v12
	s_delay_alu instid0(VALU_DEP_4) | instskip(NEXT) | instid1(VALU_DEP_3)
	v_lshlrev_b32_e32 v5, 2, v5
	v_dual_cndmask_b32 v12, v4, v12 :: v_dual_lshlrev_b32 v11, 2, v11
	v_cmp_gt_i32_e32 vcc_lo, 32, v13
	s_delay_alu instid0(VALU_DEP_2)
	v_lshlrev_b32_e32 v12, 2, v12
	s_waitcnt vmcnt(3)
	v_max3_f32 v6, v7, v8, v9
	ds_bpermute_b32 v10, v5, v6
	s_waitcnt lgkmcnt(0)
	v_max_f32_e32 v10, v10, v10
	s_delay_alu instid0(VALU_DEP_1) | instskip(SKIP_3) | instid1(VALU_DEP_1)
	v_max_f32_e32 v6, v6, v10
	ds_bpermute_b32 v10, v11, v6
	s_waitcnt lgkmcnt(0)
	v_max_f32_e32 v10, v10, v10
	v_max_f32_e32 v6, v6, v10
	ds_bpermute_b32 v10, v12, v6
	s_waitcnt lgkmcnt(0)
	v_dual_max_f32 v10, v10, v10 :: v_dual_cndmask_b32 v13, v4, v13
	v_cmp_gt_i32_e32 vcc_lo, 32, v14
	s_delay_alu instid0(VALU_DEP_2)
	v_dual_max_f32 v6, v6, v10 :: v_dual_lshlrev_b32 v13, 2, v13
	v_cndmask_b32_e32 v4, v4, v14, vcc_lo
	ds_bpermute_b32 v10, v13, v6
	v_lshlrev_b32_e32 v4, 2, v4
	s_waitcnt lgkmcnt(0)
	v_max_f32_e32 v10, v10, v10
	s_delay_alu instid0(VALU_DEP_1) | instskip(SKIP_3) | instid1(VALU_DEP_1)
	v_max_f32_e32 v6, v6, v10
	ds_bpermute_b32 v10, v4, v6
	s_waitcnt lgkmcnt(0)
	v_max_f32_e32 v10, v10, v10
	v_max_f32_e32 v6, v6, v10
	s_delay_alu instid0(VALU_DEP_1) | instskip(NEXT) | instid1(VALU_DEP_1)
	v_sub_f32_e32 v8, v8, v6
	v_mul_f32_e32 v10, 0x3fb8aa3b, v8
	s_delay_alu instid0(VALU_DEP_1) | instskip(SKIP_1) | instid1(VALU_DEP_2)
	v_fma_f32 v17, 0x3fb8aa3b, v8, -v10
	v_rndne_f32_e32 v18, v10
	v_fmac_f32_e32 v17, 0x32a5705f, v8
	v_sub_f32_e32 v7, v7, v6
	s_delay_alu instid0(VALU_DEP_1) | instskip(SKIP_1) | instid1(VALU_DEP_1)
	v_cmp_ngt_f32_e32 vcc_lo, 0xc2ce8ed0, v7
	v_dual_sub_f32 v6, v9, v6 :: v_dual_mul_f32 v9, 0x3fb8aa3b, v7
	v_fma_f32 v15, 0x3fb8aa3b, v7, -v9
	v_rndne_f32_e32 v16, v9
	s_delay_alu instid0(VALU_DEP_2) | instskip(NEXT) | instid1(VALU_DEP_2)
	v_fmac_f32_e32 v15, 0x32a5705f, v7
	v_sub_f32_e32 v9, v9, v16
	s_delay_alu instid0(VALU_DEP_1) | instskip(SKIP_2) | instid1(VALU_DEP_3)
	v_add_f32_e32 v9, v9, v15
	v_cvt_i32_f32_e32 v15, v16
	v_cvt_i32_f32_e32 v16, v18
	v_exp_f32_e32 v9, v9
	s_waitcnt_depctr 0xfff
	v_ldexp_f32 v9, v9, v15
	v_sub_nc_u32_e32 v15, s21, v0
	s_delay_alu instid0(VALU_DEP_2) | instskip(SKIP_2) | instid1(VALU_DEP_3)
	v_dual_cndmask_b32 v9, 0, v9 :: v_dual_mul_f32 v14, 0x3fb8aa3b, v6
	v_sub_f32_e32 v10, v10, v18
	v_cmp_ngt_f32_e32 vcc_lo, 0xc2ce8ed0, v8
	v_fma_f32 v19, 0x3fb8aa3b, v6, -v14
	v_rndne_f32_e32 v20, v14
	s_delay_alu instid0(VALU_DEP_2) | instskip(NEXT) | instid1(VALU_DEP_2)
	v_dual_add_f32 v10, v10, v17 :: v_dual_fmac_f32 v19, 0x32a5705f, v6
	v_sub_f32_e32 v14, v14, v20
	s_delay_alu instid0(VALU_DEP_2) | instskip(SKIP_1) | instid1(VALU_DEP_2)
	v_exp_f32_e32 v10, v10
	v_cvt_i32_f32_e32 v17, v20
	v_add_f32_e32 v14, v14, v19
	s_delay_alu instid0(VALU_DEP_1) | instskip(SKIP_2) | instid1(VALU_DEP_1)
	v_exp_f32_e32 v14, v14
	s_waitcnt_depctr 0xfff
	v_ldexp_f32 v10, v10, v16
	v_cndmask_b32_e32 v10, 0, v10, vcc_lo
	v_cmp_ngt_f32_e32 vcc_lo, 0xc2ce8ed0, v6
	v_ldexp_f32 v14, v14, v17
	s_delay_alu instid0(VALU_DEP_1)
	v_cndmask_b32_e32 v14, 0, v14, vcc_lo
	v_cmp_nlt_f32_e32 vcc_lo, 0x42b17218, v7
	v_cndmask_b32_e32 v7, 0x7f800000, v9, vcc_lo
	v_cmp_nlt_f32_e32 vcc_lo, 0x42b17218, v8
	;; [unrolled: 2-line block ×3, first 2 shown]
	v_cndmask_b32_e32 v6, 0x7f800000, v14, vcc_lo
	v_cmp_lt_i32_e32 vcc_lo, 0, v15
	v_cndmask_b32_e32 v7, 0, v7, vcc_lo
	v_cmp_lt_i32_e32 vcc_lo, 32, v15
	s_waitcnt vmcnt(2)
	s_delay_alu instid0(VALU_DEP_2) | instskip(SKIP_2) | instid1(VALU_DEP_2)
	v_dual_mul_f32 v7, v1, v7 :: v_dual_cndmask_b32 v8, 0, v8
	v_cmp_lt_i32_e32 vcc_lo, 64, v15
	s_waitcnt vmcnt(1)
	v_mul_f32_e32 v8, v2, v8
	s_delay_alu instid0(VALU_DEP_1) | instskip(SKIP_1) | instid1(VALU_DEP_1)
	v_dual_cndmask_b32 v6, 0, v6 :: v_dual_add_f32 v1, v7, v8
	s_waitcnt vmcnt(0)
	v_mul_f32_e32 v3, v3, v6
	s_delay_alu instid0(VALU_DEP_1)
	v_add_f32_e32 v1, v1, v3
	ds_bpermute_b32 v2, v5, v1
	s_waitcnt lgkmcnt(0)
	v_add_f32_e32 v1, v1, v2
	ds_bpermute_b32 v2, v11, v1
	s_waitcnt lgkmcnt(0)
	;; [unrolled: 3-line block ×4, first 2 shown]
	v_add_f32_e32 v1, v1, v2
	ds_bpermute_b32 v2, v4, v1
	v_lshlrev_b32_e32 v4, 2, v0
	ds_store_2addr_b32 v4, v7, v8 offset1:32
	ds_store_b32 v4, v3 offset:256
	v_cmpx_eq_u32_e32 0, v0
	s_cbranch_execz .LBB596_8
; %bb.7:
	s_waitcnt lgkmcnt(2)
	v_dual_add_f32 v1, v1, v2 :: v_dual_mov_b32 v2, 0
	ds_store_b32 v2, v1 offset:384
.LBB596_8:
	s_or_b32 exec_lo, exec_lo, s7
	v_mov_b32_e32 v1, s6
.LBB596_9:
	s_or_b32 exec_lo, exec_lo, s22
	s_lshl_b32 s6, s18, 7
	s_mov_b32 s7, 0
	s_waitcnt lgkmcnt(2)
	v_dual_mov_b32 v2, 0 :: v_dual_lshlrev_b32 v1, 7, v1
	s_lshl_b64 s[6:7], s[6:7], 1
	v_dual_mov_b32 v33, 0 :: v_dual_mov_b32 v34, 0
	s_add_u32 s34, s4, s6
	s_addc_u32 s35, s5, s7
	s_lshl_b32 s51, s21, 7
	v_lshlrev_b64 v[3:4], 1, v[1:2]
	s_addk_i32 s51, 0xff80
	s_cmpk_lt_i32 s50, 0x100
	v_lshlrev_b32_e32 v1, 1, v0
	s_cselect_b32 s4, s51, 0
	v_mov_b32_e32 v35, 0
	s_ashr_i32 s5, s4, 31
	v_add_co_u32 v3, vcc_lo, s34, v3
	s_lshl_b64 s[4:5], s[4:5], 1
	s_cmpk_lt_i32 s50, 0x200
	v_add_co_ci_u32_e32 v4, vcc_lo, s35, v4, vcc_lo
	s_cselect_b32 s6, s51, 0x80
	v_add_co_u32 v1, vcc_lo, v3, v1
	s_ashr_i32 s7, s6, 31
	s_delay_alu instid0(VALU_DEP_2)
	v_add_co_ci_u32_e32 v3, vcc_lo, 0, v4, vcc_lo
	s_lshl_b64 s[6:7], s[6:7], 1
	s_cmpk_lt_i32 s50, 0x300
	v_add_co_u32 v4, vcc_lo, v1, s4
	s_cselect_b32 s8, s51, 0x100
	v_add_co_ci_u32_e32 v5, vcc_lo, s5, v3, vcc_lo
	s_ashr_i32 s9, s8, 31
	v_add_co_u32 v6, vcc_lo, v1, s6
	s_lshl_b64 s[8:9], s[8:9], 1
	s_cmpk_lt_i32 s50, 0x400
	v_add_co_ci_u32_e32 v7, vcc_lo, s7, v3, vcc_lo
	s_cselect_b32 s10, s51, 0x180
	v_add_co_u32 v8, vcc_lo, v1, s8
	s_ashr_i32 s11, s10, 31
	v_add_co_ci_u32_e32 v9, vcc_lo, s9, v3, vcc_lo
	s_lshl_b64 s[10:11], s[10:11], 1
	s_cmpk_lt_i32 s50, 0x500
	v_add_co_u32 v14, vcc_lo, v1, s10
	s_cselect_b32 s18, s51, 0x200
	v_add_co_ci_u32_e32 v15, vcc_lo, s11, v3, vcc_lo
	s_ashr_i32 s19, s18, 31
	v_mov_b32_e32 v32, 0
	s_lshl_b64 s[18:19], s[18:19], 1
	s_cmpk_lt_i32 s50, 0x600
	v_add_co_u32 v16, vcc_lo, v1, s18
	s_cselect_b32 s22, s51, 0x280
	v_add_co_ci_u32_e32 v17, vcc_lo, s19, v3, vcc_lo
	s_ashr_i32 s23, s22, 31
	s_delay_alu instid0(SALU_CYCLE_1)
	s_lshl_b64 s[22:23], s[22:23], 1
	s_cmpk_lt_i32 s50, 0x700
	v_add_co_u32 v18, vcc_lo, v1, s22
	s_cselect_b32 s24, s51, 0x300
	v_add_co_ci_u32_e32 v19, vcc_lo, s23, v3, vcc_lo
	s_ashr_i32 s25, s24, 31
	s_delay_alu instid0(SALU_CYCLE_1)
	;; [unrolled: 7-line block ×3, first 2 shown]
	s_lshl_b64 s[26:27], s[26:27], 1
	s_cmpk_lt_i32 s50, 0x900
	v_add_co_u32 v22, vcc_lo, v1, s26
	s_cselect_b32 s28, s51, 0x400
	v_add_co_ci_u32_e32 v23, vcc_lo, s27, v3, vcc_lo
	s_ashr_i32 s29, s28, 31
	s_clause 0x7
	global_load_u16 v13, v[4:5], off
	global_load_u16 v4, v[6:7], off
	;; [unrolled: 1-line block ×8, first 2 shown]
	s_lshl_b64 s[28:29], s[28:29], 1
	s_cmpk_lt_i32 s50, 0xa00
	v_add_co_u32 v14, vcc_lo, v1, s28
	s_cselect_b32 s30, s51, 0x480
	v_add_co_ci_u32_e32 v15, vcc_lo, s29, v3, vcc_lo
	s_ashr_i32 s31, s30, 31
	s_delay_alu instid0(SALU_CYCLE_1)
	s_lshl_b64 s[30:31], s[30:31], 1
	s_cmpk_lt_i32 s50, 0xb00
	v_add_co_u32 v16, vcc_lo, v1, s30
	s_cselect_b32 s34, s51, 0x500
	v_add_co_ci_u32_e32 v17, vcc_lo, s31, v3, vcc_lo
	s_ashr_i32 s35, s34, 31
	s_delay_alu instid0(SALU_CYCLE_1)
	;; [unrolled: 7-line block ×7, first 2 shown]
	s_lshl_b64 s[4:5], s[6:7], 1
	s_cmpk_gt_i32 s20, 0x1000
	v_add_co_u32 v30, vcc_lo, v1, s4
	v_add_co_ci_u32_e32 v31, vcc_lo, s5, v3, vcc_lo
	s_clause 0x7
	global_load_u16 v19, v[14:15], off
	global_load_u16 v18, v[16:17], off
	global_load_u16 v17, v[20:21], off
	global_load_u16 v16, v[22:23], off
	global_load_u16 v15, v[24:25], off
	global_load_u16 v14, v[26:27], off
	global_load_u16 v12, v[28:29], off
	global_load_u16 v10, v[30:31], off
	v_dual_mov_b32 v20, 0 :: v_dual_mov_b32 v21, 0
	v_dual_mov_b32 v22, 0 :: v_dual_mov_b32 v23, 0
	v_dual_mov_b32 v24, 0 :: v_dual_mov_b32 v25, 0
	v_dual_mov_b32 v26, 0 :: v_dual_mov_b32 v27, 0
	v_dual_mov_b32 v28, 0 :: v_dual_mov_b32 v29, 0
	v_dual_mov_b32 v30, 0 :: v_dual_mov_b32 v31, 0
	s_cselect_b32 s6, -1, 0
	s_cmpk_lt_i32 s20, 0x1001
	s_waitcnt vmcnt(0) lgkmcnt(0)
	s_barrier
	buffer_gl0_inv
	s_cbranch_scc1 .LBB596_11
; %bb.10:
	s_cmpk_lt_i32 s50, 0x1100
	s_cselect_b32 s4, s51, 0x800
	s_delay_alu instid0(SALU_CYCLE_1) | instskip(NEXT) | instid1(SALU_CYCLE_1)
	s_ashr_i32 s5, s4, 31
	s_lshl_b64 s[4:5], s[4:5], 1
	s_cmpk_lt_i32 s50, 0x1200
	v_add_co_u32 v20, vcc_lo, v1, s4
	s_cselect_b32 s8, s51, 0x880
	v_add_co_ci_u32_e32 v21, vcc_lo, s5, v3, vcc_lo
	s_ashr_i32 s9, s8, 31
	s_delay_alu instid0(SALU_CYCLE_1)
	s_lshl_b64 s[8:9], s[8:9], 1
	s_cmpk_lt_i32 s50, 0x1300
	v_add_co_u32 v22, vcc_lo, v1, s8
	s_cselect_b32 s10, s51, 0x900
	v_add_co_ci_u32_e32 v23, vcc_lo, s9, v3, vcc_lo
	s_ashr_i32 s11, s10, 31
	s_delay_alu instid0(SALU_CYCLE_1)
	;; [unrolled: 7-line block ×14, first 2 shown]
	s_lshl_b64 s[4:5], s[18:19], 1
	s_cmpk_lt_i32 s50, 0x2000
	v_add_co_u32 v48, vcc_lo, v1, s4
	s_cselect_b32 s8, s51, 0xf80
	v_add_co_ci_u32_e32 v49, vcc_lo, s5, v3, vcc_lo
	s_ashr_i32 s9, s8, 31
	s_delay_alu instid0(SALU_CYCLE_1) | instskip(NEXT) | instid1(SALU_CYCLE_1)
	s_lshl_b64 s[4:5], s[8:9], 1
	v_add_co_u32 v50, vcc_lo, v1, s4
	v_add_co_ci_u32_e32 v51, vcc_lo, s5, v3, vcc_lo
	s_clause 0xf
	global_load_u16 v20, v[20:21], off
	global_load_u16 v21, v[22:23], off
	;; [unrolled: 1-line block ×16, first 2 shown]
	s_waitcnt vmcnt(15)
	v_lshlrev_b32_e32 v35, 16, v20
	s_waitcnt vmcnt(14)
	v_lshlrev_b32_e32 v34, 16, v21
	;; [unrolled: 2-line block ×16, first 2 shown]
.LBB596_11:
	ds_load_b128 v[36:39], v2
	ds_load_b128 v[40:43], v2 offset:16
	v_lshlrev_b32_e32 v44, 16, v4
	v_lshlrev_b32_e32 v13, 16, v13
	;; [unrolled: 1-line block ×4, first 2 shown]
	s_and_not1_b32 vcc_lo, exec_lo, s6
	v_lshlrev_b32_e32 v5, 16, v5
	s_waitcnt lgkmcnt(1)
	v_fma_f32 v4, v36, v13, 0
	s_delay_alu instid0(VALU_DEP_1) | instskip(SKIP_1) | instid1(VALU_DEP_1)
	v_dual_fmac_f32 v4, v37, v44 :: v_dual_lshlrev_b32 v9, 16, v9
	v_lshlrev_b32_e32 v11, 16, v11
	v_dual_fmac_f32 v4, v38, v11 :: v_dual_lshlrev_b32 v11, 16, v18
	s_delay_alu instid0(VALU_DEP_1) | instskip(SKIP_3) | instid1(VALU_DEP_1)
	v_dual_fmac_f32 v4, v39, v9 :: v_dual_lshlrev_b32 v7, 16, v7
	ds_load_b128 v[36:39], v2 offset:32
	s_waitcnt lgkmcnt(1)
	v_dual_fmac_f32 v4, v40, v8 :: v_dual_lshlrev_b32 v9, 16, v19
	v_fmac_f32_e32 v4, v41, v7
	s_delay_alu instid0(VALU_DEP_1) | instskip(NEXT) | instid1(VALU_DEP_1)
	v_fmac_f32_e32 v4, v42, v6
	v_fmac_f32_e32 v4, v43, v5
	ds_load_b128 v[5:8], v2 offset:48
	s_waitcnt lgkmcnt(1)
	v_fmac_f32_e32 v4, v36, v9
	s_delay_alu instid0(VALU_DEP_1) | instskip(NEXT) | instid1(VALU_DEP_1)
	v_dual_fmac_f32 v4, v37, v11 :: v_dual_lshlrev_b32 v9, 16, v17
	v_dual_fmac_f32 v4, v38, v9 :: v_dual_lshlrev_b32 v11, 16, v16
	v_lshlrev_b32_e32 v9, 16, v15
	s_delay_alu instid0(VALU_DEP_2) | instskip(SKIP_1) | instid1(VALU_DEP_1)
	v_dual_fmac_f32 v4, v39, v11 :: v_dual_lshlrev_b32 v11, 16, v14
	s_waitcnt lgkmcnt(0)
	v_dual_fmac_f32 v4, v5, v9 :: v_dual_lshlrev_b32 v5, 16, v12
	s_delay_alu instid0(VALU_DEP_1) | instskip(NEXT) | instid1(VALU_DEP_1)
	v_fmac_f32_e32 v4, v6, v11
	v_dual_fmac_f32 v4, v7, v5 :: v_dual_lshlrev_b32 v5, 16, v10
	s_delay_alu instid0(VALU_DEP_1)
	v_fmac_f32_e32 v4, v8, v5
	s_cbranch_vccz .LBB596_22
; %bb.12:
	s_cmpk_lt_i32 s50, 0x2100
	s_cbranch_scc0 .LBB596_23
.LBB596_13:
	s_cmpk_lt_i32 s50, 0x4100
	s_cbranch_scc0 .LBB596_24
.LBB596_14:
	v_mov_b32_e32 v1, 0
	s_and_not1_b32 vcc_lo, exec_lo, s15
	ds_load_b32 v1, v1 offset:384
	s_cbranch_vccnz .LBB596_16
.LBB596_15:
	s_add_u32 s2, s12, s16
	s_addc_u32 s3, s13, s17
	s_load_b32 s2, s[2:3], 0x0
	s_mov_b32 s3, 0
.LBB596_16:
	s_waitcnt lgkmcnt(0)
	v_add_f32_e32 v1, 0x358637bd, v1
	s_load_b64 s[0:1], s[0:1], 0x0
	s_delay_alu instid0(VALU_DEP_1) | instskip(NEXT) | instid1(VALU_DEP_1)
	v_div_scale_f32 v2, null, v1, v1, 1.0
	v_rcp_f32_e32 v3, v2
	s_waitcnt_depctr 0xfff
	v_fma_f32 v5, -v2, v3, 1.0
	s_delay_alu instid0(VALU_DEP_1) | instskip(SKIP_1) | instid1(VALU_DEP_1)
	v_fmac_f32_e32 v3, v5, v3
	v_div_scale_f32 v5, vcc_lo, 1.0, v1, 1.0
	v_mul_f32_e32 v6, v5, v3
	s_delay_alu instid0(VALU_DEP_1) | instskip(NEXT) | instid1(VALU_DEP_1)
	v_fma_f32 v7, -v2, v6, v5
	v_fmac_f32_e32 v6, v7, v3
	s_delay_alu instid0(VALU_DEP_1) | instskip(NEXT) | instid1(VALU_DEP_1)
	v_fma_f32 v2, -v2, v6, v5
	v_div_fmas_f32 v2, v2, v3, v6
	s_delay_alu instid0(VALU_DEP_1) | instskip(NEXT) | instid1(VALU_DEP_1)
	v_div_fixup_f32 v1, v2, v1, 1.0
	v_mul_f32_e32 v2, v4, v1
	s_delay_alu instid0(VALU_DEP_1) | instskip(NEXT) | instid1(VALU_DEP_1)
	v_and_b32_e32 v1, 0x7f800000, v2
	v_cmp_ne_u32_e32 vcc_lo, 0x7f800000, v1
                                        ; implicit-def: $vgpr1
	s_and_saveexec_b32 s4, vcc_lo
	s_delay_alu instid0(SALU_CYCLE_1)
	s_xor_b32 s4, exec_lo, s4
; %bb.17:
	v_bfe_u32 v1, v2, 16, 1
	s_delay_alu instid0(VALU_DEP_1)
	v_add3_u32 v1, v2, v1, 0x7fff
                                        ; implicit-def: $vgpr2
; %bb.18:
	s_and_not1_saveexec_b32 s4, s4
; %bb.19:
	v_and_b32_e32 v1, 0xffff, v2
	v_or_b32_e32 v3, 0x10000, v2
	s_delay_alu instid0(VALU_DEP_2) | instskip(NEXT) | instid1(VALU_DEP_2)
	v_cmp_eq_u32_e32 vcc_lo, 0, v1
	v_cndmask_b32_e32 v1, v3, v2, vcc_lo
; %bb.20:
	s_or_b32 exec_lo, exec_lo, s4
	s_mul_i32 s3, s33, s3
	s_mul_hi_u32 s4, s33, s2
	s_mul_i32 s2, s33, s2
	s_add_i32 s3, s4, s3
	s_mov_b32 s15, 0
	s_lshl_b64 s[2:3], s[2:3], 7
	v_and_b32_e32 v1, 0xffff0000, v1
	s_waitcnt lgkmcnt(0)
	s_add_u32 s2, s0, s2
	s_addc_u32 s3, s1, s3
	s_lshl_b64 s[0:1], s[14:15], 7
	s_delay_alu instid0(SALU_CYCLE_1)
	s_add_u32 s0, s2, s0
	s_addc_u32 s1, s3, s1
	v_add_co_u32 v0, s0, s0, v0
	v_cvt_i32_f32_e32 v2, v1
	v_add_co_ci_u32_e64 v1, null, s1, 0, s0
	global_store_b8 v[0:1], v2, off
	s_nop 0
	s_sendmsg sendmsg(MSG_DEALLOC_VGPRS)
	s_endpgm
.LBB596_21:
	s_mov_b32 s4, 0
	s_branch .LBB596_2
.LBB596_22:
	ds_load_b128 v[5:8], v2 offset:64
	ds_load_b128 v[9:12], v2 offset:80
	s_waitcnt lgkmcnt(1)
	v_fmac_f32_e32 v4, v5, v35
	s_delay_alu instid0(VALU_DEP_1) | instskip(NEXT) | instid1(VALU_DEP_1)
	v_fmac_f32_e32 v4, v6, v34
	v_fmac_f32_e32 v4, v7, v33
	s_delay_alu instid0(VALU_DEP_1) | instskip(SKIP_3) | instid1(VALU_DEP_1)
	v_fmac_f32_e32 v4, v8, v32
	ds_load_b128 v[5:8], v2 offset:96
	s_waitcnt lgkmcnt(1)
	v_fmac_f32_e32 v4, v9, v31
	v_fmac_f32_e32 v4, v10, v30
	s_delay_alu instid0(VALU_DEP_1) | instskip(NEXT) | instid1(VALU_DEP_1)
	v_fmac_f32_e32 v4, v11, v29
	v_fmac_f32_e32 v4, v12, v28
	ds_load_b128 v[9:12], v2 offset:112
	s_waitcnt lgkmcnt(1)
	v_fmac_f32_e32 v4, v5, v27
	s_delay_alu instid0(VALU_DEP_1) | instskip(NEXT) | instid1(VALU_DEP_1)
	v_fmac_f32_e32 v4, v6, v26
	v_fmac_f32_e32 v4, v7, v25
	s_delay_alu instid0(VALU_DEP_1) | instskip(SKIP_1) | instid1(VALU_DEP_1)
	v_fmac_f32_e32 v4, v8, v24
	s_waitcnt lgkmcnt(0)
	v_fmac_f32_e32 v4, v9, v23
	s_delay_alu instid0(VALU_DEP_1) | instskip(NEXT) | instid1(VALU_DEP_1)
	v_fmac_f32_e32 v4, v10, v22
	v_fmac_f32_e32 v4, v11, v21
	s_delay_alu instid0(VALU_DEP_1)
	v_fmac_f32_e32 v4, v12, v20
	s_cmpk_lt_i32 s50, 0x2100
	s_cbranch_scc1 .LBB596_13
.LBB596_23:
	s_cmpk_lt_u32 s50, 0x2200
	v_add_co_u32 v5, vcc_lo, 0x2000, v1
	s_cselect_b32 s4, s51, 0x1080
	v_add_co_ci_u32_e32 v6, vcc_lo, 0, v3, vcc_lo
	s_ashr_i32 s5, s4, 31
	v_mov_b32_e32 v44, 0
	s_lshl_b64 s[4:5], s[4:5], 1
	s_cmpk_lt_u32 s50, 0x2300
	global_load_u16 v2, v[5:6], off
	s_cselect_b32 s6, s51, 0x1100
	v_add_co_u32 v5, vcc_lo, v1, s4
	s_ashr_i32 s7, s6, 31
	v_add_co_ci_u32_e32 v6, vcc_lo, s5, v3, vcc_lo
	s_lshl_b64 s[8:9], s[6:7], 1
	s_cmpk_lt_u32 s50, 0x2400
	v_add_co_u32 v7, vcc_lo, v1, s8
	s_cselect_b32 s6, s51, 0x1180
	v_add_co_ci_u32_e32 v8, vcc_lo, s9, v3, vcc_lo
	s_ashr_i32 s7, s6, 31
	s_delay_alu instid0(SALU_CYCLE_1)
	s_lshl_b64 s[18:19], s[6:7], 1
	s_cmpk_lt_u32 s50, 0x2500
	v_add_co_u32 v9, vcc_lo, v1, s18
	s_cselect_b32 s6, s51, 0x1200
	v_add_co_ci_u32_e32 v10, vcc_lo, s19, v3, vcc_lo
	s_ashr_i32 s7, s6, 31
	s_delay_alu instid0(SALU_CYCLE_1)
	s_lshl_b64 s[24:25], s[6:7], 1
	s_cmpk_lt_u32 s50, 0x2600
	v_add_co_u32 v11, vcc_lo, v1, s24
	s_cselect_b32 s6, s51, 0x1280
	v_add_co_ci_u32_e32 v12, vcc_lo, s25, v3, vcc_lo
	s_ashr_i32 s7, s6, 31
	s_clause 0x3
	global_load_u16 v13, v[5:6], off
	global_load_u16 v14, v[7:8], off
	;; [unrolled: 1-line block ×4, first 2 shown]
	s_lshl_b64 s[6:7], s[6:7], 1
	s_cmpk_lt_u32 s50, 0x2700
	v_add_co_u32 v5, vcc_lo, v1, s6
	s_cselect_b32 s10, s51, 0x1300
	v_add_co_ci_u32_e32 v6, vcc_lo, s7, v3, vcc_lo
	s_ashr_i32 s11, s10, 31
	s_delay_alu instid0(SALU_CYCLE_1)
	s_lshl_b64 s[10:11], s[10:11], 1
	s_cmpk_lt_u32 s50, 0x2800
	v_add_co_u32 v7, vcc_lo, v1, s10
	s_cselect_b32 s20, s51, 0x1380
	v_add_co_ci_u32_e32 v8, vcc_lo, s11, v3, vcc_lo
	s_ashr_i32 s21, s20, 31
	s_delay_alu instid0(SALU_CYCLE_1)
	;; [unrolled: 7-line block ×3, first 2 shown]
	s_lshl_b64 s[30:31], s[20:21], 1
	s_cmpk_lt_u32 s50, 0x2a00
	v_add_co_u32 v11, vcc_lo, v1, s30
	s_cselect_b32 s20, s51, 0x1480
	v_add_co_ci_u32_e32 v12, vcc_lo, s31, v3, vcc_lo
	s_ashr_i32 s21, s20, 31
	s_clause 0x3
	global_load_u16 v17, v[5:6], off
	global_load_u16 v18, v[7:8], off
	;; [unrolled: 1-line block ×4, first 2 shown]
	s_lshl_b64 s[20:21], s[20:21], 1
	s_cmpk_lt_u32 s50, 0x2b00
	v_add_co_u32 v5, vcc_lo, v1, s20
	s_cselect_b32 s26, s51, 0x1500
	v_add_co_ci_u32_e32 v6, vcc_lo, s21, v3, vcc_lo
	s_ashr_i32 s27, s26, 31
	s_delay_alu instid0(SALU_CYCLE_1)
	s_lshl_b64 s[26:27], s[26:27], 1
	s_cmpk_lt_u32 s50, 0x2c00
	v_add_co_u32 v7, vcc_lo, v1, s26
	s_cselect_b32 s28, s51, 0x1580
	v_add_co_ci_u32_e32 v8, vcc_lo, s27, v3, vcc_lo
	s_ashr_i32 s29, s28, 31
	global_load_u16 v21, v[5:6], off
	s_lshl_b64 s[34:35], s[28:29], 1
	s_cmpk_lt_u32 s50, 0x2d00
	v_add_co_u32 v9, vcc_lo, v1, s34
	s_cselect_b32 s28, s51, 0x1600
	v_add_co_ci_u32_e32 v10, vcc_lo, s35, v3, vcc_lo
	s_ashr_i32 s29, s28, 31
	s_delay_alu instid0(SALU_CYCLE_1)
	s_lshl_b64 s[38:39], s[28:29], 1
	s_cmpk_lt_u32 s50, 0x2e00
	v_add_co_u32 v11, vcc_lo, v1, s38
	s_cselect_b32 s28, s51, 0x1680
	v_add_co_ci_u32_e32 v12, vcc_lo, s39, v3, vcc_lo
	s_ashr_i32 s29, s28, 31
	s_clause 0x2
	global_load_u16 v22, v[7:8], off
	global_load_u16 v23, v[9:10], off
	;; [unrolled: 1-line block ×3, first 2 shown]
	s_lshl_b64 s[28:29], s[28:29], 1
	s_cmpk_lt_u32 s50, 0x2f00
	v_add_co_u32 v5, vcc_lo, v1, s28
	s_cselect_b32 s36, s51, 0x1700
	v_add_co_ci_u32_e32 v6, vcc_lo, s29, v3, vcc_lo
	s_ashr_i32 s37, s36, 31
	s_delay_alu instid0(SALU_CYCLE_1)
	s_lshl_b64 s[36:37], s[36:37], 1
	s_cmpk_lt_u32 s50, 0x3000
	v_add_co_u32 v7, vcc_lo, v1, s36
	s_cselect_b32 s40, s51, 0x1780
	v_add_co_ci_u32_e32 v8, vcc_lo, s37, v3, vcc_lo
	s_ashr_i32 s41, s40, 31
	global_load_u16 v25, v[5:6], off
	s_lshl_b64 s[40:41], s[40:41], 1
	global_load_u16 v26, v[7:8], off
	s_cmpk_lt_u32 s50, 0x3100
	v_add_co_u32 v9, vcc_lo, v1, s40
	s_cselect_b32 s42, s51, 0x1800
	v_add_co_ci_u32_e32 v10, vcc_lo, s41, v3, vcc_lo
	s_ashr_i32 s43, s42, 31
	s_delay_alu instid0(SALU_CYCLE_1)
	s_lshl_b64 s[42:43], s[42:43], 1
	global_load_u16 v27, v[9:10], off
	s_cmpk_lt_u32 s50, 0x3200
	v_add_co_u32 v5, vcc_lo, v1, s42
	s_cselect_b32 s44, s51, 0x1880
	v_add_co_ci_u32_e32 v6, vcc_lo, s43, v3, vcc_lo
	s_ashr_i32 s45, s44, 31
	s_delay_alu instid0(SALU_CYCLE_1)
	s_lshl_b64 s[44:45], s[44:45], 1
	s_cmpk_lt_u32 s50, 0x3300
	v_add_co_u32 v7, vcc_lo, v1, s44
	s_cselect_b32 s46, s51, 0x1900
	v_add_co_ci_u32_e32 v8, vcc_lo, s45, v3, vcc_lo
	s_ashr_i32 s47, s46, 31
	global_load_u16 v28, v[5:6], off
	s_lshl_b64 s[46:47], s[46:47], 1
	global_load_u16 v29, v[7:8], off
	s_cmpk_lt_u32 s50, 0x3400
	v_add_co_u32 v9, vcc_lo, v1, s46
	s_cselect_b32 s48, s51, 0x1980
	v_add_co_ci_u32_e32 v10, vcc_lo, s47, v3, vcc_lo
	s_ashr_i32 s49, s48, 31
	s_delay_alu instid0(SALU_CYCLE_1)
	s_lshl_b64 s[48:49], s[48:49], 1
	s_cmpk_lt_u32 s50, 0x3500
	v_add_co_u32 v5, vcc_lo, v1, s48
	s_cselect_b32 s4, s51, 0x1a00
	v_add_co_ci_u32_e32 v6, vcc_lo, s49, v3, vcc_lo
	s_ashr_i32 s5, s4, 31
	global_load_u16 v30, v[9:10], off
	s_lshl_b64 s[4:5], s[4:5], 1
	s_cmpk_lt_u32 s50, 0x3600
	v_add_co_u32 v7, vcc_lo, v1, s4
	s_cselect_b32 s8, s51, 0x1a80
	v_add_co_ci_u32_e32 v8, vcc_lo, s5, v3, vcc_lo
	s_ashr_i32 s9, s8, 31
	global_load_u16 v31, v[5:6], off
	s_lshl_b64 s[6:7], s[8:9], 1
	global_load_u16 v32, v[7:8], off
	s_cmpk_lt_u32 s50, 0x3700
	v_add_co_u32 v5, vcc_lo, v1, s6
	s_cselect_b32 s8, s51, 0x1b00
	v_add_co_ci_u32_e32 v6, vcc_lo, s7, v3, vcc_lo
	s_ashr_i32 s9, s8, 31
	s_delay_alu instid0(SALU_CYCLE_1)
	s_lshl_b64 s[8:9], s[8:9], 1
	s_cmpk_lt_u32 s50, 0x3800
	v_add_co_u32 v7, vcc_lo, v1, s8
	s_cselect_b32 s10, s51, 0x1b80
	v_add_co_ci_u32_e32 v8, vcc_lo, s9, v3, vcc_lo
	s_ashr_i32 s11, s10, 31
	global_load_u16 v33, v[5:6], off
	s_lshl_b64 s[10:11], s[10:11], 1
	global_load_u16 v34, v[7:8], off
	s_cmpk_lt_u32 s50, 0x3900
	v_add_co_u32 v5, vcc_lo, v1, s10
	s_cselect_b32 s18, s51, 0x1c00
	v_add_co_ci_u32_e32 v6, vcc_lo, s11, v3, vcc_lo
	s_ashr_i32 s19, s18, 31
	s_delay_alu instid0(SALU_CYCLE_1)
	;; [unrolled: 15-line block ×5, first 2 shown]
	s_lshl_b64 s[4:5], s[8:9], 1
	s_cmpk_lt_u32 s50, 0x4000
	v_add_co_u32 v7, vcc_lo, v1, s4
	s_cselect_b32 s6, s51, 0x1f80
	v_add_co_ci_u32_e32 v8, vcc_lo, s5, v3, vcc_lo
	s_ashr_i32 s7, s6, 31
	global_load_u16 v41, v[5:6], off
	s_lshl_b64 s[4:5], s[6:7], 1
	global_load_u16 v42, v[7:8], off
	v_add_co_u32 v5, vcc_lo, v1, s4
	v_add_co_ci_u32_e32 v6, vcc_lo, s5, v3, vcc_lo
	global_load_u16 v43, v[5:6], off
	ds_load_b128 v[5:8], v44 offset:128
	ds_load_b128 v[9:12], v44 offset:144
	s_waitcnt vmcnt(31)
	v_lshlrev_b32_e32 v2, 16, v2
	s_waitcnt lgkmcnt(1)
	s_delay_alu instid0(VALU_DEP_1) | instskip(SKIP_2) | instid1(VALU_DEP_1)
	v_fmac_f32_e32 v4, v5, v2
	s_waitcnt vmcnt(30)
	v_lshlrev_b32_e32 v2, 16, v13
	v_fmac_f32_e32 v4, v6, v2
	s_waitcnt vmcnt(29)
	v_lshlrev_b32_e32 v2, 16, v14
	s_delay_alu instid0(VALU_DEP_1) | instskip(SKIP_2) | instid1(VALU_DEP_1)
	v_fmac_f32_e32 v4, v7, v2
	s_waitcnt vmcnt(28)
	v_lshlrev_b32_e32 v2, 16, v15
	v_fmac_f32_e32 v4, v8, v2
	s_waitcnt vmcnt(27)
	v_lshlrev_b32_e32 v2, 16, v16
	ds_load_b128 v[5:8], v44 offset:160
	s_waitcnt lgkmcnt(1)
	v_fmac_f32_e32 v4, v9, v2
	s_waitcnt vmcnt(26)
	v_lshlrev_b32_e32 v2, 16, v17
	s_delay_alu instid0(VALU_DEP_1) | instskip(SKIP_2) | instid1(VALU_DEP_1)
	v_fmac_f32_e32 v4, v10, v2
	s_waitcnt vmcnt(25)
	v_lshlrev_b32_e32 v2, 16, v18
	v_fmac_f32_e32 v4, v11, v2
	s_waitcnt vmcnt(24)
	v_lshlrev_b32_e32 v2, 16, v19
	s_delay_alu instid0(VALU_DEP_1) | instskip(SKIP_4) | instid1(VALU_DEP_1)
	v_fmac_f32_e32 v4, v12, v2
	ds_load_b128 v[9:12], v44 offset:176
	s_waitcnt vmcnt(23)
	v_lshlrev_b32_e32 v2, 16, v20
	s_waitcnt lgkmcnt(1)
	v_fmac_f32_e32 v4, v5, v2
	s_waitcnt vmcnt(22)
	v_lshlrev_b32_e32 v2, 16, v21
	s_delay_alu instid0(VALU_DEP_1) | instskip(SKIP_2) | instid1(VALU_DEP_1)
	v_fmac_f32_e32 v4, v6, v2
	s_waitcnt vmcnt(21)
	v_lshlrev_b32_e32 v2, 16, v22
	v_fmac_f32_e32 v4, v7, v2
	s_waitcnt vmcnt(20)
	v_lshlrev_b32_e32 v2, 16, v23
	s_delay_alu instid0(VALU_DEP_1)
	v_fmac_f32_e32 v4, v8, v2
	s_waitcnt vmcnt(19)
	v_lshlrev_b32_e32 v2, 16, v24
	ds_load_b128 v[5:8], v44 offset:192
	s_waitcnt lgkmcnt(1)
	v_fmac_f32_e32 v4, v9, v2
	s_waitcnt vmcnt(18)
	v_lshlrev_b32_e32 v2, 16, v25
	s_delay_alu instid0(VALU_DEP_1) | instskip(SKIP_2) | instid1(VALU_DEP_1)
	v_fmac_f32_e32 v4, v10, v2
	s_waitcnt vmcnt(17)
	v_lshlrev_b32_e32 v2, 16, v26
	v_fmac_f32_e32 v4, v11, v2
	s_waitcnt vmcnt(16)
	v_lshlrev_b32_e32 v2, 16, v27
	s_delay_alu instid0(VALU_DEP_1) | instskip(SKIP_4) | instid1(VALU_DEP_1)
	v_fmac_f32_e32 v4, v12, v2
	ds_load_b128 v[9:12], v44 offset:208
	s_waitcnt vmcnt(15)
	v_lshlrev_b32_e32 v2, 16, v28
	s_waitcnt lgkmcnt(1)
	v_fmac_f32_e32 v4, v5, v2
	s_waitcnt vmcnt(14)
	v_lshlrev_b32_e32 v2, 16, v29
	s_delay_alu instid0(VALU_DEP_1) | instskip(SKIP_2) | instid1(VALU_DEP_1)
	v_fmac_f32_e32 v4, v6, v2
	s_waitcnt vmcnt(13)
	v_lshlrev_b32_e32 v2, 16, v30
	v_fmac_f32_e32 v4, v7, v2
	s_waitcnt vmcnt(12)
	v_lshlrev_b32_e32 v2, 16, v31
	s_delay_alu instid0(VALU_DEP_1)
	v_fmac_f32_e32 v4, v8, v2
	s_waitcnt vmcnt(11)
	v_lshlrev_b32_e32 v2, 16, v32
	ds_load_b128 v[5:8], v44 offset:224
	s_waitcnt lgkmcnt(1)
	v_fmac_f32_e32 v4, v9, v2
	s_waitcnt vmcnt(10)
	v_lshlrev_b32_e32 v2, 16, v33
	s_delay_alu instid0(VALU_DEP_1) | instskip(SKIP_2) | instid1(VALU_DEP_1)
	v_fmac_f32_e32 v4, v10, v2
	s_waitcnt vmcnt(9)
	v_lshlrev_b32_e32 v2, 16, v34
	v_fmac_f32_e32 v4, v11, v2
	s_waitcnt vmcnt(8)
	v_lshlrev_b32_e32 v2, 16, v35
	s_delay_alu instid0(VALU_DEP_1) | instskip(SKIP_4) | instid1(VALU_DEP_1)
	v_fmac_f32_e32 v4, v12, v2
	ds_load_b128 v[9:12], v44 offset:240
	s_waitcnt vmcnt(7)
	v_lshlrev_b32_e32 v2, 16, v36
	s_waitcnt lgkmcnt(1)
	v_fmac_f32_e32 v4, v5, v2
	s_waitcnt vmcnt(6)
	v_lshlrev_b32_e32 v2, 16, v37
	s_delay_alu instid0(VALU_DEP_1) | instskip(SKIP_2) | instid1(VALU_DEP_1)
	v_fmac_f32_e32 v4, v6, v2
	s_waitcnt vmcnt(5)
	v_lshlrev_b32_e32 v2, 16, v38
	v_fmac_f32_e32 v4, v7, v2
	s_waitcnt vmcnt(4)
	v_lshlrev_b32_e32 v2, 16, v39
	s_delay_alu instid0(VALU_DEP_1) | instskip(SKIP_3) | instid1(VALU_DEP_1)
	v_fmac_f32_e32 v4, v8, v2
	s_waitcnt vmcnt(3)
	v_lshlrev_b32_e32 v2, 16, v40
	s_waitcnt lgkmcnt(0)
	v_fmac_f32_e32 v4, v9, v2
	s_waitcnt vmcnt(2)
	v_lshlrev_b32_e32 v2, 16, v41
	s_delay_alu instid0(VALU_DEP_1) | instskip(SKIP_2) | instid1(VALU_DEP_1)
	v_fmac_f32_e32 v4, v10, v2
	s_waitcnt vmcnt(1)
	v_lshlrev_b32_e32 v2, 16, v42
	v_fmac_f32_e32 v4, v11, v2
	s_waitcnt vmcnt(0)
	v_lshlrev_b32_e32 v2, 16, v43
	s_delay_alu instid0(VALU_DEP_1)
	v_fmac_f32_e32 v4, v12, v2
	s_cmpk_lt_i32 s50, 0x4100
	s_cbranch_scc1 .LBB596_14
.LBB596_24:
	s_cmpk_lt_u32 s50, 0x4200
	v_add_co_u32 v5, vcc_lo, 0x4000, v1
	s_cselect_b32 s4, s51, 0x2080
	v_add_co_ci_u32_e32 v6, vcc_lo, 0, v3, vcc_lo
	s_ashr_i32 s5, s4, 31
	s_delay_alu instid0(SALU_CYCLE_1)
	s_lshl_b64 s[4:5], s[4:5], 1
	s_cmpk_lt_u32 s50, 0x4300
	global_load_u16 v13, v[5:6], off
	s_cselect_b32 s6, s51, 0x2100
	v_add_co_u32 v5, vcc_lo, v1, s4
	s_ashr_i32 s7, s6, 31
	v_add_co_ci_u32_e32 v6, vcc_lo, s5, v3, vcc_lo
	s_lshl_b64 s[8:9], s[6:7], 1
	s_cmpk_lt_u32 s50, 0x4400
	v_add_co_u32 v7, vcc_lo, v1, s8
	s_cselect_b32 s6, s51, 0x2180
	v_add_co_ci_u32_e32 v8, vcc_lo, s9, v3, vcc_lo
	s_ashr_i32 s7, s6, 31
	s_delay_alu instid0(SALU_CYCLE_1)
	s_lshl_b64 s[18:19], s[6:7], 1
	s_cmpk_lt_u32 s50, 0x4500
	v_add_co_u32 v9, vcc_lo, v1, s18
	s_cselect_b32 s6, s51, 0x2200
	v_add_co_ci_u32_e32 v10, vcc_lo, s19, v3, vcc_lo
	s_ashr_i32 s7, s6, 31
	s_delay_alu instid0(SALU_CYCLE_1)
	s_lshl_b64 s[24:25], s[6:7], 1
	s_cmpk_lt_u32 s50, 0x4600
	v_add_co_u32 v11, vcc_lo, v1, s24
	s_cselect_b32 s6, s51, 0x2280
	v_add_co_ci_u32_e32 v12, vcc_lo, s25, v3, vcc_lo
	s_ashr_i32 s7, s6, 31
	s_clause 0x3
	global_load_u16 v14, v[5:6], off
	global_load_u16 v15, v[7:8], off
	;; [unrolled: 1-line block ×4, first 2 shown]
	s_lshl_b64 s[6:7], s[6:7], 1
	s_cmpk_lt_u32 s50, 0x4700
	v_add_co_u32 v5, vcc_lo, v1, s6
	s_cselect_b32 s10, s51, 0x2300
	v_add_co_ci_u32_e32 v6, vcc_lo, s7, v3, vcc_lo
	s_ashr_i32 s11, s10, 31
	s_delay_alu instid0(SALU_CYCLE_1)
	s_lshl_b64 s[10:11], s[10:11], 1
	s_cmpk_lt_u32 s50, 0x4800
	v_add_co_u32 v7, vcc_lo, v1, s10
	s_cselect_b32 s20, s51, 0x2380
	v_add_co_ci_u32_e32 v8, vcc_lo, s11, v3, vcc_lo
	s_ashr_i32 s21, s20, 31
	s_delay_alu instid0(SALU_CYCLE_1)
	;; [unrolled: 7-line block ×3, first 2 shown]
	s_lshl_b64 s[30:31], s[20:21], 1
	s_cmpk_lt_u32 s50, 0x4a00
	v_add_co_u32 v11, vcc_lo, v1, s30
	s_cselect_b32 s20, s51, 0x2480
	v_add_co_ci_u32_e32 v12, vcc_lo, s31, v3, vcc_lo
	s_ashr_i32 s21, s20, 31
	s_clause 0x3
	global_load_u16 v18, v[5:6], off
	global_load_u16 v19, v[7:8], off
	;; [unrolled: 1-line block ×4, first 2 shown]
	s_lshl_b64 s[20:21], s[20:21], 1
	s_cmpk_lt_u32 s50, 0x4b00
	v_add_co_u32 v5, vcc_lo, v1, s20
	s_cselect_b32 s26, s51, 0x2500
	v_add_co_ci_u32_e32 v6, vcc_lo, s21, v3, vcc_lo
	s_ashr_i32 s27, s26, 31
	s_delay_alu instid0(SALU_CYCLE_1)
	s_lshl_b64 s[26:27], s[26:27], 1
	s_cmpk_lt_u32 s50, 0x4c00
	v_add_co_u32 v7, vcc_lo, v1, s26
	s_cselect_b32 s28, s51, 0x2580
	v_add_co_ci_u32_e32 v8, vcc_lo, s27, v3, vcc_lo
	s_ashr_i32 s29, s28, 31
	global_load_u16 v22, v[5:6], off
	s_lshl_b64 s[34:35], s[28:29], 1
	s_cmpk_lt_u32 s50, 0x4d00
	v_add_co_u32 v9, vcc_lo, v1, s34
	s_cselect_b32 s28, s51, 0x2600
	v_add_co_ci_u32_e32 v10, vcc_lo, s35, v3, vcc_lo
	s_ashr_i32 s29, s28, 31
	s_delay_alu instid0(SALU_CYCLE_1)
	s_lshl_b64 s[38:39], s[28:29], 1
	s_cmpk_lt_u32 s50, 0x4e00
	v_add_co_u32 v11, vcc_lo, v1, s38
	s_cselect_b32 s28, s51, 0x2680
	v_add_co_ci_u32_e32 v12, vcc_lo, s39, v3, vcc_lo
	s_ashr_i32 s29, s28, 31
	s_clause 0x2
	global_load_u16 v23, v[7:8], off
	global_load_u16 v24, v[9:10], off
	;; [unrolled: 1-line block ×3, first 2 shown]
	s_lshl_b64 s[28:29], s[28:29], 1
	s_cmpk_lt_u32 s50, 0x4f00
	v_add_co_u32 v5, vcc_lo, v1, s28
	s_cselect_b32 s36, s51, 0x2700
	v_add_co_ci_u32_e32 v6, vcc_lo, s29, v3, vcc_lo
	s_ashr_i32 s37, s36, 31
	s_delay_alu instid0(SALU_CYCLE_1)
	s_lshl_b64 s[36:37], s[36:37], 1
	s_cmpk_lt_u32 s50, 0x5000
	v_add_co_u32 v7, vcc_lo, v1, s36
	s_cselect_b32 s40, s51, 0x2780
	v_add_co_ci_u32_e32 v8, vcc_lo, s37, v3, vcc_lo
	s_ashr_i32 s41, s40, 31
	global_load_u16 v26, v[5:6], off
	s_lshl_b64 s[40:41], s[40:41], 1
	global_load_u16 v27, v[7:8], off
	s_cmpk_lt_u32 s50, 0x5100
	v_add_co_u32 v9, vcc_lo, v1, s40
	s_cselect_b32 s42, s51, 0x2800
	v_add_co_ci_u32_e32 v10, vcc_lo, s41, v3, vcc_lo
	s_ashr_i32 s43, s42, 31
	s_delay_alu instid0(SALU_CYCLE_1)
	s_lshl_b64 s[42:43], s[42:43], 1
	global_load_u16 v28, v[9:10], off
	s_cmpk_lt_u32 s50, 0x5200
	v_add_co_u32 v5, vcc_lo, v1, s42
	s_cselect_b32 s44, s51, 0x2880
	v_add_co_ci_u32_e32 v6, vcc_lo, s43, v3, vcc_lo
	s_ashr_i32 s45, s44, 31
	s_delay_alu instid0(SALU_CYCLE_1)
	s_lshl_b64 s[44:45], s[44:45], 1
	s_cmpk_lt_u32 s50, 0x5300
	v_add_co_u32 v7, vcc_lo, v1, s44
	s_cselect_b32 s46, s51, 0x2900
	v_add_co_ci_u32_e32 v8, vcc_lo, s45, v3, vcc_lo
	s_ashr_i32 s47, s46, 31
	global_load_u16 v29, v[5:6], off
	s_lshl_b64 s[46:47], s[46:47], 1
	global_load_u16 v30, v[7:8], off
	s_cmpk_lt_u32 s50, 0x5400
	v_add_co_u32 v9, vcc_lo, v1, s46
	s_cselect_b32 s48, s51, 0x2980
	v_add_co_ci_u32_e32 v10, vcc_lo, s47, v3, vcc_lo
	s_ashr_i32 s49, s48, 31
	s_delay_alu instid0(SALU_CYCLE_1)
	s_lshl_b64 s[48:49], s[48:49], 1
	global_load_u16 v31, v[9:10], off
	s_cmpk_lt_u32 s50, 0x5500
	v_add_co_u32 v5, vcc_lo, v1, s48
	s_cselect_b32 s4, s51, 0x2a00
	v_add_co_ci_u32_e32 v6, vcc_lo, s49, v3, vcc_lo
	s_ashr_i32 s5, s4, 31
	s_delay_alu instid0(SALU_CYCLE_1)
	s_lshl_b64 s[4:5], s[4:5], 1
	s_cmpk_lt_u32 s50, 0x5600
	v_add_co_u32 v7, vcc_lo, v1, s4
	s_cselect_b32 s8, s51, 0x2a80
	v_add_co_ci_u32_e32 v8, vcc_lo, s5, v3, vcc_lo
	s_ashr_i32 s9, s8, 31
	global_load_u16 v32, v[5:6], off
	s_lshl_b64 s[6:7], s[8:9], 1
	global_load_u16 v33, v[7:8], off
	s_cmpk_lt_u32 s50, 0x5700
	v_add_co_u32 v5, vcc_lo, v1, s6
	s_cselect_b32 s8, s51, 0x2b00
	v_add_co_ci_u32_e32 v6, vcc_lo, s7, v3, vcc_lo
	s_ashr_i32 s9, s8, 31
	s_delay_alu instid0(SALU_CYCLE_1)
	s_lshl_b64 s[8:9], s[8:9], 1
	s_cmpk_lt_u32 s50, 0x5800
	v_add_co_u32 v7, vcc_lo, v1, s8
	s_cselect_b32 s10, s51, 0x2b80
	v_add_co_ci_u32_e32 v8, vcc_lo, s9, v3, vcc_lo
	s_ashr_i32 s11, s10, 31
	global_load_u16 v34, v[5:6], off
	;; [unrolled: 15-line block ×6, first 2 shown]
	s_lshl_b64 s[4:5], s[6:7], 1
	global_load_u16 v43, v[7:8], off
	v_add_co_u32 v1, vcc_lo, v1, s4
	v_add_co_ci_u32_e32 v2, vcc_lo, s5, v3, vcc_lo
	global_load_u16 v1, v[1:2], off
	s_waitcnt vmcnt(31)
	v_dual_mov_b32 v2, 0 :: v_dual_lshlrev_b32 v3, 16, v13
	ds_load_b128 v[5:8], v2 offset:256
	ds_load_b128 v[9:12], v2 offset:272
	s_waitcnt vmcnt(30) lgkmcnt(1)
	v_dual_fmac_f32 v4, v5, v3 :: v_dual_lshlrev_b32 v3, 16, v14
	s_delay_alu instid0(VALU_DEP_1) | instskip(SKIP_3) | instid1(VALU_DEP_1)
	v_fmac_f32_e32 v4, v6, v3
	s_waitcnt vmcnt(29)
	v_lshlrev_b32_e32 v3, 16, v15
	s_waitcnt vmcnt(28)
	v_dual_fmac_f32 v4, v7, v3 :: v_dual_lshlrev_b32 v3, 16, v16
	s_waitcnt vmcnt(27)
	s_delay_alu instid0(VALU_DEP_1) | instskip(SKIP_3) | instid1(VALU_DEP_1)
	v_dual_fmac_f32 v4, v8, v3 :: v_dual_lshlrev_b32 v3, 16, v17
	ds_load_b128 v[5:8], v2 offset:288
	s_waitcnt vmcnt(26) lgkmcnt(1)
	v_dual_fmac_f32 v4, v9, v3 :: v_dual_lshlrev_b32 v3, 16, v18
	v_fmac_f32_e32 v4, v10, v3
	s_waitcnt vmcnt(25)
	v_lshlrev_b32_e32 v3, 16, v19
	s_waitcnt vmcnt(24)
	s_delay_alu instid0(VALU_DEP_1) | instskip(SKIP_1) | instid1(VALU_DEP_1)
	v_dual_fmac_f32 v4, v11, v3 :: v_dual_lshlrev_b32 v3, 16, v20
	s_waitcnt vmcnt(23)
	v_dual_fmac_f32 v4, v12, v3 :: v_dual_lshlrev_b32 v3, 16, v21
	ds_load_b128 v[9:12], v2 offset:304
	s_waitcnt vmcnt(22) lgkmcnt(1)
	v_dual_fmac_f32 v4, v5, v3 :: v_dual_lshlrev_b32 v3, 16, v22
	s_delay_alu instid0(VALU_DEP_1) | instskip(SKIP_3) | instid1(VALU_DEP_1)
	v_fmac_f32_e32 v4, v6, v3
	s_waitcnt vmcnt(21)
	v_lshlrev_b32_e32 v3, 16, v23
	s_waitcnt vmcnt(20)
	v_dual_fmac_f32 v4, v7, v3 :: v_dual_lshlrev_b32 v3, 16, v24
	s_waitcnt vmcnt(19)
	s_delay_alu instid0(VALU_DEP_1) | instskip(SKIP_3) | instid1(VALU_DEP_1)
	v_dual_fmac_f32 v4, v8, v3 :: v_dual_lshlrev_b32 v3, 16, v25
	ds_load_b128 v[5:8], v2 offset:320
	s_waitcnt vmcnt(18) lgkmcnt(1)
	v_dual_fmac_f32 v4, v9, v3 :: v_dual_lshlrev_b32 v3, 16, v26
	v_fmac_f32_e32 v4, v10, v3
	s_waitcnt vmcnt(17)
	v_lshlrev_b32_e32 v3, 16, v27
	s_waitcnt vmcnt(16)
	s_delay_alu instid0(VALU_DEP_1) | instskip(NEXT) | instid1(VALU_DEP_1)
	v_dual_fmac_f32 v4, v11, v3 :: v_dual_lshlrev_b32 v3, 16, v28
	v_fmac_f32_e32 v4, v12, v3
	ds_load_b128 v[9:12], v2 offset:336
	s_waitcnt vmcnt(15)
	v_lshlrev_b32_e32 v3, 16, v29
	s_waitcnt vmcnt(14) lgkmcnt(1)
	s_delay_alu instid0(VALU_DEP_1) | instskip(NEXT) | instid1(VALU_DEP_1)
	v_dual_fmac_f32 v4, v5, v3 :: v_dual_lshlrev_b32 v3, 16, v30
	v_fmac_f32_e32 v4, v6, v3
	s_waitcnt vmcnt(13)
	v_lshlrev_b32_e32 v3, 16, v31
	s_waitcnt vmcnt(12)
	s_delay_alu instid0(VALU_DEP_1) | instskip(SKIP_1) | instid1(VALU_DEP_1)
	v_dual_fmac_f32 v4, v7, v3 :: v_dual_lshlrev_b32 v3, 16, v32
	s_waitcnt vmcnt(0)
	v_dual_fmac_f32 v4, v8, v3 :: v_dual_lshlrev_b32 v1, 16, v1
	v_lshlrev_b32_e32 v3, 16, v33
	ds_load_b128 v[5:8], v2 offset:352
	s_waitcnt lgkmcnt(1)
	v_dual_fmac_f32 v4, v9, v3 :: v_dual_lshlrev_b32 v3, 16, v34
	s_delay_alu instid0(VALU_DEP_1) | instskip(SKIP_1) | instid1(VALU_DEP_1)
	v_fmac_f32_e32 v4, v10, v3
	v_lshlrev_b32_e32 v3, 16, v35
	v_dual_fmac_f32 v4, v11, v3 :: v_dual_lshlrev_b32 v3, 16, v36
	s_delay_alu instid0(VALU_DEP_1) | instskip(SKIP_4) | instid1(VALU_DEP_1)
	v_dual_fmac_f32 v4, v12, v3 :: v_dual_lshlrev_b32 v3, 16, v37
	ds_load_b128 v[9:12], v2 offset:368
	v_lshlrev_b32_e32 v2, 16, v38
	s_waitcnt lgkmcnt(1)
	v_fmac_f32_e32 v4, v5, v3
	v_fmac_f32_e32 v4, v6, v2
	v_lshlrev_b32_e32 v2, 16, v39
	s_delay_alu instid0(VALU_DEP_1) | instskip(SKIP_1) | instid1(VALU_DEP_1)
	v_fmac_f32_e32 v4, v7, v2
	v_lshlrev_b32_e32 v2, 16, v40
	v_fmac_f32_e32 v4, v8, v2
	v_lshlrev_b32_e32 v2, 16, v41
	s_waitcnt lgkmcnt(0)
	s_delay_alu instid0(VALU_DEP_1) | instskip(SKIP_1) | instid1(VALU_DEP_1)
	v_fmac_f32_e32 v4, v9, v2
	v_lshlrev_b32_e32 v2, 16, v42
	v_fmac_f32_e32 v4, v10, v2
	v_lshlrev_b32_e32 v2, 16, v43
	s_delay_alu instid0(VALU_DEP_1) | instskip(NEXT) | instid1(VALU_DEP_1)
	v_fmac_f32_e32 v4, v11, v2
	v_dual_fmac_f32 v4, v12, v1 :: v_dual_mov_b32 v1, 0
	s_and_not1_b32 vcc_lo, exec_lo, s15
	ds_load_b32 v1, v1 offset:384
	s_cbranch_vccz .LBB596_15
	s_branch .LBB596_16
	.section	.rodata,"a",@progbits
	.p2align	6, 0x0
	.amdhsa_kernel _Z35paged_attention_ll4mi_reduce_kernelI14__hip_bfloat16hLi128ELi128ELi256ELi3EEvPT0_PKfS4_PKT_PKiS9_iS4_
		.amdhsa_group_segment_fixed_size 388
		.amdhsa_private_segment_fixed_size 0
		.amdhsa_kernarg_size 320
		.amdhsa_user_sgpr_count 14
		.amdhsa_user_sgpr_dispatch_ptr 0
		.amdhsa_user_sgpr_queue_ptr 0
		.amdhsa_user_sgpr_kernarg_segment_ptr 1
		.amdhsa_user_sgpr_dispatch_id 0
		.amdhsa_user_sgpr_private_segment_size 0
		.amdhsa_wavefront_size32 1
		.amdhsa_uses_dynamic_stack 0
		.amdhsa_enable_private_segment 0
		.amdhsa_system_sgpr_workgroup_id_x 1
		.amdhsa_system_sgpr_workgroup_id_y 1
		.amdhsa_system_sgpr_workgroup_id_z 0
		.amdhsa_system_sgpr_workgroup_info 0
		.amdhsa_system_vgpr_workitem_id 0
		.amdhsa_next_free_vgpr 52
		.amdhsa_next_free_sgpr 52
		.amdhsa_reserve_vcc 1
		.amdhsa_float_round_mode_32 0
		.amdhsa_float_round_mode_16_64 0
		.amdhsa_float_denorm_mode_32 3
		.amdhsa_float_denorm_mode_16_64 3
		.amdhsa_dx10_clamp 1
		.amdhsa_ieee_mode 1
		.amdhsa_fp16_overflow 0
		.amdhsa_workgroup_processor_mode 1
		.amdhsa_memory_ordered 1
		.amdhsa_forward_progress 0
		.amdhsa_shared_vgpr_count 0
		.amdhsa_exception_fp_ieee_invalid_op 0
		.amdhsa_exception_fp_denorm_src 0
		.amdhsa_exception_fp_ieee_div_zero 0
		.amdhsa_exception_fp_ieee_overflow 0
		.amdhsa_exception_fp_ieee_underflow 0
		.amdhsa_exception_fp_ieee_inexact 0
		.amdhsa_exception_int_div_zero 0
	.end_amdhsa_kernel
	.section	.text._Z35paged_attention_ll4mi_reduce_kernelI14__hip_bfloat16hLi128ELi128ELi256ELi3EEvPT0_PKfS4_PKT_PKiS9_iS4_,"axG",@progbits,_Z35paged_attention_ll4mi_reduce_kernelI14__hip_bfloat16hLi128ELi128ELi256ELi3EEvPT0_PKfS4_PKT_PKiS9_iS4_,comdat
.Lfunc_end596:
	.size	_Z35paged_attention_ll4mi_reduce_kernelI14__hip_bfloat16hLi128ELi128ELi256ELi3EEvPT0_PKfS4_PKT_PKiS9_iS4_, .Lfunc_end596-_Z35paged_attention_ll4mi_reduce_kernelI14__hip_bfloat16hLi128ELi128ELi256ELi3EEvPT0_PKfS4_PKT_PKiS9_iS4_
                                        ; -- End function
	.section	.AMDGPU.csdata,"",@progbits
; Kernel info:
; codeLenInByte = 7460
; NumSgprs: 54
; NumVgprs: 52
; ScratchSize: 0
; MemoryBound: 0
; FloatMode: 240
; IeeeMode: 1
; LDSByteSize: 388 bytes/workgroup (compile time only)
; SGPRBlocks: 6
; VGPRBlocks: 6
; NumSGPRsForWavesPerEU: 54
; NumVGPRsForWavesPerEU: 52
; Occupancy: 16
; WaveLimiterHint : 0
; COMPUTE_PGM_RSRC2:SCRATCH_EN: 0
; COMPUTE_PGM_RSRC2:USER_SGPR: 14
; COMPUTE_PGM_RSRC2:TRAP_HANDLER: 0
; COMPUTE_PGM_RSRC2:TGID_X_EN: 1
; COMPUTE_PGM_RSRC2:TGID_Y_EN: 1
; COMPUTE_PGM_RSRC2:TGID_Z_EN: 0
; COMPUTE_PGM_RSRC2:TIDIG_COMP_CNT: 0
	.section	.text._Z35paged_attention_ll4mi_reduce_kernelI14__hip_bfloat16hLi128ELi128ELi256ELi4EEvPT0_PKfS4_PKT_PKiS9_iS4_,"axG",@progbits,_Z35paged_attention_ll4mi_reduce_kernelI14__hip_bfloat16hLi128ELi128ELi256ELi4EEvPT0_PKfS4_PKT_PKiS9_iS4_,comdat
	.protected	_Z35paged_attention_ll4mi_reduce_kernelI14__hip_bfloat16hLi128ELi128ELi256ELi4EEvPT0_PKfS4_PKT_PKiS9_iS4_ ; -- Begin function _Z35paged_attention_ll4mi_reduce_kernelI14__hip_bfloat16hLi128ELi128ELi256ELi4EEvPT0_PKfS4_PKT_PKiS9_iS4_
	.globl	_Z35paged_attention_ll4mi_reduce_kernelI14__hip_bfloat16hLi128ELi128ELi256ELi4EEvPT0_PKfS4_PKT_PKiS9_iS4_
	.p2align	8
	.type	_Z35paged_attention_ll4mi_reduce_kernelI14__hip_bfloat16hLi128ELi128ELi256ELi4EEvPT0_PKfS4_PKT_PKiS9_iS4_,@function
_Z35paged_attention_ll4mi_reduce_kernelI14__hip_bfloat16hLi128ELi128ELi256ELi4EEvPT0_PKfS4_PKT_PKiS9_iS4_: ; @_Z35paged_attention_ll4mi_reduce_kernelI14__hip_bfloat16hLi128ELi128ELi256ELi4EEvPT0_PKfS4_PKT_PKiS9_iS4_
; %bb.0:
	s_load_b64 s[12:13], s[0:1], 0x28
	s_mov_b32 s2, s15
	s_waitcnt lgkmcnt(0)
	s_cmp_lg_u64 s[12:13], 0
	s_cselect_b32 s15, -1, 0
	s_delay_alu instid0(SALU_CYCLE_1)
	s_and_b32 vcc_lo, exec_lo, s15
	s_cbranch_vccz .LBB597_22
; %bb.1:
	s_add_i32 s4, s2, 1
	s_mov_b32 s5, 0
	s_delay_alu instid0(SALU_CYCLE_1) | instskip(SKIP_4) | instid1(SALU_CYCLE_1)
	s_lshl_b64 s[6:7], s[4:5], 2
	s_mov_b32 s3, s5
	s_add_u32 s6, s12, s6
	s_addc_u32 s7, s13, s7
	s_lshl_b64 s[8:9], s[2:3], 2
	s_add_u32 s8, s12, s8
	s_addc_u32 s9, s13, s9
	s_clause 0x1
	s_load_b32 s4, s[6:7], 0x0
	s_load_b32 s6, s[8:9], 0x0
	s_waitcnt lgkmcnt(0)
	s_sub_i32 s4, s4, s6
	s_delay_alu instid0(SALU_CYCLE_1)
	s_cmp_eq_u32 s4, 1
	s_cselect_b32 s4, -1, 0
	s_cbranch_execnz .LBB597_3
.LBB597_2:
	s_mov_b32 s3, 0
	s_mov_b32 s4, -1
.LBB597_3:
	s_delay_alu instid0(SALU_CYCLE_1)
	s_and_not1_b32 vcc_lo, exec_lo, s4
	s_cbranch_vccz .LBB597_5
; %bb.4:
	s_endpgm
.LBB597_5:
	s_clause 0x1
	s_load_b128 s[4:7], s[0:1], 0x18
	s_load_b32 s9, s[0:1], 0x30
	s_lshl_b64 s[16:17], s[2:3], 2
	s_waitcnt lgkmcnt(0)
	s_add_u32 s6, s6, s16
	s_addc_u32 s7, s7, s17
	s_load_b32 s20, s[6:7], 0x0
	s_load_b32 s33, s[0:1], 0x40
	s_mul_i32 s7, s2, s9
	s_waitcnt lgkmcnt(0)
	s_add_i32 s50, s20, 0xff
	s_delay_alu instid0(SALU_CYCLE_1) | instskip(NEXT) | instid1(SALU_CYCLE_1)
	s_ashr_i32 s6, s50, 31
	s_lshr_b32 s6, s6, 24
	s_delay_alu instid0(SALU_CYCLE_1) | instskip(SKIP_4) | instid1(SALU_CYCLE_1)
	s_add_i32 s8, s50, s6
	s_mul_i32 s6, s14, s9
	s_mov_b32 s9, exec_lo
	v_cmpx_lt_u32_e32 31, v0
	s_xor_b32 s9, exec_lo, s9
	s_or_saveexec_b32 s22, s9
	v_mov_b32_e32 v1, s6
	s_ashr_i32 s21, s8, 8
	s_mul_i32 s18, s7, s33
	s_xor_b32 exec_lo, exec_lo, s22
	s_cbranch_execz .LBB597_9
; %bb.6:
	s_load_b128 s[8:11], s[0:1], 0x8
	v_or_b32_e32 v2, 32, v0
	v_cmp_gt_i32_e32 vcc_lo, s21, v0
	s_add_i32 s23, s21, -1
	v_or_b32_e32 v4, 64, v0
	v_or_b32_e32 v6, 0x60, v0
	s_mov_b32 s19, 0
	v_cndmask_b32_e32 v1, s23, v0, vcc_lo
	v_cmp_gt_i32_e32 vcc_lo, s21, v2
	s_lshl_b64 s[24:25], s[18:19], 2
	s_mov_b32 s7, s19
	v_cndmask_b32_e32 v3, s23, v2, vcc_lo
	v_cmp_gt_i32_e32 vcc_lo, s21, v4
	v_ashrrev_i32_e32 v2, 31, v1
	v_cndmask_b32_e32 v5, s23, v4, vcc_lo
	v_cmp_gt_i32_e32 vcc_lo, s21, v6
	v_ashrrev_i32_e32 v4, 31, v3
	s_delay_alu instid0(VALU_DEP_4)
	v_lshlrev_b64 v[1:2], 2, v[1:2]
	s_waitcnt lgkmcnt(0)
	s_add_u32 s19, s10, s24
	v_cndmask_b32_e32 v7, s23, v6, vcc_lo
	s_addc_u32 s23, s11, s25
	s_lshl_b64 s[10:11], s[6:7], 2
	v_lshlrev_b64 v[3:4], 2, v[3:4]
	s_add_u32 s7, s19, s10
	v_ashrrev_i32_e32 v6, 31, v5
	s_addc_u32 s19, s23, s11
	v_add_co_u32 v9, vcc_lo, s7, v1
	v_add_co_ci_u32_e32 v10, vcc_lo, s19, v2, vcc_lo
	v_ashrrev_i32_e32 v8, 31, v7
	v_add_co_u32 v11, vcc_lo, s7, v3
	v_lshlrev_b64 v[5:6], 2, v[5:6]
	v_add_co_ci_u32_e32 v12, vcc_lo, s19, v4, vcc_lo
	s_delay_alu instid0(VALU_DEP_4)
	v_lshlrev_b64 v[7:8], 2, v[7:8]
	s_clause 0x1
	global_load_b32 v13, v[9:10], off
	global_load_b32 v14, v[11:12], off
	v_add_co_u32 v9, vcc_lo, s7, v5
	v_add_co_ci_u32_e32 v10, vcc_lo, s19, v6, vcc_lo
	v_add_co_u32 v11, vcc_lo, s7, v7
	v_add_co_ci_u32_e32 v12, vcc_lo, s19, v8, vcc_lo
	s_clause 0x1
	global_load_b32 v9, v[9:10], off
	global_load_b32 v10, v[11:12], off
	s_add_u32 s7, s8, s24
	s_addc_u32 s8, s9, s25
	s_add_u32 s7, s7, s10
	s_addc_u32 s8, s8, s11
	v_add_co_u32 v1, vcc_lo, s7, v1
	v_add_co_ci_u32_e32 v2, vcc_lo, s8, v2, vcc_lo
	v_add_co_u32 v3, vcc_lo, s7, v3
	v_add_co_ci_u32_e32 v4, vcc_lo, s8, v4, vcc_lo
	;; [unrolled: 2-line block ×3, first 2 shown]
	s_clause 0x2
	global_load_b32 v11, v[1:2], off
	global_load_b32 v3, v[3:4], off
	;; [unrolled: 1-line block ×3, first 2 shown]
	v_add_co_u32 v1, vcc_lo, s7, v7
	v_add_co_ci_u32_e32 v2, vcc_lo, s8, v8, vcc_lo
	s_mov_b32 s7, exec_lo
	global_load_b32 v5, v[1:2], off
	v_mbcnt_lo_u32_b32 v1, -1, 0
	s_delay_alu instid0(VALU_DEP_1)
	v_xor_b32_e32 v2, 16, v1
	v_xor_b32_e32 v8, 8, v1
	;; [unrolled: 1-line block ×5, first 2 shown]
	v_cmp_gt_i32_e32 vcc_lo, 32, v2
	v_cndmask_b32_e32 v2, v1, v2, vcc_lo
	v_cmp_gt_i32_e32 vcc_lo, 32, v8
	s_delay_alu instid0(VALU_DEP_2) | instskip(SKIP_2) | instid1(VALU_DEP_2)
	v_lshlrev_b32_e32 v2, 2, v2
	v_cndmask_b32_e32 v8, v1, v8, vcc_lo
	v_cmp_gt_i32_e32 vcc_lo, 32, v12
	v_lshlrev_b32_e32 v8, 2, v8
	v_cndmask_b32_e32 v12, v1, v12, vcc_lo
	v_cmp_gt_i32_e32 vcc_lo, 32, v15
	s_delay_alu instid0(VALU_DEP_2) | instskip(SKIP_2) | instid1(VALU_DEP_1)
	v_dual_cndmask_b32 v15, v1, v15 :: v_dual_lshlrev_b32 v12, 2, v12
	v_cmp_gt_i32_e32 vcc_lo, 32, v16
	v_cndmask_b32_e32 v1, v1, v16, vcc_lo
	v_lshlrev_b32_e32 v16, 2, v1
	s_delay_alu instid0(VALU_DEP_4) | instskip(SKIP_2) | instid1(VALU_DEP_1)
	v_lshlrev_b32_e32 v15, 2, v15
	s_waitcnt vmcnt(6)
	v_dual_max_f32 v7, v13, v13 :: v_dual_max_f32 v6, v14, v14
	v_max_f32_e32 v6, v7, v6
	s_waitcnt vmcnt(4)
	s_delay_alu instid0(VALU_DEP_1) | instskip(SKIP_3) | instid1(VALU_DEP_1)
	v_max3_f32 v6, v6, v9, v10
	ds_bpermute_b32 v7, v2, v6
	s_waitcnt lgkmcnt(0)
	v_max_f32_e32 v7, v7, v7
	v_max_f32_e32 v6, v6, v7
	ds_bpermute_b32 v7, v8, v6
	s_waitcnt lgkmcnt(0)
	v_max_f32_e32 v7, v7, v7
	s_delay_alu instid0(VALU_DEP_1) | instskip(SKIP_3) | instid1(VALU_DEP_1)
	v_max_f32_e32 v6, v6, v7
	ds_bpermute_b32 v7, v12, v6
	s_waitcnt lgkmcnt(0)
	v_max_f32_e32 v7, v7, v7
	v_max_f32_e32 v6, v6, v7
	ds_bpermute_b32 v7, v15, v6
	s_waitcnt lgkmcnt(0)
	v_max_f32_e32 v7, v7, v7
	s_delay_alu instid0(VALU_DEP_1) | instskip(SKIP_3) | instid1(VALU_DEP_1)
	v_max_f32_e32 v1, v6, v7
	ds_bpermute_b32 v6, v16, v1
	s_waitcnt lgkmcnt(0)
	v_max_f32_e32 v6, v6, v6
	v_max_f32_e32 v1, v1, v6
	s_delay_alu instid0(VALU_DEP_1) | instskip(SKIP_1) | instid1(VALU_DEP_2)
	v_sub_f32_e32 v9, v9, v1
	v_sub_f32_e32 v7, v14, v1
	v_mul_f32_e32 v14, 0x3fb8aa3b, v9
	v_sub_f32_e32 v6, v13, v1
	v_sub_f32_e32 v1, v10, v1
	s_delay_alu instid0(VALU_DEP_3) | instskip(NEXT) | instid1(VALU_DEP_3)
	v_fma_f32 v22, 0x3fb8aa3b, v9, -v14
	v_mul_f32_e32 v10, 0x3fb8aa3b, v6
	v_rndne_f32_e32 v23, v14
	v_cmp_ngt_f32_e32 vcc_lo, 0xc2ce8ed0, v6
	s_delay_alu instid0(VALU_DEP_3) | instskip(SKIP_1) | instid1(VALU_DEP_2)
	v_fma_f32 v18, 0x3fb8aa3b, v6, -v10
	v_rndne_f32_e32 v19, v10
	v_fmac_f32_e32 v18, 0x32a5705f, v6
	s_delay_alu instid0(VALU_DEP_2) | instskip(NEXT) | instid1(VALU_DEP_1)
	v_sub_f32_e32 v10, v10, v19
	v_dual_mul_f32 v13, 0x3fb8aa3b, v7 :: v_dual_add_f32 v10, v10, v18
	s_delay_alu instid0(VALU_DEP_1) | instskip(SKIP_2) | instid1(VALU_DEP_4)
	v_fma_f32 v20, 0x3fb8aa3b, v7, -v13
	v_rndne_f32_e32 v21, v13
	v_cvt_i32_f32_e32 v18, v19
	v_exp_f32_e32 v10, v10
	s_delay_alu instid0(VALU_DEP_3) | instskip(SKIP_4) | instid1(VALU_DEP_4)
	v_fmac_f32_e32 v20, 0x32a5705f, v7
	v_mul_f32_e32 v17, 0x3fb8aa3b, v1
	v_sub_f32_e32 v13, v13, v21
	v_fmac_f32_e32 v22, 0x32a5705f, v9
	v_cvt_i32_f32_e32 v19, v21
	v_rndne_f32_e32 v25, v17
	s_delay_alu instid0(VALU_DEP_4) | instskip(SKIP_1) | instid1(TRANS32_DEP_1)
	v_dual_add_f32 v13, v13, v20 :: v_dual_sub_f32 v14, v14, v23
	v_fma_f32 v24, 0x3fb8aa3b, v1, -v17
	v_ldexp_f32 v10, v10, v18
	s_delay_alu instid0(VALU_DEP_4) | instskip(NEXT) | instid1(VALU_DEP_4)
	v_sub_f32_e32 v17, v17, v25
	v_exp_f32_e32 v13, v13
	v_add_f32_e32 v14, v14, v22
	v_cvt_i32_f32_e32 v20, v23
	v_sub_nc_u32_e32 v22, s21, v0
	v_cvt_i32_f32_e32 v21, v25
	s_delay_alu instid0(VALU_DEP_4)
	v_exp_f32_e32 v14, v14
	s_waitcnt_depctr 0xfff
	v_ldexp_f32 v13, v13, v19
	v_cndmask_b32_e32 v10, 0, v10, vcc_lo
	v_cmp_ngt_f32_e32 vcc_lo, 0xc2ce8ed0, v7
	v_ldexp_f32 v14, v14, v20
	s_delay_alu instid0(VALU_DEP_4) | instskip(SKIP_1) | instid1(VALU_DEP_3)
	v_cndmask_b32_e32 v13, 0, v13, vcc_lo
	v_cmp_ngt_f32_e32 vcc_lo, 0xc2ce8ed0, v9
	v_cndmask_b32_e32 v14, 0, v14, vcc_lo
	v_cmp_nlt_f32_e32 vcc_lo, 0x42b17218, v6
	v_cndmask_b32_e32 v6, 0x7f800000, v10, vcc_lo
	v_cmp_nlt_f32_e32 vcc_lo, 0x42b17218, v7
	;; [unrolled: 2-line block ×3, first 2 shown]
	v_cndmask_b32_e32 v9, 0x7f800000, v14, vcc_lo
	v_cmp_lt_i32_e32 vcc_lo, 0, v22
	v_cndmask_b32_e32 v6, 0, v6, vcc_lo
	v_cmp_lt_i32_e32 vcc_lo, 32, v22
	s_waitcnt vmcnt(3)
	s_delay_alu instid0(VALU_DEP_2) | instskip(SKIP_2) | instid1(VALU_DEP_2)
	v_mul_f32_e32 v6, v11, v6
	v_dual_fmac_f32 v24, 0x32a5705f, v1 :: v_dual_cndmask_b32 v7, 0, v7
	v_cmp_lt_i32_e32 vcc_lo, 64, v22
	v_add_f32_e32 v17, v17, v24
	s_waitcnt vmcnt(2)
	s_delay_alu instid0(VALU_DEP_3) | instskip(SKIP_3) | instid1(VALU_DEP_3)
	v_mul_f32_e32 v3, v3, v7
	v_cndmask_b32_e32 v9, 0, v9, vcc_lo
	v_cmp_ngt_f32_e32 vcc_lo, 0xc2ce8ed0, v1
	v_exp_f32_e32 v17, v17
	v_add_f32_e32 v7, v6, v3
	s_waitcnt_depctr 0xfff
	v_ldexp_f32 v17, v17, v21
	s_delay_alu instid0(VALU_DEP_1) | instskip(SKIP_2) | instid1(VALU_DEP_2)
	v_cndmask_b32_e32 v10, 0, v17, vcc_lo
	v_cmp_nlt_f32_e32 vcc_lo, 0x42b17218, v1
	s_waitcnt vmcnt(1)
	v_dual_mul_f32 v4, v4, v9 :: v_dual_cndmask_b32 v1, 0x7f800000, v10
	v_cmp_lt_i32_e32 vcc_lo, 0x60, v22
	s_delay_alu instid0(VALU_DEP_2) | instskip(NEXT) | instid1(VALU_DEP_3)
	v_cndmask_b32_e32 v9, 0, v1, vcc_lo
	v_add_f32_e32 v1, v7, v4
	v_lshlrev_b32_e32 v7, 2, v0
	s_waitcnt vmcnt(0)
	s_delay_alu instid0(VALU_DEP_2)
	v_fmac_f32_e32 v1, v5, v9
	v_mul_f32_e32 v5, v5, v9
	ds_store_2addr_b32 v7, v6, v3 offset1:32
	ds_store_2addr_b32 v7, v4, v5 offset0:64 offset1:96
	ds_bpermute_b32 v2, v2, v1
	s_waitcnt lgkmcnt(0)
	v_add_f32_e32 v1, v1, v2
	ds_bpermute_b32 v2, v8, v1
	s_waitcnt lgkmcnt(0)
	v_add_f32_e32 v1, v1, v2
	;; [unrolled: 3-line block ×4, first 2 shown]
	ds_bpermute_b32 v2, v16, v1
	v_cmpx_eq_u32_e32 0, v0
	s_cbranch_execz .LBB597_8
; %bb.7:
	s_waitcnt lgkmcnt(0)
	v_dual_add_f32 v1, v1, v2 :: v_dual_mov_b32 v2, 0
	ds_store_b32 v2, v1 offset:512
.LBB597_8:
	s_or_b32 exec_lo, exec_lo, s7
	v_mov_b32_e32 v1, s6
.LBB597_9:
	s_or_b32 exec_lo, exec_lo, s22
	s_lshl_b32 s6, s18, 7
	s_mov_b32 s7, 0
	s_waitcnt lgkmcnt(0)
	v_dual_mov_b32 v2, 0 :: v_dual_lshlrev_b32 v1, 7, v1
	s_lshl_b64 s[6:7], s[6:7], 1
	v_dual_mov_b32 v33, 0 :: v_dual_mov_b32 v34, 0
	s_add_u32 s34, s4, s6
	s_addc_u32 s35, s5, s7
	s_lshl_b32 s51, s21, 7
	v_lshlrev_b64 v[3:4], 1, v[1:2]
	s_addk_i32 s51, 0xff80
	s_cmpk_lt_i32 s50, 0x100
	v_lshlrev_b32_e32 v1, 1, v0
	s_cselect_b32 s4, s51, 0
	v_mov_b32_e32 v35, 0
	s_ashr_i32 s5, s4, 31
	v_add_co_u32 v3, vcc_lo, s34, v3
	s_lshl_b64 s[4:5], s[4:5], 1
	s_cmpk_lt_i32 s50, 0x200
	v_add_co_ci_u32_e32 v4, vcc_lo, s35, v4, vcc_lo
	s_cselect_b32 s6, s51, 0x80
	v_add_co_u32 v1, vcc_lo, v3, v1
	s_ashr_i32 s7, s6, 31
	s_delay_alu instid0(VALU_DEP_2)
	v_add_co_ci_u32_e32 v3, vcc_lo, 0, v4, vcc_lo
	s_lshl_b64 s[6:7], s[6:7], 1
	s_cmpk_lt_i32 s50, 0x300
	v_add_co_u32 v4, vcc_lo, v1, s4
	s_cselect_b32 s8, s51, 0x100
	v_add_co_ci_u32_e32 v5, vcc_lo, s5, v3, vcc_lo
	s_ashr_i32 s9, s8, 31
	v_add_co_u32 v6, vcc_lo, v1, s6
	s_lshl_b64 s[8:9], s[8:9], 1
	s_cmpk_lt_i32 s50, 0x400
	v_add_co_ci_u32_e32 v7, vcc_lo, s7, v3, vcc_lo
	s_cselect_b32 s10, s51, 0x180
	v_add_co_u32 v8, vcc_lo, v1, s8
	s_ashr_i32 s11, s10, 31
	v_add_co_ci_u32_e32 v9, vcc_lo, s9, v3, vcc_lo
	s_lshl_b64 s[10:11], s[10:11], 1
	s_cmpk_lt_i32 s50, 0x500
	v_add_co_u32 v14, vcc_lo, v1, s10
	s_cselect_b32 s18, s51, 0x200
	v_add_co_ci_u32_e32 v15, vcc_lo, s11, v3, vcc_lo
	s_ashr_i32 s19, s18, 31
	v_mov_b32_e32 v32, 0
	s_lshl_b64 s[18:19], s[18:19], 1
	s_cmpk_lt_i32 s50, 0x600
	v_add_co_u32 v16, vcc_lo, v1, s18
	s_cselect_b32 s22, s51, 0x280
	v_add_co_ci_u32_e32 v17, vcc_lo, s19, v3, vcc_lo
	s_ashr_i32 s23, s22, 31
	s_delay_alu instid0(SALU_CYCLE_1)
	s_lshl_b64 s[22:23], s[22:23], 1
	s_cmpk_lt_i32 s50, 0x700
	v_add_co_u32 v18, vcc_lo, v1, s22
	s_cselect_b32 s24, s51, 0x300
	v_add_co_ci_u32_e32 v19, vcc_lo, s23, v3, vcc_lo
	s_ashr_i32 s25, s24, 31
	s_delay_alu instid0(SALU_CYCLE_1)
	;; [unrolled: 7-line block ×3, first 2 shown]
	s_lshl_b64 s[26:27], s[26:27], 1
	s_cmpk_lt_i32 s50, 0x900
	v_add_co_u32 v22, vcc_lo, v1, s26
	s_cselect_b32 s28, s51, 0x400
	v_add_co_ci_u32_e32 v23, vcc_lo, s27, v3, vcc_lo
	s_ashr_i32 s29, s28, 31
	s_clause 0x7
	global_load_u16 v13, v[4:5], off
	global_load_u16 v4, v[6:7], off
	;; [unrolled: 1-line block ×8, first 2 shown]
	s_lshl_b64 s[28:29], s[28:29], 1
	s_cmpk_lt_i32 s50, 0xa00
	v_add_co_u32 v14, vcc_lo, v1, s28
	s_cselect_b32 s30, s51, 0x480
	v_add_co_ci_u32_e32 v15, vcc_lo, s29, v3, vcc_lo
	s_ashr_i32 s31, s30, 31
	s_delay_alu instid0(SALU_CYCLE_1)
	s_lshl_b64 s[30:31], s[30:31], 1
	s_cmpk_lt_i32 s50, 0xb00
	v_add_co_u32 v16, vcc_lo, v1, s30
	s_cselect_b32 s34, s51, 0x500
	v_add_co_ci_u32_e32 v17, vcc_lo, s31, v3, vcc_lo
	s_ashr_i32 s35, s34, 31
	s_delay_alu instid0(SALU_CYCLE_1)
	;; [unrolled: 7-line block ×7, first 2 shown]
	s_lshl_b64 s[4:5], s[6:7], 1
	s_cmpk_gt_i32 s20, 0x1000
	v_add_co_u32 v30, vcc_lo, v1, s4
	v_add_co_ci_u32_e32 v31, vcc_lo, s5, v3, vcc_lo
	s_clause 0x7
	global_load_u16 v19, v[14:15], off
	global_load_u16 v18, v[16:17], off
	;; [unrolled: 1-line block ×8, first 2 shown]
	v_dual_mov_b32 v20, 0 :: v_dual_mov_b32 v21, 0
	v_dual_mov_b32 v22, 0 :: v_dual_mov_b32 v23, 0
	;; [unrolled: 1-line block ×6, first 2 shown]
	s_cselect_b32 s6, -1, 0
	s_cmpk_lt_i32 s20, 0x1001
	s_waitcnt vmcnt(0)
	s_barrier
	buffer_gl0_inv
	s_cbranch_scc1 .LBB597_11
; %bb.10:
	s_cmpk_lt_i32 s50, 0x1100
	s_cselect_b32 s4, s51, 0x800
	s_delay_alu instid0(SALU_CYCLE_1) | instskip(NEXT) | instid1(SALU_CYCLE_1)
	s_ashr_i32 s5, s4, 31
	s_lshl_b64 s[4:5], s[4:5], 1
	s_cmpk_lt_i32 s50, 0x1200
	v_add_co_u32 v20, vcc_lo, v1, s4
	s_cselect_b32 s8, s51, 0x880
	v_add_co_ci_u32_e32 v21, vcc_lo, s5, v3, vcc_lo
	s_ashr_i32 s9, s8, 31
	s_delay_alu instid0(SALU_CYCLE_1)
	s_lshl_b64 s[8:9], s[8:9], 1
	s_cmpk_lt_i32 s50, 0x1300
	v_add_co_u32 v22, vcc_lo, v1, s8
	s_cselect_b32 s10, s51, 0x900
	v_add_co_ci_u32_e32 v23, vcc_lo, s9, v3, vcc_lo
	s_ashr_i32 s11, s10, 31
	s_delay_alu instid0(SALU_CYCLE_1)
	;; [unrolled: 7-line block ×14, first 2 shown]
	s_lshl_b64 s[4:5], s[18:19], 1
	s_cmpk_lt_i32 s50, 0x2000
	v_add_co_u32 v48, vcc_lo, v1, s4
	s_cselect_b32 s8, s51, 0xf80
	v_add_co_ci_u32_e32 v49, vcc_lo, s5, v3, vcc_lo
	s_ashr_i32 s9, s8, 31
	s_delay_alu instid0(SALU_CYCLE_1) | instskip(NEXT) | instid1(SALU_CYCLE_1)
	s_lshl_b64 s[4:5], s[8:9], 1
	v_add_co_u32 v50, vcc_lo, v1, s4
	v_add_co_ci_u32_e32 v51, vcc_lo, s5, v3, vcc_lo
	s_clause 0xf
	global_load_u16 v20, v[20:21], off
	global_load_u16 v21, v[22:23], off
	;; [unrolled: 1-line block ×16, first 2 shown]
	s_waitcnt vmcnt(15)
	v_lshlrev_b32_e32 v35, 16, v20
	s_waitcnt vmcnt(14)
	v_lshlrev_b32_e32 v34, 16, v21
	;; [unrolled: 2-line block ×16, first 2 shown]
.LBB597_11:
	ds_load_b128 v[36:39], v2
	ds_load_b128 v[40:43], v2 offset:16
	v_lshlrev_b32_e32 v44, 16, v4
	v_lshlrev_b32_e32 v13, 16, v13
	;; [unrolled: 1-line block ×4, first 2 shown]
	s_and_not1_b32 vcc_lo, exec_lo, s6
	v_lshlrev_b32_e32 v5, 16, v5
	s_waitcnt lgkmcnt(1)
	v_fma_f32 v4, v36, v13, 0
	s_delay_alu instid0(VALU_DEP_1) | instskip(SKIP_1) | instid1(VALU_DEP_1)
	v_dual_fmac_f32 v4, v37, v44 :: v_dual_lshlrev_b32 v9, 16, v9
	v_lshlrev_b32_e32 v11, 16, v11
	v_dual_fmac_f32 v4, v38, v11 :: v_dual_lshlrev_b32 v11, 16, v18
	s_delay_alu instid0(VALU_DEP_1) | instskip(SKIP_3) | instid1(VALU_DEP_1)
	v_dual_fmac_f32 v4, v39, v9 :: v_dual_lshlrev_b32 v7, 16, v7
	ds_load_b128 v[36:39], v2 offset:32
	s_waitcnt lgkmcnt(1)
	v_dual_fmac_f32 v4, v40, v8 :: v_dual_lshlrev_b32 v9, 16, v19
	v_fmac_f32_e32 v4, v41, v7
	s_delay_alu instid0(VALU_DEP_1) | instskip(NEXT) | instid1(VALU_DEP_1)
	v_fmac_f32_e32 v4, v42, v6
	v_fmac_f32_e32 v4, v43, v5
	ds_load_b128 v[5:8], v2 offset:48
	s_waitcnt lgkmcnt(1)
	v_fmac_f32_e32 v4, v36, v9
	s_delay_alu instid0(VALU_DEP_1) | instskip(NEXT) | instid1(VALU_DEP_1)
	v_dual_fmac_f32 v4, v37, v11 :: v_dual_lshlrev_b32 v9, 16, v17
	v_dual_fmac_f32 v4, v38, v9 :: v_dual_lshlrev_b32 v11, 16, v16
	v_lshlrev_b32_e32 v9, 16, v15
	s_delay_alu instid0(VALU_DEP_2) | instskip(SKIP_1) | instid1(VALU_DEP_1)
	v_dual_fmac_f32 v4, v39, v11 :: v_dual_lshlrev_b32 v11, 16, v14
	s_waitcnt lgkmcnt(0)
	v_dual_fmac_f32 v4, v5, v9 :: v_dual_lshlrev_b32 v5, 16, v12
	s_delay_alu instid0(VALU_DEP_1) | instskip(NEXT) | instid1(VALU_DEP_1)
	v_fmac_f32_e32 v4, v6, v11
	v_dual_fmac_f32 v4, v7, v5 :: v_dual_lshlrev_b32 v5, 16, v10
	s_delay_alu instid0(VALU_DEP_1)
	v_fmac_f32_e32 v4, v8, v5
	s_cbranch_vccz .LBB597_23
; %bb.12:
	s_cmpk_lt_i32 s50, 0x2100
	s_cbranch_scc0 .LBB597_24
.LBB597_13:
	s_cmpk_lt_i32 s50, 0x4100
	s_cbranch_scc0 .LBB597_25
.LBB597_14:
	s_cmpk_lt_i32 s50, 0x6100
	s_cbranch_scc0 .LBB597_26
.LBB597_15:
	v_mov_b32_e32 v1, 0
	s_and_not1_b32 vcc_lo, exec_lo, s15
	ds_load_b32 v1, v1 offset:512
	s_cbranch_vccnz .LBB597_17
.LBB597_16:
	s_add_u32 s2, s12, s16
	s_addc_u32 s3, s13, s17
	s_load_b32 s2, s[2:3], 0x0
	s_mov_b32 s3, 0
.LBB597_17:
	s_waitcnt lgkmcnt(0)
	v_add_f32_e32 v1, 0x358637bd, v1
	s_load_b64 s[0:1], s[0:1], 0x0
	s_delay_alu instid0(VALU_DEP_1) | instskip(NEXT) | instid1(VALU_DEP_1)
	v_div_scale_f32 v2, null, v1, v1, 1.0
	v_rcp_f32_e32 v3, v2
	s_waitcnt_depctr 0xfff
	v_fma_f32 v5, -v2, v3, 1.0
	s_delay_alu instid0(VALU_DEP_1) | instskip(SKIP_1) | instid1(VALU_DEP_1)
	v_fmac_f32_e32 v3, v5, v3
	v_div_scale_f32 v5, vcc_lo, 1.0, v1, 1.0
	v_mul_f32_e32 v6, v5, v3
	s_delay_alu instid0(VALU_DEP_1) | instskip(NEXT) | instid1(VALU_DEP_1)
	v_fma_f32 v7, -v2, v6, v5
	v_fmac_f32_e32 v6, v7, v3
	s_delay_alu instid0(VALU_DEP_1) | instskip(NEXT) | instid1(VALU_DEP_1)
	v_fma_f32 v2, -v2, v6, v5
	v_div_fmas_f32 v2, v2, v3, v6
	s_delay_alu instid0(VALU_DEP_1) | instskip(NEXT) | instid1(VALU_DEP_1)
	v_div_fixup_f32 v1, v2, v1, 1.0
	v_mul_f32_e32 v2, v4, v1
	s_delay_alu instid0(VALU_DEP_1) | instskip(NEXT) | instid1(VALU_DEP_1)
	v_and_b32_e32 v1, 0x7f800000, v2
	v_cmp_ne_u32_e32 vcc_lo, 0x7f800000, v1
                                        ; implicit-def: $vgpr1
	s_and_saveexec_b32 s4, vcc_lo
	s_delay_alu instid0(SALU_CYCLE_1)
	s_xor_b32 s4, exec_lo, s4
; %bb.18:
	v_bfe_u32 v1, v2, 16, 1
	s_delay_alu instid0(VALU_DEP_1)
	v_add3_u32 v1, v2, v1, 0x7fff
                                        ; implicit-def: $vgpr2
; %bb.19:
	s_and_not1_saveexec_b32 s4, s4
; %bb.20:
	v_and_b32_e32 v1, 0xffff, v2
	v_or_b32_e32 v3, 0x10000, v2
	s_delay_alu instid0(VALU_DEP_2) | instskip(NEXT) | instid1(VALU_DEP_2)
	v_cmp_eq_u32_e32 vcc_lo, 0, v1
	v_cndmask_b32_e32 v1, v3, v2, vcc_lo
; %bb.21:
	s_or_b32 exec_lo, exec_lo, s4
	s_mul_i32 s3, s33, s3
	s_mul_hi_u32 s4, s33, s2
	s_mul_i32 s2, s33, s2
	s_add_i32 s3, s4, s3
	s_mov_b32 s15, 0
	s_lshl_b64 s[2:3], s[2:3], 7
	v_and_b32_e32 v1, 0xffff0000, v1
	s_waitcnt lgkmcnt(0)
	s_add_u32 s2, s0, s2
	s_addc_u32 s3, s1, s3
	s_lshl_b64 s[0:1], s[14:15], 7
	s_delay_alu instid0(SALU_CYCLE_1)
	s_add_u32 s0, s2, s0
	s_addc_u32 s1, s3, s1
	v_add_co_u32 v0, s0, s0, v0
	v_cvt_i32_f32_e32 v2, v1
	v_add_co_ci_u32_e64 v1, null, s1, 0, s0
	global_store_b8 v[0:1], v2, off
	s_nop 0
	s_sendmsg sendmsg(MSG_DEALLOC_VGPRS)
	s_endpgm
.LBB597_22:
	s_mov_b32 s4, 0
	s_branch .LBB597_2
.LBB597_23:
	ds_load_b128 v[5:8], v2 offset:64
	ds_load_b128 v[9:12], v2 offset:80
	s_waitcnt lgkmcnt(1)
	v_fmac_f32_e32 v4, v5, v35
	s_delay_alu instid0(VALU_DEP_1) | instskip(NEXT) | instid1(VALU_DEP_1)
	v_fmac_f32_e32 v4, v6, v34
	v_fmac_f32_e32 v4, v7, v33
	s_delay_alu instid0(VALU_DEP_1) | instskip(SKIP_3) | instid1(VALU_DEP_1)
	v_fmac_f32_e32 v4, v8, v32
	ds_load_b128 v[5:8], v2 offset:96
	s_waitcnt lgkmcnt(1)
	v_fmac_f32_e32 v4, v9, v31
	v_fmac_f32_e32 v4, v10, v30
	s_delay_alu instid0(VALU_DEP_1) | instskip(NEXT) | instid1(VALU_DEP_1)
	v_fmac_f32_e32 v4, v11, v29
	v_fmac_f32_e32 v4, v12, v28
	ds_load_b128 v[9:12], v2 offset:112
	s_waitcnt lgkmcnt(1)
	v_fmac_f32_e32 v4, v5, v27
	s_delay_alu instid0(VALU_DEP_1) | instskip(NEXT) | instid1(VALU_DEP_1)
	v_fmac_f32_e32 v4, v6, v26
	v_fmac_f32_e32 v4, v7, v25
	s_delay_alu instid0(VALU_DEP_1) | instskip(SKIP_1) | instid1(VALU_DEP_1)
	v_fmac_f32_e32 v4, v8, v24
	s_waitcnt lgkmcnt(0)
	v_fmac_f32_e32 v4, v9, v23
	s_delay_alu instid0(VALU_DEP_1) | instskip(NEXT) | instid1(VALU_DEP_1)
	v_fmac_f32_e32 v4, v10, v22
	v_fmac_f32_e32 v4, v11, v21
	s_delay_alu instid0(VALU_DEP_1)
	v_fmac_f32_e32 v4, v12, v20
	s_cmpk_lt_i32 s50, 0x2100
	s_cbranch_scc1 .LBB597_13
.LBB597_24:
	s_cmpk_lt_u32 s50, 0x2200
	v_add_co_u32 v5, vcc_lo, 0x2000, v1
	s_cselect_b32 s4, s51, 0x1080
	v_add_co_ci_u32_e32 v6, vcc_lo, 0, v3, vcc_lo
	s_ashr_i32 s5, s4, 31
	v_mov_b32_e32 v44, 0
	s_lshl_b64 s[4:5], s[4:5], 1
	s_cmpk_lt_u32 s50, 0x2300
	global_load_u16 v2, v[5:6], off
	s_cselect_b32 s6, s51, 0x1100
	v_add_co_u32 v5, vcc_lo, v1, s4
	s_ashr_i32 s7, s6, 31
	v_add_co_ci_u32_e32 v6, vcc_lo, s5, v3, vcc_lo
	s_lshl_b64 s[8:9], s[6:7], 1
	s_cmpk_lt_u32 s50, 0x2400
	v_add_co_u32 v7, vcc_lo, v1, s8
	s_cselect_b32 s6, s51, 0x1180
	v_add_co_ci_u32_e32 v8, vcc_lo, s9, v3, vcc_lo
	s_ashr_i32 s7, s6, 31
	s_delay_alu instid0(SALU_CYCLE_1)
	s_lshl_b64 s[18:19], s[6:7], 1
	s_cmpk_lt_u32 s50, 0x2500
	v_add_co_u32 v9, vcc_lo, v1, s18
	s_cselect_b32 s6, s51, 0x1200
	v_add_co_ci_u32_e32 v10, vcc_lo, s19, v3, vcc_lo
	s_ashr_i32 s7, s6, 31
	s_delay_alu instid0(SALU_CYCLE_1)
	s_lshl_b64 s[24:25], s[6:7], 1
	s_cmpk_lt_u32 s50, 0x2600
	v_add_co_u32 v11, vcc_lo, v1, s24
	s_cselect_b32 s6, s51, 0x1280
	v_add_co_ci_u32_e32 v12, vcc_lo, s25, v3, vcc_lo
	s_ashr_i32 s7, s6, 31
	s_clause 0x3
	global_load_u16 v13, v[5:6], off
	global_load_u16 v14, v[7:8], off
	;; [unrolled: 1-line block ×4, first 2 shown]
	s_lshl_b64 s[6:7], s[6:7], 1
	s_cmpk_lt_u32 s50, 0x2700
	v_add_co_u32 v5, vcc_lo, v1, s6
	s_cselect_b32 s10, s51, 0x1300
	v_add_co_ci_u32_e32 v6, vcc_lo, s7, v3, vcc_lo
	s_ashr_i32 s11, s10, 31
	s_delay_alu instid0(SALU_CYCLE_1)
	s_lshl_b64 s[10:11], s[10:11], 1
	s_cmpk_lt_u32 s50, 0x2800
	v_add_co_u32 v7, vcc_lo, v1, s10
	s_cselect_b32 s20, s51, 0x1380
	v_add_co_ci_u32_e32 v8, vcc_lo, s11, v3, vcc_lo
	s_ashr_i32 s21, s20, 31
	s_delay_alu instid0(SALU_CYCLE_1)
	;; [unrolled: 7-line block ×3, first 2 shown]
	s_lshl_b64 s[30:31], s[20:21], 1
	s_cmpk_lt_u32 s50, 0x2a00
	v_add_co_u32 v11, vcc_lo, v1, s30
	s_cselect_b32 s20, s51, 0x1480
	v_add_co_ci_u32_e32 v12, vcc_lo, s31, v3, vcc_lo
	s_ashr_i32 s21, s20, 31
	s_clause 0x3
	global_load_u16 v17, v[5:6], off
	global_load_u16 v18, v[7:8], off
	;; [unrolled: 1-line block ×4, first 2 shown]
	s_lshl_b64 s[20:21], s[20:21], 1
	s_cmpk_lt_u32 s50, 0x2b00
	v_add_co_u32 v5, vcc_lo, v1, s20
	s_cselect_b32 s26, s51, 0x1500
	v_add_co_ci_u32_e32 v6, vcc_lo, s21, v3, vcc_lo
	s_ashr_i32 s27, s26, 31
	s_delay_alu instid0(SALU_CYCLE_1)
	s_lshl_b64 s[26:27], s[26:27], 1
	s_cmpk_lt_u32 s50, 0x2c00
	v_add_co_u32 v7, vcc_lo, v1, s26
	s_cselect_b32 s28, s51, 0x1580
	v_add_co_ci_u32_e32 v8, vcc_lo, s27, v3, vcc_lo
	s_ashr_i32 s29, s28, 31
	global_load_u16 v21, v[5:6], off
	s_lshl_b64 s[34:35], s[28:29], 1
	s_cmpk_lt_u32 s50, 0x2d00
	v_add_co_u32 v9, vcc_lo, v1, s34
	s_cselect_b32 s28, s51, 0x1600
	v_add_co_ci_u32_e32 v10, vcc_lo, s35, v3, vcc_lo
	s_ashr_i32 s29, s28, 31
	s_delay_alu instid0(SALU_CYCLE_1)
	s_lshl_b64 s[38:39], s[28:29], 1
	s_cmpk_lt_u32 s50, 0x2e00
	v_add_co_u32 v11, vcc_lo, v1, s38
	s_cselect_b32 s28, s51, 0x1680
	v_add_co_ci_u32_e32 v12, vcc_lo, s39, v3, vcc_lo
	s_ashr_i32 s29, s28, 31
	s_clause 0x2
	global_load_u16 v22, v[7:8], off
	global_load_u16 v23, v[9:10], off
	;; [unrolled: 1-line block ×3, first 2 shown]
	s_lshl_b64 s[28:29], s[28:29], 1
	s_cmpk_lt_u32 s50, 0x2f00
	v_add_co_u32 v5, vcc_lo, v1, s28
	s_cselect_b32 s36, s51, 0x1700
	v_add_co_ci_u32_e32 v6, vcc_lo, s29, v3, vcc_lo
	s_ashr_i32 s37, s36, 31
	s_delay_alu instid0(SALU_CYCLE_1)
	s_lshl_b64 s[36:37], s[36:37], 1
	s_cmpk_lt_u32 s50, 0x3000
	v_add_co_u32 v7, vcc_lo, v1, s36
	s_cselect_b32 s40, s51, 0x1780
	v_add_co_ci_u32_e32 v8, vcc_lo, s37, v3, vcc_lo
	s_ashr_i32 s41, s40, 31
	global_load_u16 v25, v[5:6], off
	s_lshl_b64 s[40:41], s[40:41], 1
	global_load_u16 v26, v[7:8], off
	s_cmpk_lt_u32 s50, 0x3100
	v_add_co_u32 v9, vcc_lo, v1, s40
	s_cselect_b32 s42, s51, 0x1800
	v_add_co_ci_u32_e32 v10, vcc_lo, s41, v3, vcc_lo
	s_ashr_i32 s43, s42, 31
	s_delay_alu instid0(SALU_CYCLE_1)
	s_lshl_b64 s[42:43], s[42:43], 1
	global_load_u16 v27, v[9:10], off
	s_cmpk_lt_u32 s50, 0x3200
	v_add_co_u32 v5, vcc_lo, v1, s42
	s_cselect_b32 s44, s51, 0x1880
	v_add_co_ci_u32_e32 v6, vcc_lo, s43, v3, vcc_lo
	s_ashr_i32 s45, s44, 31
	s_delay_alu instid0(SALU_CYCLE_1)
	s_lshl_b64 s[44:45], s[44:45], 1
	s_cmpk_lt_u32 s50, 0x3300
	v_add_co_u32 v7, vcc_lo, v1, s44
	s_cselect_b32 s46, s51, 0x1900
	v_add_co_ci_u32_e32 v8, vcc_lo, s45, v3, vcc_lo
	s_ashr_i32 s47, s46, 31
	global_load_u16 v28, v[5:6], off
	s_lshl_b64 s[46:47], s[46:47], 1
	global_load_u16 v29, v[7:8], off
	s_cmpk_lt_u32 s50, 0x3400
	v_add_co_u32 v9, vcc_lo, v1, s46
	s_cselect_b32 s48, s51, 0x1980
	v_add_co_ci_u32_e32 v10, vcc_lo, s47, v3, vcc_lo
	s_ashr_i32 s49, s48, 31
	s_delay_alu instid0(SALU_CYCLE_1)
	s_lshl_b64 s[48:49], s[48:49], 1
	s_cmpk_lt_u32 s50, 0x3500
	v_add_co_u32 v5, vcc_lo, v1, s48
	s_cselect_b32 s4, s51, 0x1a00
	v_add_co_ci_u32_e32 v6, vcc_lo, s49, v3, vcc_lo
	s_ashr_i32 s5, s4, 31
	global_load_u16 v30, v[9:10], off
	s_lshl_b64 s[4:5], s[4:5], 1
	s_cmpk_lt_u32 s50, 0x3600
	v_add_co_u32 v7, vcc_lo, v1, s4
	s_cselect_b32 s8, s51, 0x1a80
	v_add_co_ci_u32_e32 v8, vcc_lo, s5, v3, vcc_lo
	s_ashr_i32 s9, s8, 31
	global_load_u16 v31, v[5:6], off
	s_lshl_b64 s[6:7], s[8:9], 1
	global_load_u16 v32, v[7:8], off
	s_cmpk_lt_u32 s50, 0x3700
	v_add_co_u32 v5, vcc_lo, v1, s6
	s_cselect_b32 s8, s51, 0x1b00
	v_add_co_ci_u32_e32 v6, vcc_lo, s7, v3, vcc_lo
	s_ashr_i32 s9, s8, 31
	s_delay_alu instid0(SALU_CYCLE_1)
	s_lshl_b64 s[8:9], s[8:9], 1
	s_cmpk_lt_u32 s50, 0x3800
	v_add_co_u32 v7, vcc_lo, v1, s8
	s_cselect_b32 s10, s51, 0x1b80
	v_add_co_ci_u32_e32 v8, vcc_lo, s9, v3, vcc_lo
	s_ashr_i32 s11, s10, 31
	global_load_u16 v33, v[5:6], off
	s_lshl_b64 s[10:11], s[10:11], 1
	global_load_u16 v34, v[7:8], off
	s_cmpk_lt_u32 s50, 0x3900
	v_add_co_u32 v5, vcc_lo, v1, s10
	s_cselect_b32 s18, s51, 0x1c00
	v_add_co_ci_u32_e32 v6, vcc_lo, s11, v3, vcc_lo
	s_ashr_i32 s19, s18, 31
	s_delay_alu instid0(SALU_CYCLE_1)
	;; [unrolled: 15-line block ×5, first 2 shown]
	s_lshl_b64 s[4:5], s[8:9], 1
	s_cmpk_lt_u32 s50, 0x4000
	v_add_co_u32 v7, vcc_lo, v1, s4
	s_cselect_b32 s6, s51, 0x1f80
	v_add_co_ci_u32_e32 v8, vcc_lo, s5, v3, vcc_lo
	s_ashr_i32 s7, s6, 31
	global_load_u16 v41, v[5:6], off
	s_lshl_b64 s[4:5], s[6:7], 1
	global_load_u16 v42, v[7:8], off
	v_add_co_u32 v5, vcc_lo, v1, s4
	v_add_co_ci_u32_e32 v6, vcc_lo, s5, v3, vcc_lo
	global_load_u16 v43, v[5:6], off
	ds_load_b128 v[5:8], v44 offset:128
	ds_load_b128 v[9:12], v44 offset:144
	s_waitcnt vmcnt(31)
	v_lshlrev_b32_e32 v2, 16, v2
	s_waitcnt lgkmcnt(1)
	s_delay_alu instid0(VALU_DEP_1) | instskip(SKIP_2) | instid1(VALU_DEP_1)
	v_fmac_f32_e32 v4, v5, v2
	s_waitcnt vmcnt(30)
	v_lshlrev_b32_e32 v2, 16, v13
	v_fmac_f32_e32 v4, v6, v2
	s_waitcnt vmcnt(29)
	v_lshlrev_b32_e32 v2, 16, v14
	s_delay_alu instid0(VALU_DEP_1) | instskip(SKIP_2) | instid1(VALU_DEP_1)
	v_fmac_f32_e32 v4, v7, v2
	s_waitcnt vmcnt(28)
	v_lshlrev_b32_e32 v2, 16, v15
	v_fmac_f32_e32 v4, v8, v2
	s_waitcnt vmcnt(27)
	v_lshlrev_b32_e32 v2, 16, v16
	ds_load_b128 v[5:8], v44 offset:160
	s_waitcnt lgkmcnt(1)
	v_fmac_f32_e32 v4, v9, v2
	s_waitcnt vmcnt(26)
	v_lshlrev_b32_e32 v2, 16, v17
	s_delay_alu instid0(VALU_DEP_1) | instskip(SKIP_2) | instid1(VALU_DEP_1)
	v_fmac_f32_e32 v4, v10, v2
	s_waitcnt vmcnt(25)
	v_lshlrev_b32_e32 v2, 16, v18
	v_fmac_f32_e32 v4, v11, v2
	s_waitcnt vmcnt(24)
	v_lshlrev_b32_e32 v2, 16, v19
	s_delay_alu instid0(VALU_DEP_1) | instskip(SKIP_4) | instid1(VALU_DEP_1)
	v_fmac_f32_e32 v4, v12, v2
	ds_load_b128 v[9:12], v44 offset:176
	s_waitcnt vmcnt(23)
	v_lshlrev_b32_e32 v2, 16, v20
	s_waitcnt lgkmcnt(1)
	v_fmac_f32_e32 v4, v5, v2
	s_waitcnt vmcnt(22)
	v_lshlrev_b32_e32 v2, 16, v21
	s_delay_alu instid0(VALU_DEP_1) | instskip(SKIP_2) | instid1(VALU_DEP_1)
	v_fmac_f32_e32 v4, v6, v2
	s_waitcnt vmcnt(21)
	v_lshlrev_b32_e32 v2, 16, v22
	v_fmac_f32_e32 v4, v7, v2
	s_waitcnt vmcnt(20)
	v_lshlrev_b32_e32 v2, 16, v23
	s_delay_alu instid0(VALU_DEP_1)
	v_fmac_f32_e32 v4, v8, v2
	s_waitcnt vmcnt(19)
	v_lshlrev_b32_e32 v2, 16, v24
	ds_load_b128 v[5:8], v44 offset:192
	s_waitcnt lgkmcnt(1)
	v_fmac_f32_e32 v4, v9, v2
	s_waitcnt vmcnt(18)
	v_lshlrev_b32_e32 v2, 16, v25
	s_delay_alu instid0(VALU_DEP_1) | instskip(SKIP_2) | instid1(VALU_DEP_1)
	v_fmac_f32_e32 v4, v10, v2
	s_waitcnt vmcnt(17)
	v_lshlrev_b32_e32 v2, 16, v26
	v_fmac_f32_e32 v4, v11, v2
	s_waitcnt vmcnt(16)
	v_lshlrev_b32_e32 v2, 16, v27
	s_delay_alu instid0(VALU_DEP_1) | instskip(SKIP_4) | instid1(VALU_DEP_1)
	v_fmac_f32_e32 v4, v12, v2
	ds_load_b128 v[9:12], v44 offset:208
	s_waitcnt vmcnt(15)
	v_lshlrev_b32_e32 v2, 16, v28
	s_waitcnt lgkmcnt(1)
	v_fmac_f32_e32 v4, v5, v2
	s_waitcnt vmcnt(14)
	v_lshlrev_b32_e32 v2, 16, v29
	s_delay_alu instid0(VALU_DEP_1) | instskip(SKIP_2) | instid1(VALU_DEP_1)
	v_fmac_f32_e32 v4, v6, v2
	s_waitcnt vmcnt(13)
	v_lshlrev_b32_e32 v2, 16, v30
	v_fmac_f32_e32 v4, v7, v2
	s_waitcnt vmcnt(12)
	v_lshlrev_b32_e32 v2, 16, v31
	s_delay_alu instid0(VALU_DEP_1)
	v_fmac_f32_e32 v4, v8, v2
	s_waitcnt vmcnt(11)
	v_lshlrev_b32_e32 v2, 16, v32
	ds_load_b128 v[5:8], v44 offset:224
	s_waitcnt lgkmcnt(1)
	v_fmac_f32_e32 v4, v9, v2
	s_waitcnt vmcnt(10)
	v_lshlrev_b32_e32 v2, 16, v33
	s_delay_alu instid0(VALU_DEP_1) | instskip(SKIP_2) | instid1(VALU_DEP_1)
	v_fmac_f32_e32 v4, v10, v2
	s_waitcnt vmcnt(9)
	v_lshlrev_b32_e32 v2, 16, v34
	v_fmac_f32_e32 v4, v11, v2
	s_waitcnt vmcnt(8)
	v_lshlrev_b32_e32 v2, 16, v35
	s_delay_alu instid0(VALU_DEP_1) | instskip(SKIP_4) | instid1(VALU_DEP_1)
	v_fmac_f32_e32 v4, v12, v2
	ds_load_b128 v[9:12], v44 offset:240
	s_waitcnt vmcnt(7)
	v_lshlrev_b32_e32 v2, 16, v36
	s_waitcnt lgkmcnt(1)
	v_fmac_f32_e32 v4, v5, v2
	s_waitcnt vmcnt(6)
	v_lshlrev_b32_e32 v2, 16, v37
	s_delay_alu instid0(VALU_DEP_1) | instskip(SKIP_2) | instid1(VALU_DEP_1)
	v_fmac_f32_e32 v4, v6, v2
	s_waitcnt vmcnt(5)
	v_lshlrev_b32_e32 v2, 16, v38
	v_fmac_f32_e32 v4, v7, v2
	s_waitcnt vmcnt(4)
	v_lshlrev_b32_e32 v2, 16, v39
	s_delay_alu instid0(VALU_DEP_1) | instskip(SKIP_3) | instid1(VALU_DEP_1)
	v_fmac_f32_e32 v4, v8, v2
	s_waitcnt vmcnt(3)
	v_lshlrev_b32_e32 v2, 16, v40
	s_waitcnt lgkmcnt(0)
	v_fmac_f32_e32 v4, v9, v2
	s_waitcnt vmcnt(2)
	v_lshlrev_b32_e32 v2, 16, v41
	s_delay_alu instid0(VALU_DEP_1) | instskip(SKIP_2) | instid1(VALU_DEP_1)
	v_fmac_f32_e32 v4, v10, v2
	s_waitcnt vmcnt(1)
	v_lshlrev_b32_e32 v2, 16, v42
	v_fmac_f32_e32 v4, v11, v2
	s_waitcnt vmcnt(0)
	v_lshlrev_b32_e32 v2, 16, v43
	s_delay_alu instid0(VALU_DEP_1)
	v_fmac_f32_e32 v4, v12, v2
	s_cmpk_lt_i32 s50, 0x4100
	s_cbranch_scc1 .LBB597_14
.LBB597_25:
	s_cmpk_lt_u32 s50, 0x4200
	v_add_co_u32 v5, vcc_lo, 0x4000, v1
	s_cselect_b32 s4, s51, 0x2080
	v_add_co_ci_u32_e32 v6, vcc_lo, 0, v3, vcc_lo
	s_ashr_i32 s5, s4, 31
	v_mov_b32_e32 v44, 0
	s_lshl_b64 s[4:5], s[4:5], 1
	s_cmpk_lt_u32 s50, 0x4300
	global_load_u16 v2, v[5:6], off
	s_cselect_b32 s6, s51, 0x2100
	v_add_co_u32 v5, vcc_lo, v1, s4
	s_ashr_i32 s7, s6, 31
	v_add_co_ci_u32_e32 v6, vcc_lo, s5, v3, vcc_lo
	s_lshl_b64 s[8:9], s[6:7], 1
	s_cmpk_lt_u32 s50, 0x4400
	v_add_co_u32 v7, vcc_lo, v1, s8
	s_cselect_b32 s6, s51, 0x2180
	v_add_co_ci_u32_e32 v8, vcc_lo, s9, v3, vcc_lo
	s_ashr_i32 s7, s6, 31
	s_delay_alu instid0(SALU_CYCLE_1)
	s_lshl_b64 s[18:19], s[6:7], 1
	s_cmpk_lt_u32 s50, 0x4500
	v_add_co_u32 v9, vcc_lo, v1, s18
	s_cselect_b32 s6, s51, 0x2200
	v_add_co_ci_u32_e32 v10, vcc_lo, s19, v3, vcc_lo
	s_ashr_i32 s7, s6, 31
	s_delay_alu instid0(SALU_CYCLE_1)
	s_lshl_b64 s[24:25], s[6:7], 1
	s_cmpk_lt_u32 s50, 0x4600
	v_add_co_u32 v11, vcc_lo, v1, s24
	s_cselect_b32 s6, s51, 0x2280
	v_add_co_ci_u32_e32 v12, vcc_lo, s25, v3, vcc_lo
	s_ashr_i32 s7, s6, 31
	s_clause 0x3
	global_load_u16 v13, v[5:6], off
	global_load_u16 v14, v[7:8], off
	;; [unrolled: 1-line block ×4, first 2 shown]
	s_lshl_b64 s[6:7], s[6:7], 1
	s_cmpk_lt_u32 s50, 0x4700
	v_add_co_u32 v5, vcc_lo, v1, s6
	s_cselect_b32 s10, s51, 0x2300
	v_add_co_ci_u32_e32 v6, vcc_lo, s7, v3, vcc_lo
	s_ashr_i32 s11, s10, 31
	s_delay_alu instid0(SALU_CYCLE_1)
	s_lshl_b64 s[10:11], s[10:11], 1
	s_cmpk_lt_u32 s50, 0x4800
	v_add_co_u32 v7, vcc_lo, v1, s10
	s_cselect_b32 s20, s51, 0x2380
	v_add_co_ci_u32_e32 v8, vcc_lo, s11, v3, vcc_lo
	s_ashr_i32 s21, s20, 31
	s_delay_alu instid0(SALU_CYCLE_1)
	;; [unrolled: 7-line block ×3, first 2 shown]
	s_lshl_b64 s[30:31], s[20:21], 1
	s_cmpk_lt_u32 s50, 0x4a00
	v_add_co_u32 v11, vcc_lo, v1, s30
	s_cselect_b32 s20, s51, 0x2480
	v_add_co_ci_u32_e32 v12, vcc_lo, s31, v3, vcc_lo
	s_ashr_i32 s21, s20, 31
	s_clause 0x3
	global_load_u16 v17, v[5:6], off
	global_load_u16 v18, v[7:8], off
	;; [unrolled: 1-line block ×4, first 2 shown]
	s_lshl_b64 s[20:21], s[20:21], 1
	s_cmpk_lt_u32 s50, 0x4b00
	v_add_co_u32 v5, vcc_lo, v1, s20
	s_cselect_b32 s26, s51, 0x2500
	v_add_co_ci_u32_e32 v6, vcc_lo, s21, v3, vcc_lo
	s_ashr_i32 s27, s26, 31
	s_delay_alu instid0(SALU_CYCLE_1)
	s_lshl_b64 s[26:27], s[26:27], 1
	s_cmpk_lt_u32 s50, 0x4c00
	v_add_co_u32 v7, vcc_lo, v1, s26
	s_cselect_b32 s28, s51, 0x2580
	v_add_co_ci_u32_e32 v8, vcc_lo, s27, v3, vcc_lo
	s_ashr_i32 s29, s28, 31
	global_load_u16 v21, v[5:6], off
	s_lshl_b64 s[34:35], s[28:29], 1
	s_cmpk_lt_u32 s50, 0x4d00
	v_add_co_u32 v9, vcc_lo, v1, s34
	s_cselect_b32 s28, s51, 0x2600
	v_add_co_ci_u32_e32 v10, vcc_lo, s35, v3, vcc_lo
	s_ashr_i32 s29, s28, 31
	s_delay_alu instid0(SALU_CYCLE_1)
	s_lshl_b64 s[38:39], s[28:29], 1
	s_cmpk_lt_u32 s50, 0x4e00
	v_add_co_u32 v11, vcc_lo, v1, s38
	s_cselect_b32 s28, s51, 0x2680
	v_add_co_ci_u32_e32 v12, vcc_lo, s39, v3, vcc_lo
	s_ashr_i32 s29, s28, 31
	s_clause 0x2
	global_load_u16 v22, v[7:8], off
	global_load_u16 v23, v[9:10], off
	;; [unrolled: 1-line block ×3, first 2 shown]
	s_lshl_b64 s[28:29], s[28:29], 1
	s_cmpk_lt_u32 s50, 0x4f00
	v_add_co_u32 v5, vcc_lo, v1, s28
	s_cselect_b32 s36, s51, 0x2700
	v_add_co_ci_u32_e32 v6, vcc_lo, s29, v3, vcc_lo
	s_ashr_i32 s37, s36, 31
	s_delay_alu instid0(SALU_CYCLE_1)
	s_lshl_b64 s[36:37], s[36:37], 1
	s_cmpk_lt_u32 s50, 0x5000
	v_add_co_u32 v7, vcc_lo, v1, s36
	s_cselect_b32 s40, s51, 0x2780
	v_add_co_ci_u32_e32 v8, vcc_lo, s37, v3, vcc_lo
	s_ashr_i32 s41, s40, 31
	global_load_u16 v25, v[5:6], off
	s_lshl_b64 s[40:41], s[40:41], 1
	global_load_u16 v26, v[7:8], off
	s_cmpk_lt_u32 s50, 0x5100
	v_add_co_u32 v9, vcc_lo, v1, s40
	s_cselect_b32 s42, s51, 0x2800
	v_add_co_ci_u32_e32 v10, vcc_lo, s41, v3, vcc_lo
	s_ashr_i32 s43, s42, 31
	s_delay_alu instid0(SALU_CYCLE_1)
	s_lshl_b64 s[42:43], s[42:43], 1
	global_load_u16 v27, v[9:10], off
	s_cmpk_lt_u32 s50, 0x5200
	v_add_co_u32 v5, vcc_lo, v1, s42
	s_cselect_b32 s44, s51, 0x2880
	v_add_co_ci_u32_e32 v6, vcc_lo, s43, v3, vcc_lo
	s_ashr_i32 s45, s44, 31
	s_delay_alu instid0(SALU_CYCLE_1)
	s_lshl_b64 s[44:45], s[44:45], 1
	s_cmpk_lt_u32 s50, 0x5300
	v_add_co_u32 v7, vcc_lo, v1, s44
	s_cselect_b32 s46, s51, 0x2900
	v_add_co_ci_u32_e32 v8, vcc_lo, s45, v3, vcc_lo
	s_ashr_i32 s47, s46, 31
	global_load_u16 v28, v[5:6], off
	s_lshl_b64 s[46:47], s[46:47], 1
	global_load_u16 v29, v[7:8], off
	s_cmpk_lt_u32 s50, 0x5400
	v_add_co_u32 v9, vcc_lo, v1, s46
	s_cselect_b32 s48, s51, 0x2980
	v_add_co_ci_u32_e32 v10, vcc_lo, s47, v3, vcc_lo
	s_ashr_i32 s49, s48, 31
	s_delay_alu instid0(SALU_CYCLE_1)
	s_lshl_b64 s[48:49], s[48:49], 1
	s_cmpk_lt_u32 s50, 0x5500
	v_add_co_u32 v5, vcc_lo, v1, s48
	s_cselect_b32 s4, s51, 0x2a00
	v_add_co_ci_u32_e32 v6, vcc_lo, s49, v3, vcc_lo
	s_ashr_i32 s5, s4, 31
	global_load_u16 v30, v[9:10], off
	s_lshl_b64 s[4:5], s[4:5], 1
	s_cmpk_lt_u32 s50, 0x5600
	v_add_co_u32 v7, vcc_lo, v1, s4
	s_cselect_b32 s8, s51, 0x2a80
	v_add_co_ci_u32_e32 v8, vcc_lo, s5, v3, vcc_lo
	s_ashr_i32 s9, s8, 31
	global_load_u16 v31, v[5:6], off
	s_lshl_b64 s[6:7], s[8:9], 1
	global_load_u16 v32, v[7:8], off
	s_cmpk_lt_u32 s50, 0x5700
	v_add_co_u32 v5, vcc_lo, v1, s6
	s_cselect_b32 s8, s51, 0x2b00
	v_add_co_ci_u32_e32 v6, vcc_lo, s7, v3, vcc_lo
	s_ashr_i32 s9, s8, 31
	s_delay_alu instid0(SALU_CYCLE_1)
	s_lshl_b64 s[8:9], s[8:9], 1
	s_cmpk_lt_u32 s50, 0x5800
	v_add_co_u32 v7, vcc_lo, v1, s8
	s_cselect_b32 s10, s51, 0x2b80
	v_add_co_ci_u32_e32 v8, vcc_lo, s9, v3, vcc_lo
	s_ashr_i32 s11, s10, 31
	global_load_u16 v33, v[5:6], off
	s_lshl_b64 s[10:11], s[10:11], 1
	global_load_u16 v34, v[7:8], off
	s_cmpk_lt_u32 s50, 0x5900
	v_add_co_u32 v5, vcc_lo, v1, s10
	s_cselect_b32 s18, s51, 0x2c00
	v_add_co_ci_u32_e32 v6, vcc_lo, s11, v3, vcc_lo
	s_ashr_i32 s19, s18, 31
	s_delay_alu instid0(SALU_CYCLE_1)
	;; [unrolled: 15-line block ×5, first 2 shown]
	s_lshl_b64 s[4:5], s[8:9], 1
	s_cmpk_lt_u32 s50, 0x6000
	v_add_co_u32 v7, vcc_lo, v1, s4
	s_cselect_b32 s6, s51, 0x2f80
	v_add_co_ci_u32_e32 v8, vcc_lo, s5, v3, vcc_lo
	s_ashr_i32 s7, s6, 31
	global_load_u16 v41, v[5:6], off
	s_lshl_b64 s[4:5], s[6:7], 1
	global_load_u16 v42, v[7:8], off
	v_add_co_u32 v5, vcc_lo, v1, s4
	v_add_co_ci_u32_e32 v6, vcc_lo, s5, v3, vcc_lo
	global_load_u16 v43, v[5:6], off
	ds_load_b128 v[5:8], v44 offset:256
	ds_load_b128 v[9:12], v44 offset:272
	s_waitcnt vmcnt(31)
	v_lshlrev_b32_e32 v2, 16, v2
	s_waitcnt lgkmcnt(1)
	s_delay_alu instid0(VALU_DEP_1) | instskip(SKIP_2) | instid1(VALU_DEP_1)
	v_fmac_f32_e32 v4, v5, v2
	s_waitcnt vmcnt(30)
	v_lshlrev_b32_e32 v2, 16, v13
	v_fmac_f32_e32 v4, v6, v2
	s_waitcnt vmcnt(29)
	v_lshlrev_b32_e32 v2, 16, v14
	s_delay_alu instid0(VALU_DEP_1) | instskip(SKIP_2) | instid1(VALU_DEP_1)
	v_fmac_f32_e32 v4, v7, v2
	s_waitcnt vmcnt(28)
	v_lshlrev_b32_e32 v2, 16, v15
	v_fmac_f32_e32 v4, v8, v2
	s_waitcnt vmcnt(27)
	v_lshlrev_b32_e32 v2, 16, v16
	ds_load_b128 v[5:8], v44 offset:288
	s_waitcnt lgkmcnt(1)
	v_fmac_f32_e32 v4, v9, v2
	s_waitcnt vmcnt(26)
	v_lshlrev_b32_e32 v2, 16, v17
	s_delay_alu instid0(VALU_DEP_1) | instskip(SKIP_2) | instid1(VALU_DEP_1)
	v_fmac_f32_e32 v4, v10, v2
	s_waitcnt vmcnt(25)
	v_lshlrev_b32_e32 v2, 16, v18
	v_fmac_f32_e32 v4, v11, v2
	s_waitcnt vmcnt(24)
	v_lshlrev_b32_e32 v2, 16, v19
	s_delay_alu instid0(VALU_DEP_1) | instskip(SKIP_4) | instid1(VALU_DEP_1)
	v_fmac_f32_e32 v4, v12, v2
	ds_load_b128 v[9:12], v44 offset:304
	s_waitcnt vmcnt(23)
	v_lshlrev_b32_e32 v2, 16, v20
	s_waitcnt lgkmcnt(1)
	v_fmac_f32_e32 v4, v5, v2
	s_waitcnt vmcnt(22)
	v_lshlrev_b32_e32 v2, 16, v21
	s_delay_alu instid0(VALU_DEP_1) | instskip(SKIP_2) | instid1(VALU_DEP_1)
	v_fmac_f32_e32 v4, v6, v2
	s_waitcnt vmcnt(21)
	v_lshlrev_b32_e32 v2, 16, v22
	v_fmac_f32_e32 v4, v7, v2
	s_waitcnt vmcnt(20)
	v_lshlrev_b32_e32 v2, 16, v23
	s_delay_alu instid0(VALU_DEP_1)
	v_fmac_f32_e32 v4, v8, v2
	s_waitcnt vmcnt(19)
	v_lshlrev_b32_e32 v2, 16, v24
	ds_load_b128 v[5:8], v44 offset:320
	s_waitcnt lgkmcnt(1)
	v_fmac_f32_e32 v4, v9, v2
	s_waitcnt vmcnt(18)
	v_lshlrev_b32_e32 v2, 16, v25
	s_delay_alu instid0(VALU_DEP_1) | instskip(SKIP_2) | instid1(VALU_DEP_1)
	v_fmac_f32_e32 v4, v10, v2
	s_waitcnt vmcnt(17)
	v_lshlrev_b32_e32 v2, 16, v26
	v_fmac_f32_e32 v4, v11, v2
	s_waitcnt vmcnt(16)
	v_lshlrev_b32_e32 v2, 16, v27
	s_delay_alu instid0(VALU_DEP_1) | instskip(SKIP_4) | instid1(VALU_DEP_1)
	v_fmac_f32_e32 v4, v12, v2
	ds_load_b128 v[9:12], v44 offset:336
	s_waitcnt vmcnt(15)
	v_lshlrev_b32_e32 v2, 16, v28
	s_waitcnt lgkmcnt(1)
	v_fmac_f32_e32 v4, v5, v2
	s_waitcnt vmcnt(14)
	v_lshlrev_b32_e32 v2, 16, v29
	s_delay_alu instid0(VALU_DEP_1) | instskip(SKIP_2) | instid1(VALU_DEP_1)
	v_fmac_f32_e32 v4, v6, v2
	s_waitcnt vmcnt(13)
	v_lshlrev_b32_e32 v2, 16, v30
	v_fmac_f32_e32 v4, v7, v2
	s_waitcnt vmcnt(12)
	v_lshlrev_b32_e32 v2, 16, v31
	s_delay_alu instid0(VALU_DEP_1)
	v_fmac_f32_e32 v4, v8, v2
	s_waitcnt vmcnt(11)
	v_lshlrev_b32_e32 v2, 16, v32
	ds_load_b128 v[5:8], v44 offset:352
	s_waitcnt lgkmcnt(1)
	v_fmac_f32_e32 v4, v9, v2
	s_waitcnt vmcnt(10)
	v_lshlrev_b32_e32 v2, 16, v33
	s_delay_alu instid0(VALU_DEP_1) | instskip(SKIP_2) | instid1(VALU_DEP_1)
	v_fmac_f32_e32 v4, v10, v2
	s_waitcnt vmcnt(9)
	v_lshlrev_b32_e32 v2, 16, v34
	v_fmac_f32_e32 v4, v11, v2
	s_waitcnt vmcnt(8)
	v_lshlrev_b32_e32 v2, 16, v35
	s_delay_alu instid0(VALU_DEP_1) | instskip(SKIP_4) | instid1(VALU_DEP_1)
	v_fmac_f32_e32 v4, v12, v2
	ds_load_b128 v[9:12], v44 offset:368
	s_waitcnt vmcnt(7)
	v_lshlrev_b32_e32 v2, 16, v36
	s_waitcnt lgkmcnt(1)
	v_fmac_f32_e32 v4, v5, v2
	s_waitcnt vmcnt(6)
	v_lshlrev_b32_e32 v2, 16, v37
	s_delay_alu instid0(VALU_DEP_1) | instskip(SKIP_2) | instid1(VALU_DEP_1)
	v_fmac_f32_e32 v4, v6, v2
	s_waitcnt vmcnt(5)
	v_lshlrev_b32_e32 v2, 16, v38
	v_fmac_f32_e32 v4, v7, v2
	s_waitcnt vmcnt(4)
	v_lshlrev_b32_e32 v2, 16, v39
	s_delay_alu instid0(VALU_DEP_1) | instskip(SKIP_3) | instid1(VALU_DEP_1)
	v_fmac_f32_e32 v4, v8, v2
	s_waitcnt vmcnt(3)
	v_lshlrev_b32_e32 v2, 16, v40
	s_waitcnt lgkmcnt(0)
	v_fmac_f32_e32 v4, v9, v2
	s_waitcnt vmcnt(2)
	v_lshlrev_b32_e32 v2, 16, v41
	s_delay_alu instid0(VALU_DEP_1) | instskip(SKIP_2) | instid1(VALU_DEP_1)
	v_fmac_f32_e32 v4, v10, v2
	s_waitcnt vmcnt(1)
	v_lshlrev_b32_e32 v2, 16, v42
	v_fmac_f32_e32 v4, v11, v2
	s_waitcnt vmcnt(0)
	v_lshlrev_b32_e32 v2, 16, v43
	s_delay_alu instid0(VALU_DEP_1)
	v_fmac_f32_e32 v4, v12, v2
	s_cmpk_lt_i32 s50, 0x6100
	s_cbranch_scc1 .LBB597_15
.LBB597_26:
	s_cmpk_lt_u32 s50, 0x6200
	v_add_co_u32 v5, vcc_lo, 0x6000, v1
	s_cselect_b32 s4, s51, 0x3080
	v_add_co_ci_u32_e32 v6, vcc_lo, 0, v3, vcc_lo
	s_ashr_i32 s5, s4, 31
	s_delay_alu instid0(SALU_CYCLE_1)
	s_lshl_b64 s[4:5], s[4:5], 1
	s_cmpk_lt_u32 s50, 0x6300
	global_load_u16 v13, v[5:6], off
	s_cselect_b32 s6, s51, 0x3100
	v_add_co_u32 v5, vcc_lo, v1, s4
	s_ashr_i32 s7, s6, 31
	v_add_co_ci_u32_e32 v6, vcc_lo, s5, v3, vcc_lo
	s_lshl_b64 s[8:9], s[6:7], 1
	s_cmpk_lt_u32 s50, 0x6400
	v_add_co_u32 v7, vcc_lo, v1, s8
	s_cselect_b32 s6, s51, 0x3180
	v_add_co_ci_u32_e32 v8, vcc_lo, s9, v3, vcc_lo
	s_ashr_i32 s7, s6, 31
	s_delay_alu instid0(SALU_CYCLE_1)
	s_lshl_b64 s[18:19], s[6:7], 1
	s_cmpk_lt_u32 s50, 0x6500
	v_add_co_u32 v9, vcc_lo, v1, s18
	s_cselect_b32 s6, s51, 0x3200
	v_add_co_ci_u32_e32 v10, vcc_lo, s19, v3, vcc_lo
	s_ashr_i32 s7, s6, 31
	s_delay_alu instid0(SALU_CYCLE_1)
	s_lshl_b64 s[24:25], s[6:7], 1
	s_cmpk_lt_u32 s50, 0x6600
	v_add_co_u32 v11, vcc_lo, v1, s24
	s_cselect_b32 s6, s51, 0x3280
	v_add_co_ci_u32_e32 v12, vcc_lo, s25, v3, vcc_lo
	s_ashr_i32 s7, s6, 31
	s_clause 0x3
	global_load_u16 v14, v[5:6], off
	global_load_u16 v15, v[7:8], off
	;; [unrolled: 1-line block ×4, first 2 shown]
	s_lshl_b64 s[6:7], s[6:7], 1
	s_cmpk_lt_u32 s50, 0x6700
	v_add_co_u32 v5, vcc_lo, v1, s6
	s_cselect_b32 s10, s51, 0x3300
	v_add_co_ci_u32_e32 v6, vcc_lo, s7, v3, vcc_lo
	s_ashr_i32 s11, s10, 31
	s_delay_alu instid0(SALU_CYCLE_1)
	s_lshl_b64 s[10:11], s[10:11], 1
	s_cmpk_lt_u32 s50, 0x6800
	v_add_co_u32 v7, vcc_lo, v1, s10
	s_cselect_b32 s20, s51, 0x3380
	v_add_co_ci_u32_e32 v8, vcc_lo, s11, v3, vcc_lo
	s_ashr_i32 s21, s20, 31
	s_delay_alu instid0(SALU_CYCLE_1)
	;; [unrolled: 7-line block ×3, first 2 shown]
	s_lshl_b64 s[30:31], s[20:21], 1
	s_cmpk_lt_u32 s50, 0x6a00
	v_add_co_u32 v11, vcc_lo, v1, s30
	s_cselect_b32 s20, s51, 0x3480
	v_add_co_ci_u32_e32 v12, vcc_lo, s31, v3, vcc_lo
	s_ashr_i32 s21, s20, 31
	s_clause 0x3
	global_load_u16 v18, v[5:6], off
	global_load_u16 v19, v[7:8], off
	;; [unrolled: 1-line block ×4, first 2 shown]
	s_lshl_b64 s[20:21], s[20:21], 1
	s_cmpk_lt_u32 s50, 0x6b00
	v_add_co_u32 v5, vcc_lo, v1, s20
	s_cselect_b32 s26, s51, 0x3500
	v_add_co_ci_u32_e32 v6, vcc_lo, s21, v3, vcc_lo
	s_ashr_i32 s27, s26, 31
	s_delay_alu instid0(SALU_CYCLE_1)
	s_lshl_b64 s[26:27], s[26:27], 1
	s_cmpk_lt_u32 s50, 0x6c00
	v_add_co_u32 v7, vcc_lo, v1, s26
	s_cselect_b32 s28, s51, 0x3580
	v_add_co_ci_u32_e32 v8, vcc_lo, s27, v3, vcc_lo
	s_ashr_i32 s29, s28, 31
	global_load_u16 v22, v[5:6], off
	s_lshl_b64 s[34:35], s[28:29], 1
	s_cmpk_lt_u32 s50, 0x6d00
	v_add_co_u32 v9, vcc_lo, v1, s34
	s_cselect_b32 s28, s51, 0x3600
	v_add_co_ci_u32_e32 v10, vcc_lo, s35, v3, vcc_lo
	s_ashr_i32 s29, s28, 31
	s_delay_alu instid0(SALU_CYCLE_1)
	s_lshl_b64 s[38:39], s[28:29], 1
	s_cmpk_lt_u32 s50, 0x6e00
	v_add_co_u32 v11, vcc_lo, v1, s38
	s_cselect_b32 s28, s51, 0x3680
	v_add_co_ci_u32_e32 v12, vcc_lo, s39, v3, vcc_lo
	s_ashr_i32 s29, s28, 31
	s_clause 0x2
	global_load_u16 v23, v[7:8], off
	global_load_u16 v24, v[9:10], off
	;; [unrolled: 1-line block ×3, first 2 shown]
	s_lshl_b64 s[28:29], s[28:29], 1
	s_cmpk_lt_u32 s50, 0x6f00
	v_add_co_u32 v5, vcc_lo, v1, s28
	s_cselect_b32 s36, s51, 0x3700
	v_add_co_ci_u32_e32 v6, vcc_lo, s29, v3, vcc_lo
	s_ashr_i32 s37, s36, 31
	s_delay_alu instid0(SALU_CYCLE_1)
	s_lshl_b64 s[36:37], s[36:37], 1
	s_cmpk_lt_u32 s50, 0x7000
	v_add_co_u32 v7, vcc_lo, v1, s36
	s_cselect_b32 s40, s51, 0x3780
	v_add_co_ci_u32_e32 v8, vcc_lo, s37, v3, vcc_lo
	s_ashr_i32 s41, s40, 31
	global_load_u16 v26, v[5:6], off
	s_lshl_b64 s[40:41], s[40:41], 1
	global_load_u16 v27, v[7:8], off
	s_cmpk_lt_u32 s50, 0x7100
	v_add_co_u32 v9, vcc_lo, v1, s40
	s_cselect_b32 s42, s51, 0x3800
	v_add_co_ci_u32_e32 v10, vcc_lo, s41, v3, vcc_lo
	s_ashr_i32 s43, s42, 31
	s_delay_alu instid0(SALU_CYCLE_1)
	s_lshl_b64 s[42:43], s[42:43], 1
	global_load_u16 v28, v[9:10], off
	s_cmpk_lt_u32 s50, 0x7200
	v_add_co_u32 v5, vcc_lo, v1, s42
	s_cselect_b32 s44, s51, 0x3880
	v_add_co_ci_u32_e32 v6, vcc_lo, s43, v3, vcc_lo
	s_ashr_i32 s45, s44, 31
	s_delay_alu instid0(SALU_CYCLE_1)
	s_lshl_b64 s[44:45], s[44:45], 1
	s_cmpk_lt_u32 s50, 0x7300
	v_add_co_u32 v7, vcc_lo, v1, s44
	s_cselect_b32 s46, s51, 0x3900
	v_add_co_ci_u32_e32 v8, vcc_lo, s45, v3, vcc_lo
	s_ashr_i32 s47, s46, 31
	global_load_u16 v29, v[5:6], off
	s_lshl_b64 s[46:47], s[46:47], 1
	global_load_u16 v30, v[7:8], off
	s_cmpk_lt_u32 s50, 0x7400
	v_add_co_u32 v9, vcc_lo, v1, s46
	s_cselect_b32 s48, s51, 0x3980
	v_add_co_ci_u32_e32 v10, vcc_lo, s47, v3, vcc_lo
	s_ashr_i32 s49, s48, 31
	s_delay_alu instid0(SALU_CYCLE_1)
	s_lshl_b64 s[48:49], s[48:49], 1
	global_load_u16 v31, v[9:10], off
	s_cmpk_lt_u32 s50, 0x7500
	v_add_co_u32 v5, vcc_lo, v1, s48
	s_cselect_b32 s4, s51, 0x3a00
	v_add_co_ci_u32_e32 v6, vcc_lo, s49, v3, vcc_lo
	s_ashr_i32 s5, s4, 31
	s_delay_alu instid0(SALU_CYCLE_1)
	s_lshl_b64 s[4:5], s[4:5], 1
	s_cmpk_lt_u32 s50, 0x7600
	v_add_co_u32 v7, vcc_lo, v1, s4
	s_cselect_b32 s8, s51, 0x3a80
	v_add_co_ci_u32_e32 v8, vcc_lo, s5, v3, vcc_lo
	s_ashr_i32 s9, s8, 31
	global_load_u16 v32, v[5:6], off
	s_lshl_b64 s[6:7], s[8:9], 1
	global_load_u16 v33, v[7:8], off
	s_cmpk_lt_u32 s50, 0x7700
	v_add_co_u32 v5, vcc_lo, v1, s6
	s_cselect_b32 s8, s51, 0x3b00
	v_add_co_ci_u32_e32 v6, vcc_lo, s7, v3, vcc_lo
	s_ashr_i32 s9, s8, 31
	s_delay_alu instid0(SALU_CYCLE_1)
	s_lshl_b64 s[8:9], s[8:9], 1
	s_cmpk_lt_u32 s50, 0x7800
	v_add_co_u32 v7, vcc_lo, v1, s8
	s_cselect_b32 s10, s51, 0x3b80
	v_add_co_ci_u32_e32 v8, vcc_lo, s9, v3, vcc_lo
	s_ashr_i32 s11, s10, 31
	global_load_u16 v34, v[5:6], off
	;; [unrolled: 15-line block ×6, first 2 shown]
	s_lshl_b64 s[4:5], s[6:7], 1
	global_load_u16 v43, v[7:8], off
	v_add_co_u32 v1, vcc_lo, v1, s4
	v_add_co_ci_u32_e32 v2, vcc_lo, s5, v3, vcc_lo
	global_load_u16 v1, v[1:2], off
	s_waitcnt vmcnt(31)
	v_dual_mov_b32 v2, 0 :: v_dual_lshlrev_b32 v3, 16, v13
	ds_load_b128 v[5:8], v2 offset:384
	ds_load_b128 v[9:12], v2 offset:400
	s_waitcnt vmcnt(30) lgkmcnt(1)
	v_dual_fmac_f32 v4, v5, v3 :: v_dual_lshlrev_b32 v3, 16, v14
	s_delay_alu instid0(VALU_DEP_1) | instskip(SKIP_3) | instid1(VALU_DEP_1)
	v_fmac_f32_e32 v4, v6, v3
	s_waitcnt vmcnt(29)
	v_lshlrev_b32_e32 v3, 16, v15
	s_waitcnt vmcnt(28)
	v_dual_fmac_f32 v4, v7, v3 :: v_dual_lshlrev_b32 v3, 16, v16
	s_waitcnt vmcnt(27)
	s_delay_alu instid0(VALU_DEP_1) | instskip(SKIP_3) | instid1(VALU_DEP_1)
	v_dual_fmac_f32 v4, v8, v3 :: v_dual_lshlrev_b32 v3, 16, v17
	ds_load_b128 v[5:8], v2 offset:416
	s_waitcnt vmcnt(26) lgkmcnt(1)
	v_dual_fmac_f32 v4, v9, v3 :: v_dual_lshlrev_b32 v3, 16, v18
	v_fmac_f32_e32 v4, v10, v3
	s_waitcnt vmcnt(25)
	v_lshlrev_b32_e32 v3, 16, v19
	s_waitcnt vmcnt(24)
	s_delay_alu instid0(VALU_DEP_1) | instskip(SKIP_1) | instid1(VALU_DEP_1)
	v_dual_fmac_f32 v4, v11, v3 :: v_dual_lshlrev_b32 v3, 16, v20
	s_waitcnt vmcnt(23)
	v_dual_fmac_f32 v4, v12, v3 :: v_dual_lshlrev_b32 v3, 16, v21
	ds_load_b128 v[9:12], v2 offset:432
	s_waitcnt vmcnt(22) lgkmcnt(1)
	v_dual_fmac_f32 v4, v5, v3 :: v_dual_lshlrev_b32 v3, 16, v22
	s_delay_alu instid0(VALU_DEP_1) | instskip(SKIP_3) | instid1(VALU_DEP_1)
	v_fmac_f32_e32 v4, v6, v3
	s_waitcnt vmcnt(21)
	v_lshlrev_b32_e32 v3, 16, v23
	s_waitcnt vmcnt(20)
	v_dual_fmac_f32 v4, v7, v3 :: v_dual_lshlrev_b32 v3, 16, v24
	s_waitcnt vmcnt(19)
	s_delay_alu instid0(VALU_DEP_1) | instskip(SKIP_3) | instid1(VALU_DEP_1)
	v_dual_fmac_f32 v4, v8, v3 :: v_dual_lshlrev_b32 v3, 16, v25
	ds_load_b128 v[5:8], v2 offset:448
	s_waitcnt vmcnt(18) lgkmcnt(1)
	v_dual_fmac_f32 v4, v9, v3 :: v_dual_lshlrev_b32 v3, 16, v26
	v_fmac_f32_e32 v4, v10, v3
	s_waitcnt vmcnt(17)
	v_lshlrev_b32_e32 v3, 16, v27
	s_waitcnt vmcnt(16)
	s_delay_alu instid0(VALU_DEP_1) | instskip(NEXT) | instid1(VALU_DEP_1)
	v_dual_fmac_f32 v4, v11, v3 :: v_dual_lshlrev_b32 v3, 16, v28
	v_fmac_f32_e32 v4, v12, v3
	ds_load_b128 v[9:12], v2 offset:464
	s_waitcnt vmcnt(15)
	v_lshlrev_b32_e32 v3, 16, v29
	s_waitcnt vmcnt(14) lgkmcnt(1)
	s_delay_alu instid0(VALU_DEP_1) | instskip(NEXT) | instid1(VALU_DEP_1)
	v_dual_fmac_f32 v4, v5, v3 :: v_dual_lshlrev_b32 v3, 16, v30
	v_fmac_f32_e32 v4, v6, v3
	s_waitcnt vmcnt(13)
	v_lshlrev_b32_e32 v3, 16, v31
	s_waitcnt vmcnt(12)
	s_delay_alu instid0(VALU_DEP_1) | instskip(SKIP_1) | instid1(VALU_DEP_1)
	v_dual_fmac_f32 v4, v7, v3 :: v_dual_lshlrev_b32 v3, 16, v32
	s_waitcnt vmcnt(0)
	v_dual_fmac_f32 v4, v8, v3 :: v_dual_lshlrev_b32 v1, 16, v1
	v_lshlrev_b32_e32 v3, 16, v33
	ds_load_b128 v[5:8], v2 offset:480
	s_waitcnt lgkmcnt(1)
	v_dual_fmac_f32 v4, v9, v3 :: v_dual_lshlrev_b32 v3, 16, v34
	s_delay_alu instid0(VALU_DEP_1) | instskip(SKIP_1) | instid1(VALU_DEP_1)
	v_fmac_f32_e32 v4, v10, v3
	v_lshlrev_b32_e32 v3, 16, v35
	v_dual_fmac_f32 v4, v11, v3 :: v_dual_lshlrev_b32 v3, 16, v36
	s_delay_alu instid0(VALU_DEP_1) | instskip(SKIP_4) | instid1(VALU_DEP_1)
	v_dual_fmac_f32 v4, v12, v3 :: v_dual_lshlrev_b32 v3, 16, v37
	ds_load_b128 v[9:12], v2 offset:496
	v_lshlrev_b32_e32 v2, 16, v38
	s_waitcnt lgkmcnt(1)
	v_fmac_f32_e32 v4, v5, v3
	v_fmac_f32_e32 v4, v6, v2
	v_lshlrev_b32_e32 v2, 16, v39
	s_delay_alu instid0(VALU_DEP_1) | instskip(SKIP_1) | instid1(VALU_DEP_1)
	v_fmac_f32_e32 v4, v7, v2
	v_lshlrev_b32_e32 v2, 16, v40
	v_fmac_f32_e32 v4, v8, v2
	v_lshlrev_b32_e32 v2, 16, v41
	s_waitcnt lgkmcnt(0)
	s_delay_alu instid0(VALU_DEP_1) | instskip(SKIP_1) | instid1(VALU_DEP_1)
	v_fmac_f32_e32 v4, v9, v2
	v_lshlrev_b32_e32 v2, 16, v42
	v_fmac_f32_e32 v4, v10, v2
	v_lshlrev_b32_e32 v2, 16, v43
	s_delay_alu instid0(VALU_DEP_1) | instskip(NEXT) | instid1(VALU_DEP_1)
	v_fmac_f32_e32 v4, v11, v2
	v_dual_fmac_f32 v4, v12, v1 :: v_dual_mov_b32 v1, 0
	s_and_not1_b32 vcc_lo, exec_lo, s15
	ds_load_b32 v1, v1 offset:512
	s_cbranch_vccz .LBB597_16
	s_branch .LBB597_17
	.section	.rodata,"a",@progbits
	.p2align	6, 0x0
	.amdhsa_kernel _Z35paged_attention_ll4mi_reduce_kernelI14__hip_bfloat16hLi128ELi128ELi256ELi4EEvPT0_PKfS4_PKT_PKiS9_iS4_
		.amdhsa_group_segment_fixed_size 516
		.amdhsa_private_segment_fixed_size 0
		.amdhsa_kernarg_size 320
		.amdhsa_user_sgpr_count 14
		.amdhsa_user_sgpr_dispatch_ptr 0
		.amdhsa_user_sgpr_queue_ptr 0
		.amdhsa_user_sgpr_kernarg_segment_ptr 1
		.amdhsa_user_sgpr_dispatch_id 0
		.amdhsa_user_sgpr_private_segment_size 0
		.amdhsa_wavefront_size32 1
		.amdhsa_uses_dynamic_stack 0
		.amdhsa_enable_private_segment 0
		.amdhsa_system_sgpr_workgroup_id_x 1
		.amdhsa_system_sgpr_workgroup_id_y 1
		.amdhsa_system_sgpr_workgroup_id_z 0
		.amdhsa_system_sgpr_workgroup_info 0
		.amdhsa_system_vgpr_workitem_id 0
		.amdhsa_next_free_vgpr 52
		.amdhsa_next_free_sgpr 52
		.amdhsa_reserve_vcc 1
		.amdhsa_float_round_mode_32 0
		.amdhsa_float_round_mode_16_64 0
		.amdhsa_float_denorm_mode_32 3
		.amdhsa_float_denorm_mode_16_64 3
		.amdhsa_dx10_clamp 1
		.amdhsa_ieee_mode 1
		.amdhsa_fp16_overflow 0
		.amdhsa_workgroup_processor_mode 1
		.amdhsa_memory_ordered 1
		.amdhsa_forward_progress 0
		.amdhsa_shared_vgpr_count 0
		.amdhsa_exception_fp_ieee_invalid_op 0
		.amdhsa_exception_fp_denorm_src 0
		.amdhsa_exception_fp_ieee_div_zero 0
		.amdhsa_exception_fp_ieee_overflow 0
		.amdhsa_exception_fp_ieee_underflow 0
		.amdhsa_exception_fp_ieee_inexact 0
		.amdhsa_exception_int_div_zero 0
	.end_amdhsa_kernel
	.section	.text._Z35paged_attention_ll4mi_reduce_kernelI14__hip_bfloat16hLi128ELi128ELi256ELi4EEvPT0_PKfS4_PKT_PKiS9_iS4_,"axG",@progbits,_Z35paged_attention_ll4mi_reduce_kernelI14__hip_bfloat16hLi128ELi128ELi256ELi4EEvPT0_PKfS4_PKT_PKiS9_iS4_,comdat
.Lfunc_end597:
	.size	_Z35paged_attention_ll4mi_reduce_kernelI14__hip_bfloat16hLi128ELi128ELi256ELi4EEvPT0_PKfS4_PKT_PKiS9_iS4_, .Lfunc_end597-_Z35paged_attention_ll4mi_reduce_kernelI14__hip_bfloat16hLi128ELi128ELi256ELi4EEvPT0_PKfS4_PKT_PKiS9_iS4_
                                        ; -- End function
	.section	.AMDGPU.csdata,"",@progbits
; Kernel info:
; codeLenInByte = 9576
; NumSgprs: 54
; NumVgprs: 52
; ScratchSize: 0
; MemoryBound: 0
; FloatMode: 240
; IeeeMode: 1
; LDSByteSize: 516 bytes/workgroup (compile time only)
; SGPRBlocks: 6
; VGPRBlocks: 6
; NumSGPRsForWavesPerEU: 54
; NumVGPRsForWavesPerEU: 52
; Occupancy: 16
; WaveLimiterHint : 0
; COMPUTE_PGM_RSRC2:SCRATCH_EN: 0
; COMPUTE_PGM_RSRC2:USER_SGPR: 14
; COMPUTE_PGM_RSRC2:TRAP_HANDLER: 0
; COMPUTE_PGM_RSRC2:TGID_X_EN: 1
; COMPUTE_PGM_RSRC2:TGID_Y_EN: 1
; COMPUTE_PGM_RSRC2:TGID_Z_EN: 0
; COMPUTE_PGM_RSRC2:TIDIG_COMP_CNT: 0
	.section	.text._Z35paged_attention_ll4mi_reduce_kernelI14__hip_bfloat16hLi128ELi128ELi256ELi5EEvPT0_PKfS4_PKT_PKiS9_iS4_,"axG",@progbits,_Z35paged_attention_ll4mi_reduce_kernelI14__hip_bfloat16hLi128ELi128ELi256ELi5EEvPT0_PKfS4_PKT_PKiS9_iS4_,comdat
	.protected	_Z35paged_attention_ll4mi_reduce_kernelI14__hip_bfloat16hLi128ELi128ELi256ELi5EEvPT0_PKfS4_PKT_PKiS9_iS4_ ; -- Begin function _Z35paged_attention_ll4mi_reduce_kernelI14__hip_bfloat16hLi128ELi128ELi256ELi5EEvPT0_PKfS4_PKT_PKiS9_iS4_
	.globl	_Z35paged_attention_ll4mi_reduce_kernelI14__hip_bfloat16hLi128ELi128ELi256ELi5EEvPT0_PKfS4_PKT_PKiS9_iS4_
	.p2align	8
	.type	_Z35paged_attention_ll4mi_reduce_kernelI14__hip_bfloat16hLi128ELi128ELi256ELi5EEvPT0_PKfS4_PKT_PKiS9_iS4_,@function
_Z35paged_attention_ll4mi_reduce_kernelI14__hip_bfloat16hLi128ELi128ELi256ELi5EEvPT0_PKfS4_PKT_PKiS9_iS4_: ; @_Z35paged_attention_ll4mi_reduce_kernelI14__hip_bfloat16hLi128ELi128ELi256ELi5EEvPT0_PKfS4_PKT_PKiS9_iS4_
; %bb.0:
	s_load_b64 s[12:13], s[0:1], 0x28
	s_mov_b32 s2, s15
	s_waitcnt lgkmcnt(0)
	s_cmp_lg_u64 s[12:13], 0
	s_cselect_b32 s15, -1, 0
	s_delay_alu instid0(SALU_CYCLE_1)
	s_and_b32 vcc_lo, exec_lo, s15
	s_cbranch_vccz .LBB598_23
; %bb.1:
	s_add_i32 s4, s2, 1
	s_mov_b32 s5, 0
	s_delay_alu instid0(SALU_CYCLE_1) | instskip(SKIP_4) | instid1(SALU_CYCLE_1)
	s_lshl_b64 s[6:7], s[4:5], 2
	s_mov_b32 s3, s5
	s_add_u32 s6, s12, s6
	s_addc_u32 s7, s13, s7
	s_lshl_b64 s[8:9], s[2:3], 2
	s_add_u32 s8, s12, s8
	s_addc_u32 s9, s13, s9
	s_clause 0x1
	s_load_b32 s4, s[6:7], 0x0
	s_load_b32 s6, s[8:9], 0x0
	s_waitcnt lgkmcnt(0)
	s_sub_i32 s4, s4, s6
	s_delay_alu instid0(SALU_CYCLE_1)
	s_cmp_eq_u32 s4, 1
	s_cselect_b32 s4, -1, 0
	s_cbranch_execnz .LBB598_3
.LBB598_2:
	s_mov_b32 s3, 0
	s_mov_b32 s4, -1
.LBB598_3:
	s_delay_alu instid0(SALU_CYCLE_1)
	s_and_not1_b32 vcc_lo, exec_lo, s4
	s_cbranch_vccz .LBB598_5
; %bb.4:
	s_endpgm
.LBB598_5:
	s_clause 0x1
	s_load_b128 s[4:7], s[0:1], 0x18
	s_load_b32 s9, s[0:1], 0x30
	s_lshl_b64 s[16:17], s[2:3], 2
	s_waitcnt lgkmcnt(0)
	s_add_u32 s6, s6, s16
	s_addc_u32 s7, s7, s17
	s_load_b32 s22, s[6:7], 0x0
	s_load_b32 s33, s[0:1], 0x40
	s_mul_i32 s7, s2, s9
	s_waitcnt lgkmcnt(0)
	s_add_i32 s50, s22, 0xff
	s_delay_alu instid0(SALU_CYCLE_1) | instskip(NEXT) | instid1(SALU_CYCLE_1)
	s_ashr_i32 s6, s50, 31
	s_lshr_b32 s6, s6, 24
	s_delay_alu instid0(SALU_CYCLE_1) | instskip(SKIP_4) | instid1(SALU_CYCLE_1)
	s_add_i32 s8, s50, s6
	s_mul_i32 s6, s14, s9
	s_mov_b32 s9, exec_lo
	v_cmpx_lt_u32_e32 31, v0
	s_xor_b32 s9, exec_lo, s9
	s_or_saveexec_b32 s24, s9
	v_mov_b32_e32 v1, s6
	s_ashr_i32 s23, s8, 8
	s_mul_i32 s18, s7, s33
	s_xor_b32 exec_lo, exec_lo, s24
	s_cbranch_execz .LBB598_9
; %bb.6:
	v_or_b32_e32 v2, 32, v0
	v_cmp_gt_i32_e32 vcc_lo, s23, v0
	s_add_i32 s25, s23, -1
	s_load_b128 s[8:11], s[0:1], 0x8
	v_or_b32_e32 v4, 64, v0
	v_or_b32_e32 v6, 0x60, v0
	v_cndmask_b32_e32 v1, s25, v0, vcc_lo
	v_cmp_gt_i32_e32 vcc_lo, s23, v2
	v_or_b32_e32 v8, 0x80, v0
	s_mov_b32 s19, 0
	s_delay_alu instid0(SALU_CYCLE_1)
	s_lshl_b64 s[20:21], s[18:19], 2
	v_cndmask_b32_e32 v3, s25, v2, vcc_lo
	v_cmp_gt_i32_e32 vcc_lo, s23, v4
	v_ashrrev_i32_e32 v2, 31, v1
	s_mov_b32 s7, s19
	v_cndmask_b32_e32 v5, s25, v4, vcc_lo
	v_cmp_gt_i32_e32 vcc_lo, s23, v6
	v_ashrrev_i32_e32 v4, 31, v3
	v_lshlrev_b64 v[1:2], 2, v[1:2]
	s_waitcnt lgkmcnt(0)
	s_add_u32 s19, s10, s20
	v_cndmask_b32_e32 v7, s25, v6, vcc_lo
	v_cmp_gt_i32_e32 vcc_lo, s23, v8
	v_ashrrev_i32_e32 v6, 31, v5
	v_lshlrev_b64 v[3:4], 2, v[3:4]
	v_cndmask_b32_e32 v9, s25, v8, vcc_lo
	s_addc_u32 s25, s11, s21
	s_lshl_b64 s[10:11], s[6:7], 2
	v_ashrrev_i32_e32 v8, 31, v7
	s_add_u32 s7, s19, s10
	s_addc_u32 s19, s25, s11
	v_add_co_u32 v11, vcc_lo, s7, v1
	v_lshlrev_b64 v[5:6], 2, v[5:6]
	v_ashrrev_i32_e32 v10, 31, v9
	v_add_co_ci_u32_e32 v12, vcc_lo, s19, v2, vcc_lo
	v_add_co_u32 v13, vcc_lo, s7, v3
	v_lshlrev_b64 v[7:8], 2, v[7:8]
	v_add_co_ci_u32_e32 v14, vcc_lo, s19, v4, vcc_lo
	v_add_co_u32 v15, vcc_lo, s7, v5
	v_lshlrev_b64 v[9:10], 2, v[9:10]
	v_add_co_ci_u32_e32 v16, vcc_lo, s19, v6, vcc_lo
	v_add_co_u32 v17, vcc_lo, s7, v7
	v_add_co_ci_u32_e32 v18, vcc_lo, s19, v8, vcc_lo
	s_delay_alu instid0(VALU_DEP_4)
	v_add_co_u32 v19, vcc_lo, s7, v9
	v_add_co_ci_u32_e32 v20, vcc_lo, s19, v10, vcc_lo
	s_clause 0x4
	global_load_b32 v11, v[11:12], off
	global_load_b32 v12, v[13:14], off
	global_load_b32 v13, v[15:16], off
	global_load_b32 v14, v[17:18], off
	global_load_b32 v15, v[19:20], off
	s_add_u32 s7, s8, s20
	s_addc_u32 s8, s9, s21
	s_add_u32 s7, s7, s10
	s_addc_u32 s8, s8, s11
	v_add_co_u32 v1, vcc_lo, s7, v1
	v_add_co_ci_u32_e32 v2, vcc_lo, s8, v2, vcc_lo
	v_add_co_u32 v3, vcc_lo, s7, v3
	v_add_co_ci_u32_e32 v4, vcc_lo, s8, v4, vcc_lo
	;; [unrolled: 2-line block ×4, first 2 shown]
	s_clause 0x3
	global_load_b32 v16, v[1:2], off
	global_load_b32 v3, v[3:4], off
	;; [unrolled: 1-line block ×4, first 2 shown]
	v_add_co_u32 v1, vcc_lo, s7, v9
	v_add_co_ci_u32_e32 v2, vcc_lo, s8, v10, vcc_lo
	s_mov_b32 s7, exec_lo
	global_load_b32 v1, v[1:2], off
	v_mbcnt_lo_u32_b32 v2, -1, 0
	s_delay_alu instid0(VALU_DEP_1)
	v_xor_b32_e32 v6, 16, v2
	v_xor_b32_e32 v9, 8, v2
	;; [unrolled: 1-line block ×5, first 2 shown]
	v_cmp_gt_i32_e32 vcc_lo, 32, v6
	v_cndmask_b32_e32 v6, v2, v6, vcc_lo
	v_cmp_gt_i32_e32 vcc_lo, 32, v9
	v_cndmask_b32_e32 v9, v2, v9, vcc_lo
	v_cmp_gt_i32_e32 vcc_lo, 32, v10
	s_delay_alu instid0(VALU_DEP_2) | instskip(SKIP_3) | instid1(VALU_DEP_2)
	v_lshlrev_b32_e32 v9, 2, v9
	v_lshlrev_b32_e32 v6, 2, v6
	v_cndmask_b32_e32 v10, v2, v10, vcc_lo
	v_cmp_gt_i32_e32 vcc_lo, 32, v17
	v_dual_cndmask_b32 v17, v2, v17 :: v_dual_lshlrev_b32 v10, 2, v10
	v_cmp_gt_i32_e32 vcc_lo, 32, v18
	s_delay_alu instid0(VALU_DEP_2) | instskip(NEXT) | instid1(VALU_DEP_1)
	v_dual_cndmask_b32 v2, v2, v18 :: v_dual_lshlrev_b32 v17, 2, v17
	v_lshlrev_b32_e32 v2, 2, v2
	s_waitcnt vmcnt(7)
	v_max3_f32 v7, v11, v12, v13
	s_waitcnt vmcnt(5)
	s_delay_alu instid0(VALU_DEP_1) | instskip(SKIP_3) | instid1(VALU_DEP_1)
	v_max3_f32 v7, v7, v14, v15
	ds_bpermute_b32 v8, v6, v7
	s_waitcnt lgkmcnt(0)
	v_max_f32_e32 v8, v8, v8
	v_max_f32_e32 v7, v7, v8
	ds_bpermute_b32 v8, v9, v7
	s_waitcnt lgkmcnt(0)
	v_max_f32_e32 v8, v8, v8
	s_delay_alu instid0(VALU_DEP_1) | instskip(SKIP_3) | instid1(VALU_DEP_1)
	v_max_f32_e32 v7, v7, v8
	ds_bpermute_b32 v8, v10, v7
	s_waitcnt lgkmcnt(0)
	v_max_f32_e32 v8, v8, v8
	v_max_f32_e32 v7, v7, v8
	ds_bpermute_b32 v8, v17, v7
	s_waitcnt lgkmcnt(0)
	v_max_f32_e32 v8, v8, v8
	s_delay_alu instid0(VALU_DEP_1) | instskip(SKIP_3) | instid1(VALU_DEP_1)
	v_max_f32_e32 v7, v7, v8
	ds_bpermute_b32 v8, v2, v7
	s_waitcnt lgkmcnt(0)
	v_max_f32_e32 v8, v8, v8
	v_max_f32_e32 v7, v7, v8
	v_sub_nc_u32_e32 v8, s23, v0
	s_delay_alu instid0(VALU_DEP_2) | instskip(NEXT) | instid1(VALU_DEP_1)
	v_sub_f32_e32 v12, v12, v7
	v_mul_f32_e32 v18, 0x3fb8aa3b, v12
	s_delay_alu instid0(VALU_DEP_1) | instskip(SKIP_1) | instid1(VALU_DEP_2)
	v_rndne_f32_e32 v25, v18
	v_fma_f32 v24, 0x3fb8aa3b, v12, -v18
	v_sub_f32_e32 v18, v18, v25
	v_sub_f32_e32 v14, v14, v7
	s_delay_alu instid0(VALU_DEP_1) | instskip(NEXT) | instid1(VALU_DEP_1)
	v_mul_f32_e32 v20, 0x3fb8aa3b, v14
	v_fma_f32 v28, 0x3fb8aa3b, v14, -v20
	v_sub_f32_e32 v13, v13, v7
	v_rndne_f32_e32 v29, v20
	s_delay_alu instid0(VALU_DEP_3) | instskip(NEXT) | instid1(VALU_DEP_3)
	v_fmac_f32_e32 v28, 0x32a5705f, v14
	v_mul_f32_e32 v19, 0x3fb8aa3b, v13
	v_dual_sub_f32 v11, v11, v7 :: v_dual_fmac_f32 v24, 0x32a5705f, v12
	s_delay_alu instid0(VALU_DEP_4) | instskip(NEXT) | instid1(VALU_DEP_3)
	v_sub_f32_e32 v20, v20, v29
	v_fma_f32 v26, 0x3fb8aa3b, v13, -v19
	v_sub_f32_e32 v7, v15, v7
	s_delay_alu instid0(VALU_DEP_4)
	v_mul_f32_e32 v15, 0x3fb8aa3b, v11
	v_rndne_f32_e32 v27, v19
	v_add_f32_e32 v18, v18, v24
	v_fmac_f32_e32 v26, 0x32a5705f, v13
	v_mul_f32_e32 v21, 0x3fb8aa3b, v7
	v_fma_f32 v22, 0x3fb8aa3b, v11, -v15
	v_rndne_f32_e32 v23, v15
	v_dual_sub_f32 v19, v19, v27 :: v_dual_add_f32 v20, v20, v28
	s_delay_alu instid0(VALU_DEP_4) | instskip(NEXT) | instid1(VALU_DEP_4)
	v_fma_f32 v30, 0x3fb8aa3b, v7, -v21
	v_fmac_f32_e32 v22, 0x32a5705f, v11
	s_delay_alu instid0(VALU_DEP_4) | instskip(NEXT) | instid1(VALU_DEP_4)
	v_sub_f32_e32 v15, v15, v23
	v_add_f32_e32 v19, v19, v26
	v_exp_f32_e32 v18, v18
	v_fmac_f32_e32 v30, 0x32a5705f, v7
	v_cmp_ngt_f32_e32 vcc_lo, 0xc2ce8ed0, v11
	v_add_f32_e32 v15, v15, v22
	v_cvt_i32_f32_e32 v22, v23
	v_exp_f32_e32 v19, v19
	v_cvt_i32_f32_e32 v23, v25
	v_rndne_f32_e32 v31, v21
	v_exp_f32_e32 v15, v15
	v_exp_f32_e32 v20, v20
	v_cvt_i32_f32_e32 v24, v27
	v_ldexp_f32 v18, v18, v23
	v_cvt_i32_f32_e32 v25, v29
	v_cvt_i32_f32_e32 v26, v31
	s_delay_alu instid0(TRANS32_DEP_3) | instid1(VALU_DEP_4)
	v_ldexp_f32 v19, v19, v24
	s_delay_alu instid0(TRANS32_DEP_2)
	v_ldexp_f32 v15, v15, v22
	s_delay_alu instid0(TRANS32_DEP_1) | instid1(VALU_DEP_4)
	v_ldexp_f32 v20, v20, v25
	s_delay_alu instid0(VALU_DEP_2)
	v_cndmask_b32_e32 v15, 0, v15, vcc_lo
	v_cmp_ngt_f32_e32 vcc_lo, 0xc2ce8ed0, v12
	v_dual_sub_f32 v21, v21, v31 :: v_dual_cndmask_b32 v18, 0, v18
	v_cmp_ngt_f32_e32 vcc_lo, 0xc2ce8ed0, v13
	v_cndmask_b32_e32 v19, 0, v19, vcc_lo
	v_cmp_ngt_f32_e32 vcc_lo, 0xc2ce8ed0, v14
	s_delay_alu instid0(VALU_DEP_4) | instskip(NEXT) | instid1(VALU_DEP_1)
	v_dual_add_f32 v21, v21, v30 :: v_dual_cndmask_b32 v20, 0, v20
	v_exp_f32_e32 v21, v21
	v_cmp_ngt_f32_e32 vcc_lo, 0xc2ce8ed0, v7
	s_waitcnt_depctr 0xfff
	v_ldexp_f32 v21, v21, v26
	s_delay_alu instid0(VALU_DEP_1)
	v_cndmask_b32_e32 v21, 0, v21, vcc_lo
	v_cmp_nlt_f32_e32 vcc_lo, 0x42b17218, v11
	v_cndmask_b32_e32 v11, 0x7f800000, v15, vcc_lo
	v_cmp_nlt_f32_e32 vcc_lo, 0x42b17218, v12
	;; [unrolled: 2-line block ×3, first 2 shown]
	v_cndmask_b32_e32 v13, 0x7f800000, v19, vcc_lo
	v_cmp_lt_i32_e32 vcc_lo, 0, v8
	v_cndmask_b32_e32 v11, 0, v11, vcc_lo
	v_cmp_lt_i32_e32 vcc_lo, 32, v8
	s_waitcnt vmcnt(4)
	s_delay_alu instid0(VALU_DEP_2) | instskip(SKIP_2) | instid1(VALU_DEP_2)
	v_dual_mul_f32 v11, v16, v11 :: v_dual_cndmask_b32 v12, 0, v12
	v_cmp_lt_i32_e32 vcc_lo, 64, v8
	s_waitcnt vmcnt(3)
	v_mul_f32_e32 v3, v3, v12
	v_cndmask_b32_e32 v13, 0, v13, vcc_lo
	v_cmp_nlt_f32_e32 vcc_lo, 0x42b17218, v14
	s_waitcnt vmcnt(2)
	s_delay_alu instid0(VALU_DEP_2) | instskip(SKIP_2) | instid1(VALU_DEP_2)
	v_mul_f32_e32 v4, v4, v13
	v_dual_cndmask_b32 v14, 0x7f800000, v20 :: v_dual_add_f32 v13, v11, v3
	v_cmp_lt_i32_e32 vcc_lo, 0x60, v8
	v_cndmask_b32_e32 v12, 0, v14, vcc_lo
	v_cmp_nlt_f32_e32 vcc_lo, 0x42b17218, v7
	s_waitcnt vmcnt(1)
	s_delay_alu instid0(VALU_DEP_2) | instskip(SKIP_2) | instid1(VALU_DEP_2)
	v_mul_f32_e32 v5, v5, v12
	v_cndmask_b32_e32 v7, 0x7f800000, v21, vcc_lo
	v_cmp_lt_i32_e32 vcc_lo, 0x80, v8
	v_dual_add_f32 v8, v13, v4 :: v_dual_cndmask_b32 v7, 0, v7
	s_waitcnt vmcnt(0)
	s_delay_alu instid0(VALU_DEP_1) | instskip(NEXT) | instid1(VALU_DEP_2)
	v_mul_f32_e32 v7, v1, v7
	v_add_f32_e32 v1, v8, v5
	s_delay_alu instid0(VALU_DEP_1)
	v_add_f32_e32 v1, v1, v7
	ds_bpermute_b32 v6, v6, v1
	s_waitcnt lgkmcnt(0)
	v_add_f32_e32 v1, v1, v6
	ds_bpermute_b32 v6, v9, v1
	s_waitcnt lgkmcnt(0)
	;; [unrolled: 3-line block ×4, first 2 shown]
	v_dual_add_f32 v1, v1, v6 :: v_dual_lshlrev_b32 v6, 2, v0
	ds_store_2addr_b32 v6, v11, v3 offset1:32
	ds_store_2addr_b32 v6, v4, v5 offset0:64 offset1:96
	ds_store_b32 v6, v7 offset:512
	ds_bpermute_b32 v2, v2, v1
	v_cmpx_eq_u32_e32 0, v0
	s_cbranch_execz .LBB598_8
; %bb.7:
	s_waitcnt lgkmcnt(0)
	v_dual_add_f32 v1, v1, v2 :: v_dual_mov_b32 v2, 0
	ds_store_b32 v2, v1 offset:640
.LBB598_8:
	s_or_b32 exec_lo, exec_lo, s7
	v_mov_b32_e32 v1, s6
.LBB598_9:
	s_or_b32 exec_lo, exec_lo, s24
	s_lshl_b32 s6, s18, 7
	s_mov_b32 s7, 0
	s_waitcnt lgkmcnt(0)
	v_dual_mov_b32 v2, 0 :: v_dual_lshlrev_b32 v1, 7, v1
	s_lshl_b64 s[6:7], s[6:7], 1
	v_dual_mov_b32 v33, 0 :: v_dual_mov_b32 v34, 0
	s_add_u32 s34, s4, s6
	s_addc_u32 s35, s5, s7
	s_lshl_b32 s51, s23, 7
	v_lshlrev_b64 v[3:4], 1, v[1:2]
	s_addk_i32 s51, 0xff80
	s_cmpk_lt_i32 s50, 0x100
	v_lshlrev_b32_e32 v1, 1, v0
	s_cselect_b32 s4, s51, 0
	v_mov_b32_e32 v35, 0
	s_ashr_i32 s5, s4, 31
	v_add_co_u32 v3, vcc_lo, s34, v3
	s_lshl_b64 s[4:5], s[4:5], 1
	s_cmpk_lt_i32 s50, 0x200
	v_add_co_ci_u32_e32 v4, vcc_lo, s35, v4, vcc_lo
	s_cselect_b32 s6, s51, 0x80
	v_add_co_u32 v1, vcc_lo, v3, v1
	s_ashr_i32 s7, s6, 31
	s_delay_alu instid0(VALU_DEP_2)
	v_add_co_ci_u32_e32 v3, vcc_lo, 0, v4, vcc_lo
	s_lshl_b64 s[6:7], s[6:7], 1
	s_cmpk_lt_i32 s50, 0x300
	v_add_co_u32 v4, vcc_lo, v1, s4
	s_cselect_b32 s8, s51, 0x100
	v_add_co_ci_u32_e32 v5, vcc_lo, s5, v3, vcc_lo
	s_ashr_i32 s9, s8, 31
	v_add_co_u32 v6, vcc_lo, v1, s6
	s_lshl_b64 s[8:9], s[8:9], 1
	s_cmpk_lt_i32 s50, 0x400
	v_add_co_ci_u32_e32 v7, vcc_lo, s7, v3, vcc_lo
	s_cselect_b32 s10, s51, 0x180
	v_add_co_u32 v8, vcc_lo, v1, s8
	s_ashr_i32 s11, s10, 31
	v_add_co_ci_u32_e32 v9, vcc_lo, s9, v3, vcc_lo
	s_lshl_b64 s[10:11], s[10:11], 1
	s_cmpk_lt_i32 s50, 0x500
	v_add_co_u32 v14, vcc_lo, v1, s10
	s_cselect_b32 s18, s51, 0x200
	v_add_co_ci_u32_e32 v15, vcc_lo, s11, v3, vcc_lo
	s_ashr_i32 s19, s18, 31
	v_mov_b32_e32 v32, 0
	s_lshl_b64 s[18:19], s[18:19], 1
	s_cmpk_lt_i32 s50, 0x600
	v_add_co_u32 v16, vcc_lo, v1, s18
	s_cselect_b32 s20, s51, 0x280
	v_add_co_ci_u32_e32 v17, vcc_lo, s19, v3, vcc_lo
	s_ashr_i32 s21, s20, 31
	s_delay_alu instid0(SALU_CYCLE_1)
	s_lshl_b64 s[20:21], s[20:21], 1
	s_cmpk_lt_i32 s50, 0x700
	v_add_co_u32 v18, vcc_lo, v1, s20
	s_cselect_b32 s24, s51, 0x300
	v_add_co_ci_u32_e32 v19, vcc_lo, s21, v3, vcc_lo
	s_ashr_i32 s25, s24, 31
	s_delay_alu instid0(SALU_CYCLE_1)
	;; [unrolled: 7-line block ×3, first 2 shown]
	s_lshl_b64 s[26:27], s[26:27], 1
	s_cmpk_lt_i32 s50, 0x900
	v_add_co_u32 v22, vcc_lo, v1, s26
	s_cselect_b32 s28, s51, 0x400
	v_add_co_ci_u32_e32 v23, vcc_lo, s27, v3, vcc_lo
	s_ashr_i32 s29, s28, 31
	s_clause 0x7
	global_load_u16 v13, v[4:5], off
	global_load_u16 v4, v[6:7], off
	;; [unrolled: 1-line block ×8, first 2 shown]
	s_lshl_b64 s[28:29], s[28:29], 1
	s_cmpk_lt_i32 s50, 0xa00
	v_add_co_u32 v14, vcc_lo, v1, s28
	s_cselect_b32 s30, s51, 0x480
	v_add_co_ci_u32_e32 v15, vcc_lo, s29, v3, vcc_lo
	s_ashr_i32 s31, s30, 31
	s_delay_alu instid0(SALU_CYCLE_1)
	s_lshl_b64 s[30:31], s[30:31], 1
	s_cmpk_lt_i32 s50, 0xb00
	v_add_co_u32 v16, vcc_lo, v1, s30
	s_cselect_b32 s34, s51, 0x500
	v_add_co_ci_u32_e32 v17, vcc_lo, s31, v3, vcc_lo
	s_ashr_i32 s35, s34, 31
	s_delay_alu instid0(SALU_CYCLE_1)
	;; [unrolled: 7-line block ×7, first 2 shown]
	s_lshl_b64 s[4:5], s[6:7], 1
	s_cmpk_gt_i32 s22, 0x1000
	v_add_co_u32 v30, vcc_lo, v1, s4
	v_add_co_ci_u32_e32 v31, vcc_lo, s5, v3, vcc_lo
	s_clause 0x7
	global_load_u16 v19, v[14:15], off
	global_load_u16 v18, v[16:17], off
	;; [unrolled: 1-line block ×8, first 2 shown]
	v_dual_mov_b32 v20, 0 :: v_dual_mov_b32 v21, 0
	v_dual_mov_b32 v22, 0 :: v_dual_mov_b32 v23, 0
	v_dual_mov_b32 v24, 0 :: v_dual_mov_b32 v25, 0
	v_dual_mov_b32 v26, 0 :: v_dual_mov_b32 v27, 0
	v_dual_mov_b32 v28, 0 :: v_dual_mov_b32 v29, 0
	v_dual_mov_b32 v30, 0 :: v_dual_mov_b32 v31, 0
	s_cselect_b32 s6, -1, 0
	s_cmpk_lt_i32 s22, 0x1001
	s_waitcnt vmcnt(0)
	s_barrier
	buffer_gl0_inv
	s_cbranch_scc1 .LBB598_11
; %bb.10:
	s_cmpk_lt_i32 s50, 0x1100
	s_cselect_b32 s4, s51, 0x800
	s_delay_alu instid0(SALU_CYCLE_1) | instskip(NEXT) | instid1(SALU_CYCLE_1)
	s_ashr_i32 s5, s4, 31
	s_lshl_b64 s[4:5], s[4:5], 1
	s_cmpk_lt_i32 s50, 0x1200
	v_add_co_u32 v20, vcc_lo, v1, s4
	s_cselect_b32 s8, s51, 0x880
	v_add_co_ci_u32_e32 v21, vcc_lo, s5, v3, vcc_lo
	s_ashr_i32 s9, s8, 31
	s_delay_alu instid0(SALU_CYCLE_1)
	s_lshl_b64 s[8:9], s[8:9], 1
	s_cmpk_lt_i32 s50, 0x1300
	v_add_co_u32 v22, vcc_lo, v1, s8
	s_cselect_b32 s10, s51, 0x900
	v_add_co_ci_u32_e32 v23, vcc_lo, s9, v3, vcc_lo
	s_ashr_i32 s11, s10, 31
	s_delay_alu instid0(SALU_CYCLE_1)
	;; [unrolled: 7-line block ×14, first 2 shown]
	s_lshl_b64 s[4:5], s[18:19], 1
	s_cmpk_lt_i32 s50, 0x2000
	v_add_co_u32 v48, vcc_lo, v1, s4
	s_cselect_b32 s8, s51, 0xf80
	v_add_co_ci_u32_e32 v49, vcc_lo, s5, v3, vcc_lo
	s_ashr_i32 s9, s8, 31
	s_delay_alu instid0(SALU_CYCLE_1) | instskip(NEXT) | instid1(SALU_CYCLE_1)
	s_lshl_b64 s[4:5], s[8:9], 1
	v_add_co_u32 v50, vcc_lo, v1, s4
	v_add_co_ci_u32_e32 v51, vcc_lo, s5, v3, vcc_lo
	s_clause 0xf
	global_load_u16 v20, v[20:21], off
	global_load_u16 v21, v[22:23], off
	;; [unrolled: 1-line block ×16, first 2 shown]
	s_waitcnt vmcnt(15)
	v_lshlrev_b32_e32 v35, 16, v20
	s_waitcnt vmcnt(14)
	v_lshlrev_b32_e32 v34, 16, v21
	s_waitcnt vmcnt(13)
	v_lshlrev_b32_e32 v33, 16, v22
	s_waitcnt vmcnt(12)
	v_lshlrev_b32_e32 v32, 16, v23
	s_waitcnt vmcnt(11)
	v_lshlrev_b32_e32 v31, 16, v24
	s_waitcnt vmcnt(10)
	v_lshlrev_b32_e32 v30, 16, v25
	s_waitcnt vmcnt(9)
	v_lshlrev_b32_e32 v29, 16, v26
	s_waitcnt vmcnt(8)
	v_lshlrev_b32_e32 v28, 16, v27
	s_waitcnt vmcnt(7)
	v_lshlrev_b32_e32 v27, 16, v36
	s_waitcnt vmcnt(6)
	v_lshlrev_b32_e32 v26, 16, v37
	s_waitcnt vmcnt(5)
	v_lshlrev_b32_e32 v25, 16, v38
	s_waitcnt vmcnt(4)
	v_lshlrev_b32_e32 v24, 16, v39
	s_waitcnt vmcnt(3)
	v_lshlrev_b32_e32 v23, 16, v40
	s_waitcnt vmcnt(2)
	v_lshlrev_b32_e32 v22, 16, v41
	s_waitcnt vmcnt(1)
	v_lshlrev_b32_e32 v21, 16, v42
	s_waitcnt vmcnt(0)
	v_lshlrev_b32_e32 v20, 16, v43
.LBB598_11:
	ds_load_b128 v[36:39], v2
	ds_load_b128 v[40:43], v2 offset:16
	v_lshlrev_b32_e32 v44, 16, v4
	v_lshlrev_b32_e32 v13, 16, v13
	;; [unrolled: 1-line block ×4, first 2 shown]
	s_and_not1_b32 vcc_lo, exec_lo, s6
	v_lshlrev_b32_e32 v5, 16, v5
	s_waitcnt lgkmcnt(1)
	v_fma_f32 v4, v36, v13, 0
	s_delay_alu instid0(VALU_DEP_1) | instskip(SKIP_1) | instid1(VALU_DEP_1)
	v_dual_fmac_f32 v4, v37, v44 :: v_dual_lshlrev_b32 v9, 16, v9
	v_lshlrev_b32_e32 v11, 16, v11
	v_dual_fmac_f32 v4, v38, v11 :: v_dual_lshlrev_b32 v11, 16, v18
	s_delay_alu instid0(VALU_DEP_1) | instskip(SKIP_3) | instid1(VALU_DEP_1)
	v_dual_fmac_f32 v4, v39, v9 :: v_dual_lshlrev_b32 v7, 16, v7
	ds_load_b128 v[36:39], v2 offset:32
	s_waitcnt lgkmcnt(1)
	v_dual_fmac_f32 v4, v40, v8 :: v_dual_lshlrev_b32 v9, 16, v19
	v_fmac_f32_e32 v4, v41, v7
	s_delay_alu instid0(VALU_DEP_1) | instskip(NEXT) | instid1(VALU_DEP_1)
	v_fmac_f32_e32 v4, v42, v6
	v_fmac_f32_e32 v4, v43, v5
	ds_load_b128 v[5:8], v2 offset:48
	s_waitcnt lgkmcnt(1)
	v_fmac_f32_e32 v4, v36, v9
	s_delay_alu instid0(VALU_DEP_1) | instskip(NEXT) | instid1(VALU_DEP_1)
	v_dual_fmac_f32 v4, v37, v11 :: v_dual_lshlrev_b32 v9, 16, v17
	v_dual_fmac_f32 v4, v38, v9 :: v_dual_lshlrev_b32 v11, 16, v16
	v_lshlrev_b32_e32 v9, 16, v15
	s_delay_alu instid0(VALU_DEP_2) | instskip(SKIP_1) | instid1(VALU_DEP_1)
	v_dual_fmac_f32 v4, v39, v11 :: v_dual_lshlrev_b32 v11, 16, v14
	s_waitcnt lgkmcnt(0)
	v_dual_fmac_f32 v4, v5, v9 :: v_dual_lshlrev_b32 v5, 16, v12
	s_delay_alu instid0(VALU_DEP_1) | instskip(NEXT) | instid1(VALU_DEP_1)
	v_fmac_f32_e32 v4, v6, v11
	v_dual_fmac_f32 v4, v7, v5 :: v_dual_lshlrev_b32 v5, 16, v10
	s_delay_alu instid0(VALU_DEP_1)
	v_fmac_f32_e32 v4, v8, v5
	s_cbranch_vccz .LBB598_24
; %bb.12:
	s_cmpk_lt_i32 s50, 0x2100
	s_cbranch_scc0 .LBB598_25
.LBB598_13:
	s_cmpk_lt_i32 s50, 0x4100
	s_cbranch_scc0 .LBB598_26
.LBB598_14:
	s_cmpk_lt_i32 s50, 0x6100
	s_cbranch_scc0 .LBB598_27
.LBB598_15:
	s_cmp_lt_i32 s50, 0x8100
	s_cbranch_scc0 .LBB598_28
.LBB598_16:
	v_mov_b32_e32 v1, 0
	s_and_not1_b32 vcc_lo, exec_lo, s15
	ds_load_b32 v1, v1 offset:640
	s_cbranch_vccnz .LBB598_18
.LBB598_17:
	s_add_u32 s2, s12, s16
	s_addc_u32 s3, s13, s17
	s_load_b32 s2, s[2:3], 0x0
	s_mov_b32 s3, 0
.LBB598_18:
	s_waitcnt lgkmcnt(0)
	v_add_f32_e32 v1, 0x358637bd, v1
	s_load_b64 s[0:1], s[0:1], 0x0
	s_delay_alu instid0(VALU_DEP_1) | instskip(NEXT) | instid1(VALU_DEP_1)
	v_div_scale_f32 v2, null, v1, v1, 1.0
	v_rcp_f32_e32 v3, v2
	s_waitcnt_depctr 0xfff
	v_fma_f32 v5, -v2, v3, 1.0
	s_delay_alu instid0(VALU_DEP_1) | instskip(SKIP_1) | instid1(VALU_DEP_1)
	v_fmac_f32_e32 v3, v5, v3
	v_div_scale_f32 v5, vcc_lo, 1.0, v1, 1.0
	v_mul_f32_e32 v6, v5, v3
	s_delay_alu instid0(VALU_DEP_1) | instskip(NEXT) | instid1(VALU_DEP_1)
	v_fma_f32 v7, -v2, v6, v5
	v_fmac_f32_e32 v6, v7, v3
	s_delay_alu instid0(VALU_DEP_1) | instskip(NEXT) | instid1(VALU_DEP_1)
	v_fma_f32 v2, -v2, v6, v5
	v_div_fmas_f32 v2, v2, v3, v6
	s_delay_alu instid0(VALU_DEP_1) | instskip(NEXT) | instid1(VALU_DEP_1)
	v_div_fixup_f32 v1, v2, v1, 1.0
	v_mul_f32_e32 v2, v4, v1
	s_delay_alu instid0(VALU_DEP_1) | instskip(NEXT) | instid1(VALU_DEP_1)
	v_and_b32_e32 v1, 0x7f800000, v2
	v_cmp_ne_u32_e32 vcc_lo, 0x7f800000, v1
                                        ; implicit-def: $vgpr1
	s_and_saveexec_b32 s4, vcc_lo
	s_delay_alu instid0(SALU_CYCLE_1)
	s_xor_b32 s4, exec_lo, s4
; %bb.19:
	v_bfe_u32 v1, v2, 16, 1
	s_delay_alu instid0(VALU_DEP_1)
	v_add3_u32 v1, v2, v1, 0x7fff
                                        ; implicit-def: $vgpr2
; %bb.20:
	s_and_not1_saveexec_b32 s4, s4
; %bb.21:
	v_and_b32_e32 v1, 0xffff, v2
	v_or_b32_e32 v3, 0x10000, v2
	s_delay_alu instid0(VALU_DEP_2) | instskip(NEXT) | instid1(VALU_DEP_2)
	v_cmp_eq_u32_e32 vcc_lo, 0, v1
	v_cndmask_b32_e32 v1, v3, v2, vcc_lo
; %bb.22:
	s_or_b32 exec_lo, exec_lo, s4
	s_mul_i32 s3, s33, s3
	s_mul_hi_u32 s4, s33, s2
	s_mul_i32 s2, s33, s2
	s_add_i32 s3, s4, s3
	s_mov_b32 s15, 0
	s_lshl_b64 s[2:3], s[2:3], 7
	v_and_b32_e32 v1, 0xffff0000, v1
	s_waitcnt lgkmcnt(0)
	s_add_u32 s2, s0, s2
	s_addc_u32 s3, s1, s3
	s_lshl_b64 s[0:1], s[14:15], 7
	s_delay_alu instid0(SALU_CYCLE_1)
	s_add_u32 s0, s2, s0
	s_addc_u32 s1, s3, s1
	v_add_co_u32 v0, s0, s0, v0
	v_cvt_i32_f32_e32 v2, v1
	v_add_co_ci_u32_e64 v1, null, s1, 0, s0
	global_store_b8 v[0:1], v2, off
	s_nop 0
	s_sendmsg sendmsg(MSG_DEALLOC_VGPRS)
	s_endpgm
.LBB598_23:
	s_mov_b32 s4, 0
	s_branch .LBB598_2
.LBB598_24:
	ds_load_b128 v[5:8], v2 offset:64
	ds_load_b128 v[9:12], v2 offset:80
	s_waitcnt lgkmcnt(1)
	v_fmac_f32_e32 v4, v5, v35
	s_delay_alu instid0(VALU_DEP_1) | instskip(NEXT) | instid1(VALU_DEP_1)
	v_fmac_f32_e32 v4, v6, v34
	v_fmac_f32_e32 v4, v7, v33
	s_delay_alu instid0(VALU_DEP_1) | instskip(SKIP_3) | instid1(VALU_DEP_1)
	v_fmac_f32_e32 v4, v8, v32
	ds_load_b128 v[5:8], v2 offset:96
	s_waitcnt lgkmcnt(1)
	v_fmac_f32_e32 v4, v9, v31
	v_fmac_f32_e32 v4, v10, v30
	s_delay_alu instid0(VALU_DEP_1) | instskip(NEXT) | instid1(VALU_DEP_1)
	v_fmac_f32_e32 v4, v11, v29
	v_fmac_f32_e32 v4, v12, v28
	ds_load_b128 v[9:12], v2 offset:112
	s_waitcnt lgkmcnt(1)
	v_fmac_f32_e32 v4, v5, v27
	s_delay_alu instid0(VALU_DEP_1) | instskip(NEXT) | instid1(VALU_DEP_1)
	v_fmac_f32_e32 v4, v6, v26
	v_fmac_f32_e32 v4, v7, v25
	s_delay_alu instid0(VALU_DEP_1) | instskip(SKIP_1) | instid1(VALU_DEP_1)
	v_fmac_f32_e32 v4, v8, v24
	s_waitcnt lgkmcnt(0)
	v_fmac_f32_e32 v4, v9, v23
	s_delay_alu instid0(VALU_DEP_1) | instskip(NEXT) | instid1(VALU_DEP_1)
	v_fmac_f32_e32 v4, v10, v22
	v_fmac_f32_e32 v4, v11, v21
	s_delay_alu instid0(VALU_DEP_1)
	v_fmac_f32_e32 v4, v12, v20
	s_cmpk_lt_i32 s50, 0x2100
	s_cbranch_scc1 .LBB598_13
.LBB598_25:
	s_cmpk_lt_i32 s50, 0x2200
	v_add_co_u32 v5, vcc_lo, 0x2000, v1
	s_cselect_b32 s4, s51, 0x1080
	v_add_co_ci_u32_e32 v6, vcc_lo, 0, v3, vcc_lo
	s_ashr_i32 s5, s4, 31
	v_mov_b32_e32 v44, 0
	s_lshl_b64 s[4:5], s[4:5], 1
	s_cmpk_lt_i32 s50, 0x2300
	global_load_u16 v2, v[5:6], off
	s_cselect_b32 s6, s51, 0x1100
	v_add_co_u32 v5, vcc_lo, v1, s4
	s_ashr_i32 s7, s6, 31
	v_add_co_ci_u32_e32 v6, vcc_lo, s5, v3, vcc_lo
	s_lshl_b64 s[8:9], s[6:7], 1
	s_cmpk_lt_i32 s50, 0x2400
	v_add_co_u32 v7, vcc_lo, v1, s8
	s_cselect_b32 s6, s51, 0x1180
	v_add_co_ci_u32_e32 v8, vcc_lo, s9, v3, vcc_lo
	s_ashr_i32 s7, s6, 31
	s_delay_alu instid0(SALU_CYCLE_1)
	s_lshl_b64 s[18:19], s[6:7], 1
	s_cmpk_lt_i32 s50, 0x2500
	v_add_co_u32 v9, vcc_lo, v1, s18
	s_cselect_b32 s6, s51, 0x1200
	v_add_co_ci_u32_e32 v10, vcc_lo, s19, v3, vcc_lo
	s_ashr_i32 s7, s6, 31
	s_delay_alu instid0(SALU_CYCLE_1)
	s_lshl_b64 s[24:25], s[6:7], 1
	s_cmpk_lt_i32 s50, 0x2600
	v_add_co_u32 v11, vcc_lo, v1, s24
	s_cselect_b32 s6, s51, 0x1280
	v_add_co_ci_u32_e32 v12, vcc_lo, s25, v3, vcc_lo
	s_ashr_i32 s7, s6, 31
	s_clause 0x3
	global_load_u16 v13, v[5:6], off
	global_load_u16 v14, v[7:8], off
	global_load_u16 v15, v[9:10], off
	global_load_u16 v16, v[11:12], off
	s_lshl_b64 s[6:7], s[6:7], 1
	s_cmpk_lt_i32 s50, 0x2700
	v_add_co_u32 v5, vcc_lo, v1, s6
	s_cselect_b32 s10, s51, 0x1300
	v_add_co_ci_u32_e32 v6, vcc_lo, s7, v3, vcc_lo
	s_ashr_i32 s11, s10, 31
	s_delay_alu instid0(SALU_CYCLE_1)
	s_lshl_b64 s[10:11], s[10:11], 1
	s_cmpk_lt_i32 s50, 0x2800
	v_add_co_u32 v7, vcc_lo, v1, s10
	s_cselect_b32 s20, s51, 0x1380
	v_add_co_ci_u32_e32 v8, vcc_lo, s11, v3, vcc_lo
	s_ashr_i32 s21, s20, 31
	s_delay_alu instid0(SALU_CYCLE_1)
	;; [unrolled: 7-line block ×3, first 2 shown]
	s_lshl_b64 s[30:31], s[20:21], 1
	s_cmpk_lt_i32 s50, 0x2a00
	v_add_co_u32 v11, vcc_lo, v1, s30
	s_cselect_b32 s20, s51, 0x1480
	v_add_co_ci_u32_e32 v12, vcc_lo, s31, v3, vcc_lo
	s_ashr_i32 s21, s20, 31
	s_clause 0x3
	global_load_u16 v17, v[5:6], off
	global_load_u16 v18, v[7:8], off
	;; [unrolled: 1-line block ×4, first 2 shown]
	s_lshl_b64 s[20:21], s[20:21], 1
	s_cmpk_lt_i32 s50, 0x2b00
	v_add_co_u32 v5, vcc_lo, v1, s20
	s_cselect_b32 s26, s51, 0x1500
	v_add_co_ci_u32_e32 v6, vcc_lo, s21, v3, vcc_lo
	s_ashr_i32 s27, s26, 31
	s_delay_alu instid0(SALU_CYCLE_1)
	s_lshl_b64 s[26:27], s[26:27], 1
	s_cmpk_lt_i32 s50, 0x2c00
	v_add_co_u32 v7, vcc_lo, v1, s26
	s_cselect_b32 s28, s51, 0x1580
	v_add_co_ci_u32_e32 v8, vcc_lo, s27, v3, vcc_lo
	s_ashr_i32 s29, s28, 31
	global_load_u16 v21, v[5:6], off
	s_lshl_b64 s[34:35], s[28:29], 1
	s_cmpk_lt_i32 s50, 0x2d00
	v_add_co_u32 v9, vcc_lo, v1, s34
	s_cselect_b32 s28, s51, 0x1600
	v_add_co_ci_u32_e32 v10, vcc_lo, s35, v3, vcc_lo
	s_ashr_i32 s29, s28, 31
	s_delay_alu instid0(SALU_CYCLE_1)
	s_lshl_b64 s[38:39], s[28:29], 1
	s_cmpk_lt_i32 s50, 0x2e00
	v_add_co_u32 v11, vcc_lo, v1, s38
	s_cselect_b32 s28, s51, 0x1680
	v_add_co_ci_u32_e32 v12, vcc_lo, s39, v3, vcc_lo
	s_ashr_i32 s29, s28, 31
	s_clause 0x2
	global_load_u16 v22, v[7:8], off
	global_load_u16 v23, v[9:10], off
	;; [unrolled: 1-line block ×3, first 2 shown]
	s_lshl_b64 s[28:29], s[28:29], 1
	s_cmpk_lt_i32 s50, 0x2f00
	v_add_co_u32 v5, vcc_lo, v1, s28
	s_cselect_b32 s36, s51, 0x1700
	v_add_co_ci_u32_e32 v6, vcc_lo, s29, v3, vcc_lo
	s_ashr_i32 s37, s36, 31
	s_delay_alu instid0(SALU_CYCLE_1)
	s_lshl_b64 s[36:37], s[36:37], 1
	s_cmpk_lt_i32 s50, 0x3000
	v_add_co_u32 v7, vcc_lo, v1, s36
	s_cselect_b32 s40, s51, 0x1780
	v_add_co_ci_u32_e32 v8, vcc_lo, s37, v3, vcc_lo
	s_ashr_i32 s41, s40, 31
	global_load_u16 v25, v[5:6], off
	s_lshl_b64 s[40:41], s[40:41], 1
	global_load_u16 v26, v[7:8], off
	s_cmpk_lt_i32 s50, 0x3100
	v_add_co_u32 v9, vcc_lo, v1, s40
	s_cselect_b32 s42, s51, 0x1800
	v_add_co_ci_u32_e32 v10, vcc_lo, s41, v3, vcc_lo
	s_ashr_i32 s43, s42, 31
	s_delay_alu instid0(SALU_CYCLE_1)
	s_lshl_b64 s[42:43], s[42:43], 1
	global_load_u16 v27, v[9:10], off
	s_cmpk_lt_i32 s50, 0x3200
	v_add_co_u32 v5, vcc_lo, v1, s42
	s_cselect_b32 s44, s51, 0x1880
	v_add_co_ci_u32_e32 v6, vcc_lo, s43, v3, vcc_lo
	s_ashr_i32 s45, s44, 31
	s_delay_alu instid0(SALU_CYCLE_1)
	s_lshl_b64 s[44:45], s[44:45], 1
	s_cmpk_lt_i32 s50, 0x3300
	v_add_co_u32 v7, vcc_lo, v1, s44
	s_cselect_b32 s46, s51, 0x1900
	v_add_co_ci_u32_e32 v8, vcc_lo, s45, v3, vcc_lo
	s_ashr_i32 s47, s46, 31
	global_load_u16 v28, v[5:6], off
	s_lshl_b64 s[46:47], s[46:47], 1
	global_load_u16 v29, v[7:8], off
	s_cmpk_lt_i32 s50, 0x3400
	v_add_co_u32 v9, vcc_lo, v1, s46
	s_cselect_b32 s48, s51, 0x1980
	v_add_co_ci_u32_e32 v10, vcc_lo, s47, v3, vcc_lo
	s_ashr_i32 s49, s48, 31
	s_delay_alu instid0(SALU_CYCLE_1)
	s_lshl_b64 s[48:49], s[48:49], 1
	s_cmpk_lt_i32 s50, 0x3500
	v_add_co_u32 v5, vcc_lo, v1, s48
	s_cselect_b32 s4, s51, 0x1a00
	v_add_co_ci_u32_e32 v6, vcc_lo, s49, v3, vcc_lo
	s_ashr_i32 s5, s4, 31
	global_load_u16 v30, v[9:10], off
	s_lshl_b64 s[4:5], s[4:5], 1
	s_cmpk_lt_i32 s50, 0x3600
	v_add_co_u32 v7, vcc_lo, v1, s4
	s_cselect_b32 s8, s51, 0x1a80
	v_add_co_ci_u32_e32 v8, vcc_lo, s5, v3, vcc_lo
	s_ashr_i32 s9, s8, 31
	global_load_u16 v31, v[5:6], off
	s_lshl_b64 s[6:7], s[8:9], 1
	global_load_u16 v32, v[7:8], off
	s_cmpk_lt_i32 s50, 0x3700
	v_add_co_u32 v5, vcc_lo, v1, s6
	s_cselect_b32 s8, s51, 0x1b00
	v_add_co_ci_u32_e32 v6, vcc_lo, s7, v3, vcc_lo
	s_ashr_i32 s9, s8, 31
	s_delay_alu instid0(SALU_CYCLE_1)
	s_lshl_b64 s[8:9], s[8:9], 1
	s_cmpk_lt_i32 s50, 0x3800
	v_add_co_u32 v7, vcc_lo, v1, s8
	s_cselect_b32 s10, s51, 0x1b80
	v_add_co_ci_u32_e32 v8, vcc_lo, s9, v3, vcc_lo
	s_ashr_i32 s11, s10, 31
	global_load_u16 v33, v[5:6], off
	s_lshl_b64 s[10:11], s[10:11], 1
	global_load_u16 v34, v[7:8], off
	s_cmpk_lt_i32 s50, 0x3900
	v_add_co_u32 v5, vcc_lo, v1, s10
	s_cselect_b32 s18, s51, 0x1c00
	v_add_co_ci_u32_e32 v6, vcc_lo, s11, v3, vcc_lo
	s_ashr_i32 s19, s18, 31
	s_delay_alu instid0(SALU_CYCLE_1)
	;; [unrolled: 15-line block ×5, first 2 shown]
	s_lshl_b64 s[4:5], s[8:9], 1
	s_cmpk_lt_i32 s50, 0x4000
	v_add_co_u32 v7, vcc_lo, v1, s4
	s_cselect_b32 s6, s51, 0x1f80
	v_add_co_ci_u32_e32 v8, vcc_lo, s5, v3, vcc_lo
	s_ashr_i32 s7, s6, 31
	global_load_u16 v41, v[5:6], off
	s_lshl_b64 s[4:5], s[6:7], 1
	global_load_u16 v42, v[7:8], off
	v_add_co_u32 v5, vcc_lo, v1, s4
	v_add_co_ci_u32_e32 v6, vcc_lo, s5, v3, vcc_lo
	global_load_u16 v43, v[5:6], off
	ds_load_b128 v[5:8], v44 offset:128
	ds_load_b128 v[9:12], v44 offset:144
	s_waitcnt vmcnt(31)
	v_lshlrev_b32_e32 v2, 16, v2
	s_waitcnt lgkmcnt(1)
	s_delay_alu instid0(VALU_DEP_1) | instskip(SKIP_2) | instid1(VALU_DEP_1)
	v_fmac_f32_e32 v4, v5, v2
	s_waitcnt vmcnt(30)
	v_lshlrev_b32_e32 v2, 16, v13
	v_fmac_f32_e32 v4, v6, v2
	s_waitcnt vmcnt(29)
	v_lshlrev_b32_e32 v2, 16, v14
	s_delay_alu instid0(VALU_DEP_1) | instskip(SKIP_2) | instid1(VALU_DEP_1)
	v_fmac_f32_e32 v4, v7, v2
	s_waitcnt vmcnt(28)
	v_lshlrev_b32_e32 v2, 16, v15
	v_fmac_f32_e32 v4, v8, v2
	s_waitcnt vmcnt(27)
	v_lshlrev_b32_e32 v2, 16, v16
	ds_load_b128 v[5:8], v44 offset:160
	s_waitcnt lgkmcnt(1)
	v_fmac_f32_e32 v4, v9, v2
	s_waitcnt vmcnt(26)
	v_lshlrev_b32_e32 v2, 16, v17
	s_delay_alu instid0(VALU_DEP_1) | instskip(SKIP_2) | instid1(VALU_DEP_1)
	v_fmac_f32_e32 v4, v10, v2
	s_waitcnt vmcnt(25)
	v_lshlrev_b32_e32 v2, 16, v18
	v_fmac_f32_e32 v4, v11, v2
	s_waitcnt vmcnt(24)
	v_lshlrev_b32_e32 v2, 16, v19
	s_delay_alu instid0(VALU_DEP_1) | instskip(SKIP_4) | instid1(VALU_DEP_1)
	v_fmac_f32_e32 v4, v12, v2
	ds_load_b128 v[9:12], v44 offset:176
	s_waitcnt vmcnt(23)
	v_lshlrev_b32_e32 v2, 16, v20
	s_waitcnt lgkmcnt(1)
	v_fmac_f32_e32 v4, v5, v2
	s_waitcnt vmcnt(22)
	v_lshlrev_b32_e32 v2, 16, v21
	s_delay_alu instid0(VALU_DEP_1) | instskip(SKIP_2) | instid1(VALU_DEP_1)
	v_fmac_f32_e32 v4, v6, v2
	s_waitcnt vmcnt(21)
	v_lshlrev_b32_e32 v2, 16, v22
	v_fmac_f32_e32 v4, v7, v2
	s_waitcnt vmcnt(20)
	v_lshlrev_b32_e32 v2, 16, v23
	s_delay_alu instid0(VALU_DEP_1)
	v_fmac_f32_e32 v4, v8, v2
	s_waitcnt vmcnt(19)
	v_lshlrev_b32_e32 v2, 16, v24
	ds_load_b128 v[5:8], v44 offset:192
	s_waitcnt lgkmcnt(1)
	v_fmac_f32_e32 v4, v9, v2
	s_waitcnt vmcnt(18)
	v_lshlrev_b32_e32 v2, 16, v25
	s_delay_alu instid0(VALU_DEP_1) | instskip(SKIP_2) | instid1(VALU_DEP_1)
	v_fmac_f32_e32 v4, v10, v2
	s_waitcnt vmcnt(17)
	v_lshlrev_b32_e32 v2, 16, v26
	v_fmac_f32_e32 v4, v11, v2
	s_waitcnt vmcnt(16)
	v_lshlrev_b32_e32 v2, 16, v27
	s_delay_alu instid0(VALU_DEP_1) | instskip(SKIP_4) | instid1(VALU_DEP_1)
	v_fmac_f32_e32 v4, v12, v2
	ds_load_b128 v[9:12], v44 offset:208
	s_waitcnt vmcnt(15)
	v_lshlrev_b32_e32 v2, 16, v28
	s_waitcnt lgkmcnt(1)
	v_fmac_f32_e32 v4, v5, v2
	s_waitcnt vmcnt(14)
	v_lshlrev_b32_e32 v2, 16, v29
	s_delay_alu instid0(VALU_DEP_1) | instskip(SKIP_2) | instid1(VALU_DEP_1)
	v_fmac_f32_e32 v4, v6, v2
	s_waitcnt vmcnt(13)
	v_lshlrev_b32_e32 v2, 16, v30
	v_fmac_f32_e32 v4, v7, v2
	s_waitcnt vmcnt(12)
	v_lshlrev_b32_e32 v2, 16, v31
	s_delay_alu instid0(VALU_DEP_1)
	v_fmac_f32_e32 v4, v8, v2
	s_waitcnt vmcnt(11)
	v_lshlrev_b32_e32 v2, 16, v32
	ds_load_b128 v[5:8], v44 offset:224
	s_waitcnt lgkmcnt(1)
	v_fmac_f32_e32 v4, v9, v2
	s_waitcnt vmcnt(10)
	v_lshlrev_b32_e32 v2, 16, v33
	s_delay_alu instid0(VALU_DEP_1) | instskip(SKIP_2) | instid1(VALU_DEP_1)
	v_fmac_f32_e32 v4, v10, v2
	s_waitcnt vmcnt(9)
	v_lshlrev_b32_e32 v2, 16, v34
	v_fmac_f32_e32 v4, v11, v2
	s_waitcnt vmcnt(8)
	v_lshlrev_b32_e32 v2, 16, v35
	s_delay_alu instid0(VALU_DEP_1) | instskip(SKIP_4) | instid1(VALU_DEP_1)
	v_fmac_f32_e32 v4, v12, v2
	ds_load_b128 v[9:12], v44 offset:240
	s_waitcnt vmcnt(7)
	v_lshlrev_b32_e32 v2, 16, v36
	s_waitcnt lgkmcnt(1)
	v_fmac_f32_e32 v4, v5, v2
	s_waitcnt vmcnt(6)
	v_lshlrev_b32_e32 v2, 16, v37
	s_delay_alu instid0(VALU_DEP_1) | instskip(SKIP_2) | instid1(VALU_DEP_1)
	v_fmac_f32_e32 v4, v6, v2
	s_waitcnt vmcnt(5)
	v_lshlrev_b32_e32 v2, 16, v38
	v_fmac_f32_e32 v4, v7, v2
	s_waitcnt vmcnt(4)
	v_lshlrev_b32_e32 v2, 16, v39
	s_delay_alu instid0(VALU_DEP_1) | instskip(SKIP_3) | instid1(VALU_DEP_1)
	v_fmac_f32_e32 v4, v8, v2
	s_waitcnt vmcnt(3)
	v_lshlrev_b32_e32 v2, 16, v40
	s_waitcnt lgkmcnt(0)
	v_fmac_f32_e32 v4, v9, v2
	s_waitcnt vmcnt(2)
	v_lshlrev_b32_e32 v2, 16, v41
	s_delay_alu instid0(VALU_DEP_1) | instskip(SKIP_2) | instid1(VALU_DEP_1)
	v_fmac_f32_e32 v4, v10, v2
	s_waitcnt vmcnt(1)
	v_lshlrev_b32_e32 v2, 16, v42
	v_fmac_f32_e32 v4, v11, v2
	s_waitcnt vmcnt(0)
	v_lshlrev_b32_e32 v2, 16, v43
	s_delay_alu instid0(VALU_DEP_1)
	v_fmac_f32_e32 v4, v12, v2
	s_cmpk_lt_i32 s50, 0x4100
	s_cbranch_scc1 .LBB598_14
.LBB598_26:
	s_cmpk_lt_i32 s50, 0x4200
	v_add_co_u32 v5, vcc_lo, 0x4000, v1
	s_cselect_b32 s4, s51, 0x2080
	v_add_co_ci_u32_e32 v6, vcc_lo, 0, v3, vcc_lo
	s_ashr_i32 s5, s4, 31
	v_mov_b32_e32 v44, 0
	s_lshl_b64 s[4:5], s[4:5], 1
	s_cmpk_lt_i32 s50, 0x4300
	global_load_u16 v2, v[5:6], off
	s_cselect_b32 s6, s51, 0x2100
	v_add_co_u32 v5, vcc_lo, v1, s4
	s_ashr_i32 s7, s6, 31
	v_add_co_ci_u32_e32 v6, vcc_lo, s5, v3, vcc_lo
	s_lshl_b64 s[8:9], s[6:7], 1
	s_cmpk_lt_i32 s50, 0x4400
	v_add_co_u32 v7, vcc_lo, v1, s8
	s_cselect_b32 s6, s51, 0x2180
	v_add_co_ci_u32_e32 v8, vcc_lo, s9, v3, vcc_lo
	s_ashr_i32 s7, s6, 31
	s_delay_alu instid0(SALU_CYCLE_1)
	s_lshl_b64 s[18:19], s[6:7], 1
	s_cmpk_lt_i32 s50, 0x4500
	v_add_co_u32 v9, vcc_lo, v1, s18
	s_cselect_b32 s6, s51, 0x2200
	v_add_co_ci_u32_e32 v10, vcc_lo, s19, v3, vcc_lo
	s_ashr_i32 s7, s6, 31
	s_delay_alu instid0(SALU_CYCLE_1)
	s_lshl_b64 s[24:25], s[6:7], 1
	s_cmpk_lt_i32 s50, 0x4600
	v_add_co_u32 v11, vcc_lo, v1, s24
	s_cselect_b32 s6, s51, 0x2280
	v_add_co_ci_u32_e32 v12, vcc_lo, s25, v3, vcc_lo
	s_ashr_i32 s7, s6, 31
	s_clause 0x3
	global_load_u16 v13, v[5:6], off
	global_load_u16 v14, v[7:8], off
	;; [unrolled: 1-line block ×4, first 2 shown]
	s_lshl_b64 s[6:7], s[6:7], 1
	s_cmpk_lt_i32 s50, 0x4700
	v_add_co_u32 v5, vcc_lo, v1, s6
	s_cselect_b32 s10, s51, 0x2300
	v_add_co_ci_u32_e32 v6, vcc_lo, s7, v3, vcc_lo
	s_ashr_i32 s11, s10, 31
	s_delay_alu instid0(SALU_CYCLE_1)
	s_lshl_b64 s[10:11], s[10:11], 1
	s_cmpk_lt_i32 s50, 0x4800
	v_add_co_u32 v7, vcc_lo, v1, s10
	s_cselect_b32 s20, s51, 0x2380
	v_add_co_ci_u32_e32 v8, vcc_lo, s11, v3, vcc_lo
	s_ashr_i32 s21, s20, 31
	s_delay_alu instid0(SALU_CYCLE_1)
	;; [unrolled: 7-line block ×3, first 2 shown]
	s_lshl_b64 s[30:31], s[20:21], 1
	s_cmpk_lt_i32 s50, 0x4a00
	v_add_co_u32 v11, vcc_lo, v1, s30
	s_cselect_b32 s20, s51, 0x2480
	v_add_co_ci_u32_e32 v12, vcc_lo, s31, v3, vcc_lo
	s_ashr_i32 s21, s20, 31
	s_clause 0x3
	global_load_u16 v17, v[5:6], off
	global_load_u16 v18, v[7:8], off
	;; [unrolled: 1-line block ×4, first 2 shown]
	s_lshl_b64 s[20:21], s[20:21], 1
	s_cmpk_lt_i32 s50, 0x4b00
	v_add_co_u32 v5, vcc_lo, v1, s20
	s_cselect_b32 s26, s51, 0x2500
	v_add_co_ci_u32_e32 v6, vcc_lo, s21, v3, vcc_lo
	s_ashr_i32 s27, s26, 31
	s_delay_alu instid0(SALU_CYCLE_1)
	s_lshl_b64 s[26:27], s[26:27], 1
	s_cmpk_lt_i32 s50, 0x4c00
	v_add_co_u32 v7, vcc_lo, v1, s26
	s_cselect_b32 s28, s51, 0x2580
	v_add_co_ci_u32_e32 v8, vcc_lo, s27, v3, vcc_lo
	s_ashr_i32 s29, s28, 31
	global_load_u16 v21, v[5:6], off
	s_lshl_b64 s[34:35], s[28:29], 1
	s_cmpk_lt_i32 s50, 0x4d00
	v_add_co_u32 v9, vcc_lo, v1, s34
	s_cselect_b32 s28, s51, 0x2600
	v_add_co_ci_u32_e32 v10, vcc_lo, s35, v3, vcc_lo
	s_ashr_i32 s29, s28, 31
	s_delay_alu instid0(SALU_CYCLE_1)
	s_lshl_b64 s[38:39], s[28:29], 1
	s_cmpk_lt_i32 s50, 0x4e00
	v_add_co_u32 v11, vcc_lo, v1, s38
	s_cselect_b32 s28, s51, 0x2680
	v_add_co_ci_u32_e32 v12, vcc_lo, s39, v3, vcc_lo
	s_ashr_i32 s29, s28, 31
	s_clause 0x2
	global_load_u16 v22, v[7:8], off
	global_load_u16 v23, v[9:10], off
	;; [unrolled: 1-line block ×3, first 2 shown]
	s_lshl_b64 s[28:29], s[28:29], 1
	s_cmpk_lt_i32 s50, 0x4f00
	v_add_co_u32 v5, vcc_lo, v1, s28
	s_cselect_b32 s36, s51, 0x2700
	v_add_co_ci_u32_e32 v6, vcc_lo, s29, v3, vcc_lo
	s_ashr_i32 s37, s36, 31
	s_delay_alu instid0(SALU_CYCLE_1)
	s_lshl_b64 s[36:37], s[36:37], 1
	s_cmpk_lt_i32 s50, 0x5000
	v_add_co_u32 v7, vcc_lo, v1, s36
	s_cselect_b32 s40, s51, 0x2780
	v_add_co_ci_u32_e32 v8, vcc_lo, s37, v3, vcc_lo
	s_ashr_i32 s41, s40, 31
	global_load_u16 v25, v[5:6], off
	s_lshl_b64 s[40:41], s[40:41], 1
	global_load_u16 v26, v[7:8], off
	s_cmpk_lt_i32 s50, 0x5100
	v_add_co_u32 v9, vcc_lo, v1, s40
	s_cselect_b32 s42, s51, 0x2800
	v_add_co_ci_u32_e32 v10, vcc_lo, s41, v3, vcc_lo
	s_ashr_i32 s43, s42, 31
	s_delay_alu instid0(SALU_CYCLE_1)
	s_lshl_b64 s[42:43], s[42:43], 1
	global_load_u16 v27, v[9:10], off
	s_cmpk_lt_i32 s50, 0x5200
	v_add_co_u32 v5, vcc_lo, v1, s42
	s_cselect_b32 s44, s51, 0x2880
	v_add_co_ci_u32_e32 v6, vcc_lo, s43, v3, vcc_lo
	s_ashr_i32 s45, s44, 31
	s_delay_alu instid0(SALU_CYCLE_1)
	s_lshl_b64 s[44:45], s[44:45], 1
	s_cmpk_lt_i32 s50, 0x5300
	v_add_co_u32 v7, vcc_lo, v1, s44
	s_cselect_b32 s46, s51, 0x2900
	v_add_co_ci_u32_e32 v8, vcc_lo, s45, v3, vcc_lo
	s_ashr_i32 s47, s46, 31
	global_load_u16 v28, v[5:6], off
	s_lshl_b64 s[46:47], s[46:47], 1
	global_load_u16 v29, v[7:8], off
	s_cmpk_lt_i32 s50, 0x5400
	v_add_co_u32 v9, vcc_lo, v1, s46
	s_cselect_b32 s48, s51, 0x2980
	v_add_co_ci_u32_e32 v10, vcc_lo, s47, v3, vcc_lo
	s_ashr_i32 s49, s48, 31
	s_delay_alu instid0(SALU_CYCLE_1)
	s_lshl_b64 s[48:49], s[48:49], 1
	s_cmpk_lt_i32 s50, 0x5500
	v_add_co_u32 v5, vcc_lo, v1, s48
	s_cselect_b32 s4, s51, 0x2a00
	v_add_co_ci_u32_e32 v6, vcc_lo, s49, v3, vcc_lo
	s_ashr_i32 s5, s4, 31
	global_load_u16 v30, v[9:10], off
	s_lshl_b64 s[4:5], s[4:5], 1
	s_cmpk_lt_i32 s50, 0x5600
	v_add_co_u32 v7, vcc_lo, v1, s4
	s_cselect_b32 s8, s51, 0x2a80
	v_add_co_ci_u32_e32 v8, vcc_lo, s5, v3, vcc_lo
	s_ashr_i32 s9, s8, 31
	global_load_u16 v31, v[5:6], off
	s_lshl_b64 s[6:7], s[8:9], 1
	global_load_u16 v32, v[7:8], off
	s_cmpk_lt_i32 s50, 0x5700
	v_add_co_u32 v5, vcc_lo, v1, s6
	s_cselect_b32 s8, s51, 0x2b00
	v_add_co_ci_u32_e32 v6, vcc_lo, s7, v3, vcc_lo
	s_ashr_i32 s9, s8, 31
	s_delay_alu instid0(SALU_CYCLE_1)
	s_lshl_b64 s[8:9], s[8:9], 1
	s_cmpk_lt_i32 s50, 0x5800
	v_add_co_u32 v7, vcc_lo, v1, s8
	s_cselect_b32 s10, s51, 0x2b80
	v_add_co_ci_u32_e32 v8, vcc_lo, s9, v3, vcc_lo
	s_ashr_i32 s11, s10, 31
	global_load_u16 v33, v[5:6], off
	s_lshl_b64 s[10:11], s[10:11], 1
	global_load_u16 v34, v[7:8], off
	s_cmpk_lt_i32 s50, 0x5900
	v_add_co_u32 v5, vcc_lo, v1, s10
	s_cselect_b32 s18, s51, 0x2c00
	v_add_co_ci_u32_e32 v6, vcc_lo, s11, v3, vcc_lo
	s_ashr_i32 s19, s18, 31
	s_delay_alu instid0(SALU_CYCLE_1)
	;; [unrolled: 15-line block ×5, first 2 shown]
	s_lshl_b64 s[4:5], s[8:9], 1
	s_cmpk_lt_i32 s50, 0x6000
	v_add_co_u32 v7, vcc_lo, v1, s4
	s_cselect_b32 s6, s51, 0x2f80
	v_add_co_ci_u32_e32 v8, vcc_lo, s5, v3, vcc_lo
	s_ashr_i32 s7, s6, 31
	global_load_u16 v41, v[5:6], off
	s_lshl_b64 s[4:5], s[6:7], 1
	global_load_u16 v42, v[7:8], off
	v_add_co_u32 v5, vcc_lo, v1, s4
	v_add_co_ci_u32_e32 v6, vcc_lo, s5, v3, vcc_lo
	global_load_u16 v43, v[5:6], off
	ds_load_b128 v[5:8], v44 offset:256
	ds_load_b128 v[9:12], v44 offset:272
	s_waitcnt vmcnt(31)
	v_lshlrev_b32_e32 v2, 16, v2
	s_waitcnt lgkmcnt(1)
	s_delay_alu instid0(VALU_DEP_1) | instskip(SKIP_2) | instid1(VALU_DEP_1)
	v_fmac_f32_e32 v4, v5, v2
	s_waitcnt vmcnt(30)
	v_lshlrev_b32_e32 v2, 16, v13
	v_fmac_f32_e32 v4, v6, v2
	s_waitcnt vmcnt(29)
	v_lshlrev_b32_e32 v2, 16, v14
	s_delay_alu instid0(VALU_DEP_1) | instskip(SKIP_2) | instid1(VALU_DEP_1)
	v_fmac_f32_e32 v4, v7, v2
	s_waitcnt vmcnt(28)
	v_lshlrev_b32_e32 v2, 16, v15
	v_fmac_f32_e32 v4, v8, v2
	s_waitcnt vmcnt(27)
	v_lshlrev_b32_e32 v2, 16, v16
	ds_load_b128 v[5:8], v44 offset:288
	s_waitcnt lgkmcnt(1)
	v_fmac_f32_e32 v4, v9, v2
	s_waitcnt vmcnt(26)
	v_lshlrev_b32_e32 v2, 16, v17
	s_delay_alu instid0(VALU_DEP_1) | instskip(SKIP_2) | instid1(VALU_DEP_1)
	v_fmac_f32_e32 v4, v10, v2
	s_waitcnt vmcnt(25)
	v_lshlrev_b32_e32 v2, 16, v18
	v_fmac_f32_e32 v4, v11, v2
	s_waitcnt vmcnt(24)
	v_lshlrev_b32_e32 v2, 16, v19
	s_delay_alu instid0(VALU_DEP_1) | instskip(SKIP_4) | instid1(VALU_DEP_1)
	v_fmac_f32_e32 v4, v12, v2
	ds_load_b128 v[9:12], v44 offset:304
	s_waitcnt vmcnt(23)
	v_lshlrev_b32_e32 v2, 16, v20
	s_waitcnt lgkmcnt(1)
	v_fmac_f32_e32 v4, v5, v2
	s_waitcnt vmcnt(22)
	v_lshlrev_b32_e32 v2, 16, v21
	s_delay_alu instid0(VALU_DEP_1) | instskip(SKIP_2) | instid1(VALU_DEP_1)
	v_fmac_f32_e32 v4, v6, v2
	s_waitcnt vmcnt(21)
	v_lshlrev_b32_e32 v2, 16, v22
	v_fmac_f32_e32 v4, v7, v2
	s_waitcnt vmcnt(20)
	v_lshlrev_b32_e32 v2, 16, v23
	s_delay_alu instid0(VALU_DEP_1)
	v_fmac_f32_e32 v4, v8, v2
	s_waitcnt vmcnt(19)
	v_lshlrev_b32_e32 v2, 16, v24
	ds_load_b128 v[5:8], v44 offset:320
	s_waitcnt lgkmcnt(1)
	v_fmac_f32_e32 v4, v9, v2
	s_waitcnt vmcnt(18)
	v_lshlrev_b32_e32 v2, 16, v25
	s_delay_alu instid0(VALU_DEP_1) | instskip(SKIP_2) | instid1(VALU_DEP_1)
	v_fmac_f32_e32 v4, v10, v2
	s_waitcnt vmcnt(17)
	v_lshlrev_b32_e32 v2, 16, v26
	v_fmac_f32_e32 v4, v11, v2
	s_waitcnt vmcnt(16)
	v_lshlrev_b32_e32 v2, 16, v27
	s_delay_alu instid0(VALU_DEP_1) | instskip(SKIP_4) | instid1(VALU_DEP_1)
	v_fmac_f32_e32 v4, v12, v2
	ds_load_b128 v[9:12], v44 offset:336
	s_waitcnt vmcnt(15)
	v_lshlrev_b32_e32 v2, 16, v28
	s_waitcnt lgkmcnt(1)
	v_fmac_f32_e32 v4, v5, v2
	s_waitcnt vmcnt(14)
	v_lshlrev_b32_e32 v2, 16, v29
	s_delay_alu instid0(VALU_DEP_1) | instskip(SKIP_2) | instid1(VALU_DEP_1)
	v_fmac_f32_e32 v4, v6, v2
	s_waitcnt vmcnt(13)
	v_lshlrev_b32_e32 v2, 16, v30
	v_fmac_f32_e32 v4, v7, v2
	s_waitcnt vmcnt(12)
	v_lshlrev_b32_e32 v2, 16, v31
	s_delay_alu instid0(VALU_DEP_1)
	v_fmac_f32_e32 v4, v8, v2
	s_waitcnt vmcnt(11)
	v_lshlrev_b32_e32 v2, 16, v32
	ds_load_b128 v[5:8], v44 offset:352
	s_waitcnt lgkmcnt(1)
	v_fmac_f32_e32 v4, v9, v2
	s_waitcnt vmcnt(10)
	v_lshlrev_b32_e32 v2, 16, v33
	s_delay_alu instid0(VALU_DEP_1) | instskip(SKIP_2) | instid1(VALU_DEP_1)
	v_fmac_f32_e32 v4, v10, v2
	s_waitcnt vmcnt(9)
	v_lshlrev_b32_e32 v2, 16, v34
	v_fmac_f32_e32 v4, v11, v2
	s_waitcnt vmcnt(8)
	v_lshlrev_b32_e32 v2, 16, v35
	s_delay_alu instid0(VALU_DEP_1) | instskip(SKIP_4) | instid1(VALU_DEP_1)
	v_fmac_f32_e32 v4, v12, v2
	ds_load_b128 v[9:12], v44 offset:368
	s_waitcnt vmcnt(7)
	v_lshlrev_b32_e32 v2, 16, v36
	s_waitcnt lgkmcnt(1)
	v_fmac_f32_e32 v4, v5, v2
	s_waitcnt vmcnt(6)
	v_lshlrev_b32_e32 v2, 16, v37
	s_delay_alu instid0(VALU_DEP_1) | instskip(SKIP_2) | instid1(VALU_DEP_1)
	v_fmac_f32_e32 v4, v6, v2
	s_waitcnt vmcnt(5)
	v_lshlrev_b32_e32 v2, 16, v38
	v_fmac_f32_e32 v4, v7, v2
	s_waitcnt vmcnt(4)
	v_lshlrev_b32_e32 v2, 16, v39
	s_delay_alu instid0(VALU_DEP_1) | instskip(SKIP_3) | instid1(VALU_DEP_1)
	v_fmac_f32_e32 v4, v8, v2
	s_waitcnt vmcnt(3)
	v_lshlrev_b32_e32 v2, 16, v40
	s_waitcnt lgkmcnt(0)
	v_fmac_f32_e32 v4, v9, v2
	s_waitcnt vmcnt(2)
	v_lshlrev_b32_e32 v2, 16, v41
	s_delay_alu instid0(VALU_DEP_1) | instskip(SKIP_2) | instid1(VALU_DEP_1)
	v_fmac_f32_e32 v4, v10, v2
	s_waitcnt vmcnt(1)
	v_lshlrev_b32_e32 v2, 16, v42
	v_fmac_f32_e32 v4, v11, v2
	s_waitcnt vmcnt(0)
	v_lshlrev_b32_e32 v2, 16, v43
	s_delay_alu instid0(VALU_DEP_1)
	v_fmac_f32_e32 v4, v12, v2
	s_cmpk_lt_i32 s50, 0x6100
	s_cbranch_scc1 .LBB598_15
.LBB598_27:
	s_cmpk_lt_i32 s50, 0x6200
	v_add_co_u32 v5, vcc_lo, 0x6000, v1
	s_cselect_b32 s4, s51, 0x3080
	v_add_co_ci_u32_e32 v6, vcc_lo, 0, v3, vcc_lo
	s_ashr_i32 s5, s4, 31
	v_mov_b32_e32 v44, 0
	s_lshl_b64 s[4:5], s[4:5], 1
	s_cmpk_lt_i32 s50, 0x6300
	global_load_u16 v2, v[5:6], off
	s_cselect_b32 s6, s51, 0x3100
	v_add_co_u32 v5, vcc_lo, v1, s4
	s_ashr_i32 s7, s6, 31
	v_add_co_ci_u32_e32 v6, vcc_lo, s5, v3, vcc_lo
	s_lshl_b64 s[8:9], s[6:7], 1
	s_cmpk_lt_i32 s50, 0x6400
	v_add_co_u32 v7, vcc_lo, v1, s8
	s_cselect_b32 s6, s51, 0x3180
	v_add_co_ci_u32_e32 v8, vcc_lo, s9, v3, vcc_lo
	s_ashr_i32 s7, s6, 31
	s_delay_alu instid0(SALU_CYCLE_1)
	s_lshl_b64 s[18:19], s[6:7], 1
	s_cmpk_lt_i32 s50, 0x6500
	v_add_co_u32 v9, vcc_lo, v1, s18
	s_cselect_b32 s6, s51, 0x3200
	v_add_co_ci_u32_e32 v10, vcc_lo, s19, v3, vcc_lo
	s_ashr_i32 s7, s6, 31
	s_delay_alu instid0(SALU_CYCLE_1)
	s_lshl_b64 s[24:25], s[6:7], 1
	s_cmpk_lt_i32 s50, 0x6600
	v_add_co_u32 v11, vcc_lo, v1, s24
	s_cselect_b32 s6, s51, 0x3280
	v_add_co_ci_u32_e32 v12, vcc_lo, s25, v3, vcc_lo
	s_ashr_i32 s7, s6, 31
	s_clause 0x3
	global_load_u16 v13, v[5:6], off
	global_load_u16 v14, v[7:8], off
	;; [unrolled: 1-line block ×4, first 2 shown]
	s_lshl_b64 s[6:7], s[6:7], 1
	s_cmpk_lt_i32 s50, 0x6700
	v_add_co_u32 v5, vcc_lo, v1, s6
	s_cselect_b32 s10, s51, 0x3300
	v_add_co_ci_u32_e32 v6, vcc_lo, s7, v3, vcc_lo
	s_ashr_i32 s11, s10, 31
	s_delay_alu instid0(SALU_CYCLE_1)
	s_lshl_b64 s[10:11], s[10:11], 1
	s_cmpk_lt_i32 s50, 0x6800
	v_add_co_u32 v7, vcc_lo, v1, s10
	s_cselect_b32 s20, s51, 0x3380
	v_add_co_ci_u32_e32 v8, vcc_lo, s11, v3, vcc_lo
	s_ashr_i32 s21, s20, 31
	s_delay_alu instid0(SALU_CYCLE_1)
	;; [unrolled: 7-line block ×3, first 2 shown]
	s_lshl_b64 s[30:31], s[20:21], 1
	s_cmpk_lt_i32 s50, 0x6a00
	v_add_co_u32 v11, vcc_lo, v1, s30
	s_cselect_b32 s20, s51, 0x3480
	v_add_co_ci_u32_e32 v12, vcc_lo, s31, v3, vcc_lo
	s_ashr_i32 s21, s20, 31
	s_clause 0x3
	global_load_u16 v17, v[5:6], off
	global_load_u16 v18, v[7:8], off
	;; [unrolled: 1-line block ×4, first 2 shown]
	s_lshl_b64 s[20:21], s[20:21], 1
	s_cmpk_lt_i32 s50, 0x6b00
	v_add_co_u32 v5, vcc_lo, v1, s20
	s_cselect_b32 s26, s51, 0x3500
	v_add_co_ci_u32_e32 v6, vcc_lo, s21, v3, vcc_lo
	s_ashr_i32 s27, s26, 31
	s_delay_alu instid0(SALU_CYCLE_1)
	s_lshl_b64 s[26:27], s[26:27], 1
	s_cmpk_lt_i32 s50, 0x6c00
	v_add_co_u32 v7, vcc_lo, v1, s26
	s_cselect_b32 s28, s51, 0x3580
	v_add_co_ci_u32_e32 v8, vcc_lo, s27, v3, vcc_lo
	s_ashr_i32 s29, s28, 31
	global_load_u16 v21, v[5:6], off
	s_lshl_b64 s[34:35], s[28:29], 1
	s_cmpk_lt_i32 s50, 0x6d00
	v_add_co_u32 v9, vcc_lo, v1, s34
	s_cselect_b32 s28, s51, 0x3600
	v_add_co_ci_u32_e32 v10, vcc_lo, s35, v3, vcc_lo
	s_ashr_i32 s29, s28, 31
	s_delay_alu instid0(SALU_CYCLE_1)
	s_lshl_b64 s[38:39], s[28:29], 1
	s_cmpk_lt_i32 s50, 0x6e00
	v_add_co_u32 v11, vcc_lo, v1, s38
	s_cselect_b32 s28, s51, 0x3680
	v_add_co_ci_u32_e32 v12, vcc_lo, s39, v3, vcc_lo
	s_ashr_i32 s29, s28, 31
	s_clause 0x2
	global_load_u16 v22, v[7:8], off
	global_load_u16 v23, v[9:10], off
	global_load_u16 v24, v[11:12], off
	s_lshl_b64 s[28:29], s[28:29], 1
	s_cmpk_lt_i32 s50, 0x6f00
	v_add_co_u32 v5, vcc_lo, v1, s28
	s_cselect_b32 s36, s51, 0x3700
	v_add_co_ci_u32_e32 v6, vcc_lo, s29, v3, vcc_lo
	s_ashr_i32 s37, s36, 31
	s_delay_alu instid0(SALU_CYCLE_1)
	s_lshl_b64 s[36:37], s[36:37], 1
	s_cmpk_lt_i32 s50, 0x7000
	v_add_co_u32 v7, vcc_lo, v1, s36
	s_cselect_b32 s40, s51, 0x3780
	v_add_co_ci_u32_e32 v8, vcc_lo, s37, v3, vcc_lo
	s_ashr_i32 s41, s40, 31
	global_load_u16 v25, v[5:6], off
	s_lshl_b64 s[40:41], s[40:41], 1
	global_load_u16 v26, v[7:8], off
	s_cmpk_lt_i32 s50, 0x7100
	v_add_co_u32 v9, vcc_lo, v1, s40
	s_cselect_b32 s42, s51, 0x3800
	v_add_co_ci_u32_e32 v10, vcc_lo, s41, v3, vcc_lo
	s_ashr_i32 s43, s42, 31
	s_delay_alu instid0(SALU_CYCLE_1)
	s_lshl_b64 s[42:43], s[42:43], 1
	global_load_u16 v27, v[9:10], off
	s_cmpk_lt_i32 s50, 0x7200
	v_add_co_u32 v5, vcc_lo, v1, s42
	s_cselect_b32 s44, s51, 0x3880
	v_add_co_ci_u32_e32 v6, vcc_lo, s43, v3, vcc_lo
	s_ashr_i32 s45, s44, 31
	s_delay_alu instid0(SALU_CYCLE_1)
	s_lshl_b64 s[44:45], s[44:45], 1
	s_cmpk_lt_i32 s50, 0x7300
	v_add_co_u32 v7, vcc_lo, v1, s44
	s_cselect_b32 s46, s51, 0x3900
	v_add_co_ci_u32_e32 v8, vcc_lo, s45, v3, vcc_lo
	s_ashr_i32 s47, s46, 31
	global_load_u16 v28, v[5:6], off
	s_lshl_b64 s[46:47], s[46:47], 1
	global_load_u16 v29, v[7:8], off
	s_cmpk_lt_i32 s50, 0x7400
	v_add_co_u32 v9, vcc_lo, v1, s46
	s_cselect_b32 s48, s51, 0x3980
	v_add_co_ci_u32_e32 v10, vcc_lo, s47, v3, vcc_lo
	s_ashr_i32 s49, s48, 31
	s_delay_alu instid0(SALU_CYCLE_1)
	s_lshl_b64 s[48:49], s[48:49], 1
	s_cmpk_lt_i32 s50, 0x7500
	v_add_co_u32 v5, vcc_lo, v1, s48
	s_cselect_b32 s4, s51, 0x3a00
	v_add_co_ci_u32_e32 v6, vcc_lo, s49, v3, vcc_lo
	s_ashr_i32 s5, s4, 31
	global_load_u16 v30, v[9:10], off
	s_lshl_b64 s[4:5], s[4:5], 1
	s_cmpk_lt_i32 s50, 0x7600
	v_add_co_u32 v7, vcc_lo, v1, s4
	s_cselect_b32 s8, s51, 0x3a80
	v_add_co_ci_u32_e32 v8, vcc_lo, s5, v3, vcc_lo
	s_ashr_i32 s9, s8, 31
	global_load_u16 v31, v[5:6], off
	s_lshl_b64 s[6:7], s[8:9], 1
	global_load_u16 v32, v[7:8], off
	s_cmpk_lt_i32 s50, 0x7700
	v_add_co_u32 v5, vcc_lo, v1, s6
	s_cselect_b32 s8, s51, 0x3b00
	v_add_co_ci_u32_e32 v6, vcc_lo, s7, v3, vcc_lo
	s_ashr_i32 s9, s8, 31
	s_delay_alu instid0(SALU_CYCLE_1)
	s_lshl_b64 s[8:9], s[8:9], 1
	s_cmpk_lt_i32 s50, 0x7800
	v_add_co_u32 v7, vcc_lo, v1, s8
	s_cselect_b32 s10, s51, 0x3b80
	v_add_co_ci_u32_e32 v8, vcc_lo, s9, v3, vcc_lo
	s_ashr_i32 s11, s10, 31
	global_load_u16 v33, v[5:6], off
	s_lshl_b64 s[10:11], s[10:11], 1
	global_load_u16 v34, v[7:8], off
	s_cmpk_lt_i32 s50, 0x7900
	v_add_co_u32 v5, vcc_lo, v1, s10
	s_cselect_b32 s18, s51, 0x3c00
	v_add_co_ci_u32_e32 v6, vcc_lo, s11, v3, vcc_lo
	s_ashr_i32 s19, s18, 31
	s_delay_alu instid0(SALU_CYCLE_1)
	;; [unrolled: 15-line block ×5, first 2 shown]
	s_lshl_b64 s[4:5], s[8:9], 1
	s_cmp_lt_i32 s50, 0x8000
	v_add_co_u32 v7, vcc_lo, v1, s4
	s_cselect_b32 s6, s51, 0x3f80
	v_add_co_ci_u32_e32 v8, vcc_lo, s5, v3, vcc_lo
	s_ashr_i32 s7, s6, 31
	global_load_u16 v41, v[5:6], off
	s_lshl_b64 s[4:5], s[6:7], 1
	global_load_u16 v42, v[7:8], off
	v_add_co_u32 v5, vcc_lo, v1, s4
	v_add_co_ci_u32_e32 v6, vcc_lo, s5, v3, vcc_lo
	global_load_u16 v43, v[5:6], off
	ds_load_b128 v[5:8], v44 offset:384
	ds_load_b128 v[9:12], v44 offset:400
	s_waitcnt vmcnt(31)
	v_lshlrev_b32_e32 v2, 16, v2
	s_waitcnt lgkmcnt(1)
	s_delay_alu instid0(VALU_DEP_1) | instskip(SKIP_2) | instid1(VALU_DEP_1)
	v_fmac_f32_e32 v4, v5, v2
	s_waitcnt vmcnt(30)
	v_lshlrev_b32_e32 v2, 16, v13
	v_fmac_f32_e32 v4, v6, v2
	s_waitcnt vmcnt(29)
	v_lshlrev_b32_e32 v2, 16, v14
	s_delay_alu instid0(VALU_DEP_1) | instskip(SKIP_2) | instid1(VALU_DEP_1)
	v_fmac_f32_e32 v4, v7, v2
	s_waitcnt vmcnt(28)
	v_lshlrev_b32_e32 v2, 16, v15
	v_fmac_f32_e32 v4, v8, v2
	s_waitcnt vmcnt(27)
	v_lshlrev_b32_e32 v2, 16, v16
	ds_load_b128 v[5:8], v44 offset:416
	s_waitcnt lgkmcnt(1)
	v_fmac_f32_e32 v4, v9, v2
	s_waitcnt vmcnt(26)
	v_lshlrev_b32_e32 v2, 16, v17
	s_delay_alu instid0(VALU_DEP_1) | instskip(SKIP_2) | instid1(VALU_DEP_1)
	v_fmac_f32_e32 v4, v10, v2
	s_waitcnt vmcnt(25)
	v_lshlrev_b32_e32 v2, 16, v18
	v_fmac_f32_e32 v4, v11, v2
	s_waitcnt vmcnt(24)
	v_lshlrev_b32_e32 v2, 16, v19
	s_delay_alu instid0(VALU_DEP_1) | instskip(SKIP_4) | instid1(VALU_DEP_1)
	v_fmac_f32_e32 v4, v12, v2
	ds_load_b128 v[9:12], v44 offset:432
	s_waitcnt vmcnt(23)
	v_lshlrev_b32_e32 v2, 16, v20
	s_waitcnt lgkmcnt(1)
	v_fmac_f32_e32 v4, v5, v2
	s_waitcnt vmcnt(22)
	v_lshlrev_b32_e32 v2, 16, v21
	s_delay_alu instid0(VALU_DEP_1) | instskip(SKIP_2) | instid1(VALU_DEP_1)
	v_fmac_f32_e32 v4, v6, v2
	s_waitcnt vmcnt(21)
	v_lshlrev_b32_e32 v2, 16, v22
	v_fmac_f32_e32 v4, v7, v2
	s_waitcnt vmcnt(20)
	v_lshlrev_b32_e32 v2, 16, v23
	s_delay_alu instid0(VALU_DEP_1)
	v_fmac_f32_e32 v4, v8, v2
	s_waitcnt vmcnt(19)
	v_lshlrev_b32_e32 v2, 16, v24
	ds_load_b128 v[5:8], v44 offset:448
	s_waitcnt lgkmcnt(1)
	v_fmac_f32_e32 v4, v9, v2
	s_waitcnt vmcnt(18)
	v_lshlrev_b32_e32 v2, 16, v25
	s_delay_alu instid0(VALU_DEP_1) | instskip(SKIP_2) | instid1(VALU_DEP_1)
	v_fmac_f32_e32 v4, v10, v2
	s_waitcnt vmcnt(17)
	v_lshlrev_b32_e32 v2, 16, v26
	v_fmac_f32_e32 v4, v11, v2
	s_waitcnt vmcnt(16)
	v_lshlrev_b32_e32 v2, 16, v27
	s_delay_alu instid0(VALU_DEP_1) | instskip(SKIP_4) | instid1(VALU_DEP_1)
	v_fmac_f32_e32 v4, v12, v2
	ds_load_b128 v[9:12], v44 offset:464
	s_waitcnt vmcnt(15)
	v_lshlrev_b32_e32 v2, 16, v28
	s_waitcnt lgkmcnt(1)
	v_fmac_f32_e32 v4, v5, v2
	s_waitcnt vmcnt(14)
	v_lshlrev_b32_e32 v2, 16, v29
	s_delay_alu instid0(VALU_DEP_1) | instskip(SKIP_2) | instid1(VALU_DEP_1)
	v_fmac_f32_e32 v4, v6, v2
	s_waitcnt vmcnt(13)
	v_lshlrev_b32_e32 v2, 16, v30
	v_fmac_f32_e32 v4, v7, v2
	s_waitcnt vmcnt(12)
	v_lshlrev_b32_e32 v2, 16, v31
	s_delay_alu instid0(VALU_DEP_1)
	v_fmac_f32_e32 v4, v8, v2
	s_waitcnt vmcnt(11)
	v_lshlrev_b32_e32 v2, 16, v32
	ds_load_b128 v[5:8], v44 offset:480
	s_waitcnt lgkmcnt(1)
	v_fmac_f32_e32 v4, v9, v2
	s_waitcnt vmcnt(10)
	v_lshlrev_b32_e32 v2, 16, v33
	s_delay_alu instid0(VALU_DEP_1) | instskip(SKIP_2) | instid1(VALU_DEP_1)
	v_fmac_f32_e32 v4, v10, v2
	s_waitcnt vmcnt(9)
	v_lshlrev_b32_e32 v2, 16, v34
	v_fmac_f32_e32 v4, v11, v2
	s_waitcnt vmcnt(8)
	v_lshlrev_b32_e32 v2, 16, v35
	s_delay_alu instid0(VALU_DEP_1) | instskip(SKIP_4) | instid1(VALU_DEP_1)
	v_fmac_f32_e32 v4, v12, v2
	ds_load_b128 v[9:12], v44 offset:496
	s_waitcnt vmcnt(7)
	v_lshlrev_b32_e32 v2, 16, v36
	s_waitcnt lgkmcnt(1)
	v_fmac_f32_e32 v4, v5, v2
	s_waitcnt vmcnt(6)
	v_lshlrev_b32_e32 v2, 16, v37
	s_delay_alu instid0(VALU_DEP_1) | instskip(SKIP_2) | instid1(VALU_DEP_1)
	v_fmac_f32_e32 v4, v6, v2
	s_waitcnt vmcnt(5)
	v_lshlrev_b32_e32 v2, 16, v38
	v_fmac_f32_e32 v4, v7, v2
	s_waitcnt vmcnt(4)
	v_lshlrev_b32_e32 v2, 16, v39
	s_delay_alu instid0(VALU_DEP_1) | instskip(SKIP_3) | instid1(VALU_DEP_1)
	v_fmac_f32_e32 v4, v8, v2
	s_waitcnt vmcnt(3)
	v_lshlrev_b32_e32 v2, 16, v40
	s_waitcnt lgkmcnt(0)
	v_fmac_f32_e32 v4, v9, v2
	s_waitcnt vmcnt(2)
	v_lshlrev_b32_e32 v2, 16, v41
	s_delay_alu instid0(VALU_DEP_1) | instskip(SKIP_2) | instid1(VALU_DEP_1)
	v_fmac_f32_e32 v4, v10, v2
	s_waitcnt vmcnt(1)
	v_lshlrev_b32_e32 v2, 16, v42
	v_fmac_f32_e32 v4, v11, v2
	s_waitcnt vmcnt(0)
	v_lshlrev_b32_e32 v2, 16, v43
	s_delay_alu instid0(VALU_DEP_1)
	v_fmac_f32_e32 v4, v12, v2
	s_cmp_lt_i32 s50, 0x8100
	s_cbranch_scc1 .LBB598_16
.LBB598_28:
	s_cmp_lt_i32 s50, 0x8200
	v_add_co_u32 v5, vcc_lo, 0x8000, v1
	s_cselect_b32 s4, s51, 0x4080
	v_add_co_ci_u32_e32 v6, vcc_lo, 0, v3, vcc_lo
	s_ashr_i32 s5, s4, 31
	s_delay_alu instid0(SALU_CYCLE_1)
	s_lshl_b64 s[4:5], s[4:5], 1
	s_cmp_lt_i32 s50, 0x8300
	global_load_u16 v13, v[5:6], off
	s_cselect_b32 s6, s51, 0x4100
	v_add_co_u32 v5, vcc_lo, v1, s4
	s_ashr_i32 s7, s6, 31
	v_add_co_ci_u32_e32 v6, vcc_lo, s5, v3, vcc_lo
	s_lshl_b64 s[8:9], s[6:7], 1
	s_cmp_lt_i32 s50, 0x8400
	v_add_co_u32 v7, vcc_lo, v1, s8
	s_cselect_b32 s6, s51, 0x4180
	v_add_co_ci_u32_e32 v8, vcc_lo, s9, v3, vcc_lo
	s_ashr_i32 s7, s6, 31
	s_delay_alu instid0(SALU_CYCLE_1)
	s_lshl_b64 s[18:19], s[6:7], 1
	s_cmp_lt_i32 s50, 0x8500
	v_add_co_u32 v9, vcc_lo, v1, s18
	s_cselect_b32 s6, s51, 0x4200
	v_add_co_ci_u32_e32 v10, vcc_lo, s19, v3, vcc_lo
	s_ashr_i32 s7, s6, 31
	s_delay_alu instid0(SALU_CYCLE_1)
	s_lshl_b64 s[24:25], s[6:7], 1
	s_cmp_lt_i32 s50, 0x8600
	v_add_co_u32 v11, vcc_lo, v1, s24
	s_cselect_b32 s6, s51, 0x4280
	v_add_co_ci_u32_e32 v12, vcc_lo, s25, v3, vcc_lo
	s_ashr_i32 s7, s6, 31
	s_clause 0x3
	global_load_u16 v14, v[5:6], off
	global_load_u16 v15, v[7:8], off
	;; [unrolled: 1-line block ×4, first 2 shown]
	s_lshl_b64 s[6:7], s[6:7], 1
	s_cmp_lt_i32 s50, 0x8700
	v_add_co_u32 v5, vcc_lo, v1, s6
	s_cselect_b32 s10, s51, 0x4300
	v_add_co_ci_u32_e32 v6, vcc_lo, s7, v3, vcc_lo
	s_ashr_i32 s11, s10, 31
	s_delay_alu instid0(SALU_CYCLE_1)
	s_lshl_b64 s[10:11], s[10:11], 1
	s_cmp_lt_i32 s50, 0x8800
	v_add_co_u32 v7, vcc_lo, v1, s10
	s_cselect_b32 s20, s51, 0x4380
	v_add_co_ci_u32_e32 v8, vcc_lo, s11, v3, vcc_lo
	s_ashr_i32 s21, s20, 31
	s_delay_alu instid0(SALU_CYCLE_1)
	;; [unrolled: 7-line block ×3, first 2 shown]
	s_lshl_b64 s[30:31], s[20:21], 1
	s_cmp_lt_i32 s50, 0x8a00
	v_add_co_u32 v11, vcc_lo, v1, s30
	s_cselect_b32 s20, s51, 0x4480
	v_add_co_ci_u32_e32 v12, vcc_lo, s31, v3, vcc_lo
	s_ashr_i32 s21, s20, 31
	s_clause 0x3
	global_load_u16 v18, v[5:6], off
	global_load_u16 v19, v[7:8], off
	;; [unrolled: 1-line block ×4, first 2 shown]
	s_lshl_b64 s[20:21], s[20:21], 1
	s_cmp_lt_i32 s50, 0x8b00
	v_add_co_u32 v5, vcc_lo, v1, s20
	s_cselect_b32 s26, s51, 0x4500
	v_add_co_ci_u32_e32 v6, vcc_lo, s21, v3, vcc_lo
	s_ashr_i32 s27, s26, 31
	s_delay_alu instid0(SALU_CYCLE_1)
	s_lshl_b64 s[26:27], s[26:27], 1
	s_cmp_lt_i32 s50, 0x8c00
	v_add_co_u32 v7, vcc_lo, v1, s26
	s_cselect_b32 s28, s51, 0x4580
	v_add_co_ci_u32_e32 v8, vcc_lo, s27, v3, vcc_lo
	s_ashr_i32 s29, s28, 31
	global_load_u16 v22, v[5:6], off
	s_lshl_b64 s[34:35], s[28:29], 1
	s_cmp_lt_i32 s50, 0x8d00
	v_add_co_u32 v9, vcc_lo, v1, s34
	s_cselect_b32 s28, s51, 0x4600
	v_add_co_ci_u32_e32 v10, vcc_lo, s35, v3, vcc_lo
	s_ashr_i32 s29, s28, 31
	s_delay_alu instid0(SALU_CYCLE_1)
	s_lshl_b64 s[38:39], s[28:29], 1
	s_cmp_lt_i32 s50, 0x8e00
	v_add_co_u32 v11, vcc_lo, v1, s38
	s_cselect_b32 s28, s51, 0x4680
	v_add_co_ci_u32_e32 v12, vcc_lo, s39, v3, vcc_lo
	s_ashr_i32 s29, s28, 31
	s_clause 0x2
	global_load_u16 v23, v[7:8], off
	global_load_u16 v24, v[9:10], off
	;; [unrolled: 1-line block ×3, first 2 shown]
	s_lshl_b64 s[28:29], s[28:29], 1
	s_cmp_lt_i32 s50, 0x8f00
	v_add_co_u32 v5, vcc_lo, v1, s28
	s_cselect_b32 s36, s51, 0x4700
	v_add_co_ci_u32_e32 v6, vcc_lo, s29, v3, vcc_lo
	s_ashr_i32 s37, s36, 31
	s_delay_alu instid0(SALU_CYCLE_1)
	s_lshl_b64 s[36:37], s[36:37], 1
	s_cmp_lt_i32 s50, 0x9000
	v_add_co_u32 v7, vcc_lo, v1, s36
	s_cselect_b32 s40, s51, 0x4780
	v_add_co_ci_u32_e32 v8, vcc_lo, s37, v3, vcc_lo
	s_ashr_i32 s41, s40, 31
	global_load_u16 v26, v[5:6], off
	s_lshl_b64 s[40:41], s[40:41], 1
	global_load_u16 v27, v[7:8], off
	s_cmp_lt_i32 s50, 0x9100
	v_add_co_u32 v9, vcc_lo, v1, s40
	s_cselect_b32 s42, s51, 0x4800
	v_add_co_ci_u32_e32 v10, vcc_lo, s41, v3, vcc_lo
	s_ashr_i32 s43, s42, 31
	s_delay_alu instid0(SALU_CYCLE_1)
	s_lshl_b64 s[42:43], s[42:43], 1
	global_load_u16 v28, v[9:10], off
	s_cmp_lt_i32 s50, 0x9200
	v_add_co_u32 v5, vcc_lo, v1, s42
	s_cselect_b32 s44, s51, 0x4880
	v_add_co_ci_u32_e32 v6, vcc_lo, s43, v3, vcc_lo
	s_ashr_i32 s45, s44, 31
	s_delay_alu instid0(SALU_CYCLE_1)
	s_lshl_b64 s[44:45], s[44:45], 1
	s_cmp_lt_i32 s50, 0x9300
	v_add_co_u32 v7, vcc_lo, v1, s44
	s_cselect_b32 s46, s51, 0x4900
	v_add_co_ci_u32_e32 v8, vcc_lo, s45, v3, vcc_lo
	s_ashr_i32 s47, s46, 31
	global_load_u16 v29, v[5:6], off
	s_lshl_b64 s[46:47], s[46:47], 1
	global_load_u16 v30, v[7:8], off
	s_cmp_lt_i32 s50, 0x9400
	v_add_co_u32 v9, vcc_lo, v1, s46
	s_cselect_b32 s48, s51, 0x4980
	v_add_co_ci_u32_e32 v10, vcc_lo, s47, v3, vcc_lo
	s_ashr_i32 s49, s48, 31
	s_delay_alu instid0(SALU_CYCLE_1)
	s_lshl_b64 s[48:49], s[48:49], 1
	global_load_u16 v31, v[9:10], off
	s_cmp_lt_i32 s50, 0x9500
	v_add_co_u32 v5, vcc_lo, v1, s48
	s_cselect_b32 s4, s51, 0x4a00
	v_add_co_ci_u32_e32 v6, vcc_lo, s49, v3, vcc_lo
	s_ashr_i32 s5, s4, 31
	s_delay_alu instid0(SALU_CYCLE_1)
	s_lshl_b64 s[4:5], s[4:5], 1
	s_cmp_lt_i32 s50, 0x9600
	v_add_co_u32 v7, vcc_lo, v1, s4
	s_cselect_b32 s8, s51, 0x4a80
	v_add_co_ci_u32_e32 v8, vcc_lo, s5, v3, vcc_lo
	s_ashr_i32 s9, s8, 31
	global_load_u16 v32, v[5:6], off
	s_lshl_b64 s[6:7], s[8:9], 1
	global_load_u16 v33, v[7:8], off
	s_cmp_lt_i32 s50, 0x9700
	v_add_co_u32 v5, vcc_lo, v1, s6
	s_cselect_b32 s8, s51, 0x4b00
	v_add_co_ci_u32_e32 v6, vcc_lo, s7, v3, vcc_lo
	s_ashr_i32 s9, s8, 31
	s_delay_alu instid0(SALU_CYCLE_1)
	s_lshl_b64 s[8:9], s[8:9], 1
	s_cmp_lt_i32 s50, 0x9800
	v_add_co_u32 v7, vcc_lo, v1, s8
	s_cselect_b32 s10, s51, 0x4b80
	v_add_co_ci_u32_e32 v8, vcc_lo, s9, v3, vcc_lo
	s_ashr_i32 s11, s10, 31
	global_load_u16 v34, v[5:6], off
	;; [unrolled: 15-line block ×6, first 2 shown]
	s_lshl_b64 s[4:5], s[6:7], 1
	global_load_u16 v43, v[7:8], off
	v_add_co_u32 v1, vcc_lo, v1, s4
	v_add_co_ci_u32_e32 v2, vcc_lo, s5, v3, vcc_lo
	global_load_u16 v1, v[1:2], off
	s_waitcnt vmcnt(31)
	v_dual_mov_b32 v2, 0 :: v_dual_lshlrev_b32 v3, 16, v13
	ds_load_b128 v[5:8], v2 offset:512
	ds_load_b128 v[9:12], v2 offset:528
	s_waitcnt vmcnt(30) lgkmcnt(1)
	v_dual_fmac_f32 v4, v5, v3 :: v_dual_lshlrev_b32 v3, 16, v14
	s_delay_alu instid0(VALU_DEP_1) | instskip(SKIP_3) | instid1(VALU_DEP_1)
	v_fmac_f32_e32 v4, v6, v3
	s_waitcnt vmcnt(29)
	v_lshlrev_b32_e32 v3, 16, v15
	s_waitcnt vmcnt(28)
	v_dual_fmac_f32 v4, v7, v3 :: v_dual_lshlrev_b32 v3, 16, v16
	s_waitcnt vmcnt(27)
	s_delay_alu instid0(VALU_DEP_1) | instskip(SKIP_3) | instid1(VALU_DEP_1)
	v_dual_fmac_f32 v4, v8, v3 :: v_dual_lshlrev_b32 v3, 16, v17
	ds_load_b128 v[5:8], v2 offset:544
	s_waitcnt vmcnt(26) lgkmcnt(1)
	v_dual_fmac_f32 v4, v9, v3 :: v_dual_lshlrev_b32 v3, 16, v18
	v_fmac_f32_e32 v4, v10, v3
	s_waitcnt vmcnt(25)
	v_lshlrev_b32_e32 v3, 16, v19
	s_waitcnt vmcnt(24)
	s_delay_alu instid0(VALU_DEP_1) | instskip(SKIP_1) | instid1(VALU_DEP_1)
	v_dual_fmac_f32 v4, v11, v3 :: v_dual_lshlrev_b32 v3, 16, v20
	s_waitcnt vmcnt(23)
	v_dual_fmac_f32 v4, v12, v3 :: v_dual_lshlrev_b32 v3, 16, v21
	ds_load_b128 v[9:12], v2 offset:560
	s_waitcnt vmcnt(22) lgkmcnt(1)
	v_dual_fmac_f32 v4, v5, v3 :: v_dual_lshlrev_b32 v3, 16, v22
	s_delay_alu instid0(VALU_DEP_1) | instskip(SKIP_3) | instid1(VALU_DEP_1)
	v_fmac_f32_e32 v4, v6, v3
	s_waitcnt vmcnt(21)
	v_lshlrev_b32_e32 v3, 16, v23
	s_waitcnt vmcnt(20)
	v_dual_fmac_f32 v4, v7, v3 :: v_dual_lshlrev_b32 v3, 16, v24
	s_waitcnt vmcnt(19)
	s_delay_alu instid0(VALU_DEP_1) | instskip(SKIP_3) | instid1(VALU_DEP_1)
	v_dual_fmac_f32 v4, v8, v3 :: v_dual_lshlrev_b32 v3, 16, v25
	ds_load_b128 v[5:8], v2 offset:576
	s_waitcnt vmcnt(18) lgkmcnt(1)
	v_dual_fmac_f32 v4, v9, v3 :: v_dual_lshlrev_b32 v3, 16, v26
	v_fmac_f32_e32 v4, v10, v3
	s_waitcnt vmcnt(17)
	v_lshlrev_b32_e32 v3, 16, v27
	s_waitcnt vmcnt(16)
	s_delay_alu instid0(VALU_DEP_1) | instskip(NEXT) | instid1(VALU_DEP_1)
	v_dual_fmac_f32 v4, v11, v3 :: v_dual_lshlrev_b32 v3, 16, v28
	v_fmac_f32_e32 v4, v12, v3
	ds_load_b128 v[9:12], v2 offset:592
	s_waitcnt vmcnt(15)
	v_lshlrev_b32_e32 v3, 16, v29
	s_waitcnt vmcnt(14) lgkmcnt(1)
	s_delay_alu instid0(VALU_DEP_1) | instskip(NEXT) | instid1(VALU_DEP_1)
	v_dual_fmac_f32 v4, v5, v3 :: v_dual_lshlrev_b32 v3, 16, v30
	v_fmac_f32_e32 v4, v6, v3
	s_waitcnt vmcnt(13)
	v_lshlrev_b32_e32 v3, 16, v31
	s_waitcnt vmcnt(12)
	s_delay_alu instid0(VALU_DEP_1) | instskip(SKIP_1) | instid1(VALU_DEP_1)
	v_dual_fmac_f32 v4, v7, v3 :: v_dual_lshlrev_b32 v3, 16, v32
	s_waitcnt vmcnt(0)
	v_dual_fmac_f32 v4, v8, v3 :: v_dual_lshlrev_b32 v1, 16, v1
	v_lshlrev_b32_e32 v3, 16, v33
	ds_load_b128 v[5:8], v2 offset:608
	s_waitcnt lgkmcnt(1)
	v_dual_fmac_f32 v4, v9, v3 :: v_dual_lshlrev_b32 v3, 16, v34
	s_delay_alu instid0(VALU_DEP_1) | instskip(SKIP_1) | instid1(VALU_DEP_1)
	v_fmac_f32_e32 v4, v10, v3
	v_lshlrev_b32_e32 v3, 16, v35
	v_dual_fmac_f32 v4, v11, v3 :: v_dual_lshlrev_b32 v3, 16, v36
	s_delay_alu instid0(VALU_DEP_1) | instskip(SKIP_4) | instid1(VALU_DEP_1)
	v_dual_fmac_f32 v4, v12, v3 :: v_dual_lshlrev_b32 v3, 16, v37
	ds_load_b128 v[9:12], v2 offset:624
	v_lshlrev_b32_e32 v2, 16, v38
	s_waitcnt lgkmcnt(1)
	v_fmac_f32_e32 v4, v5, v3
	v_fmac_f32_e32 v4, v6, v2
	v_lshlrev_b32_e32 v2, 16, v39
	s_delay_alu instid0(VALU_DEP_1) | instskip(SKIP_1) | instid1(VALU_DEP_1)
	v_fmac_f32_e32 v4, v7, v2
	v_lshlrev_b32_e32 v2, 16, v40
	v_fmac_f32_e32 v4, v8, v2
	v_lshlrev_b32_e32 v2, 16, v41
	s_waitcnt lgkmcnt(0)
	s_delay_alu instid0(VALU_DEP_1) | instskip(SKIP_1) | instid1(VALU_DEP_1)
	v_fmac_f32_e32 v4, v9, v2
	v_lshlrev_b32_e32 v2, 16, v42
	v_fmac_f32_e32 v4, v10, v2
	v_lshlrev_b32_e32 v2, 16, v43
	s_delay_alu instid0(VALU_DEP_1) | instskip(NEXT) | instid1(VALU_DEP_1)
	v_fmac_f32_e32 v4, v11, v2
	v_dual_fmac_f32 v4, v12, v1 :: v_dual_mov_b32 v1, 0
	s_and_not1_b32 vcc_lo, exec_lo, s15
	ds_load_b32 v1, v1 offset:640
	s_cbranch_vccz .LBB598_17
	s_branch .LBB598_18
	.section	.rodata,"a",@progbits
	.p2align	6, 0x0
	.amdhsa_kernel _Z35paged_attention_ll4mi_reduce_kernelI14__hip_bfloat16hLi128ELi128ELi256ELi5EEvPT0_PKfS4_PKT_PKiS9_iS4_
		.amdhsa_group_segment_fixed_size 644
		.amdhsa_private_segment_fixed_size 0
		.amdhsa_kernarg_size 320
		.amdhsa_user_sgpr_count 14
		.amdhsa_user_sgpr_dispatch_ptr 0
		.amdhsa_user_sgpr_queue_ptr 0
		.amdhsa_user_sgpr_kernarg_segment_ptr 1
		.amdhsa_user_sgpr_dispatch_id 0
		.amdhsa_user_sgpr_private_segment_size 0
		.amdhsa_wavefront_size32 1
		.amdhsa_uses_dynamic_stack 0
		.amdhsa_enable_private_segment 0
		.amdhsa_system_sgpr_workgroup_id_x 1
		.amdhsa_system_sgpr_workgroup_id_y 1
		.amdhsa_system_sgpr_workgroup_id_z 0
		.amdhsa_system_sgpr_workgroup_info 0
		.amdhsa_system_vgpr_workitem_id 0
		.amdhsa_next_free_vgpr 52
		.amdhsa_next_free_sgpr 52
		.amdhsa_reserve_vcc 1
		.amdhsa_float_round_mode_32 0
		.amdhsa_float_round_mode_16_64 0
		.amdhsa_float_denorm_mode_32 3
		.amdhsa_float_denorm_mode_16_64 3
		.amdhsa_dx10_clamp 1
		.amdhsa_ieee_mode 1
		.amdhsa_fp16_overflow 0
		.amdhsa_workgroup_processor_mode 1
		.amdhsa_memory_ordered 1
		.amdhsa_forward_progress 0
		.amdhsa_shared_vgpr_count 0
		.amdhsa_exception_fp_ieee_invalid_op 0
		.amdhsa_exception_fp_denorm_src 0
		.amdhsa_exception_fp_ieee_div_zero 0
		.amdhsa_exception_fp_ieee_overflow 0
		.amdhsa_exception_fp_ieee_underflow 0
		.amdhsa_exception_fp_ieee_inexact 0
		.amdhsa_exception_int_div_zero 0
	.end_amdhsa_kernel
	.section	.text._Z35paged_attention_ll4mi_reduce_kernelI14__hip_bfloat16hLi128ELi128ELi256ELi5EEvPT0_PKfS4_PKT_PKiS9_iS4_,"axG",@progbits,_Z35paged_attention_ll4mi_reduce_kernelI14__hip_bfloat16hLi128ELi128ELi256ELi5EEvPT0_PKfS4_PKT_PKiS9_iS4_,comdat
.Lfunc_end598:
	.size	_Z35paged_attention_ll4mi_reduce_kernelI14__hip_bfloat16hLi128ELi128ELi256ELi5EEvPT0_PKfS4_PKT_PKiS9_iS4_, .Lfunc_end598-_Z35paged_attention_ll4mi_reduce_kernelI14__hip_bfloat16hLi128ELi128ELi256ELi5EEvPT0_PKfS4_PKT_PKiS9_iS4_
                                        ; -- End function
	.section	.AMDGPU.csdata,"",@progbits
; Kernel info:
; codeLenInByte = 11804
; NumSgprs: 54
; NumVgprs: 52
; ScratchSize: 0
; MemoryBound: 0
; FloatMode: 240
; IeeeMode: 1
; LDSByteSize: 644 bytes/workgroup (compile time only)
; SGPRBlocks: 6
; VGPRBlocks: 6
; NumSGPRsForWavesPerEU: 54
; NumVGPRsForWavesPerEU: 52
; Occupancy: 16
; WaveLimiterHint : 0
; COMPUTE_PGM_RSRC2:SCRATCH_EN: 0
; COMPUTE_PGM_RSRC2:USER_SGPR: 14
; COMPUTE_PGM_RSRC2:TRAP_HANDLER: 0
; COMPUTE_PGM_RSRC2:TGID_X_EN: 1
; COMPUTE_PGM_RSRC2:TGID_Y_EN: 1
; COMPUTE_PGM_RSRC2:TGID_Z_EN: 0
; COMPUTE_PGM_RSRC2:TIDIG_COMP_CNT: 0
	.section	.text._Z35paged_attention_ll4mi_reduce_kernelI14__hip_bfloat16hLi128ELi128ELi256ELi6EEvPT0_PKfS4_PKT_PKiS9_iS4_,"axG",@progbits,_Z35paged_attention_ll4mi_reduce_kernelI14__hip_bfloat16hLi128ELi128ELi256ELi6EEvPT0_PKfS4_PKT_PKiS9_iS4_,comdat
	.protected	_Z35paged_attention_ll4mi_reduce_kernelI14__hip_bfloat16hLi128ELi128ELi256ELi6EEvPT0_PKfS4_PKT_PKiS9_iS4_ ; -- Begin function _Z35paged_attention_ll4mi_reduce_kernelI14__hip_bfloat16hLi128ELi128ELi256ELi6EEvPT0_PKfS4_PKT_PKiS9_iS4_
	.globl	_Z35paged_attention_ll4mi_reduce_kernelI14__hip_bfloat16hLi128ELi128ELi256ELi6EEvPT0_PKfS4_PKT_PKiS9_iS4_
	.p2align	8
	.type	_Z35paged_attention_ll4mi_reduce_kernelI14__hip_bfloat16hLi128ELi128ELi256ELi6EEvPT0_PKfS4_PKT_PKiS9_iS4_,@function
_Z35paged_attention_ll4mi_reduce_kernelI14__hip_bfloat16hLi128ELi128ELi256ELi6EEvPT0_PKfS4_PKT_PKiS9_iS4_: ; @_Z35paged_attention_ll4mi_reduce_kernelI14__hip_bfloat16hLi128ELi128ELi256ELi6EEvPT0_PKfS4_PKT_PKiS9_iS4_
; %bb.0:
	s_load_b64 s[12:13], s[0:1], 0x28
	s_mov_b32 s2, s15
	s_waitcnt lgkmcnt(0)
	s_cmp_lg_u64 s[12:13], 0
	s_cselect_b32 s15, -1, 0
	s_delay_alu instid0(SALU_CYCLE_1)
	s_and_b32 vcc_lo, exec_lo, s15
	s_cbranch_vccz .LBB599_24
; %bb.1:
	s_add_i32 s4, s2, 1
	s_mov_b32 s5, 0
	s_delay_alu instid0(SALU_CYCLE_1) | instskip(SKIP_4) | instid1(SALU_CYCLE_1)
	s_lshl_b64 s[6:7], s[4:5], 2
	s_mov_b32 s3, s5
	s_add_u32 s6, s12, s6
	s_addc_u32 s7, s13, s7
	s_lshl_b64 s[8:9], s[2:3], 2
	s_add_u32 s8, s12, s8
	s_addc_u32 s9, s13, s9
	s_clause 0x1
	s_load_b32 s4, s[6:7], 0x0
	s_load_b32 s6, s[8:9], 0x0
	s_waitcnt lgkmcnt(0)
	s_sub_i32 s4, s4, s6
	s_delay_alu instid0(SALU_CYCLE_1)
	s_cmp_eq_u32 s4, 1
	s_cselect_b32 s4, -1, 0
	s_cbranch_execnz .LBB599_3
.LBB599_2:
	s_mov_b32 s3, 0
	s_mov_b32 s4, -1
.LBB599_3:
	s_delay_alu instid0(SALU_CYCLE_1)
	s_and_not1_b32 vcc_lo, exec_lo, s4
	s_cbranch_vccz .LBB599_5
; %bb.4:
	s_endpgm
.LBB599_5:
	s_clause 0x1
	s_load_b128 s[4:7], s[0:1], 0x18
	s_load_b32 s9, s[0:1], 0x30
	s_lshl_b64 s[16:17], s[2:3], 2
	s_waitcnt lgkmcnt(0)
	s_add_u32 s6, s6, s16
	s_addc_u32 s7, s7, s17
	s_load_b32 s23, s[6:7], 0x0
	s_load_b32 s33, s[0:1], 0x40
	s_mul_i32 s7, s2, s9
	s_waitcnt lgkmcnt(0)
	s_add_i32 s22, s23, 0xff
	s_delay_alu instid0(SALU_CYCLE_1) | instskip(NEXT) | instid1(SALU_CYCLE_1)
	s_ashr_i32 s6, s22, 31
	s_lshr_b32 s6, s6, 24
	s_delay_alu instid0(SALU_CYCLE_1) | instskip(SKIP_4) | instid1(SALU_CYCLE_1)
	s_add_i32 s8, s22, s6
	s_mul_i32 s6, s14, s9
	s_mov_b32 s9, exec_lo
	v_cmpx_lt_u32_e32 31, v0
	s_xor_b32 s9, exec_lo, s9
	s_or_saveexec_b32 s24, s9
	v_mov_b32_e32 v1, s6
	s_ashr_i32 s40, s8, 8
	s_mul_i32 s18, s7, s33
	s_xor_b32 exec_lo, exec_lo, s24
	s_cbranch_execz .LBB599_9
; %bb.6:
	s_load_b128 s[8:11], s[0:1], 0x8
	v_or_b32_e32 v2, 32, v0
	v_cmp_gt_i32_e32 vcc_lo, s40, v0
	s_add_i32 s25, s40, -1
	v_or_b32_e32 v4, 64, v0
	v_or_b32_e32 v6, 0x60, v0
	;; [unrolled: 1-line block ×3, first 2 shown]
	v_cndmask_b32_e32 v1, s25, v0, vcc_lo
	v_cmp_gt_i32_e32 vcc_lo, s40, v2
	s_mov_b32 s19, 0
	v_or_b32_e32 v14, 0xa0, v0
	s_lshl_b64 s[20:21], s[18:19], 2
	s_mov_b32 s7, s19
	v_cndmask_b32_e32 v3, s25, v2, vcc_lo
	v_cmp_gt_i32_e32 vcc_lo, s40, v4
	v_ashrrev_i32_e32 v2, 31, v1
	v_cndmask_b32_e32 v5, s25, v4, vcc_lo
	v_cmp_gt_i32_e32 vcc_lo, s40, v6
	v_ashrrev_i32_e32 v4, 31, v3
	s_delay_alu instid0(VALU_DEP_4)
	v_lshlrev_b64 v[1:2], 2, v[1:2]
	s_waitcnt lgkmcnt(0)
	s_add_u32 s19, s10, s20
	s_addc_u32 s26, s11, s21
	v_cndmask_b32_e32 v7, s25, v6, vcc_lo
	v_cmp_gt_i32_e32 vcc_lo, s40, v8
	s_lshl_b64 s[10:11], s[6:7], 2
	v_lshlrev_b64 v[3:4], 2, v[3:4]
	s_add_u32 s7, s19, s10
	s_addc_u32 s19, s26, s11
	v_cndmask_b32_e32 v9, s25, v8, vcc_lo
	v_add_co_u32 v10, vcc_lo, s7, v1
	v_add_co_ci_u32_e32 v11, vcc_lo, s19, v2, vcc_lo
	v_add_co_u32 v12, vcc_lo, s7, v3
	v_add_co_ci_u32_e32 v13, vcc_lo, s19, v4, vcc_lo
	v_cmp_gt_i32_e32 vcc_lo, s40, v14
	v_ashrrev_i32_e32 v6, 31, v5
	v_ashrrev_i32_e32 v8, 31, v7
	s_clause 0x1
	global_load_b32 v22, v[10:11], off
	global_load_b32 v23, v[12:13], off
	v_ashrrev_i32_e32 v10, 31, v9
	v_cndmask_b32_e32 v14, s25, v14, vcc_lo
	v_lshlrev_b64 v[5:6], 2, v[5:6]
	v_lshlrev_b64 v[7:8], 2, v[7:8]
	s_delay_alu instid0(VALU_DEP_4) | instskip(NEXT) | instid1(VALU_DEP_4)
	v_lshlrev_b64 v[9:10], 2, v[9:10]
	v_ashrrev_i32_e32 v15, 31, v14
	s_delay_alu instid0(VALU_DEP_4) | instskip(SKIP_2) | instid1(VALU_DEP_4)
	v_add_co_u32 v11, vcc_lo, s7, v5
	v_add_co_ci_u32_e32 v12, vcc_lo, s19, v6, vcc_lo
	v_add_co_u32 v16, vcc_lo, s7, v7
	v_lshlrev_b64 v[13:14], 2, v[14:15]
	v_add_co_ci_u32_e32 v17, vcc_lo, s19, v8, vcc_lo
	v_add_co_u32 v18, vcc_lo, s7, v9
	v_add_co_ci_u32_e32 v19, vcc_lo, s19, v10, vcc_lo
	s_delay_alu instid0(VALU_DEP_4)
	v_add_co_u32 v20, vcc_lo, s7, v13
	v_add_co_ci_u32_e32 v21, vcc_lo, s19, v14, vcc_lo
	s_clause 0x3
	global_load_b32 v11, v[11:12], off
	global_load_b32 v12, v[16:17], off
	;; [unrolled: 1-line block ×4, first 2 shown]
	s_add_u32 s7, s8, s20
	s_addc_u32 s8, s9, s21
	s_add_u32 s7, s7, s10
	s_addc_u32 s8, s8, s11
	v_add_co_u32 v1, vcc_lo, s7, v1
	v_add_co_ci_u32_e32 v2, vcc_lo, s8, v2, vcc_lo
	v_add_co_u32 v3, vcc_lo, s7, v3
	v_add_co_ci_u32_e32 v4, vcc_lo, s8, v4, vcc_lo
	;; [unrolled: 2-line block ×4, first 2 shown]
	s_clause 0x3
	global_load_b32 v17, v[1:2], off
	global_load_b32 v3, v[3:4], off
	;; [unrolled: 1-line block ×4, first 2 shown]
	v_add_co_u32 v1, vcc_lo, s7, v9
	v_add_co_ci_u32_e32 v2, vcc_lo, s8, v10, vcc_lo
	global_load_b32 v6, v[1:2], off
	v_add_co_u32 v1, vcc_lo, s7, v13
	v_add_co_ci_u32_e32 v2, vcc_lo, s8, v14, vcc_lo
	s_mov_b32 s7, exec_lo
	global_load_b32 v7, v[1:2], off
	v_mbcnt_lo_u32_b32 v1, -1, 0
	s_delay_alu instid0(VALU_DEP_1)
	v_xor_b32_e32 v9, 16, v1
	v_xor_b32_e32 v10, 8, v1
	;; [unrolled: 1-line block ×5, first 2 shown]
	v_cmp_gt_i32_e32 vcc_lo, 32, v9
	s_waitcnt vmcnt(11)
	v_max_f32_e32 v8, v22, v22
	s_waitcnt vmcnt(10)
	v_max_f32_e32 v2, v23, v23
	s_delay_alu instid0(VALU_DEP_1) | instskip(SKIP_2) | instid1(VALU_DEP_2)
	v_max_f32_e32 v2, v8, v2
	v_cndmask_b32_e32 v8, v1, v9, vcc_lo
	v_cmp_gt_i32_e32 vcc_lo, 32, v10
	v_lshlrev_b32_e32 v8, 2, v8
	v_cndmask_b32_e32 v10, v1, v10, vcc_lo
	v_cmp_gt_i32_e32 vcc_lo, 32, v13
	v_cndmask_b32_e32 v13, v1, v13, vcc_lo
	v_cmp_gt_i32_e32 vcc_lo, 32, v14
	s_waitcnt vmcnt(8)
	v_max3_f32 v2, v2, v11, v12
	v_cndmask_b32_e32 v14, v1, v14, vcc_lo
	v_cmp_gt_i32_e32 vcc_lo, 32, v18
	s_waitcnt vmcnt(6)
	s_delay_alu instid0(VALU_DEP_3) | instskip(NEXT) | instid1(VALU_DEP_3)
	v_max3_f32 v2, v2, v15, v16
	v_lshlrev_b32_e32 v14, 2, v14
	v_lshlrev_b32_e32 v13, 2, v13
	;; [unrolled: 1-line block ×3, first 2 shown]
	v_cndmask_b32_e32 v1, v1, v18, vcc_lo
	ds_bpermute_b32 v9, v8, v2
	v_lshlrev_b32_e32 v18, 2, v1
	s_waitcnt lgkmcnt(0)
	v_max_f32_e32 v9, v9, v9
	s_delay_alu instid0(VALU_DEP_1) | instskip(SKIP_3) | instid1(VALU_DEP_1)
	v_max_f32_e32 v2, v2, v9
	ds_bpermute_b32 v9, v10, v2
	s_waitcnt lgkmcnt(0)
	v_max_f32_e32 v9, v9, v9
	v_max_f32_e32 v2, v2, v9
	ds_bpermute_b32 v9, v13, v2
	s_waitcnt lgkmcnt(0)
	v_max_f32_e32 v9, v9, v9
	s_delay_alu instid0(VALU_DEP_1) | instskip(SKIP_3) | instid1(VALU_DEP_1)
	v_max_f32_e32 v2, v2, v9
	ds_bpermute_b32 v9, v14, v2
	s_waitcnt lgkmcnt(0)
	v_max_f32_e32 v9, v9, v9
	v_max_f32_e32 v1, v2, v9
	ds_bpermute_b32 v2, v18, v1
	s_waitcnt lgkmcnt(0)
	v_max_f32_e32 v2, v2, v2
	s_delay_alu instid0(VALU_DEP_1) | instskip(SKIP_1) | instid1(VALU_DEP_2)
	v_max_f32_e32 v1, v1, v2
	v_sub_nc_u32_e32 v2, s40, v0
	v_sub_f32_e32 v19, v23, v1
	v_sub_f32_e32 v12, v12, v1
	;; [unrolled: 1-line block ×3, first 2 shown]
	s_delay_alu instid0(VALU_DEP_2) | instskip(NEXT) | instid1(VALU_DEP_2)
	v_dual_sub_f32 v11, v11, v1 :: v_dual_mul_f32 v22, 0x3fb8aa3b, v12
	v_cmp_ngt_f32_e32 vcc_lo, 0xc2ce8ed0, v9
	s_delay_alu instid0(VALU_DEP_2) | instskip(SKIP_3) | instid1(VALU_DEP_1)
	v_rndne_f32_e32 v32, v22
	v_sub_f32_e32 v15, v15, v1
	v_sub_f32_e32 v1, v16, v1
	v_mul_f32_e32 v16, 0x3fb8aa3b, v9
	v_rndne_f32_e32 v26, v16
	v_fma_f32 v25, 0x3fb8aa3b, v9, -v16
	s_delay_alu instid0(VALU_DEP_2) | instskip(SKIP_2) | instid1(VALU_DEP_2)
	v_sub_f32_e32 v16, v16, v26
	v_mul_f32_e32 v20, 0x3fb8aa3b, v19
	v_cvt_i32_f32_e32 v26, v26
	v_fma_f32 v27, 0x3fb8aa3b, v19, -v20
	v_rndne_f32_e32 v28, v20
	s_delay_alu instid0(VALU_DEP_2) | instskip(SKIP_1) | instid1(VALU_DEP_3)
	v_fmac_f32_e32 v27, 0x32a5705f, v19
	v_fma_f32 v31, 0x3fb8aa3b, v12, -v22
	v_sub_f32_e32 v20, v20, v28
	v_dual_sub_f32 v22, v22, v32 :: v_dual_mul_f32 v23, 0x3fb8aa3b, v15
	v_mul_f32_e32 v21, 0x3fb8aa3b, v11
	s_delay_alu instid0(VALU_DEP_3) | instskip(SKIP_1) | instid1(VALU_DEP_4)
	v_dual_fmac_f32 v31, 0x32a5705f, v12 :: v_dual_add_f32 v20, v20, v27
	v_cvt_i32_f32_e32 v28, v28
	v_rndne_f32_e32 v34, v23
	s_delay_alu instid0(VALU_DEP_4) | instskip(NEXT) | instid1(VALU_DEP_4)
	v_fma_f32 v29, 0x3fb8aa3b, v11, -v21
	v_add_f32_e32 v22, v22, v31
	v_mul_f32_e32 v24, 0x3fb8aa3b, v1
	v_fma_f32 v33, 0x3fb8aa3b, v15, -v23
	v_sub_f32_e32 v23, v23, v34
	v_exp_f32_e32 v20, v20
	v_rndne_f32_e32 v30, v21
	v_rndne_f32_e32 v36, v24
	v_fmac_f32_e32 v25, 0x32a5705f, v9
	v_fma_f32 v35, 0x3fb8aa3b, v1, -v24
	v_exp_f32_e32 v22, v22
	s_delay_alu instid0(VALU_DEP_3) | instskip(NEXT) | instid1(VALU_DEP_3)
	v_dual_sub_f32 v21, v21, v30 :: v_dual_sub_f32 v24, v24, v36
	v_dual_fmac_f32 v29, 0x32a5705f, v11 :: v_dual_add_f32 v16, v16, v25
	s_delay_alu instid0(TRANS32_DEP_2)
	v_ldexp_f32 v20, v20, v28
	v_cvt_i32_f32_e32 v25, v30
	v_cvt_i32_f32_e32 v27, v32
	;; [unrolled: 1-line block ×3, first 2 shown]
	v_exp_f32_e32 v16, v16
	s_delay_alu instid0(TRANS32_DEP_2) | instid1(VALU_DEP_2)
	v_ldexp_f32 v22, v22, v27
	s_waitcnt_depctr 0xfff
	v_ldexp_f32 v16, v16, v26
	s_delay_alu instid0(VALU_DEP_1) | instskip(SKIP_2) | instid1(VALU_DEP_1)
	v_dual_fmac_f32 v33, 0x32a5705f, v15 :: v_dual_cndmask_b32 v16, 0, v16
	v_cmp_ngt_f32_e32 vcc_lo, 0xc2ce8ed0, v19
	v_dual_fmac_f32 v35, 0x32a5705f, v1 :: v_dual_cndmask_b32 v20, 0, v20
	v_dual_add_f32 v21, v21, v29 :: v_dual_add_f32 v24, v24, v35
	v_cmp_ngt_f32_e32 vcc_lo, 0xc2ce8ed0, v11
	v_cvt_i32_f32_e32 v29, v34
	s_delay_alu instid0(VALU_DEP_3) | instskip(NEXT) | instid1(VALU_DEP_3)
	v_exp_f32_e32 v21, v21
	v_exp_f32_e32 v24, v24
	s_waitcnt_depctr 0xfff
	v_ldexp_f32 v21, v21, v25
	s_delay_alu instid0(VALU_DEP_1) | instskip(SKIP_2) | instid1(VALU_DEP_1)
	v_cndmask_b32_e32 v21, 0, v21, vcc_lo
	v_cmp_ngt_f32_e32 vcc_lo, 0xc2ce8ed0, v12
	v_dual_add_f32 v23, v23, v33 :: v_dual_cndmask_b32 v22, 0, v22
	v_exp_f32_e32 v23, v23
	v_cmp_ngt_f32_e32 vcc_lo, 0xc2ce8ed0, v15
	s_waitcnt_depctr 0xfff
	v_ldexp_f32 v23, v23, v29
	s_delay_alu instid0(VALU_DEP_1)
	v_cndmask_b32_e32 v23, 0, v23, vcc_lo
	v_cmp_nlt_f32_e32 vcc_lo, 0x42b17218, v9
	v_cndmask_b32_e32 v9, 0x7f800000, v16, vcc_lo
	v_cmp_nlt_f32_e32 vcc_lo, 0x42b17218, v19
	;; [unrolled: 2-line block ×4, first 2 shown]
	v_cndmask_b32_e32 v12, 0x7f800000, v22, vcc_lo
	v_cmp_lt_i32_e32 vcc_lo, 0, v2
	v_cndmask_b32_e32 v9, 0, v9, vcc_lo
	v_cmp_lt_i32_e32 vcc_lo, 32, v2
	s_waitcnt vmcnt(5)
	s_delay_alu instid0(VALU_DEP_2) | instskip(SKIP_2) | instid1(VALU_DEP_2)
	v_dual_mul_f32 v9, v17, v9 :: v_dual_cndmask_b32 v16, 0, v16
	v_cmp_lt_i32_e32 vcc_lo, 64, v2
	s_waitcnt vmcnt(4)
	v_mul_f32_e32 v3, v3, v16
	v_cndmask_b32_e32 v11, 0, v11, vcc_lo
	v_cmp_lt_i32_e32 vcc_lo, 0x60, v2
	s_waitcnt vmcnt(3)
	s_delay_alu instid0(VALU_DEP_2)
	v_mul_f32_e32 v4, v4, v11
	v_cndmask_b32_e32 v12, 0, v12, vcc_lo
	v_cmp_nlt_f32_e32 vcc_lo, 0x42b17218, v15
	v_add_f32_e32 v15, v9, v3
	v_cndmask_b32_e32 v11, 0x7f800000, v23, vcc_lo
	v_cmp_lt_i32_e32 vcc_lo, 0x80, v2
	s_delay_alu instid0(VALU_DEP_3) | instskip(NEXT) | instid1(VALU_DEP_3)
	v_add_f32_e32 v15, v15, v4
	v_cndmask_b32_e32 v11, 0, v11, vcc_lo
	s_waitcnt vmcnt(2)
	v_mul_f32_e32 v5, v5, v12
	v_ldexp_f32 v12, v24, v30
	v_cmp_ngt_f32_e32 vcc_lo, 0xc2ce8ed0, v1
	s_waitcnt vmcnt(1)
	s_delay_alu instid0(VALU_DEP_3) | instskip(NEXT) | instid1(VALU_DEP_3)
	v_dual_mul_f32 v6, v6, v11 :: v_dual_add_f32 v11, v15, v5
	v_cndmask_b32_e32 v12, 0, v12, vcc_lo
	v_cmp_nlt_f32_e32 vcc_lo, 0x42b17218, v1
	s_delay_alu instid0(VALU_DEP_2) | instskip(SKIP_1) | instid1(VALU_DEP_2)
	v_cndmask_b32_e32 v1, 0x7f800000, v12, vcc_lo
	v_cmp_lt_i32_e32 vcc_lo, 0xa0, v2
	v_dual_cndmask_b32 v12, 0, v1 :: v_dual_add_f32 v1, v11, v6
	s_waitcnt vmcnt(0)
	s_delay_alu instid0(VALU_DEP_1)
	v_fmac_f32_e32 v1, v7, v12
	v_mul_f32_e32 v7, v7, v12
	ds_bpermute_b32 v2, v8, v1
	v_lshlrev_b32_e32 v8, 2, v0
	ds_store_2addr_b32 v8, v9, v3 offset1:32
	ds_store_2addr_b32 v8, v4, v5 offset0:64 offset1:96
	ds_store_2addr_b32 v8, v6, v7 offset0:128 offset1:160
	s_waitcnt lgkmcnt(3)
	v_add_f32_e32 v1, v1, v2
	ds_bpermute_b32 v2, v10, v1
	s_waitcnt lgkmcnt(0)
	v_add_f32_e32 v1, v1, v2
	ds_bpermute_b32 v2, v13, v1
	;; [unrolled: 3-line block ×4, first 2 shown]
	v_cmpx_eq_u32_e32 0, v0
	s_cbranch_execz .LBB599_8
; %bb.7:
	s_waitcnt lgkmcnt(0)
	v_dual_add_f32 v1, v1, v2 :: v_dual_mov_b32 v2, 0
	ds_store_b32 v2, v1 offset:768
.LBB599_8:
	s_or_b32 exec_lo, exec_lo, s7
	v_mov_b32_e32 v1, s6
.LBB599_9:
	s_or_b32 exec_lo, exec_lo, s24
	s_lshl_b32 s6, s18, 7
	s_mov_b32 s7, 0
	s_waitcnt lgkmcnt(0)
	v_dual_mov_b32 v2, 0 :: v_dual_lshlrev_b32 v1, 7, v1
	s_lshl_b64 s[6:7], s[6:7], 1
	v_dual_mov_b32 v31, 0 :: v_dual_mov_b32 v32, 0
	s_add_u32 s34, s4, s6
	s_addc_u32 s35, s5, s7
	s_lshl_b32 s41, s40, 7
	v_lshlrev_b64 v[3:4], 1, v[1:2]
	s_add_i32 s42, s41, 0xffffff80
	s_cmpk_lt_i32 s22, 0x100
	v_lshlrev_b32_e32 v1, 1, v0
	s_cselect_b32 s4, s42, 0
	v_dual_mov_b32 v33, 0 :: v_dual_mov_b32 v34, 0
	s_ashr_i32 s5, s4, 31
	v_add_co_u32 v3, vcc_lo, s34, v3
	s_lshl_b64 s[4:5], s[4:5], 1
	s_cmpk_lt_i32 s22, 0x200
	v_add_co_ci_u32_e32 v4, vcc_lo, s35, v4, vcc_lo
	s_cselect_b32 s6, s42, 0x80
	v_add_co_u32 v1, vcc_lo, v3, v1
	s_ashr_i32 s7, s6, 31
	s_delay_alu instid0(VALU_DEP_2)
	v_add_co_ci_u32_e32 v3, vcc_lo, 0, v4, vcc_lo
	s_lshl_b64 s[6:7], s[6:7], 1
	s_cmpk_lt_i32 s22, 0x300
	v_add_co_u32 v4, vcc_lo, v1, s4
	s_cselect_b32 s8, s42, 0x100
	v_add_co_ci_u32_e32 v5, vcc_lo, s5, v3, vcc_lo
	s_ashr_i32 s9, s8, 31
	v_add_co_u32 v6, vcc_lo, v1, s6
	s_lshl_b64 s[8:9], s[8:9], 1
	s_cmpk_lt_i32 s22, 0x400
	v_add_co_ci_u32_e32 v7, vcc_lo, s7, v3, vcc_lo
	s_cselect_b32 s10, s42, 0x180
	v_add_co_u32 v8, vcc_lo, v1, s8
	s_ashr_i32 s11, s10, 31
	v_add_co_ci_u32_e32 v9, vcc_lo, s9, v3, vcc_lo
	s_lshl_b64 s[10:11], s[10:11], 1
	s_cmpk_lt_i32 s22, 0x500
	v_add_co_u32 v11, vcc_lo, v1, s10
	s_cselect_b32 s18, s42, 0x200
	v_add_co_ci_u32_e32 v12, vcc_lo, s11, v3, vcc_lo
	s_ashr_i32 s19, s18, 31
	v_mov_b32_e32 v35, 0
	s_lshl_b64 s[18:19], s[18:19], 1
	s_cmpk_lt_i32 s22, 0x600
	v_add_co_u32 v14, vcc_lo, v1, s18
	s_cselect_b32 s20, s42, 0x280
	v_add_co_ci_u32_e32 v15, vcc_lo, s19, v3, vcc_lo
	s_ashr_i32 s21, s20, 31
	v_mov_b32_e32 v30, 0
	s_lshl_b64 s[20:21], s[20:21], 1
	s_cmpk_lt_i32 s22, 0x700
	v_add_co_u32 v16, vcc_lo, v1, s20
	s_cselect_b32 s24, s42, 0x300
	v_add_co_ci_u32_e32 v17, vcc_lo, s21, v3, vcc_lo
	s_ashr_i32 s25, s24, 31
	s_delay_alu instid0(SALU_CYCLE_1)
	s_lshl_b64 s[24:25], s[24:25], 1
	s_cmpk_lt_i32 s22, 0x800
	v_add_co_u32 v18, vcc_lo, v1, s24
	s_cselect_b32 s26, s42, 0x380
	v_add_co_ci_u32_e32 v19, vcc_lo, s25, v3, vcc_lo
	s_ashr_i32 s27, s26, 31
	s_delay_alu instid0(SALU_CYCLE_1)
	s_lshl_b64 s[26:27], s[26:27], 1
	s_cmpk_lt_i32 s22, 0x900
	v_add_co_u32 v20, vcc_lo, v1, s26
	s_cselect_b32 s28, s42, 0x400
	v_add_co_ci_u32_e32 v21, vcc_lo, s27, v3, vcc_lo
	s_ashr_i32 s29, s28, 31
	s_clause 0x7
	global_load_u16 v13, v[4:5], off
	global_load_u16 v4, v[6:7], off
	;; [unrolled: 1-line block ×8, first 2 shown]
	s_lshl_b64 s[28:29], s[28:29], 1
	s_cmpk_lt_i32 s22, 0xa00
	v_add_co_u32 v11, vcc_lo, v1, s28
	s_cselect_b32 s30, s42, 0x480
	v_add_co_ci_u32_e32 v12, vcc_lo, s29, v3, vcc_lo
	s_ashr_i32 s31, s30, 31
	s_delay_alu instid0(SALU_CYCLE_1)
	s_lshl_b64 s[30:31], s[30:31], 1
	s_cmpk_lt_i32 s22, 0xb00
	v_add_co_u32 v14, vcc_lo, v1, s30
	s_cselect_b32 s34, s42, 0x500
	v_add_co_ci_u32_e32 v15, vcc_lo, s31, v3, vcc_lo
	s_ashr_i32 s35, s34, 31
	s_delay_alu instid0(SALU_CYCLE_1)
	;; [unrolled: 7-line block ×7, first 2 shown]
	s_lshl_b64 s[4:5], s[6:7], 1
	s_cmpk_gt_i32 s23, 0x1000
	v_add_co_u32 v28, vcc_lo, v1, s4
	v_add_co_ci_u32_e32 v29, vcc_lo, s5, v3, vcc_lo
	s_clause 0x7
	global_load_u16 v19, v[11:12], off
	global_load_u16 v18, v[14:15], off
	;; [unrolled: 1-line block ×8, first 2 shown]
	v_dual_mov_b32 v20, 0 :: v_dual_mov_b32 v21, 0
	v_dual_mov_b32 v22, 0 :: v_dual_mov_b32 v23, 0
	;; [unrolled: 1-line block ×5, first 2 shown]
	s_cselect_b32 s6, -1, 0
	s_cmpk_lt_i32 s23, 0x1001
	s_waitcnt vmcnt(0)
	s_barrier
	buffer_gl0_inv
	s_cbranch_scc1 .LBB599_11
; %bb.10:
	s_cmpk_lt_i32 s22, 0x1100
	s_cselect_b32 s4, s42, 0x800
	s_delay_alu instid0(SALU_CYCLE_1) | instskip(NEXT) | instid1(SALU_CYCLE_1)
	s_ashr_i32 s5, s4, 31
	s_lshl_b64 s[4:5], s[4:5], 1
	s_cmpk_lt_i32 s22, 0x1200
	v_add_co_u32 v20, vcc_lo, v1, s4
	s_cselect_b32 s8, s42, 0x880
	v_add_co_ci_u32_e32 v21, vcc_lo, s5, v3, vcc_lo
	s_ashr_i32 s9, s8, 31
	s_delay_alu instid0(SALU_CYCLE_1)
	s_lshl_b64 s[8:9], s[8:9], 1
	s_cmpk_lt_i32 s22, 0x1300
	v_add_co_u32 v22, vcc_lo, v1, s8
	s_cselect_b32 s10, s42, 0x900
	v_add_co_ci_u32_e32 v23, vcc_lo, s9, v3, vcc_lo
	s_ashr_i32 s11, s10, 31
	s_delay_alu instid0(SALU_CYCLE_1)
	;; [unrolled: 7-line block ×14, first 2 shown]
	s_lshl_b64 s[4:5], s[18:19], 1
	s_cmpk_lt_i32 s22, 0x2000
	v_add_co_u32 v48, vcc_lo, v1, s4
	s_cselect_b32 s8, s42, 0xf80
	v_add_co_ci_u32_e32 v49, vcc_lo, s5, v3, vcc_lo
	s_ashr_i32 s9, s8, 31
	s_delay_alu instid0(SALU_CYCLE_1) | instskip(NEXT) | instid1(SALU_CYCLE_1)
	s_lshl_b64 s[4:5], s[8:9], 1
	v_add_co_u32 v50, vcc_lo, v1, s4
	v_add_co_ci_u32_e32 v51, vcc_lo, s5, v3, vcc_lo
	s_clause 0xf
	global_load_u16 v20, v[20:21], off
	global_load_u16 v21, v[22:23], off
	;; [unrolled: 1-line block ×16, first 2 shown]
	s_waitcnt vmcnt(15)
	v_lshlrev_b32_e32 v35, 16, v20
	s_waitcnt vmcnt(14)
	v_lshlrev_b32_e32 v34, 16, v21
	s_waitcnt vmcnt(13)
	v_lshlrev_b32_e32 v33, 16, v22
	s_waitcnt vmcnt(12)
	v_lshlrev_b32_e32 v32, 16, v23
	s_waitcnt vmcnt(11)
	v_lshlrev_b32_e32 v31, 16, v24
	s_waitcnt vmcnt(10)
	v_lshlrev_b32_e32 v30, 16, v25
	s_waitcnt vmcnt(9)
	v_lshlrev_b32_e32 v29, 16, v26
	s_waitcnt vmcnt(8)
	v_lshlrev_b32_e32 v28, 16, v27
	s_waitcnt vmcnt(7)
	v_lshlrev_b32_e32 v27, 16, v36
	s_waitcnt vmcnt(6)
	v_lshlrev_b32_e32 v26, 16, v37
	s_waitcnt vmcnt(5)
	v_lshlrev_b32_e32 v25, 16, v38
	s_waitcnt vmcnt(4)
	v_lshlrev_b32_e32 v24, 16, v39
	s_waitcnt vmcnt(3)
	v_lshlrev_b32_e32 v23, 16, v40
	s_waitcnt vmcnt(2)
	v_lshlrev_b32_e32 v22, 16, v41
	s_waitcnt vmcnt(1)
	v_lshlrev_b32_e32 v21, 16, v42
	s_waitcnt vmcnt(0)
	v_lshlrev_b32_e32 v20, 16, v43
.LBB599_11:
	ds_load_b128 v[36:39], v2
	ds_load_b128 v[40:43], v2 offset:16
	v_lshlrev_b32_e32 v44, 16, v4
	v_lshlrev_b32_e32 v13, 16, v13
	;; [unrolled: 1-line block ×5, first 2 shown]
	s_load_b64 s[0:1], s[0:1], 0x0
	s_and_b32 vcc_lo, exec_lo, s6
	v_lshlrev_b32_e32 v5, 16, v5
	s_waitcnt lgkmcnt(0)
	v_fma_f32 v4, v36, v13, 0
	s_delay_alu instid0(VALU_DEP_1) | instskip(NEXT) | instid1(VALU_DEP_1)
	v_dual_fmac_f32 v4, v37, v44 :: v_dual_lshlrev_b32 v13, 16, v7
	v_dual_fmac_f32 v4, v38, v10 :: v_dual_lshlrev_b32 v9, 16, v9
	s_delay_alu instid0(VALU_DEP_1) | instskip(SKIP_4) | instid1(VALU_DEP_1)
	v_fmac_f32_e32 v4, v39, v9
	ds_load_b128 v[36:39], v2 offset:48
	v_fmac_f32_e32 v4, v40, v8
	ds_load_b128 v[7:10], v2 offset:32
	v_fmac_f32_e32 v4, v41, v13
	v_fmac_f32_e32 v4, v42, v6
	v_lshlrev_b32_e32 v6, 16, v19
	s_delay_alu instid0(VALU_DEP_2) | instskip(SKIP_1) | instid1(VALU_DEP_1)
	v_dual_fmac_f32 v4, v43, v5 :: v_dual_lshlrev_b32 v5, 16, v18
	s_waitcnt lgkmcnt(0)
	v_fmac_f32_e32 v4, v7, v6
	v_lshlrev_b32_e32 v6, 16, v17
	s_delay_alu instid0(VALU_DEP_2) | instskip(NEXT) | instid1(VALU_DEP_1)
	v_dual_fmac_f32 v4, v8, v5 :: v_dual_lshlrev_b32 v5, 16, v16
	v_fmac_f32_e32 v4, v9, v6
	v_lshlrev_b32_e32 v6, 16, v15
	s_delay_alu instid0(VALU_DEP_2) | instskip(NEXT) | instid1(VALU_DEP_1)
	v_dual_fmac_f32 v4, v10, v5 :: v_dual_lshlrev_b32 v5, 16, v14
	;; [unrolled: 4-line block ×3, first 2 shown]
	v_fmac_f32_e32 v4, v38, v6
	s_delay_alu instid0(VALU_DEP_1)
	v_fmac_f32_e32 v4, v39, v5
	s_cbranch_vccz .LBB599_13
; %bb.12:
	ds_load_b128 v[5:8], v2 offset:64
	ds_load_b128 v[9:12], v2 offset:80
	s_waitcnt lgkmcnt(1)
	v_fmac_f32_e32 v4, v5, v35
	s_delay_alu instid0(VALU_DEP_1) | instskip(NEXT) | instid1(VALU_DEP_1)
	v_fmac_f32_e32 v4, v6, v34
	v_fmac_f32_e32 v4, v7, v33
	s_delay_alu instid0(VALU_DEP_1) | instskip(SKIP_3) | instid1(VALU_DEP_1)
	v_fmac_f32_e32 v4, v8, v32
	ds_load_b128 v[5:8], v2 offset:96
	s_waitcnt lgkmcnt(1)
	v_fmac_f32_e32 v4, v9, v31
	v_fmac_f32_e32 v4, v10, v30
	s_delay_alu instid0(VALU_DEP_1) | instskip(NEXT) | instid1(VALU_DEP_1)
	v_fmac_f32_e32 v4, v11, v29
	v_fmac_f32_e32 v4, v12, v28
	ds_load_b128 v[9:12], v2 offset:112
	s_waitcnt lgkmcnt(1)
	v_fmac_f32_e32 v4, v5, v27
	s_delay_alu instid0(VALU_DEP_1) | instskip(NEXT) | instid1(VALU_DEP_1)
	v_fmac_f32_e32 v4, v6, v26
	v_fmac_f32_e32 v4, v7, v25
	s_delay_alu instid0(VALU_DEP_1) | instskip(SKIP_1) | instid1(VALU_DEP_1)
	v_fmac_f32_e32 v4, v8, v24
	s_waitcnt lgkmcnt(0)
	v_fmac_f32_e32 v4, v9, v23
	s_delay_alu instid0(VALU_DEP_1) | instskip(NEXT) | instid1(VALU_DEP_1)
	v_fmac_f32_e32 v4, v10, v22
	v_fmac_f32_e32 v4, v11, v21
	s_delay_alu instid0(VALU_DEP_1)
	v_fmac_f32_e32 v4, v12, v20
.LBB599_13:
	s_movk_i32 s43, 0x1f80
	s_movk_i32 s44, 0x80
	s_mov_b32 s45, 32
	s_branch .LBB599_15
.LBB599_14:                             ;   in Loop: Header=BB599_15 Depth=1
	s_addk_i32 s43, 0x1000
	s_addk_i32 s44, 0x80
	s_add_i32 s45, s45, 32
	s_cmpk_eq_i32 s43, 0x6f80
	s_cbranch_scc1 .LBB599_17
.LBB599_15:                             ; =>This Inner Loop Header: Depth=1
	s_cmp_le_i32 s40, s45
	s_cbranch_scc1 .LBB599_14
; %bb.16:                               ;   in Loop: Header=BB599_15 Depth=1
	s_add_i32 s4, s43, 0xfffff080
	v_mov_b32_e32 v44, s44
	s_cmp_lt_i32 s4, s41
	s_cselect_b32 s4, s4, s42
	s_add_i32 s6, s43, 0xfffff100
	s_ashr_i32 s5, s4, 31
	s_delay_alu instid0(SALU_CYCLE_1)
	s_lshl_b64 s[38:39], s[4:5], 1
	s_cmp_lt_i32 s6, s41
	v_add_co_u32 v5, vcc_lo, v1, s38
	s_cselect_b32 s4, s6, s42
	s_add_i32 s6, s43, 0xfffff180
	s_ashr_i32 s5, s4, 31
	v_add_co_ci_u32_e32 v6, vcc_lo, s39, v3, vcc_lo
	s_lshl_b64 s[4:5], s[4:5], 1
	s_cmp_lt_i32 s6, s41
	s_cselect_b32 s6, s6, s42
	s_add_i32 s8, s43, 0xfffff200
	s_ashr_i32 s7, s6, 31
	global_load_u16 v2, v[5:6], off
	s_lshl_b64 s[6:7], s[6:7], 1
	s_cmp_lt_i32 s8, s41
	v_add_co_u32 v5, vcc_lo, v1, s4
	s_cselect_b32 s8, s8, s42
	s_add_i32 s10, s43, 0xfffff280
	s_ashr_i32 s9, s8, 31
	v_add_co_ci_u32_e32 v6, vcc_lo, s5, v3, vcc_lo
	s_lshl_b64 s[8:9], s[8:9], 1
	s_cmp_lt_i32 s10, s41
	v_add_co_u32 v7, vcc_lo, v1, s6
	s_cselect_b32 s10, s10, s42
	s_add_i32 s18, s43, 0xfffff300
	s_ashr_i32 s11, s10, 31
	v_add_co_ci_u32_e32 v8, vcc_lo, s7, v3, vcc_lo
	s_lshl_b64 s[10:11], s[10:11], 1
	s_cmp_lt_i32 s18, s41
	v_add_co_u32 v9, vcc_lo, v1, s8
	s_cselect_b32 s18, s18, s42
	s_add_i32 s20, s43, 0xfffff380
	s_ashr_i32 s19, s18, 31
	s_clause 0x1
	global_load_u16 v23, v[5:6], off
	global_load_u16 v24, v[7:8], off
	s_lshl_b64 s[18:19], s[18:19], 1
	s_cmp_lt_i32 s20, s41
	v_add_co_ci_u32_e32 v10, vcc_lo, s9, v3, vcc_lo
	s_cselect_b32 s20, s20, s42
	s_add_i32 s22, s43, 0xfffff400
	s_ashr_i32 s21, s20, 31
	global_load_u16 v25, v[9:10], off
	s_lshl_b64 s[20:21], s[20:21], 1
	s_cmp_lt_i32 s22, s41
	v_add_co_u32 v11, vcc_lo, v1, s10
	s_cselect_b32 s22, s22, s42
	s_add_i32 s24, s43, 0xfffff480
	s_ashr_i32 s23, s22, 31
	v_add_co_ci_u32_e32 v12, vcc_lo, s11, v3, vcc_lo
	s_lshl_b64 s[22:23], s[22:23], 1
	s_cmp_lt_i32 s24, s41
	v_add_co_u32 v13, vcc_lo, v1, s18
	global_load_u16 v26, v[11:12], off
	s_cselect_b32 s24, s24, s42
	s_add_i32 s26, s43, 0xfffff500
	s_ashr_i32 s25, s24, 31
	v_add_co_ci_u32_e32 v14, vcc_lo, s19, v3, vcc_lo
	s_lshl_b64 s[24:25], s[24:25], 1
	s_cmp_lt_i32 s26, s41
	v_add_co_u32 v15, vcc_lo, v1, s20
	global_load_u16 v27, v[13:14], off
	s_cselect_b32 s26, s26, s42
	s_add_i32 s28, s43, 0xfffff580
	s_ashr_i32 s27, s26, 31
	v_add_co_ci_u32_e32 v16, vcc_lo, s21, v3, vcc_lo
	s_lshl_b64 s[36:37], s[26:27], 1
	s_cmp_lt_i32 s28, s41
	v_add_co_u32 v17, vcc_lo, v1, s22
	s_cselect_b32 s26, s28, s42
	s_add_i32 s30, s43, 0xfffff600
	s_ashr_i32 s27, s26, 31
	v_add_co_ci_u32_e32 v18, vcc_lo, s23, v3, vcc_lo
	s_lshl_b64 s[28:29], s[26:27], 1
	s_cmp_lt_i32 s30, s41
	v_add_co_u32 v19, vcc_lo, v1, s24
	global_load_u16 v17, v[17:18], off
	s_cselect_b32 s26, s30, s42
	s_add_i32 s30, s43, 0xfffff680
	s_ashr_i32 s27, s26, 31
	v_add_co_ci_u32_e32 v20, vcc_lo, s25, v3, vcc_lo
	s_lshl_b64 s[26:27], s[26:27], 1
	s_cmp_lt_i32 s30, s41
	v_add_co_u32 v21, vcc_lo, v1, s36
	s_cselect_b32 s30, s30, s42
	s_add_i32 s46, s43, 0xfffff700
	s_ashr_i32 s31, s30, 31
	v_add_co_ci_u32_e32 v22, vcc_lo, s37, v3, vcc_lo
	s_lshl_b64 s[34:35], s[30:31], 1
	s_cmp_lt_i32 s46, s41
	v_add_co_u32 v5, vcc_lo, v1, s28
	;; [unrolled: 7-line block ×3, first 2 shown]
	s_cselect_b32 s46, s46, s42
	s_add_i32 s48, s43, 0xfffff800
	s_ashr_i32 s47, s46, 31
	global_load_u16 v28, v[15:16], off
	s_lshl_b64 s[38:39], s[46:47], 1
	s_cmp_lt_i32 s48, s41
	v_add_co_ci_u32_e32 v8, vcc_lo, s27, v3, vcc_lo
	s_cselect_b32 s46, s48, s42
	v_add_co_u32 v9, vcc_lo, v1, s34
	s_ashr_i32 s47, s46, 31
	s_add_i32 s4, s43, 0xfffff880
	s_lshl_b64 s[46:47], s[46:47], 1
	v_add_co_ci_u32_e32 v10, vcc_lo, s35, v3, vcc_lo
	s_cmp_lt_i32 s4, s41
	v_add_co_u32 v11, vcc_lo, v1, s30
	s_cselect_b32 s4, s4, s42
	v_add_co_ci_u32_e32 v12, vcc_lo, s31, v3, vcc_lo
	v_add_co_u32 v13, vcc_lo, v1, s38
	s_ashr_i32 s5, s4, 31
	s_add_i32 s6, s43, 0xfffff900
	v_add_co_ci_u32_e32 v14, vcc_lo, s39, v3, vcc_lo
	global_load_u16 v18, v[19:20], off
	s_lshl_b64 s[8:9], s[4:5], 1
	s_cmp_lt_i32 s6, s41
	global_load_u16 v30, v[13:14], off
	s_cselect_b32 s4, s6, s42
	global_load_u16 v19, v[21:22], off
	s_ashr_i32 s5, s4, 31
	s_add_i32 s6, s43, 0xfffff980
	s_lshl_b64 s[10:11], s[4:5], 1
	s_cmp_lt_i32 s6, s41
	s_clause 0x3
	global_load_u16 v20, v[5:6], off
	global_load_u16 v21, v[7:8], off
	;; [unrolled: 1-line block ×4, first 2 shown]
	s_cselect_b32 s4, s6, s42
	s_add_i32 s6, s43, 0xfffffa00
	s_ashr_i32 s5, s4, 31
	v_add_co_u32 v15, vcc_lo, v1, s46
	s_lshl_b64 s[4:5], s[4:5], 1
	s_cmp_lt_i32 s6, s41
	v_add_co_ci_u32_e32 v16, vcc_lo, s47, v3, vcc_lo
	s_cselect_b32 s6, s6, s42
	s_add_i32 s18, s43, 0xfffffa80
	s_ashr_i32 s7, s6, 31
	v_add_co_u32 v5, vcc_lo, v1, s8
	s_lshl_b64 s[6:7], s[6:7], 1
	s_cmp_lt_i32 s18, s41
	v_add_co_ci_u32_e32 v6, vcc_lo, s9, v3, vcc_lo
	s_cselect_b32 s18, s18, s42
	v_add_co_u32 v7, vcc_lo, v1, s10
	s_ashr_i32 s19, s18, 31
	s_add_i32 s20, s43, 0xfffffb00
	s_lshl_b64 s[18:19], s[18:19], 1
	v_add_co_ci_u32_e32 v8, vcc_lo, s11, v3, vcc_lo
	s_cmp_lt_i32 s20, s41
	v_add_co_u32 v9, vcc_lo, v1, s4
	s_cselect_b32 s20, s20, s42
	v_add_co_ci_u32_e32 v10, vcc_lo, s5, v3, vcc_lo
	v_add_co_u32 v11, vcc_lo, v1, s6
	s_ashr_i32 s21, s20, 31
	s_add_i32 s22, s43, 0xfffffb80
	v_add_co_ci_u32_e32 v12, vcc_lo, s7, v3, vcc_lo
	global_load_u16 v15, v[15:16], off
	s_lshl_b64 s[20:21], s[20:21], 1
	s_cmp_lt_i32 s22, s41
	global_load_u16 v33, v[11:12], off
	s_cselect_b32 s22, s22, s42
	s_clause 0x2
	global_load_u16 v16, v[5:6], off
	global_load_u16 v31, v[7:8], off
	global_load_u16 v32, v[9:10], off
	s_ashr_i32 s23, s22, 31
	s_add_i32 s24, s43, 0xfffffc00
	s_lshl_b64 s[22:23], s[22:23], 1
	s_cmp_lt_i32 s24, s41
	v_add_co_u32 v13, vcc_lo, v1, s18
	s_cselect_b32 s24, s24, s42
	s_add_i32 s26, s43, 0xfffffc80
	s_ashr_i32 s25, s24, 31
	v_add_co_ci_u32_e32 v14, vcc_lo, s19, v3, vcc_lo
	s_lshl_b64 s[24:25], s[24:25], 1
	s_cmp_lt_i32 s26, s41
	v_add_co_u32 v5, vcc_lo, v1, s20
	s_cselect_b32 s8, s26, s42
	v_add_co_ci_u32_e32 v6, vcc_lo, s21, v3, vcc_lo
	s_ashr_i32 s9, s8, 31
	v_add_co_u32 v7, vcc_lo, v1, s22
	s_add_i32 s10, s43, 0xfffffd00
	s_lshl_b64 s[8:9], s[8:9], 1
	v_add_co_ci_u32_e32 v8, vcc_lo, s23, v3, vcc_lo
	s_cmp_lt_i32 s10, s41
	v_add_co_u32 v9, vcc_lo, v1, s24
	s_cselect_b32 s4, s10, s42
	global_load_u16 v13, v[13:14], off
	v_add_co_ci_u32_e32 v10, vcc_lo, s25, v3, vcc_lo
	s_ashr_i32 s5, s4, 31
	s_add_i32 s6, s43, 0xfffffd80
	s_lshl_b64 s[4:5], s[4:5], 1
	global_load_u16 v35, v[9:10], off
	s_cmp_lt_i32 s6, s41
	s_clause 0x1
	global_load_u16 v14, v[5:6], off
	global_load_u16 v34, v[7:8], off
	s_cselect_b32 s6, s6, s42
	s_add_i32 s10, s43, 0xfffffe00
	s_ashr_i32 s7, s6, 31
	v_add_co_u32 v5, vcc_lo, v1, s8
	s_lshl_b64 s[6:7], s[6:7], 1
	s_cmp_lt_i32 s10, s41
	v_add_co_ci_u32_e32 v6, vcc_lo, s9, v3, vcc_lo
	s_cselect_b32 s10, s10, s42
	v_add_co_u32 v7, vcc_lo, v1, s4
	s_ashr_i32 s11, s10, 31
	v_add_co_ci_u32_e32 v8, vcc_lo, s5, v3, vcc_lo
	s_add_i32 s18, s43, 0xfffffe80
	s_lshl_b64 s[10:11], s[10:11], 1
	s_cmp_lt_i32 s18, s41
	s_clause 0x1
	global_load_u16 v36, v[5:6], off
	global_load_u16 v37, v[7:8], off
	s_cselect_b32 s18, s18, s42
	v_add_co_u32 v5, vcc_lo, v1, s6
	s_ashr_i32 s19, s18, 31
	v_add_co_ci_u32_e32 v6, vcc_lo, s7, v3, vcc_lo
	s_add_i32 s20, s43, 0xffffff00
	v_add_co_u32 v7, vcc_lo, v1, s10
	s_lshl_b64 s[8:9], s[18:19], 1
	s_cmp_lt_i32 s20, s41
	v_add_co_ci_u32_e32 v8, vcc_lo, s11, v3, vcc_lo
	s_cselect_b32 s4, s20, s42
	global_load_u16 v38, v[5:6], off
	s_ashr_i32 s5, s4, 31
	global_load_u16 v39, v[7:8], off
	s_add_i32 s18, s43, 0xffffff80
	v_add_co_u32 v5, vcc_lo, v1, s8
	s_lshl_b64 s[4:5], s[4:5], 1
	s_cmp_lt_i32 s18, s41
	v_add_co_ci_u32_e32 v6, vcc_lo, s9, v3, vcc_lo
	v_add_co_u32 v7, vcc_lo, v1, s4
	s_cselect_b32 s6, s18, s42
	v_add_co_ci_u32_e32 v8, vcc_lo, s5, v3, vcc_lo
	s_ashr_i32 s7, s6, 31
	global_load_u16 v40, v[5:6], off
	s_lshl_b64 s[6:7], s[6:7], 1
	global_load_u16 v41, v[7:8], off
	s_cmp_lt_i32 s43, s41
	v_add_co_u32 v5, vcc_lo, v1, s6
	s_cselect_b32 s4, s43, s42
	v_add_co_ci_u32_e32 v6, vcc_lo, s7, v3, vcc_lo
	s_ashr_i32 s5, s4, 31
	s_delay_alu instid0(SALU_CYCLE_1)
	s_lshl_b64 s[4:5], s[4:5], 1
	global_load_u16 v42, v[5:6], off
	v_add_co_u32 v5, vcc_lo, v1, s4
	v_add_co_ci_u32_e32 v6, vcc_lo, s5, v3, vcc_lo
	global_load_u16 v43, v[5:6], off
	ds_load_b128 v[5:8], v44
	ds_load_b128 v[9:12], v44 offset:16
	s_waitcnt vmcnt(31)
	v_lshlrev_b32_e32 v2, 16, v2
	s_waitcnt lgkmcnt(1)
	s_delay_alu instid0(VALU_DEP_1) | instskip(SKIP_2) | instid1(VALU_DEP_1)
	v_fmac_f32_e32 v4, v5, v2
	s_waitcnt vmcnt(30)
	v_lshlrev_b32_e32 v2, 16, v23
	v_fmac_f32_e32 v4, v6, v2
	s_waitcnt vmcnt(29)
	v_lshlrev_b32_e32 v2, 16, v24
	s_delay_alu instid0(VALU_DEP_1) | instskip(SKIP_2) | instid1(VALU_DEP_1)
	v_fmac_f32_e32 v4, v7, v2
	s_waitcnt vmcnt(28)
	v_lshlrev_b32_e32 v2, 16, v25
	v_fmac_f32_e32 v4, v8, v2
	ds_load_b128 v[5:8], v44 offset:32
	s_waitcnt vmcnt(27)
	v_lshlrev_b32_e32 v2, 16, v26
	s_waitcnt lgkmcnt(1)
	s_delay_alu instid0(VALU_DEP_1) | instskip(SKIP_2) | instid1(VALU_DEP_1)
	v_fmac_f32_e32 v4, v9, v2
	s_waitcnt vmcnt(26)
	v_lshlrev_b32_e32 v2, 16, v27
	v_fmac_f32_e32 v4, v10, v2
	s_waitcnt vmcnt(24)
	v_lshlrev_b32_e32 v2, 16, v28
	s_delay_alu instid0(VALU_DEP_1) | instskip(SKIP_1) | instid1(VALU_DEP_1)
	v_fmac_f32_e32 v4, v11, v2
	v_lshlrev_b32_e32 v2, 16, v17
	v_fmac_f32_e32 v4, v12, v2
	ds_load_b128 v[9:12], v44 offset:48
	s_waitcnt vmcnt(23)
	v_lshlrev_b32_e32 v2, 16, v18
	s_waitcnt lgkmcnt(1)
	s_delay_alu instid0(VALU_DEP_1) | instskip(SKIP_2) | instid1(VALU_DEP_1)
	v_fmac_f32_e32 v4, v5, v2
	s_waitcnt vmcnt(21)
	v_lshlrev_b32_e32 v2, 16, v19
	v_fmac_f32_e32 v4, v6, v2
	s_waitcnt vmcnt(20)
	v_lshlrev_b32_e32 v2, 16, v20
	s_delay_alu instid0(VALU_DEP_1) | instskip(SKIP_2) | instid1(VALU_DEP_1)
	v_fmac_f32_e32 v4, v7, v2
	s_waitcnt vmcnt(19)
	v_lshlrev_b32_e32 v2, 16, v21
	v_fmac_f32_e32 v4, v8, v2
	s_waitcnt vmcnt(18)
	v_lshlrev_b32_e32 v2, 16, v22
	ds_load_b128 v[5:8], v44 offset:64
	s_waitcnt lgkmcnt(1)
	v_fmac_f32_e32 v4, v9, v2
	s_waitcnt vmcnt(17)
	v_lshlrev_b32_e32 v2, 16, v29
	s_delay_alu instid0(VALU_DEP_1) | instskip(SKIP_1) | instid1(VALU_DEP_1)
	v_fmac_f32_e32 v4, v10, v2
	v_lshlrev_b32_e32 v2, 16, v30
	v_fmac_f32_e32 v4, v11, v2
	s_waitcnt vmcnt(16)
	v_lshlrev_b32_e32 v2, 16, v15
	s_delay_alu instid0(VALU_DEP_1) | instskip(SKIP_4) | instid1(VALU_DEP_1)
	v_fmac_f32_e32 v4, v12, v2
	ds_load_b128 v[9:12], v44 offset:80
	s_waitcnt vmcnt(14)
	v_lshlrev_b32_e32 v2, 16, v16
	s_waitcnt lgkmcnt(1)
	v_fmac_f32_e32 v4, v5, v2
	s_waitcnt vmcnt(13)
	v_lshlrev_b32_e32 v2, 16, v31
	s_delay_alu instid0(VALU_DEP_1) | instskip(SKIP_2) | instid1(VALU_DEP_1)
	v_fmac_f32_e32 v4, v6, v2
	s_waitcnt vmcnt(12)
	v_lshlrev_b32_e32 v2, 16, v32
	v_fmac_f32_e32 v4, v7, v2
	v_lshlrev_b32_e32 v2, 16, v33
	s_delay_alu instid0(VALU_DEP_1) | instskip(SKIP_4) | instid1(VALU_DEP_1)
	v_fmac_f32_e32 v4, v8, v2
	ds_load_b128 v[5:8], v44 offset:96
	s_waitcnt vmcnt(11)
	v_lshlrev_b32_e32 v2, 16, v13
	s_waitcnt lgkmcnt(1)
	v_fmac_f32_e32 v4, v9, v2
	s_waitcnt vmcnt(9)
	v_lshlrev_b32_e32 v2, 16, v14
	s_delay_alu instid0(VALU_DEP_1) | instskip(SKIP_2) | instid1(VALU_DEP_1)
	v_fmac_f32_e32 v4, v10, v2
	s_waitcnt vmcnt(8)
	v_lshlrev_b32_e32 v2, 16, v34
	v_fmac_f32_e32 v4, v11, v2
	;; [unrolled: 15-line block ×3, first 2 shown]
	s_waitcnt vmcnt(4)
	v_lshlrev_b32_e32 v2, 16, v39
	s_delay_alu instid0(VALU_DEP_1) | instskip(SKIP_3) | instid1(VALU_DEP_1)
	v_fmac_f32_e32 v4, v8, v2
	s_waitcnt vmcnt(3)
	v_lshlrev_b32_e32 v2, 16, v40
	s_waitcnt lgkmcnt(0)
	v_fmac_f32_e32 v4, v9, v2
	s_waitcnt vmcnt(2)
	v_lshlrev_b32_e32 v2, 16, v41
	s_delay_alu instid0(VALU_DEP_1) | instskip(SKIP_2) | instid1(VALU_DEP_1)
	v_fmac_f32_e32 v4, v10, v2
	s_waitcnt vmcnt(1)
	v_lshlrev_b32_e32 v2, 16, v42
	v_fmac_f32_e32 v4, v11, v2
	s_waitcnt vmcnt(0)
	v_lshlrev_b32_e32 v2, 16, v43
	s_delay_alu instid0(VALU_DEP_1)
	v_fmac_f32_e32 v4, v12, v2
	s_branch .LBB599_14
.LBB599_17:
	v_mov_b32_e32 v1, 0
	s_and_b32 vcc_lo, exec_lo, s15
	ds_load_b32 v1, v1 offset:768
	s_cbranch_vccz .LBB599_19
; %bb.18:
	s_add_u32 s2, s12, s16
	s_addc_u32 s3, s13, s17
	s_load_b32 s2, s[2:3], 0x0
	s_mov_b32 s3, 0
.LBB599_19:
	s_waitcnt lgkmcnt(0)
	v_add_f32_e32 v1, 0x358637bd, v1
	s_delay_alu instid0(VALU_DEP_1) | instskip(NEXT) | instid1(VALU_DEP_1)
	v_div_scale_f32 v2, null, v1, v1, 1.0
	v_rcp_f32_e32 v3, v2
	s_waitcnt_depctr 0xfff
	v_fma_f32 v5, -v2, v3, 1.0
	s_delay_alu instid0(VALU_DEP_1) | instskip(SKIP_1) | instid1(VALU_DEP_1)
	v_fmac_f32_e32 v3, v5, v3
	v_div_scale_f32 v5, vcc_lo, 1.0, v1, 1.0
	v_mul_f32_e32 v6, v5, v3
	s_delay_alu instid0(VALU_DEP_1) | instskip(NEXT) | instid1(VALU_DEP_1)
	v_fma_f32 v7, -v2, v6, v5
	v_fmac_f32_e32 v6, v7, v3
	s_delay_alu instid0(VALU_DEP_1) | instskip(NEXT) | instid1(VALU_DEP_1)
	v_fma_f32 v2, -v2, v6, v5
	v_div_fmas_f32 v2, v2, v3, v6
	s_delay_alu instid0(VALU_DEP_1) | instskip(NEXT) | instid1(VALU_DEP_1)
	v_div_fixup_f32 v1, v2, v1, 1.0
	v_mul_f32_e32 v2, v4, v1
	s_delay_alu instid0(VALU_DEP_1) | instskip(NEXT) | instid1(VALU_DEP_1)
	v_and_b32_e32 v1, 0x7f800000, v2
	v_cmp_ne_u32_e32 vcc_lo, 0x7f800000, v1
                                        ; implicit-def: $vgpr1
	s_and_saveexec_b32 s4, vcc_lo
	s_delay_alu instid0(SALU_CYCLE_1)
	s_xor_b32 s4, exec_lo, s4
; %bb.20:
	v_bfe_u32 v1, v2, 16, 1
	s_delay_alu instid0(VALU_DEP_1)
	v_add3_u32 v1, v2, v1, 0x7fff
                                        ; implicit-def: $vgpr2
; %bb.21:
	s_and_not1_saveexec_b32 s4, s4
; %bb.22:
	v_and_b32_e32 v1, 0xffff, v2
	v_or_b32_e32 v3, 0x10000, v2
	s_delay_alu instid0(VALU_DEP_2) | instskip(NEXT) | instid1(VALU_DEP_2)
	v_cmp_eq_u32_e32 vcc_lo, 0, v1
	v_cndmask_b32_e32 v1, v3, v2, vcc_lo
; %bb.23:
	s_or_b32 exec_lo, exec_lo, s4
	s_mul_i32 s3, s33, s3
	s_mul_hi_u32 s4, s33, s2
	s_mul_i32 s2, s33, s2
	s_add_i32 s3, s4, s3
	s_mov_b32 s15, 0
	s_lshl_b64 s[2:3], s[2:3], 7
	v_and_b32_e32 v1, 0xffff0000, v1
	s_add_u32 s2, s0, s2
	s_addc_u32 s3, s1, s3
	s_lshl_b64 s[0:1], s[14:15], 7
	s_delay_alu instid0(SALU_CYCLE_1)
	s_add_u32 s0, s2, s0
	s_addc_u32 s1, s3, s1
	v_add_co_u32 v0, s0, s0, v0
	v_cvt_i32_f32_e32 v2, v1
	v_add_co_ci_u32_e64 v1, null, s1, 0, s0
	global_store_b8 v[0:1], v2, off
	s_nop 0
	s_sendmsg sendmsg(MSG_DEALLOC_VGPRS)
	s_endpgm
.LBB599_24:
	s_mov_b32 s4, 0
	s_branch .LBB599_2
	.section	.rodata,"a",@progbits
	.p2align	6, 0x0
	.amdhsa_kernel _Z35paged_attention_ll4mi_reduce_kernelI14__hip_bfloat16hLi128ELi128ELi256ELi6EEvPT0_PKfS4_PKT_PKiS9_iS4_
		.amdhsa_group_segment_fixed_size 772
		.amdhsa_private_segment_fixed_size 0
		.amdhsa_kernarg_size 320
		.amdhsa_user_sgpr_count 14
		.amdhsa_user_sgpr_dispatch_ptr 0
		.amdhsa_user_sgpr_queue_ptr 0
		.amdhsa_user_sgpr_kernarg_segment_ptr 1
		.amdhsa_user_sgpr_dispatch_id 0
		.amdhsa_user_sgpr_private_segment_size 0
		.amdhsa_wavefront_size32 1
		.amdhsa_uses_dynamic_stack 0
		.amdhsa_enable_private_segment 0
		.amdhsa_system_sgpr_workgroup_id_x 1
		.amdhsa_system_sgpr_workgroup_id_y 1
		.amdhsa_system_sgpr_workgroup_id_z 0
		.amdhsa_system_sgpr_workgroup_info 0
		.amdhsa_system_vgpr_workitem_id 0
		.amdhsa_next_free_vgpr 52
		.amdhsa_next_free_sgpr 49
		.amdhsa_reserve_vcc 1
		.amdhsa_float_round_mode_32 0
		.amdhsa_float_round_mode_16_64 0
		.amdhsa_float_denorm_mode_32 3
		.amdhsa_float_denorm_mode_16_64 3
		.amdhsa_dx10_clamp 1
		.amdhsa_ieee_mode 1
		.amdhsa_fp16_overflow 0
		.amdhsa_workgroup_processor_mode 1
		.amdhsa_memory_ordered 1
		.amdhsa_forward_progress 0
		.amdhsa_shared_vgpr_count 0
		.amdhsa_exception_fp_ieee_invalid_op 0
		.amdhsa_exception_fp_denorm_src 0
		.amdhsa_exception_fp_ieee_div_zero 0
		.amdhsa_exception_fp_ieee_overflow 0
		.amdhsa_exception_fp_ieee_underflow 0
		.amdhsa_exception_fp_ieee_inexact 0
		.amdhsa_exception_int_div_zero 0
	.end_amdhsa_kernel
	.section	.text._Z35paged_attention_ll4mi_reduce_kernelI14__hip_bfloat16hLi128ELi128ELi256ELi6EEvPT0_PKfS4_PKT_PKiS9_iS4_,"axG",@progbits,_Z35paged_attention_ll4mi_reduce_kernelI14__hip_bfloat16hLi128ELi128ELi256ELi6EEvPT0_PKfS4_PKT_PKiS9_iS4_,comdat
.Lfunc_end599:
	.size	_Z35paged_attention_ll4mi_reduce_kernelI14__hip_bfloat16hLi128ELi128ELi256ELi6EEvPT0_PKfS4_PKT_PKiS9_iS4_, .Lfunc_end599-_Z35paged_attention_ll4mi_reduce_kernelI14__hip_bfloat16hLi128ELi128ELi256ELi6EEvPT0_PKfS4_PKT_PKiS9_iS4_
                                        ; -- End function
	.section	.AMDGPU.csdata,"",@progbits
; Kernel info:
; codeLenInByte = 6312
; NumSgprs: 51
; NumVgprs: 52
; ScratchSize: 0
; MemoryBound: 0
; FloatMode: 240
; IeeeMode: 1
; LDSByteSize: 772 bytes/workgroup (compile time only)
; SGPRBlocks: 6
; VGPRBlocks: 6
; NumSGPRsForWavesPerEU: 51
; NumVGPRsForWavesPerEU: 52
; Occupancy: 16
; WaveLimiterHint : 0
; COMPUTE_PGM_RSRC2:SCRATCH_EN: 0
; COMPUTE_PGM_RSRC2:USER_SGPR: 14
; COMPUTE_PGM_RSRC2:TRAP_HANDLER: 0
; COMPUTE_PGM_RSRC2:TGID_X_EN: 1
; COMPUTE_PGM_RSRC2:TGID_Y_EN: 1
; COMPUTE_PGM_RSRC2:TGID_Z_EN: 0
; COMPUTE_PGM_RSRC2:TIDIG_COMP_CNT: 0
	.section	.text._Z35paged_attention_ll4mi_reduce_kernelI14__hip_bfloat16hLi128ELi128ELi256ELi7EEvPT0_PKfS4_PKT_PKiS9_iS4_,"axG",@progbits,_Z35paged_attention_ll4mi_reduce_kernelI14__hip_bfloat16hLi128ELi128ELi256ELi7EEvPT0_PKfS4_PKT_PKiS9_iS4_,comdat
	.protected	_Z35paged_attention_ll4mi_reduce_kernelI14__hip_bfloat16hLi128ELi128ELi256ELi7EEvPT0_PKfS4_PKT_PKiS9_iS4_ ; -- Begin function _Z35paged_attention_ll4mi_reduce_kernelI14__hip_bfloat16hLi128ELi128ELi256ELi7EEvPT0_PKfS4_PKT_PKiS9_iS4_
	.globl	_Z35paged_attention_ll4mi_reduce_kernelI14__hip_bfloat16hLi128ELi128ELi256ELi7EEvPT0_PKfS4_PKT_PKiS9_iS4_
	.p2align	8
	.type	_Z35paged_attention_ll4mi_reduce_kernelI14__hip_bfloat16hLi128ELi128ELi256ELi7EEvPT0_PKfS4_PKT_PKiS9_iS4_,@function
_Z35paged_attention_ll4mi_reduce_kernelI14__hip_bfloat16hLi128ELi128ELi256ELi7EEvPT0_PKfS4_PKT_PKiS9_iS4_: ; @_Z35paged_attention_ll4mi_reduce_kernelI14__hip_bfloat16hLi128ELi128ELi256ELi7EEvPT0_PKfS4_PKT_PKiS9_iS4_
; %bb.0:
	s_load_b64 s[12:13], s[0:1], 0x28
	s_mov_b32 s2, s15
	s_waitcnt lgkmcnt(0)
	s_cmp_lg_u64 s[12:13], 0
	s_cselect_b32 s15, -1, 0
	s_delay_alu instid0(SALU_CYCLE_1)
	s_and_b32 vcc_lo, exec_lo, s15
	s_cbranch_vccz .LBB600_24
; %bb.1:
	s_add_i32 s4, s2, 1
	s_mov_b32 s5, 0
	s_delay_alu instid0(SALU_CYCLE_1) | instskip(SKIP_4) | instid1(SALU_CYCLE_1)
	s_lshl_b64 s[6:7], s[4:5], 2
	s_mov_b32 s3, s5
	s_add_u32 s6, s12, s6
	s_addc_u32 s7, s13, s7
	s_lshl_b64 s[8:9], s[2:3], 2
	s_add_u32 s8, s12, s8
	s_addc_u32 s9, s13, s9
	s_clause 0x1
	s_load_b32 s4, s[6:7], 0x0
	s_load_b32 s6, s[8:9], 0x0
	s_waitcnt lgkmcnt(0)
	s_sub_i32 s4, s4, s6
	s_delay_alu instid0(SALU_CYCLE_1)
	s_cmp_eq_u32 s4, 1
	s_cselect_b32 s4, -1, 0
	s_cbranch_execnz .LBB600_3
.LBB600_2:
	s_mov_b32 s3, 0
	s_mov_b32 s4, -1
.LBB600_3:
	s_delay_alu instid0(SALU_CYCLE_1)
	s_and_not1_b32 vcc_lo, exec_lo, s4
	s_cbranch_vccz .LBB600_5
; %bb.4:
	s_endpgm
.LBB600_5:
	s_clause 0x1
	s_load_b128 s[4:7], s[0:1], 0x18
	s_load_b32 s9, s[0:1], 0x30
	s_lshl_b64 s[16:17], s[2:3], 2
	s_waitcnt lgkmcnt(0)
	s_add_u32 s6, s6, s16
	s_addc_u32 s7, s7, s17
	s_load_b32 s23, s[6:7], 0x0
	s_load_b32 s33, s[0:1], 0x40
	s_mul_i32 s7, s2, s9
	s_waitcnt lgkmcnt(0)
	s_add_i32 s22, s23, 0xff
	s_delay_alu instid0(SALU_CYCLE_1) | instskip(NEXT) | instid1(SALU_CYCLE_1)
	s_ashr_i32 s6, s22, 31
	s_lshr_b32 s6, s6, 24
	s_delay_alu instid0(SALU_CYCLE_1) | instskip(SKIP_4) | instid1(SALU_CYCLE_1)
	s_add_i32 s8, s22, s6
	s_mul_i32 s6, s14, s9
	s_mov_b32 s9, exec_lo
	v_cmpx_lt_u32_e32 31, v0
	s_xor_b32 s9, exec_lo, s9
	s_or_saveexec_b32 s24, s9
	v_mov_b32_e32 v1, s6
	s_ashr_i32 s40, s8, 8
	s_mul_i32 s18, s7, s33
	s_xor_b32 exec_lo, exec_lo, s24
	s_cbranch_execz .LBB600_9
; %bb.6:
	v_or_b32_e32 v2, 32, v0
	v_cmp_gt_i32_e32 vcc_lo, s40, v0
	s_add_i32 s20, s40, -1
	v_or_b32_e32 v4, 64, v0
	v_or_b32_e32 v6, 0xa0, v0
	s_load_b128 s[8:11], s[0:1], 0x8
	v_cndmask_b32_e32 v1, s20, v0, vcc_lo
	v_cmp_gt_i32_e32 vcc_lo, s40, v2
	s_mov_b32 s19, 0
	s_delay_alu instid0(SALU_CYCLE_1)
	s_mov_b32 s7, s19
	v_cndmask_b32_e32 v3, s20, v2, vcc_lo
	v_or_b32_e32 v2, 0x60, v0
	v_cmp_gt_i32_e32 vcc_lo, s40, v4
	v_cndmask_b32_e32 v5, s20, v4, vcc_lo
	v_or_b32_e32 v4, 0x80, v0
	s_delay_alu instid0(VALU_DEP_4) | instskip(SKIP_1) | instid1(VALU_DEP_3)
	v_cmp_gt_i32_e32 vcc_lo, s40, v2
	v_cndmask_b32_e32 v7, s20, v2, vcc_lo
	v_cmp_gt_i32_e32 vcc_lo, s40, v4
	v_or_b32_e32 v2, 0xc0, v0
	s_delay_alu instid0(VALU_DEP_3) | instskip(SKIP_3) | instid1(VALU_DEP_4)
	v_ashrrev_i32_e32 v8, 31, v7
	v_cndmask_b32_e32 v9, s20, v4, vcc_lo
	v_cmp_gt_i32_e32 vcc_lo, s40, v6
	v_ashrrev_i32_e32 v4, 31, v3
	v_lshlrev_b64 v[7:8], 2, v[7:8]
	s_delay_alu instid0(VALU_DEP_4)
	v_ashrrev_i32_e32 v10, 31, v9
	v_cndmask_b32_e32 v11, s20, v6, vcc_lo
	v_cmp_gt_i32_e32 vcc_lo, s40, v2
	v_ashrrev_i32_e32 v6, 31, v5
	v_lshlrev_b64 v[3:4], 2, v[3:4]
	v_lshlrev_b64 v[9:10], 2, v[9:10]
	v_ashrrev_i32_e32 v12, 31, v11
	v_cndmask_b32_e32 v13, s20, v2, vcc_lo
	v_ashrrev_i32_e32 v2, 31, v1
	s_lshl_b64 s[20:21], s[18:19], 2
	v_lshlrev_b64 v[5:6], 2, v[5:6]
	s_waitcnt lgkmcnt(0)
	s_add_u32 s19, s10, s20
	s_addc_u32 s25, s11, s21
	v_lshlrev_b64 v[1:2], 2, v[1:2]
	s_lshl_b64 s[10:11], s[6:7], 2
	v_lshlrev_b64 v[11:12], 2, v[11:12]
	s_add_u32 s7, s19, s10
	s_addc_u32 s19, s25, s11
	s_delay_alu instid0(VALU_DEP_2)
	v_add_co_u32 v14, vcc_lo, s7, v1
	v_add_co_ci_u32_e32 v15, vcc_lo, s19, v2, vcc_lo
	v_add_co_u32 v16, vcc_lo, s7, v3
	v_add_co_ci_u32_e32 v17, vcc_lo, s19, v4, vcc_lo
	;; [unrolled: 2-line block ×3, first 2 shown]
	s_clause 0x2
	global_load_b32 v23, v[14:15], off
	global_load_b32 v24, v[16:17], off
	;; [unrolled: 1-line block ×3, first 2 shown]
	v_ashrrev_i32_e32 v14, 31, v13
	v_add_co_u32 v15, vcc_lo, s7, v7
	v_add_co_ci_u32_e32 v16, vcc_lo, s19, v8, vcc_lo
	v_add_co_u32 v17, vcc_lo, s7, v9
	s_delay_alu instid0(VALU_DEP_4) | instskip(SKIP_3) | instid1(VALU_DEP_4)
	v_lshlrev_b64 v[13:14], 2, v[13:14]
	v_add_co_ci_u32_e32 v18, vcc_lo, s19, v10, vcc_lo
	v_add_co_u32 v19, vcc_lo, s7, v11
	v_add_co_ci_u32_e32 v20, vcc_lo, s19, v12, vcc_lo
	v_add_co_u32 v21, vcc_lo, s7, v13
	v_add_co_ci_u32_e32 v22, vcc_lo, s19, v14, vcc_lo
	s_clause 0x3
	global_load_b32 v15, v[15:16], off
	global_load_b32 v16, v[17:18], off
	;; [unrolled: 1-line block ×4, first 2 shown]
	s_add_u32 s7, s8, s20
	s_addc_u32 s8, s9, s21
	s_add_u32 s7, s7, s10
	s_addc_u32 s8, s8, s11
	v_add_co_u32 v1, vcc_lo, s7, v1
	v_add_co_ci_u32_e32 v2, vcc_lo, s8, v2, vcc_lo
	v_add_co_u32 v3, vcc_lo, s7, v3
	v_add_co_ci_u32_e32 v4, vcc_lo, s8, v4, vcc_lo
	;; [unrolled: 2-line block ×5, first 2 shown]
	s_clause 0x4
	global_load_b32 v19, v[1:2], off
	global_load_b32 v3, v[3:4], off
	;; [unrolled: 1-line block ×5, first 2 shown]
	v_add_co_u32 v1, vcc_lo, s7, v11
	v_add_co_ci_u32_e32 v2, vcc_lo, s8, v12, vcc_lo
	global_load_b32 v7, v[1:2], off
	v_add_co_u32 v1, vcc_lo, s7, v13
	v_add_co_ci_u32_e32 v2, vcc_lo, s8, v14, vcc_lo
	s_mov_b32 s7, exec_lo
	global_load_b32 v1, v[1:2], off
	v_mbcnt_lo_u32_b32 v2, -1, 0
	s_delay_alu instid0(VALU_DEP_1)
	v_xor_b32_e32 v8, 16, v2
	v_xor_b32_e32 v11, 8, v2
	;; [unrolled: 1-line block ×5, first 2 shown]
	v_cmp_gt_i32_e32 vcc_lo, 32, v8
	v_cndmask_b32_e32 v8, v2, v8, vcc_lo
	v_cmp_gt_i32_e32 vcc_lo, 32, v11
	v_cndmask_b32_e32 v11, v2, v11, vcc_lo
	;; [unrolled: 2-line block ×4, first 2 shown]
	v_cmp_gt_i32_e32 vcc_lo, 32, v14
	s_delay_alu instid0(VALU_DEP_2) | instskip(NEXT) | instid1(VALU_DEP_1)
	v_dual_cndmask_b32 v2, v2, v14 :: v_dual_lshlrev_b32 v13, 2, v13
	v_lshlrev_b32_e32 v2, 2, v2
	v_lshlrev_b32_e32 v11, 2, v11
	v_lshlrev_b32_e32 v8, 2, v8
	s_waitcnt vmcnt(11)
	v_max3_f32 v9, v23, v24, v25
	s_waitcnt vmcnt(9)
	s_delay_alu instid0(VALU_DEP_1) | instskip(SKIP_1) | instid1(VALU_DEP_1)
	v_max3_f32 v9, v9, v15, v16
	s_waitcnt vmcnt(7)
	v_max3_f32 v9, v9, v17, v18
	ds_bpermute_b32 v10, v8, v9
	s_waitcnt lgkmcnt(0)
	v_max_f32_e32 v10, v10, v10
	s_delay_alu instid0(VALU_DEP_1) | instskip(SKIP_3) | instid1(VALU_DEP_1)
	v_max_f32_e32 v9, v9, v10
	ds_bpermute_b32 v10, v11, v9
	s_waitcnt lgkmcnt(0)
	v_max_f32_e32 v10, v10, v10
	v_dual_max_f32 v9, v9, v10 :: v_dual_lshlrev_b32 v12, 2, v12
	ds_bpermute_b32 v10, v12, v9
	s_waitcnt lgkmcnt(0)
	v_max_f32_e32 v10, v10, v10
	s_delay_alu instid0(VALU_DEP_1) | instskip(SKIP_3) | instid1(VALU_DEP_1)
	v_max_f32_e32 v9, v9, v10
	ds_bpermute_b32 v10, v13, v9
	s_waitcnt lgkmcnt(0)
	v_max_f32_e32 v10, v10, v10
	v_max_f32_e32 v9, v9, v10
	ds_bpermute_b32 v10, v2, v9
	s_waitcnt lgkmcnt(0)
	v_max_f32_e32 v10, v10, v10
	s_delay_alu instid0(VALU_DEP_1) | instskip(SKIP_1) | instid1(VALU_DEP_2)
	v_max_f32_e32 v9, v9, v10
	v_sub_nc_u32_e32 v10, s40, v0
	v_sub_f32_e32 v20, v24, v9
	v_sub_f32_e32 v21, v25, v9
	;; [unrolled: 1-line block ×4, first 2 shown]
	s_delay_alu instid0(VALU_DEP_4) | instskip(NEXT) | instid1(VALU_DEP_3)
	v_dual_sub_f32 v17, v17, v9 :: v_dual_mul_f32 v22, 0x3fb8aa3b, v20
	v_mul_f32_e32 v24, 0x3fb8aa3b, v15
	s_delay_alu instid0(VALU_DEP_3) | instskip(NEXT) | instid1(VALU_DEP_3)
	v_cmp_ngt_f32_e32 vcc_lo, 0xc2ce8ed0, v14
	v_rndne_f32_e32 v31, v22
	v_mul_f32_e32 v23, 0x3fb8aa3b, v21
	v_fma_f32 v30, 0x3fb8aa3b, v20, -v22
	v_fma_f32 v34, 0x3fb8aa3b, v15, -v24
	v_rndne_f32_e32 v35, v24
	v_sub_f32_e32 v22, v22, v31
	v_fma_f32 v32, 0x3fb8aa3b, v21, -v23
	v_rndne_f32_e32 v33, v23
	v_fmac_f32_e32 v34, 0x32a5705f, v15
	v_sub_f32_e32 v24, v24, v35
	v_fmac_f32_e32 v30, 0x32a5705f, v20
	v_fmac_f32_e32 v32, 0x32a5705f, v21
	v_sub_f32_e32 v23, v23, v33
	v_sub_f32_e32 v16, v16, v9
	v_dual_sub_f32 v9, v18, v9 :: v_dual_mul_f32 v18, 0x3fb8aa3b, v14
	v_cvt_i32_f32_e32 v31, v31
	s_delay_alu instid0(VALU_DEP_4) | instskip(NEXT) | instid1(VALU_DEP_4)
	v_add_f32_e32 v23, v23, v32
	v_dual_mul_f32 v25, 0x3fb8aa3b, v16 :: v_dual_add_f32 v24, v24, v34
	s_delay_alu instid0(VALU_DEP_4) | instskip(SKIP_1) | instid1(VALU_DEP_4)
	v_fma_f32 v28, 0x3fb8aa3b, v14, -v18
	v_rndne_f32_e32 v29, v18
	v_exp_f32_e32 v23, v23
	s_delay_alu instid0(VALU_DEP_3) | instskip(SKIP_4) | instid1(VALU_DEP_4)
	v_fma_f32 v36, 0x3fb8aa3b, v16, -v25
	v_rndne_f32_e32 v37, v25
	v_fmac_f32_e32 v28, 0x32a5705f, v14
	v_mul_f32_e32 v26, 0x3fb8aa3b, v17
	v_sub_f32_e32 v18, v18, v29
	v_dual_fmac_f32 v36, 0x32a5705f, v16 :: v_dual_sub_f32 v25, v25, v37
	v_cvt_i32_f32_e32 v29, v29
	s_delay_alu instid0(VALU_DEP_4)
	v_rndne_f32_e32 v39, v26
	v_mul_f32_e32 v27, 0x3fb8aa3b, v9
	v_fma_f32 v38, 0x3fb8aa3b, v17, -v26
	v_add_f32_e32 v25, v25, v36
	v_add_f32_e32 v18, v18, v28
	v_sub_f32_e32 v26, v26, v39
	v_rndne_f32_e32 v41, v27
	v_fma_f32 v40, 0x3fb8aa3b, v9, -v27
	v_exp_f32_e32 v25, v25
	v_cvt_i32_f32_e32 v28, v37
	v_exp_f32_e32 v18, v18
	v_sub_f32_e32 v27, v27, v41
	v_cvt_i32_f32_e32 v33, v33
	v_exp_f32_e32 v24, v24
	v_cvt_i32_f32_e32 v35, v35
	v_cvt_i32_f32_e32 v32, v41
	s_delay_alu instid0(VALU_DEP_3) | instskip(NEXT) | instid1(TRANS32_DEP_3)
	v_ldexp_f32 v23, v23, v33
	v_ldexp_f32 v25, v25, v28
	v_add_f32_e32 v22, v22, v30
	s_delay_alu instid0(TRANS32_DEP_2) | instskip(SKIP_1) | instid1(TRANS32_DEP_1)
	v_ldexp_f32 v18, v18, v29
	v_cvt_i32_f32_e32 v30, v39
	v_ldexp_f32 v24, v24, v35
	s_delay_alu instid0(VALU_DEP_4) | instskip(NEXT) | instid1(VALU_DEP_3)
	v_exp_f32_e32 v22, v22
	v_cndmask_b32_e32 v18, 0, v18, vcc_lo
	v_cmp_ngt_f32_e32 vcc_lo, 0xc2ce8ed0, v20
	s_waitcnt_depctr 0xfff
	v_ldexp_f32 v22, v22, v31
	s_delay_alu instid0(VALU_DEP_1) | instskip(SKIP_3) | instid1(VALU_DEP_2)
	v_cndmask_b32_e32 v22, 0, v22, vcc_lo
	v_cmp_ngt_f32_e32 vcc_lo, 0xc2ce8ed0, v21
	v_dual_fmac_f32 v40, 0x32a5705f, v9 :: v_dual_cndmask_b32 v23, 0, v23
	v_cmp_ngt_f32_e32 vcc_lo, 0xc2ce8ed0, v15
	v_dual_fmac_f32 v38, 0x32a5705f, v17 :: v_dual_add_f32 v27, v27, v40
	v_cndmask_b32_e32 v24, 0, v24, vcc_lo
	v_cmp_ngt_f32_e32 vcc_lo, 0xc2ce8ed0, v16
	s_delay_alu instid0(VALU_DEP_3)
	v_exp_f32_e32 v27, v27
	v_cndmask_b32_e32 v25, 0, v25, vcc_lo
	v_cmp_nlt_f32_e32 vcc_lo, 0x42b17218, v14
	v_cndmask_b32_e32 v14, 0x7f800000, v18, vcc_lo
	v_cmp_nlt_f32_e32 vcc_lo, 0x42b17218, v20
	;; [unrolled: 2-line block ×4, first 2 shown]
	v_dual_add_f32 v26, v26, v38 :: v_dual_cndmask_b32 v15, 0x7f800000, v24
	v_cmp_nlt_f32_e32 vcc_lo, 0x42b17218, v16
	s_delay_alu instid0(VALU_DEP_2)
	v_exp_f32_e32 v26, v26
	v_cndmask_b32_e32 v16, 0x7f800000, v25, vcc_lo
	v_cmp_lt_i32_e32 vcc_lo, 0, v10
	v_cndmask_b32_e32 v14, 0, v14, vcc_lo
	v_cmp_lt_i32_e32 vcc_lo, 32, v10
	s_waitcnt_depctr 0xfff
	v_ldexp_f32 v26, v26, v30
	v_cndmask_b32_e32 v18, 0, v18, vcc_lo
	v_cmp_lt_i32_e32 vcc_lo, 64, v10
	v_cndmask_b32_e32 v20, 0, v20, vcc_lo
	v_cmp_lt_i32_e32 vcc_lo, 0x60, v10
	;; [unrolled: 2-line block ×3, first 2 shown]
	s_waitcnt vmcnt(3)
	s_delay_alu instid0(VALU_DEP_2) | instskip(SKIP_2) | instid1(VALU_DEP_2)
	v_dual_mul_f32 v5, v5, v15 :: v_dual_cndmask_b32 v16, 0, v16
	v_cmp_ngt_f32_e32 vcc_lo, 0xc2ce8ed0, v17
	s_waitcnt vmcnt(2)
	v_dual_mul_f32 v6, v6, v16 :: v_dual_cndmask_b32 v15, 0, v26
	v_cmp_nlt_f32_e32 vcc_lo, 0x42b17218, v17
	v_mul_f32_e32 v4, v4, v20
	v_ldexp_f32 v16, v27, v32
	s_delay_alu instid0(VALU_DEP_4) | instskip(SKIP_1) | instid1(VALU_DEP_3)
	v_cndmask_b32_e32 v15, 0x7f800000, v15, vcc_lo
	v_cmp_ngt_f32_e32 vcc_lo, 0xc2ce8ed0, v9
	v_cndmask_b32_e32 v16, 0, v16, vcc_lo
	v_cmp_lt_i32_e32 vcc_lo, 0xa0, v10
	s_delay_alu instid0(VALU_DEP_4) | instskip(SKIP_3) | instid1(VALU_DEP_3)
	v_cndmask_b32_e32 v15, 0, v15, vcc_lo
	v_cmp_nlt_f32_e32 vcc_lo, 0x42b17218, v9
	v_mul_f32_e32 v14, v19, v14
	s_waitcnt vmcnt(1)
	v_mul_f32_e32 v7, v7, v15
	v_cndmask_b32_e32 v9, 0x7f800000, v16, vcc_lo
	v_cmp_lt_i32_e32 vcc_lo, 0xc0, v10
	s_delay_alu instid0(VALU_DEP_2) | instskip(SKIP_2) | instid1(VALU_DEP_1)
	v_cndmask_b32_e32 v9, 0, v9, vcc_lo
	v_mul_f32_e32 v3, v3, v18
	s_waitcnt vmcnt(0)
	v_dual_mul_f32 v9, v1, v9 :: v_dual_add_f32 v18, v14, v3
	s_delay_alu instid0(VALU_DEP_1) | instskip(NEXT) | instid1(VALU_DEP_1)
	v_add_f32_e32 v17, v18, v4
	v_add_f32_e32 v16, v17, v5
	s_delay_alu instid0(VALU_DEP_1) | instskip(NEXT) | instid1(VALU_DEP_1)
	v_add_f32_e32 v10, v16, v6
	v_add_f32_e32 v1, v10, v7
	s_delay_alu instid0(VALU_DEP_1)
	v_add_f32_e32 v1, v1, v9
	ds_bpermute_b32 v8, v8, v1
	s_waitcnt lgkmcnt(0)
	v_add_f32_e32 v1, v1, v8
	ds_bpermute_b32 v8, v11, v1
	s_waitcnt lgkmcnt(0)
	v_add_f32_e32 v1, v1, v8
	ds_bpermute_b32 v8, v12, v1
	s_waitcnt lgkmcnt(0)
	v_add_f32_e32 v1, v1, v8
	ds_bpermute_b32 v8, v13, v1
	s_waitcnt lgkmcnt(0)
	v_add_f32_e32 v1, v1, v8
	v_lshlrev_b32_e32 v8, 2, v0
	ds_store_2addr_b32 v8, v14, v3 offset1:32
	ds_store_2addr_b32 v8, v4, v5 offset0:64 offset1:96
	ds_store_2addr_b32 v8, v6, v7 offset0:128 offset1:160
	ds_store_b32 v8, v9 offset:768
	ds_bpermute_b32 v2, v2, v1
	v_cmpx_eq_u32_e32 0, v0
	s_cbranch_execz .LBB600_8
; %bb.7:
	s_waitcnt lgkmcnt(0)
	v_dual_add_f32 v1, v1, v2 :: v_dual_mov_b32 v2, 0
	ds_store_b32 v2, v1 offset:896
.LBB600_8:
	s_or_b32 exec_lo, exec_lo, s7
	v_mov_b32_e32 v1, s6
.LBB600_9:
	s_or_b32 exec_lo, exec_lo, s24
	s_lshl_b32 s6, s18, 7
	s_mov_b32 s7, 0
	s_waitcnt lgkmcnt(0)
	v_dual_mov_b32 v2, 0 :: v_dual_lshlrev_b32 v1, 7, v1
	s_lshl_b64 s[6:7], s[6:7], 1
	v_dual_mov_b32 v31, 0 :: v_dual_mov_b32 v32, 0
	s_add_u32 s34, s4, s6
	s_addc_u32 s35, s5, s7
	s_lshl_b32 s41, s40, 7
	v_lshlrev_b64 v[3:4], 1, v[1:2]
	s_add_i32 s42, s41, 0xffffff80
	s_cmpk_lt_i32 s22, 0x100
	v_lshlrev_b32_e32 v1, 1, v0
	s_cselect_b32 s4, s42, 0
	v_dual_mov_b32 v33, 0 :: v_dual_mov_b32 v34, 0
	s_ashr_i32 s5, s4, 31
	v_add_co_u32 v3, vcc_lo, s34, v3
	s_lshl_b64 s[4:5], s[4:5], 1
	s_cmpk_lt_i32 s22, 0x200
	v_add_co_ci_u32_e32 v4, vcc_lo, s35, v4, vcc_lo
	s_cselect_b32 s6, s42, 0x80
	v_add_co_u32 v1, vcc_lo, v3, v1
	s_ashr_i32 s7, s6, 31
	s_delay_alu instid0(VALU_DEP_2)
	v_add_co_ci_u32_e32 v3, vcc_lo, 0, v4, vcc_lo
	s_lshl_b64 s[6:7], s[6:7], 1
	s_cmpk_lt_i32 s22, 0x300
	v_add_co_u32 v4, vcc_lo, v1, s4
	s_cselect_b32 s8, s42, 0x100
	v_add_co_ci_u32_e32 v5, vcc_lo, s5, v3, vcc_lo
	s_ashr_i32 s9, s8, 31
	v_add_co_u32 v6, vcc_lo, v1, s6
	s_lshl_b64 s[8:9], s[8:9], 1
	s_cmpk_lt_i32 s22, 0x400
	v_add_co_ci_u32_e32 v7, vcc_lo, s7, v3, vcc_lo
	s_cselect_b32 s10, s42, 0x180
	v_add_co_u32 v8, vcc_lo, v1, s8
	s_ashr_i32 s11, s10, 31
	v_add_co_ci_u32_e32 v9, vcc_lo, s9, v3, vcc_lo
	s_lshl_b64 s[10:11], s[10:11], 1
	s_cmpk_lt_i32 s22, 0x500
	v_add_co_u32 v11, vcc_lo, v1, s10
	s_cselect_b32 s18, s42, 0x200
	v_add_co_ci_u32_e32 v12, vcc_lo, s11, v3, vcc_lo
	s_ashr_i32 s19, s18, 31
	v_mov_b32_e32 v35, 0
	s_lshl_b64 s[18:19], s[18:19], 1
	s_cmpk_lt_i32 s22, 0x600
	v_add_co_u32 v14, vcc_lo, v1, s18
	s_cselect_b32 s20, s42, 0x280
	v_add_co_ci_u32_e32 v15, vcc_lo, s19, v3, vcc_lo
	s_ashr_i32 s21, s20, 31
	v_mov_b32_e32 v30, 0
	s_lshl_b64 s[20:21], s[20:21], 1
	s_cmpk_lt_i32 s22, 0x700
	v_add_co_u32 v16, vcc_lo, v1, s20
	s_cselect_b32 s24, s42, 0x300
	v_add_co_ci_u32_e32 v17, vcc_lo, s21, v3, vcc_lo
	s_ashr_i32 s25, s24, 31
	s_delay_alu instid0(SALU_CYCLE_1)
	s_lshl_b64 s[24:25], s[24:25], 1
	s_cmpk_lt_i32 s22, 0x800
	v_add_co_u32 v18, vcc_lo, v1, s24
	s_cselect_b32 s26, s42, 0x380
	v_add_co_ci_u32_e32 v19, vcc_lo, s25, v3, vcc_lo
	s_ashr_i32 s27, s26, 31
	s_delay_alu instid0(SALU_CYCLE_1)
	s_lshl_b64 s[26:27], s[26:27], 1
	s_cmpk_lt_i32 s22, 0x900
	v_add_co_u32 v20, vcc_lo, v1, s26
	s_cselect_b32 s28, s42, 0x400
	v_add_co_ci_u32_e32 v21, vcc_lo, s27, v3, vcc_lo
	s_ashr_i32 s29, s28, 31
	s_clause 0x7
	global_load_u16 v13, v[4:5], off
	global_load_u16 v4, v[6:7], off
	;; [unrolled: 1-line block ×8, first 2 shown]
	s_lshl_b64 s[28:29], s[28:29], 1
	s_cmpk_lt_i32 s22, 0xa00
	v_add_co_u32 v11, vcc_lo, v1, s28
	s_cselect_b32 s30, s42, 0x480
	v_add_co_ci_u32_e32 v12, vcc_lo, s29, v3, vcc_lo
	s_ashr_i32 s31, s30, 31
	s_delay_alu instid0(SALU_CYCLE_1)
	s_lshl_b64 s[30:31], s[30:31], 1
	s_cmpk_lt_i32 s22, 0xb00
	v_add_co_u32 v14, vcc_lo, v1, s30
	s_cselect_b32 s34, s42, 0x500
	v_add_co_ci_u32_e32 v15, vcc_lo, s31, v3, vcc_lo
	s_ashr_i32 s35, s34, 31
	s_delay_alu instid0(SALU_CYCLE_1)
	;; [unrolled: 7-line block ×7, first 2 shown]
	s_lshl_b64 s[4:5], s[6:7], 1
	s_cmpk_gt_i32 s23, 0x1000
	v_add_co_u32 v28, vcc_lo, v1, s4
	v_add_co_ci_u32_e32 v29, vcc_lo, s5, v3, vcc_lo
	s_clause 0x7
	global_load_u16 v19, v[11:12], off
	global_load_u16 v18, v[14:15], off
	;; [unrolled: 1-line block ×8, first 2 shown]
	v_dual_mov_b32 v20, 0 :: v_dual_mov_b32 v21, 0
	v_dual_mov_b32 v22, 0 :: v_dual_mov_b32 v23, 0
	;; [unrolled: 1-line block ×5, first 2 shown]
	s_cselect_b32 s6, -1, 0
	s_cmpk_lt_i32 s23, 0x1001
	s_waitcnt vmcnt(0)
	s_barrier
	buffer_gl0_inv
	s_cbranch_scc1 .LBB600_11
; %bb.10:
	s_cmpk_lt_i32 s22, 0x1100
	s_cselect_b32 s4, s42, 0x800
	s_delay_alu instid0(SALU_CYCLE_1) | instskip(NEXT) | instid1(SALU_CYCLE_1)
	s_ashr_i32 s5, s4, 31
	s_lshl_b64 s[4:5], s[4:5], 1
	s_cmpk_lt_i32 s22, 0x1200
	v_add_co_u32 v20, vcc_lo, v1, s4
	s_cselect_b32 s8, s42, 0x880
	v_add_co_ci_u32_e32 v21, vcc_lo, s5, v3, vcc_lo
	s_ashr_i32 s9, s8, 31
	s_delay_alu instid0(SALU_CYCLE_1)
	s_lshl_b64 s[8:9], s[8:9], 1
	s_cmpk_lt_i32 s22, 0x1300
	v_add_co_u32 v22, vcc_lo, v1, s8
	s_cselect_b32 s10, s42, 0x900
	v_add_co_ci_u32_e32 v23, vcc_lo, s9, v3, vcc_lo
	s_ashr_i32 s11, s10, 31
	s_delay_alu instid0(SALU_CYCLE_1)
	;; [unrolled: 7-line block ×14, first 2 shown]
	s_lshl_b64 s[4:5], s[18:19], 1
	s_cmpk_lt_i32 s22, 0x2000
	v_add_co_u32 v48, vcc_lo, v1, s4
	s_cselect_b32 s8, s42, 0xf80
	v_add_co_ci_u32_e32 v49, vcc_lo, s5, v3, vcc_lo
	s_ashr_i32 s9, s8, 31
	s_delay_alu instid0(SALU_CYCLE_1) | instskip(NEXT) | instid1(SALU_CYCLE_1)
	s_lshl_b64 s[4:5], s[8:9], 1
	v_add_co_u32 v50, vcc_lo, v1, s4
	v_add_co_ci_u32_e32 v51, vcc_lo, s5, v3, vcc_lo
	s_clause 0xf
	global_load_u16 v20, v[20:21], off
	global_load_u16 v21, v[22:23], off
	global_load_u16 v22, v[24:25], off
	global_load_u16 v23, v[26:27], off
	global_load_u16 v24, v[28:29], off
	global_load_u16 v25, v[30:31], off
	global_load_u16 v26, v[32:33], off
	global_load_u16 v27, v[34:35], off
	global_load_u16 v36, v[36:37], off
	global_load_u16 v37, v[38:39], off
	global_load_u16 v38, v[40:41], off
	global_load_u16 v39, v[42:43], off
	global_load_u16 v40, v[44:45], off
	global_load_u16 v41, v[46:47], off
	global_load_u16 v42, v[48:49], off
	global_load_u16 v43, v[50:51], off
	s_waitcnt vmcnt(15)
	v_lshlrev_b32_e32 v35, 16, v20
	s_waitcnt vmcnt(14)
	v_lshlrev_b32_e32 v34, 16, v21
	;; [unrolled: 2-line block ×16, first 2 shown]
.LBB600_11:
	ds_load_b128 v[36:39], v2
	ds_load_b128 v[40:43], v2 offset:16
	v_lshlrev_b32_e32 v44, 16, v4
	v_lshlrev_b32_e32 v13, 16, v13
	;; [unrolled: 1-line block ×5, first 2 shown]
	s_load_b64 s[0:1], s[0:1], 0x0
	s_and_b32 vcc_lo, exec_lo, s6
	v_lshlrev_b32_e32 v5, 16, v5
	s_waitcnt lgkmcnt(0)
	v_fma_f32 v4, v36, v13, 0
	s_delay_alu instid0(VALU_DEP_1) | instskip(NEXT) | instid1(VALU_DEP_1)
	v_dual_fmac_f32 v4, v37, v44 :: v_dual_lshlrev_b32 v13, 16, v7
	v_dual_fmac_f32 v4, v38, v10 :: v_dual_lshlrev_b32 v9, 16, v9
	s_delay_alu instid0(VALU_DEP_1) | instskip(SKIP_4) | instid1(VALU_DEP_1)
	v_fmac_f32_e32 v4, v39, v9
	ds_load_b128 v[36:39], v2 offset:48
	v_fmac_f32_e32 v4, v40, v8
	ds_load_b128 v[7:10], v2 offset:32
	v_fmac_f32_e32 v4, v41, v13
	v_fmac_f32_e32 v4, v42, v6
	v_lshlrev_b32_e32 v6, 16, v19
	s_delay_alu instid0(VALU_DEP_2) | instskip(SKIP_1) | instid1(VALU_DEP_1)
	v_dual_fmac_f32 v4, v43, v5 :: v_dual_lshlrev_b32 v5, 16, v18
	s_waitcnt lgkmcnt(0)
	v_fmac_f32_e32 v4, v7, v6
	v_lshlrev_b32_e32 v6, 16, v17
	s_delay_alu instid0(VALU_DEP_2) | instskip(NEXT) | instid1(VALU_DEP_1)
	v_dual_fmac_f32 v4, v8, v5 :: v_dual_lshlrev_b32 v5, 16, v16
	v_fmac_f32_e32 v4, v9, v6
	v_lshlrev_b32_e32 v6, 16, v15
	s_delay_alu instid0(VALU_DEP_2) | instskip(NEXT) | instid1(VALU_DEP_1)
	v_dual_fmac_f32 v4, v10, v5 :: v_dual_lshlrev_b32 v5, 16, v14
	;; [unrolled: 4-line block ×3, first 2 shown]
	v_fmac_f32_e32 v4, v38, v6
	s_delay_alu instid0(VALU_DEP_1)
	v_fmac_f32_e32 v4, v39, v5
	s_cbranch_vccz .LBB600_13
; %bb.12:
	ds_load_b128 v[5:8], v2 offset:64
	ds_load_b128 v[9:12], v2 offset:80
	s_waitcnt lgkmcnt(1)
	v_fmac_f32_e32 v4, v5, v35
	s_delay_alu instid0(VALU_DEP_1) | instskip(NEXT) | instid1(VALU_DEP_1)
	v_fmac_f32_e32 v4, v6, v34
	v_fmac_f32_e32 v4, v7, v33
	s_delay_alu instid0(VALU_DEP_1) | instskip(SKIP_3) | instid1(VALU_DEP_1)
	v_fmac_f32_e32 v4, v8, v32
	ds_load_b128 v[5:8], v2 offset:96
	s_waitcnt lgkmcnt(1)
	v_fmac_f32_e32 v4, v9, v31
	v_fmac_f32_e32 v4, v10, v30
	s_delay_alu instid0(VALU_DEP_1) | instskip(NEXT) | instid1(VALU_DEP_1)
	v_fmac_f32_e32 v4, v11, v29
	v_fmac_f32_e32 v4, v12, v28
	ds_load_b128 v[9:12], v2 offset:112
	s_waitcnt lgkmcnt(1)
	v_fmac_f32_e32 v4, v5, v27
	s_delay_alu instid0(VALU_DEP_1) | instskip(NEXT) | instid1(VALU_DEP_1)
	v_fmac_f32_e32 v4, v6, v26
	v_fmac_f32_e32 v4, v7, v25
	s_delay_alu instid0(VALU_DEP_1) | instskip(SKIP_1) | instid1(VALU_DEP_1)
	v_fmac_f32_e32 v4, v8, v24
	s_waitcnt lgkmcnt(0)
	v_fmac_f32_e32 v4, v9, v23
	s_delay_alu instid0(VALU_DEP_1) | instskip(NEXT) | instid1(VALU_DEP_1)
	v_fmac_f32_e32 v4, v10, v22
	v_fmac_f32_e32 v4, v11, v21
	s_delay_alu instid0(VALU_DEP_1)
	v_fmac_f32_e32 v4, v12, v20
.LBB600_13:
	s_movk_i32 s43, 0x1f80
	s_movk_i32 s44, 0x80
	s_mov_b32 s45, 32
	s_branch .LBB600_15
.LBB600_14:                             ;   in Loop: Header=BB600_15 Depth=1
	s_addk_i32 s43, 0x1000
	s_addk_i32 s44, 0x80
	s_add_i32 s45, s45, 32
	s_cmpk_eq_i32 s43, 0x7f80
	s_cbranch_scc1 .LBB600_17
.LBB600_15:                             ; =>This Inner Loop Header: Depth=1
	s_cmp_le_i32 s40, s45
	s_cbranch_scc1 .LBB600_14
; %bb.16:                               ;   in Loop: Header=BB600_15 Depth=1
	s_add_i32 s4, s43, 0xfffff080
	v_mov_b32_e32 v44, s44
	s_cmp_lt_i32 s4, s41
	s_cselect_b32 s4, s4, s42
	s_add_i32 s6, s43, 0xfffff100
	s_ashr_i32 s5, s4, 31
	s_delay_alu instid0(SALU_CYCLE_1)
	s_lshl_b64 s[38:39], s[4:5], 1
	s_cmp_lt_i32 s6, s41
	v_add_co_u32 v5, vcc_lo, v1, s38
	s_cselect_b32 s4, s6, s42
	s_add_i32 s6, s43, 0xfffff180
	s_ashr_i32 s5, s4, 31
	v_add_co_ci_u32_e32 v6, vcc_lo, s39, v3, vcc_lo
	s_lshl_b64 s[4:5], s[4:5], 1
	s_cmp_lt_i32 s6, s41
	s_cselect_b32 s6, s6, s42
	s_add_i32 s8, s43, 0xfffff200
	s_ashr_i32 s7, s6, 31
	global_load_u16 v2, v[5:6], off
	s_lshl_b64 s[6:7], s[6:7], 1
	s_cmp_lt_i32 s8, s41
	v_add_co_u32 v5, vcc_lo, v1, s4
	s_cselect_b32 s8, s8, s42
	s_add_i32 s10, s43, 0xfffff280
	s_ashr_i32 s9, s8, 31
	v_add_co_ci_u32_e32 v6, vcc_lo, s5, v3, vcc_lo
	s_lshl_b64 s[8:9], s[8:9], 1
	s_cmp_lt_i32 s10, s41
	v_add_co_u32 v7, vcc_lo, v1, s6
	s_cselect_b32 s10, s10, s42
	s_add_i32 s18, s43, 0xfffff300
	s_ashr_i32 s11, s10, 31
	v_add_co_ci_u32_e32 v8, vcc_lo, s7, v3, vcc_lo
	s_lshl_b64 s[10:11], s[10:11], 1
	s_cmp_lt_i32 s18, s41
	v_add_co_u32 v9, vcc_lo, v1, s8
	s_cselect_b32 s18, s18, s42
	s_add_i32 s20, s43, 0xfffff380
	s_ashr_i32 s19, s18, 31
	s_clause 0x1
	global_load_u16 v23, v[5:6], off
	global_load_u16 v24, v[7:8], off
	s_lshl_b64 s[18:19], s[18:19], 1
	s_cmp_lt_i32 s20, s41
	v_add_co_ci_u32_e32 v10, vcc_lo, s9, v3, vcc_lo
	s_cselect_b32 s20, s20, s42
	s_add_i32 s22, s43, 0xfffff400
	s_ashr_i32 s21, s20, 31
	global_load_u16 v25, v[9:10], off
	s_lshl_b64 s[20:21], s[20:21], 1
	s_cmp_lt_i32 s22, s41
	v_add_co_u32 v11, vcc_lo, v1, s10
	s_cselect_b32 s22, s22, s42
	s_add_i32 s24, s43, 0xfffff480
	s_ashr_i32 s23, s22, 31
	v_add_co_ci_u32_e32 v12, vcc_lo, s11, v3, vcc_lo
	s_lshl_b64 s[22:23], s[22:23], 1
	s_cmp_lt_i32 s24, s41
	v_add_co_u32 v13, vcc_lo, v1, s18
	global_load_u16 v26, v[11:12], off
	s_cselect_b32 s24, s24, s42
	s_add_i32 s26, s43, 0xfffff500
	s_ashr_i32 s25, s24, 31
	v_add_co_ci_u32_e32 v14, vcc_lo, s19, v3, vcc_lo
	s_lshl_b64 s[24:25], s[24:25], 1
	s_cmp_lt_i32 s26, s41
	v_add_co_u32 v15, vcc_lo, v1, s20
	global_load_u16 v27, v[13:14], off
	s_cselect_b32 s26, s26, s42
	s_add_i32 s28, s43, 0xfffff580
	s_ashr_i32 s27, s26, 31
	v_add_co_ci_u32_e32 v16, vcc_lo, s21, v3, vcc_lo
	s_lshl_b64 s[36:37], s[26:27], 1
	s_cmp_lt_i32 s28, s41
	v_add_co_u32 v17, vcc_lo, v1, s22
	s_cselect_b32 s26, s28, s42
	s_add_i32 s30, s43, 0xfffff600
	s_ashr_i32 s27, s26, 31
	v_add_co_ci_u32_e32 v18, vcc_lo, s23, v3, vcc_lo
	s_lshl_b64 s[28:29], s[26:27], 1
	s_cmp_lt_i32 s30, s41
	v_add_co_u32 v19, vcc_lo, v1, s24
	global_load_u16 v17, v[17:18], off
	s_cselect_b32 s26, s30, s42
	s_add_i32 s30, s43, 0xfffff680
	s_ashr_i32 s27, s26, 31
	v_add_co_ci_u32_e32 v20, vcc_lo, s25, v3, vcc_lo
	s_lshl_b64 s[26:27], s[26:27], 1
	s_cmp_lt_i32 s30, s41
	v_add_co_u32 v21, vcc_lo, v1, s36
	s_cselect_b32 s30, s30, s42
	s_add_i32 s46, s43, 0xfffff700
	s_ashr_i32 s31, s30, 31
	v_add_co_ci_u32_e32 v22, vcc_lo, s37, v3, vcc_lo
	s_lshl_b64 s[34:35], s[30:31], 1
	s_cmp_lt_i32 s46, s41
	v_add_co_u32 v5, vcc_lo, v1, s28
	;; [unrolled: 7-line block ×3, first 2 shown]
	s_cselect_b32 s46, s46, s42
	s_add_i32 s48, s43, 0xfffff800
	s_ashr_i32 s47, s46, 31
	global_load_u16 v28, v[15:16], off
	s_lshl_b64 s[38:39], s[46:47], 1
	s_cmp_lt_i32 s48, s41
	v_add_co_ci_u32_e32 v8, vcc_lo, s27, v3, vcc_lo
	s_cselect_b32 s46, s48, s42
	v_add_co_u32 v9, vcc_lo, v1, s34
	s_ashr_i32 s47, s46, 31
	s_add_i32 s4, s43, 0xfffff880
	s_lshl_b64 s[46:47], s[46:47], 1
	v_add_co_ci_u32_e32 v10, vcc_lo, s35, v3, vcc_lo
	s_cmp_lt_i32 s4, s41
	v_add_co_u32 v11, vcc_lo, v1, s30
	s_cselect_b32 s4, s4, s42
	v_add_co_ci_u32_e32 v12, vcc_lo, s31, v3, vcc_lo
	v_add_co_u32 v13, vcc_lo, v1, s38
	s_ashr_i32 s5, s4, 31
	s_add_i32 s6, s43, 0xfffff900
	v_add_co_ci_u32_e32 v14, vcc_lo, s39, v3, vcc_lo
	global_load_u16 v18, v[19:20], off
	s_lshl_b64 s[8:9], s[4:5], 1
	s_cmp_lt_i32 s6, s41
	global_load_u16 v30, v[13:14], off
	s_cselect_b32 s4, s6, s42
	global_load_u16 v19, v[21:22], off
	s_ashr_i32 s5, s4, 31
	s_add_i32 s6, s43, 0xfffff980
	s_lshl_b64 s[10:11], s[4:5], 1
	s_cmp_lt_i32 s6, s41
	s_clause 0x3
	global_load_u16 v20, v[5:6], off
	global_load_u16 v21, v[7:8], off
	global_load_u16 v22, v[9:10], off
	global_load_u16 v29, v[11:12], off
	s_cselect_b32 s4, s6, s42
	s_add_i32 s6, s43, 0xfffffa00
	s_ashr_i32 s5, s4, 31
	v_add_co_u32 v15, vcc_lo, v1, s46
	s_lshl_b64 s[4:5], s[4:5], 1
	s_cmp_lt_i32 s6, s41
	v_add_co_ci_u32_e32 v16, vcc_lo, s47, v3, vcc_lo
	s_cselect_b32 s6, s6, s42
	s_add_i32 s18, s43, 0xfffffa80
	s_ashr_i32 s7, s6, 31
	v_add_co_u32 v5, vcc_lo, v1, s8
	s_lshl_b64 s[6:7], s[6:7], 1
	s_cmp_lt_i32 s18, s41
	v_add_co_ci_u32_e32 v6, vcc_lo, s9, v3, vcc_lo
	s_cselect_b32 s18, s18, s42
	v_add_co_u32 v7, vcc_lo, v1, s10
	s_ashr_i32 s19, s18, 31
	s_add_i32 s20, s43, 0xfffffb00
	s_lshl_b64 s[18:19], s[18:19], 1
	v_add_co_ci_u32_e32 v8, vcc_lo, s11, v3, vcc_lo
	s_cmp_lt_i32 s20, s41
	v_add_co_u32 v9, vcc_lo, v1, s4
	s_cselect_b32 s20, s20, s42
	v_add_co_ci_u32_e32 v10, vcc_lo, s5, v3, vcc_lo
	v_add_co_u32 v11, vcc_lo, v1, s6
	s_ashr_i32 s21, s20, 31
	s_add_i32 s22, s43, 0xfffffb80
	v_add_co_ci_u32_e32 v12, vcc_lo, s7, v3, vcc_lo
	global_load_u16 v15, v[15:16], off
	s_lshl_b64 s[20:21], s[20:21], 1
	s_cmp_lt_i32 s22, s41
	global_load_u16 v33, v[11:12], off
	s_cselect_b32 s22, s22, s42
	s_clause 0x2
	global_load_u16 v16, v[5:6], off
	global_load_u16 v31, v[7:8], off
	;; [unrolled: 1-line block ×3, first 2 shown]
	s_ashr_i32 s23, s22, 31
	s_add_i32 s24, s43, 0xfffffc00
	s_lshl_b64 s[22:23], s[22:23], 1
	s_cmp_lt_i32 s24, s41
	v_add_co_u32 v13, vcc_lo, v1, s18
	s_cselect_b32 s24, s24, s42
	s_add_i32 s26, s43, 0xfffffc80
	s_ashr_i32 s25, s24, 31
	v_add_co_ci_u32_e32 v14, vcc_lo, s19, v3, vcc_lo
	s_lshl_b64 s[24:25], s[24:25], 1
	s_cmp_lt_i32 s26, s41
	v_add_co_u32 v5, vcc_lo, v1, s20
	s_cselect_b32 s8, s26, s42
	v_add_co_ci_u32_e32 v6, vcc_lo, s21, v3, vcc_lo
	s_ashr_i32 s9, s8, 31
	v_add_co_u32 v7, vcc_lo, v1, s22
	s_add_i32 s10, s43, 0xfffffd00
	s_lshl_b64 s[8:9], s[8:9], 1
	v_add_co_ci_u32_e32 v8, vcc_lo, s23, v3, vcc_lo
	s_cmp_lt_i32 s10, s41
	v_add_co_u32 v9, vcc_lo, v1, s24
	s_cselect_b32 s4, s10, s42
	global_load_u16 v13, v[13:14], off
	v_add_co_ci_u32_e32 v10, vcc_lo, s25, v3, vcc_lo
	s_ashr_i32 s5, s4, 31
	s_add_i32 s6, s43, 0xfffffd80
	s_lshl_b64 s[4:5], s[4:5], 1
	global_load_u16 v35, v[9:10], off
	s_cmp_lt_i32 s6, s41
	s_clause 0x1
	global_load_u16 v14, v[5:6], off
	global_load_u16 v34, v[7:8], off
	s_cselect_b32 s6, s6, s42
	s_add_i32 s10, s43, 0xfffffe00
	s_ashr_i32 s7, s6, 31
	v_add_co_u32 v5, vcc_lo, v1, s8
	s_lshl_b64 s[6:7], s[6:7], 1
	s_cmp_lt_i32 s10, s41
	v_add_co_ci_u32_e32 v6, vcc_lo, s9, v3, vcc_lo
	s_cselect_b32 s10, s10, s42
	v_add_co_u32 v7, vcc_lo, v1, s4
	s_ashr_i32 s11, s10, 31
	v_add_co_ci_u32_e32 v8, vcc_lo, s5, v3, vcc_lo
	s_add_i32 s18, s43, 0xfffffe80
	s_lshl_b64 s[10:11], s[10:11], 1
	s_cmp_lt_i32 s18, s41
	s_clause 0x1
	global_load_u16 v36, v[5:6], off
	global_load_u16 v37, v[7:8], off
	s_cselect_b32 s18, s18, s42
	v_add_co_u32 v5, vcc_lo, v1, s6
	s_ashr_i32 s19, s18, 31
	v_add_co_ci_u32_e32 v6, vcc_lo, s7, v3, vcc_lo
	s_add_i32 s20, s43, 0xffffff00
	v_add_co_u32 v7, vcc_lo, v1, s10
	s_lshl_b64 s[8:9], s[18:19], 1
	s_cmp_lt_i32 s20, s41
	v_add_co_ci_u32_e32 v8, vcc_lo, s11, v3, vcc_lo
	s_cselect_b32 s4, s20, s42
	global_load_u16 v38, v[5:6], off
	s_ashr_i32 s5, s4, 31
	global_load_u16 v39, v[7:8], off
	s_add_i32 s18, s43, 0xffffff80
	v_add_co_u32 v5, vcc_lo, v1, s8
	s_lshl_b64 s[4:5], s[4:5], 1
	s_cmp_lt_i32 s18, s41
	v_add_co_ci_u32_e32 v6, vcc_lo, s9, v3, vcc_lo
	v_add_co_u32 v7, vcc_lo, v1, s4
	s_cselect_b32 s6, s18, s42
	v_add_co_ci_u32_e32 v8, vcc_lo, s5, v3, vcc_lo
	s_ashr_i32 s7, s6, 31
	global_load_u16 v40, v[5:6], off
	s_lshl_b64 s[6:7], s[6:7], 1
	global_load_u16 v41, v[7:8], off
	s_cmp_lt_i32 s43, s41
	v_add_co_u32 v5, vcc_lo, v1, s6
	s_cselect_b32 s4, s43, s42
	v_add_co_ci_u32_e32 v6, vcc_lo, s7, v3, vcc_lo
	s_ashr_i32 s5, s4, 31
	s_delay_alu instid0(SALU_CYCLE_1)
	s_lshl_b64 s[4:5], s[4:5], 1
	global_load_u16 v42, v[5:6], off
	v_add_co_u32 v5, vcc_lo, v1, s4
	v_add_co_ci_u32_e32 v6, vcc_lo, s5, v3, vcc_lo
	global_load_u16 v43, v[5:6], off
	ds_load_b128 v[5:8], v44
	ds_load_b128 v[9:12], v44 offset:16
	s_waitcnt vmcnt(31)
	v_lshlrev_b32_e32 v2, 16, v2
	s_waitcnt lgkmcnt(1)
	s_delay_alu instid0(VALU_DEP_1) | instskip(SKIP_2) | instid1(VALU_DEP_1)
	v_fmac_f32_e32 v4, v5, v2
	s_waitcnt vmcnt(30)
	v_lshlrev_b32_e32 v2, 16, v23
	v_fmac_f32_e32 v4, v6, v2
	s_waitcnt vmcnt(29)
	v_lshlrev_b32_e32 v2, 16, v24
	s_delay_alu instid0(VALU_DEP_1) | instskip(SKIP_2) | instid1(VALU_DEP_1)
	v_fmac_f32_e32 v4, v7, v2
	s_waitcnt vmcnt(28)
	v_lshlrev_b32_e32 v2, 16, v25
	v_fmac_f32_e32 v4, v8, v2
	ds_load_b128 v[5:8], v44 offset:32
	s_waitcnt vmcnt(27)
	v_lshlrev_b32_e32 v2, 16, v26
	s_waitcnt lgkmcnt(1)
	s_delay_alu instid0(VALU_DEP_1) | instskip(SKIP_2) | instid1(VALU_DEP_1)
	v_fmac_f32_e32 v4, v9, v2
	s_waitcnt vmcnt(26)
	v_lshlrev_b32_e32 v2, 16, v27
	v_fmac_f32_e32 v4, v10, v2
	s_waitcnt vmcnt(24)
	v_lshlrev_b32_e32 v2, 16, v28
	s_delay_alu instid0(VALU_DEP_1) | instskip(SKIP_1) | instid1(VALU_DEP_1)
	v_fmac_f32_e32 v4, v11, v2
	v_lshlrev_b32_e32 v2, 16, v17
	v_fmac_f32_e32 v4, v12, v2
	ds_load_b128 v[9:12], v44 offset:48
	s_waitcnt vmcnt(23)
	v_lshlrev_b32_e32 v2, 16, v18
	s_waitcnt lgkmcnt(1)
	s_delay_alu instid0(VALU_DEP_1) | instskip(SKIP_2) | instid1(VALU_DEP_1)
	v_fmac_f32_e32 v4, v5, v2
	s_waitcnt vmcnt(21)
	v_lshlrev_b32_e32 v2, 16, v19
	v_fmac_f32_e32 v4, v6, v2
	s_waitcnt vmcnt(20)
	v_lshlrev_b32_e32 v2, 16, v20
	s_delay_alu instid0(VALU_DEP_1) | instskip(SKIP_2) | instid1(VALU_DEP_1)
	v_fmac_f32_e32 v4, v7, v2
	s_waitcnt vmcnt(19)
	v_lshlrev_b32_e32 v2, 16, v21
	v_fmac_f32_e32 v4, v8, v2
	s_waitcnt vmcnt(18)
	v_lshlrev_b32_e32 v2, 16, v22
	ds_load_b128 v[5:8], v44 offset:64
	s_waitcnt lgkmcnt(1)
	v_fmac_f32_e32 v4, v9, v2
	s_waitcnt vmcnt(17)
	v_lshlrev_b32_e32 v2, 16, v29
	s_delay_alu instid0(VALU_DEP_1) | instskip(SKIP_1) | instid1(VALU_DEP_1)
	v_fmac_f32_e32 v4, v10, v2
	v_lshlrev_b32_e32 v2, 16, v30
	v_fmac_f32_e32 v4, v11, v2
	s_waitcnt vmcnt(16)
	v_lshlrev_b32_e32 v2, 16, v15
	s_delay_alu instid0(VALU_DEP_1) | instskip(SKIP_4) | instid1(VALU_DEP_1)
	v_fmac_f32_e32 v4, v12, v2
	ds_load_b128 v[9:12], v44 offset:80
	s_waitcnt vmcnt(14)
	v_lshlrev_b32_e32 v2, 16, v16
	s_waitcnt lgkmcnt(1)
	v_fmac_f32_e32 v4, v5, v2
	s_waitcnt vmcnt(13)
	v_lshlrev_b32_e32 v2, 16, v31
	s_delay_alu instid0(VALU_DEP_1) | instskip(SKIP_2) | instid1(VALU_DEP_1)
	v_fmac_f32_e32 v4, v6, v2
	s_waitcnt vmcnt(12)
	v_lshlrev_b32_e32 v2, 16, v32
	v_fmac_f32_e32 v4, v7, v2
	v_lshlrev_b32_e32 v2, 16, v33
	s_delay_alu instid0(VALU_DEP_1) | instskip(SKIP_4) | instid1(VALU_DEP_1)
	v_fmac_f32_e32 v4, v8, v2
	ds_load_b128 v[5:8], v44 offset:96
	s_waitcnt vmcnt(11)
	v_lshlrev_b32_e32 v2, 16, v13
	s_waitcnt lgkmcnt(1)
	v_fmac_f32_e32 v4, v9, v2
	s_waitcnt vmcnt(9)
	v_lshlrev_b32_e32 v2, 16, v14
	s_delay_alu instid0(VALU_DEP_1) | instskip(SKIP_2) | instid1(VALU_DEP_1)
	v_fmac_f32_e32 v4, v10, v2
	s_waitcnt vmcnt(8)
	v_lshlrev_b32_e32 v2, 16, v34
	v_fmac_f32_e32 v4, v11, v2
	;; [unrolled: 15-line block ×3, first 2 shown]
	s_waitcnt vmcnt(4)
	v_lshlrev_b32_e32 v2, 16, v39
	s_delay_alu instid0(VALU_DEP_1) | instskip(SKIP_3) | instid1(VALU_DEP_1)
	v_fmac_f32_e32 v4, v8, v2
	s_waitcnt vmcnt(3)
	v_lshlrev_b32_e32 v2, 16, v40
	s_waitcnt lgkmcnt(0)
	v_fmac_f32_e32 v4, v9, v2
	s_waitcnt vmcnt(2)
	v_lshlrev_b32_e32 v2, 16, v41
	s_delay_alu instid0(VALU_DEP_1) | instskip(SKIP_2) | instid1(VALU_DEP_1)
	v_fmac_f32_e32 v4, v10, v2
	s_waitcnt vmcnt(1)
	v_lshlrev_b32_e32 v2, 16, v42
	v_fmac_f32_e32 v4, v11, v2
	s_waitcnt vmcnt(0)
	v_lshlrev_b32_e32 v2, 16, v43
	s_delay_alu instid0(VALU_DEP_1)
	v_fmac_f32_e32 v4, v12, v2
	s_branch .LBB600_14
.LBB600_17:
	v_mov_b32_e32 v1, 0
	s_and_b32 vcc_lo, exec_lo, s15
	ds_load_b32 v1, v1 offset:896
	s_cbranch_vccz .LBB600_19
; %bb.18:
	s_add_u32 s2, s12, s16
	s_addc_u32 s3, s13, s17
	s_load_b32 s2, s[2:3], 0x0
	s_mov_b32 s3, 0
.LBB600_19:
	s_waitcnt lgkmcnt(0)
	v_add_f32_e32 v1, 0x358637bd, v1
	s_delay_alu instid0(VALU_DEP_1) | instskip(NEXT) | instid1(VALU_DEP_1)
	v_div_scale_f32 v2, null, v1, v1, 1.0
	v_rcp_f32_e32 v3, v2
	s_waitcnt_depctr 0xfff
	v_fma_f32 v5, -v2, v3, 1.0
	s_delay_alu instid0(VALU_DEP_1) | instskip(SKIP_1) | instid1(VALU_DEP_1)
	v_fmac_f32_e32 v3, v5, v3
	v_div_scale_f32 v5, vcc_lo, 1.0, v1, 1.0
	v_mul_f32_e32 v6, v5, v3
	s_delay_alu instid0(VALU_DEP_1) | instskip(NEXT) | instid1(VALU_DEP_1)
	v_fma_f32 v7, -v2, v6, v5
	v_fmac_f32_e32 v6, v7, v3
	s_delay_alu instid0(VALU_DEP_1) | instskip(NEXT) | instid1(VALU_DEP_1)
	v_fma_f32 v2, -v2, v6, v5
	v_div_fmas_f32 v2, v2, v3, v6
	s_delay_alu instid0(VALU_DEP_1) | instskip(NEXT) | instid1(VALU_DEP_1)
	v_div_fixup_f32 v1, v2, v1, 1.0
	v_mul_f32_e32 v2, v4, v1
	s_delay_alu instid0(VALU_DEP_1) | instskip(NEXT) | instid1(VALU_DEP_1)
	v_and_b32_e32 v1, 0x7f800000, v2
	v_cmp_ne_u32_e32 vcc_lo, 0x7f800000, v1
                                        ; implicit-def: $vgpr1
	s_and_saveexec_b32 s4, vcc_lo
	s_delay_alu instid0(SALU_CYCLE_1)
	s_xor_b32 s4, exec_lo, s4
; %bb.20:
	v_bfe_u32 v1, v2, 16, 1
	s_delay_alu instid0(VALU_DEP_1)
	v_add3_u32 v1, v2, v1, 0x7fff
                                        ; implicit-def: $vgpr2
; %bb.21:
	s_and_not1_saveexec_b32 s4, s4
; %bb.22:
	v_and_b32_e32 v1, 0xffff, v2
	v_or_b32_e32 v3, 0x10000, v2
	s_delay_alu instid0(VALU_DEP_2) | instskip(NEXT) | instid1(VALU_DEP_2)
	v_cmp_eq_u32_e32 vcc_lo, 0, v1
	v_cndmask_b32_e32 v1, v3, v2, vcc_lo
; %bb.23:
	s_or_b32 exec_lo, exec_lo, s4
	s_mul_i32 s3, s33, s3
	s_mul_hi_u32 s4, s33, s2
	s_mul_i32 s2, s33, s2
	s_add_i32 s3, s4, s3
	s_mov_b32 s15, 0
	s_lshl_b64 s[2:3], s[2:3], 7
	v_and_b32_e32 v1, 0xffff0000, v1
	s_add_u32 s2, s0, s2
	s_addc_u32 s3, s1, s3
	s_lshl_b64 s[0:1], s[14:15], 7
	s_delay_alu instid0(SALU_CYCLE_1)
	s_add_u32 s0, s2, s0
	s_addc_u32 s1, s3, s1
	v_add_co_u32 v0, s0, s0, v0
	v_cvt_i32_f32_e32 v2, v1
	v_add_co_ci_u32_e64 v1, null, s1, 0, s0
	global_store_b8 v[0:1], v2, off
	s_nop 0
	s_sendmsg sendmsg(MSG_DEALLOC_VGPRS)
	s_endpgm
.LBB600_24:
	s_mov_b32 s4, 0
	s_branch .LBB600_2
	.section	.rodata,"a",@progbits
	.p2align	6, 0x0
	.amdhsa_kernel _Z35paged_attention_ll4mi_reduce_kernelI14__hip_bfloat16hLi128ELi128ELi256ELi7EEvPT0_PKfS4_PKT_PKiS9_iS4_
		.amdhsa_group_segment_fixed_size 900
		.amdhsa_private_segment_fixed_size 0
		.amdhsa_kernarg_size 320
		.amdhsa_user_sgpr_count 14
		.amdhsa_user_sgpr_dispatch_ptr 0
		.amdhsa_user_sgpr_queue_ptr 0
		.amdhsa_user_sgpr_kernarg_segment_ptr 1
		.amdhsa_user_sgpr_dispatch_id 0
		.amdhsa_user_sgpr_private_segment_size 0
		.amdhsa_wavefront_size32 1
		.amdhsa_uses_dynamic_stack 0
		.amdhsa_enable_private_segment 0
		.amdhsa_system_sgpr_workgroup_id_x 1
		.amdhsa_system_sgpr_workgroup_id_y 1
		.amdhsa_system_sgpr_workgroup_id_z 0
		.amdhsa_system_sgpr_workgroup_info 0
		.amdhsa_system_vgpr_workitem_id 0
		.amdhsa_next_free_vgpr 52
		.amdhsa_next_free_sgpr 49
		.amdhsa_reserve_vcc 1
		.amdhsa_float_round_mode_32 0
		.amdhsa_float_round_mode_16_64 0
		.amdhsa_float_denorm_mode_32 3
		.amdhsa_float_denorm_mode_16_64 3
		.amdhsa_dx10_clamp 1
		.amdhsa_ieee_mode 1
		.amdhsa_fp16_overflow 0
		.amdhsa_workgroup_processor_mode 1
		.amdhsa_memory_ordered 1
		.amdhsa_forward_progress 0
		.amdhsa_shared_vgpr_count 0
		.amdhsa_exception_fp_ieee_invalid_op 0
		.amdhsa_exception_fp_denorm_src 0
		.amdhsa_exception_fp_ieee_div_zero 0
		.amdhsa_exception_fp_ieee_overflow 0
		.amdhsa_exception_fp_ieee_underflow 0
		.amdhsa_exception_fp_ieee_inexact 0
		.amdhsa_exception_int_div_zero 0
	.end_amdhsa_kernel
	.section	.text._Z35paged_attention_ll4mi_reduce_kernelI14__hip_bfloat16hLi128ELi128ELi256ELi7EEvPT0_PKfS4_PKT_PKiS9_iS4_,"axG",@progbits,_Z35paged_attention_ll4mi_reduce_kernelI14__hip_bfloat16hLi128ELi128ELi256ELi7EEvPT0_PKfS4_PKT_PKiS9_iS4_,comdat
.Lfunc_end600:
	.size	_Z35paged_attention_ll4mi_reduce_kernelI14__hip_bfloat16hLi128ELi128ELi256ELi7EEvPT0_PKfS4_PKT_PKiS9_iS4_, .Lfunc_end600-_Z35paged_attention_ll4mi_reduce_kernelI14__hip_bfloat16hLi128ELi128ELi256ELi7EEvPT0_PKfS4_PKT_PKiS9_iS4_
                                        ; -- End function
	.section	.AMDGPU.csdata,"",@progbits
; Kernel info:
; codeLenInByte = 6484
; NumSgprs: 51
; NumVgprs: 52
; ScratchSize: 0
; MemoryBound: 0
; FloatMode: 240
; IeeeMode: 1
; LDSByteSize: 900 bytes/workgroup (compile time only)
; SGPRBlocks: 6
; VGPRBlocks: 6
; NumSGPRsForWavesPerEU: 51
; NumVGPRsForWavesPerEU: 52
; Occupancy: 16
; WaveLimiterHint : 0
; COMPUTE_PGM_RSRC2:SCRATCH_EN: 0
; COMPUTE_PGM_RSRC2:USER_SGPR: 14
; COMPUTE_PGM_RSRC2:TRAP_HANDLER: 0
; COMPUTE_PGM_RSRC2:TGID_X_EN: 1
; COMPUTE_PGM_RSRC2:TGID_Y_EN: 1
; COMPUTE_PGM_RSRC2:TGID_Z_EN: 0
; COMPUTE_PGM_RSRC2:TIDIG_COMP_CNT: 0
	.section	.text._Z35paged_attention_ll4mi_reduce_kernelI14__hip_bfloat16hLi128ELi128ELi256ELi8EEvPT0_PKfS4_PKT_PKiS9_iS4_,"axG",@progbits,_Z35paged_attention_ll4mi_reduce_kernelI14__hip_bfloat16hLi128ELi128ELi256ELi8EEvPT0_PKfS4_PKT_PKiS9_iS4_,comdat
	.protected	_Z35paged_attention_ll4mi_reduce_kernelI14__hip_bfloat16hLi128ELi128ELi256ELi8EEvPT0_PKfS4_PKT_PKiS9_iS4_ ; -- Begin function _Z35paged_attention_ll4mi_reduce_kernelI14__hip_bfloat16hLi128ELi128ELi256ELi8EEvPT0_PKfS4_PKT_PKiS9_iS4_
	.globl	_Z35paged_attention_ll4mi_reduce_kernelI14__hip_bfloat16hLi128ELi128ELi256ELi8EEvPT0_PKfS4_PKT_PKiS9_iS4_
	.p2align	8
	.type	_Z35paged_attention_ll4mi_reduce_kernelI14__hip_bfloat16hLi128ELi128ELi256ELi8EEvPT0_PKfS4_PKT_PKiS9_iS4_,@function
_Z35paged_attention_ll4mi_reduce_kernelI14__hip_bfloat16hLi128ELi128ELi256ELi8EEvPT0_PKfS4_PKT_PKiS9_iS4_: ; @_Z35paged_attention_ll4mi_reduce_kernelI14__hip_bfloat16hLi128ELi128ELi256ELi8EEvPT0_PKfS4_PKT_PKiS9_iS4_
; %bb.0:
	s_load_b64 s[12:13], s[0:1], 0x28
	s_mov_b32 s2, s15
	s_waitcnt lgkmcnt(0)
	s_cmp_lg_u64 s[12:13], 0
	s_cselect_b32 s15, -1, 0
	s_delay_alu instid0(SALU_CYCLE_1)
	s_and_b32 vcc_lo, exec_lo, s15
	s_cbranch_vccz .LBB601_24
; %bb.1:
	s_add_i32 s4, s2, 1
	s_mov_b32 s5, 0
	s_delay_alu instid0(SALU_CYCLE_1) | instskip(SKIP_4) | instid1(SALU_CYCLE_1)
	s_lshl_b64 s[6:7], s[4:5], 2
	s_mov_b32 s3, s5
	s_add_u32 s6, s12, s6
	s_addc_u32 s7, s13, s7
	s_lshl_b64 s[8:9], s[2:3], 2
	s_add_u32 s8, s12, s8
	s_addc_u32 s9, s13, s9
	s_clause 0x1
	s_load_b32 s4, s[6:7], 0x0
	s_load_b32 s6, s[8:9], 0x0
	s_waitcnt lgkmcnt(0)
	s_sub_i32 s4, s4, s6
	s_delay_alu instid0(SALU_CYCLE_1)
	s_cmp_eq_u32 s4, 1
	s_cselect_b32 s4, -1, 0
	s_cbranch_execnz .LBB601_3
.LBB601_2:
	s_mov_b32 s3, 0
	s_mov_b32 s4, -1
.LBB601_3:
	s_delay_alu instid0(SALU_CYCLE_1)
	s_and_not1_b32 vcc_lo, exec_lo, s4
	s_cbranch_vccz .LBB601_5
; %bb.4:
	s_endpgm
.LBB601_5:
	s_clause 0x1
	s_load_b128 s[4:7], s[0:1], 0x18
	s_load_b32 s9, s[0:1], 0x30
	s_lshl_b64 s[16:17], s[2:3], 2
	s_waitcnt lgkmcnt(0)
	s_add_u32 s6, s6, s16
	s_addc_u32 s7, s7, s17
	s_load_b32 s23, s[6:7], 0x0
	s_load_b32 s33, s[0:1], 0x40
	s_mul_i32 s7, s2, s9
	s_waitcnt lgkmcnt(0)
	s_add_i32 s22, s23, 0xff
	s_delay_alu instid0(SALU_CYCLE_1) | instskip(NEXT) | instid1(SALU_CYCLE_1)
	s_ashr_i32 s6, s22, 31
	s_lshr_b32 s6, s6, 24
	s_delay_alu instid0(SALU_CYCLE_1) | instskip(SKIP_4) | instid1(SALU_CYCLE_1)
	s_add_i32 s8, s22, s6
	s_mul_i32 s6, s14, s9
	s_mov_b32 s9, exec_lo
	v_cmpx_lt_u32_e32 31, v0
	s_xor_b32 s9, exec_lo, s9
	s_or_saveexec_b32 s24, s9
	v_mov_b32_e32 v1, s6
	s_ashr_i32 s40, s8, 8
	s_mul_i32 s18, s7, s33
	s_xor_b32 exec_lo, exec_lo, s24
	s_cbranch_execz .LBB601_9
; %bb.6:
	v_or_b32_e32 v2, 32, v0
	v_cmp_gt_i32_e32 vcc_lo, s40, v0
	s_add_i32 s20, s40, -1
	v_or_b32_e32 v4, 64, v0
	v_or_b32_e32 v6, 0x60, v0
	s_load_b128 s[8:11], s[0:1], 0x8
	v_cndmask_b32_e32 v1, s20, v0, vcc_lo
	v_cmp_gt_i32_e32 vcc_lo, s40, v2
	s_mov_b32 s19, 0
	s_delay_alu instid0(SALU_CYCLE_1)
	s_mov_b32 s7, s19
	v_cndmask_b32_e32 v3, s20, v2, vcc_lo
	v_cmp_gt_i32_e32 vcc_lo, s40, v4
	v_or_b32_e32 v2, 0x80, v0
	v_cndmask_b32_e32 v5, s20, v4, vcc_lo
	v_cmp_gt_i32_e32 vcc_lo, s40, v6
	v_or_b32_e32 v4, 0xa0, v0
	v_cndmask_b32_e32 v7, s20, v6, vcc_lo
	v_cmp_gt_i32_e32 vcc_lo, s40, v2
	v_or_b32_e32 v6, 0xc0, v0
	s_delay_alu instid0(VALU_DEP_3) | instskip(SKIP_3) | instid1(VALU_DEP_4)
	v_ashrrev_i32_e32 v8, 31, v7
	v_cndmask_b32_e32 v9, s20, v2, vcc_lo
	v_cmp_gt_i32_e32 vcc_lo, s40, v4
	v_or_b32_e32 v2, 0xe0, v0
	v_lshlrev_b64 v[7:8], 2, v[7:8]
	s_delay_alu instid0(VALU_DEP_4) | instskip(SKIP_3) | instid1(VALU_DEP_4)
	v_ashrrev_i32_e32 v10, 31, v9
	v_cndmask_b32_e32 v11, s20, v4, vcc_lo
	v_cmp_gt_i32_e32 vcc_lo, s40, v6
	v_ashrrev_i32_e32 v4, 31, v3
	v_lshlrev_b64 v[9:10], 2, v[9:10]
	s_delay_alu instid0(VALU_DEP_4)
	v_ashrrev_i32_e32 v12, 31, v11
	v_cndmask_b32_e32 v13, s20, v6, vcc_lo
	v_cmp_gt_i32_e32 vcc_lo, s40, v2
	v_ashrrev_i32_e32 v6, 31, v5
	v_lshlrev_b64 v[3:4], 2, v[3:4]
	v_lshlrev_b64 v[11:12], 2, v[11:12]
	v_ashrrev_i32_e32 v14, 31, v13
	v_cndmask_b32_e32 v15, s20, v2, vcc_lo
	v_ashrrev_i32_e32 v2, 31, v1
	s_lshl_b64 s[20:21], s[18:19], 2
	v_lshlrev_b64 v[5:6], 2, v[5:6]
	s_waitcnt lgkmcnt(0)
	s_add_u32 s19, s10, s20
	s_addc_u32 s25, s11, s21
	v_lshlrev_b64 v[1:2], 2, v[1:2]
	s_lshl_b64 s[10:11], s[6:7], 2
	v_lshlrev_b64 v[13:14], 2, v[13:14]
	s_add_u32 s7, s19, s10
	s_addc_u32 s19, s25, s11
	s_delay_alu instid0(VALU_DEP_2)
	v_add_co_u32 v16, vcc_lo, s7, v1
	v_add_co_ci_u32_e32 v17, vcc_lo, s19, v2, vcc_lo
	v_add_co_u32 v18, vcc_lo, s7, v3
	v_add_co_ci_u32_e32 v19, vcc_lo, s19, v4, vcc_lo
	;; [unrolled: 2-line block ×4, first 2 shown]
	s_clause 0x3
	global_load_b32 v25, v[16:17], off
	global_load_b32 v26, v[18:19], off
	;; [unrolled: 1-line block ×4, first 2 shown]
	v_ashrrev_i32_e32 v16, 31, v15
	v_add_co_u32 v17, vcc_lo, s7, v9
	v_add_co_ci_u32_e32 v18, vcc_lo, s19, v10, vcc_lo
	v_add_co_u32 v19, vcc_lo, s7, v11
	s_delay_alu instid0(VALU_DEP_4) | instskip(SKIP_3) | instid1(VALU_DEP_4)
	v_lshlrev_b64 v[15:16], 2, v[15:16]
	v_add_co_ci_u32_e32 v20, vcc_lo, s19, v12, vcc_lo
	v_add_co_u32 v21, vcc_lo, s7, v13
	v_add_co_ci_u32_e32 v22, vcc_lo, s19, v14, vcc_lo
	v_add_co_u32 v23, vcc_lo, s7, v15
	v_add_co_ci_u32_e32 v24, vcc_lo, s19, v16, vcc_lo
	s_clause 0x3
	global_load_b32 v17, v[17:18], off
	global_load_b32 v18, v[19:20], off
	;; [unrolled: 1-line block ×4, first 2 shown]
	s_add_u32 s7, s8, s20
	s_addc_u32 s8, s9, s21
	s_add_u32 s7, s7, s10
	s_addc_u32 s8, s8, s11
	v_add_co_u32 v1, vcc_lo, s7, v1
	v_add_co_ci_u32_e32 v2, vcc_lo, s8, v2, vcc_lo
	v_add_co_u32 v3, vcc_lo, s7, v3
	v_add_co_ci_u32_e32 v4, vcc_lo, s8, v4, vcc_lo
	;; [unrolled: 2-line block ×5, first 2 shown]
	s_clause 0x4
	global_load_b32 v21, v[1:2], off
	global_load_b32 v3, v[3:4], off
	;; [unrolled: 1-line block ×5, first 2 shown]
	v_add_co_u32 v1, vcc_lo, s7, v11
	v_add_co_ci_u32_e32 v2, vcc_lo, s8, v12, vcc_lo
	global_load_b32 v7, v[1:2], off
	v_add_co_u32 v1, vcc_lo, s7, v13
	v_add_co_ci_u32_e32 v2, vcc_lo, s8, v14, vcc_lo
	global_load_b32 v8, v[1:2], off
	v_add_co_u32 v1, vcc_lo, s7, v15
	v_add_co_ci_u32_e32 v2, vcc_lo, s8, v16, vcc_lo
	s_mov_b32 s7, exec_lo
	global_load_b32 v11, v[1:2], off
	v_mbcnt_lo_u32_b32 v1, -1, 0
	s_delay_alu instid0(VALU_DEP_1)
	v_xor_b32_e32 v12, 8, v1
	v_xor_b32_e32 v13, 4, v1
	;; [unrolled: 1-line block ×4, first 2 shown]
	s_waitcnt vmcnt(14)
	v_dual_max_f32 v10, v25, v25 :: v_dual_max_f32 v9, v26, v26
	s_delay_alu instid0(VALU_DEP_1) | instskip(SKIP_2) | instid1(VALU_DEP_2)
	v_max_f32_e32 v2, v10, v9
	v_xor_b32_e32 v9, 16, v1
	s_waitcnt vmcnt(12)
	v_max3_f32 v2, v2, v27, v28
	s_delay_alu instid0(VALU_DEP_2) | instskip(SKIP_4) | instid1(VALU_DEP_3)
	v_cmp_gt_i32_e32 vcc_lo, 32, v9
	v_cndmask_b32_e32 v9, v1, v9, vcc_lo
	v_cmp_gt_i32_e32 vcc_lo, 32, v12
	s_waitcnt vmcnt(10)
	v_max3_f32 v2, v2, v17, v18
	v_dual_cndmask_b32 v12, v1, v12 :: v_dual_lshlrev_b32 v9, 2, v9
	v_cmp_gt_i32_e32 vcc_lo, 32, v13
	s_waitcnt vmcnt(8)
	s_delay_alu instid0(VALU_DEP_3) | instskip(NEXT) | instid1(VALU_DEP_3)
	v_max3_f32 v2, v2, v19, v20
	v_dual_cndmask_b32 v13, v1, v13 :: v_dual_lshlrev_b32 v12, 2, v12
	ds_bpermute_b32 v10, v9, v2
	v_cmp_gt_i32_e32 vcc_lo, 32, v14
	v_dual_cndmask_b32 v14, v1, v14 :: v_dual_lshlrev_b32 v13, 2, v13
	v_cmp_gt_i32_e32 vcc_lo, 32, v15
	s_delay_alu instid0(VALU_DEP_2) | instskip(SKIP_1) | instid1(VALU_DEP_1)
	v_dual_cndmask_b32 v1, v1, v15 :: v_dual_lshlrev_b32 v14, 2, v14
	s_waitcnt lgkmcnt(0)
	v_dual_max_f32 v10, v10, v10 :: v_dual_lshlrev_b32 v15, 2, v1
	s_delay_alu instid0(VALU_DEP_1) | instskip(SKIP_3) | instid1(VALU_DEP_1)
	v_max_f32_e32 v2, v2, v10
	ds_bpermute_b32 v10, v12, v2
	s_waitcnt lgkmcnt(0)
	v_max_f32_e32 v10, v10, v10
	v_max_f32_e32 v2, v2, v10
	ds_bpermute_b32 v10, v13, v2
	s_waitcnt lgkmcnt(0)
	v_max_f32_e32 v10, v10, v10
	s_delay_alu instid0(VALU_DEP_1) | instskip(SKIP_3) | instid1(VALU_DEP_1)
	v_max_f32_e32 v2, v2, v10
	ds_bpermute_b32 v10, v14, v2
	s_waitcnt lgkmcnt(0)
	v_max_f32_e32 v10, v10, v10
	v_max_f32_e32 v1, v2, v10
	ds_bpermute_b32 v2, v15, v1
	s_waitcnt lgkmcnt(0)
	v_max_f32_e32 v2, v2, v2
	s_delay_alu instid0(VALU_DEP_1) | instskip(SKIP_1) | instid1(VALU_DEP_2)
	v_max_f32_e32 v1, v1, v2
	v_sub_nc_u32_e32 v2, s40, v0
	v_sub_f32_e32 v23, v28, v1
	v_sub_f32_e32 v16, v26, v1
	s_delay_alu instid0(VALU_DEP_2)
	v_mul_f32_e32 v26, 0x3fb8aa3b, v23
	v_sub_f32_e32 v10, v25, v1
	v_sub_f32_e32 v22, v27, v1
	;; [unrolled: 1-line block ×4, first 2 shown]
	v_dual_sub_f32 v19, v19, v1 :: v_dual_mul_f32 v24, 0x3fb8aa3b, v16
	s_delay_alu instid0(VALU_DEP_4) | instskip(NEXT) | instid1(VALU_DEP_3)
	v_mul_f32_e32 v25, 0x3fb8aa3b, v22
	v_dual_sub_f32 v1, v20, v1 :: v_dual_mul_f32 v28, 0x3fb8aa3b, v18
	v_mul_f32_e32 v20, 0x3fb8aa3b, v10
	s_delay_alu instid0(VALU_DEP_4)
	v_fma_f32 v33, 0x3fb8aa3b, v16, -v24
	v_rndne_f32_e32 v34, v24
	v_fma_f32 v35, 0x3fb8aa3b, v22, -v25
	v_dual_mul_f32 v29, 0x3fb8aa3b, v19 :: v_dual_mul_f32 v30, 0x3fb8aa3b, v1
	v_fma_f32 v31, 0x3fb8aa3b, v10, -v20
	v_rndne_f32_e32 v32, v20
	v_mul_f32_e32 v27, 0x3fb8aa3b, v17
	v_dual_fmac_f32 v33, 0x32a5705f, v16 :: v_dual_sub_f32 v24, v24, v34
	s_delay_alu instid0(VALU_DEP_3) | instskip(SKIP_2) | instid1(VALU_DEP_4)
	v_dual_fmac_f32 v31, 0x32a5705f, v10 :: v_dual_sub_f32 v20, v20, v32
	v_cvt_i32_f32_e32 v32, v32
	v_fma_f32 v37, 0x3fb8aa3b, v23, -v26
	v_dual_add_f32 v24, v24, v33 :: v_dual_fmac_f32 v35, 0x32a5705f, v22
	s_delay_alu instid0(VALU_DEP_4)
	v_add_f32_e32 v20, v20, v31
	v_fma_f32 v39, 0x3fb8aa3b, v17, -v27
	v_fma_f32 v41, 0x3fb8aa3b, v18, -v28
	v_rndne_f32_e32 v42, v28
	v_fma_f32 v45, 0x3fb8aa3b, v1, -v30
	v_exp_f32_e32 v20, v20
	v_rndne_f32_e32 v46, v30
	v_cmp_ngt_f32_e32 vcc_lo, 0xc2ce8ed0, v10
	v_rndne_f32_e32 v36, v25
	v_fma_f32 v43, 0x3fb8aa3b, v19, -v29
	v_dual_fmac_f32 v37, 0x32a5705f, v23 :: v_dual_sub_f32 v28, v28, v42
	v_dual_fmac_f32 v39, 0x32a5705f, v17 :: v_dual_sub_f32 v30, v30, v46
	v_exp_f32_e32 v24, v24
	s_delay_alu instid0(TRANS32_DEP_2)
	v_ldexp_f32 v20, v20, v32
	v_fmac_f32_e32 v45, 0x32a5705f, v1
	v_rndne_f32_e32 v38, v26
	v_cvt_i32_f32_e32 v34, v34
	v_sub_f32_e32 v25, v25, v36
	v_dual_cndmask_b32 v20, 0, v20 :: v_dual_fmac_f32 v41, 0x32a5705f, v18
	v_dual_add_f32 v30, v30, v45 :: v_dual_fmac_f32 v43, 0x32a5705f, v19
	v_rndne_f32_e32 v40, v27
	v_sub_f32_e32 v26, v26, v38
	s_delay_alu instid0(VALU_DEP_4)
	v_add_f32_e32 v28, v28, v41
	v_ldexp_f32 v24, v24, v34
	v_cmp_ngt_f32_e32 vcc_lo, 0xc2ce8ed0, v16
	v_add_f32_e32 v25, v25, v35
	v_dual_sub_f32 v27, v27, v40 :: v_dual_add_f32 v26, v26, v37
	v_exp_f32_e32 v28, v28
	v_cvt_i32_f32_e32 v31, v42
	v_cndmask_b32_e32 v24, 0, v24, vcc_lo
	v_exp_f32_e32 v25, v25
	v_cvt_i32_f32_e32 v36, v36
	v_exp_f32_e32 v26, v26
	v_cvt_i32_f32_e32 v38, v38
	v_cmp_ngt_f32_e32 vcc_lo, 0xc2ce8ed0, v22
	v_rndne_f32_e32 v44, v29
	v_cvt_i32_f32_e32 v40, v40
	v_ldexp_f32 v28, v28, v31
	v_add_f32_e32 v27, v27, v39
	v_exp_f32_e32 v30, v30
	v_ldexp_f32 v25, v25, v36
	v_cvt_i32_f32_e32 v33, v44
	v_ldexp_f32 v26, v26, v38
	v_exp_f32_e32 v27, v27
	s_delay_alu instid0(VALU_DEP_3) | instskip(SKIP_1) | instid1(VALU_DEP_3)
	v_cndmask_b32_e32 v25, 0, v25, vcc_lo
	v_cmp_ngt_f32_e32 vcc_lo, 0xc2ce8ed0, v23
	v_dual_sub_f32 v29, v29, v44 :: v_dual_cndmask_b32 v26, 0, v26
	v_cmp_ngt_f32_e32 vcc_lo, 0xc2ce8ed0, v17
	s_waitcnt_depctr 0xfff
	v_ldexp_f32 v27, v27, v40
	s_delay_alu instid0(VALU_DEP_1)
	v_cndmask_b32_e32 v27, 0, v27, vcc_lo
	v_cmp_ngt_f32_e32 vcc_lo, 0xc2ce8ed0, v18
	v_cndmask_b32_e32 v28, 0, v28, vcc_lo
	v_cmp_nlt_f32_e32 vcc_lo, 0x42b17218, v10
	v_dual_add_f32 v29, v29, v43 :: v_dual_cndmask_b32 v10, 0x7f800000, v20
	v_cmp_nlt_f32_e32 vcc_lo, 0x42b17218, v16
	s_delay_alu instid0(VALU_DEP_2)
	v_exp_f32_e32 v29, v29
	v_cndmask_b32_e32 v16, 0x7f800000, v24, vcc_lo
	v_cmp_nlt_f32_e32 vcc_lo, 0x42b17218, v22
	v_cndmask_b32_e32 v20, 0x7f800000, v25, vcc_lo
	v_cmp_nlt_f32_e32 vcc_lo, 0x42b17218, v23
	s_waitcnt_depctr 0xfff
	v_ldexp_f32 v29, v29, v33
	v_cndmask_b32_e32 v22, 0x7f800000, v26, vcc_lo
	v_cmp_nlt_f32_e32 vcc_lo, 0x42b17218, v17
	v_cndmask_b32_e32 v17, 0x7f800000, v27, vcc_lo
	v_cmp_lt_i32_e32 vcc_lo, 0, v2
	v_cndmask_b32_e32 v10, 0, v10, vcc_lo
	v_cmp_lt_i32_e32 vcc_lo, 32, v2
	s_waitcnt vmcnt(7)
	s_delay_alu instid0(VALU_DEP_2) | instskip(SKIP_3) | instid1(VALU_DEP_2)
	v_mul_f32_e32 v10, v21, v10
	v_cndmask_b32_e32 v16, 0, v16, vcc_lo
	v_cmp_lt_i32_e32 vcc_lo, 64, v2
	s_waitcnt vmcnt(6)
	v_mul_f32_e32 v3, v3, v16
	v_cndmask_b32_e32 v20, 0, v20, vcc_lo
	v_cmp_lt_i32_e32 vcc_lo, 0x60, v2
	v_cndmask_b32_e32 v22, 0, v22, vcc_lo
	v_cmp_lt_i32_e32 vcc_lo, 0x80, v2
	v_cndmask_b32_e32 v17, 0, v17, vcc_lo
	v_cmp_nlt_f32_e32 vcc_lo, 0x42b17218, v18
	s_waitcnt vmcnt(3)
	s_delay_alu instid0(VALU_DEP_2) | instskip(SKIP_2) | instid1(VALU_DEP_2)
	v_mul_f32_e32 v6, v6, v17
	v_dual_mul_f32 v4, v4, v20 :: v_dual_add_f32 v17, v10, v3
	v_cvt_i32_f32_e32 v20, v46
	v_add_f32_e32 v17, v17, v4
	v_dual_mul_f32 v5, v5, v22 :: v_dual_cndmask_b32 v16, 0x7f800000, v28
	v_cmp_ngt_f32_e32 vcc_lo, 0xc2ce8ed0, v19
	s_delay_alu instid0(VALU_DEP_2)
	v_add_f32_e32 v17, v17, v5
	v_cndmask_b32_e32 v18, 0, v29, vcc_lo
	v_cmp_lt_i32_e32 vcc_lo, 0xa0, v2
	v_cndmask_b32_e32 v16, 0, v16, vcc_lo
	v_cmp_nlt_f32_e32 vcc_lo, 0x42b17218, v19
	s_waitcnt vmcnt(2)
	s_delay_alu instid0(VALU_DEP_2) | instskip(SKIP_3) | instid1(VALU_DEP_4)
	v_dual_mul_f32 v7, v7, v16 :: v_dual_cndmask_b32 v18, 0x7f800000, v18
	v_cmp_lt_i32_e32 vcc_lo, 0xc0, v2
	v_ldexp_f32 v16, v30, v20
	v_add_f32_e32 v17, v17, v6
	v_cndmask_b32_e32 v18, 0, v18, vcc_lo
	v_cmp_ngt_f32_e32 vcc_lo, 0xc2ce8ed0, v1
	s_delay_alu instid0(VALU_DEP_4) | instskip(SKIP_2) | instid1(VALU_DEP_2)
	v_cndmask_b32_e32 v16, 0, v16, vcc_lo
	v_cmp_nlt_f32_e32 vcc_lo, 0x42b17218, v1
	s_waitcnt vmcnt(1)
	v_dual_mul_f32 v8, v8, v18 :: v_dual_cndmask_b32 v1, 0x7f800000, v16
	v_add_f32_e32 v16, v17, v7
	v_cmp_lt_i32_e32 vcc_lo, 0xe0, v2
	s_delay_alu instid0(VALU_DEP_3) | instskip(NEXT) | instid1(VALU_DEP_3)
	v_cndmask_b32_e32 v17, 0, v1, vcc_lo
	v_add_f32_e32 v1, v16, v8
	s_waitcnt vmcnt(0)
	s_delay_alu instid0(VALU_DEP_1)
	v_fmac_f32_e32 v1, v11, v17
	v_mul_f32_e32 v11, v11, v17
	ds_bpermute_b32 v2, v9, v1
	v_lshlrev_b32_e32 v9, 2, v0
	ds_store_2addr_b32 v9, v10, v3 offset1:32
	ds_store_2addr_b32 v9, v4, v5 offset0:64 offset1:96
	ds_store_2addr_b32 v9, v6, v7 offset0:128 offset1:160
	;; [unrolled: 1-line block ×3, first 2 shown]
	s_waitcnt lgkmcnt(4)
	v_add_f32_e32 v1, v1, v2
	ds_bpermute_b32 v2, v12, v1
	s_waitcnt lgkmcnt(0)
	v_add_f32_e32 v1, v1, v2
	ds_bpermute_b32 v2, v13, v1
	;; [unrolled: 3-line block ×4, first 2 shown]
	v_cmpx_eq_u32_e32 0, v0
	s_cbranch_execz .LBB601_8
; %bb.7:
	s_waitcnt lgkmcnt(0)
	v_dual_add_f32 v1, v1, v2 :: v_dual_mov_b32 v2, 0
	ds_store_b32 v2, v1 offset:1024
.LBB601_8:
	s_or_b32 exec_lo, exec_lo, s7
	v_mov_b32_e32 v1, s6
.LBB601_9:
	s_or_b32 exec_lo, exec_lo, s24
	s_lshl_b32 s6, s18, 7
	s_mov_b32 s7, 0
	s_waitcnt lgkmcnt(0)
	v_dual_mov_b32 v2, 0 :: v_dual_lshlrev_b32 v1, 7, v1
	s_lshl_b64 s[6:7], s[6:7], 1
	v_dual_mov_b32 v31, 0 :: v_dual_mov_b32 v32, 0
	s_add_u32 s34, s4, s6
	s_addc_u32 s35, s5, s7
	s_lshl_b32 s41, s40, 7
	v_lshlrev_b64 v[3:4], 1, v[1:2]
	s_add_i32 s42, s41, 0xffffff80
	s_cmpk_lt_i32 s22, 0x100
	v_lshlrev_b32_e32 v1, 1, v0
	s_cselect_b32 s4, s42, 0
	v_dual_mov_b32 v33, 0 :: v_dual_mov_b32 v34, 0
	s_ashr_i32 s5, s4, 31
	v_add_co_u32 v3, vcc_lo, s34, v3
	s_lshl_b64 s[4:5], s[4:5], 1
	s_cmpk_lt_i32 s22, 0x200
	v_add_co_ci_u32_e32 v4, vcc_lo, s35, v4, vcc_lo
	s_cselect_b32 s6, s42, 0x80
	v_add_co_u32 v1, vcc_lo, v3, v1
	s_ashr_i32 s7, s6, 31
	s_delay_alu instid0(VALU_DEP_2)
	v_add_co_ci_u32_e32 v3, vcc_lo, 0, v4, vcc_lo
	s_lshl_b64 s[6:7], s[6:7], 1
	s_cmpk_lt_i32 s22, 0x300
	v_add_co_u32 v4, vcc_lo, v1, s4
	s_cselect_b32 s8, s42, 0x100
	v_add_co_ci_u32_e32 v5, vcc_lo, s5, v3, vcc_lo
	s_ashr_i32 s9, s8, 31
	v_add_co_u32 v6, vcc_lo, v1, s6
	s_lshl_b64 s[8:9], s[8:9], 1
	s_cmpk_lt_i32 s22, 0x400
	v_add_co_ci_u32_e32 v7, vcc_lo, s7, v3, vcc_lo
	s_cselect_b32 s10, s42, 0x180
	v_add_co_u32 v8, vcc_lo, v1, s8
	s_ashr_i32 s11, s10, 31
	v_add_co_ci_u32_e32 v9, vcc_lo, s9, v3, vcc_lo
	s_lshl_b64 s[10:11], s[10:11], 1
	s_cmpk_lt_i32 s22, 0x500
	v_add_co_u32 v11, vcc_lo, v1, s10
	s_cselect_b32 s18, s42, 0x200
	v_add_co_ci_u32_e32 v12, vcc_lo, s11, v3, vcc_lo
	s_ashr_i32 s19, s18, 31
	v_mov_b32_e32 v35, 0
	s_lshl_b64 s[18:19], s[18:19], 1
	s_cmpk_lt_i32 s22, 0x600
	v_add_co_u32 v14, vcc_lo, v1, s18
	s_cselect_b32 s20, s42, 0x280
	v_add_co_ci_u32_e32 v15, vcc_lo, s19, v3, vcc_lo
	s_ashr_i32 s21, s20, 31
	v_mov_b32_e32 v30, 0
	s_lshl_b64 s[20:21], s[20:21], 1
	s_cmpk_lt_i32 s22, 0x700
	v_add_co_u32 v16, vcc_lo, v1, s20
	s_cselect_b32 s24, s42, 0x300
	v_add_co_ci_u32_e32 v17, vcc_lo, s21, v3, vcc_lo
	s_ashr_i32 s25, s24, 31
	s_delay_alu instid0(SALU_CYCLE_1)
	s_lshl_b64 s[24:25], s[24:25], 1
	s_cmpk_lt_i32 s22, 0x800
	v_add_co_u32 v18, vcc_lo, v1, s24
	s_cselect_b32 s26, s42, 0x380
	v_add_co_ci_u32_e32 v19, vcc_lo, s25, v3, vcc_lo
	s_ashr_i32 s27, s26, 31
	s_delay_alu instid0(SALU_CYCLE_1)
	s_lshl_b64 s[26:27], s[26:27], 1
	s_cmpk_lt_i32 s22, 0x900
	v_add_co_u32 v20, vcc_lo, v1, s26
	s_cselect_b32 s28, s42, 0x400
	v_add_co_ci_u32_e32 v21, vcc_lo, s27, v3, vcc_lo
	s_ashr_i32 s29, s28, 31
	s_clause 0x7
	global_load_u16 v13, v[4:5], off
	global_load_u16 v4, v[6:7], off
	;; [unrolled: 1-line block ×8, first 2 shown]
	s_lshl_b64 s[28:29], s[28:29], 1
	s_cmpk_lt_i32 s22, 0xa00
	v_add_co_u32 v11, vcc_lo, v1, s28
	s_cselect_b32 s30, s42, 0x480
	v_add_co_ci_u32_e32 v12, vcc_lo, s29, v3, vcc_lo
	s_ashr_i32 s31, s30, 31
	s_delay_alu instid0(SALU_CYCLE_1)
	s_lshl_b64 s[30:31], s[30:31], 1
	s_cmpk_lt_i32 s22, 0xb00
	v_add_co_u32 v14, vcc_lo, v1, s30
	s_cselect_b32 s34, s42, 0x500
	v_add_co_ci_u32_e32 v15, vcc_lo, s31, v3, vcc_lo
	s_ashr_i32 s35, s34, 31
	s_delay_alu instid0(SALU_CYCLE_1)
	;; [unrolled: 7-line block ×7, first 2 shown]
	s_lshl_b64 s[4:5], s[6:7], 1
	s_cmpk_gt_i32 s23, 0x1000
	v_add_co_u32 v28, vcc_lo, v1, s4
	v_add_co_ci_u32_e32 v29, vcc_lo, s5, v3, vcc_lo
	s_clause 0x7
	global_load_u16 v19, v[11:12], off
	global_load_u16 v18, v[14:15], off
	;; [unrolled: 1-line block ×8, first 2 shown]
	v_dual_mov_b32 v20, 0 :: v_dual_mov_b32 v21, 0
	v_dual_mov_b32 v22, 0 :: v_dual_mov_b32 v23, 0
	;; [unrolled: 1-line block ×5, first 2 shown]
	s_cselect_b32 s6, -1, 0
	s_cmpk_lt_i32 s23, 0x1001
	s_waitcnt vmcnt(0)
	s_barrier
	buffer_gl0_inv
	s_cbranch_scc1 .LBB601_11
; %bb.10:
	s_cmpk_lt_i32 s22, 0x1100
	s_cselect_b32 s4, s42, 0x800
	s_delay_alu instid0(SALU_CYCLE_1) | instskip(NEXT) | instid1(SALU_CYCLE_1)
	s_ashr_i32 s5, s4, 31
	s_lshl_b64 s[4:5], s[4:5], 1
	s_cmpk_lt_i32 s22, 0x1200
	v_add_co_u32 v20, vcc_lo, v1, s4
	s_cselect_b32 s8, s42, 0x880
	v_add_co_ci_u32_e32 v21, vcc_lo, s5, v3, vcc_lo
	s_ashr_i32 s9, s8, 31
	s_delay_alu instid0(SALU_CYCLE_1)
	s_lshl_b64 s[8:9], s[8:9], 1
	s_cmpk_lt_i32 s22, 0x1300
	v_add_co_u32 v22, vcc_lo, v1, s8
	s_cselect_b32 s10, s42, 0x900
	v_add_co_ci_u32_e32 v23, vcc_lo, s9, v3, vcc_lo
	s_ashr_i32 s11, s10, 31
	s_delay_alu instid0(SALU_CYCLE_1)
	;; [unrolled: 7-line block ×14, first 2 shown]
	s_lshl_b64 s[4:5], s[18:19], 1
	s_cmpk_lt_i32 s22, 0x2000
	v_add_co_u32 v48, vcc_lo, v1, s4
	s_cselect_b32 s8, s42, 0xf80
	v_add_co_ci_u32_e32 v49, vcc_lo, s5, v3, vcc_lo
	s_ashr_i32 s9, s8, 31
	s_delay_alu instid0(SALU_CYCLE_1) | instskip(NEXT) | instid1(SALU_CYCLE_1)
	s_lshl_b64 s[4:5], s[8:9], 1
	v_add_co_u32 v50, vcc_lo, v1, s4
	v_add_co_ci_u32_e32 v51, vcc_lo, s5, v3, vcc_lo
	s_clause 0xf
	global_load_u16 v20, v[20:21], off
	global_load_u16 v21, v[22:23], off
	;; [unrolled: 1-line block ×16, first 2 shown]
	s_waitcnt vmcnt(15)
	v_lshlrev_b32_e32 v35, 16, v20
	s_waitcnt vmcnt(14)
	v_lshlrev_b32_e32 v34, 16, v21
	;; [unrolled: 2-line block ×16, first 2 shown]
.LBB601_11:
	ds_load_b128 v[36:39], v2
	ds_load_b128 v[40:43], v2 offset:16
	v_lshlrev_b32_e32 v44, 16, v4
	v_lshlrev_b32_e32 v13, 16, v13
	;; [unrolled: 1-line block ×5, first 2 shown]
	s_load_b64 s[0:1], s[0:1], 0x0
	s_and_b32 vcc_lo, exec_lo, s6
	v_lshlrev_b32_e32 v5, 16, v5
	s_waitcnt lgkmcnt(0)
	v_fma_f32 v4, v36, v13, 0
	s_delay_alu instid0(VALU_DEP_1) | instskip(NEXT) | instid1(VALU_DEP_1)
	v_dual_fmac_f32 v4, v37, v44 :: v_dual_lshlrev_b32 v13, 16, v7
	v_dual_fmac_f32 v4, v38, v10 :: v_dual_lshlrev_b32 v9, 16, v9
	s_delay_alu instid0(VALU_DEP_1) | instskip(SKIP_4) | instid1(VALU_DEP_1)
	v_fmac_f32_e32 v4, v39, v9
	ds_load_b128 v[36:39], v2 offset:48
	v_fmac_f32_e32 v4, v40, v8
	ds_load_b128 v[7:10], v2 offset:32
	v_fmac_f32_e32 v4, v41, v13
	v_fmac_f32_e32 v4, v42, v6
	v_lshlrev_b32_e32 v6, 16, v19
	s_delay_alu instid0(VALU_DEP_2) | instskip(SKIP_1) | instid1(VALU_DEP_1)
	v_dual_fmac_f32 v4, v43, v5 :: v_dual_lshlrev_b32 v5, 16, v18
	s_waitcnt lgkmcnt(0)
	v_fmac_f32_e32 v4, v7, v6
	v_lshlrev_b32_e32 v6, 16, v17
	s_delay_alu instid0(VALU_DEP_2) | instskip(NEXT) | instid1(VALU_DEP_1)
	v_dual_fmac_f32 v4, v8, v5 :: v_dual_lshlrev_b32 v5, 16, v16
	v_fmac_f32_e32 v4, v9, v6
	v_lshlrev_b32_e32 v6, 16, v15
	s_delay_alu instid0(VALU_DEP_2) | instskip(NEXT) | instid1(VALU_DEP_1)
	v_dual_fmac_f32 v4, v10, v5 :: v_dual_lshlrev_b32 v5, 16, v14
	;; [unrolled: 4-line block ×3, first 2 shown]
	v_fmac_f32_e32 v4, v38, v6
	s_delay_alu instid0(VALU_DEP_1)
	v_fmac_f32_e32 v4, v39, v5
	s_cbranch_vccz .LBB601_13
; %bb.12:
	ds_load_b128 v[5:8], v2 offset:64
	ds_load_b128 v[9:12], v2 offset:80
	s_waitcnt lgkmcnt(1)
	v_fmac_f32_e32 v4, v5, v35
	s_delay_alu instid0(VALU_DEP_1) | instskip(NEXT) | instid1(VALU_DEP_1)
	v_fmac_f32_e32 v4, v6, v34
	v_fmac_f32_e32 v4, v7, v33
	s_delay_alu instid0(VALU_DEP_1) | instskip(SKIP_3) | instid1(VALU_DEP_1)
	v_fmac_f32_e32 v4, v8, v32
	ds_load_b128 v[5:8], v2 offset:96
	s_waitcnt lgkmcnt(1)
	v_fmac_f32_e32 v4, v9, v31
	v_fmac_f32_e32 v4, v10, v30
	s_delay_alu instid0(VALU_DEP_1) | instskip(NEXT) | instid1(VALU_DEP_1)
	v_fmac_f32_e32 v4, v11, v29
	v_fmac_f32_e32 v4, v12, v28
	ds_load_b128 v[9:12], v2 offset:112
	s_waitcnt lgkmcnt(1)
	v_fmac_f32_e32 v4, v5, v27
	s_delay_alu instid0(VALU_DEP_1) | instskip(NEXT) | instid1(VALU_DEP_1)
	v_fmac_f32_e32 v4, v6, v26
	v_fmac_f32_e32 v4, v7, v25
	s_delay_alu instid0(VALU_DEP_1) | instskip(SKIP_1) | instid1(VALU_DEP_1)
	v_fmac_f32_e32 v4, v8, v24
	s_waitcnt lgkmcnt(0)
	v_fmac_f32_e32 v4, v9, v23
	s_delay_alu instid0(VALU_DEP_1) | instskip(NEXT) | instid1(VALU_DEP_1)
	v_fmac_f32_e32 v4, v10, v22
	v_fmac_f32_e32 v4, v11, v21
	s_delay_alu instid0(VALU_DEP_1)
	v_fmac_f32_e32 v4, v12, v20
.LBB601_13:
	s_movk_i32 s43, 0x1f80
	s_movk_i32 s44, 0x80
	s_mov_b32 s45, 32
	s_branch .LBB601_15
.LBB601_14:                             ;   in Loop: Header=BB601_15 Depth=1
	s_addk_i32 s43, 0x1000
	s_addk_i32 s44, 0x80
	s_add_i32 s45, s45, 32
	s_cmpk_eq_u32 s43, 0x8f80
	s_cbranch_scc1 .LBB601_17
.LBB601_15:                             ; =>This Inner Loop Header: Depth=1
	s_cmp_le_i32 s40, s45
	s_cbranch_scc1 .LBB601_14
; %bb.16:                               ;   in Loop: Header=BB601_15 Depth=1
	s_add_i32 s4, s43, 0xfffff080
	v_mov_b32_e32 v44, s44
	s_cmp_lt_i32 s4, s41
	s_cselect_b32 s4, s4, s42
	s_add_i32 s6, s43, 0xfffff100
	s_ashr_i32 s5, s4, 31
	s_delay_alu instid0(SALU_CYCLE_1)
	s_lshl_b64 s[38:39], s[4:5], 1
	s_cmp_lt_i32 s6, s41
	v_add_co_u32 v5, vcc_lo, v1, s38
	s_cselect_b32 s4, s6, s42
	s_add_i32 s6, s43, 0xfffff180
	s_ashr_i32 s5, s4, 31
	v_add_co_ci_u32_e32 v6, vcc_lo, s39, v3, vcc_lo
	s_lshl_b64 s[4:5], s[4:5], 1
	s_cmp_lt_i32 s6, s41
	s_cselect_b32 s6, s6, s42
	s_add_i32 s8, s43, 0xfffff200
	s_ashr_i32 s7, s6, 31
	global_load_u16 v2, v[5:6], off
	s_lshl_b64 s[6:7], s[6:7], 1
	s_cmp_lt_i32 s8, s41
	v_add_co_u32 v5, vcc_lo, v1, s4
	s_cselect_b32 s8, s8, s42
	s_add_i32 s10, s43, 0xfffff280
	s_ashr_i32 s9, s8, 31
	v_add_co_ci_u32_e32 v6, vcc_lo, s5, v3, vcc_lo
	s_lshl_b64 s[8:9], s[8:9], 1
	s_cmp_lt_i32 s10, s41
	v_add_co_u32 v7, vcc_lo, v1, s6
	s_cselect_b32 s10, s10, s42
	s_add_i32 s18, s43, 0xfffff300
	s_ashr_i32 s11, s10, 31
	v_add_co_ci_u32_e32 v8, vcc_lo, s7, v3, vcc_lo
	s_lshl_b64 s[10:11], s[10:11], 1
	s_cmp_lt_i32 s18, s41
	v_add_co_u32 v9, vcc_lo, v1, s8
	s_cselect_b32 s18, s18, s42
	s_add_i32 s20, s43, 0xfffff380
	s_ashr_i32 s19, s18, 31
	s_clause 0x1
	global_load_u16 v23, v[5:6], off
	global_load_u16 v24, v[7:8], off
	s_lshl_b64 s[18:19], s[18:19], 1
	s_cmp_lt_i32 s20, s41
	v_add_co_ci_u32_e32 v10, vcc_lo, s9, v3, vcc_lo
	s_cselect_b32 s20, s20, s42
	s_add_i32 s22, s43, 0xfffff400
	s_ashr_i32 s21, s20, 31
	global_load_u16 v25, v[9:10], off
	s_lshl_b64 s[20:21], s[20:21], 1
	s_cmp_lt_i32 s22, s41
	v_add_co_u32 v11, vcc_lo, v1, s10
	s_cselect_b32 s22, s22, s42
	s_add_i32 s24, s43, 0xfffff480
	s_ashr_i32 s23, s22, 31
	v_add_co_ci_u32_e32 v12, vcc_lo, s11, v3, vcc_lo
	s_lshl_b64 s[22:23], s[22:23], 1
	s_cmp_lt_i32 s24, s41
	v_add_co_u32 v13, vcc_lo, v1, s18
	global_load_u16 v26, v[11:12], off
	s_cselect_b32 s24, s24, s42
	s_add_i32 s26, s43, 0xfffff500
	s_ashr_i32 s25, s24, 31
	v_add_co_ci_u32_e32 v14, vcc_lo, s19, v3, vcc_lo
	s_lshl_b64 s[24:25], s[24:25], 1
	s_cmp_lt_i32 s26, s41
	v_add_co_u32 v15, vcc_lo, v1, s20
	global_load_u16 v27, v[13:14], off
	s_cselect_b32 s26, s26, s42
	s_add_i32 s28, s43, 0xfffff580
	s_ashr_i32 s27, s26, 31
	v_add_co_ci_u32_e32 v16, vcc_lo, s21, v3, vcc_lo
	s_lshl_b64 s[36:37], s[26:27], 1
	s_cmp_lt_i32 s28, s41
	v_add_co_u32 v17, vcc_lo, v1, s22
	s_cselect_b32 s26, s28, s42
	s_add_i32 s30, s43, 0xfffff600
	s_ashr_i32 s27, s26, 31
	v_add_co_ci_u32_e32 v18, vcc_lo, s23, v3, vcc_lo
	s_lshl_b64 s[28:29], s[26:27], 1
	s_cmp_lt_i32 s30, s41
	v_add_co_u32 v19, vcc_lo, v1, s24
	global_load_u16 v17, v[17:18], off
	s_cselect_b32 s26, s30, s42
	s_add_i32 s30, s43, 0xfffff680
	s_ashr_i32 s27, s26, 31
	v_add_co_ci_u32_e32 v20, vcc_lo, s25, v3, vcc_lo
	s_lshl_b64 s[26:27], s[26:27], 1
	s_cmp_lt_i32 s30, s41
	v_add_co_u32 v21, vcc_lo, v1, s36
	s_cselect_b32 s30, s30, s42
	s_add_i32 s46, s43, 0xfffff700
	s_ashr_i32 s31, s30, 31
	v_add_co_ci_u32_e32 v22, vcc_lo, s37, v3, vcc_lo
	s_lshl_b64 s[34:35], s[30:31], 1
	s_cmp_lt_i32 s46, s41
	v_add_co_u32 v5, vcc_lo, v1, s28
	s_cselect_b32 s30, s46, s42
	s_add_i32 s46, s43, 0xfffff780
	s_ashr_i32 s31, s30, 31
	v_add_co_ci_u32_e32 v6, vcc_lo, s29, v3, vcc_lo
	s_lshl_b64 s[30:31], s[30:31], 1
	s_cmp_lt_i32 s46, s41
	v_add_co_u32 v7, vcc_lo, v1, s26
	s_cselect_b32 s46, s46, s42
	s_add_i32 s48, s43, 0xfffff800
	s_ashr_i32 s47, s46, 31
	global_load_u16 v28, v[15:16], off
	s_lshl_b64 s[38:39], s[46:47], 1
	s_cmp_lt_i32 s48, s41
	v_add_co_ci_u32_e32 v8, vcc_lo, s27, v3, vcc_lo
	s_cselect_b32 s46, s48, s42
	v_add_co_u32 v9, vcc_lo, v1, s34
	s_ashr_i32 s47, s46, 31
	s_add_i32 s4, s43, 0xfffff880
	s_lshl_b64 s[46:47], s[46:47], 1
	v_add_co_ci_u32_e32 v10, vcc_lo, s35, v3, vcc_lo
	s_cmp_lt_i32 s4, s41
	v_add_co_u32 v11, vcc_lo, v1, s30
	s_cselect_b32 s4, s4, s42
	v_add_co_ci_u32_e32 v12, vcc_lo, s31, v3, vcc_lo
	v_add_co_u32 v13, vcc_lo, v1, s38
	s_ashr_i32 s5, s4, 31
	s_add_i32 s6, s43, 0xfffff900
	v_add_co_ci_u32_e32 v14, vcc_lo, s39, v3, vcc_lo
	global_load_u16 v18, v[19:20], off
	s_lshl_b64 s[8:9], s[4:5], 1
	s_cmp_lt_i32 s6, s41
	global_load_u16 v30, v[13:14], off
	s_cselect_b32 s4, s6, s42
	global_load_u16 v19, v[21:22], off
	s_ashr_i32 s5, s4, 31
	s_add_i32 s6, s43, 0xfffff980
	s_lshl_b64 s[10:11], s[4:5], 1
	s_cmp_lt_i32 s6, s41
	s_clause 0x3
	global_load_u16 v20, v[5:6], off
	global_load_u16 v21, v[7:8], off
	;; [unrolled: 1-line block ×4, first 2 shown]
	s_cselect_b32 s4, s6, s42
	s_add_i32 s6, s43, 0xfffffa00
	s_ashr_i32 s5, s4, 31
	v_add_co_u32 v15, vcc_lo, v1, s46
	s_lshl_b64 s[4:5], s[4:5], 1
	s_cmp_lt_i32 s6, s41
	v_add_co_ci_u32_e32 v16, vcc_lo, s47, v3, vcc_lo
	s_cselect_b32 s6, s6, s42
	s_add_i32 s18, s43, 0xfffffa80
	s_ashr_i32 s7, s6, 31
	v_add_co_u32 v5, vcc_lo, v1, s8
	s_lshl_b64 s[6:7], s[6:7], 1
	s_cmp_lt_i32 s18, s41
	v_add_co_ci_u32_e32 v6, vcc_lo, s9, v3, vcc_lo
	s_cselect_b32 s18, s18, s42
	v_add_co_u32 v7, vcc_lo, v1, s10
	s_ashr_i32 s19, s18, 31
	s_add_i32 s20, s43, 0xfffffb00
	s_lshl_b64 s[18:19], s[18:19], 1
	v_add_co_ci_u32_e32 v8, vcc_lo, s11, v3, vcc_lo
	s_cmp_lt_i32 s20, s41
	v_add_co_u32 v9, vcc_lo, v1, s4
	s_cselect_b32 s20, s20, s42
	v_add_co_ci_u32_e32 v10, vcc_lo, s5, v3, vcc_lo
	v_add_co_u32 v11, vcc_lo, v1, s6
	s_ashr_i32 s21, s20, 31
	s_add_i32 s22, s43, 0xfffffb80
	v_add_co_ci_u32_e32 v12, vcc_lo, s7, v3, vcc_lo
	global_load_u16 v15, v[15:16], off
	s_lshl_b64 s[20:21], s[20:21], 1
	s_cmp_lt_i32 s22, s41
	global_load_u16 v33, v[11:12], off
	s_cselect_b32 s22, s22, s42
	s_clause 0x2
	global_load_u16 v16, v[5:6], off
	global_load_u16 v31, v[7:8], off
	;; [unrolled: 1-line block ×3, first 2 shown]
	s_ashr_i32 s23, s22, 31
	s_add_i32 s24, s43, 0xfffffc00
	s_lshl_b64 s[22:23], s[22:23], 1
	s_cmp_lt_i32 s24, s41
	v_add_co_u32 v13, vcc_lo, v1, s18
	s_cselect_b32 s24, s24, s42
	s_add_i32 s26, s43, 0xfffffc80
	s_ashr_i32 s25, s24, 31
	v_add_co_ci_u32_e32 v14, vcc_lo, s19, v3, vcc_lo
	s_lshl_b64 s[24:25], s[24:25], 1
	s_cmp_lt_i32 s26, s41
	v_add_co_u32 v5, vcc_lo, v1, s20
	s_cselect_b32 s8, s26, s42
	v_add_co_ci_u32_e32 v6, vcc_lo, s21, v3, vcc_lo
	s_ashr_i32 s9, s8, 31
	v_add_co_u32 v7, vcc_lo, v1, s22
	s_add_i32 s10, s43, 0xfffffd00
	s_lshl_b64 s[8:9], s[8:9], 1
	v_add_co_ci_u32_e32 v8, vcc_lo, s23, v3, vcc_lo
	s_cmp_lt_i32 s10, s41
	v_add_co_u32 v9, vcc_lo, v1, s24
	s_cselect_b32 s4, s10, s42
	global_load_u16 v13, v[13:14], off
	v_add_co_ci_u32_e32 v10, vcc_lo, s25, v3, vcc_lo
	s_ashr_i32 s5, s4, 31
	s_add_i32 s6, s43, 0xfffffd80
	s_lshl_b64 s[4:5], s[4:5], 1
	global_load_u16 v35, v[9:10], off
	s_cmp_lt_i32 s6, s41
	s_clause 0x1
	global_load_u16 v14, v[5:6], off
	global_load_u16 v34, v[7:8], off
	s_cselect_b32 s6, s6, s42
	s_add_i32 s10, s43, 0xfffffe00
	s_ashr_i32 s7, s6, 31
	v_add_co_u32 v5, vcc_lo, v1, s8
	s_lshl_b64 s[6:7], s[6:7], 1
	s_cmp_lt_i32 s10, s41
	v_add_co_ci_u32_e32 v6, vcc_lo, s9, v3, vcc_lo
	s_cselect_b32 s10, s10, s42
	v_add_co_u32 v7, vcc_lo, v1, s4
	s_ashr_i32 s11, s10, 31
	v_add_co_ci_u32_e32 v8, vcc_lo, s5, v3, vcc_lo
	s_add_i32 s18, s43, 0xfffffe80
	s_lshl_b64 s[10:11], s[10:11], 1
	s_cmp_lt_i32 s18, s41
	s_clause 0x1
	global_load_u16 v36, v[5:6], off
	global_load_u16 v37, v[7:8], off
	s_cselect_b32 s18, s18, s42
	v_add_co_u32 v5, vcc_lo, v1, s6
	s_ashr_i32 s19, s18, 31
	v_add_co_ci_u32_e32 v6, vcc_lo, s7, v3, vcc_lo
	s_add_i32 s20, s43, 0xffffff00
	v_add_co_u32 v7, vcc_lo, v1, s10
	s_lshl_b64 s[8:9], s[18:19], 1
	s_cmp_lt_i32 s20, s41
	v_add_co_ci_u32_e32 v8, vcc_lo, s11, v3, vcc_lo
	s_cselect_b32 s4, s20, s42
	global_load_u16 v38, v[5:6], off
	s_ashr_i32 s5, s4, 31
	global_load_u16 v39, v[7:8], off
	s_add_i32 s18, s43, 0xffffff80
	v_add_co_u32 v5, vcc_lo, v1, s8
	s_lshl_b64 s[4:5], s[4:5], 1
	s_cmp_lt_i32 s18, s41
	v_add_co_ci_u32_e32 v6, vcc_lo, s9, v3, vcc_lo
	v_add_co_u32 v7, vcc_lo, v1, s4
	s_cselect_b32 s6, s18, s42
	v_add_co_ci_u32_e32 v8, vcc_lo, s5, v3, vcc_lo
	s_ashr_i32 s7, s6, 31
	global_load_u16 v40, v[5:6], off
	s_lshl_b64 s[6:7], s[6:7], 1
	global_load_u16 v41, v[7:8], off
	s_cmp_lt_i32 s43, s41
	v_add_co_u32 v5, vcc_lo, v1, s6
	s_cselect_b32 s4, s43, s42
	v_add_co_ci_u32_e32 v6, vcc_lo, s7, v3, vcc_lo
	s_ashr_i32 s5, s4, 31
	s_delay_alu instid0(SALU_CYCLE_1)
	s_lshl_b64 s[4:5], s[4:5], 1
	global_load_u16 v42, v[5:6], off
	v_add_co_u32 v5, vcc_lo, v1, s4
	v_add_co_ci_u32_e32 v6, vcc_lo, s5, v3, vcc_lo
	global_load_u16 v43, v[5:6], off
	ds_load_b128 v[5:8], v44
	ds_load_b128 v[9:12], v44 offset:16
	s_waitcnt vmcnt(31)
	v_lshlrev_b32_e32 v2, 16, v2
	s_waitcnt lgkmcnt(1)
	s_delay_alu instid0(VALU_DEP_1) | instskip(SKIP_2) | instid1(VALU_DEP_1)
	v_fmac_f32_e32 v4, v5, v2
	s_waitcnt vmcnt(30)
	v_lshlrev_b32_e32 v2, 16, v23
	v_fmac_f32_e32 v4, v6, v2
	s_waitcnt vmcnt(29)
	v_lshlrev_b32_e32 v2, 16, v24
	s_delay_alu instid0(VALU_DEP_1) | instskip(SKIP_2) | instid1(VALU_DEP_1)
	v_fmac_f32_e32 v4, v7, v2
	s_waitcnt vmcnt(28)
	v_lshlrev_b32_e32 v2, 16, v25
	v_fmac_f32_e32 v4, v8, v2
	ds_load_b128 v[5:8], v44 offset:32
	s_waitcnt vmcnt(27)
	v_lshlrev_b32_e32 v2, 16, v26
	s_waitcnt lgkmcnt(1)
	s_delay_alu instid0(VALU_DEP_1) | instskip(SKIP_2) | instid1(VALU_DEP_1)
	v_fmac_f32_e32 v4, v9, v2
	s_waitcnt vmcnt(26)
	v_lshlrev_b32_e32 v2, 16, v27
	v_fmac_f32_e32 v4, v10, v2
	s_waitcnt vmcnt(24)
	v_lshlrev_b32_e32 v2, 16, v28
	s_delay_alu instid0(VALU_DEP_1) | instskip(SKIP_1) | instid1(VALU_DEP_1)
	v_fmac_f32_e32 v4, v11, v2
	v_lshlrev_b32_e32 v2, 16, v17
	v_fmac_f32_e32 v4, v12, v2
	ds_load_b128 v[9:12], v44 offset:48
	s_waitcnt vmcnt(23)
	v_lshlrev_b32_e32 v2, 16, v18
	s_waitcnt lgkmcnt(1)
	s_delay_alu instid0(VALU_DEP_1) | instskip(SKIP_2) | instid1(VALU_DEP_1)
	v_fmac_f32_e32 v4, v5, v2
	s_waitcnt vmcnt(21)
	v_lshlrev_b32_e32 v2, 16, v19
	v_fmac_f32_e32 v4, v6, v2
	s_waitcnt vmcnt(20)
	v_lshlrev_b32_e32 v2, 16, v20
	s_delay_alu instid0(VALU_DEP_1) | instskip(SKIP_2) | instid1(VALU_DEP_1)
	v_fmac_f32_e32 v4, v7, v2
	s_waitcnt vmcnt(19)
	v_lshlrev_b32_e32 v2, 16, v21
	v_fmac_f32_e32 v4, v8, v2
	s_waitcnt vmcnt(18)
	v_lshlrev_b32_e32 v2, 16, v22
	ds_load_b128 v[5:8], v44 offset:64
	s_waitcnt lgkmcnt(1)
	v_fmac_f32_e32 v4, v9, v2
	s_waitcnt vmcnt(17)
	v_lshlrev_b32_e32 v2, 16, v29
	s_delay_alu instid0(VALU_DEP_1) | instskip(SKIP_1) | instid1(VALU_DEP_1)
	v_fmac_f32_e32 v4, v10, v2
	v_lshlrev_b32_e32 v2, 16, v30
	v_fmac_f32_e32 v4, v11, v2
	s_waitcnt vmcnt(16)
	v_lshlrev_b32_e32 v2, 16, v15
	s_delay_alu instid0(VALU_DEP_1) | instskip(SKIP_4) | instid1(VALU_DEP_1)
	v_fmac_f32_e32 v4, v12, v2
	ds_load_b128 v[9:12], v44 offset:80
	s_waitcnt vmcnt(14)
	v_lshlrev_b32_e32 v2, 16, v16
	s_waitcnt lgkmcnt(1)
	v_fmac_f32_e32 v4, v5, v2
	s_waitcnt vmcnt(13)
	v_lshlrev_b32_e32 v2, 16, v31
	s_delay_alu instid0(VALU_DEP_1) | instskip(SKIP_2) | instid1(VALU_DEP_1)
	v_fmac_f32_e32 v4, v6, v2
	s_waitcnt vmcnt(12)
	v_lshlrev_b32_e32 v2, 16, v32
	v_fmac_f32_e32 v4, v7, v2
	v_lshlrev_b32_e32 v2, 16, v33
	s_delay_alu instid0(VALU_DEP_1) | instskip(SKIP_4) | instid1(VALU_DEP_1)
	v_fmac_f32_e32 v4, v8, v2
	ds_load_b128 v[5:8], v44 offset:96
	s_waitcnt vmcnt(11)
	v_lshlrev_b32_e32 v2, 16, v13
	s_waitcnt lgkmcnt(1)
	v_fmac_f32_e32 v4, v9, v2
	s_waitcnt vmcnt(9)
	v_lshlrev_b32_e32 v2, 16, v14
	s_delay_alu instid0(VALU_DEP_1) | instskip(SKIP_2) | instid1(VALU_DEP_1)
	v_fmac_f32_e32 v4, v10, v2
	s_waitcnt vmcnt(8)
	v_lshlrev_b32_e32 v2, 16, v34
	v_fmac_f32_e32 v4, v11, v2
	v_lshlrev_b32_e32 v2, 16, v35
	s_delay_alu instid0(VALU_DEP_1) | instskip(SKIP_4) | instid1(VALU_DEP_1)
	v_fmac_f32_e32 v4, v12, v2
	ds_load_b128 v[9:12], v44 offset:112
	s_waitcnt vmcnt(7)
	v_lshlrev_b32_e32 v2, 16, v36
	s_waitcnt lgkmcnt(1)
	v_fmac_f32_e32 v4, v5, v2
	s_waitcnt vmcnt(6)
	v_lshlrev_b32_e32 v2, 16, v37
	s_delay_alu instid0(VALU_DEP_1) | instskip(SKIP_2) | instid1(VALU_DEP_1)
	v_fmac_f32_e32 v4, v6, v2
	s_waitcnt vmcnt(5)
	v_lshlrev_b32_e32 v2, 16, v38
	v_fmac_f32_e32 v4, v7, v2
	s_waitcnt vmcnt(4)
	v_lshlrev_b32_e32 v2, 16, v39
	s_delay_alu instid0(VALU_DEP_1) | instskip(SKIP_3) | instid1(VALU_DEP_1)
	v_fmac_f32_e32 v4, v8, v2
	s_waitcnt vmcnt(3)
	v_lshlrev_b32_e32 v2, 16, v40
	s_waitcnt lgkmcnt(0)
	v_fmac_f32_e32 v4, v9, v2
	s_waitcnt vmcnt(2)
	v_lshlrev_b32_e32 v2, 16, v41
	s_delay_alu instid0(VALU_DEP_1) | instskip(SKIP_2) | instid1(VALU_DEP_1)
	v_fmac_f32_e32 v4, v10, v2
	s_waitcnt vmcnt(1)
	v_lshlrev_b32_e32 v2, 16, v42
	v_fmac_f32_e32 v4, v11, v2
	s_waitcnt vmcnt(0)
	v_lshlrev_b32_e32 v2, 16, v43
	s_delay_alu instid0(VALU_DEP_1)
	v_fmac_f32_e32 v4, v12, v2
	s_branch .LBB601_14
.LBB601_17:
	v_mov_b32_e32 v1, 0
	s_and_b32 vcc_lo, exec_lo, s15
	ds_load_b32 v1, v1 offset:1024
	s_cbranch_vccz .LBB601_19
; %bb.18:
	s_add_u32 s2, s12, s16
	s_addc_u32 s3, s13, s17
	s_load_b32 s2, s[2:3], 0x0
	s_mov_b32 s3, 0
.LBB601_19:
	s_waitcnt lgkmcnt(0)
	v_add_f32_e32 v1, 0x358637bd, v1
	s_delay_alu instid0(VALU_DEP_1) | instskip(NEXT) | instid1(VALU_DEP_1)
	v_div_scale_f32 v2, null, v1, v1, 1.0
	v_rcp_f32_e32 v3, v2
	s_waitcnt_depctr 0xfff
	v_fma_f32 v5, -v2, v3, 1.0
	s_delay_alu instid0(VALU_DEP_1) | instskip(SKIP_1) | instid1(VALU_DEP_1)
	v_fmac_f32_e32 v3, v5, v3
	v_div_scale_f32 v5, vcc_lo, 1.0, v1, 1.0
	v_mul_f32_e32 v6, v5, v3
	s_delay_alu instid0(VALU_DEP_1) | instskip(NEXT) | instid1(VALU_DEP_1)
	v_fma_f32 v7, -v2, v6, v5
	v_fmac_f32_e32 v6, v7, v3
	s_delay_alu instid0(VALU_DEP_1) | instskip(NEXT) | instid1(VALU_DEP_1)
	v_fma_f32 v2, -v2, v6, v5
	v_div_fmas_f32 v2, v2, v3, v6
	s_delay_alu instid0(VALU_DEP_1) | instskip(NEXT) | instid1(VALU_DEP_1)
	v_div_fixup_f32 v1, v2, v1, 1.0
	v_mul_f32_e32 v2, v4, v1
	s_delay_alu instid0(VALU_DEP_1) | instskip(NEXT) | instid1(VALU_DEP_1)
	v_and_b32_e32 v1, 0x7f800000, v2
	v_cmp_ne_u32_e32 vcc_lo, 0x7f800000, v1
                                        ; implicit-def: $vgpr1
	s_and_saveexec_b32 s4, vcc_lo
	s_delay_alu instid0(SALU_CYCLE_1)
	s_xor_b32 s4, exec_lo, s4
; %bb.20:
	v_bfe_u32 v1, v2, 16, 1
	s_delay_alu instid0(VALU_DEP_1)
	v_add3_u32 v1, v2, v1, 0x7fff
                                        ; implicit-def: $vgpr2
; %bb.21:
	s_and_not1_saveexec_b32 s4, s4
; %bb.22:
	v_and_b32_e32 v1, 0xffff, v2
	v_or_b32_e32 v3, 0x10000, v2
	s_delay_alu instid0(VALU_DEP_2) | instskip(NEXT) | instid1(VALU_DEP_2)
	v_cmp_eq_u32_e32 vcc_lo, 0, v1
	v_cndmask_b32_e32 v1, v3, v2, vcc_lo
; %bb.23:
	s_or_b32 exec_lo, exec_lo, s4
	s_mul_i32 s3, s33, s3
	s_mul_hi_u32 s4, s33, s2
	s_mul_i32 s2, s33, s2
	s_add_i32 s3, s4, s3
	s_mov_b32 s15, 0
	s_lshl_b64 s[2:3], s[2:3], 7
	v_and_b32_e32 v1, 0xffff0000, v1
	s_add_u32 s2, s0, s2
	s_addc_u32 s3, s1, s3
	s_lshl_b64 s[0:1], s[14:15], 7
	s_delay_alu instid0(SALU_CYCLE_1)
	s_add_u32 s0, s2, s0
	s_addc_u32 s1, s3, s1
	v_add_co_u32 v0, s0, s0, v0
	v_cvt_i32_f32_e32 v2, v1
	v_add_co_ci_u32_e64 v1, null, s1, 0, s0
	global_store_b8 v[0:1], v2, off
	s_nop 0
	s_sendmsg sendmsg(MSG_DEALLOC_VGPRS)
	s_endpgm
.LBB601_24:
	s_mov_b32 s4, 0
	s_branch .LBB601_2
	.section	.rodata,"a",@progbits
	.p2align	6, 0x0
	.amdhsa_kernel _Z35paged_attention_ll4mi_reduce_kernelI14__hip_bfloat16hLi128ELi128ELi256ELi8EEvPT0_PKfS4_PKT_PKiS9_iS4_
		.amdhsa_group_segment_fixed_size 1028
		.amdhsa_private_segment_fixed_size 0
		.amdhsa_kernarg_size 320
		.amdhsa_user_sgpr_count 14
		.amdhsa_user_sgpr_dispatch_ptr 0
		.amdhsa_user_sgpr_queue_ptr 0
		.amdhsa_user_sgpr_kernarg_segment_ptr 1
		.amdhsa_user_sgpr_dispatch_id 0
		.amdhsa_user_sgpr_private_segment_size 0
		.amdhsa_wavefront_size32 1
		.amdhsa_uses_dynamic_stack 0
		.amdhsa_enable_private_segment 0
		.amdhsa_system_sgpr_workgroup_id_x 1
		.amdhsa_system_sgpr_workgroup_id_y 1
		.amdhsa_system_sgpr_workgroup_id_z 0
		.amdhsa_system_sgpr_workgroup_info 0
		.amdhsa_system_vgpr_workitem_id 0
		.amdhsa_next_free_vgpr 52
		.amdhsa_next_free_sgpr 49
		.amdhsa_reserve_vcc 1
		.amdhsa_float_round_mode_32 0
		.amdhsa_float_round_mode_16_64 0
		.amdhsa_float_denorm_mode_32 3
		.amdhsa_float_denorm_mode_16_64 3
		.amdhsa_dx10_clamp 1
		.amdhsa_ieee_mode 1
		.amdhsa_fp16_overflow 0
		.amdhsa_workgroup_processor_mode 1
		.amdhsa_memory_ordered 1
		.amdhsa_forward_progress 0
		.amdhsa_shared_vgpr_count 0
		.amdhsa_exception_fp_ieee_invalid_op 0
		.amdhsa_exception_fp_denorm_src 0
		.amdhsa_exception_fp_ieee_div_zero 0
		.amdhsa_exception_fp_ieee_overflow 0
		.amdhsa_exception_fp_ieee_underflow 0
		.amdhsa_exception_fp_ieee_inexact 0
		.amdhsa_exception_int_div_zero 0
	.end_amdhsa_kernel
	.section	.text._Z35paged_attention_ll4mi_reduce_kernelI14__hip_bfloat16hLi128ELi128ELi256ELi8EEvPT0_PKfS4_PKT_PKiS9_iS4_,"axG",@progbits,_Z35paged_attention_ll4mi_reduce_kernelI14__hip_bfloat16hLi128ELi128ELi256ELi8EEvPT0_PKfS4_PKT_PKiS9_iS4_,comdat
.Lfunc_end601:
	.size	_Z35paged_attention_ll4mi_reduce_kernelI14__hip_bfloat16hLi128ELi128ELi256ELi8EEvPT0_PKfS4_PKT_PKiS9_iS4_, .Lfunc_end601-_Z35paged_attention_ll4mi_reduce_kernelI14__hip_bfloat16hLi128ELi128ELi256ELi8EEvPT0_PKfS4_PKT_PKiS9_iS4_
                                        ; -- End function
	.section	.AMDGPU.csdata,"",@progbits
; Kernel info:
; codeLenInByte = 6680
; NumSgprs: 51
; NumVgprs: 52
; ScratchSize: 0
; MemoryBound: 0
; FloatMode: 240
; IeeeMode: 1
; LDSByteSize: 1028 bytes/workgroup (compile time only)
; SGPRBlocks: 6
; VGPRBlocks: 6
; NumSGPRsForWavesPerEU: 51
; NumVGPRsForWavesPerEU: 52
; Occupancy: 16
; WaveLimiterHint : 0
; COMPUTE_PGM_RSRC2:SCRATCH_EN: 0
; COMPUTE_PGM_RSRC2:USER_SGPR: 14
; COMPUTE_PGM_RSRC2:TRAP_HANDLER: 0
; COMPUTE_PGM_RSRC2:TGID_X_EN: 1
; COMPUTE_PGM_RSRC2:TGID_Y_EN: 1
; COMPUTE_PGM_RSRC2:TGID_Z_EN: 0
; COMPUTE_PGM_RSRC2:TIDIG_COMP_CNT: 0
	.section	.text._Z39paged_attention_ll4mi_QKV_mfma16_kernelI14__hip_bfloat16S0_LN4vllm18Fp8KVCacheDataTypeE0EhLi16ELi128ELi256ELb1ELi1EL8MFMAType0EEvPKT_PKT0_S9_ifPKiSB_SB_iPKfiiiPfSE_PS4_PT2_iSD_SD_,"axG",@progbits,_Z39paged_attention_ll4mi_QKV_mfma16_kernelI14__hip_bfloat16S0_LN4vllm18Fp8KVCacheDataTypeE0EhLi16ELi128ELi256ELb1ELi1EL8MFMAType0EEvPKT_PKT0_S9_ifPKiSB_SB_iPKfiiiPfSE_PS4_PT2_iSD_SD_,comdat
	.protected	_Z39paged_attention_ll4mi_QKV_mfma16_kernelI14__hip_bfloat16S0_LN4vllm18Fp8KVCacheDataTypeE0EhLi16ELi128ELi256ELb1ELi1EL8MFMAType0EEvPKT_PKT0_S9_ifPKiSB_SB_iPKfiiiPfSE_PS4_PT2_iSD_SD_ ; -- Begin function _Z39paged_attention_ll4mi_QKV_mfma16_kernelI14__hip_bfloat16S0_LN4vllm18Fp8KVCacheDataTypeE0EhLi16ELi128ELi256ELb1ELi1EL8MFMAType0EEvPKT_PKT0_S9_ifPKiSB_SB_iPKfiiiPfSE_PS4_PT2_iSD_SD_
	.globl	_Z39paged_attention_ll4mi_QKV_mfma16_kernelI14__hip_bfloat16S0_LN4vllm18Fp8KVCacheDataTypeE0EhLi16ELi128ELi256ELb1ELi1EL8MFMAType0EEvPKT_PKT0_S9_ifPKiSB_SB_iPKfiiiPfSE_PS4_PT2_iSD_SD_
	.p2align	8
	.type	_Z39paged_attention_ll4mi_QKV_mfma16_kernelI14__hip_bfloat16S0_LN4vllm18Fp8KVCacheDataTypeE0EhLi16ELi128ELi256ELb1ELi1EL8MFMAType0EEvPKT_PKT0_S9_ifPKiSB_SB_iPKfiiiPfSE_PS4_PT2_iSD_SD_,@function
_Z39paged_attention_ll4mi_QKV_mfma16_kernelI14__hip_bfloat16S0_LN4vllm18Fp8KVCacheDataTypeE0EhLi16ELi128ELi256ELb1ELi1EL8MFMAType0EEvPKT_PKT0_S9_ifPKiSB_SB_iPKfiiiPfSE_PS4_PT2_iSD_SD_: ; @_Z39paged_attention_ll4mi_QKV_mfma16_kernelI14__hip_bfloat16S0_LN4vllm18Fp8KVCacheDataTypeE0EhLi16ELi128ELi256ELb1ELi1EL8MFMAType0EEvPKT_PKT0_S9_ifPKiSB_SB_iPKfiiiPfSE_PS4_PT2_iSD_SD_
; %bb.0:
	s_load_b64 s[4:5], s[0:1], 0x30
	s_mov_b32 s34, s13
	s_waitcnt lgkmcnt(0)
	s_cmp_lg_u64 s[4:5], 0
	s_cselect_b32 s6, -1, 0
	s_ashr_i32 s35, s13, 31
	s_cmp_eq_u64 s[4:5], 0
	s_cbranch_scc1 .LBB602_3
; %bb.1:
	s_lshl_b64 s[2:3], s[34:35], 2
	s_delay_alu instid0(SALU_CYCLE_1) | instskip(SKIP_4) | instid1(SALU_CYCLE_1)
	s_add_u32 s2, s4, s2
	s_addc_u32 s3, s5, s3
	s_load_b64 s[2:3], s[2:3], 0x0
	s_waitcnt lgkmcnt(0)
	s_sub_i32 s2, s3, s2
	s_cmp_eq_u32 s2, 1
	s_cselect_b32 s2, -1, 0
	s_delay_alu instid0(SALU_CYCLE_1)
	s_and_not1_b32 vcc_lo, exec_lo, s2
	s_cbranch_vccz .LBB602_4
.LBB602_2:
	s_endpgm
.LBB602_3:
.LBB602_4:
	s_load_b64 s[2:3], s[0:1], 0x28
	s_lshl_b64 s[8:9], s[34:35], 2
	s_waitcnt lgkmcnt(0)
	s_add_u32 s2, s2, s8
	s_addc_u32 s3, s3, s9
	s_lshl_b32 s84, s14, 8
	s_load_b32 s33, s[2:3], 0x0
	s_waitcnt lgkmcnt(0)
	s_cmp_ge_i32 s84, s33
	s_cbranch_scc1 .LBB602_2
; %bb.5:
	s_clause 0x1
	s_load_b128 s[80:83], s[0:1], 0x8
	s_load_b64 s[2:3], s[0:1], 0x20
	s_and_not1_b32 vcc_lo, exec_lo, s6
	s_mov_b64 s[6:7], s[34:35]
	s_cbranch_vccnz .LBB602_7
; %bb.6:
	s_add_u32 s4, s4, s8
	s_addc_u32 s5, s5, s9
	s_load_b32 s6, s[4:5], 0x0
.LBB602_7:
	s_load_b128 s[76:79], s[0:1], 0x48
	v_and_b32_e32 v145, 15, v0
	s_mov_b32 s12, exec_lo
                                        ; implicit-def: $sgpr60
                                        ; implicit-def: $sgpr68
                                        ; implicit-def: $sgpr4
                                        ; implicit-def: $sgpr16
                                        ; implicit-def: $sgpr44
                                        ; implicit-def: $sgpr24
                                        ; implicit-def: $sgpr36
                                        ; implicit-def: $sgpr52
	s_delay_alu instid0(VALU_DEP_1)
	v_cmpx_eq_u32_e32 0, v145
	s_cbranch_execz .LBB602_9
; %bb.8:
	s_load_b64 s[4:5], s[0:1], 0x0
	s_waitcnt lgkmcnt(0)
	s_mul_hi_i32 s7, s6, s76
	s_mul_i32 s6, s6, s76
	s_delay_alu instid0(SALU_CYCLE_1) | instskip(NEXT) | instid1(SALU_CYCLE_1)
	s_lshl_b64 s[6:7], s[6:7], 1
	s_add_u32 s6, s4, s6
	s_addc_u32 s7, s5, s7
	s_lshl_b32 s4, s15, 7
	s_delay_alu instid0(SALU_CYCLE_1) | instskip(NEXT) | instid1(SALU_CYCLE_1)
	s_ashr_i32 s5, s4, 31
	s_lshl_b64 s[4:5], s[4:5], 1
	s_delay_alu instid0(SALU_CYCLE_1)
	s_add_u32 s52, s6, s4
	s_addc_u32 s53, s7, s5
	s_clause 0x7
	s_load_b256 s[60:67], s[52:53], 0x0
	s_load_b256 s[68:75], s[52:53], 0x20
	;; [unrolled: 1-line block ×8, first 2 shown]
.LBB602_9:
	s_or_b32 exec_lo, exec_lo, s12
	s_waitcnt lgkmcnt(0)
	v_dual_mov_b32 v128, s67 :: v_dual_and_b32 v1, 0xef, v0
	s_add_i32 s76, s33, 15
	s_clause 0x1
	s_load_b32 s13, s[0:1], 0x38
	s_load_b32 s35, s[0:1], 0x1c
	v_dual_mov_b32 v127, s66 :: v_dual_add_nc_u32 v2, s84, v1
	s_mul_i32 s12, s15, s78
	s_ashr_i32 s78, s76, 31
	v_mov_b32_e32 v125, s64
	s_delay_alu instid0(VALU_DEP_2)
	v_ashrrev_i32_e32 v1, 31, v2
	v_cmp_gt_i32_e32 vcc_lo, s33, v2
	s_lshr_b32 s79, s78, 28
	v_mov_b32_e32 v123, s62
	s_add_i32 s76, s76, s79
	v_lshrrev_b32_e32 v3, 28, v1
	s_ashr_i32 s86, s76, 4
	v_mov_b32_e32 v121, s60
	s_add_i32 s86, s86, -1
	v_mov_b32_e32 v171, s11
	v_dual_mov_b32 v126, s65 :: v_dual_add_nc_u32 v1, v2, v3
	v_or_b32_e32 v2, 16, v2
	s_waitcnt lgkmcnt(0)
	s_mul_i32 s78, s34, s13
	v_mov_b32_e32 v169, s9
	v_ashrrev_i32_e32 v1, 4, v1
	v_dual_mov_b32 v124, s63 :: v_dual_add_nc_u32 v3, v2, v3
	s_ashr_i32 s79, s78, 31
	v_mov_b32_e32 v167, s7
	s_delay_alu instid0(VALU_DEP_3)
	v_cndmask_b32_e32 v1, s86, v1, vcc_lo
	v_cmp_gt_i32_e32 vcc_lo, s33, v2
	v_ashrrev_i32_e32 v3, 4, v3
	s_lshl_b64 s[78:79], s[78:79], 2
	v_mov_b32_e32 v165, s5
	v_ashrrev_i32_e32 v2, 31, v1
	s_add_u32 s76, s2, s78
	v_cndmask_b32_e32 v3, s86, v3, vcc_lo
	s_addc_u32 s85, s3, s79
	s_ashr_i32 s13, s12, 31
	v_lshlrev_b64 v[1:2], 2, v[1:2]
	s_lshl_b64 s[2:3], s[12:13], 1
	v_ashrrev_i32_e32 v4, 31, v3
	s_add_u32 s96, s80, s2
	s_addc_u32 s97, s81, s3
	s_lshl_b32 s12, s14, 4
	v_add_co_u32 v1, vcc_lo, s76, v1
	v_lshlrev_b64 v[3:4], 2, v[3:4]
	v_add_co_ci_u32_e32 v2, vcc_lo, s85, v2, vcc_lo
	s_ashr_i32 s13, s12, 31
	v_mov_b32_e32 v179, s51
	s_lshl_b64 s[12:13], s[12:13], 2
	s_delay_alu instid0(VALU_DEP_3)
	v_add_co_u32 v3, vcc_lo, s76, v3
	v_add_co_ci_u32_e32 v4, vcc_lo, s85, v4, vcc_lo
	s_clause 0x1
	global_load_b32 v5, v[1:2], off
	global_load_b32 v6, v[3:4], off
	s_add_u32 s12, s76, s12
	s_addc_u32 s13, s85, s13
	s_or_b32 s78, s84, 16
	v_dual_mov_b32 v122, s61 :: v_dual_lshlrev_b32 v3, 4, v0
	s_ashr_i32 s79, s78, 4
	s_cmp_lt_i32 s78, s33
	s_mov_b32 s60, 0
	s_cselect_b32 s78, s79, s86
	s_mov_b32 s61, s60
	s_ashr_i32 s79, s78, 31
	s_mov_b32 s65, s60
	s_lshl_b64 s[78:79], s[78:79], 2
	v_mov_b32_e32 v155, s75
	s_add_u32 s78, s76, s78
	s_addc_u32 s79, s85, s79
	s_or_b32 s80, s84, 32
	v_mov_b32_e32 v153, s73
	s_ashr_i32 s81, s80, 4
	s_cmp_lt_i32 s80, s33
	v_mov_b32_e32 v152, s72
	s_cselect_b32 s80, s81, s86
	v_mov_b32_e32 v151, s71
	s_ashr_i32 s81, s80, 31
	v_mov_b32_e32 v150, s70
	s_lshl_b64 s[80:81], s[80:81], 2
	v_mov_b32_e32 v149, s69
	s_add_u32 s80, s76, s80
	s_addc_u32 s81, s85, s81
	s_or_b32 s87, s84, 48
	v_mov_b32_e32 v148, s68
	s_ashr_i32 s88, s87, 4
	s_cmp_lt_i32 s87, s33
	v_mov_b32_e32 v187, s31
	s_cselect_b32 s88, s88, s86
	v_dual_mov_b32 v177, s49 :: v_dual_mov_b32 v184, s28
	s_ashr_i32 s89, s88, 31
	v_dual_mov_b32 v175, s47 :: v_dual_mov_b32 v182, s26
	s_lshl_b64 s[88:89], s[88:89], 2
	v_dual_mov_b32 v173, s45 :: v_dual_mov_b32 v180, s24
	s_add_u32 s90, s76, s88
	s_addc_u32 s91, s85, s89
	s_or_b32 s87, s84, 64
	v_mov_b32_e32 v186, s30
	s_ashr_i32 s88, s87, 4
	s_cmp_lt_i32 s87, s33
	v_mov_b32_e32 v185, s29
	s_cselect_b32 s88, s88, s86
	v_mov_b32_e32 v183, s27
	s_ashr_i32 s89, s88, 31
	v_mov_b32_e32 v181, s25
	s_lshl_b64 s[88:89], s[88:89], 2
	v_lshrrev_b32_e32 v147, 5, v0
	s_add_u32 s92, s76, s88
	s_addc_u32 s93, s85, s89
	s_or_b32 s87, s84, 0x50
	v_mov_b32_e32 v195, s59
	s_ashr_i32 s88, s87, 4
	s_cmp_lt_i32 s87, s33
	v_mov_b32_e32 v194, s58
	s_cselect_b32 s88, s88, s86
	v_mov_b32_e32 v193, s57
	s_ashr_i32 s89, s88, 31
	v_mov_b32_e32 v191, s55
	s_lshl_b64 s[88:89], s[88:89], 2
	v_mov_b32_e32 v189, s53
	s_add_u32 s94, s76, s88
	s_addc_u32 s95, s85, s89
	s_clause 0x5
	s_load_b32 s88, s[12:13], 0x0
	s_load_b32 s87, s[78:79], 0x0
	;; [unrolled: 1-line block ×6, first 2 shown]
	v_mov_b32_e32 v154, s74
	v_mov_b32_e32 v170, s10
	v_mov_b32_e32 v168, s8
	v_mov_b32_e32 v166, s6
	v_mov_b32_e32 v164, s4
	v_mov_b32_e32 v178, s50
	v_mov_b32_e32 v176, s48
	v_mov_b32_e32 v174, s46
	v_mov_b32_e32 v172, s44
	v_mov_b32_e32 v192, s56
	v_mov_b32_e32 v190, s54
	v_mov_b32_e32 v188, s52
	s_waitcnt lgkmcnt(0)
	s_mul_hi_i32 s7, s87, s77
	s_mul_hi_i32 s11, s13, s77
	s_waitcnt vmcnt(1)
	v_mad_i64_i32 v[1:2], null, v5, s77, 0
	v_and_b32_e32 v5, 0xf0, v3
	s_waitcnt vmcnt(0)
	v_mad_i64_i32 v[3:4], null, v6, s77, 0
	s_delay_alu instid0(VALU_DEP_2) | instskip(NEXT) | instid1(VALU_DEP_4)
	v_add_co_u32 v5, s78, s96, v5
	v_lshlrev_b64 v[1:2], 1, v[1:2]
	v_add_co_ci_u32_e64 v6, null, s97, 0, s78
	s_delay_alu instid0(VALU_DEP_4) | instskip(SKIP_1) | instid1(VALU_DEP_3)
	v_lshlrev_b64 v[3:4], 1, v[3:4]
	s_or_b32 s78, s84, 0x60
	v_add_co_u32 v13, vcc_lo, v5, v1
	s_delay_alu instid0(VALU_DEP_3) | instskip(NEXT) | instid1(VALU_DEP_3)
	v_add_co_ci_u32_e32 v14, vcc_lo, v6, v2, vcc_lo
	v_add_co_u32 v129, vcc_lo, v5, v3
	s_delay_alu instid0(VALU_DEP_4)
	v_add_co_ci_u32_e32 v130, vcc_lo, v6, v4, vcc_lo
	s_clause 0x1f
	global_load_b128 v[89:92], v[13:14], off
	global_load_b128 v[93:96], v[13:14], off offset:256
	global_load_b128 v[97:100], v[129:130], off
	global_load_b128 v[101:104], v[129:130], off offset:256
	global_load_b128 v[105:108], v[13:14], off offset:512
	global_load_b128 v[109:112], v[13:14], off offset:768
	global_load_b128 v[113:116], v[129:130], off offset:512
	global_load_b128 v[117:120], v[129:130], off offset:768
	global_load_b128 v[81:84], v[13:14], off offset:1024
	global_load_b128 v[85:88], v[13:14], off offset:1280
	global_load_b128 v[73:76], v[129:130], off offset:1024
	global_load_b128 v[77:80], v[129:130], off offset:1280
	global_load_b128 v[65:68], v[13:14], off offset:1536
	global_load_b128 v[69:72], v[13:14], off offset:1792
	global_load_b128 v[57:60], v[129:130], off offset:1536
	global_load_b128 v[61:64], v[129:130], off offset:1792
	global_load_b128 v[49:52], v[13:14], off offset:2048
	global_load_b128 v[53:56], v[13:14], off offset:2304
	global_load_b128 v[41:44], v[129:130], off offset:2048
	global_load_b128 v[45:48], v[129:130], off offset:2304
	global_load_b128 v[33:36], v[13:14], off offset:2560
	global_load_b128 v[37:40], v[13:14], off offset:2816
	global_load_b128 v[25:28], v[129:130], off offset:2560
	global_load_b128 v[29:32], v[129:130], off offset:2816
	global_load_b128 v[17:20], v[13:14], off offset:3072
	global_load_b128 v[21:24], v[13:14], off offset:3328
	global_load_b128 v[1:4], v[129:130], off offset:3072
	global_load_b128 v[5:8], v[129:130], off offset:3328
	global_load_b128 v[9:12], v[13:14], off offset:3584
	global_load_b128 v[13:16], v[13:14], off offset:3840
	global_load_b128 v[156:159], v[129:130], off offset:3584
	global_load_b128 v[160:163], v[129:130], off offset:3840
	s_ashr_i32 s79, s78, 4
	s_cmp_lt_i32 s78, s33
	s_cselect_b32 s78, s79, s86
	s_delay_alu instid0(SALU_CYCLE_1) | instskip(NEXT) | instid1(SALU_CYCLE_1)
	s_ashr_i32 s79, s78, 31
	s_lshl_b64 s[78:79], s[78:79], 2
	s_delay_alu instid0(SALU_CYCLE_1)
	s_add_u32 s78, s76, s78
	s_addc_u32 s79, s85, s79
	s_or_b32 s89, s84, 0x70
	s_load_b32 s29, s[78:79], 0x0
	s_ashr_i32 s90, s89, 4
	s_cmp_lt_i32 s89, s33
	s_cselect_b32 s62, s90, s86
	s_delay_alu instid0(SALU_CYCLE_1) | instskip(NEXT) | instid1(SALU_CYCLE_1)
	s_ashr_i32 s63, s62, 31
	s_lshl_b64 s[62:63], s[62:63], 2
	s_delay_alu instid0(SALU_CYCLE_1)
	s_add_u32 s68, s76, s62
	s_addc_u32 s69, s85, s63
	s_or_b32 s63, s84, 0x80
	s_mov_b32 s62, s60
	s_ashr_i32 s64, s63, 4
	s_cmp_lt_i32 s63, s33
	s_mov_b32 s63, s60
	s_cselect_b32 s66, s64, s86
	s_mov_b32 s64, s60
	s_ashr_i32 s67, s66, 31
	s_load_b32 s30, s[68:69], 0x0
	s_lshl_b64 s[70:71], s[66:67], 2
	s_mov_b32 s67, s60
	s_add_u32 s70, s76, s70
	s_addc_u32 s71, s85, s71
	s_or_b32 s72, s84, 0x90
	s_load_b32 s31, s[70:71], 0x0
	s_ashr_i32 s73, s72, 4
	s_mov_b32 s66, s60
	s_cmp_lt_i32 s72, s33
	v_dual_mov_b32 v136, s67 :: v_dual_mov_b32 v135, s66
	v_dual_mov_b32 v134, s65 :: v_dual_mov_b32 v133, s64
	;; [unrolled: 1-line block ×4, first 2 shown]
	s_cselect_b32 s60, s73, s86
	s_delay_alu instid0(SALU_CYCLE_1) | instskip(NEXT) | instid1(SALU_CYCLE_1)
	s_ashr_i32 s61, s60, 31
	s_lshl_b64 s[4:5], s[60:61], 2
	s_waitcnt vmcnt(30)
	v_wmma_f32_16x16x16_bf16 v[137:144], v[89:96], v[121:128], v[129:136]
	v_dual_mov_b32 v96, s23 :: v_dual_mov_b32 v95, s22
	v_dual_mov_b32 v94, s21 :: v_dual_mov_b32 v93, s20
	;; [unrolled: 1-line block ×4, first 2 shown]
	s_add_u32 s16, s76, s4
	s_addc_u32 s17, s85, s5
	s_or_b32 s4, s84, 0xa0
	s_waitcnt vmcnt(28)
	v_wmma_f32_16x16x16_bf16 v[129:136], v[97:104], v[121:128], v[129:136]
	s_ashr_i32 s5, s4, 4
	s_cmp_lt_i32 s4, s33
	s_waitcnt vmcnt(26)
	v_wmma_f32_16x16x16_bf16 v[137:144], v[105:112], v[148:155], v[137:144]
	s_cselect_b32 s4, s5, s86
	s_waitcnt vmcnt(24)
	v_wmma_f32_16x16x16_bf16 v[129:136], v[113:120], v[148:155], v[129:136]
	s_ashr_i32 s5, s4, 31
	v_mov_b32_e32 v155, s43
	s_lshl_b64 s[4:5], s[4:5], 2
	s_load_b32 s28, s[16:17], 0x0
	s_add_u32 s18, s76, s4
	s_addc_u32 s19, s85, s5
	s_or_b32 s4, s84, 0xb0
	s_load_b32 s27, s[18:19], 0x0
	s_ashr_i32 s6, s4, 4
	s_cmp_lt_i32 s4, s33
	v_dual_mov_b32 v154, s42 :: v_dual_lshlrev_b32 v97, 5, v145
	s_cselect_b32 s8, s6, s86
	v_mov_b32_e32 v153, s41
	s_ashr_i32 s9, s8, 31
	v_mov_b32_e32 v152, s40
	s_lshl_b64 s[8:9], s[8:9], 2
	v_mov_b32_e32 v151, s39
	s_add_u32 s20, s76, s8
	s_addc_u32 s21, s85, s9
	s_or_b32 s8, s84, 0xc0
	v_mov_b32_e32 v150, s38
	s_ashr_i32 s10, s8, 4
	s_cmp_lt_i32 s8, s33
	v_mov_b32_e32 v149, s37
	s_cselect_b32 s22, s10, s86
	v_mov_b32_e32 v148, s36
	s_ashr_i32 s23, s22, 31
	v_lshl_or_b32 v97, v147, 9, v97
	s_lshl_b64 s[22:23], s[22:23], 2
	s_mul_hi_i32 s5, s88, s77
	s_add_u32 s22, s76, s22
	s_addc_u32 s23, s85, s23
	s_or_b32 s24, s84, 0xd0
	s_mul_i32 s4, s88, s77
	s_ashr_i32 s25, s24, 4
	s_cmp_lt_i32 s24, s33
	s_mul_i32 s6, s87, s77
	s_cselect_b32 s24, s25, s86
	s_mul_hi_i32 s9, s81, s77
	s_ashr_i32 s25, s24, 31
	s_mul_i32 s8, s81, s77
	s_lshl_b64 s[24:25], s[24:25], 2
	s_mul_i32 s10, s13, s77
	s_add_u32 s18, s76, s24
	s_addc_u32 s19, s85, s25
	s_or_b32 s36, s84, 0xe0
	s_clause 0x2
	s_load_b32 s26, s[20:21], 0x0
	s_load_b32 s25, s[22:23], 0x0
	;; [unrolled: 1-line block ×3, first 2 shown]
	s_ashr_i32 s37, s36, 4
	s_cmp_lt_i32 s36, s33
	s_waitcnt lgkmcnt(0)
	s_mul_hi_i32 s21, s30, s77
	s_mul_i32 s20, s30, s77
	s_cselect_b32 s30, s37, s86
	s_mul_hi_i32 s23, s31, s77
	s_mul_i32 s22, s31, s77
	s_ashr_i32 s31, s30, 31
	s_mul_hi_i32 s13, s12, s77
	s_lshl_b64 s[30:31], s[30:31], 2
	s_mul_i32 s12, s12, s77
	s_add_u32 s30, s76, s30
	s_addc_u32 s31, s85, s31
	s_or_b32 s38, s84, 0xf0
	s_mul_hi_i32 s17, s80, s77
	s_ashr_i32 s39, s38, 4
	s_cmp_lt_i32 s38, s33
	s_mul_i32 s16, s80, s77
	s_cselect_b32 s38, s39, s86
	s_mul_hi_i32 s19, s29, s77
	s_ashr_i32 s39, s38, 31
	s_mul_i32 s18, s29, s77
	s_lshl_b64 s[38:39], s[38:39], 2
	s_mul_hi_i32 s29, s28, s77
	s_add_u32 s38, s76, s38
	s_addc_u32 s39, s85, s39
	s_mul_i32 s28, s28, s77
	s_mul_hi_i32 s37, s27, s77
	s_mul_i32 s36, s27, s77
	s_mul_hi_i32 s41, s25, s77
	s_mul_i32 s40, s25, s77
	s_add_u32 s42, s82, s2
	s_addc_u32 s43, s83, s3
	s_lshl_b64 s[2:3], s[4:5], 1
	s_lshl_b64 s[4:5], s[6:7], 1
	;; [unrolled: 1-line block ×12, first 2 shown]
	v_add_co_u32 v146, s40, s42, v97
	s_delay_alu instid0(VALU_DEP_1) | instskip(SKIP_2) | instid1(VALU_DEP_3)
	v_add_co_ci_u32_e64 v200, null, s43, 0, s40
	s_waitcnt vmcnt(22)
	v_wmma_f32_16x16x16_bf16 v[137:144], v[81:88], v[164:171], v[137:144]
	v_add_co_u32 v81, vcc_lo, v146, s2
	s_delay_alu instid0(VALU_DEP_3)
	v_add_co_ci_u32_e32 v82, vcc_lo, s3, v200, vcc_lo
	v_add_co_u32 v83, vcc_lo, v146, s4
	v_add_co_ci_u32_e32 v84, vcc_lo, s5, v200, vcc_lo
	v_add_co_u32 v85, vcc_lo, v146, s6
	v_add_co_ci_u32_e32 v86, vcc_lo, s7, v200, vcc_lo
	s_waitcnt vmcnt(20)
	v_wmma_f32_16x16x16_bf16 v[129:136], v[73:80], v[164:171], v[129:136]
	v_add_co_u32 v73, vcc_lo, v146, s8
	v_add_co_ci_u32_e32 v74, vcc_lo, s9, v200, vcc_lo
	v_add_co_u32 v75, vcc_lo, v146, s10
	v_add_co_ci_u32_e32 v76, vcc_lo, s11, v200, vcc_lo
	v_add_co_u32 v77, vcc_lo, v146, s12
	v_add_co_ci_u32_e32 v78, vcc_lo, s13, v200, vcc_lo
	v_add_co_u32 v79, vcc_lo, v146, s16
	s_clause 0x1
	s_load_b32 s30, s[30:31], 0x0
	s_load_b32 s31, s[38:39], 0x0
	v_add_co_ci_u32_e32 v80, vcc_lo, s17, v200, vcc_lo
	v_add_co_u32 v164, vcc_lo, v146, s18
	v_add_co_ci_u32_e32 v165, vcc_lo, s19, v200, vcc_lo
	v_add_co_u32 v166, vcc_lo, v146, s20
	;; [unrolled: 2-line block ×3, first 2 shown]
	s_mul_hi_i32 s27, s26, s77
	s_mul_i32 s26, s26, s77
	v_add_co_ci_u32_e32 v169, vcc_lo, s23, v200, vcc_lo
	s_waitcnt vmcnt(16)
	v_wmma_f32_16x16x16_bf16 v[129:136], v[57:64], v[89:96], v[129:136]
	v_add_co_u32 v170, vcc_lo, v146, s28
	s_lshl_b64 s[26:27], s[26:27], 1
	v_wmma_f32_16x16x16_bf16 v[137:144], v[65:72], v[89:96], v[137:144]
	v_add_co_ci_u32_e32 v171, vcc_lo, s29, v200, vcc_lo
	v_add_co_u32 v196, vcc_lo, v146, s26
	s_waitcnt vmcnt(12)
	v_wmma_f32_16x16x16_bf16 v[129:136], v[41:48], v[172:179], v[129:136]
	s_mul_hi_i32 s25, s24, s77
	s_mul_i32 s24, s24, s77
	v_add_co_ci_u32_e32 v197, vcc_lo, s27, v200, vcc_lo
	v_add_co_u32 v198, vcc_lo, v146, s36
	v_wmma_f32_16x16x16_bf16 v[137:144], v[49:56], v[172:179], v[137:144]
	s_lshl_b64 s[24:25], s[24:25], 1
	v_add_co_ci_u32_e32 v199, vcc_lo, s37, v200, vcc_lo
	s_waitcnt lgkmcnt(0)
	s_mul_hi_i32 s3, s30, s77
	s_mul_i32 s2, s30, s77
	s_waitcnt vmcnt(8)
	v_wmma_f32_16x16x16_bf16 v[129:136], v[25:32], v[180:187], v[129:136]
	v_add_co_u32 v29, vcc_lo, v146, s24
	s_lshl_b64 s[2:3], s[2:3], 1
	v_wmma_f32_16x16x16_bf16 v[137:144], v[33:40], v[180:187], v[137:144]
	v_add_co_ci_u32_e32 v30, vcc_lo, s25, v200, vcc_lo
	s_mul_hi_i32 s5, s31, s77
	s_mul_i32 s4, s31, s77
	v_add_co_u32 v37, vcc_lo, v146, s2
	v_add_co_ci_u32_e32 v38, vcc_lo, s3, v200, vcc_lo
	s_lshl_b64 s[2:3], s[4:5], 1
	s_waitcnt vmcnt(6)
	v_wmma_f32_16x16x16_bf16 v[137:144], v[17:24], v[148:155], v[137:144]
	s_waitcnt vmcnt(4)
	v_wmma_f32_16x16x16_bf16 v[129:136], v[1:8], v[148:155], v[129:136]
	v_add_co_u32 v148, vcc_lo, v146, s2
	v_add_co_ci_u32_e32 v149, vcc_lo, s3, v200, vcc_lo
	s_clause 0x1b
	global_load_b128 v[121:124], v[81:82], off
	global_load_b128 v[125:128], v[81:82], off offset:16
	global_load_b128 v[113:116], v[83:84], off
	global_load_b128 v[117:120], v[83:84], off offset:16
	;; [unrolled: 2-line block ×14, first 2 shown]
	s_waitcnt vmcnt(30)
	v_wmma_f32_16x16x16_bf16 v[137:144], v[9:16], v[188:195], v[137:144]
	s_clause 0x3
	global_load_b128 v[33:36], v[37:38], off
	global_load_b128 v[37:40], v[37:38], off offset:16
	global_load_b128 v[9:12], v[148:149], off
	global_load_b128 v[13:16], v[148:149], off offset:16
	v_and_b32_e32 v148, 0xe0, v0
	v_mbcnt_lo_u32_b32 v149, -1, 0
	v_bfe_u32 v146, v0, 4, 1
	s_waitcnt vmcnt(0)
	s_barrier
	v_add_nc_u32_e32 v148, s84, v148
	v_xor_b32_e32 v150, 16, v149
	buffer_gl0_inv
	v_or_b32_e32 v148, v148, v146
	v_cmp_gt_i32_e32 vcc_lo, 32, v150
	s_delay_alu instid0(VALU_DEP_2)
	v_or_b32_e32 v151, 4, v148
	v_cndmask_b32_e32 v149, v149, v150, vcc_lo
	v_or_b32_e32 v150, 2, v148
	v_or_b32_e32 v152, 6, v148
	v_cmp_gt_i32_e64 s2, s33, v148
	v_cmp_gt_i32_e64 s3, s33, v151
	v_or_b32_e32 v153, 8, v148
	v_cmp_gt_i32_e32 vcc_lo, s33, v150
	v_mul_f32_e32 v150, s35, v139
	v_wmma_f32_16x16x16_bf16 v[129:136], v[156:163], v[188:195], v[129:136]
	v_or_b32_e32 v156, 14, v148
	v_dual_mul_f32 v162, s35, v137 :: v_dual_mul_f32 v163, s35, v138
	v_mul_f32_e32 v161, s35, v140
	v_cmp_gt_i32_e64 s4, s33, v152
	s_delay_alu instid0(VALU_DEP_4) | instskip(NEXT) | instid1(VALU_DEP_4)
	v_cmp_gt_i32_e64 s8, s33, v156
	v_cndmask_b32_e64 v162, 0xff7fffff, v162, s2
	v_mul_f32_e32 v156, s35, v133
	v_cndmask_b32_e32 v163, 0xff7fffff, v163, vcc_lo
	v_or_b32_e32 v154, 10, v148
	v_cndmask_b32_e64 v150, 0xff7fffff, v150, s3
	v_cndmask_b32_e64 v151, 0xff7fffff, v161, s4
	v_or_b32_e32 v155, 12, v148
	v_max3_f32 v152, v162, 0xff7fffff, v163
	v_cmp_gt_i32_e64 s5, s33, v154
	v_cmp_gt_i32_e64 s6, s33, v153
	v_or_b32_e32 v158, 18, v148
	v_mul_f32_e32 v154, s35, v143
	v_max3_f32 v150, v152, v150, v151
	v_dual_mul_f32 v151, s35, v142 :: v_dual_mul_f32 v152, s35, v141
	v_mul_f32_e32 v153, s35, v144
	v_cmp_gt_i32_e64 s7, s33, v155
	v_or_b32_e32 v157, 16, v148
	s_delay_alu instid0(VALU_DEP_4)
	v_cndmask_b32_e64 v151, 0xff7fffff, v151, s5
	v_cndmask_b32_e64 v152, 0xff7fffff, v152, s6
	v_cmp_gt_i32_e64 s9, s33, v158
	v_mul_f32_e32 v158, s35, v131
	v_cndmask_b32_e64 v154, 0xff7fffff, v154, s7
	v_cndmask_b32_e64 v153, 0xff7fffff, v153, s8
	v_max3_f32 v150, v150, v152, v151
	v_or_b32_e32 v159, 20, v148
	v_or_b32_e32 v160, 22, v148
	v_cmp_gt_i32_e64 s10, s33, v157
	v_or_b32_e32 v161, 24, v148
	v_max3_f32 v150, v150, v154, v153
	v_dual_mul_f32 v153, s35, v130 :: v_dual_mul_f32 v154, s35, v129
	v_or_b32_e32 v162, 26, v148
	v_mul_f32_e32 v157, s35, v132
	v_cmp_gt_i32_e64 s11, s33, v159
	s_delay_alu instid0(VALU_DEP_4)
	v_cndmask_b32_e64 v153, 0xff7fffff, v153, s9
	v_cndmask_b32_e64 v154, 0xff7fffff, v154, s10
	v_cmp_gt_i32_e64 s12, s33, v160
	v_or_b32_e32 v163, 28, v148
	v_or_b32_e32 v148, 30, v148
	v_mul_f32_e32 v155, s35, v134
	v_cndmask_b32_e64 v158, 0xff7fffff, v158, s11
	v_cndmask_b32_e64 v157, 0xff7fffff, v157, s12
	v_max3_f32 v150, v150, v154, v153
	v_cmp_gt_i32_e64 s13, s33, v161
	v_cmp_gt_i32_e64 s16, s33, v162
	v_dual_mul_f32 v151, s35, v136 :: v_dual_mul_f32 v152, s35, v135
	s_delay_alu instid0(VALU_DEP_4) | instskip(NEXT) | instid1(VALU_DEP_4)
	v_max3_f32 v150, v150, v158, v157
	v_cndmask_b32_e64 v153, 0xff7fffff, v156, s13
	s_delay_alu instid0(VALU_DEP_4) | instskip(SKIP_2) | instid1(VALU_DEP_3)
	v_cndmask_b32_e64 v154, 0xff7fffff, v155, s16
	v_cmp_gt_i32_e64 s17, s33, v163
	v_cmp_gt_i32_e64 s18, s33, v148
	v_max3_f32 v150, v150, v153, v154
	s_delay_alu instid0(VALU_DEP_3) | instskip(NEXT) | instid1(VALU_DEP_3)
	v_cndmask_b32_e64 v152, 0xff7fffff, v152, s17
	v_cndmask_b32_e64 v148, 0xff7fffff, v151, s18
	v_lshlrev_b32_e32 v153, 2, v149
	s_delay_alu instid0(VALU_DEP_2) | instskip(SKIP_3) | instid1(VALU_DEP_1)
	v_max3_f32 v148, v150, v152, v148
	ds_bpermute_b32 v149, v153, v148
	s_waitcnt lgkmcnt(0)
	v_max_f32_e32 v149, v149, v149
	v_max_f32_e32 v151, v148, v149
	s_delay_alu instid0(VALU_DEP_1) | instskip(NEXT) | instid1(VALU_DEP_1)
	v_fma_f32 v132, s35, v132, -v151
	v_mul_f32_e32 v132, 0x3fb8aa3b, v132
	v_fma_f32 v137, s35, v137, -v151
	v_fma_f32 v138, s35, v138, -v151
	v_fma_f32 v134, s35, v134, -v151
	v_fma_f32 v139, s35, v139, -v151
	v_fma_f32 v140, s35, v140, -v151
	s_delay_alu instid0(VALU_DEP_4) | instskip(NEXT) | instid1(VALU_DEP_3)
	v_dual_mul_f32 v137, 0x3fb8aa3b, v137 :: v_dual_mul_f32 v138, 0x3fb8aa3b, v138
	v_dual_mul_f32 v134, 0x3fb8aa3b, v134 :: v_dual_mul_f32 v139, 0x3fb8aa3b, v139
	v_fma_f32 v148, s35, v141, -v151
	s_delay_alu instid0(VALU_DEP_3) | instskip(NEXT) | instid1(VALU_DEP_3)
	v_exp_f32_e32 v137, v137
	v_exp_f32_e32 v138, v138
	v_mul_f32_e32 v140, 0x3fb8aa3b, v140
	v_exp_f32_e32 v139, v139
	v_fma_f32 v143, s35, v143, -v151
	v_fma_f32 v129, s35, v129, -v151
	;; [unrolled: 1-line block ×5, first 2 shown]
	v_mul_f32_e32 v143, 0x3fb8aa3b, v143
	v_cndmask_b32_e64 v141, 0, v137, s2
	v_fma_f32 v137, s35, v142, -v151
	v_mul_f32_e32 v142, 0x3fb8aa3b, v148
	v_exp_f32_e32 v148, v140
	v_cndmask_b32_e32 v140, 0, v138, vcc_lo
	v_add_f32_e32 v138, 0, v141
	v_mul_f32_e32 v137, 0x3fb8aa3b, v137
	v_exp_f32_e32 v149, v142
	v_cndmask_b32_e64 v142, 0, v139, s3
	v_fma_f32 v139, s35, v144, -v151
	v_add_f32_e32 v138, v138, v140
	v_exp_f32_e32 v137, v137
	v_exp_f32_e32 v143, v143
	v_cndmask_b32_e64 v144, 0, v148, s4
	s_delay_alu instid0(VALU_DEP_2) | instskip(SKIP_1) | instid1(TRANS32_DEP_3)
	v_dual_mul_f32 v139, 0x3fb8aa3b, v139 :: v_dual_add_f32 v138, v138, v142
	v_mul_f32_e32 v129, 0x3fb8aa3b, v129
	v_cndmask_b32_e64 v148, 0, v149, s6
	v_mul_f32_e32 v130, 0x3fb8aa3b, v130
	s_delay_alu instid0(VALU_DEP_4) | instskip(SKIP_1) | instid1(TRANS32_DEP_3)
	v_exp_f32_e32 v139, v139
	v_add_f32_e32 v138, v138, v144
	v_cndmask_b32_e64 v149, 0, v137, s5
	v_exp_f32_e32 v129, v129
	v_cndmask_b32_e64 v143, 0, v143, s7
	v_mul_f32_e32 v131, 0x3fb8aa3b, v131
	v_add_f32_e32 v137, v138, v148
	v_exp_f32_e32 v130, v130
	v_mul_f32_e32 v133, 0x3fb8aa3b, v133
	v_fma_f32 v136, s35, v136, -v151
	v_cndmask_b32_e64 v150, 0, v139, s8
	v_add_f32_e32 v137, v137, v149
	v_exp_f32_e32 v138, v131
	v_cndmask_b32_e64 v131, 0, v129, s10
	v_and_b32_e32 v139, 31, v0
	s_mov_b32 s3, exec_lo
	v_add_f32_e32 v137, v137, v143
	s_delay_alu instid0(VALU_DEP_2) | instskip(NEXT) | instid1(VALU_DEP_2)
	v_cmp_lt_u32_e64 s2, 15, v139
	v_add_f32_e32 v129, v137, v150
	v_exp_f32_e32 v137, v132
	v_cndmask_b32_e64 v132, 0, v130, s9
	v_fma_f32 v130, s35, v135, -v151
	v_exp_f32_e32 v135, v133
	v_add_f32_e32 v129, v129, v131
	v_cndmask_b32_e64 v133, 0, v138, s11
	v_exp_f32_e32 v138, v134
	s_delay_alu instid0(VALU_DEP_2) | instskip(NEXT) | instid1(TRANS32_DEP_3)
	v_dual_mul_f32 v130, 0x3fb8aa3b, v130 :: v_dual_add_f32 v129, v129, v132
	v_cndmask_b32_e64 v134, 0, v137, s12
	v_mul_f32_e32 v137, 0x3fb8aa3b, v136
	s_delay_alu instid0(VALU_DEP_3) | instskip(NEXT) | instid1(TRANS32_DEP_3)
	v_exp_f32_e32 v130, v130
	v_cndmask_b32_e64 v135, 0, v135, s13
	v_add_f32_e32 v129, v129, v133
	s_delay_alu instid0(TRANS32_DEP_2) | instskip(SKIP_1) | instid1(VALU_DEP_2)
	v_cndmask_b32_e64 v136, 0, v138, s16
	v_exp_f32_e32 v138, v137
	v_add_f32_e32 v129, v129, v134
	s_waitcnt_depctr 0xfff
	v_cndmask_b32_e64 v137, 0, v130, s17
	v_add_f32_e32 v129, v129, v135
	v_cndmask_b32_e64 v138, 0, v138, s18
	s_delay_alu instid0(VALU_DEP_2) | instskip(NEXT) | instid1(VALU_DEP_1)
	v_add_f32_e32 v129, v129, v136
	v_add_f32_e32 v129, v129, v137
	s_delay_alu instid0(VALU_DEP_1)
	v_add_f32_e32 v129, v129, v138
	ds_bpermute_b32 v130, v153, v129
	v_cmpx_gt_u32_e32 16, v139
	s_cbranch_execz .LBB602_11
; %bb.10:
	v_mul_u32_u24_e32 v139, 0x44, v147
	s_delay_alu instid0(VALU_DEP_1) | instskip(SKIP_1) | instid1(VALU_DEP_1)
	v_lshl_add_u32 v139, v145, 2, v139
	s_waitcnt lgkmcnt(0)
	v_dual_add_f32 v129, v129, v130 :: v_dual_add_nc_u32 v130, 0x4000, v139
	ds_store_2addr_b32 v130, v151, v129 offset1:136
.LBB602_11:
	s_or_b32 exec_lo, exec_lo, s3
	v_lshlrev_b32_e32 v129, 2, v145
	s_waitcnt lgkmcnt(0)
	s_barrier
	buffer_gl0_inv
	v_cmp_eq_u32_e64 s3, 1, v147
	v_add_nc_u32_e32 v139, 0x4000, v129
	ds_load_2addr_b32 v[151:152], v139 offset1:17
	ds_load_2addr_b32 v[153:154], v139 offset0:34 offset1:51
	ds_load_2addr_b32 v[155:156], v139 offset0:68 offset1:85
	;; [unrolled: 1-line block ×4, first 2 shown]
	s_waitcnt lgkmcnt(4)
	v_max3_f32 v129, v151, 0xff7fffff, v152
	s_waitcnt lgkmcnt(3)
	s_delay_alu instid0(VALU_DEP_1) | instskip(SKIP_1) | instid1(VALU_DEP_1)
	v_max3_f32 v129, v129, v153, v154
	s_waitcnt lgkmcnt(2)
	v_max3_f32 v129, v129, v155, v156
	s_waitcnt lgkmcnt(1)
	s_delay_alu instid0(VALU_DEP_1) | instskip(NEXT) | instid1(VALU_DEP_1)
	v_max3_f32 v129, v129, v157, v158
	v_sub_f32_e32 v155, v155, v129
	s_delay_alu instid0(VALU_DEP_1) | instskip(NEXT) | instid1(VALU_DEP_1)
	v_dual_sub_f32 v130, v151, v129 :: v_dual_mul_f32 v165, 0x3fb8aa3b, v155
	v_mul_f32_e32 v130, 0x3fb8aa3b, v130
	s_delay_alu instid0(VALU_DEP_1) | instskip(SKIP_1) | instid1(VALU_DEP_1)
	v_exp_f32_e32 v162, v130
	v_sub_f32_e32 v130, v154, v129
	v_dual_sub_f32 v161, v152, v129 :: v_dual_mul_f32 v164, 0x3fb8aa3b, v130
	s_waitcnt lgkmcnt(0)
	s_waitcnt_depctr 0xfff
	v_fma_f32 v130, v162, v159, 0
	v_exp_f32_e32 v164, v164
	v_mul_f32_e32 v161, 0x3fb8aa3b, v161
	v_sub_f32_e32 v159, v156, v129
	s_delay_alu instid0(VALU_DEP_2)
	v_exp_f32_e32 v161, v161
	s_waitcnt_depctr 0xfff
	v_fmac_f32_e32 v130, v161, v160
	ds_load_2addr_b32 v[151:152], v139 offset0:170 offset1:187
	v_sub_f32_e32 v153, v153, v129
	ds_load_2addr_b32 v[155:156], v139 offset0:238 offset1:255
	v_mul_f32_e32 v163, 0x3fb8aa3b, v153
	ds_load_2addr_b32 v[153:154], v139 offset0:204 offset1:221
	s_waitcnt lgkmcnt(0)
	s_barrier
	buffer_gl0_inv
	v_exp_f32_e32 v163, v163
	s_waitcnt_depctr 0xfff
	v_dual_fmac_f32 v130, v163, v151 :: v_dual_sub_f32 v151, v158, v129
	s_delay_alu instid0(VALU_DEP_1) | instskip(NEXT) | instid1(VALU_DEP_1)
	v_dual_fmac_f32 v130, v164, v152 :: v_dual_mul_f32 v151, 0x3fb8aa3b, v151
	v_exp_f32_e32 v151, v151
	v_sub_f32_e32 v139, v157, v129
	v_mul_f32_e32 v157, 0x3fb8aa3b, v159
	v_exp_f32_e32 v159, v165
	s_delay_alu instid0(VALU_DEP_2) | instskip(NEXT) | instid1(VALU_DEP_2)
	v_mul_f32_e32 v139, 0x3fb8aa3b, v139
	v_exp_f32_e32 v157, v157
	s_waitcnt_depctr 0xfff
	v_fmac_f32_e32 v130, v159, v153
	v_exp_f32_e32 v139, v139
	s_delay_alu instid0(VALU_DEP_1) | instskip(SKIP_2) | instid1(VALU_DEP_1)
	v_fmac_f32_e32 v130, v157, v154
	s_waitcnt_depctr 0xfff
	v_fmac_f32_e32 v130, v139, v155
	v_fmac_f32_e32 v130, v151, v156
	s_delay_alu instid0(VALU_DEP_1) | instskip(NEXT) | instid1(VALU_DEP_1)
	v_add_f32_e32 v152, 0x358637bd, v130
	v_div_scale_f32 v153, null, v152, v152, 1.0
	v_div_scale_f32 v156, vcc_lo, 1.0, v152, 1.0
	s_delay_alu instid0(VALU_DEP_2) | instskip(SKIP_2) | instid1(VALU_DEP_1)
	v_rcp_f32_e32 v154, v153
	s_waitcnt_depctr 0xfff
	v_fma_f32 v155, -v153, v154, 1.0
	v_fmac_f32_e32 v154, v155, v154
	v_cndmask_b32_e64 v155, v162, v161, s3
	v_cmp_eq_u32_e64 s3, 2, v147
	s_delay_alu instid0(VALU_DEP_3) | instskip(NEXT) | instid1(VALU_DEP_2)
	v_mul_f32_e32 v158, v156, v154
	v_cndmask_b32_e64 v155, v155, v163, s3
	v_cmp_eq_u32_e64 s3, 3, v147
	s_delay_alu instid0(VALU_DEP_3) | instskip(NEXT) | instid1(VALU_DEP_2)
	v_fma_f32 v160, -v153, v158, v156
	v_cndmask_b32_e64 v155, v155, v164, s3
	v_cmp_eq_u32_e64 s3, 4, v147
	s_delay_alu instid0(VALU_DEP_1) | instskip(SKIP_1) | instid1(VALU_DEP_1)
	v_cndmask_b32_e64 v155, v155, v159, s3
	v_cmp_eq_u32_e64 s3, 5, v147
	v_cndmask_b32_e64 v155, v155, v157, s3
	v_fmac_f32_e32 v158, v160, v154
	s_mov_b32 s3, exec_lo
	s_delay_alu instid0(VALU_DEP_1) | instskip(NEXT) | instid1(VALU_DEP_1)
	v_fma_f32 v153, -v153, v158, v156
	v_div_fmas_f32 v153, v153, v154, v158
	v_cmp_eq_u32_e32 vcc_lo, 6, v147
	s_delay_alu instid0(VALU_DEP_2) | instskip(SKIP_2) | instid1(VALU_DEP_2)
	v_div_fixup_f32 v152, v153, v152, 1.0
	v_cndmask_b32_e32 v139, v155, v139, vcc_lo
	v_cmp_eq_u32_e32 vcc_lo, 7, v147
	v_cndmask_b32_e32 v139, v139, v151, vcc_lo
	s_delay_alu instid0(VALU_DEP_1) | instskip(NEXT) | instid1(VALU_DEP_1)
	v_mul_f32_e32 v139, v139, v152
	v_mul_f32_e32 v152, v139, v141
	;; [unrolled: 1-line block ×6, first 2 shown]
	v_dual_mul_f32 v148, v139, v142 :: v_dual_and_b32 v153, 0x7f800000, v152
	v_mul_f32_e32 v151, v139, v144
	v_mul_f32_e32 v144, v139, v140
                                        ; implicit-def: $vgpr140
	s_delay_alu instid0(VALU_DEP_3)
	v_cmpx_ne_u32_e32 0x7f800000, v153
	s_xor_b32 s3, exec_lo, s3
; %bb.12:
	v_bfe_u32 v140, v152, 16, 1
	s_delay_alu instid0(VALU_DEP_1)
	v_add3_u32 v140, v152, v140, 0x7fff
                                        ; implicit-def: $vgpr152
; %bb.13:
	s_and_not1_saveexec_b32 s3, s3
; %bb.14:
	v_and_b32_e32 v140, 0xffff, v152
	v_or_b32_e32 v142, 0x10000, v152
	s_delay_alu instid0(VALU_DEP_2) | instskip(NEXT) | instid1(VALU_DEP_2)
	v_cmp_eq_u32_e32 vcc_lo, 0, v140
	v_cndmask_b32_e32 v140, v142, v152, vcc_lo
; %bb.15:
	s_or_b32 exec_lo, exec_lo, s3
	v_and_b32_e32 v142, 0x7f800000, v144
	s_delay_alu instid0(VALU_DEP_1) | instskip(SKIP_1) | instid1(SALU_CYCLE_1)
	v_cmp_ne_u32_e32 vcc_lo, 0x7f800000, v142
                                        ; implicit-def: $vgpr142
	s_and_saveexec_b32 s3, vcc_lo
	s_xor_b32 s3, exec_lo, s3
; %bb.16:
	v_bfe_u32 v142, v144, 16, 1
	s_delay_alu instid0(VALU_DEP_1)
	v_add3_u32 v142, v144, v142, 0x7fff
                                        ; implicit-def: $vgpr144
; %bb.17:
	s_and_not1_saveexec_b32 s3, s3
; %bb.18:
	v_and_b32_e32 v142, 0xffff, v144
	v_or_b32_e32 v152, 0x10000, v144
	s_delay_alu instid0(VALU_DEP_2) | instskip(NEXT) | instid1(VALU_DEP_2)
	v_cmp_eq_u32_e32 vcc_lo, 0, v142
	v_cndmask_b32_e32 v142, v152, v144, vcc_lo
; %bb.19:
	s_or_b32 exec_lo, exec_lo, s3
	v_and_b32_e32 v144, 0x7f800000, v148
	s_delay_alu instid0(VALU_DEP_1) | instskip(SKIP_1) | instid1(SALU_CYCLE_1)
	v_cmp_ne_u32_e32 vcc_lo, 0x7f800000, v144
                                        ; implicit-def: $vgpr144
	s_and_saveexec_b32 s3, vcc_lo
	s_xor_b32 s3, exec_lo, s3
; %bb.20:
	v_bfe_u32 v144, v148, 16, 1
	s_delay_alu instid0(VALU_DEP_1)
	v_add3_u32 v144, v148, v144, 0x7fff
                                        ; implicit-def: $vgpr148
; %bb.21:
	s_and_not1_saveexec_b32 s3, s3
; %bb.22:
	v_and_b32_e32 v144, 0xffff, v148
	v_or_b32_e32 v152, 0x10000, v148
	s_delay_alu instid0(VALU_DEP_2) | instskip(NEXT) | instid1(VALU_DEP_2)
	v_cmp_eq_u32_e32 vcc_lo, 0, v144
	v_cndmask_b32_e32 v144, v152, v148, vcc_lo
; %bb.23:
	s_or_b32 exec_lo, exec_lo, s3
	v_and_b32_e32 v148, 0x7f800000, v151
	s_delay_alu instid0(VALU_DEP_1) | instskip(SKIP_1) | instid1(SALU_CYCLE_1)
	v_cmp_ne_u32_e32 vcc_lo, 0x7f800000, v148
                                        ; implicit-def: $vgpr148
	s_and_saveexec_b32 s3, vcc_lo
	s_xor_b32 s3, exec_lo, s3
; %bb.24:
	v_bfe_u32 v148, v151, 16, 1
	s_delay_alu instid0(VALU_DEP_1)
	v_add3_u32 v148, v151, v148, 0x7fff
                                        ; implicit-def: $vgpr151
; %bb.25:
	s_and_not1_saveexec_b32 s3, s3
; %bb.26:
	v_and_b32_e32 v148, 0xffff, v151
	v_or_b32_e32 v152, 0x10000, v151
	s_delay_alu instid0(VALU_DEP_2) | instskip(NEXT) | instid1(VALU_DEP_2)
	v_cmp_eq_u32_e32 vcc_lo, 0, v148
	v_cndmask_b32_e32 v148, v152, v151, vcc_lo
; %bb.27:
	s_or_b32 exec_lo, exec_lo, s3
	v_and_b32_e32 v151, 0x7f800000, v150
	s_delay_alu instid0(VALU_DEP_1) | instskip(SKIP_1) | instid1(SALU_CYCLE_1)
	v_cmp_ne_u32_e32 vcc_lo, 0x7f800000, v151
                                        ; implicit-def: $vgpr151
	s_and_saveexec_b32 s3, vcc_lo
	s_xor_b32 s3, exec_lo, s3
; %bb.28:
	v_bfe_u32 v151, v150, 16, 1
	s_delay_alu instid0(VALU_DEP_1)
	v_add3_u32 v151, v150, v151, 0x7fff
                                        ; implicit-def: $vgpr150
; %bb.29:
	s_and_not1_saveexec_b32 s3, s3
; %bb.30:
	v_and_b32_e32 v151, 0xffff, v150
	v_or_b32_e32 v152, 0x10000, v150
	s_delay_alu instid0(VALU_DEP_2) | instskip(NEXT) | instid1(VALU_DEP_2)
	v_cmp_eq_u32_e32 vcc_lo, 0, v151
	v_cndmask_b32_e32 v151, v152, v150, vcc_lo
; %bb.31:
	s_or_b32 exec_lo, exec_lo, s3
	v_and_b32_e32 v150, 0x7f800000, v149
	s_delay_alu instid0(VALU_DEP_1) | instskip(SKIP_1) | instid1(SALU_CYCLE_1)
	v_cmp_ne_u32_e32 vcc_lo, 0x7f800000, v150
                                        ; implicit-def: $vgpr150
	s_and_saveexec_b32 s3, vcc_lo
	s_xor_b32 s3, exec_lo, s3
; %bb.32:
	v_bfe_u32 v150, v149, 16, 1
	s_delay_alu instid0(VALU_DEP_1)
	v_add3_u32 v150, v149, v150, 0x7fff
                                        ; implicit-def: $vgpr149
; %bb.33:
	s_and_not1_saveexec_b32 s3, s3
; %bb.34:
	v_and_b32_e32 v150, 0xffff, v149
	v_or_b32_e32 v152, 0x10000, v149
	s_delay_alu instid0(VALU_DEP_2) | instskip(NEXT) | instid1(VALU_DEP_2)
	v_cmp_eq_u32_e32 vcc_lo, 0, v150
	v_cndmask_b32_e32 v150, v152, v149, vcc_lo
; %bb.35:
	s_or_b32 exec_lo, exec_lo, s3
	v_and_b32_e32 v149, 0x7f800000, v143
	s_delay_alu instid0(VALU_DEP_1) | instskip(SKIP_1) | instid1(SALU_CYCLE_1)
	v_cmp_ne_u32_e32 vcc_lo, 0x7f800000, v149
                                        ; implicit-def: $vgpr149
	s_and_saveexec_b32 s3, vcc_lo
	s_xor_b32 s3, exec_lo, s3
; %bb.36:
	v_bfe_u32 v149, v143, 16, 1
	s_delay_alu instid0(VALU_DEP_1)
	v_add3_u32 v149, v143, v149, 0x7fff
                                        ; implicit-def: $vgpr143
; %bb.37:
	s_and_not1_saveexec_b32 s3, s3
; %bb.38:
	v_and_b32_e32 v149, 0xffff, v143
	v_or_b32_e32 v152, 0x10000, v143
	s_delay_alu instid0(VALU_DEP_2) | instskip(NEXT) | instid1(VALU_DEP_2)
	v_cmp_eq_u32_e32 vcc_lo, 0, v149
	v_cndmask_b32_e32 v149, v152, v143, vcc_lo
; %bb.39:
	s_or_b32 exec_lo, exec_lo, s3
	v_and_b32_e32 v143, 0x7f800000, v141
	s_delay_alu instid0(VALU_DEP_1) | instskip(SKIP_1) | instid1(SALU_CYCLE_1)
	v_cmp_ne_u32_e32 vcc_lo, 0x7f800000, v143
                                        ; implicit-def: $vgpr143
	s_and_saveexec_b32 s3, vcc_lo
	s_xor_b32 s3, exec_lo, s3
; %bb.40:
	v_bfe_u32 v143, v141, 16, 1
	s_delay_alu instid0(VALU_DEP_1)
	v_add3_u32 v143, v141, v143, 0x7fff
                                        ; implicit-def: $vgpr141
; %bb.41:
	s_and_not1_saveexec_b32 s3, s3
; %bb.42:
	v_and_b32_e32 v143, 0xffff, v141
	v_or_b32_e32 v152, 0x10000, v141
	s_delay_alu instid0(VALU_DEP_2) | instskip(NEXT) | instid1(VALU_DEP_2)
	v_cmp_eq_u32_e32 vcc_lo, 0, v143
	v_cndmask_b32_e32 v143, v152, v141, vcc_lo
; %bb.43:
	s_or_b32 exec_lo, exec_lo, s3
	s_load_b64 s[36:37], s[0:1], 0x94
	v_dual_mul_f32 v136, v139, v136 :: v_dual_lshlrev_b32 v153, 4, v146
	s_delay_alu instid0(VALU_DEP_2)
	v_perm_b32 v152, v143, v149, 0x7060302
	v_dual_mul_f32 v138, v139, v138 :: v_dual_lshlrev_b32 v141, 6, v145
	v_dual_mul_f32 v137, v139, v137 :: v_dual_lshlrev_b32 v154, 11, v147
	v_mul_f32_e32 v143, v139, v131
	v_perm_b32 v151, v150, v151, 0x7060302
	v_perm_b32 v150, v148, v144, 0x7060302
	;; [unrolled: 1-line block ×3, first 2 shown]
	v_or3_b32 v131, v153, v154, v141
	v_and_b32_e32 v144, 0x7f800000, v143
	v_mul_f32_e32 v135, v139, v135
	v_mul_f32_e32 v140, v139, v134
	;; [unrolled: 1-line block ×4, first 2 shown]
	s_mov_b32 s3, exec_lo
	ds_store_b128 v131, v[149:152]
                                        ; implicit-def: $vgpr132
	v_cmpx_ne_u32_e32 0x7f800000, v144
	s_xor_b32 s3, exec_lo, s3
; %bb.44:
	v_bfe_u32 v132, v143, 16, 1
	s_delay_alu instid0(VALU_DEP_1)
	v_add3_u32 v132, v143, v132, 0x7fff
                                        ; implicit-def: $vgpr143
; %bb.45:
	s_and_not1_saveexec_b32 s3, s3
; %bb.46:
	v_and_b32_e32 v132, 0xffff, v143
	v_or_b32_e32 v133, 0x10000, v143
	s_delay_alu instid0(VALU_DEP_2) | instskip(NEXT) | instid1(VALU_DEP_2)
	v_cmp_eq_u32_e32 vcc_lo, 0, v132
	v_cndmask_b32_e32 v132, v133, v143, vcc_lo
; %bb.47:
	s_or_b32 exec_lo, exec_lo, s3
	v_and_b32_e32 v133, 0x7f800000, v134
	s_delay_alu instid0(VALU_DEP_1) | instskip(SKIP_1) | instid1(SALU_CYCLE_1)
	v_cmp_ne_u32_e32 vcc_lo, 0x7f800000, v133
                                        ; implicit-def: $vgpr133
	s_and_saveexec_b32 s3, vcc_lo
	s_xor_b32 s3, exec_lo, s3
; %bb.48:
	v_bfe_u32 v133, v134, 16, 1
	s_delay_alu instid0(VALU_DEP_1)
	v_add3_u32 v133, v134, v133, 0x7fff
                                        ; implicit-def: $vgpr134
; %bb.49:
	s_and_not1_saveexec_b32 s3, s3
; %bb.50:
	v_and_b32_e32 v133, 0xffff, v134
	v_or_b32_e32 v139, 0x10000, v134
	s_delay_alu instid0(VALU_DEP_2) | instskip(NEXT) | instid1(VALU_DEP_2)
	v_cmp_eq_u32_e32 vcc_lo, 0, v133
	v_cndmask_b32_e32 v133, v139, v134, vcc_lo
; %bb.51:
	s_or_b32 exec_lo, exec_lo, s3
	v_and_b32_e32 v134, 0x7f800000, v142
	s_delay_alu instid0(VALU_DEP_1) | instskip(SKIP_1) | instid1(SALU_CYCLE_1)
	v_cmp_ne_u32_e32 vcc_lo, 0x7f800000, v134
                                        ; implicit-def: $vgpr134
	s_and_saveexec_b32 s3, vcc_lo
	s_xor_b32 s3, exec_lo, s3
; %bb.52:
	v_bfe_u32 v134, v142, 16, 1
	s_delay_alu instid0(VALU_DEP_1)
	v_add3_u32 v134, v142, v134, 0x7fff
                                        ; implicit-def: $vgpr142
; %bb.53:
	s_and_not1_saveexec_b32 s3, s3
; %bb.54:
	v_and_b32_e32 v134, 0xffff, v142
	v_or_b32_e32 v139, 0x10000, v142
	s_delay_alu instid0(VALU_DEP_2) | instskip(NEXT) | instid1(VALU_DEP_2)
	v_cmp_eq_u32_e32 vcc_lo, 0, v134
	v_cndmask_b32_e32 v134, v139, v142, vcc_lo
; %bb.55:
	s_or_b32 exec_lo, exec_lo, s3
	v_and_b32_e32 v139, 0x7f800000, v140
	s_delay_alu instid0(VALU_DEP_1) | instskip(SKIP_1) | instid1(SALU_CYCLE_1)
	v_cmp_ne_u32_e32 vcc_lo, 0x7f800000, v139
                                        ; implicit-def: $vgpr139
	s_and_saveexec_b32 s3, vcc_lo
	s_xor_b32 s3, exec_lo, s3
; %bb.56:
	v_bfe_u32 v139, v140, 16, 1
	s_delay_alu instid0(VALU_DEP_1)
	v_add3_u32 v139, v140, v139, 0x7fff
                                        ; implicit-def: $vgpr140
; %bb.57:
	s_and_not1_saveexec_b32 s3, s3
; %bb.58:
	v_and_b32_e32 v139, 0xffff, v140
	v_or_b32_e32 v142, 0x10000, v140
	s_delay_alu instid0(VALU_DEP_2) | instskip(NEXT) | instid1(VALU_DEP_2)
	v_cmp_eq_u32_e32 vcc_lo, 0, v139
	v_cndmask_b32_e32 v139, v142, v140, vcc_lo
; %bb.59:
	s_or_b32 exec_lo, exec_lo, s3
	v_and_b32_e32 v140, 0x7f800000, v135
	s_delay_alu instid0(VALU_DEP_1) | instskip(SKIP_1) | instid1(SALU_CYCLE_1)
	v_cmp_ne_u32_e32 vcc_lo, 0x7f800000, v140
                                        ; implicit-def: $vgpr140
	s_and_saveexec_b32 s3, vcc_lo
	s_xor_b32 s3, exec_lo, s3
; %bb.60:
	v_bfe_u32 v140, v135, 16, 1
	s_delay_alu instid0(VALU_DEP_1)
	v_add3_u32 v140, v135, v140, 0x7fff
                                        ; implicit-def: $vgpr135
; %bb.61:
	s_and_not1_saveexec_b32 s3, s3
; %bb.62:
	v_and_b32_e32 v140, 0xffff, v135
	v_or_b32_e32 v142, 0x10000, v135
	s_delay_alu instid0(VALU_DEP_2) | instskip(NEXT) | instid1(VALU_DEP_2)
	v_cmp_eq_u32_e32 vcc_lo, 0, v140
	v_cndmask_b32_e32 v140, v142, v135, vcc_lo
; %bb.63:
	s_or_b32 exec_lo, exec_lo, s3
	v_and_b32_e32 v135, 0x7f800000, v136
	s_delay_alu instid0(VALU_DEP_1) | instskip(SKIP_1) | instid1(SALU_CYCLE_1)
	v_cmp_ne_u32_e32 vcc_lo, 0x7f800000, v135
                                        ; implicit-def: $vgpr135
	s_and_saveexec_b32 s3, vcc_lo
	s_xor_b32 s3, exec_lo, s3
; %bb.64:
	v_bfe_u32 v135, v136, 16, 1
	s_delay_alu instid0(VALU_DEP_1)
	v_add3_u32 v135, v136, v135, 0x7fff
                                        ; implicit-def: $vgpr136
; %bb.65:
	s_and_not1_saveexec_b32 s3, s3
; %bb.66:
	v_and_b32_e32 v135, 0xffff, v136
	v_or_b32_e32 v142, 0x10000, v136
	s_delay_alu instid0(VALU_DEP_2) | instskip(NEXT) | instid1(VALU_DEP_2)
	v_cmp_eq_u32_e32 vcc_lo, 0, v135
	v_cndmask_b32_e32 v135, v142, v136, vcc_lo
; %bb.67:
	s_or_b32 exec_lo, exec_lo, s3
	v_and_b32_e32 v136, 0x7f800000, v137
	s_delay_alu instid0(VALU_DEP_1) | instskip(SKIP_1) | instid1(SALU_CYCLE_1)
	v_cmp_ne_u32_e32 vcc_lo, 0x7f800000, v136
                                        ; implicit-def: $vgpr136
	s_and_saveexec_b32 s3, vcc_lo
	s_xor_b32 s3, exec_lo, s3
; %bb.68:
	v_bfe_u32 v136, v137, 16, 1
	s_delay_alu instid0(VALU_DEP_1)
	v_add3_u32 v136, v137, v136, 0x7fff
                                        ; implicit-def: $vgpr137
; %bb.69:
	s_and_not1_saveexec_b32 s3, s3
; %bb.70:
	v_and_b32_e32 v136, 0xffff, v137
	v_or_b32_e32 v142, 0x10000, v137
	s_delay_alu instid0(VALU_DEP_2) | instskip(NEXT) | instid1(VALU_DEP_2)
	v_cmp_eq_u32_e32 vcc_lo, 0, v136
	v_cndmask_b32_e32 v136, v142, v137, vcc_lo
; %bb.71:
	s_or_b32 exec_lo, exec_lo, s3
	v_and_b32_e32 v137, 0x7f800000, v138
	s_delay_alu instid0(VALU_DEP_1) | instskip(SKIP_1) | instid1(SALU_CYCLE_1)
	v_cmp_ne_u32_e32 vcc_lo, 0x7f800000, v137
                                        ; implicit-def: $vgpr137
	s_and_saveexec_b32 s3, vcc_lo
	s_xor_b32 s3, exec_lo, s3
; %bb.72:
	v_bfe_u32 v137, v138, 16, 1
	s_delay_alu instid0(VALU_DEP_1)
	v_add3_u32 v137, v138, v137, 0x7fff
                                        ; implicit-def: $vgpr138
; %bb.73:
	s_and_not1_saveexec_b32 s3, s3
; %bb.74:
	v_and_b32_e32 v137, 0xffff, v138
	v_or_b32_e32 v142, 0x10000, v138
	s_delay_alu instid0(VALU_DEP_2) | instskip(NEXT) | instid1(VALU_DEP_2)
	v_cmp_eq_u32_e32 vcc_lo, 0, v137
	v_cndmask_b32_e32 v137, v142, v138, vcc_lo
; %bb.75:
	s_or_b32 exec_lo, exec_lo, s3
	s_delay_alu instid0(VALU_DEP_1)
	v_perm_b32 v136, v137, v136, 0x7060302
	v_perm_b32 v135, v135, v140, 0x7060302
	;; [unrolled: 1-line block ×4, first 2 shown]
	v_lshl_or_b32 v142, v147, 11, v141
	ds_store_b128 v131, v[133:136] offset:1024
	s_waitcnt lgkmcnt(0)
	s_barrier
	buffer_gl0_inv
	ds_load_b128 v[132:135], v142
	ds_load_b128 v[147:150], v142 offset:16
	s_waitcnt lgkmcnt(1)
	v_lshrrev_b32_e32 v136, 16, v132
	s_waitcnt lgkmcnt(0)
	v_lshrrev_b32_e32 v155, 16, v147
	v_lshlrev_b32_e32 v138, 2, v146
	v_lshrrev_b32_e32 v143, 16, v133
	v_lshrrev_b32_e32 v160, 16, v148
	;; [unrolled: 1-line block ×4, first 2 shown]
	v_cmp_eq_u32_e32 vcc_lo, 1, v138
	v_lshrrev_b32_e32 v159, 16, v135
	v_lshrrev_b32_e32 v162, 16, v150
	v_cndmask_b32_e32 v151, v147, v155, vcc_lo
	v_or_b32_e32 v139, 1, v138
	v_cndmask_b32_e32 v140, v132, v136, vcc_lo
	v_cmp_eq_u32_e64 s4, 2, v138
	v_cmp_eq_u32_e64 s7, 3, v138
	;; [unrolled: 1-line block ×5, first 2 shown]
	v_cndmask_b32_e64 v140, v140, v133, s4
	v_cndmask_b32_e64 v151, v151, v148, s4
	v_cmp_eq_u32_e64 s8, 3, v139
	v_cndmask_b32_e64 v152, v132, v136, s3
	v_or_b32_e32 v137, 2, v138
	v_cndmask_b32_e64 v140, v140, v143, s7
	v_cndmask_b32_e64 v151, v151, v160, s7
	;; [unrolled: 1-line block ×4, first 2 shown]
	v_cmp_eq_u32_e64 s10, 5, v138
	v_cndmask_b32_e64 v140, v140, v134, s9
	v_cndmask_b32_e64 v151, v151, v149, s9
	v_cmp_eq_u32_e64 s11, 4, v139
	v_cndmask_b32_e64 v152, v152, v143, s8
	v_cmp_eq_u32_e64 s5, 1, v137
	v_cndmask_b32_e64 v153, v153, v148, s6
	v_cndmask_b32_e64 v140, v140, v144, s10
	v_cmp_eq_u32_e64 s12, 6, v138
	v_cndmask_b32_e64 v152, v152, v134, s11
	;; [unrolled: 3-line block ×3, first 2 shown]
	v_cndmask_b32_e64 v153, v153, v160, s8
	v_cndmask_b32_e64 v140, v140, v135, s12
	v_cmp_eq_u32_e64 s16, 7, v138
	v_cndmask_b32_e64 v152, v152, v144, s13
	v_cndmask_b32_e64 v151, v151, v150, s12
	v_cmp_eq_u32_e64 s17, 6, v139
	v_cmp_eq_u32_e64 s18, 2, v137
	v_cndmask_b32_e64 v153, v153, v149, s11
	v_cndmask_b32_e64 v163, v140, v159, s16
	;; [unrolled: 1-line block ×6, first 2 shown]
	v_cmp_eq_u32_e64 s19, 7, v139
	v_cmp_eq_u32_e64 s20, 3, v137
	;; [unrolled: 1-line block ×4, first 2 shown]
	v_cndmask_b32_e64 v151, v151, v148, s18
	v_cndmask_b32_e64 v165, v152, v159, s19
	v_cndmask_b32_e64 v152, v153, v161, s13
	v_cndmask_b32_e64 v153, v140, v143, s20
	v_or_b32_e32 v140, 3, v138
	v_cndmask_b32_e64 v157, v151, v160, s20
	v_cmp_eq_u32_e64 s25, 6, v137
	v_cndmask_b32_e64 v166, v152, v150, s17
	v_cndmask_b32_e64 v156, v153, v134, s21
	v_cmp_eq_u32_e64 s22, 1, v140
	ds_load_b128 v[151:154], v142 offset:1024
	v_cmp_eq_u32_e64 s24, 2, v140
	v_cmp_eq_u32_e64 s26, 3, v140
	v_cndmask_b32_e64 v167, v156, v144, s23
	v_cndmask_b32_e64 v132, v132, v136, s22
	;; [unrolled: 1-line block ×4, first 2 shown]
	ds_load_b128 v[155:158], v142 offset:1040
	v_cmp_eq_u32_e64 s27, 4, v140
	v_cndmask_b32_e64 v132, v132, v133, s24
	v_cndmask_b32_e64 v133, v136, v161, s23
	;; [unrolled: 1-line block ×3, first 2 shown]
	v_cmp_eq_u32_e64 s29, 5, v140
	v_cmp_eq_u32_e64 s28, 7, v137
	v_cndmask_b32_e64 v132, v132, v143, s26
	v_cndmask_b32_e64 v143, v167, v135, s25
	v_cndmask_b32_e64 v136, v136, v160, s26
	v_cmp_eq_u32_e64 s30, 6, v140
	v_cndmask_b32_e64 v133, v133, v150, s25
	v_cndmask_b32_e64 v132, v132, v134, s27
	s_waitcnt lgkmcnt(1)
	v_lshrrev_b32_e32 v148, 16, v151
	v_cndmask_b32_e64 v134, v136, v149, s27
	v_cndmask_b32_e64 v136, v143, v159, s28
	v_lshrrev_b32_e32 v149, 16, v152
	v_cndmask_b32_e64 v132, v132, v144, s29
	v_cndmask_b32_e64 v160, v151, v148, s3
	;; [unrolled: 1-line block ×3, first 2 shown]
	s_waitcnt lgkmcnt(0)
	v_lshrrev_b32_e32 v144, 16, v155
	v_cndmask_b32_e64 v147, v166, v162, s19
	v_cndmask_b32_e64 v132, v132, v135, s30
	v_cndmask_b32_e32 v143, v151, v148, vcc_lo
	v_cndmask_b32_e64 v134, v134, v150, s30
	v_cndmask_b32_e32 v161, v155, v144, vcc_lo
	v_cmp_eq_u32_e32 vcc_lo, 7, v140
	v_cndmask_b32_e64 v133, v133, v162, s28
	s_delay_alu instid0(VALU_DEP_4)
	v_cndmask_b32_e32 v134, v134, v162, vcc_lo
	v_cndmask_b32_e32 v132, v132, v159, vcc_lo
	v_cndmask_b32_e64 v143, v143, v152, s4
	v_cndmask_b32_e64 v150, v161, v156, s4
	v_lshrrev_b32_e32 v161, 16, v153
	v_lshrrev_b32_e32 v162, 16, v157
	s_delay_alu instid0(VALU_DEP_4) | instskip(SKIP_2) | instid1(VALU_DEP_3)
	v_cndmask_b32_e64 v135, v143, v149, s7
	v_cndmask_b32_e64 v143, v160, v152, s6
	v_lshrrev_b32_e32 v160, 16, v156
	v_cndmask_b32_e64 v135, v135, v153, s9
	s_delay_alu instid0(VALU_DEP_3) | instskip(NEXT) | instid1(VALU_DEP_3)
	v_cndmask_b32_e64 v143, v143, v149, s8
	v_cndmask_b32_e64 v150, v150, v160, s7
	s_delay_alu instid0(VALU_DEP_3) | instskip(NEXT) | instid1(VALU_DEP_3)
	v_cndmask_b32_e64 v159, v135, v161, s10
	v_cndmask_b32_e64 v143, v143, v153, s11
	s_delay_alu instid0(VALU_DEP_3)
	v_cndmask_b32_e64 v150, v150, v157, s9
	v_perm_b32 v135, v134, v132, 0x5040100
	v_perm_b32 v134, v133, v136, 0x5040100
	;; [unrolled: 1-line block ×3, first 2 shown]
	v_cndmask_b32_e64 v132, v143, v161, s13
	v_cndmask_b32_e64 v143, v159, v154, s12
	v_lshrrev_b32_e32 v159, 16, v154
	v_cndmask_b32_e64 v150, v150, v162, s10
	v_lshrrev_b32_e32 v147, 16, v158
	v_cndmask_b32_e64 v132, v132, v154, s17
	s_delay_alu instid0(VALU_DEP_4) | instskip(NEXT) | instid1(VALU_DEP_4)
	v_cndmask_b32_e64 v136, v143, v159, s16
	v_cndmask_b32_e64 v143, v150, v158, s12
	;; [unrolled: 1-line block ×3, first 2 shown]
	s_delay_alu instid0(VALU_DEP_4)
	v_cndmask_b32_e64 v165, v132, v159, s19
	v_cndmask_b32_e64 v132, v151, v148, s5
	;; [unrolled: 1-line block ×32, first 2 shown]
	v_cndmask_b32_e32 v148, v148, v159, vcc_lo
	v_cndmask_b32_e32 v149, v149, v147, vcc_lo
	v_cndmask_b32_e64 v152, v150, v147, s28
	v_cndmask_b32_e64 v144, v144, v147, s19
	v_perm_b32 v132, v164, v163, 0x5040100
	v_perm_b32 v147, v143, v136, 0x5040100
	;; [unrolled: 1-line block ×5, first 2 shown]
	s_mov_b32 s3, exec_lo
	ds_store_b128 v131, v[132:135]
	ds_store_b128 v131, v[147:150] offset:1024
	v_cmpx_eq_u32_e32 0, v0
	s_cbranch_execz .LBB602_77
; %bb.76:
	s_load_b128 s[4:7], s[0:1], 0x58
	s_mul_i32 s8, s37, s34
	v_mov_b32_e32 v131, 0
	s_add_i32 s8, s8, s15
	s_delay_alu instid0(SALU_CYCLE_1) | instskip(NEXT) | instid1(SALU_CYCLE_1)
	s_mul_i32 s8, s8, s36
	s_add_i32 s8, s8, s14
	s_delay_alu instid0(SALU_CYCLE_1) | instskip(NEXT) | instid1(SALU_CYCLE_1)
	s_ashr_i32 s9, s8, 31
	s_lshl_b64 s[8:9], s[8:9], 2
	s_waitcnt lgkmcnt(0)
	s_add_u32 s6, s6, s8
	s_addc_u32 s7, s7, s9
	s_add_u32 s4, s4, s8
	s_addc_u32 s5, s5, s9
	s_clause 0x1
	global_store_b32 v131, v129, s[6:7]
	global_store_b32 v131, v130, s[4:5]
.LBB602_77:
	s_or_b32 exec_lo, exec_lo, s3
	s_waitcnt lgkmcnt(0)
	s_waitcnt_vscnt null, 0x0
	s_barrier
	buffer_gl0_inv
	ds_load_b128 v[147:150], v141
	ds_load_b128 v[151:154], v141 offset:16
	ds_load_b128 v[159:162], v141 offset:1040
	;; [unrolled: 1-line block ×3, first 2 shown]
	v_mov_b32_e32 v129, 0
	ds_load_b128 v[167:170], v141 offset:2064
	ds_load_b128 v[163:166], v141 offset:2048
	;; [unrolled: 1-line block ×6, first 2 shown]
	v_mov_b32_e32 v130, v129
	v_mov_b32_e32 v131, v129
	;; [unrolled: 1-line block ×7, first 2 shown]
	s_waitcnt lgkmcnt(8)
	s_delay_alu instid0(VALU_DEP_1)
	v_wmma_f32_16x16x16_bf16 v[129:136], v[121:128], v[147:154], v[129:136]
	ds_load_b128 v[125:128], v141 offset:5136
	ds_load_b128 v[121:124], v141 offset:5120
	s_waitcnt lgkmcnt(8)
	v_wmma_f32_16x16x16_bf16 v[129:136], v[113:120], v[155:162], v[129:136]
	ds_load_b128 v[117:120], v141 offset:6160
	ds_load_b128 v[113:116], v141 offset:6144
	s_waitcnt lgkmcnt(8)
	;; [unrolled: 4-line block ×7, first 2 shown]
	v_wmma_f32_16x16x16_bf16 v[129:136], v[65:72], v[105:112], v[129:136]
	s_waitcnt lgkmcnt(6)
	s_delay_alu instid0(VALU_DEP_1)
	v_wmma_f32_16x16x16_bf16 v[129:136], v[57:64], v[97:104], v[129:136]
	ds_load_b128 v[61:64], v141 offset:12304
	ds_load_b128 v[57:60], v141 offset:12288
	s_waitcnt lgkmcnt(6)
	v_wmma_f32_16x16x16_bf16 v[129:136], v[49:56], v[89:96], v[129:136]
	ds_load_b128 v[53:56], v141 offset:13328
	ds_load_b128 v[49:52], v141 offset:13312
	s_waitcnt lgkmcnt(6)
	;; [unrolled: 4-line block ×4, first 2 shown]
	v_wmma_f32_16x16x16_bf16 v[129:136], v[1:8], v[57:64], v[129:136]
	s_waitcnt lgkmcnt(4)
	s_delay_alu instid0(VALU_DEP_1) | instskip(SKIP_1) | instid1(VALU_DEP_1)
	v_wmma_f32_16x16x16_bf16 v[129:136], v[25:32], v[49:56], v[129:136]
	s_waitcnt lgkmcnt(2)
	v_wmma_f32_16x16x16_bf16 v[129:136], v[33:40], v[41:48], v[129:136]
	s_waitcnt lgkmcnt(0)
	s_delay_alu instid0(VALU_DEP_1) | instskip(NEXT) | instid1(VALU_DEP_1)
	v_wmma_f32_16x16x16_bf16 v[129:136], v[9:16], v[17:24], v[129:136]
	v_and_b32_e32 v1, 0x7f800000, v129
	s_delay_alu instid0(VALU_DEP_1) | instskip(SKIP_1) | instid1(SALU_CYCLE_1)
	v_cmp_ne_u32_e32 vcc_lo, 0x7f800000, v1
                                        ; implicit-def: $vgpr1
	s_and_saveexec_b32 s3, vcc_lo
	s_xor_b32 s3, exec_lo, s3
; %bb.78:
	v_bfe_u32 v1, v129, 16, 1
	s_delay_alu instid0(VALU_DEP_1)
	v_add3_u32 v1, v129, v1, 0x7fff
; %bb.79:
	s_and_not1_saveexec_b32 s3, s3
; %bb.80:
	v_and_b32_e32 v1, 0xffff, v129
	v_or_b32_e32 v2, 0x10000, v129
	s_delay_alu instid0(VALU_DEP_2) | instskip(NEXT) | instid1(VALU_DEP_2)
	v_cmp_eq_u32_e32 vcc_lo, 0, v1
	v_cndmask_b32_e32 v1, v2, v129, vcc_lo
; %bb.81:
	s_or_b32 exec_lo, exec_lo, s3
	v_and_b32_e32 v2, 0x7f800000, v130
	s_delay_alu instid0(VALU_DEP_1) | instskip(SKIP_1) | instid1(SALU_CYCLE_1)
	v_cmp_ne_u32_e32 vcc_lo, 0x7f800000, v2
                                        ; implicit-def: $vgpr2
	s_and_saveexec_b32 s3, vcc_lo
	s_xor_b32 s3, exec_lo, s3
; %bb.82:
	v_bfe_u32 v2, v130, 16, 1
	s_delay_alu instid0(VALU_DEP_1)
	v_add3_u32 v2, v130, v2, 0x7fff
; %bb.83:
	s_and_not1_saveexec_b32 s3, s3
; %bb.84:
	v_and_b32_e32 v2, 0xffff, v130
	v_or_b32_e32 v3, 0x10000, v130
	s_delay_alu instid0(VALU_DEP_2) | instskip(NEXT) | instid1(VALU_DEP_2)
	v_cmp_eq_u32_e32 vcc_lo, 0, v2
	v_cndmask_b32_e32 v2, v3, v130, vcc_lo
; %bb.85:
	s_or_b32 exec_lo, exec_lo, s3
	v_and_b32_e32 v3, 0x7f800000, v131
	s_delay_alu instid0(VALU_DEP_1) | instskip(SKIP_1) | instid1(SALU_CYCLE_1)
	v_cmp_ne_u32_e32 vcc_lo, 0x7f800000, v3
                                        ; implicit-def: $vgpr3
	s_and_saveexec_b32 s3, vcc_lo
	s_xor_b32 s3, exec_lo, s3
; %bb.86:
	v_bfe_u32 v3, v131, 16, 1
	s_delay_alu instid0(VALU_DEP_1)
	v_add3_u32 v3, v131, v3, 0x7fff
; %bb.87:
	s_and_not1_saveexec_b32 s3, s3
; %bb.88:
	v_and_b32_e32 v3, 0xffff, v131
	v_or_b32_e32 v4, 0x10000, v131
	s_delay_alu instid0(VALU_DEP_2) | instskip(NEXT) | instid1(VALU_DEP_2)
	v_cmp_eq_u32_e32 vcc_lo, 0, v3
	v_cndmask_b32_e32 v3, v4, v131, vcc_lo
; %bb.89:
	s_or_b32 exec_lo, exec_lo, s3
	v_and_b32_e32 v4, 0x7f800000, v132
	s_delay_alu instid0(VALU_DEP_1) | instskip(SKIP_1) | instid1(SALU_CYCLE_1)
	v_cmp_ne_u32_e32 vcc_lo, 0x7f800000, v4
                                        ; implicit-def: $vgpr4
	s_and_saveexec_b32 s3, vcc_lo
	s_xor_b32 s3, exec_lo, s3
; %bb.90:
	v_bfe_u32 v4, v132, 16, 1
	s_delay_alu instid0(VALU_DEP_1)
	v_add3_u32 v4, v132, v4, 0x7fff
; %bb.91:
	s_and_not1_saveexec_b32 s3, s3
; %bb.92:
	v_and_b32_e32 v4, 0xffff, v132
	v_or_b32_e32 v5, 0x10000, v132
	s_delay_alu instid0(VALU_DEP_2) | instskip(NEXT) | instid1(VALU_DEP_2)
	v_cmp_eq_u32_e32 vcc_lo, 0, v4
	v_cndmask_b32_e32 v4, v5, v132, vcc_lo
; %bb.93:
	s_or_b32 exec_lo, exec_lo, s3
	v_and_b32_e32 v5, 0x7f800000, v133
	s_delay_alu instid0(VALU_DEP_1) | instskip(SKIP_1) | instid1(SALU_CYCLE_1)
	v_cmp_ne_u32_e32 vcc_lo, 0x7f800000, v5
                                        ; implicit-def: $vgpr5
	s_and_saveexec_b32 s3, vcc_lo
	s_xor_b32 s3, exec_lo, s3
; %bb.94:
	v_bfe_u32 v5, v133, 16, 1
	s_delay_alu instid0(VALU_DEP_1)
	v_add3_u32 v5, v133, v5, 0x7fff
; %bb.95:
	s_and_not1_saveexec_b32 s3, s3
; %bb.96:
	v_and_b32_e32 v5, 0xffff, v133
	v_or_b32_e32 v6, 0x10000, v133
	s_delay_alu instid0(VALU_DEP_2) | instskip(NEXT) | instid1(VALU_DEP_2)
	v_cmp_eq_u32_e32 vcc_lo, 0, v5
	v_cndmask_b32_e32 v5, v6, v133, vcc_lo
; %bb.97:
	s_or_b32 exec_lo, exec_lo, s3
	v_and_b32_e32 v6, 0x7f800000, v134
	s_delay_alu instid0(VALU_DEP_1) | instskip(SKIP_1) | instid1(SALU_CYCLE_1)
	v_cmp_ne_u32_e32 vcc_lo, 0x7f800000, v6
                                        ; implicit-def: $vgpr6
	s_and_saveexec_b32 s3, vcc_lo
	s_xor_b32 s3, exec_lo, s3
; %bb.98:
	v_bfe_u32 v6, v134, 16, 1
	s_delay_alu instid0(VALU_DEP_1)
	v_add3_u32 v6, v134, v6, 0x7fff
; %bb.99:
	s_and_not1_saveexec_b32 s3, s3
; %bb.100:
	v_and_b32_e32 v6, 0xffff, v134
	v_or_b32_e32 v7, 0x10000, v134
	s_delay_alu instid0(VALU_DEP_2) | instskip(NEXT) | instid1(VALU_DEP_2)
	v_cmp_eq_u32_e32 vcc_lo, 0, v6
	v_cndmask_b32_e32 v6, v7, v134, vcc_lo
; %bb.101:
	s_or_b32 exec_lo, exec_lo, s3
	v_and_b32_e32 v7, 0x7f800000, v135
	s_delay_alu instid0(VALU_DEP_1) | instskip(SKIP_1) | instid1(SALU_CYCLE_1)
	v_cmp_ne_u32_e32 vcc_lo, 0x7f800000, v7
                                        ; implicit-def: $vgpr7
	s_and_saveexec_b32 s3, vcc_lo
	s_xor_b32 s3, exec_lo, s3
; %bb.102:
	v_bfe_u32 v7, v135, 16, 1
	s_delay_alu instid0(VALU_DEP_1)
	v_add3_u32 v7, v135, v7, 0x7fff
; %bb.103:
	s_and_not1_saveexec_b32 s3, s3
; %bb.104:
	v_and_b32_e32 v7, 0xffff, v135
	v_or_b32_e32 v8, 0x10000, v135
	s_delay_alu instid0(VALU_DEP_2) | instskip(NEXT) | instid1(VALU_DEP_2)
	v_cmp_eq_u32_e32 vcc_lo, 0, v7
	v_cndmask_b32_e32 v7, v8, v135, vcc_lo
; %bb.105:
	s_or_b32 exec_lo, exec_lo, s3
	v_and_b32_e32 v8, 0x7f800000, v136
	s_delay_alu instid0(VALU_DEP_1) | instskip(SKIP_1) | instid1(SALU_CYCLE_1)
	v_cmp_ne_u32_e32 vcc_lo, 0x7f800000, v8
                                        ; implicit-def: $vgpr8
	s_and_saveexec_b32 s3, vcc_lo
	s_xor_b32 s3, exec_lo, s3
; %bb.106:
	v_bfe_u32 v8, v136, 16, 1
	s_delay_alu instid0(VALU_DEP_1)
	v_add3_u32 v8, v136, v8, 0x7fff
                                        ; implicit-def: $vgpr129_vgpr130_vgpr131_vgpr132_vgpr133_vgpr134_vgpr135_vgpr136
; %bb.107:
	s_and_not1_saveexec_b32 s3, s3
; %bb.108:
	v_and_b32_e32 v8, 0xffff, v136
	v_or_b32_e32 v9, 0x10000, v136
	s_delay_alu instid0(VALU_DEP_2) | instskip(NEXT) | instid1(VALU_DEP_2)
	v_cmp_eq_u32_e32 vcc_lo, 0, v8
	v_cndmask_b32_e32 v8, v9, v136, vcc_lo
; %bb.109:
	s_or_b32 exec_lo, exec_lo, s3
	s_delay_alu instid0(VALU_DEP_1)
	v_perm_b32 v7, v8, v7, 0x7060302
	v_perm_b32 v6, v6, v5, 0x7060302
	;; [unrolled: 1-line block ×4, first 2 shown]
	v_lshl_or_b32 v9, v146, 4, v142
	s_barrier
	buffer_gl0_inv
	v_cmp_eq_u32_e32 vcc_lo, 1, v138
	ds_store_b128 v9, v[4:7]
	s_waitcnt lgkmcnt(0)
	s_barrier
	buffer_gl0_inv
	ds_load_b128 v[1:4], v142
	ds_load_b128 v[5:8], v142 offset:16
	v_cmp_eq_u32_e64 s4, 2, v138
	v_cmp_eq_u32_e64 s3, 1, v139
	;; [unrolled: 1-line block ×5, first 2 shown]
	s_xor_b32 s2, s2, -1
	s_waitcnt lgkmcnt(1)
	v_lshrrev_b32_e32 v10, 16, v1
	s_waitcnt lgkmcnt(0)
	v_lshrrev_b32_e32 v14, 16, v5
	v_lshrrev_b32_e32 v15, 16, v6
	;; [unrolled: 1-line block ×4, first 2 shown]
	v_cndmask_b32_e64 v20, v1, v10, s3
	v_cndmask_b32_e32 v19, v5, v14, vcc_lo
	v_cndmask_b32_e64 v21, v5, v14, s3
	v_lshrrev_b32_e32 v16, 16, v7
	v_cmp_eq_u32_e64 s3, 1, v137
	v_lshrrev_b32_e32 v13, 16, v4
	v_cndmask_b32_e64 v19, v19, v6, s4
	v_lshrrev_b32_e32 v17, 16, v8
	s_delay_alu instid0(VALU_DEP_4) | instskip(SKIP_1) | instid1(VALU_DEP_4)
	v_cndmask_b32_e64 v22, v1, v10, s3
	v_cndmask_b32_e64 v23, v5, v14, s3
	;; [unrolled: 1-line block ×3, first 2 shown]
	v_cndmask_b32_e32 v18, v1, v10, vcc_lo
	v_cmp_eq_u32_e32 vcc_lo, 2, v139
	v_cmp_eq_u32_e64 s3, 2, v140
	v_cndmask_b32_e64 v22, v22, v2, s7
	v_cndmask_b32_e32 v20, v20, v2, vcc_lo
	v_cndmask_b32_e32 v21, v21, v6, vcc_lo
	v_cmp_eq_u32_e32 vcc_lo, 4, v138
	v_cndmask_b32_e32 v19, v19, v7, vcc_lo
	v_cndmask_b32_e64 v18, v18, v2, s4
	v_cmp_eq_u32_e64 s4, 3, v139
	s_delay_alu instid0(VALU_DEP_2) | instskip(NEXT) | instid1(VALU_DEP_2)
	v_cndmask_b32_e64 v18, v18, v11, s5
	v_cndmask_b32_e64 v21, v21, v15, s4
	v_cmp_eq_u32_e64 s5, 5, v138
	s_delay_alu instid0(VALU_DEP_3) | instskip(SKIP_1) | instid1(VALU_DEP_3)
	v_cndmask_b32_e32 v18, v18, v3, vcc_lo
	v_cmp_eq_u32_e32 vcc_lo, 4, v139
	v_cndmask_b32_e64 v19, v19, v16, s5
	s_delay_alu instid0(VALU_DEP_3) | instskip(SKIP_4) | instid1(VALU_DEP_3)
	v_cndmask_b32_e64 v18, v18, v12, s5
	v_cndmask_b32_e32 v21, v21, v7, vcc_lo
	v_cndmask_b32_e64 v20, v20, v11, s4
	v_cmp_eq_u32_e64 s4, 5, v139
	v_cmp_eq_u32_e64 s5, 6, v138
	v_cndmask_b32_e32 v20, v20, v3, vcc_lo
	s_delay_alu instid0(VALU_DEP_3) | instskip(SKIP_1) | instid1(VALU_DEP_4)
	v_cndmask_b32_e64 v21, v21, v16, s4
	v_cmp_eq_u32_e32 vcc_lo, 6, v139
	v_cndmask_b32_e64 v18, v18, v4, s5
	v_cndmask_b32_e64 v19, v19, v8, s5
	;; [unrolled: 1-line block ×3, first 2 shown]
	v_cmp_eq_u32_e64 s4, 1, v140
	v_cmp_eq_u32_e64 s5, 7, v138
	s_delay_alu instid0(VALU_DEP_3) | instskip(NEXT) | instid1(VALU_DEP_3)
	v_cndmask_b32_e32 v20, v20, v4, vcc_lo
	v_cndmask_b32_e64 v1, v1, v10, s4
	v_cndmask_b32_e64 v5, v5, v14, s4
	v_cmp_eq_u32_e64 s4, 3, v137
	v_cndmask_b32_e64 v14, v23, v6, s7
	v_cmp_eq_u32_e64 s7, 3, v140
	v_cndmask_b32_e64 v1, v1, v2, s3
	v_cndmask_b32_e64 v2, v5, v6, s3
	;; [unrolled: 1-line block ×3, first 2 shown]
	v_cmp_eq_u32_e64 s3, 4, v137
	v_cndmask_b32_e64 v6, v14, v15, s4
	v_cndmask_b32_e64 v1, v1, v11, s7
	v_cmp_eq_u32_e64 s4, 4, v140
	v_cndmask_b32_e64 v2, v2, v15, s7
	v_cndmask_b32_e64 v5, v10, v3, s3
	;; [unrolled: 3-line block ×3, first 2 shown]
	v_cndmask_b32_e64 v2, v2, v7, s4
	v_cmp_eq_u32_e64 s3, 5, v140
	v_cndmask_b32_e64 v5, v5, v12, s7
	v_cmp_eq_u32_e64 s4, 6, v137
	;; [unrolled: 2-line block ×3, first 2 shown]
	v_cndmask_b32_e64 v1, v1, v12, s3
	v_cndmask_b32_e64 v2, v2, v16, s3
	;; [unrolled: 1-line block ×4, first 2 shown]
	v_cmp_eq_u32_e64 s3, 7, v140
	v_cndmask_b32_e64 v1, v1, v4, s7
	v_cndmask_b32_e64 v2, v2, v8, s7
	v_cmp_eq_u32_e64 s4, 7, v137
	v_cndmask_b32_e32 v4, v21, v8, vcc_lo
	v_cndmask_b32_e64 v18, v18, v13, s5
	v_cndmask_b32_e64 v20, v20, v13, s6
	;; [unrolled: 1-line block ×8, first 2 shown]
	v_cmp_gt_u32_e32 vcc_lo, 32, v0
	v_perm_b32 v4, v2, v1, 0x5040100
	v_perm_b32 v3, v3, v5, 0x5040100
	;; [unrolled: 1-line block ×4, first 2 shown]
	s_and_b32 s2, vcc_lo, s2
	ds_store_b128 v9, v[1:4]
	s_waitcnt lgkmcnt(0)
	s_barrier
	buffer_gl0_inv
	s_and_saveexec_b32 s3, s2
	s_cbranch_execz .LBB602_2
; %bb.110:
	s_load_b64 s[0:1], s[0:1], 0x68
	v_lshlrev_b32_e32 v1, 10, v0
	v_and_b32_e32 v0, 1, v0
	v_lshlrev_b32_e32 v2, 6, v146
	s_lshl_b32 s4, s36, 7
	v_lshlrev_b32_e32 v4, 4, v145
	v_and_b32_e32 v1, 0x3800, v1
	v_lshlrev_b32_e32 v0, 4, v0
	s_mul_i32 s2, s4, s34
	s_delay_alu instid0(SALU_CYCLE_1) | instskip(NEXT) | instid1(VALU_DEP_1)
	s_mul_i32 s2, s2, s37
	v_or3_b32 v0, v1, v2, v0
	s_ashr_i32 s3, s2, 31
	s_delay_alu instid0(SALU_CYCLE_1)
	s_lshl_b64 s[2:3], s[2:3], 1
	ds_load_b128 v[0:3], v0
	s_waitcnt lgkmcnt(0)
	s_add_u32 s5, s0, s2
	s_addc_u32 s3, s1, s3
	s_lshl_b32 s0, s14, 7
	s_mul_i32 s2, s4, s15
	s_ashr_i32 s1, s0, 31
	s_delay_alu instid0(SALU_CYCLE_1) | instskip(NEXT) | instid1(SALU_CYCLE_1)
	s_lshl_b64 s[0:1], s[0:1], 1
	s_add_u32 s4, s5, s0
	s_addc_u32 s5, s3, s1
	s_ashr_i32 s3, s2, 31
	s_delay_alu instid0(SALU_CYCLE_1) | instskip(NEXT) | instid1(SALU_CYCLE_1)
	s_lshl_b64 s[0:1], s[2:3], 1
	s_add_u32 s0, s4, s0
	s_addc_u32 s1, s5, s1
	global_store_b128 v4, v[0:3], s[0:1]
	s_nop 0
	s_sendmsg sendmsg(MSG_DEALLOC_VGPRS)
	s_endpgm
	.section	.rodata,"a",@progbits
	.p2align	6, 0x0
	.amdhsa_kernel _Z39paged_attention_ll4mi_QKV_mfma16_kernelI14__hip_bfloat16S0_LN4vllm18Fp8KVCacheDataTypeE0EhLi16ELi128ELi256ELb1ELi1EL8MFMAType0EEvPKT_PKT0_S9_ifPKiSB_SB_iPKfiiiPfSE_PS4_PT2_iSD_SD_
		.amdhsa_group_segment_fixed_size 17472
		.amdhsa_private_segment_fixed_size 0
		.amdhsa_kernarg_size 400
		.amdhsa_user_sgpr_count 13
		.amdhsa_user_sgpr_dispatch_ptr 0
		.amdhsa_user_sgpr_queue_ptr 0
		.amdhsa_user_sgpr_kernarg_segment_ptr 1
		.amdhsa_user_sgpr_dispatch_id 0
		.amdhsa_user_sgpr_private_segment_size 0
		.amdhsa_wavefront_size32 1
		.amdhsa_uses_dynamic_stack 0
		.amdhsa_enable_private_segment 0
		.amdhsa_system_sgpr_workgroup_id_x 1
		.amdhsa_system_sgpr_workgroup_id_y 1
		.amdhsa_system_sgpr_workgroup_id_z 1
		.amdhsa_system_sgpr_workgroup_info 0
		.amdhsa_system_vgpr_workitem_id 0
		.amdhsa_next_free_vgpr 201
		.amdhsa_next_free_sgpr 98
		.amdhsa_reserve_vcc 1
		.amdhsa_float_round_mode_32 0
		.amdhsa_float_round_mode_16_64 0
		.amdhsa_float_denorm_mode_32 3
		.amdhsa_float_denorm_mode_16_64 3
		.amdhsa_dx10_clamp 1
		.amdhsa_ieee_mode 1
		.amdhsa_fp16_overflow 0
		.amdhsa_workgroup_processor_mode 1
		.amdhsa_memory_ordered 1
		.amdhsa_forward_progress 0
		.amdhsa_shared_vgpr_count 0
		.amdhsa_exception_fp_ieee_invalid_op 0
		.amdhsa_exception_fp_denorm_src 0
		.amdhsa_exception_fp_ieee_div_zero 0
		.amdhsa_exception_fp_ieee_overflow 0
		.amdhsa_exception_fp_ieee_underflow 0
		.amdhsa_exception_fp_ieee_inexact 0
		.amdhsa_exception_int_div_zero 0
	.end_amdhsa_kernel
	.section	.text._Z39paged_attention_ll4mi_QKV_mfma16_kernelI14__hip_bfloat16S0_LN4vllm18Fp8KVCacheDataTypeE0EhLi16ELi128ELi256ELb1ELi1EL8MFMAType0EEvPKT_PKT0_S9_ifPKiSB_SB_iPKfiiiPfSE_PS4_PT2_iSD_SD_,"axG",@progbits,_Z39paged_attention_ll4mi_QKV_mfma16_kernelI14__hip_bfloat16S0_LN4vllm18Fp8KVCacheDataTypeE0EhLi16ELi128ELi256ELb1ELi1EL8MFMAType0EEvPKT_PKT0_S9_ifPKiSB_SB_iPKfiiiPfSE_PS4_PT2_iSD_SD_,comdat
.Lfunc_end602:
	.size	_Z39paged_attention_ll4mi_QKV_mfma16_kernelI14__hip_bfloat16S0_LN4vllm18Fp8KVCacheDataTypeE0EhLi16ELi128ELi256ELb1ELi1EL8MFMAType0EEvPKT_PKT0_S9_ifPKiSB_SB_iPKfiiiPfSE_PS4_PT2_iSD_SD_, .Lfunc_end602-_Z39paged_attention_ll4mi_QKV_mfma16_kernelI14__hip_bfloat16S0_LN4vllm18Fp8KVCacheDataTypeE0EhLi16ELi128ELi256ELb1ELi1EL8MFMAType0EEvPKT_PKT0_S9_ifPKiSB_SB_iPKfiiiPfSE_PS4_PT2_iSD_SD_
                                        ; -- End function
	.section	.AMDGPU.csdata,"",@progbits
; Kernel info:
; codeLenInByte = 10048
; NumSgprs: 100
; NumVgprs: 201
; ScratchSize: 0
; MemoryBound: 1
; FloatMode: 240
; IeeeMode: 1
; LDSByteSize: 17472 bytes/workgroup (compile time only)
; SGPRBlocks: 12
; VGPRBlocks: 25
; NumSGPRsForWavesPerEU: 100
; NumVGPRsForWavesPerEU: 201
; Occupancy: 7
; WaveLimiterHint : 1
; COMPUTE_PGM_RSRC2:SCRATCH_EN: 0
; COMPUTE_PGM_RSRC2:USER_SGPR: 13
; COMPUTE_PGM_RSRC2:TRAP_HANDLER: 0
; COMPUTE_PGM_RSRC2:TGID_X_EN: 1
; COMPUTE_PGM_RSRC2:TGID_Y_EN: 1
; COMPUTE_PGM_RSRC2:TGID_Z_EN: 1
; COMPUTE_PGM_RSRC2:TIDIG_COMP_CNT: 0
	.section	.text._Z39paged_attention_ll4mi_QKV_mfma16_kernelI14__hip_bfloat16S0_LN4vllm18Fp8KVCacheDataTypeE0EhLi16ELi128ELi256ELb1ELi2EL8MFMAType0EEvPKT_PKT0_S9_ifPKiSB_SB_iPKfiiiPfSE_PS4_PT2_iSD_SD_,"axG",@progbits,_Z39paged_attention_ll4mi_QKV_mfma16_kernelI14__hip_bfloat16S0_LN4vllm18Fp8KVCacheDataTypeE0EhLi16ELi128ELi256ELb1ELi2EL8MFMAType0EEvPKT_PKT0_S9_ifPKiSB_SB_iPKfiiiPfSE_PS4_PT2_iSD_SD_,comdat
	.protected	_Z39paged_attention_ll4mi_QKV_mfma16_kernelI14__hip_bfloat16S0_LN4vllm18Fp8KVCacheDataTypeE0EhLi16ELi128ELi256ELb1ELi2EL8MFMAType0EEvPKT_PKT0_S9_ifPKiSB_SB_iPKfiiiPfSE_PS4_PT2_iSD_SD_ ; -- Begin function _Z39paged_attention_ll4mi_QKV_mfma16_kernelI14__hip_bfloat16S0_LN4vllm18Fp8KVCacheDataTypeE0EhLi16ELi128ELi256ELb1ELi2EL8MFMAType0EEvPKT_PKT0_S9_ifPKiSB_SB_iPKfiiiPfSE_PS4_PT2_iSD_SD_
	.globl	_Z39paged_attention_ll4mi_QKV_mfma16_kernelI14__hip_bfloat16S0_LN4vllm18Fp8KVCacheDataTypeE0EhLi16ELi128ELi256ELb1ELi2EL8MFMAType0EEvPKT_PKT0_S9_ifPKiSB_SB_iPKfiiiPfSE_PS4_PT2_iSD_SD_
	.p2align	8
	.type	_Z39paged_attention_ll4mi_QKV_mfma16_kernelI14__hip_bfloat16S0_LN4vllm18Fp8KVCacheDataTypeE0EhLi16ELi128ELi256ELb1ELi2EL8MFMAType0EEvPKT_PKT0_S9_ifPKiSB_SB_iPKfiiiPfSE_PS4_PT2_iSD_SD_,@function
_Z39paged_attention_ll4mi_QKV_mfma16_kernelI14__hip_bfloat16S0_LN4vllm18Fp8KVCacheDataTypeE0EhLi16ELi128ELi256ELb1ELi2EL8MFMAType0EEvPKT_PKT0_S9_ifPKiSB_SB_iPKfiiiPfSE_PS4_PT2_iSD_SD_: ; @_Z39paged_attention_ll4mi_QKV_mfma16_kernelI14__hip_bfloat16S0_LN4vllm18Fp8KVCacheDataTypeE0EhLi16ELi128ELi256ELb1ELi2EL8MFMAType0EEvPKT_PKT0_S9_ifPKiSB_SB_iPKfiiiPfSE_PS4_PT2_iSD_SD_
; %bb.0:
	s_load_b64 s[2:3], s[0:1], 0x30
	s_mov_b32 s30, s13
	s_waitcnt lgkmcnt(0)
	s_cmp_lg_u64 s[2:3], 0
	s_cselect_b32 s8, -1, 0
	s_ashr_i32 s31, s13, 31
	s_cmp_eq_u64 s[2:3], 0
	s_cbranch_scc1 .LBB603_3
; %bb.1:
	s_lshl_b64 s[4:5], s[30:31], 2
	s_delay_alu instid0(SALU_CYCLE_1) | instskip(SKIP_4) | instid1(SALU_CYCLE_1)
	s_add_u32 s4, s2, s4
	s_addc_u32 s5, s3, s5
	s_load_b64 s[4:5], s[4:5], 0x0
	s_waitcnt lgkmcnt(0)
	s_sub_i32 s4, s5, s4
	s_cmp_eq_u32 s4, 1
	s_cselect_b32 s4, -1, 0
	s_delay_alu instid0(SALU_CYCLE_1)
	s_and_not1_b32 vcc_lo, exec_lo, s4
	s_cbranch_vccz .LBB603_4
.LBB603_2:
	s_endpgm
.LBB603_3:
.LBB603_4:
	s_load_b64 s[4:5], s[0:1], 0x28
	s_lshl_b64 s[6:7], s[30:31], 2
	s_waitcnt lgkmcnt(0)
	s_add_u32 s4, s4, s6
	s_addc_u32 s5, s5, s7
	s_lshl_b32 s34, s14, 8
	s_load_b32 s33, s[4:5], 0x0
	s_waitcnt lgkmcnt(0)
	s_cmp_ge_i32 s34, s33
	s_cbranch_scc1 .LBB603_2
; %bb.5:
	s_clause 0x1
	s_load_b128 s[20:23], s[0:1], 0x8
	s_load_b64 s[4:5], s[0:1], 0x20
	s_and_not1_b32 vcc_lo, exec_lo, s8
	s_cbranch_vccnz .LBB603_7
; %bb.6:
	s_add_u32 s2, s2, s6
	s_addc_u32 s3, s3, s7
	s_load_b32 s3, s[2:3], 0x0
	s_branch .LBB603_8
.LBB603_7:
	s_mov_b32 s3, s30
.LBB603_8:
	s_load_b128 s[16:19], s[0:1], 0x48
	v_and_b32_e32 v150, 15, v0
	v_bfe_u32 v149, v0, 4, 1
	s_lshl_b32 s31, s15, 1
	v_and_b32_e32 v151, 31, v0
	v_and_b32_e32 v148, 1, v0
	v_lshlrev_b32_e32 v1, 3, v150
	v_cmp_gt_u32_e64 s2, 32, v0
	v_or_b32_e32 v147, s31, v149
	v_lshlrev_b32_e32 v146, 6, v149
	s_delay_alu instid0(VALU_DEP_4) | instskip(NEXT) | instid1(VALU_DEP_4)
	v_lshlrev_b32_e32 v145, 1, v1
	s_and_saveexec_b32 s6, s2
	s_cbranch_execz .LBB603_10
; %bb.9:
	s_load_b64 s[8:9], s[0:1], 0x0
	v_lshlrev_b32_e32 v1, 7, v147
	s_waitcnt lgkmcnt(0)
	s_mul_hi_i32 s11, s3, s16
	s_mul_i32 s10, s3, s16
	v_lshlrev_b32_e32 v5, 10, v150
	s_lshl_b64 s[10:11], s[10:11], 1
	v_ashrrev_i32_e32 v2, 31, v1
	v_lshlrev_b32_e32 v6, 10, v148
	s_delay_alu instid0(VALU_DEP_3) | instskip(NEXT) | instid1(VALU_DEP_3)
	v_and_b32_e32 v5, 0x3800, v5
	v_lshlrev_b64 v[1:2], 1, v[1:2]
	s_delay_alu instid0(VALU_DEP_2) | instskip(SKIP_2) | instid1(VALU_DEP_2)
	v_or3_b32 v5, v5, v6, v146
	s_add_u32 s3, s8, s10
	s_addc_u32 s7, s9, s11
	v_add_co_u32 v1, vcc_lo, s3, v1
	s_delay_alu instid0(VALU_DEP_3) | instskip(NEXT) | instid1(VALU_DEP_2)
	v_add_co_ci_u32_e32 v2, vcc_lo, s7, v2, vcc_lo
	v_add_co_u32 v1, vcc_lo, v1, v145
	s_delay_alu instid0(VALU_DEP_2)
	v_add_co_ci_u32_e32 v2, vcc_lo, 0, v2, vcc_lo
	global_load_b128 v[1:4], v[1:2], off
	s_waitcnt vmcnt(0)
	ds_store_b128 v5, v[1:4]
.LBB603_10:
	s_or_b32 exec_lo, exec_lo, s6
	v_and_b32_e32 v1, 0xef, v0
	s_waitcnt lgkmcnt(0)
	s_add_i32 s3, s33, 15
	s_clause 0x1
	s_load_b32 s6, s[0:1], 0x38
	s_load_b32 s35, s[0:1], 0x1c
	s_ashr_i32 s7, s3, 31
	v_add_nc_u32_e32 v1, s34, v1
	s_lshr_b32 s7, s7, 28
	s_waitcnt lgkmcnt(0)
	s_add_i32 s3, s3, s7
	s_barrier
	v_ashrrev_i32_e32 v2, 31, v1
	v_cmp_gt_i32_e32 vcc_lo, s33, v1
	s_ashr_i32 s3, s3, 4
	buffer_gl0_inv
	s_add_i32 s3, s3, -1
	v_lshrrev_b32_e32 v3, 28, v2
	v_or_b32_e32 v2, 16, v1
	v_lshlrev_b32_e32 v153, 6, v148
	v_lshrrev_b32_e32 v152, 5, v0
	v_lshlrev_b32_e32 v125, 5, v150
	v_add_nc_u32_e32 v4, v1, v3
	v_add_nc_u32_e32 v3, v2, v3
	s_mul_i32 s6, s30, s6
	s_delay_alu instid0(SALU_CYCLE_1) | instskip(NEXT) | instid1(VALU_DEP_2)
	s_ashr_i32 s7, s6, 31
	v_ashrrev_i32_e32 v4, 4, v4
	s_delay_alu instid0(VALU_DEP_2) | instskip(SKIP_1) | instid1(SALU_CYCLE_1)
	v_ashrrev_i32_e32 v3, 4, v3
	s_lshl_b64 s[6:7], s[6:7], 2
	s_add_u32 s16, s4, s6
	s_delay_alu instid0(VALU_DEP_2) | instskip(SKIP_3) | instid1(SALU_CYCLE_1)
	v_cndmask_b32_e32 v1, s3, v4, vcc_lo
	v_cmp_gt_i32_e32 vcc_lo, s33, v2
	s_addc_u32 s36, s5, s7
	s_mul_i32 s4, s15, s18
	s_ashr_i32 s5, s4, 31
	v_cndmask_b32_e32 v3, s3, v3, vcc_lo
	v_ashrrev_i32_e32 v2, 31, v1
	s_lshl_b64 s[12:13], s[4:5], 1
	s_delay_alu instid0(SALU_CYCLE_1) | instskip(NEXT) | instid1(VALU_DEP_2)
	s_add_u32 s26, s20, s12
	v_ashrrev_i32_e32 v4, 31, v3
	s_delay_alu instid0(VALU_DEP_2) | instskip(SKIP_2) | instid1(VALU_DEP_2)
	v_lshlrev_b64 v[1:2], 2, v[1:2]
	s_addc_u32 s27, s21, s13
	s_lshl_b32 s4, s14, 4
	v_lshlrev_b64 v[3:4], 2, v[3:4]
	s_ashr_i32 s5, s4, 31
	s_delay_alu instid0(VALU_DEP_2) | instskip(SKIP_1) | instid1(VALU_DEP_3)
	v_add_co_u32 v1, vcc_lo, s16, v1
	v_add_co_ci_u32_e32 v2, vcc_lo, s36, v2, vcc_lo
	v_add_co_u32 v3, vcc_lo, s16, v3
	s_delay_alu instid0(VALU_DEP_4)
	v_add_co_ci_u32_e32 v4, vcc_lo, s36, v4, vcc_lo
	s_lshl_b64 s[4:5], s[4:5], 2
	s_clause 0x1
	global_load_b32 v5, v[1:2], off
	global_load_b32 v6, v[3:4], off
	s_add_u32 s4, s16, s4
	s_addc_u32 s5, s36, s5
	s_or_b32 s6, s34, 16
	v_lshlrev_b32_e32 v3, 4, v0
	s_ashr_i32 s7, s6, 4
	s_cmp_lt_i32 s6, s33
	s_cselect_b32 s6, s7, s3
	s_delay_alu instid0(SALU_CYCLE_1) | instskip(NEXT) | instid1(SALU_CYCLE_1)
	s_ashr_i32 s7, s6, 31
	s_lshl_b64 s[6:7], s[6:7], 2
	s_delay_alu instid0(SALU_CYCLE_1) | instskip(SKIP_2) | instid1(SALU_CYCLE_1)
	s_add_u32 s6, s16, s6
	s_addc_u32 s7, s36, s7
	s_or_b32 s8, s34, 32
	s_ashr_i32 s9, s8, 4
	s_cmp_lt_i32 s8, s33
	s_cselect_b32 s8, s9, s3
	s_delay_alu instid0(SALU_CYCLE_1) | instskip(NEXT) | instid1(SALU_CYCLE_1)
	s_ashr_i32 s9, s8, 31
	s_lshl_b64 s[8:9], s[8:9], 2
	s_delay_alu instid0(SALU_CYCLE_1) | instskip(SKIP_2) | instid1(SALU_CYCLE_1)
	s_add_u32 s8, s16, s8
	s_addc_u32 s9, s36, s9
	s_or_b32 s10, s34, 48
	;; [unrolled: 10-line block ×4, first 2 shown]
	s_ashr_i32 s18, s15, 4
	s_cmp_lt_i32 s15, s33
	s_cselect_b32 s18, s18, s3
	s_delay_alu instid0(SALU_CYCLE_1) | instskip(NEXT) | instid1(SALU_CYCLE_1)
	s_ashr_i32 s19, s18, 31
	s_lshl_b64 s[18:19], s[18:19], 2
	s_delay_alu instid0(SALU_CYCLE_1)
	s_add_u32 s24, s16, s18
	s_addc_u32 s25, s36, s19
	s_clause 0x5
	s_load_b32 s37, s[4:5], 0x0
	s_load_b32 s29, s[6:7], 0x0
	;; [unrolled: 1-line block ×6, first 2 shown]
	s_waitcnt vmcnt(1)
	v_mad_i64_i32 v[1:2], null, v5, s17, 0
	v_and_b32_e32 v5, 0xf0, v3
	s_waitcnt vmcnt(0)
	v_mad_i64_i32 v[3:4], null, v6, s17, 0
	s_delay_alu instid0(VALU_DEP_2) | instskip(NEXT) | instid1(VALU_DEP_4)
	v_add_co_u32 v5, s4, s26, v5
	v_lshlrev_b64 v[1:2], 1, v[1:2]
	v_add_co_ci_u32_e64 v6, null, s27, 0, s4
	s_delay_alu instid0(VALU_DEP_4) | instskip(SKIP_1) | instid1(VALU_DEP_3)
	v_lshlrev_b64 v[3:4], 1, v[3:4]
	s_or_b32 s4, s34, 0x60
	v_add_co_u32 v121, vcc_lo, v5, v1
	s_delay_alu instid0(VALU_DEP_3) | instskip(NEXT) | instid1(VALU_DEP_3)
	v_add_co_ci_u32_e32 v122, vcc_lo, v6, v2, vcc_lo
	v_add_co_u32 v123, vcc_lo, v5, v3
	s_delay_alu instid0(VALU_DEP_4)
	v_add_co_ci_u32_e32 v124, vcc_lo, v6, v4, vcc_lo
	s_clause 0x1b
	global_load_b128 v[89:92], v[121:122], off
	global_load_b128 v[93:96], v[121:122], off offset:256
	global_load_b128 v[97:100], v[123:124], off
	global_load_b128 v[101:104], v[123:124], off offset:256
	global_load_b128 v[81:84], v[121:122], off offset:512
	;; [unrolled: 1-line block ×25, first 2 shown]
	ds_load_b128 v[105:108], v153
	ds_load_b128 v[109:112], v153 offset:1024
	ds_load_b128 v[113:116], v153 offset:2048
	;; [unrolled: 1-line block ×9, first 2 shown]
	s_clause 0x3
	global_load_b128 v[186:189], v[121:122], off offset:3584
	global_load_b128 v[190:193], v[121:122], off offset:3840
	;; [unrolled: 1-line block ×4, first 2 shown]
	s_ashr_i32 s5, s4, 4
	s_cmp_lt_i32 s4, s33
	ds_load_b128 v[202:205], v153 offset:10240
	ds_load_b128 v[206:209], v153 offset:11264
	s_cselect_b32 s4, s5, s3
	ds_load_b128 v[210:213], v153 offset:12288
	ds_load_b128 v[214:217], v153 offset:13312
	s_ashr_i32 s5, s4, 31
	s_delay_alu instid0(SALU_CYCLE_1) | instskip(NEXT) | instid1(SALU_CYCLE_1)
	s_lshl_b64 s[4:5], s[4:5], 2
	s_add_u32 s20, s16, s4
	s_addc_u32 s21, s36, s5
	s_or_b32 s4, s34, 0x70
	s_load_b32 s41, s[20:21], 0x0
	s_ashr_i32 s5, s4, 4
	s_cmp_lt_i32 s4, s33
	s_mov_b32 s4, 0
	s_cselect_b32 s6, s5, s3
	s_mov_b32 s5, s4
	s_ashr_i32 s7, s6, 31
	s_mov_b32 s9, s4
	s_lshl_b64 s[6:7], s[6:7], 2
	s_delay_alu instid0(SALU_CYCLE_1)
	s_add_u32 s24, s16, s6
	s_addc_u32 s25, s36, s7
	s_or_b32 s7, s34, 0x80
	s_load_b32 s46, s[24:25], 0x0
	s_ashr_i32 s8, s7, 4
	s_cmp_lt_i32 s7, s33
	s_mov_b32 s6, s4
	s_cselect_b32 s10, s8, s3
	s_mov_b32 s7, s4
	s_ashr_i32 s11, s10, 31
	s_mov_b32 s8, s4
	s_lshl_b64 s[26:27], s[10:11], 2
	s_mov_b32 s11, s4
	s_add_u32 s26, s16, s26
	s_addc_u32 s27, s36, s27
	s_or_b32 s38, s34, 0x90
	s_load_b32 s47, s[26:27], 0x0
	s_ashr_i32 s39, s38, 4
	s_mov_b32 s10, s4
	s_cmp_lt_i32 s38, s33
	v_dual_mov_b32 v136, s11 :: v_dual_mov_b32 v135, s10
	v_dual_mov_b32 v134, s9 :: v_dual_mov_b32 v133, s8
	;; [unrolled: 1-line block ×4, first 2 shown]
	s_cselect_b32 s4, s39, s3
	s_waitcnt lgkmcnt(0)
	s_mul_hi_i32 s7, s29, s17
	s_ashr_i32 s5, s4, 31
	s_mul_hi_i32 s11, s19, s17
	s_lshl_b64 s[4:5], s[4:5], 2
	s_delay_alu instid0(SALU_CYCLE_1)
	s_add_u32 s38, s16, s4
	s_addc_u32 s39, s36, s5
	s_or_b32 s4, s34, 0xa0
	s_load_b32 s40, s[38:39], 0x0
	s_ashr_i32 s5, s4, 4
	s_cmp_lt_i32 s4, s33
	s_mul_hi_i32 s21, s15, s17
	s_cselect_b32 s4, s5, s3
	s_mul_hi_i32 s27, s46, s17
	s_ashr_i32 s5, s4, 31
	s_mul_i32 s26, s46, s17
	s_lshl_b64 s[4:5], s[4:5], 2
	s_delay_alu instid0(SALU_CYCLE_1)
	s_add_u32 s42, s16, s4
	s_addc_u32 s43, s36, s5
	s_or_b32 s4, s34, 0xb0
	s_mul_hi_i32 s5, s37, s17
	s_ashr_i32 s6, s4, 4
	s_cmp_lt_i32 s4, s33
	s_mul_i32 s4, s37, s17
	s_cselect_b32 s8, s6, s3
	s_mul_i32 s6, s29, s17
	s_ashr_i32 s9, s8, 31
	s_load_b32 s39, s[42:43], 0x0
	s_lshl_b64 s[8:9], s[8:9], 2
	s_delay_alu instid0(SALU_CYCLE_1)
	s_add_u32 s44, s16, s8
	s_addc_u32 s45, s36, s9
	s_or_b32 s8, s34, 0xc0
	s_mul_hi_i32 s9, s28, s17
	s_ashr_i32 s10, s8, 4
	s_cmp_lt_i32 s8, s33
	s_mul_i32 s8, s28, s17
	s_cselect_b32 s28, s10, s3
	s_mul_i32 s10, s19, s17
	s_ashr_i32 s29, s28, 31
	s_mul_hi_i32 s19, s18, s17
	s_lshl_b64 s[28:29], s[28:29], 2
	s_mul_i32 s18, s18, s17
	s_add_u32 s28, s16, s28
	s_addc_u32 s29, s36, s29
	s_or_b32 s37, s34, 0xd0
	s_delay_alu instid0(SALU_CYCLE_1) | instskip(SKIP_4) | instid1(SALU_CYCLE_1)
	s_ashr_i32 s20, s37, 4
	s_cmp_lt_i32 s37, s33
	s_cselect_b32 s24, s20, s3
	s_mul_i32 s20, s15, s17
	s_ashr_i32 s25, s24, 31
	s_lshl_b64 s[24:25], s[24:25], 2
	s_delay_alu instid0(SALU_CYCLE_1)
	s_add_u32 s24, s16, s24
	s_addc_u32 s25, s36, s25
	s_or_b32 s42, s34, 0xe0
	s_clause 0x2
	s_load_b32 s38, s[44:45], 0x0
	s_load_b32 s37, s[28:29], 0x0
	;; [unrolled: 1-line block ×3, first 2 shown]
	s_ashr_i32 s43, s42, 4
	s_cmp_lt_i32 s42, s33
	s_mul_hi_i32 s29, s47, s17
	s_cselect_b32 s42, s43, s3
	s_mul_i32 s28, s47, s17
	s_ashr_i32 s43, s42, 31
	s_mul_hi_i32 s25, s41, s17
	s_lshl_b64 s[42:43], s[42:43], 2
	s_mul_i32 s24, s41, s17
	s_add_u32 s42, s16, s42
	s_addc_u32 s43, s36, s43
	s_or_b32 s46, s34, 0xf0
	s_waitcnt lgkmcnt(0)
	s_mul_hi_i32 s41, s40, s17
	s_ashr_i32 s47, s46, 4
	s_cmp_lt_i32 s46, s33
	s_mul_i32 s40, s40, s17
	s_cselect_b32 s46, s47, s3
	s_mul_hi_i32 s45, s39, s17
	s_ashr_i32 s47, s46, 31
	s_mul_hi_i32 s51, s15, s17
	s_lshl_b64 s[46:47], s[46:47], 2
	s_mul_i32 s50, s15, s17
	s_add_u32 s46, s16, s46
	s_addc_u32 s47, s36, s47
	s_add_u32 s3, s22, s12
	s_addc_u32 s15, s23, s13
	s_lshl_b64 s[4:5], s[4:5], 1
	s_lshl_b64 s[6:7], s[6:7], 1
	;; [unrolled: 1-line block ×10, first 2 shown]
	s_mul_i32 s44, s39, s17
	s_mul_hi_i32 s39, s38, s17
	s_lshl_b64 s[28:29], s[44:45], 1
	s_mul_i32 s38, s38, s17
	s_mul_hi_i32 s49, s37, s17
	s_mul_i32 s48, s37, s17
	s_lshl_b64 s[36:37], s[38:39], 1
	s_lshl_b64 s[38:39], s[48:49], 1
	s_waitcnt vmcnt(30)
	v_wmma_f32_16x16x16_bf16 v[137:144], v[89:96], v[105:112], v[129:136]
	v_lshl_or_b32 v89, v152, 9, v125
	s_waitcnt vmcnt(28)
	v_wmma_f32_16x16x16_bf16 v[129:136], v[97:104], v[105:112], v[129:136]
	s_waitcnt vmcnt(26)
	v_wmma_f32_16x16x16_bf16 v[137:144], v[81:88], v[113:120], v[137:144]
	v_add_co_u32 v228, s3, s3, v89
	s_delay_alu instid0(VALU_DEP_1) | instskip(SKIP_2) | instid1(VALU_DEP_3)
	v_add_co_ci_u32_e64 v229, null, s15, 0, s3
	s_waitcnt vmcnt(24)
	v_wmma_f32_16x16x16_bf16 v[129:136], v[73:80], v[113:120], v[129:136]
	v_add_co_u32 v89, vcc_lo, v228, s4
	s_delay_alu instid0(VALU_DEP_3)
	v_add_co_ci_u32_e32 v90, vcc_lo, s5, v229, vcc_lo
	v_add_co_u32 v81, vcc_lo, v228, s6
	v_add_co_ci_u32_e32 v82, vcc_lo, s7, v229, vcc_lo
	v_add_co_u32 v83, vcc_lo, v228, s8
	;; [unrolled: 2-line block ×7, first 2 shown]
	v_add_co_ci_u32_e32 v219, vcc_lo, s23, v229, vcc_lo
	s_clause 0x1
	s_load_b32 s3, s[42:43], 0x0
	s_load_b32 s15, s[46:47], 0x0
	v_add_co_u32 v220, vcc_lo, v228, s24
	v_add_co_ci_u32_e32 v221, vcc_lo, s25, v229, vcc_lo
	s_waitcnt vmcnt(22)
	v_wmma_f32_16x16x16_bf16 v[137:144], v[65:72], v[162:169], v[137:144]
	v_add_co_u32 v222, vcc_lo, v228, s26
	v_add_co_ci_u32_e32 v223, vcc_lo, s27, v229, vcc_lo
	v_add_co_u32 v224, vcc_lo, v228, s28
	s_waitcnt vmcnt(18)
	v_wmma_f32_16x16x16_bf16 v[137:144], v[49:56], v[170:177], v[137:144]
	v_add_co_ci_u32_e32 v225, vcc_lo, s29, v229, vcc_lo
	v_add_co_u32 v226, vcc_lo, v228, s36
	v_wmma_f32_16x16x16_bf16 v[129:136], v[57:64], v[162:169], v[129:136]
	v_add_co_ci_u32_e32 v227, vcc_lo, s37, v229, vcc_lo
	s_waitcnt vmcnt(14)
	v_wmma_f32_16x16x16_bf16 v[137:144], v[33:40], v[178:185], v[137:144]
	v_add_co_u32 v33, vcc_lo, v228, s38
	v_wmma_f32_16x16x16_bf16 v[129:136], v[41:48], v[170:177], v[129:136]
	v_add_co_ci_u32_e32 v34, vcc_lo, s39, v229, vcc_lo
	s_lshl_b64 s[4:5], s[50:51], 1
	s_clause 0x11
	global_load_b128 v[121:124], v[89:90], off
	global_load_b128 v[125:128], v[89:90], off offset:16
	global_load_b128 v[113:116], v[81:82], off
	global_load_b128 v[117:120], v[81:82], off offset:16
	;; [unrolled: 2-line block ×9, first 2 shown]
	s_waitcnt vmcnt(30)
	v_wmma_f32_16x16x16_bf16 v[129:136], v[17:24], v[178:185], v[129:136]
	s_clause 0x5
	global_load_b128 v[49:52], v[222:223], off
	global_load_b128 v[53:56], v[222:223], off offset:16
	global_load_b128 v[41:44], v[224:225], off
	global_load_b128 v[45:48], v[224:225], off offset:16
	;; [unrolled: 2-line block ×3, first 2 shown]
	s_waitcnt lgkmcnt(0)
	s_mul_hi_i32 s7, s3, s17
	s_mul_i32 s6, s3, s17
	s_waitcnt vmcnt(34)
	v_wmma_f32_16x16x16_bf16 v[137:144], v[1:8], v[202:209], v[137:144]
	s_clause 0x1
	global_load_b128 v[1:4], v[33:34], off
	global_load_b128 v[5:8], v[33:34], off offset:16
	v_add_co_u32 v33, vcc_lo, v228, s4
	v_add_co_ci_u32_e32 v34, vcc_lo, s5, v229, vcc_lo
	s_lshl_b64 s[4:5], s[6:7], 1
	s_mul_hi_i32 s7, s15, s17
	s_mul_i32 s6, s15, s17
	v_add_co_u32 v37, vcc_lo, v228, s4
	v_add_co_ci_u32_e32 v38, vcc_lo, s5, v229, vcc_lo
	s_lshl_b64 s[4:5], s[6:7], 1
	s_waitcnt vmcnt(34)
	v_wmma_f32_16x16x16_bf16 v[129:136], v[25:32], v[202:209], v[129:136]
	v_add_co_u32 v162, vcc_lo, v228, s4
	v_add_co_ci_u32_e32 v163, vcc_lo, s5, v229, vcc_lo
	s_clause 0x3
	global_load_b128 v[25:28], v[33:34], off
	global_load_b128 v[29:32], v[33:34], off offset:16
	global_load_b128 v[33:36], v[37:38], off
	global_load_b128 v[37:40], v[37:38], off offset:16
	s_waitcnt vmcnt(36)
	v_wmma_f32_16x16x16_bf16 v[137:144], v[9:16], v[210:217], v[137:144]
	s_clause 0x1
	global_load_b128 v[9:12], v[162:163], off
	global_load_b128 v[13:16], v[162:163], off offset:16
	s_waitcnt vmcnt(36)
	v_wmma_f32_16x16x16_bf16 v[129:136], v[154:161], v[210:217], v[129:136]
	ds_load_b128 v[154:157], v153 offset:14336
	ds_load_b128 v[158:161], v153 offset:15360
	v_and_b32_e32 v162, 0xe0, v0
	v_mbcnt_lo_u32_b32 v163, -1, 0
	s_waitcnt vmcnt(0) lgkmcnt(0)
	s_barrier
	buffer_gl0_inv
	v_add_nc_u32_e32 v162, s34, v162
	v_xor_b32_e32 v153, 16, v163
	s_delay_alu instid0(VALU_DEP_2) | instskip(NEXT) | instid1(VALU_DEP_2)
	v_or_b32_e32 v162, v162, v149
	v_cmp_gt_i32_e32 vcc_lo, 32, v153
	s_delay_alu instid0(VALU_DEP_2)
	v_or_b32_e32 v164, 4, v162
	v_or_b32_e32 v165, 6, v162
	;; [unrolled: 1-line block ×4, first 2 shown]
	v_wmma_f32_16x16x16_bf16 v[137:144], v[186:193], v[154:161], v[137:144]
	v_wmma_f32_16x16x16_bf16 v[129:136], v[194:201], v[154:161], v[129:136]
	v_cndmask_b32_e32 v153, v163, v153, vcc_lo
	v_or_b32_e32 v163, 2, v162
	v_cmp_gt_i32_e32 vcc_lo, s33, v162
	v_mul_f32_e32 v160, s35, v138
	v_dual_mul_f32 v178, s35, v136 :: v_dual_mul_f32 v161, s35, v137
	s_delay_alu instid0(VALU_DEP_4) | instskip(SKIP_2) | instid1(VALU_DEP_4)
	v_cmp_gt_i32_e64 s3, s33, v163
	v_dual_mul_f32 v158, s35, v140 :: v_dual_mul_f32 v159, s35, v139
	v_mul_f32_e32 v184, s35, v130
	v_cndmask_b32_e32 v161, 0xff7fffff, v161, vcc_lo
	s_delay_alu instid0(VALU_DEP_4)
	v_cndmask_b32_e64 v160, 0xff7fffff, v160, s3
	v_cmp_gt_i32_e64 s4, s33, v164
	v_cmp_gt_i32_e64 s5, s33, v165
	v_or_b32_e32 v168, 12, v162
	v_or_b32_e32 v169, 14, v162
	v_dual_mul_f32 v156, s35, v142 :: v_dual_mul_f32 v157, s35, v141
	v_mul_f32_e32 v182, s35, v132
	v_cndmask_b32_e64 v159, 0xff7fffff, v159, s4
	v_cndmask_b32_e64 v158, 0xff7fffff, v158, s5
	v_max3_f32 v160, v161, 0xff7fffff, v160
	v_cmp_gt_i32_e64 s6, s33, v166
	v_cmp_gt_i32_e64 s7, s33, v167
	v_or_b32_e32 v170, 16, v162
	v_or_b32_e32 v171, 18, v162
	v_dual_mul_f32 v154, s35, v144 :: v_dual_mul_f32 v155, s35, v143
	v_mul_f32_e32 v180, s35, v134
	v_cndmask_b32_e64 v157, 0xff7fffff, v157, s6
	v_cndmask_b32_e64 v156, 0xff7fffff, v156, s7
	v_max3_f32 v158, v160, v159, v158
	v_cmp_gt_i32_e64 s8, s33, v168
	v_cmp_gt_i32_e64 s9, s33, v169
	v_or_b32_e32 v172, 20, v162
	v_or_b32_e32 v173, 22, v162
	v_mul_f32_e32 v185, s35, v129
	v_cndmask_b32_e64 v155, 0xff7fffff, v155, s8
	v_cndmask_b32_e64 v154, 0xff7fffff, v154, s9
	v_max3_f32 v156, v158, v157, v156
	v_cmp_gt_i32_e64 s10, s33, v170
	v_cmp_gt_i32_e64 s11, s33, v171
	v_or_b32_e32 v174, 24, v162
	v_or_b32_e32 v175, 26, v162
	;; [unrolled: 8-line block ×3, first 2 shown]
	v_mul_f32_e32 v181, s35, v133
	v_cndmask_b32_e64 v155, 0xff7fffff, v183, s12
	v_cndmask_b32_e64 v156, 0xff7fffff, v182, s13
	v_max3_f32 v154, v154, v157, v158
	v_cmp_gt_i32_e64 s15, s33, v174
	v_cmp_gt_i32_e64 s16, s33, v175
	v_mul_f32_e32 v179, s35, v135
	v_cmp_gt_i32_e64 s17, s33, v176
	v_max3_f32 v154, v154, v155, v156
	v_cndmask_b32_e64 v157, 0xff7fffff, v181, s15
	v_cndmask_b32_e64 v158, 0xff7fffff, v180, s16
	v_cmp_gt_i32_e64 s18, s33, v177
	v_cndmask_b32_e64 v155, 0xff7fffff, v179, s17
	s_delay_alu instid0(VALU_DEP_3) | instskip(NEXT) | instid1(VALU_DEP_3)
	v_max3_f32 v154, v154, v157, v158
	v_cndmask_b32_e64 v156, 0xff7fffff, v178, s18
	v_lshlrev_b32_e32 v157, 2, v153
	s_delay_alu instid0(VALU_DEP_2) | instskip(SKIP_3) | instid1(VALU_DEP_1)
	v_max3_f32 v153, v154, v155, v156
	ds_bpermute_b32 v154, v157, v153
	s_waitcnt lgkmcnt(0)
	v_max_f32_e32 v154, v154, v154
	v_max_f32_e32 v156, v153, v154
	s_delay_alu instid0(VALU_DEP_1) | instskip(SKIP_4) | instid1(VALU_DEP_4)
	v_fma_f32 v137, s35, v137, -v156
	v_fma_f32 v138, s35, v138, -v156
	;; [unrolled: 1-line block ×5, first 2 shown]
	v_dual_mul_f32 v137, 0x3fb8aa3b, v137 :: v_dual_mul_f32 v138, 0x3fb8aa3b, v138
	s_delay_alu instid0(VALU_DEP_4) | instskip(SKIP_2) | instid1(VALU_DEP_4)
	v_mul_f32_e32 v132, 0x3fb8aa3b, v132
	v_fma_f32 v141, s35, v141, -v156
	v_fma_f32 v134, s35, v134, -v156
	v_exp_f32_e32 v137, v137
	v_exp_f32_e32 v138, v138
	v_mul_f32_e32 v153, 0x3fb8aa3b, v140
	v_fma_f32 v143, s35, v143, -v156
	v_mul_f32_e32 v134, 0x3fb8aa3b, v134
	v_fma_f32 v129, s35, v129, -v156
	v_fma_f32 v130, s35, v130, -v156
	v_exp_f32_e32 v153, v153
	v_mul_f32_e32 v143, 0x3fb8aa3b, v143
	v_fma_f32 v131, s35, v131, -v156
	v_cndmask_b32_e32 v140, 0, v137, vcc_lo
	v_fma_f32 v137, s35, v142, -v156
	v_mul_f32_e32 v142, 0x3fb8aa3b, v141
	v_cndmask_b32_e64 v141, 0, v138, s3
	v_exp_f32_e32 v143, v143
	v_dual_add_f32 v138, 0, v140 :: v_dual_mul_f32 v139, 0x3fb8aa3b, v139
	v_mul_f32_e32 v137, 0x3fb8aa3b, v137
	v_exp_f32_e32 v154, v142
	v_mul_f32_e32 v129, 0x3fb8aa3b, v129
	s_delay_alu instid0(VALU_DEP_3)
	v_add_f32_e32 v138, v138, v141
	v_exp_f32_e32 v139, v139
	v_exp_f32_e32 v137, v137
	v_mul_f32_e32 v130, 0x3fb8aa3b, v130
	v_exp_f32_e32 v129, v129
	v_cndmask_b32_e64 v143, 0, v143, s8
	v_mul_f32_e32 v131, 0x3fb8aa3b, v131
	v_fma_f32 v133, s35, v133, -v156
	v_exp_f32_e32 v130, v130
	v_fma_f32 v136, s35, v136, -v156
	s_mov_b32 s3, exec_lo
	v_cndmask_b32_e64 v142, 0, v139, s4
	v_fma_f32 v139, s35, v144, -v156
	v_cndmask_b32_e64 v144, 0, v153, s5
	v_cndmask_b32_e64 v153, 0, v154, s6
	;; [unrolled: 1-line block ×3, first 2 shown]
	s_delay_alu instid0(VALU_DEP_4) | instskip(NEXT) | instid1(VALU_DEP_1)
	v_dual_add_f32 v138, v138, v142 :: v_dual_mul_f32 v139, 0x3fb8aa3b, v139
	v_dual_mul_f32 v133, 0x3fb8aa3b, v133 :: v_dual_add_f32 v138, v138, v144
	s_delay_alu instid0(VALU_DEP_2) | instskip(NEXT) | instid1(VALU_DEP_1)
	v_exp_f32_e32 v139, v139
	v_add_f32_e32 v137, v138, v153
	v_exp_f32_e32 v138, v131
	v_cndmask_b32_e64 v131, 0, v129, s10
	s_delay_alu instid0(VALU_DEP_2) | instskip(SKIP_3) | instid1(VALU_DEP_1)
	v_add_f32_e32 v137, v137, v154
	s_waitcnt_depctr 0xfff
	v_cndmask_b32_e64 v155, 0, v139, s9
	v_add_f32_e32 v137, v137, v143
	v_add_f32_e32 v129, v137, v155
	v_exp_f32_e32 v137, v132
	v_cndmask_b32_e64 v132, 0, v130, s11
	v_fma_f32 v130, s35, v135, -v156
	v_exp_f32_e32 v135, v133
	v_add_f32_e32 v129, v129, v131
	v_cndmask_b32_e64 v133, 0, v138, s12
	v_exp_f32_e32 v138, v134
	s_delay_alu instid0(VALU_DEP_2) | instskip(NEXT) | instid1(TRANS32_DEP_3)
	v_dual_mul_f32 v130, 0x3fb8aa3b, v130 :: v_dual_add_f32 v129, v129, v132
	v_cndmask_b32_e64 v134, 0, v137, s13
	v_mul_f32_e32 v137, 0x3fb8aa3b, v136
	s_delay_alu instid0(VALU_DEP_3) | instskip(NEXT) | instid1(TRANS32_DEP_3)
	v_exp_f32_e32 v130, v130
	v_cndmask_b32_e64 v135, 0, v135, s15
	v_add_f32_e32 v129, v129, v133
	s_delay_alu instid0(TRANS32_DEP_2) | instskip(SKIP_1) | instid1(VALU_DEP_2)
	v_cndmask_b32_e64 v136, 0, v138, s16
	v_exp_f32_e32 v138, v137
	v_add_f32_e32 v129, v129, v134
	s_waitcnt_depctr 0xfff
	v_cndmask_b32_e64 v137, 0, v130, s17
	v_add_f32_e32 v129, v129, v135
	v_cndmask_b32_e64 v138, 0, v138, s18
	s_delay_alu instid0(VALU_DEP_2) | instskip(NEXT) | instid1(VALU_DEP_1)
	v_add_f32_e32 v129, v129, v136
	v_add_f32_e32 v129, v129, v137
	s_delay_alu instid0(VALU_DEP_1)
	v_add_f32_e32 v129, v129, v138
	ds_bpermute_b32 v130, v157, v129
	v_cmpx_gt_u32_e32 16, v151
	s_cbranch_execz .LBB603_12
; %bb.11:
	v_mul_u32_u24_e32 v139, 0x44, v152
	s_delay_alu instid0(VALU_DEP_1) | instskip(SKIP_1) | instid1(VALU_DEP_1)
	v_lshl_add_u32 v139, v150, 2, v139
	s_waitcnt lgkmcnt(0)
	v_dual_add_f32 v129, v129, v130 :: v_dual_add_nc_u32 v130, 0x4000, v139
	ds_store_2addr_b32 v130, v156, v129 offset1:136
.LBB603_12:
	s_or_b32 exec_lo, exec_lo, s3
	v_lshlrev_b32_e32 v129, 2, v150
	s_waitcnt lgkmcnt(0)
	s_barrier
	buffer_gl0_inv
	v_cmp_eq_u32_e32 vcc_lo, 1, v152
	v_add_nc_u32_e32 v139, 0x4000, v129
	v_cmp_eq_u32_e64 s3, 2, v152
	v_cmp_eq_u32_e64 s5, 7, v152
	ds_load_2addr_b32 v[156:157], v139 offset1:17
	ds_load_2addr_b32 v[158:159], v139 offset0:34 offset1:51
	ds_load_2addr_b32 v[160:161], v139 offset0:68 offset1:85
	;; [unrolled: 1-line block ×4, first 2 shown]
	s_waitcnt lgkmcnt(4)
	v_max3_f32 v129, v156, 0xff7fffff, v157
	s_waitcnt lgkmcnt(3)
	s_delay_alu instid0(VALU_DEP_1) | instskip(SKIP_1) | instid1(VALU_DEP_1)
	v_max3_f32 v129, v129, v158, v159
	s_waitcnt lgkmcnt(2)
	v_max3_f32 v129, v129, v160, v161
	s_waitcnt lgkmcnt(1)
	s_delay_alu instid0(VALU_DEP_1) | instskip(NEXT) | instid1(VALU_DEP_1)
	v_max3_f32 v129, v129, v162, v163
	v_sub_f32_e32 v151, v157, v129
	v_sub_f32_e32 v130, v156, v129
	ds_load_2addr_b32 v[156:157], v139 offset0:170 offset1:187
	v_sub_f32_e32 v160, v160, v129
	v_dual_sub_f32 v158, v158, v129 :: v_dual_mul_f32 v151, 0x3fb8aa3b, v151
	s_delay_alu instid0(VALU_DEP_2) | instskip(NEXT) | instid1(VALU_DEP_2)
	v_dual_mul_f32 v130, 0x3fb8aa3b, v130 :: v_dual_mul_f32 v169, 0x3fb8aa3b, v160
	v_mul_f32_e32 v167, 0x3fb8aa3b, v158
	s_delay_alu instid0(VALU_DEP_3) | instskip(NEXT) | instid1(VALU_DEP_2)
	v_exp_f32_e32 v151, v151
	v_exp_f32_e32 v166, v130
	v_sub_f32_e32 v130, v159, v129
	s_delay_alu instid0(VALU_DEP_2) | instskip(NEXT) | instid1(VALU_DEP_1)
	v_exp_f32_e32 v167, v167
	v_mul_f32_e32 v168, 0x3fb8aa3b, v130
	s_waitcnt lgkmcnt(1)
	s_waitcnt_depctr 0xfff
	v_fma_f32 v130, v166, v164, 0
	v_sub_f32_e32 v164, v161, v129
	s_delay_alu instid0(VALU_DEP_2) | instskip(SKIP_2) | instid1(VALU_DEP_2)
	v_dual_fmac_f32 v130, v151, v165 :: v_dual_cndmask_b32 v151, v166, v151
	v_cmp_eq_u32_e32 vcc_lo, 3, v152
	s_waitcnt lgkmcnt(0)
	v_fmac_f32_e32 v130, v167, v156
	ds_load_2addr_b32 v[158:159], v139 offset0:204 offset1:221
	ds_load_2addr_b32 v[160:161], v139 offset0:238 offset1:255
	v_sub_f32_e32 v139, v162, v129
	v_exp_f32_e32 v168, v168
	v_sub_f32_e32 v156, v163, v129
	v_mul_f32_e32 v162, 0x3fb8aa3b, v164
	v_exp_f32_e32 v164, v169
	v_cndmask_b32_e64 v151, v151, v167, s3
	v_mul_f32_e32 v139, 0x3fb8aa3b, v139
	v_cmp_eq_u32_e64 s3, 4, v152
	v_exp_f32_e32 v162, v162
	s_waitcnt lgkmcnt(0)
	s_barrier
	v_dual_fmac_f32 v130, v168, v157 :: v_dual_cndmask_b32 v151, v151, v168
	v_exp_f32_e32 v139, v139
	v_cmp_eq_u32_e32 vcc_lo, 5, v152
	buffer_gl0_inv
	v_cndmask_b32_e64 v151, v151, v164, s3
	v_mul_f32_e32 v156, 0x3fb8aa3b, v156
	v_fmac_f32_e32 v130, v164, v158
	v_cmp_eq_u32_e64 s3, 6, v152
	s_delay_alu instid0(VALU_DEP_4) | instskip(NEXT) | instid1(VALU_DEP_4)
	v_cndmask_b32_e32 v151, v151, v162, vcc_lo
	v_exp_f32_e32 v156, v156
	s_delay_alu instid0(VALU_DEP_3) | instskip(NEXT) | instid1(VALU_DEP_1)
	v_fmac_f32_e32 v130, v162, v159
	v_fmac_f32_e32 v130, v139, v160
	s_delay_alu instid0(VALU_DEP_3) | instskip(SKIP_4) | instid1(VALU_DEP_2)
	v_cndmask_b32_e64 v139, v151, v139, s3
	s_mov_b32 s3, exec_lo
	s_waitcnt_depctr 0xfff
	v_fmac_f32_e32 v130, v156, v161
	v_cndmask_b32_e64 v139, v139, v156, s5
	v_add_f32_e32 v157, 0x358637bd, v130
	s_delay_alu instid0(VALU_DEP_1) | instskip(SKIP_1) | instid1(VALU_DEP_1)
	v_div_scale_f32 v158, null, v157, v157, 1.0
	v_div_scale_f32 v161, s4, 1.0, v157, 1.0
	s_mov_b32 vcc_lo, s4
	s_delay_alu instid0(VALU_DEP_2) | instskip(SKIP_2) | instid1(VALU_DEP_1)
	v_rcp_f32_e32 v159, v158
	s_waitcnt_depctr 0xfff
	v_fma_f32 v160, -v158, v159, 1.0
	v_fmac_f32_e32 v159, v160, v159
	s_delay_alu instid0(VALU_DEP_1) | instskip(NEXT) | instid1(VALU_DEP_1)
	v_mul_f32_e32 v160, v161, v159
	v_fma_f32 v163, -v158, v160, v161
	s_delay_alu instid0(VALU_DEP_1) | instskip(NEXT) | instid1(VALU_DEP_1)
	v_fmac_f32_e32 v160, v163, v159
	v_fma_f32 v158, -v158, v160, v161
	s_delay_alu instid0(VALU_DEP_1) | instskip(NEXT) | instid1(VALU_DEP_1)
	v_div_fmas_f32 v158, v158, v159, v160
	v_div_fixup_f32 v151, v158, v157, 1.0
	s_delay_alu instid0(VALU_DEP_1) | instskip(NEXT) | instid1(VALU_DEP_1)
	v_mul_f32_e32 v139, v139, v151
	v_mul_f32_e32 v156, v139, v140
	;; [unrolled: 1-line block ×5, first 2 shown]
	s_delay_alu instid0(VALU_DEP_4) | instskip(SKIP_3) | instid1(VALU_DEP_4)
	v_dual_mul_f32 v154, v139, v153 :: v_dual_and_b32 v157, 0x7f800000, v156
	v_mul_f32_e32 v155, v139, v144
	v_mul_f32_e32 v153, v139, v142
	;; [unrolled: 1-line block ×3, first 2 shown]
                                        ; implicit-def: $vgpr141
	v_cmpx_ne_u32_e32 0x7f800000, v157
	s_xor_b32 s3, exec_lo, s3
; %bb.13:
	v_bfe_u32 v141, v156, 16, 1
	s_delay_alu instid0(VALU_DEP_1)
	v_add3_u32 v141, v156, v141, 0x7fff
                                        ; implicit-def: $vgpr156
; %bb.14:
	s_and_not1_saveexec_b32 s3, s3
; %bb.15:
	v_and_b32_e32 v141, 0xffff, v156
	v_or_b32_e32 v142, 0x10000, v156
	s_delay_alu instid0(VALU_DEP_2) | instskip(NEXT) | instid1(VALU_DEP_2)
	v_cmp_eq_u32_e32 vcc_lo, 0, v141
	v_cndmask_b32_e32 v141, v142, v156, vcc_lo
; %bb.16:
	s_or_b32 exec_lo, exec_lo, s3
	v_and_b32_e32 v142, 0x7f800000, v144
	s_delay_alu instid0(VALU_DEP_1) | instskip(SKIP_1) | instid1(SALU_CYCLE_1)
	v_cmp_ne_u32_e32 vcc_lo, 0x7f800000, v142
                                        ; implicit-def: $vgpr142
	s_and_saveexec_b32 s3, vcc_lo
	s_xor_b32 s3, exec_lo, s3
; %bb.17:
	v_bfe_u32 v142, v144, 16, 1
	s_delay_alu instid0(VALU_DEP_1)
	v_add3_u32 v142, v144, v142, 0x7fff
                                        ; implicit-def: $vgpr144
; %bb.18:
	s_and_not1_saveexec_b32 s3, s3
; %bb.19:
	v_and_b32_e32 v142, 0xffff, v144
	v_or_b32_e32 v156, 0x10000, v144
	s_delay_alu instid0(VALU_DEP_2) | instskip(NEXT) | instid1(VALU_DEP_2)
	v_cmp_eq_u32_e32 vcc_lo, 0, v142
	v_cndmask_b32_e32 v142, v156, v144, vcc_lo
; %bb.20:
	s_or_b32 exec_lo, exec_lo, s3
	v_and_b32_e32 v144, 0x7f800000, v153
	s_delay_alu instid0(VALU_DEP_1) | instskip(SKIP_1) | instid1(SALU_CYCLE_1)
	v_cmp_ne_u32_e32 vcc_lo, 0x7f800000, v144
                                        ; implicit-def: $vgpr144
	s_and_saveexec_b32 s3, vcc_lo
	s_xor_b32 s3, exec_lo, s3
; %bb.21:
	v_bfe_u32 v144, v153, 16, 1
	s_delay_alu instid0(VALU_DEP_1)
	v_add3_u32 v144, v153, v144, 0x7fff
                                        ; implicit-def: $vgpr153
; %bb.22:
	s_and_not1_saveexec_b32 s3, s3
; %bb.23:
	v_and_b32_e32 v144, 0xffff, v153
	v_or_b32_e32 v156, 0x10000, v153
	s_delay_alu instid0(VALU_DEP_2) | instskip(NEXT) | instid1(VALU_DEP_2)
	v_cmp_eq_u32_e32 vcc_lo, 0, v144
	v_cndmask_b32_e32 v144, v156, v153, vcc_lo
; %bb.24:
	s_or_b32 exec_lo, exec_lo, s3
	v_and_b32_e32 v153, 0x7f800000, v155
	s_delay_alu instid0(VALU_DEP_1) | instskip(SKIP_1) | instid1(SALU_CYCLE_1)
	v_cmp_ne_u32_e32 vcc_lo, 0x7f800000, v153
                                        ; implicit-def: $vgpr153
	s_and_saveexec_b32 s3, vcc_lo
	s_xor_b32 s3, exec_lo, s3
; %bb.25:
	v_bfe_u32 v153, v155, 16, 1
	s_delay_alu instid0(VALU_DEP_1)
	v_add3_u32 v153, v155, v153, 0x7fff
                                        ; implicit-def: $vgpr155
; %bb.26:
	s_and_not1_saveexec_b32 s3, s3
; %bb.27:
	v_and_b32_e32 v153, 0xffff, v155
	v_or_b32_e32 v156, 0x10000, v155
	s_delay_alu instid0(VALU_DEP_2) | instskip(NEXT) | instid1(VALU_DEP_2)
	v_cmp_eq_u32_e32 vcc_lo, 0, v153
	v_cndmask_b32_e32 v153, v156, v155, vcc_lo
; %bb.28:
	s_or_b32 exec_lo, exec_lo, s3
	v_and_b32_e32 v155, 0x7f800000, v154
	s_delay_alu instid0(VALU_DEP_1) | instskip(SKIP_1) | instid1(SALU_CYCLE_1)
	v_cmp_ne_u32_e32 vcc_lo, 0x7f800000, v155
                                        ; implicit-def: $vgpr155
	s_and_saveexec_b32 s3, vcc_lo
	s_xor_b32 s3, exec_lo, s3
; %bb.29:
	v_bfe_u32 v155, v154, 16, 1
	s_delay_alu instid0(VALU_DEP_1)
	v_add3_u32 v155, v154, v155, 0x7fff
                                        ; implicit-def: $vgpr154
; %bb.30:
	s_and_not1_saveexec_b32 s3, s3
; %bb.31:
	v_and_b32_e32 v155, 0xffff, v154
	v_or_b32_e32 v156, 0x10000, v154
	s_delay_alu instid0(VALU_DEP_2) | instskip(NEXT) | instid1(VALU_DEP_2)
	v_cmp_eq_u32_e32 vcc_lo, 0, v155
	v_cndmask_b32_e32 v155, v156, v154, vcc_lo
; %bb.32:
	s_or_b32 exec_lo, exec_lo, s3
	v_and_b32_e32 v154, 0x7f800000, v151
	s_delay_alu instid0(VALU_DEP_1) | instskip(SKIP_1) | instid1(SALU_CYCLE_1)
	v_cmp_ne_u32_e32 vcc_lo, 0x7f800000, v154
                                        ; implicit-def: $vgpr154
	s_and_saveexec_b32 s3, vcc_lo
	s_xor_b32 s3, exec_lo, s3
; %bb.33:
	v_bfe_u32 v154, v151, 16, 1
	s_delay_alu instid0(VALU_DEP_1)
	v_add3_u32 v154, v151, v154, 0x7fff
                                        ; implicit-def: $vgpr151
; %bb.34:
	s_and_not1_saveexec_b32 s3, s3
; %bb.35:
	v_and_b32_e32 v154, 0xffff, v151
	v_or_b32_e32 v156, 0x10000, v151
	s_delay_alu instid0(VALU_DEP_2) | instskip(NEXT) | instid1(VALU_DEP_2)
	v_cmp_eq_u32_e32 vcc_lo, 0, v154
	v_cndmask_b32_e32 v154, v156, v151, vcc_lo
; %bb.36:
	s_or_b32 exec_lo, exec_lo, s3
	v_and_b32_e32 v151, 0x7f800000, v143
	s_delay_alu instid0(VALU_DEP_1) | instskip(SKIP_1) | instid1(SALU_CYCLE_1)
	v_cmp_ne_u32_e32 vcc_lo, 0x7f800000, v151
                                        ; implicit-def: $vgpr151
	s_and_saveexec_b32 s3, vcc_lo
	s_xor_b32 s3, exec_lo, s3
; %bb.37:
	v_bfe_u32 v151, v143, 16, 1
	s_delay_alu instid0(VALU_DEP_1)
	v_add3_u32 v151, v143, v151, 0x7fff
                                        ; implicit-def: $vgpr143
; %bb.38:
	s_and_not1_saveexec_b32 s3, s3
; %bb.39:
	v_and_b32_e32 v151, 0xffff, v143
	v_or_b32_e32 v156, 0x10000, v143
	s_delay_alu instid0(VALU_DEP_2) | instskip(NEXT) | instid1(VALU_DEP_2)
	v_cmp_eq_u32_e32 vcc_lo, 0, v151
	v_cndmask_b32_e32 v151, v156, v143, vcc_lo
; %bb.40:
	s_or_b32 exec_lo, exec_lo, s3
	v_and_b32_e32 v143, 0x7f800000, v140
	s_delay_alu instid0(VALU_DEP_1) | instskip(SKIP_1) | instid1(SALU_CYCLE_1)
	v_cmp_ne_u32_e32 vcc_lo, 0x7f800000, v143
                                        ; implicit-def: $vgpr143
	s_and_saveexec_b32 s3, vcc_lo
	s_xor_b32 s3, exec_lo, s3
; %bb.41:
	v_bfe_u32 v143, v140, 16, 1
	s_delay_alu instid0(VALU_DEP_1)
	v_add3_u32 v143, v140, v143, 0x7fff
                                        ; implicit-def: $vgpr140
; %bb.42:
	s_and_not1_saveexec_b32 s3, s3
; %bb.43:
	v_and_b32_e32 v143, 0xffff, v140
	v_or_b32_e32 v156, 0x10000, v140
	s_delay_alu instid0(VALU_DEP_2) | instskip(NEXT) | instid1(VALU_DEP_2)
	v_cmp_eq_u32_e32 vcc_lo, 0, v143
	v_cndmask_b32_e32 v143, v156, v140, vcc_lo
; %bb.44:
	s_or_b32 exec_lo, exec_lo, s3
	s_load_b64 s[34:35], s[0:1], 0x94
	v_dual_mul_f32 v138, v139, v138 :: v_dual_lshlrev_b32 v157, 4, v149
	s_delay_alu instid0(VALU_DEP_2)
	v_perm_b32 v156, v143, v151, 0x7060302
	v_dual_mul_f32 v143, v139, v131 :: v_dual_lshlrev_b32 v140, 6, v150
	v_dual_mul_f32 v137, v139, v137 :: v_dual_lshlrev_b32 v150, 11, v152
	v_perm_b32 v155, v154, v155, 0x7060302
	v_perm_b32 v154, v153, v144, 0x7060302
	;; [unrolled: 1-line block ×3, first 2 shown]
	s_delay_alu instid0(VALU_DEP_4)
	v_or3_b32 v131, v157, v150, v140
	v_mul_f32_e32 v136, v139, v136
	v_dual_mul_f32 v141, v139, v134 :: v_dual_and_b32 v144, 0x7f800000, v143
	v_mul_f32_e32 v135, v139, v135
	v_mul_f32_e32 v142, v139, v133
	;; [unrolled: 1-line block ×3, first 2 shown]
	s_mov_b32 s3, exec_lo
	ds_store_b128 v131, v[153:156]
                                        ; implicit-def: $vgpr132
	v_cmpx_ne_u32_e32 0x7f800000, v144
	s_xor_b32 s3, exec_lo, s3
; %bb.45:
	v_bfe_u32 v132, v143, 16, 1
	s_delay_alu instid0(VALU_DEP_1)
	v_add3_u32 v132, v143, v132, 0x7fff
                                        ; implicit-def: $vgpr143
; %bb.46:
	s_and_not1_saveexec_b32 s3, s3
; %bb.47:
	v_and_b32_e32 v132, 0xffff, v143
	v_or_b32_e32 v133, 0x10000, v143
	s_delay_alu instid0(VALU_DEP_2) | instskip(NEXT) | instid1(VALU_DEP_2)
	v_cmp_eq_u32_e32 vcc_lo, 0, v132
	v_cndmask_b32_e32 v132, v133, v143, vcc_lo
; %bb.48:
	s_or_b32 exec_lo, exec_lo, s3
	v_and_b32_e32 v133, 0x7f800000, v134
	s_delay_alu instid0(VALU_DEP_1) | instskip(SKIP_1) | instid1(SALU_CYCLE_1)
	v_cmp_ne_u32_e32 vcc_lo, 0x7f800000, v133
                                        ; implicit-def: $vgpr133
	s_and_saveexec_b32 s3, vcc_lo
	s_xor_b32 s3, exec_lo, s3
; %bb.49:
	v_bfe_u32 v133, v134, 16, 1
	s_delay_alu instid0(VALU_DEP_1)
	v_add3_u32 v133, v134, v133, 0x7fff
                                        ; implicit-def: $vgpr134
; %bb.50:
	s_and_not1_saveexec_b32 s3, s3
; %bb.51:
	v_and_b32_e32 v133, 0xffff, v134
	v_or_b32_e32 v139, 0x10000, v134
	s_delay_alu instid0(VALU_DEP_2) | instskip(NEXT) | instid1(VALU_DEP_2)
	v_cmp_eq_u32_e32 vcc_lo, 0, v133
	v_cndmask_b32_e32 v133, v139, v134, vcc_lo
; %bb.52:
	s_or_b32 exec_lo, exec_lo, s3
	v_and_b32_e32 v134, 0x7f800000, v142
	s_delay_alu instid0(VALU_DEP_1) | instskip(SKIP_1) | instid1(SALU_CYCLE_1)
	v_cmp_ne_u32_e32 vcc_lo, 0x7f800000, v134
                                        ; implicit-def: $vgpr134
	s_and_saveexec_b32 s3, vcc_lo
	s_xor_b32 s3, exec_lo, s3
; %bb.53:
	v_bfe_u32 v134, v142, 16, 1
	s_delay_alu instid0(VALU_DEP_1)
	v_add3_u32 v134, v142, v134, 0x7fff
                                        ; implicit-def: $vgpr142
; %bb.54:
	s_and_not1_saveexec_b32 s3, s3
; %bb.55:
	v_and_b32_e32 v134, 0xffff, v142
	v_or_b32_e32 v139, 0x10000, v142
	s_delay_alu instid0(VALU_DEP_2) | instskip(NEXT) | instid1(VALU_DEP_2)
	v_cmp_eq_u32_e32 vcc_lo, 0, v134
	v_cndmask_b32_e32 v134, v139, v142, vcc_lo
; %bb.56:
	s_or_b32 exec_lo, exec_lo, s3
	v_and_b32_e32 v139, 0x7f800000, v141
	s_delay_alu instid0(VALU_DEP_1) | instskip(SKIP_1) | instid1(SALU_CYCLE_1)
	v_cmp_ne_u32_e32 vcc_lo, 0x7f800000, v139
                                        ; implicit-def: $vgpr139
	s_and_saveexec_b32 s3, vcc_lo
	s_xor_b32 s3, exec_lo, s3
; %bb.57:
	v_bfe_u32 v139, v141, 16, 1
	s_delay_alu instid0(VALU_DEP_1)
	v_add3_u32 v139, v141, v139, 0x7fff
                                        ; implicit-def: $vgpr141
; %bb.58:
	s_and_not1_saveexec_b32 s3, s3
; %bb.59:
	v_and_b32_e32 v139, 0xffff, v141
	v_or_b32_e32 v142, 0x10000, v141
	s_delay_alu instid0(VALU_DEP_2) | instskip(NEXT) | instid1(VALU_DEP_2)
	v_cmp_eq_u32_e32 vcc_lo, 0, v139
	v_cndmask_b32_e32 v139, v142, v141, vcc_lo
; %bb.60:
	s_or_b32 exec_lo, exec_lo, s3
	v_and_b32_e32 v141, 0x7f800000, v135
	s_delay_alu instid0(VALU_DEP_1) | instskip(SKIP_1) | instid1(SALU_CYCLE_1)
	v_cmp_ne_u32_e32 vcc_lo, 0x7f800000, v141
                                        ; implicit-def: $vgpr141
	s_and_saveexec_b32 s3, vcc_lo
	s_xor_b32 s3, exec_lo, s3
; %bb.61:
	v_bfe_u32 v141, v135, 16, 1
	s_delay_alu instid0(VALU_DEP_1)
	v_add3_u32 v141, v135, v141, 0x7fff
                                        ; implicit-def: $vgpr135
; %bb.62:
	s_and_not1_saveexec_b32 s3, s3
; %bb.63:
	v_and_b32_e32 v141, 0xffff, v135
	v_or_b32_e32 v142, 0x10000, v135
	s_delay_alu instid0(VALU_DEP_2) | instskip(NEXT) | instid1(VALU_DEP_2)
	v_cmp_eq_u32_e32 vcc_lo, 0, v141
	v_cndmask_b32_e32 v141, v142, v135, vcc_lo
; %bb.64:
	s_or_b32 exec_lo, exec_lo, s3
	v_and_b32_e32 v135, 0x7f800000, v136
	s_delay_alu instid0(VALU_DEP_1) | instskip(SKIP_1) | instid1(SALU_CYCLE_1)
	v_cmp_ne_u32_e32 vcc_lo, 0x7f800000, v135
                                        ; implicit-def: $vgpr135
	s_and_saveexec_b32 s3, vcc_lo
	s_xor_b32 s3, exec_lo, s3
; %bb.65:
	v_bfe_u32 v135, v136, 16, 1
	s_delay_alu instid0(VALU_DEP_1)
	v_add3_u32 v135, v136, v135, 0x7fff
                                        ; implicit-def: $vgpr136
; %bb.66:
	s_and_not1_saveexec_b32 s3, s3
; %bb.67:
	v_and_b32_e32 v135, 0xffff, v136
	v_or_b32_e32 v142, 0x10000, v136
	s_delay_alu instid0(VALU_DEP_2) | instskip(NEXT) | instid1(VALU_DEP_2)
	v_cmp_eq_u32_e32 vcc_lo, 0, v135
	v_cndmask_b32_e32 v135, v142, v136, vcc_lo
; %bb.68:
	s_or_b32 exec_lo, exec_lo, s3
	v_and_b32_e32 v136, 0x7f800000, v137
	s_delay_alu instid0(VALU_DEP_1) | instskip(SKIP_1) | instid1(SALU_CYCLE_1)
	v_cmp_ne_u32_e32 vcc_lo, 0x7f800000, v136
                                        ; implicit-def: $vgpr136
	s_and_saveexec_b32 s3, vcc_lo
	s_xor_b32 s3, exec_lo, s3
; %bb.69:
	v_bfe_u32 v136, v137, 16, 1
	s_delay_alu instid0(VALU_DEP_1)
	v_add3_u32 v136, v137, v136, 0x7fff
                                        ; implicit-def: $vgpr137
; %bb.70:
	s_and_not1_saveexec_b32 s3, s3
; %bb.71:
	v_and_b32_e32 v136, 0xffff, v137
	v_or_b32_e32 v142, 0x10000, v137
	s_delay_alu instid0(VALU_DEP_2) | instskip(NEXT) | instid1(VALU_DEP_2)
	v_cmp_eq_u32_e32 vcc_lo, 0, v136
	v_cndmask_b32_e32 v136, v142, v137, vcc_lo
; %bb.72:
	s_or_b32 exec_lo, exec_lo, s3
	v_and_b32_e32 v137, 0x7f800000, v138
	s_delay_alu instid0(VALU_DEP_1) | instskip(SKIP_1) | instid1(SALU_CYCLE_1)
	v_cmp_ne_u32_e32 vcc_lo, 0x7f800000, v137
                                        ; implicit-def: $vgpr137
	s_and_saveexec_b32 s3, vcc_lo
	s_xor_b32 s3, exec_lo, s3
; %bb.73:
	v_bfe_u32 v137, v138, 16, 1
	s_delay_alu instid0(VALU_DEP_1)
	v_add3_u32 v137, v138, v137, 0x7fff
                                        ; implicit-def: $vgpr138
; %bb.74:
	s_and_not1_saveexec_b32 s3, s3
; %bb.75:
	v_and_b32_e32 v137, 0xffff, v138
	v_or_b32_e32 v142, 0x10000, v138
	s_delay_alu instid0(VALU_DEP_2) | instskip(NEXT) | instid1(VALU_DEP_2)
	v_cmp_eq_u32_e32 vcc_lo, 0, v137
	v_cndmask_b32_e32 v137, v142, v138, vcc_lo
; %bb.76:
	s_or_b32 exec_lo, exec_lo, s3
	s_delay_alu instid0(VALU_DEP_1)
	v_perm_b32 v136, v137, v136, 0x7060302
	v_perm_b32 v135, v135, v141, 0x7060302
	v_perm_b32 v134, v139, v134, 0x7060302
	v_perm_b32 v133, v133, v132, 0x7060302
	v_lshl_or_b32 v142, v152, 11, v140
	ds_store_b128 v131, v[133:136] offset:1024
	s_waitcnt lgkmcnt(0)
	s_barrier
	buffer_gl0_inv
	ds_load_b128 v[132:135], v142
	ds_load_b128 v[150:153], v142 offset:16
	s_waitcnt lgkmcnt(1)
	v_lshrrev_b32_e32 v136, 16, v132
	v_lshlrev_b32_e32 v138, 2, v149
	s_waitcnt lgkmcnt(0)
	v_lshrrev_b32_e32 v158, 16, v150
	v_lshrrev_b32_e32 v143, 16, v133
	;; [unrolled: 1-line block ×4, first 2 shown]
	v_cmp_eq_u32_e32 vcc_lo, 1, v138
	v_lshrrev_b32_e32 v164, 16, v152
	v_lshrrev_b32_e32 v162, 16, v135
	;; [unrolled: 1-line block ×3, first 2 shown]
	v_cndmask_b32_e32 v141, v132, v136, vcc_lo
	v_or_b32_e32 v139, 1, v138
	v_cmp_eq_u32_e64 s4, 2, v138
	v_cndmask_b32_e32 v154, v150, v158, vcc_lo
	v_cmp_eq_u32_e64 s7, 3, v138
	v_cmp_eq_u32_e64 s9, 4, v138
	;; [unrolled: 1-line block ×3, first 2 shown]
	v_cndmask_b32_e64 v141, v141, v133, s4
	v_cmp_eq_u32_e64 s6, 2, v139
	v_cndmask_b32_e64 v154, v154, v151, s4
	v_cmp_eq_u32_e64 s8, 3, v139
	v_cndmask_b32_e64 v155, v132, v136, s3
	v_cndmask_b32_e64 v141, v141, v143, s7
	v_or_b32_e32 v137, 2, v138
	v_cndmask_b32_e64 v154, v154, v163, s7
	v_cndmask_b32_e64 v156, v150, v158, s3
	;; [unrolled: 1-line block ×4, first 2 shown]
	v_cmp_eq_u32_e64 s10, 5, v138
	v_cndmask_b32_e64 v154, v154, v152, s9
	v_cmp_eq_u32_e64 s11, 4, v139
	v_cndmask_b32_e64 v155, v155, v143, s8
	;; [unrolled: 2-line block ×3, first 2 shown]
	v_cndmask_b32_e64 v141, v141, v144, s10
	v_cmp_eq_u32_e64 s12, 6, v138
	v_cndmask_b32_e64 v155, v155, v134, s11
	v_cndmask_b32_e64 v154, v154, v164, s10
	v_cmp_eq_u32_e64 s13, 5, v139
	v_cndmask_b32_e64 v157, v132, v136, s5
	v_cndmask_b32_e64 v156, v156, v163, s8
	;; [unrolled: 1-line block ×3, first 2 shown]
	v_cmp_eq_u32_e64 s15, 7, v138
	v_cndmask_b32_e64 v155, v155, v144, s13
	v_cndmask_b32_e64 v154, v154, v153, s12
	v_cmp_eq_u32_e64 s16, 6, v139
	v_cmp_eq_u32_e64 s17, 2, v137
	v_cndmask_b32_e64 v156, v156, v152, s11
	v_cndmask_b32_e64 v166, v141, v162, s15
	;; [unrolled: 1-line block ×6, first 2 shown]
	v_cmp_eq_u32_e64 s18, 7, v139
	v_cmp_eq_u32_e64 s19, 3, v137
	;; [unrolled: 1-line block ×4, first 2 shown]
	v_cndmask_b32_e64 v154, v154, v151, s17
	v_cndmask_b32_e64 v168, v155, v162, s18
	;; [unrolled: 1-line block ×4, first 2 shown]
	v_or_b32_e32 v141, 3, v138
	v_cndmask_b32_e64 v160, v154, v163, s19
	v_cmp_eq_u32_e64 s24, 6, v137
	v_cndmask_b32_e64 v169, v155, v153, s16
	v_cndmask_b32_e64 v159, v156, v134, s20
	v_cmp_eq_u32_e64 s21, 1, v141
	ds_load_b128 v[154:157], v142 offset:1024
	v_cmp_eq_u32_e64 s23, 2, v141
	v_cmp_eq_u32_e64 s25, 3, v141
	v_cndmask_b32_e64 v170, v159, v144, s22
	v_cndmask_b32_e64 v132, v132, v136, s21
	;; [unrolled: 1-line block ×4, first 2 shown]
	ds_load_b128 v[158:161], v142 offset:1040
	v_cmp_eq_u32_e64 s26, 4, v141
	v_cndmask_b32_e64 v132, v132, v133, s23
	v_cndmask_b32_e64 v133, v136, v164, s22
	;; [unrolled: 1-line block ×3, first 2 shown]
	v_cmp_eq_u32_e64 s28, 5, v141
	v_cmp_eq_u32_e64 s27, 7, v137
	v_cndmask_b32_e64 v132, v132, v143, s25
	v_cndmask_b32_e64 v143, v170, v135, s24
	;; [unrolled: 1-line block ×3, first 2 shown]
	v_cmp_eq_u32_e64 s29, 6, v141
	v_cndmask_b32_e64 v133, v133, v153, s24
	v_cndmask_b32_e64 v132, v132, v134, s26
	s_waitcnt lgkmcnt(1)
	v_lshrrev_b32_e32 v151, 16, v154
	v_cndmask_b32_e64 v134, v136, v152, s26
	v_cndmask_b32_e64 v136, v143, v162, s27
	v_lshrrev_b32_e32 v152, 16, v155
	v_cndmask_b32_e64 v132, v132, v144, s28
	v_cndmask_b32_e64 v163, v154, v151, s3
	;; [unrolled: 1-line block ×3, first 2 shown]
	s_waitcnt lgkmcnt(0)
	v_lshrrev_b32_e32 v144, 16, v158
	v_cndmask_b32_e64 v150, v169, v165, s18
	v_cndmask_b32_e64 v132, v132, v135, s29
	v_cndmask_b32_e32 v143, v154, v151, vcc_lo
	v_cndmask_b32_e64 v134, v134, v153, s29
	v_cndmask_b32_e32 v164, v158, v144, vcc_lo
	v_cmp_eq_u32_e32 vcc_lo, 7, v141
	v_cndmask_b32_e64 v133, v133, v165, s27
	s_delay_alu instid0(VALU_DEP_3)
	v_cndmask_b32_e64 v153, v164, v159, s4
	v_cndmask_b32_e32 v132, v132, v162, vcc_lo
	v_cndmask_b32_e64 v143, v143, v155, s4
	v_lshrrev_b32_e32 v164, 16, v156
	v_cndmask_b32_e32 v134, v134, v165, vcc_lo
	v_lshrrev_b32_e32 v165, 16, v160
	s_delay_alu instid0(VALU_DEP_4) | instskip(SKIP_2) | instid1(VALU_DEP_3)
	v_cndmask_b32_e64 v135, v143, v152, s7
	v_cndmask_b32_e64 v143, v163, v155, s6
	v_lshrrev_b32_e32 v163, 16, v159
	v_cndmask_b32_e64 v135, v135, v156, s9
	s_delay_alu instid0(VALU_DEP_3) | instskip(NEXT) | instid1(VALU_DEP_3)
	v_cndmask_b32_e64 v143, v143, v152, s8
	v_cndmask_b32_e64 v153, v153, v163, s7
	s_delay_alu instid0(VALU_DEP_3) | instskip(NEXT) | instid1(VALU_DEP_3)
	v_cndmask_b32_e64 v162, v135, v164, s10
	v_cndmask_b32_e64 v143, v143, v156, s11
	s_delay_alu instid0(VALU_DEP_3)
	v_cndmask_b32_e64 v153, v153, v160, s9
	v_perm_b32 v135, v134, v132, 0x5040100
	v_perm_b32 v134, v133, v136, 0x5040100
	;; [unrolled: 1-line block ×3, first 2 shown]
	v_cndmask_b32_e64 v132, v143, v164, s13
	v_cndmask_b32_e64 v143, v162, v157, s12
	v_lshrrev_b32_e32 v162, 16, v157
	v_cndmask_b32_e64 v153, v153, v165, s10
	v_lshrrev_b32_e32 v150, 16, v161
	v_cndmask_b32_e64 v132, v132, v157, s16
	s_delay_alu instid0(VALU_DEP_4) | instskip(NEXT) | instid1(VALU_DEP_4)
	v_cndmask_b32_e64 v136, v143, v162, s15
	v_cndmask_b32_e64 v143, v153, v161, s12
	;; [unrolled: 1-line block ×3, first 2 shown]
	s_delay_alu instid0(VALU_DEP_4)
	v_cndmask_b32_e64 v168, v132, v162, s18
	v_cndmask_b32_e64 v132, v154, v151, s5
	;; [unrolled: 1-line block ×32, first 2 shown]
	v_cndmask_b32_e32 v151, v151, v162, vcc_lo
	v_cndmask_b32_e32 v152, v152, v150, vcc_lo
	v_cndmask_b32_e64 v155, v153, v150, s27
	v_cndmask_b32_e64 v144, v144, v150, s18
	v_perm_b32 v132, v167, v166, 0x5040100
	v_perm_b32 v150, v143, v136, 0x5040100
	v_perm_b32 v153, v152, v151, 0x5040100
	v_perm_b32 v152, v155, v154, 0x5040100
	v_perm_b32 v151, v144, v168, 0x5040100
	s_lshl_b32 s8, s35, 1
	s_mov_b32 s3, exec_lo
	ds_store_b128 v131, v[132:135]
	ds_store_b128 v131, v[150:153] offset:1024
	v_cmpx_gt_u32_e32 2, v0
	s_cbranch_execz .LBB603_78
; %bb.77:
	v_or_b32_e32 v131, s31, v0
	s_load_b128 s[4:7], s[0:1], 0x58
	s_delay_alu instid0(VALU_DEP_1) | instskip(NEXT) | instid1(VALU_DEP_1)
	v_mad_u64_u32 v[132:133], null, s8, s30, v[131:132]
	v_mad_u64_u32 v[133:134], null, v132, s34, s[14:15]
	s_delay_alu instid0(VALU_DEP_1) | instskip(NEXT) | instid1(VALU_DEP_1)
	v_ashrrev_i32_e32 v134, 31, v133
	v_lshlrev_b64 v[131:132], 2, v[133:134]
	s_waitcnt lgkmcnt(0)
	s_delay_alu instid0(VALU_DEP_1) | instskip(NEXT) | instid1(VALU_DEP_2)
	v_add_co_u32 v133, vcc_lo, s6, v131
	v_add_co_ci_u32_e32 v134, vcc_lo, s7, v132, vcc_lo
	v_add_co_u32 v131, vcc_lo, s4, v131
	v_add_co_ci_u32_e32 v132, vcc_lo, s5, v132, vcc_lo
	global_store_b32 v[133:134], v129, off
	global_store_b32 v[131:132], v130, off
.LBB603_78:
	s_or_b32 exec_lo, exec_lo, s3
	s_waitcnt lgkmcnt(0)
	s_waitcnt_vscnt null, 0x0
	s_barrier
	buffer_gl0_inv
	ds_load_b128 v[150:153], v140
	ds_load_b128 v[154:157], v140 offset:16
	ds_load_b128 v[162:165], v140 offset:1040
	;; [unrolled: 1-line block ×3, first 2 shown]
	v_mov_b32_e32 v129, 0
	ds_load_b128 v[170:173], v140 offset:2064
	ds_load_b128 v[166:169], v140 offset:2048
	;; [unrolled: 1-line block ×6, first 2 shown]
	v_mov_b32_e32 v130, v129
	v_mov_b32_e32 v131, v129
	;; [unrolled: 1-line block ×7, first 2 shown]
	s_waitcnt lgkmcnt(8)
	s_delay_alu instid0(VALU_DEP_1)
	v_wmma_f32_16x16x16_bf16 v[129:136], v[121:128], v[150:157], v[129:136]
	ds_load_b128 v[125:128], v140 offset:5136
	ds_load_b128 v[121:124], v140 offset:5120
	s_waitcnt lgkmcnt(8)
	v_wmma_f32_16x16x16_bf16 v[129:136], v[113:120], v[158:165], v[129:136]
	ds_load_b128 v[117:120], v140 offset:6160
	ds_load_b128 v[113:116], v140 offset:6144
	s_waitcnt lgkmcnt(8)
	;; [unrolled: 4-line block ×8, first 2 shown]
	v_wmma_f32_16x16x16_bf16 v[129:136], v[65:72], v[97:104], v[129:136]
	s_waitcnt lgkmcnt(6)
	s_delay_alu instid0(VALU_DEP_1)
	v_wmma_f32_16x16x16_bf16 v[129:136], v[49:56], v[89:96], v[129:136]
	ds_load_b128 v[53:56], v140 offset:13328
	ds_load_b128 v[49:52], v140 offset:13312
	s_waitcnt lgkmcnt(6)
	v_wmma_f32_16x16x16_bf16 v[129:136], v[41:48], v[81:88], v[129:136]
	ds_load_b128 v[45:48], v140 offset:14352
	ds_load_b128 v[41:44], v140 offset:14336
	s_waitcnt lgkmcnt(6)
	;; [unrolled: 4-line block ×3, first 2 shown]
	v_wmma_f32_16x16x16_bf16 v[129:136], v[1:8], v[57:64], v[129:136]
	s_waitcnt lgkmcnt(4)
	s_delay_alu instid0(VALU_DEP_1) | instskip(SKIP_1) | instid1(VALU_DEP_1)
	v_wmma_f32_16x16x16_bf16 v[129:136], v[25:32], v[49:56], v[129:136]
	s_waitcnt lgkmcnt(2)
	v_wmma_f32_16x16x16_bf16 v[129:136], v[33:40], v[41:48], v[129:136]
	s_waitcnt lgkmcnt(0)
	s_delay_alu instid0(VALU_DEP_1) | instskip(NEXT) | instid1(VALU_DEP_1)
	v_wmma_f32_16x16x16_bf16 v[129:136], v[9:16], v[17:24], v[129:136]
	v_and_b32_e32 v1, 0x7f800000, v129
	s_delay_alu instid0(VALU_DEP_1) | instskip(SKIP_1) | instid1(SALU_CYCLE_1)
	v_cmp_ne_u32_e32 vcc_lo, 0x7f800000, v1
                                        ; implicit-def: $vgpr1
	s_and_saveexec_b32 s3, vcc_lo
	s_xor_b32 s3, exec_lo, s3
; %bb.79:
	v_bfe_u32 v1, v129, 16, 1
	s_delay_alu instid0(VALU_DEP_1)
	v_add3_u32 v1, v129, v1, 0x7fff
; %bb.80:
	s_and_not1_saveexec_b32 s3, s3
; %bb.81:
	v_and_b32_e32 v1, 0xffff, v129
	v_or_b32_e32 v2, 0x10000, v129
	s_delay_alu instid0(VALU_DEP_2) | instskip(NEXT) | instid1(VALU_DEP_2)
	v_cmp_eq_u32_e32 vcc_lo, 0, v1
	v_cndmask_b32_e32 v1, v2, v129, vcc_lo
; %bb.82:
	s_or_b32 exec_lo, exec_lo, s3
	v_and_b32_e32 v2, 0x7f800000, v130
	s_delay_alu instid0(VALU_DEP_1) | instskip(SKIP_1) | instid1(SALU_CYCLE_1)
	v_cmp_ne_u32_e32 vcc_lo, 0x7f800000, v2
                                        ; implicit-def: $vgpr2
	s_and_saveexec_b32 s3, vcc_lo
	s_xor_b32 s3, exec_lo, s3
; %bb.83:
	v_bfe_u32 v2, v130, 16, 1
	s_delay_alu instid0(VALU_DEP_1)
	v_add3_u32 v2, v130, v2, 0x7fff
; %bb.84:
	s_and_not1_saveexec_b32 s3, s3
; %bb.85:
	v_and_b32_e32 v2, 0xffff, v130
	v_or_b32_e32 v3, 0x10000, v130
	s_delay_alu instid0(VALU_DEP_2) | instskip(NEXT) | instid1(VALU_DEP_2)
	v_cmp_eq_u32_e32 vcc_lo, 0, v2
	v_cndmask_b32_e32 v2, v3, v130, vcc_lo
; %bb.86:
	s_or_b32 exec_lo, exec_lo, s3
	v_and_b32_e32 v3, 0x7f800000, v131
	s_delay_alu instid0(VALU_DEP_1) | instskip(SKIP_1) | instid1(SALU_CYCLE_1)
	v_cmp_ne_u32_e32 vcc_lo, 0x7f800000, v3
                                        ; implicit-def: $vgpr3
	s_and_saveexec_b32 s3, vcc_lo
	s_xor_b32 s3, exec_lo, s3
; %bb.87:
	v_bfe_u32 v3, v131, 16, 1
	s_delay_alu instid0(VALU_DEP_1)
	v_add3_u32 v3, v131, v3, 0x7fff
; %bb.88:
	s_and_not1_saveexec_b32 s3, s3
; %bb.89:
	v_and_b32_e32 v3, 0xffff, v131
	v_or_b32_e32 v4, 0x10000, v131
	s_delay_alu instid0(VALU_DEP_2) | instskip(NEXT) | instid1(VALU_DEP_2)
	v_cmp_eq_u32_e32 vcc_lo, 0, v3
	v_cndmask_b32_e32 v3, v4, v131, vcc_lo
; %bb.90:
	s_or_b32 exec_lo, exec_lo, s3
	v_and_b32_e32 v4, 0x7f800000, v132
	s_delay_alu instid0(VALU_DEP_1) | instskip(SKIP_1) | instid1(SALU_CYCLE_1)
	v_cmp_ne_u32_e32 vcc_lo, 0x7f800000, v4
                                        ; implicit-def: $vgpr4
	s_and_saveexec_b32 s3, vcc_lo
	s_xor_b32 s3, exec_lo, s3
; %bb.91:
	v_bfe_u32 v4, v132, 16, 1
	s_delay_alu instid0(VALU_DEP_1)
	v_add3_u32 v4, v132, v4, 0x7fff
; %bb.92:
	s_and_not1_saveexec_b32 s3, s3
; %bb.93:
	v_and_b32_e32 v4, 0xffff, v132
	v_or_b32_e32 v5, 0x10000, v132
	s_delay_alu instid0(VALU_DEP_2) | instskip(NEXT) | instid1(VALU_DEP_2)
	v_cmp_eq_u32_e32 vcc_lo, 0, v4
	v_cndmask_b32_e32 v4, v5, v132, vcc_lo
; %bb.94:
	s_or_b32 exec_lo, exec_lo, s3
	v_and_b32_e32 v5, 0x7f800000, v133
	s_delay_alu instid0(VALU_DEP_1) | instskip(SKIP_1) | instid1(SALU_CYCLE_1)
	v_cmp_ne_u32_e32 vcc_lo, 0x7f800000, v5
                                        ; implicit-def: $vgpr5
	s_and_saveexec_b32 s3, vcc_lo
	s_xor_b32 s3, exec_lo, s3
; %bb.95:
	v_bfe_u32 v5, v133, 16, 1
	s_delay_alu instid0(VALU_DEP_1)
	v_add3_u32 v5, v133, v5, 0x7fff
; %bb.96:
	s_and_not1_saveexec_b32 s3, s3
; %bb.97:
	v_and_b32_e32 v5, 0xffff, v133
	v_or_b32_e32 v6, 0x10000, v133
	s_delay_alu instid0(VALU_DEP_2) | instskip(NEXT) | instid1(VALU_DEP_2)
	v_cmp_eq_u32_e32 vcc_lo, 0, v5
	v_cndmask_b32_e32 v5, v6, v133, vcc_lo
; %bb.98:
	s_or_b32 exec_lo, exec_lo, s3
	v_and_b32_e32 v6, 0x7f800000, v134
	s_delay_alu instid0(VALU_DEP_1) | instskip(SKIP_1) | instid1(SALU_CYCLE_1)
	v_cmp_ne_u32_e32 vcc_lo, 0x7f800000, v6
                                        ; implicit-def: $vgpr6
	s_and_saveexec_b32 s3, vcc_lo
	s_xor_b32 s3, exec_lo, s3
; %bb.99:
	v_bfe_u32 v6, v134, 16, 1
	s_delay_alu instid0(VALU_DEP_1)
	v_add3_u32 v6, v134, v6, 0x7fff
; %bb.100:
	s_and_not1_saveexec_b32 s3, s3
; %bb.101:
	v_and_b32_e32 v6, 0xffff, v134
	v_or_b32_e32 v7, 0x10000, v134
	s_delay_alu instid0(VALU_DEP_2) | instskip(NEXT) | instid1(VALU_DEP_2)
	v_cmp_eq_u32_e32 vcc_lo, 0, v6
	v_cndmask_b32_e32 v6, v7, v134, vcc_lo
; %bb.102:
	s_or_b32 exec_lo, exec_lo, s3
	v_and_b32_e32 v7, 0x7f800000, v135
	s_delay_alu instid0(VALU_DEP_1) | instskip(SKIP_1) | instid1(SALU_CYCLE_1)
	v_cmp_ne_u32_e32 vcc_lo, 0x7f800000, v7
                                        ; implicit-def: $vgpr7
	s_and_saveexec_b32 s3, vcc_lo
	s_xor_b32 s3, exec_lo, s3
; %bb.103:
	v_bfe_u32 v7, v135, 16, 1
	s_delay_alu instid0(VALU_DEP_1)
	v_add3_u32 v7, v135, v7, 0x7fff
; %bb.104:
	s_and_not1_saveexec_b32 s3, s3
; %bb.105:
	v_and_b32_e32 v7, 0xffff, v135
	v_or_b32_e32 v8, 0x10000, v135
	s_delay_alu instid0(VALU_DEP_2) | instskip(NEXT) | instid1(VALU_DEP_2)
	v_cmp_eq_u32_e32 vcc_lo, 0, v7
	v_cndmask_b32_e32 v7, v8, v135, vcc_lo
; %bb.106:
	s_or_b32 exec_lo, exec_lo, s3
	v_and_b32_e32 v8, 0x7f800000, v136
	s_delay_alu instid0(VALU_DEP_1) | instskip(SKIP_1) | instid1(SALU_CYCLE_1)
	v_cmp_ne_u32_e32 vcc_lo, 0x7f800000, v8
                                        ; implicit-def: $vgpr8
	s_and_saveexec_b32 s3, vcc_lo
	s_xor_b32 s3, exec_lo, s3
; %bb.107:
	v_bfe_u32 v8, v136, 16, 1
	s_delay_alu instid0(VALU_DEP_1)
	v_add3_u32 v8, v136, v8, 0x7fff
                                        ; implicit-def: $vgpr129_vgpr130_vgpr131_vgpr132_vgpr133_vgpr134_vgpr135_vgpr136
; %bb.108:
	s_and_not1_saveexec_b32 s3, s3
; %bb.109:
	v_and_b32_e32 v8, 0xffff, v136
	v_or_b32_e32 v9, 0x10000, v136
	s_delay_alu instid0(VALU_DEP_2) | instskip(NEXT) | instid1(VALU_DEP_2)
	v_cmp_eq_u32_e32 vcc_lo, 0, v8
	v_cndmask_b32_e32 v8, v9, v136, vcc_lo
; %bb.110:
	s_or_b32 exec_lo, exec_lo, s3
	s_delay_alu instid0(VALU_DEP_1)
	v_perm_b32 v7, v8, v7, 0x7060302
	v_perm_b32 v6, v6, v5, 0x7060302
	;; [unrolled: 1-line block ×4, first 2 shown]
	v_lshl_or_b32 v9, v149, 4, v142
	s_barrier
	buffer_gl0_inv
	v_cmp_eq_u32_e32 vcc_lo, 1, v138
	ds_store_b128 v9, v[4:7]
	s_waitcnt lgkmcnt(0)
	s_barrier
	buffer_gl0_inv
	ds_load_b128 v[1:4], v142
	ds_load_b128 v[5:8], v142 offset:16
	v_cmp_eq_u32_e64 s4, 2, v138
	v_cmp_eq_u32_e64 s3, 1, v139
	;; [unrolled: 1-line block ×5, first 2 shown]
	s_waitcnt lgkmcnt(1)
	v_lshrrev_b32_e32 v10, 16, v1
	s_waitcnt lgkmcnt(0)
	v_lshrrev_b32_e32 v14, 16, v5
	v_lshrrev_b32_e32 v15, 16, v6
	;; [unrolled: 1-line block ×4, first 2 shown]
	v_cndmask_b32_e64 v20, v1, v10, s3
	v_cndmask_b32_e32 v19, v5, v14, vcc_lo
	v_cndmask_b32_e64 v21, v5, v14, s3
	v_lshrrev_b32_e32 v16, 16, v7
	v_cmp_eq_u32_e64 s3, 1, v137
	v_lshrrev_b32_e32 v13, 16, v4
	v_cndmask_b32_e64 v19, v19, v6, s4
	v_lshrrev_b32_e32 v17, 16, v8
	s_delay_alu instid0(VALU_DEP_4) | instskip(SKIP_1) | instid1(VALU_DEP_4)
	v_cndmask_b32_e64 v22, v1, v10, s3
	v_cndmask_b32_e64 v23, v5, v14, s3
	;; [unrolled: 1-line block ×3, first 2 shown]
	v_cndmask_b32_e32 v18, v1, v10, vcc_lo
	v_cmp_eq_u32_e32 vcc_lo, 2, v139
	v_cmp_eq_u32_e64 s3, 2, v141
	v_cndmask_b32_e64 v22, v22, v2, s7
	v_cndmask_b32_e32 v20, v20, v2, vcc_lo
	v_cndmask_b32_e32 v21, v21, v6, vcc_lo
	v_cmp_eq_u32_e32 vcc_lo, 4, v138
	v_cndmask_b32_e32 v19, v19, v7, vcc_lo
	v_cndmask_b32_e64 v18, v18, v2, s4
	v_cmp_eq_u32_e64 s4, 3, v139
	s_delay_alu instid0(VALU_DEP_2) | instskip(NEXT) | instid1(VALU_DEP_2)
	v_cndmask_b32_e64 v18, v18, v11, s5
	v_cndmask_b32_e64 v21, v21, v15, s4
	v_cmp_eq_u32_e64 s5, 5, v138
	s_delay_alu instid0(VALU_DEP_3) | instskip(SKIP_1) | instid1(VALU_DEP_3)
	v_cndmask_b32_e32 v18, v18, v3, vcc_lo
	v_cmp_eq_u32_e32 vcc_lo, 4, v139
	v_cndmask_b32_e64 v19, v19, v16, s5
	s_delay_alu instid0(VALU_DEP_3) | instskip(SKIP_4) | instid1(VALU_DEP_3)
	v_cndmask_b32_e64 v18, v18, v12, s5
	v_cndmask_b32_e32 v21, v21, v7, vcc_lo
	v_cndmask_b32_e64 v20, v20, v11, s4
	v_cmp_eq_u32_e64 s4, 5, v139
	v_cmp_eq_u32_e64 s5, 6, v138
	v_cndmask_b32_e32 v20, v20, v3, vcc_lo
	s_delay_alu instid0(VALU_DEP_3) | instskip(SKIP_1) | instid1(VALU_DEP_4)
	v_cndmask_b32_e64 v21, v21, v16, s4
	v_cmp_eq_u32_e32 vcc_lo, 6, v139
	v_cndmask_b32_e64 v18, v18, v4, s5
	v_cndmask_b32_e64 v19, v19, v8, s5
	;; [unrolled: 1-line block ×3, first 2 shown]
	v_cmp_eq_u32_e64 s4, 1, v141
	v_cmp_eq_u32_e64 s5, 7, v138
	s_delay_alu instid0(VALU_DEP_3) | instskip(NEXT) | instid1(VALU_DEP_3)
	v_cndmask_b32_e32 v20, v20, v4, vcc_lo
	v_cndmask_b32_e64 v1, v1, v10, s4
	v_cndmask_b32_e64 v5, v5, v14, s4
	v_cmp_eq_u32_e64 s4, 3, v137
	v_cndmask_b32_e64 v14, v23, v6, s7
	v_cmp_eq_u32_e64 s7, 3, v141
	v_cndmask_b32_e64 v1, v1, v2, s3
	v_cndmask_b32_e64 v2, v5, v6, s3
	;; [unrolled: 1-line block ×3, first 2 shown]
	v_cmp_eq_u32_e64 s3, 4, v137
	v_cndmask_b32_e64 v6, v14, v15, s4
	v_cndmask_b32_e64 v1, v1, v11, s7
	v_cmp_eq_u32_e64 s4, 4, v141
	v_cndmask_b32_e64 v2, v2, v15, s7
	v_cndmask_b32_e64 v5, v10, v3, s3
	;; [unrolled: 3-line block ×3, first 2 shown]
	v_cndmask_b32_e64 v2, v2, v7, s4
	v_cmp_eq_u32_e64 s3, 5, v141
	v_cndmask_b32_e64 v5, v5, v12, s7
	v_cmp_eq_u32_e64 s4, 6, v137
	;; [unrolled: 2-line block ×3, first 2 shown]
	v_cndmask_b32_e64 v1, v1, v12, s3
	v_cndmask_b32_e64 v2, v2, v16, s3
	;; [unrolled: 1-line block ×4, first 2 shown]
	v_cmp_eq_u32_e64 s3, 7, v141
	v_cndmask_b32_e64 v1, v1, v4, s7
	v_cndmask_b32_e64 v2, v2, v8, s7
	v_cmp_eq_u32_e64 s4, 7, v137
	v_cndmask_b32_e32 v4, v21, v8, vcc_lo
	v_cndmask_b32_e64 v18, v18, v13, s5
	v_cndmask_b32_e64 v20, v20, v13, s6
	;; [unrolled: 1-line block ×8, first 2 shown]
	s_delay_alu instid0(VALU_DEP_4) | instskip(NEXT) | instid1(VALU_DEP_4)
	v_perm_b32 v4, v2, v1, 0x5040100
	v_perm_b32 v3, v3, v5, 0x5040100
	s_delay_alu instid0(VALU_DEP_4) | instskip(NEXT) | instid1(VALU_DEP_4)
	v_perm_b32 v2, v6, v20, 0x5040100
	v_perm_b32 v1, v7, v18, 0x5040100
	ds_store_b128 v9, v[1:4]
	s_waitcnt lgkmcnt(0)
	s_barrier
	buffer_gl0_inv
	s_and_saveexec_b32 s3, s2
	s_cbranch_execz .LBB603_2
; %bb.111:
	s_load_b64 s[0:1], s[0:1], 0x68
	v_lshlrev_b32_e32 v0, 10, v0
	s_lshl_b32 s2, s34, 7
	v_lshlrev_b32_e32 v1, 4, v148
	v_mul_lo_u32 v4, s2, v147
	s_mul_i32 s3, s2, s30
	v_and_b32_e32 v0, 0x3800, v0
	s_mul_i32 s2, s3, s8
	s_delay_alu instid0(SALU_CYCLE_1) | instskip(NEXT) | instid1(VALU_DEP_1)
	s_ashr_i32 s3, s2, 31
	v_or3_b32 v0, v0, v146, v1
	s_lshl_b64 s[2:3], s[2:3], 1
	s_delay_alu instid0(VALU_DEP_3)
	v_ashrrev_i32_e32 v5, 31, v4
	ds_load_b128 v[0:3], v0
	v_lshlrev_b64 v[4:5], 1, v[4:5]
	s_waitcnt lgkmcnt(0)
	s_add_u32 s2, s0, s2
	s_addc_u32 s3, s1, s3
	s_lshl_b32 s0, s14, 7
	s_delay_alu instid0(SALU_CYCLE_1) | instskip(NEXT) | instid1(SALU_CYCLE_1)
	s_ashr_i32 s1, s0, 31
	s_lshl_b64 s[0:1], s[0:1], 1
	s_delay_alu instid0(SALU_CYCLE_1) | instskip(SKIP_3) | instid1(VALU_DEP_2)
	s_add_u32 s0, s2, s0
	s_addc_u32 s1, s3, s1
	v_add_co_u32 v4, vcc_lo, s0, v4
	v_add_co_ci_u32_e32 v5, vcc_lo, s1, v5, vcc_lo
	v_add_co_u32 v4, vcc_lo, v4, v145
	s_delay_alu instid0(VALU_DEP_2)
	v_add_co_ci_u32_e32 v5, vcc_lo, 0, v5, vcc_lo
	global_store_b128 v[4:5], v[0:3], off
	s_nop 0
	s_sendmsg sendmsg(MSG_DEALLOC_VGPRS)
	s_endpgm
	.section	.rodata,"a",@progbits
	.p2align	6, 0x0
	.amdhsa_kernel _Z39paged_attention_ll4mi_QKV_mfma16_kernelI14__hip_bfloat16S0_LN4vllm18Fp8KVCacheDataTypeE0EhLi16ELi128ELi256ELb1ELi2EL8MFMAType0EEvPKT_PKT0_S9_ifPKiSB_SB_iPKfiiiPfSE_PS4_PT2_iSD_SD_
		.amdhsa_group_segment_fixed_size 17472
		.amdhsa_private_segment_fixed_size 0
		.amdhsa_kernarg_size 400
		.amdhsa_user_sgpr_count 13
		.amdhsa_user_sgpr_dispatch_ptr 0
		.amdhsa_user_sgpr_queue_ptr 0
		.amdhsa_user_sgpr_kernarg_segment_ptr 1
		.amdhsa_user_sgpr_dispatch_id 0
		.amdhsa_user_sgpr_private_segment_size 0
		.amdhsa_wavefront_size32 1
		.amdhsa_uses_dynamic_stack 0
		.amdhsa_enable_private_segment 0
		.amdhsa_system_sgpr_workgroup_id_x 1
		.amdhsa_system_sgpr_workgroup_id_y 1
		.amdhsa_system_sgpr_workgroup_id_z 1
		.amdhsa_system_sgpr_workgroup_info 0
		.amdhsa_system_vgpr_workitem_id 0
		.amdhsa_next_free_vgpr 230
		.amdhsa_next_free_sgpr 52
		.amdhsa_reserve_vcc 1
		.amdhsa_float_round_mode_32 0
		.amdhsa_float_round_mode_16_64 0
		.amdhsa_float_denorm_mode_32 3
		.amdhsa_float_denorm_mode_16_64 3
		.amdhsa_dx10_clamp 1
		.amdhsa_ieee_mode 1
		.amdhsa_fp16_overflow 0
		.amdhsa_workgroup_processor_mode 1
		.amdhsa_memory_ordered 1
		.amdhsa_forward_progress 0
		.amdhsa_shared_vgpr_count 0
		.amdhsa_exception_fp_ieee_invalid_op 0
		.amdhsa_exception_fp_denorm_src 0
		.amdhsa_exception_fp_ieee_div_zero 0
		.amdhsa_exception_fp_ieee_overflow 0
		.amdhsa_exception_fp_ieee_underflow 0
		.amdhsa_exception_fp_ieee_inexact 0
		.amdhsa_exception_int_div_zero 0
	.end_amdhsa_kernel
	.section	.text._Z39paged_attention_ll4mi_QKV_mfma16_kernelI14__hip_bfloat16S0_LN4vllm18Fp8KVCacheDataTypeE0EhLi16ELi128ELi256ELb1ELi2EL8MFMAType0EEvPKT_PKT0_S9_ifPKiSB_SB_iPKfiiiPfSE_PS4_PT2_iSD_SD_,"axG",@progbits,_Z39paged_attention_ll4mi_QKV_mfma16_kernelI14__hip_bfloat16S0_LN4vllm18Fp8KVCacheDataTypeE0EhLi16ELi128ELi256ELb1ELi2EL8MFMAType0EEvPKT_PKT0_S9_ifPKiSB_SB_iPKfiiiPfSE_PS4_PT2_iSD_SD_,comdat
.Lfunc_end603:
	.size	_Z39paged_attention_ll4mi_QKV_mfma16_kernelI14__hip_bfloat16S0_LN4vllm18Fp8KVCacheDataTypeE0EhLi16ELi128ELi256ELb1ELi2EL8MFMAType0EEvPKT_PKT0_S9_ifPKiSB_SB_iPKfiiiPfSE_PS4_PT2_iSD_SD_, .Lfunc_end603-_Z39paged_attention_ll4mi_QKV_mfma16_kernelI14__hip_bfloat16S0_LN4vllm18Fp8KVCacheDataTypeE0EhLi16ELi128ELi256ELb1ELi2EL8MFMAType0EEvPKT_PKT0_S9_ifPKiSB_SB_iPKfiiiPfSE_PS4_PT2_iSD_SD_
                                        ; -- End function
	.section	.AMDGPU.csdata,"",@progbits
; Kernel info:
; codeLenInByte = 10052
; NumSgprs: 54
; NumVgprs: 230
; ScratchSize: 0
; MemoryBound: 0
; FloatMode: 240
; IeeeMode: 1
; LDSByteSize: 17472 bytes/workgroup (compile time only)
; SGPRBlocks: 6
; VGPRBlocks: 28
; NumSGPRsForWavesPerEU: 54
; NumVGPRsForWavesPerEU: 230
; Occupancy: 6
; WaveLimiterHint : 1
; COMPUTE_PGM_RSRC2:SCRATCH_EN: 0
; COMPUTE_PGM_RSRC2:USER_SGPR: 13
; COMPUTE_PGM_RSRC2:TRAP_HANDLER: 0
; COMPUTE_PGM_RSRC2:TGID_X_EN: 1
; COMPUTE_PGM_RSRC2:TGID_Y_EN: 1
; COMPUTE_PGM_RSRC2:TGID_Z_EN: 1
; COMPUTE_PGM_RSRC2:TIDIG_COMP_CNT: 0
	.section	.text._Z39paged_attention_ll4mi_QKV_mfma16_kernelI14__hip_bfloat16S0_LN4vllm18Fp8KVCacheDataTypeE0EhLi16ELi128ELi256ELb1ELi3EL8MFMAType0EEvPKT_PKT0_S9_ifPKiSB_SB_iPKfiiiPfSE_PS4_PT2_iSD_SD_,"axG",@progbits,_Z39paged_attention_ll4mi_QKV_mfma16_kernelI14__hip_bfloat16S0_LN4vllm18Fp8KVCacheDataTypeE0EhLi16ELi128ELi256ELb1ELi3EL8MFMAType0EEvPKT_PKT0_S9_ifPKiSB_SB_iPKfiiiPfSE_PS4_PT2_iSD_SD_,comdat
	.protected	_Z39paged_attention_ll4mi_QKV_mfma16_kernelI14__hip_bfloat16S0_LN4vllm18Fp8KVCacheDataTypeE0EhLi16ELi128ELi256ELb1ELi3EL8MFMAType0EEvPKT_PKT0_S9_ifPKiSB_SB_iPKfiiiPfSE_PS4_PT2_iSD_SD_ ; -- Begin function _Z39paged_attention_ll4mi_QKV_mfma16_kernelI14__hip_bfloat16S0_LN4vllm18Fp8KVCacheDataTypeE0EhLi16ELi128ELi256ELb1ELi3EL8MFMAType0EEvPKT_PKT0_S9_ifPKiSB_SB_iPKfiiiPfSE_PS4_PT2_iSD_SD_
	.globl	_Z39paged_attention_ll4mi_QKV_mfma16_kernelI14__hip_bfloat16S0_LN4vllm18Fp8KVCacheDataTypeE0EhLi16ELi128ELi256ELb1ELi3EL8MFMAType0EEvPKT_PKT0_S9_ifPKiSB_SB_iPKfiiiPfSE_PS4_PT2_iSD_SD_
	.p2align	8
	.type	_Z39paged_attention_ll4mi_QKV_mfma16_kernelI14__hip_bfloat16S0_LN4vllm18Fp8KVCacheDataTypeE0EhLi16ELi128ELi256ELb1ELi3EL8MFMAType0EEvPKT_PKT0_S9_ifPKiSB_SB_iPKfiiiPfSE_PS4_PT2_iSD_SD_,@function
_Z39paged_attention_ll4mi_QKV_mfma16_kernelI14__hip_bfloat16S0_LN4vllm18Fp8KVCacheDataTypeE0EhLi16ELi128ELi256ELb1ELi3EL8MFMAType0EEvPKT_PKT0_S9_ifPKiSB_SB_iPKfiiiPfSE_PS4_PT2_iSD_SD_: ; @_Z39paged_attention_ll4mi_QKV_mfma16_kernelI14__hip_bfloat16S0_LN4vllm18Fp8KVCacheDataTypeE0EhLi16ELi128ELi256ELb1ELi3EL8MFMAType0EEvPKT_PKT0_S9_ifPKiSB_SB_iPKfiiiPfSE_PS4_PT2_iSD_SD_
; %bb.0:
	s_load_b64 s[4:5], s[0:1], 0x30
	s_mov_b32 s30, s13
	s_waitcnt lgkmcnt(0)
	s_cmp_lg_u64 s[4:5], 0
	s_cselect_b32 s8, -1, 0
	s_ashr_i32 s31, s13, 31
	s_cmp_eq_u64 s[4:5], 0
	s_cbranch_scc1 .LBB604_3
; %bb.1:
	s_lshl_b64 s[2:3], s[30:31], 2
	s_delay_alu instid0(SALU_CYCLE_1) | instskip(SKIP_4) | instid1(SALU_CYCLE_1)
	s_add_u32 s2, s4, s2
	s_addc_u32 s3, s5, s3
	s_load_b64 s[2:3], s[2:3], 0x0
	s_waitcnt lgkmcnt(0)
	s_sub_i32 s2, s3, s2
	s_cmp_eq_u32 s2, 1
	s_cselect_b32 s2, -1, 0
	s_delay_alu instid0(SALU_CYCLE_1)
	s_and_not1_b32 vcc_lo, exec_lo, s2
	s_cbranch_vccz .LBB604_4
.LBB604_2:
	s_nop 0
	s_sendmsg sendmsg(MSG_DEALLOC_VGPRS)
	s_endpgm
.LBB604_3:
.LBB604_4:
	s_load_b64 s[2:3], s[0:1], 0x28
	s_lshl_b64 s[6:7], s[30:31], 2
	s_waitcnt lgkmcnt(0)
	s_add_u32 s2, s2, s6
	s_addc_u32 s3, s3, s7
	s_lshl_b32 s29, s14, 8
	s_load_b32 s28, s[2:3], 0x0
	s_waitcnt lgkmcnt(0)
	s_cmp_ge_i32 s29, s28
	s_cbranch_scc1 .LBB604_2
; %bb.5:
	s_clause 0x1
	s_load_b128 s[20:23], s[0:1], 0x8
	s_load_b64 s[2:3], s[0:1], 0x20
	s_and_not1_b32 vcc_lo, exec_lo, s8
	s_cbranch_vccnz .LBB604_7
; %bb.6:
	s_add_u32 s4, s4, s6
	s_addc_u32 s5, s5, s7
	s_load_b32 s5, s[4:5], 0x0
	s_branch .LBB604_8
.LBB604_7:
	s_mov_b32 s5, s30
.LBB604_8:
	s_load_b128 s[16:19], s[0:1], 0x48
	v_and_b32_e32 v140, 15, v0
	v_lshrrev_b32_e32 v141, 5, v0
	v_bfe_u32 v138, v0, 4, 1
	v_and_b32_e32 v142, 31, v0
	v_and_b32_e32 v139, 1, v0
	v_lshlrev_b32_e32 v2, 3, v140
	s_mul_i32 s31, s15, 3
	v_lshl_or_b32 v1, v141, 1, v138
	s_mov_b32 s4, exec_lo
	s_delay_alu instid0(VALU_DEP_2) | instskip(NEXT) | instid1(VALU_DEP_2)
	v_lshlrev_b32_e32 v137, 1, v2
	v_cmpx_gt_u32_e32 3, v1
	s_cbranch_execz .LBB604_10
; %bb.9:
	s_load_b64 s[6:7], s[0:1], 0x0
	v_add_lshl_u32 v2, v1, s31, 7
	s_waitcnt lgkmcnt(0)
	s_mul_hi_i32 s9, s5, s16
	s_mul_i32 s8, s5, s16
	v_lshlrev_b32_e32 v6, 10, v140
	s_lshl_b64 s[8:9], s[8:9], 1
	v_ashrrev_i32_e32 v3, 31, v2
	v_lshlrev_b32_e32 v1, 6, v1
	v_lshlrev_b32_e32 v7, 10, v139
	v_and_b32_e32 v6, 0x3800, v6
	s_delay_alu instid0(VALU_DEP_4) | instskip(NEXT) | instid1(VALU_DEP_2)
	v_lshlrev_b64 v[2:3], 1, v[2:3]
	v_or3_b32 v1, v6, v7, v1
	s_add_u32 s5, s6, s8
	s_addc_u32 s6, s7, s9
	s_delay_alu instid0(VALU_DEP_2) | instskip(NEXT) | instid1(VALU_DEP_3)
	v_add_co_u32 v2, vcc_lo, s5, v2
	v_add_co_ci_u32_e32 v3, vcc_lo, s6, v3, vcc_lo
	s_delay_alu instid0(VALU_DEP_2) | instskip(NEXT) | instid1(VALU_DEP_2)
	v_add_co_u32 v2, vcc_lo, v2, v137
	v_add_co_ci_u32_e32 v3, vcc_lo, 0, v3, vcc_lo
	global_load_b128 v[2:5], v[2:3], off
	s_waitcnt vmcnt(0)
	ds_store_b128 v1, v[2:5]
.LBB604_10:
	s_or_b32 exec_lo, exec_lo, s4
	v_and_b32_e32 v1, 0xef, v0
	s_waitcnt lgkmcnt(0)
	s_add_i32 s5, s28, 15
	s_clause 0x1
	s_load_b32 s4, s[0:1], 0x38
	s_load_b32 s33, s[0:1], 0x1c
	s_ashr_i32 s6, s5, 31
	v_add_nc_u32_e32 v1, s29, v1
	s_lshr_b32 s6, s6, 28
	s_waitcnt lgkmcnt(0)
	s_add_i32 s5, s5, s6
	s_barrier
	v_ashrrev_i32_e32 v2, 31, v1
	v_cmp_gt_i32_e32 vcc_lo, s28, v1
	s_ashr_i32 s16, s5, 4
	buffer_gl0_inv
	s_add_i32 s16, s16, -1
	v_lshrrev_b32_e32 v3, 28, v2
	v_or_b32_e32 v2, 16, v1
	v_mul_lo_u16 v105, 0x56, v140
	v_lshlrev_b32_e32 v106, 5, v140
	s_delay_alu instid0(VALU_DEP_4) | instskip(NEXT) | instid1(VALU_DEP_4)
	v_add_nc_u32_e32 v4, v1, v3
	v_add_nc_u32_e32 v3, v2, v3
	s_mul_i32 s4, s30, s4
	v_lshrrev_b16 v105, 8, v105
	s_ashr_i32 s5, s4, 31
	v_ashrrev_i32_e32 v4, 4, v4
	v_ashrrev_i32_e32 v3, 4, v3
	s_lshl_b64 s[4:5], s[4:5], 2
	v_mul_lo_u16 v105, v105, 3
	s_add_u32 s34, s2, s4
	v_cndmask_b32_e32 v1, s16, v4, vcc_lo
	v_cmp_gt_i32_e32 vcc_lo, s28, v2
	s_addc_u32 s35, s3, s5
	s_mul_i32 s2, s15, s18
	v_sub_nc_u16 v105, v140, v105
	v_ashrrev_i32_e32 v2, 31, v1
	v_cndmask_b32_e32 v3, s16, v3, vcc_lo
	s_ashr_i32 s3, s2, 31
	v_lshl_or_b32 v125, v141, 9, v106
	s_lshl_b64 s[2:3], s[2:3], 1
	v_lshlrev_b64 v[1:2], 2, v[1:2]
	v_ashrrev_i32_e32 v4, 31, v3
	s_add_u32 s24, s20, s2
	s_addc_u32 s25, s21, s3
	s_lshl_b32 s4, s14, 4
	v_and_b32_e32 v105, 0xff, v105
	v_lshlrev_b64 v[3:4], 2, v[3:4]
	v_add_co_u32 v1, vcc_lo, s34, v1
	v_add_co_ci_u32_e32 v2, vcc_lo, s35, v2, vcc_lo
	s_ashr_i32 s5, s4, 31
	s_delay_alu instid0(VALU_DEP_3) | instskip(NEXT) | instid1(VALU_DEP_4)
	v_add_co_u32 v3, vcc_lo, s34, v3
	v_add_co_ci_u32_e32 v4, vcc_lo, s35, v4, vcc_lo
	s_lshl_b64 s[4:5], s[4:5], 2
	s_clause 0x1
	global_load_b32 v5, v[1:2], off
	global_load_b32 v6, v[3:4], off
	s_add_u32 s4, s34, s4
	s_addc_u32 s5, s35, s5
	s_or_b32 s6, s29, 16
	v_lshlrev_b32_e32 v3, 4, v0
	s_ashr_i32 s7, s6, 4
	s_cmp_lt_i32 s6, s28
	v_lshlrev_b32_e32 v215, 6, v105
	s_cselect_b32 s6, s7, s16
	s_delay_alu instid0(SALU_CYCLE_1) | instskip(NEXT) | instid1(SALU_CYCLE_1)
	s_ashr_i32 s7, s6, 31
	s_lshl_b64 s[6:7], s[6:7], 2
	s_delay_alu instid0(SALU_CYCLE_1) | instskip(SKIP_2) | instid1(SALU_CYCLE_1)
	s_add_u32 s6, s34, s6
	s_addc_u32 s7, s35, s7
	s_or_b32 s8, s29, 32
	s_ashr_i32 s9, s8, 4
	s_cmp_lt_i32 s8, s28
	s_cselect_b32 s8, s9, s16
	s_delay_alu instid0(SALU_CYCLE_1) | instskip(NEXT) | instid1(SALU_CYCLE_1)
	s_ashr_i32 s9, s8, 31
	s_lshl_b64 s[8:9], s[8:9], 2
	s_delay_alu instid0(SALU_CYCLE_1) | instskip(SKIP_2) | instid1(SALU_CYCLE_1)
	s_add_u32 s8, s34, s8
	s_addc_u32 s9, s35, s9
	s_or_b32 s10, s29, 48
	s_ashr_i32 s11, s10, 4
	s_cmp_lt_i32 s10, s28
	;; [unrolled: 10-line block ×4, first 2 shown]
	s_cselect_b32 s12, s13, s16
	s_delay_alu instid0(SALU_CYCLE_1) | instskip(NEXT) | instid1(SALU_CYCLE_1)
	s_ashr_i32 s13, s12, 31
	s_lshl_b64 s[12:13], s[12:13], 2
	s_delay_alu instid0(SALU_CYCLE_1)
	s_add_u32 s20, s34, s12
	s_addc_u32 s21, s35, s13
	s_clause 0x5
	s_load_b32 s38, s[4:5], 0x0
	s_load_b32 s37, s[6:7], 0x0
	;; [unrolled: 1-line block ×6, first 2 shown]
	s_waitcnt vmcnt(1)
	v_mad_i64_i32 v[1:2], null, v5, s17, 0
	v_and_b32_e32 v5, 0xf0, v3
	s_waitcnt vmcnt(0)
	v_mad_i64_i32 v[3:4], null, v6, s17, 0
	s_delay_alu instid0(VALU_DEP_2) | instskip(NEXT) | instid1(VALU_DEP_4)
	v_add_co_u32 v5, s4, s24, v5
	v_lshlrev_b64 v[1:2], 1, v[1:2]
	v_add_co_ci_u32_e64 v6, null, s25, 0, s4
	s_delay_alu instid0(VALU_DEP_4) | instskip(SKIP_1) | instid1(VALU_DEP_3)
	v_lshlrev_b64 v[3:4], 1, v[3:4]
	s_or_b32 s4, s29, 0x60
	v_add_co_u32 v121, vcc_lo, v5, v1
	s_delay_alu instid0(VALU_DEP_3) | instskip(NEXT) | instid1(VALU_DEP_3)
	v_add_co_ci_u32_e32 v122, vcc_lo, v6, v2, vcc_lo
	v_add_co_u32 v123, vcc_lo, v5, v3
	s_delay_alu instid0(VALU_DEP_4)
	v_add_co_ci_u32_e32 v124, vcc_lo, v6, v4, vcc_lo
	s_clause 0x19
	global_load_b128 v[89:92], v[121:122], off
	global_load_b128 v[93:96], v[121:122], off offset:256
	global_load_b128 v[97:100], v[123:124], off
	global_load_b128 v[101:104], v[123:124], off offset:256
	global_load_b128 v[81:84], v[121:122], off offset:512
	;; [unrolled: 1-line block ×23, first 2 shown]
	s_ashr_i32 s5, s4, 4
	s_cmp_lt_i32 s4, s28
	ds_load_b128 v[105:108], v215
	ds_load_b128 v[109:112], v215 offset:1024
	s_cselect_b32 s4, s5, s16
	ds_load_b128 v[113:116], v215 offset:2048
	ds_load_b128 v[117:120], v215 offset:3072
	s_ashr_i32 s5, s4, 31
	ds_load_b128 v[143:146], v215 offset:4096
	ds_load_b128 v[147:150], v215 offset:5120
	s_lshl_b64 s[6:7], s[4:5], 2
	ds_load_b128 v[151:154], v215 offset:6144
	ds_load_b128 v[155:158], v215 offset:7168
	s_add_u32 s18, s34, s6
	s_addc_u32 s19, s35, s7
	s_or_b32 s5, s29, 0x70
	ds_load_b128 v[159:162], v215 offset:8192
	ds_load_b128 v[163:166], v215 offset:9216
	s_ashr_i32 s6, s5, 4
	s_cmp_lt_i32 s5, s28
	s_clause 0x1
	global_load_b128 v[167:170], v[123:124], off offset:3072
	global_load_b128 v[171:174], v[123:124], off offset:3328
	s_cselect_b32 s8, s6, s16
	s_mov_b32 s4, 0
	s_ashr_i32 s9, s8, 31
	s_mov_b32 s5, s4
	s_lshl_b64 s[8:9], s[8:9], 2
	s_mov_b32 s6, s4
	s_add_u32 s20, s34, s8
	s_addc_u32 s21, s35, s9
	s_clause 0x1
	s_load_b32 s44, s[18:19], 0x0
	s_load_b32 s45, s[20:21], 0x0
	s_clause 0x3
	global_load_b128 v[175:178], v[121:122], off offset:3584
	global_load_b128 v[179:182], v[121:122], off offset:3840
	;; [unrolled: 1-line block ×4, first 2 shown]
	s_or_b32 s8, s29, 0x80
	s_mov_b32 s7, s4
	s_ashr_i32 s9, s8, 4
	s_cmp_lt_i32 s8, s28
	s_mov_b32 s8, s4
	s_cselect_b32 s10, s9, s16
	s_mov_b32 s9, s4
	s_ashr_i32 s11, s10, 31
	s_delay_alu instid0(SALU_CYCLE_1)
	s_lshl_b64 s[24:25], s[10:11], 2
	s_mov_b32 s10, s4
	s_add_u32 s24, s34, s24
	s_addc_u32 s25, s35, s25
	s_or_b32 s11, s29, 0x90
	s_load_b32 s46, s[24:25], 0x0
	s_ashr_i32 s26, s11, 4
	s_cmp_lt_i32 s11, s28
	s_mov_b32 s11, s4
	s_cselect_b32 s26, s26, s16
	v_mov_b32_e32 v136, s11
	s_ashr_i32 s27, s26, 31
	v_dual_mov_b32 v135, s10 :: v_dual_mov_b32 v134, s9
	v_dual_mov_b32 v133, s8 :: v_dual_mov_b32 v132, s7
	;; [unrolled: 1-line block ×3, first 2 shown]
	v_mov_b32_e32 v129, s4
	s_lshl_b64 s[4:5], s[26:27], 2
	s_waitcnt lgkmcnt(0)
	s_mul_hi_i32 s7, s37, s17
	s_add_u32 s26, s34, s4
	s_addc_u32 s27, s35, s5
	s_or_b32 s4, s29, 0xa0
	s_load_b32 s39, s[26:27], 0x0
	s_ashr_i32 s5, s4, 4
	s_cmp_lt_i32 s4, s28
	s_cselect_b32 s4, s5, s16
	s_delay_alu instid0(SALU_CYCLE_1) | instskip(NEXT) | instid1(SALU_CYCLE_1)
	s_ashr_i32 s5, s4, 31
	s_lshl_b64 s[4:5], s[4:5], 2
	s_delay_alu instid0(SALU_CYCLE_1)
	s_add_u32 s40, s34, s4
	s_addc_u32 s41, s35, s5
	s_or_b32 s4, s29, 0xb0
	s_mul_hi_i32 s5, s38, s17
	s_ashr_i32 s6, s4, 4
	s_cmp_lt_i32 s4, s28
	s_mul_i32 s4, s38, s17
	s_load_b32 s38, s[40:41], 0x0
	s_cselect_b32 s8, s6, s16
	s_mul_i32 s6, s37, s17
	s_ashr_i32 s9, s8, 31
	s_mul_hi_i32 s27, s46, s17
	s_lshl_b64 s[10:11], s[8:9], 2
	s_mul_hi_i32 s9, s36, s17
	s_add_u32 s42, s34, s10
	s_addc_u32 s43, s35, s11
	s_or_b32 s10, s29, 0xc0
	s_mul_i32 s8, s36, s17
	s_ashr_i32 s36, s10, 4
	s_cmp_lt_i32 s10, s28
	s_mul_i32 s26, s46, s17
	s_cselect_b32 s36, s36, s16
	s_mul_hi_i32 s11, s13, s17
	s_ashr_i32 s37, s36, 31
	s_mul_i32 s10, s13, s17
	s_lshl_b64 s[36:37], s[36:37], 2
	s_mul_hi_i32 s13, s12, s17
	s_add_u32 s20, s34, s36
	s_addc_u32 s21, s35, s37
	s_or_b32 s18, s29, 0xd0
	s_mul_i32 s12, s12, s17
	s_ashr_i32 s19, s18, 4
	s_cmp_lt_i32 s18, s28
	s_mul_i32 s18, s15, s17
	s_cselect_b32 s24, s19, s16
	s_mul_hi_i32 s19, s15, s17
	s_ashr_i32 s25, s24, 31
	s_waitcnt lgkmcnt(0)
	s_mul_hi_i32 s41, s39, s17
	s_lshl_b64 s[24:25], s[24:25], 2
	s_delay_alu instid0(SALU_CYCLE_1)
	s_add_u32 s24, s34, s24
	s_addc_u32 s25, s35, s25
	s_or_b32 s40, s29, 0xe0
	s_clause 0x2
	s_load_b32 s37, s[42:43], 0x0
	s_load_b32 s36, s[20:21], 0x0
	s_load_b32 s15, s[24:25], 0x0
	s_ashr_i32 s47, s40, 4
	s_cmp_lt_i32 s40, s28
	s_mul_hi_i32 s21, s44, s17
	s_cselect_b32 s42, s47, s16
	s_mul_i32 s20, s44, s17
	s_ashr_i32 s43, s42, 31
	s_mul_hi_i32 s25, s45, s17
	s_lshl_b64 s[42:43], s[42:43], 2
	s_mul_i32 s24, s45, s17
	s_add_u32 s42, s34, s42
	s_addc_u32 s43, s35, s43
	s_or_b32 s44, s29, 0xf0
	s_mul_i32 s40, s39, s17
	s_ashr_i32 s46, s44, 4
	s_cmp_lt_i32 s44, s28
	s_mul_hi_i32 s39, s38, s17
	s_cselect_b32 s46, s46, s16
	s_mul_i32 s38, s38, s17
	s_ashr_i32 s47, s46, 31
	s_waitcnt lgkmcnt(0)
	s_mul_hi_i32 s49, s15, s17
	s_lshl_b64 s[46:47], s[46:47], 2
	s_mul_i32 s48, s15, s17
	s_add_u32 s34, s34, s46
	s_addc_u32 s35, s35, s47
	s_add_u32 s15, s22, s2
	s_addc_u32 s16, s23, s3
	v_add_co_u32 v216, s15, s15, v125
	s_delay_alu instid0(VALU_DEP_1) | instskip(SKIP_2) | instid1(VALU_DEP_2)
	v_add_co_ci_u32_e64 v217, null, s16, 0, s15
	s_lshl_b64 s[2:3], s[4:5], 1
	s_lshl_b64 s[4:5], s[6:7], 1
	v_add_co_u32 v125, vcc_lo, v216, s2
	s_delay_alu instid0(VALU_DEP_2)
	v_add_co_ci_u32_e32 v126, vcc_lo, s3, v217, vcc_lo
	v_add_co_u32 v199, vcc_lo, v216, s4
	s_lshl_b64 s[6:7], s[8:9], 1
	v_add_co_ci_u32_e32 v200, vcc_lo, s5, v217, vcc_lo
	s_lshl_b64 s[8:9], s[10:11], 1
	s_lshl_b64 s[10:11], s[12:13], 1
	;; [unrolled: 1-line block ×8, first 2 shown]
	s_mul_hi_i32 s45, s37, s17
	s_mul_i32 s44, s37, s17
	s_mul_hi_i32 s37, s36, s17
	s_lshl_b64 s[38:39], s[44:45], 1
	s_mul_i32 s36, s36, s17
	s_clause 0x1
	s_load_b32 s15, s[42:43], 0x0
	s_load_b32 s16, s[34:35], 0x0
	s_lshl_b64 s[36:37], s[36:37], 1
	s_lshl_b64 s[40:41], s[48:49], 1
	s_waitcnt lgkmcnt(0)
	s_mul_hi_i32 s3, s15, s17
	s_mul_i32 s2, s15, s17
	s_mul_hi_i32 s5, s16, s17
	s_lshl_b64 s[2:3], s[2:3], 1
	s_mul_i32 s4, s16, s17
	s_waitcnt vmcnt(30)
	v_wmma_f32_16x16x16_bf16 v[191:198], v[89:96], v[105:112], v[129:136]
	v_add_co_u32 v89, vcc_lo, v216, s6
	v_add_co_ci_u32_e32 v90, vcc_lo, s7, v217, vcc_lo
	v_add_co_u32 v91, vcc_lo, v216, s8
	v_add_co_ci_u32_e32 v92, vcc_lo, s9, v217, vcc_lo
	;; [unrolled: 2-line block ×5, first 2 shown]
	v_add_co_u32 v205, vcc_lo, v216, s20
	s_waitcnt vmcnt(28)
	v_wmma_f32_16x16x16_bf16 v[129:136], v[97:104], v[105:112], v[129:136]
	v_add_co_ci_u32_e32 v206, vcc_lo, s21, v217, vcc_lo
	v_add_co_u32 v207, vcc_lo, v216, s22
	v_add_co_ci_u32_e32 v208, vcc_lo, s23, v217, vcc_lo
	v_add_co_u32 v209, vcc_lo, v216, s24
	s_waitcnt vmcnt(26)
	v_wmma_f32_16x16x16_bf16 v[191:198], v[81:88], v[113:120], v[191:198]
	s_waitcnt vmcnt(24)
	v_wmma_f32_16x16x16_bf16 v[129:136], v[73:80], v[113:120], v[129:136]
	v_add_co_ci_u32_e32 v210, vcc_lo, s25, v217, vcc_lo
	v_add_co_u32 v211, vcc_lo, v216, s26
	v_add_co_ci_u32_e32 v212, vcc_lo, s27, v217, vcc_lo
	v_add_co_u32 v213, vcc_lo, v216, s38
	s_waitcnt vmcnt(22)
	v_wmma_f32_16x16x16_bf16 v[191:198], v[65:72], v[143:150], v[191:198]
	s_waitcnt vmcnt(20)
	v_wmma_f32_16x16x16_bf16 v[129:136], v[57:64], v[143:150], v[129:136]
	v_add_co_ci_u32_e32 v214, vcc_lo, s39, v217, vcc_lo
	v_add_co_u32 v143, vcc_lo, v216, s36
	s_waitcnt vmcnt(18)
	v_wmma_f32_16x16x16_bf16 v[191:198], v[49:56], v[151:158], v[191:198]
	s_waitcnt vmcnt(16)
	v_wmma_f32_16x16x16_bf16 v[129:136], v[41:48], v[151:158], v[129:136]
	v_add_co_ci_u32_e32 v144, vcc_lo, s37, v217, vcc_lo
	s_clause 0x15
	global_load_b128 v[121:124], v[125:126], off
	global_load_b128 v[125:128], v[125:126], off offset:16
	global_load_b128 v[113:116], v[199:200], off
	global_load_b128 v[117:120], v[199:200], off offset:16
	;; [unrolled: 2-line block ×11, first 2 shown]
	s_waitcnt vmcnt(36)
	v_wmma_f32_16x16x16_bf16 v[191:198], v[17:24], v[159:166], v[191:198]
	s_clause 0x1
	global_load_b128 v[17:20], v[213:214], off
	global_load_b128 v[21:24], v[213:214], off offset:16
	s_waitcnt vmcnt(36)
	v_wmma_f32_16x16x16_bf16 v[129:136], v[1:8], v[159:166], v[129:136]
	s_clause 0x1
	global_load_b128 v[1:4], v[143:144], off
	global_load_b128 v[5:8], v[143:144], off offset:16
	ds_load_b128 v[143:146], v215 offset:10240
	ds_load_b128 v[147:150], v215 offset:11264
	;; [unrolled: 1-line block ×4, first 2 shown]
	v_add_co_u32 v199, vcc_lo, v216, s40
	v_add_co_ci_u32_e32 v200, vcc_lo, s41, v217, vcc_lo
	v_add_co_u32 v159, vcc_lo, v216, s2
	v_add_co_ci_u32_e32 v160, vcc_lo, s3, v217, vcc_lo
	s_lshl_b64 s[2:3], s[4:5], 1
	s_delay_alu instid0(SALU_CYCLE_1)
	v_add_co_u32 v161, vcc_lo, v216, s2
	v_add_co_ci_u32_e32 v162, vcc_lo, s3, v217, vcc_lo
	s_waitcnt vmcnt(36) lgkmcnt(2)
	v_wmma_f32_16x16x16_bf16 v[191:198], v[33:40], v[143:150], v[191:198]
	s_waitcnt vmcnt(34)
	v_wmma_f32_16x16x16_bf16 v[129:136], v[25:32], v[143:150], v[129:136]
	s_clause 0x3
	global_load_b128 v[25:28], v[199:200], off
	global_load_b128 v[29:32], v[199:200], off offset:16
	global_load_b128 v[33:36], v[159:160], off
	global_load_b128 v[37:40], v[159:160], off offset:16
	v_and_b32_e32 v143, 0xe0, v0
	v_mbcnt_lo_u32_b32 v159, -1, 0
	s_waitcnt vmcnt(36) lgkmcnt(0)
	v_wmma_f32_16x16x16_bf16 v[191:198], v[9:16], v[151:158], v[191:198]
	s_clause 0x1
	global_load_b128 v[9:12], v[161:162], off
	global_load_b128 v[13:16], v[161:162], off offset:16
	s_waitcnt vmcnt(36)
	v_wmma_f32_16x16x16_bf16 v[129:136], v[167:174], v[151:158], v[129:136]
	v_add_nc_u32_e32 v160, s29, v143
	ds_load_b128 v[143:146], v215 offset:14336
	ds_load_b128 v[147:150], v215 offset:15360
	v_xor_b32_e32 v151, 16, v159
	s_waitcnt vmcnt(0) lgkmcnt(0)
	s_barrier
	v_or_b32_e32 v152, v160, v138
	buffer_gl0_inv
	v_cmp_gt_i32_e32 vcc_lo, 32, v151
	v_or_b32_e32 v153, 2, v152
	v_or_b32_e32 v154, 4, v152
	;; [unrolled: 1-line block ×5, first 2 shown]
	v_cmp_gt_i32_e64 s2, s28, v153
	v_cmp_gt_i32_e64 s3, s28, v154
	v_cmp_gt_i32_e64 s4, s28, v155
	v_or_b32_e32 v158, 12, v152
	v_cmp_gt_i32_e64 s5, s28, v156
	v_cmp_gt_i32_e64 s6, s28, v157
	v_wmma_f32_16x16x16_bf16 v[191:198], v[175:182], v[143:150], v[191:198]
	v_wmma_f32_16x16x16_bf16 v[129:136], v[183:190], v[143:150], v[129:136]
	v_cndmask_b32_e32 v151, v159, v151, vcc_lo
	v_cmp_gt_i32_e32 vcc_lo, s28, v152
	v_or_b32_e32 v159, 14, v152
	v_dual_mul_f32 v149, s33, v192 :: v_dual_mul_f32 v150, s33, v191
	v_dual_mul_f32 v147, s33, v194 :: v_dual_mul_f32 v148, s33, v193
	;; [unrolled: 1-line block ×3, first 2 shown]
	s_delay_alu instid0(VALU_DEP_3) | instskip(NEXT) | instid1(VALU_DEP_4)
	v_cndmask_b32_e32 v150, 0xff7fffff, v150, vcc_lo
	v_cndmask_b32_e64 v149, 0xff7fffff, v149, s2
	v_mul_f32_e32 v146, s33, v195
	v_cndmask_b32_e64 v148, 0xff7fffff, v148, s3
	v_cndmask_b32_e64 v147, 0xff7fffff, v147, s4
	v_or_b32_e32 v160, 16, v152
	v_max3_f32 v149, v150, 0xff7fffff, v149
	v_or_b32_e32 v161, 18, v152
	v_dual_mul_f32 v143, s33, v198 :: v_dual_mul_f32 v144, s33, v197
	v_cndmask_b32_e64 v146, 0xff7fffff, v146, s5
	v_cndmask_b32_e64 v145, 0xff7fffff, v145, s6
	v_max3_f32 v147, v149, v148, v147
	v_cmp_gt_i32_e64 s7, s28, v158
	v_cmp_gt_i32_e64 s8, s28, v159
	v_or_b32_e32 v162, 20, v152
	v_or_b32_e32 v163, 22, v152
	v_mul_f32_e32 v175, s33, v129
	v_cndmask_b32_e64 v144, 0xff7fffff, v144, s7
	v_cndmask_b32_e64 v143, 0xff7fffff, v143, s8
	v_max3_f32 v145, v147, v146, v145
	v_cmp_gt_i32_e64 s9, s28, v160
	v_cmp_gt_i32_e64 s10, s28, v161
	v_or_b32_e32 v164, 24, v152
	v_or_b32_e32 v165, 26, v152
	v_dual_mul_f32 v172, s33, v132 :: v_dual_mul_f32 v173, s33, v131
	v_cndmask_b32_e64 v146, 0xff7fffff, v175, s9
	v_cndmask_b32_e64 v147, 0xff7fffff, v174, s10
	v_max3_f32 v143, v145, v144, v143
	v_cmp_gt_i32_e64 s11, s28, v162
	v_cmp_gt_i32_e64 s12, s28, v163
	v_or_b32_e32 v166, 28, v152
	v_or_b32_e32 v167, 30, v152
	v_dual_mul_f32 v170, s33, v134 :: v_dual_mul_f32 v171, s33, v133
	v_cndmask_b32_e64 v144, 0xff7fffff, v173, s11
	v_cndmask_b32_e64 v145, 0xff7fffff, v172, s12
	v_max3_f32 v143, v143, v146, v147
	v_cmp_gt_i32_e64 s13, s28, v164
	v_cmp_gt_i32_e64 s15, s28, v165
	v_dual_mul_f32 v168, s33, v136 :: v_dual_mul_f32 v169, s33, v135
	s_delay_alu instid0(VALU_DEP_4) | instskip(NEXT) | instid1(VALU_DEP_4)
	v_max3_f32 v143, v143, v144, v145
	v_cndmask_b32_e64 v146, 0xff7fffff, v171, s13
	s_delay_alu instid0(VALU_DEP_4) | instskip(SKIP_3) | instid1(VALU_DEP_4)
	v_cndmask_b32_e64 v147, 0xff7fffff, v170, s15
	v_cmp_gt_i32_e64 s16, s28, v166
	v_cmp_gt_i32_e64 s17, s28, v167
	v_lshlrev_b32_e32 v154, 2, v151
	v_max3_f32 v143, v143, v146, v147
	s_delay_alu instid0(VALU_DEP_4) | instskip(NEXT) | instid1(VALU_DEP_4)
	v_cndmask_b32_e64 v144, 0xff7fffff, v169, s16
	v_cndmask_b32_e64 v145, 0xff7fffff, v168, s17
	s_delay_alu instid0(VALU_DEP_1) | instskip(SKIP_3) | instid1(VALU_DEP_1)
	v_max3_f32 v143, v143, v144, v145
	ds_bpermute_b32 v144, v154, v143
	s_waitcnt lgkmcnt(0)
	v_max_f32_e32 v144, v144, v144
	v_max_f32_e32 v153, v143, v144
	s_delay_alu instid0(VALU_DEP_1) | instskip(SKIP_4) | instid1(VALU_DEP_4)
	v_fma_f32 v143, s33, v191, -v153
	v_fma_f32 v144, s33, v192, -v153
	;; [unrolled: 1-line block ×5, first 2 shown]
	v_dual_mul_f32 v143, 0x3fb8aa3b, v143 :: v_dual_mul_f32 v144, 0x3fb8aa3b, v144
	s_delay_alu instid0(VALU_DEP_4) | instskip(SKIP_2) | instid1(VALU_DEP_4)
	v_mul_f32_e32 v130, 0x3fb8aa3b, v130
	v_fma_f32 v132, s33, v132, -v153
	v_mul_f32_e32 v145, 0x3fb8aa3b, v145
	v_exp_f32_e32 v143, v143
	v_exp_f32_e32 v147, v144
	v_fma_f32 v148, s33, v195, -v153
	v_mul_f32_e32 v132, 0x3fb8aa3b, v132
	v_mul_f32_e32 v146, 0x3fb8aa3b, v146
	v_exp_f32_e32 v145, v145
	v_fma_f32 v151, s33, v197, -v153
	v_mul_f32_e32 v148, 0x3fb8aa3b, v148
	v_fma_f32 v134, s33, v134, -v153
	v_exp_f32_e32 v149, v146
	v_cndmask_b32_e32 v144, 0, v143, vcc_lo
	v_fma_f32 v143, s33, v196, -v153
	v_cndmask_b32_e64 v146, 0, v147, s2
	v_exp_f32_e32 v148, v148
	s_delay_alu instid0(VALU_DEP_3) | instskip(NEXT) | instid1(VALU_DEP_3)
	v_dual_mul_f32 v151, 0x3fb8aa3b, v151 :: v_dual_add_f32 v150, 0, v144
	v_dual_mul_f32 v143, 0x3fb8aa3b, v143 :: v_dual_mul_f32 v134, 0x3fb8aa3b, v134
	v_cndmask_b32_e64 v147, 0, v145, s3
	s_delay_alu instid0(TRANS32_DEP_2) | instskip(NEXT) | instid1(VALU_DEP_4)
	v_cndmask_b32_e64 v149, 0, v149, s4
	v_add_f32_e32 v145, v150, v146
	v_fma_f32 v150, s33, v198, -v153
	v_exp_f32_e32 v143, v143
	v_fma_f32 v129, s33, v129, -v153
	v_exp_f32_e32 v155, v151
	s_delay_alu instid0(VALU_DEP_2) | instskip(SKIP_1) | instid1(VALU_DEP_3)
	v_dual_add_f32 v145, v145, v147 :: v_dual_mul_f32 v152, 0x3fb8aa3b, v150
	v_cndmask_b32_e64 v150, 0, v148, s5
	v_mul_f32_e32 v129, 0x3fb8aa3b, v129
	v_fma_f32 v131, s33, v131, -v153
	s_delay_alu instid0(VALU_DEP_4) | instskip(SKIP_1) | instid1(TRANS32_DEP_3)
	v_add_f32_e32 v145, v145, v149
	v_exp_f32_e32 v152, v152
	v_cndmask_b32_e64 v151, 0, v143, s6
	v_exp_f32_e32 v129, v129
	s_delay_alu instid0(TRANS32_DEP_3)
	v_cndmask_b32_e64 v148, 0, v155, s7
	v_add_f32_e32 v143, v145, v150
	v_mul_f32_e32 v131, 0x3fb8aa3b, v131
	v_exp_f32_e32 v130, v130
	v_fma_f32 v133, s33, v133, -v153
	v_fma_f32 v136, s33, v136, -v153
	v_add_f32_e32 v143, v143, v151
	v_cndmask_b32_e64 v152, 0, v152, s8
	v_exp_f32_e32 v145, v131
	v_cndmask_b32_e64 v131, 0, v129, s9
	v_mul_f32_e32 v133, 0x3fb8aa3b, v133
	v_add_f32_e32 v143, v143, v148
	v_cmp_gt_u32_e64 s2, 16, v142
	s_delay_alu instid0(VALU_DEP_2)
	v_add_f32_e32 v129, v143, v152
	v_exp_f32_e32 v143, v132
	v_cndmask_b32_e64 v132, 0, v130, s10
	v_fma_f32 v130, s33, v135, -v153
	v_exp_f32_e32 v135, v133
	v_add_f32_e32 v129, v129, v131
	v_cndmask_b32_e64 v133, 0, v145, s11
	v_exp_f32_e32 v145, v134
	s_delay_alu instid0(VALU_DEP_2) | instskip(NEXT) | instid1(TRANS32_DEP_3)
	v_dual_mul_f32 v130, 0x3fb8aa3b, v130 :: v_dual_add_f32 v129, v129, v132
	v_cndmask_b32_e64 v134, 0, v143, s12
	v_mul_f32_e32 v143, 0x3fb8aa3b, v136
	s_delay_alu instid0(VALU_DEP_3) | instskip(NEXT) | instid1(TRANS32_DEP_3)
	v_exp_f32_e32 v130, v130
	v_cndmask_b32_e64 v135, 0, v135, s13
	v_add_f32_e32 v129, v129, v133
	s_delay_alu instid0(TRANS32_DEP_2) | instskip(SKIP_1) | instid1(VALU_DEP_2)
	v_cndmask_b32_e64 v136, 0, v145, s15
	v_exp_f32_e32 v145, v143
	v_add_f32_e32 v129, v129, v134
	s_waitcnt_depctr 0xfff
	v_cndmask_b32_e64 v143, 0, v130, s16
	v_add_f32_e32 v129, v129, v135
	v_cndmask_b32_e64 v145, 0, v145, s17
	s_delay_alu instid0(VALU_DEP_2) | instskip(NEXT) | instid1(VALU_DEP_1)
	v_add_f32_e32 v129, v129, v136
	v_add_f32_e32 v129, v129, v143
	s_delay_alu instid0(VALU_DEP_1)
	v_add_f32_e32 v129, v129, v145
	ds_bpermute_b32 v130, v154, v129
	s_and_saveexec_b32 s3, s2
	s_cbranch_execz .LBB604_12
; %bb.11:
	v_mul_u32_u24_e32 v142, 0x44, v141
	s_waitcnt lgkmcnt(0)
	v_add_f32_e32 v129, v129, v130
	s_delay_alu instid0(VALU_DEP_2) | instskip(NEXT) | instid1(VALU_DEP_1)
	v_lshl_add_u32 v142, v140, 2, v142
	v_add_nc_u32_e32 v130, 0x4000, v142
	ds_store_2addr_b32 v130, v153, v129 offset1:136
.LBB604_12:
	s_or_b32 exec_lo, exec_lo, s3
	v_lshlrev_b32_e32 v129, 2, v140
	s_waitcnt lgkmcnt(0)
	s_barrier
	buffer_gl0_inv
	v_cmp_eq_u32_e64 s3, 1, v141
	v_add_nc_u32_e32 v142, 0x4000, v129
	ds_load_2addr_b32 v[153:154], v142 offset1:17
	ds_load_2addr_b32 v[155:156], v142 offset0:34 offset1:51
	ds_load_2addr_b32 v[157:158], v142 offset0:68 offset1:85
	;; [unrolled: 1-line block ×4, first 2 shown]
	s_waitcnt lgkmcnt(4)
	v_max3_f32 v129, v153, 0xff7fffff, v154
	s_waitcnt lgkmcnt(3)
	s_delay_alu instid0(VALU_DEP_1) | instskip(SKIP_1) | instid1(VALU_DEP_1)
	v_max3_f32 v129, v129, v155, v156
	s_waitcnt lgkmcnt(2)
	v_max3_f32 v129, v129, v157, v158
	s_waitcnt lgkmcnt(1)
	s_delay_alu instid0(VALU_DEP_1) | instskip(NEXT) | instid1(VALU_DEP_1)
	v_max3_f32 v129, v129, v159, v160
	v_sub_f32_e32 v163, v154, v129
	v_sub_f32_e32 v130, v153, v129
	ds_load_2addr_b32 v[153:154], v142 offset0:170 offset1:187
	v_sub_f32_e32 v155, v155, v129
	v_dual_mul_f32 v163, 0x3fb8aa3b, v163 :: v_dual_mul_f32 v130, 0x3fb8aa3b, v130
	s_delay_alu instid0(VALU_DEP_2) | instskip(NEXT) | instid1(VALU_DEP_2)
	v_mul_f32_e32 v165, 0x3fb8aa3b, v155
	v_exp_f32_e32 v163, v163
	s_delay_alu instid0(VALU_DEP_2)
	v_exp_f32_e32 v164, v130
	v_sub_f32_e32 v130, v156, v129
	ds_load_2addr_b32 v[155:156], v142 offset0:204 offset1:221
	v_exp_f32_e32 v165, v165
	v_mul_f32_e32 v166, 0x3fb8aa3b, v130
	s_waitcnt lgkmcnt(2)
	v_fma_f32 v130, v164, v161, 0
	v_sub_f32_e32 v157, v157, v129
	s_delay_alu instid0(VALU_DEP_3) | instskip(NEXT) | instid1(VALU_DEP_2)
	v_exp_f32_e32 v166, v166
	v_dual_sub_f32 v161, v158, v129 :: v_dual_fmac_f32 v130, v163, v162
	s_waitcnt lgkmcnt(1)
	s_waitcnt_depctr 0xfff
	v_fmac_f32_e32 v130, v165, v153
	v_mul_f32_e32 v167, 0x3fb8aa3b, v157
	ds_load_2addr_b32 v[157:158], v142 offset0:238 offset1:255
	v_sub_f32_e32 v142, v159, v129
	v_dual_sub_f32 v153, v160, v129 :: v_dual_fmac_f32 v130, v166, v154
	v_mul_f32_e32 v159, 0x3fb8aa3b, v161
	v_exp_f32_e32 v161, v167
	s_delay_alu instid0(VALU_DEP_2)
	v_dual_mul_f32 v142, 0x3fb8aa3b, v142 :: v_dual_mul_f32 v153, 0x3fb8aa3b, v153
	s_waitcnt lgkmcnt(0)
	s_barrier
	buffer_gl0_inv
	v_exp_f32_e32 v142, v142
	v_exp_f32_e32 v153, v153
	v_fmac_f32_e32 v130, v161, v155
	v_exp_f32_e32 v159, v159
	s_waitcnt_depctr 0xfff
	v_fmac_f32_e32 v130, v159, v156
	s_delay_alu instid0(VALU_DEP_1) | instskip(NEXT) | instid1(VALU_DEP_1)
	v_fmac_f32_e32 v130, v142, v157
	v_fmac_f32_e32 v130, v153, v158
	s_delay_alu instid0(VALU_DEP_1) | instskip(NEXT) | instid1(VALU_DEP_1)
	v_add_f32_e32 v154, 0x358637bd, v130
	v_div_scale_f32 v155, null, v154, v154, 1.0
	v_div_scale_f32 v158, vcc_lo, 1.0, v154, 1.0
	s_delay_alu instid0(VALU_DEP_2) | instskip(SKIP_2) | instid1(VALU_DEP_1)
	v_rcp_f32_e32 v156, v155
	s_waitcnt_depctr 0xfff
	v_fma_f32 v157, -v155, v156, 1.0
	v_fmac_f32_e32 v156, v157, v156
	v_cndmask_b32_e64 v157, v164, v163, s3
	v_cmp_eq_u32_e64 s3, 2, v141
	s_delay_alu instid0(VALU_DEP_3) | instskip(NEXT) | instid1(VALU_DEP_2)
	v_mul_f32_e32 v160, v158, v156
	v_cndmask_b32_e64 v157, v157, v165, s3
	v_cmp_eq_u32_e64 s3, 3, v141
	s_delay_alu instid0(VALU_DEP_3) | instskip(NEXT) | instid1(VALU_DEP_2)
	v_fma_f32 v162, -v155, v160, v158
	v_cndmask_b32_e64 v157, v157, v166, s3
	v_cmp_eq_u32_e64 s3, 4, v141
	s_delay_alu instid0(VALU_DEP_3) | instskip(NEXT) | instid1(VALU_DEP_2)
	v_fmac_f32_e32 v160, v162, v156
	v_cndmask_b32_e64 v157, v157, v161, s3
	s_delay_alu instid0(VALU_DEP_2) | instskip(SKIP_1) | instid1(VALU_DEP_2)
	v_fma_f32 v155, -v155, v160, v158
	v_cmp_eq_u32_e64 s3, 5, v141
	v_div_fmas_f32 v155, v155, v156, v160
	s_delay_alu instid0(VALU_DEP_2) | instskip(SKIP_2) | instid1(VALU_DEP_3)
	v_cndmask_b32_e64 v157, v157, v159, s3
	v_cmp_eq_u32_e32 vcc_lo, 6, v141
	s_mov_b32 s3, exec_lo
	v_div_fixup_f32 v154, v155, v154, 1.0
	s_delay_alu instid0(VALU_DEP_3) | instskip(SKIP_1) | instid1(VALU_DEP_2)
	v_cndmask_b32_e32 v142, v157, v142, vcc_lo
	v_cmp_eq_u32_e32 vcc_lo, 7, v141
	v_cndmask_b32_e32 v142, v142, v153, vcc_lo
	s_delay_alu instid0(VALU_DEP_1) | instskip(NEXT) | instid1(VALU_DEP_1)
	v_mul_f32_e32 v142, v142, v154
	v_mul_f32_e32 v153, v142, v149
	;; [unrolled: 1-line block ×7, first 2 shown]
	v_dual_mul_f32 v150, v142, v147 :: v_dual_and_b32 v155, 0x7f800000, v154
	v_mul_f32_e32 v149, v142, v146
                                        ; implicit-def: $vgpr146
	s_delay_alu instid0(VALU_DEP_2)
	v_cmpx_ne_u32_e32 0x7f800000, v155
	s_xor_b32 s3, exec_lo, s3
; %bb.13:
	v_bfe_u32 v146, v154, 16, 1
	s_delay_alu instid0(VALU_DEP_1)
	v_add3_u32 v146, v154, v146, 0x7fff
                                        ; implicit-def: $vgpr154
; %bb.14:
	s_and_not1_saveexec_b32 s3, s3
; %bb.15:
	v_and_b32_e32 v146, 0xffff, v154
	v_or_b32_e32 v147, 0x10000, v154
	s_delay_alu instid0(VALU_DEP_2) | instskip(NEXT) | instid1(VALU_DEP_2)
	v_cmp_eq_u32_e32 vcc_lo, 0, v146
	v_cndmask_b32_e32 v146, v147, v154, vcc_lo
; %bb.16:
	s_or_b32 exec_lo, exec_lo, s3
	v_and_b32_e32 v147, 0x7f800000, v149
	s_delay_alu instid0(VALU_DEP_1) | instskip(SKIP_1) | instid1(SALU_CYCLE_1)
	v_cmp_ne_u32_e32 vcc_lo, 0x7f800000, v147
                                        ; implicit-def: $vgpr147
	s_and_saveexec_b32 s3, vcc_lo
	s_xor_b32 s3, exec_lo, s3
; %bb.17:
	v_bfe_u32 v147, v149, 16, 1
	s_delay_alu instid0(VALU_DEP_1)
	v_add3_u32 v147, v149, v147, 0x7fff
                                        ; implicit-def: $vgpr149
; %bb.18:
	s_and_not1_saveexec_b32 s3, s3
; %bb.19:
	v_and_b32_e32 v147, 0xffff, v149
	v_or_b32_e32 v154, 0x10000, v149
	s_delay_alu instid0(VALU_DEP_2) | instskip(NEXT) | instid1(VALU_DEP_2)
	v_cmp_eq_u32_e32 vcc_lo, 0, v147
	v_cndmask_b32_e32 v147, v154, v149, vcc_lo
; %bb.20:
	s_or_b32 exec_lo, exec_lo, s3
	v_and_b32_e32 v149, 0x7f800000, v150
	s_delay_alu instid0(VALU_DEP_1) | instskip(SKIP_1) | instid1(SALU_CYCLE_1)
	v_cmp_ne_u32_e32 vcc_lo, 0x7f800000, v149
                                        ; implicit-def: $vgpr149
	s_and_saveexec_b32 s3, vcc_lo
	s_xor_b32 s3, exec_lo, s3
; %bb.21:
	v_bfe_u32 v149, v150, 16, 1
	s_delay_alu instid0(VALU_DEP_1)
	v_add3_u32 v149, v150, v149, 0x7fff
                                        ; implicit-def: $vgpr150
; %bb.22:
	s_and_not1_saveexec_b32 s3, s3
; %bb.23:
	v_and_b32_e32 v149, 0xffff, v150
	v_or_b32_e32 v154, 0x10000, v150
	s_delay_alu instid0(VALU_DEP_2) | instskip(NEXT) | instid1(VALU_DEP_2)
	v_cmp_eq_u32_e32 vcc_lo, 0, v149
	v_cndmask_b32_e32 v149, v154, v150, vcc_lo
; %bb.24:
	s_or_b32 exec_lo, exec_lo, s3
	v_and_b32_e32 v150, 0x7f800000, v153
	s_delay_alu instid0(VALU_DEP_1) | instskip(SKIP_1) | instid1(SALU_CYCLE_1)
	v_cmp_ne_u32_e32 vcc_lo, 0x7f800000, v150
                                        ; implicit-def: $vgpr150
	s_and_saveexec_b32 s3, vcc_lo
	s_xor_b32 s3, exec_lo, s3
; %bb.25:
	v_bfe_u32 v150, v153, 16, 1
	s_delay_alu instid0(VALU_DEP_1)
	v_add3_u32 v150, v153, v150, 0x7fff
                                        ; implicit-def: $vgpr153
; %bb.26:
	s_and_not1_saveexec_b32 s3, s3
; %bb.27:
	v_and_b32_e32 v150, 0xffff, v153
	v_or_b32_e32 v154, 0x10000, v153
	s_delay_alu instid0(VALU_DEP_2) | instskip(NEXT) | instid1(VALU_DEP_2)
	v_cmp_eq_u32_e32 vcc_lo, 0, v150
	v_cndmask_b32_e32 v150, v154, v153, vcc_lo
; %bb.28:
	s_or_b32 exec_lo, exec_lo, s3
	v_and_b32_e32 v153, 0x7f800000, v152
	s_delay_alu instid0(VALU_DEP_1) | instskip(SKIP_1) | instid1(SALU_CYCLE_1)
	v_cmp_ne_u32_e32 vcc_lo, 0x7f800000, v153
                                        ; implicit-def: $vgpr153
	s_and_saveexec_b32 s3, vcc_lo
	s_xor_b32 s3, exec_lo, s3
; %bb.29:
	v_bfe_u32 v153, v152, 16, 1
	s_delay_alu instid0(VALU_DEP_1)
	v_add3_u32 v153, v152, v153, 0x7fff
                                        ; implicit-def: $vgpr152
; %bb.30:
	s_and_not1_saveexec_b32 s3, s3
; %bb.31:
	v_and_b32_e32 v153, 0xffff, v152
	v_or_b32_e32 v154, 0x10000, v152
	s_delay_alu instid0(VALU_DEP_2) | instskip(NEXT) | instid1(VALU_DEP_2)
	v_cmp_eq_u32_e32 vcc_lo, 0, v153
	v_cndmask_b32_e32 v153, v154, v152, vcc_lo
; %bb.32:
	s_or_b32 exec_lo, exec_lo, s3
	v_and_b32_e32 v152, 0x7f800000, v151
	s_delay_alu instid0(VALU_DEP_1) | instskip(SKIP_1) | instid1(SALU_CYCLE_1)
	v_cmp_ne_u32_e32 vcc_lo, 0x7f800000, v152
                                        ; implicit-def: $vgpr152
	s_and_saveexec_b32 s3, vcc_lo
	s_xor_b32 s3, exec_lo, s3
; %bb.33:
	v_bfe_u32 v152, v151, 16, 1
	s_delay_alu instid0(VALU_DEP_1)
	v_add3_u32 v152, v151, v152, 0x7fff
                                        ; implicit-def: $vgpr151
; %bb.34:
	s_and_not1_saveexec_b32 s3, s3
; %bb.35:
	v_and_b32_e32 v152, 0xffff, v151
	v_or_b32_e32 v154, 0x10000, v151
	s_delay_alu instid0(VALU_DEP_2) | instskip(NEXT) | instid1(VALU_DEP_2)
	v_cmp_eq_u32_e32 vcc_lo, 0, v152
	v_cndmask_b32_e32 v152, v154, v151, vcc_lo
; %bb.36:
	s_or_b32 exec_lo, exec_lo, s3
	v_and_b32_e32 v151, 0x7f800000, v148
	s_delay_alu instid0(VALU_DEP_1) | instskip(SKIP_1) | instid1(SALU_CYCLE_1)
	v_cmp_ne_u32_e32 vcc_lo, 0x7f800000, v151
                                        ; implicit-def: $vgpr151
	s_and_saveexec_b32 s3, vcc_lo
	s_xor_b32 s3, exec_lo, s3
; %bb.37:
	v_bfe_u32 v151, v148, 16, 1
	s_delay_alu instid0(VALU_DEP_1)
	v_add3_u32 v151, v148, v151, 0x7fff
                                        ; implicit-def: $vgpr148
; %bb.38:
	s_and_not1_saveexec_b32 s3, s3
; %bb.39:
	v_and_b32_e32 v151, 0xffff, v148
	v_or_b32_e32 v154, 0x10000, v148
	s_delay_alu instid0(VALU_DEP_2) | instskip(NEXT) | instid1(VALU_DEP_2)
	v_cmp_eq_u32_e32 vcc_lo, 0, v151
	v_cndmask_b32_e32 v151, v154, v148, vcc_lo
; %bb.40:
	s_or_b32 exec_lo, exec_lo, s3
	v_and_b32_e32 v148, 0x7f800000, v144
	s_delay_alu instid0(VALU_DEP_1) | instskip(SKIP_1) | instid1(SALU_CYCLE_1)
	v_cmp_ne_u32_e32 vcc_lo, 0x7f800000, v148
                                        ; implicit-def: $vgpr148
	s_and_saveexec_b32 s3, vcc_lo
	s_xor_b32 s3, exec_lo, s3
; %bb.41:
	v_bfe_u32 v148, v144, 16, 1
	s_delay_alu instid0(VALU_DEP_1)
	v_add3_u32 v148, v144, v148, 0x7fff
                                        ; implicit-def: $vgpr144
; %bb.42:
	s_and_not1_saveexec_b32 s3, s3
; %bb.43:
	v_and_b32_e32 v148, 0xffff, v144
	v_or_b32_e32 v154, 0x10000, v144
	s_delay_alu instid0(VALU_DEP_2) | instskip(NEXT) | instid1(VALU_DEP_2)
	v_cmp_eq_u32_e32 vcc_lo, 0, v148
	v_cndmask_b32_e32 v148, v154, v144, vcc_lo
; %bb.44:
	s_or_b32 exec_lo, exec_lo, s3
	s_load_b64 s[34:35], s[0:1], 0x94
	v_lshlrev_b32_e32 v155, 4, v138
	s_delay_alu instid0(VALU_DEP_2)
	v_perm_b32 v154, v148, v151, 0x7060302
	v_mul_f32_e32 v148, v142, v131
	v_dual_mul_f32 v145, v142, v145 :: v_dual_lshlrev_b32 v144, 6, v140
	v_dual_mul_f32 v143, v142, v143 :: v_dual_lshlrev_b32 v156, 11, v141
	v_perm_b32 v153, v152, v153, 0x7060302
	v_perm_b32 v152, v150, v149, 0x7060302
	;; [unrolled: 1-line block ×3, first 2 shown]
	s_delay_alu instid0(VALU_DEP_4)
	v_or3_b32 v131, v155, v156, v144
	v_mul_f32_e32 v136, v142, v136
	v_dual_mul_f32 v146, v142, v134 :: v_dual_and_b32 v149, 0x7f800000, v148
	v_mul_f32_e32 v135, v142, v135
	v_mul_f32_e32 v147, v142, v133
	;; [unrolled: 1-line block ×3, first 2 shown]
	s_mov_b32 s3, exec_lo
	ds_store_b128 v131, v[151:154]
                                        ; implicit-def: $vgpr132
	v_cmpx_ne_u32_e32 0x7f800000, v149
	s_xor_b32 s3, exec_lo, s3
; %bb.45:
	v_bfe_u32 v132, v148, 16, 1
	s_delay_alu instid0(VALU_DEP_1)
	v_add3_u32 v132, v148, v132, 0x7fff
                                        ; implicit-def: $vgpr148
; %bb.46:
	s_and_not1_saveexec_b32 s3, s3
; %bb.47:
	v_and_b32_e32 v132, 0xffff, v148
	v_or_b32_e32 v133, 0x10000, v148
	s_delay_alu instid0(VALU_DEP_2) | instskip(NEXT) | instid1(VALU_DEP_2)
	v_cmp_eq_u32_e32 vcc_lo, 0, v132
	v_cndmask_b32_e32 v132, v133, v148, vcc_lo
; %bb.48:
	s_or_b32 exec_lo, exec_lo, s3
	v_and_b32_e32 v133, 0x7f800000, v134
	s_delay_alu instid0(VALU_DEP_1) | instskip(SKIP_1) | instid1(SALU_CYCLE_1)
	v_cmp_ne_u32_e32 vcc_lo, 0x7f800000, v133
                                        ; implicit-def: $vgpr133
	s_and_saveexec_b32 s3, vcc_lo
	s_xor_b32 s3, exec_lo, s3
; %bb.49:
	v_bfe_u32 v133, v134, 16, 1
	s_delay_alu instid0(VALU_DEP_1)
	v_add3_u32 v133, v134, v133, 0x7fff
                                        ; implicit-def: $vgpr134
; %bb.50:
	s_and_not1_saveexec_b32 s3, s3
; %bb.51:
	v_and_b32_e32 v133, 0xffff, v134
	v_or_b32_e32 v142, 0x10000, v134
	s_delay_alu instid0(VALU_DEP_2) | instskip(NEXT) | instid1(VALU_DEP_2)
	v_cmp_eq_u32_e32 vcc_lo, 0, v133
	v_cndmask_b32_e32 v133, v142, v134, vcc_lo
; %bb.52:
	s_or_b32 exec_lo, exec_lo, s3
	v_and_b32_e32 v134, 0x7f800000, v147
	s_delay_alu instid0(VALU_DEP_1) | instskip(SKIP_1) | instid1(SALU_CYCLE_1)
	v_cmp_ne_u32_e32 vcc_lo, 0x7f800000, v134
                                        ; implicit-def: $vgpr134
	s_and_saveexec_b32 s3, vcc_lo
	s_xor_b32 s3, exec_lo, s3
; %bb.53:
	v_bfe_u32 v134, v147, 16, 1
	s_delay_alu instid0(VALU_DEP_1)
	v_add3_u32 v134, v147, v134, 0x7fff
                                        ; implicit-def: $vgpr147
; %bb.54:
	s_and_not1_saveexec_b32 s3, s3
; %bb.55:
	v_and_b32_e32 v134, 0xffff, v147
	v_or_b32_e32 v142, 0x10000, v147
	s_delay_alu instid0(VALU_DEP_2) | instskip(NEXT) | instid1(VALU_DEP_2)
	v_cmp_eq_u32_e32 vcc_lo, 0, v134
	v_cndmask_b32_e32 v134, v142, v147, vcc_lo
; %bb.56:
	s_or_b32 exec_lo, exec_lo, s3
	v_and_b32_e32 v142, 0x7f800000, v146
	s_delay_alu instid0(VALU_DEP_1) | instskip(SKIP_1) | instid1(SALU_CYCLE_1)
	v_cmp_ne_u32_e32 vcc_lo, 0x7f800000, v142
                                        ; implicit-def: $vgpr142
	s_and_saveexec_b32 s3, vcc_lo
	s_xor_b32 s3, exec_lo, s3
; %bb.57:
	v_bfe_u32 v142, v146, 16, 1
	s_delay_alu instid0(VALU_DEP_1)
	v_add3_u32 v142, v146, v142, 0x7fff
                                        ; implicit-def: $vgpr146
; %bb.58:
	s_and_not1_saveexec_b32 s3, s3
; %bb.59:
	v_and_b32_e32 v142, 0xffff, v146
	v_or_b32_e32 v147, 0x10000, v146
	s_delay_alu instid0(VALU_DEP_2) | instskip(NEXT) | instid1(VALU_DEP_2)
	v_cmp_eq_u32_e32 vcc_lo, 0, v142
	v_cndmask_b32_e32 v142, v147, v146, vcc_lo
; %bb.60:
	s_or_b32 exec_lo, exec_lo, s3
	v_and_b32_e32 v146, 0x7f800000, v135
	s_delay_alu instid0(VALU_DEP_1) | instskip(SKIP_1) | instid1(SALU_CYCLE_1)
	v_cmp_ne_u32_e32 vcc_lo, 0x7f800000, v146
                                        ; implicit-def: $vgpr146
	s_and_saveexec_b32 s3, vcc_lo
	s_xor_b32 s3, exec_lo, s3
; %bb.61:
	v_bfe_u32 v146, v135, 16, 1
	s_delay_alu instid0(VALU_DEP_1)
	v_add3_u32 v146, v135, v146, 0x7fff
                                        ; implicit-def: $vgpr135
; %bb.62:
	s_and_not1_saveexec_b32 s3, s3
; %bb.63:
	v_and_b32_e32 v146, 0xffff, v135
	v_or_b32_e32 v147, 0x10000, v135
	s_delay_alu instid0(VALU_DEP_2) | instskip(NEXT) | instid1(VALU_DEP_2)
	v_cmp_eq_u32_e32 vcc_lo, 0, v146
	v_cndmask_b32_e32 v146, v147, v135, vcc_lo
; %bb.64:
	s_or_b32 exec_lo, exec_lo, s3
	v_and_b32_e32 v135, 0x7f800000, v136
	s_delay_alu instid0(VALU_DEP_1) | instskip(SKIP_1) | instid1(SALU_CYCLE_1)
	v_cmp_ne_u32_e32 vcc_lo, 0x7f800000, v135
                                        ; implicit-def: $vgpr135
	s_and_saveexec_b32 s3, vcc_lo
	s_xor_b32 s3, exec_lo, s3
; %bb.65:
	v_bfe_u32 v135, v136, 16, 1
	s_delay_alu instid0(VALU_DEP_1)
	v_add3_u32 v135, v136, v135, 0x7fff
                                        ; implicit-def: $vgpr136
; %bb.66:
	s_and_not1_saveexec_b32 s3, s3
; %bb.67:
	v_and_b32_e32 v135, 0xffff, v136
	v_or_b32_e32 v147, 0x10000, v136
	s_delay_alu instid0(VALU_DEP_2) | instskip(NEXT) | instid1(VALU_DEP_2)
	v_cmp_eq_u32_e32 vcc_lo, 0, v135
	v_cndmask_b32_e32 v135, v147, v136, vcc_lo
; %bb.68:
	s_or_b32 exec_lo, exec_lo, s3
	v_and_b32_e32 v136, 0x7f800000, v143
	s_delay_alu instid0(VALU_DEP_1) | instskip(SKIP_1) | instid1(SALU_CYCLE_1)
	v_cmp_ne_u32_e32 vcc_lo, 0x7f800000, v136
                                        ; implicit-def: $vgpr136
	s_and_saveexec_b32 s3, vcc_lo
	s_xor_b32 s3, exec_lo, s3
; %bb.69:
	v_bfe_u32 v136, v143, 16, 1
	s_delay_alu instid0(VALU_DEP_1)
	v_add3_u32 v136, v143, v136, 0x7fff
                                        ; implicit-def: $vgpr143
; %bb.70:
	s_and_not1_saveexec_b32 s3, s3
; %bb.71:
	v_and_b32_e32 v136, 0xffff, v143
	v_or_b32_e32 v147, 0x10000, v143
	s_delay_alu instid0(VALU_DEP_2) | instskip(NEXT) | instid1(VALU_DEP_2)
	v_cmp_eq_u32_e32 vcc_lo, 0, v136
	v_cndmask_b32_e32 v136, v147, v143, vcc_lo
; %bb.72:
	s_or_b32 exec_lo, exec_lo, s3
	v_and_b32_e32 v143, 0x7f800000, v145
	s_delay_alu instid0(VALU_DEP_1) | instskip(SKIP_1) | instid1(SALU_CYCLE_1)
	v_cmp_ne_u32_e32 vcc_lo, 0x7f800000, v143
                                        ; implicit-def: $vgpr143
	s_and_saveexec_b32 s3, vcc_lo
	s_xor_b32 s3, exec_lo, s3
; %bb.73:
	v_bfe_u32 v143, v145, 16, 1
	s_delay_alu instid0(VALU_DEP_1)
	v_add3_u32 v143, v145, v143, 0x7fff
                                        ; implicit-def: $vgpr145
; %bb.74:
	s_and_not1_saveexec_b32 s3, s3
; %bb.75:
	v_and_b32_e32 v143, 0xffff, v145
	v_or_b32_e32 v147, 0x10000, v145
	s_delay_alu instid0(VALU_DEP_2) | instskip(NEXT) | instid1(VALU_DEP_2)
	v_cmp_eq_u32_e32 vcc_lo, 0, v143
	v_cndmask_b32_e32 v143, v147, v145, vcc_lo
; %bb.76:
	s_or_b32 exec_lo, exec_lo, s3
	s_delay_alu instid0(VALU_DEP_1)
	v_perm_b32 v136, v143, v136, 0x7060302
	v_perm_b32 v135, v135, v146, 0x7060302
	;; [unrolled: 1-line block ×4, first 2 shown]
	v_lshl_or_b32 v145, v141, 11, v144
	v_lshlrev_b32_e32 v142, 2, v138
	ds_store_b128 v131, v[133:136] offset:1024
	s_waitcnt lgkmcnt(0)
	s_barrier
	buffer_gl0_inv
	ds_load_b128 v[132:135], v145
	ds_load_b128 v[147:150], v145 offset:16
	v_or_b32_e32 v143, 1, v142
	v_cmp_eq_u32_e64 s12, 1, v142
	v_cmp_eq_u32_e64 s11, 2, v142
	;; [unrolled: 1-line block ×3, first 2 shown]
	v_or_b32_e32 v141, 2, v142
	v_cmp_eq_u32_e64 s7, 1, v143
	v_cmp_eq_u32_e64 s6, 2, v143
	;; [unrolled: 1-line block ×8, first 2 shown]
	v_cmp_eq_u32_e32 vcc_lo, 5, v143
	v_cmp_eq_u32_e64 s10, 2, v141
	v_cmp_eq_u32_e64 s4, 6, v143
	;; [unrolled: 1-line block ×4, first 2 shown]
	s_waitcnt lgkmcnt(1)
	v_lshrrev_b32_e32 v136, 16, v132
	s_waitcnt lgkmcnt(0)
	v_lshrrev_b32_e32 v155, 16, v147
	v_lshrrev_b32_e32 v161, 16, v148
	;; [unrolled: 1-line block ×4, first 2 shown]
	v_cndmask_b32_e64 v146, v132, v136, s12
	v_cndmask_b32_e64 v151, v147, v155, s12
	;; [unrolled: 1-line block ×4, first 2 shown]
	v_lshrrev_b32_e32 v160, 16, v134
	v_cndmask_b32_e64 v146, v146, v133, s11
	v_cndmask_b32_e64 v151, v151, v148, s11
	;; [unrolled: 1-line block ×8, first 2 shown]
	v_lshrrev_b32_e32 v164, 16, v150
	v_cndmask_b32_e64 v153, v153, v161, s5
	v_cndmask_b32_e64 v146, v146, v134, s17
	;; [unrolled: 1-line block ×5, first 2 shown]
	v_lshrrev_b32_e32 v162, 16, v135
	v_cndmask_b32_e64 v146, v146, v160, s13
	v_cndmask_b32_e64 v151, v151, v163, s13
	v_cndmask_b32_e32 v152, v152, v160, vcc_lo
	v_cndmask_b32_e64 v153, v153, v149, s3
	v_cmp_eq_u32_e64 s19, 7, v143
	v_cndmask_b32_e64 v146, v146, v135, s15
	v_cndmask_b32_e64 v151, v151, v150, s15
	v_cndmask_b32_e64 v152, v152, v135, s4
	v_cndmask_b32_e64 v154, v154, v159, s18
	v_cmp_eq_u32_e64 s20, 4, v141
	v_cndmask_b32_e64 v165, v146, v162, s9
	v_cndmask_b32_e64 v166, v151, v164, s9
	;; [unrolled: 1-line block ×3, first 2 shown]
	v_or_b32_e32 v146, 3, v142
	v_cndmask_b32_e64 v167, v152, v162, s19
	v_cndmask_b32_e32 v156, v153, v163, vcc_lo
	v_cndmask_b32_e64 v158, v154, v134, s20
	v_cndmask_b32_e64 v157, v151, v148, s10
	ds_load_b128 v[151:154], v145 offset:1024
	v_cmp_eq_u32_e64 s21, 1, v146
	v_cmp_eq_u32_e64 s22, 5, v141
	;; [unrolled: 1-line block ×3, first 2 shown]
	v_cndmask_b32_e64 v157, v157, v161, s18
	v_cmp_eq_u32_e64 s24, 3, v146
	v_cndmask_b32_e64 v132, v132, v136, s21
	v_cndmask_b32_e64 v136, v156, v150, s4
	;; [unrolled: 1-line block ×5, first 2 shown]
	ds_load_b128 v[155:158], v145 offset:1040
	v_cndmask_b32_e64 v132, v132, v133, s23
	v_cmp_eq_u32_e64 s26, 4, v146
	v_cmp_eq_u32_e64 s28, 5, v146
	v_cndmask_b32_e64 v147, v147, v148, s23
	v_cmp_eq_u32_e64 s25, 6, v141
	v_cndmask_b32_e64 v132, v132, v159, s24
	;; [unrolled: 2-line block ×3, first 2 shown]
	v_cndmask_b32_e64 v147, v147, v161, s24
	s_waitcnt lgkmcnt(1)
	v_lshrrev_b32_e32 v159, 16, v151
	v_cndmask_b32_e64 v132, v132, v134, s26
	v_cndmask_b32_e64 v148, v168, v135, s25
	;; [unrolled: 1-line block ×6, first 2 shown]
	v_lshrrev_b32_e32 v160, 16, v152
	v_cndmask_b32_e64 v161, v151, v159, s7
	v_cndmask_b32_e64 v134, v134, v163, s28
	s_waitcnt lgkmcnt(0)
	v_lshrrev_b32_e32 v149, 16, v155
	v_cndmask_b32_e64 v147, v147, v152, s11
	v_cndmask_b32_e64 v132, v132, v135, s29
	v_cmp_eq_u32_e64 s27, 7, v141
	v_cndmask_b32_e64 v134, v134, v150, s29
	v_cndmask_b32_e64 v163, v155, v149, s12
	;; [unrolled: 1-line block ×4, first 2 shown]
	v_lshrrev_b32_e32 v161, 16, v156
	v_cndmask_b32_e64 v136, v136, v164, s19
	v_cndmask_b32_e64 v150, v163, v156, s11
	v_cmp_eq_u32_e64 s11, 7, v146
	v_cndmask_b32_e64 v147, v147, v160, s5
	v_cndmask_b32_e64 v135, v135, v153, s17
	v_lshrrev_b32_e32 v163, 16, v153
	v_cndmask_b32_e64 v150, v150, v161, s16
	v_cndmask_b32_e64 v132, v132, v162, s11
	;; [unrolled: 1-line block ×8, first 2 shown]
	v_lshrrev_b32_e32 v164, 16, v157
	v_perm_b32 v135, v134, v132, 0x5040100
	v_cndmask_b32_e32 v132, v147, v163, vcc_lo
	v_cndmask_b32_e64 v147, v162, v154, s15
	v_lshrrev_b32_e32 v162, 16, v154
	v_cndmask_b32_e64 v150, v150, v164, s13
	v_perm_b32 v134, v133, v148, 0x5040100
	v_cndmask_b32_e64 v132, v132, v154, s4
	v_perm_b32 v133, v136, v167, 0x5040100
	v_cndmask_b32_e64 v136, v147, v162, s9
	v_cndmask_b32_e64 v147, v150, v158, s15
	;; [unrolled: 1-line block ×27, first 2 shown]
	v_cndmask_b32_e32 v149, v149, v164, vcc_lo
	v_lshrrev_b32_e32 v148, 16, v158
	v_cndmask_b32_e64 v132, v132, v154, s25
	v_cndmask_b32_e64 v150, v150, v154, s29
	;; [unrolled: 1-line block ×11, first 2 shown]
	v_perm_b32 v132, v166, v165, 0x5040100
	v_perm_b32 v150, v151, v150, 0x5040100
	;; [unrolled: 1-line block ×5, first 2 shown]
	s_mul_i32 s8, s35, 3
	s_mov_b32 s3, exec_lo
	ds_store_b128 v131, v[132:135]
	ds_store_b128 v131, v[147:150] offset:1024
	v_cmpx_gt_u32_e32 3, v0
	s_cbranch_execz .LBB604_78
; %bb.77:
	s_mul_i32 s4, s8, s30
	s_delay_alu instid0(SALU_CYCLE_1) | instskip(SKIP_1) | instid1(VALU_DEP_1)
	v_add3_u32 v133, s4, s31, v140
	s_load_b128 s[4:7], s[0:1], 0x58
	v_mad_u64_u32 v[131:132], null, v133, s34, s[14:15]
	s_delay_alu instid0(VALU_DEP_1) | instskip(NEXT) | instid1(VALU_DEP_1)
	v_ashrrev_i32_e32 v132, 31, v131
	v_lshlrev_b64 v[131:132], 2, v[131:132]
	s_waitcnt lgkmcnt(0)
	s_delay_alu instid0(VALU_DEP_1) | instskip(NEXT) | instid1(VALU_DEP_2)
	v_add_co_u32 v133, vcc_lo, s6, v131
	v_add_co_ci_u32_e32 v134, vcc_lo, s7, v132, vcc_lo
	v_add_co_u32 v131, vcc_lo, s4, v131
	v_add_co_ci_u32_e32 v132, vcc_lo, s5, v132, vcc_lo
	global_store_b32 v[133:134], v129, off
	global_store_b32 v[131:132], v130, off
.LBB604_78:
	s_or_b32 exec_lo, exec_lo, s3
	s_waitcnt lgkmcnt(0)
	s_waitcnt_vscnt null, 0x0
	s_barrier
	buffer_gl0_inv
	ds_load_b128 v[147:150], v144
	ds_load_b128 v[151:154], v144 offset:16
	ds_load_b128 v[159:162], v144 offset:1040
	;; [unrolled: 1-line block ×3, first 2 shown]
	v_mov_b32_e32 v129, 0
	ds_load_b128 v[167:170], v144 offset:2064
	ds_load_b128 v[163:166], v144 offset:2048
	;; [unrolled: 1-line block ×6, first 2 shown]
	v_mov_b32_e32 v130, v129
	v_mov_b32_e32 v131, v129
	;; [unrolled: 1-line block ×7, first 2 shown]
	s_waitcnt lgkmcnt(8)
	s_delay_alu instid0(VALU_DEP_1)
	v_wmma_f32_16x16x16_bf16 v[129:136], v[121:128], v[147:154], v[129:136]
	ds_load_b128 v[125:128], v144 offset:5136
	ds_load_b128 v[121:124], v144 offset:5120
	s_waitcnt lgkmcnt(8)
	v_wmma_f32_16x16x16_bf16 v[129:136], v[113:120], v[155:162], v[129:136]
	ds_load_b128 v[117:120], v144 offset:6160
	ds_load_b128 v[113:116], v144 offset:6144
	s_waitcnt lgkmcnt(8)
	;; [unrolled: 4-line block ×8, first 2 shown]
	v_wmma_f32_16x16x16_bf16 v[129:136], v[65:72], v[97:104], v[129:136]
	s_waitcnt lgkmcnt(6)
	s_delay_alu instid0(VALU_DEP_1)
	v_wmma_f32_16x16x16_bf16 v[129:136], v[49:56], v[89:96], v[129:136]
	ds_load_b128 v[53:56], v144 offset:13328
	ds_load_b128 v[49:52], v144 offset:13312
	s_waitcnt lgkmcnt(6)
	v_wmma_f32_16x16x16_bf16 v[129:136], v[41:48], v[81:88], v[129:136]
	ds_load_b128 v[45:48], v144 offset:14352
	ds_load_b128 v[41:44], v144 offset:14336
	s_waitcnt lgkmcnt(6)
	;; [unrolled: 4-line block ×3, first 2 shown]
	v_wmma_f32_16x16x16_bf16 v[129:136], v[1:8], v[57:64], v[129:136]
	s_waitcnt lgkmcnt(4)
	s_delay_alu instid0(VALU_DEP_1) | instskip(SKIP_1) | instid1(VALU_DEP_1)
	v_wmma_f32_16x16x16_bf16 v[129:136], v[25:32], v[49:56], v[129:136]
	s_waitcnt lgkmcnt(2)
	v_wmma_f32_16x16x16_bf16 v[129:136], v[33:40], v[41:48], v[129:136]
	s_waitcnt lgkmcnt(0)
	s_delay_alu instid0(VALU_DEP_1) | instskip(NEXT) | instid1(VALU_DEP_1)
	v_wmma_f32_16x16x16_bf16 v[129:136], v[9:16], v[17:24], v[129:136]
	v_and_b32_e32 v1, 0x7f800000, v129
	s_delay_alu instid0(VALU_DEP_1) | instskip(SKIP_1) | instid1(SALU_CYCLE_1)
	v_cmp_ne_u32_e32 vcc_lo, 0x7f800000, v1
                                        ; implicit-def: $vgpr1
	s_and_saveexec_b32 s3, vcc_lo
	s_xor_b32 s3, exec_lo, s3
; %bb.79:
	v_bfe_u32 v1, v129, 16, 1
	s_delay_alu instid0(VALU_DEP_1)
	v_add3_u32 v1, v129, v1, 0x7fff
; %bb.80:
	s_and_not1_saveexec_b32 s3, s3
; %bb.81:
	v_and_b32_e32 v1, 0xffff, v129
	v_or_b32_e32 v2, 0x10000, v129
	s_delay_alu instid0(VALU_DEP_2) | instskip(NEXT) | instid1(VALU_DEP_2)
	v_cmp_eq_u32_e32 vcc_lo, 0, v1
	v_cndmask_b32_e32 v1, v2, v129, vcc_lo
; %bb.82:
	s_or_b32 exec_lo, exec_lo, s3
	v_and_b32_e32 v2, 0x7f800000, v130
	s_delay_alu instid0(VALU_DEP_1) | instskip(SKIP_1) | instid1(SALU_CYCLE_1)
	v_cmp_ne_u32_e32 vcc_lo, 0x7f800000, v2
                                        ; implicit-def: $vgpr2
	s_and_saveexec_b32 s3, vcc_lo
	s_xor_b32 s3, exec_lo, s3
; %bb.83:
	v_bfe_u32 v2, v130, 16, 1
	s_delay_alu instid0(VALU_DEP_1)
	v_add3_u32 v2, v130, v2, 0x7fff
; %bb.84:
	s_and_not1_saveexec_b32 s3, s3
; %bb.85:
	v_and_b32_e32 v2, 0xffff, v130
	v_or_b32_e32 v3, 0x10000, v130
	s_delay_alu instid0(VALU_DEP_2) | instskip(NEXT) | instid1(VALU_DEP_2)
	v_cmp_eq_u32_e32 vcc_lo, 0, v2
	v_cndmask_b32_e32 v2, v3, v130, vcc_lo
; %bb.86:
	s_or_b32 exec_lo, exec_lo, s3
	v_and_b32_e32 v3, 0x7f800000, v131
	s_delay_alu instid0(VALU_DEP_1) | instskip(SKIP_1) | instid1(SALU_CYCLE_1)
	v_cmp_ne_u32_e32 vcc_lo, 0x7f800000, v3
                                        ; implicit-def: $vgpr3
	s_and_saveexec_b32 s3, vcc_lo
	s_xor_b32 s3, exec_lo, s3
; %bb.87:
	v_bfe_u32 v3, v131, 16, 1
	s_delay_alu instid0(VALU_DEP_1)
	v_add3_u32 v3, v131, v3, 0x7fff
; %bb.88:
	s_and_not1_saveexec_b32 s3, s3
; %bb.89:
	v_and_b32_e32 v3, 0xffff, v131
	v_or_b32_e32 v4, 0x10000, v131
	s_delay_alu instid0(VALU_DEP_2) | instskip(NEXT) | instid1(VALU_DEP_2)
	v_cmp_eq_u32_e32 vcc_lo, 0, v3
	v_cndmask_b32_e32 v3, v4, v131, vcc_lo
; %bb.90:
	s_or_b32 exec_lo, exec_lo, s3
	v_and_b32_e32 v4, 0x7f800000, v132
	s_delay_alu instid0(VALU_DEP_1) | instskip(SKIP_1) | instid1(SALU_CYCLE_1)
	v_cmp_ne_u32_e32 vcc_lo, 0x7f800000, v4
                                        ; implicit-def: $vgpr4
	s_and_saveexec_b32 s3, vcc_lo
	s_xor_b32 s3, exec_lo, s3
; %bb.91:
	v_bfe_u32 v4, v132, 16, 1
	s_delay_alu instid0(VALU_DEP_1)
	v_add3_u32 v4, v132, v4, 0x7fff
; %bb.92:
	s_and_not1_saveexec_b32 s3, s3
; %bb.93:
	v_and_b32_e32 v4, 0xffff, v132
	v_or_b32_e32 v5, 0x10000, v132
	s_delay_alu instid0(VALU_DEP_2) | instskip(NEXT) | instid1(VALU_DEP_2)
	v_cmp_eq_u32_e32 vcc_lo, 0, v4
	v_cndmask_b32_e32 v4, v5, v132, vcc_lo
; %bb.94:
	s_or_b32 exec_lo, exec_lo, s3
	v_and_b32_e32 v5, 0x7f800000, v133
	s_delay_alu instid0(VALU_DEP_1) | instskip(SKIP_1) | instid1(SALU_CYCLE_1)
	v_cmp_ne_u32_e32 vcc_lo, 0x7f800000, v5
                                        ; implicit-def: $vgpr5
	s_and_saveexec_b32 s3, vcc_lo
	s_xor_b32 s3, exec_lo, s3
; %bb.95:
	v_bfe_u32 v5, v133, 16, 1
	s_delay_alu instid0(VALU_DEP_1)
	v_add3_u32 v5, v133, v5, 0x7fff
; %bb.96:
	s_and_not1_saveexec_b32 s3, s3
; %bb.97:
	v_and_b32_e32 v5, 0xffff, v133
	v_or_b32_e32 v6, 0x10000, v133
	s_delay_alu instid0(VALU_DEP_2) | instskip(NEXT) | instid1(VALU_DEP_2)
	v_cmp_eq_u32_e32 vcc_lo, 0, v5
	v_cndmask_b32_e32 v5, v6, v133, vcc_lo
; %bb.98:
	s_or_b32 exec_lo, exec_lo, s3
	v_and_b32_e32 v6, 0x7f800000, v134
	s_delay_alu instid0(VALU_DEP_1) | instskip(SKIP_1) | instid1(SALU_CYCLE_1)
	v_cmp_ne_u32_e32 vcc_lo, 0x7f800000, v6
                                        ; implicit-def: $vgpr6
	s_and_saveexec_b32 s3, vcc_lo
	s_xor_b32 s3, exec_lo, s3
; %bb.99:
	v_bfe_u32 v6, v134, 16, 1
	s_delay_alu instid0(VALU_DEP_1)
	v_add3_u32 v6, v134, v6, 0x7fff
; %bb.100:
	s_and_not1_saveexec_b32 s3, s3
; %bb.101:
	v_and_b32_e32 v6, 0xffff, v134
	v_or_b32_e32 v7, 0x10000, v134
	s_delay_alu instid0(VALU_DEP_2) | instskip(NEXT) | instid1(VALU_DEP_2)
	v_cmp_eq_u32_e32 vcc_lo, 0, v6
	v_cndmask_b32_e32 v6, v7, v134, vcc_lo
; %bb.102:
	s_or_b32 exec_lo, exec_lo, s3
	v_and_b32_e32 v7, 0x7f800000, v135
	s_delay_alu instid0(VALU_DEP_1) | instskip(SKIP_1) | instid1(SALU_CYCLE_1)
	v_cmp_ne_u32_e32 vcc_lo, 0x7f800000, v7
                                        ; implicit-def: $vgpr7
	s_and_saveexec_b32 s3, vcc_lo
	s_xor_b32 s3, exec_lo, s3
; %bb.103:
	v_bfe_u32 v7, v135, 16, 1
	s_delay_alu instid0(VALU_DEP_1)
	v_add3_u32 v7, v135, v7, 0x7fff
; %bb.104:
	s_and_not1_saveexec_b32 s3, s3
; %bb.105:
	v_and_b32_e32 v7, 0xffff, v135
	v_or_b32_e32 v8, 0x10000, v135
	s_delay_alu instid0(VALU_DEP_2) | instskip(NEXT) | instid1(VALU_DEP_2)
	v_cmp_eq_u32_e32 vcc_lo, 0, v7
	v_cndmask_b32_e32 v7, v8, v135, vcc_lo
; %bb.106:
	s_or_b32 exec_lo, exec_lo, s3
	v_and_b32_e32 v8, 0x7f800000, v136
	s_delay_alu instid0(VALU_DEP_1) | instskip(SKIP_1) | instid1(SALU_CYCLE_1)
	v_cmp_ne_u32_e32 vcc_lo, 0x7f800000, v8
                                        ; implicit-def: $vgpr8
	s_and_saveexec_b32 s3, vcc_lo
	s_xor_b32 s3, exec_lo, s3
; %bb.107:
	v_bfe_u32 v8, v136, 16, 1
	s_delay_alu instid0(VALU_DEP_1)
	v_add3_u32 v8, v136, v8, 0x7fff
                                        ; implicit-def: $vgpr129_vgpr130_vgpr131_vgpr132_vgpr133_vgpr134_vgpr135_vgpr136
; %bb.108:
	s_and_not1_saveexec_b32 s3, s3
; %bb.109:
	v_and_b32_e32 v8, 0xffff, v136
	v_or_b32_e32 v9, 0x10000, v136
	s_delay_alu instid0(VALU_DEP_2) | instskip(NEXT) | instid1(VALU_DEP_2)
	v_cmp_eq_u32_e32 vcc_lo, 0, v8
	v_cndmask_b32_e32 v8, v9, v136, vcc_lo
; %bb.110:
	s_or_b32 exec_lo, exec_lo, s3
	s_delay_alu instid0(VALU_DEP_1)
	v_perm_b32 v7, v8, v7, 0x7060302
	v_perm_b32 v6, v6, v5, 0x7060302
	;; [unrolled: 1-line block ×4, first 2 shown]
	v_lshl_or_b32 v9, v138, 4, v145
	s_barrier
	buffer_gl0_inv
	v_cmp_eq_u32_e32 vcc_lo, 1, v142
	ds_store_b128 v9, v[4:7]
	s_waitcnt lgkmcnt(0)
	s_barrier
	buffer_gl0_inv
	ds_load_b128 v[1:4], v145
	ds_load_b128 v[5:8], v145 offset:16
	v_cmp_eq_u32_e64 s4, 2, v142
	v_cmp_eq_u32_e64 s3, 1, v143
	v_cmp_eq_u32_e64 s5, 3, v142
	v_cmp_eq_u32_e64 s7, 2, v141
	v_cmp_eq_u32_e64 s6, 7, v143
	s_waitcnt lgkmcnt(1)
	v_lshrrev_b32_e32 v10, 16, v1
	s_waitcnt lgkmcnt(0)
	v_lshrrev_b32_e32 v14, 16, v5
	v_lshrrev_b32_e32 v15, 16, v6
	;; [unrolled: 1-line block ×4, first 2 shown]
	v_cndmask_b32_e64 v20, v1, v10, s3
	v_cndmask_b32_e32 v19, v5, v14, vcc_lo
	v_cndmask_b32_e64 v21, v5, v14, s3
	v_lshrrev_b32_e32 v16, 16, v7
	v_cmp_eq_u32_e64 s3, 1, v141
	v_lshrrev_b32_e32 v13, 16, v4
	v_cndmask_b32_e64 v19, v19, v6, s4
	v_lshrrev_b32_e32 v17, 16, v8
	s_delay_alu instid0(VALU_DEP_4) | instskip(SKIP_1) | instid1(VALU_DEP_4)
	v_cndmask_b32_e64 v22, v1, v10, s3
	v_cndmask_b32_e64 v23, v5, v14, s3
	;; [unrolled: 1-line block ×3, first 2 shown]
	v_cndmask_b32_e32 v18, v1, v10, vcc_lo
	v_cmp_eq_u32_e32 vcc_lo, 2, v143
	v_cmp_eq_u32_e64 s3, 2, v146
	v_cndmask_b32_e64 v22, v22, v2, s7
	v_cndmask_b32_e32 v20, v20, v2, vcc_lo
	v_cndmask_b32_e32 v21, v21, v6, vcc_lo
	v_cmp_eq_u32_e32 vcc_lo, 4, v142
	v_cndmask_b32_e32 v19, v19, v7, vcc_lo
	v_cndmask_b32_e64 v18, v18, v2, s4
	v_cmp_eq_u32_e64 s4, 3, v143
	s_delay_alu instid0(VALU_DEP_2) | instskip(NEXT) | instid1(VALU_DEP_2)
	v_cndmask_b32_e64 v18, v18, v11, s5
	v_cndmask_b32_e64 v21, v21, v15, s4
	v_cmp_eq_u32_e64 s5, 5, v142
	s_delay_alu instid0(VALU_DEP_3) | instskip(SKIP_1) | instid1(VALU_DEP_3)
	v_cndmask_b32_e32 v18, v18, v3, vcc_lo
	v_cmp_eq_u32_e32 vcc_lo, 4, v143
	v_cndmask_b32_e64 v19, v19, v16, s5
	s_delay_alu instid0(VALU_DEP_3) | instskip(SKIP_4) | instid1(VALU_DEP_3)
	v_cndmask_b32_e64 v18, v18, v12, s5
	v_cndmask_b32_e32 v21, v21, v7, vcc_lo
	v_cndmask_b32_e64 v20, v20, v11, s4
	v_cmp_eq_u32_e64 s4, 5, v143
	v_cmp_eq_u32_e64 s5, 6, v142
	v_cndmask_b32_e32 v20, v20, v3, vcc_lo
	s_delay_alu instid0(VALU_DEP_3) | instskip(SKIP_1) | instid1(VALU_DEP_4)
	v_cndmask_b32_e64 v21, v21, v16, s4
	v_cmp_eq_u32_e32 vcc_lo, 6, v143
	v_cndmask_b32_e64 v18, v18, v4, s5
	v_cndmask_b32_e64 v19, v19, v8, s5
	v_cndmask_b32_e64 v20, v20, v12, s4
	v_cmp_eq_u32_e64 s4, 1, v146
	v_cmp_eq_u32_e64 s5, 7, v142
	s_delay_alu instid0(VALU_DEP_3) | instskip(NEXT) | instid1(VALU_DEP_3)
	v_cndmask_b32_e32 v20, v20, v4, vcc_lo
	v_cndmask_b32_e64 v1, v1, v10, s4
	v_cndmask_b32_e64 v5, v5, v14, s4
	v_cmp_eq_u32_e64 s4, 3, v141
	v_cndmask_b32_e64 v14, v23, v6, s7
	v_cmp_eq_u32_e64 s7, 3, v146
	v_cndmask_b32_e64 v1, v1, v2, s3
	v_cndmask_b32_e64 v2, v5, v6, s3
	;; [unrolled: 1-line block ×3, first 2 shown]
	v_cmp_eq_u32_e64 s3, 4, v141
	v_cndmask_b32_e64 v6, v14, v15, s4
	v_cndmask_b32_e64 v1, v1, v11, s7
	v_cmp_eq_u32_e64 s4, 4, v146
	v_cndmask_b32_e64 v2, v2, v15, s7
	v_cndmask_b32_e64 v5, v10, v3, s3
	;; [unrolled: 3-line block ×3, first 2 shown]
	v_cndmask_b32_e64 v2, v2, v7, s4
	v_cmp_eq_u32_e64 s3, 5, v146
	v_cndmask_b32_e64 v5, v5, v12, s7
	v_cmp_eq_u32_e64 s4, 6, v141
	;; [unrolled: 2-line block ×3, first 2 shown]
	v_cndmask_b32_e64 v1, v1, v12, s3
	v_cndmask_b32_e64 v2, v2, v16, s3
	;; [unrolled: 1-line block ×4, first 2 shown]
	v_cmp_eq_u32_e64 s3, 7, v146
	v_cndmask_b32_e64 v1, v1, v4, s7
	v_cndmask_b32_e64 v2, v2, v8, s7
	v_cmp_eq_u32_e64 s4, 7, v141
	v_cndmask_b32_e32 v4, v21, v8, vcc_lo
	v_cndmask_b32_e64 v18, v18, v13, s5
	v_cndmask_b32_e64 v20, v20, v13, s6
	;; [unrolled: 1-line block ×8, first 2 shown]
	s_mov_b32 s3, exec_lo
	v_perm_b32 v4, v2, v1, 0x5040100
	v_perm_b32 v3, v3, v5, 0x5040100
	;; [unrolled: 1-line block ×4, first 2 shown]
	ds_store_b128 v9, v[1:4]
	s_waitcnt lgkmcnt(0)
	s_barrier
	buffer_gl0_inv
	v_cmpx_gt_u32_e32 32, v0
	s_cbranch_execz .LBB604_2
; %bb.111:
	s_load_b64 s[4:5], s[0:1], 0x68
	v_lshlrev_b32_e32 v0, 10, v0
	v_lshlrev_b32_e32 v2, 4, v139
	v_add_nc_u32_e32 v1, s31, v138
	s_lshl_b32 s0, s34, 7
	s_delay_alu instid0(SALU_CYCLE_1) | instskip(NEXT) | instid1(VALU_DEP_2)
	s_mul_i32 s1, s0, s30
	v_and_or_b32 v0, 0x3800, v0, v2
	s_mul_i32 s6, s1, s8
	v_mul_lo_u32 v1, v1, s0
	s_ashr_i32 s7, s6, 31
	s_delay_alu instid0(VALU_DEP_2) | instskip(SKIP_1) | instid1(VALU_DEP_2)
	v_lshl_or_b32 v3, v138, 6, v0
	s_lshl_b64 s[6:7], s[6:7], 1
	v_ashrrev_i32_e32 v2, 31, v1
	ds_load_b128 v[3:6], v3
	s_waitcnt lgkmcnt(0)
	s_add_u32 s1, s4, s6
	s_addc_u32 s3, s5, s7
	s_lshl_b32 s4, s14, 7
	v_lshlrev_b64 v[7:8], 1, v[1:2]
	s_ashr_i32 s5, s4, 31
	s_delay_alu instid0(SALU_CYCLE_1) | instskip(NEXT) | instid1(SALU_CYCLE_1)
	s_lshl_b64 s[4:5], s[4:5], 1
	s_add_u32 s1, s1, s4
	s_addc_u32 s3, s3, s5
	v_add_co_u32 v1, s1, s1, v137
	s_delay_alu instid0(VALU_DEP_1) | instskip(NEXT) | instid1(VALU_DEP_2)
	v_add_co_ci_u32_e64 v2, null, s3, 0, s1
	v_add_co_u32 v7, vcc_lo, v1, v7
	s_delay_alu instid0(VALU_DEP_2)
	v_add_co_ci_u32_e32 v8, vcc_lo, v2, v8, vcc_lo
	global_store_b128 v[7:8], v[3:6], off
	s_and_b32 exec_lo, exec_lo, s2
	s_cbranch_execz .LBB604_2
; %bb.112:
	ds_load_b128 v[3:6], v0 offset:128
	s_add_i32 s1, s31, 2
	s_delay_alu instid0(SALU_CYCLE_1) | instskip(NEXT) | instid1(SALU_CYCLE_1)
	s_mul_i32 s0, s1, s0
	s_ashr_i32 s1, s0, 31
	s_delay_alu instid0(SALU_CYCLE_1) | instskip(NEXT) | instid1(SALU_CYCLE_1)
	s_lshl_b64 s[0:1], s[0:1], 1
	v_add_co_u32 v0, vcc_lo, v1, s0
	v_add_co_ci_u32_e32 v1, vcc_lo, s1, v2, vcc_lo
	s_waitcnt lgkmcnt(0)
	global_store_b128 v[0:1], v[3:6], off
	s_nop 0
	s_sendmsg sendmsg(MSG_DEALLOC_VGPRS)
	s_endpgm
	.section	.rodata,"a",@progbits
	.p2align	6, 0x0
	.amdhsa_kernel _Z39paged_attention_ll4mi_QKV_mfma16_kernelI14__hip_bfloat16S0_LN4vllm18Fp8KVCacheDataTypeE0EhLi16ELi128ELi256ELb1ELi3EL8MFMAType0EEvPKT_PKT0_S9_ifPKiSB_SB_iPKfiiiPfSE_PS4_PT2_iSD_SD_
		.amdhsa_group_segment_fixed_size 17472
		.amdhsa_private_segment_fixed_size 0
		.amdhsa_kernarg_size 400
		.amdhsa_user_sgpr_count 13
		.amdhsa_user_sgpr_dispatch_ptr 0
		.amdhsa_user_sgpr_queue_ptr 0
		.amdhsa_user_sgpr_kernarg_segment_ptr 1
		.amdhsa_user_sgpr_dispatch_id 0
		.amdhsa_user_sgpr_private_segment_size 0
		.amdhsa_wavefront_size32 1
		.amdhsa_uses_dynamic_stack 0
		.amdhsa_enable_private_segment 0
		.amdhsa_system_sgpr_workgroup_id_x 1
		.amdhsa_system_sgpr_workgroup_id_y 1
		.amdhsa_system_sgpr_workgroup_id_z 1
		.amdhsa_system_sgpr_workgroup_info 0
		.amdhsa_system_vgpr_workitem_id 0
		.amdhsa_next_free_vgpr 218
		.amdhsa_next_free_sgpr 50
		.amdhsa_reserve_vcc 1
		.amdhsa_float_round_mode_32 0
		.amdhsa_float_round_mode_16_64 0
		.amdhsa_float_denorm_mode_32 3
		.amdhsa_float_denorm_mode_16_64 3
		.amdhsa_dx10_clamp 1
		.amdhsa_ieee_mode 1
		.amdhsa_fp16_overflow 0
		.amdhsa_workgroup_processor_mode 1
		.amdhsa_memory_ordered 1
		.amdhsa_forward_progress 0
		.amdhsa_shared_vgpr_count 0
		.amdhsa_exception_fp_ieee_invalid_op 0
		.amdhsa_exception_fp_denorm_src 0
		.amdhsa_exception_fp_ieee_div_zero 0
		.amdhsa_exception_fp_ieee_overflow 0
		.amdhsa_exception_fp_ieee_underflow 0
		.amdhsa_exception_fp_ieee_inexact 0
		.amdhsa_exception_int_div_zero 0
	.end_amdhsa_kernel
	.section	.text._Z39paged_attention_ll4mi_QKV_mfma16_kernelI14__hip_bfloat16S0_LN4vllm18Fp8KVCacheDataTypeE0EhLi16ELi128ELi256ELb1ELi3EL8MFMAType0EEvPKT_PKT0_S9_ifPKiSB_SB_iPKfiiiPfSE_PS4_PT2_iSD_SD_,"axG",@progbits,_Z39paged_attention_ll4mi_QKV_mfma16_kernelI14__hip_bfloat16S0_LN4vllm18Fp8KVCacheDataTypeE0EhLi16ELi128ELi256ELb1ELi3EL8MFMAType0EEvPKT_PKT0_S9_ifPKiSB_SB_iPKfiiiPfSE_PS4_PT2_iSD_SD_,comdat
.Lfunc_end604:
	.size	_Z39paged_attention_ll4mi_QKV_mfma16_kernelI14__hip_bfloat16S0_LN4vllm18Fp8KVCacheDataTypeE0EhLi16ELi128ELi256ELb1ELi3EL8MFMAType0EEvPKT_PKT0_S9_ifPKiSB_SB_iPKfiiiPfSE_PS4_PT2_iSD_SD_, .Lfunc_end604-_Z39paged_attention_ll4mi_QKV_mfma16_kernelI14__hip_bfloat16S0_LN4vllm18Fp8KVCacheDataTypeE0EhLi16ELi128ELi256ELb1ELi3EL8MFMAType0EEvPKT_PKT0_S9_ifPKiSB_SB_iPKfiiiPfSE_PS4_PT2_iSD_SD_
                                        ; -- End function
	.section	.AMDGPU.csdata,"",@progbits
; Kernel info:
; codeLenInByte = 10164
; NumSgprs: 52
; NumVgprs: 218
; ScratchSize: 0
; MemoryBound: 0
; FloatMode: 240
; IeeeMode: 1
; LDSByteSize: 17472 bytes/workgroup (compile time only)
; SGPRBlocks: 6
; VGPRBlocks: 27
; NumSGPRsForWavesPerEU: 52
; NumVGPRsForWavesPerEU: 218
; Occupancy: 6
; WaveLimiterHint : 1
; COMPUTE_PGM_RSRC2:SCRATCH_EN: 0
; COMPUTE_PGM_RSRC2:USER_SGPR: 13
; COMPUTE_PGM_RSRC2:TRAP_HANDLER: 0
; COMPUTE_PGM_RSRC2:TGID_X_EN: 1
; COMPUTE_PGM_RSRC2:TGID_Y_EN: 1
; COMPUTE_PGM_RSRC2:TGID_Z_EN: 1
; COMPUTE_PGM_RSRC2:TIDIG_COMP_CNT: 0
	.section	.text._Z39paged_attention_ll4mi_QKV_mfma16_kernelI14__hip_bfloat16S0_LN4vllm18Fp8KVCacheDataTypeE0EhLi16ELi128ELi256ELb1ELi4EL8MFMAType0EEvPKT_PKT0_S9_ifPKiSB_SB_iPKfiiiPfSE_PS4_PT2_iSD_SD_,"axG",@progbits,_Z39paged_attention_ll4mi_QKV_mfma16_kernelI14__hip_bfloat16S0_LN4vllm18Fp8KVCacheDataTypeE0EhLi16ELi128ELi256ELb1ELi4EL8MFMAType0EEvPKT_PKT0_S9_ifPKiSB_SB_iPKfiiiPfSE_PS4_PT2_iSD_SD_,comdat
	.protected	_Z39paged_attention_ll4mi_QKV_mfma16_kernelI14__hip_bfloat16S0_LN4vllm18Fp8KVCacheDataTypeE0EhLi16ELi128ELi256ELb1ELi4EL8MFMAType0EEvPKT_PKT0_S9_ifPKiSB_SB_iPKfiiiPfSE_PS4_PT2_iSD_SD_ ; -- Begin function _Z39paged_attention_ll4mi_QKV_mfma16_kernelI14__hip_bfloat16S0_LN4vllm18Fp8KVCacheDataTypeE0EhLi16ELi128ELi256ELb1ELi4EL8MFMAType0EEvPKT_PKT0_S9_ifPKiSB_SB_iPKfiiiPfSE_PS4_PT2_iSD_SD_
	.globl	_Z39paged_attention_ll4mi_QKV_mfma16_kernelI14__hip_bfloat16S0_LN4vllm18Fp8KVCacheDataTypeE0EhLi16ELi128ELi256ELb1ELi4EL8MFMAType0EEvPKT_PKT0_S9_ifPKiSB_SB_iPKfiiiPfSE_PS4_PT2_iSD_SD_
	.p2align	8
	.type	_Z39paged_attention_ll4mi_QKV_mfma16_kernelI14__hip_bfloat16S0_LN4vllm18Fp8KVCacheDataTypeE0EhLi16ELi128ELi256ELb1ELi4EL8MFMAType0EEvPKT_PKT0_S9_ifPKiSB_SB_iPKfiiiPfSE_PS4_PT2_iSD_SD_,@function
_Z39paged_attention_ll4mi_QKV_mfma16_kernelI14__hip_bfloat16S0_LN4vllm18Fp8KVCacheDataTypeE0EhLi16ELi128ELi256ELb1ELi4EL8MFMAType0EEvPKT_PKT0_S9_ifPKiSB_SB_iPKfiiiPfSE_PS4_PT2_iSD_SD_: ; @_Z39paged_attention_ll4mi_QKV_mfma16_kernelI14__hip_bfloat16S0_LN4vllm18Fp8KVCacheDataTypeE0EhLi16ELi128ELi256ELb1ELi4EL8MFMAType0EEvPKT_PKT0_S9_ifPKiSB_SB_iPKfiiiPfSE_PS4_PT2_iSD_SD_
; %bb.0:
	s_load_b64 s[4:5], s[0:1], 0x30
	s_mov_b32 s30, s13
	s_waitcnt lgkmcnt(0)
	s_cmp_lg_u64 s[4:5], 0
	s_cselect_b32 s12, -1, 0
	s_ashr_i32 s31, s13, 31
	s_cmp_eq_u64 s[4:5], 0
	s_cbranch_scc1 .LBB605_3
; %bb.1:
	s_lshl_b64 s[2:3], s[30:31], 2
	s_delay_alu instid0(SALU_CYCLE_1) | instskip(SKIP_4) | instid1(SALU_CYCLE_1)
	s_add_u32 s2, s4, s2
	s_addc_u32 s3, s5, s3
	s_load_b64 s[2:3], s[2:3], 0x0
	s_waitcnt lgkmcnt(0)
	s_sub_i32 s2, s3, s2
	s_cmp_eq_u32 s2, 1
	s_cselect_b32 s2, -1, 0
	s_delay_alu instid0(SALU_CYCLE_1)
	s_and_not1_b32 vcc_lo, exec_lo, s2
	s_cbranch_vccz .LBB605_4
.LBB605_2:
	s_endpgm
.LBB605_3:
.LBB605_4:
	s_load_b64 s[2:3], s[0:1], 0x28
	s_lshl_b64 s[6:7], s[30:31], 2
	s_waitcnt lgkmcnt(0)
	s_add_u32 s2, s2, s6
	s_addc_u32 s3, s3, s7
	s_lshl_b32 s31, s14, 8
	s_load_b32 s28, s[2:3], 0x0
	s_waitcnt lgkmcnt(0)
	s_cmp_ge_i32 s31, s28
	s_cbranch_scc1 .LBB605_2
; %bb.5:
	s_clause 0x1
	s_load_b128 s[8:11], s[0:1], 0x8
	s_load_b64 s[2:3], s[0:1], 0x20
	s_and_not1_b32 vcc_lo, exec_lo, s12
	s_cbranch_vccnz .LBB605_7
; %bb.6:
	s_add_u32 s4, s4, s6
	s_addc_u32 s5, s5, s7
	s_load_b32 s12, s[4:5], 0x0
	s_branch .LBB605_8
.LBB605_7:
	s_mov_b32 s12, s30
.LBB605_8:
	s_load_b128 s[4:7], s[0:1], 0x48
	v_and_b32_e32 v141, 15, v0
	v_lshrrev_b32_e32 v140, 5, v0
	v_and_b32_e32 v142, 31, v0
	v_and_b32_e32 v139, 1, v0
	v_bfe_u32 v138, v0, 4, 1
	v_lshlrev_b32_e32 v1, 3, v141
	s_lshl_b32 s29, s15, 2
	s_waitcnt lgkmcnt(0)
	s_mov_b32 s7, exec_lo
	s_delay_alu instid0(VALU_DEP_1)
	v_lshlrev_b32_e32 v137, 1, v1
	v_cmpx_gt_u32_e32 64, v0
	s_cbranch_execz .LBB605_10
; %bb.9:
	v_lshl_or_b32 v5, v140, 1, v138
	s_load_b64 s[16:17], s[0:1], 0x0
	s_mul_hi_i32 s13, s12, s4
	s_mul_i32 s12, s12, s4
	v_lshlrev_b32_e32 v6, 10, v141
	v_or_b32_e32 v1, s29, v5
	s_lshl_b64 s[12:13], s[12:13], 1
	v_lshlrev_b32_e32 v5, 6, v5
	v_lshlrev_b32_e32 v7, 10, v139
	v_and_b32_e32 v6, 0x3800, v6
	v_lshlrev_b32_e32 v1, 7, v1
	s_delay_alu instid0(VALU_DEP_2) | instskip(NEXT) | instid1(VALU_DEP_2)
	v_or3_b32 v5, v6, v7, v5
	v_ashrrev_i32_e32 v2, 31, v1
	s_delay_alu instid0(VALU_DEP_1) | instskip(SKIP_3) | instid1(VALU_DEP_1)
	v_lshlrev_b64 v[1:2], 1, v[1:2]
	s_waitcnt lgkmcnt(0)
	s_add_u32 s4, s16, s12
	s_addc_u32 s12, s17, s13
	v_add_co_u32 v1, vcc_lo, s4, v1
	s_delay_alu instid0(VALU_DEP_2) | instskip(NEXT) | instid1(VALU_DEP_2)
	v_add_co_ci_u32_e32 v2, vcc_lo, s12, v2, vcc_lo
	v_add_co_u32 v1, vcc_lo, v1, v137
	s_delay_alu instid0(VALU_DEP_2)
	v_add_co_ci_u32_e32 v2, vcc_lo, 0, v2, vcc_lo
	global_load_b128 v[1:4], v[1:2], off
	s_waitcnt vmcnt(0)
	ds_store_b128 v5, v[1:4]
.LBB605_10:
	s_or_b32 exec_lo, exec_lo, s7
	s_mov_b32 s36, 0
	s_add_i32 s4, s28, 15
	s_mov_b32 s37, s36
	s_mov_b32 s38, s36
	s_mov_b32 s39, s36
	s_mov_b32 s40, s36
	s_mov_b32 s41, s36
	s_mov_b32 s42, s36
	s_mov_b32 s43, s36
	s_delay_alu instid0(SALU_CYCLE_1)
	v_dual_mov_b32 v136, s43 :: v_dual_and_b32 v1, 0xef, v0
	v_mov_b32_e32 v134, s41
	s_clause 0x1
	s_load_b32 s7, s[0:1], 0x38
	s_load_b32 s33, s[0:1], 0x1c
	v_add_nc_u32_e32 v1, s31, v1
	s_ashr_i32 s12, s4, 31
	s_waitcnt lgkmcnt(0)
	s_lshr_b32 s12, s12, 28
	s_barrier
	v_ashrrev_i32_e32 v2, 31, v1
	s_add_i32 s4, s4, s12
	v_cmp_gt_i32_e32 vcc_lo, s28, v1
	v_mov_b32_e32 v135, s42
	s_ashr_i32 s4, s4, 4
	v_lshrrev_b32_e32 v3, 28, v2
	v_or_b32_e32 v2, 16, v1
	s_add_i32 s4, s4, -1
	v_mov_b32_e32 v132, s39
	buffer_gl0_inv
	v_add_nc_u32_e32 v4, v1, v3
	v_add_nc_u32_e32 v3, v2, v3
	v_and_b32_e32 v105, 3, v0
	v_lshlrev_b32_e32 v106, 5, v141
	s_mul_i32 s12, s30, s7
	v_ashrrev_i32_e32 v4, 4, v4
	v_ashrrev_i32_e32 v3, 4, v3
	s_ashr_i32 s13, s12, 31
	v_lshlrev_b32_e32 v215, 6, v105
	s_lshl_b64 s[12:13], s[12:13], 2
	v_cndmask_b32_e32 v1, s4, v4, vcc_lo
	v_cmp_gt_i32_e32 vcc_lo, s28, v2
	s_add_u32 s34, s2, s12
	s_addc_u32 s35, s3, s13
	s_mul_i32 s2, s15, s6
	v_ashrrev_i32_e32 v2, 31, v1
	v_cndmask_b32_e32 v3, s4, v3, vcc_lo
	s_ashr_i32 s3, s2, 31
	v_lshl_or_b32 v125, v140, 9, v106
	s_lshl_b64 s[2:3], s[2:3], 1
	v_lshlrev_b64 v[1:2], 2, v[1:2]
	v_ashrrev_i32_e32 v4, 31, v3
	s_add_u32 s22, s8, s2
	s_addc_u32 s23, s9, s3
	s_lshl_b32 s6, s14, 4
	v_mov_b32_e32 v133, s40
	v_lshlrev_b64 v[3:4], 2, v[3:4]
	v_add_co_u32 v1, vcc_lo, s34, v1
	v_add_co_ci_u32_e32 v2, vcc_lo, s35, v2, vcc_lo
	s_ashr_i32 s7, s6, 31
	s_delay_alu instid0(VALU_DEP_3) | instskip(NEXT) | instid1(VALU_DEP_4)
	v_add_co_u32 v3, vcc_lo, s34, v3
	v_add_co_ci_u32_e32 v4, vcc_lo, s35, v4, vcc_lo
	s_clause 0x1
	global_load_b32 v5, v[1:2], off
	global_load_b32 v6, v[3:4], off
	s_lshl_b64 s[6:7], s[6:7], 2
	v_dual_mov_b32 v130, s37 :: v_dual_lshlrev_b32 v3, 4, v0
	s_add_u32 s6, s34, s6
	s_addc_u32 s7, s35, s7
	s_or_b32 s8, s31, 16
	v_mov_b32_e32 v131, s38
	s_ashr_i32 s9, s8, 4
	s_cmp_lt_i32 s8, s28
	v_mov_b32_e32 v129, s36
	s_cselect_b32 s8, s9, s4
	s_delay_alu instid0(SALU_CYCLE_1) | instskip(NEXT) | instid1(SALU_CYCLE_1)
	s_ashr_i32 s9, s8, 31
	s_lshl_b64 s[8:9], s[8:9], 2
	s_delay_alu instid0(SALU_CYCLE_1) | instskip(SKIP_2) | instid1(SALU_CYCLE_1)
	s_add_u32 s8, s34, s8
	s_addc_u32 s9, s35, s9
	s_or_b32 s12, s31, 32
	s_ashr_i32 s13, s12, 4
	s_cmp_lt_i32 s12, s28
	s_cselect_b32 s12, s13, s4
	s_delay_alu instid0(SALU_CYCLE_1) | instskip(NEXT) | instid1(SALU_CYCLE_1)
	s_ashr_i32 s13, s12, 31
	s_lshl_b64 s[12:13], s[12:13], 2
	s_delay_alu instid0(SALU_CYCLE_1) | instskip(SKIP_2) | instid1(SALU_CYCLE_1)
	s_add_u32 s12, s34, s12
	s_addc_u32 s13, s35, s13
	s_or_b32 s15, s31, 48
	s_ashr_i32 s16, s15, 4
	s_cmp_lt_i32 s15, s28
	;; [unrolled: 10-line block ×4, first 2 shown]
	s_cselect_b32 s20, s20, s4
	s_delay_alu instid0(SALU_CYCLE_1) | instskip(NEXT) | instid1(SALU_CYCLE_1)
	s_ashr_i32 s21, s20, 31
	s_lshl_b64 s[20:21], s[20:21], 2
	s_delay_alu instid0(SALU_CYCLE_1)
	s_add_u32 s20, s34, s20
	s_addc_u32 s21, s35, s21
	s_clause 0x5
	s_load_b32 s6, s[6:7], 0x0
	s_load_b32 s8, s[8:9], 0x0
	;; [unrolled: 1-line block ×6, first 2 shown]
	s_waitcnt vmcnt(1)
	v_mad_i64_i32 v[1:2], null, v5, s5, 0
	v_and_b32_e32 v5, 0xf0, v3
	s_waitcnt vmcnt(0)
	v_mad_i64_i32 v[3:4], null, v6, s5, 0
	s_delay_alu instid0(VALU_DEP_2) | instskip(NEXT) | instid1(VALU_DEP_4)
	v_add_co_u32 v5, s7, s22, v5
	v_lshlrev_b64 v[1:2], 1, v[1:2]
	v_add_co_ci_u32_e64 v6, null, s23, 0, s7
	s_delay_alu instid0(VALU_DEP_4) | instskip(SKIP_1) | instid1(VALU_DEP_3)
	v_lshlrev_b64 v[3:4], 1, v[3:4]
	s_or_b32 s7, s31, 0x60
	v_add_co_u32 v121, vcc_lo, v5, v1
	s_delay_alu instid0(VALU_DEP_3) | instskip(NEXT) | instid1(VALU_DEP_3)
	v_add_co_ci_u32_e32 v122, vcc_lo, v6, v2, vcc_lo
	v_add_co_u32 v123, vcc_lo, v5, v3
	s_delay_alu instid0(VALU_DEP_4)
	v_add_co_ci_u32_e32 v124, vcc_lo, v6, v4, vcc_lo
	s_clause 0x19
	global_load_b128 v[89:92], v[121:122], off
	global_load_b128 v[93:96], v[121:122], off offset:256
	global_load_b128 v[97:100], v[123:124], off
	global_load_b128 v[101:104], v[123:124], off offset:256
	global_load_b128 v[81:84], v[121:122], off offset:512
	;; [unrolled: 1-line block ×23, first 2 shown]
	s_ashr_i32 s9, s7, 4
	s_cmp_lt_i32 s7, s28
	ds_load_b128 v[105:108], v215
	ds_load_b128 v[109:112], v215 offset:1024
	s_cselect_b32 s20, s9, s4
	ds_load_b128 v[113:116], v215 offset:2048
	ds_load_b128 v[117:120], v215 offset:3072
	s_ashr_i32 s21, s20, 31
	ds_load_b128 v[143:146], v215 offset:4096
	ds_load_b128 v[147:150], v215 offset:5120
	s_lshl_b64 s[20:21], s[20:21], 2
	ds_load_b128 v[151:154], v215 offset:6144
	ds_load_b128 v[155:158], v215 offset:7168
	s_add_u32 s20, s34, s20
	s_addc_u32 s21, s35, s21
	s_or_b32 s7, s31, 0x70
	ds_load_b128 v[159:162], v215 offset:8192
	ds_load_b128 v[163:166], v215 offset:9216
	s_ashr_i32 s9, s7, 4
	s_cmp_lt_i32 s7, s28
	s_clause 0x1
	global_load_b128 v[167:170], v[123:124], off offset:3072
	global_load_b128 v[171:174], v[123:124], off offset:3328
	s_cselect_b32 s22, s9, s4
	s_delay_alu instid0(SALU_CYCLE_1) | instskip(NEXT) | instid1(SALU_CYCLE_1)
	s_ashr_i32 s23, s22, 31
	s_lshl_b64 s[22:23], s[22:23], 2
	s_delay_alu instid0(SALU_CYCLE_1)
	s_add_u32 s22, s34, s22
	s_addc_u32 s23, s35, s23
	s_clause 0x1
	s_load_b32 s42, s[20:21], 0x0
	s_load_b32 s43, s[22:23], 0x0
	s_clause 0x3
	global_load_b128 v[175:178], v[121:122], off offset:3584
	global_load_b128 v[179:182], v[121:122], off offset:3840
	;; [unrolled: 1-line block ×4, first 2 shown]
	s_or_b32 s7, s31, 0x80
	s_delay_alu instid0(SALU_CYCLE_1) | instskip(SKIP_2) | instid1(SALU_CYCLE_1)
	s_ashr_i32 s9, s7, 4
	s_cmp_lt_i32 s7, s28
	s_cselect_b32 s24, s9, s4
	s_ashr_i32 s25, s24, 31
	s_delay_alu instid0(SALU_CYCLE_1) | instskip(NEXT) | instid1(SALU_CYCLE_1)
	s_lshl_b64 s[24:25], s[24:25], 2
	s_add_u32 s24, s34, s24
	s_addc_u32 s25, s35, s25
	s_or_b32 s7, s31, 0x90
	s_load_b32 s44, s[24:25], 0x0
	s_ashr_i32 s9, s7, 4
	s_cmp_lt_i32 s7, s28
	s_cselect_b32 s26, s9, s4
	s_delay_alu instid0(SALU_CYCLE_1) | instskip(NEXT) | instid1(SALU_CYCLE_1)
	s_ashr_i32 s27, s26, 31
	s_lshl_b64 s[26:27], s[26:27], 2
	s_delay_alu instid0(SALU_CYCLE_1) | instskip(SKIP_2) | instid1(SALU_CYCLE_1)
	s_add_u32 s26, s34, s26
	s_addc_u32 s27, s35, s27
	s_or_b32 s7, s31, 0xa0
	s_ashr_i32 s9, s7, 4
	s_cmp_lt_i32 s7, s28
	s_waitcnt lgkmcnt(0)
	s_mul_hi_i32 s7, s6, s5
	s_cselect_b32 s36, s9, s4
	s_mul_i32 s6, s6, s5
	s_ashr_i32 s37, s36, 31
	s_delay_alu instid0(SALU_CYCLE_1) | instskip(NEXT) | instid1(SALU_CYCLE_1)
	s_lshl_b64 s[36:37], s[36:37], 2
	s_add_u32 s36, s34, s36
	s_addc_u32 s37, s35, s37
	s_or_b32 s9, s31, 0xb0
	s_delay_alu instid0(SALU_CYCLE_1)
	s_ashr_i32 s13, s9, 4
	s_cmp_lt_i32 s9, s28
	s_mul_hi_i32 s9, s8, s5
	s_cselect_b32 s38, s13, s4
	s_mul_i32 s8, s8, s5
	s_ashr_i32 s39, s38, 31
	s_mul_hi_i32 s13, s12, s5
	s_lshl_b64 s[38:39], s[38:39], 2
	s_mul_i32 s12, s12, s5
	s_add_u32 s40, s34, s38
	s_addc_u32 s41, s35, s39
	s_or_b32 s17, s31, 0xc0
	s_delay_alu instid0(SALU_CYCLE_1)
	s_ashr_i32 s19, s17, 4
	s_cmp_lt_i32 s17, s28
	s_mul_hi_i32 s17, s16, s5
	s_cselect_b32 s38, s19, s4
	s_mul_i32 s16, s16, s5
	s_ashr_i32 s39, s38, 31
	s_mul_hi_i32 s19, s18, s5
	s_lshl_b64 s[38:39], s[38:39], 2
	s_mul_i32 s18, s18, s5
	s_add_u32 s22, s34, s38
	s_addc_u32 s23, s35, s39
	s_clause 0x1
	s_load_b32 s39, s[26:27], 0x0
	s_load_b32 s38, s[36:37], 0x0
	s_or_b32 s20, s31, 0xd0
	s_mul_hi_i32 s27, s44, s5
	s_ashr_i32 s21, s20, 4
	s_cmp_lt_i32 s20, s28
	s_mul_i32 s20, s15, s5
	s_cselect_b32 s24, s21, s4
	s_mul_hi_i32 s21, s15, s5
	s_ashr_i32 s25, s24, 31
	s_mul_i32 s26, s44, s5
	s_lshl_b64 s[24:25], s[24:25], 2
	s_delay_alu instid0(SALU_CYCLE_1)
	s_add_u32 s24, s34, s24
	s_addc_u32 s25, s35, s25
	s_or_b32 s45, s31, 0xe0
	s_clause 0x2
	s_load_b32 s37, s[40:41], 0x0
	s_load_b32 s36, s[22:23], 0x0
	;; [unrolled: 1-line block ×3, first 2 shown]
	s_ashr_i32 s46, s45, 4
	s_cmp_lt_i32 s45, s28
	s_mul_hi_i32 s23, s42, s5
	s_mul_i32 s22, s42, s5
	s_cselect_b32 s42, s46, s4
	s_mul_hi_i32 s25, s43, s5
	s_mul_i32 s24, s43, s5
	s_ashr_i32 s43, s42, 31
	s_waitcnt lgkmcnt(0)
	s_mul_hi_i32 s41, s39, s5
	s_lshl_b64 s[42:43], s[42:43], 2
	s_mul_i32 s40, s39, s5
	s_add_u32 s42, s34, s42
	s_addc_u32 s43, s35, s43
	s_or_b32 s44, s31, 0xf0
	s_mul_hi_i32 s39, s38, s5
	s_ashr_i32 s46, s44, 4
	s_cmp_lt_i32 s44, s28
	s_mul_i32 s38, s38, s5
	s_cselect_b32 s46, s46, s4
	s_mul_hi_i32 s49, s15, s5
	s_ashr_i32 s47, s46, 31
	s_mul_i32 s48, s15, s5
	s_lshl_b64 s[46:47], s[46:47], 2
	s_mul_hi_i32 s45, s37, s5
	s_add_u32 s34, s34, s46
	s_addc_u32 s35, s35, s47
	s_add_u32 s4, s10, s2
	s_addc_u32 s15, s11, s3
	v_add_co_u32 v216, s4, s4, v125
	s_delay_alu instid0(VALU_DEP_1) | instskip(SKIP_2) | instid1(VALU_DEP_2)
	v_add_co_ci_u32_e64 v217, null, s15, 0, s4
	s_lshl_b64 s[2:3], s[6:7], 1
	s_lshl_b64 s[6:7], s[8:9], 1
	v_add_co_u32 v125, vcc_lo, v216, s2
	s_delay_alu instid0(VALU_DEP_2)
	v_add_co_ci_u32_e32 v126, vcc_lo, s3, v217, vcc_lo
	v_add_co_u32 v199, vcc_lo, v216, s6
	s_lshl_b64 s[8:9], s[12:13], 1
	v_add_co_ci_u32_e32 v200, vcc_lo, s7, v217, vcc_lo
	s_lshl_b64 s[10:11], s[16:17], 1
	s_lshl_b64 s[12:13], s[18:19], 1
	s_lshl_b64 s[16:17], s[20:21], 1
	s_lshl_b64 s[18:19], s[22:23], 1
	s_lshl_b64 s[20:21], s[24:25], 1
	s_lshl_b64 s[22:23], s[26:27], 1
	s_lshl_b64 s[24:25], s[40:41], 1
	s_lshl_b64 s[26:27], s[38:39], 1
	s_mul_i32 s44, s37, s5
	s_mul_hi_i32 s37, s36, s5
	s_lshl_b64 s[38:39], s[44:45], 1
	s_mul_i32 s36, s36, s5
	s_clause 0x1
	s_load_b32 s4, s[42:43], 0x0
	s_load_b32 s15, s[34:35], 0x0
	s_lshl_b64 s[36:37], s[36:37], 1
	s_lshl_b64 s[40:41], s[48:49], 1
	s_waitcnt lgkmcnt(0)
	s_mul_hi_i32 s3, s4, s5
	s_mul_i32 s2, s4, s5
	s_mul_hi_i32 s7, s15, s5
	s_lshl_b64 s[2:3], s[2:3], 1
	s_mul_i32 s6, s15, s5
	s_waitcnt vmcnt(30)
	v_wmma_f32_16x16x16_bf16 v[191:198], v[89:96], v[105:112], v[129:136]
	v_add_co_u32 v89, vcc_lo, v216, s8
	v_add_co_ci_u32_e32 v90, vcc_lo, s9, v217, vcc_lo
	v_add_co_u32 v91, vcc_lo, v216, s10
	v_add_co_ci_u32_e32 v92, vcc_lo, s11, v217, vcc_lo
	;; [unrolled: 2-line block ×5, first 2 shown]
	v_add_co_u32 v205, vcc_lo, v216, s20
	s_waitcnt vmcnt(28)
	v_wmma_f32_16x16x16_bf16 v[129:136], v[97:104], v[105:112], v[129:136]
	v_add_co_ci_u32_e32 v206, vcc_lo, s21, v217, vcc_lo
	v_add_co_u32 v207, vcc_lo, v216, s22
	v_add_co_ci_u32_e32 v208, vcc_lo, s23, v217, vcc_lo
	v_add_co_u32 v209, vcc_lo, v216, s24
	s_waitcnt vmcnt(26)
	v_wmma_f32_16x16x16_bf16 v[191:198], v[81:88], v[113:120], v[191:198]
	s_waitcnt vmcnt(24)
	v_wmma_f32_16x16x16_bf16 v[129:136], v[73:80], v[113:120], v[129:136]
	v_add_co_ci_u32_e32 v210, vcc_lo, s25, v217, vcc_lo
	v_add_co_u32 v211, vcc_lo, v216, s26
	v_add_co_ci_u32_e32 v212, vcc_lo, s27, v217, vcc_lo
	v_add_co_u32 v213, vcc_lo, v216, s38
	s_waitcnt vmcnt(22)
	v_wmma_f32_16x16x16_bf16 v[191:198], v[65:72], v[143:150], v[191:198]
	s_waitcnt vmcnt(20)
	v_wmma_f32_16x16x16_bf16 v[129:136], v[57:64], v[143:150], v[129:136]
	v_add_co_ci_u32_e32 v214, vcc_lo, s39, v217, vcc_lo
	v_add_co_u32 v143, vcc_lo, v216, s36
	s_waitcnt vmcnt(18)
	v_wmma_f32_16x16x16_bf16 v[191:198], v[49:56], v[151:158], v[191:198]
	s_waitcnt vmcnt(16)
	v_wmma_f32_16x16x16_bf16 v[129:136], v[41:48], v[151:158], v[129:136]
	v_add_co_ci_u32_e32 v144, vcc_lo, s37, v217, vcc_lo
	s_clause 0x15
	global_load_b128 v[121:124], v[125:126], off
	global_load_b128 v[125:128], v[125:126], off offset:16
	global_load_b128 v[113:116], v[199:200], off
	global_load_b128 v[117:120], v[199:200], off offset:16
	;; [unrolled: 2-line block ×11, first 2 shown]
	s_waitcnt vmcnt(36)
	v_wmma_f32_16x16x16_bf16 v[191:198], v[17:24], v[159:166], v[191:198]
	s_clause 0x1
	global_load_b128 v[17:20], v[213:214], off
	global_load_b128 v[21:24], v[213:214], off offset:16
	s_waitcnt vmcnt(36)
	v_wmma_f32_16x16x16_bf16 v[129:136], v[1:8], v[159:166], v[129:136]
	s_clause 0x1
	global_load_b128 v[1:4], v[143:144], off
	global_load_b128 v[5:8], v[143:144], off offset:16
	ds_load_b128 v[143:146], v215 offset:10240
	ds_load_b128 v[147:150], v215 offset:11264
	;; [unrolled: 1-line block ×4, first 2 shown]
	v_add_co_u32 v199, vcc_lo, v216, s40
	v_add_co_ci_u32_e32 v200, vcc_lo, s41, v217, vcc_lo
	v_add_co_u32 v159, vcc_lo, v216, s2
	v_add_co_ci_u32_e32 v160, vcc_lo, s3, v217, vcc_lo
	s_lshl_b64 s[2:3], s[6:7], 1
	s_delay_alu instid0(SALU_CYCLE_1)
	v_add_co_u32 v161, vcc_lo, v216, s2
	v_add_co_ci_u32_e32 v162, vcc_lo, s3, v217, vcc_lo
	s_waitcnt vmcnt(36) lgkmcnt(2)
	v_wmma_f32_16x16x16_bf16 v[191:198], v[33:40], v[143:150], v[191:198]
	s_waitcnt vmcnt(34)
	v_wmma_f32_16x16x16_bf16 v[129:136], v[25:32], v[143:150], v[129:136]
	s_clause 0x3
	global_load_b128 v[25:28], v[199:200], off
	global_load_b128 v[29:32], v[199:200], off offset:16
	global_load_b128 v[33:36], v[159:160], off
	global_load_b128 v[37:40], v[159:160], off offset:16
	v_and_b32_e32 v143, 0xe0, v0
	v_mbcnt_lo_u32_b32 v159, -1, 0
	s_waitcnt vmcnt(36) lgkmcnt(0)
	v_wmma_f32_16x16x16_bf16 v[191:198], v[9:16], v[151:158], v[191:198]
	s_clause 0x1
	global_load_b128 v[9:12], v[161:162], off
	global_load_b128 v[13:16], v[161:162], off offset:16
	s_waitcnt vmcnt(36)
	v_wmma_f32_16x16x16_bf16 v[129:136], v[167:174], v[151:158], v[129:136]
	v_add_nc_u32_e32 v160, s31, v143
	ds_load_b128 v[143:146], v215 offset:14336
	ds_load_b128 v[147:150], v215 offset:15360
	v_xor_b32_e32 v151, 16, v159
	s_waitcnt vmcnt(0) lgkmcnt(0)
	s_barrier
	v_or_b32_e32 v152, v160, v138
	buffer_gl0_inv
	v_cmp_gt_i32_e32 vcc_lo, 32, v151
	v_or_b32_e32 v153, 2, v152
	v_or_b32_e32 v154, 4, v152
	;; [unrolled: 1-line block ×5, first 2 shown]
	v_cmp_gt_i32_e64 s2, s28, v153
	v_cmp_gt_i32_e64 s3, s28, v154
	;; [unrolled: 1-line block ×3, first 2 shown]
	v_or_b32_e32 v158, 12, v152
	v_cmp_gt_i32_e64 s5, s28, v156
	v_cmp_gt_i32_e64 s6, s28, v157
	v_wmma_f32_16x16x16_bf16 v[191:198], v[175:182], v[143:150], v[191:198]
	v_wmma_f32_16x16x16_bf16 v[129:136], v[183:190], v[143:150], v[129:136]
	v_cndmask_b32_e32 v151, v159, v151, vcc_lo
	v_cmp_gt_i32_e32 vcc_lo, s28, v152
	v_or_b32_e32 v159, 14, v152
	v_dual_mul_f32 v149, s33, v192 :: v_dual_mul_f32 v150, s33, v191
	v_dual_mul_f32 v147, s33, v194 :: v_dual_mul_f32 v148, s33, v193
	;; [unrolled: 1-line block ×3, first 2 shown]
	s_delay_alu instid0(VALU_DEP_3) | instskip(NEXT) | instid1(VALU_DEP_4)
	v_cndmask_b32_e32 v150, 0xff7fffff, v150, vcc_lo
	v_cndmask_b32_e64 v149, 0xff7fffff, v149, s2
	v_mul_f32_e32 v146, s33, v195
	v_cndmask_b32_e64 v148, 0xff7fffff, v148, s3
	v_cndmask_b32_e64 v147, 0xff7fffff, v147, s4
	v_or_b32_e32 v160, 16, v152
	v_max3_f32 v149, v150, 0xff7fffff, v149
	v_or_b32_e32 v161, 18, v152
	v_mul_f32_e32 v144, s33, v197
	v_dual_mul_f32 v172, s33, v132 :: v_dual_mul_f32 v143, s33, v198
	v_lshlrev_b32_e32 v154, 2, v151
	v_cndmask_b32_e64 v146, 0xff7fffff, v146, s5
	v_cndmask_b32_e64 v145, 0xff7fffff, v145, s6
	v_max3_f32 v147, v149, v148, v147
	v_cmp_gt_i32_e64 s7, s28, v158
	v_cmp_gt_i32_e64 s8, s28, v159
	v_or_b32_e32 v162, 20, v152
	v_or_b32_e32 v163, 22, v152
	v_mul_f32_e32 v175, s33, v129
	v_cndmask_b32_e64 v144, 0xff7fffff, v144, s7
	v_cndmask_b32_e64 v143, 0xff7fffff, v143, s8
	v_max3_f32 v145, v147, v146, v145
	v_cmp_gt_i32_e64 s9, s28, v160
	v_cmp_gt_i32_e64 s10, s28, v161
	v_or_b32_e32 v164, 24, v152
	v_or_b32_e32 v165, 26, v152
	v_mul_f32_e32 v173, s33, v131
	v_cndmask_b32_e64 v146, 0xff7fffff, v175, s9
	v_cndmask_b32_e64 v147, 0xff7fffff, v174, s10
	v_max3_f32 v143, v145, v144, v143
	v_cmp_gt_i32_e64 s11, s28, v162
	v_cmp_gt_i32_e64 s12, s28, v163
	v_or_b32_e32 v166, 28, v152
	v_or_b32_e32 v167, 30, v152
	v_dual_mul_f32 v170, s33, v134 :: v_dual_mul_f32 v171, s33, v133
	v_cndmask_b32_e64 v144, 0xff7fffff, v173, s11
	v_cndmask_b32_e64 v145, 0xff7fffff, v172, s12
	v_max3_f32 v143, v143, v146, v147
	v_cmp_gt_i32_e64 s13, s28, v164
	v_cmp_gt_i32_e64 s15, s28, v165
	v_dual_mul_f32 v168, s33, v136 :: v_dual_mul_f32 v169, s33, v135
	s_delay_alu instid0(VALU_DEP_4) | instskip(NEXT) | instid1(VALU_DEP_4)
	v_max3_f32 v143, v143, v144, v145
	v_cndmask_b32_e64 v146, 0xff7fffff, v171, s13
	s_delay_alu instid0(VALU_DEP_4) | instskip(SKIP_2) | instid1(VALU_DEP_3)
	v_cndmask_b32_e64 v147, 0xff7fffff, v170, s15
	v_cmp_gt_i32_e64 s16, s28, v166
	v_cmp_gt_i32_e64 s17, s28, v167
	v_max3_f32 v143, v143, v146, v147
	s_delay_alu instid0(VALU_DEP_3) | instskip(NEXT) | instid1(VALU_DEP_3)
	v_cndmask_b32_e64 v144, 0xff7fffff, v169, s16
	v_cndmask_b32_e64 v145, 0xff7fffff, v168, s17
	s_delay_alu instid0(VALU_DEP_1) | instskip(SKIP_3) | instid1(VALU_DEP_1)
	v_max3_f32 v143, v143, v144, v145
	ds_bpermute_b32 v144, v154, v143
	s_waitcnt lgkmcnt(0)
	v_max_f32_e32 v144, v144, v144
	v_max_f32_e32 v153, v143, v144
	s_delay_alu instid0(VALU_DEP_1)
	v_fma_f32 v146, s33, v194, -v153
	v_fma_f32 v143, s33, v191, -v153
	;; [unrolled: 1-line block ×5, first 2 shown]
	v_mul_f32_e32 v146, 0x3fb8aa3b, v146
	v_fma_f32 v150, s33, v197, -v153
	s_delay_alu instid0(VALU_DEP_4) | instskip(NEXT) | instid1(VALU_DEP_4)
	v_dual_mul_f32 v147, 0x3fb8aa3b, v147 :: v_dual_mul_f32 v144, 0x3fb8aa3b, v144
	v_mul_f32_e32 v130, 0x3fb8aa3b, v130
	s_delay_alu instid0(VALU_DEP_4) | instskip(NEXT) | instid1(VALU_DEP_3)
	v_exp_f32_e32 v149, v146
	v_mul_f32_e32 v150, 0x3fb8aa3b, v150
	s_delay_alu instid0(VALU_DEP_3)
	v_exp_f32_e32 v151, v147
	v_exp_f32_e32 v144, v144
	v_fma_f32 v145, s33, v193, -v153
	v_fma_f32 v148, s33, v196, -v153
	v_exp_f32_e32 v152, v150
	v_fma_f32 v129, s33, v129, -v153
	v_fma_f32 v131, s33, v131, -v153
	;; [unrolled: 1-line block ×3, first 2 shown]
	v_cndmask_b32_e64 v149, 0, v149, s4
	v_mul_f32_e32 v143, 0x3fb8aa3b, v143
	v_cndmask_b32_e64 v150, 0, v151, s5
	v_cndmask_b32_e64 v146, 0, v144, s2
	v_dual_mul_f32 v148, 0x3fb8aa3b, v148 :: v_dual_mul_f32 v131, 0x3fb8aa3b, v131
	v_mul_f32_e32 v132, 0x3fb8aa3b, v132
	v_exp_f32_e32 v143, v143
	v_exp_f32_e32 v130, v130
	s_delay_alu instid0(VALU_DEP_2)
	v_exp_f32_e32 v148, v148
	v_fma_f32 v133, s33, v133, -v153
	v_fma_f32 v134, s33, v134, -v153
	;; [unrolled: 1-line block ×3, first 2 shown]
	s_mov_b32 s2, exec_lo
	s_delay_alu instid0(TRANS32_DEP_3) | instid1(VALU_DEP_2)
	v_dual_mul_f32 v134, 0x3fb8aa3b, v134 :: v_dual_cndmask_b32 v143, 0, v143
	s_waitcnt_depctr 0xfff
	v_cndmask_b32_e64 v151, 0, v148, s6
	v_cndmask_b32_e64 v148, 0, v152, s7
	v_add_f32_e32 v144, 0, v143
	s_delay_alu instid0(VALU_DEP_1) | instskip(NEXT) | instid1(VALU_DEP_1)
	v_dual_add_f32 v144, v144, v146 :: v_dual_mul_f32 v145, 0x3fb8aa3b, v145
	v_exp_f32_e32 v145, v145
	s_waitcnt_depctr 0xfff
	v_cndmask_b32_e64 v147, 0, v145, s3
	v_fma_f32 v145, s33, v198, -v153
	s_delay_alu instid0(VALU_DEP_2) | instskip(NEXT) | instid1(VALU_DEP_1)
	v_add_f32_e32 v144, v144, v147
	v_add_f32_e32 v144, v144, v149
	s_delay_alu instid0(VALU_DEP_1) | instskip(NEXT) | instid1(VALU_DEP_1)
	v_dual_add_f32 v144, v144, v150 :: v_dual_mul_f32 v145, 0x3fb8aa3b, v145
	v_dual_add_f32 v144, v144, v151 :: v_dual_mul_f32 v129, 0x3fb8aa3b, v129
	s_delay_alu instid0(VALU_DEP_2) | instskip(NEXT) | instid1(VALU_DEP_1)
	v_exp_f32_e32 v145, v145
	v_add_f32_e32 v144, v144, v148
	s_delay_alu instid0(VALU_DEP_2) | instskip(SKIP_4) | instid1(VALU_DEP_2)
	v_exp_f32_e32 v129, v129
	s_waitcnt_depctr 0xfff
	v_cndmask_b32_e64 v152, 0, v145, s8
	v_exp_f32_e32 v145, v131
	v_cndmask_b32_e64 v131, 0, v129, s9
	v_add_f32_e32 v129, v144, v152
	v_exp_f32_e32 v144, v132
	v_cndmask_b32_e64 v132, 0, v130, s10
	v_fma_f32 v130, s33, v135, -v153
	v_mul_f32_e32 v133, 0x3fb8aa3b, v133
	s_delay_alu instid0(VALU_DEP_2) | instskip(NEXT) | instid1(VALU_DEP_2)
	v_dual_add_f32 v129, v129, v131 :: v_dual_mul_f32 v130, 0x3fb8aa3b, v130
	v_exp_f32_e32 v135, v133
	s_delay_alu instid0(TRANS32_DEP_3) | instskip(SKIP_1) | instid1(TRANS32_DEP_3)
	v_cndmask_b32_e64 v133, 0, v145, s11
	v_exp_f32_e32 v145, v134
	v_cndmask_b32_e64 v134, 0, v144, s12
	v_mul_f32_e32 v144, 0x3fb8aa3b, v136
	v_add_f32_e32 v129, v129, v132
	v_exp_f32_e32 v130, v130
	s_delay_alu instid0(VALU_DEP_1) | instskip(NEXT) | instid1(TRANS32_DEP_3)
	v_add_f32_e32 v129, v129, v133
	v_cndmask_b32_e64 v135, 0, v135, s13
	s_delay_alu instid0(TRANS32_DEP_2) | instskip(SKIP_1) | instid1(VALU_DEP_3)
	v_cndmask_b32_e64 v136, 0, v145, s15
	v_exp_f32_e32 v145, v144
	v_add_f32_e32 v129, v129, v134
	s_waitcnt_depctr 0xfff
	v_cndmask_b32_e64 v144, 0, v130, s16
	v_add_f32_e32 v129, v129, v135
	v_cndmask_b32_e64 v145, 0, v145, s17
	s_delay_alu instid0(VALU_DEP_2) | instskip(NEXT) | instid1(VALU_DEP_1)
	v_add_f32_e32 v129, v129, v136
	v_add_f32_e32 v129, v129, v144
	s_delay_alu instid0(VALU_DEP_1)
	v_add_f32_e32 v129, v129, v145
	ds_bpermute_b32 v130, v154, v129
	v_cmpx_gt_u32_e32 16, v142
	s_cbranch_execz .LBB605_12
; %bb.11:
	v_mul_u32_u24_e32 v142, 0x44, v140
	s_waitcnt lgkmcnt(0)
	v_add_f32_e32 v129, v129, v130
	s_delay_alu instid0(VALU_DEP_2) | instskip(NEXT) | instid1(VALU_DEP_1)
	v_lshl_add_u32 v142, v141, 2, v142
	v_add_nc_u32_e32 v130, 0x4000, v142
	ds_store_2addr_b32 v130, v153, v129 offset1:136
.LBB605_12:
	s_or_b32 exec_lo, exec_lo, s2
	v_lshlrev_b32_e32 v129, 2, v141
	s_waitcnt lgkmcnt(0)
	s_barrier
	buffer_gl0_inv
	v_cmp_eq_u32_e64 s2, 1, v140
	v_add_nc_u32_e32 v142, 0x4000, v129
	ds_load_2addr_b32 v[153:154], v142 offset1:17
	ds_load_2addr_b32 v[155:156], v142 offset0:34 offset1:51
	ds_load_2addr_b32 v[157:158], v142 offset0:68 offset1:85
	;; [unrolled: 1-line block ×4, first 2 shown]
	s_waitcnt lgkmcnt(4)
	v_max3_f32 v129, v153, 0xff7fffff, v154
	s_waitcnt lgkmcnt(3)
	s_delay_alu instid0(VALU_DEP_1) | instskip(SKIP_1) | instid1(VALU_DEP_1)
	v_max3_f32 v129, v129, v155, v156
	s_waitcnt lgkmcnt(2)
	v_max3_f32 v129, v129, v157, v158
	s_waitcnt lgkmcnt(1)
	s_delay_alu instid0(VALU_DEP_1) | instskip(NEXT) | instid1(VALU_DEP_1)
	v_max3_f32 v129, v129, v159, v160
	v_sub_f32_e32 v163, v154, v129
	v_sub_f32_e32 v130, v153, v129
	ds_load_2addr_b32 v[153:154], v142 offset0:170 offset1:187
	v_sub_f32_e32 v155, v155, v129
	v_dual_mul_f32 v163, 0x3fb8aa3b, v163 :: v_dual_mul_f32 v130, 0x3fb8aa3b, v130
	s_delay_alu instid0(VALU_DEP_2) | instskip(NEXT) | instid1(VALU_DEP_2)
	v_mul_f32_e32 v165, 0x3fb8aa3b, v155
	v_exp_f32_e32 v163, v163
	s_delay_alu instid0(VALU_DEP_2)
	v_exp_f32_e32 v164, v130
	v_sub_f32_e32 v130, v156, v129
	ds_load_2addr_b32 v[155:156], v142 offset0:204 offset1:221
	v_exp_f32_e32 v165, v165
	v_mul_f32_e32 v166, 0x3fb8aa3b, v130
	s_waitcnt lgkmcnt(2)
	v_fma_f32 v130, v164, v161, 0
	v_sub_f32_e32 v157, v157, v129
	s_delay_alu instid0(VALU_DEP_3) | instskip(NEXT) | instid1(VALU_DEP_2)
	v_exp_f32_e32 v166, v166
	v_dual_sub_f32 v161, v158, v129 :: v_dual_fmac_f32 v130, v163, v162
	s_waitcnt lgkmcnt(1)
	s_waitcnt_depctr 0xfff
	v_fmac_f32_e32 v130, v165, v153
	v_mul_f32_e32 v167, 0x3fb8aa3b, v157
	ds_load_2addr_b32 v[157:158], v142 offset0:238 offset1:255
	v_sub_f32_e32 v142, v159, v129
	v_dual_sub_f32 v153, v160, v129 :: v_dual_fmac_f32 v130, v166, v154
	v_mul_f32_e32 v159, 0x3fb8aa3b, v161
	v_exp_f32_e32 v161, v167
	s_delay_alu instid0(VALU_DEP_2)
	v_dual_mul_f32 v142, 0x3fb8aa3b, v142 :: v_dual_mul_f32 v153, 0x3fb8aa3b, v153
	s_waitcnt lgkmcnt(0)
	s_barrier
	buffer_gl0_inv
	v_exp_f32_e32 v142, v142
	v_exp_f32_e32 v153, v153
	v_fmac_f32_e32 v130, v161, v155
	v_exp_f32_e32 v159, v159
	s_waitcnt_depctr 0xfff
	v_fmac_f32_e32 v130, v159, v156
	s_delay_alu instid0(VALU_DEP_1) | instskip(NEXT) | instid1(VALU_DEP_1)
	v_fmac_f32_e32 v130, v142, v157
	v_fmac_f32_e32 v130, v153, v158
	s_delay_alu instid0(VALU_DEP_1) | instskip(NEXT) | instid1(VALU_DEP_1)
	v_add_f32_e32 v154, 0x358637bd, v130
	v_div_scale_f32 v155, null, v154, v154, 1.0
	v_div_scale_f32 v158, vcc_lo, 1.0, v154, 1.0
	s_delay_alu instid0(VALU_DEP_2) | instskip(SKIP_2) | instid1(VALU_DEP_1)
	v_rcp_f32_e32 v156, v155
	s_waitcnt_depctr 0xfff
	v_fma_f32 v157, -v155, v156, 1.0
	v_fmac_f32_e32 v156, v157, v156
	v_cndmask_b32_e64 v157, v164, v163, s2
	v_cmp_eq_u32_e64 s2, 2, v140
	s_delay_alu instid0(VALU_DEP_3) | instskip(NEXT) | instid1(VALU_DEP_2)
	v_mul_f32_e32 v160, v158, v156
	v_cndmask_b32_e64 v157, v157, v165, s2
	v_cmp_eq_u32_e64 s2, 3, v140
	s_delay_alu instid0(VALU_DEP_3) | instskip(NEXT) | instid1(VALU_DEP_2)
	v_fma_f32 v162, -v155, v160, v158
	v_cndmask_b32_e64 v157, v157, v166, s2
	v_cmp_eq_u32_e64 s2, 4, v140
	s_delay_alu instid0(VALU_DEP_3) | instskip(NEXT) | instid1(VALU_DEP_2)
	v_fmac_f32_e32 v160, v162, v156
	v_cndmask_b32_e64 v157, v157, v161, s2
	s_delay_alu instid0(VALU_DEP_2) | instskip(SKIP_1) | instid1(VALU_DEP_2)
	v_fma_f32 v155, -v155, v160, v158
	v_cmp_eq_u32_e64 s2, 5, v140
	v_div_fmas_f32 v155, v155, v156, v160
	s_delay_alu instid0(VALU_DEP_2) | instskip(SKIP_2) | instid1(VALU_DEP_3)
	v_cndmask_b32_e64 v157, v157, v159, s2
	v_cmp_eq_u32_e32 vcc_lo, 6, v140
	s_mov_b32 s2, exec_lo
	v_div_fixup_f32 v154, v155, v154, 1.0
	s_delay_alu instid0(VALU_DEP_3) | instskip(SKIP_1) | instid1(VALU_DEP_2)
	v_cndmask_b32_e32 v142, v157, v142, vcc_lo
	v_cmp_eq_u32_e32 vcc_lo, 7, v140
	v_cndmask_b32_e32 v142, v142, v153, vcc_lo
	s_delay_alu instid0(VALU_DEP_1) | instskip(NEXT) | instid1(VALU_DEP_1)
	v_mul_f32_e32 v142, v142, v154
	v_mul_f32_e32 v151, v142, v151
	;; [unrolled: 1-line block ×7, first 2 shown]
	v_dual_mul_f32 v150, v142, v147 :: v_dual_and_b32 v155, 0x7f800000, v154
	v_mul_f32_e32 v149, v142, v146
                                        ; implicit-def: $vgpr146
	s_delay_alu instid0(VALU_DEP_2)
	v_cmpx_ne_u32_e32 0x7f800000, v155
	s_xor_b32 s2, exec_lo, s2
; %bb.13:
	v_bfe_u32 v146, v154, 16, 1
	s_delay_alu instid0(VALU_DEP_1)
	v_add3_u32 v146, v154, v146, 0x7fff
                                        ; implicit-def: $vgpr154
; %bb.14:
	s_and_not1_saveexec_b32 s2, s2
; %bb.15:
	v_and_b32_e32 v146, 0xffff, v154
	v_or_b32_e32 v147, 0x10000, v154
	s_delay_alu instid0(VALU_DEP_2) | instskip(NEXT) | instid1(VALU_DEP_2)
	v_cmp_eq_u32_e32 vcc_lo, 0, v146
	v_cndmask_b32_e32 v146, v147, v154, vcc_lo
; %bb.16:
	s_or_b32 exec_lo, exec_lo, s2
	v_and_b32_e32 v147, 0x7f800000, v149
	s_delay_alu instid0(VALU_DEP_1) | instskip(SKIP_1) | instid1(SALU_CYCLE_1)
	v_cmp_ne_u32_e32 vcc_lo, 0x7f800000, v147
                                        ; implicit-def: $vgpr147
	s_and_saveexec_b32 s2, vcc_lo
	s_xor_b32 s2, exec_lo, s2
; %bb.17:
	v_bfe_u32 v147, v149, 16, 1
	s_delay_alu instid0(VALU_DEP_1)
	v_add3_u32 v147, v149, v147, 0x7fff
                                        ; implicit-def: $vgpr149
; %bb.18:
	s_and_not1_saveexec_b32 s2, s2
; %bb.19:
	v_and_b32_e32 v147, 0xffff, v149
	v_or_b32_e32 v154, 0x10000, v149
	s_delay_alu instid0(VALU_DEP_2) | instskip(NEXT) | instid1(VALU_DEP_2)
	v_cmp_eq_u32_e32 vcc_lo, 0, v147
	v_cndmask_b32_e32 v147, v154, v149, vcc_lo
; %bb.20:
	s_or_b32 exec_lo, exec_lo, s2
	v_and_b32_e32 v149, 0x7f800000, v150
	s_delay_alu instid0(VALU_DEP_1) | instskip(SKIP_1) | instid1(SALU_CYCLE_1)
	v_cmp_ne_u32_e32 vcc_lo, 0x7f800000, v149
                                        ; implicit-def: $vgpr149
	s_and_saveexec_b32 s2, vcc_lo
	s_xor_b32 s2, exec_lo, s2
; %bb.21:
	v_bfe_u32 v149, v150, 16, 1
	s_delay_alu instid0(VALU_DEP_1)
	v_add3_u32 v149, v150, v149, 0x7fff
                                        ; implicit-def: $vgpr150
; %bb.22:
	s_and_not1_saveexec_b32 s2, s2
; %bb.23:
	v_and_b32_e32 v149, 0xffff, v150
	v_or_b32_e32 v154, 0x10000, v150
	s_delay_alu instid0(VALU_DEP_2) | instskip(NEXT) | instid1(VALU_DEP_2)
	v_cmp_eq_u32_e32 vcc_lo, 0, v149
	v_cndmask_b32_e32 v149, v154, v150, vcc_lo
; %bb.24:
	s_or_b32 exec_lo, exec_lo, s2
	v_and_b32_e32 v150, 0x7f800000, v153
	s_delay_alu instid0(VALU_DEP_1) | instskip(SKIP_1) | instid1(SALU_CYCLE_1)
	v_cmp_ne_u32_e32 vcc_lo, 0x7f800000, v150
                                        ; implicit-def: $vgpr150
	s_and_saveexec_b32 s2, vcc_lo
	s_xor_b32 s2, exec_lo, s2
; %bb.25:
	v_bfe_u32 v150, v153, 16, 1
	s_delay_alu instid0(VALU_DEP_1)
	v_add3_u32 v150, v153, v150, 0x7fff
                                        ; implicit-def: $vgpr153
; %bb.26:
	s_and_not1_saveexec_b32 s2, s2
; %bb.27:
	v_and_b32_e32 v150, 0xffff, v153
	v_or_b32_e32 v154, 0x10000, v153
	s_delay_alu instid0(VALU_DEP_2) | instskip(NEXT) | instid1(VALU_DEP_2)
	v_cmp_eq_u32_e32 vcc_lo, 0, v150
	v_cndmask_b32_e32 v150, v154, v153, vcc_lo
; %bb.28:
	s_or_b32 exec_lo, exec_lo, s2
	v_and_b32_e32 v153, 0x7f800000, v152
	s_delay_alu instid0(VALU_DEP_1) | instskip(SKIP_1) | instid1(SALU_CYCLE_1)
	v_cmp_ne_u32_e32 vcc_lo, 0x7f800000, v153
                                        ; implicit-def: $vgpr153
	s_and_saveexec_b32 s2, vcc_lo
	s_xor_b32 s2, exec_lo, s2
; %bb.29:
	v_bfe_u32 v153, v152, 16, 1
	s_delay_alu instid0(VALU_DEP_1)
	v_add3_u32 v153, v152, v153, 0x7fff
                                        ; implicit-def: $vgpr152
; %bb.30:
	s_and_not1_saveexec_b32 s2, s2
; %bb.31:
	v_and_b32_e32 v153, 0xffff, v152
	v_or_b32_e32 v154, 0x10000, v152
	s_delay_alu instid0(VALU_DEP_2) | instskip(NEXT) | instid1(VALU_DEP_2)
	v_cmp_eq_u32_e32 vcc_lo, 0, v153
	v_cndmask_b32_e32 v153, v154, v152, vcc_lo
; %bb.32:
	s_or_b32 exec_lo, exec_lo, s2
	v_and_b32_e32 v152, 0x7f800000, v151
	s_delay_alu instid0(VALU_DEP_1) | instskip(SKIP_1) | instid1(SALU_CYCLE_1)
	v_cmp_ne_u32_e32 vcc_lo, 0x7f800000, v152
                                        ; implicit-def: $vgpr152
	s_and_saveexec_b32 s2, vcc_lo
	s_xor_b32 s2, exec_lo, s2
; %bb.33:
	v_bfe_u32 v152, v151, 16, 1
	s_delay_alu instid0(VALU_DEP_1)
	v_add3_u32 v152, v151, v152, 0x7fff
                                        ; implicit-def: $vgpr151
; %bb.34:
	s_and_not1_saveexec_b32 s2, s2
; %bb.35:
	v_and_b32_e32 v152, 0xffff, v151
	v_or_b32_e32 v154, 0x10000, v151
	s_delay_alu instid0(VALU_DEP_2) | instskip(NEXT) | instid1(VALU_DEP_2)
	v_cmp_eq_u32_e32 vcc_lo, 0, v152
	v_cndmask_b32_e32 v152, v154, v151, vcc_lo
; %bb.36:
	s_or_b32 exec_lo, exec_lo, s2
	v_and_b32_e32 v151, 0x7f800000, v148
	s_delay_alu instid0(VALU_DEP_1) | instskip(SKIP_1) | instid1(SALU_CYCLE_1)
	v_cmp_ne_u32_e32 vcc_lo, 0x7f800000, v151
                                        ; implicit-def: $vgpr151
	s_and_saveexec_b32 s2, vcc_lo
	s_xor_b32 s2, exec_lo, s2
; %bb.37:
	v_bfe_u32 v151, v148, 16, 1
	s_delay_alu instid0(VALU_DEP_1)
	v_add3_u32 v151, v148, v151, 0x7fff
                                        ; implicit-def: $vgpr148
; %bb.38:
	s_and_not1_saveexec_b32 s2, s2
; %bb.39:
	v_and_b32_e32 v151, 0xffff, v148
	v_or_b32_e32 v154, 0x10000, v148
	s_delay_alu instid0(VALU_DEP_2) | instskip(NEXT) | instid1(VALU_DEP_2)
	v_cmp_eq_u32_e32 vcc_lo, 0, v151
	v_cndmask_b32_e32 v151, v154, v148, vcc_lo
; %bb.40:
	s_or_b32 exec_lo, exec_lo, s2
	v_and_b32_e32 v148, 0x7f800000, v143
	s_delay_alu instid0(VALU_DEP_1) | instskip(SKIP_1) | instid1(SALU_CYCLE_1)
	v_cmp_ne_u32_e32 vcc_lo, 0x7f800000, v148
                                        ; implicit-def: $vgpr148
	s_and_saveexec_b32 s2, vcc_lo
	s_xor_b32 s2, exec_lo, s2
; %bb.41:
	v_bfe_u32 v148, v143, 16, 1
	s_delay_alu instid0(VALU_DEP_1)
	v_add3_u32 v148, v143, v148, 0x7fff
                                        ; implicit-def: $vgpr143
; %bb.42:
	s_and_not1_saveexec_b32 s2, s2
; %bb.43:
	v_and_b32_e32 v148, 0xffff, v143
	v_or_b32_e32 v154, 0x10000, v143
	s_delay_alu instid0(VALU_DEP_2) | instskip(NEXT) | instid1(VALU_DEP_2)
	v_cmp_eq_u32_e32 vcc_lo, 0, v148
	v_cndmask_b32_e32 v148, v154, v143, vcc_lo
; %bb.44:
	s_or_b32 exec_lo, exec_lo, s2
	s_load_b64 s[34:35], s[0:1], 0x94
	v_dual_mul_f32 v144, v142, v144 :: v_dual_lshlrev_b32 v155, 4, v138
	s_delay_alu instid0(VALU_DEP_2)
	v_perm_b32 v154, v148, v151, 0x7060302
	v_dual_mul_f32 v136, v142, v136 :: v_dual_lshlrev_b32 v143, 6, v141
	v_lshlrev_b32_e32 v141, 11, v140
	v_perm_b32 v151, v147, v146, 0x7060302
	v_mul_f32_e32 v146, v142, v133
	v_mul_f32_e32 v147, v142, v131
	v_perm_b32 v153, v152, v153, 0x7060302
	v_perm_b32 v152, v150, v149, 0x7060302
	v_or3_b32 v131, v155, v141, v143
	s_delay_alu instid0(VALU_DEP_4)
	v_dual_mul_f32 v141, v142, v145 :: v_dual_and_b32 v148, 0x7f800000, v147
	v_mul_f32_e32 v135, v142, v135
	v_mul_f32_e32 v145, v142, v134
	;; [unrolled: 1-line block ×3, first 2 shown]
	s_mov_b32 s2, exec_lo
	ds_store_b128 v131, v[151:154]
                                        ; implicit-def: $vgpr132
	v_cmpx_ne_u32_e32 0x7f800000, v148
	s_xor_b32 s2, exec_lo, s2
; %bb.45:
	v_bfe_u32 v132, v147, 16, 1
	s_delay_alu instid0(VALU_DEP_1)
	v_add3_u32 v132, v147, v132, 0x7fff
                                        ; implicit-def: $vgpr147
; %bb.46:
	s_and_not1_saveexec_b32 s2, s2
; %bb.47:
	v_and_b32_e32 v132, 0xffff, v147
	v_or_b32_e32 v133, 0x10000, v147
	s_delay_alu instid0(VALU_DEP_2) | instskip(NEXT) | instid1(VALU_DEP_2)
	v_cmp_eq_u32_e32 vcc_lo, 0, v132
	v_cndmask_b32_e32 v132, v133, v147, vcc_lo
; %bb.48:
	s_or_b32 exec_lo, exec_lo, s2
	v_and_b32_e32 v133, 0x7f800000, v134
	s_delay_alu instid0(VALU_DEP_1) | instskip(SKIP_1) | instid1(SALU_CYCLE_1)
	v_cmp_ne_u32_e32 vcc_lo, 0x7f800000, v133
                                        ; implicit-def: $vgpr133
	s_and_saveexec_b32 s2, vcc_lo
	s_xor_b32 s2, exec_lo, s2
; %bb.49:
	v_bfe_u32 v133, v134, 16, 1
	s_delay_alu instid0(VALU_DEP_1)
	v_add3_u32 v133, v134, v133, 0x7fff
                                        ; implicit-def: $vgpr134
; %bb.50:
	s_and_not1_saveexec_b32 s2, s2
; %bb.51:
	v_and_b32_e32 v133, 0xffff, v134
	v_or_b32_e32 v142, 0x10000, v134
	s_delay_alu instid0(VALU_DEP_2) | instskip(NEXT) | instid1(VALU_DEP_2)
	v_cmp_eq_u32_e32 vcc_lo, 0, v133
	v_cndmask_b32_e32 v133, v142, v134, vcc_lo
; %bb.52:
	s_or_b32 exec_lo, exec_lo, s2
	v_and_b32_e32 v134, 0x7f800000, v146
	s_delay_alu instid0(VALU_DEP_1) | instskip(SKIP_1) | instid1(SALU_CYCLE_1)
	v_cmp_ne_u32_e32 vcc_lo, 0x7f800000, v134
                                        ; implicit-def: $vgpr134
	s_and_saveexec_b32 s2, vcc_lo
	s_xor_b32 s2, exec_lo, s2
; %bb.53:
	v_bfe_u32 v134, v146, 16, 1
	s_delay_alu instid0(VALU_DEP_1)
	v_add3_u32 v134, v146, v134, 0x7fff
                                        ; implicit-def: $vgpr146
; %bb.54:
	s_and_not1_saveexec_b32 s2, s2
; %bb.55:
	v_and_b32_e32 v134, 0xffff, v146
	v_or_b32_e32 v142, 0x10000, v146
	s_delay_alu instid0(VALU_DEP_2) | instskip(NEXT) | instid1(VALU_DEP_2)
	v_cmp_eq_u32_e32 vcc_lo, 0, v134
	v_cndmask_b32_e32 v134, v142, v146, vcc_lo
; %bb.56:
	s_or_b32 exec_lo, exec_lo, s2
	v_and_b32_e32 v142, 0x7f800000, v145
	s_delay_alu instid0(VALU_DEP_1) | instskip(SKIP_1) | instid1(SALU_CYCLE_1)
	v_cmp_ne_u32_e32 vcc_lo, 0x7f800000, v142
                                        ; implicit-def: $vgpr142
	s_and_saveexec_b32 s2, vcc_lo
	s_xor_b32 s2, exec_lo, s2
; %bb.57:
	v_bfe_u32 v142, v145, 16, 1
	s_delay_alu instid0(VALU_DEP_1)
	v_add3_u32 v142, v145, v142, 0x7fff
                                        ; implicit-def: $vgpr145
; %bb.58:
	s_and_not1_saveexec_b32 s2, s2
; %bb.59:
	v_and_b32_e32 v142, 0xffff, v145
	v_or_b32_e32 v146, 0x10000, v145
	s_delay_alu instid0(VALU_DEP_2) | instskip(NEXT) | instid1(VALU_DEP_2)
	v_cmp_eq_u32_e32 vcc_lo, 0, v142
	v_cndmask_b32_e32 v142, v146, v145, vcc_lo
; %bb.60:
	s_or_b32 exec_lo, exec_lo, s2
	v_and_b32_e32 v145, 0x7f800000, v135
	s_delay_alu instid0(VALU_DEP_1) | instskip(SKIP_1) | instid1(SALU_CYCLE_1)
	v_cmp_ne_u32_e32 vcc_lo, 0x7f800000, v145
                                        ; implicit-def: $vgpr145
	s_and_saveexec_b32 s2, vcc_lo
	s_xor_b32 s2, exec_lo, s2
; %bb.61:
	v_bfe_u32 v145, v135, 16, 1
	s_delay_alu instid0(VALU_DEP_1)
	v_add3_u32 v145, v135, v145, 0x7fff
                                        ; implicit-def: $vgpr135
; %bb.62:
	s_and_not1_saveexec_b32 s2, s2
; %bb.63:
	v_and_b32_e32 v145, 0xffff, v135
	v_or_b32_e32 v146, 0x10000, v135
	s_delay_alu instid0(VALU_DEP_2) | instskip(NEXT) | instid1(VALU_DEP_2)
	v_cmp_eq_u32_e32 vcc_lo, 0, v145
	v_cndmask_b32_e32 v145, v146, v135, vcc_lo
; %bb.64:
	s_or_b32 exec_lo, exec_lo, s2
	v_and_b32_e32 v135, 0x7f800000, v136
	s_delay_alu instid0(VALU_DEP_1) | instskip(SKIP_1) | instid1(SALU_CYCLE_1)
	v_cmp_ne_u32_e32 vcc_lo, 0x7f800000, v135
                                        ; implicit-def: $vgpr135
	s_and_saveexec_b32 s2, vcc_lo
	s_xor_b32 s2, exec_lo, s2
; %bb.65:
	v_bfe_u32 v135, v136, 16, 1
	s_delay_alu instid0(VALU_DEP_1)
	v_add3_u32 v135, v136, v135, 0x7fff
                                        ; implicit-def: $vgpr136
; %bb.66:
	s_and_not1_saveexec_b32 s2, s2
; %bb.67:
	v_and_b32_e32 v135, 0xffff, v136
	v_or_b32_e32 v146, 0x10000, v136
	s_delay_alu instid0(VALU_DEP_2) | instskip(NEXT) | instid1(VALU_DEP_2)
	v_cmp_eq_u32_e32 vcc_lo, 0, v135
	v_cndmask_b32_e32 v135, v146, v136, vcc_lo
; %bb.68:
	s_or_b32 exec_lo, exec_lo, s2
	v_and_b32_e32 v136, 0x7f800000, v144
	s_delay_alu instid0(VALU_DEP_1) | instskip(SKIP_1) | instid1(SALU_CYCLE_1)
	v_cmp_ne_u32_e32 vcc_lo, 0x7f800000, v136
                                        ; implicit-def: $vgpr136
	s_and_saveexec_b32 s2, vcc_lo
	s_xor_b32 s2, exec_lo, s2
; %bb.69:
	v_bfe_u32 v136, v144, 16, 1
	s_delay_alu instid0(VALU_DEP_1)
	v_add3_u32 v136, v144, v136, 0x7fff
                                        ; implicit-def: $vgpr144
; %bb.70:
	s_and_not1_saveexec_b32 s2, s2
; %bb.71:
	v_and_b32_e32 v136, 0xffff, v144
	v_or_b32_e32 v146, 0x10000, v144
	s_delay_alu instid0(VALU_DEP_2) | instskip(NEXT) | instid1(VALU_DEP_2)
	v_cmp_eq_u32_e32 vcc_lo, 0, v136
	v_cndmask_b32_e32 v136, v146, v144, vcc_lo
; %bb.72:
	s_or_b32 exec_lo, exec_lo, s2
	v_and_b32_e32 v144, 0x7f800000, v141
	s_delay_alu instid0(VALU_DEP_1) | instskip(SKIP_1) | instid1(SALU_CYCLE_1)
	v_cmp_ne_u32_e32 vcc_lo, 0x7f800000, v144
                                        ; implicit-def: $vgpr144
	s_and_saveexec_b32 s2, vcc_lo
	s_xor_b32 s2, exec_lo, s2
; %bb.73:
	v_bfe_u32 v144, v141, 16, 1
	s_delay_alu instid0(VALU_DEP_1)
	v_add3_u32 v144, v141, v144, 0x7fff
                                        ; implicit-def: $vgpr141
; %bb.74:
	s_and_not1_saveexec_b32 s2, s2
; %bb.75:
	v_and_b32_e32 v144, 0xffff, v141
	v_or_b32_e32 v146, 0x10000, v141
	s_delay_alu instid0(VALU_DEP_2) | instskip(NEXT) | instid1(VALU_DEP_2)
	v_cmp_eq_u32_e32 vcc_lo, 0, v144
	v_cndmask_b32_e32 v144, v146, v141, vcc_lo
; %bb.76:
	s_or_b32 exec_lo, exec_lo, s2
	s_delay_alu instid0(VALU_DEP_1)
	v_perm_b32 v136, v144, v136, 0x7060302
	v_perm_b32 v135, v135, v145, 0x7060302
	;; [unrolled: 1-line block ×4, first 2 shown]
	v_lshl_or_b32 v144, v140, 11, v143
	v_lshlrev_b32_e32 v141, 2, v138
	ds_store_b128 v131, v[133:136] offset:1024
	s_waitcnt lgkmcnt(0)
	s_barrier
	buffer_gl0_inv
	ds_load_b128 v[132:135], v144
	ds_load_b128 v[146:149], v144 offset:16
	v_or_b32_e32 v142, 1, v141
	v_cmp_eq_u32_e64 s11, 1, v141
	v_cmp_eq_u32_e64 s10, 2, v141
	v_cmp_eq_u32_e64 s15, 3, v141
	v_or_b32_e32 v140, 2, v141
	v_cmp_eq_u32_e64 s6, 1, v142
	v_cmp_eq_u32_e64 s5, 2, v142
	;; [unrolled: 1-line block ×8, first 2 shown]
	v_cmp_eq_u32_e32 vcc_lo, 5, v142
	v_cmp_eq_u32_e64 s9, 2, v140
	v_cmp_eq_u32_e64 s3, 6, v142
	;; [unrolled: 1-line block ×4, first 2 shown]
	s_waitcnt lgkmcnt(1)
	v_lshrrev_b32_e32 v136, 16, v132
	s_waitcnt lgkmcnt(0)
	v_lshrrev_b32_e32 v154, 16, v146
	v_lshrrev_b32_e32 v160, 16, v147
	;; [unrolled: 1-line block ×4, first 2 shown]
	v_cndmask_b32_e64 v145, v132, v136, s11
	v_cndmask_b32_e64 v150, v146, v154, s11
	;; [unrolled: 1-line block ×4, first 2 shown]
	v_lshrrev_b32_e32 v159, 16, v134
	v_cndmask_b32_e64 v145, v145, v133, s10
	v_cndmask_b32_e64 v150, v150, v147, s10
	;; [unrolled: 1-line block ×8, first 2 shown]
	v_lshrrev_b32_e32 v163, 16, v149
	v_cndmask_b32_e64 v152, v152, v160, s4
	v_cndmask_b32_e64 v145, v145, v134, s16
	;; [unrolled: 1-line block ×5, first 2 shown]
	v_lshrrev_b32_e32 v161, 16, v135
	v_cndmask_b32_e64 v145, v145, v159, s12
	v_cndmask_b32_e64 v150, v150, v162, s12
	v_cndmask_b32_e32 v151, v151, v159, vcc_lo
	v_cndmask_b32_e64 v152, v152, v148, s2
	v_cmp_eq_u32_e64 s18, 7, v142
	v_cndmask_b32_e64 v145, v145, v135, s13
	v_cndmask_b32_e64 v150, v150, v149, s13
	;; [unrolled: 1-line block ×4, first 2 shown]
	v_cmp_eq_u32_e64 s19, 4, v140
	v_cndmask_b32_e64 v164, v145, v161, s8
	v_cndmask_b32_e64 v165, v150, v163, s8
	;; [unrolled: 1-line block ×3, first 2 shown]
	v_or_b32_e32 v145, 3, v141
	v_cndmask_b32_e64 v166, v151, v161, s18
	v_cndmask_b32_e32 v155, v152, v162, vcc_lo
	v_cndmask_b32_e64 v157, v153, v134, s19
	v_cndmask_b32_e64 v156, v150, v147, s9
	ds_load_b128 v[150:153], v144 offset:1024
	v_cmp_eq_u32_e64 s20, 1, v145
	v_cmp_eq_u32_e64 s21, 5, v140
	v_cmp_eq_u32_e64 s22, 2, v145
	v_cndmask_b32_e64 v156, v156, v160, s17
	v_cmp_eq_u32_e64 s23, 3, v145
	v_cndmask_b32_e64 v132, v132, v136, s20
	v_cndmask_b32_e64 v136, v155, v149, s3
	;; [unrolled: 1-line block ×5, first 2 shown]
	ds_load_b128 v[154:157], v144 offset:1040
	v_cndmask_b32_e64 v132, v132, v133, s22
	v_cmp_eq_u32_e64 s25, 4, v145
	v_cmp_eq_u32_e64 s27, 5, v145
	v_cndmask_b32_e64 v146, v146, v147, s22
	v_cmp_eq_u32_e64 s24, 6, v140
	v_cndmask_b32_e64 v132, v132, v158, s23
	;; [unrolled: 2-line block ×3, first 2 shown]
	v_cndmask_b32_e64 v146, v146, v160, s23
	s_waitcnt lgkmcnt(1)
	v_lshrrev_b32_e32 v158, 16, v150
	v_cndmask_b32_e64 v132, v132, v134, s25
	v_cndmask_b32_e64 v147, v167, v135, s24
	;; [unrolled: 1-line block ×6, first 2 shown]
	v_lshrrev_b32_e32 v159, 16, v151
	v_cndmask_b32_e64 v160, v150, v158, s6
	v_cndmask_b32_e64 v134, v134, v162, s27
	s_waitcnt lgkmcnt(0)
	v_lshrrev_b32_e32 v148, 16, v154
	v_cndmask_b32_e64 v146, v146, v151, s10
	v_cndmask_b32_e64 v132, v132, v135, s28
	v_cmp_eq_u32_e64 s26, 7, v140
	v_cndmask_b32_e64 v134, v134, v149, s28
	v_cndmask_b32_e64 v162, v154, v148, s11
	v_cndmask_b32_e64 v135, v146, v159, s15
	v_cndmask_b32_e64 v146, v160, v151, s5
	v_lshrrev_b32_e32 v160, 16, v155
	v_cndmask_b32_e64 v136, v136, v163, s18
	v_cndmask_b32_e64 v149, v162, v155, s10
	v_cmp_eq_u32_e64 s10, 7, v145
	v_cndmask_b32_e64 v146, v146, v159, s4
	v_cndmask_b32_e64 v135, v135, v152, s16
	v_lshrrev_b32_e32 v162, 16, v152
	v_cndmask_b32_e64 v149, v149, v160, s15
	v_cndmask_b32_e64 v132, v132, v161, s10
	;; [unrolled: 1-line block ×8, first 2 shown]
	v_lshrrev_b32_e32 v163, 16, v156
	v_perm_b32 v135, v134, v132, 0x5040100
	v_cndmask_b32_e32 v132, v146, v162, vcc_lo
	v_cndmask_b32_e64 v146, v161, v153, s13
	v_lshrrev_b32_e32 v161, 16, v153
	v_cndmask_b32_e64 v149, v149, v163, s12
	v_perm_b32 v134, v133, v147, 0x5040100
	v_cndmask_b32_e64 v132, v132, v153, s3
	v_perm_b32 v133, v136, v166, 0x5040100
	v_cndmask_b32_e64 v136, v146, v161, s8
	v_cndmask_b32_e64 v146, v149, v157, s13
	;; [unrolled: 1-line block ×27, first 2 shown]
	v_cndmask_b32_e32 v148, v148, v163, vcc_lo
	v_lshrrev_b32_e32 v147, 16, v157
	v_cndmask_b32_e64 v132, v132, v153, s24
	v_cndmask_b32_e64 v149, v149, v153, s28
	;; [unrolled: 1-line block ×11, first 2 shown]
	v_perm_b32 v132, v165, v164, 0x5040100
	v_perm_b32 v149, v150, v149, 0x5040100
	v_perm_b32 v148, v151, v152, 0x5040100
	v_perm_b32 v147, v153, v166, 0x5040100
	v_perm_b32 v146, v146, v136, 0x5040100
	s_lshl_b32 s7, s35, 2
	s_mov_b32 s2, exec_lo
	ds_store_b128 v131, v[132:135]
	ds_store_b128 v131, v[146:149] offset:1024
	v_cmpx_gt_u32_e32 4, v0
	s_cbranch_execz .LBB605_78
; %bb.77:
	v_or_b32_e32 v131, s29, v0
	s_load_b128 s[8:11], s[0:1], 0x58
	s_delay_alu instid0(VALU_DEP_1) | instskip(NEXT) | instid1(VALU_DEP_1)
	v_mad_u64_u32 v[132:133], null, s7, s30, v[131:132]
	v_mad_u64_u32 v[133:134], null, v132, s34, s[14:15]
	s_delay_alu instid0(VALU_DEP_1) | instskip(NEXT) | instid1(VALU_DEP_1)
	v_ashrrev_i32_e32 v134, 31, v133
	v_lshlrev_b64 v[131:132], 2, v[133:134]
	s_waitcnt lgkmcnt(0)
	s_delay_alu instid0(VALU_DEP_1) | instskip(NEXT) | instid1(VALU_DEP_2)
	v_add_co_u32 v133, vcc_lo, s10, v131
	v_add_co_ci_u32_e32 v134, vcc_lo, s11, v132, vcc_lo
	v_add_co_u32 v131, vcc_lo, s8, v131
	v_add_co_ci_u32_e32 v132, vcc_lo, s9, v132, vcc_lo
	global_store_b32 v[133:134], v129, off
	global_store_b32 v[131:132], v130, off
.LBB605_78:
	s_or_b32 exec_lo, exec_lo, s2
	s_waitcnt lgkmcnt(0)
	s_waitcnt_vscnt null, 0x0
	s_barrier
	buffer_gl0_inv
	ds_load_b128 v[146:149], v143
	ds_load_b128 v[150:153], v143 offset:16
	ds_load_b128 v[158:161], v143 offset:1040
	;; [unrolled: 1-line block ×3, first 2 shown]
	v_mov_b32_e32 v129, 0
	ds_load_b128 v[166:169], v143 offset:2064
	ds_load_b128 v[162:165], v143 offset:2048
	;; [unrolled: 1-line block ×6, first 2 shown]
	v_mov_b32_e32 v130, v129
	v_mov_b32_e32 v131, v129
	;; [unrolled: 1-line block ×7, first 2 shown]
	s_waitcnt lgkmcnt(8)
	s_delay_alu instid0(VALU_DEP_1)
	v_wmma_f32_16x16x16_bf16 v[129:136], v[121:128], v[146:153], v[129:136]
	ds_load_b128 v[125:128], v143 offset:5136
	ds_load_b128 v[121:124], v143 offset:5120
	s_waitcnt lgkmcnt(8)
	v_wmma_f32_16x16x16_bf16 v[129:136], v[113:120], v[154:161], v[129:136]
	ds_load_b128 v[117:120], v143 offset:6160
	ds_load_b128 v[113:116], v143 offset:6144
	s_waitcnt lgkmcnt(8)
	;; [unrolled: 4-line block ×8, first 2 shown]
	v_wmma_f32_16x16x16_bf16 v[129:136], v[65:72], v[97:104], v[129:136]
	s_waitcnt lgkmcnt(6)
	s_delay_alu instid0(VALU_DEP_1)
	v_wmma_f32_16x16x16_bf16 v[129:136], v[49:56], v[89:96], v[129:136]
	ds_load_b128 v[53:56], v143 offset:13328
	ds_load_b128 v[49:52], v143 offset:13312
	s_waitcnt lgkmcnt(6)
	v_wmma_f32_16x16x16_bf16 v[129:136], v[41:48], v[81:88], v[129:136]
	ds_load_b128 v[45:48], v143 offset:14352
	ds_load_b128 v[41:44], v143 offset:14336
	s_waitcnt lgkmcnt(6)
	;; [unrolled: 4-line block ×3, first 2 shown]
	v_wmma_f32_16x16x16_bf16 v[129:136], v[1:8], v[57:64], v[129:136]
	s_waitcnt lgkmcnt(4)
	s_delay_alu instid0(VALU_DEP_1) | instskip(SKIP_1) | instid1(VALU_DEP_1)
	v_wmma_f32_16x16x16_bf16 v[129:136], v[25:32], v[49:56], v[129:136]
	s_waitcnt lgkmcnt(2)
	v_wmma_f32_16x16x16_bf16 v[129:136], v[33:40], v[41:48], v[129:136]
	s_waitcnt lgkmcnt(0)
	s_delay_alu instid0(VALU_DEP_1) | instskip(NEXT) | instid1(VALU_DEP_1)
	v_wmma_f32_16x16x16_bf16 v[129:136], v[9:16], v[17:24], v[129:136]
	v_and_b32_e32 v1, 0x7f800000, v129
	s_delay_alu instid0(VALU_DEP_1) | instskip(SKIP_1) | instid1(SALU_CYCLE_1)
	v_cmp_ne_u32_e32 vcc_lo, 0x7f800000, v1
                                        ; implicit-def: $vgpr1
	s_and_saveexec_b32 s2, vcc_lo
	s_xor_b32 s2, exec_lo, s2
; %bb.79:
	v_bfe_u32 v1, v129, 16, 1
	s_delay_alu instid0(VALU_DEP_1)
	v_add3_u32 v1, v129, v1, 0x7fff
; %bb.80:
	s_and_not1_saveexec_b32 s2, s2
; %bb.81:
	v_and_b32_e32 v1, 0xffff, v129
	v_or_b32_e32 v2, 0x10000, v129
	s_delay_alu instid0(VALU_DEP_2) | instskip(NEXT) | instid1(VALU_DEP_2)
	v_cmp_eq_u32_e32 vcc_lo, 0, v1
	v_cndmask_b32_e32 v1, v2, v129, vcc_lo
; %bb.82:
	s_or_b32 exec_lo, exec_lo, s2
	v_and_b32_e32 v2, 0x7f800000, v130
	s_delay_alu instid0(VALU_DEP_1) | instskip(SKIP_1) | instid1(SALU_CYCLE_1)
	v_cmp_ne_u32_e32 vcc_lo, 0x7f800000, v2
                                        ; implicit-def: $vgpr2
	s_and_saveexec_b32 s2, vcc_lo
	s_xor_b32 s2, exec_lo, s2
; %bb.83:
	v_bfe_u32 v2, v130, 16, 1
	s_delay_alu instid0(VALU_DEP_1)
	v_add3_u32 v2, v130, v2, 0x7fff
; %bb.84:
	s_and_not1_saveexec_b32 s2, s2
; %bb.85:
	v_and_b32_e32 v2, 0xffff, v130
	v_or_b32_e32 v3, 0x10000, v130
	s_delay_alu instid0(VALU_DEP_2) | instskip(NEXT) | instid1(VALU_DEP_2)
	v_cmp_eq_u32_e32 vcc_lo, 0, v2
	v_cndmask_b32_e32 v2, v3, v130, vcc_lo
; %bb.86:
	s_or_b32 exec_lo, exec_lo, s2
	v_and_b32_e32 v3, 0x7f800000, v131
	s_delay_alu instid0(VALU_DEP_1) | instskip(SKIP_1) | instid1(SALU_CYCLE_1)
	v_cmp_ne_u32_e32 vcc_lo, 0x7f800000, v3
                                        ; implicit-def: $vgpr3
	s_and_saveexec_b32 s2, vcc_lo
	s_xor_b32 s2, exec_lo, s2
; %bb.87:
	v_bfe_u32 v3, v131, 16, 1
	s_delay_alu instid0(VALU_DEP_1)
	v_add3_u32 v3, v131, v3, 0x7fff
; %bb.88:
	s_and_not1_saveexec_b32 s2, s2
; %bb.89:
	v_and_b32_e32 v3, 0xffff, v131
	v_or_b32_e32 v4, 0x10000, v131
	s_delay_alu instid0(VALU_DEP_2) | instskip(NEXT) | instid1(VALU_DEP_2)
	v_cmp_eq_u32_e32 vcc_lo, 0, v3
	v_cndmask_b32_e32 v3, v4, v131, vcc_lo
; %bb.90:
	s_or_b32 exec_lo, exec_lo, s2
	v_and_b32_e32 v4, 0x7f800000, v132
	s_delay_alu instid0(VALU_DEP_1) | instskip(SKIP_1) | instid1(SALU_CYCLE_1)
	v_cmp_ne_u32_e32 vcc_lo, 0x7f800000, v4
                                        ; implicit-def: $vgpr4
	s_and_saveexec_b32 s2, vcc_lo
	s_xor_b32 s2, exec_lo, s2
; %bb.91:
	v_bfe_u32 v4, v132, 16, 1
	s_delay_alu instid0(VALU_DEP_1)
	v_add3_u32 v4, v132, v4, 0x7fff
; %bb.92:
	s_and_not1_saveexec_b32 s2, s2
; %bb.93:
	v_and_b32_e32 v4, 0xffff, v132
	v_or_b32_e32 v5, 0x10000, v132
	s_delay_alu instid0(VALU_DEP_2) | instskip(NEXT) | instid1(VALU_DEP_2)
	v_cmp_eq_u32_e32 vcc_lo, 0, v4
	v_cndmask_b32_e32 v4, v5, v132, vcc_lo
; %bb.94:
	s_or_b32 exec_lo, exec_lo, s2
	v_and_b32_e32 v5, 0x7f800000, v133
	s_delay_alu instid0(VALU_DEP_1) | instskip(SKIP_1) | instid1(SALU_CYCLE_1)
	v_cmp_ne_u32_e32 vcc_lo, 0x7f800000, v5
                                        ; implicit-def: $vgpr5
	s_and_saveexec_b32 s2, vcc_lo
	s_xor_b32 s2, exec_lo, s2
; %bb.95:
	v_bfe_u32 v5, v133, 16, 1
	s_delay_alu instid0(VALU_DEP_1)
	v_add3_u32 v5, v133, v5, 0x7fff
; %bb.96:
	s_and_not1_saveexec_b32 s2, s2
; %bb.97:
	v_and_b32_e32 v5, 0xffff, v133
	v_or_b32_e32 v6, 0x10000, v133
	s_delay_alu instid0(VALU_DEP_2) | instskip(NEXT) | instid1(VALU_DEP_2)
	v_cmp_eq_u32_e32 vcc_lo, 0, v5
	v_cndmask_b32_e32 v5, v6, v133, vcc_lo
; %bb.98:
	s_or_b32 exec_lo, exec_lo, s2
	v_and_b32_e32 v6, 0x7f800000, v134
	s_delay_alu instid0(VALU_DEP_1) | instskip(SKIP_1) | instid1(SALU_CYCLE_1)
	v_cmp_ne_u32_e32 vcc_lo, 0x7f800000, v6
                                        ; implicit-def: $vgpr6
	s_and_saveexec_b32 s2, vcc_lo
	s_xor_b32 s2, exec_lo, s2
; %bb.99:
	v_bfe_u32 v6, v134, 16, 1
	s_delay_alu instid0(VALU_DEP_1)
	v_add3_u32 v6, v134, v6, 0x7fff
; %bb.100:
	s_and_not1_saveexec_b32 s2, s2
; %bb.101:
	v_and_b32_e32 v6, 0xffff, v134
	v_or_b32_e32 v7, 0x10000, v134
	s_delay_alu instid0(VALU_DEP_2) | instskip(NEXT) | instid1(VALU_DEP_2)
	v_cmp_eq_u32_e32 vcc_lo, 0, v6
	v_cndmask_b32_e32 v6, v7, v134, vcc_lo
; %bb.102:
	s_or_b32 exec_lo, exec_lo, s2
	v_and_b32_e32 v7, 0x7f800000, v135
	s_delay_alu instid0(VALU_DEP_1) | instskip(SKIP_1) | instid1(SALU_CYCLE_1)
	v_cmp_ne_u32_e32 vcc_lo, 0x7f800000, v7
                                        ; implicit-def: $vgpr7
	s_and_saveexec_b32 s2, vcc_lo
	s_xor_b32 s2, exec_lo, s2
; %bb.103:
	v_bfe_u32 v7, v135, 16, 1
	s_delay_alu instid0(VALU_DEP_1)
	v_add3_u32 v7, v135, v7, 0x7fff
; %bb.104:
	s_and_not1_saveexec_b32 s2, s2
; %bb.105:
	v_and_b32_e32 v7, 0xffff, v135
	v_or_b32_e32 v8, 0x10000, v135
	s_delay_alu instid0(VALU_DEP_2) | instskip(NEXT) | instid1(VALU_DEP_2)
	v_cmp_eq_u32_e32 vcc_lo, 0, v7
	v_cndmask_b32_e32 v7, v8, v135, vcc_lo
; %bb.106:
	s_or_b32 exec_lo, exec_lo, s2
	v_and_b32_e32 v8, 0x7f800000, v136
	s_delay_alu instid0(VALU_DEP_1) | instskip(SKIP_1) | instid1(SALU_CYCLE_1)
	v_cmp_ne_u32_e32 vcc_lo, 0x7f800000, v8
                                        ; implicit-def: $vgpr8
	s_and_saveexec_b32 s2, vcc_lo
	s_xor_b32 s2, exec_lo, s2
; %bb.107:
	v_bfe_u32 v8, v136, 16, 1
	s_delay_alu instid0(VALU_DEP_1)
	v_add3_u32 v8, v136, v8, 0x7fff
                                        ; implicit-def: $vgpr129_vgpr130_vgpr131_vgpr132_vgpr133_vgpr134_vgpr135_vgpr136
; %bb.108:
	s_and_not1_saveexec_b32 s2, s2
; %bb.109:
	v_and_b32_e32 v8, 0xffff, v136
	v_or_b32_e32 v9, 0x10000, v136
	s_delay_alu instid0(VALU_DEP_2) | instskip(NEXT) | instid1(VALU_DEP_2)
	v_cmp_eq_u32_e32 vcc_lo, 0, v8
	v_cndmask_b32_e32 v8, v9, v136, vcc_lo
; %bb.110:
	s_or_b32 exec_lo, exec_lo, s2
	s_delay_alu instid0(VALU_DEP_1)
	v_perm_b32 v7, v8, v7, 0x7060302
	v_perm_b32 v6, v6, v5, 0x7060302
	;; [unrolled: 1-line block ×4, first 2 shown]
	v_lshl_or_b32 v9, v138, 4, v144
	s_barrier
	buffer_gl0_inv
	v_cmp_eq_u32_e32 vcc_lo, 1, v141
	ds_store_b128 v9, v[4:7]
	s_waitcnt lgkmcnt(0)
	s_barrier
	buffer_gl0_inv
	ds_load_b128 v[1:4], v144
	ds_load_b128 v[5:8], v144 offset:16
	v_cmp_eq_u32_e64 s3, 2, v141
	v_cmp_eq_u32_e64 s2, 1, v142
	;; [unrolled: 1-line block ×5, first 2 shown]
	s_waitcnt lgkmcnt(1)
	v_lshrrev_b32_e32 v10, 16, v1
	s_waitcnt lgkmcnt(0)
	v_lshrrev_b32_e32 v14, 16, v5
	v_lshrrev_b32_e32 v15, 16, v6
	;; [unrolled: 1-line block ×4, first 2 shown]
	v_cndmask_b32_e64 v20, v1, v10, s2
	v_cndmask_b32_e32 v19, v5, v14, vcc_lo
	v_cndmask_b32_e64 v21, v5, v14, s2
	v_lshrrev_b32_e32 v16, 16, v7
	v_cmp_eq_u32_e64 s2, 1, v140
	v_lshrrev_b32_e32 v13, 16, v4
	v_cndmask_b32_e64 v19, v19, v6, s3
	v_lshrrev_b32_e32 v17, 16, v8
	s_delay_alu instid0(VALU_DEP_4) | instskip(SKIP_1) | instid1(VALU_DEP_4)
	v_cndmask_b32_e64 v22, v1, v10, s2
	v_cndmask_b32_e64 v23, v5, v14, s2
	;; [unrolled: 1-line block ×3, first 2 shown]
	v_cndmask_b32_e32 v18, v1, v10, vcc_lo
	v_cmp_eq_u32_e32 vcc_lo, 2, v142
	v_cmp_eq_u32_e64 s2, 2, v145
	v_cndmask_b32_e64 v22, v22, v2, s6
	v_cndmask_b32_e32 v20, v20, v2, vcc_lo
	v_cndmask_b32_e32 v21, v21, v6, vcc_lo
	v_cmp_eq_u32_e32 vcc_lo, 4, v141
	v_cndmask_b32_e32 v19, v19, v7, vcc_lo
	v_cndmask_b32_e64 v18, v18, v2, s3
	v_cmp_eq_u32_e64 s3, 3, v142
	s_delay_alu instid0(VALU_DEP_2) | instskip(NEXT) | instid1(VALU_DEP_2)
	v_cndmask_b32_e64 v18, v18, v11, s4
	v_cndmask_b32_e64 v21, v21, v15, s3
	v_cmp_eq_u32_e64 s4, 5, v141
	s_delay_alu instid0(VALU_DEP_3) | instskip(SKIP_1) | instid1(VALU_DEP_3)
	v_cndmask_b32_e32 v18, v18, v3, vcc_lo
	v_cmp_eq_u32_e32 vcc_lo, 4, v142
	v_cndmask_b32_e64 v19, v19, v16, s4
	s_delay_alu instid0(VALU_DEP_3) | instskip(SKIP_4) | instid1(VALU_DEP_3)
	v_cndmask_b32_e64 v18, v18, v12, s4
	v_cndmask_b32_e32 v21, v21, v7, vcc_lo
	v_cndmask_b32_e64 v20, v20, v11, s3
	v_cmp_eq_u32_e64 s3, 5, v142
	v_cmp_eq_u32_e64 s4, 6, v141
	v_cndmask_b32_e32 v20, v20, v3, vcc_lo
	s_delay_alu instid0(VALU_DEP_3) | instskip(SKIP_1) | instid1(VALU_DEP_4)
	v_cndmask_b32_e64 v21, v21, v16, s3
	v_cmp_eq_u32_e32 vcc_lo, 6, v142
	v_cndmask_b32_e64 v18, v18, v4, s4
	v_cndmask_b32_e64 v19, v19, v8, s4
	;; [unrolled: 1-line block ×3, first 2 shown]
	v_cmp_eq_u32_e64 s3, 1, v145
	v_cmp_eq_u32_e64 s4, 7, v141
	s_delay_alu instid0(VALU_DEP_3) | instskip(NEXT) | instid1(VALU_DEP_3)
	v_cndmask_b32_e32 v20, v20, v4, vcc_lo
	v_cndmask_b32_e64 v1, v1, v10, s3
	v_cndmask_b32_e64 v5, v5, v14, s3
	v_cmp_eq_u32_e64 s3, 3, v140
	v_cndmask_b32_e64 v14, v23, v6, s6
	v_cmp_eq_u32_e64 s6, 3, v145
	v_cndmask_b32_e64 v1, v1, v2, s2
	v_cndmask_b32_e64 v2, v5, v6, s2
	;; [unrolled: 1-line block ×3, first 2 shown]
	v_cmp_eq_u32_e64 s2, 4, v140
	v_cndmask_b32_e64 v6, v14, v15, s3
	v_cndmask_b32_e64 v1, v1, v11, s6
	v_cmp_eq_u32_e64 s3, 4, v145
	v_cndmask_b32_e64 v2, v2, v15, s6
	v_cndmask_b32_e64 v5, v10, v3, s2
	;; [unrolled: 3-line block ×3, first 2 shown]
	v_cndmask_b32_e64 v2, v2, v7, s3
	v_cmp_eq_u32_e64 s2, 5, v145
	v_cndmask_b32_e64 v5, v5, v12, s6
	v_cmp_eq_u32_e64 s3, 6, v140
	;; [unrolled: 2-line block ×3, first 2 shown]
	v_cndmask_b32_e64 v1, v1, v12, s2
	v_cndmask_b32_e64 v2, v2, v16, s2
	;; [unrolled: 1-line block ×4, first 2 shown]
	v_cmp_eq_u32_e64 s2, 7, v145
	v_cndmask_b32_e64 v1, v1, v4, s6
	v_cndmask_b32_e64 v2, v2, v8, s6
	v_cmp_eq_u32_e64 s3, 7, v140
	v_cndmask_b32_e32 v4, v21, v8, vcc_lo
	v_cndmask_b32_e64 v18, v18, v13, s4
	v_cndmask_b32_e64 v20, v20, v13, s5
	;; [unrolled: 1-line block ×8, first 2 shown]
	s_mov_b32 s2, exec_lo
	v_perm_b32 v4, v2, v1, 0x5040100
	v_perm_b32 v3, v3, v5, 0x5040100
	;; [unrolled: 1-line block ×4, first 2 shown]
	ds_store_b128 v9, v[1:4]
	s_waitcnt lgkmcnt(0)
	s_barrier
	buffer_gl0_inv
	v_cmpx_gt_u32_e32 32, v0
	s_cbranch_execz .LBB605_2
; %bb.111:
	s_load_b64 s[0:1], s[0:1], 0x68
	v_lshlrev_b32_e32 v0, 10, v0
	v_or_b32_e32 v1, s29, v138
	s_lshl_b32 s4, s34, 7
	v_lshlrev_b32_e32 v2, 4, v139
	s_mul_i32 s2, s4, s30
	v_lshlrev_b32_e32 v3, 6, v138
	v_mul_lo_u32 v8, v1, s4
	v_and_b32_e32 v0, 0x3800, v0
	v_or_b32_e32 v1, 2, v1
	s_mul_i32 s2, s2, s7
	s_delay_alu instid0(SALU_CYCLE_1) | instskip(NEXT) | instid1(VALU_DEP_2)
	s_ashr_i32 s3, s2, 31
	v_or3_b32 v4, v0, v2, v3
	s_lshl_b64 s[2:3], s[2:3], 1
	v_mul_lo_u32 v10, v1, s4
	v_ashrrev_i32_e32 v9, 31, v8
	ds_load_b128 v[0:3], v4
	ds_load_b128 v[4:7], v4 offset:128
	s_waitcnt lgkmcnt(0)
	s_add_u32 s2, s0, s2
	s_addc_u32 s3, s1, s3
	s_lshl_b32 s0, s14, 7
	v_ashrrev_i32_e32 v11, 31, v10
	s_ashr_i32 s1, s0, 31
	v_lshlrev_b64 v[8:9], 1, v[8:9]
	s_lshl_b64 s[0:1], s[0:1], 1
	s_delay_alu instid0(SALU_CYCLE_1) | instskip(SKIP_2) | instid1(VALU_DEP_1)
	s_add_u32 s0, s2, s0
	s_addc_u32 s1, s3, s1
	v_add_co_u32 v12, s0, s0, v137
	v_add_co_ci_u32_e64 v13, null, s1, 0, s0
	v_lshlrev_b64 v[10:11], 1, v[10:11]
	s_delay_alu instid0(VALU_DEP_3) | instskip(NEXT) | instid1(VALU_DEP_3)
	v_add_co_u32 v8, vcc_lo, v12, v8
	v_add_co_ci_u32_e32 v9, vcc_lo, v13, v9, vcc_lo
	s_delay_alu instid0(VALU_DEP_3) | instskip(NEXT) | instid1(VALU_DEP_4)
	v_add_co_u32 v10, vcc_lo, v12, v10
	v_add_co_ci_u32_e32 v11, vcc_lo, v13, v11, vcc_lo
	s_clause 0x1
	global_store_b128 v[8:9], v[0:3], off
	global_store_b128 v[10:11], v[4:7], off
	s_nop 0
	s_sendmsg sendmsg(MSG_DEALLOC_VGPRS)
	s_endpgm
	.section	.rodata,"a",@progbits
	.p2align	6, 0x0
	.amdhsa_kernel _Z39paged_attention_ll4mi_QKV_mfma16_kernelI14__hip_bfloat16S0_LN4vllm18Fp8KVCacheDataTypeE0EhLi16ELi128ELi256ELb1ELi4EL8MFMAType0EEvPKT_PKT0_S9_ifPKiSB_SB_iPKfiiiPfSE_PS4_PT2_iSD_SD_
		.amdhsa_group_segment_fixed_size 17472
		.amdhsa_private_segment_fixed_size 0
		.amdhsa_kernarg_size 400
		.amdhsa_user_sgpr_count 13
		.amdhsa_user_sgpr_dispatch_ptr 0
		.amdhsa_user_sgpr_queue_ptr 0
		.amdhsa_user_sgpr_kernarg_segment_ptr 1
		.amdhsa_user_sgpr_dispatch_id 0
		.amdhsa_user_sgpr_private_segment_size 0
		.amdhsa_wavefront_size32 1
		.amdhsa_uses_dynamic_stack 0
		.amdhsa_enable_private_segment 0
		.amdhsa_system_sgpr_workgroup_id_x 1
		.amdhsa_system_sgpr_workgroup_id_y 1
		.amdhsa_system_sgpr_workgroup_id_z 1
		.amdhsa_system_sgpr_workgroup_info 0
		.amdhsa_system_vgpr_workitem_id 0
		.amdhsa_next_free_vgpr 218
		.amdhsa_next_free_sgpr 50
		.amdhsa_reserve_vcc 1
		.amdhsa_float_round_mode_32 0
		.amdhsa_float_round_mode_16_64 0
		.amdhsa_float_denorm_mode_32 3
		.amdhsa_float_denorm_mode_16_64 3
		.amdhsa_dx10_clamp 1
		.amdhsa_ieee_mode 1
		.amdhsa_fp16_overflow 0
		.amdhsa_workgroup_processor_mode 1
		.amdhsa_memory_ordered 1
		.amdhsa_forward_progress 0
		.amdhsa_shared_vgpr_count 0
		.amdhsa_exception_fp_ieee_invalid_op 0
		.amdhsa_exception_fp_denorm_src 0
		.amdhsa_exception_fp_ieee_div_zero 0
		.amdhsa_exception_fp_ieee_overflow 0
		.amdhsa_exception_fp_ieee_underflow 0
		.amdhsa_exception_fp_ieee_inexact 0
		.amdhsa_exception_int_div_zero 0
	.end_amdhsa_kernel
	.section	.text._Z39paged_attention_ll4mi_QKV_mfma16_kernelI14__hip_bfloat16S0_LN4vllm18Fp8KVCacheDataTypeE0EhLi16ELi128ELi256ELb1ELi4EL8MFMAType0EEvPKT_PKT0_S9_ifPKiSB_SB_iPKfiiiPfSE_PS4_PT2_iSD_SD_,"axG",@progbits,_Z39paged_attention_ll4mi_QKV_mfma16_kernelI14__hip_bfloat16S0_LN4vllm18Fp8KVCacheDataTypeE0EhLi16ELi128ELi256ELb1ELi4EL8MFMAType0EEvPKT_PKT0_S9_ifPKiSB_SB_iPKfiiiPfSE_PS4_PT2_iSD_SD_,comdat
.Lfunc_end605:
	.size	_Z39paged_attention_ll4mi_QKV_mfma16_kernelI14__hip_bfloat16S0_LN4vllm18Fp8KVCacheDataTypeE0EhLi16ELi128ELi256ELb1ELi4EL8MFMAType0EEvPKT_PKT0_S9_ifPKiSB_SB_iPKfiiiPfSE_PS4_PT2_iSD_SD_, .Lfunc_end605-_Z39paged_attention_ll4mi_QKV_mfma16_kernelI14__hip_bfloat16S0_LN4vllm18Fp8KVCacheDataTypeE0EhLi16ELi128ELi256ELb1ELi4EL8MFMAType0EEvPKT_PKT0_S9_ifPKiSB_SB_iPKfiiiPfSE_PS4_PT2_iSD_SD_
                                        ; -- End function
	.section	.AMDGPU.csdata,"",@progbits
; Kernel info:
; codeLenInByte = 10156
; NumSgprs: 52
; NumVgprs: 218
; ScratchSize: 0
; MemoryBound: 0
; FloatMode: 240
; IeeeMode: 1
; LDSByteSize: 17472 bytes/workgroup (compile time only)
; SGPRBlocks: 6
; VGPRBlocks: 27
; NumSGPRsForWavesPerEU: 52
; NumVGPRsForWavesPerEU: 218
; Occupancy: 6
; WaveLimiterHint : 1
; COMPUTE_PGM_RSRC2:SCRATCH_EN: 0
; COMPUTE_PGM_RSRC2:USER_SGPR: 13
; COMPUTE_PGM_RSRC2:TRAP_HANDLER: 0
; COMPUTE_PGM_RSRC2:TGID_X_EN: 1
; COMPUTE_PGM_RSRC2:TGID_Y_EN: 1
; COMPUTE_PGM_RSRC2:TGID_Z_EN: 1
; COMPUTE_PGM_RSRC2:TIDIG_COMP_CNT: 0
	.section	.text._Z35paged_attention_ll4mi_reduce_kernelI14__hip_bfloat16hLi128ELi128ELi256ELi9EEvPT0_PKfS4_PKT_PKiS9_iS4_,"axG",@progbits,_Z35paged_attention_ll4mi_reduce_kernelI14__hip_bfloat16hLi128ELi128ELi256ELi9EEvPT0_PKfS4_PKT_PKiS9_iS4_,comdat
	.protected	_Z35paged_attention_ll4mi_reduce_kernelI14__hip_bfloat16hLi128ELi128ELi256ELi9EEvPT0_PKfS4_PKT_PKiS9_iS4_ ; -- Begin function _Z35paged_attention_ll4mi_reduce_kernelI14__hip_bfloat16hLi128ELi128ELi256ELi9EEvPT0_PKfS4_PKT_PKiS9_iS4_
	.globl	_Z35paged_attention_ll4mi_reduce_kernelI14__hip_bfloat16hLi128ELi128ELi256ELi9EEvPT0_PKfS4_PKT_PKiS9_iS4_
	.p2align	8
	.type	_Z35paged_attention_ll4mi_reduce_kernelI14__hip_bfloat16hLi128ELi128ELi256ELi9EEvPT0_PKfS4_PKT_PKiS9_iS4_,@function
_Z35paged_attention_ll4mi_reduce_kernelI14__hip_bfloat16hLi128ELi128ELi256ELi9EEvPT0_PKfS4_PKT_PKiS9_iS4_: ; @_Z35paged_attention_ll4mi_reduce_kernelI14__hip_bfloat16hLi128ELi128ELi256ELi9EEvPT0_PKfS4_PKT_PKiS9_iS4_
; %bb.0:
	s_load_b64 s[12:13], s[0:1], 0x28
	s_mov_b32 s2, s15
	s_waitcnt lgkmcnt(0)
	s_cmp_lg_u64 s[12:13], 0
	s_cselect_b32 s15, -1, 0
	s_delay_alu instid0(SALU_CYCLE_1)
	s_and_b32 vcc_lo, exec_lo, s15
	s_cbranch_vccz .LBB606_24
; %bb.1:
	s_add_i32 s4, s2, 1
	s_mov_b32 s5, 0
	s_delay_alu instid0(SALU_CYCLE_1) | instskip(SKIP_4) | instid1(SALU_CYCLE_1)
	s_lshl_b64 s[6:7], s[4:5], 2
	s_mov_b32 s3, s5
	s_add_u32 s6, s12, s6
	s_addc_u32 s7, s13, s7
	s_lshl_b64 s[8:9], s[2:3], 2
	s_add_u32 s8, s12, s8
	s_addc_u32 s9, s13, s9
	s_clause 0x1
	s_load_b32 s4, s[6:7], 0x0
	s_load_b32 s6, s[8:9], 0x0
	s_waitcnt lgkmcnt(0)
	s_sub_i32 s4, s4, s6
	s_delay_alu instid0(SALU_CYCLE_1)
	s_cmp_eq_u32 s4, 1
	s_cselect_b32 s4, -1, 0
	s_cbranch_execnz .LBB606_3
.LBB606_2:
	s_mov_b32 s3, 0
	s_mov_b32 s4, -1
.LBB606_3:
	s_delay_alu instid0(SALU_CYCLE_1)
	s_and_not1_b32 vcc_lo, exec_lo, s4
	s_cbranch_vccz .LBB606_5
; %bb.4:
	s_endpgm
.LBB606_5:
	s_clause 0x1
	s_load_b128 s[4:7], s[0:1], 0x18
	s_load_b32 s9, s[0:1], 0x30
	s_lshl_b64 s[16:17], s[2:3], 2
	s_waitcnt lgkmcnt(0)
	s_add_u32 s6, s6, s16
	s_addc_u32 s7, s7, s17
	s_load_b32 s23, s[6:7], 0x0
	s_load_b32 s33, s[0:1], 0x40
	s_mul_i32 s7, s2, s9
	s_waitcnt lgkmcnt(0)
	s_add_i32 s22, s23, 0xff
	s_delay_alu instid0(SALU_CYCLE_1) | instskip(NEXT) | instid1(SALU_CYCLE_1)
	s_ashr_i32 s6, s22, 31
	s_lshr_b32 s6, s6, 24
	s_delay_alu instid0(SALU_CYCLE_1) | instskip(SKIP_4) | instid1(SALU_CYCLE_1)
	s_add_i32 s8, s22, s6
	s_mul_i32 s6, s14, s9
	s_mov_b32 s9, exec_lo
	v_cmpx_lt_u32_e32 31, v0
	s_xor_b32 s9, exec_lo, s9
	s_or_saveexec_b32 s24, s9
	v_mov_b32_e32 v1, s6
	s_ashr_i32 s40, s8, 8
	s_mul_i32 s18, s7, s33
	s_xor_b32 exec_lo, exec_lo, s24
	s_cbranch_execz .LBB606_9
; %bb.6:
	v_or_b32_e32 v2, 32, v0
	v_cmp_gt_i32_e32 vcc_lo, s40, v0
	s_add_i32 s20, s40, -1
	v_or_b32_e32 v4, 64, v0
	v_or_b32_e32 v6, 0x60, v0
	s_load_b128 s[8:11], s[0:1], 0x8
	v_cndmask_b32_e32 v1, s20, v0, vcc_lo
	v_cmp_gt_i32_e32 vcc_lo, s40, v2
	s_mov_b32 s19, 0
	s_delay_alu instid0(SALU_CYCLE_1)
	s_mov_b32 s7, s19
	v_cndmask_b32_e32 v3, s20, v2, vcc_lo
	v_cmp_gt_i32_e32 vcc_lo, s40, v4
	v_or_b32_e32 v2, 0x80, v0
	v_cndmask_b32_e32 v5, s20, v4, vcc_lo
	v_cmp_gt_i32_e32 vcc_lo, s40, v6
	v_or_b32_e32 v4, 0xa0, v0
	;; [unrolled: 3-line block ×3, first 2 shown]
	s_delay_alu instid0(VALU_DEP_3) | instskip(SKIP_3) | instid1(VALU_DEP_4)
	v_ashrrev_i32_e32 v8, 31, v7
	v_cndmask_b32_e32 v9, s20, v2, vcc_lo
	v_or_b32_e32 v2, 0xc0, v0
	v_cmp_gt_i32_e32 vcc_lo, s40, v4
	v_lshlrev_b64 v[7:8], 2, v[7:8]
	s_delay_alu instid0(VALU_DEP_4) | instskip(SKIP_3) | instid1(VALU_DEP_4)
	v_ashrrev_i32_e32 v10, 31, v9
	v_cndmask_b32_e32 v11, s20, v4, vcc_lo
	v_cmp_gt_i32_e32 vcc_lo, s40, v2
	v_or_b32_e32 v4, 0x100, v0
	v_lshlrev_b64 v[9:10], 2, v[9:10]
	s_delay_alu instid0(VALU_DEP_4) | instskip(SKIP_3) | instid1(VALU_DEP_4)
	v_ashrrev_i32_e32 v12, 31, v11
	v_cndmask_b32_e32 v13, s20, v2, vcc_lo
	v_cmp_gt_i32_e32 vcc_lo, s40, v6
	v_ashrrev_i32_e32 v2, 31, v1
	v_lshlrev_b64 v[11:12], 2, v[11:12]
	s_delay_alu instid0(VALU_DEP_4)
	v_ashrrev_i32_e32 v14, 31, v13
	v_cndmask_b32_e32 v15, s20, v6, vcc_lo
	v_cmp_gt_i32_e32 vcc_lo, s40, v4
	v_lshlrev_b64 v[1:2], 2, v[1:2]
	v_ashrrev_i32_e32 v6, 31, v5
	v_lshlrev_b64 v[13:14], 2, v[13:14]
	v_ashrrev_i32_e32 v16, 31, v15
	v_cndmask_b32_e32 v17, s20, v4, vcc_lo
	v_ashrrev_i32_e32 v4, 31, v3
	s_lshl_b64 s[20:21], s[18:19], 2
	v_lshlrev_b64 v[5:6], 2, v[5:6]
	s_waitcnt lgkmcnt(0)
	s_add_u32 s19, s10, s20
	s_addc_u32 s25, s11, s21
	s_lshl_b64 s[10:11], s[6:7], 2
	v_lshlrev_b64 v[3:4], 2, v[3:4]
	s_add_u32 s7, s19, s10
	s_addc_u32 s19, s25, s11
	v_add_co_u32 v18, vcc_lo, s7, v1
	v_add_co_ci_u32_e32 v19, vcc_lo, s19, v2, vcc_lo
	s_delay_alu instid0(VALU_DEP_3)
	v_add_co_u32 v20, vcc_lo, s7, v3
	v_add_co_ci_u32_e32 v21, vcc_lo, s19, v4, vcc_lo
	v_add_co_u32 v22, vcc_lo, s7, v5
	v_add_co_ci_u32_e32 v23, vcc_lo, s19, v6, vcc_lo
	;; [unrolled: 2-line block ×4, first 2 shown]
	s_clause 0x4
	global_load_b32 v28, v[18:19], off
	global_load_b32 v29, v[20:21], off
	;; [unrolled: 1-line block ×5, first 2 shown]
	v_ashrrev_i32_e32 v18, 31, v17
	v_add_co_u32 v19, vcc_lo, s7, v11
	v_lshlrev_b64 v[15:16], 2, v[15:16]
	v_add_co_ci_u32_e32 v20, vcc_lo, s19, v12, vcc_lo
	v_add_co_u32 v21, vcc_lo, s7, v13
	v_lshlrev_b64 v[17:18], 2, v[17:18]
	v_add_co_ci_u32_e32 v22, vcc_lo, s19, v14, vcc_lo
	v_add_co_u32 v23, vcc_lo, s7, v15
	v_add_co_ci_u32_e32 v24, vcc_lo, s19, v16, vcc_lo
	s_delay_alu instid0(VALU_DEP_4)
	v_add_co_u32 v25, vcc_lo, s7, v17
	v_add_co_ci_u32_e32 v26, vcc_lo, s19, v18, vcc_lo
	s_clause 0x3
	global_load_b32 v19, v[19:20], off
	global_load_b32 v20, v[21:22], off
	;; [unrolled: 1-line block ×4, first 2 shown]
	s_add_u32 s7, s8, s20
	s_addc_u32 s8, s9, s21
	s_add_u32 s7, s7, s10
	s_addc_u32 s8, s8, s11
	v_add_co_u32 v1, vcc_lo, s7, v1
	v_add_co_ci_u32_e32 v2, vcc_lo, s8, v2, vcc_lo
	v_add_co_u32 v3, vcc_lo, s7, v3
	v_add_co_ci_u32_e32 v4, vcc_lo, s8, v4, vcc_lo
	;; [unrolled: 2-line block ×6, first 2 shown]
	s_clause 0x5
	global_load_b32 v23, v[1:2], off
	global_load_b32 v3, v[3:4], off
	;; [unrolled: 1-line block ×6, first 2 shown]
	v_add_co_u32 v1, vcc_lo, s7, v13
	v_add_co_ci_u32_e32 v2, vcc_lo, s8, v14, vcc_lo
	v_mbcnt_lo_u32_b32 v9, -1, 0
	global_load_b32 v8, v[1:2], off
	v_add_co_u32 v1, vcc_lo, s7, v15
	v_add_co_ci_u32_e32 v2, vcc_lo, s8, v16, vcc_lo
	v_xor_b32_e32 v11, 16, v9
	v_xor_b32_e32 v13, 8, v9
	;; [unrolled: 1-line block ×3, first 2 shown]
	global_load_b32 v12, v[1:2], off
	v_add_co_u32 v1, vcc_lo, s7, v17
	v_add_co_ci_u32_e32 v2, vcc_lo, s8, v18, vcc_lo
	v_cmp_gt_i32_e32 vcc_lo, 32, v11
	v_xor_b32_e32 v15, 2, v9
	v_xor_b32_e32 v16, 1, v9
	global_load_b32 v1, v[1:2], off
	s_mov_b32 s7, exec_lo
	v_cndmask_b32_e32 v11, v9, v11, vcc_lo
	v_cmp_gt_i32_e32 vcc_lo, 32, v13
	s_delay_alu instid0(VALU_DEP_2) | instskip(SKIP_1) | instid1(VALU_DEP_2)
	v_dual_cndmask_b32 v13, v9, v13 :: v_dual_lshlrev_b32 v2, 2, v11
	v_cmp_gt_i32_e32 vcc_lo, 32, v14
	v_dual_cndmask_b32 v14, v9, v14 :: v_dual_lshlrev_b32 v13, 2, v13
	v_cmp_gt_i32_e32 vcc_lo, 32, v15
	s_delay_alu instid0(VALU_DEP_2) | instskip(SKIP_1) | instid1(VALU_DEP_2)
	v_dual_cndmask_b32 v15, v9, v15 :: v_dual_lshlrev_b32 v14, 2, v14
	v_cmp_gt_i32_e32 vcc_lo, 32, v16
	v_lshlrev_b32_e32 v15, 2, v15
	v_cndmask_b32_e32 v9, v9, v16, vcc_lo
	s_delay_alu instid0(VALU_DEP_1) | instskip(SKIP_3) | instid1(VALU_DEP_1)
	v_lshlrev_b32_e32 v9, 2, v9
	s_waitcnt vmcnt(15)
	v_max3_f32 v10, v28, v29, v30
	s_waitcnt vmcnt(13)
	v_max3_f32 v10, v10, v31, v27
	s_waitcnt vmcnt(11)
	s_delay_alu instid0(VALU_DEP_1) | instskip(SKIP_1) | instid1(VALU_DEP_1)
	v_max3_f32 v10, v10, v19, v20
	s_waitcnt vmcnt(9)
	v_max3_f32 v10, v10, v21, v22
	ds_bpermute_b32 v11, v2, v10
	s_waitcnt lgkmcnt(0)
	v_max_f32_e32 v11, v11, v11
	s_delay_alu instid0(VALU_DEP_1) | instskip(SKIP_3) | instid1(VALU_DEP_1)
	v_max_f32_e32 v10, v10, v11
	ds_bpermute_b32 v11, v13, v10
	s_waitcnt lgkmcnt(0)
	v_max_f32_e32 v11, v11, v11
	v_max_f32_e32 v10, v10, v11
	ds_bpermute_b32 v11, v14, v10
	s_waitcnt lgkmcnt(0)
	v_max_f32_e32 v11, v11, v11
	s_delay_alu instid0(VALU_DEP_1) | instskip(SKIP_3) | instid1(VALU_DEP_1)
	v_max_f32_e32 v10, v10, v11
	ds_bpermute_b32 v11, v15, v10
	s_waitcnt lgkmcnt(0)
	v_max_f32_e32 v11, v11, v11
	v_max_f32_e32 v10, v10, v11
	ds_bpermute_b32 v11, v9, v10
	s_waitcnt lgkmcnt(0)
	v_max_f32_e32 v11, v11, v11
	s_delay_alu instid0(VALU_DEP_1) | instskip(SKIP_1) | instid1(VALU_DEP_2)
	v_max_f32_e32 v10, v10, v11
	v_sub_nc_u32_e32 v11, s40, v0
	v_sub_f32_e32 v24, v31, v10
	v_sub_f32_e32 v16, v28, v10
	;; [unrolled: 1-line block ×5, first 2 shown]
	v_mul_f32_e32 v28, 0x3fb8aa3b, v24
	v_cmp_ngt_f32_e32 vcc_lo, 0xc2ce8ed0, v16
	v_mul_f32_e32 v26, 0x3fb8aa3b, v17
	s_delay_alu instid0(VALU_DEP_3)
	v_fma_f32 v40, 0x3fb8aa3b, v24, -v28
	v_sub_f32_e32 v25, v27, v10
	v_rndne_f32_e32 v41, v28
	v_sub_f32_e32 v19, v19, v10
	v_fma_f32 v36, 0x3fb8aa3b, v17, -v26
	v_fmac_f32_e32 v40, 0x32a5705f, v24
	v_mul_f32_e32 v29, 0x3fb8aa3b, v25
	v_sub_f32_e32 v28, v28, v41
	v_mul_f32_e32 v30, 0x3fb8aa3b, v19
	v_rndne_f32_e32 v37, v26
	v_cvt_i32_f32_e32 v41, v41
	v_fma_f32 v42, 0x3fb8aa3b, v25, -v29
	v_sub_f32_e32 v21, v21, v10
	v_sub_f32_e32 v10, v22, v10
	v_mul_f32_e32 v22, 0x3fb8aa3b, v16
	v_rndne_f32_e32 v45, v30
	v_fmac_f32_e32 v42, 0x32a5705f, v25
	v_dual_mul_f32 v27, 0x3fb8aa3b, v18 :: v_dual_mul_f32 v32, 0x3fb8aa3b, v21
	s_delay_alu instid0(VALU_DEP_4)
	v_fma_f32 v34, 0x3fb8aa3b, v16, -v22
	v_rndne_f32_e32 v35, v22
	v_fma_f32 v44, 0x3fb8aa3b, v19, -v30
	v_sub_f32_e32 v30, v30, v45
	v_fma_f32 v38, 0x3fb8aa3b, v18, -v27
	v_rndne_f32_e32 v39, v27
	v_fmac_f32_e32 v34, 0x32a5705f, v16
	v_sub_f32_e32 v22, v22, v35
	v_rndne_f32_e32 v49, v32
	v_dual_mul_f32 v31, 0x3fb8aa3b, v20 :: v_dual_sub_f32 v26, v26, v37
	v_fmac_f32_e32 v36, 0x32a5705f, v17
	v_dual_fmac_f32 v38, 0x32a5705f, v18 :: v_dual_sub_f32 v27, v27, v39
	v_add_f32_e32 v22, v22, v34
	v_rndne_f32_e32 v43, v29
	s_delay_alu instid0(VALU_DEP_4)
	v_dual_mul_f32 v33, 0x3fb8aa3b, v10 :: v_dual_add_f32 v26, v26, v36
	v_fma_f32 v48, 0x3fb8aa3b, v21, -v32
	v_dual_fmac_f32 v44, 0x32a5705f, v19 :: v_dual_add_f32 v27, v27, v38
	v_sub_f32_e32 v32, v32, v49
	v_fma_f32 v46, 0x3fb8aa3b, v20, -v31
	v_sub_f32_e32 v29, v29, v43
	v_exp_f32_e32 v22, v22
	v_rndne_f32_e32 v47, v31
	v_cvt_i32_f32_e32 v35, v35
	v_fmac_f32_e32 v46, 0x32a5705f, v20
	v_dual_add_f32 v28, v28, v40 :: v_dual_add_f32 v29, v29, v42
	v_exp_f32_e32 v26, v26
	v_exp_f32_e32 v27, v27
	v_cvt_i32_f32_e32 v37, v37
	v_cvt_i32_f32_e32 v39, v39
	v_dual_sub_f32 v31, v31, v47 :: v_dual_fmac_f32 v48, 0x32a5705f, v21
	v_exp_f32_e32 v29, v29
	v_ldexp_f32 v22, v22, v35
	v_cvt_i32_f32_e32 v43, v43
	s_delay_alu instid0(VALU_DEP_3)
	v_dual_add_f32 v30, v30, v44 :: v_dual_add_f32 v31, v31, v46
	v_exp_f32_e32 v28, v28
	v_ldexp_f32 v26, v26, v37
	v_ldexp_f32 v27, v27, v39
	v_cndmask_b32_e32 v22, 0, v22, vcc_lo
	v_cmp_ngt_f32_e32 vcc_lo, 0xc2ce8ed0, v17
	v_exp_f32_e32 v31, v31
	v_ldexp_f32 v29, v29, v43
	v_exp_f32_e32 v30, v30
	v_cvt_i32_f32_e32 v34, v47
	v_cndmask_b32_e32 v26, 0, v26, vcc_lo
	v_cmp_ngt_f32_e32 vcc_lo, 0xc2ce8ed0, v18
	v_ldexp_f32 v28, v28, v41
	v_cvt_i32_f32_e32 v45, v45
	v_fma_f32 v50, 0x3fb8aa3b, v10, -v33
	v_rndne_f32_e32 v51, v33
	v_cndmask_b32_e32 v27, 0, v27, vcc_lo
	v_cmp_ngt_f32_e32 vcc_lo, 0xc2ce8ed0, v24
	v_ldexp_f32 v31, v31, v34
	v_ldexp_f32 v30, v30, v45
	v_dual_fmac_f32 v50, 0x32a5705f, v10 :: v_dual_sub_f32 v33, v33, v51
	v_cndmask_b32_e32 v28, 0, v28, vcc_lo
	v_cmp_ngt_f32_e32 vcc_lo, 0xc2ce8ed0, v25
	s_delay_alu instid0(VALU_DEP_3) | instskip(SKIP_2) | instid1(VALU_DEP_3)
	v_dual_add_f32 v32, v32, v48 :: v_dual_add_f32 v33, v33, v50
	v_cndmask_b32_e32 v29, 0, v29, vcc_lo
	v_cmp_ngt_f32_e32 vcc_lo, 0xc2ce8ed0, v19
	v_exp_f32_e32 v32, v32
	v_cndmask_b32_e32 v30, 0, v30, vcc_lo
	v_cmp_ngt_f32_e32 vcc_lo, 0xc2ce8ed0, v20
	v_cndmask_b32_e32 v31, 0, v31, vcc_lo
	v_cmp_nlt_f32_e32 vcc_lo, 0x42b17218, v16
	v_cndmask_b32_e32 v16, 0x7f800000, v22, vcc_lo
	v_cmp_nlt_f32_e32 vcc_lo, 0x42b17218, v17
	;; [unrolled: 2-line block ×6, first 2 shown]
	v_cndmask_b32_e32 v19, 0x7f800000, v30, vcc_lo
	v_cmp_lt_i32_e32 vcc_lo, 0, v11
	v_cndmask_b32_e32 v16, 0, v16, vcc_lo
	v_cmp_lt_i32_e32 vcc_lo, 32, v11
	s_waitcnt vmcnt(8)
	s_delay_alu instid0(VALU_DEP_2) | instskip(SKIP_2) | instid1(VALU_DEP_2)
	v_dual_mul_f32 v16, v23, v16 :: v_dual_cndmask_b32 v17, 0, v17
	v_cmp_lt_i32_e32 vcc_lo, 64, v11
	s_waitcnt vmcnt(7)
	v_mul_f32_e32 v3, v3, v17
	v_cvt_i32_f32_e32 v17, v49
	s_delay_alu instid0(VALU_DEP_1) | instskip(SKIP_3) | instid1(VALU_DEP_2)
	v_ldexp_f32 v17, v32, v17
	v_cndmask_b32_e32 v18, 0, v18, vcc_lo
	v_cmp_lt_i32_e32 vcc_lo, 0x60, v11
	s_waitcnt vmcnt(6)
	v_mul_f32_e32 v4, v4, v18
	v_cndmask_b32_e32 v22, 0, v22, vcc_lo
	v_cmp_lt_i32_e32 vcc_lo, 0x80, v11
	s_waitcnt vmcnt(5)
	s_delay_alu instid0(VALU_DEP_2) | instskip(SKIP_3) | instid1(VALU_DEP_3)
	v_dual_mul_f32 v5, v5, v22 :: v_dual_cndmask_b32 v24, 0, v24
	v_cmp_lt_i32_e32 vcc_lo, 0xa0, v11
	v_cvt_i32_f32_e32 v22, v51
	s_waitcnt vmcnt(4)
	v_dual_mul_f32 v6, v6, v24 :: v_dual_cndmask_b32 v19, 0, v19
	v_cmp_nlt_f32_e32 vcc_lo, 0x42b17218, v20
	s_waitcnt vmcnt(3)
	s_delay_alu instid0(VALU_DEP_2) | instskip(SKIP_3) | instid1(VALU_DEP_2)
	v_mul_f32_e32 v7, v7, v19
	v_cndmask_b32_e32 v18, 0x7f800000, v31, vcc_lo
	v_cmp_lt_i32_e32 vcc_lo, 0xc0, v11
	v_exp_f32_e32 v19, v33
	v_cndmask_b32_e32 v18, 0, v18, vcc_lo
	v_cmp_ngt_f32_e32 vcc_lo, 0xc2ce8ed0, v21
	s_waitcnt vmcnt(2)
	s_delay_alu instid0(VALU_DEP_2)
	v_dual_mul_f32 v8, v8, v18 :: v_dual_cndmask_b32 v17, 0, v17
	v_cmp_nlt_f32_e32 vcc_lo, 0x42b17218, v21
	s_waitcnt_depctr 0xfff
	v_ldexp_f32 v18, v19, v22
	v_dual_add_f32 v20, v16, v3 :: v_dual_cndmask_b32 v17, 0x7f800000, v17
	v_cmp_ngt_f32_e32 vcc_lo, 0xc2ce8ed0, v10
	s_delay_alu instid0(VALU_DEP_3) | instskip(SKIP_1) | instid1(VALU_DEP_4)
	v_cndmask_b32_e32 v18, 0, v18, vcc_lo
	v_cmp_lt_i32_e32 vcc_lo, 0xe0, v11
	v_cndmask_b32_e32 v17, 0, v17, vcc_lo
	v_cmp_nlt_f32_e32 vcc_lo, 0x42b17218, v10
	s_waitcnt vmcnt(1)
	s_delay_alu instid0(VALU_DEP_2) | instskip(SKIP_2) | instid1(VALU_DEP_2)
	v_mul_f32_e32 v12, v12, v17
	v_cndmask_b32_e32 v10, 0x7f800000, v18, vcc_lo
	v_cmp_lt_i32_e32 vcc_lo, 0x100, v11
	v_cndmask_b32_e32 v10, 0, v10, vcc_lo
	s_waitcnt vmcnt(0)
	s_delay_alu instid0(VALU_DEP_1) | instskip(SKIP_1) | instid1(VALU_DEP_1)
	v_mul_f32_e32 v10, v1, v10
	v_add_f32_e32 v20, v20, v4
	v_add_f32_e32 v19, v20, v5
	s_delay_alu instid0(VALU_DEP_1) | instskip(NEXT) | instid1(VALU_DEP_1)
	v_add_f32_e32 v19, v19, v6
	v_add_f32_e32 v18, v19, v7
	s_delay_alu instid0(VALU_DEP_1) | instskip(NEXT) | instid1(VALU_DEP_1)
	v_add_f32_e32 v11, v18, v8
	v_add_f32_e32 v1, v11, v12
	s_delay_alu instid0(VALU_DEP_1)
	v_add_f32_e32 v1, v1, v10
	ds_bpermute_b32 v2, v2, v1
	s_waitcnt lgkmcnt(0)
	v_add_f32_e32 v1, v1, v2
	ds_bpermute_b32 v2, v13, v1
	s_waitcnt lgkmcnt(0)
	;; [unrolled: 3-line block ×4, first 2 shown]
	v_add_f32_e32 v1, v1, v2
	ds_bpermute_b32 v2, v9, v1
	v_lshlrev_b32_e32 v9, 2, v0
	ds_store_2addr_b32 v9, v16, v3 offset1:32
	ds_store_2addr_b32 v9, v4, v5 offset0:64 offset1:96
	ds_store_2addr_b32 v9, v6, v7 offset0:128 offset1:160
	;; [unrolled: 1-line block ×3, first 2 shown]
	ds_store_b32 v9, v10 offset:1024
	v_cmpx_eq_u32_e32 0, v0
	s_cbranch_execz .LBB606_8
; %bb.7:
	s_waitcnt lgkmcnt(5)
	v_dual_add_f32 v1, v1, v2 :: v_dual_mov_b32 v2, 0
	ds_store_b32 v2, v1 offset:1152
.LBB606_8:
	s_or_b32 exec_lo, exec_lo, s7
	v_mov_b32_e32 v1, s6
.LBB606_9:
	s_or_b32 exec_lo, exec_lo, s24
	s_lshl_b32 s6, s18, 7
	s_mov_b32 s7, 0
	s_waitcnt lgkmcnt(5)
	v_dual_mov_b32 v2, 0 :: v_dual_lshlrev_b32 v1, 7, v1
	s_lshl_b64 s[6:7], s[6:7], 1
	v_dual_mov_b32 v31, 0 :: v_dual_mov_b32 v32, 0
	s_add_u32 s34, s4, s6
	s_addc_u32 s35, s5, s7
	s_lshl_b32 s41, s40, 7
	v_lshlrev_b64 v[3:4], 1, v[1:2]
	s_add_i32 s42, s41, 0xffffff80
	s_cmpk_lt_i32 s22, 0x100
	v_lshlrev_b32_e32 v1, 1, v0
	s_cselect_b32 s4, s42, 0
	v_dual_mov_b32 v33, 0 :: v_dual_mov_b32 v34, 0
	s_ashr_i32 s5, s4, 31
	v_add_co_u32 v3, vcc_lo, s34, v3
	s_lshl_b64 s[4:5], s[4:5], 1
	s_cmpk_lt_i32 s22, 0x200
	v_add_co_ci_u32_e32 v4, vcc_lo, s35, v4, vcc_lo
	s_cselect_b32 s6, s42, 0x80
	v_add_co_u32 v1, vcc_lo, v3, v1
	s_ashr_i32 s7, s6, 31
	s_delay_alu instid0(VALU_DEP_2)
	v_add_co_ci_u32_e32 v3, vcc_lo, 0, v4, vcc_lo
	s_lshl_b64 s[6:7], s[6:7], 1
	s_cmpk_lt_i32 s22, 0x300
	v_add_co_u32 v4, vcc_lo, v1, s4
	s_cselect_b32 s8, s42, 0x100
	v_add_co_ci_u32_e32 v5, vcc_lo, s5, v3, vcc_lo
	s_ashr_i32 s9, s8, 31
	v_add_co_u32 v6, vcc_lo, v1, s6
	s_lshl_b64 s[8:9], s[8:9], 1
	s_cmpk_lt_i32 s22, 0x400
	v_add_co_ci_u32_e32 v7, vcc_lo, s7, v3, vcc_lo
	s_cselect_b32 s10, s42, 0x180
	v_add_co_u32 v8, vcc_lo, v1, s8
	s_ashr_i32 s11, s10, 31
	v_add_co_ci_u32_e32 v9, vcc_lo, s9, v3, vcc_lo
	s_lshl_b64 s[10:11], s[10:11], 1
	s_cmpk_lt_i32 s22, 0x500
	v_add_co_u32 v11, vcc_lo, v1, s10
	s_cselect_b32 s18, s42, 0x200
	v_add_co_ci_u32_e32 v12, vcc_lo, s11, v3, vcc_lo
	s_ashr_i32 s19, s18, 31
	v_mov_b32_e32 v35, 0
	s_lshl_b64 s[18:19], s[18:19], 1
	s_cmpk_lt_i32 s22, 0x600
	v_add_co_u32 v14, vcc_lo, v1, s18
	s_cselect_b32 s20, s42, 0x280
	v_add_co_ci_u32_e32 v15, vcc_lo, s19, v3, vcc_lo
	s_ashr_i32 s21, s20, 31
	v_mov_b32_e32 v30, 0
	s_lshl_b64 s[20:21], s[20:21], 1
	s_cmpk_lt_i32 s22, 0x700
	v_add_co_u32 v16, vcc_lo, v1, s20
	s_cselect_b32 s24, s42, 0x300
	v_add_co_ci_u32_e32 v17, vcc_lo, s21, v3, vcc_lo
	s_ashr_i32 s25, s24, 31
	s_delay_alu instid0(SALU_CYCLE_1)
	s_lshl_b64 s[24:25], s[24:25], 1
	s_cmpk_lt_i32 s22, 0x800
	v_add_co_u32 v18, vcc_lo, v1, s24
	s_cselect_b32 s26, s42, 0x380
	v_add_co_ci_u32_e32 v19, vcc_lo, s25, v3, vcc_lo
	s_ashr_i32 s27, s26, 31
	s_delay_alu instid0(SALU_CYCLE_1)
	s_lshl_b64 s[26:27], s[26:27], 1
	s_cmpk_lt_i32 s22, 0x900
	v_add_co_u32 v20, vcc_lo, v1, s26
	s_cselect_b32 s28, s42, 0x400
	v_add_co_ci_u32_e32 v21, vcc_lo, s27, v3, vcc_lo
	s_ashr_i32 s29, s28, 31
	s_clause 0x7
	global_load_u16 v13, v[4:5], off
	global_load_u16 v4, v[6:7], off
	;; [unrolled: 1-line block ×8, first 2 shown]
	s_lshl_b64 s[28:29], s[28:29], 1
	s_cmpk_lt_i32 s22, 0xa00
	v_add_co_u32 v11, vcc_lo, v1, s28
	s_cselect_b32 s30, s42, 0x480
	v_add_co_ci_u32_e32 v12, vcc_lo, s29, v3, vcc_lo
	s_ashr_i32 s31, s30, 31
	s_delay_alu instid0(SALU_CYCLE_1)
	s_lshl_b64 s[30:31], s[30:31], 1
	s_cmpk_lt_i32 s22, 0xb00
	v_add_co_u32 v14, vcc_lo, v1, s30
	s_cselect_b32 s34, s42, 0x500
	v_add_co_ci_u32_e32 v15, vcc_lo, s31, v3, vcc_lo
	s_ashr_i32 s35, s34, 31
	s_delay_alu instid0(SALU_CYCLE_1)
	;; [unrolled: 7-line block ×7, first 2 shown]
	s_lshl_b64 s[4:5], s[6:7], 1
	s_cmpk_gt_i32 s23, 0x1000
	v_add_co_u32 v28, vcc_lo, v1, s4
	v_add_co_ci_u32_e32 v29, vcc_lo, s5, v3, vcc_lo
	s_clause 0x7
	global_load_u16 v19, v[11:12], off
	global_load_u16 v18, v[14:15], off
	;; [unrolled: 1-line block ×8, first 2 shown]
	v_dual_mov_b32 v20, 0 :: v_dual_mov_b32 v21, 0
	v_dual_mov_b32 v22, 0 :: v_dual_mov_b32 v23, 0
	;; [unrolled: 1-line block ×5, first 2 shown]
	s_cselect_b32 s6, -1, 0
	s_cmpk_lt_i32 s23, 0x1001
	s_waitcnt vmcnt(0) lgkmcnt(0)
	s_barrier
	buffer_gl0_inv
	s_cbranch_scc1 .LBB606_11
; %bb.10:
	s_cmpk_lt_i32 s22, 0x1100
	s_cselect_b32 s4, s42, 0x800
	s_delay_alu instid0(SALU_CYCLE_1) | instskip(NEXT) | instid1(SALU_CYCLE_1)
	s_ashr_i32 s5, s4, 31
	s_lshl_b64 s[4:5], s[4:5], 1
	s_cmpk_lt_i32 s22, 0x1200
	v_add_co_u32 v20, vcc_lo, v1, s4
	s_cselect_b32 s8, s42, 0x880
	v_add_co_ci_u32_e32 v21, vcc_lo, s5, v3, vcc_lo
	s_ashr_i32 s9, s8, 31
	s_delay_alu instid0(SALU_CYCLE_1)
	s_lshl_b64 s[8:9], s[8:9], 1
	s_cmpk_lt_i32 s22, 0x1300
	v_add_co_u32 v22, vcc_lo, v1, s8
	s_cselect_b32 s10, s42, 0x900
	v_add_co_ci_u32_e32 v23, vcc_lo, s9, v3, vcc_lo
	s_ashr_i32 s11, s10, 31
	s_delay_alu instid0(SALU_CYCLE_1)
	;; [unrolled: 7-line block ×14, first 2 shown]
	s_lshl_b64 s[4:5], s[18:19], 1
	s_cmpk_lt_i32 s22, 0x2000
	v_add_co_u32 v48, vcc_lo, v1, s4
	s_cselect_b32 s8, s42, 0xf80
	v_add_co_ci_u32_e32 v49, vcc_lo, s5, v3, vcc_lo
	s_ashr_i32 s9, s8, 31
	s_delay_alu instid0(SALU_CYCLE_1) | instskip(NEXT) | instid1(SALU_CYCLE_1)
	s_lshl_b64 s[4:5], s[8:9], 1
	v_add_co_u32 v50, vcc_lo, v1, s4
	v_add_co_ci_u32_e32 v51, vcc_lo, s5, v3, vcc_lo
	s_clause 0xf
	global_load_u16 v20, v[20:21], off
	global_load_u16 v21, v[22:23], off
	;; [unrolled: 1-line block ×16, first 2 shown]
	s_waitcnt vmcnt(15)
	v_lshlrev_b32_e32 v35, 16, v20
	s_waitcnt vmcnt(14)
	v_lshlrev_b32_e32 v34, 16, v21
	;; [unrolled: 2-line block ×16, first 2 shown]
.LBB606_11:
	ds_load_b128 v[36:39], v2
	ds_load_b128 v[40:43], v2 offset:16
	v_lshlrev_b32_e32 v44, 16, v4
	v_lshlrev_b32_e32 v13, 16, v13
	;; [unrolled: 1-line block ×5, first 2 shown]
	s_load_b64 s[0:1], s[0:1], 0x0
	s_and_b32 vcc_lo, exec_lo, s6
	v_lshlrev_b32_e32 v5, 16, v5
	s_waitcnt lgkmcnt(0)
	v_fma_f32 v4, v36, v13, 0
	s_delay_alu instid0(VALU_DEP_1) | instskip(NEXT) | instid1(VALU_DEP_1)
	v_dual_fmac_f32 v4, v37, v44 :: v_dual_lshlrev_b32 v13, 16, v7
	v_dual_fmac_f32 v4, v38, v10 :: v_dual_lshlrev_b32 v9, 16, v9
	s_delay_alu instid0(VALU_DEP_1) | instskip(SKIP_4) | instid1(VALU_DEP_1)
	v_fmac_f32_e32 v4, v39, v9
	ds_load_b128 v[36:39], v2 offset:48
	v_fmac_f32_e32 v4, v40, v8
	ds_load_b128 v[7:10], v2 offset:32
	v_fmac_f32_e32 v4, v41, v13
	v_fmac_f32_e32 v4, v42, v6
	v_lshlrev_b32_e32 v6, 16, v19
	s_delay_alu instid0(VALU_DEP_2) | instskip(SKIP_1) | instid1(VALU_DEP_1)
	v_dual_fmac_f32 v4, v43, v5 :: v_dual_lshlrev_b32 v5, 16, v18
	s_waitcnt lgkmcnt(0)
	v_fmac_f32_e32 v4, v7, v6
	v_lshlrev_b32_e32 v6, 16, v17
	s_delay_alu instid0(VALU_DEP_2) | instskip(NEXT) | instid1(VALU_DEP_1)
	v_dual_fmac_f32 v4, v8, v5 :: v_dual_lshlrev_b32 v5, 16, v16
	v_fmac_f32_e32 v4, v9, v6
	v_lshlrev_b32_e32 v6, 16, v15
	s_delay_alu instid0(VALU_DEP_2) | instskip(NEXT) | instid1(VALU_DEP_1)
	v_dual_fmac_f32 v4, v10, v5 :: v_dual_lshlrev_b32 v5, 16, v14
	v_fmac_f32_e32 v4, v36, v6
	v_lshlrev_b32_e32 v6, 16, v12
	s_delay_alu instid0(VALU_DEP_2) | instskip(NEXT) | instid1(VALU_DEP_1)
	v_dual_fmac_f32 v4, v37, v5 :: v_dual_lshlrev_b32 v5, 16, v11
	v_fmac_f32_e32 v4, v38, v6
	s_delay_alu instid0(VALU_DEP_1)
	v_fmac_f32_e32 v4, v39, v5
	s_cbranch_vccz .LBB606_13
; %bb.12:
	ds_load_b128 v[5:8], v2 offset:64
	ds_load_b128 v[9:12], v2 offset:80
	s_waitcnt lgkmcnt(1)
	v_fmac_f32_e32 v4, v5, v35
	s_delay_alu instid0(VALU_DEP_1) | instskip(NEXT) | instid1(VALU_DEP_1)
	v_fmac_f32_e32 v4, v6, v34
	v_fmac_f32_e32 v4, v7, v33
	s_delay_alu instid0(VALU_DEP_1) | instskip(SKIP_3) | instid1(VALU_DEP_1)
	v_fmac_f32_e32 v4, v8, v32
	ds_load_b128 v[5:8], v2 offset:96
	s_waitcnt lgkmcnt(1)
	v_fmac_f32_e32 v4, v9, v31
	v_fmac_f32_e32 v4, v10, v30
	s_delay_alu instid0(VALU_DEP_1) | instskip(NEXT) | instid1(VALU_DEP_1)
	v_fmac_f32_e32 v4, v11, v29
	v_fmac_f32_e32 v4, v12, v28
	ds_load_b128 v[9:12], v2 offset:112
	s_waitcnt lgkmcnt(1)
	v_fmac_f32_e32 v4, v5, v27
	s_delay_alu instid0(VALU_DEP_1) | instskip(NEXT) | instid1(VALU_DEP_1)
	v_fmac_f32_e32 v4, v6, v26
	v_fmac_f32_e32 v4, v7, v25
	s_delay_alu instid0(VALU_DEP_1) | instskip(SKIP_1) | instid1(VALU_DEP_1)
	v_fmac_f32_e32 v4, v8, v24
	s_waitcnt lgkmcnt(0)
	v_fmac_f32_e32 v4, v9, v23
	s_delay_alu instid0(VALU_DEP_1) | instskip(NEXT) | instid1(VALU_DEP_1)
	v_fmac_f32_e32 v4, v10, v22
	v_fmac_f32_e32 v4, v11, v21
	s_delay_alu instid0(VALU_DEP_1)
	v_fmac_f32_e32 v4, v12, v20
.LBB606_13:
	s_movk_i32 s43, 0x1f80
	s_movk_i32 s44, 0x80
	s_mov_b32 s45, 32
	s_branch .LBB606_15
.LBB606_14:                             ;   in Loop: Header=BB606_15 Depth=1
	s_addk_i32 s43, 0x1000
	s_addk_i32 s44, 0x80
	s_add_i32 s45, s45, 32
	s_cmpk_eq_u32 s43, 0x9f80
	s_cbranch_scc1 .LBB606_17
.LBB606_15:                             ; =>This Inner Loop Header: Depth=1
	s_cmp_le_i32 s40, s45
	s_cbranch_scc1 .LBB606_14
; %bb.16:                               ;   in Loop: Header=BB606_15 Depth=1
	s_add_i32 s4, s43, 0xfffff080
	v_mov_b32_e32 v44, s44
	s_cmp_lt_i32 s4, s41
	s_cselect_b32 s4, s4, s42
	s_add_i32 s6, s43, 0xfffff100
	s_ashr_i32 s5, s4, 31
	s_delay_alu instid0(SALU_CYCLE_1)
	s_lshl_b64 s[38:39], s[4:5], 1
	s_cmp_lt_i32 s6, s41
	v_add_co_u32 v5, vcc_lo, v1, s38
	s_cselect_b32 s4, s6, s42
	s_add_i32 s6, s43, 0xfffff180
	s_ashr_i32 s5, s4, 31
	v_add_co_ci_u32_e32 v6, vcc_lo, s39, v3, vcc_lo
	s_lshl_b64 s[4:5], s[4:5], 1
	s_cmp_lt_i32 s6, s41
	s_cselect_b32 s6, s6, s42
	s_add_i32 s8, s43, 0xfffff200
	s_ashr_i32 s7, s6, 31
	global_load_u16 v2, v[5:6], off
	s_lshl_b64 s[6:7], s[6:7], 1
	s_cmp_lt_i32 s8, s41
	v_add_co_u32 v5, vcc_lo, v1, s4
	s_cselect_b32 s8, s8, s42
	s_add_i32 s10, s43, 0xfffff280
	s_ashr_i32 s9, s8, 31
	v_add_co_ci_u32_e32 v6, vcc_lo, s5, v3, vcc_lo
	s_lshl_b64 s[8:9], s[8:9], 1
	s_cmp_lt_i32 s10, s41
	v_add_co_u32 v7, vcc_lo, v1, s6
	s_cselect_b32 s10, s10, s42
	s_add_i32 s18, s43, 0xfffff300
	s_ashr_i32 s11, s10, 31
	v_add_co_ci_u32_e32 v8, vcc_lo, s7, v3, vcc_lo
	s_lshl_b64 s[10:11], s[10:11], 1
	s_cmp_lt_i32 s18, s41
	v_add_co_u32 v9, vcc_lo, v1, s8
	s_cselect_b32 s18, s18, s42
	s_add_i32 s20, s43, 0xfffff380
	s_ashr_i32 s19, s18, 31
	s_clause 0x1
	global_load_u16 v23, v[5:6], off
	global_load_u16 v24, v[7:8], off
	s_lshl_b64 s[18:19], s[18:19], 1
	s_cmp_lt_i32 s20, s41
	v_add_co_ci_u32_e32 v10, vcc_lo, s9, v3, vcc_lo
	s_cselect_b32 s20, s20, s42
	s_add_i32 s22, s43, 0xfffff400
	s_ashr_i32 s21, s20, 31
	global_load_u16 v25, v[9:10], off
	s_lshl_b64 s[20:21], s[20:21], 1
	s_cmp_lt_i32 s22, s41
	v_add_co_u32 v11, vcc_lo, v1, s10
	s_cselect_b32 s22, s22, s42
	s_add_i32 s24, s43, 0xfffff480
	s_ashr_i32 s23, s22, 31
	v_add_co_ci_u32_e32 v12, vcc_lo, s11, v3, vcc_lo
	s_lshl_b64 s[22:23], s[22:23], 1
	s_cmp_lt_i32 s24, s41
	v_add_co_u32 v13, vcc_lo, v1, s18
	global_load_u16 v26, v[11:12], off
	s_cselect_b32 s24, s24, s42
	s_add_i32 s26, s43, 0xfffff500
	s_ashr_i32 s25, s24, 31
	v_add_co_ci_u32_e32 v14, vcc_lo, s19, v3, vcc_lo
	s_lshl_b64 s[24:25], s[24:25], 1
	s_cmp_lt_i32 s26, s41
	v_add_co_u32 v15, vcc_lo, v1, s20
	global_load_u16 v27, v[13:14], off
	s_cselect_b32 s26, s26, s42
	s_add_i32 s28, s43, 0xfffff580
	s_ashr_i32 s27, s26, 31
	v_add_co_ci_u32_e32 v16, vcc_lo, s21, v3, vcc_lo
	s_lshl_b64 s[36:37], s[26:27], 1
	s_cmp_lt_i32 s28, s41
	v_add_co_u32 v17, vcc_lo, v1, s22
	s_cselect_b32 s26, s28, s42
	s_add_i32 s30, s43, 0xfffff600
	s_ashr_i32 s27, s26, 31
	v_add_co_ci_u32_e32 v18, vcc_lo, s23, v3, vcc_lo
	s_lshl_b64 s[28:29], s[26:27], 1
	s_cmp_lt_i32 s30, s41
	v_add_co_u32 v19, vcc_lo, v1, s24
	global_load_u16 v17, v[17:18], off
	s_cselect_b32 s26, s30, s42
	s_add_i32 s30, s43, 0xfffff680
	s_ashr_i32 s27, s26, 31
	v_add_co_ci_u32_e32 v20, vcc_lo, s25, v3, vcc_lo
	s_lshl_b64 s[26:27], s[26:27], 1
	s_cmp_lt_i32 s30, s41
	v_add_co_u32 v21, vcc_lo, v1, s36
	s_cselect_b32 s30, s30, s42
	s_add_i32 s46, s43, 0xfffff700
	s_ashr_i32 s31, s30, 31
	v_add_co_ci_u32_e32 v22, vcc_lo, s37, v3, vcc_lo
	s_lshl_b64 s[34:35], s[30:31], 1
	s_cmp_lt_i32 s46, s41
	v_add_co_u32 v5, vcc_lo, v1, s28
	;; [unrolled: 7-line block ×3, first 2 shown]
	s_cselect_b32 s46, s46, s42
	s_add_i32 s48, s43, 0xfffff800
	s_ashr_i32 s47, s46, 31
	global_load_u16 v28, v[15:16], off
	s_lshl_b64 s[38:39], s[46:47], 1
	s_cmp_lt_i32 s48, s41
	v_add_co_ci_u32_e32 v8, vcc_lo, s27, v3, vcc_lo
	s_cselect_b32 s46, s48, s42
	v_add_co_u32 v9, vcc_lo, v1, s34
	s_ashr_i32 s47, s46, 31
	s_add_i32 s4, s43, 0xfffff880
	s_lshl_b64 s[46:47], s[46:47], 1
	v_add_co_ci_u32_e32 v10, vcc_lo, s35, v3, vcc_lo
	s_cmp_lt_i32 s4, s41
	v_add_co_u32 v11, vcc_lo, v1, s30
	s_cselect_b32 s4, s4, s42
	v_add_co_ci_u32_e32 v12, vcc_lo, s31, v3, vcc_lo
	v_add_co_u32 v13, vcc_lo, v1, s38
	s_ashr_i32 s5, s4, 31
	s_add_i32 s6, s43, 0xfffff900
	v_add_co_ci_u32_e32 v14, vcc_lo, s39, v3, vcc_lo
	global_load_u16 v18, v[19:20], off
	s_lshl_b64 s[8:9], s[4:5], 1
	s_cmp_lt_i32 s6, s41
	global_load_u16 v30, v[13:14], off
	s_cselect_b32 s4, s6, s42
	global_load_u16 v19, v[21:22], off
	s_ashr_i32 s5, s4, 31
	s_add_i32 s6, s43, 0xfffff980
	s_lshl_b64 s[10:11], s[4:5], 1
	s_cmp_lt_i32 s6, s41
	s_clause 0x3
	global_load_u16 v20, v[5:6], off
	global_load_u16 v21, v[7:8], off
	;; [unrolled: 1-line block ×4, first 2 shown]
	s_cselect_b32 s4, s6, s42
	s_add_i32 s6, s43, 0xfffffa00
	s_ashr_i32 s5, s4, 31
	v_add_co_u32 v15, vcc_lo, v1, s46
	s_lshl_b64 s[4:5], s[4:5], 1
	s_cmp_lt_i32 s6, s41
	v_add_co_ci_u32_e32 v16, vcc_lo, s47, v3, vcc_lo
	s_cselect_b32 s6, s6, s42
	s_add_i32 s18, s43, 0xfffffa80
	s_ashr_i32 s7, s6, 31
	v_add_co_u32 v5, vcc_lo, v1, s8
	s_lshl_b64 s[6:7], s[6:7], 1
	s_cmp_lt_i32 s18, s41
	v_add_co_ci_u32_e32 v6, vcc_lo, s9, v3, vcc_lo
	s_cselect_b32 s18, s18, s42
	v_add_co_u32 v7, vcc_lo, v1, s10
	s_ashr_i32 s19, s18, 31
	s_add_i32 s20, s43, 0xfffffb00
	s_lshl_b64 s[18:19], s[18:19], 1
	v_add_co_ci_u32_e32 v8, vcc_lo, s11, v3, vcc_lo
	s_cmp_lt_i32 s20, s41
	v_add_co_u32 v9, vcc_lo, v1, s4
	s_cselect_b32 s20, s20, s42
	v_add_co_ci_u32_e32 v10, vcc_lo, s5, v3, vcc_lo
	v_add_co_u32 v11, vcc_lo, v1, s6
	s_ashr_i32 s21, s20, 31
	s_add_i32 s22, s43, 0xfffffb80
	v_add_co_ci_u32_e32 v12, vcc_lo, s7, v3, vcc_lo
	global_load_u16 v15, v[15:16], off
	s_lshl_b64 s[20:21], s[20:21], 1
	s_cmp_lt_i32 s22, s41
	global_load_u16 v33, v[11:12], off
	s_cselect_b32 s22, s22, s42
	s_clause 0x2
	global_load_u16 v16, v[5:6], off
	global_load_u16 v31, v[7:8], off
	;; [unrolled: 1-line block ×3, first 2 shown]
	s_ashr_i32 s23, s22, 31
	s_add_i32 s24, s43, 0xfffffc00
	s_lshl_b64 s[22:23], s[22:23], 1
	s_cmp_lt_i32 s24, s41
	v_add_co_u32 v13, vcc_lo, v1, s18
	s_cselect_b32 s24, s24, s42
	s_add_i32 s26, s43, 0xfffffc80
	s_ashr_i32 s25, s24, 31
	v_add_co_ci_u32_e32 v14, vcc_lo, s19, v3, vcc_lo
	s_lshl_b64 s[24:25], s[24:25], 1
	s_cmp_lt_i32 s26, s41
	v_add_co_u32 v5, vcc_lo, v1, s20
	s_cselect_b32 s8, s26, s42
	v_add_co_ci_u32_e32 v6, vcc_lo, s21, v3, vcc_lo
	s_ashr_i32 s9, s8, 31
	v_add_co_u32 v7, vcc_lo, v1, s22
	s_add_i32 s10, s43, 0xfffffd00
	s_lshl_b64 s[8:9], s[8:9], 1
	v_add_co_ci_u32_e32 v8, vcc_lo, s23, v3, vcc_lo
	s_cmp_lt_i32 s10, s41
	v_add_co_u32 v9, vcc_lo, v1, s24
	s_cselect_b32 s4, s10, s42
	global_load_u16 v13, v[13:14], off
	v_add_co_ci_u32_e32 v10, vcc_lo, s25, v3, vcc_lo
	s_ashr_i32 s5, s4, 31
	s_add_i32 s6, s43, 0xfffffd80
	s_lshl_b64 s[4:5], s[4:5], 1
	global_load_u16 v35, v[9:10], off
	s_cmp_lt_i32 s6, s41
	s_clause 0x1
	global_load_u16 v14, v[5:6], off
	global_load_u16 v34, v[7:8], off
	s_cselect_b32 s6, s6, s42
	s_add_i32 s10, s43, 0xfffffe00
	s_ashr_i32 s7, s6, 31
	v_add_co_u32 v5, vcc_lo, v1, s8
	s_lshl_b64 s[6:7], s[6:7], 1
	s_cmp_lt_i32 s10, s41
	v_add_co_ci_u32_e32 v6, vcc_lo, s9, v3, vcc_lo
	s_cselect_b32 s10, s10, s42
	v_add_co_u32 v7, vcc_lo, v1, s4
	s_ashr_i32 s11, s10, 31
	v_add_co_ci_u32_e32 v8, vcc_lo, s5, v3, vcc_lo
	s_add_i32 s18, s43, 0xfffffe80
	s_lshl_b64 s[10:11], s[10:11], 1
	s_cmp_lt_i32 s18, s41
	s_clause 0x1
	global_load_u16 v36, v[5:6], off
	global_load_u16 v37, v[7:8], off
	s_cselect_b32 s18, s18, s42
	v_add_co_u32 v5, vcc_lo, v1, s6
	s_ashr_i32 s19, s18, 31
	v_add_co_ci_u32_e32 v6, vcc_lo, s7, v3, vcc_lo
	s_add_i32 s20, s43, 0xffffff00
	v_add_co_u32 v7, vcc_lo, v1, s10
	s_lshl_b64 s[8:9], s[18:19], 1
	s_cmp_lt_i32 s20, s41
	v_add_co_ci_u32_e32 v8, vcc_lo, s11, v3, vcc_lo
	s_cselect_b32 s4, s20, s42
	global_load_u16 v38, v[5:6], off
	s_ashr_i32 s5, s4, 31
	global_load_u16 v39, v[7:8], off
	s_add_i32 s18, s43, 0xffffff80
	v_add_co_u32 v5, vcc_lo, v1, s8
	s_lshl_b64 s[4:5], s[4:5], 1
	s_cmp_lt_i32 s18, s41
	v_add_co_ci_u32_e32 v6, vcc_lo, s9, v3, vcc_lo
	v_add_co_u32 v7, vcc_lo, v1, s4
	s_cselect_b32 s6, s18, s42
	v_add_co_ci_u32_e32 v8, vcc_lo, s5, v3, vcc_lo
	s_ashr_i32 s7, s6, 31
	global_load_u16 v40, v[5:6], off
	s_lshl_b64 s[6:7], s[6:7], 1
	global_load_u16 v41, v[7:8], off
	s_cmp_lt_i32 s43, s41
	v_add_co_u32 v5, vcc_lo, v1, s6
	s_cselect_b32 s4, s43, s42
	v_add_co_ci_u32_e32 v6, vcc_lo, s7, v3, vcc_lo
	s_ashr_i32 s5, s4, 31
	s_delay_alu instid0(SALU_CYCLE_1)
	s_lshl_b64 s[4:5], s[4:5], 1
	global_load_u16 v42, v[5:6], off
	v_add_co_u32 v5, vcc_lo, v1, s4
	v_add_co_ci_u32_e32 v6, vcc_lo, s5, v3, vcc_lo
	global_load_u16 v43, v[5:6], off
	ds_load_b128 v[5:8], v44
	ds_load_b128 v[9:12], v44 offset:16
	s_waitcnt vmcnt(31)
	v_lshlrev_b32_e32 v2, 16, v2
	s_waitcnt lgkmcnt(1)
	s_delay_alu instid0(VALU_DEP_1) | instskip(SKIP_2) | instid1(VALU_DEP_1)
	v_fmac_f32_e32 v4, v5, v2
	s_waitcnt vmcnt(30)
	v_lshlrev_b32_e32 v2, 16, v23
	v_fmac_f32_e32 v4, v6, v2
	s_waitcnt vmcnt(29)
	v_lshlrev_b32_e32 v2, 16, v24
	s_delay_alu instid0(VALU_DEP_1) | instskip(SKIP_2) | instid1(VALU_DEP_1)
	v_fmac_f32_e32 v4, v7, v2
	s_waitcnt vmcnt(28)
	v_lshlrev_b32_e32 v2, 16, v25
	v_fmac_f32_e32 v4, v8, v2
	ds_load_b128 v[5:8], v44 offset:32
	s_waitcnt vmcnt(27)
	v_lshlrev_b32_e32 v2, 16, v26
	s_waitcnt lgkmcnt(1)
	s_delay_alu instid0(VALU_DEP_1) | instskip(SKIP_2) | instid1(VALU_DEP_1)
	v_fmac_f32_e32 v4, v9, v2
	s_waitcnt vmcnt(26)
	v_lshlrev_b32_e32 v2, 16, v27
	v_fmac_f32_e32 v4, v10, v2
	s_waitcnt vmcnt(24)
	v_lshlrev_b32_e32 v2, 16, v28
	s_delay_alu instid0(VALU_DEP_1) | instskip(SKIP_1) | instid1(VALU_DEP_1)
	v_fmac_f32_e32 v4, v11, v2
	v_lshlrev_b32_e32 v2, 16, v17
	v_fmac_f32_e32 v4, v12, v2
	ds_load_b128 v[9:12], v44 offset:48
	s_waitcnt vmcnt(23)
	v_lshlrev_b32_e32 v2, 16, v18
	s_waitcnt lgkmcnt(1)
	s_delay_alu instid0(VALU_DEP_1) | instskip(SKIP_2) | instid1(VALU_DEP_1)
	v_fmac_f32_e32 v4, v5, v2
	s_waitcnt vmcnt(21)
	v_lshlrev_b32_e32 v2, 16, v19
	v_fmac_f32_e32 v4, v6, v2
	s_waitcnt vmcnt(20)
	v_lshlrev_b32_e32 v2, 16, v20
	s_delay_alu instid0(VALU_DEP_1) | instskip(SKIP_2) | instid1(VALU_DEP_1)
	v_fmac_f32_e32 v4, v7, v2
	s_waitcnt vmcnt(19)
	v_lshlrev_b32_e32 v2, 16, v21
	v_fmac_f32_e32 v4, v8, v2
	s_waitcnt vmcnt(18)
	v_lshlrev_b32_e32 v2, 16, v22
	ds_load_b128 v[5:8], v44 offset:64
	s_waitcnt lgkmcnt(1)
	v_fmac_f32_e32 v4, v9, v2
	s_waitcnt vmcnt(17)
	v_lshlrev_b32_e32 v2, 16, v29
	s_delay_alu instid0(VALU_DEP_1) | instskip(SKIP_1) | instid1(VALU_DEP_1)
	v_fmac_f32_e32 v4, v10, v2
	v_lshlrev_b32_e32 v2, 16, v30
	v_fmac_f32_e32 v4, v11, v2
	s_waitcnt vmcnt(16)
	v_lshlrev_b32_e32 v2, 16, v15
	s_delay_alu instid0(VALU_DEP_1) | instskip(SKIP_4) | instid1(VALU_DEP_1)
	v_fmac_f32_e32 v4, v12, v2
	ds_load_b128 v[9:12], v44 offset:80
	s_waitcnt vmcnt(14)
	v_lshlrev_b32_e32 v2, 16, v16
	s_waitcnt lgkmcnt(1)
	v_fmac_f32_e32 v4, v5, v2
	s_waitcnt vmcnt(13)
	v_lshlrev_b32_e32 v2, 16, v31
	s_delay_alu instid0(VALU_DEP_1) | instskip(SKIP_2) | instid1(VALU_DEP_1)
	v_fmac_f32_e32 v4, v6, v2
	s_waitcnt vmcnt(12)
	v_lshlrev_b32_e32 v2, 16, v32
	v_fmac_f32_e32 v4, v7, v2
	v_lshlrev_b32_e32 v2, 16, v33
	s_delay_alu instid0(VALU_DEP_1) | instskip(SKIP_4) | instid1(VALU_DEP_1)
	v_fmac_f32_e32 v4, v8, v2
	ds_load_b128 v[5:8], v44 offset:96
	s_waitcnt vmcnt(11)
	v_lshlrev_b32_e32 v2, 16, v13
	s_waitcnt lgkmcnt(1)
	v_fmac_f32_e32 v4, v9, v2
	s_waitcnt vmcnt(9)
	v_lshlrev_b32_e32 v2, 16, v14
	s_delay_alu instid0(VALU_DEP_1) | instskip(SKIP_2) | instid1(VALU_DEP_1)
	v_fmac_f32_e32 v4, v10, v2
	s_waitcnt vmcnt(8)
	v_lshlrev_b32_e32 v2, 16, v34
	v_fmac_f32_e32 v4, v11, v2
	;; [unrolled: 15-line block ×3, first 2 shown]
	s_waitcnt vmcnt(4)
	v_lshlrev_b32_e32 v2, 16, v39
	s_delay_alu instid0(VALU_DEP_1) | instskip(SKIP_3) | instid1(VALU_DEP_1)
	v_fmac_f32_e32 v4, v8, v2
	s_waitcnt vmcnt(3)
	v_lshlrev_b32_e32 v2, 16, v40
	s_waitcnt lgkmcnt(0)
	v_fmac_f32_e32 v4, v9, v2
	s_waitcnt vmcnt(2)
	v_lshlrev_b32_e32 v2, 16, v41
	s_delay_alu instid0(VALU_DEP_1) | instskip(SKIP_2) | instid1(VALU_DEP_1)
	v_fmac_f32_e32 v4, v10, v2
	s_waitcnt vmcnt(1)
	v_lshlrev_b32_e32 v2, 16, v42
	v_fmac_f32_e32 v4, v11, v2
	s_waitcnt vmcnt(0)
	v_lshlrev_b32_e32 v2, 16, v43
	s_delay_alu instid0(VALU_DEP_1)
	v_fmac_f32_e32 v4, v12, v2
	s_branch .LBB606_14
.LBB606_17:
	v_mov_b32_e32 v1, 0
	s_and_b32 vcc_lo, exec_lo, s15
	ds_load_b32 v1, v1 offset:1152
	s_cbranch_vccz .LBB606_19
; %bb.18:
	s_add_u32 s2, s12, s16
	s_addc_u32 s3, s13, s17
	s_load_b32 s2, s[2:3], 0x0
	s_mov_b32 s3, 0
.LBB606_19:
	s_waitcnt lgkmcnt(0)
	v_add_f32_e32 v1, 0x358637bd, v1
	s_delay_alu instid0(VALU_DEP_1) | instskip(NEXT) | instid1(VALU_DEP_1)
	v_div_scale_f32 v2, null, v1, v1, 1.0
	v_rcp_f32_e32 v3, v2
	s_waitcnt_depctr 0xfff
	v_fma_f32 v5, -v2, v3, 1.0
	s_delay_alu instid0(VALU_DEP_1) | instskip(SKIP_1) | instid1(VALU_DEP_1)
	v_fmac_f32_e32 v3, v5, v3
	v_div_scale_f32 v5, vcc_lo, 1.0, v1, 1.0
	v_mul_f32_e32 v6, v5, v3
	s_delay_alu instid0(VALU_DEP_1) | instskip(NEXT) | instid1(VALU_DEP_1)
	v_fma_f32 v7, -v2, v6, v5
	v_fmac_f32_e32 v6, v7, v3
	s_delay_alu instid0(VALU_DEP_1) | instskip(NEXT) | instid1(VALU_DEP_1)
	v_fma_f32 v2, -v2, v6, v5
	v_div_fmas_f32 v2, v2, v3, v6
	s_delay_alu instid0(VALU_DEP_1) | instskip(NEXT) | instid1(VALU_DEP_1)
	v_div_fixup_f32 v1, v2, v1, 1.0
	v_mul_f32_e32 v2, v4, v1
	s_delay_alu instid0(VALU_DEP_1) | instskip(NEXT) | instid1(VALU_DEP_1)
	v_and_b32_e32 v1, 0x7f800000, v2
	v_cmp_ne_u32_e32 vcc_lo, 0x7f800000, v1
                                        ; implicit-def: $vgpr1
	s_and_saveexec_b32 s4, vcc_lo
	s_delay_alu instid0(SALU_CYCLE_1)
	s_xor_b32 s4, exec_lo, s4
; %bb.20:
	v_bfe_u32 v1, v2, 16, 1
	s_delay_alu instid0(VALU_DEP_1)
	v_add3_u32 v1, v2, v1, 0x7fff
                                        ; implicit-def: $vgpr2
; %bb.21:
	s_and_not1_saveexec_b32 s4, s4
; %bb.22:
	v_and_b32_e32 v1, 0xffff, v2
	v_or_b32_e32 v3, 0x10000, v2
	s_delay_alu instid0(VALU_DEP_2) | instskip(NEXT) | instid1(VALU_DEP_2)
	v_cmp_eq_u32_e32 vcc_lo, 0, v1
	v_cndmask_b32_e32 v1, v3, v2, vcc_lo
; %bb.23:
	s_or_b32 exec_lo, exec_lo, s4
	s_mul_i32 s3, s33, s3
	s_mul_hi_u32 s4, s33, s2
	s_mul_i32 s2, s33, s2
	s_add_i32 s3, s4, s3
	s_mov_b32 s15, 0
	s_lshl_b64 s[2:3], s[2:3], 7
	v_and_b32_e32 v1, 0xffff0000, v1
	s_add_u32 s2, s0, s2
	s_addc_u32 s3, s1, s3
	s_lshl_b64 s[0:1], s[14:15], 7
	s_delay_alu instid0(SALU_CYCLE_1)
	s_add_u32 s0, s2, s0
	s_addc_u32 s1, s3, s1
	v_add_co_u32 v0, s0, s0, v0
	v_cvt_i32_f32_e32 v2, v1
	v_add_co_ci_u32_e64 v1, null, s1, 0, s0
	global_store_b8 v[0:1], v2, off
	s_nop 0
	s_sendmsg sendmsg(MSG_DEALLOC_VGPRS)
	s_endpgm
.LBB606_24:
	s_mov_b32 s4, 0
	s_branch .LBB606_2
	.section	.rodata,"a",@progbits
	.p2align	6, 0x0
	.amdhsa_kernel _Z35paged_attention_ll4mi_reduce_kernelI14__hip_bfloat16hLi128ELi128ELi256ELi9EEvPT0_PKfS4_PKT_PKiS9_iS4_
		.amdhsa_group_segment_fixed_size 1156
		.amdhsa_private_segment_fixed_size 0
		.amdhsa_kernarg_size 320
		.amdhsa_user_sgpr_count 14
		.amdhsa_user_sgpr_dispatch_ptr 0
		.amdhsa_user_sgpr_queue_ptr 0
		.amdhsa_user_sgpr_kernarg_segment_ptr 1
		.amdhsa_user_sgpr_dispatch_id 0
		.amdhsa_user_sgpr_private_segment_size 0
		.amdhsa_wavefront_size32 1
		.amdhsa_uses_dynamic_stack 0
		.amdhsa_enable_private_segment 0
		.amdhsa_system_sgpr_workgroup_id_x 1
		.amdhsa_system_sgpr_workgroup_id_y 1
		.amdhsa_system_sgpr_workgroup_id_z 0
		.amdhsa_system_sgpr_workgroup_info 0
		.amdhsa_system_vgpr_workitem_id 0
		.amdhsa_next_free_vgpr 52
		.amdhsa_next_free_sgpr 49
		.amdhsa_reserve_vcc 1
		.amdhsa_float_round_mode_32 0
		.amdhsa_float_round_mode_16_64 0
		.amdhsa_float_denorm_mode_32 3
		.amdhsa_float_denorm_mode_16_64 3
		.amdhsa_dx10_clamp 1
		.amdhsa_ieee_mode 1
		.amdhsa_fp16_overflow 0
		.amdhsa_workgroup_processor_mode 1
		.amdhsa_memory_ordered 1
		.amdhsa_forward_progress 0
		.amdhsa_shared_vgpr_count 0
		.amdhsa_exception_fp_ieee_invalid_op 0
		.amdhsa_exception_fp_denorm_src 0
		.amdhsa_exception_fp_ieee_div_zero 0
		.amdhsa_exception_fp_ieee_overflow 0
		.amdhsa_exception_fp_ieee_underflow 0
		.amdhsa_exception_fp_ieee_inexact 0
		.amdhsa_exception_int_div_zero 0
	.end_amdhsa_kernel
	.section	.text._Z35paged_attention_ll4mi_reduce_kernelI14__hip_bfloat16hLi128ELi128ELi256ELi9EEvPT0_PKfS4_PKT_PKiS9_iS4_,"axG",@progbits,_Z35paged_attention_ll4mi_reduce_kernelI14__hip_bfloat16hLi128ELi128ELi256ELi9EEvPT0_PKfS4_PKT_PKiS9_iS4_,comdat
.Lfunc_end606:
	.size	_Z35paged_attention_ll4mi_reduce_kernelI14__hip_bfloat16hLi128ELi128ELi256ELi9EEvPT0_PKfS4_PKT_PKiS9_iS4_, .Lfunc_end606-_Z35paged_attention_ll4mi_reduce_kernelI14__hip_bfloat16hLi128ELi128ELi256ELi9EEvPT0_PKfS4_PKT_PKiS9_iS4_
                                        ; -- End function
	.section	.AMDGPU.csdata,"",@progbits
; Kernel info:
; codeLenInByte = 6864
; NumSgprs: 51
; NumVgprs: 52
; ScratchSize: 0
; MemoryBound: 0
; FloatMode: 240
; IeeeMode: 1
; LDSByteSize: 1156 bytes/workgroup (compile time only)
; SGPRBlocks: 6
; VGPRBlocks: 6
; NumSGPRsForWavesPerEU: 51
; NumVGPRsForWavesPerEU: 52
; Occupancy: 16
; WaveLimiterHint : 0
; COMPUTE_PGM_RSRC2:SCRATCH_EN: 0
; COMPUTE_PGM_RSRC2:USER_SGPR: 14
; COMPUTE_PGM_RSRC2:TRAP_HANDLER: 0
; COMPUTE_PGM_RSRC2:TGID_X_EN: 1
; COMPUTE_PGM_RSRC2:TGID_Y_EN: 1
; COMPUTE_PGM_RSRC2:TGID_Z_EN: 0
; COMPUTE_PGM_RSRC2:TIDIG_COMP_CNT: 0
	.section	.text._Z35paged_attention_ll4mi_reduce_kernelI14__hip_bfloat16hLi128ELi128ELi256ELi10EEvPT0_PKfS4_PKT_PKiS9_iS4_,"axG",@progbits,_Z35paged_attention_ll4mi_reduce_kernelI14__hip_bfloat16hLi128ELi128ELi256ELi10EEvPT0_PKfS4_PKT_PKiS9_iS4_,comdat
	.protected	_Z35paged_attention_ll4mi_reduce_kernelI14__hip_bfloat16hLi128ELi128ELi256ELi10EEvPT0_PKfS4_PKT_PKiS9_iS4_ ; -- Begin function _Z35paged_attention_ll4mi_reduce_kernelI14__hip_bfloat16hLi128ELi128ELi256ELi10EEvPT0_PKfS4_PKT_PKiS9_iS4_
	.globl	_Z35paged_attention_ll4mi_reduce_kernelI14__hip_bfloat16hLi128ELi128ELi256ELi10EEvPT0_PKfS4_PKT_PKiS9_iS4_
	.p2align	8
	.type	_Z35paged_attention_ll4mi_reduce_kernelI14__hip_bfloat16hLi128ELi128ELi256ELi10EEvPT0_PKfS4_PKT_PKiS9_iS4_,@function
_Z35paged_attention_ll4mi_reduce_kernelI14__hip_bfloat16hLi128ELi128ELi256ELi10EEvPT0_PKfS4_PKT_PKiS9_iS4_: ; @_Z35paged_attention_ll4mi_reduce_kernelI14__hip_bfloat16hLi128ELi128ELi256ELi10EEvPT0_PKfS4_PKT_PKiS9_iS4_
; %bb.0:
	s_load_b64 s[12:13], s[0:1], 0x28
	s_mov_b32 s2, s15
	s_waitcnt lgkmcnt(0)
	s_cmp_lg_u64 s[12:13], 0
	s_cselect_b32 s15, -1, 0
	s_delay_alu instid0(SALU_CYCLE_1)
	s_and_b32 vcc_lo, exec_lo, s15
	s_cbranch_vccz .LBB607_24
; %bb.1:
	s_add_i32 s4, s2, 1
	s_mov_b32 s5, 0
	s_delay_alu instid0(SALU_CYCLE_1) | instskip(SKIP_4) | instid1(SALU_CYCLE_1)
	s_lshl_b64 s[6:7], s[4:5], 2
	s_mov_b32 s3, s5
	s_add_u32 s6, s12, s6
	s_addc_u32 s7, s13, s7
	s_lshl_b64 s[8:9], s[2:3], 2
	s_add_u32 s8, s12, s8
	s_addc_u32 s9, s13, s9
	s_clause 0x1
	s_load_b32 s4, s[6:7], 0x0
	s_load_b32 s6, s[8:9], 0x0
	s_waitcnt lgkmcnt(0)
	s_sub_i32 s4, s4, s6
	s_delay_alu instid0(SALU_CYCLE_1)
	s_cmp_eq_u32 s4, 1
	s_cselect_b32 s4, -1, 0
	s_cbranch_execnz .LBB607_3
.LBB607_2:
	s_mov_b32 s3, 0
	s_mov_b32 s4, -1
.LBB607_3:
	s_delay_alu instid0(SALU_CYCLE_1)
	s_and_not1_b32 vcc_lo, exec_lo, s4
	s_cbranch_vccz .LBB607_5
; %bb.4:
	s_endpgm
.LBB607_5:
	s_clause 0x1
	s_load_b128 s[4:7], s[0:1], 0x18
	s_load_b32 s9, s[0:1], 0x30
	s_lshl_b64 s[16:17], s[2:3], 2
	s_waitcnt lgkmcnt(0)
	s_add_u32 s6, s6, s16
	s_addc_u32 s7, s7, s17
	s_load_b32 s23, s[6:7], 0x0
	s_load_b32 s33, s[0:1], 0x40
	s_mul_i32 s7, s2, s9
	s_waitcnt lgkmcnt(0)
	s_add_i32 s22, s23, 0xff
	s_delay_alu instid0(SALU_CYCLE_1) | instskip(NEXT) | instid1(SALU_CYCLE_1)
	s_ashr_i32 s6, s22, 31
	s_lshr_b32 s6, s6, 24
	s_delay_alu instid0(SALU_CYCLE_1) | instskip(SKIP_4) | instid1(SALU_CYCLE_1)
	s_add_i32 s8, s22, s6
	s_mul_i32 s6, s14, s9
	s_mov_b32 s9, exec_lo
	v_cmpx_lt_u32_e32 31, v0
	s_xor_b32 s9, exec_lo, s9
	s_or_saveexec_b32 s24, s9
	v_mov_b32_e32 v1, s6
	s_ashr_i32 s40, s8, 8
	s_mul_i32 s18, s7, s33
	s_xor_b32 exec_lo, exec_lo, s24
	s_cbranch_execz .LBB607_9
; %bb.6:
	v_or_b32_e32 v2, 32, v0
	v_cmp_gt_i32_e32 vcc_lo, s40, v0
	s_add_i32 s25, s40, -1
	v_or_b32_e32 v4, 64, v0
	v_or_b32_e32 v6, 0x60, v0
	s_load_b128 s[8:11], s[0:1], 0x8
	v_cndmask_b32_e32 v1, s25, v0, vcc_lo
	v_cmp_gt_i32_e32 vcc_lo, s40, v2
	s_mov_b32 s19, 0
	v_or_b32_e32 v10, 0x120, v0
	s_lshl_b64 s[20:21], s[18:19], 2
	s_mov_b32 s7, s19
	v_cndmask_b32_e32 v3, s25, v2, vcc_lo
	v_cmp_gt_i32_e32 vcc_lo, s40, v4
	v_or_b32_e32 v2, 0x80, v0
	v_cndmask_b32_e32 v5, s25, v4, vcc_lo
	v_cmp_gt_i32_e32 vcc_lo, s40, v6
	v_or_b32_e32 v4, 0xa0, v0
	;; [unrolled: 3-line block ×3, first 2 shown]
	s_waitcnt lgkmcnt(0)
	s_add_u32 s19, s10, s20
	s_addc_u32 s26, s11, s21
	s_lshl_b64 s[10:11], s[6:7], 2
	v_cndmask_b32_e32 v9, s25, v2, vcc_lo
	v_or_b32_e32 v2, 0xc0, v0
	v_cmp_gt_i32_e32 vcc_lo, s40, v4
	s_add_u32 s7, s19, s10
	s_addc_u32 s19, s26, s11
	v_ashrrev_i32_e32 v8, 31, v7
	v_cndmask_b32_e32 v11, s25, v4, vcc_lo
	v_cmp_gt_i32_e32 vcc_lo, s40, v2
	v_or_b32_e32 v4, 0x100, v0
	s_delay_alu instid0(VALU_DEP_4) | instskip(NEXT) | instid1(VALU_DEP_4)
	v_lshlrev_b64 v[7:8], 2, v[7:8]
	v_ashrrev_i32_e32 v12, 31, v11
	v_cndmask_b32_e32 v13, s25, v2, vcc_lo
	v_cmp_gt_i32_e32 vcc_lo, s40, v6
	v_ashrrev_i32_e32 v2, 31, v1
	s_delay_alu instid0(VALU_DEP_4) | instskip(NEXT) | instid1(VALU_DEP_4)
	v_lshlrev_b64 v[11:12], 2, v[11:12]
	v_ashrrev_i32_e32 v14, 31, v13
	v_cndmask_b32_e32 v15, s25, v6, vcc_lo
	v_cmp_gt_i32_e32 vcc_lo, s40, v4
	v_lshlrev_b64 v[1:2], 2, v[1:2]
	v_ashrrev_i32_e32 v6, 31, v5
	v_lshlrev_b64 v[13:14], 2, v[13:14]
	v_ashrrev_i32_e32 v16, 31, v15
	v_cndmask_b32_e32 v17, s25, v4, vcc_lo
	v_ashrrev_i32_e32 v4, 31, v3
	v_add_co_u32 v18, vcc_lo, s7, v1
	v_add_co_ci_u32_e32 v19, vcc_lo, s19, v2, vcc_lo
	s_delay_alu instid0(VALU_DEP_3) | instskip(SKIP_2) | instid1(VALU_DEP_3)
	v_lshlrev_b64 v[3:4], 2, v[3:4]
	v_lshlrev_b64 v[5:6], 2, v[5:6]
	;; [unrolled: 1-line block ×3, first 2 shown]
	v_add_co_u32 v20, vcc_lo, s7, v3
	s_delay_alu instid0(VALU_DEP_4)
	v_add_co_ci_u32_e32 v21, vcc_lo, s19, v4, vcc_lo
	v_cmp_gt_i32_e32 vcc_lo, s40, v10
	s_clause 0x1
	global_load_b32 v34, v[18:19], off
	global_load_b32 v35, v[20:21], off
	v_ashrrev_i32_e32 v18, 31, v17
	v_cndmask_b32_e32 v22, s25, v10, vcc_lo
	v_ashrrev_i32_e32 v10, 31, v9
	v_add_co_u32 v19, vcc_lo, s7, v5
	v_add_co_ci_u32_e32 v20, vcc_lo, s19, v6, vcc_lo
	s_delay_alu instid0(VALU_DEP_3) | instskip(SKIP_3) | instid1(VALU_DEP_4)
	v_lshlrev_b64 v[9:10], 2, v[9:10]
	v_add_co_u32 v24, vcc_lo, s7, v7
	v_add_co_ci_u32_e32 v25, vcc_lo, s19, v8, vcc_lo
	v_ashrrev_i32_e32 v23, 31, v22
	v_add_co_u32 v26, vcc_lo, s7, v9
	v_add_co_ci_u32_e32 v27, vcc_lo, s19, v10, vcc_lo
	v_add_co_u32 v28, vcc_lo, s7, v11
	v_add_co_ci_u32_e32 v29, vcc_lo, s19, v12, vcc_lo
	;; [unrolled: 2-line block ×3, first 2 shown]
	v_lshlrev_b64 v[17:18], 2, v[17:18]
	v_add_co_u32 v32, vcc_lo, s7, v15
	v_add_co_ci_u32_e32 v33, vcc_lo, s19, v16, vcc_lo
	s_clause 0x5
	global_load_b32 v36, v[19:20], off
	global_load_b32 v25, v[24:25], off
	;; [unrolled: 1-line block ×6, first 2 shown]
	v_lshlrev_b64 v[19:20], 2, v[22:23]
	v_add_co_u32 v21, vcc_lo, s7, v17
	v_add_co_ci_u32_e32 v22, vcc_lo, s19, v18, vcc_lo
	s_delay_alu instid0(VALU_DEP_3) | instskip(NEXT) | instid1(VALU_DEP_4)
	v_add_co_u32 v23, vcc_lo, s7, v19
	v_add_co_ci_u32_e32 v24, vcc_lo, s19, v20, vcc_lo
	s_clause 0x1
	global_load_b32 v21, v[21:22], off
	global_load_b32 v22, v[23:24], off
	s_add_u32 s7, s8, s20
	s_addc_u32 s8, s9, s21
	s_add_u32 s7, s7, s10
	s_addc_u32 s8, s8, s11
	v_add_co_u32 v1, vcc_lo, s7, v1
	v_add_co_ci_u32_e32 v2, vcc_lo, s8, v2, vcc_lo
	v_add_co_u32 v3, vcc_lo, s7, v3
	v_add_co_ci_u32_e32 v4, vcc_lo, s8, v4, vcc_lo
	;; [unrolled: 2-line block ×4, first 2 shown]
	s_clause 0x1
	global_load_b32 v30, v[1:2], off
	global_load_b32 v31, v[3:4], off
	v_add_co_u32 v9, vcc_lo, s7, v9
	v_mbcnt_lo_u32_b32 v23, -1, 0
	s_clause 0x1
	global_load_b32 v5, v[5:6], off
	global_load_b32 v7, v[7:8], off
	v_add_co_ci_u32_e32 v10, vcc_lo, s8, v10, vcc_lo
	v_add_co_u32 v1, vcc_lo, s7, v11
	v_add_co_ci_u32_e32 v2, vcc_lo, s8, v12, vcc_lo
	v_xor_b32_e32 v24, 16, v23
	s_waitcnt vmcnt(12)
	v_dual_max_f32 v4, v34, v34 :: v_dual_max_f32 v3, v35, v35
	s_delay_alu instid0(VALU_DEP_1)
	v_max_f32_e32 v6, v4, v3
	v_add_co_u32 v3, vcc_lo, s7, v13
	v_add_co_ci_u32_e32 v4, vcc_lo, s8, v14, vcc_lo
	v_cmp_gt_i32_e32 vcc_lo, 32, v24
	s_clause 0x2
	global_load_b32 v9, v[9:10], off
	global_load_b32 v10, v[1:2], off
	;; [unrolled: 1-line block ×3, first 2 shown]
	v_xor_b32_e32 v13, 8, v23
	v_cndmask_b32_e32 v8, v23, v24, vcc_lo
	v_add_co_u32 v1, vcc_lo, s7, v15
	v_add_co_ci_u32_e32 v2, vcc_lo, s8, v16, vcc_lo
	v_xor_b32_e32 v15, 1, v23
	s_waitcnt vmcnt(13)
	v_max3_f32 v6, v6, v36, v25
	s_waitcnt vmcnt(11)
	s_delay_alu instid0(VALU_DEP_1)
	v_max3_f32 v4, v6, v26, v27
	v_lshlrev_b32_e32 v6, 2, v8
	global_load_b32 v8, v[1:2], off
	v_add_co_u32 v1, vcc_lo, s7, v17
	s_waitcnt vmcnt(10)
	v_max3_f32 v4, v4, v28, v29
	v_add_co_ci_u32_e32 v2, vcc_lo, s8, v18, vcc_lo
	global_load_b32 v12, v[1:2], off
	s_waitcnt vmcnt(9)
	v_max3_f32 v4, v4, v21, v22
	v_add_co_u32 v1, vcc_lo, s7, v19
	v_add_co_ci_u32_e32 v2, vcc_lo, s8, v20, vcc_lo
	ds_bpermute_b32 v11, v6, v4
	v_cmp_gt_i32_e32 vcc_lo, 32, v13
	s_mov_b32 s7, exec_lo
	global_load_b32 v14, v[1:2], off
	v_cndmask_b32_e32 v1, v23, v13, vcc_lo
	v_xor_b32_e32 v13, 2, v23
	s_waitcnt lgkmcnt(0)
	s_delay_alu instid0(VALU_DEP_2) | instskip(SKIP_1) | instid1(VALU_DEP_2)
	v_dual_max_f32 v2, v11, v11 :: v_dual_lshlrev_b32 v1, 2, v1
	v_xor_b32_e32 v11, 4, v23
	v_max_f32_e32 v2, v4, v2
	s_delay_alu instid0(VALU_DEP_2) | instskip(SKIP_3) | instid1(VALU_DEP_2)
	v_cmp_gt_i32_e32 vcc_lo, 32, v11
	ds_bpermute_b32 v4, v1, v2
	v_cndmask_b32_e32 v11, v23, v11, vcc_lo
	v_cmp_gt_i32_e32 vcc_lo, 32, v13
	v_lshlrev_b32_e32 v11, 2, v11
	v_cndmask_b32_e32 v13, v23, v13, vcc_lo
	v_cmp_gt_i32_e32 vcc_lo, 32, v15
	s_delay_alu instid0(VALU_DEP_2) | instskip(SKIP_2) | instid1(VALU_DEP_1)
	v_lshlrev_b32_e32 v13, 2, v13
	v_cndmask_b32_e32 v15, v23, v15, vcc_lo
	s_waitcnt lgkmcnt(0)
	v_dual_max_f32 v4, v4, v4 :: v_dual_lshlrev_b32 v15, 2, v15
	s_delay_alu instid0(VALU_DEP_1) | instskip(SKIP_3) | instid1(VALU_DEP_1)
	v_max_f32_e32 v2, v2, v4
	ds_bpermute_b32 v4, v11, v2
	s_waitcnt lgkmcnt(0)
	v_max_f32_e32 v4, v4, v4
	v_max_f32_e32 v2, v2, v4
	ds_bpermute_b32 v4, v13, v2
	s_waitcnt lgkmcnt(0)
	v_max_f32_e32 v4, v4, v4
	s_delay_alu instid0(VALU_DEP_1) | instskip(SKIP_3) | instid1(VALU_DEP_1)
	v_max_f32_e32 v2, v2, v4
	ds_bpermute_b32 v4, v15, v2
	s_waitcnt lgkmcnt(0)
	v_max_f32_e32 v4, v4, v4
	v_max_f32_e32 v2, v2, v4
	v_sub_nc_u32_e32 v4, s40, v0
	s_delay_alu instid0(VALU_DEP_2)
	v_sub_f32_e32 v20, v26, v2
	v_sub_f32_e32 v16, v34, v2
	;; [unrolled: 1-line block ×9, first 2 shown]
	v_dual_mul_f32 v29, 0x3fb8aa3b, v20 :: v_dual_sub_f32 v2, v22, v2
	s_delay_alu instid0(VALU_DEP_4)
	v_mul_f32_e32 v33, 0x3fb8aa3b, v24
	v_mul_f32_e32 v22, 0x3fb8aa3b, v16
	;; [unrolled: 1-line block ×4, first 2 shown]
	v_fma_f32 v45, 0x3fb8aa3b, v20, -v29
	v_rndne_f32_e32 v46, v29
	v_fma_f32 v37, 0x3fb8aa3b, v16, -v22
	v_rndne_f32_e32 v38, v22
	;; [unrolled: 2-line block ×3, first 2 shown]
	v_mul_f32_e32 v27, 0x3fb8aa3b, v18
	s_delay_alu instid0(VALU_DEP_4) | instskip(SKIP_1) | instid1(VALU_DEP_4)
	v_dual_fmac_f32 v37, 0x32a5705f, v16 :: v_dual_sub_f32 v22, v22, v38
	v_rndne_f32_e32 v44, v28
	v_dual_fmac_f32 v39, 0x32a5705f, v17 :: v_dual_sub_f32 v26, v26, v40
	s_delay_alu instid0(VALU_DEP_3) | instskip(SKIP_1) | instid1(VALU_DEP_4)
	v_dual_fmac_f32 v45, 0x32a5705f, v20 :: v_dual_add_f32 v22, v22, v37
	v_fma_f32 v43, 0x3fb8aa3b, v19, -v28
	v_dual_sub_f32 v28, v28, v44 :: v_dual_sub_f32 v29, v29, v46
	s_delay_alu instid0(VALU_DEP_4) | instskip(NEXT) | instid1(VALU_DEP_4)
	v_add_f32_e32 v26, v26, v39
	v_exp_f32_e32 v22, v22
	v_mul_f32_e32 v32, 0x3fb8aa3b, v23
	v_mul_f32_e32 v34, 0x3fb8aa3b, v25
	v_fma_f32 v41, 0x3fb8aa3b, v18, -v27
	v_rndne_f32_e32 v42, v27
	v_cvt_i32_f32_e32 v38, v38
	v_exp_f32_e32 v26, v26
	v_dual_mul_f32 v35, 0x3fb8aa3b, v21 :: v_dual_mul_f32 v36, 0x3fb8aa3b, v2
	v_fma_f32 v47, 0x3fb8aa3b, v23, -v32
	v_rndne_f32_e32 v48, v32
	v_rndne_f32_e32 v52, v34
	v_cvt_i32_f32_e32 v40, v40
	v_fmac_f32_e32 v41, 0x32a5705f, v18
	v_sub_f32_e32 v27, v27, v42
	v_ldexp_f32 v22, v22, v38
	v_cmp_ngt_f32_e32 vcc_lo, 0xc2ce8ed0, v16
	v_fma_f32 v49, 0x3fb8aa3b, v24, -v33
	v_fma_f32 v51, 0x3fb8aa3b, v25, -v34
	v_sub_f32_e32 v34, v34, v52
	v_rndne_f32_e32 v56, v36
	v_fmac_f32_e32 v43, 0x32a5705f, v19
	v_dual_fmac_f32 v47, 0x32a5705f, v23 :: v_dual_cndmask_b32 v22, 0, v22
	v_sub_f32_e32 v32, v32, v48
	v_ldexp_f32 v26, v26, v40
	v_cmp_ngt_f32_e32 vcc_lo, 0xc2ce8ed0, v17
	v_add_f32_e32 v27, v27, v41
	v_fma_f32 v55, 0x3fb8aa3b, v2, -v36
	v_sub_f32_e32 v36, v36, v56
	v_dual_fmac_f32 v49, 0x32a5705f, v24 :: v_dual_add_f32 v28, v28, v43
	v_cndmask_b32_e32 v26, 0, v26, vcc_lo
	v_exp_f32_e32 v27, v27
	v_rndne_f32_e32 v50, v33
	v_cvt_i32_f32_e32 v42, v42
	v_add_f32_e32 v29, v29, v45
	v_exp_f32_e32 v28, v28
	v_cvt_i32_f32_e32 v44, v44
	v_dual_sub_f32 v33, v33, v50 :: v_dual_add_f32 v32, v32, v47
	s_delay_alu instid0(VALU_DEP_3) | instskip(SKIP_1) | instid1(TRANS32_DEP_3)
	v_exp_f32_e32 v29, v29
	v_cmp_ngt_f32_e32 vcc_lo, 0xc2ce8ed0, v18
	v_ldexp_f32 v27, v27, v42
	v_rndne_f32_e32 v54, v35
	v_cvt_i32_f32_e32 v46, v46
	v_exp_f32_e32 v32, v32
	s_delay_alu instid0(TRANS32_DEP_3)
	v_ldexp_f32 v28, v28, v44
	v_cndmask_b32_e32 v27, 0, v27, vcc_lo
	v_cmp_ngt_f32_e32 vcc_lo, 0xc2ce8ed0, v19
	v_fma_f32 v53, 0x3fb8aa3b, v21, -v35
	v_cvt_i32_f32_e32 v48, v48
	v_sub_f32_e32 v35, v35, v54
	v_ldexp_f32 v29, v29, v46
	v_cndmask_b32_e32 v28, 0, v28, vcc_lo
	v_cmp_ngt_f32_e32 vcc_lo, 0xc2ce8ed0, v20
	v_ldexp_f32 v32, v32, v48
	v_add_f32_e32 v33, v33, v49
	v_cvt_i32_f32_e32 v50, v50
	v_cvt_i32_f32_e32 v52, v52
	v_cndmask_b32_e32 v29, 0, v29, vcc_lo
	v_cmp_ngt_f32_e32 vcc_lo, 0xc2ce8ed0, v23
	v_fmac_f32_e32 v55, 0x32a5705f, v2
	v_exp_f32_e32 v33, v33
	v_cvt_i32_f32_e32 v54, v54
	v_dual_cndmask_b32 v32, 0, v32 :: v_dual_fmac_f32 v51, 0x32a5705f, v25
	s_delay_alu instid0(VALU_DEP_3) | instskip(SKIP_1) | instid1(VALU_DEP_3)
	v_dual_add_f32 v36, v36, v55 :: v_dual_fmac_f32 v53, 0x32a5705f, v21
	v_cmp_ngt_f32_e32 vcc_lo, 0xc2ce8ed0, v24
	v_add_f32_e32 v34, v34, v51
	s_waitcnt_depctr 0xfff
	v_ldexp_f32 v33, v33, v50
	v_exp_f32_e32 v36, v36
	v_exp_f32_e32 v34, v34
	s_delay_alu instid0(VALU_DEP_1) | instskip(SKIP_3) | instid1(VALU_DEP_1)
	v_cndmask_b32_e32 v33, 0, v33, vcc_lo
	v_cmp_ngt_f32_e32 vcc_lo, 0xc2ce8ed0, v25
	s_waitcnt_depctr 0xfff
	v_ldexp_f32 v34, v34, v52
	v_cndmask_b32_e32 v34, 0, v34, vcc_lo
	v_cmp_nlt_f32_e32 vcc_lo, 0x42b17218, v16
	v_cndmask_b32_e32 v16, 0x7f800000, v22, vcc_lo
	v_cmp_nlt_f32_e32 vcc_lo, 0x42b17218, v17
	;; [unrolled: 2-line block ×3, first 2 shown]
	v_dual_add_f32 v35, v35, v53 :: v_dual_cndmask_b32 v18, 0x7f800000, v27
	v_cmp_nlt_f32_e32 vcc_lo, 0x42b17218, v19
	s_delay_alu instid0(VALU_DEP_2)
	v_exp_f32_e32 v35, v35
	v_cndmask_b32_e32 v19, 0x7f800000, v28, vcc_lo
	v_cmp_nlt_f32_e32 vcc_lo, 0x42b17218, v20
	v_cndmask_b32_e32 v20, 0x7f800000, v29, vcc_lo
	v_cmp_nlt_f32_e32 vcc_lo, 0x42b17218, v23
	s_waitcnt_depctr 0xfff
	v_ldexp_f32 v35, v35, v54
	v_cndmask_b32_e32 v22, 0x7f800000, v32, vcc_lo
	v_cmp_lt_i32_e32 vcc_lo, 0, v4
	v_cndmask_b32_e32 v16, 0, v16, vcc_lo
	v_cmp_lt_i32_e32 vcc_lo, 32, v4
	s_waitcnt vmcnt(9)
	s_delay_alu instid0(VALU_DEP_2) | instskip(SKIP_2) | instid1(VALU_DEP_2)
	v_dual_mul_f32 v16, v30, v16 :: v_dual_cndmask_b32 v17, 0, v17
	v_cmp_nlt_f32_e32 vcc_lo, 0x42b17218, v24
	s_waitcnt vmcnt(8)
	v_mul_f32_e32 v17, v31, v17
	v_cndmask_b32_e32 v23, 0x7f800000, v33, vcc_lo
	v_cmp_lt_i32_e32 vcc_lo, 64, v4
	v_cndmask_b32_e32 v18, 0, v18, vcc_lo
	v_cmp_lt_i32_e32 vcc_lo, 0x60, v4
	s_waitcnt vmcnt(7)
	s_delay_alu instid0(VALU_DEP_2) | instskip(SKIP_2) | instid1(VALU_DEP_3)
	v_dual_mul_f32 v5, v5, v18 :: v_dual_add_f32 v18, v16, v17
	v_cndmask_b32_e32 v19, 0, v19, vcc_lo
	v_cmp_lt_i32_e32 vcc_lo, 0x80, v4
	v_add_f32_e32 v18, v18, v5
	v_cndmask_b32_e32 v20, 0, v20, vcc_lo
	v_cmp_lt_i32_e32 vcc_lo, 0xa0, v4
	s_waitcnt vmcnt(6)
	v_dual_cndmask_b32 v22, 0, v22 :: v_dual_mul_f32 v7, v7, v19
	v_cmp_lt_i32_e32 vcc_lo, 0xc0, v4
	s_waitcnt vmcnt(4)
	s_delay_alu instid0(VALU_DEP_2) | instskip(NEXT) | instid1(VALU_DEP_3)
	v_dual_mul_f32 v9, v9, v20 :: v_dual_mul_f32 v10, v10, v22
	v_add_f32_e32 v18, v18, v7
	v_cndmask_b32_e32 v23, 0, v23, vcc_lo
	v_cmp_nlt_f32_e32 vcc_lo, 0x42b17218, v25
	v_cvt_i32_f32_e32 v22, v56
	s_waitcnt vmcnt(3)
	s_delay_alu instid0(VALU_DEP_3) | instskip(NEXT) | instid1(VALU_DEP_1)
	v_dual_add_f32 v18, v18, v9 :: v_dual_mul_f32 v3, v3, v23
	v_add_f32_e32 v18, v18, v10
	v_cndmask_b32_e32 v19, 0x7f800000, v34, vcc_lo
	v_cmp_ngt_f32_e32 vcc_lo, 0xc2ce8ed0, v21
	s_delay_alu instid0(VALU_DEP_3) | instskip(SKIP_4) | instid1(VALU_DEP_4)
	v_add_f32_e32 v18, v18, v3
	v_cndmask_b32_e32 v20, 0, v35, vcc_lo
	v_cmp_lt_i32_e32 vcc_lo, 0xe0, v4
	v_cndmask_b32_e32 v19, 0, v19, vcc_lo
	v_cmp_nlt_f32_e32 vcc_lo, 0x42b17218, v21
	v_cndmask_b32_e32 v20, 0x7f800000, v20, vcc_lo
	v_cmp_lt_i32_e32 vcc_lo, 0x100, v4
	s_delay_alu instid0(VALU_DEP_2)
	v_cndmask_b32_e32 v20, 0, v20, vcc_lo
	s_waitcnt vmcnt(2)
	v_mul_f32_e32 v8, v8, v19
	v_ldexp_f32 v19, v36, v22
	v_cmp_ngt_f32_e32 vcc_lo, 0xc2ce8ed0, v2
	s_waitcnt vmcnt(1)
	v_mul_f32_e32 v12, v12, v20
	s_delay_alu instid0(VALU_DEP_3) | instskip(SKIP_1) | instid1(VALU_DEP_2)
	v_dual_add_f32 v18, v18, v8 :: v_dual_cndmask_b32 v19, 0, v19
	v_cmp_nlt_f32_e32 vcc_lo, 0x42b17218, v2
	v_cndmask_b32_e32 v2, 0x7f800000, v19, vcc_lo
	v_cmp_lt_i32_e32 vcc_lo, 0x120, v4
	s_delay_alu instid0(VALU_DEP_2) | instskip(SKIP_2) | instid1(VALU_DEP_1)
	v_cndmask_b32_e32 v4, 0, v2, vcc_lo
	v_add_f32_e32 v2, v18, v12
	s_waitcnt vmcnt(0)
	v_fmac_f32_e32 v2, v14, v4
	v_mul_f32_e32 v4, v14, v4
	ds_bpermute_b32 v6, v6, v2
	s_waitcnt lgkmcnt(0)
	v_add_f32_e32 v2, v2, v6
	v_lshlrev_b32_e32 v6, 2, v0
	ds_bpermute_b32 v1, v1, v2
	ds_store_2addr_b32 v6, v16, v17 offset1:32
	s_waitcnt lgkmcnt(1)
	v_add_f32_e32 v1, v2, v1
	ds_bpermute_b32 v2, v11, v1
	v_add_nc_u32_e32 v11, 0x400, v6
	s_waitcnt lgkmcnt(0)
	v_add_f32_e32 v1, v1, v2
	ds_store_2addr_b32 v6, v5, v7 offset0:64 offset1:96
	ds_store_2addr_b32 v6, v9, v10 offset0:128 offset1:160
	;; [unrolled: 1-line block ×3, first 2 shown]
	ds_store_2addr_b32 v11, v12, v4 offset1:32
	ds_bpermute_b32 v2, v13, v1
	s_waitcnt lgkmcnt(0)
	v_add_f32_e32 v1, v1, v2
	ds_bpermute_b32 v2, v15, v1
	v_cmpx_eq_u32_e32 0, v0
	s_cbranch_execz .LBB607_8
; %bb.7:
	s_waitcnt lgkmcnt(0)
	v_dual_add_f32 v1, v1, v2 :: v_dual_mov_b32 v2, 0
	ds_store_b32 v2, v1 offset:1280
.LBB607_8:
	s_or_b32 exec_lo, exec_lo, s7
	v_mov_b32_e32 v1, s6
.LBB607_9:
	s_or_b32 exec_lo, exec_lo, s24
	s_lshl_b32 s6, s18, 7
	s_mov_b32 s7, 0
	s_waitcnt lgkmcnt(0)
	v_dual_mov_b32 v2, 0 :: v_dual_lshlrev_b32 v1, 7, v1
	s_lshl_b64 s[6:7], s[6:7], 1
	v_dual_mov_b32 v31, 0 :: v_dual_mov_b32 v32, 0
	s_add_u32 s34, s4, s6
	s_addc_u32 s35, s5, s7
	s_lshl_b32 s41, s40, 7
	v_lshlrev_b64 v[3:4], 1, v[1:2]
	s_add_i32 s42, s41, 0xffffff80
	s_cmpk_lt_i32 s22, 0x100
	v_lshlrev_b32_e32 v1, 1, v0
	s_cselect_b32 s4, s42, 0
	v_dual_mov_b32 v33, 0 :: v_dual_mov_b32 v34, 0
	s_ashr_i32 s5, s4, 31
	v_add_co_u32 v3, vcc_lo, s34, v3
	s_lshl_b64 s[4:5], s[4:5], 1
	s_cmpk_lt_i32 s22, 0x200
	v_add_co_ci_u32_e32 v4, vcc_lo, s35, v4, vcc_lo
	s_cselect_b32 s6, s42, 0x80
	v_add_co_u32 v1, vcc_lo, v3, v1
	s_ashr_i32 s7, s6, 31
	s_delay_alu instid0(VALU_DEP_2)
	v_add_co_ci_u32_e32 v3, vcc_lo, 0, v4, vcc_lo
	s_lshl_b64 s[6:7], s[6:7], 1
	s_cmpk_lt_i32 s22, 0x300
	v_add_co_u32 v4, vcc_lo, v1, s4
	s_cselect_b32 s8, s42, 0x100
	v_add_co_ci_u32_e32 v5, vcc_lo, s5, v3, vcc_lo
	s_ashr_i32 s9, s8, 31
	v_add_co_u32 v6, vcc_lo, v1, s6
	s_lshl_b64 s[8:9], s[8:9], 1
	s_cmpk_lt_i32 s22, 0x400
	v_add_co_ci_u32_e32 v7, vcc_lo, s7, v3, vcc_lo
	s_cselect_b32 s10, s42, 0x180
	v_add_co_u32 v8, vcc_lo, v1, s8
	s_ashr_i32 s11, s10, 31
	v_add_co_ci_u32_e32 v9, vcc_lo, s9, v3, vcc_lo
	s_lshl_b64 s[10:11], s[10:11], 1
	s_cmpk_lt_i32 s22, 0x500
	v_add_co_u32 v11, vcc_lo, v1, s10
	s_cselect_b32 s18, s42, 0x200
	v_add_co_ci_u32_e32 v12, vcc_lo, s11, v3, vcc_lo
	s_ashr_i32 s19, s18, 31
	v_mov_b32_e32 v35, 0
	s_lshl_b64 s[18:19], s[18:19], 1
	s_cmpk_lt_i32 s22, 0x600
	v_add_co_u32 v14, vcc_lo, v1, s18
	s_cselect_b32 s20, s42, 0x280
	v_add_co_ci_u32_e32 v15, vcc_lo, s19, v3, vcc_lo
	s_ashr_i32 s21, s20, 31
	v_mov_b32_e32 v30, 0
	s_lshl_b64 s[20:21], s[20:21], 1
	s_cmpk_lt_i32 s22, 0x700
	v_add_co_u32 v16, vcc_lo, v1, s20
	s_cselect_b32 s24, s42, 0x300
	v_add_co_ci_u32_e32 v17, vcc_lo, s21, v3, vcc_lo
	s_ashr_i32 s25, s24, 31
	s_delay_alu instid0(SALU_CYCLE_1)
	s_lshl_b64 s[24:25], s[24:25], 1
	s_cmpk_lt_i32 s22, 0x800
	v_add_co_u32 v18, vcc_lo, v1, s24
	s_cselect_b32 s26, s42, 0x380
	v_add_co_ci_u32_e32 v19, vcc_lo, s25, v3, vcc_lo
	s_ashr_i32 s27, s26, 31
	s_delay_alu instid0(SALU_CYCLE_1)
	s_lshl_b64 s[26:27], s[26:27], 1
	s_cmpk_lt_i32 s22, 0x900
	v_add_co_u32 v20, vcc_lo, v1, s26
	s_cselect_b32 s28, s42, 0x400
	v_add_co_ci_u32_e32 v21, vcc_lo, s27, v3, vcc_lo
	s_ashr_i32 s29, s28, 31
	s_clause 0x7
	global_load_u16 v13, v[4:5], off
	global_load_u16 v4, v[6:7], off
	;; [unrolled: 1-line block ×8, first 2 shown]
	s_lshl_b64 s[28:29], s[28:29], 1
	s_cmpk_lt_i32 s22, 0xa00
	v_add_co_u32 v11, vcc_lo, v1, s28
	s_cselect_b32 s30, s42, 0x480
	v_add_co_ci_u32_e32 v12, vcc_lo, s29, v3, vcc_lo
	s_ashr_i32 s31, s30, 31
	s_delay_alu instid0(SALU_CYCLE_1)
	s_lshl_b64 s[30:31], s[30:31], 1
	s_cmpk_lt_i32 s22, 0xb00
	v_add_co_u32 v14, vcc_lo, v1, s30
	s_cselect_b32 s34, s42, 0x500
	v_add_co_ci_u32_e32 v15, vcc_lo, s31, v3, vcc_lo
	s_ashr_i32 s35, s34, 31
	s_delay_alu instid0(SALU_CYCLE_1)
	;; [unrolled: 7-line block ×7, first 2 shown]
	s_lshl_b64 s[4:5], s[6:7], 1
	s_cmpk_gt_i32 s23, 0x1000
	v_add_co_u32 v28, vcc_lo, v1, s4
	v_add_co_ci_u32_e32 v29, vcc_lo, s5, v3, vcc_lo
	s_clause 0x7
	global_load_u16 v19, v[11:12], off
	global_load_u16 v18, v[14:15], off
	;; [unrolled: 1-line block ×8, first 2 shown]
	v_dual_mov_b32 v20, 0 :: v_dual_mov_b32 v21, 0
	v_dual_mov_b32 v22, 0 :: v_dual_mov_b32 v23, 0
	;; [unrolled: 1-line block ×5, first 2 shown]
	s_cselect_b32 s6, -1, 0
	s_cmpk_lt_i32 s23, 0x1001
	s_waitcnt vmcnt(0)
	s_barrier
	buffer_gl0_inv
	s_cbranch_scc1 .LBB607_11
; %bb.10:
	s_cmpk_lt_i32 s22, 0x1100
	s_cselect_b32 s4, s42, 0x800
	s_delay_alu instid0(SALU_CYCLE_1) | instskip(NEXT) | instid1(SALU_CYCLE_1)
	s_ashr_i32 s5, s4, 31
	s_lshl_b64 s[4:5], s[4:5], 1
	s_cmpk_lt_i32 s22, 0x1200
	v_add_co_u32 v20, vcc_lo, v1, s4
	s_cselect_b32 s8, s42, 0x880
	v_add_co_ci_u32_e32 v21, vcc_lo, s5, v3, vcc_lo
	s_ashr_i32 s9, s8, 31
	s_delay_alu instid0(SALU_CYCLE_1)
	s_lshl_b64 s[8:9], s[8:9], 1
	s_cmpk_lt_i32 s22, 0x1300
	v_add_co_u32 v22, vcc_lo, v1, s8
	s_cselect_b32 s10, s42, 0x900
	v_add_co_ci_u32_e32 v23, vcc_lo, s9, v3, vcc_lo
	s_ashr_i32 s11, s10, 31
	s_delay_alu instid0(SALU_CYCLE_1)
	;; [unrolled: 7-line block ×14, first 2 shown]
	s_lshl_b64 s[4:5], s[18:19], 1
	s_cmpk_lt_i32 s22, 0x2000
	v_add_co_u32 v48, vcc_lo, v1, s4
	s_cselect_b32 s8, s42, 0xf80
	v_add_co_ci_u32_e32 v49, vcc_lo, s5, v3, vcc_lo
	s_ashr_i32 s9, s8, 31
	s_delay_alu instid0(SALU_CYCLE_1) | instskip(NEXT) | instid1(SALU_CYCLE_1)
	s_lshl_b64 s[4:5], s[8:9], 1
	v_add_co_u32 v50, vcc_lo, v1, s4
	v_add_co_ci_u32_e32 v51, vcc_lo, s5, v3, vcc_lo
	s_clause 0xf
	global_load_u16 v20, v[20:21], off
	global_load_u16 v21, v[22:23], off
	;; [unrolled: 1-line block ×16, first 2 shown]
	s_waitcnt vmcnt(15)
	v_lshlrev_b32_e32 v35, 16, v20
	s_waitcnt vmcnt(14)
	v_lshlrev_b32_e32 v34, 16, v21
	s_waitcnt vmcnt(13)
	v_lshlrev_b32_e32 v33, 16, v22
	s_waitcnt vmcnt(12)
	v_lshlrev_b32_e32 v32, 16, v23
	s_waitcnt vmcnt(11)
	v_lshlrev_b32_e32 v31, 16, v24
	s_waitcnt vmcnt(10)
	v_lshlrev_b32_e32 v30, 16, v25
	s_waitcnt vmcnt(9)
	v_lshlrev_b32_e32 v29, 16, v26
	s_waitcnt vmcnt(8)
	v_lshlrev_b32_e32 v28, 16, v27
	s_waitcnt vmcnt(7)
	v_lshlrev_b32_e32 v27, 16, v36
	s_waitcnt vmcnt(6)
	v_lshlrev_b32_e32 v26, 16, v37
	s_waitcnt vmcnt(5)
	v_lshlrev_b32_e32 v25, 16, v38
	s_waitcnt vmcnt(4)
	v_lshlrev_b32_e32 v24, 16, v39
	s_waitcnt vmcnt(3)
	v_lshlrev_b32_e32 v23, 16, v40
	s_waitcnt vmcnt(2)
	v_lshlrev_b32_e32 v22, 16, v41
	s_waitcnt vmcnt(1)
	v_lshlrev_b32_e32 v21, 16, v42
	s_waitcnt vmcnt(0)
	v_lshlrev_b32_e32 v20, 16, v43
.LBB607_11:
	ds_load_b128 v[36:39], v2
	ds_load_b128 v[40:43], v2 offset:16
	v_lshlrev_b32_e32 v44, 16, v4
	v_lshlrev_b32_e32 v13, 16, v13
	;; [unrolled: 1-line block ×5, first 2 shown]
	s_load_b64 s[0:1], s[0:1], 0x0
	s_and_b32 vcc_lo, exec_lo, s6
	v_lshlrev_b32_e32 v5, 16, v5
	s_waitcnt lgkmcnt(0)
	v_fma_f32 v4, v36, v13, 0
	s_delay_alu instid0(VALU_DEP_1) | instskip(NEXT) | instid1(VALU_DEP_1)
	v_dual_fmac_f32 v4, v37, v44 :: v_dual_lshlrev_b32 v13, 16, v7
	v_dual_fmac_f32 v4, v38, v10 :: v_dual_lshlrev_b32 v9, 16, v9
	s_delay_alu instid0(VALU_DEP_1) | instskip(SKIP_4) | instid1(VALU_DEP_1)
	v_fmac_f32_e32 v4, v39, v9
	ds_load_b128 v[36:39], v2 offset:48
	v_fmac_f32_e32 v4, v40, v8
	ds_load_b128 v[7:10], v2 offset:32
	v_fmac_f32_e32 v4, v41, v13
	v_fmac_f32_e32 v4, v42, v6
	v_lshlrev_b32_e32 v6, 16, v19
	s_delay_alu instid0(VALU_DEP_2) | instskip(SKIP_1) | instid1(VALU_DEP_1)
	v_dual_fmac_f32 v4, v43, v5 :: v_dual_lshlrev_b32 v5, 16, v18
	s_waitcnt lgkmcnt(0)
	v_fmac_f32_e32 v4, v7, v6
	v_lshlrev_b32_e32 v6, 16, v17
	s_delay_alu instid0(VALU_DEP_2) | instskip(NEXT) | instid1(VALU_DEP_1)
	v_dual_fmac_f32 v4, v8, v5 :: v_dual_lshlrev_b32 v5, 16, v16
	v_fmac_f32_e32 v4, v9, v6
	v_lshlrev_b32_e32 v6, 16, v15
	s_delay_alu instid0(VALU_DEP_2) | instskip(NEXT) | instid1(VALU_DEP_1)
	v_dual_fmac_f32 v4, v10, v5 :: v_dual_lshlrev_b32 v5, 16, v14
	;; [unrolled: 4-line block ×3, first 2 shown]
	v_fmac_f32_e32 v4, v38, v6
	s_delay_alu instid0(VALU_DEP_1)
	v_fmac_f32_e32 v4, v39, v5
	s_cbranch_vccz .LBB607_13
; %bb.12:
	ds_load_b128 v[5:8], v2 offset:64
	ds_load_b128 v[9:12], v2 offset:80
	s_waitcnt lgkmcnt(1)
	v_fmac_f32_e32 v4, v5, v35
	s_delay_alu instid0(VALU_DEP_1) | instskip(NEXT) | instid1(VALU_DEP_1)
	v_fmac_f32_e32 v4, v6, v34
	v_fmac_f32_e32 v4, v7, v33
	s_delay_alu instid0(VALU_DEP_1) | instskip(SKIP_3) | instid1(VALU_DEP_1)
	v_fmac_f32_e32 v4, v8, v32
	ds_load_b128 v[5:8], v2 offset:96
	s_waitcnt lgkmcnt(1)
	v_fmac_f32_e32 v4, v9, v31
	v_fmac_f32_e32 v4, v10, v30
	s_delay_alu instid0(VALU_DEP_1) | instskip(NEXT) | instid1(VALU_DEP_1)
	v_fmac_f32_e32 v4, v11, v29
	v_fmac_f32_e32 v4, v12, v28
	ds_load_b128 v[9:12], v2 offset:112
	s_waitcnt lgkmcnt(1)
	v_fmac_f32_e32 v4, v5, v27
	s_delay_alu instid0(VALU_DEP_1) | instskip(NEXT) | instid1(VALU_DEP_1)
	v_fmac_f32_e32 v4, v6, v26
	v_fmac_f32_e32 v4, v7, v25
	s_delay_alu instid0(VALU_DEP_1) | instskip(SKIP_1) | instid1(VALU_DEP_1)
	v_fmac_f32_e32 v4, v8, v24
	s_waitcnt lgkmcnt(0)
	v_fmac_f32_e32 v4, v9, v23
	s_delay_alu instid0(VALU_DEP_1) | instskip(NEXT) | instid1(VALU_DEP_1)
	v_fmac_f32_e32 v4, v10, v22
	v_fmac_f32_e32 v4, v11, v21
	s_delay_alu instid0(VALU_DEP_1)
	v_fmac_f32_e32 v4, v12, v20
.LBB607_13:
	s_movk_i32 s43, 0x1f80
	s_movk_i32 s44, 0x80
	s_mov_b32 s45, 32
	s_branch .LBB607_15
.LBB607_14:                             ;   in Loop: Header=BB607_15 Depth=1
	s_addk_i32 s43, 0x1000
	s_addk_i32 s44, 0x80
	s_add_i32 s45, s45, 32
	s_cmpk_eq_u32 s43, 0xaf80
	s_cbranch_scc1 .LBB607_17
.LBB607_15:                             ; =>This Inner Loop Header: Depth=1
	s_cmp_le_i32 s40, s45
	s_cbranch_scc1 .LBB607_14
; %bb.16:                               ;   in Loop: Header=BB607_15 Depth=1
	s_add_i32 s4, s43, 0xfffff080
	v_mov_b32_e32 v44, s44
	s_cmp_lt_i32 s4, s41
	s_cselect_b32 s4, s4, s42
	s_add_i32 s6, s43, 0xfffff100
	s_ashr_i32 s5, s4, 31
	s_delay_alu instid0(SALU_CYCLE_1)
	s_lshl_b64 s[38:39], s[4:5], 1
	s_cmp_lt_i32 s6, s41
	v_add_co_u32 v5, vcc_lo, v1, s38
	s_cselect_b32 s4, s6, s42
	s_add_i32 s6, s43, 0xfffff180
	s_ashr_i32 s5, s4, 31
	v_add_co_ci_u32_e32 v6, vcc_lo, s39, v3, vcc_lo
	s_lshl_b64 s[4:5], s[4:5], 1
	s_cmp_lt_i32 s6, s41
	s_cselect_b32 s6, s6, s42
	s_add_i32 s8, s43, 0xfffff200
	s_ashr_i32 s7, s6, 31
	global_load_u16 v2, v[5:6], off
	s_lshl_b64 s[6:7], s[6:7], 1
	s_cmp_lt_i32 s8, s41
	v_add_co_u32 v5, vcc_lo, v1, s4
	s_cselect_b32 s8, s8, s42
	s_add_i32 s10, s43, 0xfffff280
	s_ashr_i32 s9, s8, 31
	v_add_co_ci_u32_e32 v6, vcc_lo, s5, v3, vcc_lo
	s_lshl_b64 s[8:9], s[8:9], 1
	s_cmp_lt_i32 s10, s41
	v_add_co_u32 v7, vcc_lo, v1, s6
	s_cselect_b32 s10, s10, s42
	s_add_i32 s18, s43, 0xfffff300
	s_ashr_i32 s11, s10, 31
	v_add_co_ci_u32_e32 v8, vcc_lo, s7, v3, vcc_lo
	s_lshl_b64 s[10:11], s[10:11], 1
	s_cmp_lt_i32 s18, s41
	v_add_co_u32 v9, vcc_lo, v1, s8
	s_cselect_b32 s18, s18, s42
	s_add_i32 s20, s43, 0xfffff380
	s_ashr_i32 s19, s18, 31
	s_clause 0x1
	global_load_u16 v23, v[5:6], off
	global_load_u16 v24, v[7:8], off
	s_lshl_b64 s[18:19], s[18:19], 1
	s_cmp_lt_i32 s20, s41
	v_add_co_ci_u32_e32 v10, vcc_lo, s9, v3, vcc_lo
	s_cselect_b32 s20, s20, s42
	s_add_i32 s22, s43, 0xfffff400
	s_ashr_i32 s21, s20, 31
	global_load_u16 v25, v[9:10], off
	s_lshl_b64 s[20:21], s[20:21], 1
	s_cmp_lt_i32 s22, s41
	v_add_co_u32 v11, vcc_lo, v1, s10
	s_cselect_b32 s22, s22, s42
	s_add_i32 s24, s43, 0xfffff480
	s_ashr_i32 s23, s22, 31
	v_add_co_ci_u32_e32 v12, vcc_lo, s11, v3, vcc_lo
	s_lshl_b64 s[22:23], s[22:23], 1
	s_cmp_lt_i32 s24, s41
	v_add_co_u32 v13, vcc_lo, v1, s18
	global_load_u16 v26, v[11:12], off
	s_cselect_b32 s24, s24, s42
	s_add_i32 s26, s43, 0xfffff500
	s_ashr_i32 s25, s24, 31
	v_add_co_ci_u32_e32 v14, vcc_lo, s19, v3, vcc_lo
	s_lshl_b64 s[24:25], s[24:25], 1
	s_cmp_lt_i32 s26, s41
	v_add_co_u32 v15, vcc_lo, v1, s20
	global_load_u16 v27, v[13:14], off
	s_cselect_b32 s26, s26, s42
	s_add_i32 s28, s43, 0xfffff580
	s_ashr_i32 s27, s26, 31
	v_add_co_ci_u32_e32 v16, vcc_lo, s21, v3, vcc_lo
	s_lshl_b64 s[36:37], s[26:27], 1
	s_cmp_lt_i32 s28, s41
	v_add_co_u32 v17, vcc_lo, v1, s22
	s_cselect_b32 s26, s28, s42
	s_add_i32 s30, s43, 0xfffff600
	s_ashr_i32 s27, s26, 31
	v_add_co_ci_u32_e32 v18, vcc_lo, s23, v3, vcc_lo
	s_lshl_b64 s[28:29], s[26:27], 1
	s_cmp_lt_i32 s30, s41
	v_add_co_u32 v19, vcc_lo, v1, s24
	global_load_u16 v17, v[17:18], off
	s_cselect_b32 s26, s30, s42
	s_add_i32 s30, s43, 0xfffff680
	s_ashr_i32 s27, s26, 31
	v_add_co_ci_u32_e32 v20, vcc_lo, s25, v3, vcc_lo
	s_lshl_b64 s[26:27], s[26:27], 1
	s_cmp_lt_i32 s30, s41
	v_add_co_u32 v21, vcc_lo, v1, s36
	s_cselect_b32 s30, s30, s42
	s_add_i32 s46, s43, 0xfffff700
	s_ashr_i32 s31, s30, 31
	v_add_co_ci_u32_e32 v22, vcc_lo, s37, v3, vcc_lo
	s_lshl_b64 s[34:35], s[30:31], 1
	s_cmp_lt_i32 s46, s41
	v_add_co_u32 v5, vcc_lo, v1, s28
	;; [unrolled: 7-line block ×3, first 2 shown]
	s_cselect_b32 s46, s46, s42
	s_add_i32 s48, s43, 0xfffff800
	s_ashr_i32 s47, s46, 31
	global_load_u16 v28, v[15:16], off
	s_lshl_b64 s[38:39], s[46:47], 1
	s_cmp_lt_i32 s48, s41
	v_add_co_ci_u32_e32 v8, vcc_lo, s27, v3, vcc_lo
	s_cselect_b32 s46, s48, s42
	v_add_co_u32 v9, vcc_lo, v1, s34
	s_ashr_i32 s47, s46, 31
	s_add_i32 s4, s43, 0xfffff880
	s_lshl_b64 s[46:47], s[46:47], 1
	v_add_co_ci_u32_e32 v10, vcc_lo, s35, v3, vcc_lo
	s_cmp_lt_i32 s4, s41
	v_add_co_u32 v11, vcc_lo, v1, s30
	s_cselect_b32 s4, s4, s42
	v_add_co_ci_u32_e32 v12, vcc_lo, s31, v3, vcc_lo
	v_add_co_u32 v13, vcc_lo, v1, s38
	s_ashr_i32 s5, s4, 31
	s_add_i32 s6, s43, 0xfffff900
	v_add_co_ci_u32_e32 v14, vcc_lo, s39, v3, vcc_lo
	global_load_u16 v18, v[19:20], off
	s_lshl_b64 s[8:9], s[4:5], 1
	s_cmp_lt_i32 s6, s41
	global_load_u16 v30, v[13:14], off
	s_cselect_b32 s4, s6, s42
	global_load_u16 v19, v[21:22], off
	s_ashr_i32 s5, s4, 31
	s_add_i32 s6, s43, 0xfffff980
	s_lshl_b64 s[10:11], s[4:5], 1
	s_cmp_lt_i32 s6, s41
	s_clause 0x3
	global_load_u16 v20, v[5:6], off
	global_load_u16 v21, v[7:8], off
	;; [unrolled: 1-line block ×4, first 2 shown]
	s_cselect_b32 s4, s6, s42
	s_add_i32 s6, s43, 0xfffffa00
	s_ashr_i32 s5, s4, 31
	v_add_co_u32 v15, vcc_lo, v1, s46
	s_lshl_b64 s[4:5], s[4:5], 1
	s_cmp_lt_i32 s6, s41
	v_add_co_ci_u32_e32 v16, vcc_lo, s47, v3, vcc_lo
	s_cselect_b32 s6, s6, s42
	s_add_i32 s18, s43, 0xfffffa80
	s_ashr_i32 s7, s6, 31
	v_add_co_u32 v5, vcc_lo, v1, s8
	s_lshl_b64 s[6:7], s[6:7], 1
	s_cmp_lt_i32 s18, s41
	v_add_co_ci_u32_e32 v6, vcc_lo, s9, v3, vcc_lo
	s_cselect_b32 s18, s18, s42
	v_add_co_u32 v7, vcc_lo, v1, s10
	s_ashr_i32 s19, s18, 31
	s_add_i32 s20, s43, 0xfffffb00
	s_lshl_b64 s[18:19], s[18:19], 1
	v_add_co_ci_u32_e32 v8, vcc_lo, s11, v3, vcc_lo
	s_cmp_lt_i32 s20, s41
	v_add_co_u32 v9, vcc_lo, v1, s4
	s_cselect_b32 s20, s20, s42
	v_add_co_ci_u32_e32 v10, vcc_lo, s5, v3, vcc_lo
	v_add_co_u32 v11, vcc_lo, v1, s6
	s_ashr_i32 s21, s20, 31
	s_add_i32 s22, s43, 0xfffffb80
	v_add_co_ci_u32_e32 v12, vcc_lo, s7, v3, vcc_lo
	global_load_u16 v15, v[15:16], off
	s_lshl_b64 s[20:21], s[20:21], 1
	s_cmp_lt_i32 s22, s41
	global_load_u16 v33, v[11:12], off
	s_cselect_b32 s22, s22, s42
	s_clause 0x2
	global_load_u16 v16, v[5:6], off
	global_load_u16 v31, v[7:8], off
	;; [unrolled: 1-line block ×3, first 2 shown]
	s_ashr_i32 s23, s22, 31
	s_add_i32 s24, s43, 0xfffffc00
	s_lshl_b64 s[22:23], s[22:23], 1
	s_cmp_lt_i32 s24, s41
	v_add_co_u32 v13, vcc_lo, v1, s18
	s_cselect_b32 s24, s24, s42
	s_add_i32 s26, s43, 0xfffffc80
	s_ashr_i32 s25, s24, 31
	v_add_co_ci_u32_e32 v14, vcc_lo, s19, v3, vcc_lo
	s_lshl_b64 s[24:25], s[24:25], 1
	s_cmp_lt_i32 s26, s41
	v_add_co_u32 v5, vcc_lo, v1, s20
	s_cselect_b32 s8, s26, s42
	v_add_co_ci_u32_e32 v6, vcc_lo, s21, v3, vcc_lo
	s_ashr_i32 s9, s8, 31
	v_add_co_u32 v7, vcc_lo, v1, s22
	s_add_i32 s10, s43, 0xfffffd00
	s_lshl_b64 s[8:9], s[8:9], 1
	v_add_co_ci_u32_e32 v8, vcc_lo, s23, v3, vcc_lo
	s_cmp_lt_i32 s10, s41
	v_add_co_u32 v9, vcc_lo, v1, s24
	s_cselect_b32 s4, s10, s42
	global_load_u16 v13, v[13:14], off
	v_add_co_ci_u32_e32 v10, vcc_lo, s25, v3, vcc_lo
	s_ashr_i32 s5, s4, 31
	s_add_i32 s6, s43, 0xfffffd80
	s_lshl_b64 s[4:5], s[4:5], 1
	global_load_u16 v35, v[9:10], off
	s_cmp_lt_i32 s6, s41
	s_clause 0x1
	global_load_u16 v14, v[5:6], off
	global_load_u16 v34, v[7:8], off
	s_cselect_b32 s6, s6, s42
	s_add_i32 s10, s43, 0xfffffe00
	s_ashr_i32 s7, s6, 31
	v_add_co_u32 v5, vcc_lo, v1, s8
	s_lshl_b64 s[6:7], s[6:7], 1
	s_cmp_lt_i32 s10, s41
	v_add_co_ci_u32_e32 v6, vcc_lo, s9, v3, vcc_lo
	s_cselect_b32 s10, s10, s42
	v_add_co_u32 v7, vcc_lo, v1, s4
	s_ashr_i32 s11, s10, 31
	v_add_co_ci_u32_e32 v8, vcc_lo, s5, v3, vcc_lo
	s_add_i32 s18, s43, 0xfffffe80
	s_lshl_b64 s[10:11], s[10:11], 1
	s_cmp_lt_i32 s18, s41
	s_clause 0x1
	global_load_u16 v36, v[5:6], off
	global_load_u16 v37, v[7:8], off
	s_cselect_b32 s18, s18, s42
	v_add_co_u32 v5, vcc_lo, v1, s6
	s_ashr_i32 s19, s18, 31
	v_add_co_ci_u32_e32 v6, vcc_lo, s7, v3, vcc_lo
	s_add_i32 s20, s43, 0xffffff00
	v_add_co_u32 v7, vcc_lo, v1, s10
	s_lshl_b64 s[8:9], s[18:19], 1
	s_cmp_lt_i32 s20, s41
	v_add_co_ci_u32_e32 v8, vcc_lo, s11, v3, vcc_lo
	s_cselect_b32 s4, s20, s42
	global_load_u16 v38, v[5:6], off
	s_ashr_i32 s5, s4, 31
	global_load_u16 v39, v[7:8], off
	s_add_i32 s18, s43, 0xffffff80
	v_add_co_u32 v5, vcc_lo, v1, s8
	s_lshl_b64 s[4:5], s[4:5], 1
	s_cmp_lt_i32 s18, s41
	v_add_co_ci_u32_e32 v6, vcc_lo, s9, v3, vcc_lo
	v_add_co_u32 v7, vcc_lo, v1, s4
	s_cselect_b32 s6, s18, s42
	v_add_co_ci_u32_e32 v8, vcc_lo, s5, v3, vcc_lo
	s_ashr_i32 s7, s6, 31
	global_load_u16 v40, v[5:6], off
	s_lshl_b64 s[6:7], s[6:7], 1
	global_load_u16 v41, v[7:8], off
	s_cmp_lt_i32 s43, s41
	v_add_co_u32 v5, vcc_lo, v1, s6
	s_cselect_b32 s4, s43, s42
	v_add_co_ci_u32_e32 v6, vcc_lo, s7, v3, vcc_lo
	s_ashr_i32 s5, s4, 31
	s_delay_alu instid0(SALU_CYCLE_1)
	s_lshl_b64 s[4:5], s[4:5], 1
	global_load_u16 v42, v[5:6], off
	v_add_co_u32 v5, vcc_lo, v1, s4
	v_add_co_ci_u32_e32 v6, vcc_lo, s5, v3, vcc_lo
	global_load_u16 v43, v[5:6], off
	ds_load_b128 v[5:8], v44
	ds_load_b128 v[9:12], v44 offset:16
	s_waitcnt vmcnt(31)
	v_lshlrev_b32_e32 v2, 16, v2
	s_waitcnt lgkmcnt(1)
	s_delay_alu instid0(VALU_DEP_1) | instskip(SKIP_2) | instid1(VALU_DEP_1)
	v_fmac_f32_e32 v4, v5, v2
	s_waitcnt vmcnt(30)
	v_lshlrev_b32_e32 v2, 16, v23
	v_fmac_f32_e32 v4, v6, v2
	s_waitcnt vmcnt(29)
	v_lshlrev_b32_e32 v2, 16, v24
	s_delay_alu instid0(VALU_DEP_1) | instskip(SKIP_2) | instid1(VALU_DEP_1)
	v_fmac_f32_e32 v4, v7, v2
	s_waitcnt vmcnt(28)
	v_lshlrev_b32_e32 v2, 16, v25
	v_fmac_f32_e32 v4, v8, v2
	ds_load_b128 v[5:8], v44 offset:32
	s_waitcnt vmcnt(27)
	v_lshlrev_b32_e32 v2, 16, v26
	s_waitcnt lgkmcnt(1)
	s_delay_alu instid0(VALU_DEP_1) | instskip(SKIP_2) | instid1(VALU_DEP_1)
	v_fmac_f32_e32 v4, v9, v2
	s_waitcnt vmcnt(26)
	v_lshlrev_b32_e32 v2, 16, v27
	v_fmac_f32_e32 v4, v10, v2
	s_waitcnt vmcnt(24)
	v_lshlrev_b32_e32 v2, 16, v28
	s_delay_alu instid0(VALU_DEP_1) | instskip(SKIP_1) | instid1(VALU_DEP_1)
	v_fmac_f32_e32 v4, v11, v2
	v_lshlrev_b32_e32 v2, 16, v17
	v_fmac_f32_e32 v4, v12, v2
	ds_load_b128 v[9:12], v44 offset:48
	s_waitcnt vmcnt(23)
	v_lshlrev_b32_e32 v2, 16, v18
	s_waitcnt lgkmcnt(1)
	s_delay_alu instid0(VALU_DEP_1) | instskip(SKIP_2) | instid1(VALU_DEP_1)
	v_fmac_f32_e32 v4, v5, v2
	s_waitcnt vmcnt(21)
	v_lshlrev_b32_e32 v2, 16, v19
	v_fmac_f32_e32 v4, v6, v2
	s_waitcnt vmcnt(20)
	v_lshlrev_b32_e32 v2, 16, v20
	s_delay_alu instid0(VALU_DEP_1) | instskip(SKIP_2) | instid1(VALU_DEP_1)
	v_fmac_f32_e32 v4, v7, v2
	s_waitcnt vmcnt(19)
	v_lshlrev_b32_e32 v2, 16, v21
	v_fmac_f32_e32 v4, v8, v2
	s_waitcnt vmcnt(18)
	v_lshlrev_b32_e32 v2, 16, v22
	ds_load_b128 v[5:8], v44 offset:64
	s_waitcnt lgkmcnt(1)
	v_fmac_f32_e32 v4, v9, v2
	s_waitcnt vmcnt(17)
	v_lshlrev_b32_e32 v2, 16, v29
	s_delay_alu instid0(VALU_DEP_1) | instskip(SKIP_1) | instid1(VALU_DEP_1)
	v_fmac_f32_e32 v4, v10, v2
	v_lshlrev_b32_e32 v2, 16, v30
	v_fmac_f32_e32 v4, v11, v2
	s_waitcnt vmcnt(16)
	v_lshlrev_b32_e32 v2, 16, v15
	s_delay_alu instid0(VALU_DEP_1) | instskip(SKIP_4) | instid1(VALU_DEP_1)
	v_fmac_f32_e32 v4, v12, v2
	ds_load_b128 v[9:12], v44 offset:80
	s_waitcnt vmcnt(14)
	v_lshlrev_b32_e32 v2, 16, v16
	s_waitcnt lgkmcnt(1)
	v_fmac_f32_e32 v4, v5, v2
	s_waitcnt vmcnt(13)
	v_lshlrev_b32_e32 v2, 16, v31
	s_delay_alu instid0(VALU_DEP_1) | instskip(SKIP_2) | instid1(VALU_DEP_1)
	v_fmac_f32_e32 v4, v6, v2
	s_waitcnt vmcnt(12)
	v_lshlrev_b32_e32 v2, 16, v32
	v_fmac_f32_e32 v4, v7, v2
	v_lshlrev_b32_e32 v2, 16, v33
	s_delay_alu instid0(VALU_DEP_1) | instskip(SKIP_4) | instid1(VALU_DEP_1)
	v_fmac_f32_e32 v4, v8, v2
	ds_load_b128 v[5:8], v44 offset:96
	s_waitcnt vmcnt(11)
	v_lshlrev_b32_e32 v2, 16, v13
	s_waitcnt lgkmcnt(1)
	v_fmac_f32_e32 v4, v9, v2
	s_waitcnt vmcnt(9)
	v_lshlrev_b32_e32 v2, 16, v14
	s_delay_alu instid0(VALU_DEP_1) | instskip(SKIP_2) | instid1(VALU_DEP_1)
	v_fmac_f32_e32 v4, v10, v2
	s_waitcnt vmcnt(8)
	v_lshlrev_b32_e32 v2, 16, v34
	v_fmac_f32_e32 v4, v11, v2
	;; [unrolled: 15-line block ×3, first 2 shown]
	s_waitcnt vmcnt(4)
	v_lshlrev_b32_e32 v2, 16, v39
	s_delay_alu instid0(VALU_DEP_1) | instskip(SKIP_3) | instid1(VALU_DEP_1)
	v_fmac_f32_e32 v4, v8, v2
	s_waitcnt vmcnt(3)
	v_lshlrev_b32_e32 v2, 16, v40
	s_waitcnt lgkmcnt(0)
	v_fmac_f32_e32 v4, v9, v2
	s_waitcnt vmcnt(2)
	v_lshlrev_b32_e32 v2, 16, v41
	s_delay_alu instid0(VALU_DEP_1) | instskip(SKIP_2) | instid1(VALU_DEP_1)
	v_fmac_f32_e32 v4, v10, v2
	s_waitcnt vmcnt(1)
	v_lshlrev_b32_e32 v2, 16, v42
	v_fmac_f32_e32 v4, v11, v2
	s_waitcnt vmcnt(0)
	v_lshlrev_b32_e32 v2, 16, v43
	s_delay_alu instid0(VALU_DEP_1)
	v_fmac_f32_e32 v4, v12, v2
	s_branch .LBB607_14
.LBB607_17:
	v_mov_b32_e32 v1, 0
	s_and_b32 vcc_lo, exec_lo, s15
	ds_load_b32 v1, v1 offset:1280
	s_cbranch_vccz .LBB607_19
; %bb.18:
	s_add_u32 s2, s12, s16
	s_addc_u32 s3, s13, s17
	s_load_b32 s2, s[2:3], 0x0
	s_mov_b32 s3, 0
.LBB607_19:
	s_waitcnt lgkmcnt(0)
	v_add_f32_e32 v1, 0x358637bd, v1
	s_delay_alu instid0(VALU_DEP_1) | instskip(NEXT) | instid1(VALU_DEP_1)
	v_div_scale_f32 v2, null, v1, v1, 1.0
	v_rcp_f32_e32 v3, v2
	s_waitcnt_depctr 0xfff
	v_fma_f32 v5, -v2, v3, 1.0
	s_delay_alu instid0(VALU_DEP_1) | instskip(SKIP_1) | instid1(VALU_DEP_1)
	v_fmac_f32_e32 v3, v5, v3
	v_div_scale_f32 v5, vcc_lo, 1.0, v1, 1.0
	v_mul_f32_e32 v6, v5, v3
	s_delay_alu instid0(VALU_DEP_1) | instskip(NEXT) | instid1(VALU_DEP_1)
	v_fma_f32 v7, -v2, v6, v5
	v_fmac_f32_e32 v6, v7, v3
	s_delay_alu instid0(VALU_DEP_1) | instskip(NEXT) | instid1(VALU_DEP_1)
	v_fma_f32 v2, -v2, v6, v5
	v_div_fmas_f32 v2, v2, v3, v6
	s_delay_alu instid0(VALU_DEP_1) | instskip(NEXT) | instid1(VALU_DEP_1)
	v_div_fixup_f32 v1, v2, v1, 1.0
	v_mul_f32_e32 v2, v4, v1
	s_delay_alu instid0(VALU_DEP_1) | instskip(NEXT) | instid1(VALU_DEP_1)
	v_and_b32_e32 v1, 0x7f800000, v2
	v_cmp_ne_u32_e32 vcc_lo, 0x7f800000, v1
                                        ; implicit-def: $vgpr1
	s_and_saveexec_b32 s4, vcc_lo
	s_delay_alu instid0(SALU_CYCLE_1)
	s_xor_b32 s4, exec_lo, s4
; %bb.20:
	v_bfe_u32 v1, v2, 16, 1
	s_delay_alu instid0(VALU_DEP_1)
	v_add3_u32 v1, v2, v1, 0x7fff
                                        ; implicit-def: $vgpr2
; %bb.21:
	s_and_not1_saveexec_b32 s4, s4
; %bb.22:
	v_and_b32_e32 v1, 0xffff, v2
	v_or_b32_e32 v3, 0x10000, v2
	s_delay_alu instid0(VALU_DEP_2) | instskip(NEXT) | instid1(VALU_DEP_2)
	v_cmp_eq_u32_e32 vcc_lo, 0, v1
	v_cndmask_b32_e32 v1, v3, v2, vcc_lo
; %bb.23:
	s_or_b32 exec_lo, exec_lo, s4
	s_mul_i32 s3, s33, s3
	s_mul_hi_u32 s4, s33, s2
	s_mul_i32 s2, s33, s2
	s_add_i32 s3, s4, s3
	s_mov_b32 s15, 0
	s_lshl_b64 s[2:3], s[2:3], 7
	v_and_b32_e32 v1, 0xffff0000, v1
	s_add_u32 s2, s0, s2
	s_addc_u32 s3, s1, s3
	s_lshl_b64 s[0:1], s[14:15], 7
	s_delay_alu instid0(SALU_CYCLE_1)
	s_add_u32 s0, s2, s0
	s_addc_u32 s1, s3, s1
	v_add_co_u32 v0, s0, s0, v0
	v_cvt_i32_f32_e32 v2, v1
	v_add_co_ci_u32_e64 v1, null, s1, 0, s0
	global_store_b8 v[0:1], v2, off
	s_nop 0
	s_sendmsg sendmsg(MSG_DEALLOC_VGPRS)
	s_endpgm
.LBB607_24:
	s_mov_b32 s4, 0
	s_branch .LBB607_2
	.section	.rodata,"a",@progbits
	.p2align	6, 0x0
	.amdhsa_kernel _Z35paged_attention_ll4mi_reduce_kernelI14__hip_bfloat16hLi128ELi128ELi256ELi10EEvPT0_PKfS4_PKT_PKiS9_iS4_
		.amdhsa_group_segment_fixed_size 1284
		.amdhsa_private_segment_fixed_size 0
		.amdhsa_kernarg_size 320
		.amdhsa_user_sgpr_count 14
		.amdhsa_user_sgpr_dispatch_ptr 0
		.amdhsa_user_sgpr_queue_ptr 0
		.amdhsa_user_sgpr_kernarg_segment_ptr 1
		.amdhsa_user_sgpr_dispatch_id 0
		.amdhsa_user_sgpr_private_segment_size 0
		.amdhsa_wavefront_size32 1
		.amdhsa_uses_dynamic_stack 0
		.amdhsa_enable_private_segment 0
		.amdhsa_system_sgpr_workgroup_id_x 1
		.amdhsa_system_sgpr_workgroup_id_y 1
		.amdhsa_system_sgpr_workgroup_id_z 0
		.amdhsa_system_sgpr_workgroup_info 0
		.amdhsa_system_vgpr_workitem_id 0
		.amdhsa_next_free_vgpr 57
		.amdhsa_next_free_sgpr 49
		.amdhsa_reserve_vcc 1
		.amdhsa_float_round_mode_32 0
		.amdhsa_float_round_mode_16_64 0
		.amdhsa_float_denorm_mode_32 3
		.amdhsa_float_denorm_mode_16_64 3
		.amdhsa_dx10_clamp 1
		.amdhsa_ieee_mode 1
		.amdhsa_fp16_overflow 0
		.amdhsa_workgroup_processor_mode 1
		.amdhsa_memory_ordered 1
		.amdhsa_forward_progress 0
		.amdhsa_shared_vgpr_count 0
		.amdhsa_exception_fp_ieee_invalid_op 0
		.amdhsa_exception_fp_denorm_src 0
		.amdhsa_exception_fp_ieee_div_zero 0
		.amdhsa_exception_fp_ieee_overflow 0
		.amdhsa_exception_fp_ieee_underflow 0
		.amdhsa_exception_fp_ieee_inexact 0
		.amdhsa_exception_int_div_zero 0
	.end_amdhsa_kernel
	.section	.text._Z35paged_attention_ll4mi_reduce_kernelI14__hip_bfloat16hLi128ELi128ELi256ELi10EEvPT0_PKfS4_PKT_PKiS9_iS4_,"axG",@progbits,_Z35paged_attention_ll4mi_reduce_kernelI14__hip_bfloat16hLi128ELi128ELi256ELi10EEvPT0_PKfS4_PKT_PKiS9_iS4_,comdat
.Lfunc_end607:
	.size	_Z35paged_attention_ll4mi_reduce_kernelI14__hip_bfloat16hLi128ELi128ELi256ELi10EEvPT0_PKfS4_PKT_PKiS9_iS4_, .Lfunc_end607-_Z35paged_attention_ll4mi_reduce_kernelI14__hip_bfloat16hLi128ELi128ELi256ELi10EEvPT0_PKfS4_PKT_PKiS9_iS4_
                                        ; -- End function
	.section	.AMDGPU.csdata,"",@progbits
; Kernel info:
; codeLenInByte = 7088
; NumSgprs: 51
; NumVgprs: 57
; ScratchSize: 0
; MemoryBound: 0
; FloatMode: 240
; IeeeMode: 1
; LDSByteSize: 1284 bytes/workgroup (compile time only)
; SGPRBlocks: 6
; VGPRBlocks: 7
; NumSGPRsForWavesPerEU: 51
; NumVGPRsForWavesPerEU: 57
; Occupancy: 16
; WaveLimiterHint : 0
; COMPUTE_PGM_RSRC2:SCRATCH_EN: 0
; COMPUTE_PGM_RSRC2:USER_SGPR: 14
; COMPUTE_PGM_RSRC2:TRAP_HANDLER: 0
; COMPUTE_PGM_RSRC2:TGID_X_EN: 1
; COMPUTE_PGM_RSRC2:TGID_Y_EN: 1
; COMPUTE_PGM_RSRC2:TGID_Z_EN: 0
; COMPUTE_PGM_RSRC2:TIDIG_COMP_CNT: 0
	.section	.text._Z35paged_attention_ll4mi_reduce_kernelI14__hip_bfloat16hLi128ELi128ELi256ELi11EEvPT0_PKfS4_PKT_PKiS9_iS4_,"axG",@progbits,_Z35paged_attention_ll4mi_reduce_kernelI14__hip_bfloat16hLi128ELi128ELi256ELi11EEvPT0_PKfS4_PKT_PKiS9_iS4_,comdat
	.protected	_Z35paged_attention_ll4mi_reduce_kernelI14__hip_bfloat16hLi128ELi128ELi256ELi11EEvPT0_PKfS4_PKT_PKiS9_iS4_ ; -- Begin function _Z35paged_attention_ll4mi_reduce_kernelI14__hip_bfloat16hLi128ELi128ELi256ELi11EEvPT0_PKfS4_PKT_PKiS9_iS4_
	.globl	_Z35paged_attention_ll4mi_reduce_kernelI14__hip_bfloat16hLi128ELi128ELi256ELi11EEvPT0_PKfS4_PKT_PKiS9_iS4_
	.p2align	8
	.type	_Z35paged_attention_ll4mi_reduce_kernelI14__hip_bfloat16hLi128ELi128ELi256ELi11EEvPT0_PKfS4_PKT_PKiS9_iS4_,@function
_Z35paged_attention_ll4mi_reduce_kernelI14__hip_bfloat16hLi128ELi128ELi256ELi11EEvPT0_PKfS4_PKT_PKiS9_iS4_: ; @_Z35paged_attention_ll4mi_reduce_kernelI14__hip_bfloat16hLi128ELi128ELi256ELi11EEvPT0_PKfS4_PKT_PKiS9_iS4_
; %bb.0:
	s_load_b64 s[12:13], s[0:1], 0x28
	s_mov_b32 s2, s15
	s_waitcnt lgkmcnt(0)
	s_cmp_lg_u64 s[12:13], 0
	s_cselect_b32 s15, -1, 0
	s_delay_alu instid0(SALU_CYCLE_1)
	s_and_b32 vcc_lo, exec_lo, s15
	s_cbranch_vccz .LBB608_24
; %bb.1:
	s_add_i32 s4, s2, 1
	s_mov_b32 s5, 0
	s_delay_alu instid0(SALU_CYCLE_1) | instskip(SKIP_4) | instid1(SALU_CYCLE_1)
	s_lshl_b64 s[6:7], s[4:5], 2
	s_mov_b32 s3, s5
	s_add_u32 s6, s12, s6
	s_addc_u32 s7, s13, s7
	s_lshl_b64 s[8:9], s[2:3], 2
	s_add_u32 s8, s12, s8
	s_addc_u32 s9, s13, s9
	s_clause 0x1
	s_load_b32 s4, s[6:7], 0x0
	s_load_b32 s6, s[8:9], 0x0
	s_waitcnt lgkmcnt(0)
	s_sub_i32 s4, s4, s6
	s_delay_alu instid0(SALU_CYCLE_1)
	s_cmp_eq_u32 s4, 1
	s_cselect_b32 s4, -1, 0
	s_cbranch_execnz .LBB608_3
.LBB608_2:
	s_mov_b32 s3, 0
	s_mov_b32 s4, -1
.LBB608_3:
	s_delay_alu instid0(SALU_CYCLE_1)
	s_and_not1_b32 vcc_lo, exec_lo, s4
	s_cbranch_vccz .LBB608_5
; %bb.4:
	s_endpgm
.LBB608_5:
	s_clause 0x1
	s_load_b128 s[4:7], s[0:1], 0x18
	s_load_b32 s9, s[0:1], 0x30
	s_lshl_b64 s[16:17], s[2:3], 2
	s_waitcnt lgkmcnt(0)
	s_add_u32 s6, s6, s16
	s_addc_u32 s7, s7, s17
	s_load_b32 s23, s[6:7], 0x0
	s_load_b32 s33, s[0:1], 0x40
	s_mul_i32 s7, s2, s9
	s_waitcnt lgkmcnt(0)
	s_add_i32 s22, s23, 0xff
	s_delay_alu instid0(SALU_CYCLE_1) | instskip(NEXT) | instid1(SALU_CYCLE_1)
	s_ashr_i32 s6, s22, 31
	s_lshr_b32 s6, s6, 24
	s_delay_alu instid0(SALU_CYCLE_1) | instskip(SKIP_4) | instid1(SALU_CYCLE_1)
	s_add_i32 s8, s22, s6
	s_mul_i32 s6, s14, s9
	s_mov_b32 s9, exec_lo
	v_cmpx_lt_u32_e32 31, v0
	s_xor_b32 s9, exec_lo, s9
	s_or_saveexec_b32 s24, s9
	v_mov_b32_e32 v1, s6
	s_ashr_i32 s40, s8, 8
	s_mul_i32 s18, s7, s33
	s_xor_b32 exec_lo, exec_lo, s24
	s_cbranch_execz .LBB608_9
; %bb.6:
	v_or_b32_e32 v2, 32, v0
	v_cmp_gt_i32_e32 vcc_lo, s40, v0
	s_add_i32 s20, s40, -1
	v_or_b32_e32 v4, 64, v0
	v_or_b32_e32 v6, 0xa0, v0
	s_load_b128 s[8:11], s[0:1], 0x8
	v_cndmask_b32_e32 v1, s20, v0, vcc_lo
	v_cmp_gt_i32_e32 vcc_lo, s40, v2
	s_mov_b32 s19, 0
	s_delay_alu instid0(SALU_CYCLE_1)
	s_mov_b32 s7, s19
	v_cndmask_b32_e32 v3, s20, v2, vcc_lo
	v_or_b32_e32 v2, 0x60, v0
	v_cmp_gt_i32_e32 vcc_lo, s40, v4
	v_cndmask_b32_e32 v5, s20, v4, vcc_lo
	v_or_b32_e32 v4, 0x80, v0
	s_delay_alu instid0(VALU_DEP_4) | instskip(SKIP_1) | instid1(VALU_DEP_3)
	v_cmp_gt_i32_e32 vcc_lo, s40, v2
	v_cndmask_b32_e32 v7, s20, v2, vcc_lo
	v_cmp_gt_i32_e32 vcc_lo, s40, v4
	v_or_b32_e32 v2, 0xc0, v0
	s_delay_alu instid0(VALU_DEP_3) | instskip(SKIP_3) | instid1(VALU_DEP_4)
	v_ashrrev_i32_e32 v8, 31, v7
	v_cndmask_b32_e32 v9, s20, v4, vcc_lo
	v_cmp_gt_i32_e32 vcc_lo, s40, v6
	v_or_b32_e32 v4, 0xe0, v0
	v_lshlrev_b64 v[7:8], 2, v[7:8]
	s_delay_alu instid0(VALU_DEP_4) | instskip(SKIP_3) | instid1(VALU_DEP_4)
	v_ashrrev_i32_e32 v10, 31, v9
	v_cndmask_b32_e32 v11, s20, v6, vcc_lo
	v_cmp_gt_i32_e32 vcc_lo, s40, v2
	v_or_b32_e32 v6, 0x120, v0
	v_lshlrev_b64 v[9:10], 2, v[9:10]
	s_delay_alu instid0(VALU_DEP_4) | instskip(SKIP_3) | instid1(VALU_DEP_4)
	v_ashrrev_i32_e32 v12, 31, v11
	v_cndmask_b32_e32 v13, s20, v2, vcc_lo
	v_or_b32_e32 v2, 0x100, v0
	v_cmp_gt_i32_e32 vcc_lo, s40, v4
	v_lshlrev_b64 v[11:12], 2, v[11:12]
	s_delay_alu instid0(VALU_DEP_4) | instskip(SKIP_3) | instid1(VALU_DEP_4)
	v_ashrrev_i32_e32 v14, 31, v13
	v_cndmask_b32_e32 v15, s20, v4, vcc_lo
	v_cmp_gt_i32_e32 vcc_lo, s40, v2
	v_or_b32_e32 v4, 0x140, v0
	v_lshlrev_b64 v[13:14], 2, v[13:14]
	s_delay_alu instid0(VALU_DEP_4) | instskip(SKIP_3) | instid1(VALU_DEP_4)
	v_ashrrev_i32_e32 v16, 31, v15
	v_cndmask_b32_e32 v17, s20, v2, vcc_lo
	v_cmp_gt_i32_e32 vcc_lo, s40, v6
	v_ashrrev_i32_e32 v2, 31, v1
	v_lshlrev_b64 v[15:16], 2, v[15:16]
	s_delay_alu instid0(VALU_DEP_4)
	v_ashrrev_i32_e32 v18, 31, v17
	v_cndmask_b32_e32 v19, s20, v6, vcc_lo
	v_cmp_gt_i32_e32 vcc_lo, s40, v4
	v_lshlrev_b64 v[1:2], 2, v[1:2]
	v_ashrrev_i32_e32 v6, 31, v5
	v_lshlrev_b64 v[17:18], 2, v[17:18]
	v_ashrrev_i32_e32 v20, 31, v19
	v_cndmask_b32_e32 v21, s20, v4, vcc_lo
	v_ashrrev_i32_e32 v4, 31, v3
	s_lshl_b64 s[20:21], s[18:19], 2
	v_lshlrev_b64 v[5:6], 2, v[5:6]
	s_waitcnt lgkmcnt(0)
	s_add_u32 s19, s10, s20
	s_addc_u32 s25, s11, s21
	s_lshl_b64 s[10:11], s[6:7], 2
	v_lshlrev_b64 v[3:4], 2, v[3:4]
	s_add_u32 s7, s19, s10
	s_addc_u32 s19, s25, s11
	v_add_co_u32 v22, vcc_lo, s7, v1
	v_add_co_ci_u32_e32 v23, vcc_lo, s19, v2, vcc_lo
	s_delay_alu instid0(VALU_DEP_3)
	v_add_co_u32 v24, vcc_lo, s7, v3
	v_add_co_ci_u32_e32 v25, vcc_lo, s19, v4, vcc_lo
	v_add_co_u32 v26, vcc_lo, s7, v5
	v_add_co_ci_u32_e32 v27, vcc_lo, s19, v6, vcc_lo
	;; [unrolled: 2-line block ×5, first 2 shown]
	v_add_co_u32 v34, vcc_lo, s7, v13
	s_clause 0x2
	global_load_b32 v38, v[22:23], off
	global_load_b32 v39, v[24:25], off
	global_load_b32 v40, v[26:27], off
	v_ashrrev_i32_e32 v22, 31, v21
	v_add_co_ci_u32_e32 v35, vcc_lo, s19, v14, vcc_lo
	v_add_co_u32 v36, vcc_lo, s7, v15
	v_lshlrev_b64 v[19:20], 2, v[19:20]
	v_add_co_ci_u32_e32 v37, vcc_lo, s19, v16, vcc_lo
	v_add_co_u32 v23, vcc_lo, s7, v17
	v_lshlrev_b64 v[21:22], 2, v[21:22]
	s_clause 0x4
	global_load_b32 v29, v[28:29], off
	global_load_b32 v30, v[30:31], off
	;; [unrolled: 1-line block ×5, first 2 shown]
	v_add_co_ci_u32_e32 v24, vcc_lo, s19, v18, vcc_lo
	v_add_co_u32 v25, vcc_lo, s7, v19
	v_add_co_ci_u32_e32 v26, vcc_lo, s19, v20, vcc_lo
	v_add_co_u32 v27, vcc_lo, s7, v21
	v_add_co_ci_u32_e32 v28, vcc_lo, s19, v22, vcc_lo
	s_clause 0x2
	global_load_b32 v23, v[23:24], off
	global_load_b32 v24, v[25:26], off
	;; [unrolled: 1-line block ×3, first 2 shown]
	s_add_u32 s7, s8, s20
	s_addc_u32 s8, s9, s21
	s_add_u32 s7, s7, s10
	s_addc_u32 s8, s8, s11
	v_add_co_u32 v1, vcc_lo, s7, v1
	v_add_co_ci_u32_e32 v2, vcc_lo, s8, v2, vcc_lo
	v_add_co_u32 v3, vcc_lo, s7, v3
	v_add_co_ci_u32_e32 v4, vcc_lo, s8, v4, vcc_lo
	;; [unrolled: 2-line block ×8, first 2 shown]
	s_clause 0x7
	global_load_b32 v34, v[1:2], off
	global_load_b32 v3, v[3:4], off
	;; [unrolled: 1-line block ×8, first 2 shown]
	v_mbcnt_lo_u32_b32 v26, -1, 0
	s_delay_alu instid0(VALU_DEP_1) | instskip(SKIP_2) | instid1(VALU_DEP_3)
	v_xor_b32_e32 v27, 16, v26
	v_xor_b32_e32 v14, 8, v26
	;; [unrolled: 1-line block ×3, first 2 shown]
	v_cmp_gt_i32_e32 vcc_lo, 32, v27
	v_cndmask_b32_e32 v1, v26, v27, vcc_lo
	s_delay_alu instid0(VALU_DEP_1)
	v_lshlrev_b32_e32 v10, 2, v1
	v_add_co_u32 v1, vcc_lo, s7, v17
	v_xor_b32_e32 v17, 1, v26
	s_waitcnt vmcnt(16)
	v_max3_f32 v28, v38, v39, v40
	s_waitcnt vmcnt(14)
	s_delay_alu instid0(VALU_DEP_1) | instskip(SKIP_1) | instid1(VALU_DEP_1)
	v_max3_f32 v28, v28, v29, v30
	s_waitcnt vmcnt(12)
	v_max3_f32 v28, v28, v31, v32
	s_waitcnt vmcnt(10)
	s_delay_alu instid0(VALU_DEP_1) | instskip(SKIP_1) | instid1(VALU_DEP_1)
	v_max3_f32 v2, v28, v33, v23
	s_waitcnt vmcnt(8)
	v_max3_f32 v11, v2, v24, v25
	v_add_co_ci_u32_e32 v2, vcc_lo, s8, v18, vcc_lo
	ds_bpermute_b32 v12, v10, v11
	global_load_b32 v13, v[1:2], off
	v_add_co_u32 v1, vcc_lo, s7, v19
	v_add_co_ci_u32_e32 v2, vcc_lo, s8, v20, vcc_lo
	v_cmp_gt_i32_e32 vcc_lo, 32, v14
	global_load_b32 v15, v[1:2], off
	s_waitcnt lgkmcnt(0)
	v_max_f32_e32 v12, v12, v12
	v_cndmask_b32_e32 v14, v26, v14, vcc_lo
	v_add_co_u32 v1, vcc_lo, s7, v21
	v_add_co_ci_u32_e32 v2, vcc_lo, s8, v22, vcc_lo
	s_delay_alu instid0(VALU_DEP_3)
	v_dual_max_f32 v11, v11, v12 :: v_dual_lshlrev_b32 v14, 2, v14
	v_xor_b32_e32 v12, 4, v26
	global_load_b32 v1, v[1:2], off
	s_mov_b32 s7, exec_lo
	ds_bpermute_b32 v2, v14, v11
	v_cmp_gt_i32_e32 vcc_lo, 32, v12
	v_cndmask_b32_e32 v12, v26, v12, vcc_lo
	v_cmp_gt_i32_e32 vcc_lo, 32, v16
	s_delay_alu instid0(VALU_DEP_2) | instskip(SKIP_2) | instid1(VALU_DEP_2)
	v_lshlrev_b32_e32 v12, 2, v12
	v_cndmask_b32_e32 v16, v26, v16, vcc_lo
	v_cmp_gt_i32_e32 vcc_lo, 32, v17
	v_dual_cndmask_b32 v17, v26, v17 :: v_dual_lshlrev_b32 v16, 2, v16
	s_waitcnt lgkmcnt(0)
	s_delay_alu instid0(VALU_DEP_1) | instskip(NEXT) | instid1(VALU_DEP_1)
	v_dual_max_f32 v2, v2, v2 :: v_dual_lshlrev_b32 v17, 2, v17
	v_max_f32_e32 v2, v11, v2
	ds_bpermute_b32 v11, v12, v2
	s_waitcnt lgkmcnt(0)
	v_max_f32_e32 v11, v11, v11
	s_delay_alu instid0(VALU_DEP_1) | instskip(SKIP_3) | instid1(VALU_DEP_1)
	v_max_f32_e32 v2, v2, v11
	ds_bpermute_b32 v11, v16, v2
	s_waitcnt lgkmcnt(0)
	v_max_f32_e32 v11, v11, v11
	v_max_f32_e32 v2, v2, v11
	ds_bpermute_b32 v11, v17, v2
	s_waitcnt lgkmcnt(0)
	v_max_f32_e32 v11, v11, v11
	s_delay_alu instid0(VALU_DEP_1) | instskip(SKIP_1) | instid1(VALU_DEP_2)
	v_max_f32_e32 v2, v2, v11
	v_sub_nc_u32_e32 v11, s40, v0
	v_sub_f32_e32 v28, v33, v2
	v_sub_f32_e32 v20, v40, v2
	;; [unrolled: 1-line block ×4, first 2 shown]
	s_delay_alu instid0(VALU_DEP_4)
	v_dual_sub_f32 v21, v29, v2 :: v_dual_mul_f32 v36, 0x3fb8aa3b, v28
	v_sub_f32_e32 v22, v30, v2
	v_mul_f32_e32 v30, 0x3fb8aa3b, v20
	v_dual_sub_f32 v24, v24, v2 :: v_dual_mul_f32 v29, 0x3fb8aa3b, v19
	v_sub_f32_e32 v26, v31, v2
	v_sub_f32_e32 v27, v32, v2
	s_delay_alu instid0(VALU_DEP_4) | instskip(NEXT) | instid1(VALU_DEP_4)
	v_fma_f32 v44, 0x3fb8aa3b, v20, -v30
	v_mul_f32_e32 v38, 0x3fb8aa3b, v24
	v_fma_f32 v42, 0x3fb8aa3b, v19, -v29
	v_sub_f32_e32 v23, v23, v2
	v_dual_sub_f32 v2, v25, v2 :: v_dual_mul_f32 v31, 0x3fb8aa3b, v21
	v_rndne_f32_e32 v43, v29
	v_rndne_f32_e32 v45, v30
	v_mul_f32_e32 v25, 0x3fb8aa3b, v18
	v_fmac_f32_e32 v42, 0x32a5705f, v19
	s_delay_alu instid0(VALU_DEP_4) | instskip(NEXT) | instid1(VALU_DEP_4)
	v_dual_fmac_f32 v44, 0x32a5705f, v20 :: v_dual_sub_f32 v29, v29, v43
	v_dual_sub_f32 v30, v30, v45 :: v_dual_mul_f32 v37, 0x3fb8aa3b, v23
	s_delay_alu instid0(VALU_DEP_4) | instskip(SKIP_2) | instid1(VALU_DEP_4)
	v_fma_f32 v40, 0x3fb8aa3b, v18, -v25
	v_rndne_f32_e32 v41, v25
	v_dual_mul_f32 v32, 0x3fb8aa3b, v22 :: v_dual_mul_f32 v35, 0x3fb8aa3b, v27
	v_add_f32_e32 v30, v30, v44
	v_fma_f32 v56, 0x3fb8aa3b, v23, -v37
	s_delay_alu instid0(VALU_DEP_4) | instskip(NEXT) | instid1(VALU_DEP_4)
	v_dual_fmac_f32 v40, 0x32a5705f, v18 :: v_dual_sub_f32 v25, v25, v41
	v_fma_f32 v48, 0x3fb8aa3b, v22, -v32
	v_rndne_f32_e32 v49, v32
	v_mul_f32_e32 v33, 0x3fb8aa3b, v26
	v_fma_f32 v54, 0x3fb8aa3b, v28, -v36
	v_dual_fmac_f32 v56, 0x32a5705f, v23 :: v_dual_add_f32 v25, v25, v40
	v_fma_f32 v46, 0x3fb8aa3b, v21, -v31
	v_rndne_f32_e32 v47, v31
	v_rndne_f32_e32 v53, v35
	v_sub_f32_e32 v32, v32, v49
	v_fma_f32 v50, 0x3fb8aa3b, v26, -v33
	v_rndne_f32_e32 v51, v33
	v_fmac_f32_e32 v48, 0x32a5705f, v22
	v_dual_fmac_f32 v54, 0x32a5705f, v28 :: v_dual_add_f32 v29, v29, v42
	v_exp_f32_e32 v25, v25
	v_fma_f32 v52, 0x3fb8aa3b, v27, -v35
	v_rndne_f32_e32 v55, v36
	v_fma_f32 v58, 0x3fb8aa3b, v24, -v38
	v_cvt_i32_f32_e32 v41, v41
	v_dual_fmac_f32 v46, 0x32a5705f, v21 :: v_dual_sub_f32 v31, v31, v47
	v_dual_fmac_f32 v50, 0x32a5705f, v26 :: v_dual_sub_f32 v35, v35, v53
	v_dual_sub_f32 v33, v33, v51 :: v_dual_add_f32 v32, v32, v48
	v_exp_f32_e32 v29, v29
	v_exp_f32_e32 v30, v30
	v_dual_mul_f32 v39, 0x3fb8aa3b, v2 :: v_dual_sub_f32 v36, v36, v55
	v_rndne_f32_e32 v57, v37
	v_cvt_i32_f32_e32 v43, v43
	v_cvt_i32_f32_e32 v45, v45
	v_fmac_f32_e32 v52, 0x32a5705f, v27
	v_dual_fmac_f32 v58, 0x32a5705f, v24 :: v_dual_add_f32 v31, v31, v46
	v_add_f32_e32 v33, v33, v50
	v_exp_f32_e32 v32, v32
	v_ldexp_f32 v25, v25, v41
	v_cmp_ngt_f32_e32 vcc_lo, 0xc2ce8ed0, v18
	v_cvt_i32_f32_e32 v49, v49
	v_sub_f32_e32 v37, v37, v57
	v_dual_add_f32 v35, v35, v52 :: v_dual_add_f32 v36, v36, v54
	v_exp_f32_e32 v31, v31
	v_ldexp_f32 v29, v29, v43
	v_ldexp_f32 v30, v30, v45
	v_cndmask_b32_e32 v25, 0, v25, vcc_lo
	v_cmp_ngt_f32_e32 vcc_lo, 0xc2ce8ed0, v19
	v_cvt_i32_f32_e32 v47, v47
	v_exp_f32_e32 v36, v36
	v_ldexp_f32 v32, v32, v49
	v_cvt_i32_f32_e32 v55, v55
	v_cndmask_b32_e32 v29, 0, v29, vcc_lo
	v_cmp_ngt_f32_e32 vcc_lo, 0xc2ce8ed0, v20
	v_exp_f32_e32 v33, v33
	v_ldexp_f32 v31, v31, v47
	v_cvt_i32_f32_e32 v51, v51
	v_exp_f32_e32 v35, v35
	v_cndmask_b32_e32 v30, 0, v30, vcc_lo
	v_cmp_ngt_f32_e32 vcc_lo, 0xc2ce8ed0, v21
	v_ldexp_f32 v36, v36, v55
	v_cvt_i32_f32_e32 v53, v53
	v_rndne_f32_e32 v59, v38
	v_add_f32_e32 v37, v37, v56
	v_cndmask_b32_e32 v31, 0, v31, vcc_lo
	v_cmp_ngt_f32_e32 vcc_lo, 0xc2ce8ed0, v22
	v_ldexp_f32 v33, v33, v51
	v_ldexp_f32 v35, v35, v53
	v_sub_f32_e32 v38, v38, v59
	v_fma_f32 v60, 0x3fb8aa3b, v2, -v39
	v_cndmask_b32_e32 v32, 0, v32, vcc_lo
	v_cmp_ngt_f32_e32 vcc_lo, 0xc2ce8ed0, v26
	v_exp_f32_e32 v37, v37
	v_rndne_f32_e32 v61, v39
	v_cvt_i32_f32_e32 v57, v57
	v_dual_fmac_f32 v60, 0x32a5705f, v2 :: v_dual_cndmask_b32 v33, 0, v33
	v_cmp_ngt_f32_e32 vcc_lo, 0xc2ce8ed0, v27
	v_cndmask_b32_e32 v35, 0, v35, vcc_lo
	v_cmp_ngt_f32_e32 vcc_lo, 0xc2ce8ed0, v28
	v_cndmask_b32_e32 v36, 0, v36, vcc_lo
	v_cmp_nlt_f32_e32 vcc_lo, 0x42b17218, v18
	v_cndmask_b32_e32 v18, 0x7f800000, v25, vcc_lo
	v_cmp_nlt_f32_e32 vcc_lo, 0x42b17218, v19
	;; [unrolled: 2-line block ×8, first 2 shown]
	v_cndmask_b32_e32 v27, 0x7f800000, v36, vcc_lo
	v_cmp_lt_i32_e32 vcc_lo, 0, v11
	v_cndmask_b32_e32 v18, 0, v18, vcc_lo
	v_cmp_lt_i32_e32 vcc_lo, 32, v11
	s_waitcnt vmcnt(10)
	s_delay_alu instid0(VALU_DEP_2) | instskip(SKIP_4) | instid1(VALU_DEP_2)
	v_dual_mul_f32 v18, v34, v18 :: v_dual_cndmask_b32 v19, 0, v19
	v_cmp_lt_i32_e32 vcc_lo, 64, v11
	v_cndmask_b32_e32 v20, 0, v20, vcc_lo
	v_cmp_lt_i32_e32 vcc_lo, 0x60, v11
	s_waitcnt vmcnt(8)
	v_dual_mul_f32 v4, v4, v20 :: v_dual_cndmask_b32 v21, 0, v21
	v_cmp_lt_i32_e32 vcc_lo, 0x80, v11
	v_ldexp_f32 v20, v37, v57
	v_cndmask_b32_e32 v22, 0, v22, vcc_lo
	v_cmp_lt_i32_e32 vcc_lo, 0xa0, v11
	v_mul_f32_e32 v3, v3, v19
	v_add_f32_e32 v19, v38, v58
	s_waitcnt vmcnt(6)
	v_dual_mul_f32 v6, v6, v22 :: v_dual_cndmask_b32 v25, 0, v25
	v_cmp_lt_i32_e32 vcc_lo, 0xc0, v11
	v_add_f32_e32 v22, v18, v3
	v_exp_f32_e32 v19, v19
	s_waitcnt vmcnt(5)
	v_dual_mul_f32 v7, v7, v25 :: v_dual_cndmask_b32 v26, 0, v26
	v_cmp_lt_i32_e32 vcc_lo, 0xe0, v11
	v_mul_f32_e32 v5, v5, v21
	v_dual_sub_f32 v21, v39, v61 :: v_dual_add_f32 v22, v22, v4
	s_waitcnt vmcnt(4)
	v_dual_mul_f32 v8, v8, v26 :: v_dual_cndmask_b32 v27, 0, v27
	v_cmp_ngt_f32_e32 vcc_lo, 0xc2ce8ed0, v23
	s_delay_alu instid0(VALU_DEP_3)
	v_dual_add_f32 v21, v21, v60 :: v_dual_add_f32 v22, v22, v5
	v_cvt_i32_f32_e32 v25, v59
	s_waitcnt vmcnt(3)
	v_dual_cndmask_b32 v20, 0, v20 :: v_dual_mul_f32 v9, v9, v27
	v_cmp_nlt_f32_e32 vcc_lo, 0x42b17218, v23
	v_exp_f32_e32 v21, v21
	v_add_f32_e32 v22, v22, v6
	v_ldexp_f32 v19, v19, v25
	v_cvt_i32_f32_e32 v23, v61
	v_cndmask_b32_e32 v20, 0x7f800000, v20, vcc_lo
	v_cmp_lt_i32_e32 vcc_lo, 0x100, v11
	s_delay_alu instid0(VALU_DEP_2) | instskip(SKIP_3) | instid1(VALU_DEP_3)
	v_cndmask_b32_e32 v20, 0, v20, vcc_lo
	v_cmp_ngt_f32_e32 vcc_lo, 0xc2ce8ed0, v24
	v_cndmask_b32_e32 v19, 0, v19, vcc_lo
	s_waitcnt vmcnt(2)
	v_mul_f32_e32 v13, v13, v20
	v_ldexp_f32 v20, v21, v23
	v_add_f32_e32 v21, v22, v7
	v_cmp_nlt_f32_e32 vcc_lo, 0x42b17218, v24
	s_delay_alu instid0(VALU_DEP_2) | instskip(SKIP_4) | instid1(VALU_DEP_4)
	v_add_f32_e32 v21, v21, v8
	v_cndmask_b32_e32 v19, 0x7f800000, v19, vcc_lo
	v_cmp_ngt_f32_e32 vcc_lo, 0xc2ce8ed0, v2
	v_cndmask_b32_e32 v20, 0, v20, vcc_lo
	v_cmp_lt_i32_e32 vcc_lo, 0x120, v11
	v_cndmask_b32_e32 v19, 0, v19, vcc_lo
	v_cmp_nlt_f32_e32 vcc_lo, 0x42b17218, v2
	s_waitcnt vmcnt(1)
	s_delay_alu instid0(VALU_DEP_2) | instskip(SKIP_1) | instid1(VALU_DEP_2)
	v_dual_mul_f32 v15, v15, v19 :: v_dual_cndmask_b32 v2, 0x7f800000, v20
	v_cmp_lt_i32_e32 vcc_lo, 0x140, v11
	v_cndmask_b32_e32 v2, 0, v2, vcc_lo
	v_add_f32_e32 v20, v21, v9
	s_waitcnt vmcnt(0)
	s_delay_alu instid0(VALU_DEP_2) | instskip(NEXT) | instid1(VALU_DEP_2)
	v_mul_f32_e32 v19, v1, v2
	v_add_f32_e32 v11, v20, v13
	s_delay_alu instid0(VALU_DEP_1) | instskip(NEXT) | instid1(VALU_DEP_1)
	v_add_f32_e32 v1, v11, v15
	v_add_f32_e32 v1, v1, v19
	ds_bpermute_b32 v2, v10, v1
	v_lshlrev_b32_e32 v10, 2, v0
	ds_store_2addr_b32 v10, v18, v3 offset1:32
	v_add_nc_u32_e32 v3, 0x400, v10
	ds_store_2addr_b32 v10, v4, v5 offset0:64 offset1:96
	ds_store_2addr_b32 v10, v6, v7 offset0:128 offset1:160
	;; [unrolled: 1-line block ×3, first 2 shown]
	ds_store_2addr_b32 v3, v13, v15 offset1:32
	ds_store_b32 v10, v19 offset:1280
	s_waitcnt lgkmcnt(6)
	v_add_f32_e32 v1, v1, v2
	ds_bpermute_b32 v2, v14, v1
	s_waitcnt lgkmcnt(0)
	v_add_f32_e32 v1, v1, v2
	ds_bpermute_b32 v2, v12, v1
	;; [unrolled: 3-line block ×4, first 2 shown]
	v_cmpx_eq_u32_e32 0, v0
	s_cbranch_execz .LBB608_8
; %bb.7:
	s_waitcnt lgkmcnt(0)
	v_dual_add_f32 v1, v1, v2 :: v_dual_mov_b32 v2, 0
	ds_store_b32 v2, v1 offset:1408
.LBB608_8:
	s_or_b32 exec_lo, exec_lo, s7
	v_mov_b32_e32 v1, s6
.LBB608_9:
	s_or_b32 exec_lo, exec_lo, s24
	s_lshl_b32 s6, s18, 7
	s_mov_b32 s7, 0
	s_waitcnt lgkmcnt(0)
	v_dual_mov_b32 v2, 0 :: v_dual_lshlrev_b32 v1, 7, v1
	s_lshl_b64 s[6:7], s[6:7], 1
	v_dual_mov_b32 v31, 0 :: v_dual_mov_b32 v32, 0
	s_add_u32 s34, s4, s6
	s_addc_u32 s35, s5, s7
	s_lshl_b32 s41, s40, 7
	v_lshlrev_b64 v[3:4], 1, v[1:2]
	s_add_i32 s42, s41, 0xffffff80
	s_cmpk_lt_i32 s22, 0x100
	v_lshlrev_b32_e32 v1, 1, v0
	s_cselect_b32 s4, s42, 0
	v_dual_mov_b32 v33, 0 :: v_dual_mov_b32 v34, 0
	s_ashr_i32 s5, s4, 31
	v_add_co_u32 v3, vcc_lo, s34, v3
	s_lshl_b64 s[4:5], s[4:5], 1
	s_cmpk_lt_i32 s22, 0x200
	v_add_co_ci_u32_e32 v4, vcc_lo, s35, v4, vcc_lo
	s_cselect_b32 s6, s42, 0x80
	v_add_co_u32 v1, vcc_lo, v3, v1
	s_ashr_i32 s7, s6, 31
	s_delay_alu instid0(VALU_DEP_2)
	v_add_co_ci_u32_e32 v3, vcc_lo, 0, v4, vcc_lo
	s_lshl_b64 s[6:7], s[6:7], 1
	s_cmpk_lt_i32 s22, 0x300
	v_add_co_u32 v4, vcc_lo, v1, s4
	s_cselect_b32 s8, s42, 0x100
	v_add_co_ci_u32_e32 v5, vcc_lo, s5, v3, vcc_lo
	s_ashr_i32 s9, s8, 31
	v_add_co_u32 v6, vcc_lo, v1, s6
	s_lshl_b64 s[8:9], s[8:9], 1
	s_cmpk_lt_i32 s22, 0x400
	v_add_co_ci_u32_e32 v7, vcc_lo, s7, v3, vcc_lo
	s_cselect_b32 s10, s42, 0x180
	v_add_co_u32 v8, vcc_lo, v1, s8
	s_ashr_i32 s11, s10, 31
	v_add_co_ci_u32_e32 v9, vcc_lo, s9, v3, vcc_lo
	s_lshl_b64 s[10:11], s[10:11], 1
	s_cmpk_lt_i32 s22, 0x500
	v_add_co_u32 v11, vcc_lo, v1, s10
	s_cselect_b32 s18, s42, 0x200
	v_add_co_ci_u32_e32 v12, vcc_lo, s11, v3, vcc_lo
	s_ashr_i32 s19, s18, 31
	v_mov_b32_e32 v35, 0
	s_lshl_b64 s[18:19], s[18:19], 1
	s_cmpk_lt_i32 s22, 0x600
	v_add_co_u32 v14, vcc_lo, v1, s18
	s_cselect_b32 s20, s42, 0x280
	v_add_co_ci_u32_e32 v15, vcc_lo, s19, v3, vcc_lo
	s_ashr_i32 s21, s20, 31
	v_mov_b32_e32 v30, 0
	s_lshl_b64 s[20:21], s[20:21], 1
	s_cmpk_lt_i32 s22, 0x700
	v_add_co_u32 v16, vcc_lo, v1, s20
	s_cselect_b32 s24, s42, 0x300
	v_add_co_ci_u32_e32 v17, vcc_lo, s21, v3, vcc_lo
	s_ashr_i32 s25, s24, 31
	s_delay_alu instid0(SALU_CYCLE_1)
	s_lshl_b64 s[24:25], s[24:25], 1
	s_cmpk_lt_i32 s22, 0x800
	v_add_co_u32 v18, vcc_lo, v1, s24
	s_cselect_b32 s26, s42, 0x380
	v_add_co_ci_u32_e32 v19, vcc_lo, s25, v3, vcc_lo
	s_ashr_i32 s27, s26, 31
	s_delay_alu instid0(SALU_CYCLE_1)
	s_lshl_b64 s[26:27], s[26:27], 1
	s_cmpk_lt_i32 s22, 0x900
	v_add_co_u32 v20, vcc_lo, v1, s26
	s_cselect_b32 s28, s42, 0x400
	v_add_co_ci_u32_e32 v21, vcc_lo, s27, v3, vcc_lo
	s_ashr_i32 s29, s28, 31
	s_clause 0x7
	global_load_u16 v13, v[4:5], off
	global_load_u16 v4, v[6:7], off
	;; [unrolled: 1-line block ×8, first 2 shown]
	s_lshl_b64 s[28:29], s[28:29], 1
	s_cmpk_lt_i32 s22, 0xa00
	v_add_co_u32 v11, vcc_lo, v1, s28
	s_cselect_b32 s30, s42, 0x480
	v_add_co_ci_u32_e32 v12, vcc_lo, s29, v3, vcc_lo
	s_ashr_i32 s31, s30, 31
	s_delay_alu instid0(SALU_CYCLE_1)
	s_lshl_b64 s[30:31], s[30:31], 1
	s_cmpk_lt_i32 s22, 0xb00
	v_add_co_u32 v14, vcc_lo, v1, s30
	s_cselect_b32 s34, s42, 0x500
	v_add_co_ci_u32_e32 v15, vcc_lo, s31, v3, vcc_lo
	s_ashr_i32 s35, s34, 31
	s_delay_alu instid0(SALU_CYCLE_1)
	;; [unrolled: 7-line block ×7, first 2 shown]
	s_lshl_b64 s[4:5], s[6:7], 1
	s_cmpk_gt_i32 s23, 0x1000
	v_add_co_u32 v28, vcc_lo, v1, s4
	v_add_co_ci_u32_e32 v29, vcc_lo, s5, v3, vcc_lo
	s_clause 0x7
	global_load_u16 v19, v[11:12], off
	global_load_u16 v18, v[14:15], off
	;; [unrolled: 1-line block ×8, first 2 shown]
	v_dual_mov_b32 v20, 0 :: v_dual_mov_b32 v21, 0
	v_dual_mov_b32 v22, 0 :: v_dual_mov_b32 v23, 0
	;; [unrolled: 1-line block ×5, first 2 shown]
	s_cselect_b32 s6, -1, 0
	s_cmpk_lt_i32 s23, 0x1001
	s_waitcnt vmcnt(0)
	s_barrier
	buffer_gl0_inv
	s_cbranch_scc1 .LBB608_11
; %bb.10:
	s_cmpk_lt_i32 s22, 0x1100
	s_cselect_b32 s4, s42, 0x800
	s_delay_alu instid0(SALU_CYCLE_1) | instskip(NEXT) | instid1(SALU_CYCLE_1)
	s_ashr_i32 s5, s4, 31
	s_lshl_b64 s[4:5], s[4:5], 1
	s_cmpk_lt_i32 s22, 0x1200
	v_add_co_u32 v20, vcc_lo, v1, s4
	s_cselect_b32 s8, s42, 0x880
	v_add_co_ci_u32_e32 v21, vcc_lo, s5, v3, vcc_lo
	s_ashr_i32 s9, s8, 31
	s_delay_alu instid0(SALU_CYCLE_1)
	s_lshl_b64 s[8:9], s[8:9], 1
	s_cmpk_lt_i32 s22, 0x1300
	v_add_co_u32 v22, vcc_lo, v1, s8
	s_cselect_b32 s10, s42, 0x900
	v_add_co_ci_u32_e32 v23, vcc_lo, s9, v3, vcc_lo
	s_ashr_i32 s11, s10, 31
	s_delay_alu instid0(SALU_CYCLE_1)
	s_lshl_b64 s[10:11], s[10:11], 1
	s_cmpk_lt_i32 s22, 0x1400
	v_add_co_u32 v24, vcc_lo, v1, s10
	s_cselect_b32 s18, s42, 0x980
	v_add_co_ci_u32_e32 v25, vcc_lo, s11, v3, vcc_lo
	s_ashr_i32 s19, s18, 31
	s_delay_alu instid0(SALU_CYCLE_1)
	s_lshl_b64 s[18:19], s[18:19], 1
	s_cmpk_lt_i32 s22, 0x1500
	v_add_co_u32 v26, vcc_lo, v1, s18
	s_cselect_b32 s20, s42, 0xa00
	v_add_co_ci_u32_e32 v27, vcc_lo, s19, v3, vcc_lo
	s_ashr_i32 s21, s20, 31
	s_delay_alu instid0(SALU_CYCLE_1)
	s_lshl_b64 s[20:21], s[20:21], 1
	s_cmpk_lt_i32 s22, 0x1600
	v_add_co_u32 v28, vcc_lo, v1, s20
	s_cselect_b32 s24, s42, 0xa80
	v_add_co_ci_u32_e32 v29, vcc_lo, s21, v3, vcc_lo
	s_ashr_i32 s25, s24, 31
	s_delay_alu instid0(SALU_CYCLE_1)
	s_lshl_b64 s[24:25], s[24:25], 1
	s_cmpk_lt_i32 s22, 0x1700
	v_add_co_u32 v30, vcc_lo, v1, s24
	s_cselect_b32 s26, s42, 0xb00
	v_add_co_ci_u32_e32 v31, vcc_lo, s25, v3, vcc_lo
	s_ashr_i32 s27, s26, 31
	s_delay_alu instid0(SALU_CYCLE_1)
	s_lshl_b64 s[26:27], s[26:27], 1
	s_cmpk_lt_i32 s22, 0x1800
	v_add_co_u32 v32, vcc_lo, v1, s26
	s_cselect_b32 s28, s42, 0xb80
	v_add_co_ci_u32_e32 v33, vcc_lo, s27, v3, vcc_lo
	s_ashr_i32 s29, s28, 31
	s_delay_alu instid0(SALU_CYCLE_1)
	s_lshl_b64 s[28:29], s[28:29], 1
	s_cmpk_lt_i32 s22, 0x1900
	v_add_co_u32 v34, vcc_lo, v1, s28
	s_cselect_b32 s30, s42, 0xc00
	v_add_co_ci_u32_e32 v35, vcc_lo, s29, v3, vcc_lo
	s_ashr_i32 s31, s30, 31
	s_delay_alu instid0(SALU_CYCLE_1)
	s_lshl_b64 s[30:31], s[30:31], 1
	s_cmpk_lt_i32 s22, 0x1a00
	v_add_co_u32 v36, vcc_lo, v1, s30
	s_cselect_b32 s34, s42, 0xc80
	v_add_co_ci_u32_e32 v37, vcc_lo, s31, v3, vcc_lo
	s_ashr_i32 s35, s34, 31
	s_delay_alu instid0(SALU_CYCLE_1)
	s_lshl_b64 s[34:35], s[34:35], 1
	s_cmpk_lt_i32 s22, 0x1b00
	v_add_co_u32 v38, vcc_lo, v1, s34
	s_cselect_b32 s36, s42, 0xd00
	v_add_co_ci_u32_e32 v39, vcc_lo, s35, v3, vcc_lo
	s_ashr_i32 s37, s36, 31
	s_delay_alu instid0(SALU_CYCLE_1)
	s_lshl_b64 s[36:37], s[36:37], 1
	s_cmpk_lt_i32 s22, 0x1c00
	v_add_co_u32 v40, vcc_lo, v1, s36
	s_cselect_b32 s4, s42, 0xd80
	v_add_co_ci_u32_e32 v41, vcc_lo, s37, v3, vcc_lo
	s_ashr_i32 s5, s4, 31
	s_delay_alu instid0(SALU_CYCLE_1)
	s_lshl_b64 s[4:5], s[4:5], 1
	s_cmpk_lt_i32 s22, 0x1d00
	v_add_co_u32 v42, vcc_lo, v1, s4
	s_cselect_b32 s8, s42, 0xe00
	v_add_co_ci_u32_e32 v43, vcc_lo, s5, v3, vcc_lo
	s_ashr_i32 s9, s8, 31
	s_delay_alu instid0(SALU_CYCLE_1)
	s_lshl_b64 s[8:9], s[8:9], 1
	s_cmpk_lt_i32 s22, 0x1e00
	v_add_co_u32 v44, vcc_lo, v1, s8
	s_cselect_b32 s10, s42, 0xe80
	v_add_co_ci_u32_e32 v45, vcc_lo, s9, v3, vcc_lo
	s_ashr_i32 s11, s10, 31
	s_delay_alu instid0(SALU_CYCLE_1)
	s_lshl_b64 s[10:11], s[10:11], 1
	s_cmpk_lt_i32 s22, 0x1f00
	v_add_co_u32 v46, vcc_lo, v1, s10
	s_cselect_b32 s18, s42, 0xf00
	v_add_co_ci_u32_e32 v47, vcc_lo, s11, v3, vcc_lo
	s_ashr_i32 s19, s18, 31
	s_delay_alu instid0(SALU_CYCLE_1)
	s_lshl_b64 s[4:5], s[18:19], 1
	s_cmpk_lt_i32 s22, 0x2000
	v_add_co_u32 v48, vcc_lo, v1, s4
	s_cselect_b32 s8, s42, 0xf80
	v_add_co_ci_u32_e32 v49, vcc_lo, s5, v3, vcc_lo
	s_ashr_i32 s9, s8, 31
	s_delay_alu instid0(SALU_CYCLE_1) | instskip(NEXT) | instid1(SALU_CYCLE_1)
	s_lshl_b64 s[4:5], s[8:9], 1
	v_add_co_u32 v50, vcc_lo, v1, s4
	v_add_co_ci_u32_e32 v51, vcc_lo, s5, v3, vcc_lo
	s_clause 0xf
	global_load_u16 v20, v[20:21], off
	global_load_u16 v21, v[22:23], off
	;; [unrolled: 1-line block ×16, first 2 shown]
	s_waitcnt vmcnt(15)
	v_lshlrev_b32_e32 v35, 16, v20
	s_waitcnt vmcnt(14)
	v_lshlrev_b32_e32 v34, 16, v21
	;; [unrolled: 2-line block ×16, first 2 shown]
.LBB608_11:
	ds_load_b128 v[36:39], v2
	ds_load_b128 v[40:43], v2 offset:16
	v_lshlrev_b32_e32 v44, 16, v4
	v_lshlrev_b32_e32 v13, 16, v13
	;; [unrolled: 1-line block ×5, first 2 shown]
	s_load_b64 s[0:1], s[0:1], 0x0
	s_and_b32 vcc_lo, exec_lo, s6
	v_lshlrev_b32_e32 v5, 16, v5
	s_waitcnt lgkmcnt(0)
	v_fma_f32 v4, v36, v13, 0
	s_delay_alu instid0(VALU_DEP_1) | instskip(NEXT) | instid1(VALU_DEP_1)
	v_dual_fmac_f32 v4, v37, v44 :: v_dual_lshlrev_b32 v13, 16, v7
	v_dual_fmac_f32 v4, v38, v10 :: v_dual_lshlrev_b32 v9, 16, v9
	s_delay_alu instid0(VALU_DEP_1) | instskip(SKIP_4) | instid1(VALU_DEP_1)
	v_fmac_f32_e32 v4, v39, v9
	ds_load_b128 v[36:39], v2 offset:48
	v_fmac_f32_e32 v4, v40, v8
	ds_load_b128 v[7:10], v2 offset:32
	v_fmac_f32_e32 v4, v41, v13
	v_fmac_f32_e32 v4, v42, v6
	v_lshlrev_b32_e32 v6, 16, v19
	s_delay_alu instid0(VALU_DEP_2) | instskip(SKIP_1) | instid1(VALU_DEP_1)
	v_dual_fmac_f32 v4, v43, v5 :: v_dual_lshlrev_b32 v5, 16, v18
	s_waitcnt lgkmcnt(0)
	v_fmac_f32_e32 v4, v7, v6
	v_lshlrev_b32_e32 v6, 16, v17
	s_delay_alu instid0(VALU_DEP_2) | instskip(NEXT) | instid1(VALU_DEP_1)
	v_dual_fmac_f32 v4, v8, v5 :: v_dual_lshlrev_b32 v5, 16, v16
	v_fmac_f32_e32 v4, v9, v6
	v_lshlrev_b32_e32 v6, 16, v15
	s_delay_alu instid0(VALU_DEP_2) | instskip(NEXT) | instid1(VALU_DEP_1)
	v_dual_fmac_f32 v4, v10, v5 :: v_dual_lshlrev_b32 v5, 16, v14
	;; [unrolled: 4-line block ×3, first 2 shown]
	v_fmac_f32_e32 v4, v38, v6
	s_delay_alu instid0(VALU_DEP_1)
	v_fmac_f32_e32 v4, v39, v5
	s_cbranch_vccz .LBB608_13
; %bb.12:
	ds_load_b128 v[5:8], v2 offset:64
	ds_load_b128 v[9:12], v2 offset:80
	s_waitcnt lgkmcnt(1)
	v_fmac_f32_e32 v4, v5, v35
	s_delay_alu instid0(VALU_DEP_1) | instskip(NEXT) | instid1(VALU_DEP_1)
	v_fmac_f32_e32 v4, v6, v34
	v_fmac_f32_e32 v4, v7, v33
	s_delay_alu instid0(VALU_DEP_1) | instskip(SKIP_3) | instid1(VALU_DEP_1)
	v_fmac_f32_e32 v4, v8, v32
	ds_load_b128 v[5:8], v2 offset:96
	s_waitcnt lgkmcnt(1)
	v_fmac_f32_e32 v4, v9, v31
	v_fmac_f32_e32 v4, v10, v30
	s_delay_alu instid0(VALU_DEP_1) | instskip(NEXT) | instid1(VALU_DEP_1)
	v_fmac_f32_e32 v4, v11, v29
	v_fmac_f32_e32 v4, v12, v28
	ds_load_b128 v[9:12], v2 offset:112
	s_waitcnt lgkmcnt(1)
	v_fmac_f32_e32 v4, v5, v27
	s_delay_alu instid0(VALU_DEP_1) | instskip(NEXT) | instid1(VALU_DEP_1)
	v_fmac_f32_e32 v4, v6, v26
	v_fmac_f32_e32 v4, v7, v25
	s_delay_alu instid0(VALU_DEP_1) | instskip(SKIP_1) | instid1(VALU_DEP_1)
	v_fmac_f32_e32 v4, v8, v24
	s_waitcnt lgkmcnt(0)
	v_fmac_f32_e32 v4, v9, v23
	s_delay_alu instid0(VALU_DEP_1) | instskip(NEXT) | instid1(VALU_DEP_1)
	v_fmac_f32_e32 v4, v10, v22
	v_fmac_f32_e32 v4, v11, v21
	s_delay_alu instid0(VALU_DEP_1)
	v_fmac_f32_e32 v4, v12, v20
.LBB608_13:
	s_movk_i32 s43, 0x1f80
	s_movk_i32 s44, 0x80
	s_mov_b32 s45, 32
	s_branch .LBB608_15
.LBB608_14:                             ;   in Loop: Header=BB608_15 Depth=1
	s_addk_i32 s43, 0x1000
	s_addk_i32 s44, 0x80
	s_add_i32 s45, s45, 32
	s_cmpk_eq_u32 s43, 0xbf80
	s_cbranch_scc1 .LBB608_17
.LBB608_15:                             ; =>This Inner Loop Header: Depth=1
	s_cmp_le_i32 s40, s45
	s_cbranch_scc1 .LBB608_14
; %bb.16:                               ;   in Loop: Header=BB608_15 Depth=1
	s_add_i32 s4, s43, 0xfffff080
	v_mov_b32_e32 v44, s44
	s_cmp_lt_i32 s4, s41
	s_cselect_b32 s4, s4, s42
	s_add_i32 s6, s43, 0xfffff100
	s_ashr_i32 s5, s4, 31
	s_delay_alu instid0(SALU_CYCLE_1)
	s_lshl_b64 s[38:39], s[4:5], 1
	s_cmp_lt_i32 s6, s41
	v_add_co_u32 v5, vcc_lo, v1, s38
	s_cselect_b32 s4, s6, s42
	s_add_i32 s6, s43, 0xfffff180
	s_ashr_i32 s5, s4, 31
	v_add_co_ci_u32_e32 v6, vcc_lo, s39, v3, vcc_lo
	s_lshl_b64 s[4:5], s[4:5], 1
	s_cmp_lt_i32 s6, s41
	s_cselect_b32 s6, s6, s42
	s_add_i32 s8, s43, 0xfffff200
	s_ashr_i32 s7, s6, 31
	global_load_u16 v2, v[5:6], off
	s_lshl_b64 s[6:7], s[6:7], 1
	s_cmp_lt_i32 s8, s41
	v_add_co_u32 v5, vcc_lo, v1, s4
	s_cselect_b32 s8, s8, s42
	s_add_i32 s10, s43, 0xfffff280
	s_ashr_i32 s9, s8, 31
	v_add_co_ci_u32_e32 v6, vcc_lo, s5, v3, vcc_lo
	s_lshl_b64 s[8:9], s[8:9], 1
	s_cmp_lt_i32 s10, s41
	v_add_co_u32 v7, vcc_lo, v1, s6
	s_cselect_b32 s10, s10, s42
	s_add_i32 s18, s43, 0xfffff300
	s_ashr_i32 s11, s10, 31
	v_add_co_ci_u32_e32 v8, vcc_lo, s7, v3, vcc_lo
	s_lshl_b64 s[10:11], s[10:11], 1
	s_cmp_lt_i32 s18, s41
	v_add_co_u32 v9, vcc_lo, v1, s8
	s_cselect_b32 s18, s18, s42
	s_add_i32 s20, s43, 0xfffff380
	s_ashr_i32 s19, s18, 31
	s_clause 0x1
	global_load_u16 v23, v[5:6], off
	global_load_u16 v24, v[7:8], off
	s_lshl_b64 s[18:19], s[18:19], 1
	s_cmp_lt_i32 s20, s41
	v_add_co_ci_u32_e32 v10, vcc_lo, s9, v3, vcc_lo
	s_cselect_b32 s20, s20, s42
	s_add_i32 s22, s43, 0xfffff400
	s_ashr_i32 s21, s20, 31
	global_load_u16 v25, v[9:10], off
	s_lshl_b64 s[20:21], s[20:21], 1
	s_cmp_lt_i32 s22, s41
	v_add_co_u32 v11, vcc_lo, v1, s10
	s_cselect_b32 s22, s22, s42
	s_add_i32 s24, s43, 0xfffff480
	s_ashr_i32 s23, s22, 31
	v_add_co_ci_u32_e32 v12, vcc_lo, s11, v3, vcc_lo
	s_lshl_b64 s[22:23], s[22:23], 1
	s_cmp_lt_i32 s24, s41
	v_add_co_u32 v13, vcc_lo, v1, s18
	global_load_u16 v26, v[11:12], off
	s_cselect_b32 s24, s24, s42
	s_add_i32 s26, s43, 0xfffff500
	s_ashr_i32 s25, s24, 31
	v_add_co_ci_u32_e32 v14, vcc_lo, s19, v3, vcc_lo
	s_lshl_b64 s[24:25], s[24:25], 1
	s_cmp_lt_i32 s26, s41
	v_add_co_u32 v15, vcc_lo, v1, s20
	global_load_u16 v27, v[13:14], off
	s_cselect_b32 s26, s26, s42
	s_add_i32 s28, s43, 0xfffff580
	s_ashr_i32 s27, s26, 31
	v_add_co_ci_u32_e32 v16, vcc_lo, s21, v3, vcc_lo
	s_lshl_b64 s[36:37], s[26:27], 1
	s_cmp_lt_i32 s28, s41
	v_add_co_u32 v17, vcc_lo, v1, s22
	s_cselect_b32 s26, s28, s42
	s_add_i32 s30, s43, 0xfffff600
	s_ashr_i32 s27, s26, 31
	v_add_co_ci_u32_e32 v18, vcc_lo, s23, v3, vcc_lo
	s_lshl_b64 s[28:29], s[26:27], 1
	s_cmp_lt_i32 s30, s41
	v_add_co_u32 v19, vcc_lo, v1, s24
	global_load_u16 v17, v[17:18], off
	s_cselect_b32 s26, s30, s42
	s_add_i32 s30, s43, 0xfffff680
	s_ashr_i32 s27, s26, 31
	v_add_co_ci_u32_e32 v20, vcc_lo, s25, v3, vcc_lo
	s_lshl_b64 s[26:27], s[26:27], 1
	s_cmp_lt_i32 s30, s41
	v_add_co_u32 v21, vcc_lo, v1, s36
	s_cselect_b32 s30, s30, s42
	s_add_i32 s46, s43, 0xfffff700
	s_ashr_i32 s31, s30, 31
	v_add_co_ci_u32_e32 v22, vcc_lo, s37, v3, vcc_lo
	s_lshl_b64 s[34:35], s[30:31], 1
	s_cmp_lt_i32 s46, s41
	v_add_co_u32 v5, vcc_lo, v1, s28
	;; [unrolled: 7-line block ×3, first 2 shown]
	s_cselect_b32 s46, s46, s42
	s_add_i32 s48, s43, 0xfffff800
	s_ashr_i32 s47, s46, 31
	global_load_u16 v28, v[15:16], off
	s_lshl_b64 s[38:39], s[46:47], 1
	s_cmp_lt_i32 s48, s41
	v_add_co_ci_u32_e32 v8, vcc_lo, s27, v3, vcc_lo
	s_cselect_b32 s46, s48, s42
	v_add_co_u32 v9, vcc_lo, v1, s34
	s_ashr_i32 s47, s46, 31
	s_add_i32 s4, s43, 0xfffff880
	s_lshl_b64 s[46:47], s[46:47], 1
	v_add_co_ci_u32_e32 v10, vcc_lo, s35, v3, vcc_lo
	s_cmp_lt_i32 s4, s41
	v_add_co_u32 v11, vcc_lo, v1, s30
	s_cselect_b32 s4, s4, s42
	v_add_co_ci_u32_e32 v12, vcc_lo, s31, v3, vcc_lo
	v_add_co_u32 v13, vcc_lo, v1, s38
	s_ashr_i32 s5, s4, 31
	s_add_i32 s6, s43, 0xfffff900
	v_add_co_ci_u32_e32 v14, vcc_lo, s39, v3, vcc_lo
	global_load_u16 v18, v[19:20], off
	s_lshl_b64 s[8:9], s[4:5], 1
	s_cmp_lt_i32 s6, s41
	global_load_u16 v30, v[13:14], off
	s_cselect_b32 s4, s6, s42
	global_load_u16 v19, v[21:22], off
	s_ashr_i32 s5, s4, 31
	s_add_i32 s6, s43, 0xfffff980
	s_lshl_b64 s[10:11], s[4:5], 1
	s_cmp_lt_i32 s6, s41
	s_clause 0x3
	global_load_u16 v20, v[5:6], off
	global_load_u16 v21, v[7:8], off
	;; [unrolled: 1-line block ×4, first 2 shown]
	s_cselect_b32 s4, s6, s42
	s_add_i32 s6, s43, 0xfffffa00
	s_ashr_i32 s5, s4, 31
	v_add_co_u32 v15, vcc_lo, v1, s46
	s_lshl_b64 s[4:5], s[4:5], 1
	s_cmp_lt_i32 s6, s41
	v_add_co_ci_u32_e32 v16, vcc_lo, s47, v3, vcc_lo
	s_cselect_b32 s6, s6, s42
	s_add_i32 s18, s43, 0xfffffa80
	s_ashr_i32 s7, s6, 31
	v_add_co_u32 v5, vcc_lo, v1, s8
	s_lshl_b64 s[6:7], s[6:7], 1
	s_cmp_lt_i32 s18, s41
	v_add_co_ci_u32_e32 v6, vcc_lo, s9, v3, vcc_lo
	s_cselect_b32 s18, s18, s42
	v_add_co_u32 v7, vcc_lo, v1, s10
	s_ashr_i32 s19, s18, 31
	s_add_i32 s20, s43, 0xfffffb00
	s_lshl_b64 s[18:19], s[18:19], 1
	v_add_co_ci_u32_e32 v8, vcc_lo, s11, v3, vcc_lo
	s_cmp_lt_i32 s20, s41
	v_add_co_u32 v9, vcc_lo, v1, s4
	s_cselect_b32 s20, s20, s42
	v_add_co_ci_u32_e32 v10, vcc_lo, s5, v3, vcc_lo
	v_add_co_u32 v11, vcc_lo, v1, s6
	s_ashr_i32 s21, s20, 31
	s_add_i32 s22, s43, 0xfffffb80
	v_add_co_ci_u32_e32 v12, vcc_lo, s7, v3, vcc_lo
	global_load_u16 v15, v[15:16], off
	s_lshl_b64 s[20:21], s[20:21], 1
	s_cmp_lt_i32 s22, s41
	global_load_u16 v33, v[11:12], off
	s_cselect_b32 s22, s22, s42
	s_clause 0x2
	global_load_u16 v16, v[5:6], off
	global_load_u16 v31, v[7:8], off
	;; [unrolled: 1-line block ×3, first 2 shown]
	s_ashr_i32 s23, s22, 31
	s_add_i32 s24, s43, 0xfffffc00
	s_lshl_b64 s[22:23], s[22:23], 1
	s_cmp_lt_i32 s24, s41
	v_add_co_u32 v13, vcc_lo, v1, s18
	s_cselect_b32 s24, s24, s42
	s_add_i32 s26, s43, 0xfffffc80
	s_ashr_i32 s25, s24, 31
	v_add_co_ci_u32_e32 v14, vcc_lo, s19, v3, vcc_lo
	s_lshl_b64 s[24:25], s[24:25], 1
	s_cmp_lt_i32 s26, s41
	v_add_co_u32 v5, vcc_lo, v1, s20
	s_cselect_b32 s8, s26, s42
	v_add_co_ci_u32_e32 v6, vcc_lo, s21, v3, vcc_lo
	s_ashr_i32 s9, s8, 31
	v_add_co_u32 v7, vcc_lo, v1, s22
	s_add_i32 s10, s43, 0xfffffd00
	s_lshl_b64 s[8:9], s[8:9], 1
	v_add_co_ci_u32_e32 v8, vcc_lo, s23, v3, vcc_lo
	s_cmp_lt_i32 s10, s41
	v_add_co_u32 v9, vcc_lo, v1, s24
	s_cselect_b32 s4, s10, s42
	global_load_u16 v13, v[13:14], off
	v_add_co_ci_u32_e32 v10, vcc_lo, s25, v3, vcc_lo
	s_ashr_i32 s5, s4, 31
	s_add_i32 s6, s43, 0xfffffd80
	s_lshl_b64 s[4:5], s[4:5], 1
	global_load_u16 v35, v[9:10], off
	s_cmp_lt_i32 s6, s41
	s_clause 0x1
	global_load_u16 v14, v[5:6], off
	global_load_u16 v34, v[7:8], off
	s_cselect_b32 s6, s6, s42
	s_add_i32 s10, s43, 0xfffffe00
	s_ashr_i32 s7, s6, 31
	v_add_co_u32 v5, vcc_lo, v1, s8
	s_lshl_b64 s[6:7], s[6:7], 1
	s_cmp_lt_i32 s10, s41
	v_add_co_ci_u32_e32 v6, vcc_lo, s9, v3, vcc_lo
	s_cselect_b32 s10, s10, s42
	v_add_co_u32 v7, vcc_lo, v1, s4
	s_ashr_i32 s11, s10, 31
	v_add_co_ci_u32_e32 v8, vcc_lo, s5, v3, vcc_lo
	s_add_i32 s18, s43, 0xfffffe80
	s_lshl_b64 s[10:11], s[10:11], 1
	s_cmp_lt_i32 s18, s41
	s_clause 0x1
	global_load_u16 v36, v[5:6], off
	global_load_u16 v37, v[7:8], off
	s_cselect_b32 s18, s18, s42
	v_add_co_u32 v5, vcc_lo, v1, s6
	s_ashr_i32 s19, s18, 31
	v_add_co_ci_u32_e32 v6, vcc_lo, s7, v3, vcc_lo
	s_add_i32 s20, s43, 0xffffff00
	v_add_co_u32 v7, vcc_lo, v1, s10
	s_lshl_b64 s[8:9], s[18:19], 1
	s_cmp_lt_i32 s20, s41
	v_add_co_ci_u32_e32 v8, vcc_lo, s11, v3, vcc_lo
	s_cselect_b32 s4, s20, s42
	global_load_u16 v38, v[5:6], off
	s_ashr_i32 s5, s4, 31
	global_load_u16 v39, v[7:8], off
	s_add_i32 s18, s43, 0xffffff80
	v_add_co_u32 v5, vcc_lo, v1, s8
	s_lshl_b64 s[4:5], s[4:5], 1
	s_cmp_lt_i32 s18, s41
	v_add_co_ci_u32_e32 v6, vcc_lo, s9, v3, vcc_lo
	v_add_co_u32 v7, vcc_lo, v1, s4
	s_cselect_b32 s6, s18, s42
	v_add_co_ci_u32_e32 v8, vcc_lo, s5, v3, vcc_lo
	s_ashr_i32 s7, s6, 31
	global_load_u16 v40, v[5:6], off
	s_lshl_b64 s[6:7], s[6:7], 1
	global_load_u16 v41, v[7:8], off
	s_cmp_lt_i32 s43, s41
	v_add_co_u32 v5, vcc_lo, v1, s6
	s_cselect_b32 s4, s43, s42
	v_add_co_ci_u32_e32 v6, vcc_lo, s7, v3, vcc_lo
	s_ashr_i32 s5, s4, 31
	s_delay_alu instid0(SALU_CYCLE_1)
	s_lshl_b64 s[4:5], s[4:5], 1
	global_load_u16 v42, v[5:6], off
	v_add_co_u32 v5, vcc_lo, v1, s4
	v_add_co_ci_u32_e32 v6, vcc_lo, s5, v3, vcc_lo
	global_load_u16 v43, v[5:6], off
	ds_load_b128 v[5:8], v44
	ds_load_b128 v[9:12], v44 offset:16
	s_waitcnt vmcnt(31)
	v_lshlrev_b32_e32 v2, 16, v2
	s_waitcnt lgkmcnt(1)
	s_delay_alu instid0(VALU_DEP_1) | instskip(SKIP_2) | instid1(VALU_DEP_1)
	v_fmac_f32_e32 v4, v5, v2
	s_waitcnt vmcnt(30)
	v_lshlrev_b32_e32 v2, 16, v23
	v_fmac_f32_e32 v4, v6, v2
	s_waitcnt vmcnt(29)
	v_lshlrev_b32_e32 v2, 16, v24
	s_delay_alu instid0(VALU_DEP_1) | instskip(SKIP_2) | instid1(VALU_DEP_1)
	v_fmac_f32_e32 v4, v7, v2
	s_waitcnt vmcnt(28)
	v_lshlrev_b32_e32 v2, 16, v25
	v_fmac_f32_e32 v4, v8, v2
	ds_load_b128 v[5:8], v44 offset:32
	s_waitcnt vmcnt(27)
	v_lshlrev_b32_e32 v2, 16, v26
	s_waitcnt lgkmcnt(1)
	s_delay_alu instid0(VALU_DEP_1) | instskip(SKIP_2) | instid1(VALU_DEP_1)
	v_fmac_f32_e32 v4, v9, v2
	s_waitcnt vmcnt(26)
	v_lshlrev_b32_e32 v2, 16, v27
	v_fmac_f32_e32 v4, v10, v2
	s_waitcnt vmcnt(24)
	v_lshlrev_b32_e32 v2, 16, v28
	s_delay_alu instid0(VALU_DEP_1) | instskip(SKIP_1) | instid1(VALU_DEP_1)
	v_fmac_f32_e32 v4, v11, v2
	v_lshlrev_b32_e32 v2, 16, v17
	v_fmac_f32_e32 v4, v12, v2
	ds_load_b128 v[9:12], v44 offset:48
	s_waitcnt vmcnt(23)
	v_lshlrev_b32_e32 v2, 16, v18
	s_waitcnt lgkmcnt(1)
	s_delay_alu instid0(VALU_DEP_1) | instskip(SKIP_2) | instid1(VALU_DEP_1)
	v_fmac_f32_e32 v4, v5, v2
	s_waitcnt vmcnt(21)
	v_lshlrev_b32_e32 v2, 16, v19
	v_fmac_f32_e32 v4, v6, v2
	s_waitcnt vmcnt(20)
	v_lshlrev_b32_e32 v2, 16, v20
	s_delay_alu instid0(VALU_DEP_1) | instskip(SKIP_2) | instid1(VALU_DEP_1)
	v_fmac_f32_e32 v4, v7, v2
	s_waitcnt vmcnt(19)
	v_lshlrev_b32_e32 v2, 16, v21
	v_fmac_f32_e32 v4, v8, v2
	s_waitcnt vmcnt(18)
	v_lshlrev_b32_e32 v2, 16, v22
	ds_load_b128 v[5:8], v44 offset:64
	s_waitcnt lgkmcnt(1)
	v_fmac_f32_e32 v4, v9, v2
	s_waitcnt vmcnt(17)
	v_lshlrev_b32_e32 v2, 16, v29
	s_delay_alu instid0(VALU_DEP_1) | instskip(SKIP_1) | instid1(VALU_DEP_1)
	v_fmac_f32_e32 v4, v10, v2
	v_lshlrev_b32_e32 v2, 16, v30
	v_fmac_f32_e32 v4, v11, v2
	s_waitcnt vmcnt(16)
	v_lshlrev_b32_e32 v2, 16, v15
	s_delay_alu instid0(VALU_DEP_1) | instskip(SKIP_4) | instid1(VALU_DEP_1)
	v_fmac_f32_e32 v4, v12, v2
	ds_load_b128 v[9:12], v44 offset:80
	s_waitcnt vmcnt(14)
	v_lshlrev_b32_e32 v2, 16, v16
	s_waitcnt lgkmcnt(1)
	v_fmac_f32_e32 v4, v5, v2
	s_waitcnt vmcnt(13)
	v_lshlrev_b32_e32 v2, 16, v31
	s_delay_alu instid0(VALU_DEP_1) | instskip(SKIP_2) | instid1(VALU_DEP_1)
	v_fmac_f32_e32 v4, v6, v2
	s_waitcnt vmcnt(12)
	v_lshlrev_b32_e32 v2, 16, v32
	v_fmac_f32_e32 v4, v7, v2
	v_lshlrev_b32_e32 v2, 16, v33
	s_delay_alu instid0(VALU_DEP_1) | instskip(SKIP_4) | instid1(VALU_DEP_1)
	v_fmac_f32_e32 v4, v8, v2
	ds_load_b128 v[5:8], v44 offset:96
	s_waitcnt vmcnt(11)
	v_lshlrev_b32_e32 v2, 16, v13
	s_waitcnt lgkmcnt(1)
	v_fmac_f32_e32 v4, v9, v2
	s_waitcnt vmcnt(9)
	v_lshlrev_b32_e32 v2, 16, v14
	s_delay_alu instid0(VALU_DEP_1) | instskip(SKIP_2) | instid1(VALU_DEP_1)
	v_fmac_f32_e32 v4, v10, v2
	s_waitcnt vmcnt(8)
	v_lshlrev_b32_e32 v2, 16, v34
	v_fmac_f32_e32 v4, v11, v2
	;; [unrolled: 15-line block ×3, first 2 shown]
	s_waitcnt vmcnt(4)
	v_lshlrev_b32_e32 v2, 16, v39
	s_delay_alu instid0(VALU_DEP_1) | instskip(SKIP_3) | instid1(VALU_DEP_1)
	v_fmac_f32_e32 v4, v8, v2
	s_waitcnt vmcnt(3)
	v_lshlrev_b32_e32 v2, 16, v40
	s_waitcnt lgkmcnt(0)
	v_fmac_f32_e32 v4, v9, v2
	s_waitcnt vmcnt(2)
	v_lshlrev_b32_e32 v2, 16, v41
	s_delay_alu instid0(VALU_DEP_1) | instskip(SKIP_2) | instid1(VALU_DEP_1)
	v_fmac_f32_e32 v4, v10, v2
	s_waitcnt vmcnt(1)
	v_lshlrev_b32_e32 v2, 16, v42
	v_fmac_f32_e32 v4, v11, v2
	s_waitcnt vmcnt(0)
	v_lshlrev_b32_e32 v2, 16, v43
	s_delay_alu instid0(VALU_DEP_1)
	v_fmac_f32_e32 v4, v12, v2
	s_branch .LBB608_14
.LBB608_17:
	v_mov_b32_e32 v1, 0
	s_and_b32 vcc_lo, exec_lo, s15
	ds_load_b32 v1, v1 offset:1408
	s_cbranch_vccz .LBB608_19
; %bb.18:
	s_add_u32 s2, s12, s16
	s_addc_u32 s3, s13, s17
	s_load_b32 s2, s[2:3], 0x0
	s_mov_b32 s3, 0
.LBB608_19:
	s_waitcnt lgkmcnt(0)
	v_add_f32_e32 v1, 0x358637bd, v1
	s_delay_alu instid0(VALU_DEP_1) | instskip(NEXT) | instid1(VALU_DEP_1)
	v_div_scale_f32 v2, null, v1, v1, 1.0
	v_rcp_f32_e32 v3, v2
	s_waitcnt_depctr 0xfff
	v_fma_f32 v5, -v2, v3, 1.0
	s_delay_alu instid0(VALU_DEP_1) | instskip(SKIP_1) | instid1(VALU_DEP_1)
	v_fmac_f32_e32 v3, v5, v3
	v_div_scale_f32 v5, vcc_lo, 1.0, v1, 1.0
	v_mul_f32_e32 v6, v5, v3
	s_delay_alu instid0(VALU_DEP_1) | instskip(NEXT) | instid1(VALU_DEP_1)
	v_fma_f32 v7, -v2, v6, v5
	v_fmac_f32_e32 v6, v7, v3
	s_delay_alu instid0(VALU_DEP_1) | instskip(NEXT) | instid1(VALU_DEP_1)
	v_fma_f32 v2, -v2, v6, v5
	v_div_fmas_f32 v2, v2, v3, v6
	s_delay_alu instid0(VALU_DEP_1) | instskip(NEXT) | instid1(VALU_DEP_1)
	v_div_fixup_f32 v1, v2, v1, 1.0
	v_mul_f32_e32 v2, v4, v1
	s_delay_alu instid0(VALU_DEP_1) | instskip(NEXT) | instid1(VALU_DEP_1)
	v_and_b32_e32 v1, 0x7f800000, v2
	v_cmp_ne_u32_e32 vcc_lo, 0x7f800000, v1
                                        ; implicit-def: $vgpr1
	s_and_saveexec_b32 s4, vcc_lo
	s_delay_alu instid0(SALU_CYCLE_1)
	s_xor_b32 s4, exec_lo, s4
; %bb.20:
	v_bfe_u32 v1, v2, 16, 1
	s_delay_alu instid0(VALU_DEP_1)
	v_add3_u32 v1, v2, v1, 0x7fff
                                        ; implicit-def: $vgpr2
; %bb.21:
	s_and_not1_saveexec_b32 s4, s4
; %bb.22:
	v_and_b32_e32 v1, 0xffff, v2
	v_or_b32_e32 v3, 0x10000, v2
	s_delay_alu instid0(VALU_DEP_2) | instskip(NEXT) | instid1(VALU_DEP_2)
	v_cmp_eq_u32_e32 vcc_lo, 0, v1
	v_cndmask_b32_e32 v1, v3, v2, vcc_lo
; %bb.23:
	s_or_b32 exec_lo, exec_lo, s4
	s_mul_i32 s3, s33, s3
	s_mul_hi_u32 s4, s33, s2
	s_mul_i32 s2, s33, s2
	s_add_i32 s3, s4, s3
	s_mov_b32 s15, 0
	s_lshl_b64 s[2:3], s[2:3], 7
	v_and_b32_e32 v1, 0xffff0000, v1
	s_add_u32 s2, s0, s2
	s_addc_u32 s3, s1, s3
	s_lshl_b64 s[0:1], s[14:15], 7
	s_delay_alu instid0(SALU_CYCLE_1)
	s_add_u32 s0, s2, s0
	s_addc_u32 s1, s3, s1
	v_add_co_u32 v0, s0, s0, v0
	v_cvt_i32_f32_e32 v2, v1
	v_add_co_ci_u32_e64 v1, null, s1, 0, s0
	global_store_b8 v[0:1], v2, off
	s_nop 0
	s_sendmsg sendmsg(MSG_DEALLOC_VGPRS)
	s_endpgm
.LBB608_24:
	s_mov_b32 s4, 0
	s_branch .LBB608_2
	.section	.rodata,"a",@progbits
	.p2align	6, 0x0
	.amdhsa_kernel _Z35paged_attention_ll4mi_reduce_kernelI14__hip_bfloat16hLi128ELi128ELi256ELi11EEvPT0_PKfS4_PKT_PKiS9_iS4_
		.amdhsa_group_segment_fixed_size 1412
		.amdhsa_private_segment_fixed_size 0
		.amdhsa_kernarg_size 320
		.amdhsa_user_sgpr_count 14
		.amdhsa_user_sgpr_dispatch_ptr 0
		.amdhsa_user_sgpr_queue_ptr 0
		.amdhsa_user_sgpr_kernarg_segment_ptr 1
		.amdhsa_user_sgpr_dispatch_id 0
		.amdhsa_user_sgpr_private_segment_size 0
		.amdhsa_wavefront_size32 1
		.amdhsa_uses_dynamic_stack 0
		.amdhsa_enable_private_segment 0
		.amdhsa_system_sgpr_workgroup_id_x 1
		.amdhsa_system_sgpr_workgroup_id_y 1
		.amdhsa_system_sgpr_workgroup_id_z 0
		.amdhsa_system_sgpr_workgroup_info 0
		.amdhsa_system_vgpr_workitem_id 0
		.amdhsa_next_free_vgpr 62
		.amdhsa_next_free_sgpr 49
		.amdhsa_reserve_vcc 1
		.amdhsa_float_round_mode_32 0
		.amdhsa_float_round_mode_16_64 0
		.amdhsa_float_denorm_mode_32 3
		.amdhsa_float_denorm_mode_16_64 3
		.amdhsa_dx10_clamp 1
		.amdhsa_ieee_mode 1
		.amdhsa_fp16_overflow 0
		.amdhsa_workgroup_processor_mode 1
		.amdhsa_memory_ordered 1
		.amdhsa_forward_progress 0
		.amdhsa_shared_vgpr_count 0
		.amdhsa_exception_fp_ieee_invalid_op 0
		.amdhsa_exception_fp_denorm_src 0
		.amdhsa_exception_fp_ieee_div_zero 0
		.amdhsa_exception_fp_ieee_overflow 0
		.amdhsa_exception_fp_ieee_underflow 0
		.amdhsa_exception_fp_ieee_inexact 0
		.amdhsa_exception_int_div_zero 0
	.end_amdhsa_kernel
	.section	.text._Z35paged_attention_ll4mi_reduce_kernelI14__hip_bfloat16hLi128ELi128ELi256ELi11EEvPT0_PKfS4_PKT_PKiS9_iS4_,"axG",@progbits,_Z35paged_attention_ll4mi_reduce_kernelI14__hip_bfloat16hLi128ELi128ELi256ELi11EEvPT0_PKfS4_PKT_PKiS9_iS4_,comdat
.Lfunc_end608:
	.size	_Z35paged_attention_ll4mi_reduce_kernelI14__hip_bfloat16hLi128ELi128ELi256ELi11EEvPT0_PKfS4_PKT_PKiS9_iS4_, .Lfunc_end608-_Z35paged_attention_ll4mi_reduce_kernelI14__hip_bfloat16hLi128ELi128ELi256ELi11EEvPT0_PKfS4_PKT_PKiS9_iS4_
                                        ; -- End function
	.section	.AMDGPU.csdata,"",@progbits
; Kernel info:
; codeLenInByte = 7244
; NumSgprs: 51
; NumVgprs: 62
; ScratchSize: 0
; MemoryBound: 0
; FloatMode: 240
; IeeeMode: 1
; LDSByteSize: 1412 bytes/workgroup (compile time only)
; SGPRBlocks: 6
; VGPRBlocks: 7
; NumSGPRsForWavesPerEU: 51
; NumVGPRsForWavesPerEU: 62
; Occupancy: 16
; WaveLimiterHint : 0
; COMPUTE_PGM_RSRC2:SCRATCH_EN: 0
; COMPUTE_PGM_RSRC2:USER_SGPR: 14
; COMPUTE_PGM_RSRC2:TRAP_HANDLER: 0
; COMPUTE_PGM_RSRC2:TGID_X_EN: 1
; COMPUTE_PGM_RSRC2:TGID_Y_EN: 1
; COMPUTE_PGM_RSRC2:TGID_Z_EN: 0
; COMPUTE_PGM_RSRC2:TIDIG_COMP_CNT: 0
	.section	.text._Z35paged_attention_ll4mi_reduce_kernelI14__hip_bfloat16hLi128ELi128ELi256ELi12EEvPT0_PKfS4_PKT_PKiS9_iS4_,"axG",@progbits,_Z35paged_attention_ll4mi_reduce_kernelI14__hip_bfloat16hLi128ELi128ELi256ELi12EEvPT0_PKfS4_PKT_PKiS9_iS4_,comdat
	.protected	_Z35paged_attention_ll4mi_reduce_kernelI14__hip_bfloat16hLi128ELi128ELi256ELi12EEvPT0_PKfS4_PKT_PKiS9_iS4_ ; -- Begin function _Z35paged_attention_ll4mi_reduce_kernelI14__hip_bfloat16hLi128ELi128ELi256ELi12EEvPT0_PKfS4_PKT_PKiS9_iS4_
	.globl	_Z35paged_attention_ll4mi_reduce_kernelI14__hip_bfloat16hLi128ELi128ELi256ELi12EEvPT0_PKfS4_PKT_PKiS9_iS4_
	.p2align	8
	.type	_Z35paged_attention_ll4mi_reduce_kernelI14__hip_bfloat16hLi128ELi128ELi256ELi12EEvPT0_PKfS4_PKT_PKiS9_iS4_,@function
_Z35paged_attention_ll4mi_reduce_kernelI14__hip_bfloat16hLi128ELi128ELi256ELi12EEvPT0_PKfS4_PKT_PKiS9_iS4_: ; @_Z35paged_attention_ll4mi_reduce_kernelI14__hip_bfloat16hLi128ELi128ELi256ELi12EEvPT0_PKfS4_PKT_PKiS9_iS4_
; %bb.0:
	s_load_b64 s[12:13], s[0:1], 0x28
	s_mov_b32 s2, s15
	s_waitcnt lgkmcnt(0)
	s_cmp_lg_u64 s[12:13], 0
	s_cselect_b32 s15, -1, 0
	s_delay_alu instid0(SALU_CYCLE_1)
	s_and_b32 vcc_lo, exec_lo, s15
	s_cbranch_vccz .LBB609_24
; %bb.1:
	s_add_i32 s4, s2, 1
	s_mov_b32 s5, 0
	s_delay_alu instid0(SALU_CYCLE_1) | instskip(SKIP_4) | instid1(SALU_CYCLE_1)
	s_lshl_b64 s[6:7], s[4:5], 2
	s_mov_b32 s3, s5
	s_add_u32 s6, s12, s6
	s_addc_u32 s7, s13, s7
	s_lshl_b64 s[8:9], s[2:3], 2
	s_add_u32 s8, s12, s8
	s_addc_u32 s9, s13, s9
	s_clause 0x1
	s_load_b32 s4, s[6:7], 0x0
	s_load_b32 s6, s[8:9], 0x0
	s_waitcnt lgkmcnt(0)
	s_sub_i32 s4, s4, s6
	s_delay_alu instid0(SALU_CYCLE_1)
	s_cmp_eq_u32 s4, 1
	s_cselect_b32 s4, -1, 0
	s_cbranch_execnz .LBB609_3
.LBB609_2:
	s_mov_b32 s3, 0
	s_mov_b32 s4, -1
.LBB609_3:
	s_delay_alu instid0(SALU_CYCLE_1)
	s_and_not1_b32 vcc_lo, exec_lo, s4
	s_cbranch_vccz .LBB609_5
; %bb.4:
	s_endpgm
.LBB609_5:
	s_clause 0x1
	s_load_b128 s[4:7], s[0:1], 0x18
	s_load_b32 s9, s[0:1], 0x30
	s_lshl_b64 s[16:17], s[2:3], 2
	s_waitcnt lgkmcnt(0)
	s_add_u32 s6, s6, s16
	s_addc_u32 s7, s7, s17
	s_load_b32 s23, s[6:7], 0x0
	s_load_b32 s33, s[0:1], 0x40
	s_mul_i32 s7, s2, s9
	s_waitcnt lgkmcnt(0)
	s_add_i32 s22, s23, 0xff
	s_delay_alu instid0(SALU_CYCLE_1) | instskip(NEXT) | instid1(SALU_CYCLE_1)
	s_ashr_i32 s6, s22, 31
	s_lshr_b32 s6, s6, 24
	s_delay_alu instid0(SALU_CYCLE_1) | instskip(SKIP_4) | instid1(SALU_CYCLE_1)
	s_add_i32 s8, s22, s6
	s_mul_i32 s6, s14, s9
	s_mov_b32 s9, exec_lo
	v_cmpx_lt_u32_e32 31, v0
	s_xor_b32 s9, exec_lo, s9
	s_or_saveexec_b32 s24, s9
	v_mov_b32_e32 v1, s6
	s_ashr_i32 s40, s8, 8
	s_mul_i32 s18, s7, s33
	s_xor_b32 exec_lo, exec_lo, s24
	s_cbranch_execz .LBB609_9
; %bb.6:
	v_or_b32_e32 v2, 32, v0
	v_cmp_gt_i32_e32 vcc_lo, s40, v0
	s_add_i32 s20, s40, -1
	v_or_b32_e32 v4, 64, v0
	v_or_b32_e32 v6, 0x60, v0
	s_load_b128 s[8:11], s[0:1], 0x8
	v_cndmask_b32_e32 v1, s20, v0, vcc_lo
	v_cmp_gt_i32_e32 vcc_lo, s40, v2
	s_mov_b32 s19, 0
	s_delay_alu instid0(SALU_CYCLE_1)
	s_mov_b32 s7, s19
	v_cndmask_b32_e32 v3, s20, v2, vcc_lo
	v_cmp_gt_i32_e32 vcc_lo, s40, v4
	v_or_b32_e32 v2, 0x80, v0
	v_cndmask_b32_e32 v5, s20, v4, vcc_lo
	v_cmp_gt_i32_e32 vcc_lo, s40, v6
	v_or_b32_e32 v4, 0xa0, v0
	;; [unrolled: 3-line block ×3, first 2 shown]
	s_delay_alu instid0(VALU_DEP_3) | instskip(SKIP_3) | instid1(VALU_DEP_3)
	v_ashrrev_i32_e32 v8, 31, v7
	v_cndmask_b32_e32 v9, s20, v2, vcc_lo
	v_cmp_gt_i32_e32 vcc_lo, s40, v4
	v_or_b32_e32 v2, 0xe0, v0
	v_ashrrev_i32_e32 v10, 31, v9
	v_cndmask_b32_e32 v11, s20, v4, vcc_lo
	v_cmp_gt_i32_e32 vcc_lo, s40, v6
	v_or_b32_e32 v4, 0x100, v0
	s_delay_alu instid0(VALU_DEP_3) | instskip(SKIP_3) | instid1(VALU_DEP_3)
	v_ashrrev_i32_e32 v12, 31, v11
	v_cndmask_b32_e32 v13, s20, v6, vcc_lo
	v_cmp_gt_i32_e32 vcc_lo, s40, v2
	v_or_b32_e32 v6, 0x140, v0
	v_ashrrev_i32_e32 v14, 31, v13
	v_cndmask_b32_e32 v15, s20, v2, vcc_lo
	v_or_b32_e32 v2, 0x120, v0
	v_cmp_gt_i32_e32 vcc_lo, s40, v4
	s_delay_alu instid0(VALU_DEP_3) | instskip(SKIP_1) | instid1(VALU_DEP_4)
	v_ashrrev_i32_e32 v16, 31, v15
	v_cndmask_b32_e32 v17, s20, v4, vcc_lo
	v_cmp_gt_i32_e32 vcc_lo, s40, v2
	v_or_b32_e32 v4, 0x160, v0
	s_delay_alu instid0(VALU_DEP_3) | instskip(SKIP_3) | instid1(VALU_DEP_3)
	v_ashrrev_i32_e32 v18, 31, v17
	v_cndmask_b32_e32 v19, s20, v2, vcc_lo
	v_cmp_gt_i32_e32 vcc_lo, s40, v6
	v_ashrrev_i32_e32 v2, 31, v1
	v_ashrrev_i32_e32 v20, 31, v19
	v_cndmask_b32_e32 v21, s20, v6, vcc_lo
	v_cmp_gt_i32_e32 vcc_lo, s40, v4
	s_delay_alu instid0(VALU_DEP_4) | instskip(SKIP_1) | instid1(VALU_DEP_4)
	v_lshlrev_b64 v[25:26], 2, v[1:2]
	v_ashrrev_i32_e32 v6, 31, v5
	v_ashrrev_i32_e32 v22, 31, v21
	v_cndmask_b32_e32 v23, s20, v4, vcc_lo
	v_ashrrev_i32_e32 v4, 31, v3
	s_lshl_b64 s[20:21], s[18:19], 2
	s_waitcnt lgkmcnt(0)
	s_add_u32 s19, s10, s20
	s_addc_u32 s25, s11, s21
	s_lshl_b64 s[10:11], s[6:7], 2
	v_lshlrev_b64 v[2:3], 2, v[3:4]
	s_add_u32 s7, s19, s10
	s_addc_u32 s19, s25, s11
	v_add_co_u32 v27, vcc_lo, s7, v25
	v_lshlrev_b64 v[4:5], 2, v[5:6]
	v_add_co_ci_u32_e32 v28, vcc_lo, s19, v26, vcc_lo
	v_add_co_u32 v29, vcc_lo, s7, v2
	v_lshlrev_b64 v[6:7], 2, v[7:8]
	v_add_co_ci_u32_e32 v30, vcc_lo, s19, v3, vcc_lo
	;; [unrolled: 3-line block ×4, first 2 shown]
	s_clause 0x3
	global_load_b32 v39, v[27:28], off
	global_load_b32 v40, v[29:30], off
	;; [unrolled: 1-line block ×4, first 2 shown]
	v_add_co_u32 v27, vcc_lo, s7, v8
	v_lshlrev_b64 v[12:13], 2, v[13:14]
	v_add_co_ci_u32_e32 v28, vcc_lo, s19, v9, vcc_lo
	v_add_co_u32 v29, vcc_lo, s7, v10
	v_lshlrev_b64 v[14:15], 2, v[15:16]
	v_add_co_ci_u32_e32 v30, vcc_lo, s19, v11, vcc_lo
	;; [unrolled: 3-line block ×4, first 2 shown]
	v_ashrrev_i32_e32 v24, 31, v23
	v_add_co_u32 v35, vcc_lo, s7, v16
	v_lshlrev_b64 v[20:21], 2, v[21:22]
	v_add_co_ci_u32_e32 v36, vcc_lo, s19, v17, vcc_lo
	v_add_co_u32 v37, vcc_lo, s7, v18
	v_lshlrev_b64 v[22:23], 2, v[23:24]
	v_add_co_ci_u32_e32 v38, vcc_lo, s19, v19, vcc_lo
	s_clause 0x5
	global_load_b32 v43, v[27:28], off
	global_load_b32 v44, v[29:30], off
	;; [unrolled: 1-line block ×6, first 2 shown]
	v_add_co_u32 v27, vcc_lo, s7, v20
	v_add_co_ci_u32_e32 v28, vcc_lo, s19, v21, vcc_lo
	v_add_co_u32 v29, vcc_lo, s7, v22
	v_add_co_ci_u32_e32 v30, vcc_lo, s19, v23, vcc_lo
	s_clause 0x1
	global_load_b32 v27, v[27:28], off
	global_load_b32 v28, v[29:30], off
	v_mbcnt_lo_u32_b32 v29, -1, 0
	s_add_u32 s7, s8, s20
	s_addc_u32 s8, s9, s21
	s_add_u32 s7, s7, s10
	s_addc_u32 s8, s8, s11
	v_xor_b32_e32 v1, 16, v29
	v_xor_b32_e32 v24, 8, v29
	s_delay_alu instid0(VALU_DEP_2) | instskip(SKIP_1) | instid1(VALU_DEP_3)
	v_cmp_gt_i32_e32 vcc_lo, 32, v1
	v_cndmask_b32_e32 v1, v29, v1, vcc_lo
	v_cmp_gt_i32_e32 vcc_lo, 32, v24
	s_delay_alu instid0(VALU_DEP_2) | instskip(SKIP_2) | instid1(VALU_DEP_1)
	v_dual_cndmask_b32 v30, v29, v24 :: v_dual_lshlrev_b32 v1, 2, v1
	s_waitcnt vmcnt(10)
	v_dual_max_f32 v35, v39, v39 :: v_dual_max_f32 v24, v40, v40
	v_max_f32_e32 v35, v35, v24
	v_add_co_u32 v24, vcc_lo, s7, v25
	v_add_co_ci_u32_e32 v25, vcc_lo, s8, v26, vcc_lo
	s_waitcnt vmcnt(8)
	s_delay_alu instid0(VALU_DEP_3)
	v_max3_f32 v26, v35, v41, v42
	v_add_co_u32 v2, vcc_lo, s7, v2
	v_add_co_ci_u32_e32 v3, vcc_lo, s8, v3, vcc_lo
	v_add_co_u32 v4, vcc_lo, s7, v4
	v_add_co_ci_u32_e32 v5, vcc_lo, s8, v5, vcc_lo
	;; [unrolled: 2-line block ×3, first 2 shown]
	s_clause 0x1
	global_load_b32 v24, v[24:25], off
	global_load_b32 v25, v[2:3], off
	v_add_co_u32 v2, vcc_lo, s7, v8
	v_add_co_ci_u32_e32 v3, vcc_lo, s8, v9, vcc_lo
	global_load_b32 v35, v[4:5], off
	v_add_co_u32 v4, vcc_lo, s7, v10
	s_waitcnt vmcnt(9)
	v_max3_f32 v26, v26, v43, v44
	v_add_co_ci_u32_e32 v5, vcc_lo, s8, v11, vcc_lo
	global_load_b32 v10, v[6:7], off
	v_add_co_u32 v6, vcc_lo, s7, v12
	s_waitcnt vmcnt(8)
	v_max3_f32 v26, v26, v31, v32
	v_add_co_ci_u32_e32 v7, vcc_lo, s8, v13, vcc_lo
	s_clause 0x1
	global_load_b32 v12, v[2:3], off
	global_load_b32 v4, v[4:5], off
	s_waitcnt vmcnt(8)
	v_max3_f32 v26, v26, v33, v34
	v_add_co_u32 v2, vcc_lo, s7, v14
	v_add_co_ci_u32_e32 v3, vcc_lo, s8, v15, vcc_lo
	s_waitcnt vmcnt(6)
	s_delay_alu instid0(VALU_DEP_3)
	v_max3_f32 v26, v26, v27, v28
	v_add_co_u32 v8, vcc_lo, s7, v16
	v_add_co_ci_u32_e32 v9, vcc_lo, s8, v17, vcc_lo
	ds_bpermute_b32 v11, v1, v26
	s_clause 0x2
	global_load_b32 v6, v[6:7], off
	global_load_b32 v7, v[2:3], off
	global_load_b32 v8, v[8:9], off
	v_lshlrev_b32_e32 v5, 2, v30
	v_add_co_u32 v2, vcc_lo, s7, v18
	v_add_co_ci_u32_e32 v3, vcc_lo, s8, v19, vcc_lo
	v_xor_b32_e32 v15, 4, v29
	v_xor_b32_e32 v16, 1, v29
	s_waitcnt lgkmcnt(0)
	v_max_f32_e32 v9, v11, v11
	global_load_b32 v11, v[2:3], off
	v_add_co_u32 v2, vcc_lo, s7, v20
	v_add_co_ci_u32_e32 v3, vcc_lo, s8, v21, vcc_lo
	v_max_f32_e32 v9, v26, v9
	global_load_b32 v14, v[2:3], off
	v_add_co_u32 v2, vcc_lo, s7, v22
	ds_bpermute_b32 v13, v5, v9
	v_add_co_ci_u32_e32 v3, vcc_lo, s8, v23, vcc_lo
	v_cmp_gt_i32_e32 vcc_lo, 32, v15
	s_mov_b32 s7, exec_lo
	global_load_b32 v3, v[2:3], off
	v_cndmask_b32_e32 v15, v29, v15, vcc_lo
	s_waitcnt lgkmcnt(0)
	s_delay_alu instid0(VALU_DEP_1) | instskip(SKIP_1) | instid1(VALU_DEP_2)
	v_dual_max_f32 v2, v13, v13 :: v_dual_lshlrev_b32 v13, 2, v15
	v_xor_b32_e32 v15, 2, v29
	v_max_f32_e32 v2, v9, v2
	s_delay_alu instid0(VALU_DEP_2) | instskip(SKIP_3) | instid1(VALU_DEP_2)
	v_cmp_gt_i32_e32 vcc_lo, 32, v15
	ds_bpermute_b32 v9, v13, v2
	v_cndmask_b32_e32 v15, v29, v15, vcc_lo
	v_cmp_gt_i32_e32 vcc_lo, 32, v16
	v_dual_cndmask_b32 v16, v29, v16 :: v_dual_lshlrev_b32 v15, 2, v15
	s_waitcnt lgkmcnt(0)
	s_delay_alu instid0(VALU_DEP_1) | instskip(NEXT) | instid1(VALU_DEP_1)
	v_dual_max_f32 v9, v9, v9 :: v_dual_lshlrev_b32 v16, 2, v16
	v_max_f32_e32 v2, v2, v9
	ds_bpermute_b32 v9, v15, v2
	s_waitcnt lgkmcnt(0)
	v_max_f32_e32 v9, v9, v9
	s_delay_alu instid0(VALU_DEP_1) | instskip(SKIP_3) | instid1(VALU_DEP_1)
	v_max_f32_e32 v2, v2, v9
	ds_bpermute_b32 v9, v16, v2
	s_waitcnt lgkmcnt(0)
	v_max_f32_e32 v9, v9, v9
	v_max_f32_e32 v2, v2, v9
	v_sub_nc_u32_e32 v9, s40, v0
	s_delay_alu instid0(VALU_DEP_2)
	v_sub_f32_e32 v21, v43, v2
	v_sub_f32_e32 v30, v34, v2
	;; [unrolled: 1-line block ×5, first 2 shown]
	v_mul_f32_e32 v34, 0x3fb8aa3b, v21
	v_sub_f32_e32 v18, v40, v2
	v_mul_f32_e32 v36, 0x3fb8aa3b, v22
	v_mul_f32_e32 v32, 0x3fb8aa3b, v19
	;; [unrolled: 1-line block ×3, first 2 shown]
	v_fma_f32 v51, 0x3fb8aa3b, v21, -v34
	v_rndne_f32_e32 v52, v34
	v_mul_f32_e32 v40, 0x3fb8aa3b, v30
	v_fma_f32 v53, 0x3fb8aa3b, v22, -v36
	v_rndne_f32_e32 v54, v36
	s_delay_alu instid0(VALU_DEP_4)
	v_dual_fmac_f32 v51, 0x32a5705f, v21 :: v_dual_sub_f32 v34, v34, v52
	v_sub_f32_e32 v20, v42, v2
	v_fma_f32 v47, 0x3fb8aa3b, v19, -v32
	v_rndne_f32_e32 v48, v32
	v_fma_f32 v57, 0x3fb8aa3b, v26, -v38
	v_add_f32_e32 v34, v34, v51
	v_rndne_f32_e32 v58, v38
	v_fma_f32 v61, 0x3fb8aa3b, v30, -v40
	v_rndne_f32_e32 v62, v40
	v_cvt_i32_f32_e32 v52, v52
	v_exp_f32_e32 v34, v34
	v_fmac_f32_e32 v53, 0x32a5705f, v22
	v_sub_f32_e32 v36, v36, v54
	v_sub_f32_e32 v23, v31, v2
	v_dual_sub_f32 v17, v39, v2 :: v_dual_sub_f32 v32, v32, v48
	v_fmac_f32_e32 v57, 0x32a5705f, v26
	v_sub_f32_e32 v38, v38, v58
	v_sub_f32_e32 v29, v33, v2
	v_dual_mul_f32 v33, 0x3fb8aa3b, v20 :: v_dual_sub_f32 v40, v40, v62
	v_fmac_f32_e32 v61, 0x32a5705f, v30
	v_sub_f32_e32 v27, v27, v2
	v_sub_f32_e32 v2, v28, v2
	v_dual_add_f32 v36, v36, v53 :: v_dual_mul_f32 v37, 0x3fb8aa3b, v23
	v_ldexp_f32 v34, v34, v52
	v_fmac_f32_e32 v47, 0x32a5705f, v19
	s_delay_alu instid0(VALU_DEP_4)
	v_mul_f32_e32 v42, 0x3fb8aa3b, v2
	v_mul_f32_e32 v28, 0x3fb8aa3b, v17
	v_add_f32_e32 v40, v40, v61
	v_cvt_i32_f32_e32 v48, v48
	v_add_f32_e32 v32, v32, v47
	v_fma_f32 v65, 0x3fb8aa3b, v2, -v42
	v_rndne_f32_e32 v66, v42
	v_fma_f32 v43, 0x3fb8aa3b, v17, -v28
	v_rndne_f32_e32 v44, v28
	v_exp_f32_e32 v32, v32
	v_fmac_f32_e32 v65, 0x32a5705f, v2
	v_sub_f32_e32 v42, v42, v66
	v_dual_mul_f32 v31, 0x3fb8aa3b, v18 :: v_dual_add_f32 v38, v38, v57
	v_mul_f32_e32 v39, 0x3fb8aa3b, v29
	v_exp_f32_e32 v36, v36
	v_exp_f32_e32 v40, v40
	v_sub_f32_e32 v28, v28, v44
	v_cvt_i32_f32_e32 v54, v54
	v_cvt_i32_f32_e32 v62, v62
	v_add_f32_e32 v42, v42, v65
	v_fma_f32 v45, 0x3fb8aa3b, v18, -v31
	v_rndne_f32_e32 v46, v31
	v_ldexp_f32 v32, v32, v48
	v_fmac_f32_e32 v43, 0x32a5705f, v17
	v_ldexp_f32 v36, v36, v54
	v_fmac_f32_e32 v45, 0x32a5705f, v18
	v_ldexp_f32 v40, v40, v62
	s_delay_alu instid0(VALU_DEP_4) | instskip(SKIP_3) | instid1(VALU_DEP_3)
	v_dual_sub_f32 v31, v31, v46 :: v_dual_add_f32 v28, v28, v43
	v_cvt_i32_f32_e32 v44, v44
	v_cvt_i32_f32_e32 v46, v46
	v_exp_f32_e32 v38, v38
	v_add_f32_e32 v31, v31, v45
	v_exp_f32_e32 v28, v28
	v_cmp_ngt_f32_e32 vcc_lo, 0xc2ce8ed0, v17
	v_fma_f32 v49, 0x3fb8aa3b, v20, -v33
	v_rndne_f32_e32 v50, v33
	v_exp_f32_e32 v31, v31
	v_cvt_i32_f32_e32 v58, v58
	v_fma_f32 v55, 0x3fb8aa3b, v23, -v37
	v_rndne_f32_e32 v56, v37
	v_fma_f32 v59, 0x3fb8aa3b, v29, -v39
	v_rndne_f32_e32 v60, v39
	v_ldexp_f32 v28, v28, v44
	v_mul_f32_e32 v41, 0x3fb8aa3b, v27
	v_ldexp_f32 v38, v38, v58
	v_fmac_f32_e32 v49, 0x32a5705f, v20
	v_ldexp_f32 v31, v31, v46
	v_cndmask_b32_e32 v28, 0, v28, vcc_lo
	v_cmp_ngt_f32_e32 vcc_lo, 0xc2ce8ed0, v18
	v_fmac_f32_e32 v55, 0x32a5705f, v23
	v_fmac_f32_e32 v59, 0x32a5705f, v29
	v_rndne_f32_e32 v64, v41
	v_fma_f32 v63, 0x3fb8aa3b, v27, -v41
	v_cndmask_b32_e32 v31, 0, v31, vcc_lo
	v_sub_f32_e32 v33, v33, v50
	v_cvt_i32_f32_e32 v50, v50
	v_cmp_ngt_f32_e32 vcc_lo, 0xc2ce8ed0, v19
	v_exp_f32_e32 v42, v42
	s_delay_alu instid0(VALU_DEP_3) | instskip(SKIP_1) | instid1(VALU_DEP_2)
	v_dual_add_f32 v33, v33, v49 :: v_dual_cndmask_b32 v32, 0, v32
	v_cmp_ngt_f32_e32 vcc_lo, 0xc2ce8ed0, v20
	v_exp_f32_e32 v33, v33
	s_waitcnt_depctr 0xfff
	v_ldexp_f32 v33, v33, v50
	s_delay_alu instid0(VALU_DEP_1) | instskip(SKIP_3) | instid1(VALU_DEP_3)
	v_cndmask_b32_e32 v33, 0, v33, vcc_lo
	v_sub_f32_e32 v37, v37, v56
	v_cmp_ngt_f32_e32 vcc_lo, 0xc2ce8ed0, v21
	v_cvt_i32_f32_e32 v56, v56
	v_dual_add_f32 v37, v37, v55 :: v_dual_cndmask_b32 v34, 0, v34
	v_cmp_ngt_f32_e32 vcc_lo, 0xc2ce8ed0, v22
	s_delay_alu instid0(VALU_DEP_2) | instskip(SKIP_4) | instid1(VALU_DEP_1)
	v_exp_f32_e32 v37, v37
	v_cndmask_b32_e32 v36, 0, v36, vcc_lo
	v_cmp_ngt_f32_e32 vcc_lo, 0xc2ce8ed0, v23
	s_waitcnt_depctr 0xfff
	v_ldexp_f32 v37, v37, v56
	v_cndmask_b32_e32 v37, 0, v37, vcc_lo
	v_cmp_ngt_f32_e32 vcc_lo, 0xc2ce8ed0, v26
	v_dual_cndmask_b32 v38, 0, v38 :: v_dual_sub_f32 v39, v39, v60
	v_cvt_i32_f32_e32 v60, v60
	v_cmp_ngt_f32_e32 vcc_lo, 0xc2ce8ed0, v29
	s_delay_alu instid0(VALU_DEP_3) | instskip(NEXT) | instid1(VALU_DEP_1)
	v_add_f32_e32 v39, v39, v59
	v_exp_f32_e32 v39, v39
	s_waitcnt_depctr 0xfff
	v_ldexp_f32 v39, v39, v60
	s_delay_alu instid0(VALU_DEP_1)
	v_cndmask_b32_e32 v39, 0, v39, vcc_lo
	v_cmp_ngt_f32_e32 vcc_lo, 0xc2ce8ed0, v30
	v_cndmask_b32_e32 v40, 0, v40, vcc_lo
	v_cmp_nlt_f32_e32 vcc_lo, 0x42b17218, v17
	v_cndmask_b32_e32 v17, 0x7f800000, v28, vcc_lo
	v_cmp_nlt_f32_e32 vcc_lo, 0x42b17218, v18
	;; [unrolled: 2-line block ×6, first 2 shown]
	v_cndmask_b32_e32 v22, 0x7f800000, v36, vcc_lo
	v_cmp_lt_i32_e32 vcc_lo, 0, v9
	v_cndmask_b32_e32 v17, 0, v17, vcc_lo
	v_cmp_lt_i32_e32 vcc_lo, 32, v9
	s_waitcnt vmcnt(11)
	s_delay_alu instid0(VALU_DEP_2) | instskip(SKIP_2) | instid1(VALU_DEP_2)
	v_dual_mul_f32 v17, v24, v17 :: v_dual_cndmask_b32 v18, 0, v18
	v_cmp_nlt_f32_e32 vcc_lo, 0x42b17218, v23
	s_waitcnt vmcnt(10)
	v_dual_mul_f32 v18, v25, v18 :: v_dual_cndmask_b32 v23, 0x7f800000, v37
	v_cmp_lt_i32_e32 vcc_lo, 64, v9
	v_cndmask_b32_e32 v19, 0, v19, vcc_lo
	v_cmp_nlt_f32_e32 vcc_lo, 0x42b17218, v26
	v_cndmask_b32_e32 v24, 0x7f800000, v38, vcc_lo
	v_cmp_lt_i32_e32 vcc_lo, 0x60, v9
	v_cndmask_b32_e32 v20, 0, v20, vcc_lo
	v_cmp_nlt_f32_e32 vcc_lo, 0x42b17218, v29
	v_sub_f32_e32 v41, v41, v64
	v_cvt_i32_f32_e32 v64, v64
	s_waitcnt vmcnt(8)
	v_mul_f32_e32 v10, v10, v20
	v_cndmask_b32_e32 v26, 0x7f800000, v39, vcc_lo
	v_cmp_lt_i32_e32 vcc_lo, 0x80, v9
	v_cndmask_b32_e32 v21, 0, v21, vcc_lo
	v_cmp_lt_i32_e32 vcc_lo, 0xa0, v9
	s_waitcnt vmcnt(7)
	s_delay_alu instid0(VALU_DEP_2) | instskip(SKIP_3) | instid1(VALU_DEP_2)
	v_dual_fmac_f32 v63, 0x32a5705f, v27 :: v_dual_mul_f32 v12, v12, v21
	v_cndmask_b32_e32 v22, 0, v22, vcc_lo
	v_cmp_lt_i32_e32 vcc_lo, 0xc0, v9
	s_waitcnt vmcnt(6)
	v_dual_mul_f32 v4, v4, v22 :: v_dual_cndmask_b32 v23, 0, v23
	v_cmp_lt_i32_e32 vcc_lo, 0xe0, v9
	s_waitcnt vmcnt(5)
	s_delay_alu instid0(VALU_DEP_2) | instskip(SKIP_3) | instid1(VALU_DEP_3)
	v_dual_mul_f32 v6, v6, v23 :: v_dual_cndmask_b32 v21, 0, v24
	v_cmp_lt_i32_e32 vcc_lo, 0x100, v9
	v_cvt_i32_f32_e32 v23, v66
	s_waitcnt vmcnt(4)
	v_dual_mul_f32 v7, v7, v21 :: v_dual_cndmask_b32 v24, 0, v26
	v_cmp_nlt_f32_e32 vcc_lo, 0x42b17218, v30
	s_waitcnt vmcnt(3)
	s_delay_alu instid0(VALU_DEP_2) | instskip(SKIP_1) | instid1(VALU_DEP_2)
	v_dual_add_f32 v41, v41, v63 :: v_dual_mul_f32 v8, v8, v24
	v_cndmask_b32_e32 v22, 0x7f800000, v40, vcc_lo
	v_exp_f32_e32 v41, v41
	v_cmp_ngt_f32_e32 vcc_lo, 0xc2ce8ed0, v27
	s_waitcnt_depctr 0xfff
	v_ldexp_f32 v41, v41, v64
	s_delay_alu instid0(VALU_DEP_1) | instskip(SKIP_4) | instid1(VALU_DEP_2)
	v_cndmask_b32_e32 v21, 0, v41, vcc_lo
	v_cmp_lt_i32_e32 vcc_lo, 0x120, v9
	v_cndmask_b32_e32 v22, 0, v22, vcc_lo
	v_cmp_nlt_f32_e32 vcc_lo, 0x42b17218, v27
	s_waitcnt vmcnt(2)
	v_mul_f32_e32 v11, v11, v22
	v_cndmask_b32_e32 v21, 0x7f800000, v21, vcc_lo
	v_cmp_lt_i32_e32 vcc_lo, 0x140, v9
	v_ldexp_f32 v22, v42, v23
	s_delay_alu instid0(VALU_DEP_3) | instskip(SKIP_2) | instid1(VALU_DEP_2)
	v_cndmask_b32_e32 v21, 0, v21, vcc_lo
	v_cmp_ngt_f32_e32 vcc_lo, 0xc2ce8ed0, v2
	s_waitcnt vmcnt(1)
	v_mul_f32_e32 v14, v14, v21
	v_cndmask_b32_e32 v22, 0, v22, vcc_lo
	v_cmp_nlt_f32_e32 vcc_lo, 0x42b17218, v2
	s_delay_alu instid0(VALU_DEP_2) | instskip(SKIP_1) | instid1(VALU_DEP_2)
	v_dual_mul_f32 v19, v35, v19 :: v_dual_cndmask_b32 v2, 0x7f800000, v22
	v_cmp_lt_i32_e32 vcc_lo, 0x160, v9
	v_cndmask_b32_e32 v9, 0, v2, vcc_lo
	v_add_f32_e32 v25, v17, v18
	s_delay_alu instid0(VALU_DEP_1) | instskip(NEXT) | instid1(VALU_DEP_1)
	v_add_f32_e32 v20, v25, v19
	v_add_f32_e32 v20, v20, v10
	s_delay_alu instid0(VALU_DEP_1) | instskip(NEXT) | instid1(VALU_DEP_1)
	v_add_f32_e32 v20, v20, v12
	;; [unrolled: 3-line block ×4, first 2 shown]
	v_add_f32_e32 v20, v20, v11
	s_delay_alu instid0(VALU_DEP_1) | instskip(SKIP_1) | instid1(VALU_DEP_1)
	v_add_f32_e32 v2, v20, v14
	s_waitcnt vmcnt(0)
	v_fmac_f32_e32 v2, v3, v9
	v_mul_f32_e32 v3, v3, v9
	ds_bpermute_b32 v1, v1, v2
	s_waitcnt lgkmcnt(0)
	v_add_f32_e32 v1, v2, v1
	ds_bpermute_b32 v2, v5, v1
	v_lshlrev_b32_e32 v5, 2, v0
	s_delay_alu instid0(VALU_DEP_1)
	v_add_nc_u32_e32 v9, 0x400, v5
	ds_store_2addr_b32 v5, v17, v18 offset1:32
	ds_store_2addr_b32 v5, v19, v10 offset0:64 offset1:96
	ds_store_2addr_b32 v5, v12, v4 offset0:128 offset1:160
	;; [unrolled: 1-line block ×3, first 2 shown]
	ds_store_2addr_b32 v9, v8, v11 offset1:32
	ds_store_2addr_b32 v9, v14, v3 offset0:64 offset1:96
	s_waitcnt lgkmcnt(6)
	v_add_f32_e32 v1, v1, v2
	ds_bpermute_b32 v2, v13, v1
	s_waitcnt lgkmcnt(0)
	v_add_f32_e32 v1, v1, v2
	ds_bpermute_b32 v2, v15, v1
	;; [unrolled: 3-line block ×3, first 2 shown]
	v_cmpx_eq_u32_e32 0, v0
	s_cbranch_execz .LBB609_8
; %bb.7:
	s_waitcnt lgkmcnt(0)
	v_dual_add_f32 v1, v1, v2 :: v_dual_mov_b32 v2, 0
	ds_store_b32 v2, v1 offset:1536
.LBB609_8:
	s_or_b32 exec_lo, exec_lo, s7
	v_mov_b32_e32 v1, s6
.LBB609_9:
	s_or_b32 exec_lo, exec_lo, s24
	s_lshl_b32 s6, s18, 7
	s_mov_b32 s7, 0
	s_waitcnt lgkmcnt(0)
	v_dual_mov_b32 v2, 0 :: v_dual_lshlrev_b32 v1, 7, v1
	s_lshl_b64 s[6:7], s[6:7], 1
	v_dual_mov_b32 v31, 0 :: v_dual_mov_b32 v32, 0
	s_add_u32 s34, s4, s6
	s_addc_u32 s35, s5, s7
	s_lshl_b32 s41, s40, 7
	v_lshlrev_b64 v[3:4], 1, v[1:2]
	s_add_i32 s42, s41, 0xffffff80
	s_cmpk_lt_i32 s22, 0x100
	v_lshlrev_b32_e32 v1, 1, v0
	s_cselect_b32 s4, s42, 0
	v_dual_mov_b32 v33, 0 :: v_dual_mov_b32 v34, 0
	s_ashr_i32 s5, s4, 31
	v_add_co_u32 v3, vcc_lo, s34, v3
	s_lshl_b64 s[4:5], s[4:5], 1
	s_cmpk_lt_i32 s22, 0x200
	v_add_co_ci_u32_e32 v4, vcc_lo, s35, v4, vcc_lo
	s_cselect_b32 s6, s42, 0x80
	v_add_co_u32 v1, vcc_lo, v3, v1
	s_ashr_i32 s7, s6, 31
	s_delay_alu instid0(VALU_DEP_2)
	v_add_co_ci_u32_e32 v3, vcc_lo, 0, v4, vcc_lo
	s_lshl_b64 s[6:7], s[6:7], 1
	s_cmpk_lt_i32 s22, 0x300
	v_add_co_u32 v4, vcc_lo, v1, s4
	s_cselect_b32 s8, s42, 0x100
	v_add_co_ci_u32_e32 v5, vcc_lo, s5, v3, vcc_lo
	s_ashr_i32 s9, s8, 31
	v_add_co_u32 v6, vcc_lo, v1, s6
	s_lshl_b64 s[8:9], s[8:9], 1
	s_cmpk_lt_i32 s22, 0x400
	v_add_co_ci_u32_e32 v7, vcc_lo, s7, v3, vcc_lo
	s_cselect_b32 s10, s42, 0x180
	v_add_co_u32 v8, vcc_lo, v1, s8
	s_ashr_i32 s11, s10, 31
	v_add_co_ci_u32_e32 v9, vcc_lo, s9, v3, vcc_lo
	s_lshl_b64 s[10:11], s[10:11], 1
	s_cmpk_lt_i32 s22, 0x500
	v_add_co_u32 v11, vcc_lo, v1, s10
	s_cselect_b32 s18, s42, 0x200
	v_add_co_ci_u32_e32 v12, vcc_lo, s11, v3, vcc_lo
	s_ashr_i32 s19, s18, 31
	v_mov_b32_e32 v35, 0
	s_lshl_b64 s[18:19], s[18:19], 1
	s_cmpk_lt_i32 s22, 0x600
	v_add_co_u32 v14, vcc_lo, v1, s18
	s_cselect_b32 s20, s42, 0x280
	v_add_co_ci_u32_e32 v15, vcc_lo, s19, v3, vcc_lo
	s_ashr_i32 s21, s20, 31
	v_mov_b32_e32 v30, 0
	s_lshl_b64 s[20:21], s[20:21], 1
	s_cmpk_lt_i32 s22, 0x700
	v_add_co_u32 v16, vcc_lo, v1, s20
	s_cselect_b32 s24, s42, 0x300
	v_add_co_ci_u32_e32 v17, vcc_lo, s21, v3, vcc_lo
	s_ashr_i32 s25, s24, 31
	s_delay_alu instid0(SALU_CYCLE_1)
	s_lshl_b64 s[24:25], s[24:25], 1
	s_cmpk_lt_i32 s22, 0x800
	v_add_co_u32 v18, vcc_lo, v1, s24
	s_cselect_b32 s26, s42, 0x380
	v_add_co_ci_u32_e32 v19, vcc_lo, s25, v3, vcc_lo
	s_ashr_i32 s27, s26, 31
	s_delay_alu instid0(SALU_CYCLE_1)
	s_lshl_b64 s[26:27], s[26:27], 1
	s_cmpk_lt_i32 s22, 0x900
	v_add_co_u32 v20, vcc_lo, v1, s26
	s_cselect_b32 s28, s42, 0x400
	v_add_co_ci_u32_e32 v21, vcc_lo, s27, v3, vcc_lo
	s_ashr_i32 s29, s28, 31
	s_clause 0x7
	global_load_u16 v13, v[4:5], off
	global_load_u16 v4, v[6:7], off
	;; [unrolled: 1-line block ×8, first 2 shown]
	s_lshl_b64 s[28:29], s[28:29], 1
	s_cmpk_lt_i32 s22, 0xa00
	v_add_co_u32 v11, vcc_lo, v1, s28
	s_cselect_b32 s30, s42, 0x480
	v_add_co_ci_u32_e32 v12, vcc_lo, s29, v3, vcc_lo
	s_ashr_i32 s31, s30, 31
	s_delay_alu instid0(SALU_CYCLE_1)
	s_lshl_b64 s[30:31], s[30:31], 1
	s_cmpk_lt_i32 s22, 0xb00
	v_add_co_u32 v14, vcc_lo, v1, s30
	s_cselect_b32 s34, s42, 0x500
	v_add_co_ci_u32_e32 v15, vcc_lo, s31, v3, vcc_lo
	s_ashr_i32 s35, s34, 31
	s_delay_alu instid0(SALU_CYCLE_1)
	;; [unrolled: 7-line block ×7, first 2 shown]
	s_lshl_b64 s[4:5], s[6:7], 1
	s_cmpk_gt_i32 s23, 0x1000
	v_add_co_u32 v28, vcc_lo, v1, s4
	v_add_co_ci_u32_e32 v29, vcc_lo, s5, v3, vcc_lo
	s_clause 0x7
	global_load_u16 v19, v[11:12], off
	global_load_u16 v18, v[14:15], off
	;; [unrolled: 1-line block ×8, first 2 shown]
	v_dual_mov_b32 v20, 0 :: v_dual_mov_b32 v21, 0
	v_dual_mov_b32 v22, 0 :: v_dual_mov_b32 v23, 0
	;; [unrolled: 1-line block ×5, first 2 shown]
	s_cselect_b32 s6, -1, 0
	s_cmpk_lt_i32 s23, 0x1001
	s_waitcnt vmcnt(0)
	s_barrier
	buffer_gl0_inv
	s_cbranch_scc1 .LBB609_11
; %bb.10:
	s_cmpk_lt_i32 s22, 0x1100
	s_cselect_b32 s4, s42, 0x800
	s_delay_alu instid0(SALU_CYCLE_1) | instskip(NEXT) | instid1(SALU_CYCLE_1)
	s_ashr_i32 s5, s4, 31
	s_lshl_b64 s[4:5], s[4:5], 1
	s_cmpk_lt_i32 s22, 0x1200
	v_add_co_u32 v20, vcc_lo, v1, s4
	s_cselect_b32 s8, s42, 0x880
	v_add_co_ci_u32_e32 v21, vcc_lo, s5, v3, vcc_lo
	s_ashr_i32 s9, s8, 31
	s_delay_alu instid0(SALU_CYCLE_1)
	s_lshl_b64 s[8:9], s[8:9], 1
	s_cmpk_lt_i32 s22, 0x1300
	v_add_co_u32 v22, vcc_lo, v1, s8
	s_cselect_b32 s10, s42, 0x900
	v_add_co_ci_u32_e32 v23, vcc_lo, s9, v3, vcc_lo
	s_ashr_i32 s11, s10, 31
	s_delay_alu instid0(SALU_CYCLE_1)
	;; [unrolled: 7-line block ×14, first 2 shown]
	s_lshl_b64 s[4:5], s[18:19], 1
	s_cmpk_lt_i32 s22, 0x2000
	v_add_co_u32 v48, vcc_lo, v1, s4
	s_cselect_b32 s8, s42, 0xf80
	v_add_co_ci_u32_e32 v49, vcc_lo, s5, v3, vcc_lo
	s_ashr_i32 s9, s8, 31
	s_delay_alu instid0(SALU_CYCLE_1) | instskip(NEXT) | instid1(SALU_CYCLE_1)
	s_lshl_b64 s[4:5], s[8:9], 1
	v_add_co_u32 v50, vcc_lo, v1, s4
	v_add_co_ci_u32_e32 v51, vcc_lo, s5, v3, vcc_lo
	s_clause 0xf
	global_load_u16 v20, v[20:21], off
	global_load_u16 v21, v[22:23], off
	;; [unrolled: 1-line block ×16, first 2 shown]
	s_waitcnt vmcnt(15)
	v_lshlrev_b32_e32 v35, 16, v20
	s_waitcnt vmcnt(14)
	v_lshlrev_b32_e32 v34, 16, v21
	;; [unrolled: 2-line block ×16, first 2 shown]
.LBB609_11:
	ds_load_b128 v[36:39], v2
	ds_load_b128 v[40:43], v2 offset:16
	v_lshlrev_b32_e32 v44, 16, v4
	v_lshlrev_b32_e32 v13, 16, v13
	;; [unrolled: 1-line block ×5, first 2 shown]
	s_load_b64 s[0:1], s[0:1], 0x0
	s_and_b32 vcc_lo, exec_lo, s6
	v_lshlrev_b32_e32 v5, 16, v5
	s_waitcnt lgkmcnt(0)
	v_fma_f32 v4, v36, v13, 0
	s_delay_alu instid0(VALU_DEP_1) | instskip(NEXT) | instid1(VALU_DEP_1)
	v_dual_fmac_f32 v4, v37, v44 :: v_dual_lshlrev_b32 v13, 16, v7
	v_dual_fmac_f32 v4, v38, v10 :: v_dual_lshlrev_b32 v9, 16, v9
	s_delay_alu instid0(VALU_DEP_1) | instskip(SKIP_4) | instid1(VALU_DEP_1)
	v_fmac_f32_e32 v4, v39, v9
	ds_load_b128 v[36:39], v2 offset:48
	v_fmac_f32_e32 v4, v40, v8
	ds_load_b128 v[7:10], v2 offset:32
	v_fmac_f32_e32 v4, v41, v13
	v_fmac_f32_e32 v4, v42, v6
	v_lshlrev_b32_e32 v6, 16, v19
	s_delay_alu instid0(VALU_DEP_2) | instskip(SKIP_1) | instid1(VALU_DEP_1)
	v_dual_fmac_f32 v4, v43, v5 :: v_dual_lshlrev_b32 v5, 16, v18
	s_waitcnt lgkmcnt(0)
	v_fmac_f32_e32 v4, v7, v6
	v_lshlrev_b32_e32 v6, 16, v17
	s_delay_alu instid0(VALU_DEP_2) | instskip(NEXT) | instid1(VALU_DEP_1)
	v_dual_fmac_f32 v4, v8, v5 :: v_dual_lshlrev_b32 v5, 16, v16
	v_fmac_f32_e32 v4, v9, v6
	v_lshlrev_b32_e32 v6, 16, v15
	s_delay_alu instid0(VALU_DEP_2) | instskip(NEXT) | instid1(VALU_DEP_1)
	v_dual_fmac_f32 v4, v10, v5 :: v_dual_lshlrev_b32 v5, 16, v14
	;; [unrolled: 4-line block ×3, first 2 shown]
	v_fmac_f32_e32 v4, v38, v6
	s_delay_alu instid0(VALU_DEP_1)
	v_fmac_f32_e32 v4, v39, v5
	s_cbranch_vccz .LBB609_13
; %bb.12:
	ds_load_b128 v[5:8], v2 offset:64
	ds_load_b128 v[9:12], v2 offset:80
	s_waitcnt lgkmcnt(1)
	v_fmac_f32_e32 v4, v5, v35
	s_delay_alu instid0(VALU_DEP_1) | instskip(NEXT) | instid1(VALU_DEP_1)
	v_fmac_f32_e32 v4, v6, v34
	v_fmac_f32_e32 v4, v7, v33
	s_delay_alu instid0(VALU_DEP_1) | instskip(SKIP_3) | instid1(VALU_DEP_1)
	v_fmac_f32_e32 v4, v8, v32
	ds_load_b128 v[5:8], v2 offset:96
	s_waitcnt lgkmcnt(1)
	v_fmac_f32_e32 v4, v9, v31
	v_fmac_f32_e32 v4, v10, v30
	s_delay_alu instid0(VALU_DEP_1) | instskip(NEXT) | instid1(VALU_DEP_1)
	v_fmac_f32_e32 v4, v11, v29
	v_fmac_f32_e32 v4, v12, v28
	ds_load_b128 v[9:12], v2 offset:112
	s_waitcnt lgkmcnt(1)
	v_fmac_f32_e32 v4, v5, v27
	s_delay_alu instid0(VALU_DEP_1) | instskip(NEXT) | instid1(VALU_DEP_1)
	v_fmac_f32_e32 v4, v6, v26
	v_fmac_f32_e32 v4, v7, v25
	s_delay_alu instid0(VALU_DEP_1) | instskip(SKIP_1) | instid1(VALU_DEP_1)
	v_fmac_f32_e32 v4, v8, v24
	s_waitcnt lgkmcnt(0)
	v_fmac_f32_e32 v4, v9, v23
	s_delay_alu instid0(VALU_DEP_1) | instskip(NEXT) | instid1(VALU_DEP_1)
	v_fmac_f32_e32 v4, v10, v22
	v_fmac_f32_e32 v4, v11, v21
	s_delay_alu instid0(VALU_DEP_1)
	v_fmac_f32_e32 v4, v12, v20
.LBB609_13:
	s_movk_i32 s43, 0x1f80
	s_movk_i32 s44, 0x80
	s_mov_b32 s45, 32
	s_branch .LBB609_15
.LBB609_14:                             ;   in Loop: Header=BB609_15 Depth=1
	s_addk_i32 s43, 0x1000
	s_addk_i32 s44, 0x80
	s_add_i32 s45, s45, 32
	s_cmpk_eq_u32 s43, 0xcf80
	s_cbranch_scc1 .LBB609_17
.LBB609_15:                             ; =>This Inner Loop Header: Depth=1
	s_cmp_le_i32 s40, s45
	s_cbranch_scc1 .LBB609_14
; %bb.16:                               ;   in Loop: Header=BB609_15 Depth=1
	s_add_i32 s4, s43, 0xfffff080
	v_mov_b32_e32 v44, s44
	s_cmp_lt_i32 s4, s41
	s_cselect_b32 s4, s4, s42
	s_add_i32 s6, s43, 0xfffff100
	s_ashr_i32 s5, s4, 31
	s_delay_alu instid0(SALU_CYCLE_1)
	s_lshl_b64 s[38:39], s[4:5], 1
	s_cmp_lt_i32 s6, s41
	v_add_co_u32 v5, vcc_lo, v1, s38
	s_cselect_b32 s4, s6, s42
	s_add_i32 s6, s43, 0xfffff180
	s_ashr_i32 s5, s4, 31
	v_add_co_ci_u32_e32 v6, vcc_lo, s39, v3, vcc_lo
	s_lshl_b64 s[4:5], s[4:5], 1
	s_cmp_lt_i32 s6, s41
	s_cselect_b32 s6, s6, s42
	s_add_i32 s8, s43, 0xfffff200
	s_ashr_i32 s7, s6, 31
	global_load_u16 v2, v[5:6], off
	s_lshl_b64 s[6:7], s[6:7], 1
	s_cmp_lt_i32 s8, s41
	v_add_co_u32 v5, vcc_lo, v1, s4
	s_cselect_b32 s8, s8, s42
	s_add_i32 s10, s43, 0xfffff280
	s_ashr_i32 s9, s8, 31
	v_add_co_ci_u32_e32 v6, vcc_lo, s5, v3, vcc_lo
	s_lshl_b64 s[8:9], s[8:9], 1
	s_cmp_lt_i32 s10, s41
	v_add_co_u32 v7, vcc_lo, v1, s6
	s_cselect_b32 s10, s10, s42
	s_add_i32 s18, s43, 0xfffff300
	s_ashr_i32 s11, s10, 31
	v_add_co_ci_u32_e32 v8, vcc_lo, s7, v3, vcc_lo
	s_lshl_b64 s[10:11], s[10:11], 1
	s_cmp_lt_i32 s18, s41
	v_add_co_u32 v9, vcc_lo, v1, s8
	s_cselect_b32 s18, s18, s42
	s_add_i32 s20, s43, 0xfffff380
	s_ashr_i32 s19, s18, 31
	s_clause 0x1
	global_load_u16 v23, v[5:6], off
	global_load_u16 v24, v[7:8], off
	s_lshl_b64 s[18:19], s[18:19], 1
	s_cmp_lt_i32 s20, s41
	v_add_co_ci_u32_e32 v10, vcc_lo, s9, v3, vcc_lo
	s_cselect_b32 s20, s20, s42
	s_add_i32 s22, s43, 0xfffff400
	s_ashr_i32 s21, s20, 31
	global_load_u16 v25, v[9:10], off
	s_lshl_b64 s[20:21], s[20:21], 1
	s_cmp_lt_i32 s22, s41
	v_add_co_u32 v11, vcc_lo, v1, s10
	s_cselect_b32 s22, s22, s42
	s_add_i32 s24, s43, 0xfffff480
	s_ashr_i32 s23, s22, 31
	v_add_co_ci_u32_e32 v12, vcc_lo, s11, v3, vcc_lo
	s_lshl_b64 s[22:23], s[22:23], 1
	s_cmp_lt_i32 s24, s41
	v_add_co_u32 v13, vcc_lo, v1, s18
	global_load_u16 v26, v[11:12], off
	s_cselect_b32 s24, s24, s42
	s_add_i32 s26, s43, 0xfffff500
	s_ashr_i32 s25, s24, 31
	v_add_co_ci_u32_e32 v14, vcc_lo, s19, v3, vcc_lo
	s_lshl_b64 s[24:25], s[24:25], 1
	s_cmp_lt_i32 s26, s41
	v_add_co_u32 v15, vcc_lo, v1, s20
	global_load_u16 v27, v[13:14], off
	s_cselect_b32 s26, s26, s42
	s_add_i32 s28, s43, 0xfffff580
	s_ashr_i32 s27, s26, 31
	v_add_co_ci_u32_e32 v16, vcc_lo, s21, v3, vcc_lo
	s_lshl_b64 s[36:37], s[26:27], 1
	s_cmp_lt_i32 s28, s41
	v_add_co_u32 v17, vcc_lo, v1, s22
	s_cselect_b32 s26, s28, s42
	s_add_i32 s30, s43, 0xfffff600
	s_ashr_i32 s27, s26, 31
	v_add_co_ci_u32_e32 v18, vcc_lo, s23, v3, vcc_lo
	s_lshl_b64 s[28:29], s[26:27], 1
	s_cmp_lt_i32 s30, s41
	v_add_co_u32 v19, vcc_lo, v1, s24
	global_load_u16 v17, v[17:18], off
	s_cselect_b32 s26, s30, s42
	s_add_i32 s30, s43, 0xfffff680
	s_ashr_i32 s27, s26, 31
	v_add_co_ci_u32_e32 v20, vcc_lo, s25, v3, vcc_lo
	s_lshl_b64 s[26:27], s[26:27], 1
	s_cmp_lt_i32 s30, s41
	v_add_co_u32 v21, vcc_lo, v1, s36
	s_cselect_b32 s30, s30, s42
	s_add_i32 s46, s43, 0xfffff700
	s_ashr_i32 s31, s30, 31
	v_add_co_ci_u32_e32 v22, vcc_lo, s37, v3, vcc_lo
	s_lshl_b64 s[34:35], s[30:31], 1
	s_cmp_lt_i32 s46, s41
	v_add_co_u32 v5, vcc_lo, v1, s28
	;; [unrolled: 7-line block ×3, first 2 shown]
	s_cselect_b32 s46, s46, s42
	s_add_i32 s48, s43, 0xfffff800
	s_ashr_i32 s47, s46, 31
	global_load_u16 v28, v[15:16], off
	s_lshl_b64 s[38:39], s[46:47], 1
	s_cmp_lt_i32 s48, s41
	v_add_co_ci_u32_e32 v8, vcc_lo, s27, v3, vcc_lo
	s_cselect_b32 s46, s48, s42
	v_add_co_u32 v9, vcc_lo, v1, s34
	s_ashr_i32 s47, s46, 31
	s_add_i32 s4, s43, 0xfffff880
	s_lshl_b64 s[46:47], s[46:47], 1
	v_add_co_ci_u32_e32 v10, vcc_lo, s35, v3, vcc_lo
	s_cmp_lt_i32 s4, s41
	v_add_co_u32 v11, vcc_lo, v1, s30
	s_cselect_b32 s4, s4, s42
	v_add_co_ci_u32_e32 v12, vcc_lo, s31, v3, vcc_lo
	v_add_co_u32 v13, vcc_lo, v1, s38
	s_ashr_i32 s5, s4, 31
	s_add_i32 s6, s43, 0xfffff900
	v_add_co_ci_u32_e32 v14, vcc_lo, s39, v3, vcc_lo
	global_load_u16 v18, v[19:20], off
	s_lshl_b64 s[8:9], s[4:5], 1
	s_cmp_lt_i32 s6, s41
	global_load_u16 v30, v[13:14], off
	s_cselect_b32 s4, s6, s42
	global_load_u16 v19, v[21:22], off
	s_ashr_i32 s5, s4, 31
	s_add_i32 s6, s43, 0xfffff980
	s_lshl_b64 s[10:11], s[4:5], 1
	s_cmp_lt_i32 s6, s41
	s_clause 0x3
	global_load_u16 v20, v[5:6], off
	global_load_u16 v21, v[7:8], off
	global_load_u16 v22, v[9:10], off
	global_load_u16 v29, v[11:12], off
	s_cselect_b32 s4, s6, s42
	s_add_i32 s6, s43, 0xfffffa00
	s_ashr_i32 s5, s4, 31
	v_add_co_u32 v15, vcc_lo, v1, s46
	s_lshl_b64 s[4:5], s[4:5], 1
	s_cmp_lt_i32 s6, s41
	v_add_co_ci_u32_e32 v16, vcc_lo, s47, v3, vcc_lo
	s_cselect_b32 s6, s6, s42
	s_add_i32 s18, s43, 0xfffffa80
	s_ashr_i32 s7, s6, 31
	v_add_co_u32 v5, vcc_lo, v1, s8
	s_lshl_b64 s[6:7], s[6:7], 1
	s_cmp_lt_i32 s18, s41
	v_add_co_ci_u32_e32 v6, vcc_lo, s9, v3, vcc_lo
	s_cselect_b32 s18, s18, s42
	v_add_co_u32 v7, vcc_lo, v1, s10
	s_ashr_i32 s19, s18, 31
	s_add_i32 s20, s43, 0xfffffb00
	s_lshl_b64 s[18:19], s[18:19], 1
	v_add_co_ci_u32_e32 v8, vcc_lo, s11, v3, vcc_lo
	s_cmp_lt_i32 s20, s41
	v_add_co_u32 v9, vcc_lo, v1, s4
	s_cselect_b32 s20, s20, s42
	v_add_co_ci_u32_e32 v10, vcc_lo, s5, v3, vcc_lo
	v_add_co_u32 v11, vcc_lo, v1, s6
	s_ashr_i32 s21, s20, 31
	s_add_i32 s22, s43, 0xfffffb80
	v_add_co_ci_u32_e32 v12, vcc_lo, s7, v3, vcc_lo
	global_load_u16 v15, v[15:16], off
	s_lshl_b64 s[20:21], s[20:21], 1
	s_cmp_lt_i32 s22, s41
	global_load_u16 v33, v[11:12], off
	s_cselect_b32 s22, s22, s42
	s_clause 0x2
	global_load_u16 v16, v[5:6], off
	global_load_u16 v31, v[7:8], off
	global_load_u16 v32, v[9:10], off
	s_ashr_i32 s23, s22, 31
	s_add_i32 s24, s43, 0xfffffc00
	s_lshl_b64 s[22:23], s[22:23], 1
	s_cmp_lt_i32 s24, s41
	v_add_co_u32 v13, vcc_lo, v1, s18
	s_cselect_b32 s24, s24, s42
	s_add_i32 s26, s43, 0xfffffc80
	s_ashr_i32 s25, s24, 31
	v_add_co_ci_u32_e32 v14, vcc_lo, s19, v3, vcc_lo
	s_lshl_b64 s[24:25], s[24:25], 1
	s_cmp_lt_i32 s26, s41
	v_add_co_u32 v5, vcc_lo, v1, s20
	s_cselect_b32 s8, s26, s42
	v_add_co_ci_u32_e32 v6, vcc_lo, s21, v3, vcc_lo
	s_ashr_i32 s9, s8, 31
	v_add_co_u32 v7, vcc_lo, v1, s22
	s_add_i32 s10, s43, 0xfffffd00
	s_lshl_b64 s[8:9], s[8:9], 1
	v_add_co_ci_u32_e32 v8, vcc_lo, s23, v3, vcc_lo
	s_cmp_lt_i32 s10, s41
	v_add_co_u32 v9, vcc_lo, v1, s24
	s_cselect_b32 s4, s10, s42
	global_load_u16 v13, v[13:14], off
	v_add_co_ci_u32_e32 v10, vcc_lo, s25, v3, vcc_lo
	s_ashr_i32 s5, s4, 31
	s_add_i32 s6, s43, 0xfffffd80
	s_lshl_b64 s[4:5], s[4:5], 1
	global_load_u16 v35, v[9:10], off
	s_cmp_lt_i32 s6, s41
	s_clause 0x1
	global_load_u16 v14, v[5:6], off
	global_load_u16 v34, v[7:8], off
	s_cselect_b32 s6, s6, s42
	s_add_i32 s10, s43, 0xfffffe00
	s_ashr_i32 s7, s6, 31
	v_add_co_u32 v5, vcc_lo, v1, s8
	s_lshl_b64 s[6:7], s[6:7], 1
	s_cmp_lt_i32 s10, s41
	v_add_co_ci_u32_e32 v6, vcc_lo, s9, v3, vcc_lo
	s_cselect_b32 s10, s10, s42
	v_add_co_u32 v7, vcc_lo, v1, s4
	s_ashr_i32 s11, s10, 31
	v_add_co_ci_u32_e32 v8, vcc_lo, s5, v3, vcc_lo
	s_add_i32 s18, s43, 0xfffffe80
	s_lshl_b64 s[10:11], s[10:11], 1
	s_cmp_lt_i32 s18, s41
	s_clause 0x1
	global_load_u16 v36, v[5:6], off
	global_load_u16 v37, v[7:8], off
	s_cselect_b32 s18, s18, s42
	v_add_co_u32 v5, vcc_lo, v1, s6
	s_ashr_i32 s19, s18, 31
	v_add_co_ci_u32_e32 v6, vcc_lo, s7, v3, vcc_lo
	s_add_i32 s20, s43, 0xffffff00
	v_add_co_u32 v7, vcc_lo, v1, s10
	s_lshl_b64 s[8:9], s[18:19], 1
	s_cmp_lt_i32 s20, s41
	v_add_co_ci_u32_e32 v8, vcc_lo, s11, v3, vcc_lo
	s_cselect_b32 s4, s20, s42
	global_load_u16 v38, v[5:6], off
	s_ashr_i32 s5, s4, 31
	global_load_u16 v39, v[7:8], off
	s_add_i32 s18, s43, 0xffffff80
	v_add_co_u32 v5, vcc_lo, v1, s8
	s_lshl_b64 s[4:5], s[4:5], 1
	s_cmp_lt_i32 s18, s41
	v_add_co_ci_u32_e32 v6, vcc_lo, s9, v3, vcc_lo
	v_add_co_u32 v7, vcc_lo, v1, s4
	s_cselect_b32 s6, s18, s42
	v_add_co_ci_u32_e32 v8, vcc_lo, s5, v3, vcc_lo
	s_ashr_i32 s7, s6, 31
	global_load_u16 v40, v[5:6], off
	s_lshl_b64 s[6:7], s[6:7], 1
	global_load_u16 v41, v[7:8], off
	s_cmp_lt_i32 s43, s41
	v_add_co_u32 v5, vcc_lo, v1, s6
	s_cselect_b32 s4, s43, s42
	v_add_co_ci_u32_e32 v6, vcc_lo, s7, v3, vcc_lo
	s_ashr_i32 s5, s4, 31
	s_delay_alu instid0(SALU_CYCLE_1)
	s_lshl_b64 s[4:5], s[4:5], 1
	global_load_u16 v42, v[5:6], off
	v_add_co_u32 v5, vcc_lo, v1, s4
	v_add_co_ci_u32_e32 v6, vcc_lo, s5, v3, vcc_lo
	global_load_u16 v43, v[5:6], off
	ds_load_b128 v[5:8], v44
	ds_load_b128 v[9:12], v44 offset:16
	s_waitcnt vmcnt(31)
	v_lshlrev_b32_e32 v2, 16, v2
	s_waitcnt lgkmcnt(1)
	s_delay_alu instid0(VALU_DEP_1) | instskip(SKIP_2) | instid1(VALU_DEP_1)
	v_fmac_f32_e32 v4, v5, v2
	s_waitcnt vmcnt(30)
	v_lshlrev_b32_e32 v2, 16, v23
	v_fmac_f32_e32 v4, v6, v2
	s_waitcnt vmcnt(29)
	v_lshlrev_b32_e32 v2, 16, v24
	s_delay_alu instid0(VALU_DEP_1) | instskip(SKIP_2) | instid1(VALU_DEP_1)
	v_fmac_f32_e32 v4, v7, v2
	s_waitcnt vmcnt(28)
	v_lshlrev_b32_e32 v2, 16, v25
	v_fmac_f32_e32 v4, v8, v2
	ds_load_b128 v[5:8], v44 offset:32
	s_waitcnt vmcnt(27)
	v_lshlrev_b32_e32 v2, 16, v26
	s_waitcnt lgkmcnt(1)
	s_delay_alu instid0(VALU_DEP_1) | instskip(SKIP_2) | instid1(VALU_DEP_1)
	v_fmac_f32_e32 v4, v9, v2
	s_waitcnt vmcnt(26)
	v_lshlrev_b32_e32 v2, 16, v27
	v_fmac_f32_e32 v4, v10, v2
	s_waitcnt vmcnt(24)
	v_lshlrev_b32_e32 v2, 16, v28
	s_delay_alu instid0(VALU_DEP_1) | instskip(SKIP_1) | instid1(VALU_DEP_1)
	v_fmac_f32_e32 v4, v11, v2
	v_lshlrev_b32_e32 v2, 16, v17
	v_fmac_f32_e32 v4, v12, v2
	ds_load_b128 v[9:12], v44 offset:48
	s_waitcnt vmcnt(23)
	v_lshlrev_b32_e32 v2, 16, v18
	s_waitcnt lgkmcnt(1)
	s_delay_alu instid0(VALU_DEP_1) | instskip(SKIP_2) | instid1(VALU_DEP_1)
	v_fmac_f32_e32 v4, v5, v2
	s_waitcnt vmcnt(21)
	v_lshlrev_b32_e32 v2, 16, v19
	v_fmac_f32_e32 v4, v6, v2
	s_waitcnt vmcnt(20)
	v_lshlrev_b32_e32 v2, 16, v20
	s_delay_alu instid0(VALU_DEP_1) | instskip(SKIP_2) | instid1(VALU_DEP_1)
	v_fmac_f32_e32 v4, v7, v2
	s_waitcnt vmcnt(19)
	v_lshlrev_b32_e32 v2, 16, v21
	v_fmac_f32_e32 v4, v8, v2
	s_waitcnt vmcnt(18)
	v_lshlrev_b32_e32 v2, 16, v22
	ds_load_b128 v[5:8], v44 offset:64
	s_waitcnt lgkmcnt(1)
	v_fmac_f32_e32 v4, v9, v2
	s_waitcnt vmcnt(17)
	v_lshlrev_b32_e32 v2, 16, v29
	s_delay_alu instid0(VALU_DEP_1) | instskip(SKIP_1) | instid1(VALU_DEP_1)
	v_fmac_f32_e32 v4, v10, v2
	v_lshlrev_b32_e32 v2, 16, v30
	v_fmac_f32_e32 v4, v11, v2
	s_waitcnt vmcnt(16)
	v_lshlrev_b32_e32 v2, 16, v15
	s_delay_alu instid0(VALU_DEP_1) | instskip(SKIP_4) | instid1(VALU_DEP_1)
	v_fmac_f32_e32 v4, v12, v2
	ds_load_b128 v[9:12], v44 offset:80
	s_waitcnt vmcnt(14)
	v_lshlrev_b32_e32 v2, 16, v16
	s_waitcnt lgkmcnt(1)
	v_fmac_f32_e32 v4, v5, v2
	s_waitcnt vmcnt(13)
	v_lshlrev_b32_e32 v2, 16, v31
	s_delay_alu instid0(VALU_DEP_1) | instskip(SKIP_2) | instid1(VALU_DEP_1)
	v_fmac_f32_e32 v4, v6, v2
	s_waitcnt vmcnt(12)
	v_lshlrev_b32_e32 v2, 16, v32
	v_fmac_f32_e32 v4, v7, v2
	v_lshlrev_b32_e32 v2, 16, v33
	s_delay_alu instid0(VALU_DEP_1) | instskip(SKIP_4) | instid1(VALU_DEP_1)
	v_fmac_f32_e32 v4, v8, v2
	ds_load_b128 v[5:8], v44 offset:96
	s_waitcnt vmcnt(11)
	v_lshlrev_b32_e32 v2, 16, v13
	s_waitcnt lgkmcnt(1)
	v_fmac_f32_e32 v4, v9, v2
	s_waitcnt vmcnt(9)
	v_lshlrev_b32_e32 v2, 16, v14
	s_delay_alu instid0(VALU_DEP_1) | instskip(SKIP_2) | instid1(VALU_DEP_1)
	v_fmac_f32_e32 v4, v10, v2
	s_waitcnt vmcnt(8)
	v_lshlrev_b32_e32 v2, 16, v34
	v_fmac_f32_e32 v4, v11, v2
	;; [unrolled: 15-line block ×3, first 2 shown]
	s_waitcnt vmcnt(4)
	v_lshlrev_b32_e32 v2, 16, v39
	s_delay_alu instid0(VALU_DEP_1) | instskip(SKIP_3) | instid1(VALU_DEP_1)
	v_fmac_f32_e32 v4, v8, v2
	s_waitcnt vmcnt(3)
	v_lshlrev_b32_e32 v2, 16, v40
	s_waitcnt lgkmcnt(0)
	v_fmac_f32_e32 v4, v9, v2
	s_waitcnt vmcnt(2)
	v_lshlrev_b32_e32 v2, 16, v41
	s_delay_alu instid0(VALU_DEP_1) | instskip(SKIP_2) | instid1(VALU_DEP_1)
	v_fmac_f32_e32 v4, v10, v2
	s_waitcnt vmcnt(1)
	v_lshlrev_b32_e32 v2, 16, v42
	v_fmac_f32_e32 v4, v11, v2
	s_waitcnt vmcnt(0)
	v_lshlrev_b32_e32 v2, 16, v43
	s_delay_alu instid0(VALU_DEP_1)
	v_fmac_f32_e32 v4, v12, v2
	s_branch .LBB609_14
.LBB609_17:
	v_mov_b32_e32 v1, 0
	s_and_b32 vcc_lo, exec_lo, s15
	ds_load_b32 v1, v1 offset:1536
	s_cbranch_vccz .LBB609_19
; %bb.18:
	s_add_u32 s2, s12, s16
	s_addc_u32 s3, s13, s17
	s_load_b32 s2, s[2:3], 0x0
	s_mov_b32 s3, 0
.LBB609_19:
	s_waitcnt lgkmcnt(0)
	v_add_f32_e32 v1, 0x358637bd, v1
	s_delay_alu instid0(VALU_DEP_1) | instskip(NEXT) | instid1(VALU_DEP_1)
	v_div_scale_f32 v2, null, v1, v1, 1.0
	v_rcp_f32_e32 v3, v2
	s_waitcnt_depctr 0xfff
	v_fma_f32 v5, -v2, v3, 1.0
	s_delay_alu instid0(VALU_DEP_1) | instskip(SKIP_1) | instid1(VALU_DEP_1)
	v_fmac_f32_e32 v3, v5, v3
	v_div_scale_f32 v5, vcc_lo, 1.0, v1, 1.0
	v_mul_f32_e32 v6, v5, v3
	s_delay_alu instid0(VALU_DEP_1) | instskip(NEXT) | instid1(VALU_DEP_1)
	v_fma_f32 v7, -v2, v6, v5
	v_fmac_f32_e32 v6, v7, v3
	s_delay_alu instid0(VALU_DEP_1) | instskip(NEXT) | instid1(VALU_DEP_1)
	v_fma_f32 v2, -v2, v6, v5
	v_div_fmas_f32 v2, v2, v3, v6
	s_delay_alu instid0(VALU_DEP_1) | instskip(NEXT) | instid1(VALU_DEP_1)
	v_div_fixup_f32 v1, v2, v1, 1.0
	v_mul_f32_e32 v2, v4, v1
	s_delay_alu instid0(VALU_DEP_1) | instskip(NEXT) | instid1(VALU_DEP_1)
	v_and_b32_e32 v1, 0x7f800000, v2
	v_cmp_ne_u32_e32 vcc_lo, 0x7f800000, v1
                                        ; implicit-def: $vgpr1
	s_and_saveexec_b32 s4, vcc_lo
	s_delay_alu instid0(SALU_CYCLE_1)
	s_xor_b32 s4, exec_lo, s4
; %bb.20:
	v_bfe_u32 v1, v2, 16, 1
	s_delay_alu instid0(VALU_DEP_1)
	v_add3_u32 v1, v2, v1, 0x7fff
                                        ; implicit-def: $vgpr2
; %bb.21:
	s_and_not1_saveexec_b32 s4, s4
; %bb.22:
	v_and_b32_e32 v1, 0xffff, v2
	v_or_b32_e32 v3, 0x10000, v2
	s_delay_alu instid0(VALU_DEP_2) | instskip(NEXT) | instid1(VALU_DEP_2)
	v_cmp_eq_u32_e32 vcc_lo, 0, v1
	v_cndmask_b32_e32 v1, v3, v2, vcc_lo
; %bb.23:
	s_or_b32 exec_lo, exec_lo, s4
	s_mul_i32 s3, s33, s3
	s_mul_hi_u32 s4, s33, s2
	s_mul_i32 s2, s33, s2
	s_add_i32 s3, s4, s3
	s_mov_b32 s15, 0
	s_lshl_b64 s[2:3], s[2:3], 7
	v_and_b32_e32 v1, 0xffff0000, v1
	s_add_u32 s2, s0, s2
	s_addc_u32 s3, s1, s3
	s_lshl_b64 s[0:1], s[14:15], 7
	s_delay_alu instid0(SALU_CYCLE_1)
	s_add_u32 s0, s2, s0
	s_addc_u32 s1, s3, s1
	v_add_co_u32 v0, s0, s0, v0
	v_cvt_i32_f32_e32 v2, v1
	v_add_co_ci_u32_e64 v1, null, s1, 0, s0
	global_store_b8 v[0:1], v2, off
	s_nop 0
	s_sendmsg sendmsg(MSG_DEALLOC_VGPRS)
	s_endpgm
.LBB609_24:
	s_mov_b32 s4, 0
	s_branch .LBB609_2
	.section	.rodata,"a",@progbits
	.p2align	6, 0x0
	.amdhsa_kernel _Z35paged_attention_ll4mi_reduce_kernelI14__hip_bfloat16hLi128ELi128ELi256ELi12EEvPT0_PKfS4_PKT_PKiS9_iS4_
		.amdhsa_group_segment_fixed_size 1540
		.amdhsa_private_segment_fixed_size 0
		.amdhsa_kernarg_size 320
		.amdhsa_user_sgpr_count 14
		.amdhsa_user_sgpr_dispatch_ptr 0
		.amdhsa_user_sgpr_queue_ptr 0
		.amdhsa_user_sgpr_kernarg_segment_ptr 1
		.amdhsa_user_sgpr_dispatch_id 0
		.amdhsa_user_sgpr_private_segment_size 0
		.amdhsa_wavefront_size32 1
		.amdhsa_uses_dynamic_stack 0
		.amdhsa_enable_private_segment 0
		.amdhsa_system_sgpr_workgroup_id_x 1
		.amdhsa_system_sgpr_workgroup_id_y 1
		.amdhsa_system_sgpr_workgroup_id_z 0
		.amdhsa_system_sgpr_workgroup_info 0
		.amdhsa_system_vgpr_workitem_id 0
		.amdhsa_next_free_vgpr 67
		.amdhsa_next_free_sgpr 49
		.amdhsa_reserve_vcc 1
		.amdhsa_float_round_mode_32 0
		.amdhsa_float_round_mode_16_64 0
		.amdhsa_float_denorm_mode_32 3
		.amdhsa_float_denorm_mode_16_64 3
		.amdhsa_dx10_clamp 1
		.amdhsa_ieee_mode 1
		.amdhsa_fp16_overflow 0
		.amdhsa_workgroup_processor_mode 1
		.amdhsa_memory_ordered 1
		.amdhsa_forward_progress 0
		.amdhsa_shared_vgpr_count 0
		.amdhsa_exception_fp_ieee_invalid_op 0
		.amdhsa_exception_fp_denorm_src 0
		.amdhsa_exception_fp_ieee_div_zero 0
		.amdhsa_exception_fp_ieee_overflow 0
		.amdhsa_exception_fp_ieee_underflow 0
		.amdhsa_exception_fp_ieee_inexact 0
		.amdhsa_exception_int_div_zero 0
	.end_amdhsa_kernel
	.section	.text._Z35paged_attention_ll4mi_reduce_kernelI14__hip_bfloat16hLi128ELi128ELi256ELi12EEvPT0_PKfS4_PKT_PKiS9_iS4_,"axG",@progbits,_Z35paged_attention_ll4mi_reduce_kernelI14__hip_bfloat16hLi128ELi128ELi256ELi12EEvPT0_PKfS4_PKT_PKiS9_iS4_,comdat
.Lfunc_end609:
	.size	_Z35paged_attention_ll4mi_reduce_kernelI14__hip_bfloat16hLi128ELi128ELi256ELi12EEvPT0_PKfS4_PKT_PKiS9_iS4_, .Lfunc_end609-_Z35paged_attention_ll4mi_reduce_kernelI14__hip_bfloat16hLi128ELi128ELi256ELi12EEvPT0_PKfS4_PKT_PKiS9_iS4_
                                        ; -- End function
	.section	.AMDGPU.csdata,"",@progbits
; Kernel info:
; codeLenInByte = 7496
; NumSgprs: 51
; NumVgprs: 67
; ScratchSize: 0
; MemoryBound: 0
; FloatMode: 240
; IeeeMode: 1
; LDSByteSize: 1540 bytes/workgroup (compile time only)
; SGPRBlocks: 6
; VGPRBlocks: 8
; NumSGPRsForWavesPerEU: 51
; NumVGPRsForWavesPerEU: 67
; Occupancy: 16
; WaveLimiterHint : 0
; COMPUTE_PGM_RSRC2:SCRATCH_EN: 0
; COMPUTE_PGM_RSRC2:USER_SGPR: 14
; COMPUTE_PGM_RSRC2:TRAP_HANDLER: 0
; COMPUTE_PGM_RSRC2:TGID_X_EN: 1
; COMPUTE_PGM_RSRC2:TGID_Y_EN: 1
; COMPUTE_PGM_RSRC2:TGID_Z_EN: 0
; COMPUTE_PGM_RSRC2:TIDIG_COMP_CNT: 0
	.section	.text._Z35paged_attention_ll4mi_reduce_kernelI14__hip_bfloat16hLi128ELi128ELi256ELi13EEvPT0_PKfS4_PKT_PKiS9_iS4_,"axG",@progbits,_Z35paged_attention_ll4mi_reduce_kernelI14__hip_bfloat16hLi128ELi128ELi256ELi13EEvPT0_PKfS4_PKT_PKiS9_iS4_,comdat
	.protected	_Z35paged_attention_ll4mi_reduce_kernelI14__hip_bfloat16hLi128ELi128ELi256ELi13EEvPT0_PKfS4_PKT_PKiS9_iS4_ ; -- Begin function _Z35paged_attention_ll4mi_reduce_kernelI14__hip_bfloat16hLi128ELi128ELi256ELi13EEvPT0_PKfS4_PKT_PKiS9_iS4_
	.globl	_Z35paged_attention_ll4mi_reduce_kernelI14__hip_bfloat16hLi128ELi128ELi256ELi13EEvPT0_PKfS4_PKT_PKiS9_iS4_
	.p2align	8
	.type	_Z35paged_attention_ll4mi_reduce_kernelI14__hip_bfloat16hLi128ELi128ELi256ELi13EEvPT0_PKfS4_PKT_PKiS9_iS4_,@function
_Z35paged_attention_ll4mi_reduce_kernelI14__hip_bfloat16hLi128ELi128ELi256ELi13EEvPT0_PKfS4_PKT_PKiS9_iS4_: ; @_Z35paged_attention_ll4mi_reduce_kernelI14__hip_bfloat16hLi128ELi128ELi256ELi13EEvPT0_PKfS4_PKT_PKiS9_iS4_
; %bb.0:
	s_load_b64 s[12:13], s[0:1], 0x28
	s_mov_b32 s2, s15
	s_waitcnt lgkmcnt(0)
	s_cmp_lg_u64 s[12:13], 0
	s_cselect_b32 s15, -1, 0
	s_delay_alu instid0(SALU_CYCLE_1)
	s_and_b32 vcc_lo, exec_lo, s15
	s_cbranch_vccz .LBB610_24
; %bb.1:
	s_add_i32 s4, s2, 1
	s_mov_b32 s5, 0
	s_delay_alu instid0(SALU_CYCLE_1) | instskip(SKIP_4) | instid1(SALU_CYCLE_1)
	s_lshl_b64 s[6:7], s[4:5], 2
	s_mov_b32 s3, s5
	s_add_u32 s6, s12, s6
	s_addc_u32 s7, s13, s7
	s_lshl_b64 s[8:9], s[2:3], 2
	s_add_u32 s8, s12, s8
	s_addc_u32 s9, s13, s9
	s_clause 0x1
	s_load_b32 s4, s[6:7], 0x0
	s_load_b32 s6, s[8:9], 0x0
	s_waitcnt lgkmcnt(0)
	s_sub_i32 s4, s4, s6
	s_delay_alu instid0(SALU_CYCLE_1)
	s_cmp_eq_u32 s4, 1
	s_cselect_b32 s4, -1, 0
	s_cbranch_execnz .LBB610_3
.LBB610_2:
	s_mov_b32 s3, 0
	s_mov_b32 s4, -1
.LBB610_3:
	s_delay_alu instid0(SALU_CYCLE_1)
	s_and_not1_b32 vcc_lo, exec_lo, s4
	s_cbranch_vccz .LBB610_5
; %bb.4:
	s_endpgm
.LBB610_5:
	s_clause 0x1
	s_load_b128 s[4:7], s[0:1], 0x18
	s_load_b32 s9, s[0:1], 0x30
	s_lshl_b64 s[16:17], s[2:3], 2
	s_waitcnt lgkmcnt(0)
	s_add_u32 s6, s6, s16
	s_addc_u32 s7, s7, s17
	s_load_b32 s23, s[6:7], 0x0
	s_load_b32 s33, s[0:1], 0x40
	s_mul_i32 s7, s2, s9
	s_waitcnt lgkmcnt(0)
	s_add_i32 s22, s23, 0xff
	s_delay_alu instid0(SALU_CYCLE_1) | instskip(NEXT) | instid1(SALU_CYCLE_1)
	s_ashr_i32 s6, s22, 31
	s_lshr_b32 s6, s6, 24
	s_delay_alu instid0(SALU_CYCLE_1) | instskip(SKIP_4) | instid1(SALU_CYCLE_1)
	s_add_i32 s8, s22, s6
	s_mul_i32 s6, s14, s9
	s_mov_b32 s9, exec_lo
	v_cmpx_lt_u32_e32 31, v0
	s_xor_b32 s9, exec_lo, s9
	s_or_saveexec_b32 s24, s9
	v_mov_b32_e32 v1, s6
	s_ashr_i32 s40, s8, 8
	s_mul_i32 s18, s7, s33
	s_xor_b32 exec_lo, exec_lo, s24
	s_cbranch_execz .LBB610_9
; %bb.6:
	v_or_b32_e32 v2, 32, v0
	v_cmp_gt_i32_e32 vcc_lo, s40, v0
	s_add_i32 s20, s40, -1
	v_or_b32_e32 v4, 64, v0
	v_or_b32_e32 v6, 0x60, v0
	s_load_b128 s[8:11], s[0:1], 0x8
	v_cndmask_b32_e32 v1, s20, v0, vcc_lo
	v_cmp_gt_i32_e32 vcc_lo, s40, v2
	s_mov_b32 s19, 0
	s_delay_alu instid0(SALU_CYCLE_1)
	s_mov_b32 s7, s19
	v_cndmask_b32_e32 v3, s20, v2, vcc_lo
	v_cmp_gt_i32_e32 vcc_lo, s40, v4
	v_or_b32_e32 v2, 0x80, v0
	v_cndmask_b32_e32 v5, s20, v4, vcc_lo
	v_cmp_gt_i32_e32 vcc_lo, s40, v6
	v_or_b32_e32 v4, 0xa0, v0
	v_cndmask_b32_e32 v7, s20, v6, vcc_lo
	v_cmp_gt_i32_e32 vcc_lo, s40, v2
	v_or_b32_e32 v6, 0xe0, v0
	s_delay_alu instid0(VALU_DEP_3) | instskip(SKIP_3) | instid1(VALU_DEP_3)
	v_ashrrev_i32_e32 v8, 31, v7
	v_cndmask_b32_e32 v9, s20, v2, vcc_lo
	v_or_b32_e32 v2, 0xc0, v0
	v_cmp_gt_i32_e32 vcc_lo, s40, v4
	v_ashrrev_i32_e32 v10, 31, v9
	v_cndmask_b32_e32 v11, s20, v4, vcc_lo
	s_delay_alu instid0(VALU_DEP_4) | instskip(SKIP_1) | instid1(VALU_DEP_3)
	v_cmp_gt_i32_e32 vcc_lo, s40, v2
	v_or_b32_e32 v4, 0x100, v0
	v_ashrrev_i32_e32 v12, 31, v11
	v_cndmask_b32_e32 v13, s20, v2, vcc_lo
	v_cmp_gt_i32_e32 vcc_lo, s40, v6
	v_or_b32_e32 v2, 0x120, v0
	s_delay_alu instid0(VALU_DEP_3) | instskip(SKIP_3) | instid1(VALU_DEP_3)
	v_ashrrev_i32_e32 v14, 31, v13
	v_cndmask_b32_e32 v15, s20, v6, vcc_lo
	v_cmp_gt_i32_e32 vcc_lo, s40, v4
	v_or_b32_e32 v6, 0x160, v0
	v_ashrrev_i32_e32 v16, 31, v15
	v_cndmask_b32_e32 v17, s20, v4, vcc_lo
	v_or_b32_e32 v4, 0x140, v0
	v_cmp_gt_i32_e32 vcc_lo, s40, v2
	s_delay_alu instid0(VALU_DEP_3) | instskip(SKIP_1) | instid1(VALU_DEP_4)
	v_ashrrev_i32_e32 v18, 31, v17
	v_cndmask_b32_e32 v19, s20, v2, vcc_lo
	v_cmp_gt_i32_e32 vcc_lo, s40, v4
	v_or_b32_e32 v2, 0x180, v0
	s_delay_alu instid0(VALU_DEP_3) | instskip(SKIP_3) | instid1(VALU_DEP_3)
	v_ashrrev_i32_e32 v20, 31, v19
	v_cndmask_b32_e32 v21, s20, v4, vcc_lo
	v_cmp_gt_i32_e32 vcc_lo, s40, v6
	v_ashrrev_i32_e32 v4, 31, v3
	v_ashrrev_i32_e32 v22, 31, v21
	v_cndmask_b32_e32 v23, s20, v6, vcc_lo
	v_cmp_gt_i32_e32 vcc_lo, s40, v2
	v_ashrrev_i32_e32 v6, 31, v5
	s_delay_alu instid0(VALU_DEP_3)
	v_ashrrev_i32_e32 v24, 31, v23
	v_cndmask_b32_e32 v25, s20, v2, vcc_lo
	v_ashrrev_i32_e32 v2, 31, v1
	s_lshl_b64 s[20:21], s[18:19], 2
	s_waitcnt lgkmcnt(0)
	s_add_u32 s19, s10, s20
	s_addc_u32 s25, s11, s21
	v_lshlrev_b64 v[27:28], 2, v[1:2]
	s_lshl_b64 s[10:11], s[6:7], 2
	v_lshlrev_b64 v[2:3], 2, v[3:4]
	s_add_u32 s7, s19, s10
	s_addc_u32 s19, s25, s11
	v_lshlrev_b64 v[4:5], 2, v[5:6]
	v_add_co_u32 v29, vcc_lo, s7, v27
	v_add_co_ci_u32_e32 v30, vcc_lo, s19, v28, vcc_lo
	v_add_co_u32 v31, vcc_lo, s7, v2
	v_lshlrev_b64 v[6:7], 2, v[7:8]
	v_add_co_ci_u32_e32 v32, vcc_lo, s19, v3, vcc_lo
	v_add_co_u32 v33, vcc_lo, s7, v4
	v_lshlrev_b64 v[8:9], 2, v[9:10]
	;; [unrolled: 3-line block ×6, first 2 shown]
	v_add_co_ci_u32_e32 v42, vcc_lo, s19, v13, vcc_lo
	v_add_co_u32 v43, vcc_lo, s7, v14
	v_add_co_ci_u32_e32 v44, vcc_lo, s19, v15, vcc_lo
	v_lshlrev_b64 v[18:19], 2, v[19:20]
	v_add_co_u32 v45, vcc_lo, s7, v16
	v_add_co_ci_u32_e32 v46, vcc_lo, s19, v17, vcc_lo
	s_clause 0x8
	global_load_b32 v47, v[29:30], off
	global_load_b32 v48, v[31:32], off
	;; [unrolled: 1-line block ×9, first 2 shown]
	v_lshlrev_b64 v[20:21], 2, v[21:22]
	v_ashrrev_i32_e32 v26, 31, v25
	v_add_co_u32 v29, vcc_lo, s7, v18
	v_lshlrev_b64 v[22:23], 2, v[23:24]
	v_add_co_ci_u32_e32 v30, vcc_lo, s19, v19, vcc_lo
	v_add_co_u32 v31, vcc_lo, s7, v20
	v_lshlrev_b64 v[24:25], 2, v[25:26]
	v_add_co_ci_u32_e32 v32, vcc_lo, s19, v21, vcc_lo
	v_add_co_u32 v33, vcc_lo, s7, v22
	v_add_co_ci_u32_e32 v34, vcc_lo, s19, v23, vcc_lo
	s_delay_alu instid0(VALU_DEP_4)
	v_add_co_u32 v35, vcc_lo, s7, v24
	v_add_co_ci_u32_e32 v36, vcc_lo, s19, v25, vcc_lo
	s_clause 0x3
	global_load_b32 v29, v[29:30], off
	global_load_b32 v30, v[31:32], off
	;; [unrolled: 1-line block ×4, first 2 shown]
	v_mbcnt_lo_u32_b32 v33, -1, 0
	s_add_u32 s7, s8, s20
	s_addc_u32 s8, s9, s21
	s_add_u32 s7, s7, s10
	s_addc_u32 s8, s8, s11
	v_xor_b32_e32 v1, 16, v33
	s_delay_alu instid0(VALU_DEP_1)
	v_cmp_gt_i32_e32 vcc_lo, 32, v1
	v_cndmask_b32_e32 v1, v33, v1, vcc_lo
	v_add_co_u32 v26, vcc_lo, s7, v27
	v_add_co_ci_u32_e32 v27, vcc_lo, s8, v28, vcc_lo
	v_add_co_u32 v2, vcc_lo, s7, v2
	v_add_co_ci_u32_e32 v3, vcc_lo, s8, v3, vcc_lo
	;; [unrolled: 2-line block ×10, first 2 shown]
	s_clause 0x9
	global_load_b32 v26, v[26:27], off
	global_load_b32 v27, v[2:3], off
	;; [unrolled: 1-line block ×10, first 2 shown]
	v_xor_b32_e32 v14, 4, v33
	v_lshlrev_b32_e32 v1, 2, v1
	v_xor_b32_e32 v5, 8, v33
	v_xor_b32_e32 v16, 1, v33
	s_delay_alu instid0(VALU_DEP_2) | instskip(SKIP_1) | instid1(VALU_DEP_1)
	v_cmp_gt_i32_e32 vcc_lo, 32, v5
	v_cndmask_b32_e32 v5, v33, v5, vcc_lo
	v_lshlrev_b32_e32 v6, 2, v5
	s_waitcnt vmcnt(20)
	v_max3_f32 v28, v47, v48, v49
	s_waitcnt vmcnt(18)
	s_delay_alu instid0(VALU_DEP_1) | instskip(SKIP_1) | instid1(VALU_DEP_1)
	v_max3_f32 v28, v28, v50, v37
	s_waitcnt vmcnt(16)
	v_max3_f32 v28, v28, v38, v39
	s_waitcnt vmcnt(14)
	s_delay_alu instid0(VALU_DEP_1) | instskip(SKIP_1) | instid1(VALU_DEP_1)
	v_max3_f32 v28, v28, v40, v41
	s_waitcnt vmcnt(12)
	v_max3_f32 v28, v28, v29, v30
	s_waitcnt vmcnt(10)
	s_delay_alu instid0(VALU_DEP_1) | instskip(SKIP_3) | instid1(VALU_DEP_1)
	v_max3_f32 v28, v28, v31, v32
	ds_bpermute_b32 v34, v1, v28
	s_waitcnt lgkmcnt(0)
	v_max_f32_e32 v7, v34, v34
	v_max_f32_e32 v12, v28, v7
	v_add_co_u32 v7, vcc_lo, s7, v20
	v_add_co_ci_u32_e32 v8, vcc_lo, s8, v21, vcc_lo
	ds_bpermute_b32 v13, v6, v12
	v_cmp_gt_i32_e32 vcc_lo, 32, v14
	global_load_b32 v5, v[7:8], off
	v_cndmask_b32_e32 v14, v33, v14, vcc_lo
	v_add_co_u32 v7, vcc_lo, s7, v22
	v_add_co_ci_u32_e32 v8, vcc_lo, s8, v23, vcc_lo
	s_delay_alu instid0(VALU_DEP_3)
	v_lshlrev_b32_e32 v14, 2, v14
	global_load_b32 v15, v[7:8], off
	v_add_co_u32 v7, vcc_lo, s7, v24
	v_add_co_ci_u32_e32 v8, vcc_lo, s8, v25, vcc_lo
	s_mov_b32 s7, exec_lo
	s_waitcnt lgkmcnt(0)
	v_max_f32_e32 v13, v13, v13
	global_load_b32 v7, v[7:8], off
	v_xor_b32_e32 v8, 2, v33
	v_max_f32_e32 v12, v12, v13
	s_delay_alu instid0(VALU_DEP_2) | instskip(SKIP_3) | instid1(VALU_DEP_2)
	v_cmp_gt_i32_e32 vcc_lo, 32, v8
	ds_bpermute_b32 v13, v14, v12
	v_cndmask_b32_e32 v8, v33, v8, vcc_lo
	v_cmp_gt_i32_e32 vcc_lo, 32, v16
	v_lshlrev_b32_e32 v8, 2, v8
	v_cndmask_b32_e32 v16, v33, v16, vcc_lo
	s_waitcnt lgkmcnt(0)
	s_delay_alu instid0(VALU_DEP_1) | instskip(NEXT) | instid1(VALU_DEP_1)
	v_dual_max_f32 v13, v13, v13 :: v_dual_lshlrev_b32 v16, 2, v16
	v_max_f32_e32 v12, v12, v13
	ds_bpermute_b32 v13, v8, v12
	s_waitcnt lgkmcnt(0)
	v_max_f32_e32 v13, v13, v13
	s_delay_alu instid0(VALU_DEP_1) | instskip(SKIP_3) | instid1(VALU_DEP_1)
	v_max_f32_e32 v12, v12, v13
	ds_bpermute_b32 v13, v16, v12
	s_waitcnt lgkmcnt(0)
	v_max_f32_e32 v13, v13, v13
	v_max_f32_e32 v12, v12, v13
	v_sub_nc_u32_e32 v13, s40, v0
	s_delay_alu instid0(VALU_DEP_2) | instskip(SKIP_3) | instid1(VALU_DEP_4)
	v_sub_f32_e32 v20, v50, v12
	v_sub_f32_e32 v22, v38, v12
	;; [unrolled: 1-line block ×4, first 2 shown]
	v_mul_f32_e32 v34, 0x3fb8aa3b, v20
	s_delay_alu instid0(VALU_DEP_4) | instskip(NEXT) | instid1(VALU_DEP_4)
	v_mul_f32_e32 v38, 0x3fb8aa3b, v22
	v_mul_f32_e32 v40, 0x3fb8aa3b, v24
	s_delay_alu instid0(VALU_DEP_3) | instskip(SKIP_1) | instid1(VALU_DEP_4)
	v_fma_f32 v51, 0x3fb8aa3b, v20, -v34
	v_rndne_f32_e32 v52, v34
	v_fma_f32 v55, 0x3fb8aa3b, v22, -v38
	v_rndne_f32_e32 v56, v38
	v_fma_f32 v59, 0x3fb8aa3b, v24, -v40
	v_fmac_f32_e32 v51, 0x32a5705f, v20
	v_sub_f32_e32 v34, v34, v52
	v_sub_f32_e32 v19, v49, v12
	v_cvt_i32_f32_e32 v52, v52
	v_dual_fmac_f32 v55, 0x32a5705f, v22 :: v_dual_sub_f32 v38, v38, v56
	s_delay_alu instid0(VALU_DEP_4) | instskip(NEXT) | instid1(VALU_DEP_4)
	v_add_f32_e32 v34, v34, v51
	v_dual_sub_f32 v28, v29, v12 :: v_dual_mul_f32 v33, 0x3fb8aa3b, v19
	s_delay_alu instid0(VALU_DEP_3) | instskip(NEXT) | instid1(VALU_DEP_3)
	v_dual_sub_f32 v21, v37, v12 :: v_dual_add_f32 v38, v38, v55
	v_exp_f32_e32 v34, v34
	v_rndne_f32_e32 v60, v40
	v_fmac_f32_e32 v59, 0x32a5705f, v24
	s_delay_alu instid0(VALU_DEP_3)
	v_mul_f32_e32 v37, 0x3fb8aa3b, v21
	v_fma_f32 v49, 0x3fb8aa3b, v19, -v33
	v_rndne_f32_e32 v50, v33
	v_sub_f32_e32 v40, v40, v60
	v_sub_f32_e32 v23, v39, v12
	v_mul_f32_e32 v42, 0x3fb8aa3b, v28
	v_cvt_i32_f32_e32 v60, v60
	v_ldexp_f32 v34, v34, v52
	v_dual_add_f32 v40, v40, v59 :: v_dual_sub_f32 v29, v30, v12
	v_sub_f32_e32 v30, v31, v12
	v_sub_f32_e32 v17, v47, v12
	v_mul_f32_e32 v39, 0x3fb8aa3b, v23
	v_fma_f32 v63, 0x3fb8aa3b, v28, -v42
	v_rndne_f32_e32 v64, v42
	s_delay_alu instid0(VALU_DEP_4) | instskip(SKIP_1) | instid1(VALU_DEP_4)
	v_dual_mul_f32 v44, 0x3fb8aa3b, v30 :: v_dual_mul_f32 v31, 0x3fb8aa3b, v17
	v_fmac_f32_e32 v49, 0x32a5705f, v19
	v_fmac_f32_e32 v63, 0x32a5705f, v28
	s_delay_alu instid0(VALU_DEP_4)
	v_sub_f32_e32 v42, v42, v64
	v_sub_f32_e32 v25, v41, v12
	v_fma_f32 v45, 0x3fb8aa3b, v17, -v31
	v_rndne_f32_e32 v46, v31
	v_sub_f32_e32 v12, v32, v12
	v_add_f32_e32 v42, v42, v63
	v_mul_f32_e32 v32, 0x3fb8aa3b, v18
	v_fmac_f32_e32 v45, 0x32a5705f, v17
	v_sub_f32_e32 v31, v31, v46
	v_cvt_i32_f32_e32 v46, v46
	v_cmp_ngt_f32_e32 vcc_lo, 0xc2ce8ed0, v17
	v_fma_f32 v47, 0x3fb8aa3b, v18, -v32
	v_rndne_f32_e32 v48, v32
	v_add_f32_e32 v31, v31, v45
	v_mul_f32_e32 v41, 0x3fb8aa3b, v25
	v_exp_f32_e32 v40, v40
	v_fma_f32 v53, 0x3fb8aa3b, v21, -v37
	v_sub_f32_e32 v32, v32, v48
	v_exp_f32_e32 v31, v31
	v_cvt_i32_f32_e32 v48, v48
	v_rndne_f32_e32 v54, v37
	v_fmac_f32_e32 v53, 0x32a5705f, v21
	v_fma_f32 v57, 0x3fb8aa3b, v23, -v39
	v_rndne_f32_e32 v58, v39
	v_fma_f32 v61, 0x3fb8aa3b, v25, -v41
	v_ldexp_f32 v40, v40, v60
	v_sub_f32_e32 v33, v33, v50
	v_cvt_i32_f32_e32 v50, v50
	v_ldexp_f32 v31, v31, v46
	v_fmac_f32_e32 v57, 0x32a5705f, v23
	v_sub_f32_e32 v39, v39, v58
	v_add_f32_e32 v33, v33, v49
	v_rndne_f32_e32 v62, v41
	v_cndmask_b32_e32 v31, 0, v31, vcc_lo
	v_cmp_ngt_f32_e32 vcc_lo, 0xc2ce8ed0, v18
	v_fmac_f32_e32 v47, 0x32a5705f, v18
	v_exp_f32_e32 v33, v33
	v_add_f32_e32 v39, v39, v57
	v_exp_f32_e32 v38, v38
	v_cvt_i32_f32_e32 v56, v56
	v_dual_add_f32 v32, v32, v47 :: v_dual_fmac_f32 v61, 0x32a5705f, v25
	v_sub_f32_e32 v41, v41, v62
	v_exp_f32_e32 v39, v39
	v_cvt_i32_f32_e32 v58, v58
	s_delay_alu instid0(VALU_DEP_3) | instskip(SKIP_2) | instid1(TRANS32_DEP_3)
	v_exp_f32_e32 v32, v32
	v_ldexp_f32 v33, v33, v50
	v_add_f32_e32 v41, v41, v61
	v_ldexp_f32 v38, v38, v56
	v_cvt_i32_f32_e32 v62, v62
	v_exp_f32_e32 v42, v42
	v_cvt_i32_f32_e32 v64, v64
	v_exp_f32_e32 v41, v41
	v_ldexp_f32 v39, v39, v58
	v_fma_f32 v67, 0x3fb8aa3b, v30, -v44
	v_ldexp_f32 v32, v32, v48
	s_delay_alu instid0(VALU_DEP_1) | instskip(SKIP_3) | instid1(TRANS32_DEP_1)
	v_dual_fmac_f32 v67, 0x32a5705f, v30 :: v_dual_cndmask_b32 v32, 0, v32
	v_sub_f32_e32 v37, v37, v54
	v_cmp_ngt_f32_e32 vcc_lo, 0xc2ce8ed0, v19
	v_cvt_i32_f32_e32 v54, v54
	v_ldexp_f32 v41, v41, v62
	v_ldexp_f32 v42, v42, v64
	v_add_f32_e32 v37, v37, v53
	v_cndmask_b32_e32 v33, 0, v33, vcc_lo
	v_cmp_ngt_f32_e32 vcc_lo, 0xc2ce8ed0, v20
	s_delay_alu instid0(VALU_DEP_3) | instskip(SKIP_4) | instid1(VALU_DEP_1)
	v_exp_f32_e32 v37, v37
	v_cndmask_b32_e32 v34, 0, v34, vcc_lo
	v_cmp_ngt_f32_e32 vcc_lo, 0xc2ce8ed0, v21
	s_waitcnt_depctr 0xfff
	v_ldexp_f32 v37, v37, v54
	v_cndmask_b32_e32 v37, 0, v37, vcc_lo
	v_cmp_ngt_f32_e32 vcc_lo, 0xc2ce8ed0, v22
	v_dual_mul_f32 v43, 0x3fb8aa3b, v29 :: v_dual_cndmask_b32 v38, 0, v38
	v_cmp_ngt_f32_e32 vcc_lo, 0xc2ce8ed0, v23
	s_delay_alu instid0(VALU_DEP_2)
	v_fma_f32 v65, 0x3fb8aa3b, v29, -v43
	v_rndne_f32_e32 v66, v43
	v_cndmask_b32_e32 v39, 0, v39, vcc_lo
	v_cmp_ngt_f32_e32 vcc_lo, 0xc2ce8ed0, v24
	v_cndmask_b32_e32 v40, 0, v40, vcc_lo
	v_cmp_ngt_f32_e32 vcc_lo, 0xc2ce8ed0, v25
	;; [unrolled: 2-line block ×3, first 2 shown]
	v_cndmask_b32_e32 v42, 0, v42, vcc_lo
	v_cmp_nlt_f32_e32 vcc_lo, 0x42b17218, v17
	v_cndmask_b32_e32 v17, 0x7f800000, v31, vcc_lo
	v_cmp_nlt_f32_e32 vcc_lo, 0x42b17218, v18
	;; [unrolled: 2-line block ×10, first 2 shown]
	v_cndmask_b32_e32 v28, 0x7f800000, v42, vcc_lo
	v_cmp_lt_i32_e32 vcc_lo, 0, v13
	v_cndmask_b32_e32 v17, 0, v17, vcc_lo
	v_cmp_lt_i32_e32 vcc_lo, 32, v13
	s_waitcnt vmcnt(12)
	s_delay_alu instid0(VALU_DEP_2) | instskip(SKIP_3) | instid1(VALU_DEP_3)
	v_dual_mul_f32 v17, v26, v17 :: v_dual_cndmask_b32 v18, 0, v18
	v_cmp_lt_i32_e32 vcc_lo, 64, v13
	v_cvt_i32_f32_e32 v26, v66
	s_waitcnt vmcnt(11)
	v_dual_mul_f32 v18, v27, v18 :: v_dual_cndmask_b32 v19, 0, v19
	v_cmp_lt_i32_e32 vcc_lo, 0x60, v13
	v_cndmask_b32_e32 v20, 0, v20, vcc_lo
	v_cmp_lt_i32_e32 vcc_lo, 0x80, v13
	s_waitcnt vmcnt(9)
	s_delay_alu instid0(VALU_DEP_2) | instskip(SKIP_3) | instid1(VALU_DEP_2)
	v_dual_fmac_f32 v65, 0x32a5705f, v29 :: v_dual_mul_f32 v20, v36, v20
	v_cndmask_b32_e32 v21, 0, v21, vcc_lo
	v_cmp_lt_i32_e32 vcc_lo, 0xa0, v13
	s_waitcnt vmcnt(8)
	v_dual_mul_f32 v9, v9, v21 :: v_dual_cndmask_b32 v22, 0, v22
	v_cmp_lt_i32_e32 vcc_lo, 0xc0, v13
	v_rndne_f32_e32 v21, v44
	s_waitcnt vmcnt(7)
	s_delay_alu instid0(VALU_DEP_3) | instskip(SKIP_2) | instid1(VALU_DEP_2)
	v_dual_mul_f32 v10, v10, v22 :: v_dual_cndmask_b32 v23, 0, v23
	v_cmp_lt_i32_e32 vcc_lo, 0xe0, v13
	s_waitcnt vmcnt(6)
	v_dual_mul_f32 v11, v11, v23 :: v_dual_cndmask_b32 v24, 0, v24
	v_sub_f32_e32 v43, v43, v66
	v_cmp_lt_i32_e32 vcc_lo, 0x100, v13
	v_mul_f32_e32 v23, 0x3fb8aa3b, v12
	s_waitcnt vmcnt(5)
	s_delay_alu instid0(VALU_DEP_3) | instskip(SKIP_3) | instid1(VALU_DEP_4)
	v_dual_mul_f32 v2, v2, v24 :: v_dual_add_f32 v43, v43, v65
	v_dual_add_f32 v24, v17, v18 :: v_dual_cndmask_b32 v25, 0, v25
	v_cmp_lt_i32_e32 vcc_lo, 0x120, v13
	v_fma_f32 v27, 0x3fb8aa3b, v12, -v23
	v_exp_f32_e32 v22, v43
	s_waitcnt vmcnt(4)
	v_dual_mul_f32 v3, v3, v25 :: v_dual_cndmask_b32 v28, 0, v28
	v_sub_f32_e32 v25, v44, v21
	v_cmp_ngt_f32_e32 vcc_lo, 0xc2ce8ed0, v29
	v_fmac_f32_e32 v27, 0x32a5705f, v12
	v_cvt_i32_f32_e32 v21, v21
	s_waitcnt vmcnt(3)
	v_mul_f32_e32 v4, v4, v28
	v_rndne_f32_e32 v28, v23
	v_add_f32_e32 v25, v25, v67
	v_ldexp_f32 v22, v22, v26
	s_delay_alu instid0(VALU_DEP_3) | instskip(NEXT) | instid1(VALU_DEP_3)
	v_sub_f32_e32 v23, v23, v28
	v_exp_f32_e32 v25, v25
	s_delay_alu instid0(VALU_DEP_2) | instskip(SKIP_1) | instid1(VALU_DEP_2)
	v_cndmask_b32_e32 v22, 0, v22, vcc_lo
	v_cmp_nlt_f32_e32 vcc_lo, 0x42b17218, v29
	v_dual_add_f32 v23, v23, v27 :: v_dual_cndmask_b32 v22, 0x7f800000, v22
	v_cmp_lt_i32_e32 vcc_lo, 0x140, v13
	s_delay_alu instid0(VALU_DEP_2)
	v_exp_f32_e32 v23, v23
	s_waitcnt_depctr 0xfff
	v_ldexp_f32 v21, v25, v21
	v_cvt_i32_f32_e32 v25, v28
	v_cndmask_b32_e32 v22, 0, v22, vcc_lo
	v_cmp_ngt_f32_e32 vcc_lo, 0xc2ce8ed0, v30
	s_waitcnt vmcnt(2)
	s_delay_alu instid0(VALU_DEP_2) | instskip(SKIP_3) | instid1(VALU_DEP_3)
	v_mul_f32_e32 v5, v5, v22
	v_cndmask_b32_e32 v21, 0, v21, vcc_lo
	v_cmp_nlt_f32_e32 vcc_lo, 0x42b17218, v30
	v_ldexp_f32 v22, v23, v25
	v_cndmask_b32_e32 v21, 0x7f800000, v21, vcc_lo
	v_cmp_ngt_f32_e32 vcc_lo, 0xc2ce8ed0, v12
	s_delay_alu instid0(VALU_DEP_3) | instskip(SKIP_1) | instid1(VALU_DEP_4)
	v_cndmask_b32_e32 v22, 0, v22, vcc_lo
	v_cmp_lt_i32_e32 vcc_lo, 0x160, v13
	v_cndmask_b32_e32 v21, 0, v21, vcc_lo
	v_cmp_nlt_f32_e32 vcc_lo, 0x42b17218, v12
	v_mul_f32_e32 v19, v35, v19
	s_waitcnt vmcnt(1)
	s_delay_alu instid0(VALU_DEP_3) | instskip(NEXT) | instid1(VALU_DEP_2)
	v_dual_mul_f32 v15, v15, v21 :: v_dual_cndmask_b32 v12, 0x7f800000, v22
	v_add_f32_e32 v24, v24, v19
	v_cmp_lt_i32_e32 vcc_lo, 0x180, v13
	s_delay_alu instid0(VALU_DEP_2) | instskip(NEXT) | instid1(VALU_DEP_4)
	v_add_f32_e32 v24, v24, v20
	v_cndmask_b32_e32 v12, 0, v12, vcc_lo
	s_waitcnt vmcnt(0)
	s_delay_alu instid0(VALU_DEP_1) | instskip(NEXT) | instid1(VALU_DEP_1)
	v_dual_add_f32 v24, v24, v9 :: v_dual_mul_f32 v7, v7, v12
	v_add_f32_e32 v24, v24, v10
	s_delay_alu instid0(VALU_DEP_1) | instskip(NEXT) | instid1(VALU_DEP_1)
	v_add_f32_e32 v24, v24, v11
	v_add_f32_e32 v23, v24, v2
	s_delay_alu instid0(VALU_DEP_1) | instskip(NEXT) | instid1(VALU_DEP_1)
	v_add_f32_e32 v23, v23, v3
	;; [unrolled: 3-line block ×3, first 2 shown]
	v_add_f32_e32 v12, v13, v15
	s_delay_alu instid0(VALU_DEP_1)
	v_add_f32_e32 v12, v12, v7
	ds_bpermute_b32 v1, v1, v12
	s_waitcnt lgkmcnt(0)
	v_add_f32_e32 v1, v12, v1
	ds_bpermute_b32 v6, v6, v1
	s_waitcnt lgkmcnt(0)
	;; [unrolled: 3-line block ×3, first 2 shown]
	v_add_f32_e32 v1, v1, v6
	ds_bpermute_b32 v6, v8, v1
	v_lshlrev_b32_e32 v8, 2, v0
	s_delay_alu instid0(VALU_DEP_1)
	v_add_nc_u32_e32 v12, 0x400, v8
	ds_store_2addr_b32 v8, v17, v18 offset1:32
	ds_store_2addr_b32 v8, v19, v20 offset0:64 offset1:96
	ds_store_2addr_b32 v8, v9, v10 offset0:128 offset1:160
	;; [unrolled: 1-line block ×3, first 2 shown]
	ds_store_2addr_b32 v12, v3, v4 offset1:32
	ds_store_2addr_b32 v12, v5, v15 offset0:64 offset1:96
	ds_store_b32 v8, v7 offset:1536
	s_waitcnt lgkmcnt(7)
	v_add_f32_e32 v1, v1, v6
	ds_bpermute_b32 v6, v16, v1
	v_cmpx_eq_u32_e32 0, v0
	s_cbranch_execz .LBB610_8
; %bb.7:
	s_waitcnt lgkmcnt(0)
	v_dual_add_f32 v1, v1, v6 :: v_dual_mov_b32 v2, 0
	ds_store_b32 v2, v1 offset:1664
.LBB610_8:
	s_or_b32 exec_lo, exec_lo, s7
	v_mov_b32_e32 v1, s6
.LBB610_9:
	s_or_b32 exec_lo, exec_lo, s24
	s_lshl_b32 s6, s18, 7
	s_mov_b32 s7, 0
	s_delay_alu instid0(VALU_DEP_1)
	v_dual_mov_b32 v2, 0 :: v_dual_lshlrev_b32 v1, 7, v1
	s_lshl_b64 s[6:7], s[6:7], 1
	v_dual_mov_b32 v31, 0 :: v_dual_mov_b32 v32, 0
	s_add_u32 s34, s4, s6
	s_addc_u32 s35, s5, s7
	s_lshl_b32 s41, s40, 7
	v_lshlrev_b64 v[3:4], 1, v[1:2]
	s_add_i32 s42, s41, 0xffffff80
	s_cmpk_lt_i32 s22, 0x100
	v_lshlrev_b32_e32 v1, 1, v0
	s_cselect_b32 s4, s42, 0
	v_dual_mov_b32 v33, 0 :: v_dual_mov_b32 v34, 0
	s_ashr_i32 s5, s4, 31
	v_add_co_u32 v3, vcc_lo, s34, v3
	s_lshl_b64 s[4:5], s[4:5], 1
	s_cmpk_lt_i32 s22, 0x200
	v_add_co_ci_u32_e32 v4, vcc_lo, s35, v4, vcc_lo
	s_cselect_b32 s6, s42, 0x80
	v_add_co_u32 v1, vcc_lo, v3, v1
	s_ashr_i32 s7, s6, 31
	s_delay_alu instid0(VALU_DEP_2)
	v_add_co_ci_u32_e32 v3, vcc_lo, 0, v4, vcc_lo
	s_lshl_b64 s[6:7], s[6:7], 1
	s_cmpk_lt_i32 s22, 0x300
	v_add_co_u32 v4, vcc_lo, v1, s4
	s_cselect_b32 s8, s42, 0x100
	v_add_co_ci_u32_e32 v5, vcc_lo, s5, v3, vcc_lo
	s_ashr_i32 s9, s8, 31
	s_waitcnt lgkmcnt(0)
	v_add_co_u32 v6, vcc_lo, v1, s6
	s_lshl_b64 s[8:9], s[8:9], 1
	s_cmpk_lt_i32 s22, 0x400
	v_add_co_ci_u32_e32 v7, vcc_lo, s7, v3, vcc_lo
	s_cselect_b32 s10, s42, 0x180
	v_add_co_u32 v8, vcc_lo, v1, s8
	s_ashr_i32 s11, s10, 31
	v_add_co_ci_u32_e32 v9, vcc_lo, s9, v3, vcc_lo
	s_lshl_b64 s[10:11], s[10:11], 1
	s_cmpk_lt_i32 s22, 0x500
	v_add_co_u32 v11, vcc_lo, v1, s10
	s_cselect_b32 s18, s42, 0x200
	v_add_co_ci_u32_e32 v12, vcc_lo, s11, v3, vcc_lo
	s_ashr_i32 s19, s18, 31
	v_mov_b32_e32 v35, 0
	s_lshl_b64 s[18:19], s[18:19], 1
	s_cmpk_lt_i32 s22, 0x600
	v_add_co_u32 v14, vcc_lo, v1, s18
	s_cselect_b32 s20, s42, 0x280
	v_add_co_ci_u32_e32 v15, vcc_lo, s19, v3, vcc_lo
	s_ashr_i32 s21, s20, 31
	v_mov_b32_e32 v30, 0
	s_lshl_b64 s[20:21], s[20:21], 1
	s_cmpk_lt_i32 s22, 0x700
	v_add_co_u32 v16, vcc_lo, v1, s20
	s_cselect_b32 s24, s42, 0x300
	v_add_co_ci_u32_e32 v17, vcc_lo, s21, v3, vcc_lo
	s_ashr_i32 s25, s24, 31
	s_delay_alu instid0(SALU_CYCLE_1)
	s_lshl_b64 s[24:25], s[24:25], 1
	s_cmpk_lt_i32 s22, 0x800
	v_add_co_u32 v18, vcc_lo, v1, s24
	s_cselect_b32 s26, s42, 0x380
	v_add_co_ci_u32_e32 v19, vcc_lo, s25, v3, vcc_lo
	s_ashr_i32 s27, s26, 31
	s_delay_alu instid0(SALU_CYCLE_1)
	s_lshl_b64 s[26:27], s[26:27], 1
	s_cmpk_lt_i32 s22, 0x900
	v_add_co_u32 v20, vcc_lo, v1, s26
	s_cselect_b32 s28, s42, 0x400
	v_add_co_ci_u32_e32 v21, vcc_lo, s27, v3, vcc_lo
	s_ashr_i32 s29, s28, 31
	s_clause 0x7
	global_load_u16 v13, v[4:5], off
	global_load_u16 v4, v[6:7], off
	;; [unrolled: 1-line block ×8, first 2 shown]
	s_lshl_b64 s[28:29], s[28:29], 1
	s_cmpk_lt_i32 s22, 0xa00
	v_add_co_u32 v11, vcc_lo, v1, s28
	s_cselect_b32 s30, s42, 0x480
	v_add_co_ci_u32_e32 v12, vcc_lo, s29, v3, vcc_lo
	s_ashr_i32 s31, s30, 31
	s_delay_alu instid0(SALU_CYCLE_1)
	s_lshl_b64 s[30:31], s[30:31], 1
	s_cmpk_lt_i32 s22, 0xb00
	v_add_co_u32 v14, vcc_lo, v1, s30
	s_cselect_b32 s34, s42, 0x500
	v_add_co_ci_u32_e32 v15, vcc_lo, s31, v3, vcc_lo
	s_ashr_i32 s35, s34, 31
	s_delay_alu instid0(SALU_CYCLE_1)
	;; [unrolled: 7-line block ×7, first 2 shown]
	s_lshl_b64 s[4:5], s[6:7], 1
	s_cmpk_gt_i32 s23, 0x1000
	v_add_co_u32 v28, vcc_lo, v1, s4
	v_add_co_ci_u32_e32 v29, vcc_lo, s5, v3, vcc_lo
	s_clause 0x7
	global_load_u16 v19, v[11:12], off
	global_load_u16 v18, v[14:15], off
	;; [unrolled: 1-line block ×8, first 2 shown]
	v_dual_mov_b32 v20, 0 :: v_dual_mov_b32 v21, 0
	v_dual_mov_b32 v22, 0 :: v_dual_mov_b32 v23, 0
	;; [unrolled: 1-line block ×5, first 2 shown]
	s_cselect_b32 s6, -1, 0
	s_cmpk_lt_i32 s23, 0x1001
	s_waitcnt vmcnt(0)
	s_barrier
	buffer_gl0_inv
	s_cbranch_scc1 .LBB610_11
; %bb.10:
	s_cmpk_lt_i32 s22, 0x1100
	s_cselect_b32 s4, s42, 0x800
	s_delay_alu instid0(SALU_CYCLE_1) | instskip(NEXT) | instid1(SALU_CYCLE_1)
	s_ashr_i32 s5, s4, 31
	s_lshl_b64 s[4:5], s[4:5], 1
	s_cmpk_lt_i32 s22, 0x1200
	v_add_co_u32 v20, vcc_lo, v1, s4
	s_cselect_b32 s8, s42, 0x880
	v_add_co_ci_u32_e32 v21, vcc_lo, s5, v3, vcc_lo
	s_ashr_i32 s9, s8, 31
	s_delay_alu instid0(SALU_CYCLE_1)
	s_lshl_b64 s[8:9], s[8:9], 1
	s_cmpk_lt_i32 s22, 0x1300
	v_add_co_u32 v22, vcc_lo, v1, s8
	s_cselect_b32 s10, s42, 0x900
	v_add_co_ci_u32_e32 v23, vcc_lo, s9, v3, vcc_lo
	s_ashr_i32 s11, s10, 31
	s_delay_alu instid0(SALU_CYCLE_1)
	;; [unrolled: 7-line block ×14, first 2 shown]
	s_lshl_b64 s[4:5], s[18:19], 1
	s_cmpk_lt_i32 s22, 0x2000
	v_add_co_u32 v48, vcc_lo, v1, s4
	s_cselect_b32 s8, s42, 0xf80
	v_add_co_ci_u32_e32 v49, vcc_lo, s5, v3, vcc_lo
	s_ashr_i32 s9, s8, 31
	s_delay_alu instid0(SALU_CYCLE_1) | instskip(NEXT) | instid1(SALU_CYCLE_1)
	s_lshl_b64 s[4:5], s[8:9], 1
	v_add_co_u32 v50, vcc_lo, v1, s4
	v_add_co_ci_u32_e32 v51, vcc_lo, s5, v3, vcc_lo
	s_clause 0xf
	global_load_u16 v20, v[20:21], off
	global_load_u16 v21, v[22:23], off
	;; [unrolled: 1-line block ×16, first 2 shown]
	s_waitcnt vmcnt(15)
	v_lshlrev_b32_e32 v35, 16, v20
	s_waitcnt vmcnt(14)
	v_lshlrev_b32_e32 v34, 16, v21
	;; [unrolled: 2-line block ×16, first 2 shown]
.LBB610_11:
	ds_load_b128 v[36:39], v2
	ds_load_b128 v[40:43], v2 offset:16
	v_lshlrev_b32_e32 v44, 16, v4
	v_lshlrev_b32_e32 v13, 16, v13
	;; [unrolled: 1-line block ×5, first 2 shown]
	s_load_b64 s[0:1], s[0:1], 0x0
	s_and_b32 vcc_lo, exec_lo, s6
	v_lshlrev_b32_e32 v5, 16, v5
	s_waitcnt lgkmcnt(0)
	v_fma_f32 v4, v36, v13, 0
	s_delay_alu instid0(VALU_DEP_1) | instskip(NEXT) | instid1(VALU_DEP_1)
	v_dual_fmac_f32 v4, v37, v44 :: v_dual_lshlrev_b32 v13, 16, v7
	v_dual_fmac_f32 v4, v38, v10 :: v_dual_lshlrev_b32 v9, 16, v9
	s_delay_alu instid0(VALU_DEP_1) | instskip(SKIP_4) | instid1(VALU_DEP_1)
	v_fmac_f32_e32 v4, v39, v9
	ds_load_b128 v[36:39], v2 offset:48
	v_fmac_f32_e32 v4, v40, v8
	ds_load_b128 v[7:10], v2 offset:32
	v_fmac_f32_e32 v4, v41, v13
	v_fmac_f32_e32 v4, v42, v6
	v_lshlrev_b32_e32 v6, 16, v19
	s_delay_alu instid0(VALU_DEP_2) | instskip(SKIP_1) | instid1(VALU_DEP_1)
	v_dual_fmac_f32 v4, v43, v5 :: v_dual_lshlrev_b32 v5, 16, v18
	s_waitcnt lgkmcnt(0)
	v_fmac_f32_e32 v4, v7, v6
	v_lshlrev_b32_e32 v6, 16, v17
	s_delay_alu instid0(VALU_DEP_2) | instskip(NEXT) | instid1(VALU_DEP_1)
	v_dual_fmac_f32 v4, v8, v5 :: v_dual_lshlrev_b32 v5, 16, v16
	v_fmac_f32_e32 v4, v9, v6
	v_lshlrev_b32_e32 v6, 16, v15
	s_delay_alu instid0(VALU_DEP_2) | instskip(NEXT) | instid1(VALU_DEP_1)
	v_dual_fmac_f32 v4, v10, v5 :: v_dual_lshlrev_b32 v5, 16, v14
	;; [unrolled: 4-line block ×3, first 2 shown]
	v_fmac_f32_e32 v4, v38, v6
	s_delay_alu instid0(VALU_DEP_1)
	v_fmac_f32_e32 v4, v39, v5
	s_cbranch_vccz .LBB610_13
; %bb.12:
	ds_load_b128 v[5:8], v2 offset:64
	ds_load_b128 v[9:12], v2 offset:80
	s_waitcnt lgkmcnt(1)
	v_fmac_f32_e32 v4, v5, v35
	s_delay_alu instid0(VALU_DEP_1) | instskip(NEXT) | instid1(VALU_DEP_1)
	v_fmac_f32_e32 v4, v6, v34
	v_fmac_f32_e32 v4, v7, v33
	s_delay_alu instid0(VALU_DEP_1) | instskip(SKIP_3) | instid1(VALU_DEP_1)
	v_fmac_f32_e32 v4, v8, v32
	ds_load_b128 v[5:8], v2 offset:96
	s_waitcnt lgkmcnt(1)
	v_fmac_f32_e32 v4, v9, v31
	v_fmac_f32_e32 v4, v10, v30
	s_delay_alu instid0(VALU_DEP_1) | instskip(NEXT) | instid1(VALU_DEP_1)
	v_fmac_f32_e32 v4, v11, v29
	v_fmac_f32_e32 v4, v12, v28
	ds_load_b128 v[9:12], v2 offset:112
	s_waitcnt lgkmcnt(1)
	v_fmac_f32_e32 v4, v5, v27
	s_delay_alu instid0(VALU_DEP_1) | instskip(NEXT) | instid1(VALU_DEP_1)
	v_fmac_f32_e32 v4, v6, v26
	v_fmac_f32_e32 v4, v7, v25
	s_delay_alu instid0(VALU_DEP_1) | instskip(SKIP_1) | instid1(VALU_DEP_1)
	v_fmac_f32_e32 v4, v8, v24
	s_waitcnt lgkmcnt(0)
	v_fmac_f32_e32 v4, v9, v23
	s_delay_alu instid0(VALU_DEP_1) | instskip(NEXT) | instid1(VALU_DEP_1)
	v_fmac_f32_e32 v4, v10, v22
	v_fmac_f32_e32 v4, v11, v21
	s_delay_alu instid0(VALU_DEP_1)
	v_fmac_f32_e32 v4, v12, v20
.LBB610_13:
	s_movk_i32 s43, 0x1f80
	s_movk_i32 s44, 0x80
	s_mov_b32 s45, 32
	s_branch .LBB610_15
.LBB610_14:                             ;   in Loop: Header=BB610_15 Depth=1
	s_addk_i32 s43, 0x1000
	s_addk_i32 s44, 0x80
	s_add_i32 s45, s45, 32
	s_cmpk_eq_u32 s43, 0xdf80
	s_cbranch_scc1 .LBB610_17
.LBB610_15:                             ; =>This Inner Loop Header: Depth=1
	s_cmp_le_i32 s40, s45
	s_cbranch_scc1 .LBB610_14
; %bb.16:                               ;   in Loop: Header=BB610_15 Depth=1
	s_add_i32 s4, s43, 0xfffff080
	v_mov_b32_e32 v44, s44
	s_cmp_lt_i32 s4, s41
	s_cselect_b32 s4, s4, s42
	s_add_i32 s6, s43, 0xfffff100
	s_ashr_i32 s5, s4, 31
	s_delay_alu instid0(SALU_CYCLE_1)
	s_lshl_b64 s[38:39], s[4:5], 1
	s_cmp_lt_i32 s6, s41
	v_add_co_u32 v5, vcc_lo, v1, s38
	s_cselect_b32 s4, s6, s42
	s_add_i32 s6, s43, 0xfffff180
	s_ashr_i32 s5, s4, 31
	v_add_co_ci_u32_e32 v6, vcc_lo, s39, v3, vcc_lo
	s_lshl_b64 s[4:5], s[4:5], 1
	s_cmp_lt_i32 s6, s41
	s_cselect_b32 s6, s6, s42
	s_add_i32 s8, s43, 0xfffff200
	s_ashr_i32 s7, s6, 31
	global_load_u16 v2, v[5:6], off
	s_lshl_b64 s[6:7], s[6:7], 1
	s_cmp_lt_i32 s8, s41
	v_add_co_u32 v5, vcc_lo, v1, s4
	s_cselect_b32 s8, s8, s42
	s_add_i32 s10, s43, 0xfffff280
	s_ashr_i32 s9, s8, 31
	v_add_co_ci_u32_e32 v6, vcc_lo, s5, v3, vcc_lo
	s_lshl_b64 s[8:9], s[8:9], 1
	s_cmp_lt_i32 s10, s41
	v_add_co_u32 v7, vcc_lo, v1, s6
	s_cselect_b32 s10, s10, s42
	s_add_i32 s18, s43, 0xfffff300
	s_ashr_i32 s11, s10, 31
	v_add_co_ci_u32_e32 v8, vcc_lo, s7, v3, vcc_lo
	s_lshl_b64 s[10:11], s[10:11], 1
	s_cmp_lt_i32 s18, s41
	v_add_co_u32 v9, vcc_lo, v1, s8
	s_cselect_b32 s18, s18, s42
	s_add_i32 s20, s43, 0xfffff380
	s_ashr_i32 s19, s18, 31
	s_clause 0x1
	global_load_u16 v23, v[5:6], off
	global_load_u16 v24, v[7:8], off
	s_lshl_b64 s[18:19], s[18:19], 1
	s_cmp_lt_i32 s20, s41
	v_add_co_ci_u32_e32 v10, vcc_lo, s9, v3, vcc_lo
	s_cselect_b32 s20, s20, s42
	s_add_i32 s22, s43, 0xfffff400
	s_ashr_i32 s21, s20, 31
	global_load_u16 v25, v[9:10], off
	s_lshl_b64 s[20:21], s[20:21], 1
	s_cmp_lt_i32 s22, s41
	v_add_co_u32 v11, vcc_lo, v1, s10
	s_cselect_b32 s22, s22, s42
	s_add_i32 s24, s43, 0xfffff480
	s_ashr_i32 s23, s22, 31
	v_add_co_ci_u32_e32 v12, vcc_lo, s11, v3, vcc_lo
	s_lshl_b64 s[22:23], s[22:23], 1
	s_cmp_lt_i32 s24, s41
	v_add_co_u32 v13, vcc_lo, v1, s18
	global_load_u16 v26, v[11:12], off
	s_cselect_b32 s24, s24, s42
	s_add_i32 s26, s43, 0xfffff500
	s_ashr_i32 s25, s24, 31
	v_add_co_ci_u32_e32 v14, vcc_lo, s19, v3, vcc_lo
	s_lshl_b64 s[24:25], s[24:25], 1
	s_cmp_lt_i32 s26, s41
	v_add_co_u32 v15, vcc_lo, v1, s20
	global_load_u16 v27, v[13:14], off
	s_cselect_b32 s26, s26, s42
	s_add_i32 s28, s43, 0xfffff580
	s_ashr_i32 s27, s26, 31
	v_add_co_ci_u32_e32 v16, vcc_lo, s21, v3, vcc_lo
	s_lshl_b64 s[36:37], s[26:27], 1
	s_cmp_lt_i32 s28, s41
	v_add_co_u32 v17, vcc_lo, v1, s22
	s_cselect_b32 s26, s28, s42
	s_add_i32 s30, s43, 0xfffff600
	s_ashr_i32 s27, s26, 31
	v_add_co_ci_u32_e32 v18, vcc_lo, s23, v3, vcc_lo
	s_lshl_b64 s[28:29], s[26:27], 1
	s_cmp_lt_i32 s30, s41
	v_add_co_u32 v19, vcc_lo, v1, s24
	global_load_u16 v17, v[17:18], off
	s_cselect_b32 s26, s30, s42
	s_add_i32 s30, s43, 0xfffff680
	s_ashr_i32 s27, s26, 31
	v_add_co_ci_u32_e32 v20, vcc_lo, s25, v3, vcc_lo
	s_lshl_b64 s[26:27], s[26:27], 1
	s_cmp_lt_i32 s30, s41
	v_add_co_u32 v21, vcc_lo, v1, s36
	s_cselect_b32 s30, s30, s42
	s_add_i32 s46, s43, 0xfffff700
	s_ashr_i32 s31, s30, 31
	v_add_co_ci_u32_e32 v22, vcc_lo, s37, v3, vcc_lo
	s_lshl_b64 s[34:35], s[30:31], 1
	s_cmp_lt_i32 s46, s41
	v_add_co_u32 v5, vcc_lo, v1, s28
	;; [unrolled: 7-line block ×3, first 2 shown]
	s_cselect_b32 s46, s46, s42
	s_add_i32 s48, s43, 0xfffff800
	s_ashr_i32 s47, s46, 31
	global_load_u16 v28, v[15:16], off
	s_lshl_b64 s[38:39], s[46:47], 1
	s_cmp_lt_i32 s48, s41
	v_add_co_ci_u32_e32 v8, vcc_lo, s27, v3, vcc_lo
	s_cselect_b32 s46, s48, s42
	v_add_co_u32 v9, vcc_lo, v1, s34
	s_ashr_i32 s47, s46, 31
	s_add_i32 s4, s43, 0xfffff880
	s_lshl_b64 s[46:47], s[46:47], 1
	v_add_co_ci_u32_e32 v10, vcc_lo, s35, v3, vcc_lo
	s_cmp_lt_i32 s4, s41
	v_add_co_u32 v11, vcc_lo, v1, s30
	s_cselect_b32 s4, s4, s42
	v_add_co_ci_u32_e32 v12, vcc_lo, s31, v3, vcc_lo
	v_add_co_u32 v13, vcc_lo, v1, s38
	s_ashr_i32 s5, s4, 31
	s_add_i32 s6, s43, 0xfffff900
	v_add_co_ci_u32_e32 v14, vcc_lo, s39, v3, vcc_lo
	global_load_u16 v18, v[19:20], off
	s_lshl_b64 s[8:9], s[4:5], 1
	s_cmp_lt_i32 s6, s41
	global_load_u16 v30, v[13:14], off
	s_cselect_b32 s4, s6, s42
	global_load_u16 v19, v[21:22], off
	s_ashr_i32 s5, s4, 31
	s_add_i32 s6, s43, 0xfffff980
	s_lshl_b64 s[10:11], s[4:5], 1
	s_cmp_lt_i32 s6, s41
	s_clause 0x3
	global_load_u16 v20, v[5:6], off
	global_load_u16 v21, v[7:8], off
	;; [unrolled: 1-line block ×4, first 2 shown]
	s_cselect_b32 s4, s6, s42
	s_add_i32 s6, s43, 0xfffffa00
	s_ashr_i32 s5, s4, 31
	v_add_co_u32 v15, vcc_lo, v1, s46
	s_lshl_b64 s[4:5], s[4:5], 1
	s_cmp_lt_i32 s6, s41
	v_add_co_ci_u32_e32 v16, vcc_lo, s47, v3, vcc_lo
	s_cselect_b32 s6, s6, s42
	s_add_i32 s18, s43, 0xfffffa80
	s_ashr_i32 s7, s6, 31
	v_add_co_u32 v5, vcc_lo, v1, s8
	s_lshl_b64 s[6:7], s[6:7], 1
	s_cmp_lt_i32 s18, s41
	v_add_co_ci_u32_e32 v6, vcc_lo, s9, v3, vcc_lo
	s_cselect_b32 s18, s18, s42
	v_add_co_u32 v7, vcc_lo, v1, s10
	s_ashr_i32 s19, s18, 31
	s_add_i32 s20, s43, 0xfffffb00
	s_lshl_b64 s[18:19], s[18:19], 1
	v_add_co_ci_u32_e32 v8, vcc_lo, s11, v3, vcc_lo
	s_cmp_lt_i32 s20, s41
	v_add_co_u32 v9, vcc_lo, v1, s4
	s_cselect_b32 s20, s20, s42
	v_add_co_ci_u32_e32 v10, vcc_lo, s5, v3, vcc_lo
	v_add_co_u32 v11, vcc_lo, v1, s6
	s_ashr_i32 s21, s20, 31
	s_add_i32 s22, s43, 0xfffffb80
	v_add_co_ci_u32_e32 v12, vcc_lo, s7, v3, vcc_lo
	global_load_u16 v15, v[15:16], off
	s_lshl_b64 s[20:21], s[20:21], 1
	s_cmp_lt_i32 s22, s41
	global_load_u16 v33, v[11:12], off
	s_cselect_b32 s22, s22, s42
	s_clause 0x2
	global_load_u16 v16, v[5:6], off
	global_load_u16 v31, v[7:8], off
	;; [unrolled: 1-line block ×3, first 2 shown]
	s_ashr_i32 s23, s22, 31
	s_add_i32 s24, s43, 0xfffffc00
	s_lshl_b64 s[22:23], s[22:23], 1
	s_cmp_lt_i32 s24, s41
	v_add_co_u32 v13, vcc_lo, v1, s18
	s_cselect_b32 s24, s24, s42
	s_add_i32 s26, s43, 0xfffffc80
	s_ashr_i32 s25, s24, 31
	v_add_co_ci_u32_e32 v14, vcc_lo, s19, v3, vcc_lo
	s_lshl_b64 s[24:25], s[24:25], 1
	s_cmp_lt_i32 s26, s41
	v_add_co_u32 v5, vcc_lo, v1, s20
	s_cselect_b32 s8, s26, s42
	v_add_co_ci_u32_e32 v6, vcc_lo, s21, v3, vcc_lo
	s_ashr_i32 s9, s8, 31
	v_add_co_u32 v7, vcc_lo, v1, s22
	s_add_i32 s10, s43, 0xfffffd00
	s_lshl_b64 s[8:9], s[8:9], 1
	v_add_co_ci_u32_e32 v8, vcc_lo, s23, v3, vcc_lo
	s_cmp_lt_i32 s10, s41
	v_add_co_u32 v9, vcc_lo, v1, s24
	s_cselect_b32 s4, s10, s42
	global_load_u16 v13, v[13:14], off
	v_add_co_ci_u32_e32 v10, vcc_lo, s25, v3, vcc_lo
	s_ashr_i32 s5, s4, 31
	s_add_i32 s6, s43, 0xfffffd80
	s_lshl_b64 s[4:5], s[4:5], 1
	global_load_u16 v35, v[9:10], off
	s_cmp_lt_i32 s6, s41
	s_clause 0x1
	global_load_u16 v14, v[5:6], off
	global_load_u16 v34, v[7:8], off
	s_cselect_b32 s6, s6, s42
	s_add_i32 s10, s43, 0xfffffe00
	s_ashr_i32 s7, s6, 31
	v_add_co_u32 v5, vcc_lo, v1, s8
	s_lshl_b64 s[6:7], s[6:7], 1
	s_cmp_lt_i32 s10, s41
	v_add_co_ci_u32_e32 v6, vcc_lo, s9, v3, vcc_lo
	s_cselect_b32 s10, s10, s42
	v_add_co_u32 v7, vcc_lo, v1, s4
	s_ashr_i32 s11, s10, 31
	v_add_co_ci_u32_e32 v8, vcc_lo, s5, v3, vcc_lo
	s_add_i32 s18, s43, 0xfffffe80
	s_lshl_b64 s[10:11], s[10:11], 1
	s_cmp_lt_i32 s18, s41
	s_clause 0x1
	global_load_u16 v36, v[5:6], off
	global_load_u16 v37, v[7:8], off
	s_cselect_b32 s18, s18, s42
	v_add_co_u32 v5, vcc_lo, v1, s6
	s_ashr_i32 s19, s18, 31
	v_add_co_ci_u32_e32 v6, vcc_lo, s7, v3, vcc_lo
	s_add_i32 s20, s43, 0xffffff00
	v_add_co_u32 v7, vcc_lo, v1, s10
	s_lshl_b64 s[8:9], s[18:19], 1
	s_cmp_lt_i32 s20, s41
	v_add_co_ci_u32_e32 v8, vcc_lo, s11, v3, vcc_lo
	s_cselect_b32 s4, s20, s42
	global_load_u16 v38, v[5:6], off
	s_ashr_i32 s5, s4, 31
	global_load_u16 v39, v[7:8], off
	s_add_i32 s18, s43, 0xffffff80
	v_add_co_u32 v5, vcc_lo, v1, s8
	s_lshl_b64 s[4:5], s[4:5], 1
	s_cmp_lt_i32 s18, s41
	v_add_co_ci_u32_e32 v6, vcc_lo, s9, v3, vcc_lo
	v_add_co_u32 v7, vcc_lo, v1, s4
	s_cselect_b32 s6, s18, s42
	v_add_co_ci_u32_e32 v8, vcc_lo, s5, v3, vcc_lo
	s_ashr_i32 s7, s6, 31
	global_load_u16 v40, v[5:6], off
	s_lshl_b64 s[6:7], s[6:7], 1
	global_load_u16 v41, v[7:8], off
	s_cmp_lt_i32 s43, s41
	v_add_co_u32 v5, vcc_lo, v1, s6
	s_cselect_b32 s4, s43, s42
	v_add_co_ci_u32_e32 v6, vcc_lo, s7, v3, vcc_lo
	s_ashr_i32 s5, s4, 31
	s_delay_alu instid0(SALU_CYCLE_1)
	s_lshl_b64 s[4:5], s[4:5], 1
	global_load_u16 v42, v[5:6], off
	v_add_co_u32 v5, vcc_lo, v1, s4
	v_add_co_ci_u32_e32 v6, vcc_lo, s5, v3, vcc_lo
	global_load_u16 v43, v[5:6], off
	ds_load_b128 v[5:8], v44
	ds_load_b128 v[9:12], v44 offset:16
	s_waitcnt vmcnt(31)
	v_lshlrev_b32_e32 v2, 16, v2
	s_waitcnt lgkmcnt(1)
	s_delay_alu instid0(VALU_DEP_1) | instskip(SKIP_2) | instid1(VALU_DEP_1)
	v_fmac_f32_e32 v4, v5, v2
	s_waitcnt vmcnt(30)
	v_lshlrev_b32_e32 v2, 16, v23
	v_fmac_f32_e32 v4, v6, v2
	s_waitcnt vmcnt(29)
	v_lshlrev_b32_e32 v2, 16, v24
	s_delay_alu instid0(VALU_DEP_1) | instskip(SKIP_2) | instid1(VALU_DEP_1)
	v_fmac_f32_e32 v4, v7, v2
	s_waitcnt vmcnt(28)
	v_lshlrev_b32_e32 v2, 16, v25
	v_fmac_f32_e32 v4, v8, v2
	ds_load_b128 v[5:8], v44 offset:32
	s_waitcnt vmcnt(27)
	v_lshlrev_b32_e32 v2, 16, v26
	s_waitcnt lgkmcnt(1)
	s_delay_alu instid0(VALU_DEP_1) | instskip(SKIP_2) | instid1(VALU_DEP_1)
	v_fmac_f32_e32 v4, v9, v2
	s_waitcnt vmcnt(26)
	v_lshlrev_b32_e32 v2, 16, v27
	v_fmac_f32_e32 v4, v10, v2
	s_waitcnt vmcnt(24)
	v_lshlrev_b32_e32 v2, 16, v28
	s_delay_alu instid0(VALU_DEP_1) | instskip(SKIP_1) | instid1(VALU_DEP_1)
	v_fmac_f32_e32 v4, v11, v2
	v_lshlrev_b32_e32 v2, 16, v17
	v_fmac_f32_e32 v4, v12, v2
	ds_load_b128 v[9:12], v44 offset:48
	s_waitcnt vmcnt(23)
	v_lshlrev_b32_e32 v2, 16, v18
	s_waitcnt lgkmcnt(1)
	s_delay_alu instid0(VALU_DEP_1) | instskip(SKIP_2) | instid1(VALU_DEP_1)
	v_fmac_f32_e32 v4, v5, v2
	s_waitcnt vmcnt(21)
	v_lshlrev_b32_e32 v2, 16, v19
	v_fmac_f32_e32 v4, v6, v2
	s_waitcnt vmcnt(20)
	v_lshlrev_b32_e32 v2, 16, v20
	s_delay_alu instid0(VALU_DEP_1) | instskip(SKIP_2) | instid1(VALU_DEP_1)
	v_fmac_f32_e32 v4, v7, v2
	s_waitcnt vmcnt(19)
	v_lshlrev_b32_e32 v2, 16, v21
	v_fmac_f32_e32 v4, v8, v2
	s_waitcnt vmcnt(18)
	v_lshlrev_b32_e32 v2, 16, v22
	ds_load_b128 v[5:8], v44 offset:64
	s_waitcnt lgkmcnt(1)
	v_fmac_f32_e32 v4, v9, v2
	s_waitcnt vmcnt(17)
	v_lshlrev_b32_e32 v2, 16, v29
	s_delay_alu instid0(VALU_DEP_1) | instskip(SKIP_1) | instid1(VALU_DEP_1)
	v_fmac_f32_e32 v4, v10, v2
	v_lshlrev_b32_e32 v2, 16, v30
	v_fmac_f32_e32 v4, v11, v2
	s_waitcnt vmcnt(16)
	v_lshlrev_b32_e32 v2, 16, v15
	s_delay_alu instid0(VALU_DEP_1) | instskip(SKIP_4) | instid1(VALU_DEP_1)
	v_fmac_f32_e32 v4, v12, v2
	ds_load_b128 v[9:12], v44 offset:80
	s_waitcnt vmcnt(14)
	v_lshlrev_b32_e32 v2, 16, v16
	s_waitcnt lgkmcnt(1)
	v_fmac_f32_e32 v4, v5, v2
	s_waitcnt vmcnt(13)
	v_lshlrev_b32_e32 v2, 16, v31
	s_delay_alu instid0(VALU_DEP_1) | instskip(SKIP_2) | instid1(VALU_DEP_1)
	v_fmac_f32_e32 v4, v6, v2
	s_waitcnt vmcnt(12)
	v_lshlrev_b32_e32 v2, 16, v32
	v_fmac_f32_e32 v4, v7, v2
	v_lshlrev_b32_e32 v2, 16, v33
	s_delay_alu instid0(VALU_DEP_1) | instskip(SKIP_4) | instid1(VALU_DEP_1)
	v_fmac_f32_e32 v4, v8, v2
	ds_load_b128 v[5:8], v44 offset:96
	s_waitcnt vmcnt(11)
	v_lshlrev_b32_e32 v2, 16, v13
	s_waitcnt lgkmcnt(1)
	v_fmac_f32_e32 v4, v9, v2
	s_waitcnt vmcnt(9)
	v_lshlrev_b32_e32 v2, 16, v14
	s_delay_alu instid0(VALU_DEP_1) | instskip(SKIP_2) | instid1(VALU_DEP_1)
	v_fmac_f32_e32 v4, v10, v2
	s_waitcnt vmcnt(8)
	v_lshlrev_b32_e32 v2, 16, v34
	v_fmac_f32_e32 v4, v11, v2
	;; [unrolled: 15-line block ×3, first 2 shown]
	s_waitcnt vmcnt(4)
	v_lshlrev_b32_e32 v2, 16, v39
	s_delay_alu instid0(VALU_DEP_1) | instskip(SKIP_3) | instid1(VALU_DEP_1)
	v_fmac_f32_e32 v4, v8, v2
	s_waitcnt vmcnt(3)
	v_lshlrev_b32_e32 v2, 16, v40
	s_waitcnt lgkmcnt(0)
	v_fmac_f32_e32 v4, v9, v2
	s_waitcnt vmcnt(2)
	v_lshlrev_b32_e32 v2, 16, v41
	s_delay_alu instid0(VALU_DEP_1) | instskip(SKIP_2) | instid1(VALU_DEP_1)
	v_fmac_f32_e32 v4, v10, v2
	s_waitcnt vmcnt(1)
	v_lshlrev_b32_e32 v2, 16, v42
	v_fmac_f32_e32 v4, v11, v2
	s_waitcnt vmcnt(0)
	v_lshlrev_b32_e32 v2, 16, v43
	s_delay_alu instid0(VALU_DEP_1)
	v_fmac_f32_e32 v4, v12, v2
	s_branch .LBB610_14
.LBB610_17:
	v_mov_b32_e32 v1, 0
	s_and_b32 vcc_lo, exec_lo, s15
	ds_load_b32 v1, v1 offset:1664
	s_cbranch_vccz .LBB610_19
; %bb.18:
	s_add_u32 s2, s12, s16
	s_addc_u32 s3, s13, s17
	s_load_b32 s2, s[2:3], 0x0
	s_mov_b32 s3, 0
.LBB610_19:
	s_waitcnt lgkmcnt(0)
	v_add_f32_e32 v1, 0x358637bd, v1
	s_delay_alu instid0(VALU_DEP_1) | instskip(NEXT) | instid1(VALU_DEP_1)
	v_div_scale_f32 v2, null, v1, v1, 1.0
	v_rcp_f32_e32 v3, v2
	s_waitcnt_depctr 0xfff
	v_fma_f32 v5, -v2, v3, 1.0
	s_delay_alu instid0(VALU_DEP_1) | instskip(SKIP_1) | instid1(VALU_DEP_1)
	v_fmac_f32_e32 v3, v5, v3
	v_div_scale_f32 v5, vcc_lo, 1.0, v1, 1.0
	v_mul_f32_e32 v6, v5, v3
	s_delay_alu instid0(VALU_DEP_1) | instskip(NEXT) | instid1(VALU_DEP_1)
	v_fma_f32 v7, -v2, v6, v5
	v_fmac_f32_e32 v6, v7, v3
	s_delay_alu instid0(VALU_DEP_1) | instskip(NEXT) | instid1(VALU_DEP_1)
	v_fma_f32 v2, -v2, v6, v5
	v_div_fmas_f32 v2, v2, v3, v6
	s_delay_alu instid0(VALU_DEP_1) | instskip(NEXT) | instid1(VALU_DEP_1)
	v_div_fixup_f32 v1, v2, v1, 1.0
	v_mul_f32_e32 v2, v4, v1
	s_delay_alu instid0(VALU_DEP_1) | instskip(NEXT) | instid1(VALU_DEP_1)
	v_and_b32_e32 v1, 0x7f800000, v2
	v_cmp_ne_u32_e32 vcc_lo, 0x7f800000, v1
                                        ; implicit-def: $vgpr1
	s_and_saveexec_b32 s4, vcc_lo
	s_delay_alu instid0(SALU_CYCLE_1)
	s_xor_b32 s4, exec_lo, s4
; %bb.20:
	v_bfe_u32 v1, v2, 16, 1
	s_delay_alu instid0(VALU_DEP_1)
	v_add3_u32 v1, v2, v1, 0x7fff
                                        ; implicit-def: $vgpr2
; %bb.21:
	s_and_not1_saveexec_b32 s4, s4
; %bb.22:
	v_and_b32_e32 v1, 0xffff, v2
	v_or_b32_e32 v3, 0x10000, v2
	s_delay_alu instid0(VALU_DEP_2) | instskip(NEXT) | instid1(VALU_DEP_2)
	v_cmp_eq_u32_e32 vcc_lo, 0, v1
	v_cndmask_b32_e32 v1, v3, v2, vcc_lo
; %bb.23:
	s_or_b32 exec_lo, exec_lo, s4
	s_mul_i32 s3, s33, s3
	s_mul_hi_u32 s4, s33, s2
	s_mul_i32 s2, s33, s2
	s_add_i32 s3, s4, s3
	s_mov_b32 s15, 0
	s_lshl_b64 s[2:3], s[2:3], 7
	v_and_b32_e32 v1, 0xffff0000, v1
	s_add_u32 s2, s0, s2
	s_addc_u32 s3, s1, s3
	s_lshl_b64 s[0:1], s[14:15], 7
	s_delay_alu instid0(SALU_CYCLE_1)
	s_add_u32 s0, s2, s0
	s_addc_u32 s1, s3, s1
	v_add_co_u32 v0, s0, s0, v0
	v_cvt_i32_f32_e32 v2, v1
	v_add_co_ci_u32_e64 v1, null, s1, 0, s0
	global_store_b8 v[0:1], v2, off
	s_nop 0
	s_sendmsg sendmsg(MSG_DEALLOC_VGPRS)
	s_endpgm
.LBB610_24:
	s_mov_b32 s4, 0
	s_branch .LBB610_2
	.section	.rodata,"a",@progbits
	.p2align	6, 0x0
	.amdhsa_kernel _Z35paged_attention_ll4mi_reduce_kernelI14__hip_bfloat16hLi128ELi128ELi256ELi13EEvPT0_PKfS4_PKT_PKiS9_iS4_
		.amdhsa_group_segment_fixed_size 1668
		.amdhsa_private_segment_fixed_size 0
		.amdhsa_kernarg_size 320
		.amdhsa_user_sgpr_count 14
		.amdhsa_user_sgpr_dispatch_ptr 0
		.amdhsa_user_sgpr_queue_ptr 0
		.amdhsa_user_sgpr_kernarg_segment_ptr 1
		.amdhsa_user_sgpr_dispatch_id 0
		.amdhsa_user_sgpr_private_segment_size 0
		.amdhsa_wavefront_size32 1
		.amdhsa_uses_dynamic_stack 0
		.amdhsa_enable_private_segment 0
		.amdhsa_system_sgpr_workgroup_id_x 1
		.amdhsa_system_sgpr_workgroup_id_y 1
		.amdhsa_system_sgpr_workgroup_id_z 0
		.amdhsa_system_sgpr_workgroup_info 0
		.amdhsa_system_vgpr_workitem_id 0
		.amdhsa_next_free_vgpr 68
		.amdhsa_next_free_sgpr 49
		.amdhsa_reserve_vcc 1
		.amdhsa_float_round_mode_32 0
		.amdhsa_float_round_mode_16_64 0
		.amdhsa_float_denorm_mode_32 3
		.amdhsa_float_denorm_mode_16_64 3
		.amdhsa_dx10_clamp 1
		.amdhsa_ieee_mode 1
		.amdhsa_fp16_overflow 0
		.amdhsa_workgroup_processor_mode 1
		.amdhsa_memory_ordered 1
		.amdhsa_forward_progress 0
		.amdhsa_shared_vgpr_count 0
		.amdhsa_exception_fp_ieee_invalid_op 0
		.amdhsa_exception_fp_denorm_src 0
		.amdhsa_exception_fp_ieee_div_zero 0
		.amdhsa_exception_fp_ieee_overflow 0
		.amdhsa_exception_fp_ieee_underflow 0
		.amdhsa_exception_fp_ieee_inexact 0
		.amdhsa_exception_int_div_zero 0
	.end_amdhsa_kernel
	.section	.text._Z35paged_attention_ll4mi_reduce_kernelI14__hip_bfloat16hLi128ELi128ELi256ELi13EEvPT0_PKfS4_PKT_PKiS9_iS4_,"axG",@progbits,_Z35paged_attention_ll4mi_reduce_kernelI14__hip_bfloat16hLi128ELi128ELi256ELi13EEvPT0_PKfS4_PKT_PKiS9_iS4_,comdat
.Lfunc_end610:
	.size	_Z35paged_attention_ll4mi_reduce_kernelI14__hip_bfloat16hLi128ELi128ELi256ELi13EEvPT0_PKfS4_PKT_PKiS9_iS4_, .Lfunc_end610-_Z35paged_attention_ll4mi_reduce_kernelI14__hip_bfloat16hLi128ELi128ELi256ELi13EEvPT0_PKfS4_PKT_PKiS9_iS4_
                                        ; -- End function
	.section	.AMDGPU.csdata,"",@progbits
; Kernel info:
; codeLenInByte = 7700
; NumSgprs: 51
; NumVgprs: 68
; ScratchSize: 0
; MemoryBound: 0
; FloatMode: 240
; IeeeMode: 1
; LDSByteSize: 1668 bytes/workgroup (compile time only)
; SGPRBlocks: 6
; VGPRBlocks: 8
; NumSGPRsForWavesPerEU: 51
; NumVGPRsForWavesPerEU: 68
; Occupancy: 16
; WaveLimiterHint : 0
; COMPUTE_PGM_RSRC2:SCRATCH_EN: 0
; COMPUTE_PGM_RSRC2:USER_SGPR: 14
; COMPUTE_PGM_RSRC2:TRAP_HANDLER: 0
; COMPUTE_PGM_RSRC2:TGID_X_EN: 1
; COMPUTE_PGM_RSRC2:TGID_Y_EN: 1
; COMPUTE_PGM_RSRC2:TGID_Z_EN: 0
; COMPUTE_PGM_RSRC2:TIDIG_COMP_CNT: 0
	.section	.text._Z35paged_attention_ll4mi_reduce_kernelI14__hip_bfloat16hLi128ELi128ELi256ELi14EEvPT0_PKfS4_PKT_PKiS9_iS4_,"axG",@progbits,_Z35paged_attention_ll4mi_reduce_kernelI14__hip_bfloat16hLi128ELi128ELi256ELi14EEvPT0_PKfS4_PKT_PKiS9_iS4_,comdat
	.protected	_Z35paged_attention_ll4mi_reduce_kernelI14__hip_bfloat16hLi128ELi128ELi256ELi14EEvPT0_PKfS4_PKT_PKiS9_iS4_ ; -- Begin function _Z35paged_attention_ll4mi_reduce_kernelI14__hip_bfloat16hLi128ELi128ELi256ELi14EEvPT0_PKfS4_PKT_PKiS9_iS4_
	.globl	_Z35paged_attention_ll4mi_reduce_kernelI14__hip_bfloat16hLi128ELi128ELi256ELi14EEvPT0_PKfS4_PKT_PKiS9_iS4_
	.p2align	8
	.type	_Z35paged_attention_ll4mi_reduce_kernelI14__hip_bfloat16hLi128ELi128ELi256ELi14EEvPT0_PKfS4_PKT_PKiS9_iS4_,@function
_Z35paged_attention_ll4mi_reduce_kernelI14__hip_bfloat16hLi128ELi128ELi256ELi14EEvPT0_PKfS4_PKT_PKiS9_iS4_: ; @_Z35paged_attention_ll4mi_reduce_kernelI14__hip_bfloat16hLi128ELi128ELi256ELi14EEvPT0_PKfS4_PKT_PKiS9_iS4_
; %bb.0:
	s_load_b64 s[12:13], s[0:1], 0x28
	s_mov_b32 s2, s15
	s_waitcnt lgkmcnt(0)
	s_cmp_lg_u64 s[12:13], 0
	s_cselect_b32 s15, -1, 0
	s_delay_alu instid0(SALU_CYCLE_1)
	s_and_b32 vcc_lo, exec_lo, s15
	s_cbranch_vccz .LBB611_24
; %bb.1:
	s_add_i32 s4, s2, 1
	s_mov_b32 s5, 0
	s_delay_alu instid0(SALU_CYCLE_1) | instskip(SKIP_4) | instid1(SALU_CYCLE_1)
	s_lshl_b64 s[6:7], s[4:5], 2
	s_mov_b32 s3, s5
	s_add_u32 s6, s12, s6
	s_addc_u32 s7, s13, s7
	s_lshl_b64 s[8:9], s[2:3], 2
	s_add_u32 s8, s12, s8
	s_addc_u32 s9, s13, s9
	s_clause 0x1
	s_load_b32 s4, s[6:7], 0x0
	s_load_b32 s6, s[8:9], 0x0
	s_waitcnt lgkmcnt(0)
	s_sub_i32 s4, s4, s6
	s_delay_alu instid0(SALU_CYCLE_1)
	s_cmp_eq_u32 s4, 1
	s_cselect_b32 s4, -1, 0
	s_cbranch_execnz .LBB611_3
.LBB611_2:
	s_mov_b32 s3, 0
	s_mov_b32 s4, -1
.LBB611_3:
	s_delay_alu instid0(SALU_CYCLE_1)
	s_and_not1_b32 vcc_lo, exec_lo, s4
	s_cbranch_vccz .LBB611_5
; %bb.4:
	s_endpgm
.LBB611_5:
	s_clause 0x1
	s_load_b128 s[4:7], s[0:1], 0x18
	s_load_b32 s9, s[0:1], 0x30
	s_lshl_b64 s[16:17], s[2:3], 2
	s_waitcnt lgkmcnt(0)
	s_add_u32 s6, s6, s16
	s_addc_u32 s7, s7, s17
	s_load_b32 s23, s[6:7], 0x0
	s_load_b32 s33, s[0:1], 0x40
	s_mul_i32 s7, s2, s9
	s_waitcnt lgkmcnt(0)
	s_add_i32 s22, s23, 0xff
	s_delay_alu instid0(SALU_CYCLE_1) | instskip(NEXT) | instid1(SALU_CYCLE_1)
	s_ashr_i32 s6, s22, 31
	s_lshr_b32 s6, s6, 24
	s_delay_alu instid0(SALU_CYCLE_1) | instskip(SKIP_4) | instid1(SALU_CYCLE_1)
	s_add_i32 s8, s22, s6
	s_mul_i32 s6, s14, s9
	s_mov_b32 s9, exec_lo
	v_cmpx_lt_u32_e32 31, v0
	s_xor_b32 s9, exec_lo, s9
	s_or_saveexec_b32 s24, s9
	v_mov_b32_e32 v1, s6
	s_ashr_i32 s40, s8, 8
	s_mul_i32 s18, s7, s33
	s_xor_b32 exec_lo, exec_lo, s24
	s_cbranch_execz .LBB611_9
; %bb.6:
	v_or_b32_e32 v2, 32, v0
	v_cmp_gt_i32_e32 vcc_lo, s40, v0
	s_add_i32 s20, s40, -1
	v_or_b32_e32 v4, 64, v0
	v_or_b32_e32 v6, 0x80, v0
	s_load_b128 s[8:11], s[0:1], 0x8
	v_cndmask_b32_e32 v1, s20, v0, vcc_lo
	v_cmp_gt_i32_e32 vcc_lo, s40, v2
	s_mov_b32 s19, 0
	s_delay_alu instid0(SALU_CYCLE_1) | instskip(SKIP_4) | instid1(VALU_DEP_3)
	s_mov_b32 s7, s19
	v_cndmask_b32_e32 v3, s20, v2, vcc_lo
	v_or_b32_e32 v2, 0x60, v0
	v_cmp_gt_i32_e32 vcc_lo, s40, v4
	v_cndmask_b32_e32 v5, s20, v4, vcc_lo
	v_cmp_gt_i32_e32 vcc_lo, s40, v2
	v_or_b32_e32 v4, 0xa0, v0
	v_cndmask_b32_e32 v7, s20, v2, vcc_lo
	v_cmp_gt_i32_e32 vcc_lo, s40, v6
	v_or_b32_e32 v2, 0xc0, v0
	s_delay_alu instid0(VALU_DEP_3) | instskip(SKIP_3) | instid1(VALU_DEP_3)
	v_ashrrev_i32_e32 v8, 31, v7
	v_cndmask_b32_e32 v9, s20, v6, vcc_lo
	v_cmp_gt_i32_e32 vcc_lo, s40, v4
	v_or_b32_e32 v6, 0x100, v0
	v_ashrrev_i32_e32 v10, 31, v9
	v_cndmask_b32_e32 v11, s20, v4, vcc_lo
	v_or_b32_e32 v4, 0xe0, v0
	v_cmp_gt_i32_e32 vcc_lo, s40, v2
	s_delay_alu instid0(VALU_DEP_3) | instskip(SKIP_1) | instid1(VALU_DEP_4)
	v_ashrrev_i32_e32 v12, 31, v11
	v_cndmask_b32_e32 v13, s20, v2, vcc_lo
	v_cmp_gt_i32_e32 vcc_lo, s40, v4
	v_or_b32_e32 v2, 0x120, v0
	s_delay_alu instid0(VALU_DEP_3) | instskip(SKIP_3) | instid1(VALU_DEP_3)
	v_ashrrev_i32_e32 v14, 31, v13
	v_cndmask_b32_e32 v15, s20, v4, vcc_lo
	v_cmp_gt_i32_e32 vcc_lo, s40, v6
	v_or_b32_e32 v4, 0x140, v0
	v_ashrrev_i32_e32 v16, 31, v15
	v_cndmask_b32_e32 v17, s20, v6, vcc_lo
	v_cmp_gt_i32_e32 vcc_lo, s40, v2
	v_or_b32_e32 v6, 0x180, v0
	s_delay_alu instid0(VALU_DEP_3) | instskip(SKIP_3) | instid1(VALU_DEP_3)
	v_ashrrev_i32_e32 v18, 31, v17
	v_cndmask_b32_e32 v19, s20, v2, vcc_lo
	v_or_b32_e32 v2, 0x160, v0
	v_cmp_gt_i32_e32 vcc_lo, s40, v4
	v_ashrrev_i32_e32 v20, 31, v19
	v_cndmask_b32_e32 v21, s20, v4, vcc_lo
	s_delay_alu instid0(VALU_DEP_4) | instskip(SKIP_1) | instid1(VALU_DEP_3)
	v_cmp_gt_i32_e32 vcc_lo, s40, v2
	v_or_b32_e32 v4, 0x1a0, v0
	v_ashrrev_i32_e32 v22, 31, v21
	v_cndmask_b32_e32 v23, s20, v2, vcc_lo
	v_cmp_gt_i32_e32 vcc_lo, s40, v6
	v_ashrrev_i32_e32 v2, 31, v1
	s_delay_alu instid0(VALU_DEP_3) | instskip(SKIP_2) | instid1(VALU_DEP_4)
	v_ashrrev_i32_e32 v24, 31, v23
	v_cndmask_b32_e32 v25, s20, v6, vcc_lo
	v_cmp_gt_i32_e32 vcc_lo, s40, v4
	v_lshlrev_b64 v[29:30], 2, v[1:2]
	v_ashrrev_i32_e32 v6, 31, v5
	s_delay_alu instid0(VALU_DEP_4)
	v_ashrrev_i32_e32 v26, 31, v25
	v_cndmask_b32_e32 v27, s20, v4, vcc_lo
	v_ashrrev_i32_e32 v4, 31, v3
	s_lshl_b64 s[20:21], s[18:19], 2
	s_waitcnt lgkmcnt(0)
	s_add_u32 s19, s10, s20
	s_addc_u32 s25, s11, s21
	s_lshl_b64 s[10:11], s[6:7], 2
	v_lshlrev_b64 v[31:32], 2, v[3:4]
	s_add_u32 s7, s19, s10
	s_addc_u32 s19, s25, s11
	v_add_co_u32 v1, vcc_lo, s7, v29
	v_lshlrev_b64 v[4:5], 2, v[5:6]
	v_add_co_ci_u32_e32 v2, vcc_lo, s19, v30, vcc_lo
	v_add_co_u32 v33, vcc_lo, s7, v31
	v_lshlrev_b64 v[6:7], 2, v[7:8]
	v_add_co_ci_u32_e32 v34, vcc_lo, s19, v32, vcc_lo
	;; [unrolled: 3-line block ×6, first 2 shown]
	v_add_co_u32 v43, vcc_lo, s7, v12
	v_add_co_ci_u32_e32 v44, vcc_lo, s19, v13, vcc_lo
	s_delay_alu instid0(VALU_DEP_4)
	v_add_co_u32 v45, vcc_lo, s7, v14
	v_add_co_ci_u32_e32 v46, vcc_lo, s19, v15, vcc_lo
	s_clause 0x7
	global_load_b32 v47, v[1:2], off
	global_load_b32 v48, v[33:34], off
	;; [unrolled: 1-line block ×8, first 2 shown]
	v_lshlrev_b64 v[16:17], 2, v[17:18]
	v_lshlrev_b64 v[18:19], 2, v[19:20]
	v_lshlrev_b64 v[20:21], 2, v[21:22]
	v_lshlrev_b64 v[22:23], 2, v[23:24]
	v_ashrrev_i32_e32 v28, 31, v27
	v_lshlrev_b64 v[24:25], 2, v[25:26]
	v_add_co_u32 v1, vcc_lo, s7, v16
	v_add_co_ci_u32_e32 v2, vcc_lo, s19, v17, vcc_lo
	v_add_co_u32 v33, vcc_lo, s7, v18
	v_add_co_ci_u32_e32 v34, vcc_lo, s19, v19, vcc_lo
	;; [unrolled: 2-line block ×3, first 2 shown]
	v_add_co_u32 v37, vcc_lo, s7, v22
	v_lshlrev_b64 v[26:27], 2, v[27:28]
	v_add_co_ci_u32_e32 v38, vcc_lo, s19, v23, vcc_lo
	s_clause 0x3
	global_load_b32 v43, v[1:2], off
	global_load_b32 v44, v[33:34], off
	;; [unrolled: 1-line block ×4, first 2 shown]
	v_add_co_u32 v1, vcc_lo, s7, v24
	v_add_co_ci_u32_e32 v2, vcc_lo, s19, v25, vcc_lo
	v_add_co_u32 v33, vcc_lo, s7, v26
	v_add_co_ci_u32_e32 v34, vcc_lo, s19, v27, vcc_lo
	s_clause 0x1
	global_load_b32 v37, v[1:2], off
	global_load_b32 v33, v[33:34], off
	v_mbcnt_lo_u32_b32 v34, -1, 0
	s_add_u32 s7, s8, s20
	s_addc_u32 s8, s9, s21
	s_add_u32 s7, s7, s10
	s_addc_u32 s8, s8, s11
	v_xor_b32_e32 v3, 8, v34
	v_xor_b32_e32 v28, 4, v34
	s_waitcnt vmcnt(12)
	v_dual_max_f32 v2, v47, v47 :: v_dual_max_f32 v1, v48, v48
	s_delay_alu instid0(VALU_DEP_1) | instskip(SKIP_2) | instid1(VALU_DEP_2)
	v_max_f32_e32 v1, v2, v1
	v_xor_b32_e32 v2, 16, v34
	s_waitcnt vmcnt(10)
	v_max3_f32 v1, v1, v49, v50
	s_delay_alu instid0(VALU_DEP_2) | instskip(SKIP_1) | instid1(VALU_DEP_2)
	v_cmp_gt_i32_e32 vcc_lo, 32, v2
	s_waitcnt vmcnt(8)
	v_max3_f32 v1, v1, v39, v40
	v_cndmask_b32_e32 v2, v34, v2, vcc_lo
	v_cmp_gt_i32_e32 vcc_lo, 32, v3
	s_waitcnt vmcnt(6)
	s_delay_alu instid0(VALU_DEP_3) | instskip(NEXT) | instid1(VALU_DEP_3)
	v_max3_f32 v1, v1, v41, v42
	v_dual_cndmask_b32 v38, v34, v3 :: v_dual_lshlrev_b32 v3, 2, v2
	v_cmp_gt_i32_e32 vcc_lo, 32, v28
	s_waitcnt vmcnt(4)
	s_delay_alu instid0(VALU_DEP_3) | instskip(SKIP_2) | instid1(VALU_DEP_2)
	v_max3_f32 v1, v1, v43, v44
	v_cndmask_b32_e32 v28, v34, v28, vcc_lo
	s_waitcnt vmcnt(2)
	v_max3_f32 v45, v1, v35, v36
	v_lshlrev_b32_e32 v1, 2, v38
	s_delay_alu instid0(VALU_DEP_3)
	v_lshlrev_b32_e32 v2, 2, v28
	v_add_co_u32 v28, vcc_lo, s7, v29
	v_add_co_ci_u32_e32 v29, vcc_lo, s8, v30, vcc_lo
	v_add_co_u32 v30, vcc_lo, s7, v31
	s_waitcnt vmcnt(0)
	v_max3_f32 v38, v45, v37, v33
	v_add_co_ci_u32_e32 v31, vcc_lo, s8, v32, vcc_lo
	s_clause 0x1
	global_load_b32 v28, v[28:29], off
	global_load_b32 v29, v[30:31], off
	ds_bpermute_b32 v45, v3, v38
	v_add_co_u32 v4, vcc_lo, s7, v4
	v_add_co_ci_u32_e32 v5, vcc_lo, s8, v5, vcc_lo
	v_add_co_u32 v6, vcc_lo, s7, v6
	v_add_co_ci_u32_e32 v7, vcc_lo, s8, v7, vcc_lo
	;; [unrolled: 2-line block ×3, first 2 shown]
	global_load_b32 v31, v[4:5], off
	v_add_co_u32 v4, vcc_lo, s7, v10
	v_add_co_ci_u32_e32 v5, vcc_lo, s8, v11, vcc_lo
	global_load_b32 v11, v[6:7], off
	v_add_co_u32 v6, vcc_lo, s7, v12
	s_waitcnt lgkmcnt(0)
	v_max_f32_e32 v30, v45, v45
	v_add_co_ci_u32_e32 v7, vcc_lo, s8, v13, vcc_lo
	global_load_b32 v12, v[8:9], off
	v_add_co_u32 v8, vcc_lo, s7, v14
	v_max_f32_e32 v30, v38, v30
	s_clause 0x1
	global_load_b32 v13, v[4:5], off
	global_load_b32 v14, v[6:7], off
	v_add_co_ci_u32_e32 v9, vcc_lo, s8, v15, vcc_lo
	ds_bpermute_b32 v10, v1, v30
	v_add_co_u32 v15, vcc_lo, s7, v16
	v_add_co_ci_u32_e32 v16, vcc_lo, s8, v17, vcc_lo
	v_add_co_u32 v6, vcc_lo, s7, v18
	v_add_co_ci_u32_e32 v7, vcc_lo, s8, v19, vcc_lo
	global_load_b32 v4, v[8:9], off
	v_add_co_u32 v8, vcc_lo, s7, v20
	v_add_co_ci_u32_e32 v9, vcc_lo, s8, v21, vcc_lo
	v_xor_b32_e32 v18, 2, v34
	s_waitcnt lgkmcnt(0)
	v_max_f32_e32 v5, v10, v10
	s_delay_alu instid0(VALU_DEP_1)
	v_max_f32_e32 v17, v30, v5
	s_clause 0x2
	global_load_b32 v5, v[15:16], off
	global_load_b32 v6, v[6:7], off
	;; [unrolled: 1-line block ×3, first 2 shown]
	v_add_co_u32 v8, vcc_lo, s7, v22
	v_add_co_ci_u32_e32 v9, vcc_lo, s8, v23, vcc_lo
	ds_bpermute_b32 v10, v2, v17
	global_load_b32 v16, v[8:9], off
	v_add_co_u32 v8, vcc_lo, s7, v24
	v_add_co_ci_u32_e32 v9, vcc_lo, s8, v25, vcc_lo
	v_cmp_gt_i32_e32 vcc_lo, 32, v18
	global_load_b32 v15, v[8:9], off
	v_cndmask_b32_e32 v8, v34, v18, vcc_lo
	v_add_co_u32 v9, vcc_lo, s7, v26
	s_mov_b32 s7, exec_lo
	s_delay_alu instid0(VALU_DEP_2) | instskip(SKIP_3) | instid1(VALU_DEP_2)
	v_lshlrev_b32_e32 v8, 2, v8
	s_waitcnt lgkmcnt(0)
	v_max_f32_e32 v18, v10, v10
	v_add_co_ci_u32_e32 v10, vcc_lo, s8, v27, vcc_lo
	v_max_f32_e32 v17, v17, v18
	global_load_b32 v9, v[9:10], off
	v_xor_b32_e32 v18, 1, v34
	ds_bpermute_b32 v10, v8, v17
	v_cmp_gt_i32_e32 vcc_lo, 32, v18
	v_cndmask_b32_e32 v18, v34, v18, vcc_lo
	s_waitcnt lgkmcnt(0)
	v_max_f32_e32 v19, v10, v10
	s_delay_alu instid0(VALU_DEP_1) | instskip(SKIP_3) | instid1(VALU_DEP_1)
	v_dual_max_f32 v17, v17, v19 :: v_dual_lshlrev_b32 v10, 2, v18
	ds_bpermute_b32 v18, v10, v17
	s_waitcnt lgkmcnt(0)
	v_max_f32_e32 v18, v18, v18
	v_max_f32_e32 v17, v17, v18
	v_sub_nc_u32_e32 v18, s40, v0
	s_delay_alu instid0(VALU_DEP_2) | instskip(NEXT) | instid1(VALU_DEP_1)
	v_sub_f32_e32 v22, v50, v17
	v_mul_f32_e32 v38, 0x3fb8aa3b, v22
	s_delay_alu instid0(VALU_DEP_1) | instskip(SKIP_1) | instid1(VALU_DEP_2)
	v_rndne_f32_e32 v56, v38
	v_fma_f32 v55, 0x3fb8aa3b, v22, -v38
	v_sub_f32_e32 v38, v38, v56
	v_sub_f32_e32 v26, v42, v17
	;; [unrolled: 1-line block ×6, first 2 shown]
	v_mul_f32_e32 v42, 0x3fb8aa3b, v26
	v_mul_f32_e32 v46, 0x3fb8aa3b, v34
	v_sub_f32_e32 v30, v44, v17
	v_sub_f32_e32 v23, v39, v17
	;; [unrolled: 1-line block ×3, first 2 shown]
	v_rndne_f32_e32 v64, v42
	v_sub_f32_e32 v35, v37, v17
	v_fma_f32 v71, 0x3fb8aa3b, v34, -v46
	v_rndne_f32_e32 v72, v46
	v_dual_mul_f32 v37, 0x3fb8aa3b, v21 :: v_dual_mul_f32 v44, 0x3fb8aa3b, v30
	v_sub_f32_e32 v19, v47, v17
	s_delay_alu instid0(VALU_DEP_3) | instskip(NEXT) | instid1(VALU_DEP_3)
	v_dual_fmac_f32 v71, 0x32a5705f, v34 :: v_dual_sub_f32 v46, v46, v72
	v_rndne_f32_e32 v54, v37
	v_fma_f32 v53, 0x3fb8aa3b, v21, -v37
	v_mul_f32_e32 v40, 0x3fb8aa3b, v24
	v_rndne_f32_e32 v68, v44
	s_delay_alu instid0(VALU_DEP_4) | instskip(SKIP_1) | instid1(VALU_DEP_4)
	v_dual_add_f32 v46, v46, v71 :: v_dual_sub_f32 v37, v37, v54
	v_sub_f32_e32 v20, v48, v17
	v_fma_f32 v59, 0x3fb8aa3b, v24, -v40
	v_rndne_f32_e32 v60, v40
	s_delay_alu instid0(VALU_DEP_4)
	v_exp_f32_e32 v46, v46
	v_sub_f32_e32 v27, v43, v17
	v_sub_f32_e32 v17, v33, v17
	v_fma_f32 v67, 0x3fb8aa3b, v30, -v44
	v_dual_sub_f32 v44, v44, v68 :: v_dual_mul_f32 v33, 0x3fb8aa3b, v19
	v_cvt_i32_f32_e32 v72, v72
	s_delay_alu instid0(VALU_DEP_4)
	v_mul_f32_e32 v48, 0x3fb8aa3b, v17
	v_sub_f32_e32 v40, v40, v60
	v_mul_f32_e32 v36, 0x3fb8aa3b, v20
	v_rndne_f32_e32 v50, v33
	v_ldexp_f32 v46, v46, v72
	v_fmac_f32_e32 v59, 0x32a5705f, v24
	v_fma_f32 v49, 0x3fb8aa3b, v19, -v33
	v_fma_f32 v63, 0x3fb8aa3b, v26, -v42
	v_sub_f32_e32 v33, v33, v50
	v_cvt_i32_f32_e32 v60, v60
	v_add_f32_e32 v40, v40, v59
	v_fma_f32 v51, 0x3fb8aa3b, v20, -v36
	v_rndne_f32_e32 v52, v36
	v_dual_fmac_f32 v63, 0x32a5705f, v26 :: v_dual_sub_f32 v42, v42, v64
	s_delay_alu instid0(VALU_DEP_4) | instskip(SKIP_4) | instid1(VALU_DEP_4)
	v_exp_f32_e32 v40, v40
	v_fmac_f32_e32 v67, 0x32a5705f, v30
	v_fmac_f32_e32 v51, 0x32a5705f, v20
	v_sub_f32_e32 v36, v36, v52
	v_dual_add_f32 v42, v42, v63 :: v_dual_fmac_f32 v53, 0x32a5705f, v21
	v_dual_add_f32 v44, v44, v67 :: v_dual_mul_f32 v41, 0x3fb8aa3b, v25
	s_delay_alu instid0(VALU_DEP_3) | instskip(SKIP_1) | instid1(TRANS32_DEP_1)
	v_add_f32_e32 v36, v36, v51
	v_fma_f32 v75, 0x3fb8aa3b, v17, -v48
	v_ldexp_f32 v40, v40, v60
	v_fmac_f32_e32 v49, 0x32a5705f, v19
	v_rndne_f32_e32 v76, v48
	v_mul_f32_e32 v39, 0x3fb8aa3b, v23
	v_exp_f32_e32 v42, v42
	v_exp_f32_e32 v44, v44
	v_add_f32_e32 v33, v33, v49
	v_cvt_i32_f32_e32 v50, v50
	v_cvt_i32_f32_e32 v64, v64
	;; [unrolled: 1-line block ×3, first 2 shown]
	v_fmac_f32_e32 v75, 0x32a5705f, v17
	v_exp_f32_e32 v33, v33
	v_sub_f32_e32 v48, v48, v76
	v_fma_f32 v57, 0x3fb8aa3b, v23, -v39
	v_rndne_f32_e32 v58, v39
	v_fmac_f32_e32 v55, 0x32a5705f, v22
	v_add_f32_e32 v37, v37, v53
	v_exp_f32_e32 v36, v36
	v_cvt_i32_f32_e32 v52, v52
	v_dual_add_f32 v48, v48, v75 :: v_dual_mul_f32 v45, 0x3fb8aa3b, v32
	v_add_f32_e32 v38, v38, v55
	v_exp_f32_e32 v37, v37
	v_ldexp_f32 v33, v33, v50
	v_ldexp_f32 v42, v42, v64
	v_fmac_f32_e32 v57, 0x32a5705f, v23
	v_ldexp_f32 v44, v44, v68
	v_sub_f32_e32 v39, v39, v58
	v_cmp_ngt_f32_e32 vcc_lo, 0xc2ce8ed0, v19
	v_cvt_i32_f32_e32 v54, v54
	v_exp_f32_e32 v38, v38
	v_ldexp_f32 v36, v36, v52
	v_add_f32_e32 v39, v39, v57
	v_cndmask_b32_e32 v33, 0, v33, vcc_lo
	v_cmp_ngt_f32_e32 vcc_lo, 0xc2ce8ed0, v20
	v_mul_f32_e32 v43, 0x3fb8aa3b, v27
	v_cvt_i32_f32_e32 v56, v56
	v_exp_f32_e32 v39, v39
	v_ldexp_f32 v37, v37, v54
	v_cndmask_b32_e32 v36, 0, v36, vcc_lo
	v_cmp_ngt_f32_e32 vcc_lo, 0xc2ce8ed0, v21
	v_fma_f32 v61, 0x3fb8aa3b, v25, -v41
	v_rndne_f32_e32 v62, v41
	v_cvt_i32_f32_e32 v58, v58
	v_ldexp_f32 v38, v38, v56
	v_cndmask_b32_e32 v37, 0, v37, vcc_lo
	v_cmp_ngt_f32_e32 vcc_lo, 0xc2ce8ed0, v22
	v_mul_f32_e32 v47, 0x3fb8aa3b, v35
	v_fmac_f32_e32 v61, 0x32a5705f, v25
	v_sub_f32_e32 v41, v41, v62
	v_ldexp_f32 v39, v39, v58
	v_cndmask_b32_e32 v38, 0, v38, vcc_lo
	v_cmp_ngt_f32_e32 vcc_lo, 0xc2ce8ed0, v23
	v_fma_f32 v65, 0x3fb8aa3b, v27, -v43
	v_rndne_f32_e32 v66, v43
	v_add_f32_e32 v41, v41, v61
	v_cvt_i32_f32_e32 v62, v62
	v_cndmask_b32_e32 v39, 0, v39, vcc_lo
	v_cmp_ngt_f32_e32 vcc_lo, 0xc2ce8ed0, v24
	v_fmac_f32_e32 v65, 0x32a5705f, v27
	v_exp_f32_e32 v41, v41
	v_fma_f32 v69, 0x3fb8aa3b, v32, -v45
	v_rndne_f32_e32 v70, v45
	v_dual_cndmask_b32 v40, 0, v40 :: v_dual_sub_f32 v43, v43, v66
	v_cmp_ngt_f32_e32 vcc_lo, 0xc2ce8ed0, v25
	v_cvt_i32_f32_e32 v66, v66
	v_fmac_f32_e32 v69, 0x32a5705f, v32
	v_rndne_f32_e32 v74, v47
	v_add_f32_e32 v43, v43, v65
	s_delay_alu instid0(TRANS32_DEP_1) | instskip(SKIP_2) | instid1(VALU_DEP_3)
	v_ldexp_f32 v41, v41, v62
	v_fma_f32 v73, 0x3fb8aa3b, v35, -v47
	v_exp_f32_e32 v48, v48
	v_exp_f32_e32 v43, v43
	s_delay_alu instid0(VALU_DEP_2)
	v_cndmask_b32_e32 v41, 0, v41, vcc_lo
	v_cmp_ngt_f32_e32 vcc_lo, 0xc2ce8ed0, v26
	v_cndmask_b32_e32 v42, 0, v42, vcc_lo
	v_cmp_ngt_f32_e32 vcc_lo, 0xc2ce8ed0, v27
	s_waitcnt_depctr 0xfff
	v_ldexp_f32 v43, v43, v66
	s_delay_alu instid0(VALU_DEP_1) | instskip(SKIP_4) | instid1(VALU_DEP_3)
	v_cndmask_b32_e32 v43, 0, v43, vcc_lo
	v_cmp_ngt_f32_e32 vcc_lo, 0xc2ce8ed0, v30
	v_dual_cndmask_b32 v44, 0, v44 :: v_dual_sub_f32 v45, v45, v70
	v_cvt_i32_f32_e32 v70, v70
	v_cmp_ngt_f32_e32 vcc_lo, 0xc2ce8ed0, v32
	v_add_f32_e32 v45, v45, v69
	s_delay_alu instid0(VALU_DEP_1) | instskip(SKIP_2) | instid1(VALU_DEP_1)
	v_exp_f32_e32 v45, v45
	s_waitcnt_depctr 0xfff
	v_ldexp_f32 v45, v45, v70
	v_cndmask_b32_e32 v45, 0, v45, vcc_lo
	v_cmp_ngt_f32_e32 vcc_lo, 0xc2ce8ed0, v34
	v_cndmask_b32_e32 v46, 0, v46, vcc_lo
	v_cmp_nlt_f32_e32 vcc_lo, 0x42b17218, v19
	v_cndmask_b32_e32 v19, 0x7f800000, v33, vcc_lo
	v_cmp_nlt_f32_e32 vcc_lo, 0x42b17218, v20
	;; [unrolled: 2-line block ×6, first 2 shown]
	v_cndmask_b32_e32 v24, 0x7f800000, v40, vcc_lo
	v_cmp_lt_i32_e32 vcc_lo, 0, v18
	v_cndmask_b32_e32 v19, 0, v19, vcc_lo
	v_cmp_lt_i32_e32 vcc_lo, 32, v18
	s_waitcnt vmcnt(13)
	s_delay_alu instid0(VALU_DEP_2) | instskip(SKIP_2) | instid1(VALU_DEP_2)
	v_dual_mul_f32 v19, v28, v19 :: v_dual_cndmask_b32 v20, 0, v20
	v_cmp_nlt_f32_e32 vcc_lo, 0x42b17218, v25
	s_waitcnt vmcnt(12)
	v_dual_mul_f32 v20, v29, v20 :: v_dual_cndmask_b32 v25, 0x7f800000, v41
	v_cmp_lt_i32_e32 vcc_lo, 64, v18
	s_delay_alu instid0(VALU_DEP_2) | instskip(SKIP_2) | instid1(VALU_DEP_2)
	v_dual_add_f32 v28, v19, v20 :: v_dual_cndmask_b32 v21, 0, v21
	v_cmp_nlt_f32_e32 vcc_lo, 0x42b17218, v26
	s_waitcnt vmcnt(11)
	v_dual_mul_f32 v21, v31, v21 :: v_dual_cndmask_b32 v26, 0x7f800000, v42
	v_cmp_lt_i32_e32 vcc_lo, 0x60, v18
	v_cndmask_b32_e32 v22, 0, v22, vcc_lo
	v_cmp_nlt_f32_e32 vcc_lo, 0x42b17218, v27
	s_waitcnt vmcnt(10)
	s_delay_alu instid0(VALU_DEP_2) | instskip(SKIP_4) | instid1(VALU_DEP_2)
	v_mul_f32_e32 v11, v11, v22
	v_cndmask_b32_e32 v27, 0x7f800000, v43, vcc_lo
	v_cmp_lt_i32_e32 vcc_lo, 0x80, v18
	v_dual_add_f32 v22, v28, v21 :: v_dual_cndmask_b32 v23, 0, v23
	v_cmp_nlt_f32_e32 vcc_lo, 0x42b17218, v30
	v_dual_sub_f32 v47, v47, v74 :: v_dual_add_f32 v22, v22, v11
	v_cvt_i32_f32_e32 v74, v74
	s_waitcnt vmcnt(9)
	v_mul_f32_e32 v12, v12, v23
	v_cndmask_b32_e32 v28, 0x7f800000, v44, vcc_lo
	v_cmp_lt_i32_e32 vcc_lo, 0xa0, v18
	s_delay_alu instid0(VALU_DEP_3) | instskip(SKIP_3) | instid1(VALU_DEP_2)
	v_dual_fmac_f32 v73, 0x32a5705f, v35 :: v_dual_add_f32 v22, v22, v12
	v_cndmask_b32_e32 v24, 0, v24, vcc_lo
	v_cmp_nlt_f32_e32 vcc_lo, 0x42b17218, v32
	s_waitcnt vmcnt(8)
	v_mul_f32_e32 v13, v13, v24
	v_cndmask_b32_e32 v23, 0x7f800000, v45, vcc_lo
	v_cmp_lt_i32_e32 vcc_lo, 0xc0, v18
	s_delay_alu instid0(VALU_DEP_3) | instskip(SKIP_3) | instid1(VALU_DEP_2)
	v_add_f32_e32 v22, v22, v13
	v_cndmask_b32_e32 v25, 0, v25, vcc_lo
	v_cmp_lt_i32_e32 vcc_lo, 0xe0, v18
	s_waitcnt vmcnt(7)
	v_mul_f32_e32 v14, v14, v25
	v_cndmask_b32_e32 v24, 0, v26, vcc_lo
	v_cmp_lt_i32_e32 vcc_lo, 0x100, v18
	s_delay_alu instid0(VALU_DEP_3) | instskip(SKIP_1) | instid1(VALU_DEP_3)
	v_add_f32_e32 v22, v22, v14
	s_waitcnt vmcnt(6)
	v_mul_f32_e32 v4, v4, v24
	v_cndmask_b32_e32 v26, 0, v27, vcc_lo
	v_cmp_lt_i32_e32 vcc_lo, 0x120, v18
	s_waitcnt vmcnt(5)
	s_delay_alu instid0(VALU_DEP_2) | instskip(SKIP_2) | instid1(VALU_DEP_3)
	v_dual_add_f32 v22, v22, v4 :: v_dual_mul_f32 v5, v5, v26
	v_cndmask_b32_e32 v25, 0, v28, vcc_lo
	v_cmp_lt_i32_e32 vcc_lo, 0x140, v18
	v_add_f32_e32 v22, v22, v5
	s_waitcnt vmcnt(4)
	s_delay_alu instid0(VALU_DEP_3)
	v_dual_mul_f32 v6, v6, v25 :: v_dual_cndmask_b32 v23, 0, v23
	v_cmp_nlt_f32_e32 vcc_lo, 0x42b17218, v34
	v_add_f32_e32 v47, v47, v73
	v_cvt_i32_f32_e32 v25, v76
	s_waitcnt vmcnt(3)
	v_dual_add_f32 v22, v22, v6 :: v_dual_mul_f32 v7, v7, v23
	v_cndmask_b32_e32 v24, 0x7f800000, v46, vcc_lo
	v_exp_f32_e32 v47, v47
	v_cmp_ngt_f32_e32 vcc_lo, 0xc2ce8ed0, v35
	s_delay_alu instid0(VALU_DEP_3) | instskip(SKIP_2) | instid1(VALU_DEP_1)
	v_add_f32_e32 v22, v22, v7
	s_waitcnt_depctr 0xfff
	v_ldexp_f32 v47, v47, v74
	v_cndmask_b32_e32 v23, 0, v47, vcc_lo
	v_cmp_lt_i32_e32 vcc_lo, 0x160, v18
	v_cndmask_b32_e32 v24, 0, v24, vcc_lo
	v_cmp_nlt_f32_e32 vcc_lo, 0x42b17218, v35
	s_waitcnt vmcnt(2)
	s_delay_alu instid0(VALU_DEP_2) | instskip(SKIP_2) | instid1(VALU_DEP_3)
	v_dual_mul_f32 v16, v16, v24 :: v_dual_cndmask_b32 v23, 0x7f800000, v23
	v_cmp_lt_i32_e32 vcc_lo, 0x180, v18
	v_ldexp_f32 v24, v48, v25
	v_dual_add_f32 v22, v22, v16 :: v_dual_cndmask_b32 v23, 0, v23
	v_cmp_ngt_f32_e32 vcc_lo, 0xc2ce8ed0, v17
	s_waitcnt vmcnt(1)
	s_delay_alu instid0(VALU_DEP_2) | instskip(SKIP_1) | instid1(VALU_DEP_2)
	v_dual_mul_f32 v15, v15, v23 :: v_dual_cndmask_b32 v24, 0, v24
	v_cmp_nlt_f32_e32 vcc_lo, 0x42b17218, v17
	v_cndmask_b32_e32 v17, 0x7f800000, v24, vcc_lo
	v_cmp_lt_i32_e32 vcc_lo, 0x1a0, v18
	s_delay_alu instid0(VALU_DEP_2) | instskip(SKIP_1) | instid1(VALU_DEP_1)
	v_dual_add_f32 v18, v22, v15 :: v_dual_cndmask_b32 v17, 0, v17
	s_waitcnt vmcnt(0)
	v_fmac_f32_e32 v18, v9, v17
	ds_bpermute_b32 v3, v3, v18
	s_waitcnt lgkmcnt(0)
	v_add_f32_e32 v3, v18, v3
	ds_bpermute_b32 v1, v1, v3
	s_waitcnt lgkmcnt(0)
	v_add_f32_e32 v1, v3, v1
	v_lshlrev_b32_e32 v3, 2, v0
	ds_bpermute_b32 v2, v2, v1
	ds_store_2addr_b32 v3, v19, v20 offset1:32
	s_waitcnt lgkmcnt(1)
	v_add_f32_e32 v1, v1, v2
	ds_bpermute_b32 v2, v8, v1
	v_dual_mul_f32 v8, v9, v17 :: v_dual_add_nc_u32 v9, 0x400, v3
	ds_store_2addr_b32 v3, v21, v11 offset0:64 offset1:96
	ds_store_2addr_b32 v3, v12, v13 offset0:128 offset1:160
	;; [unrolled: 1-line block ×3, first 2 shown]
	ds_store_2addr_b32 v9, v5, v6 offset1:32
	ds_store_2addr_b32 v9, v7, v16 offset0:64 offset1:96
	ds_store_2addr_b32 v9, v15, v8 offset0:128 offset1:160
	s_waitcnt lgkmcnt(6)
	v_add_f32_e32 v1, v1, v2
	ds_bpermute_b32 v2, v10, v1
	v_cmpx_eq_u32_e32 0, v0
	s_cbranch_execz .LBB611_8
; %bb.7:
	s_waitcnt lgkmcnt(0)
	v_dual_add_f32 v1, v1, v2 :: v_dual_mov_b32 v2, 0
	ds_store_b32 v2, v1 offset:1792
.LBB611_8:
	s_or_b32 exec_lo, exec_lo, s7
	v_mov_b32_e32 v1, s6
.LBB611_9:
	s_or_b32 exec_lo, exec_lo, s24
	s_lshl_b32 s6, s18, 7
	s_mov_b32 s7, 0
	s_waitcnt lgkmcnt(0)
	v_dual_mov_b32 v2, 0 :: v_dual_lshlrev_b32 v1, 7, v1
	s_lshl_b64 s[6:7], s[6:7], 1
	v_dual_mov_b32 v31, 0 :: v_dual_mov_b32 v32, 0
	s_add_u32 s34, s4, s6
	s_addc_u32 s35, s5, s7
	s_lshl_b32 s41, s40, 7
	v_lshlrev_b64 v[3:4], 1, v[1:2]
	s_add_i32 s42, s41, 0xffffff80
	s_cmpk_lt_i32 s22, 0x100
	v_lshlrev_b32_e32 v1, 1, v0
	s_cselect_b32 s4, s42, 0
	v_dual_mov_b32 v33, 0 :: v_dual_mov_b32 v34, 0
	s_ashr_i32 s5, s4, 31
	v_add_co_u32 v3, vcc_lo, s34, v3
	s_lshl_b64 s[4:5], s[4:5], 1
	s_cmpk_lt_i32 s22, 0x200
	v_add_co_ci_u32_e32 v4, vcc_lo, s35, v4, vcc_lo
	s_cselect_b32 s6, s42, 0x80
	v_add_co_u32 v1, vcc_lo, v3, v1
	s_ashr_i32 s7, s6, 31
	s_delay_alu instid0(VALU_DEP_2)
	v_add_co_ci_u32_e32 v3, vcc_lo, 0, v4, vcc_lo
	s_lshl_b64 s[6:7], s[6:7], 1
	s_cmpk_lt_i32 s22, 0x300
	v_add_co_u32 v4, vcc_lo, v1, s4
	s_cselect_b32 s8, s42, 0x100
	v_add_co_ci_u32_e32 v5, vcc_lo, s5, v3, vcc_lo
	s_ashr_i32 s9, s8, 31
	v_add_co_u32 v6, vcc_lo, v1, s6
	s_lshl_b64 s[8:9], s[8:9], 1
	s_cmpk_lt_i32 s22, 0x400
	v_add_co_ci_u32_e32 v7, vcc_lo, s7, v3, vcc_lo
	s_cselect_b32 s10, s42, 0x180
	v_add_co_u32 v8, vcc_lo, v1, s8
	s_ashr_i32 s11, s10, 31
	v_add_co_ci_u32_e32 v9, vcc_lo, s9, v3, vcc_lo
	s_lshl_b64 s[10:11], s[10:11], 1
	s_cmpk_lt_i32 s22, 0x500
	v_add_co_u32 v11, vcc_lo, v1, s10
	s_cselect_b32 s18, s42, 0x200
	v_add_co_ci_u32_e32 v12, vcc_lo, s11, v3, vcc_lo
	s_ashr_i32 s19, s18, 31
	v_mov_b32_e32 v35, 0
	s_lshl_b64 s[18:19], s[18:19], 1
	s_cmpk_lt_i32 s22, 0x600
	v_add_co_u32 v14, vcc_lo, v1, s18
	s_cselect_b32 s20, s42, 0x280
	v_add_co_ci_u32_e32 v15, vcc_lo, s19, v3, vcc_lo
	s_ashr_i32 s21, s20, 31
	v_mov_b32_e32 v30, 0
	s_lshl_b64 s[20:21], s[20:21], 1
	s_cmpk_lt_i32 s22, 0x700
	v_add_co_u32 v16, vcc_lo, v1, s20
	s_cselect_b32 s24, s42, 0x300
	v_add_co_ci_u32_e32 v17, vcc_lo, s21, v3, vcc_lo
	s_ashr_i32 s25, s24, 31
	s_delay_alu instid0(SALU_CYCLE_1)
	s_lshl_b64 s[24:25], s[24:25], 1
	s_cmpk_lt_i32 s22, 0x800
	v_add_co_u32 v18, vcc_lo, v1, s24
	s_cselect_b32 s26, s42, 0x380
	v_add_co_ci_u32_e32 v19, vcc_lo, s25, v3, vcc_lo
	s_ashr_i32 s27, s26, 31
	s_delay_alu instid0(SALU_CYCLE_1)
	s_lshl_b64 s[26:27], s[26:27], 1
	s_cmpk_lt_i32 s22, 0x900
	v_add_co_u32 v20, vcc_lo, v1, s26
	s_cselect_b32 s28, s42, 0x400
	v_add_co_ci_u32_e32 v21, vcc_lo, s27, v3, vcc_lo
	s_ashr_i32 s29, s28, 31
	s_clause 0x7
	global_load_u16 v13, v[4:5], off
	global_load_u16 v4, v[6:7], off
	;; [unrolled: 1-line block ×8, first 2 shown]
	s_lshl_b64 s[28:29], s[28:29], 1
	s_cmpk_lt_i32 s22, 0xa00
	v_add_co_u32 v11, vcc_lo, v1, s28
	s_cselect_b32 s30, s42, 0x480
	v_add_co_ci_u32_e32 v12, vcc_lo, s29, v3, vcc_lo
	s_ashr_i32 s31, s30, 31
	s_delay_alu instid0(SALU_CYCLE_1)
	s_lshl_b64 s[30:31], s[30:31], 1
	s_cmpk_lt_i32 s22, 0xb00
	v_add_co_u32 v14, vcc_lo, v1, s30
	s_cselect_b32 s34, s42, 0x500
	v_add_co_ci_u32_e32 v15, vcc_lo, s31, v3, vcc_lo
	s_ashr_i32 s35, s34, 31
	s_delay_alu instid0(SALU_CYCLE_1)
	;; [unrolled: 7-line block ×7, first 2 shown]
	s_lshl_b64 s[4:5], s[6:7], 1
	s_cmpk_gt_i32 s23, 0x1000
	v_add_co_u32 v28, vcc_lo, v1, s4
	v_add_co_ci_u32_e32 v29, vcc_lo, s5, v3, vcc_lo
	s_clause 0x7
	global_load_u16 v19, v[11:12], off
	global_load_u16 v18, v[14:15], off
	;; [unrolled: 1-line block ×8, first 2 shown]
	v_dual_mov_b32 v20, 0 :: v_dual_mov_b32 v21, 0
	v_dual_mov_b32 v22, 0 :: v_dual_mov_b32 v23, 0
	;; [unrolled: 1-line block ×5, first 2 shown]
	s_cselect_b32 s6, -1, 0
	s_cmpk_lt_i32 s23, 0x1001
	s_waitcnt vmcnt(0)
	s_barrier
	buffer_gl0_inv
	s_cbranch_scc1 .LBB611_11
; %bb.10:
	s_cmpk_lt_i32 s22, 0x1100
	s_cselect_b32 s4, s42, 0x800
	s_delay_alu instid0(SALU_CYCLE_1) | instskip(NEXT) | instid1(SALU_CYCLE_1)
	s_ashr_i32 s5, s4, 31
	s_lshl_b64 s[4:5], s[4:5], 1
	s_cmpk_lt_i32 s22, 0x1200
	v_add_co_u32 v20, vcc_lo, v1, s4
	s_cselect_b32 s8, s42, 0x880
	v_add_co_ci_u32_e32 v21, vcc_lo, s5, v3, vcc_lo
	s_ashr_i32 s9, s8, 31
	s_delay_alu instid0(SALU_CYCLE_1)
	s_lshl_b64 s[8:9], s[8:9], 1
	s_cmpk_lt_i32 s22, 0x1300
	v_add_co_u32 v22, vcc_lo, v1, s8
	s_cselect_b32 s10, s42, 0x900
	v_add_co_ci_u32_e32 v23, vcc_lo, s9, v3, vcc_lo
	s_ashr_i32 s11, s10, 31
	s_delay_alu instid0(SALU_CYCLE_1)
	;; [unrolled: 7-line block ×14, first 2 shown]
	s_lshl_b64 s[4:5], s[18:19], 1
	s_cmpk_lt_i32 s22, 0x2000
	v_add_co_u32 v48, vcc_lo, v1, s4
	s_cselect_b32 s8, s42, 0xf80
	v_add_co_ci_u32_e32 v49, vcc_lo, s5, v3, vcc_lo
	s_ashr_i32 s9, s8, 31
	s_delay_alu instid0(SALU_CYCLE_1) | instskip(NEXT) | instid1(SALU_CYCLE_1)
	s_lshl_b64 s[4:5], s[8:9], 1
	v_add_co_u32 v50, vcc_lo, v1, s4
	v_add_co_ci_u32_e32 v51, vcc_lo, s5, v3, vcc_lo
	s_clause 0xf
	global_load_u16 v20, v[20:21], off
	global_load_u16 v21, v[22:23], off
	;; [unrolled: 1-line block ×16, first 2 shown]
	s_waitcnt vmcnt(15)
	v_lshlrev_b32_e32 v35, 16, v20
	s_waitcnt vmcnt(14)
	v_lshlrev_b32_e32 v34, 16, v21
	;; [unrolled: 2-line block ×16, first 2 shown]
.LBB611_11:
	ds_load_b128 v[36:39], v2
	ds_load_b128 v[40:43], v2 offset:16
	v_lshlrev_b32_e32 v44, 16, v4
	v_lshlrev_b32_e32 v13, 16, v13
	;; [unrolled: 1-line block ×5, first 2 shown]
	s_load_b64 s[0:1], s[0:1], 0x0
	s_and_b32 vcc_lo, exec_lo, s6
	v_lshlrev_b32_e32 v5, 16, v5
	s_waitcnt lgkmcnt(0)
	v_fma_f32 v4, v36, v13, 0
	s_delay_alu instid0(VALU_DEP_1) | instskip(NEXT) | instid1(VALU_DEP_1)
	v_dual_fmac_f32 v4, v37, v44 :: v_dual_lshlrev_b32 v13, 16, v7
	v_dual_fmac_f32 v4, v38, v10 :: v_dual_lshlrev_b32 v9, 16, v9
	s_delay_alu instid0(VALU_DEP_1) | instskip(SKIP_4) | instid1(VALU_DEP_1)
	v_fmac_f32_e32 v4, v39, v9
	ds_load_b128 v[36:39], v2 offset:48
	v_fmac_f32_e32 v4, v40, v8
	ds_load_b128 v[7:10], v2 offset:32
	v_fmac_f32_e32 v4, v41, v13
	v_fmac_f32_e32 v4, v42, v6
	v_lshlrev_b32_e32 v6, 16, v19
	s_delay_alu instid0(VALU_DEP_2) | instskip(SKIP_1) | instid1(VALU_DEP_1)
	v_dual_fmac_f32 v4, v43, v5 :: v_dual_lshlrev_b32 v5, 16, v18
	s_waitcnt lgkmcnt(0)
	v_fmac_f32_e32 v4, v7, v6
	v_lshlrev_b32_e32 v6, 16, v17
	s_delay_alu instid0(VALU_DEP_2) | instskip(NEXT) | instid1(VALU_DEP_1)
	v_dual_fmac_f32 v4, v8, v5 :: v_dual_lshlrev_b32 v5, 16, v16
	v_fmac_f32_e32 v4, v9, v6
	v_lshlrev_b32_e32 v6, 16, v15
	s_delay_alu instid0(VALU_DEP_2) | instskip(NEXT) | instid1(VALU_DEP_1)
	v_dual_fmac_f32 v4, v10, v5 :: v_dual_lshlrev_b32 v5, 16, v14
	;; [unrolled: 4-line block ×3, first 2 shown]
	v_fmac_f32_e32 v4, v38, v6
	s_delay_alu instid0(VALU_DEP_1)
	v_fmac_f32_e32 v4, v39, v5
	s_cbranch_vccz .LBB611_13
; %bb.12:
	ds_load_b128 v[5:8], v2 offset:64
	ds_load_b128 v[9:12], v2 offset:80
	s_waitcnt lgkmcnt(1)
	v_fmac_f32_e32 v4, v5, v35
	s_delay_alu instid0(VALU_DEP_1) | instskip(NEXT) | instid1(VALU_DEP_1)
	v_fmac_f32_e32 v4, v6, v34
	v_fmac_f32_e32 v4, v7, v33
	s_delay_alu instid0(VALU_DEP_1) | instskip(SKIP_3) | instid1(VALU_DEP_1)
	v_fmac_f32_e32 v4, v8, v32
	ds_load_b128 v[5:8], v2 offset:96
	s_waitcnt lgkmcnt(1)
	v_fmac_f32_e32 v4, v9, v31
	v_fmac_f32_e32 v4, v10, v30
	s_delay_alu instid0(VALU_DEP_1) | instskip(NEXT) | instid1(VALU_DEP_1)
	v_fmac_f32_e32 v4, v11, v29
	v_fmac_f32_e32 v4, v12, v28
	ds_load_b128 v[9:12], v2 offset:112
	s_waitcnt lgkmcnt(1)
	v_fmac_f32_e32 v4, v5, v27
	s_delay_alu instid0(VALU_DEP_1) | instskip(NEXT) | instid1(VALU_DEP_1)
	v_fmac_f32_e32 v4, v6, v26
	v_fmac_f32_e32 v4, v7, v25
	s_delay_alu instid0(VALU_DEP_1) | instskip(SKIP_1) | instid1(VALU_DEP_1)
	v_fmac_f32_e32 v4, v8, v24
	s_waitcnt lgkmcnt(0)
	v_fmac_f32_e32 v4, v9, v23
	s_delay_alu instid0(VALU_DEP_1) | instskip(NEXT) | instid1(VALU_DEP_1)
	v_fmac_f32_e32 v4, v10, v22
	v_fmac_f32_e32 v4, v11, v21
	s_delay_alu instid0(VALU_DEP_1)
	v_fmac_f32_e32 v4, v12, v20
.LBB611_13:
	s_movk_i32 s43, 0x1f80
	s_movk_i32 s44, 0x80
	s_mov_b32 s45, 32
	s_branch .LBB611_15
.LBB611_14:                             ;   in Loop: Header=BB611_15 Depth=1
	s_addk_i32 s43, 0x1000
	s_addk_i32 s44, 0x80
	s_add_i32 s45, s45, 32
	s_cmpk_eq_u32 s43, 0xef80
	s_cbranch_scc1 .LBB611_17
.LBB611_15:                             ; =>This Inner Loop Header: Depth=1
	s_cmp_le_i32 s40, s45
	s_cbranch_scc1 .LBB611_14
; %bb.16:                               ;   in Loop: Header=BB611_15 Depth=1
	s_add_i32 s4, s43, 0xfffff080
	v_mov_b32_e32 v44, s44
	s_cmp_lt_i32 s4, s41
	s_cselect_b32 s4, s4, s42
	s_add_i32 s6, s43, 0xfffff100
	s_ashr_i32 s5, s4, 31
	s_delay_alu instid0(SALU_CYCLE_1)
	s_lshl_b64 s[38:39], s[4:5], 1
	s_cmp_lt_i32 s6, s41
	v_add_co_u32 v5, vcc_lo, v1, s38
	s_cselect_b32 s4, s6, s42
	s_add_i32 s6, s43, 0xfffff180
	s_ashr_i32 s5, s4, 31
	v_add_co_ci_u32_e32 v6, vcc_lo, s39, v3, vcc_lo
	s_lshl_b64 s[4:5], s[4:5], 1
	s_cmp_lt_i32 s6, s41
	s_cselect_b32 s6, s6, s42
	s_add_i32 s8, s43, 0xfffff200
	s_ashr_i32 s7, s6, 31
	global_load_u16 v2, v[5:6], off
	s_lshl_b64 s[6:7], s[6:7], 1
	s_cmp_lt_i32 s8, s41
	v_add_co_u32 v5, vcc_lo, v1, s4
	s_cselect_b32 s8, s8, s42
	s_add_i32 s10, s43, 0xfffff280
	s_ashr_i32 s9, s8, 31
	v_add_co_ci_u32_e32 v6, vcc_lo, s5, v3, vcc_lo
	s_lshl_b64 s[8:9], s[8:9], 1
	s_cmp_lt_i32 s10, s41
	v_add_co_u32 v7, vcc_lo, v1, s6
	s_cselect_b32 s10, s10, s42
	s_add_i32 s18, s43, 0xfffff300
	s_ashr_i32 s11, s10, 31
	v_add_co_ci_u32_e32 v8, vcc_lo, s7, v3, vcc_lo
	s_lshl_b64 s[10:11], s[10:11], 1
	s_cmp_lt_i32 s18, s41
	v_add_co_u32 v9, vcc_lo, v1, s8
	s_cselect_b32 s18, s18, s42
	s_add_i32 s20, s43, 0xfffff380
	s_ashr_i32 s19, s18, 31
	s_clause 0x1
	global_load_u16 v23, v[5:6], off
	global_load_u16 v24, v[7:8], off
	s_lshl_b64 s[18:19], s[18:19], 1
	s_cmp_lt_i32 s20, s41
	v_add_co_ci_u32_e32 v10, vcc_lo, s9, v3, vcc_lo
	s_cselect_b32 s20, s20, s42
	s_add_i32 s22, s43, 0xfffff400
	s_ashr_i32 s21, s20, 31
	global_load_u16 v25, v[9:10], off
	s_lshl_b64 s[20:21], s[20:21], 1
	s_cmp_lt_i32 s22, s41
	v_add_co_u32 v11, vcc_lo, v1, s10
	s_cselect_b32 s22, s22, s42
	s_add_i32 s24, s43, 0xfffff480
	s_ashr_i32 s23, s22, 31
	v_add_co_ci_u32_e32 v12, vcc_lo, s11, v3, vcc_lo
	s_lshl_b64 s[22:23], s[22:23], 1
	s_cmp_lt_i32 s24, s41
	v_add_co_u32 v13, vcc_lo, v1, s18
	global_load_u16 v26, v[11:12], off
	s_cselect_b32 s24, s24, s42
	s_add_i32 s26, s43, 0xfffff500
	s_ashr_i32 s25, s24, 31
	v_add_co_ci_u32_e32 v14, vcc_lo, s19, v3, vcc_lo
	s_lshl_b64 s[24:25], s[24:25], 1
	s_cmp_lt_i32 s26, s41
	v_add_co_u32 v15, vcc_lo, v1, s20
	global_load_u16 v27, v[13:14], off
	s_cselect_b32 s26, s26, s42
	s_add_i32 s28, s43, 0xfffff580
	s_ashr_i32 s27, s26, 31
	v_add_co_ci_u32_e32 v16, vcc_lo, s21, v3, vcc_lo
	s_lshl_b64 s[36:37], s[26:27], 1
	s_cmp_lt_i32 s28, s41
	v_add_co_u32 v17, vcc_lo, v1, s22
	s_cselect_b32 s26, s28, s42
	s_add_i32 s30, s43, 0xfffff600
	s_ashr_i32 s27, s26, 31
	v_add_co_ci_u32_e32 v18, vcc_lo, s23, v3, vcc_lo
	s_lshl_b64 s[28:29], s[26:27], 1
	s_cmp_lt_i32 s30, s41
	v_add_co_u32 v19, vcc_lo, v1, s24
	global_load_u16 v17, v[17:18], off
	s_cselect_b32 s26, s30, s42
	s_add_i32 s30, s43, 0xfffff680
	s_ashr_i32 s27, s26, 31
	v_add_co_ci_u32_e32 v20, vcc_lo, s25, v3, vcc_lo
	s_lshl_b64 s[26:27], s[26:27], 1
	s_cmp_lt_i32 s30, s41
	v_add_co_u32 v21, vcc_lo, v1, s36
	s_cselect_b32 s30, s30, s42
	s_add_i32 s46, s43, 0xfffff700
	s_ashr_i32 s31, s30, 31
	v_add_co_ci_u32_e32 v22, vcc_lo, s37, v3, vcc_lo
	s_lshl_b64 s[34:35], s[30:31], 1
	s_cmp_lt_i32 s46, s41
	v_add_co_u32 v5, vcc_lo, v1, s28
	;; [unrolled: 7-line block ×3, first 2 shown]
	s_cselect_b32 s46, s46, s42
	s_add_i32 s48, s43, 0xfffff800
	s_ashr_i32 s47, s46, 31
	global_load_u16 v28, v[15:16], off
	s_lshl_b64 s[38:39], s[46:47], 1
	s_cmp_lt_i32 s48, s41
	v_add_co_ci_u32_e32 v8, vcc_lo, s27, v3, vcc_lo
	s_cselect_b32 s46, s48, s42
	v_add_co_u32 v9, vcc_lo, v1, s34
	s_ashr_i32 s47, s46, 31
	s_add_i32 s4, s43, 0xfffff880
	s_lshl_b64 s[46:47], s[46:47], 1
	v_add_co_ci_u32_e32 v10, vcc_lo, s35, v3, vcc_lo
	s_cmp_lt_i32 s4, s41
	v_add_co_u32 v11, vcc_lo, v1, s30
	s_cselect_b32 s4, s4, s42
	v_add_co_ci_u32_e32 v12, vcc_lo, s31, v3, vcc_lo
	v_add_co_u32 v13, vcc_lo, v1, s38
	s_ashr_i32 s5, s4, 31
	s_add_i32 s6, s43, 0xfffff900
	v_add_co_ci_u32_e32 v14, vcc_lo, s39, v3, vcc_lo
	global_load_u16 v18, v[19:20], off
	s_lshl_b64 s[8:9], s[4:5], 1
	s_cmp_lt_i32 s6, s41
	global_load_u16 v30, v[13:14], off
	s_cselect_b32 s4, s6, s42
	global_load_u16 v19, v[21:22], off
	s_ashr_i32 s5, s4, 31
	s_add_i32 s6, s43, 0xfffff980
	s_lshl_b64 s[10:11], s[4:5], 1
	s_cmp_lt_i32 s6, s41
	s_clause 0x3
	global_load_u16 v20, v[5:6], off
	global_load_u16 v21, v[7:8], off
	;; [unrolled: 1-line block ×4, first 2 shown]
	s_cselect_b32 s4, s6, s42
	s_add_i32 s6, s43, 0xfffffa00
	s_ashr_i32 s5, s4, 31
	v_add_co_u32 v15, vcc_lo, v1, s46
	s_lshl_b64 s[4:5], s[4:5], 1
	s_cmp_lt_i32 s6, s41
	v_add_co_ci_u32_e32 v16, vcc_lo, s47, v3, vcc_lo
	s_cselect_b32 s6, s6, s42
	s_add_i32 s18, s43, 0xfffffa80
	s_ashr_i32 s7, s6, 31
	v_add_co_u32 v5, vcc_lo, v1, s8
	s_lshl_b64 s[6:7], s[6:7], 1
	s_cmp_lt_i32 s18, s41
	v_add_co_ci_u32_e32 v6, vcc_lo, s9, v3, vcc_lo
	s_cselect_b32 s18, s18, s42
	v_add_co_u32 v7, vcc_lo, v1, s10
	s_ashr_i32 s19, s18, 31
	s_add_i32 s20, s43, 0xfffffb00
	s_lshl_b64 s[18:19], s[18:19], 1
	v_add_co_ci_u32_e32 v8, vcc_lo, s11, v3, vcc_lo
	s_cmp_lt_i32 s20, s41
	v_add_co_u32 v9, vcc_lo, v1, s4
	s_cselect_b32 s20, s20, s42
	v_add_co_ci_u32_e32 v10, vcc_lo, s5, v3, vcc_lo
	v_add_co_u32 v11, vcc_lo, v1, s6
	s_ashr_i32 s21, s20, 31
	s_add_i32 s22, s43, 0xfffffb80
	v_add_co_ci_u32_e32 v12, vcc_lo, s7, v3, vcc_lo
	global_load_u16 v15, v[15:16], off
	s_lshl_b64 s[20:21], s[20:21], 1
	s_cmp_lt_i32 s22, s41
	global_load_u16 v33, v[11:12], off
	s_cselect_b32 s22, s22, s42
	s_clause 0x2
	global_load_u16 v16, v[5:6], off
	global_load_u16 v31, v[7:8], off
	;; [unrolled: 1-line block ×3, first 2 shown]
	s_ashr_i32 s23, s22, 31
	s_add_i32 s24, s43, 0xfffffc00
	s_lshl_b64 s[22:23], s[22:23], 1
	s_cmp_lt_i32 s24, s41
	v_add_co_u32 v13, vcc_lo, v1, s18
	s_cselect_b32 s24, s24, s42
	s_add_i32 s26, s43, 0xfffffc80
	s_ashr_i32 s25, s24, 31
	v_add_co_ci_u32_e32 v14, vcc_lo, s19, v3, vcc_lo
	s_lshl_b64 s[24:25], s[24:25], 1
	s_cmp_lt_i32 s26, s41
	v_add_co_u32 v5, vcc_lo, v1, s20
	s_cselect_b32 s8, s26, s42
	v_add_co_ci_u32_e32 v6, vcc_lo, s21, v3, vcc_lo
	s_ashr_i32 s9, s8, 31
	v_add_co_u32 v7, vcc_lo, v1, s22
	s_add_i32 s10, s43, 0xfffffd00
	s_lshl_b64 s[8:9], s[8:9], 1
	v_add_co_ci_u32_e32 v8, vcc_lo, s23, v3, vcc_lo
	s_cmp_lt_i32 s10, s41
	v_add_co_u32 v9, vcc_lo, v1, s24
	s_cselect_b32 s4, s10, s42
	global_load_u16 v13, v[13:14], off
	v_add_co_ci_u32_e32 v10, vcc_lo, s25, v3, vcc_lo
	s_ashr_i32 s5, s4, 31
	s_add_i32 s6, s43, 0xfffffd80
	s_lshl_b64 s[4:5], s[4:5], 1
	global_load_u16 v35, v[9:10], off
	s_cmp_lt_i32 s6, s41
	s_clause 0x1
	global_load_u16 v14, v[5:6], off
	global_load_u16 v34, v[7:8], off
	s_cselect_b32 s6, s6, s42
	s_add_i32 s10, s43, 0xfffffe00
	s_ashr_i32 s7, s6, 31
	v_add_co_u32 v5, vcc_lo, v1, s8
	s_lshl_b64 s[6:7], s[6:7], 1
	s_cmp_lt_i32 s10, s41
	v_add_co_ci_u32_e32 v6, vcc_lo, s9, v3, vcc_lo
	s_cselect_b32 s10, s10, s42
	v_add_co_u32 v7, vcc_lo, v1, s4
	s_ashr_i32 s11, s10, 31
	v_add_co_ci_u32_e32 v8, vcc_lo, s5, v3, vcc_lo
	s_add_i32 s18, s43, 0xfffffe80
	s_lshl_b64 s[10:11], s[10:11], 1
	s_cmp_lt_i32 s18, s41
	s_clause 0x1
	global_load_u16 v36, v[5:6], off
	global_load_u16 v37, v[7:8], off
	s_cselect_b32 s18, s18, s42
	v_add_co_u32 v5, vcc_lo, v1, s6
	s_ashr_i32 s19, s18, 31
	v_add_co_ci_u32_e32 v6, vcc_lo, s7, v3, vcc_lo
	s_add_i32 s20, s43, 0xffffff00
	v_add_co_u32 v7, vcc_lo, v1, s10
	s_lshl_b64 s[8:9], s[18:19], 1
	s_cmp_lt_i32 s20, s41
	v_add_co_ci_u32_e32 v8, vcc_lo, s11, v3, vcc_lo
	s_cselect_b32 s4, s20, s42
	global_load_u16 v38, v[5:6], off
	s_ashr_i32 s5, s4, 31
	global_load_u16 v39, v[7:8], off
	s_add_i32 s18, s43, 0xffffff80
	v_add_co_u32 v5, vcc_lo, v1, s8
	s_lshl_b64 s[4:5], s[4:5], 1
	s_cmp_lt_i32 s18, s41
	v_add_co_ci_u32_e32 v6, vcc_lo, s9, v3, vcc_lo
	v_add_co_u32 v7, vcc_lo, v1, s4
	s_cselect_b32 s6, s18, s42
	v_add_co_ci_u32_e32 v8, vcc_lo, s5, v3, vcc_lo
	s_ashr_i32 s7, s6, 31
	global_load_u16 v40, v[5:6], off
	s_lshl_b64 s[6:7], s[6:7], 1
	global_load_u16 v41, v[7:8], off
	s_cmp_lt_i32 s43, s41
	v_add_co_u32 v5, vcc_lo, v1, s6
	s_cselect_b32 s4, s43, s42
	v_add_co_ci_u32_e32 v6, vcc_lo, s7, v3, vcc_lo
	s_ashr_i32 s5, s4, 31
	s_delay_alu instid0(SALU_CYCLE_1)
	s_lshl_b64 s[4:5], s[4:5], 1
	global_load_u16 v42, v[5:6], off
	v_add_co_u32 v5, vcc_lo, v1, s4
	v_add_co_ci_u32_e32 v6, vcc_lo, s5, v3, vcc_lo
	global_load_u16 v43, v[5:6], off
	ds_load_b128 v[5:8], v44
	ds_load_b128 v[9:12], v44 offset:16
	s_waitcnt vmcnt(31)
	v_lshlrev_b32_e32 v2, 16, v2
	s_waitcnt lgkmcnt(1)
	s_delay_alu instid0(VALU_DEP_1) | instskip(SKIP_2) | instid1(VALU_DEP_1)
	v_fmac_f32_e32 v4, v5, v2
	s_waitcnt vmcnt(30)
	v_lshlrev_b32_e32 v2, 16, v23
	v_fmac_f32_e32 v4, v6, v2
	s_waitcnt vmcnt(29)
	v_lshlrev_b32_e32 v2, 16, v24
	s_delay_alu instid0(VALU_DEP_1) | instskip(SKIP_2) | instid1(VALU_DEP_1)
	v_fmac_f32_e32 v4, v7, v2
	s_waitcnt vmcnt(28)
	v_lshlrev_b32_e32 v2, 16, v25
	v_fmac_f32_e32 v4, v8, v2
	ds_load_b128 v[5:8], v44 offset:32
	s_waitcnt vmcnt(27)
	v_lshlrev_b32_e32 v2, 16, v26
	s_waitcnt lgkmcnt(1)
	s_delay_alu instid0(VALU_DEP_1) | instskip(SKIP_2) | instid1(VALU_DEP_1)
	v_fmac_f32_e32 v4, v9, v2
	s_waitcnt vmcnt(26)
	v_lshlrev_b32_e32 v2, 16, v27
	v_fmac_f32_e32 v4, v10, v2
	s_waitcnt vmcnt(24)
	v_lshlrev_b32_e32 v2, 16, v28
	s_delay_alu instid0(VALU_DEP_1) | instskip(SKIP_1) | instid1(VALU_DEP_1)
	v_fmac_f32_e32 v4, v11, v2
	v_lshlrev_b32_e32 v2, 16, v17
	v_fmac_f32_e32 v4, v12, v2
	ds_load_b128 v[9:12], v44 offset:48
	s_waitcnt vmcnt(23)
	v_lshlrev_b32_e32 v2, 16, v18
	s_waitcnt lgkmcnt(1)
	s_delay_alu instid0(VALU_DEP_1) | instskip(SKIP_2) | instid1(VALU_DEP_1)
	v_fmac_f32_e32 v4, v5, v2
	s_waitcnt vmcnt(21)
	v_lshlrev_b32_e32 v2, 16, v19
	v_fmac_f32_e32 v4, v6, v2
	s_waitcnt vmcnt(20)
	v_lshlrev_b32_e32 v2, 16, v20
	s_delay_alu instid0(VALU_DEP_1) | instskip(SKIP_2) | instid1(VALU_DEP_1)
	v_fmac_f32_e32 v4, v7, v2
	s_waitcnt vmcnt(19)
	v_lshlrev_b32_e32 v2, 16, v21
	v_fmac_f32_e32 v4, v8, v2
	s_waitcnt vmcnt(18)
	v_lshlrev_b32_e32 v2, 16, v22
	ds_load_b128 v[5:8], v44 offset:64
	s_waitcnt lgkmcnt(1)
	v_fmac_f32_e32 v4, v9, v2
	s_waitcnt vmcnt(17)
	v_lshlrev_b32_e32 v2, 16, v29
	s_delay_alu instid0(VALU_DEP_1) | instskip(SKIP_1) | instid1(VALU_DEP_1)
	v_fmac_f32_e32 v4, v10, v2
	v_lshlrev_b32_e32 v2, 16, v30
	v_fmac_f32_e32 v4, v11, v2
	s_waitcnt vmcnt(16)
	v_lshlrev_b32_e32 v2, 16, v15
	s_delay_alu instid0(VALU_DEP_1) | instskip(SKIP_4) | instid1(VALU_DEP_1)
	v_fmac_f32_e32 v4, v12, v2
	ds_load_b128 v[9:12], v44 offset:80
	s_waitcnt vmcnt(14)
	v_lshlrev_b32_e32 v2, 16, v16
	s_waitcnt lgkmcnt(1)
	v_fmac_f32_e32 v4, v5, v2
	s_waitcnt vmcnt(13)
	v_lshlrev_b32_e32 v2, 16, v31
	s_delay_alu instid0(VALU_DEP_1) | instskip(SKIP_2) | instid1(VALU_DEP_1)
	v_fmac_f32_e32 v4, v6, v2
	s_waitcnt vmcnt(12)
	v_lshlrev_b32_e32 v2, 16, v32
	v_fmac_f32_e32 v4, v7, v2
	v_lshlrev_b32_e32 v2, 16, v33
	s_delay_alu instid0(VALU_DEP_1) | instskip(SKIP_4) | instid1(VALU_DEP_1)
	v_fmac_f32_e32 v4, v8, v2
	ds_load_b128 v[5:8], v44 offset:96
	s_waitcnt vmcnt(11)
	v_lshlrev_b32_e32 v2, 16, v13
	s_waitcnt lgkmcnt(1)
	v_fmac_f32_e32 v4, v9, v2
	s_waitcnt vmcnt(9)
	v_lshlrev_b32_e32 v2, 16, v14
	s_delay_alu instid0(VALU_DEP_1) | instskip(SKIP_2) | instid1(VALU_DEP_1)
	v_fmac_f32_e32 v4, v10, v2
	s_waitcnt vmcnt(8)
	v_lshlrev_b32_e32 v2, 16, v34
	v_fmac_f32_e32 v4, v11, v2
	;; [unrolled: 15-line block ×3, first 2 shown]
	s_waitcnt vmcnt(4)
	v_lshlrev_b32_e32 v2, 16, v39
	s_delay_alu instid0(VALU_DEP_1) | instskip(SKIP_3) | instid1(VALU_DEP_1)
	v_fmac_f32_e32 v4, v8, v2
	s_waitcnt vmcnt(3)
	v_lshlrev_b32_e32 v2, 16, v40
	s_waitcnt lgkmcnt(0)
	v_fmac_f32_e32 v4, v9, v2
	s_waitcnt vmcnt(2)
	v_lshlrev_b32_e32 v2, 16, v41
	s_delay_alu instid0(VALU_DEP_1) | instskip(SKIP_2) | instid1(VALU_DEP_1)
	v_fmac_f32_e32 v4, v10, v2
	s_waitcnt vmcnt(1)
	v_lshlrev_b32_e32 v2, 16, v42
	v_fmac_f32_e32 v4, v11, v2
	s_waitcnt vmcnt(0)
	v_lshlrev_b32_e32 v2, 16, v43
	s_delay_alu instid0(VALU_DEP_1)
	v_fmac_f32_e32 v4, v12, v2
	s_branch .LBB611_14
.LBB611_17:
	v_mov_b32_e32 v1, 0
	s_and_b32 vcc_lo, exec_lo, s15
	ds_load_b32 v1, v1 offset:1792
	s_cbranch_vccz .LBB611_19
; %bb.18:
	s_add_u32 s2, s12, s16
	s_addc_u32 s3, s13, s17
	s_load_b32 s2, s[2:3], 0x0
	s_mov_b32 s3, 0
.LBB611_19:
	s_waitcnt lgkmcnt(0)
	v_add_f32_e32 v1, 0x358637bd, v1
	s_delay_alu instid0(VALU_DEP_1) | instskip(NEXT) | instid1(VALU_DEP_1)
	v_div_scale_f32 v2, null, v1, v1, 1.0
	v_rcp_f32_e32 v3, v2
	s_waitcnt_depctr 0xfff
	v_fma_f32 v5, -v2, v3, 1.0
	s_delay_alu instid0(VALU_DEP_1) | instskip(SKIP_1) | instid1(VALU_DEP_1)
	v_fmac_f32_e32 v3, v5, v3
	v_div_scale_f32 v5, vcc_lo, 1.0, v1, 1.0
	v_mul_f32_e32 v6, v5, v3
	s_delay_alu instid0(VALU_DEP_1) | instskip(NEXT) | instid1(VALU_DEP_1)
	v_fma_f32 v7, -v2, v6, v5
	v_fmac_f32_e32 v6, v7, v3
	s_delay_alu instid0(VALU_DEP_1) | instskip(NEXT) | instid1(VALU_DEP_1)
	v_fma_f32 v2, -v2, v6, v5
	v_div_fmas_f32 v2, v2, v3, v6
	s_delay_alu instid0(VALU_DEP_1) | instskip(NEXT) | instid1(VALU_DEP_1)
	v_div_fixup_f32 v1, v2, v1, 1.0
	v_mul_f32_e32 v2, v4, v1
	s_delay_alu instid0(VALU_DEP_1) | instskip(NEXT) | instid1(VALU_DEP_1)
	v_and_b32_e32 v1, 0x7f800000, v2
	v_cmp_ne_u32_e32 vcc_lo, 0x7f800000, v1
                                        ; implicit-def: $vgpr1
	s_and_saveexec_b32 s4, vcc_lo
	s_delay_alu instid0(SALU_CYCLE_1)
	s_xor_b32 s4, exec_lo, s4
; %bb.20:
	v_bfe_u32 v1, v2, 16, 1
	s_delay_alu instid0(VALU_DEP_1)
	v_add3_u32 v1, v2, v1, 0x7fff
                                        ; implicit-def: $vgpr2
; %bb.21:
	s_and_not1_saveexec_b32 s4, s4
; %bb.22:
	v_and_b32_e32 v1, 0xffff, v2
	v_or_b32_e32 v3, 0x10000, v2
	s_delay_alu instid0(VALU_DEP_2) | instskip(NEXT) | instid1(VALU_DEP_2)
	v_cmp_eq_u32_e32 vcc_lo, 0, v1
	v_cndmask_b32_e32 v1, v3, v2, vcc_lo
; %bb.23:
	s_or_b32 exec_lo, exec_lo, s4
	s_mul_i32 s3, s33, s3
	s_mul_hi_u32 s4, s33, s2
	s_mul_i32 s2, s33, s2
	s_add_i32 s3, s4, s3
	s_mov_b32 s15, 0
	s_lshl_b64 s[2:3], s[2:3], 7
	v_and_b32_e32 v1, 0xffff0000, v1
	s_add_u32 s2, s0, s2
	s_addc_u32 s3, s1, s3
	s_lshl_b64 s[0:1], s[14:15], 7
	s_delay_alu instid0(SALU_CYCLE_1)
	s_add_u32 s0, s2, s0
	s_addc_u32 s1, s3, s1
	v_add_co_u32 v0, s0, s0, v0
	v_cvt_i32_f32_e32 v2, v1
	v_add_co_ci_u32_e64 v1, null, s1, 0, s0
	global_store_b8 v[0:1], v2, off
	s_nop 0
	s_sendmsg sendmsg(MSG_DEALLOC_VGPRS)
	s_endpgm
.LBB611_24:
	s_mov_b32 s4, 0
	s_branch .LBB611_2
	.section	.rodata,"a",@progbits
	.p2align	6, 0x0
	.amdhsa_kernel _Z35paged_attention_ll4mi_reduce_kernelI14__hip_bfloat16hLi128ELi128ELi256ELi14EEvPT0_PKfS4_PKT_PKiS9_iS4_
		.amdhsa_group_segment_fixed_size 1796
		.amdhsa_private_segment_fixed_size 0
		.amdhsa_kernarg_size 320
		.amdhsa_user_sgpr_count 14
		.amdhsa_user_sgpr_dispatch_ptr 0
		.amdhsa_user_sgpr_queue_ptr 0
		.amdhsa_user_sgpr_kernarg_segment_ptr 1
		.amdhsa_user_sgpr_dispatch_id 0
		.amdhsa_user_sgpr_private_segment_size 0
		.amdhsa_wavefront_size32 1
		.amdhsa_uses_dynamic_stack 0
		.amdhsa_enable_private_segment 0
		.amdhsa_system_sgpr_workgroup_id_x 1
		.amdhsa_system_sgpr_workgroup_id_y 1
		.amdhsa_system_sgpr_workgroup_id_z 0
		.amdhsa_system_sgpr_workgroup_info 0
		.amdhsa_system_vgpr_workitem_id 0
		.amdhsa_next_free_vgpr 77
		.amdhsa_next_free_sgpr 49
		.amdhsa_reserve_vcc 1
		.amdhsa_float_round_mode_32 0
		.amdhsa_float_round_mode_16_64 0
		.amdhsa_float_denorm_mode_32 3
		.amdhsa_float_denorm_mode_16_64 3
		.amdhsa_dx10_clamp 1
		.amdhsa_ieee_mode 1
		.amdhsa_fp16_overflow 0
		.amdhsa_workgroup_processor_mode 1
		.amdhsa_memory_ordered 1
		.amdhsa_forward_progress 0
		.amdhsa_shared_vgpr_count 0
		.amdhsa_exception_fp_ieee_invalid_op 0
		.amdhsa_exception_fp_denorm_src 0
		.amdhsa_exception_fp_ieee_div_zero 0
		.amdhsa_exception_fp_ieee_overflow 0
		.amdhsa_exception_fp_ieee_underflow 0
		.amdhsa_exception_fp_ieee_inexact 0
		.amdhsa_exception_int_div_zero 0
	.end_amdhsa_kernel
	.section	.text._Z35paged_attention_ll4mi_reduce_kernelI14__hip_bfloat16hLi128ELi128ELi256ELi14EEvPT0_PKfS4_PKT_PKiS9_iS4_,"axG",@progbits,_Z35paged_attention_ll4mi_reduce_kernelI14__hip_bfloat16hLi128ELi128ELi256ELi14EEvPT0_PKfS4_PKT_PKiS9_iS4_,comdat
.Lfunc_end611:
	.size	_Z35paged_attention_ll4mi_reduce_kernelI14__hip_bfloat16hLi128ELi128ELi256ELi14EEvPT0_PKfS4_PKT_PKiS9_iS4_, .Lfunc_end611-_Z35paged_attention_ll4mi_reduce_kernelI14__hip_bfloat16hLi128ELi128ELi256ELi14EEvPT0_PKfS4_PKT_PKiS9_iS4_
                                        ; -- End function
	.section	.AMDGPU.csdata,"",@progbits
; Kernel info:
; codeLenInByte = 7892
; NumSgprs: 51
; NumVgprs: 77
; ScratchSize: 0
; MemoryBound: 0
; FloatMode: 240
; IeeeMode: 1
; LDSByteSize: 1796 bytes/workgroup (compile time only)
; SGPRBlocks: 6
; VGPRBlocks: 9
; NumSGPRsForWavesPerEU: 51
; NumVGPRsForWavesPerEU: 77
; Occupancy: 16
; WaveLimiterHint : 0
; COMPUTE_PGM_RSRC2:SCRATCH_EN: 0
; COMPUTE_PGM_RSRC2:USER_SGPR: 14
; COMPUTE_PGM_RSRC2:TRAP_HANDLER: 0
; COMPUTE_PGM_RSRC2:TGID_X_EN: 1
; COMPUTE_PGM_RSRC2:TGID_Y_EN: 1
; COMPUTE_PGM_RSRC2:TGID_Z_EN: 0
; COMPUTE_PGM_RSRC2:TIDIG_COMP_CNT: 0
	.section	.text._Z35paged_attention_ll4mi_reduce_kernelI14__hip_bfloat16hLi128ELi128ELi256ELi15EEvPT0_PKfS4_PKT_PKiS9_iS4_,"axG",@progbits,_Z35paged_attention_ll4mi_reduce_kernelI14__hip_bfloat16hLi128ELi128ELi256ELi15EEvPT0_PKfS4_PKT_PKiS9_iS4_,comdat
	.protected	_Z35paged_attention_ll4mi_reduce_kernelI14__hip_bfloat16hLi128ELi128ELi256ELi15EEvPT0_PKfS4_PKT_PKiS9_iS4_ ; -- Begin function _Z35paged_attention_ll4mi_reduce_kernelI14__hip_bfloat16hLi128ELi128ELi256ELi15EEvPT0_PKfS4_PKT_PKiS9_iS4_
	.globl	_Z35paged_attention_ll4mi_reduce_kernelI14__hip_bfloat16hLi128ELi128ELi256ELi15EEvPT0_PKfS4_PKT_PKiS9_iS4_
	.p2align	8
	.type	_Z35paged_attention_ll4mi_reduce_kernelI14__hip_bfloat16hLi128ELi128ELi256ELi15EEvPT0_PKfS4_PKT_PKiS9_iS4_,@function
_Z35paged_attention_ll4mi_reduce_kernelI14__hip_bfloat16hLi128ELi128ELi256ELi15EEvPT0_PKfS4_PKT_PKiS9_iS4_: ; @_Z35paged_attention_ll4mi_reduce_kernelI14__hip_bfloat16hLi128ELi128ELi256ELi15EEvPT0_PKfS4_PKT_PKiS9_iS4_
; %bb.0:
	s_load_b64 s[12:13], s[0:1], 0x28
	s_mov_b32 s2, s15
	s_waitcnt lgkmcnt(0)
	s_cmp_lg_u64 s[12:13], 0
	s_cselect_b32 s15, -1, 0
	s_delay_alu instid0(SALU_CYCLE_1)
	s_and_b32 vcc_lo, exec_lo, s15
	s_cbranch_vccz .LBB612_24
; %bb.1:
	s_add_i32 s4, s2, 1
	s_mov_b32 s5, 0
	s_delay_alu instid0(SALU_CYCLE_1) | instskip(SKIP_4) | instid1(SALU_CYCLE_1)
	s_lshl_b64 s[6:7], s[4:5], 2
	s_mov_b32 s3, s5
	s_add_u32 s6, s12, s6
	s_addc_u32 s7, s13, s7
	s_lshl_b64 s[8:9], s[2:3], 2
	s_add_u32 s8, s12, s8
	s_addc_u32 s9, s13, s9
	s_clause 0x1
	s_load_b32 s4, s[6:7], 0x0
	s_load_b32 s6, s[8:9], 0x0
	s_waitcnt lgkmcnt(0)
	s_sub_i32 s4, s4, s6
	s_delay_alu instid0(SALU_CYCLE_1)
	s_cmp_eq_u32 s4, 1
	s_cselect_b32 s4, -1, 0
	s_cbranch_execnz .LBB612_3
.LBB612_2:
	s_mov_b32 s3, 0
	s_mov_b32 s4, -1
.LBB612_3:
	s_delay_alu instid0(SALU_CYCLE_1)
	s_and_not1_b32 vcc_lo, exec_lo, s4
	s_cbranch_vccz .LBB612_5
; %bb.4:
	s_endpgm
.LBB612_5:
	s_clause 0x1
	s_load_b128 s[4:7], s[0:1], 0x18
	s_load_b32 s9, s[0:1], 0x30
	s_lshl_b64 s[16:17], s[2:3], 2
	s_waitcnt lgkmcnt(0)
	s_add_u32 s6, s6, s16
	s_addc_u32 s7, s7, s17
	s_load_b32 s23, s[6:7], 0x0
	s_load_b32 s33, s[0:1], 0x40
	s_mul_i32 s7, s2, s9
	s_waitcnt lgkmcnt(0)
	s_add_i32 s22, s23, 0xff
	s_delay_alu instid0(SALU_CYCLE_1) | instskip(NEXT) | instid1(SALU_CYCLE_1)
	s_ashr_i32 s6, s22, 31
	s_lshr_b32 s6, s6, 24
	s_delay_alu instid0(SALU_CYCLE_1) | instskip(SKIP_4) | instid1(SALU_CYCLE_1)
	s_add_i32 s8, s22, s6
	s_mul_i32 s6, s14, s9
	s_mov_b32 s9, exec_lo
	v_cmpx_lt_u32_e32 31, v0
	s_xor_b32 s9, exec_lo, s9
	s_or_saveexec_b32 s24, s9
	v_mov_b32_e32 v1, s6
	s_ashr_i32 s40, s8, 8
	s_mul_i32 s18, s7, s33
	s_xor_b32 exec_lo, exec_lo, s24
	s_cbranch_execz .LBB612_9
; %bb.6:
	v_or_b32_e32 v2, 32, v0
	v_cmp_gt_i32_e32 vcc_lo, s40, v0
	s_add_i32 s20, s40, -1
	v_or_b32_e32 v4, 64, v0
	v_or_b32_e32 v6, 0xa0, v0
	s_load_b128 s[8:11], s[0:1], 0x8
	v_cndmask_b32_e32 v1, s20, v0, vcc_lo
	v_cmp_gt_i32_e32 vcc_lo, s40, v2
	s_mov_b32 s19, 0
	s_delay_alu instid0(SALU_CYCLE_1)
	s_mov_b32 s7, s19
	v_cndmask_b32_e32 v3, s20, v2, vcc_lo
	v_or_b32_e32 v2, 0x60, v0
	v_cmp_gt_i32_e32 vcc_lo, s40, v4
	v_cndmask_b32_e32 v5, s20, v4, vcc_lo
	v_or_b32_e32 v4, 0x80, v0
	s_delay_alu instid0(VALU_DEP_4) | instskip(SKIP_1) | instid1(VALU_DEP_3)
	v_cmp_gt_i32_e32 vcc_lo, s40, v2
	v_cndmask_b32_e32 v7, s20, v2, vcc_lo
	v_cmp_gt_i32_e32 vcc_lo, s40, v4
	v_or_b32_e32 v2, 0xc0, v0
	s_delay_alu instid0(VALU_DEP_3) | instskip(SKIP_3) | instid1(VALU_DEP_3)
	v_ashrrev_i32_e32 v8, 31, v7
	v_cndmask_b32_e32 v9, s20, v4, vcc_lo
	v_cmp_gt_i32_e32 vcc_lo, s40, v6
	v_or_b32_e32 v4, 0xe0, v0
	v_ashrrev_i32_e32 v10, 31, v9
	v_cndmask_b32_e32 v11, s20, v6, vcc_lo
	v_cmp_gt_i32_e32 vcc_lo, s40, v2
	v_or_b32_e32 v6, 0x120, v0
	s_delay_alu instid0(VALU_DEP_3) | instskip(SKIP_3) | instid1(VALU_DEP_3)
	v_ashrrev_i32_e32 v12, 31, v11
	v_cndmask_b32_e32 v13, s20, v2, vcc_lo
	v_or_b32_e32 v2, 0x100, v0
	v_cmp_gt_i32_e32 vcc_lo, s40, v4
	v_ashrrev_i32_e32 v14, 31, v13
	v_cndmask_b32_e32 v15, s20, v4, vcc_lo
	s_delay_alu instid0(VALU_DEP_4) | instskip(SKIP_1) | instid1(VALU_DEP_3)
	v_cmp_gt_i32_e32 vcc_lo, s40, v2
	v_or_b32_e32 v4, 0x140, v0
	v_ashrrev_i32_e32 v16, 31, v15
	v_cndmask_b32_e32 v17, s20, v2, vcc_lo
	v_cmp_gt_i32_e32 vcc_lo, s40, v6
	v_or_b32_e32 v2, 0x160, v0
	s_delay_alu instid0(VALU_DEP_3) | instskip(SKIP_3) | instid1(VALU_DEP_3)
	v_ashrrev_i32_e32 v18, 31, v17
	v_cndmask_b32_e32 v19, s20, v6, vcc_lo
	v_cmp_gt_i32_e32 vcc_lo, s40, v4
	v_or_b32_e32 v6, 0x1a0, v0
	v_ashrrev_i32_e32 v20, 31, v19
	v_cndmask_b32_e32 v21, s20, v4, vcc_lo
	v_or_b32_e32 v4, 0x180, v0
	v_cmp_gt_i32_e32 vcc_lo, s40, v2
	s_delay_alu instid0(VALU_DEP_3) | instskip(SKIP_1) | instid1(VALU_DEP_4)
	v_ashrrev_i32_e32 v22, 31, v21
	v_cndmask_b32_e32 v23, s20, v2, vcc_lo
	v_cmp_gt_i32_e32 vcc_lo, s40, v4
	v_or_b32_e32 v2, 0x1c0, v0
	s_delay_alu instid0(VALU_DEP_3) | instskip(SKIP_3) | instid1(VALU_DEP_3)
	v_ashrrev_i32_e32 v24, 31, v23
	v_cndmask_b32_e32 v25, s20, v4, vcc_lo
	v_cmp_gt_i32_e32 vcc_lo, s40, v6
	v_ashrrev_i32_e32 v4, 31, v3
	v_ashrrev_i32_e32 v26, 31, v25
	v_cndmask_b32_e32 v27, s20, v6, vcc_lo
	v_cmp_gt_i32_e32 vcc_lo, s40, v2
	v_ashrrev_i32_e32 v6, 31, v5
	v_lshlrev_b64 v[33:34], 2, v[3:4]
	s_delay_alu instid0(VALU_DEP_4)
	v_ashrrev_i32_e32 v28, 31, v27
	v_cndmask_b32_e32 v29, s20, v2, vcc_lo
	v_ashrrev_i32_e32 v2, 31, v1
	s_lshl_b64 s[20:21], s[18:19], 2
	v_lshlrev_b64 v[4:5], 2, v[5:6]
	s_waitcnt lgkmcnt(0)
	s_add_u32 s19, s10, s20
	s_addc_u32 s25, s11, s21
	v_lshlrev_b64 v[31:32], 2, v[1:2]
	s_lshl_b64 s[10:11], s[6:7], 2
	v_lshlrev_b64 v[6:7], 2, v[7:8]
	s_add_u32 s7, s19, s10
	s_addc_u32 s19, s25, s11
	v_lshlrev_b64 v[8:9], 2, v[9:10]
	v_add_co_u32 v1, vcc_lo, s7, v31
	v_add_co_ci_u32_e32 v2, vcc_lo, s19, v32, vcc_lo
	v_add_co_u32 v35, vcc_lo, s7, v33
	v_add_co_ci_u32_e32 v36, vcc_lo, s19, v34, vcc_lo
	;; [unrolled: 2-line block ×3, first 2 shown]
	v_add_co_u32 v39, vcc_lo, s7, v6
	v_lshlrev_b64 v[10:11], 2, v[11:12]
	v_add_co_ci_u32_e32 v40, vcc_lo, s19, v7, vcc_lo
	v_add_co_u32 v41, vcc_lo, s7, v8
	v_lshlrev_b64 v[12:13], 2, v[13:14]
	v_add_co_ci_u32_e32 v42, vcc_lo, s19, v9, vcc_lo
	;; [unrolled: 3-line block ×5, first 2 shown]
	s_clause 0x7
	global_load_b32 v49, v[1:2], off
	global_load_b32 v50, v[35:36], off
	;; [unrolled: 1-line block ×8, first 2 shown]
	v_add_co_u32 v1, vcc_lo, s7, v16
	v_lshlrev_b64 v[20:21], 2, v[21:22]
	v_add_co_ci_u32_e32 v2, vcc_lo, s19, v17, vcc_lo
	v_add_co_u32 v35, vcc_lo, s7, v18
	v_add_co_ci_u32_e32 v36, vcc_lo, s19, v19, vcc_lo
	v_lshlrev_b64 v[22:23], 2, v[23:24]
	v_add_co_u32 v37, vcc_lo, s7, v20
	v_add_co_ci_u32_e32 v38, vcc_lo, s19, v21, vcc_lo
	v_lshlrev_b64 v[24:25], 2, v[25:26]
	v_ashrrev_i32_e32 v30, 31, v29
	s_clause 0x2
	global_load_b32 v45, v[1:2], off
	global_load_b32 v46, v[35:36], off
	;; [unrolled: 1-line block ×3, first 2 shown]
	v_add_co_u32 v1, vcc_lo, s7, v22
	v_lshlrev_b64 v[26:27], 2, v[27:28]
	v_add_co_ci_u32_e32 v2, vcc_lo, s19, v23, vcc_lo
	v_add_co_u32 v35, vcc_lo, s7, v24
	v_lshlrev_b64 v[28:29], 2, v[29:30]
	v_add_co_ci_u32_e32 v36, vcc_lo, s19, v25, vcc_lo
	v_add_co_u32 v37, vcc_lo, s7, v26
	v_add_co_ci_u32_e32 v38, vcc_lo, s19, v27, vcc_lo
	s_delay_alu instid0(VALU_DEP_4)
	v_add_co_u32 v39, vcc_lo, s7, v28
	v_add_co_ci_u32_e32 v40, vcc_lo, s19, v29, vcc_lo
	s_clause 0x3
	global_load_b32 v48, v[1:2], off
	global_load_b32 v35, v[35:36], off
	;; [unrolled: 1-line block ×4, first 2 shown]
	v_mbcnt_lo_u32_b32 v37, -1, 0
	s_add_u32 s7, s8, s20
	s_addc_u32 s8, s9, s21
	s_add_u32 s7, s7, s10
	s_addc_u32 s8, s8, s11
	v_xor_b32_e32 v1, 16, v37
	v_xor_b32_e32 v2, 8, v37
	s_delay_alu instid0(VALU_DEP_2) | instskip(SKIP_1) | instid1(VALU_DEP_3)
	v_cmp_gt_i32_e32 vcc_lo, 32, v1
	v_cndmask_b32_e32 v1, v37, v1, vcc_lo
	v_cmp_gt_i32_e32 vcc_lo, 32, v2
	v_cndmask_b32_e32 v38, v37, v2, vcc_lo
	s_delay_alu instid0(VALU_DEP_3) | instskip(NEXT) | instid1(VALU_DEP_2)
	v_lshlrev_b32_e32 v2, 2, v1
	v_lshlrev_b32_e32 v1, 2, v38
	s_waitcnt vmcnt(12)
	v_max3_f32 v30, v49, v50, v51
	s_waitcnt vmcnt(10)
	s_delay_alu instid0(VALU_DEP_1) | instskip(SKIP_1) | instid1(VALU_DEP_1)
	v_max3_f32 v30, v30, v52, v41
	s_waitcnt vmcnt(8)
	v_max3_f32 v30, v30, v42, v43
	s_waitcnt vmcnt(6)
	s_delay_alu instid0(VALU_DEP_1) | instskip(SKIP_3) | instid1(VALU_DEP_3)
	v_max3_f32 v38, v30, v44, v45
	v_add_co_u32 v30, vcc_lo, s7, v31
	v_add_co_ci_u32_e32 v31, vcc_lo, s8, v32, vcc_lo
	s_waitcnt vmcnt(4)
	v_max3_f32 v38, v38, v46, v47
	v_add_co_u32 v32, vcc_lo, s7, v33
	v_add_co_ci_u32_e32 v33, vcc_lo, s8, v34, vcc_lo
	v_add_co_u32 v4, vcc_lo, s7, v4
	v_add_co_ci_u32_e32 v5, vcc_lo, s8, v5, vcc_lo
	;; [unrolled: 2-line block ×3, first 2 shown]
	v_add_co_u32 v8, vcc_lo, s7, v8
	s_waitcnt vmcnt(2)
	v_max3_f32 v34, v38, v48, v35
	v_add_co_ci_u32_e32 v9, vcc_lo, s8, v9, vcc_lo
	v_add_co_u32 v10, vcc_lo, s7, v10
	s_waitcnt vmcnt(0)
	s_delay_alu instid0(VALU_DEP_3)
	v_max3_f32 v34, v34, v36, v3
	v_add_co_ci_u32_e32 v11, vcc_lo, s8, v11, vcc_lo
	v_add_co_u32 v12, vcc_lo, s7, v12
	ds_bpermute_b32 v38, v2, v34
	v_add_co_ci_u32_e32 v13, vcc_lo, s8, v13, vcc_lo
	v_add_co_u32 v14, vcc_lo, s7, v14
	v_add_co_ci_u32_e32 v15, vcc_lo, s8, v15, vcc_lo
	v_add_co_u32 v16, vcc_lo, s7, v16
	;; [unrolled: 2-line block ×4, first 2 shown]
	s_clause 0x9
	global_load_b32 v30, v[30:31], off
	global_load_b32 v31, v[32:33], off
	;; [unrolled: 1-line block ×10, first 2 shown]
	v_xor_b32_e32 v10, 4, v37
	v_add_co_ci_u32_e32 v21, vcc_lo, s8, v21, vcc_lo
	s_waitcnt lgkmcnt(0)
	v_max_f32_e32 v38, v38, v38
	v_add_co_u32 v8, vcc_lo, s7, v22
	v_add_co_ci_u32_e32 v9, vcc_lo, s8, v23, vcc_lo
	s_delay_alu instid0(VALU_DEP_3)
	v_max_f32_e32 v34, v34, v38
	v_cmp_gt_i32_e32 vcc_lo, 32, v10
	s_clause 0x1
	global_load_b32 v7, v[20:21], off
	global_load_b32 v8, v[8:9], off
	v_xor_b32_e32 v14, 2, v37
	ds_bpermute_b32 v38, v1, v34
	v_cndmask_b32_e32 v9, v37, v10, vcc_lo
	s_waitcnt lgkmcnt(0)
	s_delay_alu instid0(VALU_DEP_1) | instskip(NEXT) | instid1(VALU_DEP_1)
	v_dual_max_f32 v11, v38, v38 :: v_dual_lshlrev_b32 v10, 2, v9
	v_max_f32_e32 v13, v34, v11
	v_add_co_u32 v11, vcc_lo, s7, v24
	v_add_co_ci_u32_e32 v12, vcc_lo, s8, v25, vcc_lo
	ds_bpermute_b32 v9, v10, v13
	v_cmp_gt_i32_e32 vcc_lo, 32, v14
	s_waitcnt lgkmcnt(0)
	v_max_f32_e32 v15, v9, v9
	global_load_b32 v9, v[11:12], off
	v_max_f32_e32 v16, v13, v15
	v_cndmask_b32_e32 v14, v37, v14, vcc_lo
	v_add_co_u32 v12, vcc_lo, s7, v26
	v_add_co_ci_u32_e32 v13, vcc_lo, s8, v27, vcc_lo
	s_delay_alu instid0(VALU_DEP_3)
	v_lshlrev_b32_e32 v11, 2, v14
	v_add_co_u32 v14, vcc_lo, s7, v28
	v_add_co_ci_u32_e32 v15, vcc_lo, s8, v29, vcc_lo
	ds_bpermute_b32 v17, v11, v16
	global_load_b32 v13, v[12:13], off
	s_mov_b32 s7, exec_lo
	global_load_b32 v14, v[14:15], off
	v_xor_b32_e32 v12, 1, v37
	s_delay_alu instid0(VALU_DEP_1) | instskip(SKIP_2) | instid1(VALU_DEP_1)
	v_cmp_gt_i32_e32 vcc_lo, 32, v12
	v_cndmask_b32_e32 v12, v37, v12, vcc_lo
	s_waitcnt lgkmcnt(0)
	v_dual_max_f32 v15, v17, v17 :: v_dual_lshlrev_b32 v12, 2, v12
	s_delay_alu instid0(VALU_DEP_1) | instskip(SKIP_3) | instid1(VALU_DEP_1)
	v_max_f32_e32 v15, v16, v15
	ds_bpermute_b32 v16, v12, v15
	s_waitcnt lgkmcnt(0)
	v_max_f32_e32 v16, v16, v16
	v_max_f32_e32 v16, v15, v16
	v_sub_nc_u32_e32 v15, s40, v0
	s_delay_alu instid0(VALU_DEP_2)
	v_sub_f32_e32 v20, v52, v16
	v_sub_f32_e32 v26, v46, v16
	;; [unrolled: 1-line block ×5, first 2 shown]
	v_mul_f32_e32 v38, 0x3fb8aa3b, v20
	v_mul_f32_e32 v46, 0x3fb8aa3b, v26
	v_sub_f32_e32 v28, v48, v16
	v_mul_f32_e32 v44, 0x3fb8aa3b, v24
	v_sub_f32_e32 v22, v42, v16
	v_fma_f32 v57, 0x3fb8aa3b, v20, -v38
	v_rndne_f32_e32 v58, v38
	v_mul_f32_e32 v48, 0x3fb8aa3b, v28
	v_rndne_f32_e32 v66, v44
	v_mul_f32_e32 v42, 0x3fb8aa3b, v22
	s_delay_alu instid0(VALU_DEP_4)
	v_dual_fmac_f32 v57, 0x32a5705f, v20 :: v_dual_sub_f32 v38, v38, v58
	v_sub_f32_e32 v29, v35, v16
	v_mul_f32_e32 v35, 0x3fb8aa3b, v17
	v_fma_f32 v73, 0x3fb8aa3b, v28, -v48
	v_rndne_f32_e32 v74, v48
	v_sub_f32_e32 v27, v47, v16
	v_fma_f32 v61, 0x3fb8aa3b, v22, -v42
	v_fma_f32 v50, 0x3fb8aa3b, v17, -v35
	v_sub_f32_e32 v19, v51, v16
	v_dual_fmac_f32 v73, 0x32a5705f, v28 :: v_dual_sub_f32 v48, v48, v74
	v_rndne_f32_e32 v62, v42
	s_delay_alu instid0(VALU_DEP_4) | instskip(NEXT) | instid1(VALU_DEP_4)
	v_fmac_f32_e32 v50, 0x32a5705f, v17
	v_mul_f32_e32 v37, 0x3fb8aa3b, v19
	v_cvt_i32_f32_e32 v74, v74
	v_dual_add_f32 v48, v48, v73 :: v_dual_sub_f32 v23, v43, v16
	v_sub_f32_e32 v42, v42, v62
	s_delay_alu instid0(VALU_DEP_4) | instskip(SKIP_1) | instid1(VALU_DEP_4)
	v_fma_f32 v55, 0x3fb8aa3b, v19, -v37
	v_sub_f32_e32 v34, v36, v16
	v_exp_f32_e32 v48, v48
	v_mul_f32_e32 v36, 0x3fb8aa3b, v18
	v_rndne_f32_e32 v51, v35
	v_fmac_f32_e32 v55, 0x32a5705f, v19
	v_fma_f32 v65, 0x3fb8aa3b, v24, -v44
	v_fma_f32 v69, 0x3fb8aa3b, v26, -v46
	v_rndne_f32_e32 v70, v46
	v_dual_sub_f32 v44, v44, v66 :: v_dual_sub_f32 v25, v45, v16
	v_fma_f32 v52, 0x3fb8aa3b, v18, -v36
	s_delay_alu instid0(TRANS32_DEP_1) | instskip(NEXT) | instid1(VALU_DEP_4)
	v_ldexp_f32 v48, v48, v74
	v_sub_f32_e32 v46, v46, v70
	v_fmac_f32_e32 v61, 0x32a5705f, v22
	v_mul_f32_e32 v43, 0x3fb8aa3b, v23
	v_rndne_f32_e32 v54, v36
	v_fmac_f32_e32 v69, 0x32a5705f, v26
	s_delay_alu instid0(VALU_DEP_4) | instskip(SKIP_3) | instid1(VALU_DEP_4)
	v_dual_sub_f32 v35, v35, v51 :: v_dual_add_f32 v42, v42, v61
	v_dual_sub_f32 v21, v41, v16 :: v_dual_fmac_f32 v52, 0x32a5705f, v18
	v_rndne_f32_e32 v56, v37
	v_sub_f32_e32 v36, v36, v54
	v_exp_f32_e32 v42, v42
	v_cvt_i32_f32_e32 v62, v62
	v_dual_add_f32 v46, v46, v69 :: v_dual_add_f32 v35, v35, v50
	s_delay_alu instid0(VALU_DEP_3) | instskip(SKIP_2) | instid1(VALU_DEP_4)
	v_dual_mul_f32 v41, 0x3fb8aa3b, v21 :: v_dual_add_f32 v36, v36, v52
	v_cvt_i32_f32_e32 v51, v51
	v_cvt_i32_f32_e32 v54, v54
	v_exp_f32_e32 v35, v35
	v_fmac_f32_e32 v65, 0x32a5705f, v24
	s_delay_alu instid0(TRANS32_DEP_2)
	v_ldexp_f32 v42, v42, v62
	v_sub_f32_e32 v37, v37, v56
	v_exp_f32_e32 v36, v36
	v_add_f32_e32 v38, v38, v57
	v_cmp_ngt_f32_e32 vcc_lo, 0xc2ce8ed0, v17
	v_dual_mul_f32 v47, 0x3fb8aa3b, v27 :: v_dual_add_f32 v44, v44, v65
	v_add_f32_e32 v37, v37, v55
	s_delay_alu instid0(TRANS32_DEP_2)
	v_ldexp_f32 v35, v35, v51
	v_cvt_i32_f32_e32 v56, v56
	v_exp_f32_e32 v38, v38
	v_cvt_i32_f32_e32 v58, v58
	v_exp_f32_e32 v37, v37
	v_ldexp_f32 v36, v36, v54
	v_cndmask_b32_e32 v35, 0, v35, vcc_lo
	v_cmp_ngt_f32_e32 vcc_lo, 0xc2ce8ed0, v18
	v_mul_f32_e32 v45, 0x3fb8aa3b, v25
	v_exp_f32_e32 v44, v44
	v_fma_f32 v59, 0x3fb8aa3b, v21, -v41
	v_rndne_f32_e32 v60, v41
	v_cndmask_b32_e32 v36, 0, v36, vcc_lo
	v_cmp_ngt_f32_e32 vcc_lo, 0xc2ce8ed0, v19
	v_ldexp_f32 v37, v37, v56
	v_cvt_i32_f32_e32 v66, v66
	v_ldexp_f32 v38, v38, v58
	v_fma_f32 v63, 0x3fb8aa3b, v23, -v43
	v_rndne_f32_e32 v64, v43
	v_cndmask_b32_e32 v37, 0, v37, vcc_lo
	v_cmp_ngt_f32_e32 vcc_lo, 0xc2ce8ed0, v20
	v_mul_f32_e32 v49, 0x3fb8aa3b, v29
	v_ldexp_f32 v44, v44, v66
	v_fmac_f32_e32 v59, 0x32a5705f, v21
	v_dual_fmac_f32 v63, 0x32a5705f, v23 :: v_dual_cndmask_b32 v38, 0, v38
	v_sub_f32_e32 v41, v41, v60
	v_cvt_i32_f32_e32 v60, v60
	v_cmp_ngt_f32_e32 vcc_lo, 0xc2ce8ed0, v21
	v_fma_f32 v67, 0x3fb8aa3b, v25, -v45
	v_rndne_f32_e32 v68, v45
	v_add_f32_e32 v41, v41, v59
	v_fma_f32 v71, 0x3fb8aa3b, v27, -v47
	v_rndne_f32_e32 v72, v47
	v_fmac_f32_e32 v67, 0x32a5705f, v25
	v_sub_f32_e32 v45, v45, v68
	v_exp_f32_e32 v41, v41
	v_fmac_f32_e32 v71, 0x32a5705f, v27
	v_sub_f32_e32 v47, v47, v72
	v_cvt_i32_f32_e32 v68, v68
	v_add_f32_e32 v45, v45, v67
	v_exp_f32_e32 v46, v46
	v_fma_f32 v75, 0x3fb8aa3b, v29, -v49
	v_add_f32_e32 v47, v47, v71
	v_cvt_i32_f32_e32 v70, v70
	v_exp_f32_e32 v45, v45
	v_ldexp_f32 v41, v41, v60
	v_cvt_i32_f32_e32 v72, v72
	v_exp_f32_e32 v47, v47
	v_fmac_f32_e32 v75, 0x32a5705f, v29
	v_sub_f32_e32 v3, v3, v16
	v_cndmask_b32_e32 v41, 0, v41, vcc_lo
	v_cmp_ngt_f32_e32 vcc_lo, 0xc2ce8ed0, v22
	v_ldexp_f32 v46, v46, v70
	v_rndne_f32_e32 v76, v49
	v_ldexp_f32 v45, v45, v68
	v_dual_cndmask_b32 v42, 0, v42 :: v_dual_sub_f32 v43, v43, v64
	v_cvt_i32_f32_e32 v64, v64
	v_cmp_ngt_f32_e32 vcc_lo, 0xc2ce8ed0, v23
	v_ldexp_f32 v47, v47, v72
	s_delay_alu instid0(VALU_DEP_4) | instskip(NEXT) | instid1(VALU_DEP_1)
	v_add_f32_e32 v43, v43, v63
	v_exp_f32_e32 v43, v43
	s_waitcnt_depctr 0xfff
	v_ldexp_f32 v43, v43, v64
	s_delay_alu instid0(VALU_DEP_1)
	v_cndmask_b32_e32 v43, 0, v43, vcc_lo
	v_cmp_ngt_f32_e32 vcc_lo, 0xc2ce8ed0, v24
	v_cndmask_b32_e32 v44, 0, v44, vcc_lo
	v_cmp_ngt_f32_e32 vcc_lo, 0xc2ce8ed0, v25
	;; [unrolled: 2-line block ×5, first 2 shown]
	v_cndmask_b32_e32 v48, 0, v48, vcc_lo
	v_cmp_nlt_f32_e32 vcc_lo, 0x42b17218, v17
	v_cndmask_b32_e32 v17, 0x7f800000, v35, vcc_lo
	v_cmp_nlt_f32_e32 vcc_lo, 0x42b17218, v18
	;; [unrolled: 2-line block ×12, first 2 shown]
	v_cndmask_b32_e32 v28, 0x7f800000, v48, vcc_lo
	v_cmp_lt_i32_e32 vcc_lo, 0, v15
	v_cndmask_b32_e32 v17, 0, v17, vcc_lo
	v_cmp_lt_i32_e32 vcc_lo, 32, v15
	v_cndmask_b32_e32 v18, 0, v18, vcc_lo
	v_cmp_lt_i32_e32 vcc_lo, 64, v15
	s_waitcnt vmcnt(13)
	s_delay_alu instid0(VALU_DEP_2) | instskip(SKIP_4) | instid1(VALU_DEP_2)
	v_dual_mul_f32 v18, v31, v18 :: v_dual_cndmask_b32 v19, 0, v19
	v_cmp_lt_i32_e32 vcc_lo, 0x60, v15
	v_cndmask_b32_e32 v20, 0, v20, vcc_lo
	v_cmp_lt_i32_e32 vcc_lo, 0x80, v15
	s_waitcnt vmcnt(11)
	v_dual_mul_f32 v20, v33, v20 :: v_dual_cndmask_b32 v21, 0, v21
	v_cmp_lt_i32_e32 vcc_lo, 0xa0, v15
	v_cndmask_b32_e32 v22, 0, v22, vcc_lo
	v_cmp_lt_i32_e32 vcc_lo, 0xc0, v15
	s_waitcnt vmcnt(9)
	s_delay_alu instid0(VALU_DEP_2) | instskip(SKIP_4) | instid1(VALU_DEP_2)
	v_dual_mul_f32 v22, v40, v22 :: v_dual_cndmask_b32 v23, 0, v23
	v_cmp_lt_i32_e32 vcc_lo, 0xe0, v15
	v_cndmask_b32_e32 v24, 0, v24, vcc_lo
	v_cmp_lt_i32_e32 vcc_lo, 0x100, v15
	s_waitcnt vmcnt(7)
	v_mul_f32_e32 v5, v5, v24
	v_cndmask_b32_e32 v25, 0, v25, vcc_lo
	v_cmp_lt_i32_e32 vcc_lo, 0x120, v15
	s_waitcnt vmcnt(6)
	s_delay_alu instid0(VALU_DEP_2) | instskip(SKIP_3) | instid1(VALU_DEP_2)
	v_mul_f32_e32 v4, v4, v25
	v_cndmask_b32_e32 v26, 0, v26, vcc_lo
	v_cmp_lt_i32_e32 vcc_lo, 0x140, v15
	s_waitcnt vmcnt(5)
	v_dual_sub_f32 v25, v49, v76 :: v_dual_mul_f32 v6, v6, v26
	v_cndmask_b32_e32 v27, 0, v27, vcc_lo
	v_cmp_lt_i32_e32 vcc_lo, 0x160, v15
	s_waitcnt vmcnt(4)
	s_delay_alu instid0(VALU_DEP_2)
	v_dual_mul_f32 v26, 0x3fb8aa3b, v34 :: v_dual_mul_f32 v7, v7, v27
	v_cndmask_b32_e32 v24, 0, v28, vcc_lo
	v_dual_mul_f32 v28, 0x3fb8aa3b, v3 :: v_dual_mul_f32 v17, v30, v17
	v_cvt_i32_f32_e32 v30, v76
	v_cmp_ngt_f32_e32 vcc_lo, 0xc2ce8ed0, v29
	s_waitcnt vmcnt(3)
	v_mul_f32_e32 v8, v8, v24
	v_add_f32_e32 v24, v25, v75
	v_fma_f32 v16, 0x3fb8aa3b, v34, -v26
	v_fma_f32 v31, 0x3fb8aa3b, v3, -v28
	s_delay_alu instid0(VALU_DEP_3) | instskip(NEXT) | instid1(VALU_DEP_1)
	v_exp_f32_e32 v24, v24
	v_dual_fmac_f32 v16, 0x32a5705f, v34 :: v_dual_fmac_f32 v31, 0x32a5705f, v3
	s_waitcnt_depctr 0xfff
	v_ldexp_f32 v24, v24, v30
	s_delay_alu instid0(VALU_DEP_1) | instskip(SKIP_3) | instid1(VALU_DEP_4)
	v_cndmask_b32_e32 v24, 0, v24, vcc_lo
	v_cmp_nlt_f32_e32 vcc_lo, 0x42b17218, v29
	v_mul_f32_e32 v19, v32, v19
	v_rndne_f32_e32 v32, v28
	v_dual_cndmask_b32 v24, 0x7f800000, v24 :: v_dual_add_f32 v27, v17, v18
	v_cmp_lt_i32_e32 vcc_lo, 0x180, v15
	s_delay_alu instid0(VALU_DEP_2) | instskip(SKIP_1) | instid1(VALU_DEP_4)
	v_add_f32_e32 v25, v27, v19
	v_rndne_f32_e32 v27, v26
	v_dual_cndmask_b32 v24, 0, v24 :: v_dual_mul_f32 v21, v39, v21
	v_cmp_ngt_f32_e32 vcc_lo, 0xc2ce8ed0, v34
	s_delay_alu instid0(VALU_DEP_3) | instskip(SKIP_3) | instid1(VALU_DEP_3)
	v_dual_add_f32 v25, v25, v20 :: v_dual_sub_f32 v26, v26, v27
	v_cvt_i32_f32_e32 v27, v27
	s_waitcnt vmcnt(2)
	v_mul_f32_e32 v9, v9, v24
	v_dual_add_f32 v25, v25, v21 :: v_dual_add_f32 v16, v26, v16
	s_delay_alu instid0(VALU_DEP_1) | instskip(NEXT) | instid1(VALU_DEP_2)
	v_dual_sub_f32 v26, v28, v32 :: v_dual_add_f32 v25, v25, v22
	v_exp_f32_e32 v16, v16
	s_delay_alu instid0(VALU_DEP_1) | instskip(NEXT) | instid1(VALU_DEP_1)
	v_add_f32_e32 v26, v26, v31
	v_exp_f32_e32 v26, v26
	s_waitcnt_depctr 0xfff
	v_ldexp_f32 v16, v16, v27
	v_cvt_i32_f32_e32 v27, v32
	s_delay_alu instid0(VALU_DEP_2) | instskip(SKIP_1) | instid1(VALU_DEP_3)
	v_dual_cndmask_b32 v16, 0, v16 :: v_dual_mul_f32 v23, v53, v23
	v_cmp_nlt_f32_e32 vcc_lo, 0x42b17218, v34
	v_ldexp_f32 v24, v26, v27
	s_delay_alu instid0(VALU_DEP_3) | instskip(SKIP_1) | instid1(VALU_DEP_2)
	v_dual_add_f32 v25, v25, v23 :: v_dual_cndmask_b32 v16, 0x7f800000, v16
	v_cmp_ngt_f32_e32 vcc_lo, 0xc2ce8ed0, v3
	v_dual_add_f32 v25, v25, v5 :: v_dual_cndmask_b32 v24, 0, v24
	v_cmp_lt_i32_e32 vcc_lo, 0x1a0, v15
	s_delay_alu instid0(VALU_DEP_2) | instskip(SKIP_2) | instid1(VALU_DEP_3)
	v_add_f32_e32 v25, v25, v4
	v_cndmask_b32_e32 v16, 0, v16, vcc_lo
	v_cmp_nlt_f32_e32 vcc_lo, 0x42b17218, v3
	v_add_f32_e32 v25, v25, v6
	s_waitcnt vmcnt(1)
	s_delay_alu instid0(VALU_DEP_3) | instskip(SKIP_1) | instid1(VALU_DEP_3)
	v_mul_f32_e32 v13, v13, v16
	v_cndmask_b32_e32 v3, 0x7f800000, v24, vcc_lo
	v_add_f32_e32 v25, v25, v7
	v_cmp_lt_i32_e32 vcc_lo, 0x1c0, v15
	s_delay_alu instid0(VALU_DEP_2) | instskip(NEXT) | instid1(VALU_DEP_1)
	v_dual_add_f32 v24, v25, v8 :: v_dual_cndmask_b32 v3, 0, v3
	v_add_f32_e32 v15, v24, v9
	s_waitcnt vmcnt(0)
	s_delay_alu instid0(VALU_DEP_1) | instskip(NEXT) | instid1(VALU_DEP_1)
	v_dual_mul_f32 v3, v14, v3 :: v_dual_add_f32 v14, v15, v13
	v_add_f32_e32 v14, v14, v3
	ds_bpermute_b32 v2, v2, v14
	s_waitcnt lgkmcnt(0)
	v_add_f32_e32 v2, v14, v2
	ds_bpermute_b32 v1, v1, v2
	s_waitcnt lgkmcnt(0)
	v_add_f32_e32 v1, v2, v1
	ds_bpermute_b32 v2, v10, v1
	v_lshlrev_b32_e32 v10, 2, v0
	ds_store_2addr_b32 v10, v17, v18 offset1:32
	s_waitcnt lgkmcnt(1)
	v_add_f32_e32 v1, v1, v2
	ds_bpermute_b32 v2, v11, v1
	v_add_nc_u32_e32 v11, 0x400, v10
	ds_store_2addr_b32 v10, v19, v20 offset0:64 offset1:96
	ds_store_2addr_b32 v10, v21, v22 offset0:128 offset1:160
	;; [unrolled: 1-line block ×3, first 2 shown]
	ds_store_2addr_b32 v11, v4, v6 offset1:32
	ds_store_2addr_b32 v11, v7, v8 offset0:64 offset1:96
	ds_store_2addr_b32 v11, v9, v13 offset0:128 offset1:160
	ds_store_b32 v10, v3 offset:1792
	s_waitcnt lgkmcnt(7)
	v_add_f32_e32 v1, v1, v2
	ds_bpermute_b32 v2, v12, v1
	v_cmpx_eq_u32_e32 0, v0
	s_cbranch_execz .LBB612_8
; %bb.7:
	s_waitcnt lgkmcnt(0)
	v_dual_add_f32 v1, v1, v2 :: v_dual_mov_b32 v2, 0
	ds_store_b32 v2, v1 offset:1920
.LBB612_8:
	s_or_b32 exec_lo, exec_lo, s7
	v_mov_b32_e32 v1, s6
.LBB612_9:
	s_or_b32 exec_lo, exec_lo, s24
	s_lshl_b32 s6, s18, 7
	s_mov_b32 s7, 0
	s_waitcnt lgkmcnt(0)
	v_dual_mov_b32 v2, 0 :: v_dual_lshlrev_b32 v1, 7, v1
	s_lshl_b64 s[6:7], s[6:7], 1
	v_dual_mov_b32 v31, 0 :: v_dual_mov_b32 v32, 0
	s_add_u32 s34, s4, s6
	s_addc_u32 s35, s5, s7
	s_lshl_b32 s41, s40, 7
	v_lshlrev_b64 v[3:4], 1, v[1:2]
	s_add_i32 s42, s41, 0xffffff80
	s_cmpk_lt_i32 s22, 0x100
	v_lshlrev_b32_e32 v1, 1, v0
	s_cselect_b32 s4, s42, 0
	v_dual_mov_b32 v33, 0 :: v_dual_mov_b32 v34, 0
	s_ashr_i32 s5, s4, 31
	v_add_co_u32 v3, vcc_lo, s34, v3
	s_lshl_b64 s[4:5], s[4:5], 1
	s_cmpk_lt_i32 s22, 0x200
	v_add_co_ci_u32_e32 v4, vcc_lo, s35, v4, vcc_lo
	s_cselect_b32 s6, s42, 0x80
	v_add_co_u32 v1, vcc_lo, v3, v1
	s_ashr_i32 s7, s6, 31
	s_delay_alu instid0(VALU_DEP_2)
	v_add_co_ci_u32_e32 v3, vcc_lo, 0, v4, vcc_lo
	s_lshl_b64 s[6:7], s[6:7], 1
	s_cmpk_lt_i32 s22, 0x300
	v_add_co_u32 v4, vcc_lo, v1, s4
	s_cselect_b32 s8, s42, 0x100
	v_add_co_ci_u32_e32 v5, vcc_lo, s5, v3, vcc_lo
	s_ashr_i32 s9, s8, 31
	v_add_co_u32 v6, vcc_lo, v1, s6
	s_lshl_b64 s[8:9], s[8:9], 1
	s_cmpk_lt_i32 s22, 0x400
	v_add_co_ci_u32_e32 v7, vcc_lo, s7, v3, vcc_lo
	s_cselect_b32 s10, s42, 0x180
	v_add_co_u32 v8, vcc_lo, v1, s8
	s_ashr_i32 s11, s10, 31
	v_add_co_ci_u32_e32 v9, vcc_lo, s9, v3, vcc_lo
	s_lshl_b64 s[10:11], s[10:11], 1
	s_cmpk_lt_i32 s22, 0x500
	v_add_co_u32 v11, vcc_lo, v1, s10
	s_cselect_b32 s18, s42, 0x200
	v_add_co_ci_u32_e32 v12, vcc_lo, s11, v3, vcc_lo
	s_ashr_i32 s19, s18, 31
	v_mov_b32_e32 v35, 0
	s_lshl_b64 s[18:19], s[18:19], 1
	s_cmpk_lt_i32 s22, 0x600
	v_add_co_u32 v14, vcc_lo, v1, s18
	s_cselect_b32 s20, s42, 0x280
	v_add_co_ci_u32_e32 v15, vcc_lo, s19, v3, vcc_lo
	s_ashr_i32 s21, s20, 31
	v_mov_b32_e32 v30, 0
	s_lshl_b64 s[20:21], s[20:21], 1
	s_cmpk_lt_i32 s22, 0x700
	v_add_co_u32 v16, vcc_lo, v1, s20
	s_cselect_b32 s24, s42, 0x300
	v_add_co_ci_u32_e32 v17, vcc_lo, s21, v3, vcc_lo
	s_ashr_i32 s25, s24, 31
	s_delay_alu instid0(SALU_CYCLE_1)
	s_lshl_b64 s[24:25], s[24:25], 1
	s_cmpk_lt_i32 s22, 0x800
	v_add_co_u32 v18, vcc_lo, v1, s24
	s_cselect_b32 s26, s42, 0x380
	v_add_co_ci_u32_e32 v19, vcc_lo, s25, v3, vcc_lo
	s_ashr_i32 s27, s26, 31
	s_delay_alu instid0(SALU_CYCLE_1)
	s_lshl_b64 s[26:27], s[26:27], 1
	s_cmpk_lt_i32 s22, 0x900
	v_add_co_u32 v20, vcc_lo, v1, s26
	s_cselect_b32 s28, s42, 0x400
	v_add_co_ci_u32_e32 v21, vcc_lo, s27, v3, vcc_lo
	s_ashr_i32 s29, s28, 31
	s_clause 0x7
	global_load_u16 v13, v[4:5], off
	global_load_u16 v4, v[6:7], off
	global_load_u16 v10, v[8:9], off
	global_load_u16 v9, v[11:12], off
	global_load_u16 v8, v[14:15], off
	global_load_u16 v7, v[16:17], off
	global_load_u16 v6, v[18:19], off
	global_load_u16 v5, v[20:21], off
	s_lshl_b64 s[28:29], s[28:29], 1
	s_cmpk_lt_i32 s22, 0xa00
	v_add_co_u32 v11, vcc_lo, v1, s28
	s_cselect_b32 s30, s42, 0x480
	v_add_co_ci_u32_e32 v12, vcc_lo, s29, v3, vcc_lo
	s_ashr_i32 s31, s30, 31
	s_delay_alu instid0(SALU_CYCLE_1)
	s_lshl_b64 s[30:31], s[30:31], 1
	s_cmpk_lt_i32 s22, 0xb00
	v_add_co_u32 v14, vcc_lo, v1, s30
	s_cselect_b32 s34, s42, 0x500
	v_add_co_ci_u32_e32 v15, vcc_lo, s31, v3, vcc_lo
	s_ashr_i32 s35, s34, 31
	s_delay_alu instid0(SALU_CYCLE_1)
	;; [unrolled: 7-line block ×7, first 2 shown]
	s_lshl_b64 s[4:5], s[6:7], 1
	s_cmpk_gt_i32 s23, 0x1000
	v_add_co_u32 v28, vcc_lo, v1, s4
	v_add_co_ci_u32_e32 v29, vcc_lo, s5, v3, vcc_lo
	s_clause 0x7
	global_load_u16 v19, v[11:12], off
	global_load_u16 v18, v[14:15], off
	;; [unrolled: 1-line block ×8, first 2 shown]
	v_dual_mov_b32 v20, 0 :: v_dual_mov_b32 v21, 0
	v_dual_mov_b32 v22, 0 :: v_dual_mov_b32 v23, 0
	;; [unrolled: 1-line block ×5, first 2 shown]
	s_cselect_b32 s6, -1, 0
	s_cmpk_lt_i32 s23, 0x1001
	s_waitcnt vmcnt(0)
	s_barrier
	buffer_gl0_inv
	s_cbranch_scc1 .LBB612_11
; %bb.10:
	s_cmpk_lt_i32 s22, 0x1100
	s_cselect_b32 s4, s42, 0x800
	s_delay_alu instid0(SALU_CYCLE_1) | instskip(NEXT) | instid1(SALU_CYCLE_1)
	s_ashr_i32 s5, s4, 31
	s_lshl_b64 s[4:5], s[4:5], 1
	s_cmpk_lt_i32 s22, 0x1200
	v_add_co_u32 v20, vcc_lo, v1, s4
	s_cselect_b32 s8, s42, 0x880
	v_add_co_ci_u32_e32 v21, vcc_lo, s5, v3, vcc_lo
	s_ashr_i32 s9, s8, 31
	s_delay_alu instid0(SALU_CYCLE_1)
	s_lshl_b64 s[8:9], s[8:9], 1
	s_cmpk_lt_i32 s22, 0x1300
	v_add_co_u32 v22, vcc_lo, v1, s8
	s_cselect_b32 s10, s42, 0x900
	v_add_co_ci_u32_e32 v23, vcc_lo, s9, v3, vcc_lo
	s_ashr_i32 s11, s10, 31
	s_delay_alu instid0(SALU_CYCLE_1)
	;; [unrolled: 7-line block ×14, first 2 shown]
	s_lshl_b64 s[4:5], s[18:19], 1
	s_cmpk_lt_i32 s22, 0x2000
	v_add_co_u32 v48, vcc_lo, v1, s4
	s_cselect_b32 s8, s42, 0xf80
	v_add_co_ci_u32_e32 v49, vcc_lo, s5, v3, vcc_lo
	s_ashr_i32 s9, s8, 31
	s_delay_alu instid0(SALU_CYCLE_1) | instskip(NEXT) | instid1(SALU_CYCLE_1)
	s_lshl_b64 s[4:5], s[8:9], 1
	v_add_co_u32 v50, vcc_lo, v1, s4
	v_add_co_ci_u32_e32 v51, vcc_lo, s5, v3, vcc_lo
	s_clause 0xf
	global_load_u16 v20, v[20:21], off
	global_load_u16 v21, v[22:23], off
	;; [unrolled: 1-line block ×16, first 2 shown]
	s_waitcnt vmcnt(15)
	v_lshlrev_b32_e32 v35, 16, v20
	s_waitcnt vmcnt(14)
	v_lshlrev_b32_e32 v34, 16, v21
	;; [unrolled: 2-line block ×16, first 2 shown]
.LBB612_11:
	ds_load_b128 v[36:39], v2
	ds_load_b128 v[40:43], v2 offset:16
	v_lshlrev_b32_e32 v44, 16, v4
	v_lshlrev_b32_e32 v13, 16, v13
	;; [unrolled: 1-line block ×5, first 2 shown]
	s_load_b64 s[0:1], s[0:1], 0x0
	s_and_b32 vcc_lo, exec_lo, s6
	v_lshlrev_b32_e32 v5, 16, v5
	s_waitcnt lgkmcnt(0)
	v_fma_f32 v4, v36, v13, 0
	s_delay_alu instid0(VALU_DEP_1) | instskip(NEXT) | instid1(VALU_DEP_1)
	v_dual_fmac_f32 v4, v37, v44 :: v_dual_lshlrev_b32 v13, 16, v7
	v_dual_fmac_f32 v4, v38, v10 :: v_dual_lshlrev_b32 v9, 16, v9
	s_delay_alu instid0(VALU_DEP_1) | instskip(SKIP_4) | instid1(VALU_DEP_1)
	v_fmac_f32_e32 v4, v39, v9
	ds_load_b128 v[36:39], v2 offset:48
	v_fmac_f32_e32 v4, v40, v8
	ds_load_b128 v[7:10], v2 offset:32
	v_fmac_f32_e32 v4, v41, v13
	v_fmac_f32_e32 v4, v42, v6
	v_lshlrev_b32_e32 v6, 16, v19
	s_delay_alu instid0(VALU_DEP_2) | instskip(SKIP_1) | instid1(VALU_DEP_1)
	v_dual_fmac_f32 v4, v43, v5 :: v_dual_lshlrev_b32 v5, 16, v18
	s_waitcnt lgkmcnt(0)
	v_fmac_f32_e32 v4, v7, v6
	v_lshlrev_b32_e32 v6, 16, v17
	s_delay_alu instid0(VALU_DEP_2) | instskip(NEXT) | instid1(VALU_DEP_1)
	v_dual_fmac_f32 v4, v8, v5 :: v_dual_lshlrev_b32 v5, 16, v16
	v_fmac_f32_e32 v4, v9, v6
	v_lshlrev_b32_e32 v6, 16, v15
	s_delay_alu instid0(VALU_DEP_2) | instskip(NEXT) | instid1(VALU_DEP_1)
	v_dual_fmac_f32 v4, v10, v5 :: v_dual_lshlrev_b32 v5, 16, v14
	;; [unrolled: 4-line block ×3, first 2 shown]
	v_fmac_f32_e32 v4, v38, v6
	s_delay_alu instid0(VALU_DEP_1)
	v_fmac_f32_e32 v4, v39, v5
	s_cbranch_vccz .LBB612_13
; %bb.12:
	ds_load_b128 v[5:8], v2 offset:64
	ds_load_b128 v[9:12], v2 offset:80
	s_waitcnt lgkmcnt(1)
	v_fmac_f32_e32 v4, v5, v35
	s_delay_alu instid0(VALU_DEP_1) | instskip(NEXT) | instid1(VALU_DEP_1)
	v_fmac_f32_e32 v4, v6, v34
	v_fmac_f32_e32 v4, v7, v33
	s_delay_alu instid0(VALU_DEP_1) | instskip(SKIP_3) | instid1(VALU_DEP_1)
	v_fmac_f32_e32 v4, v8, v32
	ds_load_b128 v[5:8], v2 offset:96
	s_waitcnt lgkmcnt(1)
	v_fmac_f32_e32 v4, v9, v31
	v_fmac_f32_e32 v4, v10, v30
	s_delay_alu instid0(VALU_DEP_1) | instskip(NEXT) | instid1(VALU_DEP_1)
	v_fmac_f32_e32 v4, v11, v29
	v_fmac_f32_e32 v4, v12, v28
	ds_load_b128 v[9:12], v2 offset:112
	s_waitcnt lgkmcnt(1)
	v_fmac_f32_e32 v4, v5, v27
	s_delay_alu instid0(VALU_DEP_1) | instskip(NEXT) | instid1(VALU_DEP_1)
	v_fmac_f32_e32 v4, v6, v26
	v_fmac_f32_e32 v4, v7, v25
	s_delay_alu instid0(VALU_DEP_1) | instskip(SKIP_1) | instid1(VALU_DEP_1)
	v_fmac_f32_e32 v4, v8, v24
	s_waitcnt lgkmcnt(0)
	v_fmac_f32_e32 v4, v9, v23
	s_delay_alu instid0(VALU_DEP_1) | instskip(NEXT) | instid1(VALU_DEP_1)
	v_fmac_f32_e32 v4, v10, v22
	v_fmac_f32_e32 v4, v11, v21
	s_delay_alu instid0(VALU_DEP_1)
	v_fmac_f32_e32 v4, v12, v20
.LBB612_13:
	s_movk_i32 s43, 0x1f80
	s_movk_i32 s44, 0x80
	s_mov_b32 s45, 32
	s_branch .LBB612_15
.LBB612_14:                             ;   in Loop: Header=BB612_15 Depth=1
	s_addk_i32 s43, 0x1000
	s_addk_i32 s44, 0x80
	s_add_i32 s45, s45, 32
	s_cmpk_eq_u32 s43, 0xff80
	s_cbranch_scc1 .LBB612_17
.LBB612_15:                             ; =>This Inner Loop Header: Depth=1
	s_cmp_le_i32 s40, s45
	s_cbranch_scc1 .LBB612_14
; %bb.16:                               ;   in Loop: Header=BB612_15 Depth=1
	s_add_i32 s4, s43, 0xfffff080
	v_mov_b32_e32 v44, s44
	s_cmp_lt_i32 s4, s41
	s_cselect_b32 s4, s4, s42
	s_add_i32 s6, s43, 0xfffff100
	s_ashr_i32 s5, s4, 31
	s_delay_alu instid0(SALU_CYCLE_1)
	s_lshl_b64 s[38:39], s[4:5], 1
	s_cmp_lt_i32 s6, s41
	v_add_co_u32 v5, vcc_lo, v1, s38
	s_cselect_b32 s4, s6, s42
	s_add_i32 s6, s43, 0xfffff180
	s_ashr_i32 s5, s4, 31
	v_add_co_ci_u32_e32 v6, vcc_lo, s39, v3, vcc_lo
	s_lshl_b64 s[4:5], s[4:5], 1
	s_cmp_lt_i32 s6, s41
	s_cselect_b32 s6, s6, s42
	s_add_i32 s8, s43, 0xfffff200
	s_ashr_i32 s7, s6, 31
	global_load_u16 v2, v[5:6], off
	s_lshl_b64 s[6:7], s[6:7], 1
	s_cmp_lt_i32 s8, s41
	v_add_co_u32 v5, vcc_lo, v1, s4
	s_cselect_b32 s8, s8, s42
	s_add_i32 s10, s43, 0xfffff280
	s_ashr_i32 s9, s8, 31
	v_add_co_ci_u32_e32 v6, vcc_lo, s5, v3, vcc_lo
	s_lshl_b64 s[8:9], s[8:9], 1
	s_cmp_lt_i32 s10, s41
	v_add_co_u32 v7, vcc_lo, v1, s6
	s_cselect_b32 s10, s10, s42
	s_add_i32 s18, s43, 0xfffff300
	s_ashr_i32 s11, s10, 31
	v_add_co_ci_u32_e32 v8, vcc_lo, s7, v3, vcc_lo
	s_lshl_b64 s[10:11], s[10:11], 1
	s_cmp_lt_i32 s18, s41
	v_add_co_u32 v9, vcc_lo, v1, s8
	s_cselect_b32 s18, s18, s42
	s_add_i32 s20, s43, 0xfffff380
	s_ashr_i32 s19, s18, 31
	s_clause 0x1
	global_load_u16 v23, v[5:6], off
	global_load_u16 v24, v[7:8], off
	s_lshl_b64 s[18:19], s[18:19], 1
	s_cmp_lt_i32 s20, s41
	v_add_co_ci_u32_e32 v10, vcc_lo, s9, v3, vcc_lo
	s_cselect_b32 s20, s20, s42
	s_add_i32 s22, s43, 0xfffff400
	s_ashr_i32 s21, s20, 31
	global_load_u16 v25, v[9:10], off
	s_lshl_b64 s[20:21], s[20:21], 1
	s_cmp_lt_i32 s22, s41
	v_add_co_u32 v11, vcc_lo, v1, s10
	s_cselect_b32 s22, s22, s42
	s_add_i32 s24, s43, 0xfffff480
	s_ashr_i32 s23, s22, 31
	v_add_co_ci_u32_e32 v12, vcc_lo, s11, v3, vcc_lo
	s_lshl_b64 s[22:23], s[22:23], 1
	s_cmp_lt_i32 s24, s41
	v_add_co_u32 v13, vcc_lo, v1, s18
	global_load_u16 v26, v[11:12], off
	s_cselect_b32 s24, s24, s42
	s_add_i32 s26, s43, 0xfffff500
	s_ashr_i32 s25, s24, 31
	v_add_co_ci_u32_e32 v14, vcc_lo, s19, v3, vcc_lo
	s_lshl_b64 s[24:25], s[24:25], 1
	s_cmp_lt_i32 s26, s41
	v_add_co_u32 v15, vcc_lo, v1, s20
	global_load_u16 v27, v[13:14], off
	s_cselect_b32 s26, s26, s42
	s_add_i32 s28, s43, 0xfffff580
	s_ashr_i32 s27, s26, 31
	v_add_co_ci_u32_e32 v16, vcc_lo, s21, v3, vcc_lo
	s_lshl_b64 s[36:37], s[26:27], 1
	s_cmp_lt_i32 s28, s41
	v_add_co_u32 v17, vcc_lo, v1, s22
	s_cselect_b32 s26, s28, s42
	s_add_i32 s30, s43, 0xfffff600
	s_ashr_i32 s27, s26, 31
	v_add_co_ci_u32_e32 v18, vcc_lo, s23, v3, vcc_lo
	s_lshl_b64 s[28:29], s[26:27], 1
	s_cmp_lt_i32 s30, s41
	v_add_co_u32 v19, vcc_lo, v1, s24
	global_load_u16 v17, v[17:18], off
	s_cselect_b32 s26, s30, s42
	s_add_i32 s30, s43, 0xfffff680
	s_ashr_i32 s27, s26, 31
	v_add_co_ci_u32_e32 v20, vcc_lo, s25, v3, vcc_lo
	s_lshl_b64 s[26:27], s[26:27], 1
	s_cmp_lt_i32 s30, s41
	v_add_co_u32 v21, vcc_lo, v1, s36
	s_cselect_b32 s30, s30, s42
	s_add_i32 s46, s43, 0xfffff700
	s_ashr_i32 s31, s30, 31
	v_add_co_ci_u32_e32 v22, vcc_lo, s37, v3, vcc_lo
	s_lshl_b64 s[34:35], s[30:31], 1
	s_cmp_lt_i32 s46, s41
	v_add_co_u32 v5, vcc_lo, v1, s28
	;; [unrolled: 7-line block ×3, first 2 shown]
	s_cselect_b32 s46, s46, s42
	s_add_i32 s48, s43, 0xfffff800
	s_ashr_i32 s47, s46, 31
	global_load_u16 v28, v[15:16], off
	s_lshl_b64 s[38:39], s[46:47], 1
	s_cmp_lt_i32 s48, s41
	v_add_co_ci_u32_e32 v8, vcc_lo, s27, v3, vcc_lo
	s_cselect_b32 s46, s48, s42
	v_add_co_u32 v9, vcc_lo, v1, s34
	s_ashr_i32 s47, s46, 31
	s_add_i32 s4, s43, 0xfffff880
	s_lshl_b64 s[46:47], s[46:47], 1
	v_add_co_ci_u32_e32 v10, vcc_lo, s35, v3, vcc_lo
	s_cmp_lt_i32 s4, s41
	v_add_co_u32 v11, vcc_lo, v1, s30
	s_cselect_b32 s4, s4, s42
	v_add_co_ci_u32_e32 v12, vcc_lo, s31, v3, vcc_lo
	v_add_co_u32 v13, vcc_lo, v1, s38
	s_ashr_i32 s5, s4, 31
	s_add_i32 s6, s43, 0xfffff900
	v_add_co_ci_u32_e32 v14, vcc_lo, s39, v3, vcc_lo
	global_load_u16 v18, v[19:20], off
	s_lshl_b64 s[8:9], s[4:5], 1
	s_cmp_lt_i32 s6, s41
	global_load_u16 v30, v[13:14], off
	s_cselect_b32 s4, s6, s42
	global_load_u16 v19, v[21:22], off
	s_ashr_i32 s5, s4, 31
	s_add_i32 s6, s43, 0xfffff980
	s_lshl_b64 s[10:11], s[4:5], 1
	s_cmp_lt_i32 s6, s41
	s_clause 0x3
	global_load_u16 v20, v[5:6], off
	global_load_u16 v21, v[7:8], off
	global_load_u16 v22, v[9:10], off
	global_load_u16 v29, v[11:12], off
	s_cselect_b32 s4, s6, s42
	s_add_i32 s6, s43, 0xfffffa00
	s_ashr_i32 s5, s4, 31
	v_add_co_u32 v15, vcc_lo, v1, s46
	s_lshl_b64 s[4:5], s[4:5], 1
	s_cmp_lt_i32 s6, s41
	v_add_co_ci_u32_e32 v16, vcc_lo, s47, v3, vcc_lo
	s_cselect_b32 s6, s6, s42
	s_add_i32 s18, s43, 0xfffffa80
	s_ashr_i32 s7, s6, 31
	v_add_co_u32 v5, vcc_lo, v1, s8
	s_lshl_b64 s[6:7], s[6:7], 1
	s_cmp_lt_i32 s18, s41
	v_add_co_ci_u32_e32 v6, vcc_lo, s9, v3, vcc_lo
	s_cselect_b32 s18, s18, s42
	v_add_co_u32 v7, vcc_lo, v1, s10
	s_ashr_i32 s19, s18, 31
	s_add_i32 s20, s43, 0xfffffb00
	s_lshl_b64 s[18:19], s[18:19], 1
	v_add_co_ci_u32_e32 v8, vcc_lo, s11, v3, vcc_lo
	s_cmp_lt_i32 s20, s41
	v_add_co_u32 v9, vcc_lo, v1, s4
	s_cselect_b32 s20, s20, s42
	v_add_co_ci_u32_e32 v10, vcc_lo, s5, v3, vcc_lo
	v_add_co_u32 v11, vcc_lo, v1, s6
	s_ashr_i32 s21, s20, 31
	s_add_i32 s22, s43, 0xfffffb80
	v_add_co_ci_u32_e32 v12, vcc_lo, s7, v3, vcc_lo
	global_load_u16 v15, v[15:16], off
	s_lshl_b64 s[20:21], s[20:21], 1
	s_cmp_lt_i32 s22, s41
	global_load_u16 v33, v[11:12], off
	s_cselect_b32 s22, s22, s42
	s_clause 0x2
	global_load_u16 v16, v[5:6], off
	global_load_u16 v31, v[7:8], off
	;; [unrolled: 1-line block ×3, first 2 shown]
	s_ashr_i32 s23, s22, 31
	s_add_i32 s24, s43, 0xfffffc00
	s_lshl_b64 s[22:23], s[22:23], 1
	s_cmp_lt_i32 s24, s41
	v_add_co_u32 v13, vcc_lo, v1, s18
	s_cselect_b32 s24, s24, s42
	s_add_i32 s26, s43, 0xfffffc80
	s_ashr_i32 s25, s24, 31
	v_add_co_ci_u32_e32 v14, vcc_lo, s19, v3, vcc_lo
	s_lshl_b64 s[24:25], s[24:25], 1
	s_cmp_lt_i32 s26, s41
	v_add_co_u32 v5, vcc_lo, v1, s20
	s_cselect_b32 s8, s26, s42
	v_add_co_ci_u32_e32 v6, vcc_lo, s21, v3, vcc_lo
	s_ashr_i32 s9, s8, 31
	v_add_co_u32 v7, vcc_lo, v1, s22
	s_add_i32 s10, s43, 0xfffffd00
	s_lshl_b64 s[8:9], s[8:9], 1
	v_add_co_ci_u32_e32 v8, vcc_lo, s23, v3, vcc_lo
	s_cmp_lt_i32 s10, s41
	v_add_co_u32 v9, vcc_lo, v1, s24
	s_cselect_b32 s4, s10, s42
	global_load_u16 v13, v[13:14], off
	v_add_co_ci_u32_e32 v10, vcc_lo, s25, v3, vcc_lo
	s_ashr_i32 s5, s4, 31
	s_add_i32 s6, s43, 0xfffffd80
	s_lshl_b64 s[4:5], s[4:5], 1
	global_load_u16 v35, v[9:10], off
	s_cmp_lt_i32 s6, s41
	s_clause 0x1
	global_load_u16 v14, v[5:6], off
	global_load_u16 v34, v[7:8], off
	s_cselect_b32 s6, s6, s42
	s_add_i32 s10, s43, 0xfffffe00
	s_ashr_i32 s7, s6, 31
	v_add_co_u32 v5, vcc_lo, v1, s8
	s_lshl_b64 s[6:7], s[6:7], 1
	s_cmp_lt_i32 s10, s41
	v_add_co_ci_u32_e32 v6, vcc_lo, s9, v3, vcc_lo
	s_cselect_b32 s10, s10, s42
	v_add_co_u32 v7, vcc_lo, v1, s4
	s_ashr_i32 s11, s10, 31
	v_add_co_ci_u32_e32 v8, vcc_lo, s5, v3, vcc_lo
	s_add_i32 s18, s43, 0xfffffe80
	s_lshl_b64 s[10:11], s[10:11], 1
	s_cmp_lt_i32 s18, s41
	s_clause 0x1
	global_load_u16 v36, v[5:6], off
	global_load_u16 v37, v[7:8], off
	s_cselect_b32 s18, s18, s42
	v_add_co_u32 v5, vcc_lo, v1, s6
	s_ashr_i32 s19, s18, 31
	v_add_co_ci_u32_e32 v6, vcc_lo, s7, v3, vcc_lo
	s_add_i32 s20, s43, 0xffffff00
	v_add_co_u32 v7, vcc_lo, v1, s10
	s_lshl_b64 s[8:9], s[18:19], 1
	s_cmp_lt_i32 s20, s41
	v_add_co_ci_u32_e32 v8, vcc_lo, s11, v3, vcc_lo
	s_cselect_b32 s4, s20, s42
	global_load_u16 v38, v[5:6], off
	s_ashr_i32 s5, s4, 31
	global_load_u16 v39, v[7:8], off
	s_add_i32 s18, s43, 0xffffff80
	v_add_co_u32 v5, vcc_lo, v1, s8
	s_lshl_b64 s[4:5], s[4:5], 1
	s_cmp_lt_i32 s18, s41
	v_add_co_ci_u32_e32 v6, vcc_lo, s9, v3, vcc_lo
	v_add_co_u32 v7, vcc_lo, v1, s4
	s_cselect_b32 s6, s18, s42
	v_add_co_ci_u32_e32 v8, vcc_lo, s5, v3, vcc_lo
	s_ashr_i32 s7, s6, 31
	global_load_u16 v40, v[5:6], off
	s_lshl_b64 s[6:7], s[6:7], 1
	global_load_u16 v41, v[7:8], off
	s_cmp_lt_i32 s43, s41
	v_add_co_u32 v5, vcc_lo, v1, s6
	s_cselect_b32 s4, s43, s42
	v_add_co_ci_u32_e32 v6, vcc_lo, s7, v3, vcc_lo
	s_ashr_i32 s5, s4, 31
	s_delay_alu instid0(SALU_CYCLE_1)
	s_lshl_b64 s[4:5], s[4:5], 1
	global_load_u16 v42, v[5:6], off
	v_add_co_u32 v5, vcc_lo, v1, s4
	v_add_co_ci_u32_e32 v6, vcc_lo, s5, v3, vcc_lo
	global_load_u16 v43, v[5:6], off
	ds_load_b128 v[5:8], v44
	ds_load_b128 v[9:12], v44 offset:16
	s_waitcnt vmcnt(31)
	v_lshlrev_b32_e32 v2, 16, v2
	s_waitcnt lgkmcnt(1)
	s_delay_alu instid0(VALU_DEP_1) | instskip(SKIP_2) | instid1(VALU_DEP_1)
	v_fmac_f32_e32 v4, v5, v2
	s_waitcnt vmcnt(30)
	v_lshlrev_b32_e32 v2, 16, v23
	v_fmac_f32_e32 v4, v6, v2
	s_waitcnt vmcnt(29)
	v_lshlrev_b32_e32 v2, 16, v24
	s_delay_alu instid0(VALU_DEP_1) | instskip(SKIP_2) | instid1(VALU_DEP_1)
	v_fmac_f32_e32 v4, v7, v2
	s_waitcnt vmcnt(28)
	v_lshlrev_b32_e32 v2, 16, v25
	v_fmac_f32_e32 v4, v8, v2
	ds_load_b128 v[5:8], v44 offset:32
	s_waitcnt vmcnt(27)
	v_lshlrev_b32_e32 v2, 16, v26
	s_waitcnt lgkmcnt(1)
	s_delay_alu instid0(VALU_DEP_1) | instskip(SKIP_2) | instid1(VALU_DEP_1)
	v_fmac_f32_e32 v4, v9, v2
	s_waitcnt vmcnt(26)
	v_lshlrev_b32_e32 v2, 16, v27
	v_fmac_f32_e32 v4, v10, v2
	s_waitcnt vmcnt(24)
	v_lshlrev_b32_e32 v2, 16, v28
	s_delay_alu instid0(VALU_DEP_1) | instskip(SKIP_1) | instid1(VALU_DEP_1)
	v_fmac_f32_e32 v4, v11, v2
	v_lshlrev_b32_e32 v2, 16, v17
	v_fmac_f32_e32 v4, v12, v2
	ds_load_b128 v[9:12], v44 offset:48
	s_waitcnt vmcnt(23)
	v_lshlrev_b32_e32 v2, 16, v18
	s_waitcnt lgkmcnt(1)
	s_delay_alu instid0(VALU_DEP_1) | instskip(SKIP_2) | instid1(VALU_DEP_1)
	v_fmac_f32_e32 v4, v5, v2
	s_waitcnt vmcnt(21)
	v_lshlrev_b32_e32 v2, 16, v19
	v_fmac_f32_e32 v4, v6, v2
	s_waitcnt vmcnt(20)
	v_lshlrev_b32_e32 v2, 16, v20
	s_delay_alu instid0(VALU_DEP_1) | instskip(SKIP_2) | instid1(VALU_DEP_1)
	v_fmac_f32_e32 v4, v7, v2
	s_waitcnt vmcnt(19)
	v_lshlrev_b32_e32 v2, 16, v21
	v_fmac_f32_e32 v4, v8, v2
	s_waitcnt vmcnt(18)
	v_lshlrev_b32_e32 v2, 16, v22
	ds_load_b128 v[5:8], v44 offset:64
	s_waitcnt lgkmcnt(1)
	v_fmac_f32_e32 v4, v9, v2
	s_waitcnt vmcnt(17)
	v_lshlrev_b32_e32 v2, 16, v29
	s_delay_alu instid0(VALU_DEP_1) | instskip(SKIP_1) | instid1(VALU_DEP_1)
	v_fmac_f32_e32 v4, v10, v2
	v_lshlrev_b32_e32 v2, 16, v30
	v_fmac_f32_e32 v4, v11, v2
	s_waitcnt vmcnt(16)
	v_lshlrev_b32_e32 v2, 16, v15
	s_delay_alu instid0(VALU_DEP_1) | instskip(SKIP_4) | instid1(VALU_DEP_1)
	v_fmac_f32_e32 v4, v12, v2
	ds_load_b128 v[9:12], v44 offset:80
	s_waitcnt vmcnt(14)
	v_lshlrev_b32_e32 v2, 16, v16
	s_waitcnt lgkmcnt(1)
	v_fmac_f32_e32 v4, v5, v2
	s_waitcnt vmcnt(13)
	v_lshlrev_b32_e32 v2, 16, v31
	s_delay_alu instid0(VALU_DEP_1) | instskip(SKIP_2) | instid1(VALU_DEP_1)
	v_fmac_f32_e32 v4, v6, v2
	s_waitcnt vmcnt(12)
	v_lshlrev_b32_e32 v2, 16, v32
	v_fmac_f32_e32 v4, v7, v2
	v_lshlrev_b32_e32 v2, 16, v33
	s_delay_alu instid0(VALU_DEP_1) | instskip(SKIP_4) | instid1(VALU_DEP_1)
	v_fmac_f32_e32 v4, v8, v2
	ds_load_b128 v[5:8], v44 offset:96
	s_waitcnt vmcnt(11)
	v_lshlrev_b32_e32 v2, 16, v13
	s_waitcnt lgkmcnt(1)
	v_fmac_f32_e32 v4, v9, v2
	s_waitcnt vmcnt(9)
	v_lshlrev_b32_e32 v2, 16, v14
	s_delay_alu instid0(VALU_DEP_1) | instskip(SKIP_2) | instid1(VALU_DEP_1)
	v_fmac_f32_e32 v4, v10, v2
	s_waitcnt vmcnt(8)
	v_lshlrev_b32_e32 v2, 16, v34
	v_fmac_f32_e32 v4, v11, v2
	;; [unrolled: 15-line block ×3, first 2 shown]
	s_waitcnt vmcnt(4)
	v_lshlrev_b32_e32 v2, 16, v39
	s_delay_alu instid0(VALU_DEP_1) | instskip(SKIP_3) | instid1(VALU_DEP_1)
	v_fmac_f32_e32 v4, v8, v2
	s_waitcnt vmcnt(3)
	v_lshlrev_b32_e32 v2, 16, v40
	s_waitcnt lgkmcnt(0)
	v_fmac_f32_e32 v4, v9, v2
	s_waitcnt vmcnt(2)
	v_lshlrev_b32_e32 v2, 16, v41
	s_delay_alu instid0(VALU_DEP_1) | instskip(SKIP_2) | instid1(VALU_DEP_1)
	v_fmac_f32_e32 v4, v10, v2
	s_waitcnt vmcnt(1)
	v_lshlrev_b32_e32 v2, 16, v42
	v_fmac_f32_e32 v4, v11, v2
	s_waitcnt vmcnt(0)
	v_lshlrev_b32_e32 v2, 16, v43
	s_delay_alu instid0(VALU_DEP_1)
	v_fmac_f32_e32 v4, v12, v2
	s_branch .LBB612_14
.LBB612_17:
	v_mov_b32_e32 v1, 0
	s_and_b32 vcc_lo, exec_lo, s15
	ds_load_b32 v1, v1 offset:1920
	s_cbranch_vccz .LBB612_19
; %bb.18:
	s_add_u32 s2, s12, s16
	s_addc_u32 s3, s13, s17
	s_load_b32 s2, s[2:3], 0x0
	s_mov_b32 s3, 0
.LBB612_19:
	s_waitcnt lgkmcnt(0)
	v_add_f32_e32 v1, 0x358637bd, v1
	s_delay_alu instid0(VALU_DEP_1) | instskip(NEXT) | instid1(VALU_DEP_1)
	v_div_scale_f32 v2, null, v1, v1, 1.0
	v_rcp_f32_e32 v3, v2
	s_waitcnt_depctr 0xfff
	v_fma_f32 v5, -v2, v3, 1.0
	s_delay_alu instid0(VALU_DEP_1) | instskip(SKIP_1) | instid1(VALU_DEP_1)
	v_fmac_f32_e32 v3, v5, v3
	v_div_scale_f32 v5, vcc_lo, 1.0, v1, 1.0
	v_mul_f32_e32 v6, v5, v3
	s_delay_alu instid0(VALU_DEP_1) | instskip(NEXT) | instid1(VALU_DEP_1)
	v_fma_f32 v7, -v2, v6, v5
	v_fmac_f32_e32 v6, v7, v3
	s_delay_alu instid0(VALU_DEP_1) | instskip(NEXT) | instid1(VALU_DEP_1)
	v_fma_f32 v2, -v2, v6, v5
	v_div_fmas_f32 v2, v2, v3, v6
	s_delay_alu instid0(VALU_DEP_1) | instskip(NEXT) | instid1(VALU_DEP_1)
	v_div_fixup_f32 v1, v2, v1, 1.0
	v_mul_f32_e32 v2, v4, v1
	s_delay_alu instid0(VALU_DEP_1) | instskip(NEXT) | instid1(VALU_DEP_1)
	v_and_b32_e32 v1, 0x7f800000, v2
	v_cmp_ne_u32_e32 vcc_lo, 0x7f800000, v1
                                        ; implicit-def: $vgpr1
	s_and_saveexec_b32 s4, vcc_lo
	s_delay_alu instid0(SALU_CYCLE_1)
	s_xor_b32 s4, exec_lo, s4
; %bb.20:
	v_bfe_u32 v1, v2, 16, 1
	s_delay_alu instid0(VALU_DEP_1)
	v_add3_u32 v1, v2, v1, 0x7fff
                                        ; implicit-def: $vgpr2
; %bb.21:
	s_and_not1_saveexec_b32 s4, s4
; %bb.22:
	v_and_b32_e32 v1, 0xffff, v2
	v_or_b32_e32 v3, 0x10000, v2
	s_delay_alu instid0(VALU_DEP_2) | instskip(NEXT) | instid1(VALU_DEP_2)
	v_cmp_eq_u32_e32 vcc_lo, 0, v1
	v_cndmask_b32_e32 v1, v3, v2, vcc_lo
; %bb.23:
	s_or_b32 exec_lo, exec_lo, s4
	s_mul_i32 s3, s33, s3
	s_mul_hi_u32 s4, s33, s2
	s_mul_i32 s2, s33, s2
	s_add_i32 s3, s4, s3
	s_mov_b32 s15, 0
	s_lshl_b64 s[2:3], s[2:3], 7
	v_and_b32_e32 v1, 0xffff0000, v1
	s_add_u32 s2, s0, s2
	s_addc_u32 s3, s1, s3
	s_lshl_b64 s[0:1], s[14:15], 7
	s_delay_alu instid0(SALU_CYCLE_1)
	s_add_u32 s0, s2, s0
	s_addc_u32 s1, s3, s1
	v_add_co_u32 v0, s0, s0, v0
	v_cvt_i32_f32_e32 v2, v1
	v_add_co_ci_u32_e64 v1, null, s1, 0, s0
	global_store_b8 v[0:1], v2, off
	s_nop 0
	s_sendmsg sendmsg(MSG_DEALLOC_VGPRS)
	s_endpgm
.LBB612_24:
	s_mov_b32 s4, 0
	s_branch .LBB612_2
	.section	.rodata,"a",@progbits
	.p2align	6, 0x0
	.amdhsa_kernel _Z35paged_attention_ll4mi_reduce_kernelI14__hip_bfloat16hLi128ELi128ELi256ELi15EEvPT0_PKfS4_PKT_PKiS9_iS4_
		.amdhsa_group_segment_fixed_size 1924
		.amdhsa_private_segment_fixed_size 0
		.amdhsa_kernarg_size 320
		.amdhsa_user_sgpr_count 14
		.amdhsa_user_sgpr_dispatch_ptr 0
		.amdhsa_user_sgpr_queue_ptr 0
		.amdhsa_user_sgpr_kernarg_segment_ptr 1
		.amdhsa_user_sgpr_dispatch_id 0
		.amdhsa_user_sgpr_private_segment_size 0
		.amdhsa_wavefront_size32 1
		.amdhsa_uses_dynamic_stack 0
		.amdhsa_enable_private_segment 0
		.amdhsa_system_sgpr_workgroup_id_x 1
		.amdhsa_system_sgpr_workgroup_id_y 1
		.amdhsa_system_sgpr_workgroup_id_z 0
		.amdhsa_system_sgpr_workgroup_info 0
		.amdhsa_system_vgpr_workitem_id 0
		.amdhsa_next_free_vgpr 77
		.amdhsa_next_free_sgpr 49
		.amdhsa_reserve_vcc 1
		.amdhsa_float_round_mode_32 0
		.amdhsa_float_round_mode_16_64 0
		.amdhsa_float_denorm_mode_32 3
		.amdhsa_float_denorm_mode_16_64 3
		.amdhsa_dx10_clamp 1
		.amdhsa_ieee_mode 1
		.amdhsa_fp16_overflow 0
		.amdhsa_workgroup_processor_mode 1
		.amdhsa_memory_ordered 1
		.amdhsa_forward_progress 0
		.amdhsa_shared_vgpr_count 0
		.amdhsa_exception_fp_ieee_invalid_op 0
		.amdhsa_exception_fp_denorm_src 0
		.amdhsa_exception_fp_ieee_div_zero 0
		.amdhsa_exception_fp_ieee_overflow 0
		.amdhsa_exception_fp_ieee_underflow 0
		.amdhsa_exception_fp_ieee_inexact 0
		.amdhsa_exception_int_div_zero 0
	.end_amdhsa_kernel
	.section	.text._Z35paged_attention_ll4mi_reduce_kernelI14__hip_bfloat16hLi128ELi128ELi256ELi15EEvPT0_PKfS4_PKT_PKiS9_iS4_,"axG",@progbits,_Z35paged_attention_ll4mi_reduce_kernelI14__hip_bfloat16hLi128ELi128ELi256ELi15EEvPT0_PKfS4_PKT_PKiS9_iS4_,comdat
.Lfunc_end612:
	.size	_Z35paged_attention_ll4mi_reduce_kernelI14__hip_bfloat16hLi128ELi128ELi256ELi15EEvPT0_PKfS4_PKT_PKiS9_iS4_, .Lfunc_end612-_Z35paged_attention_ll4mi_reduce_kernelI14__hip_bfloat16hLi128ELi128ELi256ELi15EEvPT0_PKfS4_PKT_PKiS9_iS4_
                                        ; -- End function
	.section	.AMDGPU.csdata,"",@progbits
; Kernel info:
; codeLenInByte = 8080
; NumSgprs: 51
; NumVgprs: 77
; ScratchSize: 0
; MemoryBound: 0
; FloatMode: 240
; IeeeMode: 1
; LDSByteSize: 1924 bytes/workgroup (compile time only)
; SGPRBlocks: 6
; VGPRBlocks: 9
; NumSGPRsForWavesPerEU: 51
; NumVGPRsForWavesPerEU: 77
; Occupancy: 16
; WaveLimiterHint : 0
; COMPUTE_PGM_RSRC2:SCRATCH_EN: 0
; COMPUTE_PGM_RSRC2:USER_SGPR: 14
; COMPUTE_PGM_RSRC2:TRAP_HANDLER: 0
; COMPUTE_PGM_RSRC2:TGID_X_EN: 1
; COMPUTE_PGM_RSRC2:TGID_Y_EN: 1
; COMPUTE_PGM_RSRC2:TGID_Z_EN: 0
; COMPUTE_PGM_RSRC2:TIDIG_COMP_CNT: 0
	.section	.text._Z35paged_attention_ll4mi_reduce_kernelI14__hip_bfloat16hLi128ELi128ELi256ELi16EEvPT0_PKfS4_PKT_PKiS9_iS4_,"axG",@progbits,_Z35paged_attention_ll4mi_reduce_kernelI14__hip_bfloat16hLi128ELi128ELi256ELi16EEvPT0_PKfS4_PKT_PKiS9_iS4_,comdat
	.protected	_Z35paged_attention_ll4mi_reduce_kernelI14__hip_bfloat16hLi128ELi128ELi256ELi16EEvPT0_PKfS4_PKT_PKiS9_iS4_ ; -- Begin function _Z35paged_attention_ll4mi_reduce_kernelI14__hip_bfloat16hLi128ELi128ELi256ELi16EEvPT0_PKfS4_PKT_PKiS9_iS4_
	.globl	_Z35paged_attention_ll4mi_reduce_kernelI14__hip_bfloat16hLi128ELi128ELi256ELi16EEvPT0_PKfS4_PKT_PKiS9_iS4_
	.p2align	8
	.type	_Z35paged_attention_ll4mi_reduce_kernelI14__hip_bfloat16hLi128ELi128ELi256ELi16EEvPT0_PKfS4_PKT_PKiS9_iS4_,@function
_Z35paged_attention_ll4mi_reduce_kernelI14__hip_bfloat16hLi128ELi128ELi256ELi16EEvPT0_PKfS4_PKT_PKiS9_iS4_: ; @_Z35paged_attention_ll4mi_reduce_kernelI14__hip_bfloat16hLi128ELi128ELi256ELi16EEvPT0_PKfS4_PKT_PKiS9_iS4_
; %bb.0:
	s_load_b64 s[12:13], s[0:1], 0x28
	s_mov_b32 s2, s15
	s_waitcnt lgkmcnt(0)
	s_cmp_lg_u64 s[12:13], 0
	s_cselect_b32 s15, -1, 0
	s_delay_alu instid0(SALU_CYCLE_1)
	s_and_b32 vcc_lo, exec_lo, s15
	s_cbranch_vccz .LBB613_24
; %bb.1:
	s_add_i32 s4, s2, 1
	s_mov_b32 s5, 0
	s_delay_alu instid0(SALU_CYCLE_1) | instskip(SKIP_4) | instid1(SALU_CYCLE_1)
	s_lshl_b64 s[6:7], s[4:5], 2
	s_mov_b32 s3, s5
	s_add_u32 s6, s12, s6
	s_addc_u32 s7, s13, s7
	s_lshl_b64 s[8:9], s[2:3], 2
	s_add_u32 s8, s12, s8
	s_addc_u32 s9, s13, s9
	s_clause 0x1
	s_load_b32 s4, s[6:7], 0x0
	s_load_b32 s6, s[8:9], 0x0
	s_waitcnt lgkmcnt(0)
	s_sub_i32 s4, s4, s6
	s_delay_alu instid0(SALU_CYCLE_1)
	s_cmp_eq_u32 s4, 1
	s_cselect_b32 s4, -1, 0
	s_cbranch_execnz .LBB613_3
.LBB613_2:
	s_mov_b32 s3, 0
	s_mov_b32 s4, -1
.LBB613_3:
	s_delay_alu instid0(SALU_CYCLE_1)
	s_and_not1_b32 vcc_lo, exec_lo, s4
	s_cbranch_vccz .LBB613_5
; %bb.4:
	s_endpgm
.LBB613_5:
	s_clause 0x1
	s_load_b128 s[4:7], s[0:1], 0x18
	s_load_b32 s9, s[0:1], 0x30
	s_lshl_b64 s[16:17], s[2:3], 2
	s_waitcnt lgkmcnt(0)
	s_add_u32 s6, s6, s16
	s_addc_u32 s7, s7, s17
	s_load_b32 s23, s[6:7], 0x0
	s_load_b32 s33, s[0:1], 0x40
	s_mul_i32 s7, s2, s9
	s_waitcnt lgkmcnt(0)
	s_add_i32 s22, s23, 0xff
	s_delay_alu instid0(SALU_CYCLE_1) | instskip(NEXT) | instid1(SALU_CYCLE_1)
	s_ashr_i32 s6, s22, 31
	s_lshr_b32 s6, s6, 24
	s_delay_alu instid0(SALU_CYCLE_1) | instskip(SKIP_4) | instid1(SALU_CYCLE_1)
	s_add_i32 s8, s22, s6
	s_mul_i32 s6, s14, s9
	s_mov_b32 s9, exec_lo
	v_cmpx_lt_u32_e32 31, v0
	s_xor_b32 s9, exec_lo, s9
	s_or_saveexec_b32 s24, s9
	v_mov_b32_e32 v1, s6
	s_ashr_i32 s40, s8, 8
	s_mul_i32 s18, s7, s33
	s_xor_b32 exec_lo, exec_lo, s24
	s_cbranch_execz .LBB613_9
; %bb.6:
	v_or_b32_e32 v2, 32, v0
	v_cmp_gt_i32_e32 vcc_lo, s40, v0
	s_add_i32 s20, s40, -1
	v_or_b32_e32 v4, 64, v0
	v_or_b32_e32 v6, 0x60, v0
	s_load_b128 s[8:11], s[0:1], 0x8
	v_cndmask_b32_e32 v1, s20, v0, vcc_lo
	v_cmp_gt_i32_e32 vcc_lo, s40, v2
	s_mov_b32 s19, 0
	s_delay_alu instid0(SALU_CYCLE_1)
	s_mov_b32 s7, s19
	v_cndmask_b32_e32 v3, s20, v2, vcc_lo
	v_cmp_gt_i32_e32 vcc_lo, s40, v4
	v_or_b32_e32 v2, 0x80, v0
	v_cndmask_b32_e32 v5, s20, v4, vcc_lo
	v_cmp_gt_i32_e32 vcc_lo, s40, v6
	v_or_b32_e32 v4, 0xa0, v0
	v_cndmask_b32_e32 v7, s20, v6, vcc_lo
	v_cmp_gt_i32_e32 vcc_lo, s40, v2
	v_or_b32_e32 v6, 0xc0, v0
	s_delay_alu instid0(VALU_DEP_3) | instskip(SKIP_3) | instid1(VALU_DEP_4)
	v_ashrrev_i32_e32 v8, 31, v7
	v_cndmask_b32_e32 v9, s20, v2, vcc_lo
	v_cmp_gt_i32_e32 vcc_lo, s40, v4
	v_or_b32_e32 v2, 0xe0, v0
	v_lshlrev_b64 v[7:8], 2, v[7:8]
	s_delay_alu instid0(VALU_DEP_4) | instskip(SKIP_3) | instid1(VALU_DEP_4)
	v_ashrrev_i32_e32 v10, 31, v9
	v_cndmask_b32_e32 v11, s20, v4, vcc_lo
	v_cmp_gt_i32_e32 vcc_lo, s40, v6
	v_or_b32_e32 v4, 0x100, v0
	v_lshlrev_b64 v[9:10], 2, v[9:10]
	s_delay_alu instid0(VALU_DEP_4) | instskip(SKIP_3) | instid1(VALU_DEP_4)
	;; [unrolled: 6-line block ×3, first 2 shown]
	v_ashrrev_i32_e32 v14, 31, v13
	v_cndmask_b32_e32 v15, s20, v2, vcc_lo
	v_or_b32_e32 v2, 0x120, v0
	v_cmp_gt_i32_e32 vcc_lo, s40, v4
	v_lshlrev_b64 v[13:14], 2, v[13:14]
	s_delay_alu instid0(VALU_DEP_4) | instskip(SKIP_3) | instid1(VALU_DEP_4)
	v_ashrrev_i32_e32 v16, 31, v15
	v_cndmask_b32_e32 v17, s20, v4, vcc_lo
	v_cmp_gt_i32_e32 vcc_lo, s40, v2
	v_or_b32_e32 v4, 0x160, v0
	v_lshlrev_b64 v[45:46], 2, v[15:16]
	s_delay_alu instid0(VALU_DEP_4) | instskip(SKIP_3) | instid1(VALU_DEP_4)
	v_ashrrev_i32_e32 v18, 31, v17
	v_cndmask_b32_e32 v19, s20, v2, vcc_lo
	v_cmp_gt_i32_e32 vcc_lo, s40, v6
	v_or_b32_e32 v2, 0x180, v0
	v_lshlrev_b64 v[17:18], 2, v[17:18]
	s_delay_alu instid0(VALU_DEP_4) | instskip(SKIP_3) | instid1(VALU_DEP_3)
	v_ashrrev_i32_e32 v20, 31, v19
	v_cndmask_b32_e32 v21, s20, v6, vcc_lo
	v_cmp_gt_i32_e32 vcc_lo, s40, v4
	v_or_b32_e32 v6, 0x1c0, v0
	v_ashrrev_i32_e32 v22, 31, v21
	v_cndmask_b32_e32 v23, s20, v4, vcc_lo
	v_or_b32_e32 v4, 0x1a0, v0
	v_cmp_gt_i32_e32 vcc_lo, s40, v2
	s_delay_alu instid0(VALU_DEP_3) | instskip(SKIP_1) | instid1(VALU_DEP_4)
	v_ashrrev_i32_e32 v24, 31, v23
	v_cndmask_b32_e32 v25, s20, v2, vcc_lo
	v_cmp_gt_i32_e32 vcc_lo, s40, v4
	v_or_b32_e32 v2, 0x1e0, v0
	s_delay_alu instid0(VALU_DEP_4) | instskip(NEXT) | instid1(VALU_DEP_4)
	v_lshlrev_b64 v[23:24], 2, v[23:24]
	v_ashrrev_i32_e32 v26, 31, v25
	v_cndmask_b32_e32 v27, s20, v4, vcc_lo
	v_cmp_gt_i32_e32 vcc_lo, s40, v6
	v_ashrrev_i32_e32 v4, 31, v3
	s_delay_alu instid0(VALU_DEP_4) | instskip(NEXT) | instid1(VALU_DEP_4)
	v_lshlrev_b64 v[25:26], 2, v[25:26]
	v_ashrrev_i32_e32 v28, 31, v27
	v_cndmask_b32_e32 v29, s20, v6, vcc_lo
	v_cmp_gt_i32_e32 vcc_lo, s40, v2
	v_ashrrev_i32_e32 v6, 31, v5
	v_lshlrev_b64 v[35:36], 2, v[3:4]
	v_lshlrev_b64 v[27:28], 2, v[27:28]
	v_ashrrev_i32_e32 v30, 31, v29
	v_cndmask_b32_e32 v31, s20, v2, vcc_lo
	v_ashrrev_i32_e32 v2, 31, v1
	s_lshl_b64 s[20:21], s[18:19], 2
	v_lshlrev_b64 v[5:6], 2, v[5:6]
	s_waitcnt lgkmcnt(0)
	s_add_u32 s19, s10, s20
	s_addc_u32 s25, s11, s21
	v_lshlrev_b64 v[33:34], 2, v[1:2]
	s_lshl_b64 s[10:11], s[6:7], 2
	v_ashrrev_i32_e32 v32, 31, v31
	s_add_u32 s7, s19, s10
	s_addc_u32 s19, s25, s11
	v_lshlrev_b64 v[29:30], 2, v[29:30]
	v_add_co_u32 v1, vcc_lo, s7, v33
	v_add_co_ci_u32_e32 v2, vcc_lo, s19, v34, vcc_lo
	v_add_co_u32 v3, vcc_lo, s7, v35
	v_add_co_ci_u32_e32 v4, vcc_lo, s19, v36, vcc_lo
	;; [unrolled: 2-line block ×8, first 2 shown]
	s_clause 0x7
	global_load_b32 v49, v[1:2], off
	global_load_b32 v50, v[3:4], off
	global_load_b32 v51, v[37:38], off
	global_load_b32 v52, v[39:40], off
	global_load_b32 v41, v[41:42], off
	global_load_b32 v42, v[43:44], off
	global_load_b32 v43, v[15:16], off
	global_load_b32 v44, v[47:48], off
	v_lshlrev_b64 v[37:38], 2, v[19:20]
	v_add_co_u32 v1, vcc_lo, s7, v17
	v_lshlrev_b64 v[39:40], 2, v[21:22]
	v_add_co_ci_u32_e32 v2, vcc_lo, s19, v18, vcc_lo
	s_delay_alu instid0(VALU_DEP_4) | instskip(SKIP_1) | instid1(VALU_DEP_4)
	v_add_co_u32 v3, vcc_lo, s7, v37
	v_add_co_ci_u32_e32 v4, vcc_lo, s19, v38, vcc_lo
	v_add_co_u32 v15, vcc_lo, s7, v39
	v_add_co_ci_u32_e32 v16, vcc_lo, s19, v40, vcc_lo
	;; [unrolled: 2-line block ×3, first 2 shown]
	s_clause 0x3
	global_load_b32 v47, v[1:2], off
	global_load_b32 v48, v[3:4], off
	global_load_b32 v53, v[15:16], off
	global_load_b32 v54, v[19:20], off
	v_add_co_u32 v1, vcc_lo, s7, v25
	v_add_co_ci_u32_e32 v2, vcc_lo, s19, v26, vcc_lo
	v_add_co_u32 v3, vcc_lo, s7, v27
	v_lshlrev_b64 v[31:32], 2, v[31:32]
	v_add_co_ci_u32_e32 v4, vcc_lo, s19, v28, vcc_lo
	v_add_co_u32 v15, vcc_lo, s7, v29
	v_add_co_ci_u32_e32 v16, vcc_lo, s19, v30, vcc_lo
	s_delay_alu instid0(VALU_DEP_4)
	v_add_co_u32 v19, vcc_lo, s7, v31
	v_add_co_ci_u32_e32 v20, vcc_lo, s19, v32, vcc_lo
	s_clause 0x3
	global_load_b32 v55, v[1:2], off
	global_load_b32 v56, v[3:4], off
	;; [unrolled: 1-line block ×4, first 2 shown]
	v_mbcnt_lo_u32_b32 v19, -1, 0
	s_add_u32 s7, s8, s20
	s_addc_u32 s8, s9, s21
	s_add_u32 s7, s7, s10
	s_addc_u32 s8, s8, s11
	v_xor_b32_e32 v4, 2, v19
	s_waitcnt vmcnt(14)
	v_dual_max_f32 v2, v49, v49 :: v_dual_max_f32 v1, v50, v50
	s_delay_alu instid0(VALU_DEP_1) | instskip(SKIP_1) | instid1(VALU_DEP_1)
	v_max_f32_e32 v1, v2, v1
	v_xor_b32_e32 v2, 16, v19
	v_cmp_gt_i32_e32 vcc_lo, 32, v2
	v_cndmask_b32_e32 v2, v19, v2, vcc_lo
	s_waitcnt vmcnt(12)
	v_max3_f32 v1, v1, v51, v52
	s_waitcnt vmcnt(10)
	s_delay_alu instid0(VALU_DEP_1) | instskip(SKIP_1) | instid1(VALU_DEP_1)
	v_max3_f32 v1, v1, v41, v42
	s_waitcnt vmcnt(8)
	v_max3_f32 v1, v1, v43, v44
	s_waitcnt vmcnt(6)
	s_delay_alu instid0(VALU_DEP_1) | instskip(SKIP_1) | instid1(VALU_DEP_1)
	v_max3_f32 v1, v1, v47, v48
	s_waitcnt vmcnt(4)
	v_max3_f32 v1, v1, v53, v54
	s_waitcnt vmcnt(2)
	s_delay_alu instid0(VALU_DEP_1) | instskip(SKIP_3) | instid1(VALU_DEP_3)
	v_max3_f32 v3, v1, v55, v56
	v_lshlrev_b32_e32 v1, 2, v2
	v_xor_b32_e32 v2, 8, v19
	s_waitcnt vmcnt(0)
	v_max3_f32 v15, v3, v57, v58
	v_xor_b32_e32 v3, 4, v19
	s_delay_alu instid0(VALU_DEP_3)
	v_cmp_gt_i32_e32 vcc_lo, 32, v2
	ds_bpermute_b32 v16, v1, v15
	v_cndmask_b32_e32 v2, v19, v2, vcc_lo
	v_cmp_gt_i32_e32 vcc_lo, 32, v3
	v_cndmask_b32_e32 v3, v19, v3, vcc_lo
	v_cmp_gt_i32_e32 vcc_lo, 32, v4
	s_delay_alu instid0(VALU_DEP_2) | instskip(SKIP_1) | instid1(VALU_DEP_2)
	v_dual_cndmask_b32 v20, v19, v4 :: v_dual_lshlrev_b32 v3, 2, v3
	v_lshlrev_b32_e32 v4, 2, v2
	v_lshlrev_b32_e32 v2, 2, v20
	s_waitcnt lgkmcnt(0)
	v_max_f32_e32 v16, v16, v16
	s_delay_alu instid0(VALU_DEP_1)
	v_max_f32_e32 v59, v15, v16
	v_add_co_u32 v15, vcc_lo, s7, v33
	v_add_co_ci_u32_e32 v16, vcc_lo, s8, v34, vcc_lo
	ds_bpermute_b32 v33, v4, v59
	v_add_co_u32 v21, vcc_lo, s7, v35
	v_add_co_ci_u32_e32 v22, vcc_lo, s8, v36, vcc_lo
	s_clause 0x1
	global_load_b32 v20, v[15:16], off
	global_load_b32 v21, v[21:22], off
	v_add_co_u32 v5, vcc_lo, s7, v5
	v_add_co_ci_u32_e32 v6, vcc_lo, s8, v6, vcc_lo
	v_add_co_u32 v7, vcc_lo, s7, v7
	v_add_co_ci_u32_e32 v8, vcc_lo, s8, v8, vcc_lo
	;; [unrolled: 2-line block ×3, first 2 shown]
	s_waitcnt lgkmcnt(0)
	v_max_f32_e32 v16, v33, v33
	s_clause 0x1
	global_load_b32 v22, v[5:6], off
	global_load_b32 v15, v[7:8], off
	v_add_co_u32 v5, vcc_lo, s7, v11
	v_max_f32_e32 v33, v59, v16
	v_add_co_ci_u32_e32 v6, vcc_lo, s8, v12, vcc_lo
	v_add_co_u32 v7, vcc_lo, s7, v13
	ds_bpermute_b32 v34, v3, v33
	v_add_co_ci_u32_e32 v8, vcc_lo, s8, v14, vcc_lo
	s_clause 0x1
	global_load_b32 v16, v[9:10], off
	global_load_b32 v5, v[5:6], off
	v_add_co_u32 v9, vcc_lo, s7, v45
	v_add_co_ci_u32_e32 v10, vcc_lo, s8, v46, vcc_lo
	v_add_co_u32 v11, vcc_lo, s7, v17
	v_add_co_ci_u32_e32 v12, vcc_lo, s8, v18, vcc_lo
	v_add_co_u32 v13, vcc_lo, s7, v37
	s_clause 0x2
	global_load_b32 v6, v[7:8], off
	global_load_b32 v7, v[9:10], off
	;; [unrolled: 1-line block ×3, first 2 shown]
	v_add_co_ci_u32_e32 v14, vcc_lo, s8, v38, vcc_lo
	s_waitcnt lgkmcnt(0)
	v_max_f32_e32 v10, v34, v34
	v_add_co_u32 v17, vcc_lo, s7, v39
	v_add_co_ci_u32_e32 v18, vcc_lo, s8, v40, vcc_lo
	v_add_co_u32 v11, vcc_lo, s7, v23
	s_delay_alu instid0(VALU_DEP_4)
	v_max_f32_e32 v23, v33, v10
	v_add_co_ci_u32_e32 v12, vcc_lo, s8, v24, vcc_lo
	global_load_b32 v9, v[13:14], off
	v_add_co_u32 v13, vcc_lo, s7, v25
	ds_bpermute_b32 v24, v2, v23
	v_add_co_ci_u32_e32 v14, vcc_lo, s8, v26, vcc_lo
	s_clause 0x2
	global_load_b32 v10, v[17:18], off
	global_load_b32 v11, v[11:12], off
	global_load_b32 v12, v[13:14], off
	v_add_co_u32 v13, vcc_lo, s7, v27
	v_add_co_ci_u32_e32 v14, vcc_lo, s8, v28, vcc_lo
	v_xor_b32_e32 v18, 1, v19
	global_load_b32 v17, v[13:14], off
	v_add_co_u32 v13, vcc_lo, s7, v29
	v_add_co_ci_u32_e32 v14, vcc_lo, s8, v30, vcc_lo
	v_cmp_gt_i32_e32 vcc_lo, 32, v18
	s_waitcnt lgkmcnt(0)
	v_dual_max_f32 v24, v24, v24 :: v_dual_cndmask_b32 v19, v19, v18
	global_load_b32 v18, v[13:14], off
	v_lshlrev_b32_e32 v13, 2, v19
	v_max_f32_e32 v19, v23, v24
	v_add_co_u32 v23, vcc_lo, s7, v31
	v_add_co_ci_u32_e32 v24, vcc_lo, s8, v32, vcc_lo
	ds_bpermute_b32 v25, v13, v19
	s_mov_b32 s7, exec_lo
	global_load_b32 v14, v[23:24], off
	s_waitcnt lgkmcnt(0)
	v_max_f32_e32 v23, v25, v25
	s_delay_alu instid0(VALU_DEP_1) | instskip(SKIP_1) | instid1(VALU_DEP_2)
	v_max_f32_e32 v23, v19, v23
	v_sub_nc_u32_e32 v19, s40, v0
	v_sub_f32_e32 v29, v42, v23
	s_delay_alu instid0(VALU_DEP_1) | instskip(NEXT) | instid1(VALU_DEP_1)
	v_dual_sub_f32 v31, v44, v23 :: v_dual_mul_f32 v44, 0x3fb8aa3b, v29
	v_rndne_f32_e32 v66, v44
	v_fma_f32 v65, 0x3fb8aa3b, v29, -v44
	s_delay_alu instid0(VALU_DEP_2)
	v_sub_f32_e32 v44, v44, v66
	v_sub_f32_e32 v33, v48, v23
	;; [unrolled: 1-line block ×6, first 2 shown]
	v_mul_f32_e32 v48, 0x3fb8aa3b, v33
	v_sub_f32_e32 v30, v43, v23
	v_sub_f32_e32 v32, v47, v23
	;; [unrolled: 1-line block ×4, first 2 shown]
	v_rndne_f32_e32 v74, v48
	v_sub_f32_e32 v25, v50, v23
	v_mul_f32_e32 v50, 0x3fb8aa3b, v35
	v_sub_f32_e32 v38, v57, v23
	v_cmp_ngt_f32_e32 vcc_lo, 0xc2ce8ed0, v24
	v_cvt_i32_f32_e32 v66, v66
	s_delay_alu instid0(VALU_DEP_4) | instskip(SKIP_1) | instid1(VALU_DEP_2)
	v_rndne_f32_e32 v78, v50
	v_fma_f32 v77, 0x3fb8aa3b, v35, -v50
	v_sub_f32_e32 v50, v50, v78
	v_mul_f32_e32 v46, 0x3fb8aa3b, v31
	v_cvt_i32_f32_e32 v78, v78
	s_delay_alu instid0(VALU_DEP_2) | instskip(SKIP_2) | instid1(VALU_DEP_3)
	v_rndne_f32_e32 v70, v46
	v_sub_f32_e32 v27, v52, v23
	v_fma_f32 v69, 0x3fb8aa3b, v31, -v46
	v_sub_f32_e32 v46, v46, v70
	s_delay_alu instid0(VALU_DEP_3) | instskip(NEXT) | instid1(VALU_DEP_3)
	v_mul_f32_e32 v42, 0x3fb8aa3b, v27
	v_fmac_f32_e32 v69, 0x32a5705f, v31
	v_mul_f32_e32 v39, 0x3fb8aa3b, v24
	v_cvt_i32_f32_e32 v70, v70
	s_delay_alu instid0(VALU_DEP_4) | instskip(NEXT) | instid1(VALU_DEP_4)
	v_fma_f32 v61, 0x3fb8aa3b, v27, -v42
	v_add_f32_e32 v46, v46, v69
	v_rndne_f32_e32 v62, v42
	v_fma_f32 v55, 0x3fb8aa3b, v24, -v39
	s_delay_alu instid0(VALU_DEP_4) | instskip(NEXT) | instid1(VALU_DEP_4)
	v_fmac_f32_e32 v61, 0x32a5705f, v27
	v_exp_f32_e32 v46, v46
	s_delay_alu instid0(VALU_DEP_3) | instskip(SKIP_2) | instid1(VALU_DEP_3)
	v_dual_sub_f32 v42, v42, v62 :: v_dual_sub_f32 v37, v56, v23
	v_rndne_f32_e32 v56, v39
	v_cvt_i32_f32_e32 v62, v62
	v_add_f32_e32 v42, v42, v61
	s_delay_alu instid0(VALU_DEP_4)
	v_mul_f32_e32 v52, 0x3fb8aa3b, v37
	s_waitcnt_depctr 0xfff
	v_ldexp_f32 v46, v46, v70
	v_fmac_f32_e32 v55, 0x32a5705f, v24
	v_rndne_f32_e32 v82, v52
	v_fma_f32 v81, 0x3fb8aa3b, v37, -v52
	v_exp_f32_e32 v42, v42
	s_delay_alu instid0(VALU_DEP_2) | instskip(SKIP_1) | instid1(VALU_DEP_3)
	v_dual_sub_f32 v52, v52, v82 :: v_dual_fmac_f32 v65, 0x32a5705f, v29
	v_sub_f32_e32 v23, v58, v23
	v_fmac_f32_e32 v81, 0x32a5705f, v37
	v_mul_f32_e32 v45, 0x3fb8aa3b, v30
	v_cvt_i32_f32_e32 v82, v82
	v_add_f32_e32 v44, v44, v65
	v_mul_f32_e32 v54, 0x3fb8aa3b, v23
	v_add_f32_e32 v52, v52, v81
	s_delay_alu instid0(TRANS32_DEP_1)
	v_ldexp_f32 v42, v42, v62
	v_fma_f32 v67, 0x3fb8aa3b, v30, -v45
	v_rndne_f32_e32 v68, v45
	v_rndne_f32_e32 v86, v54
	v_fma_f32 v85, 0x3fb8aa3b, v23, -v54
	v_exp_f32_e32 v52, v52
	v_fmac_f32_e32 v67, 0x32a5705f, v30
	v_exp_f32_e32 v44, v44
	v_sub_f32_e32 v54, v54, v86
	v_fma_f32 v73, 0x3fb8aa3b, v33, -v48
	v_sub_f32_e32 v48, v48, v74
	v_mul_f32_e32 v40, 0x3fb8aa3b, v25
	v_cvt_i32_f32_e32 v74, v74
	v_fmac_f32_e32 v85, 0x32a5705f, v23
	v_fmac_f32_e32 v73, 0x32a5705f, v33
	v_mul_f32_e32 v41, 0x3fb8aa3b, v26
	v_fma_f32 v57, 0x3fb8aa3b, v25, -v40
	v_rndne_f32_e32 v58, v40
	v_ldexp_f32 v52, v52, v82
	v_add_f32_e32 v48, v48, v73
	v_fma_f32 v59, 0x3fb8aa3b, v26, -v41
	v_rndne_f32_e32 v60, v41
	v_sub_f32_e32 v40, v40, v58
	v_cvt_i32_f32_e32 v58, v58
	v_exp_f32_e32 v48, v48
	v_fmac_f32_e32 v59, 0x32a5705f, v26
	v_dual_mul_f32 v47, 0x3fb8aa3b, v32 :: v_dual_add_f32 v54, v54, v85
	v_ldexp_f32 v44, v44, v66
	s_delay_alu instid0(VALU_DEP_2) | instskip(SKIP_1) | instid1(VALU_DEP_4)
	v_fma_f32 v71, 0x3fb8aa3b, v32, -v47
	v_rndne_f32_e32 v72, v47
	v_exp_f32_e32 v54, v54
	s_delay_alu instid0(TRANS32_DEP_2) | instskip(SKIP_1) | instid1(VALU_DEP_1)
	v_ldexp_f32 v48, v48, v74
	v_fmac_f32_e32 v57, 0x32a5705f, v25
	v_dual_fmac_f32 v71, 0x32a5705f, v32 :: v_dual_add_f32 v40, v40, v57
	v_fmac_f32_e32 v77, 0x32a5705f, v35
	v_mul_f32_e32 v43, 0x3fb8aa3b, v28
	s_delay_alu instid0(VALU_DEP_3) | instskip(NEXT) | instid1(VALU_DEP_2)
	v_exp_f32_e32 v40, v40
	v_add_f32_e32 v50, v50, v77
	s_delay_alu instid0(VALU_DEP_2) | instskip(SKIP_1) | instid1(VALU_DEP_3)
	v_fma_f32 v63, 0x3fb8aa3b, v28, -v43
	v_rndne_f32_e32 v64, v43
	v_exp_f32_e32 v50, v50
	s_delay_alu instid0(VALU_DEP_2)
	v_fmac_f32_e32 v63, 0x32a5705f, v28
	s_waitcnt_depctr 0xfff
	v_ldexp_f32 v40, v40, v58
	v_ldexp_f32 v50, v50, v78
	v_sub_f32_e32 v39, v39, v56
	v_cvt_i32_f32_e32 v56, v56
	s_delay_alu instid0(VALU_DEP_2) | instskip(NEXT) | instid1(VALU_DEP_1)
	v_add_f32_e32 v39, v39, v55
	v_exp_f32_e32 v39, v39
	s_waitcnt_depctr 0xfff
	v_ldexp_f32 v39, v39, v56
	s_delay_alu instid0(VALU_DEP_1) | instskip(SKIP_4) | instid1(VALU_DEP_4)
	v_cndmask_b32_e32 v39, 0, v39, vcc_lo
	v_sub_f32_e32 v41, v41, v60
	v_cvt_i32_f32_e32 v60, v60
	v_cmp_ngt_f32_e32 vcc_lo, 0xc2ce8ed0, v25
	v_mul_f32_e32 v49, 0x3fb8aa3b, v34
	v_dual_add_f32 v41, v41, v59 :: v_dual_cndmask_b32 v40, 0, v40
	v_cmp_ngt_f32_e32 vcc_lo, 0xc2ce8ed0, v26
	s_delay_alu instid0(VALU_DEP_3) | instskip(NEXT) | instid1(VALU_DEP_3)
	v_fma_f32 v75, 0x3fb8aa3b, v34, -v49
	v_exp_f32_e32 v41, v41
	v_rndne_f32_e32 v76, v49
	s_delay_alu instid0(VALU_DEP_2) | instskip(SKIP_2) | instid1(VALU_DEP_1)
	v_fmac_f32_e32 v75, 0x32a5705f, v34
	s_waitcnt_depctr 0xfff
	v_ldexp_f32 v41, v41, v60
	v_cndmask_b32_e32 v41, 0, v41, vcc_lo
	v_sub_f32_e32 v43, v43, v64
	v_cvt_i32_f32_e32 v64, v64
	v_cmp_ngt_f32_e32 vcc_lo, 0xc2ce8ed0, v27
	v_mul_f32_e32 v51, 0x3fb8aa3b, v36
	s_delay_alu instid0(VALU_DEP_4) | instskip(SKIP_1) | instid1(VALU_DEP_3)
	v_dual_add_f32 v43, v43, v63 :: v_dual_cndmask_b32 v42, 0, v42
	v_cmp_ngt_f32_e32 vcc_lo, 0xc2ce8ed0, v28
	v_fma_f32 v79, 0x3fb8aa3b, v36, -v51
	s_delay_alu instid0(VALU_DEP_3) | instskip(SKIP_1) | instid1(VALU_DEP_2)
	v_exp_f32_e32 v43, v43
	v_rndne_f32_e32 v80, v51
	v_fmac_f32_e32 v79, 0x32a5705f, v36
	s_waitcnt_depctr 0xfff
	v_ldexp_f32 v43, v43, v64
	s_delay_alu instid0(VALU_DEP_1) | instskip(SKIP_4) | instid1(VALU_DEP_4)
	v_cndmask_b32_e32 v43, 0, v43, vcc_lo
	v_sub_f32_e32 v45, v45, v68
	v_cvt_i32_f32_e32 v68, v68
	v_cmp_ngt_f32_e32 vcc_lo, 0xc2ce8ed0, v29
	v_mul_f32_e32 v53, 0x3fb8aa3b, v38
	v_dual_add_f32 v45, v45, v67 :: v_dual_cndmask_b32 v44, 0, v44
	v_cmp_ngt_f32_e32 vcc_lo, 0xc2ce8ed0, v30
	s_delay_alu instid0(VALU_DEP_3) | instskip(NEXT) | instid1(VALU_DEP_3)
	v_rndne_f32_e32 v84, v53
	v_exp_f32_e32 v45, v45
	v_fma_f32 v83, 0x3fb8aa3b, v38, -v53
	s_waitcnt_depctr 0xfff
	v_ldexp_f32 v45, v45, v68
	s_delay_alu instid0(VALU_DEP_1) | instskip(SKIP_3) | instid1(VALU_DEP_3)
	v_cndmask_b32_e32 v45, 0, v45, vcc_lo
	v_sub_f32_e32 v47, v47, v72
	v_cmp_ngt_f32_e32 vcc_lo, 0xc2ce8ed0, v31
	v_cvt_i32_f32_e32 v72, v72
	v_dual_add_f32 v47, v47, v71 :: v_dual_cndmask_b32 v46, 0, v46
	v_sub_f32_e32 v49, v49, v76
	v_cmp_ngt_f32_e32 vcc_lo, 0xc2ce8ed0, v32
	v_cvt_i32_f32_e32 v76, v76
	s_delay_alu instid0(VALU_DEP_4) | instskip(NEXT) | instid1(VALU_DEP_3)
	v_exp_f32_e32 v47, v47
	v_add_f32_e32 v49, v49, v75
	s_delay_alu instid0(VALU_DEP_1) | instskip(SKIP_2) | instid1(VALU_DEP_1)
	v_exp_f32_e32 v49, v49
	s_waitcnt_depctr 0xfff
	v_ldexp_f32 v47, v47, v72
	v_cndmask_b32_e32 v47, 0, v47, vcc_lo
	v_cmp_ngt_f32_e32 vcc_lo, 0xc2ce8ed0, v33
	v_ldexp_f32 v49, v49, v76
	v_cndmask_b32_e32 v48, 0, v48, vcc_lo
	v_cmp_ngt_f32_e32 vcc_lo, 0xc2ce8ed0, v34
	s_delay_alu instid0(VALU_DEP_3) | instskip(SKIP_3) | instid1(VALU_DEP_3)
	v_cndmask_b32_e32 v49, 0, v49, vcc_lo
	v_sub_f32_e32 v51, v51, v80
	v_cvt_i32_f32_e32 v80, v80
	v_cmp_ngt_f32_e32 vcc_lo, 0xc2ce8ed0, v35
	v_dual_add_f32 v51, v51, v79 :: v_dual_cndmask_b32 v50, 0, v50
	v_cmp_ngt_f32_e32 vcc_lo, 0xc2ce8ed0, v36
	s_delay_alu instid0(VALU_DEP_2) | instskip(SKIP_2) | instid1(VALU_DEP_1)
	v_exp_f32_e32 v51, v51
	s_waitcnt_depctr 0xfff
	v_ldexp_f32 v51, v51, v80
	v_cndmask_b32_e32 v51, 0, v51, vcc_lo
	v_cmp_ngt_f32_e32 vcc_lo, 0xc2ce8ed0, v37
	v_cndmask_b32_e32 v52, 0, v52, vcc_lo
	v_cmp_nlt_f32_e32 vcc_lo, 0x42b17218, v24
	v_cndmask_b32_e32 v24, 0x7f800000, v39, vcc_lo
	v_cmp_nlt_f32_e32 vcc_lo, 0x42b17218, v25
	;; [unrolled: 2-line block ×6, first 2 shown]
	v_cndmask_b32_e32 v29, 0x7f800000, v44, vcc_lo
	v_cmp_lt_i32_e32 vcc_lo, 0, v19
	v_cndmask_b32_e32 v24, 0, v24, vcc_lo
	v_cmp_lt_i32_e32 vcc_lo, 32, v19
	s_waitcnt vmcnt(15)
	s_delay_alu instid0(VALU_DEP_2) | instskip(SKIP_2) | instid1(VALU_DEP_2)
	v_dual_mul_f32 v20, v20, v24 :: v_dual_cndmask_b32 v25, 0, v25
	v_cmp_nlt_f32_e32 vcc_lo, 0x42b17218, v30
	s_waitcnt vmcnt(14)
	v_mul_f32_e32 v21, v21, v25
	v_cndmask_b32_e32 v30, 0x7f800000, v45, vcc_lo
	v_cmp_lt_i32_e32 vcc_lo, 64, v19
	v_cndmask_b32_e32 v26, 0, v26, vcc_lo
	v_cmp_nlt_f32_e32 vcc_lo, 0x42b17218, v31
	s_waitcnt vmcnt(13)
	s_delay_alu instid0(VALU_DEP_2)
	v_mul_f32_e32 v22, v22, v26
	v_cndmask_b32_e32 v24, 0x7f800000, v46, vcc_lo
	v_cmp_lt_i32_e32 vcc_lo, 0x60, v19
	v_dual_add_f32 v26, v20, v21 :: v_dual_cndmask_b32 v25, 0, v27
	v_cmp_nlt_f32_e32 vcc_lo, 0x42b17218, v32
	s_waitcnt vmcnt(12)
	s_delay_alu instid0(VALU_DEP_2)
	v_mul_f32_e32 v15, v15, v25
	v_cndmask_b32_e32 v27, 0x7f800000, v47, vcc_lo
	v_cmp_lt_i32_e32 vcc_lo, 0x80, v19
	v_dual_add_f32 v25, v26, v22 :: v_dual_cndmask_b32 v28, 0, v28
	v_cmp_nlt_f32_e32 vcc_lo, 0x42b17218, v33
	s_waitcnt vmcnt(11)
	s_delay_alu instid0(VALU_DEP_2) | instskip(SKIP_2) | instid1(VALU_DEP_3)
	v_dual_add_f32 v25, v25, v15 :: v_dual_mul_f32 v16, v16, v28
	v_cndmask_b32_e32 v26, 0x7f800000, v48, vcc_lo
	v_cmp_lt_i32_e32 vcc_lo, 0xa0, v19
	v_add_f32_e32 v25, v25, v16
	v_cndmask_b32_e32 v29, 0, v29, vcc_lo
	v_cmp_nlt_f32_e32 vcc_lo, 0x42b17218, v34
	s_waitcnt vmcnt(10)
	s_delay_alu instid0(VALU_DEP_2) | instskip(SKIP_2) | instid1(VALU_DEP_3)
	v_mul_f32_e32 v5, v5, v29
	v_cndmask_b32_e32 v28, 0x7f800000, v49, vcc_lo
	v_cmp_lt_i32_e32 vcc_lo, 0xc0, v19
	v_dual_add_f32 v25, v25, v5 :: v_dual_cndmask_b32 v30, 0, v30
	v_cmp_nlt_f32_e32 vcc_lo, 0x42b17218, v35
	s_waitcnt vmcnt(9)
	s_delay_alu instid0(VALU_DEP_2)
	v_mul_f32_e32 v6, v6, v30
	v_cndmask_b32_e32 v29, 0x7f800000, v50, vcc_lo
	v_cmp_lt_i32_e32 vcc_lo, 0xe0, v19
	v_cndmask_b32_e32 v24, 0, v24, vcc_lo
	v_cmp_nlt_f32_e32 vcc_lo, 0x42b17218, v36
	v_sub_f32_e32 v53, v53, v84
	v_cvt_i32_f32_e32 v84, v84
	s_waitcnt vmcnt(8)
	v_dual_mul_f32 v7, v7, v24 :: v_dual_cndmask_b32 v30, 0x7f800000, v51
	v_cmp_lt_i32_e32 vcc_lo, 0x100, v19
	v_dual_add_f32 v24, v25, v6 :: v_dual_cndmask_b32 v27, 0, v27
	v_cmp_lt_i32_e32 vcc_lo, 0x120, v19
	s_delay_alu instid0(VALU_DEP_2) | instskip(SKIP_1) | instid1(VALU_DEP_3)
	v_add_f32_e32 v24, v24, v7
	s_waitcnt vmcnt(7)
	v_dual_mul_f32 v8, v8, v27 :: v_dual_cndmask_b32 v25, 0, v26
	v_cmp_lt_i32_e32 vcc_lo, 0x140, v19
	s_delay_alu instid0(VALU_DEP_2) | instskip(SKIP_1) | instid1(VALU_DEP_3)
	v_dual_fmac_f32 v83, 0x32a5705f, v38 :: v_dual_add_f32 v24, v24, v8
	s_waitcnt vmcnt(6)
	v_dual_mul_f32 v9, v9, v25 :: v_dual_cndmask_b32 v26, 0, v28
	s_delay_alu instid0(VALU_DEP_2) | instskip(SKIP_1) | instid1(VALU_DEP_3)
	v_add_f32_e32 v53, v53, v83
	v_cmp_lt_i32_e32 vcc_lo, 0x160, v19
	v_add_f32_e32 v24, v24, v9
	s_waitcnt vmcnt(5)
	v_mul_f32_e32 v10, v10, v26
	v_exp_f32_e32 v53, v53
	v_cndmask_b32_e32 v27, 0, v29, vcc_lo
	v_cmp_lt_i32_e32 vcc_lo, 0x180, v19
	s_waitcnt vmcnt(4)
	s_delay_alu instid0(VALU_DEP_2) | instskip(SKIP_3) | instid1(TRANS32_DEP_1)
	v_dual_add_f32 v24, v24, v10 :: v_dual_mul_f32 v11, v11, v27
	v_cndmask_b32_e32 v28, 0, v30, vcc_lo
	v_cmp_nlt_f32_e32 vcc_lo, 0x42b17218, v37
	v_cvt_i32_f32_e32 v27, v86
	v_ldexp_f32 v53, v53, v84
	v_add_f32_e32 v24, v24, v11
	s_waitcnt vmcnt(3)
	v_mul_f32_e32 v12, v12, v28
	v_cndmask_b32_e32 v25, 0x7f800000, v52, vcc_lo
	v_cmp_ngt_f32_e32 vcc_lo, 0xc2ce8ed0, v38
	s_delay_alu instid0(VALU_DEP_3)
	v_add_f32_e32 v24, v24, v12
	v_cndmask_b32_e32 v26, 0, v53, vcc_lo
	v_cmp_lt_i32_e32 vcc_lo, 0x1a0, v19
	v_cndmask_b32_e32 v25, 0, v25, vcc_lo
	v_cmp_nlt_f32_e32 vcc_lo, 0x42b17218, v38
	s_waitcnt vmcnt(2)
	s_delay_alu instid0(VALU_DEP_2) | instskip(SKIP_2) | instid1(VALU_DEP_3)
	v_dual_mul_f32 v17, v17, v25 :: v_dual_cndmask_b32 v26, 0x7f800000, v26
	v_cmp_lt_i32_e32 vcc_lo, 0x1c0, v19
	v_ldexp_f32 v25, v54, v27
	v_add_f32_e32 v24, v24, v17
	s_delay_alu instid0(VALU_DEP_4) | instskip(SKIP_2) | instid1(VALU_DEP_2)
	v_cndmask_b32_e32 v26, 0, v26, vcc_lo
	v_cmp_ngt_f32_e32 vcc_lo, 0xc2ce8ed0, v23
	s_waitcnt vmcnt(1)
	v_dual_mul_f32 v18, v18, v26 :: v_dual_cndmask_b32 v25, 0, v25
	v_cmp_nlt_f32_e32 vcc_lo, 0x42b17218, v23
	s_delay_alu instid0(VALU_DEP_2) | instskip(SKIP_1) | instid1(VALU_DEP_2)
	v_cndmask_b32_e32 v23, 0x7f800000, v25, vcc_lo
	v_cmp_lt_i32_e32 vcc_lo, 0x1e0, v19
	v_cndmask_b32_e32 v19, 0, v23, vcc_lo
	v_add_f32_e32 v23, v24, v18
	s_waitcnt vmcnt(0)
	s_delay_alu instid0(VALU_DEP_1)
	v_fmac_f32_e32 v23, v14, v19
	ds_bpermute_b32 v1, v1, v23
	s_waitcnt lgkmcnt(0)
	v_add_f32_e32 v1, v23, v1
	ds_bpermute_b32 v4, v4, v1
	s_waitcnt lgkmcnt(0)
	v_dual_add_f32 v1, v1, v4 :: v_dual_mul_f32 v4, v14, v19
	ds_bpermute_b32 v3, v3, v1
	s_waitcnt lgkmcnt(0)
	v_add_f32_e32 v1, v1, v3
	v_lshlrev_b32_e32 v3, 2, v0
	ds_bpermute_b32 v2, v2, v1
	ds_store_2addr_b32 v3, v20, v21 offset1:32
	s_waitcnt lgkmcnt(1)
	v_add_f32_e32 v1, v1, v2
	ds_bpermute_b32 v2, v13, v1
	v_add_nc_u32_e32 v13, 0x400, v3
	ds_store_2addr_b32 v3, v22, v15 offset0:64 offset1:96
	ds_store_2addr_b32 v3, v16, v5 offset0:128 offset1:160
	ds_store_2addr_b32 v3, v6, v7 offset0:192 offset1:224
	ds_store_2addr_b32 v13, v8, v9 offset1:32
	ds_store_2addr_b32 v13, v10, v11 offset0:64 offset1:96
	ds_store_2addr_b32 v13, v12, v17 offset0:128 offset1:160
	;; [unrolled: 1-line block ×3, first 2 shown]
	v_cmpx_eq_u32_e32 0, v0
	s_cbranch_execz .LBB613_8
; %bb.7:
	s_waitcnt lgkmcnt(7)
	v_dual_add_f32 v1, v1, v2 :: v_dual_mov_b32 v2, 0
	ds_store_b32 v2, v1 offset:2048
.LBB613_8:
	s_or_b32 exec_lo, exec_lo, s7
	v_mov_b32_e32 v1, s6
.LBB613_9:
	s_or_b32 exec_lo, exec_lo, s24
	s_lshl_b32 s6, s18, 7
	s_mov_b32 s7, 0
	s_waitcnt lgkmcnt(7)
	v_dual_mov_b32 v2, 0 :: v_dual_lshlrev_b32 v1, 7, v1
	s_lshl_b64 s[6:7], s[6:7], 1
	v_dual_mov_b32 v31, 0 :: v_dual_mov_b32 v32, 0
	s_add_u32 s34, s4, s6
	s_addc_u32 s35, s5, s7
	s_lshl_b32 s41, s40, 7
	v_lshlrev_b64 v[3:4], 1, v[1:2]
	s_add_i32 s42, s41, 0xffffff80
	s_cmpk_lt_i32 s22, 0x100
	v_lshlrev_b32_e32 v1, 1, v0
	s_cselect_b32 s4, s42, 0
	v_dual_mov_b32 v33, 0 :: v_dual_mov_b32 v34, 0
	s_ashr_i32 s5, s4, 31
	v_add_co_u32 v3, vcc_lo, s34, v3
	s_lshl_b64 s[4:5], s[4:5], 1
	s_cmpk_lt_i32 s22, 0x200
	v_add_co_ci_u32_e32 v4, vcc_lo, s35, v4, vcc_lo
	s_cselect_b32 s6, s42, 0x80
	v_add_co_u32 v1, vcc_lo, v3, v1
	s_ashr_i32 s7, s6, 31
	s_delay_alu instid0(VALU_DEP_2)
	v_add_co_ci_u32_e32 v3, vcc_lo, 0, v4, vcc_lo
	s_lshl_b64 s[6:7], s[6:7], 1
	s_cmpk_lt_i32 s22, 0x300
	v_add_co_u32 v4, vcc_lo, v1, s4
	s_cselect_b32 s8, s42, 0x100
	v_add_co_ci_u32_e32 v5, vcc_lo, s5, v3, vcc_lo
	s_ashr_i32 s9, s8, 31
	v_add_co_u32 v6, vcc_lo, v1, s6
	s_lshl_b64 s[8:9], s[8:9], 1
	s_cmpk_lt_i32 s22, 0x400
	v_add_co_ci_u32_e32 v7, vcc_lo, s7, v3, vcc_lo
	s_cselect_b32 s10, s42, 0x180
	v_add_co_u32 v8, vcc_lo, v1, s8
	s_ashr_i32 s11, s10, 31
	v_add_co_ci_u32_e32 v9, vcc_lo, s9, v3, vcc_lo
	s_lshl_b64 s[10:11], s[10:11], 1
	s_cmpk_lt_i32 s22, 0x500
	v_add_co_u32 v11, vcc_lo, v1, s10
	s_cselect_b32 s18, s42, 0x200
	v_add_co_ci_u32_e32 v12, vcc_lo, s11, v3, vcc_lo
	s_ashr_i32 s19, s18, 31
	v_mov_b32_e32 v35, 0
	s_lshl_b64 s[18:19], s[18:19], 1
	s_cmpk_lt_i32 s22, 0x600
	v_add_co_u32 v14, vcc_lo, v1, s18
	s_cselect_b32 s20, s42, 0x280
	v_add_co_ci_u32_e32 v15, vcc_lo, s19, v3, vcc_lo
	s_ashr_i32 s21, s20, 31
	v_mov_b32_e32 v30, 0
	s_lshl_b64 s[20:21], s[20:21], 1
	s_cmpk_lt_i32 s22, 0x700
	v_add_co_u32 v16, vcc_lo, v1, s20
	s_cselect_b32 s24, s42, 0x300
	v_add_co_ci_u32_e32 v17, vcc_lo, s21, v3, vcc_lo
	s_ashr_i32 s25, s24, 31
	s_delay_alu instid0(SALU_CYCLE_1)
	s_lshl_b64 s[24:25], s[24:25], 1
	s_cmpk_lt_i32 s22, 0x800
	v_add_co_u32 v18, vcc_lo, v1, s24
	s_cselect_b32 s26, s42, 0x380
	v_add_co_ci_u32_e32 v19, vcc_lo, s25, v3, vcc_lo
	s_ashr_i32 s27, s26, 31
	s_delay_alu instid0(SALU_CYCLE_1)
	s_lshl_b64 s[26:27], s[26:27], 1
	s_cmpk_lt_i32 s22, 0x900
	v_add_co_u32 v20, vcc_lo, v1, s26
	s_cselect_b32 s28, s42, 0x400
	v_add_co_ci_u32_e32 v21, vcc_lo, s27, v3, vcc_lo
	s_ashr_i32 s29, s28, 31
	s_clause 0x7
	global_load_u16 v13, v[4:5], off
	global_load_u16 v4, v[6:7], off
	;; [unrolled: 1-line block ×8, first 2 shown]
	s_lshl_b64 s[28:29], s[28:29], 1
	s_cmpk_lt_i32 s22, 0xa00
	v_add_co_u32 v11, vcc_lo, v1, s28
	s_cselect_b32 s30, s42, 0x480
	v_add_co_ci_u32_e32 v12, vcc_lo, s29, v3, vcc_lo
	s_ashr_i32 s31, s30, 31
	s_delay_alu instid0(SALU_CYCLE_1)
	s_lshl_b64 s[30:31], s[30:31], 1
	s_cmpk_lt_i32 s22, 0xb00
	v_add_co_u32 v14, vcc_lo, v1, s30
	s_cselect_b32 s34, s42, 0x500
	v_add_co_ci_u32_e32 v15, vcc_lo, s31, v3, vcc_lo
	s_ashr_i32 s35, s34, 31
	s_delay_alu instid0(SALU_CYCLE_1)
	;; [unrolled: 7-line block ×7, first 2 shown]
	s_lshl_b64 s[4:5], s[6:7], 1
	s_cmpk_gt_i32 s23, 0x1000
	v_add_co_u32 v28, vcc_lo, v1, s4
	v_add_co_ci_u32_e32 v29, vcc_lo, s5, v3, vcc_lo
	s_clause 0x7
	global_load_u16 v19, v[11:12], off
	global_load_u16 v18, v[14:15], off
	;; [unrolled: 1-line block ×8, first 2 shown]
	v_dual_mov_b32 v20, 0 :: v_dual_mov_b32 v21, 0
	v_dual_mov_b32 v22, 0 :: v_dual_mov_b32 v23, 0
	;; [unrolled: 1-line block ×5, first 2 shown]
	s_cselect_b32 s6, -1, 0
	s_cmpk_lt_i32 s23, 0x1001
	s_waitcnt vmcnt(0) lgkmcnt(0)
	s_barrier
	buffer_gl0_inv
	s_cbranch_scc1 .LBB613_11
; %bb.10:
	s_cmpk_lt_i32 s22, 0x1100
	s_cselect_b32 s4, s42, 0x800
	s_delay_alu instid0(SALU_CYCLE_1) | instskip(NEXT) | instid1(SALU_CYCLE_1)
	s_ashr_i32 s5, s4, 31
	s_lshl_b64 s[4:5], s[4:5], 1
	s_cmpk_lt_i32 s22, 0x1200
	v_add_co_u32 v20, vcc_lo, v1, s4
	s_cselect_b32 s8, s42, 0x880
	v_add_co_ci_u32_e32 v21, vcc_lo, s5, v3, vcc_lo
	s_ashr_i32 s9, s8, 31
	s_delay_alu instid0(SALU_CYCLE_1)
	s_lshl_b64 s[8:9], s[8:9], 1
	s_cmpk_lt_i32 s22, 0x1300
	v_add_co_u32 v22, vcc_lo, v1, s8
	s_cselect_b32 s10, s42, 0x900
	v_add_co_ci_u32_e32 v23, vcc_lo, s9, v3, vcc_lo
	s_ashr_i32 s11, s10, 31
	s_delay_alu instid0(SALU_CYCLE_1)
	s_lshl_b64 s[10:11], s[10:11], 1
	s_cmpk_lt_i32 s22, 0x1400
	v_add_co_u32 v24, vcc_lo, v1, s10
	s_cselect_b32 s18, s42, 0x980
	v_add_co_ci_u32_e32 v25, vcc_lo, s11, v3, vcc_lo
	s_ashr_i32 s19, s18, 31
	s_delay_alu instid0(SALU_CYCLE_1)
	s_lshl_b64 s[18:19], s[18:19], 1
	s_cmpk_lt_i32 s22, 0x1500
	v_add_co_u32 v26, vcc_lo, v1, s18
	s_cselect_b32 s20, s42, 0xa00
	v_add_co_ci_u32_e32 v27, vcc_lo, s19, v3, vcc_lo
	s_ashr_i32 s21, s20, 31
	s_delay_alu instid0(SALU_CYCLE_1)
	s_lshl_b64 s[20:21], s[20:21], 1
	s_cmpk_lt_i32 s22, 0x1600
	v_add_co_u32 v28, vcc_lo, v1, s20
	s_cselect_b32 s24, s42, 0xa80
	v_add_co_ci_u32_e32 v29, vcc_lo, s21, v3, vcc_lo
	s_ashr_i32 s25, s24, 31
	s_delay_alu instid0(SALU_CYCLE_1)
	s_lshl_b64 s[24:25], s[24:25], 1
	s_cmpk_lt_i32 s22, 0x1700
	v_add_co_u32 v30, vcc_lo, v1, s24
	s_cselect_b32 s26, s42, 0xb00
	v_add_co_ci_u32_e32 v31, vcc_lo, s25, v3, vcc_lo
	s_ashr_i32 s27, s26, 31
	s_delay_alu instid0(SALU_CYCLE_1)
	s_lshl_b64 s[26:27], s[26:27], 1
	s_cmpk_lt_i32 s22, 0x1800
	v_add_co_u32 v32, vcc_lo, v1, s26
	s_cselect_b32 s28, s42, 0xb80
	v_add_co_ci_u32_e32 v33, vcc_lo, s27, v3, vcc_lo
	s_ashr_i32 s29, s28, 31
	s_delay_alu instid0(SALU_CYCLE_1)
	s_lshl_b64 s[28:29], s[28:29], 1
	s_cmpk_lt_i32 s22, 0x1900
	v_add_co_u32 v34, vcc_lo, v1, s28
	s_cselect_b32 s30, s42, 0xc00
	v_add_co_ci_u32_e32 v35, vcc_lo, s29, v3, vcc_lo
	s_ashr_i32 s31, s30, 31
	s_delay_alu instid0(SALU_CYCLE_1)
	s_lshl_b64 s[30:31], s[30:31], 1
	s_cmpk_lt_i32 s22, 0x1a00
	v_add_co_u32 v36, vcc_lo, v1, s30
	s_cselect_b32 s34, s42, 0xc80
	v_add_co_ci_u32_e32 v37, vcc_lo, s31, v3, vcc_lo
	s_ashr_i32 s35, s34, 31
	s_delay_alu instid0(SALU_CYCLE_1)
	s_lshl_b64 s[34:35], s[34:35], 1
	s_cmpk_lt_i32 s22, 0x1b00
	v_add_co_u32 v38, vcc_lo, v1, s34
	s_cselect_b32 s36, s42, 0xd00
	v_add_co_ci_u32_e32 v39, vcc_lo, s35, v3, vcc_lo
	s_ashr_i32 s37, s36, 31
	s_delay_alu instid0(SALU_CYCLE_1)
	s_lshl_b64 s[36:37], s[36:37], 1
	s_cmpk_lt_i32 s22, 0x1c00
	v_add_co_u32 v40, vcc_lo, v1, s36
	s_cselect_b32 s4, s42, 0xd80
	v_add_co_ci_u32_e32 v41, vcc_lo, s37, v3, vcc_lo
	s_ashr_i32 s5, s4, 31
	s_delay_alu instid0(SALU_CYCLE_1)
	s_lshl_b64 s[4:5], s[4:5], 1
	s_cmpk_lt_i32 s22, 0x1d00
	v_add_co_u32 v42, vcc_lo, v1, s4
	s_cselect_b32 s8, s42, 0xe00
	v_add_co_ci_u32_e32 v43, vcc_lo, s5, v3, vcc_lo
	s_ashr_i32 s9, s8, 31
	s_delay_alu instid0(SALU_CYCLE_1)
	s_lshl_b64 s[8:9], s[8:9], 1
	s_cmpk_lt_i32 s22, 0x1e00
	v_add_co_u32 v44, vcc_lo, v1, s8
	s_cselect_b32 s10, s42, 0xe80
	v_add_co_ci_u32_e32 v45, vcc_lo, s9, v3, vcc_lo
	s_ashr_i32 s11, s10, 31
	s_delay_alu instid0(SALU_CYCLE_1)
	s_lshl_b64 s[10:11], s[10:11], 1
	s_cmpk_lt_i32 s22, 0x1f00
	v_add_co_u32 v46, vcc_lo, v1, s10
	s_cselect_b32 s18, s42, 0xf00
	v_add_co_ci_u32_e32 v47, vcc_lo, s11, v3, vcc_lo
	s_ashr_i32 s19, s18, 31
	s_delay_alu instid0(SALU_CYCLE_1)
	s_lshl_b64 s[4:5], s[18:19], 1
	s_cmpk_lt_i32 s22, 0x2000
	v_add_co_u32 v48, vcc_lo, v1, s4
	s_cselect_b32 s8, s42, 0xf80
	v_add_co_ci_u32_e32 v49, vcc_lo, s5, v3, vcc_lo
	s_ashr_i32 s9, s8, 31
	s_delay_alu instid0(SALU_CYCLE_1) | instskip(NEXT) | instid1(SALU_CYCLE_1)
	s_lshl_b64 s[4:5], s[8:9], 1
	v_add_co_u32 v50, vcc_lo, v1, s4
	v_add_co_ci_u32_e32 v51, vcc_lo, s5, v3, vcc_lo
	s_clause 0xf
	global_load_u16 v20, v[20:21], off
	global_load_u16 v21, v[22:23], off
	;; [unrolled: 1-line block ×16, first 2 shown]
	s_waitcnt vmcnt(15)
	v_lshlrev_b32_e32 v35, 16, v20
	s_waitcnt vmcnt(14)
	v_lshlrev_b32_e32 v34, 16, v21
	;; [unrolled: 2-line block ×16, first 2 shown]
.LBB613_11:
	ds_load_b128 v[36:39], v2
	ds_load_b128 v[40:43], v2 offset:16
	v_lshlrev_b32_e32 v44, 16, v4
	v_lshlrev_b32_e32 v13, 16, v13
	;; [unrolled: 1-line block ×5, first 2 shown]
	s_load_b64 s[0:1], s[0:1], 0x0
	s_and_b32 vcc_lo, exec_lo, s6
	v_lshlrev_b32_e32 v5, 16, v5
	s_waitcnt lgkmcnt(0)
	v_fma_f32 v4, v36, v13, 0
	s_delay_alu instid0(VALU_DEP_1) | instskip(NEXT) | instid1(VALU_DEP_1)
	v_dual_fmac_f32 v4, v37, v44 :: v_dual_lshlrev_b32 v13, 16, v7
	v_dual_fmac_f32 v4, v38, v10 :: v_dual_lshlrev_b32 v9, 16, v9
	s_delay_alu instid0(VALU_DEP_1) | instskip(SKIP_4) | instid1(VALU_DEP_1)
	v_fmac_f32_e32 v4, v39, v9
	ds_load_b128 v[36:39], v2 offset:48
	v_fmac_f32_e32 v4, v40, v8
	ds_load_b128 v[7:10], v2 offset:32
	v_fmac_f32_e32 v4, v41, v13
	v_fmac_f32_e32 v4, v42, v6
	v_lshlrev_b32_e32 v6, 16, v19
	s_delay_alu instid0(VALU_DEP_2) | instskip(SKIP_1) | instid1(VALU_DEP_1)
	v_dual_fmac_f32 v4, v43, v5 :: v_dual_lshlrev_b32 v5, 16, v18
	s_waitcnt lgkmcnt(0)
	v_fmac_f32_e32 v4, v7, v6
	v_lshlrev_b32_e32 v6, 16, v17
	s_delay_alu instid0(VALU_DEP_2) | instskip(NEXT) | instid1(VALU_DEP_1)
	v_dual_fmac_f32 v4, v8, v5 :: v_dual_lshlrev_b32 v5, 16, v16
	v_fmac_f32_e32 v4, v9, v6
	v_lshlrev_b32_e32 v6, 16, v15
	s_delay_alu instid0(VALU_DEP_2) | instskip(NEXT) | instid1(VALU_DEP_1)
	v_dual_fmac_f32 v4, v10, v5 :: v_dual_lshlrev_b32 v5, 16, v14
	;; [unrolled: 4-line block ×3, first 2 shown]
	v_fmac_f32_e32 v4, v38, v6
	s_delay_alu instid0(VALU_DEP_1)
	v_fmac_f32_e32 v4, v39, v5
	s_cbranch_vccz .LBB613_13
; %bb.12:
	ds_load_b128 v[5:8], v2 offset:64
	ds_load_b128 v[9:12], v2 offset:80
	s_waitcnt lgkmcnt(1)
	v_fmac_f32_e32 v4, v5, v35
	s_delay_alu instid0(VALU_DEP_1) | instskip(NEXT) | instid1(VALU_DEP_1)
	v_fmac_f32_e32 v4, v6, v34
	v_fmac_f32_e32 v4, v7, v33
	s_delay_alu instid0(VALU_DEP_1) | instskip(SKIP_3) | instid1(VALU_DEP_1)
	v_fmac_f32_e32 v4, v8, v32
	ds_load_b128 v[5:8], v2 offset:96
	s_waitcnt lgkmcnt(1)
	v_fmac_f32_e32 v4, v9, v31
	v_fmac_f32_e32 v4, v10, v30
	s_delay_alu instid0(VALU_DEP_1) | instskip(NEXT) | instid1(VALU_DEP_1)
	v_fmac_f32_e32 v4, v11, v29
	v_fmac_f32_e32 v4, v12, v28
	ds_load_b128 v[9:12], v2 offset:112
	s_waitcnt lgkmcnt(1)
	v_fmac_f32_e32 v4, v5, v27
	s_delay_alu instid0(VALU_DEP_1) | instskip(NEXT) | instid1(VALU_DEP_1)
	v_fmac_f32_e32 v4, v6, v26
	v_fmac_f32_e32 v4, v7, v25
	s_delay_alu instid0(VALU_DEP_1) | instskip(SKIP_1) | instid1(VALU_DEP_1)
	v_fmac_f32_e32 v4, v8, v24
	s_waitcnt lgkmcnt(0)
	v_fmac_f32_e32 v4, v9, v23
	s_delay_alu instid0(VALU_DEP_1) | instskip(NEXT) | instid1(VALU_DEP_1)
	v_fmac_f32_e32 v4, v10, v22
	v_fmac_f32_e32 v4, v11, v21
	s_delay_alu instid0(VALU_DEP_1)
	v_fmac_f32_e32 v4, v12, v20
.LBB613_13:
	s_movk_i32 s43, 0x1f80
	s_movk_i32 s44, 0x80
	s_mov_b32 s45, 32
	s_branch .LBB613_15
.LBB613_14:                             ;   in Loop: Header=BB613_15 Depth=1
	s_addk_i32 s43, 0x1000
	s_addk_i32 s44, 0x80
	s_add_i32 s45, s45, 32
	s_cmp_eq_u32 s43, 0x10f80
	s_cbranch_scc1 .LBB613_17
.LBB613_15:                             ; =>This Inner Loop Header: Depth=1
	s_cmp_le_i32 s40, s45
	s_cbranch_scc1 .LBB613_14
; %bb.16:                               ;   in Loop: Header=BB613_15 Depth=1
	s_add_i32 s4, s43, 0xfffff080
	v_mov_b32_e32 v44, s44
	s_cmp_lt_i32 s4, s41
	s_cselect_b32 s4, s4, s42
	s_add_i32 s6, s43, 0xfffff100
	s_ashr_i32 s5, s4, 31
	s_delay_alu instid0(SALU_CYCLE_1)
	s_lshl_b64 s[38:39], s[4:5], 1
	s_cmp_lt_i32 s6, s41
	v_add_co_u32 v5, vcc_lo, v1, s38
	s_cselect_b32 s4, s6, s42
	s_add_i32 s6, s43, 0xfffff180
	s_ashr_i32 s5, s4, 31
	v_add_co_ci_u32_e32 v6, vcc_lo, s39, v3, vcc_lo
	s_lshl_b64 s[4:5], s[4:5], 1
	s_cmp_lt_i32 s6, s41
	s_cselect_b32 s6, s6, s42
	s_add_i32 s8, s43, 0xfffff200
	s_ashr_i32 s7, s6, 31
	global_load_u16 v2, v[5:6], off
	s_lshl_b64 s[6:7], s[6:7], 1
	s_cmp_lt_i32 s8, s41
	v_add_co_u32 v5, vcc_lo, v1, s4
	s_cselect_b32 s8, s8, s42
	s_add_i32 s10, s43, 0xfffff280
	s_ashr_i32 s9, s8, 31
	v_add_co_ci_u32_e32 v6, vcc_lo, s5, v3, vcc_lo
	s_lshl_b64 s[8:9], s[8:9], 1
	s_cmp_lt_i32 s10, s41
	v_add_co_u32 v7, vcc_lo, v1, s6
	s_cselect_b32 s10, s10, s42
	s_add_i32 s18, s43, 0xfffff300
	s_ashr_i32 s11, s10, 31
	v_add_co_ci_u32_e32 v8, vcc_lo, s7, v3, vcc_lo
	s_lshl_b64 s[10:11], s[10:11], 1
	s_cmp_lt_i32 s18, s41
	v_add_co_u32 v9, vcc_lo, v1, s8
	s_cselect_b32 s18, s18, s42
	s_add_i32 s20, s43, 0xfffff380
	s_ashr_i32 s19, s18, 31
	s_clause 0x1
	global_load_u16 v23, v[5:6], off
	global_load_u16 v24, v[7:8], off
	s_lshl_b64 s[18:19], s[18:19], 1
	s_cmp_lt_i32 s20, s41
	v_add_co_ci_u32_e32 v10, vcc_lo, s9, v3, vcc_lo
	s_cselect_b32 s20, s20, s42
	s_add_i32 s22, s43, 0xfffff400
	s_ashr_i32 s21, s20, 31
	global_load_u16 v25, v[9:10], off
	s_lshl_b64 s[20:21], s[20:21], 1
	s_cmp_lt_i32 s22, s41
	v_add_co_u32 v11, vcc_lo, v1, s10
	s_cselect_b32 s22, s22, s42
	s_add_i32 s24, s43, 0xfffff480
	s_ashr_i32 s23, s22, 31
	v_add_co_ci_u32_e32 v12, vcc_lo, s11, v3, vcc_lo
	s_lshl_b64 s[22:23], s[22:23], 1
	s_cmp_lt_i32 s24, s41
	v_add_co_u32 v13, vcc_lo, v1, s18
	global_load_u16 v26, v[11:12], off
	s_cselect_b32 s24, s24, s42
	s_add_i32 s26, s43, 0xfffff500
	s_ashr_i32 s25, s24, 31
	v_add_co_ci_u32_e32 v14, vcc_lo, s19, v3, vcc_lo
	s_lshl_b64 s[24:25], s[24:25], 1
	s_cmp_lt_i32 s26, s41
	v_add_co_u32 v15, vcc_lo, v1, s20
	global_load_u16 v27, v[13:14], off
	s_cselect_b32 s26, s26, s42
	s_add_i32 s28, s43, 0xfffff580
	s_ashr_i32 s27, s26, 31
	v_add_co_ci_u32_e32 v16, vcc_lo, s21, v3, vcc_lo
	s_lshl_b64 s[36:37], s[26:27], 1
	s_cmp_lt_i32 s28, s41
	v_add_co_u32 v17, vcc_lo, v1, s22
	s_cselect_b32 s26, s28, s42
	s_add_i32 s30, s43, 0xfffff600
	s_ashr_i32 s27, s26, 31
	v_add_co_ci_u32_e32 v18, vcc_lo, s23, v3, vcc_lo
	s_lshl_b64 s[28:29], s[26:27], 1
	s_cmp_lt_i32 s30, s41
	v_add_co_u32 v19, vcc_lo, v1, s24
	global_load_u16 v17, v[17:18], off
	s_cselect_b32 s26, s30, s42
	s_add_i32 s30, s43, 0xfffff680
	s_ashr_i32 s27, s26, 31
	v_add_co_ci_u32_e32 v20, vcc_lo, s25, v3, vcc_lo
	s_lshl_b64 s[26:27], s[26:27], 1
	s_cmp_lt_i32 s30, s41
	v_add_co_u32 v21, vcc_lo, v1, s36
	s_cselect_b32 s30, s30, s42
	s_add_i32 s46, s43, 0xfffff700
	s_ashr_i32 s31, s30, 31
	v_add_co_ci_u32_e32 v22, vcc_lo, s37, v3, vcc_lo
	s_lshl_b64 s[34:35], s[30:31], 1
	s_cmp_lt_i32 s46, s41
	v_add_co_u32 v5, vcc_lo, v1, s28
	;; [unrolled: 7-line block ×3, first 2 shown]
	s_cselect_b32 s46, s46, s42
	s_add_i32 s48, s43, 0xfffff800
	s_ashr_i32 s47, s46, 31
	global_load_u16 v28, v[15:16], off
	s_lshl_b64 s[38:39], s[46:47], 1
	s_cmp_lt_i32 s48, s41
	v_add_co_ci_u32_e32 v8, vcc_lo, s27, v3, vcc_lo
	s_cselect_b32 s46, s48, s42
	v_add_co_u32 v9, vcc_lo, v1, s34
	s_ashr_i32 s47, s46, 31
	s_add_i32 s4, s43, 0xfffff880
	s_lshl_b64 s[46:47], s[46:47], 1
	v_add_co_ci_u32_e32 v10, vcc_lo, s35, v3, vcc_lo
	s_cmp_lt_i32 s4, s41
	v_add_co_u32 v11, vcc_lo, v1, s30
	s_cselect_b32 s4, s4, s42
	v_add_co_ci_u32_e32 v12, vcc_lo, s31, v3, vcc_lo
	v_add_co_u32 v13, vcc_lo, v1, s38
	s_ashr_i32 s5, s4, 31
	s_add_i32 s6, s43, 0xfffff900
	v_add_co_ci_u32_e32 v14, vcc_lo, s39, v3, vcc_lo
	global_load_u16 v18, v[19:20], off
	s_lshl_b64 s[8:9], s[4:5], 1
	s_cmp_lt_i32 s6, s41
	global_load_u16 v30, v[13:14], off
	s_cselect_b32 s4, s6, s42
	global_load_u16 v19, v[21:22], off
	s_ashr_i32 s5, s4, 31
	s_add_i32 s6, s43, 0xfffff980
	s_lshl_b64 s[10:11], s[4:5], 1
	s_cmp_lt_i32 s6, s41
	s_clause 0x3
	global_load_u16 v20, v[5:6], off
	global_load_u16 v21, v[7:8], off
	;; [unrolled: 1-line block ×4, first 2 shown]
	s_cselect_b32 s4, s6, s42
	s_add_i32 s6, s43, 0xfffffa00
	s_ashr_i32 s5, s4, 31
	v_add_co_u32 v15, vcc_lo, v1, s46
	s_lshl_b64 s[4:5], s[4:5], 1
	s_cmp_lt_i32 s6, s41
	v_add_co_ci_u32_e32 v16, vcc_lo, s47, v3, vcc_lo
	s_cselect_b32 s6, s6, s42
	s_add_i32 s18, s43, 0xfffffa80
	s_ashr_i32 s7, s6, 31
	v_add_co_u32 v5, vcc_lo, v1, s8
	s_lshl_b64 s[6:7], s[6:7], 1
	s_cmp_lt_i32 s18, s41
	v_add_co_ci_u32_e32 v6, vcc_lo, s9, v3, vcc_lo
	s_cselect_b32 s18, s18, s42
	v_add_co_u32 v7, vcc_lo, v1, s10
	s_ashr_i32 s19, s18, 31
	s_add_i32 s20, s43, 0xfffffb00
	s_lshl_b64 s[18:19], s[18:19], 1
	v_add_co_ci_u32_e32 v8, vcc_lo, s11, v3, vcc_lo
	s_cmp_lt_i32 s20, s41
	v_add_co_u32 v9, vcc_lo, v1, s4
	s_cselect_b32 s20, s20, s42
	v_add_co_ci_u32_e32 v10, vcc_lo, s5, v3, vcc_lo
	v_add_co_u32 v11, vcc_lo, v1, s6
	s_ashr_i32 s21, s20, 31
	s_add_i32 s22, s43, 0xfffffb80
	v_add_co_ci_u32_e32 v12, vcc_lo, s7, v3, vcc_lo
	global_load_u16 v15, v[15:16], off
	s_lshl_b64 s[20:21], s[20:21], 1
	s_cmp_lt_i32 s22, s41
	global_load_u16 v33, v[11:12], off
	s_cselect_b32 s22, s22, s42
	s_clause 0x2
	global_load_u16 v16, v[5:6], off
	global_load_u16 v31, v[7:8], off
	;; [unrolled: 1-line block ×3, first 2 shown]
	s_ashr_i32 s23, s22, 31
	s_add_i32 s24, s43, 0xfffffc00
	s_lshl_b64 s[22:23], s[22:23], 1
	s_cmp_lt_i32 s24, s41
	v_add_co_u32 v13, vcc_lo, v1, s18
	s_cselect_b32 s24, s24, s42
	s_add_i32 s26, s43, 0xfffffc80
	s_ashr_i32 s25, s24, 31
	v_add_co_ci_u32_e32 v14, vcc_lo, s19, v3, vcc_lo
	s_lshl_b64 s[24:25], s[24:25], 1
	s_cmp_lt_i32 s26, s41
	v_add_co_u32 v5, vcc_lo, v1, s20
	s_cselect_b32 s8, s26, s42
	v_add_co_ci_u32_e32 v6, vcc_lo, s21, v3, vcc_lo
	s_ashr_i32 s9, s8, 31
	v_add_co_u32 v7, vcc_lo, v1, s22
	s_add_i32 s10, s43, 0xfffffd00
	s_lshl_b64 s[8:9], s[8:9], 1
	v_add_co_ci_u32_e32 v8, vcc_lo, s23, v3, vcc_lo
	s_cmp_lt_i32 s10, s41
	v_add_co_u32 v9, vcc_lo, v1, s24
	s_cselect_b32 s4, s10, s42
	global_load_u16 v13, v[13:14], off
	v_add_co_ci_u32_e32 v10, vcc_lo, s25, v3, vcc_lo
	s_ashr_i32 s5, s4, 31
	s_add_i32 s6, s43, 0xfffffd80
	s_lshl_b64 s[4:5], s[4:5], 1
	global_load_u16 v35, v[9:10], off
	s_cmp_lt_i32 s6, s41
	s_clause 0x1
	global_load_u16 v14, v[5:6], off
	global_load_u16 v34, v[7:8], off
	s_cselect_b32 s6, s6, s42
	s_add_i32 s10, s43, 0xfffffe00
	s_ashr_i32 s7, s6, 31
	v_add_co_u32 v5, vcc_lo, v1, s8
	s_lshl_b64 s[6:7], s[6:7], 1
	s_cmp_lt_i32 s10, s41
	v_add_co_ci_u32_e32 v6, vcc_lo, s9, v3, vcc_lo
	s_cselect_b32 s10, s10, s42
	v_add_co_u32 v7, vcc_lo, v1, s4
	s_ashr_i32 s11, s10, 31
	v_add_co_ci_u32_e32 v8, vcc_lo, s5, v3, vcc_lo
	s_add_i32 s18, s43, 0xfffffe80
	s_lshl_b64 s[10:11], s[10:11], 1
	s_cmp_lt_i32 s18, s41
	s_clause 0x1
	global_load_u16 v36, v[5:6], off
	global_load_u16 v37, v[7:8], off
	s_cselect_b32 s18, s18, s42
	v_add_co_u32 v5, vcc_lo, v1, s6
	s_ashr_i32 s19, s18, 31
	v_add_co_ci_u32_e32 v6, vcc_lo, s7, v3, vcc_lo
	s_add_i32 s20, s43, 0xffffff00
	v_add_co_u32 v7, vcc_lo, v1, s10
	s_lshl_b64 s[8:9], s[18:19], 1
	s_cmp_lt_i32 s20, s41
	v_add_co_ci_u32_e32 v8, vcc_lo, s11, v3, vcc_lo
	s_cselect_b32 s4, s20, s42
	global_load_u16 v38, v[5:6], off
	s_ashr_i32 s5, s4, 31
	global_load_u16 v39, v[7:8], off
	s_add_i32 s18, s43, 0xffffff80
	v_add_co_u32 v5, vcc_lo, v1, s8
	s_lshl_b64 s[4:5], s[4:5], 1
	s_cmp_lt_i32 s18, s41
	v_add_co_ci_u32_e32 v6, vcc_lo, s9, v3, vcc_lo
	v_add_co_u32 v7, vcc_lo, v1, s4
	s_cselect_b32 s6, s18, s42
	v_add_co_ci_u32_e32 v8, vcc_lo, s5, v3, vcc_lo
	s_ashr_i32 s7, s6, 31
	global_load_u16 v40, v[5:6], off
	s_lshl_b64 s[6:7], s[6:7], 1
	global_load_u16 v41, v[7:8], off
	s_cmp_lt_i32 s43, s41
	v_add_co_u32 v5, vcc_lo, v1, s6
	s_cselect_b32 s4, s43, s42
	v_add_co_ci_u32_e32 v6, vcc_lo, s7, v3, vcc_lo
	s_ashr_i32 s5, s4, 31
	s_delay_alu instid0(SALU_CYCLE_1)
	s_lshl_b64 s[4:5], s[4:5], 1
	global_load_u16 v42, v[5:6], off
	v_add_co_u32 v5, vcc_lo, v1, s4
	v_add_co_ci_u32_e32 v6, vcc_lo, s5, v3, vcc_lo
	global_load_u16 v43, v[5:6], off
	ds_load_b128 v[5:8], v44
	ds_load_b128 v[9:12], v44 offset:16
	s_waitcnt vmcnt(31)
	v_lshlrev_b32_e32 v2, 16, v2
	s_waitcnt lgkmcnt(1)
	s_delay_alu instid0(VALU_DEP_1) | instskip(SKIP_2) | instid1(VALU_DEP_1)
	v_fmac_f32_e32 v4, v5, v2
	s_waitcnt vmcnt(30)
	v_lshlrev_b32_e32 v2, 16, v23
	v_fmac_f32_e32 v4, v6, v2
	s_waitcnt vmcnt(29)
	v_lshlrev_b32_e32 v2, 16, v24
	s_delay_alu instid0(VALU_DEP_1) | instskip(SKIP_2) | instid1(VALU_DEP_1)
	v_fmac_f32_e32 v4, v7, v2
	s_waitcnt vmcnt(28)
	v_lshlrev_b32_e32 v2, 16, v25
	v_fmac_f32_e32 v4, v8, v2
	ds_load_b128 v[5:8], v44 offset:32
	s_waitcnt vmcnt(27)
	v_lshlrev_b32_e32 v2, 16, v26
	s_waitcnt lgkmcnt(1)
	s_delay_alu instid0(VALU_DEP_1) | instskip(SKIP_2) | instid1(VALU_DEP_1)
	v_fmac_f32_e32 v4, v9, v2
	s_waitcnt vmcnt(26)
	v_lshlrev_b32_e32 v2, 16, v27
	v_fmac_f32_e32 v4, v10, v2
	s_waitcnt vmcnt(24)
	v_lshlrev_b32_e32 v2, 16, v28
	s_delay_alu instid0(VALU_DEP_1) | instskip(SKIP_1) | instid1(VALU_DEP_1)
	v_fmac_f32_e32 v4, v11, v2
	v_lshlrev_b32_e32 v2, 16, v17
	v_fmac_f32_e32 v4, v12, v2
	ds_load_b128 v[9:12], v44 offset:48
	s_waitcnt vmcnt(23)
	v_lshlrev_b32_e32 v2, 16, v18
	s_waitcnt lgkmcnt(1)
	s_delay_alu instid0(VALU_DEP_1) | instskip(SKIP_2) | instid1(VALU_DEP_1)
	v_fmac_f32_e32 v4, v5, v2
	s_waitcnt vmcnt(21)
	v_lshlrev_b32_e32 v2, 16, v19
	v_fmac_f32_e32 v4, v6, v2
	s_waitcnt vmcnt(20)
	v_lshlrev_b32_e32 v2, 16, v20
	s_delay_alu instid0(VALU_DEP_1) | instskip(SKIP_2) | instid1(VALU_DEP_1)
	v_fmac_f32_e32 v4, v7, v2
	s_waitcnt vmcnt(19)
	v_lshlrev_b32_e32 v2, 16, v21
	v_fmac_f32_e32 v4, v8, v2
	s_waitcnt vmcnt(18)
	v_lshlrev_b32_e32 v2, 16, v22
	ds_load_b128 v[5:8], v44 offset:64
	s_waitcnt lgkmcnt(1)
	v_fmac_f32_e32 v4, v9, v2
	s_waitcnt vmcnt(17)
	v_lshlrev_b32_e32 v2, 16, v29
	s_delay_alu instid0(VALU_DEP_1) | instskip(SKIP_1) | instid1(VALU_DEP_1)
	v_fmac_f32_e32 v4, v10, v2
	v_lshlrev_b32_e32 v2, 16, v30
	v_fmac_f32_e32 v4, v11, v2
	s_waitcnt vmcnt(16)
	v_lshlrev_b32_e32 v2, 16, v15
	s_delay_alu instid0(VALU_DEP_1) | instskip(SKIP_4) | instid1(VALU_DEP_1)
	v_fmac_f32_e32 v4, v12, v2
	ds_load_b128 v[9:12], v44 offset:80
	s_waitcnt vmcnt(14)
	v_lshlrev_b32_e32 v2, 16, v16
	s_waitcnt lgkmcnt(1)
	v_fmac_f32_e32 v4, v5, v2
	s_waitcnt vmcnt(13)
	v_lshlrev_b32_e32 v2, 16, v31
	s_delay_alu instid0(VALU_DEP_1) | instskip(SKIP_2) | instid1(VALU_DEP_1)
	v_fmac_f32_e32 v4, v6, v2
	s_waitcnt vmcnt(12)
	v_lshlrev_b32_e32 v2, 16, v32
	v_fmac_f32_e32 v4, v7, v2
	v_lshlrev_b32_e32 v2, 16, v33
	s_delay_alu instid0(VALU_DEP_1) | instskip(SKIP_4) | instid1(VALU_DEP_1)
	v_fmac_f32_e32 v4, v8, v2
	ds_load_b128 v[5:8], v44 offset:96
	s_waitcnt vmcnt(11)
	v_lshlrev_b32_e32 v2, 16, v13
	s_waitcnt lgkmcnt(1)
	v_fmac_f32_e32 v4, v9, v2
	s_waitcnt vmcnt(9)
	v_lshlrev_b32_e32 v2, 16, v14
	s_delay_alu instid0(VALU_DEP_1) | instskip(SKIP_2) | instid1(VALU_DEP_1)
	v_fmac_f32_e32 v4, v10, v2
	s_waitcnt vmcnt(8)
	v_lshlrev_b32_e32 v2, 16, v34
	v_fmac_f32_e32 v4, v11, v2
	;; [unrolled: 15-line block ×3, first 2 shown]
	s_waitcnt vmcnt(4)
	v_lshlrev_b32_e32 v2, 16, v39
	s_delay_alu instid0(VALU_DEP_1) | instskip(SKIP_3) | instid1(VALU_DEP_1)
	v_fmac_f32_e32 v4, v8, v2
	s_waitcnt vmcnt(3)
	v_lshlrev_b32_e32 v2, 16, v40
	s_waitcnt lgkmcnt(0)
	v_fmac_f32_e32 v4, v9, v2
	s_waitcnt vmcnt(2)
	v_lshlrev_b32_e32 v2, 16, v41
	s_delay_alu instid0(VALU_DEP_1) | instskip(SKIP_2) | instid1(VALU_DEP_1)
	v_fmac_f32_e32 v4, v10, v2
	s_waitcnt vmcnt(1)
	v_lshlrev_b32_e32 v2, 16, v42
	v_fmac_f32_e32 v4, v11, v2
	s_waitcnt vmcnt(0)
	v_lshlrev_b32_e32 v2, 16, v43
	s_delay_alu instid0(VALU_DEP_1)
	v_fmac_f32_e32 v4, v12, v2
	s_branch .LBB613_14
.LBB613_17:
	v_mov_b32_e32 v1, 0
	s_and_b32 vcc_lo, exec_lo, s15
	ds_load_b32 v1, v1 offset:2048
	s_cbranch_vccz .LBB613_19
; %bb.18:
	s_add_u32 s2, s12, s16
	s_addc_u32 s3, s13, s17
	s_load_b32 s2, s[2:3], 0x0
	s_mov_b32 s3, 0
.LBB613_19:
	s_waitcnt lgkmcnt(0)
	v_add_f32_e32 v1, 0x358637bd, v1
	s_delay_alu instid0(VALU_DEP_1) | instskip(NEXT) | instid1(VALU_DEP_1)
	v_div_scale_f32 v2, null, v1, v1, 1.0
	v_rcp_f32_e32 v3, v2
	s_waitcnt_depctr 0xfff
	v_fma_f32 v5, -v2, v3, 1.0
	s_delay_alu instid0(VALU_DEP_1) | instskip(SKIP_1) | instid1(VALU_DEP_1)
	v_fmac_f32_e32 v3, v5, v3
	v_div_scale_f32 v5, vcc_lo, 1.0, v1, 1.0
	v_mul_f32_e32 v6, v5, v3
	s_delay_alu instid0(VALU_DEP_1) | instskip(NEXT) | instid1(VALU_DEP_1)
	v_fma_f32 v7, -v2, v6, v5
	v_fmac_f32_e32 v6, v7, v3
	s_delay_alu instid0(VALU_DEP_1) | instskip(NEXT) | instid1(VALU_DEP_1)
	v_fma_f32 v2, -v2, v6, v5
	v_div_fmas_f32 v2, v2, v3, v6
	s_delay_alu instid0(VALU_DEP_1) | instskip(NEXT) | instid1(VALU_DEP_1)
	v_div_fixup_f32 v1, v2, v1, 1.0
	v_mul_f32_e32 v2, v4, v1
	s_delay_alu instid0(VALU_DEP_1) | instskip(NEXT) | instid1(VALU_DEP_1)
	v_and_b32_e32 v1, 0x7f800000, v2
	v_cmp_ne_u32_e32 vcc_lo, 0x7f800000, v1
                                        ; implicit-def: $vgpr1
	s_and_saveexec_b32 s4, vcc_lo
	s_delay_alu instid0(SALU_CYCLE_1)
	s_xor_b32 s4, exec_lo, s4
; %bb.20:
	v_bfe_u32 v1, v2, 16, 1
	s_delay_alu instid0(VALU_DEP_1)
	v_add3_u32 v1, v2, v1, 0x7fff
                                        ; implicit-def: $vgpr2
; %bb.21:
	s_and_not1_saveexec_b32 s4, s4
; %bb.22:
	v_and_b32_e32 v1, 0xffff, v2
	v_or_b32_e32 v3, 0x10000, v2
	s_delay_alu instid0(VALU_DEP_2) | instskip(NEXT) | instid1(VALU_DEP_2)
	v_cmp_eq_u32_e32 vcc_lo, 0, v1
	v_cndmask_b32_e32 v1, v3, v2, vcc_lo
; %bb.23:
	s_or_b32 exec_lo, exec_lo, s4
	s_mul_i32 s3, s33, s3
	s_mul_hi_u32 s4, s33, s2
	s_mul_i32 s2, s33, s2
	s_add_i32 s3, s4, s3
	s_mov_b32 s15, 0
	s_lshl_b64 s[2:3], s[2:3], 7
	v_and_b32_e32 v1, 0xffff0000, v1
	s_add_u32 s2, s0, s2
	s_addc_u32 s3, s1, s3
	s_lshl_b64 s[0:1], s[14:15], 7
	s_delay_alu instid0(SALU_CYCLE_1)
	s_add_u32 s0, s2, s0
	s_addc_u32 s1, s3, s1
	v_add_co_u32 v0, s0, s0, v0
	v_cvt_i32_f32_e32 v2, v1
	v_add_co_ci_u32_e64 v1, null, s1, 0, s0
	global_store_b8 v[0:1], v2, off
	s_nop 0
	s_sendmsg sendmsg(MSG_DEALLOC_VGPRS)
	s_endpgm
.LBB613_24:
	s_mov_b32 s4, 0
	s_branch .LBB613_2
	.section	.rodata,"a",@progbits
	.p2align	6, 0x0
	.amdhsa_kernel _Z35paged_attention_ll4mi_reduce_kernelI14__hip_bfloat16hLi128ELi128ELi256ELi16EEvPT0_PKfS4_PKT_PKiS9_iS4_
		.amdhsa_group_segment_fixed_size 2052
		.amdhsa_private_segment_fixed_size 0
		.amdhsa_kernarg_size 320
		.amdhsa_user_sgpr_count 14
		.amdhsa_user_sgpr_dispatch_ptr 0
		.amdhsa_user_sgpr_queue_ptr 0
		.amdhsa_user_sgpr_kernarg_segment_ptr 1
		.amdhsa_user_sgpr_dispatch_id 0
		.amdhsa_user_sgpr_private_segment_size 0
		.amdhsa_wavefront_size32 1
		.amdhsa_uses_dynamic_stack 0
		.amdhsa_enable_private_segment 0
		.amdhsa_system_sgpr_workgroup_id_x 1
		.amdhsa_system_sgpr_workgroup_id_y 1
		.amdhsa_system_sgpr_workgroup_id_z 0
		.amdhsa_system_sgpr_workgroup_info 0
		.amdhsa_system_vgpr_workitem_id 0
		.amdhsa_next_free_vgpr 87
		.amdhsa_next_free_sgpr 49
		.amdhsa_reserve_vcc 1
		.amdhsa_float_round_mode_32 0
		.amdhsa_float_round_mode_16_64 0
		.amdhsa_float_denorm_mode_32 3
		.amdhsa_float_denorm_mode_16_64 3
		.amdhsa_dx10_clamp 1
		.amdhsa_ieee_mode 1
		.amdhsa_fp16_overflow 0
		.amdhsa_workgroup_processor_mode 1
		.amdhsa_memory_ordered 1
		.amdhsa_forward_progress 0
		.amdhsa_shared_vgpr_count 0
		.amdhsa_exception_fp_ieee_invalid_op 0
		.amdhsa_exception_fp_denorm_src 0
		.amdhsa_exception_fp_ieee_div_zero 0
		.amdhsa_exception_fp_ieee_overflow 0
		.amdhsa_exception_fp_ieee_underflow 0
		.amdhsa_exception_fp_ieee_inexact 0
		.amdhsa_exception_int_div_zero 0
	.end_amdhsa_kernel
	.section	.text._Z35paged_attention_ll4mi_reduce_kernelI14__hip_bfloat16hLi128ELi128ELi256ELi16EEvPT0_PKfS4_PKT_PKiS9_iS4_,"axG",@progbits,_Z35paged_attention_ll4mi_reduce_kernelI14__hip_bfloat16hLi128ELi128ELi256ELi16EEvPT0_PKfS4_PKT_PKiS9_iS4_,comdat
.Lfunc_end613:
	.size	_Z35paged_attention_ll4mi_reduce_kernelI14__hip_bfloat16hLi128ELi128ELi256ELi16EEvPT0_PKfS4_PKT_PKiS9_iS4_, .Lfunc_end613-_Z35paged_attention_ll4mi_reduce_kernelI14__hip_bfloat16hLi128ELi128ELi256ELi16EEvPT0_PKfS4_PKT_PKiS9_iS4_
                                        ; -- End function
	.section	.AMDGPU.csdata,"",@progbits
; Kernel info:
; codeLenInByte = 8408
; NumSgprs: 51
; NumVgprs: 87
; ScratchSize: 0
; MemoryBound: 0
; FloatMode: 240
; IeeeMode: 1
; LDSByteSize: 2052 bytes/workgroup (compile time only)
; SGPRBlocks: 6
; VGPRBlocks: 10
; NumSGPRsForWavesPerEU: 51
; NumVGPRsForWavesPerEU: 87
; Occupancy: 16
; WaveLimiterHint : 0
; COMPUTE_PGM_RSRC2:SCRATCH_EN: 0
; COMPUTE_PGM_RSRC2:USER_SGPR: 14
; COMPUTE_PGM_RSRC2:TRAP_HANDLER: 0
; COMPUTE_PGM_RSRC2:TGID_X_EN: 1
; COMPUTE_PGM_RSRC2:TGID_Y_EN: 1
; COMPUTE_PGM_RSRC2:TGID_Z_EN: 0
; COMPUTE_PGM_RSRC2:TIDIG_COMP_CNT: 0
	.section	.text._Z38paged_attention_ll4mi_QKV_mfma4_kernelI14__hip_bfloat16S0_LN4vllm18Fp8KVCacheDataTypeE0EhLi16ELi128ELi256ELb0ELi1EEvPKT_PKT0_S8_ifPKiSA_SA_iPKfiiiPfSD_PS3_PT2_iSC_SC_,"axG",@progbits,_Z38paged_attention_ll4mi_QKV_mfma4_kernelI14__hip_bfloat16S0_LN4vllm18Fp8KVCacheDataTypeE0EhLi16ELi128ELi256ELb0ELi1EEvPKT_PKT0_S8_ifPKiSA_SA_iPKfiiiPfSD_PS3_PT2_iSC_SC_,comdat
	.protected	_Z38paged_attention_ll4mi_QKV_mfma4_kernelI14__hip_bfloat16S0_LN4vllm18Fp8KVCacheDataTypeE0EhLi16ELi128ELi256ELb0ELi1EEvPKT_PKT0_S8_ifPKiSA_SA_iPKfiiiPfSD_PS3_PT2_iSC_SC_ ; -- Begin function _Z38paged_attention_ll4mi_QKV_mfma4_kernelI14__hip_bfloat16S0_LN4vllm18Fp8KVCacheDataTypeE0EhLi16ELi128ELi256ELb0ELi1EEvPKT_PKT0_S8_ifPKiSA_SA_iPKfiiiPfSD_PS3_PT2_iSC_SC_
	.globl	_Z38paged_attention_ll4mi_QKV_mfma4_kernelI14__hip_bfloat16S0_LN4vllm18Fp8KVCacheDataTypeE0EhLi16ELi128ELi256ELb0ELi1EEvPKT_PKT0_S8_ifPKiSA_SA_iPKfiiiPfSD_PS3_PT2_iSC_SC_
	.p2align	8
	.type	_Z38paged_attention_ll4mi_QKV_mfma4_kernelI14__hip_bfloat16S0_LN4vllm18Fp8KVCacheDataTypeE0EhLi16ELi128ELi256ELb0ELi1EEvPKT_PKT0_S8_ifPKiSA_SA_iPKfiiiPfSD_PS3_PT2_iSC_SC_,@function
_Z38paged_attention_ll4mi_QKV_mfma4_kernelI14__hip_bfloat16S0_LN4vllm18Fp8KVCacheDataTypeE0EhLi16ELi128ELi256ELb0ELi1EEvPKT_PKT0_S8_ifPKiSA_SA_iPKfiiiPfSD_PS3_PT2_iSC_SC_: ; @_Z38paged_attention_ll4mi_QKV_mfma4_kernelI14__hip_bfloat16S0_LN4vllm18Fp8KVCacheDataTypeE0EhLi16ELi128ELi256ELb0ELi1EEvPKT_PKT0_S8_ifPKiSA_SA_iPKfiiiPfSD_PS3_PT2_iSC_SC_
; %bb.0:
	s_add_u32 s8, s0, 0x90
	s_addc_u32 s9, s1, 0
	s_getpc_b64 s[0:1]
	s_add_u32 s0, s0, __PRETTY_FUNCTION__._Z38paged_attention_ll4mi_QKV_mfma4_kernelI14__hip_bfloat16S0_LN4vllm18Fp8KVCacheDataTypeE0EhLi16ELi128ELi256ELb0ELi1EEvPKT_PKT0_S8_ifPKiSA_SA_iPKfiiiPfSD_PS3_PT2_iSC_SC_@rel32@lo+4
	s_addc_u32 s1, s1, __PRETTY_FUNCTION__._Z38paged_attention_ll4mi_QKV_mfma4_kernelI14__hip_bfloat16S0_LN4vllm18Fp8KVCacheDataTypeE0EhLi16ELi128ELi256ELb0ELi1EEvPKT_PKT0_S8_ifPKiSA_SA_iPKfiiiPfSD_PS3_PT2_iSC_SC_@rel32@hi+12
	s_delay_alu instid0(SALU_CYCLE_1) | instskip(SKIP_4) | instid1(SALU_CYCLE_1)
	v_dual_mov_b32 v0, s0 :: v_dual_mov_b32 v1, s1
	s_mov_b32 s32, 0
	s_getpc_b64 s[2:3]
	s_add_u32 s2, s2, __assert_fail@rel32@lo+4
	s_addc_u32 s3, s3, __assert_fail@rel32@hi+12
	s_swappc_b64 s[30:31], s[2:3]
	.section	.rodata,"a",@progbits
	.p2align	6, 0x0
	.amdhsa_kernel _Z38paged_attention_ll4mi_QKV_mfma4_kernelI14__hip_bfloat16S0_LN4vllm18Fp8KVCacheDataTypeE0EhLi16ELi128ELi256ELb0ELi1EEvPKT_PKT0_S8_ifPKiSA_SA_iPKfiiiPfSD_PS3_PT2_iSC_SC_
		.amdhsa_group_segment_fixed_size 0
		.amdhsa_private_segment_fixed_size 64
		.amdhsa_kernarg_size 400
		.amdhsa_user_sgpr_count 15
		.amdhsa_user_sgpr_dispatch_ptr 0
		.amdhsa_user_sgpr_queue_ptr 0
		.amdhsa_user_sgpr_kernarg_segment_ptr 1
		.amdhsa_user_sgpr_dispatch_id 0
		.amdhsa_user_sgpr_private_segment_size 0
		.amdhsa_wavefront_size32 1
		.amdhsa_uses_dynamic_stack 0
		.amdhsa_enable_private_segment 1
		.amdhsa_system_sgpr_workgroup_id_x 1
		.amdhsa_system_sgpr_workgroup_id_y 0
		.amdhsa_system_sgpr_workgroup_id_z 0
		.amdhsa_system_sgpr_workgroup_info 0
		.amdhsa_system_vgpr_workitem_id 0
		.amdhsa_next_free_vgpr 41
		.amdhsa_next_free_sgpr 34
		.amdhsa_reserve_vcc 1
		.amdhsa_float_round_mode_32 0
		.amdhsa_float_round_mode_16_64 0
		.amdhsa_float_denorm_mode_32 3
		.amdhsa_float_denorm_mode_16_64 3
		.amdhsa_dx10_clamp 1
		.amdhsa_ieee_mode 1
		.amdhsa_fp16_overflow 0
		.amdhsa_workgroup_processor_mode 1
		.amdhsa_memory_ordered 1
		.amdhsa_forward_progress 0
		.amdhsa_shared_vgpr_count 0
		.amdhsa_exception_fp_ieee_invalid_op 0
		.amdhsa_exception_fp_denorm_src 0
		.amdhsa_exception_fp_ieee_div_zero 0
		.amdhsa_exception_fp_ieee_overflow 0
		.amdhsa_exception_fp_ieee_underflow 0
		.amdhsa_exception_fp_ieee_inexact 0
		.amdhsa_exception_int_div_zero 0
	.end_amdhsa_kernel
	.section	.text._Z38paged_attention_ll4mi_QKV_mfma4_kernelI14__hip_bfloat16S0_LN4vllm18Fp8KVCacheDataTypeE0EhLi16ELi128ELi256ELb0ELi1EEvPKT_PKT0_S8_ifPKiSA_SA_iPKfiiiPfSD_PS3_PT2_iSC_SC_,"axG",@progbits,_Z38paged_attention_ll4mi_QKV_mfma4_kernelI14__hip_bfloat16S0_LN4vllm18Fp8KVCacheDataTypeE0EhLi16ELi128ELi256ELb0ELi1EEvPKT_PKT0_S8_ifPKiSA_SA_iPKfiiiPfSD_PS3_PT2_iSC_SC_,comdat
.Lfunc_end614:
	.size	_Z38paged_attention_ll4mi_QKV_mfma4_kernelI14__hip_bfloat16S0_LN4vllm18Fp8KVCacheDataTypeE0EhLi16ELi128ELi256ELb0ELi1EEvPKT_PKT0_S8_ifPKiSA_SA_iPKfiiiPfSD_PS3_PT2_iSC_SC_, .Lfunc_end614-_Z38paged_attention_ll4mi_QKV_mfma4_kernelI14__hip_bfloat16S0_LN4vllm18Fp8KVCacheDataTypeE0EhLi16ELi128ELi256ELb0ELi1EEvPKT_PKT0_S8_ifPKiSA_SA_iPKfiiiPfSD_PS3_PT2_iSC_SC_
                                        ; -- End function
	.section	.AMDGPU.csdata,"",@progbits
; Kernel info:
; codeLenInByte = 72
; NumSgprs: 36
; NumVgprs: 41
; ScratchSize: 64
; MemoryBound: 0
; FloatMode: 240
; IeeeMode: 1
; LDSByteSize: 0 bytes/workgroup (compile time only)
; SGPRBlocks: 4
; VGPRBlocks: 5
; NumSGPRsForWavesPerEU: 36
; NumVGPRsForWavesPerEU: 41
; Occupancy: 16
; WaveLimiterHint : 1
; COMPUTE_PGM_RSRC2:SCRATCH_EN: 1
; COMPUTE_PGM_RSRC2:USER_SGPR: 15
; COMPUTE_PGM_RSRC2:TRAP_HANDLER: 0
; COMPUTE_PGM_RSRC2:TGID_X_EN: 1
; COMPUTE_PGM_RSRC2:TGID_Y_EN: 0
; COMPUTE_PGM_RSRC2:TGID_Z_EN: 0
; COMPUTE_PGM_RSRC2:TIDIG_COMP_CNT: 0
	.section	.text._Z38paged_attention_ll4mi_QKV_mfma4_kernelI14__hip_bfloat16S0_LN4vllm18Fp8KVCacheDataTypeE0EhLi16ELi128ELi256ELb0ELi2EEvPKT_PKT0_S8_ifPKiSA_SA_iPKfiiiPfSD_PS3_PT2_iSC_SC_,"axG",@progbits,_Z38paged_attention_ll4mi_QKV_mfma4_kernelI14__hip_bfloat16S0_LN4vllm18Fp8KVCacheDataTypeE0EhLi16ELi128ELi256ELb0ELi2EEvPKT_PKT0_S8_ifPKiSA_SA_iPKfiiiPfSD_PS3_PT2_iSC_SC_,comdat
	.protected	_Z38paged_attention_ll4mi_QKV_mfma4_kernelI14__hip_bfloat16S0_LN4vllm18Fp8KVCacheDataTypeE0EhLi16ELi128ELi256ELb0ELi2EEvPKT_PKT0_S8_ifPKiSA_SA_iPKfiiiPfSD_PS3_PT2_iSC_SC_ ; -- Begin function _Z38paged_attention_ll4mi_QKV_mfma4_kernelI14__hip_bfloat16S0_LN4vllm18Fp8KVCacheDataTypeE0EhLi16ELi128ELi256ELb0ELi2EEvPKT_PKT0_S8_ifPKiSA_SA_iPKfiiiPfSD_PS3_PT2_iSC_SC_
	.globl	_Z38paged_attention_ll4mi_QKV_mfma4_kernelI14__hip_bfloat16S0_LN4vllm18Fp8KVCacheDataTypeE0EhLi16ELi128ELi256ELb0ELi2EEvPKT_PKT0_S8_ifPKiSA_SA_iPKfiiiPfSD_PS3_PT2_iSC_SC_
	.p2align	8
	.type	_Z38paged_attention_ll4mi_QKV_mfma4_kernelI14__hip_bfloat16S0_LN4vllm18Fp8KVCacheDataTypeE0EhLi16ELi128ELi256ELb0ELi2EEvPKT_PKT0_S8_ifPKiSA_SA_iPKfiiiPfSD_PS3_PT2_iSC_SC_,@function
_Z38paged_attention_ll4mi_QKV_mfma4_kernelI14__hip_bfloat16S0_LN4vllm18Fp8KVCacheDataTypeE0EhLi16ELi128ELi256ELb0ELi2EEvPKT_PKT0_S8_ifPKiSA_SA_iPKfiiiPfSD_PS3_PT2_iSC_SC_: ; @_Z38paged_attention_ll4mi_QKV_mfma4_kernelI14__hip_bfloat16S0_LN4vllm18Fp8KVCacheDataTypeE0EhLi16ELi128ELi256ELb0ELi2EEvPKT_PKT0_S8_ifPKiSA_SA_iPKfiiiPfSD_PS3_PT2_iSC_SC_
; %bb.0:
	s_add_u32 s8, s0, 0x90
	s_addc_u32 s9, s1, 0
	s_getpc_b64 s[0:1]
	s_add_u32 s0, s0, __PRETTY_FUNCTION__._Z38paged_attention_ll4mi_QKV_mfma4_kernelI14__hip_bfloat16S0_LN4vllm18Fp8KVCacheDataTypeE0EhLi16ELi128ELi256ELb0ELi2EEvPKT_PKT0_S8_ifPKiSA_SA_iPKfiiiPfSD_PS3_PT2_iSC_SC_@rel32@lo+4
	s_addc_u32 s1, s1, __PRETTY_FUNCTION__._Z38paged_attention_ll4mi_QKV_mfma4_kernelI14__hip_bfloat16S0_LN4vllm18Fp8KVCacheDataTypeE0EhLi16ELi128ELi256ELb0ELi2EEvPKT_PKT0_S8_ifPKiSA_SA_iPKfiiiPfSD_PS3_PT2_iSC_SC_@rel32@hi+12
	s_delay_alu instid0(SALU_CYCLE_1) | instskip(SKIP_4) | instid1(SALU_CYCLE_1)
	v_dual_mov_b32 v0, s0 :: v_dual_mov_b32 v1, s1
	s_mov_b32 s32, 0
	s_getpc_b64 s[2:3]
	s_add_u32 s2, s2, __assert_fail@rel32@lo+4
	s_addc_u32 s3, s3, __assert_fail@rel32@hi+12
	s_swappc_b64 s[30:31], s[2:3]
	.section	.rodata,"a",@progbits
	.p2align	6, 0x0
	.amdhsa_kernel _Z38paged_attention_ll4mi_QKV_mfma4_kernelI14__hip_bfloat16S0_LN4vllm18Fp8KVCacheDataTypeE0EhLi16ELi128ELi256ELb0ELi2EEvPKT_PKT0_S8_ifPKiSA_SA_iPKfiiiPfSD_PS3_PT2_iSC_SC_
		.amdhsa_group_segment_fixed_size 0
		.amdhsa_private_segment_fixed_size 64
		.amdhsa_kernarg_size 400
		.amdhsa_user_sgpr_count 15
		.amdhsa_user_sgpr_dispatch_ptr 0
		.amdhsa_user_sgpr_queue_ptr 0
		.amdhsa_user_sgpr_kernarg_segment_ptr 1
		.amdhsa_user_sgpr_dispatch_id 0
		.amdhsa_user_sgpr_private_segment_size 0
		.amdhsa_wavefront_size32 1
		.amdhsa_uses_dynamic_stack 0
		.amdhsa_enable_private_segment 1
		.amdhsa_system_sgpr_workgroup_id_x 1
		.amdhsa_system_sgpr_workgroup_id_y 0
		.amdhsa_system_sgpr_workgroup_id_z 0
		.amdhsa_system_sgpr_workgroup_info 0
		.amdhsa_system_vgpr_workitem_id 0
		.amdhsa_next_free_vgpr 41
		.amdhsa_next_free_sgpr 34
		.amdhsa_reserve_vcc 1
		.amdhsa_float_round_mode_32 0
		.amdhsa_float_round_mode_16_64 0
		.amdhsa_float_denorm_mode_32 3
		.amdhsa_float_denorm_mode_16_64 3
		.amdhsa_dx10_clamp 1
		.amdhsa_ieee_mode 1
		.amdhsa_fp16_overflow 0
		.amdhsa_workgroup_processor_mode 1
		.amdhsa_memory_ordered 1
		.amdhsa_forward_progress 0
		.amdhsa_shared_vgpr_count 0
		.amdhsa_exception_fp_ieee_invalid_op 0
		.amdhsa_exception_fp_denorm_src 0
		.amdhsa_exception_fp_ieee_div_zero 0
		.amdhsa_exception_fp_ieee_overflow 0
		.amdhsa_exception_fp_ieee_underflow 0
		.amdhsa_exception_fp_ieee_inexact 0
		.amdhsa_exception_int_div_zero 0
	.end_amdhsa_kernel
	.section	.text._Z38paged_attention_ll4mi_QKV_mfma4_kernelI14__hip_bfloat16S0_LN4vllm18Fp8KVCacheDataTypeE0EhLi16ELi128ELi256ELb0ELi2EEvPKT_PKT0_S8_ifPKiSA_SA_iPKfiiiPfSD_PS3_PT2_iSC_SC_,"axG",@progbits,_Z38paged_attention_ll4mi_QKV_mfma4_kernelI14__hip_bfloat16S0_LN4vllm18Fp8KVCacheDataTypeE0EhLi16ELi128ELi256ELb0ELi2EEvPKT_PKT0_S8_ifPKiSA_SA_iPKfiiiPfSD_PS3_PT2_iSC_SC_,comdat
.Lfunc_end615:
	.size	_Z38paged_attention_ll4mi_QKV_mfma4_kernelI14__hip_bfloat16S0_LN4vllm18Fp8KVCacheDataTypeE0EhLi16ELi128ELi256ELb0ELi2EEvPKT_PKT0_S8_ifPKiSA_SA_iPKfiiiPfSD_PS3_PT2_iSC_SC_, .Lfunc_end615-_Z38paged_attention_ll4mi_QKV_mfma4_kernelI14__hip_bfloat16S0_LN4vllm18Fp8KVCacheDataTypeE0EhLi16ELi128ELi256ELb0ELi2EEvPKT_PKT0_S8_ifPKiSA_SA_iPKfiiiPfSD_PS3_PT2_iSC_SC_
                                        ; -- End function
	.section	.AMDGPU.csdata,"",@progbits
; Kernel info:
; codeLenInByte = 72
; NumSgprs: 36
; NumVgprs: 41
; ScratchSize: 64
; MemoryBound: 0
; FloatMode: 240
; IeeeMode: 1
; LDSByteSize: 0 bytes/workgroup (compile time only)
; SGPRBlocks: 4
; VGPRBlocks: 5
; NumSGPRsForWavesPerEU: 36
; NumVGPRsForWavesPerEU: 41
; Occupancy: 16
; WaveLimiterHint : 1
; COMPUTE_PGM_RSRC2:SCRATCH_EN: 1
; COMPUTE_PGM_RSRC2:USER_SGPR: 15
; COMPUTE_PGM_RSRC2:TRAP_HANDLER: 0
; COMPUTE_PGM_RSRC2:TGID_X_EN: 1
; COMPUTE_PGM_RSRC2:TGID_Y_EN: 0
; COMPUTE_PGM_RSRC2:TGID_Z_EN: 0
; COMPUTE_PGM_RSRC2:TIDIG_COMP_CNT: 0
	.section	.text._Z38paged_attention_ll4mi_QKV_mfma4_kernelI14__hip_bfloat16S0_LN4vllm18Fp8KVCacheDataTypeE0EhLi16ELi128ELi256ELb0ELi3EEvPKT_PKT0_S8_ifPKiSA_SA_iPKfiiiPfSD_PS3_PT2_iSC_SC_,"axG",@progbits,_Z38paged_attention_ll4mi_QKV_mfma4_kernelI14__hip_bfloat16S0_LN4vllm18Fp8KVCacheDataTypeE0EhLi16ELi128ELi256ELb0ELi3EEvPKT_PKT0_S8_ifPKiSA_SA_iPKfiiiPfSD_PS3_PT2_iSC_SC_,comdat
	.protected	_Z38paged_attention_ll4mi_QKV_mfma4_kernelI14__hip_bfloat16S0_LN4vllm18Fp8KVCacheDataTypeE0EhLi16ELi128ELi256ELb0ELi3EEvPKT_PKT0_S8_ifPKiSA_SA_iPKfiiiPfSD_PS3_PT2_iSC_SC_ ; -- Begin function _Z38paged_attention_ll4mi_QKV_mfma4_kernelI14__hip_bfloat16S0_LN4vllm18Fp8KVCacheDataTypeE0EhLi16ELi128ELi256ELb0ELi3EEvPKT_PKT0_S8_ifPKiSA_SA_iPKfiiiPfSD_PS3_PT2_iSC_SC_
	.globl	_Z38paged_attention_ll4mi_QKV_mfma4_kernelI14__hip_bfloat16S0_LN4vllm18Fp8KVCacheDataTypeE0EhLi16ELi128ELi256ELb0ELi3EEvPKT_PKT0_S8_ifPKiSA_SA_iPKfiiiPfSD_PS3_PT2_iSC_SC_
	.p2align	8
	.type	_Z38paged_attention_ll4mi_QKV_mfma4_kernelI14__hip_bfloat16S0_LN4vllm18Fp8KVCacheDataTypeE0EhLi16ELi128ELi256ELb0ELi3EEvPKT_PKT0_S8_ifPKiSA_SA_iPKfiiiPfSD_PS3_PT2_iSC_SC_,@function
_Z38paged_attention_ll4mi_QKV_mfma4_kernelI14__hip_bfloat16S0_LN4vllm18Fp8KVCacheDataTypeE0EhLi16ELi128ELi256ELb0ELi3EEvPKT_PKT0_S8_ifPKiSA_SA_iPKfiiiPfSD_PS3_PT2_iSC_SC_: ; @_Z38paged_attention_ll4mi_QKV_mfma4_kernelI14__hip_bfloat16S0_LN4vllm18Fp8KVCacheDataTypeE0EhLi16ELi128ELi256ELb0ELi3EEvPKT_PKT0_S8_ifPKiSA_SA_iPKfiiiPfSD_PS3_PT2_iSC_SC_
; %bb.0:
	s_add_u32 s8, s0, 0x90
	s_addc_u32 s9, s1, 0
	s_getpc_b64 s[0:1]
	s_add_u32 s0, s0, __PRETTY_FUNCTION__._Z38paged_attention_ll4mi_QKV_mfma4_kernelI14__hip_bfloat16S0_LN4vllm18Fp8KVCacheDataTypeE0EhLi16ELi128ELi256ELb0ELi3EEvPKT_PKT0_S8_ifPKiSA_SA_iPKfiiiPfSD_PS3_PT2_iSC_SC_@rel32@lo+4
	s_addc_u32 s1, s1, __PRETTY_FUNCTION__._Z38paged_attention_ll4mi_QKV_mfma4_kernelI14__hip_bfloat16S0_LN4vllm18Fp8KVCacheDataTypeE0EhLi16ELi128ELi256ELb0ELi3EEvPKT_PKT0_S8_ifPKiSA_SA_iPKfiiiPfSD_PS3_PT2_iSC_SC_@rel32@hi+12
	s_delay_alu instid0(SALU_CYCLE_1) | instskip(SKIP_4) | instid1(SALU_CYCLE_1)
	v_dual_mov_b32 v0, s0 :: v_dual_mov_b32 v1, s1
	s_mov_b32 s32, 0
	s_getpc_b64 s[2:3]
	s_add_u32 s2, s2, __assert_fail@rel32@lo+4
	s_addc_u32 s3, s3, __assert_fail@rel32@hi+12
	s_swappc_b64 s[30:31], s[2:3]
	.section	.rodata,"a",@progbits
	.p2align	6, 0x0
	.amdhsa_kernel _Z38paged_attention_ll4mi_QKV_mfma4_kernelI14__hip_bfloat16S0_LN4vllm18Fp8KVCacheDataTypeE0EhLi16ELi128ELi256ELb0ELi3EEvPKT_PKT0_S8_ifPKiSA_SA_iPKfiiiPfSD_PS3_PT2_iSC_SC_
		.amdhsa_group_segment_fixed_size 0
		.amdhsa_private_segment_fixed_size 64
		.amdhsa_kernarg_size 400
		.amdhsa_user_sgpr_count 15
		.amdhsa_user_sgpr_dispatch_ptr 0
		.amdhsa_user_sgpr_queue_ptr 0
		.amdhsa_user_sgpr_kernarg_segment_ptr 1
		.amdhsa_user_sgpr_dispatch_id 0
		.amdhsa_user_sgpr_private_segment_size 0
		.amdhsa_wavefront_size32 1
		.amdhsa_uses_dynamic_stack 0
		.amdhsa_enable_private_segment 1
		.amdhsa_system_sgpr_workgroup_id_x 1
		.amdhsa_system_sgpr_workgroup_id_y 0
		.amdhsa_system_sgpr_workgroup_id_z 0
		.amdhsa_system_sgpr_workgroup_info 0
		.amdhsa_system_vgpr_workitem_id 0
		.amdhsa_next_free_vgpr 41
		.amdhsa_next_free_sgpr 34
		.amdhsa_reserve_vcc 1
		.amdhsa_float_round_mode_32 0
		.amdhsa_float_round_mode_16_64 0
		.amdhsa_float_denorm_mode_32 3
		.amdhsa_float_denorm_mode_16_64 3
		.amdhsa_dx10_clamp 1
		.amdhsa_ieee_mode 1
		.amdhsa_fp16_overflow 0
		.amdhsa_workgroup_processor_mode 1
		.amdhsa_memory_ordered 1
		.amdhsa_forward_progress 0
		.amdhsa_shared_vgpr_count 0
		.amdhsa_exception_fp_ieee_invalid_op 0
		.amdhsa_exception_fp_denorm_src 0
		.amdhsa_exception_fp_ieee_div_zero 0
		.amdhsa_exception_fp_ieee_overflow 0
		.amdhsa_exception_fp_ieee_underflow 0
		.amdhsa_exception_fp_ieee_inexact 0
		.amdhsa_exception_int_div_zero 0
	.end_amdhsa_kernel
	.section	.text._Z38paged_attention_ll4mi_QKV_mfma4_kernelI14__hip_bfloat16S0_LN4vllm18Fp8KVCacheDataTypeE0EhLi16ELi128ELi256ELb0ELi3EEvPKT_PKT0_S8_ifPKiSA_SA_iPKfiiiPfSD_PS3_PT2_iSC_SC_,"axG",@progbits,_Z38paged_attention_ll4mi_QKV_mfma4_kernelI14__hip_bfloat16S0_LN4vllm18Fp8KVCacheDataTypeE0EhLi16ELi128ELi256ELb0ELi3EEvPKT_PKT0_S8_ifPKiSA_SA_iPKfiiiPfSD_PS3_PT2_iSC_SC_,comdat
.Lfunc_end616:
	.size	_Z38paged_attention_ll4mi_QKV_mfma4_kernelI14__hip_bfloat16S0_LN4vllm18Fp8KVCacheDataTypeE0EhLi16ELi128ELi256ELb0ELi3EEvPKT_PKT0_S8_ifPKiSA_SA_iPKfiiiPfSD_PS3_PT2_iSC_SC_, .Lfunc_end616-_Z38paged_attention_ll4mi_QKV_mfma4_kernelI14__hip_bfloat16S0_LN4vllm18Fp8KVCacheDataTypeE0EhLi16ELi128ELi256ELb0ELi3EEvPKT_PKT0_S8_ifPKiSA_SA_iPKfiiiPfSD_PS3_PT2_iSC_SC_
                                        ; -- End function
	.section	.AMDGPU.csdata,"",@progbits
; Kernel info:
; codeLenInByte = 72
; NumSgprs: 36
; NumVgprs: 41
; ScratchSize: 64
; MemoryBound: 0
; FloatMode: 240
; IeeeMode: 1
; LDSByteSize: 0 bytes/workgroup (compile time only)
; SGPRBlocks: 4
; VGPRBlocks: 5
; NumSGPRsForWavesPerEU: 36
; NumVGPRsForWavesPerEU: 41
; Occupancy: 16
; WaveLimiterHint : 1
; COMPUTE_PGM_RSRC2:SCRATCH_EN: 1
; COMPUTE_PGM_RSRC2:USER_SGPR: 15
; COMPUTE_PGM_RSRC2:TRAP_HANDLER: 0
; COMPUTE_PGM_RSRC2:TGID_X_EN: 1
; COMPUTE_PGM_RSRC2:TGID_Y_EN: 0
; COMPUTE_PGM_RSRC2:TGID_Z_EN: 0
; COMPUTE_PGM_RSRC2:TIDIG_COMP_CNT: 0
	.section	.text._Z38paged_attention_ll4mi_QKV_mfma4_kernelI14__hip_bfloat16S0_LN4vllm18Fp8KVCacheDataTypeE0EhLi16ELi128ELi256ELb0ELi4EEvPKT_PKT0_S8_ifPKiSA_SA_iPKfiiiPfSD_PS3_PT2_iSC_SC_,"axG",@progbits,_Z38paged_attention_ll4mi_QKV_mfma4_kernelI14__hip_bfloat16S0_LN4vllm18Fp8KVCacheDataTypeE0EhLi16ELi128ELi256ELb0ELi4EEvPKT_PKT0_S8_ifPKiSA_SA_iPKfiiiPfSD_PS3_PT2_iSC_SC_,comdat
	.protected	_Z38paged_attention_ll4mi_QKV_mfma4_kernelI14__hip_bfloat16S0_LN4vllm18Fp8KVCacheDataTypeE0EhLi16ELi128ELi256ELb0ELi4EEvPKT_PKT0_S8_ifPKiSA_SA_iPKfiiiPfSD_PS3_PT2_iSC_SC_ ; -- Begin function _Z38paged_attention_ll4mi_QKV_mfma4_kernelI14__hip_bfloat16S0_LN4vllm18Fp8KVCacheDataTypeE0EhLi16ELi128ELi256ELb0ELi4EEvPKT_PKT0_S8_ifPKiSA_SA_iPKfiiiPfSD_PS3_PT2_iSC_SC_
	.globl	_Z38paged_attention_ll4mi_QKV_mfma4_kernelI14__hip_bfloat16S0_LN4vllm18Fp8KVCacheDataTypeE0EhLi16ELi128ELi256ELb0ELi4EEvPKT_PKT0_S8_ifPKiSA_SA_iPKfiiiPfSD_PS3_PT2_iSC_SC_
	.p2align	8
	.type	_Z38paged_attention_ll4mi_QKV_mfma4_kernelI14__hip_bfloat16S0_LN4vllm18Fp8KVCacheDataTypeE0EhLi16ELi128ELi256ELb0ELi4EEvPKT_PKT0_S8_ifPKiSA_SA_iPKfiiiPfSD_PS3_PT2_iSC_SC_,@function
_Z38paged_attention_ll4mi_QKV_mfma4_kernelI14__hip_bfloat16S0_LN4vllm18Fp8KVCacheDataTypeE0EhLi16ELi128ELi256ELb0ELi4EEvPKT_PKT0_S8_ifPKiSA_SA_iPKfiiiPfSD_PS3_PT2_iSC_SC_: ; @_Z38paged_attention_ll4mi_QKV_mfma4_kernelI14__hip_bfloat16S0_LN4vllm18Fp8KVCacheDataTypeE0EhLi16ELi128ELi256ELb0ELi4EEvPKT_PKT0_S8_ifPKiSA_SA_iPKfiiiPfSD_PS3_PT2_iSC_SC_
; %bb.0:
	s_add_u32 s8, s0, 0x90
	s_addc_u32 s9, s1, 0
	s_getpc_b64 s[0:1]
	s_add_u32 s0, s0, __PRETTY_FUNCTION__._Z38paged_attention_ll4mi_QKV_mfma4_kernelI14__hip_bfloat16S0_LN4vllm18Fp8KVCacheDataTypeE0EhLi16ELi128ELi256ELb0ELi4EEvPKT_PKT0_S8_ifPKiSA_SA_iPKfiiiPfSD_PS3_PT2_iSC_SC_@rel32@lo+4
	s_addc_u32 s1, s1, __PRETTY_FUNCTION__._Z38paged_attention_ll4mi_QKV_mfma4_kernelI14__hip_bfloat16S0_LN4vllm18Fp8KVCacheDataTypeE0EhLi16ELi128ELi256ELb0ELi4EEvPKT_PKT0_S8_ifPKiSA_SA_iPKfiiiPfSD_PS3_PT2_iSC_SC_@rel32@hi+12
	s_delay_alu instid0(SALU_CYCLE_1) | instskip(SKIP_4) | instid1(SALU_CYCLE_1)
	v_dual_mov_b32 v0, s0 :: v_dual_mov_b32 v1, s1
	s_mov_b32 s32, 0
	s_getpc_b64 s[2:3]
	s_add_u32 s2, s2, __assert_fail@rel32@lo+4
	s_addc_u32 s3, s3, __assert_fail@rel32@hi+12
	s_swappc_b64 s[30:31], s[2:3]
	.section	.rodata,"a",@progbits
	.p2align	6, 0x0
	.amdhsa_kernel _Z38paged_attention_ll4mi_QKV_mfma4_kernelI14__hip_bfloat16S0_LN4vllm18Fp8KVCacheDataTypeE0EhLi16ELi128ELi256ELb0ELi4EEvPKT_PKT0_S8_ifPKiSA_SA_iPKfiiiPfSD_PS3_PT2_iSC_SC_
		.amdhsa_group_segment_fixed_size 0
		.amdhsa_private_segment_fixed_size 64
		.amdhsa_kernarg_size 400
		.amdhsa_user_sgpr_count 15
		.amdhsa_user_sgpr_dispatch_ptr 0
		.amdhsa_user_sgpr_queue_ptr 0
		.amdhsa_user_sgpr_kernarg_segment_ptr 1
		.amdhsa_user_sgpr_dispatch_id 0
		.amdhsa_user_sgpr_private_segment_size 0
		.amdhsa_wavefront_size32 1
		.amdhsa_uses_dynamic_stack 0
		.amdhsa_enable_private_segment 1
		.amdhsa_system_sgpr_workgroup_id_x 1
		.amdhsa_system_sgpr_workgroup_id_y 0
		.amdhsa_system_sgpr_workgroup_id_z 0
		.amdhsa_system_sgpr_workgroup_info 0
		.amdhsa_system_vgpr_workitem_id 0
		.amdhsa_next_free_vgpr 41
		.amdhsa_next_free_sgpr 34
		.amdhsa_reserve_vcc 1
		.amdhsa_float_round_mode_32 0
		.amdhsa_float_round_mode_16_64 0
		.amdhsa_float_denorm_mode_32 3
		.amdhsa_float_denorm_mode_16_64 3
		.amdhsa_dx10_clamp 1
		.amdhsa_ieee_mode 1
		.amdhsa_fp16_overflow 0
		.amdhsa_workgroup_processor_mode 1
		.amdhsa_memory_ordered 1
		.amdhsa_forward_progress 0
		.amdhsa_shared_vgpr_count 0
		.amdhsa_exception_fp_ieee_invalid_op 0
		.amdhsa_exception_fp_denorm_src 0
		.amdhsa_exception_fp_ieee_div_zero 0
		.amdhsa_exception_fp_ieee_overflow 0
		.amdhsa_exception_fp_ieee_underflow 0
		.amdhsa_exception_fp_ieee_inexact 0
		.amdhsa_exception_int_div_zero 0
	.end_amdhsa_kernel
	.section	.text._Z38paged_attention_ll4mi_QKV_mfma4_kernelI14__hip_bfloat16S0_LN4vllm18Fp8KVCacheDataTypeE0EhLi16ELi128ELi256ELb0ELi4EEvPKT_PKT0_S8_ifPKiSA_SA_iPKfiiiPfSD_PS3_PT2_iSC_SC_,"axG",@progbits,_Z38paged_attention_ll4mi_QKV_mfma4_kernelI14__hip_bfloat16S0_LN4vllm18Fp8KVCacheDataTypeE0EhLi16ELi128ELi256ELb0ELi4EEvPKT_PKT0_S8_ifPKiSA_SA_iPKfiiiPfSD_PS3_PT2_iSC_SC_,comdat
.Lfunc_end617:
	.size	_Z38paged_attention_ll4mi_QKV_mfma4_kernelI14__hip_bfloat16S0_LN4vllm18Fp8KVCacheDataTypeE0EhLi16ELi128ELi256ELb0ELi4EEvPKT_PKT0_S8_ifPKiSA_SA_iPKfiiiPfSD_PS3_PT2_iSC_SC_, .Lfunc_end617-_Z38paged_attention_ll4mi_QKV_mfma4_kernelI14__hip_bfloat16S0_LN4vllm18Fp8KVCacheDataTypeE0EhLi16ELi128ELi256ELb0ELi4EEvPKT_PKT0_S8_ifPKiSA_SA_iPKfiiiPfSD_PS3_PT2_iSC_SC_
                                        ; -- End function
	.section	.AMDGPU.csdata,"",@progbits
; Kernel info:
; codeLenInByte = 72
; NumSgprs: 36
; NumVgprs: 41
; ScratchSize: 64
; MemoryBound: 0
; FloatMode: 240
; IeeeMode: 1
; LDSByteSize: 0 bytes/workgroup (compile time only)
; SGPRBlocks: 4
; VGPRBlocks: 5
; NumSGPRsForWavesPerEU: 36
; NumVGPRsForWavesPerEU: 41
; Occupancy: 16
; WaveLimiterHint : 1
; COMPUTE_PGM_RSRC2:SCRATCH_EN: 1
; COMPUTE_PGM_RSRC2:USER_SGPR: 15
; COMPUTE_PGM_RSRC2:TRAP_HANDLER: 0
; COMPUTE_PGM_RSRC2:TGID_X_EN: 1
; COMPUTE_PGM_RSRC2:TGID_Y_EN: 0
; COMPUTE_PGM_RSRC2:TGID_Z_EN: 0
; COMPUTE_PGM_RSRC2:TIDIG_COMP_CNT: 0
	.section	.text._Z39paged_attention_ll4mi_QKV_mfma16_kernelI14__hip_bfloat16S0_LN4vllm18Fp8KVCacheDataTypeE0EhLi16ELi128ELi256ELb0ELi5EL8MFMAType0EEvPKT_PKT0_S9_ifPKiSB_SB_iPKfiiiPfSE_PS4_PT2_iSD_SD_,"axG",@progbits,_Z39paged_attention_ll4mi_QKV_mfma16_kernelI14__hip_bfloat16S0_LN4vllm18Fp8KVCacheDataTypeE0EhLi16ELi128ELi256ELb0ELi5EL8MFMAType0EEvPKT_PKT0_S9_ifPKiSB_SB_iPKfiiiPfSE_PS4_PT2_iSD_SD_,comdat
	.protected	_Z39paged_attention_ll4mi_QKV_mfma16_kernelI14__hip_bfloat16S0_LN4vllm18Fp8KVCacheDataTypeE0EhLi16ELi128ELi256ELb0ELi5EL8MFMAType0EEvPKT_PKT0_S9_ifPKiSB_SB_iPKfiiiPfSE_PS4_PT2_iSD_SD_ ; -- Begin function _Z39paged_attention_ll4mi_QKV_mfma16_kernelI14__hip_bfloat16S0_LN4vllm18Fp8KVCacheDataTypeE0EhLi16ELi128ELi256ELb0ELi5EL8MFMAType0EEvPKT_PKT0_S9_ifPKiSB_SB_iPKfiiiPfSE_PS4_PT2_iSD_SD_
	.globl	_Z39paged_attention_ll4mi_QKV_mfma16_kernelI14__hip_bfloat16S0_LN4vllm18Fp8KVCacheDataTypeE0EhLi16ELi128ELi256ELb0ELi5EL8MFMAType0EEvPKT_PKT0_S9_ifPKiSB_SB_iPKfiiiPfSE_PS4_PT2_iSD_SD_
	.p2align	8
	.type	_Z39paged_attention_ll4mi_QKV_mfma16_kernelI14__hip_bfloat16S0_LN4vllm18Fp8KVCacheDataTypeE0EhLi16ELi128ELi256ELb0ELi5EL8MFMAType0EEvPKT_PKT0_S9_ifPKiSB_SB_iPKfiiiPfSE_PS4_PT2_iSD_SD_,@function
_Z39paged_attention_ll4mi_QKV_mfma16_kernelI14__hip_bfloat16S0_LN4vllm18Fp8KVCacheDataTypeE0EhLi16ELi128ELi256ELb0ELi5EL8MFMAType0EEvPKT_PKT0_S9_ifPKiSB_SB_iPKfiiiPfSE_PS4_PT2_iSD_SD_: ; @_Z39paged_attention_ll4mi_QKV_mfma16_kernelI14__hip_bfloat16S0_LN4vllm18Fp8KVCacheDataTypeE0EhLi16ELi128ELi256ELb0ELi5EL8MFMAType0EEvPKT_PKT0_S9_ifPKiSB_SB_iPKfiiiPfSE_PS4_PT2_iSD_SD_
; %bb.0:
	s_load_b64 s[4:5], s[0:1], 0x30
	s_mov_b32 s30, s13
	s_waitcnt lgkmcnt(0)
	s_cmp_lg_u64 s[4:5], 0
	s_cselect_b32 s8, -1, 0
	s_ashr_i32 s31, s13, 31
	s_cmp_eq_u64 s[4:5], 0
	s_cbranch_scc1 .LBB618_3
; %bb.1:
	s_lshl_b64 s[2:3], s[30:31], 2
	s_delay_alu instid0(SALU_CYCLE_1) | instskip(SKIP_4) | instid1(SALU_CYCLE_1)
	s_add_u32 s2, s4, s2
	s_addc_u32 s3, s5, s3
	s_load_b64 s[2:3], s[2:3], 0x0
	s_waitcnt lgkmcnt(0)
	s_sub_i32 s2, s3, s2
	s_cmp_eq_u32 s2, 1
	s_cselect_b32 s2, -1, 0
	s_delay_alu instid0(SALU_CYCLE_1)
	s_and_not1_b32 vcc_lo, exec_lo, s2
	s_cbranch_vccz .LBB618_4
.LBB618_2:
	s_nop 0
	s_sendmsg sendmsg(MSG_DEALLOC_VGPRS)
	s_endpgm
.LBB618_3:
.LBB618_4:
	s_load_b64 s[2:3], s[0:1], 0x28
	s_lshl_b64 s[6:7], s[30:31], 2
	s_waitcnt lgkmcnt(0)
	s_add_u32 s2, s2, s6
	s_addc_u32 s3, s3, s7
	s_lshl_b32 s29, s14, 8
	s_load_b32 s28, s[2:3], 0x0
	s_waitcnt lgkmcnt(0)
	s_cmp_ge_i32 s29, s28
	s_cbranch_scc1 .LBB618_2
; %bb.5:
	s_clause 0x1
	s_load_b128 s[20:23], s[0:1], 0x8
	s_load_b64 s[2:3], s[0:1], 0x20
	s_and_not1_b32 vcc_lo, exec_lo, s8
	s_cbranch_vccnz .LBB618_7
; %bb.6:
	s_add_u32 s4, s4, s6
	s_addc_u32 s5, s5, s7
	s_load_b32 s5, s[4:5], 0x0
	s_branch .LBB618_8
.LBB618_7:
	s_mov_b32 s5, s30
.LBB618_8:
	s_load_b128 s[16:19], s[0:1], 0x48
	v_and_b32_e32 v140, 15, v0
	v_lshrrev_b32_e32 v141, 5, v0
	v_bfe_u32 v138, v0, 4, 1
	v_and_b32_e32 v142, 31, v0
	v_and_b32_e32 v139, 1, v0
	v_lshlrev_b32_e32 v2, 3, v140
	s_mul_i32 s31, s15, 5
	v_lshl_or_b32 v1, v141, 1, v138
	s_mov_b32 s4, exec_lo
	s_delay_alu instid0(VALU_DEP_2) | instskip(NEXT) | instid1(VALU_DEP_2)
	v_lshlrev_b32_e32 v137, 1, v2
	v_cmpx_gt_u32_e32 5, v1
	s_cbranch_execz .LBB618_10
; %bb.9:
	s_load_b64 s[6:7], s[0:1], 0x0
	v_add_lshl_u32 v2, v1, s31, 7
	s_waitcnt lgkmcnt(0)
	s_mul_hi_i32 s9, s5, s16
	s_mul_i32 s8, s5, s16
	v_lshlrev_b32_e32 v6, 10, v140
	s_lshl_b64 s[8:9], s[8:9], 1
	v_ashrrev_i32_e32 v3, 31, v2
	v_lshlrev_b32_e32 v1, 6, v1
	v_lshlrev_b32_e32 v7, 10, v139
	v_and_b32_e32 v6, 0x3800, v6
	s_delay_alu instid0(VALU_DEP_4) | instskip(NEXT) | instid1(VALU_DEP_2)
	v_lshlrev_b64 v[2:3], 1, v[2:3]
	v_or3_b32 v1, v6, v7, v1
	s_add_u32 s5, s6, s8
	s_addc_u32 s6, s7, s9
	s_delay_alu instid0(VALU_DEP_2) | instskip(NEXT) | instid1(VALU_DEP_3)
	v_add_co_u32 v2, vcc_lo, s5, v2
	v_add_co_ci_u32_e32 v3, vcc_lo, s6, v3, vcc_lo
	s_delay_alu instid0(VALU_DEP_2) | instskip(NEXT) | instid1(VALU_DEP_2)
	v_add_co_u32 v2, vcc_lo, v2, v137
	v_add_co_ci_u32_e32 v3, vcc_lo, 0, v3, vcc_lo
	global_load_b128 v[2:5], v[2:3], off
	s_waitcnt vmcnt(0)
	ds_store_b128 v1, v[2:5]
.LBB618_10:
	s_or_b32 exec_lo, exec_lo, s4
	v_and_b32_e32 v1, 0xef, v0
	s_waitcnt lgkmcnt(0)
	s_add_i32 s5, s28, 15
	s_clause 0x1
	s_load_b32 s4, s[0:1], 0x38
	s_load_b32 s33, s[0:1], 0x1c
	s_ashr_i32 s6, s5, 31
	v_add_nc_u32_e32 v1, s29, v1
	s_lshr_b32 s6, s6, 28
	s_waitcnt lgkmcnt(0)
	s_add_i32 s5, s5, s6
	s_barrier
	v_ashrrev_i32_e32 v2, 31, v1
	v_cmp_gt_i32_e32 vcc_lo, s28, v1
	s_ashr_i32 s16, s5, 4
	buffer_gl0_inv
	s_add_i32 s16, s16, -1
	v_lshrrev_b32_e32 v3, 28, v2
	v_or_b32_e32 v2, 16, v1
	v_mul_lo_u16 v105, v140, 52
	v_lshlrev_b32_e32 v106, 5, v140
	s_delay_alu instid0(VALU_DEP_4) | instskip(NEXT) | instid1(VALU_DEP_4)
	v_add_nc_u32_e32 v4, v1, v3
	v_add_nc_u32_e32 v3, v2, v3
	s_mul_i32 s4, s30, s4
	v_lshrrev_b16 v105, 8, v105
	s_ashr_i32 s5, s4, 31
	v_ashrrev_i32_e32 v4, 4, v4
	v_ashrrev_i32_e32 v3, 4, v3
	s_lshl_b64 s[4:5], s[4:5], 2
	v_mul_lo_u16 v105, v105, 5
	s_add_u32 s34, s2, s4
	v_cndmask_b32_e32 v1, s16, v4, vcc_lo
	v_cmp_gt_i32_e32 vcc_lo, s28, v2
	s_addc_u32 s35, s3, s5
	s_mul_i32 s2, s15, s18
	v_sub_nc_u16 v105, v140, v105
	v_ashrrev_i32_e32 v2, 31, v1
	v_cndmask_b32_e32 v3, s16, v3, vcc_lo
	s_ashr_i32 s3, s2, 31
	v_lshl_or_b32 v125, v141, 9, v106
	s_lshl_b64 s[2:3], s[2:3], 1
	v_lshlrev_b64 v[1:2], 2, v[1:2]
	v_ashrrev_i32_e32 v4, 31, v3
	s_add_u32 s24, s20, s2
	s_addc_u32 s25, s21, s3
	s_lshl_b32 s4, s14, 4
	v_and_b32_e32 v105, 0xff, v105
	v_lshlrev_b64 v[3:4], 2, v[3:4]
	v_add_co_u32 v1, vcc_lo, s34, v1
	v_add_co_ci_u32_e32 v2, vcc_lo, s35, v2, vcc_lo
	s_ashr_i32 s5, s4, 31
	s_delay_alu instid0(VALU_DEP_3) | instskip(NEXT) | instid1(VALU_DEP_4)
	v_add_co_u32 v3, vcc_lo, s34, v3
	v_add_co_ci_u32_e32 v4, vcc_lo, s35, v4, vcc_lo
	s_lshl_b64 s[4:5], s[4:5], 2
	s_clause 0x1
	global_load_b32 v5, v[1:2], off
	global_load_b32 v6, v[3:4], off
	s_add_u32 s4, s34, s4
	s_addc_u32 s5, s35, s5
	s_or_b32 s6, s29, 16
	v_lshlrev_b32_e32 v3, 4, v0
	s_ashr_i32 s7, s6, 4
	s_cmp_lt_i32 s6, s28
	v_lshlrev_b32_e32 v215, 6, v105
	s_cselect_b32 s6, s7, s16
	s_delay_alu instid0(SALU_CYCLE_1) | instskip(NEXT) | instid1(SALU_CYCLE_1)
	s_ashr_i32 s7, s6, 31
	s_lshl_b64 s[6:7], s[6:7], 2
	s_delay_alu instid0(SALU_CYCLE_1) | instskip(SKIP_2) | instid1(SALU_CYCLE_1)
	s_add_u32 s6, s34, s6
	s_addc_u32 s7, s35, s7
	s_or_b32 s8, s29, 32
	s_ashr_i32 s9, s8, 4
	s_cmp_lt_i32 s8, s28
	s_cselect_b32 s8, s9, s16
	s_delay_alu instid0(SALU_CYCLE_1) | instskip(NEXT) | instid1(SALU_CYCLE_1)
	s_ashr_i32 s9, s8, 31
	s_lshl_b64 s[8:9], s[8:9], 2
	s_delay_alu instid0(SALU_CYCLE_1) | instskip(SKIP_2) | instid1(SALU_CYCLE_1)
	s_add_u32 s8, s34, s8
	s_addc_u32 s9, s35, s9
	s_or_b32 s10, s29, 48
	s_ashr_i32 s11, s10, 4
	s_cmp_lt_i32 s10, s28
	;; [unrolled: 10-line block ×4, first 2 shown]
	s_cselect_b32 s12, s13, s16
	s_delay_alu instid0(SALU_CYCLE_1) | instskip(NEXT) | instid1(SALU_CYCLE_1)
	s_ashr_i32 s13, s12, 31
	s_lshl_b64 s[12:13], s[12:13], 2
	s_delay_alu instid0(SALU_CYCLE_1)
	s_add_u32 s20, s34, s12
	s_addc_u32 s21, s35, s13
	s_clause 0x5
	s_load_b32 s38, s[4:5], 0x0
	s_load_b32 s37, s[6:7], 0x0
	;; [unrolled: 1-line block ×6, first 2 shown]
	s_waitcnt vmcnt(1)
	v_mad_i64_i32 v[1:2], null, v5, s17, 0
	v_and_b32_e32 v5, 0xf0, v3
	s_waitcnt vmcnt(0)
	v_mad_i64_i32 v[3:4], null, v6, s17, 0
	s_delay_alu instid0(VALU_DEP_2) | instskip(NEXT) | instid1(VALU_DEP_4)
	v_add_co_u32 v5, s4, s24, v5
	v_lshlrev_b64 v[1:2], 1, v[1:2]
	v_add_co_ci_u32_e64 v6, null, s25, 0, s4
	s_delay_alu instid0(VALU_DEP_4) | instskip(SKIP_1) | instid1(VALU_DEP_3)
	v_lshlrev_b64 v[3:4], 1, v[3:4]
	s_or_b32 s4, s29, 0x60
	v_add_co_u32 v121, vcc_lo, v5, v1
	s_delay_alu instid0(VALU_DEP_3) | instskip(NEXT) | instid1(VALU_DEP_3)
	v_add_co_ci_u32_e32 v122, vcc_lo, v6, v2, vcc_lo
	v_add_co_u32 v123, vcc_lo, v5, v3
	s_delay_alu instid0(VALU_DEP_4)
	v_add_co_ci_u32_e32 v124, vcc_lo, v6, v4, vcc_lo
	s_clause 0x19
	global_load_b128 v[89:92], v[121:122], off
	global_load_b128 v[93:96], v[121:122], off offset:256
	global_load_b128 v[97:100], v[123:124], off
	global_load_b128 v[101:104], v[123:124], off offset:256
	global_load_b128 v[81:84], v[121:122], off offset:512
	;; [unrolled: 1-line block ×23, first 2 shown]
	s_ashr_i32 s5, s4, 4
	s_cmp_lt_i32 s4, s28
	ds_load_b128 v[105:108], v215
	ds_load_b128 v[109:112], v215 offset:1024
	s_cselect_b32 s4, s5, s16
	ds_load_b128 v[113:116], v215 offset:2048
	ds_load_b128 v[117:120], v215 offset:3072
	s_ashr_i32 s5, s4, 31
	ds_load_b128 v[143:146], v215 offset:4096
	ds_load_b128 v[147:150], v215 offset:5120
	s_lshl_b64 s[6:7], s[4:5], 2
	ds_load_b128 v[151:154], v215 offset:6144
	ds_load_b128 v[155:158], v215 offset:7168
	s_add_u32 s18, s34, s6
	s_addc_u32 s19, s35, s7
	s_or_b32 s5, s29, 0x70
	ds_load_b128 v[159:162], v215 offset:8192
	ds_load_b128 v[163:166], v215 offset:9216
	s_ashr_i32 s6, s5, 4
	s_cmp_lt_i32 s5, s28
	s_clause 0x1
	global_load_b128 v[167:170], v[123:124], off offset:3072
	global_load_b128 v[171:174], v[123:124], off offset:3328
	s_cselect_b32 s8, s6, s16
	s_mov_b32 s4, 0
	s_ashr_i32 s9, s8, 31
	s_mov_b32 s5, s4
	s_lshl_b64 s[8:9], s[8:9], 2
	s_mov_b32 s6, s4
	s_add_u32 s20, s34, s8
	s_addc_u32 s21, s35, s9
	s_clause 0x1
	s_load_b32 s44, s[18:19], 0x0
	s_load_b32 s45, s[20:21], 0x0
	s_clause 0x3
	global_load_b128 v[175:178], v[121:122], off offset:3584
	global_load_b128 v[179:182], v[121:122], off offset:3840
	;; [unrolled: 1-line block ×4, first 2 shown]
	s_or_b32 s8, s29, 0x80
	s_mov_b32 s7, s4
	s_ashr_i32 s9, s8, 4
	s_cmp_lt_i32 s8, s28
	s_mov_b32 s8, s4
	s_cselect_b32 s10, s9, s16
	s_mov_b32 s9, s4
	s_ashr_i32 s11, s10, 31
	s_delay_alu instid0(SALU_CYCLE_1)
	s_lshl_b64 s[24:25], s[10:11], 2
	s_mov_b32 s10, s4
	s_add_u32 s24, s34, s24
	s_addc_u32 s25, s35, s25
	s_or_b32 s11, s29, 0x90
	s_load_b32 s46, s[24:25], 0x0
	s_ashr_i32 s26, s11, 4
	s_cmp_lt_i32 s11, s28
	s_mov_b32 s11, s4
	s_cselect_b32 s26, s26, s16
	v_mov_b32_e32 v136, s11
	s_ashr_i32 s27, s26, 31
	v_dual_mov_b32 v135, s10 :: v_dual_mov_b32 v134, s9
	v_dual_mov_b32 v133, s8 :: v_dual_mov_b32 v132, s7
	v_dual_mov_b32 v131, s6 :: v_dual_mov_b32 v130, s5
	v_mov_b32_e32 v129, s4
	s_lshl_b64 s[4:5], s[26:27], 2
	s_waitcnt lgkmcnt(0)
	s_mul_hi_i32 s7, s37, s17
	s_add_u32 s26, s34, s4
	s_addc_u32 s27, s35, s5
	s_or_b32 s4, s29, 0xa0
	s_load_b32 s39, s[26:27], 0x0
	s_ashr_i32 s5, s4, 4
	s_cmp_lt_i32 s4, s28
	s_cselect_b32 s4, s5, s16
	s_delay_alu instid0(SALU_CYCLE_1) | instskip(NEXT) | instid1(SALU_CYCLE_1)
	s_ashr_i32 s5, s4, 31
	s_lshl_b64 s[4:5], s[4:5], 2
	s_delay_alu instid0(SALU_CYCLE_1)
	s_add_u32 s40, s34, s4
	s_addc_u32 s41, s35, s5
	s_or_b32 s4, s29, 0xb0
	s_mul_hi_i32 s5, s38, s17
	s_ashr_i32 s6, s4, 4
	s_cmp_lt_i32 s4, s28
	s_mul_i32 s4, s38, s17
	s_load_b32 s38, s[40:41], 0x0
	s_cselect_b32 s8, s6, s16
	s_mul_i32 s6, s37, s17
	s_ashr_i32 s9, s8, 31
	s_mul_hi_i32 s27, s46, s17
	s_lshl_b64 s[10:11], s[8:9], 2
	s_mul_hi_i32 s9, s36, s17
	s_add_u32 s42, s34, s10
	s_addc_u32 s43, s35, s11
	s_or_b32 s10, s29, 0xc0
	s_mul_i32 s8, s36, s17
	s_ashr_i32 s36, s10, 4
	s_cmp_lt_i32 s10, s28
	s_mul_i32 s26, s46, s17
	s_cselect_b32 s36, s36, s16
	s_mul_hi_i32 s11, s13, s17
	s_ashr_i32 s37, s36, 31
	s_mul_i32 s10, s13, s17
	s_lshl_b64 s[36:37], s[36:37], 2
	s_mul_hi_i32 s13, s12, s17
	s_add_u32 s20, s34, s36
	s_addc_u32 s21, s35, s37
	s_or_b32 s18, s29, 0xd0
	s_mul_i32 s12, s12, s17
	s_ashr_i32 s19, s18, 4
	s_cmp_lt_i32 s18, s28
	s_mul_i32 s18, s15, s17
	s_cselect_b32 s24, s19, s16
	s_mul_hi_i32 s19, s15, s17
	s_ashr_i32 s25, s24, 31
	s_waitcnt lgkmcnt(0)
	s_mul_hi_i32 s41, s39, s17
	s_lshl_b64 s[24:25], s[24:25], 2
	s_delay_alu instid0(SALU_CYCLE_1)
	s_add_u32 s24, s34, s24
	s_addc_u32 s25, s35, s25
	s_or_b32 s40, s29, 0xe0
	s_clause 0x2
	s_load_b32 s37, s[42:43], 0x0
	s_load_b32 s36, s[20:21], 0x0
	;; [unrolled: 1-line block ×3, first 2 shown]
	s_ashr_i32 s47, s40, 4
	s_cmp_lt_i32 s40, s28
	s_mul_hi_i32 s21, s44, s17
	s_cselect_b32 s42, s47, s16
	s_mul_i32 s20, s44, s17
	s_ashr_i32 s43, s42, 31
	s_mul_hi_i32 s25, s45, s17
	s_lshl_b64 s[42:43], s[42:43], 2
	s_mul_i32 s24, s45, s17
	s_add_u32 s42, s34, s42
	s_addc_u32 s43, s35, s43
	s_or_b32 s44, s29, 0xf0
	s_mul_i32 s40, s39, s17
	s_ashr_i32 s46, s44, 4
	s_cmp_lt_i32 s44, s28
	s_mul_hi_i32 s39, s38, s17
	s_cselect_b32 s46, s46, s16
	s_mul_i32 s38, s38, s17
	s_ashr_i32 s47, s46, 31
	s_waitcnt lgkmcnt(0)
	s_mul_hi_i32 s49, s15, s17
	s_lshl_b64 s[46:47], s[46:47], 2
	s_mul_i32 s48, s15, s17
	s_add_u32 s34, s34, s46
	s_addc_u32 s35, s35, s47
	s_add_u32 s15, s22, s2
	s_addc_u32 s16, s23, s3
	v_add_co_u32 v216, s15, s15, v125
	s_delay_alu instid0(VALU_DEP_1) | instskip(SKIP_2) | instid1(VALU_DEP_2)
	v_add_co_ci_u32_e64 v217, null, s16, 0, s15
	s_lshl_b64 s[2:3], s[4:5], 1
	s_lshl_b64 s[4:5], s[6:7], 1
	v_add_co_u32 v125, vcc_lo, v216, s2
	s_delay_alu instid0(VALU_DEP_2)
	v_add_co_ci_u32_e32 v126, vcc_lo, s3, v217, vcc_lo
	v_add_co_u32 v199, vcc_lo, v216, s4
	s_lshl_b64 s[6:7], s[8:9], 1
	v_add_co_ci_u32_e32 v200, vcc_lo, s5, v217, vcc_lo
	s_lshl_b64 s[8:9], s[10:11], 1
	s_lshl_b64 s[10:11], s[12:13], 1
	;; [unrolled: 1-line block ×8, first 2 shown]
	s_mul_hi_i32 s45, s37, s17
	s_mul_i32 s44, s37, s17
	s_mul_hi_i32 s37, s36, s17
	s_lshl_b64 s[38:39], s[44:45], 1
	s_mul_i32 s36, s36, s17
	s_clause 0x1
	s_load_b32 s15, s[42:43], 0x0
	s_load_b32 s16, s[34:35], 0x0
	s_lshl_b64 s[36:37], s[36:37], 1
	s_lshl_b64 s[40:41], s[48:49], 1
	s_waitcnt lgkmcnt(0)
	s_mul_hi_i32 s3, s15, s17
	s_mul_i32 s2, s15, s17
	s_mul_hi_i32 s5, s16, s17
	s_lshl_b64 s[2:3], s[2:3], 1
	s_mul_i32 s4, s16, s17
	s_waitcnt vmcnt(30)
	v_wmma_f32_16x16x16_bf16 v[191:198], v[89:96], v[105:112], v[129:136]
	v_add_co_u32 v89, vcc_lo, v216, s6
	v_add_co_ci_u32_e32 v90, vcc_lo, s7, v217, vcc_lo
	v_add_co_u32 v91, vcc_lo, v216, s8
	v_add_co_ci_u32_e32 v92, vcc_lo, s9, v217, vcc_lo
	;; [unrolled: 2-line block ×5, first 2 shown]
	v_add_co_u32 v205, vcc_lo, v216, s20
	s_waitcnt vmcnt(28)
	v_wmma_f32_16x16x16_bf16 v[129:136], v[97:104], v[105:112], v[129:136]
	v_add_co_ci_u32_e32 v206, vcc_lo, s21, v217, vcc_lo
	v_add_co_u32 v207, vcc_lo, v216, s22
	v_add_co_ci_u32_e32 v208, vcc_lo, s23, v217, vcc_lo
	v_add_co_u32 v209, vcc_lo, v216, s24
	s_waitcnt vmcnt(26)
	v_wmma_f32_16x16x16_bf16 v[191:198], v[81:88], v[113:120], v[191:198]
	s_waitcnt vmcnt(24)
	v_wmma_f32_16x16x16_bf16 v[129:136], v[73:80], v[113:120], v[129:136]
	v_add_co_ci_u32_e32 v210, vcc_lo, s25, v217, vcc_lo
	v_add_co_u32 v211, vcc_lo, v216, s26
	v_add_co_ci_u32_e32 v212, vcc_lo, s27, v217, vcc_lo
	v_add_co_u32 v213, vcc_lo, v216, s38
	s_waitcnt vmcnt(22)
	v_wmma_f32_16x16x16_bf16 v[191:198], v[65:72], v[143:150], v[191:198]
	s_waitcnt vmcnt(20)
	v_wmma_f32_16x16x16_bf16 v[129:136], v[57:64], v[143:150], v[129:136]
	v_add_co_ci_u32_e32 v214, vcc_lo, s39, v217, vcc_lo
	v_add_co_u32 v143, vcc_lo, v216, s36
	s_waitcnt vmcnt(18)
	v_wmma_f32_16x16x16_bf16 v[191:198], v[49:56], v[151:158], v[191:198]
	s_waitcnt vmcnt(16)
	v_wmma_f32_16x16x16_bf16 v[129:136], v[41:48], v[151:158], v[129:136]
	v_add_co_ci_u32_e32 v144, vcc_lo, s37, v217, vcc_lo
	s_clause 0x15
	global_load_b128 v[121:124], v[125:126], off
	global_load_b128 v[125:128], v[125:126], off offset:16
	global_load_b128 v[113:116], v[199:200], off
	global_load_b128 v[117:120], v[199:200], off offset:16
	;; [unrolled: 2-line block ×11, first 2 shown]
	s_waitcnt vmcnt(36)
	v_wmma_f32_16x16x16_bf16 v[191:198], v[17:24], v[159:166], v[191:198]
	s_clause 0x1
	global_load_b128 v[17:20], v[213:214], off
	global_load_b128 v[21:24], v[213:214], off offset:16
	s_waitcnt vmcnt(36)
	v_wmma_f32_16x16x16_bf16 v[129:136], v[1:8], v[159:166], v[129:136]
	s_clause 0x1
	global_load_b128 v[1:4], v[143:144], off
	global_load_b128 v[5:8], v[143:144], off offset:16
	ds_load_b128 v[143:146], v215 offset:10240
	ds_load_b128 v[147:150], v215 offset:11264
	;; [unrolled: 1-line block ×4, first 2 shown]
	v_add_co_u32 v199, vcc_lo, v216, s40
	v_add_co_ci_u32_e32 v200, vcc_lo, s41, v217, vcc_lo
	v_add_co_u32 v159, vcc_lo, v216, s2
	v_add_co_ci_u32_e32 v160, vcc_lo, s3, v217, vcc_lo
	s_lshl_b64 s[2:3], s[4:5], 1
	s_delay_alu instid0(SALU_CYCLE_1)
	v_add_co_u32 v161, vcc_lo, v216, s2
	v_add_co_ci_u32_e32 v162, vcc_lo, s3, v217, vcc_lo
	s_waitcnt vmcnt(36) lgkmcnt(2)
	v_wmma_f32_16x16x16_bf16 v[191:198], v[33:40], v[143:150], v[191:198]
	s_waitcnt vmcnt(34)
	v_wmma_f32_16x16x16_bf16 v[129:136], v[25:32], v[143:150], v[129:136]
	s_clause 0x3
	global_load_b128 v[25:28], v[199:200], off
	global_load_b128 v[29:32], v[199:200], off offset:16
	global_load_b128 v[33:36], v[159:160], off
	global_load_b128 v[37:40], v[159:160], off offset:16
	v_and_b32_e32 v143, 0xe0, v0
	v_mbcnt_lo_u32_b32 v159, -1, 0
	s_waitcnt vmcnt(36) lgkmcnt(0)
	v_wmma_f32_16x16x16_bf16 v[191:198], v[9:16], v[151:158], v[191:198]
	s_clause 0x1
	global_load_b128 v[9:12], v[161:162], off
	global_load_b128 v[13:16], v[161:162], off offset:16
	s_waitcnt vmcnt(36)
	v_wmma_f32_16x16x16_bf16 v[129:136], v[167:174], v[151:158], v[129:136]
	v_add_nc_u32_e32 v160, s29, v143
	ds_load_b128 v[143:146], v215 offset:14336
	ds_load_b128 v[147:150], v215 offset:15360
	v_xor_b32_e32 v151, 16, v159
	s_waitcnt vmcnt(0) lgkmcnt(0)
	s_barrier
	v_or_b32_e32 v152, v160, v138
	buffer_gl0_inv
	v_cmp_gt_i32_e32 vcc_lo, 32, v151
	v_or_b32_e32 v153, 2, v152
	v_or_b32_e32 v154, 4, v152
	v_or_b32_e32 v155, 6, v152
	v_or_b32_e32 v156, 8, v152
	v_or_b32_e32 v157, 10, v152
	v_cmp_gt_i32_e64 s2, s28, v153
	v_cmp_gt_i32_e64 s3, s28, v154
	;; [unrolled: 1-line block ×3, first 2 shown]
	v_or_b32_e32 v158, 12, v152
	v_cmp_gt_i32_e64 s5, s28, v156
	v_cmp_gt_i32_e64 s6, s28, v157
	v_wmma_f32_16x16x16_bf16 v[191:198], v[175:182], v[143:150], v[191:198]
	v_wmma_f32_16x16x16_bf16 v[129:136], v[183:190], v[143:150], v[129:136]
	v_cndmask_b32_e32 v151, v159, v151, vcc_lo
	v_cmp_gt_i32_e32 vcc_lo, s28, v152
	v_or_b32_e32 v159, 14, v152
	v_dual_mul_f32 v149, s33, v192 :: v_dual_mul_f32 v150, s33, v191
	v_dual_mul_f32 v147, s33, v194 :: v_dual_mul_f32 v148, s33, v193
	;; [unrolled: 1-line block ×3, first 2 shown]
	s_delay_alu instid0(VALU_DEP_3) | instskip(NEXT) | instid1(VALU_DEP_4)
	v_cndmask_b32_e32 v150, 0xff7fffff, v150, vcc_lo
	v_cndmask_b32_e64 v149, 0xff7fffff, v149, s2
	v_mul_f32_e32 v146, s33, v195
	v_cndmask_b32_e64 v148, 0xff7fffff, v148, s3
	v_cndmask_b32_e64 v147, 0xff7fffff, v147, s4
	v_or_b32_e32 v160, 16, v152
	v_max3_f32 v149, v150, 0xff7fffff, v149
	v_or_b32_e32 v161, 18, v152
	v_dual_mul_f32 v143, s33, v198 :: v_dual_mul_f32 v144, s33, v197
	v_cndmask_b32_e64 v146, 0xff7fffff, v146, s5
	v_cndmask_b32_e64 v145, 0xff7fffff, v145, s6
	v_max3_f32 v147, v149, v148, v147
	v_cmp_gt_i32_e64 s7, s28, v158
	v_cmp_gt_i32_e64 s8, s28, v159
	v_or_b32_e32 v162, 20, v152
	v_or_b32_e32 v163, 22, v152
	v_mul_f32_e32 v175, s33, v129
	v_cndmask_b32_e64 v144, 0xff7fffff, v144, s7
	v_cndmask_b32_e64 v143, 0xff7fffff, v143, s8
	v_max3_f32 v145, v147, v146, v145
	v_cmp_gt_i32_e64 s9, s28, v160
	v_cmp_gt_i32_e64 s10, s28, v161
	v_or_b32_e32 v164, 24, v152
	v_or_b32_e32 v165, 26, v152
	v_dual_mul_f32 v172, s33, v132 :: v_dual_mul_f32 v173, s33, v131
	v_cndmask_b32_e64 v146, 0xff7fffff, v175, s9
	v_cndmask_b32_e64 v147, 0xff7fffff, v174, s10
	v_max3_f32 v143, v145, v144, v143
	v_cmp_gt_i32_e64 s11, s28, v162
	v_cmp_gt_i32_e64 s12, s28, v163
	v_or_b32_e32 v166, 28, v152
	v_or_b32_e32 v167, 30, v152
	v_dual_mul_f32 v170, s33, v134 :: v_dual_mul_f32 v171, s33, v133
	v_cndmask_b32_e64 v144, 0xff7fffff, v173, s11
	v_cndmask_b32_e64 v145, 0xff7fffff, v172, s12
	v_max3_f32 v143, v143, v146, v147
	v_cmp_gt_i32_e64 s13, s28, v164
	v_cmp_gt_i32_e64 s15, s28, v165
	v_dual_mul_f32 v168, s33, v136 :: v_dual_mul_f32 v169, s33, v135
	s_delay_alu instid0(VALU_DEP_4) | instskip(NEXT) | instid1(VALU_DEP_4)
	v_max3_f32 v143, v143, v144, v145
	v_cndmask_b32_e64 v146, 0xff7fffff, v171, s13
	s_delay_alu instid0(VALU_DEP_4) | instskip(SKIP_3) | instid1(VALU_DEP_4)
	v_cndmask_b32_e64 v147, 0xff7fffff, v170, s15
	v_cmp_gt_i32_e64 s16, s28, v166
	v_cmp_gt_i32_e64 s17, s28, v167
	v_lshlrev_b32_e32 v154, 2, v151
	v_max3_f32 v143, v143, v146, v147
	s_delay_alu instid0(VALU_DEP_4) | instskip(NEXT) | instid1(VALU_DEP_4)
	v_cndmask_b32_e64 v144, 0xff7fffff, v169, s16
	v_cndmask_b32_e64 v145, 0xff7fffff, v168, s17
	s_delay_alu instid0(VALU_DEP_1) | instskip(SKIP_3) | instid1(VALU_DEP_1)
	v_max3_f32 v143, v143, v144, v145
	ds_bpermute_b32 v144, v154, v143
	s_waitcnt lgkmcnt(0)
	v_max_f32_e32 v144, v144, v144
	v_max_f32_e32 v153, v143, v144
	s_delay_alu instid0(VALU_DEP_1) | instskip(SKIP_4) | instid1(VALU_DEP_4)
	v_fma_f32 v143, s33, v191, -v153
	v_fma_f32 v144, s33, v192, -v153
	;; [unrolled: 1-line block ×5, first 2 shown]
	v_dual_mul_f32 v143, 0x3fb8aa3b, v143 :: v_dual_mul_f32 v144, 0x3fb8aa3b, v144
	s_delay_alu instid0(VALU_DEP_4) | instskip(SKIP_2) | instid1(VALU_DEP_4)
	v_mul_f32_e32 v130, 0x3fb8aa3b, v130
	v_fma_f32 v132, s33, v132, -v153
	v_mul_f32_e32 v145, 0x3fb8aa3b, v145
	v_exp_f32_e32 v143, v143
	v_exp_f32_e32 v147, v144
	v_fma_f32 v148, s33, v195, -v153
	v_mul_f32_e32 v132, 0x3fb8aa3b, v132
	v_mul_f32_e32 v146, 0x3fb8aa3b, v146
	v_exp_f32_e32 v145, v145
	v_fma_f32 v151, s33, v197, -v153
	v_mul_f32_e32 v148, 0x3fb8aa3b, v148
	v_fma_f32 v134, s33, v134, -v153
	v_exp_f32_e32 v149, v146
	v_cndmask_b32_e32 v144, 0, v143, vcc_lo
	v_fma_f32 v143, s33, v196, -v153
	v_cndmask_b32_e64 v146, 0, v147, s2
	v_exp_f32_e32 v148, v148
	s_delay_alu instid0(VALU_DEP_3) | instskip(NEXT) | instid1(VALU_DEP_3)
	v_dual_mul_f32 v151, 0x3fb8aa3b, v151 :: v_dual_add_f32 v150, 0, v144
	v_dual_mul_f32 v143, 0x3fb8aa3b, v143 :: v_dual_mul_f32 v134, 0x3fb8aa3b, v134
	v_cndmask_b32_e64 v147, 0, v145, s3
	s_delay_alu instid0(TRANS32_DEP_2) | instskip(NEXT) | instid1(VALU_DEP_4)
	v_cndmask_b32_e64 v149, 0, v149, s4
	v_add_f32_e32 v145, v150, v146
	v_fma_f32 v150, s33, v198, -v153
	v_exp_f32_e32 v143, v143
	v_fma_f32 v129, s33, v129, -v153
	v_exp_f32_e32 v155, v151
	s_delay_alu instid0(VALU_DEP_2) | instskip(SKIP_1) | instid1(VALU_DEP_3)
	v_dual_add_f32 v145, v145, v147 :: v_dual_mul_f32 v152, 0x3fb8aa3b, v150
	v_cndmask_b32_e64 v150, 0, v148, s5
	v_mul_f32_e32 v129, 0x3fb8aa3b, v129
	v_fma_f32 v131, s33, v131, -v153
	s_delay_alu instid0(VALU_DEP_4) | instskip(SKIP_1) | instid1(TRANS32_DEP_3)
	v_add_f32_e32 v145, v145, v149
	v_exp_f32_e32 v152, v152
	v_cndmask_b32_e64 v151, 0, v143, s6
	v_exp_f32_e32 v129, v129
	s_delay_alu instid0(TRANS32_DEP_3)
	v_cndmask_b32_e64 v148, 0, v155, s7
	v_add_f32_e32 v143, v145, v150
	v_mul_f32_e32 v131, 0x3fb8aa3b, v131
	v_exp_f32_e32 v130, v130
	v_fma_f32 v133, s33, v133, -v153
	v_fma_f32 v136, s33, v136, -v153
	v_add_f32_e32 v143, v143, v151
	v_cndmask_b32_e64 v152, 0, v152, s8
	v_exp_f32_e32 v145, v131
	v_cndmask_b32_e64 v131, 0, v129, s9
	v_mul_f32_e32 v133, 0x3fb8aa3b, v133
	v_add_f32_e32 v143, v143, v148
	v_cmp_gt_u32_e64 s2, 16, v142
	s_delay_alu instid0(VALU_DEP_2)
	v_add_f32_e32 v129, v143, v152
	v_exp_f32_e32 v143, v132
	v_cndmask_b32_e64 v132, 0, v130, s10
	v_fma_f32 v130, s33, v135, -v153
	v_exp_f32_e32 v135, v133
	v_add_f32_e32 v129, v129, v131
	v_cndmask_b32_e64 v133, 0, v145, s11
	v_exp_f32_e32 v145, v134
	s_delay_alu instid0(VALU_DEP_2) | instskip(NEXT) | instid1(TRANS32_DEP_3)
	v_dual_mul_f32 v130, 0x3fb8aa3b, v130 :: v_dual_add_f32 v129, v129, v132
	v_cndmask_b32_e64 v134, 0, v143, s12
	v_mul_f32_e32 v143, 0x3fb8aa3b, v136
	s_delay_alu instid0(VALU_DEP_3) | instskip(NEXT) | instid1(TRANS32_DEP_3)
	v_exp_f32_e32 v130, v130
	v_cndmask_b32_e64 v135, 0, v135, s13
	v_add_f32_e32 v129, v129, v133
	s_delay_alu instid0(TRANS32_DEP_2) | instskip(SKIP_1) | instid1(VALU_DEP_2)
	v_cndmask_b32_e64 v136, 0, v145, s15
	v_exp_f32_e32 v145, v143
	v_add_f32_e32 v129, v129, v134
	s_waitcnt_depctr 0xfff
	v_cndmask_b32_e64 v143, 0, v130, s16
	v_add_f32_e32 v129, v129, v135
	v_cndmask_b32_e64 v145, 0, v145, s17
	s_delay_alu instid0(VALU_DEP_2) | instskip(NEXT) | instid1(VALU_DEP_1)
	v_add_f32_e32 v129, v129, v136
	v_add_f32_e32 v129, v129, v143
	s_delay_alu instid0(VALU_DEP_1)
	v_add_f32_e32 v129, v129, v145
	ds_bpermute_b32 v130, v154, v129
	s_and_saveexec_b32 s3, s2
	s_cbranch_execz .LBB618_12
; %bb.11:
	v_mul_u32_u24_e32 v142, 0x44, v141
	s_waitcnt lgkmcnt(0)
	v_add_f32_e32 v129, v129, v130
	s_delay_alu instid0(VALU_DEP_2) | instskip(NEXT) | instid1(VALU_DEP_1)
	v_lshl_add_u32 v142, v140, 2, v142
	v_add_nc_u32_e32 v130, 0x4000, v142
	ds_store_2addr_b32 v130, v153, v129 offset1:136
.LBB618_12:
	s_or_b32 exec_lo, exec_lo, s3
	v_lshlrev_b32_e32 v129, 2, v140
	s_waitcnt lgkmcnt(0)
	s_barrier
	buffer_gl0_inv
	v_cmp_eq_u32_e64 s3, 1, v141
	v_add_nc_u32_e32 v142, 0x4000, v129
	ds_load_2addr_b32 v[153:154], v142 offset1:17
	ds_load_2addr_b32 v[155:156], v142 offset0:34 offset1:51
	ds_load_2addr_b32 v[157:158], v142 offset0:68 offset1:85
	;; [unrolled: 1-line block ×4, first 2 shown]
	s_waitcnt lgkmcnt(4)
	v_max3_f32 v129, v153, 0xff7fffff, v154
	s_waitcnt lgkmcnt(3)
	s_delay_alu instid0(VALU_DEP_1) | instskip(SKIP_1) | instid1(VALU_DEP_1)
	v_max3_f32 v129, v129, v155, v156
	s_waitcnt lgkmcnt(2)
	v_max3_f32 v129, v129, v157, v158
	s_waitcnt lgkmcnt(1)
	s_delay_alu instid0(VALU_DEP_1) | instskip(NEXT) | instid1(VALU_DEP_1)
	v_max3_f32 v129, v129, v159, v160
	v_sub_f32_e32 v163, v154, v129
	v_sub_f32_e32 v130, v153, v129
	ds_load_2addr_b32 v[153:154], v142 offset0:170 offset1:187
	v_sub_f32_e32 v155, v155, v129
	v_dual_mul_f32 v163, 0x3fb8aa3b, v163 :: v_dual_mul_f32 v130, 0x3fb8aa3b, v130
	s_delay_alu instid0(VALU_DEP_2) | instskip(NEXT) | instid1(VALU_DEP_2)
	v_mul_f32_e32 v165, 0x3fb8aa3b, v155
	v_exp_f32_e32 v163, v163
	s_delay_alu instid0(VALU_DEP_2)
	v_exp_f32_e32 v164, v130
	v_sub_f32_e32 v130, v156, v129
	ds_load_2addr_b32 v[155:156], v142 offset0:204 offset1:221
	v_exp_f32_e32 v165, v165
	v_mul_f32_e32 v166, 0x3fb8aa3b, v130
	s_waitcnt lgkmcnt(2)
	v_fma_f32 v130, v164, v161, 0
	v_sub_f32_e32 v157, v157, v129
	s_delay_alu instid0(VALU_DEP_3) | instskip(NEXT) | instid1(VALU_DEP_2)
	v_exp_f32_e32 v166, v166
	v_dual_sub_f32 v161, v158, v129 :: v_dual_fmac_f32 v130, v163, v162
	s_waitcnt lgkmcnt(1)
	s_waitcnt_depctr 0xfff
	v_fmac_f32_e32 v130, v165, v153
	v_mul_f32_e32 v167, 0x3fb8aa3b, v157
	ds_load_2addr_b32 v[157:158], v142 offset0:238 offset1:255
	v_sub_f32_e32 v142, v159, v129
	v_dual_sub_f32 v153, v160, v129 :: v_dual_fmac_f32 v130, v166, v154
	v_mul_f32_e32 v159, 0x3fb8aa3b, v161
	v_exp_f32_e32 v161, v167
	s_delay_alu instid0(VALU_DEP_2)
	v_dual_mul_f32 v142, 0x3fb8aa3b, v142 :: v_dual_mul_f32 v153, 0x3fb8aa3b, v153
	s_waitcnt lgkmcnt(0)
	s_barrier
	buffer_gl0_inv
	v_exp_f32_e32 v142, v142
	v_exp_f32_e32 v153, v153
	v_fmac_f32_e32 v130, v161, v155
	v_exp_f32_e32 v159, v159
	s_waitcnt_depctr 0xfff
	v_fmac_f32_e32 v130, v159, v156
	s_delay_alu instid0(VALU_DEP_1) | instskip(NEXT) | instid1(VALU_DEP_1)
	v_fmac_f32_e32 v130, v142, v157
	v_fmac_f32_e32 v130, v153, v158
	s_delay_alu instid0(VALU_DEP_1) | instskip(NEXT) | instid1(VALU_DEP_1)
	v_add_f32_e32 v154, 0x358637bd, v130
	v_div_scale_f32 v155, null, v154, v154, 1.0
	v_div_scale_f32 v158, vcc_lo, 1.0, v154, 1.0
	s_delay_alu instid0(VALU_DEP_2) | instskip(SKIP_2) | instid1(VALU_DEP_1)
	v_rcp_f32_e32 v156, v155
	s_waitcnt_depctr 0xfff
	v_fma_f32 v157, -v155, v156, 1.0
	v_fmac_f32_e32 v156, v157, v156
	v_cndmask_b32_e64 v157, v164, v163, s3
	v_cmp_eq_u32_e64 s3, 2, v141
	s_delay_alu instid0(VALU_DEP_3) | instskip(NEXT) | instid1(VALU_DEP_2)
	v_mul_f32_e32 v160, v158, v156
	v_cndmask_b32_e64 v157, v157, v165, s3
	v_cmp_eq_u32_e64 s3, 3, v141
	s_delay_alu instid0(VALU_DEP_3) | instskip(NEXT) | instid1(VALU_DEP_2)
	v_fma_f32 v162, -v155, v160, v158
	v_cndmask_b32_e64 v157, v157, v166, s3
	v_cmp_eq_u32_e64 s3, 4, v141
	s_delay_alu instid0(VALU_DEP_3) | instskip(NEXT) | instid1(VALU_DEP_2)
	v_fmac_f32_e32 v160, v162, v156
	v_cndmask_b32_e64 v157, v157, v161, s3
	s_delay_alu instid0(VALU_DEP_2) | instskip(SKIP_1) | instid1(VALU_DEP_2)
	v_fma_f32 v155, -v155, v160, v158
	v_cmp_eq_u32_e64 s3, 5, v141
	v_div_fmas_f32 v155, v155, v156, v160
	s_delay_alu instid0(VALU_DEP_2) | instskip(SKIP_2) | instid1(VALU_DEP_3)
	v_cndmask_b32_e64 v157, v157, v159, s3
	v_cmp_eq_u32_e32 vcc_lo, 6, v141
	s_mov_b32 s3, exec_lo
	v_div_fixup_f32 v154, v155, v154, 1.0
	s_delay_alu instid0(VALU_DEP_3) | instskip(SKIP_1) | instid1(VALU_DEP_2)
	v_cndmask_b32_e32 v142, v157, v142, vcc_lo
	v_cmp_eq_u32_e32 vcc_lo, 7, v141
	v_cndmask_b32_e32 v142, v142, v153, vcc_lo
	s_delay_alu instid0(VALU_DEP_1) | instskip(NEXT) | instid1(VALU_DEP_1)
	v_mul_f32_e32 v142, v142, v154
	v_mul_f32_e32 v153, v142, v149
	;; [unrolled: 1-line block ×7, first 2 shown]
	v_dual_mul_f32 v150, v142, v147 :: v_dual_and_b32 v155, 0x7f800000, v154
	v_mul_f32_e32 v149, v142, v146
                                        ; implicit-def: $vgpr146
	s_delay_alu instid0(VALU_DEP_2)
	v_cmpx_ne_u32_e32 0x7f800000, v155
	s_xor_b32 s3, exec_lo, s3
; %bb.13:
	v_bfe_u32 v146, v154, 16, 1
	s_delay_alu instid0(VALU_DEP_1)
	v_add3_u32 v146, v154, v146, 0x7fff
                                        ; implicit-def: $vgpr154
; %bb.14:
	s_and_not1_saveexec_b32 s3, s3
; %bb.15:
	v_and_b32_e32 v146, 0xffff, v154
	v_or_b32_e32 v147, 0x10000, v154
	s_delay_alu instid0(VALU_DEP_2) | instskip(NEXT) | instid1(VALU_DEP_2)
	v_cmp_eq_u32_e32 vcc_lo, 0, v146
	v_cndmask_b32_e32 v146, v147, v154, vcc_lo
; %bb.16:
	s_or_b32 exec_lo, exec_lo, s3
	v_and_b32_e32 v147, 0x7f800000, v149
	s_delay_alu instid0(VALU_DEP_1) | instskip(SKIP_1) | instid1(SALU_CYCLE_1)
	v_cmp_ne_u32_e32 vcc_lo, 0x7f800000, v147
                                        ; implicit-def: $vgpr147
	s_and_saveexec_b32 s3, vcc_lo
	s_xor_b32 s3, exec_lo, s3
; %bb.17:
	v_bfe_u32 v147, v149, 16, 1
	s_delay_alu instid0(VALU_DEP_1)
	v_add3_u32 v147, v149, v147, 0x7fff
                                        ; implicit-def: $vgpr149
; %bb.18:
	s_and_not1_saveexec_b32 s3, s3
; %bb.19:
	v_and_b32_e32 v147, 0xffff, v149
	v_or_b32_e32 v154, 0x10000, v149
	s_delay_alu instid0(VALU_DEP_2) | instskip(NEXT) | instid1(VALU_DEP_2)
	v_cmp_eq_u32_e32 vcc_lo, 0, v147
	v_cndmask_b32_e32 v147, v154, v149, vcc_lo
; %bb.20:
	s_or_b32 exec_lo, exec_lo, s3
	v_and_b32_e32 v149, 0x7f800000, v150
	s_delay_alu instid0(VALU_DEP_1) | instskip(SKIP_1) | instid1(SALU_CYCLE_1)
	v_cmp_ne_u32_e32 vcc_lo, 0x7f800000, v149
                                        ; implicit-def: $vgpr149
	s_and_saveexec_b32 s3, vcc_lo
	s_xor_b32 s3, exec_lo, s3
; %bb.21:
	v_bfe_u32 v149, v150, 16, 1
	s_delay_alu instid0(VALU_DEP_1)
	v_add3_u32 v149, v150, v149, 0x7fff
                                        ; implicit-def: $vgpr150
; %bb.22:
	s_and_not1_saveexec_b32 s3, s3
; %bb.23:
	v_and_b32_e32 v149, 0xffff, v150
	v_or_b32_e32 v154, 0x10000, v150
	s_delay_alu instid0(VALU_DEP_2) | instskip(NEXT) | instid1(VALU_DEP_2)
	v_cmp_eq_u32_e32 vcc_lo, 0, v149
	v_cndmask_b32_e32 v149, v154, v150, vcc_lo
; %bb.24:
	s_or_b32 exec_lo, exec_lo, s3
	v_and_b32_e32 v150, 0x7f800000, v153
	s_delay_alu instid0(VALU_DEP_1) | instskip(SKIP_1) | instid1(SALU_CYCLE_1)
	v_cmp_ne_u32_e32 vcc_lo, 0x7f800000, v150
                                        ; implicit-def: $vgpr150
	s_and_saveexec_b32 s3, vcc_lo
	s_xor_b32 s3, exec_lo, s3
; %bb.25:
	v_bfe_u32 v150, v153, 16, 1
	s_delay_alu instid0(VALU_DEP_1)
	v_add3_u32 v150, v153, v150, 0x7fff
                                        ; implicit-def: $vgpr153
; %bb.26:
	s_and_not1_saveexec_b32 s3, s3
; %bb.27:
	v_and_b32_e32 v150, 0xffff, v153
	v_or_b32_e32 v154, 0x10000, v153
	s_delay_alu instid0(VALU_DEP_2) | instskip(NEXT) | instid1(VALU_DEP_2)
	v_cmp_eq_u32_e32 vcc_lo, 0, v150
	v_cndmask_b32_e32 v150, v154, v153, vcc_lo
; %bb.28:
	s_or_b32 exec_lo, exec_lo, s3
	v_and_b32_e32 v153, 0x7f800000, v152
	s_delay_alu instid0(VALU_DEP_1) | instskip(SKIP_1) | instid1(SALU_CYCLE_1)
	v_cmp_ne_u32_e32 vcc_lo, 0x7f800000, v153
                                        ; implicit-def: $vgpr153
	s_and_saveexec_b32 s3, vcc_lo
	s_xor_b32 s3, exec_lo, s3
; %bb.29:
	v_bfe_u32 v153, v152, 16, 1
	s_delay_alu instid0(VALU_DEP_1)
	v_add3_u32 v153, v152, v153, 0x7fff
                                        ; implicit-def: $vgpr152
; %bb.30:
	s_and_not1_saveexec_b32 s3, s3
; %bb.31:
	v_and_b32_e32 v153, 0xffff, v152
	v_or_b32_e32 v154, 0x10000, v152
	s_delay_alu instid0(VALU_DEP_2) | instskip(NEXT) | instid1(VALU_DEP_2)
	v_cmp_eq_u32_e32 vcc_lo, 0, v153
	v_cndmask_b32_e32 v153, v154, v152, vcc_lo
; %bb.32:
	s_or_b32 exec_lo, exec_lo, s3
	v_and_b32_e32 v152, 0x7f800000, v151
	s_delay_alu instid0(VALU_DEP_1) | instskip(SKIP_1) | instid1(SALU_CYCLE_1)
	v_cmp_ne_u32_e32 vcc_lo, 0x7f800000, v152
                                        ; implicit-def: $vgpr152
	s_and_saveexec_b32 s3, vcc_lo
	s_xor_b32 s3, exec_lo, s3
; %bb.33:
	v_bfe_u32 v152, v151, 16, 1
	s_delay_alu instid0(VALU_DEP_1)
	v_add3_u32 v152, v151, v152, 0x7fff
                                        ; implicit-def: $vgpr151
; %bb.34:
	s_and_not1_saveexec_b32 s3, s3
; %bb.35:
	v_and_b32_e32 v152, 0xffff, v151
	v_or_b32_e32 v154, 0x10000, v151
	s_delay_alu instid0(VALU_DEP_2) | instskip(NEXT) | instid1(VALU_DEP_2)
	v_cmp_eq_u32_e32 vcc_lo, 0, v152
	v_cndmask_b32_e32 v152, v154, v151, vcc_lo
; %bb.36:
	s_or_b32 exec_lo, exec_lo, s3
	v_and_b32_e32 v151, 0x7f800000, v148
	s_delay_alu instid0(VALU_DEP_1) | instskip(SKIP_1) | instid1(SALU_CYCLE_1)
	v_cmp_ne_u32_e32 vcc_lo, 0x7f800000, v151
                                        ; implicit-def: $vgpr151
	s_and_saveexec_b32 s3, vcc_lo
	s_xor_b32 s3, exec_lo, s3
; %bb.37:
	v_bfe_u32 v151, v148, 16, 1
	s_delay_alu instid0(VALU_DEP_1)
	v_add3_u32 v151, v148, v151, 0x7fff
                                        ; implicit-def: $vgpr148
; %bb.38:
	s_and_not1_saveexec_b32 s3, s3
; %bb.39:
	v_and_b32_e32 v151, 0xffff, v148
	v_or_b32_e32 v154, 0x10000, v148
	s_delay_alu instid0(VALU_DEP_2) | instskip(NEXT) | instid1(VALU_DEP_2)
	v_cmp_eq_u32_e32 vcc_lo, 0, v151
	v_cndmask_b32_e32 v151, v154, v148, vcc_lo
; %bb.40:
	s_or_b32 exec_lo, exec_lo, s3
	v_and_b32_e32 v148, 0x7f800000, v144
	s_delay_alu instid0(VALU_DEP_1) | instskip(SKIP_1) | instid1(SALU_CYCLE_1)
	v_cmp_ne_u32_e32 vcc_lo, 0x7f800000, v148
                                        ; implicit-def: $vgpr148
	s_and_saveexec_b32 s3, vcc_lo
	s_xor_b32 s3, exec_lo, s3
; %bb.41:
	v_bfe_u32 v148, v144, 16, 1
	s_delay_alu instid0(VALU_DEP_1)
	v_add3_u32 v148, v144, v148, 0x7fff
                                        ; implicit-def: $vgpr144
; %bb.42:
	s_and_not1_saveexec_b32 s3, s3
; %bb.43:
	v_and_b32_e32 v148, 0xffff, v144
	v_or_b32_e32 v154, 0x10000, v144
	s_delay_alu instid0(VALU_DEP_2) | instskip(NEXT) | instid1(VALU_DEP_2)
	v_cmp_eq_u32_e32 vcc_lo, 0, v148
	v_cndmask_b32_e32 v148, v154, v144, vcc_lo
; %bb.44:
	s_or_b32 exec_lo, exec_lo, s3
	s_load_b64 s[34:35], s[0:1], 0x94
	v_lshlrev_b32_e32 v155, 4, v138
	s_delay_alu instid0(VALU_DEP_2)
	v_perm_b32 v154, v148, v151, 0x7060302
	v_mul_f32_e32 v148, v142, v131
	v_dual_mul_f32 v145, v142, v145 :: v_dual_lshlrev_b32 v144, 6, v140
	v_dual_mul_f32 v143, v142, v143 :: v_dual_lshlrev_b32 v156, 11, v141
	v_perm_b32 v153, v152, v153, 0x7060302
	v_perm_b32 v152, v150, v149, 0x7060302
	;; [unrolled: 1-line block ×3, first 2 shown]
	s_delay_alu instid0(VALU_DEP_4)
	v_or3_b32 v131, v155, v156, v144
	v_mul_f32_e32 v136, v142, v136
	v_dual_mul_f32 v146, v142, v134 :: v_dual_and_b32 v149, 0x7f800000, v148
	v_mul_f32_e32 v135, v142, v135
	v_mul_f32_e32 v147, v142, v133
	;; [unrolled: 1-line block ×3, first 2 shown]
	s_mov_b32 s3, exec_lo
	ds_store_b128 v131, v[151:154]
                                        ; implicit-def: $vgpr132
	v_cmpx_ne_u32_e32 0x7f800000, v149
	s_xor_b32 s3, exec_lo, s3
; %bb.45:
	v_bfe_u32 v132, v148, 16, 1
	s_delay_alu instid0(VALU_DEP_1)
	v_add3_u32 v132, v148, v132, 0x7fff
                                        ; implicit-def: $vgpr148
; %bb.46:
	s_and_not1_saveexec_b32 s3, s3
; %bb.47:
	v_and_b32_e32 v132, 0xffff, v148
	v_or_b32_e32 v133, 0x10000, v148
	s_delay_alu instid0(VALU_DEP_2) | instskip(NEXT) | instid1(VALU_DEP_2)
	v_cmp_eq_u32_e32 vcc_lo, 0, v132
	v_cndmask_b32_e32 v132, v133, v148, vcc_lo
; %bb.48:
	s_or_b32 exec_lo, exec_lo, s3
	v_and_b32_e32 v133, 0x7f800000, v134
	s_delay_alu instid0(VALU_DEP_1) | instskip(SKIP_1) | instid1(SALU_CYCLE_1)
	v_cmp_ne_u32_e32 vcc_lo, 0x7f800000, v133
                                        ; implicit-def: $vgpr133
	s_and_saveexec_b32 s3, vcc_lo
	s_xor_b32 s3, exec_lo, s3
; %bb.49:
	v_bfe_u32 v133, v134, 16, 1
	s_delay_alu instid0(VALU_DEP_1)
	v_add3_u32 v133, v134, v133, 0x7fff
                                        ; implicit-def: $vgpr134
; %bb.50:
	s_and_not1_saveexec_b32 s3, s3
; %bb.51:
	v_and_b32_e32 v133, 0xffff, v134
	v_or_b32_e32 v142, 0x10000, v134
	s_delay_alu instid0(VALU_DEP_2) | instskip(NEXT) | instid1(VALU_DEP_2)
	v_cmp_eq_u32_e32 vcc_lo, 0, v133
	v_cndmask_b32_e32 v133, v142, v134, vcc_lo
; %bb.52:
	s_or_b32 exec_lo, exec_lo, s3
	v_and_b32_e32 v134, 0x7f800000, v147
	s_delay_alu instid0(VALU_DEP_1) | instskip(SKIP_1) | instid1(SALU_CYCLE_1)
	v_cmp_ne_u32_e32 vcc_lo, 0x7f800000, v134
                                        ; implicit-def: $vgpr134
	s_and_saveexec_b32 s3, vcc_lo
	s_xor_b32 s3, exec_lo, s3
; %bb.53:
	v_bfe_u32 v134, v147, 16, 1
	s_delay_alu instid0(VALU_DEP_1)
	v_add3_u32 v134, v147, v134, 0x7fff
                                        ; implicit-def: $vgpr147
; %bb.54:
	s_and_not1_saveexec_b32 s3, s3
; %bb.55:
	v_and_b32_e32 v134, 0xffff, v147
	v_or_b32_e32 v142, 0x10000, v147
	s_delay_alu instid0(VALU_DEP_2) | instskip(NEXT) | instid1(VALU_DEP_2)
	v_cmp_eq_u32_e32 vcc_lo, 0, v134
	v_cndmask_b32_e32 v134, v142, v147, vcc_lo
; %bb.56:
	s_or_b32 exec_lo, exec_lo, s3
	v_and_b32_e32 v142, 0x7f800000, v146
	s_delay_alu instid0(VALU_DEP_1) | instskip(SKIP_1) | instid1(SALU_CYCLE_1)
	v_cmp_ne_u32_e32 vcc_lo, 0x7f800000, v142
                                        ; implicit-def: $vgpr142
	s_and_saveexec_b32 s3, vcc_lo
	s_xor_b32 s3, exec_lo, s3
; %bb.57:
	v_bfe_u32 v142, v146, 16, 1
	s_delay_alu instid0(VALU_DEP_1)
	v_add3_u32 v142, v146, v142, 0x7fff
                                        ; implicit-def: $vgpr146
; %bb.58:
	s_and_not1_saveexec_b32 s3, s3
; %bb.59:
	v_and_b32_e32 v142, 0xffff, v146
	v_or_b32_e32 v147, 0x10000, v146
	s_delay_alu instid0(VALU_DEP_2) | instskip(NEXT) | instid1(VALU_DEP_2)
	v_cmp_eq_u32_e32 vcc_lo, 0, v142
	v_cndmask_b32_e32 v142, v147, v146, vcc_lo
; %bb.60:
	s_or_b32 exec_lo, exec_lo, s3
	v_and_b32_e32 v146, 0x7f800000, v135
	s_delay_alu instid0(VALU_DEP_1) | instskip(SKIP_1) | instid1(SALU_CYCLE_1)
	v_cmp_ne_u32_e32 vcc_lo, 0x7f800000, v146
                                        ; implicit-def: $vgpr146
	s_and_saveexec_b32 s3, vcc_lo
	s_xor_b32 s3, exec_lo, s3
; %bb.61:
	v_bfe_u32 v146, v135, 16, 1
	s_delay_alu instid0(VALU_DEP_1)
	v_add3_u32 v146, v135, v146, 0x7fff
                                        ; implicit-def: $vgpr135
; %bb.62:
	s_and_not1_saveexec_b32 s3, s3
; %bb.63:
	v_and_b32_e32 v146, 0xffff, v135
	v_or_b32_e32 v147, 0x10000, v135
	s_delay_alu instid0(VALU_DEP_2) | instskip(NEXT) | instid1(VALU_DEP_2)
	v_cmp_eq_u32_e32 vcc_lo, 0, v146
	v_cndmask_b32_e32 v146, v147, v135, vcc_lo
; %bb.64:
	s_or_b32 exec_lo, exec_lo, s3
	v_and_b32_e32 v135, 0x7f800000, v136
	s_delay_alu instid0(VALU_DEP_1) | instskip(SKIP_1) | instid1(SALU_CYCLE_1)
	v_cmp_ne_u32_e32 vcc_lo, 0x7f800000, v135
                                        ; implicit-def: $vgpr135
	s_and_saveexec_b32 s3, vcc_lo
	s_xor_b32 s3, exec_lo, s3
; %bb.65:
	v_bfe_u32 v135, v136, 16, 1
	s_delay_alu instid0(VALU_DEP_1)
	v_add3_u32 v135, v136, v135, 0x7fff
                                        ; implicit-def: $vgpr136
; %bb.66:
	s_and_not1_saveexec_b32 s3, s3
; %bb.67:
	v_and_b32_e32 v135, 0xffff, v136
	v_or_b32_e32 v147, 0x10000, v136
	s_delay_alu instid0(VALU_DEP_2) | instskip(NEXT) | instid1(VALU_DEP_2)
	v_cmp_eq_u32_e32 vcc_lo, 0, v135
	v_cndmask_b32_e32 v135, v147, v136, vcc_lo
; %bb.68:
	s_or_b32 exec_lo, exec_lo, s3
	v_and_b32_e32 v136, 0x7f800000, v143
	s_delay_alu instid0(VALU_DEP_1) | instskip(SKIP_1) | instid1(SALU_CYCLE_1)
	v_cmp_ne_u32_e32 vcc_lo, 0x7f800000, v136
                                        ; implicit-def: $vgpr136
	s_and_saveexec_b32 s3, vcc_lo
	s_xor_b32 s3, exec_lo, s3
; %bb.69:
	v_bfe_u32 v136, v143, 16, 1
	s_delay_alu instid0(VALU_DEP_1)
	v_add3_u32 v136, v143, v136, 0x7fff
                                        ; implicit-def: $vgpr143
; %bb.70:
	s_and_not1_saveexec_b32 s3, s3
; %bb.71:
	v_and_b32_e32 v136, 0xffff, v143
	v_or_b32_e32 v147, 0x10000, v143
	s_delay_alu instid0(VALU_DEP_2) | instskip(NEXT) | instid1(VALU_DEP_2)
	v_cmp_eq_u32_e32 vcc_lo, 0, v136
	v_cndmask_b32_e32 v136, v147, v143, vcc_lo
; %bb.72:
	s_or_b32 exec_lo, exec_lo, s3
	v_and_b32_e32 v143, 0x7f800000, v145
	s_delay_alu instid0(VALU_DEP_1) | instskip(SKIP_1) | instid1(SALU_CYCLE_1)
	v_cmp_ne_u32_e32 vcc_lo, 0x7f800000, v143
                                        ; implicit-def: $vgpr143
	s_and_saveexec_b32 s3, vcc_lo
	s_xor_b32 s3, exec_lo, s3
; %bb.73:
	v_bfe_u32 v143, v145, 16, 1
	s_delay_alu instid0(VALU_DEP_1)
	v_add3_u32 v143, v145, v143, 0x7fff
                                        ; implicit-def: $vgpr145
; %bb.74:
	s_and_not1_saveexec_b32 s3, s3
; %bb.75:
	v_and_b32_e32 v143, 0xffff, v145
	v_or_b32_e32 v147, 0x10000, v145
	s_delay_alu instid0(VALU_DEP_2) | instskip(NEXT) | instid1(VALU_DEP_2)
	v_cmp_eq_u32_e32 vcc_lo, 0, v143
	v_cndmask_b32_e32 v143, v147, v145, vcc_lo
; %bb.76:
	s_or_b32 exec_lo, exec_lo, s3
	s_delay_alu instid0(VALU_DEP_1)
	v_perm_b32 v136, v143, v136, 0x7060302
	v_perm_b32 v135, v135, v146, 0x7060302
	;; [unrolled: 1-line block ×4, first 2 shown]
	v_lshl_or_b32 v145, v141, 11, v144
	v_lshlrev_b32_e32 v142, 2, v138
	ds_store_b128 v131, v[133:136] offset:1024
	s_waitcnt lgkmcnt(0)
	s_barrier
	buffer_gl0_inv
	ds_load_b128 v[132:135], v145
	ds_load_b128 v[147:150], v145 offset:16
	v_or_b32_e32 v143, 1, v142
	v_cmp_eq_u32_e64 s12, 1, v142
	v_cmp_eq_u32_e64 s11, 2, v142
	;; [unrolled: 1-line block ×3, first 2 shown]
	v_or_b32_e32 v141, 2, v142
	v_cmp_eq_u32_e64 s7, 1, v143
	v_cmp_eq_u32_e64 s6, 2, v143
	;; [unrolled: 1-line block ×8, first 2 shown]
	v_cmp_eq_u32_e32 vcc_lo, 5, v143
	v_cmp_eq_u32_e64 s10, 2, v141
	v_cmp_eq_u32_e64 s4, 6, v143
	;; [unrolled: 1-line block ×4, first 2 shown]
	s_waitcnt lgkmcnt(1)
	v_lshrrev_b32_e32 v136, 16, v132
	s_waitcnt lgkmcnt(0)
	v_lshrrev_b32_e32 v155, 16, v147
	v_lshrrev_b32_e32 v161, 16, v148
	;; [unrolled: 1-line block ×4, first 2 shown]
	v_cndmask_b32_e64 v146, v132, v136, s12
	v_cndmask_b32_e64 v151, v147, v155, s12
	;; [unrolled: 1-line block ×4, first 2 shown]
	v_lshrrev_b32_e32 v160, 16, v134
	v_cndmask_b32_e64 v146, v146, v133, s11
	v_cndmask_b32_e64 v151, v151, v148, s11
	;; [unrolled: 1-line block ×8, first 2 shown]
	v_lshrrev_b32_e32 v164, 16, v150
	v_cndmask_b32_e64 v153, v153, v161, s5
	v_cndmask_b32_e64 v146, v146, v134, s17
	;; [unrolled: 1-line block ×5, first 2 shown]
	v_lshrrev_b32_e32 v162, 16, v135
	v_cndmask_b32_e64 v146, v146, v160, s13
	v_cndmask_b32_e64 v151, v151, v163, s13
	v_cndmask_b32_e32 v152, v152, v160, vcc_lo
	v_cndmask_b32_e64 v153, v153, v149, s3
	v_cmp_eq_u32_e64 s19, 7, v143
	v_cndmask_b32_e64 v146, v146, v135, s15
	v_cndmask_b32_e64 v151, v151, v150, s15
	;; [unrolled: 1-line block ×4, first 2 shown]
	v_cmp_eq_u32_e64 s20, 4, v141
	v_cndmask_b32_e64 v165, v146, v162, s9
	v_cndmask_b32_e64 v166, v151, v164, s9
	;; [unrolled: 1-line block ×3, first 2 shown]
	v_or_b32_e32 v146, 3, v142
	v_cndmask_b32_e64 v167, v152, v162, s19
	v_cndmask_b32_e32 v156, v153, v163, vcc_lo
	v_cndmask_b32_e64 v158, v154, v134, s20
	v_cndmask_b32_e64 v157, v151, v148, s10
	ds_load_b128 v[151:154], v145 offset:1024
	v_cmp_eq_u32_e64 s21, 1, v146
	v_cmp_eq_u32_e64 s22, 5, v141
	;; [unrolled: 1-line block ×3, first 2 shown]
	v_cndmask_b32_e64 v157, v157, v161, s18
	v_cmp_eq_u32_e64 s24, 3, v146
	v_cndmask_b32_e64 v132, v132, v136, s21
	v_cndmask_b32_e64 v136, v156, v150, s4
	v_cndmask_b32_e64 v168, v158, v160, s22
	v_cndmask_b32_e64 v169, v157, v149, s20
	v_cndmask_b32_e64 v147, v147, v155, s21
	ds_load_b128 v[155:158], v145 offset:1040
	v_cndmask_b32_e64 v132, v132, v133, s23
	v_cmp_eq_u32_e64 s26, 4, v146
	v_cmp_eq_u32_e64 s28, 5, v146
	v_cndmask_b32_e64 v147, v147, v148, s23
	v_cmp_eq_u32_e64 s25, 6, v141
	v_cndmask_b32_e64 v132, v132, v159, s24
	;; [unrolled: 2-line block ×3, first 2 shown]
	v_cndmask_b32_e64 v147, v147, v161, s24
	s_waitcnt lgkmcnt(1)
	v_lshrrev_b32_e32 v159, 16, v151
	v_cndmask_b32_e64 v132, v132, v134, s26
	v_cndmask_b32_e64 v148, v168, v135, s25
	;; [unrolled: 1-line block ×6, first 2 shown]
	v_lshrrev_b32_e32 v160, 16, v152
	v_cndmask_b32_e64 v161, v151, v159, s7
	v_cndmask_b32_e64 v134, v134, v163, s28
	s_waitcnt lgkmcnt(0)
	v_lshrrev_b32_e32 v149, 16, v155
	v_cndmask_b32_e64 v147, v147, v152, s11
	v_cndmask_b32_e64 v132, v132, v135, s29
	v_cmp_eq_u32_e64 s27, 7, v141
	v_cndmask_b32_e64 v134, v134, v150, s29
	v_cndmask_b32_e64 v163, v155, v149, s12
	;; [unrolled: 1-line block ×4, first 2 shown]
	v_lshrrev_b32_e32 v161, 16, v156
	v_cndmask_b32_e64 v136, v136, v164, s19
	v_cndmask_b32_e64 v150, v163, v156, s11
	v_cmp_eq_u32_e64 s11, 7, v146
	v_cndmask_b32_e64 v147, v147, v160, s5
	v_cndmask_b32_e64 v135, v135, v153, s17
	v_lshrrev_b32_e32 v163, 16, v153
	v_cndmask_b32_e64 v150, v150, v161, s16
	v_cndmask_b32_e64 v132, v132, v162, s11
	;; [unrolled: 1-line block ×8, first 2 shown]
	v_lshrrev_b32_e32 v164, 16, v157
	v_perm_b32 v135, v134, v132, 0x5040100
	v_cndmask_b32_e32 v132, v147, v163, vcc_lo
	v_cndmask_b32_e64 v147, v162, v154, s15
	v_lshrrev_b32_e32 v162, 16, v154
	v_cndmask_b32_e64 v150, v150, v164, s13
	v_perm_b32 v134, v133, v148, 0x5040100
	v_cndmask_b32_e64 v132, v132, v154, s4
	v_perm_b32 v133, v136, v167, 0x5040100
	v_cndmask_b32_e64 v136, v147, v162, s9
	v_cndmask_b32_e64 v147, v150, v158, s15
	;; [unrolled: 1-line block ×27, first 2 shown]
	v_cndmask_b32_e32 v149, v149, v164, vcc_lo
	v_lshrrev_b32_e32 v148, 16, v158
	v_cndmask_b32_e64 v132, v132, v154, s25
	v_cndmask_b32_e64 v150, v150, v154, s29
	v_cndmask_b32_e64 v151, v151, v158, s29
	v_cndmask_b32_e64 v152, v152, v158, s25
	v_cndmask_b32_e64 v149, v149, v158, s4
	v_cndmask_b32_e64 v153, v132, v162, s27
	v_cndmask_b32_e64 v150, v150, v162, s11
	v_cndmask_b32_e64 v151, v151, v148, s11
	v_cndmask_b32_e64 v152, v152, v148, s27
	v_cndmask_b32_e64 v154, v149, v148, s19
	v_cndmask_b32_e64 v147, v147, v148, s9
	v_perm_b32 v132, v166, v165, 0x5040100
	v_perm_b32 v150, v151, v150, 0x5040100
	;; [unrolled: 1-line block ×5, first 2 shown]
	s_mul_i32 s8, s35, 5
	s_mov_b32 s3, exec_lo
	ds_store_b128 v131, v[132:135]
	ds_store_b128 v131, v[147:150] offset:1024
	v_cmpx_gt_u32_e32 5, v0
	s_cbranch_execz .LBB618_78
; %bb.77:
	s_mul_i32 s4, s8, s30
	s_delay_alu instid0(SALU_CYCLE_1) | instskip(SKIP_1) | instid1(VALU_DEP_1)
	v_add3_u32 v133, s4, s31, v140
	s_load_b128 s[4:7], s[0:1], 0x58
	v_mad_u64_u32 v[131:132], null, v133, s34, s[14:15]
	s_delay_alu instid0(VALU_DEP_1) | instskip(NEXT) | instid1(VALU_DEP_1)
	v_ashrrev_i32_e32 v132, 31, v131
	v_lshlrev_b64 v[131:132], 2, v[131:132]
	s_waitcnt lgkmcnt(0)
	s_delay_alu instid0(VALU_DEP_1) | instskip(NEXT) | instid1(VALU_DEP_2)
	v_add_co_u32 v133, vcc_lo, s6, v131
	v_add_co_ci_u32_e32 v134, vcc_lo, s7, v132, vcc_lo
	v_add_co_u32 v131, vcc_lo, s4, v131
	v_add_co_ci_u32_e32 v132, vcc_lo, s5, v132, vcc_lo
	global_store_b32 v[133:134], v129, off
	global_store_b32 v[131:132], v130, off
.LBB618_78:
	s_or_b32 exec_lo, exec_lo, s3
	s_waitcnt lgkmcnt(0)
	s_waitcnt_vscnt null, 0x0
	s_barrier
	buffer_gl0_inv
	ds_load_b128 v[147:150], v144
	ds_load_b128 v[151:154], v144 offset:16
	ds_load_b128 v[159:162], v144 offset:1040
	;; [unrolled: 1-line block ×3, first 2 shown]
	v_mov_b32_e32 v129, 0
	ds_load_b128 v[167:170], v144 offset:2064
	ds_load_b128 v[163:166], v144 offset:2048
	;; [unrolled: 1-line block ×6, first 2 shown]
	v_mov_b32_e32 v130, v129
	v_mov_b32_e32 v131, v129
	;; [unrolled: 1-line block ×7, first 2 shown]
	s_waitcnt lgkmcnt(8)
	s_delay_alu instid0(VALU_DEP_1)
	v_wmma_f32_16x16x16_bf16 v[129:136], v[121:128], v[147:154], v[129:136]
	ds_load_b128 v[125:128], v144 offset:5136
	ds_load_b128 v[121:124], v144 offset:5120
	s_waitcnt lgkmcnt(8)
	v_wmma_f32_16x16x16_bf16 v[129:136], v[113:120], v[155:162], v[129:136]
	ds_load_b128 v[117:120], v144 offset:6160
	ds_load_b128 v[113:116], v144 offset:6144
	s_waitcnt lgkmcnt(8)
	;; [unrolled: 4-line block ×8, first 2 shown]
	v_wmma_f32_16x16x16_bf16 v[129:136], v[65:72], v[97:104], v[129:136]
	s_waitcnt lgkmcnt(6)
	s_delay_alu instid0(VALU_DEP_1)
	v_wmma_f32_16x16x16_bf16 v[129:136], v[49:56], v[89:96], v[129:136]
	ds_load_b128 v[53:56], v144 offset:13328
	ds_load_b128 v[49:52], v144 offset:13312
	s_waitcnt lgkmcnt(6)
	v_wmma_f32_16x16x16_bf16 v[129:136], v[41:48], v[81:88], v[129:136]
	ds_load_b128 v[45:48], v144 offset:14352
	ds_load_b128 v[41:44], v144 offset:14336
	s_waitcnt lgkmcnt(6)
	;; [unrolled: 4-line block ×3, first 2 shown]
	v_wmma_f32_16x16x16_bf16 v[129:136], v[1:8], v[57:64], v[129:136]
	s_waitcnt lgkmcnt(4)
	s_delay_alu instid0(VALU_DEP_1) | instskip(SKIP_1) | instid1(VALU_DEP_1)
	v_wmma_f32_16x16x16_bf16 v[129:136], v[25:32], v[49:56], v[129:136]
	s_waitcnt lgkmcnt(2)
	v_wmma_f32_16x16x16_bf16 v[129:136], v[33:40], v[41:48], v[129:136]
	s_waitcnt lgkmcnt(0)
	s_delay_alu instid0(VALU_DEP_1) | instskip(NEXT) | instid1(VALU_DEP_1)
	v_wmma_f32_16x16x16_bf16 v[129:136], v[9:16], v[17:24], v[129:136]
	v_and_b32_e32 v1, 0x7f800000, v129
	s_delay_alu instid0(VALU_DEP_1) | instskip(SKIP_1) | instid1(SALU_CYCLE_1)
	v_cmp_ne_u32_e32 vcc_lo, 0x7f800000, v1
                                        ; implicit-def: $vgpr1
	s_and_saveexec_b32 s3, vcc_lo
	s_xor_b32 s3, exec_lo, s3
; %bb.79:
	v_bfe_u32 v1, v129, 16, 1
	s_delay_alu instid0(VALU_DEP_1)
	v_add3_u32 v1, v129, v1, 0x7fff
; %bb.80:
	s_and_not1_saveexec_b32 s3, s3
; %bb.81:
	v_and_b32_e32 v1, 0xffff, v129
	v_or_b32_e32 v2, 0x10000, v129
	s_delay_alu instid0(VALU_DEP_2) | instskip(NEXT) | instid1(VALU_DEP_2)
	v_cmp_eq_u32_e32 vcc_lo, 0, v1
	v_cndmask_b32_e32 v1, v2, v129, vcc_lo
; %bb.82:
	s_or_b32 exec_lo, exec_lo, s3
	v_and_b32_e32 v2, 0x7f800000, v130
	s_delay_alu instid0(VALU_DEP_1) | instskip(SKIP_1) | instid1(SALU_CYCLE_1)
	v_cmp_ne_u32_e32 vcc_lo, 0x7f800000, v2
                                        ; implicit-def: $vgpr2
	s_and_saveexec_b32 s3, vcc_lo
	s_xor_b32 s3, exec_lo, s3
; %bb.83:
	v_bfe_u32 v2, v130, 16, 1
	s_delay_alu instid0(VALU_DEP_1)
	v_add3_u32 v2, v130, v2, 0x7fff
; %bb.84:
	s_and_not1_saveexec_b32 s3, s3
; %bb.85:
	v_and_b32_e32 v2, 0xffff, v130
	v_or_b32_e32 v3, 0x10000, v130
	s_delay_alu instid0(VALU_DEP_2) | instskip(NEXT) | instid1(VALU_DEP_2)
	v_cmp_eq_u32_e32 vcc_lo, 0, v2
	v_cndmask_b32_e32 v2, v3, v130, vcc_lo
; %bb.86:
	s_or_b32 exec_lo, exec_lo, s3
	v_and_b32_e32 v3, 0x7f800000, v131
	s_delay_alu instid0(VALU_DEP_1) | instskip(SKIP_1) | instid1(SALU_CYCLE_1)
	v_cmp_ne_u32_e32 vcc_lo, 0x7f800000, v3
                                        ; implicit-def: $vgpr3
	s_and_saveexec_b32 s3, vcc_lo
	s_xor_b32 s3, exec_lo, s3
; %bb.87:
	v_bfe_u32 v3, v131, 16, 1
	s_delay_alu instid0(VALU_DEP_1)
	v_add3_u32 v3, v131, v3, 0x7fff
; %bb.88:
	s_and_not1_saveexec_b32 s3, s3
; %bb.89:
	v_and_b32_e32 v3, 0xffff, v131
	v_or_b32_e32 v4, 0x10000, v131
	s_delay_alu instid0(VALU_DEP_2) | instskip(NEXT) | instid1(VALU_DEP_2)
	v_cmp_eq_u32_e32 vcc_lo, 0, v3
	v_cndmask_b32_e32 v3, v4, v131, vcc_lo
; %bb.90:
	s_or_b32 exec_lo, exec_lo, s3
	v_and_b32_e32 v4, 0x7f800000, v132
	s_delay_alu instid0(VALU_DEP_1) | instskip(SKIP_1) | instid1(SALU_CYCLE_1)
	v_cmp_ne_u32_e32 vcc_lo, 0x7f800000, v4
                                        ; implicit-def: $vgpr4
	s_and_saveexec_b32 s3, vcc_lo
	s_xor_b32 s3, exec_lo, s3
; %bb.91:
	v_bfe_u32 v4, v132, 16, 1
	s_delay_alu instid0(VALU_DEP_1)
	v_add3_u32 v4, v132, v4, 0x7fff
; %bb.92:
	s_and_not1_saveexec_b32 s3, s3
; %bb.93:
	v_and_b32_e32 v4, 0xffff, v132
	v_or_b32_e32 v5, 0x10000, v132
	s_delay_alu instid0(VALU_DEP_2) | instskip(NEXT) | instid1(VALU_DEP_2)
	v_cmp_eq_u32_e32 vcc_lo, 0, v4
	v_cndmask_b32_e32 v4, v5, v132, vcc_lo
; %bb.94:
	s_or_b32 exec_lo, exec_lo, s3
	v_and_b32_e32 v5, 0x7f800000, v133
	s_delay_alu instid0(VALU_DEP_1) | instskip(SKIP_1) | instid1(SALU_CYCLE_1)
	v_cmp_ne_u32_e32 vcc_lo, 0x7f800000, v5
                                        ; implicit-def: $vgpr5
	s_and_saveexec_b32 s3, vcc_lo
	s_xor_b32 s3, exec_lo, s3
; %bb.95:
	v_bfe_u32 v5, v133, 16, 1
	s_delay_alu instid0(VALU_DEP_1)
	v_add3_u32 v5, v133, v5, 0x7fff
; %bb.96:
	s_and_not1_saveexec_b32 s3, s3
; %bb.97:
	v_and_b32_e32 v5, 0xffff, v133
	v_or_b32_e32 v6, 0x10000, v133
	s_delay_alu instid0(VALU_DEP_2) | instskip(NEXT) | instid1(VALU_DEP_2)
	v_cmp_eq_u32_e32 vcc_lo, 0, v5
	v_cndmask_b32_e32 v5, v6, v133, vcc_lo
; %bb.98:
	s_or_b32 exec_lo, exec_lo, s3
	v_and_b32_e32 v6, 0x7f800000, v134
	s_delay_alu instid0(VALU_DEP_1) | instskip(SKIP_1) | instid1(SALU_CYCLE_1)
	v_cmp_ne_u32_e32 vcc_lo, 0x7f800000, v6
                                        ; implicit-def: $vgpr6
	s_and_saveexec_b32 s3, vcc_lo
	s_xor_b32 s3, exec_lo, s3
; %bb.99:
	v_bfe_u32 v6, v134, 16, 1
	s_delay_alu instid0(VALU_DEP_1)
	v_add3_u32 v6, v134, v6, 0x7fff
; %bb.100:
	s_and_not1_saveexec_b32 s3, s3
; %bb.101:
	v_and_b32_e32 v6, 0xffff, v134
	v_or_b32_e32 v7, 0x10000, v134
	s_delay_alu instid0(VALU_DEP_2) | instskip(NEXT) | instid1(VALU_DEP_2)
	v_cmp_eq_u32_e32 vcc_lo, 0, v6
	v_cndmask_b32_e32 v6, v7, v134, vcc_lo
; %bb.102:
	s_or_b32 exec_lo, exec_lo, s3
	v_and_b32_e32 v7, 0x7f800000, v135
	s_delay_alu instid0(VALU_DEP_1) | instskip(SKIP_1) | instid1(SALU_CYCLE_1)
	v_cmp_ne_u32_e32 vcc_lo, 0x7f800000, v7
                                        ; implicit-def: $vgpr7
	s_and_saveexec_b32 s3, vcc_lo
	s_xor_b32 s3, exec_lo, s3
; %bb.103:
	v_bfe_u32 v7, v135, 16, 1
	s_delay_alu instid0(VALU_DEP_1)
	v_add3_u32 v7, v135, v7, 0x7fff
; %bb.104:
	s_and_not1_saveexec_b32 s3, s3
; %bb.105:
	v_and_b32_e32 v7, 0xffff, v135
	v_or_b32_e32 v8, 0x10000, v135
	s_delay_alu instid0(VALU_DEP_2) | instskip(NEXT) | instid1(VALU_DEP_2)
	v_cmp_eq_u32_e32 vcc_lo, 0, v7
	v_cndmask_b32_e32 v7, v8, v135, vcc_lo
; %bb.106:
	s_or_b32 exec_lo, exec_lo, s3
	v_and_b32_e32 v8, 0x7f800000, v136
	s_delay_alu instid0(VALU_DEP_1) | instskip(SKIP_1) | instid1(SALU_CYCLE_1)
	v_cmp_ne_u32_e32 vcc_lo, 0x7f800000, v8
                                        ; implicit-def: $vgpr8
	s_and_saveexec_b32 s3, vcc_lo
	s_xor_b32 s3, exec_lo, s3
; %bb.107:
	v_bfe_u32 v8, v136, 16, 1
	s_delay_alu instid0(VALU_DEP_1)
	v_add3_u32 v8, v136, v8, 0x7fff
                                        ; implicit-def: $vgpr129_vgpr130_vgpr131_vgpr132_vgpr133_vgpr134_vgpr135_vgpr136
; %bb.108:
	s_and_not1_saveexec_b32 s3, s3
; %bb.109:
	v_and_b32_e32 v8, 0xffff, v136
	v_or_b32_e32 v9, 0x10000, v136
	s_delay_alu instid0(VALU_DEP_2) | instskip(NEXT) | instid1(VALU_DEP_2)
	v_cmp_eq_u32_e32 vcc_lo, 0, v8
	v_cndmask_b32_e32 v8, v9, v136, vcc_lo
; %bb.110:
	s_or_b32 exec_lo, exec_lo, s3
	s_delay_alu instid0(VALU_DEP_1)
	v_perm_b32 v7, v8, v7, 0x7060302
	v_perm_b32 v6, v6, v5, 0x7060302
	;; [unrolled: 1-line block ×4, first 2 shown]
	v_lshl_or_b32 v9, v138, 4, v145
	s_barrier
	buffer_gl0_inv
	v_cmp_eq_u32_e32 vcc_lo, 1, v142
	ds_store_b128 v9, v[4:7]
	s_waitcnt lgkmcnt(0)
	s_barrier
	buffer_gl0_inv
	ds_load_b128 v[1:4], v145
	ds_load_b128 v[5:8], v145 offset:16
	v_cmp_eq_u32_e64 s4, 2, v142
	v_cmp_eq_u32_e64 s3, 1, v143
	;; [unrolled: 1-line block ×5, first 2 shown]
	s_waitcnt lgkmcnt(1)
	v_lshrrev_b32_e32 v10, 16, v1
	s_waitcnt lgkmcnt(0)
	v_lshrrev_b32_e32 v14, 16, v5
	v_lshrrev_b32_e32 v15, 16, v6
	;; [unrolled: 1-line block ×4, first 2 shown]
	v_cndmask_b32_e64 v20, v1, v10, s3
	v_cndmask_b32_e32 v19, v5, v14, vcc_lo
	v_cndmask_b32_e64 v21, v5, v14, s3
	v_lshrrev_b32_e32 v16, 16, v7
	v_cmp_eq_u32_e64 s3, 1, v141
	v_lshrrev_b32_e32 v13, 16, v4
	v_cndmask_b32_e64 v19, v19, v6, s4
	v_lshrrev_b32_e32 v17, 16, v8
	s_delay_alu instid0(VALU_DEP_4) | instskip(SKIP_1) | instid1(VALU_DEP_4)
	v_cndmask_b32_e64 v22, v1, v10, s3
	v_cndmask_b32_e64 v23, v5, v14, s3
	;; [unrolled: 1-line block ×3, first 2 shown]
	v_cndmask_b32_e32 v18, v1, v10, vcc_lo
	v_cmp_eq_u32_e32 vcc_lo, 2, v143
	v_cmp_eq_u32_e64 s3, 2, v146
	v_cndmask_b32_e64 v22, v22, v2, s7
	v_cndmask_b32_e32 v20, v20, v2, vcc_lo
	v_cndmask_b32_e32 v21, v21, v6, vcc_lo
	v_cmp_eq_u32_e32 vcc_lo, 4, v142
	v_cndmask_b32_e32 v19, v19, v7, vcc_lo
	v_cndmask_b32_e64 v18, v18, v2, s4
	v_cmp_eq_u32_e64 s4, 3, v143
	s_delay_alu instid0(VALU_DEP_2) | instskip(NEXT) | instid1(VALU_DEP_2)
	v_cndmask_b32_e64 v18, v18, v11, s5
	v_cndmask_b32_e64 v21, v21, v15, s4
	v_cmp_eq_u32_e64 s5, 5, v142
	s_delay_alu instid0(VALU_DEP_3) | instskip(SKIP_1) | instid1(VALU_DEP_3)
	v_cndmask_b32_e32 v18, v18, v3, vcc_lo
	v_cmp_eq_u32_e32 vcc_lo, 4, v143
	v_cndmask_b32_e64 v19, v19, v16, s5
	s_delay_alu instid0(VALU_DEP_3) | instskip(SKIP_4) | instid1(VALU_DEP_3)
	v_cndmask_b32_e64 v18, v18, v12, s5
	v_cndmask_b32_e32 v21, v21, v7, vcc_lo
	v_cndmask_b32_e64 v20, v20, v11, s4
	v_cmp_eq_u32_e64 s4, 5, v143
	v_cmp_eq_u32_e64 s5, 6, v142
	v_cndmask_b32_e32 v20, v20, v3, vcc_lo
	s_delay_alu instid0(VALU_DEP_3) | instskip(SKIP_1) | instid1(VALU_DEP_4)
	v_cndmask_b32_e64 v21, v21, v16, s4
	v_cmp_eq_u32_e32 vcc_lo, 6, v143
	v_cndmask_b32_e64 v18, v18, v4, s5
	v_cndmask_b32_e64 v19, v19, v8, s5
	;; [unrolled: 1-line block ×3, first 2 shown]
	v_cmp_eq_u32_e64 s4, 1, v146
	v_cmp_eq_u32_e64 s5, 7, v142
	s_delay_alu instid0(VALU_DEP_3) | instskip(NEXT) | instid1(VALU_DEP_3)
	v_cndmask_b32_e32 v20, v20, v4, vcc_lo
	v_cndmask_b32_e64 v1, v1, v10, s4
	v_cndmask_b32_e64 v5, v5, v14, s4
	v_cmp_eq_u32_e64 s4, 3, v141
	v_cndmask_b32_e64 v14, v23, v6, s7
	v_cmp_eq_u32_e64 s7, 3, v146
	v_cndmask_b32_e64 v1, v1, v2, s3
	v_cndmask_b32_e64 v2, v5, v6, s3
	;; [unrolled: 1-line block ×3, first 2 shown]
	v_cmp_eq_u32_e64 s3, 4, v141
	v_cndmask_b32_e64 v6, v14, v15, s4
	v_cndmask_b32_e64 v1, v1, v11, s7
	v_cmp_eq_u32_e64 s4, 4, v146
	v_cndmask_b32_e64 v2, v2, v15, s7
	v_cndmask_b32_e64 v5, v10, v3, s3
	;; [unrolled: 3-line block ×3, first 2 shown]
	v_cndmask_b32_e64 v2, v2, v7, s4
	v_cmp_eq_u32_e64 s3, 5, v146
	v_cndmask_b32_e64 v5, v5, v12, s7
	v_cmp_eq_u32_e64 s4, 6, v141
	;; [unrolled: 2-line block ×3, first 2 shown]
	v_cndmask_b32_e64 v1, v1, v12, s3
	v_cndmask_b32_e64 v2, v2, v16, s3
	;; [unrolled: 1-line block ×4, first 2 shown]
	v_cmp_eq_u32_e64 s3, 7, v146
	v_cndmask_b32_e64 v1, v1, v4, s7
	v_cndmask_b32_e64 v2, v2, v8, s7
	v_cmp_eq_u32_e64 s4, 7, v141
	v_cndmask_b32_e32 v4, v21, v8, vcc_lo
	v_cndmask_b32_e64 v18, v18, v13, s5
	v_cndmask_b32_e64 v20, v20, v13, s6
	v_cndmask_b32_e64 v1, v1, v13, s3
	v_cndmask_b32_e64 v5, v5, v13, s4
	v_cndmask_b32_e64 v2, v2, v17, s3
	v_cndmask_b32_e64 v3, v3, v17, s4
	v_cndmask_b32_e64 v6, v4, v17, s6
	v_cndmask_b32_e64 v7, v19, v17, s5
	s_mov_b32 s3, exec_lo
	v_perm_b32 v4, v2, v1, 0x5040100
	v_perm_b32 v3, v3, v5, 0x5040100
	;; [unrolled: 1-line block ×4, first 2 shown]
	ds_store_b128 v9, v[1:4]
	s_waitcnt lgkmcnt(0)
	s_barrier
	buffer_gl0_inv
	v_cmpx_gt_u32_e32 32, v0
	s_cbranch_execz .LBB618_2
; %bb.111:
	s_load_b64 s[4:5], s[0:1], 0x68
	v_lshlrev_b32_e32 v0, 10, v0
	v_add_nc_u32_e32 v2, s31, v138
	v_lshlrev_b32_e32 v3, 4, v139
	s_lshl_b32 s0, s34, 7
	s_delay_alu instid0(SALU_CYCLE_1) | instskip(NEXT) | instid1(VALU_DEP_2)
	s_mul_i32 s1, s0, s30
	v_mul_lo_u32 v1, v2, s0
	s_delay_alu instid0(VALU_DEP_2) | instskip(SKIP_2) | instid1(SALU_CYCLE_1)
	v_and_or_b32 v0, 0x3800, v0, v3
	v_add_nc_u32_e32 v2, 2, v2
	s_mul_i32 s6, s1, s8
	s_ashr_i32 s7, s6, 31
	s_delay_alu instid0(VALU_DEP_2)
	v_lshl_or_b32 v7, v138, 6, v0
	s_lshl_b64 s[6:7], s[6:7], 1
	v_mul_lo_u32 v11, v2, s0
	v_ashrrev_i32_e32 v2, 31, v1
	ds_load_b128 v[3:6], v7
	ds_load_b128 v[7:10], v7 offset:128
	s_waitcnt lgkmcnt(0)
	s_add_u32 s1, s4, s6
	s_addc_u32 s3, s5, s7
	s_lshl_b32 s4, s14, 7
	v_ashrrev_i32_e32 v12, 31, v11
	s_ashr_i32 s5, s4, 31
	v_lshlrev_b64 v[13:14], 1, v[1:2]
	s_lshl_b64 s[4:5], s[4:5], 1
	s_delay_alu instid0(SALU_CYCLE_1) | instskip(SKIP_2) | instid1(VALU_DEP_1)
	s_add_u32 s1, s1, s4
	s_addc_u32 s3, s3, s5
	v_add_co_u32 v1, s1, s1, v137
	v_add_co_ci_u32_e64 v2, null, s3, 0, s1
	v_lshlrev_b64 v[11:12], 1, v[11:12]
	s_delay_alu instid0(VALU_DEP_3) | instskip(NEXT) | instid1(VALU_DEP_3)
	v_add_co_u32 v13, vcc_lo, v1, v13
	v_add_co_ci_u32_e32 v14, vcc_lo, v2, v14, vcc_lo
	s_delay_alu instid0(VALU_DEP_3) | instskip(NEXT) | instid1(VALU_DEP_4)
	v_add_co_u32 v11, vcc_lo, v1, v11
	v_add_co_ci_u32_e32 v12, vcc_lo, v2, v12, vcc_lo
	s_clause 0x1
	global_store_b128 v[13:14], v[3:6], off
	global_store_b128 v[11:12], v[7:10], off
	s_and_b32 exec_lo, exec_lo, s2
	s_cbranch_execz .LBB618_2
; %bb.112:
	ds_load_b128 v[3:6], v0 offset:256
	s_add_i32 s1, s31, 4
	s_delay_alu instid0(SALU_CYCLE_1) | instskip(NEXT) | instid1(SALU_CYCLE_1)
	s_mul_i32 s0, s1, s0
	s_ashr_i32 s1, s0, 31
	s_delay_alu instid0(SALU_CYCLE_1) | instskip(NEXT) | instid1(SALU_CYCLE_1)
	s_lshl_b64 s[0:1], s[0:1], 1
	v_add_co_u32 v0, vcc_lo, v1, s0
	v_add_co_ci_u32_e32 v1, vcc_lo, s1, v2, vcc_lo
	s_waitcnt lgkmcnt(0)
	global_store_b128 v[0:1], v[3:6], off
	s_nop 0
	s_sendmsg sendmsg(MSG_DEALLOC_VGPRS)
	s_endpgm
	.section	.rodata,"a",@progbits
	.p2align	6, 0x0
	.amdhsa_kernel _Z39paged_attention_ll4mi_QKV_mfma16_kernelI14__hip_bfloat16S0_LN4vllm18Fp8KVCacheDataTypeE0EhLi16ELi128ELi256ELb0ELi5EL8MFMAType0EEvPKT_PKT0_S9_ifPKiSB_SB_iPKfiiiPfSE_PS4_PT2_iSD_SD_
		.amdhsa_group_segment_fixed_size 17472
		.amdhsa_private_segment_fixed_size 0
		.amdhsa_kernarg_size 400
		.amdhsa_user_sgpr_count 13
		.amdhsa_user_sgpr_dispatch_ptr 0
		.amdhsa_user_sgpr_queue_ptr 0
		.amdhsa_user_sgpr_kernarg_segment_ptr 1
		.amdhsa_user_sgpr_dispatch_id 0
		.amdhsa_user_sgpr_private_segment_size 0
		.amdhsa_wavefront_size32 1
		.amdhsa_uses_dynamic_stack 0
		.amdhsa_enable_private_segment 0
		.amdhsa_system_sgpr_workgroup_id_x 1
		.amdhsa_system_sgpr_workgroup_id_y 1
		.amdhsa_system_sgpr_workgroup_id_z 1
		.amdhsa_system_sgpr_workgroup_info 0
		.amdhsa_system_vgpr_workitem_id 0
		.amdhsa_next_free_vgpr 218
		.amdhsa_next_free_sgpr 50
		.amdhsa_reserve_vcc 1
		.amdhsa_float_round_mode_32 0
		.amdhsa_float_round_mode_16_64 0
		.amdhsa_float_denorm_mode_32 3
		.amdhsa_float_denorm_mode_16_64 3
		.amdhsa_dx10_clamp 1
		.amdhsa_ieee_mode 1
		.amdhsa_fp16_overflow 0
		.amdhsa_workgroup_processor_mode 1
		.amdhsa_memory_ordered 1
		.amdhsa_forward_progress 0
		.amdhsa_shared_vgpr_count 0
		.amdhsa_exception_fp_ieee_invalid_op 0
		.amdhsa_exception_fp_denorm_src 0
		.amdhsa_exception_fp_ieee_div_zero 0
		.amdhsa_exception_fp_ieee_overflow 0
		.amdhsa_exception_fp_ieee_underflow 0
		.amdhsa_exception_fp_ieee_inexact 0
		.amdhsa_exception_int_div_zero 0
	.end_amdhsa_kernel
	.section	.text._Z39paged_attention_ll4mi_QKV_mfma16_kernelI14__hip_bfloat16S0_LN4vllm18Fp8KVCacheDataTypeE0EhLi16ELi128ELi256ELb0ELi5EL8MFMAType0EEvPKT_PKT0_S9_ifPKiSB_SB_iPKfiiiPfSE_PS4_PT2_iSD_SD_,"axG",@progbits,_Z39paged_attention_ll4mi_QKV_mfma16_kernelI14__hip_bfloat16S0_LN4vllm18Fp8KVCacheDataTypeE0EhLi16ELi128ELi256ELb0ELi5EL8MFMAType0EEvPKT_PKT0_S9_ifPKiSB_SB_iPKfiiiPfSE_PS4_PT2_iSD_SD_,comdat
.Lfunc_end618:
	.size	_Z39paged_attention_ll4mi_QKV_mfma16_kernelI14__hip_bfloat16S0_LN4vllm18Fp8KVCacheDataTypeE0EhLi16ELi128ELi256ELb0ELi5EL8MFMAType0EEvPKT_PKT0_S9_ifPKiSB_SB_iPKfiiiPfSE_PS4_PT2_iSD_SD_, .Lfunc_end618-_Z39paged_attention_ll4mi_QKV_mfma16_kernelI14__hip_bfloat16S0_LN4vllm18Fp8KVCacheDataTypeE0EhLi16ELi128ELi256ELb0ELi5EL8MFMAType0EEvPKT_PKT0_S9_ifPKiSB_SB_iPKfiiiPfSE_PS4_PT2_iSD_SD_
                                        ; -- End function
	.section	.AMDGPU.csdata,"",@progbits
; Kernel info:
; codeLenInByte = 10220
; NumSgprs: 52
; NumVgprs: 218
; ScratchSize: 0
; MemoryBound: 0
; FloatMode: 240
; IeeeMode: 1
; LDSByteSize: 17472 bytes/workgroup (compile time only)
; SGPRBlocks: 6
; VGPRBlocks: 27
; NumSGPRsForWavesPerEU: 52
; NumVGPRsForWavesPerEU: 218
; Occupancy: 6
; WaveLimiterHint : 1
; COMPUTE_PGM_RSRC2:SCRATCH_EN: 0
; COMPUTE_PGM_RSRC2:USER_SGPR: 13
; COMPUTE_PGM_RSRC2:TRAP_HANDLER: 0
; COMPUTE_PGM_RSRC2:TGID_X_EN: 1
; COMPUTE_PGM_RSRC2:TGID_Y_EN: 1
; COMPUTE_PGM_RSRC2:TGID_Z_EN: 1
; COMPUTE_PGM_RSRC2:TIDIG_COMP_CNT: 0
	.section	.text._Z39paged_attention_ll4mi_QKV_mfma16_kernelI14__hip_bfloat16S0_LN4vllm18Fp8KVCacheDataTypeE0EhLi16ELi128ELi256ELb0ELi6EL8MFMAType0EEvPKT_PKT0_S9_ifPKiSB_SB_iPKfiiiPfSE_PS4_PT2_iSD_SD_,"axG",@progbits,_Z39paged_attention_ll4mi_QKV_mfma16_kernelI14__hip_bfloat16S0_LN4vllm18Fp8KVCacheDataTypeE0EhLi16ELi128ELi256ELb0ELi6EL8MFMAType0EEvPKT_PKT0_S9_ifPKiSB_SB_iPKfiiiPfSE_PS4_PT2_iSD_SD_,comdat
	.protected	_Z39paged_attention_ll4mi_QKV_mfma16_kernelI14__hip_bfloat16S0_LN4vllm18Fp8KVCacheDataTypeE0EhLi16ELi128ELi256ELb0ELi6EL8MFMAType0EEvPKT_PKT0_S9_ifPKiSB_SB_iPKfiiiPfSE_PS4_PT2_iSD_SD_ ; -- Begin function _Z39paged_attention_ll4mi_QKV_mfma16_kernelI14__hip_bfloat16S0_LN4vllm18Fp8KVCacheDataTypeE0EhLi16ELi128ELi256ELb0ELi6EL8MFMAType0EEvPKT_PKT0_S9_ifPKiSB_SB_iPKfiiiPfSE_PS4_PT2_iSD_SD_
	.globl	_Z39paged_attention_ll4mi_QKV_mfma16_kernelI14__hip_bfloat16S0_LN4vllm18Fp8KVCacheDataTypeE0EhLi16ELi128ELi256ELb0ELi6EL8MFMAType0EEvPKT_PKT0_S9_ifPKiSB_SB_iPKfiiiPfSE_PS4_PT2_iSD_SD_
	.p2align	8
	.type	_Z39paged_attention_ll4mi_QKV_mfma16_kernelI14__hip_bfloat16S0_LN4vllm18Fp8KVCacheDataTypeE0EhLi16ELi128ELi256ELb0ELi6EL8MFMAType0EEvPKT_PKT0_S9_ifPKiSB_SB_iPKfiiiPfSE_PS4_PT2_iSD_SD_,@function
_Z39paged_attention_ll4mi_QKV_mfma16_kernelI14__hip_bfloat16S0_LN4vllm18Fp8KVCacheDataTypeE0EhLi16ELi128ELi256ELb0ELi6EL8MFMAType0EEvPKT_PKT0_S9_ifPKiSB_SB_iPKfiiiPfSE_PS4_PT2_iSD_SD_: ; @_Z39paged_attention_ll4mi_QKV_mfma16_kernelI14__hip_bfloat16S0_LN4vllm18Fp8KVCacheDataTypeE0EhLi16ELi128ELi256ELb0ELi6EL8MFMAType0EEvPKT_PKT0_S9_ifPKiSB_SB_iPKfiiiPfSE_PS4_PT2_iSD_SD_
; %bb.0:
	s_load_b64 s[4:5], s[0:1], 0x30
	s_mov_b32 s30, s13
	s_waitcnt lgkmcnt(0)
	s_cmp_lg_u64 s[4:5], 0
	s_cselect_b32 s8, -1, 0
	s_ashr_i32 s31, s13, 31
	s_cmp_eq_u64 s[4:5], 0
	s_cbranch_scc1 .LBB619_3
; %bb.1:
	s_lshl_b64 s[2:3], s[30:31], 2
	s_delay_alu instid0(SALU_CYCLE_1) | instskip(SKIP_4) | instid1(SALU_CYCLE_1)
	s_add_u32 s2, s4, s2
	s_addc_u32 s3, s5, s3
	s_load_b64 s[2:3], s[2:3], 0x0
	s_waitcnt lgkmcnt(0)
	s_sub_i32 s2, s3, s2
	s_cmp_eq_u32 s2, 1
	s_cselect_b32 s2, -1, 0
	s_delay_alu instid0(SALU_CYCLE_1)
	s_and_not1_b32 vcc_lo, exec_lo, s2
	s_cbranch_vccz .LBB619_4
.LBB619_2:
	s_endpgm
.LBB619_3:
.LBB619_4:
	s_load_b64 s[2:3], s[0:1], 0x28
	s_lshl_b64 s[6:7], s[30:31], 2
	s_waitcnt lgkmcnt(0)
	s_add_u32 s2, s2, s6
	s_addc_u32 s3, s3, s7
	s_lshl_b32 s31, s14, 8
	s_load_b32 s28, s[2:3], 0x0
	s_waitcnt lgkmcnt(0)
	s_cmp_ge_i32 s31, s28
	s_cbranch_scc1 .LBB619_2
; %bb.5:
	s_clause 0x1
	s_load_b128 s[20:23], s[0:1], 0x8
	s_load_b64 s[2:3], s[0:1], 0x20
	s_and_not1_b32 vcc_lo, exec_lo, s8
	s_cbranch_vccnz .LBB619_7
; %bb.6:
	s_add_u32 s4, s4, s6
	s_addc_u32 s5, s5, s7
	s_load_b32 s5, s[4:5], 0x0
	s_branch .LBB619_8
.LBB619_7:
	s_mov_b32 s5, s30
.LBB619_8:
	s_load_b128 s[16:19], s[0:1], 0x48
	v_and_b32_e32 v140, 15, v0
	v_lshrrev_b32_e32 v141, 5, v0
	v_and_b32_e32 v142, 31, v0
	v_and_b32_e32 v139, 1, v0
	v_bfe_u32 v138, v0, 4, 1
	v_lshlrev_b32_e32 v1, 3, v140
	s_mul_i32 s29, s15, 6
	s_mov_b32 s4, exec_lo
	s_delay_alu instid0(VALU_DEP_1)
	v_lshlrev_b32_e32 v137, 1, v1
	v_cmpx_gt_u32_e32 0x60, v0
	s_cbranch_execz .LBB619_10
; %bb.9:
	s_load_b64 s[6:7], s[0:1], 0x0
	v_lshl_or_b32 v5, v141, 1, v138
	s_waitcnt lgkmcnt(0)
	s_mul_hi_i32 s9, s5, s16
	s_mul_i32 s8, s5, s16
	v_lshlrev_b32_e32 v6, 10, v140
	s_lshl_b64 s[8:9], s[8:9], 1
	v_add_lshl_u32 v1, v5, s29, 7
	v_lshlrev_b32_e32 v5, 6, v5
	v_lshlrev_b32_e32 v7, 10, v139
	v_and_b32_e32 v6, 0x3800, v6
	s_delay_alu instid0(VALU_DEP_4) | instskip(NEXT) | instid1(VALU_DEP_2)
	v_ashrrev_i32_e32 v2, 31, v1
	v_or3_b32 v5, v6, v7, v5
	s_delay_alu instid0(VALU_DEP_2) | instskip(SKIP_2) | instid1(VALU_DEP_1)
	v_lshlrev_b64 v[1:2], 1, v[1:2]
	s_add_u32 s5, s6, s8
	s_addc_u32 s6, s7, s9
	v_add_co_u32 v1, vcc_lo, s5, v1
	s_delay_alu instid0(VALU_DEP_2) | instskip(NEXT) | instid1(VALU_DEP_2)
	v_add_co_ci_u32_e32 v2, vcc_lo, s6, v2, vcc_lo
	v_add_co_u32 v1, vcc_lo, v1, v137
	s_delay_alu instid0(VALU_DEP_2)
	v_add_co_ci_u32_e32 v2, vcc_lo, 0, v2, vcc_lo
	global_load_b128 v[1:4], v[1:2], off
	s_waitcnt vmcnt(0)
	ds_store_b128 v5, v[1:4]
.LBB619_10:
	s_or_b32 exec_lo, exec_lo, s4
	v_and_b32_e32 v1, 0xef, v0
	s_waitcnt lgkmcnt(0)
	s_add_i32 s5, s28, 15
	s_clause 0x1
	s_load_b32 s4, s[0:1], 0x38
	s_load_b32 s33, s[0:1], 0x1c
	s_ashr_i32 s6, s5, 31
	v_add_nc_u32_e32 v1, s31, v1
	s_lshr_b32 s6, s6, 28
	s_waitcnt lgkmcnt(0)
	s_add_i32 s5, s5, s6
	s_barrier
	v_ashrrev_i32_e32 v2, 31, v1
	v_cmp_gt_i32_e32 vcc_lo, s28, v1
	s_ashr_i32 s16, s5, 4
	buffer_gl0_inv
	s_add_i32 s16, s16, -1
	v_lshrrev_b32_e32 v3, 28, v2
	v_or_b32_e32 v2, 16, v1
	v_mul_lo_u16 v105, v140, 43
	v_lshlrev_b32_e32 v106, 5, v140
	s_delay_alu instid0(VALU_DEP_4) | instskip(NEXT) | instid1(VALU_DEP_4)
	v_add_nc_u32_e32 v4, v1, v3
	v_add_nc_u32_e32 v3, v2, v3
	s_mul_i32 s4, s30, s4
	v_lshrrev_b16 v105, 8, v105
	s_ashr_i32 s5, s4, 31
	v_ashrrev_i32_e32 v4, 4, v4
	v_ashrrev_i32_e32 v3, 4, v3
	s_lshl_b64 s[4:5], s[4:5], 2
	v_mul_lo_u16 v105, v105, 6
	s_add_u32 s34, s2, s4
	v_cndmask_b32_e32 v1, s16, v4, vcc_lo
	v_cmp_gt_i32_e32 vcc_lo, s28, v2
	s_addc_u32 s35, s3, s5
	s_mul_i32 s2, s15, s18
	v_sub_nc_u16 v105, v140, v105
	v_ashrrev_i32_e32 v2, 31, v1
	v_cndmask_b32_e32 v3, s16, v3, vcc_lo
	s_ashr_i32 s3, s2, 31
	v_lshl_or_b32 v125, v141, 9, v106
	s_lshl_b64 s[2:3], s[2:3], 1
	v_lshlrev_b64 v[1:2], 2, v[1:2]
	v_ashrrev_i32_e32 v4, 31, v3
	s_add_u32 s24, s20, s2
	s_addc_u32 s25, s21, s3
	s_lshl_b32 s4, s14, 4
	v_and_b32_e32 v105, 0xff, v105
	v_lshlrev_b64 v[3:4], 2, v[3:4]
	v_add_co_u32 v1, vcc_lo, s34, v1
	v_add_co_ci_u32_e32 v2, vcc_lo, s35, v2, vcc_lo
	s_ashr_i32 s5, s4, 31
	s_delay_alu instid0(VALU_DEP_3) | instskip(NEXT) | instid1(VALU_DEP_4)
	v_add_co_u32 v3, vcc_lo, s34, v3
	v_add_co_ci_u32_e32 v4, vcc_lo, s35, v4, vcc_lo
	s_lshl_b64 s[4:5], s[4:5], 2
	s_clause 0x1
	global_load_b32 v5, v[1:2], off
	global_load_b32 v6, v[3:4], off
	s_add_u32 s4, s34, s4
	s_addc_u32 s5, s35, s5
	s_or_b32 s6, s31, 16
	v_lshlrev_b32_e32 v3, 4, v0
	s_ashr_i32 s7, s6, 4
	s_cmp_lt_i32 s6, s28
	v_lshlrev_b32_e32 v215, 6, v105
	s_cselect_b32 s6, s7, s16
	s_delay_alu instid0(SALU_CYCLE_1) | instskip(NEXT) | instid1(SALU_CYCLE_1)
	s_ashr_i32 s7, s6, 31
	s_lshl_b64 s[6:7], s[6:7], 2
	s_delay_alu instid0(SALU_CYCLE_1) | instskip(SKIP_2) | instid1(SALU_CYCLE_1)
	s_add_u32 s6, s34, s6
	s_addc_u32 s7, s35, s7
	s_or_b32 s8, s31, 32
	s_ashr_i32 s9, s8, 4
	s_cmp_lt_i32 s8, s28
	s_cselect_b32 s8, s9, s16
	s_delay_alu instid0(SALU_CYCLE_1) | instskip(NEXT) | instid1(SALU_CYCLE_1)
	s_ashr_i32 s9, s8, 31
	s_lshl_b64 s[8:9], s[8:9], 2
	s_delay_alu instid0(SALU_CYCLE_1) | instskip(SKIP_2) | instid1(SALU_CYCLE_1)
	s_add_u32 s8, s34, s8
	s_addc_u32 s9, s35, s9
	s_or_b32 s10, s31, 48
	s_ashr_i32 s11, s10, 4
	s_cmp_lt_i32 s10, s28
	;; [unrolled: 10-line block ×4, first 2 shown]
	s_cselect_b32 s12, s13, s16
	s_delay_alu instid0(SALU_CYCLE_1) | instskip(NEXT) | instid1(SALU_CYCLE_1)
	s_ashr_i32 s13, s12, 31
	s_lshl_b64 s[12:13], s[12:13], 2
	s_delay_alu instid0(SALU_CYCLE_1)
	s_add_u32 s20, s34, s12
	s_addc_u32 s21, s35, s13
	s_clause 0x5
	s_load_b32 s38, s[4:5], 0x0
	s_load_b32 s37, s[6:7], 0x0
	;; [unrolled: 1-line block ×6, first 2 shown]
	s_waitcnt vmcnt(1)
	v_mad_i64_i32 v[1:2], null, v5, s17, 0
	v_and_b32_e32 v5, 0xf0, v3
	s_waitcnt vmcnt(0)
	v_mad_i64_i32 v[3:4], null, v6, s17, 0
	s_delay_alu instid0(VALU_DEP_2) | instskip(NEXT) | instid1(VALU_DEP_4)
	v_add_co_u32 v5, s4, s24, v5
	v_lshlrev_b64 v[1:2], 1, v[1:2]
	v_add_co_ci_u32_e64 v6, null, s25, 0, s4
	s_delay_alu instid0(VALU_DEP_4) | instskip(SKIP_1) | instid1(VALU_DEP_3)
	v_lshlrev_b64 v[3:4], 1, v[3:4]
	s_or_b32 s4, s31, 0x60
	v_add_co_u32 v121, vcc_lo, v5, v1
	s_delay_alu instid0(VALU_DEP_3) | instskip(NEXT) | instid1(VALU_DEP_3)
	v_add_co_ci_u32_e32 v122, vcc_lo, v6, v2, vcc_lo
	v_add_co_u32 v123, vcc_lo, v5, v3
	s_delay_alu instid0(VALU_DEP_4)
	v_add_co_ci_u32_e32 v124, vcc_lo, v6, v4, vcc_lo
	s_clause 0x19
	global_load_b128 v[89:92], v[121:122], off
	global_load_b128 v[93:96], v[121:122], off offset:256
	global_load_b128 v[97:100], v[123:124], off
	global_load_b128 v[101:104], v[123:124], off offset:256
	global_load_b128 v[81:84], v[121:122], off offset:512
	;; [unrolled: 1-line block ×23, first 2 shown]
	s_ashr_i32 s5, s4, 4
	s_cmp_lt_i32 s4, s28
	ds_load_b128 v[105:108], v215
	ds_load_b128 v[109:112], v215 offset:1024
	s_cselect_b32 s4, s5, s16
	ds_load_b128 v[113:116], v215 offset:2048
	ds_load_b128 v[117:120], v215 offset:3072
	s_ashr_i32 s5, s4, 31
	ds_load_b128 v[143:146], v215 offset:4096
	ds_load_b128 v[147:150], v215 offset:5120
	s_lshl_b64 s[6:7], s[4:5], 2
	ds_load_b128 v[151:154], v215 offset:6144
	ds_load_b128 v[155:158], v215 offset:7168
	s_add_u32 s18, s34, s6
	s_addc_u32 s19, s35, s7
	s_or_b32 s5, s31, 0x70
	ds_load_b128 v[159:162], v215 offset:8192
	ds_load_b128 v[163:166], v215 offset:9216
	s_ashr_i32 s6, s5, 4
	s_cmp_lt_i32 s5, s28
	s_clause 0x1
	global_load_b128 v[167:170], v[123:124], off offset:3072
	global_load_b128 v[171:174], v[123:124], off offset:3328
	s_cselect_b32 s8, s6, s16
	s_mov_b32 s4, 0
	s_ashr_i32 s9, s8, 31
	s_mov_b32 s5, s4
	s_lshl_b64 s[8:9], s[8:9], 2
	s_mov_b32 s6, s4
	s_add_u32 s20, s34, s8
	s_addc_u32 s21, s35, s9
	s_clause 0x1
	s_load_b32 s44, s[18:19], 0x0
	s_load_b32 s45, s[20:21], 0x0
	s_clause 0x3
	global_load_b128 v[175:178], v[121:122], off offset:3584
	global_load_b128 v[179:182], v[121:122], off offset:3840
	;; [unrolled: 1-line block ×4, first 2 shown]
	s_or_b32 s8, s31, 0x80
	s_mov_b32 s7, s4
	s_ashr_i32 s9, s8, 4
	s_cmp_lt_i32 s8, s28
	s_mov_b32 s8, s4
	s_cselect_b32 s10, s9, s16
	s_mov_b32 s9, s4
	s_ashr_i32 s11, s10, 31
	s_delay_alu instid0(SALU_CYCLE_1)
	s_lshl_b64 s[24:25], s[10:11], 2
	s_mov_b32 s10, s4
	s_add_u32 s24, s34, s24
	s_addc_u32 s25, s35, s25
	s_or_b32 s11, s31, 0x90
	s_load_b32 s46, s[24:25], 0x0
	s_ashr_i32 s26, s11, 4
	s_cmp_lt_i32 s11, s28
	s_mov_b32 s11, s4
	s_cselect_b32 s26, s26, s16
	v_mov_b32_e32 v136, s11
	s_ashr_i32 s27, s26, 31
	v_dual_mov_b32 v135, s10 :: v_dual_mov_b32 v134, s9
	v_dual_mov_b32 v133, s8 :: v_dual_mov_b32 v132, s7
	;; [unrolled: 1-line block ×3, first 2 shown]
	v_mov_b32_e32 v129, s4
	s_lshl_b64 s[4:5], s[26:27], 2
	s_waitcnt lgkmcnt(0)
	s_mul_hi_i32 s7, s37, s17
	s_add_u32 s26, s34, s4
	s_addc_u32 s27, s35, s5
	s_or_b32 s4, s31, 0xa0
	s_load_b32 s39, s[26:27], 0x0
	s_ashr_i32 s5, s4, 4
	s_cmp_lt_i32 s4, s28
	s_cselect_b32 s4, s5, s16
	s_delay_alu instid0(SALU_CYCLE_1) | instskip(NEXT) | instid1(SALU_CYCLE_1)
	s_ashr_i32 s5, s4, 31
	s_lshl_b64 s[4:5], s[4:5], 2
	s_delay_alu instid0(SALU_CYCLE_1)
	s_add_u32 s40, s34, s4
	s_addc_u32 s41, s35, s5
	s_or_b32 s4, s31, 0xb0
	s_mul_hi_i32 s5, s38, s17
	s_ashr_i32 s6, s4, 4
	s_cmp_lt_i32 s4, s28
	s_mul_i32 s4, s38, s17
	s_load_b32 s38, s[40:41], 0x0
	s_cselect_b32 s8, s6, s16
	s_mul_i32 s6, s37, s17
	s_ashr_i32 s9, s8, 31
	s_mul_hi_i32 s27, s46, s17
	s_lshl_b64 s[10:11], s[8:9], 2
	s_mul_hi_i32 s9, s36, s17
	s_add_u32 s42, s34, s10
	s_addc_u32 s43, s35, s11
	s_or_b32 s10, s31, 0xc0
	s_mul_i32 s8, s36, s17
	s_ashr_i32 s36, s10, 4
	s_cmp_lt_i32 s10, s28
	s_mul_i32 s26, s46, s17
	s_cselect_b32 s36, s36, s16
	s_mul_hi_i32 s11, s13, s17
	s_ashr_i32 s37, s36, 31
	s_mul_i32 s10, s13, s17
	s_lshl_b64 s[36:37], s[36:37], 2
	s_mul_hi_i32 s13, s12, s17
	s_add_u32 s20, s34, s36
	s_addc_u32 s21, s35, s37
	s_or_b32 s18, s31, 0xd0
	s_mul_i32 s12, s12, s17
	s_ashr_i32 s19, s18, 4
	s_cmp_lt_i32 s18, s28
	s_mul_i32 s18, s15, s17
	s_cselect_b32 s24, s19, s16
	s_mul_hi_i32 s19, s15, s17
	s_ashr_i32 s25, s24, 31
	s_waitcnt lgkmcnt(0)
	s_mul_hi_i32 s41, s39, s17
	s_lshl_b64 s[24:25], s[24:25], 2
	s_delay_alu instid0(SALU_CYCLE_1)
	s_add_u32 s24, s34, s24
	s_addc_u32 s25, s35, s25
	s_or_b32 s40, s31, 0xe0
	s_clause 0x2
	s_load_b32 s37, s[42:43], 0x0
	s_load_b32 s36, s[20:21], 0x0
	;; [unrolled: 1-line block ×3, first 2 shown]
	s_ashr_i32 s47, s40, 4
	s_cmp_lt_i32 s40, s28
	s_mul_hi_i32 s21, s44, s17
	s_cselect_b32 s42, s47, s16
	s_mul_i32 s20, s44, s17
	s_ashr_i32 s43, s42, 31
	s_mul_hi_i32 s25, s45, s17
	s_lshl_b64 s[42:43], s[42:43], 2
	s_mul_i32 s24, s45, s17
	s_add_u32 s42, s34, s42
	s_addc_u32 s43, s35, s43
	s_or_b32 s44, s31, 0xf0
	s_mul_i32 s40, s39, s17
	s_ashr_i32 s46, s44, 4
	s_cmp_lt_i32 s44, s28
	s_mul_hi_i32 s39, s38, s17
	s_cselect_b32 s46, s46, s16
	s_mul_i32 s38, s38, s17
	s_ashr_i32 s47, s46, 31
	s_waitcnt lgkmcnt(0)
	s_mul_hi_i32 s49, s15, s17
	s_lshl_b64 s[46:47], s[46:47], 2
	s_mul_i32 s48, s15, s17
	s_add_u32 s34, s34, s46
	s_addc_u32 s35, s35, s47
	s_add_u32 s15, s22, s2
	s_addc_u32 s16, s23, s3
	v_add_co_u32 v216, s15, s15, v125
	s_delay_alu instid0(VALU_DEP_1) | instskip(SKIP_2) | instid1(VALU_DEP_2)
	v_add_co_ci_u32_e64 v217, null, s16, 0, s15
	s_lshl_b64 s[2:3], s[4:5], 1
	s_lshl_b64 s[4:5], s[6:7], 1
	v_add_co_u32 v125, vcc_lo, v216, s2
	s_delay_alu instid0(VALU_DEP_2)
	v_add_co_ci_u32_e32 v126, vcc_lo, s3, v217, vcc_lo
	v_add_co_u32 v199, vcc_lo, v216, s4
	s_lshl_b64 s[6:7], s[8:9], 1
	v_add_co_ci_u32_e32 v200, vcc_lo, s5, v217, vcc_lo
	s_lshl_b64 s[8:9], s[10:11], 1
	s_lshl_b64 s[10:11], s[12:13], 1
	;; [unrolled: 1-line block ×8, first 2 shown]
	s_mul_hi_i32 s45, s37, s17
	s_mul_i32 s44, s37, s17
	s_mul_hi_i32 s37, s36, s17
	s_lshl_b64 s[38:39], s[44:45], 1
	s_mul_i32 s36, s36, s17
	s_clause 0x1
	s_load_b32 s15, s[42:43], 0x0
	s_load_b32 s16, s[34:35], 0x0
	s_lshl_b64 s[36:37], s[36:37], 1
	s_lshl_b64 s[40:41], s[48:49], 1
	s_waitcnt lgkmcnt(0)
	s_mul_hi_i32 s3, s15, s17
	s_mul_i32 s2, s15, s17
	s_mul_hi_i32 s5, s16, s17
	s_lshl_b64 s[2:3], s[2:3], 1
	s_mul_i32 s4, s16, s17
	s_waitcnt vmcnt(30)
	v_wmma_f32_16x16x16_bf16 v[191:198], v[89:96], v[105:112], v[129:136]
	v_add_co_u32 v89, vcc_lo, v216, s6
	v_add_co_ci_u32_e32 v90, vcc_lo, s7, v217, vcc_lo
	v_add_co_u32 v91, vcc_lo, v216, s8
	v_add_co_ci_u32_e32 v92, vcc_lo, s9, v217, vcc_lo
	;; [unrolled: 2-line block ×5, first 2 shown]
	v_add_co_u32 v205, vcc_lo, v216, s20
	s_waitcnt vmcnt(28)
	v_wmma_f32_16x16x16_bf16 v[129:136], v[97:104], v[105:112], v[129:136]
	v_add_co_ci_u32_e32 v206, vcc_lo, s21, v217, vcc_lo
	v_add_co_u32 v207, vcc_lo, v216, s22
	v_add_co_ci_u32_e32 v208, vcc_lo, s23, v217, vcc_lo
	v_add_co_u32 v209, vcc_lo, v216, s24
	s_waitcnt vmcnt(26)
	v_wmma_f32_16x16x16_bf16 v[191:198], v[81:88], v[113:120], v[191:198]
	s_waitcnt vmcnt(24)
	v_wmma_f32_16x16x16_bf16 v[129:136], v[73:80], v[113:120], v[129:136]
	v_add_co_ci_u32_e32 v210, vcc_lo, s25, v217, vcc_lo
	v_add_co_u32 v211, vcc_lo, v216, s26
	v_add_co_ci_u32_e32 v212, vcc_lo, s27, v217, vcc_lo
	v_add_co_u32 v213, vcc_lo, v216, s38
	s_waitcnt vmcnt(22)
	v_wmma_f32_16x16x16_bf16 v[191:198], v[65:72], v[143:150], v[191:198]
	s_waitcnt vmcnt(20)
	v_wmma_f32_16x16x16_bf16 v[129:136], v[57:64], v[143:150], v[129:136]
	v_add_co_ci_u32_e32 v214, vcc_lo, s39, v217, vcc_lo
	v_add_co_u32 v143, vcc_lo, v216, s36
	s_waitcnt vmcnt(18)
	v_wmma_f32_16x16x16_bf16 v[191:198], v[49:56], v[151:158], v[191:198]
	s_waitcnt vmcnt(16)
	v_wmma_f32_16x16x16_bf16 v[129:136], v[41:48], v[151:158], v[129:136]
	v_add_co_ci_u32_e32 v144, vcc_lo, s37, v217, vcc_lo
	s_clause 0x15
	global_load_b128 v[121:124], v[125:126], off
	global_load_b128 v[125:128], v[125:126], off offset:16
	global_load_b128 v[113:116], v[199:200], off
	global_load_b128 v[117:120], v[199:200], off offset:16
	;; [unrolled: 2-line block ×11, first 2 shown]
	s_waitcnt vmcnt(36)
	v_wmma_f32_16x16x16_bf16 v[191:198], v[17:24], v[159:166], v[191:198]
	s_clause 0x1
	global_load_b128 v[17:20], v[213:214], off
	global_load_b128 v[21:24], v[213:214], off offset:16
	s_waitcnt vmcnt(36)
	v_wmma_f32_16x16x16_bf16 v[129:136], v[1:8], v[159:166], v[129:136]
	s_clause 0x1
	global_load_b128 v[1:4], v[143:144], off
	global_load_b128 v[5:8], v[143:144], off offset:16
	ds_load_b128 v[143:146], v215 offset:10240
	ds_load_b128 v[147:150], v215 offset:11264
	ds_load_b128 v[151:154], v215 offset:12288
	ds_load_b128 v[155:158], v215 offset:13312
	v_add_co_u32 v199, vcc_lo, v216, s40
	v_add_co_ci_u32_e32 v200, vcc_lo, s41, v217, vcc_lo
	v_add_co_u32 v159, vcc_lo, v216, s2
	v_add_co_ci_u32_e32 v160, vcc_lo, s3, v217, vcc_lo
	s_lshl_b64 s[2:3], s[4:5], 1
	s_delay_alu instid0(SALU_CYCLE_1)
	v_add_co_u32 v161, vcc_lo, v216, s2
	v_add_co_ci_u32_e32 v162, vcc_lo, s3, v217, vcc_lo
	s_waitcnt vmcnt(36) lgkmcnt(2)
	v_wmma_f32_16x16x16_bf16 v[191:198], v[33:40], v[143:150], v[191:198]
	s_waitcnt vmcnt(34)
	v_wmma_f32_16x16x16_bf16 v[129:136], v[25:32], v[143:150], v[129:136]
	s_clause 0x3
	global_load_b128 v[25:28], v[199:200], off
	global_load_b128 v[29:32], v[199:200], off offset:16
	global_load_b128 v[33:36], v[159:160], off
	global_load_b128 v[37:40], v[159:160], off offset:16
	v_and_b32_e32 v143, 0xe0, v0
	v_mbcnt_lo_u32_b32 v159, -1, 0
	s_waitcnt vmcnt(36) lgkmcnt(0)
	v_wmma_f32_16x16x16_bf16 v[191:198], v[9:16], v[151:158], v[191:198]
	s_clause 0x1
	global_load_b128 v[9:12], v[161:162], off
	global_load_b128 v[13:16], v[161:162], off offset:16
	s_waitcnt vmcnt(36)
	v_wmma_f32_16x16x16_bf16 v[129:136], v[167:174], v[151:158], v[129:136]
	v_add_nc_u32_e32 v160, s31, v143
	ds_load_b128 v[143:146], v215 offset:14336
	ds_load_b128 v[147:150], v215 offset:15360
	v_xor_b32_e32 v151, 16, v159
	s_waitcnt vmcnt(0) lgkmcnt(0)
	s_barrier
	v_or_b32_e32 v152, v160, v138
	buffer_gl0_inv
	v_cmp_gt_i32_e32 vcc_lo, 32, v151
	v_or_b32_e32 v153, 2, v152
	v_or_b32_e32 v154, 4, v152
	;; [unrolled: 1-line block ×5, first 2 shown]
	v_cmp_gt_i32_e64 s2, s28, v153
	v_cmp_gt_i32_e64 s3, s28, v154
	;; [unrolled: 1-line block ×3, first 2 shown]
	v_or_b32_e32 v158, 12, v152
	v_cmp_gt_i32_e64 s5, s28, v156
	v_cmp_gt_i32_e64 s6, s28, v157
	v_wmma_f32_16x16x16_bf16 v[191:198], v[175:182], v[143:150], v[191:198]
	v_wmma_f32_16x16x16_bf16 v[129:136], v[183:190], v[143:150], v[129:136]
	v_cndmask_b32_e32 v151, v159, v151, vcc_lo
	v_cmp_gt_i32_e32 vcc_lo, s28, v152
	v_or_b32_e32 v159, 14, v152
	v_dual_mul_f32 v149, s33, v192 :: v_dual_mul_f32 v150, s33, v191
	v_dual_mul_f32 v147, s33, v194 :: v_dual_mul_f32 v148, s33, v193
	;; [unrolled: 1-line block ×3, first 2 shown]
	s_delay_alu instid0(VALU_DEP_3) | instskip(NEXT) | instid1(VALU_DEP_4)
	v_cndmask_b32_e32 v150, 0xff7fffff, v150, vcc_lo
	v_cndmask_b32_e64 v149, 0xff7fffff, v149, s2
	v_mul_f32_e32 v146, s33, v195
	v_cndmask_b32_e64 v148, 0xff7fffff, v148, s3
	v_cndmask_b32_e64 v147, 0xff7fffff, v147, s4
	v_or_b32_e32 v160, 16, v152
	v_max3_f32 v149, v150, 0xff7fffff, v149
	v_or_b32_e32 v161, 18, v152
	v_dual_mul_f32 v143, s33, v198 :: v_dual_mul_f32 v144, s33, v197
	v_cndmask_b32_e64 v146, 0xff7fffff, v146, s5
	v_cndmask_b32_e64 v145, 0xff7fffff, v145, s6
	v_max3_f32 v147, v149, v148, v147
	v_cmp_gt_i32_e64 s7, s28, v158
	v_cmp_gt_i32_e64 s8, s28, v159
	v_or_b32_e32 v162, 20, v152
	v_or_b32_e32 v163, 22, v152
	v_mul_f32_e32 v175, s33, v129
	v_cndmask_b32_e64 v144, 0xff7fffff, v144, s7
	v_cndmask_b32_e64 v143, 0xff7fffff, v143, s8
	v_max3_f32 v145, v147, v146, v145
	v_cmp_gt_i32_e64 s9, s28, v160
	v_cmp_gt_i32_e64 s10, s28, v161
	v_or_b32_e32 v164, 24, v152
	v_or_b32_e32 v165, 26, v152
	v_dual_mul_f32 v172, s33, v132 :: v_dual_mul_f32 v173, s33, v131
	v_cndmask_b32_e64 v146, 0xff7fffff, v175, s9
	v_cndmask_b32_e64 v147, 0xff7fffff, v174, s10
	v_max3_f32 v143, v145, v144, v143
	v_cmp_gt_i32_e64 s11, s28, v162
	v_cmp_gt_i32_e64 s12, s28, v163
	v_or_b32_e32 v166, 28, v152
	v_or_b32_e32 v167, 30, v152
	v_dual_mul_f32 v170, s33, v134 :: v_dual_mul_f32 v171, s33, v133
	v_cndmask_b32_e64 v144, 0xff7fffff, v173, s11
	v_cndmask_b32_e64 v145, 0xff7fffff, v172, s12
	v_max3_f32 v143, v143, v146, v147
	v_cmp_gt_i32_e64 s13, s28, v164
	v_cmp_gt_i32_e64 s15, s28, v165
	v_dual_mul_f32 v168, s33, v136 :: v_dual_mul_f32 v169, s33, v135
	s_delay_alu instid0(VALU_DEP_4) | instskip(NEXT) | instid1(VALU_DEP_4)
	v_max3_f32 v143, v143, v144, v145
	v_cndmask_b32_e64 v146, 0xff7fffff, v171, s13
	s_delay_alu instid0(VALU_DEP_4) | instskip(SKIP_3) | instid1(VALU_DEP_4)
	v_cndmask_b32_e64 v147, 0xff7fffff, v170, s15
	v_cmp_gt_i32_e64 s16, s28, v166
	v_cmp_gt_i32_e64 s17, s28, v167
	v_lshlrev_b32_e32 v154, 2, v151
	v_max3_f32 v143, v143, v146, v147
	s_delay_alu instid0(VALU_DEP_4) | instskip(NEXT) | instid1(VALU_DEP_4)
	v_cndmask_b32_e64 v144, 0xff7fffff, v169, s16
	v_cndmask_b32_e64 v145, 0xff7fffff, v168, s17
	s_delay_alu instid0(VALU_DEP_1) | instskip(SKIP_3) | instid1(VALU_DEP_1)
	v_max3_f32 v143, v143, v144, v145
	ds_bpermute_b32 v144, v154, v143
	s_waitcnt lgkmcnt(0)
	v_max_f32_e32 v144, v144, v144
	v_max_f32_e32 v153, v143, v144
	s_delay_alu instid0(VALU_DEP_1) | instskip(SKIP_4) | instid1(VALU_DEP_4)
	v_fma_f32 v143, s33, v191, -v153
	v_fma_f32 v144, s33, v192, -v153
	;; [unrolled: 1-line block ×5, first 2 shown]
	v_dual_mul_f32 v143, 0x3fb8aa3b, v143 :: v_dual_mul_f32 v144, 0x3fb8aa3b, v144
	s_delay_alu instid0(VALU_DEP_4) | instskip(SKIP_2) | instid1(VALU_DEP_4)
	v_mul_f32_e32 v130, 0x3fb8aa3b, v130
	v_fma_f32 v132, s33, v132, -v153
	v_mul_f32_e32 v145, 0x3fb8aa3b, v145
	v_exp_f32_e32 v143, v143
	v_exp_f32_e32 v147, v144
	v_fma_f32 v148, s33, v195, -v153
	v_mul_f32_e32 v132, 0x3fb8aa3b, v132
	v_mul_f32_e32 v146, 0x3fb8aa3b, v146
	v_exp_f32_e32 v145, v145
	v_fma_f32 v151, s33, v197, -v153
	v_mul_f32_e32 v148, 0x3fb8aa3b, v148
	v_fma_f32 v134, s33, v134, -v153
	v_exp_f32_e32 v149, v146
	v_cndmask_b32_e32 v144, 0, v143, vcc_lo
	v_fma_f32 v143, s33, v196, -v153
	v_cndmask_b32_e64 v146, 0, v147, s2
	v_exp_f32_e32 v148, v148
	s_delay_alu instid0(VALU_DEP_3) | instskip(NEXT) | instid1(VALU_DEP_3)
	v_dual_mul_f32 v151, 0x3fb8aa3b, v151 :: v_dual_add_f32 v150, 0, v144
	v_dual_mul_f32 v143, 0x3fb8aa3b, v143 :: v_dual_mul_f32 v134, 0x3fb8aa3b, v134
	v_cndmask_b32_e64 v147, 0, v145, s3
	s_delay_alu instid0(TRANS32_DEP_2) | instskip(NEXT) | instid1(VALU_DEP_4)
	v_cndmask_b32_e64 v149, 0, v149, s4
	v_add_f32_e32 v145, v150, v146
	v_fma_f32 v150, s33, v198, -v153
	v_exp_f32_e32 v143, v143
	v_fma_f32 v129, s33, v129, -v153
	v_exp_f32_e32 v155, v151
	s_delay_alu instid0(VALU_DEP_2) | instskip(SKIP_1) | instid1(VALU_DEP_3)
	v_dual_add_f32 v145, v145, v147 :: v_dual_mul_f32 v152, 0x3fb8aa3b, v150
	v_cndmask_b32_e64 v150, 0, v148, s5
	v_mul_f32_e32 v129, 0x3fb8aa3b, v129
	v_fma_f32 v131, s33, v131, -v153
	s_delay_alu instid0(VALU_DEP_4) | instskip(SKIP_1) | instid1(TRANS32_DEP_3)
	v_add_f32_e32 v145, v145, v149
	v_exp_f32_e32 v152, v152
	v_cndmask_b32_e64 v151, 0, v143, s6
	v_exp_f32_e32 v129, v129
	s_delay_alu instid0(TRANS32_DEP_3)
	v_cndmask_b32_e64 v148, 0, v155, s7
	v_add_f32_e32 v143, v145, v150
	v_mul_f32_e32 v131, 0x3fb8aa3b, v131
	v_exp_f32_e32 v130, v130
	v_fma_f32 v133, s33, v133, -v153
	v_fma_f32 v136, s33, v136, -v153
	v_add_f32_e32 v143, v143, v151
	v_cndmask_b32_e64 v152, 0, v152, s8
	v_exp_f32_e32 v145, v131
	v_cndmask_b32_e64 v131, 0, v129, s9
	v_mul_f32_e32 v133, 0x3fb8aa3b, v133
	v_add_f32_e32 v143, v143, v148
	s_mov_b32 s2, exec_lo
	s_delay_alu instid0(VALU_DEP_1)
	v_add_f32_e32 v129, v143, v152
	v_exp_f32_e32 v143, v132
	v_cndmask_b32_e64 v132, 0, v130, s10
	v_fma_f32 v130, s33, v135, -v153
	v_exp_f32_e32 v135, v133
	v_add_f32_e32 v129, v129, v131
	v_cndmask_b32_e64 v133, 0, v145, s11
	v_exp_f32_e32 v145, v134
	s_delay_alu instid0(VALU_DEP_2) | instskip(NEXT) | instid1(TRANS32_DEP_3)
	v_dual_mul_f32 v130, 0x3fb8aa3b, v130 :: v_dual_add_f32 v129, v129, v132
	v_cndmask_b32_e64 v134, 0, v143, s12
	v_mul_f32_e32 v143, 0x3fb8aa3b, v136
	s_delay_alu instid0(VALU_DEP_3) | instskip(NEXT) | instid1(TRANS32_DEP_3)
	v_exp_f32_e32 v130, v130
	v_cndmask_b32_e64 v135, 0, v135, s13
	v_add_f32_e32 v129, v129, v133
	s_delay_alu instid0(TRANS32_DEP_2) | instskip(SKIP_1) | instid1(VALU_DEP_2)
	v_cndmask_b32_e64 v136, 0, v145, s15
	v_exp_f32_e32 v145, v143
	v_add_f32_e32 v129, v129, v134
	s_waitcnt_depctr 0xfff
	v_cndmask_b32_e64 v143, 0, v130, s16
	v_add_f32_e32 v129, v129, v135
	v_cndmask_b32_e64 v145, 0, v145, s17
	s_delay_alu instid0(VALU_DEP_2) | instskip(NEXT) | instid1(VALU_DEP_1)
	v_add_f32_e32 v129, v129, v136
	v_add_f32_e32 v129, v129, v143
	s_delay_alu instid0(VALU_DEP_1)
	v_add_f32_e32 v129, v129, v145
	ds_bpermute_b32 v130, v154, v129
	v_cmpx_gt_u32_e32 16, v142
	s_cbranch_execz .LBB619_12
; %bb.11:
	v_mul_u32_u24_e32 v142, 0x44, v141
	s_waitcnt lgkmcnt(0)
	v_add_f32_e32 v129, v129, v130
	s_delay_alu instid0(VALU_DEP_2) | instskip(NEXT) | instid1(VALU_DEP_1)
	v_lshl_add_u32 v142, v140, 2, v142
	v_add_nc_u32_e32 v130, 0x4000, v142
	ds_store_2addr_b32 v130, v153, v129 offset1:136
.LBB619_12:
	s_or_b32 exec_lo, exec_lo, s2
	v_lshlrev_b32_e32 v129, 2, v140
	s_waitcnt lgkmcnt(0)
	s_barrier
	buffer_gl0_inv
	v_cmp_eq_u32_e64 s2, 1, v141
	v_add_nc_u32_e32 v142, 0x4000, v129
	ds_load_2addr_b32 v[153:154], v142 offset1:17
	ds_load_2addr_b32 v[155:156], v142 offset0:34 offset1:51
	ds_load_2addr_b32 v[157:158], v142 offset0:68 offset1:85
	;; [unrolled: 1-line block ×4, first 2 shown]
	s_waitcnt lgkmcnt(4)
	v_max3_f32 v129, v153, 0xff7fffff, v154
	s_waitcnt lgkmcnt(3)
	s_delay_alu instid0(VALU_DEP_1) | instskip(SKIP_1) | instid1(VALU_DEP_1)
	v_max3_f32 v129, v129, v155, v156
	s_waitcnt lgkmcnt(2)
	v_max3_f32 v129, v129, v157, v158
	s_waitcnt lgkmcnt(1)
	s_delay_alu instid0(VALU_DEP_1) | instskip(NEXT) | instid1(VALU_DEP_1)
	v_max3_f32 v129, v129, v159, v160
	v_sub_f32_e32 v163, v154, v129
	v_sub_f32_e32 v130, v153, v129
	ds_load_2addr_b32 v[153:154], v142 offset0:170 offset1:187
	v_sub_f32_e32 v155, v155, v129
	v_dual_mul_f32 v163, 0x3fb8aa3b, v163 :: v_dual_mul_f32 v130, 0x3fb8aa3b, v130
	s_delay_alu instid0(VALU_DEP_2) | instskip(NEXT) | instid1(VALU_DEP_2)
	v_mul_f32_e32 v165, 0x3fb8aa3b, v155
	v_exp_f32_e32 v163, v163
	s_delay_alu instid0(VALU_DEP_2)
	v_exp_f32_e32 v164, v130
	v_sub_f32_e32 v130, v156, v129
	ds_load_2addr_b32 v[155:156], v142 offset0:204 offset1:221
	v_exp_f32_e32 v165, v165
	v_mul_f32_e32 v166, 0x3fb8aa3b, v130
	s_waitcnt lgkmcnt(2)
	v_fma_f32 v130, v164, v161, 0
	v_sub_f32_e32 v157, v157, v129
	s_delay_alu instid0(VALU_DEP_3) | instskip(NEXT) | instid1(VALU_DEP_2)
	v_exp_f32_e32 v166, v166
	v_dual_sub_f32 v161, v158, v129 :: v_dual_fmac_f32 v130, v163, v162
	s_waitcnt lgkmcnt(1)
	s_waitcnt_depctr 0xfff
	v_fmac_f32_e32 v130, v165, v153
	v_mul_f32_e32 v167, 0x3fb8aa3b, v157
	ds_load_2addr_b32 v[157:158], v142 offset0:238 offset1:255
	v_sub_f32_e32 v142, v159, v129
	v_dual_sub_f32 v153, v160, v129 :: v_dual_fmac_f32 v130, v166, v154
	v_mul_f32_e32 v159, 0x3fb8aa3b, v161
	v_exp_f32_e32 v161, v167
	s_delay_alu instid0(VALU_DEP_2)
	v_dual_mul_f32 v142, 0x3fb8aa3b, v142 :: v_dual_mul_f32 v153, 0x3fb8aa3b, v153
	s_waitcnt lgkmcnt(0)
	s_barrier
	buffer_gl0_inv
	v_exp_f32_e32 v142, v142
	v_exp_f32_e32 v153, v153
	v_fmac_f32_e32 v130, v161, v155
	v_exp_f32_e32 v159, v159
	s_waitcnt_depctr 0xfff
	v_fmac_f32_e32 v130, v159, v156
	s_delay_alu instid0(VALU_DEP_1) | instskip(NEXT) | instid1(VALU_DEP_1)
	v_fmac_f32_e32 v130, v142, v157
	v_fmac_f32_e32 v130, v153, v158
	s_delay_alu instid0(VALU_DEP_1) | instskip(NEXT) | instid1(VALU_DEP_1)
	v_add_f32_e32 v154, 0x358637bd, v130
	v_div_scale_f32 v155, null, v154, v154, 1.0
	v_div_scale_f32 v158, vcc_lo, 1.0, v154, 1.0
	s_delay_alu instid0(VALU_DEP_2) | instskip(SKIP_2) | instid1(VALU_DEP_1)
	v_rcp_f32_e32 v156, v155
	s_waitcnt_depctr 0xfff
	v_fma_f32 v157, -v155, v156, 1.0
	v_fmac_f32_e32 v156, v157, v156
	v_cndmask_b32_e64 v157, v164, v163, s2
	v_cmp_eq_u32_e64 s2, 2, v141
	s_delay_alu instid0(VALU_DEP_3) | instskip(NEXT) | instid1(VALU_DEP_2)
	v_mul_f32_e32 v160, v158, v156
	v_cndmask_b32_e64 v157, v157, v165, s2
	v_cmp_eq_u32_e64 s2, 3, v141
	s_delay_alu instid0(VALU_DEP_3) | instskip(NEXT) | instid1(VALU_DEP_2)
	v_fma_f32 v162, -v155, v160, v158
	v_cndmask_b32_e64 v157, v157, v166, s2
	v_cmp_eq_u32_e64 s2, 4, v141
	s_delay_alu instid0(VALU_DEP_3) | instskip(NEXT) | instid1(VALU_DEP_2)
	v_fmac_f32_e32 v160, v162, v156
	v_cndmask_b32_e64 v157, v157, v161, s2
	s_delay_alu instid0(VALU_DEP_2) | instskip(SKIP_1) | instid1(VALU_DEP_2)
	v_fma_f32 v155, -v155, v160, v158
	v_cmp_eq_u32_e64 s2, 5, v141
	v_div_fmas_f32 v155, v155, v156, v160
	s_delay_alu instid0(VALU_DEP_2) | instskip(SKIP_2) | instid1(VALU_DEP_3)
	v_cndmask_b32_e64 v157, v157, v159, s2
	v_cmp_eq_u32_e32 vcc_lo, 6, v141
	s_mov_b32 s2, exec_lo
	v_div_fixup_f32 v154, v155, v154, 1.0
	s_delay_alu instid0(VALU_DEP_3) | instskip(SKIP_1) | instid1(VALU_DEP_2)
	v_cndmask_b32_e32 v142, v157, v142, vcc_lo
	v_cmp_eq_u32_e32 vcc_lo, 7, v141
	v_cndmask_b32_e32 v142, v142, v153, vcc_lo
	s_delay_alu instid0(VALU_DEP_1) | instskip(NEXT) | instid1(VALU_DEP_1)
	v_mul_f32_e32 v142, v142, v154
	v_mul_f32_e32 v153, v142, v149
	;; [unrolled: 1-line block ×7, first 2 shown]
	v_dual_mul_f32 v150, v142, v147 :: v_dual_and_b32 v155, 0x7f800000, v154
	v_mul_f32_e32 v149, v142, v146
                                        ; implicit-def: $vgpr146
	s_delay_alu instid0(VALU_DEP_2)
	v_cmpx_ne_u32_e32 0x7f800000, v155
	s_xor_b32 s2, exec_lo, s2
; %bb.13:
	v_bfe_u32 v146, v154, 16, 1
	s_delay_alu instid0(VALU_DEP_1)
	v_add3_u32 v146, v154, v146, 0x7fff
                                        ; implicit-def: $vgpr154
; %bb.14:
	s_and_not1_saveexec_b32 s2, s2
; %bb.15:
	v_and_b32_e32 v146, 0xffff, v154
	v_or_b32_e32 v147, 0x10000, v154
	s_delay_alu instid0(VALU_DEP_2) | instskip(NEXT) | instid1(VALU_DEP_2)
	v_cmp_eq_u32_e32 vcc_lo, 0, v146
	v_cndmask_b32_e32 v146, v147, v154, vcc_lo
; %bb.16:
	s_or_b32 exec_lo, exec_lo, s2
	v_and_b32_e32 v147, 0x7f800000, v149
	s_delay_alu instid0(VALU_DEP_1) | instskip(SKIP_1) | instid1(SALU_CYCLE_1)
	v_cmp_ne_u32_e32 vcc_lo, 0x7f800000, v147
                                        ; implicit-def: $vgpr147
	s_and_saveexec_b32 s2, vcc_lo
	s_xor_b32 s2, exec_lo, s2
; %bb.17:
	v_bfe_u32 v147, v149, 16, 1
	s_delay_alu instid0(VALU_DEP_1)
	v_add3_u32 v147, v149, v147, 0x7fff
                                        ; implicit-def: $vgpr149
; %bb.18:
	s_and_not1_saveexec_b32 s2, s2
; %bb.19:
	v_and_b32_e32 v147, 0xffff, v149
	v_or_b32_e32 v154, 0x10000, v149
	s_delay_alu instid0(VALU_DEP_2) | instskip(NEXT) | instid1(VALU_DEP_2)
	v_cmp_eq_u32_e32 vcc_lo, 0, v147
	v_cndmask_b32_e32 v147, v154, v149, vcc_lo
; %bb.20:
	s_or_b32 exec_lo, exec_lo, s2
	v_and_b32_e32 v149, 0x7f800000, v150
	s_delay_alu instid0(VALU_DEP_1) | instskip(SKIP_1) | instid1(SALU_CYCLE_1)
	v_cmp_ne_u32_e32 vcc_lo, 0x7f800000, v149
                                        ; implicit-def: $vgpr149
	s_and_saveexec_b32 s2, vcc_lo
	s_xor_b32 s2, exec_lo, s2
; %bb.21:
	v_bfe_u32 v149, v150, 16, 1
	s_delay_alu instid0(VALU_DEP_1)
	v_add3_u32 v149, v150, v149, 0x7fff
                                        ; implicit-def: $vgpr150
; %bb.22:
	s_and_not1_saveexec_b32 s2, s2
; %bb.23:
	v_and_b32_e32 v149, 0xffff, v150
	v_or_b32_e32 v154, 0x10000, v150
	s_delay_alu instid0(VALU_DEP_2) | instskip(NEXT) | instid1(VALU_DEP_2)
	v_cmp_eq_u32_e32 vcc_lo, 0, v149
	v_cndmask_b32_e32 v149, v154, v150, vcc_lo
; %bb.24:
	s_or_b32 exec_lo, exec_lo, s2
	v_and_b32_e32 v150, 0x7f800000, v153
	s_delay_alu instid0(VALU_DEP_1) | instskip(SKIP_1) | instid1(SALU_CYCLE_1)
	v_cmp_ne_u32_e32 vcc_lo, 0x7f800000, v150
                                        ; implicit-def: $vgpr150
	s_and_saveexec_b32 s2, vcc_lo
	s_xor_b32 s2, exec_lo, s2
; %bb.25:
	v_bfe_u32 v150, v153, 16, 1
	s_delay_alu instid0(VALU_DEP_1)
	v_add3_u32 v150, v153, v150, 0x7fff
                                        ; implicit-def: $vgpr153
; %bb.26:
	s_and_not1_saveexec_b32 s2, s2
; %bb.27:
	v_and_b32_e32 v150, 0xffff, v153
	v_or_b32_e32 v154, 0x10000, v153
	s_delay_alu instid0(VALU_DEP_2) | instskip(NEXT) | instid1(VALU_DEP_2)
	v_cmp_eq_u32_e32 vcc_lo, 0, v150
	v_cndmask_b32_e32 v150, v154, v153, vcc_lo
; %bb.28:
	s_or_b32 exec_lo, exec_lo, s2
	v_and_b32_e32 v153, 0x7f800000, v152
	s_delay_alu instid0(VALU_DEP_1) | instskip(SKIP_1) | instid1(SALU_CYCLE_1)
	v_cmp_ne_u32_e32 vcc_lo, 0x7f800000, v153
                                        ; implicit-def: $vgpr153
	s_and_saveexec_b32 s2, vcc_lo
	s_xor_b32 s2, exec_lo, s2
; %bb.29:
	v_bfe_u32 v153, v152, 16, 1
	s_delay_alu instid0(VALU_DEP_1)
	v_add3_u32 v153, v152, v153, 0x7fff
                                        ; implicit-def: $vgpr152
; %bb.30:
	s_and_not1_saveexec_b32 s2, s2
; %bb.31:
	v_and_b32_e32 v153, 0xffff, v152
	v_or_b32_e32 v154, 0x10000, v152
	s_delay_alu instid0(VALU_DEP_2) | instskip(NEXT) | instid1(VALU_DEP_2)
	v_cmp_eq_u32_e32 vcc_lo, 0, v153
	v_cndmask_b32_e32 v153, v154, v152, vcc_lo
; %bb.32:
	s_or_b32 exec_lo, exec_lo, s2
	v_and_b32_e32 v152, 0x7f800000, v151
	s_delay_alu instid0(VALU_DEP_1) | instskip(SKIP_1) | instid1(SALU_CYCLE_1)
	v_cmp_ne_u32_e32 vcc_lo, 0x7f800000, v152
                                        ; implicit-def: $vgpr152
	s_and_saveexec_b32 s2, vcc_lo
	s_xor_b32 s2, exec_lo, s2
; %bb.33:
	v_bfe_u32 v152, v151, 16, 1
	s_delay_alu instid0(VALU_DEP_1)
	v_add3_u32 v152, v151, v152, 0x7fff
                                        ; implicit-def: $vgpr151
; %bb.34:
	s_and_not1_saveexec_b32 s2, s2
; %bb.35:
	v_and_b32_e32 v152, 0xffff, v151
	v_or_b32_e32 v154, 0x10000, v151
	s_delay_alu instid0(VALU_DEP_2) | instskip(NEXT) | instid1(VALU_DEP_2)
	v_cmp_eq_u32_e32 vcc_lo, 0, v152
	v_cndmask_b32_e32 v152, v154, v151, vcc_lo
; %bb.36:
	s_or_b32 exec_lo, exec_lo, s2
	v_and_b32_e32 v151, 0x7f800000, v148
	s_delay_alu instid0(VALU_DEP_1) | instskip(SKIP_1) | instid1(SALU_CYCLE_1)
	v_cmp_ne_u32_e32 vcc_lo, 0x7f800000, v151
                                        ; implicit-def: $vgpr151
	s_and_saveexec_b32 s2, vcc_lo
	s_xor_b32 s2, exec_lo, s2
; %bb.37:
	v_bfe_u32 v151, v148, 16, 1
	s_delay_alu instid0(VALU_DEP_1)
	v_add3_u32 v151, v148, v151, 0x7fff
                                        ; implicit-def: $vgpr148
; %bb.38:
	s_and_not1_saveexec_b32 s2, s2
; %bb.39:
	v_and_b32_e32 v151, 0xffff, v148
	v_or_b32_e32 v154, 0x10000, v148
	s_delay_alu instid0(VALU_DEP_2) | instskip(NEXT) | instid1(VALU_DEP_2)
	v_cmp_eq_u32_e32 vcc_lo, 0, v151
	v_cndmask_b32_e32 v151, v154, v148, vcc_lo
; %bb.40:
	s_or_b32 exec_lo, exec_lo, s2
	v_and_b32_e32 v148, 0x7f800000, v144
	s_delay_alu instid0(VALU_DEP_1) | instskip(SKIP_1) | instid1(SALU_CYCLE_1)
	v_cmp_ne_u32_e32 vcc_lo, 0x7f800000, v148
                                        ; implicit-def: $vgpr148
	s_and_saveexec_b32 s2, vcc_lo
	s_xor_b32 s2, exec_lo, s2
; %bb.41:
	v_bfe_u32 v148, v144, 16, 1
	s_delay_alu instid0(VALU_DEP_1)
	v_add3_u32 v148, v144, v148, 0x7fff
                                        ; implicit-def: $vgpr144
; %bb.42:
	s_and_not1_saveexec_b32 s2, s2
; %bb.43:
	v_and_b32_e32 v148, 0xffff, v144
	v_or_b32_e32 v154, 0x10000, v144
	s_delay_alu instid0(VALU_DEP_2) | instskip(NEXT) | instid1(VALU_DEP_2)
	v_cmp_eq_u32_e32 vcc_lo, 0, v148
	v_cndmask_b32_e32 v148, v154, v144, vcc_lo
; %bb.44:
	s_or_b32 exec_lo, exec_lo, s2
	s_load_b64 s[34:35], s[0:1], 0x94
	v_lshlrev_b32_e32 v155, 4, v138
	s_delay_alu instid0(VALU_DEP_2)
	v_perm_b32 v154, v148, v151, 0x7060302
	v_mul_f32_e32 v148, v142, v131
	v_dual_mul_f32 v145, v142, v145 :: v_dual_lshlrev_b32 v144, 6, v140
	v_dual_mul_f32 v143, v142, v143 :: v_dual_lshlrev_b32 v156, 11, v141
	v_perm_b32 v153, v152, v153, 0x7060302
	v_perm_b32 v152, v150, v149, 0x7060302
	;; [unrolled: 1-line block ×3, first 2 shown]
	s_delay_alu instid0(VALU_DEP_4)
	v_or3_b32 v131, v155, v156, v144
	v_mul_f32_e32 v136, v142, v136
	v_dual_mul_f32 v146, v142, v134 :: v_dual_and_b32 v149, 0x7f800000, v148
	v_mul_f32_e32 v135, v142, v135
	v_mul_f32_e32 v147, v142, v133
	;; [unrolled: 1-line block ×3, first 2 shown]
	s_mov_b32 s2, exec_lo
	ds_store_b128 v131, v[151:154]
                                        ; implicit-def: $vgpr132
	v_cmpx_ne_u32_e32 0x7f800000, v149
	s_xor_b32 s2, exec_lo, s2
; %bb.45:
	v_bfe_u32 v132, v148, 16, 1
	s_delay_alu instid0(VALU_DEP_1)
	v_add3_u32 v132, v148, v132, 0x7fff
                                        ; implicit-def: $vgpr148
; %bb.46:
	s_and_not1_saveexec_b32 s2, s2
; %bb.47:
	v_and_b32_e32 v132, 0xffff, v148
	v_or_b32_e32 v133, 0x10000, v148
	s_delay_alu instid0(VALU_DEP_2) | instskip(NEXT) | instid1(VALU_DEP_2)
	v_cmp_eq_u32_e32 vcc_lo, 0, v132
	v_cndmask_b32_e32 v132, v133, v148, vcc_lo
; %bb.48:
	s_or_b32 exec_lo, exec_lo, s2
	v_and_b32_e32 v133, 0x7f800000, v134
	s_delay_alu instid0(VALU_DEP_1) | instskip(SKIP_1) | instid1(SALU_CYCLE_1)
	v_cmp_ne_u32_e32 vcc_lo, 0x7f800000, v133
                                        ; implicit-def: $vgpr133
	s_and_saveexec_b32 s2, vcc_lo
	s_xor_b32 s2, exec_lo, s2
; %bb.49:
	v_bfe_u32 v133, v134, 16, 1
	s_delay_alu instid0(VALU_DEP_1)
	v_add3_u32 v133, v134, v133, 0x7fff
                                        ; implicit-def: $vgpr134
; %bb.50:
	s_and_not1_saveexec_b32 s2, s2
; %bb.51:
	v_and_b32_e32 v133, 0xffff, v134
	v_or_b32_e32 v142, 0x10000, v134
	s_delay_alu instid0(VALU_DEP_2) | instskip(NEXT) | instid1(VALU_DEP_2)
	v_cmp_eq_u32_e32 vcc_lo, 0, v133
	v_cndmask_b32_e32 v133, v142, v134, vcc_lo
; %bb.52:
	s_or_b32 exec_lo, exec_lo, s2
	v_and_b32_e32 v134, 0x7f800000, v147
	s_delay_alu instid0(VALU_DEP_1) | instskip(SKIP_1) | instid1(SALU_CYCLE_1)
	v_cmp_ne_u32_e32 vcc_lo, 0x7f800000, v134
                                        ; implicit-def: $vgpr134
	s_and_saveexec_b32 s2, vcc_lo
	s_xor_b32 s2, exec_lo, s2
; %bb.53:
	v_bfe_u32 v134, v147, 16, 1
	s_delay_alu instid0(VALU_DEP_1)
	v_add3_u32 v134, v147, v134, 0x7fff
                                        ; implicit-def: $vgpr147
; %bb.54:
	s_and_not1_saveexec_b32 s2, s2
; %bb.55:
	v_and_b32_e32 v134, 0xffff, v147
	v_or_b32_e32 v142, 0x10000, v147
	s_delay_alu instid0(VALU_DEP_2) | instskip(NEXT) | instid1(VALU_DEP_2)
	v_cmp_eq_u32_e32 vcc_lo, 0, v134
	v_cndmask_b32_e32 v134, v142, v147, vcc_lo
; %bb.56:
	s_or_b32 exec_lo, exec_lo, s2
	v_and_b32_e32 v142, 0x7f800000, v146
	s_delay_alu instid0(VALU_DEP_1) | instskip(SKIP_1) | instid1(SALU_CYCLE_1)
	v_cmp_ne_u32_e32 vcc_lo, 0x7f800000, v142
                                        ; implicit-def: $vgpr142
	s_and_saveexec_b32 s2, vcc_lo
	s_xor_b32 s2, exec_lo, s2
; %bb.57:
	v_bfe_u32 v142, v146, 16, 1
	s_delay_alu instid0(VALU_DEP_1)
	v_add3_u32 v142, v146, v142, 0x7fff
                                        ; implicit-def: $vgpr146
; %bb.58:
	s_and_not1_saveexec_b32 s2, s2
; %bb.59:
	v_and_b32_e32 v142, 0xffff, v146
	v_or_b32_e32 v147, 0x10000, v146
	s_delay_alu instid0(VALU_DEP_2) | instskip(NEXT) | instid1(VALU_DEP_2)
	v_cmp_eq_u32_e32 vcc_lo, 0, v142
	v_cndmask_b32_e32 v142, v147, v146, vcc_lo
; %bb.60:
	s_or_b32 exec_lo, exec_lo, s2
	v_and_b32_e32 v146, 0x7f800000, v135
	s_delay_alu instid0(VALU_DEP_1) | instskip(SKIP_1) | instid1(SALU_CYCLE_1)
	v_cmp_ne_u32_e32 vcc_lo, 0x7f800000, v146
                                        ; implicit-def: $vgpr146
	s_and_saveexec_b32 s2, vcc_lo
	s_xor_b32 s2, exec_lo, s2
; %bb.61:
	v_bfe_u32 v146, v135, 16, 1
	s_delay_alu instid0(VALU_DEP_1)
	v_add3_u32 v146, v135, v146, 0x7fff
                                        ; implicit-def: $vgpr135
; %bb.62:
	s_and_not1_saveexec_b32 s2, s2
; %bb.63:
	v_and_b32_e32 v146, 0xffff, v135
	v_or_b32_e32 v147, 0x10000, v135
	s_delay_alu instid0(VALU_DEP_2) | instskip(NEXT) | instid1(VALU_DEP_2)
	v_cmp_eq_u32_e32 vcc_lo, 0, v146
	v_cndmask_b32_e32 v146, v147, v135, vcc_lo
; %bb.64:
	s_or_b32 exec_lo, exec_lo, s2
	v_and_b32_e32 v135, 0x7f800000, v136
	s_delay_alu instid0(VALU_DEP_1) | instskip(SKIP_1) | instid1(SALU_CYCLE_1)
	v_cmp_ne_u32_e32 vcc_lo, 0x7f800000, v135
                                        ; implicit-def: $vgpr135
	s_and_saveexec_b32 s2, vcc_lo
	s_xor_b32 s2, exec_lo, s2
; %bb.65:
	v_bfe_u32 v135, v136, 16, 1
	s_delay_alu instid0(VALU_DEP_1)
	v_add3_u32 v135, v136, v135, 0x7fff
                                        ; implicit-def: $vgpr136
; %bb.66:
	s_and_not1_saveexec_b32 s2, s2
; %bb.67:
	v_and_b32_e32 v135, 0xffff, v136
	v_or_b32_e32 v147, 0x10000, v136
	s_delay_alu instid0(VALU_DEP_2) | instskip(NEXT) | instid1(VALU_DEP_2)
	v_cmp_eq_u32_e32 vcc_lo, 0, v135
	v_cndmask_b32_e32 v135, v147, v136, vcc_lo
; %bb.68:
	s_or_b32 exec_lo, exec_lo, s2
	v_and_b32_e32 v136, 0x7f800000, v143
	s_delay_alu instid0(VALU_DEP_1) | instskip(SKIP_1) | instid1(SALU_CYCLE_1)
	v_cmp_ne_u32_e32 vcc_lo, 0x7f800000, v136
                                        ; implicit-def: $vgpr136
	s_and_saveexec_b32 s2, vcc_lo
	s_xor_b32 s2, exec_lo, s2
; %bb.69:
	v_bfe_u32 v136, v143, 16, 1
	s_delay_alu instid0(VALU_DEP_1)
	v_add3_u32 v136, v143, v136, 0x7fff
                                        ; implicit-def: $vgpr143
; %bb.70:
	s_and_not1_saveexec_b32 s2, s2
; %bb.71:
	v_and_b32_e32 v136, 0xffff, v143
	v_or_b32_e32 v147, 0x10000, v143
	s_delay_alu instid0(VALU_DEP_2) | instskip(NEXT) | instid1(VALU_DEP_2)
	v_cmp_eq_u32_e32 vcc_lo, 0, v136
	v_cndmask_b32_e32 v136, v147, v143, vcc_lo
; %bb.72:
	s_or_b32 exec_lo, exec_lo, s2
	v_and_b32_e32 v143, 0x7f800000, v145
	s_delay_alu instid0(VALU_DEP_1) | instskip(SKIP_1) | instid1(SALU_CYCLE_1)
	v_cmp_ne_u32_e32 vcc_lo, 0x7f800000, v143
                                        ; implicit-def: $vgpr143
	s_and_saveexec_b32 s2, vcc_lo
	s_xor_b32 s2, exec_lo, s2
; %bb.73:
	v_bfe_u32 v143, v145, 16, 1
	s_delay_alu instid0(VALU_DEP_1)
	v_add3_u32 v143, v145, v143, 0x7fff
                                        ; implicit-def: $vgpr145
; %bb.74:
	s_and_not1_saveexec_b32 s2, s2
; %bb.75:
	v_and_b32_e32 v143, 0xffff, v145
	v_or_b32_e32 v147, 0x10000, v145
	s_delay_alu instid0(VALU_DEP_2) | instskip(NEXT) | instid1(VALU_DEP_2)
	v_cmp_eq_u32_e32 vcc_lo, 0, v143
	v_cndmask_b32_e32 v143, v147, v145, vcc_lo
; %bb.76:
	s_or_b32 exec_lo, exec_lo, s2
	s_delay_alu instid0(VALU_DEP_1)
	v_perm_b32 v136, v143, v136, 0x7060302
	v_perm_b32 v135, v135, v146, 0x7060302
	;; [unrolled: 1-line block ×4, first 2 shown]
	v_lshl_or_b32 v145, v141, 11, v144
	v_lshlrev_b32_e32 v142, 2, v138
	ds_store_b128 v131, v[133:136] offset:1024
	s_waitcnt lgkmcnt(0)
	s_barrier
	buffer_gl0_inv
	ds_load_b128 v[132:135], v145
	ds_load_b128 v[147:150], v145 offset:16
	v_or_b32_e32 v143, 1, v142
	v_cmp_eq_u32_e64 s11, 1, v142
	v_cmp_eq_u32_e64 s10, 2, v142
	;; [unrolled: 1-line block ×3, first 2 shown]
	v_or_b32_e32 v141, 2, v142
	v_cmp_eq_u32_e64 s6, 1, v143
	v_cmp_eq_u32_e64 s5, 2, v143
	;; [unrolled: 1-line block ×8, first 2 shown]
	v_cmp_eq_u32_e32 vcc_lo, 5, v143
	v_cmp_eq_u32_e64 s9, 2, v141
	v_cmp_eq_u32_e64 s3, 6, v143
	;; [unrolled: 1-line block ×4, first 2 shown]
	s_waitcnt lgkmcnt(1)
	v_lshrrev_b32_e32 v136, 16, v132
	s_waitcnt lgkmcnt(0)
	v_lshrrev_b32_e32 v155, 16, v147
	v_lshrrev_b32_e32 v161, 16, v148
	;; [unrolled: 1-line block ×4, first 2 shown]
	v_cndmask_b32_e64 v146, v132, v136, s11
	v_cndmask_b32_e64 v151, v147, v155, s11
	;; [unrolled: 1-line block ×4, first 2 shown]
	v_lshrrev_b32_e32 v160, 16, v134
	v_cndmask_b32_e64 v146, v146, v133, s10
	v_cndmask_b32_e64 v151, v151, v148, s10
	;; [unrolled: 1-line block ×8, first 2 shown]
	v_lshrrev_b32_e32 v164, 16, v150
	v_cndmask_b32_e64 v153, v153, v161, s4
	v_cndmask_b32_e64 v146, v146, v134, s16
	;; [unrolled: 1-line block ×5, first 2 shown]
	v_lshrrev_b32_e32 v162, 16, v135
	v_cndmask_b32_e64 v146, v146, v160, s12
	v_cndmask_b32_e64 v151, v151, v163, s12
	v_cndmask_b32_e32 v152, v152, v160, vcc_lo
	v_cndmask_b32_e64 v153, v153, v149, s2
	v_cmp_eq_u32_e64 s18, 7, v143
	v_cndmask_b32_e64 v146, v146, v135, s13
	v_cndmask_b32_e64 v151, v151, v150, s13
	v_cndmask_b32_e64 v152, v152, v135, s3
	v_cndmask_b32_e64 v154, v154, v159, s17
	v_cmp_eq_u32_e64 s19, 4, v141
	v_cndmask_b32_e64 v165, v146, v162, s8
	v_cndmask_b32_e64 v166, v151, v164, s8
	;; [unrolled: 1-line block ×3, first 2 shown]
	v_or_b32_e32 v146, 3, v142
	v_cndmask_b32_e64 v167, v152, v162, s18
	v_cndmask_b32_e32 v156, v153, v163, vcc_lo
	v_cndmask_b32_e64 v158, v154, v134, s19
	v_cndmask_b32_e64 v157, v151, v148, s9
	ds_load_b128 v[151:154], v145 offset:1024
	v_cmp_eq_u32_e64 s20, 1, v146
	v_cmp_eq_u32_e64 s21, 5, v141
	;; [unrolled: 1-line block ×3, first 2 shown]
	v_cndmask_b32_e64 v157, v157, v161, s17
	v_cmp_eq_u32_e64 s23, 3, v146
	v_cndmask_b32_e64 v132, v132, v136, s20
	v_cndmask_b32_e64 v136, v156, v150, s3
	v_cndmask_b32_e64 v168, v158, v160, s21
	v_cndmask_b32_e64 v169, v157, v149, s19
	v_cndmask_b32_e64 v147, v147, v155, s20
	ds_load_b128 v[155:158], v145 offset:1040
	v_cndmask_b32_e64 v132, v132, v133, s22
	v_cmp_eq_u32_e64 s25, 4, v146
	v_cmp_eq_u32_e64 s27, 5, v146
	v_cndmask_b32_e64 v147, v147, v148, s22
	v_cmp_eq_u32_e64 s24, 6, v141
	v_cndmask_b32_e64 v132, v132, v159, s23
	;; [unrolled: 2-line block ×3, first 2 shown]
	v_cndmask_b32_e64 v147, v147, v161, s23
	s_waitcnt lgkmcnt(1)
	v_lshrrev_b32_e32 v159, 16, v151
	v_cndmask_b32_e64 v132, v132, v134, s25
	v_cndmask_b32_e64 v148, v168, v135, s24
	v_cndmask_b32_e64 v133, v133, v150, s24
	v_cndmask_b32_e64 v134, v147, v149, s25
	v_cndmask_b32_e64 v147, v151, v159, s11
	v_cndmask_b32_e64 v132, v132, v160, s27
	v_lshrrev_b32_e32 v160, 16, v152
	v_cndmask_b32_e64 v161, v151, v159, s6
	v_cndmask_b32_e64 v134, v134, v163, s27
	s_waitcnt lgkmcnt(0)
	v_lshrrev_b32_e32 v149, 16, v155
	v_cndmask_b32_e64 v147, v147, v152, s10
	v_cndmask_b32_e64 v132, v132, v135, s28
	v_cmp_eq_u32_e64 s26, 7, v141
	v_cndmask_b32_e64 v134, v134, v150, s28
	v_cndmask_b32_e64 v163, v155, v149, s11
	;; [unrolled: 1-line block ×4, first 2 shown]
	v_lshrrev_b32_e32 v161, 16, v156
	v_cndmask_b32_e64 v136, v136, v164, s18
	v_cndmask_b32_e64 v150, v163, v156, s10
	v_cmp_eq_u32_e64 s10, 7, v146
	v_cndmask_b32_e64 v147, v147, v160, s4
	v_cndmask_b32_e64 v135, v135, v153, s16
	v_lshrrev_b32_e32 v163, 16, v153
	v_cndmask_b32_e64 v150, v150, v161, s15
	v_cndmask_b32_e64 v132, v132, v162, s10
	v_cndmask_b32_e64 v134, v134, v164, s10
	v_cndmask_b32_e64 v147, v147, v153, s2
	v_cndmask_b32_e64 v148, v148, v162, s26
	v_cndmask_b32_e64 v133, v133, v164, s26
	v_cndmask_b32_e64 v162, v135, v163, s12
	v_cndmask_b32_e64 v150, v150, v157, s16
	v_lshrrev_b32_e32 v164, 16, v157
	v_perm_b32 v135, v134, v132, 0x5040100
	v_cndmask_b32_e32 v132, v147, v163, vcc_lo
	v_cndmask_b32_e64 v147, v162, v154, s13
	v_lshrrev_b32_e32 v162, 16, v154
	v_cndmask_b32_e64 v150, v150, v164, s12
	v_perm_b32 v134, v133, v148, 0x5040100
	v_cndmask_b32_e64 v132, v132, v154, s3
	v_perm_b32 v133, v136, v167, 0x5040100
	v_cndmask_b32_e64 v136, v147, v162, s8
	v_cndmask_b32_e64 v147, v150, v158, s13
	;; [unrolled: 1-line block ×27, first 2 shown]
	v_cndmask_b32_e32 v149, v149, v164, vcc_lo
	v_lshrrev_b32_e32 v148, 16, v158
	v_cndmask_b32_e64 v132, v132, v154, s24
	v_cndmask_b32_e64 v150, v150, v154, s28
	;; [unrolled: 1-line block ×11, first 2 shown]
	v_perm_b32 v132, v166, v165, 0x5040100
	v_perm_b32 v150, v151, v150, 0x5040100
	;; [unrolled: 1-line block ×5, first 2 shown]
	s_mul_i32 s7, s35, 6
	s_mov_b32 s2, exec_lo
	ds_store_b128 v131, v[132:135]
	ds_store_b128 v131, v[147:150] offset:1024
	v_cmpx_gt_u32_e32 6, v0
	s_cbranch_execz .LBB619_78
; %bb.77:
	s_mul_i32 s3, s7, s30
	s_load_b128 s[8:11], s[0:1], 0x58
	v_add3_u32 v133, s3, s29, v140
	s_delay_alu instid0(VALU_DEP_1) | instskip(NEXT) | instid1(VALU_DEP_1)
	v_mad_u64_u32 v[131:132], null, v133, s34, s[14:15]
	v_ashrrev_i32_e32 v132, 31, v131
	s_delay_alu instid0(VALU_DEP_1) | instskip(SKIP_1) | instid1(VALU_DEP_1)
	v_lshlrev_b64 v[131:132], 2, v[131:132]
	s_waitcnt lgkmcnt(0)
	v_add_co_u32 v133, vcc_lo, s10, v131
	s_delay_alu instid0(VALU_DEP_2)
	v_add_co_ci_u32_e32 v134, vcc_lo, s11, v132, vcc_lo
	v_add_co_u32 v131, vcc_lo, s8, v131
	v_add_co_ci_u32_e32 v132, vcc_lo, s9, v132, vcc_lo
	global_store_b32 v[133:134], v129, off
	global_store_b32 v[131:132], v130, off
.LBB619_78:
	s_or_b32 exec_lo, exec_lo, s2
	s_waitcnt lgkmcnt(0)
	s_waitcnt_vscnt null, 0x0
	s_barrier
	buffer_gl0_inv
	ds_load_b128 v[147:150], v144
	ds_load_b128 v[151:154], v144 offset:16
	ds_load_b128 v[159:162], v144 offset:1040
	ds_load_b128 v[155:158], v144 offset:1024
	v_mov_b32_e32 v129, 0
	ds_load_b128 v[167:170], v144 offset:2064
	ds_load_b128 v[163:166], v144 offset:2048
	;; [unrolled: 1-line block ×6, first 2 shown]
	v_mov_b32_e32 v130, v129
	v_mov_b32_e32 v131, v129
	;; [unrolled: 1-line block ×7, first 2 shown]
	s_waitcnt lgkmcnt(8)
	s_delay_alu instid0(VALU_DEP_1)
	v_wmma_f32_16x16x16_bf16 v[129:136], v[121:128], v[147:154], v[129:136]
	ds_load_b128 v[125:128], v144 offset:5136
	ds_load_b128 v[121:124], v144 offset:5120
	s_waitcnt lgkmcnt(8)
	v_wmma_f32_16x16x16_bf16 v[129:136], v[113:120], v[155:162], v[129:136]
	ds_load_b128 v[117:120], v144 offset:6160
	ds_load_b128 v[113:116], v144 offset:6144
	s_waitcnt lgkmcnt(8)
	;; [unrolled: 4-line block ×8, first 2 shown]
	v_wmma_f32_16x16x16_bf16 v[129:136], v[65:72], v[97:104], v[129:136]
	s_waitcnt lgkmcnt(6)
	s_delay_alu instid0(VALU_DEP_1)
	v_wmma_f32_16x16x16_bf16 v[129:136], v[49:56], v[89:96], v[129:136]
	ds_load_b128 v[53:56], v144 offset:13328
	ds_load_b128 v[49:52], v144 offset:13312
	s_waitcnt lgkmcnt(6)
	v_wmma_f32_16x16x16_bf16 v[129:136], v[41:48], v[81:88], v[129:136]
	ds_load_b128 v[45:48], v144 offset:14352
	ds_load_b128 v[41:44], v144 offset:14336
	s_waitcnt lgkmcnt(6)
	;; [unrolled: 4-line block ×3, first 2 shown]
	v_wmma_f32_16x16x16_bf16 v[129:136], v[1:8], v[57:64], v[129:136]
	s_waitcnt lgkmcnt(4)
	s_delay_alu instid0(VALU_DEP_1) | instskip(SKIP_1) | instid1(VALU_DEP_1)
	v_wmma_f32_16x16x16_bf16 v[129:136], v[25:32], v[49:56], v[129:136]
	s_waitcnt lgkmcnt(2)
	v_wmma_f32_16x16x16_bf16 v[129:136], v[33:40], v[41:48], v[129:136]
	s_waitcnt lgkmcnt(0)
	s_delay_alu instid0(VALU_DEP_1) | instskip(NEXT) | instid1(VALU_DEP_1)
	v_wmma_f32_16x16x16_bf16 v[129:136], v[9:16], v[17:24], v[129:136]
	v_and_b32_e32 v1, 0x7f800000, v129
	s_delay_alu instid0(VALU_DEP_1) | instskip(SKIP_1) | instid1(SALU_CYCLE_1)
	v_cmp_ne_u32_e32 vcc_lo, 0x7f800000, v1
                                        ; implicit-def: $vgpr1
	s_and_saveexec_b32 s2, vcc_lo
	s_xor_b32 s2, exec_lo, s2
; %bb.79:
	v_bfe_u32 v1, v129, 16, 1
	s_delay_alu instid0(VALU_DEP_1)
	v_add3_u32 v1, v129, v1, 0x7fff
; %bb.80:
	s_and_not1_saveexec_b32 s2, s2
; %bb.81:
	v_and_b32_e32 v1, 0xffff, v129
	v_or_b32_e32 v2, 0x10000, v129
	s_delay_alu instid0(VALU_DEP_2) | instskip(NEXT) | instid1(VALU_DEP_2)
	v_cmp_eq_u32_e32 vcc_lo, 0, v1
	v_cndmask_b32_e32 v1, v2, v129, vcc_lo
; %bb.82:
	s_or_b32 exec_lo, exec_lo, s2
	v_and_b32_e32 v2, 0x7f800000, v130
	s_delay_alu instid0(VALU_DEP_1) | instskip(SKIP_1) | instid1(SALU_CYCLE_1)
	v_cmp_ne_u32_e32 vcc_lo, 0x7f800000, v2
                                        ; implicit-def: $vgpr2
	s_and_saveexec_b32 s2, vcc_lo
	s_xor_b32 s2, exec_lo, s2
; %bb.83:
	v_bfe_u32 v2, v130, 16, 1
	s_delay_alu instid0(VALU_DEP_1)
	v_add3_u32 v2, v130, v2, 0x7fff
; %bb.84:
	s_and_not1_saveexec_b32 s2, s2
; %bb.85:
	v_and_b32_e32 v2, 0xffff, v130
	v_or_b32_e32 v3, 0x10000, v130
	s_delay_alu instid0(VALU_DEP_2) | instskip(NEXT) | instid1(VALU_DEP_2)
	v_cmp_eq_u32_e32 vcc_lo, 0, v2
	v_cndmask_b32_e32 v2, v3, v130, vcc_lo
; %bb.86:
	s_or_b32 exec_lo, exec_lo, s2
	v_and_b32_e32 v3, 0x7f800000, v131
	s_delay_alu instid0(VALU_DEP_1) | instskip(SKIP_1) | instid1(SALU_CYCLE_1)
	v_cmp_ne_u32_e32 vcc_lo, 0x7f800000, v3
                                        ; implicit-def: $vgpr3
	s_and_saveexec_b32 s2, vcc_lo
	s_xor_b32 s2, exec_lo, s2
; %bb.87:
	v_bfe_u32 v3, v131, 16, 1
	s_delay_alu instid0(VALU_DEP_1)
	v_add3_u32 v3, v131, v3, 0x7fff
; %bb.88:
	s_and_not1_saveexec_b32 s2, s2
; %bb.89:
	v_and_b32_e32 v3, 0xffff, v131
	v_or_b32_e32 v4, 0x10000, v131
	s_delay_alu instid0(VALU_DEP_2) | instskip(NEXT) | instid1(VALU_DEP_2)
	v_cmp_eq_u32_e32 vcc_lo, 0, v3
	v_cndmask_b32_e32 v3, v4, v131, vcc_lo
; %bb.90:
	s_or_b32 exec_lo, exec_lo, s2
	v_and_b32_e32 v4, 0x7f800000, v132
	s_delay_alu instid0(VALU_DEP_1) | instskip(SKIP_1) | instid1(SALU_CYCLE_1)
	v_cmp_ne_u32_e32 vcc_lo, 0x7f800000, v4
                                        ; implicit-def: $vgpr4
	s_and_saveexec_b32 s2, vcc_lo
	s_xor_b32 s2, exec_lo, s2
; %bb.91:
	v_bfe_u32 v4, v132, 16, 1
	s_delay_alu instid0(VALU_DEP_1)
	v_add3_u32 v4, v132, v4, 0x7fff
; %bb.92:
	s_and_not1_saveexec_b32 s2, s2
; %bb.93:
	v_and_b32_e32 v4, 0xffff, v132
	v_or_b32_e32 v5, 0x10000, v132
	s_delay_alu instid0(VALU_DEP_2) | instskip(NEXT) | instid1(VALU_DEP_2)
	v_cmp_eq_u32_e32 vcc_lo, 0, v4
	v_cndmask_b32_e32 v4, v5, v132, vcc_lo
; %bb.94:
	s_or_b32 exec_lo, exec_lo, s2
	v_and_b32_e32 v5, 0x7f800000, v133
	s_delay_alu instid0(VALU_DEP_1) | instskip(SKIP_1) | instid1(SALU_CYCLE_1)
	v_cmp_ne_u32_e32 vcc_lo, 0x7f800000, v5
                                        ; implicit-def: $vgpr5
	s_and_saveexec_b32 s2, vcc_lo
	s_xor_b32 s2, exec_lo, s2
; %bb.95:
	v_bfe_u32 v5, v133, 16, 1
	s_delay_alu instid0(VALU_DEP_1)
	v_add3_u32 v5, v133, v5, 0x7fff
; %bb.96:
	s_and_not1_saveexec_b32 s2, s2
; %bb.97:
	v_and_b32_e32 v5, 0xffff, v133
	v_or_b32_e32 v6, 0x10000, v133
	s_delay_alu instid0(VALU_DEP_2) | instskip(NEXT) | instid1(VALU_DEP_2)
	v_cmp_eq_u32_e32 vcc_lo, 0, v5
	v_cndmask_b32_e32 v5, v6, v133, vcc_lo
; %bb.98:
	s_or_b32 exec_lo, exec_lo, s2
	v_and_b32_e32 v6, 0x7f800000, v134
	s_delay_alu instid0(VALU_DEP_1) | instskip(SKIP_1) | instid1(SALU_CYCLE_1)
	v_cmp_ne_u32_e32 vcc_lo, 0x7f800000, v6
                                        ; implicit-def: $vgpr6
	s_and_saveexec_b32 s2, vcc_lo
	s_xor_b32 s2, exec_lo, s2
; %bb.99:
	v_bfe_u32 v6, v134, 16, 1
	s_delay_alu instid0(VALU_DEP_1)
	v_add3_u32 v6, v134, v6, 0x7fff
; %bb.100:
	s_and_not1_saveexec_b32 s2, s2
; %bb.101:
	v_and_b32_e32 v6, 0xffff, v134
	v_or_b32_e32 v7, 0x10000, v134
	s_delay_alu instid0(VALU_DEP_2) | instskip(NEXT) | instid1(VALU_DEP_2)
	v_cmp_eq_u32_e32 vcc_lo, 0, v6
	v_cndmask_b32_e32 v6, v7, v134, vcc_lo
; %bb.102:
	s_or_b32 exec_lo, exec_lo, s2
	v_and_b32_e32 v7, 0x7f800000, v135
	s_delay_alu instid0(VALU_DEP_1) | instskip(SKIP_1) | instid1(SALU_CYCLE_1)
	v_cmp_ne_u32_e32 vcc_lo, 0x7f800000, v7
                                        ; implicit-def: $vgpr7
	s_and_saveexec_b32 s2, vcc_lo
	s_xor_b32 s2, exec_lo, s2
; %bb.103:
	v_bfe_u32 v7, v135, 16, 1
	s_delay_alu instid0(VALU_DEP_1)
	v_add3_u32 v7, v135, v7, 0x7fff
; %bb.104:
	s_and_not1_saveexec_b32 s2, s2
; %bb.105:
	v_and_b32_e32 v7, 0xffff, v135
	v_or_b32_e32 v8, 0x10000, v135
	s_delay_alu instid0(VALU_DEP_2) | instskip(NEXT) | instid1(VALU_DEP_2)
	v_cmp_eq_u32_e32 vcc_lo, 0, v7
	v_cndmask_b32_e32 v7, v8, v135, vcc_lo
; %bb.106:
	s_or_b32 exec_lo, exec_lo, s2
	v_and_b32_e32 v8, 0x7f800000, v136
	s_delay_alu instid0(VALU_DEP_1) | instskip(SKIP_1) | instid1(SALU_CYCLE_1)
	v_cmp_ne_u32_e32 vcc_lo, 0x7f800000, v8
                                        ; implicit-def: $vgpr8
	s_and_saveexec_b32 s2, vcc_lo
	s_xor_b32 s2, exec_lo, s2
; %bb.107:
	v_bfe_u32 v8, v136, 16, 1
	s_delay_alu instid0(VALU_DEP_1)
	v_add3_u32 v8, v136, v8, 0x7fff
                                        ; implicit-def: $vgpr129_vgpr130_vgpr131_vgpr132_vgpr133_vgpr134_vgpr135_vgpr136
; %bb.108:
	s_and_not1_saveexec_b32 s2, s2
; %bb.109:
	v_and_b32_e32 v8, 0xffff, v136
	v_or_b32_e32 v9, 0x10000, v136
	s_delay_alu instid0(VALU_DEP_2) | instskip(NEXT) | instid1(VALU_DEP_2)
	v_cmp_eq_u32_e32 vcc_lo, 0, v8
	v_cndmask_b32_e32 v8, v9, v136, vcc_lo
; %bb.110:
	s_or_b32 exec_lo, exec_lo, s2
	s_delay_alu instid0(VALU_DEP_1)
	v_perm_b32 v7, v8, v7, 0x7060302
	v_perm_b32 v6, v6, v5, 0x7060302
	;; [unrolled: 1-line block ×4, first 2 shown]
	v_lshl_or_b32 v9, v138, 4, v145
	s_barrier
	buffer_gl0_inv
	v_cmp_eq_u32_e32 vcc_lo, 1, v142
	ds_store_b128 v9, v[4:7]
	s_waitcnt lgkmcnt(0)
	s_barrier
	buffer_gl0_inv
	ds_load_b128 v[1:4], v145
	ds_load_b128 v[5:8], v145 offset:16
	v_cmp_eq_u32_e64 s3, 2, v142
	v_cmp_eq_u32_e64 s2, 1, v143
	;; [unrolled: 1-line block ×5, first 2 shown]
	s_waitcnt lgkmcnt(1)
	v_lshrrev_b32_e32 v10, 16, v1
	s_waitcnt lgkmcnt(0)
	v_lshrrev_b32_e32 v14, 16, v5
	v_lshrrev_b32_e32 v15, 16, v6
	;; [unrolled: 1-line block ×4, first 2 shown]
	v_cndmask_b32_e64 v20, v1, v10, s2
	v_cndmask_b32_e32 v19, v5, v14, vcc_lo
	v_cndmask_b32_e64 v21, v5, v14, s2
	v_lshrrev_b32_e32 v16, 16, v7
	v_cmp_eq_u32_e64 s2, 1, v141
	v_lshrrev_b32_e32 v13, 16, v4
	v_cndmask_b32_e64 v19, v19, v6, s3
	v_lshrrev_b32_e32 v17, 16, v8
	s_delay_alu instid0(VALU_DEP_4) | instskip(SKIP_1) | instid1(VALU_DEP_4)
	v_cndmask_b32_e64 v22, v1, v10, s2
	v_cndmask_b32_e64 v23, v5, v14, s2
	;; [unrolled: 1-line block ×3, first 2 shown]
	v_cndmask_b32_e32 v18, v1, v10, vcc_lo
	v_cmp_eq_u32_e32 vcc_lo, 2, v143
	v_cmp_eq_u32_e64 s2, 2, v146
	v_cndmask_b32_e64 v22, v22, v2, s6
	v_cndmask_b32_e32 v20, v20, v2, vcc_lo
	v_cndmask_b32_e32 v21, v21, v6, vcc_lo
	v_cmp_eq_u32_e32 vcc_lo, 4, v142
	v_cndmask_b32_e32 v19, v19, v7, vcc_lo
	v_cndmask_b32_e64 v18, v18, v2, s3
	v_cmp_eq_u32_e64 s3, 3, v143
	s_delay_alu instid0(VALU_DEP_2) | instskip(NEXT) | instid1(VALU_DEP_2)
	v_cndmask_b32_e64 v18, v18, v11, s4
	v_cndmask_b32_e64 v21, v21, v15, s3
	v_cmp_eq_u32_e64 s4, 5, v142
	s_delay_alu instid0(VALU_DEP_3) | instskip(SKIP_1) | instid1(VALU_DEP_3)
	v_cndmask_b32_e32 v18, v18, v3, vcc_lo
	v_cmp_eq_u32_e32 vcc_lo, 4, v143
	v_cndmask_b32_e64 v19, v19, v16, s4
	s_delay_alu instid0(VALU_DEP_3) | instskip(SKIP_4) | instid1(VALU_DEP_3)
	v_cndmask_b32_e64 v18, v18, v12, s4
	v_cndmask_b32_e32 v21, v21, v7, vcc_lo
	v_cndmask_b32_e64 v20, v20, v11, s3
	v_cmp_eq_u32_e64 s3, 5, v143
	v_cmp_eq_u32_e64 s4, 6, v142
	v_cndmask_b32_e32 v20, v20, v3, vcc_lo
	s_delay_alu instid0(VALU_DEP_3) | instskip(SKIP_1) | instid1(VALU_DEP_4)
	v_cndmask_b32_e64 v21, v21, v16, s3
	v_cmp_eq_u32_e32 vcc_lo, 6, v143
	v_cndmask_b32_e64 v18, v18, v4, s4
	v_cndmask_b32_e64 v19, v19, v8, s4
	;; [unrolled: 1-line block ×3, first 2 shown]
	v_cmp_eq_u32_e64 s3, 1, v146
	v_cmp_eq_u32_e64 s4, 7, v142
	s_delay_alu instid0(VALU_DEP_3) | instskip(NEXT) | instid1(VALU_DEP_3)
	v_cndmask_b32_e32 v20, v20, v4, vcc_lo
	v_cndmask_b32_e64 v1, v1, v10, s3
	v_cndmask_b32_e64 v5, v5, v14, s3
	v_cmp_eq_u32_e64 s3, 3, v141
	v_cndmask_b32_e64 v14, v23, v6, s6
	v_cmp_eq_u32_e64 s6, 3, v146
	v_cndmask_b32_e64 v1, v1, v2, s2
	v_cndmask_b32_e64 v2, v5, v6, s2
	;; [unrolled: 1-line block ×3, first 2 shown]
	v_cmp_eq_u32_e64 s2, 4, v141
	v_cndmask_b32_e64 v6, v14, v15, s3
	v_cndmask_b32_e64 v1, v1, v11, s6
	v_cmp_eq_u32_e64 s3, 4, v146
	v_cndmask_b32_e64 v2, v2, v15, s6
	v_cndmask_b32_e64 v5, v10, v3, s2
	;; [unrolled: 3-line block ×3, first 2 shown]
	v_cndmask_b32_e64 v2, v2, v7, s3
	v_cmp_eq_u32_e64 s2, 5, v146
	v_cndmask_b32_e64 v5, v5, v12, s6
	v_cmp_eq_u32_e64 s3, 6, v141
	;; [unrolled: 2-line block ×3, first 2 shown]
	v_cndmask_b32_e64 v1, v1, v12, s2
	v_cndmask_b32_e64 v2, v2, v16, s2
	;; [unrolled: 1-line block ×4, first 2 shown]
	v_cmp_eq_u32_e64 s2, 7, v146
	v_cndmask_b32_e64 v1, v1, v4, s6
	v_cndmask_b32_e64 v2, v2, v8, s6
	v_cmp_eq_u32_e64 s3, 7, v141
	v_cndmask_b32_e32 v4, v21, v8, vcc_lo
	v_cndmask_b32_e64 v18, v18, v13, s4
	v_cndmask_b32_e64 v20, v20, v13, s5
	v_cndmask_b32_e64 v1, v1, v13, s2
	v_cndmask_b32_e64 v5, v5, v13, s3
	v_cndmask_b32_e64 v2, v2, v17, s2
	v_cndmask_b32_e64 v3, v3, v17, s3
	v_cndmask_b32_e64 v6, v4, v17, s5
	v_cndmask_b32_e64 v7, v19, v17, s4
	s_mov_b32 s2, exec_lo
	v_perm_b32 v4, v2, v1, 0x5040100
	v_perm_b32 v3, v3, v5, 0x5040100
	;; [unrolled: 1-line block ×4, first 2 shown]
	ds_store_b128 v9, v[1:4]
	s_waitcnt lgkmcnt(0)
	s_barrier
	buffer_gl0_inv
	v_cmpx_gt_u32_e32 32, v0
	s_cbranch_execz .LBB619_2
; %bb.111:
	s_load_b64 s[0:1], s[0:1], 0x68
	s_lshl_b32 s4, s34, 7
	v_or_b32_e32 v3, s29, v138
	s_mul_i32 s2, s4, s30
	v_lshlrev_b32_e32 v0, 10, v0
	s_mul_i32 s2, s2, s7
	v_lshlrev_b32_e32 v1, 4, v139
	s_ashr_i32 s3, s2, 31
	v_mul_lo_u32 v12, v3, s4
	s_lshl_b64 s[2:3], s[2:3], 1
	v_lshlrev_b32_e32 v2, 6, v138
	v_and_b32_e32 v0, 0x3800, v0
	s_delay_alu instid0(VALU_DEP_1) | instskip(NEXT) | instid1(VALU_DEP_4)
	v_or3_b32 v8, v0, v1, v2
	v_ashrrev_i32_e32 v13, 31, v12
	ds_load_b128 v[0:3], v8
	ds_load_b128 v[4:7], v8 offset:128
	ds_load_b128 v[8:11], v8 offset:256
	s_waitcnt lgkmcnt(0)
	s_add_u32 s2, s0, s2
	s_addc_u32 s3, s1, s3
	s_lshl_b32 s0, s14, 7
	s_delay_alu instid0(SALU_CYCLE_1) | instskip(NEXT) | instid1(SALU_CYCLE_1)
	s_ashr_i32 s1, s0, 31
	s_lshl_b64 s[0:1], s[0:1], 1
	s_delay_alu instid0(SALU_CYCLE_1)
	s_add_u32 s0, s2, s0
	s_addc_u32 s1, s3, s1
	s_lshl_b32 s2, s34, 8
	v_add_co_u32 v18, s0, s0, v137
	v_add_nc_u32_e32 v14, s2, v12
	v_lshlrev_b64 v[12:13], 1, v[12:13]
	v_add_co_ci_u32_e64 v19, null, s1, 0, s0
	s_delay_alu instid0(VALU_DEP_3) | instskip(SKIP_1) | instid1(VALU_DEP_4)
	v_add_nc_u32_e32 v16, s2, v14
	v_ashrrev_i32_e32 v15, 31, v14
	v_add_co_u32 v12, vcc_lo, v18, v12
	s_delay_alu instid0(VALU_DEP_4) | instskip(NEXT) | instid1(VALU_DEP_4)
	v_add_co_ci_u32_e32 v13, vcc_lo, v19, v13, vcc_lo
	v_ashrrev_i32_e32 v17, 31, v16
	s_delay_alu instid0(VALU_DEP_4) | instskip(NEXT) | instid1(VALU_DEP_2)
	v_lshlrev_b64 v[14:15], 1, v[14:15]
	v_lshlrev_b64 v[16:17], 1, v[16:17]
	s_delay_alu instid0(VALU_DEP_2) | instskip(NEXT) | instid1(VALU_DEP_3)
	v_add_co_u32 v14, vcc_lo, v18, v14
	v_add_co_ci_u32_e32 v15, vcc_lo, v19, v15, vcc_lo
	s_delay_alu instid0(VALU_DEP_3) | instskip(NEXT) | instid1(VALU_DEP_4)
	v_add_co_u32 v16, vcc_lo, v18, v16
	v_add_co_ci_u32_e32 v17, vcc_lo, v19, v17, vcc_lo
	s_clause 0x2
	global_store_b128 v[12:13], v[0:3], off
	global_store_b128 v[14:15], v[4:7], off
	;; [unrolled: 1-line block ×3, first 2 shown]
	s_nop 0
	s_sendmsg sendmsg(MSG_DEALLOC_VGPRS)
	s_endpgm
	.section	.rodata,"a",@progbits
	.p2align	6, 0x0
	.amdhsa_kernel _Z39paged_attention_ll4mi_QKV_mfma16_kernelI14__hip_bfloat16S0_LN4vllm18Fp8KVCacheDataTypeE0EhLi16ELi128ELi256ELb0ELi6EL8MFMAType0EEvPKT_PKT0_S9_ifPKiSB_SB_iPKfiiiPfSE_PS4_PT2_iSD_SD_
		.amdhsa_group_segment_fixed_size 17472
		.amdhsa_private_segment_fixed_size 0
		.amdhsa_kernarg_size 400
		.amdhsa_user_sgpr_count 13
		.amdhsa_user_sgpr_dispatch_ptr 0
		.amdhsa_user_sgpr_queue_ptr 0
		.amdhsa_user_sgpr_kernarg_segment_ptr 1
		.amdhsa_user_sgpr_dispatch_id 0
		.amdhsa_user_sgpr_private_segment_size 0
		.amdhsa_wavefront_size32 1
		.amdhsa_uses_dynamic_stack 0
		.amdhsa_enable_private_segment 0
		.amdhsa_system_sgpr_workgroup_id_x 1
		.amdhsa_system_sgpr_workgroup_id_y 1
		.amdhsa_system_sgpr_workgroup_id_z 1
		.amdhsa_system_sgpr_workgroup_info 0
		.amdhsa_system_vgpr_workitem_id 0
		.amdhsa_next_free_vgpr 218
		.amdhsa_next_free_sgpr 50
		.amdhsa_reserve_vcc 1
		.amdhsa_float_round_mode_32 0
		.amdhsa_float_round_mode_16_64 0
		.amdhsa_float_denorm_mode_32 3
		.amdhsa_float_denorm_mode_16_64 3
		.amdhsa_dx10_clamp 1
		.amdhsa_ieee_mode 1
		.amdhsa_fp16_overflow 0
		.amdhsa_workgroup_processor_mode 1
		.amdhsa_memory_ordered 1
		.amdhsa_forward_progress 0
		.amdhsa_shared_vgpr_count 0
		.amdhsa_exception_fp_ieee_invalid_op 0
		.amdhsa_exception_fp_denorm_src 0
		.amdhsa_exception_fp_ieee_div_zero 0
		.amdhsa_exception_fp_ieee_overflow 0
		.amdhsa_exception_fp_ieee_underflow 0
		.amdhsa_exception_fp_ieee_inexact 0
		.amdhsa_exception_int_div_zero 0
	.end_amdhsa_kernel
	.section	.text._Z39paged_attention_ll4mi_QKV_mfma16_kernelI14__hip_bfloat16S0_LN4vllm18Fp8KVCacheDataTypeE0EhLi16ELi128ELi256ELb0ELi6EL8MFMAType0EEvPKT_PKT0_S9_ifPKiSB_SB_iPKfiiiPfSE_PS4_PT2_iSD_SD_,"axG",@progbits,_Z39paged_attention_ll4mi_QKV_mfma16_kernelI14__hip_bfloat16S0_LN4vllm18Fp8KVCacheDataTypeE0EhLi16ELi128ELi256ELb0ELi6EL8MFMAType0EEvPKT_PKT0_S9_ifPKiSB_SB_iPKfiiiPfSE_PS4_PT2_iSD_SD_,comdat
.Lfunc_end619:
	.size	_Z39paged_attention_ll4mi_QKV_mfma16_kernelI14__hip_bfloat16S0_LN4vllm18Fp8KVCacheDataTypeE0EhLi16ELi128ELi256ELb0ELi6EL8MFMAType0EEvPKT_PKT0_S9_ifPKiSB_SB_iPKfiiiPfSE_PS4_PT2_iSD_SD_, .Lfunc_end619-_Z39paged_attention_ll4mi_QKV_mfma16_kernelI14__hip_bfloat16S0_LN4vllm18Fp8KVCacheDataTypeE0EhLi16ELi128ELi256ELb0ELi6EL8MFMAType0EEvPKT_PKT0_S9_ifPKiSB_SB_iPKfiiiPfSE_PS4_PT2_iSD_SD_
                                        ; -- End function
	.section	.AMDGPU.csdata,"",@progbits
; Kernel info:
; codeLenInByte = 10200
; NumSgprs: 52
; NumVgprs: 218
; ScratchSize: 0
; MemoryBound: 0
; FloatMode: 240
; IeeeMode: 1
; LDSByteSize: 17472 bytes/workgroup (compile time only)
; SGPRBlocks: 6
; VGPRBlocks: 27
; NumSGPRsForWavesPerEU: 52
; NumVGPRsForWavesPerEU: 218
; Occupancy: 6
; WaveLimiterHint : 1
; COMPUTE_PGM_RSRC2:SCRATCH_EN: 0
; COMPUTE_PGM_RSRC2:USER_SGPR: 13
; COMPUTE_PGM_RSRC2:TRAP_HANDLER: 0
; COMPUTE_PGM_RSRC2:TGID_X_EN: 1
; COMPUTE_PGM_RSRC2:TGID_Y_EN: 1
; COMPUTE_PGM_RSRC2:TGID_Z_EN: 1
; COMPUTE_PGM_RSRC2:TIDIG_COMP_CNT: 0
	.section	.text._Z39paged_attention_ll4mi_QKV_mfma16_kernelI14__hip_bfloat16S0_LN4vllm18Fp8KVCacheDataTypeE0EhLi16ELi128ELi256ELb0ELi7EL8MFMAType0EEvPKT_PKT0_S9_ifPKiSB_SB_iPKfiiiPfSE_PS4_PT2_iSD_SD_,"axG",@progbits,_Z39paged_attention_ll4mi_QKV_mfma16_kernelI14__hip_bfloat16S0_LN4vllm18Fp8KVCacheDataTypeE0EhLi16ELi128ELi256ELb0ELi7EL8MFMAType0EEvPKT_PKT0_S9_ifPKiSB_SB_iPKfiiiPfSE_PS4_PT2_iSD_SD_,comdat
	.protected	_Z39paged_attention_ll4mi_QKV_mfma16_kernelI14__hip_bfloat16S0_LN4vllm18Fp8KVCacheDataTypeE0EhLi16ELi128ELi256ELb0ELi7EL8MFMAType0EEvPKT_PKT0_S9_ifPKiSB_SB_iPKfiiiPfSE_PS4_PT2_iSD_SD_ ; -- Begin function _Z39paged_attention_ll4mi_QKV_mfma16_kernelI14__hip_bfloat16S0_LN4vllm18Fp8KVCacheDataTypeE0EhLi16ELi128ELi256ELb0ELi7EL8MFMAType0EEvPKT_PKT0_S9_ifPKiSB_SB_iPKfiiiPfSE_PS4_PT2_iSD_SD_
	.globl	_Z39paged_attention_ll4mi_QKV_mfma16_kernelI14__hip_bfloat16S0_LN4vllm18Fp8KVCacheDataTypeE0EhLi16ELi128ELi256ELb0ELi7EL8MFMAType0EEvPKT_PKT0_S9_ifPKiSB_SB_iPKfiiiPfSE_PS4_PT2_iSD_SD_
	.p2align	8
	.type	_Z39paged_attention_ll4mi_QKV_mfma16_kernelI14__hip_bfloat16S0_LN4vllm18Fp8KVCacheDataTypeE0EhLi16ELi128ELi256ELb0ELi7EL8MFMAType0EEvPKT_PKT0_S9_ifPKiSB_SB_iPKfiiiPfSE_PS4_PT2_iSD_SD_,@function
_Z39paged_attention_ll4mi_QKV_mfma16_kernelI14__hip_bfloat16S0_LN4vllm18Fp8KVCacheDataTypeE0EhLi16ELi128ELi256ELb0ELi7EL8MFMAType0EEvPKT_PKT0_S9_ifPKiSB_SB_iPKfiiiPfSE_PS4_PT2_iSD_SD_: ; @_Z39paged_attention_ll4mi_QKV_mfma16_kernelI14__hip_bfloat16S0_LN4vllm18Fp8KVCacheDataTypeE0EhLi16ELi128ELi256ELb0ELi7EL8MFMAType0EEvPKT_PKT0_S9_ifPKiSB_SB_iPKfiiiPfSE_PS4_PT2_iSD_SD_
; %bb.0:
	s_load_b64 s[4:5], s[0:1], 0x30
	s_mov_b32 s30, s13
	s_waitcnt lgkmcnt(0)
	s_cmp_lg_u64 s[4:5], 0
	s_cselect_b32 s8, -1, 0
	s_ashr_i32 s31, s13, 31
	s_cmp_eq_u64 s[4:5], 0
	s_cbranch_scc1 .LBB620_3
; %bb.1:
	s_lshl_b64 s[2:3], s[30:31], 2
	s_delay_alu instid0(SALU_CYCLE_1) | instskip(SKIP_4) | instid1(SALU_CYCLE_1)
	s_add_u32 s2, s4, s2
	s_addc_u32 s3, s5, s3
	s_load_b64 s[2:3], s[2:3], 0x0
	s_waitcnt lgkmcnt(0)
	s_sub_i32 s2, s3, s2
	s_cmp_eq_u32 s2, 1
	s_cselect_b32 s2, -1, 0
	s_delay_alu instid0(SALU_CYCLE_1)
	s_and_not1_b32 vcc_lo, exec_lo, s2
	s_cbranch_vccz .LBB620_4
.LBB620_2:
	s_nop 0
	s_sendmsg sendmsg(MSG_DEALLOC_VGPRS)
	s_endpgm
.LBB620_3:
.LBB620_4:
	s_load_b64 s[2:3], s[0:1], 0x28
	s_lshl_b64 s[6:7], s[30:31], 2
	s_waitcnt lgkmcnt(0)
	s_add_u32 s2, s2, s6
	s_addc_u32 s3, s3, s7
	s_lshl_b32 s29, s14, 8
	s_load_b32 s28, s[2:3], 0x0
	s_waitcnt lgkmcnt(0)
	s_cmp_ge_i32 s29, s28
	s_cbranch_scc1 .LBB620_2
; %bb.5:
	s_clause 0x1
	s_load_b128 s[20:23], s[0:1], 0x8
	s_load_b64 s[2:3], s[0:1], 0x20
	s_and_not1_b32 vcc_lo, exec_lo, s8
	s_cbranch_vccnz .LBB620_7
; %bb.6:
	s_add_u32 s4, s4, s6
	s_addc_u32 s5, s5, s7
	s_load_b32 s5, s[4:5], 0x0
	s_branch .LBB620_8
.LBB620_7:
	s_mov_b32 s5, s30
.LBB620_8:
	s_load_b128 s[16:19], s[0:1], 0x48
	v_and_b32_e32 v140, 15, v0
	v_lshrrev_b32_e32 v141, 5, v0
	v_bfe_u32 v138, v0, 4, 1
	v_and_b32_e32 v142, 31, v0
	v_and_b32_e32 v139, 1, v0
	v_lshlrev_b32_e32 v2, 3, v140
	s_mul_i32 s31, s15, 7
	v_lshl_or_b32 v1, v141, 1, v138
	s_mov_b32 s4, exec_lo
	s_delay_alu instid0(VALU_DEP_2) | instskip(NEXT) | instid1(VALU_DEP_2)
	v_lshlrev_b32_e32 v137, 1, v2
	v_cmpx_gt_u32_e32 7, v1
	s_cbranch_execz .LBB620_10
; %bb.9:
	s_load_b64 s[6:7], s[0:1], 0x0
	v_add_lshl_u32 v2, v1, s31, 7
	s_waitcnt lgkmcnt(0)
	s_mul_hi_i32 s9, s5, s16
	s_mul_i32 s8, s5, s16
	v_lshlrev_b32_e32 v6, 10, v140
	s_lshl_b64 s[8:9], s[8:9], 1
	v_ashrrev_i32_e32 v3, 31, v2
	v_lshlrev_b32_e32 v1, 6, v1
	v_lshlrev_b32_e32 v7, 10, v139
	v_and_b32_e32 v6, 0x3800, v6
	s_delay_alu instid0(VALU_DEP_4) | instskip(NEXT) | instid1(VALU_DEP_2)
	v_lshlrev_b64 v[2:3], 1, v[2:3]
	v_or3_b32 v1, v6, v7, v1
	s_add_u32 s5, s6, s8
	s_addc_u32 s6, s7, s9
	s_delay_alu instid0(VALU_DEP_2) | instskip(NEXT) | instid1(VALU_DEP_3)
	v_add_co_u32 v2, vcc_lo, s5, v2
	v_add_co_ci_u32_e32 v3, vcc_lo, s6, v3, vcc_lo
	s_delay_alu instid0(VALU_DEP_2) | instskip(NEXT) | instid1(VALU_DEP_2)
	v_add_co_u32 v2, vcc_lo, v2, v137
	v_add_co_ci_u32_e32 v3, vcc_lo, 0, v3, vcc_lo
	global_load_b128 v[2:5], v[2:3], off
	s_waitcnt vmcnt(0)
	ds_store_b128 v1, v[2:5]
.LBB620_10:
	s_or_b32 exec_lo, exec_lo, s4
	v_and_b32_e32 v1, 0xef, v0
	s_waitcnt lgkmcnt(0)
	s_add_i32 s5, s28, 15
	s_clause 0x1
	s_load_b32 s4, s[0:1], 0x38
	s_load_b32 s33, s[0:1], 0x1c
	s_ashr_i32 s6, s5, 31
	v_add_nc_u32_e32 v1, s29, v1
	s_lshr_b32 s6, s6, 28
	s_waitcnt lgkmcnt(0)
	s_add_i32 s5, s5, s6
	s_barrier
	v_ashrrev_i32_e32 v2, 31, v1
	v_cmp_gt_i32_e32 vcc_lo, s28, v1
	s_ashr_i32 s16, s5, 4
	buffer_gl0_inv
	s_add_i32 s16, s16, -1
	v_lshrrev_b32_e32 v3, 28, v2
	v_or_b32_e32 v2, 16, v1
	v_mul_lo_u16 v105, v140, 37
	v_lshlrev_b32_e32 v106, 5, v140
	s_delay_alu instid0(VALU_DEP_4) | instskip(NEXT) | instid1(VALU_DEP_4)
	v_add_nc_u32_e32 v4, v1, v3
	v_add_nc_u32_e32 v3, v2, v3
	s_mul_i32 s4, s30, s4
	v_lshrrev_b16 v105, 8, v105
	s_ashr_i32 s5, s4, 31
	v_ashrrev_i32_e32 v4, 4, v4
	v_ashrrev_i32_e32 v3, 4, v3
	s_lshl_b64 s[4:5], s[4:5], 2
	v_mul_lo_u16 v105, v105, 7
	s_add_u32 s34, s2, s4
	v_cndmask_b32_e32 v1, s16, v4, vcc_lo
	v_cmp_gt_i32_e32 vcc_lo, s28, v2
	s_addc_u32 s35, s3, s5
	s_mul_i32 s2, s15, s18
	v_sub_nc_u16 v105, v140, v105
	v_ashrrev_i32_e32 v2, 31, v1
	v_cndmask_b32_e32 v3, s16, v3, vcc_lo
	s_ashr_i32 s3, s2, 31
	v_lshl_or_b32 v125, v141, 9, v106
	s_lshl_b64 s[2:3], s[2:3], 1
	v_lshlrev_b64 v[1:2], 2, v[1:2]
	v_ashrrev_i32_e32 v4, 31, v3
	s_add_u32 s24, s20, s2
	s_addc_u32 s25, s21, s3
	s_lshl_b32 s4, s14, 4
	v_and_b32_e32 v105, 0xff, v105
	v_lshlrev_b64 v[3:4], 2, v[3:4]
	v_add_co_u32 v1, vcc_lo, s34, v1
	v_add_co_ci_u32_e32 v2, vcc_lo, s35, v2, vcc_lo
	s_ashr_i32 s5, s4, 31
	s_delay_alu instid0(VALU_DEP_3) | instskip(NEXT) | instid1(VALU_DEP_4)
	v_add_co_u32 v3, vcc_lo, s34, v3
	v_add_co_ci_u32_e32 v4, vcc_lo, s35, v4, vcc_lo
	s_lshl_b64 s[4:5], s[4:5], 2
	s_clause 0x1
	global_load_b32 v5, v[1:2], off
	global_load_b32 v6, v[3:4], off
	s_add_u32 s4, s34, s4
	s_addc_u32 s5, s35, s5
	s_or_b32 s6, s29, 16
	v_lshlrev_b32_e32 v3, 4, v0
	s_ashr_i32 s7, s6, 4
	s_cmp_lt_i32 s6, s28
	v_lshlrev_b32_e32 v215, 6, v105
	s_cselect_b32 s6, s7, s16
	s_delay_alu instid0(SALU_CYCLE_1) | instskip(NEXT) | instid1(SALU_CYCLE_1)
	s_ashr_i32 s7, s6, 31
	s_lshl_b64 s[6:7], s[6:7], 2
	s_delay_alu instid0(SALU_CYCLE_1) | instskip(SKIP_2) | instid1(SALU_CYCLE_1)
	s_add_u32 s6, s34, s6
	s_addc_u32 s7, s35, s7
	s_or_b32 s8, s29, 32
	s_ashr_i32 s9, s8, 4
	s_cmp_lt_i32 s8, s28
	s_cselect_b32 s8, s9, s16
	s_delay_alu instid0(SALU_CYCLE_1) | instskip(NEXT) | instid1(SALU_CYCLE_1)
	s_ashr_i32 s9, s8, 31
	s_lshl_b64 s[8:9], s[8:9], 2
	s_delay_alu instid0(SALU_CYCLE_1) | instskip(SKIP_2) | instid1(SALU_CYCLE_1)
	s_add_u32 s8, s34, s8
	s_addc_u32 s9, s35, s9
	s_or_b32 s10, s29, 48
	s_ashr_i32 s11, s10, 4
	s_cmp_lt_i32 s10, s28
	;; [unrolled: 10-line block ×4, first 2 shown]
	s_cselect_b32 s12, s13, s16
	s_delay_alu instid0(SALU_CYCLE_1) | instskip(NEXT) | instid1(SALU_CYCLE_1)
	s_ashr_i32 s13, s12, 31
	s_lshl_b64 s[12:13], s[12:13], 2
	s_delay_alu instid0(SALU_CYCLE_1)
	s_add_u32 s20, s34, s12
	s_addc_u32 s21, s35, s13
	s_clause 0x5
	s_load_b32 s38, s[4:5], 0x0
	s_load_b32 s37, s[6:7], 0x0
	s_load_b32 s36, s[8:9], 0x0
	s_load_b32 s13, s[10:11], 0x0
	s_load_b32 s12, s[18:19], 0x0
	s_load_b32 s15, s[20:21], 0x0
	s_waitcnt vmcnt(1)
	v_mad_i64_i32 v[1:2], null, v5, s17, 0
	v_and_b32_e32 v5, 0xf0, v3
	s_waitcnt vmcnt(0)
	v_mad_i64_i32 v[3:4], null, v6, s17, 0
	s_delay_alu instid0(VALU_DEP_2) | instskip(NEXT) | instid1(VALU_DEP_4)
	v_add_co_u32 v5, s4, s24, v5
	v_lshlrev_b64 v[1:2], 1, v[1:2]
	v_add_co_ci_u32_e64 v6, null, s25, 0, s4
	s_delay_alu instid0(VALU_DEP_4) | instskip(SKIP_1) | instid1(VALU_DEP_3)
	v_lshlrev_b64 v[3:4], 1, v[3:4]
	s_or_b32 s4, s29, 0x60
	v_add_co_u32 v121, vcc_lo, v5, v1
	s_delay_alu instid0(VALU_DEP_3) | instskip(NEXT) | instid1(VALU_DEP_3)
	v_add_co_ci_u32_e32 v122, vcc_lo, v6, v2, vcc_lo
	v_add_co_u32 v123, vcc_lo, v5, v3
	s_delay_alu instid0(VALU_DEP_4)
	v_add_co_ci_u32_e32 v124, vcc_lo, v6, v4, vcc_lo
	s_clause 0x19
	global_load_b128 v[89:92], v[121:122], off
	global_load_b128 v[93:96], v[121:122], off offset:256
	global_load_b128 v[97:100], v[123:124], off
	global_load_b128 v[101:104], v[123:124], off offset:256
	global_load_b128 v[81:84], v[121:122], off offset:512
	;; [unrolled: 1-line block ×23, first 2 shown]
	s_ashr_i32 s5, s4, 4
	s_cmp_lt_i32 s4, s28
	ds_load_b128 v[105:108], v215
	ds_load_b128 v[109:112], v215 offset:1024
	s_cselect_b32 s4, s5, s16
	ds_load_b128 v[113:116], v215 offset:2048
	ds_load_b128 v[117:120], v215 offset:3072
	s_ashr_i32 s5, s4, 31
	ds_load_b128 v[143:146], v215 offset:4096
	ds_load_b128 v[147:150], v215 offset:5120
	s_lshl_b64 s[6:7], s[4:5], 2
	ds_load_b128 v[151:154], v215 offset:6144
	ds_load_b128 v[155:158], v215 offset:7168
	s_add_u32 s18, s34, s6
	s_addc_u32 s19, s35, s7
	s_or_b32 s5, s29, 0x70
	ds_load_b128 v[159:162], v215 offset:8192
	ds_load_b128 v[163:166], v215 offset:9216
	s_ashr_i32 s6, s5, 4
	s_cmp_lt_i32 s5, s28
	s_clause 0x1
	global_load_b128 v[167:170], v[123:124], off offset:3072
	global_load_b128 v[171:174], v[123:124], off offset:3328
	s_cselect_b32 s8, s6, s16
	s_mov_b32 s4, 0
	s_ashr_i32 s9, s8, 31
	s_mov_b32 s5, s4
	s_lshl_b64 s[8:9], s[8:9], 2
	s_mov_b32 s6, s4
	s_add_u32 s20, s34, s8
	s_addc_u32 s21, s35, s9
	s_clause 0x1
	s_load_b32 s44, s[18:19], 0x0
	s_load_b32 s45, s[20:21], 0x0
	s_clause 0x3
	global_load_b128 v[175:178], v[121:122], off offset:3584
	global_load_b128 v[179:182], v[121:122], off offset:3840
	global_load_b128 v[183:186], v[123:124], off offset:3584
	global_load_b128 v[187:190], v[123:124], off offset:3840
	s_or_b32 s8, s29, 0x80
	s_mov_b32 s7, s4
	s_ashr_i32 s9, s8, 4
	s_cmp_lt_i32 s8, s28
	s_mov_b32 s8, s4
	s_cselect_b32 s10, s9, s16
	s_mov_b32 s9, s4
	s_ashr_i32 s11, s10, 31
	s_delay_alu instid0(SALU_CYCLE_1)
	s_lshl_b64 s[24:25], s[10:11], 2
	s_mov_b32 s10, s4
	s_add_u32 s24, s34, s24
	s_addc_u32 s25, s35, s25
	s_or_b32 s11, s29, 0x90
	s_load_b32 s46, s[24:25], 0x0
	s_ashr_i32 s26, s11, 4
	s_cmp_lt_i32 s11, s28
	s_mov_b32 s11, s4
	s_cselect_b32 s26, s26, s16
	v_mov_b32_e32 v136, s11
	s_ashr_i32 s27, s26, 31
	v_dual_mov_b32 v135, s10 :: v_dual_mov_b32 v134, s9
	v_dual_mov_b32 v133, s8 :: v_dual_mov_b32 v132, s7
	;; [unrolled: 1-line block ×3, first 2 shown]
	v_mov_b32_e32 v129, s4
	s_lshl_b64 s[4:5], s[26:27], 2
	s_waitcnt lgkmcnt(0)
	s_mul_hi_i32 s7, s37, s17
	s_add_u32 s26, s34, s4
	s_addc_u32 s27, s35, s5
	s_or_b32 s4, s29, 0xa0
	s_load_b32 s39, s[26:27], 0x0
	s_ashr_i32 s5, s4, 4
	s_cmp_lt_i32 s4, s28
	s_cselect_b32 s4, s5, s16
	s_delay_alu instid0(SALU_CYCLE_1) | instskip(NEXT) | instid1(SALU_CYCLE_1)
	s_ashr_i32 s5, s4, 31
	s_lshl_b64 s[4:5], s[4:5], 2
	s_delay_alu instid0(SALU_CYCLE_1)
	s_add_u32 s40, s34, s4
	s_addc_u32 s41, s35, s5
	s_or_b32 s4, s29, 0xb0
	s_mul_hi_i32 s5, s38, s17
	s_ashr_i32 s6, s4, 4
	s_cmp_lt_i32 s4, s28
	s_mul_i32 s4, s38, s17
	s_load_b32 s38, s[40:41], 0x0
	s_cselect_b32 s8, s6, s16
	s_mul_i32 s6, s37, s17
	s_ashr_i32 s9, s8, 31
	s_mul_hi_i32 s27, s46, s17
	s_lshl_b64 s[10:11], s[8:9], 2
	s_mul_hi_i32 s9, s36, s17
	s_add_u32 s42, s34, s10
	s_addc_u32 s43, s35, s11
	s_or_b32 s10, s29, 0xc0
	s_mul_i32 s8, s36, s17
	s_ashr_i32 s36, s10, 4
	s_cmp_lt_i32 s10, s28
	s_mul_i32 s26, s46, s17
	s_cselect_b32 s36, s36, s16
	s_mul_hi_i32 s11, s13, s17
	s_ashr_i32 s37, s36, 31
	s_mul_i32 s10, s13, s17
	s_lshl_b64 s[36:37], s[36:37], 2
	s_mul_hi_i32 s13, s12, s17
	s_add_u32 s20, s34, s36
	s_addc_u32 s21, s35, s37
	s_or_b32 s18, s29, 0xd0
	s_mul_i32 s12, s12, s17
	s_ashr_i32 s19, s18, 4
	s_cmp_lt_i32 s18, s28
	s_mul_i32 s18, s15, s17
	s_cselect_b32 s24, s19, s16
	s_mul_hi_i32 s19, s15, s17
	s_ashr_i32 s25, s24, 31
	s_waitcnt lgkmcnt(0)
	s_mul_hi_i32 s41, s39, s17
	s_lshl_b64 s[24:25], s[24:25], 2
	s_delay_alu instid0(SALU_CYCLE_1)
	s_add_u32 s24, s34, s24
	s_addc_u32 s25, s35, s25
	s_or_b32 s40, s29, 0xe0
	s_clause 0x2
	s_load_b32 s37, s[42:43], 0x0
	s_load_b32 s36, s[20:21], 0x0
	;; [unrolled: 1-line block ×3, first 2 shown]
	s_ashr_i32 s47, s40, 4
	s_cmp_lt_i32 s40, s28
	s_mul_hi_i32 s21, s44, s17
	s_cselect_b32 s42, s47, s16
	s_mul_i32 s20, s44, s17
	s_ashr_i32 s43, s42, 31
	s_mul_hi_i32 s25, s45, s17
	s_lshl_b64 s[42:43], s[42:43], 2
	s_mul_i32 s24, s45, s17
	s_add_u32 s42, s34, s42
	s_addc_u32 s43, s35, s43
	s_or_b32 s44, s29, 0xf0
	s_mul_i32 s40, s39, s17
	s_ashr_i32 s46, s44, 4
	s_cmp_lt_i32 s44, s28
	s_mul_hi_i32 s39, s38, s17
	s_cselect_b32 s46, s46, s16
	s_mul_i32 s38, s38, s17
	s_ashr_i32 s47, s46, 31
	s_waitcnt lgkmcnt(0)
	s_mul_hi_i32 s49, s15, s17
	s_lshl_b64 s[46:47], s[46:47], 2
	s_mul_i32 s48, s15, s17
	s_add_u32 s34, s34, s46
	s_addc_u32 s35, s35, s47
	s_add_u32 s15, s22, s2
	s_addc_u32 s16, s23, s3
	v_add_co_u32 v216, s15, s15, v125
	s_delay_alu instid0(VALU_DEP_1) | instskip(SKIP_2) | instid1(VALU_DEP_2)
	v_add_co_ci_u32_e64 v217, null, s16, 0, s15
	s_lshl_b64 s[2:3], s[4:5], 1
	s_lshl_b64 s[4:5], s[6:7], 1
	v_add_co_u32 v125, vcc_lo, v216, s2
	s_delay_alu instid0(VALU_DEP_2)
	v_add_co_ci_u32_e32 v126, vcc_lo, s3, v217, vcc_lo
	v_add_co_u32 v199, vcc_lo, v216, s4
	s_lshl_b64 s[6:7], s[8:9], 1
	v_add_co_ci_u32_e32 v200, vcc_lo, s5, v217, vcc_lo
	s_lshl_b64 s[8:9], s[10:11], 1
	s_lshl_b64 s[10:11], s[12:13], 1
	;; [unrolled: 1-line block ×8, first 2 shown]
	s_mul_hi_i32 s45, s37, s17
	s_mul_i32 s44, s37, s17
	s_mul_hi_i32 s37, s36, s17
	s_lshl_b64 s[38:39], s[44:45], 1
	s_mul_i32 s36, s36, s17
	s_clause 0x1
	s_load_b32 s15, s[42:43], 0x0
	s_load_b32 s16, s[34:35], 0x0
	s_lshl_b64 s[36:37], s[36:37], 1
	s_lshl_b64 s[40:41], s[48:49], 1
	s_waitcnt lgkmcnt(0)
	s_mul_hi_i32 s3, s15, s17
	s_mul_i32 s2, s15, s17
	s_mul_hi_i32 s5, s16, s17
	s_lshl_b64 s[2:3], s[2:3], 1
	s_mul_i32 s4, s16, s17
	s_waitcnt vmcnt(30)
	v_wmma_f32_16x16x16_bf16 v[191:198], v[89:96], v[105:112], v[129:136]
	v_add_co_u32 v89, vcc_lo, v216, s6
	v_add_co_ci_u32_e32 v90, vcc_lo, s7, v217, vcc_lo
	v_add_co_u32 v91, vcc_lo, v216, s8
	v_add_co_ci_u32_e32 v92, vcc_lo, s9, v217, vcc_lo
	;; [unrolled: 2-line block ×5, first 2 shown]
	v_add_co_u32 v205, vcc_lo, v216, s20
	s_waitcnt vmcnt(28)
	v_wmma_f32_16x16x16_bf16 v[129:136], v[97:104], v[105:112], v[129:136]
	v_add_co_ci_u32_e32 v206, vcc_lo, s21, v217, vcc_lo
	v_add_co_u32 v207, vcc_lo, v216, s22
	v_add_co_ci_u32_e32 v208, vcc_lo, s23, v217, vcc_lo
	v_add_co_u32 v209, vcc_lo, v216, s24
	s_waitcnt vmcnt(26)
	v_wmma_f32_16x16x16_bf16 v[191:198], v[81:88], v[113:120], v[191:198]
	s_waitcnt vmcnt(24)
	v_wmma_f32_16x16x16_bf16 v[129:136], v[73:80], v[113:120], v[129:136]
	v_add_co_ci_u32_e32 v210, vcc_lo, s25, v217, vcc_lo
	v_add_co_u32 v211, vcc_lo, v216, s26
	v_add_co_ci_u32_e32 v212, vcc_lo, s27, v217, vcc_lo
	v_add_co_u32 v213, vcc_lo, v216, s38
	s_waitcnt vmcnt(22)
	v_wmma_f32_16x16x16_bf16 v[191:198], v[65:72], v[143:150], v[191:198]
	s_waitcnt vmcnt(20)
	v_wmma_f32_16x16x16_bf16 v[129:136], v[57:64], v[143:150], v[129:136]
	v_add_co_ci_u32_e32 v214, vcc_lo, s39, v217, vcc_lo
	v_add_co_u32 v143, vcc_lo, v216, s36
	s_waitcnt vmcnt(18)
	v_wmma_f32_16x16x16_bf16 v[191:198], v[49:56], v[151:158], v[191:198]
	s_waitcnt vmcnt(16)
	v_wmma_f32_16x16x16_bf16 v[129:136], v[41:48], v[151:158], v[129:136]
	v_add_co_ci_u32_e32 v144, vcc_lo, s37, v217, vcc_lo
	s_clause 0x15
	global_load_b128 v[121:124], v[125:126], off
	global_load_b128 v[125:128], v[125:126], off offset:16
	global_load_b128 v[113:116], v[199:200], off
	global_load_b128 v[117:120], v[199:200], off offset:16
	;; [unrolled: 2-line block ×11, first 2 shown]
	s_waitcnt vmcnt(36)
	v_wmma_f32_16x16x16_bf16 v[191:198], v[17:24], v[159:166], v[191:198]
	s_clause 0x1
	global_load_b128 v[17:20], v[213:214], off
	global_load_b128 v[21:24], v[213:214], off offset:16
	s_waitcnt vmcnt(36)
	v_wmma_f32_16x16x16_bf16 v[129:136], v[1:8], v[159:166], v[129:136]
	s_clause 0x1
	global_load_b128 v[1:4], v[143:144], off
	global_load_b128 v[5:8], v[143:144], off offset:16
	ds_load_b128 v[143:146], v215 offset:10240
	ds_load_b128 v[147:150], v215 offset:11264
	;; [unrolled: 1-line block ×4, first 2 shown]
	v_add_co_u32 v199, vcc_lo, v216, s40
	v_add_co_ci_u32_e32 v200, vcc_lo, s41, v217, vcc_lo
	v_add_co_u32 v159, vcc_lo, v216, s2
	v_add_co_ci_u32_e32 v160, vcc_lo, s3, v217, vcc_lo
	s_lshl_b64 s[2:3], s[4:5], 1
	s_delay_alu instid0(SALU_CYCLE_1)
	v_add_co_u32 v161, vcc_lo, v216, s2
	v_add_co_ci_u32_e32 v162, vcc_lo, s3, v217, vcc_lo
	s_waitcnt vmcnt(36) lgkmcnt(2)
	v_wmma_f32_16x16x16_bf16 v[191:198], v[33:40], v[143:150], v[191:198]
	s_waitcnt vmcnt(34)
	v_wmma_f32_16x16x16_bf16 v[129:136], v[25:32], v[143:150], v[129:136]
	s_clause 0x3
	global_load_b128 v[25:28], v[199:200], off
	global_load_b128 v[29:32], v[199:200], off offset:16
	global_load_b128 v[33:36], v[159:160], off
	global_load_b128 v[37:40], v[159:160], off offset:16
	v_and_b32_e32 v143, 0xe0, v0
	v_mbcnt_lo_u32_b32 v159, -1, 0
	s_waitcnt vmcnt(36) lgkmcnt(0)
	v_wmma_f32_16x16x16_bf16 v[191:198], v[9:16], v[151:158], v[191:198]
	s_clause 0x1
	global_load_b128 v[9:12], v[161:162], off
	global_load_b128 v[13:16], v[161:162], off offset:16
	s_waitcnt vmcnt(36)
	v_wmma_f32_16x16x16_bf16 v[129:136], v[167:174], v[151:158], v[129:136]
	v_add_nc_u32_e32 v160, s29, v143
	ds_load_b128 v[143:146], v215 offset:14336
	ds_load_b128 v[147:150], v215 offset:15360
	v_xor_b32_e32 v151, 16, v159
	s_waitcnt vmcnt(0) lgkmcnt(0)
	s_barrier
	v_or_b32_e32 v152, v160, v138
	buffer_gl0_inv
	v_cmp_gt_i32_e32 vcc_lo, 32, v151
	v_or_b32_e32 v153, 2, v152
	v_or_b32_e32 v154, 4, v152
	;; [unrolled: 1-line block ×5, first 2 shown]
	v_cmp_gt_i32_e64 s2, s28, v153
	v_cmp_gt_i32_e64 s3, s28, v154
	v_cmp_gt_i32_e64 s4, s28, v155
	v_or_b32_e32 v158, 12, v152
	v_cmp_gt_i32_e64 s5, s28, v156
	v_cmp_gt_i32_e64 s6, s28, v157
	v_wmma_f32_16x16x16_bf16 v[191:198], v[175:182], v[143:150], v[191:198]
	v_wmma_f32_16x16x16_bf16 v[129:136], v[183:190], v[143:150], v[129:136]
	v_cndmask_b32_e32 v151, v159, v151, vcc_lo
	v_cmp_gt_i32_e32 vcc_lo, s28, v152
	v_or_b32_e32 v159, 14, v152
	v_dual_mul_f32 v149, s33, v192 :: v_dual_mul_f32 v150, s33, v191
	v_dual_mul_f32 v147, s33, v194 :: v_dual_mul_f32 v148, s33, v193
	;; [unrolled: 1-line block ×3, first 2 shown]
	s_delay_alu instid0(VALU_DEP_3) | instskip(NEXT) | instid1(VALU_DEP_4)
	v_cndmask_b32_e32 v150, 0xff7fffff, v150, vcc_lo
	v_cndmask_b32_e64 v149, 0xff7fffff, v149, s2
	v_mul_f32_e32 v146, s33, v195
	v_cndmask_b32_e64 v148, 0xff7fffff, v148, s3
	v_cndmask_b32_e64 v147, 0xff7fffff, v147, s4
	v_or_b32_e32 v160, 16, v152
	v_max3_f32 v149, v150, 0xff7fffff, v149
	v_or_b32_e32 v161, 18, v152
	v_dual_mul_f32 v143, s33, v198 :: v_dual_mul_f32 v144, s33, v197
	v_cndmask_b32_e64 v146, 0xff7fffff, v146, s5
	v_cndmask_b32_e64 v145, 0xff7fffff, v145, s6
	v_max3_f32 v147, v149, v148, v147
	v_cmp_gt_i32_e64 s7, s28, v158
	v_cmp_gt_i32_e64 s8, s28, v159
	v_or_b32_e32 v162, 20, v152
	v_or_b32_e32 v163, 22, v152
	v_mul_f32_e32 v175, s33, v129
	v_cndmask_b32_e64 v144, 0xff7fffff, v144, s7
	v_cndmask_b32_e64 v143, 0xff7fffff, v143, s8
	v_max3_f32 v145, v147, v146, v145
	v_cmp_gt_i32_e64 s9, s28, v160
	v_cmp_gt_i32_e64 s10, s28, v161
	v_or_b32_e32 v164, 24, v152
	v_or_b32_e32 v165, 26, v152
	v_dual_mul_f32 v172, s33, v132 :: v_dual_mul_f32 v173, s33, v131
	v_cndmask_b32_e64 v146, 0xff7fffff, v175, s9
	v_cndmask_b32_e64 v147, 0xff7fffff, v174, s10
	v_max3_f32 v143, v145, v144, v143
	v_cmp_gt_i32_e64 s11, s28, v162
	v_cmp_gt_i32_e64 s12, s28, v163
	v_or_b32_e32 v166, 28, v152
	v_or_b32_e32 v167, 30, v152
	v_dual_mul_f32 v170, s33, v134 :: v_dual_mul_f32 v171, s33, v133
	v_cndmask_b32_e64 v144, 0xff7fffff, v173, s11
	v_cndmask_b32_e64 v145, 0xff7fffff, v172, s12
	v_max3_f32 v143, v143, v146, v147
	v_cmp_gt_i32_e64 s13, s28, v164
	v_cmp_gt_i32_e64 s15, s28, v165
	v_dual_mul_f32 v168, s33, v136 :: v_dual_mul_f32 v169, s33, v135
	s_delay_alu instid0(VALU_DEP_4) | instskip(NEXT) | instid1(VALU_DEP_4)
	v_max3_f32 v143, v143, v144, v145
	v_cndmask_b32_e64 v146, 0xff7fffff, v171, s13
	s_delay_alu instid0(VALU_DEP_4) | instskip(SKIP_3) | instid1(VALU_DEP_4)
	v_cndmask_b32_e64 v147, 0xff7fffff, v170, s15
	v_cmp_gt_i32_e64 s16, s28, v166
	v_cmp_gt_i32_e64 s17, s28, v167
	v_lshlrev_b32_e32 v154, 2, v151
	v_max3_f32 v143, v143, v146, v147
	s_delay_alu instid0(VALU_DEP_4) | instskip(NEXT) | instid1(VALU_DEP_4)
	v_cndmask_b32_e64 v144, 0xff7fffff, v169, s16
	v_cndmask_b32_e64 v145, 0xff7fffff, v168, s17
	s_delay_alu instid0(VALU_DEP_1) | instskip(SKIP_3) | instid1(VALU_DEP_1)
	v_max3_f32 v143, v143, v144, v145
	ds_bpermute_b32 v144, v154, v143
	s_waitcnt lgkmcnt(0)
	v_max_f32_e32 v144, v144, v144
	v_max_f32_e32 v153, v143, v144
	s_delay_alu instid0(VALU_DEP_1) | instskip(SKIP_4) | instid1(VALU_DEP_4)
	v_fma_f32 v143, s33, v191, -v153
	v_fma_f32 v144, s33, v192, -v153
	;; [unrolled: 1-line block ×5, first 2 shown]
	v_dual_mul_f32 v143, 0x3fb8aa3b, v143 :: v_dual_mul_f32 v144, 0x3fb8aa3b, v144
	s_delay_alu instid0(VALU_DEP_4) | instskip(SKIP_2) | instid1(VALU_DEP_4)
	v_mul_f32_e32 v130, 0x3fb8aa3b, v130
	v_fma_f32 v132, s33, v132, -v153
	v_mul_f32_e32 v145, 0x3fb8aa3b, v145
	v_exp_f32_e32 v143, v143
	v_exp_f32_e32 v147, v144
	v_fma_f32 v148, s33, v195, -v153
	v_mul_f32_e32 v132, 0x3fb8aa3b, v132
	v_mul_f32_e32 v146, 0x3fb8aa3b, v146
	v_exp_f32_e32 v145, v145
	v_fma_f32 v151, s33, v197, -v153
	v_mul_f32_e32 v148, 0x3fb8aa3b, v148
	v_fma_f32 v134, s33, v134, -v153
	v_exp_f32_e32 v149, v146
	v_cndmask_b32_e32 v144, 0, v143, vcc_lo
	v_fma_f32 v143, s33, v196, -v153
	v_cndmask_b32_e64 v146, 0, v147, s2
	v_exp_f32_e32 v148, v148
	s_delay_alu instid0(VALU_DEP_3) | instskip(NEXT) | instid1(VALU_DEP_3)
	v_dual_mul_f32 v151, 0x3fb8aa3b, v151 :: v_dual_add_f32 v150, 0, v144
	v_dual_mul_f32 v143, 0x3fb8aa3b, v143 :: v_dual_mul_f32 v134, 0x3fb8aa3b, v134
	v_cndmask_b32_e64 v147, 0, v145, s3
	s_delay_alu instid0(TRANS32_DEP_2) | instskip(NEXT) | instid1(VALU_DEP_4)
	v_cndmask_b32_e64 v149, 0, v149, s4
	v_add_f32_e32 v145, v150, v146
	v_fma_f32 v150, s33, v198, -v153
	v_exp_f32_e32 v143, v143
	v_fma_f32 v129, s33, v129, -v153
	v_exp_f32_e32 v155, v151
	s_delay_alu instid0(VALU_DEP_2) | instskip(SKIP_1) | instid1(VALU_DEP_3)
	v_dual_add_f32 v145, v145, v147 :: v_dual_mul_f32 v152, 0x3fb8aa3b, v150
	v_cndmask_b32_e64 v150, 0, v148, s5
	v_mul_f32_e32 v129, 0x3fb8aa3b, v129
	v_fma_f32 v131, s33, v131, -v153
	s_delay_alu instid0(VALU_DEP_4) | instskip(SKIP_1) | instid1(TRANS32_DEP_3)
	v_add_f32_e32 v145, v145, v149
	v_exp_f32_e32 v152, v152
	v_cndmask_b32_e64 v151, 0, v143, s6
	v_exp_f32_e32 v129, v129
	s_delay_alu instid0(TRANS32_DEP_3)
	v_cndmask_b32_e64 v148, 0, v155, s7
	v_add_f32_e32 v143, v145, v150
	v_mul_f32_e32 v131, 0x3fb8aa3b, v131
	v_exp_f32_e32 v130, v130
	v_fma_f32 v133, s33, v133, -v153
	v_fma_f32 v136, s33, v136, -v153
	v_add_f32_e32 v143, v143, v151
	v_cndmask_b32_e64 v152, 0, v152, s8
	v_exp_f32_e32 v145, v131
	v_cndmask_b32_e64 v131, 0, v129, s9
	v_mul_f32_e32 v133, 0x3fb8aa3b, v133
	v_add_f32_e32 v143, v143, v148
	v_cmp_gt_u32_e64 s2, 16, v142
	s_delay_alu instid0(VALU_DEP_2)
	v_add_f32_e32 v129, v143, v152
	v_exp_f32_e32 v143, v132
	v_cndmask_b32_e64 v132, 0, v130, s10
	v_fma_f32 v130, s33, v135, -v153
	v_exp_f32_e32 v135, v133
	v_add_f32_e32 v129, v129, v131
	v_cndmask_b32_e64 v133, 0, v145, s11
	v_exp_f32_e32 v145, v134
	s_delay_alu instid0(VALU_DEP_2) | instskip(NEXT) | instid1(TRANS32_DEP_3)
	v_dual_mul_f32 v130, 0x3fb8aa3b, v130 :: v_dual_add_f32 v129, v129, v132
	v_cndmask_b32_e64 v134, 0, v143, s12
	v_mul_f32_e32 v143, 0x3fb8aa3b, v136
	s_delay_alu instid0(VALU_DEP_3) | instskip(NEXT) | instid1(TRANS32_DEP_3)
	v_exp_f32_e32 v130, v130
	v_cndmask_b32_e64 v135, 0, v135, s13
	v_add_f32_e32 v129, v129, v133
	s_delay_alu instid0(TRANS32_DEP_2) | instskip(SKIP_1) | instid1(VALU_DEP_2)
	v_cndmask_b32_e64 v136, 0, v145, s15
	v_exp_f32_e32 v145, v143
	v_add_f32_e32 v129, v129, v134
	s_waitcnt_depctr 0xfff
	v_cndmask_b32_e64 v143, 0, v130, s16
	v_add_f32_e32 v129, v129, v135
	v_cndmask_b32_e64 v145, 0, v145, s17
	s_delay_alu instid0(VALU_DEP_2) | instskip(NEXT) | instid1(VALU_DEP_1)
	v_add_f32_e32 v129, v129, v136
	v_add_f32_e32 v129, v129, v143
	s_delay_alu instid0(VALU_DEP_1)
	v_add_f32_e32 v129, v129, v145
	ds_bpermute_b32 v130, v154, v129
	s_and_saveexec_b32 s3, s2
	s_cbranch_execz .LBB620_12
; %bb.11:
	v_mul_u32_u24_e32 v142, 0x44, v141
	s_waitcnt lgkmcnt(0)
	v_add_f32_e32 v129, v129, v130
	s_delay_alu instid0(VALU_DEP_2) | instskip(NEXT) | instid1(VALU_DEP_1)
	v_lshl_add_u32 v142, v140, 2, v142
	v_add_nc_u32_e32 v130, 0x4000, v142
	ds_store_2addr_b32 v130, v153, v129 offset1:136
.LBB620_12:
	s_or_b32 exec_lo, exec_lo, s3
	v_lshlrev_b32_e32 v129, 2, v140
	s_waitcnt lgkmcnt(0)
	s_barrier
	buffer_gl0_inv
	v_cmp_eq_u32_e64 s3, 1, v141
	v_add_nc_u32_e32 v142, 0x4000, v129
	ds_load_2addr_b32 v[153:154], v142 offset1:17
	ds_load_2addr_b32 v[155:156], v142 offset0:34 offset1:51
	ds_load_2addr_b32 v[157:158], v142 offset0:68 offset1:85
	;; [unrolled: 1-line block ×4, first 2 shown]
	s_waitcnt lgkmcnt(4)
	v_max3_f32 v129, v153, 0xff7fffff, v154
	s_waitcnt lgkmcnt(3)
	s_delay_alu instid0(VALU_DEP_1) | instskip(SKIP_1) | instid1(VALU_DEP_1)
	v_max3_f32 v129, v129, v155, v156
	s_waitcnt lgkmcnt(2)
	v_max3_f32 v129, v129, v157, v158
	s_waitcnt lgkmcnt(1)
	s_delay_alu instid0(VALU_DEP_1) | instskip(NEXT) | instid1(VALU_DEP_1)
	v_max3_f32 v129, v129, v159, v160
	v_sub_f32_e32 v163, v154, v129
	v_sub_f32_e32 v130, v153, v129
	ds_load_2addr_b32 v[153:154], v142 offset0:170 offset1:187
	v_sub_f32_e32 v155, v155, v129
	v_dual_mul_f32 v163, 0x3fb8aa3b, v163 :: v_dual_mul_f32 v130, 0x3fb8aa3b, v130
	s_delay_alu instid0(VALU_DEP_2) | instskip(NEXT) | instid1(VALU_DEP_2)
	v_mul_f32_e32 v165, 0x3fb8aa3b, v155
	v_exp_f32_e32 v163, v163
	s_delay_alu instid0(VALU_DEP_2)
	v_exp_f32_e32 v164, v130
	v_sub_f32_e32 v130, v156, v129
	ds_load_2addr_b32 v[155:156], v142 offset0:204 offset1:221
	v_exp_f32_e32 v165, v165
	v_mul_f32_e32 v166, 0x3fb8aa3b, v130
	s_waitcnt lgkmcnt(2)
	v_fma_f32 v130, v164, v161, 0
	v_sub_f32_e32 v157, v157, v129
	s_delay_alu instid0(VALU_DEP_3) | instskip(NEXT) | instid1(VALU_DEP_2)
	v_exp_f32_e32 v166, v166
	v_dual_sub_f32 v161, v158, v129 :: v_dual_fmac_f32 v130, v163, v162
	s_waitcnt lgkmcnt(1)
	s_waitcnt_depctr 0xfff
	v_fmac_f32_e32 v130, v165, v153
	v_mul_f32_e32 v167, 0x3fb8aa3b, v157
	ds_load_2addr_b32 v[157:158], v142 offset0:238 offset1:255
	v_sub_f32_e32 v142, v159, v129
	v_dual_sub_f32 v153, v160, v129 :: v_dual_fmac_f32 v130, v166, v154
	v_mul_f32_e32 v159, 0x3fb8aa3b, v161
	v_exp_f32_e32 v161, v167
	s_delay_alu instid0(VALU_DEP_2)
	v_dual_mul_f32 v142, 0x3fb8aa3b, v142 :: v_dual_mul_f32 v153, 0x3fb8aa3b, v153
	s_waitcnt lgkmcnt(0)
	s_barrier
	buffer_gl0_inv
	v_exp_f32_e32 v142, v142
	v_exp_f32_e32 v153, v153
	v_fmac_f32_e32 v130, v161, v155
	v_exp_f32_e32 v159, v159
	s_waitcnt_depctr 0xfff
	v_fmac_f32_e32 v130, v159, v156
	s_delay_alu instid0(VALU_DEP_1) | instskip(NEXT) | instid1(VALU_DEP_1)
	v_fmac_f32_e32 v130, v142, v157
	v_fmac_f32_e32 v130, v153, v158
	s_delay_alu instid0(VALU_DEP_1) | instskip(NEXT) | instid1(VALU_DEP_1)
	v_add_f32_e32 v154, 0x358637bd, v130
	v_div_scale_f32 v155, null, v154, v154, 1.0
	v_div_scale_f32 v158, vcc_lo, 1.0, v154, 1.0
	s_delay_alu instid0(VALU_DEP_2) | instskip(SKIP_2) | instid1(VALU_DEP_1)
	v_rcp_f32_e32 v156, v155
	s_waitcnt_depctr 0xfff
	v_fma_f32 v157, -v155, v156, 1.0
	v_fmac_f32_e32 v156, v157, v156
	v_cndmask_b32_e64 v157, v164, v163, s3
	v_cmp_eq_u32_e64 s3, 2, v141
	s_delay_alu instid0(VALU_DEP_3) | instskip(NEXT) | instid1(VALU_DEP_2)
	v_mul_f32_e32 v160, v158, v156
	v_cndmask_b32_e64 v157, v157, v165, s3
	v_cmp_eq_u32_e64 s3, 3, v141
	s_delay_alu instid0(VALU_DEP_3) | instskip(NEXT) | instid1(VALU_DEP_2)
	v_fma_f32 v162, -v155, v160, v158
	v_cndmask_b32_e64 v157, v157, v166, s3
	v_cmp_eq_u32_e64 s3, 4, v141
	s_delay_alu instid0(VALU_DEP_3) | instskip(NEXT) | instid1(VALU_DEP_2)
	v_fmac_f32_e32 v160, v162, v156
	v_cndmask_b32_e64 v157, v157, v161, s3
	s_delay_alu instid0(VALU_DEP_2) | instskip(SKIP_1) | instid1(VALU_DEP_2)
	v_fma_f32 v155, -v155, v160, v158
	v_cmp_eq_u32_e64 s3, 5, v141
	v_div_fmas_f32 v155, v155, v156, v160
	s_delay_alu instid0(VALU_DEP_2) | instskip(SKIP_2) | instid1(VALU_DEP_3)
	v_cndmask_b32_e64 v157, v157, v159, s3
	v_cmp_eq_u32_e32 vcc_lo, 6, v141
	s_mov_b32 s3, exec_lo
	v_div_fixup_f32 v154, v155, v154, 1.0
	s_delay_alu instid0(VALU_DEP_3) | instskip(SKIP_1) | instid1(VALU_DEP_2)
	v_cndmask_b32_e32 v142, v157, v142, vcc_lo
	v_cmp_eq_u32_e32 vcc_lo, 7, v141
	v_cndmask_b32_e32 v142, v142, v153, vcc_lo
	s_delay_alu instid0(VALU_DEP_1) | instskip(NEXT) | instid1(VALU_DEP_1)
	v_mul_f32_e32 v142, v142, v154
	v_mul_f32_e32 v153, v142, v149
	;; [unrolled: 1-line block ×7, first 2 shown]
	v_dual_mul_f32 v150, v142, v147 :: v_dual_and_b32 v155, 0x7f800000, v154
	v_mul_f32_e32 v149, v142, v146
                                        ; implicit-def: $vgpr146
	s_delay_alu instid0(VALU_DEP_2)
	v_cmpx_ne_u32_e32 0x7f800000, v155
	s_xor_b32 s3, exec_lo, s3
; %bb.13:
	v_bfe_u32 v146, v154, 16, 1
	s_delay_alu instid0(VALU_DEP_1)
	v_add3_u32 v146, v154, v146, 0x7fff
                                        ; implicit-def: $vgpr154
; %bb.14:
	s_and_not1_saveexec_b32 s3, s3
; %bb.15:
	v_and_b32_e32 v146, 0xffff, v154
	v_or_b32_e32 v147, 0x10000, v154
	s_delay_alu instid0(VALU_DEP_2) | instskip(NEXT) | instid1(VALU_DEP_2)
	v_cmp_eq_u32_e32 vcc_lo, 0, v146
	v_cndmask_b32_e32 v146, v147, v154, vcc_lo
; %bb.16:
	s_or_b32 exec_lo, exec_lo, s3
	v_and_b32_e32 v147, 0x7f800000, v149
	s_delay_alu instid0(VALU_DEP_1) | instskip(SKIP_1) | instid1(SALU_CYCLE_1)
	v_cmp_ne_u32_e32 vcc_lo, 0x7f800000, v147
                                        ; implicit-def: $vgpr147
	s_and_saveexec_b32 s3, vcc_lo
	s_xor_b32 s3, exec_lo, s3
; %bb.17:
	v_bfe_u32 v147, v149, 16, 1
	s_delay_alu instid0(VALU_DEP_1)
	v_add3_u32 v147, v149, v147, 0x7fff
                                        ; implicit-def: $vgpr149
; %bb.18:
	s_and_not1_saveexec_b32 s3, s3
; %bb.19:
	v_and_b32_e32 v147, 0xffff, v149
	v_or_b32_e32 v154, 0x10000, v149
	s_delay_alu instid0(VALU_DEP_2) | instskip(NEXT) | instid1(VALU_DEP_2)
	v_cmp_eq_u32_e32 vcc_lo, 0, v147
	v_cndmask_b32_e32 v147, v154, v149, vcc_lo
; %bb.20:
	s_or_b32 exec_lo, exec_lo, s3
	v_and_b32_e32 v149, 0x7f800000, v150
	s_delay_alu instid0(VALU_DEP_1) | instskip(SKIP_1) | instid1(SALU_CYCLE_1)
	v_cmp_ne_u32_e32 vcc_lo, 0x7f800000, v149
                                        ; implicit-def: $vgpr149
	s_and_saveexec_b32 s3, vcc_lo
	s_xor_b32 s3, exec_lo, s3
; %bb.21:
	v_bfe_u32 v149, v150, 16, 1
	s_delay_alu instid0(VALU_DEP_1)
	v_add3_u32 v149, v150, v149, 0x7fff
                                        ; implicit-def: $vgpr150
; %bb.22:
	s_and_not1_saveexec_b32 s3, s3
; %bb.23:
	v_and_b32_e32 v149, 0xffff, v150
	v_or_b32_e32 v154, 0x10000, v150
	s_delay_alu instid0(VALU_DEP_2) | instskip(NEXT) | instid1(VALU_DEP_2)
	v_cmp_eq_u32_e32 vcc_lo, 0, v149
	v_cndmask_b32_e32 v149, v154, v150, vcc_lo
; %bb.24:
	s_or_b32 exec_lo, exec_lo, s3
	v_and_b32_e32 v150, 0x7f800000, v153
	s_delay_alu instid0(VALU_DEP_1) | instskip(SKIP_1) | instid1(SALU_CYCLE_1)
	v_cmp_ne_u32_e32 vcc_lo, 0x7f800000, v150
                                        ; implicit-def: $vgpr150
	s_and_saveexec_b32 s3, vcc_lo
	s_xor_b32 s3, exec_lo, s3
; %bb.25:
	v_bfe_u32 v150, v153, 16, 1
	s_delay_alu instid0(VALU_DEP_1)
	v_add3_u32 v150, v153, v150, 0x7fff
                                        ; implicit-def: $vgpr153
; %bb.26:
	s_and_not1_saveexec_b32 s3, s3
; %bb.27:
	v_and_b32_e32 v150, 0xffff, v153
	v_or_b32_e32 v154, 0x10000, v153
	s_delay_alu instid0(VALU_DEP_2) | instskip(NEXT) | instid1(VALU_DEP_2)
	v_cmp_eq_u32_e32 vcc_lo, 0, v150
	v_cndmask_b32_e32 v150, v154, v153, vcc_lo
; %bb.28:
	s_or_b32 exec_lo, exec_lo, s3
	v_and_b32_e32 v153, 0x7f800000, v152
	s_delay_alu instid0(VALU_DEP_1) | instskip(SKIP_1) | instid1(SALU_CYCLE_1)
	v_cmp_ne_u32_e32 vcc_lo, 0x7f800000, v153
                                        ; implicit-def: $vgpr153
	s_and_saveexec_b32 s3, vcc_lo
	s_xor_b32 s3, exec_lo, s3
; %bb.29:
	v_bfe_u32 v153, v152, 16, 1
	s_delay_alu instid0(VALU_DEP_1)
	v_add3_u32 v153, v152, v153, 0x7fff
                                        ; implicit-def: $vgpr152
; %bb.30:
	s_and_not1_saveexec_b32 s3, s3
; %bb.31:
	v_and_b32_e32 v153, 0xffff, v152
	v_or_b32_e32 v154, 0x10000, v152
	s_delay_alu instid0(VALU_DEP_2) | instskip(NEXT) | instid1(VALU_DEP_2)
	v_cmp_eq_u32_e32 vcc_lo, 0, v153
	v_cndmask_b32_e32 v153, v154, v152, vcc_lo
; %bb.32:
	s_or_b32 exec_lo, exec_lo, s3
	v_and_b32_e32 v152, 0x7f800000, v151
	s_delay_alu instid0(VALU_DEP_1) | instskip(SKIP_1) | instid1(SALU_CYCLE_1)
	v_cmp_ne_u32_e32 vcc_lo, 0x7f800000, v152
                                        ; implicit-def: $vgpr152
	s_and_saveexec_b32 s3, vcc_lo
	s_xor_b32 s3, exec_lo, s3
; %bb.33:
	v_bfe_u32 v152, v151, 16, 1
	s_delay_alu instid0(VALU_DEP_1)
	v_add3_u32 v152, v151, v152, 0x7fff
                                        ; implicit-def: $vgpr151
; %bb.34:
	s_and_not1_saveexec_b32 s3, s3
; %bb.35:
	v_and_b32_e32 v152, 0xffff, v151
	v_or_b32_e32 v154, 0x10000, v151
	s_delay_alu instid0(VALU_DEP_2) | instskip(NEXT) | instid1(VALU_DEP_2)
	v_cmp_eq_u32_e32 vcc_lo, 0, v152
	v_cndmask_b32_e32 v152, v154, v151, vcc_lo
; %bb.36:
	s_or_b32 exec_lo, exec_lo, s3
	v_and_b32_e32 v151, 0x7f800000, v148
	s_delay_alu instid0(VALU_DEP_1) | instskip(SKIP_1) | instid1(SALU_CYCLE_1)
	v_cmp_ne_u32_e32 vcc_lo, 0x7f800000, v151
                                        ; implicit-def: $vgpr151
	s_and_saveexec_b32 s3, vcc_lo
	s_xor_b32 s3, exec_lo, s3
; %bb.37:
	v_bfe_u32 v151, v148, 16, 1
	s_delay_alu instid0(VALU_DEP_1)
	v_add3_u32 v151, v148, v151, 0x7fff
                                        ; implicit-def: $vgpr148
; %bb.38:
	s_and_not1_saveexec_b32 s3, s3
; %bb.39:
	v_and_b32_e32 v151, 0xffff, v148
	v_or_b32_e32 v154, 0x10000, v148
	s_delay_alu instid0(VALU_DEP_2) | instskip(NEXT) | instid1(VALU_DEP_2)
	v_cmp_eq_u32_e32 vcc_lo, 0, v151
	v_cndmask_b32_e32 v151, v154, v148, vcc_lo
; %bb.40:
	s_or_b32 exec_lo, exec_lo, s3
	v_and_b32_e32 v148, 0x7f800000, v144
	s_delay_alu instid0(VALU_DEP_1) | instskip(SKIP_1) | instid1(SALU_CYCLE_1)
	v_cmp_ne_u32_e32 vcc_lo, 0x7f800000, v148
                                        ; implicit-def: $vgpr148
	s_and_saveexec_b32 s3, vcc_lo
	s_xor_b32 s3, exec_lo, s3
; %bb.41:
	v_bfe_u32 v148, v144, 16, 1
	s_delay_alu instid0(VALU_DEP_1)
	v_add3_u32 v148, v144, v148, 0x7fff
                                        ; implicit-def: $vgpr144
; %bb.42:
	s_and_not1_saveexec_b32 s3, s3
; %bb.43:
	v_and_b32_e32 v148, 0xffff, v144
	v_or_b32_e32 v154, 0x10000, v144
	s_delay_alu instid0(VALU_DEP_2) | instskip(NEXT) | instid1(VALU_DEP_2)
	v_cmp_eq_u32_e32 vcc_lo, 0, v148
	v_cndmask_b32_e32 v148, v154, v144, vcc_lo
; %bb.44:
	s_or_b32 exec_lo, exec_lo, s3
	s_load_b64 s[34:35], s[0:1], 0x94
	v_lshlrev_b32_e32 v155, 4, v138
	s_delay_alu instid0(VALU_DEP_2)
	v_perm_b32 v154, v148, v151, 0x7060302
	v_mul_f32_e32 v148, v142, v131
	v_dual_mul_f32 v145, v142, v145 :: v_dual_lshlrev_b32 v144, 6, v140
	v_dual_mul_f32 v143, v142, v143 :: v_dual_lshlrev_b32 v156, 11, v141
	v_perm_b32 v153, v152, v153, 0x7060302
	v_perm_b32 v152, v150, v149, 0x7060302
	;; [unrolled: 1-line block ×3, first 2 shown]
	s_delay_alu instid0(VALU_DEP_4)
	v_or3_b32 v131, v155, v156, v144
	v_mul_f32_e32 v136, v142, v136
	v_dual_mul_f32 v146, v142, v134 :: v_dual_and_b32 v149, 0x7f800000, v148
	v_mul_f32_e32 v135, v142, v135
	v_mul_f32_e32 v147, v142, v133
	;; [unrolled: 1-line block ×3, first 2 shown]
	s_mov_b32 s3, exec_lo
	ds_store_b128 v131, v[151:154]
                                        ; implicit-def: $vgpr132
	v_cmpx_ne_u32_e32 0x7f800000, v149
	s_xor_b32 s3, exec_lo, s3
; %bb.45:
	v_bfe_u32 v132, v148, 16, 1
	s_delay_alu instid0(VALU_DEP_1)
	v_add3_u32 v132, v148, v132, 0x7fff
                                        ; implicit-def: $vgpr148
; %bb.46:
	s_and_not1_saveexec_b32 s3, s3
; %bb.47:
	v_and_b32_e32 v132, 0xffff, v148
	v_or_b32_e32 v133, 0x10000, v148
	s_delay_alu instid0(VALU_DEP_2) | instskip(NEXT) | instid1(VALU_DEP_2)
	v_cmp_eq_u32_e32 vcc_lo, 0, v132
	v_cndmask_b32_e32 v132, v133, v148, vcc_lo
; %bb.48:
	s_or_b32 exec_lo, exec_lo, s3
	v_and_b32_e32 v133, 0x7f800000, v134
	s_delay_alu instid0(VALU_DEP_1) | instskip(SKIP_1) | instid1(SALU_CYCLE_1)
	v_cmp_ne_u32_e32 vcc_lo, 0x7f800000, v133
                                        ; implicit-def: $vgpr133
	s_and_saveexec_b32 s3, vcc_lo
	s_xor_b32 s3, exec_lo, s3
; %bb.49:
	v_bfe_u32 v133, v134, 16, 1
	s_delay_alu instid0(VALU_DEP_1)
	v_add3_u32 v133, v134, v133, 0x7fff
                                        ; implicit-def: $vgpr134
; %bb.50:
	s_and_not1_saveexec_b32 s3, s3
; %bb.51:
	v_and_b32_e32 v133, 0xffff, v134
	v_or_b32_e32 v142, 0x10000, v134
	s_delay_alu instid0(VALU_DEP_2) | instskip(NEXT) | instid1(VALU_DEP_2)
	v_cmp_eq_u32_e32 vcc_lo, 0, v133
	v_cndmask_b32_e32 v133, v142, v134, vcc_lo
; %bb.52:
	s_or_b32 exec_lo, exec_lo, s3
	v_and_b32_e32 v134, 0x7f800000, v147
	s_delay_alu instid0(VALU_DEP_1) | instskip(SKIP_1) | instid1(SALU_CYCLE_1)
	v_cmp_ne_u32_e32 vcc_lo, 0x7f800000, v134
                                        ; implicit-def: $vgpr134
	s_and_saveexec_b32 s3, vcc_lo
	s_xor_b32 s3, exec_lo, s3
; %bb.53:
	v_bfe_u32 v134, v147, 16, 1
	s_delay_alu instid0(VALU_DEP_1)
	v_add3_u32 v134, v147, v134, 0x7fff
                                        ; implicit-def: $vgpr147
; %bb.54:
	s_and_not1_saveexec_b32 s3, s3
; %bb.55:
	v_and_b32_e32 v134, 0xffff, v147
	v_or_b32_e32 v142, 0x10000, v147
	s_delay_alu instid0(VALU_DEP_2) | instskip(NEXT) | instid1(VALU_DEP_2)
	v_cmp_eq_u32_e32 vcc_lo, 0, v134
	v_cndmask_b32_e32 v134, v142, v147, vcc_lo
; %bb.56:
	s_or_b32 exec_lo, exec_lo, s3
	v_and_b32_e32 v142, 0x7f800000, v146
	s_delay_alu instid0(VALU_DEP_1) | instskip(SKIP_1) | instid1(SALU_CYCLE_1)
	v_cmp_ne_u32_e32 vcc_lo, 0x7f800000, v142
                                        ; implicit-def: $vgpr142
	s_and_saveexec_b32 s3, vcc_lo
	s_xor_b32 s3, exec_lo, s3
; %bb.57:
	v_bfe_u32 v142, v146, 16, 1
	s_delay_alu instid0(VALU_DEP_1)
	v_add3_u32 v142, v146, v142, 0x7fff
                                        ; implicit-def: $vgpr146
; %bb.58:
	s_and_not1_saveexec_b32 s3, s3
; %bb.59:
	v_and_b32_e32 v142, 0xffff, v146
	v_or_b32_e32 v147, 0x10000, v146
	s_delay_alu instid0(VALU_DEP_2) | instskip(NEXT) | instid1(VALU_DEP_2)
	v_cmp_eq_u32_e32 vcc_lo, 0, v142
	v_cndmask_b32_e32 v142, v147, v146, vcc_lo
; %bb.60:
	s_or_b32 exec_lo, exec_lo, s3
	v_and_b32_e32 v146, 0x7f800000, v135
	s_delay_alu instid0(VALU_DEP_1) | instskip(SKIP_1) | instid1(SALU_CYCLE_1)
	v_cmp_ne_u32_e32 vcc_lo, 0x7f800000, v146
                                        ; implicit-def: $vgpr146
	s_and_saveexec_b32 s3, vcc_lo
	s_xor_b32 s3, exec_lo, s3
; %bb.61:
	v_bfe_u32 v146, v135, 16, 1
	s_delay_alu instid0(VALU_DEP_1)
	v_add3_u32 v146, v135, v146, 0x7fff
                                        ; implicit-def: $vgpr135
; %bb.62:
	s_and_not1_saveexec_b32 s3, s3
; %bb.63:
	v_and_b32_e32 v146, 0xffff, v135
	v_or_b32_e32 v147, 0x10000, v135
	s_delay_alu instid0(VALU_DEP_2) | instskip(NEXT) | instid1(VALU_DEP_2)
	v_cmp_eq_u32_e32 vcc_lo, 0, v146
	v_cndmask_b32_e32 v146, v147, v135, vcc_lo
; %bb.64:
	s_or_b32 exec_lo, exec_lo, s3
	v_and_b32_e32 v135, 0x7f800000, v136
	s_delay_alu instid0(VALU_DEP_1) | instskip(SKIP_1) | instid1(SALU_CYCLE_1)
	v_cmp_ne_u32_e32 vcc_lo, 0x7f800000, v135
                                        ; implicit-def: $vgpr135
	s_and_saveexec_b32 s3, vcc_lo
	s_xor_b32 s3, exec_lo, s3
; %bb.65:
	v_bfe_u32 v135, v136, 16, 1
	s_delay_alu instid0(VALU_DEP_1)
	v_add3_u32 v135, v136, v135, 0x7fff
                                        ; implicit-def: $vgpr136
; %bb.66:
	s_and_not1_saveexec_b32 s3, s3
; %bb.67:
	v_and_b32_e32 v135, 0xffff, v136
	v_or_b32_e32 v147, 0x10000, v136
	s_delay_alu instid0(VALU_DEP_2) | instskip(NEXT) | instid1(VALU_DEP_2)
	v_cmp_eq_u32_e32 vcc_lo, 0, v135
	v_cndmask_b32_e32 v135, v147, v136, vcc_lo
; %bb.68:
	s_or_b32 exec_lo, exec_lo, s3
	v_and_b32_e32 v136, 0x7f800000, v143
	s_delay_alu instid0(VALU_DEP_1) | instskip(SKIP_1) | instid1(SALU_CYCLE_1)
	v_cmp_ne_u32_e32 vcc_lo, 0x7f800000, v136
                                        ; implicit-def: $vgpr136
	s_and_saveexec_b32 s3, vcc_lo
	s_xor_b32 s3, exec_lo, s3
; %bb.69:
	v_bfe_u32 v136, v143, 16, 1
	s_delay_alu instid0(VALU_DEP_1)
	v_add3_u32 v136, v143, v136, 0x7fff
                                        ; implicit-def: $vgpr143
; %bb.70:
	s_and_not1_saveexec_b32 s3, s3
; %bb.71:
	v_and_b32_e32 v136, 0xffff, v143
	v_or_b32_e32 v147, 0x10000, v143
	s_delay_alu instid0(VALU_DEP_2) | instskip(NEXT) | instid1(VALU_DEP_2)
	v_cmp_eq_u32_e32 vcc_lo, 0, v136
	v_cndmask_b32_e32 v136, v147, v143, vcc_lo
; %bb.72:
	s_or_b32 exec_lo, exec_lo, s3
	v_and_b32_e32 v143, 0x7f800000, v145
	s_delay_alu instid0(VALU_DEP_1) | instskip(SKIP_1) | instid1(SALU_CYCLE_1)
	v_cmp_ne_u32_e32 vcc_lo, 0x7f800000, v143
                                        ; implicit-def: $vgpr143
	s_and_saveexec_b32 s3, vcc_lo
	s_xor_b32 s3, exec_lo, s3
; %bb.73:
	v_bfe_u32 v143, v145, 16, 1
	s_delay_alu instid0(VALU_DEP_1)
	v_add3_u32 v143, v145, v143, 0x7fff
                                        ; implicit-def: $vgpr145
; %bb.74:
	s_and_not1_saveexec_b32 s3, s3
; %bb.75:
	v_and_b32_e32 v143, 0xffff, v145
	v_or_b32_e32 v147, 0x10000, v145
	s_delay_alu instid0(VALU_DEP_2) | instskip(NEXT) | instid1(VALU_DEP_2)
	v_cmp_eq_u32_e32 vcc_lo, 0, v143
	v_cndmask_b32_e32 v143, v147, v145, vcc_lo
; %bb.76:
	s_or_b32 exec_lo, exec_lo, s3
	s_delay_alu instid0(VALU_DEP_1)
	v_perm_b32 v136, v143, v136, 0x7060302
	v_perm_b32 v135, v135, v146, 0x7060302
	;; [unrolled: 1-line block ×4, first 2 shown]
	v_lshl_or_b32 v145, v141, 11, v144
	v_lshlrev_b32_e32 v142, 2, v138
	ds_store_b128 v131, v[133:136] offset:1024
	s_waitcnt lgkmcnt(0)
	s_barrier
	buffer_gl0_inv
	ds_load_b128 v[132:135], v145
	ds_load_b128 v[147:150], v145 offset:16
	v_or_b32_e32 v143, 1, v142
	v_cmp_eq_u32_e64 s12, 1, v142
	v_cmp_eq_u32_e64 s11, 2, v142
	v_cmp_eq_u32_e64 s16, 3, v142
	v_or_b32_e32 v141, 2, v142
	v_cmp_eq_u32_e64 s7, 1, v143
	v_cmp_eq_u32_e64 s6, 2, v143
	;; [unrolled: 1-line block ×8, first 2 shown]
	v_cmp_eq_u32_e32 vcc_lo, 5, v143
	v_cmp_eq_u32_e64 s10, 2, v141
	v_cmp_eq_u32_e64 s4, 6, v143
	;; [unrolled: 1-line block ×4, first 2 shown]
	s_waitcnt lgkmcnt(1)
	v_lshrrev_b32_e32 v136, 16, v132
	s_waitcnt lgkmcnt(0)
	v_lshrrev_b32_e32 v155, 16, v147
	v_lshrrev_b32_e32 v161, 16, v148
	;; [unrolled: 1-line block ×4, first 2 shown]
	v_cndmask_b32_e64 v146, v132, v136, s12
	v_cndmask_b32_e64 v151, v147, v155, s12
	;; [unrolled: 1-line block ×4, first 2 shown]
	v_lshrrev_b32_e32 v160, 16, v134
	v_cndmask_b32_e64 v146, v146, v133, s11
	v_cndmask_b32_e64 v151, v151, v148, s11
	;; [unrolled: 1-line block ×8, first 2 shown]
	v_lshrrev_b32_e32 v164, 16, v150
	v_cndmask_b32_e64 v153, v153, v161, s5
	v_cndmask_b32_e64 v146, v146, v134, s17
	v_cndmask_b32_e64 v151, v151, v149, s17
	v_cndmask_b32_e64 v152, v152, v134, s3
	v_cndmask_b32_e64 v154, v154, v133, s10
	v_lshrrev_b32_e32 v162, 16, v135
	v_cndmask_b32_e64 v146, v146, v160, s13
	v_cndmask_b32_e64 v151, v151, v163, s13
	v_cndmask_b32_e32 v152, v152, v160, vcc_lo
	v_cndmask_b32_e64 v153, v153, v149, s3
	v_cmp_eq_u32_e64 s19, 7, v143
	v_cndmask_b32_e64 v146, v146, v135, s15
	v_cndmask_b32_e64 v151, v151, v150, s15
	;; [unrolled: 1-line block ×4, first 2 shown]
	v_cmp_eq_u32_e64 s20, 4, v141
	v_cndmask_b32_e64 v165, v146, v162, s9
	v_cndmask_b32_e64 v166, v151, v164, s9
	;; [unrolled: 1-line block ×3, first 2 shown]
	v_or_b32_e32 v146, 3, v142
	v_cndmask_b32_e64 v167, v152, v162, s19
	v_cndmask_b32_e32 v156, v153, v163, vcc_lo
	v_cndmask_b32_e64 v158, v154, v134, s20
	v_cndmask_b32_e64 v157, v151, v148, s10
	ds_load_b128 v[151:154], v145 offset:1024
	v_cmp_eq_u32_e64 s21, 1, v146
	v_cmp_eq_u32_e64 s22, 5, v141
	;; [unrolled: 1-line block ×3, first 2 shown]
	v_cndmask_b32_e64 v157, v157, v161, s18
	v_cmp_eq_u32_e64 s24, 3, v146
	v_cndmask_b32_e64 v132, v132, v136, s21
	v_cndmask_b32_e64 v136, v156, v150, s4
	v_cndmask_b32_e64 v168, v158, v160, s22
	v_cndmask_b32_e64 v169, v157, v149, s20
	v_cndmask_b32_e64 v147, v147, v155, s21
	ds_load_b128 v[155:158], v145 offset:1040
	v_cndmask_b32_e64 v132, v132, v133, s23
	v_cmp_eq_u32_e64 s26, 4, v146
	v_cmp_eq_u32_e64 s28, 5, v146
	v_cndmask_b32_e64 v147, v147, v148, s23
	v_cmp_eq_u32_e64 s25, 6, v141
	v_cndmask_b32_e64 v132, v132, v159, s24
	;; [unrolled: 2-line block ×3, first 2 shown]
	v_cndmask_b32_e64 v147, v147, v161, s24
	s_waitcnt lgkmcnt(1)
	v_lshrrev_b32_e32 v159, 16, v151
	v_cndmask_b32_e64 v132, v132, v134, s26
	v_cndmask_b32_e64 v148, v168, v135, s25
	;; [unrolled: 1-line block ×6, first 2 shown]
	v_lshrrev_b32_e32 v160, 16, v152
	v_cndmask_b32_e64 v161, v151, v159, s7
	v_cndmask_b32_e64 v134, v134, v163, s28
	s_waitcnt lgkmcnt(0)
	v_lshrrev_b32_e32 v149, 16, v155
	v_cndmask_b32_e64 v147, v147, v152, s11
	v_cndmask_b32_e64 v132, v132, v135, s29
	v_cmp_eq_u32_e64 s27, 7, v141
	v_cndmask_b32_e64 v134, v134, v150, s29
	v_cndmask_b32_e64 v163, v155, v149, s12
	;; [unrolled: 1-line block ×4, first 2 shown]
	v_lshrrev_b32_e32 v161, 16, v156
	v_cndmask_b32_e64 v136, v136, v164, s19
	v_cndmask_b32_e64 v150, v163, v156, s11
	v_cmp_eq_u32_e64 s11, 7, v146
	v_cndmask_b32_e64 v147, v147, v160, s5
	v_cndmask_b32_e64 v135, v135, v153, s17
	v_lshrrev_b32_e32 v163, 16, v153
	v_cndmask_b32_e64 v150, v150, v161, s16
	v_cndmask_b32_e64 v132, v132, v162, s11
	;; [unrolled: 1-line block ×8, first 2 shown]
	v_lshrrev_b32_e32 v164, 16, v157
	v_perm_b32 v135, v134, v132, 0x5040100
	v_cndmask_b32_e32 v132, v147, v163, vcc_lo
	v_cndmask_b32_e64 v147, v162, v154, s15
	v_lshrrev_b32_e32 v162, 16, v154
	v_cndmask_b32_e64 v150, v150, v164, s13
	v_perm_b32 v134, v133, v148, 0x5040100
	v_cndmask_b32_e64 v132, v132, v154, s4
	v_perm_b32 v133, v136, v167, 0x5040100
	v_cndmask_b32_e64 v136, v147, v162, s9
	v_cndmask_b32_e64 v147, v150, v158, s15
	;; [unrolled: 1-line block ×27, first 2 shown]
	v_cndmask_b32_e32 v149, v149, v164, vcc_lo
	v_lshrrev_b32_e32 v148, 16, v158
	v_cndmask_b32_e64 v132, v132, v154, s25
	v_cndmask_b32_e64 v150, v150, v154, s29
	;; [unrolled: 1-line block ×11, first 2 shown]
	v_perm_b32 v132, v166, v165, 0x5040100
	v_perm_b32 v150, v151, v150, 0x5040100
	;; [unrolled: 1-line block ×5, first 2 shown]
	s_mul_i32 s8, s35, 7
	s_mov_b32 s3, exec_lo
	ds_store_b128 v131, v[132:135]
	ds_store_b128 v131, v[147:150] offset:1024
	v_cmpx_gt_u32_e32 7, v0
	s_cbranch_execz .LBB620_78
; %bb.77:
	s_mul_i32 s4, s8, s30
	s_delay_alu instid0(SALU_CYCLE_1) | instskip(SKIP_1) | instid1(VALU_DEP_1)
	v_add3_u32 v133, s4, s31, v140
	s_load_b128 s[4:7], s[0:1], 0x58
	v_mad_u64_u32 v[131:132], null, v133, s34, s[14:15]
	s_delay_alu instid0(VALU_DEP_1) | instskip(NEXT) | instid1(VALU_DEP_1)
	v_ashrrev_i32_e32 v132, 31, v131
	v_lshlrev_b64 v[131:132], 2, v[131:132]
	s_waitcnt lgkmcnt(0)
	s_delay_alu instid0(VALU_DEP_1) | instskip(NEXT) | instid1(VALU_DEP_2)
	v_add_co_u32 v133, vcc_lo, s6, v131
	v_add_co_ci_u32_e32 v134, vcc_lo, s7, v132, vcc_lo
	v_add_co_u32 v131, vcc_lo, s4, v131
	v_add_co_ci_u32_e32 v132, vcc_lo, s5, v132, vcc_lo
	global_store_b32 v[133:134], v129, off
	global_store_b32 v[131:132], v130, off
.LBB620_78:
	s_or_b32 exec_lo, exec_lo, s3
	s_waitcnt lgkmcnt(0)
	s_waitcnt_vscnt null, 0x0
	s_barrier
	buffer_gl0_inv
	ds_load_b128 v[147:150], v144
	ds_load_b128 v[151:154], v144 offset:16
	ds_load_b128 v[159:162], v144 offset:1040
	;; [unrolled: 1-line block ×3, first 2 shown]
	v_mov_b32_e32 v129, 0
	ds_load_b128 v[167:170], v144 offset:2064
	ds_load_b128 v[163:166], v144 offset:2048
	;; [unrolled: 1-line block ×6, first 2 shown]
	v_mov_b32_e32 v130, v129
	v_mov_b32_e32 v131, v129
	;; [unrolled: 1-line block ×7, first 2 shown]
	s_waitcnt lgkmcnt(8)
	s_delay_alu instid0(VALU_DEP_1)
	v_wmma_f32_16x16x16_bf16 v[129:136], v[121:128], v[147:154], v[129:136]
	ds_load_b128 v[125:128], v144 offset:5136
	ds_load_b128 v[121:124], v144 offset:5120
	s_waitcnt lgkmcnt(8)
	v_wmma_f32_16x16x16_bf16 v[129:136], v[113:120], v[155:162], v[129:136]
	ds_load_b128 v[117:120], v144 offset:6160
	ds_load_b128 v[113:116], v144 offset:6144
	s_waitcnt lgkmcnt(8)
	;; [unrolled: 4-line block ×8, first 2 shown]
	v_wmma_f32_16x16x16_bf16 v[129:136], v[65:72], v[97:104], v[129:136]
	s_waitcnt lgkmcnt(6)
	s_delay_alu instid0(VALU_DEP_1)
	v_wmma_f32_16x16x16_bf16 v[129:136], v[49:56], v[89:96], v[129:136]
	ds_load_b128 v[53:56], v144 offset:13328
	ds_load_b128 v[49:52], v144 offset:13312
	s_waitcnt lgkmcnt(6)
	v_wmma_f32_16x16x16_bf16 v[129:136], v[41:48], v[81:88], v[129:136]
	ds_load_b128 v[45:48], v144 offset:14352
	ds_load_b128 v[41:44], v144 offset:14336
	s_waitcnt lgkmcnt(6)
	;; [unrolled: 4-line block ×3, first 2 shown]
	v_wmma_f32_16x16x16_bf16 v[129:136], v[1:8], v[57:64], v[129:136]
	s_waitcnt lgkmcnt(4)
	s_delay_alu instid0(VALU_DEP_1) | instskip(SKIP_1) | instid1(VALU_DEP_1)
	v_wmma_f32_16x16x16_bf16 v[129:136], v[25:32], v[49:56], v[129:136]
	s_waitcnt lgkmcnt(2)
	v_wmma_f32_16x16x16_bf16 v[129:136], v[33:40], v[41:48], v[129:136]
	s_waitcnt lgkmcnt(0)
	s_delay_alu instid0(VALU_DEP_1) | instskip(NEXT) | instid1(VALU_DEP_1)
	v_wmma_f32_16x16x16_bf16 v[129:136], v[9:16], v[17:24], v[129:136]
	v_and_b32_e32 v1, 0x7f800000, v129
	s_delay_alu instid0(VALU_DEP_1) | instskip(SKIP_1) | instid1(SALU_CYCLE_1)
	v_cmp_ne_u32_e32 vcc_lo, 0x7f800000, v1
                                        ; implicit-def: $vgpr1
	s_and_saveexec_b32 s3, vcc_lo
	s_xor_b32 s3, exec_lo, s3
; %bb.79:
	v_bfe_u32 v1, v129, 16, 1
	s_delay_alu instid0(VALU_DEP_1)
	v_add3_u32 v1, v129, v1, 0x7fff
; %bb.80:
	s_and_not1_saveexec_b32 s3, s3
; %bb.81:
	v_and_b32_e32 v1, 0xffff, v129
	v_or_b32_e32 v2, 0x10000, v129
	s_delay_alu instid0(VALU_DEP_2) | instskip(NEXT) | instid1(VALU_DEP_2)
	v_cmp_eq_u32_e32 vcc_lo, 0, v1
	v_cndmask_b32_e32 v1, v2, v129, vcc_lo
; %bb.82:
	s_or_b32 exec_lo, exec_lo, s3
	v_and_b32_e32 v2, 0x7f800000, v130
	s_delay_alu instid0(VALU_DEP_1) | instskip(SKIP_1) | instid1(SALU_CYCLE_1)
	v_cmp_ne_u32_e32 vcc_lo, 0x7f800000, v2
                                        ; implicit-def: $vgpr2
	s_and_saveexec_b32 s3, vcc_lo
	s_xor_b32 s3, exec_lo, s3
; %bb.83:
	v_bfe_u32 v2, v130, 16, 1
	s_delay_alu instid0(VALU_DEP_1)
	v_add3_u32 v2, v130, v2, 0x7fff
; %bb.84:
	s_and_not1_saveexec_b32 s3, s3
; %bb.85:
	v_and_b32_e32 v2, 0xffff, v130
	v_or_b32_e32 v3, 0x10000, v130
	s_delay_alu instid0(VALU_DEP_2) | instskip(NEXT) | instid1(VALU_DEP_2)
	v_cmp_eq_u32_e32 vcc_lo, 0, v2
	v_cndmask_b32_e32 v2, v3, v130, vcc_lo
; %bb.86:
	s_or_b32 exec_lo, exec_lo, s3
	v_and_b32_e32 v3, 0x7f800000, v131
	s_delay_alu instid0(VALU_DEP_1) | instskip(SKIP_1) | instid1(SALU_CYCLE_1)
	v_cmp_ne_u32_e32 vcc_lo, 0x7f800000, v3
                                        ; implicit-def: $vgpr3
	s_and_saveexec_b32 s3, vcc_lo
	s_xor_b32 s3, exec_lo, s3
; %bb.87:
	v_bfe_u32 v3, v131, 16, 1
	s_delay_alu instid0(VALU_DEP_1)
	v_add3_u32 v3, v131, v3, 0x7fff
; %bb.88:
	s_and_not1_saveexec_b32 s3, s3
; %bb.89:
	v_and_b32_e32 v3, 0xffff, v131
	v_or_b32_e32 v4, 0x10000, v131
	s_delay_alu instid0(VALU_DEP_2) | instskip(NEXT) | instid1(VALU_DEP_2)
	v_cmp_eq_u32_e32 vcc_lo, 0, v3
	v_cndmask_b32_e32 v3, v4, v131, vcc_lo
; %bb.90:
	s_or_b32 exec_lo, exec_lo, s3
	v_and_b32_e32 v4, 0x7f800000, v132
	s_delay_alu instid0(VALU_DEP_1) | instskip(SKIP_1) | instid1(SALU_CYCLE_1)
	v_cmp_ne_u32_e32 vcc_lo, 0x7f800000, v4
                                        ; implicit-def: $vgpr4
	s_and_saveexec_b32 s3, vcc_lo
	s_xor_b32 s3, exec_lo, s3
; %bb.91:
	v_bfe_u32 v4, v132, 16, 1
	s_delay_alu instid0(VALU_DEP_1)
	v_add3_u32 v4, v132, v4, 0x7fff
; %bb.92:
	s_and_not1_saveexec_b32 s3, s3
; %bb.93:
	v_and_b32_e32 v4, 0xffff, v132
	v_or_b32_e32 v5, 0x10000, v132
	s_delay_alu instid0(VALU_DEP_2) | instskip(NEXT) | instid1(VALU_DEP_2)
	v_cmp_eq_u32_e32 vcc_lo, 0, v4
	v_cndmask_b32_e32 v4, v5, v132, vcc_lo
; %bb.94:
	s_or_b32 exec_lo, exec_lo, s3
	v_and_b32_e32 v5, 0x7f800000, v133
	s_delay_alu instid0(VALU_DEP_1) | instskip(SKIP_1) | instid1(SALU_CYCLE_1)
	v_cmp_ne_u32_e32 vcc_lo, 0x7f800000, v5
                                        ; implicit-def: $vgpr5
	s_and_saveexec_b32 s3, vcc_lo
	s_xor_b32 s3, exec_lo, s3
; %bb.95:
	v_bfe_u32 v5, v133, 16, 1
	s_delay_alu instid0(VALU_DEP_1)
	v_add3_u32 v5, v133, v5, 0x7fff
; %bb.96:
	s_and_not1_saveexec_b32 s3, s3
; %bb.97:
	v_and_b32_e32 v5, 0xffff, v133
	v_or_b32_e32 v6, 0x10000, v133
	s_delay_alu instid0(VALU_DEP_2) | instskip(NEXT) | instid1(VALU_DEP_2)
	v_cmp_eq_u32_e32 vcc_lo, 0, v5
	v_cndmask_b32_e32 v5, v6, v133, vcc_lo
; %bb.98:
	s_or_b32 exec_lo, exec_lo, s3
	v_and_b32_e32 v6, 0x7f800000, v134
	s_delay_alu instid0(VALU_DEP_1) | instskip(SKIP_1) | instid1(SALU_CYCLE_1)
	v_cmp_ne_u32_e32 vcc_lo, 0x7f800000, v6
                                        ; implicit-def: $vgpr6
	s_and_saveexec_b32 s3, vcc_lo
	s_xor_b32 s3, exec_lo, s3
; %bb.99:
	v_bfe_u32 v6, v134, 16, 1
	s_delay_alu instid0(VALU_DEP_1)
	v_add3_u32 v6, v134, v6, 0x7fff
; %bb.100:
	s_and_not1_saveexec_b32 s3, s3
; %bb.101:
	v_and_b32_e32 v6, 0xffff, v134
	v_or_b32_e32 v7, 0x10000, v134
	s_delay_alu instid0(VALU_DEP_2) | instskip(NEXT) | instid1(VALU_DEP_2)
	v_cmp_eq_u32_e32 vcc_lo, 0, v6
	v_cndmask_b32_e32 v6, v7, v134, vcc_lo
; %bb.102:
	s_or_b32 exec_lo, exec_lo, s3
	v_and_b32_e32 v7, 0x7f800000, v135
	s_delay_alu instid0(VALU_DEP_1) | instskip(SKIP_1) | instid1(SALU_CYCLE_1)
	v_cmp_ne_u32_e32 vcc_lo, 0x7f800000, v7
                                        ; implicit-def: $vgpr7
	s_and_saveexec_b32 s3, vcc_lo
	s_xor_b32 s3, exec_lo, s3
; %bb.103:
	v_bfe_u32 v7, v135, 16, 1
	s_delay_alu instid0(VALU_DEP_1)
	v_add3_u32 v7, v135, v7, 0x7fff
; %bb.104:
	s_and_not1_saveexec_b32 s3, s3
; %bb.105:
	v_and_b32_e32 v7, 0xffff, v135
	v_or_b32_e32 v8, 0x10000, v135
	s_delay_alu instid0(VALU_DEP_2) | instskip(NEXT) | instid1(VALU_DEP_2)
	v_cmp_eq_u32_e32 vcc_lo, 0, v7
	v_cndmask_b32_e32 v7, v8, v135, vcc_lo
; %bb.106:
	s_or_b32 exec_lo, exec_lo, s3
	v_and_b32_e32 v8, 0x7f800000, v136
	s_delay_alu instid0(VALU_DEP_1) | instskip(SKIP_1) | instid1(SALU_CYCLE_1)
	v_cmp_ne_u32_e32 vcc_lo, 0x7f800000, v8
                                        ; implicit-def: $vgpr8
	s_and_saveexec_b32 s3, vcc_lo
	s_xor_b32 s3, exec_lo, s3
; %bb.107:
	v_bfe_u32 v8, v136, 16, 1
	s_delay_alu instid0(VALU_DEP_1)
	v_add3_u32 v8, v136, v8, 0x7fff
                                        ; implicit-def: $vgpr129_vgpr130_vgpr131_vgpr132_vgpr133_vgpr134_vgpr135_vgpr136
; %bb.108:
	s_and_not1_saveexec_b32 s3, s3
; %bb.109:
	v_and_b32_e32 v8, 0xffff, v136
	v_or_b32_e32 v9, 0x10000, v136
	s_delay_alu instid0(VALU_DEP_2) | instskip(NEXT) | instid1(VALU_DEP_2)
	v_cmp_eq_u32_e32 vcc_lo, 0, v8
	v_cndmask_b32_e32 v8, v9, v136, vcc_lo
; %bb.110:
	s_or_b32 exec_lo, exec_lo, s3
	s_delay_alu instid0(VALU_DEP_1)
	v_perm_b32 v7, v8, v7, 0x7060302
	v_perm_b32 v6, v6, v5, 0x7060302
	v_perm_b32 v5, v4, v3, 0x7060302
	v_perm_b32 v4, v2, v1, 0x7060302
	v_lshl_or_b32 v9, v138, 4, v145
	s_barrier
	buffer_gl0_inv
	v_cmp_eq_u32_e32 vcc_lo, 1, v142
	ds_store_b128 v9, v[4:7]
	s_waitcnt lgkmcnt(0)
	s_barrier
	buffer_gl0_inv
	ds_load_b128 v[1:4], v145
	ds_load_b128 v[5:8], v145 offset:16
	v_cmp_eq_u32_e64 s4, 2, v142
	v_cmp_eq_u32_e64 s3, 1, v143
	;; [unrolled: 1-line block ×5, first 2 shown]
	s_waitcnt lgkmcnt(1)
	v_lshrrev_b32_e32 v10, 16, v1
	s_waitcnt lgkmcnt(0)
	v_lshrrev_b32_e32 v14, 16, v5
	v_lshrrev_b32_e32 v15, 16, v6
	;; [unrolled: 1-line block ×4, first 2 shown]
	v_cndmask_b32_e64 v20, v1, v10, s3
	v_cndmask_b32_e32 v19, v5, v14, vcc_lo
	v_cndmask_b32_e64 v21, v5, v14, s3
	v_lshrrev_b32_e32 v16, 16, v7
	v_cmp_eq_u32_e64 s3, 1, v141
	v_lshrrev_b32_e32 v13, 16, v4
	v_cndmask_b32_e64 v19, v19, v6, s4
	v_lshrrev_b32_e32 v17, 16, v8
	s_delay_alu instid0(VALU_DEP_4) | instskip(SKIP_1) | instid1(VALU_DEP_4)
	v_cndmask_b32_e64 v22, v1, v10, s3
	v_cndmask_b32_e64 v23, v5, v14, s3
	;; [unrolled: 1-line block ×3, first 2 shown]
	v_cndmask_b32_e32 v18, v1, v10, vcc_lo
	v_cmp_eq_u32_e32 vcc_lo, 2, v143
	v_cmp_eq_u32_e64 s3, 2, v146
	v_cndmask_b32_e64 v22, v22, v2, s7
	v_cndmask_b32_e32 v20, v20, v2, vcc_lo
	v_cndmask_b32_e32 v21, v21, v6, vcc_lo
	v_cmp_eq_u32_e32 vcc_lo, 4, v142
	v_cndmask_b32_e32 v19, v19, v7, vcc_lo
	v_cndmask_b32_e64 v18, v18, v2, s4
	v_cmp_eq_u32_e64 s4, 3, v143
	s_delay_alu instid0(VALU_DEP_2) | instskip(NEXT) | instid1(VALU_DEP_2)
	v_cndmask_b32_e64 v18, v18, v11, s5
	v_cndmask_b32_e64 v21, v21, v15, s4
	v_cmp_eq_u32_e64 s5, 5, v142
	s_delay_alu instid0(VALU_DEP_3) | instskip(SKIP_1) | instid1(VALU_DEP_3)
	v_cndmask_b32_e32 v18, v18, v3, vcc_lo
	v_cmp_eq_u32_e32 vcc_lo, 4, v143
	v_cndmask_b32_e64 v19, v19, v16, s5
	s_delay_alu instid0(VALU_DEP_3) | instskip(SKIP_4) | instid1(VALU_DEP_3)
	v_cndmask_b32_e64 v18, v18, v12, s5
	v_cndmask_b32_e32 v21, v21, v7, vcc_lo
	v_cndmask_b32_e64 v20, v20, v11, s4
	v_cmp_eq_u32_e64 s4, 5, v143
	v_cmp_eq_u32_e64 s5, 6, v142
	v_cndmask_b32_e32 v20, v20, v3, vcc_lo
	s_delay_alu instid0(VALU_DEP_3) | instskip(SKIP_1) | instid1(VALU_DEP_4)
	v_cndmask_b32_e64 v21, v21, v16, s4
	v_cmp_eq_u32_e32 vcc_lo, 6, v143
	v_cndmask_b32_e64 v18, v18, v4, s5
	v_cndmask_b32_e64 v19, v19, v8, s5
	;; [unrolled: 1-line block ×3, first 2 shown]
	v_cmp_eq_u32_e64 s4, 1, v146
	v_cmp_eq_u32_e64 s5, 7, v142
	s_delay_alu instid0(VALU_DEP_3) | instskip(NEXT) | instid1(VALU_DEP_3)
	v_cndmask_b32_e32 v20, v20, v4, vcc_lo
	v_cndmask_b32_e64 v1, v1, v10, s4
	v_cndmask_b32_e64 v5, v5, v14, s4
	v_cmp_eq_u32_e64 s4, 3, v141
	v_cndmask_b32_e64 v14, v23, v6, s7
	v_cmp_eq_u32_e64 s7, 3, v146
	v_cndmask_b32_e64 v1, v1, v2, s3
	v_cndmask_b32_e64 v2, v5, v6, s3
	;; [unrolled: 1-line block ×3, first 2 shown]
	v_cmp_eq_u32_e64 s3, 4, v141
	v_cndmask_b32_e64 v6, v14, v15, s4
	v_cndmask_b32_e64 v1, v1, v11, s7
	v_cmp_eq_u32_e64 s4, 4, v146
	v_cndmask_b32_e64 v2, v2, v15, s7
	v_cndmask_b32_e64 v5, v10, v3, s3
	;; [unrolled: 3-line block ×3, first 2 shown]
	v_cndmask_b32_e64 v2, v2, v7, s4
	v_cmp_eq_u32_e64 s3, 5, v146
	v_cndmask_b32_e64 v5, v5, v12, s7
	v_cmp_eq_u32_e64 s4, 6, v141
	v_cndmask_b32_e64 v3, v6, v16, s7
	v_cmp_eq_u32_e64 s7, 6, v146
	v_cndmask_b32_e64 v1, v1, v12, s3
	v_cndmask_b32_e64 v2, v2, v16, s3
	v_cndmask_b32_e64 v5, v5, v4, s4
	v_cndmask_b32_e64 v3, v3, v8, s4
	v_cmp_eq_u32_e64 s3, 7, v146
	v_cndmask_b32_e64 v1, v1, v4, s7
	v_cndmask_b32_e64 v2, v2, v8, s7
	v_cmp_eq_u32_e64 s4, 7, v141
	v_cndmask_b32_e32 v4, v21, v8, vcc_lo
	v_cndmask_b32_e64 v18, v18, v13, s5
	v_cndmask_b32_e64 v20, v20, v13, s6
	;; [unrolled: 1-line block ×8, first 2 shown]
	s_mov_b32 s3, exec_lo
	v_perm_b32 v4, v2, v1, 0x5040100
	v_perm_b32 v3, v3, v5, 0x5040100
	;; [unrolled: 1-line block ×4, first 2 shown]
	ds_store_b128 v9, v[1:4]
	s_waitcnt lgkmcnt(0)
	s_barrier
	buffer_gl0_inv
	v_cmpx_gt_u32_e32 32, v0
	s_cbranch_execz .LBB620_2
; %bb.111:
	s_load_b64 s[4:5], s[0:1], 0x68
	v_lshlrev_b32_e32 v0, 10, v0
	v_add_nc_u32_e32 v2, s31, v138
	v_lshlrev_b32_e32 v3, 4, v139
	s_lshl_b32 s0, s34, 7
	s_delay_alu instid0(SALU_CYCLE_1) | instskip(NEXT) | instid1(VALU_DEP_2)
	s_mul_i32 s1, s0, s30
	v_mul_lo_u32 v1, v2, s0
	s_delay_alu instid0(VALU_DEP_2)
	v_and_or_b32 v0, 0x3800, v0, v3
	v_add_nc_u32_e32 v3, 2, v2
	s_mul_i32 s6, s1, s8
	v_add_nc_u32_e32 v4, 4, v2
	s_ashr_i32 s7, s6, 31
	v_lshl_or_b32 v11, v138, 6, v0
	s_lshl_b64 s[6:7], s[6:7], 1
	v_mul_lo_u32 v15, v3, s0
	v_mul_lo_u32 v17, v4, s0
	v_ashrrev_i32_e32 v2, 31, v1
	ds_load_b128 v[3:6], v11
	ds_load_b128 v[7:10], v11 offset:128
	ds_load_b128 v[11:14], v11 offset:256
	s_waitcnt lgkmcnt(0)
	s_add_u32 s1, s4, s6
	s_addc_u32 s3, s5, s7
	s_lshl_b32 s4, s14, 7
	v_ashrrev_i32_e32 v16, 31, v15
	s_ashr_i32 s5, s4, 31
	v_lshlrev_b64 v[19:20], 1, v[1:2]
	s_lshl_b64 s[4:5], s[4:5], 1
	v_ashrrev_i32_e32 v18, 31, v17
	s_add_u32 s1, s1, s4
	s_addc_u32 s3, s3, s5
	v_add_co_u32 v1, s1, s1, v137
	s_delay_alu instid0(VALU_DEP_1) | instskip(SKIP_1) | instid1(VALU_DEP_3)
	v_add_co_ci_u32_e64 v2, null, s3, 0, s1
	v_lshlrev_b64 v[15:16], 1, v[15:16]
	v_add_co_u32 v19, vcc_lo, v1, v19
	v_lshlrev_b64 v[17:18], 1, v[17:18]
	s_delay_alu instid0(VALU_DEP_4) | instskip(NEXT) | instid1(VALU_DEP_4)
	v_add_co_ci_u32_e32 v20, vcc_lo, v2, v20, vcc_lo
	v_add_co_u32 v15, vcc_lo, v1, v15
	v_add_co_ci_u32_e32 v16, vcc_lo, v2, v16, vcc_lo
	s_delay_alu instid0(VALU_DEP_4)
	v_add_co_u32 v17, vcc_lo, v1, v17
	v_add_co_ci_u32_e32 v18, vcc_lo, v2, v18, vcc_lo
	s_clause 0x2
	global_store_b128 v[19:20], v[3:6], off
	global_store_b128 v[15:16], v[7:10], off
	global_store_b128 v[17:18], v[11:14], off
	s_and_b32 exec_lo, exec_lo, s2
	s_cbranch_execz .LBB620_2
; %bb.112:
	ds_load_b128 v[3:6], v0 offset:384
	s_add_i32 s1, s31, 6
	s_delay_alu instid0(SALU_CYCLE_1) | instskip(NEXT) | instid1(SALU_CYCLE_1)
	s_mul_i32 s0, s1, s0
	s_ashr_i32 s1, s0, 31
	s_delay_alu instid0(SALU_CYCLE_1) | instskip(NEXT) | instid1(SALU_CYCLE_1)
	s_lshl_b64 s[0:1], s[0:1], 1
	v_add_co_u32 v0, vcc_lo, v1, s0
	v_add_co_ci_u32_e32 v1, vcc_lo, s1, v2, vcc_lo
	s_waitcnt lgkmcnt(0)
	global_store_b128 v[0:1], v[3:6], off
	s_nop 0
	s_sendmsg sendmsg(MSG_DEALLOC_VGPRS)
	s_endpgm
	.section	.rodata,"a",@progbits
	.p2align	6, 0x0
	.amdhsa_kernel _Z39paged_attention_ll4mi_QKV_mfma16_kernelI14__hip_bfloat16S0_LN4vllm18Fp8KVCacheDataTypeE0EhLi16ELi128ELi256ELb0ELi7EL8MFMAType0EEvPKT_PKT0_S9_ifPKiSB_SB_iPKfiiiPfSE_PS4_PT2_iSD_SD_
		.amdhsa_group_segment_fixed_size 17472
		.amdhsa_private_segment_fixed_size 0
		.amdhsa_kernarg_size 400
		.amdhsa_user_sgpr_count 13
		.amdhsa_user_sgpr_dispatch_ptr 0
		.amdhsa_user_sgpr_queue_ptr 0
		.amdhsa_user_sgpr_kernarg_segment_ptr 1
		.amdhsa_user_sgpr_dispatch_id 0
		.amdhsa_user_sgpr_private_segment_size 0
		.amdhsa_wavefront_size32 1
		.amdhsa_uses_dynamic_stack 0
		.amdhsa_enable_private_segment 0
		.amdhsa_system_sgpr_workgroup_id_x 1
		.amdhsa_system_sgpr_workgroup_id_y 1
		.amdhsa_system_sgpr_workgroup_id_z 1
		.amdhsa_system_sgpr_workgroup_info 0
		.amdhsa_system_vgpr_workitem_id 0
		.amdhsa_next_free_vgpr 218
		.amdhsa_next_free_sgpr 50
		.amdhsa_reserve_vcc 1
		.amdhsa_float_round_mode_32 0
		.amdhsa_float_round_mode_16_64 0
		.amdhsa_float_denorm_mode_32 3
		.amdhsa_float_denorm_mode_16_64 3
		.amdhsa_dx10_clamp 1
		.amdhsa_ieee_mode 1
		.amdhsa_fp16_overflow 0
		.amdhsa_workgroup_processor_mode 1
		.amdhsa_memory_ordered 1
		.amdhsa_forward_progress 0
		.amdhsa_shared_vgpr_count 0
		.amdhsa_exception_fp_ieee_invalid_op 0
		.amdhsa_exception_fp_denorm_src 0
		.amdhsa_exception_fp_ieee_div_zero 0
		.amdhsa_exception_fp_ieee_overflow 0
		.amdhsa_exception_fp_ieee_underflow 0
		.amdhsa_exception_fp_ieee_inexact 0
		.amdhsa_exception_int_div_zero 0
	.end_amdhsa_kernel
	.section	.text._Z39paged_attention_ll4mi_QKV_mfma16_kernelI14__hip_bfloat16S0_LN4vllm18Fp8KVCacheDataTypeE0EhLi16ELi128ELi256ELb0ELi7EL8MFMAType0EEvPKT_PKT0_S9_ifPKiSB_SB_iPKfiiiPfSE_PS4_PT2_iSD_SD_,"axG",@progbits,_Z39paged_attention_ll4mi_QKV_mfma16_kernelI14__hip_bfloat16S0_LN4vllm18Fp8KVCacheDataTypeE0EhLi16ELi128ELi256ELb0ELi7EL8MFMAType0EEvPKT_PKT0_S9_ifPKiSB_SB_iPKfiiiPfSE_PS4_PT2_iSD_SD_,comdat
.Lfunc_end620:
	.size	_Z39paged_attention_ll4mi_QKV_mfma16_kernelI14__hip_bfloat16S0_LN4vllm18Fp8KVCacheDataTypeE0EhLi16ELi128ELi256ELb0ELi7EL8MFMAType0EEvPKT_PKT0_S9_ifPKiSB_SB_iPKfiiiPfSE_PS4_PT2_iSD_SD_, .Lfunc_end620-_Z39paged_attention_ll4mi_QKV_mfma16_kernelI14__hip_bfloat16S0_LN4vllm18Fp8KVCacheDataTypeE0EhLi16ELi128ELi256ELb0ELi7EL8MFMAType0EEvPKT_PKT0_S9_ifPKiSB_SB_iPKfiiiPfSE_PS4_PT2_iSD_SD_
                                        ; -- End function
	.section	.AMDGPU.csdata,"",@progbits
; Kernel info:
; codeLenInByte = 10268
; NumSgprs: 52
; NumVgprs: 218
; ScratchSize: 0
; MemoryBound: 0
; FloatMode: 240
; IeeeMode: 1
; LDSByteSize: 17472 bytes/workgroup (compile time only)
; SGPRBlocks: 6
; VGPRBlocks: 27
; NumSGPRsForWavesPerEU: 52
; NumVGPRsForWavesPerEU: 218
; Occupancy: 6
; WaveLimiterHint : 1
; COMPUTE_PGM_RSRC2:SCRATCH_EN: 0
; COMPUTE_PGM_RSRC2:USER_SGPR: 13
; COMPUTE_PGM_RSRC2:TRAP_HANDLER: 0
; COMPUTE_PGM_RSRC2:TGID_X_EN: 1
; COMPUTE_PGM_RSRC2:TGID_Y_EN: 1
; COMPUTE_PGM_RSRC2:TGID_Z_EN: 1
; COMPUTE_PGM_RSRC2:TIDIG_COMP_CNT: 0
	.section	.text._Z39paged_attention_ll4mi_QKV_mfma16_kernelI14__hip_bfloat16S0_LN4vllm18Fp8KVCacheDataTypeE0EhLi16ELi128ELi256ELb0ELi8EL8MFMAType0EEvPKT_PKT0_S9_ifPKiSB_SB_iPKfiiiPfSE_PS4_PT2_iSD_SD_,"axG",@progbits,_Z39paged_attention_ll4mi_QKV_mfma16_kernelI14__hip_bfloat16S0_LN4vllm18Fp8KVCacheDataTypeE0EhLi16ELi128ELi256ELb0ELi8EL8MFMAType0EEvPKT_PKT0_S9_ifPKiSB_SB_iPKfiiiPfSE_PS4_PT2_iSD_SD_,comdat
	.protected	_Z39paged_attention_ll4mi_QKV_mfma16_kernelI14__hip_bfloat16S0_LN4vllm18Fp8KVCacheDataTypeE0EhLi16ELi128ELi256ELb0ELi8EL8MFMAType0EEvPKT_PKT0_S9_ifPKiSB_SB_iPKfiiiPfSE_PS4_PT2_iSD_SD_ ; -- Begin function _Z39paged_attention_ll4mi_QKV_mfma16_kernelI14__hip_bfloat16S0_LN4vllm18Fp8KVCacheDataTypeE0EhLi16ELi128ELi256ELb0ELi8EL8MFMAType0EEvPKT_PKT0_S9_ifPKiSB_SB_iPKfiiiPfSE_PS4_PT2_iSD_SD_
	.globl	_Z39paged_attention_ll4mi_QKV_mfma16_kernelI14__hip_bfloat16S0_LN4vllm18Fp8KVCacheDataTypeE0EhLi16ELi128ELi256ELb0ELi8EL8MFMAType0EEvPKT_PKT0_S9_ifPKiSB_SB_iPKfiiiPfSE_PS4_PT2_iSD_SD_
	.p2align	8
	.type	_Z39paged_attention_ll4mi_QKV_mfma16_kernelI14__hip_bfloat16S0_LN4vllm18Fp8KVCacheDataTypeE0EhLi16ELi128ELi256ELb0ELi8EL8MFMAType0EEvPKT_PKT0_S9_ifPKiSB_SB_iPKfiiiPfSE_PS4_PT2_iSD_SD_,@function
_Z39paged_attention_ll4mi_QKV_mfma16_kernelI14__hip_bfloat16S0_LN4vllm18Fp8KVCacheDataTypeE0EhLi16ELi128ELi256ELb0ELi8EL8MFMAType0EEvPKT_PKT0_S9_ifPKiSB_SB_iPKfiiiPfSE_PS4_PT2_iSD_SD_: ; @_Z39paged_attention_ll4mi_QKV_mfma16_kernelI14__hip_bfloat16S0_LN4vllm18Fp8KVCacheDataTypeE0EhLi16ELi128ELi256ELb0ELi8EL8MFMAType0EEvPKT_PKT0_S9_ifPKiSB_SB_iPKfiiiPfSE_PS4_PT2_iSD_SD_
; %bb.0:
	s_load_b64 s[4:5], s[0:1], 0x30
	s_mov_b32 s30, s13
	s_waitcnt lgkmcnt(0)
	s_cmp_lg_u64 s[4:5], 0
	s_cselect_b32 s12, -1, 0
	s_ashr_i32 s31, s13, 31
	s_cmp_eq_u64 s[4:5], 0
	s_cbranch_scc1 .LBB621_3
; %bb.1:
	s_lshl_b64 s[2:3], s[30:31], 2
	s_delay_alu instid0(SALU_CYCLE_1) | instskip(SKIP_4) | instid1(SALU_CYCLE_1)
	s_add_u32 s2, s4, s2
	s_addc_u32 s3, s5, s3
	s_load_b64 s[2:3], s[2:3], 0x0
	s_waitcnt lgkmcnt(0)
	s_sub_i32 s2, s3, s2
	s_cmp_eq_u32 s2, 1
	s_cselect_b32 s2, -1, 0
	s_delay_alu instid0(SALU_CYCLE_1)
	s_and_not1_b32 vcc_lo, exec_lo, s2
	s_cbranch_vccz .LBB621_4
.LBB621_2:
	s_endpgm
.LBB621_3:
.LBB621_4:
	s_load_b64 s[2:3], s[0:1], 0x28
	s_lshl_b64 s[6:7], s[30:31], 2
	s_waitcnt lgkmcnt(0)
	s_add_u32 s2, s2, s6
	s_addc_u32 s3, s3, s7
	s_lshl_b32 s31, s14, 8
	s_load_b32 s28, s[2:3], 0x0
	s_waitcnt lgkmcnt(0)
	s_cmp_ge_i32 s31, s28
	s_cbranch_scc1 .LBB621_2
; %bb.5:
	s_clause 0x1
	s_load_b128 s[8:11], s[0:1], 0x8
	s_load_b64 s[2:3], s[0:1], 0x20
	s_and_not1_b32 vcc_lo, exec_lo, s12
	s_cbranch_vccnz .LBB621_7
; %bb.6:
	s_add_u32 s4, s4, s6
	s_addc_u32 s5, s5, s7
	s_load_b32 s12, s[4:5], 0x0
	s_branch .LBB621_8
.LBB621_7:
	s_mov_b32 s12, s30
.LBB621_8:
	s_load_b128 s[4:7], s[0:1], 0x48
	v_and_b32_e32 v141, 15, v0
	v_lshrrev_b32_e32 v140, 5, v0
	v_and_b32_e32 v142, 31, v0
	v_and_b32_e32 v139, 1, v0
	v_bfe_u32 v138, v0, 4, 1
	v_lshlrev_b32_e32 v1, 3, v141
	s_lshl_b32 s29, s15, 3
	s_waitcnt lgkmcnt(0)
	s_mov_b32 s7, exec_lo
	s_delay_alu instid0(VALU_DEP_1)
	v_lshlrev_b32_e32 v137, 1, v1
	v_cmpx_gt_u32_e32 0x80, v0
	s_cbranch_execz .LBB621_10
; %bb.9:
	v_lshl_or_b32 v5, v140, 1, v138
	s_load_b64 s[16:17], s[0:1], 0x0
	s_mul_hi_i32 s13, s12, s4
	s_mul_i32 s12, s12, s4
	v_lshlrev_b32_e32 v6, 10, v141
	v_or_b32_e32 v1, s29, v5
	s_lshl_b64 s[12:13], s[12:13], 1
	v_lshlrev_b32_e32 v5, 6, v5
	v_lshlrev_b32_e32 v7, 10, v139
	v_and_b32_e32 v6, 0x3800, v6
	v_lshlrev_b32_e32 v1, 7, v1
	s_delay_alu instid0(VALU_DEP_2) | instskip(NEXT) | instid1(VALU_DEP_2)
	v_or3_b32 v5, v6, v7, v5
	v_ashrrev_i32_e32 v2, 31, v1
	s_delay_alu instid0(VALU_DEP_1) | instskip(SKIP_3) | instid1(VALU_DEP_1)
	v_lshlrev_b64 v[1:2], 1, v[1:2]
	s_waitcnt lgkmcnt(0)
	s_add_u32 s4, s16, s12
	s_addc_u32 s12, s17, s13
	v_add_co_u32 v1, vcc_lo, s4, v1
	s_delay_alu instid0(VALU_DEP_2) | instskip(NEXT) | instid1(VALU_DEP_2)
	v_add_co_ci_u32_e32 v2, vcc_lo, s12, v2, vcc_lo
	v_add_co_u32 v1, vcc_lo, v1, v137
	s_delay_alu instid0(VALU_DEP_2)
	v_add_co_ci_u32_e32 v2, vcc_lo, 0, v2, vcc_lo
	global_load_b128 v[1:4], v[1:2], off
	s_waitcnt vmcnt(0)
	ds_store_b128 v5, v[1:4]
.LBB621_10:
	s_or_b32 exec_lo, exec_lo, s7
	s_mov_b32 s36, 0
	s_add_i32 s4, s28, 15
	s_mov_b32 s37, s36
	s_mov_b32 s38, s36
	;; [unrolled: 1-line block ×7, first 2 shown]
	s_delay_alu instid0(SALU_CYCLE_1)
	v_dual_mov_b32 v136, s43 :: v_dual_and_b32 v1, 0xef, v0
	v_mov_b32_e32 v134, s41
	s_clause 0x1
	s_load_b32 s7, s[0:1], 0x38
	s_load_b32 s33, s[0:1], 0x1c
	v_add_nc_u32_e32 v1, s31, v1
	s_ashr_i32 s12, s4, 31
	s_waitcnt lgkmcnt(0)
	s_lshr_b32 s12, s12, 28
	s_barrier
	v_ashrrev_i32_e32 v2, 31, v1
	s_add_i32 s4, s4, s12
	v_cmp_gt_i32_e32 vcc_lo, s28, v1
	v_mov_b32_e32 v135, s42
	s_ashr_i32 s4, s4, 4
	v_lshrrev_b32_e32 v3, 28, v2
	v_or_b32_e32 v2, 16, v1
	s_add_i32 s4, s4, -1
	v_mov_b32_e32 v132, s39
	buffer_gl0_inv
	v_add_nc_u32_e32 v4, v1, v3
	v_add_nc_u32_e32 v3, v2, v3
	v_and_b32_e32 v105, 7, v0
	v_lshlrev_b32_e32 v106, 5, v141
	s_mul_i32 s12, s30, s7
	v_ashrrev_i32_e32 v4, 4, v4
	v_ashrrev_i32_e32 v3, 4, v3
	s_ashr_i32 s13, s12, 31
	v_lshlrev_b32_e32 v215, 6, v105
	s_lshl_b64 s[12:13], s[12:13], 2
	v_cndmask_b32_e32 v1, s4, v4, vcc_lo
	v_cmp_gt_i32_e32 vcc_lo, s28, v2
	s_add_u32 s34, s2, s12
	s_addc_u32 s35, s3, s13
	s_mul_i32 s2, s15, s6
	v_ashrrev_i32_e32 v2, 31, v1
	v_cndmask_b32_e32 v3, s4, v3, vcc_lo
	s_ashr_i32 s3, s2, 31
	v_lshl_or_b32 v125, v140, 9, v106
	s_lshl_b64 s[2:3], s[2:3], 1
	v_lshlrev_b64 v[1:2], 2, v[1:2]
	v_ashrrev_i32_e32 v4, 31, v3
	s_add_u32 s22, s8, s2
	s_addc_u32 s23, s9, s3
	s_lshl_b32 s6, s14, 4
	v_mov_b32_e32 v133, s40
	v_lshlrev_b64 v[3:4], 2, v[3:4]
	v_add_co_u32 v1, vcc_lo, s34, v1
	v_add_co_ci_u32_e32 v2, vcc_lo, s35, v2, vcc_lo
	s_ashr_i32 s7, s6, 31
	s_delay_alu instid0(VALU_DEP_3) | instskip(NEXT) | instid1(VALU_DEP_4)
	v_add_co_u32 v3, vcc_lo, s34, v3
	v_add_co_ci_u32_e32 v4, vcc_lo, s35, v4, vcc_lo
	s_clause 0x1
	global_load_b32 v5, v[1:2], off
	global_load_b32 v6, v[3:4], off
	s_lshl_b64 s[6:7], s[6:7], 2
	v_dual_mov_b32 v130, s37 :: v_dual_lshlrev_b32 v3, 4, v0
	s_add_u32 s6, s34, s6
	s_addc_u32 s7, s35, s7
	s_or_b32 s8, s31, 16
	v_mov_b32_e32 v131, s38
	s_ashr_i32 s9, s8, 4
	s_cmp_lt_i32 s8, s28
	v_mov_b32_e32 v129, s36
	s_cselect_b32 s8, s9, s4
	s_delay_alu instid0(SALU_CYCLE_1) | instskip(NEXT) | instid1(SALU_CYCLE_1)
	s_ashr_i32 s9, s8, 31
	s_lshl_b64 s[8:9], s[8:9], 2
	s_delay_alu instid0(SALU_CYCLE_1) | instskip(SKIP_2) | instid1(SALU_CYCLE_1)
	s_add_u32 s8, s34, s8
	s_addc_u32 s9, s35, s9
	s_or_b32 s12, s31, 32
	s_ashr_i32 s13, s12, 4
	s_cmp_lt_i32 s12, s28
	s_cselect_b32 s12, s13, s4
	s_delay_alu instid0(SALU_CYCLE_1) | instskip(NEXT) | instid1(SALU_CYCLE_1)
	s_ashr_i32 s13, s12, 31
	s_lshl_b64 s[12:13], s[12:13], 2
	s_delay_alu instid0(SALU_CYCLE_1) | instskip(SKIP_2) | instid1(SALU_CYCLE_1)
	s_add_u32 s12, s34, s12
	s_addc_u32 s13, s35, s13
	s_or_b32 s15, s31, 48
	s_ashr_i32 s16, s15, 4
	s_cmp_lt_i32 s15, s28
	;; [unrolled: 10-line block ×4, first 2 shown]
	s_cselect_b32 s20, s20, s4
	s_delay_alu instid0(SALU_CYCLE_1) | instskip(NEXT) | instid1(SALU_CYCLE_1)
	s_ashr_i32 s21, s20, 31
	s_lshl_b64 s[20:21], s[20:21], 2
	s_delay_alu instid0(SALU_CYCLE_1)
	s_add_u32 s20, s34, s20
	s_addc_u32 s21, s35, s21
	s_clause 0x5
	s_load_b32 s6, s[6:7], 0x0
	s_load_b32 s8, s[8:9], 0x0
	;; [unrolled: 1-line block ×6, first 2 shown]
	s_waitcnt vmcnt(1)
	v_mad_i64_i32 v[1:2], null, v5, s5, 0
	v_and_b32_e32 v5, 0xf0, v3
	s_waitcnt vmcnt(0)
	v_mad_i64_i32 v[3:4], null, v6, s5, 0
	s_delay_alu instid0(VALU_DEP_2) | instskip(NEXT) | instid1(VALU_DEP_4)
	v_add_co_u32 v5, s7, s22, v5
	v_lshlrev_b64 v[1:2], 1, v[1:2]
	v_add_co_ci_u32_e64 v6, null, s23, 0, s7
	s_delay_alu instid0(VALU_DEP_4) | instskip(SKIP_1) | instid1(VALU_DEP_3)
	v_lshlrev_b64 v[3:4], 1, v[3:4]
	s_or_b32 s7, s31, 0x60
	v_add_co_u32 v121, vcc_lo, v5, v1
	s_delay_alu instid0(VALU_DEP_3) | instskip(NEXT) | instid1(VALU_DEP_3)
	v_add_co_ci_u32_e32 v122, vcc_lo, v6, v2, vcc_lo
	v_add_co_u32 v123, vcc_lo, v5, v3
	s_delay_alu instid0(VALU_DEP_4)
	v_add_co_ci_u32_e32 v124, vcc_lo, v6, v4, vcc_lo
	s_clause 0x19
	global_load_b128 v[89:92], v[121:122], off
	global_load_b128 v[93:96], v[121:122], off offset:256
	global_load_b128 v[97:100], v[123:124], off
	global_load_b128 v[101:104], v[123:124], off offset:256
	global_load_b128 v[81:84], v[121:122], off offset:512
	global_load_b128 v[85:88], v[121:122], off offset:768
	global_load_b128 v[73:76], v[123:124], off offset:512
	global_load_b128 v[77:80], v[123:124], off offset:768
	global_load_b128 v[65:68], v[121:122], off offset:1024
	global_load_b128 v[69:72], v[121:122], off offset:1280
	global_load_b128 v[57:60], v[123:124], off offset:1024
	global_load_b128 v[61:64], v[123:124], off offset:1280
	global_load_b128 v[49:52], v[121:122], off offset:1536
	global_load_b128 v[53:56], v[121:122], off offset:1792
	global_load_b128 v[41:44], v[123:124], off offset:1536
	global_load_b128 v[45:48], v[123:124], off offset:1792
	global_load_b128 v[17:20], v[121:122], off offset:2048
	global_load_b128 v[21:24], v[121:122], off offset:2304
	global_load_b128 v[1:4], v[123:124], off offset:2048
	global_load_b128 v[5:8], v[123:124], off offset:2304
	global_load_b128 v[33:36], v[121:122], off offset:2560
	global_load_b128 v[37:40], v[121:122], off offset:2816
	global_load_b128 v[25:28], v[123:124], off offset:2560
	global_load_b128 v[29:32], v[123:124], off offset:2816
	global_load_b128 v[9:12], v[121:122], off offset:3072
	global_load_b128 v[13:16], v[121:122], off offset:3328
	s_ashr_i32 s9, s7, 4
	s_cmp_lt_i32 s7, s28
	ds_load_b128 v[105:108], v215
	ds_load_b128 v[109:112], v215 offset:1024
	s_cselect_b32 s20, s9, s4
	ds_load_b128 v[113:116], v215 offset:2048
	ds_load_b128 v[117:120], v215 offset:3072
	s_ashr_i32 s21, s20, 31
	ds_load_b128 v[143:146], v215 offset:4096
	ds_load_b128 v[147:150], v215 offset:5120
	s_lshl_b64 s[20:21], s[20:21], 2
	ds_load_b128 v[151:154], v215 offset:6144
	ds_load_b128 v[155:158], v215 offset:7168
	s_add_u32 s20, s34, s20
	s_addc_u32 s21, s35, s21
	s_or_b32 s7, s31, 0x70
	ds_load_b128 v[159:162], v215 offset:8192
	ds_load_b128 v[163:166], v215 offset:9216
	s_ashr_i32 s9, s7, 4
	s_cmp_lt_i32 s7, s28
	s_clause 0x1
	global_load_b128 v[167:170], v[123:124], off offset:3072
	global_load_b128 v[171:174], v[123:124], off offset:3328
	s_cselect_b32 s22, s9, s4
	s_delay_alu instid0(SALU_CYCLE_1) | instskip(NEXT) | instid1(SALU_CYCLE_1)
	s_ashr_i32 s23, s22, 31
	s_lshl_b64 s[22:23], s[22:23], 2
	s_delay_alu instid0(SALU_CYCLE_1)
	s_add_u32 s22, s34, s22
	s_addc_u32 s23, s35, s23
	s_clause 0x1
	s_load_b32 s42, s[20:21], 0x0
	s_load_b32 s43, s[22:23], 0x0
	s_clause 0x3
	global_load_b128 v[175:178], v[121:122], off offset:3584
	global_load_b128 v[179:182], v[121:122], off offset:3840
	;; [unrolled: 1-line block ×4, first 2 shown]
	s_or_b32 s7, s31, 0x80
	s_delay_alu instid0(SALU_CYCLE_1) | instskip(SKIP_2) | instid1(SALU_CYCLE_1)
	s_ashr_i32 s9, s7, 4
	s_cmp_lt_i32 s7, s28
	s_cselect_b32 s24, s9, s4
	s_ashr_i32 s25, s24, 31
	s_delay_alu instid0(SALU_CYCLE_1) | instskip(NEXT) | instid1(SALU_CYCLE_1)
	s_lshl_b64 s[24:25], s[24:25], 2
	s_add_u32 s24, s34, s24
	s_addc_u32 s25, s35, s25
	s_or_b32 s7, s31, 0x90
	s_load_b32 s44, s[24:25], 0x0
	s_ashr_i32 s9, s7, 4
	s_cmp_lt_i32 s7, s28
	s_cselect_b32 s26, s9, s4
	s_delay_alu instid0(SALU_CYCLE_1) | instskip(NEXT) | instid1(SALU_CYCLE_1)
	s_ashr_i32 s27, s26, 31
	s_lshl_b64 s[26:27], s[26:27], 2
	s_delay_alu instid0(SALU_CYCLE_1) | instskip(SKIP_2) | instid1(SALU_CYCLE_1)
	s_add_u32 s26, s34, s26
	s_addc_u32 s27, s35, s27
	s_or_b32 s7, s31, 0xa0
	s_ashr_i32 s9, s7, 4
	s_cmp_lt_i32 s7, s28
	s_waitcnt lgkmcnt(0)
	s_mul_hi_i32 s7, s6, s5
	s_cselect_b32 s36, s9, s4
	s_mul_i32 s6, s6, s5
	s_ashr_i32 s37, s36, 31
	s_delay_alu instid0(SALU_CYCLE_1) | instskip(NEXT) | instid1(SALU_CYCLE_1)
	s_lshl_b64 s[36:37], s[36:37], 2
	s_add_u32 s36, s34, s36
	s_addc_u32 s37, s35, s37
	s_or_b32 s9, s31, 0xb0
	s_delay_alu instid0(SALU_CYCLE_1)
	s_ashr_i32 s13, s9, 4
	s_cmp_lt_i32 s9, s28
	s_mul_hi_i32 s9, s8, s5
	s_cselect_b32 s38, s13, s4
	s_mul_i32 s8, s8, s5
	s_ashr_i32 s39, s38, 31
	s_mul_hi_i32 s13, s12, s5
	s_lshl_b64 s[38:39], s[38:39], 2
	s_mul_i32 s12, s12, s5
	s_add_u32 s40, s34, s38
	s_addc_u32 s41, s35, s39
	s_or_b32 s17, s31, 0xc0
	s_delay_alu instid0(SALU_CYCLE_1)
	s_ashr_i32 s19, s17, 4
	s_cmp_lt_i32 s17, s28
	s_mul_hi_i32 s17, s16, s5
	s_cselect_b32 s38, s19, s4
	s_mul_i32 s16, s16, s5
	s_ashr_i32 s39, s38, 31
	s_mul_hi_i32 s19, s18, s5
	s_lshl_b64 s[38:39], s[38:39], 2
	s_mul_i32 s18, s18, s5
	s_add_u32 s22, s34, s38
	s_addc_u32 s23, s35, s39
	s_clause 0x1
	s_load_b32 s39, s[26:27], 0x0
	s_load_b32 s38, s[36:37], 0x0
	s_or_b32 s20, s31, 0xd0
	s_mul_hi_i32 s27, s44, s5
	s_ashr_i32 s21, s20, 4
	s_cmp_lt_i32 s20, s28
	s_mul_i32 s20, s15, s5
	s_cselect_b32 s24, s21, s4
	s_mul_hi_i32 s21, s15, s5
	s_ashr_i32 s25, s24, 31
	s_mul_i32 s26, s44, s5
	s_lshl_b64 s[24:25], s[24:25], 2
	s_delay_alu instid0(SALU_CYCLE_1)
	s_add_u32 s24, s34, s24
	s_addc_u32 s25, s35, s25
	s_or_b32 s45, s31, 0xe0
	s_clause 0x2
	s_load_b32 s37, s[40:41], 0x0
	s_load_b32 s36, s[22:23], 0x0
	s_load_b32 s15, s[24:25], 0x0
	s_ashr_i32 s46, s45, 4
	s_cmp_lt_i32 s45, s28
	s_mul_hi_i32 s23, s42, s5
	s_mul_i32 s22, s42, s5
	s_cselect_b32 s42, s46, s4
	s_mul_hi_i32 s25, s43, s5
	s_mul_i32 s24, s43, s5
	s_ashr_i32 s43, s42, 31
	s_waitcnt lgkmcnt(0)
	s_mul_hi_i32 s41, s39, s5
	s_lshl_b64 s[42:43], s[42:43], 2
	s_mul_i32 s40, s39, s5
	s_add_u32 s42, s34, s42
	s_addc_u32 s43, s35, s43
	s_or_b32 s44, s31, 0xf0
	s_mul_hi_i32 s39, s38, s5
	s_ashr_i32 s46, s44, 4
	s_cmp_lt_i32 s44, s28
	s_mul_i32 s38, s38, s5
	s_cselect_b32 s46, s46, s4
	s_mul_hi_i32 s49, s15, s5
	s_ashr_i32 s47, s46, 31
	s_mul_i32 s48, s15, s5
	s_lshl_b64 s[46:47], s[46:47], 2
	s_mul_hi_i32 s45, s37, s5
	s_add_u32 s34, s34, s46
	s_addc_u32 s35, s35, s47
	s_add_u32 s4, s10, s2
	s_addc_u32 s15, s11, s3
	v_add_co_u32 v216, s4, s4, v125
	s_delay_alu instid0(VALU_DEP_1) | instskip(SKIP_2) | instid1(VALU_DEP_2)
	v_add_co_ci_u32_e64 v217, null, s15, 0, s4
	s_lshl_b64 s[2:3], s[6:7], 1
	s_lshl_b64 s[6:7], s[8:9], 1
	v_add_co_u32 v125, vcc_lo, v216, s2
	s_delay_alu instid0(VALU_DEP_2)
	v_add_co_ci_u32_e32 v126, vcc_lo, s3, v217, vcc_lo
	v_add_co_u32 v199, vcc_lo, v216, s6
	s_lshl_b64 s[8:9], s[12:13], 1
	v_add_co_ci_u32_e32 v200, vcc_lo, s7, v217, vcc_lo
	s_lshl_b64 s[10:11], s[16:17], 1
	s_lshl_b64 s[12:13], s[18:19], 1
	;; [unrolled: 1-line block ×8, first 2 shown]
	s_mul_i32 s44, s37, s5
	s_mul_hi_i32 s37, s36, s5
	s_lshl_b64 s[38:39], s[44:45], 1
	s_mul_i32 s36, s36, s5
	s_clause 0x1
	s_load_b32 s4, s[42:43], 0x0
	s_load_b32 s15, s[34:35], 0x0
	s_lshl_b64 s[36:37], s[36:37], 1
	s_lshl_b64 s[40:41], s[48:49], 1
	s_waitcnt lgkmcnt(0)
	s_mul_hi_i32 s3, s4, s5
	s_mul_i32 s2, s4, s5
	s_mul_hi_i32 s7, s15, s5
	s_lshl_b64 s[2:3], s[2:3], 1
	s_mul_i32 s6, s15, s5
	s_waitcnt vmcnt(30)
	v_wmma_f32_16x16x16_bf16 v[191:198], v[89:96], v[105:112], v[129:136]
	v_add_co_u32 v89, vcc_lo, v216, s8
	v_add_co_ci_u32_e32 v90, vcc_lo, s9, v217, vcc_lo
	v_add_co_u32 v91, vcc_lo, v216, s10
	v_add_co_ci_u32_e32 v92, vcc_lo, s11, v217, vcc_lo
	;; [unrolled: 2-line block ×5, first 2 shown]
	v_add_co_u32 v205, vcc_lo, v216, s20
	s_waitcnt vmcnt(28)
	v_wmma_f32_16x16x16_bf16 v[129:136], v[97:104], v[105:112], v[129:136]
	v_add_co_ci_u32_e32 v206, vcc_lo, s21, v217, vcc_lo
	v_add_co_u32 v207, vcc_lo, v216, s22
	v_add_co_ci_u32_e32 v208, vcc_lo, s23, v217, vcc_lo
	v_add_co_u32 v209, vcc_lo, v216, s24
	s_waitcnt vmcnt(26)
	v_wmma_f32_16x16x16_bf16 v[191:198], v[81:88], v[113:120], v[191:198]
	s_waitcnt vmcnt(24)
	v_wmma_f32_16x16x16_bf16 v[129:136], v[73:80], v[113:120], v[129:136]
	v_add_co_ci_u32_e32 v210, vcc_lo, s25, v217, vcc_lo
	v_add_co_u32 v211, vcc_lo, v216, s26
	v_add_co_ci_u32_e32 v212, vcc_lo, s27, v217, vcc_lo
	v_add_co_u32 v213, vcc_lo, v216, s38
	s_waitcnt vmcnt(22)
	v_wmma_f32_16x16x16_bf16 v[191:198], v[65:72], v[143:150], v[191:198]
	s_waitcnt vmcnt(20)
	v_wmma_f32_16x16x16_bf16 v[129:136], v[57:64], v[143:150], v[129:136]
	v_add_co_ci_u32_e32 v214, vcc_lo, s39, v217, vcc_lo
	v_add_co_u32 v143, vcc_lo, v216, s36
	s_waitcnt vmcnt(18)
	v_wmma_f32_16x16x16_bf16 v[191:198], v[49:56], v[151:158], v[191:198]
	s_waitcnt vmcnt(16)
	v_wmma_f32_16x16x16_bf16 v[129:136], v[41:48], v[151:158], v[129:136]
	v_add_co_ci_u32_e32 v144, vcc_lo, s37, v217, vcc_lo
	s_clause 0x15
	global_load_b128 v[121:124], v[125:126], off
	global_load_b128 v[125:128], v[125:126], off offset:16
	global_load_b128 v[113:116], v[199:200], off
	global_load_b128 v[117:120], v[199:200], off offset:16
	;; [unrolled: 2-line block ×11, first 2 shown]
	s_waitcnt vmcnt(36)
	v_wmma_f32_16x16x16_bf16 v[191:198], v[17:24], v[159:166], v[191:198]
	s_clause 0x1
	global_load_b128 v[17:20], v[213:214], off
	global_load_b128 v[21:24], v[213:214], off offset:16
	s_waitcnt vmcnt(36)
	v_wmma_f32_16x16x16_bf16 v[129:136], v[1:8], v[159:166], v[129:136]
	s_clause 0x1
	global_load_b128 v[1:4], v[143:144], off
	global_load_b128 v[5:8], v[143:144], off offset:16
	ds_load_b128 v[143:146], v215 offset:10240
	ds_load_b128 v[147:150], v215 offset:11264
	;; [unrolled: 1-line block ×4, first 2 shown]
	v_add_co_u32 v199, vcc_lo, v216, s40
	v_add_co_ci_u32_e32 v200, vcc_lo, s41, v217, vcc_lo
	v_add_co_u32 v159, vcc_lo, v216, s2
	v_add_co_ci_u32_e32 v160, vcc_lo, s3, v217, vcc_lo
	s_lshl_b64 s[2:3], s[6:7], 1
	s_delay_alu instid0(SALU_CYCLE_1)
	v_add_co_u32 v161, vcc_lo, v216, s2
	v_add_co_ci_u32_e32 v162, vcc_lo, s3, v217, vcc_lo
	s_waitcnt vmcnt(36) lgkmcnt(2)
	v_wmma_f32_16x16x16_bf16 v[191:198], v[33:40], v[143:150], v[191:198]
	s_waitcnt vmcnt(34)
	v_wmma_f32_16x16x16_bf16 v[129:136], v[25:32], v[143:150], v[129:136]
	s_clause 0x3
	global_load_b128 v[25:28], v[199:200], off
	global_load_b128 v[29:32], v[199:200], off offset:16
	global_load_b128 v[33:36], v[159:160], off
	global_load_b128 v[37:40], v[159:160], off offset:16
	v_and_b32_e32 v143, 0xe0, v0
	v_mbcnt_lo_u32_b32 v159, -1, 0
	s_waitcnt vmcnt(36) lgkmcnt(0)
	v_wmma_f32_16x16x16_bf16 v[191:198], v[9:16], v[151:158], v[191:198]
	s_clause 0x1
	global_load_b128 v[9:12], v[161:162], off
	global_load_b128 v[13:16], v[161:162], off offset:16
	s_waitcnt vmcnt(36)
	v_wmma_f32_16x16x16_bf16 v[129:136], v[167:174], v[151:158], v[129:136]
	v_add_nc_u32_e32 v160, s31, v143
	ds_load_b128 v[143:146], v215 offset:14336
	ds_load_b128 v[147:150], v215 offset:15360
	v_xor_b32_e32 v151, 16, v159
	s_waitcnt vmcnt(0) lgkmcnt(0)
	s_barrier
	v_or_b32_e32 v152, v160, v138
	buffer_gl0_inv
	v_cmp_gt_i32_e32 vcc_lo, 32, v151
	v_or_b32_e32 v153, 2, v152
	v_or_b32_e32 v154, 4, v152
	;; [unrolled: 1-line block ×5, first 2 shown]
	v_cmp_gt_i32_e64 s2, s28, v153
	v_cmp_gt_i32_e64 s3, s28, v154
	;; [unrolled: 1-line block ×3, first 2 shown]
	v_or_b32_e32 v158, 12, v152
	v_cmp_gt_i32_e64 s5, s28, v156
	v_cmp_gt_i32_e64 s6, s28, v157
	v_wmma_f32_16x16x16_bf16 v[191:198], v[175:182], v[143:150], v[191:198]
	v_wmma_f32_16x16x16_bf16 v[129:136], v[183:190], v[143:150], v[129:136]
	v_cndmask_b32_e32 v151, v159, v151, vcc_lo
	v_cmp_gt_i32_e32 vcc_lo, s28, v152
	v_or_b32_e32 v159, 14, v152
	v_dual_mul_f32 v149, s33, v192 :: v_dual_mul_f32 v150, s33, v191
	v_dual_mul_f32 v147, s33, v194 :: v_dual_mul_f32 v148, s33, v193
	;; [unrolled: 1-line block ×3, first 2 shown]
	s_delay_alu instid0(VALU_DEP_3) | instskip(NEXT) | instid1(VALU_DEP_4)
	v_cndmask_b32_e32 v150, 0xff7fffff, v150, vcc_lo
	v_cndmask_b32_e64 v149, 0xff7fffff, v149, s2
	v_mul_f32_e32 v146, s33, v195
	v_cndmask_b32_e64 v148, 0xff7fffff, v148, s3
	v_cndmask_b32_e64 v147, 0xff7fffff, v147, s4
	v_or_b32_e32 v160, 16, v152
	v_max3_f32 v149, v150, 0xff7fffff, v149
	v_or_b32_e32 v161, 18, v152
	v_mul_f32_e32 v144, s33, v197
	v_dual_mul_f32 v172, s33, v132 :: v_dual_mul_f32 v143, s33, v198
	v_lshlrev_b32_e32 v154, 2, v151
	v_cndmask_b32_e64 v146, 0xff7fffff, v146, s5
	v_cndmask_b32_e64 v145, 0xff7fffff, v145, s6
	v_max3_f32 v147, v149, v148, v147
	v_cmp_gt_i32_e64 s7, s28, v158
	v_cmp_gt_i32_e64 s8, s28, v159
	v_or_b32_e32 v162, 20, v152
	v_or_b32_e32 v163, 22, v152
	v_mul_f32_e32 v175, s33, v129
	v_cndmask_b32_e64 v144, 0xff7fffff, v144, s7
	v_cndmask_b32_e64 v143, 0xff7fffff, v143, s8
	v_max3_f32 v145, v147, v146, v145
	v_cmp_gt_i32_e64 s9, s28, v160
	v_cmp_gt_i32_e64 s10, s28, v161
	v_or_b32_e32 v164, 24, v152
	v_or_b32_e32 v165, 26, v152
	v_mul_f32_e32 v173, s33, v131
	v_cndmask_b32_e64 v146, 0xff7fffff, v175, s9
	v_cndmask_b32_e64 v147, 0xff7fffff, v174, s10
	v_max3_f32 v143, v145, v144, v143
	v_cmp_gt_i32_e64 s11, s28, v162
	v_cmp_gt_i32_e64 s12, s28, v163
	v_or_b32_e32 v166, 28, v152
	v_or_b32_e32 v167, 30, v152
	v_dual_mul_f32 v170, s33, v134 :: v_dual_mul_f32 v171, s33, v133
	v_cndmask_b32_e64 v144, 0xff7fffff, v173, s11
	v_cndmask_b32_e64 v145, 0xff7fffff, v172, s12
	v_max3_f32 v143, v143, v146, v147
	v_cmp_gt_i32_e64 s13, s28, v164
	v_cmp_gt_i32_e64 s15, s28, v165
	v_dual_mul_f32 v168, s33, v136 :: v_dual_mul_f32 v169, s33, v135
	s_delay_alu instid0(VALU_DEP_4) | instskip(NEXT) | instid1(VALU_DEP_4)
	v_max3_f32 v143, v143, v144, v145
	v_cndmask_b32_e64 v146, 0xff7fffff, v171, s13
	s_delay_alu instid0(VALU_DEP_4) | instskip(SKIP_2) | instid1(VALU_DEP_3)
	v_cndmask_b32_e64 v147, 0xff7fffff, v170, s15
	v_cmp_gt_i32_e64 s16, s28, v166
	v_cmp_gt_i32_e64 s17, s28, v167
	v_max3_f32 v143, v143, v146, v147
	s_delay_alu instid0(VALU_DEP_3) | instskip(NEXT) | instid1(VALU_DEP_3)
	v_cndmask_b32_e64 v144, 0xff7fffff, v169, s16
	v_cndmask_b32_e64 v145, 0xff7fffff, v168, s17
	s_delay_alu instid0(VALU_DEP_1) | instskip(SKIP_3) | instid1(VALU_DEP_1)
	v_max3_f32 v143, v143, v144, v145
	ds_bpermute_b32 v144, v154, v143
	s_waitcnt lgkmcnt(0)
	v_max_f32_e32 v144, v144, v144
	v_max_f32_e32 v153, v143, v144
	s_delay_alu instid0(VALU_DEP_1)
	v_fma_f32 v146, s33, v194, -v153
	v_fma_f32 v143, s33, v191, -v153
	;; [unrolled: 1-line block ×5, first 2 shown]
	v_mul_f32_e32 v146, 0x3fb8aa3b, v146
	v_fma_f32 v150, s33, v197, -v153
	s_delay_alu instid0(VALU_DEP_4) | instskip(NEXT) | instid1(VALU_DEP_4)
	v_dual_mul_f32 v147, 0x3fb8aa3b, v147 :: v_dual_mul_f32 v144, 0x3fb8aa3b, v144
	v_mul_f32_e32 v130, 0x3fb8aa3b, v130
	s_delay_alu instid0(VALU_DEP_4) | instskip(NEXT) | instid1(VALU_DEP_3)
	v_exp_f32_e32 v149, v146
	v_mul_f32_e32 v150, 0x3fb8aa3b, v150
	s_delay_alu instid0(VALU_DEP_3)
	v_exp_f32_e32 v151, v147
	v_exp_f32_e32 v144, v144
	v_fma_f32 v145, s33, v193, -v153
	v_fma_f32 v148, s33, v196, -v153
	v_exp_f32_e32 v152, v150
	v_fma_f32 v129, s33, v129, -v153
	v_fma_f32 v131, s33, v131, -v153
	;; [unrolled: 1-line block ×3, first 2 shown]
	v_cndmask_b32_e64 v149, 0, v149, s4
	v_mul_f32_e32 v143, 0x3fb8aa3b, v143
	v_cndmask_b32_e64 v150, 0, v151, s5
	v_cndmask_b32_e64 v146, 0, v144, s2
	v_dual_mul_f32 v148, 0x3fb8aa3b, v148 :: v_dual_mul_f32 v131, 0x3fb8aa3b, v131
	v_mul_f32_e32 v132, 0x3fb8aa3b, v132
	v_exp_f32_e32 v143, v143
	v_exp_f32_e32 v130, v130
	s_delay_alu instid0(VALU_DEP_2)
	v_exp_f32_e32 v148, v148
	v_fma_f32 v133, s33, v133, -v153
	v_fma_f32 v134, s33, v134, -v153
	;; [unrolled: 1-line block ×3, first 2 shown]
	s_mov_b32 s2, exec_lo
	s_delay_alu instid0(TRANS32_DEP_3) | instid1(VALU_DEP_2)
	v_dual_mul_f32 v134, 0x3fb8aa3b, v134 :: v_dual_cndmask_b32 v143, 0, v143
	s_waitcnt_depctr 0xfff
	v_cndmask_b32_e64 v151, 0, v148, s6
	v_cndmask_b32_e64 v148, 0, v152, s7
	v_add_f32_e32 v144, 0, v143
	s_delay_alu instid0(VALU_DEP_1) | instskip(NEXT) | instid1(VALU_DEP_1)
	v_dual_add_f32 v144, v144, v146 :: v_dual_mul_f32 v145, 0x3fb8aa3b, v145
	v_exp_f32_e32 v145, v145
	s_waitcnt_depctr 0xfff
	v_cndmask_b32_e64 v147, 0, v145, s3
	v_fma_f32 v145, s33, v198, -v153
	s_delay_alu instid0(VALU_DEP_2) | instskip(NEXT) | instid1(VALU_DEP_1)
	v_add_f32_e32 v144, v144, v147
	v_add_f32_e32 v144, v144, v149
	s_delay_alu instid0(VALU_DEP_1) | instskip(NEXT) | instid1(VALU_DEP_1)
	v_dual_add_f32 v144, v144, v150 :: v_dual_mul_f32 v145, 0x3fb8aa3b, v145
	v_dual_add_f32 v144, v144, v151 :: v_dual_mul_f32 v129, 0x3fb8aa3b, v129
	s_delay_alu instid0(VALU_DEP_2) | instskip(NEXT) | instid1(VALU_DEP_1)
	v_exp_f32_e32 v145, v145
	v_add_f32_e32 v144, v144, v148
	s_delay_alu instid0(VALU_DEP_2) | instskip(SKIP_4) | instid1(VALU_DEP_2)
	v_exp_f32_e32 v129, v129
	s_waitcnt_depctr 0xfff
	v_cndmask_b32_e64 v152, 0, v145, s8
	v_exp_f32_e32 v145, v131
	v_cndmask_b32_e64 v131, 0, v129, s9
	v_add_f32_e32 v129, v144, v152
	v_exp_f32_e32 v144, v132
	v_cndmask_b32_e64 v132, 0, v130, s10
	v_fma_f32 v130, s33, v135, -v153
	v_mul_f32_e32 v133, 0x3fb8aa3b, v133
	s_delay_alu instid0(VALU_DEP_2) | instskip(NEXT) | instid1(VALU_DEP_2)
	v_dual_add_f32 v129, v129, v131 :: v_dual_mul_f32 v130, 0x3fb8aa3b, v130
	v_exp_f32_e32 v135, v133
	s_delay_alu instid0(TRANS32_DEP_3) | instskip(SKIP_1) | instid1(TRANS32_DEP_3)
	v_cndmask_b32_e64 v133, 0, v145, s11
	v_exp_f32_e32 v145, v134
	v_cndmask_b32_e64 v134, 0, v144, s12
	v_mul_f32_e32 v144, 0x3fb8aa3b, v136
	v_add_f32_e32 v129, v129, v132
	v_exp_f32_e32 v130, v130
	s_delay_alu instid0(VALU_DEP_1) | instskip(NEXT) | instid1(TRANS32_DEP_3)
	v_add_f32_e32 v129, v129, v133
	v_cndmask_b32_e64 v135, 0, v135, s13
	s_delay_alu instid0(TRANS32_DEP_2) | instskip(SKIP_1) | instid1(VALU_DEP_3)
	v_cndmask_b32_e64 v136, 0, v145, s15
	v_exp_f32_e32 v145, v144
	v_add_f32_e32 v129, v129, v134
	s_waitcnt_depctr 0xfff
	v_cndmask_b32_e64 v144, 0, v130, s16
	v_add_f32_e32 v129, v129, v135
	v_cndmask_b32_e64 v145, 0, v145, s17
	s_delay_alu instid0(VALU_DEP_2) | instskip(NEXT) | instid1(VALU_DEP_1)
	v_add_f32_e32 v129, v129, v136
	v_add_f32_e32 v129, v129, v144
	s_delay_alu instid0(VALU_DEP_1)
	v_add_f32_e32 v129, v129, v145
	ds_bpermute_b32 v130, v154, v129
	v_cmpx_gt_u32_e32 16, v142
	s_cbranch_execz .LBB621_12
; %bb.11:
	v_mul_u32_u24_e32 v142, 0x44, v140
	s_waitcnt lgkmcnt(0)
	v_add_f32_e32 v129, v129, v130
	s_delay_alu instid0(VALU_DEP_2) | instskip(NEXT) | instid1(VALU_DEP_1)
	v_lshl_add_u32 v142, v141, 2, v142
	v_add_nc_u32_e32 v130, 0x4000, v142
	ds_store_2addr_b32 v130, v153, v129 offset1:136
.LBB621_12:
	s_or_b32 exec_lo, exec_lo, s2
	v_lshlrev_b32_e32 v129, 2, v141
	s_waitcnt lgkmcnt(0)
	s_barrier
	buffer_gl0_inv
	v_cmp_eq_u32_e64 s2, 1, v140
	v_add_nc_u32_e32 v142, 0x4000, v129
	ds_load_2addr_b32 v[153:154], v142 offset1:17
	ds_load_2addr_b32 v[155:156], v142 offset0:34 offset1:51
	ds_load_2addr_b32 v[157:158], v142 offset0:68 offset1:85
	;; [unrolled: 1-line block ×4, first 2 shown]
	s_waitcnt lgkmcnt(4)
	v_max3_f32 v129, v153, 0xff7fffff, v154
	s_waitcnt lgkmcnt(3)
	s_delay_alu instid0(VALU_DEP_1) | instskip(SKIP_1) | instid1(VALU_DEP_1)
	v_max3_f32 v129, v129, v155, v156
	s_waitcnt lgkmcnt(2)
	v_max3_f32 v129, v129, v157, v158
	s_waitcnt lgkmcnt(1)
	s_delay_alu instid0(VALU_DEP_1) | instskip(NEXT) | instid1(VALU_DEP_1)
	v_max3_f32 v129, v129, v159, v160
	v_sub_f32_e32 v163, v154, v129
	v_sub_f32_e32 v130, v153, v129
	ds_load_2addr_b32 v[153:154], v142 offset0:170 offset1:187
	v_sub_f32_e32 v155, v155, v129
	v_dual_mul_f32 v163, 0x3fb8aa3b, v163 :: v_dual_mul_f32 v130, 0x3fb8aa3b, v130
	s_delay_alu instid0(VALU_DEP_2) | instskip(NEXT) | instid1(VALU_DEP_2)
	v_mul_f32_e32 v165, 0x3fb8aa3b, v155
	v_exp_f32_e32 v163, v163
	s_delay_alu instid0(VALU_DEP_2)
	v_exp_f32_e32 v164, v130
	v_sub_f32_e32 v130, v156, v129
	ds_load_2addr_b32 v[155:156], v142 offset0:204 offset1:221
	v_exp_f32_e32 v165, v165
	v_mul_f32_e32 v166, 0x3fb8aa3b, v130
	s_waitcnt lgkmcnt(2)
	v_fma_f32 v130, v164, v161, 0
	v_sub_f32_e32 v157, v157, v129
	s_delay_alu instid0(VALU_DEP_3) | instskip(NEXT) | instid1(VALU_DEP_2)
	v_exp_f32_e32 v166, v166
	v_dual_sub_f32 v161, v158, v129 :: v_dual_fmac_f32 v130, v163, v162
	s_waitcnt lgkmcnt(1)
	s_waitcnt_depctr 0xfff
	v_fmac_f32_e32 v130, v165, v153
	v_mul_f32_e32 v167, 0x3fb8aa3b, v157
	ds_load_2addr_b32 v[157:158], v142 offset0:238 offset1:255
	v_sub_f32_e32 v142, v159, v129
	v_dual_sub_f32 v153, v160, v129 :: v_dual_fmac_f32 v130, v166, v154
	v_mul_f32_e32 v159, 0x3fb8aa3b, v161
	v_exp_f32_e32 v161, v167
	s_delay_alu instid0(VALU_DEP_2)
	v_dual_mul_f32 v142, 0x3fb8aa3b, v142 :: v_dual_mul_f32 v153, 0x3fb8aa3b, v153
	s_waitcnt lgkmcnt(0)
	s_barrier
	buffer_gl0_inv
	v_exp_f32_e32 v142, v142
	v_exp_f32_e32 v153, v153
	v_fmac_f32_e32 v130, v161, v155
	v_exp_f32_e32 v159, v159
	s_waitcnt_depctr 0xfff
	v_fmac_f32_e32 v130, v159, v156
	s_delay_alu instid0(VALU_DEP_1) | instskip(NEXT) | instid1(VALU_DEP_1)
	v_fmac_f32_e32 v130, v142, v157
	v_fmac_f32_e32 v130, v153, v158
	s_delay_alu instid0(VALU_DEP_1) | instskip(NEXT) | instid1(VALU_DEP_1)
	v_add_f32_e32 v154, 0x358637bd, v130
	v_div_scale_f32 v155, null, v154, v154, 1.0
	v_div_scale_f32 v158, vcc_lo, 1.0, v154, 1.0
	s_delay_alu instid0(VALU_DEP_2) | instskip(SKIP_2) | instid1(VALU_DEP_1)
	v_rcp_f32_e32 v156, v155
	s_waitcnt_depctr 0xfff
	v_fma_f32 v157, -v155, v156, 1.0
	v_fmac_f32_e32 v156, v157, v156
	v_cndmask_b32_e64 v157, v164, v163, s2
	v_cmp_eq_u32_e64 s2, 2, v140
	s_delay_alu instid0(VALU_DEP_3) | instskip(NEXT) | instid1(VALU_DEP_2)
	v_mul_f32_e32 v160, v158, v156
	v_cndmask_b32_e64 v157, v157, v165, s2
	v_cmp_eq_u32_e64 s2, 3, v140
	s_delay_alu instid0(VALU_DEP_3) | instskip(NEXT) | instid1(VALU_DEP_2)
	v_fma_f32 v162, -v155, v160, v158
	v_cndmask_b32_e64 v157, v157, v166, s2
	v_cmp_eq_u32_e64 s2, 4, v140
	s_delay_alu instid0(VALU_DEP_3) | instskip(NEXT) | instid1(VALU_DEP_2)
	v_fmac_f32_e32 v160, v162, v156
	v_cndmask_b32_e64 v157, v157, v161, s2
	s_delay_alu instid0(VALU_DEP_2) | instskip(SKIP_1) | instid1(VALU_DEP_2)
	v_fma_f32 v155, -v155, v160, v158
	v_cmp_eq_u32_e64 s2, 5, v140
	v_div_fmas_f32 v155, v155, v156, v160
	s_delay_alu instid0(VALU_DEP_2) | instskip(SKIP_2) | instid1(VALU_DEP_3)
	v_cndmask_b32_e64 v157, v157, v159, s2
	v_cmp_eq_u32_e32 vcc_lo, 6, v140
	s_mov_b32 s2, exec_lo
	v_div_fixup_f32 v154, v155, v154, 1.0
	s_delay_alu instid0(VALU_DEP_3) | instskip(SKIP_1) | instid1(VALU_DEP_2)
	v_cndmask_b32_e32 v142, v157, v142, vcc_lo
	v_cmp_eq_u32_e32 vcc_lo, 7, v140
	v_cndmask_b32_e32 v142, v142, v153, vcc_lo
	s_delay_alu instid0(VALU_DEP_1) | instskip(NEXT) | instid1(VALU_DEP_1)
	v_mul_f32_e32 v142, v142, v154
	v_mul_f32_e32 v151, v142, v151
	;; [unrolled: 1-line block ×7, first 2 shown]
	v_dual_mul_f32 v150, v142, v147 :: v_dual_and_b32 v155, 0x7f800000, v154
	v_mul_f32_e32 v149, v142, v146
                                        ; implicit-def: $vgpr146
	s_delay_alu instid0(VALU_DEP_2)
	v_cmpx_ne_u32_e32 0x7f800000, v155
	s_xor_b32 s2, exec_lo, s2
; %bb.13:
	v_bfe_u32 v146, v154, 16, 1
	s_delay_alu instid0(VALU_DEP_1)
	v_add3_u32 v146, v154, v146, 0x7fff
                                        ; implicit-def: $vgpr154
; %bb.14:
	s_and_not1_saveexec_b32 s2, s2
; %bb.15:
	v_and_b32_e32 v146, 0xffff, v154
	v_or_b32_e32 v147, 0x10000, v154
	s_delay_alu instid0(VALU_DEP_2) | instskip(NEXT) | instid1(VALU_DEP_2)
	v_cmp_eq_u32_e32 vcc_lo, 0, v146
	v_cndmask_b32_e32 v146, v147, v154, vcc_lo
; %bb.16:
	s_or_b32 exec_lo, exec_lo, s2
	v_and_b32_e32 v147, 0x7f800000, v149
	s_delay_alu instid0(VALU_DEP_1) | instskip(SKIP_1) | instid1(SALU_CYCLE_1)
	v_cmp_ne_u32_e32 vcc_lo, 0x7f800000, v147
                                        ; implicit-def: $vgpr147
	s_and_saveexec_b32 s2, vcc_lo
	s_xor_b32 s2, exec_lo, s2
; %bb.17:
	v_bfe_u32 v147, v149, 16, 1
	s_delay_alu instid0(VALU_DEP_1)
	v_add3_u32 v147, v149, v147, 0x7fff
                                        ; implicit-def: $vgpr149
; %bb.18:
	s_and_not1_saveexec_b32 s2, s2
; %bb.19:
	v_and_b32_e32 v147, 0xffff, v149
	v_or_b32_e32 v154, 0x10000, v149
	s_delay_alu instid0(VALU_DEP_2) | instskip(NEXT) | instid1(VALU_DEP_2)
	v_cmp_eq_u32_e32 vcc_lo, 0, v147
	v_cndmask_b32_e32 v147, v154, v149, vcc_lo
; %bb.20:
	s_or_b32 exec_lo, exec_lo, s2
	v_and_b32_e32 v149, 0x7f800000, v150
	s_delay_alu instid0(VALU_DEP_1) | instskip(SKIP_1) | instid1(SALU_CYCLE_1)
	v_cmp_ne_u32_e32 vcc_lo, 0x7f800000, v149
                                        ; implicit-def: $vgpr149
	s_and_saveexec_b32 s2, vcc_lo
	s_xor_b32 s2, exec_lo, s2
; %bb.21:
	v_bfe_u32 v149, v150, 16, 1
	s_delay_alu instid0(VALU_DEP_1)
	v_add3_u32 v149, v150, v149, 0x7fff
                                        ; implicit-def: $vgpr150
; %bb.22:
	s_and_not1_saveexec_b32 s2, s2
; %bb.23:
	v_and_b32_e32 v149, 0xffff, v150
	v_or_b32_e32 v154, 0x10000, v150
	s_delay_alu instid0(VALU_DEP_2) | instskip(NEXT) | instid1(VALU_DEP_2)
	v_cmp_eq_u32_e32 vcc_lo, 0, v149
	v_cndmask_b32_e32 v149, v154, v150, vcc_lo
; %bb.24:
	s_or_b32 exec_lo, exec_lo, s2
	v_and_b32_e32 v150, 0x7f800000, v153
	s_delay_alu instid0(VALU_DEP_1) | instskip(SKIP_1) | instid1(SALU_CYCLE_1)
	v_cmp_ne_u32_e32 vcc_lo, 0x7f800000, v150
                                        ; implicit-def: $vgpr150
	s_and_saveexec_b32 s2, vcc_lo
	s_xor_b32 s2, exec_lo, s2
; %bb.25:
	v_bfe_u32 v150, v153, 16, 1
	s_delay_alu instid0(VALU_DEP_1)
	v_add3_u32 v150, v153, v150, 0x7fff
                                        ; implicit-def: $vgpr153
; %bb.26:
	s_and_not1_saveexec_b32 s2, s2
; %bb.27:
	v_and_b32_e32 v150, 0xffff, v153
	v_or_b32_e32 v154, 0x10000, v153
	s_delay_alu instid0(VALU_DEP_2) | instskip(NEXT) | instid1(VALU_DEP_2)
	v_cmp_eq_u32_e32 vcc_lo, 0, v150
	v_cndmask_b32_e32 v150, v154, v153, vcc_lo
; %bb.28:
	s_or_b32 exec_lo, exec_lo, s2
	v_and_b32_e32 v153, 0x7f800000, v152
	s_delay_alu instid0(VALU_DEP_1) | instskip(SKIP_1) | instid1(SALU_CYCLE_1)
	v_cmp_ne_u32_e32 vcc_lo, 0x7f800000, v153
                                        ; implicit-def: $vgpr153
	s_and_saveexec_b32 s2, vcc_lo
	s_xor_b32 s2, exec_lo, s2
; %bb.29:
	v_bfe_u32 v153, v152, 16, 1
	s_delay_alu instid0(VALU_DEP_1)
	v_add3_u32 v153, v152, v153, 0x7fff
                                        ; implicit-def: $vgpr152
; %bb.30:
	s_and_not1_saveexec_b32 s2, s2
; %bb.31:
	v_and_b32_e32 v153, 0xffff, v152
	v_or_b32_e32 v154, 0x10000, v152
	s_delay_alu instid0(VALU_DEP_2) | instskip(NEXT) | instid1(VALU_DEP_2)
	v_cmp_eq_u32_e32 vcc_lo, 0, v153
	v_cndmask_b32_e32 v153, v154, v152, vcc_lo
; %bb.32:
	s_or_b32 exec_lo, exec_lo, s2
	v_and_b32_e32 v152, 0x7f800000, v151
	s_delay_alu instid0(VALU_DEP_1) | instskip(SKIP_1) | instid1(SALU_CYCLE_1)
	v_cmp_ne_u32_e32 vcc_lo, 0x7f800000, v152
                                        ; implicit-def: $vgpr152
	s_and_saveexec_b32 s2, vcc_lo
	s_xor_b32 s2, exec_lo, s2
; %bb.33:
	v_bfe_u32 v152, v151, 16, 1
	s_delay_alu instid0(VALU_DEP_1)
	v_add3_u32 v152, v151, v152, 0x7fff
                                        ; implicit-def: $vgpr151
; %bb.34:
	s_and_not1_saveexec_b32 s2, s2
; %bb.35:
	v_and_b32_e32 v152, 0xffff, v151
	v_or_b32_e32 v154, 0x10000, v151
	s_delay_alu instid0(VALU_DEP_2) | instskip(NEXT) | instid1(VALU_DEP_2)
	v_cmp_eq_u32_e32 vcc_lo, 0, v152
	v_cndmask_b32_e32 v152, v154, v151, vcc_lo
; %bb.36:
	s_or_b32 exec_lo, exec_lo, s2
	v_and_b32_e32 v151, 0x7f800000, v148
	s_delay_alu instid0(VALU_DEP_1) | instskip(SKIP_1) | instid1(SALU_CYCLE_1)
	v_cmp_ne_u32_e32 vcc_lo, 0x7f800000, v151
                                        ; implicit-def: $vgpr151
	s_and_saveexec_b32 s2, vcc_lo
	s_xor_b32 s2, exec_lo, s2
; %bb.37:
	v_bfe_u32 v151, v148, 16, 1
	s_delay_alu instid0(VALU_DEP_1)
	v_add3_u32 v151, v148, v151, 0x7fff
                                        ; implicit-def: $vgpr148
; %bb.38:
	s_and_not1_saveexec_b32 s2, s2
; %bb.39:
	v_and_b32_e32 v151, 0xffff, v148
	v_or_b32_e32 v154, 0x10000, v148
	s_delay_alu instid0(VALU_DEP_2) | instskip(NEXT) | instid1(VALU_DEP_2)
	v_cmp_eq_u32_e32 vcc_lo, 0, v151
	v_cndmask_b32_e32 v151, v154, v148, vcc_lo
; %bb.40:
	s_or_b32 exec_lo, exec_lo, s2
	v_and_b32_e32 v148, 0x7f800000, v143
	s_delay_alu instid0(VALU_DEP_1) | instskip(SKIP_1) | instid1(SALU_CYCLE_1)
	v_cmp_ne_u32_e32 vcc_lo, 0x7f800000, v148
                                        ; implicit-def: $vgpr148
	s_and_saveexec_b32 s2, vcc_lo
	s_xor_b32 s2, exec_lo, s2
; %bb.41:
	v_bfe_u32 v148, v143, 16, 1
	s_delay_alu instid0(VALU_DEP_1)
	v_add3_u32 v148, v143, v148, 0x7fff
                                        ; implicit-def: $vgpr143
; %bb.42:
	s_and_not1_saveexec_b32 s2, s2
; %bb.43:
	v_and_b32_e32 v148, 0xffff, v143
	v_or_b32_e32 v154, 0x10000, v143
	s_delay_alu instid0(VALU_DEP_2) | instskip(NEXT) | instid1(VALU_DEP_2)
	v_cmp_eq_u32_e32 vcc_lo, 0, v148
	v_cndmask_b32_e32 v148, v154, v143, vcc_lo
; %bb.44:
	s_or_b32 exec_lo, exec_lo, s2
	s_load_b64 s[34:35], s[0:1], 0x94
	v_dual_mul_f32 v144, v142, v144 :: v_dual_lshlrev_b32 v155, 4, v138
	s_delay_alu instid0(VALU_DEP_2)
	v_perm_b32 v154, v148, v151, 0x7060302
	v_dual_mul_f32 v136, v142, v136 :: v_dual_lshlrev_b32 v143, 6, v141
	v_lshlrev_b32_e32 v141, 11, v140
	v_perm_b32 v151, v147, v146, 0x7060302
	v_mul_f32_e32 v146, v142, v133
	v_mul_f32_e32 v147, v142, v131
	v_perm_b32 v153, v152, v153, 0x7060302
	v_perm_b32 v152, v150, v149, 0x7060302
	v_or3_b32 v131, v155, v141, v143
	s_delay_alu instid0(VALU_DEP_4)
	v_dual_mul_f32 v141, v142, v145 :: v_dual_and_b32 v148, 0x7f800000, v147
	v_mul_f32_e32 v135, v142, v135
	v_mul_f32_e32 v145, v142, v134
	;; [unrolled: 1-line block ×3, first 2 shown]
	s_mov_b32 s2, exec_lo
	ds_store_b128 v131, v[151:154]
                                        ; implicit-def: $vgpr132
	v_cmpx_ne_u32_e32 0x7f800000, v148
	s_xor_b32 s2, exec_lo, s2
; %bb.45:
	v_bfe_u32 v132, v147, 16, 1
	s_delay_alu instid0(VALU_DEP_1)
	v_add3_u32 v132, v147, v132, 0x7fff
                                        ; implicit-def: $vgpr147
; %bb.46:
	s_and_not1_saveexec_b32 s2, s2
; %bb.47:
	v_and_b32_e32 v132, 0xffff, v147
	v_or_b32_e32 v133, 0x10000, v147
	s_delay_alu instid0(VALU_DEP_2) | instskip(NEXT) | instid1(VALU_DEP_2)
	v_cmp_eq_u32_e32 vcc_lo, 0, v132
	v_cndmask_b32_e32 v132, v133, v147, vcc_lo
; %bb.48:
	s_or_b32 exec_lo, exec_lo, s2
	v_and_b32_e32 v133, 0x7f800000, v134
	s_delay_alu instid0(VALU_DEP_1) | instskip(SKIP_1) | instid1(SALU_CYCLE_1)
	v_cmp_ne_u32_e32 vcc_lo, 0x7f800000, v133
                                        ; implicit-def: $vgpr133
	s_and_saveexec_b32 s2, vcc_lo
	s_xor_b32 s2, exec_lo, s2
; %bb.49:
	v_bfe_u32 v133, v134, 16, 1
	s_delay_alu instid0(VALU_DEP_1)
	v_add3_u32 v133, v134, v133, 0x7fff
                                        ; implicit-def: $vgpr134
; %bb.50:
	s_and_not1_saveexec_b32 s2, s2
; %bb.51:
	v_and_b32_e32 v133, 0xffff, v134
	v_or_b32_e32 v142, 0x10000, v134
	s_delay_alu instid0(VALU_DEP_2) | instskip(NEXT) | instid1(VALU_DEP_2)
	v_cmp_eq_u32_e32 vcc_lo, 0, v133
	v_cndmask_b32_e32 v133, v142, v134, vcc_lo
; %bb.52:
	s_or_b32 exec_lo, exec_lo, s2
	v_and_b32_e32 v134, 0x7f800000, v146
	s_delay_alu instid0(VALU_DEP_1) | instskip(SKIP_1) | instid1(SALU_CYCLE_1)
	v_cmp_ne_u32_e32 vcc_lo, 0x7f800000, v134
                                        ; implicit-def: $vgpr134
	s_and_saveexec_b32 s2, vcc_lo
	s_xor_b32 s2, exec_lo, s2
; %bb.53:
	v_bfe_u32 v134, v146, 16, 1
	s_delay_alu instid0(VALU_DEP_1)
	v_add3_u32 v134, v146, v134, 0x7fff
                                        ; implicit-def: $vgpr146
; %bb.54:
	s_and_not1_saveexec_b32 s2, s2
; %bb.55:
	v_and_b32_e32 v134, 0xffff, v146
	v_or_b32_e32 v142, 0x10000, v146
	s_delay_alu instid0(VALU_DEP_2) | instskip(NEXT) | instid1(VALU_DEP_2)
	v_cmp_eq_u32_e32 vcc_lo, 0, v134
	v_cndmask_b32_e32 v134, v142, v146, vcc_lo
; %bb.56:
	s_or_b32 exec_lo, exec_lo, s2
	v_and_b32_e32 v142, 0x7f800000, v145
	s_delay_alu instid0(VALU_DEP_1) | instskip(SKIP_1) | instid1(SALU_CYCLE_1)
	v_cmp_ne_u32_e32 vcc_lo, 0x7f800000, v142
                                        ; implicit-def: $vgpr142
	s_and_saveexec_b32 s2, vcc_lo
	s_xor_b32 s2, exec_lo, s2
; %bb.57:
	v_bfe_u32 v142, v145, 16, 1
	s_delay_alu instid0(VALU_DEP_1)
	v_add3_u32 v142, v145, v142, 0x7fff
                                        ; implicit-def: $vgpr145
; %bb.58:
	s_and_not1_saveexec_b32 s2, s2
; %bb.59:
	v_and_b32_e32 v142, 0xffff, v145
	v_or_b32_e32 v146, 0x10000, v145
	s_delay_alu instid0(VALU_DEP_2) | instskip(NEXT) | instid1(VALU_DEP_2)
	v_cmp_eq_u32_e32 vcc_lo, 0, v142
	v_cndmask_b32_e32 v142, v146, v145, vcc_lo
; %bb.60:
	s_or_b32 exec_lo, exec_lo, s2
	v_and_b32_e32 v145, 0x7f800000, v135
	s_delay_alu instid0(VALU_DEP_1) | instskip(SKIP_1) | instid1(SALU_CYCLE_1)
	v_cmp_ne_u32_e32 vcc_lo, 0x7f800000, v145
                                        ; implicit-def: $vgpr145
	s_and_saveexec_b32 s2, vcc_lo
	s_xor_b32 s2, exec_lo, s2
; %bb.61:
	v_bfe_u32 v145, v135, 16, 1
	s_delay_alu instid0(VALU_DEP_1)
	v_add3_u32 v145, v135, v145, 0x7fff
                                        ; implicit-def: $vgpr135
; %bb.62:
	s_and_not1_saveexec_b32 s2, s2
; %bb.63:
	v_and_b32_e32 v145, 0xffff, v135
	v_or_b32_e32 v146, 0x10000, v135
	s_delay_alu instid0(VALU_DEP_2) | instskip(NEXT) | instid1(VALU_DEP_2)
	v_cmp_eq_u32_e32 vcc_lo, 0, v145
	v_cndmask_b32_e32 v145, v146, v135, vcc_lo
; %bb.64:
	s_or_b32 exec_lo, exec_lo, s2
	v_and_b32_e32 v135, 0x7f800000, v136
	s_delay_alu instid0(VALU_DEP_1) | instskip(SKIP_1) | instid1(SALU_CYCLE_1)
	v_cmp_ne_u32_e32 vcc_lo, 0x7f800000, v135
                                        ; implicit-def: $vgpr135
	s_and_saveexec_b32 s2, vcc_lo
	s_xor_b32 s2, exec_lo, s2
; %bb.65:
	v_bfe_u32 v135, v136, 16, 1
	s_delay_alu instid0(VALU_DEP_1)
	v_add3_u32 v135, v136, v135, 0x7fff
                                        ; implicit-def: $vgpr136
; %bb.66:
	s_and_not1_saveexec_b32 s2, s2
; %bb.67:
	v_and_b32_e32 v135, 0xffff, v136
	v_or_b32_e32 v146, 0x10000, v136
	s_delay_alu instid0(VALU_DEP_2) | instskip(NEXT) | instid1(VALU_DEP_2)
	v_cmp_eq_u32_e32 vcc_lo, 0, v135
	v_cndmask_b32_e32 v135, v146, v136, vcc_lo
; %bb.68:
	s_or_b32 exec_lo, exec_lo, s2
	v_and_b32_e32 v136, 0x7f800000, v144
	s_delay_alu instid0(VALU_DEP_1) | instskip(SKIP_1) | instid1(SALU_CYCLE_1)
	v_cmp_ne_u32_e32 vcc_lo, 0x7f800000, v136
                                        ; implicit-def: $vgpr136
	s_and_saveexec_b32 s2, vcc_lo
	s_xor_b32 s2, exec_lo, s2
; %bb.69:
	v_bfe_u32 v136, v144, 16, 1
	s_delay_alu instid0(VALU_DEP_1)
	v_add3_u32 v136, v144, v136, 0x7fff
                                        ; implicit-def: $vgpr144
; %bb.70:
	s_and_not1_saveexec_b32 s2, s2
; %bb.71:
	v_and_b32_e32 v136, 0xffff, v144
	v_or_b32_e32 v146, 0x10000, v144
	s_delay_alu instid0(VALU_DEP_2) | instskip(NEXT) | instid1(VALU_DEP_2)
	v_cmp_eq_u32_e32 vcc_lo, 0, v136
	v_cndmask_b32_e32 v136, v146, v144, vcc_lo
; %bb.72:
	s_or_b32 exec_lo, exec_lo, s2
	v_and_b32_e32 v144, 0x7f800000, v141
	s_delay_alu instid0(VALU_DEP_1) | instskip(SKIP_1) | instid1(SALU_CYCLE_1)
	v_cmp_ne_u32_e32 vcc_lo, 0x7f800000, v144
                                        ; implicit-def: $vgpr144
	s_and_saveexec_b32 s2, vcc_lo
	s_xor_b32 s2, exec_lo, s2
; %bb.73:
	v_bfe_u32 v144, v141, 16, 1
	s_delay_alu instid0(VALU_DEP_1)
	v_add3_u32 v144, v141, v144, 0x7fff
                                        ; implicit-def: $vgpr141
; %bb.74:
	s_and_not1_saveexec_b32 s2, s2
; %bb.75:
	v_and_b32_e32 v144, 0xffff, v141
	v_or_b32_e32 v146, 0x10000, v141
	s_delay_alu instid0(VALU_DEP_2) | instskip(NEXT) | instid1(VALU_DEP_2)
	v_cmp_eq_u32_e32 vcc_lo, 0, v144
	v_cndmask_b32_e32 v144, v146, v141, vcc_lo
; %bb.76:
	s_or_b32 exec_lo, exec_lo, s2
	s_delay_alu instid0(VALU_DEP_1)
	v_perm_b32 v136, v144, v136, 0x7060302
	v_perm_b32 v135, v135, v145, 0x7060302
	;; [unrolled: 1-line block ×4, first 2 shown]
	v_lshl_or_b32 v144, v140, 11, v143
	v_lshlrev_b32_e32 v141, 2, v138
	ds_store_b128 v131, v[133:136] offset:1024
	s_waitcnt lgkmcnt(0)
	s_barrier
	buffer_gl0_inv
	ds_load_b128 v[132:135], v144
	ds_load_b128 v[146:149], v144 offset:16
	v_or_b32_e32 v142, 1, v141
	v_cmp_eq_u32_e64 s11, 1, v141
	v_cmp_eq_u32_e64 s10, 2, v141
	;; [unrolled: 1-line block ×3, first 2 shown]
	v_or_b32_e32 v140, 2, v141
	v_cmp_eq_u32_e64 s6, 1, v142
	v_cmp_eq_u32_e64 s5, 2, v142
	;; [unrolled: 1-line block ×8, first 2 shown]
	v_cmp_eq_u32_e32 vcc_lo, 5, v142
	v_cmp_eq_u32_e64 s9, 2, v140
	v_cmp_eq_u32_e64 s3, 6, v142
	;; [unrolled: 1-line block ×4, first 2 shown]
	s_waitcnt lgkmcnt(1)
	v_lshrrev_b32_e32 v136, 16, v132
	s_waitcnt lgkmcnt(0)
	v_lshrrev_b32_e32 v154, 16, v146
	v_lshrrev_b32_e32 v160, 16, v147
	v_lshrrev_b32_e32 v158, 16, v133
	v_lshrrev_b32_e32 v162, 16, v148
	v_cndmask_b32_e64 v145, v132, v136, s11
	v_cndmask_b32_e64 v150, v146, v154, s11
	;; [unrolled: 1-line block ×4, first 2 shown]
	v_lshrrev_b32_e32 v159, 16, v134
	v_cndmask_b32_e64 v145, v145, v133, s10
	v_cndmask_b32_e64 v150, v150, v147, s10
	;; [unrolled: 1-line block ×8, first 2 shown]
	v_lshrrev_b32_e32 v163, 16, v149
	v_cndmask_b32_e64 v152, v152, v160, s4
	v_cndmask_b32_e64 v145, v145, v134, s16
	;; [unrolled: 1-line block ×5, first 2 shown]
	v_lshrrev_b32_e32 v161, 16, v135
	v_cndmask_b32_e64 v145, v145, v159, s12
	v_cndmask_b32_e64 v150, v150, v162, s12
	v_cndmask_b32_e32 v151, v151, v159, vcc_lo
	v_cndmask_b32_e64 v152, v152, v148, s2
	v_cmp_eq_u32_e64 s18, 7, v142
	v_cndmask_b32_e64 v145, v145, v135, s13
	v_cndmask_b32_e64 v150, v150, v149, s13
	v_cndmask_b32_e64 v151, v151, v135, s3
	v_cndmask_b32_e64 v153, v153, v158, s17
	v_cmp_eq_u32_e64 s19, 4, v140
	v_cndmask_b32_e64 v164, v145, v161, s8
	v_cndmask_b32_e64 v165, v150, v163, s8
	;; [unrolled: 1-line block ×3, first 2 shown]
	v_or_b32_e32 v145, 3, v141
	v_cndmask_b32_e64 v166, v151, v161, s18
	v_cndmask_b32_e32 v155, v152, v162, vcc_lo
	v_cndmask_b32_e64 v157, v153, v134, s19
	v_cndmask_b32_e64 v156, v150, v147, s9
	ds_load_b128 v[150:153], v144 offset:1024
	v_cmp_eq_u32_e64 s20, 1, v145
	v_cmp_eq_u32_e64 s21, 5, v140
	;; [unrolled: 1-line block ×3, first 2 shown]
	v_cndmask_b32_e64 v156, v156, v160, s17
	v_cmp_eq_u32_e64 s23, 3, v145
	v_cndmask_b32_e64 v132, v132, v136, s20
	v_cndmask_b32_e64 v136, v155, v149, s3
	;; [unrolled: 1-line block ×5, first 2 shown]
	ds_load_b128 v[154:157], v144 offset:1040
	v_cndmask_b32_e64 v132, v132, v133, s22
	v_cmp_eq_u32_e64 s25, 4, v145
	v_cmp_eq_u32_e64 s27, 5, v145
	v_cndmask_b32_e64 v146, v146, v147, s22
	v_cmp_eq_u32_e64 s24, 6, v140
	v_cndmask_b32_e64 v132, v132, v158, s23
	;; [unrolled: 2-line block ×3, first 2 shown]
	v_cndmask_b32_e64 v146, v146, v160, s23
	s_waitcnt lgkmcnt(1)
	v_lshrrev_b32_e32 v158, 16, v150
	v_cndmask_b32_e64 v132, v132, v134, s25
	v_cndmask_b32_e64 v147, v167, v135, s24
	v_cndmask_b32_e64 v133, v133, v149, s24
	v_cndmask_b32_e64 v134, v146, v148, s25
	v_cndmask_b32_e64 v146, v150, v158, s11
	v_cndmask_b32_e64 v132, v132, v159, s27
	v_lshrrev_b32_e32 v159, 16, v151
	v_cndmask_b32_e64 v160, v150, v158, s6
	v_cndmask_b32_e64 v134, v134, v162, s27
	s_waitcnt lgkmcnt(0)
	v_lshrrev_b32_e32 v148, 16, v154
	v_cndmask_b32_e64 v146, v146, v151, s10
	v_cndmask_b32_e64 v132, v132, v135, s28
	v_cmp_eq_u32_e64 s26, 7, v140
	v_cndmask_b32_e64 v134, v134, v149, s28
	v_cndmask_b32_e64 v162, v154, v148, s11
	;; [unrolled: 1-line block ×4, first 2 shown]
	v_lshrrev_b32_e32 v160, 16, v155
	v_cndmask_b32_e64 v136, v136, v163, s18
	v_cndmask_b32_e64 v149, v162, v155, s10
	v_cmp_eq_u32_e64 s10, 7, v145
	v_cndmask_b32_e64 v146, v146, v159, s4
	v_cndmask_b32_e64 v135, v135, v152, s16
	v_lshrrev_b32_e32 v162, 16, v152
	v_cndmask_b32_e64 v149, v149, v160, s15
	v_cndmask_b32_e64 v132, v132, v161, s10
	;; [unrolled: 1-line block ×8, first 2 shown]
	v_lshrrev_b32_e32 v163, 16, v156
	v_perm_b32 v135, v134, v132, 0x5040100
	v_cndmask_b32_e32 v132, v146, v162, vcc_lo
	v_cndmask_b32_e64 v146, v161, v153, s13
	v_lshrrev_b32_e32 v161, 16, v153
	v_cndmask_b32_e64 v149, v149, v163, s12
	v_perm_b32 v134, v133, v147, 0x5040100
	v_cndmask_b32_e64 v132, v132, v153, s3
	v_perm_b32 v133, v136, v166, 0x5040100
	v_cndmask_b32_e64 v136, v146, v161, s8
	v_cndmask_b32_e64 v146, v149, v157, s13
	;; [unrolled: 1-line block ×27, first 2 shown]
	v_cndmask_b32_e32 v148, v148, v163, vcc_lo
	v_lshrrev_b32_e32 v147, 16, v157
	v_cndmask_b32_e64 v132, v132, v153, s24
	v_cndmask_b32_e64 v149, v149, v153, s28
	;; [unrolled: 1-line block ×11, first 2 shown]
	v_perm_b32 v132, v165, v164, 0x5040100
	v_perm_b32 v149, v150, v149, 0x5040100
	;; [unrolled: 1-line block ×5, first 2 shown]
	s_lshl_b32 s7, s35, 3
	s_mov_b32 s2, exec_lo
	ds_store_b128 v131, v[132:135]
	ds_store_b128 v131, v[146:149] offset:1024
	v_cmpx_gt_u32_e32 8, v0
	s_cbranch_execz .LBB621_78
; %bb.77:
	v_or_b32_e32 v131, s29, v0
	s_load_b128 s[8:11], s[0:1], 0x58
	s_delay_alu instid0(VALU_DEP_1) | instskip(NEXT) | instid1(VALU_DEP_1)
	v_mad_u64_u32 v[132:133], null, s7, s30, v[131:132]
	v_mad_u64_u32 v[133:134], null, v132, s34, s[14:15]
	s_delay_alu instid0(VALU_DEP_1) | instskip(NEXT) | instid1(VALU_DEP_1)
	v_ashrrev_i32_e32 v134, 31, v133
	v_lshlrev_b64 v[131:132], 2, v[133:134]
	s_waitcnt lgkmcnt(0)
	s_delay_alu instid0(VALU_DEP_1) | instskip(NEXT) | instid1(VALU_DEP_2)
	v_add_co_u32 v133, vcc_lo, s10, v131
	v_add_co_ci_u32_e32 v134, vcc_lo, s11, v132, vcc_lo
	v_add_co_u32 v131, vcc_lo, s8, v131
	v_add_co_ci_u32_e32 v132, vcc_lo, s9, v132, vcc_lo
	global_store_b32 v[133:134], v129, off
	global_store_b32 v[131:132], v130, off
.LBB621_78:
	s_or_b32 exec_lo, exec_lo, s2
	s_waitcnt lgkmcnt(0)
	s_waitcnt_vscnt null, 0x0
	s_barrier
	buffer_gl0_inv
	ds_load_b128 v[146:149], v143
	ds_load_b128 v[150:153], v143 offset:16
	ds_load_b128 v[158:161], v143 offset:1040
	;; [unrolled: 1-line block ×3, first 2 shown]
	v_mov_b32_e32 v129, 0
	ds_load_b128 v[166:169], v143 offset:2064
	ds_load_b128 v[162:165], v143 offset:2048
	ds_load_b128 v[174:177], v143 offset:3088
	ds_load_b128 v[170:173], v143 offset:3072
	ds_load_b128 v[182:185], v143 offset:4112
	ds_load_b128 v[178:181], v143 offset:4096
	v_mov_b32_e32 v130, v129
	v_mov_b32_e32 v131, v129
	;; [unrolled: 1-line block ×7, first 2 shown]
	s_waitcnt lgkmcnt(8)
	s_delay_alu instid0(VALU_DEP_1)
	v_wmma_f32_16x16x16_bf16 v[129:136], v[121:128], v[146:153], v[129:136]
	ds_load_b128 v[125:128], v143 offset:5136
	ds_load_b128 v[121:124], v143 offset:5120
	s_waitcnt lgkmcnt(8)
	v_wmma_f32_16x16x16_bf16 v[129:136], v[113:120], v[154:161], v[129:136]
	ds_load_b128 v[117:120], v143 offset:6160
	ds_load_b128 v[113:116], v143 offset:6144
	s_waitcnt lgkmcnt(8)
	;; [unrolled: 4-line block ×8, first 2 shown]
	v_wmma_f32_16x16x16_bf16 v[129:136], v[65:72], v[97:104], v[129:136]
	s_waitcnt lgkmcnt(6)
	s_delay_alu instid0(VALU_DEP_1)
	v_wmma_f32_16x16x16_bf16 v[129:136], v[49:56], v[89:96], v[129:136]
	ds_load_b128 v[53:56], v143 offset:13328
	ds_load_b128 v[49:52], v143 offset:13312
	s_waitcnt lgkmcnt(6)
	v_wmma_f32_16x16x16_bf16 v[129:136], v[41:48], v[81:88], v[129:136]
	ds_load_b128 v[45:48], v143 offset:14352
	ds_load_b128 v[41:44], v143 offset:14336
	s_waitcnt lgkmcnt(6)
	;; [unrolled: 4-line block ×3, first 2 shown]
	v_wmma_f32_16x16x16_bf16 v[129:136], v[1:8], v[57:64], v[129:136]
	s_waitcnt lgkmcnt(4)
	s_delay_alu instid0(VALU_DEP_1) | instskip(SKIP_1) | instid1(VALU_DEP_1)
	v_wmma_f32_16x16x16_bf16 v[129:136], v[25:32], v[49:56], v[129:136]
	s_waitcnt lgkmcnt(2)
	v_wmma_f32_16x16x16_bf16 v[129:136], v[33:40], v[41:48], v[129:136]
	s_waitcnt lgkmcnt(0)
	s_delay_alu instid0(VALU_DEP_1) | instskip(NEXT) | instid1(VALU_DEP_1)
	v_wmma_f32_16x16x16_bf16 v[129:136], v[9:16], v[17:24], v[129:136]
	v_and_b32_e32 v1, 0x7f800000, v129
	s_delay_alu instid0(VALU_DEP_1) | instskip(SKIP_1) | instid1(SALU_CYCLE_1)
	v_cmp_ne_u32_e32 vcc_lo, 0x7f800000, v1
                                        ; implicit-def: $vgpr1
	s_and_saveexec_b32 s2, vcc_lo
	s_xor_b32 s2, exec_lo, s2
; %bb.79:
	v_bfe_u32 v1, v129, 16, 1
	s_delay_alu instid0(VALU_DEP_1)
	v_add3_u32 v1, v129, v1, 0x7fff
; %bb.80:
	s_and_not1_saveexec_b32 s2, s2
; %bb.81:
	v_and_b32_e32 v1, 0xffff, v129
	v_or_b32_e32 v2, 0x10000, v129
	s_delay_alu instid0(VALU_DEP_2) | instskip(NEXT) | instid1(VALU_DEP_2)
	v_cmp_eq_u32_e32 vcc_lo, 0, v1
	v_cndmask_b32_e32 v1, v2, v129, vcc_lo
; %bb.82:
	s_or_b32 exec_lo, exec_lo, s2
	v_and_b32_e32 v2, 0x7f800000, v130
	s_delay_alu instid0(VALU_DEP_1) | instskip(SKIP_1) | instid1(SALU_CYCLE_1)
	v_cmp_ne_u32_e32 vcc_lo, 0x7f800000, v2
                                        ; implicit-def: $vgpr2
	s_and_saveexec_b32 s2, vcc_lo
	s_xor_b32 s2, exec_lo, s2
; %bb.83:
	v_bfe_u32 v2, v130, 16, 1
	s_delay_alu instid0(VALU_DEP_1)
	v_add3_u32 v2, v130, v2, 0x7fff
; %bb.84:
	s_and_not1_saveexec_b32 s2, s2
; %bb.85:
	v_and_b32_e32 v2, 0xffff, v130
	v_or_b32_e32 v3, 0x10000, v130
	s_delay_alu instid0(VALU_DEP_2) | instskip(NEXT) | instid1(VALU_DEP_2)
	v_cmp_eq_u32_e32 vcc_lo, 0, v2
	v_cndmask_b32_e32 v2, v3, v130, vcc_lo
; %bb.86:
	s_or_b32 exec_lo, exec_lo, s2
	v_and_b32_e32 v3, 0x7f800000, v131
	s_delay_alu instid0(VALU_DEP_1) | instskip(SKIP_1) | instid1(SALU_CYCLE_1)
	v_cmp_ne_u32_e32 vcc_lo, 0x7f800000, v3
                                        ; implicit-def: $vgpr3
	s_and_saveexec_b32 s2, vcc_lo
	s_xor_b32 s2, exec_lo, s2
; %bb.87:
	v_bfe_u32 v3, v131, 16, 1
	s_delay_alu instid0(VALU_DEP_1)
	v_add3_u32 v3, v131, v3, 0x7fff
; %bb.88:
	s_and_not1_saveexec_b32 s2, s2
; %bb.89:
	v_and_b32_e32 v3, 0xffff, v131
	v_or_b32_e32 v4, 0x10000, v131
	s_delay_alu instid0(VALU_DEP_2) | instskip(NEXT) | instid1(VALU_DEP_2)
	v_cmp_eq_u32_e32 vcc_lo, 0, v3
	v_cndmask_b32_e32 v3, v4, v131, vcc_lo
; %bb.90:
	s_or_b32 exec_lo, exec_lo, s2
	v_and_b32_e32 v4, 0x7f800000, v132
	s_delay_alu instid0(VALU_DEP_1) | instskip(SKIP_1) | instid1(SALU_CYCLE_1)
	v_cmp_ne_u32_e32 vcc_lo, 0x7f800000, v4
                                        ; implicit-def: $vgpr4
	s_and_saveexec_b32 s2, vcc_lo
	s_xor_b32 s2, exec_lo, s2
; %bb.91:
	v_bfe_u32 v4, v132, 16, 1
	s_delay_alu instid0(VALU_DEP_1)
	v_add3_u32 v4, v132, v4, 0x7fff
; %bb.92:
	s_and_not1_saveexec_b32 s2, s2
; %bb.93:
	v_and_b32_e32 v4, 0xffff, v132
	v_or_b32_e32 v5, 0x10000, v132
	s_delay_alu instid0(VALU_DEP_2) | instskip(NEXT) | instid1(VALU_DEP_2)
	v_cmp_eq_u32_e32 vcc_lo, 0, v4
	v_cndmask_b32_e32 v4, v5, v132, vcc_lo
; %bb.94:
	s_or_b32 exec_lo, exec_lo, s2
	v_and_b32_e32 v5, 0x7f800000, v133
	s_delay_alu instid0(VALU_DEP_1) | instskip(SKIP_1) | instid1(SALU_CYCLE_1)
	v_cmp_ne_u32_e32 vcc_lo, 0x7f800000, v5
                                        ; implicit-def: $vgpr5
	s_and_saveexec_b32 s2, vcc_lo
	s_xor_b32 s2, exec_lo, s2
; %bb.95:
	v_bfe_u32 v5, v133, 16, 1
	s_delay_alu instid0(VALU_DEP_1)
	v_add3_u32 v5, v133, v5, 0x7fff
; %bb.96:
	s_and_not1_saveexec_b32 s2, s2
; %bb.97:
	v_and_b32_e32 v5, 0xffff, v133
	v_or_b32_e32 v6, 0x10000, v133
	s_delay_alu instid0(VALU_DEP_2) | instskip(NEXT) | instid1(VALU_DEP_2)
	v_cmp_eq_u32_e32 vcc_lo, 0, v5
	v_cndmask_b32_e32 v5, v6, v133, vcc_lo
; %bb.98:
	s_or_b32 exec_lo, exec_lo, s2
	v_and_b32_e32 v6, 0x7f800000, v134
	s_delay_alu instid0(VALU_DEP_1) | instskip(SKIP_1) | instid1(SALU_CYCLE_1)
	v_cmp_ne_u32_e32 vcc_lo, 0x7f800000, v6
                                        ; implicit-def: $vgpr6
	s_and_saveexec_b32 s2, vcc_lo
	s_xor_b32 s2, exec_lo, s2
; %bb.99:
	v_bfe_u32 v6, v134, 16, 1
	s_delay_alu instid0(VALU_DEP_1)
	v_add3_u32 v6, v134, v6, 0x7fff
; %bb.100:
	s_and_not1_saveexec_b32 s2, s2
; %bb.101:
	v_and_b32_e32 v6, 0xffff, v134
	v_or_b32_e32 v7, 0x10000, v134
	s_delay_alu instid0(VALU_DEP_2) | instskip(NEXT) | instid1(VALU_DEP_2)
	v_cmp_eq_u32_e32 vcc_lo, 0, v6
	v_cndmask_b32_e32 v6, v7, v134, vcc_lo
; %bb.102:
	s_or_b32 exec_lo, exec_lo, s2
	v_and_b32_e32 v7, 0x7f800000, v135
	s_delay_alu instid0(VALU_DEP_1) | instskip(SKIP_1) | instid1(SALU_CYCLE_1)
	v_cmp_ne_u32_e32 vcc_lo, 0x7f800000, v7
                                        ; implicit-def: $vgpr7
	s_and_saveexec_b32 s2, vcc_lo
	s_xor_b32 s2, exec_lo, s2
; %bb.103:
	v_bfe_u32 v7, v135, 16, 1
	s_delay_alu instid0(VALU_DEP_1)
	v_add3_u32 v7, v135, v7, 0x7fff
; %bb.104:
	s_and_not1_saveexec_b32 s2, s2
; %bb.105:
	v_and_b32_e32 v7, 0xffff, v135
	v_or_b32_e32 v8, 0x10000, v135
	s_delay_alu instid0(VALU_DEP_2) | instskip(NEXT) | instid1(VALU_DEP_2)
	v_cmp_eq_u32_e32 vcc_lo, 0, v7
	v_cndmask_b32_e32 v7, v8, v135, vcc_lo
; %bb.106:
	s_or_b32 exec_lo, exec_lo, s2
	v_and_b32_e32 v8, 0x7f800000, v136
	s_delay_alu instid0(VALU_DEP_1) | instskip(SKIP_1) | instid1(SALU_CYCLE_1)
	v_cmp_ne_u32_e32 vcc_lo, 0x7f800000, v8
                                        ; implicit-def: $vgpr8
	s_and_saveexec_b32 s2, vcc_lo
	s_xor_b32 s2, exec_lo, s2
; %bb.107:
	v_bfe_u32 v8, v136, 16, 1
	s_delay_alu instid0(VALU_DEP_1)
	v_add3_u32 v8, v136, v8, 0x7fff
                                        ; implicit-def: $vgpr129_vgpr130_vgpr131_vgpr132_vgpr133_vgpr134_vgpr135_vgpr136
; %bb.108:
	s_and_not1_saveexec_b32 s2, s2
; %bb.109:
	v_and_b32_e32 v8, 0xffff, v136
	v_or_b32_e32 v9, 0x10000, v136
	s_delay_alu instid0(VALU_DEP_2) | instskip(NEXT) | instid1(VALU_DEP_2)
	v_cmp_eq_u32_e32 vcc_lo, 0, v8
	v_cndmask_b32_e32 v8, v9, v136, vcc_lo
; %bb.110:
	s_or_b32 exec_lo, exec_lo, s2
	s_delay_alu instid0(VALU_DEP_1)
	v_perm_b32 v7, v8, v7, 0x7060302
	v_perm_b32 v6, v6, v5, 0x7060302
	;; [unrolled: 1-line block ×4, first 2 shown]
	v_lshl_or_b32 v9, v138, 4, v144
	s_barrier
	buffer_gl0_inv
	v_cmp_eq_u32_e32 vcc_lo, 1, v141
	ds_store_b128 v9, v[4:7]
	s_waitcnt lgkmcnt(0)
	s_barrier
	buffer_gl0_inv
	ds_load_b128 v[1:4], v144
	ds_load_b128 v[5:8], v144 offset:16
	v_cmp_eq_u32_e64 s3, 2, v141
	v_cmp_eq_u32_e64 s2, 1, v142
	;; [unrolled: 1-line block ×5, first 2 shown]
	s_waitcnt lgkmcnt(1)
	v_lshrrev_b32_e32 v10, 16, v1
	s_waitcnt lgkmcnt(0)
	v_lshrrev_b32_e32 v14, 16, v5
	v_lshrrev_b32_e32 v15, 16, v6
	;; [unrolled: 1-line block ×4, first 2 shown]
	v_cndmask_b32_e64 v20, v1, v10, s2
	v_cndmask_b32_e32 v19, v5, v14, vcc_lo
	v_cndmask_b32_e64 v21, v5, v14, s2
	v_lshrrev_b32_e32 v16, 16, v7
	v_cmp_eq_u32_e64 s2, 1, v140
	v_lshrrev_b32_e32 v13, 16, v4
	v_cndmask_b32_e64 v19, v19, v6, s3
	v_lshrrev_b32_e32 v17, 16, v8
	s_delay_alu instid0(VALU_DEP_4) | instskip(SKIP_1) | instid1(VALU_DEP_4)
	v_cndmask_b32_e64 v22, v1, v10, s2
	v_cndmask_b32_e64 v23, v5, v14, s2
	;; [unrolled: 1-line block ×3, first 2 shown]
	v_cndmask_b32_e32 v18, v1, v10, vcc_lo
	v_cmp_eq_u32_e32 vcc_lo, 2, v142
	v_cmp_eq_u32_e64 s2, 2, v145
	v_cndmask_b32_e64 v22, v22, v2, s6
	v_cndmask_b32_e32 v20, v20, v2, vcc_lo
	v_cndmask_b32_e32 v21, v21, v6, vcc_lo
	v_cmp_eq_u32_e32 vcc_lo, 4, v141
	v_cndmask_b32_e32 v19, v19, v7, vcc_lo
	v_cndmask_b32_e64 v18, v18, v2, s3
	v_cmp_eq_u32_e64 s3, 3, v142
	s_delay_alu instid0(VALU_DEP_2) | instskip(NEXT) | instid1(VALU_DEP_2)
	v_cndmask_b32_e64 v18, v18, v11, s4
	v_cndmask_b32_e64 v21, v21, v15, s3
	v_cmp_eq_u32_e64 s4, 5, v141
	s_delay_alu instid0(VALU_DEP_3) | instskip(SKIP_1) | instid1(VALU_DEP_3)
	v_cndmask_b32_e32 v18, v18, v3, vcc_lo
	v_cmp_eq_u32_e32 vcc_lo, 4, v142
	v_cndmask_b32_e64 v19, v19, v16, s4
	s_delay_alu instid0(VALU_DEP_3) | instskip(SKIP_4) | instid1(VALU_DEP_3)
	v_cndmask_b32_e64 v18, v18, v12, s4
	v_cndmask_b32_e32 v21, v21, v7, vcc_lo
	v_cndmask_b32_e64 v20, v20, v11, s3
	v_cmp_eq_u32_e64 s3, 5, v142
	v_cmp_eq_u32_e64 s4, 6, v141
	v_cndmask_b32_e32 v20, v20, v3, vcc_lo
	s_delay_alu instid0(VALU_DEP_3) | instskip(SKIP_1) | instid1(VALU_DEP_4)
	v_cndmask_b32_e64 v21, v21, v16, s3
	v_cmp_eq_u32_e32 vcc_lo, 6, v142
	v_cndmask_b32_e64 v18, v18, v4, s4
	v_cndmask_b32_e64 v19, v19, v8, s4
	;; [unrolled: 1-line block ×3, first 2 shown]
	v_cmp_eq_u32_e64 s3, 1, v145
	v_cmp_eq_u32_e64 s4, 7, v141
	s_delay_alu instid0(VALU_DEP_3) | instskip(NEXT) | instid1(VALU_DEP_3)
	v_cndmask_b32_e32 v20, v20, v4, vcc_lo
	v_cndmask_b32_e64 v1, v1, v10, s3
	v_cndmask_b32_e64 v5, v5, v14, s3
	v_cmp_eq_u32_e64 s3, 3, v140
	v_cndmask_b32_e64 v14, v23, v6, s6
	v_cmp_eq_u32_e64 s6, 3, v145
	v_cndmask_b32_e64 v1, v1, v2, s2
	v_cndmask_b32_e64 v2, v5, v6, s2
	;; [unrolled: 1-line block ×3, first 2 shown]
	v_cmp_eq_u32_e64 s2, 4, v140
	v_cndmask_b32_e64 v6, v14, v15, s3
	v_cndmask_b32_e64 v1, v1, v11, s6
	v_cmp_eq_u32_e64 s3, 4, v145
	v_cndmask_b32_e64 v2, v2, v15, s6
	v_cndmask_b32_e64 v5, v10, v3, s2
	;; [unrolled: 3-line block ×3, first 2 shown]
	v_cndmask_b32_e64 v2, v2, v7, s3
	v_cmp_eq_u32_e64 s2, 5, v145
	v_cndmask_b32_e64 v5, v5, v12, s6
	v_cmp_eq_u32_e64 s3, 6, v140
	;; [unrolled: 2-line block ×3, first 2 shown]
	v_cndmask_b32_e64 v1, v1, v12, s2
	v_cndmask_b32_e64 v2, v2, v16, s2
	;; [unrolled: 1-line block ×4, first 2 shown]
	v_cmp_eq_u32_e64 s2, 7, v145
	v_cndmask_b32_e64 v1, v1, v4, s6
	v_cndmask_b32_e64 v2, v2, v8, s6
	v_cmp_eq_u32_e64 s3, 7, v140
	v_cndmask_b32_e32 v4, v21, v8, vcc_lo
	v_cndmask_b32_e64 v18, v18, v13, s4
	v_cndmask_b32_e64 v20, v20, v13, s5
	v_cndmask_b32_e64 v1, v1, v13, s2
	v_cndmask_b32_e64 v5, v5, v13, s3
	v_cndmask_b32_e64 v2, v2, v17, s2
	v_cndmask_b32_e64 v3, v3, v17, s3
	v_cndmask_b32_e64 v6, v4, v17, s5
	v_cndmask_b32_e64 v7, v19, v17, s4
	s_mov_b32 s2, exec_lo
	v_perm_b32 v4, v2, v1, 0x5040100
	v_perm_b32 v3, v3, v5, 0x5040100
	;; [unrolled: 1-line block ×4, first 2 shown]
	ds_store_b128 v9, v[1:4]
	s_waitcnt lgkmcnt(0)
	s_barrier
	buffer_gl0_inv
	v_cmpx_gt_u32_e32 32, v0
	s_cbranch_execz .LBB621_2
; %bb.111:
	s_load_b64 s[0:1], s[0:1], 0x68
	s_lshl_b32 s4, s34, 7
	v_or_b32_e32 v2, s29, v138
	s_mul_i32 s2, s4, s30
	v_lshlrev_b32_e32 v1, 10, v0
	s_mul_i32 s2, s2, s7
	v_lshlrev_b32_e32 v3, 4, v139
	v_mul_lo_u32 v0, v2, s4
	s_ashr_i32 s3, s2, 31
	v_lshlrev_b32_e32 v4, 6, v138
	v_and_b32_e32 v1, 0x3800, v1
	v_or_b32_e32 v5, 2, v2
	s_lshl_b64 s[2:3], s[2:3], 1
	v_or_b32_e32 v6, 4, v2
	v_or_b32_e32 v7, 6, v2
	v_or3_b32 v12, v1, v3, v4
	v_ashrrev_i32_e32 v1, 31, v0
	v_mul_lo_u32 v2, v5, s4
	v_mul_lo_u32 v16, v6, s4
	;; [unrolled: 1-line block ×3, first 2 shown]
	s_waitcnt lgkmcnt(0)
	s_add_u32 s2, s0, s2
	s_addc_u32 s3, s1, s3
	s_lshl_b32 s0, s14, 7
	v_lshlrev_b64 v[0:1], 1, v[0:1]
	s_ashr_i32 s1, s0, 31
	v_ashrrev_i32_e32 v3, 31, v2
	s_lshl_b64 s[0:1], s[0:1], 1
	v_ashrrev_i32_e32 v17, 31, v16
	s_add_u32 s0, s2, s0
	s_addc_u32 s1, s3, s1
	v_add_co_u32 v24, s0, s0, v137
	s_delay_alu instid0(VALU_DEP_1) | instskip(SKIP_1) | instid1(VALU_DEP_3)
	v_add_co_ci_u32_e64 v25, null, s1, 0, s0
	v_lshlrev_b64 v[22:23], 1, v[2:3]
	v_add_co_u32 v18, vcc_lo, v24, v0
	s_delay_alu instid0(VALU_DEP_3)
	v_add_co_ci_u32_e32 v19, vcc_lo, v25, v1, vcc_lo
	ds_load_b128 v[0:3], v12
	ds_load_b128 v[4:7], v12 offset:128
	ds_load_b128 v[8:11], v12 offset:256
	;; [unrolled: 1-line block ×3, first 2 shown]
	v_ashrrev_i32_e32 v21, 31, v20
	v_lshlrev_b64 v[16:17], 1, v[16:17]
	v_add_co_u32 v22, vcc_lo, v24, v22
	v_add_co_ci_u32_e32 v23, vcc_lo, v25, v23, vcc_lo
	s_delay_alu instid0(VALU_DEP_4) | instskip(NEXT) | instid1(VALU_DEP_4)
	v_lshlrev_b64 v[20:21], 1, v[20:21]
	v_add_co_u32 v16, vcc_lo, v24, v16
	v_add_co_ci_u32_e32 v17, vcc_lo, v25, v17, vcc_lo
	s_delay_alu instid0(VALU_DEP_3) | instskip(NEXT) | instid1(VALU_DEP_4)
	v_add_co_u32 v20, vcc_lo, v24, v20
	v_add_co_ci_u32_e32 v21, vcc_lo, v25, v21, vcc_lo
	s_waitcnt lgkmcnt(3)
	global_store_b128 v[18:19], v[0:3], off
	s_waitcnt lgkmcnt(2)
	global_store_b128 v[22:23], v[4:7], off
	;; [unrolled: 2-line block ×4, first 2 shown]
	s_nop 0
	s_sendmsg sendmsg(MSG_DEALLOC_VGPRS)
	s_endpgm
	.section	.rodata,"a",@progbits
	.p2align	6, 0x0
	.amdhsa_kernel _Z39paged_attention_ll4mi_QKV_mfma16_kernelI14__hip_bfloat16S0_LN4vllm18Fp8KVCacheDataTypeE0EhLi16ELi128ELi256ELb0ELi8EL8MFMAType0EEvPKT_PKT0_S9_ifPKiSB_SB_iPKfiiiPfSE_PS4_PT2_iSD_SD_
		.amdhsa_group_segment_fixed_size 17472
		.amdhsa_private_segment_fixed_size 0
		.amdhsa_kernarg_size 400
		.amdhsa_user_sgpr_count 13
		.amdhsa_user_sgpr_dispatch_ptr 0
		.amdhsa_user_sgpr_queue_ptr 0
		.amdhsa_user_sgpr_kernarg_segment_ptr 1
		.amdhsa_user_sgpr_dispatch_id 0
		.amdhsa_user_sgpr_private_segment_size 0
		.amdhsa_wavefront_size32 1
		.amdhsa_uses_dynamic_stack 0
		.amdhsa_enable_private_segment 0
		.amdhsa_system_sgpr_workgroup_id_x 1
		.amdhsa_system_sgpr_workgroup_id_y 1
		.amdhsa_system_sgpr_workgroup_id_z 1
		.amdhsa_system_sgpr_workgroup_info 0
		.amdhsa_system_vgpr_workitem_id 0
		.amdhsa_next_free_vgpr 218
		.amdhsa_next_free_sgpr 50
		.amdhsa_reserve_vcc 1
		.amdhsa_float_round_mode_32 0
		.amdhsa_float_round_mode_16_64 0
		.amdhsa_float_denorm_mode_32 3
		.amdhsa_float_denorm_mode_16_64 3
		.amdhsa_dx10_clamp 1
		.amdhsa_ieee_mode 1
		.amdhsa_fp16_overflow 0
		.amdhsa_workgroup_processor_mode 1
		.amdhsa_memory_ordered 1
		.amdhsa_forward_progress 0
		.amdhsa_shared_vgpr_count 0
		.amdhsa_exception_fp_ieee_invalid_op 0
		.amdhsa_exception_fp_denorm_src 0
		.amdhsa_exception_fp_ieee_div_zero 0
		.amdhsa_exception_fp_ieee_overflow 0
		.amdhsa_exception_fp_ieee_underflow 0
		.amdhsa_exception_fp_ieee_inexact 0
		.amdhsa_exception_int_div_zero 0
	.end_amdhsa_kernel
	.section	.text._Z39paged_attention_ll4mi_QKV_mfma16_kernelI14__hip_bfloat16S0_LN4vllm18Fp8KVCacheDataTypeE0EhLi16ELi128ELi256ELb0ELi8EL8MFMAType0EEvPKT_PKT0_S9_ifPKiSB_SB_iPKfiiiPfSE_PS4_PT2_iSD_SD_,"axG",@progbits,_Z39paged_attention_ll4mi_QKV_mfma16_kernelI14__hip_bfloat16S0_LN4vllm18Fp8KVCacheDataTypeE0EhLi16ELi128ELi256ELb0ELi8EL8MFMAType0EEvPKT_PKT0_S9_ifPKiSB_SB_iPKfiiiPfSE_PS4_PT2_iSD_SD_,comdat
.Lfunc_end621:
	.size	_Z39paged_attention_ll4mi_QKV_mfma16_kernelI14__hip_bfloat16S0_LN4vllm18Fp8KVCacheDataTypeE0EhLi16ELi128ELi256ELb0ELi8EL8MFMAType0EEvPKT_PKT0_S9_ifPKiSB_SB_iPKfiiiPfSE_PS4_PT2_iSD_SD_, .Lfunc_end621-_Z39paged_attention_ll4mi_QKV_mfma16_kernelI14__hip_bfloat16S0_LN4vllm18Fp8KVCacheDataTypeE0EhLi16ELi128ELi256ELb0ELi8EL8MFMAType0EEvPKT_PKT0_S9_ifPKiSB_SB_iPKfiiiPfSE_PS4_PT2_iSD_SD_
                                        ; -- End function
	.section	.AMDGPU.csdata,"",@progbits
; Kernel info:
; codeLenInByte = 10276
; NumSgprs: 52
; NumVgprs: 218
; ScratchSize: 0
; MemoryBound: 0
; FloatMode: 240
; IeeeMode: 1
; LDSByteSize: 17472 bytes/workgroup (compile time only)
; SGPRBlocks: 6
; VGPRBlocks: 27
; NumSGPRsForWavesPerEU: 52
; NumVGPRsForWavesPerEU: 218
; Occupancy: 6
; WaveLimiterHint : 1
; COMPUTE_PGM_RSRC2:SCRATCH_EN: 0
; COMPUTE_PGM_RSRC2:USER_SGPR: 13
; COMPUTE_PGM_RSRC2:TRAP_HANDLER: 0
; COMPUTE_PGM_RSRC2:TGID_X_EN: 1
; COMPUTE_PGM_RSRC2:TGID_Y_EN: 1
; COMPUTE_PGM_RSRC2:TGID_Z_EN: 1
; COMPUTE_PGM_RSRC2:TIDIG_COMP_CNT: 0
	.section	.text._Z39paged_attention_ll4mi_QKV_mfma16_kernelI14__hip_bfloat16S0_LN4vllm18Fp8KVCacheDataTypeE0EhLi16ELi128ELi256ELb0ELi9EL8MFMAType0EEvPKT_PKT0_S9_ifPKiSB_SB_iPKfiiiPfSE_PS4_PT2_iSD_SD_,"axG",@progbits,_Z39paged_attention_ll4mi_QKV_mfma16_kernelI14__hip_bfloat16S0_LN4vllm18Fp8KVCacheDataTypeE0EhLi16ELi128ELi256ELb0ELi9EL8MFMAType0EEvPKT_PKT0_S9_ifPKiSB_SB_iPKfiiiPfSE_PS4_PT2_iSD_SD_,comdat
	.protected	_Z39paged_attention_ll4mi_QKV_mfma16_kernelI14__hip_bfloat16S0_LN4vllm18Fp8KVCacheDataTypeE0EhLi16ELi128ELi256ELb0ELi9EL8MFMAType0EEvPKT_PKT0_S9_ifPKiSB_SB_iPKfiiiPfSE_PS4_PT2_iSD_SD_ ; -- Begin function _Z39paged_attention_ll4mi_QKV_mfma16_kernelI14__hip_bfloat16S0_LN4vllm18Fp8KVCacheDataTypeE0EhLi16ELi128ELi256ELb0ELi9EL8MFMAType0EEvPKT_PKT0_S9_ifPKiSB_SB_iPKfiiiPfSE_PS4_PT2_iSD_SD_
	.globl	_Z39paged_attention_ll4mi_QKV_mfma16_kernelI14__hip_bfloat16S0_LN4vllm18Fp8KVCacheDataTypeE0EhLi16ELi128ELi256ELb0ELi9EL8MFMAType0EEvPKT_PKT0_S9_ifPKiSB_SB_iPKfiiiPfSE_PS4_PT2_iSD_SD_
	.p2align	8
	.type	_Z39paged_attention_ll4mi_QKV_mfma16_kernelI14__hip_bfloat16S0_LN4vllm18Fp8KVCacheDataTypeE0EhLi16ELi128ELi256ELb0ELi9EL8MFMAType0EEvPKT_PKT0_S9_ifPKiSB_SB_iPKfiiiPfSE_PS4_PT2_iSD_SD_,@function
_Z39paged_attention_ll4mi_QKV_mfma16_kernelI14__hip_bfloat16S0_LN4vllm18Fp8KVCacheDataTypeE0EhLi16ELi128ELi256ELb0ELi9EL8MFMAType0EEvPKT_PKT0_S9_ifPKiSB_SB_iPKfiiiPfSE_PS4_PT2_iSD_SD_: ; @_Z39paged_attention_ll4mi_QKV_mfma16_kernelI14__hip_bfloat16S0_LN4vllm18Fp8KVCacheDataTypeE0EhLi16ELi128ELi256ELb0ELi9EL8MFMAType0EEvPKT_PKT0_S9_ifPKiSB_SB_iPKfiiiPfSE_PS4_PT2_iSD_SD_
; %bb.0:
	s_load_b64 s[4:5], s[0:1], 0x30
	s_mov_b32 s30, s13
	s_waitcnt lgkmcnt(0)
	s_cmp_lg_u64 s[4:5], 0
	s_cselect_b32 s8, -1, 0
	s_ashr_i32 s31, s13, 31
	s_cmp_eq_u64 s[4:5], 0
	s_cbranch_scc1 .LBB622_3
; %bb.1:
	s_lshl_b64 s[2:3], s[30:31], 2
	s_delay_alu instid0(SALU_CYCLE_1) | instskip(SKIP_4) | instid1(SALU_CYCLE_1)
	s_add_u32 s2, s4, s2
	s_addc_u32 s3, s5, s3
	s_load_b64 s[2:3], s[2:3], 0x0
	s_waitcnt lgkmcnt(0)
	s_sub_i32 s2, s3, s2
	s_cmp_eq_u32 s2, 1
	s_cselect_b32 s2, -1, 0
	s_delay_alu instid0(SALU_CYCLE_1)
	s_and_not1_b32 vcc_lo, exec_lo, s2
	s_cbranch_vccz .LBB622_4
.LBB622_2:
	s_nop 0
	s_sendmsg sendmsg(MSG_DEALLOC_VGPRS)
	s_endpgm
.LBB622_3:
.LBB622_4:
	s_load_b64 s[2:3], s[0:1], 0x28
	s_lshl_b64 s[6:7], s[30:31], 2
	s_waitcnt lgkmcnt(0)
	s_add_u32 s2, s2, s6
	s_addc_u32 s3, s3, s7
	s_lshl_b32 s29, s14, 8
	s_load_b32 s28, s[2:3], 0x0
	s_waitcnt lgkmcnt(0)
	s_cmp_ge_i32 s29, s28
	s_cbranch_scc1 .LBB622_2
; %bb.5:
	s_clause 0x1
	s_load_b128 s[20:23], s[0:1], 0x8
	s_load_b64 s[2:3], s[0:1], 0x20
	s_and_not1_b32 vcc_lo, exec_lo, s8
	s_cbranch_vccnz .LBB622_7
; %bb.6:
	s_add_u32 s4, s4, s6
	s_addc_u32 s5, s5, s7
	s_load_b32 s5, s[4:5], 0x0
	s_branch .LBB622_8
.LBB622_7:
	s_mov_b32 s5, s30
.LBB622_8:
	s_load_b128 s[16:19], s[0:1], 0x48
	v_and_b32_e32 v140, 15, v0
	v_lshrrev_b32_e32 v141, 5, v0
	v_bfe_u32 v138, v0, 4, 1
	v_and_b32_e32 v142, 31, v0
	v_and_b32_e32 v139, 1, v0
	v_lshlrev_b32_e32 v2, 3, v140
	s_mul_i32 s31, s15, 9
	v_lshl_or_b32 v1, v141, 1, v138
	s_mov_b32 s4, exec_lo
	s_delay_alu instid0(VALU_DEP_2) | instskip(NEXT) | instid1(VALU_DEP_2)
	v_lshlrev_b32_e32 v137, 1, v2
	v_cmpx_gt_u32_e32 9, v1
	s_cbranch_execz .LBB622_10
; %bb.9:
	s_load_b64 s[6:7], s[0:1], 0x0
	v_add_lshl_u32 v2, v1, s31, 7
	s_waitcnt lgkmcnt(0)
	s_mul_hi_i32 s9, s5, s16
	s_mul_i32 s8, s5, s16
	v_lshlrev_b32_e32 v6, 10, v140
	s_lshl_b64 s[8:9], s[8:9], 1
	v_ashrrev_i32_e32 v3, 31, v2
	v_lshlrev_b32_e32 v1, 6, v1
	v_lshlrev_b32_e32 v7, 10, v139
	v_and_b32_e32 v6, 0x3800, v6
	s_delay_alu instid0(VALU_DEP_4) | instskip(NEXT) | instid1(VALU_DEP_2)
	v_lshlrev_b64 v[2:3], 1, v[2:3]
	v_or3_b32 v1, v6, v7, v1
	s_add_u32 s5, s6, s8
	s_addc_u32 s6, s7, s9
	s_delay_alu instid0(VALU_DEP_2) | instskip(NEXT) | instid1(VALU_DEP_3)
	v_add_co_u32 v2, vcc_lo, s5, v2
	v_add_co_ci_u32_e32 v3, vcc_lo, s6, v3, vcc_lo
	s_delay_alu instid0(VALU_DEP_2) | instskip(NEXT) | instid1(VALU_DEP_2)
	v_add_co_u32 v2, vcc_lo, v2, v137
	v_add_co_ci_u32_e32 v3, vcc_lo, 0, v3, vcc_lo
	global_load_b128 v[2:5], v[2:3], off
	s_waitcnt vmcnt(0)
	ds_store_b128 v1, v[2:5]
.LBB622_10:
	s_or_b32 exec_lo, exec_lo, s4
	v_and_b32_e32 v1, 0xef, v0
	s_waitcnt lgkmcnt(0)
	s_add_i32 s5, s28, 15
	s_clause 0x1
	s_load_b32 s4, s[0:1], 0x38
	s_load_b32 s33, s[0:1], 0x1c
	s_ashr_i32 s6, s5, 31
	v_add_nc_u32_e32 v1, s29, v1
	s_lshr_b32 s6, s6, 28
	s_waitcnt lgkmcnt(0)
	s_add_i32 s5, s5, s6
	s_barrier
	v_ashrrev_i32_e32 v2, 31, v1
	v_cmp_gt_i32_e32 vcc_lo, s28, v1
	s_ashr_i32 s16, s5, 4
	buffer_gl0_inv
	s_add_i32 s16, s16, -1
	v_lshrrev_b32_e32 v3, 28, v2
	v_or_b32_e32 v2, 16, v1
	v_add_nc_u32_e32 v105, -9, v140
	v_lshlrev_b32_e32 v106, 5, v140
	s_delay_alu instid0(VALU_DEP_4) | instskip(NEXT) | instid1(VALU_DEP_4)
	v_add_nc_u32_e32 v4, v1, v3
	v_add_nc_u32_e32 v3, v2, v3
	s_mul_i32 s4, s30, s4
	s_delay_alu instid0(VALU_DEP_3) | instskip(SKIP_4) | instid1(SALU_CYCLE_1)
	v_lshl_or_b32 v125, v141, 9, v106
	s_ashr_i32 s5, s4, 31
	v_ashrrev_i32_e32 v4, 4, v4
	v_ashrrev_i32_e32 v3, 4, v3
	s_lshl_b64 s[4:5], s[4:5], 2
	s_add_u32 s34, s2, s4
	s_delay_alu instid0(VALU_DEP_2) | instskip(SKIP_3) | instid1(VALU_DEP_2)
	v_cndmask_b32_e32 v1, s16, v4, vcc_lo
	v_cmp_gt_i32_e32 vcc_lo, s28, v2
	s_addc_u32 s35, s3, s5
	s_mul_i32 s2, s15, s18
	v_ashrrev_i32_e32 v2, 31, v1
	v_cndmask_b32_e32 v3, s16, v3, vcc_lo
	s_ashr_i32 s3, s2, 31
	s_delay_alu instid0(SALU_CYCLE_1) | instskip(NEXT) | instid1(VALU_DEP_2)
	s_lshl_b64 s[2:3], s[2:3], 1
	v_lshlrev_b64 v[1:2], 2, v[1:2]
	s_delay_alu instid0(VALU_DEP_2) | instskip(SKIP_3) | instid1(VALU_DEP_1)
	v_ashrrev_i32_e32 v4, 31, v3
	s_add_u32 s24, s20, s2
	s_addc_u32 s25, s21, s3
	s_lshl_b32 s4, s14, 4
	v_lshlrev_b64 v[3:4], 2, v[3:4]
	v_add_co_u32 v1, vcc_lo, s34, v1
	v_add_co_ci_u32_e32 v2, vcc_lo, s35, v2, vcc_lo
	s_ashr_i32 s5, s4, 31
	s_delay_alu instid0(VALU_DEP_3) | instskip(NEXT) | instid1(VALU_DEP_4)
	v_add_co_u32 v3, vcc_lo, s34, v3
	v_add_co_ci_u32_e32 v4, vcc_lo, s35, v4, vcc_lo
	s_lshl_b64 s[4:5], s[4:5], 2
	s_clause 0x1
	global_load_b32 v5, v[1:2], off
	global_load_b32 v6, v[3:4], off
	s_add_u32 s4, s34, s4
	s_addc_u32 s5, s35, s5
	s_or_b32 s6, s29, 16
	v_lshlrev_b32_e32 v3, 4, v0
	s_ashr_i32 s7, s6, 4
	s_cmp_lt_i32 s6, s28
	s_cselect_b32 s6, s7, s16
	s_delay_alu instid0(SALU_CYCLE_1) | instskip(NEXT) | instid1(SALU_CYCLE_1)
	s_ashr_i32 s7, s6, 31
	s_lshl_b64 s[6:7], s[6:7], 2
	s_delay_alu instid0(SALU_CYCLE_1) | instskip(SKIP_2) | instid1(SALU_CYCLE_1)
	s_add_u32 s6, s34, s6
	s_addc_u32 s7, s35, s7
	s_or_b32 s8, s29, 32
	s_ashr_i32 s9, s8, 4
	s_cmp_lt_i32 s8, s28
	s_cselect_b32 s8, s9, s16
	s_delay_alu instid0(SALU_CYCLE_1) | instskip(NEXT) | instid1(SALU_CYCLE_1)
	s_ashr_i32 s9, s8, 31
	s_lshl_b64 s[8:9], s[8:9], 2
	s_delay_alu instid0(SALU_CYCLE_1) | instskip(SKIP_2) | instid1(SALU_CYCLE_1)
	s_add_u32 s8, s34, s8
	s_addc_u32 s9, s35, s9
	s_or_b32 s10, s29, 48
	;; [unrolled: 10-line block ×4, first 2 shown]
	s_ashr_i32 s13, s12, 4
	s_cmp_lt_i32 s12, s28
	s_cselect_b32 s12, s13, s16
	s_delay_alu instid0(SALU_CYCLE_1) | instskip(NEXT) | instid1(SALU_CYCLE_1)
	s_ashr_i32 s13, s12, 31
	s_lshl_b64 s[12:13], s[12:13], 2
	s_delay_alu instid0(SALU_CYCLE_1)
	s_add_u32 s20, s34, s12
	s_addc_u32 s21, s35, s13
	s_clause 0x5
	s_load_b32 s36, s[4:5], 0x0
	s_load_b32 s27, s[6:7], 0x0
	;; [unrolled: 1-line block ×6, first 2 shown]
	s_waitcnt vmcnt(1)
	v_mad_i64_i32 v[1:2], null, v5, s17, 0
	v_and_b32_e32 v5, 0xf0, v3
	s_waitcnt vmcnt(0)
	v_mad_i64_i32 v[3:4], null, v6, s17, 0
	s_delay_alu instid0(VALU_DEP_2) | instskip(NEXT) | instid1(VALU_DEP_4)
	v_add_co_u32 v5, s4, s24, v5
	v_lshlrev_b64 v[1:2], 1, v[1:2]
	v_add_co_ci_u32_e64 v6, null, s25, 0, s4
	s_delay_alu instid0(VALU_DEP_4) | instskip(SKIP_1) | instid1(VALU_DEP_3)
	v_lshlrev_b64 v[3:4], 1, v[3:4]
	s_or_b32 s4, s29, 0x60
	v_add_co_u32 v121, vcc_lo, v5, v1
	s_delay_alu instid0(VALU_DEP_3) | instskip(NEXT) | instid1(VALU_DEP_3)
	v_add_co_ci_u32_e32 v122, vcc_lo, v6, v2, vcc_lo
	v_add_co_u32 v123, vcc_lo, v5, v3
	s_delay_alu instid0(VALU_DEP_4)
	v_add_co_ci_u32_e32 v124, vcc_lo, v6, v4, vcc_lo
	s_clause 0x19
	global_load_b128 v[89:92], v[121:122], off
	global_load_b128 v[93:96], v[121:122], off offset:256
	global_load_b128 v[97:100], v[123:124], off
	global_load_b128 v[101:104], v[123:124], off offset:256
	global_load_b128 v[81:84], v[121:122], off offset:512
	;; [unrolled: 1-line block ×23, first 2 shown]
	s_ashr_i32 s5, s4, 4
	s_cmp_lt_i32 s4, s28
	v_cmp_gt_u32_e32 vcc_lo, 9, v140
	s_cselect_b32 s4, s5, s16
	s_delay_alu instid0(SALU_CYCLE_1) | instskip(NEXT) | instid1(SALU_CYCLE_1)
	s_ashr_i32 s5, s4, 31
	s_lshl_b64 s[4:5], s[4:5], 2
	v_cndmask_b32_e32 v105, v105, v140, vcc_lo
	s_add_u32 s18, s34, s4
	s_addc_u32 s19, s35, s5
	s_or_b32 s4, s29, 0x70
	s_delay_alu instid0(SALU_CYCLE_1)
	s_ashr_i32 s5, s4, 4
	s_cmp_lt_i32 s4, s28
	v_lshlrev_b32_e32 v215, 6, v105
	s_cselect_b32 s6, s5, s16
	ds_load_b128 v[105:108], v215
	ds_load_b128 v[109:112], v215 offset:1024
	s_ashr_i32 s7, s6, 31
	ds_load_b128 v[113:116], v215 offset:2048
	ds_load_b128 v[117:120], v215 offset:3072
	;; [unrolled: 1-line block ×8, first 2 shown]
	s_clause 0x1
	global_load_b128 v[167:170], v[123:124], off offset:3072
	global_load_b128 v[171:174], v[123:124], off offset:3328
	s_lshl_b64 s[6:7], s[6:7], 2
	s_mov_b32 s4, 0
	s_add_u32 s20, s34, s6
	s_addc_u32 s21, s35, s7
	s_clause 0x1
	s_load_b32 s42, s[18:19], 0x0
	s_load_b32 s43, s[20:21], 0x0
	s_clause 0x3
	global_load_b128 v[175:178], v[121:122], off offset:3584
	global_load_b128 v[179:182], v[121:122], off offset:3840
	;; [unrolled: 1-line block ×4, first 2 shown]
	s_or_b32 s7, s29, 0x80
	s_mov_b32 s5, s4
	s_ashr_i32 s8, s7, 4
	s_cmp_lt_i32 s7, s28
	s_mov_b32 s6, s4
	s_cselect_b32 s10, s8, s16
	s_mov_b32 s7, s4
	s_ashr_i32 s11, s10, 31
	s_mov_b32 s8, s4
	s_lshl_b64 s[24:25], s[10:11], 2
	s_mov_b32 s9, s4
	s_add_u32 s24, s34, s24
	s_addc_u32 s25, s35, s25
	s_or_b32 s11, s29, 0x90
	s_mov_b32 s10, s4
	s_ashr_i32 s37, s11, 4
	s_cmp_lt_i32 s11, s28
	s_mov_b32 s11, s4
	s_cselect_b32 s38, s37, s16
	v_mov_b32_e32 v136, s11
	s_ashr_i32 s39, s38, 31
	v_dual_mov_b32 v135, s10 :: v_dual_mov_b32 v134, s9
	v_dual_mov_b32 v133, s8 :: v_dual_mov_b32 v132, s7
	;; [unrolled: 1-line block ×3, first 2 shown]
	v_mov_b32_e32 v129, s4
	s_lshl_b64 s[4:5], s[38:39], 2
	s_waitcnt lgkmcnt(0)
	s_mul_hi_i32 s7, s27, s17
	s_add_u32 s38, s34, s4
	s_addc_u32 s39, s35, s5
	s_or_b32 s4, s29, 0xa0
	s_load_b32 s39, s[38:39], 0x0
	s_ashr_i32 s5, s4, 4
	s_cmp_lt_i32 s4, s28
	s_cselect_b32 s4, s5, s16
	s_delay_alu instid0(SALU_CYCLE_1) | instskip(NEXT) | instid1(SALU_CYCLE_1)
	s_ashr_i32 s5, s4, 31
	s_lshl_b64 s[4:5], s[4:5], 2
	s_delay_alu instid0(SALU_CYCLE_1)
	s_add_u32 s40, s34, s4
	s_addc_u32 s41, s35, s5
	s_or_b32 s4, s29, 0xb0
	s_mul_hi_i32 s5, s36, s17
	s_ashr_i32 s6, s4, 4
	s_cmp_lt_i32 s4, s28
	s_mul_i32 s4, s36, s17
	s_cselect_b32 s8, s6, s16
	s_mul_i32 s6, s27, s17
	s_ashr_i32 s9, s8, 31
	s_load_b32 s38, s[40:41], 0x0
	s_lshl_b64 s[10:11], s[8:9], 2
	s_mul_hi_i32 s9, s26, s17
	s_add_u32 s36, s34, s10
	s_addc_u32 s37, s35, s11
	s_or_b32 s10, s29, 0xc0
	s_mul_i32 s8, s26, s17
	s_ashr_i32 s26, s10, 4
	s_cmp_lt_i32 s10, s28
	s_mul_hi_i32 s11, s13, s17
	s_cselect_b32 s26, s26, s16
	s_mul_i32 s10, s13, s17
	s_ashr_i32 s27, s26, 31
	s_mul_hi_i32 s13, s12, s17
	s_lshl_b64 s[26:27], s[26:27], 2
	s_mul_i32 s12, s12, s17
	s_add_u32 s20, s34, s26
	s_addc_u32 s21, s35, s27
	s_or_b32 s18, s29, 0xd0
	s_load_b32 s26, s[24:25], 0x0
	s_ashr_i32 s19, s18, 4
	s_cmp_lt_i32 s18, s28
	s_mul_i32 s18, s15, s17
	s_cselect_b32 s24, s19, s16
	s_mul_hi_i32 s19, s15, s17
	s_ashr_i32 s25, s24, 31
	s_waitcnt lgkmcnt(0)
	s_mul_hi_i32 s41, s39, s17
	s_lshl_b64 s[24:25], s[24:25], 2
	s_delay_alu instid0(SALU_CYCLE_1)
	s_add_u32 s24, s34, s24
	s_addc_u32 s25, s35, s25
	s_or_b32 s40, s29, 0xe0
	s_clause 0x2
	s_load_b32 s37, s[36:37], 0x0
	s_load_b32 s36, s[20:21], 0x0
	;; [unrolled: 1-line block ×3, first 2 shown]
	s_ashr_i32 s44, s40, 4
	s_cmp_lt_i32 s40, s28
	s_mul_hi_i32 s21, s42, s17
	s_mul_i32 s20, s42, s17
	s_cselect_b32 s42, s44, s16
	s_mul_hi_i32 s25, s43, s17
	s_mul_i32 s24, s43, s17
	s_ashr_i32 s43, s42, 31
	s_mul_hi_i32 s27, s26, s17
	s_lshl_b64 s[42:43], s[42:43], 2
	s_mul_i32 s26, s26, s17
	s_add_u32 s42, s34, s42
	s_addc_u32 s43, s35, s43
	s_or_b32 s44, s29, 0xf0
	s_mul_i32 s40, s39, s17
	s_ashr_i32 s46, s44, 4
	s_cmp_lt_i32 s44, s28
	s_mul_hi_i32 s39, s38, s17
	s_cselect_b32 s46, s46, s16
	s_waitcnt lgkmcnt(0)
	s_mul_hi_i32 s49, s15, s17
	s_ashr_i32 s47, s46, 31
	s_mul_i32 s48, s15, s17
	s_lshl_b64 s[46:47], s[46:47], 2
	s_mul_i32 s38, s38, s17
	s_add_u32 s34, s34, s46
	s_addc_u32 s35, s35, s47
	s_add_u32 s15, s22, s2
	s_addc_u32 s16, s23, s3
	v_add_co_u32 v216, s15, s15, v125
	s_delay_alu instid0(VALU_DEP_1) | instskip(SKIP_2) | instid1(VALU_DEP_2)
	v_add_co_ci_u32_e64 v217, null, s16, 0, s15
	s_lshl_b64 s[2:3], s[4:5], 1
	s_lshl_b64 s[4:5], s[6:7], 1
	v_add_co_u32 v125, vcc_lo, v216, s2
	s_delay_alu instid0(VALU_DEP_2)
	v_add_co_ci_u32_e32 v126, vcc_lo, s3, v217, vcc_lo
	v_add_co_u32 v199, vcc_lo, v216, s4
	s_lshl_b64 s[6:7], s[8:9], 1
	v_add_co_ci_u32_e32 v200, vcc_lo, s5, v217, vcc_lo
	s_lshl_b64 s[8:9], s[10:11], 1
	s_lshl_b64 s[10:11], s[12:13], 1
	s_lshl_b64 s[12:13], s[18:19], 1
	s_lshl_b64 s[18:19], s[20:21], 1
	s_lshl_b64 s[20:21], s[24:25], 1
	s_lshl_b64 s[22:23], s[26:27], 1
	s_lshl_b64 s[24:25], s[40:41], 1
	s_lshl_b64 s[26:27], s[38:39], 1
	s_mul_hi_i32 s45, s37, s17
	s_mul_i32 s44, s37, s17
	s_mul_hi_i32 s37, s36, s17
	s_lshl_b64 s[38:39], s[44:45], 1
	s_mul_i32 s36, s36, s17
	s_clause 0x1
	s_load_b32 s15, s[42:43], 0x0
	s_load_b32 s16, s[34:35], 0x0
	s_lshl_b64 s[36:37], s[36:37], 1
	s_lshl_b64 s[40:41], s[48:49], 1
	s_waitcnt lgkmcnt(0)
	s_mul_hi_i32 s3, s15, s17
	s_mul_i32 s2, s15, s17
	s_mul_hi_i32 s5, s16, s17
	s_lshl_b64 s[2:3], s[2:3], 1
	s_mul_i32 s4, s16, s17
	s_waitcnt vmcnt(30)
	v_wmma_f32_16x16x16_bf16 v[191:198], v[89:96], v[105:112], v[129:136]
	v_add_co_u32 v89, vcc_lo, v216, s6
	v_add_co_ci_u32_e32 v90, vcc_lo, s7, v217, vcc_lo
	v_add_co_u32 v91, vcc_lo, v216, s8
	v_add_co_ci_u32_e32 v92, vcc_lo, s9, v217, vcc_lo
	;; [unrolled: 2-line block ×5, first 2 shown]
	v_add_co_u32 v205, vcc_lo, v216, s20
	s_waitcnt vmcnt(28)
	v_wmma_f32_16x16x16_bf16 v[129:136], v[97:104], v[105:112], v[129:136]
	v_add_co_ci_u32_e32 v206, vcc_lo, s21, v217, vcc_lo
	v_add_co_u32 v207, vcc_lo, v216, s22
	v_add_co_ci_u32_e32 v208, vcc_lo, s23, v217, vcc_lo
	v_add_co_u32 v209, vcc_lo, v216, s24
	s_waitcnt vmcnt(26)
	v_wmma_f32_16x16x16_bf16 v[191:198], v[81:88], v[113:120], v[191:198]
	s_waitcnt vmcnt(24)
	v_wmma_f32_16x16x16_bf16 v[129:136], v[73:80], v[113:120], v[129:136]
	v_add_co_ci_u32_e32 v210, vcc_lo, s25, v217, vcc_lo
	v_add_co_u32 v211, vcc_lo, v216, s26
	v_add_co_ci_u32_e32 v212, vcc_lo, s27, v217, vcc_lo
	v_add_co_u32 v213, vcc_lo, v216, s38
	s_waitcnt vmcnt(22)
	v_wmma_f32_16x16x16_bf16 v[191:198], v[65:72], v[143:150], v[191:198]
	s_waitcnt vmcnt(20)
	v_wmma_f32_16x16x16_bf16 v[129:136], v[57:64], v[143:150], v[129:136]
	v_add_co_ci_u32_e32 v214, vcc_lo, s39, v217, vcc_lo
	v_add_co_u32 v143, vcc_lo, v216, s36
	s_waitcnt vmcnt(18)
	v_wmma_f32_16x16x16_bf16 v[191:198], v[49:56], v[151:158], v[191:198]
	s_waitcnt vmcnt(16)
	v_wmma_f32_16x16x16_bf16 v[129:136], v[41:48], v[151:158], v[129:136]
	v_add_co_ci_u32_e32 v144, vcc_lo, s37, v217, vcc_lo
	s_clause 0x15
	global_load_b128 v[121:124], v[125:126], off
	global_load_b128 v[125:128], v[125:126], off offset:16
	global_load_b128 v[113:116], v[199:200], off
	global_load_b128 v[117:120], v[199:200], off offset:16
	;; [unrolled: 2-line block ×11, first 2 shown]
	s_waitcnt vmcnt(36)
	v_wmma_f32_16x16x16_bf16 v[191:198], v[17:24], v[159:166], v[191:198]
	s_clause 0x1
	global_load_b128 v[17:20], v[213:214], off
	global_load_b128 v[21:24], v[213:214], off offset:16
	s_waitcnt vmcnt(36)
	v_wmma_f32_16x16x16_bf16 v[129:136], v[1:8], v[159:166], v[129:136]
	s_clause 0x1
	global_load_b128 v[1:4], v[143:144], off
	global_load_b128 v[5:8], v[143:144], off offset:16
	ds_load_b128 v[143:146], v215 offset:10240
	ds_load_b128 v[147:150], v215 offset:11264
	;; [unrolled: 1-line block ×4, first 2 shown]
	v_add_co_u32 v199, vcc_lo, v216, s40
	v_add_co_ci_u32_e32 v200, vcc_lo, s41, v217, vcc_lo
	v_add_co_u32 v159, vcc_lo, v216, s2
	v_add_co_ci_u32_e32 v160, vcc_lo, s3, v217, vcc_lo
	s_lshl_b64 s[2:3], s[4:5], 1
	s_delay_alu instid0(SALU_CYCLE_1)
	v_add_co_u32 v161, vcc_lo, v216, s2
	v_add_co_ci_u32_e32 v162, vcc_lo, s3, v217, vcc_lo
	s_waitcnt vmcnt(36) lgkmcnt(2)
	v_wmma_f32_16x16x16_bf16 v[191:198], v[25:32], v[143:150], v[191:198]
	s_waitcnt vmcnt(34)
	v_wmma_f32_16x16x16_bf16 v[129:136], v[33:40], v[143:150], v[129:136]
	s_clause 0x3
	global_load_b128 v[25:28], v[199:200], off
	global_load_b128 v[29:32], v[199:200], off offset:16
	global_load_b128 v[33:36], v[159:160], off
	global_load_b128 v[37:40], v[159:160], off offset:16
	v_and_b32_e32 v143, 0xe0, v0
	v_mbcnt_lo_u32_b32 v159, -1, 0
	s_waitcnt vmcnt(36) lgkmcnt(0)
	v_wmma_f32_16x16x16_bf16 v[191:198], v[9:16], v[151:158], v[191:198]
	s_clause 0x1
	global_load_b128 v[9:12], v[161:162], off
	global_load_b128 v[13:16], v[161:162], off offset:16
	s_waitcnt vmcnt(36)
	v_wmma_f32_16x16x16_bf16 v[129:136], v[167:174], v[151:158], v[129:136]
	v_add_nc_u32_e32 v160, s29, v143
	ds_load_b128 v[143:146], v215 offset:14336
	ds_load_b128 v[147:150], v215 offset:15360
	v_xor_b32_e32 v151, 16, v159
	s_waitcnt vmcnt(0) lgkmcnt(0)
	s_barrier
	v_or_b32_e32 v152, v160, v138
	buffer_gl0_inv
	v_cmp_gt_i32_e32 vcc_lo, 32, v151
	v_or_b32_e32 v153, 2, v152
	v_or_b32_e32 v154, 4, v152
	;; [unrolled: 1-line block ×5, first 2 shown]
	v_cmp_gt_i32_e64 s2, s28, v153
	v_cmp_gt_i32_e64 s3, s28, v154
	;; [unrolled: 1-line block ×3, first 2 shown]
	v_or_b32_e32 v158, 12, v152
	v_cmp_gt_i32_e64 s5, s28, v156
	v_cmp_gt_i32_e64 s6, s28, v157
	v_wmma_f32_16x16x16_bf16 v[191:198], v[175:182], v[143:150], v[191:198]
	v_wmma_f32_16x16x16_bf16 v[129:136], v[183:190], v[143:150], v[129:136]
	v_cndmask_b32_e32 v151, v159, v151, vcc_lo
	v_cmp_gt_i32_e32 vcc_lo, s28, v152
	v_or_b32_e32 v159, 14, v152
	v_dual_mul_f32 v149, s33, v192 :: v_dual_mul_f32 v150, s33, v191
	v_dual_mul_f32 v147, s33, v194 :: v_dual_mul_f32 v148, s33, v193
	v_mul_f32_e32 v145, s33, v196
	s_delay_alu instid0(VALU_DEP_3) | instskip(NEXT) | instid1(VALU_DEP_4)
	v_cndmask_b32_e64 v149, 0xff7fffff, v149, s2
	v_cndmask_b32_e32 v150, 0xff7fffff, v150, vcc_lo
	v_mul_f32_e32 v146, s33, v195
	v_cndmask_b32_e64 v148, 0xff7fffff, v148, s3
	v_cndmask_b32_e64 v147, 0xff7fffff, v147, s4
	v_or_b32_e32 v160, 16, v152
	v_max3_f32 v149, v150, 0xff7fffff, v149
	v_or_b32_e32 v161, 18, v152
	v_dual_mul_f32 v143, s33, v198 :: v_dual_mul_f32 v144, s33, v197
	v_cndmask_b32_e64 v146, 0xff7fffff, v146, s5
	v_cndmask_b32_e64 v145, 0xff7fffff, v145, s6
	v_max3_f32 v147, v149, v148, v147
	v_cmp_gt_i32_e64 s7, s28, v158
	v_cmp_gt_i32_e64 s8, s28, v159
	v_or_b32_e32 v162, 20, v152
	v_or_b32_e32 v163, 22, v152
	v_dual_mul_f32 v174, s33, v130 :: v_dual_mul_f32 v175, s33, v129
	v_cndmask_b32_e64 v144, 0xff7fffff, v144, s7
	v_cndmask_b32_e64 v143, 0xff7fffff, v143, s8
	v_max3_f32 v145, v147, v146, v145
	v_cmp_gt_i32_e64 s9, s28, v160
	v_cmp_gt_i32_e64 s10, s28, v161
	v_or_b32_e32 v164, 24, v152
	;; [unrolled: 8-line block ×3, first 2 shown]
	v_or_b32_e32 v167, 30, v152
	v_dual_mul_f32 v170, s33, v134 :: v_dual_mul_f32 v171, s33, v133
	v_cndmask_b32_e64 v144, 0xff7fffff, v173, s11
	v_cndmask_b32_e64 v145, 0xff7fffff, v172, s12
	v_max3_f32 v143, v143, v146, v147
	v_cmp_gt_i32_e64 s13, s28, v164
	v_cmp_gt_i32_e64 s15, s28, v165
	v_dual_mul_f32 v168, s33, v136 :: v_dual_mul_f32 v169, s33, v135
	s_delay_alu instid0(VALU_DEP_4) | instskip(NEXT) | instid1(VALU_DEP_4)
	v_max3_f32 v143, v143, v144, v145
	v_cndmask_b32_e64 v146, 0xff7fffff, v171, s13
	s_delay_alu instid0(VALU_DEP_4) | instskip(SKIP_3) | instid1(VALU_DEP_4)
	v_cndmask_b32_e64 v147, 0xff7fffff, v170, s15
	v_cmp_gt_i32_e64 s16, s28, v166
	v_cmp_gt_i32_e64 s17, s28, v167
	v_lshlrev_b32_e32 v154, 2, v151
	v_max3_f32 v143, v143, v146, v147
	s_delay_alu instid0(VALU_DEP_4) | instskip(NEXT) | instid1(VALU_DEP_4)
	v_cndmask_b32_e64 v144, 0xff7fffff, v169, s16
	v_cndmask_b32_e64 v145, 0xff7fffff, v168, s17
	s_delay_alu instid0(VALU_DEP_1) | instskip(SKIP_3) | instid1(VALU_DEP_1)
	v_max3_f32 v143, v143, v144, v145
	ds_bpermute_b32 v144, v154, v143
	s_waitcnt lgkmcnt(0)
	v_max_f32_e32 v144, v144, v144
	v_max_f32_e32 v153, v143, v144
	s_delay_alu instid0(VALU_DEP_1) | instskip(SKIP_4) | instid1(VALU_DEP_4)
	v_fma_f32 v143, s33, v191, -v153
	v_fma_f32 v144, s33, v192, -v153
	v_fma_f32 v132, s33, v132, -v153
	v_fma_f32 v145, s33, v193, -v153
	v_fma_f32 v146, s33, v194, -v153
	v_dual_mul_f32 v143, 0x3fb8aa3b, v143 :: v_dual_mul_f32 v144, 0x3fb8aa3b, v144
	s_delay_alu instid0(VALU_DEP_4) | instskip(SKIP_2) | instid1(VALU_DEP_4)
	v_mul_f32_e32 v132, 0x3fb8aa3b, v132
	v_fma_f32 v134, s33, v134, -v153
	v_mul_f32_e32 v145, 0x3fb8aa3b, v145
	v_exp_f32_e32 v143, v143
	v_exp_f32_e32 v147, v144
	v_fma_f32 v148, s33, v195, -v153
	v_mul_f32_e32 v134, 0x3fb8aa3b, v134
	v_mul_f32_e32 v146, 0x3fb8aa3b, v146
	v_exp_f32_e32 v145, v145
	v_fma_f32 v151, s33, v197, -v153
	v_mul_f32_e32 v148, 0x3fb8aa3b, v148
	v_fma_f32 v129, s33, v129, -v153
	v_exp_f32_e32 v149, v146
	v_cndmask_b32_e32 v144, 0, v143, vcc_lo
	v_fma_f32 v143, s33, v196, -v153
	v_cndmask_b32_e64 v146, 0, v147, s2
	v_exp_f32_e32 v148, v148
	s_delay_alu instid0(VALU_DEP_3) | instskip(NEXT) | instid1(VALU_DEP_3)
	v_dual_mul_f32 v151, 0x3fb8aa3b, v151 :: v_dual_add_f32 v150, 0, v144
	v_mul_f32_e32 v143, 0x3fb8aa3b, v143
	v_cndmask_b32_e64 v147, 0, v145, s3
	v_fma_f32 v130, s33, v130, -v153
	s_delay_alu instid0(TRANS32_DEP_2)
	v_cndmask_b32_e64 v149, 0, v149, s4
	v_add_f32_e32 v145, v150, v146
	v_fma_f32 v150, s33, v198, -v153
	v_exp_f32_e32 v143, v143
	v_exp_f32_e32 v155, v151
	v_mul_f32_e32 v129, 0x3fb8aa3b, v129
	s_delay_alu instid0(VALU_DEP_2) | instskip(SKIP_2) | instid1(VALU_DEP_3)
	v_dual_add_f32 v145, v145, v147 :: v_dual_mul_f32 v152, 0x3fb8aa3b, v150
	v_cndmask_b32_e64 v150, 0, v148, s5
	v_fma_f32 v131, s33, v131, -v153
	v_dual_mul_f32 v130, 0x3fb8aa3b, v130 :: v_dual_add_f32 v145, v145, v149
	s_delay_alu instid0(VALU_DEP_4) | instskip(NEXT) | instid1(TRANS32_DEP_3)
	v_exp_f32_e32 v152, v152
	v_cndmask_b32_e64 v151, 0, v143, s6
	v_exp_f32_e32 v129, v129
	s_delay_alu instid0(TRANS32_DEP_3)
	v_cndmask_b32_e64 v148, 0, v155, s7
	v_add_f32_e32 v143, v145, v150
	v_mul_f32_e32 v131, 0x3fb8aa3b, v131
	v_exp_f32_e32 v130, v130
	v_fma_f32 v133, s33, v133, -v153
	v_fma_f32 v136, s33, v136, -v153
	v_add_f32_e32 v143, v143, v151
	v_cndmask_b32_e64 v152, 0, v152, s8
	v_exp_f32_e32 v145, v131
	v_cndmask_b32_e64 v131, 0, v129, s9
	v_mul_f32_e32 v133, 0x3fb8aa3b, v133
	v_add_f32_e32 v143, v143, v148
	v_cmp_gt_u32_e64 s2, 16, v142
	s_delay_alu instid0(VALU_DEP_2)
	v_add_f32_e32 v129, v143, v152
	v_exp_f32_e32 v143, v132
	v_cndmask_b32_e64 v132, 0, v130, s10
	v_fma_f32 v130, s33, v135, -v153
	v_exp_f32_e32 v135, v133
	v_add_f32_e32 v129, v129, v131
	v_cndmask_b32_e64 v133, 0, v145, s11
	v_exp_f32_e32 v145, v134
	s_delay_alu instid0(VALU_DEP_2) | instskip(NEXT) | instid1(TRANS32_DEP_3)
	v_dual_mul_f32 v130, 0x3fb8aa3b, v130 :: v_dual_add_f32 v129, v129, v132
	v_cndmask_b32_e64 v134, 0, v143, s12
	v_mul_f32_e32 v143, 0x3fb8aa3b, v136
	s_delay_alu instid0(VALU_DEP_3) | instskip(NEXT) | instid1(TRANS32_DEP_3)
	v_exp_f32_e32 v130, v130
	v_cndmask_b32_e64 v135, 0, v135, s13
	v_add_f32_e32 v129, v129, v133
	s_delay_alu instid0(TRANS32_DEP_2) | instskip(SKIP_1) | instid1(VALU_DEP_2)
	v_cndmask_b32_e64 v136, 0, v145, s15
	v_exp_f32_e32 v145, v143
	v_add_f32_e32 v129, v129, v134
	s_waitcnt_depctr 0xfff
	v_cndmask_b32_e64 v143, 0, v130, s16
	v_add_f32_e32 v129, v129, v135
	v_cndmask_b32_e64 v145, 0, v145, s17
	s_delay_alu instid0(VALU_DEP_2) | instskip(NEXT) | instid1(VALU_DEP_1)
	v_add_f32_e32 v129, v129, v136
	v_add_f32_e32 v129, v129, v143
	s_delay_alu instid0(VALU_DEP_1)
	v_add_f32_e32 v129, v129, v145
	ds_bpermute_b32 v130, v154, v129
	s_and_saveexec_b32 s3, s2
	s_cbranch_execz .LBB622_12
; %bb.11:
	v_mul_u32_u24_e32 v142, 0x44, v141
	s_waitcnt lgkmcnt(0)
	v_add_f32_e32 v129, v129, v130
	s_delay_alu instid0(VALU_DEP_2) | instskip(NEXT) | instid1(VALU_DEP_1)
	v_lshl_add_u32 v142, v140, 2, v142
	v_add_nc_u32_e32 v130, 0x4000, v142
	ds_store_2addr_b32 v130, v153, v129 offset1:136
.LBB622_12:
	s_or_b32 exec_lo, exec_lo, s3
	v_lshlrev_b32_e32 v129, 2, v140
	s_waitcnt lgkmcnt(0)
	s_barrier
	buffer_gl0_inv
	v_cmp_eq_u32_e64 s3, 1, v141
	v_add_nc_u32_e32 v142, 0x4000, v129
	ds_load_2addr_b32 v[153:154], v142 offset1:17
	ds_load_2addr_b32 v[155:156], v142 offset0:34 offset1:51
	ds_load_2addr_b32 v[157:158], v142 offset0:68 offset1:85
	;; [unrolled: 1-line block ×4, first 2 shown]
	s_waitcnt lgkmcnt(4)
	v_max3_f32 v129, v153, 0xff7fffff, v154
	s_waitcnt lgkmcnt(3)
	s_delay_alu instid0(VALU_DEP_1) | instskip(SKIP_1) | instid1(VALU_DEP_1)
	v_max3_f32 v129, v129, v155, v156
	s_waitcnt lgkmcnt(2)
	v_max3_f32 v129, v129, v157, v158
	s_waitcnt lgkmcnt(1)
	s_delay_alu instid0(VALU_DEP_1) | instskip(NEXT) | instid1(VALU_DEP_1)
	v_max3_f32 v129, v129, v159, v160
	v_sub_f32_e32 v163, v154, v129
	v_sub_f32_e32 v130, v153, v129
	ds_load_2addr_b32 v[153:154], v142 offset0:170 offset1:187
	v_sub_f32_e32 v155, v155, v129
	v_dual_mul_f32 v163, 0x3fb8aa3b, v163 :: v_dual_mul_f32 v130, 0x3fb8aa3b, v130
	s_delay_alu instid0(VALU_DEP_2) | instskip(NEXT) | instid1(VALU_DEP_2)
	v_mul_f32_e32 v165, 0x3fb8aa3b, v155
	v_exp_f32_e32 v163, v163
	s_delay_alu instid0(VALU_DEP_2)
	v_exp_f32_e32 v164, v130
	v_sub_f32_e32 v130, v156, v129
	ds_load_2addr_b32 v[155:156], v142 offset0:204 offset1:221
	v_exp_f32_e32 v165, v165
	v_mul_f32_e32 v166, 0x3fb8aa3b, v130
	s_waitcnt lgkmcnt(2)
	v_fma_f32 v130, v164, v161, 0
	v_sub_f32_e32 v157, v157, v129
	s_delay_alu instid0(VALU_DEP_3) | instskip(NEXT) | instid1(VALU_DEP_2)
	v_exp_f32_e32 v166, v166
	v_dual_sub_f32 v161, v158, v129 :: v_dual_fmac_f32 v130, v163, v162
	s_waitcnt lgkmcnt(1)
	s_waitcnt_depctr 0xfff
	v_fmac_f32_e32 v130, v165, v153
	v_mul_f32_e32 v167, 0x3fb8aa3b, v157
	ds_load_2addr_b32 v[157:158], v142 offset0:238 offset1:255
	v_sub_f32_e32 v142, v159, v129
	v_dual_sub_f32 v153, v160, v129 :: v_dual_fmac_f32 v130, v166, v154
	v_mul_f32_e32 v159, 0x3fb8aa3b, v161
	v_exp_f32_e32 v161, v167
	s_delay_alu instid0(VALU_DEP_2)
	v_dual_mul_f32 v142, 0x3fb8aa3b, v142 :: v_dual_mul_f32 v153, 0x3fb8aa3b, v153
	s_waitcnt lgkmcnt(0)
	s_barrier
	buffer_gl0_inv
	v_exp_f32_e32 v142, v142
	v_exp_f32_e32 v153, v153
	v_fmac_f32_e32 v130, v161, v155
	v_exp_f32_e32 v159, v159
	s_waitcnt_depctr 0xfff
	v_fmac_f32_e32 v130, v159, v156
	s_delay_alu instid0(VALU_DEP_1) | instskip(NEXT) | instid1(VALU_DEP_1)
	v_fmac_f32_e32 v130, v142, v157
	v_fmac_f32_e32 v130, v153, v158
	s_delay_alu instid0(VALU_DEP_1) | instskip(NEXT) | instid1(VALU_DEP_1)
	v_add_f32_e32 v154, 0x358637bd, v130
	v_div_scale_f32 v155, null, v154, v154, 1.0
	v_div_scale_f32 v158, vcc_lo, 1.0, v154, 1.0
	s_delay_alu instid0(VALU_DEP_2) | instskip(SKIP_2) | instid1(VALU_DEP_1)
	v_rcp_f32_e32 v156, v155
	s_waitcnt_depctr 0xfff
	v_fma_f32 v157, -v155, v156, 1.0
	v_fmac_f32_e32 v156, v157, v156
	v_cndmask_b32_e64 v157, v164, v163, s3
	v_cmp_eq_u32_e64 s3, 2, v141
	s_delay_alu instid0(VALU_DEP_3) | instskip(NEXT) | instid1(VALU_DEP_2)
	v_mul_f32_e32 v160, v158, v156
	v_cndmask_b32_e64 v157, v157, v165, s3
	v_cmp_eq_u32_e64 s3, 3, v141
	s_delay_alu instid0(VALU_DEP_3) | instskip(NEXT) | instid1(VALU_DEP_2)
	v_fma_f32 v162, -v155, v160, v158
	v_cndmask_b32_e64 v157, v157, v166, s3
	v_cmp_eq_u32_e64 s3, 4, v141
	s_delay_alu instid0(VALU_DEP_3) | instskip(NEXT) | instid1(VALU_DEP_2)
	v_fmac_f32_e32 v160, v162, v156
	v_cndmask_b32_e64 v157, v157, v161, s3
	s_delay_alu instid0(VALU_DEP_2) | instskip(SKIP_1) | instid1(VALU_DEP_2)
	v_fma_f32 v155, -v155, v160, v158
	v_cmp_eq_u32_e64 s3, 5, v141
	v_div_fmas_f32 v155, v155, v156, v160
	s_delay_alu instid0(VALU_DEP_2) | instskip(SKIP_2) | instid1(VALU_DEP_3)
	v_cndmask_b32_e64 v157, v157, v159, s3
	v_cmp_eq_u32_e32 vcc_lo, 6, v141
	s_mov_b32 s3, exec_lo
	v_div_fixup_f32 v154, v155, v154, 1.0
	s_delay_alu instid0(VALU_DEP_3) | instskip(SKIP_1) | instid1(VALU_DEP_2)
	v_cndmask_b32_e32 v142, v157, v142, vcc_lo
	v_cmp_eq_u32_e32 vcc_lo, 7, v141
	v_cndmask_b32_e32 v142, v142, v153, vcc_lo
	s_delay_alu instid0(VALU_DEP_1) | instskip(NEXT) | instid1(VALU_DEP_1)
	v_mul_f32_e32 v142, v142, v154
	v_mul_f32_e32 v153, v142, v149
	v_mul_f32_e32 v154, v142, v144
	v_mul_f32_e32 v144, v142, v152
	v_mul_f32_e32 v148, v142, v148
	v_mul_f32_e32 v151, v142, v151
	v_mul_f32_e32 v152, v142, v150
	v_dual_mul_f32 v150, v142, v147 :: v_dual_and_b32 v155, 0x7f800000, v154
	v_mul_f32_e32 v149, v142, v146
                                        ; implicit-def: $vgpr146
	s_delay_alu instid0(VALU_DEP_2)
	v_cmpx_ne_u32_e32 0x7f800000, v155
	s_xor_b32 s3, exec_lo, s3
; %bb.13:
	v_bfe_u32 v146, v154, 16, 1
	s_delay_alu instid0(VALU_DEP_1)
	v_add3_u32 v146, v154, v146, 0x7fff
                                        ; implicit-def: $vgpr154
; %bb.14:
	s_and_not1_saveexec_b32 s3, s3
; %bb.15:
	v_and_b32_e32 v146, 0xffff, v154
	v_or_b32_e32 v147, 0x10000, v154
	s_delay_alu instid0(VALU_DEP_2) | instskip(NEXT) | instid1(VALU_DEP_2)
	v_cmp_eq_u32_e32 vcc_lo, 0, v146
	v_cndmask_b32_e32 v146, v147, v154, vcc_lo
; %bb.16:
	s_or_b32 exec_lo, exec_lo, s3
	v_and_b32_e32 v147, 0x7f800000, v149
	s_delay_alu instid0(VALU_DEP_1) | instskip(SKIP_1) | instid1(SALU_CYCLE_1)
	v_cmp_ne_u32_e32 vcc_lo, 0x7f800000, v147
                                        ; implicit-def: $vgpr147
	s_and_saveexec_b32 s3, vcc_lo
	s_xor_b32 s3, exec_lo, s3
; %bb.17:
	v_bfe_u32 v147, v149, 16, 1
	s_delay_alu instid0(VALU_DEP_1)
	v_add3_u32 v147, v149, v147, 0x7fff
                                        ; implicit-def: $vgpr149
; %bb.18:
	s_and_not1_saveexec_b32 s3, s3
; %bb.19:
	v_and_b32_e32 v147, 0xffff, v149
	v_or_b32_e32 v154, 0x10000, v149
	s_delay_alu instid0(VALU_DEP_2) | instskip(NEXT) | instid1(VALU_DEP_2)
	v_cmp_eq_u32_e32 vcc_lo, 0, v147
	v_cndmask_b32_e32 v147, v154, v149, vcc_lo
; %bb.20:
	s_or_b32 exec_lo, exec_lo, s3
	v_and_b32_e32 v149, 0x7f800000, v150
	s_delay_alu instid0(VALU_DEP_1) | instskip(SKIP_1) | instid1(SALU_CYCLE_1)
	v_cmp_ne_u32_e32 vcc_lo, 0x7f800000, v149
                                        ; implicit-def: $vgpr149
	s_and_saveexec_b32 s3, vcc_lo
	s_xor_b32 s3, exec_lo, s3
; %bb.21:
	v_bfe_u32 v149, v150, 16, 1
	s_delay_alu instid0(VALU_DEP_1)
	v_add3_u32 v149, v150, v149, 0x7fff
                                        ; implicit-def: $vgpr150
; %bb.22:
	s_and_not1_saveexec_b32 s3, s3
; %bb.23:
	v_and_b32_e32 v149, 0xffff, v150
	v_or_b32_e32 v154, 0x10000, v150
	s_delay_alu instid0(VALU_DEP_2) | instskip(NEXT) | instid1(VALU_DEP_2)
	v_cmp_eq_u32_e32 vcc_lo, 0, v149
	v_cndmask_b32_e32 v149, v154, v150, vcc_lo
; %bb.24:
	s_or_b32 exec_lo, exec_lo, s3
	v_and_b32_e32 v150, 0x7f800000, v153
	s_delay_alu instid0(VALU_DEP_1) | instskip(SKIP_1) | instid1(SALU_CYCLE_1)
	v_cmp_ne_u32_e32 vcc_lo, 0x7f800000, v150
                                        ; implicit-def: $vgpr150
	s_and_saveexec_b32 s3, vcc_lo
	s_xor_b32 s3, exec_lo, s3
; %bb.25:
	v_bfe_u32 v150, v153, 16, 1
	s_delay_alu instid0(VALU_DEP_1)
	v_add3_u32 v150, v153, v150, 0x7fff
                                        ; implicit-def: $vgpr153
; %bb.26:
	s_and_not1_saveexec_b32 s3, s3
; %bb.27:
	v_and_b32_e32 v150, 0xffff, v153
	v_or_b32_e32 v154, 0x10000, v153
	s_delay_alu instid0(VALU_DEP_2) | instskip(NEXT) | instid1(VALU_DEP_2)
	v_cmp_eq_u32_e32 vcc_lo, 0, v150
	v_cndmask_b32_e32 v150, v154, v153, vcc_lo
; %bb.28:
	s_or_b32 exec_lo, exec_lo, s3
	v_and_b32_e32 v153, 0x7f800000, v152
	s_delay_alu instid0(VALU_DEP_1) | instskip(SKIP_1) | instid1(SALU_CYCLE_1)
	v_cmp_ne_u32_e32 vcc_lo, 0x7f800000, v153
                                        ; implicit-def: $vgpr153
	s_and_saveexec_b32 s3, vcc_lo
	s_xor_b32 s3, exec_lo, s3
; %bb.29:
	v_bfe_u32 v153, v152, 16, 1
	s_delay_alu instid0(VALU_DEP_1)
	v_add3_u32 v153, v152, v153, 0x7fff
                                        ; implicit-def: $vgpr152
; %bb.30:
	s_and_not1_saveexec_b32 s3, s3
; %bb.31:
	v_and_b32_e32 v153, 0xffff, v152
	v_or_b32_e32 v154, 0x10000, v152
	s_delay_alu instid0(VALU_DEP_2) | instskip(NEXT) | instid1(VALU_DEP_2)
	v_cmp_eq_u32_e32 vcc_lo, 0, v153
	v_cndmask_b32_e32 v153, v154, v152, vcc_lo
; %bb.32:
	s_or_b32 exec_lo, exec_lo, s3
	v_and_b32_e32 v152, 0x7f800000, v151
	s_delay_alu instid0(VALU_DEP_1) | instskip(SKIP_1) | instid1(SALU_CYCLE_1)
	v_cmp_ne_u32_e32 vcc_lo, 0x7f800000, v152
                                        ; implicit-def: $vgpr152
	s_and_saveexec_b32 s3, vcc_lo
	s_xor_b32 s3, exec_lo, s3
; %bb.33:
	v_bfe_u32 v152, v151, 16, 1
	s_delay_alu instid0(VALU_DEP_1)
	v_add3_u32 v152, v151, v152, 0x7fff
                                        ; implicit-def: $vgpr151
; %bb.34:
	s_and_not1_saveexec_b32 s3, s3
; %bb.35:
	v_and_b32_e32 v152, 0xffff, v151
	v_or_b32_e32 v154, 0x10000, v151
	s_delay_alu instid0(VALU_DEP_2) | instskip(NEXT) | instid1(VALU_DEP_2)
	v_cmp_eq_u32_e32 vcc_lo, 0, v152
	v_cndmask_b32_e32 v152, v154, v151, vcc_lo
; %bb.36:
	s_or_b32 exec_lo, exec_lo, s3
	v_and_b32_e32 v151, 0x7f800000, v148
	s_delay_alu instid0(VALU_DEP_1) | instskip(SKIP_1) | instid1(SALU_CYCLE_1)
	v_cmp_ne_u32_e32 vcc_lo, 0x7f800000, v151
                                        ; implicit-def: $vgpr151
	s_and_saveexec_b32 s3, vcc_lo
	s_xor_b32 s3, exec_lo, s3
; %bb.37:
	v_bfe_u32 v151, v148, 16, 1
	s_delay_alu instid0(VALU_DEP_1)
	v_add3_u32 v151, v148, v151, 0x7fff
                                        ; implicit-def: $vgpr148
; %bb.38:
	s_and_not1_saveexec_b32 s3, s3
; %bb.39:
	v_and_b32_e32 v151, 0xffff, v148
	v_or_b32_e32 v154, 0x10000, v148
	s_delay_alu instid0(VALU_DEP_2) | instskip(NEXT) | instid1(VALU_DEP_2)
	v_cmp_eq_u32_e32 vcc_lo, 0, v151
	v_cndmask_b32_e32 v151, v154, v148, vcc_lo
; %bb.40:
	s_or_b32 exec_lo, exec_lo, s3
	v_and_b32_e32 v148, 0x7f800000, v144
	s_delay_alu instid0(VALU_DEP_1) | instskip(SKIP_1) | instid1(SALU_CYCLE_1)
	v_cmp_ne_u32_e32 vcc_lo, 0x7f800000, v148
                                        ; implicit-def: $vgpr148
	s_and_saveexec_b32 s3, vcc_lo
	s_xor_b32 s3, exec_lo, s3
; %bb.41:
	v_bfe_u32 v148, v144, 16, 1
	s_delay_alu instid0(VALU_DEP_1)
	v_add3_u32 v148, v144, v148, 0x7fff
                                        ; implicit-def: $vgpr144
; %bb.42:
	s_and_not1_saveexec_b32 s3, s3
; %bb.43:
	v_and_b32_e32 v148, 0xffff, v144
	v_or_b32_e32 v154, 0x10000, v144
	s_delay_alu instid0(VALU_DEP_2) | instskip(NEXT) | instid1(VALU_DEP_2)
	v_cmp_eq_u32_e32 vcc_lo, 0, v148
	v_cndmask_b32_e32 v148, v154, v144, vcc_lo
; %bb.44:
	s_or_b32 exec_lo, exec_lo, s3
	s_load_b64 s[34:35], s[0:1], 0x94
	v_lshlrev_b32_e32 v155, 4, v138
	s_delay_alu instid0(VALU_DEP_2)
	v_perm_b32 v154, v148, v151, 0x7060302
	v_mul_f32_e32 v148, v142, v131
	v_dual_mul_f32 v145, v142, v145 :: v_dual_lshlrev_b32 v144, 6, v140
	v_dual_mul_f32 v143, v142, v143 :: v_dual_lshlrev_b32 v156, 11, v141
	v_perm_b32 v153, v152, v153, 0x7060302
	v_perm_b32 v152, v150, v149, 0x7060302
	;; [unrolled: 1-line block ×3, first 2 shown]
	s_delay_alu instid0(VALU_DEP_4)
	v_or3_b32 v131, v155, v156, v144
	v_mul_f32_e32 v136, v142, v136
	v_dual_mul_f32 v146, v142, v134 :: v_dual_and_b32 v149, 0x7f800000, v148
	v_mul_f32_e32 v135, v142, v135
	v_mul_f32_e32 v147, v142, v133
	;; [unrolled: 1-line block ×3, first 2 shown]
	s_mov_b32 s3, exec_lo
	ds_store_b128 v131, v[151:154]
                                        ; implicit-def: $vgpr132
	v_cmpx_ne_u32_e32 0x7f800000, v149
	s_xor_b32 s3, exec_lo, s3
; %bb.45:
	v_bfe_u32 v132, v148, 16, 1
	s_delay_alu instid0(VALU_DEP_1)
	v_add3_u32 v132, v148, v132, 0x7fff
                                        ; implicit-def: $vgpr148
; %bb.46:
	s_and_not1_saveexec_b32 s3, s3
; %bb.47:
	v_and_b32_e32 v132, 0xffff, v148
	v_or_b32_e32 v133, 0x10000, v148
	s_delay_alu instid0(VALU_DEP_2) | instskip(NEXT) | instid1(VALU_DEP_2)
	v_cmp_eq_u32_e32 vcc_lo, 0, v132
	v_cndmask_b32_e32 v132, v133, v148, vcc_lo
; %bb.48:
	s_or_b32 exec_lo, exec_lo, s3
	v_and_b32_e32 v133, 0x7f800000, v134
	s_delay_alu instid0(VALU_DEP_1) | instskip(SKIP_1) | instid1(SALU_CYCLE_1)
	v_cmp_ne_u32_e32 vcc_lo, 0x7f800000, v133
                                        ; implicit-def: $vgpr133
	s_and_saveexec_b32 s3, vcc_lo
	s_xor_b32 s3, exec_lo, s3
; %bb.49:
	v_bfe_u32 v133, v134, 16, 1
	s_delay_alu instid0(VALU_DEP_1)
	v_add3_u32 v133, v134, v133, 0x7fff
                                        ; implicit-def: $vgpr134
; %bb.50:
	s_and_not1_saveexec_b32 s3, s3
; %bb.51:
	v_and_b32_e32 v133, 0xffff, v134
	v_or_b32_e32 v142, 0x10000, v134
	s_delay_alu instid0(VALU_DEP_2) | instskip(NEXT) | instid1(VALU_DEP_2)
	v_cmp_eq_u32_e32 vcc_lo, 0, v133
	v_cndmask_b32_e32 v133, v142, v134, vcc_lo
; %bb.52:
	s_or_b32 exec_lo, exec_lo, s3
	v_and_b32_e32 v134, 0x7f800000, v147
	s_delay_alu instid0(VALU_DEP_1) | instskip(SKIP_1) | instid1(SALU_CYCLE_1)
	v_cmp_ne_u32_e32 vcc_lo, 0x7f800000, v134
                                        ; implicit-def: $vgpr134
	s_and_saveexec_b32 s3, vcc_lo
	s_xor_b32 s3, exec_lo, s3
; %bb.53:
	v_bfe_u32 v134, v147, 16, 1
	s_delay_alu instid0(VALU_DEP_1)
	v_add3_u32 v134, v147, v134, 0x7fff
                                        ; implicit-def: $vgpr147
; %bb.54:
	s_and_not1_saveexec_b32 s3, s3
; %bb.55:
	v_and_b32_e32 v134, 0xffff, v147
	v_or_b32_e32 v142, 0x10000, v147
	s_delay_alu instid0(VALU_DEP_2) | instskip(NEXT) | instid1(VALU_DEP_2)
	v_cmp_eq_u32_e32 vcc_lo, 0, v134
	v_cndmask_b32_e32 v134, v142, v147, vcc_lo
; %bb.56:
	s_or_b32 exec_lo, exec_lo, s3
	v_and_b32_e32 v142, 0x7f800000, v146
	s_delay_alu instid0(VALU_DEP_1) | instskip(SKIP_1) | instid1(SALU_CYCLE_1)
	v_cmp_ne_u32_e32 vcc_lo, 0x7f800000, v142
                                        ; implicit-def: $vgpr142
	s_and_saveexec_b32 s3, vcc_lo
	s_xor_b32 s3, exec_lo, s3
; %bb.57:
	v_bfe_u32 v142, v146, 16, 1
	s_delay_alu instid0(VALU_DEP_1)
	v_add3_u32 v142, v146, v142, 0x7fff
                                        ; implicit-def: $vgpr146
; %bb.58:
	s_and_not1_saveexec_b32 s3, s3
; %bb.59:
	v_and_b32_e32 v142, 0xffff, v146
	v_or_b32_e32 v147, 0x10000, v146
	s_delay_alu instid0(VALU_DEP_2) | instskip(NEXT) | instid1(VALU_DEP_2)
	v_cmp_eq_u32_e32 vcc_lo, 0, v142
	v_cndmask_b32_e32 v142, v147, v146, vcc_lo
; %bb.60:
	s_or_b32 exec_lo, exec_lo, s3
	v_and_b32_e32 v146, 0x7f800000, v135
	s_delay_alu instid0(VALU_DEP_1) | instskip(SKIP_1) | instid1(SALU_CYCLE_1)
	v_cmp_ne_u32_e32 vcc_lo, 0x7f800000, v146
                                        ; implicit-def: $vgpr146
	s_and_saveexec_b32 s3, vcc_lo
	s_xor_b32 s3, exec_lo, s3
; %bb.61:
	v_bfe_u32 v146, v135, 16, 1
	s_delay_alu instid0(VALU_DEP_1)
	v_add3_u32 v146, v135, v146, 0x7fff
                                        ; implicit-def: $vgpr135
; %bb.62:
	s_and_not1_saveexec_b32 s3, s3
; %bb.63:
	v_and_b32_e32 v146, 0xffff, v135
	v_or_b32_e32 v147, 0x10000, v135
	s_delay_alu instid0(VALU_DEP_2) | instskip(NEXT) | instid1(VALU_DEP_2)
	v_cmp_eq_u32_e32 vcc_lo, 0, v146
	v_cndmask_b32_e32 v146, v147, v135, vcc_lo
; %bb.64:
	s_or_b32 exec_lo, exec_lo, s3
	v_and_b32_e32 v135, 0x7f800000, v136
	s_delay_alu instid0(VALU_DEP_1) | instskip(SKIP_1) | instid1(SALU_CYCLE_1)
	v_cmp_ne_u32_e32 vcc_lo, 0x7f800000, v135
                                        ; implicit-def: $vgpr135
	s_and_saveexec_b32 s3, vcc_lo
	s_xor_b32 s3, exec_lo, s3
; %bb.65:
	v_bfe_u32 v135, v136, 16, 1
	s_delay_alu instid0(VALU_DEP_1)
	v_add3_u32 v135, v136, v135, 0x7fff
                                        ; implicit-def: $vgpr136
; %bb.66:
	s_and_not1_saveexec_b32 s3, s3
; %bb.67:
	v_and_b32_e32 v135, 0xffff, v136
	v_or_b32_e32 v147, 0x10000, v136
	s_delay_alu instid0(VALU_DEP_2) | instskip(NEXT) | instid1(VALU_DEP_2)
	v_cmp_eq_u32_e32 vcc_lo, 0, v135
	v_cndmask_b32_e32 v135, v147, v136, vcc_lo
; %bb.68:
	s_or_b32 exec_lo, exec_lo, s3
	v_and_b32_e32 v136, 0x7f800000, v143
	s_delay_alu instid0(VALU_DEP_1) | instskip(SKIP_1) | instid1(SALU_CYCLE_1)
	v_cmp_ne_u32_e32 vcc_lo, 0x7f800000, v136
                                        ; implicit-def: $vgpr136
	s_and_saveexec_b32 s3, vcc_lo
	s_xor_b32 s3, exec_lo, s3
; %bb.69:
	v_bfe_u32 v136, v143, 16, 1
	s_delay_alu instid0(VALU_DEP_1)
	v_add3_u32 v136, v143, v136, 0x7fff
                                        ; implicit-def: $vgpr143
; %bb.70:
	s_and_not1_saveexec_b32 s3, s3
; %bb.71:
	v_and_b32_e32 v136, 0xffff, v143
	v_or_b32_e32 v147, 0x10000, v143
	s_delay_alu instid0(VALU_DEP_2) | instskip(NEXT) | instid1(VALU_DEP_2)
	v_cmp_eq_u32_e32 vcc_lo, 0, v136
	v_cndmask_b32_e32 v136, v147, v143, vcc_lo
; %bb.72:
	s_or_b32 exec_lo, exec_lo, s3
	v_and_b32_e32 v143, 0x7f800000, v145
	s_delay_alu instid0(VALU_DEP_1) | instskip(SKIP_1) | instid1(SALU_CYCLE_1)
	v_cmp_ne_u32_e32 vcc_lo, 0x7f800000, v143
                                        ; implicit-def: $vgpr143
	s_and_saveexec_b32 s3, vcc_lo
	s_xor_b32 s3, exec_lo, s3
; %bb.73:
	v_bfe_u32 v143, v145, 16, 1
	s_delay_alu instid0(VALU_DEP_1)
	v_add3_u32 v143, v145, v143, 0x7fff
                                        ; implicit-def: $vgpr145
; %bb.74:
	s_and_not1_saveexec_b32 s3, s3
; %bb.75:
	v_and_b32_e32 v143, 0xffff, v145
	v_or_b32_e32 v147, 0x10000, v145
	s_delay_alu instid0(VALU_DEP_2) | instskip(NEXT) | instid1(VALU_DEP_2)
	v_cmp_eq_u32_e32 vcc_lo, 0, v143
	v_cndmask_b32_e32 v143, v147, v145, vcc_lo
; %bb.76:
	s_or_b32 exec_lo, exec_lo, s3
	s_delay_alu instid0(VALU_DEP_1)
	v_perm_b32 v136, v143, v136, 0x7060302
	v_perm_b32 v135, v135, v146, 0x7060302
	;; [unrolled: 1-line block ×4, first 2 shown]
	v_lshl_or_b32 v145, v141, 11, v144
	v_lshlrev_b32_e32 v142, 2, v138
	ds_store_b128 v131, v[133:136] offset:1024
	s_waitcnt lgkmcnt(0)
	s_barrier
	buffer_gl0_inv
	ds_load_b128 v[132:135], v145
	ds_load_b128 v[147:150], v145 offset:16
	v_or_b32_e32 v143, 1, v142
	v_cmp_eq_u32_e64 s12, 1, v142
	v_cmp_eq_u32_e64 s11, 2, v142
	;; [unrolled: 1-line block ×3, first 2 shown]
	v_or_b32_e32 v141, 2, v142
	v_cmp_eq_u32_e64 s7, 1, v143
	v_cmp_eq_u32_e64 s6, 2, v143
	;; [unrolled: 1-line block ×8, first 2 shown]
	v_cmp_eq_u32_e32 vcc_lo, 5, v143
	v_cmp_eq_u32_e64 s10, 2, v141
	v_cmp_eq_u32_e64 s4, 6, v143
	;; [unrolled: 1-line block ×4, first 2 shown]
	s_waitcnt lgkmcnt(1)
	v_lshrrev_b32_e32 v136, 16, v132
	s_waitcnt lgkmcnt(0)
	v_lshrrev_b32_e32 v155, 16, v147
	v_lshrrev_b32_e32 v161, 16, v148
	;; [unrolled: 1-line block ×4, first 2 shown]
	v_cndmask_b32_e64 v146, v132, v136, s12
	v_cndmask_b32_e64 v151, v147, v155, s12
	;; [unrolled: 1-line block ×4, first 2 shown]
	v_lshrrev_b32_e32 v160, 16, v134
	v_cndmask_b32_e64 v146, v146, v133, s11
	v_cndmask_b32_e64 v151, v151, v148, s11
	;; [unrolled: 1-line block ×8, first 2 shown]
	v_lshrrev_b32_e32 v164, 16, v150
	v_cndmask_b32_e64 v153, v153, v161, s5
	v_cndmask_b32_e64 v146, v146, v134, s17
	;; [unrolled: 1-line block ×5, first 2 shown]
	v_lshrrev_b32_e32 v162, 16, v135
	v_cndmask_b32_e64 v146, v146, v160, s13
	v_cndmask_b32_e64 v151, v151, v163, s13
	v_cndmask_b32_e32 v152, v152, v160, vcc_lo
	v_cndmask_b32_e64 v153, v153, v149, s3
	v_cmp_eq_u32_e64 s19, 7, v143
	v_cndmask_b32_e64 v146, v146, v135, s15
	v_cndmask_b32_e64 v151, v151, v150, s15
	;; [unrolled: 1-line block ×4, first 2 shown]
	v_cmp_eq_u32_e64 s20, 4, v141
	v_cndmask_b32_e64 v165, v146, v162, s9
	v_cndmask_b32_e64 v166, v151, v164, s9
	;; [unrolled: 1-line block ×3, first 2 shown]
	v_or_b32_e32 v146, 3, v142
	v_cndmask_b32_e64 v167, v152, v162, s19
	v_cndmask_b32_e32 v156, v153, v163, vcc_lo
	v_cndmask_b32_e64 v158, v154, v134, s20
	v_cndmask_b32_e64 v157, v151, v148, s10
	ds_load_b128 v[151:154], v145 offset:1024
	v_cmp_eq_u32_e64 s21, 1, v146
	v_cmp_eq_u32_e64 s22, 5, v141
	;; [unrolled: 1-line block ×3, first 2 shown]
	v_cndmask_b32_e64 v157, v157, v161, s18
	v_cmp_eq_u32_e64 s24, 3, v146
	v_cndmask_b32_e64 v132, v132, v136, s21
	v_cndmask_b32_e64 v136, v156, v150, s4
	v_cndmask_b32_e64 v168, v158, v160, s22
	v_cndmask_b32_e64 v169, v157, v149, s20
	v_cndmask_b32_e64 v147, v147, v155, s21
	ds_load_b128 v[155:158], v145 offset:1040
	v_cndmask_b32_e64 v132, v132, v133, s23
	v_cmp_eq_u32_e64 s26, 4, v146
	v_cmp_eq_u32_e64 s28, 5, v146
	v_cndmask_b32_e64 v147, v147, v148, s23
	v_cmp_eq_u32_e64 s25, 6, v141
	v_cndmask_b32_e64 v132, v132, v159, s24
	;; [unrolled: 2-line block ×3, first 2 shown]
	v_cndmask_b32_e64 v147, v147, v161, s24
	s_waitcnt lgkmcnt(1)
	v_lshrrev_b32_e32 v159, 16, v151
	v_cndmask_b32_e64 v132, v132, v134, s26
	v_cndmask_b32_e64 v148, v168, v135, s25
	;; [unrolled: 1-line block ×6, first 2 shown]
	v_lshrrev_b32_e32 v160, 16, v152
	v_cndmask_b32_e64 v161, v151, v159, s7
	v_cndmask_b32_e64 v134, v134, v163, s28
	s_waitcnt lgkmcnt(0)
	v_lshrrev_b32_e32 v149, 16, v155
	v_cndmask_b32_e64 v147, v147, v152, s11
	v_cndmask_b32_e64 v132, v132, v135, s29
	v_cmp_eq_u32_e64 s27, 7, v141
	v_cndmask_b32_e64 v134, v134, v150, s29
	v_cndmask_b32_e64 v163, v155, v149, s12
	;; [unrolled: 1-line block ×4, first 2 shown]
	v_lshrrev_b32_e32 v161, 16, v156
	v_cndmask_b32_e64 v136, v136, v164, s19
	v_cndmask_b32_e64 v150, v163, v156, s11
	v_cmp_eq_u32_e64 s11, 7, v146
	v_cndmask_b32_e64 v147, v147, v160, s5
	v_cndmask_b32_e64 v135, v135, v153, s17
	v_lshrrev_b32_e32 v163, 16, v153
	v_cndmask_b32_e64 v150, v150, v161, s16
	v_cndmask_b32_e64 v132, v132, v162, s11
	;; [unrolled: 1-line block ×8, first 2 shown]
	v_lshrrev_b32_e32 v164, 16, v157
	v_perm_b32 v135, v134, v132, 0x5040100
	v_cndmask_b32_e32 v132, v147, v163, vcc_lo
	v_cndmask_b32_e64 v147, v162, v154, s15
	v_lshrrev_b32_e32 v162, 16, v154
	v_cndmask_b32_e64 v150, v150, v164, s13
	v_perm_b32 v134, v133, v148, 0x5040100
	v_cndmask_b32_e64 v132, v132, v154, s4
	v_perm_b32 v133, v136, v167, 0x5040100
	v_cndmask_b32_e64 v136, v147, v162, s9
	v_cndmask_b32_e64 v147, v150, v158, s15
	;; [unrolled: 1-line block ×27, first 2 shown]
	v_cndmask_b32_e32 v149, v149, v164, vcc_lo
	v_lshrrev_b32_e32 v148, 16, v158
	v_cndmask_b32_e64 v132, v132, v154, s25
	v_cndmask_b32_e64 v150, v150, v154, s29
	v_cndmask_b32_e64 v151, v151, v158, s29
	v_cndmask_b32_e64 v152, v152, v158, s25
	v_cndmask_b32_e64 v149, v149, v158, s4
	v_cndmask_b32_e64 v153, v132, v162, s27
	v_cndmask_b32_e64 v150, v150, v162, s11
	v_cndmask_b32_e64 v151, v151, v148, s11
	v_cndmask_b32_e64 v152, v152, v148, s27
	v_cndmask_b32_e64 v154, v149, v148, s19
	v_cndmask_b32_e64 v147, v147, v148, s9
	v_perm_b32 v132, v166, v165, 0x5040100
	v_perm_b32 v150, v151, v150, 0x5040100
	;; [unrolled: 1-line block ×5, first 2 shown]
	s_mul_i32 s8, s35, 9
	s_mov_b32 s3, exec_lo
	ds_store_b128 v131, v[132:135]
	ds_store_b128 v131, v[147:150] offset:1024
	v_cmpx_gt_u32_e32 9, v0
	s_cbranch_execz .LBB622_78
; %bb.77:
	s_mul_i32 s4, s8, s30
	s_delay_alu instid0(SALU_CYCLE_1) | instskip(SKIP_1) | instid1(VALU_DEP_1)
	v_add3_u32 v133, s4, s31, v140
	s_load_b128 s[4:7], s[0:1], 0x58
	v_mad_u64_u32 v[131:132], null, v133, s34, s[14:15]
	s_delay_alu instid0(VALU_DEP_1) | instskip(NEXT) | instid1(VALU_DEP_1)
	v_ashrrev_i32_e32 v132, 31, v131
	v_lshlrev_b64 v[131:132], 2, v[131:132]
	s_waitcnt lgkmcnt(0)
	s_delay_alu instid0(VALU_DEP_1) | instskip(NEXT) | instid1(VALU_DEP_2)
	v_add_co_u32 v133, vcc_lo, s6, v131
	v_add_co_ci_u32_e32 v134, vcc_lo, s7, v132, vcc_lo
	v_add_co_u32 v131, vcc_lo, s4, v131
	v_add_co_ci_u32_e32 v132, vcc_lo, s5, v132, vcc_lo
	global_store_b32 v[133:134], v129, off
	global_store_b32 v[131:132], v130, off
.LBB622_78:
	s_or_b32 exec_lo, exec_lo, s3
	s_waitcnt lgkmcnt(0)
	s_waitcnt_vscnt null, 0x0
	s_barrier
	buffer_gl0_inv
	ds_load_b128 v[147:150], v144
	ds_load_b128 v[151:154], v144 offset:16
	ds_load_b128 v[159:162], v144 offset:1040
	;; [unrolled: 1-line block ×3, first 2 shown]
	v_mov_b32_e32 v129, 0
	ds_load_b128 v[167:170], v144 offset:2064
	ds_load_b128 v[163:166], v144 offset:2048
	;; [unrolled: 1-line block ×6, first 2 shown]
	v_mov_b32_e32 v130, v129
	v_mov_b32_e32 v131, v129
	;; [unrolled: 1-line block ×7, first 2 shown]
	s_waitcnt lgkmcnt(8)
	s_delay_alu instid0(VALU_DEP_1)
	v_wmma_f32_16x16x16_bf16 v[129:136], v[121:128], v[147:154], v[129:136]
	ds_load_b128 v[125:128], v144 offset:5136
	ds_load_b128 v[121:124], v144 offset:5120
	s_waitcnt lgkmcnt(8)
	v_wmma_f32_16x16x16_bf16 v[129:136], v[113:120], v[155:162], v[129:136]
	ds_load_b128 v[117:120], v144 offset:6160
	ds_load_b128 v[113:116], v144 offset:6144
	s_waitcnt lgkmcnt(8)
	;; [unrolled: 4-line block ×8, first 2 shown]
	v_wmma_f32_16x16x16_bf16 v[129:136], v[65:72], v[97:104], v[129:136]
	s_waitcnt lgkmcnt(6)
	s_delay_alu instid0(VALU_DEP_1)
	v_wmma_f32_16x16x16_bf16 v[129:136], v[49:56], v[89:96], v[129:136]
	ds_load_b128 v[53:56], v144 offset:13328
	ds_load_b128 v[49:52], v144 offset:13312
	s_waitcnt lgkmcnt(6)
	v_wmma_f32_16x16x16_bf16 v[129:136], v[41:48], v[81:88], v[129:136]
	ds_load_b128 v[45:48], v144 offset:14352
	ds_load_b128 v[41:44], v144 offset:14336
	s_waitcnt lgkmcnt(6)
	v_wmma_f32_16x16x16_bf16 v[129:136], v[17:24], v[73:80], v[129:136]
	ds_load_b128 v[21:24], v144 offset:15376
	ds_load_b128 v[17:20], v144 offset:15360
	s_waitcnt lgkmcnt(6)
	v_wmma_f32_16x16x16_bf16 v[129:136], v[1:8], v[57:64], v[129:136]
	s_waitcnt lgkmcnt(4)
	s_delay_alu instid0(VALU_DEP_1) | instskip(SKIP_1) | instid1(VALU_DEP_1)
	v_wmma_f32_16x16x16_bf16 v[129:136], v[25:32], v[49:56], v[129:136]
	s_waitcnt lgkmcnt(2)
	v_wmma_f32_16x16x16_bf16 v[129:136], v[33:40], v[41:48], v[129:136]
	s_waitcnt lgkmcnt(0)
	s_delay_alu instid0(VALU_DEP_1) | instskip(NEXT) | instid1(VALU_DEP_1)
	v_wmma_f32_16x16x16_bf16 v[129:136], v[9:16], v[17:24], v[129:136]
	v_and_b32_e32 v1, 0x7f800000, v129
	s_delay_alu instid0(VALU_DEP_1) | instskip(SKIP_1) | instid1(SALU_CYCLE_1)
	v_cmp_ne_u32_e32 vcc_lo, 0x7f800000, v1
                                        ; implicit-def: $vgpr1
	s_and_saveexec_b32 s3, vcc_lo
	s_xor_b32 s3, exec_lo, s3
; %bb.79:
	v_bfe_u32 v1, v129, 16, 1
	s_delay_alu instid0(VALU_DEP_1)
	v_add3_u32 v1, v129, v1, 0x7fff
; %bb.80:
	s_and_not1_saveexec_b32 s3, s3
; %bb.81:
	v_and_b32_e32 v1, 0xffff, v129
	v_or_b32_e32 v2, 0x10000, v129
	s_delay_alu instid0(VALU_DEP_2) | instskip(NEXT) | instid1(VALU_DEP_2)
	v_cmp_eq_u32_e32 vcc_lo, 0, v1
	v_cndmask_b32_e32 v1, v2, v129, vcc_lo
; %bb.82:
	s_or_b32 exec_lo, exec_lo, s3
	v_and_b32_e32 v2, 0x7f800000, v130
	s_delay_alu instid0(VALU_DEP_1) | instskip(SKIP_1) | instid1(SALU_CYCLE_1)
	v_cmp_ne_u32_e32 vcc_lo, 0x7f800000, v2
                                        ; implicit-def: $vgpr2
	s_and_saveexec_b32 s3, vcc_lo
	s_xor_b32 s3, exec_lo, s3
; %bb.83:
	v_bfe_u32 v2, v130, 16, 1
	s_delay_alu instid0(VALU_DEP_1)
	v_add3_u32 v2, v130, v2, 0x7fff
; %bb.84:
	s_and_not1_saveexec_b32 s3, s3
; %bb.85:
	v_and_b32_e32 v2, 0xffff, v130
	v_or_b32_e32 v3, 0x10000, v130
	s_delay_alu instid0(VALU_DEP_2) | instskip(NEXT) | instid1(VALU_DEP_2)
	v_cmp_eq_u32_e32 vcc_lo, 0, v2
	v_cndmask_b32_e32 v2, v3, v130, vcc_lo
; %bb.86:
	s_or_b32 exec_lo, exec_lo, s3
	v_and_b32_e32 v3, 0x7f800000, v131
	s_delay_alu instid0(VALU_DEP_1) | instskip(SKIP_1) | instid1(SALU_CYCLE_1)
	v_cmp_ne_u32_e32 vcc_lo, 0x7f800000, v3
                                        ; implicit-def: $vgpr3
	s_and_saveexec_b32 s3, vcc_lo
	s_xor_b32 s3, exec_lo, s3
; %bb.87:
	v_bfe_u32 v3, v131, 16, 1
	s_delay_alu instid0(VALU_DEP_1)
	v_add3_u32 v3, v131, v3, 0x7fff
; %bb.88:
	s_and_not1_saveexec_b32 s3, s3
; %bb.89:
	v_and_b32_e32 v3, 0xffff, v131
	v_or_b32_e32 v4, 0x10000, v131
	s_delay_alu instid0(VALU_DEP_2) | instskip(NEXT) | instid1(VALU_DEP_2)
	v_cmp_eq_u32_e32 vcc_lo, 0, v3
	v_cndmask_b32_e32 v3, v4, v131, vcc_lo
; %bb.90:
	s_or_b32 exec_lo, exec_lo, s3
	v_and_b32_e32 v4, 0x7f800000, v132
	s_delay_alu instid0(VALU_DEP_1) | instskip(SKIP_1) | instid1(SALU_CYCLE_1)
	v_cmp_ne_u32_e32 vcc_lo, 0x7f800000, v4
                                        ; implicit-def: $vgpr4
	s_and_saveexec_b32 s3, vcc_lo
	s_xor_b32 s3, exec_lo, s3
; %bb.91:
	v_bfe_u32 v4, v132, 16, 1
	s_delay_alu instid0(VALU_DEP_1)
	v_add3_u32 v4, v132, v4, 0x7fff
; %bb.92:
	s_and_not1_saveexec_b32 s3, s3
; %bb.93:
	v_and_b32_e32 v4, 0xffff, v132
	v_or_b32_e32 v5, 0x10000, v132
	s_delay_alu instid0(VALU_DEP_2) | instskip(NEXT) | instid1(VALU_DEP_2)
	v_cmp_eq_u32_e32 vcc_lo, 0, v4
	v_cndmask_b32_e32 v4, v5, v132, vcc_lo
; %bb.94:
	s_or_b32 exec_lo, exec_lo, s3
	v_and_b32_e32 v5, 0x7f800000, v133
	s_delay_alu instid0(VALU_DEP_1) | instskip(SKIP_1) | instid1(SALU_CYCLE_1)
	v_cmp_ne_u32_e32 vcc_lo, 0x7f800000, v5
                                        ; implicit-def: $vgpr5
	s_and_saveexec_b32 s3, vcc_lo
	s_xor_b32 s3, exec_lo, s3
; %bb.95:
	v_bfe_u32 v5, v133, 16, 1
	s_delay_alu instid0(VALU_DEP_1)
	v_add3_u32 v5, v133, v5, 0x7fff
; %bb.96:
	s_and_not1_saveexec_b32 s3, s3
; %bb.97:
	v_and_b32_e32 v5, 0xffff, v133
	v_or_b32_e32 v6, 0x10000, v133
	s_delay_alu instid0(VALU_DEP_2) | instskip(NEXT) | instid1(VALU_DEP_2)
	v_cmp_eq_u32_e32 vcc_lo, 0, v5
	v_cndmask_b32_e32 v5, v6, v133, vcc_lo
; %bb.98:
	s_or_b32 exec_lo, exec_lo, s3
	v_and_b32_e32 v6, 0x7f800000, v134
	s_delay_alu instid0(VALU_DEP_1) | instskip(SKIP_1) | instid1(SALU_CYCLE_1)
	v_cmp_ne_u32_e32 vcc_lo, 0x7f800000, v6
                                        ; implicit-def: $vgpr6
	s_and_saveexec_b32 s3, vcc_lo
	s_xor_b32 s3, exec_lo, s3
; %bb.99:
	v_bfe_u32 v6, v134, 16, 1
	s_delay_alu instid0(VALU_DEP_1)
	v_add3_u32 v6, v134, v6, 0x7fff
; %bb.100:
	s_and_not1_saveexec_b32 s3, s3
; %bb.101:
	v_and_b32_e32 v6, 0xffff, v134
	v_or_b32_e32 v7, 0x10000, v134
	s_delay_alu instid0(VALU_DEP_2) | instskip(NEXT) | instid1(VALU_DEP_2)
	v_cmp_eq_u32_e32 vcc_lo, 0, v6
	v_cndmask_b32_e32 v6, v7, v134, vcc_lo
; %bb.102:
	s_or_b32 exec_lo, exec_lo, s3
	v_and_b32_e32 v7, 0x7f800000, v135
	s_delay_alu instid0(VALU_DEP_1) | instskip(SKIP_1) | instid1(SALU_CYCLE_1)
	v_cmp_ne_u32_e32 vcc_lo, 0x7f800000, v7
                                        ; implicit-def: $vgpr7
	s_and_saveexec_b32 s3, vcc_lo
	s_xor_b32 s3, exec_lo, s3
; %bb.103:
	v_bfe_u32 v7, v135, 16, 1
	s_delay_alu instid0(VALU_DEP_1)
	v_add3_u32 v7, v135, v7, 0x7fff
; %bb.104:
	s_and_not1_saveexec_b32 s3, s3
; %bb.105:
	v_and_b32_e32 v7, 0xffff, v135
	v_or_b32_e32 v8, 0x10000, v135
	s_delay_alu instid0(VALU_DEP_2) | instskip(NEXT) | instid1(VALU_DEP_2)
	v_cmp_eq_u32_e32 vcc_lo, 0, v7
	v_cndmask_b32_e32 v7, v8, v135, vcc_lo
; %bb.106:
	s_or_b32 exec_lo, exec_lo, s3
	v_and_b32_e32 v8, 0x7f800000, v136
	s_delay_alu instid0(VALU_DEP_1) | instskip(SKIP_1) | instid1(SALU_CYCLE_1)
	v_cmp_ne_u32_e32 vcc_lo, 0x7f800000, v8
                                        ; implicit-def: $vgpr8
	s_and_saveexec_b32 s3, vcc_lo
	s_xor_b32 s3, exec_lo, s3
; %bb.107:
	v_bfe_u32 v8, v136, 16, 1
	s_delay_alu instid0(VALU_DEP_1)
	v_add3_u32 v8, v136, v8, 0x7fff
                                        ; implicit-def: $vgpr129_vgpr130_vgpr131_vgpr132_vgpr133_vgpr134_vgpr135_vgpr136
; %bb.108:
	s_and_not1_saveexec_b32 s3, s3
; %bb.109:
	v_and_b32_e32 v8, 0xffff, v136
	v_or_b32_e32 v9, 0x10000, v136
	s_delay_alu instid0(VALU_DEP_2) | instskip(NEXT) | instid1(VALU_DEP_2)
	v_cmp_eq_u32_e32 vcc_lo, 0, v8
	v_cndmask_b32_e32 v8, v9, v136, vcc_lo
; %bb.110:
	s_or_b32 exec_lo, exec_lo, s3
	s_delay_alu instid0(VALU_DEP_1)
	v_perm_b32 v7, v8, v7, 0x7060302
	v_perm_b32 v6, v6, v5, 0x7060302
	;; [unrolled: 1-line block ×4, first 2 shown]
	v_lshl_or_b32 v9, v138, 4, v145
	s_barrier
	buffer_gl0_inv
	v_cmp_eq_u32_e32 vcc_lo, 1, v142
	ds_store_b128 v9, v[4:7]
	s_waitcnt lgkmcnt(0)
	s_barrier
	buffer_gl0_inv
	ds_load_b128 v[1:4], v145
	ds_load_b128 v[5:8], v145 offset:16
	v_cmp_eq_u32_e64 s4, 2, v142
	v_cmp_eq_u32_e64 s3, 1, v143
	;; [unrolled: 1-line block ×5, first 2 shown]
	s_waitcnt lgkmcnt(1)
	v_lshrrev_b32_e32 v10, 16, v1
	s_waitcnt lgkmcnt(0)
	v_lshrrev_b32_e32 v14, 16, v5
	v_lshrrev_b32_e32 v15, 16, v6
	;; [unrolled: 1-line block ×4, first 2 shown]
	v_cndmask_b32_e64 v20, v1, v10, s3
	v_cndmask_b32_e32 v19, v5, v14, vcc_lo
	v_cndmask_b32_e64 v21, v5, v14, s3
	v_lshrrev_b32_e32 v16, 16, v7
	v_cmp_eq_u32_e64 s3, 1, v141
	v_lshrrev_b32_e32 v13, 16, v4
	v_cndmask_b32_e64 v19, v19, v6, s4
	v_lshrrev_b32_e32 v17, 16, v8
	s_delay_alu instid0(VALU_DEP_4) | instskip(SKIP_1) | instid1(VALU_DEP_4)
	v_cndmask_b32_e64 v22, v1, v10, s3
	v_cndmask_b32_e64 v23, v5, v14, s3
	;; [unrolled: 1-line block ×3, first 2 shown]
	v_cndmask_b32_e32 v18, v1, v10, vcc_lo
	v_cmp_eq_u32_e32 vcc_lo, 2, v143
	v_cmp_eq_u32_e64 s3, 2, v146
	v_cndmask_b32_e64 v22, v22, v2, s7
	v_cndmask_b32_e32 v20, v20, v2, vcc_lo
	v_cndmask_b32_e32 v21, v21, v6, vcc_lo
	v_cmp_eq_u32_e32 vcc_lo, 4, v142
	v_cndmask_b32_e32 v19, v19, v7, vcc_lo
	v_cndmask_b32_e64 v18, v18, v2, s4
	v_cmp_eq_u32_e64 s4, 3, v143
	s_delay_alu instid0(VALU_DEP_2) | instskip(NEXT) | instid1(VALU_DEP_2)
	v_cndmask_b32_e64 v18, v18, v11, s5
	v_cndmask_b32_e64 v21, v21, v15, s4
	v_cmp_eq_u32_e64 s5, 5, v142
	s_delay_alu instid0(VALU_DEP_3) | instskip(SKIP_1) | instid1(VALU_DEP_3)
	v_cndmask_b32_e32 v18, v18, v3, vcc_lo
	v_cmp_eq_u32_e32 vcc_lo, 4, v143
	v_cndmask_b32_e64 v19, v19, v16, s5
	s_delay_alu instid0(VALU_DEP_3) | instskip(SKIP_4) | instid1(VALU_DEP_3)
	v_cndmask_b32_e64 v18, v18, v12, s5
	v_cndmask_b32_e32 v21, v21, v7, vcc_lo
	v_cndmask_b32_e64 v20, v20, v11, s4
	v_cmp_eq_u32_e64 s4, 5, v143
	v_cmp_eq_u32_e64 s5, 6, v142
	v_cndmask_b32_e32 v20, v20, v3, vcc_lo
	s_delay_alu instid0(VALU_DEP_3) | instskip(SKIP_1) | instid1(VALU_DEP_4)
	v_cndmask_b32_e64 v21, v21, v16, s4
	v_cmp_eq_u32_e32 vcc_lo, 6, v143
	v_cndmask_b32_e64 v18, v18, v4, s5
	v_cndmask_b32_e64 v19, v19, v8, s5
	v_cndmask_b32_e64 v20, v20, v12, s4
	v_cmp_eq_u32_e64 s4, 1, v146
	v_cmp_eq_u32_e64 s5, 7, v142
	s_delay_alu instid0(VALU_DEP_3) | instskip(NEXT) | instid1(VALU_DEP_3)
	v_cndmask_b32_e32 v20, v20, v4, vcc_lo
	v_cndmask_b32_e64 v1, v1, v10, s4
	v_cndmask_b32_e64 v5, v5, v14, s4
	v_cmp_eq_u32_e64 s4, 3, v141
	v_cndmask_b32_e64 v14, v23, v6, s7
	v_cmp_eq_u32_e64 s7, 3, v146
	v_cndmask_b32_e64 v1, v1, v2, s3
	v_cndmask_b32_e64 v2, v5, v6, s3
	;; [unrolled: 1-line block ×3, first 2 shown]
	v_cmp_eq_u32_e64 s3, 4, v141
	v_cndmask_b32_e64 v6, v14, v15, s4
	v_cndmask_b32_e64 v1, v1, v11, s7
	v_cmp_eq_u32_e64 s4, 4, v146
	v_cndmask_b32_e64 v2, v2, v15, s7
	v_cndmask_b32_e64 v5, v10, v3, s3
	;; [unrolled: 3-line block ×3, first 2 shown]
	v_cndmask_b32_e64 v2, v2, v7, s4
	v_cmp_eq_u32_e64 s3, 5, v146
	v_cndmask_b32_e64 v5, v5, v12, s7
	v_cmp_eq_u32_e64 s4, 6, v141
	;; [unrolled: 2-line block ×3, first 2 shown]
	v_cndmask_b32_e64 v1, v1, v12, s3
	v_cndmask_b32_e64 v2, v2, v16, s3
	;; [unrolled: 1-line block ×4, first 2 shown]
	v_cmp_eq_u32_e64 s3, 7, v146
	v_cndmask_b32_e64 v1, v1, v4, s7
	v_cndmask_b32_e64 v2, v2, v8, s7
	v_cmp_eq_u32_e64 s4, 7, v141
	v_cndmask_b32_e32 v4, v21, v8, vcc_lo
	v_cndmask_b32_e64 v18, v18, v13, s5
	v_cndmask_b32_e64 v20, v20, v13, s6
	;; [unrolled: 1-line block ×8, first 2 shown]
	s_mov_b32 s3, exec_lo
	v_perm_b32 v4, v2, v1, 0x5040100
	v_perm_b32 v3, v3, v5, 0x5040100
	;; [unrolled: 1-line block ×4, first 2 shown]
	ds_store_b128 v9, v[1:4]
	s_waitcnt lgkmcnt(0)
	s_barrier
	buffer_gl0_inv
	v_cmpx_gt_u32_e32 32, v0
	s_cbranch_execz .LBB622_2
; %bb.111:
	s_load_b64 s[4:5], s[0:1], 0x68
	v_lshlrev_b32_e32 v0, 10, v0
	v_lshlrev_b32_e32 v1, 4, v139
	s_lshl_b32 s0, s34, 7
	v_add_nc_u32_e32 v2, s31, v138
	s_mul_i32 s1, s0, s30
	s_delay_alu instid0(SALU_CYCLE_1) | instskip(SKIP_1) | instid1(VALU_DEP_2)
	s_mul_i32 s6, s1, s8
	v_and_or_b32 v0, 0x3800, v0, v1
	v_mul_lo_u32 v1, v2, s0
	s_ashr_i32 s7, s6, 31
	v_add_nc_u32_e32 v3, 2, v2
	s_lshl_b64 s[6:7], s[6:7], 1
	v_add_nc_u32_e32 v4, 4, v2
	v_add_nc_u32_e32 v5, 6, v2
	v_lshl_or_b32 v15, v138, 6, v0
	v_mul_lo_u32 v3, v3, s0
	v_ashrrev_i32_e32 v2, 31, v1
	v_mul_lo_u32 v19, v4, s0
	v_mul_lo_u32 v21, v5, s0
	s_waitcnt lgkmcnt(0)
	s_add_u32 s1, s4, s6
	s_addc_u32 s3, s5, s7
	s_lshl_b32 s4, s14, 7
	v_lshlrev_b64 v[5:6], 1, v[1:2]
	s_ashr_i32 s5, s4, 31
	v_ashrrev_i32_e32 v4, 31, v3
	s_lshl_b64 s[4:5], s[4:5], 1
	v_ashrrev_i32_e32 v20, 31, v19
	s_add_u32 s1, s1, s4
	s_addc_u32 s3, s3, s5
	v_add_co_u32 v1, s1, s1, v137
	s_delay_alu instid0(VALU_DEP_1) | instskip(SKIP_1) | instid1(VALU_DEP_3)
	v_add_co_ci_u32_e64 v2, null, s3, 0, s1
	v_lshlrev_b64 v[25:26], 1, v[3:4]
	v_add_co_u32 v23, vcc_lo, v1, v5
	s_delay_alu instid0(VALU_DEP_3)
	v_add_co_ci_u32_e32 v24, vcc_lo, v2, v6, vcc_lo
	ds_load_b128 v[3:6], v15
	ds_load_b128 v[7:10], v15 offset:128
	ds_load_b128 v[11:14], v15 offset:256
	;; [unrolled: 1-line block ×3, first 2 shown]
	v_ashrrev_i32_e32 v22, 31, v21
	v_lshlrev_b64 v[19:20], 1, v[19:20]
	v_add_co_u32 v25, vcc_lo, v1, v25
	v_add_co_ci_u32_e32 v26, vcc_lo, v2, v26, vcc_lo
	s_delay_alu instid0(VALU_DEP_4) | instskip(NEXT) | instid1(VALU_DEP_4)
	v_lshlrev_b64 v[21:22], 1, v[21:22]
	v_add_co_u32 v19, vcc_lo, v1, v19
	v_add_co_ci_u32_e32 v20, vcc_lo, v2, v20, vcc_lo
	s_delay_alu instid0(VALU_DEP_3) | instskip(NEXT) | instid1(VALU_DEP_4)
	v_add_co_u32 v21, vcc_lo, v1, v21
	v_add_co_ci_u32_e32 v22, vcc_lo, v2, v22, vcc_lo
	s_waitcnt lgkmcnt(3)
	global_store_b128 v[23:24], v[3:6], off
	s_waitcnt lgkmcnt(2)
	global_store_b128 v[25:26], v[7:10], off
	;; [unrolled: 2-line block ×4, first 2 shown]
	s_and_b32 exec_lo, exec_lo, s2
	s_cbranch_execz .LBB622_2
; %bb.112:
	ds_load_b128 v[3:6], v0 offset:512
	s_add_i32 s1, s31, 8
	s_delay_alu instid0(SALU_CYCLE_1) | instskip(NEXT) | instid1(SALU_CYCLE_1)
	s_mul_i32 s0, s1, s0
	s_ashr_i32 s1, s0, 31
	s_delay_alu instid0(SALU_CYCLE_1) | instskip(NEXT) | instid1(SALU_CYCLE_1)
	s_lshl_b64 s[0:1], s[0:1], 1
	v_add_co_u32 v0, vcc_lo, v1, s0
	v_add_co_ci_u32_e32 v1, vcc_lo, s1, v2, vcc_lo
	s_waitcnt lgkmcnt(0)
	global_store_b128 v[0:1], v[3:6], off
	s_nop 0
	s_sendmsg sendmsg(MSG_DEALLOC_VGPRS)
	s_endpgm
	.section	.rodata,"a",@progbits
	.p2align	6, 0x0
	.amdhsa_kernel _Z39paged_attention_ll4mi_QKV_mfma16_kernelI14__hip_bfloat16S0_LN4vllm18Fp8KVCacheDataTypeE0EhLi16ELi128ELi256ELb0ELi9EL8MFMAType0EEvPKT_PKT0_S9_ifPKiSB_SB_iPKfiiiPfSE_PS4_PT2_iSD_SD_
		.amdhsa_group_segment_fixed_size 17472
		.amdhsa_private_segment_fixed_size 0
		.amdhsa_kernarg_size 400
		.amdhsa_user_sgpr_count 13
		.amdhsa_user_sgpr_dispatch_ptr 0
		.amdhsa_user_sgpr_queue_ptr 0
		.amdhsa_user_sgpr_kernarg_segment_ptr 1
		.amdhsa_user_sgpr_dispatch_id 0
		.amdhsa_user_sgpr_private_segment_size 0
		.amdhsa_wavefront_size32 1
		.amdhsa_uses_dynamic_stack 0
		.amdhsa_enable_private_segment 0
		.amdhsa_system_sgpr_workgroup_id_x 1
		.amdhsa_system_sgpr_workgroup_id_y 1
		.amdhsa_system_sgpr_workgroup_id_z 1
		.amdhsa_system_sgpr_workgroup_info 0
		.amdhsa_system_vgpr_workitem_id 0
		.amdhsa_next_free_vgpr 218
		.amdhsa_next_free_sgpr 50
		.amdhsa_reserve_vcc 1
		.amdhsa_float_round_mode_32 0
		.amdhsa_float_round_mode_16_64 0
		.amdhsa_float_denorm_mode_32 3
		.amdhsa_float_denorm_mode_16_64 3
		.amdhsa_dx10_clamp 1
		.amdhsa_ieee_mode 1
		.amdhsa_fp16_overflow 0
		.amdhsa_workgroup_processor_mode 1
		.amdhsa_memory_ordered 1
		.amdhsa_forward_progress 0
		.amdhsa_shared_vgpr_count 0
		.amdhsa_exception_fp_ieee_invalid_op 0
		.amdhsa_exception_fp_denorm_src 0
		.amdhsa_exception_fp_ieee_div_zero 0
		.amdhsa_exception_fp_ieee_overflow 0
		.amdhsa_exception_fp_ieee_underflow 0
		.amdhsa_exception_fp_ieee_inexact 0
		.amdhsa_exception_int_div_zero 0
	.end_amdhsa_kernel
	.section	.text._Z39paged_attention_ll4mi_QKV_mfma16_kernelI14__hip_bfloat16S0_LN4vllm18Fp8KVCacheDataTypeE0EhLi16ELi128ELi256ELb0ELi9EL8MFMAType0EEvPKT_PKT0_S9_ifPKiSB_SB_iPKfiiiPfSE_PS4_PT2_iSD_SD_,"axG",@progbits,_Z39paged_attention_ll4mi_QKV_mfma16_kernelI14__hip_bfloat16S0_LN4vllm18Fp8KVCacheDataTypeE0EhLi16ELi128ELi256ELb0ELi9EL8MFMAType0EEvPKT_PKT0_S9_ifPKiSB_SB_iPKfiiiPfSE_PS4_PT2_iSD_SD_,comdat
.Lfunc_end622:
	.size	_Z39paged_attention_ll4mi_QKV_mfma16_kernelI14__hip_bfloat16S0_LN4vllm18Fp8KVCacheDataTypeE0EhLi16ELi128ELi256ELb0ELi9EL8MFMAType0EEvPKT_PKT0_S9_ifPKiSB_SB_iPKfiiiPfSE_PS4_PT2_iSD_SD_, .Lfunc_end622-_Z39paged_attention_ll4mi_QKV_mfma16_kernelI14__hip_bfloat16S0_LN4vllm18Fp8KVCacheDataTypeE0EhLi16ELi128ELi256ELb0ELi9EL8MFMAType0EEvPKT_PKT0_S9_ifPKiSB_SB_iPKfiiiPfSE_PS4_PT2_iSD_SD_
                                        ; -- End function
	.section	.AMDGPU.csdata,"",@progbits
; Kernel info:
; codeLenInByte = 10328
; NumSgprs: 52
; NumVgprs: 218
; ScratchSize: 0
; MemoryBound: 0
; FloatMode: 240
; IeeeMode: 1
; LDSByteSize: 17472 bytes/workgroup (compile time only)
; SGPRBlocks: 6
; VGPRBlocks: 27
; NumSGPRsForWavesPerEU: 52
; NumVGPRsForWavesPerEU: 218
; Occupancy: 6
; WaveLimiterHint : 1
; COMPUTE_PGM_RSRC2:SCRATCH_EN: 0
; COMPUTE_PGM_RSRC2:USER_SGPR: 13
; COMPUTE_PGM_RSRC2:TRAP_HANDLER: 0
; COMPUTE_PGM_RSRC2:TGID_X_EN: 1
; COMPUTE_PGM_RSRC2:TGID_Y_EN: 1
; COMPUTE_PGM_RSRC2:TGID_Z_EN: 1
; COMPUTE_PGM_RSRC2:TIDIG_COMP_CNT: 0
	.section	.text._Z39paged_attention_ll4mi_QKV_mfma16_kernelI14__hip_bfloat16S0_LN4vllm18Fp8KVCacheDataTypeE0EhLi16ELi128ELi256ELb0ELi10EL8MFMAType0EEvPKT_PKT0_S9_ifPKiSB_SB_iPKfiiiPfSE_PS4_PT2_iSD_SD_,"axG",@progbits,_Z39paged_attention_ll4mi_QKV_mfma16_kernelI14__hip_bfloat16S0_LN4vllm18Fp8KVCacheDataTypeE0EhLi16ELi128ELi256ELb0ELi10EL8MFMAType0EEvPKT_PKT0_S9_ifPKiSB_SB_iPKfiiiPfSE_PS4_PT2_iSD_SD_,comdat
	.protected	_Z39paged_attention_ll4mi_QKV_mfma16_kernelI14__hip_bfloat16S0_LN4vllm18Fp8KVCacheDataTypeE0EhLi16ELi128ELi256ELb0ELi10EL8MFMAType0EEvPKT_PKT0_S9_ifPKiSB_SB_iPKfiiiPfSE_PS4_PT2_iSD_SD_ ; -- Begin function _Z39paged_attention_ll4mi_QKV_mfma16_kernelI14__hip_bfloat16S0_LN4vllm18Fp8KVCacheDataTypeE0EhLi16ELi128ELi256ELb0ELi10EL8MFMAType0EEvPKT_PKT0_S9_ifPKiSB_SB_iPKfiiiPfSE_PS4_PT2_iSD_SD_
	.globl	_Z39paged_attention_ll4mi_QKV_mfma16_kernelI14__hip_bfloat16S0_LN4vllm18Fp8KVCacheDataTypeE0EhLi16ELi128ELi256ELb0ELi10EL8MFMAType0EEvPKT_PKT0_S9_ifPKiSB_SB_iPKfiiiPfSE_PS4_PT2_iSD_SD_
	.p2align	8
	.type	_Z39paged_attention_ll4mi_QKV_mfma16_kernelI14__hip_bfloat16S0_LN4vllm18Fp8KVCacheDataTypeE0EhLi16ELi128ELi256ELb0ELi10EL8MFMAType0EEvPKT_PKT0_S9_ifPKiSB_SB_iPKfiiiPfSE_PS4_PT2_iSD_SD_,@function
_Z39paged_attention_ll4mi_QKV_mfma16_kernelI14__hip_bfloat16S0_LN4vllm18Fp8KVCacheDataTypeE0EhLi16ELi128ELi256ELb0ELi10EL8MFMAType0EEvPKT_PKT0_S9_ifPKiSB_SB_iPKfiiiPfSE_PS4_PT2_iSD_SD_: ; @_Z39paged_attention_ll4mi_QKV_mfma16_kernelI14__hip_bfloat16S0_LN4vllm18Fp8KVCacheDataTypeE0EhLi16ELi128ELi256ELb0ELi10EL8MFMAType0EEvPKT_PKT0_S9_ifPKiSB_SB_iPKfiiiPfSE_PS4_PT2_iSD_SD_
; %bb.0:
	s_load_b64 s[4:5], s[0:1], 0x30
	s_mov_b32 s30, s13
	s_waitcnt lgkmcnt(0)
	s_cmp_lg_u64 s[4:5], 0
	s_cselect_b32 s8, -1, 0
	s_ashr_i32 s31, s13, 31
	s_cmp_eq_u64 s[4:5], 0
	s_cbranch_scc1 .LBB623_3
; %bb.1:
	s_lshl_b64 s[2:3], s[30:31], 2
	s_delay_alu instid0(SALU_CYCLE_1) | instskip(SKIP_4) | instid1(SALU_CYCLE_1)
	s_add_u32 s2, s4, s2
	s_addc_u32 s3, s5, s3
	s_load_b64 s[2:3], s[2:3], 0x0
	s_waitcnt lgkmcnt(0)
	s_sub_i32 s2, s3, s2
	s_cmp_eq_u32 s2, 1
	s_cselect_b32 s2, -1, 0
	s_delay_alu instid0(SALU_CYCLE_1)
	s_and_not1_b32 vcc_lo, exec_lo, s2
	s_cbranch_vccz .LBB623_4
.LBB623_2:
	s_endpgm
.LBB623_3:
.LBB623_4:
	s_load_b64 s[2:3], s[0:1], 0x28
	s_lshl_b64 s[6:7], s[30:31], 2
	s_waitcnt lgkmcnt(0)
	s_add_u32 s2, s2, s6
	s_addc_u32 s3, s3, s7
	s_lshl_b32 s31, s14, 8
	s_load_b32 s28, s[2:3], 0x0
	s_waitcnt lgkmcnt(0)
	s_cmp_ge_i32 s31, s28
	s_cbranch_scc1 .LBB623_2
; %bb.5:
	s_clause 0x1
	s_load_b128 s[20:23], s[0:1], 0x8
	s_load_b64 s[2:3], s[0:1], 0x20
	s_and_not1_b32 vcc_lo, exec_lo, s8
	s_cbranch_vccnz .LBB623_7
; %bb.6:
	s_add_u32 s4, s4, s6
	s_addc_u32 s5, s5, s7
	s_load_b32 s5, s[4:5], 0x0
	s_branch .LBB623_8
.LBB623_7:
	s_mov_b32 s5, s30
.LBB623_8:
	s_load_b128 s[16:19], s[0:1], 0x48
	v_and_b32_e32 v140, 15, v0
	v_lshrrev_b32_e32 v141, 5, v0
	v_and_b32_e32 v142, 31, v0
	v_and_b32_e32 v139, 1, v0
	v_bfe_u32 v138, v0, 4, 1
	v_lshlrev_b32_e32 v1, 3, v140
	s_mul_i32 s29, s15, 10
	s_mov_b32 s4, exec_lo
	s_delay_alu instid0(VALU_DEP_1)
	v_lshlrev_b32_e32 v137, 1, v1
	v_cmpx_gt_u32_e32 0xa0, v0
	s_cbranch_execz .LBB623_10
; %bb.9:
	s_load_b64 s[6:7], s[0:1], 0x0
	v_lshl_or_b32 v5, v141, 1, v138
	s_waitcnt lgkmcnt(0)
	s_mul_hi_i32 s9, s5, s16
	s_mul_i32 s8, s5, s16
	v_lshlrev_b32_e32 v6, 10, v140
	s_lshl_b64 s[8:9], s[8:9], 1
	v_add_lshl_u32 v1, v5, s29, 7
	v_lshlrev_b32_e32 v5, 6, v5
	v_lshlrev_b32_e32 v7, 10, v139
	v_and_b32_e32 v6, 0x3800, v6
	s_delay_alu instid0(VALU_DEP_4) | instskip(NEXT) | instid1(VALU_DEP_2)
	v_ashrrev_i32_e32 v2, 31, v1
	v_or3_b32 v5, v6, v7, v5
	s_delay_alu instid0(VALU_DEP_2) | instskip(SKIP_2) | instid1(VALU_DEP_1)
	v_lshlrev_b64 v[1:2], 1, v[1:2]
	s_add_u32 s5, s6, s8
	s_addc_u32 s6, s7, s9
	v_add_co_u32 v1, vcc_lo, s5, v1
	s_delay_alu instid0(VALU_DEP_2) | instskip(NEXT) | instid1(VALU_DEP_2)
	v_add_co_ci_u32_e32 v2, vcc_lo, s6, v2, vcc_lo
	v_add_co_u32 v1, vcc_lo, v1, v137
	s_delay_alu instid0(VALU_DEP_2)
	v_add_co_ci_u32_e32 v2, vcc_lo, 0, v2, vcc_lo
	global_load_b128 v[1:4], v[1:2], off
	s_waitcnt vmcnt(0)
	ds_store_b128 v5, v[1:4]
.LBB623_10:
	s_or_b32 exec_lo, exec_lo, s4
	v_and_b32_e32 v1, 0xef, v0
	s_waitcnt lgkmcnt(0)
	s_add_i32 s5, s28, 15
	s_clause 0x1
	s_load_b32 s4, s[0:1], 0x38
	s_load_b32 s33, s[0:1], 0x1c
	s_ashr_i32 s6, s5, 31
	v_add_nc_u32_e32 v1, s31, v1
	s_lshr_b32 s6, s6, 28
	s_waitcnt lgkmcnt(0)
	s_add_i32 s5, s5, s6
	s_barrier
	v_ashrrev_i32_e32 v2, 31, v1
	v_cmp_gt_i32_e32 vcc_lo, s28, v1
	s_ashr_i32 s16, s5, 4
	buffer_gl0_inv
	s_add_i32 s16, s16, -1
	v_lshrrev_b32_e32 v3, 28, v2
	v_or_b32_e32 v2, 16, v1
	v_add_nc_u32_e32 v105, -10, v140
	v_lshlrev_b32_e32 v106, 5, v140
	s_delay_alu instid0(VALU_DEP_4) | instskip(NEXT) | instid1(VALU_DEP_4)
	v_add_nc_u32_e32 v4, v1, v3
	v_add_nc_u32_e32 v3, v2, v3
	s_mul_i32 s4, s30, s4
	s_delay_alu instid0(VALU_DEP_3) | instskip(SKIP_4) | instid1(SALU_CYCLE_1)
	v_lshl_or_b32 v125, v141, 9, v106
	s_ashr_i32 s5, s4, 31
	v_ashrrev_i32_e32 v4, 4, v4
	v_ashrrev_i32_e32 v3, 4, v3
	s_lshl_b64 s[4:5], s[4:5], 2
	s_add_u32 s34, s2, s4
	s_delay_alu instid0(VALU_DEP_2) | instskip(SKIP_3) | instid1(VALU_DEP_2)
	v_cndmask_b32_e32 v1, s16, v4, vcc_lo
	v_cmp_gt_i32_e32 vcc_lo, s28, v2
	s_addc_u32 s35, s3, s5
	s_mul_i32 s2, s15, s18
	v_ashrrev_i32_e32 v2, 31, v1
	v_cndmask_b32_e32 v3, s16, v3, vcc_lo
	s_ashr_i32 s3, s2, 31
	s_delay_alu instid0(SALU_CYCLE_1) | instskip(NEXT) | instid1(VALU_DEP_2)
	s_lshl_b64 s[2:3], s[2:3], 1
	v_lshlrev_b64 v[1:2], 2, v[1:2]
	s_delay_alu instid0(VALU_DEP_2) | instskip(SKIP_3) | instid1(VALU_DEP_1)
	v_ashrrev_i32_e32 v4, 31, v3
	s_add_u32 s24, s20, s2
	s_addc_u32 s25, s21, s3
	s_lshl_b32 s4, s14, 4
	v_lshlrev_b64 v[3:4], 2, v[3:4]
	v_add_co_u32 v1, vcc_lo, s34, v1
	v_add_co_ci_u32_e32 v2, vcc_lo, s35, v2, vcc_lo
	s_ashr_i32 s5, s4, 31
	s_delay_alu instid0(VALU_DEP_3) | instskip(NEXT) | instid1(VALU_DEP_4)
	v_add_co_u32 v3, vcc_lo, s34, v3
	v_add_co_ci_u32_e32 v4, vcc_lo, s35, v4, vcc_lo
	s_lshl_b64 s[4:5], s[4:5], 2
	s_clause 0x1
	global_load_b32 v5, v[1:2], off
	global_load_b32 v6, v[3:4], off
	s_add_u32 s4, s34, s4
	s_addc_u32 s5, s35, s5
	s_or_b32 s6, s31, 16
	v_lshlrev_b32_e32 v3, 4, v0
	s_ashr_i32 s7, s6, 4
	s_cmp_lt_i32 s6, s28
	s_cselect_b32 s6, s7, s16
	s_delay_alu instid0(SALU_CYCLE_1) | instskip(NEXT) | instid1(SALU_CYCLE_1)
	s_ashr_i32 s7, s6, 31
	s_lshl_b64 s[6:7], s[6:7], 2
	s_delay_alu instid0(SALU_CYCLE_1) | instskip(SKIP_2) | instid1(SALU_CYCLE_1)
	s_add_u32 s6, s34, s6
	s_addc_u32 s7, s35, s7
	s_or_b32 s8, s31, 32
	s_ashr_i32 s9, s8, 4
	s_cmp_lt_i32 s8, s28
	s_cselect_b32 s8, s9, s16
	s_delay_alu instid0(SALU_CYCLE_1) | instskip(NEXT) | instid1(SALU_CYCLE_1)
	s_ashr_i32 s9, s8, 31
	s_lshl_b64 s[8:9], s[8:9], 2
	s_delay_alu instid0(SALU_CYCLE_1) | instskip(SKIP_2) | instid1(SALU_CYCLE_1)
	s_add_u32 s8, s34, s8
	s_addc_u32 s9, s35, s9
	s_or_b32 s10, s31, 48
	;; [unrolled: 10-line block ×4, first 2 shown]
	s_ashr_i32 s13, s12, 4
	s_cmp_lt_i32 s12, s28
	s_cselect_b32 s12, s13, s16
	s_delay_alu instid0(SALU_CYCLE_1) | instskip(NEXT) | instid1(SALU_CYCLE_1)
	s_ashr_i32 s13, s12, 31
	s_lshl_b64 s[12:13], s[12:13], 2
	s_delay_alu instid0(SALU_CYCLE_1)
	s_add_u32 s20, s34, s12
	s_addc_u32 s21, s35, s13
	s_clause 0x5
	s_load_b32 s36, s[4:5], 0x0
	s_load_b32 s27, s[6:7], 0x0
	;; [unrolled: 1-line block ×6, first 2 shown]
	s_waitcnt vmcnt(1)
	v_mad_i64_i32 v[1:2], null, v5, s17, 0
	v_and_b32_e32 v5, 0xf0, v3
	s_waitcnt vmcnt(0)
	v_mad_i64_i32 v[3:4], null, v6, s17, 0
	s_delay_alu instid0(VALU_DEP_2) | instskip(NEXT) | instid1(VALU_DEP_4)
	v_add_co_u32 v5, s4, s24, v5
	v_lshlrev_b64 v[1:2], 1, v[1:2]
	v_add_co_ci_u32_e64 v6, null, s25, 0, s4
	s_delay_alu instid0(VALU_DEP_4) | instskip(SKIP_1) | instid1(VALU_DEP_3)
	v_lshlrev_b64 v[3:4], 1, v[3:4]
	s_or_b32 s4, s31, 0x60
	v_add_co_u32 v121, vcc_lo, v5, v1
	s_delay_alu instid0(VALU_DEP_3) | instskip(NEXT) | instid1(VALU_DEP_3)
	v_add_co_ci_u32_e32 v122, vcc_lo, v6, v2, vcc_lo
	v_add_co_u32 v123, vcc_lo, v5, v3
	s_delay_alu instid0(VALU_DEP_4)
	v_add_co_ci_u32_e32 v124, vcc_lo, v6, v4, vcc_lo
	s_clause 0x19
	global_load_b128 v[89:92], v[121:122], off
	global_load_b128 v[93:96], v[121:122], off offset:256
	global_load_b128 v[97:100], v[123:124], off
	global_load_b128 v[101:104], v[123:124], off offset:256
	global_load_b128 v[81:84], v[121:122], off offset:512
	global_load_b128 v[85:88], v[121:122], off offset:768
	global_load_b128 v[73:76], v[123:124], off offset:512
	global_load_b128 v[77:80], v[123:124], off offset:768
	global_load_b128 v[65:68], v[121:122], off offset:1024
	global_load_b128 v[69:72], v[121:122], off offset:1280
	global_load_b128 v[57:60], v[123:124], off offset:1024
	global_load_b128 v[61:64], v[123:124], off offset:1280
	global_load_b128 v[49:52], v[121:122], off offset:1536
	global_load_b128 v[53:56], v[121:122], off offset:1792
	global_load_b128 v[41:44], v[123:124], off offset:1536
	global_load_b128 v[45:48], v[123:124], off offset:1792
	global_load_b128 v[17:20], v[121:122], off offset:2048
	global_load_b128 v[21:24], v[121:122], off offset:2304
	global_load_b128 v[1:4], v[123:124], off offset:2048
	global_load_b128 v[5:8], v[123:124], off offset:2304
	global_load_b128 v[25:28], v[121:122], off offset:2560
	global_load_b128 v[29:32], v[121:122], off offset:2816
	global_load_b128 v[33:36], v[123:124], off offset:2560
	global_load_b128 v[37:40], v[123:124], off offset:2816
	global_load_b128 v[9:12], v[121:122], off offset:3072
	global_load_b128 v[13:16], v[121:122], off offset:3328
	s_ashr_i32 s5, s4, 4
	s_cmp_lt_i32 s4, s28
	v_cmp_gt_u32_e32 vcc_lo, 10, v140
	s_cselect_b32 s4, s5, s16
	s_delay_alu instid0(SALU_CYCLE_1) | instskip(NEXT) | instid1(SALU_CYCLE_1)
	s_ashr_i32 s5, s4, 31
	s_lshl_b64 s[4:5], s[4:5], 2
	v_cndmask_b32_e32 v105, v105, v140, vcc_lo
	s_add_u32 s18, s34, s4
	s_addc_u32 s19, s35, s5
	s_or_b32 s4, s31, 0x70
	s_delay_alu instid0(SALU_CYCLE_1)
	s_ashr_i32 s5, s4, 4
	s_cmp_lt_i32 s4, s28
	v_lshlrev_b32_e32 v215, 6, v105
	s_cselect_b32 s6, s5, s16
	ds_load_b128 v[105:108], v215
	ds_load_b128 v[109:112], v215 offset:1024
	s_ashr_i32 s7, s6, 31
	ds_load_b128 v[113:116], v215 offset:2048
	ds_load_b128 v[117:120], v215 offset:3072
	;; [unrolled: 1-line block ×8, first 2 shown]
	s_clause 0x1
	global_load_b128 v[167:170], v[123:124], off offset:3072
	global_load_b128 v[171:174], v[123:124], off offset:3328
	s_lshl_b64 s[6:7], s[6:7], 2
	s_mov_b32 s4, 0
	s_add_u32 s20, s34, s6
	s_addc_u32 s21, s35, s7
	s_clause 0x1
	s_load_b32 s42, s[18:19], 0x0
	s_load_b32 s43, s[20:21], 0x0
	s_clause 0x3
	global_load_b128 v[175:178], v[121:122], off offset:3584
	global_load_b128 v[179:182], v[121:122], off offset:3840
	;; [unrolled: 1-line block ×4, first 2 shown]
	s_or_b32 s7, s31, 0x80
	s_mov_b32 s5, s4
	s_ashr_i32 s8, s7, 4
	s_cmp_lt_i32 s7, s28
	s_mov_b32 s6, s4
	s_cselect_b32 s10, s8, s16
	s_mov_b32 s7, s4
	s_ashr_i32 s11, s10, 31
	s_mov_b32 s8, s4
	s_lshl_b64 s[24:25], s[10:11], 2
	s_mov_b32 s9, s4
	s_add_u32 s24, s34, s24
	s_addc_u32 s25, s35, s25
	s_or_b32 s11, s31, 0x90
	s_mov_b32 s10, s4
	s_ashr_i32 s37, s11, 4
	s_cmp_lt_i32 s11, s28
	s_mov_b32 s11, s4
	s_cselect_b32 s38, s37, s16
	v_mov_b32_e32 v136, s11
	s_ashr_i32 s39, s38, 31
	v_dual_mov_b32 v135, s10 :: v_dual_mov_b32 v134, s9
	v_dual_mov_b32 v133, s8 :: v_dual_mov_b32 v132, s7
	v_dual_mov_b32 v131, s6 :: v_dual_mov_b32 v130, s5
	v_mov_b32_e32 v129, s4
	s_lshl_b64 s[4:5], s[38:39], 2
	s_waitcnt lgkmcnt(0)
	s_mul_hi_i32 s7, s27, s17
	s_add_u32 s38, s34, s4
	s_addc_u32 s39, s35, s5
	s_or_b32 s4, s31, 0xa0
	s_load_b32 s39, s[38:39], 0x0
	s_ashr_i32 s5, s4, 4
	s_cmp_lt_i32 s4, s28
	s_cselect_b32 s4, s5, s16
	s_delay_alu instid0(SALU_CYCLE_1) | instskip(NEXT) | instid1(SALU_CYCLE_1)
	s_ashr_i32 s5, s4, 31
	s_lshl_b64 s[4:5], s[4:5], 2
	s_delay_alu instid0(SALU_CYCLE_1)
	s_add_u32 s40, s34, s4
	s_addc_u32 s41, s35, s5
	s_or_b32 s4, s31, 0xb0
	s_mul_hi_i32 s5, s36, s17
	s_ashr_i32 s6, s4, 4
	s_cmp_lt_i32 s4, s28
	s_mul_i32 s4, s36, s17
	s_cselect_b32 s8, s6, s16
	s_mul_i32 s6, s27, s17
	s_ashr_i32 s9, s8, 31
	s_load_b32 s38, s[40:41], 0x0
	s_lshl_b64 s[10:11], s[8:9], 2
	s_mul_hi_i32 s9, s26, s17
	s_add_u32 s36, s34, s10
	s_addc_u32 s37, s35, s11
	s_or_b32 s10, s31, 0xc0
	s_mul_i32 s8, s26, s17
	s_ashr_i32 s26, s10, 4
	s_cmp_lt_i32 s10, s28
	s_mul_hi_i32 s11, s13, s17
	s_cselect_b32 s26, s26, s16
	s_mul_i32 s10, s13, s17
	s_ashr_i32 s27, s26, 31
	s_mul_hi_i32 s13, s12, s17
	s_lshl_b64 s[26:27], s[26:27], 2
	s_mul_i32 s12, s12, s17
	s_add_u32 s20, s34, s26
	s_addc_u32 s21, s35, s27
	s_or_b32 s18, s31, 0xd0
	s_load_b32 s26, s[24:25], 0x0
	s_ashr_i32 s19, s18, 4
	s_cmp_lt_i32 s18, s28
	s_mul_i32 s18, s15, s17
	s_cselect_b32 s24, s19, s16
	s_mul_hi_i32 s19, s15, s17
	s_ashr_i32 s25, s24, 31
	s_waitcnt lgkmcnt(0)
	s_mul_hi_i32 s41, s39, s17
	s_lshl_b64 s[24:25], s[24:25], 2
	s_delay_alu instid0(SALU_CYCLE_1)
	s_add_u32 s24, s34, s24
	s_addc_u32 s25, s35, s25
	s_or_b32 s40, s31, 0xe0
	s_clause 0x2
	s_load_b32 s37, s[36:37], 0x0
	s_load_b32 s36, s[20:21], 0x0
	;; [unrolled: 1-line block ×3, first 2 shown]
	s_ashr_i32 s44, s40, 4
	s_cmp_lt_i32 s40, s28
	s_mul_hi_i32 s21, s42, s17
	s_mul_i32 s20, s42, s17
	s_cselect_b32 s42, s44, s16
	s_mul_hi_i32 s25, s43, s17
	s_mul_i32 s24, s43, s17
	s_ashr_i32 s43, s42, 31
	s_mul_hi_i32 s27, s26, s17
	s_lshl_b64 s[42:43], s[42:43], 2
	s_mul_i32 s26, s26, s17
	s_add_u32 s42, s34, s42
	s_addc_u32 s43, s35, s43
	s_or_b32 s44, s31, 0xf0
	s_mul_i32 s40, s39, s17
	s_ashr_i32 s46, s44, 4
	s_cmp_lt_i32 s44, s28
	s_mul_hi_i32 s39, s38, s17
	s_cselect_b32 s46, s46, s16
	s_waitcnt lgkmcnt(0)
	s_mul_hi_i32 s49, s15, s17
	s_ashr_i32 s47, s46, 31
	s_mul_i32 s48, s15, s17
	s_lshl_b64 s[46:47], s[46:47], 2
	s_mul_i32 s38, s38, s17
	s_add_u32 s34, s34, s46
	s_addc_u32 s35, s35, s47
	s_add_u32 s15, s22, s2
	s_addc_u32 s16, s23, s3
	v_add_co_u32 v216, s15, s15, v125
	s_delay_alu instid0(VALU_DEP_1) | instskip(SKIP_2) | instid1(VALU_DEP_2)
	v_add_co_ci_u32_e64 v217, null, s16, 0, s15
	s_lshl_b64 s[2:3], s[4:5], 1
	s_lshl_b64 s[4:5], s[6:7], 1
	v_add_co_u32 v125, vcc_lo, v216, s2
	s_delay_alu instid0(VALU_DEP_2)
	v_add_co_ci_u32_e32 v126, vcc_lo, s3, v217, vcc_lo
	v_add_co_u32 v199, vcc_lo, v216, s4
	s_lshl_b64 s[6:7], s[8:9], 1
	v_add_co_ci_u32_e32 v200, vcc_lo, s5, v217, vcc_lo
	s_lshl_b64 s[8:9], s[10:11], 1
	s_lshl_b64 s[10:11], s[12:13], 1
	;; [unrolled: 1-line block ×8, first 2 shown]
	s_mul_hi_i32 s45, s37, s17
	s_mul_i32 s44, s37, s17
	s_mul_hi_i32 s37, s36, s17
	s_lshl_b64 s[38:39], s[44:45], 1
	s_mul_i32 s36, s36, s17
	s_clause 0x1
	s_load_b32 s15, s[42:43], 0x0
	s_load_b32 s16, s[34:35], 0x0
	s_lshl_b64 s[36:37], s[36:37], 1
	s_lshl_b64 s[40:41], s[48:49], 1
	s_waitcnt lgkmcnt(0)
	s_mul_hi_i32 s3, s15, s17
	s_mul_i32 s2, s15, s17
	s_mul_hi_i32 s5, s16, s17
	s_lshl_b64 s[2:3], s[2:3], 1
	s_mul_i32 s4, s16, s17
	s_waitcnt vmcnt(30)
	v_wmma_f32_16x16x16_bf16 v[191:198], v[89:96], v[105:112], v[129:136]
	v_add_co_u32 v89, vcc_lo, v216, s6
	v_add_co_ci_u32_e32 v90, vcc_lo, s7, v217, vcc_lo
	v_add_co_u32 v91, vcc_lo, v216, s8
	v_add_co_ci_u32_e32 v92, vcc_lo, s9, v217, vcc_lo
	;; [unrolled: 2-line block ×5, first 2 shown]
	v_add_co_u32 v205, vcc_lo, v216, s20
	s_waitcnt vmcnt(28)
	v_wmma_f32_16x16x16_bf16 v[129:136], v[97:104], v[105:112], v[129:136]
	v_add_co_ci_u32_e32 v206, vcc_lo, s21, v217, vcc_lo
	v_add_co_u32 v207, vcc_lo, v216, s22
	v_add_co_ci_u32_e32 v208, vcc_lo, s23, v217, vcc_lo
	v_add_co_u32 v209, vcc_lo, v216, s24
	s_waitcnt vmcnt(26)
	v_wmma_f32_16x16x16_bf16 v[191:198], v[81:88], v[113:120], v[191:198]
	s_waitcnt vmcnt(24)
	v_wmma_f32_16x16x16_bf16 v[129:136], v[73:80], v[113:120], v[129:136]
	v_add_co_ci_u32_e32 v210, vcc_lo, s25, v217, vcc_lo
	v_add_co_u32 v211, vcc_lo, v216, s26
	v_add_co_ci_u32_e32 v212, vcc_lo, s27, v217, vcc_lo
	v_add_co_u32 v213, vcc_lo, v216, s38
	s_waitcnt vmcnt(22)
	v_wmma_f32_16x16x16_bf16 v[191:198], v[65:72], v[143:150], v[191:198]
	s_waitcnt vmcnt(20)
	v_wmma_f32_16x16x16_bf16 v[129:136], v[57:64], v[143:150], v[129:136]
	v_add_co_ci_u32_e32 v214, vcc_lo, s39, v217, vcc_lo
	v_add_co_u32 v143, vcc_lo, v216, s36
	s_waitcnt vmcnt(18)
	v_wmma_f32_16x16x16_bf16 v[191:198], v[49:56], v[151:158], v[191:198]
	s_waitcnt vmcnt(16)
	v_wmma_f32_16x16x16_bf16 v[129:136], v[41:48], v[151:158], v[129:136]
	v_add_co_ci_u32_e32 v144, vcc_lo, s37, v217, vcc_lo
	s_clause 0x15
	global_load_b128 v[121:124], v[125:126], off
	global_load_b128 v[125:128], v[125:126], off offset:16
	global_load_b128 v[113:116], v[199:200], off
	global_load_b128 v[117:120], v[199:200], off offset:16
	;; [unrolled: 2-line block ×11, first 2 shown]
	s_waitcnt vmcnt(36)
	v_wmma_f32_16x16x16_bf16 v[191:198], v[17:24], v[159:166], v[191:198]
	s_clause 0x1
	global_load_b128 v[17:20], v[213:214], off
	global_load_b128 v[21:24], v[213:214], off offset:16
	s_waitcnt vmcnt(36)
	v_wmma_f32_16x16x16_bf16 v[129:136], v[1:8], v[159:166], v[129:136]
	s_clause 0x1
	global_load_b128 v[1:4], v[143:144], off
	global_load_b128 v[5:8], v[143:144], off offset:16
	ds_load_b128 v[143:146], v215 offset:10240
	ds_load_b128 v[147:150], v215 offset:11264
	;; [unrolled: 1-line block ×4, first 2 shown]
	v_add_co_u32 v199, vcc_lo, v216, s40
	v_add_co_ci_u32_e32 v200, vcc_lo, s41, v217, vcc_lo
	v_add_co_u32 v159, vcc_lo, v216, s2
	v_add_co_ci_u32_e32 v160, vcc_lo, s3, v217, vcc_lo
	s_lshl_b64 s[2:3], s[4:5], 1
	s_delay_alu instid0(SALU_CYCLE_1)
	v_add_co_u32 v161, vcc_lo, v216, s2
	v_add_co_ci_u32_e32 v162, vcc_lo, s3, v217, vcc_lo
	s_waitcnt vmcnt(36) lgkmcnt(2)
	v_wmma_f32_16x16x16_bf16 v[191:198], v[25:32], v[143:150], v[191:198]
	s_waitcnt vmcnt(34)
	v_wmma_f32_16x16x16_bf16 v[129:136], v[33:40], v[143:150], v[129:136]
	s_clause 0x3
	global_load_b128 v[25:28], v[199:200], off
	global_load_b128 v[29:32], v[199:200], off offset:16
	global_load_b128 v[33:36], v[159:160], off
	global_load_b128 v[37:40], v[159:160], off offset:16
	v_and_b32_e32 v143, 0xe0, v0
	v_mbcnt_lo_u32_b32 v159, -1, 0
	s_waitcnt vmcnt(36) lgkmcnt(0)
	v_wmma_f32_16x16x16_bf16 v[191:198], v[9:16], v[151:158], v[191:198]
	s_clause 0x1
	global_load_b128 v[9:12], v[161:162], off
	global_load_b128 v[13:16], v[161:162], off offset:16
	s_waitcnt vmcnt(36)
	v_wmma_f32_16x16x16_bf16 v[129:136], v[167:174], v[151:158], v[129:136]
	v_add_nc_u32_e32 v160, s31, v143
	ds_load_b128 v[143:146], v215 offset:14336
	ds_load_b128 v[147:150], v215 offset:15360
	v_xor_b32_e32 v151, 16, v159
	s_waitcnt vmcnt(0) lgkmcnt(0)
	s_barrier
	v_or_b32_e32 v152, v160, v138
	buffer_gl0_inv
	v_cmp_gt_i32_e32 vcc_lo, 32, v151
	v_or_b32_e32 v153, 2, v152
	v_or_b32_e32 v154, 4, v152
	;; [unrolled: 1-line block ×5, first 2 shown]
	v_cmp_gt_i32_e64 s2, s28, v153
	v_cmp_gt_i32_e64 s3, s28, v154
	;; [unrolled: 1-line block ×3, first 2 shown]
	v_or_b32_e32 v158, 12, v152
	v_cmp_gt_i32_e64 s5, s28, v156
	v_cmp_gt_i32_e64 s6, s28, v157
	v_wmma_f32_16x16x16_bf16 v[191:198], v[175:182], v[143:150], v[191:198]
	v_wmma_f32_16x16x16_bf16 v[129:136], v[183:190], v[143:150], v[129:136]
	v_cndmask_b32_e32 v151, v159, v151, vcc_lo
	v_cmp_gt_i32_e32 vcc_lo, s28, v152
	v_or_b32_e32 v159, 14, v152
	v_dual_mul_f32 v149, s33, v192 :: v_dual_mul_f32 v150, s33, v191
	v_dual_mul_f32 v147, s33, v194 :: v_dual_mul_f32 v148, s33, v193
	v_mul_f32_e32 v145, s33, v196
	s_delay_alu instid0(VALU_DEP_3) | instskip(NEXT) | instid1(VALU_DEP_4)
	v_cndmask_b32_e64 v149, 0xff7fffff, v149, s2
	v_cndmask_b32_e32 v150, 0xff7fffff, v150, vcc_lo
	v_mul_f32_e32 v146, s33, v195
	v_cndmask_b32_e64 v148, 0xff7fffff, v148, s3
	v_cndmask_b32_e64 v147, 0xff7fffff, v147, s4
	v_or_b32_e32 v160, 16, v152
	v_max3_f32 v149, v150, 0xff7fffff, v149
	v_or_b32_e32 v161, 18, v152
	v_dual_mul_f32 v143, s33, v198 :: v_dual_mul_f32 v144, s33, v197
	v_cndmask_b32_e64 v146, 0xff7fffff, v146, s5
	v_cndmask_b32_e64 v145, 0xff7fffff, v145, s6
	v_max3_f32 v147, v149, v148, v147
	v_cmp_gt_i32_e64 s7, s28, v158
	v_cmp_gt_i32_e64 s8, s28, v159
	v_or_b32_e32 v162, 20, v152
	v_or_b32_e32 v163, 22, v152
	v_dual_mul_f32 v174, s33, v130 :: v_dual_mul_f32 v175, s33, v129
	v_cndmask_b32_e64 v144, 0xff7fffff, v144, s7
	v_cndmask_b32_e64 v143, 0xff7fffff, v143, s8
	v_max3_f32 v145, v147, v146, v145
	v_cmp_gt_i32_e64 s9, s28, v160
	v_cmp_gt_i32_e64 s10, s28, v161
	v_or_b32_e32 v164, 24, v152
	;; [unrolled: 8-line block ×3, first 2 shown]
	v_or_b32_e32 v167, 30, v152
	v_dual_mul_f32 v170, s33, v134 :: v_dual_mul_f32 v171, s33, v133
	v_cndmask_b32_e64 v144, 0xff7fffff, v173, s11
	v_cndmask_b32_e64 v145, 0xff7fffff, v172, s12
	v_max3_f32 v143, v143, v146, v147
	v_cmp_gt_i32_e64 s13, s28, v164
	v_cmp_gt_i32_e64 s15, s28, v165
	v_dual_mul_f32 v168, s33, v136 :: v_dual_mul_f32 v169, s33, v135
	s_delay_alu instid0(VALU_DEP_4) | instskip(NEXT) | instid1(VALU_DEP_4)
	v_max3_f32 v143, v143, v144, v145
	v_cndmask_b32_e64 v146, 0xff7fffff, v171, s13
	s_delay_alu instid0(VALU_DEP_4) | instskip(SKIP_3) | instid1(VALU_DEP_4)
	v_cndmask_b32_e64 v147, 0xff7fffff, v170, s15
	v_cmp_gt_i32_e64 s16, s28, v166
	v_cmp_gt_i32_e64 s17, s28, v167
	v_lshlrev_b32_e32 v154, 2, v151
	v_max3_f32 v143, v143, v146, v147
	s_delay_alu instid0(VALU_DEP_4) | instskip(NEXT) | instid1(VALU_DEP_4)
	v_cndmask_b32_e64 v144, 0xff7fffff, v169, s16
	v_cndmask_b32_e64 v145, 0xff7fffff, v168, s17
	s_delay_alu instid0(VALU_DEP_1) | instskip(SKIP_3) | instid1(VALU_DEP_1)
	v_max3_f32 v143, v143, v144, v145
	ds_bpermute_b32 v144, v154, v143
	s_waitcnt lgkmcnt(0)
	v_max_f32_e32 v144, v144, v144
	v_max_f32_e32 v153, v143, v144
	s_delay_alu instid0(VALU_DEP_1) | instskip(SKIP_4) | instid1(VALU_DEP_4)
	v_fma_f32 v143, s33, v191, -v153
	v_fma_f32 v144, s33, v192, -v153
	v_fma_f32 v132, s33, v132, -v153
	v_fma_f32 v145, s33, v193, -v153
	v_fma_f32 v146, s33, v194, -v153
	v_dual_mul_f32 v143, 0x3fb8aa3b, v143 :: v_dual_mul_f32 v144, 0x3fb8aa3b, v144
	s_delay_alu instid0(VALU_DEP_4) | instskip(SKIP_2) | instid1(VALU_DEP_4)
	v_mul_f32_e32 v132, 0x3fb8aa3b, v132
	v_fma_f32 v134, s33, v134, -v153
	v_mul_f32_e32 v145, 0x3fb8aa3b, v145
	v_exp_f32_e32 v143, v143
	v_exp_f32_e32 v147, v144
	v_fma_f32 v148, s33, v195, -v153
	v_mul_f32_e32 v134, 0x3fb8aa3b, v134
	v_mul_f32_e32 v146, 0x3fb8aa3b, v146
	v_exp_f32_e32 v145, v145
	v_fma_f32 v151, s33, v197, -v153
	v_mul_f32_e32 v148, 0x3fb8aa3b, v148
	v_fma_f32 v129, s33, v129, -v153
	v_exp_f32_e32 v149, v146
	v_cndmask_b32_e32 v144, 0, v143, vcc_lo
	v_fma_f32 v143, s33, v196, -v153
	v_cndmask_b32_e64 v146, 0, v147, s2
	v_exp_f32_e32 v148, v148
	s_delay_alu instid0(VALU_DEP_3) | instskip(NEXT) | instid1(VALU_DEP_3)
	v_dual_mul_f32 v151, 0x3fb8aa3b, v151 :: v_dual_add_f32 v150, 0, v144
	v_mul_f32_e32 v143, 0x3fb8aa3b, v143
	v_cndmask_b32_e64 v147, 0, v145, s3
	v_fma_f32 v130, s33, v130, -v153
	s_delay_alu instid0(TRANS32_DEP_2)
	v_cndmask_b32_e64 v149, 0, v149, s4
	v_add_f32_e32 v145, v150, v146
	v_fma_f32 v150, s33, v198, -v153
	v_exp_f32_e32 v143, v143
	v_exp_f32_e32 v155, v151
	v_mul_f32_e32 v129, 0x3fb8aa3b, v129
	s_delay_alu instid0(VALU_DEP_2) | instskip(SKIP_2) | instid1(VALU_DEP_3)
	v_dual_add_f32 v145, v145, v147 :: v_dual_mul_f32 v152, 0x3fb8aa3b, v150
	v_cndmask_b32_e64 v150, 0, v148, s5
	v_fma_f32 v131, s33, v131, -v153
	v_dual_mul_f32 v130, 0x3fb8aa3b, v130 :: v_dual_add_f32 v145, v145, v149
	s_delay_alu instid0(VALU_DEP_4) | instskip(NEXT) | instid1(TRANS32_DEP_3)
	v_exp_f32_e32 v152, v152
	v_cndmask_b32_e64 v151, 0, v143, s6
	v_exp_f32_e32 v129, v129
	s_delay_alu instid0(TRANS32_DEP_3)
	v_cndmask_b32_e64 v148, 0, v155, s7
	v_add_f32_e32 v143, v145, v150
	v_mul_f32_e32 v131, 0x3fb8aa3b, v131
	v_exp_f32_e32 v130, v130
	v_fma_f32 v133, s33, v133, -v153
	v_fma_f32 v136, s33, v136, -v153
	v_add_f32_e32 v143, v143, v151
	v_cndmask_b32_e64 v152, 0, v152, s8
	v_exp_f32_e32 v145, v131
	v_cndmask_b32_e64 v131, 0, v129, s9
	v_mul_f32_e32 v133, 0x3fb8aa3b, v133
	v_add_f32_e32 v143, v143, v148
	s_mov_b32 s2, exec_lo
	s_delay_alu instid0(VALU_DEP_1)
	v_add_f32_e32 v129, v143, v152
	v_exp_f32_e32 v143, v132
	v_cndmask_b32_e64 v132, 0, v130, s10
	v_fma_f32 v130, s33, v135, -v153
	v_exp_f32_e32 v135, v133
	v_add_f32_e32 v129, v129, v131
	v_cndmask_b32_e64 v133, 0, v145, s11
	v_exp_f32_e32 v145, v134
	s_delay_alu instid0(VALU_DEP_2) | instskip(NEXT) | instid1(TRANS32_DEP_3)
	v_dual_mul_f32 v130, 0x3fb8aa3b, v130 :: v_dual_add_f32 v129, v129, v132
	v_cndmask_b32_e64 v134, 0, v143, s12
	v_mul_f32_e32 v143, 0x3fb8aa3b, v136
	s_delay_alu instid0(VALU_DEP_3) | instskip(NEXT) | instid1(TRANS32_DEP_3)
	v_exp_f32_e32 v130, v130
	v_cndmask_b32_e64 v135, 0, v135, s13
	v_add_f32_e32 v129, v129, v133
	s_delay_alu instid0(TRANS32_DEP_2) | instskip(SKIP_1) | instid1(VALU_DEP_2)
	v_cndmask_b32_e64 v136, 0, v145, s15
	v_exp_f32_e32 v145, v143
	v_add_f32_e32 v129, v129, v134
	s_waitcnt_depctr 0xfff
	v_cndmask_b32_e64 v143, 0, v130, s16
	v_add_f32_e32 v129, v129, v135
	v_cndmask_b32_e64 v145, 0, v145, s17
	s_delay_alu instid0(VALU_DEP_2) | instskip(NEXT) | instid1(VALU_DEP_1)
	v_add_f32_e32 v129, v129, v136
	v_add_f32_e32 v129, v129, v143
	s_delay_alu instid0(VALU_DEP_1)
	v_add_f32_e32 v129, v129, v145
	ds_bpermute_b32 v130, v154, v129
	v_cmpx_gt_u32_e32 16, v142
	s_cbranch_execz .LBB623_12
; %bb.11:
	v_mul_u32_u24_e32 v142, 0x44, v141
	s_waitcnt lgkmcnt(0)
	v_add_f32_e32 v129, v129, v130
	s_delay_alu instid0(VALU_DEP_2) | instskip(NEXT) | instid1(VALU_DEP_1)
	v_lshl_add_u32 v142, v140, 2, v142
	v_add_nc_u32_e32 v130, 0x4000, v142
	ds_store_2addr_b32 v130, v153, v129 offset1:136
.LBB623_12:
	s_or_b32 exec_lo, exec_lo, s2
	v_lshlrev_b32_e32 v129, 2, v140
	s_waitcnt lgkmcnt(0)
	s_barrier
	buffer_gl0_inv
	v_cmp_eq_u32_e64 s2, 1, v141
	v_add_nc_u32_e32 v142, 0x4000, v129
	ds_load_2addr_b32 v[153:154], v142 offset1:17
	ds_load_2addr_b32 v[155:156], v142 offset0:34 offset1:51
	ds_load_2addr_b32 v[157:158], v142 offset0:68 offset1:85
	;; [unrolled: 1-line block ×4, first 2 shown]
	s_waitcnt lgkmcnt(4)
	v_max3_f32 v129, v153, 0xff7fffff, v154
	s_waitcnt lgkmcnt(3)
	s_delay_alu instid0(VALU_DEP_1) | instskip(SKIP_1) | instid1(VALU_DEP_1)
	v_max3_f32 v129, v129, v155, v156
	s_waitcnt lgkmcnt(2)
	v_max3_f32 v129, v129, v157, v158
	s_waitcnt lgkmcnt(1)
	s_delay_alu instid0(VALU_DEP_1) | instskip(NEXT) | instid1(VALU_DEP_1)
	v_max3_f32 v129, v129, v159, v160
	v_sub_f32_e32 v163, v154, v129
	v_sub_f32_e32 v130, v153, v129
	ds_load_2addr_b32 v[153:154], v142 offset0:170 offset1:187
	v_sub_f32_e32 v155, v155, v129
	v_dual_mul_f32 v163, 0x3fb8aa3b, v163 :: v_dual_mul_f32 v130, 0x3fb8aa3b, v130
	s_delay_alu instid0(VALU_DEP_2) | instskip(NEXT) | instid1(VALU_DEP_2)
	v_mul_f32_e32 v165, 0x3fb8aa3b, v155
	v_exp_f32_e32 v163, v163
	s_delay_alu instid0(VALU_DEP_2)
	v_exp_f32_e32 v164, v130
	v_sub_f32_e32 v130, v156, v129
	ds_load_2addr_b32 v[155:156], v142 offset0:204 offset1:221
	v_exp_f32_e32 v165, v165
	v_mul_f32_e32 v166, 0x3fb8aa3b, v130
	s_waitcnt lgkmcnt(2)
	v_fma_f32 v130, v164, v161, 0
	v_sub_f32_e32 v157, v157, v129
	s_delay_alu instid0(VALU_DEP_3) | instskip(NEXT) | instid1(VALU_DEP_2)
	v_exp_f32_e32 v166, v166
	v_dual_sub_f32 v161, v158, v129 :: v_dual_fmac_f32 v130, v163, v162
	s_waitcnt lgkmcnt(1)
	s_waitcnt_depctr 0xfff
	v_fmac_f32_e32 v130, v165, v153
	v_mul_f32_e32 v167, 0x3fb8aa3b, v157
	ds_load_2addr_b32 v[157:158], v142 offset0:238 offset1:255
	v_sub_f32_e32 v142, v159, v129
	v_dual_sub_f32 v153, v160, v129 :: v_dual_fmac_f32 v130, v166, v154
	v_mul_f32_e32 v159, 0x3fb8aa3b, v161
	v_exp_f32_e32 v161, v167
	s_delay_alu instid0(VALU_DEP_2)
	v_dual_mul_f32 v142, 0x3fb8aa3b, v142 :: v_dual_mul_f32 v153, 0x3fb8aa3b, v153
	s_waitcnt lgkmcnt(0)
	s_barrier
	buffer_gl0_inv
	v_exp_f32_e32 v142, v142
	v_exp_f32_e32 v153, v153
	v_fmac_f32_e32 v130, v161, v155
	v_exp_f32_e32 v159, v159
	s_waitcnt_depctr 0xfff
	v_fmac_f32_e32 v130, v159, v156
	s_delay_alu instid0(VALU_DEP_1) | instskip(NEXT) | instid1(VALU_DEP_1)
	v_fmac_f32_e32 v130, v142, v157
	v_fmac_f32_e32 v130, v153, v158
	s_delay_alu instid0(VALU_DEP_1) | instskip(NEXT) | instid1(VALU_DEP_1)
	v_add_f32_e32 v154, 0x358637bd, v130
	v_div_scale_f32 v155, null, v154, v154, 1.0
	v_div_scale_f32 v158, vcc_lo, 1.0, v154, 1.0
	s_delay_alu instid0(VALU_DEP_2) | instskip(SKIP_2) | instid1(VALU_DEP_1)
	v_rcp_f32_e32 v156, v155
	s_waitcnt_depctr 0xfff
	v_fma_f32 v157, -v155, v156, 1.0
	v_fmac_f32_e32 v156, v157, v156
	v_cndmask_b32_e64 v157, v164, v163, s2
	v_cmp_eq_u32_e64 s2, 2, v141
	s_delay_alu instid0(VALU_DEP_3) | instskip(NEXT) | instid1(VALU_DEP_2)
	v_mul_f32_e32 v160, v158, v156
	v_cndmask_b32_e64 v157, v157, v165, s2
	v_cmp_eq_u32_e64 s2, 3, v141
	s_delay_alu instid0(VALU_DEP_3) | instskip(NEXT) | instid1(VALU_DEP_2)
	v_fma_f32 v162, -v155, v160, v158
	v_cndmask_b32_e64 v157, v157, v166, s2
	v_cmp_eq_u32_e64 s2, 4, v141
	s_delay_alu instid0(VALU_DEP_3) | instskip(NEXT) | instid1(VALU_DEP_2)
	v_fmac_f32_e32 v160, v162, v156
	v_cndmask_b32_e64 v157, v157, v161, s2
	s_delay_alu instid0(VALU_DEP_2) | instskip(SKIP_1) | instid1(VALU_DEP_2)
	v_fma_f32 v155, -v155, v160, v158
	v_cmp_eq_u32_e64 s2, 5, v141
	v_div_fmas_f32 v155, v155, v156, v160
	s_delay_alu instid0(VALU_DEP_2) | instskip(SKIP_2) | instid1(VALU_DEP_3)
	v_cndmask_b32_e64 v157, v157, v159, s2
	v_cmp_eq_u32_e32 vcc_lo, 6, v141
	s_mov_b32 s2, exec_lo
	v_div_fixup_f32 v154, v155, v154, 1.0
	s_delay_alu instid0(VALU_DEP_3) | instskip(SKIP_1) | instid1(VALU_DEP_2)
	v_cndmask_b32_e32 v142, v157, v142, vcc_lo
	v_cmp_eq_u32_e32 vcc_lo, 7, v141
	v_cndmask_b32_e32 v142, v142, v153, vcc_lo
	s_delay_alu instid0(VALU_DEP_1) | instskip(NEXT) | instid1(VALU_DEP_1)
	v_mul_f32_e32 v142, v142, v154
	v_mul_f32_e32 v153, v142, v149
	;; [unrolled: 1-line block ×7, first 2 shown]
	v_dual_mul_f32 v150, v142, v147 :: v_dual_and_b32 v155, 0x7f800000, v154
	v_mul_f32_e32 v149, v142, v146
                                        ; implicit-def: $vgpr146
	s_delay_alu instid0(VALU_DEP_2)
	v_cmpx_ne_u32_e32 0x7f800000, v155
	s_xor_b32 s2, exec_lo, s2
; %bb.13:
	v_bfe_u32 v146, v154, 16, 1
	s_delay_alu instid0(VALU_DEP_1)
	v_add3_u32 v146, v154, v146, 0x7fff
                                        ; implicit-def: $vgpr154
; %bb.14:
	s_and_not1_saveexec_b32 s2, s2
; %bb.15:
	v_and_b32_e32 v146, 0xffff, v154
	v_or_b32_e32 v147, 0x10000, v154
	s_delay_alu instid0(VALU_DEP_2) | instskip(NEXT) | instid1(VALU_DEP_2)
	v_cmp_eq_u32_e32 vcc_lo, 0, v146
	v_cndmask_b32_e32 v146, v147, v154, vcc_lo
; %bb.16:
	s_or_b32 exec_lo, exec_lo, s2
	v_and_b32_e32 v147, 0x7f800000, v149
	s_delay_alu instid0(VALU_DEP_1) | instskip(SKIP_1) | instid1(SALU_CYCLE_1)
	v_cmp_ne_u32_e32 vcc_lo, 0x7f800000, v147
                                        ; implicit-def: $vgpr147
	s_and_saveexec_b32 s2, vcc_lo
	s_xor_b32 s2, exec_lo, s2
; %bb.17:
	v_bfe_u32 v147, v149, 16, 1
	s_delay_alu instid0(VALU_DEP_1)
	v_add3_u32 v147, v149, v147, 0x7fff
                                        ; implicit-def: $vgpr149
; %bb.18:
	s_and_not1_saveexec_b32 s2, s2
; %bb.19:
	v_and_b32_e32 v147, 0xffff, v149
	v_or_b32_e32 v154, 0x10000, v149
	s_delay_alu instid0(VALU_DEP_2) | instskip(NEXT) | instid1(VALU_DEP_2)
	v_cmp_eq_u32_e32 vcc_lo, 0, v147
	v_cndmask_b32_e32 v147, v154, v149, vcc_lo
; %bb.20:
	s_or_b32 exec_lo, exec_lo, s2
	v_and_b32_e32 v149, 0x7f800000, v150
	s_delay_alu instid0(VALU_DEP_1) | instskip(SKIP_1) | instid1(SALU_CYCLE_1)
	v_cmp_ne_u32_e32 vcc_lo, 0x7f800000, v149
                                        ; implicit-def: $vgpr149
	s_and_saveexec_b32 s2, vcc_lo
	s_xor_b32 s2, exec_lo, s2
; %bb.21:
	v_bfe_u32 v149, v150, 16, 1
	s_delay_alu instid0(VALU_DEP_1)
	v_add3_u32 v149, v150, v149, 0x7fff
                                        ; implicit-def: $vgpr150
; %bb.22:
	s_and_not1_saveexec_b32 s2, s2
; %bb.23:
	v_and_b32_e32 v149, 0xffff, v150
	v_or_b32_e32 v154, 0x10000, v150
	s_delay_alu instid0(VALU_DEP_2) | instskip(NEXT) | instid1(VALU_DEP_2)
	v_cmp_eq_u32_e32 vcc_lo, 0, v149
	v_cndmask_b32_e32 v149, v154, v150, vcc_lo
; %bb.24:
	s_or_b32 exec_lo, exec_lo, s2
	v_and_b32_e32 v150, 0x7f800000, v153
	s_delay_alu instid0(VALU_DEP_1) | instskip(SKIP_1) | instid1(SALU_CYCLE_1)
	v_cmp_ne_u32_e32 vcc_lo, 0x7f800000, v150
                                        ; implicit-def: $vgpr150
	s_and_saveexec_b32 s2, vcc_lo
	s_xor_b32 s2, exec_lo, s2
; %bb.25:
	v_bfe_u32 v150, v153, 16, 1
	s_delay_alu instid0(VALU_DEP_1)
	v_add3_u32 v150, v153, v150, 0x7fff
                                        ; implicit-def: $vgpr153
; %bb.26:
	s_and_not1_saveexec_b32 s2, s2
; %bb.27:
	v_and_b32_e32 v150, 0xffff, v153
	v_or_b32_e32 v154, 0x10000, v153
	s_delay_alu instid0(VALU_DEP_2) | instskip(NEXT) | instid1(VALU_DEP_2)
	v_cmp_eq_u32_e32 vcc_lo, 0, v150
	v_cndmask_b32_e32 v150, v154, v153, vcc_lo
; %bb.28:
	s_or_b32 exec_lo, exec_lo, s2
	v_and_b32_e32 v153, 0x7f800000, v152
	s_delay_alu instid0(VALU_DEP_1) | instskip(SKIP_1) | instid1(SALU_CYCLE_1)
	v_cmp_ne_u32_e32 vcc_lo, 0x7f800000, v153
                                        ; implicit-def: $vgpr153
	s_and_saveexec_b32 s2, vcc_lo
	s_xor_b32 s2, exec_lo, s2
; %bb.29:
	v_bfe_u32 v153, v152, 16, 1
	s_delay_alu instid0(VALU_DEP_1)
	v_add3_u32 v153, v152, v153, 0x7fff
                                        ; implicit-def: $vgpr152
; %bb.30:
	s_and_not1_saveexec_b32 s2, s2
; %bb.31:
	v_and_b32_e32 v153, 0xffff, v152
	v_or_b32_e32 v154, 0x10000, v152
	s_delay_alu instid0(VALU_DEP_2) | instskip(NEXT) | instid1(VALU_DEP_2)
	v_cmp_eq_u32_e32 vcc_lo, 0, v153
	v_cndmask_b32_e32 v153, v154, v152, vcc_lo
; %bb.32:
	s_or_b32 exec_lo, exec_lo, s2
	v_and_b32_e32 v152, 0x7f800000, v151
	s_delay_alu instid0(VALU_DEP_1) | instskip(SKIP_1) | instid1(SALU_CYCLE_1)
	v_cmp_ne_u32_e32 vcc_lo, 0x7f800000, v152
                                        ; implicit-def: $vgpr152
	s_and_saveexec_b32 s2, vcc_lo
	s_xor_b32 s2, exec_lo, s2
; %bb.33:
	v_bfe_u32 v152, v151, 16, 1
	s_delay_alu instid0(VALU_DEP_1)
	v_add3_u32 v152, v151, v152, 0x7fff
                                        ; implicit-def: $vgpr151
; %bb.34:
	s_and_not1_saveexec_b32 s2, s2
; %bb.35:
	v_and_b32_e32 v152, 0xffff, v151
	v_or_b32_e32 v154, 0x10000, v151
	s_delay_alu instid0(VALU_DEP_2) | instskip(NEXT) | instid1(VALU_DEP_2)
	v_cmp_eq_u32_e32 vcc_lo, 0, v152
	v_cndmask_b32_e32 v152, v154, v151, vcc_lo
; %bb.36:
	s_or_b32 exec_lo, exec_lo, s2
	v_and_b32_e32 v151, 0x7f800000, v148
	s_delay_alu instid0(VALU_DEP_1) | instskip(SKIP_1) | instid1(SALU_CYCLE_1)
	v_cmp_ne_u32_e32 vcc_lo, 0x7f800000, v151
                                        ; implicit-def: $vgpr151
	s_and_saveexec_b32 s2, vcc_lo
	s_xor_b32 s2, exec_lo, s2
; %bb.37:
	v_bfe_u32 v151, v148, 16, 1
	s_delay_alu instid0(VALU_DEP_1)
	v_add3_u32 v151, v148, v151, 0x7fff
                                        ; implicit-def: $vgpr148
; %bb.38:
	s_and_not1_saveexec_b32 s2, s2
; %bb.39:
	v_and_b32_e32 v151, 0xffff, v148
	v_or_b32_e32 v154, 0x10000, v148
	s_delay_alu instid0(VALU_DEP_2) | instskip(NEXT) | instid1(VALU_DEP_2)
	v_cmp_eq_u32_e32 vcc_lo, 0, v151
	v_cndmask_b32_e32 v151, v154, v148, vcc_lo
; %bb.40:
	s_or_b32 exec_lo, exec_lo, s2
	v_and_b32_e32 v148, 0x7f800000, v144
	s_delay_alu instid0(VALU_DEP_1) | instskip(SKIP_1) | instid1(SALU_CYCLE_1)
	v_cmp_ne_u32_e32 vcc_lo, 0x7f800000, v148
                                        ; implicit-def: $vgpr148
	s_and_saveexec_b32 s2, vcc_lo
	s_xor_b32 s2, exec_lo, s2
; %bb.41:
	v_bfe_u32 v148, v144, 16, 1
	s_delay_alu instid0(VALU_DEP_1)
	v_add3_u32 v148, v144, v148, 0x7fff
                                        ; implicit-def: $vgpr144
; %bb.42:
	s_and_not1_saveexec_b32 s2, s2
; %bb.43:
	v_and_b32_e32 v148, 0xffff, v144
	v_or_b32_e32 v154, 0x10000, v144
	s_delay_alu instid0(VALU_DEP_2) | instskip(NEXT) | instid1(VALU_DEP_2)
	v_cmp_eq_u32_e32 vcc_lo, 0, v148
	v_cndmask_b32_e32 v148, v154, v144, vcc_lo
; %bb.44:
	s_or_b32 exec_lo, exec_lo, s2
	s_load_b64 s[34:35], s[0:1], 0x94
	v_lshlrev_b32_e32 v155, 4, v138
	s_delay_alu instid0(VALU_DEP_2)
	v_perm_b32 v154, v148, v151, 0x7060302
	v_mul_f32_e32 v148, v142, v131
	v_dual_mul_f32 v145, v142, v145 :: v_dual_lshlrev_b32 v144, 6, v140
	v_dual_mul_f32 v143, v142, v143 :: v_dual_lshlrev_b32 v156, 11, v141
	v_perm_b32 v153, v152, v153, 0x7060302
	v_perm_b32 v152, v150, v149, 0x7060302
	;; [unrolled: 1-line block ×3, first 2 shown]
	s_delay_alu instid0(VALU_DEP_4)
	v_or3_b32 v131, v155, v156, v144
	v_mul_f32_e32 v136, v142, v136
	v_dual_mul_f32 v146, v142, v134 :: v_dual_and_b32 v149, 0x7f800000, v148
	v_mul_f32_e32 v135, v142, v135
	v_mul_f32_e32 v147, v142, v133
	;; [unrolled: 1-line block ×3, first 2 shown]
	s_mov_b32 s2, exec_lo
	ds_store_b128 v131, v[151:154]
                                        ; implicit-def: $vgpr132
	v_cmpx_ne_u32_e32 0x7f800000, v149
	s_xor_b32 s2, exec_lo, s2
; %bb.45:
	v_bfe_u32 v132, v148, 16, 1
	s_delay_alu instid0(VALU_DEP_1)
	v_add3_u32 v132, v148, v132, 0x7fff
                                        ; implicit-def: $vgpr148
; %bb.46:
	s_and_not1_saveexec_b32 s2, s2
; %bb.47:
	v_and_b32_e32 v132, 0xffff, v148
	v_or_b32_e32 v133, 0x10000, v148
	s_delay_alu instid0(VALU_DEP_2) | instskip(NEXT) | instid1(VALU_DEP_2)
	v_cmp_eq_u32_e32 vcc_lo, 0, v132
	v_cndmask_b32_e32 v132, v133, v148, vcc_lo
; %bb.48:
	s_or_b32 exec_lo, exec_lo, s2
	v_and_b32_e32 v133, 0x7f800000, v134
	s_delay_alu instid0(VALU_DEP_1) | instskip(SKIP_1) | instid1(SALU_CYCLE_1)
	v_cmp_ne_u32_e32 vcc_lo, 0x7f800000, v133
                                        ; implicit-def: $vgpr133
	s_and_saveexec_b32 s2, vcc_lo
	s_xor_b32 s2, exec_lo, s2
; %bb.49:
	v_bfe_u32 v133, v134, 16, 1
	s_delay_alu instid0(VALU_DEP_1)
	v_add3_u32 v133, v134, v133, 0x7fff
                                        ; implicit-def: $vgpr134
; %bb.50:
	s_and_not1_saveexec_b32 s2, s2
; %bb.51:
	v_and_b32_e32 v133, 0xffff, v134
	v_or_b32_e32 v142, 0x10000, v134
	s_delay_alu instid0(VALU_DEP_2) | instskip(NEXT) | instid1(VALU_DEP_2)
	v_cmp_eq_u32_e32 vcc_lo, 0, v133
	v_cndmask_b32_e32 v133, v142, v134, vcc_lo
; %bb.52:
	s_or_b32 exec_lo, exec_lo, s2
	v_and_b32_e32 v134, 0x7f800000, v147
	s_delay_alu instid0(VALU_DEP_1) | instskip(SKIP_1) | instid1(SALU_CYCLE_1)
	v_cmp_ne_u32_e32 vcc_lo, 0x7f800000, v134
                                        ; implicit-def: $vgpr134
	s_and_saveexec_b32 s2, vcc_lo
	s_xor_b32 s2, exec_lo, s2
; %bb.53:
	v_bfe_u32 v134, v147, 16, 1
	s_delay_alu instid0(VALU_DEP_1)
	v_add3_u32 v134, v147, v134, 0x7fff
                                        ; implicit-def: $vgpr147
; %bb.54:
	s_and_not1_saveexec_b32 s2, s2
; %bb.55:
	v_and_b32_e32 v134, 0xffff, v147
	v_or_b32_e32 v142, 0x10000, v147
	s_delay_alu instid0(VALU_DEP_2) | instskip(NEXT) | instid1(VALU_DEP_2)
	v_cmp_eq_u32_e32 vcc_lo, 0, v134
	v_cndmask_b32_e32 v134, v142, v147, vcc_lo
; %bb.56:
	s_or_b32 exec_lo, exec_lo, s2
	v_and_b32_e32 v142, 0x7f800000, v146
	s_delay_alu instid0(VALU_DEP_1) | instskip(SKIP_1) | instid1(SALU_CYCLE_1)
	v_cmp_ne_u32_e32 vcc_lo, 0x7f800000, v142
                                        ; implicit-def: $vgpr142
	s_and_saveexec_b32 s2, vcc_lo
	s_xor_b32 s2, exec_lo, s2
; %bb.57:
	v_bfe_u32 v142, v146, 16, 1
	s_delay_alu instid0(VALU_DEP_1)
	v_add3_u32 v142, v146, v142, 0x7fff
                                        ; implicit-def: $vgpr146
; %bb.58:
	s_and_not1_saveexec_b32 s2, s2
; %bb.59:
	v_and_b32_e32 v142, 0xffff, v146
	v_or_b32_e32 v147, 0x10000, v146
	s_delay_alu instid0(VALU_DEP_2) | instskip(NEXT) | instid1(VALU_DEP_2)
	v_cmp_eq_u32_e32 vcc_lo, 0, v142
	v_cndmask_b32_e32 v142, v147, v146, vcc_lo
; %bb.60:
	s_or_b32 exec_lo, exec_lo, s2
	v_and_b32_e32 v146, 0x7f800000, v135
	s_delay_alu instid0(VALU_DEP_1) | instskip(SKIP_1) | instid1(SALU_CYCLE_1)
	v_cmp_ne_u32_e32 vcc_lo, 0x7f800000, v146
                                        ; implicit-def: $vgpr146
	s_and_saveexec_b32 s2, vcc_lo
	s_xor_b32 s2, exec_lo, s2
; %bb.61:
	v_bfe_u32 v146, v135, 16, 1
	s_delay_alu instid0(VALU_DEP_1)
	v_add3_u32 v146, v135, v146, 0x7fff
                                        ; implicit-def: $vgpr135
; %bb.62:
	s_and_not1_saveexec_b32 s2, s2
; %bb.63:
	v_and_b32_e32 v146, 0xffff, v135
	v_or_b32_e32 v147, 0x10000, v135
	s_delay_alu instid0(VALU_DEP_2) | instskip(NEXT) | instid1(VALU_DEP_2)
	v_cmp_eq_u32_e32 vcc_lo, 0, v146
	v_cndmask_b32_e32 v146, v147, v135, vcc_lo
; %bb.64:
	s_or_b32 exec_lo, exec_lo, s2
	v_and_b32_e32 v135, 0x7f800000, v136
	s_delay_alu instid0(VALU_DEP_1) | instskip(SKIP_1) | instid1(SALU_CYCLE_1)
	v_cmp_ne_u32_e32 vcc_lo, 0x7f800000, v135
                                        ; implicit-def: $vgpr135
	s_and_saveexec_b32 s2, vcc_lo
	s_xor_b32 s2, exec_lo, s2
; %bb.65:
	v_bfe_u32 v135, v136, 16, 1
	s_delay_alu instid0(VALU_DEP_1)
	v_add3_u32 v135, v136, v135, 0x7fff
                                        ; implicit-def: $vgpr136
; %bb.66:
	s_and_not1_saveexec_b32 s2, s2
; %bb.67:
	v_and_b32_e32 v135, 0xffff, v136
	v_or_b32_e32 v147, 0x10000, v136
	s_delay_alu instid0(VALU_DEP_2) | instskip(NEXT) | instid1(VALU_DEP_2)
	v_cmp_eq_u32_e32 vcc_lo, 0, v135
	v_cndmask_b32_e32 v135, v147, v136, vcc_lo
; %bb.68:
	s_or_b32 exec_lo, exec_lo, s2
	v_and_b32_e32 v136, 0x7f800000, v143
	s_delay_alu instid0(VALU_DEP_1) | instskip(SKIP_1) | instid1(SALU_CYCLE_1)
	v_cmp_ne_u32_e32 vcc_lo, 0x7f800000, v136
                                        ; implicit-def: $vgpr136
	s_and_saveexec_b32 s2, vcc_lo
	s_xor_b32 s2, exec_lo, s2
; %bb.69:
	v_bfe_u32 v136, v143, 16, 1
	s_delay_alu instid0(VALU_DEP_1)
	v_add3_u32 v136, v143, v136, 0x7fff
                                        ; implicit-def: $vgpr143
; %bb.70:
	s_and_not1_saveexec_b32 s2, s2
; %bb.71:
	v_and_b32_e32 v136, 0xffff, v143
	v_or_b32_e32 v147, 0x10000, v143
	s_delay_alu instid0(VALU_DEP_2) | instskip(NEXT) | instid1(VALU_DEP_2)
	v_cmp_eq_u32_e32 vcc_lo, 0, v136
	v_cndmask_b32_e32 v136, v147, v143, vcc_lo
; %bb.72:
	s_or_b32 exec_lo, exec_lo, s2
	v_and_b32_e32 v143, 0x7f800000, v145
	s_delay_alu instid0(VALU_DEP_1) | instskip(SKIP_1) | instid1(SALU_CYCLE_1)
	v_cmp_ne_u32_e32 vcc_lo, 0x7f800000, v143
                                        ; implicit-def: $vgpr143
	s_and_saveexec_b32 s2, vcc_lo
	s_xor_b32 s2, exec_lo, s2
; %bb.73:
	v_bfe_u32 v143, v145, 16, 1
	s_delay_alu instid0(VALU_DEP_1)
	v_add3_u32 v143, v145, v143, 0x7fff
                                        ; implicit-def: $vgpr145
; %bb.74:
	s_and_not1_saveexec_b32 s2, s2
; %bb.75:
	v_and_b32_e32 v143, 0xffff, v145
	v_or_b32_e32 v147, 0x10000, v145
	s_delay_alu instid0(VALU_DEP_2) | instskip(NEXT) | instid1(VALU_DEP_2)
	v_cmp_eq_u32_e32 vcc_lo, 0, v143
	v_cndmask_b32_e32 v143, v147, v145, vcc_lo
; %bb.76:
	s_or_b32 exec_lo, exec_lo, s2
	s_delay_alu instid0(VALU_DEP_1)
	v_perm_b32 v136, v143, v136, 0x7060302
	v_perm_b32 v135, v135, v146, 0x7060302
	;; [unrolled: 1-line block ×4, first 2 shown]
	v_lshl_or_b32 v145, v141, 11, v144
	v_lshlrev_b32_e32 v142, 2, v138
	ds_store_b128 v131, v[133:136] offset:1024
	s_waitcnt lgkmcnt(0)
	s_barrier
	buffer_gl0_inv
	ds_load_b128 v[132:135], v145
	ds_load_b128 v[147:150], v145 offset:16
	v_or_b32_e32 v143, 1, v142
	v_cmp_eq_u32_e64 s11, 1, v142
	v_cmp_eq_u32_e64 s10, 2, v142
	;; [unrolled: 1-line block ×3, first 2 shown]
	v_or_b32_e32 v141, 2, v142
	v_cmp_eq_u32_e64 s6, 1, v143
	v_cmp_eq_u32_e64 s5, 2, v143
	;; [unrolled: 1-line block ×8, first 2 shown]
	v_cmp_eq_u32_e32 vcc_lo, 5, v143
	v_cmp_eq_u32_e64 s9, 2, v141
	v_cmp_eq_u32_e64 s3, 6, v143
	v_cmp_eq_u32_e64 s8, 7, v142
	v_cmp_eq_u32_e64 s17, 3, v141
	s_waitcnt lgkmcnt(1)
	v_lshrrev_b32_e32 v136, 16, v132
	s_waitcnt lgkmcnt(0)
	v_lshrrev_b32_e32 v155, 16, v147
	v_lshrrev_b32_e32 v161, 16, v148
	;; [unrolled: 1-line block ×4, first 2 shown]
	v_cndmask_b32_e64 v146, v132, v136, s11
	v_cndmask_b32_e64 v151, v147, v155, s11
	;; [unrolled: 1-line block ×4, first 2 shown]
	v_lshrrev_b32_e32 v160, 16, v134
	v_cndmask_b32_e64 v146, v146, v133, s10
	v_cndmask_b32_e64 v151, v151, v148, s10
	;; [unrolled: 1-line block ×8, first 2 shown]
	v_lshrrev_b32_e32 v164, 16, v150
	v_cndmask_b32_e64 v153, v153, v161, s4
	v_cndmask_b32_e64 v146, v146, v134, s16
	;; [unrolled: 1-line block ×5, first 2 shown]
	v_lshrrev_b32_e32 v162, 16, v135
	v_cndmask_b32_e64 v146, v146, v160, s12
	v_cndmask_b32_e64 v151, v151, v163, s12
	v_cndmask_b32_e32 v152, v152, v160, vcc_lo
	v_cndmask_b32_e64 v153, v153, v149, s2
	v_cmp_eq_u32_e64 s18, 7, v143
	v_cndmask_b32_e64 v146, v146, v135, s13
	v_cndmask_b32_e64 v151, v151, v150, s13
	;; [unrolled: 1-line block ×4, first 2 shown]
	v_cmp_eq_u32_e64 s19, 4, v141
	v_cndmask_b32_e64 v165, v146, v162, s8
	v_cndmask_b32_e64 v166, v151, v164, s8
	;; [unrolled: 1-line block ×3, first 2 shown]
	v_or_b32_e32 v146, 3, v142
	v_cndmask_b32_e64 v167, v152, v162, s18
	v_cndmask_b32_e32 v156, v153, v163, vcc_lo
	v_cndmask_b32_e64 v158, v154, v134, s19
	v_cndmask_b32_e64 v157, v151, v148, s9
	ds_load_b128 v[151:154], v145 offset:1024
	v_cmp_eq_u32_e64 s20, 1, v146
	v_cmp_eq_u32_e64 s21, 5, v141
	;; [unrolled: 1-line block ×3, first 2 shown]
	v_cndmask_b32_e64 v157, v157, v161, s17
	v_cmp_eq_u32_e64 s23, 3, v146
	v_cndmask_b32_e64 v132, v132, v136, s20
	v_cndmask_b32_e64 v136, v156, v150, s3
	;; [unrolled: 1-line block ×5, first 2 shown]
	ds_load_b128 v[155:158], v145 offset:1040
	v_cndmask_b32_e64 v132, v132, v133, s22
	v_cmp_eq_u32_e64 s25, 4, v146
	v_cmp_eq_u32_e64 s27, 5, v146
	v_cndmask_b32_e64 v147, v147, v148, s22
	v_cmp_eq_u32_e64 s24, 6, v141
	v_cndmask_b32_e64 v132, v132, v159, s23
	;; [unrolled: 2-line block ×3, first 2 shown]
	v_cndmask_b32_e64 v147, v147, v161, s23
	s_waitcnt lgkmcnt(1)
	v_lshrrev_b32_e32 v159, 16, v151
	v_cndmask_b32_e64 v132, v132, v134, s25
	v_cndmask_b32_e64 v148, v168, v135, s24
	;; [unrolled: 1-line block ×6, first 2 shown]
	v_lshrrev_b32_e32 v160, 16, v152
	v_cndmask_b32_e64 v161, v151, v159, s6
	v_cndmask_b32_e64 v134, v134, v163, s27
	s_waitcnt lgkmcnt(0)
	v_lshrrev_b32_e32 v149, 16, v155
	v_cndmask_b32_e64 v147, v147, v152, s10
	v_cndmask_b32_e64 v132, v132, v135, s28
	v_cmp_eq_u32_e64 s26, 7, v141
	v_cndmask_b32_e64 v134, v134, v150, s28
	v_cndmask_b32_e64 v163, v155, v149, s11
	;; [unrolled: 1-line block ×4, first 2 shown]
	v_lshrrev_b32_e32 v161, 16, v156
	v_cndmask_b32_e64 v136, v136, v164, s18
	v_cndmask_b32_e64 v150, v163, v156, s10
	v_cmp_eq_u32_e64 s10, 7, v146
	v_cndmask_b32_e64 v147, v147, v160, s4
	v_cndmask_b32_e64 v135, v135, v153, s16
	v_lshrrev_b32_e32 v163, 16, v153
	v_cndmask_b32_e64 v150, v150, v161, s15
	v_cndmask_b32_e64 v132, v132, v162, s10
	;; [unrolled: 1-line block ×8, first 2 shown]
	v_lshrrev_b32_e32 v164, 16, v157
	v_perm_b32 v135, v134, v132, 0x5040100
	v_cndmask_b32_e32 v132, v147, v163, vcc_lo
	v_cndmask_b32_e64 v147, v162, v154, s13
	v_lshrrev_b32_e32 v162, 16, v154
	v_cndmask_b32_e64 v150, v150, v164, s12
	v_perm_b32 v134, v133, v148, 0x5040100
	v_cndmask_b32_e64 v132, v132, v154, s3
	v_perm_b32 v133, v136, v167, 0x5040100
	v_cndmask_b32_e64 v136, v147, v162, s8
	v_cndmask_b32_e64 v147, v150, v158, s13
	;; [unrolled: 1-line block ×27, first 2 shown]
	v_cndmask_b32_e32 v149, v149, v164, vcc_lo
	v_lshrrev_b32_e32 v148, 16, v158
	v_cndmask_b32_e64 v132, v132, v154, s24
	v_cndmask_b32_e64 v150, v150, v154, s28
	;; [unrolled: 1-line block ×11, first 2 shown]
	v_perm_b32 v132, v166, v165, 0x5040100
	v_perm_b32 v150, v151, v150, 0x5040100
	v_perm_b32 v149, v152, v153, 0x5040100
	v_perm_b32 v148, v154, v167, 0x5040100
	v_perm_b32 v147, v147, v136, 0x5040100
	s_mul_i32 s7, s35, 10
	s_mov_b32 s2, exec_lo
	ds_store_b128 v131, v[132:135]
	ds_store_b128 v131, v[147:150] offset:1024
	v_cmpx_gt_u32_e32 10, v0
	s_cbranch_execz .LBB623_78
; %bb.77:
	s_mul_i32 s3, s7, s30
	s_load_b128 s[8:11], s[0:1], 0x58
	v_add3_u32 v133, s3, s29, v140
	s_delay_alu instid0(VALU_DEP_1) | instskip(NEXT) | instid1(VALU_DEP_1)
	v_mad_u64_u32 v[131:132], null, v133, s34, s[14:15]
	v_ashrrev_i32_e32 v132, 31, v131
	s_delay_alu instid0(VALU_DEP_1) | instskip(SKIP_1) | instid1(VALU_DEP_1)
	v_lshlrev_b64 v[131:132], 2, v[131:132]
	s_waitcnt lgkmcnt(0)
	v_add_co_u32 v133, vcc_lo, s10, v131
	s_delay_alu instid0(VALU_DEP_2)
	v_add_co_ci_u32_e32 v134, vcc_lo, s11, v132, vcc_lo
	v_add_co_u32 v131, vcc_lo, s8, v131
	v_add_co_ci_u32_e32 v132, vcc_lo, s9, v132, vcc_lo
	global_store_b32 v[133:134], v129, off
	global_store_b32 v[131:132], v130, off
.LBB623_78:
	s_or_b32 exec_lo, exec_lo, s2
	s_waitcnt lgkmcnt(0)
	s_waitcnt_vscnt null, 0x0
	s_barrier
	buffer_gl0_inv
	ds_load_b128 v[147:150], v144
	ds_load_b128 v[151:154], v144 offset:16
	ds_load_b128 v[159:162], v144 offset:1040
	;; [unrolled: 1-line block ×3, first 2 shown]
	v_mov_b32_e32 v129, 0
	ds_load_b128 v[167:170], v144 offset:2064
	ds_load_b128 v[163:166], v144 offset:2048
	;; [unrolled: 1-line block ×6, first 2 shown]
	v_mov_b32_e32 v130, v129
	v_mov_b32_e32 v131, v129
	;; [unrolled: 1-line block ×7, first 2 shown]
	s_waitcnt lgkmcnt(8)
	s_delay_alu instid0(VALU_DEP_1)
	v_wmma_f32_16x16x16_bf16 v[129:136], v[121:128], v[147:154], v[129:136]
	ds_load_b128 v[125:128], v144 offset:5136
	ds_load_b128 v[121:124], v144 offset:5120
	s_waitcnt lgkmcnt(8)
	v_wmma_f32_16x16x16_bf16 v[129:136], v[113:120], v[155:162], v[129:136]
	ds_load_b128 v[117:120], v144 offset:6160
	ds_load_b128 v[113:116], v144 offset:6144
	s_waitcnt lgkmcnt(8)
	;; [unrolled: 4-line block ×8, first 2 shown]
	v_wmma_f32_16x16x16_bf16 v[129:136], v[65:72], v[97:104], v[129:136]
	s_waitcnt lgkmcnt(6)
	s_delay_alu instid0(VALU_DEP_1)
	v_wmma_f32_16x16x16_bf16 v[129:136], v[49:56], v[89:96], v[129:136]
	ds_load_b128 v[53:56], v144 offset:13328
	ds_load_b128 v[49:52], v144 offset:13312
	s_waitcnt lgkmcnt(6)
	v_wmma_f32_16x16x16_bf16 v[129:136], v[41:48], v[81:88], v[129:136]
	ds_load_b128 v[45:48], v144 offset:14352
	ds_load_b128 v[41:44], v144 offset:14336
	s_waitcnt lgkmcnt(6)
	;; [unrolled: 4-line block ×3, first 2 shown]
	v_wmma_f32_16x16x16_bf16 v[129:136], v[1:8], v[57:64], v[129:136]
	s_waitcnt lgkmcnt(4)
	s_delay_alu instid0(VALU_DEP_1) | instskip(SKIP_1) | instid1(VALU_DEP_1)
	v_wmma_f32_16x16x16_bf16 v[129:136], v[25:32], v[49:56], v[129:136]
	s_waitcnt lgkmcnt(2)
	v_wmma_f32_16x16x16_bf16 v[129:136], v[33:40], v[41:48], v[129:136]
	s_waitcnt lgkmcnt(0)
	s_delay_alu instid0(VALU_DEP_1) | instskip(NEXT) | instid1(VALU_DEP_1)
	v_wmma_f32_16x16x16_bf16 v[129:136], v[9:16], v[17:24], v[129:136]
	v_and_b32_e32 v1, 0x7f800000, v129
	s_delay_alu instid0(VALU_DEP_1) | instskip(SKIP_1) | instid1(SALU_CYCLE_1)
	v_cmp_ne_u32_e32 vcc_lo, 0x7f800000, v1
                                        ; implicit-def: $vgpr1
	s_and_saveexec_b32 s2, vcc_lo
	s_xor_b32 s2, exec_lo, s2
; %bb.79:
	v_bfe_u32 v1, v129, 16, 1
	s_delay_alu instid0(VALU_DEP_1)
	v_add3_u32 v1, v129, v1, 0x7fff
; %bb.80:
	s_and_not1_saveexec_b32 s2, s2
; %bb.81:
	v_and_b32_e32 v1, 0xffff, v129
	v_or_b32_e32 v2, 0x10000, v129
	s_delay_alu instid0(VALU_DEP_2) | instskip(NEXT) | instid1(VALU_DEP_2)
	v_cmp_eq_u32_e32 vcc_lo, 0, v1
	v_cndmask_b32_e32 v1, v2, v129, vcc_lo
; %bb.82:
	s_or_b32 exec_lo, exec_lo, s2
	v_and_b32_e32 v2, 0x7f800000, v130
	s_delay_alu instid0(VALU_DEP_1) | instskip(SKIP_1) | instid1(SALU_CYCLE_1)
	v_cmp_ne_u32_e32 vcc_lo, 0x7f800000, v2
                                        ; implicit-def: $vgpr2
	s_and_saveexec_b32 s2, vcc_lo
	s_xor_b32 s2, exec_lo, s2
; %bb.83:
	v_bfe_u32 v2, v130, 16, 1
	s_delay_alu instid0(VALU_DEP_1)
	v_add3_u32 v2, v130, v2, 0x7fff
; %bb.84:
	s_and_not1_saveexec_b32 s2, s2
; %bb.85:
	v_and_b32_e32 v2, 0xffff, v130
	v_or_b32_e32 v3, 0x10000, v130
	s_delay_alu instid0(VALU_DEP_2) | instskip(NEXT) | instid1(VALU_DEP_2)
	v_cmp_eq_u32_e32 vcc_lo, 0, v2
	v_cndmask_b32_e32 v2, v3, v130, vcc_lo
; %bb.86:
	s_or_b32 exec_lo, exec_lo, s2
	v_and_b32_e32 v3, 0x7f800000, v131
	s_delay_alu instid0(VALU_DEP_1) | instskip(SKIP_1) | instid1(SALU_CYCLE_1)
	v_cmp_ne_u32_e32 vcc_lo, 0x7f800000, v3
                                        ; implicit-def: $vgpr3
	s_and_saveexec_b32 s2, vcc_lo
	s_xor_b32 s2, exec_lo, s2
; %bb.87:
	v_bfe_u32 v3, v131, 16, 1
	s_delay_alu instid0(VALU_DEP_1)
	v_add3_u32 v3, v131, v3, 0x7fff
; %bb.88:
	s_and_not1_saveexec_b32 s2, s2
; %bb.89:
	v_and_b32_e32 v3, 0xffff, v131
	v_or_b32_e32 v4, 0x10000, v131
	s_delay_alu instid0(VALU_DEP_2) | instskip(NEXT) | instid1(VALU_DEP_2)
	v_cmp_eq_u32_e32 vcc_lo, 0, v3
	v_cndmask_b32_e32 v3, v4, v131, vcc_lo
; %bb.90:
	s_or_b32 exec_lo, exec_lo, s2
	v_and_b32_e32 v4, 0x7f800000, v132
	s_delay_alu instid0(VALU_DEP_1) | instskip(SKIP_1) | instid1(SALU_CYCLE_1)
	v_cmp_ne_u32_e32 vcc_lo, 0x7f800000, v4
                                        ; implicit-def: $vgpr4
	s_and_saveexec_b32 s2, vcc_lo
	s_xor_b32 s2, exec_lo, s2
; %bb.91:
	v_bfe_u32 v4, v132, 16, 1
	s_delay_alu instid0(VALU_DEP_1)
	v_add3_u32 v4, v132, v4, 0x7fff
; %bb.92:
	s_and_not1_saveexec_b32 s2, s2
; %bb.93:
	v_and_b32_e32 v4, 0xffff, v132
	v_or_b32_e32 v5, 0x10000, v132
	s_delay_alu instid0(VALU_DEP_2) | instskip(NEXT) | instid1(VALU_DEP_2)
	v_cmp_eq_u32_e32 vcc_lo, 0, v4
	v_cndmask_b32_e32 v4, v5, v132, vcc_lo
; %bb.94:
	s_or_b32 exec_lo, exec_lo, s2
	v_and_b32_e32 v5, 0x7f800000, v133
	s_delay_alu instid0(VALU_DEP_1) | instskip(SKIP_1) | instid1(SALU_CYCLE_1)
	v_cmp_ne_u32_e32 vcc_lo, 0x7f800000, v5
                                        ; implicit-def: $vgpr5
	s_and_saveexec_b32 s2, vcc_lo
	s_xor_b32 s2, exec_lo, s2
; %bb.95:
	v_bfe_u32 v5, v133, 16, 1
	s_delay_alu instid0(VALU_DEP_1)
	v_add3_u32 v5, v133, v5, 0x7fff
; %bb.96:
	s_and_not1_saveexec_b32 s2, s2
; %bb.97:
	v_and_b32_e32 v5, 0xffff, v133
	v_or_b32_e32 v6, 0x10000, v133
	s_delay_alu instid0(VALU_DEP_2) | instskip(NEXT) | instid1(VALU_DEP_2)
	v_cmp_eq_u32_e32 vcc_lo, 0, v5
	v_cndmask_b32_e32 v5, v6, v133, vcc_lo
; %bb.98:
	s_or_b32 exec_lo, exec_lo, s2
	v_and_b32_e32 v6, 0x7f800000, v134
	s_delay_alu instid0(VALU_DEP_1) | instskip(SKIP_1) | instid1(SALU_CYCLE_1)
	v_cmp_ne_u32_e32 vcc_lo, 0x7f800000, v6
                                        ; implicit-def: $vgpr6
	s_and_saveexec_b32 s2, vcc_lo
	s_xor_b32 s2, exec_lo, s2
; %bb.99:
	v_bfe_u32 v6, v134, 16, 1
	s_delay_alu instid0(VALU_DEP_1)
	v_add3_u32 v6, v134, v6, 0x7fff
; %bb.100:
	s_and_not1_saveexec_b32 s2, s2
; %bb.101:
	v_and_b32_e32 v6, 0xffff, v134
	v_or_b32_e32 v7, 0x10000, v134
	s_delay_alu instid0(VALU_DEP_2) | instskip(NEXT) | instid1(VALU_DEP_2)
	v_cmp_eq_u32_e32 vcc_lo, 0, v6
	v_cndmask_b32_e32 v6, v7, v134, vcc_lo
; %bb.102:
	s_or_b32 exec_lo, exec_lo, s2
	v_and_b32_e32 v7, 0x7f800000, v135
	s_delay_alu instid0(VALU_DEP_1) | instskip(SKIP_1) | instid1(SALU_CYCLE_1)
	v_cmp_ne_u32_e32 vcc_lo, 0x7f800000, v7
                                        ; implicit-def: $vgpr7
	s_and_saveexec_b32 s2, vcc_lo
	s_xor_b32 s2, exec_lo, s2
; %bb.103:
	v_bfe_u32 v7, v135, 16, 1
	s_delay_alu instid0(VALU_DEP_1)
	v_add3_u32 v7, v135, v7, 0x7fff
; %bb.104:
	s_and_not1_saveexec_b32 s2, s2
; %bb.105:
	v_and_b32_e32 v7, 0xffff, v135
	v_or_b32_e32 v8, 0x10000, v135
	s_delay_alu instid0(VALU_DEP_2) | instskip(NEXT) | instid1(VALU_DEP_2)
	v_cmp_eq_u32_e32 vcc_lo, 0, v7
	v_cndmask_b32_e32 v7, v8, v135, vcc_lo
; %bb.106:
	s_or_b32 exec_lo, exec_lo, s2
	v_and_b32_e32 v8, 0x7f800000, v136
	s_delay_alu instid0(VALU_DEP_1) | instskip(SKIP_1) | instid1(SALU_CYCLE_1)
	v_cmp_ne_u32_e32 vcc_lo, 0x7f800000, v8
                                        ; implicit-def: $vgpr8
	s_and_saveexec_b32 s2, vcc_lo
	s_xor_b32 s2, exec_lo, s2
; %bb.107:
	v_bfe_u32 v8, v136, 16, 1
	s_delay_alu instid0(VALU_DEP_1)
	v_add3_u32 v8, v136, v8, 0x7fff
                                        ; implicit-def: $vgpr129_vgpr130_vgpr131_vgpr132_vgpr133_vgpr134_vgpr135_vgpr136
; %bb.108:
	s_and_not1_saveexec_b32 s2, s2
; %bb.109:
	v_and_b32_e32 v8, 0xffff, v136
	v_or_b32_e32 v9, 0x10000, v136
	s_delay_alu instid0(VALU_DEP_2) | instskip(NEXT) | instid1(VALU_DEP_2)
	v_cmp_eq_u32_e32 vcc_lo, 0, v8
	v_cndmask_b32_e32 v8, v9, v136, vcc_lo
; %bb.110:
	s_or_b32 exec_lo, exec_lo, s2
	s_delay_alu instid0(VALU_DEP_1)
	v_perm_b32 v7, v8, v7, 0x7060302
	v_perm_b32 v6, v6, v5, 0x7060302
	;; [unrolled: 1-line block ×4, first 2 shown]
	v_lshl_or_b32 v9, v138, 4, v145
	s_barrier
	buffer_gl0_inv
	v_cmp_eq_u32_e32 vcc_lo, 1, v142
	ds_store_b128 v9, v[4:7]
	s_waitcnt lgkmcnt(0)
	s_barrier
	buffer_gl0_inv
	ds_load_b128 v[1:4], v145
	ds_load_b128 v[5:8], v145 offset:16
	v_cmp_eq_u32_e64 s3, 2, v142
	v_cmp_eq_u32_e64 s2, 1, v143
	;; [unrolled: 1-line block ×5, first 2 shown]
	s_waitcnt lgkmcnt(1)
	v_lshrrev_b32_e32 v10, 16, v1
	s_waitcnt lgkmcnt(0)
	v_lshrrev_b32_e32 v14, 16, v5
	v_lshrrev_b32_e32 v15, 16, v6
	;; [unrolled: 1-line block ×4, first 2 shown]
	v_cndmask_b32_e64 v20, v1, v10, s2
	v_cndmask_b32_e32 v19, v5, v14, vcc_lo
	v_cndmask_b32_e64 v21, v5, v14, s2
	v_lshrrev_b32_e32 v16, 16, v7
	v_cmp_eq_u32_e64 s2, 1, v141
	v_lshrrev_b32_e32 v13, 16, v4
	v_cndmask_b32_e64 v19, v19, v6, s3
	v_lshrrev_b32_e32 v17, 16, v8
	s_delay_alu instid0(VALU_DEP_4) | instskip(SKIP_1) | instid1(VALU_DEP_4)
	v_cndmask_b32_e64 v22, v1, v10, s2
	v_cndmask_b32_e64 v23, v5, v14, s2
	;; [unrolled: 1-line block ×3, first 2 shown]
	v_cndmask_b32_e32 v18, v1, v10, vcc_lo
	v_cmp_eq_u32_e32 vcc_lo, 2, v143
	v_cmp_eq_u32_e64 s2, 2, v146
	v_cndmask_b32_e64 v22, v22, v2, s6
	v_cndmask_b32_e32 v20, v20, v2, vcc_lo
	v_cndmask_b32_e32 v21, v21, v6, vcc_lo
	v_cmp_eq_u32_e32 vcc_lo, 4, v142
	v_cndmask_b32_e32 v19, v19, v7, vcc_lo
	v_cndmask_b32_e64 v18, v18, v2, s3
	v_cmp_eq_u32_e64 s3, 3, v143
	s_delay_alu instid0(VALU_DEP_2) | instskip(NEXT) | instid1(VALU_DEP_2)
	v_cndmask_b32_e64 v18, v18, v11, s4
	v_cndmask_b32_e64 v21, v21, v15, s3
	v_cmp_eq_u32_e64 s4, 5, v142
	s_delay_alu instid0(VALU_DEP_3) | instskip(SKIP_1) | instid1(VALU_DEP_3)
	v_cndmask_b32_e32 v18, v18, v3, vcc_lo
	v_cmp_eq_u32_e32 vcc_lo, 4, v143
	v_cndmask_b32_e64 v19, v19, v16, s4
	s_delay_alu instid0(VALU_DEP_3) | instskip(SKIP_4) | instid1(VALU_DEP_3)
	v_cndmask_b32_e64 v18, v18, v12, s4
	v_cndmask_b32_e32 v21, v21, v7, vcc_lo
	v_cndmask_b32_e64 v20, v20, v11, s3
	v_cmp_eq_u32_e64 s3, 5, v143
	v_cmp_eq_u32_e64 s4, 6, v142
	v_cndmask_b32_e32 v20, v20, v3, vcc_lo
	s_delay_alu instid0(VALU_DEP_3) | instskip(SKIP_1) | instid1(VALU_DEP_4)
	v_cndmask_b32_e64 v21, v21, v16, s3
	v_cmp_eq_u32_e32 vcc_lo, 6, v143
	v_cndmask_b32_e64 v18, v18, v4, s4
	v_cndmask_b32_e64 v19, v19, v8, s4
	;; [unrolled: 1-line block ×3, first 2 shown]
	v_cmp_eq_u32_e64 s3, 1, v146
	v_cmp_eq_u32_e64 s4, 7, v142
	s_delay_alu instid0(VALU_DEP_3) | instskip(NEXT) | instid1(VALU_DEP_3)
	v_cndmask_b32_e32 v20, v20, v4, vcc_lo
	v_cndmask_b32_e64 v1, v1, v10, s3
	v_cndmask_b32_e64 v5, v5, v14, s3
	v_cmp_eq_u32_e64 s3, 3, v141
	v_cndmask_b32_e64 v14, v23, v6, s6
	v_cmp_eq_u32_e64 s6, 3, v146
	v_cndmask_b32_e64 v1, v1, v2, s2
	v_cndmask_b32_e64 v2, v5, v6, s2
	;; [unrolled: 1-line block ×3, first 2 shown]
	v_cmp_eq_u32_e64 s2, 4, v141
	v_cndmask_b32_e64 v6, v14, v15, s3
	v_cndmask_b32_e64 v1, v1, v11, s6
	v_cmp_eq_u32_e64 s3, 4, v146
	v_cndmask_b32_e64 v2, v2, v15, s6
	v_cndmask_b32_e64 v5, v10, v3, s2
	v_cmp_eq_u32_e64 s6, 5, v141
	v_cndmask_b32_e64 v6, v6, v7, s2
	v_cndmask_b32_e64 v1, v1, v3, s3
	v_cndmask_b32_e64 v2, v2, v7, s3
	v_cmp_eq_u32_e64 s2, 5, v146
	v_cndmask_b32_e64 v5, v5, v12, s6
	v_cmp_eq_u32_e64 s3, 6, v141
	;; [unrolled: 2-line block ×3, first 2 shown]
	v_cndmask_b32_e64 v1, v1, v12, s2
	v_cndmask_b32_e64 v2, v2, v16, s2
	;; [unrolled: 1-line block ×4, first 2 shown]
	v_cmp_eq_u32_e64 s2, 7, v146
	v_cndmask_b32_e64 v1, v1, v4, s6
	v_cndmask_b32_e64 v2, v2, v8, s6
	v_cmp_eq_u32_e64 s3, 7, v141
	v_cndmask_b32_e32 v4, v21, v8, vcc_lo
	v_cndmask_b32_e64 v18, v18, v13, s4
	v_cndmask_b32_e64 v20, v20, v13, s5
	v_cndmask_b32_e64 v1, v1, v13, s2
	v_cndmask_b32_e64 v5, v5, v13, s3
	v_cndmask_b32_e64 v2, v2, v17, s2
	v_cndmask_b32_e64 v3, v3, v17, s3
	v_cndmask_b32_e64 v6, v4, v17, s5
	v_cndmask_b32_e64 v7, v19, v17, s4
	s_mov_b32 s2, exec_lo
	v_perm_b32 v4, v2, v1, 0x5040100
	v_perm_b32 v3, v3, v5, 0x5040100
	v_perm_b32 v2, v6, v20, 0x5040100
	v_perm_b32 v1, v7, v18, 0x5040100
	ds_store_b128 v9, v[1:4]
	s_waitcnt lgkmcnt(0)
	s_barrier
	buffer_gl0_inv
	v_cmpx_gt_u32_e32 32, v0
	s_cbranch_execz .LBB623_2
; %bb.111:
	s_load_b64 s[0:1], s[0:1], 0x68
	s_lshl_b32 s4, s34, 7
	v_or_b32_e32 v2, s29, v138
	s_mul_i32 s2, s4, s30
	v_lshlrev_b32_e32 v0, 10, v0
	s_mul_i32 s2, s2, s7
	v_lshlrev_b32_e32 v1, 4, v139
	s_ashr_i32 s3, s2, 31
	v_mul_lo_u32 v20, v2, s4
	s_lshl_b64 s[2:3], s[2:3], 1
	v_lshlrev_b32_e32 v3, 6, v138
	v_and_b32_e32 v0, 0x3800, v0
	s_delay_alu instid0(VALU_DEP_1) | instskip(NEXT) | instid1(VALU_DEP_4)
	v_or3_b32 v16, v0, v1, v3
	v_ashrrev_i32_e32 v21, 31, v20
	ds_load_b128 v[0:3], v16
	ds_load_b128 v[4:7], v16 offset:128
	s_waitcnt lgkmcnt(0)
	s_add_u32 s2, s0, s2
	s_addc_u32 s3, s1, s3
	s_lshl_b32 s0, s14, 7
	ds_load_b128 v[8:11], v16 offset:256
	ds_load_b128 v[12:15], v16 offset:384
	;; [unrolled: 1-line block ×3, first 2 shown]
	s_ashr_i32 s1, s0, 31
	s_delay_alu instid0(SALU_CYCLE_1) | instskip(NEXT) | instid1(SALU_CYCLE_1)
	s_lshl_b64 s[0:1], s[0:1], 1
	s_add_u32 s0, s2, s0
	s_addc_u32 s1, s3, s1
	s_lshl_b32 s2, s34, 8
	v_add_co_u32 v30, s0, s0, v137
	v_add_nc_u32_e32 v22, s2, v20
	v_lshlrev_b64 v[20:21], 1, v[20:21]
	v_add_co_ci_u32_e64 v31, null, s1, 0, s0
	s_delay_alu instid0(VALU_DEP_3) | instskip(SKIP_1) | instid1(VALU_DEP_4)
	v_add_nc_u32_e32 v24, s2, v22
	v_ashrrev_i32_e32 v23, 31, v22
	v_add_co_u32 v20, vcc_lo, v30, v20
	s_delay_alu instid0(VALU_DEP_4) | instskip(NEXT) | instid1(VALU_DEP_4)
	v_add_co_ci_u32_e32 v21, vcc_lo, v31, v21, vcc_lo
	v_add_nc_u32_e32 v26, s2, v24
	v_ashrrev_i32_e32 v25, 31, v24
	v_lshlrev_b64 v[22:23], 1, v[22:23]
	s_delay_alu instid0(VALU_DEP_3) | instskip(SKIP_1) | instid1(VALU_DEP_4)
	v_add_nc_u32_e32 v28, s2, v26
	v_ashrrev_i32_e32 v27, 31, v26
	v_lshlrev_b64 v[24:25], 1, v[24:25]
	s_delay_alu instid0(VALU_DEP_4) | instskip(NEXT) | instid1(VALU_DEP_4)
	v_add_co_u32 v22, vcc_lo, v30, v22
	v_ashrrev_i32_e32 v29, 31, v28
	s_delay_alu instid0(VALU_DEP_4) | instskip(SKIP_2) | instid1(VALU_DEP_4)
	v_lshlrev_b64 v[26:27], 1, v[26:27]
	v_add_co_ci_u32_e32 v23, vcc_lo, v31, v23, vcc_lo
	v_add_co_u32 v24, vcc_lo, v30, v24
	v_lshlrev_b64 v[28:29], 1, v[28:29]
	v_add_co_ci_u32_e32 v25, vcc_lo, v31, v25, vcc_lo
	v_add_co_u32 v26, vcc_lo, v30, v26
	v_add_co_ci_u32_e32 v27, vcc_lo, v31, v27, vcc_lo
	s_delay_alu instid0(VALU_DEP_4)
	v_add_co_u32 v28, vcc_lo, v30, v28
	v_add_co_ci_u32_e32 v29, vcc_lo, v31, v29, vcc_lo
	s_clause 0x1
	global_store_b128 v[20:21], v[0:3], off
	global_store_b128 v[22:23], v[4:7], off
	s_waitcnt lgkmcnt(2)
	global_store_b128 v[24:25], v[8:11], off
	s_waitcnt lgkmcnt(1)
	;; [unrolled: 2-line block ×3, first 2 shown]
	global_store_b128 v[28:29], v[16:19], off
	s_nop 0
	s_sendmsg sendmsg(MSG_DEALLOC_VGPRS)
	s_endpgm
	.section	.rodata,"a",@progbits
	.p2align	6, 0x0
	.amdhsa_kernel _Z39paged_attention_ll4mi_QKV_mfma16_kernelI14__hip_bfloat16S0_LN4vllm18Fp8KVCacheDataTypeE0EhLi16ELi128ELi256ELb0ELi10EL8MFMAType0EEvPKT_PKT0_S9_ifPKiSB_SB_iPKfiiiPfSE_PS4_PT2_iSD_SD_
		.amdhsa_group_segment_fixed_size 17472
		.amdhsa_private_segment_fixed_size 0
		.amdhsa_kernarg_size 400
		.amdhsa_user_sgpr_count 13
		.amdhsa_user_sgpr_dispatch_ptr 0
		.amdhsa_user_sgpr_queue_ptr 0
		.amdhsa_user_sgpr_kernarg_segment_ptr 1
		.amdhsa_user_sgpr_dispatch_id 0
		.amdhsa_user_sgpr_private_segment_size 0
		.amdhsa_wavefront_size32 1
		.amdhsa_uses_dynamic_stack 0
		.amdhsa_enable_private_segment 0
		.amdhsa_system_sgpr_workgroup_id_x 1
		.amdhsa_system_sgpr_workgroup_id_y 1
		.amdhsa_system_sgpr_workgroup_id_z 1
		.amdhsa_system_sgpr_workgroup_info 0
		.amdhsa_system_vgpr_workitem_id 0
		.amdhsa_next_free_vgpr 218
		.amdhsa_next_free_sgpr 50
		.amdhsa_reserve_vcc 1
		.amdhsa_float_round_mode_32 0
		.amdhsa_float_round_mode_16_64 0
		.amdhsa_float_denorm_mode_32 3
		.amdhsa_float_denorm_mode_16_64 3
		.amdhsa_dx10_clamp 1
		.amdhsa_ieee_mode 1
		.amdhsa_fp16_overflow 0
		.amdhsa_workgroup_processor_mode 1
		.amdhsa_memory_ordered 1
		.amdhsa_forward_progress 0
		.amdhsa_shared_vgpr_count 0
		.amdhsa_exception_fp_ieee_invalid_op 0
		.amdhsa_exception_fp_denorm_src 0
		.amdhsa_exception_fp_ieee_div_zero 0
		.amdhsa_exception_fp_ieee_overflow 0
		.amdhsa_exception_fp_ieee_underflow 0
		.amdhsa_exception_fp_ieee_inexact 0
		.amdhsa_exception_int_div_zero 0
	.end_amdhsa_kernel
	.section	.text._Z39paged_attention_ll4mi_QKV_mfma16_kernelI14__hip_bfloat16S0_LN4vllm18Fp8KVCacheDataTypeE0EhLi16ELi128ELi256ELb0ELi10EL8MFMAType0EEvPKT_PKT0_S9_ifPKiSB_SB_iPKfiiiPfSE_PS4_PT2_iSD_SD_,"axG",@progbits,_Z39paged_attention_ll4mi_QKV_mfma16_kernelI14__hip_bfloat16S0_LN4vllm18Fp8KVCacheDataTypeE0EhLi16ELi128ELi256ELb0ELi10EL8MFMAType0EEvPKT_PKT0_S9_ifPKiSB_SB_iPKfiiiPfSE_PS4_PT2_iSD_SD_,comdat
.Lfunc_end623:
	.size	_Z39paged_attention_ll4mi_QKV_mfma16_kernelI14__hip_bfloat16S0_LN4vllm18Fp8KVCacheDataTypeE0EhLi16ELi128ELi256ELb0ELi10EL8MFMAType0EEvPKT_PKT0_S9_ifPKiSB_SB_iPKfiiiPfSE_PS4_PT2_iSD_SD_, .Lfunc_end623-_Z39paged_attention_ll4mi_QKV_mfma16_kernelI14__hip_bfloat16S0_LN4vllm18Fp8KVCacheDataTypeE0EhLi16ELi128ELi256ELb0ELi10EL8MFMAType0EEvPKT_PKT0_S9_ifPKiSB_SB_iPKfiiiPfSE_PS4_PT2_iSD_SD_
                                        ; -- End function
	.section	.AMDGPU.csdata,"",@progbits
; Kernel info:
; codeLenInByte = 10296
; NumSgprs: 52
; NumVgprs: 218
; ScratchSize: 0
; MemoryBound: 0
; FloatMode: 240
; IeeeMode: 1
; LDSByteSize: 17472 bytes/workgroup (compile time only)
; SGPRBlocks: 6
; VGPRBlocks: 27
; NumSGPRsForWavesPerEU: 52
; NumVGPRsForWavesPerEU: 218
; Occupancy: 6
; WaveLimiterHint : 1
; COMPUTE_PGM_RSRC2:SCRATCH_EN: 0
; COMPUTE_PGM_RSRC2:USER_SGPR: 13
; COMPUTE_PGM_RSRC2:TRAP_HANDLER: 0
; COMPUTE_PGM_RSRC2:TGID_X_EN: 1
; COMPUTE_PGM_RSRC2:TGID_Y_EN: 1
; COMPUTE_PGM_RSRC2:TGID_Z_EN: 1
; COMPUTE_PGM_RSRC2:TIDIG_COMP_CNT: 0
	.section	.text._Z39paged_attention_ll4mi_QKV_mfma16_kernelI14__hip_bfloat16S0_LN4vllm18Fp8KVCacheDataTypeE0EhLi16ELi128ELi256ELb0ELi11EL8MFMAType0EEvPKT_PKT0_S9_ifPKiSB_SB_iPKfiiiPfSE_PS4_PT2_iSD_SD_,"axG",@progbits,_Z39paged_attention_ll4mi_QKV_mfma16_kernelI14__hip_bfloat16S0_LN4vllm18Fp8KVCacheDataTypeE0EhLi16ELi128ELi256ELb0ELi11EL8MFMAType0EEvPKT_PKT0_S9_ifPKiSB_SB_iPKfiiiPfSE_PS4_PT2_iSD_SD_,comdat
	.protected	_Z39paged_attention_ll4mi_QKV_mfma16_kernelI14__hip_bfloat16S0_LN4vllm18Fp8KVCacheDataTypeE0EhLi16ELi128ELi256ELb0ELi11EL8MFMAType0EEvPKT_PKT0_S9_ifPKiSB_SB_iPKfiiiPfSE_PS4_PT2_iSD_SD_ ; -- Begin function _Z39paged_attention_ll4mi_QKV_mfma16_kernelI14__hip_bfloat16S0_LN4vllm18Fp8KVCacheDataTypeE0EhLi16ELi128ELi256ELb0ELi11EL8MFMAType0EEvPKT_PKT0_S9_ifPKiSB_SB_iPKfiiiPfSE_PS4_PT2_iSD_SD_
	.globl	_Z39paged_attention_ll4mi_QKV_mfma16_kernelI14__hip_bfloat16S0_LN4vllm18Fp8KVCacheDataTypeE0EhLi16ELi128ELi256ELb0ELi11EL8MFMAType0EEvPKT_PKT0_S9_ifPKiSB_SB_iPKfiiiPfSE_PS4_PT2_iSD_SD_
	.p2align	8
	.type	_Z39paged_attention_ll4mi_QKV_mfma16_kernelI14__hip_bfloat16S0_LN4vllm18Fp8KVCacheDataTypeE0EhLi16ELi128ELi256ELb0ELi11EL8MFMAType0EEvPKT_PKT0_S9_ifPKiSB_SB_iPKfiiiPfSE_PS4_PT2_iSD_SD_,@function
_Z39paged_attention_ll4mi_QKV_mfma16_kernelI14__hip_bfloat16S0_LN4vllm18Fp8KVCacheDataTypeE0EhLi16ELi128ELi256ELb0ELi11EL8MFMAType0EEvPKT_PKT0_S9_ifPKiSB_SB_iPKfiiiPfSE_PS4_PT2_iSD_SD_: ; @_Z39paged_attention_ll4mi_QKV_mfma16_kernelI14__hip_bfloat16S0_LN4vllm18Fp8KVCacheDataTypeE0EhLi16ELi128ELi256ELb0ELi11EL8MFMAType0EEvPKT_PKT0_S9_ifPKiSB_SB_iPKfiiiPfSE_PS4_PT2_iSD_SD_
; %bb.0:
	s_load_b64 s[4:5], s[0:1], 0x30
	s_mov_b32 s30, s13
	s_waitcnt lgkmcnt(0)
	s_cmp_lg_u64 s[4:5], 0
	s_cselect_b32 s8, -1, 0
	s_ashr_i32 s31, s13, 31
	s_cmp_eq_u64 s[4:5], 0
	s_cbranch_scc1 .LBB624_3
; %bb.1:
	s_lshl_b64 s[2:3], s[30:31], 2
	s_delay_alu instid0(SALU_CYCLE_1) | instskip(SKIP_4) | instid1(SALU_CYCLE_1)
	s_add_u32 s2, s4, s2
	s_addc_u32 s3, s5, s3
	s_load_b64 s[2:3], s[2:3], 0x0
	s_waitcnt lgkmcnt(0)
	s_sub_i32 s2, s3, s2
	s_cmp_eq_u32 s2, 1
	s_cselect_b32 s2, -1, 0
	s_delay_alu instid0(SALU_CYCLE_1)
	s_and_not1_b32 vcc_lo, exec_lo, s2
	s_cbranch_vccz .LBB624_4
.LBB624_2:
	s_nop 0
	s_sendmsg sendmsg(MSG_DEALLOC_VGPRS)
	s_endpgm
.LBB624_3:
.LBB624_4:
	s_load_b64 s[2:3], s[0:1], 0x28
	s_lshl_b64 s[6:7], s[30:31], 2
	s_waitcnt lgkmcnt(0)
	s_add_u32 s2, s2, s6
	s_addc_u32 s3, s3, s7
	s_lshl_b32 s29, s14, 8
	s_load_b32 s28, s[2:3], 0x0
	s_waitcnt lgkmcnt(0)
	s_cmp_ge_i32 s29, s28
	s_cbranch_scc1 .LBB624_2
; %bb.5:
	s_clause 0x1
	s_load_b128 s[20:23], s[0:1], 0x8
	s_load_b64 s[2:3], s[0:1], 0x20
	s_and_not1_b32 vcc_lo, exec_lo, s8
	s_cbranch_vccnz .LBB624_7
; %bb.6:
	s_add_u32 s4, s4, s6
	s_addc_u32 s5, s5, s7
	s_load_b32 s5, s[4:5], 0x0
	s_branch .LBB624_8
.LBB624_7:
	s_mov_b32 s5, s30
.LBB624_8:
	s_load_b128 s[16:19], s[0:1], 0x48
	v_and_b32_e32 v140, 15, v0
	v_lshrrev_b32_e32 v141, 5, v0
	v_bfe_u32 v138, v0, 4, 1
	v_and_b32_e32 v142, 31, v0
	v_and_b32_e32 v139, 1, v0
	v_lshlrev_b32_e32 v2, 3, v140
	s_mul_i32 s31, s15, 11
	v_lshl_or_b32 v1, v141, 1, v138
	s_mov_b32 s4, exec_lo
	s_delay_alu instid0(VALU_DEP_2) | instskip(NEXT) | instid1(VALU_DEP_2)
	v_lshlrev_b32_e32 v137, 1, v2
	v_cmpx_gt_u32_e32 11, v1
	s_cbranch_execz .LBB624_10
; %bb.9:
	s_load_b64 s[6:7], s[0:1], 0x0
	v_add_lshl_u32 v2, v1, s31, 7
	s_waitcnt lgkmcnt(0)
	s_mul_hi_i32 s9, s5, s16
	s_mul_i32 s8, s5, s16
	v_lshlrev_b32_e32 v6, 10, v140
	s_lshl_b64 s[8:9], s[8:9], 1
	v_ashrrev_i32_e32 v3, 31, v2
	v_lshlrev_b32_e32 v1, 6, v1
	v_lshlrev_b32_e32 v7, 10, v139
	v_and_b32_e32 v6, 0x3800, v6
	s_delay_alu instid0(VALU_DEP_4) | instskip(NEXT) | instid1(VALU_DEP_2)
	v_lshlrev_b64 v[2:3], 1, v[2:3]
	v_or3_b32 v1, v6, v7, v1
	s_add_u32 s5, s6, s8
	s_addc_u32 s6, s7, s9
	s_delay_alu instid0(VALU_DEP_2) | instskip(NEXT) | instid1(VALU_DEP_3)
	v_add_co_u32 v2, vcc_lo, s5, v2
	v_add_co_ci_u32_e32 v3, vcc_lo, s6, v3, vcc_lo
	s_delay_alu instid0(VALU_DEP_2) | instskip(NEXT) | instid1(VALU_DEP_2)
	v_add_co_u32 v2, vcc_lo, v2, v137
	v_add_co_ci_u32_e32 v3, vcc_lo, 0, v3, vcc_lo
	global_load_b128 v[2:5], v[2:3], off
	s_waitcnt vmcnt(0)
	ds_store_b128 v1, v[2:5]
.LBB624_10:
	s_or_b32 exec_lo, exec_lo, s4
	v_and_b32_e32 v1, 0xef, v0
	s_waitcnt lgkmcnt(0)
	s_add_i32 s5, s28, 15
	s_clause 0x1
	s_load_b32 s4, s[0:1], 0x38
	s_load_b32 s33, s[0:1], 0x1c
	s_ashr_i32 s6, s5, 31
	v_add_nc_u32_e32 v1, s29, v1
	s_lshr_b32 s6, s6, 28
	s_waitcnt lgkmcnt(0)
	s_add_i32 s5, s5, s6
	s_barrier
	v_ashrrev_i32_e32 v2, 31, v1
	v_cmp_gt_i32_e32 vcc_lo, s28, v1
	s_ashr_i32 s16, s5, 4
	buffer_gl0_inv
	s_add_i32 s16, s16, -1
	v_lshrrev_b32_e32 v3, 28, v2
	v_or_b32_e32 v2, 16, v1
	v_add_nc_u32_e32 v105, -11, v140
	v_lshlrev_b32_e32 v106, 5, v140
	s_delay_alu instid0(VALU_DEP_4) | instskip(NEXT) | instid1(VALU_DEP_4)
	v_add_nc_u32_e32 v4, v1, v3
	v_add_nc_u32_e32 v3, v2, v3
	s_mul_i32 s4, s30, s4
	s_delay_alu instid0(VALU_DEP_3) | instskip(SKIP_4) | instid1(SALU_CYCLE_1)
	v_lshl_or_b32 v125, v141, 9, v106
	s_ashr_i32 s5, s4, 31
	v_ashrrev_i32_e32 v4, 4, v4
	v_ashrrev_i32_e32 v3, 4, v3
	s_lshl_b64 s[4:5], s[4:5], 2
	s_add_u32 s34, s2, s4
	s_delay_alu instid0(VALU_DEP_2) | instskip(SKIP_3) | instid1(VALU_DEP_2)
	v_cndmask_b32_e32 v1, s16, v4, vcc_lo
	v_cmp_gt_i32_e32 vcc_lo, s28, v2
	s_addc_u32 s35, s3, s5
	s_mul_i32 s2, s15, s18
	v_ashrrev_i32_e32 v2, 31, v1
	v_cndmask_b32_e32 v3, s16, v3, vcc_lo
	s_ashr_i32 s3, s2, 31
	s_delay_alu instid0(SALU_CYCLE_1) | instskip(NEXT) | instid1(VALU_DEP_2)
	s_lshl_b64 s[2:3], s[2:3], 1
	v_lshlrev_b64 v[1:2], 2, v[1:2]
	s_delay_alu instid0(VALU_DEP_2) | instskip(SKIP_3) | instid1(VALU_DEP_1)
	v_ashrrev_i32_e32 v4, 31, v3
	s_add_u32 s24, s20, s2
	s_addc_u32 s25, s21, s3
	s_lshl_b32 s4, s14, 4
	v_lshlrev_b64 v[3:4], 2, v[3:4]
	v_add_co_u32 v1, vcc_lo, s34, v1
	v_add_co_ci_u32_e32 v2, vcc_lo, s35, v2, vcc_lo
	s_ashr_i32 s5, s4, 31
	s_delay_alu instid0(VALU_DEP_3) | instskip(NEXT) | instid1(VALU_DEP_4)
	v_add_co_u32 v3, vcc_lo, s34, v3
	v_add_co_ci_u32_e32 v4, vcc_lo, s35, v4, vcc_lo
	s_lshl_b64 s[4:5], s[4:5], 2
	s_clause 0x1
	global_load_b32 v5, v[1:2], off
	global_load_b32 v6, v[3:4], off
	s_add_u32 s4, s34, s4
	s_addc_u32 s5, s35, s5
	s_or_b32 s6, s29, 16
	v_lshlrev_b32_e32 v3, 4, v0
	s_ashr_i32 s7, s6, 4
	s_cmp_lt_i32 s6, s28
	s_cselect_b32 s6, s7, s16
	s_delay_alu instid0(SALU_CYCLE_1) | instskip(NEXT) | instid1(SALU_CYCLE_1)
	s_ashr_i32 s7, s6, 31
	s_lshl_b64 s[6:7], s[6:7], 2
	s_delay_alu instid0(SALU_CYCLE_1) | instskip(SKIP_2) | instid1(SALU_CYCLE_1)
	s_add_u32 s6, s34, s6
	s_addc_u32 s7, s35, s7
	s_or_b32 s8, s29, 32
	s_ashr_i32 s9, s8, 4
	s_cmp_lt_i32 s8, s28
	s_cselect_b32 s8, s9, s16
	s_delay_alu instid0(SALU_CYCLE_1) | instskip(NEXT) | instid1(SALU_CYCLE_1)
	s_ashr_i32 s9, s8, 31
	s_lshl_b64 s[8:9], s[8:9], 2
	s_delay_alu instid0(SALU_CYCLE_1) | instskip(SKIP_2) | instid1(SALU_CYCLE_1)
	s_add_u32 s8, s34, s8
	s_addc_u32 s9, s35, s9
	s_or_b32 s10, s29, 48
	;; [unrolled: 10-line block ×4, first 2 shown]
	s_ashr_i32 s13, s12, 4
	s_cmp_lt_i32 s12, s28
	s_cselect_b32 s12, s13, s16
	s_delay_alu instid0(SALU_CYCLE_1) | instskip(NEXT) | instid1(SALU_CYCLE_1)
	s_ashr_i32 s13, s12, 31
	s_lshl_b64 s[12:13], s[12:13], 2
	s_delay_alu instid0(SALU_CYCLE_1)
	s_add_u32 s20, s34, s12
	s_addc_u32 s21, s35, s13
	s_clause 0x5
	s_load_b32 s36, s[4:5], 0x0
	s_load_b32 s27, s[6:7], 0x0
	;; [unrolled: 1-line block ×6, first 2 shown]
	s_waitcnt vmcnt(1)
	v_mad_i64_i32 v[1:2], null, v5, s17, 0
	v_and_b32_e32 v5, 0xf0, v3
	s_waitcnt vmcnt(0)
	v_mad_i64_i32 v[3:4], null, v6, s17, 0
	s_delay_alu instid0(VALU_DEP_2) | instskip(NEXT) | instid1(VALU_DEP_4)
	v_add_co_u32 v5, s4, s24, v5
	v_lshlrev_b64 v[1:2], 1, v[1:2]
	v_add_co_ci_u32_e64 v6, null, s25, 0, s4
	s_delay_alu instid0(VALU_DEP_4) | instskip(SKIP_1) | instid1(VALU_DEP_3)
	v_lshlrev_b64 v[3:4], 1, v[3:4]
	s_or_b32 s4, s29, 0x60
	v_add_co_u32 v121, vcc_lo, v5, v1
	s_delay_alu instid0(VALU_DEP_3) | instskip(NEXT) | instid1(VALU_DEP_3)
	v_add_co_ci_u32_e32 v122, vcc_lo, v6, v2, vcc_lo
	v_add_co_u32 v123, vcc_lo, v5, v3
	s_delay_alu instid0(VALU_DEP_4)
	v_add_co_ci_u32_e32 v124, vcc_lo, v6, v4, vcc_lo
	s_clause 0x19
	global_load_b128 v[89:92], v[121:122], off
	global_load_b128 v[93:96], v[121:122], off offset:256
	global_load_b128 v[97:100], v[123:124], off
	global_load_b128 v[101:104], v[123:124], off offset:256
	global_load_b128 v[81:84], v[121:122], off offset:512
	;; [unrolled: 1-line block ×23, first 2 shown]
	s_ashr_i32 s5, s4, 4
	s_cmp_lt_i32 s4, s28
	v_cmp_gt_u32_e32 vcc_lo, 11, v140
	s_cselect_b32 s4, s5, s16
	s_delay_alu instid0(SALU_CYCLE_1) | instskip(NEXT) | instid1(SALU_CYCLE_1)
	s_ashr_i32 s5, s4, 31
	s_lshl_b64 s[4:5], s[4:5], 2
	v_cndmask_b32_e32 v105, v105, v140, vcc_lo
	s_add_u32 s18, s34, s4
	s_addc_u32 s19, s35, s5
	s_or_b32 s4, s29, 0x70
	s_delay_alu instid0(SALU_CYCLE_1)
	s_ashr_i32 s5, s4, 4
	s_cmp_lt_i32 s4, s28
	v_lshlrev_b32_e32 v215, 6, v105
	s_cselect_b32 s6, s5, s16
	ds_load_b128 v[105:108], v215
	ds_load_b128 v[109:112], v215 offset:1024
	s_ashr_i32 s7, s6, 31
	ds_load_b128 v[113:116], v215 offset:2048
	ds_load_b128 v[117:120], v215 offset:3072
	;; [unrolled: 1-line block ×8, first 2 shown]
	s_clause 0x1
	global_load_b128 v[167:170], v[123:124], off offset:3072
	global_load_b128 v[171:174], v[123:124], off offset:3328
	s_lshl_b64 s[6:7], s[6:7], 2
	s_mov_b32 s4, 0
	s_add_u32 s20, s34, s6
	s_addc_u32 s21, s35, s7
	s_clause 0x1
	s_load_b32 s42, s[18:19], 0x0
	s_load_b32 s43, s[20:21], 0x0
	s_clause 0x3
	global_load_b128 v[175:178], v[121:122], off offset:3584
	global_load_b128 v[179:182], v[121:122], off offset:3840
	;; [unrolled: 1-line block ×4, first 2 shown]
	s_or_b32 s7, s29, 0x80
	s_mov_b32 s5, s4
	s_ashr_i32 s8, s7, 4
	s_cmp_lt_i32 s7, s28
	s_mov_b32 s6, s4
	s_cselect_b32 s10, s8, s16
	s_mov_b32 s7, s4
	s_ashr_i32 s11, s10, 31
	s_mov_b32 s8, s4
	s_lshl_b64 s[24:25], s[10:11], 2
	s_mov_b32 s9, s4
	s_add_u32 s24, s34, s24
	s_addc_u32 s25, s35, s25
	s_or_b32 s11, s29, 0x90
	s_mov_b32 s10, s4
	s_ashr_i32 s37, s11, 4
	s_cmp_lt_i32 s11, s28
	s_mov_b32 s11, s4
	s_cselect_b32 s38, s37, s16
	v_mov_b32_e32 v136, s11
	s_ashr_i32 s39, s38, 31
	v_dual_mov_b32 v135, s10 :: v_dual_mov_b32 v134, s9
	v_dual_mov_b32 v133, s8 :: v_dual_mov_b32 v132, s7
	;; [unrolled: 1-line block ×3, first 2 shown]
	v_mov_b32_e32 v129, s4
	s_lshl_b64 s[4:5], s[38:39], 2
	s_waitcnt lgkmcnt(0)
	s_mul_hi_i32 s7, s27, s17
	s_add_u32 s38, s34, s4
	s_addc_u32 s39, s35, s5
	s_or_b32 s4, s29, 0xa0
	s_load_b32 s39, s[38:39], 0x0
	s_ashr_i32 s5, s4, 4
	s_cmp_lt_i32 s4, s28
	s_cselect_b32 s4, s5, s16
	s_delay_alu instid0(SALU_CYCLE_1) | instskip(NEXT) | instid1(SALU_CYCLE_1)
	s_ashr_i32 s5, s4, 31
	s_lshl_b64 s[4:5], s[4:5], 2
	s_delay_alu instid0(SALU_CYCLE_1)
	s_add_u32 s40, s34, s4
	s_addc_u32 s41, s35, s5
	s_or_b32 s4, s29, 0xb0
	s_mul_hi_i32 s5, s36, s17
	s_ashr_i32 s6, s4, 4
	s_cmp_lt_i32 s4, s28
	s_mul_i32 s4, s36, s17
	s_cselect_b32 s8, s6, s16
	s_mul_i32 s6, s27, s17
	s_ashr_i32 s9, s8, 31
	s_load_b32 s38, s[40:41], 0x0
	s_lshl_b64 s[10:11], s[8:9], 2
	s_mul_hi_i32 s9, s26, s17
	s_add_u32 s36, s34, s10
	s_addc_u32 s37, s35, s11
	s_or_b32 s10, s29, 0xc0
	s_mul_i32 s8, s26, s17
	s_ashr_i32 s26, s10, 4
	s_cmp_lt_i32 s10, s28
	s_mul_hi_i32 s11, s13, s17
	s_cselect_b32 s26, s26, s16
	s_mul_i32 s10, s13, s17
	s_ashr_i32 s27, s26, 31
	s_mul_hi_i32 s13, s12, s17
	s_lshl_b64 s[26:27], s[26:27], 2
	s_mul_i32 s12, s12, s17
	s_add_u32 s20, s34, s26
	s_addc_u32 s21, s35, s27
	s_or_b32 s18, s29, 0xd0
	s_load_b32 s26, s[24:25], 0x0
	s_ashr_i32 s19, s18, 4
	s_cmp_lt_i32 s18, s28
	s_mul_i32 s18, s15, s17
	s_cselect_b32 s24, s19, s16
	s_mul_hi_i32 s19, s15, s17
	s_ashr_i32 s25, s24, 31
	s_waitcnt lgkmcnt(0)
	s_mul_hi_i32 s41, s39, s17
	s_lshl_b64 s[24:25], s[24:25], 2
	s_delay_alu instid0(SALU_CYCLE_1)
	s_add_u32 s24, s34, s24
	s_addc_u32 s25, s35, s25
	s_or_b32 s40, s29, 0xe0
	s_clause 0x2
	s_load_b32 s37, s[36:37], 0x0
	s_load_b32 s36, s[20:21], 0x0
	;; [unrolled: 1-line block ×3, first 2 shown]
	s_ashr_i32 s44, s40, 4
	s_cmp_lt_i32 s40, s28
	s_mul_hi_i32 s21, s42, s17
	s_mul_i32 s20, s42, s17
	s_cselect_b32 s42, s44, s16
	s_mul_hi_i32 s25, s43, s17
	s_mul_i32 s24, s43, s17
	s_ashr_i32 s43, s42, 31
	s_mul_hi_i32 s27, s26, s17
	s_lshl_b64 s[42:43], s[42:43], 2
	s_mul_i32 s26, s26, s17
	s_add_u32 s42, s34, s42
	s_addc_u32 s43, s35, s43
	s_or_b32 s44, s29, 0xf0
	s_mul_i32 s40, s39, s17
	s_ashr_i32 s46, s44, 4
	s_cmp_lt_i32 s44, s28
	s_mul_hi_i32 s39, s38, s17
	s_cselect_b32 s46, s46, s16
	s_waitcnt lgkmcnt(0)
	s_mul_hi_i32 s49, s15, s17
	s_ashr_i32 s47, s46, 31
	s_mul_i32 s48, s15, s17
	s_lshl_b64 s[46:47], s[46:47], 2
	s_mul_i32 s38, s38, s17
	s_add_u32 s34, s34, s46
	s_addc_u32 s35, s35, s47
	s_add_u32 s15, s22, s2
	s_addc_u32 s16, s23, s3
	v_add_co_u32 v216, s15, s15, v125
	s_delay_alu instid0(VALU_DEP_1) | instskip(SKIP_2) | instid1(VALU_DEP_2)
	v_add_co_ci_u32_e64 v217, null, s16, 0, s15
	s_lshl_b64 s[2:3], s[4:5], 1
	s_lshl_b64 s[4:5], s[6:7], 1
	v_add_co_u32 v125, vcc_lo, v216, s2
	s_delay_alu instid0(VALU_DEP_2)
	v_add_co_ci_u32_e32 v126, vcc_lo, s3, v217, vcc_lo
	v_add_co_u32 v199, vcc_lo, v216, s4
	s_lshl_b64 s[6:7], s[8:9], 1
	v_add_co_ci_u32_e32 v200, vcc_lo, s5, v217, vcc_lo
	s_lshl_b64 s[8:9], s[10:11], 1
	s_lshl_b64 s[10:11], s[12:13], 1
	;; [unrolled: 1-line block ×8, first 2 shown]
	s_mul_hi_i32 s45, s37, s17
	s_mul_i32 s44, s37, s17
	s_mul_hi_i32 s37, s36, s17
	s_lshl_b64 s[38:39], s[44:45], 1
	s_mul_i32 s36, s36, s17
	s_clause 0x1
	s_load_b32 s15, s[42:43], 0x0
	s_load_b32 s16, s[34:35], 0x0
	s_lshl_b64 s[36:37], s[36:37], 1
	s_lshl_b64 s[40:41], s[48:49], 1
	s_waitcnt lgkmcnt(0)
	s_mul_hi_i32 s3, s15, s17
	s_mul_i32 s2, s15, s17
	s_mul_hi_i32 s5, s16, s17
	s_lshl_b64 s[2:3], s[2:3], 1
	s_mul_i32 s4, s16, s17
	s_waitcnt vmcnt(30)
	v_wmma_f32_16x16x16_bf16 v[191:198], v[89:96], v[105:112], v[129:136]
	v_add_co_u32 v89, vcc_lo, v216, s6
	v_add_co_ci_u32_e32 v90, vcc_lo, s7, v217, vcc_lo
	v_add_co_u32 v91, vcc_lo, v216, s8
	v_add_co_ci_u32_e32 v92, vcc_lo, s9, v217, vcc_lo
	;; [unrolled: 2-line block ×5, first 2 shown]
	v_add_co_u32 v205, vcc_lo, v216, s20
	s_waitcnt vmcnt(28)
	v_wmma_f32_16x16x16_bf16 v[129:136], v[97:104], v[105:112], v[129:136]
	v_add_co_ci_u32_e32 v206, vcc_lo, s21, v217, vcc_lo
	v_add_co_u32 v207, vcc_lo, v216, s22
	v_add_co_ci_u32_e32 v208, vcc_lo, s23, v217, vcc_lo
	v_add_co_u32 v209, vcc_lo, v216, s24
	s_waitcnt vmcnt(26)
	v_wmma_f32_16x16x16_bf16 v[191:198], v[81:88], v[113:120], v[191:198]
	s_waitcnt vmcnt(24)
	v_wmma_f32_16x16x16_bf16 v[129:136], v[73:80], v[113:120], v[129:136]
	v_add_co_ci_u32_e32 v210, vcc_lo, s25, v217, vcc_lo
	v_add_co_u32 v211, vcc_lo, v216, s26
	v_add_co_ci_u32_e32 v212, vcc_lo, s27, v217, vcc_lo
	v_add_co_u32 v213, vcc_lo, v216, s38
	s_waitcnt vmcnt(22)
	v_wmma_f32_16x16x16_bf16 v[191:198], v[65:72], v[143:150], v[191:198]
	s_waitcnt vmcnt(20)
	v_wmma_f32_16x16x16_bf16 v[129:136], v[57:64], v[143:150], v[129:136]
	v_add_co_ci_u32_e32 v214, vcc_lo, s39, v217, vcc_lo
	v_add_co_u32 v143, vcc_lo, v216, s36
	s_waitcnt vmcnt(18)
	v_wmma_f32_16x16x16_bf16 v[191:198], v[49:56], v[151:158], v[191:198]
	s_waitcnt vmcnt(16)
	v_wmma_f32_16x16x16_bf16 v[129:136], v[41:48], v[151:158], v[129:136]
	v_add_co_ci_u32_e32 v144, vcc_lo, s37, v217, vcc_lo
	s_clause 0x15
	global_load_b128 v[121:124], v[125:126], off
	global_load_b128 v[125:128], v[125:126], off offset:16
	global_load_b128 v[113:116], v[199:200], off
	global_load_b128 v[117:120], v[199:200], off offset:16
	;; [unrolled: 2-line block ×11, first 2 shown]
	s_waitcnt vmcnt(36)
	v_wmma_f32_16x16x16_bf16 v[191:198], v[17:24], v[159:166], v[191:198]
	s_clause 0x1
	global_load_b128 v[17:20], v[213:214], off
	global_load_b128 v[21:24], v[213:214], off offset:16
	s_waitcnt vmcnt(36)
	v_wmma_f32_16x16x16_bf16 v[129:136], v[1:8], v[159:166], v[129:136]
	s_clause 0x1
	global_load_b128 v[1:4], v[143:144], off
	global_load_b128 v[5:8], v[143:144], off offset:16
	ds_load_b128 v[143:146], v215 offset:10240
	ds_load_b128 v[147:150], v215 offset:11264
	;; [unrolled: 1-line block ×4, first 2 shown]
	v_add_co_u32 v199, vcc_lo, v216, s40
	v_add_co_ci_u32_e32 v200, vcc_lo, s41, v217, vcc_lo
	v_add_co_u32 v159, vcc_lo, v216, s2
	v_add_co_ci_u32_e32 v160, vcc_lo, s3, v217, vcc_lo
	s_lshl_b64 s[2:3], s[4:5], 1
	s_delay_alu instid0(SALU_CYCLE_1)
	v_add_co_u32 v161, vcc_lo, v216, s2
	v_add_co_ci_u32_e32 v162, vcc_lo, s3, v217, vcc_lo
	s_waitcnt vmcnt(36) lgkmcnt(2)
	v_wmma_f32_16x16x16_bf16 v[191:198], v[25:32], v[143:150], v[191:198]
	s_waitcnt vmcnt(34)
	v_wmma_f32_16x16x16_bf16 v[129:136], v[33:40], v[143:150], v[129:136]
	s_clause 0x3
	global_load_b128 v[25:28], v[199:200], off
	global_load_b128 v[29:32], v[199:200], off offset:16
	global_load_b128 v[33:36], v[159:160], off
	global_load_b128 v[37:40], v[159:160], off offset:16
	v_and_b32_e32 v143, 0xe0, v0
	v_mbcnt_lo_u32_b32 v159, -1, 0
	s_waitcnt vmcnt(36) lgkmcnt(0)
	v_wmma_f32_16x16x16_bf16 v[191:198], v[9:16], v[151:158], v[191:198]
	s_clause 0x1
	global_load_b128 v[9:12], v[161:162], off
	global_load_b128 v[13:16], v[161:162], off offset:16
	s_waitcnt vmcnt(36)
	v_wmma_f32_16x16x16_bf16 v[129:136], v[167:174], v[151:158], v[129:136]
	v_add_nc_u32_e32 v160, s29, v143
	ds_load_b128 v[143:146], v215 offset:14336
	ds_load_b128 v[147:150], v215 offset:15360
	v_xor_b32_e32 v151, 16, v159
	s_waitcnt vmcnt(0) lgkmcnt(0)
	s_barrier
	v_or_b32_e32 v152, v160, v138
	buffer_gl0_inv
	v_cmp_gt_i32_e32 vcc_lo, 32, v151
	v_or_b32_e32 v153, 2, v152
	v_or_b32_e32 v154, 4, v152
	v_or_b32_e32 v155, 6, v152
	v_or_b32_e32 v156, 8, v152
	v_or_b32_e32 v157, 10, v152
	v_cmp_gt_i32_e64 s2, s28, v153
	v_cmp_gt_i32_e64 s3, s28, v154
	;; [unrolled: 1-line block ×3, first 2 shown]
	v_or_b32_e32 v158, 12, v152
	v_cmp_gt_i32_e64 s5, s28, v156
	v_cmp_gt_i32_e64 s6, s28, v157
	v_wmma_f32_16x16x16_bf16 v[191:198], v[175:182], v[143:150], v[191:198]
	v_wmma_f32_16x16x16_bf16 v[129:136], v[183:190], v[143:150], v[129:136]
	v_cndmask_b32_e32 v151, v159, v151, vcc_lo
	v_cmp_gt_i32_e32 vcc_lo, s28, v152
	v_or_b32_e32 v159, 14, v152
	v_dual_mul_f32 v149, s33, v192 :: v_dual_mul_f32 v150, s33, v191
	v_dual_mul_f32 v147, s33, v194 :: v_dual_mul_f32 v148, s33, v193
	v_mul_f32_e32 v145, s33, v196
	s_delay_alu instid0(VALU_DEP_3) | instskip(NEXT) | instid1(VALU_DEP_4)
	v_cndmask_b32_e64 v149, 0xff7fffff, v149, s2
	v_cndmask_b32_e32 v150, 0xff7fffff, v150, vcc_lo
	v_mul_f32_e32 v146, s33, v195
	v_cndmask_b32_e64 v148, 0xff7fffff, v148, s3
	v_cndmask_b32_e64 v147, 0xff7fffff, v147, s4
	v_or_b32_e32 v160, 16, v152
	v_max3_f32 v149, v150, 0xff7fffff, v149
	v_or_b32_e32 v161, 18, v152
	v_dual_mul_f32 v143, s33, v198 :: v_dual_mul_f32 v144, s33, v197
	v_cndmask_b32_e64 v146, 0xff7fffff, v146, s5
	v_cndmask_b32_e64 v145, 0xff7fffff, v145, s6
	v_max3_f32 v147, v149, v148, v147
	v_cmp_gt_i32_e64 s7, s28, v158
	v_cmp_gt_i32_e64 s8, s28, v159
	v_or_b32_e32 v162, 20, v152
	v_or_b32_e32 v163, 22, v152
	v_dual_mul_f32 v174, s33, v130 :: v_dual_mul_f32 v175, s33, v129
	v_cndmask_b32_e64 v144, 0xff7fffff, v144, s7
	v_cndmask_b32_e64 v143, 0xff7fffff, v143, s8
	v_max3_f32 v145, v147, v146, v145
	v_cmp_gt_i32_e64 s9, s28, v160
	v_cmp_gt_i32_e64 s10, s28, v161
	v_or_b32_e32 v164, 24, v152
	;; [unrolled: 8-line block ×3, first 2 shown]
	v_or_b32_e32 v167, 30, v152
	v_dual_mul_f32 v170, s33, v134 :: v_dual_mul_f32 v171, s33, v133
	v_cndmask_b32_e64 v144, 0xff7fffff, v173, s11
	v_cndmask_b32_e64 v145, 0xff7fffff, v172, s12
	v_max3_f32 v143, v143, v146, v147
	v_cmp_gt_i32_e64 s13, s28, v164
	v_cmp_gt_i32_e64 s15, s28, v165
	v_dual_mul_f32 v168, s33, v136 :: v_dual_mul_f32 v169, s33, v135
	s_delay_alu instid0(VALU_DEP_4) | instskip(NEXT) | instid1(VALU_DEP_4)
	v_max3_f32 v143, v143, v144, v145
	v_cndmask_b32_e64 v146, 0xff7fffff, v171, s13
	s_delay_alu instid0(VALU_DEP_4) | instskip(SKIP_3) | instid1(VALU_DEP_4)
	v_cndmask_b32_e64 v147, 0xff7fffff, v170, s15
	v_cmp_gt_i32_e64 s16, s28, v166
	v_cmp_gt_i32_e64 s17, s28, v167
	v_lshlrev_b32_e32 v154, 2, v151
	v_max3_f32 v143, v143, v146, v147
	s_delay_alu instid0(VALU_DEP_4) | instskip(NEXT) | instid1(VALU_DEP_4)
	v_cndmask_b32_e64 v144, 0xff7fffff, v169, s16
	v_cndmask_b32_e64 v145, 0xff7fffff, v168, s17
	s_delay_alu instid0(VALU_DEP_1) | instskip(SKIP_3) | instid1(VALU_DEP_1)
	v_max3_f32 v143, v143, v144, v145
	ds_bpermute_b32 v144, v154, v143
	s_waitcnt lgkmcnt(0)
	v_max_f32_e32 v144, v144, v144
	v_max_f32_e32 v153, v143, v144
	s_delay_alu instid0(VALU_DEP_1) | instskip(SKIP_4) | instid1(VALU_DEP_4)
	v_fma_f32 v143, s33, v191, -v153
	v_fma_f32 v144, s33, v192, -v153
	;; [unrolled: 1-line block ×5, first 2 shown]
	v_dual_mul_f32 v143, 0x3fb8aa3b, v143 :: v_dual_mul_f32 v144, 0x3fb8aa3b, v144
	s_delay_alu instid0(VALU_DEP_4) | instskip(SKIP_2) | instid1(VALU_DEP_4)
	v_mul_f32_e32 v132, 0x3fb8aa3b, v132
	v_fma_f32 v134, s33, v134, -v153
	v_mul_f32_e32 v145, 0x3fb8aa3b, v145
	v_exp_f32_e32 v143, v143
	v_exp_f32_e32 v147, v144
	v_fma_f32 v148, s33, v195, -v153
	v_mul_f32_e32 v134, 0x3fb8aa3b, v134
	v_mul_f32_e32 v146, 0x3fb8aa3b, v146
	v_exp_f32_e32 v145, v145
	v_fma_f32 v151, s33, v197, -v153
	v_mul_f32_e32 v148, 0x3fb8aa3b, v148
	v_fma_f32 v129, s33, v129, -v153
	v_exp_f32_e32 v149, v146
	v_cndmask_b32_e32 v144, 0, v143, vcc_lo
	v_fma_f32 v143, s33, v196, -v153
	v_cndmask_b32_e64 v146, 0, v147, s2
	v_exp_f32_e32 v148, v148
	s_delay_alu instid0(VALU_DEP_3) | instskip(NEXT) | instid1(VALU_DEP_3)
	v_dual_mul_f32 v151, 0x3fb8aa3b, v151 :: v_dual_add_f32 v150, 0, v144
	v_mul_f32_e32 v143, 0x3fb8aa3b, v143
	v_cndmask_b32_e64 v147, 0, v145, s3
	v_fma_f32 v130, s33, v130, -v153
	s_delay_alu instid0(TRANS32_DEP_2)
	v_cndmask_b32_e64 v149, 0, v149, s4
	v_add_f32_e32 v145, v150, v146
	v_fma_f32 v150, s33, v198, -v153
	v_exp_f32_e32 v143, v143
	v_exp_f32_e32 v155, v151
	v_mul_f32_e32 v129, 0x3fb8aa3b, v129
	s_delay_alu instid0(VALU_DEP_2) | instskip(SKIP_2) | instid1(VALU_DEP_3)
	v_dual_add_f32 v145, v145, v147 :: v_dual_mul_f32 v152, 0x3fb8aa3b, v150
	v_cndmask_b32_e64 v150, 0, v148, s5
	v_fma_f32 v131, s33, v131, -v153
	v_dual_mul_f32 v130, 0x3fb8aa3b, v130 :: v_dual_add_f32 v145, v145, v149
	s_delay_alu instid0(VALU_DEP_4) | instskip(NEXT) | instid1(TRANS32_DEP_3)
	v_exp_f32_e32 v152, v152
	v_cndmask_b32_e64 v151, 0, v143, s6
	v_exp_f32_e32 v129, v129
	s_delay_alu instid0(TRANS32_DEP_3)
	v_cndmask_b32_e64 v148, 0, v155, s7
	v_add_f32_e32 v143, v145, v150
	v_mul_f32_e32 v131, 0x3fb8aa3b, v131
	v_exp_f32_e32 v130, v130
	v_fma_f32 v133, s33, v133, -v153
	v_fma_f32 v136, s33, v136, -v153
	v_add_f32_e32 v143, v143, v151
	v_cndmask_b32_e64 v152, 0, v152, s8
	v_exp_f32_e32 v145, v131
	v_cndmask_b32_e64 v131, 0, v129, s9
	v_mul_f32_e32 v133, 0x3fb8aa3b, v133
	v_add_f32_e32 v143, v143, v148
	v_cmp_gt_u32_e64 s2, 16, v142
	s_delay_alu instid0(VALU_DEP_2)
	v_add_f32_e32 v129, v143, v152
	v_exp_f32_e32 v143, v132
	v_cndmask_b32_e64 v132, 0, v130, s10
	v_fma_f32 v130, s33, v135, -v153
	v_exp_f32_e32 v135, v133
	v_add_f32_e32 v129, v129, v131
	v_cndmask_b32_e64 v133, 0, v145, s11
	v_exp_f32_e32 v145, v134
	s_delay_alu instid0(VALU_DEP_2) | instskip(NEXT) | instid1(TRANS32_DEP_3)
	v_dual_mul_f32 v130, 0x3fb8aa3b, v130 :: v_dual_add_f32 v129, v129, v132
	v_cndmask_b32_e64 v134, 0, v143, s12
	v_mul_f32_e32 v143, 0x3fb8aa3b, v136
	s_delay_alu instid0(VALU_DEP_3) | instskip(NEXT) | instid1(TRANS32_DEP_3)
	v_exp_f32_e32 v130, v130
	v_cndmask_b32_e64 v135, 0, v135, s13
	v_add_f32_e32 v129, v129, v133
	s_delay_alu instid0(TRANS32_DEP_2) | instskip(SKIP_1) | instid1(VALU_DEP_2)
	v_cndmask_b32_e64 v136, 0, v145, s15
	v_exp_f32_e32 v145, v143
	v_add_f32_e32 v129, v129, v134
	s_waitcnt_depctr 0xfff
	v_cndmask_b32_e64 v143, 0, v130, s16
	v_add_f32_e32 v129, v129, v135
	v_cndmask_b32_e64 v145, 0, v145, s17
	s_delay_alu instid0(VALU_DEP_2) | instskip(NEXT) | instid1(VALU_DEP_1)
	v_add_f32_e32 v129, v129, v136
	v_add_f32_e32 v129, v129, v143
	s_delay_alu instid0(VALU_DEP_1)
	v_add_f32_e32 v129, v129, v145
	ds_bpermute_b32 v130, v154, v129
	s_and_saveexec_b32 s3, s2
	s_cbranch_execz .LBB624_12
; %bb.11:
	v_mul_u32_u24_e32 v142, 0x44, v141
	s_waitcnt lgkmcnt(0)
	v_add_f32_e32 v129, v129, v130
	s_delay_alu instid0(VALU_DEP_2) | instskip(NEXT) | instid1(VALU_DEP_1)
	v_lshl_add_u32 v142, v140, 2, v142
	v_add_nc_u32_e32 v130, 0x4000, v142
	ds_store_2addr_b32 v130, v153, v129 offset1:136
.LBB624_12:
	s_or_b32 exec_lo, exec_lo, s3
	v_lshlrev_b32_e32 v129, 2, v140
	s_waitcnt lgkmcnt(0)
	s_barrier
	buffer_gl0_inv
	v_cmp_eq_u32_e64 s3, 1, v141
	v_add_nc_u32_e32 v142, 0x4000, v129
	ds_load_2addr_b32 v[153:154], v142 offset1:17
	ds_load_2addr_b32 v[155:156], v142 offset0:34 offset1:51
	ds_load_2addr_b32 v[157:158], v142 offset0:68 offset1:85
	;; [unrolled: 1-line block ×4, first 2 shown]
	s_waitcnt lgkmcnt(4)
	v_max3_f32 v129, v153, 0xff7fffff, v154
	s_waitcnt lgkmcnt(3)
	s_delay_alu instid0(VALU_DEP_1) | instskip(SKIP_1) | instid1(VALU_DEP_1)
	v_max3_f32 v129, v129, v155, v156
	s_waitcnt lgkmcnt(2)
	v_max3_f32 v129, v129, v157, v158
	s_waitcnt lgkmcnt(1)
	s_delay_alu instid0(VALU_DEP_1) | instskip(NEXT) | instid1(VALU_DEP_1)
	v_max3_f32 v129, v129, v159, v160
	v_sub_f32_e32 v163, v154, v129
	v_sub_f32_e32 v130, v153, v129
	ds_load_2addr_b32 v[153:154], v142 offset0:170 offset1:187
	v_sub_f32_e32 v155, v155, v129
	v_dual_mul_f32 v163, 0x3fb8aa3b, v163 :: v_dual_mul_f32 v130, 0x3fb8aa3b, v130
	s_delay_alu instid0(VALU_DEP_2) | instskip(NEXT) | instid1(VALU_DEP_2)
	v_mul_f32_e32 v165, 0x3fb8aa3b, v155
	v_exp_f32_e32 v163, v163
	s_delay_alu instid0(VALU_DEP_2)
	v_exp_f32_e32 v164, v130
	v_sub_f32_e32 v130, v156, v129
	ds_load_2addr_b32 v[155:156], v142 offset0:204 offset1:221
	v_exp_f32_e32 v165, v165
	v_mul_f32_e32 v166, 0x3fb8aa3b, v130
	s_waitcnt lgkmcnt(2)
	v_fma_f32 v130, v164, v161, 0
	v_sub_f32_e32 v157, v157, v129
	s_delay_alu instid0(VALU_DEP_3) | instskip(NEXT) | instid1(VALU_DEP_2)
	v_exp_f32_e32 v166, v166
	v_dual_sub_f32 v161, v158, v129 :: v_dual_fmac_f32 v130, v163, v162
	s_waitcnt lgkmcnt(1)
	s_waitcnt_depctr 0xfff
	v_fmac_f32_e32 v130, v165, v153
	v_mul_f32_e32 v167, 0x3fb8aa3b, v157
	ds_load_2addr_b32 v[157:158], v142 offset0:238 offset1:255
	v_sub_f32_e32 v142, v159, v129
	v_dual_sub_f32 v153, v160, v129 :: v_dual_fmac_f32 v130, v166, v154
	v_mul_f32_e32 v159, 0x3fb8aa3b, v161
	v_exp_f32_e32 v161, v167
	s_delay_alu instid0(VALU_DEP_2)
	v_dual_mul_f32 v142, 0x3fb8aa3b, v142 :: v_dual_mul_f32 v153, 0x3fb8aa3b, v153
	s_waitcnt lgkmcnt(0)
	s_barrier
	buffer_gl0_inv
	v_exp_f32_e32 v142, v142
	v_exp_f32_e32 v153, v153
	v_fmac_f32_e32 v130, v161, v155
	v_exp_f32_e32 v159, v159
	s_waitcnt_depctr 0xfff
	v_fmac_f32_e32 v130, v159, v156
	s_delay_alu instid0(VALU_DEP_1) | instskip(NEXT) | instid1(VALU_DEP_1)
	v_fmac_f32_e32 v130, v142, v157
	v_fmac_f32_e32 v130, v153, v158
	s_delay_alu instid0(VALU_DEP_1) | instskip(NEXT) | instid1(VALU_DEP_1)
	v_add_f32_e32 v154, 0x358637bd, v130
	v_div_scale_f32 v155, null, v154, v154, 1.0
	v_div_scale_f32 v158, vcc_lo, 1.0, v154, 1.0
	s_delay_alu instid0(VALU_DEP_2) | instskip(SKIP_2) | instid1(VALU_DEP_1)
	v_rcp_f32_e32 v156, v155
	s_waitcnt_depctr 0xfff
	v_fma_f32 v157, -v155, v156, 1.0
	v_fmac_f32_e32 v156, v157, v156
	v_cndmask_b32_e64 v157, v164, v163, s3
	v_cmp_eq_u32_e64 s3, 2, v141
	s_delay_alu instid0(VALU_DEP_3) | instskip(NEXT) | instid1(VALU_DEP_2)
	v_mul_f32_e32 v160, v158, v156
	v_cndmask_b32_e64 v157, v157, v165, s3
	v_cmp_eq_u32_e64 s3, 3, v141
	s_delay_alu instid0(VALU_DEP_3) | instskip(NEXT) | instid1(VALU_DEP_2)
	v_fma_f32 v162, -v155, v160, v158
	v_cndmask_b32_e64 v157, v157, v166, s3
	v_cmp_eq_u32_e64 s3, 4, v141
	s_delay_alu instid0(VALU_DEP_3) | instskip(NEXT) | instid1(VALU_DEP_2)
	v_fmac_f32_e32 v160, v162, v156
	v_cndmask_b32_e64 v157, v157, v161, s3
	s_delay_alu instid0(VALU_DEP_2) | instskip(SKIP_1) | instid1(VALU_DEP_2)
	v_fma_f32 v155, -v155, v160, v158
	v_cmp_eq_u32_e64 s3, 5, v141
	v_div_fmas_f32 v155, v155, v156, v160
	s_delay_alu instid0(VALU_DEP_2) | instskip(SKIP_2) | instid1(VALU_DEP_3)
	v_cndmask_b32_e64 v157, v157, v159, s3
	v_cmp_eq_u32_e32 vcc_lo, 6, v141
	s_mov_b32 s3, exec_lo
	v_div_fixup_f32 v154, v155, v154, 1.0
	s_delay_alu instid0(VALU_DEP_3) | instskip(SKIP_1) | instid1(VALU_DEP_2)
	v_cndmask_b32_e32 v142, v157, v142, vcc_lo
	v_cmp_eq_u32_e32 vcc_lo, 7, v141
	v_cndmask_b32_e32 v142, v142, v153, vcc_lo
	s_delay_alu instid0(VALU_DEP_1) | instskip(NEXT) | instid1(VALU_DEP_1)
	v_mul_f32_e32 v142, v142, v154
	v_mul_f32_e32 v153, v142, v149
	;; [unrolled: 1-line block ×7, first 2 shown]
	v_dual_mul_f32 v150, v142, v147 :: v_dual_and_b32 v155, 0x7f800000, v154
	v_mul_f32_e32 v149, v142, v146
                                        ; implicit-def: $vgpr146
	s_delay_alu instid0(VALU_DEP_2)
	v_cmpx_ne_u32_e32 0x7f800000, v155
	s_xor_b32 s3, exec_lo, s3
; %bb.13:
	v_bfe_u32 v146, v154, 16, 1
	s_delay_alu instid0(VALU_DEP_1)
	v_add3_u32 v146, v154, v146, 0x7fff
                                        ; implicit-def: $vgpr154
; %bb.14:
	s_and_not1_saveexec_b32 s3, s3
; %bb.15:
	v_and_b32_e32 v146, 0xffff, v154
	v_or_b32_e32 v147, 0x10000, v154
	s_delay_alu instid0(VALU_DEP_2) | instskip(NEXT) | instid1(VALU_DEP_2)
	v_cmp_eq_u32_e32 vcc_lo, 0, v146
	v_cndmask_b32_e32 v146, v147, v154, vcc_lo
; %bb.16:
	s_or_b32 exec_lo, exec_lo, s3
	v_and_b32_e32 v147, 0x7f800000, v149
	s_delay_alu instid0(VALU_DEP_1) | instskip(SKIP_1) | instid1(SALU_CYCLE_1)
	v_cmp_ne_u32_e32 vcc_lo, 0x7f800000, v147
                                        ; implicit-def: $vgpr147
	s_and_saveexec_b32 s3, vcc_lo
	s_xor_b32 s3, exec_lo, s3
; %bb.17:
	v_bfe_u32 v147, v149, 16, 1
	s_delay_alu instid0(VALU_DEP_1)
	v_add3_u32 v147, v149, v147, 0x7fff
                                        ; implicit-def: $vgpr149
; %bb.18:
	s_and_not1_saveexec_b32 s3, s3
; %bb.19:
	v_and_b32_e32 v147, 0xffff, v149
	v_or_b32_e32 v154, 0x10000, v149
	s_delay_alu instid0(VALU_DEP_2) | instskip(NEXT) | instid1(VALU_DEP_2)
	v_cmp_eq_u32_e32 vcc_lo, 0, v147
	v_cndmask_b32_e32 v147, v154, v149, vcc_lo
; %bb.20:
	s_or_b32 exec_lo, exec_lo, s3
	v_and_b32_e32 v149, 0x7f800000, v150
	s_delay_alu instid0(VALU_DEP_1) | instskip(SKIP_1) | instid1(SALU_CYCLE_1)
	v_cmp_ne_u32_e32 vcc_lo, 0x7f800000, v149
                                        ; implicit-def: $vgpr149
	s_and_saveexec_b32 s3, vcc_lo
	s_xor_b32 s3, exec_lo, s3
; %bb.21:
	v_bfe_u32 v149, v150, 16, 1
	s_delay_alu instid0(VALU_DEP_1)
	v_add3_u32 v149, v150, v149, 0x7fff
                                        ; implicit-def: $vgpr150
; %bb.22:
	s_and_not1_saveexec_b32 s3, s3
; %bb.23:
	v_and_b32_e32 v149, 0xffff, v150
	v_or_b32_e32 v154, 0x10000, v150
	s_delay_alu instid0(VALU_DEP_2) | instskip(NEXT) | instid1(VALU_DEP_2)
	v_cmp_eq_u32_e32 vcc_lo, 0, v149
	v_cndmask_b32_e32 v149, v154, v150, vcc_lo
; %bb.24:
	s_or_b32 exec_lo, exec_lo, s3
	v_and_b32_e32 v150, 0x7f800000, v153
	s_delay_alu instid0(VALU_DEP_1) | instskip(SKIP_1) | instid1(SALU_CYCLE_1)
	v_cmp_ne_u32_e32 vcc_lo, 0x7f800000, v150
                                        ; implicit-def: $vgpr150
	s_and_saveexec_b32 s3, vcc_lo
	s_xor_b32 s3, exec_lo, s3
; %bb.25:
	v_bfe_u32 v150, v153, 16, 1
	s_delay_alu instid0(VALU_DEP_1)
	v_add3_u32 v150, v153, v150, 0x7fff
                                        ; implicit-def: $vgpr153
; %bb.26:
	s_and_not1_saveexec_b32 s3, s3
; %bb.27:
	v_and_b32_e32 v150, 0xffff, v153
	v_or_b32_e32 v154, 0x10000, v153
	s_delay_alu instid0(VALU_DEP_2) | instskip(NEXT) | instid1(VALU_DEP_2)
	v_cmp_eq_u32_e32 vcc_lo, 0, v150
	v_cndmask_b32_e32 v150, v154, v153, vcc_lo
; %bb.28:
	s_or_b32 exec_lo, exec_lo, s3
	v_and_b32_e32 v153, 0x7f800000, v152
	s_delay_alu instid0(VALU_DEP_1) | instskip(SKIP_1) | instid1(SALU_CYCLE_1)
	v_cmp_ne_u32_e32 vcc_lo, 0x7f800000, v153
                                        ; implicit-def: $vgpr153
	s_and_saveexec_b32 s3, vcc_lo
	s_xor_b32 s3, exec_lo, s3
; %bb.29:
	v_bfe_u32 v153, v152, 16, 1
	s_delay_alu instid0(VALU_DEP_1)
	v_add3_u32 v153, v152, v153, 0x7fff
                                        ; implicit-def: $vgpr152
; %bb.30:
	s_and_not1_saveexec_b32 s3, s3
; %bb.31:
	v_and_b32_e32 v153, 0xffff, v152
	v_or_b32_e32 v154, 0x10000, v152
	s_delay_alu instid0(VALU_DEP_2) | instskip(NEXT) | instid1(VALU_DEP_2)
	v_cmp_eq_u32_e32 vcc_lo, 0, v153
	v_cndmask_b32_e32 v153, v154, v152, vcc_lo
; %bb.32:
	s_or_b32 exec_lo, exec_lo, s3
	v_and_b32_e32 v152, 0x7f800000, v151
	s_delay_alu instid0(VALU_DEP_1) | instskip(SKIP_1) | instid1(SALU_CYCLE_1)
	v_cmp_ne_u32_e32 vcc_lo, 0x7f800000, v152
                                        ; implicit-def: $vgpr152
	s_and_saveexec_b32 s3, vcc_lo
	s_xor_b32 s3, exec_lo, s3
; %bb.33:
	v_bfe_u32 v152, v151, 16, 1
	s_delay_alu instid0(VALU_DEP_1)
	v_add3_u32 v152, v151, v152, 0x7fff
                                        ; implicit-def: $vgpr151
; %bb.34:
	s_and_not1_saveexec_b32 s3, s3
; %bb.35:
	v_and_b32_e32 v152, 0xffff, v151
	v_or_b32_e32 v154, 0x10000, v151
	s_delay_alu instid0(VALU_DEP_2) | instskip(NEXT) | instid1(VALU_DEP_2)
	v_cmp_eq_u32_e32 vcc_lo, 0, v152
	v_cndmask_b32_e32 v152, v154, v151, vcc_lo
; %bb.36:
	s_or_b32 exec_lo, exec_lo, s3
	v_and_b32_e32 v151, 0x7f800000, v148
	s_delay_alu instid0(VALU_DEP_1) | instskip(SKIP_1) | instid1(SALU_CYCLE_1)
	v_cmp_ne_u32_e32 vcc_lo, 0x7f800000, v151
                                        ; implicit-def: $vgpr151
	s_and_saveexec_b32 s3, vcc_lo
	s_xor_b32 s3, exec_lo, s3
; %bb.37:
	v_bfe_u32 v151, v148, 16, 1
	s_delay_alu instid0(VALU_DEP_1)
	v_add3_u32 v151, v148, v151, 0x7fff
                                        ; implicit-def: $vgpr148
; %bb.38:
	s_and_not1_saveexec_b32 s3, s3
; %bb.39:
	v_and_b32_e32 v151, 0xffff, v148
	v_or_b32_e32 v154, 0x10000, v148
	s_delay_alu instid0(VALU_DEP_2) | instskip(NEXT) | instid1(VALU_DEP_2)
	v_cmp_eq_u32_e32 vcc_lo, 0, v151
	v_cndmask_b32_e32 v151, v154, v148, vcc_lo
; %bb.40:
	s_or_b32 exec_lo, exec_lo, s3
	v_and_b32_e32 v148, 0x7f800000, v144
	s_delay_alu instid0(VALU_DEP_1) | instskip(SKIP_1) | instid1(SALU_CYCLE_1)
	v_cmp_ne_u32_e32 vcc_lo, 0x7f800000, v148
                                        ; implicit-def: $vgpr148
	s_and_saveexec_b32 s3, vcc_lo
	s_xor_b32 s3, exec_lo, s3
; %bb.41:
	v_bfe_u32 v148, v144, 16, 1
	s_delay_alu instid0(VALU_DEP_1)
	v_add3_u32 v148, v144, v148, 0x7fff
                                        ; implicit-def: $vgpr144
; %bb.42:
	s_and_not1_saveexec_b32 s3, s3
; %bb.43:
	v_and_b32_e32 v148, 0xffff, v144
	v_or_b32_e32 v154, 0x10000, v144
	s_delay_alu instid0(VALU_DEP_2) | instskip(NEXT) | instid1(VALU_DEP_2)
	v_cmp_eq_u32_e32 vcc_lo, 0, v148
	v_cndmask_b32_e32 v148, v154, v144, vcc_lo
; %bb.44:
	s_or_b32 exec_lo, exec_lo, s3
	s_load_b64 s[34:35], s[0:1], 0x94
	v_lshlrev_b32_e32 v155, 4, v138
	s_delay_alu instid0(VALU_DEP_2)
	v_perm_b32 v154, v148, v151, 0x7060302
	v_mul_f32_e32 v148, v142, v131
	v_dual_mul_f32 v145, v142, v145 :: v_dual_lshlrev_b32 v144, 6, v140
	v_dual_mul_f32 v143, v142, v143 :: v_dual_lshlrev_b32 v156, 11, v141
	v_perm_b32 v153, v152, v153, 0x7060302
	v_perm_b32 v152, v150, v149, 0x7060302
	;; [unrolled: 1-line block ×3, first 2 shown]
	s_delay_alu instid0(VALU_DEP_4)
	v_or3_b32 v131, v155, v156, v144
	v_mul_f32_e32 v136, v142, v136
	v_dual_mul_f32 v146, v142, v134 :: v_dual_and_b32 v149, 0x7f800000, v148
	v_mul_f32_e32 v135, v142, v135
	v_mul_f32_e32 v147, v142, v133
	;; [unrolled: 1-line block ×3, first 2 shown]
	s_mov_b32 s3, exec_lo
	ds_store_b128 v131, v[151:154]
                                        ; implicit-def: $vgpr132
	v_cmpx_ne_u32_e32 0x7f800000, v149
	s_xor_b32 s3, exec_lo, s3
; %bb.45:
	v_bfe_u32 v132, v148, 16, 1
	s_delay_alu instid0(VALU_DEP_1)
	v_add3_u32 v132, v148, v132, 0x7fff
                                        ; implicit-def: $vgpr148
; %bb.46:
	s_and_not1_saveexec_b32 s3, s3
; %bb.47:
	v_and_b32_e32 v132, 0xffff, v148
	v_or_b32_e32 v133, 0x10000, v148
	s_delay_alu instid0(VALU_DEP_2) | instskip(NEXT) | instid1(VALU_DEP_2)
	v_cmp_eq_u32_e32 vcc_lo, 0, v132
	v_cndmask_b32_e32 v132, v133, v148, vcc_lo
; %bb.48:
	s_or_b32 exec_lo, exec_lo, s3
	v_and_b32_e32 v133, 0x7f800000, v134
	s_delay_alu instid0(VALU_DEP_1) | instskip(SKIP_1) | instid1(SALU_CYCLE_1)
	v_cmp_ne_u32_e32 vcc_lo, 0x7f800000, v133
                                        ; implicit-def: $vgpr133
	s_and_saveexec_b32 s3, vcc_lo
	s_xor_b32 s3, exec_lo, s3
; %bb.49:
	v_bfe_u32 v133, v134, 16, 1
	s_delay_alu instid0(VALU_DEP_1)
	v_add3_u32 v133, v134, v133, 0x7fff
                                        ; implicit-def: $vgpr134
; %bb.50:
	s_and_not1_saveexec_b32 s3, s3
; %bb.51:
	v_and_b32_e32 v133, 0xffff, v134
	v_or_b32_e32 v142, 0x10000, v134
	s_delay_alu instid0(VALU_DEP_2) | instskip(NEXT) | instid1(VALU_DEP_2)
	v_cmp_eq_u32_e32 vcc_lo, 0, v133
	v_cndmask_b32_e32 v133, v142, v134, vcc_lo
; %bb.52:
	s_or_b32 exec_lo, exec_lo, s3
	v_and_b32_e32 v134, 0x7f800000, v147
	s_delay_alu instid0(VALU_DEP_1) | instskip(SKIP_1) | instid1(SALU_CYCLE_1)
	v_cmp_ne_u32_e32 vcc_lo, 0x7f800000, v134
                                        ; implicit-def: $vgpr134
	s_and_saveexec_b32 s3, vcc_lo
	s_xor_b32 s3, exec_lo, s3
; %bb.53:
	v_bfe_u32 v134, v147, 16, 1
	s_delay_alu instid0(VALU_DEP_1)
	v_add3_u32 v134, v147, v134, 0x7fff
                                        ; implicit-def: $vgpr147
; %bb.54:
	s_and_not1_saveexec_b32 s3, s3
; %bb.55:
	v_and_b32_e32 v134, 0xffff, v147
	v_or_b32_e32 v142, 0x10000, v147
	s_delay_alu instid0(VALU_DEP_2) | instskip(NEXT) | instid1(VALU_DEP_2)
	v_cmp_eq_u32_e32 vcc_lo, 0, v134
	v_cndmask_b32_e32 v134, v142, v147, vcc_lo
; %bb.56:
	s_or_b32 exec_lo, exec_lo, s3
	v_and_b32_e32 v142, 0x7f800000, v146
	s_delay_alu instid0(VALU_DEP_1) | instskip(SKIP_1) | instid1(SALU_CYCLE_1)
	v_cmp_ne_u32_e32 vcc_lo, 0x7f800000, v142
                                        ; implicit-def: $vgpr142
	s_and_saveexec_b32 s3, vcc_lo
	s_xor_b32 s3, exec_lo, s3
; %bb.57:
	v_bfe_u32 v142, v146, 16, 1
	s_delay_alu instid0(VALU_DEP_1)
	v_add3_u32 v142, v146, v142, 0x7fff
                                        ; implicit-def: $vgpr146
; %bb.58:
	s_and_not1_saveexec_b32 s3, s3
; %bb.59:
	v_and_b32_e32 v142, 0xffff, v146
	v_or_b32_e32 v147, 0x10000, v146
	s_delay_alu instid0(VALU_DEP_2) | instskip(NEXT) | instid1(VALU_DEP_2)
	v_cmp_eq_u32_e32 vcc_lo, 0, v142
	v_cndmask_b32_e32 v142, v147, v146, vcc_lo
; %bb.60:
	s_or_b32 exec_lo, exec_lo, s3
	v_and_b32_e32 v146, 0x7f800000, v135
	s_delay_alu instid0(VALU_DEP_1) | instskip(SKIP_1) | instid1(SALU_CYCLE_1)
	v_cmp_ne_u32_e32 vcc_lo, 0x7f800000, v146
                                        ; implicit-def: $vgpr146
	s_and_saveexec_b32 s3, vcc_lo
	s_xor_b32 s3, exec_lo, s3
; %bb.61:
	v_bfe_u32 v146, v135, 16, 1
	s_delay_alu instid0(VALU_DEP_1)
	v_add3_u32 v146, v135, v146, 0x7fff
                                        ; implicit-def: $vgpr135
; %bb.62:
	s_and_not1_saveexec_b32 s3, s3
; %bb.63:
	v_and_b32_e32 v146, 0xffff, v135
	v_or_b32_e32 v147, 0x10000, v135
	s_delay_alu instid0(VALU_DEP_2) | instskip(NEXT) | instid1(VALU_DEP_2)
	v_cmp_eq_u32_e32 vcc_lo, 0, v146
	v_cndmask_b32_e32 v146, v147, v135, vcc_lo
; %bb.64:
	s_or_b32 exec_lo, exec_lo, s3
	v_and_b32_e32 v135, 0x7f800000, v136
	s_delay_alu instid0(VALU_DEP_1) | instskip(SKIP_1) | instid1(SALU_CYCLE_1)
	v_cmp_ne_u32_e32 vcc_lo, 0x7f800000, v135
                                        ; implicit-def: $vgpr135
	s_and_saveexec_b32 s3, vcc_lo
	s_xor_b32 s3, exec_lo, s3
; %bb.65:
	v_bfe_u32 v135, v136, 16, 1
	s_delay_alu instid0(VALU_DEP_1)
	v_add3_u32 v135, v136, v135, 0x7fff
                                        ; implicit-def: $vgpr136
; %bb.66:
	s_and_not1_saveexec_b32 s3, s3
; %bb.67:
	v_and_b32_e32 v135, 0xffff, v136
	v_or_b32_e32 v147, 0x10000, v136
	s_delay_alu instid0(VALU_DEP_2) | instskip(NEXT) | instid1(VALU_DEP_2)
	v_cmp_eq_u32_e32 vcc_lo, 0, v135
	v_cndmask_b32_e32 v135, v147, v136, vcc_lo
; %bb.68:
	s_or_b32 exec_lo, exec_lo, s3
	v_and_b32_e32 v136, 0x7f800000, v143
	s_delay_alu instid0(VALU_DEP_1) | instskip(SKIP_1) | instid1(SALU_CYCLE_1)
	v_cmp_ne_u32_e32 vcc_lo, 0x7f800000, v136
                                        ; implicit-def: $vgpr136
	s_and_saveexec_b32 s3, vcc_lo
	s_xor_b32 s3, exec_lo, s3
; %bb.69:
	v_bfe_u32 v136, v143, 16, 1
	s_delay_alu instid0(VALU_DEP_1)
	v_add3_u32 v136, v143, v136, 0x7fff
                                        ; implicit-def: $vgpr143
; %bb.70:
	s_and_not1_saveexec_b32 s3, s3
; %bb.71:
	v_and_b32_e32 v136, 0xffff, v143
	v_or_b32_e32 v147, 0x10000, v143
	s_delay_alu instid0(VALU_DEP_2) | instskip(NEXT) | instid1(VALU_DEP_2)
	v_cmp_eq_u32_e32 vcc_lo, 0, v136
	v_cndmask_b32_e32 v136, v147, v143, vcc_lo
; %bb.72:
	s_or_b32 exec_lo, exec_lo, s3
	v_and_b32_e32 v143, 0x7f800000, v145
	s_delay_alu instid0(VALU_DEP_1) | instskip(SKIP_1) | instid1(SALU_CYCLE_1)
	v_cmp_ne_u32_e32 vcc_lo, 0x7f800000, v143
                                        ; implicit-def: $vgpr143
	s_and_saveexec_b32 s3, vcc_lo
	s_xor_b32 s3, exec_lo, s3
; %bb.73:
	v_bfe_u32 v143, v145, 16, 1
	s_delay_alu instid0(VALU_DEP_1)
	v_add3_u32 v143, v145, v143, 0x7fff
                                        ; implicit-def: $vgpr145
; %bb.74:
	s_and_not1_saveexec_b32 s3, s3
; %bb.75:
	v_and_b32_e32 v143, 0xffff, v145
	v_or_b32_e32 v147, 0x10000, v145
	s_delay_alu instid0(VALU_DEP_2) | instskip(NEXT) | instid1(VALU_DEP_2)
	v_cmp_eq_u32_e32 vcc_lo, 0, v143
	v_cndmask_b32_e32 v143, v147, v145, vcc_lo
; %bb.76:
	s_or_b32 exec_lo, exec_lo, s3
	s_delay_alu instid0(VALU_DEP_1)
	v_perm_b32 v136, v143, v136, 0x7060302
	v_perm_b32 v135, v135, v146, 0x7060302
	;; [unrolled: 1-line block ×4, first 2 shown]
	v_lshl_or_b32 v145, v141, 11, v144
	v_lshlrev_b32_e32 v142, 2, v138
	ds_store_b128 v131, v[133:136] offset:1024
	s_waitcnt lgkmcnt(0)
	s_barrier
	buffer_gl0_inv
	ds_load_b128 v[132:135], v145
	ds_load_b128 v[147:150], v145 offset:16
	v_or_b32_e32 v143, 1, v142
	v_cmp_eq_u32_e64 s12, 1, v142
	v_cmp_eq_u32_e64 s11, 2, v142
	;; [unrolled: 1-line block ×3, first 2 shown]
	v_or_b32_e32 v141, 2, v142
	v_cmp_eq_u32_e64 s7, 1, v143
	v_cmp_eq_u32_e64 s6, 2, v143
	;; [unrolled: 1-line block ×8, first 2 shown]
	v_cmp_eq_u32_e32 vcc_lo, 5, v143
	v_cmp_eq_u32_e64 s10, 2, v141
	v_cmp_eq_u32_e64 s4, 6, v143
	;; [unrolled: 1-line block ×4, first 2 shown]
	s_waitcnt lgkmcnt(1)
	v_lshrrev_b32_e32 v136, 16, v132
	s_waitcnt lgkmcnt(0)
	v_lshrrev_b32_e32 v155, 16, v147
	v_lshrrev_b32_e32 v161, 16, v148
	v_lshrrev_b32_e32 v159, 16, v133
	v_lshrrev_b32_e32 v163, 16, v149
	v_cndmask_b32_e64 v146, v132, v136, s12
	v_cndmask_b32_e64 v151, v147, v155, s12
	;; [unrolled: 1-line block ×4, first 2 shown]
	v_lshrrev_b32_e32 v160, 16, v134
	v_cndmask_b32_e64 v146, v146, v133, s11
	v_cndmask_b32_e64 v151, v151, v148, s11
	v_cndmask_b32_e64 v152, v152, v133, s6
	v_cndmask_b32_e64 v153, v153, v148, s6
	v_cndmask_b32_e64 v154, v132, v136, s8
	v_cndmask_b32_e64 v146, v146, v159, s16
	v_cndmask_b32_e64 v151, v151, v161, s16
	v_cndmask_b32_e64 v152, v152, v159, s5
	v_lshrrev_b32_e32 v164, 16, v150
	v_cndmask_b32_e64 v153, v153, v161, s5
	v_cndmask_b32_e64 v146, v146, v134, s17
	v_cndmask_b32_e64 v151, v151, v149, s17
	v_cndmask_b32_e64 v152, v152, v134, s3
	v_cndmask_b32_e64 v154, v154, v133, s10
	v_lshrrev_b32_e32 v162, 16, v135
	v_cndmask_b32_e64 v146, v146, v160, s13
	v_cndmask_b32_e64 v151, v151, v163, s13
	v_cndmask_b32_e32 v152, v152, v160, vcc_lo
	v_cndmask_b32_e64 v153, v153, v149, s3
	v_cmp_eq_u32_e64 s19, 7, v143
	v_cndmask_b32_e64 v146, v146, v135, s15
	v_cndmask_b32_e64 v151, v151, v150, s15
	;; [unrolled: 1-line block ×4, first 2 shown]
	v_cmp_eq_u32_e64 s20, 4, v141
	v_cndmask_b32_e64 v165, v146, v162, s9
	v_cndmask_b32_e64 v166, v151, v164, s9
	;; [unrolled: 1-line block ×3, first 2 shown]
	v_or_b32_e32 v146, 3, v142
	v_cndmask_b32_e64 v167, v152, v162, s19
	v_cndmask_b32_e32 v156, v153, v163, vcc_lo
	v_cndmask_b32_e64 v158, v154, v134, s20
	v_cndmask_b32_e64 v157, v151, v148, s10
	ds_load_b128 v[151:154], v145 offset:1024
	v_cmp_eq_u32_e64 s21, 1, v146
	v_cmp_eq_u32_e64 s22, 5, v141
	;; [unrolled: 1-line block ×3, first 2 shown]
	v_cndmask_b32_e64 v157, v157, v161, s18
	v_cmp_eq_u32_e64 s24, 3, v146
	v_cndmask_b32_e64 v132, v132, v136, s21
	v_cndmask_b32_e64 v136, v156, v150, s4
	;; [unrolled: 1-line block ×5, first 2 shown]
	ds_load_b128 v[155:158], v145 offset:1040
	v_cndmask_b32_e64 v132, v132, v133, s23
	v_cmp_eq_u32_e64 s26, 4, v146
	v_cmp_eq_u32_e64 s28, 5, v146
	v_cndmask_b32_e64 v147, v147, v148, s23
	v_cmp_eq_u32_e64 s25, 6, v141
	v_cndmask_b32_e64 v132, v132, v159, s24
	;; [unrolled: 2-line block ×3, first 2 shown]
	v_cndmask_b32_e64 v147, v147, v161, s24
	s_waitcnt lgkmcnt(1)
	v_lshrrev_b32_e32 v159, 16, v151
	v_cndmask_b32_e64 v132, v132, v134, s26
	v_cndmask_b32_e64 v148, v168, v135, s25
	;; [unrolled: 1-line block ×6, first 2 shown]
	v_lshrrev_b32_e32 v160, 16, v152
	v_cndmask_b32_e64 v161, v151, v159, s7
	v_cndmask_b32_e64 v134, v134, v163, s28
	s_waitcnt lgkmcnt(0)
	v_lshrrev_b32_e32 v149, 16, v155
	v_cndmask_b32_e64 v147, v147, v152, s11
	v_cndmask_b32_e64 v132, v132, v135, s29
	v_cmp_eq_u32_e64 s27, 7, v141
	v_cndmask_b32_e64 v134, v134, v150, s29
	v_cndmask_b32_e64 v163, v155, v149, s12
	;; [unrolled: 1-line block ×4, first 2 shown]
	v_lshrrev_b32_e32 v161, 16, v156
	v_cndmask_b32_e64 v136, v136, v164, s19
	v_cndmask_b32_e64 v150, v163, v156, s11
	v_cmp_eq_u32_e64 s11, 7, v146
	v_cndmask_b32_e64 v147, v147, v160, s5
	v_cndmask_b32_e64 v135, v135, v153, s17
	v_lshrrev_b32_e32 v163, 16, v153
	v_cndmask_b32_e64 v150, v150, v161, s16
	v_cndmask_b32_e64 v132, v132, v162, s11
	;; [unrolled: 1-line block ×8, first 2 shown]
	v_lshrrev_b32_e32 v164, 16, v157
	v_perm_b32 v135, v134, v132, 0x5040100
	v_cndmask_b32_e32 v132, v147, v163, vcc_lo
	v_cndmask_b32_e64 v147, v162, v154, s15
	v_lshrrev_b32_e32 v162, 16, v154
	v_cndmask_b32_e64 v150, v150, v164, s13
	v_perm_b32 v134, v133, v148, 0x5040100
	v_cndmask_b32_e64 v132, v132, v154, s4
	v_perm_b32 v133, v136, v167, 0x5040100
	v_cndmask_b32_e64 v136, v147, v162, s9
	v_cndmask_b32_e64 v147, v150, v158, s15
	;; [unrolled: 1-line block ×27, first 2 shown]
	v_cndmask_b32_e32 v149, v149, v164, vcc_lo
	v_lshrrev_b32_e32 v148, 16, v158
	v_cndmask_b32_e64 v132, v132, v154, s25
	v_cndmask_b32_e64 v150, v150, v154, s29
	;; [unrolled: 1-line block ×11, first 2 shown]
	v_perm_b32 v132, v166, v165, 0x5040100
	v_perm_b32 v150, v151, v150, 0x5040100
	;; [unrolled: 1-line block ×5, first 2 shown]
	s_mul_i32 s8, s35, 11
	s_mov_b32 s3, exec_lo
	ds_store_b128 v131, v[132:135]
	ds_store_b128 v131, v[147:150] offset:1024
	v_cmpx_gt_u32_e32 11, v0
	s_cbranch_execz .LBB624_78
; %bb.77:
	s_mul_i32 s4, s8, s30
	s_delay_alu instid0(SALU_CYCLE_1) | instskip(SKIP_1) | instid1(VALU_DEP_1)
	v_add3_u32 v133, s4, s31, v140
	s_load_b128 s[4:7], s[0:1], 0x58
	v_mad_u64_u32 v[131:132], null, v133, s34, s[14:15]
	s_delay_alu instid0(VALU_DEP_1) | instskip(NEXT) | instid1(VALU_DEP_1)
	v_ashrrev_i32_e32 v132, 31, v131
	v_lshlrev_b64 v[131:132], 2, v[131:132]
	s_waitcnt lgkmcnt(0)
	s_delay_alu instid0(VALU_DEP_1) | instskip(NEXT) | instid1(VALU_DEP_2)
	v_add_co_u32 v133, vcc_lo, s6, v131
	v_add_co_ci_u32_e32 v134, vcc_lo, s7, v132, vcc_lo
	v_add_co_u32 v131, vcc_lo, s4, v131
	v_add_co_ci_u32_e32 v132, vcc_lo, s5, v132, vcc_lo
	global_store_b32 v[133:134], v129, off
	global_store_b32 v[131:132], v130, off
.LBB624_78:
	s_or_b32 exec_lo, exec_lo, s3
	s_waitcnt lgkmcnt(0)
	s_waitcnt_vscnt null, 0x0
	s_barrier
	buffer_gl0_inv
	ds_load_b128 v[147:150], v144
	ds_load_b128 v[151:154], v144 offset:16
	ds_load_b128 v[159:162], v144 offset:1040
	;; [unrolled: 1-line block ×3, first 2 shown]
	v_mov_b32_e32 v129, 0
	ds_load_b128 v[167:170], v144 offset:2064
	ds_load_b128 v[163:166], v144 offset:2048
	;; [unrolled: 1-line block ×6, first 2 shown]
	v_mov_b32_e32 v130, v129
	v_mov_b32_e32 v131, v129
	;; [unrolled: 1-line block ×7, first 2 shown]
	s_waitcnt lgkmcnt(8)
	s_delay_alu instid0(VALU_DEP_1)
	v_wmma_f32_16x16x16_bf16 v[129:136], v[121:128], v[147:154], v[129:136]
	ds_load_b128 v[125:128], v144 offset:5136
	ds_load_b128 v[121:124], v144 offset:5120
	s_waitcnt lgkmcnt(8)
	v_wmma_f32_16x16x16_bf16 v[129:136], v[113:120], v[155:162], v[129:136]
	ds_load_b128 v[117:120], v144 offset:6160
	ds_load_b128 v[113:116], v144 offset:6144
	s_waitcnt lgkmcnt(8)
	;; [unrolled: 4-line block ×8, first 2 shown]
	v_wmma_f32_16x16x16_bf16 v[129:136], v[65:72], v[97:104], v[129:136]
	s_waitcnt lgkmcnt(6)
	s_delay_alu instid0(VALU_DEP_1)
	v_wmma_f32_16x16x16_bf16 v[129:136], v[49:56], v[89:96], v[129:136]
	ds_load_b128 v[53:56], v144 offset:13328
	ds_load_b128 v[49:52], v144 offset:13312
	s_waitcnt lgkmcnt(6)
	v_wmma_f32_16x16x16_bf16 v[129:136], v[41:48], v[81:88], v[129:136]
	ds_load_b128 v[45:48], v144 offset:14352
	ds_load_b128 v[41:44], v144 offset:14336
	s_waitcnt lgkmcnt(6)
	;; [unrolled: 4-line block ×3, first 2 shown]
	v_wmma_f32_16x16x16_bf16 v[129:136], v[1:8], v[57:64], v[129:136]
	s_waitcnt lgkmcnt(4)
	s_delay_alu instid0(VALU_DEP_1) | instskip(SKIP_1) | instid1(VALU_DEP_1)
	v_wmma_f32_16x16x16_bf16 v[129:136], v[25:32], v[49:56], v[129:136]
	s_waitcnt lgkmcnt(2)
	v_wmma_f32_16x16x16_bf16 v[129:136], v[33:40], v[41:48], v[129:136]
	s_waitcnt lgkmcnt(0)
	s_delay_alu instid0(VALU_DEP_1) | instskip(NEXT) | instid1(VALU_DEP_1)
	v_wmma_f32_16x16x16_bf16 v[129:136], v[9:16], v[17:24], v[129:136]
	v_and_b32_e32 v1, 0x7f800000, v129
	s_delay_alu instid0(VALU_DEP_1) | instskip(SKIP_1) | instid1(SALU_CYCLE_1)
	v_cmp_ne_u32_e32 vcc_lo, 0x7f800000, v1
                                        ; implicit-def: $vgpr1
	s_and_saveexec_b32 s3, vcc_lo
	s_xor_b32 s3, exec_lo, s3
; %bb.79:
	v_bfe_u32 v1, v129, 16, 1
	s_delay_alu instid0(VALU_DEP_1)
	v_add3_u32 v1, v129, v1, 0x7fff
; %bb.80:
	s_and_not1_saveexec_b32 s3, s3
; %bb.81:
	v_and_b32_e32 v1, 0xffff, v129
	v_or_b32_e32 v2, 0x10000, v129
	s_delay_alu instid0(VALU_DEP_2) | instskip(NEXT) | instid1(VALU_DEP_2)
	v_cmp_eq_u32_e32 vcc_lo, 0, v1
	v_cndmask_b32_e32 v1, v2, v129, vcc_lo
; %bb.82:
	s_or_b32 exec_lo, exec_lo, s3
	v_and_b32_e32 v2, 0x7f800000, v130
	s_delay_alu instid0(VALU_DEP_1) | instskip(SKIP_1) | instid1(SALU_CYCLE_1)
	v_cmp_ne_u32_e32 vcc_lo, 0x7f800000, v2
                                        ; implicit-def: $vgpr2
	s_and_saveexec_b32 s3, vcc_lo
	s_xor_b32 s3, exec_lo, s3
; %bb.83:
	v_bfe_u32 v2, v130, 16, 1
	s_delay_alu instid0(VALU_DEP_1)
	v_add3_u32 v2, v130, v2, 0x7fff
; %bb.84:
	s_and_not1_saveexec_b32 s3, s3
; %bb.85:
	v_and_b32_e32 v2, 0xffff, v130
	v_or_b32_e32 v3, 0x10000, v130
	s_delay_alu instid0(VALU_DEP_2) | instskip(NEXT) | instid1(VALU_DEP_2)
	v_cmp_eq_u32_e32 vcc_lo, 0, v2
	v_cndmask_b32_e32 v2, v3, v130, vcc_lo
; %bb.86:
	s_or_b32 exec_lo, exec_lo, s3
	v_and_b32_e32 v3, 0x7f800000, v131
	s_delay_alu instid0(VALU_DEP_1) | instskip(SKIP_1) | instid1(SALU_CYCLE_1)
	v_cmp_ne_u32_e32 vcc_lo, 0x7f800000, v3
                                        ; implicit-def: $vgpr3
	s_and_saveexec_b32 s3, vcc_lo
	s_xor_b32 s3, exec_lo, s3
; %bb.87:
	v_bfe_u32 v3, v131, 16, 1
	s_delay_alu instid0(VALU_DEP_1)
	v_add3_u32 v3, v131, v3, 0x7fff
; %bb.88:
	s_and_not1_saveexec_b32 s3, s3
; %bb.89:
	v_and_b32_e32 v3, 0xffff, v131
	v_or_b32_e32 v4, 0x10000, v131
	s_delay_alu instid0(VALU_DEP_2) | instskip(NEXT) | instid1(VALU_DEP_2)
	v_cmp_eq_u32_e32 vcc_lo, 0, v3
	v_cndmask_b32_e32 v3, v4, v131, vcc_lo
; %bb.90:
	s_or_b32 exec_lo, exec_lo, s3
	v_and_b32_e32 v4, 0x7f800000, v132
	s_delay_alu instid0(VALU_DEP_1) | instskip(SKIP_1) | instid1(SALU_CYCLE_1)
	v_cmp_ne_u32_e32 vcc_lo, 0x7f800000, v4
                                        ; implicit-def: $vgpr4
	s_and_saveexec_b32 s3, vcc_lo
	s_xor_b32 s3, exec_lo, s3
; %bb.91:
	v_bfe_u32 v4, v132, 16, 1
	s_delay_alu instid0(VALU_DEP_1)
	v_add3_u32 v4, v132, v4, 0x7fff
; %bb.92:
	s_and_not1_saveexec_b32 s3, s3
; %bb.93:
	v_and_b32_e32 v4, 0xffff, v132
	v_or_b32_e32 v5, 0x10000, v132
	s_delay_alu instid0(VALU_DEP_2) | instskip(NEXT) | instid1(VALU_DEP_2)
	v_cmp_eq_u32_e32 vcc_lo, 0, v4
	v_cndmask_b32_e32 v4, v5, v132, vcc_lo
; %bb.94:
	s_or_b32 exec_lo, exec_lo, s3
	v_and_b32_e32 v5, 0x7f800000, v133
	s_delay_alu instid0(VALU_DEP_1) | instskip(SKIP_1) | instid1(SALU_CYCLE_1)
	v_cmp_ne_u32_e32 vcc_lo, 0x7f800000, v5
                                        ; implicit-def: $vgpr5
	s_and_saveexec_b32 s3, vcc_lo
	s_xor_b32 s3, exec_lo, s3
; %bb.95:
	v_bfe_u32 v5, v133, 16, 1
	s_delay_alu instid0(VALU_DEP_1)
	v_add3_u32 v5, v133, v5, 0x7fff
; %bb.96:
	s_and_not1_saveexec_b32 s3, s3
; %bb.97:
	v_and_b32_e32 v5, 0xffff, v133
	v_or_b32_e32 v6, 0x10000, v133
	s_delay_alu instid0(VALU_DEP_2) | instskip(NEXT) | instid1(VALU_DEP_2)
	v_cmp_eq_u32_e32 vcc_lo, 0, v5
	v_cndmask_b32_e32 v5, v6, v133, vcc_lo
; %bb.98:
	s_or_b32 exec_lo, exec_lo, s3
	v_and_b32_e32 v6, 0x7f800000, v134
	s_delay_alu instid0(VALU_DEP_1) | instskip(SKIP_1) | instid1(SALU_CYCLE_1)
	v_cmp_ne_u32_e32 vcc_lo, 0x7f800000, v6
                                        ; implicit-def: $vgpr6
	s_and_saveexec_b32 s3, vcc_lo
	s_xor_b32 s3, exec_lo, s3
; %bb.99:
	v_bfe_u32 v6, v134, 16, 1
	s_delay_alu instid0(VALU_DEP_1)
	v_add3_u32 v6, v134, v6, 0x7fff
; %bb.100:
	s_and_not1_saveexec_b32 s3, s3
; %bb.101:
	v_and_b32_e32 v6, 0xffff, v134
	v_or_b32_e32 v7, 0x10000, v134
	s_delay_alu instid0(VALU_DEP_2) | instskip(NEXT) | instid1(VALU_DEP_2)
	v_cmp_eq_u32_e32 vcc_lo, 0, v6
	v_cndmask_b32_e32 v6, v7, v134, vcc_lo
; %bb.102:
	s_or_b32 exec_lo, exec_lo, s3
	v_and_b32_e32 v7, 0x7f800000, v135
	s_delay_alu instid0(VALU_DEP_1) | instskip(SKIP_1) | instid1(SALU_CYCLE_1)
	v_cmp_ne_u32_e32 vcc_lo, 0x7f800000, v7
                                        ; implicit-def: $vgpr7
	s_and_saveexec_b32 s3, vcc_lo
	s_xor_b32 s3, exec_lo, s3
; %bb.103:
	v_bfe_u32 v7, v135, 16, 1
	s_delay_alu instid0(VALU_DEP_1)
	v_add3_u32 v7, v135, v7, 0x7fff
; %bb.104:
	s_and_not1_saveexec_b32 s3, s3
; %bb.105:
	v_and_b32_e32 v7, 0xffff, v135
	v_or_b32_e32 v8, 0x10000, v135
	s_delay_alu instid0(VALU_DEP_2) | instskip(NEXT) | instid1(VALU_DEP_2)
	v_cmp_eq_u32_e32 vcc_lo, 0, v7
	v_cndmask_b32_e32 v7, v8, v135, vcc_lo
; %bb.106:
	s_or_b32 exec_lo, exec_lo, s3
	v_and_b32_e32 v8, 0x7f800000, v136
	s_delay_alu instid0(VALU_DEP_1) | instskip(SKIP_1) | instid1(SALU_CYCLE_1)
	v_cmp_ne_u32_e32 vcc_lo, 0x7f800000, v8
                                        ; implicit-def: $vgpr8
	s_and_saveexec_b32 s3, vcc_lo
	s_xor_b32 s3, exec_lo, s3
; %bb.107:
	v_bfe_u32 v8, v136, 16, 1
	s_delay_alu instid0(VALU_DEP_1)
	v_add3_u32 v8, v136, v8, 0x7fff
                                        ; implicit-def: $vgpr129_vgpr130_vgpr131_vgpr132_vgpr133_vgpr134_vgpr135_vgpr136
; %bb.108:
	s_and_not1_saveexec_b32 s3, s3
; %bb.109:
	v_and_b32_e32 v8, 0xffff, v136
	v_or_b32_e32 v9, 0x10000, v136
	s_delay_alu instid0(VALU_DEP_2) | instskip(NEXT) | instid1(VALU_DEP_2)
	v_cmp_eq_u32_e32 vcc_lo, 0, v8
	v_cndmask_b32_e32 v8, v9, v136, vcc_lo
; %bb.110:
	s_or_b32 exec_lo, exec_lo, s3
	s_delay_alu instid0(VALU_DEP_1)
	v_perm_b32 v7, v8, v7, 0x7060302
	v_perm_b32 v6, v6, v5, 0x7060302
	;; [unrolled: 1-line block ×4, first 2 shown]
	v_lshl_or_b32 v9, v138, 4, v145
	s_barrier
	buffer_gl0_inv
	v_cmp_eq_u32_e32 vcc_lo, 1, v142
	ds_store_b128 v9, v[4:7]
	s_waitcnt lgkmcnt(0)
	s_barrier
	buffer_gl0_inv
	ds_load_b128 v[1:4], v145
	ds_load_b128 v[5:8], v145 offset:16
	v_cmp_eq_u32_e64 s4, 2, v142
	v_cmp_eq_u32_e64 s3, 1, v143
	;; [unrolled: 1-line block ×5, first 2 shown]
	s_waitcnt lgkmcnt(1)
	v_lshrrev_b32_e32 v10, 16, v1
	s_waitcnt lgkmcnt(0)
	v_lshrrev_b32_e32 v14, 16, v5
	v_lshrrev_b32_e32 v15, 16, v6
	;; [unrolled: 1-line block ×4, first 2 shown]
	v_cndmask_b32_e64 v20, v1, v10, s3
	v_cndmask_b32_e32 v19, v5, v14, vcc_lo
	v_cndmask_b32_e64 v21, v5, v14, s3
	v_lshrrev_b32_e32 v16, 16, v7
	v_cmp_eq_u32_e64 s3, 1, v141
	v_lshrrev_b32_e32 v13, 16, v4
	v_cndmask_b32_e64 v19, v19, v6, s4
	v_lshrrev_b32_e32 v17, 16, v8
	s_delay_alu instid0(VALU_DEP_4) | instskip(SKIP_1) | instid1(VALU_DEP_4)
	v_cndmask_b32_e64 v22, v1, v10, s3
	v_cndmask_b32_e64 v23, v5, v14, s3
	;; [unrolled: 1-line block ×3, first 2 shown]
	v_cndmask_b32_e32 v18, v1, v10, vcc_lo
	v_cmp_eq_u32_e32 vcc_lo, 2, v143
	v_cmp_eq_u32_e64 s3, 2, v146
	v_cndmask_b32_e64 v22, v22, v2, s7
	v_cndmask_b32_e32 v20, v20, v2, vcc_lo
	v_cndmask_b32_e32 v21, v21, v6, vcc_lo
	v_cmp_eq_u32_e32 vcc_lo, 4, v142
	v_cndmask_b32_e32 v19, v19, v7, vcc_lo
	v_cndmask_b32_e64 v18, v18, v2, s4
	v_cmp_eq_u32_e64 s4, 3, v143
	s_delay_alu instid0(VALU_DEP_2) | instskip(NEXT) | instid1(VALU_DEP_2)
	v_cndmask_b32_e64 v18, v18, v11, s5
	v_cndmask_b32_e64 v21, v21, v15, s4
	v_cmp_eq_u32_e64 s5, 5, v142
	s_delay_alu instid0(VALU_DEP_3) | instskip(SKIP_1) | instid1(VALU_DEP_3)
	v_cndmask_b32_e32 v18, v18, v3, vcc_lo
	v_cmp_eq_u32_e32 vcc_lo, 4, v143
	v_cndmask_b32_e64 v19, v19, v16, s5
	s_delay_alu instid0(VALU_DEP_3) | instskip(SKIP_4) | instid1(VALU_DEP_3)
	v_cndmask_b32_e64 v18, v18, v12, s5
	v_cndmask_b32_e32 v21, v21, v7, vcc_lo
	v_cndmask_b32_e64 v20, v20, v11, s4
	v_cmp_eq_u32_e64 s4, 5, v143
	v_cmp_eq_u32_e64 s5, 6, v142
	v_cndmask_b32_e32 v20, v20, v3, vcc_lo
	s_delay_alu instid0(VALU_DEP_3) | instskip(SKIP_1) | instid1(VALU_DEP_4)
	v_cndmask_b32_e64 v21, v21, v16, s4
	v_cmp_eq_u32_e32 vcc_lo, 6, v143
	v_cndmask_b32_e64 v18, v18, v4, s5
	v_cndmask_b32_e64 v19, v19, v8, s5
	;; [unrolled: 1-line block ×3, first 2 shown]
	v_cmp_eq_u32_e64 s4, 1, v146
	v_cmp_eq_u32_e64 s5, 7, v142
	s_delay_alu instid0(VALU_DEP_3) | instskip(NEXT) | instid1(VALU_DEP_3)
	v_cndmask_b32_e32 v20, v20, v4, vcc_lo
	v_cndmask_b32_e64 v1, v1, v10, s4
	v_cndmask_b32_e64 v5, v5, v14, s4
	v_cmp_eq_u32_e64 s4, 3, v141
	v_cndmask_b32_e64 v14, v23, v6, s7
	v_cmp_eq_u32_e64 s7, 3, v146
	v_cndmask_b32_e64 v1, v1, v2, s3
	v_cndmask_b32_e64 v2, v5, v6, s3
	;; [unrolled: 1-line block ×3, first 2 shown]
	v_cmp_eq_u32_e64 s3, 4, v141
	v_cndmask_b32_e64 v6, v14, v15, s4
	v_cndmask_b32_e64 v1, v1, v11, s7
	v_cmp_eq_u32_e64 s4, 4, v146
	v_cndmask_b32_e64 v2, v2, v15, s7
	v_cndmask_b32_e64 v5, v10, v3, s3
	;; [unrolled: 3-line block ×3, first 2 shown]
	v_cndmask_b32_e64 v2, v2, v7, s4
	v_cmp_eq_u32_e64 s3, 5, v146
	v_cndmask_b32_e64 v5, v5, v12, s7
	v_cmp_eq_u32_e64 s4, 6, v141
	;; [unrolled: 2-line block ×3, first 2 shown]
	v_cndmask_b32_e64 v1, v1, v12, s3
	v_cndmask_b32_e64 v2, v2, v16, s3
	;; [unrolled: 1-line block ×4, first 2 shown]
	v_cmp_eq_u32_e64 s3, 7, v146
	v_cndmask_b32_e64 v1, v1, v4, s7
	v_cndmask_b32_e64 v2, v2, v8, s7
	v_cmp_eq_u32_e64 s4, 7, v141
	v_cndmask_b32_e32 v4, v21, v8, vcc_lo
	v_cndmask_b32_e64 v18, v18, v13, s5
	v_cndmask_b32_e64 v20, v20, v13, s6
	;; [unrolled: 1-line block ×8, first 2 shown]
	s_mov_b32 s3, exec_lo
	v_perm_b32 v4, v2, v1, 0x5040100
	v_perm_b32 v3, v3, v5, 0x5040100
	;; [unrolled: 1-line block ×4, first 2 shown]
	ds_store_b128 v9, v[1:4]
	s_waitcnt lgkmcnt(0)
	s_barrier
	buffer_gl0_inv
	v_cmpx_gt_u32_e32 32, v0
	s_cbranch_execz .LBB624_2
; %bb.111:
	s_load_b64 s[4:5], s[0:1], 0x68
	v_lshlrev_b32_e32 v0, 10, v0
	v_lshlrev_b32_e32 v1, 4, v139
	s_lshl_b32 s0, s34, 7
	v_add_nc_u32_e32 v7, s31, v138
	s_mul_i32 s1, s0, s30
	s_delay_alu instid0(SALU_CYCLE_1) | instskip(SKIP_1) | instid1(VALU_DEP_2)
	s_mul_i32 s6, s1, s8
	v_and_or_b32 v0, 0x3800, v0, v1
	v_mul_lo_u32 v1, v7, s0
	v_add_nc_u32_e32 v2, 2, v7
	s_ashr_i32 s7, s6, 31
	v_add_nc_u32_e32 v4, 4, v7
	s_lshl_b64 s[6:7], s[6:7], 1
	v_add_nc_u32_e32 v8, 6, v7
	v_mul_lo_u32 v3, v2, s0
	v_lshl_or_b32 v19, v138, 6, v0
	v_ashrrev_i32_e32 v2, 31, v1
	v_mul_lo_u32 v11, v4, s0
	v_mul_lo_u32 v25, v8, s0
	s_waitcnt lgkmcnt(0)
	s_add_u32 s1, s4, s6
	s_addc_u32 s3, s5, s7
	s_lshl_b32 s4, s14, 7
	v_lshlrev_b64 v[5:6], 1, v[1:2]
	s_ashr_i32 s5, s4, 31
	v_ashrrev_i32_e32 v4, 31, v3
	s_lshl_b64 s[4:5], s[4:5], 1
	v_ashrrev_i32_e32 v12, 31, v11
	s_add_u32 s1, s1, s4
	s_addc_u32 s3, s3, s5
	v_add_co_u32 v1, s1, s1, v137
	s_delay_alu instid0(VALU_DEP_1) | instskip(SKIP_1) | instid1(VALU_DEP_3)
	v_add_co_ci_u32_e64 v2, null, s3, 0, s1
	v_lshlrev_b64 v[3:4], 1, v[3:4]
	v_add_co_u32 v23, vcc_lo, v1, v5
	v_add_nc_u32_e32 v5, 8, v7
	s_delay_alu instid0(VALU_DEP_4) | instskip(NEXT) | instid1(VALU_DEP_4)
	v_add_co_ci_u32_e32 v24, vcc_lo, v2, v6, vcc_lo
	v_add_co_u32 v27, vcc_lo, v1, v3
	s_delay_alu instid0(VALU_DEP_3)
	v_mul_lo_u32 v29, v5, s0
	v_add_co_ci_u32_e32 v28, vcc_lo, v2, v4, vcc_lo
	ds_load_b128 v[3:6], v19
	ds_load_b128 v[7:10], v19 offset:128
	v_lshlrev_b64 v[31:32], 1, v[11:12]
	ds_load_b128 v[11:14], v19 offset:256
	ds_load_b128 v[15:18], v19 offset:384
	;; [unrolled: 1-line block ×3, first 2 shown]
	v_ashrrev_i32_e32 v26, 31, v25
	v_ashrrev_i32_e32 v30, 31, v29
	v_add_co_u32 v31, vcc_lo, v1, v31
	s_delay_alu instid0(VALU_DEP_3) | instskip(NEXT) | instid1(VALU_DEP_3)
	v_lshlrev_b64 v[25:26], 1, v[25:26]
	v_lshlrev_b64 v[29:30], 1, v[29:30]
	v_add_co_ci_u32_e32 v32, vcc_lo, v2, v32, vcc_lo
	s_delay_alu instid0(VALU_DEP_3) | instskip(NEXT) | instid1(VALU_DEP_4)
	v_add_co_u32 v25, vcc_lo, v1, v25
	v_add_co_ci_u32_e32 v26, vcc_lo, v2, v26, vcc_lo
	s_delay_alu instid0(VALU_DEP_4)
	v_add_co_u32 v29, vcc_lo, v1, v29
	v_add_co_ci_u32_e32 v30, vcc_lo, v2, v30, vcc_lo
	s_waitcnt lgkmcnt(4)
	global_store_b128 v[23:24], v[3:6], off
	s_waitcnt lgkmcnt(3)
	global_store_b128 v[27:28], v[7:10], off
	s_waitcnt lgkmcnt(2)
	global_store_b128 v[31:32], v[11:14], off
	s_waitcnt lgkmcnt(1)
	global_store_b128 v[25:26], v[15:18], off
	s_waitcnt lgkmcnt(0)
	global_store_b128 v[29:30], v[19:22], off
	s_and_b32 exec_lo, exec_lo, s2
	s_cbranch_execz .LBB624_2
; %bb.112:
	ds_load_b128 v[3:6], v0 offset:640
	s_add_i32 s1, s31, 10
	s_delay_alu instid0(SALU_CYCLE_1) | instskip(NEXT) | instid1(SALU_CYCLE_1)
	s_mul_i32 s0, s1, s0
	s_ashr_i32 s1, s0, 31
	s_delay_alu instid0(SALU_CYCLE_1) | instskip(NEXT) | instid1(SALU_CYCLE_1)
	s_lshl_b64 s[0:1], s[0:1], 1
	v_add_co_u32 v0, vcc_lo, v1, s0
	v_add_co_ci_u32_e32 v1, vcc_lo, s1, v2, vcc_lo
	s_waitcnt lgkmcnt(0)
	global_store_b128 v[0:1], v[3:6], off
	s_nop 0
	s_sendmsg sendmsg(MSG_DEALLOC_VGPRS)
	s_endpgm
	.section	.rodata,"a",@progbits
	.p2align	6, 0x0
	.amdhsa_kernel _Z39paged_attention_ll4mi_QKV_mfma16_kernelI14__hip_bfloat16S0_LN4vllm18Fp8KVCacheDataTypeE0EhLi16ELi128ELi256ELb0ELi11EL8MFMAType0EEvPKT_PKT0_S9_ifPKiSB_SB_iPKfiiiPfSE_PS4_PT2_iSD_SD_
		.amdhsa_group_segment_fixed_size 17472
		.amdhsa_private_segment_fixed_size 0
		.amdhsa_kernarg_size 400
		.amdhsa_user_sgpr_count 13
		.amdhsa_user_sgpr_dispatch_ptr 0
		.amdhsa_user_sgpr_queue_ptr 0
		.amdhsa_user_sgpr_kernarg_segment_ptr 1
		.amdhsa_user_sgpr_dispatch_id 0
		.amdhsa_user_sgpr_private_segment_size 0
		.amdhsa_wavefront_size32 1
		.amdhsa_uses_dynamic_stack 0
		.amdhsa_enable_private_segment 0
		.amdhsa_system_sgpr_workgroup_id_x 1
		.amdhsa_system_sgpr_workgroup_id_y 1
		.amdhsa_system_sgpr_workgroup_id_z 1
		.amdhsa_system_sgpr_workgroup_info 0
		.amdhsa_system_vgpr_workitem_id 0
		.amdhsa_next_free_vgpr 218
		.amdhsa_next_free_sgpr 50
		.amdhsa_reserve_vcc 1
		.amdhsa_float_round_mode_32 0
		.amdhsa_float_round_mode_16_64 0
		.amdhsa_float_denorm_mode_32 3
		.amdhsa_float_denorm_mode_16_64 3
		.amdhsa_dx10_clamp 1
		.amdhsa_ieee_mode 1
		.amdhsa_fp16_overflow 0
		.amdhsa_workgroup_processor_mode 1
		.amdhsa_memory_ordered 1
		.amdhsa_forward_progress 0
		.amdhsa_shared_vgpr_count 0
		.amdhsa_exception_fp_ieee_invalid_op 0
		.amdhsa_exception_fp_denorm_src 0
		.amdhsa_exception_fp_ieee_div_zero 0
		.amdhsa_exception_fp_ieee_overflow 0
		.amdhsa_exception_fp_ieee_underflow 0
		.amdhsa_exception_fp_ieee_inexact 0
		.amdhsa_exception_int_div_zero 0
	.end_amdhsa_kernel
	.section	.text._Z39paged_attention_ll4mi_QKV_mfma16_kernelI14__hip_bfloat16S0_LN4vllm18Fp8KVCacheDataTypeE0EhLi16ELi128ELi256ELb0ELi11EL8MFMAType0EEvPKT_PKT0_S9_ifPKiSB_SB_iPKfiiiPfSE_PS4_PT2_iSD_SD_,"axG",@progbits,_Z39paged_attention_ll4mi_QKV_mfma16_kernelI14__hip_bfloat16S0_LN4vllm18Fp8KVCacheDataTypeE0EhLi16ELi128ELi256ELb0ELi11EL8MFMAType0EEvPKT_PKT0_S9_ifPKiSB_SB_iPKfiiiPfSE_PS4_PT2_iSD_SD_,comdat
.Lfunc_end624:
	.size	_Z39paged_attention_ll4mi_QKV_mfma16_kernelI14__hip_bfloat16S0_LN4vllm18Fp8KVCacheDataTypeE0EhLi16ELi128ELi256ELb0ELi11EL8MFMAType0EEvPKT_PKT0_S9_ifPKiSB_SB_iPKfiiiPfSE_PS4_PT2_iSD_SD_, .Lfunc_end624-_Z39paged_attention_ll4mi_QKV_mfma16_kernelI14__hip_bfloat16S0_LN4vllm18Fp8KVCacheDataTypeE0EhLi16ELi128ELi256ELb0ELi11EL8MFMAType0EEvPKT_PKT0_S9_ifPKiSB_SB_iPKfiiiPfSE_PS4_PT2_iSD_SD_
                                        ; -- End function
	.section	.AMDGPU.csdata,"",@progbits
; Kernel info:
; codeLenInByte = 10392
; NumSgprs: 52
; NumVgprs: 218
; ScratchSize: 0
; MemoryBound: 0
; FloatMode: 240
; IeeeMode: 1
; LDSByteSize: 17472 bytes/workgroup (compile time only)
; SGPRBlocks: 6
; VGPRBlocks: 27
; NumSGPRsForWavesPerEU: 52
; NumVGPRsForWavesPerEU: 218
; Occupancy: 6
; WaveLimiterHint : 1
; COMPUTE_PGM_RSRC2:SCRATCH_EN: 0
; COMPUTE_PGM_RSRC2:USER_SGPR: 13
; COMPUTE_PGM_RSRC2:TRAP_HANDLER: 0
; COMPUTE_PGM_RSRC2:TGID_X_EN: 1
; COMPUTE_PGM_RSRC2:TGID_Y_EN: 1
; COMPUTE_PGM_RSRC2:TGID_Z_EN: 1
; COMPUTE_PGM_RSRC2:TIDIG_COMP_CNT: 0
	.section	.text._Z39paged_attention_ll4mi_QKV_mfma16_kernelI14__hip_bfloat16S0_LN4vllm18Fp8KVCacheDataTypeE0EhLi16ELi128ELi256ELb0ELi12EL8MFMAType0EEvPKT_PKT0_S9_ifPKiSB_SB_iPKfiiiPfSE_PS4_PT2_iSD_SD_,"axG",@progbits,_Z39paged_attention_ll4mi_QKV_mfma16_kernelI14__hip_bfloat16S0_LN4vllm18Fp8KVCacheDataTypeE0EhLi16ELi128ELi256ELb0ELi12EL8MFMAType0EEvPKT_PKT0_S9_ifPKiSB_SB_iPKfiiiPfSE_PS4_PT2_iSD_SD_,comdat
	.protected	_Z39paged_attention_ll4mi_QKV_mfma16_kernelI14__hip_bfloat16S0_LN4vllm18Fp8KVCacheDataTypeE0EhLi16ELi128ELi256ELb0ELi12EL8MFMAType0EEvPKT_PKT0_S9_ifPKiSB_SB_iPKfiiiPfSE_PS4_PT2_iSD_SD_ ; -- Begin function _Z39paged_attention_ll4mi_QKV_mfma16_kernelI14__hip_bfloat16S0_LN4vllm18Fp8KVCacheDataTypeE0EhLi16ELi128ELi256ELb0ELi12EL8MFMAType0EEvPKT_PKT0_S9_ifPKiSB_SB_iPKfiiiPfSE_PS4_PT2_iSD_SD_
	.globl	_Z39paged_attention_ll4mi_QKV_mfma16_kernelI14__hip_bfloat16S0_LN4vllm18Fp8KVCacheDataTypeE0EhLi16ELi128ELi256ELb0ELi12EL8MFMAType0EEvPKT_PKT0_S9_ifPKiSB_SB_iPKfiiiPfSE_PS4_PT2_iSD_SD_
	.p2align	8
	.type	_Z39paged_attention_ll4mi_QKV_mfma16_kernelI14__hip_bfloat16S0_LN4vllm18Fp8KVCacheDataTypeE0EhLi16ELi128ELi256ELb0ELi12EL8MFMAType0EEvPKT_PKT0_S9_ifPKiSB_SB_iPKfiiiPfSE_PS4_PT2_iSD_SD_,@function
_Z39paged_attention_ll4mi_QKV_mfma16_kernelI14__hip_bfloat16S0_LN4vllm18Fp8KVCacheDataTypeE0EhLi16ELi128ELi256ELb0ELi12EL8MFMAType0EEvPKT_PKT0_S9_ifPKiSB_SB_iPKfiiiPfSE_PS4_PT2_iSD_SD_: ; @_Z39paged_attention_ll4mi_QKV_mfma16_kernelI14__hip_bfloat16S0_LN4vllm18Fp8KVCacheDataTypeE0EhLi16ELi128ELi256ELb0ELi12EL8MFMAType0EEvPKT_PKT0_S9_ifPKiSB_SB_iPKfiiiPfSE_PS4_PT2_iSD_SD_
; %bb.0:
	s_load_b64 s[4:5], s[0:1], 0x30
	s_mov_b32 s30, s13
	s_waitcnt lgkmcnt(0)
	s_cmp_lg_u64 s[4:5], 0
	s_cselect_b32 s8, -1, 0
	s_ashr_i32 s31, s13, 31
	s_cmp_eq_u64 s[4:5], 0
	s_cbranch_scc1 .LBB625_3
; %bb.1:
	s_lshl_b64 s[2:3], s[30:31], 2
	s_delay_alu instid0(SALU_CYCLE_1) | instskip(SKIP_4) | instid1(SALU_CYCLE_1)
	s_add_u32 s2, s4, s2
	s_addc_u32 s3, s5, s3
	s_load_b64 s[2:3], s[2:3], 0x0
	s_waitcnt lgkmcnt(0)
	s_sub_i32 s2, s3, s2
	s_cmp_eq_u32 s2, 1
	s_cselect_b32 s2, -1, 0
	s_delay_alu instid0(SALU_CYCLE_1)
	s_and_not1_b32 vcc_lo, exec_lo, s2
	s_cbranch_vccz .LBB625_4
.LBB625_2:
	s_endpgm
.LBB625_3:
.LBB625_4:
	s_load_b64 s[2:3], s[0:1], 0x28
	s_lshl_b64 s[6:7], s[30:31], 2
	s_waitcnt lgkmcnt(0)
	s_add_u32 s2, s2, s6
	s_addc_u32 s3, s3, s7
	s_lshl_b32 s31, s14, 8
	s_load_b32 s28, s[2:3], 0x0
	s_waitcnt lgkmcnt(0)
	s_cmp_ge_i32 s31, s28
	s_cbranch_scc1 .LBB625_2
; %bb.5:
	s_clause 0x1
	s_load_b128 s[20:23], s[0:1], 0x8
	s_load_b64 s[2:3], s[0:1], 0x20
	s_and_not1_b32 vcc_lo, exec_lo, s8
	s_cbranch_vccnz .LBB625_7
; %bb.6:
	s_add_u32 s4, s4, s6
	s_addc_u32 s5, s5, s7
	s_load_b32 s5, s[4:5], 0x0
	s_branch .LBB625_8
.LBB625_7:
	s_mov_b32 s5, s30
.LBB625_8:
	s_load_b128 s[16:19], s[0:1], 0x48
	v_and_b32_e32 v140, 15, v0
	v_lshrrev_b32_e32 v141, 5, v0
	v_and_b32_e32 v142, 31, v0
	v_and_b32_e32 v139, 1, v0
	v_bfe_u32 v138, v0, 4, 1
	v_lshlrev_b32_e32 v1, 3, v140
	s_mul_i32 s29, s15, 12
	s_mov_b32 s4, exec_lo
	s_delay_alu instid0(VALU_DEP_1)
	v_lshlrev_b32_e32 v137, 1, v1
	v_cmpx_gt_u32_e32 0xc0, v0
	s_cbranch_execz .LBB625_10
; %bb.9:
	s_load_b64 s[6:7], s[0:1], 0x0
	v_lshl_or_b32 v5, v141, 1, v138
	s_waitcnt lgkmcnt(0)
	s_mul_hi_i32 s9, s5, s16
	s_mul_i32 s8, s5, s16
	v_lshlrev_b32_e32 v6, 10, v140
	s_lshl_b64 s[8:9], s[8:9], 1
	v_add_lshl_u32 v1, v5, s29, 7
	v_lshlrev_b32_e32 v5, 6, v5
	v_lshlrev_b32_e32 v7, 10, v139
	v_and_b32_e32 v6, 0x3800, v6
	s_delay_alu instid0(VALU_DEP_4) | instskip(NEXT) | instid1(VALU_DEP_2)
	v_ashrrev_i32_e32 v2, 31, v1
	v_or3_b32 v5, v6, v7, v5
	s_delay_alu instid0(VALU_DEP_2) | instskip(SKIP_2) | instid1(VALU_DEP_1)
	v_lshlrev_b64 v[1:2], 1, v[1:2]
	s_add_u32 s5, s6, s8
	s_addc_u32 s6, s7, s9
	v_add_co_u32 v1, vcc_lo, s5, v1
	s_delay_alu instid0(VALU_DEP_2) | instskip(NEXT) | instid1(VALU_DEP_2)
	v_add_co_ci_u32_e32 v2, vcc_lo, s6, v2, vcc_lo
	v_add_co_u32 v1, vcc_lo, v1, v137
	s_delay_alu instid0(VALU_DEP_2)
	v_add_co_ci_u32_e32 v2, vcc_lo, 0, v2, vcc_lo
	global_load_b128 v[1:4], v[1:2], off
	s_waitcnt vmcnt(0)
	ds_store_b128 v5, v[1:4]
.LBB625_10:
	s_or_b32 exec_lo, exec_lo, s4
	v_and_b32_e32 v1, 0xef, v0
	s_waitcnt lgkmcnt(0)
	s_add_i32 s5, s28, 15
	s_clause 0x1
	s_load_b32 s4, s[0:1], 0x38
	s_load_b32 s33, s[0:1], 0x1c
	s_ashr_i32 s6, s5, 31
	v_add_nc_u32_e32 v1, s31, v1
	s_lshr_b32 s6, s6, 28
	s_waitcnt lgkmcnt(0)
	s_add_i32 s5, s5, s6
	s_barrier
	v_ashrrev_i32_e32 v2, 31, v1
	v_cmp_gt_i32_e32 vcc_lo, s28, v1
	s_ashr_i32 s16, s5, 4
	buffer_gl0_inv
	s_add_i32 s16, s16, -1
	v_lshrrev_b32_e32 v3, 28, v2
	v_or_b32_e32 v2, 16, v1
	v_add_nc_u32_e32 v105, -12, v140
	v_lshlrev_b32_e32 v106, 5, v140
	s_delay_alu instid0(VALU_DEP_4) | instskip(NEXT) | instid1(VALU_DEP_4)
	v_add_nc_u32_e32 v4, v1, v3
	v_add_nc_u32_e32 v3, v2, v3
	s_mul_i32 s4, s30, s4
	s_delay_alu instid0(VALU_DEP_3) | instskip(SKIP_4) | instid1(SALU_CYCLE_1)
	v_lshl_or_b32 v125, v141, 9, v106
	s_ashr_i32 s5, s4, 31
	v_ashrrev_i32_e32 v4, 4, v4
	v_ashrrev_i32_e32 v3, 4, v3
	s_lshl_b64 s[4:5], s[4:5], 2
	s_add_u32 s34, s2, s4
	s_delay_alu instid0(VALU_DEP_2) | instskip(SKIP_3) | instid1(VALU_DEP_2)
	v_cndmask_b32_e32 v1, s16, v4, vcc_lo
	v_cmp_gt_i32_e32 vcc_lo, s28, v2
	s_addc_u32 s35, s3, s5
	s_mul_i32 s2, s15, s18
	v_ashrrev_i32_e32 v2, 31, v1
	v_cndmask_b32_e32 v3, s16, v3, vcc_lo
	s_ashr_i32 s3, s2, 31
	s_delay_alu instid0(SALU_CYCLE_1) | instskip(NEXT) | instid1(VALU_DEP_2)
	s_lshl_b64 s[2:3], s[2:3], 1
	v_lshlrev_b64 v[1:2], 2, v[1:2]
	s_delay_alu instid0(VALU_DEP_2) | instskip(SKIP_3) | instid1(VALU_DEP_1)
	v_ashrrev_i32_e32 v4, 31, v3
	s_add_u32 s24, s20, s2
	s_addc_u32 s25, s21, s3
	s_lshl_b32 s4, s14, 4
	v_lshlrev_b64 v[3:4], 2, v[3:4]
	v_add_co_u32 v1, vcc_lo, s34, v1
	v_add_co_ci_u32_e32 v2, vcc_lo, s35, v2, vcc_lo
	s_ashr_i32 s5, s4, 31
	s_delay_alu instid0(VALU_DEP_3) | instskip(NEXT) | instid1(VALU_DEP_4)
	v_add_co_u32 v3, vcc_lo, s34, v3
	v_add_co_ci_u32_e32 v4, vcc_lo, s35, v4, vcc_lo
	s_lshl_b64 s[4:5], s[4:5], 2
	s_clause 0x1
	global_load_b32 v5, v[1:2], off
	global_load_b32 v6, v[3:4], off
	s_add_u32 s4, s34, s4
	s_addc_u32 s5, s35, s5
	s_or_b32 s6, s31, 16
	v_lshlrev_b32_e32 v3, 4, v0
	s_ashr_i32 s7, s6, 4
	s_cmp_lt_i32 s6, s28
	s_cselect_b32 s6, s7, s16
	s_delay_alu instid0(SALU_CYCLE_1) | instskip(NEXT) | instid1(SALU_CYCLE_1)
	s_ashr_i32 s7, s6, 31
	s_lshl_b64 s[6:7], s[6:7], 2
	s_delay_alu instid0(SALU_CYCLE_1) | instskip(SKIP_2) | instid1(SALU_CYCLE_1)
	s_add_u32 s6, s34, s6
	s_addc_u32 s7, s35, s7
	s_or_b32 s8, s31, 32
	s_ashr_i32 s9, s8, 4
	s_cmp_lt_i32 s8, s28
	s_cselect_b32 s8, s9, s16
	s_delay_alu instid0(SALU_CYCLE_1) | instskip(NEXT) | instid1(SALU_CYCLE_1)
	s_ashr_i32 s9, s8, 31
	s_lshl_b64 s[8:9], s[8:9], 2
	s_delay_alu instid0(SALU_CYCLE_1) | instskip(SKIP_2) | instid1(SALU_CYCLE_1)
	s_add_u32 s8, s34, s8
	s_addc_u32 s9, s35, s9
	s_or_b32 s10, s31, 48
	;; [unrolled: 10-line block ×4, first 2 shown]
	s_ashr_i32 s13, s12, 4
	s_cmp_lt_i32 s12, s28
	s_cselect_b32 s12, s13, s16
	s_delay_alu instid0(SALU_CYCLE_1) | instskip(NEXT) | instid1(SALU_CYCLE_1)
	s_ashr_i32 s13, s12, 31
	s_lshl_b64 s[12:13], s[12:13], 2
	s_delay_alu instid0(SALU_CYCLE_1)
	s_add_u32 s20, s34, s12
	s_addc_u32 s21, s35, s13
	s_clause 0x5
	s_load_b32 s36, s[4:5], 0x0
	s_load_b32 s27, s[6:7], 0x0
	;; [unrolled: 1-line block ×6, first 2 shown]
	s_waitcnt vmcnt(1)
	v_mad_i64_i32 v[1:2], null, v5, s17, 0
	v_and_b32_e32 v5, 0xf0, v3
	s_waitcnt vmcnt(0)
	v_mad_i64_i32 v[3:4], null, v6, s17, 0
	s_delay_alu instid0(VALU_DEP_2) | instskip(NEXT) | instid1(VALU_DEP_4)
	v_add_co_u32 v5, s4, s24, v5
	v_lshlrev_b64 v[1:2], 1, v[1:2]
	v_add_co_ci_u32_e64 v6, null, s25, 0, s4
	s_delay_alu instid0(VALU_DEP_4) | instskip(SKIP_1) | instid1(VALU_DEP_3)
	v_lshlrev_b64 v[3:4], 1, v[3:4]
	s_or_b32 s4, s31, 0x60
	v_add_co_u32 v121, vcc_lo, v5, v1
	s_delay_alu instid0(VALU_DEP_3) | instskip(NEXT) | instid1(VALU_DEP_3)
	v_add_co_ci_u32_e32 v122, vcc_lo, v6, v2, vcc_lo
	v_add_co_u32 v123, vcc_lo, v5, v3
	s_delay_alu instid0(VALU_DEP_4)
	v_add_co_ci_u32_e32 v124, vcc_lo, v6, v4, vcc_lo
	s_clause 0x19
	global_load_b128 v[89:92], v[121:122], off
	global_load_b128 v[93:96], v[121:122], off offset:256
	global_load_b128 v[97:100], v[123:124], off
	global_load_b128 v[101:104], v[123:124], off offset:256
	global_load_b128 v[81:84], v[121:122], off offset:512
	;; [unrolled: 1-line block ×23, first 2 shown]
	s_ashr_i32 s5, s4, 4
	s_cmp_lt_i32 s4, s28
	v_cmp_gt_u32_e32 vcc_lo, 12, v140
	s_cselect_b32 s4, s5, s16
	s_delay_alu instid0(SALU_CYCLE_1) | instskip(NEXT) | instid1(SALU_CYCLE_1)
	s_ashr_i32 s5, s4, 31
	s_lshl_b64 s[4:5], s[4:5], 2
	v_cndmask_b32_e32 v105, v105, v140, vcc_lo
	s_add_u32 s18, s34, s4
	s_addc_u32 s19, s35, s5
	s_or_b32 s4, s31, 0x70
	s_delay_alu instid0(SALU_CYCLE_1)
	s_ashr_i32 s5, s4, 4
	s_cmp_lt_i32 s4, s28
	v_lshlrev_b32_e32 v215, 6, v105
	s_cselect_b32 s6, s5, s16
	ds_load_b128 v[105:108], v215
	ds_load_b128 v[109:112], v215 offset:1024
	s_ashr_i32 s7, s6, 31
	ds_load_b128 v[113:116], v215 offset:2048
	ds_load_b128 v[117:120], v215 offset:3072
	ds_load_b128 v[143:146], v215 offset:4096
	ds_load_b128 v[147:150], v215 offset:5120
	ds_load_b128 v[151:154], v215 offset:6144
	ds_load_b128 v[155:158], v215 offset:7168
	ds_load_b128 v[159:162], v215 offset:8192
	ds_load_b128 v[163:166], v215 offset:9216
	s_clause 0x1
	global_load_b128 v[167:170], v[123:124], off offset:3072
	global_load_b128 v[171:174], v[123:124], off offset:3328
	s_lshl_b64 s[6:7], s[6:7], 2
	s_mov_b32 s4, 0
	s_add_u32 s20, s34, s6
	s_addc_u32 s21, s35, s7
	s_clause 0x1
	s_load_b32 s42, s[18:19], 0x0
	s_load_b32 s43, s[20:21], 0x0
	s_clause 0x3
	global_load_b128 v[175:178], v[121:122], off offset:3584
	global_load_b128 v[179:182], v[121:122], off offset:3840
	;; [unrolled: 1-line block ×4, first 2 shown]
	s_or_b32 s7, s31, 0x80
	s_mov_b32 s5, s4
	s_ashr_i32 s8, s7, 4
	s_cmp_lt_i32 s7, s28
	s_mov_b32 s6, s4
	s_cselect_b32 s10, s8, s16
	s_mov_b32 s7, s4
	s_ashr_i32 s11, s10, 31
	s_mov_b32 s8, s4
	s_lshl_b64 s[24:25], s[10:11], 2
	s_mov_b32 s9, s4
	s_add_u32 s24, s34, s24
	s_addc_u32 s25, s35, s25
	s_or_b32 s11, s31, 0x90
	s_mov_b32 s10, s4
	s_ashr_i32 s37, s11, 4
	s_cmp_lt_i32 s11, s28
	s_mov_b32 s11, s4
	s_cselect_b32 s38, s37, s16
	v_mov_b32_e32 v136, s11
	s_ashr_i32 s39, s38, 31
	v_dual_mov_b32 v135, s10 :: v_dual_mov_b32 v134, s9
	v_dual_mov_b32 v133, s8 :: v_dual_mov_b32 v132, s7
	;; [unrolled: 1-line block ×3, first 2 shown]
	v_mov_b32_e32 v129, s4
	s_lshl_b64 s[4:5], s[38:39], 2
	s_waitcnt lgkmcnt(0)
	s_mul_hi_i32 s7, s27, s17
	s_add_u32 s38, s34, s4
	s_addc_u32 s39, s35, s5
	s_or_b32 s4, s31, 0xa0
	s_load_b32 s39, s[38:39], 0x0
	s_ashr_i32 s5, s4, 4
	s_cmp_lt_i32 s4, s28
	s_cselect_b32 s4, s5, s16
	s_delay_alu instid0(SALU_CYCLE_1) | instskip(NEXT) | instid1(SALU_CYCLE_1)
	s_ashr_i32 s5, s4, 31
	s_lshl_b64 s[4:5], s[4:5], 2
	s_delay_alu instid0(SALU_CYCLE_1)
	s_add_u32 s40, s34, s4
	s_addc_u32 s41, s35, s5
	s_or_b32 s4, s31, 0xb0
	s_mul_hi_i32 s5, s36, s17
	s_ashr_i32 s6, s4, 4
	s_cmp_lt_i32 s4, s28
	s_mul_i32 s4, s36, s17
	s_cselect_b32 s8, s6, s16
	s_mul_i32 s6, s27, s17
	s_ashr_i32 s9, s8, 31
	s_load_b32 s38, s[40:41], 0x0
	s_lshl_b64 s[10:11], s[8:9], 2
	s_mul_hi_i32 s9, s26, s17
	s_add_u32 s36, s34, s10
	s_addc_u32 s37, s35, s11
	s_or_b32 s10, s31, 0xc0
	s_mul_i32 s8, s26, s17
	s_ashr_i32 s26, s10, 4
	s_cmp_lt_i32 s10, s28
	s_mul_hi_i32 s11, s13, s17
	s_cselect_b32 s26, s26, s16
	s_mul_i32 s10, s13, s17
	s_ashr_i32 s27, s26, 31
	s_mul_hi_i32 s13, s12, s17
	s_lshl_b64 s[26:27], s[26:27], 2
	s_mul_i32 s12, s12, s17
	s_add_u32 s20, s34, s26
	s_addc_u32 s21, s35, s27
	s_or_b32 s18, s31, 0xd0
	s_load_b32 s26, s[24:25], 0x0
	s_ashr_i32 s19, s18, 4
	s_cmp_lt_i32 s18, s28
	s_mul_i32 s18, s15, s17
	s_cselect_b32 s24, s19, s16
	s_mul_hi_i32 s19, s15, s17
	s_ashr_i32 s25, s24, 31
	s_waitcnt lgkmcnt(0)
	s_mul_hi_i32 s41, s39, s17
	s_lshl_b64 s[24:25], s[24:25], 2
	s_delay_alu instid0(SALU_CYCLE_1)
	s_add_u32 s24, s34, s24
	s_addc_u32 s25, s35, s25
	s_or_b32 s40, s31, 0xe0
	s_clause 0x2
	s_load_b32 s37, s[36:37], 0x0
	s_load_b32 s36, s[20:21], 0x0
	;; [unrolled: 1-line block ×3, first 2 shown]
	s_ashr_i32 s44, s40, 4
	s_cmp_lt_i32 s40, s28
	s_mul_hi_i32 s21, s42, s17
	s_mul_i32 s20, s42, s17
	s_cselect_b32 s42, s44, s16
	s_mul_hi_i32 s25, s43, s17
	s_mul_i32 s24, s43, s17
	s_ashr_i32 s43, s42, 31
	s_mul_hi_i32 s27, s26, s17
	s_lshl_b64 s[42:43], s[42:43], 2
	s_mul_i32 s26, s26, s17
	s_add_u32 s42, s34, s42
	s_addc_u32 s43, s35, s43
	s_or_b32 s44, s31, 0xf0
	s_mul_i32 s40, s39, s17
	s_ashr_i32 s46, s44, 4
	s_cmp_lt_i32 s44, s28
	s_mul_hi_i32 s39, s38, s17
	s_cselect_b32 s46, s46, s16
	s_waitcnt lgkmcnt(0)
	s_mul_hi_i32 s49, s15, s17
	s_ashr_i32 s47, s46, 31
	s_mul_i32 s48, s15, s17
	s_lshl_b64 s[46:47], s[46:47], 2
	s_mul_i32 s38, s38, s17
	s_add_u32 s34, s34, s46
	s_addc_u32 s35, s35, s47
	s_add_u32 s15, s22, s2
	s_addc_u32 s16, s23, s3
	v_add_co_u32 v216, s15, s15, v125
	s_delay_alu instid0(VALU_DEP_1) | instskip(SKIP_2) | instid1(VALU_DEP_2)
	v_add_co_ci_u32_e64 v217, null, s16, 0, s15
	s_lshl_b64 s[2:3], s[4:5], 1
	s_lshl_b64 s[4:5], s[6:7], 1
	v_add_co_u32 v125, vcc_lo, v216, s2
	s_delay_alu instid0(VALU_DEP_2)
	v_add_co_ci_u32_e32 v126, vcc_lo, s3, v217, vcc_lo
	v_add_co_u32 v199, vcc_lo, v216, s4
	s_lshl_b64 s[6:7], s[8:9], 1
	v_add_co_ci_u32_e32 v200, vcc_lo, s5, v217, vcc_lo
	s_lshl_b64 s[8:9], s[10:11], 1
	s_lshl_b64 s[10:11], s[12:13], 1
	;; [unrolled: 1-line block ×8, first 2 shown]
	s_mul_hi_i32 s45, s37, s17
	s_mul_i32 s44, s37, s17
	s_mul_hi_i32 s37, s36, s17
	s_lshl_b64 s[38:39], s[44:45], 1
	s_mul_i32 s36, s36, s17
	s_clause 0x1
	s_load_b32 s15, s[42:43], 0x0
	s_load_b32 s16, s[34:35], 0x0
	s_lshl_b64 s[36:37], s[36:37], 1
	s_lshl_b64 s[40:41], s[48:49], 1
	s_waitcnt lgkmcnt(0)
	s_mul_hi_i32 s3, s15, s17
	s_mul_i32 s2, s15, s17
	s_mul_hi_i32 s5, s16, s17
	s_lshl_b64 s[2:3], s[2:3], 1
	s_mul_i32 s4, s16, s17
	s_waitcnt vmcnt(30)
	v_wmma_f32_16x16x16_bf16 v[191:198], v[89:96], v[105:112], v[129:136]
	v_add_co_u32 v89, vcc_lo, v216, s6
	v_add_co_ci_u32_e32 v90, vcc_lo, s7, v217, vcc_lo
	v_add_co_u32 v91, vcc_lo, v216, s8
	v_add_co_ci_u32_e32 v92, vcc_lo, s9, v217, vcc_lo
	;; [unrolled: 2-line block ×5, first 2 shown]
	v_add_co_u32 v205, vcc_lo, v216, s20
	s_waitcnt vmcnt(28)
	v_wmma_f32_16x16x16_bf16 v[129:136], v[97:104], v[105:112], v[129:136]
	v_add_co_ci_u32_e32 v206, vcc_lo, s21, v217, vcc_lo
	v_add_co_u32 v207, vcc_lo, v216, s22
	v_add_co_ci_u32_e32 v208, vcc_lo, s23, v217, vcc_lo
	v_add_co_u32 v209, vcc_lo, v216, s24
	s_waitcnt vmcnt(26)
	v_wmma_f32_16x16x16_bf16 v[191:198], v[81:88], v[113:120], v[191:198]
	s_waitcnt vmcnt(24)
	v_wmma_f32_16x16x16_bf16 v[129:136], v[73:80], v[113:120], v[129:136]
	v_add_co_ci_u32_e32 v210, vcc_lo, s25, v217, vcc_lo
	v_add_co_u32 v211, vcc_lo, v216, s26
	v_add_co_ci_u32_e32 v212, vcc_lo, s27, v217, vcc_lo
	v_add_co_u32 v213, vcc_lo, v216, s38
	s_waitcnt vmcnt(22)
	v_wmma_f32_16x16x16_bf16 v[191:198], v[65:72], v[143:150], v[191:198]
	s_waitcnt vmcnt(20)
	v_wmma_f32_16x16x16_bf16 v[129:136], v[57:64], v[143:150], v[129:136]
	v_add_co_ci_u32_e32 v214, vcc_lo, s39, v217, vcc_lo
	v_add_co_u32 v143, vcc_lo, v216, s36
	s_waitcnt vmcnt(18)
	v_wmma_f32_16x16x16_bf16 v[191:198], v[49:56], v[151:158], v[191:198]
	s_waitcnt vmcnt(16)
	v_wmma_f32_16x16x16_bf16 v[129:136], v[41:48], v[151:158], v[129:136]
	v_add_co_ci_u32_e32 v144, vcc_lo, s37, v217, vcc_lo
	s_clause 0x15
	global_load_b128 v[121:124], v[125:126], off
	global_load_b128 v[125:128], v[125:126], off offset:16
	global_load_b128 v[113:116], v[199:200], off
	global_load_b128 v[117:120], v[199:200], off offset:16
	;; [unrolled: 2-line block ×11, first 2 shown]
	s_waitcnt vmcnt(36)
	v_wmma_f32_16x16x16_bf16 v[191:198], v[17:24], v[159:166], v[191:198]
	s_clause 0x1
	global_load_b128 v[17:20], v[213:214], off
	global_load_b128 v[21:24], v[213:214], off offset:16
	s_waitcnt vmcnt(36)
	v_wmma_f32_16x16x16_bf16 v[129:136], v[1:8], v[159:166], v[129:136]
	s_clause 0x1
	global_load_b128 v[1:4], v[143:144], off
	global_load_b128 v[5:8], v[143:144], off offset:16
	ds_load_b128 v[143:146], v215 offset:10240
	ds_load_b128 v[147:150], v215 offset:11264
	ds_load_b128 v[151:154], v215 offset:12288
	ds_load_b128 v[155:158], v215 offset:13312
	v_add_co_u32 v199, vcc_lo, v216, s40
	v_add_co_ci_u32_e32 v200, vcc_lo, s41, v217, vcc_lo
	v_add_co_u32 v159, vcc_lo, v216, s2
	v_add_co_ci_u32_e32 v160, vcc_lo, s3, v217, vcc_lo
	s_lshl_b64 s[2:3], s[4:5], 1
	s_delay_alu instid0(SALU_CYCLE_1)
	v_add_co_u32 v161, vcc_lo, v216, s2
	v_add_co_ci_u32_e32 v162, vcc_lo, s3, v217, vcc_lo
	s_waitcnt vmcnt(36) lgkmcnt(2)
	v_wmma_f32_16x16x16_bf16 v[191:198], v[25:32], v[143:150], v[191:198]
	s_waitcnt vmcnt(34)
	v_wmma_f32_16x16x16_bf16 v[129:136], v[33:40], v[143:150], v[129:136]
	s_clause 0x3
	global_load_b128 v[25:28], v[199:200], off
	global_load_b128 v[29:32], v[199:200], off offset:16
	global_load_b128 v[33:36], v[159:160], off
	global_load_b128 v[37:40], v[159:160], off offset:16
	v_and_b32_e32 v143, 0xe0, v0
	v_mbcnt_lo_u32_b32 v159, -1, 0
	s_waitcnt vmcnt(36) lgkmcnt(0)
	v_wmma_f32_16x16x16_bf16 v[191:198], v[9:16], v[151:158], v[191:198]
	s_clause 0x1
	global_load_b128 v[9:12], v[161:162], off
	global_load_b128 v[13:16], v[161:162], off offset:16
	s_waitcnt vmcnt(36)
	v_wmma_f32_16x16x16_bf16 v[129:136], v[167:174], v[151:158], v[129:136]
	v_add_nc_u32_e32 v160, s31, v143
	ds_load_b128 v[143:146], v215 offset:14336
	ds_load_b128 v[147:150], v215 offset:15360
	v_xor_b32_e32 v151, 16, v159
	s_waitcnt vmcnt(0) lgkmcnt(0)
	s_barrier
	v_or_b32_e32 v152, v160, v138
	buffer_gl0_inv
	v_cmp_gt_i32_e32 vcc_lo, 32, v151
	v_or_b32_e32 v153, 2, v152
	v_or_b32_e32 v154, 4, v152
	;; [unrolled: 1-line block ×5, first 2 shown]
	v_cmp_gt_i32_e64 s2, s28, v153
	v_cmp_gt_i32_e64 s3, s28, v154
	;; [unrolled: 1-line block ×3, first 2 shown]
	v_or_b32_e32 v158, 12, v152
	v_cmp_gt_i32_e64 s5, s28, v156
	v_cmp_gt_i32_e64 s6, s28, v157
	v_wmma_f32_16x16x16_bf16 v[191:198], v[175:182], v[143:150], v[191:198]
	v_wmma_f32_16x16x16_bf16 v[129:136], v[183:190], v[143:150], v[129:136]
	v_cndmask_b32_e32 v151, v159, v151, vcc_lo
	v_cmp_gt_i32_e32 vcc_lo, s28, v152
	v_or_b32_e32 v159, 14, v152
	v_dual_mul_f32 v149, s33, v192 :: v_dual_mul_f32 v150, s33, v191
	v_dual_mul_f32 v147, s33, v194 :: v_dual_mul_f32 v148, s33, v193
	v_mul_f32_e32 v145, s33, v196
	s_delay_alu instid0(VALU_DEP_3) | instskip(NEXT) | instid1(VALU_DEP_4)
	v_cndmask_b32_e64 v149, 0xff7fffff, v149, s2
	v_cndmask_b32_e32 v150, 0xff7fffff, v150, vcc_lo
	v_mul_f32_e32 v146, s33, v195
	v_cndmask_b32_e64 v148, 0xff7fffff, v148, s3
	v_cndmask_b32_e64 v147, 0xff7fffff, v147, s4
	v_or_b32_e32 v160, 16, v152
	v_max3_f32 v149, v150, 0xff7fffff, v149
	v_or_b32_e32 v161, 18, v152
	v_dual_mul_f32 v143, s33, v198 :: v_dual_mul_f32 v144, s33, v197
	v_cndmask_b32_e64 v146, 0xff7fffff, v146, s5
	v_cndmask_b32_e64 v145, 0xff7fffff, v145, s6
	v_max3_f32 v147, v149, v148, v147
	v_cmp_gt_i32_e64 s7, s28, v158
	v_cmp_gt_i32_e64 s8, s28, v159
	v_or_b32_e32 v162, 20, v152
	v_or_b32_e32 v163, 22, v152
	v_dual_mul_f32 v174, s33, v130 :: v_dual_mul_f32 v175, s33, v129
	v_cndmask_b32_e64 v144, 0xff7fffff, v144, s7
	v_cndmask_b32_e64 v143, 0xff7fffff, v143, s8
	v_max3_f32 v145, v147, v146, v145
	v_cmp_gt_i32_e64 s9, s28, v160
	v_cmp_gt_i32_e64 s10, s28, v161
	v_or_b32_e32 v164, 24, v152
	;; [unrolled: 8-line block ×3, first 2 shown]
	v_or_b32_e32 v167, 30, v152
	v_dual_mul_f32 v170, s33, v134 :: v_dual_mul_f32 v171, s33, v133
	v_cndmask_b32_e64 v144, 0xff7fffff, v173, s11
	v_cndmask_b32_e64 v145, 0xff7fffff, v172, s12
	v_max3_f32 v143, v143, v146, v147
	v_cmp_gt_i32_e64 s13, s28, v164
	v_cmp_gt_i32_e64 s15, s28, v165
	v_dual_mul_f32 v168, s33, v136 :: v_dual_mul_f32 v169, s33, v135
	s_delay_alu instid0(VALU_DEP_4) | instskip(NEXT) | instid1(VALU_DEP_4)
	v_max3_f32 v143, v143, v144, v145
	v_cndmask_b32_e64 v146, 0xff7fffff, v171, s13
	s_delay_alu instid0(VALU_DEP_4) | instskip(SKIP_3) | instid1(VALU_DEP_4)
	v_cndmask_b32_e64 v147, 0xff7fffff, v170, s15
	v_cmp_gt_i32_e64 s16, s28, v166
	v_cmp_gt_i32_e64 s17, s28, v167
	v_lshlrev_b32_e32 v154, 2, v151
	v_max3_f32 v143, v143, v146, v147
	s_delay_alu instid0(VALU_DEP_4) | instskip(NEXT) | instid1(VALU_DEP_4)
	v_cndmask_b32_e64 v144, 0xff7fffff, v169, s16
	v_cndmask_b32_e64 v145, 0xff7fffff, v168, s17
	s_delay_alu instid0(VALU_DEP_1) | instskip(SKIP_3) | instid1(VALU_DEP_1)
	v_max3_f32 v143, v143, v144, v145
	ds_bpermute_b32 v144, v154, v143
	s_waitcnt lgkmcnt(0)
	v_max_f32_e32 v144, v144, v144
	v_max_f32_e32 v153, v143, v144
	s_delay_alu instid0(VALU_DEP_1) | instskip(SKIP_4) | instid1(VALU_DEP_4)
	v_fma_f32 v143, s33, v191, -v153
	v_fma_f32 v144, s33, v192, -v153
	v_fma_f32 v132, s33, v132, -v153
	v_fma_f32 v145, s33, v193, -v153
	v_fma_f32 v146, s33, v194, -v153
	v_dual_mul_f32 v143, 0x3fb8aa3b, v143 :: v_dual_mul_f32 v144, 0x3fb8aa3b, v144
	s_delay_alu instid0(VALU_DEP_4) | instskip(SKIP_2) | instid1(VALU_DEP_4)
	v_mul_f32_e32 v132, 0x3fb8aa3b, v132
	v_fma_f32 v134, s33, v134, -v153
	v_mul_f32_e32 v145, 0x3fb8aa3b, v145
	v_exp_f32_e32 v143, v143
	v_exp_f32_e32 v147, v144
	v_fma_f32 v148, s33, v195, -v153
	v_mul_f32_e32 v134, 0x3fb8aa3b, v134
	v_mul_f32_e32 v146, 0x3fb8aa3b, v146
	v_exp_f32_e32 v145, v145
	v_fma_f32 v151, s33, v197, -v153
	v_mul_f32_e32 v148, 0x3fb8aa3b, v148
	v_fma_f32 v129, s33, v129, -v153
	v_exp_f32_e32 v149, v146
	v_cndmask_b32_e32 v144, 0, v143, vcc_lo
	v_fma_f32 v143, s33, v196, -v153
	v_cndmask_b32_e64 v146, 0, v147, s2
	v_exp_f32_e32 v148, v148
	s_delay_alu instid0(VALU_DEP_3) | instskip(NEXT) | instid1(VALU_DEP_3)
	v_dual_mul_f32 v151, 0x3fb8aa3b, v151 :: v_dual_add_f32 v150, 0, v144
	v_mul_f32_e32 v143, 0x3fb8aa3b, v143
	v_cndmask_b32_e64 v147, 0, v145, s3
	v_fma_f32 v130, s33, v130, -v153
	s_delay_alu instid0(TRANS32_DEP_2)
	v_cndmask_b32_e64 v149, 0, v149, s4
	v_add_f32_e32 v145, v150, v146
	v_fma_f32 v150, s33, v198, -v153
	v_exp_f32_e32 v143, v143
	v_exp_f32_e32 v155, v151
	v_mul_f32_e32 v129, 0x3fb8aa3b, v129
	s_delay_alu instid0(VALU_DEP_2) | instskip(SKIP_2) | instid1(VALU_DEP_3)
	v_dual_add_f32 v145, v145, v147 :: v_dual_mul_f32 v152, 0x3fb8aa3b, v150
	v_cndmask_b32_e64 v150, 0, v148, s5
	v_fma_f32 v131, s33, v131, -v153
	v_dual_mul_f32 v130, 0x3fb8aa3b, v130 :: v_dual_add_f32 v145, v145, v149
	s_delay_alu instid0(VALU_DEP_4) | instskip(NEXT) | instid1(TRANS32_DEP_3)
	v_exp_f32_e32 v152, v152
	v_cndmask_b32_e64 v151, 0, v143, s6
	v_exp_f32_e32 v129, v129
	s_delay_alu instid0(TRANS32_DEP_3)
	v_cndmask_b32_e64 v148, 0, v155, s7
	v_add_f32_e32 v143, v145, v150
	v_mul_f32_e32 v131, 0x3fb8aa3b, v131
	v_exp_f32_e32 v130, v130
	v_fma_f32 v133, s33, v133, -v153
	v_fma_f32 v136, s33, v136, -v153
	v_add_f32_e32 v143, v143, v151
	v_cndmask_b32_e64 v152, 0, v152, s8
	v_exp_f32_e32 v145, v131
	v_cndmask_b32_e64 v131, 0, v129, s9
	v_mul_f32_e32 v133, 0x3fb8aa3b, v133
	v_add_f32_e32 v143, v143, v148
	s_mov_b32 s2, exec_lo
	s_delay_alu instid0(VALU_DEP_1)
	v_add_f32_e32 v129, v143, v152
	v_exp_f32_e32 v143, v132
	v_cndmask_b32_e64 v132, 0, v130, s10
	v_fma_f32 v130, s33, v135, -v153
	v_exp_f32_e32 v135, v133
	v_add_f32_e32 v129, v129, v131
	v_cndmask_b32_e64 v133, 0, v145, s11
	v_exp_f32_e32 v145, v134
	s_delay_alu instid0(VALU_DEP_2) | instskip(NEXT) | instid1(TRANS32_DEP_3)
	v_dual_mul_f32 v130, 0x3fb8aa3b, v130 :: v_dual_add_f32 v129, v129, v132
	v_cndmask_b32_e64 v134, 0, v143, s12
	v_mul_f32_e32 v143, 0x3fb8aa3b, v136
	s_delay_alu instid0(VALU_DEP_3) | instskip(NEXT) | instid1(TRANS32_DEP_3)
	v_exp_f32_e32 v130, v130
	v_cndmask_b32_e64 v135, 0, v135, s13
	v_add_f32_e32 v129, v129, v133
	s_delay_alu instid0(TRANS32_DEP_2) | instskip(SKIP_1) | instid1(VALU_DEP_2)
	v_cndmask_b32_e64 v136, 0, v145, s15
	v_exp_f32_e32 v145, v143
	v_add_f32_e32 v129, v129, v134
	s_waitcnt_depctr 0xfff
	v_cndmask_b32_e64 v143, 0, v130, s16
	v_add_f32_e32 v129, v129, v135
	v_cndmask_b32_e64 v145, 0, v145, s17
	s_delay_alu instid0(VALU_DEP_2) | instskip(NEXT) | instid1(VALU_DEP_1)
	v_add_f32_e32 v129, v129, v136
	v_add_f32_e32 v129, v129, v143
	s_delay_alu instid0(VALU_DEP_1)
	v_add_f32_e32 v129, v129, v145
	ds_bpermute_b32 v130, v154, v129
	v_cmpx_gt_u32_e32 16, v142
	s_cbranch_execz .LBB625_12
; %bb.11:
	v_mul_u32_u24_e32 v142, 0x44, v141
	s_waitcnt lgkmcnt(0)
	v_add_f32_e32 v129, v129, v130
	s_delay_alu instid0(VALU_DEP_2) | instskip(NEXT) | instid1(VALU_DEP_1)
	v_lshl_add_u32 v142, v140, 2, v142
	v_add_nc_u32_e32 v130, 0x4000, v142
	ds_store_2addr_b32 v130, v153, v129 offset1:136
.LBB625_12:
	s_or_b32 exec_lo, exec_lo, s2
	v_lshlrev_b32_e32 v129, 2, v140
	s_waitcnt lgkmcnt(0)
	s_barrier
	buffer_gl0_inv
	v_cmp_eq_u32_e64 s2, 1, v141
	v_add_nc_u32_e32 v142, 0x4000, v129
	ds_load_2addr_b32 v[153:154], v142 offset1:17
	ds_load_2addr_b32 v[155:156], v142 offset0:34 offset1:51
	ds_load_2addr_b32 v[157:158], v142 offset0:68 offset1:85
	;; [unrolled: 1-line block ×4, first 2 shown]
	s_waitcnt lgkmcnt(4)
	v_max3_f32 v129, v153, 0xff7fffff, v154
	s_waitcnt lgkmcnt(3)
	s_delay_alu instid0(VALU_DEP_1) | instskip(SKIP_1) | instid1(VALU_DEP_1)
	v_max3_f32 v129, v129, v155, v156
	s_waitcnt lgkmcnt(2)
	v_max3_f32 v129, v129, v157, v158
	s_waitcnt lgkmcnt(1)
	s_delay_alu instid0(VALU_DEP_1) | instskip(NEXT) | instid1(VALU_DEP_1)
	v_max3_f32 v129, v129, v159, v160
	v_sub_f32_e32 v163, v154, v129
	v_sub_f32_e32 v130, v153, v129
	ds_load_2addr_b32 v[153:154], v142 offset0:170 offset1:187
	v_sub_f32_e32 v155, v155, v129
	v_dual_mul_f32 v163, 0x3fb8aa3b, v163 :: v_dual_mul_f32 v130, 0x3fb8aa3b, v130
	s_delay_alu instid0(VALU_DEP_2) | instskip(NEXT) | instid1(VALU_DEP_2)
	v_mul_f32_e32 v165, 0x3fb8aa3b, v155
	v_exp_f32_e32 v163, v163
	s_delay_alu instid0(VALU_DEP_2)
	v_exp_f32_e32 v164, v130
	v_sub_f32_e32 v130, v156, v129
	ds_load_2addr_b32 v[155:156], v142 offset0:204 offset1:221
	v_exp_f32_e32 v165, v165
	v_mul_f32_e32 v166, 0x3fb8aa3b, v130
	s_waitcnt lgkmcnt(2)
	v_fma_f32 v130, v164, v161, 0
	v_sub_f32_e32 v157, v157, v129
	s_delay_alu instid0(VALU_DEP_3) | instskip(NEXT) | instid1(VALU_DEP_2)
	v_exp_f32_e32 v166, v166
	v_dual_sub_f32 v161, v158, v129 :: v_dual_fmac_f32 v130, v163, v162
	s_waitcnt lgkmcnt(1)
	s_waitcnt_depctr 0xfff
	v_fmac_f32_e32 v130, v165, v153
	v_mul_f32_e32 v167, 0x3fb8aa3b, v157
	ds_load_2addr_b32 v[157:158], v142 offset0:238 offset1:255
	v_sub_f32_e32 v142, v159, v129
	v_dual_sub_f32 v153, v160, v129 :: v_dual_fmac_f32 v130, v166, v154
	v_mul_f32_e32 v159, 0x3fb8aa3b, v161
	v_exp_f32_e32 v161, v167
	s_delay_alu instid0(VALU_DEP_2)
	v_dual_mul_f32 v142, 0x3fb8aa3b, v142 :: v_dual_mul_f32 v153, 0x3fb8aa3b, v153
	s_waitcnt lgkmcnt(0)
	s_barrier
	buffer_gl0_inv
	v_exp_f32_e32 v142, v142
	v_exp_f32_e32 v153, v153
	v_fmac_f32_e32 v130, v161, v155
	v_exp_f32_e32 v159, v159
	s_waitcnt_depctr 0xfff
	v_fmac_f32_e32 v130, v159, v156
	s_delay_alu instid0(VALU_DEP_1) | instskip(NEXT) | instid1(VALU_DEP_1)
	v_fmac_f32_e32 v130, v142, v157
	v_fmac_f32_e32 v130, v153, v158
	s_delay_alu instid0(VALU_DEP_1) | instskip(NEXT) | instid1(VALU_DEP_1)
	v_add_f32_e32 v154, 0x358637bd, v130
	v_div_scale_f32 v155, null, v154, v154, 1.0
	v_div_scale_f32 v158, vcc_lo, 1.0, v154, 1.0
	s_delay_alu instid0(VALU_DEP_2) | instskip(SKIP_2) | instid1(VALU_DEP_1)
	v_rcp_f32_e32 v156, v155
	s_waitcnt_depctr 0xfff
	v_fma_f32 v157, -v155, v156, 1.0
	v_fmac_f32_e32 v156, v157, v156
	v_cndmask_b32_e64 v157, v164, v163, s2
	v_cmp_eq_u32_e64 s2, 2, v141
	s_delay_alu instid0(VALU_DEP_3) | instskip(NEXT) | instid1(VALU_DEP_2)
	v_mul_f32_e32 v160, v158, v156
	v_cndmask_b32_e64 v157, v157, v165, s2
	v_cmp_eq_u32_e64 s2, 3, v141
	s_delay_alu instid0(VALU_DEP_3) | instskip(NEXT) | instid1(VALU_DEP_2)
	v_fma_f32 v162, -v155, v160, v158
	v_cndmask_b32_e64 v157, v157, v166, s2
	v_cmp_eq_u32_e64 s2, 4, v141
	s_delay_alu instid0(VALU_DEP_3) | instskip(NEXT) | instid1(VALU_DEP_2)
	v_fmac_f32_e32 v160, v162, v156
	v_cndmask_b32_e64 v157, v157, v161, s2
	s_delay_alu instid0(VALU_DEP_2) | instskip(SKIP_1) | instid1(VALU_DEP_2)
	v_fma_f32 v155, -v155, v160, v158
	v_cmp_eq_u32_e64 s2, 5, v141
	v_div_fmas_f32 v155, v155, v156, v160
	s_delay_alu instid0(VALU_DEP_2) | instskip(SKIP_2) | instid1(VALU_DEP_3)
	v_cndmask_b32_e64 v157, v157, v159, s2
	v_cmp_eq_u32_e32 vcc_lo, 6, v141
	s_mov_b32 s2, exec_lo
	v_div_fixup_f32 v154, v155, v154, 1.0
	s_delay_alu instid0(VALU_DEP_3) | instskip(SKIP_1) | instid1(VALU_DEP_2)
	v_cndmask_b32_e32 v142, v157, v142, vcc_lo
	v_cmp_eq_u32_e32 vcc_lo, 7, v141
	v_cndmask_b32_e32 v142, v142, v153, vcc_lo
	s_delay_alu instid0(VALU_DEP_1) | instskip(NEXT) | instid1(VALU_DEP_1)
	v_mul_f32_e32 v142, v142, v154
	v_mul_f32_e32 v153, v142, v149
	;; [unrolled: 1-line block ×7, first 2 shown]
	v_dual_mul_f32 v150, v142, v147 :: v_dual_and_b32 v155, 0x7f800000, v154
	v_mul_f32_e32 v149, v142, v146
                                        ; implicit-def: $vgpr146
	s_delay_alu instid0(VALU_DEP_2)
	v_cmpx_ne_u32_e32 0x7f800000, v155
	s_xor_b32 s2, exec_lo, s2
; %bb.13:
	v_bfe_u32 v146, v154, 16, 1
	s_delay_alu instid0(VALU_DEP_1)
	v_add3_u32 v146, v154, v146, 0x7fff
                                        ; implicit-def: $vgpr154
; %bb.14:
	s_and_not1_saveexec_b32 s2, s2
; %bb.15:
	v_and_b32_e32 v146, 0xffff, v154
	v_or_b32_e32 v147, 0x10000, v154
	s_delay_alu instid0(VALU_DEP_2) | instskip(NEXT) | instid1(VALU_DEP_2)
	v_cmp_eq_u32_e32 vcc_lo, 0, v146
	v_cndmask_b32_e32 v146, v147, v154, vcc_lo
; %bb.16:
	s_or_b32 exec_lo, exec_lo, s2
	v_and_b32_e32 v147, 0x7f800000, v149
	s_delay_alu instid0(VALU_DEP_1) | instskip(SKIP_1) | instid1(SALU_CYCLE_1)
	v_cmp_ne_u32_e32 vcc_lo, 0x7f800000, v147
                                        ; implicit-def: $vgpr147
	s_and_saveexec_b32 s2, vcc_lo
	s_xor_b32 s2, exec_lo, s2
; %bb.17:
	v_bfe_u32 v147, v149, 16, 1
	s_delay_alu instid0(VALU_DEP_1)
	v_add3_u32 v147, v149, v147, 0x7fff
                                        ; implicit-def: $vgpr149
; %bb.18:
	s_and_not1_saveexec_b32 s2, s2
; %bb.19:
	v_and_b32_e32 v147, 0xffff, v149
	v_or_b32_e32 v154, 0x10000, v149
	s_delay_alu instid0(VALU_DEP_2) | instskip(NEXT) | instid1(VALU_DEP_2)
	v_cmp_eq_u32_e32 vcc_lo, 0, v147
	v_cndmask_b32_e32 v147, v154, v149, vcc_lo
; %bb.20:
	s_or_b32 exec_lo, exec_lo, s2
	v_and_b32_e32 v149, 0x7f800000, v150
	s_delay_alu instid0(VALU_DEP_1) | instskip(SKIP_1) | instid1(SALU_CYCLE_1)
	v_cmp_ne_u32_e32 vcc_lo, 0x7f800000, v149
                                        ; implicit-def: $vgpr149
	s_and_saveexec_b32 s2, vcc_lo
	s_xor_b32 s2, exec_lo, s2
; %bb.21:
	v_bfe_u32 v149, v150, 16, 1
	s_delay_alu instid0(VALU_DEP_1)
	v_add3_u32 v149, v150, v149, 0x7fff
                                        ; implicit-def: $vgpr150
; %bb.22:
	s_and_not1_saveexec_b32 s2, s2
; %bb.23:
	v_and_b32_e32 v149, 0xffff, v150
	v_or_b32_e32 v154, 0x10000, v150
	s_delay_alu instid0(VALU_DEP_2) | instskip(NEXT) | instid1(VALU_DEP_2)
	v_cmp_eq_u32_e32 vcc_lo, 0, v149
	v_cndmask_b32_e32 v149, v154, v150, vcc_lo
; %bb.24:
	s_or_b32 exec_lo, exec_lo, s2
	v_and_b32_e32 v150, 0x7f800000, v153
	s_delay_alu instid0(VALU_DEP_1) | instskip(SKIP_1) | instid1(SALU_CYCLE_1)
	v_cmp_ne_u32_e32 vcc_lo, 0x7f800000, v150
                                        ; implicit-def: $vgpr150
	s_and_saveexec_b32 s2, vcc_lo
	s_xor_b32 s2, exec_lo, s2
; %bb.25:
	v_bfe_u32 v150, v153, 16, 1
	s_delay_alu instid0(VALU_DEP_1)
	v_add3_u32 v150, v153, v150, 0x7fff
                                        ; implicit-def: $vgpr153
; %bb.26:
	s_and_not1_saveexec_b32 s2, s2
; %bb.27:
	v_and_b32_e32 v150, 0xffff, v153
	v_or_b32_e32 v154, 0x10000, v153
	s_delay_alu instid0(VALU_DEP_2) | instskip(NEXT) | instid1(VALU_DEP_2)
	v_cmp_eq_u32_e32 vcc_lo, 0, v150
	v_cndmask_b32_e32 v150, v154, v153, vcc_lo
; %bb.28:
	s_or_b32 exec_lo, exec_lo, s2
	v_and_b32_e32 v153, 0x7f800000, v152
	s_delay_alu instid0(VALU_DEP_1) | instskip(SKIP_1) | instid1(SALU_CYCLE_1)
	v_cmp_ne_u32_e32 vcc_lo, 0x7f800000, v153
                                        ; implicit-def: $vgpr153
	s_and_saveexec_b32 s2, vcc_lo
	s_xor_b32 s2, exec_lo, s2
; %bb.29:
	v_bfe_u32 v153, v152, 16, 1
	s_delay_alu instid0(VALU_DEP_1)
	v_add3_u32 v153, v152, v153, 0x7fff
                                        ; implicit-def: $vgpr152
; %bb.30:
	s_and_not1_saveexec_b32 s2, s2
; %bb.31:
	v_and_b32_e32 v153, 0xffff, v152
	v_or_b32_e32 v154, 0x10000, v152
	s_delay_alu instid0(VALU_DEP_2) | instskip(NEXT) | instid1(VALU_DEP_2)
	v_cmp_eq_u32_e32 vcc_lo, 0, v153
	v_cndmask_b32_e32 v153, v154, v152, vcc_lo
; %bb.32:
	s_or_b32 exec_lo, exec_lo, s2
	v_and_b32_e32 v152, 0x7f800000, v151
	s_delay_alu instid0(VALU_DEP_1) | instskip(SKIP_1) | instid1(SALU_CYCLE_1)
	v_cmp_ne_u32_e32 vcc_lo, 0x7f800000, v152
                                        ; implicit-def: $vgpr152
	s_and_saveexec_b32 s2, vcc_lo
	s_xor_b32 s2, exec_lo, s2
; %bb.33:
	v_bfe_u32 v152, v151, 16, 1
	s_delay_alu instid0(VALU_DEP_1)
	v_add3_u32 v152, v151, v152, 0x7fff
                                        ; implicit-def: $vgpr151
; %bb.34:
	s_and_not1_saveexec_b32 s2, s2
; %bb.35:
	v_and_b32_e32 v152, 0xffff, v151
	v_or_b32_e32 v154, 0x10000, v151
	s_delay_alu instid0(VALU_DEP_2) | instskip(NEXT) | instid1(VALU_DEP_2)
	v_cmp_eq_u32_e32 vcc_lo, 0, v152
	v_cndmask_b32_e32 v152, v154, v151, vcc_lo
; %bb.36:
	s_or_b32 exec_lo, exec_lo, s2
	v_and_b32_e32 v151, 0x7f800000, v148
	s_delay_alu instid0(VALU_DEP_1) | instskip(SKIP_1) | instid1(SALU_CYCLE_1)
	v_cmp_ne_u32_e32 vcc_lo, 0x7f800000, v151
                                        ; implicit-def: $vgpr151
	s_and_saveexec_b32 s2, vcc_lo
	s_xor_b32 s2, exec_lo, s2
; %bb.37:
	v_bfe_u32 v151, v148, 16, 1
	s_delay_alu instid0(VALU_DEP_1)
	v_add3_u32 v151, v148, v151, 0x7fff
                                        ; implicit-def: $vgpr148
; %bb.38:
	s_and_not1_saveexec_b32 s2, s2
; %bb.39:
	v_and_b32_e32 v151, 0xffff, v148
	v_or_b32_e32 v154, 0x10000, v148
	s_delay_alu instid0(VALU_DEP_2) | instskip(NEXT) | instid1(VALU_DEP_2)
	v_cmp_eq_u32_e32 vcc_lo, 0, v151
	v_cndmask_b32_e32 v151, v154, v148, vcc_lo
; %bb.40:
	s_or_b32 exec_lo, exec_lo, s2
	v_and_b32_e32 v148, 0x7f800000, v144
	s_delay_alu instid0(VALU_DEP_1) | instskip(SKIP_1) | instid1(SALU_CYCLE_1)
	v_cmp_ne_u32_e32 vcc_lo, 0x7f800000, v148
                                        ; implicit-def: $vgpr148
	s_and_saveexec_b32 s2, vcc_lo
	s_xor_b32 s2, exec_lo, s2
; %bb.41:
	v_bfe_u32 v148, v144, 16, 1
	s_delay_alu instid0(VALU_DEP_1)
	v_add3_u32 v148, v144, v148, 0x7fff
                                        ; implicit-def: $vgpr144
; %bb.42:
	s_and_not1_saveexec_b32 s2, s2
; %bb.43:
	v_and_b32_e32 v148, 0xffff, v144
	v_or_b32_e32 v154, 0x10000, v144
	s_delay_alu instid0(VALU_DEP_2) | instskip(NEXT) | instid1(VALU_DEP_2)
	v_cmp_eq_u32_e32 vcc_lo, 0, v148
	v_cndmask_b32_e32 v148, v154, v144, vcc_lo
; %bb.44:
	s_or_b32 exec_lo, exec_lo, s2
	s_load_b64 s[34:35], s[0:1], 0x94
	v_lshlrev_b32_e32 v155, 4, v138
	s_delay_alu instid0(VALU_DEP_2)
	v_perm_b32 v154, v148, v151, 0x7060302
	v_mul_f32_e32 v148, v142, v131
	v_dual_mul_f32 v145, v142, v145 :: v_dual_lshlrev_b32 v144, 6, v140
	v_dual_mul_f32 v143, v142, v143 :: v_dual_lshlrev_b32 v156, 11, v141
	v_perm_b32 v153, v152, v153, 0x7060302
	v_perm_b32 v152, v150, v149, 0x7060302
	v_perm_b32 v151, v147, v146, 0x7060302
	s_delay_alu instid0(VALU_DEP_4)
	v_or3_b32 v131, v155, v156, v144
	v_mul_f32_e32 v136, v142, v136
	v_dual_mul_f32 v146, v142, v134 :: v_dual_and_b32 v149, 0x7f800000, v148
	v_mul_f32_e32 v135, v142, v135
	v_mul_f32_e32 v147, v142, v133
	;; [unrolled: 1-line block ×3, first 2 shown]
	s_mov_b32 s2, exec_lo
	ds_store_b128 v131, v[151:154]
                                        ; implicit-def: $vgpr132
	v_cmpx_ne_u32_e32 0x7f800000, v149
	s_xor_b32 s2, exec_lo, s2
; %bb.45:
	v_bfe_u32 v132, v148, 16, 1
	s_delay_alu instid0(VALU_DEP_1)
	v_add3_u32 v132, v148, v132, 0x7fff
                                        ; implicit-def: $vgpr148
; %bb.46:
	s_and_not1_saveexec_b32 s2, s2
; %bb.47:
	v_and_b32_e32 v132, 0xffff, v148
	v_or_b32_e32 v133, 0x10000, v148
	s_delay_alu instid0(VALU_DEP_2) | instskip(NEXT) | instid1(VALU_DEP_2)
	v_cmp_eq_u32_e32 vcc_lo, 0, v132
	v_cndmask_b32_e32 v132, v133, v148, vcc_lo
; %bb.48:
	s_or_b32 exec_lo, exec_lo, s2
	v_and_b32_e32 v133, 0x7f800000, v134
	s_delay_alu instid0(VALU_DEP_1) | instskip(SKIP_1) | instid1(SALU_CYCLE_1)
	v_cmp_ne_u32_e32 vcc_lo, 0x7f800000, v133
                                        ; implicit-def: $vgpr133
	s_and_saveexec_b32 s2, vcc_lo
	s_xor_b32 s2, exec_lo, s2
; %bb.49:
	v_bfe_u32 v133, v134, 16, 1
	s_delay_alu instid0(VALU_DEP_1)
	v_add3_u32 v133, v134, v133, 0x7fff
                                        ; implicit-def: $vgpr134
; %bb.50:
	s_and_not1_saveexec_b32 s2, s2
; %bb.51:
	v_and_b32_e32 v133, 0xffff, v134
	v_or_b32_e32 v142, 0x10000, v134
	s_delay_alu instid0(VALU_DEP_2) | instskip(NEXT) | instid1(VALU_DEP_2)
	v_cmp_eq_u32_e32 vcc_lo, 0, v133
	v_cndmask_b32_e32 v133, v142, v134, vcc_lo
; %bb.52:
	s_or_b32 exec_lo, exec_lo, s2
	v_and_b32_e32 v134, 0x7f800000, v147
	s_delay_alu instid0(VALU_DEP_1) | instskip(SKIP_1) | instid1(SALU_CYCLE_1)
	v_cmp_ne_u32_e32 vcc_lo, 0x7f800000, v134
                                        ; implicit-def: $vgpr134
	s_and_saveexec_b32 s2, vcc_lo
	s_xor_b32 s2, exec_lo, s2
; %bb.53:
	v_bfe_u32 v134, v147, 16, 1
	s_delay_alu instid0(VALU_DEP_1)
	v_add3_u32 v134, v147, v134, 0x7fff
                                        ; implicit-def: $vgpr147
; %bb.54:
	s_and_not1_saveexec_b32 s2, s2
; %bb.55:
	v_and_b32_e32 v134, 0xffff, v147
	v_or_b32_e32 v142, 0x10000, v147
	s_delay_alu instid0(VALU_DEP_2) | instskip(NEXT) | instid1(VALU_DEP_2)
	v_cmp_eq_u32_e32 vcc_lo, 0, v134
	v_cndmask_b32_e32 v134, v142, v147, vcc_lo
; %bb.56:
	s_or_b32 exec_lo, exec_lo, s2
	v_and_b32_e32 v142, 0x7f800000, v146
	s_delay_alu instid0(VALU_DEP_1) | instskip(SKIP_1) | instid1(SALU_CYCLE_1)
	v_cmp_ne_u32_e32 vcc_lo, 0x7f800000, v142
                                        ; implicit-def: $vgpr142
	s_and_saveexec_b32 s2, vcc_lo
	s_xor_b32 s2, exec_lo, s2
; %bb.57:
	v_bfe_u32 v142, v146, 16, 1
	s_delay_alu instid0(VALU_DEP_1)
	v_add3_u32 v142, v146, v142, 0x7fff
                                        ; implicit-def: $vgpr146
; %bb.58:
	s_and_not1_saveexec_b32 s2, s2
; %bb.59:
	v_and_b32_e32 v142, 0xffff, v146
	v_or_b32_e32 v147, 0x10000, v146
	s_delay_alu instid0(VALU_DEP_2) | instskip(NEXT) | instid1(VALU_DEP_2)
	v_cmp_eq_u32_e32 vcc_lo, 0, v142
	v_cndmask_b32_e32 v142, v147, v146, vcc_lo
; %bb.60:
	s_or_b32 exec_lo, exec_lo, s2
	v_and_b32_e32 v146, 0x7f800000, v135
	s_delay_alu instid0(VALU_DEP_1) | instskip(SKIP_1) | instid1(SALU_CYCLE_1)
	v_cmp_ne_u32_e32 vcc_lo, 0x7f800000, v146
                                        ; implicit-def: $vgpr146
	s_and_saveexec_b32 s2, vcc_lo
	s_xor_b32 s2, exec_lo, s2
; %bb.61:
	v_bfe_u32 v146, v135, 16, 1
	s_delay_alu instid0(VALU_DEP_1)
	v_add3_u32 v146, v135, v146, 0x7fff
                                        ; implicit-def: $vgpr135
; %bb.62:
	s_and_not1_saveexec_b32 s2, s2
; %bb.63:
	v_and_b32_e32 v146, 0xffff, v135
	v_or_b32_e32 v147, 0x10000, v135
	s_delay_alu instid0(VALU_DEP_2) | instskip(NEXT) | instid1(VALU_DEP_2)
	v_cmp_eq_u32_e32 vcc_lo, 0, v146
	v_cndmask_b32_e32 v146, v147, v135, vcc_lo
; %bb.64:
	s_or_b32 exec_lo, exec_lo, s2
	v_and_b32_e32 v135, 0x7f800000, v136
	s_delay_alu instid0(VALU_DEP_1) | instskip(SKIP_1) | instid1(SALU_CYCLE_1)
	v_cmp_ne_u32_e32 vcc_lo, 0x7f800000, v135
                                        ; implicit-def: $vgpr135
	s_and_saveexec_b32 s2, vcc_lo
	s_xor_b32 s2, exec_lo, s2
; %bb.65:
	v_bfe_u32 v135, v136, 16, 1
	s_delay_alu instid0(VALU_DEP_1)
	v_add3_u32 v135, v136, v135, 0x7fff
                                        ; implicit-def: $vgpr136
; %bb.66:
	s_and_not1_saveexec_b32 s2, s2
; %bb.67:
	v_and_b32_e32 v135, 0xffff, v136
	v_or_b32_e32 v147, 0x10000, v136
	s_delay_alu instid0(VALU_DEP_2) | instskip(NEXT) | instid1(VALU_DEP_2)
	v_cmp_eq_u32_e32 vcc_lo, 0, v135
	v_cndmask_b32_e32 v135, v147, v136, vcc_lo
; %bb.68:
	s_or_b32 exec_lo, exec_lo, s2
	v_and_b32_e32 v136, 0x7f800000, v143
	s_delay_alu instid0(VALU_DEP_1) | instskip(SKIP_1) | instid1(SALU_CYCLE_1)
	v_cmp_ne_u32_e32 vcc_lo, 0x7f800000, v136
                                        ; implicit-def: $vgpr136
	s_and_saveexec_b32 s2, vcc_lo
	s_xor_b32 s2, exec_lo, s2
; %bb.69:
	v_bfe_u32 v136, v143, 16, 1
	s_delay_alu instid0(VALU_DEP_1)
	v_add3_u32 v136, v143, v136, 0x7fff
                                        ; implicit-def: $vgpr143
; %bb.70:
	s_and_not1_saveexec_b32 s2, s2
; %bb.71:
	v_and_b32_e32 v136, 0xffff, v143
	v_or_b32_e32 v147, 0x10000, v143
	s_delay_alu instid0(VALU_DEP_2) | instskip(NEXT) | instid1(VALU_DEP_2)
	v_cmp_eq_u32_e32 vcc_lo, 0, v136
	v_cndmask_b32_e32 v136, v147, v143, vcc_lo
; %bb.72:
	s_or_b32 exec_lo, exec_lo, s2
	v_and_b32_e32 v143, 0x7f800000, v145
	s_delay_alu instid0(VALU_DEP_1) | instskip(SKIP_1) | instid1(SALU_CYCLE_1)
	v_cmp_ne_u32_e32 vcc_lo, 0x7f800000, v143
                                        ; implicit-def: $vgpr143
	s_and_saveexec_b32 s2, vcc_lo
	s_xor_b32 s2, exec_lo, s2
; %bb.73:
	v_bfe_u32 v143, v145, 16, 1
	s_delay_alu instid0(VALU_DEP_1)
	v_add3_u32 v143, v145, v143, 0x7fff
                                        ; implicit-def: $vgpr145
; %bb.74:
	s_and_not1_saveexec_b32 s2, s2
; %bb.75:
	v_and_b32_e32 v143, 0xffff, v145
	v_or_b32_e32 v147, 0x10000, v145
	s_delay_alu instid0(VALU_DEP_2) | instskip(NEXT) | instid1(VALU_DEP_2)
	v_cmp_eq_u32_e32 vcc_lo, 0, v143
	v_cndmask_b32_e32 v143, v147, v145, vcc_lo
; %bb.76:
	s_or_b32 exec_lo, exec_lo, s2
	s_delay_alu instid0(VALU_DEP_1)
	v_perm_b32 v136, v143, v136, 0x7060302
	v_perm_b32 v135, v135, v146, 0x7060302
	;; [unrolled: 1-line block ×4, first 2 shown]
	v_lshl_or_b32 v145, v141, 11, v144
	v_lshlrev_b32_e32 v142, 2, v138
	ds_store_b128 v131, v[133:136] offset:1024
	s_waitcnt lgkmcnt(0)
	s_barrier
	buffer_gl0_inv
	ds_load_b128 v[132:135], v145
	ds_load_b128 v[147:150], v145 offset:16
	v_or_b32_e32 v143, 1, v142
	v_cmp_eq_u32_e64 s11, 1, v142
	v_cmp_eq_u32_e64 s10, 2, v142
	;; [unrolled: 1-line block ×3, first 2 shown]
	v_or_b32_e32 v141, 2, v142
	v_cmp_eq_u32_e64 s6, 1, v143
	v_cmp_eq_u32_e64 s5, 2, v143
	;; [unrolled: 1-line block ×8, first 2 shown]
	v_cmp_eq_u32_e32 vcc_lo, 5, v143
	v_cmp_eq_u32_e64 s9, 2, v141
	v_cmp_eq_u32_e64 s3, 6, v143
	;; [unrolled: 1-line block ×4, first 2 shown]
	s_waitcnt lgkmcnt(1)
	v_lshrrev_b32_e32 v136, 16, v132
	s_waitcnt lgkmcnt(0)
	v_lshrrev_b32_e32 v155, 16, v147
	v_lshrrev_b32_e32 v161, 16, v148
	;; [unrolled: 1-line block ×4, first 2 shown]
	v_cndmask_b32_e64 v146, v132, v136, s11
	v_cndmask_b32_e64 v151, v147, v155, s11
	;; [unrolled: 1-line block ×4, first 2 shown]
	v_lshrrev_b32_e32 v160, 16, v134
	v_cndmask_b32_e64 v146, v146, v133, s10
	v_cndmask_b32_e64 v151, v151, v148, s10
	;; [unrolled: 1-line block ×8, first 2 shown]
	v_lshrrev_b32_e32 v164, 16, v150
	v_cndmask_b32_e64 v153, v153, v161, s4
	v_cndmask_b32_e64 v146, v146, v134, s16
	;; [unrolled: 1-line block ×5, first 2 shown]
	v_lshrrev_b32_e32 v162, 16, v135
	v_cndmask_b32_e64 v146, v146, v160, s12
	v_cndmask_b32_e64 v151, v151, v163, s12
	v_cndmask_b32_e32 v152, v152, v160, vcc_lo
	v_cndmask_b32_e64 v153, v153, v149, s2
	v_cmp_eq_u32_e64 s18, 7, v143
	v_cndmask_b32_e64 v146, v146, v135, s13
	v_cndmask_b32_e64 v151, v151, v150, s13
	;; [unrolled: 1-line block ×4, first 2 shown]
	v_cmp_eq_u32_e64 s19, 4, v141
	v_cndmask_b32_e64 v165, v146, v162, s8
	v_cndmask_b32_e64 v166, v151, v164, s8
	;; [unrolled: 1-line block ×3, first 2 shown]
	v_or_b32_e32 v146, 3, v142
	v_cndmask_b32_e64 v167, v152, v162, s18
	v_cndmask_b32_e32 v156, v153, v163, vcc_lo
	v_cndmask_b32_e64 v158, v154, v134, s19
	v_cndmask_b32_e64 v157, v151, v148, s9
	ds_load_b128 v[151:154], v145 offset:1024
	v_cmp_eq_u32_e64 s20, 1, v146
	v_cmp_eq_u32_e64 s21, 5, v141
	;; [unrolled: 1-line block ×3, first 2 shown]
	v_cndmask_b32_e64 v157, v157, v161, s17
	v_cmp_eq_u32_e64 s23, 3, v146
	v_cndmask_b32_e64 v132, v132, v136, s20
	v_cndmask_b32_e64 v136, v156, v150, s3
	v_cndmask_b32_e64 v168, v158, v160, s21
	v_cndmask_b32_e64 v169, v157, v149, s19
	v_cndmask_b32_e64 v147, v147, v155, s20
	ds_load_b128 v[155:158], v145 offset:1040
	v_cndmask_b32_e64 v132, v132, v133, s22
	v_cmp_eq_u32_e64 s25, 4, v146
	v_cmp_eq_u32_e64 s27, 5, v146
	v_cndmask_b32_e64 v147, v147, v148, s22
	v_cmp_eq_u32_e64 s24, 6, v141
	v_cndmask_b32_e64 v132, v132, v159, s23
	v_cmp_eq_u32_e64 s28, 6, v146
	v_cndmask_b32_e64 v133, v169, v163, s21
	v_cndmask_b32_e64 v147, v147, v161, s23
	s_waitcnt lgkmcnt(1)
	v_lshrrev_b32_e32 v159, 16, v151
	v_cndmask_b32_e64 v132, v132, v134, s25
	v_cndmask_b32_e64 v148, v168, v135, s24
	;; [unrolled: 1-line block ×6, first 2 shown]
	v_lshrrev_b32_e32 v160, 16, v152
	v_cndmask_b32_e64 v161, v151, v159, s6
	v_cndmask_b32_e64 v134, v134, v163, s27
	s_waitcnt lgkmcnt(0)
	v_lshrrev_b32_e32 v149, 16, v155
	v_cndmask_b32_e64 v147, v147, v152, s10
	v_cndmask_b32_e64 v132, v132, v135, s28
	v_cmp_eq_u32_e64 s26, 7, v141
	v_cndmask_b32_e64 v134, v134, v150, s28
	v_cndmask_b32_e64 v163, v155, v149, s11
	;; [unrolled: 1-line block ×4, first 2 shown]
	v_lshrrev_b32_e32 v161, 16, v156
	v_cndmask_b32_e64 v136, v136, v164, s18
	v_cndmask_b32_e64 v150, v163, v156, s10
	v_cmp_eq_u32_e64 s10, 7, v146
	v_cndmask_b32_e64 v147, v147, v160, s4
	v_cndmask_b32_e64 v135, v135, v153, s16
	v_lshrrev_b32_e32 v163, 16, v153
	v_cndmask_b32_e64 v150, v150, v161, s15
	v_cndmask_b32_e64 v132, v132, v162, s10
	;; [unrolled: 1-line block ×8, first 2 shown]
	v_lshrrev_b32_e32 v164, 16, v157
	v_perm_b32 v135, v134, v132, 0x5040100
	v_cndmask_b32_e32 v132, v147, v163, vcc_lo
	v_cndmask_b32_e64 v147, v162, v154, s13
	v_lshrrev_b32_e32 v162, 16, v154
	v_cndmask_b32_e64 v150, v150, v164, s12
	v_perm_b32 v134, v133, v148, 0x5040100
	v_cndmask_b32_e64 v132, v132, v154, s3
	v_perm_b32 v133, v136, v167, 0x5040100
	v_cndmask_b32_e64 v136, v147, v162, s8
	v_cndmask_b32_e64 v147, v150, v158, s13
	;; [unrolled: 1-line block ×27, first 2 shown]
	v_cndmask_b32_e32 v149, v149, v164, vcc_lo
	v_lshrrev_b32_e32 v148, 16, v158
	v_cndmask_b32_e64 v132, v132, v154, s24
	v_cndmask_b32_e64 v150, v150, v154, s28
	;; [unrolled: 1-line block ×11, first 2 shown]
	v_perm_b32 v132, v166, v165, 0x5040100
	v_perm_b32 v150, v151, v150, 0x5040100
	v_perm_b32 v149, v152, v153, 0x5040100
	v_perm_b32 v148, v154, v167, 0x5040100
	v_perm_b32 v147, v147, v136, 0x5040100
	s_mul_i32 s7, s35, 12
	s_mov_b32 s2, exec_lo
	ds_store_b128 v131, v[132:135]
	ds_store_b128 v131, v[147:150] offset:1024
	v_cmpx_gt_u32_e32 12, v0
	s_cbranch_execz .LBB625_78
; %bb.77:
	s_mul_i32 s3, s7, s30
	s_load_b128 s[8:11], s[0:1], 0x58
	v_add3_u32 v133, s3, s29, v140
	s_delay_alu instid0(VALU_DEP_1) | instskip(NEXT) | instid1(VALU_DEP_1)
	v_mad_u64_u32 v[131:132], null, v133, s34, s[14:15]
	v_ashrrev_i32_e32 v132, 31, v131
	s_delay_alu instid0(VALU_DEP_1) | instskip(SKIP_1) | instid1(VALU_DEP_1)
	v_lshlrev_b64 v[131:132], 2, v[131:132]
	s_waitcnt lgkmcnt(0)
	v_add_co_u32 v133, vcc_lo, s10, v131
	s_delay_alu instid0(VALU_DEP_2)
	v_add_co_ci_u32_e32 v134, vcc_lo, s11, v132, vcc_lo
	v_add_co_u32 v131, vcc_lo, s8, v131
	v_add_co_ci_u32_e32 v132, vcc_lo, s9, v132, vcc_lo
	global_store_b32 v[133:134], v129, off
	global_store_b32 v[131:132], v130, off
.LBB625_78:
	s_or_b32 exec_lo, exec_lo, s2
	s_waitcnt lgkmcnt(0)
	s_waitcnt_vscnt null, 0x0
	s_barrier
	buffer_gl0_inv
	ds_load_b128 v[147:150], v144
	ds_load_b128 v[151:154], v144 offset:16
	ds_load_b128 v[159:162], v144 offset:1040
	;; [unrolled: 1-line block ×3, first 2 shown]
	v_mov_b32_e32 v129, 0
	ds_load_b128 v[167:170], v144 offset:2064
	ds_load_b128 v[163:166], v144 offset:2048
	ds_load_b128 v[175:178], v144 offset:3088
	ds_load_b128 v[171:174], v144 offset:3072
	ds_load_b128 v[183:186], v144 offset:4112
	ds_load_b128 v[179:182], v144 offset:4096
	v_mov_b32_e32 v130, v129
	v_mov_b32_e32 v131, v129
	;; [unrolled: 1-line block ×7, first 2 shown]
	s_waitcnt lgkmcnt(8)
	s_delay_alu instid0(VALU_DEP_1)
	v_wmma_f32_16x16x16_bf16 v[129:136], v[121:128], v[147:154], v[129:136]
	ds_load_b128 v[125:128], v144 offset:5136
	ds_load_b128 v[121:124], v144 offset:5120
	s_waitcnt lgkmcnt(8)
	v_wmma_f32_16x16x16_bf16 v[129:136], v[113:120], v[155:162], v[129:136]
	ds_load_b128 v[117:120], v144 offset:6160
	ds_load_b128 v[113:116], v144 offset:6144
	s_waitcnt lgkmcnt(8)
	;; [unrolled: 4-line block ×8, first 2 shown]
	v_wmma_f32_16x16x16_bf16 v[129:136], v[65:72], v[97:104], v[129:136]
	s_waitcnt lgkmcnt(6)
	s_delay_alu instid0(VALU_DEP_1)
	v_wmma_f32_16x16x16_bf16 v[129:136], v[49:56], v[89:96], v[129:136]
	ds_load_b128 v[53:56], v144 offset:13328
	ds_load_b128 v[49:52], v144 offset:13312
	s_waitcnt lgkmcnt(6)
	v_wmma_f32_16x16x16_bf16 v[129:136], v[41:48], v[81:88], v[129:136]
	ds_load_b128 v[45:48], v144 offset:14352
	ds_load_b128 v[41:44], v144 offset:14336
	s_waitcnt lgkmcnt(6)
	;; [unrolled: 4-line block ×3, first 2 shown]
	v_wmma_f32_16x16x16_bf16 v[129:136], v[1:8], v[57:64], v[129:136]
	s_waitcnt lgkmcnt(4)
	s_delay_alu instid0(VALU_DEP_1) | instskip(SKIP_1) | instid1(VALU_DEP_1)
	v_wmma_f32_16x16x16_bf16 v[129:136], v[25:32], v[49:56], v[129:136]
	s_waitcnt lgkmcnt(2)
	v_wmma_f32_16x16x16_bf16 v[129:136], v[33:40], v[41:48], v[129:136]
	s_waitcnt lgkmcnt(0)
	s_delay_alu instid0(VALU_DEP_1) | instskip(NEXT) | instid1(VALU_DEP_1)
	v_wmma_f32_16x16x16_bf16 v[129:136], v[9:16], v[17:24], v[129:136]
	v_and_b32_e32 v1, 0x7f800000, v129
	s_delay_alu instid0(VALU_DEP_1) | instskip(SKIP_1) | instid1(SALU_CYCLE_1)
	v_cmp_ne_u32_e32 vcc_lo, 0x7f800000, v1
                                        ; implicit-def: $vgpr1
	s_and_saveexec_b32 s2, vcc_lo
	s_xor_b32 s2, exec_lo, s2
; %bb.79:
	v_bfe_u32 v1, v129, 16, 1
	s_delay_alu instid0(VALU_DEP_1)
	v_add3_u32 v1, v129, v1, 0x7fff
; %bb.80:
	s_and_not1_saveexec_b32 s2, s2
; %bb.81:
	v_and_b32_e32 v1, 0xffff, v129
	v_or_b32_e32 v2, 0x10000, v129
	s_delay_alu instid0(VALU_DEP_2) | instskip(NEXT) | instid1(VALU_DEP_2)
	v_cmp_eq_u32_e32 vcc_lo, 0, v1
	v_cndmask_b32_e32 v1, v2, v129, vcc_lo
; %bb.82:
	s_or_b32 exec_lo, exec_lo, s2
	v_and_b32_e32 v2, 0x7f800000, v130
	s_delay_alu instid0(VALU_DEP_1) | instskip(SKIP_1) | instid1(SALU_CYCLE_1)
	v_cmp_ne_u32_e32 vcc_lo, 0x7f800000, v2
                                        ; implicit-def: $vgpr2
	s_and_saveexec_b32 s2, vcc_lo
	s_xor_b32 s2, exec_lo, s2
; %bb.83:
	v_bfe_u32 v2, v130, 16, 1
	s_delay_alu instid0(VALU_DEP_1)
	v_add3_u32 v2, v130, v2, 0x7fff
; %bb.84:
	s_and_not1_saveexec_b32 s2, s2
; %bb.85:
	v_and_b32_e32 v2, 0xffff, v130
	v_or_b32_e32 v3, 0x10000, v130
	s_delay_alu instid0(VALU_DEP_2) | instskip(NEXT) | instid1(VALU_DEP_2)
	v_cmp_eq_u32_e32 vcc_lo, 0, v2
	v_cndmask_b32_e32 v2, v3, v130, vcc_lo
; %bb.86:
	s_or_b32 exec_lo, exec_lo, s2
	v_and_b32_e32 v3, 0x7f800000, v131
	s_delay_alu instid0(VALU_DEP_1) | instskip(SKIP_1) | instid1(SALU_CYCLE_1)
	v_cmp_ne_u32_e32 vcc_lo, 0x7f800000, v3
                                        ; implicit-def: $vgpr3
	s_and_saveexec_b32 s2, vcc_lo
	s_xor_b32 s2, exec_lo, s2
; %bb.87:
	v_bfe_u32 v3, v131, 16, 1
	s_delay_alu instid0(VALU_DEP_1)
	v_add3_u32 v3, v131, v3, 0x7fff
; %bb.88:
	s_and_not1_saveexec_b32 s2, s2
; %bb.89:
	v_and_b32_e32 v3, 0xffff, v131
	v_or_b32_e32 v4, 0x10000, v131
	s_delay_alu instid0(VALU_DEP_2) | instskip(NEXT) | instid1(VALU_DEP_2)
	v_cmp_eq_u32_e32 vcc_lo, 0, v3
	v_cndmask_b32_e32 v3, v4, v131, vcc_lo
; %bb.90:
	s_or_b32 exec_lo, exec_lo, s2
	v_and_b32_e32 v4, 0x7f800000, v132
	s_delay_alu instid0(VALU_DEP_1) | instskip(SKIP_1) | instid1(SALU_CYCLE_1)
	v_cmp_ne_u32_e32 vcc_lo, 0x7f800000, v4
                                        ; implicit-def: $vgpr4
	s_and_saveexec_b32 s2, vcc_lo
	s_xor_b32 s2, exec_lo, s2
; %bb.91:
	v_bfe_u32 v4, v132, 16, 1
	s_delay_alu instid0(VALU_DEP_1)
	v_add3_u32 v4, v132, v4, 0x7fff
; %bb.92:
	s_and_not1_saveexec_b32 s2, s2
; %bb.93:
	v_and_b32_e32 v4, 0xffff, v132
	v_or_b32_e32 v5, 0x10000, v132
	s_delay_alu instid0(VALU_DEP_2) | instskip(NEXT) | instid1(VALU_DEP_2)
	v_cmp_eq_u32_e32 vcc_lo, 0, v4
	v_cndmask_b32_e32 v4, v5, v132, vcc_lo
; %bb.94:
	s_or_b32 exec_lo, exec_lo, s2
	v_and_b32_e32 v5, 0x7f800000, v133
	s_delay_alu instid0(VALU_DEP_1) | instskip(SKIP_1) | instid1(SALU_CYCLE_1)
	v_cmp_ne_u32_e32 vcc_lo, 0x7f800000, v5
                                        ; implicit-def: $vgpr5
	s_and_saveexec_b32 s2, vcc_lo
	s_xor_b32 s2, exec_lo, s2
; %bb.95:
	v_bfe_u32 v5, v133, 16, 1
	s_delay_alu instid0(VALU_DEP_1)
	v_add3_u32 v5, v133, v5, 0x7fff
; %bb.96:
	s_and_not1_saveexec_b32 s2, s2
; %bb.97:
	v_and_b32_e32 v5, 0xffff, v133
	v_or_b32_e32 v6, 0x10000, v133
	s_delay_alu instid0(VALU_DEP_2) | instskip(NEXT) | instid1(VALU_DEP_2)
	v_cmp_eq_u32_e32 vcc_lo, 0, v5
	v_cndmask_b32_e32 v5, v6, v133, vcc_lo
; %bb.98:
	s_or_b32 exec_lo, exec_lo, s2
	v_and_b32_e32 v6, 0x7f800000, v134
	s_delay_alu instid0(VALU_DEP_1) | instskip(SKIP_1) | instid1(SALU_CYCLE_1)
	v_cmp_ne_u32_e32 vcc_lo, 0x7f800000, v6
                                        ; implicit-def: $vgpr6
	s_and_saveexec_b32 s2, vcc_lo
	s_xor_b32 s2, exec_lo, s2
; %bb.99:
	v_bfe_u32 v6, v134, 16, 1
	s_delay_alu instid0(VALU_DEP_1)
	v_add3_u32 v6, v134, v6, 0x7fff
; %bb.100:
	s_and_not1_saveexec_b32 s2, s2
; %bb.101:
	v_and_b32_e32 v6, 0xffff, v134
	v_or_b32_e32 v7, 0x10000, v134
	s_delay_alu instid0(VALU_DEP_2) | instskip(NEXT) | instid1(VALU_DEP_2)
	v_cmp_eq_u32_e32 vcc_lo, 0, v6
	v_cndmask_b32_e32 v6, v7, v134, vcc_lo
; %bb.102:
	s_or_b32 exec_lo, exec_lo, s2
	v_and_b32_e32 v7, 0x7f800000, v135
	s_delay_alu instid0(VALU_DEP_1) | instskip(SKIP_1) | instid1(SALU_CYCLE_1)
	v_cmp_ne_u32_e32 vcc_lo, 0x7f800000, v7
                                        ; implicit-def: $vgpr7
	s_and_saveexec_b32 s2, vcc_lo
	s_xor_b32 s2, exec_lo, s2
; %bb.103:
	v_bfe_u32 v7, v135, 16, 1
	s_delay_alu instid0(VALU_DEP_1)
	v_add3_u32 v7, v135, v7, 0x7fff
; %bb.104:
	s_and_not1_saveexec_b32 s2, s2
; %bb.105:
	v_and_b32_e32 v7, 0xffff, v135
	v_or_b32_e32 v8, 0x10000, v135
	s_delay_alu instid0(VALU_DEP_2) | instskip(NEXT) | instid1(VALU_DEP_2)
	v_cmp_eq_u32_e32 vcc_lo, 0, v7
	v_cndmask_b32_e32 v7, v8, v135, vcc_lo
; %bb.106:
	s_or_b32 exec_lo, exec_lo, s2
	v_and_b32_e32 v8, 0x7f800000, v136
	s_delay_alu instid0(VALU_DEP_1) | instskip(SKIP_1) | instid1(SALU_CYCLE_1)
	v_cmp_ne_u32_e32 vcc_lo, 0x7f800000, v8
                                        ; implicit-def: $vgpr8
	s_and_saveexec_b32 s2, vcc_lo
	s_xor_b32 s2, exec_lo, s2
; %bb.107:
	v_bfe_u32 v8, v136, 16, 1
	s_delay_alu instid0(VALU_DEP_1)
	v_add3_u32 v8, v136, v8, 0x7fff
                                        ; implicit-def: $vgpr129_vgpr130_vgpr131_vgpr132_vgpr133_vgpr134_vgpr135_vgpr136
; %bb.108:
	s_and_not1_saveexec_b32 s2, s2
; %bb.109:
	v_and_b32_e32 v8, 0xffff, v136
	v_or_b32_e32 v9, 0x10000, v136
	s_delay_alu instid0(VALU_DEP_2) | instskip(NEXT) | instid1(VALU_DEP_2)
	v_cmp_eq_u32_e32 vcc_lo, 0, v8
	v_cndmask_b32_e32 v8, v9, v136, vcc_lo
; %bb.110:
	s_or_b32 exec_lo, exec_lo, s2
	s_delay_alu instid0(VALU_DEP_1)
	v_perm_b32 v7, v8, v7, 0x7060302
	v_perm_b32 v6, v6, v5, 0x7060302
	;; [unrolled: 1-line block ×4, first 2 shown]
	v_lshl_or_b32 v9, v138, 4, v145
	s_barrier
	buffer_gl0_inv
	v_cmp_eq_u32_e32 vcc_lo, 1, v142
	ds_store_b128 v9, v[4:7]
	s_waitcnt lgkmcnt(0)
	s_barrier
	buffer_gl0_inv
	ds_load_b128 v[1:4], v145
	ds_load_b128 v[5:8], v145 offset:16
	v_cmp_eq_u32_e64 s3, 2, v142
	v_cmp_eq_u32_e64 s2, 1, v143
	;; [unrolled: 1-line block ×5, first 2 shown]
	s_waitcnt lgkmcnt(1)
	v_lshrrev_b32_e32 v10, 16, v1
	s_waitcnt lgkmcnt(0)
	v_lshrrev_b32_e32 v14, 16, v5
	v_lshrrev_b32_e32 v15, 16, v6
	;; [unrolled: 1-line block ×4, first 2 shown]
	v_cndmask_b32_e64 v20, v1, v10, s2
	v_cndmask_b32_e32 v19, v5, v14, vcc_lo
	v_cndmask_b32_e64 v21, v5, v14, s2
	v_lshrrev_b32_e32 v16, 16, v7
	v_cmp_eq_u32_e64 s2, 1, v141
	v_lshrrev_b32_e32 v13, 16, v4
	v_cndmask_b32_e64 v19, v19, v6, s3
	v_lshrrev_b32_e32 v17, 16, v8
	s_delay_alu instid0(VALU_DEP_4) | instskip(SKIP_1) | instid1(VALU_DEP_4)
	v_cndmask_b32_e64 v22, v1, v10, s2
	v_cndmask_b32_e64 v23, v5, v14, s2
	;; [unrolled: 1-line block ×3, first 2 shown]
	v_cndmask_b32_e32 v18, v1, v10, vcc_lo
	v_cmp_eq_u32_e32 vcc_lo, 2, v143
	v_cmp_eq_u32_e64 s2, 2, v146
	v_cndmask_b32_e64 v22, v22, v2, s6
	v_cndmask_b32_e32 v20, v20, v2, vcc_lo
	v_cndmask_b32_e32 v21, v21, v6, vcc_lo
	v_cmp_eq_u32_e32 vcc_lo, 4, v142
	v_cndmask_b32_e32 v19, v19, v7, vcc_lo
	v_cndmask_b32_e64 v18, v18, v2, s3
	v_cmp_eq_u32_e64 s3, 3, v143
	s_delay_alu instid0(VALU_DEP_2) | instskip(NEXT) | instid1(VALU_DEP_2)
	v_cndmask_b32_e64 v18, v18, v11, s4
	v_cndmask_b32_e64 v21, v21, v15, s3
	v_cmp_eq_u32_e64 s4, 5, v142
	s_delay_alu instid0(VALU_DEP_3) | instskip(SKIP_1) | instid1(VALU_DEP_3)
	v_cndmask_b32_e32 v18, v18, v3, vcc_lo
	v_cmp_eq_u32_e32 vcc_lo, 4, v143
	v_cndmask_b32_e64 v19, v19, v16, s4
	s_delay_alu instid0(VALU_DEP_3) | instskip(SKIP_4) | instid1(VALU_DEP_3)
	v_cndmask_b32_e64 v18, v18, v12, s4
	v_cndmask_b32_e32 v21, v21, v7, vcc_lo
	v_cndmask_b32_e64 v20, v20, v11, s3
	v_cmp_eq_u32_e64 s3, 5, v143
	v_cmp_eq_u32_e64 s4, 6, v142
	v_cndmask_b32_e32 v20, v20, v3, vcc_lo
	s_delay_alu instid0(VALU_DEP_3) | instskip(SKIP_1) | instid1(VALU_DEP_4)
	v_cndmask_b32_e64 v21, v21, v16, s3
	v_cmp_eq_u32_e32 vcc_lo, 6, v143
	v_cndmask_b32_e64 v18, v18, v4, s4
	v_cndmask_b32_e64 v19, v19, v8, s4
	;; [unrolled: 1-line block ×3, first 2 shown]
	v_cmp_eq_u32_e64 s3, 1, v146
	v_cmp_eq_u32_e64 s4, 7, v142
	s_delay_alu instid0(VALU_DEP_3) | instskip(NEXT) | instid1(VALU_DEP_3)
	v_cndmask_b32_e32 v20, v20, v4, vcc_lo
	v_cndmask_b32_e64 v1, v1, v10, s3
	v_cndmask_b32_e64 v5, v5, v14, s3
	v_cmp_eq_u32_e64 s3, 3, v141
	v_cndmask_b32_e64 v14, v23, v6, s6
	v_cmp_eq_u32_e64 s6, 3, v146
	v_cndmask_b32_e64 v1, v1, v2, s2
	v_cndmask_b32_e64 v2, v5, v6, s2
	v_cndmask_b32_e64 v10, v22, v11, s3
	v_cmp_eq_u32_e64 s2, 4, v141
	v_cndmask_b32_e64 v6, v14, v15, s3
	v_cndmask_b32_e64 v1, v1, v11, s6
	v_cmp_eq_u32_e64 s3, 4, v146
	v_cndmask_b32_e64 v2, v2, v15, s6
	v_cndmask_b32_e64 v5, v10, v3, s2
	;; [unrolled: 3-line block ×3, first 2 shown]
	v_cndmask_b32_e64 v2, v2, v7, s3
	v_cmp_eq_u32_e64 s2, 5, v146
	v_cndmask_b32_e64 v5, v5, v12, s6
	v_cmp_eq_u32_e64 s3, 6, v141
	;; [unrolled: 2-line block ×3, first 2 shown]
	v_cndmask_b32_e64 v1, v1, v12, s2
	v_cndmask_b32_e64 v2, v2, v16, s2
	;; [unrolled: 1-line block ×4, first 2 shown]
	v_cmp_eq_u32_e64 s2, 7, v146
	v_cndmask_b32_e64 v1, v1, v4, s6
	v_cndmask_b32_e64 v2, v2, v8, s6
	v_cmp_eq_u32_e64 s3, 7, v141
	v_cndmask_b32_e32 v4, v21, v8, vcc_lo
	v_cndmask_b32_e64 v18, v18, v13, s4
	v_cndmask_b32_e64 v20, v20, v13, s5
	;; [unrolled: 1-line block ×8, first 2 shown]
	s_mov_b32 s2, exec_lo
	v_perm_b32 v4, v2, v1, 0x5040100
	v_perm_b32 v3, v3, v5, 0x5040100
	;; [unrolled: 1-line block ×4, first 2 shown]
	ds_store_b128 v9, v[1:4]
	s_waitcnt lgkmcnt(0)
	s_barrier
	buffer_gl0_inv
	v_cmpx_gt_u32_e32 32, v0
	s_cbranch_execz .LBB625_2
; %bb.111:
	s_load_b64 s[0:1], s[0:1], 0x68
	v_lshlrev_b32_e32 v0, 10, v0
	s_lshl_b32 s4, s34, 7
	v_or_b32_e32 v3, s29, v138
	s_mul_i32 s2, s4, s30
	v_lshlrev_b32_e32 v1, 4, v139
	s_mul_i32 s2, s2, s7
	v_lshlrev_b32_e32 v2, 6, v138
	v_and_b32_e32 v0, 0x3800, v0
	s_ashr_i32 s3, s2, 31
	v_mul_lo_u32 v4, v3, s4
	s_lshl_b64 s[2:3], s[2:3], 1
	s_delay_alu instid0(VALU_DEP_2) | instskip(NEXT) | instid1(VALU_DEP_2)
	v_or3_b32 v16, v0, v1, v2
	v_ashrrev_i32_e32 v5, 31, v4
	ds_load_b128 v[0:3], v16
	s_waitcnt lgkmcnt(0)
	s_add_u32 s2, s0, s2
	s_addc_u32 s3, s1, s3
	s_lshl_b32 s0, s14, 7
	v_lshlrev_b64 v[5:6], 1, v[4:5]
	s_ashr_i32 s1, s0, 31
	s_delay_alu instid0(SALU_CYCLE_1) | instskip(NEXT) | instid1(SALU_CYCLE_1)
	s_lshl_b64 s[0:1], s[0:1], 1
	s_add_u32 s0, s2, s0
	s_addc_u32 s1, s3, s1
	s_lshl_b32 s2, s34, 8
	v_add_co_u32 v30, s0, s0, v137
	v_add_nc_u32_e32 v8, s2, v4
	v_add_co_ci_u32_e64 v31, null, s1, 0, s0
	s_delay_alu instid0(VALU_DEP_3) | instskip(NEXT) | instid1(VALU_DEP_3)
	v_add_co_u32 v12, vcc_lo, v30, v5
	v_add_nc_u32_e32 v10, s2, v8
	v_ashrrev_i32_e32 v9, 31, v8
	s_delay_alu instid0(VALU_DEP_4)
	v_add_co_ci_u32_e32 v13, vcc_lo, v31, v6, vcc_lo
	ds_load_b128 v[4:7], v16 offset:128
	v_ashrrev_i32_e32 v11, 31, v10
	v_lshlrev_b64 v[8:9], 1, v[8:9]
	v_add_nc_u32_e32 v14, s2, v10
	global_store_b128 v[12:13], v[0:3], off
	v_lshlrev_b64 v[0:1], 1, v[10:11]
	v_ashrrev_i32_e32 v15, 31, v14
	v_add_co_u32 v22, vcc_lo, v30, v8
	v_add_nc_u32_e32 v20, s2, v14
	v_add_co_ci_u32_e32 v23, vcc_lo, v31, v9, vcc_lo
	v_add_co_u32 v26, vcc_lo, v30, v0
	v_lshlrev_b64 v[24:25], 1, v[14:15]
	v_add_co_ci_u32_e32 v27, vcc_lo, v31, v1, vcc_lo
	ds_load_b128 v[0:3], v16 offset:256
	ds_load_b128 v[8:11], v16 offset:384
	;; [unrolled: 1-line block ×4, first 2 shown]
	v_add_nc_u32_e32 v28, s2, v20
	v_ashrrev_i32_e32 v21, 31, v20
	v_add_co_u32 v24, vcc_lo, v30, v24
	v_add_co_ci_u32_e32 v25, vcc_lo, v31, v25, vcc_lo
	s_delay_alu instid0(VALU_DEP_4) | instskip(NEXT) | instid1(VALU_DEP_4)
	v_ashrrev_i32_e32 v29, 31, v28
	v_lshlrev_b64 v[20:21], 1, v[20:21]
	s_delay_alu instid0(VALU_DEP_2) | instskip(NEXT) | instid1(VALU_DEP_2)
	v_lshlrev_b64 v[28:29], 1, v[28:29]
	v_add_co_u32 v20, vcc_lo, v30, v20
	s_delay_alu instid0(VALU_DEP_3) | instskip(NEXT) | instid1(VALU_DEP_3)
	v_add_co_ci_u32_e32 v21, vcc_lo, v31, v21, vcc_lo
	v_add_co_u32 v28, vcc_lo, v30, v28
	s_delay_alu instid0(VALU_DEP_4)
	v_add_co_ci_u32_e32 v29, vcc_lo, v31, v29, vcc_lo
	s_waitcnt lgkmcnt(4)
	global_store_b128 v[22:23], v[4:7], off
	s_waitcnt lgkmcnt(3)
	global_store_b128 v[26:27], v[0:3], off
	;; [unrolled: 2-line block ×5, first 2 shown]
	s_nop 0
	s_sendmsg sendmsg(MSG_DEALLOC_VGPRS)
	s_endpgm
	.section	.rodata,"a",@progbits
	.p2align	6, 0x0
	.amdhsa_kernel _Z39paged_attention_ll4mi_QKV_mfma16_kernelI14__hip_bfloat16S0_LN4vllm18Fp8KVCacheDataTypeE0EhLi16ELi128ELi256ELb0ELi12EL8MFMAType0EEvPKT_PKT0_S9_ifPKiSB_SB_iPKfiiiPfSE_PS4_PT2_iSD_SD_
		.amdhsa_group_segment_fixed_size 17472
		.amdhsa_private_segment_fixed_size 0
		.amdhsa_kernarg_size 400
		.amdhsa_user_sgpr_count 13
		.amdhsa_user_sgpr_dispatch_ptr 0
		.amdhsa_user_sgpr_queue_ptr 0
		.amdhsa_user_sgpr_kernarg_segment_ptr 1
		.amdhsa_user_sgpr_dispatch_id 0
		.amdhsa_user_sgpr_private_segment_size 0
		.amdhsa_wavefront_size32 1
		.amdhsa_uses_dynamic_stack 0
		.amdhsa_enable_private_segment 0
		.amdhsa_system_sgpr_workgroup_id_x 1
		.amdhsa_system_sgpr_workgroup_id_y 1
		.amdhsa_system_sgpr_workgroup_id_z 1
		.amdhsa_system_sgpr_workgroup_info 0
		.amdhsa_system_vgpr_workitem_id 0
		.amdhsa_next_free_vgpr 218
		.amdhsa_next_free_sgpr 50
		.amdhsa_reserve_vcc 1
		.amdhsa_float_round_mode_32 0
		.amdhsa_float_round_mode_16_64 0
		.amdhsa_float_denorm_mode_32 3
		.amdhsa_float_denorm_mode_16_64 3
		.amdhsa_dx10_clamp 1
		.amdhsa_ieee_mode 1
		.amdhsa_fp16_overflow 0
		.amdhsa_workgroup_processor_mode 1
		.amdhsa_memory_ordered 1
		.amdhsa_forward_progress 0
		.amdhsa_shared_vgpr_count 0
		.amdhsa_exception_fp_ieee_invalid_op 0
		.amdhsa_exception_fp_denorm_src 0
		.amdhsa_exception_fp_ieee_div_zero 0
		.amdhsa_exception_fp_ieee_overflow 0
		.amdhsa_exception_fp_ieee_underflow 0
		.amdhsa_exception_fp_ieee_inexact 0
		.amdhsa_exception_int_div_zero 0
	.end_amdhsa_kernel
	.section	.text._Z39paged_attention_ll4mi_QKV_mfma16_kernelI14__hip_bfloat16S0_LN4vllm18Fp8KVCacheDataTypeE0EhLi16ELi128ELi256ELb0ELi12EL8MFMAType0EEvPKT_PKT0_S9_ifPKiSB_SB_iPKfiiiPfSE_PS4_PT2_iSD_SD_,"axG",@progbits,_Z39paged_attention_ll4mi_QKV_mfma16_kernelI14__hip_bfloat16S0_LN4vllm18Fp8KVCacheDataTypeE0EhLi16ELi128ELi256ELb0ELi12EL8MFMAType0EEvPKT_PKT0_S9_ifPKiSB_SB_iPKfiiiPfSE_PS4_PT2_iSD_SD_,comdat
.Lfunc_end625:
	.size	_Z39paged_attention_ll4mi_QKV_mfma16_kernelI14__hip_bfloat16S0_LN4vllm18Fp8KVCacheDataTypeE0EhLi16ELi128ELi256ELb0ELi12EL8MFMAType0EEvPKT_PKT0_S9_ifPKiSB_SB_iPKfiiiPfSE_PS4_PT2_iSD_SD_, .Lfunc_end625-_Z39paged_attention_ll4mi_QKV_mfma16_kernelI14__hip_bfloat16S0_LN4vllm18Fp8KVCacheDataTypeE0EhLi16ELi128ELi256ELb0ELi12EL8MFMAType0EEvPKT_PKT0_S9_ifPKiSB_SB_iPKfiiiPfSE_PS4_PT2_iSD_SD_
                                        ; -- End function
	.section	.AMDGPU.csdata,"",@progbits
; Kernel info:
; codeLenInByte = 10344
; NumSgprs: 52
; NumVgprs: 218
; ScratchSize: 0
; MemoryBound: 0
; FloatMode: 240
; IeeeMode: 1
; LDSByteSize: 17472 bytes/workgroup (compile time only)
; SGPRBlocks: 6
; VGPRBlocks: 27
; NumSGPRsForWavesPerEU: 52
; NumVGPRsForWavesPerEU: 218
; Occupancy: 6
; WaveLimiterHint : 1
; COMPUTE_PGM_RSRC2:SCRATCH_EN: 0
; COMPUTE_PGM_RSRC2:USER_SGPR: 13
; COMPUTE_PGM_RSRC2:TRAP_HANDLER: 0
; COMPUTE_PGM_RSRC2:TGID_X_EN: 1
; COMPUTE_PGM_RSRC2:TGID_Y_EN: 1
; COMPUTE_PGM_RSRC2:TGID_Z_EN: 1
; COMPUTE_PGM_RSRC2:TIDIG_COMP_CNT: 0
	.section	.text._Z39paged_attention_ll4mi_QKV_mfma16_kernelI14__hip_bfloat16S0_LN4vllm18Fp8KVCacheDataTypeE0EhLi16ELi128ELi256ELb0ELi13EL8MFMAType0EEvPKT_PKT0_S9_ifPKiSB_SB_iPKfiiiPfSE_PS4_PT2_iSD_SD_,"axG",@progbits,_Z39paged_attention_ll4mi_QKV_mfma16_kernelI14__hip_bfloat16S0_LN4vllm18Fp8KVCacheDataTypeE0EhLi16ELi128ELi256ELb0ELi13EL8MFMAType0EEvPKT_PKT0_S9_ifPKiSB_SB_iPKfiiiPfSE_PS4_PT2_iSD_SD_,comdat
	.protected	_Z39paged_attention_ll4mi_QKV_mfma16_kernelI14__hip_bfloat16S0_LN4vllm18Fp8KVCacheDataTypeE0EhLi16ELi128ELi256ELb0ELi13EL8MFMAType0EEvPKT_PKT0_S9_ifPKiSB_SB_iPKfiiiPfSE_PS4_PT2_iSD_SD_ ; -- Begin function _Z39paged_attention_ll4mi_QKV_mfma16_kernelI14__hip_bfloat16S0_LN4vllm18Fp8KVCacheDataTypeE0EhLi16ELi128ELi256ELb0ELi13EL8MFMAType0EEvPKT_PKT0_S9_ifPKiSB_SB_iPKfiiiPfSE_PS4_PT2_iSD_SD_
	.globl	_Z39paged_attention_ll4mi_QKV_mfma16_kernelI14__hip_bfloat16S0_LN4vllm18Fp8KVCacheDataTypeE0EhLi16ELi128ELi256ELb0ELi13EL8MFMAType0EEvPKT_PKT0_S9_ifPKiSB_SB_iPKfiiiPfSE_PS4_PT2_iSD_SD_
	.p2align	8
	.type	_Z39paged_attention_ll4mi_QKV_mfma16_kernelI14__hip_bfloat16S0_LN4vllm18Fp8KVCacheDataTypeE0EhLi16ELi128ELi256ELb0ELi13EL8MFMAType0EEvPKT_PKT0_S9_ifPKiSB_SB_iPKfiiiPfSE_PS4_PT2_iSD_SD_,@function
_Z39paged_attention_ll4mi_QKV_mfma16_kernelI14__hip_bfloat16S0_LN4vllm18Fp8KVCacheDataTypeE0EhLi16ELi128ELi256ELb0ELi13EL8MFMAType0EEvPKT_PKT0_S9_ifPKiSB_SB_iPKfiiiPfSE_PS4_PT2_iSD_SD_: ; @_Z39paged_attention_ll4mi_QKV_mfma16_kernelI14__hip_bfloat16S0_LN4vllm18Fp8KVCacheDataTypeE0EhLi16ELi128ELi256ELb0ELi13EL8MFMAType0EEvPKT_PKT0_S9_ifPKiSB_SB_iPKfiiiPfSE_PS4_PT2_iSD_SD_
; %bb.0:
	s_load_b64 s[4:5], s[0:1], 0x30
	s_mov_b32 s30, s13
	s_waitcnt lgkmcnt(0)
	s_cmp_lg_u64 s[4:5], 0
	s_cselect_b32 s8, -1, 0
	s_ashr_i32 s31, s13, 31
	s_cmp_eq_u64 s[4:5], 0
	s_cbranch_scc1 .LBB626_3
; %bb.1:
	s_lshl_b64 s[2:3], s[30:31], 2
	s_delay_alu instid0(SALU_CYCLE_1) | instskip(SKIP_4) | instid1(SALU_CYCLE_1)
	s_add_u32 s2, s4, s2
	s_addc_u32 s3, s5, s3
	s_load_b64 s[2:3], s[2:3], 0x0
	s_waitcnt lgkmcnt(0)
	s_sub_i32 s2, s3, s2
	s_cmp_eq_u32 s2, 1
	s_cselect_b32 s2, -1, 0
	s_delay_alu instid0(SALU_CYCLE_1)
	s_and_not1_b32 vcc_lo, exec_lo, s2
	s_cbranch_vccz .LBB626_4
.LBB626_2:
	s_nop 0
	s_sendmsg sendmsg(MSG_DEALLOC_VGPRS)
	s_endpgm
.LBB626_3:
.LBB626_4:
	s_load_b64 s[2:3], s[0:1], 0x28
	s_lshl_b64 s[6:7], s[30:31], 2
	s_waitcnt lgkmcnt(0)
	s_add_u32 s2, s2, s6
	s_addc_u32 s3, s3, s7
	s_lshl_b32 s29, s14, 8
	s_load_b32 s28, s[2:3], 0x0
	s_waitcnt lgkmcnt(0)
	s_cmp_ge_i32 s29, s28
	s_cbranch_scc1 .LBB626_2
; %bb.5:
	s_clause 0x1
	s_load_b128 s[20:23], s[0:1], 0x8
	s_load_b64 s[2:3], s[0:1], 0x20
	s_and_not1_b32 vcc_lo, exec_lo, s8
	s_cbranch_vccnz .LBB626_7
; %bb.6:
	s_add_u32 s4, s4, s6
	s_addc_u32 s5, s5, s7
	s_load_b32 s5, s[4:5], 0x0
	s_branch .LBB626_8
.LBB626_7:
	s_mov_b32 s5, s30
.LBB626_8:
	s_load_b128 s[16:19], s[0:1], 0x48
	v_and_b32_e32 v140, 15, v0
	v_lshrrev_b32_e32 v141, 5, v0
	v_bfe_u32 v138, v0, 4, 1
	v_and_b32_e32 v142, 31, v0
	v_and_b32_e32 v139, 1, v0
	v_lshlrev_b32_e32 v2, 3, v140
	s_mul_i32 s31, s15, 13
	v_lshl_or_b32 v1, v141, 1, v138
	s_mov_b32 s4, exec_lo
	s_delay_alu instid0(VALU_DEP_2) | instskip(NEXT) | instid1(VALU_DEP_2)
	v_lshlrev_b32_e32 v137, 1, v2
	v_cmpx_gt_u32_e32 13, v1
	s_cbranch_execz .LBB626_10
; %bb.9:
	s_load_b64 s[6:7], s[0:1], 0x0
	v_add_lshl_u32 v2, v1, s31, 7
	s_waitcnt lgkmcnt(0)
	s_mul_hi_i32 s9, s5, s16
	s_mul_i32 s8, s5, s16
	v_lshlrev_b32_e32 v6, 10, v140
	s_lshl_b64 s[8:9], s[8:9], 1
	v_ashrrev_i32_e32 v3, 31, v2
	v_lshlrev_b32_e32 v1, 6, v1
	v_lshlrev_b32_e32 v7, 10, v139
	v_and_b32_e32 v6, 0x3800, v6
	s_delay_alu instid0(VALU_DEP_4) | instskip(NEXT) | instid1(VALU_DEP_2)
	v_lshlrev_b64 v[2:3], 1, v[2:3]
	v_or3_b32 v1, v6, v7, v1
	s_add_u32 s5, s6, s8
	s_addc_u32 s6, s7, s9
	s_delay_alu instid0(VALU_DEP_2) | instskip(NEXT) | instid1(VALU_DEP_3)
	v_add_co_u32 v2, vcc_lo, s5, v2
	v_add_co_ci_u32_e32 v3, vcc_lo, s6, v3, vcc_lo
	s_delay_alu instid0(VALU_DEP_2) | instskip(NEXT) | instid1(VALU_DEP_2)
	v_add_co_u32 v2, vcc_lo, v2, v137
	v_add_co_ci_u32_e32 v3, vcc_lo, 0, v3, vcc_lo
	global_load_b128 v[2:5], v[2:3], off
	s_waitcnt vmcnt(0)
	ds_store_b128 v1, v[2:5]
.LBB626_10:
	s_or_b32 exec_lo, exec_lo, s4
	v_and_b32_e32 v1, 0xef, v0
	s_waitcnt lgkmcnt(0)
	s_add_i32 s5, s28, 15
	s_clause 0x1
	s_load_b32 s4, s[0:1], 0x38
	s_load_b32 s33, s[0:1], 0x1c
	s_ashr_i32 s6, s5, 31
	v_add_nc_u32_e32 v1, s29, v1
	s_lshr_b32 s6, s6, 28
	s_waitcnt lgkmcnt(0)
	s_add_i32 s5, s5, s6
	s_barrier
	v_ashrrev_i32_e32 v2, 31, v1
	v_cmp_gt_i32_e32 vcc_lo, s28, v1
	s_ashr_i32 s16, s5, 4
	buffer_gl0_inv
	s_add_i32 s16, s16, -1
	v_lshrrev_b32_e32 v3, 28, v2
	v_or_b32_e32 v2, 16, v1
	v_add_nc_u32_e32 v105, -13, v140
	v_lshlrev_b32_e32 v106, 5, v140
	s_delay_alu instid0(VALU_DEP_4) | instskip(NEXT) | instid1(VALU_DEP_4)
	v_add_nc_u32_e32 v4, v1, v3
	v_add_nc_u32_e32 v3, v2, v3
	s_mul_i32 s4, s30, s4
	s_delay_alu instid0(VALU_DEP_3) | instskip(SKIP_4) | instid1(SALU_CYCLE_1)
	v_lshl_or_b32 v125, v141, 9, v106
	s_ashr_i32 s5, s4, 31
	v_ashrrev_i32_e32 v4, 4, v4
	v_ashrrev_i32_e32 v3, 4, v3
	s_lshl_b64 s[4:5], s[4:5], 2
	s_add_u32 s34, s2, s4
	s_delay_alu instid0(VALU_DEP_2) | instskip(SKIP_3) | instid1(VALU_DEP_2)
	v_cndmask_b32_e32 v1, s16, v4, vcc_lo
	v_cmp_gt_i32_e32 vcc_lo, s28, v2
	s_addc_u32 s35, s3, s5
	s_mul_i32 s2, s15, s18
	v_ashrrev_i32_e32 v2, 31, v1
	v_cndmask_b32_e32 v3, s16, v3, vcc_lo
	s_ashr_i32 s3, s2, 31
	s_delay_alu instid0(SALU_CYCLE_1) | instskip(NEXT) | instid1(VALU_DEP_2)
	s_lshl_b64 s[2:3], s[2:3], 1
	v_lshlrev_b64 v[1:2], 2, v[1:2]
	s_delay_alu instid0(VALU_DEP_2) | instskip(SKIP_3) | instid1(VALU_DEP_1)
	v_ashrrev_i32_e32 v4, 31, v3
	s_add_u32 s24, s20, s2
	s_addc_u32 s25, s21, s3
	s_lshl_b32 s4, s14, 4
	v_lshlrev_b64 v[3:4], 2, v[3:4]
	v_add_co_u32 v1, vcc_lo, s34, v1
	v_add_co_ci_u32_e32 v2, vcc_lo, s35, v2, vcc_lo
	s_ashr_i32 s5, s4, 31
	s_delay_alu instid0(VALU_DEP_3) | instskip(NEXT) | instid1(VALU_DEP_4)
	v_add_co_u32 v3, vcc_lo, s34, v3
	v_add_co_ci_u32_e32 v4, vcc_lo, s35, v4, vcc_lo
	s_lshl_b64 s[4:5], s[4:5], 2
	s_clause 0x1
	global_load_b32 v5, v[1:2], off
	global_load_b32 v6, v[3:4], off
	s_add_u32 s4, s34, s4
	s_addc_u32 s5, s35, s5
	s_or_b32 s6, s29, 16
	v_lshlrev_b32_e32 v3, 4, v0
	s_ashr_i32 s7, s6, 4
	s_cmp_lt_i32 s6, s28
	s_cselect_b32 s6, s7, s16
	s_delay_alu instid0(SALU_CYCLE_1) | instskip(NEXT) | instid1(SALU_CYCLE_1)
	s_ashr_i32 s7, s6, 31
	s_lshl_b64 s[6:7], s[6:7], 2
	s_delay_alu instid0(SALU_CYCLE_1) | instskip(SKIP_2) | instid1(SALU_CYCLE_1)
	s_add_u32 s6, s34, s6
	s_addc_u32 s7, s35, s7
	s_or_b32 s8, s29, 32
	s_ashr_i32 s9, s8, 4
	s_cmp_lt_i32 s8, s28
	s_cselect_b32 s8, s9, s16
	s_delay_alu instid0(SALU_CYCLE_1) | instskip(NEXT) | instid1(SALU_CYCLE_1)
	s_ashr_i32 s9, s8, 31
	s_lshl_b64 s[8:9], s[8:9], 2
	s_delay_alu instid0(SALU_CYCLE_1) | instskip(SKIP_2) | instid1(SALU_CYCLE_1)
	s_add_u32 s8, s34, s8
	s_addc_u32 s9, s35, s9
	s_or_b32 s10, s29, 48
	;; [unrolled: 10-line block ×4, first 2 shown]
	s_ashr_i32 s13, s12, 4
	s_cmp_lt_i32 s12, s28
	s_cselect_b32 s12, s13, s16
	s_delay_alu instid0(SALU_CYCLE_1) | instskip(NEXT) | instid1(SALU_CYCLE_1)
	s_ashr_i32 s13, s12, 31
	s_lshl_b64 s[12:13], s[12:13], 2
	s_delay_alu instid0(SALU_CYCLE_1)
	s_add_u32 s20, s34, s12
	s_addc_u32 s21, s35, s13
	s_clause 0x5
	s_load_b32 s36, s[4:5], 0x0
	s_load_b32 s27, s[6:7], 0x0
	;; [unrolled: 1-line block ×6, first 2 shown]
	s_waitcnt vmcnt(1)
	v_mad_i64_i32 v[1:2], null, v5, s17, 0
	v_and_b32_e32 v5, 0xf0, v3
	s_waitcnt vmcnt(0)
	v_mad_i64_i32 v[3:4], null, v6, s17, 0
	s_delay_alu instid0(VALU_DEP_2) | instskip(NEXT) | instid1(VALU_DEP_4)
	v_add_co_u32 v5, s4, s24, v5
	v_lshlrev_b64 v[1:2], 1, v[1:2]
	v_add_co_ci_u32_e64 v6, null, s25, 0, s4
	s_delay_alu instid0(VALU_DEP_4) | instskip(SKIP_1) | instid1(VALU_DEP_3)
	v_lshlrev_b64 v[3:4], 1, v[3:4]
	s_or_b32 s4, s29, 0x60
	v_add_co_u32 v121, vcc_lo, v5, v1
	s_delay_alu instid0(VALU_DEP_3) | instskip(NEXT) | instid1(VALU_DEP_3)
	v_add_co_ci_u32_e32 v122, vcc_lo, v6, v2, vcc_lo
	v_add_co_u32 v123, vcc_lo, v5, v3
	s_delay_alu instid0(VALU_DEP_4)
	v_add_co_ci_u32_e32 v124, vcc_lo, v6, v4, vcc_lo
	s_clause 0x19
	global_load_b128 v[89:92], v[121:122], off
	global_load_b128 v[93:96], v[121:122], off offset:256
	global_load_b128 v[97:100], v[123:124], off
	global_load_b128 v[101:104], v[123:124], off offset:256
	global_load_b128 v[81:84], v[121:122], off offset:512
	;; [unrolled: 1-line block ×23, first 2 shown]
	s_ashr_i32 s5, s4, 4
	s_cmp_lt_i32 s4, s28
	v_cmp_gt_u32_e32 vcc_lo, 13, v140
	s_cselect_b32 s4, s5, s16
	s_delay_alu instid0(SALU_CYCLE_1) | instskip(NEXT) | instid1(SALU_CYCLE_1)
	s_ashr_i32 s5, s4, 31
	s_lshl_b64 s[4:5], s[4:5], 2
	v_cndmask_b32_e32 v105, v105, v140, vcc_lo
	s_add_u32 s18, s34, s4
	s_addc_u32 s19, s35, s5
	s_or_b32 s4, s29, 0x70
	s_delay_alu instid0(SALU_CYCLE_1)
	s_ashr_i32 s5, s4, 4
	s_cmp_lt_i32 s4, s28
	v_lshlrev_b32_e32 v215, 6, v105
	s_cselect_b32 s6, s5, s16
	ds_load_b128 v[105:108], v215
	ds_load_b128 v[109:112], v215 offset:1024
	s_ashr_i32 s7, s6, 31
	ds_load_b128 v[113:116], v215 offset:2048
	ds_load_b128 v[117:120], v215 offset:3072
	;; [unrolled: 1-line block ×8, first 2 shown]
	s_clause 0x1
	global_load_b128 v[167:170], v[123:124], off offset:3072
	global_load_b128 v[171:174], v[123:124], off offset:3328
	s_lshl_b64 s[6:7], s[6:7], 2
	s_mov_b32 s4, 0
	s_add_u32 s20, s34, s6
	s_addc_u32 s21, s35, s7
	s_clause 0x1
	s_load_b32 s42, s[18:19], 0x0
	s_load_b32 s43, s[20:21], 0x0
	s_clause 0x3
	global_load_b128 v[175:178], v[121:122], off offset:3584
	global_load_b128 v[179:182], v[121:122], off offset:3840
	;; [unrolled: 1-line block ×4, first 2 shown]
	s_or_b32 s7, s29, 0x80
	s_mov_b32 s5, s4
	s_ashr_i32 s8, s7, 4
	s_cmp_lt_i32 s7, s28
	s_mov_b32 s6, s4
	s_cselect_b32 s10, s8, s16
	s_mov_b32 s7, s4
	s_ashr_i32 s11, s10, 31
	s_mov_b32 s8, s4
	s_lshl_b64 s[24:25], s[10:11], 2
	s_mov_b32 s9, s4
	s_add_u32 s24, s34, s24
	s_addc_u32 s25, s35, s25
	s_or_b32 s11, s29, 0x90
	s_mov_b32 s10, s4
	s_ashr_i32 s37, s11, 4
	s_cmp_lt_i32 s11, s28
	s_mov_b32 s11, s4
	s_cselect_b32 s38, s37, s16
	v_mov_b32_e32 v136, s11
	s_ashr_i32 s39, s38, 31
	v_dual_mov_b32 v135, s10 :: v_dual_mov_b32 v134, s9
	v_dual_mov_b32 v133, s8 :: v_dual_mov_b32 v132, s7
	;; [unrolled: 1-line block ×3, first 2 shown]
	v_mov_b32_e32 v129, s4
	s_lshl_b64 s[4:5], s[38:39], 2
	s_waitcnt lgkmcnt(0)
	s_mul_hi_i32 s7, s27, s17
	s_add_u32 s38, s34, s4
	s_addc_u32 s39, s35, s5
	s_or_b32 s4, s29, 0xa0
	s_load_b32 s39, s[38:39], 0x0
	s_ashr_i32 s5, s4, 4
	s_cmp_lt_i32 s4, s28
	s_cselect_b32 s4, s5, s16
	s_delay_alu instid0(SALU_CYCLE_1) | instskip(NEXT) | instid1(SALU_CYCLE_1)
	s_ashr_i32 s5, s4, 31
	s_lshl_b64 s[4:5], s[4:5], 2
	s_delay_alu instid0(SALU_CYCLE_1)
	s_add_u32 s40, s34, s4
	s_addc_u32 s41, s35, s5
	s_or_b32 s4, s29, 0xb0
	s_mul_hi_i32 s5, s36, s17
	s_ashr_i32 s6, s4, 4
	s_cmp_lt_i32 s4, s28
	s_mul_i32 s4, s36, s17
	s_cselect_b32 s8, s6, s16
	s_mul_i32 s6, s27, s17
	s_ashr_i32 s9, s8, 31
	s_load_b32 s38, s[40:41], 0x0
	s_lshl_b64 s[10:11], s[8:9], 2
	s_mul_hi_i32 s9, s26, s17
	s_add_u32 s36, s34, s10
	s_addc_u32 s37, s35, s11
	s_or_b32 s10, s29, 0xc0
	s_mul_i32 s8, s26, s17
	s_ashr_i32 s26, s10, 4
	s_cmp_lt_i32 s10, s28
	s_mul_hi_i32 s11, s13, s17
	s_cselect_b32 s26, s26, s16
	s_mul_i32 s10, s13, s17
	s_ashr_i32 s27, s26, 31
	s_mul_hi_i32 s13, s12, s17
	s_lshl_b64 s[26:27], s[26:27], 2
	s_mul_i32 s12, s12, s17
	s_add_u32 s20, s34, s26
	s_addc_u32 s21, s35, s27
	s_or_b32 s18, s29, 0xd0
	s_load_b32 s26, s[24:25], 0x0
	s_ashr_i32 s19, s18, 4
	s_cmp_lt_i32 s18, s28
	s_mul_i32 s18, s15, s17
	s_cselect_b32 s24, s19, s16
	s_mul_hi_i32 s19, s15, s17
	s_ashr_i32 s25, s24, 31
	s_waitcnt lgkmcnt(0)
	s_mul_hi_i32 s41, s39, s17
	s_lshl_b64 s[24:25], s[24:25], 2
	s_delay_alu instid0(SALU_CYCLE_1)
	s_add_u32 s24, s34, s24
	s_addc_u32 s25, s35, s25
	s_or_b32 s40, s29, 0xe0
	s_clause 0x2
	s_load_b32 s37, s[36:37], 0x0
	s_load_b32 s36, s[20:21], 0x0
	;; [unrolled: 1-line block ×3, first 2 shown]
	s_ashr_i32 s44, s40, 4
	s_cmp_lt_i32 s40, s28
	s_mul_hi_i32 s21, s42, s17
	s_mul_i32 s20, s42, s17
	s_cselect_b32 s42, s44, s16
	s_mul_hi_i32 s25, s43, s17
	s_mul_i32 s24, s43, s17
	s_ashr_i32 s43, s42, 31
	s_mul_hi_i32 s27, s26, s17
	s_lshl_b64 s[42:43], s[42:43], 2
	s_mul_i32 s26, s26, s17
	s_add_u32 s42, s34, s42
	s_addc_u32 s43, s35, s43
	s_or_b32 s44, s29, 0xf0
	s_mul_i32 s40, s39, s17
	s_ashr_i32 s46, s44, 4
	s_cmp_lt_i32 s44, s28
	s_mul_hi_i32 s39, s38, s17
	s_cselect_b32 s46, s46, s16
	s_waitcnt lgkmcnt(0)
	s_mul_hi_i32 s49, s15, s17
	s_ashr_i32 s47, s46, 31
	s_mul_i32 s48, s15, s17
	s_lshl_b64 s[46:47], s[46:47], 2
	s_mul_i32 s38, s38, s17
	s_add_u32 s34, s34, s46
	s_addc_u32 s35, s35, s47
	s_add_u32 s15, s22, s2
	s_addc_u32 s16, s23, s3
	v_add_co_u32 v216, s15, s15, v125
	s_delay_alu instid0(VALU_DEP_1) | instskip(SKIP_2) | instid1(VALU_DEP_2)
	v_add_co_ci_u32_e64 v217, null, s16, 0, s15
	s_lshl_b64 s[2:3], s[4:5], 1
	s_lshl_b64 s[4:5], s[6:7], 1
	v_add_co_u32 v125, vcc_lo, v216, s2
	s_delay_alu instid0(VALU_DEP_2)
	v_add_co_ci_u32_e32 v126, vcc_lo, s3, v217, vcc_lo
	v_add_co_u32 v199, vcc_lo, v216, s4
	s_lshl_b64 s[6:7], s[8:9], 1
	v_add_co_ci_u32_e32 v200, vcc_lo, s5, v217, vcc_lo
	s_lshl_b64 s[8:9], s[10:11], 1
	s_lshl_b64 s[10:11], s[12:13], 1
	;; [unrolled: 1-line block ×8, first 2 shown]
	s_mul_hi_i32 s45, s37, s17
	s_mul_i32 s44, s37, s17
	s_mul_hi_i32 s37, s36, s17
	s_lshl_b64 s[38:39], s[44:45], 1
	s_mul_i32 s36, s36, s17
	s_clause 0x1
	s_load_b32 s15, s[42:43], 0x0
	s_load_b32 s16, s[34:35], 0x0
	s_lshl_b64 s[36:37], s[36:37], 1
	s_lshl_b64 s[40:41], s[48:49], 1
	s_waitcnt lgkmcnt(0)
	s_mul_hi_i32 s3, s15, s17
	s_mul_i32 s2, s15, s17
	s_mul_hi_i32 s5, s16, s17
	s_lshl_b64 s[2:3], s[2:3], 1
	s_mul_i32 s4, s16, s17
	s_waitcnt vmcnt(30)
	v_wmma_f32_16x16x16_bf16 v[191:198], v[89:96], v[105:112], v[129:136]
	v_add_co_u32 v89, vcc_lo, v216, s6
	v_add_co_ci_u32_e32 v90, vcc_lo, s7, v217, vcc_lo
	v_add_co_u32 v91, vcc_lo, v216, s8
	v_add_co_ci_u32_e32 v92, vcc_lo, s9, v217, vcc_lo
	;; [unrolled: 2-line block ×5, first 2 shown]
	v_add_co_u32 v205, vcc_lo, v216, s20
	s_waitcnt vmcnt(28)
	v_wmma_f32_16x16x16_bf16 v[129:136], v[97:104], v[105:112], v[129:136]
	v_add_co_ci_u32_e32 v206, vcc_lo, s21, v217, vcc_lo
	v_add_co_u32 v207, vcc_lo, v216, s22
	v_add_co_ci_u32_e32 v208, vcc_lo, s23, v217, vcc_lo
	v_add_co_u32 v209, vcc_lo, v216, s24
	s_waitcnt vmcnt(26)
	v_wmma_f32_16x16x16_bf16 v[191:198], v[81:88], v[113:120], v[191:198]
	s_waitcnt vmcnt(24)
	v_wmma_f32_16x16x16_bf16 v[129:136], v[73:80], v[113:120], v[129:136]
	v_add_co_ci_u32_e32 v210, vcc_lo, s25, v217, vcc_lo
	v_add_co_u32 v211, vcc_lo, v216, s26
	v_add_co_ci_u32_e32 v212, vcc_lo, s27, v217, vcc_lo
	v_add_co_u32 v213, vcc_lo, v216, s38
	s_waitcnt vmcnt(22)
	v_wmma_f32_16x16x16_bf16 v[191:198], v[65:72], v[143:150], v[191:198]
	s_waitcnt vmcnt(20)
	v_wmma_f32_16x16x16_bf16 v[129:136], v[57:64], v[143:150], v[129:136]
	v_add_co_ci_u32_e32 v214, vcc_lo, s39, v217, vcc_lo
	v_add_co_u32 v143, vcc_lo, v216, s36
	s_waitcnt vmcnt(18)
	v_wmma_f32_16x16x16_bf16 v[191:198], v[49:56], v[151:158], v[191:198]
	s_waitcnt vmcnt(16)
	v_wmma_f32_16x16x16_bf16 v[129:136], v[41:48], v[151:158], v[129:136]
	v_add_co_ci_u32_e32 v144, vcc_lo, s37, v217, vcc_lo
	s_clause 0x15
	global_load_b128 v[121:124], v[125:126], off
	global_load_b128 v[125:128], v[125:126], off offset:16
	global_load_b128 v[113:116], v[199:200], off
	global_load_b128 v[117:120], v[199:200], off offset:16
	;; [unrolled: 2-line block ×11, first 2 shown]
	s_waitcnt vmcnt(36)
	v_wmma_f32_16x16x16_bf16 v[191:198], v[17:24], v[159:166], v[191:198]
	s_clause 0x1
	global_load_b128 v[17:20], v[213:214], off
	global_load_b128 v[21:24], v[213:214], off offset:16
	s_waitcnt vmcnt(36)
	v_wmma_f32_16x16x16_bf16 v[129:136], v[1:8], v[159:166], v[129:136]
	s_clause 0x1
	global_load_b128 v[1:4], v[143:144], off
	global_load_b128 v[5:8], v[143:144], off offset:16
	ds_load_b128 v[143:146], v215 offset:10240
	ds_load_b128 v[147:150], v215 offset:11264
	;; [unrolled: 1-line block ×4, first 2 shown]
	v_add_co_u32 v199, vcc_lo, v216, s40
	v_add_co_ci_u32_e32 v200, vcc_lo, s41, v217, vcc_lo
	v_add_co_u32 v159, vcc_lo, v216, s2
	v_add_co_ci_u32_e32 v160, vcc_lo, s3, v217, vcc_lo
	s_lshl_b64 s[2:3], s[4:5], 1
	s_delay_alu instid0(SALU_CYCLE_1)
	v_add_co_u32 v161, vcc_lo, v216, s2
	v_add_co_ci_u32_e32 v162, vcc_lo, s3, v217, vcc_lo
	s_waitcnt vmcnt(36) lgkmcnt(2)
	v_wmma_f32_16x16x16_bf16 v[191:198], v[25:32], v[143:150], v[191:198]
	s_waitcnt vmcnt(34)
	v_wmma_f32_16x16x16_bf16 v[129:136], v[33:40], v[143:150], v[129:136]
	s_clause 0x3
	global_load_b128 v[25:28], v[199:200], off
	global_load_b128 v[29:32], v[199:200], off offset:16
	global_load_b128 v[33:36], v[159:160], off
	global_load_b128 v[37:40], v[159:160], off offset:16
	v_and_b32_e32 v143, 0xe0, v0
	v_mbcnt_lo_u32_b32 v159, -1, 0
	s_waitcnt vmcnt(36) lgkmcnt(0)
	v_wmma_f32_16x16x16_bf16 v[191:198], v[9:16], v[151:158], v[191:198]
	s_clause 0x1
	global_load_b128 v[9:12], v[161:162], off
	global_load_b128 v[13:16], v[161:162], off offset:16
	s_waitcnt vmcnt(36)
	v_wmma_f32_16x16x16_bf16 v[129:136], v[167:174], v[151:158], v[129:136]
	v_add_nc_u32_e32 v160, s29, v143
	ds_load_b128 v[143:146], v215 offset:14336
	ds_load_b128 v[147:150], v215 offset:15360
	v_xor_b32_e32 v151, 16, v159
	s_waitcnt vmcnt(0) lgkmcnt(0)
	s_barrier
	v_or_b32_e32 v152, v160, v138
	buffer_gl0_inv
	v_cmp_gt_i32_e32 vcc_lo, 32, v151
	v_or_b32_e32 v153, 2, v152
	v_or_b32_e32 v154, 4, v152
	;; [unrolled: 1-line block ×5, first 2 shown]
	v_cmp_gt_i32_e64 s2, s28, v153
	v_cmp_gt_i32_e64 s3, s28, v154
	;; [unrolled: 1-line block ×3, first 2 shown]
	v_or_b32_e32 v158, 12, v152
	v_cmp_gt_i32_e64 s5, s28, v156
	v_cmp_gt_i32_e64 s6, s28, v157
	v_wmma_f32_16x16x16_bf16 v[191:198], v[175:182], v[143:150], v[191:198]
	v_wmma_f32_16x16x16_bf16 v[129:136], v[183:190], v[143:150], v[129:136]
	v_cndmask_b32_e32 v151, v159, v151, vcc_lo
	v_cmp_gt_i32_e32 vcc_lo, s28, v152
	v_or_b32_e32 v159, 14, v152
	v_dual_mul_f32 v149, s33, v192 :: v_dual_mul_f32 v150, s33, v191
	v_dual_mul_f32 v147, s33, v194 :: v_dual_mul_f32 v148, s33, v193
	v_mul_f32_e32 v145, s33, v196
	s_delay_alu instid0(VALU_DEP_3) | instskip(NEXT) | instid1(VALU_DEP_4)
	v_cndmask_b32_e64 v149, 0xff7fffff, v149, s2
	v_cndmask_b32_e32 v150, 0xff7fffff, v150, vcc_lo
	v_mul_f32_e32 v146, s33, v195
	v_cndmask_b32_e64 v148, 0xff7fffff, v148, s3
	v_cndmask_b32_e64 v147, 0xff7fffff, v147, s4
	v_or_b32_e32 v160, 16, v152
	v_max3_f32 v149, v150, 0xff7fffff, v149
	v_or_b32_e32 v161, 18, v152
	v_dual_mul_f32 v143, s33, v198 :: v_dual_mul_f32 v144, s33, v197
	v_cndmask_b32_e64 v146, 0xff7fffff, v146, s5
	v_cndmask_b32_e64 v145, 0xff7fffff, v145, s6
	v_max3_f32 v147, v149, v148, v147
	v_cmp_gt_i32_e64 s7, s28, v158
	v_cmp_gt_i32_e64 s8, s28, v159
	v_or_b32_e32 v162, 20, v152
	v_or_b32_e32 v163, 22, v152
	v_dual_mul_f32 v174, s33, v130 :: v_dual_mul_f32 v175, s33, v129
	v_cndmask_b32_e64 v144, 0xff7fffff, v144, s7
	v_cndmask_b32_e64 v143, 0xff7fffff, v143, s8
	v_max3_f32 v145, v147, v146, v145
	v_cmp_gt_i32_e64 s9, s28, v160
	v_cmp_gt_i32_e64 s10, s28, v161
	v_or_b32_e32 v164, 24, v152
	;; [unrolled: 8-line block ×3, first 2 shown]
	v_or_b32_e32 v167, 30, v152
	v_dual_mul_f32 v170, s33, v134 :: v_dual_mul_f32 v171, s33, v133
	v_cndmask_b32_e64 v144, 0xff7fffff, v173, s11
	v_cndmask_b32_e64 v145, 0xff7fffff, v172, s12
	v_max3_f32 v143, v143, v146, v147
	v_cmp_gt_i32_e64 s13, s28, v164
	v_cmp_gt_i32_e64 s15, s28, v165
	v_dual_mul_f32 v168, s33, v136 :: v_dual_mul_f32 v169, s33, v135
	s_delay_alu instid0(VALU_DEP_4) | instskip(NEXT) | instid1(VALU_DEP_4)
	v_max3_f32 v143, v143, v144, v145
	v_cndmask_b32_e64 v146, 0xff7fffff, v171, s13
	s_delay_alu instid0(VALU_DEP_4) | instskip(SKIP_3) | instid1(VALU_DEP_4)
	v_cndmask_b32_e64 v147, 0xff7fffff, v170, s15
	v_cmp_gt_i32_e64 s16, s28, v166
	v_cmp_gt_i32_e64 s17, s28, v167
	v_lshlrev_b32_e32 v154, 2, v151
	v_max3_f32 v143, v143, v146, v147
	s_delay_alu instid0(VALU_DEP_4) | instskip(NEXT) | instid1(VALU_DEP_4)
	v_cndmask_b32_e64 v144, 0xff7fffff, v169, s16
	v_cndmask_b32_e64 v145, 0xff7fffff, v168, s17
	s_delay_alu instid0(VALU_DEP_1) | instskip(SKIP_3) | instid1(VALU_DEP_1)
	v_max3_f32 v143, v143, v144, v145
	ds_bpermute_b32 v144, v154, v143
	s_waitcnt lgkmcnt(0)
	v_max_f32_e32 v144, v144, v144
	v_max_f32_e32 v153, v143, v144
	s_delay_alu instid0(VALU_DEP_1) | instskip(SKIP_4) | instid1(VALU_DEP_4)
	v_fma_f32 v143, s33, v191, -v153
	v_fma_f32 v144, s33, v192, -v153
	;; [unrolled: 1-line block ×5, first 2 shown]
	v_dual_mul_f32 v143, 0x3fb8aa3b, v143 :: v_dual_mul_f32 v144, 0x3fb8aa3b, v144
	s_delay_alu instid0(VALU_DEP_4) | instskip(SKIP_2) | instid1(VALU_DEP_4)
	v_mul_f32_e32 v132, 0x3fb8aa3b, v132
	v_fma_f32 v134, s33, v134, -v153
	v_mul_f32_e32 v145, 0x3fb8aa3b, v145
	v_exp_f32_e32 v143, v143
	v_exp_f32_e32 v147, v144
	v_fma_f32 v148, s33, v195, -v153
	v_mul_f32_e32 v134, 0x3fb8aa3b, v134
	v_mul_f32_e32 v146, 0x3fb8aa3b, v146
	v_exp_f32_e32 v145, v145
	v_fma_f32 v151, s33, v197, -v153
	v_mul_f32_e32 v148, 0x3fb8aa3b, v148
	v_fma_f32 v129, s33, v129, -v153
	v_exp_f32_e32 v149, v146
	v_cndmask_b32_e32 v144, 0, v143, vcc_lo
	v_fma_f32 v143, s33, v196, -v153
	v_cndmask_b32_e64 v146, 0, v147, s2
	v_exp_f32_e32 v148, v148
	s_delay_alu instid0(VALU_DEP_3) | instskip(NEXT) | instid1(VALU_DEP_3)
	v_dual_mul_f32 v151, 0x3fb8aa3b, v151 :: v_dual_add_f32 v150, 0, v144
	v_mul_f32_e32 v143, 0x3fb8aa3b, v143
	v_cndmask_b32_e64 v147, 0, v145, s3
	v_fma_f32 v130, s33, v130, -v153
	s_delay_alu instid0(TRANS32_DEP_2)
	v_cndmask_b32_e64 v149, 0, v149, s4
	v_add_f32_e32 v145, v150, v146
	v_fma_f32 v150, s33, v198, -v153
	v_exp_f32_e32 v143, v143
	v_exp_f32_e32 v155, v151
	v_mul_f32_e32 v129, 0x3fb8aa3b, v129
	s_delay_alu instid0(VALU_DEP_2) | instskip(SKIP_2) | instid1(VALU_DEP_3)
	v_dual_add_f32 v145, v145, v147 :: v_dual_mul_f32 v152, 0x3fb8aa3b, v150
	v_cndmask_b32_e64 v150, 0, v148, s5
	v_fma_f32 v131, s33, v131, -v153
	v_dual_mul_f32 v130, 0x3fb8aa3b, v130 :: v_dual_add_f32 v145, v145, v149
	s_delay_alu instid0(VALU_DEP_4) | instskip(NEXT) | instid1(TRANS32_DEP_3)
	v_exp_f32_e32 v152, v152
	v_cndmask_b32_e64 v151, 0, v143, s6
	v_exp_f32_e32 v129, v129
	s_delay_alu instid0(TRANS32_DEP_3)
	v_cndmask_b32_e64 v148, 0, v155, s7
	v_add_f32_e32 v143, v145, v150
	v_mul_f32_e32 v131, 0x3fb8aa3b, v131
	v_exp_f32_e32 v130, v130
	v_fma_f32 v133, s33, v133, -v153
	v_fma_f32 v136, s33, v136, -v153
	v_add_f32_e32 v143, v143, v151
	v_cndmask_b32_e64 v152, 0, v152, s8
	v_exp_f32_e32 v145, v131
	v_cndmask_b32_e64 v131, 0, v129, s9
	v_mul_f32_e32 v133, 0x3fb8aa3b, v133
	v_add_f32_e32 v143, v143, v148
	v_cmp_gt_u32_e64 s2, 16, v142
	s_delay_alu instid0(VALU_DEP_2)
	v_add_f32_e32 v129, v143, v152
	v_exp_f32_e32 v143, v132
	v_cndmask_b32_e64 v132, 0, v130, s10
	v_fma_f32 v130, s33, v135, -v153
	v_exp_f32_e32 v135, v133
	v_add_f32_e32 v129, v129, v131
	v_cndmask_b32_e64 v133, 0, v145, s11
	v_exp_f32_e32 v145, v134
	s_delay_alu instid0(VALU_DEP_2) | instskip(NEXT) | instid1(TRANS32_DEP_3)
	v_dual_mul_f32 v130, 0x3fb8aa3b, v130 :: v_dual_add_f32 v129, v129, v132
	v_cndmask_b32_e64 v134, 0, v143, s12
	v_mul_f32_e32 v143, 0x3fb8aa3b, v136
	s_delay_alu instid0(VALU_DEP_3) | instskip(NEXT) | instid1(TRANS32_DEP_3)
	v_exp_f32_e32 v130, v130
	v_cndmask_b32_e64 v135, 0, v135, s13
	v_add_f32_e32 v129, v129, v133
	s_delay_alu instid0(TRANS32_DEP_2) | instskip(SKIP_1) | instid1(VALU_DEP_2)
	v_cndmask_b32_e64 v136, 0, v145, s15
	v_exp_f32_e32 v145, v143
	v_add_f32_e32 v129, v129, v134
	s_waitcnt_depctr 0xfff
	v_cndmask_b32_e64 v143, 0, v130, s16
	v_add_f32_e32 v129, v129, v135
	v_cndmask_b32_e64 v145, 0, v145, s17
	s_delay_alu instid0(VALU_DEP_2) | instskip(NEXT) | instid1(VALU_DEP_1)
	v_add_f32_e32 v129, v129, v136
	v_add_f32_e32 v129, v129, v143
	s_delay_alu instid0(VALU_DEP_1)
	v_add_f32_e32 v129, v129, v145
	ds_bpermute_b32 v130, v154, v129
	s_and_saveexec_b32 s3, s2
	s_cbranch_execz .LBB626_12
; %bb.11:
	v_mul_u32_u24_e32 v142, 0x44, v141
	s_waitcnt lgkmcnt(0)
	v_add_f32_e32 v129, v129, v130
	s_delay_alu instid0(VALU_DEP_2) | instskip(NEXT) | instid1(VALU_DEP_1)
	v_lshl_add_u32 v142, v140, 2, v142
	v_add_nc_u32_e32 v130, 0x4000, v142
	ds_store_2addr_b32 v130, v153, v129 offset1:136
.LBB626_12:
	s_or_b32 exec_lo, exec_lo, s3
	v_lshlrev_b32_e32 v129, 2, v140
	s_waitcnt lgkmcnt(0)
	s_barrier
	buffer_gl0_inv
	v_cmp_eq_u32_e64 s3, 1, v141
	v_add_nc_u32_e32 v142, 0x4000, v129
	ds_load_2addr_b32 v[153:154], v142 offset1:17
	ds_load_2addr_b32 v[155:156], v142 offset0:34 offset1:51
	ds_load_2addr_b32 v[157:158], v142 offset0:68 offset1:85
	;; [unrolled: 1-line block ×4, first 2 shown]
	s_waitcnt lgkmcnt(4)
	v_max3_f32 v129, v153, 0xff7fffff, v154
	s_waitcnt lgkmcnt(3)
	s_delay_alu instid0(VALU_DEP_1) | instskip(SKIP_1) | instid1(VALU_DEP_1)
	v_max3_f32 v129, v129, v155, v156
	s_waitcnt lgkmcnt(2)
	v_max3_f32 v129, v129, v157, v158
	s_waitcnt lgkmcnt(1)
	s_delay_alu instid0(VALU_DEP_1) | instskip(NEXT) | instid1(VALU_DEP_1)
	v_max3_f32 v129, v129, v159, v160
	v_sub_f32_e32 v163, v154, v129
	v_sub_f32_e32 v130, v153, v129
	ds_load_2addr_b32 v[153:154], v142 offset0:170 offset1:187
	v_sub_f32_e32 v155, v155, v129
	v_dual_mul_f32 v163, 0x3fb8aa3b, v163 :: v_dual_mul_f32 v130, 0x3fb8aa3b, v130
	s_delay_alu instid0(VALU_DEP_2) | instskip(NEXT) | instid1(VALU_DEP_2)
	v_mul_f32_e32 v165, 0x3fb8aa3b, v155
	v_exp_f32_e32 v163, v163
	s_delay_alu instid0(VALU_DEP_2)
	v_exp_f32_e32 v164, v130
	v_sub_f32_e32 v130, v156, v129
	ds_load_2addr_b32 v[155:156], v142 offset0:204 offset1:221
	v_exp_f32_e32 v165, v165
	v_mul_f32_e32 v166, 0x3fb8aa3b, v130
	s_waitcnt lgkmcnt(2)
	v_fma_f32 v130, v164, v161, 0
	v_sub_f32_e32 v157, v157, v129
	s_delay_alu instid0(VALU_DEP_3) | instskip(NEXT) | instid1(VALU_DEP_2)
	v_exp_f32_e32 v166, v166
	v_dual_sub_f32 v161, v158, v129 :: v_dual_fmac_f32 v130, v163, v162
	s_waitcnt lgkmcnt(1)
	s_waitcnt_depctr 0xfff
	v_fmac_f32_e32 v130, v165, v153
	v_mul_f32_e32 v167, 0x3fb8aa3b, v157
	ds_load_2addr_b32 v[157:158], v142 offset0:238 offset1:255
	v_sub_f32_e32 v142, v159, v129
	v_dual_sub_f32 v153, v160, v129 :: v_dual_fmac_f32 v130, v166, v154
	v_mul_f32_e32 v159, 0x3fb8aa3b, v161
	v_exp_f32_e32 v161, v167
	s_delay_alu instid0(VALU_DEP_2)
	v_dual_mul_f32 v142, 0x3fb8aa3b, v142 :: v_dual_mul_f32 v153, 0x3fb8aa3b, v153
	s_waitcnt lgkmcnt(0)
	s_barrier
	buffer_gl0_inv
	v_exp_f32_e32 v142, v142
	v_exp_f32_e32 v153, v153
	v_fmac_f32_e32 v130, v161, v155
	v_exp_f32_e32 v159, v159
	s_waitcnt_depctr 0xfff
	v_fmac_f32_e32 v130, v159, v156
	s_delay_alu instid0(VALU_DEP_1) | instskip(NEXT) | instid1(VALU_DEP_1)
	v_fmac_f32_e32 v130, v142, v157
	v_fmac_f32_e32 v130, v153, v158
	s_delay_alu instid0(VALU_DEP_1) | instskip(NEXT) | instid1(VALU_DEP_1)
	v_add_f32_e32 v154, 0x358637bd, v130
	v_div_scale_f32 v155, null, v154, v154, 1.0
	v_div_scale_f32 v158, vcc_lo, 1.0, v154, 1.0
	s_delay_alu instid0(VALU_DEP_2) | instskip(SKIP_2) | instid1(VALU_DEP_1)
	v_rcp_f32_e32 v156, v155
	s_waitcnt_depctr 0xfff
	v_fma_f32 v157, -v155, v156, 1.0
	v_fmac_f32_e32 v156, v157, v156
	v_cndmask_b32_e64 v157, v164, v163, s3
	v_cmp_eq_u32_e64 s3, 2, v141
	s_delay_alu instid0(VALU_DEP_3) | instskip(NEXT) | instid1(VALU_DEP_2)
	v_mul_f32_e32 v160, v158, v156
	v_cndmask_b32_e64 v157, v157, v165, s3
	v_cmp_eq_u32_e64 s3, 3, v141
	s_delay_alu instid0(VALU_DEP_3) | instskip(NEXT) | instid1(VALU_DEP_2)
	v_fma_f32 v162, -v155, v160, v158
	v_cndmask_b32_e64 v157, v157, v166, s3
	v_cmp_eq_u32_e64 s3, 4, v141
	s_delay_alu instid0(VALU_DEP_3) | instskip(NEXT) | instid1(VALU_DEP_2)
	v_fmac_f32_e32 v160, v162, v156
	v_cndmask_b32_e64 v157, v157, v161, s3
	s_delay_alu instid0(VALU_DEP_2) | instskip(SKIP_1) | instid1(VALU_DEP_2)
	v_fma_f32 v155, -v155, v160, v158
	v_cmp_eq_u32_e64 s3, 5, v141
	v_div_fmas_f32 v155, v155, v156, v160
	s_delay_alu instid0(VALU_DEP_2) | instskip(SKIP_2) | instid1(VALU_DEP_3)
	v_cndmask_b32_e64 v157, v157, v159, s3
	v_cmp_eq_u32_e32 vcc_lo, 6, v141
	s_mov_b32 s3, exec_lo
	v_div_fixup_f32 v154, v155, v154, 1.0
	s_delay_alu instid0(VALU_DEP_3) | instskip(SKIP_1) | instid1(VALU_DEP_2)
	v_cndmask_b32_e32 v142, v157, v142, vcc_lo
	v_cmp_eq_u32_e32 vcc_lo, 7, v141
	v_cndmask_b32_e32 v142, v142, v153, vcc_lo
	s_delay_alu instid0(VALU_DEP_1) | instskip(NEXT) | instid1(VALU_DEP_1)
	v_mul_f32_e32 v142, v142, v154
	v_mul_f32_e32 v153, v142, v149
	;; [unrolled: 1-line block ×7, first 2 shown]
	v_dual_mul_f32 v150, v142, v147 :: v_dual_and_b32 v155, 0x7f800000, v154
	v_mul_f32_e32 v149, v142, v146
                                        ; implicit-def: $vgpr146
	s_delay_alu instid0(VALU_DEP_2)
	v_cmpx_ne_u32_e32 0x7f800000, v155
	s_xor_b32 s3, exec_lo, s3
; %bb.13:
	v_bfe_u32 v146, v154, 16, 1
	s_delay_alu instid0(VALU_DEP_1)
	v_add3_u32 v146, v154, v146, 0x7fff
                                        ; implicit-def: $vgpr154
; %bb.14:
	s_and_not1_saveexec_b32 s3, s3
; %bb.15:
	v_and_b32_e32 v146, 0xffff, v154
	v_or_b32_e32 v147, 0x10000, v154
	s_delay_alu instid0(VALU_DEP_2) | instskip(NEXT) | instid1(VALU_DEP_2)
	v_cmp_eq_u32_e32 vcc_lo, 0, v146
	v_cndmask_b32_e32 v146, v147, v154, vcc_lo
; %bb.16:
	s_or_b32 exec_lo, exec_lo, s3
	v_and_b32_e32 v147, 0x7f800000, v149
	s_delay_alu instid0(VALU_DEP_1) | instskip(SKIP_1) | instid1(SALU_CYCLE_1)
	v_cmp_ne_u32_e32 vcc_lo, 0x7f800000, v147
                                        ; implicit-def: $vgpr147
	s_and_saveexec_b32 s3, vcc_lo
	s_xor_b32 s3, exec_lo, s3
; %bb.17:
	v_bfe_u32 v147, v149, 16, 1
	s_delay_alu instid0(VALU_DEP_1)
	v_add3_u32 v147, v149, v147, 0x7fff
                                        ; implicit-def: $vgpr149
; %bb.18:
	s_and_not1_saveexec_b32 s3, s3
; %bb.19:
	v_and_b32_e32 v147, 0xffff, v149
	v_or_b32_e32 v154, 0x10000, v149
	s_delay_alu instid0(VALU_DEP_2) | instskip(NEXT) | instid1(VALU_DEP_2)
	v_cmp_eq_u32_e32 vcc_lo, 0, v147
	v_cndmask_b32_e32 v147, v154, v149, vcc_lo
; %bb.20:
	s_or_b32 exec_lo, exec_lo, s3
	v_and_b32_e32 v149, 0x7f800000, v150
	s_delay_alu instid0(VALU_DEP_1) | instskip(SKIP_1) | instid1(SALU_CYCLE_1)
	v_cmp_ne_u32_e32 vcc_lo, 0x7f800000, v149
                                        ; implicit-def: $vgpr149
	s_and_saveexec_b32 s3, vcc_lo
	s_xor_b32 s3, exec_lo, s3
; %bb.21:
	v_bfe_u32 v149, v150, 16, 1
	s_delay_alu instid0(VALU_DEP_1)
	v_add3_u32 v149, v150, v149, 0x7fff
                                        ; implicit-def: $vgpr150
; %bb.22:
	s_and_not1_saveexec_b32 s3, s3
; %bb.23:
	v_and_b32_e32 v149, 0xffff, v150
	v_or_b32_e32 v154, 0x10000, v150
	s_delay_alu instid0(VALU_DEP_2) | instskip(NEXT) | instid1(VALU_DEP_2)
	v_cmp_eq_u32_e32 vcc_lo, 0, v149
	v_cndmask_b32_e32 v149, v154, v150, vcc_lo
; %bb.24:
	s_or_b32 exec_lo, exec_lo, s3
	v_and_b32_e32 v150, 0x7f800000, v153
	s_delay_alu instid0(VALU_DEP_1) | instskip(SKIP_1) | instid1(SALU_CYCLE_1)
	v_cmp_ne_u32_e32 vcc_lo, 0x7f800000, v150
                                        ; implicit-def: $vgpr150
	s_and_saveexec_b32 s3, vcc_lo
	s_xor_b32 s3, exec_lo, s3
; %bb.25:
	v_bfe_u32 v150, v153, 16, 1
	s_delay_alu instid0(VALU_DEP_1)
	v_add3_u32 v150, v153, v150, 0x7fff
                                        ; implicit-def: $vgpr153
; %bb.26:
	s_and_not1_saveexec_b32 s3, s3
; %bb.27:
	v_and_b32_e32 v150, 0xffff, v153
	v_or_b32_e32 v154, 0x10000, v153
	s_delay_alu instid0(VALU_DEP_2) | instskip(NEXT) | instid1(VALU_DEP_2)
	v_cmp_eq_u32_e32 vcc_lo, 0, v150
	v_cndmask_b32_e32 v150, v154, v153, vcc_lo
; %bb.28:
	s_or_b32 exec_lo, exec_lo, s3
	v_and_b32_e32 v153, 0x7f800000, v152
	s_delay_alu instid0(VALU_DEP_1) | instskip(SKIP_1) | instid1(SALU_CYCLE_1)
	v_cmp_ne_u32_e32 vcc_lo, 0x7f800000, v153
                                        ; implicit-def: $vgpr153
	s_and_saveexec_b32 s3, vcc_lo
	s_xor_b32 s3, exec_lo, s3
; %bb.29:
	v_bfe_u32 v153, v152, 16, 1
	s_delay_alu instid0(VALU_DEP_1)
	v_add3_u32 v153, v152, v153, 0x7fff
                                        ; implicit-def: $vgpr152
; %bb.30:
	s_and_not1_saveexec_b32 s3, s3
; %bb.31:
	v_and_b32_e32 v153, 0xffff, v152
	v_or_b32_e32 v154, 0x10000, v152
	s_delay_alu instid0(VALU_DEP_2) | instskip(NEXT) | instid1(VALU_DEP_2)
	v_cmp_eq_u32_e32 vcc_lo, 0, v153
	v_cndmask_b32_e32 v153, v154, v152, vcc_lo
; %bb.32:
	s_or_b32 exec_lo, exec_lo, s3
	v_and_b32_e32 v152, 0x7f800000, v151
	s_delay_alu instid0(VALU_DEP_1) | instskip(SKIP_1) | instid1(SALU_CYCLE_1)
	v_cmp_ne_u32_e32 vcc_lo, 0x7f800000, v152
                                        ; implicit-def: $vgpr152
	s_and_saveexec_b32 s3, vcc_lo
	s_xor_b32 s3, exec_lo, s3
; %bb.33:
	v_bfe_u32 v152, v151, 16, 1
	s_delay_alu instid0(VALU_DEP_1)
	v_add3_u32 v152, v151, v152, 0x7fff
                                        ; implicit-def: $vgpr151
; %bb.34:
	s_and_not1_saveexec_b32 s3, s3
; %bb.35:
	v_and_b32_e32 v152, 0xffff, v151
	v_or_b32_e32 v154, 0x10000, v151
	s_delay_alu instid0(VALU_DEP_2) | instskip(NEXT) | instid1(VALU_DEP_2)
	v_cmp_eq_u32_e32 vcc_lo, 0, v152
	v_cndmask_b32_e32 v152, v154, v151, vcc_lo
; %bb.36:
	s_or_b32 exec_lo, exec_lo, s3
	v_and_b32_e32 v151, 0x7f800000, v148
	s_delay_alu instid0(VALU_DEP_1) | instskip(SKIP_1) | instid1(SALU_CYCLE_1)
	v_cmp_ne_u32_e32 vcc_lo, 0x7f800000, v151
                                        ; implicit-def: $vgpr151
	s_and_saveexec_b32 s3, vcc_lo
	s_xor_b32 s3, exec_lo, s3
; %bb.37:
	v_bfe_u32 v151, v148, 16, 1
	s_delay_alu instid0(VALU_DEP_1)
	v_add3_u32 v151, v148, v151, 0x7fff
                                        ; implicit-def: $vgpr148
; %bb.38:
	s_and_not1_saveexec_b32 s3, s3
; %bb.39:
	v_and_b32_e32 v151, 0xffff, v148
	v_or_b32_e32 v154, 0x10000, v148
	s_delay_alu instid0(VALU_DEP_2) | instskip(NEXT) | instid1(VALU_DEP_2)
	v_cmp_eq_u32_e32 vcc_lo, 0, v151
	v_cndmask_b32_e32 v151, v154, v148, vcc_lo
; %bb.40:
	s_or_b32 exec_lo, exec_lo, s3
	v_and_b32_e32 v148, 0x7f800000, v144
	s_delay_alu instid0(VALU_DEP_1) | instskip(SKIP_1) | instid1(SALU_CYCLE_1)
	v_cmp_ne_u32_e32 vcc_lo, 0x7f800000, v148
                                        ; implicit-def: $vgpr148
	s_and_saveexec_b32 s3, vcc_lo
	s_xor_b32 s3, exec_lo, s3
; %bb.41:
	v_bfe_u32 v148, v144, 16, 1
	s_delay_alu instid0(VALU_DEP_1)
	v_add3_u32 v148, v144, v148, 0x7fff
                                        ; implicit-def: $vgpr144
; %bb.42:
	s_and_not1_saveexec_b32 s3, s3
; %bb.43:
	v_and_b32_e32 v148, 0xffff, v144
	v_or_b32_e32 v154, 0x10000, v144
	s_delay_alu instid0(VALU_DEP_2) | instskip(NEXT) | instid1(VALU_DEP_2)
	v_cmp_eq_u32_e32 vcc_lo, 0, v148
	v_cndmask_b32_e32 v148, v154, v144, vcc_lo
; %bb.44:
	s_or_b32 exec_lo, exec_lo, s3
	s_load_b64 s[34:35], s[0:1], 0x94
	v_lshlrev_b32_e32 v155, 4, v138
	s_delay_alu instid0(VALU_DEP_2)
	v_perm_b32 v154, v148, v151, 0x7060302
	v_mul_f32_e32 v148, v142, v131
	v_dual_mul_f32 v145, v142, v145 :: v_dual_lshlrev_b32 v144, 6, v140
	v_dual_mul_f32 v143, v142, v143 :: v_dual_lshlrev_b32 v156, 11, v141
	v_perm_b32 v153, v152, v153, 0x7060302
	v_perm_b32 v152, v150, v149, 0x7060302
	;; [unrolled: 1-line block ×3, first 2 shown]
	s_delay_alu instid0(VALU_DEP_4)
	v_or3_b32 v131, v155, v156, v144
	v_mul_f32_e32 v136, v142, v136
	v_dual_mul_f32 v146, v142, v134 :: v_dual_and_b32 v149, 0x7f800000, v148
	v_mul_f32_e32 v135, v142, v135
	v_mul_f32_e32 v147, v142, v133
	;; [unrolled: 1-line block ×3, first 2 shown]
	s_mov_b32 s3, exec_lo
	ds_store_b128 v131, v[151:154]
                                        ; implicit-def: $vgpr132
	v_cmpx_ne_u32_e32 0x7f800000, v149
	s_xor_b32 s3, exec_lo, s3
; %bb.45:
	v_bfe_u32 v132, v148, 16, 1
	s_delay_alu instid0(VALU_DEP_1)
	v_add3_u32 v132, v148, v132, 0x7fff
                                        ; implicit-def: $vgpr148
; %bb.46:
	s_and_not1_saveexec_b32 s3, s3
; %bb.47:
	v_and_b32_e32 v132, 0xffff, v148
	v_or_b32_e32 v133, 0x10000, v148
	s_delay_alu instid0(VALU_DEP_2) | instskip(NEXT) | instid1(VALU_DEP_2)
	v_cmp_eq_u32_e32 vcc_lo, 0, v132
	v_cndmask_b32_e32 v132, v133, v148, vcc_lo
; %bb.48:
	s_or_b32 exec_lo, exec_lo, s3
	v_and_b32_e32 v133, 0x7f800000, v134
	s_delay_alu instid0(VALU_DEP_1) | instskip(SKIP_1) | instid1(SALU_CYCLE_1)
	v_cmp_ne_u32_e32 vcc_lo, 0x7f800000, v133
                                        ; implicit-def: $vgpr133
	s_and_saveexec_b32 s3, vcc_lo
	s_xor_b32 s3, exec_lo, s3
; %bb.49:
	v_bfe_u32 v133, v134, 16, 1
	s_delay_alu instid0(VALU_DEP_1)
	v_add3_u32 v133, v134, v133, 0x7fff
                                        ; implicit-def: $vgpr134
; %bb.50:
	s_and_not1_saveexec_b32 s3, s3
; %bb.51:
	v_and_b32_e32 v133, 0xffff, v134
	v_or_b32_e32 v142, 0x10000, v134
	s_delay_alu instid0(VALU_DEP_2) | instskip(NEXT) | instid1(VALU_DEP_2)
	v_cmp_eq_u32_e32 vcc_lo, 0, v133
	v_cndmask_b32_e32 v133, v142, v134, vcc_lo
; %bb.52:
	s_or_b32 exec_lo, exec_lo, s3
	v_and_b32_e32 v134, 0x7f800000, v147
	s_delay_alu instid0(VALU_DEP_1) | instskip(SKIP_1) | instid1(SALU_CYCLE_1)
	v_cmp_ne_u32_e32 vcc_lo, 0x7f800000, v134
                                        ; implicit-def: $vgpr134
	s_and_saveexec_b32 s3, vcc_lo
	s_xor_b32 s3, exec_lo, s3
; %bb.53:
	v_bfe_u32 v134, v147, 16, 1
	s_delay_alu instid0(VALU_DEP_1)
	v_add3_u32 v134, v147, v134, 0x7fff
                                        ; implicit-def: $vgpr147
; %bb.54:
	s_and_not1_saveexec_b32 s3, s3
; %bb.55:
	v_and_b32_e32 v134, 0xffff, v147
	v_or_b32_e32 v142, 0x10000, v147
	s_delay_alu instid0(VALU_DEP_2) | instskip(NEXT) | instid1(VALU_DEP_2)
	v_cmp_eq_u32_e32 vcc_lo, 0, v134
	v_cndmask_b32_e32 v134, v142, v147, vcc_lo
; %bb.56:
	s_or_b32 exec_lo, exec_lo, s3
	v_and_b32_e32 v142, 0x7f800000, v146
	s_delay_alu instid0(VALU_DEP_1) | instskip(SKIP_1) | instid1(SALU_CYCLE_1)
	v_cmp_ne_u32_e32 vcc_lo, 0x7f800000, v142
                                        ; implicit-def: $vgpr142
	s_and_saveexec_b32 s3, vcc_lo
	s_xor_b32 s3, exec_lo, s3
; %bb.57:
	v_bfe_u32 v142, v146, 16, 1
	s_delay_alu instid0(VALU_DEP_1)
	v_add3_u32 v142, v146, v142, 0x7fff
                                        ; implicit-def: $vgpr146
; %bb.58:
	s_and_not1_saveexec_b32 s3, s3
; %bb.59:
	v_and_b32_e32 v142, 0xffff, v146
	v_or_b32_e32 v147, 0x10000, v146
	s_delay_alu instid0(VALU_DEP_2) | instskip(NEXT) | instid1(VALU_DEP_2)
	v_cmp_eq_u32_e32 vcc_lo, 0, v142
	v_cndmask_b32_e32 v142, v147, v146, vcc_lo
; %bb.60:
	s_or_b32 exec_lo, exec_lo, s3
	v_and_b32_e32 v146, 0x7f800000, v135
	s_delay_alu instid0(VALU_DEP_1) | instskip(SKIP_1) | instid1(SALU_CYCLE_1)
	v_cmp_ne_u32_e32 vcc_lo, 0x7f800000, v146
                                        ; implicit-def: $vgpr146
	s_and_saveexec_b32 s3, vcc_lo
	s_xor_b32 s3, exec_lo, s3
; %bb.61:
	v_bfe_u32 v146, v135, 16, 1
	s_delay_alu instid0(VALU_DEP_1)
	v_add3_u32 v146, v135, v146, 0x7fff
                                        ; implicit-def: $vgpr135
; %bb.62:
	s_and_not1_saveexec_b32 s3, s3
; %bb.63:
	v_and_b32_e32 v146, 0xffff, v135
	v_or_b32_e32 v147, 0x10000, v135
	s_delay_alu instid0(VALU_DEP_2) | instskip(NEXT) | instid1(VALU_DEP_2)
	v_cmp_eq_u32_e32 vcc_lo, 0, v146
	v_cndmask_b32_e32 v146, v147, v135, vcc_lo
; %bb.64:
	s_or_b32 exec_lo, exec_lo, s3
	v_and_b32_e32 v135, 0x7f800000, v136
	s_delay_alu instid0(VALU_DEP_1) | instskip(SKIP_1) | instid1(SALU_CYCLE_1)
	v_cmp_ne_u32_e32 vcc_lo, 0x7f800000, v135
                                        ; implicit-def: $vgpr135
	s_and_saveexec_b32 s3, vcc_lo
	s_xor_b32 s3, exec_lo, s3
; %bb.65:
	v_bfe_u32 v135, v136, 16, 1
	s_delay_alu instid0(VALU_DEP_1)
	v_add3_u32 v135, v136, v135, 0x7fff
                                        ; implicit-def: $vgpr136
; %bb.66:
	s_and_not1_saveexec_b32 s3, s3
; %bb.67:
	v_and_b32_e32 v135, 0xffff, v136
	v_or_b32_e32 v147, 0x10000, v136
	s_delay_alu instid0(VALU_DEP_2) | instskip(NEXT) | instid1(VALU_DEP_2)
	v_cmp_eq_u32_e32 vcc_lo, 0, v135
	v_cndmask_b32_e32 v135, v147, v136, vcc_lo
; %bb.68:
	s_or_b32 exec_lo, exec_lo, s3
	v_and_b32_e32 v136, 0x7f800000, v143
	s_delay_alu instid0(VALU_DEP_1) | instskip(SKIP_1) | instid1(SALU_CYCLE_1)
	v_cmp_ne_u32_e32 vcc_lo, 0x7f800000, v136
                                        ; implicit-def: $vgpr136
	s_and_saveexec_b32 s3, vcc_lo
	s_xor_b32 s3, exec_lo, s3
; %bb.69:
	v_bfe_u32 v136, v143, 16, 1
	s_delay_alu instid0(VALU_DEP_1)
	v_add3_u32 v136, v143, v136, 0x7fff
                                        ; implicit-def: $vgpr143
; %bb.70:
	s_and_not1_saveexec_b32 s3, s3
; %bb.71:
	v_and_b32_e32 v136, 0xffff, v143
	v_or_b32_e32 v147, 0x10000, v143
	s_delay_alu instid0(VALU_DEP_2) | instskip(NEXT) | instid1(VALU_DEP_2)
	v_cmp_eq_u32_e32 vcc_lo, 0, v136
	v_cndmask_b32_e32 v136, v147, v143, vcc_lo
; %bb.72:
	s_or_b32 exec_lo, exec_lo, s3
	v_and_b32_e32 v143, 0x7f800000, v145
	s_delay_alu instid0(VALU_DEP_1) | instskip(SKIP_1) | instid1(SALU_CYCLE_1)
	v_cmp_ne_u32_e32 vcc_lo, 0x7f800000, v143
                                        ; implicit-def: $vgpr143
	s_and_saveexec_b32 s3, vcc_lo
	s_xor_b32 s3, exec_lo, s3
; %bb.73:
	v_bfe_u32 v143, v145, 16, 1
	s_delay_alu instid0(VALU_DEP_1)
	v_add3_u32 v143, v145, v143, 0x7fff
                                        ; implicit-def: $vgpr145
; %bb.74:
	s_and_not1_saveexec_b32 s3, s3
; %bb.75:
	v_and_b32_e32 v143, 0xffff, v145
	v_or_b32_e32 v147, 0x10000, v145
	s_delay_alu instid0(VALU_DEP_2) | instskip(NEXT) | instid1(VALU_DEP_2)
	v_cmp_eq_u32_e32 vcc_lo, 0, v143
	v_cndmask_b32_e32 v143, v147, v145, vcc_lo
; %bb.76:
	s_or_b32 exec_lo, exec_lo, s3
	s_delay_alu instid0(VALU_DEP_1)
	v_perm_b32 v136, v143, v136, 0x7060302
	v_perm_b32 v135, v135, v146, 0x7060302
	;; [unrolled: 1-line block ×4, first 2 shown]
	v_lshl_or_b32 v145, v141, 11, v144
	v_lshlrev_b32_e32 v142, 2, v138
	ds_store_b128 v131, v[133:136] offset:1024
	s_waitcnt lgkmcnt(0)
	s_barrier
	buffer_gl0_inv
	ds_load_b128 v[132:135], v145
	ds_load_b128 v[147:150], v145 offset:16
	v_or_b32_e32 v143, 1, v142
	v_cmp_eq_u32_e64 s12, 1, v142
	v_cmp_eq_u32_e64 s11, 2, v142
	;; [unrolled: 1-line block ×3, first 2 shown]
	v_or_b32_e32 v141, 2, v142
	v_cmp_eq_u32_e64 s7, 1, v143
	v_cmp_eq_u32_e64 s6, 2, v143
	v_cmp_eq_u32_e64 s17, 4, v142
	v_cmp_eq_u32_e64 s5, 3, v143
	v_cmp_eq_u32_e64 s13, 5, v142
	v_cmp_eq_u32_e64 s8, 1, v141
	v_cmp_eq_u32_e64 s3, 4, v143
	v_cmp_eq_u32_e64 s15, 6, v142
	v_cmp_eq_u32_e32 vcc_lo, 5, v143
	v_cmp_eq_u32_e64 s10, 2, v141
	v_cmp_eq_u32_e64 s4, 6, v143
	;; [unrolled: 1-line block ×4, first 2 shown]
	s_waitcnt lgkmcnt(1)
	v_lshrrev_b32_e32 v136, 16, v132
	s_waitcnt lgkmcnt(0)
	v_lshrrev_b32_e32 v155, 16, v147
	v_lshrrev_b32_e32 v161, 16, v148
	;; [unrolled: 1-line block ×4, first 2 shown]
	v_cndmask_b32_e64 v146, v132, v136, s12
	v_cndmask_b32_e64 v151, v147, v155, s12
	;; [unrolled: 1-line block ×4, first 2 shown]
	v_lshrrev_b32_e32 v160, 16, v134
	v_cndmask_b32_e64 v146, v146, v133, s11
	v_cndmask_b32_e64 v151, v151, v148, s11
	;; [unrolled: 1-line block ×8, first 2 shown]
	v_lshrrev_b32_e32 v164, 16, v150
	v_cndmask_b32_e64 v153, v153, v161, s5
	v_cndmask_b32_e64 v146, v146, v134, s17
	;; [unrolled: 1-line block ×5, first 2 shown]
	v_lshrrev_b32_e32 v162, 16, v135
	v_cndmask_b32_e64 v146, v146, v160, s13
	v_cndmask_b32_e64 v151, v151, v163, s13
	v_cndmask_b32_e32 v152, v152, v160, vcc_lo
	v_cndmask_b32_e64 v153, v153, v149, s3
	v_cmp_eq_u32_e64 s19, 7, v143
	v_cndmask_b32_e64 v146, v146, v135, s15
	v_cndmask_b32_e64 v151, v151, v150, s15
	;; [unrolled: 1-line block ×4, first 2 shown]
	v_cmp_eq_u32_e64 s20, 4, v141
	v_cndmask_b32_e64 v165, v146, v162, s9
	v_cndmask_b32_e64 v166, v151, v164, s9
	;; [unrolled: 1-line block ×3, first 2 shown]
	v_or_b32_e32 v146, 3, v142
	v_cndmask_b32_e64 v167, v152, v162, s19
	v_cndmask_b32_e32 v156, v153, v163, vcc_lo
	v_cndmask_b32_e64 v158, v154, v134, s20
	v_cndmask_b32_e64 v157, v151, v148, s10
	ds_load_b128 v[151:154], v145 offset:1024
	v_cmp_eq_u32_e64 s21, 1, v146
	v_cmp_eq_u32_e64 s22, 5, v141
	;; [unrolled: 1-line block ×3, first 2 shown]
	v_cndmask_b32_e64 v157, v157, v161, s18
	v_cmp_eq_u32_e64 s24, 3, v146
	v_cndmask_b32_e64 v132, v132, v136, s21
	v_cndmask_b32_e64 v136, v156, v150, s4
	;; [unrolled: 1-line block ×5, first 2 shown]
	ds_load_b128 v[155:158], v145 offset:1040
	v_cndmask_b32_e64 v132, v132, v133, s23
	v_cmp_eq_u32_e64 s26, 4, v146
	v_cmp_eq_u32_e64 s28, 5, v146
	v_cndmask_b32_e64 v147, v147, v148, s23
	v_cmp_eq_u32_e64 s25, 6, v141
	v_cndmask_b32_e64 v132, v132, v159, s24
	;; [unrolled: 2-line block ×3, first 2 shown]
	v_cndmask_b32_e64 v147, v147, v161, s24
	s_waitcnt lgkmcnt(1)
	v_lshrrev_b32_e32 v159, 16, v151
	v_cndmask_b32_e64 v132, v132, v134, s26
	v_cndmask_b32_e64 v148, v168, v135, s25
	;; [unrolled: 1-line block ×6, first 2 shown]
	v_lshrrev_b32_e32 v160, 16, v152
	v_cndmask_b32_e64 v161, v151, v159, s7
	v_cndmask_b32_e64 v134, v134, v163, s28
	s_waitcnt lgkmcnt(0)
	v_lshrrev_b32_e32 v149, 16, v155
	v_cndmask_b32_e64 v147, v147, v152, s11
	v_cndmask_b32_e64 v132, v132, v135, s29
	v_cmp_eq_u32_e64 s27, 7, v141
	v_cndmask_b32_e64 v134, v134, v150, s29
	v_cndmask_b32_e64 v163, v155, v149, s12
	;; [unrolled: 1-line block ×4, first 2 shown]
	v_lshrrev_b32_e32 v161, 16, v156
	v_cndmask_b32_e64 v136, v136, v164, s19
	v_cndmask_b32_e64 v150, v163, v156, s11
	v_cmp_eq_u32_e64 s11, 7, v146
	v_cndmask_b32_e64 v147, v147, v160, s5
	v_cndmask_b32_e64 v135, v135, v153, s17
	v_lshrrev_b32_e32 v163, 16, v153
	v_cndmask_b32_e64 v150, v150, v161, s16
	v_cndmask_b32_e64 v132, v132, v162, s11
	;; [unrolled: 1-line block ×8, first 2 shown]
	v_lshrrev_b32_e32 v164, 16, v157
	v_perm_b32 v135, v134, v132, 0x5040100
	v_cndmask_b32_e32 v132, v147, v163, vcc_lo
	v_cndmask_b32_e64 v147, v162, v154, s15
	v_lshrrev_b32_e32 v162, 16, v154
	v_cndmask_b32_e64 v150, v150, v164, s13
	v_perm_b32 v134, v133, v148, 0x5040100
	v_cndmask_b32_e64 v132, v132, v154, s4
	v_perm_b32 v133, v136, v167, 0x5040100
	v_cndmask_b32_e64 v136, v147, v162, s9
	v_cndmask_b32_e64 v147, v150, v158, s15
	;; [unrolled: 1-line block ×27, first 2 shown]
	v_cndmask_b32_e32 v149, v149, v164, vcc_lo
	v_lshrrev_b32_e32 v148, 16, v158
	v_cndmask_b32_e64 v132, v132, v154, s25
	v_cndmask_b32_e64 v150, v150, v154, s29
	;; [unrolled: 1-line block ×11, first 2 shown]
	v_perm_b32 v132, v166, v165, 0x5040100
	v_perm_b32 v150, v151, v150, 0x5040100
	;; [unrolled: 1-line block ×5, first 2 shown]
	s_mul_i32 s8, s35, 13
	s_mov_b32 s3, exec_lo
	ds_store_b128 v131, v[132:135]
	ds_store_b128 v131, v[147:150] offset:1024
	v_cmpx_gt_u32_e32 13, v0
	s_cbranch_execz .LBB626_78
; %bb.77:
	s_mul_i32 s4, s8, s30
	s_delay_alu instid0(SALU_CYCLE_1) | instskip(SKIP_1) | instid1(VALU_DEP_1)
	v_add3_u32 v133, s4, s31, v140
	s_load_b128 s[4:7], s[0:1], 0x58
	v_mad_u64_u32 v[131:132], null, v133, s34, s[14:15]
	s_delay_alu instid0(VALU_DEP_1) | instskip(NEXT) | instid1(VALU_DEP_1)
	v_ashrrev_i32_e32 v132, 31, v131
	v_lshlrev_b64 v[131:132], 2, v[131:132]
	s_waitcnt lgkmcnt(0)
	s_delay_alu instid0(VALU_DEP_1) | instskip(NEXT) | instid1(VALU_DEP_2)
	v_add_co_u32 v133, vcc_lo, s6, v131
	v_add_co_ci_u32_e32 v134, vcc_lo, s7, v132, vcc_lo
	v_add_co_u32 v131, vcc_lo, s4, v131
	v_add_co_ci_u32_e32 v132, vcc_lo, s5, v132, vcc_lo
	global_store_b32 v[133:134], v129, off
	global_store_b32 v[131:132], v130, off
.LBB626_78:
	s_or_b32 exec_lo, exec_lo, s3
	s_waitcnt lgkmcnt(0)
	s_waitcnt_vscnt null, 0x0
	s_barrier
	buffer_gl0_inv
	ds_load_b128 v[147:150], v144
	ds_load_b128 v[151:154], v144 offset:16
	ds_load_b128 v[159:162], v144 offset:1040
	;; [unrolled: 1-line block ×3, first 2 shown]
	v_mov_b32_e32 v129, 0
	ds_load_b128 v[167:170], v144 offset:2064
	ds_load_b128 v[163:166], v144 offset:2048
	;; [unrolled: 1-line block ×6, first 2 shown]
	v_mov_b32_e32 v130, v129
	v_mov_b32_e32 v131, v129
	;; [unrolled: 1-line block ×7, first 2 shown]
	s_waitcnt lgkmcnt(8)
	s_delay_alu instid0(VALU_DEP_1)
	v_wmma_f32_16x16x16_bf16 v[129:136], v[121:128], v[147:154], v[129:136]
	ds_load_b128 v[125:128], v144 offset:5136
	ds_load_b128 v[121:124], v144 offset:5120
	s_waitcnt lgkmcnt(8)
	v_wmma_f32_16x16x16_bf16 v[129:136], v[113:120], v[155:162], v[129:136]
	ds_load_b128 v[117:120], v144 offset:6160
	ds_load_b128 v[113:116], v144 offset:6144
	s_waitcnt lgkmcnt(8)
	;; [unrolled: 4-line block ×8, first 2 shown]
	v_wmma_f32_16x16x16_bf16 v[129:136], v[65:72], v[97:104], v[129:136]
	s_waitcnt lgkmcnt(6)
	s_delay_alu instid0(VALU_DEP_1)
	v_wmma_f32_16x16x16_bf16 v[129:136], v[49:56], v[89:96], v[129:136]
	ds_load_b128 v[53:56], v144 offset:13328
	ds_load_b128 v[49:52], v144 offset:13312
	s_waitcnt lgkmcnt(6)
	v_wmma_f32_16x16x16_bf16 v[129:136], v[41:48], v[81:88], v[129:136]
	ds_load_b128 v[45:48], v144 offset:14352
	ds_load_b128 v[41:44], v144 offset:14336
	s_waitcnt lgkmcnt(6)
	;; [unrolled: 4-line block ×3, first 2 shown]
	v_wmma_f32_16x16x16_bf16 v[129:136], v[1:8], v[57:64], v[129:136]
	s_waitcnt lgkmcnt(4)
	s_delay_alu instid0(VALU_DEP_1) | instskip(SKIP_1) | instid1(VALU_DEP_1)
	v_wmma_f32_16x16x16_bf16 v[129:136], v[25:32], v[49:56], v[129:136]
	s_waitcnt lgkmcnt(2)
	v_wmma_f32_16x16x16_bf16 v[129:136], v[33:40], v[41:48], v[129:136]
	s_waitcnt lgkmcnt(0)
	s_delay_alu instid0(VALU_DEP_1) | instskip(NEXT) | instid1(VALU_DEP_1)
	v_wmma_f32_16x16x16_bf16 v[129:136], v[9:16], v[17:24], v[129:136]
	v_and_b32_e32 v1, 0x7f800000, v129
	s_delay_alu instid0(VALU_DEP_1) | instskip(SKIP_1) | instid1(SALU_CYCLE_1)
	v_cmp_ne_u32_e32 vcc_lo, 0x7f800000, v1
                                        ; implicit-def: $vgpr1
	s_and_saveexec_b32 s3, vcc_lo
	s_xor_b32 s3, exec_lo, s3
; %bb.79:
	v_bfe_u32 v1, v129, 16, 1
	s_delay_alu instid0(VALU_DEP_1)
	v_add3_u32 v1, v129, v1, 0x7fff
; %bb.80:
	s_and_not1_saveexec_b32 s3, s3
; %bb.81:
	v_and_b32_e32 v1, 0xffff, v129
	v_or_b32_e32 v2, 0x10000, v129
	s_delay_alu instid0(VALU_DEP_2) | instskip(NEXT) | instid1(VALU_DEP_2)
	v_cmp_eq_u32_e32 vcc_lo, 0, v1
	v_cndmask_b32_e32 v1, v2, v129, vcc_lo
; %bb.82:
	s_or_b32 exec_lo, exec_lo, s3
	v_and_b32_e32 v2, 0x7f800000, v130
	s_delay_alu instid0(VALU_DEP_1) | instskip(SKIP_1) | instid1(SALU_CYCLE_1)
	v_cmp_ne_u32_e32 vcc_lo, 0x7f800000, v2
                                        ; implicit-def: $vgpr2
	s_and_saveexec_b32 s3, vcc_lo
	s_xor_b32 s3, exec_lo, s3
; %bb.83:
	v_bfe_u32 v2, v130, 16, 1
	s_delay_alu instid0(VALU_DEP_1)
	v_add3_u32 v2, v130, v2, 0x7fff
; %bb.84:
	s_and_not1_saveexec_b32 s3, s3
; %bb.85:
	v_and_b32_e32 v2, 0xffff, v130
	v_or_b32_e32 v3, 0x10000, v130
	s_delay_alu instid0(VALU_DEP_2) | instskip(NEXT) | instid1(VALU_DEP_2)
	v_cmp_eq_u32_e32 vcc_lo, 0, v2
	v_cndmask_b32_e32 v2, v3, v130, vcc_lo
; %bb.86:
	s_or_b32 exec_lo, exec_lo, s3
	v_and_b32_e32 v3, 0x7f800000, v131
	s_delay_alu instid0(VALU_DEP_1) | instskip(SKIP_1) | instid1(SALU_CYCLE_1)
	v_cmp_ne_u32_e32 vcc_lo, 0x7f800000, v3
                                        ; implicit-def: $vgpr3
	s_and_saveexec_b32 s3, vcc_lo
	s_xor_b32 s3, exec_lo, s3
; %bb.87:
	v_bfe_u32 v3, v131, 16, 1
	s_delay_alu instid0(VALU_DEP_1)
	v_add3_u32 v3, v131, v3, 0x7fff
; %bb.88:
	s_and_not1_saveexec_b32 s3, s3
; %bb.89:
	v_and_b32_e32 v3, 0xffff, v131
	v_or_b32_e32 v4, 0x10000, v131
	s_delay_alu instid0(VALU_DEP_2) | instskip(NEXT) | instid1(VALU_DEP_2)
	v_cmp_eq_u32_e32 vcc_lo, 0, v3
	v_cndmask_b32_e32 v3, v4, v131, vcc_lo
; %bb.90:
	s_or_b32 exec_lo, exec_lo, s3
	v_and_b32_e32 v4, 0x7f800000, v132
	s_delay_alu instid0(VALU_DEP_1) | instskip(SKIP_1) | instid1(SALU_CYCLE_1)
	v_cmp_ne_u32_e32 vcc_lo, 0x7f800000, v4
                                        ; implicit-def: $vgpr4
	s_and_saveexec_b32 s3, vcc_lo
	s_xor_b32 s3, exec_lo, s3
; %bb.91:
	v_bfe_u32 v4, v132, 16, 1
	s_delay_alu instid0(VALU_DEP_1)
	v_add3_u32 v4, v132, v4, 0x7fff
; %bb.92:
	s_and_not1_saveexec_b32 s3, s3
; %bb.93:
	v_and_b32_e32 v4, 0xffff, v132
	v_or_b32_e32 v5, 0x10000, v132
	s_delay_alu instid0(VALU_DEP_2) | instskip(NEXT) | instid1(VALU_DEP_2)
	v_cmp_eq_u32_e32 vcc_lo, 0, v4
	v_cndmask_b32_e32 v4, v5, v132, vcc_lo
; %bb.94:
	s_or_b32 exec_lo, exec_lo, s3
	v_and_b32_e32 v5, 0x7f800000, v133
	s_delay_alu instid0(VALU_DEP_1) | instskip(SKIP_1) | instid1(SALU_CYCLE_1)
	v_cmp_ne_u32_e32 vcc_lo, 0x7f800000, v5
                                        ; implicit-def: $vgpr5
	s_and_saveexec_b32 s3, vcc_lo
	s_xor_b32 s3, exec_lo, s3
; %bb.95:
	v_bfe_u32 v5, v133, 16, 1
	s_delay_alu instid0(VALU_DEP_1)
	v_add3_u32 v5, v133, v5, 0x7fff
; %bb.96:
	s_and_not1_saveexec_b32 s3, s3
; %bb.97:
	v_and_b32_e32 v5, 0xffff, v133
	v_or_b32_e32 v6, 0x10000, v133
	s_delay_alu instid0(VALU_DEP_2) | instskip(NEXT) | instid1(VALU_DEP_2)
	v_cmp_eq_u32_e32 vcc_lo, 0, v5
	v_cndmask_b32_e32 v5, v6, v133, vcc_lo
; %bb.98:
	s_or_b32 exec_lo, exec_lo, s3
	v_and_b32_e32 v6, 0x7f800000, v134
	s_delay_alu instid0(VALU_DEP_1) | instskip(SKIP_1) | instid1(SALU_CYCLE_1)
	v_cmp_ne_u32_e32 vcc_lo, 0x7f800000, v6
                                        ; implicit-def: $vgpr6
	s_and_saveexec_b32 s3, vcc_lo
	s_xor_b32 s3, exec_lo, s3
; %bb.99:
	v_bfe_u32 v6, v134, 16, 1
	s_delay_alu instid0(VALU_DEP_1)
	v_add3_u32 v6, v134, v6, 0x7fff
; %bb.100:
	s_and_not1_saveexec_b32 s3, s3
; %bb.101:
	v_and_b32_e32 v6, 0xffff, v134
	v_or_b32_e32 v7, 0x10000, v134
	s_delay_alu instid0(VALU_DEP_2) | instskip(NEXT) | instid1(VALU_DEP_2)
	v_cmp_eq_u32_e32 vcc_lo, 0, v6
	v_cndmask_b32_e32 v6, v7, v134, vcc_lo
; %bb.102:
	s_or_b32 exec_lo, exec_lo, s3
	v_and_b32_e32 v7, 0x7f800000, v135
	s_delay_alu instid0(VALU_DEP_1) | instskip(SKIP_1) | instid1(SALU_CYCLE_1)
	v_cmp_ne_u32_e32 vcc_lo, 0x7f800000, v7
                                        ; implicit-def: $vgpr7
	s_and_saveexec_b32 s3, vcc_lo
	s_xor_b32 s3, exec_lo, s3
; %bb.103:
	v_bfe_u32 v7, v135, 16, 1
	s_delay_alu instid0(VALU_DEP_1)
	v_add3_u32 v7, v135, v7, 0x7fff
; %bb.104:
	s_and_not1_saveexec_b32 s3, s3
; %bb.105:
	v_and_b32_e32 v7, 0xffff, v135
	v_or_b32_e32 v8, 0x10000, v135
	s_delay_alu instid0(VALU_DEP_2) | instskip(NEXT) | instid1(VALU_DEP_2)
	v_cmp_eq_u32_e32 vcc_lo, 0, v7
	v_cndmask_b32_e32 v7, v8, v135, vcc_lo
; %bb.106:
	s_or_b32 exec_lo, exec_lo, s3
	v_and_b32_e32 v8, 0x7f800000, v136
	s_delay_alu instid0(VALU_DEP_1) | instskip(SKIP_1) | instid1(SALU_CYCLE_1)
	v_cmp_ne_u32_e32 vcc_lo, 0x7f800000, v8
                                        ; implicit-def: $vgpr8
	s_and_saveexec_b32 s3, vcc_lo
	s_xor_b32 s3, exec_lo, s3
; %bb.107:
	v_bfe_u32 v8, v136, 16, 1
	s_delay_alu instid0(VALU_DEP_1)
	v_add3_u32 v8, v136, v8, 0x7fff
                                        ; implicit-def: $vgpr129_vgpr130_vgpr131_vgpr132_vgpr133_vgpr134_vgpr135_vgpr136
; %bb.108:
	s_and_not1_saveexec_b32 s3, s3
; %bb.109:
	v_and_b32_e32 v8, 0xffff, v136
	v_or_b32_e32 v9, 0x10000, v136
	s_delay_alu instid0(VALU_DEP_2) | instskip(NEXT) | instid1(VALU_DEP_2)
	v_cmp_eq_u32_e32 vcc_lo, 0, v8
	v_cndmask_b32_e32 v8, v9, v136, vcc_lo
; %bb.110:
	s_or_b32 exec_lo, exec_lo, s3
	s_delay_alu instid0(VALU_DEP_1)
	v_perm_b32 v7, v8, v7, 0x7060302
	v_perm_b32 v6, v6, v5, 0x7060302
	;; [unrolled: 1-line block ×4, first 2 shown]
	v_lshl_or_b32 v9, v138, 4, v145
	s_barrier
	buffer_gl0_inv
	v_cmp_eq_u32_e32 vcc_lo, 1, v142
	ds_store_b128 v9, v[4:7]
	s_waitcnt lgkmcnt(0)
	s_barrier
	buffer_gl0_inv
	ds_load_b128 v[1:4], v145
	ds_load_b128 v[5:8], v145 offset:16
	v_cmp_eq_u32_e64 s4, 2, v142
	v_cmp_eq_u32_e64 s3, 1, v143
	v_cmp_eq_u32_e64 s5, 3, v142
	v_cmp_eq_u32_e64 s7, 2, v141
	v_cmp_eq_u32_e64 s6, 7, v143
	s_waitcnt lgkmcnt(1)
	v_lshrrev_b32_e32 v10, 16, v1
	s_waitcnt lgkmcnt(0)
	v_lshrrev_b32_e32 v14, 16, v5
	v_lshrrev_b32_e32 v15, 16, v6
	;; [unrolled: 1-line block ×4, first 2 shown]
	v_cndmask_b32_e64 v20, v1, v10, s3
	v_cndmask_b32_e32 v19, v5, v14, vcc_lo
	v_cndmask_b32_e64 v21, v5, v14, s3
	v_lshrrev_b32_e32 v16, 16, v7
	v_cmp_eq_u32_e64 s3, 1, v141
	v_lshrrev_b32_e32 v13, 16, v4
	v_cndmask_b32_e64 v19, v19, v6, s4
	v_lshrrev_b32_e32 v17, 16, v8
	s_delay_alu instid0(VALU_DEP_4) | instskip(SKIP_1) | instid1(VALU_DEP_4)
	v_cndmask_b32_e64 v22, v1, v10, s3
	v_cndmask_b32_e64 v23, v5, v14, s3
	;; [unrolled: 1-line block ×3, first 2 shown]
	v_cndmask_b32_e32 v18, v1, v10, vcc_lo
	v_cmp_eq_u32_e32 vcc_lo, 2, v143
	v_cmp_eq_u32_e64 s3, 2, v146
	v_cndmask_b32_e64 v22, v22, v2, s7
	v_cndmask_b32_e32 v20, v20, v2, vcc_lo
	v_cndmask_b32_e32 v21, v21, v6, vcc_lo
	v_cmp_eq_u32_e32 vcc_lo, 4, v142
	v_cndmask_b32_e32 v19, v19, v7, vcc_lo
	v_cndmask_b32_e64 v18, v18, v2, s4
	v_cmp_eq_u32_e64 s4, 3, v143
	s_delay_alu instid0(VALU_DEP_2) | instskip(NEXT) | instid1(VALU_DEP_2)
	v_cndmask_b32_e64 v18, v18, v11, s5
	v_cndmask_b32_e64 v21, v21, v15, s4
	v_cmp_eq_u32_e64 s5, 5, v142
	s_delay_alu instid0(VALU_DEP_3) | instskip(SKIP_1) | instid1(VALU_DEP_3)
	v_cndmask_b32_e32 v18, v18, v3, vcc_lo
	v_cmp_eq_u32_e32 vcc_lo, 4, v143
	v_cndmask_b32_e64 v19, v19, v16, s5
	s_delay_alu instid0(VALU_DEP_3) | instskip(SKIP_4) | instid1(VALU_DEP_3)
	v_cndmask_b32_e64 v18, v18, v12, s5
	v_cndmask_b32_e32 v21, v21, v7, vcc_lo
	v_cndmask_b32_e64 v20, v20, v11, s4
	v_cmp_eq_u32_e64 s4, 5, v143
	v_cmp_eq_u32_e64 s5, 6, v142
	v_cndmask_b32_e32 v20, v20, v3, vcc_lo
	s_delay_alu instid0(VALU_DEP_3) | instskip(SKIP_1) | instid1(VALU_DEP_4)
	v_cndmask_b32_e64 v21, v21, v16, s4
	v_cmp_eq_u32_e32 vcc_lo, 6, v143
	v_cndmask_b32_e64 v18, v18, v4, s5
	v_cndmask_b32_e64 v19, v19, v8, s5
	;; [unrolled: 1-line block ×3, first 2 shown]
	v_cmp_eq_u32_e64 s4, 1, v146
	v_cmp_eq_u32_e64 s5, 7, v142
	s_delay_alu instid0(VALU_DEP_3) | instskip(NEXT) | instid1(VALU_DEP_3)
	v_cndmask_b32_e32 v20, v20, v4, vcc_lo
	v_cndmask_b32_e64 v1, v1, v10, s4
	v_cndmask_b32_e64 v5, v5, v14, s4
	v_cmp_eq_u32_e64 s4, 3, v141
	v_cndmask_b32_e64 v14, v23, v6, s7
	v_cmp_eq_u32_e64 s7, 3, v146
	v_cndmask_b32_e64 v1, v1, v2, s3
	v_cndmask_b32_e64 v2, v5, v6, s3
	;; [unrolled: 1-line block ×3, first 2 shown]
	v_cmp_eq_u32_e64 s3, 4, v141
	v_cndmask_b32_e64 v6, v14, v15, s4
	v_cndmask_b32_e64 v1, v1, v11, s7
	v_cmp_eq_u32_e64 s4, 4, v146
	v_cndmask_b32_e64 v2, v2, v15, s7
	v_cndmask_b32_e64 v5, v10, v3, s3
	;; [unrolled: 3-line block ×3, first 2 shown]
	v_cndmask_b32_e64 v2, v2, v7, s4
	v_cmp_eq_u32_e64 s3, 5, v146
	v_cndmask_b32_e64 v5, v5, v12, s7
	v_cmp_eq_u32_e64 s4, 6, v141
	;; [unrolled: 2-line block ×3, first 2 shown]
	v_cndmask_b32_e64 v1, v1, v12, s3
	v_cndmask_b32_e64 v2, v2, v16, s3
	;; [unrolled: 1-line block ×4, first 2 shown]
	v_cmp_eq_u32_e64 s3, 7, v146
	v_cndmask_b32_e64 v1, v1, v4, s7
	v_cndmask_b32_e64 v2, v2, v8, s7
	v_cmp_eq_u32_e64 s4, 7, v141
	v_cndmask_b32_e32 v4, v21, v8, vcc_lo
	v_cndmask_b32_e64 v18, v18, v13, s5
	v_cndmask_b32_e64 v20, v20, v13, s6
	;; [unrolled: 1-line block ×8, first 2 shown]
	s_mov_b32 s3, exec_lo
	v_perm_b32 v4, v2, v1, 0x5040100
	v_perm_b32 v3, v3, v5, 0x5040100
	;; [unrolled: 1-line block ×4, first 2 shown]
	ds_store_b128 v9, v[1:4]
	s_waitcnt lgkmcnt(0)
	s_barrier
	buffer_gl0_inv
	v_cmpx_gt_u32_e32 32, v0
	s_cbranch_execz .LBB626_2
; %bb.111:
	s_load_b64 s[4:5], s[0:1], 0x68
	v_lshlrev_b32_e32 v0, 10, v0
	v_lshlrev_b32_e32 v1, 4, v139
	s_lshl_b32 s0, s34, 7
	v_add_nc_u32_e32 v18, s31, v138
	s_mul_i32 s1, s0, s30
	s_delay_alu instid0(VALU_DEP_2) | instskip(SKIP_1) | instid1(VALU_DEP_2)
	v_and_or_b32 v0, 0x3800, v0, v1
	s_mul_i32 s6, s1, s8
	v_mul_lo_u32 v1, v18, s0
	s_ashr_i32 s7, s6, 31
	v_add_nc_u32_e32 v2, 2, v18
	v_lshl_or_b32 v19, v138, 6, v0
	s_lshl_b64 s[6:7], s[6:7], 1
	v_add_nc_u32_e32 v8, 4, v18
	v_add_nc_u32_e32 v15, 6, v18
	v_mul_lo_u32 v7, v2, s0
	ds_load_b128 v[3:6], v19
	v_ashrrev_i32_e32 v2, 31, v1
	v_mul_lo_u32 v11, v8, s0
	s_waitcnt lgkmcnt(0)
	s_add_u32 s1, s4, s6
	s_addc_u32 s3, s5, s7
	s_lshl_b32 s4, s14, 7
	v_lshlrev_b64 v[9:10], 1, v[1:2]
	s_ashr_i32 s5, s4, 31
	v_ashrrev_i32_e32 v8, 31, v7
	s_lshl_b64 s[4:5], s[4:5], 1
	v_ashrrev_i32_e32 v12, 31, v11
	s_add_u32 s1, s1, s4
	s_addc_u32 s3, s3, s5
	v_add_co_u32 v1, s1, s1, v137
	s_delay_alu instid0(VALU_DEP_1) | instskip(SKIP_1) | instid1(VALU_DEP_3)
	v_add_co_ci_u32_e64 v2, null, s3, 0, s1
	v_mul_lo_u32 v15, v15, s0
	v_add_co_u32 v13, vcc_lo, v1, v9
	s_delay_alu instid0(VALU_DEP_3)
	v_add_co_ci_u32_e32 v14, vcc_lo, v2, v10, vcc_lo
	v_lshlrev_b64 v[16:17], 1, v[7:8]
	ds_load_b128 v[7:10], v19 offset:128
	global_store_b128 v[13:14], v[3:6], off
	v_add_nc_u32_e32 v5, 8, v18
	v_lshlrev_b64 v[3:4], 1, v[11:12]
	v_add_co_u32 v23, vcc_lo, v1, v16
	v_ashrrev_i32_e32 v16, 31, v15
	s_delay_alu instid0(VALU_DEP_4) | instskip(SKIP_3) | instid1(VALU_DEP_3)
	v_mul_lo_u32 v25, v5, s0
	v_add_nc_u32_e32 v5, 10, v18
	v_add_co_ci_u32_e32 v24, vcc_lo, v2, v17, vcc_lo
	v_add_co_u32 v27, vcc_lo, v1, v3
	v_mul_lo_u32 v29, v5, s0
	v_add_co_ci_u32_e32 v28, vcc_lo, v2, v4, vcc_lo
	v_lshlrev_b64 v[31:32], 1, v[15:16]
	ds_load_b128 v[3:6], v19 offset:256
	ds_load_b128 v[11:14], v19 offset:384
	;; [unrolled: 1-line block ×4, first 2 shown]
	v_ashrrev_i32_e32 v26, 31, v25
	v_ashrrev_i32_e32 v30, 31, v29
	v_add_co_u32 v31, vcc_lo, v1, v31
	s_delay_alu instid0(VALU_DEP_3) | instskip(SKIP_1) | instid1(VALU_DEP_4)
	v_lshlrev_b64 v[25:26], 1, v[25:26]
	v_add_co_ci_u32_e32 v32, vcc_lo, v2, v32, vcc_lo
	v_lshlrev_b64 v[29:30], 1, v[29:30]
	s_delay_alu instid0(VALU_DEP_3) | instskip(NEXT) | instid1(VALU_DEP_4)
	v_add_co_u32 v25, vcc_lo, v1, v25
	v_add_co_ci_u32_e32 v26, vcc_lo, v2, v26, vcc_lo
	s_delay_alu instid0(VALU_DEP_3) | instskip(NEXT) | instid1(VALU_DEP_4)
	v_add_co_u32 v29, vcc_lo, v1, v29
	v_add_co_ci_u32_e32 v30, vcc_lo, v2, v30, vcc_lo
	s_waitcnt lgkmcnt(4)
	global_store_b128 v[23:24], v[7:10], off
	s_waitcnt lgkmcnt(3)
	global_store_b128 v[27:28], v[3:6], off
	;; [unrolled: 2-line block ×5, first 2 shown]
	s_and_b32 exec_lo, exec_lo, s2
	s_cbranch_execz .LBB626_2
; %bb.112:
	ds_load_b128 v[3:6], v0 offset:768
	s_add_i32 s1, s31, 12
	s_delay_alu instid0(SALU_CYCLE_1) | instskip(NEXT) | instid1(SALU_CYCLE_1)
	s_mul_i32 s0, s1, s0
	s_ashr_i32 s1, s0, 31
	s_delay_alu instid0(SALU_CYCLE_1) | instskip(NEXT) | instid1(SALU_CYCLE_1)
	s_lshl_b64 s[0:1], s[0:1], 1
	v_add_co_u32 v0, vcc_lo, v1, s0
	v_add_co_ci_u32_e32 v1, vcc_lo, s1, v2, vcc_lo
	s_waitcnt lgkmcnt(0)
	global_store_b128 v[0:1], v[3:6], off
	s_nop 0
	s_sendmsg sendmsg(MSG_DEALLOC_VGPRS)
	s_endpgm
	.section	.rodata,"a",@progbits
	.p2align	6, 0x0
	.amdhsa_kernel _Z39paged_attention_ll4mi_QKV_mfma16_kernelI14__hip_bfloat16S0_LN4vllm18Fp8KVCacheDataTypeE0EhLi16ELi128ELi256ELb0ELi13EL8MFMAType0EEvPKT_PKT0_S9_ifPKiSB_SB_iPKfiiiPfSE_PS4_PT2_iSD_SD_
		.amdhsa_group_segment_fixed_size 17472
		.amdhsa_private_segment_fixed_size 0
		.amdhsa_kernarg_size 400
		.amdhsa_user_sgpr_count 13
		.amdhsa_user_sgpr_dispatch_ptr 0
		.amdhsa_user_sgpr_queue_ptr 0
		.amdhsa_user_sgpr_kernarg_segment_ptr 1
		.amdhsa_user_sgpr_dispatch_id 0
		.amdhsa_user_sgpr_private_segment_size 0
		.amdhsa_wavefront_size32 1
		.amdhsa_uses_dynamic_stack 0
		.amdhsa_enable_private_segment 0
		.amdhsa_system_sgpr_workgroup_id_x 1
		.amdhsa_system_sgpr_workgroup_id_y 1
		.amdhsa_system_sgpr_workgroup_id_z 1
		.amdhsa_system_sgpr_workgroup_info 0
		.amdhsa_system_vgpr_workitem_id 0
		.amdhsa_next_free_vgpr 218
		.amdhsa_next_free_sgpr 50
		.amdhsa_reserve_vcc 1
		.amdhsa_float_round_mode_32 0
		.amdhsa_float_round_mode_16_64 0
		.amdhsa_float_denorm_mode_32 3
		.amdhsa_float_denorm_mode_16_64 3
		.amdhsa_dx10_clamp 1
		.amdhsa_ieee_mode 1
		.amdhsa_fp16_overflow 0
		.amdhsa_workgroup_processor_mode 1
		.amdhsa_memory_ordered 1
		.amdhsa_forward_progress 0
		.amdhsa_shared_vgpr_count 0
		.amdhsa_exception_fp_ieee_invalid_op 0
		.amdhsa_exception_fp_denorm_src 0
		.amdhsa_exception_fp_ieee_div_zero 0
		.amdhsa_exception_fp_ieee_overflow 0
		.amdhsa_exception_fp_ieee_underflow 0
		.amdhsa_exception_fp_ieee_inexact 0
		.amdhsa_exception_int_div_zero 0
	.end_amdhsa_kernel
	.section	.text._Z39paged_attention_ll4mi_QKV_mfma16_kernelI14__hip_bfloat16S0_LN4vllm18Fp8KVCacheDataTypeE0EhLi16ELi128ELi256ELb0ELi13EL8MFMAType0EEvPKT_PKT0_S9_ifPKiSB_SB_iPKfiiiPfSE_PS4_PT2_iSD_SD_,"axG",@progbits,_Z39paged_attention_ll4mi_QKV_mfma16_kernelI14__hip_bfloat16S0_LN4vllm18Fp8KVCacheDataTypeE0EhLi16ELi128ELi256ELb0ELi13EL8MFMAType0EEvPKT_PKT0_S9_ifPKiSB_SB_iPKfiiiPfSE_PS4_PT2_iSD_SD_,comdat
.Lfunc_end626:
	.size	_Z39paged_attention_ll4mi_QKV_mfma16_kernelI14__hip_bfloat16S0_LN4vllm18Fp8KVCacheDataTypeE0EhLi16ELi128ELi256ELb0ELi13EL8MFMAType0EEvPKT_PKT0_S9_ifPKiSB_SB_iPKfiiiPfSE_PS4_PT2_iSD_SD_, .Lfunc_end626-_Z39paged_attention_ll4mi_QKV_mfma16_kernelI14__hip_bfloat16S0_LN4vllm18Fp8KVCacheDataTypeE0EhLi16ELi128ELi256ELb0ELi13EL8MFMAType0EEvPKT_PKT0_S9_ifPKiSB_SB_iPKfiiiPfSE_PS4_PT2_iSD_SD_
                                        ; -- End function
	.section	.AMDGPU.csdata,"",@progbits
; Kernel info:
; codeLenInByte = 10444
; NumSgprs: 52
; NumVgprs: 218
; ScratchSize: 0
; MemoryBound: 0
; FloatMode: 240
; IeeeMode: 1
; LDSByteSize: 17472 bytes/workgroup (compile time only)
; SGPRBlocks: 6
; VGPRBlocks: 27
; NumSGPRsForWavesPerEU: 52
; NumVGPRsForWavesPerEU: 218
; Occupancy: 6
; WaveLimiterHint : 1
; COMPUTE_PGM_RSRC2:SCRATCH_EN: 0
; COMPUTE_PGM_RSRC2:USER_SGPR: 13
; COMPUTE_PGM_RSRC2:TRAP_HANDLER: 0
; COMPUTE_PGM_RSRC2:TGID_X_EN: 1
; COMPUTE_PGM_RSRC2:TGID_Y_EN: 1
; COMPUTE_PGM_RSRC2:TGID_Z_EN: 1
; COMPUTE_PGM_RSRC2:TIDIG_COMP_CNT: 0
	.section	.text._Z39paged_attention_ll4mi_QKV_mfma16_kernelI14__hip_bfloat16S0_LN4vllm18Fp8KVCacheDataTypeE0EhLi16ELi128ELi256ELb0ELi14EL8MFMAType0EEvPKT_PKT0_S9_ifPKiSB_SB_iPKfiiiPfSE_PS4_PT2_iSD_SD_,"axG",@progbits,_Z39paged_attention_ll4mi_QKV_mfma16_kernelI14__hip_bfloat16S0_LN4vllm18Fp8KVCacheDataTypeE0EhLi16ELi128ELi256ELb0ELi14EL8MFMAType0EEvPKT_PKT0_S9_ifPKiSB_SB_iPKfiiiPfSE_PS4_PT2_iSD_SD_,comdat
	.protected	_Z39paged_attention_ll4mi_QKV_mfma16_kernelI14__hip_bfloat16S0_LN4vllm18Fp8KVCacheDataTypeE0EhLi16ELi128ELi256ELb0ELi14EL8MFMAType0EEvPKT_PKT0_S9_ifPKiSB_SB_iPKfiiiPfSE_PS4_PT2_iSD_SD_ ; -- Begin function _Z39paged_attention_ll4mi_QKV_mfma16_kernelI14__hip_bfloat16S0_LN4vllm18Fp8KVCacheDataTypeE0EhLi16ELi128ELi256ELb0ELi14EL8MFMAType0EEvPKT_PKT0_S9_ifPKiSB_SB_iPKfiiiPfSE_PS4_PT2_iSD_SD_
	.globl	_Z39paged_attention_ll4mi_QKV_mfma16_kernelI14__hip_bfloat16S0_LN4vllm18Fp8KVCacheDataTypeE0EhLi16ELi128ELi256ELb0ELi14EL8MFMAType0EEvPKT_PKT0_S9_ifPKiSB_SB_iPKfiiiPfSE_PS4_PT2_iSD_SD_
	.p2align	8
	.type	_Z39paged_attention_ll4mi_QKV_mfma16_kernelI14__hip_bfloat16S0_LN4vllm18Fp8KVCacheDataTypeE0EhLi16ELi128ELi256ELb0ELi14EL8MFMAType0EEvPKT_PKT0_S9_ifPKiSB_SB_iPKfiiiPfSE_PS4_PT2_iSD_SD_,@function
_Z39paged_attention_ll4mi_QKV_mfma16_kernelI14__hip_bfloat16S0_LN4vllm18Fp8KVCacheDataTypeE0EhLi16ELi128ELi256ELb0ELi14EL8MFMAType0EEvPKT_PKT0_S9_ifPKiSB_SB_iPKfiiiPfSE_PS4_PT2_iSD_SD_: ; @_Z39paged_attention_ll4mi_QKV_mfma16_kernelI14__hip_bfloat16S0_LN4vllm18Fp8KVCacheDataTypeE0EhLi16ELi128ELi256ELb0ELi14EL8MFMAType0EEvPKT_PKT0_S9_ifPKiSB_SB_iPKfiiiPfSE_PS4_PT2_iSD_SD_
; %bb.0:
	s_load_b64 s[4:5], s[0:1], 0x30
	s_mov_b32 s30, s13
	s_waitcnt lgkmcnt(0)
	s_cmp_lg_u64 s[4:5], 0
	s_cselect_b32 s8, -1, 0
	s_ashr_i32 s31, s13, 31
	s_cmp_eq_u64 s[4:5], 0
	s_cbranch_scc1 .LBB627_3
; %bb.1:
	s_lshl_b64 s[2:3], s[30:31], 2
	s_delay_alu instid0(SALU_CYCLE_1) | instskip(SKIP_4) | instid1(SALU_CYCLE_1)
	s_add_u32 s2, s4, s2
	s_addc_u32 s3, s5, s3
	s_load_b64 s[2:3], s[2:3], 0x0
	s_waitcnt lgkmcnt(0)
	s_sub_i32 s2, s3, s2
	s_cmp_eq_u32 s2, 1
	s_cselect_b32 s2, -1, 0
	s_delay_alu instid0(SALU_CYCLE_1)
	s_and_not1_b32 vcc_lo, exec_lo, s2
	s_cbranch_vccz .LBB627_4
.LBB627_2:
	s_endpgm
.LBB627_3:
.LBB627_4:
	s_load_b64 s[2:3], s[0:1], 0x28
	s_lshl_b64 s[6:7], s[30:31], 2
	s_waitcnt lgkmcnt(0)
	s_add_u32 s2, s2, s6
	s_addc_u32 s3, s3, s7
	s_lshl_b32 s31, s14, 8
	s_load_b32 s28, s[2:3], 0x0
	s_waitcnt lgkmcnt(0)
	s_cmp_ge_i32 s31, s28
	s_cbranch_scc1 .LBB627_2
; %bb.5:
	s_clause 0x1
	s_load_b128 s[20:23], s[0:1], 0x8
	s_load_b64 s[2:3], s[0:1], 0x20
	s_and_not1_b32 vcc_lo, exec_lo, s8
	s_cbranch_vccnz .LBB627_7
; %bb.6:
	s_add_u32 s4, s4, s6
	s_addc_u32 s5, s5, s7
	s_load_b32 s5, s[4:5], 0x0
	s_branch .LBB627_8
.LBB627_7:
	s_mov_b32 s5, s30
.LBB627_8:
	s_load_b128 s[16:19], s[0:1], 0x48
	v_and_b32_e32 v140, 15, v0
	v_lshrrev_b32_e32 v141, 5, v0
	v_and_b32_e32 v142, 31, v0
	v_and_b32_e32 v139, 1, v0
	v_bfe_u32 v138, v0, 4, 1
	v_lshlrev_b32_e32 v1, 3, v140
	s_mul_i32 s29, s15, 14
	s_mov_b32 s4, exec_lo
	s_delay_alu instid0(VALU_DEP_1)
	v_lshlrev_b32_e32 v137, 1, v1
	v_cmpx_gt_u32_e32 0xe0, v0
	s_cbranch_execz .LBB627_10
; %bb.9:
	s_load_b64 s[6:7], s[0:1], 0x0
	v_lshl_or_b32 v5, v141, 1, v138
	s_waitcnt lgkmcnt(0)
	s_mul_hi_i32 s9, s5, s16
	s_mul_i32 s8, s5, s16
	v_lshlrev_b32_e32 v6, 10, v140
	s_lshl_b64 s[8:9], s[8:9], 1
	v_add_lshl_u32 v1, v5, s29, 7
	v_lshlrev_b32_e32 v5, 6, v5
	v_lshlrev_b32_e32 v7, 10, v139
	v_and_b32_e32 v6, 0x3800, v6
	s_delay_alu instid0(VALU_DEP_4) | instskip(NEXT) | instid1(VALU_DEP_2)
	v_ashrrev_i32_e32 v2, 31, v1
	v_or3_b32 v5, v6, v7, v5
	s_delay_alu instid0(VALU_DEP_2) | instskip(SKIP_2) | instid1(VALU_DEP_1)
	v_lshlrev_b64 v[1:2], 1, v[1:2]
	s_add_u32 s5, s6, s8
	s_addc_u32 s6, s7, s9
	v_add_co_u32 v1, vcc_lo, s5, v1
	s_delay_alu instid0(VALU_DEP_2) | instskip(NEXT) | instid1(VALU_DEP_2)
	v_add_co_ci_u32_e32 v2, vcc_lo, s6, v2, vcc_lo
	v_add_co_u32 v1, vcc_lo, v1, v137
	s_delay_alu instid0(VALU_DEP_2)
	v_add_co_ci_u32_e32 v2, vcc_lo, 0, v2, vcc_lo
	global_load_b128 v[1:4], v[1:2], off
	s_waitcnt vmcnt(0)
	ds_store_b128 v5, v[1:4]
.LBB627_10:
	s_or_b32 exec_lo, exec_lo, s4
	v_and_b32_e32 v1, 0xef, v0
	s_waitcnt lgkmcnt(0)
	s_add_i32 s5, s28, 15
	s_clause 0x1
	s_load_b32 s4, s[0:1], 0x38
	s_load_b32 s33, s[0:1], 0x1c
	s_ashr_i32 s6, s5, 31
	v_add_nc_u32_e32 v1, s31, v1
	s_lshr_b32 s6, s6, 28
	s_waitcnt lgkmcnt(0)
	s_add_i32 s5, s5, s6
	s_barrier
	v_ashrrev_i32_e32 v2, 31, v1
	v_cmp_gt_i32_e32 vcc_lo, s28, v1
	s_ashr_i32 s16, s5, 4
	buffer_gl0_inv
	s_add_i32 s16, s16, -1
	v_lshrrev_b32_e32 v3, 28, v2
	v_or_b32_e32 v2, 16, v1
	v_add_nc_u32_e32 v105, -14, v140
	v_lshlrev_b32_e32 v106, 5, v140
	s_delay_alu instid0(VALU_DEP_4) | instskip(NEXT) | instid1(VALU_DEP_4)
	v_add_nc_u32_e32 v4, v1, v3
	v_add_nc_u32_e32 v3, v2, v3
	s_mul_i32 s4, s30, s4
	s_delay_alu instid0(VALU_DEP_3) | instskip(SKIP_4) | instid1(SALU_CYCLE_1)
	v_lshl_or_b32 v125, v141, 9, v106
	s_ashr_i32 s5, s4, 31
	v_ashrrev_i32_e32 v4, 4, v4
	v_ashrrev_i32_e32 v3, 4, v3
	s_lshl_b64 s[4:5], s[4:5], 2
	s_add_u32 s34, s2, s4
	s_delay_alu instid0(VALU_DEP_2) | instskip(SKIP_3) | instid1(VALU_DEP_2)
	v_cndmask_b32_e32 v1, s16, v4, vcc_lo
	v_cmp_gt_i32_e32 vcc_lo, s28, v2
	s_addc_u32 s35, s3, s5
	s_mul_i32 s2, s15, s18
	v_ashrrev_i32_e32 v2, 31, v1
	v_cndmask_b32_e32 v3, s16, v3, vcc_lo
	s_ashr_i32 s3, s2, 31
	s_delay_alu instid0(SALU_CYCLE_1) | instskip(NEXT) | instid1(VALU_DEP_2)
	s_lshl_b64 s[2:3], s[2:3], 1
	v_lshlrev_b64 v[1:2], 2, v[1:2]
	s_delay_alu instid0(VALU_DEP_2) | instskip(SKIP_3) | instid1(VALU_DEP_1)
	v_ashrrev_i32_e32 v4, 31, v3
	s_add_u32 s24, s20, s2
	s_addc_u32 s25, s21, s3
	s_lshl_b32 s4, s14, 4
	v_lshlrev_b64 v[3:4], 2, v[3:4]
	v_add_co_u32 v1, vcc_lo, s34, v1
	v_add_co_ci_u32_e32 v2, vcc_lo, s35, v2, vcc_lo
	s_ashr_i32 s5, s4, 31
	s_delay_alu instid0(VALU_DEP_3) | instskip(NEXT) | instid1(VALU_DEP_4)
	v_add_co_u32 v3, vcc_lo, s34, v3
	v_add_co_ci_u32_e32 v4, vcc_lo, s35, v4, vcc_lo
	s_lshl_b64 s[4:5], s[4:5], 2
	s_clause 0x1
	global_load_b32 v5, v[1:2], off
	global_load_b32 v6, v[3:4], off
	s_add_u32 s4, s34, s4
	s_addc_u32 s5, s35, s5
	s_or_b32 s6, s31, 16
	v_lshlrev_b32_e32 v3, 4, v0
	s_ashr_i32 s7, s6, 4
	s_cmp_lt_i32 s6, s28
	s_cselect_b32 s6, s7, s16
	s_delay_alu instid0(SALU_CYCLE_1) | instskip(NEXT) | instid1(SALU_CYCLE_1)
	s_ashr_i32 s7, s6, 31
	s_lshl_b64 s[6:7], s[6:7], 2
	s_delay_alu instid0(SALU_CYCLE_1) | instskip(SKIP_2) | instid1(SALU_CYCLE_1)
	s_add_u32 s6, s34, s6
	s_addc_u32 s7, s35, s7
	s_or_b32 s8, s31, 32
	s_ashr_i32 s9, s8, 4
	s_cmp_lt_i32 s8, s28
	s_cselect_b32 s8, s9, s16
	s_delay_alu instid0(SALU_CYCLE_1) | instskip(NEXT) | instid1(SALU_CYCLE_1)
	s_ashr_i32 s9, s8, 31
	s_lshl_b64 s[8:9], s[8:9], 2
	s_delay_alu instid0(SALU_CYCLE_1) | instskip(SKIP_2) | instid1(SALU_CYCLE_1)
	s_add_u32 s8, s34, s8
	s_addc_u32 s9, s35, s9
	s_or_b32 s10, s31, 48
	;; [unrolled: 10-line block ×4, first 2 shown]
	s_ashr_i32 s13, s12, 4
	s_cmp_lt_i32 s12, s28
	s_cselect_b32 s12, s13, s16
	s_delay_alu instid0(SALU_CYCLE_1) | instskip(NEXT) | instid1(SALU_CYCLE_1)
	s_ashr_i32 s13, s12, 31
	s_lshl_b64 s[12:13], s[12:13], 2
	s_delay_alu instid0(SALU_CYCLE_1)
	s_add_u32 s20, s34, s12
	s_addc_u32 s21, s35, s13
	s_clause 0x5
	s_load_b32 s36, s[4:5], 0x0
	s_load_b32 s27, s[6:7], 0x0
	;; [unrolled: 1-line block ×6, first 2 shown]
	s_waitcnt vmcnt(1)
	v_mad_i64_i32 v[1:2], null, v5, s17, 0
	v_and_b32_e32 v5, 0xf0, v3
	s_waitcnt vmcnt(0)
	v_mad_i64_i32 v[3:4], null, v6, s17, 0
	s_delay_alu instid0(VALU_DEP_2) | instskip(NEXT) | instid1(VALU_DEP_4)
	v_add_co_u32 v5, s4, s24, v5
	v_lshlrev_b64 v[1:2], 1, v[1:2]
	v_add_co_ci_u32_e64 v6, null, s25, 0, s4
	s_delay_alu instid0(VALU_DEP_4) | instskip(SKIP_1) | instid1(VALU_DEP_3)
	v_lshlrev_b64 v[3:4], 1, v[3:4]
	s_or_b32 s4, s31, 0x60
	v_add_co_u32 v121, vcc_lo, v5, v1
	s_delay_alu instid0(VALU_DEP_3) | instskip(NEXT) | instid1(VALU_DEP_3)
	v_add_co_ci_u32_e32 v122, vcc_lo, v6, v2, vcc_lo
	v_add_co_u32 v123, vcc_lo, v5, v3
	s_delay_alu instid0(VALU_DEP_4)
	v_add_co_ci_u32_e32 v124, vcc_lo, v6, v4, vcc_lo
	s_clause 0x19
	global_load_b128 v[89:92], v[121:122], off
	global_load_b128 v[93:96], v[121:122], off offset:256
	global_load_b128 v[97:100], v[123:124], off
	global_load_b128 v[101:104], v[123:124], off offset:256
	global_load_b128 v[81:84], v[121:122], off offset:512
	;; [unrolled: 1-line block ×23, first 2 shown]
	s_ashr_i32 s5, s4, 4
	s_cmp_lt_i32 s4, s28
	v_cmp_gt_u32_e32 vcc_lo, 14, v140
	s_cselect_b32 s4, s5, s16
	s_delay_alu instid0(SALU_CYCLE_1) | instskip(NEXT) | instid1(SALU_CYCLE_1)
	s_ashr_i32 s5, s4, 31
	s_lshl_b64 s[4:5], s[4:5], 2
	v_cndmask_b32_e32 v105, v105, v140, vcc_lo
	s_add_u32 s18, s34, s4
	s_addc_u32 s19, s35, s5
	s_or_b32 s4, s31, 0x70
	s_delay_alu instid0(SALU_CYCLE_1)
	s_ashr_i32 s5, s4, 4
	s_cmp_lt_i32 s4, s28
	v_lshlrev_b32_e32 v215, 6, v105
	s_cselect_b32 s6, s5, s16
	ds_load_b128 v[105:108], v215
	ds_load_b128 v[109:112], v215 offset:1024
	s_ashr_i32 s7, s6, 31
	ds_load_b128 v[113:116], v215 offset:2048
	ds_load_b128 v[117:120], v215 offset:3072
	;; [unrolled: 1-line block ×8, first 2 shown]
	s_clause 0x1
	global_load_b128 v[167:170], v[123:124], off offset:3072
	global_load_b128 v[171:174], v[123:124], off offset:3328
	s_lshl_b64 s[6:7], s[6:7], 2
	s_mov_b32 s4, 0
	s_add_u32 s20, s34, s6
	s_addc_u32 s21, s35, s7
	s_clause 0x1
	s_load_b32 s42, s[18:19], 0x0
	s_load_b32 s43, s[20:21], 0x0
	s_clause 0x3
	global_load_b128 v[175:178], v[121:122], off offset:3584
	global_load_b128 v[179:182], v[121:122], off offset:3840
	global_load_b128 v[183:186], v[123:124], off offset:3584
	global_load_b128 v[187:190], v[123:124], off offset:3840
	s_or_b32 s7, s31, 0x80
	s_mov_b32 s5, s4
	s_ashr_i32 s8, s7, 4
	s_cmp_lt_i32 s7, s28
	s_mov_b32 s6, s4
	s_cselect_b32 s10, s8, s16
	s_mov_b32 s7, s4
	s_ashr_i32 s11, s10, 31
	s_mov_b32 s8, s4
	s_lshl_b64 s[24:25], s[10:11], 2
	s_mov_b32 s9, s4
	s_add_u32 s24, s34, s24
	s_addc_u32 s25, s35, s25
	s_or_b32 s11, s31, 0x90
	s_mov_b32 s10, s4
	s_ashr_i32 s37, s11, 4
	s_cmp_lt_i32 s11, s28
	s_mov_b32 s11, s4
	s_cselect_b32 s38, s37, s16
	v_mov_b32_e32 v136, s11
	s_ashr_i32 s39, s38, 31
	v_dual_mov_b32 v135, s10 :: v_dual_mov_b32 v134, s9
	v_dual_mov_b32 v133, s8 :: v_dual_mov_b32 v132, s7
	;; [unrolled: 1-line block ×3, first 2 shown]
	v_mov_b32_e32 v129, s4
	s_lshl_b64 s[4:5], s[38:39], 2
	s_waitcnt lgkmcnt(0)
	s_mul_hi_i32 s7, s27, s17
	s_add_u32 s38, s34, s4
	s_addc_u32 s39, s35, s5
	s_or_b32 s4, s31, 0xa0
	s_load_b32 s39, s[38:39], 0x0
	s_ashr_i32 s5, s4, 4
	s_cmp_lt_i32 s4, s28
	s_cselect_b32 s4, s5, s16
	s_delay_alu instid0(SALU_CYCLE_1) | instskip(NEXT) | instid1(SALU_CYCLE_1)
	s_ashr_i32 s5, s4, 31
	s_lshl_b64 s[4:5], s[4:5], 2
	s_delay_alu instid0(SALU_CYCLE_1)
	s_add_u32 s40, s34, s4
	s_addc_u32 s41, s35, s5
	s_or_b32 s4, s31, 0xb0
	s_mul_hi_i32 s5, s36, s17
	s_ashr_i32 s6, s4, 4
	s_cmp_lt_i32 s4, s28
	s_mul_i32 s4, s36, s17
	s_cselect_b32 s8, s6, s16
	s_mul_i32 s6, s27, s17
	s_ashr_i32 s9, s8, 31
	s_load_b32 s38, s[40:41], 0x0
	s_lshl_b64 s[10:11], s[8:9], 2
	s_mul_hi_i32 s9, s26, s17
	s_add_u32 s36, s34, s10
	s_addc_u32 s37, s35, s11
	s_or_b32 s10, s31, 0xc0
	s_mul_i32 s8, s26, s17
	s_ashr_i32 s26, s10, 4
	s_cmp_lt_i32 s10, s28
	s_mul_hi_i32 s11, s13, s17
	s_cselect_b32 s26, s26, s16
	s_mul_i32 s10, s13, s17
	s_ashr_i32 s27, s26, 31
	s_mul_hi_i32 s13, s12, s17
	s_lshl_b64 s[26:27], s[26:27], 2
	s_mul_i32 s12, s12, s17
	s_add_u32 s20, s34, s26
	s_addc_u32 s21, s35, s27
	s_or_b32 s18, s31, 0xd0
	s_load_b32 s26, s[24:25], 0x0
	s_ashr_i32 s19, s18, 4
	s_cmp_lt_i32 s18, s28
	s_mul_i32 s18, s15, s17
	s_cselect_b32 s24, s19, s16
	s_mul_hi_i32 s19, s15, s17
	s_ashr_i32 s25, s24, 31
	s_waitcnt lgkmcnt(0)
	s_mul_hi_i32 s41, s39, s17
	s_lshl_b64 s[24:25], s[24:25], 2
	s_delay_alu instid0(SALU_CYCLE_1)
	s_add_u32 s24, s34, s24
	s_addc_u32 s25, s35, s25
	s_or_b32 s40, s31, 0xe0
	s_clause 0x2
	s_load_b32 s37, s[36:37], 0x0
	s_load_b32 s36, s[20:21], 0x0
	;; [unrolled: 1-line block ×3, first 2 shown]
	s_ashr_i32 s44, s40, 4
	s_cmp_lt_i32 s40, s28
	s_mul_hi_i32 s21, s42, s17
	s_mul_i32 s20, s42, s17
	s_cselect_b32 s42, s44, s16
	s_mul_hi_i32 s25, s43, s17
	s_mul_i32 s24, s43, s17
	s_ashr_i32 s43, s42, 31
	s_mul_hi_i32 s27, s26, s17
	s_lshl_b64 s[42:43], s[42:43], 2
	s_mul_i32 s26, s26, s17
	s_add_u32 s42, s34, s42
	s_addc_u32 s43, s35, s43
	s_or_b32 s44, s31, 0xf0
	s_mul_i32 s40, s39, s17
	s_ashr_i32 s46, s44, 4
	s_cmp_lt_i32 s44, s28
	s_mul_hi_i32 s39, s38, s17
	s_cselect_b32 s46, s46, s16
	s_waitcnt lgkmcnt(0)
	s_mul_hi_i32 s49, s15, s17
	s_ashr_i32 s47, s46, 31
	s_mul_i32 s48, s15, s17
	s_lshl_b64 s[46:47], s[46:47], 2
	s_mul_i32 s38, s38, s17
	s_add_u32 s34, s34, s46
	s_addc_u32 s35, s35, s47
	s_add_u32 s15, s22, s2
	s_addc_u32 s16, s23, s3
	v_add_co_u32 v216, s15, s15, v125
	s_delay_alu instid0(VALU_DEP_1) | instskip(SKIP_2) | instid1(VALU_DEP_2)
	v_add_co_ci_u32_e64 v217, null, s16, 0, s15
	s_lshl_b64 s[2:3], s[4:5], 1
	s_lshl_b64 s[4:5], s[6:7], 1
	v_add_co_u32 v125, vcc_lo, v216, s2
	s_delay_alu instid0(VALU_DEP_2)
	v_add_co_ci_u32_e32 v126, vcc_lo, s3, v217, vcc_lo
	v_add_co_u32 v199, vcc_lo, v216, s4
	s_lshl_b64 s[6:7], s[8:9], 1
	v_add_co_ci_u32_e32 v200, vcc_lo, s5, v217, vcc_lo
	s_lshl_b64 s[8:9], s[10:11], 1
	s_lshl_b64 s[10:11], s[12:13], 1
	;; [unrolled: 1-line block ×8, first 2 shown]
	s_mul_hi_i32 s45, s37, s17
	s_mul_i32 s44, s37, s17
	s_mul_hi_i32 s37, s36, s17
	s_lshl_b64 s[38:39], s[44:45], 1
	s_mul_i32 s36, s36, s17
	s_clause 0x1
	s_load_b32 s15, s[42:43], 0x0
	s_load_b32 s16, s[34:35], 0x0
	s_lshl_b64 s[36:37], s[36:37], 1
	s_lshl_b64 s[40:41], s[48:49], 1
	s_waitcnt lgkmcnt(0)
	s_mul_hi_i32 s3, s15, s17
	s_mul_i32 s2, s15, s17
	s_mul_hi_i32 s5, s16, s17
	s_lshl_b64 s[2:3], s[2:3], 1
	s_mul_i32 s4, s16, s17
	s_waitcnt vmcnt(30)
	v_wmma_f32_16x16x16_bf16 v[191:198], v[89:96], v[105:112], v[129:136]
	v_add_co_u32 v89, vcc_lo, v216, s6
	v_add_co_ci_u32_e32 v90, vcc_lo, s7, v217, vcc_lo
	v_add_co_u32 v91, vcc_lo, v216, s8
	v_add_co_ci_u32_e32 v92, vcc_lo, s9, v217, vcc_lo
	;; [unrolled: 2-line block ×5, first 2 shown]
	v_add_co_u32 v205, vcc_lo, v216, s20
	s_waitcnt vmcnt(28)
	v_wmma_f32_16x16x16_bf16 v[129:136], v[97:104], v[105:112], v[129:136]
	v_add_co_ci_u32_e32 v206, vcc_lo, s21, v217, vcc_lo
	v_add_co_u32 v207, vcc_lo, v216, s22
	v_add_co_ci_u32_e32 v208, vcc_lo, s23, v217, vcc_lo
	v_add_co_u32 v209, vcc_lo, v216, s24
	s_waitcnt vmcnt(26)
	v_wmma_f32_16x16x16_bf16 v[191:198], v[81:88], v[113:120], v[191:198]
	s_waitcnt vmcnt(24)
	v_wmma_f32_16x16x16_bf16 v[129:136], v[73:80], v[113:120], v[129:136]
	v_add_co_ci_u32_e32 v210, vcc_lo, s25, v217, vcc_lo
	v_add_co_u32 v211, vcc_lo, v216, s26
	v_add_co_ci_u32_e32 v212, vcc_lo, s27, v217, vcc_lo
	v_add_co_u32 v213, vcc_lo, v216, s38
	s_waitcnt vmcnt(22)
	v_wmma_f32_16x16x16_bf16 v[191:198], v[65:72], v[143:150], v[191:198]
	s_waitcnt vmcnt(20)
	v_wmma_f32_16x16x16_bf16 v[129:136], v[57:64], v[143:150], v[129:136]
	v_add_co_ci_u32_e32 v214, vcc_lo, s39, v217, vcc_lo
	v_add_co_u32 v143, vcc_lo, v216, s36
	s_waitcnt vmcnt(18)
	v_wmma_f32_16x16x16_bf16 v[191:198], v[49:56], v[151:158], v[191:198]
	s_waitcnt vmcnt(16)
	v_wmma_f32_16x16x16_bf16 v[129:136], v[41:48], v[151:158], v[129:136]
	v_add_co_ci_u32_e32 v144, vcc_lo, s37, v217, vcc_lo
	s_clause 0x15
	global_load_b128 v[121:124], v[125:126], off
	global_load_b128 v[125:128], v[125:126], off offset:16
	global_load_b128 v[113:116], v[199:200], off
	global_load_b128 v[117:120], v[199:200], off offset:16
	;; [unrolled: 2-line block ×11, first 2 shown]
	s_waitcnt vmcnt(36)
	v_wmma_f32_16x16x16_bf16 v[191:198], v[17:24], v[159:166], v[191:198]
	s_clause 0x1
	global_load_b128 v[17:20], v[213:214], off
	global_load_b128 v[21:24], v[213:214], off offset:16
	s_waitcnt vmcnt(36)
	v_wmma_f32_16x16x16_bf16 v[129:136], v[1:8], v[159:166], v[129:136]
	s_clause 0x1
	global_load_b128 v[1:4], v[143:144], off
	global_load_b128 v[5:8], v[143:144], off offset:16
	ds_load_b128 v[143:146], v215 offset:10240
	ds_load_b128 v[147:150], v215 offset:11264
	;; [unrolled: 1-line block ×4, first 2 shown]
	v_add_co_u32 v199, vcc_lo, v216, s40
	v_add_co_ci_u32_e32 v200, vcc_lo, s41, v217, vcc_lo
	v_add_co_u32 v159, vcc_lo, v216, s2
	v_add_co_ci_u32_e32 v160, vcc_lo, s3, v217, vcc_lo
	s_lshl_b64 s[2:3], s[4:5], 1
	s_delay_alu instid0(SALU_CYCLE_1)
	v_add_co_u32 v161, vcc_lo, v216, s2
	v_add_co_ci_u32_e32 v162, vcc_lo, s3, v217, vcc_lo
	s_waitcnt vmcnt(36) lgkmcnt(2)
	v_wmma_f32_16x16x16_bf16 v[191:198], v[25:32], v[143:150], v[191:198]
	s_waitcnt vmcnt(34)
	v_wmma_f32_16x16x16_bf16 v[129:136], v[33:40], v[143:150], v[129:136]
	s_clause 0x3
	global_load_b128 v[25:28], v[199:200], off
	global_load_b128 v[29:32], v[199:200], off offset:16
	global_load_b128 v[33:36], v[159:160], off
	global_load_b128 v[37:40], v[159:160], off offset:16
	v_and_b32_e32 v143, 0xe0, v0
	v_mbcnt_lo_u32_b32 v159, -1, 0
	s_waitcnt vmcnt(36) lgkmcnt(0)
	v_wmma_f32_16x16x16_bf16 v[191:198], v[9:16], v[151:158], v[191:198]
	s_clause 0x1
	global_load_b128 v[9:12], v[161:162], off
	global_load_b128 v[13:16], v[161:162], off offset:16
	s_waitcnt vmcnt(36)
	v_wmma_f32_16x16x16_bf16 v[129:136], v[167:174], v[151:158], v[129:136]
	v_add_nc_u32_e32 v160, s31, v143
	ds_load_b128 v[143:146], v215 offset:14336
	ds_load_b128 v[147:150], v215 offset:15360
	v_xor_b32_e32 v151, 16, v159
	s_waitcnt vmcnt(0) lgkmcnt(0)
	s_barrier
	v_or_b32_e32 v152, v160, v138
	buffer_gl0_inv
	v_cmp_gt_i32_e32 vcc_lo, 32, v151
	v_or_b32_e32 v153, 2, v152
	v_or_b32_e32 v154, 4, v152
	;; [unrolled: 1-line block ×5, first 2 shown]
	v_cmp_gt_i32_e64 s2, s28, v153
	v_cmp_gt_i32_e64 s3, s28, v154
	v_cmp_gt_i32_e64 s4, s28, v155
	v_or_b32_e32 v158, 12, v152
	v_cmp_gt_i32_e64 s5, s28, v156
	v_cmp_gt_i32_e64 s6, s28, v157
	v_wmma_f32_16x16x16_bf16 v[191:198], v[175:182], v[143:150], v[191:198]
	v_wmma_f32_16x16x16_bf16 v[129:136], v[183:190], v[143:150], v[129:136]
	v_cndmask_b32_e32 v151, v159, v151, vcc_lo
	v_cmp_gt_i32_e32 vcc_lo, s28, v152
	v_or_b32_e32 v159, 14, v152
	v_dual_mul_f32 v149, s33, v192 :: v_dual_mul_f32 v150, s33, v191
	v_dual_mul_f32 v147, s33, v194 :: v_dual_mul_f32 v148, s33, v193
	v_mul_f32_e32 v145, s33, v196
	s_delay_alu instid0(VALU_DEP_3) | instskip(NEXT) | instid1(VALU_DEP_4)
	v_cndmask_b32_e64 v149, 0xff7fffff, v149, s2
	v_cndmask_b32_e32 v150, 0xff7fffff, v150, vcc_lo
	v_mul_f32_e32 v146, s33, v195
	v_cndmask_b32_e64 v148, 0xff7fffff, v148, s3
	v_cndmask_b32_e64 v147, 0xff7fffff, v147, s4
	v_or_b32_e32 v160, 16, v152
	v_max3_f32 v149, v150, 0xff7fffff, v149
	v_or_b32_e32 v161, 18, v152
	v_dual_mul_f32 v143, s33, v198 :: v_dual_mul_f32 v144, s33, v197
	v_cndmask_b32_e64 v146, 0xff7fffff, v146, s5
	v_cndmask_b32_e64 v145, 0xff7fffff, v145, s6
	v_max3_f32 v147, v149, v148, v147
	v_cmp_gt_i32_e64 s7, s28, v158
	v_cmp_gt_i32_e64 s8, s28, v159
	v_or_b32_e32 v162, 20, v152
	v_or_b32_e32 v163, 22, v152
	v_dual_mul_f32 v174, s33, v130 :: v_dual_mul_f32 v175, s33, v129
	v_cndmask_b32_e64 v144, 0xff7fffff, v144, s7
	v_cndmask_b32_e64 v143, 0xff7fffff, v143, s8
	v_max3_f32 v145, v147, v146, v145
	v_cmp_gt_i32_e64 s9, s28, v160
	v_cmp_gt_i32_e64 s10, s28, v161
	v_or_b32_e32 v164, 24, v152
	;; [unrolled: 8-line block ×3, first 2 shown]
	v_or_b32_e32 v167, 30, v152
	v_dual_mul_f32 v170, s33, v134 :: v_dual_mul_f32 v171, s33, v133
	v_cndmask_b32_e64 v144, 0xff7fffff, v173, s11
	v_cndmask_b32_e64 v145, 0xff7fffff, v172, s12
	v_max3_f32 v143, v143, v146, v147
	v_cmp_gt_i32_e64 s13, s28, v164
	v_cmp_gt_i32_e64 s15, s28, v165
	v_dual_mul_f32 v168, s33, v136 :: v_dual_mul_f32 v169, s33, v135
	s_delay_alu instid0(VALU_DEP_4) | instskip(NEXT) | instid1(VALU_DEP_4)
	v_max3_f32 v143, v143, v144, v145
	v_cndmask_b32_e64 v146, 0xff7fffff, v171, s13
	s_delay_alu instid0(VALU_DEP_4) | instskip(SKIP_3) | instid1(VALU_DEP_4)
	v_cndmask_b32_e64 v147, 0xff7fffff, v170, s15
	v_cmp_gt_i32_e64 s16, s28, v166
	v_cmp_gt_i32_e64 s17, s28, v167
	v_lshlrev_b32_e32 v154, 2, v151
	v_max3_f32 v143, v143, v146, v147
	s_delay_alu instid0(VALU_DEP_4) | instskip(NEXT) | instid1(VALU_DEP_4)
	v_cndmask_b32_e64 v144, 0xff7fffff, v169, s16
	v_cndmask_b32_e64 v145, 0xff7fffff, v168, s17
	s_delay_alu instid0(VALU_DEP_1) | instskip(SKIP_3) | instid1(VALU_DEP_1)
	v_max3_f32 v143, v143, v144, v145
	ds_bpermute_b32 v144, v154, v143
	s_waitcnt lgkmcnt(0)
	v_max_f32_e32 v144, v144, v144
	v_max_f32_e32 v153, v143, v144
	s_delay_alu instid0(VALU_DEP_1) | instskip(SKIP_4) | instid1(VALU_DEP_4)
	v_fma_f32 v143, s33, v191, -v153
	v_fma_f32 v144, s33, v192, -v153
	;; [unrolled: 1-line block ×5, first 2 shown]
	v_dual_mul_f32 v143, 0x3fb8aa3b, v143 :: v_dual_mul_f32 v144, 0x3fb8aa3b, v144
	s_delay_alu instid0(VALU_DEP_4) | instskip(SKIP_2) | instid1(VALU_DEP_4)
	v_mul_f32_e32 v132, 0x3fb8aa3b, v132
	v_fma_f32 v134, s33, v134, -v153
	v_mul_f32_e32 v145, 0x3fb8aa3b, v145
	v_exp_f32_e32 v143, v143
	v_exp_f32_e32 v147, v144
	v_fma_f32 v148, s33, v195, -v153
	v_mul_f32_e32 v134, 0x3fb8aa3b, v134
	v_mul_f32_e32 v146, 0x3fb8aa3b, v146
	v_exp_f32_e32 v145, v145
	v_fma_f32 v151, s33, v197, -v153
	v_mul_f32_e32 v148, 0x3fb8aa3b, v148
	v_fma_f32 v129, s33, v129, -v153
	v_exp_f32_e32 v149, v146
	v_cndmask_b32_e32 v144, 0, v143, vcc_lo
	v_fma_f32 v143, s33, v196, -v153
	v_cndmask_b32_e64 v146, 0, v147, s2
	v_exp_f32_e32 v148, v148
	s_delay_alu instid0(VALU_DEP_3) | instskip(NEXT) | instid1(VALU_DEP_3)
	v_dual_mul_f32 v151, 0x3fb8aa3b, v151 :: v_dual_add_f32 v150, 0, v144
	v_mul_f32_e32 v143, 0x3fb8aa3b, v143
	v_cndmask_b32_e64 v147, 0, v145, s3
	v_fma_f32 v130, s33, v130, -v153
	s_delay_alu instid0(TRANS32_DEP_2)
	v_cndmask_b32_e64 v149, 0, v149, s4
	v_add_f32_e32 v145, v150, v146
	v_fma_f32 v150, s33, v198, -v153
	v_exp_f32_e32 v143, v143
	v_exp_f32_e32 v155, v151
	v_mul_f32_e32 v129, 0x3fb8aa3b, v129
	s_delay_alu instid0(VALU_DEP_2) | instskip(SKIP_2) | instid1(VALU_DEP_3)
	v_dual_add_f32 v145, v145, v147 :: v_dual_mul_f32 v152, 0x3fb8aa3b, v150
	v_cndmask_b32_e64 v150, 0, v148, s5
	v_fma_f32 v131, s33, v131, -v153
	v_dual_mul_f32 v130, 0x3fb8aa3b, v130 :: v_dual_add_f32 v145, v145, v149
	s_delay_alu instid0(VALU_DEP_4) | instskip(NEXT) | instid1(TRANS32_DEP_3)
	v_exp_f32_e32 v152, v152
	v_cndmask_b32_e64 v151, 0, v143, s6
	v_exp_f32_e32 v129, v129
	s_delay_alu instid0(TRANS32_DEP_3)
	v_cndmask_b32_e64 v148, 0, v155, s7
	v_add_f32_e32 v143, v145, v150
	v_mul_f32_e32 v131, 0x3fb8aa3b, v131
	v_exp_f32_e32 v130, v130
	v_fma_f32 v133, s33, v133, -v153
	v_fma_f32 v136, s33, v136, -v153
	v_add_f32_e32 v143, v143, v151
	v_cndmask_b32_e64 v152, 0, v152, s8
	v_exp_f32_e32 v145, v131
	v_cndmask_b32_e64 v131, 0, v129, s9
	v_mul_f32_e32 v133, 0x3fb8aa3b, v133
	v_add_f32_e32 v143, v143, v148
	s_mov_b32 s2, exec_lo
	s_delay_alu instid0(VALU_DEP_1)
	v_add_f32_e32 v129, v143, v152
	v_exp_f32_e32 v143, v132
	v_cndmask_b32_e64 v132, 0, v130, s10
	v_fma_f32 v130, s33, v135, -v153
	v_exp_f32_e32 v135, v133
	v_add_f32_e32 v129, v129, v131
	v_cndmask_b32_e64 v133, 0, v145, s11
	v_exp_f32_e32 v145, v134
	s_delay_alu instid0(VALU_DEP_2) | instskip(NEXT) | instid1(TRANS32_DEP_3)
	v_dual_mul_f32 v130, 0x3fb8aa3b, v130 :: v_dual_add_f32 v129, v129, v132
	v_cndmask_b32_e64 v134, 0, v143, s12
	v_mul_f32_e32 v143, 0x3fb8aa3b, v136
	s_delay_alu instid0(VALU_DEP_3) | instskip(NEXT) | instid1(TRANS32_DEP_3)
	v_exp_f32_e32 v130, v130
	v_cndmask_b32_e64 v135, 0, v135, s13
	v_add_f32_e32 v129, v129, v133
	s_delay_alu instid0(TRANS32_DEP_2) | instskip(SKIP_1) | instid1(VALU_DEP_2)
	v_cndmask_b32_e64 v136, 0, v145, s15
	v_exp_f32_e32 v145, v143
	v_add_f32_e32 v129, v129, v134
	s_waitcnt_depctr 0xfff
	v_cndmask_b32_e64 v143, 0, v130, s16
	v_add_f32_e32 v129, v129, v135
	v_cndmask_b32_e64 v145, 0, v145, s17
	s_delay_alu instid0(VALU_DEP_2) | instskip(NEXT) | instid1(VALU_DEP_1)
	v_add_f32_e32 v129, v129, v136
	v_add_f32_e32 v129, v129, v143
	s_delay_alu instid0(VALU_DEP_1)
	v_add_f32_e32 v129, v129, v145
	ds_bpermute_b32 v130, v154, v129
	v_cmpx_gt_u32_e32 16, v142
	s_cbranch_execz .LBB627_12
; %bb.11:
	v_mul_u32_u24_e32 v142, 0x44, v141
	s_waitcnt lgkmcnt(0)
	v_add_f32_e32 v129, v129, v130
	s_delay_alu instid0(VALU_DEP_2) | instskip(NEXT) | instid1(VALU_DEP_1)
	v_lshl_add_u32 v142, v140, 2, v142
	v_add_nc_u32_e32 v130, 0x4000, v142
	ds_store_2addr_b32 v130, v153, v129 offset1:136
.LBB627_12:
	s_or_b32 exec_lo, exec_lo, s2
	v_lshlrev_b32_e32 v129, 2, v140
	s_waitcnt lgkmcnt(0)
	s_barrier
	buffer_gl0_inv
	v_cmp_eq_u32_e64 s2, 1, v141
	v_add_nc_u32_e32 v142, 0x4000, v129
	ds_load_2addr_b32 v[153:154], v142 offset1:17
	ds_load_2addr_b32 v[155:156], v142 offset0:34 offset1:51
	ds_load_2addr_b32 v[157:158], v142 offset0:68 offset1:85
	;; [unrolled: 1-line block ×4, first 2 shown]
	s_waitcnt lgkmcnt(4)
	v_max3_f32 v129, v153, 0xff7fffff, v154
	s_waitcnt lgkmcnt(3)
	s_delay_alu instid0(VALU_DEP_1) | instskip(SKIP_1) | instid1(VALU_DEP_1)
	v_max3_f32 v129, v129, v155, v156
	s_waitcnt lgkmcnt(2)
	v_max3_f32 v129, v129, v157, v158
	s_waitcnt lgkmcnt(1)
	s_delay_alu instid0(VALU_DEP_1) | instskip(NEXT) | instid1(VALU_DEP_1)
	v_max3_f32 v129, v129, v159, v160
	v_sub_f32_e32 v163, v154, v129
	v_sub_f32_e32 v130, v153, v129
	ds_load_2addr_b32 v[153:154], v142 offset0:170 offset1:187
	v_sub_f32_e32 v155, v155, v129
	v_dual_mul_f32 v163, 0x3fb8aa3b, v163 :: v_dual_mul_f32 v130, 0x3fb8aa3b, v130
	s_delay_alu instid0(VALU_DEP_2) | instskip(NEXT) | instid1(VALU_DEP_2)
	v_mul_f32_e32 v165, 0x3fb8aa3b, v155
	v_exp_f32_e32 v163, v163
	s_delay_alu instid0(VALU_DEP_2)
	v_exp_f32_e32 v164, v130
	v_sub_f32_e32 v130, v156, v129
	ds_load_2addr_b32 v[155:156], v142 offset0:204 offset1:221
	v_exp_f32_e32 v165, v165
	v_mul_f32_e32 v166, 0x3fb8aa3b, v130
	s_waitcnt lgkmcnt(2)
	v_fma_f32 v130, v164, v161, 0
	v_sub_f32_e32 v157, v157, v129
	s_delay_alu instid0(VALU_DEP_3) | instskip(NEXT) | instid1(VALU_DEP_2)
	v_exp_f32_e32 v166, v166
	v_dual_sub_f32 v161, v158, v129 :: v_dual_fmac_f32 v130, v163, v162
	s_waitcnt lgkmcnt(1)
	s_waitcnt_depctr 0xfff
	v_fmac_f32_e32 v130, v165, v153
	v_mul_f32_e32 v167, 0x3fb8aa3b, v157
	ds_load_2addr_b32 v[157:158], v142 offset0:238 offset1:255
	v_sub_f32_e32 v142, v159, v129
	v_dual_sub_f32 v153, v160, v129 :: v_dual_fmac_f32 v130, v166, v154
	v_mul_f32_e32 v159, 0x3fb8aa3b, v161
	v_exp_f32_e32 v161, v167
	s_delay_alu instid0(VALU_DEP_2)
	v_dual_mul_f32 v142, 0x3fb8aa3b, v142 :: v_dual_mul_f32 v153, 0x3fb8aa3b, v153
	s_waitcnt lgkmcnt(0)
	s_barrier
	buffer_gl0_inv
	v_exp_f32_e32 v142, v142
	v_exp_f32_e32 v153, v153
	v_fmac_f32_e32 v130, v161, v155
	v_exp_f32_e32 v159, v159
	s_waitcnt_depctr 0xfff
	v_fmac_f32_e32 v130, v159, v156
	s_delay_alu instid0(VALU_DEP_1) | instskip(NEXT) | instid1(VALU_DEP_1)
	v_fmac_f32_e32 v130, v142, v157
	v_fmac_f32_e32 v130, v153, v158
	s_delay_alu instid0(VALU_DEP_1) | instskip(NEXT) | instid1(VALU_DEP_1)
	v_add_f32_e32 v154, 0x358637bd, v130
	v_div_scale_f32 v155, null, v154, v154, 1.0
	v_div_scale_f32 v158, vcc_lo, 1.0, v154, 1.0
	s_delay_alu instid0(VALU_DEP_2) | instskip(SKIP_2) | instid1(VALU_DEP_1)
	v_rcp_f32_e32 v156, v155
	s_waitcnt_depctr 0xfff
	v_fma_f32 v157, -v155, v156, 1.0
	v_fmac_f32_e32 v156, v157, v156
	v_cndmask_b32_e64 v157, v164, v163, s2
	v_cmp_eq_u32_e64 s2, 2, v141
	s_delay_alu instid0(VALU_DEP_3) | instskip(NEXT) | instid1(VALU_DEP_2)
	v_mul_f32_e32 v160, v158, v156
	v_cndmask_b32_e64 v157, v157, v165, s2
	v_cmp_eq_u32_e64 s2, 3, v141
	s_delay_alu instid0(VALU_DEP_3) | instskip(NEXT) | instid1(VALU_DEP_2)
	v_fma_f32 v162, -v155, v160, v158
	v_cndmask_b32_e64 v157, v157, v166, s2
	v_cmp_eq_u32_e64 s2, 4, v141
	s_delay_alu instid0(VALU_DEP_3) | instskip(NEXT) | instid1(VALU_DEP_2)
	v_fmac_f32_e32 v160, v162, v156
	v_cndmask_b32_e64 v157, v157, v161, s2
	s_delay_alu instid0(VALU_DEP_2) | instskip(SKIP_1) | instid1(VALU_DEP_2)
	v_fma_f32 v155, -v155, v160, v158
	v_cmp_eq_u32_e64 s2, 5, v141
	v_div_fmas_f32 v155, v155, v156, v160
	s_delay_alu instid0(VALU_DEP_2) | instskip(SKIP_2) | instid1(VALU_DEP_3)
	v_cndmask_b32_e64 v157, v157, v159, s2
	v_cmp_eq_u32_e32 vcc_lo, 6, v141
	s_mov_b32 s2, exec_lo
	v_div_fixup_f32 v154, v155, v154, 1.0
	s_delay_alu instid0(VALU_DEP_3) | instskip(SKIP_1) | instid1(VALU_DEP_2)
	v_cndmask_b32_e32 v142, v157, v142, vcc_lo
	v_cmp_eq_u32_e32 vcc_lo, 7, v141
	v_cndmask_b32_e32 v142, v142, v153, vcc_lo
	s_delay_alu instid0(VALU_DEP_1) | instskip(NEXT) | instid1(VALU_DEP_1)
	v_mul_f32_e32 v142, v142, v154
	v_mul_f32_e32 v153, v142, v149
	;; [unrolled: 1-line block ×7, first 2 shown]
	v_dual_mul_f32 v150, v142, v147 :: v_dual_and_b32 v155, 0x7f800000, v154
	v_mul_f32_e32 v149, v142, v146
                                        ; implicit-def: $vgpr146
	s_delay_alu instid0(VALU_DEP_2)
	v_cmpx_ne_u32_e32 0x7f800000, v155
	s_xor_b32 s2, exec_lo, s2
; %bb.13:
	v_bfe_u32 v146, v154, 16, 1
	s_delay_alu instid0(VALU_DEP_1)
	v_add3_u32 v146, v154, v146, 0x7fff
                                        ; implicit-def: $vgpr154
; %bb.14:
	s_and_not1_saveexec_b32 s2, s2
; %bb.15:
	v_and_b32_e32 v146, 0xffff, v154
	v_or_b32_e32 v147, 0x10000, v154
	s_delay_alu instid0(VALU_DEP_2) | instskip(NEXT) | instid1(VALU_DEP_2)
	v_cmp_eq_u32_e32 vcc_lo, 0, v146
	v_cndmask_b32_e32 v146, v147, v154, vcc_lo
; %bb.16:
	s_or_b32 exec_lo, exec_lo, s2
	v_and_b32_e32 v147, 0x7f800000, v149
	s_delay_alu instid0(VALU_DEP_1) | instskip(SKIP_1) | instid1(SALU_CYCLE_1)
	v_cmp_ne_u32_e32 vcc_lo, 0x7f800000, v147
                                        ; implicit-def: $vgpr147
	s_and_saveexec_b32 s2, vcc_lo
	s_xor_b32 s2, exec_lo, s2
; %bb.17:
	v_bfe_u32 v147, v149, 16, 1
	s_delay_alu instid0(VALU_DEP_1)
	v_add3_u32 v147, v149, v147, 0x7fff
                                        ; implicit-def: $vgpr149
; %bb.18:
	s_and_not1_saveexec_b32 s2, s2
; %bb.19:
	v_and_b32_e32 v147, 0xffff, v149
	v_or_b32_e32 v154, 0x10000, v149
	s_delay_alu instid0(VALU_DEP_2) | instskip(NEXT) | instid1(VALU_DEP_2)
	v_cmp_eq_u32_e32 vcc_lo, 0, v147
	v_cndmask_b32_e32 v147, v154, v149, vcc_lo
; %bb.20:
	s_or_b32 exec_lo, exec_lo, s2
	v_and_b32_e32 v149, 0x7f800000, v150
	s_delay_alu instid0(VALU_DEP_1) | instskip(SKIP_1) | instid1(SALU_CYCLE_1)
	v_cmp_ne_u32_e32 vcc_lo, 0x7f800000, v149
                                        ; implicit-def: $vgpr149
	s_and_saveexec_b32 s2, vcc_lo
	s_xor_b32 s2, exec_lo, s2
; %bb.21:
	v_bfe_u32 v149, v150, 16, 1
	s_delay_alu instid0(VALU_DEP_1)
	v_add3_u32 v149, v150, v149, 0x7fff
                                        ; implicit-def: $vgpr150
; %bb.22:
	s_and_not1_saveexec_b32 s2, s2
; %bb.23:
	v_and_b32_e32 v149, 0xffff, v150
	v_or_b32_e32 v154, 0x10000, v150
	s_delay_alu instid0(VALU_DEP_2) | instskip(NEXT) | instid1(VALU_DEP_2)
	v_cmp_eq_u32_e32 vcc_lo, 0, v149
	v_cndmask_b32_e32 v149, v154, v150, vcc_lo
; %bb.24:
	s_or_b32 exec_lo, exec_lo, s2
	v_and_b32_e32 v150, 0x7f800000, v153
	s_delay_alu instid0(VALU_DEP_1) | instskip(SKIP_1) | instid1(SALU_CYCLE_1)
	v_cmp_ne_u32_e32 vcc_lo, 0x7f800000, v150
                                        ; implicit-def: $vgpr150
	s_and_saveexec_b32 s2, vcc_lo
	s_xor_b32 s2, exec_lo, s2
; %bb.25:
	v_bfe_u32 v150, v153, 16, 1
	s_delay_alu instid0(VALU_DEP_1)
	v_add3_u32 v150, v153, v150, 0x7fff
                                        ; implicit-def: $vgpr153
; %bb.26:
	s_and_not1_saveexec_b32 s2, s2
; %bb.27:
	v_and_b32_e32 v150, 0xffff, v153
	v_or_b32_e32 v154, 0x10000, v153
	s_delay_alu instid0(VALU_DEP_2) | instskip(NEXT) | instid1(VALU_DEP_2)
	v_cmp_eq_u32_e32 vcc_lo, 0, v150
	v_cndmask_b32_e32 v150, v154, v153, vcc_lo
; %bb.28:
	s_or_b32 exec_lo, exec_lo, s2
	v_and_b32_e32 v153, 0x7f800000, v152
	s_delay_alu instid0(VALU_DEP_1) | instskip(SKIP_1) | instid1(SALU_CYCLE_1)
	v_cmp_ne_u32_e32 vcc_lo, 0x7f800000, v153
                                        ; implicit-def: $vgpr153
	s_and_saveexec_b32 s2, vcc_lo
	s_xor_b32 s2, exec_lo, s2
; %bb.29:
	v_bfe_u32 v153, v152, 16, 1
	s_delay_alu instid0(VALU_DEP_1)
	v_add3_u32 v153, v152, v153, 0x7fff
                                        ; implicit-def: $vgpr152
; %bb.30:
	s_and_not1_saveexec_b32 s2, s2
; %bb.31:
	v_and_b32_e32 v153, 0xffff, v152
	v_or_b32_e32 v154, 0x10000, v152
	s_delay_alu instid0(VALU_DEP_2) | instskip(NEXT) | instid1(VALU_DEP_2)
	v_cmp_eq_u32_e32 vcc_lo, 0, v153
	v_cndmask_b32_e32 v153, v154, v152, vcc_lo
; %bb.32:
	s_or_b32 exec_lo, exec_lo, s2
	v_and_b32_e32 v152, 0x7f800000, v151
	s_delay_alu instid0(VALU_DEP_1) | instskip(SKIP_1) | instid1(SALU_CYCLE_1)
	v_cmp_ne_u32_e32 vcc_lo, 0x7f800000, v152
                                        ; implicit-def: $vgpr152
	s_and_saveexec_b32 s2, vcc_lo
	s_xor_b32 s2, exec_lo, s2
; %bb.33:
	v_bfe_u32 v152, v151, 16, 1
	s_delay_alu instid0(VALU_DEP_1)
	v_add3_u32 v152, v151, v152, 0x7fff
                                        ; implicit-def: $vgpr151
; %bb.34:
	s_and_not1_saveexec_b32 s2, s2
; %bb.35:
	v_and_b32_e32 v152, 0xffff, v151
	v_or_b32_e32 v154, 0x10000, v151
	s_delay_alu instid0(VALU_DEP_2) | instskip(NEXT) | instid1(VALU_DEP_2)
	v_cmp_eq_u32_e32 vcc_lo, 0, v152
	v_cndmask_b32_e32 v152, v154, v151, vcc_lo
; %bb.36:
	s_or_b32 exec_lo, exec_lo, s2
	v_and_b32_e32 v151, 0x7f800000, v148
	s_delay_alu instid0(VALU_DEP_1) | instskip(SKIP_1) | instid1(SALU_CYCLE_1)
	v_cmp_ne_u32_e32 vcc_lo, 0x7f800000, v151
                                        ; implicit-def: $vgpr151
	s_and_saveexec_b32 s2, vcc_lo
	s_xor_b32 s2, exec_lo, s2
; %bb.37:
	v_bfe_u32 v151, v148, 16, 1
	s_delay_alu instid0(VALU_DEP_1)
	v_add3_u32 v151, v148, v151, 0x7fff
                                        ; implicit-def: $vgpr148
; %bb.38:
	s_and_not1_saveexec_b32 s2, s2
; %bb.39:
	v_and_b32_e32 v151, 0xffff, v148
	v_or_b32_e32 v154, 0x10000, v148
	s_delay_alu instid0(VALU_DEP_2) | instskip(NEXT) | instid1(VALU_DEP_2)
	v_cmp_eq_u32_e32 vcc_lo, 0, v151
	v_cndmask_b32_e32 v151, v154, v148, vcc_lo
; %bb.40:
	s_or_b32 exec_lo, exec_lo, s2
	v_and_b32_e32 v148, 0x7f800000, v144
	s_delay_alu instid0(VALU_DEP_1) | instskip(SKIP_1) | instid1(SALU_CYCLE_1)
	v_cmp_ne_u32_e32 vcc_lo, 0x7f800000, v148
                                        ; implicit-def: $vgpr148
	s_and_saveexec_b32 s2, vcc_lo
	s_xor_b32 s2, exec_lo, s2
; %bb.41:
	v_bfe_u32 v148, v144, 16, 1
	s_delay_alu instid0(VALU_DEP_1)
	v_add3_u32 v148, v144, v148, 0x7fff
                                        ; implicit-def: $vgpr144
; %bb.42:
	s_and_not1_saveexec_b32 s2, s2
; %bb.43:
	v_and_b32_e32 v148, 0xffff, v144
	v_or_b32_e32 v154, 0x10000, v144
	s_delay_alu instid0(VALU_DEP_2) | instskip(NEXT) | instid1(VALU_DEP_2)
	v_cmp_eq_u32_e32 vcc_lo, 0, v148
	v_cndmask_b32_e32 v148, v154, v144, vcc_lo
; %bb.44:
	s_or_b32 exec_lo, exec_lo, s2
	s_load_b64 s[34:35], s[0:1], 0x94
	v_lshlrev_b32_e32 v155, 4, v138
	s_delay_alu instid0(VALU_DEP_2)
	v_perm_b32 v154, v148, v151, 0x7060302
	v_mul_f32_e32 v148, v142, v131
	v_dual_mul_f32 v145, v142, v145 :: v_dual_lshlrev_b32 v144, 6, v140
	v_dual_mul_f32 v143, v142, v143 :: v_dual_lshlrev_b32 v156, 11, v141
	v_perm_b32 v153, v152, v153, 0x7060302
	v_perm_b32 v152, v150, v149, 0x7060302
	;; [unrolled: 1-line block ×3, first 2 shown]
	s_delay_alu instid0(VALU_DEP_4)
	v_or3_b32 v131, v155, v156, v144
	v_mul_f32_e32 v136, v142, v136
	v_dual_mul_f32 v146, v142, v134 :: v_dual_and_b32 v149, 0x7f800000, v148
	v_mul_f32_e32 v135, v142, v135
	v_mul_f32_e32 v147, v142, v133
	;; [unrolled: 1-line block ×3, first 2 shown]
	s_mov_b32 s2, exec_lo
	ds_store_b128 v131, v[151:154]
                                        ; implicit-def: $vgpr132
	v_cmpx_ne_u32_e32 0x7f800000, v149
	s_xor_b32 s2, exec_lo, s2
; %bb.45:
	v_bfe_u32 v132, v148, 16, 1
	s_delay_alu instid0(VALU_DEP_1)
	v_add3_u32 v132, v148, v132, 0x7fff
                                        ; implicit-def: $vgpr148
; %bb.46:
	s_and_not1_saveexec_b32 s2, s2
; %bb.47:
	v_and_b32_e32 v132, 0xffff, v148
	v_or_b32_e32 v133, 0x10000, v148
	s_delay_alu instid0(VALU_DEP_2) | instskip(NEXT) | instid1(VALU_DEP_2)
	v_cmp_eq_u32_e32 vcc_lo, 0, v132
	v_cndmask_b32_e32 v132, v133, v148, vcc_lo
; %bb.48:
	s_or_b32 exec_lo, exec_lo, s2
	v_and_b32_e32 v133, 0x7f800000, v134
	s_delay_alu instid0(VALU_DEP_1) | instskip(SKIP_1) | instid1(SALU_CYCLE_1)
	v_cmp_ne_u32_e32 vcc_lo, 0x7f800000, v133
                                        ; implicit-def: $vgpr133
	s_and_saveexec_b32 s2, vcc_lo
	s_xor_b32 s2, exec_lo, s2
; %bb.49:
	v_bfe_u32 v133, v134, 16, 1
	s_delay_alu instid0(VALU_DEP_1)
	v_add3_u32 v133, v134, v133, 0x7fff
                                        ; implicit-def: $vgpr134
; %bb.50:
	s_and_not1_saveexec_b32 s2, s2
; %bb.51:
	v_and_b32_e32 v133, 0xffff, v134
	v_or_b32_e32 v142, 0x10000, v134
	s_delay_alu instid0(VALU_DEP_2) | instskip(NEXT) | instid1(VALU_DEP_2)
	v_cmp_eq_u32_e32 vcc_lo, 0, v133
	v_cndmask_b32_e32 v133, v142, v134, vcc_lo
; %bb.52:
	s_or_b32 exec_lo, exec_lo, s2
	v_and_b32_e32 v134, 0x7f800000, v147
	s_delay_alu instid0(VALU_DEP_1) | instskip(SKIP_1) | instid1(SALU_CYCLE_1)
	v_cmp_ne_u32_e32 vcc_lo, 0x7f800000, v134
                                        ; implicit-def: $vgpr134
	s_and_saveexec_b32 s2, vcc_lo
	s_xor_b32 s2, exec_lo, s2
; %bb.53:
	v_bfe_u32 v134, v147, 16, 1
	s_delay_alu instid0(VALU_DEP_1)
	v_add3_u32 v134, v147, v134, 0x7fff
                                        ; implicit-def: $vgpr147
; %bb.54:
	s_and_not1_saveexec_b32 s2, s2
; %bb.55:
	v_and_b32_e32 v134, 0xffff, v147
	v_or_b32_e32 v142, 0x10000, v147
	s_delay_alu instid0(VALU_DEP_2) | instskip(NEXT) | instid1(VALU_DEP_2)
	v_cmp_eq_u32_e32 vcc_lo, 0, v134
	v_cndmask_b32_e32 v134, v142, v147, vcc_lo
; %bb.56:
	s_or_b32 exec_lo, exec_lo, s2
	v_and_b32_e32 v142, 0x7f800000, v146
	s_delay_alu instid0(VALU_DEP_1) | instskip(SKIP_1) | instid1(SALU_CYCLE_1)
	v_cmp_ne_u32_e32 vcc_lo, 0x7f800000, v142
                                        ; implicit-def: $vgpr142
	s_and_saveexec_b32 s2, vcc_lo
	s_xor_b32 s2, exec_lo, s2
; %bb.57:
	v_bfe_u32 v142, v146, 16, 1
	s_delay_alu instid0(VALU_DEP_1)
	v_add3_u32 v142, v146, v142, 0x7fff
                                        ; implicit-def: $vgpr146
; %bb.58:
	s_and_not1_saveexec_b32 s2, s2
; %bb.59:
	v_and_b32_e32 v142, 0xffff, v146
	v_or_b32_e32 v147, 0x10000, v146
	s_delay_alu instid0(VALU_DEP_2) | instskip(NEXT) | instid1(VALU_DEP_2)
	v_cmp_eq_u32_e32 vcc_lo, 0, v142
	v_cndmask_b32_e32 v142, v147, v146, vcc_lo
; %bb.60:
	s_or_b32 exec_lo, exec_lo, s2
	v_and_b32_e32 v146, 0x7f800000, v135
	s_delay_alu instid0(VALU_DEP_1) | instskip(SKIP_1) | instid1(SALU_CYCLE_1)
	v_cmp_ne_u32_e32 vcc_lo, 0x7f800000, v146
                                        ; implicit-def: $vgpr146
	s_and_saveexec_b32 s2, vcc_lo
	s_xor_b32 s2, exec_lo, s2
; %bb.61:
	v_bfe_u32 v146, v135, 16, 1
	s_delay_alu instid0(VALU_DEP_1)
	v_add3_u32 v146, v135, v146, 0x7fff
                                        ; implicit-def: $vgpr135
; %bb.62:
	s_and_not1_saveexec_b32 s2, s2
; %bb.63:
	v_and_b32_e32 v146, 0xffff, v135
	v_or_b32_e32 v147, 0x10000, v135
	s_delay_alu instid0(VALU_DEP_2) | instskip(NEXT) | instid1(VALU_DEP_2)
	v_cmp_eq_u32_e32 vcc_lo, 0, v146
	v_cndmask_b32_e32 v146, v147, v135, vcc_lo
; %bb.64:
	s_or_b32 exec_lo, exec_lo, s2
	v_and_b32_e32 v135, 0x7f800000, v136
	s_delay_alu instid0(VALU_DEP_1) | instskip(SKIP_1) | instid1(SALU_CYCLE_1)
	v_cmp_ne_u32_e32 vcc_lo, 0x7f800000, v135
                                        ; implicit-def: $vgpr135
	s_and_saveexec_b32 s2, vcc_lo
	s_xor_b32 s2, exec_lo, s2
; %bb.65:
	v_bfe_u32 v135, v136, 16, 1
	s_delay_alu instid0(VALU_DEP_1)
	v_add3_u32 v135, v136, v135, 0x7fff
                                        ; implicit-def: $vgpr136
; %bb.66:
	s_and_not1_saveexec_b32 s2, s2
; %bb.67:
	v_and_b32_e32 v135, 0xffff, v136
	v_or_b32_e32 v147, 0x10000, v136
	s_delay_alu instid0(VALU_DEP_2) | instskip(NEXT) | instid1(VALU_DEP_2)
	v_cmp_eq_u32_e32 vcc_lo, 0, v135
	v_cndmask_b32_e32 v135, v147, v136, vcc_lo
; %bb.68:
	s_or_b32 exec_lo, exec_lo, s2
	v_and_b32_e32 v136, 0x7f800000, v143
	s_delay_alu instid0(VALU_DEP_1) | instskip(SKIP_1) | instid1(SALU_CYCLE_1)
	v_cmp_ne_u32_e32 vcc_lo, 0x7f800000, v136
                                        ; implicit-def: $vgpr136
	s_and_saveexec_b32 s2, vcc_lo
	s_xor_b32 s2, exec_lo, s2
; %bb.69:
	v_bfe_u32 v136, v143, 16, 1
	s_delay_alu instid0(VALU_DEP_1)
	v_add3_u32 v136, v143, v136, 0x7fff
                                        ; implicit-def: $vgpr143
; %bb.70:
	s_and_not1_saveexec_b32 s2, s2
; %bb.71:
	v_and_b32_e32 v136, 0xffff, v143
	v_or_b32_e32 v147, 0x10000, v143
	s_delay_alu instid0(VALU_DEP_2) | instskip(NEXT) | instid1(VALU_DEP_2)
	v_cmp_eq_u32_e32 vcc_lo, 0, v136
	v_cndmask_b32_e32 v136, v147, v143, vcc_lo
; %bb.72:
	s_or_b32 exec_lo, exec_lo, s2
	v_and_b32_e32 v143, 0x7f800000, v145
	s_delay_alu instid0(VALU_DEP_1) | instskip(SKIP_1) | instid1(SALU_CYCLE_1)
	v_cmp_ne_u32_e32 vcc_lo, 0x7f800000, v143
                                        ; implicit-def: $vgpr143
	s_and_saveexec_b32 s2, vcc_lo
	s_xor_b32 s2, exec_lo, s2
; %bb.73:
	v_bfe_u32 v143, v145, 16, 1
	s_delay_alu instid0(VALU_DEP_1)
	v_add3_u32 v143, v145, v143, 0x7fff
                                        ; implicit-def: $vgpr145
; %bb.74:
	s_and_not1_saveexec_b32 s2, s2
; %bb.75:
	v_and_b32_e32 v143, 0xffff, v145
	v_or_b32_e32 v147, 0x10000, v145
	s_delay_alu instid0(VALU_DEP_2) | instskip(NEXT) | instid1(VALU_DEP_2)
	v_cmp_eq_u32_e32 vcc_lo, 0, v143
	v_cndmask_b32_e32 v143, v147, v145, vcc_lo
; %bb.76:
	s_or_b32 exec_lo, exec_lo, s2
	s_delay_alu instid0(VALU_DEP_1)
	v_perm_b32 v136, v143, v136, 0x7060302
	v_perm_b32 v135, v135, v146, 0x7060302
	;; [unrolled: 1-line block ×4, first 2 shown]
	v_lshl_or_b32 v145, v141, 11, v144
	v_lshlrev_b32_e32 v142, 2, v138
	ds_store_b128 v131, v[133:136] offset:1024
	s_waitcnt lgkmcnt(0)
	s_barrier
	buffer_gl0_inv
	ds_load_b128 v[132:135], v145
	ds_load_b128 v[147:150], v145 offset:16
	v_or_b32_e32 v143, 1, v142
	v_cmp_eq_u32_e64 s11, 1, v142
	v_cmp_eq_u32_e64 s10, 2, v142
	;; [unrolled: 1-line block ×3, first 2 shown]
	v_or_b32_e32 v141, 2, v142
	v_cmp_eq_u32_e64 s6, 1, v143
	v_cmp_eq_u32_e64 s5, 2, v143
	;; [unrolled: 1-line block ×8, first 2 shown]
	v_cmp_eq_u32_e32 vcc_lo, 5, v143
	v_cmp_eq_u32_e64 s9, 2, v141
	v_cmp_eq_u32_e64 s3, 6, v143
	;; [unrolled: 1-line block ×4, first 2 shown]
	s_waitcnt lgkmcnt(1)
	v_lshrrev_b32_e32 v136, 16, v132
	s_waitcnt lgkmcnt(0)
	v_lshrrev_b32_e32 v155, 16, v147
	v_lshrrev_b32_e32 v161, 16, v148
	;; [unrolled: 1-line block ×4, first 2 shown]
	v_cndmask_b32_e64 v146, v132, v136, s11
	v_cndmask_b32_e64 v151, v147, v155, s11
	;; [unrolled: 1-line block ×4, first 2 shown]
	v_lshrrev_b32_e32 v160, 16, v134
	v_cndmask_b32_e64 v146, v146, v133, s10
	v_cndmask_b32_e64 v151, v151, v148, s10
	;; [unrolled: 1-line block ×8, first 2 shown]
	v_lshrrev_b32_e32 v164, 16, v150
	v_cndmask_b32_e64 v153, v153, v161, s4
	v_cndmask_b32_e64 v146, v146, v134, s16
	;; [unrolled: 1-line block ×5, first 2 shown]
	v_lshrrev_b32_e32 v162, 16, v135
	v_cndmask_b32_e64 v146, v146, v160, s12
	v_cndmask_b32_e64 v151, v151, v163, s12
	v_cndmask_b32_e32 v152, v152, v160, vcc_lo
	v_cndmask_b32_e64 v153, v153, v149, s2
	v_cmp_eq_u32_e64 s18, 7, v143
	v_cndmask_b32_e64 v146, v146, v135, s13
	v_cndmask_b32_e64 v151, v151, v150, s13
	v_cndmask_b32_e64 v152, v152, v135, s3
	v_cndmask_b32_e64 v154, v154, v159, s17
	v_cmp_eq_u32_e64 s19, 4, v141
	v_cndmask_b32_e64 v165, v146, v162, s8
	v_cndmask_b32_e64 v166, v151, v164, s8
	;; [unrolled: 1-line block ×3, first 2 shown]
	v_or_b32_e32 v146, 3, v142
	v_cndmask_b32_e64 v167, v152, v162, s18
	v_cndmask_b32_e32 v156, v153, v163, vcc_lo
	v_cndmask_b32_e64 v158, v154, v134, s19
	v_cndmask_b32_e64 v157, v151, v148, s9
	ds_load_b128 v[151:154], v145 offset:1024
	v_cmp_eq_u32_e64 s20, 1, v146
	v_cmp_eq_u32_e64 s21, 5, v141
	;; [unrolled: 1-line block ×3, first 2 shown]
	v_cndmask_b32_e64 v157, v157, v161, s17
	v_cmp_eq_u32_e64 s23, 3, v146
	v_cndmask_b32_e64 v132, v132, v136, s20
	v_cndmask_b32_e64 v136, v156, v150, s3
	;; [unrolled: 1-line block ×5, first 2 shown]
	ds_load_b128 v[155:158], v145 offset:1040
	v_cndmask_b32_e64 v132, v132, v133, s22
	v_cmp_eq_u32_e64 s25, 4, v146
	v_cmp_eq_u32_e64 s27, 5, v146
	v_cndmask_b32_e64 v147, v147, v148, s22
	v_cmp_eq_u32_e64 s24, 6, v141
	v_cndmask_b32_e64 v132, v132, v159, s23
	;; [unrolled: 2-line block ×3, first 2 shown]
	v_cndmask_b32_e64 v147, v147, v161, s23
	s_waitcnt lgkmcnt(1)
	v_lshrrev_b32_e32 v159, 16, v151
	v_cndmask_b32_e64 v132, v132, v134, s25
	v_cndmask_b32_e64 v148, v168, v135, s24
	;; [unrolled: 1-line block ×6, first 2 shown]
	v_lshrrev_b32_e32 v160, 16, v152
	v_cndmask_b32_e64 v161, v151, v159, s6
	v_cndmask_b32_e64 v134, v134, v163, s27
	s_waitcnt lgkmcnt(0)
	v_lshrrev_b32_e32 v149, 16, v155
	v_cndmask_b32_e64 v147, v147, v152, s10
	v_cndmask_b32_e64 v132, v132, v135, s28
	v_cmp_eq_u32_e64 s26, 7, v141
	v_cndmask_b32_e64 v134, v134, v150, s28
	v_cndmask_b32_e64 v163, v155, v149, s11
	;; [unrolled: 1-line block ×4, first 2 shown]
	v_lshrrev_b32_e32 v161, 16, v156
	v_cndmask_b32_e64 v136, v136, v164, s18
	v_cndmask_b32_e64 v150, v163, v156, s10
	v_cmp_eq_u32_e64 s10, 7, v146
	v_cndmask_b32_e64 v147, v147, v160, s4
	v_cndmask_b32_e64 v135, v135, v153, s16
	v_lshrrev_b32_e32 v163, 16, v153
	v_cndmask_b32_e64 v150, v150, v161, s15
	v_cndmask_b32_e64 v132, v132, v162, s10
	;; [unrolled: 1-line block ×8, first 2 shown]
	v_lshrrev_b32_e32 v164, 16, v157
	v_perm_b32 v135, v134, v132, 0x5040100
	v_cndmask_b32_e32 v132, v147, v163, vcc_lo
	v_cndmask_b32_e64 v147, v162, v154, s13
	v_lshrrev_b32_e32 v162, 16, v154
	v_cndmask_b32_e64 v150, v150, v164, s12
	v_perm_b32 v134, v133, v148, 0x5040100
	v_cndmask_b32_e64 v132, v132, v154, s3
	v_perm_b32 v133, v136, v167, 0x5040100
	v_cndmask_b32_e64 v136, v147, v162, s8
	v_cndmask_b32_e64 v147, v150, v158, s13
	;; [unrolled: 1-line block ×27, first 2 shown]
	v_cndmask_b32_e32 v149, v149, v164, vcc_lo
	v_lshrrev_b32_e32 v148, 16, v158
	v_cndmask_b32_e64 v132, v132, v154, s24
	v_cndmask_b32_e64 v150, v150, v154, s28
	;; [unrolled: 1-line block ×11, first 2 shown]
	v_perm_b32 v132, v166, v165, 0x5040100
	v_perm_b32 v150, v151, v150, 0x5040100
	;; [unrolled: 1-line block ×5, first 2 shown]
	s_mul_i32 s7, s35, 14
	s_mov_b32 s2, exec_lo
	ds_store_b128 v131, v[132:135]
	ds_store_b128 v131, v[147:150] offset:1024
	v_cmpx_gt_u32_e32 14, v0
	s_cbranch_execz .LBB627_78
; %bb.77:
	s_mul_i32 s3, s7, s30
	s_load_b128 s[8:11], s[0:1], 0x58
	v_add3_u32 v133, s3, s29, v140
	s_delay_alu instid0(VALU_DEP_1) | instskip(NEXT) | instid1(VALU_DEP_1)
	v_mad_u64_u32 v[131:132], null, v133, s34, s[14:15]
	v_ashrrev_i32_e32 v132, 31, v131
	s_delay_alu instid0(VALU_DEP_1) | instskip(SKIP_1) | instid1(VALU_DEP_1)
	v_lshlrev_b64 v[131:132], 2, v[131:132]
	s_waitcnt lgkmcnt(0)
	v_add_co_u32 v133, vcc_lo, s10, v131
	s_delay_alu instid0(VALU_DEP_2)
	v_add_co_ci_u32_e32 v134, vcc_lo, s11, v132, vcc_lo
	v_add_co_u32 v131, vcc_lo, s8, v131
	v_add_co_ci_u32_e32 v132, vcc_lo, s9, v132, vcc_lo
	global_store_b32 v[133:134], v129, off
	global_store_b32 v[131:132], v130, off
.LBB627_78:
	s_or_b32 exec_lo, exec_lo, s2
	s_waitcnt lgkmcnt(0)
	s_waitcnt_vscnt null, 0x0
	s_barrier
	buffer_gl0_inv
	ds_load_b128 v[147:150], v144
	ds_load_b128 v[151:154], v144 offset:16
	ds_load_b128 v[159:162], v144 offset:1040
	;; [unrolled: 1-line block ×3, first 2 shown]
	v_mov_b32_e32 v129, 0
	ds_load_b128 v[167:170], v144 offset:2064
	ds_load_b128 v[163:166], v144 offset:2048
	;; [unrolled: 1-line block ×6, first 2 shown]
	v_mov_b32_e32 v130, v129
	v_mov_b32_e32 v131, v129
	;; [unrolled: 1-line block ×7, first 2 shown]
	s_waitcnt lgkmcnt(8)
	s_delay_alu instid0(VALU_DEP_1)
	v_wmma_f32_16x16x16_bf16 v[129:136], v[121:128], v[147:154], v[129:136]
	ds_load_b128 v[125:128], v144 offset:5136
	ds_load_b128 v[121:124], v144 offset:5120
	s_waitcnt lgkmcnt(8)
	v_wmma_f32_16x16x16_bf16 v[129:136], v[113:120], v[155:162], v[129:136]
	ds_load_b128 v[117:120], v144 offset:6160
	ds_load_b128 v[113:116], v144 offset:6144
	s_waitcnt lgkmcnt(8)
	;; [unrolled: 4-line block ×8, first 2 shown]
	v_wmma_f32_16x16x16_bf16 v[129:136], v[65:72], v[97:104], v[129:136]
	s_waitcnt lgkmcnt(6)
	s_delay_alu instid0(VALU_DEP_1)
	v_wmma_f32_16x16x16_bf16 v[129:136], v[49:56], v[89:96], v[129:136]
	ds_load_b128 v[53:56], v144 offset:13328
	ds_load_b128 v[49:52], v144 offset:13312
	s_waitcnt lgkmcnt(6)
	v_wmma_f32_16x16x16_bf16 v[129:136], v[41:48], v[81:88], v[129:136]
	ds_load_b128 v[45:48], v144 offset:14352
	ds_load_b128 v[41:44], v144 offset:14336
	s_waitcnt lgkmcnt(6)
	;; [unrolled: 4-line block ×3, first 2 shown]
	v_wmma_f32_16x16x16_bf16 v[129:136], v[1:8], v[57:64], v[129:136]
	s_waitcnt lgkmcnt(4)
	s_delay_alu instid0(VALU_DEP_1) | instskip(SKIP_1) | instid1(VALU_DEP_1)
	v_wmma_f32_16x16x16_bf16 v[129:136], v[25:32], v[49:56], v[129:136]
	s_waitcnt lgkmcnt(2)
	v_wmma_f32_16x16x16_bf16 v[129:136], v[33:40], v[41:48], v[129:136]
	s_waitcnt lgkmcnt(0)
	s_delay_alu instid0(VALU_DEP_1) | instskip(NEXT) | instid1(VALU_DEP_1)
	v_wmma_f32_16x16x16_bf16 v[129:136], v[9:16], v[17:24], v[129:136]
	v_and_b32_e32 v1, 0x7f800000, v129
	s_delay_alu instid0(VALU_DEP_1) | instskip(SKIP_1) | instid1(SALU_CYCLE_1)
	v_cmp_ne_u32_e32 vcc_lo, 0x7f800000, v1
                                        ; implicit-def: $vgpr1
	s_and_saveexec_b32 s2, vcc_lo
	s_xor_b32 s2, exec_lo, s2
; %bb.79:
	v_bfe_u32 v1, v129, 16, 1
	s_delay_alu instid0(VALU_DEP_1)
	v_add3_u32 v1, v129, v1, 0x7fff
; %bb.80:
	s_and_not1_saveexec_b32 s2, s2
; %bb.81:
	v_and_b32_e32 v1, 0xffff, v129
	v_or_b32_e32 v2, 0x10000, v129
	s_delay_alu instid0(VALU_DEP_2) | instskip(NEXT) | instid1(VALU_DEP_2)
	v_cmp_eq_u32_e32 vcc_lo, 0, v1
	v_cndmask_b32_e32 v1, v2, v129, vcc_lo
; %bb.82:
	s_or_b32 exec_lo, exec_lo, s2
	v_and_b32_e32 v2, 0x7f800000, v130
	s_delay_alu instid0(VALU_DEP_1) | instskip(SKIP_1) | instid1(SALU_CYCLE_1)
	v_cmp_ne_u32_e32 vcc_lo, 0x7f800000, v2
                                        ; implicit-def: $vgpr2
	s_and_saveexec_b32 s2, vcc_lo
	s_xor_b32 s2, exec_lo, s2
; %bb.83:
	v_bfe_u32 v2, v130, 16, 1
	s_delay_alu instid0(VALU_DEP_1)
	v_add3_u32 v2, v130, v2, 0x7fff
; %bb.84:
	s_and_not1_saveexec_b32 s2, s2
; %bb.85:
	v_and_b32_e32 v2, 0xffff, v130
	v_or_b32_e32 v3, 0x10000, v130
	s_delay_alu instid0(VALU_DEP_2) | instskip(NEXT) | instid1(VALU_DEP_2)
	v_cmp_eq_u32_e32 vcc_lo, 0, v2
	v_cndmask_b32_e32 v2, v3, v130, vcc_lo
; %bb.86:
	s_or_b32 exec_lo, exec_lo, s2
	v_and_b32_e32 v3, 0x7f800000, v131
	s_delay_alu instid0(VALU_DEP_1) | instskip(SKIP_1) | instid1(SALU_CYCLE_1)
	v_cmp_ne_u32_e32 vcc_lo, 0x7f800000, v3
                                        ; implicit-def: $vgpr3
	s_and_saveexec_b32 s2, vcc_lo
	s_xor_b32 s2, exec_lo, s2
; %bb.87:
	v_bfe_u32 v3, v131, 16, 1
	s_delay_alu instid0(VALU_DEP_1)
	v_add3_u32 v3, v131, v3, 0x7fff
; %bb.88:
	s_and_not1_saveexec_b32 s2, s2
; %bb.89:
	v_and_b32_e32 v3, 0xffff, v131
	v_or_b32_e32 v4, 0x10000, v131
	s_delay_alu instid0(VALU_DEP_2) | instskip(NEXT) | instid1(VALU_DEP_2)
	v_cmp_eq_u32_e32 vcc_lo, 0, v3
	v_cndmask_b32_e32 v3, v4, v131, vcc_lo
; %bb.90:
	s_or_b32 exec_lo, exec_lo, s2
	v_and_b32_e32 v4, 0x7f800000, v132
	s_delay_alu instid0(VALU_DEP_1) | instskip(SKIP_1) | instid1(SALU_CYCLE_1)
	v_cmp_ne_u32_e32 vcc_lo, 0x7f800000, v4
                                        ; implicit-def: $vgpr4
	s_and_saveexec_b32 s2, vcc_lo
	s_xor_b32 s2, exec_lo, s2
; %bb.91:
	v_bfe_u32 v4, v132, 16, 1
	s_delay_alu instid0(VALU_DEP_1)
	v_add3_u32 v4, v132, v4, 0x7fff
; %bb.92:
	s_and_not1_saveexec_b32 s2, s2
; %bb.93:
	v_and_b32_e32 v4, 0xffff, v132
	v_or_b32_e32 v5, 0x10000, v132
	s_delay_alu instid0(VALU_DEP_2) | instskip(NEXT) | instid1(VALU_DEP_2)
	v_cmp_eq_u32_e32 vcc_lo, 0, v4
	v_cndmask_b32_e32 v4, v5, v132, vcc_lo
; %bb.94:
	s_or_b32 exec_lo, exec_lo, s2
	v_and_b32_e32 v5, 0x7f800000, v133
	s_delay_alu instid0(VALU_DEP_1) | instskip(SKIP_1) | instid1(SALU_CYCLE_1)
	v_cmp_ne_u32_e32 vcc_lo, 0x7f800000, v5
                                        ; implicit-def: $vgpr5
	s_and_saveexec_b32 s2, vcc_lo
	s_xor_b32 s2, exec_lo, s2
; %bb.95:
	v_bfe_u32 v5, v133, 16, 1
	s_delay_alu instid0(VALU_DEP_1)
	v_add3_u32 v5, v133, v5, 0x7fff
; %bb.96:
	s_and_not1_saveexec_b32 s2, s2
; %bb.97:
	v_and_b32_e32 v5, 0xffff, v133
	v_or_b32_e32 v6, 0x10000, v133
	s_delay_alu instid0(VALU_DEP_2) | instskip(NEXT) | instid1(VALU_DEP_2)
	v_cmp_eq_u32_e32 vcc_lo, 0, v5
	v_cndmask_b32_e32 v5, v6, v133, vcc_lo
; %bb.98:
	s_or_b32 exec_lo, exec_lo, s2
	v_and_b32_e32 v6, 0x7f800000, v134
	s_delay_alu instid0(VALU_DEP_1) | instskip(SKIP_1) | instid1(SALU_CYCLE_1)
	v_cmp_ne_u32_e32 vcc_lo, 0x7f800000, v6
                                        ; implicit-def: $vgpr6
	s_and_saveexec_b32 s2, vcc_lo
	s_xor_b32 s2, exec_lo, s2
; %bb.99:
	v_bfe_u32 v6, v134, 16, 1
	s_delay_alu instid0(VALU_DEP_1)
	v_add3_u32 v6, v134, v6, 0x7fff
; %bb.100:
	s_and_not1_saveexec_b32 s2, s2
; %bb.101:
	v_and_b32_e32 v6, 0xffff, v134
	v_or_b32_e32 v7, 0x10000, v134
	s_delay_alu instid0(VALU_DEP_2) | instskip(NEXT) | instid1(VALU_DEP_2)
	v_cmp_eq_u32_e32 vcc_lo, 0, v6
	v_cndmask_b32_e32 v6, v7, v134, vcc_lo
; %bb.102:
	s_or_b32 exec_lo, exec_lo, s2
	v_and_b32_e32 v7, 0x7f800000, v135
	s_delay_alu instid0(VALU_DEP_1) | instskip(SKIP_1) | instid1(SALU_CYCLE_1)
	v_cmp_ne_u32_e32 vcc_lo, 0x7f800000, v7
                                        ; implicit-def: $vgpr7
	s_and_saveexec_b32 s2, vcc_lo
	s_xor_b32 s2, exec_lo, s2
; %bb.103:
	v_bfe_u32 v7, v135, 16, 1
	s_delay_alu instid0(VALU_DEP_1)
	v_add3_u32 v7, v135, v7, 0x7fff
; %bb.104:
	s_and_not1_saveexec_b32 s2, s2
; %bb.105:
	v_and_b32_e32 v7, 0xffff, v135
	v_or_b32_e32 v8, 0x10000, v135
	s_delay_alu instid0(VALU_DEP_2) | instskip(NEXT) | instid1(VALU_DEP_2)
	v_cmp_eq_u32_e32 vcc_lo, 0, v7
	v_cndmask_b32_e32 v7, v8, v135, vcc_lo
; %bb.106:
	s_or_b32 exec_lo, exec_lo, s2
	v_and_b32_e32 v8, 0x7f800000, v136
	s_delay_alu instid0(VALU_DEP_1) | instskip(SKIP_1) | instid1(SALU_CYCLE_1)
	v_cmp_ne_u32_e32 vcc_lo, 0x7f800000, v8
                                        ; implicit-def: $vgpr8
	s_and_saveexec_b32 s2, vcc_lo
	s_xor_b32 s2, exec_lo, s2
; %bb.107:
	v_bfe_u32 v8, v136, 16, 1
	s_delay_alu instid0(VALU_DEP_1)
	v_add3_u32 v8, v136, v8, 0x7fff
                                        ; implicit-def: $vgpr129_vgpr130_vgpr131_vgpr132_vgpr133_vgpr134_vgpr135_vgpr136
; %bb.108:
	s_and_not1_saveexec_b32 s2, s2
; %bb.109:
	v_and_b32_e32 v8, 0xffff, v136
	v_or_b32_e32 v9, 0x10000, v136
	s_delay_alu instid0(VALU_DEP_2) | instskip(NEXT) | instid1(VALU_DEP_2)
	v_cmp_eq_u32_e32 vcc_lo, 0, v8
	v_cndmask_b32_e32 v8, v9, v136, vcc_lo
; %bb.110:
	s_or_b32 exec_lo, exec_lo, s2
	s_delay_alu instid0(VALU_DEP_1)
	v_perm_b32 v7, v8, v7, 0x7060302
	v_perm_b32 v6, v6, v5, 0x7060302
	;; [unrolled: 1-line block ×4, first 2 shown]
	v_lshl_or_b32 v9, v138, 4, v145
	s_barrier
	buffer_gl0_inv
	v_cmp_eq_u32_e32 vcc_lo, 1, v142
	ds_store_b128 v9, v[4:7]
	s_waitcnt lgkmcnt(0)
	s_barrier
	buffer_gl0_inv
	ds_load_b128 v[1:4], v145
	ds_load_b128 v[5:8], v145 offset:16
	v_cmp_eq_u32_e64 s3, 2, v142
	v_cmp_eq_u32_e64 s2, 1, v143
	;; [unrolled: 1-line block ×5, first 2 shown]
	s_waitcnt lgkmcnt(1)
	v_lshrrev_b32_e32 v10, 16, v1
	s_waitcnt lgkmcnt(0)
	v_lshrrev_b32_e32 v14, 16, v5
	v_lshrrev_b32_e32 v15, 16, v6
	;; [unrolled: 1-line block ×4, first 2 shown]
	v_cndmask_b32_e64 v20, v1, v10, s2
	v_cndmask_b32_e32 v19, v5, v14, vcc_lo
	v_cndmask_b32_e64 v21, v5, v14, s2
	v_lshrrev_b32_e32 v16, 16, v7
	v_cmp_eq_u32_e64 s2, 1, v141
	v_lshrrev_b32_e32 v13, 16, v4
	v_cndmask_b32_e64 v19, v19, v6, s3
	v_lshrrev_b32_e32 v17, 16, v8
	s_delay_alu instid0(VALU_DEP_4) | instskip(SKIP_1) | instid1(VALU_DEP_4)
	v_cndmask_b32_e64 v22, v1, v10, s2
	v_cndmask_b32_e64 v23, v5, v14, s2
	;; [unrolled: 1-line block ×3, first 2 shown]
	v_cndmask_b32_e32 v18, v1, v10, vcc_lo
	v_cmp_eq_u32_e32 vcc_lo, 2, v143
	v_cmp_eq_u32_e64 s2, 2, v146
	v_cndmask_b32_e64 v22, v22, v2, s6
	v_cndmask_b32_e32 v20, v20, v2, vcc_lo
	v_cndmask_b32_e32 v21, v21, v6, vcc_lo
	v_cmp_eq_u32_e32 vcc_lo, 4, v142
	v_cndmask_b32_e32 v19, v19, v7, vcc_lo
	v_cndmask_b32_e64 v18, v18, v2, s3
	v_cmp_eq_u32_e64 s3, 3, v143
	s_delay_alu instid0(VALU_DEP_2) | instskip(NEXT) | instid1(VALU_DEP_2)
	v_cndmask_b32_e64 v18, v18, v11, s4
	v_cndmask_b32_e64 v21, v21, v15, s3
	v_cmp_eq_u32_e64 s4, 5, v142
	s_delay_alu instid0(VALU_DEP_3) | instskip(SKIP_1) | instid1(VALU_DEP_3)
	v_cndmask_b32_e32 v18, v18, v3, vcc_lo
	v_cmp_eq_u32_e32 vcc_lo, 4, v143
	v_cndmask_b32_e64 v19, v19, v16, s4
	s_delay_alu instid0(VALU_DEP_3) | instskip(SKIP_4) | instid1(VALU_DEP_3)
	v_cndmask_b32_e64 v18, v18, v12, s4
	v_cndmask_b32_e32 v21, v21, v7, vcc_lo
	v_cndmask_b32_e64 v20, v20, v11, s3
	v_cmp_eq_u32_e64 s3, 5, v143
	v_cmp_eq_u32_e64 s4, 6, v142
	v_cndmask_b32_e32 v20, v20, v3, vcc_lo
	s_delay_alu instid0(VALU_DEP_3) | instskip(SKIP_1) | instid1(VALU_DEP_4)
	v_cndmask_b32_e64 v21, v21, v16, s3
	v_cmp_eq_u32_e32 vcc_lo, 6, v143
	v_cndmask_b32_e64 v18, v18, v4, s4
	v_cndmask_b32_e64 v19, v19, v8, s4
	v_cndmask_b32_e64 v20, v20, v12, s3
	v_cmp_eq_u32_e64 s3, 1, v146
	v_cmp_eq_u32_e64 s4, 7, v142
	s_delay_alu instid0(VALU_DEP_3) | instskip(NEXT) | instid1(VALU_DEP_3)
	v_cndmask_b32_e32 v20, v20, v4, vcc_lo
	v_cndmask_b32_e64 v1, v1, v10, s3
	v_cndmask_b32_e64 v5, v5, v14, s3
	v_cmp_eq_u32_e64 s3, 3, v141
	v_cndmask_b32_e64 v14, v23, v6, s6
	v_cmp_eq_u32_e64 s6, 3, v146
	v_cndmask_b32_e64 v1, v1, v2, s2
	v_cndmask_b32_e64 v2, v5, v6, s2
	;; [unrolled: 1-line block ×3, first 2 shown]
	v_cmp_eq_u32_e64 s2, 4, v141
	v_cndmask_b32_e64 v6, v14, v15, s3
	v_cndmask_b32_e64 v1, v1, v11, s6
	v_cmp_eq_u32_e64 s3, 4, v146
	v_cndmask_b32_e64 v2, v2, v15, s6
	v_cndmask_b32_e64 v5, v10, v3, s2
	;; [unrolled: 3-line block ×3, first 2 shown]
	v_cndmask_b32_e64 v2, v2, v7, s3
	v_cmp_eq_u32_e64 s2, 5, v146
	v_cndmask_b32_e64 v5, v5, v12, s6
	v_cmp_eq_u32_e64 s3, 6, v141
	;; [unrolled: 2-line block ×3, first 2 shown]
	v_cndmask_b32_e64 v1, v1, v12, s2
	v_cndmask_b32_e64 v2, v2, v16, s2
	;; [unrolled: 1-line block ×4, first 2 shown]
	v_cmp_eq_u32_e64 s2, 7, v146
	v_cndmask_b32_e64 v1, v1, v4, s6
	v_cndmask_b32_e64 v2, v2, v8, s6
	v_cmp_eq_u32_e64 s3, 7, v141
	v_cndmask_b32_e32 v4, v21, v8, vcc_lo
	v_cndmask_b32_e64 v18, v18, v13, s4
	v_cndmask_b32_e64 v20, v20, v13, s5
	;; [unrolled: 1-line block ×8, first 2 shown]
	s_mov_b32 s2, exec_lo
	v_perm_b32 v4, v2, v1, 0x5040100
	v_perm_b32 v3, v3, v5, 0x5040100
	;; [unrolled: 1-line block ×4, first 2 shown]
	ds_store_b128 v9, v[1:4]
	s_waitcnt lgkmcnt(0)
	s_barrier
	buffer_gl0_inv
	v_cmpx_gt_u32_e32 32, v0
	s_cbranch_execz .LBB627_2
; %bb.111:
	s_load_b64 s[0:1], s[0:1], 0x68
	v_lshlrev_b32_e32 v0, 10, v0
	s_lshl_b32 s4, s34, 7
	v_or_b32_e32 v3, s29, v138
	s_mul_i32 s2, s4, s30
	v_lshlrev_b32_e32 v1, 4, v139
	v_lshlrev_b32_e32 v2, 6, v138
	v_and_b32_e32 v0, 0x3800, v0
	s_mul_i32 s2, s2, s7
	v_mul_lo_u32 v8, v3, s4
	s_ashr_i32 s3, s2, 31
	s_delay_alu instid0(SALU_CYCLE_1)
	s_lshl_b64 s[2:3], s[2:3], 1
	v_or3_b32 v16, v0, v1, v2
	ds_load_b128 v[0:3], v16
	ds_load_b128 v[4:7], v16 offset:128
	v_ashrrev_i32_e32 v9, 31, v8
	s_waitcnt lgkmcnt(0)
	s_add_u32 s2, s0, s2
	s_addc_u32 s3, s1, s3
	s_lshl_b32 s0, s14, 7
	s_delay_alu instid0(SALU_CYCLE_1) | instskip(SKIP_2) | instid1(SALU_CYCLE_1)
	s_ashr_i32 s1, s0, 31
	v_lshlrev_b64 v[9:10], 1, v[8:9]
	s_lshl_b64 s[0:1], s[0:1], 1
	s_add_u32 s0, s2, s0
	s_addc_u32 s1, s3, s1
	s_lshl_b32 s2, s34, 8
	v_add_co_u32 v30, s0, s0, v137
	v_add_nc_u32_e32 v11, s2, v8
	v_add_co_ci_u32_e64 v31, null, s1, 0, s0
	s_delay_alu instid0(VALU_DEP_3) | instskip(NEXT) | instid1(VALU_DEP_3)
	v_add_co_u32 v9, vcc_lo, v30, v9
	v_add_nc_u32_e32 v8, s2, v11
	s_delay_alu instid0(VALU_DEP_3) | instskip(SKIP_1) | instid1(VALU_DEP_3)
	v_add_co_ci_u32_e32 v10, vcc_lo, v31, v10, vcc_lo
	v_ashrrev_i32_e32 v12, 31, v11
	v_add_nc_u32_e32 v13, s2, v8
	global_store_b128 v[9:10], v[0:3], off
	v_ashrrev_i32_e32 v9, 31, v8
	v_lshlrev_b64 v[11:12], 1, v[11:12]
	v_ashrrev_i32_e32 v14, 31, v13
	v_add_nc_u32_e32 v10, s2, v13
	s_delay_alu instid0(VALU_DEP_4) | instskip(NEXT) | instid1(VALU_DEP_4)
	v_lshlrev_b64 v[2:3], 1, v[8:9]
	v_add_co_u32 v0, vcc_lo, v30, v11
	s_delay_alu instid0(VALU_DEP_4)
	v_lshlrev_b64 v[8:9], 1, v[13:14]
	v_add_co_ci_u32_e32 v1, vcc_lo, v31, v12, vcc_lo
	v_ashrrev_i32_e32 v11, 31, v10
	v_add_co_u32 v22, vcc_lo, v30, v2
	v_add_nc_u32_e32 v20, s2, v10
	v_add_co_ci_u32_e32 v23, vcc_lo, v31, v3, vcc_lo
	v_add_co_u32 v24, vcc_lo, v30, v8
	global_store_b128 v[0:1], v[4:7], off
	v_add_co_ci_u32_e32 v25, vcc_lo, v31, v9, vcc_lo
	ds_load_b128 v[0:3], v16 offset:256
	ds_load_b128 v[4:7], v16 offset:384
	v_lshlrev_b64 v[26:27], 1, v[10:11]
	ds_load_b128 v[8:11], v16 offset:512
	ds_load_b128 v[12:15], v16 offset:640
	;; [unrolled: 1-line block ×3, first 2 shown]
	v_add_nc_u32_e32 v28, s2, v20
	v_ashrrev_i32_e32 v21, 31, v20
	v_add_co_u32 v26, vcc_lo, v30, v26
	s_delay_alu instid0(VALU_DEP_3) | instskip(NEXT) | instid1(VALU_DEP_3)
	v_ashrrev_i32_e32 v29, 31, v28
	v_lshlrev_b64 v[20:21], 1, v[20:21]
	v_add_co_ci_u32_e32 v27, vcc_lo, v31, v27, vcc_lo
	s_delay_alu instid0(VALU_DEP_3) | instskip(NEXT) | instid1(VALU_DEP_3)
	v_lshlrev_b64 v[28:29], 1, v[28:29]
	v_add_co_u32 v20, vcc_lo, v30, v20
	s_delay_alu instid0(VALU_DEP_4) | instskip(NEXT) | instid1(VALU_DEP_3)
	v_add_co_ci_u32_e32 v21, vcc_lo, v31, v21, vcc_lo
	v_add_co_u32 v28, vcc_lo, v30, v28
	s_delay_alu instid0(VALU_DEP_4)
	v_add_co_ci_u32_e32 v29, vcc_lo, v31, v29, vcc_lo
	s_waitcnt lgkmcnt(4)
	global_store_b128 v[22:23], v[0:3], off
	s_waitcnt lgkmcnt(3)
	global_store_b128 v[24:25], v[4:7], off
	;; [unrolled: 2-line block ×5, first 2 shown]
	s_nop 0
	s_sendmsg sendmsg(MSG_DEALLOC_VGPRS)
	s_endpgm
	.section	.rodata,"a",@progbits
	.p2align	6, 0x0
	.amdhsa_kernel _Z39paged_attention_ll4mi_QKV_mfma16_kernelI14__hip_bfloat16S0_LN4vllm18Fp8KVCacheDataTypeE0EhLi16ELi128ELi256ELb0ELi14EL8MFMAType0EEvPKT_PKT0_S9_ifPKiSB_SB_iPKfiiiPfSE_PS4_PT2_iSD_SD_
		.amdhsa_group_segment_fixed_size 17472
		.amdhsa_private_segment_fixed_size 0
		.amdhsa_kernarg_size 400
		.amdhsa_user_sgpr_count 13
		.amdhsa_user_sgpr_dispatch_ptr 0
		.amdhsa_user_sgpr_queue_ptr 0
		.amdhsa_user_sgpr_kernarg_segment_ptr 1
		.amdhsa_user_sgpr_dispatch_id 0
		.amdhsa_user_sgpr_private_segment_size 0
		.amdhsa_wavefront_size32 1
		.amdhsa_uses_dynamic_stack 0
		.amdhsa_enable_private_segment 0
		.amdhsa_system_sgpr_workgroup_id_x 1
		.amdhsa_system_sgpr_workgroup_id_y 1
		.amdhsa_system_sgpr_workgroup_id_z 1
		.amdhsa_system_sgpr_workgroup_info 0
		.amdhsa_system_vgpr_workitem_id 0
		.amdhsa_next_free_vgpr 218
		.amdhsa_next_free_sgpr 50
		.amdhsa_reserve_vcc 1
		.amdhsa_float_round_mode_32 0
		.amdhsa_float_round_mode_16_64 0
		.amdhsa_float_denorm_mode_32 3
		.amdhsa_float_denorm_mode_16_64 3
		.amdhsa_dx10_clamp 1
		.amdhsa_ieee_mode 1
		.amdhsa_fp16_overflow 0
		.amdhsa_workgroup_processor_mode 1
		.amdhsa_memory_ordered 1
		.amdhsa_forward_progress 0
		.amdhsa_shared_vgpr_count 0
		.amdhsa_exception_fp_ieee_invalid_op 0
		.amdhsa_exception_fp_denorm_src 0
		.amdhsa_exception_fp_ieee_div_zero 0
		.amdhsa_exception_fp_ieee_overflow 0
		.amdhsa_exception_fp_ieee_underflow 0
		.amdhsa_exception_fp_ieee_inexact 0
		.amdhsa_exception_int_div_zero 0
	.end_amdhsa_kernel
	.section	.text._Z39paged_attention_ll4mi_QKV_mfma16_kernelI14__hip_bfloat16S0_LN4vllm18Fp8KVCacheDataTypeE0EhLi16ELi128ELi256ELb0ELi14EL8MFMAType0EEvPKT_PKT0_S9_ifPKiSB_SB_iPKfiiiPfSE_PS4_PT2_iSD_SD_,"axG",@progbits,_Z39paged_attention_ll4mi_QKV_mfma16_kernelI14__hip_bfloat16S0_LN4vllm18Fp8KVCacheDataTypeE0EhLi16ELi128ELi256ELb0ELi14EL8MFMAType0EEvPKT_PKT0_S9_ifPKiSB_SB_iPKfiiiPfSE_PS4_PT2_iSD_SD_,comdat
.Lfunc_end627:
	.size	_Z39paged_attention_ll4mi_QKV_mfma16_kernelI14__hip_bfloat16S0_LN4vllm18Fp8KVCacheDataTypeE0EhLi16ELi128ELi256ELb0ELi14EL8MFMAType0EEvPKT_PKT0_S9_ifPKiSB_SB_iPKfiiiPfSE_PS4_PT2_iSD_SD_, .Lfunc_end627-_Z39paged_attention_ll4mi_QKV_mfma16_kernelI14__hip_bfloat16S0_LN4vllm18Fp8KVCacheDataTypeE0EhLi16ELi128ELi256ELb0ELi14EL8MFMAType0EEvPKT_PKT0_S9_ifPKiSB_SB_iPKfiiiPfSE_PS4_PT2_iSD_SD_
                                        ; -- End function
	.section	.AMDGPU.csdata,"",@progbits
; Kernel info:
; codeLenInByte = 10396
; NumSgprs: 52
; NumVgprs: 218
; ScratchSize: 0
; MemoryBound: 0
; FloatMode: 240
; IeeeMode: 1
; LDSByteSize: 17472 bytes/workgroup (compile time only)
; SGPRBlocks: 6
; VGPRBlocks: 27
; NumSGPRsForWavesPerEU: 52
; NumVGPRsForWavesPerEU: 218
; Occupancy: 6
; WaveLimiterHint : 1
; COMPUTE_PGM_RSRC2:SCRATCH_EN: 0
; COMPUTE_PGM_RSRC2:USER_SGPR: 13
; COMPUTE_PGM_RSRC2:TRAP_HANDLER: 0
; COMPUTE_PGM_RSRC2:TGID_X_EN: 1
; COMPUTE_PGM_RSRC2:TGID_Y_EN: 1
; COMPUTE_PGM_RSRC2:TGID_Z_EN: 1
; COMPUTE_PGM_RSRC2:TIDIG_COMP_CNT: 0
	.section	.text._Z39paged_attention_ll4mi_QKV_mfma16_kernelI14__hip_bfloat16S0_LN4vllm18Fp8KVCacheDataTypeE0EhLi16ELi128ELi256ELb0ELi15EL8MFMAType0EEvPKT_PKT0_S9_ifPKiSB_SB_iPKfiiiPfSE_PS4_PT2_iSD_SD_,"axG",@progbits,_Z39paged_attention_ll4mi_QKV_mfma16_kernelI14__hip_bfloat16S0_LN4vllm18Fp8KVCacheDataTypeE0EhLi16ELi128ELi256ELb0ELi15EL8MFMAType0EEvPKT_PKT0_S9_ifPKiSB_SB_iPKfiiiPfSE_PS4_PT2_iSD_SD_,comdat
	.protected	_Z39paged_attention_ll4mi_QKV_mfma16_kernelI14__hip_bfloat16S0_LN4vllm18Fp8KVCacheDataTypeE0EhLi16ELi128ELi256ELb0ELi15EL8MFMAType0EEvPKT_PKT0_S9_ifPKiSB_SB_iPKfiiiPfSE_PS4_PT2_iSD_SD_ ; -- Begin function _Z39paged_attention_ll4mi_QKV_mfma16_kernelI14__hip_bfloat16S0_LN4vllm18Fp8KVCacheDataTypeE0EhLi16ELi128ELi256ELb0ELi15EL8MFMAType0EEvPKT_PKT0_S9_ifPKiSB_SB_iPKfiiiPfSE_PS4_PT2_iSD_SD_
	.globl	_Z39paged_attention_ll4mi_QKV_mfma16_kernelI14__hip_bfloat16S0_LN4vllm18Fp8KVCacheDataTypeE0EhLi16ELi128ELi256ELb0ELi15EL8MFMAType0EEvPKT_PKT0_S9_ifPKiSB_SB_iPKfiiiPfSE_PS4_PT2_iSD_SD_
	.p2align	8
	.type	_Z39paged_attention_ll4mi_QKV_mfma16_kernelI14__hip_bfloat16S0_LN4vllm18Fp8KVCacheDataTypeE0EhLi16ELi128ELi256ELb0ELi15EL8MFMAType0EEvPKT_PKT0_S9_ifPKiSB_SB_iPKfiiiPfSE_PS4_PT2_iSD_SD_,@function
_Z39paged_attention_ll4mi_QKV_mfma16_kernelI14__hip_bfloat16S0_LN4vllm18Fp8KVCacheDataTypeE0EhLi16ELi128ELi256ELb0ELi15EL8MFMAType0EEvPKT_PKT0_S9_ifPKiSB_SB_iPKfiiiPfSE_PS4_PT2_iSD_SD_: ; @_Z39paged_attention_ll4mi_QKV_mfma16_kernelI14__hip_bfloat16S0_LN4vllm18Fp8KVCacheDataTypeE0EhLi16ELi128ELi256ELb0ELi15EL8MFMAType0EEvPKT_PKT0_S9_ifPKiSB_SB_iPKfiiiPfSE_PS4_PT2_iSD_SD_
; %bb.0:
	s_load_b64 s[4:5], s[0:1], 0x30
	s_mov_b32 s30, s13
	s_waitcnt lgkmcnt(0)
	s_cmp_lg_u64 s[4:5], 0
	s_cselect_b32 s12, -1, 0
	s_ashr_i32 s31, s13, 31
	s_cmp_eq_u64 s[4:5], 0
	s_cbranch_scc1 .LBB628_3
; %bb.1:
	s_lshl_b64 s[2:3], s[30:31], 2
	s_delay_alu instid0(SALU_CYCLE_1) | instskip(SKIP_4) | instid1(SALU_CYCLE_1)
	s_add_u32 s2, s4, s2
	s_addc_u32 s3, s5, s3
	s_load_b64 s[2:3], s[2:3], 0x0
	s_waitcnt lgkmcnt(0)
	s_sub_i32 s2, s3, s2
	s_cmp_eq_u32 s2, 1
	s_cselect_b32 s2, -1, 0
	s_delay_alu instid0(SALU_CYCLE_1)
	s_and_not1_b32 vcc_lo, exec_lo, s2
	s_cbranch_vccz .LBB628_4
.LBB628_2:
	s_nop 0
	s_sendmsg sendmsg(MSG_DEALLOC_VGPRS)
	s_endpgm
.LBB628_3:
.LBB628_4:
	s_load_b64 s[2:3], s[0:1], 0x28
	s_lshl_b64 s[6:7], s[30:31], 2
	s_waitcnt lgkmcnt(0)
	s_add_u32 s2, s2, s6
	s_addc_u32 s3, s3, s7
	s_lshl_b32 s29, s14, 8
	s_load_b32 s28, s[2:3], 0x0
	s_waitcnt lgkmcnt(0)
	s_cmp_ge_i32 s29, s28
	s_cbranch_scc1 .LBB628_2
; %bb.5:
	s_clause 0x1
	s_load_b128 s[8:11], s[0:1], 0x8
	s_load_b64 s[2:3], s[0:1], 0x20
	s_and_not1_b32 vcc_lo, exec_lo, s12
	s_cbranch_vccnz .LBB628_7
; %bb.6:
	s_add_u32 s4, s4, s6
	s_addc_u32 s5, s5, s7
	s_load_b32 s12, s[4:5], 0x0
	s_branch .LBB628_8
.LBB628_7:
	s_mov_b32 s12, s30
.LBB628_8:
	s_load_b128 s[4:7], s[0:1], 0x48
	v_and_b32_e32 v140, 15, v0
	v_lshrrev_b32_e32 v141, 5, v0
	v_bfe_u32 v138, v0, 4, 1
	v_and_b32_e32 v142, 31, v0
	v_and_b32_e32 v139, 1, v0
	v_lshlrev_b32_e32 v2, 3, v140
	s_mul_i32 s31, s15, 15
	v_lshl_or_b32 v1, v141, 1, v138
	s_waitcnt lgkmcnt(0)
	s_mov_b32 s7, exec_lo
	v_lshlrev_b32_e32 v137, 1, v2
	s_delay_alu instid0(VALU_DEP_2)
	v_cmpx_gt_u32_e32 15, v1
	s_cbranch_execz .LBB628_10
; %bb.9:
	s_load_b64 s[16:17], s[0:1], 0x0
	v_add_lshl_u32 v2, v1, s31, 7
	s_mul_hi_i32 s13, s12, s4
	s_mul_i32 s12, s12, s4
	v_lshlrev_b32_e32 v6, 10, v140
	s_lshl_b64 s[12:13], s[12:13], 1
	v_ashrrev_i32_e32 v3, 31, v2
	v_lshlrev_b32_e32 v1, 6, v1
	v_lshlrev_b32_e32 v7, 10, v139
	v_and_b32_e32 v6, 0x3800, v6
	s_delay_alu instid0(VALU_DEP_4) | instskip(NEXT) | instid1(VALU_DEP_2)
	v_lshlrev_b64 v[2:3], 1, v[2:3]
	v_or3_b32 v1, v6, v7, v1
	s_waitcnt lgkmcnt(0)
	s_add_u32 s4, s16, s12
	s_addc_u32 s12, s17, s13
	s_delay_alu instid0(VALU_DEP_2) | instskip(SKIP_1) | instid1(VALU_DEP_2)
	v_add_co_u32 v2, vcc_lo, s4, v2
	v_add_co_ci_u32_e32 v3, vcc_lo, s12, v3, vcc_lo
	v_add_co_u32 v2, vcc_lo, v2, v137
	s_delay_alu instid0(VALU_DEP_2)
	v_add_co_ci_u32_e32 v3, vcc_lo, 0, v3, vcc_lo
	global_load_b128 v[2:5], v[2:3], off
	s_waitcnt vmcnt(0)
	ds_store_b128 v1, v[2:5]
.LBB628_10:
	s_or_b32 exec_lo, exec_lo, s7
	s_mov_b32 s36, 0
	s_add_i32 s4, s28, 15
	s_mov_b32 s37, s36
	s_mov_b32 s38, s36
	;; [unrolled: 1-line block ×7, first 2 shown]
	s_delay_alu instid0(SALU_CYCLE_1)
	v_dual_mov_b32 v136, s43 :: v_dual_and_b32 v1, 0xef, v0
	v_mov_b32_e32 v134, s41
	s_clause 0x1
	s_load_b32 s7, s[0:1], 0x38
	s_load_b32 s33, s[0:1], 0x1c
	v_add_nc_u32_e32 v1, s29, v1
	s_ashr_i32 s12, s4, 31
	s_waitcnt lgkmcnt(0)
	s_lshr_b32 s12, s12, 28
	s_barrier
	v_ashrrev_i32_e32 v2, 31, v1
	s_add_i32 s4, s4, s12
	v_cmp_gt_i32_e32 vcc_lo, s28, v1
	s_ashr_i32 s4, s4, 4
	v_mov_b32_e32 v132, s39
	v_lshrrev_b32_e32 v3, 28, v2
	v_or_b32_e32 v2, 16, v1
	s_add_i32 s4, s4, -1
	buffer_gl0_inv
	v_dual_mov_b32 v135, s42 :: v_dual_add_nc_u32 v4, v1, v3
	v_add_nc_u32_e32 v3, v2, v3
	v_mov_b32_e32 v133, s40
	s_mul_i32 s12, s30, s7
	v_mov_b32_e32 v131, s38
	v_ashrrev_i32_e32 v4, 4, v4
	v_ashrrev_i32_e32 v3, 4, v3
	s_ashr_i32 s13, s12, 31
	v_lshlrev_b32_e32 v106, 5, v140
	s_lshl_b64 s[12:13], s[12:13], 2
	v_cndmask_b32_e32 v1, s4, v4, vcc_lo
	v_cmp_gt_i32_e32 vcc_lo, s28, v2
	s_add_u32 s34, s2, s12
	s_addc_u32 s35, s3, s13
	s_mul_i32 s2, s15, s6
	v_ashrrev_i32_e32 v2, 31, v1
	v_cndmask_b32_e32 v3, s4, v3, vcc_lo
	s_ashr_i32 s3, s2, 31
	v_lshl_or_b32 v125, v141, 9, v106
	s_lshl_b64 s[2:3], s[2:3], 1
	v_lshlrev_b64 v[1:2], 2, v[1:2]
	v_ashrrev_i32_e32 v4, 31, v3
	s_add_u32 s22, s8, s2
	s_addc_u32 s23, s9, s3
	s_lshl_b32 s6, s14, 4
	v_mov_b32_e32 v129, s36
	v_lshlrev_b64 v[3:4], 2, v[3:4]
	v_add_co_u32 v1, vcc_lo, s34, v1
	v_add_co_ci_u32_e32 v2, vcc_lo, s35, v2, vcc_lo
	s_ashr_i32 s7, s6, 31
	s_delay_alu instid0(VALU_DEP_3) | instskip(NEXT) | instid1(VALU_DEP_4)
	v_add_co_u32 v3, vcc_lo, s34, v3
	v_add_co_ci_u32_e32 v4, vcc_lo, s35, v4, vcc_lo
	s_clause 0x1
	global_load_b32 v5, v[1:2], off
	global_load_b32 v6, v[3:4], off
	s_lshl_b64 s[6:7], s[6:7], 2
	v_dual_mov_b32 v130, s37 :: v_dual_lshlrev_b32 v3, 4, v0
	s_add_u32 s6, s34, s6
	s_addc_u32 s7, s35, s7
	s_or_b32 s8, s29, 16
	s_delay_alu instid0(SALU_CYCLE_1) | instskip(SKIP_2) | instid1(SALU_CYCLE_1)
	s_ashr_i32 s9, s8, 4
	s_cmp_lt_i32 s8, s28
	s_cselect_b32 s8, s9, s4
	s_ashr_i32 s9, s8, 31
	s_delay_alu instid0(SALU_CYCLE_1) | instskip(NEXT) | instid1(SALU_CYCLE_1)
	s_lshl_b64 s[8:9], s[8:9], 2
	s_add_u32 s8, s34, s8
	s_addc_u32 s9, s35, s9
	s_or_b32 s12, s29, 32
	s_delay_alu instid0(SALU_CYCLE_1) | instskip(SKIP_2) | instid1(SALU_CYCLE_1)
	s_ashr_i32 s13, s12, 4
	s_cmp_lt_i32 s12, s28
	s_cselect_b32 s12, s13, s4
	s_ashr_i32 s13, s12, 31
	s_delay_alu instid0(SALU_CYCLE_1) | instskip(NEXT) | instid1(SALU_CYCLE_1)
	s_lshl_b64 s[12:13], s[12:13], 2
	;; [unrolled: 10-line block ×5, first 2 shown]
	s_add_u32 s20, s34, s20
	s_addc_u32 s21, s35, s21
	s_clause 0x5
	s_load_b32 s6, s[6:7], 0x0
	s_load_b32 s8, s[8:9], 0x0
	;; [unrolled: 1-line block ×6, first 2 shown]
	s_waitcnt vmcnt(1)
	v_mad_i64_i32 v[1:2], null, v5, s5, 0
	v_and_b32_e32 v5, 0xf0, v3
	s_waitcnt vmcnt(0)
	v_mad_i64_i32 v[3:4], null, v6, s5, 0
	s_delay_alu instid0(VALU_DEP_2) | instskip(NEXT) | instid1(VALU_DEP_4)
	v_add_co_u32 v5, s7, s22, v5
	v_lshlrev_b64 v[1:2], 1, v[1:2]
	v_add_co_ci_u32_e64 v6, null, s23, 0, s7
	s_delay_alu instid0(VALU_DEP_4) | instskip(SKIP_1) | instid1(VALU_DEP_3)
	v_lshlrev_b64 v[3:4], 1, v[3:4]
	s_or_b32 s7, s29, 0x60
	v_add_co_u32 v121, vcc_lo, v5, v1
	s_delay_alu instid0(VALU_DEP_3) | instskip(NEXT) | instid1(VALU_DEP_3)
	v_add_co_ci_u32_e32 v122, vcc_lo, v6, v2, vcc_lo
	v_add_co_u32 v123, vcc_lo, v5, v3
	s_delay_alu instid0(VALU_DEP_4)
	v_add_co_ci_u32_e32 v124, vcc_lo, v6, v4, vcc_lo
	s_clause 0x19
	global_load_b128 v[89:92], v[121:122], off
	global_load_b128 v[93:96], v[121:122], off offset:256
	global_load_b128 v[97:100], v[123:124], off
	global_load_b128 v[101:104], v[123:124], off offset:256
	global_load_b128 v[81:84], v[121:122], off offset:512
	;; [unrolled: 1-line block ×23, first 2 shown]
	s_ashr_i32 s9, s7, 4
	s_cmp_lt_i32 s7, s28
	v_cmp_ne_u32_e32 vcc_lo, 15, v140
	s_cselect_b32 s20, s9, s4
	s_delay_alu instid0(SALU_CYCLE_1) | instskip(NEXT) | instid1(SALU_CYCLE_1)
	s_ashr_i32 s21, s20, 31
	s_lshl_b64 s[20:21], s[20:21], 2
	v_cndmask_b32_e32 v105, 0, v140, vcc_lo
	s_add_u32 s20, s34, s20
	s_addc_u32 s21, s35, s21
	s_or_b32 s7, s29, 0x70
	s_delay_alu instid0(SALU_CYCLE_1)
	s_ashr_i32 s9, s7, 4
	s_cmp_lt_i32 s7, s28
	v_lshlrev_b32_e32 v215, 6, v105
	s_cselect_b32 s22, s9, s4
	ds_load_b128 v[105:108], v215
	ds_load_b128 v[109:112], v215 offset:1024
	s_ashr_i32 s23, s22, 31
	ds_load_b128 v[113:116], v215 offset:2048
	ds_load_b128 v[117:120], v215 offset:3072
	;; [unrolled: 1-line block ×8, first 2 shown]
	s_clause 0x1
	global_load_b128 v[167:170], v[123:124], off offset:3072
	global_load_b128 v[171:174], v[123:124], off offset:3328
	s_lshl_b64 s[22:23], s[22:23], 2
	s_delay_alu instid0(SALU_CYCLE_1)
	s_add_u32 s22, s34, s22
	s_addc_u32 s23, s35, s23
	s_clause 0x1
	s_load_b32 s42, s[20:21], 0x0
	s_load_b32 s43, s[22:23], 0x0
	s_clause 0x3
	global_load_b128 v[175:178], v[121:122], off offset:3584
	global_load_b128 v[179:182], v[121:122], off offset:3840
	;; [unrolled: 1-line block ×4, first 2 shown]
	s_or_b32 s7, s29, 0x80
	s_delay_alu instid0(SALU_CYCLE_1) | instskip(SKIP_2) | instid1(SALU_CYCLE_1)
	s_ashr_i32 s9, s7, 4
	s_cmp_lt_i32 s7, s28
	s_cselect_b32 s24, s9, s4
	s_ashr_i32 s25, s24, 31
	s_delay_alu instid0(SALU_CYCLE_1) | instskip(NEXT) | instid1(SALU_CYCLE_1)
	s_lshl_b64 s[24:25], s[24:25], 2
	s_add_u32 s24, s34, s24
	s_addc_u32 s25, s35, s25
	s_or_b32 s7, s29, 0x90
	s_load_b32 s44, s[24:25], 0x0
	s_ashr_i32 s9, s7, 4
	s_cmp_lt_i32 s7, s28
	s_cselect_b32 s26, s9, s4
	s_delay_alu instid0(SALU_CYCLE_1) | instskip(NEXT) | instid1(SALU_CYCLE_1)
	s_ashr_i32 s27, s26, 31
	s_lshl_b64 s[26:27], s[26:27], 2
	s_delay_alu instid0(SALU_CYCLE_1) | instskip(SKIP_2) | instid1(SALU_CYCLE_1)
	s_add_u32 s26, s34, s26
	s_addc_u32 s27, s35, s27
	s_or_b32 s7, s29, 0xa0
	s_ashr_i32 s9, s7, 4
	s_cmp_lt_i32 s7, s28
	s_waitcnt lgkmcnt(0)
	s_mul_hi_i32 s7, s6, s5
	s_cselect_b32 s36, s9, s4
	s_mul_i32 s6, s6, s5
	s_ashr_i32 s37, s36, 31
	s_delay_alu instid0(SALU_CYCLE_1) | instskip(NEXT) | instid1(SALU_CYCLE_1)
	s_lshl_b64 s[36:37], s[36:37], 2
	s_add_u32 s36, s34, s36
	s_addc_u32 s37, s35, s37
	s_or_b32 s9, s29, 0xb0
	s_delay_alu instid0(SALU_CYCLE_1)
	s_ashr_i32 s13, s9, 4
	s_cmp_lt_i32 s9, s28
	s_mul_hi_i32 s9, s8, s5
	s_cselect_b32 s38, s13, s4
	s_mul_i32 s8, s8, s5
	s_ashr_i32 s39, s38, 31
	s_mul_hi_i32 s13, s12, s5
	s_lshl_b64 s[38:39], s[38:39], 2
	s_mul_i32 s12, s12, s5
	s_add_u32 s40, s34, s38
	s_addc_u32 s41, s35, s39
	s_or_b32 s17, s29, 0xc0
	s_delay_alu instid0(SALU_CYCLE_1)
	s_ashr_i32 s19, s17, 4
	s_cmp_lt_i32 s17, s28
	s_mul_hi_i32 s17, s16, s5
	s_cselect_b32 s38, s19, s4
	s_mul_i32 s16, s16, s5
	s_ashr_i32 s39, s38, 31
	s_mul_hi_i32 s19, s18, s5
	s_lshl_b64 s[38:39], s[38:39], 2
	s_mul_i32 s18, s18, s5
	s_add_u32 s22, s34, s38
	s_addc_u32 s23, s35, s39
	s_clause 0x1
	s_load_b32 s39, s[26:27], 0x0
	s_load_b32 s38, s[36:37], 0x0
	s_or_b32 s20, s29, 0xd0
	s_mul_hi_i32 s27, s44, s5
	s_ashr_i32 s21, s20, 4
	s_cmp_lt_i32 s20, s28
	s_mul_i32 s20, s15, s5
	s_cselect_b32 s24, s21, s4
	s_mul_hi_i32 s21, s15, s5
	s_ashr_i32 s25, s24, 31
	s_mul_i32 s26, s44, s5
	s_lshl_b64 s[24:25], s[24:25], 2
	s_delay_alu instid0(SALU_CYCLE_1)
	s_add_u32 s24, s34, s24
	s_addc_u32 s25, s35, s25
	s_or_b32 s45, s29, 0xe0
	s_clause 0x2
	s_load_b32 s37, s[40:41], 0x0
	s_load_b32 s36, s[22:23], 0x0
	;; [unrolled: 1-line block ×3, first 2 shown]
	s_ashr_i32 s46, s45, 4
	s_cmp_lt_i32 s45, s28
	s_mul_hi_i32 s23, s42, s5
	s_mul_i32 s22, s42, s5
	s_cselect_b32 s42, s46, s4
	s_mul_hi_i32 s25, s43, s5
	s_mul_i32 s24, s43, s5
	s_ashr_i32 s43, s42, 31
	s_waitcnt lgkmcnt(0)
	s_mul_hi_i32 s41, s39, s5
	s_lshl_b64 s[42:43], s[42:43], 2
	s_mul_i32 s40, s39, s5
	s_add_u32 s42, s34, s42
	s_addc_u32 s43, s35, s43
	s_or_b32 s44, s29, 0xf0
	s_mul_hi_i32 s39, s38, s5
	s_ashr_i32 s46, s44, 4
	s_cmp_lt_i32 s44, s28
	s_mul_i32 s38, s38, s5
	s_cselect_b32 s46, s46, s4
	s_mul_hi_i32 s49, s15, s5
	s_ashr_i32 s47, s46, 31
	s_mul_i32 s48, s15, s5
	s_lshl_b64 s[46:47], s[46:47], 2
	s_mul_hi_i32 s45, s37, s5
	s_add_u32 s34, s34, s46
	s_addc_u32 s35, s35, s47
	s_add_u32 s4, s10, s2
	s_addc_u32 s15, s11, s3
	v_add_co_u32 v216, s4, s4, v125
	s_delay_alu instid0(VALU_DEP_1) | instskip(SKIP_2) | instid1(VALU_DEP_2)
	v_add_co_ci_u32_e64 v217, null, s15, 0, s4
	s_lshl_b64 s[2:3], s[6:7], 1
	s_lshl_b64 s[6:7], s[8:9], 1
	v_add_co_u32 v125, vcc_lo, v216, s2
	s_delay_alu instid0(VALU_DEP_2)
	v_add_co_ci_u32_e32 v126, vcc_lo, s3, v217, vcc_lo
	v_add_co_u32 v199, vcc_lo, v216, s6
	s_lshl_b64 s[8:9], s[12:13], 1
	v_add_co_ci_u32_e32 v200, vcc_lo, s7, v217, vcc_lo
	s_lshl_b64 s[10:11], s[16:17], 1
	s_lshl_b64 s[12:13], s[18:19], 1
	;; [unrolled: 1-line block ×8, first 2 shown]
	s_mul_i32 s44, s37, s5
	s_mul_hi_i32 s37, s36, s5
	s_lshl_b64 s[38:39], s[44:45], 1
	s_mul_i32 s36, s36, s5
	s_clause 0x1
	s_load_b32 s4, s[42:43], 0x0
	s_load_b32 s15, s[34:35], 0x0
	s_lshl_b64 s[36:37], s[36:37], 1
	s_lshl_b64 s[40:41], s[48:49], 1
	s_waitcnt lgkmcnt(0)
	s_mul_hi_i32 s3, s4, s5
	s_mul_i32 s2, s4, s5
	s_mul_hi_i32 s7, s15, s5
	s_lshl_b64 s[2:3], s[2:3], 1
	s_mul_i32 s6, s15, s5
	s_waitcnt vmcnt(30)
	v_wmma_f32_16x16x16_bf16 v[191:198], v[89:96], v[105:112], v[129:136]
	v_add_co_u32 v89, vcc_lo, v216, s8
	v_add_co_ci_u32_e32 v90, vcc_lo, s9, v217, vcc_lo
	v_add_co_u32 v91, vcc_lo, v216, s10
	v_add_co_ci_u32_e32 v92, vcc_lo, s11, v217, vcc_lo
	;; [unrolled: 2-line block ×5, first 2 shown]
	v_add_co_u32 v205, vcc_lo, v216, s20
	s_waitcnt vmcnt(28)
	v_wmma_f32_16x16x16_bf16 v[129:136], v[97:104], v[105:112], v[129:136]
	v_add_co_ci_u32_e32 v206, vcc_lo, s21, v217, vcc_lo
	v_add_co_u32 v207, vcc_lo, v216, s22
	v_add_co_ci_u32_e32 v208, vcc_lo, s23, v217, vcc_lo
	v_add_co_u32 v209, vcc_lo, v216, s24
	s_waitcnt vmcnt(26)
	v_wmma_f32_16x16x16_bf16 v[191:198], v[81:88], v[113:120], v[191:198]
	s_waitcnt vmcnt(24)
	v_wmma_f32_16x16x16_bf16 v[129:136], v[73:80], v[113:120], v[129:136]
	v_add_co_ci_u32_e32 v210, vcc_lo, s25, v217, vcc_lo
	v_add_co_u32 v211, vcc_lo, v216, s26
	v_add_co_ci_u32_e32 v212, vcc_lo, s27, v217, vcc_lo
	v_add_co_u32 v213, vcc_lo, v216, s38
	s_waitcnt vmcnt(22)
	v_wmma_f32_16x16x16_bf16 v[191:198], v[65:72], v[143:150], v[191:198]
	s_waitcnt vmcnt(20)
	v_wmma_f32_16x16x16_bf16 v[129:136], v[57:64], v[143:150], v[129:136]
	v_add_co_ci_u32_e32 v214, vcc_lo, s39, v217, vcc_lo
	v_add_co_u32 v143, vcc_lo, v216, s36
	s_waitcnt vmcnt(18)
	v_wmma_f32_16x16x16_bf16 v[191:198], v[49:56], v[151:158], v[191:198]
	s_waitcnt vmcnt(16)
	v_wmma_f32_16x16x16_bf16 v[129:136], v[41:48], v[151:158], v[129:136]
	v_add_co_ci_u32_e32 v144, vcc_lo, s37, v217, vcc_lo
	s_clause 0x15
	global_load_b128 v[121:124], v[125:126], off
	global_load_b128 v[125:128], v[125:126], off offset:16
	global_load_b128 v[113:116], v[199:200], off
	global_load_b128 v[117:120], v[199:200], off offset:16
	;; [unrolled: 2-line block ×11, first 2 shown]
	s_waitcnt vmcnt(36)
	v_wmma_f32_16x16x16_bf16 v[191:198], v[17:24], v[159:166], v[191:198]
	s_clause 0x1
	global_load_b128 v[17:20], v[213:214], off
	global_load_b128 v[21:24], v[213:214], off offset:16
	s_waitcnt vmcnt(36)
	v_wmma_f32_16x16x16_bf16 v[129:136], v[1:8], v[159:166], v[129:136]
	s_clause 0x1
	global_load_b128 v[1:4], v[143:144], off
	global_load_b128 v[5:8], v[143:144], off offset:16
	ds_load_b128 v[143:146], v215 offset:10240
	ds_load_b128 v[147:150], v215 offset:11264
	ds_load_b128 v[151:154], v215 offset:12288
	ds_load_b128 v[155:158], v215 offset:13312
	v_add_co_u32 v199, vcc_lo, v216, s40
	v_add_co_ci_u32_e32 v200, vcc_lo, s41, v217, vcc_lo
	v_add_co_u32 v159, vcc_lo, v216, s2
	v_add_co_ci_u32_e32 v160, vcc_lo, s3, v217, vcc_lo
	s_lshl_b64 s[2:3], s[6:7], 1
	s_delay_alu instid0(SALU_CYCLE_1)
	v_add_co_u32 v161, vcc_lo, v216, s2
	v_add_co_ci_u32_e32 v162, vcc_lo, s3, v217, vcc_lo
	s_waitcnt vmcnt(36) lgkmcnt(2)
	v_wmma_f32_16x16x16_bf16 v[191:198], v[25:32], v[143:150], v[191:198]
	s_waitcnt vmcnt(34)
	v_wmma_f32_16x16x16_bf16 v[129:136], v[33:40], v[143:150], v[129:136]
	s_clause 0x3
	global_load_b128 v[25:28], v[199:200], off
	global_load_b128 v[29:32], v[199:200], off offset:16
	global_load_b128 v[33:36], v[159:160], off
	global_load_b128 v[37:40], v[159:160], off offset:16
	v_and_b32_e32 v143, 0xe0, v0
	v_mbcnt_lo_u32_b32 v159, -1, 0
	s_waitcnt vmcnt(36) lgkmcnt(0)
	v_wmma_f32_16x16x16_bf16 v[191:198], v[9:16], v[151:158], v[191:198]
	s_clause 0x1
	global_load_b128 v[9:12], v[161:162], off
	global_load_b128 v[13:16], v[161:162], off offset:16
	s_waitcnt vmcnt(36)
	v_wmma_f32_16x16x16_bf16 v[129:136], v[167:174], v[151:158], v[129:136]
	v_add_nc_u32_e32 v160, s29, v143
	ds_load_b128 v[143:146], v215 offset:14336
	ds_load_b128 v[147:150], v215 offset:15360
	v_xor_b32_e32 v151, 16, v159
	s_waitcnt vmcnt(0) lgkmcnt(0)
	s_barrier
	v_or_b32_e32 v152, v160, v138
	buffer_gl0_inv
	v_cmp_gt_i32_e32 vcc_lo, 32, v151
	v_or_b32_e32 v153, 2, v152
	v_or_b32_e32 v154, 4, v152
	;; [unrolled: 1-line block ×5, first 2 shown]
	v_cmp_gt_i32_e64 s2, s28, v153
	v_cmp_gt_i32_e64 s3, s28, v154
	;; [unrolled: 1-line block ×3, first 2 shown]
	v_or_b32_e32 v158, 12, v152
	v_cmp_gt_i32_e64 s5, s28, v156
	v_cmp_gt_i32_e64 s6, s28, v157
	v_wmma_f32_16x16x16_bf16 v[191:198], v[175:182], v[143:150], v[191:198]
	v_wmma_f32_16x16x16_bf16 v[129:136], v[183:190], v[143:150], v[129:136]
	v_cndmask_b32_e32 v151, v159, v151, vcc_lo
	v_cmp_gt_i32_e32 vcc_lo, s28, v152
	v_or_b32_e32 v159, 14, v152
	v_dual_mul_f32 v149, s33, v192 :: v_dual_mul_f32 v150, s33, v191
	v_dual_mul_f32 v147, s33, v194 :: v_dual_mul_f32 v148, s33, v193
	;; [unrolled: 1-line block ×3, first 2 shown]
	s_delay_alu instid0(VALU_DEP_3) | instskip(NEXT) | instid1(VALU_DEP_4)
	v_cndmask_b32_e32 v150, 0xff7fffff, v150, vcc_lo
	v_cndmask_b32_e64 v149, 0xff7fffff, v149, s2
	v_mul_f32_e32 v146, s33, v195
	v_cndmask_b32_e64 v148, 0xff7fffff, v148, s3
	v_cndmask_b32_e64 v147, 0xff7fffff, v147, s4
	v_or_b32_e32 v160, 16, v152
	v_max3_f32 v149, v150, 0xff7fffff, v149
	v_or_b32_e32 v161, 18, v152
	v_dual_mul_f32 v143, s33, v198 :: v_dual_mul_f32 v144, s33, v197
	v_cndmask_b32_e64 v146, 0xff7fffff, v146, s5
	v_cndmask_b32_e64 v145, 0xff7fffff, v145, s6
	v_max3_f32 v147, v149, v148, v147
	v_cmp_gt_i32_e64 s7, s28, v158
	v_cmp_gt_i32_e64 s8, s28, v159
	v_or_b32_e32 v162, 20, v152
	v_or_b32_e32 v163, 22, v152
	v_mul_f32_e32 v175, s33, v129
	v_cndmask_b32_e64 v144, 0xff7fffff, v144, s7
	v_cndmask_b32_e64 v143, 0xff7fffff, v143, s8
	v_max3_f32 v145, v147, v146, v145
	v_cmp_gt_i32_e64 s9, s28, v160
	v_cmp_gt_i32_e64 s10, s28, v161
	v_or_b32_e32 v164, 24, v152
	v_or_b32_e32 v165, 26, v152
	v_dual_mul_f32 v172, s33, v132 :: v_dual_mul_f32 v173, s33, v131
	v_cndmask_b32_e64 v146, 0xff7fffff, v175, s9
	v_cndmask_b32_e64 v147, 0xff7fffff, v174, s10
	v_max3_f32 v143, v145, v144, v143
	v_cmp_gt_i32_e64 s11, s28, v162
	v_cmp_gt_i32_e64 s12, s28, v163
	v_or_b32_e32 v166, 28, v152
	v_or_b32_e32 v167, 30, v152
	v_dual_mul_f32 v170, s33, v134 :: v_dual_mul_f32 v171, s33, v133
	v_cndmask_b32_e64 v144, 0xff7fffff, v173, s11
	v_cndmask_b32_e64 v145, 0xff7fffff, v172, s12
	v_max3_f32 v143, v143, v146, v147
	v_cmp_gt_i32_e64 s13, s28, v164
	v_cmp_gt_i32_e64 s15, s28, v165
	v_dual_mul_f32 v168, s33, v136 :: v_dual_mul_f32 v169, s33, v135
	s_delay_alu instid0(VALU_DEP_4) | instskip(NEXT) | instid1(VALU_DEP_4)
	v_max3_f32 v143, v143, v144, v145
	v_cndmask_b32_e64 v146, 0xff7fffff, v171, s13
	s_delay_alu instid0(VALU_DEP_4) | instskip(SKIP_3) | instid1(VALU_DEP_4)
	v_cndmask_b32_e64 v147, 0xff7fffff, v170, s15
	v_cmp_gt_i32_e64 s16, s28, v166
	v_cmp_gt_i32_e64 s17, s28, v167
	v_lshlrev_b32_e32 v154, 2, v151
	v_max3_f32 v143, v143, v146, v147
	s_delay_alu instid0(VALU_DEP_4) | instskip(NEXT) | instid1(VALU_DEP_4)
	v_cndmask_b32_e64 v144, 0xff7fffff, v169, s16
	v_cndmask_b32_e64 v145, 0xff7fffff, v168, s17
	s_delay_alu instid0(VALU_DEP_1) | instskip(SKIP_3) | instid1(VALU_DEP_1)
	v_max3_f32 v143, v143, v144, v145
	ds_bpermute_b32 v144, v154, v143
	s_waitcnt lgkmcnt(0)
	v_max_f32_e32 v144, v144, v144
	v_max_f32_e32 v153, v143, v144
	s_delay_alu instid0(VALU_DEP_1) | instskip(SKIP_4) | instid1(VALU_DEP_4)
	v_fma_f32 v143, s33, v191, -v153
	v_fma_f32 v144, s33, v192, -v153
	;; [unrolled: 1-line block ×5, first 2 shown]
	v_dual_mul_f32 v143, 0x3fb8aa3b, v143 :: v_dual_mul_f32 v144, 0x3fb8aa3b, v144
	s_delay_alu instid0(VALU_DEP_4) | instskip(SKIP_2) | instid1(VALU_DEP_4)
	v_mul_f32_e32 v130, 0x3fb8aa3b, v130
	v_fma_f32 v132, s33, v132, -v153
	v_mul_f32_e32 v145, 0x3fb8aa3b, v145
	v_exp_f32_e32 v143, v143
	v_exp_f32_e32 v147, v144
	v_fma_f32 v148, s33, v195, -v153
	v_mul_f32_e32 v132, 0x3fb8aa3b, v132
	v_mul_f32_e32 v146, 0x3fb8aa3b, v146
	v_exp_f32_e32 v145, v145
	v_fma_f32 v151, s33, v197, -v153
	v_mul_f32_e32 v148, 0x3fb8aa3b, v148
	v_fma_f32 v134, s33, v134, -v153
	v_exp_f32_e32 v149, v146
	v_cndmask_b32_e32 v144, 0, v143, vcc_lo
	v_fma_f32 v143, s33, v196, -v153
	v_cndmask_b32_e64 v146, 0, v147, s2
	v_exp_f32_e32 v148, v148
	s_delay_alu instid0(VALU_DEP_3) | instskip(NEXT) | instid1(VALU_DEP_3)
	v_dual_mul_f32 v151, 0x3fb8aa3b, v151 :: v_dual_add_f32 v150, 0, v144
	v_dual_mul_f32 v143, 0x3fb8aa3b, v143 :: v_dual_mul_f32 v134, 0x3fb8aa3b, v134
	v_cndmask_b32_e64 v147, 0, v145, s3
	s_delay_alu instid0(TRANS32_DEP_2) | instskip(NEXT) | instid1(VALU_DEP_4)
	v_cndmask_b32_e64 v149, 0, v149, s4
	v_add_f32_e32 v145, v150, v146
	v_fma_f32 v150, s33, v198, -v153
	v_exp_f32_e32 v143, v143
	v_fma_f32 v129, s33, v129, -v153
	v_exp_f32_e32 v155, v151
	s_delay_alu instid0(VALU_DEP_2) | instskip(SKIP_1) | instid1(VALU_DEP_3)
	v_dual_add_f32 v145, v145, v147 :: v_dual_mul_f32 v152, 0x3fb8aa3b, v150
	v_cndmask_b32_e64 v150, 0, v148, s5
	v_mul_f32_e32 v129, 0x3fb8aa3b, v129
	v_fma_f32 v131, s33, v131, -v153
	s_delay_alu instid0(VALU_DEP_4) | instskip(SKIP_1) | instid1(TRANS32_DEP_3)
	v_add_f32_e32 v145, v145, v149
	v_exp_f32_e32 v152, v152
	v_cndmask_b32_e64 v151, 0, v143, s6
	v_exp_f32_e32 v129, v129
	s_delay_alu instid0(TRANS32_DEP_3)
	v_cndmask_b32_e64 v148, 0, v155, s7
	v_add_f32_e32 v143, v145, v150
	v_mul_f32_e32 v131, 0x3fb8aa3b, v131
	v_exp_f32_e32 v130, v130
	v_fma_f32 v133, s33, v133, -v153
	v_fma_f32 v136, s33, v136, -v153
	v_add_f32_e32 v143, v143, v151
	v_cndmask_b32_e64 v152, 0, v152, s8
	v_exp_f32_e32 v145, v131
	v_cndmask_b32_e64 v131, 0, v129, s9
	v_mul_f32_e32 v133, 0x3fb8aa3b, v133
	v_add_f32_e32 v143, v143, v148
	v_cmp_gt_u32_e64 s2, 16, v142
	s_delay_alu instid0(VALU_DEP_2)
	v_add_f32_e32 v129, v143, v152
	v_exp_f32_e32 v143, v132
	v_cndmask_b32_e64 v132, 0, v130, s10
	v_fma_f32 v130, s33, v135, -v153
	v_exp_f32_e32 v135, v133
	v_add_f32_e32 v129, v129, v131
	v_cndmask_b32_e64 v133, 0, v145, s11
	v_exp_f32_e32 v145, v134
	s_delay_alu instid0(VALU_DEP_2) | instskip(NEXT) | instid1(TRANS32_DEP_3)
	v_dual_mul_f32 v130, 0x3fb8aa3b, v130 :: v_dual_add_f32 v129, v129, v132
	v_cndmask_b32_e64 v134, 0, v143, s12
	v_mul_f32_e32 v143, 0x3fb8aa3b, v136
	s_delay_alu instid0(VALU_DEP_3) | instskip(NEXT) | instid1(TRANS32_DEP_3)
	v_exp_f32_e32 v130, v130
	v_cndmask_b32_e64 v135, 0, v135, s13
	v_add_f32_e32 v129, v129, v133
	s_delay_alu instid0(TRANS32_DEP_2) | instskip(SKIP_1) | instid1(VALU_DEP_2)
	v_cndmask_b32_e64 v136, 0, v145, s15
	v_exp_f32_e32 v145, v143
	v_add_f32_e32 v129, v129, v134
	s_waitcnt_depctr 0xfff
	v_cndmask_b32_e64 v143, 0, v130, s16
	v_add_f32_e32 v129, v129, v135
	v_cndmask_b32_e64 v145, 0, v145, s17
	s_delay_alu instid0(VALU_DEP_2) | instskip(NEXT) | instid1(VALU_DEP_1)
	v_add_f32_e32 v129, v129, v136
	v_add_f32_e32 v129, v129, v143
	s_delay_alu instid0(VALU_DEP_1)
	v_add_f32_e32 v129, v129, v145
	ds_bpermute_b32 v130, v154, v129
	s_and_saveexec_b32 s3, s2
	s_cbranch_execz .LBB628_12
; %bb.11:
	v_mul_u32_u24_e32 v142, 0x44, v141
	s_waitcnt lgkmcnt(0)
	v_add_f32_e32 v129, v129, v130
	s_delay_alu instid0(VALU_DEP_2) | instskip(NEXT) | instid1(VALU_DEP_1)
	v_lshl_add_u32 v142, v140, 2, v142
	v_add_nc_u32_e32 v130, 0x4000, v142
	ds_store_2addr_b32 v130, v153, v129 offset1:136
.LBB628_12:
	s_or_b32 exec_lo, exec_lo, s3
	v_lshlrev_b32_e32 v129, 2, v140
	s_waitcnt lgkmcnt(0)
	s_barrier
	buffer_gl0_inv
	v_cmp_eq_u32_e64 s3, 1, v141
	v_add_nc_u32_e32 v142, 0x4000, v129
	ds_load_2addr_b32 v[153:154], v142 offset1:17
	ds_load_2addr_b32 v[155:156], v142 offset0:34 offset1:51
	ds_load_2addr_b32 v[157:158], v142 offset0:68 offset1:85
	ds_load_2addr_b32 v[159:160], v142 offset0:102 offset1:119
	ds_load_2addr_b32 v[161:162], v142 offset0:136 offset1:153
	s_waitcnt lgkmcnt(4)
	v_max3_f32 v129, v153, 0xff7fffff, v154
	s_waitcnt lgkmcnt(3)
	s_delay_alu instid0(VALU_DEP_1) | instskip(SKIP_1) | instid1(VALU_DEP_1)
	v_max3_f32 v129, v129, v155, v156
	s_waitcnt lgkmcnt(2)
	v_max3_f32 v129, v129, v157, v158
	s_waitcnt lgkmcnt(1)
	s_delay_alu instid0(VALU_DEP_1) | instskip(NEXT) | instid1(VALU_DEP_1)
	v_max3_f32 v129, v129, v159, v160
	v_sub_f32_e32 v163, v154, v129
	v_sub_f32_e32 v130, v153, v129
	ds_load_2addr_b32 v[153:154], v142 offset0:170 offset1:187
	v_sub_f32_e32 v155, v155, v129
	v_dual_mul_f32 v163, 0x3fb8aa3b, v163 :: v_dual_mul_f32 v130, 0x3fb8aa3b, v130
	s_delay_alu instid0(VALU_DEP_2) | instskip(NEXT) | instid1(VALU_DEP_2)
	v_mul_f32_e32 v165, 0x3fb8aa3b, v155
	v_exp_f32_e32 v163, v163
	s_delay_alu instid0(VALU_DEP_2)
	v_exp_f32_e32 v164, v130
	v_sub_f32_e32 v130, v156, v129
	ds_load_2addr_b32 v[155:156], v142 offset0:204 offset1:221
	v_exp_f32_e32 v165, v165
	v_mul_f32_e32 v166, 0x3fb8aa3b, v130
	s_waitcnt lgkmcnt(2)
	v_fma_f32 v130, v164, v161, 0
	v_sub_f32_e32 v157, v157, v129
	s_delay_alu instid0(VALU_DEP_3) | instskip(NEXT) | instid1(VALU_DEP_2)
	v_exp_f32_e32 v166, v166
	v_dual_sub_f32 v161, v158, v129 :: v_dual_fmac_f32 v130, v163, v162
	s_waitcnt lgkmcnt(1)
	s_waitcnt_depctr 0xfff
	v_fmac_f32_e32 v130, v165, v153
	v_mul_f32_e32 v167, 0x3fb8aa3b, v157
	ds_load_2addr_b32 v[157:158], v142 offset0:238 offset1:255
	v_sub_f32_e32 v142, v159, v129
	v_dual_sub_f32 v153, v160, v129 :: v_dual_fmac_f32 v130, v166, v154
	v_mul_f32_e32 v159, 0x3fb8aa3b, v161
	v_exp_f32_e32 v161, v167
	s_delay_alu instid0(VALU_DEP_2)
	v_dual_mul_f32 v142, 0x3fb8aa3b, v142 :: v_dual_mul_f32 v153, 0x3fb8aa3b, v153
	s_waitcnt lgkmcnt(0)
	s_barrier
	buffer_gl0_inv
	v_exp_f32_e32 v142, v142
	v_exp_f32_e32 v153, v153
	v_fmac_f32_e32 v130, v161, v155
	v_exp_f32_e32 v159, v159
	s_waitcnt_depctr 0xfff
	v_fmac_f32_e32 v130, v159, v156
	s_delay_alu instid0(VALU_DEP_1) | instskip(NEXT) | instid1(VALU_DEP_1)
	v_fmac_f32_e32 v130, v142, v157
	v_fmac_f32_e32 v130, v153, v158
	s_delay_alu instid0(VALU_DEP_1) | instskip(NEXT) | instid1(VALU_DEP_1)
	v_add_f32_e32 v154, 0x358637bd, v130
	v_div_scale_f32 v155, null, v154, v154, 1.0
	v_div_scale_f32 v158, vcc_lo, 1.0, v154, 1.0
	s_delay_alu instid0(VALU_DEP_2) | instskip(SKIP_2) | instid1(VALU_DEP_1)
	v_rcp_f32_e32 v156, v155
	s_waitcnt_depctr 0xfff
	v_fma_f32 v157, -v155, v156, 1.0
	v_fmac_f32_e32 v156, v157, v156
	v_cndmask_b32_e64 v157, v164, v163, s3
	v_cmp_eq_u32_e64 s3, 2, v141
	s_delay_alu instid0(VALU_DEP_3) | instskip(NEXT) | instid1(VALU_DEP_2)
	v_mul_f32_e32 v160, v158, v156
	v_cndmask_b32_e64 v157, v157, v165, s3
	v_cmp_eq_u32_e64 s3, 3, v141
	s_delay_alu instid0(VALU_DEP_3) | instskip(NEXT) | instid1(VALU_DEP_2)
	v_fma_f32 v162, -v155, v160, v158
	v_cndmask_b32_e64 v157, v157, v166, s3
	v_cmp_eq_u32_e64 s3, 4, v141
	s_delay_alu instid0(VALU_DEP_3) | instskip(NEXT) | instid1(VALU_DEP_2)
	v_fmac_f32_e32 v160, v162, v156
	v_cndmask_b32_e64 v157, v157, v161, s3
	s_delay_alu instid0(VALU_DEP_2) | instskip(SKIP_1) | instid1(VALU_DEP_2)
	v_fma_f32 v155, -v155, v160, v158
	v_cmp_eq_u32_e64 s3, 5, v141
	v_div_fmas_f32 v155, v155, v156, v160
	s_delay_alu instid0(VALU_DEP_2) | instskip(SKIP_2) | instid1(VALU_DEP_3)
	v_cndmask_b32_e64 v157, v157, v159, s3
	v_cmp_eq_u32_e32 vcc_lo, 6, v141
	s_mov_b32 s3, exec_lo
	v_div_fixup_f32 v154, v155, v154, 1.0
	s_delay_alu instid0(VALU_DEP_3) | instskip(SKIP_1) | instid1(VALU_DEP_2)
	v_cndmask_b32_e32 v142, v157, v142, vcc_lo
	v_cmp_eq_u32_e32 vcc_lo, 7, v141
	v_cndmask_b32_e32 v142, v142, v153, vcc_lo
	s_delay_alu instid0(VALU_DEP_1) | instskip(NEXT) | instid1(VALU_DEP_1)
	v_mul_f32_e32 v142, v142, v154
	v_mul_f32_e32 v153, v142, v149
	;; [unrolled: 1-line block ×7, first 2 shown]
	v_dual_mul_f32 v150, v142, v147 :: v_dual_and_b32 v155, 0x7f800000, v154
	v_mul_f32_e32 v149, v142, v146
                                        ; implicit-def: $vgpr146
	s_delay_alu instid0(VALU_DEP_2)
	v_cmpx_ne_u32_e32 0x7f800000, v155
	s_xor_b32 s3, exec_lo, s3
; %bb.13:
	v_bfe_u32 v146, v154, 16, 1
	s_delay_alu instid0(VALU_DEP_1)
	v_add3_u32 v146, v154, v146, 0x7fff
                                        ; implicit-def: $vgpr154
; %bb.14:
	s_and_not1_saveexec_b32 s3, s3
; %bb.15:
	v_and_b32_e32 v146, 0xffff, v154
	v_or_b32_e32 v147, 0x10000, v154
	s_delay_alu instid0(VALU_DEP_2) | instskip(NEXT) | instid1(VALU_DEP_2)
	v_cmp_eq_u32_e32 vcc_lo, 0, v146
	v_cndmask_b32_e32 v146, v147, v154, vcc_lo
; %bb.16:
	s_or_b32 exec_lo, exec_lo, s3
	v_and_b32_e32 v147, 0x7f800000, v149
	s_delay_alu instid0(VALU_DEP_1) | instskip(SKIP_1) | instid1(SALU_CYCLE_1)
	v_cmp_ne_u32_e32 vcc_lo, 0x7f800000, v147
                                        ; implicit-def: $vgpr147
	s_and_saveexec_b32 s3, vcc_lo
	s_xor_b32 s3, exec_lo, s3
; %bb.17:
	v_bfe_u32 v147, v149, 16, 1
	s_delay_alu instid0(VALU_DEP_1)
	v_add3_u32 v147, v149, v147, 0x7fff
                                        ; implicit-def: $vgpr149
; %bb.18:
	s_and_not1_saveexec_b32 s3, s3
; %bb.19:
	v_and_b32_e32 v147, 0xffff, v149
	v_or_b32_e32 v154, 0x10000, v149
	s_delay_alu instid0(VALU_DEP_2) | instskip(NEXT) | instid1(VALU_DEP_2)
	v_cmp_eq_u32_e32 vcc_lo, 0, v147
	v_cndmask_b32_e32 v147, v154, v149, vcc_lo
; %bb.20:
	s_or_b32 exec_lo, exec_lo, s3
	v_and_b32_e32 v149, 0x7f800000, v150
	s_delay_alu instid0(VALU_DEP_1) | instskip(SKIP_1) | instid1(SALU_CYCLE_1)
	v_cmp_ne_u32_e32 vcc_lo, 0x7f800000, v149
                                        ; implicit-def: $vgpr149
	s_and_saveexec_b32 s3, vcc_lo
	s_xor_b32 s3, exec_lo, s3
; %bb.21:
	v_bfe_u32 v149, v150, 16, 1
	s_delay_alu instid0(VALU_DEP_1)
	v_add3_u32 v149, v150, v149, 0x7fff
                                        ; implicit-def: $vgpr150
; %bb.22:
	s_and_not1_saveexec_b32 s3, s3
; %bb.23:
	v_and_b32_e32 v149, 0xffff, v150
	v_or_b32_e32 v154, 0x10000, v150
	s_delay_alu instid0(VALU_DEP_2) | instskip(NEXT) | instid1(VALU_DEP_2)
	v_cmp_eq_u32_e32 vcc_lo, 0, v149
	v_cndmask_b32_e32 v149, v154, v150, vcc_lo
; %bb.24:
	s_or_b32 exec_lo, exec_lo, s3
	v_and_b32_e32 v150, 0x7f800000, v153
	s_delay_alu instid0(VALU_DEP_1) | instskip(SKIP_1) | instid1(SALU_CYCLE_1)
	v_cmp_ne_u32_e32 vcc_lo, 0x7f800000, v150
                                        ; implicit-def: $vgpr150
	s_and_saveexec_b32 s3, vcc_lo
	s_xor_b32 s3, exec_lo, s3
; %bb.25:
	v_bfe_u32 v150, v153, 16, 1
	s_delay_alu instid0(VALU_DEP_1)
	v_add3_u32 v150, v153, v150, 0x7fff
                                        ; implicit-def: $vgpr153
; %bb.26:
	s_and_not1_saveexec_b32 s3, s3
; %bb.27:
	v_and_b32_e32 v150, 0xffff, v153
	v_or_b32_e32 v154, 0x10000, v153
	s_delay_alu instid0(VALU_DEP_2) | instskip(NEXT) | instid1(VALU_DEP_2)
	v_cmp_eq_u32_e32 vcc_lo, 0, v150
	v_cndmask_b32_e32 v150, v154, v153, vcc_lo
; %bb.28:
	s_or_b32 exec_lo, exec_lo, s3
	v_and_b32_e32 v153, 0x7f800000, v152
	s_delay_alu instid0(VALU_DEP_1) | instskip(SKIP_1) | instid1(SALU_CYCLE_1)
	v_cmp_ne_u32_e32 vcc_lo, 0x7f800000, v153
                                        ; implicit-def: $vgpr153
	s_and_saveexec_b32 s3, vcc_lo
	s_xor_b32 s3, exec_lo, s3
; %bb.29:
	v_bfe_u32 v153, v152, 16, 1
	s_delay_alu instid0(VALU_DEP_1)
	v_add3_u32 v153, v152, v153, 0x7fff
                                        ; implicit-def: $vgpr152
; %bb.30:
	s_and_not1_saveexec_b32 s3, s3
; %bb.31:
	v_and_b32_e32 v153, 0xffff, v152
	v_or_b32_e32 v154, 0x10000, v152
	s_delay_alu instid0(VALU_DEP_2) | instskip(NEXT) | instid1(VALU_DEP_2)
	v_cmp_eq_u32_e32 vcc_lo, 0, v153
	v_cndmask_b32_e32 v153, v154, v152, vcc_lo
; %bb.32:
	s_or_b32 exec_lo, exec_lo, s3
	v_and_b32_e32 v152, 0x7f800000, v151
	s_delay_alu instid0(VALU_DEP_1) | instskip(SKIP_1) | instid1(SALU_CYCLE_1)
	v_cmp_ne_u32_e32 vcc_lo, 0x7f800000, v152
                                        ; implicit-def: $vgpr152
	s_and_saveexec_b32 s3, vcc_lo
	s_xor_b32 s3, exec_lo, s3
; %bb.33:
	v_bfe_u32 v152, v151, 16, 1
	s_delay_alu instid0(VALU_DEP_1)
	v_add3_u32 v152, v151, v152, 0x7fff
                                        ; implicit-def: $vgpr151
; %bb.34:
	s_and_not1_saveexec_b32 s3, s3
; %bb.35:
	v_and_b32_e32 v152, 0xffff, v151
	v_or_b32_e32 v154, 0x10000, v151
	s_delay_alu instid0(VALU_DEP_2) | instskip(NEXT) | instid1(VALU_DEP_2)
	v_cmp_eq_u32_e32 vcc_lo, 0, v152
	v_cndmask_b32_e32 v152, v154, v151, vcc_lo
; %bb.36:
	s_or_b32 exec_lo, exec_lo, s3
	v_and_b32_e32 v151, 0x7f800000, v148
	s_delay_alu instid0(VALU_DEP_1) | instskip(SKIP_1) | instid1(SALU_CYCLE_1)
	v_cmp_ne_u32_e32 vcc_lo, 0x7f800000, v151
                                        ; implicit-def: $vgpr151
	s_and_saveexec_b32 s3, vcc_lo
	s_xor_b32 s3, exec_lo, s3
; %bb.37:
	v_bfe_u32 v151, v148, 16, 1
	s_delay_alu instid0(VALU_DEP_1)
	v_add3_u32 v151, v148, v151, 0x7fff
                                        ; implicit-def: $vgpr148
; %bb.38:
	s_and_not1_saveexec_b32 s3, s3
; %bb.39:
	v_and_b32_e32 v151, 0xffff, v148
	v_or_b32_e32 v154, 0x10000, v148
	s_delay_alu instid0(VALU_DEP_2) | instskip(NEXT) | instid1(VALU_DEP_2)
	v_cmp_eq_u32_e32 vcc_lo, 0, v151
	v_cndmask_b32_e32 v151, v154, v148, vcc_lo
; %bb.40:
	s_or_b32 exec_lo, exec_lo, s3
	v_and_b32_e32 v148, 0x7f800000, v144
	s_delay_alu instid0(VALU_DEP_1) | instskip(SKIP_1) | instid1(SALU_CYCLE_1)
	v_cmp_ne_u32_e32 vcc_lo, 0x7f800000, v148
                                        ; implicit-def: $vgpr148
	s_and_saveexec_b32 s3, vcc_lo
	s_xor_b32 s3, exec_lo, s3
; %bb.41:
	v_bfe_u32 v148, v144, 16, 1
	s_delay_alu instid0(VALU_DEP_1)
	v_add3_u32 v148, v144, v148, 0x7fff
                                        ; implicit-def: $vgpr144
; %bb.42:
	s_and_not1_saveexec_b32 s3, s3
; %bb.43:
	v_and_b32_e32 v148, 0xffff, v144
	v_or_b32_e32 v154, 0x10000, v144
	s_delay_alu instid0(VALU_DEP_2) | instskip(NEXT) | instid1(VALU_DEP_2)
	v_cmp_eq_u32_e32 vcc_lo, 0, v148
	v_cndmask_b32_e32 v148, v154, v144, vcc_lo
; %bb.44:
	s_or_b32 exec_lo, exec_lo, s3
	s_load_b64 s[34:35], s[0:1], 0x94
	v_lshlrev_b32_e32 v155, 4, v138
	s_delay_alu instid0(VALU_DEP_2)
	v_perm_b32 v154, v148, v151, 0x7060302
	v_mul_f32_e32 v148, v142, v131
	v_dual_mul_f32 v145, v142, v145 :: v_dual_lshlrev_b32 v144, 6, v140
	v_dual_mul_f32 v143, v142, v143 :: v_dual_lshlrev_b32 v156, 11, v141
	v_perm_b32 v153, v152, v153, 0x7060302
	v_perm_b32 v152, v150, v149, 0x7060302
	;; [unrolled: 1-line block ×3, first 2 shown]
	s_delay_alu instid0(VALU_DEP_4)
	v_or3_b32 v131, v155, v156, v144
	v_mul_f32_e32 v136, v142, v136
	v_dual_mul_f32 v146, v142, v134 :: v_dual_and_b32 v149, 0x7f800000, v148
	v_mul_f32_e32 v135, v142, v135
	v_mul_f32_e32 v147, v142, v133
	;; [unrolled: 1-line block ×3, first 2 shown]
	s_mov_b32 s3, exec_lo
	ds_store_b128 v131, v[151:154]
                                        ; implicit-def: $vgpr132
	v_cmpx_ne_u32_e32 0x7f800000, v149
	s_xor_b32 s3, exec_lo, s3
; %bb.45:
	v_bfe_u32 v132, v148, 16, 1
	s_delay_alu instid0(VALU_DEP_1)
	v_add3_u32 v132, v148, v132, 0x7fff
                                        ; implicit-def: $vgpr148
; %bb.46:
	s_and_not1_saveexec_b32 s3, s3
; %bb.47:
	v_and_b32_e32 v132, 0xffff, v148
	v_or_b32_e32 v133, 0x10000, v148
	s_delay_alu instid0(VALU_DEP_2) | instskip(NEXT) | instid1(VALU_DEP_2)
	v_cmp_eq_u32_e32 vcc_lo, 0, v132
	v_cndmask_b32_e32 v132, v133, v148, vcc_lo
; %bb.48:
	s_or_b32 exec_lo, exec_lo, s3
	v_and_b32_e32 v133, 0x7f800000, v134
	s_delay_alu instid0(VALU_DEP_1) | instskip(SKIP_1) | instid1(SALU_CYCLE_1)
	v_cmp_ne_u32_e32 vcc_lo, 0x7f800000, v133
                                        ; implicit-def: $vgpr133
	s_and_saveexec_b32 s3, vcc_lo
	s_xor_b32 s3, exec_lo, s3
; %bb.49:
	v_bfe_u32 v133, v134, 16, 1
	s_delay_alu instid0(VALU_DEP_1)
	v_add3_u32 v133, v134, v133, 0x7fff
                                        ; implicit-def: $vgpr134
; %bb.50:
	s_and_not1_saveexec_b32 s3, s3
; %bb.51:
	v_and_b32_e32 v133, 0xffff, v134
	v_or_b32_e32 v142, 0x10000, v134
	s_delay_alu instid0(VALU_DEP_2) | instskip(NEXT) | instid1(VALU_DEP_2)
	v_cmp_eq_u32_e32 vcc_lo, 0, v133
	v_cndmask_b32_e32 v133, v142, v134, vcc_lo
; %bb.52:
	s_or_b32 exec_lo, exec_lo, s3
	v_and_b32_e32 v134, 0x7f800000, v147
	s_delay_alu instid0(VALU_DEP_1) | instskip(SKIP_1) | instid1(SALU_CYCLE_1)
	v_cmp_ne_u32_e32 vcc_lo, 0x7f800000, v134
                                        ; implicit-def: $vgpr134
	s_and_saveexec_b32 s3, vcc_lo
	s_xor_b32 s3, exec_lo, s3
; %bb.53:
	v_bfe_u32 v134, v147, 16, 1
	s_delay_alu instid0(VALU_DEP_1)
	v_add3_u32 v134, v147, v134, 0x7fff
                                        ; implicit-def: $vgpr147
; %bb.54:
	s_and_not1_saveexec_b32 s3, s3
; %bb.55:
	v_and_b32_e32 v134, 0xffff, v147
	v_or_b32_e32 v142, 0x10000, v147
	s_delay_alu instid0(VALU_DEP_2) | instskip(NEXT) | instid1(VALU_DEP_2)
	v_cmp_eq_u32_e32 vcc_lo, 0, v134
	v_cndmask_b32_e32 v134, v142, v147, vcc_lo
; %bb.56:
	s_or_b32 exec_lo, exec_lo, s3
	v_and_b32_e32 v142, 0x7f800000, v146
	s_delay_alu instid0(VALU_DEP_1) | instskip(SKIP_1) | instid1(SALU_CYCLE_1)
	v_cmp_ne_u32_e32 vcc_lo, 0x7f800000, v142
                                        ; implicit-def: $vgpr142
	s_and_saveexec_b32 s3, vcc_lo
	s_xor_b32 s3, exec_lo, s3
; %bb.57:
	v_bfe_u32 v142, v146, 16, 1
	s_delay_alu instid0(VALU_DEP_1)
	v_add3_u32 v142, v146, v142, 0x7fff
                                        ; implicit-def: $vgpr146
; %bb.58:
	s_and_not1_saveexec_b32 s3, s3
; %bb.59:
	v_and_b32_e32 v142, 0xffff, v146
	v_or_b32_e32 v147, 0x10000, v146
	s_delay_alu instid0(VALU_DEP_2) | instskip(NEXT) | instid1(VALU_DEP_2)
	v_cmp_eq_u32_e32 vcc_lo, 0, v142
	v_cndmask_b32_e32 v142, v147, v146, vcc_lo
; %bb.60:
	s_or_b32 exec_lo, exec_lo, s3
	v_and_b32_e32 v146, 0x7f800000, v135
	s_delay_alu instid0(VALU_DEP_1) | instskip(SKIP_1) | instid1(SALU_CYCLE_1)
	v_cmp_ne_u32_e32 vcc_lo, 0x7f800000, v146
                                        ; implicit-def: $vgpr146
	s_and_saveexec_b32 s3, vcc_lo
	s_xor_b32 s3, exec_lo, s3
; %bb.61:
	v_bfe_u32 v146, v135, 16, 1
	s_delay_alu instid0(VALU_DEP_1)
	v_add3_u32 v146, v135, v146, 0x7fff
                                        ; implicit-def: $vgpr135
; %bb.62:
	s_and_not1_saveexec_b32 s3, s3
; %bb.63:
	v_and_b32_e32 v146, 0xffff, v135
	v_or_b32_e32 v147, 0x10000, v135
	s_delay_alu instid0(VALU_DEP_2) | instskip(NEXT) | instid1(VALU_DEP_2)
	v_cmp_eq_u32_e32 vcc_lo, 0, v146
	v_cndmask_b32_e32 v146, v147, v135, vcc_lo
; %bb.64:
	s_or_b32 exec_lo, exec_lo, s3
	v_and_b32_e32 v135, 0x7f800000, v136
	s_delay_alu instid0(VALU_DEP_1) | instskip(SKIP_1) | instid1(SALU_CYCLE_1)
	v_cmp_ne_u32_e32 vcc_lo, 0x7f800000, v135
                                        ; implicit-def: $vgpr135
	s_and_saveexec_b32 s3, vcc_lo
	s_xor_b32 s3, exec_lo, s3
; %bb.65:
	v_bfe_u32 v135, v136, 16, 1
	s_delay_alu instid0(VALU_DEP_1)
	v_add3_u32 v135, v136, v135, 0x7fff
                                        ; implicit-def: $vgpr136
; %bb.66:
	s_and_not1_saveexec_b32 s3, s3
; %bb.67:
	v_and_b32_e32 v135, 0xffff, v136
	v_or_b32_e32 v147, 0x10000, v136
	s_delay_alu instid0(VALU_DEP_2) | instskip(NEXT) | instid1(VALU_DEP_2)
	v_cmp_eq_u32_e32 vcc_lo, 0, v135
	v_cndmask_b32_e32 v135, v147, v136, vcc_lo
; %bb.68:
	s_or_b32 exec_lo, exec_lo, s3
	v_and_b32_e32 v136, 0x7f800000, v143
	s_delay_alu instid0(VALU_DEP_1) | instskip(SKIP_1) | instid1(SALU_CYCLE_1)
	v_cmp_ne_u32_e32 vcc_lo, 0x7f800000, v136
                                        ; implicit-def: $vgpr136
	s_and_saveexec_b32 s3, vcc_lo
	s_xor_b32 s3, exec_lo, s3
; %bb.69:
	v_bfe_u32 v136, v143, 16, 1
	s_delay_alu instid0(VALU_DEP_1)
	v_add3_u32 v136, v143, v136, 0x7fff
                                        ; implicit-def: $vgpr143
; %bb.70:
	s_and_not1_saveexec_b32 s3, s3
; %bb.71:
	v_and_b32_e32 v136, 0xffff, v143
	v_or_b32_e32 v147, 0x10000, v143
	s_delay_alu instid0(VALU_DEP_2) | instskip(NEXT) | instid1(VALU_DEP_2)
	v_cmp_eq_u32_e32 vcc_lo, 0, v136
	v_cndmask_b32_e32 v136, v147, v143, vcc_lo
; %bb.72:
	s_or_b32 exec_lo, exec_lo, s3
	v_and_b32_e32 v143, 0x7f800000, v145
	s_delay_alu instid0(VALU_DEP_1) | instskip(SKIP_1) | instid1(SALU_CYCLE_1)
	v_cmp_ne_u32_e32 vcc_lo, 0x7f800000, v143
                                        ; implicit-def: $vgpr143
	s_and_saveexec_b32 s3, vcc_lo
	s_xor_b32 s3, exec_lo, s3
; %bb.73:
	v_bfe_u32 v143, v145, 16, 1
	s_delay_alu instid0(VALU_DEP_1)
	v_add3_u32 v143, v145, v143, 0x7fff
                                        ; implicit-def: $vgpr145
; %bb.74:
	s_and_not1_saveexec_b32 s3, s3
; %bb.75:
	v_and_b32_e32 v143, 0xffff, v145
	v_or_b32_e32 v147, 0x10000, v145
	s_delay_alu instid0(VALU_DEP_2) | instskip(NEXT) | instid1(VALU_DEP_2)
	v_cmp_eq_u32_e32 vcc_lo, 0, v143
	v_cndmask_b32_e32 v143, v147, v145, vcc_lo
; %bb.76:
	s_or_b32 exec_lo, exec_lo, s3
	s_delay_alu instid0(VALU_DEP_1)
	v_perm_b32 v136, v143, v136, 0x7060302
	v_perm_b32 v135, v135, v146, 0x7060302
	;; [unrolled: 1-line block ×4, first 2 shown]
	v_lshl_or_b32 v145, v141, 11, v144
	v_lshlrev_b32_e32 v142, 2, v138
	ds_store_b128 v131, v[133:136] offset:1024
	s_waitcnt lgkmcnt(0)
	s_barrier
	buffer_gl0_inv
	ds_load_b128 v[132:135], v145
	ds_load_b128 v[147:150], v145 offset:16
	v_or_b32_e32 v143, 1, v142
	v_cmp_eq_u32_e64 s12, 1, v142
	v_cmp_eq_u32_e64 s11, 2, v142
	;; [unrolled: 1-line block ×3, first 2 shown]
	v_or_b32_e32 v141, 2, v142
	v_cmp_eq_u32_e64 s7, 1, v143
	v_cmp_eq_u32_e64 s6, 2, v143
	;; [unrolled: 1-line block ×8, first 2 shown]
	v_cmp_eq_u32_e32 vcc_lo, 5, v143
	v_cmp_eq_u32_e64 s10, 2, v141
	v_cmp_eq_u32_e64 s4, 6, v143
	;; [unrolled: 1-line block ×4, first 2 shown]
	s_waitcnt lgkmcnt(1)
	v_lshrrev_b32_e32 v136, 16, v132
	s_waitcnt lgkmcnt(0)
	v_lshrrev_b32_e32 v155, 16, v147
	v_lshrrev_b32_e32 v161, 16, v148
	;; [unrolled: 1-line block ×4, first 2 shown]
	v_cndmask_b32_e64 v146, v132, v136, s12
	v_cndmask_b32_e64 v151, v147, v155, s12
	;; [unrolled: 1-line block ×4, first 2 shown]
	v_lshrrev_b32_e32 v160, 16, v134
	v_cndmask_b32_e64 v146, v146, v133, s11
	v_cndmask_b32_e64 v151, v151, v148, s11
	;; [unrolled: 1-line block ×8, first 2 shown]
	v_lshrrev_b32_e32 v164, 16, v150
	v_cndmask_b32_e64 v153, v153, v161, s5
	v_cndmask_b32_e64 v146, v146, v134, s17
	v_cndmask_b32_e64 v151, v151, v149, s17
	v_cndmask_b32_e64 v152, v152, v134, s3
	v_cndmask_b32_e64 v154, v154, v133, s10
	v_lshrrev_b32_e32 v162, 16, v135
	v_cndmask_b32_e64 v146, v146, v160, s13
	v_cndmask_b32_e64 v151, v151, v163, s13
	v_cndmask_b32_e32 v152, v152, v160, vcc_lo
	v_cndmask_b32_e64 v153, v153, v149, s3
	v_cmp_eq_u32_e64 s19, 7, v143
	v_cndmask_b32_e64 v146, v146, v135, s15
	v_cndmask_b32_e64 v151, v151, v150, s15
	;; [unrolled: 1-line block ×4, first 2 shown]
	v_cmp_eq_u32_e64 s20, 4, v141
	v_cndmask_b32_e64 v165, v146, v162, s9
	v_cndmask_b32_e64 v166, v151, v164, s9
	;; [unrolled: 1-line block ×3, first 2 shown]
	v_or_b32_e32 v146, 3, v142
	v_cndmask_b32_e64 v167, v152, v162, s19
	v_cndmask_b32_e32 v156, v153, v163, vcc_lo
	v_cndmask_b32_e64 v158, v154, v134, s20
	v_cndmask_b32_e64 v157, v151, v148, s10
	ds_load_b128 v[151:154], v145 offset:1024
	v_cmp_eq_u32_e64 s21, 1, v146
	v_cmp_eq_u32_e64 s22, 5, v141
	;; [unrolled: 1-line block ×3, first 2 shown]
	v_cndmask_b32_e64 v157, v157, v161, s18
	v_cmp_eq_u32_e64 s24, 3, v146
	v_cndmask_b32_e64 v132, v132, v136, s21
	v_cndmask_b32_e64 v136, v156, v150, s4
	;; [unrolled: 1-line block ×5, first 2 shown]
	ds_load_b128 v[155:158], v145 offset:1040
	v_cndmask_b32_e64 v132, v132, v133, s23
	v_cmp_eq_u32_e64 s26, 4, v146
	v_cmp_eq_u32_e64 s28, 5, v146
	v_cndmask_b32_e64 v147, v147, v148, s23
	v_cmp_eq_u32_e64 s25, 6, v141
	v_cndmask_b32_e64 v132, v132, v159, s24
	;; [unrolled: 2-line block ×3, first 2 shown]
	v_cndmask_b32_e64 v147, v147, v161, s24
	s_waitcnt lgkmcnt(1)
	v_lshrrev_b32_e32 v159, 16, v151
	v_cndmask_b32_e64 v132, v132, v134, s26
	v_cndmask_b32_e64 v148, v168, v135, s25
	;; [unrolled: 1-line block ×6, first 2 shown]
	v_lshrrev_b32_e32 v160, 16, v152
	v_cndmask_b32_e64 v161, v151, v159, s7
	v_cndmask_b32_e64 v134, v134, v163, s28
	s_waitcnt lgkmcnt(0)
	v_lshrrev_b32_e32 v149, 16, v155
	v_cndmask_b32_e64 v147, v147, v152, s11
	v_cndmask_b32_e64 v132, v132, v135, s29
	v_cmp_eq_u32_e64 s27, 7, v141
	v_cndmask_b32_e64 v134, v134, v150, s29
	v_cndmask_b32_e64 v163, v155, v149, s12
	;; [unrolled: 1-line block ×4, first 2 shown]
	v_lshrrev_b32_e32 v161, 16, v156
	v_cndmask_b32_e64 v136, v136, v164, s19
	v_cndmask_b32_e64 v150, v163, v156, s11
	v_cmp_eq_u32_e64 s11, 7, v146
	v_cndmask_b32_e64 v147, v147, v160, s5
	v_cndmask_b32_e64 v135, v135, v153, s17
	v_lshrrev_b32_e32 v163, 16, v153
	v_cndmask_b32_e64 v150, v150, v161, s16
	v_cndmask_b32_e64 v132, v132, v162, s11
	;; [unrolled: 1-line block ×8, first 2 shown]
	v_lshrrev_b32_e32 v164, 16, v157
	v_perm_b32 v135, v134, v132, 0x5040100
	v_cndmask_b32_e32 v132, v147, v163, vcc_lo
	v_cndmask_b32_e64 v147, v162, v154, s15
	v_lshrrev_b32_e32 v162, 16, v154
	v_cndmask_b32_e64 v150, v150, v164, s13
	v_perm_b32 v134, v133, v148, 0x5040100
	v_cndmask_b32_e64 v132, v132, v154, s4
	v_perm_b32 v133, v136, v167, 0x5040100
	v_cndmask_b32_e64 v136, v147, v162, s9
	v_cndmask_b32_e64 v147, v150, v158, s15
	v_cndmask_b32_e64 v150, v151, v159, s21
	v_cndmask_b32_e64 v167, v132, v162, s19
	v_cndmask_b32_e64 v132, v151, v159, s8
	v_cndmask_b32_e64 v151, v155, v149, s21
	v_cndmask_b32_e64 v159, v155, v149, s8
	v_cndmask_b32_e64 v149, v155, v149, s7
	v_cndmask_b32_e64 v150, v150, v152, s23
	v_cndmask_b32_e64 v132, v132, v152, s10
	v_cndmask_b32_e64 v151, v151, v156, s23
	v_cndmask_b32_e64 v152, v159, v156, s10
	v_cndmask_b32_e64 v149, v149, v156, s6
	v_cndmask_b32_e64 v150, v150, v160, s24
	v_cndmask_b32_e64 v132, v132, v160, s18
	v_cndmask_b32_e64 v151, v151, v161, s24
	v_cndmask_b32_e64 v152, v152, v161, s18
	v_cndmask_b32_e64 v149, v149, v161, s5
	v_cndmask_b32_e64 v150, v150, v153, s26
	v_cndmask_b32_e64 v132, v132, v153, s20
	v_cndmask_b32_e64 v151, v151, v157, s26
	v_cndmask_b32_e64 v152, v152, v157, s20
	v_cndmask_b32_e64 v149, v149, v157, s3
	v_cndmask_b32_e64 v150, v150, v163, s28
	v_cndmask_b32_e64 v132, v132, v163, s22
	v_cndmask_b32_e64 v151, v151, v164, s28
	v_cndmask_b32_e64 v152, v152, v164, s22
	v_cndmask_b32_e32 v149, v149, v164, vcc_lo
	v_lshrrev_b32_e32 v148, 16, v158
	v_cndmask_b32_e64 v132, v132, v154, s25
	v_cndmask_b32_e64 v150, v150, v154, s29
	v_cndmask_b32_e64 v151, v151, v158, s29
	v_cndmask_b32_e64 v152, v152, v158, s25
	v_cndmask_b32_e64 v149, v149, v158, s4
	v_cndmask_b32_e64 v153, v132, v162, s27
	v_cndmask_b32_e64 v150, v150, v162, s11
	v_cndmask_b32_e64 v151, v151, v148, s11
	v_cndmask_b32_e64 v152, v152, v148, s27
	v_cndmask_b32_e64 v154, v149, v148, s19
	v_cndmask_b32_e64 v147, v147, v148, s9
	v_perm_b32 v132, v166, v165, 0x5040100
	v_perm_b32 v150, v151, v150, 0x5040100
	v_perm_b32 v149, v152, v153, 0x5040100
	v_perm_b32 v148, v154, v167, 0x5040100
	v_perm_b32 v147, v147, v136, 0x5040100
	s_mul_i32 s8, s35, 15
	s_mov_b32 s3, exec_lo
	ds_store_b128 v131, v[132:135]
	ds_store_b128 v131, v[147:150] offset:1024
	v_cmpx_gt_u32_e32 15, v0
	s_cbranch_execz .LBB628_78
; %bb.77:
	s_mul_i32 s4, s8, s30
	s_delay_alu instid0(SALU_CYCLE_1) | instskip(SKIP_1) | instid1(VALU_DEP_1)
	v_add3_u32 v133, s4, s31, v140
	s_load_b128 s[4:7], s[0:1], 0x58
	v_mad_u64_u32 v[131:132], null, v133, s34, s[14:15]
	s_delay_alu instid0(VALU_DEP_1) | instskip(NEXT) | instid1(VALU_DEP_1)
	v_ashrrev_i32_e32 v132, 31, v131
	v_lshlrev_b64 v[131:132], 2, v[131:132]
	s_waitcnt lgkmcnt(0)
	s_delay_alu instid0(VALU_DEP_1) | instskip(NEXT) | instid1(VALU_DEP_2)
	v_add_co_u32 v133, vcc_lo, s6, v131
	v_add_co_ci_u32_e32 v134, vcc_lo, s7, v132, vcc_lo
	v_add_co_u32 v131, vcc_lo, s4, v131
	v_add_co_ci_u32_e32 v132, vcc_lo, s5, v132, vcc_lo
	global_store_b32 v[133:134], v129, off
	global_store_b32 v[131:132], v130, off
.LBB628_78:
	s_or_b32 exec_lo, exec_lo, s3
	s_waitcnt lgkmcnt(0)
	s_waitcnt_vscnt null, 0x0
	s_barrier
	buffer_gl0_inv
	ds_load_b128 v[147:150], v144
	ds_load_b128 v[151:154], v144 offset:16
	ds_load_b128 v[159:162], v144 offset:1040
	;; [unrolled: 1-line block ×3, first 2 shown]
	v_mov_b32_e32 v129, 0
	ds_load_b128 v[167:170], v144 offset:2064
	ds_load_b128 v[163:166], v144 offset:2048
	;; [unrolled: 1-line block ×6, first 2 shown]
	v_mov_b32_e32 v130, v129
	v_mov_b32_e32 v131, v129
	;; [unrolled: 1-line block ×7, first 2 shown]
	s_waitcnt lgkmcnt(8)
	s_delay_alu instid0(VALU_DEP_1)
	v_wmma_f32_16x16x16_bf16 v[129:136], v[121:128], v[147:154], v[129:136]
	ds_load_b128 v[125:128], v144 offset:5136
	ds_load_b128 v[121:124], v144 offset:5120
	s_waitcnt lgkmcnt(8)
	v_wmma_f32_16x16x16_bf16 v[129:136], v[113:120], v[155:162], v[129:136]
	ds_load_b128 v[117:120], v144 offset:6160
	ds_load_b128 v[113:116], v144 offset:6144
	s_waitcnt lgkmcnt(8)
	;; [unrolled: 4-line block ×8, first 2 shown]
	v_wmma_f32_16x16x16_bf16 v[129:136], v[65:72], v[97:104], v[129:136]
	s_waitcnt lgkmcnt(6)
	s_delay_alu instid0(VALU_DEP_1)
	v_wmma_f32_16x16x16_bf16 v[129:136], v[49:56], v[89:96], v[129:136]
	ds_load_b128 v[53:56], v144 offset:13328
	ds_load_b128 v[49:52], v144 offset:13312
	s_waitcnt lgkmcnt(6)
	v_wmma_f32_16x16x16_bf16 v[129:136], v[41:48], v[81:88], v[129:136]
	ds_load_b128 v[45:48], v144 offset:14352
	ds_load_b128 v[41:44], v144 offset:14336
	s_waitcnt lgkmcnt(6)
	;; [unrolled: 4-line block ×3, first 2 shown]
	v_wmma_f32_16x16x16_bf16 v[129:136], v[1:8], v[57:64], v[129:136]
	s_waitcnt lgkmcnt(4)
	s_delay_alu instid0(VALU_DEP_1) | instskip(SKIP_1) | instid1(VALU_DEP_1)
	v_wmma_f32_16x16x16_bf16 v[129:136], v[25:32], v[49:56], v[129:136]
	s_waitcnt lgkmcnt(2)
	v_wmma_f32_16x16x16_bf16 v[129:136], v[33:40], v[41:48], v[129:136]
	s_waitcnt lgkmcnt(0)
	s_delay_alu instid0(VALU_DEP_1) | instskip(NEXT) | instid1(VALU_DEP_1)
	v_wmma_f32_16x16x16_bf16 v[129:136], v[9:16], v[17:24], v[129:136]
	v_and_b32_e32 v1, 0x7f800000, v129
	s_delay_alu instid0(VALU_DEP_1) | instskip(SKIP_1) | instid1(SALU_CYCLE_1)
	v_cmp_ne_u32_e32 vcc_lo, 0x7f800000, v1
                                        ; implicit-def: $vgpr1
	s_and_saveexec_b32 s3, vcc_lo
	s_xor_b32 s3, exec_lo, s3
; %bb.79:
	v_bfe_u32 v1, v129, 16, 1
	s_delay_alu instid0(VALU_DEP_1)
	v_add3_u32 v1, v129, v1, 0x7fff
; %bb.80:
	s_and_not1_saveexec_b32 s3, s3
; %bb.81:
	v_and_b32_e32 v1, 0xffff, v129
	v_or_b32_e32 v2, 0x10000, v129
	s_delay_alu instid0(VALU_DEP_2) | instskip(NEXT) | instid1(VALU_DEP_2)
	v_cmp_eq_u32_e32 vcc_lo, 0, v1
	v_cndmask_b32_e32 v1, v2, v129, vcc_lo
; %bb.82:
	s_or_b32 exec_lo, exec_lo, s3
	v_and_b32_e32 v2, 0x7f800000, v130
	s_delay_alu instid0(VALU_DEP_1) | instskip(SKIP_1) | instid1(SALU_CYCLE_1)
	v_cmp_ne_u32_e32 vcc_lo, 0x7f800000, v2
                                        ; implicit-def: $vgpr2
	s_and_saveexec_b32 s3, vcc_lo
	s_xor_b32 s3, exec_lo, s3
; %bb.83:
	v_bfe_u32 v2, v130, 16, 1
	s_delay_alu instid0(VALU_DEP_1)
	v_add3_u32 v2, v130, v2, 0x7fff
; %bb.84:
	s_and_not1_saveexec_b32 s3, s3
; %bb.85:
	v_and_b32_e32 v2, 0xffff, v130
	v_or_b32_e32 v3, 0x10000, v130
	s_delay_alu instid0(VALU_DEP_2) | instskip(NEXT) | instid1(VALU_DEP_2)
	v_cmp_eq_u32_e32 vcc_lo, 0, v2
	v_cndmask_b32_e32 v2, v3, v130, vcc_lo
; %bb.86:
	s_or_b32 exec_lo, exec_lo, s3
	v_and_b32_e32 v3, 0x7f800000, v131
	s_delay_alu instid0(VALU_DEP_1) | instskip(SKIP_1) | instid1(SALU_CYCLE_1)
	v_cmp_ne_u32_e32 vcc_lo, 0x7f800000, v3
                                        ; implicit-def: $vgpr3
	s_and_saveexec_b32 s3, vcc_lo
	s_xor_b32 s3, exec_lo, s3
; %bb.87:
	v_bfe_u32 v3, v131, 16, 1
	s_delay_alu instid0(VALU_DEP_1)
	v_add3_u32 v3, v131, v3, 0x7fff
; %bb.88:
	s_and_not1_saveexec_b32 s3, s3
; %bb.89:
	v_and_b32_e32 v3, 0xffff, v131
	v_or_b32_e32 v4, 0x10000, v131
	s_delay_alu instid0(VALU_DEP_2) | instskip(NEXT) | instid1(VALU_DEP_2)
	v_cmp_eq_u32_e32 vcc_lo, 0, v3
	v_cndmask_b32_e32 v3, v4, v131, vcc_lo
; %bb.90:
	s_or_b32 exec_lo, exec_lo, s3
	v_and_b32_e32 v4, 0x7f800000, v132
	s_delay_alu instid0(VALU_DEP_1) | instskip(SKIP_1) | instid1(SALU_CYCLE_1)
	v_cmp_ne_u32_e32 vcc_lo, 0x7f800000, v4
                                        ; implicit-def: $vgpr4
	s_and_saveexec_b32 s3, vcc_lo
	s_xor_b32 s3, exec_lo, s3
; %bb.91:
	v_bfe_u32 v4, v132, 16, 1
	s_delay_alu instid0(VALU_DEP_1)
	v_add3_u32 v4, v132, v4, 0x7fff
; %bb.92:
	s_and_not1_saveexec_b32 s3, s3
; %bb.93:
	v_and_b32_e32 v4, 0xffff, v132
	v_or_b32_e32 v5, 0x10000, v132
	s_delay_alu instid0(VALU_DEP_2) | instskip(NEXT) | instid1(VALU_DEP_2)
	v_cmp_eq_u32_e32 vcc_lo, 0, v4
	v_cndmask_b32_e32 v4, v5, v132, vcc_lo
; %bb.94:
	s_or_b32 exec_lo, exec_lo, s3
	v_and_b32_e32 v5, 0x7f800000, v133
	s_delay_alu instid0(VALU_DEP_1) | instskip(SKIP_1) | instid1(SALU_CYCLE_1)
	v_cmp_ne_u32_e32 vcc_lo, 0x7f800000, v5
                                        ; implicit-def: $vgpr5
	s_and_saveexec_b32 s3, vcc_lo
	s_xor_b32 s3, exec_lo, s3
; %bb.95:
	v_bfe_u32 v5, v133, 16, 1
	s_delay_alu instid0(VALU_DEP_1)
	v_add3_u32 v5, v133, v5, 0x7fff
; %bb.96:
	s_and_not1_saveexec_b32 s3, s3
; %bb.97:
	v_and_b32_e32 v5, 0xffff, v133
	v_or_b32_e32 v6, 0x10000, v133
	s_delay_alu instid0(VALU_DEP_2) | instskip(NEXT) | instid1(VALU_DEP_2)
	v_cmp_eq_u32_e32 vcc_lo, 0, v5
	v_cndmask_b32_e32 v5, v6, v133, vcc_lo
; %bb.98:
	s_or_b32 exec_lo, exec_lo, s3
	v_and_b32_e32 v6, 0x7f800000, v134
	s_delay_alu instid0(VALU_DEP_1) | instskip(SKIP_1) | instid1(SALU_CYCLE_1)
	v_cmp_ne_u32_e32 vcc_lo, 0x7f800000, v6
                                        ; implicit-def: $vgpr6
	s_and_saveexec_b32 s3, vcc_lo
	s_xor_b32 s3, exec_lo, s3
; %bb.99:
	v_bfe_u32 v6, v134, 16, 1
	s_delay_alu instid0(VALU_DEP_1)
	v_add3_u32 v6, v134, v6, 0x7fff
; %bb.100:
	s_and_not1_saveexec_b32 s3, s3
; %bb.101:
	v_and_b32_e32 v6, 0xffff, v134
	v_or_b32_e32 v7, 0x10000, v134
	s_delay_alu instid0(VALU_DEP_2) | instskip(NEXT) | instid1(VALU_DEP_2)
	v_cmp_eq_u32_e32 vcc_lo, 0, v6
	v_cndmask_b32_e32 v6, v7, v134, vcc_lo
; %bb.102:
	s_or_b32 exec_lo, exec_lo, s3
	v_and_b32_e32 v7, 0x7f800000, v135
	s_delay_alu instid0(VALU_DEP_1) | instskip(SKIP_1) | instid1(SALU_CYCLE_1)
	v_cmp_ne_u32_e32 vcc_lo, 0x7f800000, v7
                                        ; implicit-def: $vgpr7
	s_and_saveexec_b32 s3, vcc_lo
	s_xor_b32 s3, exec_lo, s3
; %bb.103:
	v_bfe_u32 v7, v135, 16, 1
	s_delay_alu instid0(VALU_DEP_1)
	v_add3_u32 v7, v135, v7, 0x7fff
; %bb.104:
	s_and_not1_saveexec_b32 s3, s3
; %bb.105:
	v_and_b32_e32 v7, 0xffff, v135
	v_or_b32_e32 v8, 0x10000, v135
	s_delay_alu instid0(VALU_DEP_2) | instskip(NEXT) | instid1(VALU_DEP_2)
	v_cmp_eq_u32_e32 vcc_lo, 0, v7
	v_cndmask_b32_e32 v7, v8, v135, vcc_lo
; %bb.106:
	s_or_b32 exec_lo, exec_lo, s3
	v_and_b32_e32 v8, 0x7f800000, v136
	s_delay_alu instid0(VALU_DEP_1) | instskip(SKIP_1) | instid1(SALU_CYCLE_1)
	v_cmp_ne_u32_e32 vcc_lo, 0x7f800000, v8
                                        ; implicit-def: $vgpr8
	s_and_saveexec_b32 s3, vcc_lo
	s_xor_b32 s3, exec_lo, s3
; %bb.107:
	v_bfe_u32 v8, v136, 16, 1
	s_delay_alu instid0(VALU_DEP_1)
	v_add3_u32 v8, v136, v8, 0x7fff
                                        ; implicit-def: $vgpr129_vgpr130_vgpr131_vgpr132_vgpr133_vgpr134_vgpr135_vgpr136
; %bb.108:
	s_and_not1_saveexec_b32 s3, s3
; %bb.109:
	v_and_b32_e32 v8, 0xffff, v136
	v_or_b32_e32 v9, 0x10000, v136
	s_delay_alu instid0(VALU_DEP_2) | instskip(NEXT) | instid1(VALU_DEP_2)
	v_cmp_eq_u32_e32 vcc_lo, 0, v8
	v_cndmask_b32_e32 v8, v9, v136, vcc_lo
; %bb.110:
	s_or_b32 exec_lo, exec_lo, s3
	s_delay_alu instid0(VALU_DEP_1)
	v_perm_b32 v7, v8, v7, 0x7060302
	v_perm_b32 v6, v6, v5, 0x7060302
	;; [unrolled: 1-line block ×4, first 2 shown]
	v_lshl_or_b32 v9, v138, 4, v145
	s_barrier
	buffer_gl0_inv
	v_cmp_eq_u32_e32 vcc_lo, 1, v142
	ds_store_b128 v9, v[4:7]
	s_waitcnt lgkmcnt(0)
	s_barrier
	buffer_gl0_inv
	ds_load_b128 v[1:4], v145
	ds_load_b128 v[5:8], v145 offset:16
	v_cmp_eq_u32_e64 s4, 2, v142
	v_cmp_eq_u32_e64 s3, 1, v143
	v_cmp_eq_u32_e64 s5, 3, v142
	v_cmp_eq_u32_e64 s7, 2, v141
	v_cmp_eq_u32_e64 s6, 7, v143
	s_waitcnt lgkmcnt(1)
	v_lshrrev_b32_e32 v10, 16, v1
	s_waitcnt lgkmcnt(0)
	v_lshrrev_b32_e32 v14, 16, v5
	v_lshrrev_b32_e32 v15, 16, v6
	v_lshrrev_b32_e32 v11, 16, v2
	v_lshrrev_b32_e32 v12, 16, v3
	v_cndmask_b32_e64 v20, v1, v10, s3
	v_cndmask_b32_e32 v19, v5, v14, vcc_lo
	v_cndmask_b32_e64 v21, v5, v14, s3
	v_lshrrev_b32_e32 v16, 16, v7
	v_cmp_eq_u32_e64 s3, 1, v141
	v_lshrrev_b32_e32 v13, 16, v4
	v_cndmask_b32_e64 v19, v19, v6, s4
	v_lshrrev_b32_e32 v17, 16, v8
	s_delay_alu instid0(VALU_DEP_4) | instskip(SKIP_1) | instid1(VALU_DEP_4)
	v_cndmask_b32_e64 v22, v1, v10, s3
	v_cndmask_b32_e64 v23, v5, v14, s3
	;; [unrolled: 1-line block ×3, first 2 shown]
	v_cndmask_b32_e32 v18, v1, v10, vcc_lo
	v_cmp_eq_u32_e32 vcc_lo, 2, v143
	v_cmp_eq_u32_e64 s3, 2, v146
	v_cndmask_b32_e64 v22, v22, v2, s7
	v_cndmask_b32_e32 v20, v20, v2, vcc_lo
	v_cndmask_b32_e32 v21, v21, v6, vcc_lo
	v_cmp_eq_u32_e32 vcc_lo, 4, v142
	v_cndmask_b32_e32 v19, v19, v7, vcc_lo
	v_cndmask_b32_e64 v18, v18, v2, s4
	v_cmp_eq_u32_e64 s4, 3, v143
	s_delay_alu instid0(VALU_DEP_2) | instskip(NEXT) | instid1(VALU_DEP_2)
	v_cndmask_b32_e64 v18, v18, v11, s5
	v_cndmask_b32_e64 v21, v21, v15, s4
	v_cmp_eq_u32_e64 s5, 5, v142
	s_delay_alu instid0(VALU_DEP_3) | instskip(SKIP_1) | instid1(VALU_DEP_3)
	v_cndmask_b32_e32 v18, v18, v3, vcc_lo
	v_cmp_eq_u32_e32 vcc_lo, 4, v143
	v_cndmask_b32_e64 v19, v19, v16, s5
	s_delay_alu instid0(VALU_DEP_3) | instskip(SKIP_4) | instid1(VALU_DEP_3)
	v_cndmask_b32_e64 v18, v18, v12, s5
	v_cndmask_b32_e32 v21, v21, v7, vcc_lo
	v_cndmask_b32_e64 v20, v20, v11, s4
	v_cmp_eq_u32_e64 s4, 5, v143
	v_cmp_eq_u32_e64 s5, 6, v142
	v_cndmask_b32_e32 v20, v20, v3, vcc_lo
	s_delay_alu instid0(VALU_DEP_3) | instskip(SKIP_1) | instid1(VALU_DEP_4)
	v_cndmask_b32_e64 v21, v21, v16, s4
	v_cmp_eq_u32_e32 vcc_lo, 6, v143
	v_cndmask_b32_e64 v18, v18, v4, s5
	v_cndmask_b32_e64 v19, v19, v8, s5
	;; [unrolled: 1-line block ×3, first 2 shown]
	v_cmp_eq_u32_e64 s4, 1, v146
	v_cmp_eq_u32_e64 s5, 7, v142
	s_delay_alu instid0(VALU_DEP_3) | instskip(NEXT) | instid1(VALU_DEP_3)
	v_cndmask_b32_e32 v20, v20, v4, vcc_lo
	v_cndmask_b32_e64 v1, v1, v10, s4
	v_cndmask_b32_e64 v5, v5, v14, s4
	v_cmp_eq_u32_e64 s4, 3, v141
	v_cndmask_b32_e64 v14, v23, v6, s7
	v_cmp_eq_u32_e64 s7, 3, v146
	v_cndmask_b32_e64 v1, v1, v2, s3
	v_cndmask_b32_e64 v2, v5, v6, s3
	;; [unrolled: 1-line block ×3, first 2 shown]
	v_cmp_eq_u32_e64 s3, 4, v141
	v_cndmask_b32_e64 v6, v14, v15, s4
	v_cndmask_b32_e64 v1, v1, v11, s7
	v_cmp_eq_u32_e64 s4, 4, v146
	v_cndmask_b32_e64 v2, v2, v15, s7
	v_cndmask_b32_e64 v5, v10, v3, s3
	;; [unrolled: 3-line block ×3, first 2 shown]
	v_cndmask_b32_e64 v2, v2, v7, s4
	v_cmp_eq_u32_e64 s3, 5, v146
	v_cndmask_b32_e64 v5, v5, v12, s7
	v_cmp_eq_u32_e64 s4, 6, v141
	v_cndmask_b32_e64 v3, v6, v16, s7
	v_cmp_eq_u32_e64 s7, 6, v146
	v_cndmask_b32_e64 v1, v1, v12, s3
	v_cndmask_b32_e64 v2, v2, v16, s3
	v_cndmask_b32_e64 v5, v5, v4, s4
	v_cndmask_b32_e64 v3, v3, v8, s4
	v_cmp_eq_u32_e64 s3, 7, v146
	v_cndmask_b32_e64 v1, v1, v4, s7
	v_cndmask_b32_e64 v2, v2, v8, s7
	v_cmp_eq_u32_e64 s4, 7, v141
	v_cndmask_b32_e32 v4, v21, v8, vcc_lo
	v_cndmask_b32_e64 v18, v18, v13, s5
	v_cndmask_b32_e64 v20, v20, v13, s6
	v_cndmask_b32_e64 v1, v1, v13, s3
	v_cndmask_b32_e64 v5, v5, v13, s4
	v_cndmask_b32_e64 v2, v2, v17, s3
	v_cndmask_b32_e64 v3, v3, v17, s4
	v_cndmask_b32_e64 v6, v4, v17, s6
	v_cndmask_b32_e64 v7, v19, v17, s5
	s_mov_b32 s3, exec_lo
	v_perm_b32 v4, v2, v1, 0x5040100
	v_perm_b32 v3, v3, v5, 0x5040100
	;; [unrolled: 1-line block ×4, first 2 shown]
	ds_store_b128 v9, v[1:4]
	s_waitcnt lgkmcnt(0)
	s_barrier
	buffer_gl0_inv
	v_cmpx_gt_u32_e32 32, v0
	s_cbranch_execz .LBB628_2
; %bb.111:
	s_load_b64 s[4:5], s[0:1], 0x68
	v_add_nc_u32_e32 v20, s31, v138
	v_lshlrev_b32_e32 v0, 10, v0
	v_lshlrev_b32_e32 v1, 4, v139
	s_lshl_b32 s0, s34, 7
	s_delay_alu instid0(SALU_CYCLE_1)
	s_mul_i32 s1, s0, s30
	v_add_nc_u32_e32 v2, 2, v20
	s_mul_i32 s6, s1, s8
	v_and_or_b32 v0, 0x3800, v0, v1
	v_mul_lo_u32 v1, v20, s0
	s_ashr_i32 s7, s6, 31
	v_mul_lo_u32 v11, v2, s0
	s_lshl_b64 s[6:7], s[6:7], 1
	v_add_nc_u32_e32 v3, 4, v20
	v_lshl_or_b32 v21, v138, 6, v0
	v_add_nc_u32_e32 v16, 6, v20
	v_ashrrev_i32_e32 v2, 31, v1
	s_delay_alu instid0(VALU_DEP_4)
	v_mul_lo_u32 v13, v3, s0
	s_waitcnt lgkmcnt(0)
	s_add_u32 s1, s4, s6
	s_addc_u32 s3, s5, s7
	s_lshl_b32 s4, s14, 7
	ds_load_b128 v[3:6], v21
	ds_load_b128 v[7:10], v21 offset:128
	s_ashr_i32 s5, s4, 31
	v_ashrrev_i32_e32 v12, 31, v11
	s_lshl_b64 s[4:5], s[4:5], 1
	v_lshlrev_b64 v[14:15], 1, v[1:2]
	s_add_u32 s1, s1, s4
	s_addc_u32 s3, s3, s5
	v_add_co_u32 v1, s1, s1, v137
	s_delay_alu instid0(VALU_DEP_1) | instskip(SKIP_1) | instid1(VALU_DEP_3)
	v_add_co_ci_u32_e64 v2, null, s3, 0, s1
	v_lshlrev_b64 v[11:12], 1, v[11:12]
	v_add_co_u32 v18, vcc_lo, v1, v14
	v_mul_lo_u32 v16, v16, s0
	s_delay_alu instid0(VALU_DEP_4) | instskip(NEXT) | instid1(VALU_DEP_4)
	v_add_co_ci_u32_e32 v19, vcc_lo, v2, v15, vcc_lo
	v_add_co_u32 v11, vcc_lo, v1, v11
	v_ashrrev_i32_e32 v14, 31, v13
	v_add_co_ci_u32_e32 v12, vcc_lo, v2, v12, vcc_lo
	v_add_nc_u32_e32 v15, 8, v20
	v_ashrrev_i32_e32 v17, 31, v16
	s_waitcnt lgkmcnt(1)
	global_store_b128 v[18:19], v[3:6], off
	v_lshlrev_b64 v[3:4], 1, v[13:14]
	s_waitcnt lgkmcnt(0)
	global_store_b128 v[11:12], v[7:10], off
	v_mul_lo_u32 v11, v15, s0
	v_add_nc_u32_e32 v7, 10, v20
	v_lshlrev_b64 v[5:6], 1, v[16:17]
	v_add_co_u32 v23, vcc_lo, v1, v3
	v_add_nc_u32_e32 v3, 12, v20
	s_delay_alu instid0(VALU_DEP_4)
	v_mul_lo_u32 v25, v7, s0
	v_ashrrev_i32_e32 v12, 31, v11
	v_add_co_ci_u32_e32 v24, vcc_lo, v2, v4, vcc_lo
	v_add_co_u32 v27, vcc_lo, v1, v5
	v_mul_lo_u32 v29, v3, s0
	v_add_co_ci_u32_e32 v28, vcc_lo, v2, v6, vcc_lo
	ds_load_b128 v[3:6], v21 offset:256
	ds_load_b128 v[7:10], v21 offset:384
	v_lshlrev_b64 v[31:32], 1, v[11:12]
	ds_load_b128 v[11:14], v21 offset:512
	ds_load_b128 v[15:18], v21 offset:640
	;; [unrolled: 1-line block ×3, first 2 shown]
	v_ashrrev_i32_e32 v26, 31, v25
	v_ashrrev_i32_e32 v30, 31, v29
	v_add_co_u32 v31, vcc_lo, v1, v31
	s_delay_alu instid0(VALU_DEP_3) | instskip(NEXT) | instid1(VALU_DEP_3)
	v_lshlrev_b64 v[25:26], 1, v[25:26]
	v_lshlrev_b64 v[29:30], 1, v[29:30]
	v_add_co_ci_u32_e32 v32, vcc_lo, v2, v32, vcc_lo
	s_delay_alu instid0(VALU_DEP_3) | instskip(NEXT) | instid1(VALU_DEP_4)
	v_add_co_u32 v25, vcc_lo, v1, v25
	v_add_co_ci_u32_e32 v26, vcc_lo, v2, v26, vcc_lo
	s_delay_alu instid0(VALU_DEP_4)
	v_add_co_u32 v29, vcc_lo, v1, v29
	v_add_co_ci_u32_e32 v30, vcc_lo, v2, v30, vcc_lo
	s_waitcnt lgkmcnt(4)
	global_store_b128 v[23:24], v[3:6], off
	s_waitcnt lgkmcnt(3)
	global_store_b128 v[27:28], v[7:10], off
	;; [unrolled: 2-line block ×5, first 2 shown]
	s_and_b32 exec_lo, exec_lo, s2
	s_cbranch_execz .LBB628_2
; %bb.112:
	ds_load_b128 v[3:6], v0 offset:896
	s_add_i32 s1, s31, 14
	s_delay_alu instid0(SALU_CYCLE_1) | instskip(NEXT) | instid1(SALU_CYCLE_1)
	s_mul_i32 s0, s1, s0
	s_ashr_i32 s1, s0, 31
	s_delay_alu instid0(SALU_CYCLE_1) | instskip(NEXT) | instid1(SALU_CYCLE_1)
	s_lshl_b64 s[0:1], s[0:1], 1
	v_add_co_u32 v0, vcc_lo, v1, s0
	v_add_co_ci_u32_e32 v1, vcc_lo, s1, v2, vcc_lo
	s_waitcnt lgkmcnt(0)
	global_store_b128 v[0:1], v[3:6], off
	s_nop 0
	s_sendmsg sendmsg(MSG_DEALLOC_VGPRS)
	s_endpgm
	.section	.rodata,"a",@progbits
	.p2align	6, 0x0
	.amdhsa_kernel _Z39paged_attention_ll4mi_QKV_mfma16_kernelI14__hip_bfloat16S0_LN4vllm18Fp8KVCacheDataTypeE0EhLi16ELi128ELi256ELb0ELi15EL8MFMAType0EEvPKT_PKT0_S9_ifPKiSB_SB_iPKfiiiPfSE_PS4_PT2_iSD_SD_
		.amdhsa_group_segment_fixed_size 17472
		.amdhsa_private_segment_fixed_size 0
		.amdhsa_kernarg_size 400
		.amdhsa_user_sgpr_count 13
		.amdhsa_user_sgpr_dispatch_ptr 0
		.amdhsa_user_sgpr_queue_ptr 0
		.amdhsa_user_sgpr_kernarg_segment_ptr 1
		.amdhsa_user_sgpr_dispatch_id 0
		.amdhsa_user_sgpr_private_segment_size 0
		.amdhsa_wavefront_size32 1
		.amdhsa_uses_dynamic_stack 0
		.amdhsa_enable_private_segment 0
		.amdhsa_system_sgpr_workgroup_id_x 1
		.amdhsa_system_sgpr_workgroup_id_y 1
		.amdhsa_system_sgpr_workgroup_id_z 1
		.amdhsa_system_sgpr_workgroup_info 0
		.amdhsa_system_vgpr_workitem_id 0
		.amdhsa_next_free_vgpr 218
		.amdhsa_next_free_sgpr 50
		.amdhsa_reserve_vcc 1
		.amdhsa_float_round_mode_32 0
		.amdhsa_float_round_mode_16_64 0
		.amdhsa_float_denorm_mode_32 3
		.amdhsa_float_denorm_mode_16_64 3
		.amdhsa_dx10_clamp 1
		.amdhsa_ieee_mode 1
		.amdhsa_fp16_overflow 0
		.amdhsa_workgroup_processor_mode 1
		.amdhsa_memory_ordered 1
		.amdhsa_forward_progress 0
		.amdhsa_shared_vgpr_count 0
		.amdhsa_exception_fp_ieee_invalid_op 0
		.amdhsa_exception_fp_denorm_src 0
		.amdhsa_exception_fp_ieee_div_zero 0
		.amdhsa_exception_fp_ieee_overflow 0
		.amdhsa_exception_fp_ieee_underflow 0
		.amdhsa_exception_fp_ieee_inexact 0
		.amdhsa_exception_int_div_zero 0
	.end_amdhsa_kernel
	.section	.text._Z39paged_attention_ll4mi_QKV_mfma16_kernelI14__hip_bfloat16S0_LN4vllm18Fp8KVCacheDataTypeE0EhLi16ELi128ELi256ELb0ELi15EL8MFMAType0EEvPKT_PKT0_S9_ifPKiSB_SB_iPKfiiiPfSE_PS4_PT2_iSD_SD_,"axG",@progbits,_Z39paged_attention_ll4mi_QKV_mfma16_kernelI14__hip_bfloat16S0_LN4vllm18Fp8KVCacheDataTypeE0EhLi16ELi128ELi256ELb0ELi15EL8MFMAType0EEvPKT_PKT0_S9_ifPKiSB_SB_iPKfiiiPfSE_PS4_PT2_iSD_SD_,comdat
.Lfunc_end628:
	.size	_Z39paged_attention_ll4mi_QKV_mfma16_kernelI14__hip_bfloat16S0_LN4vllm18Fp8KVCacheDataTypeE0EhLi16ELi128ELi256ELb0ELi15EL8MFMAType0EEvPKT_PKT0_S9_ifPKiSB_SB_iPKfiiiPfSE_PS4_PT2_iSD_SD_, .Lfunc_end628-_Z39paged_attention_ll4mi_QKV_mfma16_kernelI14__hip_bfloat16S0_LN4vllm18Fp8KVCacheDataTypeE0EhLi16ELi128ELi256ELb0ELi15EL8MFMAType0EEvPKT_PKT0_S9_ifPKiSB_SB_iPKfiiiPfSE_PS4_PT2_iSD_SD_
                                        ; -- End function
	.section	.AMDGPU.csdata,"",@progbits
; Kernel info:
; codeLenInByte = 10508
; NumSgprs: 52
; NumVgprs: 218
; ScratchSize: 0
; MemoryBound: 0
; FloatMode: 240
; IeeeMode: 1
; LDSByteSize: 17472 bytes/workgroup (compile time only)
; SGPRBlocks: 6
; VGPRBlocks: 27
; NumSGPRsForWavesPerEU: 52
; NumVGPRsForWavesPerEU: 218
; Occupancy: 6
; WaveLimiterHint : 1
; COMPUTE_PGM_RSRC2:SCRATCH_EN: 0
; COMPUTE_PGM_RSRC2:USER_SGPR: 13
; COMPUTE_PGM_RSRC2:TRAP_HANDLER: 0
; COMPUTE_PGM_RSRC2:TGID_X_EN: 1
; COMPUTE_PGM_RSRC2:TGID_Y_EN: 1
; COMPUTE_PGM_RSRC2:TGID_Z_EN: 1
; COMPUTE_PGM_RSRC2:TIDIG_COMP_CNT: 0
	.section	.text._Z39paged_attention_ll4mi_QKV_mfma16_kernelI14__hip_bfloat16S0_LN4vllm18Fp8KVCacheDataTypeE0EhLi16ELi128ELi256ELb0ELi16EL8MFMAType0EEvPKT_PKT0_S9_ifPKiSB_SB_iPKfiiiPfSE_PS4_PT2_iSD_SD_,"axG",@progbits,_Z39paged_attention_ll4mi_QKV_mfma16_kernelI14__hip_bfloat16S0_LN4vllm18Fp8KVCacheDataTypeE0EhLi16ELi128ELi256ELb0ELi16EL8MFMAType0EEvPKT_PKT0_S9_ifPKiSB_SB_iPKfiiiPfSE_PS4_PT2_iSD_SD_,comdat
	.protected	_Z39paged_attention_ll4mi_QKV_mfma16_kernelI14__hip_bfloat16S0_LN4vllm18Fp8KVCacheDataTypeE0EhLi16ELi128ELi256ELb0ELi16EL8MFMAType0EEvPKT_PKT0_S9_ifPKiSB_SB_iPKfiiiPfSE_PS4_PT2_iSD_SD_ ; -- Begin function _Z39paged_attention_ll4mi_QKV_mfma16_kernelI14__hip_bfloat16S0_LN4vllm18Fp8KVCacheDataTypeE0EhLi16ELi128ELi256ELb0ELi16EL8MFMAType0EEvPKT_PKT0_S9_ifPKiSB_SB_iPKfiiiPfSE_PS4_PT2_iSD_SD_
	.globl	_Z39paged_attention_ll4mi_QKV_mfma16_kernelI14__hip_bfloat16S0_LN4vllm18Fp8KVCacheDataTypeE0EhLi16ELi128ELi256ELb0ELi16EL8MFMAType0EEvPKT_PKT0_S9_ifPKiSB_SB_iPKfiiiPfSE_PS4_PT2_iSD_SD_
	.p2align	8
	.type	_Z39paged_attention_ll4mi_QKV_mfma16_kernelI14__hip_bfloat16S0_LN4vllm18Fp8KVCacheDataTypeE0EhLi16ELi128ELi256ELb0ELi16EL8MFMAType0EEvPKT_PKT0_S9_ifPKiSB_SB_iPKfiiiPfSE_PS4_PT2_iSD_SD_,@function
_Z39paged_attention_ll4mi_QKV_mfma16_kernelI14__hip_bfloat16S0_LN4vllm18Fp8KVCacheDataTypeE0EhLi16ELi128ELi256ELb0ELi16EL8MFMAType0EEvPKT_PKT0_S9_ifPKiSB_SB_iPKfiiiPfSE_PS4_PT2_iSD_SD_: ; @_Z39paged_attention_ll4mi_QKV_mfma16_kernelI14__hip_bfloat16S0_LN4vllm18Fp8KVCacheDataTypeE0EhLi16ELi128ELi256ELb0ELi16EL8MFMAType0EEvPKT_PKT0_S9_ifPKiSB_SB_iPKfiiiPfSE_PS4_PT2_iSD_SD_
; %bb.0:
	s_load_b64 s[4:5], s[0:1], 0x30
	s_mov_b32 s30, s13
	s_waitcnt lgkmcnt(0)
	s_cmp_lg_u64 s[4:5], 0
	s_cselect_b32 s12, -1, 0
	s_ashr_i32 s31, s13, 31
	s_cmp_eq_u64 s[4:5], 0
	s_cbranch_scc1 .LBB629_3
; %bb.1:
	s_lshl_b64 s[2:3], s[30:31], 2
	s_delay_alu instid0(SALU_CYCLE_1) | instskip(SKIP_4) | instid1(SALU_CYCLE_1)
	s_add_u32 s2, s4, s2
	s_addc_u32 s3, s5, s3
	s_load_b64 s[2:3], s[2:3], 0x0
	s_waitcnt lgkmcnt(0)
	s_sub_i32 s2, s3, s2
	s_cmp_eq_u32 s2, 1
	s_cselect_b32 s2, -1, 0
	s_delay_alu instid0(SALU_CYCLE_1)
	s_and_not1_b32 vcc_lo, exec_lo, s2
	s_cbranch_vccz .LBB629_4
.LBB629_2:
	s_endpgm
.LBB629_3:
.LBB629_4:
	s_load_b64 s[2:3], s[0:1], 0x28
	s_lshl_b64 s[6:7], s[30:31], 2
	s_waitcnt lgkmcnt(0)
	s_add_u32 s2, s2, s6
	s_addc_u32 s3, s3, s7
	s_lshl_b32 s31, s14, 8
	s_load_b32 s28, s[2:3], 0x0
	s_waitcnt lgkmcnt(0)
	s_cmp_ge_i32 s31, s28
	s_cbranch_scc1 .LBB629_2
; %bb.5:
	s_clause 0x1
	s_load_b128 s[8:11], s[0:1], 0x8
	s_load_b64 s[2:3], s[0:1], 0x20
	s_and_not1_b32 vcc_lo, exec_lo, s12
	s_cbranch_vccnz .LBB629_7
; %bb.6:
	s_add_u32 s4, s4, s6
	s_addc_u32 s5, s5, s7
	s_load_b32 s12, s[4:5], 0x0
	s_branch .LBB629_8
.LBB629_7:
	s_mov_b32 s12, s30
.LBB629_8:
	s_load_b128 s[4:7], s[0:1], 0x48
	v_and_b32_e32 v142, 15, v0
	v_lshrrev_b32_e32 v140, 5, v0
	v_and_b32_e32 v143, 31, v0
	v_and_b32_e32 v139, 1, v0
	v_bfe_u32 v138, v0, 4, 1
	v_lshlrev_b32_e32 v1, 3, v142
	s_lshl_b32 s29, s15, 4
	s_waitcnt lgkmcnt(0)
	s_mov_b32 s7, exec_lo
	s_delay_alu instid0(VALU_DEP_1)
	v_lshlrev_b32_e32 v137, 1, v1
	v_cmpx_gt_u32_e32 0x100, v0
	s_cbranch_execz .LBB629_10
; %bb.9:
	v_lshl_or_b32 v5, v140, 1, v138
	s_load_b64 s[16:17], s[0:1], 0x0
	s_mul_hi_i32 s13, s12, s4
	s_mul_i32 s12, s12, s4
	v_lshlrev_b32_e32 v6, 10, v142
	v_or_b32_e32 v1, s29, v5
	s_lshl_b64 s[12:13], s[12:13], 1
	v_lshlrev_b32_e32 v5, 6, v5
	v_lshlrev_b32_e32 v7, 10, v139
	v_and_b32_e32 v6, 0x3800, v6
	v_lshlrev_b32_e32 v1, 7, v1
	s_delay_alu instid0(VALU_DEP_2) | instskip(NEXT) | instid1(VALU_DEP_2)
	v_or3_b32 v5, v6, v7, v5
	v_ashrrev_i32_e32 v2, 31, v1
	s_delay_alu instid0(VALU_DEP_1) | instskip(SKIP_3) | instid1(VALU_DEP_1)
	v_lshlrev_b64 v[1:2], 1, v[1:2]
	s_waitcnt lgkmcnt(0)
	s_add_u32 s4, s16, s12
	s_addc_u32 s12, s17, s13
	v_add_co_u32 v1, vcc_lo, s4, v1
	s_delay_alu instid0(VALU_DEP_2) | instskip(NEXT) | instid1(VALU_DEP_2)
	v_add_co_ci_u32_e32 v2, vcc_lo, s12, v2, vcc_lo
	v_add_co_u32 v1, vcc_lo, v1, v137
	s_delay_alu instid0(VALU_DEP_2)
	v_add_co_ci_u32_e32 v2, vcc_lo, 0, v2, vcc_lo
	global_load_b128 v[1:4], v[1:2], off
	s_waitcnt vmcnt(0)
	ds_store_b128 v5, v[1:4]
.LBB629_10:
	s_or_b32 exec_lo, exec_lo, s7
	s_mov_b32 s36, 0
	s_add_i32 s4, s28, 15
	s_mov_b32 s37, s36
	s_mov_b32 s38, s36
	;; [unrolled: 1-line block ×7, first 2 shown]
	s_delay_alu instid0(SALU_CYCLE_1)
	v_dual_mov_b32 v136, s43 :: v_dual_and_b32 v1, 0xef, v0
	v_mov_b32_e32 v134, s41
	s_clause 0x1
	s_load_b32 s7, s[0:1], 0x38
	s_load_b32 s33, s[0:1], 0x1c
	v_add_nc_u32_e32 v1, s31, v1
	s_ashr_i32 s12, s4, 31
	s_waitcnt lgkmcnt(0)
	s_lshr_b32 s12, s12, 28
	s_barrier
	v_ashrrev_i32_e32 v2, 31, v1
	s_add_i32 s4, s4, s12
	v_cmp_gt_i32_e32 vcc_lo, s28, v1
	v_mov_b32_e32 v135, s42
	s_ashr_i32 s4, s4, 4
	v_lshrrev_b32_e32 v3, 28, v2
	v_or_b32_e32 v2, 16, v1
	s_add_i32 s4, s4, -1
	v_mov_b32_e32 v132, s39
	buffer_gl0_inv
	v_add_nc_u32_e32 v4, v1, v3
	v_add_nc_u32_e32 v3, v2, v3
	v_lshlrev_b32_e32 v141, 6, v142
	s_mul_i32 s12, s30, s7
	v_mov_b32_e32 v133, s40
	v_ashrrev_i32_e32 v4, 4, v4
	v_ashrrev_i32_e32 v3, 4, v3
	s_ashr_i32 s13, s12, 31
	v_mov_b32_e32 v131, s38
	s_lshl_b64 s[12:13], s[12:13], 2
	v_cndmask_b32_e32 v1, s4, v4, vcc_lo
	v_cmp_gt_i32_e32 vcc_lo, s28, v2
	s_add_u32 s34, s2, s12
	s_addc_u32 s35, s3, s13
	s_mul_i32 s2, s15, s6
	v_ashrrev_i32_e32 v2, 31, v1
	v_cndmask_b32_e32 v3, s4, v3, vcc_lo
	s_ashr_i32 s3, s2, 31
	v_mov_b32_e32 v129, s36
	s_lshl_b64 s[2:3], s[2:3], 1
	v_lshlrev_b64 v[1:2], 2, v[1:2]
	v_ashrrev_i32_e32 v4, 31, v3
	s_add_u32 s22, s8, s2
	s_addc_u32 s23, s9, s3
	s_lshl_b32 s6, s14, 4
	v_lshlrev_b32_e32 v125, 5, v142
	v_lshlrev_b64 v[3:4], 2, v[3:4]
	v_add_co_u32 v1, vcc_lo, s34, v1
	v_add_co_ci_u32_e32 v2, vcc_lo, s35, v2, vcc_lo
	s_ashr_i32 s7, s6, 31
	s_delay_alu instid0(VALU_DEP_3) | instskip(NEXT) | instid1(VALU_DEP_4)
	v_add_co_u32 v3, vcc_lo, s34, v3
	v_add_co_ci_u32_e32 v4, vcc_lo, s35, v4, vcc_lo
	s_clause 0x1
	global_load_b32 v5, v[1:2], off
	global_load_b32 v6, v[3:4], off
	s_lshl_b64 s[6:7], s[6:7], 2
	v_dual_mov_b32 v130, s37 :: v_dual_lshlrev_b32 v3, 4, v0
	s_add_u32 s6, s34, s6
	s_addc_u32 s7, s35, s7
	s_or_b32 s8, s31, 16
	v_lshl_or_b32 v125, v140, 9, v125
	s_ashr_i32 s9, s8, 4
	s_cmp_lt_i32 s8, s28
	s_cselect_b32 s8, s9, s4
	s_delay_alu instid0(SALU_CYCLE_1) | instskip(NEXT) | instid1(SALU_CYCLE_1)
	s_ashr_i32 s9, s8, 31
	s_lshl_b64 s[8:9], s[8:9], 2
	s_delay_alu instid0(SALU_CYCLE_1) | instskip(SKIP_2) | instid1(SALU_CYCLE_1)
	s_add_u32 s8, s34, s8
	s_addc_u32 s9, s35, s9
	s_or_b32 s12, s31, 32
	s_ashr_i32 s13, s12, 4
	s_cmp_lt_i32 s12, s28
	s_cselect_b32 s12, s13, s4
	s_delay_alu instid0(SALU_CYCLE_1) | instskip(NEXT) | instid1(SALU_CYCLE_1)
	s_ashr_i32 s13, s12, 31
	s_lshl_b64 s[12:13], s[12:13], 2
	s_delay_alu instid0(SALU_CYCLE_1) | instskip(SKIP_2) | instid1(SALU_CYCLE_1)
	s_add_u32 s12, s34, s12
	s_addc_u32 s13, s35, s13
	s_or_b32 s15, s31, 48
	;; [unrolled: 10-line block ×4, first 2 shown]
	s_ashr_i32 s20, s15, 4
	s_cmp_lt_i32 s15, s28
	s_cselect_b32 s20, s20, s4
	s_delay_alu instid0(SALU_CYCLE_1) | instskip(NEXT) | instid1(SALU_CYCLE_1)
	s_ashr_i32 s21, s20, 31
	s_lshl_b64 s[20:21], s[20:21], 2
	s_delay_alu instid0(SALU_CYCLE_1)
	s_add_u32 s20, s34, s20
	s_addc_u32 s21, s35, s21
	s_clause 0x5
	s_load_b32 s6, s[6:7], 0x0
	s_load_b32 s8, s[8:9], 0x0
	;; [unrolled: 1-line block ×6, first 2 shown]
	s_waitcnt vmcnt(1)
	v_mad_i64_i32 v[1:2], null, v5, s5, 0
	v_and_b32_e32 v5, 0xf0, v3
	s_waitcnt vmcnt(0)
	v_mad_i64_i32 v[3:4], null, v6, s5, 0
	s_delay_alu instid0(VALU_DEP_2) | instskip(NEXT) | instid1(VALU_DEP_4)
	v_add_co_u32 v5, s7, s22, v5
	v_lshlrev_b64 v[1:2], 1, v[1:2]
	v_add_co_ci_u32_e64 v6, null, s23, 0, s7
	s_delay_alu instid0(VALU_DEP_4) | instskip(SKIP_1) | instid1(VALU_DEP_3)
	v_lshlrev_b64 v[3:4], 1, v[3:4]
	s_or_b32 s7, s31, 0x60
	v_add_co_u32 v121, vcc_lo, v5, v1
	s_delay_alu instid0(VALU_DEP_3) | instskip(NEXT) | instid1(VALU_DEP_3)
	v_add_co_ci_u32_e32 v122, vcc_lo, v6, v2, vcc_lo
	v_add_co_u32 v123, vcc_lo, v5, v3
	s_delay_alu instid0(VALU_DEP_4)
	v_add_co_ci_u32_e32 v124, vcc_lo, v6, v4, vcc_lo
	s_clause 0x19
	global_load_b128 v[89:92], v[121:122], off
	global_load_b128 v[93:96], v[121:122], off offset:256
	global_load_b128 v[97:100], v[123:124], off
	global_load_b128 v[101:104], v[123:124], off offset:256
	global_load_b128 v[81:84], v[121:122], off offset:512
	;; [unrolled: 1-line block ×23, first 2 shown]
	s_ashr_i32 s9, s7, 4
	s_cmp_lt_i32 s7, s28
	ds_load_b128 v[105:108], v141
	ds_load_b128 v[109:112], v141 offset:1024
	s_cselect_b32 s20, s9, s4
	ds_load_b128 v[113:116], v141 offset:2048
	ds_load_b128 v[117:120], v141 offset:3072
	s_ashr_i32 s21, s20, 31
	ds_load_b128 v[144:147], v141 offset:4096
	ds_load_b128 v[148:151], v141 offset:5120
	s_lshl_b64 s[20:21], s[20:21], 2
	ds_load_b128 v[152:155], v141 offset:6144
	ds_load_b128 v[156:159], v141 offset:7168
	s_add_u32 s20, s34, s20
	s_addc_u32 s21, s35, s21
	s_or_b32 s7, s31, 0x70
	ds_load_b128 v[160:163], v141 offset:8192
	ds_load_b128 v[164:167], v141 offset:9216
	s_ashr_i32 s9, s7, 4
	s_cmp_lt_i32 s7, s28
	s_clause 0x1
	global_load_b128 v[168:171], v[123:124], off offset:3072
	global_load_b128 v[172:175], v[123:124], off offset:3328
	s_cselect_b32 s22, s9, s4
	s_delay_alu instid0(SALU_CYCLE_1) | instskip(NEXT) | instid1(SALU_CYCLE_1)
	s_ashr_i32 s23, s22, 31
	s_lshl_b64 s[22:23], s[22:23], 2
	s_delay_alu instid0(SALU_CYCLE_1)
	s_add_u32 s22, s34, s22
	s_addc_u32 s23, s35, s23
	s_clause 0x1
	s_load_b32 s42, s[20:21], 0x0
	s_load_b32 s43, s[22:23], 0x0
	s_clause 0x3
	global_load_b128 v[176:179], v[121:122], off offset:3584
	global_load_b128 v[180:183], v[121:122], off offset:3840
	;; [unrolled: 1-line block ×4, first 2 shown]
	s_or_b32 s7, s31, 0x80
	s_delay_alu instid0(SALU_CYCLE_1) | instskip(SKIP_2) | instid1(SALU_CYCLE_1)
	s_ashr_i32 s9, s7, 4
	s_cmp_lt_i32 s7, s28
	s_cselect_b32 s24, s9, s4
	s_ashr_i32 s25, s24, 31
	s_delay_alu instid0(SALU_CYCLE_1) | instskip(NEXT) | instid1(SALU_CYCLE_1)
	s_lshl_b64 s[24:25], s[24:25], 2
	s_add_u32 s24, s34, s24
	s_addc_u32 s25, s35, s25
	s_or_b32 s7, s31, 0x90
	s_load_b32 s44, s[24:25], 0x0
	s_ashr_i32 s9, s7, 4
	s_cmp_lt_i32 s7, s28
	s_cselect_b32 s26, s9, s4
	s_delay_alu instid0(SALU_CYCLE_1) | instskip(NEXT) | instid1(SALU_CYCLE_1)
	s_ashr_i32 s27, s26, 31
	s_lshl_b64 s[26:27], s[26:27], 2
	s_delay_alu instid0(SALU_CYCLE_1) | instskip(SKIP_2) | instid1(SALU_CYCLE_1)
	s_add_u32 s26, s34, s26
	s_addc_u32 s27, s35, s27
	s_or_b32 s7, s31, 0xa0
	s_ashr_i32 s9, s7, 4
	s_cmp_lt_i32 s7, s28
	s_waitcnt lgkmcnt(0)
	s_mul_hi_i32 s7, s6, s5
	s_cselect_b32 s36, s9, s4
	s_mul_i32 s6, s6, s5
	s_ashr_i32 s37, s36, 31
	s_delay_alu instid0(SALU_CYCLE_1) | instskip(NEXT) | instid1(SALU_CYCLE_1)
	s_lshl_b64 s[36:37], s[36:37], 2
	s_add_u32 s36, s34, s36
	s_addc_u32 s37, s35, s37
	s_or_b32 s9, s31, 0xb0
	s_delay_alu instid0(SALU_CYCLE_1)
	s_ashr_i32 s13, s9, 4
	s_cmp_lt_i32 s9, s28
	s_mul_hi_i32 s9, s8, s5
	s_cselect_b32 s38, s13, s4
	s_mul_i32 s8, s8, s5
	s_ashr_i32 s39, s38, 31
	s_mul_hi_i32 s13, s12, s5
	s_lshl_b64 s[38:39], s[38:39], 2
	s_mul_i32 s12, s12, s5
	s_add_u32 s40, s34, s38
	s_addc_u32 s41, s35, s39
	s_or_b32 s17, s31, 0xc0
	s_delay_alu instid0(SALU_CYCLE_1)
	s_ashr_i32 s19, s17, 4
	s_cmp_lt_i32 s17, s28
	s_mul_hi_i32 s17, s16, s5
	s_cselect_b32 s38, s19, s4
	s_mul_i32 s16, s16, s5
	s_ashr_i32 s39, s38, 31
	s_mul_hi_i32 s19, s18, s5
	s_lshl_b64 s[38:39], s[38:39], 2
	s_mul_i32 s18, s18, s5
	s_add_u32 s22, s34, s38
	s_addc_u32 s23, s35, s39
	s_clause 0x1
	s_load_b32 s39, s[26:27], 0x0
	s_load_b32 s38, s[36:37], 0x0
	s_or_b32 s20, s31, 0xd0
	s_mul_hi_i32 s27, s44, s5
	s_ashr_i32 s21, s20, 4
	s_cmp_lt_i32 s20, s28
	s_mul_i32 s20, s15, s5
	s_cselect_b32 s24, s21, s4
	s_mul_hi_i32 s21, s15, s5
	s_ashr_i32 s25, s24, 31
	s_mul_i32 s26, s44, s5
	s_lshl_b64 s[24:25], s[24:25], 2
	s_delay_alu instid0(SALU_CYCLE_1)
	s_add_u32 s24, s34, s24
	s_addc_u32 s25, s35, s25
	s_or_b32 s45, s31, 0xe0
	s_clause 0x2
	s_load_b32 s37, s[40:41], 0x0
	s_load_b32 s36, s[22:23], 0x0
	;; [unrolled: 1-line block ×3, first 2 shown]
	s_ashr_i32 s46, s45, 4
	s_cmp_lt_i32 s45, s28
	s_mul_hi_i32 s23, s42, s5
	s_mul_i32 s22, s42, s5
	s_cselect_b32 s42, s46, s4
	s_mul_hi_i32 s25, s43, s5
	s_mul_i32 s24, s43, s5
	s_ashr_i32 s43, s42, 31
	s_waitcnt lgkmcnt(0)
	s_mul_hi_i32 s41, s39, s5
	s_lshl_b64 s[42:43], s[42:43], 2
	s_mul_i32 s40, s39, s5
	s_add_u32 s42, s34, s42
	s_addc_u32 s43, s35, s43
	s_or_b32 s44, s31, 0xf0
	s_mul_hi_i32 s39, s38, s5
	s_ashr_i32 s46, s44, 4
	s_cmp_lt_i32 s44, s28
	s_mul_i32 s38, s38, s5
	s_cselect_b32 s46, s46, s4
	s_mul_hi_i32 s49, s15, s5
	s_ashr_i32 s47, s46, 31
	s_mul_i32 s48, s15, s5
	s_lshl_b64 s[46:47], s[46:47], 2
	s_mul_hi_i32 s45, s37, s5
	s_add_u32 s34, s34, s46
	s_addc_u32 s35, s35, s47
	s_add_u32 s4, s10, s2
	s_addc_u32 s15, s11, s3
	v_add_co_u32 v216, s4, s4, v125
	s_delay_alu instid0(VALU_DEP_1) | instskip(SKIP_2) | instid1(VALU_DEP_2)
	v_add_co_ci_u32_e64 v217, null, s15, 0, s4
	s_lshl_b64 s[2:3], s[6:7], 1
	s_lshl_b64 s[6:7], s[8:9], 1
	v_add_co_u32 v125, vcc_lo, v216, s2
	s_delay_alu instid0(VALU_DEP_2)
	v_add_co_ci_u32_e32 v126, vcc_lo, s3, v217, vcc_lo
	v_add_co_u32 v200, vcc_lo, v216, s6
	s_lshl_b64 s[8:9], s[12:13], 1
	v_add_co_ci_u32_e32 v201, vcc_lo, s7, v217, vcc_lo
	s_lshl_b64 s[10:11], s[16:17], 1
	s_lshl_b64 s[12:13], s[18:19], 1
	;; [unrolled: 1-line block ×8, first 2 shown]
	s_mul_i32 s44, s37, s5
	s_mul_hi_i32 s37, s36, s5
	s_lshl_b64 s[38:39], s[44:45], 1
	s_mul_i32 s36, s36, s5
	s_clause 0x1
	s_load_b32 s4, s[42:43], 0x0
	s_load_b32 s15, s[34:35], 0x0
	s_lshl_b64 s[36:37], s[36:37], 1
	s_lshl_b64 s[40:41], s[48:49], 1
	s_waitcnt lgkmcnt(0)
	s_mul_hi_i32 s3, s4, s5
	s_mul_i32 s2, s4, s5
	s_mul_hi_i32 s7, s15, s5
	s_lshl_b64 s[2:3], s[2:3], 1
	s_mul_i32 s6, s15, s5
	s_waitcnt vmcnt(30)
	v_wmma_f32_16x16x16_bf16 v[192:199], v[89:96], v[105:112], v[129:136]
	v_add_co_u32 v89, vcc_lo, v216, s8
	v_add_co_ci_u32_e32 v90, vcc_lo, s9, v217, vcc_lo
	v_add_co_u32 v91, vcc_lo, v216, s10
	v_add_co_ci_u32_e32 v92, vcc_lo, s11, v217, vcc_lo
	;; [unrolled: 2-line block ×5, first 2 shown]
	v_add_co_u32 v206, vcc_lo, v216, s20
	s_waitcnt vmcnt(28)
	v_wmma_f32_16x16x16_bf16 v[129:136], v[97:104], v[105:112], v[129:136]
	v_add_co_ci_u32_e32 v207, vcc_lo, s21, v217, vcc_lo
	v_add_co_u32 v208, vcc_lo, v216, s22
	v_add_co_ci_u32_e32 v209, vcc_lo, s23, v217, vcc_lo
	v_add_co_u32 v210, vcc_lo, v216, s24
	s_waitcnt vmcnt(26)
	v_wmma_f32_16x16x16_bf16 v[192:199], v[81:88], v[113:120], v[192:199]
	s_waitcnt vmcnt(24)
	v_wmma_f32_16x16x16_bf16 v[129:136], v[73:80], v[113:120], v[129:136]
	v_add_co_ci_u32_e32 v211, vcc_lo, s25, v217, vcc_lo
	v_add_co_u32 v212, vcc_lo, v216, s26
	v_add_co_ci_u32_e32 v213, vcc_lo, s27, v217, vcc_lo
	v_add_co_u32 v214, vcc_lo, v216, s38
	s_waitcnt vmcnt(22)
	v_wmma_f32_16x16x16_bf16 v[192:199], v[65:72], v[144:151], v[192:199]
	s_waitcnt vmcnt(20)
	v_wmma_f32_16x16x16_bf16 v[129:136], v[57:64], v[144:151], v[129:136]
	v_add_co_ci_u32_e32 v215, vcc_lo, s39, v217, vcc_lo
	v_add_co_u32 v144, vcc_lo, v216, s36
	s_waitcnt vmcnt(18)
	v_wmma_f32_16x16x16_bf16 v[192:199], v[49:56], v[152:159], v[192:199]
	s_waitcnt vmcnt(16)
	v_wmma_f32_16x16x16_bf16 v[129:136], v[41:48], v[152:159], v[129:136]
	v_add_co_ci_u32_e32 v145, vcc_lo, s37, v217, vcc_lo
	s_clause 0x15
	global_load_b128 v[121:124], v[125:126], off
	global_load_b128 v[125:128], v[125:126], off offset:16
	global_load_b128 v[113:116], v[200:201], off
	global_load_b128 v[117:120], v[200:201], off offset:16
	;; [unrolled: 2-line block ×11, first 2 shown]
	s_waitcnt vmcnt(36)
	v_wmma_f32_16x16x16_bf16 v[192:199], v[17:24], v[160:167], v[192:199]
	s_clause 0x1
	global_load_b128 v[17:20], v[214:215], off
	global_load_b128 v[21:24], v[214:215], off offset:16
	s_waitcnt vmcnt(36)
	v_wmma_f32_16x16x16_bf16 v[129:136], v[1:8], v[160:167], v[129:136]
	s_clause 0x1
	global_load_b128 v[1:4], v[144:145], off
	global_load_b128 v[5:8], v[144:145], off offset:16
	ds_load_b128 v[144:147], v141 offset:10240
	ds_load_b128 v[148:151], v141 offset:11264
	;; [unrolled: 1-line block ×4, first 2 shown]
	v_add_co_u32 v200, vcc_lo, v216, s40
	v_add_co_ci_u32_e32 v201, vcc_lo, s41, v217, vcc_lo
	v_add_co_u32 v160, vcc_lo, v216, s2
	v_add_co_ci_u32_e32 v161, vcc_lo, s3, v217, vcc_lo
	s_lshl_b64 s[2:3], s[6:7], 1
	s_delay_alu instid0(SALU_CYCLE_1)
	v_add_co_u32 v162, vcc_lo, v216, s2
	v_add_co_ci_u32_e32 v163, vcc_lo, s3, v217, vcc_lo
	s_waitcnt vmcnt(36) lgkmcnt(2)
	v_wmma_f32_16x16x16_bf16 v[192:199], v[33:40], v[144:151], v[192:199]
	s_waitcnt vmcnt(34)
	v_wmma_f32_16x16x16_bf16 v[129:136], v[25:32], v[144:151], v[129:136]
	s_clause 0x3
	global_load_b128 v[25:28], v[200:201], off
	global_load_b128 v[29:32], v[200:201], off offset:16
	global_load_b128 v[33:36], v[160:161], off
	global_load_b128 v[37:40], v[160:161], off offset:16
	v_and_b32_e32 v144, 0xe0, v0
	v_mbcnt_lo_u32_b32 v160, -1, 0
	s_waitcnt vmcnt(36) lgkmcnt(0)
	v_wmma_f32_16x16x16_bf16 v[192:199], v[9:16], v[152:159], v[192:199]
	s_clause 0x1
	global_load_b128 v[9:12], v[162:163], off
	global_load_b128 v[13:16], v[162:163], off offset:16
	s_waitcnt vmcnt(36)
	v_wmma_f32_16x16x16_bf16 v[129:136], v[168:175], v[152:159], v[129:136]
	v_add_nc_u32_e32 v161, s31, v144
	ds_load_b128 v[144:147], v141 offset:14336
	ds_load_b128 v[148:151], v141 offset:15360
	v_xor_b32_e32 v152, 16, v160
	s_waitcnt vmcnt(0) lgkmcnt(0)
	s_barrier
	buffer_gl0_inv
	v_cmp_gt_i32_e32 vcc_lo, 32, v152
	v_cndmask_b32_e32 v152, v160, v152, vcc_lo
	v_wmma_f32_16x16x16_bf16 v[129:136], v[184:191], v[144:151], v[129:136]
	v_wmma_f32_16x16x16_bf16 v[192:199], v[176:183], v[144:151], v[192:199]
	s_delay_alu instid0(VALU_DEP_2) | instskip(SKIP_1) | instid1(VALU_DEP_3)
	v_mul_f32_e32 v170, s33, v135
	v_or_b32_e32 v153, v161, v138
	v_dual_mul_f32 v150, s33, v193 :: v_dual_mul_f32 v151, s33, v192
	s_delay_alu instid0(VALU_DEP_4) | instskip(SKIP_1) | instid1(VALU_DEP_4)
	v_dual_mul_f32 v148, s33, v195 :: v_dual_mul_f32 v149, s33, v194
	v_mul_f32_e32 v176, s33, v129
	v_or_b32_e32 v154, 2, v153
	v_or_b32_e32 v155, 4, v153
	;; [unrolled: 1-line block ×3, first 2 shown]
	v_cmp_gt_i32_e32 vcc_lo, s28, v153
	v_or_b32_e32 v157, 8, v153
	v_cmp_gt_i32_e64 s2, s28, v154
	v_or_b32_e32 v158, 10, v153
	v_cmp_gt_i32_e64 s3, s28, v155
	v_cndmask_b32_e32 v151, 0xff7fffff, v151, vcc_lo
	v_cmp_gt_i32_e64 s4, s28, v156
	v_cndmask_b32_e64 v150, 0xff7fffff, v150, s2
	v_or_b32_e32 v159, 12, v153
	v_or_b32_e32 v160, 14, v153
	v_dual_mul_f32 v146, s33, v197 :: v_dual_mul_f32 v147, s33, v196
	v_mul_f32_e32 v174, s33, v131
	v_cndmask_b32_e64 v149, 0xff7fffff, v149, s3
	v_cndmask_b32_e64 v148, 0xff7fffff, v148, s4
	v_max3_f32 v150, v151, 0xff7fffff, v150
	v_cmp_gt_i32_e64 s5, s28, v157
	v_cmp_gt_i32_e64 s6, s28, v158
	v_or_b32_e32 v161, 16, v153
	v_or_b32_e32 v162, 18, v153
	v_dual_mul_f32 v144, s33, v199 :: v_dual_mul_f32 v145, s33, v198
	v_mul_f32_e32 v172, s33, v133
	v_cndmask_b32_e64 v147, 0xff7fffff, v147, s5
	v_cndmask_b32_e64 v146, 0xff7fffff, v146, s6
	v_max3_f32 v148, v150, v149, v148
	v_cmp_gt_i32_e64 s7, s28, v159
	v_cmp_gt_i32_e64 s8, s28, v160
	v_or_b32_e32 v163, 20, v153
	v_or_b32_e32 v164, 22, v153
	v_mul_f32_e32 v175, s33, v130
	v_cndmask_b32_e64 v145, 0xff7fffff, v145, s7
	v_cndmask_b32_e64 v144, 0xff7fffff, v144, s8
	v_max3_f32 v146, v148, v147, v146
	v_cmp_gt_i32_e64 s9, s28, v161
	v_cmp_gt_i32_e64 s10, s28, v162
	v_or_b32_e32 v165, 24, v153
	v_or_b32_e32 v166, 26, v153
	;; [unrolled: 8-line block ×3, first 2 shown]
	v_mul_f32_e32 v171, s33, v134
	v_cndmask_b32_e64 v145, 0xff7fffff, v174, s11
	v_cndmask_b32_e64 v146, 0xff7fffff, v173, s12
	v_max3_f32 v144, v144, v147, v148
	v_cmp_gt_i32_e64 s13, s28, v165
	v_cmp_gt_i32_e64 s15, s28, v166
	v_mul_f32_e32 v169, s33, v136
	v_cmp_gt_i32_e64 s16, s28, v167
	v_max3_f32 v144, v144, v145, v146
	v_cndmask_b32_e64 v147, 0xff7fffff, v172, s13
	v_cndmask_b32_e64 v148, 0xff7fffff, v171, s15
	v_cmp_gt_i32_e64 s17, s28, v168
	v_cndmask_b32_e64 v145, 0xff7fffff, v170, s16
	v_lshlrev_b32_e32 v155, 2, v152
	s_delay_alu instid0(VALU_DEP_4) | instskip(NEXT) | instid1(VALU_DEP_4)
	v_max3_f32 v144, v144, v147, v148
	v_cndmask_b32_e64 v146, 0xff7fffff, v169, s17
	s_delay_alu instid0(VALU_DEP_1) | instskip(SKIP_3) | instid1(VALU_DEP_1)
	v_max3_f32 v144, v144, v145, v146
	ds_bpermute_b32 v145, v155, v144
	s_waitcnt lgkmcnt(0)
	v_max_f32_e32 v145, v145, v145
	v_max_f32_e32 v154, v144, v145
	s_delay_alu instid0(VALU_DEP_1)
	v_fma_f32 v144, s33, v192, -v154
	v_fma_f32 v146, s33, v194, -v154
	;; [unrolled: 1-line block ×5, first 2 shown]
	v_mul_f32_e32 v144, 0x3fb8aa3b, v144
	v_mul_f32_e32 v146, 0x3fb8aa3b, v146
	v_fma_f32 v152, s33, v199, -v154
	s_delay_alu instid0(VALU_DEP_4) | instskip(NEXT) | instid1(VALU_DEP_4)
	v_dual_mul_f32 v147, 0x3fb8aa3b, v147 :: v_dual_mul_f32 v148, 0x3fb8aa3b, v148
	v_exp_f32_e32 v144, v144
	s_delay_alu instid0(VALU_DEP_3) | instskip(NEXT) | instid1(VALU_DEP_2)
	v_exp_f32_e32 v149, v146
	v_mul_f32_e32 v152, 0x3fb8aa3b, v152
	s_delay_alu instid0(VALU_DEP_2)
	v_exp_f32_e32 v150, v147
	v_fma_f32 v132, s33, v132, -v154
	v_fma_f32 v151, s33, v198, -v154
	v_exp_f32_e32 v148, v148
	v_fma_f32 v136, s33, v136, -v154
	v_fma_f32 v129, s33, v129, -v154
	v_mul_f32_e32 v132, 0x3fb8aa3b, v132
	v_cndmask_b32_e32 v146, 0, v144, vcc_lo
	v_fma_f32 v144, s33, v197, -v154
	v_mul_f32_e32 v145, 0x3fb8aa3b, v145
	v_cndmask_b32_e64 v149, 0, v149, s3
	v_mul_f32_e32 v151, 0x3fb8aa3b, v151
	v_cndmask_b32_e64 v150, 0, v150, s4
	v_mul_f32_e32 v144, 0x3fb8aa3b, v144
	v_exp_f32_e32 v145, v145
	v_fma_f32 v130, s33, v130, -v154
	v_exp_f32_e32 v153, v151
	v_cndmask_b32_e64 v151, 0, v148, s5
	v_exp_f32_e32 v144, v144
	v_mul_f32_e32 v129, 0x3fb8aa3b, v129
	v_exp_f32_e32 v156, v152
	v_fma_f32 v131, s33, v131, -v154
	v_mul_f32_e32 v130, 0x3fb8aa3b, v130
	v_fma_f32 v133, s33, v133, -v154
	v_cndmask_b32_e64 v147, 0, v145, s2
	v_add_f32_e32 v145, 0, v146
	v_exp_f32_e32 v129, v129
	v_cndmask_b32_e64 v148, 0, v153, s7
	v_cndmask_b32_e64 v152, 0, v144, s6
	v_mul_f32_e32 v131, 0x3fb8aa3b, v131
	v_add_f32_e32 v145, v145, v147
	v_exp_f32_e32 v130, v130
	v_cndmask_b32_e64 v153, 0, v156, s8
	v_fma_f32 v134, s33, v134, -v154
	v_mul_f32_e32 v133, 0x3fb8aa3b, v133
	v_add_f32_e32 v145, v145, v149
	s_mov_b32 s2, exec_lo
	s_delay_alu instid0(VALU_DEP_3) | instskip(NEXT) | instid1(VALU_DEP_2)
	v_mul_f32_e32 v134, 0x3fb8aa3b, v134
	v_add_f32_e32 v145, v145, v150
	s_delay_alu instid0(VALU_DEP_1) | instskip(SKIP_2) | instid1(VALU_DEP_2)
	v_add_f32_e32 v144, v145, v151
	v_exp_f32_e32 v145, v131
	v_cndmask_b32_e64 v131, 0, v129, s9
	v_add_f32_e32 v144, v144, v152
	s_delay_alu instid0(VALU_DEP_1) | instskip(NEXT) | instid1(VALU_DEP_1)
	v_add_f32_e32 v144, v144, v148
	v_add_f32_e32 v129, v144, v153
	v_exp_f32_e32 v144, v132
	v_cndmask_b32_e64 v132, 0, v130, s10
	v_fma_f32 v130, s33, v135, -v154
	v_exp_f32_e32 v135, v133
	v_add_f32_e32 v129, v129, v131
	v_cndmask_b32_e64 v133, 0, v145, s11
	v_exp_f32_e32 v145, v134
	s_delay_alu instid0(VALU_DEP_2) | instskip(NEXT) | instid1(TRANS32_DEP_3)
	v_dual_mul_f32 v130, 0x3fb8aa3b, v130 :: v_dual_add_f32 v129, v129, v132
	v_cndmask_b32_e64 v134, 0, v144, s12
	v_mul_f32_e32 v144, 0x3fb8aa3b, v136
	s_delay_alu instid0(VALU_DEP_3) | instskip(NEXT) | instid1(TRANS32_DEP_3)
	v_exp_f32_e32 v130, v130
	v_cndmask_b32_e64 v135, 0, v135, s13
	v_add_f32_e32 v129, v129, v133
	s_delay_alu instid0(TRANS32_DEP_2) | instskip(SKIP_1) | instid1(VALU_DEP_2)
	v_cndmask_b32_e64 v136, 0, v145, s15
	v_exp_f32_e32 v145, v144
	v_add_f32_e32 v129, v129, v134
	s_waitcnt_depctr 0xfff
	v_cndmask_b32_e64 v144, 0, v130, s16
	v_add_f32_e32 v129, v129, v135
	v_cndmask_b32_e64 v145, 0, v145, s17
	s_delay_alu instid0(VALU_DEP_2) | instskip(NEXT) | instid1(VALU_DEP_1)
	v_add_f32_e32 v129, v129, v136
	v_add_f32_e32 v129, v129, v144
	s_delay_alu instid0(VALU_DEP_1)
	v_add_f32_e32 v129, v129, v145
	ds_bpermute_b32 v130, v155, v129
	v_cmpx_gt_u32_e32 16, v143
	s_cbranch_execz .LBB629_12
; %bb.11:
	v_mul_u32_u24_e32 v143, 0x44, v140
	s_delay_alu instid0(VALU_DEP_1) | instskip(SKIP_1) | instid1(VALU_DEP_1)
	v_lshl_add_u32 v143, v142, 2, v143
	s_waitcnt lgkmcnt(0)
	v_dual_add_f32 v129, v129, v130 :: v_dual_add_nc_u32 v130, 0x4000, v143
	ds_store_2addr_b32 v130, v154, v129 offset1:136
.LBB629_12:
	s_or_b32 exec_lo, exec_lo, s2
	v_lshlrev_b32_e32 v129, 2, v142
	s_waitcnt lgkmcnt(0)
	s_barrier
	buffer_gl0_inv
	v_cmp_eq_u32_e64 s2, 1, v140
	v_add_nc_u32_e32 v162, 0x4000, v129
	ds_load_2addr_b32 v[142:143], v162 offset1:17
	ds_load_2addr_b32 v[154:155], v162 offset0:34 offset1:51
	ds_load_2addr_b32 v[156:157], v162 offset0:68 offset1:85
	;; [unrolled: 1-line block ×4, first 2 shown]
	s_waitcnt lgkmcnt(4)
	v_max3_f32 v129, v142, 0xff7fffff, v143
	s_waitcnt lgkmcnt(3)
	s_delay_alu instid0(VALU_DEP_1) | instskip(SKIP_1) | instid1(VALU_DEP_1)
	v_max3_f32 v129, v129, v154, v155
	s_waitcnt lgkmcnt(2)
	v_max3_f32 v129, v129, v156, v157
	s_waitcnt lgkmcnt(1)
	s_delay_alu instid0(VALU_DEP_1) | instskip(NEXT) | instid1(VALU_DEP_1)
	v_max3_f32 v129, v129, v158, v159
	v_sub_f32_e32 v163, v143, v129
	v_sub_f32_e32 v130, v142, v129
	ds_load_2addr_b32 v[142:143], v162 offset0:170 offset1:187
	v_sub_f32_e32 v156, v156, v129
	v_dual_sub_f32 v154, v154, v129 :: v_dual_mul_f32 v163, 0x3fb8aa3b, v163
	v_mul_f32_e32 v130, 0x3fb8aa3b, v130
	s_delay_alu instid0(VALU_DEP_3) | instskip(NEXT) | instid1(VALU_DEP_3)
	v_dual_sub_f32 v158, v158, v129 :: v_dual_mul_f32 v167, 0x3fb8aa3b, v156
	v_mul_f32_e32 v165, 0x3fb8aa3b, v154
	s_delay_alu instid0(VALU_DEP_4) | instskip(NEXT) | instid1(VALU_DEP_3)
	v_exp_f32_e32 v163, v163
	v_exp_f32_e32 v164, v130
	v_sub_f32_e32 v130, v155, v129
	ds_load_2addr_b32 v[154:155], v162 offset0:204 offset1:221
	v_mul_f32_e32 v158, 0x3fb8aa3b, v158
	v_exp_f32_e32 v165, v165
	v_mul_f32_e32 v166, 0x3fb8aa3b, v130
	s_waitcnt lgkmcnt(2)
	v_fma_f32 v130, v164, v160, 0
	v_sub_f32_e32 v160, v157, v129
	s_delay_alu instid0(VALU_DEP_3)
	v_exp_f32_e32 v166, v166
	ds_load_2addr_b32 v[156:157], v162 offset0:238 offset1:255
	s_waitcnt lgkmcnt(0)
	v_fmac_f32_e32 v130, v163, v161
	v_mul_f32_e32 v160, 0x3fb8aa3b, v160
	v_exp_f32_e32 v161, v167
	s_barrier
	buffer_gl0_inv
	v_fmac_f32_e32 v130, v165, v142
	v_sub_f32_e32 v142, v159, v129
	v_exp_f32_e32 v159, v160
	s_delay_alu instid0(VALU_DEP_2) | instskip(NEXT) | instid1(VALU_DEP_2)
	v_fmac_f32_e32 v130, v166, v143
	v_mul_f32_e32 v142, 0x3fb8aa3b, v142
	v_exp_f32_e32 v143, v158
	s_delay_alu instid0(VALU_DEP_2) | instskip(NEXT) | instid1(VALU_DEP_2)
	v_fmac_f32_e32 v130, v161, v154
	v_exp_f32_e32 v142, v142
	s_delay_alu instid0(TRANS32_DEP_3) | instid1(VALU_DEP_1)
	v_fmac_f32_e32 v130, v159, v155
	s_waitcnt_depctr 0xfff
	v_fmac_f32_e32 v130, v143, v156
	s_delay_alu instid0(VALU_DEP_1) | instskip(NEXT) | instid1(VALU_DEP_1)
	v_fmac_f32_e32 v130, v142, v157
	v_add_f32_e32 v154, 0x358637bd, v130
	s_delay_alu instid0(VALU_DEP_1) | instskip(SKIP_1) | instid1(VALU_DEP_2)
	v_div_scale_f32 v155, null, v154, v154, 1.0
	v_div_scale_f32 v158, vcc_lo, 1.0, v154, 1.0
	v_rcp_f32_e32 v156, v155
	s_waitcnt_depctr 0xfff
	v_fma_f32 v157, -v155, v156, 1.0
	s_delay_alu instid0(VALU_DEP_1) | instskip(SKIP_2) | instid1(VALU_DEP_3)
	v_fmac_f32_e32 v156, v157, v156
	v_cndmask_b32_e64 v157, v164, v163, s2
	v_cmp_eq_u32_e64 s2, 2, v140
	v_mul_f32_e32 v160, v158, v156
	s_delay_alu instid0(VALU_DEP_2) | instskip(SKIP_1) | instid1(VALU_DEP_3)
	v_cndmask_b32_e64 v157, v157, v165, s2
	v_cmp_eq_u32_e64 s2, 3, v140
	v_fma_f32 v162, -v155, v160, v158
	s_delay_alu instid0(VALU_DEP_2) | instskip(SKIP_1) | instid1(VALU_DEP_3)
	v_cndmask_b32_e64 v157, v157, v166, s2
	v_cmp_eq_u32_e64 s2, 4, v140
	v_fmac_f32_e32 v160, v162, v156
	s_delay_alu instid0(VALU_DEP_2) | instskip(NEXT) | instid1(VALU_DEP_2)
	v_cndmask_b32_e64 v157, v157, v161, s2
	v_fma_f32 v155, -v155, v160, v158
	v_cmp_eq_u32_e64 s2, 5, v140
	s_delay_alu instid0(VALU_DEP_2) | instskip(NEXT) | instid1(VALU_DEP_2)
	v_div_fmas_f32 v155, v155, v156, v160
	v_cndmask_b32_e64 v157, v157, v159, s2
	v_cmp_eq_u32_e32 vcc_lo, 6, v140
	s_delay_alu instid0(VALU_DEP_3) | instskip(NEXT) | instid1(VALU_DEP_3)
	v_div_fixup_f32 v154, v155, v154, 1.0
	v_cndmask_b32_e32 v143, v157, v143, vcc_lo
	v_cmp_eq_u32_e32 vcc_lo, 7, v140
	s_delay_alu instid0(VALU_DEP_2) | instskip(NEXT) | instid1(VALU_DEP_1)
	v_cndmask_b32_e32 v142, v143, v142, vcc_lo
	v_mul_f32_e32 v142, v142, v154
	s_delay_alu instid0(VALU_DEP_1)
	v_mul_f32_e32 v154, v142, v146
	v_mul_f32_e32 v146, v142, v153
	;; [unrolled: 1-line block ×5, first 2 shown]
	v_and_b32_e32 v143, 0x7f800000, v154
	v_mul_f32_e32 v153, v142, v150
	v_mul_f32_e32 v150, v142, v149
	;; [unrolled: 1-line block ×3, first 2 shown]
	s_delay_alu instid0(VALU_DEP_4) | instskip(SKIP_1) | instid1(SALU_CYCLE_1)
	v_cmp_ne_u32_e32 vcc_lo, 0x7f800000, v143
                                        ; implicit-def: $vgpr143
	s_and_saveexec_b32 s2, vcc_lo
	s_xor_b32 s2, exec_lo, s2
; %bb.13:
	v_bfe_u32 v143, v154, 16, 1
	s_delay_alu instid0(VALU_DEP_1)
	v_add3_u32 v143, v154, v143, 0x7fff
                                        ; implicit-def: $vgpr154
; %bb.14:
	s_and_not1_saveexec_b32 s2, s2
; %bb.15:
	v_and_b32_e32 v143, 0xffff, v154
	v_or_b32_e32 v147, 0x10000, v154
	s_delay_alu instid0(VALU_DEP_2) | instskip(NEXT) | instid1(VALU_DEP_2)
	v_cmp_eq_u32_e32 vcc_lo, 0, v143
	v_cndmask_b32_e32 v143, v147, v154, vcc_lo
; %bb.16:
	s_or_b32 exec_lo, exec_lo, s2
	v_and_b32_e32 v147, 0x7f800000, v149
	s_delay_alu instid0(VALU_DEP_1) | instskip(SKIP_1) | instid1(SALU_CYCLE_1)
	v_cmp_ne_u32_e32 vcc_lo, 0x7f800000, v147
                                        ; implicit-def: $vgpr147
	s_and_saveexec_b32 s2, vcc_lo
	s_xor_b32 s2, exec_lo, s2
; %bb.17:
	v_bfe_u32 v147, v149, 16, 1
	s_delay_alu instid0(VALU_DEP_1)
	v_add3_u32 v147, v149, v147, 0x7fff
                                        ; implicit-def: $vgpr149
; %bb.18:
	s_and_not1_saveexec_b32 s2, s2
; %bb.19:
	v_and_b32_e32 v147, 0xffff, v149
	v_or_b32_e32 v154, 0x10000, v149
	s_delay_alu instid0(VALU_DEP_2) | instskip(NEXT) | instid1(VALU_DEP_2)
	v_cmp_eq_u32_e32 vcc_lo, 0, v147
	v_cndmask_b32_e32 v147, v154, v149, vcc_lo
; %bb.20:
	s_or_b32 exec_lo, exec_lo, s2
	v_and_b32_e32 v149, 0x7f800000, v150
	s_delay_alu instid0(VALU_DEP_1) | instskip(SKIP_1) | instid1(SALU_CYCLE_1)
	v_cmp_ne_u32_e32 vcc_lo, 0x7f800000, v149
                                        ; implicit-def: $vgpr149
	s_and_saveexec_b32 s2, vcc_lo
	s_xor_b32 s2, exec_lo, s2
; %bb.21:
	v_bfe_u32 v149, v150, 16, 1
	s_delay_alu instid0(VALU_DEP_1)
	v_add3_u32 v149, v150, v149, 0x7fff
                                        ; implicit-def: $vgpr150
; %bb.22:
	s_and_not1_saveexec_b32 s2, s2
; %bb.23:
	v_and_b32_e32 v149, 0xffff, v150
	v_or_b32_e32 v154, 0x10000, v150
	s_delay_alu instid0(VALU_DEP_2) | instskip(NEXT) | instid1(VALU_DEP_2)
	v_cmp_eq_u32_e32 vcc_lo, 0, v149
	v_cndmask_b32_e32 v149, v154, v150, vcc_lo
; %bb.24:
	s_or_b32 exec_lo, exec_lo, s2
	v_and_b32_e32 v150, 0x7f800000, v153
	s_delay_alu instid0(VALU_DEP_1) | instskip(SKIP_1) | instid1(SALU_CYCLE_1)
	v_cmp_ne_u32_e32 vcc_lo, 0x7f800000, v150
                                        ; implicit-def: $vgpr150
	s_and_saveexec_b32 s2, vcc_lo
	s_xor_b32 s2, exec_lo, s2
; %bb.25:
	v_bfe_u32 v150, v153, 16, 1
	s_delay_alu instid0(VALU_DEP_1)
	v_add3_u32 v150, v153, v150, 0x7fff
                                        ; implicit-def: $vgpr153
; %bb.26:
	s_and_not1_saveexec_b32 s2, s2
; %bb.27:
	v_and_b32_e32 v150, 0xffff, v153
	v_or_b32_e32 v154, 0x10000, v153
	s_delay_alu instid0(VALU_DEP_2) | instskip(NEXT) | instid1(VALU_DEP_2)
	v_cmp_eq_u32_e32 vcc_lo, 0, v150
	v_cndmask_b32_e32 v150, v154, v153, vcc_lo
; %bb.28:
	s_or_b32 exec_lo, exec_lo, s2
	v_and_b32_e32 v153, 0x7f800000, v151
	s_delay_alu instid0(VALU_DEP_1) | instskip(SKIP_1) | instid1(SALU_CYCLE_1)
	v_cmp_ne_u32_e32 vcc_lo, 0x7f800000, v153
                                        ; implicit-def: $vgpr153
	s_and_saveexec_b32 s2, vcc_lo
	s_xor_b32 s2, exec_lo, s2
; %bb.29:
	v_bfe_u32 v153, v151, 16, 1
	s_delay_alu instid0(VALU_DEP_1)
	v_add3_u32 v153, v151, v153, 0x7fff
                                        ; implicit-def: $vgpr151
; %bb.30:
	s_and_not1_saveexec_b32 s2, s2
; %bb.31:
	v_and_b32_e32 v153, 0xffff, v151
	v_or_b32_e32 v154, 0x10000, v151
	s_delay_alu instid0(VALU_DEP_2) | instskip(NEXT) | instid1(VALU_DEP_2)
	v_cmp_eq_u32_e32 vcc_lo, 0, v153
	v_cndmask_b32_e32 v153, v154, v151, vcc_lo
; %bb.32:
	s_or_b32 exec_lo, exec_lo, s2
	v_and_b32_e32 v151, 0x7f800000, v152
	s_delay_alu instid0(VALU_DEP_1) | instskip(SKIP_1) | instid1(SALU_CYCLE_1)
	v_cmp_ne_u32_e32 vcc_lo, 0x7f800000, v151
                                        ; implicit-def: $vgpr151
	s_and_saveexec_b32 s2, vcc_lo
	s_xor_b32 s2, exec_lo, s2
; %bb.33:
	v_bfe_u32 v151, v152, 16, 1
	s_delay_alu instid0(VALU_DEP_1)
	v_add3_u32 v151, v152, v151, 0x7fff
                                        ; implicit-def: $vgpr152
; %bb.34:
	s_and_not1_saveexec_b32 s2, s2
; %bb.35:
	v_and_b32_e32 v151, 0xffff, v152
	v_or_b32_e32 v154, 0x10000, v152
	s_delay_alu instid0(VALU_DEP_2) | instskip(NEXT) | instid1(VALU_DEP_2)
	v_cmp_eq_u32_e32 vcc_lo, 0, v151
	v_cndmask_b32_e32 v151, v154, v152, vcc_lo
; %bb.36:
	s_or_b32 exec_lo, exec_lo, s2
	v_and_b32_e32 v152, 0x7f800000, v148
	s_delay_alu instid0(VALU_DEP_1) | instskip(SKIP_1) | instid1(SALU_CYCLE_1)
	v_cmp_ne_u32_e32 vcc_lo, 0x7f800000, v152
                                        ; implicit-def: $vgpr152
	s_and_saveexec_b32 s2, vcc_lo
	s_xor_b32 s2, exec_lo, s2
; %bb.37:
	v_bfe_u32 v152, v148, 16, 1
	s_delay_alu instid0(VALU_DEP_1)
	v_add3_u32 v152, v148, v152, 0x7fff
                                        ; implicit-def: $vgpr148
; %bb.38:
	s_and_not1_saveexec_b32 s2, s2
; %bb.39:
	v_and_b32_e32 v152, 0xffff, v148
	v_or_b32_e32 v154, 0x10000, v148
	s_delay_alu instid0(VALU_DEP_2) | instskip(NEXT) | instid1(VALU_DEP_2)
	v_cmp_eq_u32_e32 vcc_lo, 0, v152
	v_cndmask_b32_e32 v152, v154, v148, vcc_lo
; %bb.40:
	s_or_b32 exec_lo, exec_lo, s2
	v_and_b32_e32 v148, 0x7f800000, v146
	s_delay_alu instid0(VALU_DEP_1) | instskip(SKIP_1) | instid1(SALU_CYCLE_1)
	v_cmp_ne_u32_e32 vcc_lo, 0x7f800000, v148
                                        ; implicit-def: $vgpr148
	s_and_saveexec_b32 s2, vcc_lo
	s_xor_b32 s2, exec_lo, s2
; %bb.41:
	v_bfe_u32 v148, v146, 16, 1
	s_delay_alu instid0(VALU_DEP_1)
	v_add3_u32 v148, v146, v148, 0x7fff
                                        ; implicit-def: $vgpr146
; %bb.42:
	s_and_not1_saveexec_b32 s2, s2
; %bb.43:
	v_and_b32_e32 v148, 0xffff, v146
	v_or_b32_e32 v154, 0x10000, v146
	s_delay_alu instid0(VALU_DEP_2) | instskip(NEXT) | instid1(VALU_DEP_2)
	v_cmp_eq_u32_e32 vcc_lo, 0, v148
	v_cndmask_b32_e32 v148, v154, v146, vcc_lo
; %bb.44:
	s_or_b32 exec_lo, exec_lo, s2
	s_load_b64 s[34:35], s[0:1], 0x94
	v_lshlrev_b32_e32 v146, 4, v138
	s_delay_alu instid0(VALU_DEP_2)
	v_perm_b32 v152, v148, v152, 0x7060302
	v_lshlrev_b32_e32 v148, 11, v140
	v_perm_b32 v150, v150, v149, 0x7060302
	v_perm_b32 v149, v147, v143, 0x7060302
	v_mul_f32_e32 v143, v142, v145
	v_mul_f32_e32 v147, v142, v131
	v_perm_b32 v151, v151, v153, 0x7060302
	v_or3_b32 v131, v146, v148, v141
	v_mul_f32_e32 v144, v142, v144
	v_mul_f32_e32 v136, v142, v136
	v_dual_mul_f32 v145, v142, v134 :: v_dual_and_b32 v148, 0x7f800000, v147
	v_mul_f32_e32 v135, v142, v135
	v_mul_f32_e32 v146, v142, v133
	;; [unrolled: 1-line block ×3, first 2 shown]
	s_mov_b32 s2, exec_lo
	ds_store_b128 v131, v[149:152]
                                        ; implicit-def: $vgpr132
	v_cmpx_ne_u32_e32 0x7f800000, v148
	s_xor_b32 s2, exec_lo, s2
; %bb.45:
	v_bfe_u32 v132, v147, 16, 1
	s_delay_alu instid0(VALU_DEP_1)
	v_add3_u32 v132, v147, v132, 0x7fff
                                        ; implicit-def: $vgpr147
; %bb.46:
	s_and_not1_saveexec_b32 s2, s2
; %bb.47:
	v_and_b32_e32 v132, 0xffff, v147
	v_or_b32_e32 v133, 0x10000, v147
	s_delay_alu instid0(VALU_DEP_2) | instskip(NEXT) | instid1(VALU_DEP_2)
	v_cmp_eq_u32_e32 vcc_lo, 0, v132
	v_cndmask_b32_e32 v132, v133, v147, vcc_lo
; %bb.48:
	s_or_b32 exec_lo, exec_lo, s2
	v_and_b32_e32 v133, 0x7f800000, v134
	s_delay_alu instid0(VALU_DEP_1) | instskip(SKIP_1) | instid1(SALU_CYCLE_1)
	v_cmp_ne_u32_e32 vcc_lo, 0x7f800000, v133
                                        ; implicit-def: $vgpr133
	s_and_saveexec_b32 s2, vcc_lo
	s_xor_b32 s2, exec_lo, s2
; %bb.49:
	v_bfe_u32 v133, v134, 16, 1
	s_delay_alu instid0(VALU_DEP_1)
	v_add3_u32 v133, v134, v133, 0x7fff
                                        ; implicit-def: $vgpr134
; %bb.50:
	s_and_not1_saveexec_b32 s2, s2
; %bb.51:
	v_and_b32_e32 v133, 0xffff, v134
	v_or_b32_e32 v142, 0x10000, v134
	s_delay_alu instid0(VALU_DEP_2) | instskip(NEXT) | instid1(VALU_DEP_2)
	v_cmp_eq_u32_e32 vcc_lo, 0, v133
	v_cndmask_b32_e32 v133, v142, v134, vcc_lo
; %bb.52:
	s_or_b32 exec_lo, exec_lo, s2
	v_and_b32_e32 v134, 0x7f800000, v146
	s_delay_alu instid0(VALU_DEP_1) | instskip(SKIP_1) | instid1(SALU_CYCLE_1)
	v_cmp_ne_u32_e32 vcc_lo, 0x7f800000, v134
                                        ; implicit-def: $vgpr134
	s_and_saveexec_b32 s2, vcc_lo
	s_xor_b32 s2, exec_lo, s2
; %bb.53:
	v_bfe_u32 v134, v146, 16, 1
	s_delay_alu instid0(VALU_DEP_1)
	v_add3_u32 v134, v146, v134, 0x7fff
                                        ; implicit-def: $vgpr146
; %bb.54:
	s_and_not1_saveexec_b32 s2, s2
; %bb.55:
	v_and_b32_e32 v134, 0xffff, v146
	v_or_b32_e32 v142, 0x10000, v146
	s_delay_alu instid0(VALU_DEP_2) | instskip(NEXT) | instid1(VALU_DEP_2)
	v_cmp_eq_u32_e32 vcc_lo, 0, v134
	v_cndmask_b32_e32 v134, v142, v146, vcc_lo
; %bb.56:
	s_or_b32 exec_lo, exec_lo, s2
	v_and_b32_e32 v142, 0x7f800000, v145
	s_delay_alu instid0(VALU_DEP_1) | instskip(SKIP_1) | instid1(SALU_CYCLE_1)
	v_cmp_ne_u32_e32 vcc_lo, 0x7f800000, v142
                                        ; implicit-def: $vgpr142
	s_and_saveexec_b32 s2, vcc_lo
	s_xor_b32 s2, exec_lo, s2
; %bb.57:
	v_bfe_u32 v142, v145, 16, 1
	s_delay_alu instid0(VALU_DEP_1)
	v_add3_u32 v142, v145, v142, 0x7fff
                                        ; implicit-def: $vgpr145
; %bb.58:
	s_and_not1_saveexec_b32 s2, s2
; %bb.59:
	v_and_b32_e32 v142, 0xffff, v145
	v_or_b32_e32 v146, 0x10000, v145
	s_delay_alu instid0(VALU_DEP_2) | instskip(NEXT) | instid1(VALU_DEP_2)
	v_cmp_eq_u32_e32 vcc_lo, 0, v142
	v_cndmask_b32_e32 v142, v146, v145, vcc_lo
; %bb.60:
	s_or_b32 exec_lo, exec_lo, s2
	v_and_b32_e32 v145, 0x7f800000, v135
	s_delay_alu instid0(VALU_DEP_1) | instskip(SKIP_1) | instid1(SALU_CYCLE_1)
	v_cmp_ne_u32_e32 vcc_lo, 0x7f800000, v145
                                        ; implicit-def: $vgpr145
	s_and_saveexec_b32 s2, vcc_lo
	s_xor_b32 s2, exec_lo, s2
; %bb.61:
	v_bfe_u32 v145, v135, 16, 1
	s_delay_alu instid0(VALU_DEP_1)
	v_add3_u32 v145, v135, v145, 0x7fff
                                        ; implicit-def: $vgpr135
; %bb.62:
	s_and_not1_saveexec_b32 s2, s2
; %bb.63:
	v_and_b32_e32 v145, 0xffff, v135
	v_or_b32_e32 v146, 0x10000, v135
	s_delay_alu instid0(VALU_DEP_2) | instskip(NEXT) | instid1(VALU_DEP_2)
	v_cmp_eq_u32_e32 vcc_lo, 0, v145
	v_cndmask_b32_e32 v145, v146, v135, vcc_lo
; %bb.64:
	s_or_b32 exec_lo, exec_lo, s2
	v_and_b32_e32 v135, 0x7f800000, v136
	s_delay_alu instid0(VALU_DEP_1) | instskip(SKIP_1) | instid1(SALU_CYCLE_1)
	v_cmp_ne_u32_e32 vcc_lo, 0x7f800000, v135
                                        ; implicit-def: $vgpr135
	s_and_saveexec_b32 s2, vcc_lo
	s_xor_b32 s2, exec_lo, s2
; %bb.65:
	v_bfe_u32 v135, v136, 16, 1
	s_delay_alu instid0(VALU_DEP_1)
	v_add3_u32 v135, v136, v135, 0x7fff
                                        ; implicit-def: $vgpr136
; %bb.66:
	s_and_not1_saveexec_b32 s2, s2
; %bb.67:
	v_and_b32_e32 v135, 0xffff, v136
	v_or_b32_e32 v146, 0x10000, v136
	s_delay_alu instid0(VALU_DEP_2) | instskip(NEXT) | instid1(VALU_DEP_2)
	v_cmp_eq_u32_e32 vcc_lo, 0, v135
	v_cndmask_b32_e32 v135, v146, v136, vcc_lo
; %bb.68:
	s_or_b32 exec_lo, exec_lo, s2
	v_and_b32_e32 v136, 0x7f800000, v144
	s_delay_alu instid0(VALU_DEP_1) | instskip(SKIP_1) | instid1(SALU_CYCLE_1)
	v_cmp_ne_u32_e32 vcc_lo, 0x7f800000, v136
                                        ; implicit-def: $vgpr136
	s_and_saveexec_b32 s2, vcc_lo
	s_xor_b32 s2, exec_lo, s2
; %bb.69:
	v_bfe_u32 v136, v144, 16, 1
	s_delay_alu instid0(VALU_DEP_1)
	v_add3_u32 v136, v144, v136, 0x7fff
                                        ; implicit-def: $vgpr144
; %bb.70:
	s_and_not1_saveexec_b32 s2, s2
; %bb.71:
	v_and_b32_e32 v136, 0xffff, v144
	v_or_b32_e32 v146, 0x10000, v144
	s_delay_alu instid0(VALU_DEP_2) | instskip(NEXT) | instid1(VALU_DEP_2)
	v_cmp_eq_u32_e32 vcc_lo, 0, v136
	v_cndmask_b32_e32 v136, v146, v144, vcc_lo
; %bb.72:
	s_or_b32 exec_lo, exec_lo, s2
	v_and_b32_e32 v144, 0x7f800000, v143
	s_delay_alu instid0(VALU_DEP_1) | instskip(SKIP_1) | instid1(SALU_CYCLE_1)
	v_cmp_ne_u32_e32 vcc_lo, 0x7f800000, v144
                                        ; implicit-def: $vgpr144
	s_and_saveexec_b32 s2, vcc_lo
	s_xor_b32 s2, exec_lo, s2
; %bb.73:
	v_bfe_u32 v144, v143, 16, 1
	s_delay_alu instid0(VALU_DEP_1)
	v_add3_u32 v144, v143, v144, 0x7fff
                                        ; implicit-def: $vgpr143
; %bb.74:
	s_and_not1_saveexec_b32 s2, s2
; %bb.75:
	v_and_b32_e32 v144, 0xffff, v143
	v_or_b32_e32 v146, 0x10000, v143
	s_delay_alu instid0(VALU_DEP_2) | instskip(NEXT) | instid1(VALU_DEP_2)
	v_cmp_eq_u32_e32 vcc_lo, 0, v144
	v_cndmask_b32_e32 v144, v146, v143, vcc_lo
; %bb.76:
	s_or_b32 exec_lo, exec_lo, s2
	s_delay_alu instid0(VALU_DEP_1)
	v_perm_b32 v136, v144, v136, 0x7060302
	v_perm_b32 v135, v135, v145, 0x7060302
	;; [unrolled: 1-line block ×4, first 2 shown]
	v_lshl_or_b32 v144, v140, 11, v141
	ds_store_b128 v131, v[133:136] offset:1024
	s_waitcnt lgkmcnt(0)
	s_barrier
	buffer_gl0_inv
	ds_load_b128 v[132:135], v144
	ds_load_b128 v[146:149], v144 offset:16
	s_waitcnt lgkmcnt(1)
	v_lshrrev_b32_e32 v159, 16, v134
	v_lshlrev_b32_e32 v142, 2, v138
	v_lshrrev_b32_e32 v136, 16, v132
	v_lshrrev_b32_e32 v158, 16, v133
	s_waitcnt lgkmcnt(0)
	v_lshrrev_b32_e32 v154, 16, v146
	v_lshrrev_b32_e32 v160, 16, v147
	v_or_b32_e32 v143, 1, v142
	v_lshrrev_b32_e32 v162, 16, v148
	v_lshrrev_b32_e32 v163, 16, v149
	v_lshrrev_b32_e32 v161, 16, v135
	s_delay_alu instid0(VALU_DEP_4)
	v_cmp_eq_u32_e64 s6, 1, v143
	v_cmp_eq_u32_e64 s5, 2, v143
	;; [unrolled: 1-line block ×4, first 2 shown]
	v_cmp_eq_u32_e32 vcc_lo, 5, v143
	v_cndmask_b32_e64 v151, v132, v136, s6
	v_cndmask_b32_e64 v152, v146, v154, s6
	v_cmp_eq_u32_e64 s3, 6, v143
	v_cmp_eq_u32_e64 s18, 7, v143
	s_delay_alu instid0(VALU_DEP_4) | instskip(NEXT) | instid1(VALU_DEP_4)
	v_cndmask_b32_e64 v151, v151, v133, s5
	v_cndmask_b32_e64 v152, v152, v147, s5
	s_delay_alu instid0(VALU_DEP_2) | instskip(NEXT) | instid1(VALU_DEP_2)
	v_cndmask_b32_e64 v151, v151, v158, s4
	v_cndmask_b32_e64 v152, v152, v160, s4
	s_delay_alu instid0(VALU_DEP_2) | instskip(NEXT) | instid1(VALU_DEP_2)
	v_cndmask_b32_e64 v151, v151, v134, s2
	v_cndmask_b32_e64 v152, v152, v148, s2
	s_delay_alu instid0(VALU_DEP_2)
	v_cndmask_b32_e32 v151, v151, v159, vcc_lo
	v_cmp_eq_u32_e64 s11, 1, v142
	v_cmp_eq_u32_e64 s10, 2, v142
	;; [unrolled: 1-line block ×3, first 2 shown]
	v_or_b32_e32 v140, 2, v142
	v_cmp_eq_u32_e64 s16, 4, v142
	v_cndmask_b32_e64 v150, v146, v154, s11
	v_cndmask_b32_e64 v145, v132, v136, s11
	v_cmp_eq_u32_e64 s12, 5, v142
	v_cmp_eq_u32_e64 s7, 1, v140
	;; [unrolled: 1-line block ×3, first 2 shown]
	v_cndmask_b32_e64 v150, v150, v147, s10
	v_cndmask_b32_e64 v145, v145, v133, s10
	v_cmp_eq_u32_e64 s9, 2, v140
	v_cndmask_b32_e64 v153, v132, v136, s7
	v_cmp_eq_u32_e64 s8, 7, v142
	v_cndmask_b32_e64 v150, v150, v160, s15
	v_cndmask_b32_e64 v145, v145, v158, s15
	v_cmp_eq_u32_e64 s17, 3, v140
	v_cndmask_b32_e64 v153, v153, v133, s9
	v_cndmask_b32_e64 v151, v151, v135, s3
	v_cndmask_b32_e64 v150, v150, v148, s16
	v_cndmask_b32_e64 v145, v145, v134, s16
	v_cmp_eq_u32_e64 s19, 4, v140
	v_cndmask_b32_e64 v153, v153, v158, s17
	v_cndmask_b32_e64 v166, v151, v161, s18
	;; [unrolled: 1-line block ×4, first 2 shown]
	v_cndmask_b32_e32 v155, v152, v162, vcc_lo
	v_cndmask_b32_e64 v157, v153, v134, s19
	v_cmp_eq_u32_e64 s21, 5, v140
	v_cndmask_b32_e64 v150, v150, v149, s13
	v_cndmask_b32_e64 v145, v145, v135, s13
	v_cmp_eq_u32_e64 s24, 6, v140
	v_cmp_eq_u32_e64 s26, 7, v140
	v_cndmask_b32_e64 v167, v157, v159, s21
	v_cndmask_b32_e64 v165, v150, v163, s8
	;; [unrolled: 1-line block ×4, first 2 shown]
	v_or_b32_e32 v145, 3, v142
	s_delay_alu instid0(VALU_DEP_3)
	v_cndmask_b32_e64 v156, v150, v147, s9
	ds_load_b128 v[150:153], v144 offset:1024
	v_cmp_eq_u32_e64 s20, 1, v145
	v_cmp_eq_u32_e64 s22, 2, v145
	;; [unrolled: 1-line block ×3, first 2 shown]
	v_cndmask_b32_e64 v156, v156, v160, s17
	v_cmp_eq_u32_e64 s25, 4, v145
	v_cndmask_b32_e64 v132, v132, v136, s20
	v_cndmask_b32_e64 v136, v155, v149, s3
	;; [unrolled: 1-line block ×4, first 2 shown]
	ds_load_b128 v[154:157], v144 offset:1040
	v_cndmask_b32_e64 v132, v132, v133, s22
	v_cmp_eq_u32_e64 s27, 5, v145
	v_cndmask_b32_e64 v146, v146, v147, s22
	v_cmp_eq_u32_e64 s28, 6, v145
	v_cndmask_b32_e64 v133, v168, v162, s21
	v_cndmask_b32_e64 v132, v132, v158, s23
	;; [unrolled: 1-line block ×5, first 2 shown]
	s_waitcnt lgkmcnt(1)
	v_lshrrev_b32_e32 v158, 16, v150
	v_cndmask_b32_e64 v132, v132, v134, s25
	v_cndmask_b32_e64 v133, v133, v149, s24
	;; [unrolled: 1-line block ×6, first 2 shown]
	v_lshrrev_b32_e32 v159, 16, v151
	v_cndmask_b32_e64 v160, v150, v158, s6
	v_cndmask_b32_e64 v134, v134, v162, s27
	s_waitcnt lgkmcnt(0)
	v_lshrrev_b32_e32 v148, 16, v154
	v_cndmask_b32_e64 v146, v146, v151, s10
	v_cndmask_b32_e64 v132, v132, v135, s28
	;; [unrolled: 1-line block ×7, first 2 shown]
	v_lshrrev_b32_e32 v160, 16, v155
	s_delay_alu instid0(VALU_DEP_4) | instskip(SKIP_1) | instid1(VALU_DEP_4)
	v_cndmask_b32_e64 v149, v162, v155, s10
	v_cmp_eq_u32_e64 s10, 7, v145
	v_cndmask_b32_e64 v146, v146, v159, s4
	v_cndmask_b32_e64 v135, v135, v152, s16
	v_lshrrev_b32_e32 v162, 16, v152
	v_cndmask_b32_e64 v149, v149, v160, s15
	v_cndmask_b32_e64 v132, v132, v161, s10
	v_cndmask_b32_e64 v134, v134, v163, s10
	v_cndmask_b32_e64 v146, v146, v152, s2
	v_cndmask_b32_e64 v161, v135, v162, s12
	v_cndmask_b32_e64 v149, v149, v156, s16
	v_lshrrev_b32_e32 v163, 16, v156
	v_perm_b32 v135, v134, v132, 0x5040100
	v_cndmask_b32_e32 v132, v146, v162, vcc_lo
	v_cndmask_b32_e64 v146, v161, v153, s13
	v_lshrrev_b32_e32 v161, 16, v153
	v_cndmask_b32_e64 v149, v149, v163, s12
	v_perm_b32 v134, v133, v147, 0x5040100
	v_cndmask_b32_e64 v132, v132, v153, s3
	v_perm_b32 v133, v136, v166, 0x5040100
	v_cndmask_b32_e64 v136, v146, v161, s8
	v_cndmask_b32_e64 v146, v149, v157, s13
	;; [unrolled: 1-line block ×27, first 2 shown]
	v_cndmask_b32_e32 v148, v148, v163, vcc_lo
	v_lshrrev_b32_e32 v147, 16, v157
	v_cndmask_b32_e64 v132, v132, v153, s24
	v_cndmask_b32_e64 v149, v149, v153, s28
	;; [unrolled: 1-line block ×11, first 2 shown]
	v_perm_b32 v132, v165, v164, 0x5040100
	v_perm_b32 v149, v150, v149, 0x5040100
	;; [unrolled: 1-line block ×5, first 2 shown]
	s_lshl_b32 s7, s35, 4
	s_mov_b32 s2, exec_lo
	ds_store_b128 v131, v[132:135]
	ds_store_b128 v131, v[146:149] offset:1024
	v_cmpx_gt_u32_e32 16, v0
	s_cbranch_execz .LBB629_78
; %bb.77:
	v_or_b32_e32 v131, s29, v0
	s_load_b128 s[8:11], s[0:1], 0x58
	s_delay_alu instid0(VALU_DEP_1) | instskip(NEXT) | instid1(VALU_DEP_1)
	v_mad_u64_u32 v[132:133], null, s7, s30, v[131:132]
	v_mad_u64_u32 v[133:134], null, v132, s34, s[14:15]
	s_delay_alu instid0(VALU_DEP_1) | instskip(NEXT) | instid1(VALU_DEP_1)
	v_ashrrev_i32_e32 v134, 31, v133
	v_lshlrev_b64 v[131:132], 2, v[133:134]
	s_waitcnt lgkmcnt(0)
	s_delay_alu instid0(VALU_DEP_1) | instskip(NEXT) | instid1(VALU_DEP_2)
	v_add_co_u32 v133, vcc_lo, s10, v131
	v_add_co_ci_u32_e32 v134, vcc_lo, s11, v132, vcc_lo
	v_add_co_u32 v131, vcc_lo, s8, v131
	v_add_co_ci_u32_e32 v132, vcc_lo, s9, v132, vcc_lo
	global_store_b32 v[133:134], v129, off
	global_store_b32 v[131:132], v130, off
.LBB629_78:
	s_or_b32 exec_lo, exec_lo, s2
	s_waitcnt lgkmcnt(0)
	s_waitcnt_vscnt null, 0x0
	s_barrier
	buffer_gl0_inv
	ds_load_b128 v[146:149], v141
	ds_load_b128 v[150:153], v141 offset:16
	ds_load_b128 v[158:161], v141 offset:1040
	;; [unrolled: 1-line block ×3, first 2 shown]
	v_mov_b32_e32 v129, 0
	ds_load_b128 v[166:169], v141 offset:2064
	ds_load_b128 v[162:165], v141 offset:2048
	;; [unrolled: 1-line block ×6, first 2 shown]
	v_mov_b32_e32 v130, v129
	v_mov_b32_e32 v131, v129
	;; [unrolled: 1-line block ×7, first 2 shown]
	s_waitcnt lgkmcnt(8)
	s_delay_alu instid0(VALU_DEP_1)
	v_wmma_f32_16x16x16_bf16 v[129:136], v[121:128], v[146:153], v[129:136]
	ds_load_b128 v[125:128], v141 offset:5136
	ds_load_b128 v[121:124], v141 offset:5120
	s_waitcnt lgkmcnt(8)
	v_wmma_f32_16x16x16_bf16 v[129:136], v[113:120], v[154:161], v[129:136]
	ds_load_b128 v[117:120], v141 offset:6160
	ds_load_b128 v[113:116], v141 offset:6144
	s_waitcnt lgkmcnt(8)
	v_wmma_f32_16x16x16_bf16 v[129:136], v[105:112], v[162:169], v[129:136]
	ds_load_b128 v[109:112], v141 offset:7184
	ds_load_b128 v[105:108], v141 offset:7168
	s_waitcnt lgkmcnt(8)
	v_wmma_f32_16x16x16_bf16 v[129:136], v[97:104], v[170:177], v[129:136]
	ds_load_b128 v[101:104], v141 offset:8208
	ds_load_b128 v[97:100], v141 offset:8192
	s_waitcnt lgkmcnt(8)
	v_wmma_f32_16x16x16_bf16 v[129:136], v[89:96], v[178:185], v[129:136]
	ds_load_b128 v[93:96], v141 offset:9232
	ds_load_b128 v[89:92], v141 offset:9216
	s_waitcnt lgkmcnt(8)
	v_wmma_f32_16x16x16_bf16 v[129:136], v[81:88], v[121:128], v[129:136]
	ds_load_b128 v[85:88], v141 offset:10256
	ds_load_b128 v[81:84], v141 offset:10240
	s_waitcnt lgkmcnt(8)
	v_wmma_f32_16x16x16_bf16 v[129:136], v[73:80], v[113:120], v[129:136]
	ds_load_b128 v[77:80], v141 offset:11280
	ds_load_b128 v[73:76], v141 offset:11264
	s_waitcnt lgkmcnt(8)
	v_wmma_f32_16x16x16_bf16 v[129:136], v[57:64], v[105:112], v[129:136]
	ds_load_b128 v[61:64], v141 offset:12304
	ds_load_b128 v[57:60], v141 offset:12288
	s_waitcnt lgkmcnt(8)
	v_wmma_f32_16x16x16_bf16 v[129:136], v[65:72], v[97:104], v[129:136]
	s_waitcnt lgkmcnt(6)
	s_delay_alu instid0(VALU_DEP_1)
	v_wmma_f32_16x16x16_bf16 v[129:136], v[49:56], v[89:96], v[129:136]
	ds_load_b128 v[53:56], v141 offset:13328
	ds_load_b128 v[49:52], v141 offset:13312
	s_waitcnt lgkmcnt(6)
	v_wmma_f32_16x16x16_bf16 v[129:136], v[41:48], v[81:88], v[129:136]
	ds_load_b128 v[45:48], v141 offset:14352
	ds_load_b128 v[41:44], v141 offset:14336
	s_waitcnt lgkmcnt(6)
	;; [unrolled: 4-line block ×3, first 2 shown]
	v_wmma_f32_16x16x16_bf16 v[129:136], v[1:8], v[57:64], v[129:136]
	s_waitcnt lgkmcnt(4)
	s_delay_alu instid0(VALU_DEP_1) | instskip(SKIP_1) | instid1(VALU_DEP_1)
	v_wmma_f32_16x16x16_bf16 v[129:136], v[25:32], v[49:56], v[129:136]
	s_waitcnt lgkmcnt(2)
	v_wmma_f32_16x16x16_bf16 v[129:136], v[33:40], v[41:48], v[129:136]
	s_waitcnt lgkmcnt(0)
	s_delay_alu instid0(VALU_DEP_1) | instskip(NEXT) | instid1(VALU_DEP_1)
	v_wmma_f32_16x16x16_bf16 v[129:136], v[9:16], v[17:24], v[129:136]
	v_and_b32_e32 v1, 0x7f800000, v129
	s_delay_alu instid0(VALU_DEP_1) | instskip(SKIP_1) | instid1(SALU_CYCLE_1)
	v_cmp_ne_u32_e32 vcc_lo, 0x7f800000, v1
                                        ; implicit-def: $vgpr1
	s_and_saveexec_b32 s2, vcc_lo
	s_xor_b32 s2, exec_lo, s2
; %bb.79:
	v_bfe_u32 v1, v129, 16, 1
	s_delay_alu instid0(VALU_DEP_1)
	v_add3_u32 v1, v129, v1, 0x7fff
; %bb.80:
	s_and_not1_saveexec_b32 s2, s2
; %bb.81:
	v_and_b32_e32 v1, 0xffff, v129
	v_or_b32_e32 v2, 0x10000, v129
	s_delay_alu instid0(VALU_DEP_2) | instskip(NEXT) | instid1(VALU_DEP_2)
	v_cmp_eq_u32_e32 vcc_lo, 0, v1
	v_cndmask_b32_e32 v1, v2, v129, vcc_lo
; %bb.82:
	s_or_b32 exec_lo, exec_lo, s2
	v_and_b32_e32 v2, 0x7f800000, v130
	s_delay_alu instid0(VALU_DEP_1) | instskip(SKIP_1) | instid1(SALU_CYCLE_1)
	v_cmp_ne_u32_e32 vcc_lo, 0x7f800000, v2
                                        ; implicit-def: $vgpr2
	s_and_saveexec_b32 s2, vcc_lo
	s_xor_b32 s2, exec_lo, s2
; %bb.83:
	v_bfe_u32 v2, v130, 16, 1
	s_delay_alu instid0(VALU_DEP_1)
	v_add3_u32 v2, v130, v2, 0x7fff
; %bb.84:
	s_and_not1_saveexec_b32 s2, s2
; %bb.85:
	v_and_b32_e32 v2, 0xffff, v130
	v_or_b32_e32 v3, 0x10000, v130
	s_delay_alu instid0(VALU_DEP_2) | instskip(NEXT) | instid1(VALU_DEP_2)
	v_cmp_eq_u32_e32 vcc_lo, 0, v2
	v_cndmask_b32_e32 v2, v3, v130, vcc_lo
; %bb.86:
	s_or_b32 exec_lo, exec_lo, s2
	v_and_b32_e32 v3, 0x7f800000, v131
	s_delay_alu instid0(VALU_DEP_1) | instskip(SKIP_1) | instid1(SALU_CYCLE_1)
	v_cmp_ne_u32_e32 vcc_lo, 0x7f800000, v3
                                        ; implicit-def: $vgpr3
	s_and_saveexec_b32 s2, vcc_lo
	s_xor_b32 s2, exec_lo, s2
; %bb.87:
	v_bfe_u32 v3, v131, 16, 1
	s_delay_alu instid0(VALU_DEP_1)
	v_add3_u32 v3, v131, v3, 0x7fff
; %bb.88:
	s_and_not1_saveexec_b32 s2, s2
; %bb.89:
	v_and_b32_e32 v3, 0xffff, v131
	v_or_b32_e32 v4, 0x10000, v131
	s_delay_alu instid0(VALU_DEP_2) | instskip(NEXT) | instid1(VALU_DEP_2)
	v_cmp_eq_u32_e32 vcc_lo, 0, v3
	v_cndmask_b32_e32 v3, v4, v131, vcc_lo
; %bb.90:
	s_or_b32 exec_lo, exec_lo, s2
	v_and_b32_e32 v4, 0x7f800000, v132
	s_delay_alu instid0(VALU_DEP_1) | instskip(SKIP_1) | instid1(SALU_CYCLE_1)
	v_cmp_ne_u32_e32 vcc_lo, 0x7f800000, v4
                                        ; implicit-def: $vgpr4
	s_and_saveexec_b32 s2, vcc_lo
	s_xor_b32 s2, exec_lo, s2
; %bb.91:
	v_bfe_u32 v4, v132, 16, 1
	s_delay_alu instid0(VALU_DEP_1)
	v_add3_u32 v4, v132, v4, 0x7fff
; %bb.92:
	s_and_not1_saveexec_b32 s2, s2
; %bb.93:
	v_and_b32_e32 v4, 0xffff, v132
	v_or_b32_e32 v5, 0x10000, v132
	s_delay_alu instid0(VALU_DEP_2) | instskip(NEXT) | instid1(VALU_DEP_2)
	v_cmp_eq_u32_e32 vcc_lo, 0, v4
	v_cndmask_b32_e32 v4, v5, v132, vcc_lo
; %bb.94:
	s_or_b32 exec_lo, exec_lo, s2
	v_and_b32_e32 v5, 0x7f800000, v133
	s_delay_alu instid0(VALU_DEP_1) | instskip(SKIP_1) | instid1(SALU_CYCLE_1)
	v_cmp_ne_u32_e32 vcc_lo, 0x7f800000, v5
                                        ; implicit-def: $vgpr5
	s_and_saveexec_b32 s2, vcc_lo
	s_xor_b32 s2, exec_lo, s2
; %bb.95:
	v_bfe_u32 v5, v133, 16, 1
	s_delay_alu instid0(VALU_DEP_1)
	v_add3_u32 v5, v133, v5, 0x7fff
; %bb.96:
	s_and_not1_saveexec_b32 s2, s2
; %bb.97:
	v_and_b32_e32 v5, 0xffff, v133
	v_or_b32_e32 v6, 0x10000, v133
	s_delay_alu instid0(VALU_DEP_2) | instskip(NEXT) | instid1(VALU_DEP_2)
	v_cmp_eq_u32_e32 vcc_lo, 0, v5
	v_cndmask_b32_e32 v5, v6, v133, vcc_lo
; %bb.98:
	s_or_b32 exec_lo, exec_lo, s2
	v_and_b32_e32 v6, 0x7f800000, v134
	s_delay_alu instid0(VALU_DEP_1) | instskip(SKIP_1) | instid1(SALU_CYCLE_1)
	v_cmp_ne_u32_e32 vcc_lo, 0x7f800000, v6
                                        ; implicit-def: $vgpr6
	s_and_saveexec_b32 s2, vcc_lo
	s_xor_b32 s2, exec_lo, s2
; %bb.99:
	v_bfe_u32 v6, v134, 16, 1
	s_delay_alu instid0(VALU_DEP_1)
	v_add3_u32 v6, v134, v6, 0x7fff
; %bb.100:
	s_and_not1_saveexec_b32 s2, s2
; %bb.101:
	v_and_b32_e32 v6, 0xffff, v134
	v_or_b32_e32 v7, 0x10000, v134
	s_delay_alu instid0(VALU_DEP_2) | instskip(NEXT) | instid1(VALU_DEP_2)
	v_cmp_eq_u32_e32 vcc_lo, 0, v6
	v_cndmask_b32_e32 v6, v7, v134, vcc_lo
; %bb.102:
	s_or_b32 exec_lo, exec_lo, s2
	v_and_b32_e32 v7, 0x7f800000, v135
	s_delay_alu instid0(VALU_DEP_1) | instskip(SKIP_1) | instid1(SALU_CYCLE_1)
	v_cmp_ne_u32_e32 vcc_lo, 0x7f800000, v7
                                        ; implicit-def: $vgpr7
	s_and_saveexec_b32 s2, vcc_lo
	s_xor_b32 s2, exec_lo, s2
; %bb.103:
	v_bfe_u32 v7, v135, 16, 1
	s_delay_alu instid0(VALU_DEP_1)
	v_add3_u32 v7, v135, v7, 0x7fff
; %bb.104:
	s_and_not1_saveexec_b32 s2, s2
; %bb.105:
	v_and_b32_e32 v7, 0xffff, v135
	v_or_b32_e32 v8, 0x10000, v135
	s_delay_alu instid0(VALU_DEP_2) | instskip(NEXT) | instid1(VALU_DEP_2)
	v_cmp_eq_u32_e32 vcc_lo, 0, v7
	v_cndmask_b32_e32 v7, v8, v135, vcc_lo
; %bb.106:
	s_or_b32 exec_lo, exec_lo, s2
	v_and_b32_e32 v8, 0x7f800000, v136
	s_delay_alu instid0(VALU_DEP_1) | instskip(SKIP_1) | instid1(SALU_CYCLE_1)
	v_cmp_ne_u32_e32 vcc_lo, 0x7f800000, v8
                                        ; implicit-def: $vgpr8
	s_and_saveexec_b32 s2, vcc_lo
	s_xor_b32 s2, exec_lo, s2
; %bb.107:
	v_bfe_u32 v8, v136, 16, 1
	s_delay_alu instid0(VALU_DEP_1)
	v_add3_u32 v8, v136, v8, 0x7fff
                                        ; implicit-def: $vgpr129_vgpr130_vgpr131_vgpr132_vgpr133_vgpr134_vgpr135_vgpr136
; %bb.108:
	s_and_not1_saveexec_b32 s2, s2
; %bb.109:
	v_and_b32_e32 v8, 0xffff, v136
	v_or_b32_e32 v9, 0x10000, v136
	s_delay_alu instid0(VALU_DEP_2) | instskip(NEXT) | instid1(VALU_DEP_2)
	v_cmp_eq_u32_e32 vcc_lo, 0, v8
	v_cndmask_b32_e32 v8, v9, v136, vcc_lo
; %bb.110:
	s_or_b32 exec_lo, exec_lo, s2
	s_delay_alu instid0(VALU_DEP_1)
	v_perm_b32 v7, v8, v7, 0x7060302
	v_perm_b32 v6, v6, v5, 0x7060302
	;; [unrolled: 1-line block ×4, first 2 shown]
	v_lshl_or_b32 v9, v138, 4, v144
	s_barrier
	buffer_gl0_inv
	v_cmp_eq_u32_e32 vcc_lo, 1, v142
	ds_store_b128 v9, v[4:7]
	s_waitcnt lgkmcnt(0)
	s_barrier
	buffer_gl0_inv
	ds_load_b128 v[1:4], v144
	ds_load_b128 v[5:8], v144 offset:16
	v_cmp_eq_u32_e64 s3, 2, v142
	v_cmp_eq_u32_e64 s2, 1, v143
	;; [unrolled: 1-line block ×5, first 2 shown]
	s_waitcnt lgkmcnt(1)
	v_lshrrev_b32_e32 v10, 16, v1
	s_waitcnt lgkmcnt(0)
	v_lshrrev_b32_e32 v14, 16, v5
	v_lshrrev_b32_e32 v15, 16, v6
	;; [unrolled: 1-line block ×4, first 2 shown]
	v_cndmask_b32_e64 v20, v1, v10, s2
	v_cndmask_b32_e32 v19, v5, v14, vcc_lo
	v_cndmask_b32_e64 v21, v5, v14, s2
	v_lshrrev_b32_e32 v16, 16, v7
	v_cmp_eq_u32_e64 s2, 1, v140
	v_lshrrev_b32_e32 v13, 16, v4
	v_cndmask_b32_e64 v19, v19, v6, s3
	v_lshrrev_b32_e32 v17, 16, v8
	s_delay_alu instid0(VALU_DEP_4) | instskip(SKIP_1) | instid1(VALU_DEP_4)
	v_cndmask_b32_e64 v22, v1, v10, s2
	v_cndmask_b32_e64 v23, v5, v14, s2
	v_cndmask_b32_e64 v19, v19, v15, s4
	v_cndmask_b32_e32 v18, v1, v10, vcc_lo
	v_cmp_eq_u32_e32 vcc_lo, 2, v143
	v_cmp_eq_u32_e64 s2, 2, v145
	v_cndmask_b32_e64 v22, v22, v2, s6
	v_cndmask_b32_e32 v20, v20, v2, vcc_lo
	v_cndmask_b32_e32 v21, v21, v6, vcc_lo
	v_cmp_eq_u32_e32 vcc_lo, 4, v142
	v_cndmask_b32_e32 v19, v19, v7, vcc_lo
	v_cndmask_b32_e64 v18, v18, v2, s3
	v_cmp_eq_u32_e64 s3, 3, v143
	s_delay_alu instid0(VALU_DEP_2) | instskip(NEXT) | instid1(VALU_DEP_2)
	v_cndmask_b32_e64 v18, v18, v11, s4
	v_cndmask_b32_e64 v21, v21, v15, s3
	v_cmp_eq_u32_e64 s4, 5, v142
	s_delay_alu instid0(VALU_DEP_3) | instskip(SKIP_1) | instid1(VALU_DEP_3)
	v_cndmask_b32_e32 v18, v18, v3, vcc_lo
	v_cmp_eq_u32_e32 vcc_lo, 4, v143
	v_cndmask_b32_e64 v19, v19, v16, s4
	s_delay_alu instid0(VALU_DEP_3) | instskip(SKIP_4) | instid1(VALU_DEP_3)
	v_cndmask_b32_e64 v18, v18, v12, s4
	v_cndmask_b32_e32 v21, v21, v7, vcc_lo
	v_cndmask_b32_e64 v20, v20, v11, s3
	v_cmp_eq_u32_e64 s3, 5, v143
	v_cmp_eq_u32_e64 s4, 6, v142
	v_cndmask_b32_e32 v20, v20, v3, vcc_lo
	s_delay_alu instid0(VALU_DEP_3) | instskip(SKIP_1) | instid1(VALU_DEP_4)
	v_cndmask_b32_e64 v21, v21, v16, s3
	v_cmp_eq_u32_e32 vcc_lo, 6, v143
	v_cndmask_b32_e64 v18, v18, v4, s4
	v_cndmask_b32_e64 v19, v19, v8, s4
	;; [unrolled: 1-line block ×3, first 2 shown]
	v_cmp_eq_u32_e64 s3, 1, v145
	v_cmp_eq_u32_e64 s4, 7, v142
	s_delay_alu instid0(VALU_DEP_3) | instskip(NEXT) | instid1(VALU_DEP_3)
	v_cndmask_b32_e32 v20, v20, v4, vcc_lo
	v_cndmask_b32_e64 v1, v1, v10, s3
	v_cndmask_b32_e64 v5, v5, v14, s3
	v_cmp_eq_u32_e64 s3, 3, v140
	v_cndmask_b32_e64 v14, v23, v6, s6
	v_cmp_eq_u32_e64 s6, 3, v145
	v_cndmask_b32_e64 v1, v1, v2, s2
	v_cndmask_b32_e64 v2, v5, v6, s2
	;; [unrolled: 1-line block ×3, first 2 shown]
	v_cmp_eq_u32_e64 s2, 4, v140
	v_cndmask_b32_e64 v6, v14, v15, s3
	v_cndmask_b32_e64 v1, v1, v11, s6
	v_cmp_eq_u32_e64 s3, 4, v145
	v_cndmask_b32_e64 v2, v2, v15, s6
	v_cndmask_b32_e64 v5, v10, v3, s2
	;; [unrolled: 3-line block ×3, first 2 shown]
	v_cndmask_b32_e64 v2, v2, v7, s3
	v_cmp_eq_u32_e64 s2, 5, v145
	v_cndmask_b32_e64 v5, v5, v12, s6
	v_cmp_eq_u32_e64 s3, 6, v140
	;; [unrolled: 2-line block ×3, first 2 shown]
	v_cndmask_b32_e64 v1, v1, v12, s2
	v_cndmask_b32_e64 v2, v2, v16, s2
	;; [unrolled: 1-line block ×4, first 2 shown]
	v_cmp_eq_u32_e64 s2, 7, v145
	v_cndmask_b32_e64 v1, v1, v4, s6
	v_cndmask_b32_e64 v2, v2, v8, s6
	v_cmp_eq_u32_e64 s3, 7, v140
	v_cndmask_b32_e32 v4, v21, v8, vcc_lo
	v_cndmask_b32_e64 v18, v18, v13, s4
	v_cndmask_b32_e64 v20, v20, v13, s5
	;; [unrolled: 1-line block ×8, first 2 shown]
	s_mov_b32 s2, exec_lo
	v_perm_b32 v4, v2, v1, 0x5040100
	v_perm_b32 v3, v3, v5, 0x5040100
	;; [unrolled: 1-line block ×4, first 2 shown]
	ds_store_b128 v9, v[1:4]
	s_waitcnt lgkmcnt(0)
	s_barrier
	buffer_gl0_inv
	v_cmpx_gt_u32_e32 32, v0
	s_cbranch_execz .LBB629_2
; %bb.111:
	s_load_b64 s[0:1], s[0:1], 0x68
	v_lshlrev_b32_e32 v0, 10, v0
	s_lshl_b32 s4, s34, 7
	v_or_b32_e32 v23, s29, v138
	s_mul_i32 s2, s4, s30
	v_lshlrev_b32_e32 v1, 4, v139
	v_lshlrev_b32_e32 v2, 6, v138
	s_mul_i32 s2, s2, s7
	v_and_b32_e32 v0, 0x3800, v0
	v_mul_lo_u32 v8, v23, s4
	s_ashr_i32 s3, s2, 31
	v_or_b32_e32 v3, 2, v23
	s_lshl_b64 s[2:3], s[2:3], 1
	v_or3_b32 v27, v0, v1, v2
	v_or_b32_e32 v11, 4, v23
	v_or_b32_e32 v18, 6, v23
	v_mul_lo_u32 v10, v3, s4
	v_ashrrev_i32_e32 v9, 31, v8
	ds_load_b128 v[0:3], v27
	ds_load_b128 v[4:7], v27 offset:128
	v_mul_lo_u32 v12, v11, s4
	s_waitcnt lgkmcnt(0)
	s_add_u32 s2, s0, s2
	s_addc_u32 s3, s1, s3
	s_lshl_b32 s0, s14, 7
	v_lshlrev_b64 v[8:9], 1, v[8:9]
	s_ashr_i32 s1, s0, 31
	v_ashrrev_i32_e32 v11, 31, v10
	s_lshl_b64 s[0:1], s[0:1], 1
	v_ashrrev_i32_e32 v13, 31, v12
	s_add_u32 s0, s2, s0
	s_addc_u32 s1, s3, s1
	v_add_co_u32 v30, s0, s0, v137
	s_delay_alu instid0(VALU_DEP_1) | instskip(SKIP_1) | instid1(VALU_DEP_3)
	v_add_co_ci_u32_e64 v31, null, s1, 0, s0
	v_lshlrev_b64 v[16:17], 1, v[10:11]
	v_add_co_u32 v14, vcc_lo, v30, v8
	s_delay_alu instid0(VALU_DEP_3)
	v_add_co_ci_u32_e32 v15, vcc_lo, v31, v9, vcc_lo
	ds_load_b128 v[8:11], v27 offset:256
	v_mul_lo_u32 v18, v18, s4
	v_or_b32_e32 v19, 8, v23
	v_add_co_u32 v16, vcc_lo, v30, v16
	global_store_b128 v[14:15], v[0:3], off
	v_lshlrev_b64 v[0:1], 1, v[12:13]
	v_add_co_ci_u32_e32 v17, vcc_lo, v31, v17, vcc_lo
	v_mul_lo_u32 v12, v19, s4
	v_ashrrev_i32_e32 v19, 31, v18
	v_or_b32_e32 v14, 10, v23
	global_store_b128 v[16:17], v[4:7], off
	v_add_co_u32 v4, vcc_lo, v30, v0
	v_add_co_ci_u32_e32 v5, vcc_lo, v31, v1, vcc_lo
	ds_load_b128 v[0:3], v27 offset:384
	v_ashrrev_i32_e32 v13, 31, v12
	v_lshlrev_b64 v[6:7], 1, v[18:19]
	v_mul_lo_u32 v14, v14, s4
	s_waitcnt lgkmcnt(1)
	global_store_b128 v[4:5], v[8:11], off
	v_or_b32_e32 v8, 12, v23
	v_lshlrev_b64 v[4:5], 1, v[12:13]
	v_add_co_u32 v20, vcc_lo, v30, v6
	v_or_b32_e32 v6, 14, v23
	v_ashrrev_i32_e32 v15, 31, v14
	v_mul_lo_u32 v22, v8, s4
	v_add_co_ci_u32_e32 v21, vcc_lo, v31, v7, vcc_lo
	v_add_co_u32 v24, vcc_lo, v30, v4
	v_mul_lo_u32 v26, v6, s4
	v_add_co_ci_u32_e32 v25, vcc_lo, v31, v5, vcc_lo
	v_lshlrev_b64 v[28:29], 1, v[14:15]
	ds_load_b128 v[4:7], v27 offset:512
	ds_load_b128 v[8:11], v27 offset:640
	;; [unrolled: 1-line block ×4, first 2 shown]
	v_ashrrev_i32_e32 v23, 31, v22
	v_ashrrev_i32_e32 v27, 31, v26
	v_add_co_u32 v28, vcc_lo, v30, v28
	s_delay_alu instid0(VALU_DEP_3) | instskip(SKIP_1) | instid1(VALU_DEP_4)
	v_lshlrev_b64 v[22:23], 1, v[22:23]
	v_add_co_ci_u32_e32 v29, vcc_lo, v31, v29, vcc_lo
	v_lshlrev_b64 v[26:27], 1, v[26:27]
	s_delay_alu instid0(VALU_DEP_3) | instskip(NEXT) | instid1(VALU_DEP_4)
	v_add_co_u32 v22, vcc_lo, v30, v22
	v_add_co_ci_u32_e32 v23, vcc_lo, v31, v23, vcc_lo
	s_delay_alu instid0(VALU_DEP_3) | instskip(NEXT) | instid1(VALU_DEP_4)
	v_add_co_u32 v26, vcc_lo, v30, v26
	v_add_co_ci_u32_e32 v27, vcc_lo, v31, v27, vcc_lo
	s_waitcnt lgkmcnt(4)
	global_store_b128 v[20:21], v[0:3], off
	s_waitcnt lgkmcnt(3)
	global_store_b128 v[24:25], v[4:7], off
	;; [unrolled: 2-line block ×5, first 2 shown]
	s_nop 0
	s_sendmsg sendmsg(MSG_DEALLOC_VGPRS)
	s_endpgm
	.section	.rodata,"a",@progbits
	.p2align	6, 0x0
	.amdhsa_kernel _Z39paged_attention_ll4mi_QKV_mfma16_kernelI14__hip_bfloat16S0_LN4vllm18Fp8KVCacheDataTypeE0EhLi16ELi128ELi256ELb0ELi16EL8MFMAType0EEvPKT_PKT0_S9_ifPKiSB_SB_iPKfiiiPfSE_PS4_PT2_iSD_SD_
		.amdhsa_group_segment_fixed_size 17472
		.amdhsa_private_segment_fixed_size 0
		.amdhsa_kernarg_size 400
		.amdhsa_user_sgpr_count 13
		.amdhsa_user_sgpr_dispatch_ptr 0
		.amdhsa_user_sgpr_queue_ptr 0
		.amdhsa_user_sgpr_kernarg_segment_ptr 1
		.amdhsa_user_sgpr_dispatch_id 0
		.amdhsa_user_sgpr_private_segment_size 0
		.amdhsa_wavefront_size32 1
		.amdhsa_uses_dynamic_stack 0
		.amdhsa_enable_private_segment 0
		.amdhsa_system_sgpr_workgroup_id_x 1
		.amdhsa_system_sgpr_workgroup_id_y 1
		.amdhsa_system_sgpr_workgroup_id_z 1
		.amdhsa_system_sgpr_workgroup_info 0
		.amdhsa_system_vgpr_workitem_id 0
		.amdhsa_next_free_vgpr 218
		.amdhsa_next_free_sgpr 50
		.amdhsa_reserve_vcc 1
		.amdhsa_float_round_mode_32 0
		.amdhsa_float_round_mode_16_64 0
		.amdhsa_float_denorm_mode_32 3
		.amdhsa_float_denorm_mode_16_64 3
		.amdhsa_dx10_clamp 1
		.amdhsa_ieee_mode 1
		.amdhsa_fp16_overflow 0
		.amdhsa_workgroup_processor_mode 1
		.amdhsa_memory_ordered 1
		.amdhsa_forward_progress 0
		.amdhsa_shared_vgpr_count 0
		.amdhsa_exception_fp_ieee_invalid_op 0
		.amdhsa_exception_fp_denorm_src 0
		.amdhsa_exception_fp_ieee_div_zero 0
		.amdhsa_exception_fp_ieee_overflow 0
		.amdhsa_exception_fp_ieee_underflow 0
		.amdhsa_exception_fp_ieee_inexact 0
		.amdhsa_exception_int_div_zero 0
	.end_amdhsa_kernel
	.section	.text._Z39paged_attention_ll4mi_QKV_mfma16_kernelI14__hip_bfloat16S0_LN4vllm18Fp8KVCacheDataTypeE0EhLi16ELi128ELi256ELb0ELi16EL8MFMAType0EEvPKT_PKT0_S9_ifPKiSB_SB_iPKfiiiPfSE_PS4_PT2_iSD_SD_,"axG",@progbits,_Z39paged_attention_ll4mi_QKV_mfma16_kernelI14__hip_bfloat16S0_LN4vllm18Fp8KVCacheDataTypeE0EhLi16ELi128ELi256ELb0ELi16EL8MFMAType0EEvPKT_PKT0_S9_ifPKiSB_SB_iPKfiiiPfSE_PS4_PT2_iSD_SD_,comdat
.Lfunc_end629:
	.size	_Z39paged_attention_ll4mi_QKV_mfma16_kernelI14__hip_bfloat16S0_LN4vllm18Fp8KVCacheDataTypeE0EhLi16ELi128ELi256ELb0ELi16EL8MFMAType0EEvPKT_PKT0_S9_ifPKiSB_SB_iPKfiiiPfSE_PS4_PT2_iSD_SD_, .Lfunc_end629-_Z39paged_attention_ll4mi_QKV_mfma16_kernelI14__hip_bfloat16S0_LN4vllm18Fp8KVCacheDataTypeE0EhLi16ELi128ELi256ELb0ELi16EL8MFMAType0EEvPKT_PKT0_S9_ifPKiSB_SB_iPKfiiiPfSE_PS4_PT2_iSD_SD_
                                        ; -- End function
	.section	.AMDGPU.csdata,"",@progbits
; Kernel info:
; codeLenInByte = 10488
; NumSgprs: 52
; NumVgprs: 218
; ScratchSize: 0
; MemoryBound: 0
; FloatMode: 240
; IeeeMode: 1
; LDSByteSize: 17472 bytes/workgroup (compile time only)
; SGPRBlocks: 6
; VGPRBlocks: 27
; NumSGPRsForWavesPerEU: 52
; NumVGPRsForWavesPerEU: 218
; Occupancy: 6
; WaveLimiterHint : 1
; COMPUTE_PGM_RSRC2:SCRATCH_EN: 0
; COMPUTE_PGM_RSRC2:USER_SGPR: 13
; COMPUTE_PGM_RSRC2:TRAP_HANDLER: 0
; COMPUTE_PGM_RSRC2:TGID_X_EN: 1
; COMPUTE_PGM_RSRC2:TGID_Y_EN: 1
; COMPUTE_PGM_RSRC2:TGID_Z_EN: 1
; COMPUTE_PGM_RSRC2:TIDIG_COMP_CNT: 0
	.section	.text._Z39paged_attention_ll4mi_QKV_mfma16_kernelI14__hip_bfloat16S0_LN4vllm18Fp8KVCacheDataTypeE0EhLi16ELi128ELi256ELb0ELi1EL8MFMAType0EEvPKT_PKT0_S9_ifPKiSB_SB_iPKfiiiPfSE_PS4_PT2_iSD_SD_,"axG",@progbits,_Z39paged_attention_ll4mi_QKV_mfma16_kernelI14__hip_bfloat16S0_LN4vllm18Fp8KVCacheDataTypeE0EhLi16ELi128ELi256ELb0ELi1EL8MFMAType0EEvPKT_PKT0_S9_ifPKiSB_SB_iPKfiiiPfSE_PS4_PT2_iSD_SD_,comdat
	.protected	_Z39paged_attention_ll4mi_QKV_mfma16_kernelI14__hip_bfloat16S0_LN4vllm18Fp8KVCacheDataTypeE0EhLi16ELi128ELi256ELb0ELi1EL8MFMAType0EEvPKT_PKT0_S9_ifPKiSB_SB_iPKfiiiPfSE_PS4_PT2_iSD_SD_ ; -- Begin function _Z39paged_attention_ll4mi_QKV_mfma16_kernelI14__hip_bfloat16S0_LN4vllm18Fp8KVCacheDataTypeE0EhLi16ELi128ELi256ELb0ELi1EL8MFMAType0EEvPKT_PKT0_S9_ifPKiSB_SB_iPKfiiiPfSE_PS4_PT2_iSD_SD_
	.globl	_Z39paged_attention_ll4mi_QKV_mfma16_kernelI14__hip_bfloat16S0_LN4vllm18Fp8KVCacheDataTypeE0EhLi16ELi128ELi256ELb0ELi1EL8MFMAType0EEvPKT_PKT0_S9_ifPKiSB_SB_iPKfiiiPfSE_PS4_PT2_iSD_SD_
	.p2align	8
	.type	_Z39paged_attention_ll4mi_QKV_mfma16_kernelI14__hip_bfloat16S0_LN4vllm18Fp8KVCacheDataTypeE0EhLi16ELi128ELi256ELb0ELi1EL8MFMAType0EEvPKT_PKT0_S9_ifPKiSB_SB_iPKfiiiPfSE_PS4_PT2_iSD_SD_,@function
_Z39paged_attention_ll4mi_QKV_mfma16_kernelI14__hip_bfloat16S0_LN4vllm18Fp8KVCacheDataTypeE0EhLi16ELi128ELi256ELb0ELi1EL8MFMAType0EEvPKT_PKT0_S9_ifPKiSB_SB_iPKfiiiPfSE_PS4_PT2_iSD_SD_: ; @_Z39paged_attention_ll4mi_QKV_mfma16_kernelI14__hip_bfloat16S0_LN4vllm18Fp8KVCacheDataTypeE0EhLi16ELi128ELi256ELb0ELi1EL8MFMAType0EEvPKT_PKT0_S9_ifPKiSB_SB_iPKfiiiPfSE_PS4_PT2_iSD_SD_
; %bb.0:
	s_load_b64 s[4:5], s[0:1], 0x30
	s_mov_b32 s34, s13
	s_waitcnt lgkmcnt(0)
	s_cmp_lg_u64 s[4:5], 0
	s_cselect_b32 s6, -1, 0
	s_ashr_i32 s35, s13, 31
	s_cmp_eq_u64 s[4:5], 0
	s_cbranch_scc1 .LBB630_3
; %bb.1:
	s_lshl_b64 s[2:3], s[34:35], 2
	s_delay_alu instid0(SALU_CYCLE_1) | instskip(SKIP_4) | instid1(SALU_CYCLE_1)
	s_add_u32 s2, s4, s2
	s_addc_u32 s3, s5, s3
	s_load_b64 s[2:3], s[2:3], 0x0
	s_waitcnt lgkmcnt(0)
	s_sub_i32 s2, s3, s2
	s_cmp_eq_u32 s2, 1
	s_cselect_b32 s2, -1, 0
	s_delay_alu instid0(SALU_CYCLE_1)
	s_and_not1_b32 vcc_lo, exec_lo, s2
	s_cbranch_vccz .LBB630_4
.LBB630_2:
	s_endpgm
.LBB630_3:
.LBB630_4:
	s_load_b64 s[2:3], s[0:1], 0x28
	s_lshl_b64 s[8:9], s[34:35], 2
	s_waitcnt lgkmcnt(0)
	s_add_u32 s2, s2, s8
	s_addc_u32 s3, s3, s9
	s_lshl_b32 s84, s14, 8
	s_load_b32 s33, s[2:3], 0x0
	s_waitcnt lgkmcnt(0)
	s_cmp_ge_i32 s84, s33
	s_cbranch_scc1 .LBB630_2
; %bb.5:
	s_clause 0x1
	s_load_b128 s[80:83], s[0:1], 0x8
	s_load_b64 s[2:3], s[0:1], 0x20
	s_and_not1_b32 vcc_lo, exec_lo, s6
	s_mov_b64 s[6:7], s[34:35]
	s_cbranch_vccnz .LBB630_7
; %bb.6:
	s_add_u32 s4, s4, s8
	s_addc_u32 s5, s5, s9
	s_load_b32 s6, s[4:5], 0x0
.LBB630_7:
	s_load_b128 s[76:79], s[0:1], 0x48
	v_and_b32_e32 v145, 15, v0
	s_mov_b32 s12, exec_lo
                                        ; implicit-def: $sgpr60
                                        ; implicit-def: $sgpr68
                                        ; implicit-def: $sgpr4
                                        ; implicit-def: $sgpr16
                                        ; implicit-def: $sgpr44
                                        ; implicit-def: $sgpr24
                                        ; implicit-def: $sgpr36
                                        ; implicit-def: $sgpr52
	s_delay_alu instid0(VALU_DEP_1)
	v_cmpx_eq_u32_e32 0, v145
	s_cbranch_execz .LBB630_9
; %bb.8:
	s_load_b64 s[4:5], s[0:1], 0x0
	s_waitcnt lgkmcnt(0)
	s_mul_hi_i32 s7, s6, s76
	s_mul_i32 s6, s6, s76
	s_delay_alu instid0(SALU_CYCLE_1) | instskip(NEXT) | instid1(SALU_CYCLE_1)
	s_lshl_b64 s[6:7], s[6:7], 1
	s_add_u32 s6, s4, s6
	s_addc_u32 s7, s5, s7
	s_lshl_b32 s4, s15, 7
	s_delay_alu instid0(SALU_CYCLE_1) | instskip(NEXT) | instid1(SALU_CYCLE_1)
	s_ashr_i32 s5, s4, 31
	s_lshl_b64 s[4:5], s[4:5], 1
	s_delay_alu instid0(SALU_CYCLE_1)
	s_add_u32 s52, s6, s4
	s_addc_u32 s53, s7, s5
	s_clause 0x7
	s_load_b256 s[60:67], s[52:53], 0x0
	s_load_b256 s[68:75], s[52:53], 0x20
	;; [unrolled: 1-line block ×8, first 2 shown]
.LBB630_9:
	s_or_b32 exec_lo, exec_lo, s12
	s_waitcnt lgkmcnt(0)
	v_dual_mov_b32 v128, s67 :: v_dual_and_b32 v1, 0xef, v0
	s_add_i32 s76, s33, 15
	s_clause 0x1
	s_load_b32 s13, s[0:1], 0x38
	s_load_b32 s35, s[0:1], 0x1c
	v_dual_mov_b32 v127, s66 :: v_dual_add_nc_u32 v2, s84, v1
	s_mul_i32 s12, s15, s78
	s_ashr_i32 s78, s76, 31
	v_mov_b32_e32 v125, s64
	s_delay_alu instid0(VALU_DEP_2)
	v_ashrrev_i32_e32 v1, 31, v2
	v_cmp_gt_i32_e32 vcc_lo, s33, v2
	s_lshr_b32 s79, s78, 28
	v_mov_b32_e32 v123, s62
	s_add_i32 s76, s76, s79
	v_lshrrev_b32_e32 v3, 28, v1
	s_ashr_i32 s86, s76, 4
	v_mov_b32_e32 v121, s60
	s_add_i32 s86, s86, -1
	v_mov_b32_e32 v171, s11
	v_dual_mov_b32 v126, s65 :: v_dual_add_nc_u32 v1, v2, v3
	v_or_b32_e32 v2, 16, v2
	s_waitcnt lgkmcnt(0)
	s_mul_i32 s78, s34, s13
	v_mov_b32_e32 v169, s9
	v_ashrrev_i32_e32 v1, 4, v1
	v_dual_mov_b32 v124, s63 :: v_dual_add_nc_u32 v3, v2, v3
	s_ashr_i32 s79, s78, 31
	v_mov_b32_e32 v167, s7
	s_delay_alu instid0(VALU_DEP_3)
	v_cndmask_b32_e32 v1, s86, v1, vcc_lo
	v_cmp_gt_i32_e32 vcc_lo, s33, v2
	v_ashrrev_i32_e32 v3, 4, v3
	s_lshl_b64 s[78:79], s[78:79], 2
	v_mov_b32_e32 v165, s5
	v_ashrrev_i32_e32 v2, 31, v1
	s_add_u32 s76, s2, s78
	v_cndmask_b32_e32 v3, s86, v3, vcc_lo
	s_addc_u32 s85, s3, s79
	s_ashr_i32 s13, s12, 31
	v_lshlrev_b64 v[1:2], 2, v[1:2]
	s_lshl_b64 s[2:3], s[12:13], 1
	v_ashrrev_i32_e32 v4, 31, v3
	s_add_u32 s96, s80, s2
	s_addc_u32 s97, s81, s3
	s_lshl_b32 s12, s14, 4
	v_add_co_u32 v1, vcc_lo, s76, v1
	v_lshlrev_b64 v[3:4], 2, v[3:4]
	v_add_co_ci_u32_e32 v2, vcc_lo, s85, v2, vcc_lo
	s_ashr_i32 s13, s12, 31
	v_mov_b32_e32 v179, s51
	s_lshl_b64 s[12:13], s[12:13], 2
	s_delay_alu instid0(VALU_DEP_3)
	v_add_co_u32 v3, vcc_lo, s76, v3
	v_add_co_ci_u32_e32 v4, vcc_lo, s85, v4, vcc_lo
	s_clause 0x1
	global_load_b32 v5, v[1:2], off
	global_load_b32 v6, v[3:4], off
	s_add_u32 s12, s76, s12
	s_addc_u32 s13, s85, s13
	s_or_b32 s78, s84, 16
	v_dual_mov_b32 v122, s61 :: v_dual_lshlrev_b32 v3, 4, v0
	s_ashr_i32 s79, s78, 4
	s_cmp_lt_i32 s78, s33
	s_mov_b32 s60, 0
	s_cselect_b32 s78, s79, s86
	s_mov_b32 s61, s60
	s_ashr_i32 s79, s78, 31
	s_mov_b32 s65, s60
	s_lshl_b64 s[78:79], s[78:79], 2
	v_mov_b32_e32 v155, s75
	s_add_u32 s78, s76, s78
	s_addc_u32 s79, s85, s79
	s_or_b32 s80, s84, 32
	v_mov_b32_e32 v153, s73
	s_ashr_i32 s81, s80, 4
	s_cmp_lt_i32 s80, s33
	v_mov_b32_e32 v152, s72
	s_cselect_b32 s80, s81, s86
	v_mov_b32_e32 v151, s71
	s_ashr_i32 s81, s80, 31
	v_mov_b32_e32 v150, s70
	s_lshl_b64 s[80:81], s[80:81], 2
	v_mov_b32_e32 v149, s69
	s_add_u32 s80, s76, s80
	s_addc_u32 s81, s85, s81
	s_or_b32 s87, s84, 48
	v_mov_b32_e32 v148, s68
	s_ashr_i32 s88, s87, 4
	s_cmp_lt_i32 s87, s33
	v_mov_b32_e32 v187, s31
	s_cselect_b32 s88, s88, s86
	v_dual_mov_b32 v177, s49 :: v_dual_mov_b32 v184, s28
	s_ashr_i32 s89, s88, 31
	v_dual_mov_b32 v175, s47 :: v_dual_mov_b32 v182, s26
	s_lshl_b64 s[88:89], s[88:89], 2
	v_dual_mov_b32 v173, s45 :: v_dual_mov_b32 v180, s24
	s_add_u32 s90, s76, s88
	s_addc_u32 s91, s85, s89
	s_or_b32 s87, s84, 64
	v_mov_b32_e32 v186, s30
	s_ashr_i32 s88, s87, 4
	s_cmp_lt_i32 s87, s33
	v_mov_b32_e32 v185, s29
	s_cselect_b32 s88, s88, s86
	v_mov_b32_e32 v183, s27
	s_ashr_i32 s89, s88, 31
	v_mov_b32_e32 v181, s25
	s_lshl_b64 s[88:89], s[88:89], 2
	v_lshrrev_b32_e32 v147, 5, v0
	s_add_u32 s92, s76, s88
	s_addc_u32 s93, s85, s89
	s_or_b32 s87, s84, 0x50
	v_mov_b32_e32 v195, s59
	s_ashr_i32 s88, s87, 4
	s_cmp_lt_i32 s87, s33
	v_mov_b32_e32 v194, s58
	s_cselect_b32 s88, s88, s86
	v_mov_b32_e32 v193, s57
	s_ashr_i32 s89, s88, 31
	v_mov_b32_e32 v191, s55
	s_lshl_b64 s[88:89], s[88:89], 2
	v_mov_b32_e32 v189, s53
	s_add_u32 s94, s76, s88
	s_addc_u32 s95, s85, s89
	s_clause 0x5
	s_load_b32 s88, s[12:13], 0x0
	s_load_b32 s87, s[78:79], 0x0
	s_load_b32 s81, s[80:81], 0x0
	s_load_b32 s13, s[90:91], 0x0
	s_load_b32 s12, s[92:93], 0x0
	s_load_b32 s80, s[94:95], 0x0
	v_mov_b32_e32 v154, s74
	v_mov_b32_e32 v170, s10
	;; [unrolled: 1-line block ×12, first 2 shown]
	s_waitcnt lgkmcnt(0)
	s_mul_hi_i32 s7, s87, s77
	s_mul_hi_i32 s11, s13, s77
	s_waitcnt vmcnt(1)
	v_mad_i64_i32 v[1:2], null, v5, s77, 0
	v_and_b32_e32 v5, 0xf0, v3
	s_waitcnt vmcnt(0)
	v_mad_i64_i32 v[3:4], null, v6, s77, 0
	s_delay_alu instid0(VALU_DEP_2) | instskip(NEXT) | instid1(VALU_DEP_4)
	v_add_co_u32 v5, s78, s96, v5
	v_lshlrev_b64 v[1:2], 1, v[1:2]
	v_add_co_ci_u32_e64 v6, null, s97, 0, s78
	s_delay_alu instid0(VALU_DEP_4) | instskip(SKIP_1) | instid1(VALU_DEP_3)
	v_lshlrev_b64 v[3:4], 1, v[3:4]
	s_or_b32 s78, s84, 0x60
	v_add_co_u32 v13, vcc_lo, v5, v1
	s_delay_alu instid0(VALU_DEP_3) | instskip(NEXT) | instid1(VALU_DEP_3)
	v_add_co_ci_u32_e32 v14, vcc_lo, v6, v2, vcc_lo
	v_add_co_u32 v129, vcc_lo, v5, v3
	s_delay_alu instid0(VALU_DEP_4)
	v_add_co_ci_u32_e32 v130, vcc_lo, v6, v4, vcc_lo
	s_clause 0x1f
	global_load_b128 v[89:92], v[13:14], off
	global_load_b128 v[93:96], v[13:14], off offset:256
	global_load_b128 v[97:100], v[129:130], off
	global_load_b128 v[101:104], v[129:130], off offset:256
	global_load_b128 v[105:108], v[13:14], off offset:512
	;; [unrolled: 1-line block ×29, first 2 shown]
	s_ashr_i32 s79, s78, 4
	s_cmp_lt_i32 s78, s33
	s_cselect_b32 s78, s79, s86
	s_delay_alu instid0(SALU_CYCLE_1) | instskip(NEXT) | instid1(SALU_CYCLE_1)
	s_ashr_i32 s79, s78, 31
	s_lshl_b64 s[78:79], s[78:79], 2
	s_delay_alu instid0(SALU_CYCLE_1)
	s_add_u32 s78, s76, s78
	s_addc_u32 s79, s85, s79
	s_or_b32 s89, s84, 0x70
	s_load_b32 s29, s[78:79], 0x0
	s_ashr_i32 s90, s89, 4
	s_cmp_lt_i32 s89, s33
	s_cselect_b32 s62, s90, s86
	s_delay_alu instid0(SALU_CYCLE_1) | instskip(NEXT) | instid1(SALU_CYCLE_1)
	s_ashr_i32 s63, s62, 31
	s_lshl_b64 s[62:63], s[62:63], 2
	s_delay_alu instid0(SALU_CYCLE_1)
	s_add_u32 s68, s76, s62
	s_addc_u32 s69, s85, s63
	s_or_b32 s63, s84, 0x80
	s_mov_b32 s62, s60
	s_ashr_i32 s64, s63, 4
	s_cmp_lt_i32 s63, s33
	s_mov_b32 s63, s60
	s_cselect_b32 s66, s64, s86
	s_mov_b32 s64, s60
	s_ashr_i32 s67, s66, 31
	s_load_b32 s30, s[68:69], 0x0
	s_lshl_b64 s[70:71], s[66:67], 2
	s_mov_b32 s67, s60
	s_add_u32 s70, s76, s70
	s_addc_u32 s71, s85, s71
	s_or_b32 s72, s84, 0x90
	s_load_b32 s31, s[70:71], 0x0
	s_ashr_i32 s73, s72, 4
	s_mov_b32 s66, s60
	s_cmp_lt_i32 s72, s33
	v_dual_mov_b32 v136, s67 :: v_dual_mov_b32 v135, s66
	v_dual_mov_b32 v134, s65 :: v_dual_mov_b32 v133, s64
	;; [unrolled: 1-line block ×4, first 2 shown]
	s_cselect_b32 s60, s73, s86
	s_delay_alu instid0(SALU_CYCLE_1) | instskip(NEXT) | instid1(SALU_CYCLE_1)
	s_ashr_i32 s61, s60, 31
	s_lshl_b64 s[4:5], s[60:61], 2
	s_waitcnt vmcnt(30)
	v_wmma_f32_16x16x16_bf16 v[137:144], v[89:96], v[121:128], v[129:136]
	v_dual_mov_b32 v96, s23 :: v_dual_mov_b32 v95, s22
	v_dual_mov_b32 v94, s21 :: v_dual_mov_b32 v93, s20
	;; [unrolled: 1-line block ×4, first 2 shown]
	s_add_u32 s16, s76, s4
	s_addc_u32 s17, s85, s5
	s_or_b32 s4, s84, 0xa0
	s_waitcnt vmcnt(28)
	v_wmma_f32_16x16x16_bf16 v[129:136], v[97:104], v[121:128], v[129:136]
	s_ashr_i32 s5, s4, 4
	s_cmp_lt_i32 s4, s33
	s_waitcnt vmcnt(26)
	v_wmma_f32_16x16x16_bf16 v[137:144], v[105:112], v[148:155], v[137:144]
	s_cselect_b32 s4, s5, s86
	s_waitcnt vmcnt(24)
	v_wmma_f32_16x16x16_bf16 v[129:136], v[113:120], v[148:155], v[129:136]
	s_ashr_i32 s5, s4, 31
	v_mov_b32_e32 v155, s43
	s_lshl_b64 s[4:5], s[4:5], 2
	s_load_b32 s28, s[16:17], 0x0
	s_add_u32 s18, s76, s4
	s_addc_u32 s19, s85, s5
	s_or_b32 s4, s84, 0xb0
	s_load_b32 s27, s[18:19], 0x0
	s_ashr_i32 s6, s4, 4
	s_cmp_lt_i32 s4, s33
	v_dual_mov_b32 v154, s42 :: v_dual_lshlrev_b32 v97, 5, v145
	s_cselect_b32 s8, s6, s86
	v_mov_b32_e32 v153, s41
	s_ashr_i32 s9, s8, 31
	v_mov_b32_e32 v152, s40
	s_lshl_b64 s[8:9], s[8:9], 2
	v_mov_b32_e32 v151, s39
	s_add_u32 s20, s76, s8
	s_addc_u32 s21, s85, s9
	s_or_b32 s8, s84, 0xc0
	v_mov_b32_e32 v150, s38
	s_ashr_i32 s10, s8, 4
	s_cmp_lt_i32 s8, s33
	v_mov_b32_e32 v149, s37
	s_cselect_b32 s22, s10, s86
	v_mov_b32_e32 v148, s36
	s_ashr_i32 s23, s22, 31
	v_lshl_or_b32 v97, v147, 9, v97
	s_lshl_b64 s[22:23], s[22:23], 2
	s_mul_hi_i32 s5, s88, s77
	s_add_u32 s22, s76, s22
	s_addc_u32 s23, s85, s23
	s_or_b32 s24, s84, 0xd0
	s_mul_i32 s4, s88, s77
	s_ashr_i32 s25, s24, 4
	s_cmp_lt_i32 s24, s33
	s_mul_i32 s6, s87, s77
	s_cselect_b32 s24, s25, s86
	s_mul_hi_i32 s9, s81, s77
	s_ashr_i32 s25, s24, 31
	s_mul_i32 s8, s81, s77
	s_lshl_b64 s[24:25], s[24:25], 2
	s_mul_i32 s10, s13, s77
	s_add_u32 s18, s76, s24
	s_addc_u32 s19, s85, s25
	s_or_b32 s36, s84, 0xe0
	s_clause 0x2
	s_load_b32 s26, s[20:21], 0x0
	s_load_b32 s25, s[22:23], 0x0
	;; [unrolled: 1-line block ×3, first 2 shown]
	s_ashr_i32 s37, s36, 4
	s_cmp_lt_i32 s36, s33
	s_waitcnt lgkmcnt(0)
	s_mul_hi_i32 s21, s30, s77
	s_mul_i32 s20, s30, s77
	s_cselect_b32 s30, s37, s86
	s_mul_hi_i32 s23, s31, s77
	s_mul_i32 s22, s31, s77
	s_ashr_i32 s31, s30, 31
	s_mul_hi_i32 s13, s12, s77
	s_lshl_b64 s[30:31], s[30:31], 2
	s_mul_i32 s12, s12, s77
	s_add_u32 s30, s76, s30
	s_addc_u32 s31, s85, s31
	s_or_b32 s38, s84, 0xf0
	s_mul_hi_i32 s17, s80, s77
	s_ashr_i32 s39, s38, 4
	s_cmp_lt_i32 s38, s33
	s_mul_i32 s16, s80, s77
	s_cselect_b32 s38, s39, s86
	s_mul_hi_i32 s19, s29, s77
	s_ashr_i32 s39, s38, 31
	s_mul_i32 s18, s29, s77
	s_lshl_b64 s[38:39], s[38:39], 2
	s_mul_hi_i32 s29, s28, s77
	s_add_u32 s38, s76, s38
	s_addc_u32 s39, s85, s39
	s_mul_i32 s28, s28, s77
	s_mul_hi_i32 s37, s27, s77
	s_mul_i32 s36, s27, s77
	s_mul_hi_i32 s41, s25, s77
	s_mul_i32 s40, s25, s77
	s_add_u32 s42, s82, s2
	s_addc_u32 s43, s83, s3
	s_lshl_b64 s[2:3], s[4:5], 1
	s_lshl_b64 s[4:5], s[6:7], 1
	;; [unrolled: 1-line block ×12, first 2 shown]
	v_add_co_u32 v146, s40, s42, v97
	s_delay_alu instid0(VALU_DEP_1) | instskip(SKIP_2) | instid1(VALU_DEP_3)
	v_add_co_ci_u32_e64 v200, null, s43, 0, s40
	s_waitcnt vmcnt(22)
	v_wmma_f32_16x16x16_bf16 v[137:144], v[81:88], v[164:171], v[137:144]
	v_add_co_u32 v81, vcc_lo, v146, s2
	s_delay_alu instid0(VALU_DEP_3)
	v_add_co_ci_u32_e32 v82, vcc_lo, s3, v200, vcc_lo
	v_add_co_u32 v83, vcc_lo, v146, s4
	v_add_co_ci_u32_e32 v84, vcc_lo, s5, v200, vcc_lo
	v_add_co_u32 v85, vcc_lo, v146, s6
	v_add_co_ci_u32_e32 v86, vcc_lo, s7, v200, vcc_lo
	s_waitcnt vmcnt(20)
	v_wmma_f32_16x16x16_bf16 v[129:136], v[73:80], v[164:171], v[129:136]
	v_add_co_u32 v73, vcc_lo, v146, s8
	v_add_co_ci_u32_e32 v74, vcc_lo, s9, v200, vcc_lo
	v_add_co_u32 v75, vcc_lo, v146, s10
	v_add_co_ci_u32_e32 v76, vcc_lo, s11, v200, vcc_lo
	;; [unrolled: 2-line block ×3, first 2 shown]
	v_add_co_u32 v79, vcc_lo, v146, s16
	s_clause 0x1
	s_load_b32 s30, s[30:31], 0x0
	s_load_b32 s31, s[38:39], 0x0
	v_add_co_ci_u32_e32 v80, vcc_lo, s17, v200, vcc_lo
	v_add_co_u32 v164, vcc_lo, v146, s18
	v_add_co_ci_u32_e32 v165, vcc_lo, s19, v200, vcc_lo
	v_add_co_u32 v166, vcc_lo, v146, s20
	;; [unrolled: 2-line block ×3, first 2 shown]
	s_mul_hi_i32 s27, s26, s77
	s_mul_i32 s26, s26, s77
	v_add_co_ci_u32_e32 v169, vcc_lo, s23, v200, vcc_lo
	s_waitcnt vmcnt(16)
	v_wmma_f32_16x16x16_bf16 v[129:136], v[57:64], v[89:96], v[129:136]
	v_add_co_u32 v170, vcc_lo, v146, s28
	s_lshl_b64 s[26:27], s[26:27], 1
	v_wmma_f32_16x16x16_bf16 v[137:144], v[65:72], v[89:96], v[137:144]
	v_add_co_ci_u32_e32 v171, vcc_lo, s29, v200, vcc_lo
	v_add_co_u32 v196, vcc_lo, v146, s26
	s_waitcnt vmcnt(12)
	v_wmma_f32_16x16x16_bf16 v[129:136], v[41:48], v[172:179], v[129:136]
	s_mul_hi_i32 s25, s24, s77
	s_mul_i32 s24, s24, s77
	v_add_co_ci_u32_e32 v197, vcc_lo, s27, v200, vcc_lo
	v_add_co_u32 v198, vcc_lo, v146, s36
	v_wmma_f32_16x16x16_bf16 v[137:144], v[49:56], v[172:179], v[137:144]
	s_lshl_b64 s[24:25], s[24:25], 1
	v_add_co_ci_u32_e32 v199, vcc_lo, s37, v200, vcc_lo
	s_waitcnt lgkmcnt(0)
	s_mul_hi_i32 s3, s30, s77
	s_mul_i32 s2, s30, s77
	s_waitcnt vmcnt(8)
	v_wmma_f32_16x16x16_bf16 v[129:136], v[25:32], v[180:187], v[129:136]
	v_add_co_u32 v29, vcc_lo, v146, s24
	s_lshl_b64 s[2:3], s[2:3], 1
	v_wmma_f32_16x16x16_bf16 v[137:144], v[33:40], v[180:187], v[137:144]
	v_add_co_ci_u32_e32 v30, vcc_lo, s25, v200, vcc_lo
	s_mul_hi_i32 s5, s31, s77
	s_mul_i32 s4, s31, s77
	v_add_co_u32 v37, vcc_lo, v146, s2
	v_add_co_ci_u32_e32 v38, vcc_lo, s3, v200, vcc_lo
	s_lshl_b64 s[2:3], s[4:5], 1
	s_waitcnt vmcnt(6)
	v_wmma_f32_16x16x16_bf16 v[137:144], v[17:24], v[148:155], v[137:144]
	s_waitcnt vmcnt(4)
	v_wmma_f32_16x16x16_bf16 v[129:136], v[1:8], v[148:155], v[129:136]
	v_add_co_u32 v148, vcc_lo, v146, s2
	v_add_co_ci_u32_e32 v149, vcc_lo, s3, v200, vcc_lo
	s_clause 0x1b
	global_load_b128 v[121:124], v[81:82], off
	global_load_b128 v[125:128], v[81:82], off offset:16
	global_load_b128 v[113:116], v[83:84], off
	global_load_b128 v[117:120], v[83:84], off offset:16
	;; [unrolled: 2-line block ×14, first 2 shown]
	s_waitcnt vmcnt(30)
	v_wmma_f32_16x16x16_bf16 v[137:144], v[9:16], v[188:195], v[137:144]
	s_clause 0x3
	global_load_b128 v[33:36], v[37:38], off
	global_load_b128 v[37:40], v[37:38], off offset:16
	global_load_b128 v[9:12], v[148:149], off
	global_load_b128 v[13:16], v[148:149], off offset:16
	v_and_b32_e32 v148, 0xe0, v0
	v_mbcnt_lo_u32_b32 v149, -1, 0
	v_bfe_u32 v146, v0, 4, 1
	s_waitcnt vmcnt(0)
	s_barrier
	v_add_nc_u32_e32 v148, s84, v148
	v_xor_b32_e32 v150, 16, v149
	buffer_gl0_inv
	v_or_b32_e32 v148, v148, v146
	v_cmp_gt_i32_e32 vcc_lo, 32, v150
	s_delay_alu instid0(VALU_DEP_2)
	v_or_b32_e32 v151, 4, v148
	v_cndmask_b32_e32 v149, v149, v150, vcc_lo
	v_or_b32_e32 v150, 2, v148
	v_or_b32_e32 v152, 6, v148
	v_cmp_gt_i32_e64 s2, s33, v148
	v_cmp_gt_i32_e64 s3, s33, v151
	v_or_b32_e32 v153, 8, v148
	v_cmp_gt_i32_e32 vcc_lo, s33, v150
	v_mul_f32_e32 v150, s35, v139
	v_wmma_f32_16x16x16_bf16 v[129:136], v[156:163], v[188:195], v[129:136]
	v_or_b32_e32 v156, 14, v148
	v_dual_mul_f32 v162, s35, v137 :: v_dual_mul_f32 v163, s35, v138
	v_mul_f32_e32 v161, s35, v140
	v_cmp_gt_i32_e64 s4, s33, v152
	s_delay_alu instid0(VALU_DEP_4) | instskip(NEXT) | instid1(VALU_DEP_4)
	v_cmp_gt_i32_e64 s8, s33, v156
	v_cndmask_b32_e64 v162, 0xff7fffff, v162, s2
	v_mul_f32_e32 v156, s35, v133
	v_cndmask_b32_e32 v163, 0xff7fffff, v163, vcc_lo
	v_or_b32_e32 v154, 10, v148
	v_cndmask_b32_e64 v150, 0xff7fffff, v150, s3
	v_cndmask_b32_e64 v151, 0xff7fffff, v161, s4
	v_or_b32_e32 v155, 12, v148
	v_max3_f32 v152, v162, 0xff7fffff, v163
	v_cmp_gt_i32_e64 s5, s33, v154
	v_cmp_gt_i32_e64 s6, s33, v153
	v_or_b32_e32 v158, 18, v148
	v_mul_f32_e32 v154, s35, v143
	v_max3_f32 v150, v152, v150, v151
	v_dual_mul_f32 v151, s35, v142 :: v_dual_mul_f32 v152, s35, v141
	v_mul_f32_e32 v153, s35, v144
	v_cmp_gt_i32_e64 s7, s33, v155
	v_or_b32_e32 v157, 16, v148
	s_delay_alu instid0(VALU_DEP_4)
	v_cndmask_b32_e64 v151, 0xff7fffff, v151, s5
	v_cndmask_b32_e64 v152, 0xff7fffff, v152, s6
	v_cmp_gt_i32_e64 s9, s33, v158
	v_mul_f32_e32 v158, s35, v131
	v_cndmask_b32_e64 v154, 0xff7fffff, v154, s7
	v_cndmask_b32_e64 v153, 0xff7fffff, v153, s8
	v_max3_f32 v150, v150, v152, v151
	v_or_b32_e32 v159, 20, v148
	v_or_b32_e32 v160, 22, v148
	v_cmp_gt_i32_e64 s10, s33, v157
	v_or_b32_e32 v161, 24, v148
	v_max3_f32 v150, v150, v154, v153
	v_dual_mul_f32 v153, s35, v130 :: v_dual_mul_f32 v154, s35, v129
	v_or_b32_e32 v162, 26, v148
	v_mul_f32_e32 v157, s35, v132
	v_cmp_gt_i32_e64 s11, s33, v159
	s_delay_alu instid0(VALU_DEP_4)
	v_cndmask_b32_e64 v153, 0xff7fffff, v153, s9
	v_cndmask_b32_e64 v154, 0xff7fffff, v154, s10
	v_cmp_gt_i32_e64 s12, s33, v160
	v_or_b32_e32 v163, 28, v148
	v_or_b32_e32 v148, 30, v148
	v_mul_f32_e32 v155, s35, v134
	v_cndmask_b32_e64 v158, 0xff7fffff, v158, s11
	v_cndmask_b32_e64 v157, 0xff7fffff, v157, s12
	v_max3_f32 v150, v150, v154, v153
	v_cmp_gt_i32_e64 s13, s33, v161
	v_cmp_gt_i32_e64 s16, s33, v162
	v_dual_mul_f32 v151, s35, v136 :: v_dual_mul_f32 v152, s35, v135
	s_delay_alu instid0(VALU_DEP_4) | instskip(NEXT) | instid1(VALU_DEP_4)
	v_max3_f32 v150, v150, v158, v157
	v_cndmask_b32_e64 v153, 0xff7fffff, v156, s13
	s_delay_alu instid0(VALU_DEP_4) | instskip(SKIP_2) | instid1(VALU_DEP_3)
	v_cndmask_b32_e64 v154, 0xff7fffff, v155, s16
	v_cmp_gt_i32_e64 s17, s33, v163
	v_cmp_gt_i32_e64 s18, s33, v148
	v_max3_f32 v150, v150, v153, v154
	s_delay_alu instid0(VALU_DEP_3) | instskip(NEXT) | instid1(VALU_DEP_3)
	v_cndmask_b32_e64 v152, 0xff7fffff, v152, s17
	v_cndmask_b32_e64 v148, 0xff7fffff, v151, s18
	v_lshlrev_b32_e32 v153, 2, v149
	s_delay_alu instid0(VALU_DEP_2) | instskip(SKIP_3) | instid1(VALU_DEP_1)
	v_max3_f32 v148, v150, v152, v148
	ds_bpermute_b32 v149, v153, v148
	s_waitcnt lgkmcnt(0)
	v_max_f32_e32 v149, v149, v149
	v_max_f32_e32 v151, v148, v149
	s_delay_alu instid0(VALU_DEP_1) | instskip(NEXT) | instid1(VALU_DEP_1)
	v_fma_f32 v132, s35, v132, -v151
	v_mul_f32_e32 v132, 0x3fb8aa3b, v132
	v_fma_f32 v137, s35, v137, -v151
	v_fma_f32 v138, s35, v138, -v151
	;; [unrolled: 1-line block ×5, first 2 shown]
	s_delay_alu instid0(VALU_DEP_4) | instskip(NEXT) | instid1(VALU_DEP_3)
	v_dual_mul_f32 v137, 0x3fb8aa3b, v137 :: v_dual_mul_f32 v138, 0x3fb8aa3b, v138
	v_dual_mul_f32 v134, 0x3fb8aa3b, v134 :: v_dual_mul_f32 v139, 0x3fb8aa3b, v139
	v_fma_f32 v148, s35, v141, -v151
	s_delay_alu instid0(VALU_DEP_3) | instskip(NEXT) | instid1(VALU_DEP_3)
	v_exp_f32_e32 v137, v137
	v_exp_f32_e32 v138, v138
	v_mul_f32_e32 v140, 0x3fb8aa3b, v140
	v_exp_f32_e32 v139, v139
	v_fma_f32 v143, s35, v143, -v151
	v_fma_f32 v129, s35, v129, -v151
	;; [unrolled: 1-line block ×5, first 2 shown]
	v_mul_f32_e32 v143, 0x3fb8aa3b, v143
	v_cndmask_b32_e64 v141, 0, v137, s2
	v_fma_f32 v137, s35, v142, -v151
	v_mul_f32_e32 v142, 0x3fb8aa3b, v148
	v_exp_f32_e32 v148, v140
	v_cndmask_b32_e32 v140, 0, v138, vcc_lo
	v_add_f32_e32 v138, 0, v141
	v_mul_f32_e32 v137, 0x3fb8aa3b, v137
	v_exp_f32_e32 v149, v142
	v_cndmask_b32_e64 v142, 0, v139, s3
	v_fma_f32 v139, s35, v144, -v151
	v_add_f32_e32 v138, v138, v140
	v_exp_f32_e32 v137, v137
	v_exp_f32_e32 v143, v143
	v_cndmask_b32_e64 v144, 0, v148, s4
	s_delay_alu instid0(VALU_DEP_2) | instskip(SKIP_1) | instid1(TRANS32_DEP_3)
	v_dual_mul_f32 v139, 0x3fb8aa3b, v139 :: v_dual_add_f32 v138, v138, v142
	v_mul_f32_e32 v129, 0x3fb8aa3b, v129
	v_cndmask_b32_e64 v148, 0, v149, s6
	v_mul_f32_e32 v130, 0x3fb8aa3b, v130
	s_delay_alu instid0(VALU_DEP_4) | instskip(SKIP_1) | instid1(TRANS32_DEP_3)
	v_exp_f32_e32 v139, v139
	v_add_f32_e32 v138, v138, v144
	v_cndmask_b32_e64 v149, 0, v137, s5
	v_exp_f32_e32 v129, v129
	v_cndmask_b32_e64 v143, 0, v143, s7
	v_mul_f32_e32 v131, 0x3fb8aa3b, v131
	v_add_f32_e32 v137, v138, v148
	v_exp_f32_e32 v130, v130
	v_mul_f32_e32 v133, 0x3fb8aa3b, v133
	v_fma_f32 v136, s35, v136, -v151
	v_cndmask_b32_e64 v150, 0, v139, s8
	v_add_f32_e32 v137, v137, v149
	v_exp_f32_e32 v138, v131
	v_cndmask_b32_e64 v131, 0, v129, s10
	v_and_b32_e32 v139, 31, v0
	s_mov_b32 s3, exec_lo
	v_add_f32_e32 v137, v137, v143
	s_delay_alu instid0(VALU_DEP_2) | instskip(NEXT) | instid1(VALU_DEP_2)
	v_cmp_lt_u32_e64 s2, 15, v139
	v_add_f32_e32 v129, v137, v150
	v_exp_f32_e32 v137, v132
	v_cndmask_b32_e64 v132, 0, v130, s9
	v_fma_f32 v130, s35, v135, -v151
	v_exp_f32_e32 v135, v133
	v_add_f32_e32 v129, v129, v131
	v_cndmask_b32_e64 v133, 0, v138, s11
	v_exp_f32_e32 v138, v134
	s_delay_alu instid0(VALU_DEP_2) | instskip(NEXT) | instid1(TRANS32_DEP_3)
	v_dual_mul_f32 v130, 0x3fb8aa3b, v130 :: v_dual_add_f32 v129, v129, v132
	v_cndmask_b32_e64 v134, 0, v137, s12
	v_mul_f32_e32 v137, 0x3fb8aa3b, v136
	s_delay_alu instid0(VALU_DEP_3) | instskip(NEXT) | instid1(TRANS32_DEP_3)
	v_exp_f32_e32 v130, v130
	v_cndmask_b32_e64 v135, 0, v135, s13
	v_add_f32_e32 v129, v129, v133
	s_delay_alu instid0(TRANS32_DEP_2) | instskip(SKIP_1) | instid1(VALU_DEP_2)
	v_cndmask_b32_e64 v136, 0, v138, s16
	v_exp_f32_e32 v138, v137
	v_add_f32_e32 v129, v129, v134
	s_waitcnt_depctr 0xfff
	v_cndmask_b32_e64 v137, 0, v130, s17
	v_add_f32_e32 v129, v129, v135
	v_cndmask_b32_e64 v138, 0, v138, s18
	s_delay_alu instid0(VALU_DEP_2) | instskip(NEXT) | instid1(VALU_DEP_1)
	v_add_f32_e32 v129, v129, v136
	v_add_f32_e32 v129, v129, v137
	s_delay_alu instid0(VALU_DEP_1)
	v_add_f32_e32 v129, v129, v138
	ds_bpermute_b32 v130, v153, v129
	v_cmpx_gt_u32_e32 16, v139
	s_cbranch_execz .LBB630_11
; %bb.10:
	v_mul_u32_u24_e32 v139, 0x44, v147
	s_delay_alu instid0(VALU_DEP_1) | instskip(SKIP_1) | instid1(VALU_DEP_1)
	v_lshl_add_u32 v139, v145, 2, v139
	s_waitcnt lgkmcnt(0)
	v_dual_add_f32 v129, v129, v130 :: v_dual_add_nc_u32 v130, 0x4000, v139
	ds_store_2addr_b32 v130, v151, v129 offset1:136
.LBB630_11:
	s_or_b32 exec_lo, exec_lo, s3
	v_lshlrev_b32_e32 v129, 2, v145
	s_waitcnt lgkmcnt(0)
	s_barrier
	buffer_gl0_inv
	v_cmp_eq_u32_e64 s3, 1, v147
	v_add_nc_u32_e32 v139, 0x4000, v129
	ds_load_2addr_b32 v[151:152], v139 offset1:17
	ds_load_2addr_b32 v[153:154], v139 offset0:34 offset1:51
	ds_load_2addr_b32 v[155:156], v139 offset0:68 offset1:85
	;; [unrolled: 1-line block ×4, first 2 shown]
	s_waitcnt lgkmcnt(4)
	v_max3_f32 v129, v151, 0xff7fffff, v152
	s_waitcnt lgkmcnt(3)
	s_delay_alu instid0(VALU_DEP_1) | instskip(SKIP_1) | instid1(VALU_DEP_1)
	v_max3_f32 v129, v129, v153, v154
	s_waitcnt lgkmcnt(2)
	v_max3_f32 v129, v129, v155, v156
	s_waitcnt lgkmcnt(1)
	s_delay_alu instid0(VALU_DEP_1) | instskip(NEXT) | instid1(VALU_DEP_1)
	v_max3_f32 v129, v129, v157, v158
	v_sub_f32_e32 v155, v155, v129
	s_delay_alu instid0(VALU_DEP_1) | instskip(NEXT) | instid1(VALU_DEP_1)
	v_dual_sub_f32 v130, v151, v129 :: v_dual_mul_f32 v165, 0x3fb8aa3b, v155
	v_mul_f32_e32 v130, 0x3fb8aa3b, v130
	s_delay_alu instid0(VALU_DEP_1) | instskip(SKIP_1) | instid1(VALU_DEP_1)
	v_exp_f32_e32 v162, v130
	v_sub_f32_e32 v130, v154, v129
	v_dual_sub_f32 v161, v152, v129 :: v_dual_mul_f32 v164, 0x3fb8aa3b, v130
	s_waitcnt lgkmcnt(0)
	s_waitcnt_depctr 0xfff
	v_fma_f32 v130, v162, v159, 0
	v_exp_f32_e32 v164, v164
	v_mul_f32_e32 v161, 0x3fb8aa3b, v161
	v_sub_f32_e32 v159, v156, v129
	s_delay_alu instid0(VALU_DEP_2)
	v_exp_f32_e32 v161, v161
	s_waitcnt_depctr 0xfff
	v_fmac_f32_e32 v130, v161, v160
	ds_load_2addr_b32 v[151:152], v139 offset0:170 offset1:187
	v_sub_f32_e32 v153, v153, v129
	ds_load_2addr_b32 v[155:156], v139 offset0:238 offset1:255
	v_mul_f32_e32 v163, 0x3fb8aa3b, v153
	ds_load_2addr_b32 v[153:154], v139 offset0:204 offset1:221
	s_waitcnt lgkmcnt(0)
	s_barrier
	buffer_gl0_inv
	v_exp_f32_e32 v163, v163
	s_waitcnt_depctr 0xfff
	v_dual_fmac_f32 v130, v163, v151 :: v_dual_sub_f32 v151, v158, v129
	s_delay_alu instid0(VALU_DEP_1) | instskip(NEXT) | instid1(VALU_DEP_1)
	v_dual_fmac_f32 v130, v164, v152 :: v_dual_mul_f32 v151, 0x3fb8aa3b, v151
	v_exp_f32_e32 v151, v151
	v_sub_f32_e32 v139, v157, v129
	v_mul_f32_e32 v157, 0x3fb8aa3b, v159
	v_exp_f32_e32 v159, v165
	s_delay_alu instid0(VALU_DEP_2) | instskip(NEXT) | instid1(VALU_DEP_2)
	v_mul_f32_e32 v139, 0x3fb8aa3b, v139
	v_exp_f32_e32 v157, v157
	s_waitcnt_depctr 0xfff
	v_fmac_f32_e32 v130, v159, v153
	v_exp_f32_e32 v139, v139
	s_delay_alu instid0(VALU_DEP_1) | instskip(SKIP_2) | instid1(VALU_DEP_1)
	v_fmac_f32_e32 v130, v157, v154
	s_waitcnt_depctr 0xfff
	v_fmac_f32_e32 v130, v139, v155
	v_fmac_f32_e32 v130, v151, v156
	s_delay_alu instid0(VALU_DEP_1) | instskip(NEXT) | instid1(VALU_DEP_1)
	v_add_f32_e32 v152, 0x358637bd, v130
	v_div_scale_f32 v153, null, v152, v152, 1.0
	v_div_scale_f32 v156, vcc_lo, 1.0, v152, 1.0
	s_delay_alu instid0(VALU_DEP_2) | instskip(SKIP_2) | instid1(VALU_DEP_1)
	v_rcp_f32_e32 v154, v153
	s_waitcnt_depctr 0xfff
	v_fma_f32 v155, -v153, v154, 1.0
	v_fmac_f32_e32 v154, v155, v154
	v_cndmask_b32_e64 v155, v162, v161, s3
	v_cmp_eq_u32_e64 s3, 2, v147
	s_delay_alu instid0(VALU_DEP_3) | instskip(NEXT) | instid1(VALU_DEP_2)
	v_mul_f32_e32 v158, v156, v154
	v_cndmask_b32_e64 v155, v155, v163, s3
	v_cmp_eq_u32_e64 s3, 3, v147
	s_delay_alu instid0(VALU_DEP_3) | instskip(NEXT) | instid1(VALU_DEP_2)
	v_fma_f32 v160, -v153, v158, v156
	v_cndmask_b32_e64 v155, v155, v164, s3
	v_cmp_eq_u32_e64 s3, 4, v147
	s_delay_alu instid0(VALU_DEP_1) | instskip(SKIP_1) | instid1(VALU_DEP_1)
	v_cndmask_b32_e64 v155, v155, v159, s3
	v_cmp_eq_u32_e64 s3, 5, v147
	v_cndmask_b32_e64 v155, v155, v157, s3
	v_fmac_f32_e32 v158, v160, v154
	s_mov_b32 s3, exec_lo
	s_delay_alu instid0(VALU_DEP_1) | instskip(NEXT) | instid1(VALU_DEP_1)
	v_fma_f32 v153, -v153, v158, v156
	v_div_fmas_f32 v153, v153, v154, v158
	v_cmp_eq_u32_e32 vcc_lo, 6, v147
	s_delay_alu instid0(VALU_DEP_2) | instskip(SKIP_2) | instid1(VALU_DEP_2)
	v_div_fixup_f32 v152, v153, v152, 1.0
	v_cndmask_b32_e32 v139, v155, v139, vcc_lo
	v_cmp_eq_u32_e32 vcc_lo, 7, v147
	v_cndmask_b32_e32 v139, v139, v151, vcc_lo
	s_delay_alu instid0(VALU_DEP_1) | instskip(NEXT) | instid1(VALU_DEP_1)
	v_mul_f32_e32 v139, v139, v152
	v_mul_f32_e32 v152, v139, v141
	;; [unrolled: 1-line block ×6, first 2 shown]
	v_dual_mul_f32 v148, v139, v142 :: v_dual_and_b32 v153, 0x7f800000, v152
	v_mul_f32_e32 v151, v139, v144
	v_mul_f32_e32 v144, v139, v140
                                        ; implicit-def: $vgpr140
	s_delay_alu instid0(VALU_DEP_3)
	v_cmpx_ne_u32_e32 0x7f800000, v153
	s_xor_b32 s3, exec_lo, s3
; %bb.12:
	v_bfe_u32 v140, v152, 16, 1
	s_delay_alu instid0(VALU_DEP_1)
	v_add3_u32 v140, v152, v140, 0x7fff
                                        ; implicit-def: $vgpr152
; %bb.13:
	s_and_not1_saveexec_b32 s3, s3
; %bb.14:
	v_and_b32_e32 v140, 0xffff, v152
	v_or_b32_e32 v142, 0x10000, v152
	s_delay_alu instid0(VALU_DEP_2) | instskip(NEXT) | instid1(VALU_DEP_2)
	v_cmp_eq_u32_e32 vcc_lo, 0, v140
	v_cndmask_b32_e32 v140, v142, v152, vcc_lo
; %bb.15:
	s_or_b32 exec_lo, exec_lo, s3
	v_and_b32_e32 v142, 0x7f800000, v144
	s_delay_alu instid0(VALU_DEP_1) | instskip(SKIP_1) | instid1(SALU_CYCLE_1)
	v_cmp_ne_u32_e32 vcc_lo, 0x7f800000, v142
                                        ; implicit-def: $vgpr142
	s_and_saveexec_b32 s3, vcc_lo
	s_xor_b32 s3, exec_lo, s3
; %bb.16:
	v_bfe_u32 v142, v144, 16, 1
	s_delay_alu instid0(VALU_DEP_1)
	v_add3_u32 v142, v144, v142, 0x7fff
                                        ; implicit-def: $vgpr144
; %bb.17:
	s_and_not1_saveexec_b32 s3, s3
; %bb.18:
	v_and_b32_e32 v142, 0xffff, v144
	v_or_b32_e32 v152, 0x10000, v144
	s_delay_alu instid0(VALU_DEP_2) | instskip(NEXT) | instid1(VALU_DEP_2)
	v_cmp_eq_u32_e32 vcc_lo, 0, v142
	v_cndmask_b32_e32 v142, v152, v144, vcc_lo
; %bb.19:
	s_or_b32 exec_lo, exec_lo, s3
	v_and_b32_e32 v144, 0x7f800000, v148
	s_delay_alu instid0(VALU_DEP_1) | instskip(SKIP_1) | instid1(SALU_CYCLE_1)
	v_cmp_ne_u32_e32 vcc_lo, 0x7f800000, v144
                                        ; implicit-def: $vgpr144
	s_and_saveexec_b32 s3, vcc_lo
	s_xor_b32 s3, exec_lo, s3
; %bb.20:
	v_bfe_u32 v144, v148, 16, 1
	s_delay_alu instid0(VALU_DEP_1)
	v_add3_u32 v144, v148, v144, 0x7fff
                                        ; implicit-def: $vgpr148
; %bb.21:
	s_and_not1_saveexec_b32 s3, s3
; %bb.22:
	v_and_b32_e32 v144, 0xffff, v148
	v_or_b32_e32 v152, 0x10000, v148
	s_delay_alu instid0(VALU_DEP_2) | instskip(NEXT) | instid1(VALU_DEP_2)
	v_cmp_eq_u32_e32 vcc_lo, 0, v144
	v_cndmask_b32_e32 v144, v152, v148, vcc_lo
; %bb.23:
	s_or_b32 exec_lo, exec_lo, s3
	v_and_b32_e32 v148, 0x7f800000, v151
	s_delay_alu instid0(VALU_DEP_1) | instskip(SKIP_1) | instid1(SALU_CYCLE_1)
	v_cmp_ne_u32_e32 vcc_lo, 0x7f800000, v148
                                        ; implicit-def: $vgpr148
	s_and_saveexec_b32 s3, vcc_lo
	s_xor_b32 s3, exec_lo, s3
; %bb.24:
	v_bfe_u32 v148, v151, 16, 1
	s_delay_alu instid0(VALU_DEP_1)
	v_add3_u32 v148, v151, v148, 0x7fff
                                        ; implicit-def: $vgpr151
; %bb.25:
	s_and_not1_saveexec_b32 s3, s3
; %bb.26:
	v_and_b32_e32 v148, 0xffff, v151
	v_or_b32_e32 v152, 0x10000, v151
	s_delay_alu instid0(VALU_DEP_2) | instskip(NEXT) | instid1(VALU_DEP_2)
	v_cmp_eq_u32_e32 vcc_lo, 0, v148
	v_cndmask_b32_e32 v148, v152, v151, vcc_lo
; %bb.27:
	s_or_b32 exec_lo, exec_lo, s3
	v_and_b32_e32 v151, 0x7f800000, v150
	s_delay_alu instid0(VALU_DEP_1) | instskip(SKIP_1) | instid1(SALU_CYCLE_1)
	v_cmp_ne_u32_e32 vcc_lo, 0x7f800000, v151
                                        ; implicit-def: $vgpr151
	s_and_saveexec_b32 s3, vcc_lo
	s_xor_b32 s3, exec_lo, s3
; %bb.28:
	v_bfe_u32 v151, v150, 16, 1
	s_delay_alu instid0(VALU_DEP_1)
	v_add3_u32 v151, v150, v151, 0x7fff
                                        ; implicit-def: $vgpr150
; %bb.29:
	s_and_not1_saveexec_b32 s3, s3
; %bb.30:
	v_and_b32_e32 v151, 0xffff, v150
	v_or_b32_e32 v152, 0x10000, v150
	s_delay_alu instid0(VALU_DEP_2) | instskip(NEXT) | instid1(VALU_DEP_2)
	v_cmp_eq_u32_e32 vcc_lo, 0, v151
	v_cndmask_b32_e32 v151, v152, v150, vcc_lo
; %bb.31:
	s_or_b32 exec_lo, exec_lo, s3
	v_and_b32_e32 v150, 0x7f800000, v149
	s_delay_alu instid0(VALU_DEP_1) | instskip(SKIP_1) | instid1(SALU_CYCLE_1)
	v_cmp_ne_u32_e32 vcc_lo, 0x7f800000, v150
                                        ; implicit-def: $vgpr150
	s_and_saveexec_b32 s3, vcc_lo
	s_xor_b32 s3, exec_lo, s3
; %bb.32:
	v_bfe_u32 v150, v149, 16, 1
	s_delay_alu instid0(VALU_DEP_1)
	v_add3_u32 v150, v149, v150, 0x7fff
                                        ; implicit-def: $vgpr149
; %bb.33:
	s_and_not1_saveexec_b32 s3, s3
; %bb.34:
	v_and_b32_e32 v150, 0xffff, v149
	v_or_b32_e32 v152, 0x10000, v149
	s_delay_alu instid0(VALU_DEP_2) | instskip(NEXT) | instid1(VALU_DEP_2)
	v_cmp_eq_u32_e32 vcc_lo, 0, v150
	v_cndmask_b32_e32 v150, v152, v149, vcc_lo
; %bb.35:
	s_or_b32 exec_lo, exec_lo, s3
	v_and_b32_e32 v149, 0x7f800000, v143
	s_delay_alu instid0(VALU_DEP_1) | instskip(SKIP_1) | instid1(SALU_CYCLE_1)
	v_cmp_ne_u32_e32 vcc_lo, 0x7f800000, v149
                                        ; implicit-def: $vgpr149
	s_and_saveexec_b32 s3, vcc_lo
	s_xor_b32 s3, exec_lo, s3
; %bb.36:
	v_bfe_u32 v149, v143, 16, 1
	s_delay_alu instid0(VALU_DEP_1)
	v_add3_u32 v149, v143, v149, 0x7fff
                                        ; implicit-def: $vgpr143
; %bb.37:
	s_and_not1_saveexec_b32 s3, s3
; %bb.38:
	v_and_b32_e32 v149, 0xffff, v143
	v_or_b32_e32 v152, 0x10000, v143
	s_delay_alu instid0(VALU_DEP_2) | instskip(NEXT) | instid1(VALU_DEP_2)
	v_cmp_eq_u32_e32 vcc_lo, 0, v149
	v_cndmask_b32_e32 v149, v152, v143, vcc_lo
; %bb.39:
	s_or_b32 exec_lo, exec_lo, s3
	v_and_b32_e32 v143, 0x7f800000, v141
	s_delay_alu instid0(VALU_DEP_1) | instskip(SKIP_1) | instid1(SALU_CYCLE_1)
	v_cmp_ne_u32_e32 vcc_lo, 0x7f800000, v143
                                        ; implicit-def: $vgpr143
	s_and_saveexec_b32 s3, vcc_lo
	s_xor_b32 s3, exec_lo, s3
; %bb.40:
	v_bfe_u32 v143, v141, 16, 1
	s_delay_alu instid0(VALU_DEP_1)
	v_add3_u32 v143, v141, v143, 0x7fff
                                        ; implicit-def: $vgpr141
; %bb.41:
	s_and_not1_saveexec_b32 s3, s3
; %bb.42:
	v_and_b32_e32 v143, 0xffff, v141
	v_or_b32_e32 v152, 0x10000, v141
	s_delay_alu instid0(VALU_DEP_2) | instskip(NEXT) | instid1(VALU_DEP_2)
	v_cmp_eq_u32_e32 vcc_lo, 0, v143
	v_cndmask_b32_e32 v143, v152, v141, vcc_lo
; %bb.43:
	s_or_b32 exec_lo, exec_lo, s3
	s_load_b64 s[36:37], s[0:1], 0x94
	v_dual_mul_f32 v136, v139, v136 :: v_dual_lshlrev_b32 v153, 4, v146
	s_delay_alu instid0(VALU_DEP_2)
	v_perm_b32 v152, v143, v149, 0x7060302
	v_dual_mul_f32 v138, v139, v138 :: v_dual_lshlrev_b32 v141, 6, v145
	v_dual_mul_f32 v137, v139, v137 :: v_dual_lshlrev_b32 v154, 11, v147
	v_mul_f32_e32 v143, v139, v131
	v_perm_b32 v151, v150, v151, 0x7060302
	v_perm_b32 v150, v148, v144, 0x7060302
	;; [unrolled: 1-line block ×3, first 2 shown]
	v_or3_b32 v131, v153, v154, v141
	v_and_b32_e32 v144, 0x7f800000, v143
	v_mul_f32_e32 v135, v139, v135
	v_mul_f32_e32 v140, v139, v134
	;; [unrolled: 1-line block ×4, first 2 shown]
	s_mov_b32 s3, exec_lo
	ds_store_b128 v131, v[149:152]
                                        ; implicit-def: $vgpr132
	v_cmpx_ne_u32_e32 0x7f800000, v144
	s_xor_b32 s3, exec_lo, s3
; %bb.44:
	v_bfe_u32 v132, v143, 16, 1
	s_delay_alu instid0(VALU_DEP_1)
	v_add3_u32 v132, v143, v132, 0x7fff
                                        ; implicit-def: $vgpr143
; %bb.45:
	s_and_not1_saveexec_b32 s3, s3
; %bb.46:
	v_and_b32_e32 v132, 0xffff, v143
	v_or_b32_e32 v133, 0x10000, v143
	s_delay_alu instid0(VALU_DEP_2) | instskip(NEXT) | instid1(VALU_DEP_2)
	v_cmp_eq_u32_e32 vcc_lo, 0, v132
	v_cndmask_b32_e32 v132, v133, v143, vcc_lo
; %bb.47:
	s_or_b32 exec_lo, exec_lo, s3
	v_and_b32_e32 v133, 0x7f800000, v134
	s_delay_alu instid0(VALU_DEP_1) | instskip(SKIP_1) | instid1(SALU_CYCLE_1)
	v_cmp_ne_u32_e32 vcc_lo, 0x7f800000, v133
                                        ; implicit-def: $vgpr133
	s_and_saveexec_b32 s3, vcc_lo
	s_xor_b32 s3, exec_lo, s3
; %bb.48:
	v_bfe_u32 v133, v134, 16, 1
	s_delay_alu instid0(VALU_DEP_1)
	v_add3_u32 v133, v134, v133, 0x7fff
                                        ; implicit-def: $vgpr134
; %bb.49:
	s_and_not1_saveexec_b32 s3, s3
; %bb.50:
	v_and_b32_e32 v133, 0xffff, v134
	v_or_b32_e32 v139, 0x10000, v134
	s_delay_alu instid0(VALU_DEP_2) | instskip(NEXT) | instid1(VALU_DEP_2)
	v_cmp_eq_u32_e32 vcc_lo, 0, v133
	v_cndmask_b32_e32 v133, v139, v134, vcc_lo
; %bb.51:
	s_or_b32 exec_lo, exec_lo, s3
	v_and_b32_e32 v134, 0x7f800000, v142
	s_delay_alu instid0(VALU_DEP_1) | instskip(SKIP_1) | instid1(SALU_CYCLE_1)
	v_cmp_ne_u32_e32 vcc_lo, 0x7f800000, v134
                                        ; implicit-def: $vgpr134
	s_and_saveexec_b32 s3, vcc_lo
	s_xor_b32 s3, exec_lo, s3
; %bb.52:
	v_bfe_u32 v134, v142, 16, 1
	s_delay_alu instid0(VALU_DEP_1)
	v_add3_u32 v134, v142, v134, 0x7fff
                                        ; implicit-def: $vgpr142
; %bb.53:
	s_and_not1_saveexec_b32 s3, s3
; %bb.54:
	v_and_b32_e32 v134, 0xffff, v142
	v_or_b32_e32 v139, 0x10000, v142
	s_delay_alu instid0(VALU_DEP_2) | instskip(NEXT) | instid1(VALU_DEP_2)
	v_cmp_eq_u32_e32 vcc_lo, 0, v134
	v_cndmask_b32_e32 v134, v139, v142, vcc_lo
; %bb.55:
	s_or_b32 exec_lo, exec_lo, s3
	v_and_b32_e32 v139, 0x7f800000, v140
	s_delay_alu instid0(VALU_DEP_1) | instskip(SKIP_1) | instid1(SALU_CYCLE_1)
	v_cmp_ne_u32_e32 vcc_lo, 0x7f800000, v139
                                        ; implicit-def: $vgpr139
	s_and_saveexec_b32 s3, vcc_lo
	s_xor_b32 s3, exec_lo, s3
; %bb.56:
	v_bfe_u32 v139, v140, 16, 1
	s_delay_alu instid0(VALU_DEP_1)
	v_add3_u32 v139, v140, v139, 0x7fff
                                        ; implicit-def: $vgpr140
; %bb.57:
	s_and_not1_saveexec_b32 s3, s3
; %bb.58:
	v_and_b32_e32 v139, 0xffff, v140
	v_or_b32_e32 v142, 0x10000, v140
	s_delay_alu instid0(VALU_DEP_2) | instskip(NEXT) | instid1(VALU_DEP_2)
	v_cmp_eq_u32_e32 vcc_lo, 0, v139
	v_cndmask_b32_e32 v139, v142, v140, vcc_lo
; %bb.59:
	s_or_b32 exec_lo, exec_lo, s3
	v_and_b32_e32 v140, 0x7f800000, v135
	s_delay_alu instid0(VALU_DEP_1) | instskip(SKIP_1) | instid1(SALU_CYCLE_1)
	v_cmp_ne_u32_e32 vcc_lo, 0x7f800000, v140
                                        ; implicit-def: $vgpr140
	s_and_saveexec_b32 s3, vcc_lo
	s_xor_b32 s3, exec_lo, s3
; %bb.60:
	v_bfe_u32 v140, v135, 16, 1
	s_delay_alu instid0(VALU_DEP_1)
	v_add3_u32 v140, v135, v140, 0x7fff
                                        ; implicit-def: $vgpr135
; %bb.61:
	s_and_not1_saveexec_b32 s3, s3
; %bb.62:
	v_and_b32_e32 v140, 0xffff, v135
	v_or_b32_e32 v142, 0x10000, v135
	s_delay_alu instid0(VALU_DEP_2) | instskip(NEXT) | instid1(VALU_DEP_2)
	v_cmp_eq_u32_e32 vcc_lo, 0, v140
	v_cndmask_b32_e32 v140, v142, v135, vcc_lo
; %bb.63:
	s_or_b32 exec_lo, exec_lo, s3
	v_and_b32_e32 v135, 0x7f800000, v136
	s_delay_alu instid0(VALU_DEP_1) | instskip(SKIP_1) | instid1(SALU_CYCLE_1)
	v_cmp_ne_u32_e32 vcc_lo, 0x7f800000, v135
                                        ; implicit-def: $vgpr135
	s_and_saveexec_b32 s3, vcc_lo
	s_xor_b32 s3, exec_lo, s3
; %bb.64:
	v_bfe_u32 v135, v136, 16, 1
	s_delay_alu instid0(VALU_DEP_1)
	v_add3_u32 v135, v136, v135, 0x7fff
                                        ; implicit-def: $vgpr136
; %bb.65:
	s_and_not1_saveexec_b32 s3, s3
; %bb.66:
	v_and_b32_e32 v135, 0xffff, v136
	v_or_b32_e32 v142, 0x10000, v136
	s_delay_alu instid0(VALU_DEP_2) | instskip(NEXT) | instid1(VALU_DEP_2)
	v_cmp_eq_u32_e32 vcc_lo, 0, v135
	v_cndmask_b32_e32 v135, v142, v136, vcc_lo
; %bb.67:
	s_or_b32 exec_lo, exec_lo, s3
	v_and_b32_e32 v136, 0x7f800000, v137
	s_delay_alu instid0(VALU_DEP_1) | instskip(SKIP_1) | instid1(SALU_CYCLE_1)
	v_cmp_ne_u32_e32 vcc_lo, 0x7f800000, v136
                                        ; implicit-def: $vgpr136
	s_and_saveexec_b32 s3, vcc_lo
	s_xor_b32 s3, exec_lo, s3
; %bb.68:
	v_bfe_u32 v136, v137, 16, 1
	s_delay_alu instid0(VALU_DEP_1)
	v_add3_u32 v136, v137, v136, 0x7fff
                                        ; implicit-def: $vgpr137
; %bb.69:
	s_and_not1_saveexec_b32 s3, s3
; %bb.70:
	v_and_b32_e32 v136, 0xffff, v137
	v_or_b32_e32 v142, 0x10000, v137
	s_delay_alu instid0(VALU_DEP_2) | instskip(NEXT) | instid1(VALU_DEP_2)
	v_cmp_eq_u32_e32 vcc_lo, 0, v136
	v_cndmask_b32_e32 v136, v142, v137, vcc_lo
; %bb.71:
	s_or_b32 exec_lo, exec_lo, s3
	v_and_b32_e32 v137, 0x7f800000, v138
	s_delay_alu instid0(VALU_DEP_1) | instskip(SKIP_1) | instid1(SALU_CYCLE_1)
	v_cmp_ne_u32_e32 vcc_lo, 0x7f800000, v137
                                        ; implicit-def: $vgpr137
	s_and_saveexec_b32 s3, vcc_lo
	s_xor_b32 s3, exec_lo, s3
; %bb.72:
	v_bfe_u32 v137, v138, 16, 1
	s_delay_alu instid0(VALU_DEP_1)
	v_add3_u32 v137, v138, v137, 0x7fff
                                        ; implicit-def: $vgpr138
; %bb.73:
	s_and_not1_saveexec_b32 s3, s3
; %bb.74:
	v_and_b32_e32 v137, 0xffff, v138
	v_or_b32_e32 v142, 0x10000, v138
	s_delay_alu instid0(VALU_DEP_2) | instskip(NEXT) | instid1(VALU_DEP_2)
	v_cmp_eq_u32_e32 vcc_lo, 0, v137
	v_cndmask_b32_e32 v137, v142, v138, vcc_lo
; %bb.75:
	s_or_b32 exec_lo, exec_lo, s3
	s_delay_alu instid0(VALU_DEP_1)
	v_perm_b32 v136, v137, v136, 0x7060302
	v_perm_b32 v135, v135, v140, 0x7060302
	;; [unrolled: 1-line block ×4, first 2 shown]
	v_lshl_or_b32 v142, v147, 11, v141
	ds_store_b128 v131, v[133:136] offset:1024
	s_waitcnt lgkmcnt(0)
	s_barrier
	buffer_gl0_inv
	ds_load_b128 v[132:135], v142
	ds_load_b128 v[147:150], v142 offset:16
	s_waitcnt lgkmcnt(1)
	v_lshrrev_b32_e32 v136, 16, v132
	s_waitcnt lgkmcnt(0)
	v_lshrrev_b32_e32 v155, 16, v147
	v_lshlrev_b32_e32 v138, 2, v146
	v_lshrrev_b32_e32 v143, 16, v133
	v_lshrrev_b32_e32 v160, 16, v148
	;; [unrolled: 1-line block ×4, first 2 shown]
	v_cmp_eq_u32_e32 vcc_lo, 1, v138
	v_lshrrev_b32_e32 v159, 16, v135
	v_lshrrev_b32_e32 v162, 16, v150
	v_cndmask_b32_e32 v151, v147, v155, vcc_lo
	v_or_b32_e32 v139, 1, v138
	v_cndmask_b32_e32 v140, v132, v136, vcc_lo
	v_cmp_eq_u32_e64 s4, 2, v138
	v_cmp_eq_u32_e64 s7, 3, v138
	;; [unrolled: 1-line block ×5, first 2 shown]
	v_cndmask_b32_e64 v140, v140, v133, s4
	v_cndmask_b32_e64 v151, v151, v148, s4
	v_cmp_eq_u32_e64 s8, 3, v139
	v_cndmask_b32_e64 v152, v132, v136, s3
	v_or_b32_e32 v137, 2, v138
	v_cndmask_b32_e64 v140, v140, v143, s7
	v_cndmask_b32_e64 v151, v151, v160, s7
	;; [unrolled: 1-line block ×4, first 2 shown]
	v_cmp_eq_u32_e64 s10, 5, v138
	v_cndmask_b32_e64 v140, v140, v134, s9
	v_cndmask_b32_e64 v151, v151, v149, s9
	v_cmp_eq_u32_e64 s11, 4, v139
	v_cndmask_b32_e64 v152, v152, v143, s8
	v_cmp_eq_u32_e64 s5, 1, v137
	v_cndmask_b32_e64 v153, v153, v148, s6
	v_cndmask_b32_e64 v140, v140, v144, s10
	v_cmp_eq_u32_e64 s12, 6, v138
	v_cndmask_b32_e64 v152, v152, v134, s11
	;; [unrolled: 3-line block ×3, first 2 shown]
	v_cndmask_b32_e64 v153, v153, v160, s8
	v_cndmask_b32_e64 v140, v140, v135, s12
	v_cmp_eq_u32_e64 s16, 7, v138
	v_cndmask_b32_e64 v152, v152, v144, s13
	v_cndmask_b32_e64 v151, v151, v150, s12
	v_cmp_eq_u32_e64 s17, 6, v139
	v_cmp_eq_u32_e64 s18, 2, v137
	v_cndmask_b32_e64 v153, v153, v149, s11
	v_cndmask_b32_e64 v163, v140, v159, s16
	;; [unrolled: 1-line block ×6, first 2 shown]
	v_cmp_eq_u32_e64 s19, 7, v139
	v_cmp_eq_u32_e64 s20, 3, v137
	;; [unrolled: 1-line block ×4, first 2 shown]
	v_cndmask_b32_e64 v151, v151, v148, s18
	v_cndmask_b32_e64 v165, v152, v159, s19
	;; [unrolled: 1-line block ×4, first 2 shown]
	v_or_b32_e32 v140, 3, v138
	v_cndmask_b32_e64 v157, v151, v160, s20
	v_cmp_eq_u32_e64 s25, 6, v137
	v_cndmask_b32_e64 v166, v152, v150, s17
	v_cndmask_b32_e64 v156, v153, v134, s21
	v_cmp_eq_u32_e64 s22, 1, v140
	ds_load_b128 v[151:154], v142 offset:1024
	v_cmp_eq_u32_e64 s24, 2, v140
	v_cmp_eq_u32_e64 s26, 3, v140
	v_cndmask_b32_e64 v167, v156, v144, s23
	v_cndmask_b32_e64 v132, v132, v136, s22
	;; [unrolled: 1-line block ×4, first 2 shown]
	ds_load_b128 v[155:158], v142 offset:1040
	v_cmp_eq_u32_e64 s27, 4, v140
	v_cndmask_b32_e64 v132, v132, v133, s24
	v_cndmask_b32_e64 v133, v136, v161, s23
	;; [unrolled: 1-line block ×3, first 2 shown]
	v_cmp_eq_u32_e64 s29, 5, v140
	v_cmp_eq_u32_e64 s28, 7, v137
	v_cndmask_b32_e64 v132, v132, v143, s26
	v_cndmask_b32_e64 v143, v167, v135, s25
	;; [unrolled: 1-line block ×3, first 2 shown]
	v_cmp_eq_u32_e64 s30, 6, v140
	v_cndmask_b32_e64 v133, v133, v150, s25
	v_cndmask_b32_e64 v132, v132, v134, s27
	s_waitcnt lgkmcnt(1)
	v_lshrrev_b32_e32 v148, 16, v151
	v_cndmask_b32_e64 v134, v136, v149, s27
	v_cndmask_b32_e64 v136, v143, v159, s28
	v_lshrrev_b32_e32 v149, 16, v152
	v_cndmask_b32_e64 v132, v132, v144, s29
	v_cndmask_b32_e64 v160, v151, v148, s3
	;; [unrolled: 1-line block ×3, first 2 shown]
	s_waitcnt lgkmcnt(0)
	v_lshrrev_b32_e32 v144, 16, v155
	v_cndmask_b32_e64 v147, v166, v162, s19
	v_cndmask_b32_e64 v132, v132, v135, s30
	v_cndmask_b32_e32 v143, v151, v148, vcc_lo
	v_cndmask_b32_e64 v134, v134, v150, s30
	v_cndmask_b32_e32 v161, v155, v144, vcc_lo
	v_cmp_eq_u32_e32 vcc_lo, 7, v140
	v_cndmask_b32_e64 v133, v133, v162, s28
	s_delay_alu instid0(VALU_DEP_4)
	v_cndmask_b32_e32 v134, v134, v162, vcc_lo
	v_cndmask_b32_e32 v132, v132, v159, vcc_lo
	v_cndmask_b32_e64 v143, v143, v152, s4
	v_cndmask_b32_e64 v150, v161, v156, s4
	v_lshrrev_b32_e32 v161, 16, v153
	v_lshrrev_b32_e32 v162, 16, v157
	s_delay_alu instid0(VALU_DEP_4) | instskip(SKIP_2) | instid1(VALU_DEP_3)
	v_cndmask_b32_e64 v135, v143, v149, s7
	v_cndmask_b32_e64 v143, v160, v152, s6
	v_lshrrev_b32_e32 v160, 16, v156
	v_cndmask_b32_e64 v135, v135, v153, s9
	s_delay_alu instid0(VALU_DEP_3) | instskip(NEXT) | instid1(VALU_DEP_3)
	v_cndmask_b32_e64 v143, v143, v149, s8
	v_cndmask_b32_e64 v150, v150, v160, s7
	s_delay_alu instid0(VALU_DEP_3) | instskip(NEXT) | instid1(VALU_DEP_3)
	v_cndmask_b32_e64 v159, v135, v161, s10
	v_cndmask_b32_e64 v143, v143, v153, s11
	s_delay_alu instid0(VALU_DEP_3)
	v_cndmask_b32_e64 v150, v150, v157, s9
	v_perm_b32 v135, v134, v132, 0x5040100
	v_perm_b32 v134, v133, v136, 0x5040100
	;; [unrolled: 1-line block ×3, first 2 shown]
	v_cndmask_b32_e64 v132, v143, v161, s13
	v_cndmask_b32_e64 v143, v159, v154, s12
	v_lshrrev_b32_e32 v159, 16, v154
	v_cndmask_b32_e64 v150, v150, v162, s10
	v_lshrrev_b32_e32 v147, 16, v158
	v_cndmask_b32_e64 v132, v132, v154, s17
	s_delay_alu instid0(VALU_DEP_4) | instskip(NEXT) | instid1(VALU_DEP_4)
	v_cndmask_b32_e64 v136, v143, v159, s16
	v_cndmask_b32_e64 v143, v150, v158, s12
	v_cndmask_b32_e64 v150, v155, v144, s22
	s_delay_alu instid0(VALU_DEP_4)
	v_cndmask_b32_e64 v165, v132, v159, s19
	v_cndmask_b32_e64 v132, v151, v148, s5
	v_cndmask_b32_e64 v148, v151, v148, s22
	v_cndmask_b32_e64 v151, v155, v144, s5
	v_cndmask_b32_e64 v144, v155, v144, s3
	v_cndmask_b32_e64 v150, v150, v156, s24
	v_cndmask_b32_e64 v132, v132, v152, s18
	v_cndmask_b32_e64 v148, v148, v152, s24
	v_cndmask_b32_e64 v151, v151, v156, s18
	v_cndmask_b32_e64 v144, v144, v156, s6
	v_cndmask_b32_e64 v143, v143, v147, s16
	v_cndmask_b32_e64 v132, v132, v149, s20
	v_cndmask_b32_e64 v148, v148, v149, s26
	v_cndmask_b32_e64 v149, v150, v160, s26
	v_cndmask_b32_e64 v150, v151, v160, s20
	v_cndmask_b32_e64 v144, v144, v160, s8
	v_cndmask_b32_e64 v132, v132, v153, s21
	v_cndmask_b32_e64 v148, v148, v153, s27
	v_cndmask_b32_e64 v149, v149, v157, s27
	v_cndmask_b32_e64 v150, v150, v157, s21
	v_cndmask_b32_e64 v144, v144, v157, s11
	v_cndmask_b32_e64 v132, v132, v161, s23
	v_cndmask_b32_e64 v148, v148, v161, s29
	v_cndmask_b32_e64 v149, v149, v162, s29
	v_cndmask_b32_e64 v150, v150, v162, s23
	v_cndmask_b32_e64 v144, v144, v162, s13
	v_cndmask_b32_e64 v132, v132, v154, s25
	v_cndmask_b32_e64 v148, v148, v154, s30
	v_cndmask_b32_e64 v149, v149, v158, s30
	v_cndmask_b32_e64 v150, v150, v158, s25
	v_cndmask_b32_e64 v144, v144, v158, s17
	v_cndmask_b32_e64 v151, v132, v159, s28
	v_cndmask_b32_e32 v148, v148, v159, vcc_lo
	v_cndmask_b32_e32 v149, v149, v147, vcc_lo
	v_cndmask_b32_e64 v152, v150, v147, s28
	v_cndmask_b32_e64 v144, v144, v147, s19
	v_perm_b32 v132, v164, v163, 0x5040100
	v_perm_b32 v147, v143, v136, 0x5040100
	v_perm_b32 v150, v149, v148, 0x5040100
	v_perm_b32 v149, v152, v151, 0x5040100
	v_perm_b32 v148, v144, v165, 0x5040100
	s_mov_b32 s3, exec_lo
	ds_store_b128 v131, v[132:135]
	ds_store_b128 v131, v[147:150] offset:1024
	v_cmpx_eq_u32_e32 0, v0
	s_cbranch_execz .LBB630_77
; %bb.76:
	s_load_b128 s[4:7], s[0:1], 0x58
	s_mul_i32 s8, s37, s34
	v_mov_b32_e32 v131, 0
	s_add_i32 s8, s8, s15
	s_delay_alu instid0(SALU_CYCLE_1) | instskip(NEXT) | instid1(SALU_CYCLE_1)
	s_mul_i32 s8, s8, s36
	s_add_i32 s8, s8, s14
	s_delay_alu instid0(SALU_CYCLE_1) | instskip(NEXT) | instid1(SALU_CYCLE_1)
	s_ashr_i32 s9, s8, 31
	s_lshl_b64 s[8:9], s[8:9], 2
	s_waitcnt lgkmcnt(0)
	s_add_u32 s6, s6, s8
	s_addc_u32 s7, s7, s9
	s_add_u32 s4, s4, s8
	s_addc_u32 s5, s5, s9
	s_clause 0x1
	global_store_b32 v131, v129, s[6:7]
	global_store_b32 v131, v130, s[4:5]
.LBB630_77:
	s_or_b32 exec_lo, exec_lo, s3
	s_waitcnt lgkmcnt(0)
	s_waitcnt_vscnt null, 0x0
	s_barrier
	buffer_gl0_inv
	ds_load_b128 v[147:150], v141
	ds_load_b128 v[151:154], v141 offset:16
	ds_load_b128 v[159:162], v141 offset:1040
	ds_load_b128 v[155:158], v141 offset:1024
	v_mov_b32_e32 v129, 0
	ds_load_b128 v[167:170], v141 offset:2064
	ds_load_b128 v[163:166], v141 offset:2048
	;; [unrolled: 1-line block ×6, first 2 shown]
	v_mov_b32_e32 v130, v129
	v_mov_b32_e32 v131, v129
	;; [unrolled: 1-line block ×7, first 2 shown]
	s_waitcnt lgkmcnt(8)
	s_delay_alu instid0(VALU_DEP_1)
	v_wmma_f32_16x16x16_bf16 v[129:136], v[121:128], v[147:154], v[129:136]
	ds_load_b128 v[125:128], v141 offset:5136
	ds_load_b128 v[121:124], v141 offset:5120
	s_waitcnt lgkmcnt(8)
	v_wmma_f32_16x16x16_bf16 v[129:136], v[113:120], v[155:162], v[129:136]
	ds_load_b128 v[117:120], v141 offset:6160
	ds_load_b128 v[113:116], v141 offset:6144
	s_waitcnt lgkmcnt(8)
	;; [unrolled: 4-line block ×7, first 2 shown]
	v_wmma_f32_16x16x16_bf16 v[129:136], v[65:72], v[105:112], v[129:136]
	s_waitcnt lgkmcnt(6)
	s_delay_alu instid0(VALU_DEP_1)
	v_wmma_f32_16x16x16_bf16 v[129:136], v[57:64], v[97:104], v[129:136]
	ds_load_b128 v[61:64], v141 offset:12304
	ds_load_b128 v[57:60], v141 offset:12288
	s_waitcnt lgkmcnt(6)
	v_wmma_f32_16x16x16_bf16 v[129:136], v[49:56], v[89:96], v[129:136]
	ds_load_b128 v[53:56], v141 offset:13328
	ds_load_b128 v[49:52], v141 offset:13312
	s_waitcnt lgkmcnt(6)
	;; [unrolled: 4-line block ×4, first 2 shown]
	v_wmma_f32_16x16x16_bf16 v[129:136], v[1:8], v[57:64], v[129:136]
	s_waitcnt lgkmcnt(4)
	s_delay_alu instid0(VALU_DEP_1) | instskip(SKIP_1) | instid1(VALU_DEP_1)
	v_wmma_f32_16x16x16_bf16 v[129:136], v[25:32], v[49:56], v[129:136]
	s_waitcnt lgkmcnt(2)
	v_wmma_f32_16x16x16_bf16 v[129:136], v[33:40], v[41:48], v[129:136]
	s_waitcnt lgkmcnt(0)
	s_delay_alu instid0(VALU_DEP_1) | instskip(NEXT) | instid1(VALU_DEP_1)
	v_wmma_f32_16x16x16_bf16 v[129:136], v[9:16], v[17:24], v[129:136]
	v_and_b32_e32 v1, 0x7f800000, v129
	s_delay_alu instid0(VALU_DEP_1) | instskip(SKIP_1) | instid1(SALU_CYCLE_1)
	v_cmp_ne_u32_e32 vcc_lo, 0x7f800000, v1
                                        ; implicit-def: $vgpr1
	s_and_saveexec_b32 s3, vcc_lo
	s_xor_b32 s3, exec_lo, s3
; %bb.78:
	v_bfe_u32 v1, v129, 16, 1
	s_delay_alu instid0(VALU_DEP_1)
	v_add3_u32 v1, v129, v1, 0x7fff
; %bb.79:
	s_and_not1_saveexec_b32 s3, s3
; %bb.80:
	v_and_b32_e32 v1, 0xffff, v129
	v_or_b32_e32 v2, 0x10000, v129
	s_delay_alu instid0(VALU_DEP_2) | instskip(NEXT) | instid1(VALU_DEP_2)
	v_cmp_eq_u32_e32 vcc_lo, 0, v1
	v_cndmask_b32_e32 v1, v2, v129, vcc_lo
; %bb.81:
	s_or_b32 exec_lo, exec_lo, s3
	v_and_b32_e32 v2, 0x7f800000, v130
	s_delay_alu instid0(VALU_DEP_1) | instskip(SKIP_1) | instid1(SALU_CYCLE_1)
	v_cmp_ne_u32_e32 vcc_lo, 0x7f800000, v2
                                        ; implicit-def: $vgpr2
	s_and_saveexec_b32 s3, vcc_lo
	s_xor_b32 s3, exec_lo, s3
; %bb.82:
	v_bfe_u32 v2, v130, 16, 1
	s_delay_alu instid0(VALU_DEP_1)
	v_add3_u32 v2, v130, v2, 0x7fff
; %bb.83:
	s_and_not1_saveexec_b32 s3, s3
; %bb.84:
	v_and_b32_e32 v2, 0xffff, v130
	v_or_b32_e32 v3, 0x10000, v130
	s_delay_alu instid0(VALU_DEP_2) | instskip(NEXT) | instid1(VALU_DEP_2)
	v_cmp_eq_u32_e32 vcc_lo, 0, v2
	v_cndmask_b32_e32 v2, v3, v130, vcc_lo
; %bb.85:
	s_or_b32 exec_lo, exec_lo, s3
	v_and_b32_e32 v3, 0x7f800000, v131
	s_delay_alu instid0(VALU_DEP_1) | instskip(SKIP_1) | instid1(SALU_CYCLE_1)
	v_cmp_ne_u32_e32 vcc_lo, 0x7f800000, v3
                                        ; implicit-def: $vgpr3
	s_and_saveexec_b32 s3, vcc_lo
	s_xor_b32 s3, exec_lo, s3
; %bb.86:
	v_bfe_u32 v3, v131, 16, 1
	s_delay_alu instid0(VALU_DEP_1)
	v_add3_u32 v3, v131, v3, 0x7fff
; %bb.87:
	s_and_not1_saveexec_b32 s3, s3
; %bb.88:
	v_and_b32_e32 v3, 0xffff, v131
	v_or_b32_e32 v4, 0x10000, v131
	s_delay_alu instid0(VALU_DEP_2) | instskip(NEXT) | instid1(VALU_DEP_2)
	v_cmp_eq_u32_e32 vcc_lo, 0, v3
	v_cndmask_b32_e32 v3, v4, v131, vcc_lo
; %bb.89:
	s_or_b32 exec_lo, exec_lo, s3
	v_and_b32_e32 v4, 0x7f800000, v132
	s_delay_alu instid0(VALU_DEP_1) | instskip(SKIP_1) | instid1(SALU_CYCLE_1)
	v_cmp_ne_u32_e32 vcc_lo, 0x7f800000, v4
                                        ; implicit-def: $vgpr4
	s_and_saveexec_b32 s3, vcc_lo
	s_xor_b32 s3, exec_lo, s3
; %bb.90:
	v_bfe_u32 v4, v132, 16, 1
	s_delay_alu instid0(VALU_DEP_1)
	v_add3_u32 v4, v132, v4, 0x7fff
; %bb.91:
	s_and_not1_saveexec_b32 s3, s3
; %bb.92:
	v_and_b32_e32 v4, 0xffff, v132
	v_or_b32_e32 v5, 0x10000, v132
	s_delay_alu instid0(VALU_DEP_2) | instskip(NEXT) | instid1(VALU_DEP_2)
	v_cmp_eq_u32_e32 vcc_lo, 0, v4
	v_cndmask_b32_e32 v4, v5, v132, vcc_lo
; %bb.93:
	s_or_b32 exec_lo, exec_lo, s3
	v_and_b32_e32 v5, 0x7f800000, v133
	s_delay_alu instid0(VALU_DEP_1) | instskip(SKIP_1) | instid1(SALU_CYCLE_1)
	v_cmp_ne_u32_e32 vcc_lo, 0x7f800000, v5
                                        ; implicit-def: $vgpr5
	s_and_saveexec_b32 s3, vcc_lo
	s_xor_b32 s3, exec_lo, s3
; %bb.94:
	v_bfe_u32 v5, v133, 16, 1
	s_delay_alu instid0(VALU_DEP_1)
	v_add3_u32 v5, v133, v5, 0x7fff
; %bb.95:
	s_and_not1_saveexec_b32 s3, s3
; %bb.96:
	v_and_b32_e32 v5, 0xffff, v133
	v_or_b32_e32 v6, 0x10000, v133
	s_delay_alu instid0(VALU_DEP_2) | instskip(NEXT) | instid1(VALU_DEP_2)
	v_cmp_eq_u32_e32 vcc_lo, 0, v5
	v_cndmask_b32_e32 v5, v6, v133, vcc_lo
; %bb.97:
	s_or_b32 exec_lo, exec_lo, s3
	v_and_b32_e32 v6, 0x7f800000, v134
	s_delay_alu instid0(VALU_DEP_1) | instskip(SKIP_1) | instid1(SALU_CYCLE_1)
	v_cmp_ne_u32_e32 vcc_lo, 0x7f800000, v6
                                        ; implicit-def: $vgpr6
	s_and_saveexec_b32 s3, vcc_lo
	s_xor_b32 s3, exec_lo, s3
; %bb.98:
	v_bfe_u32 v6, v134, 16, 1
	s_delay_alu instid0(VALU_DEP_1)
	v_add3_u32 v6, v134, v6, 0x7fff
; %bb.99:
	s_and_not1_saveexec_b32 s3, s3
; %bb.100:
	v_and_b32_e32 v6, 0xffff, v134
	v_or_b32_e32 v7, 0x10000, v134
	s_delay_alu instid0(VALU_DEP_2) | instskip(NEXT) | instid1(VALU_DEP_2)
	v_cmp_eq_u32_e32 vcc_lo, 0, v6
	v_cndmask_b32_e32 v6, v7, v134, vcc_lo
; %bb.101:
	s_or_b32 exec_lo, exec_lo, s3
	v_and_b32_e32 v7, 0x7f800000, v135
	s_delay_alu instid0(VALU_DEP_1) | instskip(SKIP_1) | instid1(SALU_CYCLE_1)
	v_cmp_ne_u32_e32 vcc_lo, 0x7f800000, v7
                                        ; implicit-def: $vgpr7
	s_and_saveexec_b32 s3, vcc_lo
	s_xor_b32 s3, exec_lo, s3
; %bb.102:
	v_bfe_u32 v7, v135, 16, 1
	s_delay_alu instid0(VALU_DEP_1)
	v_add3_u32 v7, v135, v7, 0x7fff
; %bb.103:
	s_and_not1_saveexec_b32 s3, s3
; %bb.104:
	v_and_b32_e32 v7, 0xffff, v135
	v_or_b32_e32 v8, 0x10000, v135
	s_delay_alu instid0(VALU_DEP_2) | instskip(NEXT) | instid1(VALU_DEP_2)
	v_cmp_eq_u32_e32 vcc_lo, 0, v7
	v_cndmask_b32_e32 v7, v8, v135, vcc_lo
; %bb.105:
	s_or_b32 exec_lo, exec_lo, s3
	v_and_b32_e32 v8, 0x7f800000, v136
	s_delay_alu instid0(VALU_DEP_1) | instskip(SKIP_1) | instid1(SALU_CYCLE_1)
	v_cmp_ne_u32_e32 vcc_lo, 0x7f800000, v8
                                        ; implicit-def: $vgpr8
	s_and_saveexec_b32 s3, vcc_lo
	s_xor_b32 s3, exec_lo, s3
; %bb.106:
	v_bfe_u32 v8, v136, 16, 1
	s_delay_alu instid0(VALU_DEP_1)
	v_add3_u32 v8, v136, v8, 0x7fff
                                        ; implicit-def: $vgpr129_vgpr130_vgpr131_vgpr132_vgpr133_vgpr134_vgpr135_vgpr136
; %bb.107:
	s_and_not1_saveexec_b32 s3, s3
; %bb.108:
	v_and_b32_e32 v8, 0xffff, v136
	v_or_b32_e32 v9, 0x10000, v136
	s_delay_alu instid0(VALU_DEP_2) | instskip(NEXT) | instid1(VALU_DEP_2)
	v_cmp_eq_u32_e32 vcc_lo, 0, v8
	v_cndmask_b32_e32 v8, v9, v136, vcc_lo
; %bb.109:
	s_or_b32 exec_lo, exec_lo, s3
	s_delay_alu instid0(VALU_DEP_1)
	v_perm_b32 v7, v8, v7, 0x7060302
	v_perm_b32 v6, v6, v5, 0x7060302
	;; [unrolled: 1-line block ×4, first 2 shown]
	v_lshl_or_b32 v9, v146, 4, v142
	s_barrier
	buffer_gl0_inv
	v_cmp_eq_u32_e32 vcc_lo, 1, v138
	ds_store_b128 v9, v[4:7]
	s_waitcnt lgkmcnt(0)
	s_barrier
	buffer_gl0_inv
	ds_load_b128 v[1:4], v142
	ds_load_b128 v[5:8], v142 offset:16
	v_cmp_eq_u32_e64 s4, 2, v138
	v_cmp_eq_u32_e64 s3, 1, v139
	;; [unrolled: 1-line block ×5, first 2 shown]
	s_xor_b32 s2, s2, -1
	s_waitcnt lgkmcnt(1)
	v_lshrrev_b32_e32 v10, 16, v1
	s_waitcnt lgkmcnt(0)
	v_lshrrev_b32_e32 v14, 16, v5
	v_lshrrev_b32_e32 v15, 16, v6
	;; [unrolled: 1-line block ×4, first 2 shown]
	v_cndmask_b32_e64 v20, v1, v10, s3
	v_cndmask_b32_e32 v19, v5, v14, vcc_lo
	v_cndmask_b32_e64 v21, v5, v14, s3
	v_lshrrev_b32_e32 v16, 16, v7
	v_cmp_eq_u32_e64 s3, 1, v137
	v_lshrrev_b32_e32 v13, 16, v4
	v_cndmask_b32_e64 v19, v19, v6, s4
	v_lshrrev_b32_e32 v17, 16, v8
	s_delay_alu instid0(VALU_DEP_4) | instskip(SKIP_1) | instid1(VALU_DEP_4)
	v_cndmask_b32_e64 v22, v1, v10, s3
	v_cndmask_b32_e64 v23, v5, v14, s3
	;; [unrolled: 1-line block ×3, first 2 shown]
	v_cndmask_b32_e32 v18, v1, v10, vcc_lo
	v_cmp_eq_u32_e32 vcc_lo, 2, v139
	v_cmp_eq_u32_e64 s3, 2, v140
	v_cndmask_b32_e64 v22, v22, v2, s7
	v_cndmask_b32_e32 v20, v20, v2, vcc_lo
	v_cndmask_b32_e32 v21, v21, v6, vcc_lo
	v_cmp_eq_u32_e32 vcc_lo, 4, v138
	v_cndmask_b32_e32 v19, v19, v7, vcc_lo
	v_cndmask_b32_e64 v18, v18, v2, s4
	v_cmp_eq_u32_e64 s4, 3, v139
	s_delay_alu instid0(VALU_DEP_2) | instskip(NEXT) | instid1(VALU_DEP_2)
	v_cndmask_b32_e64 v18, v18, v11, s5
	v_cndmask_b32_e64 v21, v21, v15, s4
	v_cmp_eq_u32_e64 s5, 5, v138
	s_delay_alu instid0(VALU_DEP_3) | instskip(SKIP_1) | instid1(VALU_DEP_3)
	v_cndmask_b32_e32 v18, v18, v3, vcc_lo
	v_cmp_eq_u32_e32 vcc_lo, 4, v139
	v_cndmask_b32_e64 v19, v19, v16, s5
	s_delay_alu instid0(VALU_DEP_3) | instskip(SKIP_4) | instid1(VALU_DEP_3)
	v_cndmask_b32_e64 v18, v18, v12, s5
	v_cndmask_b32_e32 v21, v21, v7, vcc_lo
	v_cndmask_b32_e64 v20, v20, v11, s4
	v_cmp_eq_u32_e64 s4, 5, v139
	v_cmp_eq_u32_e64 s5, 6, v138
	v_cndmask_b32_e32 v20, v20, v3, vcc_lo
	s_delay_alu instid0(VALU_DEP_3) | instskip(SKIP_1) | instid1(VALU_DEP_4)
	v_cndmask_b32_e64 v21, v21, v16, s4
	v_cmp_eq_u32_e32 vcc_lo, 6, v139
	v_cndmask_b32_e64 v18, v18, v4, s5
	v_cndmask_b32_e64 v19, v19, v8, s5
	;; [unrolled: 1-line block ×3, first 2 shown]
	v_cmp_eq_u32_e64 s4, 1, v140
	v_cmp_eq_u32_e64 s5, 7, v138
	s_delay_alu instid0(VALU_DEP_3) | instskip(NEXT) | instid1(VALU_DEP_3)
	v_cndmask_b32_e32 v20, v20, v4, vcc_lo
	v_cndmask_b32_e64 v1, v1, v10, s4
	v_cndmask_b32_e64 v5, v5, v14, s4
	v_cmp_eq_u32_e64 s4, 3, v137
	v_cndmask_b32_e64 v14, v23, v6, s7
	v_cmp_eq_u32_e64 s7, 3, v140
	v_cndmask_b32_e64 v1, v1, v2, s3
	v_cndmask_b32_e64 v2, v5, v6, s3
	;; [unrolled: 1-line block ×3, first 2 shown]
	v_cmp_eq_u32_e64 s3, 4, v137
	v_cndmask_b32_e64 v6, v14, v15, s4
	v_cndmask_b32_e64 v1, v1, v11, s7
	v_cmp_eq_u32_e64 s4, 4, v140
	v_cndmask_b32_e64 v2, v2, v15, s7
	v_cndmask_b32_e64 v5, v10, v3, s3
	;; [unrolled: 3-line block ×3, first 2 shown]
	v_cndmask_b32_e64 v2, v2, v7, s4
	v_cmp_eq_u32_e64 s3, 5, v140
	v_cndmask_b32_e64 v5, v5, v12, s7
	v_cmp_eq_u32_e64 s4, 6, v137
	;; [unrolled: 2-line block ×3, first 2 shown]
	v_cndmask_b32_e64 v1, v1, v12, s3
	v_cndmask_b32_e64 v2, v2, v16, s3
	;; [unrolled: 1-line block ×4, first 2 shown]
	v_cmp_eq_u32_e64 s3, 7, v140
	v_cndmask_b32_e64 v1, v1, v4, s7
	v_cndmask_b32_e64 v2, v2, v8, s7
	v_cmp_eq_u32_e64 s4, 7, v137
	v_cndmask_b32_e32 v4, v21, v8, vcc_lo
	v_cndmask_b32_e64 v18, v18, v13, s5
	v_cndmask_b32_e64 v20, v20, v13, s6
	;; [unrolled: 1-line block ×8, first 2 shown]
	v_cmp_gt_u32_e32 vcc_lo, 32, v0
	v_perm_b32 v4, v2, v1, 0x5040100
	v_perm_b32 v3, v3, v5, 0x5040100
	;; [unrolled: 1-line block ×4, first 2 shown]
	s_and_b32 s2, vcc_lo, s2
	ds_store_b128 v9, v[1:4]
	s_waitcnt lgkmcnt(0)
	s_barrier
	buffer_gl0_inv
	s_and_saveexec_b32 s3, s2
	s_cbranch_execz .LBB630_2
; %bb.110:
	s_load_b64 s[0:1], s[0:1], 0x68
	v_lshlrev_b32_e32 v1, 10, v0
	v_and_b32_e32 v0, 1, v0
	v_lshlrev_b32_e32 v2, 6, v146
	s_lshl_b32 s4, s36, 7
	v_lshlrev_b32_e32 v4, 4, v145
	v_and_b32_e32 v1, 0x3800, v1
	v_lshlrev_b32_e32 v0, 4, v0
	s_mul_i32 s2, s4, s34
	s_delay_alu instid0(SALU_CYCLE_1) | instskip(NEXT) | instid1(VALU_DEP_1)
	s_mul_i32 s2, s2, s37
	v_or3_b32 v0, v1, v2, v0
	s_ashr_i32 s3, s2, 31
	s_delay_alu instid0(SALU_CYCLE_1)
	s_lshl_b64 s[2:3], s[2:3], 1
	ds_load_b128 v[0:3], v0
	s_waitcnt lgkmcnt(0)
	s_add_u32 s5, s0, s2
	s_addc_u32 s3, s1, s3
	s_lshl_b32 s0, s14, 7
	s_mul_i32 s2, s4, s15
	s_ashr_i32 s1, s0, 31
	s_delay_alu instid0(SALU_CYCLE_1) | instskip(NEXT) | instid1(SALU_CYCLE_1)
	s_lshl_b64 s[0:1], s[0:1], 1
	s_add_u32 s4, s5, s0
	s_addc_u32 s5, s3, s1
	s_ashr_i32 s3, s2, 31
	s_delay_alu instid0(SALU_CYCLE_1) | instskip(NEXT) | instid1(SALU_CYCLE_1)
	s_lshl_b64 s[0:1], s[2:3], 1
	s_add_u32 s0, s4, s0
	s_addc_u32 s1, s5, s1
	global_store_b128 v4, v[0:3], s[0:1]
	s_nop 0
	s_sendmsg sendmsg(MSG_DEALLOC_VGPRS)
	s_endpgm
	.section	.rodata,"a",@progbits
	.p2align	6, 0x0
	.amdhsa_kernel _Z39paged_attention_ll4mi_QKV_mfma16_kernelI14__hip_bfloat16S0_LN4vllm18Fp8KVCacheDataTypeE0EhLi16ELi128ELi256ELb0ELi1EL8MFMAType0EEvPKT_PKT0_S9_ifPKiSB_SB_iPKfiiiPfSE_PS4_PT2_iSD_SD_
		.amdhsa_group_segment_fixed_size 17472
		.amdhsa_private_segment_fixed_size 0
		.amdhsa_kernarg_size 400
		.amdhsa_user_sgpr_count 13
		.amdhsa_user_sgpr_dispatch_ptr 0
		.amdhsa_user_sgpr_queue_ptr 0
		.amdhsa_user_sgpr_kernarg_segment_ptr 1
		.amdhsa_user_sgpr_dispatch_id 0
		.amdhsa_user_sgpr_private_segment_size 0
		.amdhsa_wavefront_size32 1
		.amdhsa_uses_dynamic_stack 0
		.amdhsa_enable_private_segment 0
		.amdhsa_system_sgpr_workgroup_id_x 1
		.amdhsa_system_sgpr_workgroup_id_y 1
		.amdhsa_system_sgpr_workgroup_id_z 1
		.amdhsa_system_sgpr_workgroup_info 0
		.amdhsa_system_vgpr_workitem_id 0
		.amdhsa_next_free_vgpr 201
		.amdhsa_next_free_sgpr 98
		.amdhsa_reserve_vcc 1
		.amdhsa_float_round_mode_32 0
		.amdhsa_float_round_mode_16_64 0
		.amdhsa_float_denorm_mode_32 3
		.amdhsa_float_denorm_mode_16_64 3
		.amdhsa_dx10_clamp 1
		.amdhsa_ieee_mode 1
		.amdhsa_fp16_overflow 0
		.amdhsa_workgroup_processor_mode 1
		.amdhsa_memory_ordered 1
		.amdhsa_forward_progress 0
		.amdhsa_shared_vgpr_count 0
		.amdhsa_exception_fp_ieee_invalid_op 0
		.amdhsa_exception_fp_denorm_src 0
		.amdhsa_exception_fp_ieee_div_zero 0
		.amdhsa_exception_fp_ieee_overflow 0
		.amdhsa_exception_fp_ieee_underflow 0
		.amdhsa_exception_fp_ieee_inexact 0
		.amdhsa_exception_int_div_zero 0
	.end_amdhsa_kernel
	.section	.text._Z39paged_attention_ll4mi_QKV_mfma16_kernelI14__hip_bfloat16S0_LN4vllm18Fp8KVCacheDataTypeE0EhLi16ELi128ELi256ELb0ELi1EL8MFMAType0EEvPKT_PKT0_S9_ifPKiSB_SB_iPKfiiiPfSE_PS4_PT2_iSD_SD_,"axG",@progbits,_Z39paged_attention_ll4mi_QKV_mfma16_kernelI14__hip_bfloat16S0_LN4vllm18Fp8KVCacheDataTypeE0EhLi16ELi128ELi256ELb0ELi1EL8MFMAType0EEvPKT_PKT0_S9_ifPKiSB_SB_iPKfiiiPfSE_PS4_PT2_iSD_SD_,comdat
.Lfunc_end630:
	.size	_Z39paged_attention_ll4mi_QKV_mfma16_kernelI14__hip_bfloat16S0_LN4vllm18Fp8KVCacheDataTypeE0EhLi16ELi128ELi256ELb0ELi1EL8MFMAType0EEvPKT_PKT0_S9_ifPKiSB_SB_iPKfiiiPfSE_PS4_PT2_iSD_SD_, .Lfunc_end630-_Z39paged_attention_ll4mi_QKV_mfma16_kernelI14__hip_bfloat16S0_LN4vllm18Fp8KVCacheDataTypeE0EhLi16ELi128ELi256ELb0ELi1EL8MFMAType0EEvPKT_PKT0_S9_ifPKiSB_SB_iPKfiiiPfSE_PS4_PT2_iSD_SD_
                                        ; -- End function
	.section	.AMDGPU.csdata,"",@progbits
; Kernel info:
; codeLenInByte = 10048
; NumSgprs: 100
; NumVgprs: 201
; ScratchSize: 0
; MemoryBound: 1
; FloatMode: 240
; IeeeMode: 1
; LDSByteSize: 17472 bytes/workgroup (compile time only)
; SGPRBlocks: 12
; VGPRBlocks: 25
; NumSGPRsForWavesPerEU: 100
; NumVGPRsForWavesPerEU: 201
; Occupancy: 7
; WaveLimiterHint : 1
; COMPUTE_PGM_RSRC2:SCRATCH_EN: 0
; COMPUTE_PGM_RSRC2:USER_SGPR: 13
; COMPUTE_PGM_RSRC2:TRAP_HANDLER: 0
; COMPUTE_PGM_RSRC2:TGID_X_EN: 1
; COMPUTE_PGM_RSRC2:TGID_Y_EN: 1
; COMPUTE_PGM_RSRC2:TGID_Z_EN: 1
; COMPUTE_PGM_RSRC2:TIDIG_COMP_CNT: 0
	.section	.text._Z39paged_attention_ll4mi_QKV_mfma16_kernelI14__hip_bfloat16S0_LN4vllm18Fp8KVCacheDataTypeE0EhLi16ELi128ELi256ELb0ELi2EL8MFMAType0EEvPKT_PKT0_S9_ifPKiSB_SB_iPKfiiiPfSE_PS4_PT2_iSD_SD_,"axG",@progbits,_Z39paged_attention_ll4mi_QKV_mfma16_kernelI14__hip_bfloat16S0_LN4vllm18Fp8KVCacheDataTypeE0EhLi16ELi128ELi256ELb0ELi2EL8MFMAType0EEvPKT_PKT0_S9_ifPKiSB_SB_iPKfiiiPfSE_PS4_PT2_iSD_SD_,comdat
	.protected	_Z39paged_attention_ll4mi_QKV_mfma16_kernelI14__hip_bfloat16S0_LN4vllm18Fp8KVCacheDataTypeE0EhLi16ELi128ELi256ELb0ELi2EL8MFMAType0EEvPKT_PKT0_S9_ifPKiSB_SB_iPKfiiiPfSE_PS4_PT2_iSD_SD_ ; -- Begin function _Z39paged_attention_ll4mi_QKV_mfma16_kernelI14__hip_bfloat16S0_LN4vllm18Fp8KVCacheDataTypeE0EhLi16ELi128ELi256ELb0ELi2EL8MFMAType0EEvPKT_PKT0_S9_ifPKiSB_SB_iPKfiiiPfSE_PS4_PT2_iSD_SD_
	.globl	_Z39paged_attention_ll4mi_QKV_mfma16_kernelI14__hip_bfloat16S0_LN4vllm18Fp8KVCacheDataTypeE0EhLi16ELi128ELi256ELb0ELi2EL8MFMAType0EEvPKT_PKT0_S9_ifPKiSB_SB_iPKfiiiPfSE_PS4_PT2_iSD_SD_
	.p2align	8
	.type	_Z39paged_attention_ll4mi_QKV_mfma16_kernelI14__hip_bfloat16S0_LN4vllm18Fp8KVCacheDataTypeE0EhLi16ELi128ELi256ELb0ELi2EL8MFMAType0EEvPKT_PKT0_S9_ifPKiSB_SB_iPKfiiiPfSE_PS4_PT2_iSD_SD_,@function
_Z39paged_attention_ll4mi_QKV_mfma16_kernelI14__hip_bfloat16S0_LN4vllm18Fp8KVCacheDataTypeE0EhLi16ELi128ELi256ELb0ELi2EL8MFMAType0EEvPKT_PKT0_S9_ifPKiSB_SB_iPKfiiiPfSE_PS4_PT2_iSD_SD_: ; @_Z39paged_attention_ll4mi_QKV_mfma16_kernelI14__hip_bfloat16S0_LN4vllm18Fp8KVCacheDataTypeE0EhLi16ELi128ELi256ELb0ELi2EL8MFMAType0EEvPKT_PKT0_S9_ifPKiSB_SB_iPKfiiiPfSE_PS4_PT2_iSD_SD_
; %bb.0:
	s_load_b64 s[2:3], s[0:1], 0x30
	s_mov_b32 s30, s13
	s_waitcnt lgkmcnt(0)
	s_cmp_lg_u64 s[2:3], 0
	s_cselect_b32 s8, -1, 0
	s_ashr_i32 s31, s13, 31
	s_cmp_eq_u64 s[2:3], 0
	s_cbranch_scc1 .LBB631_3
; %bb.1:
	s_lshl_b64 s[4:5], s[30:31], 2
	s_delay_alu instid0(SALU_CYCLE_1) | instskip(SKIP_4) | instid1(SALU_CYCLE_1)
	s_add_u32 s4, s2, s4
	s_addc_u32 s5, s3, s5
	s_load_b64 s[4:5], s[4:5], 0x0
	s_waitcnt lgkmcnt(0)
	s_sub_i32 s4, s5, s4
	s_cmp_eq_u32 s4, 1
	s_cselect_b32 s4, -1, 0
	s_delay_alu instid0(SALU_CYCLE_1)
	s_and_not1_b32 vcc_lo, exec_lo, s4
	s_cbranch_vccz .LBB631_4
.LBB631_2:
	s_endpgm
.LBB631_3:
.LBB631_4:
	s_load_b64 s[4:5], s[0:1], 0x28
	s_lshl_b64 s[6:7], s[30:31], 2
	s_waitcnt lgkmcnt(0)
	s_add_u32 s4, s4, s6
	s_addc_u32 s5, s5, s7
	s_lshl_b32 s34, s14, 8
	s_load_b32 s33, s[4:5], 0x0
	s_waitcnt lgkmcnt(0)
	s_cmp_ge_i32 s34, s33
	s_cbranch_scc1 .LBB631_2
; %bb.5:
	s_clause 0x1
	s_load_b128 s[20:23], s[0:1], 0x8
	s_load_b64 s[4:5], s[0:1], 0x20
	s_and_not1_b32 vcc_lo, exec_lo, s8
	s_cbranch_vccnz .LBB631_7
; %bb.6:
	s_add_u32 s2, s2, s6
	s_addc_u32 s3, s3, s7
	s_load_b32 s3, s[2:3], 0x0
	s_branch .LBB631_8
.LBB631_7:
	s_mov_b32 s3, s30
.LBB631_8:
	s_load_b128 s[16:19], s[0:1], 0x48
	v_and_b32_e32 v150, 15, v0
	v_bfe_u32 v149, v0, 4, 1
	s_lshl_b32 s31, s15, 1
	v_and_b32_e32 v151, 31, v0
	v_and_b32_e32 v148, 1, v0
	v_lshlrev_b32_e32 v1, 3, v150
	v_cmp_gt_u32_e64 s2, 32, v0
	v_or_b32_e32 v147, s31, v149
	v_lshlrev_b32_e32 v146, 6, v149
	s_delay_alu instid0(VALU_DEP_4) | instskip(NEXT) | instid1(VALU_DEP_4)
	v_lshlrev_b32_e32 v145, 1, v1
	s_and_saveexec_b32 s6, s2
	s_cbranch_execz .LBB631_10
; %bb.9:
	s_load_b64 s[8:9], s[0:1], 0x0
	v_lshlrev_b32_e32 v1, 7, v147
	s_waitcnt lgkmcnt(0)
	s_mul_hi_i32 s11, s3, s16
	s_mul_i32 s10, s3, s16
	v_lshlrev_b32_e32 v5, 10, v150
	s_lshl_b64 s[10:11], s[10:11], 1
	v_ashrrev_i32_e32 v2, 31, v1
	v_lshlrev_b32_e32 v6, 10, v148
	s_delay_alu instid0(VALU_DEP_3) | instskip(NEXT) | instid1(VALU_DEP_3)
	v_and_b32_e32 v5, 0x3800, v5
	v_lshlrev_b64 v[1:2], 1, v[1:2]
	s_delay_alu instid0(VALU_DEP_2) | instskip(SKIP_2) | instid1(VALU_DEP_2)
	v_or3_b32 v5, v5, v6, v146
	s_add_u32 s3, s8, s10
	s_addc_u32 s7, s9, s11
	v_add_co_u32 v1, vcc_lo, s3, v1
	s_delay_alu instid0(VALU_DEP_3) | instskip(NEXT) | instid1(VALU_DEP_2)
	v_add_co_ci_u32_e32 v2, vcc_lo, s7, v2, vcc_lo
	v_add_co_u32 v1, vcc_lo, v1, v145
	s_delay_alu instid0(VALU_DEP_2)
	v_add_co_ci_u32_e32 v2, vcc_lo, 0, v2, vcc_lo
	global_load_b128 v[1:4], v[1:2], off
	s_waitcnt vmcnt(0)
	ds_store_b128 v5, v[1:4]
.LBB631_10:
	s_or_b32 exec_lo, exec_lo, s6
	v_and_b32_e32 v1, 0xef, v0
	s_waitcnt lgkmcnt(0)
	s_add_i32 s3, s33, 15
	s_clause 0x1
	s_load_b32 s6, s[0:1], 0x38
	s_load_b32 s35, s[0:1], 0x1c
	s_ashr_i32 s7, s3, 31
	v_add_nc_u32_e32 v1, s34, v1
	s_lshr_b32 s7, s7, 28
	s_waitcnt lgkmcnt(0)
	s_add_i32 s3, s3, s7
	s_barrier
	v_ashrrev_i32_e32 v2, 31, v1
	v_cmp_gt_i32_e32 vcc_lo, s33, v1
	s_ashr_i32 s3, s3, 4
	buffer_gl0_inv
	s_add_i32 s3, s3, -1
	v_lshrrev_b32_e32 v3, 28, v2
	v_or_b32_e32 v2, 16, v1
	v_lshlrev_b32_e32 v153, 6, v148
	v_lshrrev_b32_e32 v152, 5, v0
	v_lshlrev_b32_e32 v125, 5, v150
	v_add_nc_u32_e32 v4, v1, v3
	v_add_nc_u32_e32 v3, v2, v3
	s_mul_i32 s6, s30, s6
	s_delay_alu instid0(SALU_CYCLE_1) | instskip(NEXT) | instid1(VALU_DEP_2)
	s_ashr_i32 s7, s6, 31
	v_ashrrev_i32_e32 v4, 4, v4
	s_delay_alu instid0(VALU_DEP_2) | instskip(SKIP_1) | instid1(SALU_CYCLE_1)
	v_ashrrev_i32_e32 v3, 4, v3
	s_lshl_b64 s[6:7], s[6:7], 2
	s_add_u32 s16, s4, s6
	s_delay_alu instid0(VALU_DEP_2) | instskip(SKIP_3) | instid1(SALU_CYCLE_1)
	v_cndmask_b32_e32 v1, s3, v4, vcc_lo
	v_cmp_gt_i32_e32 vcc_lo, s33, v2
	s_addc_u32 s36, s5, s7
	s_mul_i32 s4, s15, s18
	s_ashr_i32 s5, s4, 31
	v_cndmask_b32_e32 v3, s3, v3, vcc_lo
	v_ashrrev_i32_e32 v2, 31, v1
	s_lshl_b64 s[12:13], s[4:5], 1
	s_delay_alu instid0(SALU_CYCLE_1) | instskip(NEXT) | instid1(VALU_DEP_2)
	s_add_u32 s26, s20, s12
	v_ashrrev_i32_e32 v4, 31, v3
	s_delay_alu instid0(VALU_DEP_2) | instskip(SKIP_2) | instid1(VALU_DEP_2)
	v_lshlrev_b64 v[1:2], 2, v[1:2]
	s_addc_u32 s27, s21, s13
	s_lshl_b32 s4, s14, 4
	v_lshlrev_b64 v[3:4], 2, v[3:4]
	s_ashr_i32 s5, s4, 31
	s_delay_alu instid0(VALU_DEP_2) | instskip(SKIP_1) | instid1(VALU_DEP_3)
	v_add_co_u32 v1, vcc_lo, s16, v1
	v_add_co_ci_u32_e32 v2, vcc_lo, s36, v2, vcc_lo
	v_add_co_u32 v3, vcc_lo, s16, v3
	s_delay_alu instid0(VALU_DEP_4)
	v_add_co_ci_u32_e32 v4, vcc_lo, s36, v4, vcc_lo
	s_lshl_b64 s[4:5], s[4:5], 2
	s_clause 0x1
	global_load_b32 v5, v[1:2], off
	global_load_b32 v6, v[3:4], off
	s_add_u32 s4, s16, s4
	s_addc_u32 s5, s36, s5
	s_or_b32 s6, s34, 16
	v_lshlrev_b32_e32 v3, 4, v0
	s_ashr_i32 s7, s6, 4
	s_cmp_lt_i32 s6, s33
	s_cselect_b32 s6, s7, s3
	s_delay_alu instid0(SALU_CYCLE_1) | instskip(NEXT) | instid1(SALU_CYCLE_1)
	s_ashr_i32 s7, s6, 31
	s_lshl_b64 s[6:7], s[6:7], 2
	s_delay_alu instid0(SALU_CYCLE_1) | instskip(SKIP_2) | instid1(SALU_CYCLE_1)
	s_add_u32 s6, s16, s6
	s_addc_u32 s7, s36, s7
	s_or_b32 s8, s34, 32
	s_ashr_i32 s9, s8, 4
	s_cmp_lt_i32 s8, s33
	s_cselect_b32 s8, s9, s3
	s_delay_alu instid0(SALU_CYCLE_1) | instskip(NEXT) | instid1(SALU_CYCLE_1)
	s_ashr_i32 s9, s8, 31
	s_lshl_b64 s[8:9], s[8:9], 2
	s_delay_alu instid0(SALU_CYCLE_1) | instskip(SKIP_2) | instid1(SALU_CYCLE_1)
	s_add_u32 s8, s16, s8
	s_addc_u32 s9, s36, s9
	s_or_b32 s10, s34, 48
	;; [unrolled: 10-line block ×4, first 2 shown]
	s_ashr_i32 s18, s15, 4
	s_cmp_lt_i32 s15, s33
	s_cselect_b32 s18, s18, s3
	s_delay_alu instid0(SALU_CYCLE_1) | instskip(NEXT) | instid1(SALU_CYCLE_1)
	s_ashr_i32 s19, s18, 31
	s_lshl_b64 s[18:19], s[18:19], 2
	s_delay_alu instid0(SALU_CYCLE_1)
	s_add_u32 s24, s16, s18
	s_addc_u32 s25, s36, s19
	s_clause 0x5
	s_load_b32 s37, s[4:5], 0x0
	s_load_b32 s29, s[6:7], 0x0
	;; [unrolled: 1-line block ×6, first 2 shown]
	s_waitcnt vmcnt(1)
	v_mad_i64_i32 v[1:2], null, v5, s17, 0
	v_and_b32_e32 v5, 0xf0, v3
	s_waitcnt vmcnt(0)
	v_mad_i64_i32 v[3:4], null, v6, s17, 0
	s_delay_alu instid0(VALU_DEP_2) | instskip(NEXT) | instid1(VALU_DEP_4)
	v_add_co_u32 v5, s4, s26, v5
	v_lshlrev_b64 v[1:2], 1, v[1:2]
	v_add_co_ci_u32_e64 v6, null, s27, 0, s4
	s_delay_alu instid0(VALU_DEP_4) | instskip(SKIP_1) | instid1(VALU_DEP_3)
	v_lshlrev_b64 v[3:4], 1, v[3:4]
	s_or_b32 s4, s34, 0x60
	v_add_co_u32 v121, vcc_lo, v5, v1
	s_delay_alu instid0(VALU_DEP_3) | instskip(NEXT) | instid1(VALU_DEP_3)
	v_add_co_ci_u32_e32 v122, vcc_lo, v6, v2, vcc_lo
	v_add_co_u32 v123, vcc_lo, v5, v3
	s_delay_alu instid0(VALU_DEP_4)
	v_add_co_ci_u32_e32 v124, vcc_lo, v6, v4, vcc_lo
	s_clause 0x1b
	global_load_b128 v[89:92], v[121:122], off
	global_load_b128 v[93:96], v[121:122], off offset:256
	global_load_b128 v[97:100], v[123:124], off
	global_load_b128 v[101:104], v[123:124], off offset:256
	global_load_b128 v[81:84], v[121:122], off offset:512
	;; [unrolled: 1-line block ×25, first 2 shown]
	ds_load_b128 v[105:108], v153
	ds_load_b128 v[109:112], v153 offset:1024
	ds_load_b128 v[113:116], v153 offset:2048
	;; [unrolled: 1-line block ×9, first 2 shown]
	s_clause 0x3
	global_load_b128 v[186:189], v[121:122], off offset:3584
	global_load_b128 v[190:193], v[121:122], off offset:3840
	;; [unrolled: 1-line block ×4, first 2 shown]
	s_ashr_i32 s5, s4, 4
	s_cmp_lt_i32 s4, s33
	ds_load_b128 v[202:205], v153 offset:10240
	ds_load_b128 v[206:209], v153 offset:11264
	s_cselect_b32 s4, s5, s3
	ds_load_b128 v[210:213], v153 offset:12288
	ds_load_b128 v[214:217], v153 offset:13312
	s_ashr_i32 s5, s4, 31
	s_delay_alu instid0(SALU_CYCLE_1) | instskip(NEXT) | instid1(SALU_CYCLE_1)
	s_lshl_b64 s[4:5], s[4:5], 2
	s_add_u32 s20, s16, s4
	s_addc_u32 s21, s36, s5
	s_or_b32 s4, s34, 0x70
	s_load_b32 s41, s[20:21], 0x0
	s_ashr_i32 s5, s4, 4
	s_cmp_lt_i32 s4, s33
	s_mov_b32 s4, 0
	s_cselect_b32 s6, s5, s3
	s_mov_b32 s5, s4
	s_ashr_i32 s7, s6, 31
	s_mov_b32 s9, s4
	s_lshl_b64 s[6:7], s[6:7], 2
	s_delay_alu instid0(SALU_CYCLE_1)
	s_add_u32 s24, s16, s6
	s_addc_u32 s25, s36, s7
	s_or_b32 s7, s34, 0x80
	s_load_b32 s46, s[24:25], 0x0
	s_ashr_i32 s8, s7, 4
	s_cmp_lt_i32 s7, s33
	s_mov_b32 s6, s4
	s_cselect_b32 s10, s8, s3
	s_mov_b32 s7, s4
	s_ashr_i32 s11, s10, 31
	s_mov_b32 s8, s4
	s_lshl_b64 s[26:27], s[10:11], 2
	s_mov_b32 s11, s4
	s_add_u32 s26, s16, s26
	s_addc_u32 s27, s36, s27
	s_or_b32 s38, s34, 0x90
	s_load_b32 s47, s[26:27], 0x0
	s_ashr_i32 s39, s38, 4
	s_mov_b32 s10, s4
	s_cmp_lt_i32 s38, s33
	v_dual_mov_b32 v136, s11 :: v_dual_mov_b32 v135, s10
	v_dual_mov_b32 v134, s9 :: v_dual_mov_b32 v133, s8
	;; [unrolled: 1-line block ×4, first 2 shown]
	s_cselect_b32 s4, s39, s3
	s_waitcnt lgkmcnt(0)
	s_mul_hi_i32 s7, s29, s17
	s_ashr_i32 s5, s4, 31
	s_mul_hi_i32 s11, s19, s17
	s_lshl_b64 s[4:5], s[4:5], 2
	s_delay_alu instid0(SALU_CYCLE_1)
	s_add_u32 s38, s16, s4
	s_addc_u32 s39, s36, s5
	s_or_b32 s4, s34, 0xa0
	s_load_b32 s40, s[38:39], 0x0
	s_ashr_i32 s5, s4, 4
	s_cmp_lt_i32 s4, s33
	s_mul_hi_i32 s21, s15, s17
	s_cselect_b32 s4, s5, s3
	s_mul_hi_i32 s27, s46, s17
	s_ashr_i32 s5, s4, 31
	s_mul_i32 s26, s46, s17
	s_lshl_b64 s[4:5], s[4:5], 2
	s_delay_alu instid0(SALU_CYCLE_1)
	s_add_u32 s42, s16, s4
	s_addc_u32 s43, s36, s5
	s_or_b32 s4, s34, 0xb0
	s_mul_hi_i32 s5, s37, s17
	s_ashr_i32 s6, s4, 4
	s_cmp_lt_i32 s4, s33
	s_mul_i32 s4, s37, s17
	s_cselect_b32 s8, s6, s3
	s_mul_i32 s6, s29, s17
	s_ashr_i32 s9, s8, 31
	s_load_b32 s39, s[42:43], 0x0
	s_lshl_b64 s[8:9], s[8:9], 2
	s_delay_alu instid0(SALU_CYCLE_1)
	s_add_u32 s44, s16, s8
	s_addc_u32 s45, s36, s9
	s_or_b32 s8, s34, 0xc0
	s_mul_hi_i32 s9, s28, s17
	s_ashr_i32 s10, s8, 4
	s_cmp_lt_i32 s8, s33
	s_mul_i32 s8, s28, s17
	s_cselect_b32 s28, s10, s3
	s_mul_i32 s10, s19, s17
	s_ashr_i32 s29, s28, 31
	s_mul_hi_i32 s19, s18, s17
	s_lshl_b64 s[28:29], s[28:29], 2
	s_mul_i32 s18, s18, s17
	s_add_u32 s28, s16, s28
	s_addc_u32 s29, s36, s29
	s_or_b32 s37, s34, 0xd0
	s_delay_alu instid0(SALU_CYCLE_1) | instskip(SKIP_4) | instid1(SALU_CYCLE_1)
	s_ashr_i32 s20, s37, 4
	s_cmp_lt_i32 s37, s33
	s_cselect_b32 s24, s20, s3
	s_mul_i32 s20, s15, s17
	s_ashr_i32 s25, s24, 31
	s_lshl_b64 s[24:25], s[24:25], 2
	s_delay_alu instid0(SALU_CYCLE_1)
	s_add_u32 s24, s16, s24
	s_addc_u32 s25, s36, s25
	s_or_b32 s42, s34, 0xe0
	s_clause 0x2
	s_load_b32 s38, s[44:45], 0x0
	s_load_b32 s37, s[28:29], 0x0
	;; [unrolled: 1-line block ×3, first 2 shown]
	s_ashr_i32 s43, s42, 4
	s_cmp_lt_i32 s42, s33
	s_mul_hi_i32 s29, s47, s17
	s_cselect_b32 s42, s43, s3
	s_mul_i32 s28, s47, s17
	s_ashr_i32 s43, s42, 31
	s_mul_hi_i32 s25, s41, s17
	s_lshl_b64 s[42:43], s[42:43], 2
	s_mul_i32 s24, s41, s17
	s_add_u32 s42, s16, s42
	s_addc_u32 s43, s36, s43
	s_or_b32 s46, s34, 0xf0
	s_waitcnt lgkmcnt(0)
	s_mul_hi_i32 s41, s40, s17
	s_ashr_i32 s47, s46, 4
	s_cmp_lt_i32 s46, s33
	s_mul_i32 s40, s40, s17
	s_cselect_b32 s46, s47, s3
	s_mul_hi_i32 s45, s39, s17
	s_ashr_i32 s47, s46, 31
	s_mul_hi_i32 s51, s15, s17
	s_lshl_b64 s[46:47], s[46:47], 2
	s_mul_i32 s50, s15, s17
	s_add_u32 s46, s16, s46
	s_addc_u32 s47, s36, s47
	s_add_u32 s3, s22, s12
	s_addc_u32 s15, s23, s13
	s_lshl_b64 s[4:5], s[4:5], 1
	s_lshl_b64 s[6:7], s[6:7], 1
	;; [unrolled: 1-line block ×10, first 2 shown]
	s_mul_i32 s44, s39, s17
	s_mul_hi_i32 s39, s38, s17
	s_lshl_b64 s[28:29], s[44:45], 1
	s_mul_i32 s38, s38, s17
	s_mul_hi_i32 s49, s37, s17
	s_mul_i32 s48, s37, s17
	s_lshl_b64 s[36:37], s[38:39], 1
	s_lshl_b64 s[38:39], s[48:49], 1
	s_waitcnt vmcnt(30)
	v_wmma_f32_16x16x16_bf16 v[137:144], v[89:96], v[105:112], v[129:136]
	v_lshl_or_b32 v89, v152, 9, v125
	s_waitcnt vmcnt(28)
	v_wmma_f32_16x16x16_bf16 v[129:136], v[97:104], v[105:112], v[129:136]
	s_waitcnt vmcnt(26)
	v_wmma_f32_16x16x16_bf16 v[137:144], v[81:88], v[113:120], v[137:144]
	v_add_co_u32 v228, s3, s3, v89
	s_delay_alu instid0(VALU_DEP_1) | instskip(SKIP_2) | instid1(VALU_DEP_3)
	v_add_co_ci_u32_e64 v229, null, s15, 0, s3
	s_waitcnt vmcnt(24)
	v_wmma_f32_16x16x16_bf16 v[129:136], v[73:80], v[113:120], v[129:136]
	v_add_co_u32 v89, vcc_lo, v228, s4
	s_delay_alu instid0(VALU_DEP_3)
	v_add_co_ci_u32_e32 v90, vcc_lo, s5, v229, vcc_lo
	v_add_co_u32 v81, vcc_lo, v228, s6
	v_add_co_ci_u32_e32 v82, vcc_lo, s7, v229, vcc_lo
	v_add_co_u32 v83, vcc_lo, v228, s8
	v_add_co_ci_u32_e32 v84, vcc_lo, s9, v229, vcc_lo
	v_add_co_u32 v85, vcc_lo, v228, s10
	v_add_co_ci_u32_e32 v86, vcc_lo, s11, v229, vcc_lo
	v_add_co_u32 v87, vcc_lo, v228, s12
	v_add_co_ci_u32_e32 v88, vcc_lo, s13, v229, vcc_lo
	v_add_co_u32 v73, vcc_lo, v228, s18
	v_add_co_ci_u32_e32 v74, vcc_lo, s19, v229, vcc_lo
	v_add_co_u32 v77, vcc_lo, v228, s20
	v_add_co_ci_u32_e32 v78, vcc_lo, s21, v229, vcc_lo
	v_add_co_u32 v218, vcc_lo, v228, s22
	v_add_co_ci_u32_e32 v219, vcc_lo, s23, v229, vcc_lo
	s_clause 0x1
	s_load_b32 s3, s[42:43], 0x0
	s_load_b32 s15, s[46:47], 0x0
	v_add_co_u32 v220, vcc_lo, v228, s24
	v_add_co_ci_u32_e32 v221, vcc_lo, s25, v229, vcc_lo
	s_waitcnt vmcnt(22)
	v_wmma_f32_16x16x16_bf16 v[137:144], v[65:72], v[162:169], v[137:144]
	v_add_co_u32 v222, vcc_lo, v228, s26
	v_add_co_ci_u32_e32 v223, vcc_lo, s27, v229, vcc_lo
	v_add_co_u32 v224, vcc_lo, v228, s28
	s_waitcnt vmcnt(18)
	v_wmma_f32_16x16x16_bf16 v[137:144], v[49:56], v[170:177], v[137:144]
	v_add_co_ci_u32_e32 v225, vcc_lo, s29, v229, vcc_lo
	v_add_co_u32 v226, vcc_lo, v228, s36
	v_wmma_f32_16x16x16_bf16 v[129:136], v[57:64], v[162:169], v[129:136]
	v_add_co_ci_u32_e32 v227, vcc_lo, s37, v229, vcc_lo
	s_waitcnt vmcnt(14)
	v_wmma_f32_16x16x16_bf16 v[137:144], v[33:40], v[178:185], v[137:144]
	v_add_co_u32 v33, vcc_lo, v228, s38
	v_wmma_f32_16x16x16_bf16 v[129:136], v[41:48], v[170:177], v[129:136]
	v_add_co_ci_u32_e32 v34, vcc_lo, s39, v229, vcc_lo
	s_lshl_b64 s[4:5], s[50:51], 1
	s_clause 0x11
	global_load_b128 v[121:124], v[89:90], off
	global_load_b128 v[125:128], v[89:90], off offset:16
	global_load_b128 v[113:116], v[81:82], off
	global_load_b128 v[117:120], v[81:82], off offset:16
	;; [unrolled: 2-line block ×9, first 2 shown]
	s_waitcnt vmcnt(30)
	v_wmma_f32_16x16x16_bf16 v[129:136], v[17:24], v[178:185], v[129:136]
	s_clause 0x5
	global_load_b128 v[49:52], v[222:223], off
	global_load_b128 v[53:56], v[222:223], off offset:16
	global_load_b128 v[41:44], v[224:225], off
	global_load_b128 v[45:48], v[224:225], off offset:16
	;; [unrolled: 2-line block ×3, first 2 shown]
	s_waitcnt lgkmcnt(0)
	s_mul_hi_i32 s7, s3, s17
	s_mul_i32 s6, s3, s17
	s_waitcnt vmcnt(34)
	v_wmma_f32_16x16x16_bf16 v[137:144], v[1:8], v[202:209], v[137:144]
	s_clause 0x1
	global_load_b128 v[1:4], v[33:34], off
	global_load_b128 v[5:8], v[33:34], off offset:16
	v_add_co_u32 v33, vcc_lo, v228, s4
	v_add_co_ci_u32_e32 v34, vcc_lo, s5, v229, vcc_lo
	s_lshl_b64 s[4:5], s[6:7], 1
	s_mul_hi_i32 s7, s15, s17
	s_mul_i32 s6, s15, s17
	v_add_co_u32 v37, vcc_lo, v228, s4
	v_add_co_ci_u32_e32 v38, vcc_lo, s5, v229, vcc_lo
	s_lshl_b64 s[4:5], s[6:7], 1
	s_waitcnt vmcnt(34)
	v_wmma_f32_16x16x16_bf16 v[129:136], v[25:32], v[202:209], v[129:136]
	v_add_co_u32 v162, vcc_lo, v228, s4
	v_add_co_ci_u32_e32 v163, vcc_lo, s5, v229, vcc_lo
	s_clause 0x3
	global_load_b128 v[25:28], v[33:34], off
	global_load_b128 v[29:32], v[33:34], off offset:16
	global_load_b128 v[33:36], v[37:38], off
	global_load_b128 v[37:40], v[37:38], off offset:16
	s_waitcnt vmcnt(36)
	v_wmma_f32_16x16x16_bf16 v[137:144], v[9:16], v[210:217], v[137:144]
	s_clause 0x1
	global_load_b128 v[9:12], v[162:163], off
	global_load_b128 v[13:16], v[162:163], off offset:16
	s_waitcnt vmcnt(36)
	v_wmma_f32_16x16x16_bf16 v[129:136], v[154:161], v[210:217], v[129:136]
	ds_load_b128 v[154:157], v153 offset:14336
	ds_load_b128 v[158:161], v153 offset:15360
	v_and_b32_e32 v162, 0xe0, v0
	v_mbcnt_lo_u32_b32 v163, -1, 0
	s_waitcnt vmcnt(0) lgkmcnt(0)
	s_barrier
	buffer_gl0_inv
	v_add_nc_u32_e32 v162, s34, v162
	v_xor_b32_e32 v153, 16, v163
	s_delay_alu instid0(VALU_DEP_2) | instskip(NEXT) | instid1(VALU_DEP_2)
	v_or_b32_e32 v162, v162, v149
	v_cmp_gt_i32_e32 vcc_lo, 32, v153
	s_delay_alu instid0(VALU_DEP_2)
	v_or_b32_e32 v164, 4, v162
	v_or_b32_e32 v165, 6, v162
	;; [unrolled: 1-line block ×4, first 2 shown]
	v_wmma_f32_16x16x16_bf16 v[137:144], v[186:193], v[154:161], v[137:144]
	v_wmma_f32_16x16x16_bf16 v[129:136], v[194:201], v[154:161], v[129:136]
	v_cndmask_b32_e32 v153, v163, v153, vcc_lo
	v_or_b32_e32 v163, 2, v162
	v_cmp_gt_i32_e32 vcc_lo, s33, v162
	v_mul_f32_e32 v160, s35, v138
	v_dual_mul_f32 v178, s35, v136 :: v_dual_mul_f32 v161, s35, v137
	s_delay_alu instid0(VALU_DEP_4) | instskip(SKIP_2) | instid1(VALU_DEP_4)
	v_cmp_gt_i32_e64 s3, s33, v163
	v_dual_mul_f32 v158, s35, v140 :: v_dual_mul_f32 v159, s35, v139
	v_mul_f32_e32 v184, s35, v130
	v_cndmask_b32_e32 v161, 0xff7fffff, v161, vcc_lo
	s_delay_alu instid0(VALU_DEP_4)
	v_cndmask_b32_e64 v160, 0xff7fffff, v160, s3
	v_cmp_gt_i32_e64 s4, s33, v164
	v_cmp_gt_i32_e64 s5, s33, v165
	v_or_b32_e32 v168, 12, v162
	v_or_b32_e32 v169, 14, v162
	v_dual_mul_f32 v156, s35, v142 :: v_dual_mul_f32 v157, s35, v141
	v_mul_f32_e32 v182, s35, v132
	v_cndmask_b32_e64 v159, 0xff7fffff, v159, s4
	v_cndmask_b32_e64 v158, 0xff7fffff, v158, s5
	v_max3_f32 v160, v161, 0xff7fffff, v160
	v_cmp_gt_i32_e64 s6, s33, v166
	v_cmp_gt_i32_e64 s7, s33, v167
	v_or_b32_e32 v170, 16, v162
	v_or_b32_e32 v171, 18, v162
	v_dual_mul_f32 v154, s35, v144 :: v_dual_mul_f32 v155, s35, v143
	v_mul_f32_e32 v180, s35, v134
	v_cndmask_b32_e64 v157, 0xff7fffff, v157, s6
	v_cndmask_b32_e64 v156, 0xff7fffff, v156, s7
	v_max3_f32 v158, v160, v159, v158
	v_cmp_gt_i32_e64 s8, s33, v168
	v_cmp_gt_i32_e64 s9, s33, v169
	v_or_b32_e32 v172, 20, v162
	v_or_b32_e32 v173, 22, v162
	v_mul_f32_e32 v185, s35, v129
	v_cndmask_b32_e64 v155, 0xff7fffff, v155, s8
	v_cndmask_b32_e64 v154, 0xff7fffff, v154, s9
	v_max3_f32 v156, v158, v157, v156
	v_cmp_gt_i32_e64 s10, s33, v170
	v_cmp_gt_i32_e64 s11, s33, v171
	v_or_b32_e32 v174, 24, v162
	v_or_b32_e32 v175, 26, v162
	;; [unrolled: 8-line block ×3, first 2 shown]
	v_mul_f32_e32 v181, s35, v133
	v_cndmask_b32_e64 v155, 0xff7fffff, v183, s12
	v_cndmask_b32_e64 v156, 0xff7fffff, v182, s13
	v_max3_f32 v154, v154, v157, v158
	v_cmp_gt_i32_e64 s15, s33, v174
	v_cmp_gt_i32_e64 s16, s33, v175
	v_mul_f32_e32 v179, s35, v135
	v_cmp_gt_i32_e64 s17, s33, v176
	v_max3_f32 v154, v154, v155, v156
	v_cndmask_b32_e64 v157, 0xff7fffff, v181, s15
	v_cndmask_b32_e64 v158, 0xff7fffff, v180, s16
	v_cmp_gt_i32_e64 s18, s33, v177
	v_cndmask_b32_e64 v155, 0xff7fffff, v179, s17
	s_delay_alu instid0(VALU_DEP_3) | instskip(NEXT) | instid1(VALU_DEP_3)
	v_max3_f32 v154, v154, v157, v158
	v_cndmask_b32_e64 v156, 0xff7fffff, v178, s18
	v_lshlrev_b32_e32 v157, 2, v153
	s_delay_alu instid0(VALU_DEP_2) | instskip(SKIP_3) | instid1(VALU_DEP_1)
	v_max3_f32 v153, v154, v155, v156
	ds_bpermute_b32 v154, v157, v153
	s_waitcnt lgkmcnt(0)
	v_max_f32_e32 v154, v154, v154
	v_max_f32_e32 v156, v153, v154
	s_delay_alu instid0(VALU_DEP_1) | instskip(SKIP_4) | instid1(VALU_DEP_4)
	v_fma_f32 v137, s35, v137, -v156
	v_fma_f32 v138, s35, v138, -v156
	;; [unrolled: 1-line block ×5, first 2 shown]
	v_dual_mul_f32 v137, 0x3fb8aa3b, v137 :: v_dual_mul_f32 v138, 0x3fb8aa3b, v138
	s_delay_alu instid0(VALU_DEP_4) | instskip(SKIP_2) | instid1(VALU_DEP_4)
	v_mul_f32_e32 v132, 0x3fb8aa3b, v132
	v_fma_f32 v141, s35, v141, -v156
	v_fma_f32 v134, s35, v134, -v156
	v_exp_f32_e32 v137, v137
	v_exp_f32_e32 v138, v138
	v_mul_f32_e32 v153, 0x3fb8aa3b, v140
	v_fma_f32 v143, s35, v143, -v156
	v_mul_f32_e32 v134, 0x3fb8aa3b, v134
	v_fma_f32 v129, s35, v129, -v156
	v_fma_f32 v130, s35, v130, -v156
	v_exp_f32_e32 v153, v153
	v_mul_f32_e32 v143, 0x3fb8aa3b, v143
	v_fma_f32 v131, s35, v131, -v156
	v_cndmask_b32_e32 v140, 0, v137, vcc_lo
	v_fma_f32 v137, s35, v142, -v156
	v_mul_f32_e32 v142, 0x3fb8aa3b, v141
	v_cndmask_b32_e64 v141, 0, v138, s3
	v_exp_f32_e32 v143, v143
	v_dual_add_f32 v138, 0, v140 :: v_dual_mul_f32 v139, 0x3fb8aa3b, v139
	v_mul_f32_e32 v137, 0x3fb8aa3b, v137
	v_exp_f32_e32 v154, v142
	v_mul_f32_e32 v129, 0x3fb8aa3b, v129
	s_delay_alu instid0(VALU_DEP_3)
	v_add_f32_e32 v138, v138, v141
	v_exp_f32_e32 v139, v139
	v_exp_f32_e32 v137, v137
	v_mul_f32_e32 v130, 0x3fb8aa3b, v130
	v_exp_f32_e32 v129, v129
	v_cndmask_b32_e64 v143, 0, v143, s8
	v_mul_f32_e32 v131, 0x3fb8aa3b, v131
	v_fma_f32 v133, s35, v133, -v156
	v_exp_f32_e32 v130, v130
	v_fma_f32 v136, s35, v136, -v156
	s_mov_b32 s3, exec_lo
	v_cndmask_b32_e64 v142, 0, v139, s4
	v_fma_f32 v139, s35, v144, -v156
	v_cndmask_b32_e64 v144, 0, v153, s5
	v_cndmask_b32_e64 v153, 0, v154, s6
	;; [unrolled: 1-line block ×3, first 2 shown]
	s_delay_alu instid0(VALU_DEP_4) | instskip(NEXT) | instid1(VALU_DEP_1)
	v_dual_add_f32 v138, v138, v142 :: v_dual_mul_f32 v139, 0x3fb8aa3b, v139
	v_dual_mul_f32 v133, 0x3fb8aa3b, v133 :: v_dual_add_f32 v138, v138, v144
	s_delay_alu instid0(VALU_DEP_2) | instskip(NEXT) | instid1(VALU_DEP_1)
	v_exp_f32_e32 v139, v139
	v_add_f32_e32 v137, v138, v153
	v_exp_f32_e32 v138, v131
	v_cndmask_b32_e64 v131, 0, v129, s10
	s_delay_alu instid0(VALU_DEP_2) | instskip(SKIP_3) | instid1(VALU_DEP_1)
	v_add_f32_e32 v137, v137, v154
	s_waitcnt_depctr 0xfff
	v_cndmask_b32_e64 v155, 0, v139, s9
	v_add_f32_e32 v137, v137, v143
	v_add_f32_e32 v129, v137, v155
	v_exp_f32_e32 v137, v132
	v_cndmask_b32_e64 v132, 0, v130, s11
	v_fma_f32 v130, s35, v135, -v156
	v_exp_f32_e32 v135, v133
	v_add_f32_e32 v129, v129, v131
	v_cndmask_b32_e64 v133, 0, v138, s12
	v_exp_f32_e32 v138, v134
	s_delay_alu instid0(VALU_DEP_2) | instskip(NEXT) | instid1(TRANS32_DEP_3)
	v_dual_mul_f32 v130, 0x3fb8aa3b, v130 :: v_dual_add_f32 v129, v129, v132
	v_cndmask_b32_e64 v134, 0, v137, s13
	v_mul_f32_e32 v137, 0x3fb8aa3b, v136
	s_delay_alu instid0(VALU_DEP_3) | instskip(NEXT) | instid1(TRANS32_DEP_3)
	v_exp_f32_e32 v130, v130
	v_cndmask_b32_e64 v135, 0, v135, s15
	v_add_f32_e32 v129, v129, v133
	s_delay_alu instid0(TRANS32_DEP_2) | instskip(SKIP_1) | instid1(VALU_DEP_2)
	v_cndmask_b32_e64 v136, 0, v138, s16
	v_exp_f32_e32 v138, v137
	v_add_f32_e32 v129, v129, v134
	s_waitcnt_depctr 0xfff
	v_cndmask_b32_e64 v137, 0, v130, s17
	v_add_f32_e32 v129, v129, v135
	v_cndmask_b32_e64 v138, 0, v138, s18
	s_delay_alu instid0(VALU_DEP_2) | instskip(NEXT) | instid1(VALU_DEP_1)
	v_add_f32_e32 v129, v129, v136
	v_add_f32_e32 v129, v129, v137
	s_delay_alu instid0(VALU_DEP_1)
	v_add_f32_e32 v129, v129, v138
	ds_bpermute_b32 v130, v157, v129
	v_cmpx_gt_u32_e32 16, v151
	s_cbranch_execz .LBB631_12
; %bb.11:
	v_mul_u32_u24_e32 v139, 0x44, v152
	s_delay_alu instid0(VALU_DEP_1) | instskip(SKIP_1) | instid1(VALU_DEP_1)
	v_lshl_add_u32 v139, v150, 2, v139
	s_waitcnt lgkmcnt(0)
	v_dual_add_f32 v129, v129, v130 :: v_dual_add_nc_u32 v130, 0x4000, v139
	ds_store_2addr_b32 v130, v156, v129 offset1:136
.LBB631_12:
	s_or_b32 exec_lo, exec_lo, s3
	v_lshlrev_b32_e32 v129, 2, v150
	s_waitcnt lgkmcnt(0)
	s_barrier
	buffer_gl0_inv
	v_cmp_eq_u32_e32 vcc_lo, 1, v152
	v_add_nc_u32_e32 v139, 0x4000, v129
	v_cmp_eq_u32_e64 s3, 2, v152
	v_cmp_eq_u32_e64 s5, 7, v152
	ds_load_2addr_b32 v[156:157], v139 offset1:17
	ds_load_2addr_b32 v[158:159], v139 offset0:34 offset1:51
	ds_load_2addr_b32 v[160:161], v139 offset0:68 offset1:85
	;; [unrolled: 1-line block ×4, first 2 shown]
	s_waitcnt lgkmcnt(4)
	v_max3_f32 v129, v156, 0xff7fffff, v157
	s_waitcnt lgkmcnt(3)
	s_delay_alu instid0(VALU_DEP_1) | instskip(SKIP_1) | instid1(VALU_DEP_1)
	v_max3_f32 v129, v129, v158, v159
	s_waitcnt lgkmcnt(2)
	v_max3_f32 v129, v129, v160, v161
	s_waitcnt lgkmcnt(1)
	s_delay_alu instid0(VALU_DEP_1) | instskip(NEXT) | instid1(VALU_DEP_1)
	v_max3_f32 v129, v129, v162, v163
	v_sub_f32_e32 v151, v157, v129
	v_sub_f32_e32 v130, v156, v129
	ds_load_2addr_b32 v[156:157], v139 offset0:170 offset1:187
	v_sub_f32_e32 v160, v160, v129
	v_dual_sub_f32 v158, v158, v129 :: v_dual_mul_f32 v151, 0x3fb8aa3b, v151
	s_delay_alu instid0(VALU_DEP_2) | instskip(NEXT) | instid1(VALU_DEP_2)
	v_dual_mul_f32 v130, 0x3fb8aa3b, v130 :: v_dual_mul_f32 v169, 0x3fb8aa3b, v160
	v_mul_f32_e32 v167, 0x3fb8aa3b, v158
	s_delay_alu instid0(VALU_DEP_3) | instskip(NEXT) | instid1(VALU_DEP_2)
	v_exp_f32_e32 v151, v151
	v_exp_f32_e32 v166, v130
	v_sub_f32_e32 v130, v159, v129
	s_delay_alu instid0(VALU_DEP_2) | instskip(NEXT) | instid1(VALU_DEP_1)
	v_exp_f32_e32 v167, v167
	v_mul_f32_e32 v168, 0x3fb8aa3b, v130
	s_waitcnt lgkmcnt(1)
	s_waitcnt_depctr 0xfff
	v_fma_f32 v130, v166, v164, 0
	v_sub_f32_e32 v164, v161, v129
	s_delay_alu instid0(VALU_DEP_2) | instskip(SKIP_2) | instid1(VALU_DEP_2)
	v_dual_fmac_f32 v130, v151, v165 :: v_dual_cndmask_b32 v151, v166, v151
	v_cmp_eq_u32_e32 vcc_lo, 3, v152
	s_waitcnt lgkmcnt(0)
	v_fmac_f32_e32 v130, v167, v156
	ds_load_2addr_b32 v[158:159], v139 offset0:204 offset1:221
	ds_load_2addr_b32 v[160:161], v139 offset0:238 offset1:255
	v_sub_f32_e32 v139, v162, v129
	v_exp_f32_e32 v168, v168
	v_sub_f32_e32 v156, v163, v129
	v_mul_f32_e32 v162, 0x3fb8aa3b, v164
	v_exp_f32_e32 v164, v169
	v_cndmask_b32_e64 v151, v151, v167, s3
	v_mul_f32_e32 v139, 0x3fb8aa3b, v139
	v_cmp_eq_u32_e64 s3, 4, v152
	v_exp_f32_e32 v162, v162
	s_waitcnt lgkmcnt(0)
	s_barrier
	v_dual_fmac_f32 v130, v168, v157 :: v_dual_cndmask_b32 v151, v151, v168
	v_exp_f32_e32 v139, v139
	v_cmp_eq_u32_e32 vcc_lo, 5, v152
	buffer_gl0_inv
	v_cndmask_b32_e64 v151, v151, v164, s3
	v_mul_f32_e32 v156, 0x3fb8aa3b, v156
	v_fmac_f32_e32 v130, v164, v158
	v_cmp_eq_u32_e64 s3, 6, v152
	s_delay_alu instid0(VALU_DEP_4) | instskip(NEXT) | instid1(VALU_DEP_4)
	v_cndmask_b32_e32 v151, v151, v162, vcc_lo
	v_exp_f32_e32 v156, v156
	s_delay_alu instid0(VALU_DEP_3) | instskip(NEXT) | instid1(VALU_DEP_1)
	v_fmac_f32_e32 v130, v162, v159
	v_fmac_f32_e32 v130, v139, v160
	s_delay_alu instid0(VALU_DEP_3) | instskip(SKIP_4) | instid1(VALU_DEP_2)
	v_cndmask_b32_e64 v139, v151, v139, s3
	s_mov_b32 s3, exec_lo
	s_waitcnt_depctr 0xfff
	v_fmac_f32_e32 v130, v156, v161
	v_cndmask_b32_e64 v139, v139, v156, s5
	v_add_f32_e32 v157, 0x358637bd, v130
	s_delay_alu instid0(VALU_DEP_1) | instskip(SKIP_1) | instid1(VALU_DEP_1)
	v_div_scale_f32 v158, null, v157, v157, 1.0
	v_div_scale_f32 v161, s4, 1.0, v157, 1.0
	s_mov_b32 vcc_lo, s4
	s_delay_alu instid0(VALU_DEP_2) | instskip(SKIP_2) | instid1(VALU_DEP_1)
	v_rcp_f32_e32 v159, v158
	s_waitcnt_depctr 0xfff
	v_fma_f32 v160, -v158, v159, 1.0
	v_fmac_f32_e32 v159, v160, v159
	s_delay_alu instid0(VALU_DEP_1) | instskip(NEXT) | instid1(VALU_DEP_1)
	v_mul_f32_e32 v160, v161, v159
	v_fma_f32 v163, -v158, v160, v161
	s_delay_alu instid0(VALU_DEP_1) | instskip(NEXT) | instid1(VALU_DEP_1)
	v_fmac_f32_e32 v160, v163, v159
	v_fma_f32 v158, -v158, v160, v161
	s_delay_alu instid0(VALU_DEP_1) | instskip(NEXT) | instid1(VALU_DEP_1)
	v_div_fmas_f32 v158, v158, v159, v160
	v_div_fixup_f32 v151, v158, v157, 1.0
	s_delay_alu instid0(VALU_DEP_1) | instskip(NEXT) | instid1(VALU_DEP_1)
	v_mul_f32_e32 v139, v139, v151
	v_mul_f32_e32 v156, v139, v140
	v_mul_f32_e32 v140, v139, v155
	v_mul_f32_e32 v143, v139, v143
	v_mul_f32_e32 v151, v139, v154
	s_delay_alu instid0(VALU_DEP_4) | instskip(SKIP_3) | instid1(VALU_DEP_4)
	v_dual_mul_f32 v154, v139, v153 :: v_dual_and_b32 v157, 0x7f800000, v156
	v_mul_f32_e32 v155, v139, v144
	v_mul_f32_e32 v153, v139, v142
	;; [unrolled: 1-line block ×3, first 2 shown]
                                        ; implicit-def: $vgpr141
	v_cmpx_ne_u32_e32 0x7f800000, v157
	s_xor_b32 s3, exec_lo, s3
; %bb.13:
	v_bfe_u32 v141, v156, 16, 1
	s_delay_alu instid0(VALU_DEP_1)
	v_add3_u32 v141, v156, v141, 0x7fff
                                        ; implicit-def: $vgpr156
; %bb.14:
	s_and_not1_saveexec_b32 s3, s3
; %bb.15:
	v_and_b32_e32 v141, 0xffff, v156
	v_or_b32_e32 v142, 0x10000, v156
	s_delay_alu instid0(VALU_DEP_2) | instskip(NEXT) | instid1(VALU_DEP_2)
	v_cmp_eq_u32_e32 vcc_lo, 0, v141
	v_cndmask_b32_e32 v141, v142, v156, vcc_lo
; %bb.16:
	s_or_b32 exec_lo, exec_lo, s3
	v_and_b32_e32 v142, 0x7f800000, v144
	s_delay_alu instid0(VALU_DEP_1) | instskip(SKIP_1) | instid1(SALU_CYCLE_1)
	v_cmp_ne_u32_e32 vcc_lo, 0x7f800000, v142
                                        ; implicit-def: $vgpr142
	s_and_saveexec_b32 s3, vcc_lo
	s_xor_b32 s3, exec_lo, s3
; %bb.17:
	v_bfe_u32 v142, v144, 16, 1
	s_delay_alu instid0(VALU_DEP_1)
	v_add3_u32 v142, v144, v142, 0x7fff
                                        ; implicit-def: $vgpr144
; %bb.18:
	s_and_not1_saveexec_b32 s3, s3
; %bb.19:
	v_and_b32_e32 v142, 0xffff, v144
	v_or_b32_e32 v156, 0x10000, v144
	s_delay_alu instid0(VALU_DEP_2) | instskip(NEXT) | instid1(VALU_DEP_2)
	v_cmp_eq_u32_e32 vcc_lo, 0, v142
	v_cndmask_b32_e32 v142, v156, v144, vcc_lo
; %bb.20:
	s_or_b32 exec_lo, exec_lo, s3
	v_and_b32_e32 v144, 0x7f800000, v153
	s_delay_alu instid0(VALU_DEP_1) | instskip(SKIP_1) | instid1(SALU_CYCLE_1)
	v_cmp_ne_u32_e32 vcc_lo, 0x7f800000, v144
                                        ; implicit-def: $vgpr144
	s_and_saveexec_b32 s3, vcc_lo
	s_xor_b32 s3, exec_lo, s3
; %bb.21:
	v_bfe_u32 v144, v153, 16, 1
	s_delay_alu instid0(VALU_DEP_1)
	v_add3_u32 v144, v153, v144, 0x7fff
                                        ; implicit-def: $vgpr153
; %bb.22:
	s_and_not1_saveexec_b32 s3, s3
; %bb.23:
	v_and_b32_e32 v144, 0xffff, v153
	v_or_b32_e32 v156, 0x10000, v153
	s_delay_alu instid0(VALU_DEP_2) | instskip(NEXT) | instid1(VALU_DEP_2)
	v_cmp_eq_u32_e32 vcc_lo, 0, v144
	v_cndmask_b32_e32 v144, v156, v153, vcc_lo
; %bb.24:
	s_or_b32 exec_lo, exec_lo, s3
	v_and_b32_e32 v153, 0x7f800000, v155
	s_delay_alu instid0(VALU_DEP_1) | instskip(SKIP_1) | instid1(SALU_CYCLE_1)
	v_cmp_ne_u32_e32 vcc_lo, 0x7f800000, v153
                                        ; implicit-def: $vgpr153
	s_and_saveexec_b32 s3, vcc_lo
	s_xor_b32 s3, exec_lo, s3
; %bb.25:
	v_bfe_u32 v153, v155, 16, 1
	s_delay_alu instid0(VALU_DEP_1)
	v_add3_u32 v153, v155, v153, 0x7fff
                                        ; implicit-def: $vgpr155
; %bb.26:
	s_and_not1_saveexec_b32 s3, s3
; %bb.27:
	v_and_b32_e32 v153, 0xffff, v155
	v_or_b32_e32 v156, 0x10000, v155
	s_delay_alu instid0(VALU_DEP_2) | instskip(NEXT) | instid1(VALU_DEP_2)
	v_cmp_eq_u32_e32 vcc_lo, 0, v153
	v_cndmask_b32_e32 v153, v156, v155, vcc_lo
; %bb.28:
	s_or_b32 exec_lo, exec_lo, s3
	v_and_b32_e32 v155, 0x7f800000, v154
	s_delay_alu instid0(VALU_DEP_1) | instskip(SKIP_1) | instid1(SALU_CYCLE_1)
	v_cmp_ne_u32_e32 vcc_lo, 0x7f800000, v155
                                        ; implicit-def: $vgpr155
	s_and_saveexec_b32 s3, vcc_lo
	s_xor_b32 s3, exec_lo, s3
; %bb.29:
	v_bfe_u32 v155, v154, 16, 1
	s_delay_alu instid0(VALU_DEP_1)
	v_add3_u32 v155, v154, v155, 0x7fff
                                        ; implicit-def: $vgpr154
; %bb.30:
	s_and_not1_saveexec_b32 s3, s3
; %bb.31:
	v_and_b32_e32 v155, 0xffff, v154
	v_or_b32_e32 v156, 0x10000, v154
	s_delay_alu instid0(VALU_DEP_2) | instskip(NEXT) | instid1(VALU_DEP_2)
	v_cmp_eq_u32_e32 vcc_lo, 0, v155
	v_cndmask_b32_e32 v155, v156, v154, vcc_lo
; %bb.32:
	s_or_b32 exec_lo, exec_lo, s3
	v_and_b32_e32 v154, 0x7f800000, v151
	s_delay_alu instid0(VALU_DEP_1) | instskip(SKIP_1) | instid1(SALU_CYCLE_1)
	v_cmp_ne_u32_e32 vcc_lo, 0x7f800000, v154
                                        ; implicit-def: $vgpr154
	s_and_saveexec_b32 s3, vcc_lo
	s_xor_b32 s3, exec_lo, s3
; %bb.33:
	v_bfe_u32 v154, v151, 16, 1
	s_delay_alu instid0(VALU_DEP_1)
	v_add3_u32 v154, v151, v154, 0x7fff
                                        ; implicit-def: $vgpr151
; %bb.34:
	s_and_not1_saveexec_b32 s3, s3
; %bb.35:
	v_and_b32_e32 v154, 0xffff, v151
	v_or_b32_e32 v156, 0x10000, v151
	s_delay_alu instid0(VALU_DEP_2) | instskip(NEXT) | instid1(VALU_DEP_2)
	v_cmp_eq_u32_e32 vcc_lo, 0, v154
	v_cndmask_b32_e32 v154, v156, v151, vcc_lo
; %bb.36:
	s_or_b32 exec_lo, exec_lo, s3
	v_and_b32_e32 v151, 0x7f800000, v143
	s_delay_alu instid0(VALU_DEP_1) | instskip(SKIP_1) | instid1(SALU_CYCLE_1)
	v_cmp_ne_u32_e32 vcc_lo, 0x7f800000, v151
                                        ; implicit-def: $vgpr151
	s_and_saveexec_b32 s3, vcc_lo
	s_xor_b32 s3, exec_lo, s3
; %bb.37:
	v_bfe_u32 v151, v143, 16, 1
	s_delay_alu instid0(VALU_DEP_1)
	v_add3_u32 v151, v143, v151, 0x7fff
                                        ; implicit-def: $vgpr143
; %bb.38:
	s_and_not1_saveexec_b32 s3, s3
; %bb.39:
	v_and_b32_e32 v151, 0xffff, v143
	v_or_b32_e32 v156, 0x10000, v143
	s_delay_alu instid0(VALU_DEP_2) | instskip(NEXT) | instid1(VALU_DEP_2)
	v_cmp_eq_u32_e32 vcc_lo, 0, v151
	v_cndmask_b32_e32 v151, v156, v143, vcc_lo
; %bb.40:
	s_or_b32 exec_lo, exec_lo, s3
	v_and_b32_e32 v143, 0x7f800000, v140
	s_delay_alu instid0(VALU_DEP_1) | instskip(SKIP_1) | instid1(SALU_CYCLE_1)
	v_cmp_ne_u32_e32 vcc_lo, 0x7f800000, v143
                                        ; implicit-def: $vgpr143
	s_and_saveexec_b32 s3, vcc_lo
	s_xor_b32 s3, exec_lo, s3
; %bb.41:
	v_bfe_u32 v143, v140, 16, 1
	s_delay_alu instid0(VALU_DEP_1)
	v_add3_u32 v143, v140, v143, 0x7fff
                                        ; implicit-def: $vgpr140
; %bb.42:
	s_and_not1_saveexec_b32 s3, s3
; %bb.43:
	v_and_b32_e32 v143, 0xffff, v140
	v_or_b32_e32 v156, 0x10000, v140
	s_delay_alu instid0(VALU_DEP_2) | instskip(NEXT) | instid1(VALU_DEP_2)
	v_cmp_eq_u32_e32 vcc_lo, 0, v143
	v_cndmask_b32_e32 v143, v156, v140, vcc_lo
; %bb.44:
	s_or_b32 exec_lo, exec_lo, s3
	s_load_b64 s[34:35], s[0:1], 0x94
	v_dual_mul_f32 v138, v139, v138 :: v_dual_lshlrev_b32 v157, 4, v149
	s_delay_alu instid0(VALU_DEP_2)
	v_perm_b32 v156, v143, v151, 0x7060302
	v_dual_mul_f32 v143, v139, v131 :: v_dual_lshlrev_b32 v140, 6, v150
	v_dual_mul_f32 v137, v139, v137 :: v_dual_lshlrev_b32 v150, 11, v152
	v_perm_b32 v155, v154, v155, 0x7060302
	v_perm_b32 v154, v153, v144, 0x7060302
	;; [unrolled: 1-line block ×3, first 2 shown]
	s_delay_alu instid0(VALU_DEP_4)
	v_or3_b32 v131, v157, v150, v140
	v_mul_f32_e32 v136, v139, v136
	v_dual_mul_f32 v141, v139, v134 :: v_dual_and_b32 v144, 0x7f800000, v143
	v_mul_f32_e32 v135, v139, v135
	v_mul_f32_e32 v142, v139, v133
	;; [unrolled: 1-line block ×3, first 2 shown]
	s_mov_b32 s3, exec_lo
	ds_store_b128 v131, v[153:156]
                                        ; implicit-def: $vgpr132
	v_cmpx_ne_u32_e32 0x7f800000, v144
	s_xor_b32 s3, exec_lo, s3
; %bb.45:
	v_bfe_u32 v132, v143, 16, 1
	s_delay_alu instid0(VALU_DEP_1)
	v_add3_u32 v132, v143, v132, 0x7fff
                                        ; implicit-def: $vgpr143
; %bb.46:
	s_and_not1_saveexec_b32 s3, s3
; %bb.47:
	v_and_b32_e32 v132, 0xffff, v143
	v_or_b32_e32 v133, 0x10000, v143
	s_delay_alu instid0(VALU_DEP_2) | instskip(NEXT) | instid1(VALU_DEP_2)
	v_cmp_eq_u32_e32 vcc_lo, 0, v132
	v_cndmask_b32_e32 v132, v133, v143, vcc_lo
; %bb.48:
	s_or_b32 exec_lo, exec_lo, s3
	v_and_b32_e32 v133, 0x7f800000, v134
	s_delay_alu instid0(VALU_DEP_1) | instskip(SKIP_1) | instid1(SALU_CYCLE_1)
	v_cmp_ne_u32_e32 vcc_lo, 0x7f800000, v133
                                        ; implicit-def: $vgpr133
	s_and_saveexec_b32 s3, vcc_lo
	s_xor_b32 s3, exec_lo, s3
; %bb.49:
	v_bfe_u32 v133, v134, 16, 1
	s_delay_alu instid0(VALU_DEP_1)
	v_add3_u32 v133, v134, v133, 0x7fff
                                        ; implicit-def: $vgpr134
; %bb.50:
	s_and_not1_saveexec_b32 s3, s3
; %bb.51:
	v_and_b32_e32 v133, 0xffff, v134
	v_or_b32_e32 v139, 0x10000, v134
	s_delay_alu instid0(VALU_DEP_2) | instskip(NEXT) | instid1(VALU_DEP_2)
	v_cmp_eq_u32_e32 vcc_lo, 0, v133
	v_cndmask_b32_e32 v133, v139, v134, vcc_lo
; %bb.52:
	s_or_b32 exec_lo, exec_lo, s3
	v_and_b32_e32 v134, 0x7f800000, v142
	s_delay_alu instid0(VALU_DEP_1) | instskip(SKIP_1) | instid1(SALU_CYCLE_1)
	v_cmp_ne_u32_e32 vcc_lo, 0x7f800000, v134
                                        ; implicit-def: $vgpr134
	s_and_saveexec_b32 s3, vcc_lo
	s_xor_b32 s3, exec_lo, s3
; %bb.53:
	v_bfe_u32 v134, v142, 16, 1
	s_delay_alu instid0(VALU_DEP_1)
	v_add3_u32 v134, v142, v134, 0x7fff
                                        ; implicit-def: $vgpr142
; %bb.54:
	s_and_not1_saveexec_b32 s3, s3
; %bb.55:
	v_and_b32_e32 v134, 0xffff, v142
	v_or_b32_e32 v139, 0x10000, v142
	s_delay_alu instid0(VALU_DEP_2) | instskip(NEXT) | instid1(VALU_DEP_2)
	v_cmp_eq_u32_e32 vcc_lo, 0, v134
	v_cndmask_b32_e32 v134, v139, v142, vcc_lo
; %bb.56:
	s_or_b32 exec_lo, exec_lo, s3
	v_and_b32_e32 v139, 0x7f800000, v141
	s_delay_alu instid0(VALU_DEP_1) | instskip(SKIP_1) | instid1(SALU_CYCLE_1)
	v_cmp_ne_u32_e32 vcc_lo, 0x7f800000, v139
                                        ; implicit-def: $vgpr139
	s_and_saveexec_b32 s3, vcc_lo
	s_xor_b32 s3, exec_lo, s3
; %bb.57:
	v_bfe_u32 v139, v141, 16, 1
	s_delay_alu instid0(VALU_DEP_1)
	v_add3_u32 v139, v141, v139, 0x7fff
                                        ; implicit-def: $vgpr141
; %bb.58:
	s_and_not1_saveexec_b32 s3, s3
; %bb.59:
	v_and_b32_e32 v139, 0xffff, v141
	v_or_b32_e32 v142, 0x10000, v141
	s_delay_alu instid0(VALU_DEP_2) | instskip(NEXT) | instid1(VALU_DEP_2)
	v_cmp_eq_u32_e32 vcc_lo, 0, v139
	v_cndmask_b32_e32 v139, v142, v141, vcc_lo
; %bb.60:
	s_or_b32 exec_lo, exec_lo, s3
	v_and_b32_e32 v141, 0x7f800000, v135
	s_delay_alu instid0(VALU_DEP_1) | instskip(SKIP_1) | instid1(SALU_CYCLE_1)
	v_cmp_ne_u32_e32 vcc_lo, 0x7f800000, v141
                                        ; implicit-def: $vgpr141
	s_and_saveexec_b32 s3, vcc_lo
	s_xor_b32 s3, exec_lo, s3
; %bb.61:
	v_bfe_u32 v141, v135, 16, 1
	s_delay_alu instid0(VALU_DEP_1)
	v_add3_u32 v141, v135, v141, 0x7fff
                                        ; implicit-def: $vgpr135
; %bb.62:
	s_and_not1_saveexec_b32 s3, s3
; %bb.63:
	v_and_b32_e32 v141, 0xffff, v135
	v_or_b32_e32 v142, 0x10000, v135
	s_delay_alu instid0(VALU_DEP_2) | instskip(NEXT) | instid1(VALU_DEP_2)
	v_cmp_eq_u32_e32 vcc_lo, 0, v141
	v_cndmask_b32_e32 v141, v142, v135, vcc_lo
; %bb.64:
	s_or_b32 exec_lo, exec_lo, s3
	v_and_b32_e32 v135, 0x7f800000, v136
	s_delay_alu instid0(VALU_DEP_1) | instskip(SKIP_1) | instid1(SALU_CYCLE_1)
	v_cmp_ne_u32_e32 vcc_lo, 0x7f800000, v135
                                        ; implicit-def: $vgpr135
	s_and_saveexec_b32 s3, vcc_lo
	s_xor_b32 s3, exec_lo, s3
; %bb.65:
	v_bfe_u32 v135, v136, 16, 1
	s_delay_alu instid0(VALU_DEP_1)
	v_add3_u32 v135, v136, v135, 0x7fff
                                        ; implicit-def: $vgpr136
; %bb.66:
	s_and_not1_saveexec_b32 s3, s3
; %bb.67:
	v_and_b32_e32 v135, 0xffff, v136
	v_or_b32_e32 v142, 0x10000, v136
	s_delay_alu instid0(VALU_DEP_2) | instskip(NEXT) | instid1(VALU_DEP_2)
	v_cmp_eq_u32_e32 vcc_lo, 0, v135
	v_cndmask_b32_e32 v135, v142, v136, vcc_lo
; %bb.68:
	s_or_b32 exec_lo, exec_lo, s3
	v_and_b32_e32 v136, 0x7f800000, v137
	s_delay_alu instid0(VALU_DEP_1) | instskip(SKIP_1) | instid1(SALU_CYCLE_1)
	v_cmp_ne_u32_e32 vcc_lo, 0x7f800000, v136
                                        ; implicit-def: $vgpr136
	s_and_saveexec_b32 s3, vcc_lo
	s_xor_b32 s3, exec_lo, s3
; %bb.69:
	v_bfe_u32 v136, v137, 16, 1
	s_delay_alu instid0(VALU_DEP_1)
	v_add3_u32 v136, v137, v136, 0x7fff
                                        ; implicit-def: $vgpr137
; %bb.70:
	s_and_not1_saveexec_b32 s3, s3
; %bb.71:
	v_and_b32_e32 v136, 0xffff, v137
	v_or_b32_e32 v142, 0x10000, v137
	s_delay_alu instid0(VALU_DEP_2) | instskip(NEXT) | instid1(VALU_DEP_2)
	v_cmp_eq_u32_e32 vcc_lo, 0, v136
	v_cndmask_b32_e32 v136, v142, v137, vcc_lo
; %bb.72:
	s_or_b32 exec_lo, exec_lo, s3
	v_and_b32_e32 v137, 0x7f800000, v138
	s_delay_alu instid0(VALU_DEP_1) | instskip(SKIP_1) | instid1(SALU_CYCLE_1)
	v_cmp_ne_u32_e32 vcc_lo, 0x7f800000, v137
                                        ; implicit-def: $vgpr137
	s_and_saveexec_b32 s3, vcc_lo
	s_xor_b32 s3, exec_lo, s3
; %bb.73:
	v_bfe_u32 v137, v138, 16, 1
	s_delay_alu instid0(VALU_DEP_1)
	v_add3_u32 v137, v138, v137, 0x7fff
                                        ; implicit-def: $vgpr138
; %bb.74:
	s_and_not1_saveexec_b32 s3, s3
; %bb.75:
	v_and_b32_e32 v137, 0xffff, v138
	v_or_b32_e32 v142, 0x10000, v138
	s_delay_alu instid0(VALU_DEP_2) | instskip(NEXT) | instid1(VALU_DEP_2)
	v_cmp_eq_u32_e32 vcc_lo, 0, v137
	v_cndmask_b32_e32 v137, v142, v138, vcc_lo
; %bb.76:
	s_or_b32 exec_lo, exec_lo, s3
	s_delay_alu instid0(VALU_DEP_1)
	v_perm_b32 v136, v137, v136, 0x7060302
	v_perm_b32 v135, v135, v141, 0x7060302
	;; [unrolled: 1-line block ×4, first 2 shown]
	v_lshl_or_b32 v142, v152, 11, v140
	ds_store_b128 v131, v[133:136] offset:1024
	s_waitcnt lgkmcnt(0)
	s_barrier
	buffer_gl0_inv
	ds_load_b128 v[132:135], v142
	ds_load_b128 v[150:153], v142 offset:16
	s_waitcnt lgkmcnt(1)
	v_lshrrev_b32_e32 v136, 16, v132
	v_lshlrev_b32_e32 v138, 2, v149
	s_waitcnt lgkmcnt(0)
	v_lshrrev_b32_e32 v158, 16, v150
	v_lshrrev_b32_e32 v143, 16, v133
	;; [unrolled: 1-line block ×4, first 2 shown]
	v_cmp_eq_u32_e32 vcc_lo, 1, v138
	v_lshrrev_b32_e32 v164, 16, v152
	v_lshrrev_b32_e32 v162, 16, v135
	;; [unrolled: 1-line block ×3, first 2 shown]
	v_cndmask_b32_e32 v141, v132, v136, vcc_lo
	v_or_b32_e32 v139, 1, v138
	v_cmp_eq_u32_e64 s4, 2, v138
	v_cndmask_b32_e32 v154, v150, v158, vcc_lo
	v_cmp_eq_u32_e64 s7, 3, v138
	v_cmp_eq_u32_e64 s9, 4, v138
	v_cmp_eq_u32_e64 s3, 1, v139
	v_cndmask_b32_e64 v141, v141, v133, s4
	v_cmp_eq_u32_e64 s6, 2, v139
	v_cndmask_b32_e64 v154, v154, v151, s4
	v_cmp_eq_u32_e64 s8, 3, v139
	v_cndmask_b32_e64 v155, v132, v136, s3
	v_cndmask_b32_e64 v141, v141, v143, s7
	v_or_b32_e32 v137, 2, v138
	v_cndmask_b32_e64 v154, v154, v163, s7
	v_cndmask_b32_e64 v156, v150, v158, s3
	v_cndmask_b32_e64 v155, v155, v133, s6
	v_cndmask_b32_e64 v141, v141, v134, s9
	v_cmp_eq_u32_e64 s10, 5, v138
	v_cndmask_b32_e64 v154, v154, v152, s9
	v_cmp_eq_u32_e64 s11, 4, v139
	v_cndmask_b32_e64 v155, v155, v143, s8
	;; [unrolled: 2-line block ×3, first 2 shown]
	v_cndmask_b32_e64 v141, v141, v144, s10
	v_cmp_eq_u32_e64 s12, 6, v138
	v_cndmask_b32_e64 v155, v155, v134, s11
	v_cndmask_b32_e64 v154, v154, v164, s10
	v_cmp_eq_u32_e64 s13, 5, v139
	v_cndmask_b32_e64 v157, v132, v136, s5
	v_cndmask_b32_e64 v156, v156, v163, s8
	;; [unrolled: 1-line block ×3, first 2 shown]
	v_cmp_eq_u32_e64 s15, 7, v138
	v_cndmask_b32_e64 v155, v155, v144, s13
	v_cndmask_b32_e64 v154, v154, v153, s12
	v_cmp_eq_u32_e64 s16, 6, v139
	v_cmp_eq_u32_e64 s17, 2, v137
	v_cndmask_b32_e64 v156, v156, v152, s11
	v_cndmask_b32_e64 v166, v141, v162, s15
	;; [unrolled: 1-line block ×6, first 2 shown]
	v_cmp_eq_u32_e64 s18, 7, v139
	v_cmp_eq_u32_e64 s19, 3, v137
	;; [unrolled: 1-line block ×4, first 2 shown]
	v_cndmask_b32_e64 v154, v154, v151, s17
	v_cndmask_b32_e64 v168, v155, v162, s18
	;; [unrolled: 1-line block ×4, first 2 shown]
	v_or_b32_e32 v141, 3, v138
	v_cndmask_b32_e64 v160, v154, v163, s19
	v_cmp_eq_u32_e64 s24, 6, v137
	v_cndmask_b32_e64 v169, v155, v153, s16
	v_cndmask_b32_e64 v159, v156, v134, s20
	v_cmp_eq_u32_e64 s21, 1, v141
	ds_load_b128 v[154:157], v142 offset:1024
	v_cmp_eq_u32_e64 s23, 2, v141
	v_cmp_eq_u32_e64 s25, 3, v141
	v_cndmask_b32_e64 v170, v159, v144, s22
	v_cndmask_b32_e64 v132, v132, v136, s21
	v_cndmask_b32_e64 v136, v160, v152, s20
	v_cndmask_b32_e64 v150, v150, v158, s21
	ds_load_b128 v[158:161], v142 offset:1040
	v_cmp_eq_u32_e64 s26, 4, v141
	v_cndmask_b32_e64 v132, v132, v133, s23
	v_cndmask_b32_e64 v133, v136, v164, s22
	;; [unrolled: 1-line block ×3, first 2 shown]
	v_cmp_eq_u32_e64 s28, 5, v141
	v_cmp_eq_u32_e64 s27, 7, v137
	v_cndmask_b32_e64 v132, v132, v143, s25
	v_cndmask_b32_e64 v143, v170, v135, s24
	;; [unrolled: 1-line block ×3, first 2 shown]
	v_cmp_eq_u32_e64 s29, 6, v141
	v_cndmask_b32_e64 v133, v133, v153, s24
	v_cndmask_b32_e64 v132, v132, v134, s26
	s_waitcnt lgkmcnt(1)
	v_lshrrev_b32_e32 v151, 16, v154
	v_cndmask_b32_e64 v134, v136, v152, s26
	v_cndmask_b32_e64 v136, v143, v162, s27
	v_lshrrev_b32_e32 v152, 16, v155
	v_cndmask_b32_e64 v132, v132, v144, s28
	v_cndmask_b32_e64 v163, v154, v151, s3
	;; [unrolled: 1-line block ×3, first 2 shown]
	s_waitcnt lgkmcnt(0)
	v_lshrrev_b32_e32 v144, 16, v158
	v_cndmask_b32_e64 v150, v169, v165, s18
	v_cndmask_b32_e64 v132, v132, v135, s29
	v_cndmask_b32_e32 v143, v154, v151, vcc_lo
	v_cndmask_b32_e64 v134, v134, v153, s29
	v_cndmask_b32_e32 v164, v158, v144, vcc_lo
	v_cmp_eq_u32_e32 vcc_lo, 7, v141
	v_cndmask_b32_e64 v133, v133, v165, s27
	s_delay_alu instid0(VALU_DEP_3)
	v_cndmask_b32_e64 v153, v164, v159, s4
	v_cndmask_b32_e32 v132, v132, v162, vcc_lo
	v_cndmask_b32_e64 v143, v143, v155, s4
	v_lshrrev_b32_e32 v164, 16, v156
	v_cndmask_b32_e32 v134, v134, v165, vcc_lo
	v_lshrrev_b32_e32 v165, 16, v160
	s_delay_alu instid0(VALU_DEP_4) | instskip(SKIP_2) | instid1(VALU_DEP_3)
	v_cndmask_b32_e64 v135, v143, v152, s7
	v_cndmask_b32_e64 v143, v163, v155, s6
	v_lshrrev_b32_e32 v163, 16, v159
	v_cndmask_b32_e64 v135, v135, v156, s9
	s_delay_alu instid0(VALU_DEP_3) | instskip(NEXT) | instid1(VALU_DEP_3)
	v_cndmask_b32_e64 v143, v143, v152, s8
	v_cndmask_b32_e64 v153, v153, v163, s7
	s_delay_alu instid0(VALU_DEP_3) | instskip(NEXT) | instid1(VALU_DEP_3)
	v_cndmask_b32_e64 v162, v135, v164, s10
	v_cndmask_b32_e64 v143, v143, v156, s11
	s_delay_alu instid0(VALU_DEP_3)
	v_cndmask_b32_e64 v153, v153, v160, s9
	v_perm_b32 v135, v134, v132, 0x5040100
	v_perm_b32 v134, v133, v136, 0x5040100
	;; [unrolled: 1-line block ×3, first 2 shown]
	v_cndmask_b32_e64 v132, v143, v164, s13
	v_cndmask_b32_e64 v143, v162, v157, s12
	v_lshrrev_b32_e32 v162, 16, v157
	v_cndmask_b32_e64 v153, v153, v165, s10
	v_lshrrev_b32_e32 v150, 16, v161
	v_cndmask_b32_e64 v132, v132, v157, s16
	s_delay_alu instid0(VALU_DEP_4) | instskip(NEXT) | instid1(VALU_DEP_4)
	v_cndmask_b32_e64 v136, v143, v162, s15
	v_cndmask_b32_e64 v143, v153, v161, s12
	v_cndmask_b32_e64 v153, v158, v144, s21
	s_delay_alu instid0(VALU_DEP_4)
	v_cndmask_b32_e64 v168, v132, v162, s18
	v_cndmask_b32_e64 v132, v154, v151, s5
	;; [unrolled: 1-line block ×32, first 2 shown]
	v_cndmask_b32_e32 v151, v151, v162, vcc_lo
	v_cndmask_b32_e32 v152, v152, v150, vcc_lo
	v_cndmask_b32_e64 v155, v153, v150, s27
	v_cndmask_b32_e64 v144, v144, v150, s18
	v_perm_b32 v132, v167, v166, 0x5040100
	v_perm_b32 v150, v143, v136, 0x5040100
	;; [unrolled: 1-line block ×5, first 2 shown]
	s_lshl_b32 s8, s35, 1
	s_mov_b32 s3, exec_lo
	ds_store_b128 v131, v[132:135]
	ds_store_b128 v131, v[150:153] offset:1024
	v_cmpx_gt_u32_e32 2, v0
	s_cbranch_execz .LBB631_78
; %bb.77:
	v_or_b32_e32 v131, s31, v0
	s_load_b128 s[4:7], s[0:1], 0x58
	s_delay_alu instid0(VALU_DEP_1) | instskip(NEXT) | instid1(VALU_DEP_1)
	v_mad_u64_u32 v[132:133], null, s8, s30, v[131:132]
	v_mad_u64_u32 v[133:134], null, v132, s34, s[14:15]
	s_delay_alu instid0(VALU_DEP_1) | instskip(NEXT) | instid1(VALU_DEP_1)
	v_ashrrev_i32_e32 v134, 31, v133
	v_lshlrev_b64 v[131:132], 2, v[133:134]
	s_waitcnt lgkmcnt(0)
	s_delay_alu instid0(VALU_DEP_1) | instskip(NEXT) | instid1(VALU_DEP_2)
	v_add_co_u32 v133, vcc_lo, s6, v131
	v_add_co_ci_u32_e32 v134, vcc_lo, s7, v132, vcc_lo
	v_add_co_u32 v131, vcc_lo, s4, v131
	v_add_co_ci_u32_e32 v132, vcc_lo, s5, v132, vcc_lo
	global_store_b32 v[133:134], v129, off
	global_store_b32 v[131:132], v130, off
.LBB631_78:
	s_or_b32 exec_lo, exec_lo, s3
	s_waitcnt lgkmcnt(0)
	s_waitcnt_vscnt null, 0x0
	s_barrier
	buffer_gl0_inv
	ds_load_b128 v[150:153], v140
	ds_load_b128 v[154:157], v140 offset:16
	ds_load_b128 v[162:165], v140 offset:1040
	;; [unrolled: 1-line block ×3, first 2 shown]
	v_mov_b32_e32 v129, 0
	ds_load_b128 v[170:173], v140 offset:2064
	ds_load_b128 v[166:169], v140 offset:2048
	ds_load_b128 v[178:181], v140 offset:3088
	ds_load_b128 v[174:177], v140 offset:3072
	ds_load_b128 v[186:189], v140 offset:4112
	ds_load_b128 v[182:185], v140 offset:4096
	v_mov_b32_e32 v130, v129
	v_mov_b32_e32 v131, v129
	;; [unrolled: 1-line block ×7, first 2 shown]
	s_waitcnt lgkmcnt(8)
	s_delay_alu instid0(VALU_DEP_1)
	v_wmma_f32_16x16x16_bf16 v[129:136], v[121:128], v[150:157], v[129:136]
	ds_load_b128 v[125:128], v140 offset:5136
	ds_load_b128 v[121:124], v140 offset:5120
	s_waitcnt lgkmcnt(8)
	v_wmma_f32_16x16x16_bf16 v[129:136], v[113:120], v[158:165], v[129:136]
	ds_load_b128 v[117:120], v140 offset:6160
	ds_load_b128 v[113:116], v140 offset:6144
	s_waitcnt lgkmcnt(8)
	;; [unrolled: 4-line block ×8, first 2 shown]
	v_wmma_f32_16x16x16_bf16 v[129:136], v[65:72], v[97:104], v[129:136]
	s_waitcnt lgkmcnt(6)
	s_delay_alu instid0(VALU_DEP_1)
	v_wmma_f32_16x16x16_bf16 v[129:136], v[49:56], v[89:96], v[129:136]
	ds_load_b128 v[53:56], v140 offset:13328
	ds_load_b128 v[49:52], v140 offset:13312
	s_waitcnt lgkmcnt(6)
	v_wmma_f32_16x16x16_bf16 v[129:136], v[41:48], v[81:88], v[129:136]
	ds_load_b128 v[45:48], v140 offset:14352
	ds_load_b128 v[41:44], v140 offset:14336
	s_waitcnt lgkmcnt(6)
	;; [unrolled: 4-line block ×3, first 2 shown]
	v_wmma_f32_16x16x16_bf16 v[129:136], v[1:8], v[57:64], v[129:136]
	s_waitcnt lgkmcnt(4)
	s_delay_alu instid0(VALU_DEP_1) | instskip(SKIP_1) | instid1(VALU_DEP_1)
	v_wmma_f32_16x16x16_bf16 v[129:136], v[25:32], v[49:56], v[129:136]
	s_waitcnt lgkmcnt(2)
	v_wmma_f32_16x16x16_bf16 v[129:136], v[33:40], v[41:48], v[129:136]
	s_waitcnt lgkmcnt(0)
	s_delay_alu instid0(VALU_DEP_1) | instskip(NEXT) | instid1(VALU_DEP_1)
	v_wmma_f32_16x16x16_bf16 v[129:136], v[9:16], v[17:24], v[129:136]
	v_and_b32_e32 v1, 0x7f800000, v129
	s_delay_alu instid0(VALU_DEP_1) | instskip(SKIP_1) | instid1(SALU_CYCLE_1)
	v_cmp_ne_u32_e32 vcc_lo, 0x7f800000, v1
                                        ; implicit-def: $vgpr1
	s_and_saveexec_b32 s3, vcc_lo
	s_xor_b32 s3, exec_lo, s3
; %bb.79:
	v_bfe_u32 v1, v129, 16, 1
	s_delay_alu instid0(VALU_DEP_1)
	v_add3_u32 v1, v129, v1, 0x7fff
; %bb.80:
	s_and_not1_saveexec_b32 s3, s3
; %bb.81:
	v_and_b32_e32 v1, 0xffff, v129
	v_or_b32_e32 v2, 0x10000, v129
	s_delay_alu instid0(VALU_DEP_2) | instskip(NEXT) | instid1(VALU_DEP_2)
	v_cmp_eq_u32_e32 vcc_lo, 0, v1
	v_cndmask_b32_e32 v1, v2, v129, vcc_lo
; %bb.82:
	s_or_b32 exec_lo, exec_lo, s3
	v_and_b32_e32 v2, 0x7f800000, v130
	s_delay_alu instid0(VALU_DEP_1) | instskip(SKIP_1) | instid1(SALU_CYCLE_1)
	v_cmp_ne_u32_e32 vcc_lo, 0x7f800000, v2
                                        ; implicit-def: $vgpr2
	s_and_saveexec_b32 s3, vcc_lo
	s_xor_b32 s3, exec_lo, s3
; %bb.83:
	v_bfe_u32 v2, v130, 16, 1
	s_delay_alu instid0(VALU_DEP_1)
	v_add3_u32 v2, v130, v2, 0x7fff
; %bb.84:
	s_and_not1_saveexec_b32 s3, s3
; %bb.85:
	v_and_b32_e32 v2, 0xffff, v130
	v_or_b32_e32 v3, 0x10000, v130
	s_delay_alu instid0(VALU_DEP_2) | instskip(NEXT) | instid1(VALU_DEP_2)
	v_cmp_eq_u32_e32 vcc_lo, 0, v2
	v_cndmask_b32_e32 v2, v3, v130, vcc_lo
; %bb.86:
	s_or_b32 exec_lo, exec_lo, s3
	v_and_b32_e32 v3, 0x7f800000, v131
	s_delay_alu instid0(VALU_DEP_1) | instskip(SKIP_1) | instid1(SALU_CYCLE_1)
	v_cmp_ne_u32_e32 vcc_lo, 0x7f800000, v3
                                        ; implicit-def: $vgpr3
	s_and_saveexec_b32 s3, vcc_lo
	s_xor_b32 s3, exec_lo, s3
; %bb.87:
	v_bfe_u32 v3, v131, 16, 1
	s_delay_alu instid0(VALU_DEP_1)
	v_add3_u32 v3, v131, v3, 0x7fff
; %bb.88:
	s_and_not1_saveexec_b32 s3, s3
; %bb.89:
	v_and_b32_e32 v3, 0xffff, v131
	v_or_b32_e32 v4, 0x10000, v131
	s_delay_alu instid0(VALU_DEP_2) | instskip(NEXT) | instid1(VALU_DEP_2)
	v_cmp_eq_u32_e32 vcc_lo, 0, v3
	v_cndmask_b32_e32 v3, v4, v131, vcc_lo
; %bb.90:
	s_or_b32 exec_lo, exec_lo, s3
	v_and_b32_e32 v4, 0x7f800000, v132
	s_delay_alu instid0(VALU_DEP_1) | instskip(SKIP_1) | instid1(SALU_CYCLE_1)
	v_cmp_ne_u32_e32 vcc_lo, 0x7f800000, v4
                                        ; implicit-def: $vgpr4
	s_and_saveexec_b32 s3, vcc_lo
	s_xor_b32 s3, exec_lo, s3
; %bb.91:
	v_bfe_u32 v4, v132, 16, 1
	s_delay_alu instid0(VALU_DEP_1)
	v_add3_u32 v4, v132, v4, 0x7fff
; %bb.92:
	s_and_not1_saveexec_b32 s3, s3
; %bb.93:
	v_and_b32_e32 v4, 0xffff, v132
	v_or_b32_e32 v5, 0x10000, v132
	s_delay_alu instid0(VALU_DEP_2) | instskip(NEXT) | instid1(VALU_DEP_2)
	v_cmp_eq_u32_e32 vcc_lo, 0, v4
	v_cndmask_b32_e32 v4, v5, v132, vcc_lo
; %bb.94:
	s_or_b32 exec_lo, exec_lo, s3
	v_and_b32_e32 v5, 0x7f800000, v133
	s_delay_alu instid0(VALU_DEP_1) | instskip(SKIP_1) | instid1(SALU_CYCLE_1)
	v_cmp_ne_u32_e32 vcc_lo, 0x7f800000, v5
                                        ; implicit-def: $vgpr5
	s_and_saveexec_b32 s3, vcc_lo
	s_xor_b32 s3, exec_lo, s3
; %bb.95:
	v_bfe_u32 v5, v133, 16, 1
	s_delay_alu instid0(VALU_DEP_1)
	v_add3_u32 v5, v133, v5, 0x7fff
; %bb.96:
	s_and_not1_saveexec_b32 s3, s3
; %bb.97:
	v_and_b32_e32 v5, 0xffff, v133
	v_or_b32_e32 v6, 0x10000, v133
	s_delay_alu instid0(VALU_DEP_2) | instskip(NEXT) | instid1(VALU_DEP_2)
	v_cmp_eq_u32_e32 vcc_lo, 0, v5
	v_cndmask_b32_e32 v5, v6, v133, vcc_lo
; %bb.98:
	s_or_b32 exec_lo, exec_lo, s3
	v_and_b32_e32 v6, 0x7f800000, v134
	s_delay_alu instid0(VALU_DEP_1) | instskip(SKIP_1) | instid1(SALU_CYCLE_1)
	v_cmp_ne_u32_e32 vcc_lo, 0x7f800000, v6
                                        ; implicit-def: $vgpr6
	s_and_saveexec_b32 s3, vcc_lo
	s_xor_b32 s3, exec_lo, s3
; %bb.99:
	v_bfe_u32 v6, v134, 16, 1
	s_delay_alu instid0(VALU_DEP_1)
	v_add3_u32 v6, v134, v6, 0x7fff
; %bb.100:
	s_and_not1_saveexec_b32 s3, s3
; %bb.101:
	v_and_b32_e32 v6, 0xffff, v134
	v_or_b32_e32 v7, 0x10000, v134
	s_delay_alu instid0(VALU_DEP_2) | instskip(NEXT) | instid1(VALU_DEP_2)
	v_cmp_eq_u32_e32 vcc_lo, 0, v6
	v_cndmask_b32_e32 v6, v7, v134, vcc_lo
; %bb.102:
	s_or_b32 exec_lo, exec_lo, s3
	v_and_b32_e32 v7, 0x7f800000, v135
	s_delay_alu instid0(VALU_DEP_1) | instskip(SKIP_1) | instid1(SALU_CYCLE_1)
	v_cmp_ne_u32_e32 vcc_lo, 0x7f800000, v7
                                        ; implicit-def: $vgpr7
	s_and_saveexec_b32 s3, vcc_lo
	s_xor_b32 s3, exec_lo, s3
; %bb.103:
	v_bfe_u32 v7, v135, 16, 1
	s_delay_alu instid0(VALU_DEP_1)
	v_add3_u32 v7, v135, v7, 0x7fff
; %bb.104:
	s_and_not1_saveexec_b32 s3, s3
; %bb.105:
	v_and_b32_e32 v7, 0xffff, v135
	v_or_b32_e32 v8, 0x10000, v135
	s_delay_alu instid0(VALU_DEP_2) | instskip(NEXT) | instid1(VALU_DEP_2)
	v_cmp_eq_u32_e32 vcc_lo, 0, v7
	v_cndmask_b32_e32 v7, v8, v135, vcc_lo
; %bb.106:
	s_or_b32 exec_lo, exec_lo, s3
	v_and_b32_e32 v8, 0x7f800000, v136
	s_delay_alu instid0(VALU_DEP_1) | instskip(SKIP_1) | instid1(SALU_CYCLE_1)
	v_cmp_ne_u32_e32 vcc_lo, 0x7f800000, v8
                                        ; implicit-def: $vgpr8
	s_and_saveexec_b32 s3, vcc_lo
	s_xor_b32 s3, exec_lo, s3
; %bb.107:
	v_bfe_u32 v8, v136, 16, 1
	s_delay_alu instid0(VALU_DEP_1)
	v_add3_u32 v8, v136, v8, 0x7fff
                                        ; implicit-def: $vgpr129_vgpr130_vgpr131_vgpr132_vgpr133_vgpr134_vgpr135_vgpr136
; %bb.108:
	s_and_not1_saveexec_b32 s3, s3
; %bb.109:
	v_and_b32_e32 v8, 0xffff, v136
	v_or_b32_e32 v9, 0x10000, v136
	s_delay_alu instid0(VALU_DEP_2) | instskip(NEXT) | instid1(VALU_DEP_2)
	v_cmp_eq_u32_e32 vcc_lo, 0, v8
	v_cndmask_b32_e32 v8, v9, v136, vcc_lo
; %bb.110:
	s_or_b32 exec_lo, exec_lo, s3
	s_delay_alu instid0(VALU_DEP_1)
	v_perm_b32 v7, v8, v7, 0x7060302
	v_perm_b32 v6, v6, v5, 0x7060302
	;; [unrolled: 1-line block ×4, first 2 shown]
	v_lshl_or_b32 v9, v149, 4, v142
	s_barrier
	buffer_gl0_inv
	v_cmp_eq_u32_e32 vcc_lo, 1, v138
	ds_store_b128 v9, v[4:7]
	s_waitcnt lgkmcnt(0)
	s_barrier
	buffer_gl0_inv
	ds_load_b128 v[1:4], v142
	ds_load_b128 v[5:8], v142 offset:16
	v_cmp_eq_u32_e64 s4, 2, v138
	v_cmp_eq_u32_e64 s3, 1, v139
	;; [unrolled: 1-line block ×5, first 2 shown]
	s_waitcnt lgkmcnt(1)
	v_lshrrev_b32_e32 v10, 16, v1
	s_waitcnt lgkmcnt(0)
	v_lshrrev_b32_e32 v14, 16, v5
	v_lshrrev_b32_e32 v15, 16, v6
	;; [unrolled: 1-line block ×4, first 2 shown]
	v_cndmask_b32_e64 v20, v1, v10, s3
	v_cndmask_b32_e32 v19, v5, v14, vcc_lo
	v_cndmask_b32_e64 v21, v5, v14, s3
	v_lshrrev_b32_e32 v16, 16, v7
	v_cmp_eq_u32_e64 s3, 1, v137
	v_lshrrev_b32_e32 v13, 16, v4
	v_cndmask_b32_e64 v19, v19, v6, s4
	v_lshrrev_b32_e32 v17, 16, v8
	s_delay_alu instid0(VALU_DEP_4) | instskip(SKIP_1) | instid1(VALU_DEP_4)
	v_cndmask_b32_e64 v22, v1, v10, s3
	v_cndmask_b32_e64 v23, v5, v14, s3
	;; [unrolled: 1-line block ×3, first 2 shown]
	v_cndmask_b32_e32 v18, v1, v10, vcc_lo
	v_cmp_eq_u32_e32 vcc_lo, 2, v139
	v_cmp_eq_u32_e64 s3, 2, v141
	v_cndmask_b32_e64 v22, v22, v2, s7
	v_cndmask_b32_e32 v20, v20, v2, vcc_lo
	v_cndmask_b32_e32 v21, v21, v6, vcc_lo
	v_cmp_eq_u32_e32 vcc_lo, 4, v138
	v_cndmask_b32_e32 v19, v19, v7, vcc_lo
	v_cndmask_b32_e64 v18, v18, v2, s4
	v_cmp_eq_u32_e64 s4, 3, v139
	s_delay_alu instid0(VALU_DEP_2) | instskip(NEXT) | instid1(VALU_DEP_2)
	v_cndmask_b32_e64 v18, v18, v11, s5
	v_cndmask_b32_e64 v21, v21, v15, s4
	v_cmp_eq_u32_e64 s5, 5, v138
	s_delay_alu instid0(VALU_DEP_3) | instskip(SKIP_1) | instid1(VALU_DEP_3)
	v_cndmask_b32_e32 v18, v18, v3, vcc_lo
	v_cmp_eq_u32_e32 vcc_lo, 4, v139
	v_cndmask_b32_e64 v19, v19, v16, s5
	s_delay_alu instid0(VALU_DEP_3) | instskip(SKIP_4) | instid1(VALU_DEP_3)
	v_cndmask_b32_e64 v18, v18, v12, s5
	v_cndmask_b32_e32 v21, v21, v7, vcc_lo
	v_cndmask_b32_e64 v20, v20, v11, s4
	v_cmp_eq_u32_e64 s4, 5, v139
	v_cmp_eq_u32_e64 s5, 6, v138
	v_cndmask_b32_e32 v20, v20, v3, vcc_lo
	s_delay_alu instid0(VALU_DEP_3) | instskip(SKIP_1) | instid1(VALU_DEP_4)
	v_cndmask_b32_e64 v21, v21, v16, s4
	v_cmp_eq_u32_e32 vcc_lo, 6, v139
	v_cndmask_b32_e64 v18, v18, v4, s5
	v_cndmask_b32_e64 v19, v19, v8, s5
	;; [unrolled: 1-line block ×3, first 2 shown]
	v_cmp_eq_u32_e64 s4, 1, v141
	v_cmp_eq_u32_e64 s5, 7, v138
	s_delay_alu instid0(VALU_DEP_3) | instskip(NEXT) | instid1(VALU_DEP_3)
	v_cndmask_b32_e32 v20, v20, v4, vcc_lo
	v_cndmask_b32_e64 v1, v1, v10, s4
	v_cndmask_b32_e64 v5, v5, v14, s4
	v_cmp_eq_u32_e64 s4, 3, v137
	v_cndmask_b32_e64 v14, v23, v6, s7
	v_cmp_eq_u32_e64 s7, 3, v141
	v_cndmask_b32_e64 v1, v1, v2, s3
	v_cndmask_b32_e64 v2, v5, v6, s3
	;; [unrolled: 1-line block ×3, first 2 shown]
	v_cmp_eq_u32_e64 s3, 4, v137
	v_cndmask_b32_e64 v6, v14, v15, s4
	v_cndmask_b32_e64 v1, v1, v11, s7
	v_cmp_eq_u32_e64 s4, 4, v141
	v_cndmask_b32_e64 v2, v2, v15, s7
	v_cndmask_b32_e64 v5, v10, v3, s3
	;; [unrolled: 3-line block ×3, first 2 shown]
	v_cndmask_b32_e64 v2, v2, v7, s4
	v_cmp_eq_u32_e64 s3, 5, v141
	v_cndmask_b32_e64 v5, v5, v12, s7
	v_cmp_eq_u32_e64 s4, 6, v137
	;; [unrolled: 2-line block ×3, first 2 shown]
	v_cndmask_b32_e64 v1, v1, v12, s3
	v_cndmask_b32_e64 v2, v2, v16, s3
	;; [unrolled: 1-line block ×4, first 2 shown]
	v_cmp_eq_u32_e64 s3, 7, v141
	v_cndmask_b32_e64 v1, v1, v4, s7
	v_cndmask_b32_e64 v2, v2, v8, s7
	v_cmp_eq_u32_e64 s4, 7, v137
	v_cndmask_b32_e32 v4, v21, v8, vcc_lo
	v_cndmask_b32_e64 v18, v18, v13, s5
	v_cndmask_b32_e64 v20, v20, v13, s6
	;; [unrolled: 1-line block ×8, first 2 shown]
	s_delay_alu instid0(VALU_DEP_4) | instskip(NEXT) | instid1(VALU_DEP_4)
	v_perm_b32 v4, v2, v1, 0x5040100
	v_perm_b32 v3, v3, v5, 0x5040100
	s_delay_alu instid0(VALU_DEP_4) | instskip(NEXT) | instid1(VALU_DEP_4)
	v_perm_b32 v2, v6, v20, 0x5040100
	v_perm_b32 v1, v7, v18, 0x5040100
	ds_store_b128 v9, v[1:4]
	s_waitcnt lgkmcnt(0)
	s_barrier
	buffer_gl0_inv
	s_and_saveexec_b32 s3, s2
	s_cbranch_execz .LBB631_2
; %bb.111:
	s_load_b64 s[0:1], s[0:1], 0x68
	v_lshlrev_b32_e32 v0, 10, v0
	s_lshl_b32 s2, s34, 7
	v_lshlrev_b32_e32 v1, 4, v148
	v_mul_lo_u32 v4, s2, v147
	s_mul_i32 s3, s2, s30
	v_and_b32_e32 v0, 0x3800, v0
	s_mul_i32 s2, s3, s8
	s_delay_alu instid0(SALU_CYCLE_1) | instskip(NEXT) | instid1(VALU_DEP_1)
	s_ashr_i32 s3, s2, 31
	v_or3_b32 v0, v0, v146, v1
	s_lshl_b64 s[2:3], s[2:3], 1
	s_delay_alu instid0(VALU_DEP_3)
	v_ashrrev_i32_e32 v5, 31, v4
	ds_load_b128 v[0:3], v0
	v_lshlrev_b64 v[4:5], 1, v[4:5]
	s_waitcnt lgkmcnt(0)
	s_add_u32 s2, s0, s2
	s_addc_u32 s3, s1, s3
	s_lshl_b32 s0, s14, 7
	s_delay_alu instid0(SALU_CYCLE_1) | instskip(NEXT) | instid1(SALU_CYCLE_1)
	s_ashr_i32 s1, s0, 31
	s_lshl_b64 s[0:1], s[0:1], 1
	s_delay_alu instid0(SALU_CYCLE_1) | instskip(SKIP_3) | instid1(VALU_DEP_2)
	s_add_u32 s0, s2, s0
	s_addc_u32 s1, s3, s1
	v_add_co_u32 v4, vcc_lo, s0, v4
	v_add_co_ci_u32_e32 v5, vcc_lo, s1, v5, vcc_lo
	v_add_co_u32 v4, vcc_lo, v4, v145
	s_delay_alu instid0(VALU_DEP_2)
	v_add_co_ci_u32_e32 v5, vcc_lo, 0, v5, vcc_lo
	global_store_b128 v[4:5], v[0:3], off
	s_nop 0
	s_sendmsg sendmsg(MSG_DEALLOC_VGPRS)
	s_endpgm
	.section	.rodata,"a",@progbits
	.p2align	6, 0x0
	.amdhsa_kernel _Z39paged_attention_ll4mi_QKV_mfma16_kernelI14__hip_bfloat16S0_LN4vllm18Fp8KVCacheDataTypeE0EhLi16ELi128ELi256ELb0ELi2EL8MFMAType0EEvPKT_PKT0_S9_ifPKiSB_SB_iPKfiiiPfSE_PS4_PT2_iSD_SD_
		.amdhsa_group_segment_fixed_size 17472
		.amdhsa_private_segment_fixed_size 0
		.amdhsa_kernarg_size 400
		.amdhsa_user_sgpr_count 13
		.amdhsa_user_sgpr_dispatch_ptr 0
		.amdhsa_user_sgpr_queue_ptr 0
		.amdhsa_user_sgpr_kernarg_segment_ptr 1
		.amdhsa_user_sgpr_dispatch_id 0
		.amdhsa_user_sgpr_private_segment_size 0
		.amdhsa_wavefront_size32 1
		.amdhsa_uses_dynamic_stack 0
		.amdhsa_enable_private_segment 0
		.amdhsa_system_sgpr_workgroup_id_x 1
		.amdhsa_system_sgpr_workgroup_id_y 1
		.amdhsa_system_sgpr_workgroup_id_z 1
		.amdhsa_system_sgpr_workgroup_info 0
		.amdhsa_system_vgpr_workitem_id 0
		.amdhsa_next_free_vgpr 230
		.amdhsa_next_free_sgpr 52
		.amdhsa_reserve_vcc 1
		.amdhsa_float_round_mode_32 0
		.amdhsa_float_round_mode_16_64 0
		.amdhsa_float_denorm_mode_32 3
		.amdhsa_float_denorm_mode_16_64 3
		.amdhsa_dx10_clamp 1
		.amdhsa_ieee_mode 1
		.amdhsa_fp16_overflow 0
		.amdhsa_workgroup_processor_mode 1
		.amdhsa_memory_ordered 1
		.amdhsa_forward_progress 0
		.amdhsa_shared_vgpr_count 0
		.amdhsa_exception_fp_ieee_invalid_op 0
		.amdhsa_exception_fp_denorm_src 0
		.amdhsa_exception_fp_ieee_div_zero 0
		.amdhsa_exception_fp_ieee_overflow 0
		.amdhsa_exception_fp_ieee_underflow 0
		.amdhsa_exception_fp_ieee_inexact 0
		.amdhsa_exception_int_div_zero 0
	.end_amdhsa_kernel
	.section	.text._Z39paged_attention_ll4mi_QKV_mfma16_kernelI14__hip_bfloat16S0_LN4vllm18Fp8KVCacheDataTypeE0EhLi16ELi128ELi256ELb0ELi2EL8MFMAType0EEvPKT_PKT0_S9_ifPKiSB_SB_iPKfiiiPfSE_PS4_PT2_iSD_SD_,"axG",@progbits,_Z39paged_attention_ll4mi_QKV_mfma16_kernelI14__hip_bfloat16S0_LN4vllm18Fp8KVCacheDataTypeE0EhLi16ELi128ELi256ELb0ELi2EL8MFMAType0EEvPKT_PKT0_S9_ifPKiSB_SB_iPKfiiiPfSE_PS4_PT2_iSD_SD_,comdat
.Lfunc_end631:
	.size	_Z39paged_attention_ll4mi_QKV_mfma16_kernelI14__hip_bfloat16S0_LN4vllm18Fp8KVCacheDataTypeE0EhLi16ELi128ELi256ELb0ELi2EL8MFMAType0EEvPKT_PKT0_S9_ifPKiSB_SB_iPKfiiiPfSE_PS4_PT2_iSD_SD_, .Lfunc_end631-_Z39paged_attention_ll4mi_QKV_mfma16_kernelI14__hip_bfloat16S0_LN4vllm18Fp8KVCacheDataTypeE0EhLi16ELi128ELi256ELb0ELi2EL8MFMAType0EEvPKT_PKT0_S9_ifPKiSB_SB_iPKfiiiPfSE_PS4_PT2_iSD_SD_
                                        ; -- End function
	.section	.AMDGPU.csdata,"",@progbits
; Kernel info:
; codeLenInByte = 10052
; NumSgprs: 54
; NumVgprs: 230
; ScratchSize: 0
; MemoryBound: 0
; FloatMode: 240
; IeeeMode: 1
; LDSByteSize: 17472 bytes/workgroup (compile time only)
; SGPRBlocks: 6
; VGPRBlocks: 28
; NumSGPRsForWavesPerEU: 54
; NumVGPRsForWavesPerEU: 230
; Occupancy: 6
; WaveLimiterHint : 1
; COMPUTE_PGM_RSRC2:SCRATCH_EN: 0
; COMPUTE_PGM_RSRC2:USER_SGPR: 13
; COMPUTE_PGM_RSRC2:TRAP_HANDLER: 0
; COMPUTE_PGM_RSRC2:TGID_X_EN: 1
; COMPUTE_PGM_RSRC2:TGID_Y_EN: 1
; COMPUTE_PGM_RSRC2:TGID_Z_EN: 1
; COMPUTE_PGM_RSRC2:TIDIG_COMP_CNT: 0
	.section	.text._Z39paged_attention_ll4mi_QKV_mfma16_kernelI14__hip_bfloat16S0_LN4vllm18Fp8KVCacheDataTypeE0EhLi16ELi128ELi256ELb0ELi3EL8MFMAType0EEvPKT_PKT0_S9_ifPKiSB_SB_iPKfiiiPfSE_PS4_PT2_iSD_SD_,"axG",@progbits,_Z39paged_attention_ll4mi_QKV_mfma16_kernelI14__hip_bfloat16S0_LN4vllm18Fp8KVCacheDataTypeE0EhLi16ELi128ELi256ELb0ELi3EL8MFMAType0EEvPKT_PKT0_S9_ifPKiSB_SB_iPKfiiiPfSE_PS4_PT2_iSD_SD_,comdat
	.protected	_Z39paged_attention_ll4mi_QKV_mfma16_kernelI14__hip_bfloat16S0_LN4vllm18Fp8KVCacheDataTypeE0EhLi16ELi128ELi256ELb0ELi3EL8MFMAType0EEvPKT_PKT0_S9_ifPKiSB_SB_iPKfiiiPfSE_PS4_PT2_iSD_SD_ ; -- Begin function _Z39paged_attention_ll4mi_QKV_mfma16_kernelI14__hip_bfloat16S0_LN4vllm18Fp8KVCacheDataTypeE0EhLi16ELi128ELi256ELb0ELi3EL8MFMAType0EEvPKT_PKT0_S9_ifPKiSB_SB_iPKfiiiPfSE_PS4_PT2_iSD_SD_
	.globl	_Z39paged_attention_ll4mi_QKV_mfma16_kernelI14__hip_bfloat16S0_LN4vllm18Fp8KVCacheDataTypeE0EhLi16ELi128ELi256ELb0ELi3EL8MFMAType0EEvPKT_PKT0_S9_ifPKiSB_SB_iPKfiiiPfSE_PS4_PT2_iSD_SD_
	.p2align	8
	.type	_Z39paged_attention_ll4mi_QKV_mfma16_kernelI14__hip_bfloat16S0_LN4vllm18Fp8KVCacheDataTypeE0EhLi16ELi128ELi256ELb0ELi3EL8MFMAType0EEvPKT_PKT0_S9_ifPKiSB_SB_iPKfiiiPfSE_PS4_PT2_iSD_SD_,@function
_Z39paged_attention_ll4mi_QKV_mfma16_kernelI14__hip_bfloat16S0_LN4vllm18Fp8KVCacheDataTypeE0EhLi16ELi128ELi256ELb0ELi3EL8MFMAType0EEvPKT_PKT0_S9_ifPKiSB_SB_iPKfiiiPfSE_PS4_PT2_iSD_SD_: ; @_Z39paged_attention_ll4mi_QKV_mfma16_kernelI14__hip_bfloat16S0_LN4vllm18Fp8KVCacheDataTypeE0EhLi16ELi128ELi256ELb0ELi3EL8MFMAType0EEvPKT_PKT0_S9_ifPKiSB_SB_iPKfiiiPfSE_PS4_PT2_iSD_SD_
; %bb.0:
	s_load_b64 s[4:5], s[0:1], 0x30
	s_mov_b32 s30, s13
	s_waitcnt lgkmcnt(0)
	s_cmp_lg_u64 s[4:5], 0
	s_cselect_b32 s8, -1, 0
	s_ashr_i32 s31, s13, 31
	s_cmp_eq_u64 s[4:5], 0
	s_cbranch_scc1 .LBB632_3
; %bb.1:
	s_lshl_b64 s[2:3], s[30:31], 2
	s_delay_alu instid0(SALU_CYCLE_1) | instskip(SKIP_4) | instid1(SALU_CYCLE_1)
	s_add_u32 s2, s4, s2
	s_addc_u32 s3, s5, s3
	s_load_b64 s[2:3], s[2:3], 0x0
	s_waitcnt lgkmcnt(0)
	s_sub_i32 s2, s3, s2
	s_cmp_eq_u32 s2, 1
	s_cselect_b32 s2, -1, 0
	s_delay_alu instid0(SALU_CYCLE_1)
	s_and_not1_b32 vcc_lo, exec_lo, s2
	s_cbranch_vccz .LBB632_4
.LBB632_2:
	s_nop 0
	s_sendmsg sendmsg(MSG_DEALLOC_VGPRS)
	s_endpgm
.LBB632_3:
.LBB632_4:
	s_load_b64 s[2:3], s[0:1], 0x28
	s_lshl_b64 s[6:7], s[30:31], 2
	s_waitcnt lgkmcnt(0)
	s_add_u32 s2, s2, s6
	s_addc_u32 s3, s3, s7
	s_lshl_b32 s29, s14, 8
	s_load_b32 s28, s[2:3], 0x0
	s_waitcnt lgkmcnt(0)
	s_cmp_ge_i32 s29, s28
	s_cbranch_scc1 .LBB632_2
; %bb.5:
	s_clause 0x1
	s_load_b128 s[20:23], s[0:1], 0x8
	s_load_b64 s[2:3], s[0:1], 0x20
	s_and_not1_b32 vcc_lo, exec_lo, s8
	s_cbranch_vccnz .LBB632_7
; %bb.6:
	s_add_u32 s4, s4, s6
	s_addc_u32 s5, s5, s7
	s_load_b32 s5, s[4:5], 0x0
	s_branch .LBB632_8
.LBB632_7:
	s_mov_b32 s5, s30
.LBB632_8:
	s_load_b128 s[16:19], s[0:1], 0x48
	v_and_b32_e32 v140, 15, v0
	v_lshrrev_b32_e32 v141, 5, v0
	v_bfe_u32 v138, v0, 4, 1
	v_and_b32_e32 v142, 31, v0
	v_and_b32_e32 v139, 1, v0
	v_lshlrev_b32_e32 v2, 3, v140
	s_mul_i32 s31, s15, 3
	v_lshl_or_b32 v1, v141, 1, v138
	s_mov_b32 s4, exec_lo
	s_delay_alu instid0(VALU_DEP_2) | instskip(NEXT) | instid1(VALU_DEP_2)
	v_lshlrev_b32_e32 v137, 1, v2
	v_cmpx_gt_u32_e32 3, v1
	s_cbranch_execz .LBB632_10
; %bb.9:
	s_load_b64 s[6:7], s[0:1], 0x0
	v_add_lshl_u32 v2, v1, s31, 7
	s_waitcnt lgkmcnt(0)
	s_mul_hi_i32 s9, s5, s16
	s_mul_i32 s8, s5, s16
	v_lshlrev_b32_e32 v6, 10, v140
	s_lshl_b64 s[8:9], s[8:9], 1
	v_ashrrev_i32_e32 v3, 31, v2
	v_lshlrev_b32_e32 v1, 6, v1
	v_lshlrev_b32_e32 v7, 10, v139
	v_and_b32_e32 v6, 0x3800, v6
	s_delay_alu instid0(VALU_DEP_4) | instskip(NEXT) | instid1(VALU_DEP_2)
	v_lshlrev_b64 v[2:3], 1, v[2:3]
	v_or3_b32 v1, v6, v7, v1
	s_add_u32 s5, s6, s8
	s_addc_u32 s6, s7, s9
	s_delay_alu instid0(VALU_DEP_2) | instskip(NEXT) | instid1(VALU_DEP_3)
	v_add_co_u32 v2, vcc_lo, s5, v2
	v_add_co_ci_u32_e32 v3, vcc_lo, s6, v3, vcc_lo
	s_delay_alu instid0(VALU_DEP_2) | instskip(NEXT) | instid1(VALU_DEP_2)
	v_add_co_u32 v2, vcc_lo, v2, v137
	v_add_co_ci_u32_e32 v3, vcc_lo, 0, v3, vcc_lo
	global_load_b128 v[2:5], v[2:3], off
	s_waitcnt vmcnt(0)
	ds_store_b128 v1, v[2:5]
.LBB632_10:
	s_or_b32 exec_lo, exec_lo, s4
	v_and_b32_e32 v1, 0xef, v0
	s_waitcnt lgkmcnt(0)
	s_add_i32 s5, s28, 15
	s_clause 0x1
	s_load_b32 s4, s[0:1], 0x38
	s_load_b32 s33, s[0:1], 0x1c
	s_ashr_i32 s6, s5, 31
	v_add_nc_u32_e32 v1, s29, v1
	s_lshr_b32 s6, s6, 28
	s_waitcnt lgkmcnt(0)
	s_add_i32 s5, s5, s6
	s_barrier
	v_ashrrev_i32_e32 v2, 31, v1
	v_cmp_gt_i32_e32 vcc_lo, s28, v1
	s_ashr_i32 s16, s5, 4
	buffer_gl0_inv
	s_add_i32 s16, s16, -1
	v_lshrrev_b32_e32 v3, 28, v2
	v_or_b32_e32 v2, 16, v1
	v_mul_lo_u16 v105, 0x56, v140
	v_lshlrev_b32_e32 v106, 5, v140
	s_delay_alu instid0(VALU_DEP_4) | instskip(NEXT) | instid1(VALU_DEP_4)
	v_add_nc_u32_e32 v4, v1, v3
	v_add_nc_u32_e32 v3, v2, v3
	s_mul_i32 s4, s30, s4
	v_lshrrev_b16 v105, 8, v105
	s_ashr_i32 s5, s4, 31
	v_ashrrev_i32_e32 v4, 4, v4
	v_ashrrev_i32_e32 v3, 4, v3
	s_lshl_b64 s[4:5], s[4:5], 2
	v_mul_lo_u16 v105, v105, 3
	s_add_u32 s34, s2, s4
	v_cndmask_b32_e32 v1, s16, v4, vcc_lo
	v_cmp_gt_i32_e32 vcc_lo, s28, v2
	s_addc_u32 s35, s3, s5
	s_mul_i32 s2, s15, s18
	v_sub_nc_u16 v105, v140, v105
	v_ashrrev_i32_e32 v2, 31, v1
	v_cndmask_b32_e32 v3, s16, v3, vcc_lo
	s_ashr_i32 s3, s2, 31
	v_lshl_or_b32 v125, v141, 9, v106
	s_lshl_b64 s[2:3], s[2:3], 1
	v_lshlrev_b64 v[1:2], 2, v[1:2]
	v_ashrrev_i32_e32 v4, 31, v3
	s_add_u32 s24, s20, s2
	s_addc_u32 s25, s21, s3
	s_lshl_b32 s4, s14, 4
	v_and_b32_e32 v105, 0xff, v105
	v_lshlrev_b64 v[3:4], 2, v[3:4]
	v_add_co_u32 v1, vcc_lo, s34, v1
	v_add_co_ci_u32_e32 v2, vcc_lo, s35, v2, vcc_lo
	s_ashr_i32 s5, s4, 31
	s_delay_alu instid0(VALU_DEP_3) | instskip(NEXT) | instid1(VALU_DEP_4)
	v_add_co_u32 v3, vcc_lo, s34, v3
	v_add_co_ci_u32_e32 v4, vcc_lo, s35, v4, vcc_lo
	s_lshl_b64 s[4:5], s[4:5], 2
	s_clause 0x1
	global_load_b32 v5, v[1:2], off
	global_load_b32 v6, v[3:4], off
	s_add_u32 s4, s34, s4
	s_addc_u32 s5, s35, s5
	s_or_b32 s6, s29, 16
	v_lshlrev_b32_e32 v3, 4, v0
	s_ashr_i32 s7, s6, 4
	s_cmp_lt_i32 s6, s28
	v_lshlrev_b32_e32 v215, 6, v105
	s_cselect_b32 s6, s7, s16
	s_delay_alu instid0(SALU_CYCLE_1) | instskip(NEXT) | instid1(SALU_CYCLE_1)
	s_ashr_i32 s7, s6, 31
	s_lshl_b64 s[6:7], s[6:7], 2
	s_delay_alu instid0(SALU_CYCLE_1) | instskip(SKIP_2) | instid1(SALU_CYCLE_1)
	s_add_u32 s6, s34, s6
	s_addc_u32 s7, s35, s7
	s_or_b32 s8, s29, 32
	s_ashr_i32 s9, s8, 4
	s_cmp_lt_i32 s8, s28
	s_cselect_b32 s8, s9, s16
	s_delay_alu instid0(SALU_CYCLE_1) | instskip(NEXT) | instid1(SALU_CYCLE_1)
	s_ashr_i32 s9, s8, 31
	s_lshl_b64 s[8:9], s[8:9], 2
	s_delay_alu instid0(SALU_CYCLE_1) | instskip(SKIP_2) | instid1(SALU_CYCLE_1)
	s_add_u32 s8, s34, s8
	s_addc_u32 s9, s35, s9
	s_or_b32 s10, s29, 48
	s_ashr_i32 s11, s10, 4
	s_cmp_lt_i32 s10, s28
	s_cselect_b32 s10, s11, s16
	s_delay_alu instid0(SALU_CYCLE_1) | instskip(NEXT) | instid1(SALU_CYCLE_1)
	s_ashr_i32 s11, s10, 31
	s_lshl_b64 s[10:11], s[10:11], 2
	s_delay_alu instid0(SALU_CYCLE_1) | instskip(SKIP_2) | instid1(SALU_CYCLE_1)
	s_add_u32 s10, s34, s10
	s_addc_u32 s11, s35, s11
	s_or_b32 s12, s29, 64
	s_ashr_i32 s13, s12, 4
	s_cmp_lt_i32 s12, s28
	s_cselect_b32 s12, s13, s16
	s_delay_alu instid0(SALU_CYCLE_1) | instskip(NEXT) | instid1(SALU_CYCLE_1)
	s_ashr_i32 s13, s12, 31
	s_lshl_b64 s[12:13], s[12:13], 2
	s_delay_alu instid0(SALU_CYCLE_1) | instskip(SKIP_2) | instid1(SALU_CYCLE_1)
	s_add_u32 s18, s34, s12
	s_addc_u32 s19, s35, s13
	s_or_b32 s12, s29, 0x50
	s_ashr_i32 s13, s12, 4
	s_cmp_lt_i32 s12, s28
	s_cselect_b32 s12, s13, s16
	s_delay_alu instid0(SALU_CYCLE_1) | instskip(NEXT) | instid1(SALU_CYCLE_1)
	s_ashr_i32 s13, s12, 31
	s_lshl_b64 s[12:13], s[12:13], 2
	s_delay_alu instid0(SALU_CYCLE_1)
	s_add_u32 s20, s34, s12
	s_addc_u32 s21, s35, s13
	s_clause 0x5
	s_load_b32 s38, s[4:5], 0x0
	s_load_b32 s37, s[6:7], 0x0
	;; [unrolled: 1-line block ×6, first 2 shown]
	s_waitcnt vmcnt(1)
	v_mad_i64_i32 v[1:2], null, v5, s17, 0
	v_and_b32_e32 v5, 0xf0, v3
	s_waitcnt vmcnt(0)
	v_mad_i64_i32 v[3:4], null, v6, s17, 0
	s_delay_alu instid0(VALU_DEP_2) | instskip(NEXT) | instid1(VALU_DEP_4)
	v_add_co_u32 v5, s4, s24, v5
	v_lshlrev_b64 v[1:2], 1, v[1:2]
	v_add_co_ci_u32_e64 v6, null, s25, 0, s4
	s_delay_alu instid0(VALU_DEP_4) | instskip(SKIP_1) | instid1(VALU_DEP_3)
	v_lshlrev_b64 v[3:4], 1, v[3:4]
	s_or_b32 s4, s29, 0x60
	v_add_co_u32 v121, vcc_lo, v5, v1
	s_delay_alu instid0(VALU_DEP_3) | instskip(NEXT) | instid1(VALU_DEP_3)
	v_add_co_ci_u32_e32 v122, vcc_lo, v6, v2, vcc_lo
	v_add_co_u32 v123, vcc_lo, v5, v3
	s_delay_alu instid0(VALU_DEP_4)
	v_add_co_ci_u32_e32 v124, vcc_lo, v6, v4, vcc_lo
	s_clause 0x19
	global_load_b128 v[89:92], v[121:122], off
	global_load_b128 v[93:96], v[121:122], off offset:256
	global_load_b128 v[97:100], v[123:124], off
	global_load_b128 v[101:104], v[123:124], off offset:256
	global_load_b128 v[81:84], v[121:122], off offset:512
	global_load_b128 v[85:88], v[121:122], off offset:768
	global_load_b128 v[73:76], v[123:124], off offset:512
	global_load_b128 v[77:80], v[123:124], off offset:768
	global_load_b128 v[65:68], v[121:122], off offset:1024
	global_load_b128 v[69:72], v[121:122], off offset:1280
	global_load_b128 v[57:60], v[123:124], off offset:1024
	global_load_b128 v[61:64], v[123:124], off offset:1280
	global_load_b128 v[49:52], v[121:122], off offset:1536
	global_load_b128 v[53:56], v[121:122], off offset:1792
	global_load_b128 v[41:44], v[123:124], off offset:1536
	global_load_b128 v[45:48], v[123:124], off offset:1792
	global_load_b128 v[17:20], v[121:122], off offset:2048
	global_load_b128 v[21:24], v[121:122], off offset:2304
	global_load_b128 v[1:4], v[123:124], off offset:2048
	global_load_b128 v[5:8], v[123:124], off offset:2304
	global_load_b128 v[33:36], v[121:122], off offset:2560
	global_load_b128 v[37:40], v[121:122], off offset:2816
	global_load_b128 v[25:28], v[123:124], off offset:2560
	global_load_b128 v[29:32], v[123:124], off offset:2816
	global_load_b128 v[9:12], v[121:122], off offset:3072
	global_load_b128 v[13:16], v[121:122], off offset:3328
	s_ashr_i32 s5, s4, 4
	s_cmp_lt_i32 s4, s28
	ds_load_b128 v[105:108], v215
	ds_load_b128 v[109:112], v215 offset:1024
	s_cselect_b32 s4, s5, s16
	ds_load_b128 v[113:116], v215 offset:2048
	ds_load_b128 v[117:120], v215 offset:3072
	s_ashr_i32 s5, s4, 31
	ds_load_b128 v[143:146], v215 offset:4096
	ds_load_b128 v[147:150], v215 offset:5120
	s_lshl_b64 s[6:7], s[4:5], 2
	ds_load_b128 v[151:154], v215 offset:6144
	ds_load_b128 v[155:158], v215 offset:7168
	s_add_u32 s18, s34, s6
	s_addc_u32 s19, s35, s7
	s_or_b32 s5, s29, 0x70
	ds_load_b128 v[159:162], v215 offset:8192
	ds_load_b128 v[163:166], v215 offset:9216
	s_ashr_i32 s6, s5, 4
	s_cmp_lt_i32 s5, s28
	s_clause 0x1
	global_load_b128 v[167:170], v[123:124], off offset:3072
	global_load_b128 v[171:174], v[123:124], off offset:3328
	s_cselect_b32 s8, s6, s16
	s_mov_b32 s4, 0
	s_ashr_i32 s9, s8, 31
	s_mov_b32 s5, s4
	s_lshl_b64 s[8:9], s[8:9], 2
	s_mov_b32 s6, s4
	s_add_u32 s20, s34, s8
	s_addc_u32 s21, s35, s9
	s_clause 0x1
	s_load_b32 s44, s[18:19], 0x0
	s_load_b32 s45, s[20:21], 0x0
	s_clause 0x3
	global_load_b128 v[175:178], v[121:122], off offset:3584
	global_load_b128 v[179:182], v[121:122], off offset:3840
	;; [unrolled: 1-line block ×4, first 2 shown]
	s_or_b32 s8, s29, 0x80
	s_mov_b32 s7, s4
	s_ashr_i32 s9, s8, 4
	s_cmp_lt_i32 s8, s28
	s_mov_b32 s8, s4
	s_cselect_b32 s10, s9, s16
	s_mov_b32 s9, s4
	s_ashr_i32 s11, s10, 31
	s_delay_alu instid0(SALU_CYCLE_1)
	s_lshl_b64 s[24:25], s[10:11], 2
	s_mov_b32 s10, s4
	s_add_u32 s24, s34, s24
	s_addc_u32 s25, s35, s25
	s_or_b32 s11, s29, 0x90
	s_load_b32 s46, s[24:25], 0x0
	s_ashr_i32 s26, s11, 4
	s_cmp_lt_i32 s11, s28
	s_mov_b32 s11, s4
	s_cselect_b32 s26, s26, s16
	v_mov_b32_e32 v136, s11
	s_ashr_i32 s27, s26, 31
	v_dual_mov_b32 v135, s10 :: v_dual_mov_b32 v134, s9
	v_dual_mov_b32 v133, s8 :: v_dual_mov_b32 v132, s7
	v_dual_mov_b32 v131, s6 :: v_dual_mov_b32 v130, s5
	v_mov_b32_e32 v129, s4
	s_lshl_b64 s[4:5], s[26:27], 2
	s_waitcnt lgkmcnt(0)
	s_mul_hi_i32 s7, s37, s17
	s_add_u32 s26, s34, s4
	s_addc_u32 s27, s35, s5
	s_or_b32 s4, s29, 0xa0
	s_load_b32 s39, s[26:27], 0x0
	s_ashr_i32 s5, s4, 4
	s_cmp_lt_i32 s4, s28
	s_cselect_b32 s4, s5, s16
	s_delay_alu instid0(SALU_CYCLE_1) | instskip(NEXT) | instid1(SALU_CYCLE_1)
	s_ashr_i32 s5, s4, 31
	s_lshl_b64 s[4:5], s[4:5], 2
	s_delay_alu instid0(SALU_CYCLE_1)
	s_add_u32 s40, s34, s4
	s_addc_u32 s41, s35, s5
	s_or_b32 s4, s29, 0xb0
	s_mul_hi_i32 s5, s38, s17
	s_ashr_i32 s6, s4, 4
	s_cmp_lt_i32 s4, s28
	s_mul_i32 s4, s38, s17
	s_load_b32 s38, s[40:41], 0x0
	s_cselect_b32 s8, s6, s16
	s_mul_i32 s6, s37, s17
	s_ashr_i32 s9, s8, 31
	s_mul_hi_i32 s27, s46, s17
	s_lshl_b64 s[10:11], s[8:9], 2
	s_mul_hi_i32 s9, s36, s17
	s_add_u32 s42, s34, s10
	s_addc_u32 s43, s35, s11
	s_or_b32 s10, s29, 0xc0
	s_mul_i32 s8, s36, s17
	s_ashr_i32 s36, s10, 4
	s_cmp_lt_i32 s10, s28
	s_mul_i32 s26, s46, s17
	s_cselect_b32 s36, s36, s16
	s_mul_hi_i32 s11, s13, s17
	s_ashr_i32 s37, s36, 31
	s_mul_i32 s10, s13, s17
	s_lshl_b64 s[36:37], s[36:37], 2
	s_mul_hi_i32 s13, s12, s17
	s_add_u32 s20, s34, s36
	s_addc_u32 s21, s35, s37
	s_or_b32 s18, s29, 0xd0
	s_mul_i32 s12, s12, s17
	s_ashr_i32 s19, s18, 4
	s_cmp_lt_i32 s18, s28
	s_mul_i32 s18, s15, s17
	s_cselect_b32 s24, s19, s16
	s_mul_hi_i32 s19, s15, s17
	s_ashr_i32 s25, s24, 31
	s_waitcnt lgkmcnt(0)
	s_mul_hi_i32 s41, s39, s17
	s_lshl_b64 s[24:25], s[24:25], 2
	s_delay_alu instid0(SALU_CYCLE_1)
	s_add_u32 s24, s34, s24
	s_addc_u32 s25, s35, s25
	s_or_b32 s40, s29, 0xe0
	s_clause 0x2
	s_load_b32 s37, s[42:43], 0x0
	s_load_b32 s36, s[20:21], 0x0
	;; [unrolled: 1-line block ×3, first 2 shown]
	s_ashr_i32 s47, s40, 4
	s_cmp_lt_i32 s40, s28
	s_mul_hi_i32 s21, s44, s17
	s_cselect_b32 s42, s47, s16
	s_mul_i32 s20, s44, s17
	s_ashr_i32 s43, s42, 31
	s_mul_hi_i32 s25, s45, s17
	s_lshl_b64 s[42:43], s[42:43], 2
	s_mul_i32 s24, s45, s17
	s_add_u32 s42, s34, s42
	s_addc_u32 s43, s35, s43
	s_or_b32 s44, s29, 0xf0
	s_mul_i32 s40, s39, s17
	s_ashr_i32 s46, s44, 4
	s_cmp_lt_i32 s44, s28
	s_mul_hi_i32 s39, s38, s17
	s_cselect_b32 s46, s46, s16
	s_mul_i32 s38, s38, s17
	s_ashr_i32 s47, s46, 31
	s_waitcnt lgkmcnt(0)
	s_mul_hi_i32 s49, s15, s17
	s_lshl_b64 s[46:47], s[46:47], 2
	s_mul_i32 s48, s15, s17
	s_add_u32 s34, s34, s46
	s_addc_u32 s35, s35, s47
	s_add_u32 s15, s22, s2
	s_addc_u32 s16, s23, s3
	v_add_co_u32 v216, s15, s15, v125
	s_delay_alu instid0(VALU_DEP_1) | instskip(SKIP_2) | instid1(VALU_DEP_2)
	v_add_co_ci_u32_e64 v217, null, s16, 0, s15
	s_lshl_b64 s[2:3], s[4:5], 1
	s_lshl_b64 s[4:5], s[6:7], 1
	v_add_co_u32 v125, vcc_lo, v216, s2
	s_delay_alu instid0(VALU_DEP_2)
	v_add_co_ci_u32_e32 v126, vcc_lo, s3, v217, vcc_lo
	v_add_co_u32 v199, vcc_lo, v216, s4
	s_lshl_b64 s[6:7], s[8:9], 1
	v_add_co_ci_u32_e32 v200, vcc_lo, s5, v217, vcc_lo
	s_lshl_b64 s[8:9], s[10:11], 1
	s_lshl_b64 s[10:11], s[12:13], 1
	;; [unrolled: 1-line block ×8, first 2 shown]
	s_mul_hi_i32 s45, s37, s17
	s_mul_i32 s44, s37, s17
	s_mul_hi_i32 s37, s36, s17
	s_lshl_b64 s[38:39], s[44:45], 1
	s_mul_i32 s36, s36, s17
	s_clause 0x1
	s_load_b32 s15, s[42:43], 0x0
	s_load_b32 s16, s[34:35], 0x0
	s_lshl_b64 s[36:37], s[36:37], 1
	s_lshl_b64 s[40:41], s[48:49], 1
	s_waitcnt lgkmcnt(0)
	s_mul_hi_i32 s3, s15, s17
	s_mul_i32 s2, s15, s17
	s_mul_hi_i32 s5, s16, s17
	s_lshl_b64 s[2:3], s[2:3], 1
	s_mul_i32 s4, s16, s17
	s_waitcnt vmcnt(30)
	v_wmma_f32_16x16x16_bf16 v[191:198], v[89:96], v[105:112], v[129:136]
	v_add_co_u32 v89, vcc_lo, v216, s6
	v_add_co_ci_u32_e32 v90, vcc_lo, s7, v217, vcc_lo
	v_add_co_u32 v91, vcc_lo, v216, s8
	v_add_co_ci_u32_e32 v92, vcc_lo, s9, v217, vcc_lo
	;; [unrolled: 2-line block ×5, first 2 shown]
	v_add_co_u32 v205, vcc_lo, v216, s20
	s_waitcnt vmcnt(28)
	v_wmma_f32_16x16x16_bf16 v[129:136], v[97:104], v[105:112], v[129:136]
	v_add_co_ci_u32_e32 v206, vcc_lo, s21, v217, vcc_lo
	v_add_co_u32 v207, vcc_lo, v216, s22
	v_add_co_ci_u32_e32 v208, vcc_lo, s23, v217, vcc_lo
	v_add_co_u32 v209, vcc_lo, v216, s24
	s_waitcnt vmcnt(26)
	v_wmma_f32_16x16x16_bf16 v[191:198], v[81:88], v[113:120], v[191:198]
	s_waitcnt vmcnt(24)
	v_wmma_f32_16x16x16_bf16 v[129:136], v[73:80], v[113:120], v[129:136]
	v_add_co_ci_u32_e32 v210, vcc_lo, s25, v217, vcc_lo
	v_add_co_u32 v211, vcc_lo, v216, s26
	v_add_co_ci_u32_e32 v212, vcc_lo, s27, v217, vcc_lo
	v_add_co_u32 v213, vcc_lo, v216, s38
	s_waitcnt vmcnt(22)
	v_wmma_f32_16x16x16_bf16 v[191:198], v[65:72], v[143:150], v[191:198]
	s_waitcnt vmcnt(20)
	v_wmma_f32_16x16x16_bf16 v[129:136], v[57:64], v[143:150], v[129:136]
	v_add_co_ci_u32_e32 v214, vcc_lo, s39, v217, vcc_lo
	v_add_co_u32 v143, vcc_lo, v216, s36
	s_waitcnt vmcnt(18)
	v_wmma_f32_16x16x16_bf16 v[191:198], v[49:56], v[151:158], v[191:198]
	s_waitcnt vmcnt(16)
	v_wmma_f32_16x16x16_bf16 v[129:136], v[41:48], v[151:158], v[129:136]
	v_add_co_ci_u32_e32 v144, vcc_lo, s37, v217, vcc_lo
	s_clause 0x15
	global_load_b128 v[121:124], v[125:126], off
	global_load_b128 v[125:128], v[125:126], off offset:16
	global_load_b128 v[113:116], v[199:200], off
	global_load_b128 v[117:120], v[199:200], off offset:16
	;; [unrolled: 2-line block ×11, first 2 shown]
	s_waitcnt vmcnt(36)
	v_wmma_f32_16x16x16_bf16 v[191:198], v[17:24], v[159:166], v[191:198]
	s_clause 0x1
	global_load_b128 v[17:20], v[213:214], off
	global_load_b128 v[21:24], v[213:214], off offset:16
	s_waitcnt vmcnt(36)
	v_wmma_f32_16x16x16_bf16 v[129:136], v[1:8], v[159:166], v[129:136]
	s_clause 0x1
	global_load_b128 v[1:4], v[143:144], off
	global_load_b128 v[5:8], v[143:144], off offset:16
	ds_load_b128 v[143:146], v215 offset:10240
	ds_load_b128 v[147:150], v215 offset:11264
	;; [unrolled: 1-line block ×4, first 2 shown]
	v_add_co_u32 v199, vcc_lo, v216, s40
	v_add_co_ci_u32_e32 v200, vcc_lo, s41, v217, vcc_lo
	v_add_co_u32 v159, vcc_lo, v216, s2
	v_add_co_ci_u32_e32 v160, vcc_lo, s3, v217, vcc_lo
	s_lshl_b64 s[2:3], s[4:5], 1
	s_delay_alu instid0(SALU_CYCLE_1)
	v_add_co_u32 v161, vcc_lo, v216, s2
	v_add_co_ci_u32_e32 v162, vcc_lo, s3, v217, vcc_lo
	s_waitcnt vmcnt(36) lgkmcnt(2)
	v_wmma_f32_16x16x16_bf16 v[191:198], v[33:40], v[143:150], v[191:198]
	s_waitcnt vmcnt(34)
	v_wmma_f32_16x16x16_bf16 v[129:136], v[25:32], v[143:150], v[129:136]
	s_clause 0x3
	global_load_b128 v[25:28], v[199:200], off
	global_load_b128 v[29:32], v[199:200], off offset:16
	global_load_b128 v[33:36], v[159:160], off
	global_load_b128 v[37:40], v[159:160], off offset:16
	v_and_b32_e32 v143, 0xe0, v0
	v_mbcnt_lo_u32_b32 v159, -1, 0
	s_waitcnt vmcnt(36) lgkmcnt(0)
	v_wmma_f32_16x16x16_bf16 v[191:198], v[9:16], v[151:158], v[191:198]
	s_clause 0x1
	global_load_b128 v[9:12], v[161:162], off
	global_load_b128 v[13:16], v[161:162], off offset:16
	s_waitcnt vmcnt(36)
	v_wmma_f32_16x16x16_bf16 v[129:136], v[167:174], v[151:158], v[129:136]
	v_add_nc_u32_e32 v160, s29, v143
	ds_load_b128 v[143:146], v215 offset:14336
	ds_load_b128 v[147:150], v215 offset:15360
	v_xor_b32_e32 v151, 16, v159
	s_waitcnt vmcnt(0) lgkmcnt(0)
	s_barrier
	v_or_b32_e32 v152, v160, v138
	buffer_gl0_inv
	v_cmp_gt_i32_e32 vcc_lo, 32, v151
	v_or_b32_e32 v153, 2, v152
	v_or_b32_e32 v154, 4, v152
	;; [unrolled: 1-line block ×5, first 2 shown]
	v_cmp_gt_i32_e64 s2, s28, v153
	v_cmp_gt_i32_e64 s3, s28, v154
	;; [unrolled: 1-line block ×3, first 2 shown]
	v_or_b32_e32 v158, 12, v152
	v_cmp_gt_i32_e64 s5, s28, v156
	v_cmp_gt_i32_e64 s6, s28, v157
	v_wmma_f32_16x16x16_bf16 v[191:198], v[175:182], v[143:150], v[191:198]
	v_wmma_f32_16x16x16_bf16 v[129:136], v[183:190], v[143:150], v[129:136]
	v_cndmask_b32_e32 v151, v159, v151, vcc_lo
	v_cmp_gt_i32_e32 vcc_lo, s28, v152
	v_or_b32_e32 v159, 14, v152
	v_dual_mul_f32 v149, s33, v192 :: v_dual_mul_f32 v150, s33, v191
	v_dual_mul_f32 v147, s33, v194 :: v_dual_mul_f32 v148, s33, v193
	;; [unrolled: 1-line block ×3, first 2 shown]
	s_delay_alu instid0(VALU_DEP_3) | instskip(NEXT) | instid1(VALU_DEP_4)
	v_cndmask_b32_e32 v150, 0xff7fffff, v150, vcc_lo
	v_cndmask_b32_e64 v149, 0xff7fffff, v149, s2
	v_mul_f32_e32 v146, s33, v195
	v_cndmask_b32_e64 v148, 0xff7fffff, v148, s3
	v_cndmask_b32_e64 v147, 0xff7fffff, v147, s4
	v_or_b32_e32 v160, 16, v152
	v_max3_f32 v149, v150, 0xff7fffff, v149
	v_or_b32_e32 v161, 18, v152
	v_dual_mul_f32 v143, s33, v198 :: v_dual_mul_f32 v144, s33, v197
	v_cndmask_b32_e64 v146, 0xff7fffff, v146, s5
	v_cndmask_b32_e64 v145, 0xff7fffff, v145, s6
	v_max3_f32 v147, v149, v148, v147
	v_cmp_gt_i32_e64 s7, s28, v158
	v_cmp_gt_i32_e64 s8, s28, v159
	v_or_b32_e32 v162, 20, v152
	v_or_b32_e32 v163, 22, v152
	v_mul_f32_e32 v175, s33, v129
	v_cndmask_b32_e64 v144, 0xff7fffff, v144, s7
	v_cndmask_b32_e64 v143, 0xff7fffff, v143, s8
	v_max3_f32 v145, v147, v146, v145
	v_cmp_gt_i32_e64 s9, s28, v160
	v_cmp_gt_i32_e64 s10, s28, v161
	v_or_b32_e32 v164, 24, v152
	v_or_b32_e32 v165, 26, v152
	v_dual_mul_f32 v172, s33, v132 :: v_dual_mul_f32 v173, s33, v131
	v_cndmask_b32_e64 v146, 0xff7fffff, v175, s9
	v_cndmask_b32_e64 v147, 0xff7fffff, v174, s10
	v_max3_f32 v143, v145, v144, v143
	v_cmp_gt_i32_e64 s11, s28, v162
	v_cmp_gt_i32_e64 s12, s28, v163
	v_or_b32_e32 v166, 28, v152
	v_or_b32_e32 v167, 30, v152
	v_dual_mul_f32 v170, s33, v134 :: v_dual_mul_f32 v171, s33, v133
	v_cndmask_b32_e64 v144, 0xff7fffff, v173, s11
	v_cndmask_b32_e64 v145, 0xff7fffff, v172, s12
	v_max3_f32 v143, v143, v146, v147
	v_cmp_gt_i32_e64 s13, s28, v164
	v_cmp_gt_i32_e64 s15, s28, v165
	v_dual_mul_f32 v168, s33, v136 :: v_dual_mul_f32 v169, s33, v135
	s_delay_alu instid0(VALU_DEP_4) | instskip(NEXT) | instid1(VALU_DEP_4)
	v_max3_f32 v143, v143, v144, v145
	v_cndmask_b32_e64 v146, 0xff7fffff, v171, s13
	s_delay_alu instid0(VALU_DEP_4) | instskip(SKIP_3) | instid1(VALU_DEP_4)
	v_cndmask_b32_e64 v147, 0xff7fffff, v170, s15
	v_cmp_gt_i32_e64 s16, s28, v166
	v_cmp_gt_i32_e64 s17, s28, v167
	v_lshlrev_b32_e32 v154, 2, v151
	v_max3_f32 v143, v143, v146, v147
	s_delay_alu instid0(VALU_DEP_4) | instskip(NEXT) | instid1(VALU_DEP_4)
	v_cndmask_b32_e64 v144, 0xff7fffff, v169, s16
	v_cndmask_b32_e64 v145, 0xff7fffff, v168, s17
	s_delay_alu instid0(VALU_DEP_1) | instskip(SKIP_3) | instid1(VALU_DEP_1)
	v_max3_f32 v143, v143, v144, v145
	ds_bpermute_b32 v144, v154, v143
	s_waitcnt lgkmcnt(0)
	v_max_f32_e32 v144, v144, v144
	v_max_f32_e32 v153, v143, v144
	s_delay_alu instid0(VALU_DEP_1) | instskip(SKIP_4) | instid1(VALU_DEP_4)
	v_fma_f32 v143, s33, v191, -v153
	v_fma_f32 v144, s33, v192, -v153
	;; [unrolled: 1-line block ×5, first 2 shown]
	v_dual_mul_f32 v143, 0x3fb8aa3b, v143 :: v_dual_mul_f32 v144, 0x3fb8aa3b, v144
	s_delay_alu instid0(VALU_DEP_4) | instskip(SKIP_2) | instid1(VALU_DEP_4)
	v_mul_f32_e32 v130, 0x3fb8aa3b, v130
	v_fma_f32 v132, s33, v132, -v153
	v_mul_f32_e32 v145, 0x3fb8aa3b, v145
	v_exp_f32_e32 v143, v143
	v_exp_f32_e32 v147, v144
	v_fma_f32 v148, s33, v195, -v153
	v_mul_f32_e32 v132, 0x3fb8aa3b, v132
	v_mul_f32_e32 v146, 0x3fb8aa3b, v146
	v_exp_f32_e32 v145, v145
	v_fma_f32 v151, s33, v197, -v153
	v_mul_f32_e32 v148, 0x3fb8aa3b, v148
	v_fma_f32 v134, s33, v134, -v153
	v_exp_f32_e32 v149, v146
	v_cndmask_b32_e32 v144, 0, v143, vcc_lo
	v_fma_f32 v143, s33, v196, -v153
	v_cndmask_b32_e64 v146, 0, v147, s2
	v_exp_f32_e32 v148, v148
	s_delay_alu instid0(VALU_DEP_3) | instskip(NEXT) | instid1(VALU_DEP_3)
	v_dual_mul_f32 v151, 0x3fb8aa3b, v151 :: v_dual_add_f32 v150, 0, v144
	v_dual_mul_f32 v143, 0x3fb8aa3b, v143 :: v_dual_mul_f32 v134, 0x3fb8aa3b, v134
	v_cndmask_b32_e64 v147, 0, v145, s3
	s_delay_alu instid0(TRANS32_DEP_2) | instskip(NEXT) | instid1(VALU_DEP_4)
	v_cndmask_b32_e64 v149, 0, v149, s4
	v_add_f32_e32 v145, v150, v146
	v_fma_f32 v150, s33, v198, -v153
	v_exp_f32_e32 v143, v143
	v_fma_f32 v129, s33, v129, -v153
	v_exp_f32_e32 v155, v151
	s_delay_alu instid0(VALU_DEP_2) | instskip(SKIP_1) | instid1(VALU_DEP_3)
	v_dual_add_f32 v145, v145, v147 :: v_dual_mul_f32 v152, 0x3fb8aa3b, v150
	v_cndmask_b32_e64 v150, 0, v148, s5
	v_mul_f32_e32 v129, 0x3fb8aa3b, v129
	v_fma_f32 v131, s33, v131, -v153
	s_delay_alu instid0(VALU_DEP_4) | instskip(SKIP_1) | instid1(TRANS32_DEP_3)
	v_add_f32_e32 v145, v145, v149
	v_exp_f32_e32 v152, v152
	v_cndmask_b32_e64 v151, 0, v143, s6
	v_exp_f32_e32 v129, v129
	s_delay_alu instid0(TRANS32_DEP_3)
	v_cndmask_b32_e64 v148, 0, v155, s7
	v_add_f32_e32 v143, v145, v150
	v_mul_f32_e32 v131, 0x3fb8aa3b, v131
	v_exp_f32_e32 v130, v130
	v_fma_f32 v133, s33, v133, -v153
	v_fma_f32 v136, s33, v136, -v153
	v_add_f32_e32 v143, v143, v151
	v_cndmask_b32_e64 v152, 0, v152, s8
	v_exp_f32_e32 v145, v131
	v_cndmask_b32_e64 v131, 0, v129, s9
	v_mul_f32_e32 v133, 0x3fb8aa3b, v133
	v_add_f32_e32 v143, v143, v148
	v_cmp_gt_u32_e64 s2, 16, v142
	s_delay_alu instid0(VALU_DEP_2)
	v_add_f32_e32 v129, v143, v152
	v_exp_f32_e32 v143, v132
	v_cndmask_b32_e64 v132, 0, v130, s10
	v_fma_f32 v130, s33, v135, -v153
	v_exp_f32_e32 v135, v133
	v_add_f32_e32 v129, v129, v131
	v_cndmask_b32_e64 v133, 0, v145, s11
	v_exp_f32_e32 v145, v134
	s_delay_alu instid0(VALU_DEP_2) | instskip(NEXT) | instid1(TRANS32_DEP_3)
	v_dual_mul_f32 v130, 0x3fb8aa3b, v130 :: v_dual_add_f32 v129, v129, v132
	v_cndmask_b32_e64 v134, 0, v143, s12
	v_mul_f32_e32 v143, 0x3fb8aa3b, v136
	s_delay_alu instid0(VALU_DEP_3) | instskip(NEXT) | instid1(TRANS32_DEP_3)
	v_exp_f32_e32 v130, v130
	v_cndmask_b32_e64 v135, 0, v135, s13
	v_add_f32_e32 v129, v129, v133
	s_delay_alu instid0(TRANS32_DEP_2) | instskip(SKIP_1) | instid1(VALU_DEP_2)
	v_cndmask_b32_e64 v136, 0, v145, s15
	v_exp_f32_e32 v145, v143
	v_add_f32_e32 v129, v129, v134
	s_waitcnt_depctr 0xfff
	v_cndmask_b32_e64 v143, 0, v130, s16
	v_add_f32_e32 v129, v129, v135
	v_cndmask_b32_e64 v145, 0, v145, s17
	s_delay_alu instid0(VALU_DEP_2) | instskip(NEXT) | instid1(VALU_DEP_1)
	v_add_f32_e32 v129, v129, v136
	v_add_f32_e32 v129, v129, v143
	s_delay_alu instid0(VALU_DEP_1)
	v_add_f32_e32 v129, v129, v145
	ds_bpermute_b32 v130, v154, v129
	s_and_saveexec_b32 s3, s2
	s_cbranch_execz .LBB632_12
; %bb.11:
	v_mul_u32_u24_e32 v142, 0x44, v141
	s_waitcnt lgkmcnt(0)
	v_add_f32_e32 v129, v129, v130
	s_delay_alu instid0(VALU_DEP_2) | instskip(NEXT) | instid1(VALU_DEP_1)
	v_lshl_add_u32 v142, v140, 2, v142
	v_add_nc_u32_e32 v130, 0x4000, v142
	ds_store_2addr_b32 v130, v153, v129 offset1:136
.LBB632_12:
	s_or_b32 exec_lo, exec_lo, s3
	v_lshlrev_b32_e32 v129, 2, v140
	s_waitcnt lgkmcnt(0)
	s_barrier
	buffer_gl0_inv
	v_cmp_eq_u32_e64 s3, 1, v141
	v_add_nc_u32_e32 v142, 0x4000, v129
	ds_load_2addr_b32 v[153:154], v142 offset1:17
	ds_load_2addr_b32 v[155:156], v142 offset0:34 offset1:51
	ds_load_2addr_b32 v[157:158], v142 offset0:68 offset1:85
	;; [unrolled: 1-line block ×4, first 2 shown]
	s_waitcnt lgkmcnt(4)
	v_max3_f32 v129, v153, 0xff7fffff, v154
	s_waitcnt lgkmcnt(3)
	s_delay_alu instid0(VALU_DEP_1) | instskip(SKIP_1) | instid1(VALU_DEP_1)
	v_max3_f32 v129, v129, v155, v156
	s_waitcnt lgkmcnt(2)
	v_max3_f32 v129, v129, v157, v158
	s_waitcnt lgkmcnt(1)
	s_delay_alu instid0(VALU_DEP_1) | instskip(NEXT) | instid1(VALU_DEP_1)
	v_max3_f32 v129, v129, v159, v160
	v_sub_f32_e32 v163, v154, v129
	v_sub_f32_e32 v130, v153, v129
	ds_load_2addr_b32 v[153:154], v142 offset0:170 offset1:187
	v_sub_f32_e32 v155, v155, v129
	v_dual_mul_f32 v163, 0x3fb8aa3b, v163 :: v_dual_mul_f32 v130, 0x3fb8aa3b, v130
	s_delay_alu instid0(VALU_DEP_2) | instskip(NEXT) | instid1(VALU_DEP_2)
	v_mul_f32_e32 v165, 0x3fb8aa3b, v155
	v_exp_f32_e32 v163, v163
	s_delay_alu instid0(VALU_DEP_2)
	v_exp_f32_e32 v164, v130
	v_sub_f32_e32 v130, v156, v129
	ds_load_2addr_b32 v[155:156], v142 offset0:204 offset1:221
	v_exp_f32_e32 v165, v165
	v_mul_f32_e32 v166, 0x3fb8aa3b, v130
	s_waitcnt lgkmcnt(2)
	v_fma_f32 v130, v164, v161, 0
	v_sub_f32_e32 v157, v157, v129
	s_delay_alu instid0(VALU_DEP_3) | instskip(NEXT) | instid1(VALU_DEP_2)
	v_exp_f32_e32 v166, v166
	v_dual_sub_f32 v161, v158, v129 :: v_dual_fmac_f32 v130, v163, v162
	s_waitcnt lgkmcnt(1)
	s_waitcnt_depctr 0xfff
	v_fmac_f32_e32 v130, v165, v153
	v_mul_f32_e32 v167, 0x3fb8aa3b, v157
	ds_load_2addr_b32 v[157:158], v142 offset0:238 offset1:255
	v_sub_f32_e32 v142, v159, v129
	v_dual_sub_f32 v153, v160, v129 :: v_dual_fmac_f32 v130, v166, v154
	v_mul_f32_e32 v159, 0x3fb8aa3b, v161
	v_exp_f32_e32 v161, v167
	s_delay_alu instid0(VALU_DEP_2)
	v_dual_mul_f32 v142, 0x3fb8aa3b, v142 :: v_dual_mul_f32 v153, 0x3fb8aa3b, v153
	s_waitcnt lgkmcnt(0)
	s_barrier
	buffer_gl0_inv
	v_exp_f32_e32 v142, v142
	v_exp_f32_e32 v153, v153
	v_fmac_f32_e32 v130, v161, v155
	v_exp_f32_e32 v159, v159
	s_waitcnt_depctr 0xfff
	v_fmac_f32_e32 v130, v159, v156
	s_delay_alu instid0(VALU_DEP_1) | instskip(NEXT) | instid1(VALU_DEP_1)
	v_fmac_f32_e32 v130, v142, v157
	v_fmac_f32_e32 v130, v153, v158
	s_delay_alu instid0(VALU_DEP_1) | instskip(NEXT) | instid1(VALU_DEP_1)
	v_add_f32_e32 v154, 0x358637bd, v130
	v_div_scale_f32 v155, null, v154, v154, 1.0
	v_div_scale_f32 v158, vcc_lo, 1.0, v154, 1.0
	s_delay_alu instid0(VALU_DEP_2) | instskip(SKIP_2) | instid1(VALU_DEP_1)
	v_rcp_f32_e32 v156, v155
	s_waitcnt_depctr 0xfff
	v_fma_f32 v157, -v155, v156, 1.0
	v_fmac_f32_e32 v156, v157, v156
	v_cndmask_b32_e64 v157, v164, v163, s3
	v_cmp_eq_u32_e64 s3, 2, v141
	s_delay_alu instid0(VALU_DEP_3) | instskip(NEXT) | instid1(VALU_DEP_2)
	v_mul_f32_e32 v160, v158, v156
	v_cndmask_b32_e64 v157, v157, v165, s3
	v_cmp_eq_u32_e64 s3, 3, v141
	s_delay_alu instid0(VALU_DEP_3) | instskip(NEXT) | instid1(VALU_DEP_2)
	v_fma_f32 v162, -v155, v160, v158
	v_cndmask_b32_e64 v157, v157, v166, s3
	v_cmp_eq_u32_e64 s3, 4, v141
	s_delay_alu instid0(VALU_DEP_3) | instskip(NEXT) | instid1(VALU_DEP_2)
	v_fmac_f32_e32 v160, v162, v156
	v_cndmask_b32_e64 v157, v157, v161, s3
	s_delay_alu instid0(VALU_DEP_2) | instskip(SKIP_1) | instid1(VALU_DEP_2)
	v_fma_f32 v155, -v155, v160, v158
	v_cmp_eq_u32_e64 s3, 5, v141
	v_div_fmas_f32 v155, v155, v156, v160
	s_delay_alu instid0(VALU_DEP_2) | instskip(SKIP_2) | instid1(VALU_DEP_3)
	v_cndmask_b32_e64 v157, v157, v159, s3
	v_cmp_eq_u32_e32 vcc_lo, 6, v141
	s_mov_b32 s3, exec_lo
	v_div_fixup_f32 v154, v155, v154, 1.0
	s_delay_alu instid0(VALU_DEP_3) | instskip(SKIP_1) | instid1(VALU_DEP_2)
	v_cndmask_b32_e32 v142, v157, v142, vcc_lo
	v_cmp_eq_u32_e32 vcc_lo, 7, v141
	v_cndmask_b32_e32 v142, v142, v153, vcc_lo
	s_delay_alu instid0(VALU_DEP_1) | instskip(NEXT) | instid1(VALU_DEP_1)
	v_mul_f32_e32 v142, v142, v154
	v_mul_f32_e32 v153, v142, v149
	;; [unrolled: 1-line block ×7, first 2 shown]
	v_dual_mul_f32 v150, v142, v147 :: v_dual_and_b32 v155, 0x7f800000, v154
	v_mul_f32_e32 v149, v142, v146
                                        ; implicit-def: $vgpr146
	s_delay_alu instid0(VALU_DEP_2)
	v_cmpx_ne_u32_e32 0x7f800000, v155
	s_xor_b32 s3, exec_lo, s3
; %bb.13:
	v_bfe_u32 v146, v154, 16, 1
	s_delay_alu instid0(VALU_DEP_1)
	v_add3_u32 v146, v154, v146, 0x7fff
                                        ; implicit-def: $vgpr154
; %bb.14:
	s_and_not1_saveexec_b32 s3, s3
; %bb.15:
	v_and_b32_e32 v146, 0xffff, v154
	v_or_b32_e32 v147, 0x10000, v154
	s_delay_alu instid0(VALU_DEP_2) | instskip(NEXT) | instid1(VALU_DEP_2)
	v_cmp_eq_u32_e32 vcc_lo, 0, v146
	v_cndmask_b32_e32 v146, v147, v154, vcc_lo
; %bb.16:
	s_or_b32 exec_lo, exec_lo, s3
	v_and_b32_e32 v147, 0x7f800000, v149
	s_delay_alu instid0(VALU_DEP_1) | instskip(SKIP_1) | instid1(SALU_CYCLE_1)
	v_cmp_ne_u32_e32 vcc_lo, 0x7f800000, v147
                                        ; implicit-def: $vgpr147
	s_and_saveexec_b32 s3, vcc_lo
	s_xor_b32 s3, exec_lo, s3
; %bb.17:
	v_bfe_u32 v147, v149, 16, 1
	s_delay_alu instid0(VALU_DEP_1)
	v_add3_u32 v147, v149, v147, 0x7fff
                                        ; implicit-def: $vgpr149
; %bb.18:
	s_and_not1_saveexec_b32 s3, s3
; %bb.19:
	v_and_b32_e32 v147, 0xffff, v149
	v_or_b32_e32 v154, 0x10000, v149
	s_delay_alu instid0(VALU_DEP_2) | instskip(NEXT) | instid1(VALU_DEP_2)
	v_cmp_eq_u32_e32 vcc_lo, 0, v147
	v_cndmask_b32_e32 v147, v154, v149, vcc_lo
; %bb.20:
	s_or_b32 exec_lo, exec_lo, s3
	v_and_b32_e32 v149, 0x7f800000, v150
	s_delay_alu instid0(VALU_DEP_1) | instskip(SKIP_1) | instid1(SALU_CYCLE_1)
	v_cmp_ne_u32_e32 vcc_lo, 0x7f800000, v149
                                        ; implicit-def: $vgpr149
	s_and_saveexec_b32 s3, vcc_lo
	s_xor_b32 s3, exec_lo, s3
; %bb.21:
	v_bfe_u32 v149, v150, 16, 1
	s_delay_alu instid0(VALU_DEP_1)
	v_add3_u32 v149, v150, v149, 0x7fff
                                        ; implicit-def: $vgpr150
; %bb.22:
	s_and_not1_saveexec_b32 s3, s3
; %bb.23:
	v_and_b32_e32 v149, 0xffff, v150
	v_or_b32_e32 v154, 0x10000, v150
	s_delay_alu instid0(VALU_DEP_2) | instskip(NEXT) | instid1(VALU_DEP_2)
	v_cmp_eq_u32_e32 vcc_lo, 0, v149
	v_cndmask_b32_e32 v149, v154, v150, vcc_lo
; %bb.24:
	s_or_b32 exec_lo, exec_lo, s3
	v_and_b32_e32 v150, 0x7f800000, v153
	s_delay_alu instid0(VALU_DEP_1) | instskip(SKIP_1) | instid1(SALU_CYCLE_1)
	v_cmp_ne_u32_e32 vcc_lo, 0x7f800000, v150
                                        ; implicit-def: $vgpr150
	s_and_saveexec_b32 s3, vcc_lo
	s_xor_b32 s3, exec_lo, s3
; %bb.25:
	v_bfe_u32 v150, v153, 16, 1
	s_delay_alu instid0(VALU_DEP_1)
	v_add3_u32 v150, v153, v150, 0x7fff
                                        ; implicit-def: $vgpr153
; %bb.26:
	s_and_not1_saveexec_b32 s3, s3
; %bb.27:
	v_and_b32_e32 v150, 0xffff, v153
	v_or_b32_e32 v154, 0x10000, v153
	s_delay_alu instid0(VALU_DEP_2) | instskip(NEXT) | instid1(VALU_DEP_2)
	v_cmp_eq_u32_e32 vcc_lo, 0, v150
	v_cndmask_b32_e32 v150, v154, v153, vcc_lo
; %bb.28:
	s_or_b32 exec_lo, exec_lo, s3
	v_and_b32_e32 v153, 0x7f800000, v152
	s_delay_alu instid0(VALU_DEP_1) | instskip(SKIP_1) | instid1(SALU_CYCLE_1)
	v_cmp_ne_u32_e32 vcc_lo, 0x7f800000, v153
                                        ; implicit-def: $vgpr153
	s_and_saveexec_b32 s3, vcc_lo
	s_xor_b32 s3, exec_lo, s3
; %bb.29:
	v_bfe_u32 v153, v152, 16, 1
	s_delay_alu instid0(VALU_DEP_1)
	v_add3_u32 v153, v152, v153, 0x7fff
                                        ; implicit-def: $vgpr152
; %bb.30:
	s_and_not1_saveexec_b32 s3, s3
; %bb.31:
	v_and_b32_e32 v153, 0xffff, v152
	v_or_b32_e32 v154, 0x10000, v152
	s_delay_alu instid0(VALU_DEP_2) | instskip(NEXT) | instid1(VALU_DEP_2)
	v_cmp_eq_u32_e32 vcc_lo, 0, v153
	v_cndmask_b32_e32 v153, v154, v152, vcc_lo
; %bb.32:
	s_or_b32 exec_lo, exec_lo, s3
	v_and_b32_e32 v152, 0x7f800000, v151
	s_delay_alu instid0(VALU_DEP_1) | instskip(SKIP_1) | instid1(SALU_CYCLE_1)
	v_cmp_ne_u32_e32 vcc_lo, 0x7f800000, v152
                                        ; implicit-def: $vgpr152
	s_and_saveexec_b32 s3, vcc_lo
	s_xor_b32 s3, exec_lo, s3
; %bb.33:
	v_bfe_u32 v152, v151, 16, 1
	s_delay_alu instid0(VALU_DEP_1)
	v_add3_u32 v152, v151, v152, 0x7fff
                                        ; implicit-def: $vgpr151
; %bb.34:
	s_and_not1_saveexec_b32 s3, s3
; %bb.35:
	v_and_b32_e32 v152, 0xffff, v151
	v_or_b32_e32 v154, 0x10000, v151
	s_delay_alu instid0(VALU_DEP_2) | instskip(NEXT) | instid1(VALU_DEP_2)
	v_cmp_eq_u32_e32 vcc_lo, 0, v152
	v_cndmask_b32_e32 v152, v154, v151, vcc_lo
; %bb.36:
	s_or_b32 exec_lo, exec_lo, s3
	v_and_b32_e32 v151, 0x7f800000, v148
	s_delay_alu instid0(VALU_DEP_1) | instskip(SKIP_1) | instid1(SALU_CYCLE_1)
	v_cmp_ne_u32_e32 vcc_lo, 0x7f800000, v151
                                        ; implicit-def: $vgpr151
	s_and_saveexec_b32 s3, vcc_lo
	s_xor_b32 s3, exec_lo, s3
; %bb.37:
	v_bfe_u32 v151, v148, 16, 1
	s_delay_alu instid0(VALU_DEP_1)
	v_add3_u32 v151, v148, v151, 0x7fff
                                        ; implicit-def: $vgpr148
; %bb.38:
	s_and_not1_saveexec_b32 s3, s3
; %bb.39:
	v_and_b32_e32 v151, 0xffff, v148
	v_or_b32_e32 v154, 0x10000, v148
	s_delay_alu instid0(VALU_DEP_2) | instskip(NEXT) | instid1(VALU_DEP_2)
	v_cmp_eq_u32_e32 vcc_lo, 0, v151
	v_cndmask_b32_e32 v151, v154, v148, vcc_lo
; %bb.40:
	s_or_b32 exec_lo, exec_lo, s3
	v_and_b32_e32 v148, 0x7f800000, v144
	s_delay_alu instid0(VALU_DEP_1) | instskip(SKIP_1) | instid1(SALU_CYCLE_1)
	v_cmp_ne_u32_e32 vcc_lo, 0x7f800000, v148
                                        ; implicit-def: $vgpr148
	s_and_saveexec_b32 s3, vcc_lo
	s_xor_b32 s3, exec_lo, s3
; %bb.41:
	v_bfe_u32 v148, v144, 16, 1
	s_delay_alu instid0(VALU_DEP_1)
	v_add3_u32 v148, v144, v148, 0x7fff
                                        ; implicit-def: $vgpr144
; %bb.42:
	s_and_not1_saveexec_b32 s3, s3
; %bb.43:
	v_and_b32_e32 v148, 0xffff, v144
	v_or_b32_e32 v154, 0x10000, v144
	s_delay_alu instid0(VALU_DEP_2) | instskip(NEXT) | instid1(VALU_DEP_2)
	v_cmp_eq_u32_e32 vcc_lo, 0, v148
	v_cndmask_b32_e32 v148, v154, v144, vcc_lo
; %bb.44:
	s_or_b32 exec_lo, exec_lo, s3
	s_load_b64 s[34:35], s[0:1], 0x94
	v_lshlrev_b32_e32 v155, 4, v138
	s_delay_alu instid0(VALU_DEP_2)
	v_perm_b32 v154, v148, v151, 0x7060302
	v_mul_f32_e32 v148, v142, v131
	v_dual_mul_f32 v145, v142, v145 :: v_dual_lshlrev_b32 v144, 6, v140
	v_dual_mul_f32 v143, v142, v143 :: v_dual_lshlrev_b32 v156, 11, v141
	v_perm_b32 v153, v152, v153, 0x7060302
	v_perm_b32 v152, v150, v149, 0x7060302
	;; [unrolled: 1-line block ×3, first 2 shown]
	s_delay_alu instid0(VALU_DEP_4)
	v_or3_b32 v131, v155, v156, v144
	v_mul_f32_e32 v136, v142, v136
	v_dual_mul_f32 v146, v142, v134 :: v_dual_and_b32 v149, 0x7f800000, v148
	v_mul_f32_e32 v135, v142, v135
	v_mul_f32_e32 v147, v142, v133
	v_mul_f32_e32 v134, v142, v132
	s_mov_b32 s3, exec_lo
	ds_store_b128 v131, v[151:154]
                                        ; implicit-def: $vgpr132
	v_cmpx_ne_u32_e32 0x7f800000, v149
	s_xor_b32 s3, exec_lo, s3
; %bb.45:
	v_bfe_u32 v132, v148, 16, 1
	s_delay_alu instid0(VALU_DEP_1)
	v_add3_u32 v132, v148, v132, 0x7fff
                                        ; implicit-def: $vgpr148
; %bb.46:
	s_and_not1_saveexec_b32 s3, s3
; %bb.47:
	v_and_b32_e32 v132, 0xffff, v148
	v_or_b32_e32 v133, 0x10000, v148
	s_delay_alu instid0(VALU_DEP_2) | instskip(NEXT) | instid1(VALU_DEP_2)
	v_cmp_eq_u32_e32 vcc_lo, 0, v132
	v_cndmask_b32_e32 v132, v133, v148, vcc_lo
; %bb.48:
	s_or_b32 exec_lo, exec_lo, s3
	v_and_b32_e32 v133, 0x7f800000, v134
	s_delay_alu instid0(VALU_DEP_1) | instskip(SKIP_1) | instid1(SALU_CYCLE_1)
	v_cmp_ne_u32_e32 vcc_lo, 0x7f800000, v133
                                        ; implicit-def: $vgpr133
	s_and_saveexec_b32 s3, vcc_lo
	s_xor_b32 s3, exec_lo, s3
; %bb.49:
	v_bfe_u32 v133, v134, 16, 1
	s_delay_alu instid0(VALU_DEP_1)
	v_add3_u32 v133, v134, v133, 0x7fff
                                        ; implicit-def: $vgpr134
; %bb.50:
	s_and_not1_saveexec_b32 s3, s3
; %bb.51:
	v_and_b32_e32 v133, 0xffff, v134
	v_or_b32_e32 v142, 0x10000, v134
	s_delay_alu instid0(VALU_DEP_2) | instskip(NEXT) | instid1(VALU_DEP_2)
	v_cmp_eq_u32_e32 vcc_lo, 0, v133
	v_cndmask_b32_e32 v133, v142, v134, vcc_lo
; %bb.52:
	s_or_b32 exec_lo, exec_lo, s3
	v_and_b32_e32 v134, 0x7f800000, v147
	s_delay_alu instid0(VALU_DEP_1) | instskip(SKIP_1) | instid1(SALU_CYCLE_1)
	v_cmp_ne_u32_e32 vcc_lo, 0x7f800000, v134
                                        ; implicit-def: $vgpr134
	s_and_saveexec_b32 s3, vcc_lo
	s_xor_b32 s3, exec_lo, s3
; %bb.53:
	v_bfe_u32 v134, v147, 16, 1
	s_delay_alu instid0(VALU_DEP_1)
	v_add3_u32 v134, v147, v134, 0x7fff
                                        ; implicit-def: $vgpr147
; %bb.54:
	s_and_not1_saveexec_b32 s3, s3
; %bb.55:
	v_and_b32_e32 v134, 0xffff, v147
	v_or_b32_e32 v142, 0x10000, v147
	s_delay_alu instid0(VALU_DEP_2) | instskip(NEXT) | instid1(VALU_DEP_2)
	v_cmp_eq_u32_e32 vcc_lo, 0, v134
	v_cndmask_b32_e32 v134, v142, v147, vcc_lo
; %bb.56:
	s_or_b32 exec_lo, exec_lo, s3
	v_and_b32_e32 v142, 0x7f800000, v146
	s_delay_alu instid0(VALU_DEP_1) | instskip(SKIP_1) | instid1(SALU_CYCLE_1)
	v_cmp_ne_u32_e32 vcc_lo, 0x7f800000, v142
                                        ; implicit-def: $vgpr142
	s_and_saveexec_b32 s3, vcc_lo
	s_xor_b32 s3, exec_lo, s3
; %bb.57:
	v_bfe_u32 v142, v146, 16, 1
	s_delay_alu instid0(VALU_DEP_1)
	v_add3_u32 v142, v146, v142, 0x7fff
                                        ; implicit-def: $vgpr146
; %bb.58:
	s_and_not1_saveexec_b32 s3, s3
; %bb.59:
	v_and_b32_e32 v142, 0xffff, v146
	v_or_b32_e32 v147, 0x10000, v146
	s_delay_alu instid0(VALU_DEP_2) | instskip(NEXT) | instid1(VALU_DEP_2)
	v_cmp_eq_u32_e32 vcc_lo, 0, v142
	v_cndmask_b32_e32 v142, v147, v146, vcc_lo
; %bb.60:
	s_or_b32 exec_lo, exec_lo, s3
	v_and_b32_e32 v146, 0x7f800000, v135
	s_delay_alu instid0(VALU_DEP_1) | instskip(SKIP_1) | instid1(SALU_CYCLE_1)
	v_cmp_ne_u32_e32 vcc_lo, 0x7f800000, v146
                                        ; implicit-def: $vgpr146
	s_and_saveexec_b32 s3, vcc_lo
	s_xor_b32 s3, exec_lo, s3
; %bb.61:
	v_bfe_u32 v146, v135, 16, 1
	s_delay_alu instid0(VALU_DEP_1)
	v_add3_u32 v146, v135, v146, 0x7fff
                                        ; implicit-def: $vgpr135
; %bb.62:
	s_and_not1_saveexec_b32 s3, s3
; %bb.63:
	v_and_b32_e32 v146, 0xffff, v135
	v_or_b32_e32 v147, 0x10000, v135
	s_delay_alu instid0(VALU_DEP_2) | instskip(NEXT) | instid1(VALU_DEP_2)
	v_cmp_eq_u32_e32 vcc_lo, 0, v146
	v_cndmask_b32_e32 v146, v147, v135, vcc_lo
; %bb.64:
	s_or_b32 exec_lo, exec_lo, s3
	v_and_b32_e32 v135, 0x7f800000, v136
	s_delay_alu instid0(VALU_DEP_1) | instskip(SKIP_1) | instid1(SALU_CYCLE_1)
	v_cmp_ne_u32_e32 vcc_lo, 0x7f800000, v135
                                        ; implicit-def: $vgpr135
	s_and_saveexec_b32 s3, vcc_lo
	s_xor_b32 s3, exec_lo, s3
; %bb.65:
	v_bfe_u32 v135, v136, 16, 1
	s_delay_alu instid0(VALU_DEP_1)
	v_add3_u32 v135, v136, v135, 0x7fff
                                        ; implicit-def: $vgpr136
; %bb.66:
	s_and_not1_saveexec_b32 s3, s3
; %bb.67:
	v_and_b32_e32 v135, 0xffff, v136
	v_or_b32_e32 v147, 0x10000, v136
	s_delay_alu instid0(VALU_DEP_2) | instskip(NEXT) | instid1(VALU_DEP_2)
	v_cmp_eq_u32_e32 vcc_lo, 0, v135
	v_cndmask_b32_e32 v135, v147, v136, vcc_lo
; %bb.68:
	s_or_b32 exec_lo, exec_lo, s3
	v_and_b32_e32 v136, 0x7f800000, v143
	s_delay_alu instid0(VALU_DEP_1) | instskip(SKIP_1) | instid1(SALU_CYCLE_1)
	v_cmp_ne_u32_e32 vcc_lo, 0x7f800000, v136
                                        ; implicit-def: $vgpr136
	s_and_saveexec_b32 s3, vcc_lo
	s_xor_b32 s3, exec_lo, s3
; %bb.69:
	v_bfe_u32 v136, v143, 16, 1
	s_delay_alu instid0(VALU_DEP_1)
	v_add3_u32 v136, v143, v136, 0x7fff
                                        ; implicit-def: $vgpr143
; %bb.70:
	s_and_not1_saveexec_b32 s3, s3
; %bb.71:
	v_and_b32_e32 v136, 0xffff, v143
	v_or_b32_e32 v147, 0x10000, v143
	s_delay_alu instid0(VALU_DEP_2) | instskip(NEXT) | instid1(VALU_DEP_2)
	v_cmp_eq_u32_e32 vcc_lo, 0, v136
	v_cndmask_b32_e32 v136, v147, v143, vcc_lo
; %bb.72:
	s_or_b32 exec_lo, exec_lo, s3
	v_and_b32_e32 v143, 0x7f800000, v145
	s_delay_alu instid0(VALU_DEP_1) | instskip(SKIP_1) | instid1(SALU_CYCLE_1)
	v_cmp_ne_u32_e32 vcc_lo, 0x7f800000, v143
                                        ; implicit-def: $vgpr143
	s_and_saveexec_b32 s3, vcc_lo
	s_xor_b32 s3, exec_lo, s3
; %bb.73:
	v_bfe_u32 v143, v145, 16, 1
	s_delay_alu instid0(VALU_DEP_1)
	v_add3_u32 v143, v145, v143, 0x7fff
                                        ; implicit-def: $vgpr145
; %bb.74:
	s_and_not1_saveexec_b32 s3, s3
; %bb.75:
	v_and_b32_e32 v143, 0xffff, v145
	v_or_b32_e32 v147, 0x10000, v145
	s_delay_alu instid0(VALU_DEP_2) | instskip(NEXT) | instid1(VALU_DEP_2)
	v_cmp_eq_u32_e32 vcc_lo, 0, v143
	v_cndmask_b32_e32 v143, v147, v145, vcc_lo
; %bb.76:
	s_or_b32 exec_lo, exec_lo, s3
	s_delay_alu instid0(VALU_DEP_1)
	v_perm_b32 v136, v143, v136, 0x7060302
	v_perm_b32 v135, v135, v146, 0x7060302
	;; [unrolled: 1-line block ×4, first 2 shown]
	v_lshl_or_b32 v145, v141, 11, v144
	v_lshlrev_b32_e32 v142, 2, v138
	ds_store_b128 v131, v[133:136] offset:1024
	s_waitcnt lgkmcnt(0)
	s_barrier
	buffer_gl0_inv
	ds_load_b128 v[132:135], v145
	ds_load_b128 v[147:150], v145 offset:16
	v_or_b32_e32 v143, 1, v142
	v_cmp_eq_u32_e64 s12, 1, v142
	v_cmp_eq_u32_e64 s11, 2, v142
	;; [unrolled: 1-line block ×3, first 2 shown]
	v_or_b32_e32 v141, 2, v142
	v_cmp_eq_u32_e64 s7, 1, v143
	v_cmp_eq_u32_e64 s6, 2, v143
	v_cmp_eq_u32_e64 s17, 4, v142
	v_cmp_eq_u32_e64 s5, 3, v143
	v_cmp_eq_u32_e64 s13, 5, v142
	v_cmp_eq_u32_e64 s8, 1, v141
	v_cmp_eq_u32_e64 s3, 4, v143
	v_cmp_eq_u32_e64 s15, 6, v142
	v_cmp_eq_u32_e32 vcc_lo, 5, v143
	v_cmp_eq_u32_e64 s10, 2, v141
	v_cmp_eq_u32_e64 s4, 6, v143
	;; [unrolled: 1-line block ×4, first 2 shown]
	s_waitcnt lgkmcnt(1)
	v_lshrrev_b32_e32 v136, 16, v132
	s_waitcnt lgkmcnt(0)
	v_lshrrev_b32_e32 v155, 16, v147
	v_lshrrev_b32_e32 v161, 16, v148
	;; [unrolled: 1-line block ×4, first 2 shown]
	v_cndmask_b32_e64 v146, v132, v136, s12
	v_cndmask_b32_e64 v151, v147, v155, s12
	;; [unrolled: 1-line block ×4, first 2 shown]
	v_lshrrev_b32_e32 v160, 16, v134
	v_cndmask_b32_e64 v146, v146, v133, s11
	v_cndmask_b32_e64 v151, v151, v148, s11
	;; [unrolled: 1-line block ×8, first 2 shown]
	v_lshrrev_b32_e32 v164, 16, v150
	v_cndmask_b32_e64 v153, v153, v161, s5
	v_cndmask_b32_e64 v146, v146, v134, s17
	;; [unrolled: 1-line block ×5, first 2 shown]
	v_lshrrev_b32_e32 v162, 16, v135
	v_cndmask_b32_e64 v146, v146, v160, s13
	v_cndmask_b32_e64 v151, v151, v163, s13
	v_cndmask_b32_e32 v152, v152, v160, vcc_lo
	v_cndmask_b32_e64 v153, v153, v149, s3
	v_cmp_eq_u32_e64 s19, 7, v143
	v_cndmask_b32_e64 v146, v146, v135, s15
	v_cndmask_b32_e64 v151, v151, v150, s15
	;; [unrolled: 1-line block ×4, first 2 shown]
	v_cmp_eq_u32_e64 s20, 4, v141
	v_cndmask_b32_e64 v165, v146, v162, s9
	v_cndmask_b32_e64 v166, v151, v164, s9
	;; [unrolled: 1-line block ×3, first 2 shown]
	v_or_b32_e32 v146, 3, v142
	v_cndmask_b32_e64 v167, v152, v162, s19
	v_cndmask_b32_e32 v156, v153, v163, vcc_lo
	v_cndmask_b32_e64 v158, v154, v134, s20
	v_cndmask_b32_e64 v157, v151, v148, s10
	ds_load_b128 v[151:154], v145 offset:1024
	v_cmp_eq_u32_e64 s21, 1, v146
	v_cmp_eq_u32_e64 s22, 5, v141
	;; [unrolled: 1-line block ×3, first 2 shown]
	v_cndmask_b32_e64 v157, v157, v161, s18
	v_cmp_eq_u32_e64 s24, 3, v146
	v_cndmask_b32_e64 v132, v132, v136, s21
	v_cndmask_b32_e64 v136, v156, v150, s4
	;; [unrolled: 1-line block ×5, first 2 shown]
	ds_load_b128 v[155:158], v145 offset:1040
	v_cndmask_b32_e64 v132, v132, v133, s23
	v_cmp_eq_u32_e64 s26, 4, v146
	v_cmp_eq_u32_e64 s28, 5, v146
	v_cndmask_b32_e64 v147, v147, v148, s23
	v_cmp_eq_u32_e64 s25, 6, v141
	v_cndmask_b32_e64 v132, v132, v159, s24
	;; [unrolled: 2-line block ×3, first 2 shown]
	v_cndmask_b32_e64 v147, v147, v161, s24
	s_waitcnt lgkmcnt(1)
	v_lshrrev_b32_e32 v159, 16, v151
	v_cndmask_b32_e64 v132, v132, v134, s26
	v_cndmask_b32_e64 v148, v168, v135, s25
	;; [unrolled: 1-line block ×6, first 2 shown]
	v_lshrrev_b32_e32 v160, 16, v152
	v_cndmask_b32_e64 v161, v151, v159, s7
	v_cndmask_b32_e64 v134, v134, v163, s28
	s_waitcnt lgkmcnt(0)
	v_lshrrev_b32_e32 v149, 16, v155
	v_cndmask_b32_e64 v147, v147, v152, s11
	v_cndmask_b32_e64 v132, v132, v135, s29
	v_cmp_eq_u32_e64 s27, 7, v141
	v_cndmask_b32_e64 v134, v134, v150, s29
	v_cndmask_b32_e64 v163, v155, v149, s12
	;; [unrolled: 1-line block ×4, first 2 shown]
	v_lshrrev_b32_e32 v161, 16, v156
	v_cndmask_b32_e64 v136, v136, v164, s19
	v_cndmask_b32_e64 v150, v163, v156, s11
	v_cmp_eq_u32_e64 s11, 7, v146
	v_cndmask_b32_e64 v147, v147, v160, s5
	v_cndmask_b32_e64 v135, v135, v153, s17
	v_lshrrev_b32_e32 v163, 16, v153
	v_cndmask_b32_e64 v150, v150, v161, s16
	v_cndmask_b32_e64 v132, v132, v162, s11
	;; [unrolled: 1-line block ×8, first 2 shown]
	v_lshrrev_b32_e32 v164, 16, v157
	v_perm_b32 v135, v134, v132, 0x5040100
	v_cndmask_b32_e32 v132, v147, v163, vcc_lo
	v_cndmask_b32_e64 v147, v162, v154, s15
	v_lshrrev_b32_e32 v162, 16, v154
	v_cndmask_b32_e64 v150, v150, v164, s13
	v_perm_b32 v134, v133, v148, 0x5040100
	v_cndmask_b32_e64 v132, v132, v154, s4
	v_perm_b32 v133, v136, v167, 0x5040100
	v_cndmask_b32_e64 v136, v147, v162, s9
	v_cndmask_b32_e64 v147, v150, v158, s15
	;; [unrolled: 1-line block ×27, first 2 shown]
	v_cndmask_b32_e32 v149, v149, v164, vcc_lo
	v_lshrrev_b32_e32 v148, 16, v158
	v_cndmask_b32_e64 v132, v132, v154, s25
	v_cndmask_b32_e64 v150, v150, v154, s29
	;; [unrolled: 1-line block ×11, first 2 shown]
	v_perm_b32 v132, v166, v165, 0x5040100
	v_perm_b32 v150, v151, v150, 0x5040100
	;; [unrolled: 1-line block ×5, first 2 shown]
	s_mul_i32 s8, s35, 3
	s_mov_b32 s3, exec_lo
	ds_store_b128 v131, v[132:135]
	ds_store_b128 v131, v[147:150] offset:1024
	v_cmpx_gt_u32_e32 3, v0
	s_cbranch_execz .LBB632_78
; %bb.77:
	s_mul_i32 s4, s8, s30
	s_delay_alu instid0(SALU_CYCLE_1) | instskip(SKIP_1) | instid1(VALU_DEP_1)
	v_add3_u32 v133, s4, s31, v140
	s_load_b128 s[4:7], s[0:1], 0x58
	v_mad_u64_u32 v[131:132], null, v133, s34, s[14:15]
	s_delay_alu instid0(VALU_DEP_1) | instskip(NEXT) | instid1(VALU_DEP_1)
	v_ashrrev_i32_e32 v132, 31, v131
	v_lshlrev_b64 v[131:132], 2, v[131:132]
	s_waitcnt lgkmcnt(0)
	s_delay_alu instid0(VALU_DEP_1) | instskip(NEXT) | instid1(VALU_DEP_2)
	v_add_co_u32 v133, vcc_lo, s6, v131
	v_add_co_ci_u32_e32 v134, vcc_lo, s7, v132, vcc_lo
	v_add_co_u32 v131, vcc_lo, s4, v131
	v_add_co_ci_u32_e32 v132, vcc_lo, s5, v132, vcc_lo
	global_store_b32 v[133:134], v129, off
	global_store_b32 v[131:132], v130, off
.LBB632_78:
	s_or_b32 exec_lo, exec_lo, s3
	s_waitcnt lgkmcnt(0)
	s_waitcnt_vscnt null, 0x0
	s_barrier
	buffer_gl0_inv
	ds_load_b128 v[147:150], v144
	ds_load_b128 v[151:154], v144 offset:16
	ds_load_b128 v[159:162], v144 offset:1040
	;; [unrolled: 1-line block ×3, first 2 shown]
	v_mov_b32_e32 v129, 0
	ds_load_b128 v[167:170], v144 offset:2064
	ds_load_b128 v[163:166], v144 offset:2048
	;; [unrolled: 1-line block ×6, first 2 shown]
	v_mov_b32_e32 v130, v129
	v_mov_b32_e32 v131, v129
	;; [unrolled: 1-line block ×7, first 2 shown]
	s_waitcnt lgkmcnt(8)
	s_delay_alu instid0(VALU_DEP_1)
	v_wmma_f32_16x16x16_bf16 v[129:136], v[121:128], v[147:154], v[129:136]
	ds_load_b128 v[125:128], v144 offset:5136
	ds_load_b128 v[121:124], v144 offset:5120
	s_waitcnt lgkmcnt(8)
	v_wmma_f32_16x16x16_bf16 v[129:136], v[113:120], v[155:162], v[129:136]
	ds_load_b128 v[117:120], v144 offset:6160
	ds_load_b128 v[113:116], v144 offset:6144
	s_waitcnt lgkmcnt(8)
	;; [unrolled: 4-line block ×8, first 2 shown]
	v_wmma_f32_16x16x16_bf16 v[129:136], v[65:72], v[97:104], v[129:136]
	s_waitcnt lgkmcnt(6)
	s_delay_alu instid0(VALU_DEP_1)
	v_wmma_f32_16x16x16_bf16 v[129:136], v[49:56], v[89:96], v[129:136]
	ds_load_b128 v[53:56], v144 offset:13328
	ds_load_b128 v[49:52], v144 offset:13312
	s_waitcnt lgkmcnt(6)
	v_wmma_f32_16x16x16_bf16 v[129:136], v[41:48], v[81:88], v[129:136]
	ds_load_b128 v[45:48], v144 offset:14352
	ds_load_b128 v[41:44], v144 offset:14336
	s_waitcnt lgkmcnt(6)
	;; [unrolled: 4-line block ×3, first 2 shown]
	v_wmma_f32_16x16x16_bf16 v[129:136], v[1:8], v[57:64], v[129:136]
	s_waitcnt lgkmcnt(4)
	s_delay_alu instid0(VALU_DEP_1) | instskip(SKIP_1) | instid1(VALU_DEP_1)
	v_wmma_f32_16x16x16_bf16 v[129:136], v[25:32], v[49:56], v[129:136]
	s_waitcnt lgkmcnt(2)
	v_wmma_f32_16x16x16_bf16 v[129:136], v[33:40], v[41:48], v[129:136]
	s_waitcnt lgkmcnt(0)
	s_delay_alu instid0(VALU_DEP_1) | instskip(NEXT) | instid1(VALU_DEP_1)
	v_wmma_f32_16x16x16_bf16 v[129:136], v[9:16], v[17:24], v[129:136]
	v_and_b32_e32 v1, 0x7f800000, v129
	s_delay_alu instid0(VALU_DEP_1) | instskip(SKIP_1) | instid1(SALU_CYCLE_1)
	v_cmp_ne_u32_e32 vcc_lo, 0x7f800000, v1
                                        ; implicit-def: $vgpr1
	s_and_saveexec_b32 s3, vcc_lo
	s_xor_b32 s3, exec_lo, s3
; %bb.79:
	v_bfe_u32 v1, v129, 16, 1
	s_delay_alu instid0(VALU_DEP_1)
	v_add3_u32 v1, v129, v1, 0x7fff
; %bb.80:
	s_and_not1_saveexec_b32 s3, s3
; %bb.81:
	v_and_b32_e32 v1, 0xffff, v129
	v_or_b32_e32 v2, 0x10000, v129
	s_delay_alu instid0(VALU_DEP_2) | instskip(NEXT) | instid1(VALU_DEP_2)
	v_cmp_eq_u32_e32 vcc_lo, 0, v1
	v_cndmask_b32_e32 v1, v2, v129, vcc_lo
; %bb.82:
	s_or_b32 exec_lo, exec_lo, s3
	v_and_b32_e32 v2, 0x7f800000, v130
	s_delay_alu instid0(VALU_DEP_1) | instskip(SKIP_1) | instid1(SALU_CYCLE_1)
	v_cmp_ne_u32_e32 vcc_lo, 0x7f800000, v2
                                        ; implicit-def: $vgpr2
	s_and_saveexec_b32 s3, vcc_lo
	s_xor_b32 s3, exec_lo, s3
; %bb.83:
	v_bfe_u32 v2, v130, 16, 1
	s_delay_alu instid0(VALU_DEP_1)
	v_add3_u32 v2, v130, v2, 0x7fff
; %bb.84:
	s_and_not1_saveexec_b32 s3, s3
; %bb.85:
	v_and_b32_e32 v2, 0xffff, v130
	v_or_b32_e32 v3, 0x10000, v130
	s_delay_alu instid0(VALU_DEP_2) | instskip(NEXT) | instid1(VALU_DEP_2)
	v_cmp_eq_u32_e32 vcc_lo, 0, v2
	v_cndmask_b32_e32 v2, v3, v130, vcc_lo
; %bb.86:
	s_or_b32 exec_lo, exec_lo, s3
	v_and_b32_e32 v3, 0x7f800000, v131
	s_delay_alu instid0(VALU_DEP_1) | instskip(SKIP_1) | instid1(SALU_CYCLE_1)
	v_cmp_ne_u32_e32 vcc_lo, 0x7f800000, v3
                                        ; implicit-def: $vgpr3
	s_and_saveexec_b32 s3, vcc_lo
	s_xor_b32 s3, exec_lo, s3
; %bb.87:
	v_bfe_u32 v3, v131, 16, 1
	s_delay_alu instid0(VALU_DEP_1)
	v_add3_u32 v3, v131, v3, 0x7fff
; %bb.88:
	s_and_not1_saveexec_b32 s3, s3
; %bb.89:
	v_and_b32_e32 v3, 0xffff, v131
	v_or_b32_e32 v4, 0x10000, v131
	s_delay_alu instid0(VALU_DEP_2) | instskip(NEXT) | instid1(VALU_DEP_2)
	v_cmp_eq_u32_e32 vcc_lo, 0, v3
	v_cndmask_b32_e32 v3, v4, v131, vcc_lo
; %bb.90:
	s_or_b32 exec_lo, exec_lo, s3
	v_and_b32_e32 v4, 0x7f800000, v132
	s_delay_alu instid0(VALU_DEP_1) | instskip(SKIP_1) | instid1(SALU_CYCLE_1)
	v_cmp_ne_u32_e32 vcc_lo, 0x7f800000, v4
                                        ; implicit-def: $vgpr4
	s_and_saveexec_b32 s3, vcc_lo
	s_xor_b32 s3, exec_lo, s3
; %bb.91:
	v_bfe_u32 v4, v132, 16, 1
	s_delay_alu instid0(VALU_DEP_1)
	v_add3_u32 v4, v132, v4, 0x7fff
; %bb.92:
	s_and_not1_saveexec_b32 s3, s3
; %bb.93:
	v_and_b32_e32 v4, 0xffff, v132
	v_or_b32_e32 v5, 0x10000, v132
	s_delay_alu instid0(VALU_DEP_2) | instskip(NEXT) | instid1(VALU_DEP_2)
	v_cmp_eq_u32_e32 vcc_lo, 0, v4
	v_cndmask_b32_e32 v4, v5, v132, vcc_lo
; %bb.94:
	s_or_b32 exec_lo, exec_lo, s3
	v_and_b32_e32 v5, 0x7f800000, v133
	s_delay_alu instid0(VALU_DEP_1) | instskip(SKIP_1) | instid1(SALU_CYCLE_1)
	v_cmp_ne_u32_e32 vcc_lo, 0x7f800000, v5
                                        ; implicit-def: $vgpr5
	s_and_saveexec_b32 s3, vcc_lo
	s_xor_b32 s3, exec_lo, s3
; %bb.95:
	v_bfe_u32 v5, v133, 16, 1
	s_delay_alu instid0(VALU_DEP_1)
	v_add3_u32 v5, v133, v5, 0x7fff
; %bb.96:
	s_and_not1_saveexec_b32 s3, s3
; %bb.97:
	v_and_b32_e32 v5, 0xffff, v133
	v_or_b32_e32 v6, 0x10000, v133
	s_delay_alu instid0(VALU_DEP_2) | instskip(NEXT) | instid1(VALU_DEP_2)
	v_cmp_eq_u32_e32 vcc_lo, 0, v5
	v_cndmask_b32_e32 v5, v6, v133, vcc_lo
; %bb.98:
	s_or_b32 exec_lo, exec_lo, s3
	v_and_b32_e32 v6, 0x7f800000, v134
	s_delay_alu instid0(VALU_DEP_1) | instskip(SKIP_1) | instid1(SALU_CYCLE_1)
	v_cmp_ne_u32_e32 vcc_lo, 0x7f800000, v6
                                        ; implicit-def: $vgpr6
	s_and_saveexec_b32 s3, vcc_lo
	s_xor_b32 s3, exec_lo, s3
; %bb.99:
	v_bfe_u32 v6, v134, 16, 1
	s_delay_alu instid0(VALU_DEP_1)
	v_add3_u32 v6, v134, v6, 0x7fff
; %bb.100:
	s_and_not1_saveexec_b32 s3, s3
; %bb.101:
	v_and_b32_e32 v6, 0xffff, v134
	v_or_b32_e32 v7, 0x10000, v134
	s_delay_alu instid0(VALU_DEP_2) | instskip(NEXT) | instid1(VALU_DEP_2)
	v_cmp_eq_u32_e32 vcc_lo, 0, v6
	v_cndmask_b32_e32 v6, v7, v134, vcc_lo
; %bb.102:
	s_or_b32 exec_lo, exec_lo, s3
	v_and_b32_e32 v7, 0x7f800000, v135
	s_delay_alu instid0(VALU_DEP_1) | instskip(SKIP_1) | instid1(SALU_CYCLE_1)
	v_cmp_ne_u32_e32 vcc_lo, 0x7f800000, v7
                                        ; implicit-def: $vgpr7
	s_and_saveexec_b32 s3, vcc_lo
	s_xor_b32 s3, exec_lo, s3
; %bb.103:
	v_bfe_u32 v7, v135, 16, 1
	s_delay_alu instid0(VALU_DEP_1)
	v_add3_u32 v7, v135, v7, 0x7fff
; %bb.104:
	s_and_not1_saveexec_b32 s3, s3
; %bb.105:
	v_and_b32_e32 v7, 0xffff, v135
	v_or_b32_e32 v8, 0x10000, v135
	s_delay_alu instid0(VALU_DEP_2) | instskip(NEXT) | instid1(VALU_DEP_2)
	v_cmp_eq_u32_e32 vcc_lo, 0, v7
	v_cndmask_b32_e32 v7, v8, v135, vcc_lo
; %bb.106:
	s_or_b32 exec_lo, exec_lo, s3
	v_and_b32_e32 v8, 0x7f800000, v136
	s_delay_alu instid0(VALU_DEP_1) | instskip(SKIP_1) | instid1(SALU_CYCLE_1)
	v_cmp_ne_u32_e32 vcc_lo, 0x7f800000, v8
                                        ; implicit-def: $vgpr8
	s_and_saveexec_b32 s3, vcc_lo
	s_xor_b32 s3, exec_lo, s3
; %bb.107:
	v_bfe_u32 v8, v136, 16, 1
	s_delay_alu instid0(VALU_DEP_1)
	v_add3_u32 v8, v136, v8, 0x7fff
                                        ; implicit-def: $vgpr129_vgpr130_vgpr131_vgpr132_vgpr133_vgpr134_vgpr135_vgpr136
; %bb.108:
	s_and_not1_saveexec_b32 s3, s3
; %bb.109:
	v_and_b32_e32 v8, 0xffff, v136
	v_or_b32_e32 v9, 0x10000, v136
	s_delay_alu instid0(VALU_DEP_2) | instskip(NEXT) | instid1(VALU_DEP_2)
	v_cmp_eq_u32_e32 vcc_lo, 0, v8
	v_cndmask_b32_e32 v8, v9, v136, vcc_lo
; %bb.110:
	s_or_b32 exec_lo, exec_lo, s3
	s_delay_alu instid0(VALU_DEP_1)
	v_perm_b32 v7, v8, v7, 0x7060302
	v_perm_b32 v6, v6, v5, 0x7060302
	v_perm_b32 v5, v4, v3, 0x7060302
	v_perm_b32 v4, v2, v1, 0x7060302
	v_lshl_or_b32 v9, v138, 4, v145
	s_barrier
	buffer_gl0_inv
	v_cmp_eq_u32_e32 vcc_lo, 1, v142
	ds_store_b128 v9, v[4:7]
	s_waitcnt lgkmcnt(0)
	s_barrier
	buffer_gl0_inv
	ds_load_b128 v[1:4], v145
	ds_load_b128 v[5:8], v145 offset:16
	v_cmp_eq_u32_e64 s4, 2, v142
	v_cmp_eq_u32_e64 s3, 1, v143
	;; [unrolled: 1-line block ×5, first 2 shown]
	s_waitcnt lgkmcnt(1)
	v_lshrrev_b32_e32 v10, 16, v1
	s_waitcnt lgkmcnt(0)
	v_lshrrev_b32_e32 v14, 16, v5
	v_lshrrev_b32_e32 v15, 16, v6
	v_lshrrev_b32_e32 v11, 16, v2
	v_lshrrev_b32_e32 v12, 16, v3
	v_cndmask_b32_e64 v20, v1, v10, s3
	v_cndmask_b32_e32 v19, v5, v14, vcc_lo
	v_cndmask_b32_e64 v21, v5, v14, s3
	v_lshrrev_b32_e32 v16, 16, v7
	v_cmp_eq_u32_e64 s3, 1, v141
	v_lshrrev_b32_e32 v13, 16, v4
	v_cndmask_b32_e64 v19, v19, v6, s4
	v_lshrrev_b32_e32 v17, 16, v8
	s_delay_alu instid0(VALU_DEP_4) | instskip(SKIP_1) | instid1(VALU_DEP_4)
	v_cndmask_b32_e64 v22, v1, v10, s3
	v_cndmask_b32_e64 v23, v5, v14, s3
	;; [unrolled: 1-line block ×3, first 2 shown]
	v_cndmask_b32_e32 v18, v1, v10, vcc_lo
	v_cmp_eq_u32_e32 vcc_lo, 2, v143
	v_cmp_eq_u32_e64 s3, 2, v146
	v_cndmask_b32_e64 v22, v22, v2, s7
	v_cndmask_b32_e32 v20, v20, v2, vcc_lo
	v_cndmask_b32_e32 v21, v21, v6, vcc_lo
	v_cmp_eq_u32_e32 vcc_lo, 4, v142
	v_cndmask_b32_e32 v19, v19, v7, vcc_lo
	v_cndmask_b32_e64 v18, v18, v2, s4
	v_cmp_eq_u32_e64 s4, 3, v143
	s_delay_alu instid0(VALU_DEP_2) | instskip(NEXT) | instid1(VALU_DEP_2)
	v_cndmask_b32_e64 v18, v18, v11, s5
	v_cndmask_b32_e64 v21, v21, v15, s4
	v_cmp_eq_u32_e64 s5, 5, v142
	s_delay_alu instid0(VALU_DEP_3) | instskip(SKIP_1) | instid1(VALU_DEP_3)
	v_cndmask_b32_e32 v18, v18, v3, vcc_lo
	v_cmp_eq_u32_e32 vcc_lo, 4, v143
	v_cndmask_b32_e64 v19, v19, v16, s5
	s_delay_alu instid0(VALU_DEP_3) | instskip(SKIP_4) | instid1(VALU_DEP_3)
	v_cndmask_b32_e64 v18, v18, v12, s5
	v_cndmask_b32_e32 v21, v21, v7, vcc_lo
	v_cndmask_b32_e64 v20, v20, v11, s4
	v_cmp_eq_u32_e64 s4, 5, v143
	v_cmp_eq_u32_e64 s5, 6, v142
	v_cndmask_b32_e32 v20, v20, v3, vcc_lo
	s_delay_alu instid0(VALU_DEP_3) | instskip(SKIP_1) | instid1(VALU_DEP_4)
	v_cndmask_b32_e64 v21, v21, v16, s4
	v_cmp_eq_u32_e32 vcc_lo, 6, v143
	v_cndmask_b32_e64 v18, v18, v4, s5
	v_cndmask_b32_e64 v19, v19, v8, s5
	;; [unrolled: 1-line block ×3, first 2 shown]
	v_cmp_eq_u32_e64 s4, 1, v146
	v_cmp_eq_u32_e64 s5, 7, v142
	s_delay_alu instid0(VALU_DEP_3) | instskip(NEXT) | instid1(VALU_DEP_3)
	v_cndmask_b32_e32 v20, v20, v4, vcc_lo
	v_cndmask_b32_e64 v1, v1, v10, s4
	v_cndmask_b32_e64 v5, v5, v14, s4
	v_cmp_eq_u32_e64 s4, 3, v141
	v_cndmask_b32_e64 v14, v23, v6, s7
	v_cmp_eq_u32_e64 s7, 3, v146
	v_cndmask_b32_e64 v1, v1, v2, s3
	v_cndmask_b32_e64 v2, v5, v6, s3
	;; [unrolled: 1-line block ×3, first 2 shown]
	v_cmp_eq_u32_e64 s3, 4, v141
	v_cndmask_b32_e64 v6, v14, v15, s4
	v_cndmask_b32_e64 v1, v1, v11, s7
	v_cmp_eq_u32_e64 s4, 4, v146
	v_cndmask_b32_e64 v2, v2, v15, s7
	v_cndmask_b32_e64 v5, v10, v3, s3
	;; [unrolled: 3-line block ×3, first 2 shown]
	v_cndmask_b32_e64 v2, v2, v7, s4
	v_cmp_eq_u32_e64 s3, 5, v146
	v_cndmask_b32_e64 v5, v5, v12, s7
	v_cmp_eq_u32_e64 s4, 6, v141
	;; [unrolled: 2-line block ×3, first 2 shown]
	v_cndmask_b32_e64 v1, v1, v12, s3
	v_cndmask_b32_e64 v2, v2, v16, s3
	;; [unrolled: 1-line block ×4, first 2 shown]
	v_cmp_eq_u32_e64 s3, 7, v146
	v_cndmask_b32_e64 v1, v1, v4, s7
	v_cndmask_b32_e64 v2, v2, v8, s7
	v_cmp_eq_u32_e64 s4, 7, v141
	v_cndmask_b32_e32 v4, v21, v8, vcc_lo
	v_cndmask_b32_e64 v18, v18, v13, s5
	v_cndmask_b32_e64 v20, v20, v13, s6
	;; [unrolled: 1-line block ×8, first 2 shown]
	s_mov_b32 s3, exec_lo
	v_perm_b32 v4, v2, v1, 0x5040100
	v_perm_b32 v3, v3, v5, 0x5040100
	;; [unrolled: 1-line block ×4, first 2 shown]
	ds_store_b128 v9, v[1:4]
	s_waitcnt lgkmcnt(0)
	s_barrier
	buffer_gl0_inv
	v_cmpx_gt_u32_e32 32, v0
	s_cbranch_execz .LBB632_2
; %bb.111:
	s_load_b64 s[4:5], s[0:1], 0x68
	v_lshlrev_b32_e32 v0, 10, v0
	v_lshlrev_b32_e32 v2, 4, v139
	v_add_nc_u32_e32 v1, s31, v138
	s_lshl_b32 s0, s34, 7
	s_delay_alu instid0(SALU_CYCLE_1) | instskip(NEXT) | instid1(VALU_DEP_2)
	s_mul_i32 s1, s0, s30
	v_and_or_b32 v0, 0x3800, v0, v2
	s_mul_i32 s6, s1, s8
	v_mul_lo_u32 v1, v1, s0
	s_ashr_i32 s7, s6, 31
	s_delay_alu instid0(VALU_DEP_2) | instskip(SKIP_1) | instid1(VALU_DEP_2)
	v_lshl_or_b32 v3, v138, 6, v0
	s_lshl_b64 s[6:7], s[6:7], 1
	v_ashrrev_i32_e32 v2, 31, v1
	ds_load_b128 v[3:6], v3
	s_waitcnt lgkmcnt(0)
	s_add_u32 s1, s4, s6
	s_addc_u32 s3, s5, s7
	s_lshl_b32 s4, s14, 7
	v_lshlrev_b64 v[7:8], 1, v[1:2]
	s_ashr_i32 s5, s4, 31
	s_delay_alu instid0(SALU_CYCLE_1) | instskip(NEXT) | instid1(SALU_CYCLE_1)
	s_lshl_b64 s[4:5], s[4:5], 1
	s_add_u32 s1, s1, s4
	s_addc_u32 s3, s3, s5
	v_add_co_u32 v1, s1, s1, v137
	s_delay_alu instid0(VALU_DEP_1) | instskip(NEXT) | instid1(VALU_DEP_2)
	v_add_co_ci_u32_e64 v2, null, s3, 0, s1
	v_add_co_u32 v7, vcc_lo, v1, v7
	s_delay_alu instid0(VALU_DEP_2)
	v_add_co_ci_u32_e32 v8, vcc_lo, v2, v8, vcc_lo
	global_store_b128 v[7:8], v[3:6], off
	s_and_b32 exec_lo, exec_lo, s2
	s_cbranch_execz .LBB632_2
; %bb.112:
	ds_load_b128 v[3:6], v0 offset:128
	s_add_i32 s1, s31, 2
	s_delay_alu instid0(SALU_CYCLE_1) | instskip(NEXT) | instid1(SALU_CYCLE_1)
	s_mul_i32 s0, s1, s0
	s_ashr_i32 s1, s0, 31
	s_delay_alu instid0(SALU_CYCLE_1) | instskip(NEXT) | instid1(SALU_CYCLE_1)
	s_lshl_b64 s[0:1], s[0:1], 1
	v_add_co_u32 v0, vcc_lo, v1, s0
	v_add_co_ci_u32_e32 v1, vcc_lo, s1, v2, vcc_lo
	s_waitcnt lgkmcnt(0)
	global_store_b128 v[0:1], v[3:6], off
	s_nop 0
	s_sendmsg sendmsg(MSG_DEALLOC_VGPRS)
	s_endpgm
	.section	.rodata,"a",@progbits
	.p2align	6, 0x0
	.amdhsa_kernel _Z39paged_attention_ll4mi_QKV_mfma16_kernelI14__hip_bfloat16S0_LN4vllm18Fp8KVCacheDataTypeE0EhLi16ELi128ELi256ELb0ELi3EL8MFMAType0EEvPKT_PKT0_S9_ifPKiSB_SB_iPKfiiiPfSE_PS4_PT2_iSD_SD_
		.amdhsa_group_segment_fixed_size 17472
		.amdhsa_private_segment_fixed_size 0
		.amdhsa_kernarg_size 400
		.amdhsa_user_sgpr_count 13
		.amdhsa_user_sgpr_dispatch_ptr 0
		.amdhsa_user_sgpr_queue_ptr 0
		.amdhsa_user_sgpr_kernarg_segment_ptr 1
		.amdhsa_user_sgpr_dispatch_id 0
		.amdhsa_user_sgpr_private_segment_size 0
		.amdhsa_wavefront_size32 1
		.amdhsa_uses_dynamic_stack 0
		.amdhsa_enable_private_segment 0
		.amdhsa_system_sgpr_workgroup_id_x 1
		.amdhsa_system_sgpr_workgroup_id_y 1
		.amdhsa_system_sgpr_workgroup_id_z 1
		.amdhsa_system_sgpr_workgroup_info 0
		.amdhsa_system_vgpr_workitem_id 0
		.amdhsa_next_free_vgpr 218
		.amdhsa_next_free_sgpr 50
		.amdhsa_reserve_vcc 1
		.amdhsa_float_round_mode_32 0
		.amdhsa_float_round_mode_16_64 0
		.amdhsa_float_denorm_mode_32 3
		.amdhsa_float_denorm_mode_16_64 3
		.amdhsa_dx10_clamp 1
		.amdhsa_ieee_mode 1
		.amdhsa_fp16_overflow 0
		.amdhsa_workgroup_processor_mode 1
		.amdhsa_memory_ordered 1
		.amdhsa_forward_progress 0
		.amdhsa_shared_vgpr_count 0
		.amdhsa_exception_fp_ieee_invalid_op 0
		.amdhsa_exception_fp_denorm_src 0
		.amdhsa_exception_fp_ieee_div_zero 0
		.amdhsa_exception_fp_ieee_overflow 0
		.amdhsa_exception_fp_ieee_underflow 0
		.amdhsa_exception_fp_ieee_inexact 0
		.amdhsa_exception_int_div_zero 0
	.end_amdhsa_kernel
	.section	.text._Z39paged_attention_ll4mi_QKV_mfma16_kernelI14__hip_bfloat16S0_LN4vllm18Fp8KVCacheDataTypeE0EhLi16ELi128ELi256ELb0ELi3EL8MFMAType0EEvPKT_PKT0_S9_ifPKiSB_SB_iPKfiiiPfSE_PS4_PT2_iSD_SD_,"axG",@progbits,_Z39paged_attention_ll4mi_QKV_mfma16_kernelI14__hip_bfloat16S0_LN4vllm18Fp8KVCacheDataTypeE0EhLi16ELi128ELi256ELb0ELi3EL8MFMAType0EEvPKT_PKT0_S9_ifPKiSB_SB_iPKfiiiPfSE_PS4_PT2_iSD_SD_,comdat
.Lfunc_end632:
	.size	_Z39paged_attention_ll4mi_QKV_mfma16_kernelI14__hip_bfloat16S0_LN4vllm18Fp8KVCacheDataTypeE0EhLi16ELi128ELi256ELb0ELi3EL8MFMAType0EEvPKT_PKT0_S9_ifPKiSB_SB_iPKfiiiPfSE_PS4_PT2_iSD_SD_, .Lfunc_end632-_Z39paged_attention_ll4mi_QKV_mfma16_kernelI14__hip_bfloat16S0_LN4vllm18Fp8KVCacheDataTypeE0EhLi16ELi128ELi256ELb0ELi3EL8MFMAType0EEvPKT_PKT0_S9_ifPKiSB_SB_iPKfiiiPfSE_PS4_PT2_iSD_SD_
                                        ; -- End function
	.section	.AMDGPU.csdata,"",@progbits
; Kernel info:
; codeLenInByte = 10164
; NumSgprs: 52
; NumVgprs: 218
; ScratchSize: 0
; MemoryBound: 0
; FloatMode: 240
; IeeeMode: 1
; LDSByteSize: 17472 bytes/workgroup (compile time only)
; SGPRBlocks: 6
; VGPRBlocks: 27
; NumSGPRsForWavesPerEU: 52
; NumVGPRsForWavesPerEU: 218
; Occupancy: 6
; WaveLimiterHint : 1
; COMPUTE_PGM_RSRC2:SCRATCH_EN: 0
; COMPUTE_PGM_RSRC2:USER_SGPR: 13
; COMPUTE_PGM_RSRC2:TRAP_HANDLER: 0
; COMPUTE_PGM_RSRC2:TGID_X_EN: 1
; COMPUTE_PGM_RSRC2:TGID_Y_EN: 1
; COMPUTE_PGM_RSRC2:TGID_Z_EN: 1
; COMPUTE_PGM_RSRC2:TIDIG_COMP_CNT: 0
	.section	.text._Z39paged_attention_ll4mi_QKV_mfma16_kernelI14__hip_bfloat16S0_LN4vllm18Fp8KVCacheDataTypeE0EhLi16ELi128ELi256ELb0ELi4EL8MFMAType0EEvPKT_PKT0_S9_ifPKiSB_SB_iPKfiiiPfSE_PS4_PT2_iSD_SD_,"axG",@progbits,_Z39paged_attention_ll4mi_QKV_mfma16_kernelI14__hip_bfloat16S0_LN4vllm18Fp8KVCacheDataTypeE0EhLi16ELi128ELi256ELb0ELi4EL8MFMAType0EEvPKT_PKT0_S9_ifPKiSB_SB_iPKfiiiPfSE_PS4_PT2_iSD_SD_,comdat
	.protected	_Z39paged_attention_ll4mi_QKV_mfma16_kernelI14__hip_bfloat16S0_LN4vllm18Fp8KVCacheDataTypeE0EhLi16ELi128ELi256ELb0ELi4EL8MFMAType0EEvPKT_PKT0_S9_ifPKiSB_SB_iPKfiiiPfSE_PS4_PT2_iSD_SD_ ; -- Begin function _Z39paged_attention_ll4mi_QKV_mfma16_kernelI14__hip_bfloat16S0_LN4vllm18Fp8KVCacheDataTypeE0EhLi16ELi128ELi256ELb0ELi4EL8MFMAType0EEvPKT_PKT0_S9_ifPKiSB_SB_iPKfiiiPfSE_PS4_PT2_iSD_SD_
	.globl	_Z39paged_attention_ll4mi_QKV_mfma16_kernelI14__hip_bfloat16S0_LN4vllm18Fp8KVCacheDataTypeE0EhLi16ELi128ELi256ELb0ELi4EL8MFMAType0EEvPKT_PKT0_S9_ifPKiSB_SB_iPKfiiiPfSE_PS4_PT2_iSD_SD_
	.p2align	8
	.type	_Z39paged_attention_ll4mi_QKV_mfma16_kernelI14__hip_bfloat16S0_LN4vllm18Fp8KVCacheDataTypeE0EhLi16ELi128ELi256ELb0ELi4EL8MFMAType0EEvPKT_PKT0_S9_ifPKiSB_SB_iPKfiiiPfSE_PS4_PT2_iSD_SD_,@function
_Z39paged_attention_ll4mi_QKV_mfma16_kernelI14__hip_bfloat16S0_LN4vllm18Fp8KVCacheDataTypeE0EhLi16ELi128ELi256ELb0ELi4EL8MFMAType0EEvPKT_PKT0_S9_ifPKiSB_SB_iPKfiiiPfSE_PS4_PT2_iSD_SD_: ; @_Z39paged_attention_ll4mi_QKV_mfma16_kernelI14__hip_bfloat16S0_LN4vllm18Fp8KVCacheDataTypeE0EhLi16ELi128ELi256ELb0ELi4EL8MFMAType0EEvPKT_PKT0_S9_ifPKiSB_SB_iPKfiiiPfSE_PS4_PT2_iSD_SD_
; %bb.0:
	s_load_b64 s[4:5], s[0:1], 0x30
	s_mov_b32 s30, s13
	s_waitcnt lgkmcnt(0)
	s_cmp_lg_u64 s[4:5], 0
	s_cselect_b32 s12, -1, 0
	s_ashr_i32 s31, s13, 31
	s_cmp_eq_u64 s[4:5], 0
	s_cbranch_scc1 .LBB633_3
; %bb.1:
	s_lshl_b64 s[2:3], s[30:31], 2
	s_delay_alu instid0(SALU_CYCLE_1) | instskip(SKIP_4) | instid1(SALU_CYCLE_1)
	s_add_u32 s2, s4, s2
	s_addc_u32 s3, s5, s3
	s_load_b64 s[2:3], s[2:3], 0x0
	s_waitcnt lgkmcnt(0)
	s_sub_i32 s2, s3, s2
	s_cmp_eq_u32 s2, 1
	s_cselect_b32 s2, -1, 0
	s_delay_alu instid0(SALU_CYCLE_1)
	s_and_not1_b32 vcc_lo, exec_lo, s2
	s_cbranch_vccz .LBB633_4
.LBB633_2:
	s_endpgm
.LBB633_3:
.LBB633_4:
	s_load_b64 s[2:3], s[0:1], 0x28
	s_lshl_b64 s[6:7], s[30:31], 2
	s_waitcnt lgkmcnt(0)
	s_add_u32 s2, s2, s6
	s_addc_u32 s3, s3, s7
	s_lshl_b32 s31, s14, 8
	s_load_b32 s28, s[2:3], 0x0
	s_waitcnt lgkmcnt(0)
	s_cmp_ge_i32 s31, s28
	s_cbranch_scc1 .LBB633_2
; %bb.5:
	s_clause 0x1
	s_load_b128 s[8:11], s[0:1], 0x8
	s_load_b64 s[2:3], s[0:1], 0x20
	s_and_not1_b32 vcc_lo, exec_lo, s12
	s_cbranch_vccnz .LBB633_7
; %bb.6:
	s_add_u32 s4, s4, s6
	s_addc_u32 s5, s5, s7
	s_load_b32 s12, s[4:5], 0x0
	s_branch .LBB633_8
.LBB633_7:
	s_mov_b32 s12, s30
.LBB633_8:
	s_load_b128 s[4:7], s[0:1], 0x48
	v_and_b32_e32 v141, 15, v0
	v_lshrrev_b32_e32 v140, 5, v0
	v_and_b32_e32 v142, 31, v0
	v_and_b32_e32 v139, 1, v0
	v_bfe_u32 v138, v0, 4, 1
	v_lshlrev_b32_e32 v1, 3, v141
	s_lshl_b32 s29, s15, 2
	s_waitcnt lgkmcnt(0)
	s_mov_b32 s7, exec_lo
	s_delay_alu instid0(VALU_DEP_1)
	v_lshlrev_b32_e32 v137, 1, v1
	v_cmpx_gt_u32_e32 64, v0
	s_cbranch_execz .LBB633_10
; %bb.9:
	v_lshl_or_b32 v5, v140, 1, v138
	s_load_b64 s[16:17], s[0:1], 0x0
	s_mul_hi_i32 s13, s12, s4
	s_mul_i32 s12, s12, s4
	v_lshlrev_b32_e32 v6, 10, v141
	v_or_b32_e32 v1, s29, v5
	s_lshl_b64 s[12:13], s[12:13], 1
	v_lshlrev_b32_e32 v5, 6, v5
	v_lshlrev_b32_e32 v7, 10, v139
	v_and_b32_e32 v6, 0x3800, v6
	v_lshlrev_b32_e32 v1, 7, v1
	s_delay_alu instid0(VALU_DEP_2) | instskip(NEXT) | instid1(VALU_DEP_2)
	v_or3_b32 v5, v6, v7, v5
	v_ashrrev_i32_e32 v2, 31, v1
	s_delay_alu instid0(VALU_DEP_1) | instskip(SKIP_3) | instid1(VALU_DEP_1)
	v_lshlrev_b64 v[1:2], 1, v[1:2]
	s_waitcnt lgkmcnt(0)
	s_add_u32 s4, s16, s12
	s_addc_u32 s12, s17, s13
	v_add_co_u32 v1, vcc_lo, s4, v1
	s_delay_alu instid0(VALU_DEP_2) | instskip(NEXT) | instid1(VALU_DEP_2)
	v_add_co_ci_u32_e32 v2, vcc_lo, s12, v2, vcc_lo
	v_add_co_u32 v1, vcc_lo, v1, v137
	s_delay_alu instid0(VALU_DEP_2)
	v_add_co_ci_u32_e32 v2, vcc_lo, 0, v2, vcc_lo
	global_load_b128 v[1:4], v[1:2], off
	s_waitcnt vmcnt(0)
	ds_store_b128 v5, v[1:4]
.LBB633_10:
	s_or_b32 exec_lo, exec_lo, s7
	s_mov_b32 s36, 0
	s_add_i32 s4, s28, 15
	s_mov_b32 s37, s36
	s_mov_b32 s38, s36
	;; [unrolled: 1-line block ×7, first 2 shown]
	s_delay_alu instid0(SALU_CYCLE_1)
	v_dual_mov_b32 v136, s43 :: v_dual_and_b32 v1, 0xef, v0
	v_mov_b32_e32 v134, s41
	s_clause 0x1
	s_load_b32 s7, s[0:1], 0x38
	s_load_b32 s33, s[0:1], 0x1c
	v_add_nc_u32_e32 v1, s31, v1
	s_ashr_i32 s12, s4, 31
	s_waitcnt lgkmcnt(0)
	s_lshr_b32 s12, s12, 28
	s_barrier
	v_ashrrev_i32_e32 v2, 31, v1
	s_add_i32 s4, s4, s12
	v_cmp_gt_i32_e32 vcc_lo, s28, v1
	v_mov_b32_e32 v135, s42
	s_ashr_i32 s4, s4, 4
	v_lshrrev_b32_e32 v3, 28, v2
	v_or_b32_e32 v2, 16, v1
	s_add_i32 s4, s4, -1
	v_mov_b32_e32 v132, s39
	buffer_gl0_inv
	v_add_nc_u32_e32 v4, v1, v3
	v_add_nc_u32_e32 v3, v2, v3
	v_and_b32_e32 v105, 3, v0
	v_lshlrev_b32_e32 v106, 5, v141
	s_mul_i32 s12, s30, s7
	v_ashrrev_i32_e32 v4, 4, v4
	v_ashrrev_i32_e32 v3, 4, v3
	s_ashr_i32 s13, s12, 31
	v_lshlrev_b32_e32 v215, 6, v105
	s_lshl_b64 s[12:13], s[12:13], 2
	v_cndmask_b32_e32 v1, s4, v4, vcc_lo
	v_cmp_gt_i32_e32 vcc_lo, s28, v2
	s_add_u32 s34, s2, s12
	s_addc_u32 s35, s3, s13
	s_mul_i32 s2, s15, s6
	v_ashrrev_i32_e32 v2, 31, v1
	v_cndmask_b32_e32 v3, s4, v3, vcc_lo
	s_ashr_i32 s3, s2, 31
	v_lshl_or_b32 v125, v140, 9, v106
	s_lshl_b64 s[2:3], s[2:3], 1
	v_lshlrev_b64 v[1:2], 2, v[1:2]
	v_ashrrev_i32_e32 v4, 31, v3
	s_add_u32 s22, s8, s2
	s_addc_u32 s23, s9, s3
	s_lshl_b32 s6, s14, 4
	v_mov_b32_e32 v133, s40
	v_lshlrev_b64 v[3:4], 2, v[3:4]
	v_add_co_u32 v1, vcc_lo, s34, v1
	v_add_co_ci_u32_e32 v2, vcc_lo, s35, v2, vcc_lo
	s_ashr_i32 s7, s6, 31
	s_delay_alu instid0(VALU_DEP_3) | instskip(NEXT) | instid1(VALU_DEP_4)
	v_add_co_u32 v3, vcc_lo, s34, v3
	v_add_co_ci_u32_e32 v4, vcc_lo, s35, v4, vcc_lo
	s_clause 0x1
	global_load_b32 v5, v[1:2], off
	global_load_b32 v6, v[3:4], off
	s_lshl_b64 s[6:7], s[6:7], 2
	v_dual_mov_b32 v130, s37 :: v_dual_lshlrev_b32 v3, 4, v0
	s_add_u32 s6, s34, s6
	s_addc_u32 s7, s35, s7
	s_or_b32 s8, s31, 16
	v_mov_b32_e32 v131, s38
	s_ashr_i32 s9, s8, 4
	s_cmp_lt_i32 s8, s28
	v_mov_b32_e32 v129, s36
	s_cselect_b32 s8, s9, s4
	s_delay_alu instid0(SALU_CYCLE_1) | instskip(NEXT) | instid1(SALU_CYCLE_1)
	s_ashr_i32 s9, s8, 31
	s_lshl_b64 s[8:9], s[8:9], 2
	s_delay_alu instid0(SALU_CYCLE_1) | instskip(SKIP_2) | instid1(SALU_CYCLE_1)
	s_add_u32 s8, s34, s8
	s_addc_u32 s9, s35, s9
	s_or_b32 s12, s31, 32
	s_ashr_i32 s13, s12, 4
	s_cmp_lt_i32 s12, s28
	s_cselect_b32 s12, s13, s4
	s_delay_alu instid0(SALU_CYCLE_1) | instskip(NEXT) | instid1(SALU_CYCLE_1)
	s_ashr_i32 s13, s12, 31
	s_lshl_b64 s[12:13], s[12:13], 2
	s_delay_alu instid0(SALU_CYCLE_1) | instskip(SKIP_2) | instid1(SALU_CYCLE_1)
	s_add_u32 s12, s34, s12
	s_addc_u32 s13, s35, s13
	s_or_b32 s15, s31, 48
	s_ashr_i32 s16, s15, 4
	s_cmp_lt_i32 s15, s28
	;; [unrolled: 10-line block ×4, first 2 shown]
	s_cselect_b32 s20, s20, s4
	s_delay_alu instid0(SALU_CYCLE_1) | instskip(NEXT) | instid1(SALU_CYCLE_1)
	s_ashr_i32 s21, s20, 31
	s_lshl_b64 s[20:21], s[20:21], 2
	s_delay_alu instid0(SALU_CYCLE_1)
	s_add_u32 s20, s34, s20
	s_addc_u32 s21, s35, s21
	s_clause 0x5
	s_load_b32 s6, s[6:7], 0x0
	s_load_b32 s8, s[8:9], 0x0
	;; [unrolled: 1-line block ×6, first 2 shown]
	s_waitcnt vmcnt(1)
	v_mad_i64_i32 v[1:2], null, v5, s5, 0
	v_and_b32_e32 v5, 0xf0, v3
	s_waitcnt vmcnt(0)
	v_mad_i64_i32 v[3:4], null, v6, s5, 0
	s_delay_alu instid0(VALU_DEP_2) | instskip(NEXT) | instid1(VALU_DEP_4)
	v_add_co_u32 v5, s7, s22, v5
	v_lshlrev_b64 v[1:2], 1, v[1:2]
	v_add_co_ci_u32_e64 v6, null, s23, 0, s7
	s_delay_alu instid0(VALU_DEP_4) | instskip(SKIP_1) | instid1(VALU_DEP_3)
	v_lshlrev_b64 v[3:4], 1, v[3:4]
	s_or_b32 s7, s31, 0x60
	v_add_co_u32 v121, vcc_lo, v5, v1
	s_delay_alu instid0(VALU_DEP_3) | instskip(NEXT) | instid1(VALU_DEP_3)
	v_add_co_ci_u32_e32 v122, vcc_lo, v6, v2, vcc_lo
	v_add_co_u32 v123, vcc_lo, v5, v3
	s_delay_alu instid0(VALU_DEP_4)
	v_add_co_ci_u32_e32 v124, vcc_lo, v6, v4, vcc_lo
	s_clause 0x19
	global_load_b128 v[89:92], v[121:122], off
	global_load_b128 v[93:96], v[121:122], off offset:256
	global_load_b128 v[97:100], v[123:124], off
	global_load_b128 v[101:104], v[123:124], off offset:256
	global_load_b128 v[81:84], v[121:122], off offset:512
	;; [unrolled: 1-line block ×23, first 2 shown]
	s_ashr_i32 s9, s7, 4
	s_cmp_lt_i32 s7, s28
	ds_load_b128 v[105:108], v215
	ds_load_b128 v[109:112], v215 offset:1024
	s_cselect_b32 s20, s9, s4
	ds_load_b128 v[113:116], v215 offset:2048
	ds_load_b128 v[117:120], v215 offset:3072
	s_ashr_i32 s21, s20, 31
	ds_load_b128 v[143:146], v215 offset:4096
	ds_load_b128 v[147:150], v215 offset:5120
	s_lshl_b64 s[20:21], s[20:21], 2
	ds_load_b128 v[151:154], v215 offset:6144
	ds_load_b128 v[155:158], v215 offset:7168
	s_add_u32 s20, s34, s20
	s_addc_u32 s21, s35, s21
	s_or_b32 s7, s31, 0x70
	ds_load_b128 v[159:162], v215 offset:8192
	ds_load_b128 v[163:166], v215 offset:9216
	s_ashr_i32 s9, s7, 4
	s_cmp_lt_i32 s7, s28
	s_clause 0x1
	global_load_b128 v[167:170], v[123:124], off offset:3072
	global_load_b128 v[171:174], v[123:124], off offset:3328
	s_cselect_b32 s22, s9, s4
	s_delay_alu instid0(SALU_CYCLE_1) | instskip(NEXT) | instid1(SALU_CYCLE_1)
	s_ashr_i32 s23, s22, 31
	s_lshl_b64 s[22:23], s[22:23], 2
	s_delay_alu instid0(SALU_CYCLE_1)
	s_add_u32 s22, s34, s22
	s_addc_u32 s23, s35, s23
	s_clause 0x1
	s_load_b32 s42, s[20:21], 0x0
	s_load_b32 s43, s[22:23], 0x0
	s_clause 0x3
	global_load_b128 v[175:178], v[121:122], off offset:3584
	global_load_b128 v[179:182], v[121:122], off offset:3840
	;; [unrolled: 1-line block ×4, first 2 shown]
	s_or_b32 s7, s31, 0x80
	s_delay_alu instid0(SALU_CYCLE_1) | instskip(SKIP_2) | instid1(SALU_CYCLE_1)
	s_ashr_i32 s9, s7, 4
	s_cmp_lt_i32 s7, s28
	s_cselect_b32 s24, s9, s4
	s_ashr_i32 s25, s24, 31
	s_delay_alu instid0(SALU_CYCLE_1) | instskip(NEXT) | instid1(SALU_CYCLE_1)
	s_lshl_b64 s[24:25], s[24:25], 2
	s_add_u32 s24, s34, s24
	s_addc_u32 s25, s35, s25
	s_or_b32 s7, s31, 0x90
	s_load_b32 s44, s[24:25], 0x0
	s_ashr_i32 s9, s7, 4
	s_cmp_lt_i32 s7, s28
	s_cselect_b32 s26, s9, s4
	s_delay_alu instid0(SALU_CYCLE_1) | instskip(NEXT) | instid1(SALU_CYCLE_1)
	s_ashr_i32 s27, s26, 31
	s_lshl_b64 s[26:27], s[26:27], 2
	s_delay_alu instid0(SALU_CYCLE_1) | instskip(SKIP_2) | instid1(SALU_CYCLE_1)
	s_add_u32 s26, s34, s26
	s_addc_u32 s27, s35, s27
	s_or_b32 s7, s31, 0xa0
	s_ashr_i32 s9, s7, 4
	s_cmp_lt_i32 s7, s28
	s_waitcnt lgkmcnt(0)
	s_mul_hi_i32 s7, s6, s5
	s_cselect_b32 s36, s9, s4
	s_mul_i32 s6, s6, s5
	s_ashr_i32 s37, s36, 31
	s_delay_alu instid0(SALU_CYCLE_1) | instskip(NEXT) | instid1(SALU_CYCLE_1)
	s_lshl_b64 s[36:37], s[36:37], 2
	s_add_u32 s36, s34, s36
	s_addc_u32 s37, s35, s37
	s_or_b32 s9, s31, 0xb0
	s_delay_alu instid0(SALU_CYCLE_1)
	s_ashr_i32 s13, s9, 4
	s_cmp_lt_i32 s9, s28
	s_mul_hi_i32 s9, s8, s5
	s_cselect_b32 s38, s13, s4
	s_mul_i32 s8, s8, s5
	s_ashr_i32 s39, s38, 31
	s_mul_hi_i32 s13, s12, s5
	s_lshl_b64 s[38:39], s[38:39], 2
	s_mul_i32 s12, s12, s5
	s_add_u32 s40, s34, s38
	s_addc_u32 s41, s35, s39
	s_or_b32 s17, s31, 0xc0
	s_delay_alu instid0(SALU_CYCLE_1)
	s_ashr_i32 s19, s17, 4
	s_cmp_lt_i32 s17, s28
	s_mul_hi_i32 s17, s16, s5
	s_cselect_b32 s38, s19, s4
	s_mul_i32 s16, s16, s5
	s_ashr_i32 s39, s38, 31
	s_mul_hi_i32 s19, s18, s5
	s_lshl_b64 s[38:39], s[38:39], 2
	s_mul_i32 s18, s18, s5
	s_add_u32 s22, s34, s38
	s_addc_u32 s23, s35, s39
	s_clause 0x1
	s_load_b32 s39, s[26:27], 0x0
	s_load_b32 s38, s[36:37], 0x0
	s_or_b32 s20, s31, 0xd0
	s_mul_hi_i32 s27, s44, s5
	s_ashr_i32 s21, s20, 4
	s_cmp_lt_i32 s20, s28
	s_mul_i32 s20, s15, s5
	s_cselect_b32 s24, s21, s4
	s_mul_hi_i32 s21, s15, s5
	s_ashr_i32 s25, s24, 31
	s_mul_i32 s26, s44, s5
	s_lshl_b64 s[24:25], s[24:25], 2
	s_delay_alu instid0(SALU_CYCLE_1)
	s_add_u32 s24, s34, s24
	s_addc_u32 s25, s35, s25
	s_or_b32 s45, s31, 0xe0
	s_clause 0x2
	s_load_b32 s37, s[40:41], 0x0
	s_load_b32 s36, s[22:23], 0x0
	;; [unrolled: 1-line block ×3, first 2 shown]
	s_ashr_i32 s46, s45, 4
	s_cmp_lt_i32 s45, s28
	s_mul_hi_i32 s23, s42, s5
	s_mul_i32 s22, s42, s5
	s_cselect_b32 s42, s46, s4
	s_mul_hi_i32 s25, s43, s5
	s_mul_i32 s24, s43, s5
	s_ashr_i32 s43, s42, 31
	s_waitcnt lgkmcnt(0)
	s_mul_hi_i32 s41, s39, s5
	s_lshl_b64 s[42:43], s[42:43], 2
	s_mul_i32 s40, s39, s5
	s_add_u32 s42, s34, s42
	s_addc_u32 s43, s35, s43
	s_or_b32 s44, s31, 0xf0
	s_mul_hi_i32 s39, s38, s5
	s_ashr_i32 s46, s44, 4
	s_cmp_lt_i32 s44, s28
	s_mul_i32 s38, s38, s5
	s_cselect_b32 s46, s46, s4
	s_mul_hi_i32 s49, s15, s5
	s_ashr_i32 s47, s46, 31
	s_mul_i32 s48, s15, s5
	s_lshl_b64 s[46:47], s[46:47], 2
	s_mul_hi_i32 s45, s37, s5
	s_add_u32 s34, s34, s46
	s_addc_u32 s35, s35, s47
	s_add_u32 s4, s10, s2
	s_addc_u32 s15, s11, s3
	v_add_co_u32 v216, s4, s4, v125
	s_delay_alu instid0(VALU_DEP_1) | instskip(SKIP_2) | instid1(VALU_DEP_2)
	v_add_co_ci_u32_e64 v217, null, s15, 0, s4
	s_lshl_b64 s[2:3], s[6:7], 1
	s_lshl_b64 s[6:7], s[8:9], 1
	v_add_co_u32 v125, vcc_lo, v216, s2
	s_delay_alu instid0(VALU_DEP_2)
	v_add_co_ci_u32_e32 v126, vcc_lo, s3, v217, vcc_lo
	v_add_co_u32 v199, vcc_lo, v216, s6
	s_lshl_b64 s[8:9], s[12:13], 1
	v_add_co_ci_u32_e32 v200, vcc_lo, s7, v217, vcc_lo
	s_lshl_b64 s[10:11], s[16:17], 1
	s_lshl_b64 s[12:13], s[18:19], 1
	s_lshl_b64 s[16:17], s[20:21], 1
	s_lshl_b64 s[18:19], s[22:23], 1
	s_lshl_b64 s[20:21], s[24:25], 1
	s_lshl_b64 s[22:23], s[26:27], 1
	s_lshl_b64 s[24:25], s[40:41], 1
	s_lshl_b64 s[26:27], s[38:39], 1
	s_mul_i32 s44, s37, s5
	s_mul_hi_i32 s37, s36, s5
	s_lshl_b64 s[38:39], s[44:45], 1
	s_mul_i32 s36, s36, s5
	s_clause 0x1
	s_load_b32 s4, s[42:43], 0x0
	s_load_b32 s15, s[34:35], 0x0
	s_lshl_b64 s[36:37], s[36:37], 1
	s_lshl_b64 s[40:41], s[48:49], 1
	s_waitcnt lgkmcnt(0)
	s_mul_hi_i32 s3, s4, s5
	s_mul_i32 s2, s4, s5
	s_mul_hi_i32 s7, s15, s5
	s_lshl_b64 s[2:3], s[2:3], 1
	s_mul_i32 s6, s15, s5
	s_waitcnt vmcnt(30)
	v_wmma_f32_16x16x16_bf16 v[191:198], v[89:96], v[105:112], v[129:136]
	v_add_co_u32 v89, vcc_lo, v216, s8
	v_add_co_ci_u32_e32 v90, vcc_lo, s9, v217, vcc_lo
	v_add_co_u32 v91, vcc_lo, v216, s10
	v_add_co_ci_u32_e32 v92, vcc_lo, s11, v217, vcc_lo
	;; [unrolled: 2-line block ×5, first 2 shown]
	v_add_co_u32 v205, vcc_lo, v216, s20
	s_waitcnt vmcnt(28)
	v_wmma_f32_16x16x16_bf16 v[129:136], v[97:104], v[105:112], v[129:136]
	v_add_co_ci_u32_e32 v206, vcc_lo, s21, v217, vcc_lo
	v_add_co_u32 v207, vcc_lo, v216, s22
	v_add_co_ci_u32_e32 v208, vcc_lo, s23, v217, vcc_lo
	v_add_co_u32 v209, vcc_lo, v216, s24
	s_waitcnt vmcnt(26)
	v_wmma_f32_16x16x16_bf16 v[191:198], v[81:88], v[113:120], v[191:198]
	s_waitcnt vmcnt(24)
	v_wmma_f32_16x16x16_bf16 v[129:136], v[73:80], v[113:120], v[129:136]
	v_add_co_ci_u32_e32 v210, vcc_lo, s25, v217, vcc_lo
	v_add_co_u32 v211, vcc_lo, v216, s26
	v_add_co_ci_u32_e32 v212, vcc_lo, s27, v217, vcc_lo
	v_add_co_u32 v213, vcc_lo, v216, s38
	s_waitcnt vmcnt(22)
	v_wmma_f32_16x16x16_bf16 v[191:198], v[65:72], v[143:150], v[191:198]
	s_waitcnt vmcnt(20)
	v_wmma_f32_16x16x16_bf16 v[129:136], v[57:64], v[143:150], v[129:136]
	v_add_co_ci_u32_e32 v214, vcc_lo, s39, v217, vcc_lo
	v_add_co_u32 v143, vcc_lo, v216, s36
	s_waitcnt vmcnt(18)
	v_wmma_f32_16x16x16_bf16 v[191:198], v[49:56], v[151:158], v[191:198]
	s_waitcnt vmcnt(16)
	v_wmma_f32_16x16x16_bf16 v[129:136], v[41:48], v[151:158], v[129:136]
	v_add_co_ci_u32_e32 v144, vcc_lo, s37, v217, vcc_lo
	s_clause 0x15
	global_load_b128 v[121:124], v[125:126], off
	global_load_b128 v[125:128], v[125:126], off offset:16
	global_load_b128 v[113:116], v[199:200], off
	global_load_b128 v[117:120], v[199:200], off offset:16
	;; [unrolled: 2-line block ×11, first 2 shown]
	s_waitcnt vmcnt(36)
	v_wmma_f32_16x16x16_bf16 v[191:198], v[17:24], v[159:166], v[191:198]
	s_clause 0x1
	global_load_b128 v[17:20], v[213:214], off
	global_load_b128 v[21:24], v[213:214], off offset:16
	s_waitcnt vmcnt(36)
	v_wmma_f32_16x16x16_bf16 v[129:136], v[1:8], v[159:166], v[129:136]
	s_clause 0x1
	global_load_b128 v[1:4], v[143:144], off
	global_load_b128 v[5:8], v[143:144], off offset:16
	ds_load_b128 v[143:146], v215 offset:10240
	ds_load_b128 v[147:150], v215 offset:11264
	;; [unrolled: 1-line block ×4, first 2 shown]
	v_add_co_u32 v199, vcc_lo, v216, s40
	v_add_co_ci_u32_e32 v200, vcc_lo, s41, v217, vcc_lo
	v_add_co_u32 v159, vcc_lo, v216, s2
	v_add_co_ci_u32_e32 v160, vcc_lo, s3, v217, vcc_lo
	s_lshl_b64 s[2:3], s[6:7], 1
	s_delay_alu instid0(SALU_CYCLE_1)
	v_add_co_u32 v161, vcc_lo, v216, s2
	v_add_co_ci_u32_e32 v162, vcc_lo, s3, v217, vcc_lo
	s_waitcnt vmcnt(36) lgkmcnt(2)
	v_wmma_f32_16x16x16_bf16 v[191:198], v[33:40], v[143:150], v[191:198]
	s_waitcnt vmcnt(34)
	v_wmma_f32_16x16x16_bf16 v[129:136], v[25:32], v[143:150], v[129:136]
	s_clause 0x3
	global_load_b128 v[25:28], v[199:200], off
	global_load_b128 v[29:32], v[199:200], off offset:16
	global_load_b128 v[33:36], v[159:160], off
	global_load_b128 v[37:40], v[159:160], off offset:16
	v_and_b32_e32 v143, 0xe0, v0
	v_mbcnt_lo_u32_b32 v159, -1, 0
	s_waitcnt vmcnt(36) lgkmcnt(0)
	v_wmma_f32_16x16x16_bf16 v[191:198], v[9:16], v[151:158], v[191:198]
	s_clause 0x1
	global_load_b128 v[9:12], v[161:162], off
	global_load_b128 v[13:16], v[161:162], off offset:16
	s_waitcnt vmcnt(36)
	v_wmma_f32_16x16x16_bf16 v[129:136], v[167:174], v[151:158], v[129:136]
	v_add_nc_u32_e32 v160, s31, v143
	ds_load_b128 v[143:146], v215 offset:14336
	ds_load_b128 v[147:150], v215 offset:15360
	v_xor_b32_e32 v151, 16, v159
	s_waitcnt vmcnt(0) lgkmcnt(0)
	s_barrier
	v_or_b32_e32 v152, v160, v138
	buffer_gl0_inv
	v_cmp_gt_i32_e32 vcc_lo, 32, v151
	v_or_b32_e32 v153, 2, v152
	v_or_b32_e32 v154, 4, v152
	;; [unrolled: 1-line block ×5, first 2 shown]
	v_cmp_gt_i32_e64 s2, s28, v153
	v_cmp_gt_i32_e64 s3, s28, v154
	;; [unrolled: 1-line block ×3, first 2 shown]
	v_or_b32_e32 v158, 12, v152
	v_cmp_gt_i32_e64 s5, s28, v156
	v_cmp_gt_i32_e64 s6, s28, v157
	v_wmma_f32_16x16x16_bf16 v[191:198], v[175:182], v[143:150], v[191:198]
	v_wmma_f32_16x16x16_bf16 v[129:136], v[183:190], v[143:150], v[129:136]
	v_cndmask_b32_e32 v151, v159, v151, vcc_lo
	v_cmp_gt_i32_e32 vcc_lo, s28, v152
	v_or_b32_e32 v159, 14, v152
	v_dual_mul_f32 v149, s33, v192 :: v_dual_mul_f32 v150, s33, v191
	v_dual_mul_f32 v147, s33, v194 :: v_dual_mul_f32 v148, s33, v193
	;; [unrolled: 1-line block ×3, first 2 shown]
	s_delay_alu instid0(VALU_DEP_3) | instskip(NEXT) | instid1(VALU_DEP_4)
	v_cndmask_b32_e32 v150, 0xff7fffff, v150, vcc_lo
	v_cndmask_b32_e64 v149, 0xff7fffff, v149, s2
	v_mul_f32_e32 v146, s33, v195
	v_cndmask_b32_e64 v148, 0xff7fffff, v148, s3
	v_cndmask_b32_e64 v147, 0xff7fffff, v147, s4
	v_or_b32_e32 v160, 16, v152
	v_max3_f32 v149, v150, 0xff7fffff, v149
	v_or_b32_e32 v161, 18, v152
	v_mul_f32_e32 v144, s33, v197
	v_dual_mul_f32 v172, s33, v132 :: v_dual_mul_f32 v143, s33, v198
	v_lshlrev_b32_e32 v154, 2, v151
	v_cndmask_b32_e64 v146, 0xff7fffff, v146, s5
	v_cndmask_b32_e64 v145, 0xff7fffff, v145, s6
	v_max3_f32 v147, v149, v148, v147
	v_cmp_gt_i32_e64 s7, s28, v158
	v_cmp_gt_i32_e64 s8, s28, v159
	v_or_b32_e32 v162, 20, v152
	v_or_b32_e32 v163, 22, v152
	v_mul_f32_e32 v175, s33, v129
	v_cndmask_b32_e64 v144, 0xff7fffff, v144, s7
	v_cndmask_b32_e64 v143, 0xff7fffff, v143, s8
	v_max3_f32 v145, v147, v146, v145
	v_cmp_gt_i32_e64 s9, s28, v160
	v_cmp_gt_i32_e64 s10, s28, v161
	v_or_b32_e32 v164, 24, v152
	v_or_b32_e32 v165, 26, v152
	v_mul_f32_e32 v173, s33, v131
	v_cndmask_b32_e64 v146, 0xff7fffff, v175, s9
	v_cndmask_b32_e64 v147, 0xff7fffff, v174, s10
	v_max3_f32 v143, v145, v144, v143
	v_cmp_gt_i32_e64 s11, s28, v162
	v_cmp_gt_i32_e64 s12, s28, v163
	v_or_b32_e32 v166, 28, v152
	v_or_b32_e32 v167, 30, v152
	v_dual_mul_f32 v170, s33, v134 :: v_dual_mul_f32 v171, s33, v133
	v_cndmask_b32_e64 v144, 0xff7fffff, v173, s11
	v_cndmask_b32_e64 v145, 0xff7fffff, v172, s12
	v_max3_f32 v143, v143, v146, v147
	v_cmp_gt_i32_e64 s13, s28, v164
	v_cmp_gt_i32_e64 s15, s28, v165
	v_dual_mul_f32 v168, s33, v136 :: v_dual_mul_f32 v169, s33, v135
	s_delay_alu instid0(VALU_DEP_4) | instskip(NEXT) | instid1(VALU_DEP_4)
	v_max3_f32 v143, v143, v144, v145
	v_cndmask_b32_e64 v146, 0xff7fffff, v171, s13
	s_delay_alu instid0(VALU_DEP_4) | instskip(SKIP_2) | instid1(VALU_DEP_3)
	v_cndmask_b32_e64 v147, 0xff7fffff, v170, s15
	v_cmp_gt_i32_e64 s16, s28, v166
	v_cmp_gt_i32_e64 s17, s28, v167
	v_max3_f32 v143, v143, v146, v147
	s_delay_alu instid0(VALU_DEP_3) | instskip(NEXT) | instid1(VALU_DEP_3)
	v_cndmask_b32_e64 v144, 0xff7fffff, v169, s16
	v_cndmask_b32_e64 v145, 0xff7fffff, v168, s17
	s_delay_alu instid0(VALU_DEP_1) | instskip(SKIP_3) | instid1(VALU_DEP_1)
	v_max3_f32 v143, v143, v144, v145
	ds_bpermute_b32 v144, v154, v143
	s_waitcnt lgkmcnt(0)
	v_max_f32_e32 v144, v144, v144
	v_max_f32_e32 v153, v143, v144
	s_delay_alu instid0(VALU_DEP_1)
	v_fma_f32 v146, s33, v194, -v153
	v_fma_f32 v143, s33, v191, -v153
	;; [unrolled: 1-line block ×5, first 2 shown]
	v_mul_f32_e32 v146, 0x3fb8aa3b, v146
	v_fma_f32 v150, s33, v197, -v153
	s_delay_alu instid0(VALU_DEP_4) | instskip(NEXT) | instid1(VALU_DEP_4)
	v_dual_mul_f32 v147, 0x3fb8aa3b, v147 :: v_dual_mul_f32 v144, 0x3fb8aa3b, v144
	v_mul_f32_e32 v130, 0x3fb8aa3b, v130
	s_delay_alu instid0(VALU_DEP_4) | instskip(NEXT) | instid1(VALU_DEP_3)
	v_exp_f32_e32 v149, v146
	v_mul_f32_e32 v150, 0x3fb8aa3b, v150
	s_delay_alu instid0(VALU_DEP_3)
	v_exp_f32_e32 v151, v147
	v_exp_f32_e32 v144, v144
	v_fma_f32 v145, s33, v193, -v153
	v_fma_f32 v148, s33, v196, -v153
	v_exp_f32_e32 v152, v150
	v_fma_f32 v129, s33, v129, -v153
	v_fma_f32 v131, s33, v131, -v153
	;; [unrolled: 1-line block ×3, first 2 shown]
	v_cndmask_b32_e64 v149, 0, v149, s4
	v_mul_f32_e32 v143, 0x3fb8aa3b, v143
	v_cndmask_b32_e64 v150, 0, v151, s5
	v_cndmask_b32_e64 v146, 0, v144, s2
	v_dual_mul_f32 v148, 0x3fb8aa3b, v148 :: v_dual_mul_f32 v131, 0x3fb8aa3b, v131
	v_mul_f32_e32 v132, 0x3fb8aa3b, v132
	v_exp_f32_e32 v143, v143
	v_exp_f32_e32 v130, v130
	s_delay_alu instid0(VALU_DEP_2)
	v_exp_f32_e32 v148, v148
	v_fma_f32 v133, s33, v133, -v153
	v_fma_f32 v134, s33, v134, -v153
	;; [unrolled: 1-line block ×3, first 2 shown]
	s_mov_b32 s2, exec_lo
	s_delay_alu instid0(TRANS32_DEP_3) | instid1(VALU_DEP_2)
	v_dual_mul_f32 v134, 0x3fb8aa3b, v134 :: v_dual_cndmask_b32 v143, 0, v143
	s_waitcnt_depctr 0xfff
	v_cndmask_b32_e64 v151, 0, v148, s6
	v_cndmask_b32_e64 v148, 0, v152, s7
	v_add_f32_e32 v144, 0, v143
	s_delay_alu instid0(VALU_DEP_1) | instskip(NEXT) | instid1(VALU_DEP_1)
	v_dual_add_f32 v144, v144, v146 :: v_dual_mul_f32 v145, 0x3fb8aa3b, v145
	v_exp_f32_e32 v145, v145
	s_waitcnt_depctr 0xfff
	v_cndmask_b32_e64 v147, 0, v145, s3
	v_fma_f32 v145, s33, v198, -v153
	s_delay_alu instid0(VALU_DEP_2) | instskip(NEXT) | instid1(VALU_DEP_1)
	v_add_f32_e32 v144, v144, v147
	v_add_f32_e32 v144, v144, v149
	s_delay_alu instid0(VALU_DEP_1) | instskip(NEXT) | instid1(VALU_DEP_1)
	v_dual_add_f32 v144, v144, v150 :: v_dual_mul_f32 v145, 0x3fb8aa3b, v145
	v_dual_add_f32 v144, v144, v151 :: v_dual_mul_f32 v129, 0x3fb8aa3b, v129
	s_delay_alu instid0(VALU_DEP_2) | instskip(NEXT) | instid1(VALU_DEP_1)
	v_exp_f32_e32 v145, v145
	v_add_f32_e32 v144, v144, v148
	s_delay_alu instid0(VALU_DEP_2) | instskip(SKIP_4) | instid1(VALU_DEP_2)
	v_exp_f32_e32 v129, v129
	s_waitcnt_depctr 0xfff
	v_cndmask_b32_e64 v152, 0, v145, s8
	v_exp_f32_e32 v145, v131
	v_cndmask_b32_e64 v131, 0, v129, s9
	v_add_f32_e32 v129, v144, v152
	v_exp_f32_e32 v144, v132
	v_cndmask_b32_e64 v132, 0, v130, s10
	v_fma_f32 v130, s33, v135, -v153
	v_mul_f32_e32 v133, 0x3fb8aa3b, v133
	s_delay_alu instid0(VALU_DEP_2) | instskip(NEXT) | instid1(VALU_DEP_2)
	v_dual_add_f32 v129, v129, v131 :: v_dual_mul_f32 v130, 0x3fb8aa3b, v130
	v_exp_f32_e32 v135, v133
	s_delay_alu instid0(TRANS32_DEP_3) | instskip(SKIP_1) | instid1(TRANS32_DEP_3)
	v_cndmask_b32_e64 v133, 0, v145, s11
	v_exp_f32_e32 v145, v134
	v_cndmask_b32_e64 v134, 0, v144, s12
	v_mul_f32_e32 v144, 0x3fb8aa3b, v136
	v_add_f32_e32 v129, v129, v132
	v_exp_f32_e32 v130, v130
	s_delay_alu instid0(VALU_DEP_1) | instskip(NEXT) | instid1(TRANS32_DEP_3)
	v_add_f32_e32 v129, v129, v133
	v_cndmask_b32_e64 v135, 0, v135, s13
	s_delay_alu instid0(TRANS32_DEP_2) | instskip(SKIP_1) | instid1(VALU_DEP_3)
	v_cndmask_b32_e64 v136, 0, v145, s15
	v_exp_f32_e32 v145, v144
	v_add_f32_e32 v129, v129, v134
	s_waitcnt_depctr 0xfff
	v_cndmask_b32_e64 v144, 0, v130, s16
	v_add_f32_e32 v129, v129, v135
	v_cndmask_b32_e64 v145, 0, v145, s17
	s_delay_alu instid0(VALU_DEP_2) | instskip(NEXT) | instid1(VALU_DEP_1)
	v_add_f32_e32 v129, v129, v136
	v_add_f32_e32 v129, v129, v144
	s_delay_alu instid0(VALU_DEP_1)
	v_add_f32_e32 v129, v129, v145
	ds_bpermute_b32 v130, v154, v129
	v_cmpx_gt_u32_e32 16, v142
	s_cbranch_execz .LBB633_12
; %bb.11:
	v_mul_u32_u24_e32 v142, 0x44, v140
	s_waitcnt lgkmcnt(0)
	v_add_f32_e32 v129, v129, v130
	s_delay_alu instid0(VALU_DEP_2) | instskip(NEXT) | instid1(VALU_DEP_1)
	v_lshl_add_u32 v142, v141, 2, v142
	v_add_nc_u32_e32 v130, 0x4000, v142
	ds_store_2addr_b32 v130, v153, v129 offset1:136
.LBB633_12:
	s_or_b32 exec_lo, exec_lo, s2
	v_lshlrev_b32_e32 v129, 2, v141
	s_waitcnt lgkmcnt(0)
	s_barrier
	buffer_gl0_inv
	v_cmp_eq_u32_e64 s2, 1, v140
	v_add_nc_u32_e32 v142, 0x4000, v129
	ds_load_2addr_b32 v[153:154], v142 offset1:17
	ds_load_2addr_b32 v[155:156], v142 offset0:34 offset1:51
	ds_load_2addr_b32 v[157:158], v142 offset0:68 offset1:85
	;; [unrolled: 1-line block ×4, first 2 shown]
	s_waitcnt lgkmcnt(4)
	v_max3_f32 v129, v153, 0xff7fffff, v154
	s_waitcnt lgkmcnt(3)
	s_delay_alu instid0(VALU_DEP_1) | instskip(SKIP_1) | instid1(VALU_DEP_1)
	v_max3_f32 v129, v129, v155, v156
	s_waitcnt lgkmcnt(2)
	v_max3_f32 v129, v129, v157, v158
	s_waitcnt lgkmcnt(1)
	s_delay_alu instid0(VALU_DEP_1) | instskip(NEXT) | instid1(VALU_DEP_1)
	v_max3_f32 v129, v129, v159, v160
	v_sub_f32_e32 v163, v154, v129
	v_sub_f32_e32 v130, v153, v129
	ds_load_2addr_b32 v[153:154], v142 offset0:170 offset1:187
	v_sub_f32_e32 v155, v155, v129
	v_dual_mul_f32 v163, 0x3fb8aa3b, v163 :: v_dual_mul_f32 v130, 0x3fb8aa3b, v130
	s_delay_alu instid0(VALU_DEP_2) | instskip(NEXT) | instid1(VALU_DEP_2)
	v_mul_f32_e32 v165, 0x3fb8aa3b, v155
	v_exp_f32_e32 v163, v163
	s_delay_alu instid0(VALU_DEP_2)
	v_exp_f32_e32 v164, v130
	v_sub_f32_e32 v130, v156, v129
	ds_load_2addr_b32 v[155:156], v142 offset0:204 offset1:221
	v_exp_f32_e32 v165, v165
	v_mul_f32_e32 v166, 0x3fb8aa3b, v130
	s_waitcnt lgkmcnt(2)
	v_fma_f32 v130, v164, v161, 0
	v_sub_f32_e32 v157, v157, v129
	s_delay_alu instid0(VALU_DEP_3) | instskip(NEXT) | instid1(VALU_DEP_2)
	v_exp_f32_e32 v166, v166
	v_dual_sub_f32 v161, v158, v129 :: v_dual_fmac_f32 v130, v163, v162
	s_waitcnt lgkmcnt(1)
	s_waitcnt_depctr 0xfff
	v_fmac_f32_e32 v130, v165, v153
	v_mul_f32_e32 v167, 0x3fb8aa3b, v157
	ds_load_2addr_b32 v[157:158], v142 offset0:238 offset1:255
	v_sub_f32_e32 v142, v159, v129
	v_dual_sub_f32 v153, v160, v129 :: v_dual_fmac_f32 v130, v166, v154
	v_mul_f32_e32 v159, 0x3fb8aa3b, v161
	v_exp_f32_e32 v161, v167
	s_delay_alu instid0(VALU_DEP_2)
	v_dual_mul_f32 v142, 0x3fb8aa3b, v142 :: v_dual_mul_f32 v153, 0x3fb8aa3b, v153
	s_waitcnt lgkmcnt(0)
	s_barrier
	buffer_gl0_inv
	v_exp_f32_e32 v142, v142
	v_exp_f32_e32 v153, v153
	v_fmac_f32_e32 v130, v161, v155
	v_exp_f32_e32 v159, v159
	s_waitcnt_depctr 0xfff
	v_fmac_f32_e32 v130, v159, v156
	s_delay_alu instid0(VALU_DEP_1) | instskip(NEXT) | instid1(VALU_DEP_1)
	v_fmac_f32_e32 v130, v142, v157
	v_fmac_f32_e32 v130, v153, v158
	s_delay_alu instid0(VALU_DEP_1) | instskip(NEXT) | instid1(VALU_DEP_1)
	v_add_f32_e32 v154, 0x358637bd, v130
	v_div_scale_f32 v155, null, v154, v154, 1.0
	v_div_scale_f32 v158, vcc_lo, 1.0, v154, 1.0
	s_delay_alu instid0(VALU_DEP_2) | instskip(SKIP_2) | instid1(VALU_DEP_1)
	v_rcp_f32_e32 v156, v155
	s_waitcnt_depctr 0xfff
	v_fma_f32 v157, -v155, v156, 1.0
	v_fmac_f32_e32 v156, v157, v156
	v_cndmask_b32_e64 v157, v164, v163, s2
	v_cmp_eq_u32_e64 s2, 2, v140
	s_delay_alu instid0(VALU_DEP_3) | instskip(NEXT) | instid1(VALU_DEP_2)
	v_mul_f32_e32 v160, v158, v156
	v_cndmask_b32_e64 v157, v157, v165, s2
	v_cmp_eq_u32_e64 s2, 3, v140
	s_delay_alu instid0(VALU_DEP_3) | instskip(NEXT) | instid1(VALU_DEP_2)
	v_fma_f32 v162, -v155, v160, v158
	v_cndmask_b32_e64 v157, v157, v166, s2
	v_cmp_eq_u32_e64 s2, 4, v140
	s_delay_alu instid0(VALU_DEP_3) | instskip(NEXT) | instid1(VALU_DEP_2)
	v_fmac_f32_e32 v160, v162, v156
	v_cndmask_b32_e64 v157, v157, v161, s2
	s_delay_alu instid0(VALU_DEP_2) | instskip(SKIP_1) | instid1(VALU_DEP_2)
	v_fma_f32 v155, -v155, v160, v158
	v_cmp_eq_u32_e64 s2, 5, v140
	v_div_fmas_f32 v155, v155, v156, v160
	s_delay_alu instid0(VALU_DEP_2) | instskip(SKIP_2) | instid1(VALU_DEP_3)
	v_cndmask_b32_e64 v157, v157, v159, s2
	v_cmp_eq_u32_e32 vcc_lo, 6, v140
	s_mov_b32 s2, exec_lo
	v_div_fixup_f32 v154, v155, v154, 1.0
	s_delay_alu instid0(VALU_DEP_3) | instskip(SKIP_1) | instid1(VALU_DEP_2)
	v_cndmask_b32_e32 v142, v157, v142, vcc_lo
	v_cmp_eq_u32_e32 vcc_lo, 7, v140
	v_cndmask_b32_e32 v142, v142, v153, vcc_lo
	s_delay_alu instid0(VALU_DEP_1) | instskip(NEXT) | instid1(VALU_DEP_1)
	v_mul_f32_e32 v142, v142, v154
	v_mul_f32_e32 v151, v142, v151
	;; [unrolled: 1-line block ×7, first 2 shown]
	v_dual_mul_f32 v150, v142, v147 :: v_dual_and_b32 v155, 0x7f800000, v154
	v_mul_f32_e32 v149, v142, v146
                                        ; implicit-def: $vgpr146
	s_delay_alu instid0(VALU_DEP_2)
	v_cmpx_ne_u32_e32 0x7f800000, v155
	s_xor_b32 s2, exec_lo, s2
; %bb.13:
	v_bfe_u32 v146, v154, 16, 1
	s_delay_alu instid0(VALU_DEP_1)
	v_add3_u32 v146, v154, v146, 0x7fff
                                        ; implicit-def: $vgpr154
; %bb.14:
	s_and_not1_saveexec_b32 s2, s2
; %bb.15:
	v_and_b32_e32 v146, 0xffff, v154
	v_or_b32_e32 v147, 0x10000, v154
	s_delay_alu instid0(VALU_DEP_2) | instskip(NEXT) | instid1(VALU_DEP_2)
	v_cmp_eq_u32_e32 vcc_lo, 0, v146
	v_cndmask_b32_e32 v146, v147, v154, vcc_lo
; %bb.16:
	s_or_b32 exec_lo, exec_lo, s2
	v_and_b32_e32 v147, 0x7f800000, v149
	s_delay_alu instid0(VALU_DEP_1) | instskip(SKIP_1) | instid1(SALU_CYCLE_1)
	v_cmp_ne_u32_e32 vcc_lo, 0x7f800000, v147
                                        ; implicit-def: $vgpr147
	s_and_saveexec_b32 s2, vcc_lo
	s_xor_b32 s2, exec_lo, s2
; %bb.17:
	v_bfe_u32 v147, v149, 16, 1
	s_delay_alu instid0(VALU_DEP_1)
	v_add3_u32 v147, v149, v147, 0x7fff
                                        ; implicit-def: $vgpr149
; %bb.18:
	s_and_not1_saveexec_b32 s2, s2
; %bb.19:
	v_and_b32_e32 v147, 0xffff, v149
	v_or_b32_e32 v154, 0x10000, v149
	s_delay_alu instid0(VALU_DEP_2) | instskip(NEXT) | instid1(VALU_DEP_2)
	v_cmp_eq_u32_e32 vcc_lo, 0, v147
	v_cndmask_b32_e32 v147, v154, v149, vcc_lo
; %bb.20:
	s_or_b32 exec_lo, exec_lo, s2
	v_and_b32_e32 v149, 0x7f800000, v150
	s_delay_alu instid0(VALU_DEP_1) | instskip(SKIP_1) | instid1(SALU_CYCLE_1)
	v_cmp_ne_u32_e32 vcc_lo, 0x7f800000, v149
                                        ; implicit-def: $vgpr149
	s_and_saveexec_b32 s2, vcc_lo
	s_xor_b32 s2, exec_lo, s2
; %bb.21:
	v_bfe_u32 v149, v150, 16, 1
	s_delay_alu instid0(VALU_DEP_1)
	v_add3_u32 v149, v150, v149, 0x7fff
                                        ; implicit-def: $vgpr150
; %bb.22:
	s_and_not1_saveexec_b32 s2, s2
; %bb.23:
	v_and_b32_e32 v149, 0xffff, v150
	v_or_b32_e32 v154, 0x10000, v150
	s_delay_alu instid0(VALU_DEP_2) | instskip(NEXT) | instid1(VALU_DEP_2)
	v_cmp_eq_u32_e32 vcc_lo, 0, v149
	v_cndmask_b32_e32 v149, v154, v150, vcc_lo
; %bb.24:
	s_or_b32 exec_lo, exec_lo, s2
	v_and_b32_e32 v150, 0x7f800000, v153
	s_delay_alu instid0(VALU_DEP_1) | instskip(SKIP_1) | instid1(SALU_CYCLE_1)
	v_cmp_ne_u32_e32 vcc_lo, 0x7f800000, v150
                                        ; implicit-def: $vgpr150
	s_and_saveexec_b32 s2, vcc_lo
	s_xor_b32 s2, exec_lo, s2
; %bb.25:
	v_bfe_u32 v150, v153, 16, 1
	s_delay_alu instid0(VALU_DEP_1)
	v_add3_u32 v150, v153, v150, 0x7fff
                                        ; implicit-def: $vgpr153
; %bb.26:
	s_and_not1_saveexec_b32 s2, s2
; %bb.27:
	v_and_b32_e32 v150, 0xffff, v153
	v_or_b32_e32 v154, 0x10000, v153
	s_delay_alu instid0(VALU_DEP_2) | instskip(NEXT) | instid1(VALU_DEP_2)
	v_cmp_eq_u32_e32 vcc_lo, 0, v150
	v_cndmask_b32_e32 v150, v154, v153, vcc_lo
; %bb.28:
	s_or_b32 exec_lo, exec_lo, s2
	v_and_b32_e32 v153, 0x7f800000, v152
	s_delay_alu instid0(VALU_DEP_1) | instskip(SKIP_1) | instid1(SALU_CYCLE_1)
	v_cmp_ne_u32_e32 vcc_lo, 0x7f800000, v153
                                        ; implicit-def: $vgpr153
	s_and_saveexec_b32 s2, vcc_lo
	s_xor_b32 s2, exec_lo, s2
; %bb.29:
	v_bfe_u32 v153, v152, 16, 1
	s_delay_alu instid0(VALU_DEP_1)
	v_add3_u32 v153, v152, v153, 0x7fff
                                        ; implicit-def: $vgpr152
; %bb.30:
	s_and_not1_saveexec_b32 s2, s2
; %bb.31:
	v_and_b32_e32 v153, 0xffff, v152
	v_or_b32_e32 v154, 0x10000, v152
	s_delay_alu instid0(VALU_DEP_2) | instskip(NEXT) | instid1(VALU_DEP_2)
	v_cmp_eq_u32_e32 vcc_lo, 0, v153
	v_cndmask_b32_e32 v153, v154, v152, vcc_lo
; %bb.32:
	s_or_b32 exec_lo, exec_lo, s2
	v_and_b32_e32 v152, 0x7f800000, v151
	s_delay_alu instid0(VALU_DEP_1) | instskip(SKIP_1) | instid1(SALU_CYCLE_1)
	v_cmp_ne_u32_e32 vcc_lo, 0x7f800000, v152
                                        ; implicit-def: $vgpr152
	s_and_saveexec_b32 s2, vcc_lo
	s_xor_b32 s2, exec_lo, s2
; %bb.33:
	v_bfe_u32 v152, v151, 16, 1
	s_delay_alu instid0(VALU_DEP_1)
	v_add3_u32 v152, v151, v152, 0x7fff
                                        ; implicit-def: $vgpr151
; %bb.34:
	s_and_not1_saveexec_b32 s2, s2
; %bb.35:
	v_and_b32_e32 v152, 0xffff, v151
	v_or_b32_e32 v154, 0x10000, v151
	s_delay_alu instid0(VALU_DEP_2) | instskip(NEXT) | instid1(VALU_DEP_2)
	v_cmp_eq_u32_e32 vcc_lo, 0, v152
	v_cndmask_b32_e32 v152, v154, v151, vcc_lo
; %bb.36:
	s_or_b32 exec_lo, exec_lo, s2
	v_and_b32_e32 v151, 0x7f800000, v148
	s_delay_alu instid0(VALU_DEP_1) | instskip(SKIP_1) | instid1(SALU_CYCLE_1)
	v_cmp_ne_u32_e32 vcc_lo, 0x7f800000, v151
                                        ; implicit-def: $vgpr151
	s_and_saveexec_b32 s2, vcc_lo
	s_xor_b32 s2, exec_lo, s2
; %bb.37:
	v_bfe_u32 v151, v148, 16, 1
	s_delay_alu instid0(VALU_DEP_1)
	v_add3_u32 v151, v148, v151, 0x7fff
                                        ; implicit-def: $vgpr148
; %bb.38:
	s_and_not1_saveexec_b32 s2, s2
; %bb.39:
	v_and_b32_e32 v151, 0xffff, v148
	v_or_b32_e32 v154, 0x10000, v148
	s_delay_alu instid0(VALU_DEP_2) | instskip(NEXT) | instid1(VALU_DEP_2)
	v_cmp_eq_u32_e32 vcc_lo, 0, v151
	v_cndmask_b32_e32 v151, v154, v148, vcc_lo
; %bb.40:
	s_or_b32 exec_lo, exec_lo, s2
	v_and_b32_e32 v148, 0x7f800000, v143
	s_delay_alu instid0(VALU_DEP_1) | instskip(SKIP_1) | instid1(SALU_CYCLE_1)
	v_cmp_ne_u32_e32 vcc_lo, 0x7f800000, v148
                                        ; implicit-def: $vgpr148
	s_and_saveexec_b32 s2, vcc_lo
	s_xor_b32 s2, exec_lo, s2
; %bb.41:
	v_bfe_u32 v148, v143, 16, 1
	s_delay_alu instid0(VALU_DEP_1)
	v_add3_u32 v148, v143, v148, 0x7fff
                                        ; implicit-def: $vgpr143
; %bb.42:
	s_and_not1_saveexec_b32 s2, s2
; %bb.43:
	v_and_b32_e32 v148, 0xffff, v143
	v_or_b32_e32 v154, 0x10000, v143
	s_delay_alu instid0(VALU_DEP_2) | instskip(NEXT) | instid1(VALU_DEP_2)
	v_cmp_eq_u32_e32 vcc_lo, 0, v148
	v_cndmask_b32_e32 v148, v154, v143, vcc_lo
; %bb.44:
	s_or_b32 exec_lo, exec_lo, s2
	s_load_b64 s[34:35], s[0:1], 0x94
	v_dual_mul_f32 v144, v142, v144 :: v_dual_lshlrev_b32 v155, 4, v138
	s_delay_alu instid0(VALU_DEP_2)
	v_perm_b32 v154, v148, v151, 0x7060302
	v_dual_mul_f32 v136, v142, v136 :: v_dual_lshlrev_b32 v143, 6, v141
	v_lshlrev_b32_e32 v141, 11, v140
	v_perm_b32 v151, v147, v146, 0x7060302
	v_mul_f32_e32 v146, v142, v133
	v_mul_f32_e32 v147, v142, v131
	v_perm_b32 v153, v152, v153, 0x7060302
	v_perm_b32 v152, v150, v149, 0x7060302
	v_or3_b32 v131, v155, v141, v143
	s_delay_alu instid0(VALU_DEP_4)
	v_dual_mul_f32 v141, v142, v145 :: v_dual_and_b32 v148, 0x7f800000, v147
	v_mul_f32_e32 v135, v142, v135
	v_mul_f32_e32 v145, v142, v134
	;; [unrolled: 1-line block ×3, first 2 shown]
	s_mov_b32 s2, exec_lo
	ds_store_b128 v131, v[151:154]
                                        ; implicit-def: $vgpr132
	v_cmpx_ne_u32_e32 0x7f800000, v148
	s_xor_b32 s2, exec_lo, s2
; %bb.45:
	v_bfe_u32 v132, v147, 16, 1
	s_delay_alu instid0(VALU_DEP_1)
	v_add3_u32 v132, v147, v132, 0x7fff
                                        ; implicit-def: $vgpr147
; %bb.46:
	s_and_not1_saveexec_b32 s2, s2
; %bb.47:
	v_and_b32_e32 v132, 0xffff, v147
	v_or_b32_e32 v133, 0x10000, v147
	s_delay_alu instid0(VALU_DEP_2) | instskip(NEXT) | instid1(VALU_DEP_2)
	v_cmp_eq_u32_e32 vcc_lo, 0, v132
	v_cndmask_b32_e32 v132, v133, v147, vcc_lo
; %bb.48:
	s_or_b32 exec_lo, exec_lo, s2
	v_and_b32_e32 v133, 0x7f800000, v134
	s_delay_alu instid0(VALU_DEP_1) | instskip(SKIP_1) | instid1(SALU_CYCLE_1)
	v_cmp_ne_u32_e32 vcc_lo, 0x7f800000, v133
                                        ; implicit-def: $vgpr133
	s_and_saveexec_b32 s2, vcc_lo
	s_xor_b32 s2, exec_lo, s2
; %bb.49:
	v_bfe_u32 v133, v134, 16, 1
	s_delay_alu instid0(VALU_DEP_1)
	v_add3_u32 v133, v134, v133, 0x7fff
                                        ; implicit-def: $vgpr134
; %bb.50:
	s_and_not1_saveexec_b32 s2, s2
; %bb.51:
	v_and_b32_e32 v133, 0xffff, v134
	v_or_b32_e32 v142, 0x10000, v134
	s_delay_alu instid0(VALU_DEP_2) | instskip(NEXT) | instid1(VALU_DEP_2)
	v_cmp_eq_u32_e32 vcc_lo, 0, v133
	v_cndmask_b32_e32 v133, v142, v134, vcc_lo
; %bb.52:
	s_or_b32 exec_lo, exec_lo, s2
	v_and_b32_e32 v134, 0x7f800000, v146
	s_delay_alu instid0(VALU_DEP_1) | instskip(SKIP_1) | instid1(SALU_CYCLE_1)
	v_cmp_ne_u32_e32 vcc_lo, 0x7f800000, v134
                                        ; implicit-def: $vgpr134
	s_and_saveexec_b32 s2, vcc_lo
	s_xor_b32 s2, exec_lo, s2
; %bb.53:
	v_bfe_u32 v134, v146, 16, 1
	s_delay_alu instid0(VALU_DEP_1)
	v_add3_u32 v134, v146, v134, 0x7fff
                                        ; implicit-def: $vgpr146
; %bb.54:
	s_and_not1_saveexec_b32 s2, s2
; %bb.55:
	v_and_b32_e32 v134, 0xffff, v146
	v_or_b32_e32 v142, 0x10000, v146
	s_delay_alu instid0(VALU_DEP_2) | instskip(NEXT) | instid1(VALU_DEP_2)
	v_cmp_eq_u32_e32 vcc_lo, 0, v134
	v_cndmask_b32_e32 v134, v142, v146, vcc_lo
; %bb.56:
	s_or_b32 exec_lo, exec_lo, s2
	v_and_b32_e32 v142, 0x7f800000, v145
	s_delay_alu instid0(VALU_DEP_1) | instskip(SKIP_1) | instid1(SALU_CYCLE_1)
	v_cmp_ne_u32_e32 vcc_lo, 0x7f800000, v142
                                        ; implicit-def: $vgpr142
	s_and_saveexec_b32 s2, vcc_lo
	s_xor_b32 s2, exec_lo, s2
; %bb.57:
	v_bfe_u32 v142, v145, 16, 1
	s_delay_alu instid0(VALU_DEP_1)
	v_add3_u32 v142, v145, v142, 0x7fff
                                        ; implicit-def: $vgpr145
; %bb.58:
	s_and_not1_saveexec_b32 s2, s2
; %bb.59:
	v_and_b32_e32 v142, 0xffff, v145
	v_or_b32_e32 v146, 0x10000, v145
	s_delay_alu instid0(VALU_DEP_2) | instskip(NEXT) | instid1(VALU_DEP_2)
	v_cmp_eq_u32_e32 vcc_lo, 0, v142
	v_cndmask_b32_e32 v142, v146, v145, vcc_lo
; %bb.60:
	s_or_b32 exec_lo, exec_lo, s2
	v_and_b32_e32 v145, 0x7f800000, v135
	s_delay_alu instid0(VALU_DEP_1) | instskip(SKIP_1) | instid1(SALU_CYCLE_1)
	v_cmp_ne_u32_e32 vcc_lo, 0x7f800000, v145
                                        ; implicit-def: $vgpr145
	s_and_saveexec_b32 s2, vcc_lo
	s_xor_b32 s2, exec_lo, s2
; %bb.61:
	v_bfe_u32 v145, v135, 16, 1
	s_delay_alu instid0(VALU_DEP_1)
	v_add3_u32 v145, v135, v145, 0x7fff
                                        ; implicit-def: $vgpr135
; %bb.62:
	s_and_not1_saveexec_b32 s2, s2
; %bb.63:
	v_and_b32_e32 v145, 0xffff, v135
	v_or_b32_e32 v146, 0x10000, v135
	s_delay_alu instid0(VALU_DEP_2) | instskip(NEXT) | instid1(VALU_DEP_2)
	v_cmp_eq_u32_e32 vcc_lo, 0, v145
	v_cndmask_b32_e32 v145, v146, v135, vcc_lo
; %bb.64:
	s_or_b32 exec_lo, exec_lo, s2
	v_and_b32_e32 v135, 0x7f800000, v136
	s_delay_alu instid0(VALU_DEP_1) | instskip(SKIP_1) | instid1(SALU_CYCLE_1)
	v_cmp_ne_u32_e32 vcc_lo, 0x7f800000, v135
                                        ; implicit-def: $vgpr135
	s_and_saveexec_b32 s2, vcc_lo
	s_xor_b32 s2, exec_lo, s2
; %bb.65:
	v_bfe_u32 v135, v136, 16, 1
	s_delay_alu instid0(VALU_DEP_1)
	v_add3_u32 v135, v136, v135, 0x7fff
                                        ; implicit-def: $vgpr136
; %bb.66:
	s_and_not1_saveexec_b32 s2, s2
; %bb.67:
	v_and_b32_e32 v135, 0xffff, v136
	v_or_b32_e32 v146, 0x10000, v136
	s_delay_alu instid0(VALU_DEP_2) | instskip(NEXT) | instid1(VALU_DEP_2)
	v_cmp_eq_u32_e32 vcc_lo, 0, v135
	v_cndmask_b32_e32 v135, v146, v136, vcc_lo
; %bb.68:
	s_or_b32 exec_lo, exec_lo, s2
	v_and_b32_e32 v136, 0x7f800000, v144
	s_delay_alu instid0(VALU_DEP_1) | instskip(SKIP_1) | instid1(SALU_CYCLE_1)
	v_cmp_ne_u32_e32 vcc_lo, 0x7f800000, v136
                                        ; implicit-def: $vgpr136
	s_and_saveexec_b32 s2, vcc_lo
	s_xor_b32 s2, exec_lo, s2
; %bb.69:
	v_bfe_u32 v136, v144, 16, 1
	s_delay_alu instid0(VALU_DEP_1)
	v_add3_u32 v136, v144, v136, 0x7fff
                                        ; implicit-def: $vgpr144
; %bb.70:
	s_and_not1_saveexec_b32 s2, s2
; %bb.71:
	v_and_b32_e32 v136, 0xffff, v144
	v_or_b32_e32 v146, 0x10000, v144
	s_delay_alu instid0(VALU_DEP_2) | instskip(NEXT) | instid1(VALU_DEP_2)
	v_cmp_eq_u32_e32 vcc_lo, 0, v136
	v_cndmask_b32_e32 v136, v146, v144, vcc_lo
; %bb.72:
	s_or_b32 exec_lo, exec_lo, s2
	v_and_b32_e32 v144, 0x7f800000, v141
	s_delay_alu instid0(VALU_DEP_1) | instskip(SKIP_1) | instid1(SALU_CYCLE_1)
	v_cmp_ne_u32_e32 vcc_lo, 0x7f800000, v144
                                        ; implicit-def: $vgpr144
	s_and_saveexec_b32 s2, vcc_lo
	s_xor_b32 s2, exec_lo, s2
; %bb.73:
	v_bfe_u32 v144, v141, 16, 1
	s_delay_alu instid0(VALU_DEP_1)
	v_add3_u32 v144, v141, v144, 0x7fff
                                        ; implicit-def: $vgpr141
; %bb.74:
	s_and_not1_saveexec_b32 s2, s2
; %bb.75:
	v_and_b32_e32 v144, 0xffff, v141
	v_or_b32_e32 v146, 0x10000, v141
	s_delay_alu instid0(VALU_DEP_2) | instskip(NEXT) | instid1(VALU_DEP_2)
	v_cmp_eq_u32_e32 vcc_lo, 0, v144
	v_cndmask_b32_e32 v144, v146, v141, vcc_lo
; %bb.76:
	s_or_b32 exec_lo, exec_lo, s2
	s_delay_alu instid0(VALU_DEP_1)
	v_perm_b32 v136, v144, v136, 0x7060302
	v_perm_b32 v135, v135, v145, 0x7060302
	;; [unrolled: 1-line block ×4, first 2 shown]
	v_lshl_or_b32 v144, v140, 11, v143
	v_lshlrev_b32_e32 v141, 2, v138
	ds_store_b128 v131, v[133:136] offset:1024
	s_waitcnt lgkmcnt(0)
	s_barrier
	buffer_gl0_inv
	ds_load_b128 v[132:135], v144
	ds_load_b128 v[146:149], v144 offset:16
	v_or_b32_e32 v142, 1, v141
	v_cmp_eq_u32_e64 s11, 1, v141
	v_cmp_eq_u32_e64 s10, 2, v141
	;; [unrolled: 1-line block ×3, first 2 shown]
	v_or_b32_e32 v140, 2, v141
	v_cmp_eq_u32_e64 s6, 1, v142
	v_cmp_eq_u32_e64 s5, 2, v142
	;; [unrolled: 1-line block ×8, first 2 shown]
	v_cmp_eq_u32_e32 vcc_lo, 5, v142
	v_cmp_eq_u32_e64 s9, 2, v140
	v_cmp_eq_u32_e64 s3, 6, v142
	;; [unrolled: 1-line block ×4, first 2 shown]
	s_waitcnt lgkmcnt(1)
	v_lshrrev_b32_e32 v136, 16, v132
	s_waitcnt lgkmcnt(0)
	v_lshrrev_b32_e32 v154, 16, v146
	v_lshrrev_b32_e32 v160, 16, v147
	;; [unrolled: 1-line block ×4, first 2 shown]
	v_cndmask_b32_e64 v145, v132, v136, s11
	v_cndmask_b32_e64 v150, v146, v154, s11
	;; [unrolled: 1-line block ×4, first 2 shown]
	v_lshrrev_b32_e32 v159, 16, v134
	v_cndmask_b32_e64 v145, v145, v133, s10
	v_cndmask_b32_e64 v150, v150, v147, s10
	;; [unrolled: 1-line block ×8, first 2 shown]
	v_lshrrev_b32_e32 v163, 16, v149
	v_cndmask_b32_e64 v152, v152, v160, s4
	v_cndmask_b32_e64 v145, v145, v134, s16
	;; [unrolled: 1-line block ×5, first 2 shown]
	v_lshrrev_b32_e32 v161, 16, v135
	v_cndmask_b32_e64 v145, v145, v159, s12
	v_cndmask_b32_e64 v150, v150, v162, s12
	v_cndmask_b32_e32 v151, v151, v159, vcc_lo
	v_cndmask_b32_e64 v152, v152, v148, s2
	v_cmp_eq_u32_e64 s18, 7, v142
	v_cndmask_b32_e64 v145, v145, v135, s13
	v_cndmask_b32_e64 v150, v150, v149, s13
	;; [unrolled: 1-line block ×4, first 2 shown]
	v_cmp_eq_u32_e64 s19, 4, v140
	v_cndmask_b32_e64 v164, v145, v161, s8
	v_cndmask_b32_e64 v165, v150, v163, s8
	;; [unrolled: 1-line block ×3, first 2 shown]
	v_or_b32_e32 v145, 3, v141
	v_cndmask_b32_e64 v166, v151, v161, s18
	v_cndmask_b32_e32 v155, v152, v162, vcc_lo
	v_cndmask_b32_e64 v157, v153, v134, s19
	v_cndmask_b32_e64 v156, v150, v147, s9
	ds_load_b128 v[150:153], v144 offset:1024
	v_cmp_eq_u32_e64 s20, 1, v145
	v_cmp_eq_u32_e64 s21, 5, v140
	;; [unrolled: 1-line block ×3, first 2 shown]
	v_cndmask_b32_e64 v156, v156, v160, s17
	v_cmp_eq_u32_e64 s23, 3, v145
	v_cndmask_b32_e64 v132, v132, v136, s20
	v_cndmask_b32_e64 v136, v155, v149, s3
	;; [unrolled: 1-line block ×5, first 2 shown]
	ds_load_b128 v[154:157], v144 offset:1040
	v_cndmask_b32_e64 v132, v132, v133, s22
	v_cmp_eq_u32_e64 s25, 4, v145
	v_cmp_eq_u32_e64 s27, 5, v145
	v_cndmask_b32_e64 v146, v146, v147, s22
	v_cmp_eq_u32_e64 s24, 6, v140
	v_cndmask_b32_e64 v132, v132, v158, s23
	;; [unrolled: 2-line block ×3, first 2 shown]
	v_cndmask_b32_e64 v146, v146, v160, s23
	s_waitcnt lgkmcnt(1)
	v_lshrrev_b32_e32 v158, 16, v150
	v_cndmask_b32_e64 v132, v132, v134, s25
	v_cndmask_b32_e64 v147, v167, v135, s24
	;; [unrolled: 1-line block ×6, first 2 shown]
	v_lshrrev_b32_e32 v159, 16, v151
	v_cndmask_b32_e64 v160, v150, v158, s6
	v_cndmask_b32_e64 v134, v134, v162, s27
	s_waitcnt lgkmcnt(0)
	v_lshrrev_b32_e32 v148, 16, v154
	v_cndmask_b32_e64 v146, v146, v151, s10
	v_cndmask_b32_e64 v132, v132, v135, s28
	v_cmp_eq_u32_e64 s26, 7, v140
	v_cndmask_b32_e64 v134, v134, v149, s28
	v_cndmask_b32_e64 v162, v154, v148, s11
	;; [unrolled: 1-line block ×4, first 2 shown]
	v_lshrrev_b32_e32 v160, 16, v155
	v_cndmask_b32_e64 v136, v136, v163, s18
	v_cndmask_b32_e64 v149, v162, v155, s10
	v_cmp_eq_u32_e64 s10, 7, v145
	v_cndmask_b32_e64 v146, v146, v159, s4
	v_cndmask_b32_e64 v135, v135, v152, s16
	v_lshrrev_b32_e32 v162, 16, v152
	v_cndmask_b32_e64 v149, v149, v160, s15
	v_cndmask_b32_e64 v132, v132, v161, s10
	;; [unrolled: 1-line block ×8, first 2 shown]
	v_lshrrev_b32_e32 v163, 16, v156
	v_perm_b32 v135, v134, v132, 0x5040100
	v_cndmask_b32_e32 v132, v146, v162, vcc_lo
	v_cndmask_b32_e64 v146, v161, v153, s13
	v_lshrrev_b32_e32 v161, 16, v153
	v_cndmask_b32_e64 v149, v149, v163, s12
	v_perm_b32 v134, v133, v147, 0x5040100
	v_cndmask_b32_e64 v132, v132, v153, s3
	v_perm_b32 v133, v136, v166, 0x5040100
	v_cndmask_b32_e64 v136, v146, v161, s8
	v_cndmask_b32_e64 v146, v149, v157, s13
	;; [unrolled: 1-line block ×27, first 2 shown]
	v_cndmask_b32_e32 v148, v148, v163, vcc_lo
	v_lshrrev_b32_e32 v147, 16, v157
	v_cndmask_b32_e64 v132, v132, v153, s24
	v_cndmask_b32_e64 v149, v149, v153, s28
	;; [unrolled: 1-line block ×11, first 2 shown]
	v_perm_b32 v132, v165, v164, 0x5040100
	v_perm_b32 v149, v150, v149, 0x5040100
	;; [unrolled: 1-line block ×5, first 2 shown]
	s_lshl_b32 s7, s35, 2
	s_mov_b32 s2, exec_lo
	ds_store_b128 v131, v[132:135]
	ds_store_b128 v131, v[146:149] offset:1024
	v_cmpx_gt_u32_e32 4, v0
	s_cbranch_execz .LBB633_78
; %bb.77:
	v_or_b32_e32 v131, s29, v0
	s_load_b128 s[8:11], s[0:1], 0x58
	s_delay_alu instid0(VALU_DEP_1) | instskip(NEXT) | instid1(VALU_DEP_1)
	v_mad_u64_u32 v[132:133], null, s7, s30, v[131:132]
	v_mad_u64_u32 v[133:134], null, v132, s34, s[14:15]
	s_delay_alu instid0(VALU_DEP_1) | instskip(NEXT) | instid1(VALU_DEP_1)
	v_ashrrev_i32_e32 v134, 31, v133
	v_lshlrev_b64 v[131:132], 2, v[133:134]
	s_waitcnt lgkmcnt(0)
	s_delay_alu instid0(VALU_DEP_1) | instskip(NEXT) | instid1(VALU_DEP_2)
	v_add_co_u32 v133, vcc_lo, s10, v131
	v_add_co_ci_u32_e32 v134, vcc_lo, s11, v132, vcc_lo
	v_add_co_u32 v131, vcc_lo, s8, v131
	v_add_co_ci_u32_e32 v132, vcc_lo, s9, v132, vcc_lo
	global_store_b32 v[133:134], v129, off
	global_store_b32 v[131:132], v130, off
.LBB633_78:
	s_or_b32 exec_lo, exec_lo, s2
	s_waitcnt lgkmcnt(0)
	s_waitcnt_vscnt null, 0x0
	s_barrier
	buffer_gl0_inv
	ds_load_b128 v[146:149], v143
	ds_load_b128 v[150:153], v143 offset:16
	ds_load_b128 v[158:161], v143 offset:1040
	ds_load_b128 v[154:157], v143 offset:1024
	v_mov_b32_e32 v129, 0
	ds_load_b128 v[166:169], v143 offset:2064
	ds_load_b128 v[162:165], v143 offset:2048
	;; [unrolled: 1-line block ×6, first 2 shown]
	v_mov_b32_e32 v130, v129
	v_mov_b32_e32 v131, v129
	;; [unrolled: 1-line block ×7, first 2 shown]
	s_waitcnt lgkmcnt(8)
	s_delay_alu instid0(VALU_DEP_1)
	v_wmma_f32_16x16x16_bf16 v[129:136], v[121:128], v[146:153], v[129:136]
	ds_load_b128 v[125:128], v143 offset:5136
	ds_load_b128 v[121:124], v143 offset:5120
	s_waitcnt lgkmcnt(8)
	v_wmma_f32_16x16x16_bf16 v[129:136], v[113:120], v[154:161], v[129:136]
	ds_load_b128 v[117:120], v143 offset:6160
	ds_load_b128 v[113:116], v143 offset:6144
	s_waitcnt lgkmcnt(8)
	;; [unrolled: 4-line block ×8, first 2 shown]
	v_wmma_f32_16x16x16_bf16 v[129:136], v[65:72], v[97:104], v[129:136]
	s_waitcnt lgkmcnt(6)
	s_delay_alu instid0(VALU_DEP_1)
	v_wmma_f32_16x16x16_bf16 v[129:136], v[49:56], v[89:96], v[129:136]
	ds_load_b128 v[53:56], v143 offset:13328
	ds_load_b128 v[49:52], v143 offset:13312
	s_waitcnt lgkmcnt(6)
	v_wmma_f32_16x16x16_bf16 v[129:136], v[41:48], v[81:88], v[129:136]
	ds_load_b128 v[45:48], v143 offset:14352
	ds_load_b128 v[41:44], v143 offset:14336
	s_waitcnt lgkmcnt(6)
	;; [unrolled: 4-line block ×3, first 2 shown]
	v_wmma_f32_16x16x16_bf16 v[129:136], v[1:8], v[57:64], v[129:136]
	s_waitcnt lgkmcnt(4)
	s_delay_alu instid0(VALU_DEP_1) | instskip(SKIP_1) | instid1(VALU_DEP_1)
	v_wmma_f32_16x16x16_bf16 v[129:136], v[25:32], v[49:56], v[129:136]
	s_waitcnt lgkmcnt(2)
	v_wmma_f32_16x16x16_bf16 v[129:136], v[33:40], v[41:48], v[129:136]
	s_waitcnt lgkmcnt(0)
	s_delay_alu instid0(VALU_DEP_1) | instskip(NEXT) | instid1(VALU_DEP_1)
	v_wmma_f32_16x16x16_bf16 v[129:136], v[9:16], v[17:24], v[129:136]
	v_and_b32_e32 v1, 0x7f800000, v129
	s_delay_alu instid0(VALU_DEP_1) | instskip(SKIP_1) | instid1(SALU_CYCLE_1)
	v_cmp_ne_u32_e32 vcc_lo, 0x7f800000, v1
                                        ; implicit-def: $vgpr1
	s_and_saveexec_b32 s2, vcc_lo
	s_xor_b32 s2, exec_lo, s2
; %bb.79:
	v_bfe_u32 v1, v129, 16, 1
	s_delay_alu instid0(VALU_DEP_1)
	v_add3_u32 v1, v129, v1, 0x7fff
; %bb.80:
	s_and_not1_saveexec_b32 s2, s2
; %bb.81:
	v_and_b32_e32 v1, 0xffff, v129
	v_or_b32_e32 v2, 0x10000, v129
	s_delay_alu instid0(VALU_DEP_2) | instskip(NEXT) | instid1(VALU_DEP_2)
	v_cmp_eq_u32_e32 vcc_lo, 0, v1
	v_cndmask_b32_e32 v1, v2, v129, vcc_lo
; %bb.82:
	s_or_b32 exec_lo, exec_lo, s2
	v_and_b32_e32 v2, 0x7f800000, v130
	s_delay_alu instid0(VALU_DEP_1) | instskip(SKIP_1) | instid1(SALU_CYCLE_1)
	v_cmp_ne_u32_e32 vcc_lo, 0x7f800000, v2
                                        ; implicit-def: $vgpr2
	s_and_saveexec_b32 s2, vcc_lo
	s_xor_b32 s2, exec_lo, s2
; %bb.83:
	v_bfe_u32 v2, v130, 16, 1
	s_delay_alu instid0(VALU_DEP_1)
	v_add3_u32 v2, v130, v2, 0x7fff
; %bb.84:
	s_and_not1_saveexec_b32 s2, s2
; %bb.85:
	v_and_b32_e32 v2, 0xffff, v130
	v_or_b32_e32 v3, 0x10000, v130
	s_delay_alu instid0(VALU_DEP_2) | instskip(NEXT) | instid1(VALU_DEP_2)
	v_cmp_eq_u32_e32 vcc_lo, 0, v2
	v_cndmask_b32_e32 v2, v3, v130, vcc_lo
; %bb.86:
	s_or_b32 exec_lo, exec_lo, s2
	v_and_b32_e32 v3, 0x7f800000, v131
	s_delay_alu instid0(VALU_DEP_1) | instskip(SKIP_1) | instid1(SALU_CYCLE_1)
	v_cmp_ne_u32_e32 vcc_lo, 0x7f800000, v3
                                        ; implicit-def: $vgpr3
	s_and_saveexec_b32 s2, vcc_lo
	s_xor_b32 s2, exec_lo, s2
; %bb.87:
	v_bfe_u32 v3, v131, 16, 1
	s_delay_alu instid0(VALU_DEP_1)
	v_add3_u32 v3, v131, v3, 0x7fff
; %bb.88:
	s_and_not1_saveexec_b32 s2, s2
; %bb.89:
	v_and_b32_e32 v3, 0xffff, v131
	v_or_b32_e32 v4, 0x10000, v131
	s_delay_alu instid0(VALU_DEP_2) | instskip(NEXT) | instid1(VALU_DEP_2)
	v_cmp_eq_u32_e32 vcc_lo, 0, v3
	v_cndmask_b32_e32 v3, v4, v131, vcc_lo
; %bb.90:
	s_or_b32 exec_lo, exec_lo, s2
	v_and_b32_e32 v4, 0x7f800000, v132
	s_delay_alu instid0(VALU_DEP_1) | instskip(SKIP_1) | instid1(SALU_CYCLE_1)
	v_cmp_ne_u32_e32 vcc_lo, 0x7f800000, v4
                                        ; implicit-def: $vgpr4
	s_and_saveexec_b32 s2, vcc_lo
	s_xor_b32 s2, exec_lo, s2
; %bb.91:
	v_bfe_u32 v4, v132, 16, 1
	s_delay_alu instid0(VALU_DEP_1)
	v_add3_u32 v4, v132, v4, 0x7fff
; %bb.92:
	s_and_not1_saveexec_b32 s2, s2
; %bb.93:
	v_and_b32_e32 v4, 0xffff, v132
	v_or_b32_e32 v5, 0x10000, v132
	s_delay_alu instid0(VALU_DEP_2) | instskip(NEXT) | instid1(VALU_DEP_2)
	v_cmp_eq_u32_e32 vcc_lo, 0, v4
	v_cndmask_b32_e32 v4, v5, v132, vcc_lo
; %bb.94:
	s_or_b32 exec_lo, exec_lo, s2
	v_and_b32_e32 v5, 0x7f800000, v133
	s_delay_alu instid0(VALU_DEP_1) | instskip(SKIP_1) | instid1(SALU_CYCLE_1)
	v_cmp_ne_u32_e32 vcc_lo, 0x7f800000, v5
                                        ; implicit-def: $vgpr5
	s_and_saveexec_b32 s2, vcc_lo
	s_xor_b32 s2, exec_lo, s2
; %bb.95:
	v_bfe_u32 v5, v133, 16, 1
	s_delay_alu instid0(VALU_DEP_1)
	v_add3_u32 v5, v133, v5, 0x7fff
; %bb.96:
	s_and_not1_saveexec_b32 s2, s2
; %bb.97:
	v_and_b32_e32 v5, 0xffff, v133
	v_or_b32_e32 v6, 0x10000, v133
	s_delay_alu instid0(VALU_DEP_2) | instskip(NEXT) | instid1(VALU_DEP_2)
	v_cmp_eq_u32_e32 vcc_lo, 0, v5
	v_cndmask_b32_e32 v5, v6, v133, vcc_lo
; %bb.98:
	s_or_b32 exec_lo, exec_lo, s2
	v_and_b32_e32 v6, 0x7f800000, v134
	s_delay_alu instid0(VALU_DEP_1) | instskip(SKIP_1) | instid1(SALU_CYCLE_1)
	v_cmp_ne_u32_e32 vcc_lo, 0x7f800000, v6
                                        ; implicit-def: $vgpr6
	s_and_saveexec_b32 s2, vcc_lo
	s_xor_b32 s2, exec_lo, s2
; %bb.99:
	v_bfe_u32 v6, v134, 16, 1
	s_delay_alu instid0(VALU_DEP_1)
	v_add3_u32 v6, v134, v6, 0x7fff
; %bb.100:
	s_and_not1_saveexec_b32 s2, s2
; %bb.101:
	v_and_b32_e32 v6, 0xffff, v134
	v_or_b32_e32 v7, 0x10000, v134
	s_delay_alu instid0(VALU_DEP_2) | instskip(NEXT) | instid1(VALU_DEP_2)
	v_cmp_eq_u32_e32 vcc_lo, 0, v6
	v_cndmask_b32_e32 v6, v7, v134, vcc_lo
; %bb.102:
	s_or_b32 exec_lo, exec_lo, s2
	v_and_b32_e32 v7, 0x7f800000, v135
	s_delay_alu instid0(VALU_DEP_1) | instskip(SKIP_1) | instid1(SALU_CYCLE_1)
	v_cmp_ne_u32_e32 vcc_lo, 0x7f800000, v7
                                        ; implicit-def: $vgpr7
	s_and_saveexec_b32 s2, vcc_lo
	s_xor_b32 s2, exec_lo, s2
; %bb.103:
	v_bfe_u32 v7, v135, 16, 1
	s_delay_alu instid0(VALU_DEP_1)
	v_add3_u32 v7, v135, v7, 0x7fff
; %bb.104:
	s_and_not1_saveexec_b32 s2, s2
; %bb.105:
	v_and_b32_e32 v7, 0xffff, v135
	v_or_b32_e32 v8, 0x10000, v135
	s_delay_alu instid0(VALU_DEP_2) | instskip(NEXT) | instid1(VALU_DEP_2)
	v_cmp_eq_u32_e32 vcc_lo, 0, v7
	v_cndmask_b32_e32 v7, v8, v135, vcc_lo
; %bb.106:
	s_or_b32 exec_lo, exec_lo, s2
	v_and_b32_e32 v8, 0x7f800000, v136
	s_delay_alu instid0(VALU_DEP_1) | instskip(SKIP_1) | instid1(SALU_CYCLE_1)
	v_cmp_ne_u32_e32 vcc_lo, 0x7f800000, v8
                                        ; implicit-def: $vgpr8
	s_and_saveexec_b32 s2, vcc_lo
	s_xor_b32 s2, exec_lo, s2
; %bb.107:
	v_bfe_u32 v8, v136, 16, 1
	s_delay_alu instid0(VALU_DEP_1)
	v_add3_u32 v8, v136, v8, 0x7fff
                                        ; implicit-def: $vgpr129_vgpr130_vgpr131_vgpr132_vgpr133_vgpr134_vgpr135_vgpr136
; %bb.108:
	s_and_not1_saveexec_b32 s2, s2
; %bb.109:
	v_and_b32_e32 v8, 0xffff, v136
	v_or_b32_e32 v9, 0x10000, v136
	s_delay_alu instid0(VALU_DEP_2) | instskip(NEXT) | instid1(VALU_DEP_2)
	v_cmp_eq_u32_e32 vcc_lo, 0, v8
	v_cndmask_b32_e32 v8, v9, v136, vcc_lo
; %bb.110:
	s_or_b32 exec_lo, exec_lo, s2
	s_delay_alu instid0(VALU_DEP_1)
	v_perm_b32 v7, v8, v7, 0x7060302
	v_perm_b32 v6, v6, v5, 0x7060302
	;; [unrolled: 1-line block ×4, first 2 shown]
	v_lshl_or_b32 v9, v138, 4, v144
	s_barrier
	buffer_gl0_inv
	v_cmp_eq_u32_e32 vcc_lo, 1, v141
	ds_store_b128 v9, v[4:7]
	s_waitcnt lgkmcnt(0)
	s_barrier
	buffer_gl0_inv
	ds_load_b128 v[1:4], v144
	ds_load_b128 v[5:8], v144 offset:16
	v_cmp_eq_u32_e64 s3, 2, v141
	v_cmp_eq_u32_e64 s2, 1, v142
	;; [unrolled: 1-line block ×5, first 2 shown]
	s_waitcnt lgkmcnt(1)
	v_lshrrev_b32_e32 v10, 16, v1
	s_waitcnt lgkmcnt(0)
	v_lshrrev_b32_e32 v14, 16, v5
	v_lshrrev_b32_e32 v15, 16, v6
	;; [unrolled: 1-line block ×4, first 2 shown]
	v_cndmask_b32_e64 v20, v1, v10, s2
	v_cndmask_b32_e32 v19, v5, v14, vcc_lo
	v_cndmask_b32_e64 v21, v5, v14, s2
	v_lshrrev_b32_e32 v16, 16, v7
	v_cmp_eq_u32_e64 s2, 1, v140
	v_lshrrev_b32_e32 v13, 16, v4
	v_cndmask_b32_e64 v19, v19, v6, s3
	v_lshrrev_b32_e32 v17, 16, v8
	s_delay_alu instid0(VALU_DEP_4) | instskip(SKIP_1) | instid1(VALU_DEP_4)
	v_cndmask_b32_e64 v22, v1, v10, s2
	v_cndmask_b32_e64 v23, v5, v14, s2
	;; [unrolled: 1-line block ×3, first 2 shown]
	v_cndmask_b32_e32 v18, v1, v10, vcc_lo
	v_cmp_eq_u32_e32 vcc_lo, 2, v142
	v_cmp_eq_u32_e64 s2, 2, v145
	v_cndmask_b32_e64 v22, v22, v2, s6
	v_cndmask_b32_e32 v20, v20, v2, vcc_lo
	v_cndmask_b32_e32 v21, v21, v6, vcc_lo
	v_cmp_eq_u32_e32 vcc_lo, 4, v141
	v_cndmask_b32_e32 v19, v19, v7, vcc_lo
	v_cndmask_b32_e64 v18, v18, v2, s3
	v_cmp_eq_u32_e64 s3, 3, v142
	s_delay_alu instid0(VALU_DEP_2) | instskip(NEXT) | instid1(VALU_DEP_2)
	v_cndmask_b32_e64 v18, v18, v11, s4
	v_cndmask_b32_e64 v21, v21, v15, s3
	v_cmp_eq_u32_e64 s4, 5, v141
	s_delay_alu instid0(VALU_DEP_3) | instskip(SKIP_1) | instid1(VALU_DEP_3)
	v_cndmask_b32_e32 v18, v18, v3, vcc_lo
	v_cmp_eq_u32_e32 vcc_lo, 4, v142
	v_cndmask_b32_e64 v19, v19, v16, s4
	s_delay_alu instid0(VALU_DEP_3) | instskip(SKIP_4) | instid1(VALU_DEP_3)
	v_cndmask_b32_e64 v18, v18, v12, s4
	v_cndmask_b32_e32 v21, v21, v7, vcc_lo
	v_cndmask_b32_e64 v20, v20, v11, s3
	v_cmp_eq_u32_e64 s3, 5, v142
	v_cmp_eq_u32_e64 s4, 6, v141
	v_cndmask_b32_e32 v20, v20, v3, vcc_lo
	s_delay_alu instid0(VALU_DEP_3) | instskip(SKIP_1) | instid1(VALU_DEP_4)
	v_cndmask_b32_e64 v21, v21, v16, s3
	v_cmp_eq_u32_e32 vcc_lo, 6, v142
	v_cndmask_b32_e64 v18, v18, v4, s4
	v_cndmask_b32_e64 v19, v19, v8, s4
	;; [unrolled: 1-line block ×3, first 2 shown]
	v_cmp_eq_u32_e64 s3, 1, v145
	v_cmp_eq_u32_e64 s4, 7, v141
	s_delay_alu instid0(VALU_DEP_3) | instskip(NEXT) | instid1(VALU_DEP_3)
	v_cndmask_b32_e32 v20, v20, v4, vcc_lo
	v_cndmask_b32_e64 v1, v1, v10, s3
	v_cndmask_b32_e64 v5, v5, v14, s3
	v_cmp_eq_u32_e64 s3, 3, v140
	v_cndmask_b32_e64 v14, v23, v6, s6
	v_cmp_eq_u32_e64 s6, 3, v145
	v_cndmask_b32_e64 v1, v1, v2, s2
	v_cndmask_b32_e64 v2, v5, v6, s2
	;; [unrolled: 1-line block ×3, first 2 shown]
	v_cmp_eq_u32_e64 s2, 4, v140
	v_cndmask_b32_e64 v6, v14, v15, s3
	v_cndmask_b32_e64 v1, v1, v11, s6
	v_cmp_eq_u32_e64 s3, 4, v145
	v_cndmask_b32_e64 v2, v2, v15, s6
	v_cndmask_b32_e64 v5, v10, v3, s2
	;; [unrolled: 3-line block ×3, first 2 shown]
	v_cndmask_b32_e64 v2, v2, v7, s3
	v_cmp_eq_u32_e64 s2, 5, v145
	v_cndmask_b32_e64 v5, v5, v12, s6
	v_cmp_eq_u32_e64 s3, 6, v140
	;; [unrolled: 2-line block ×3, first 2 shown]
	v_cndmask_b32_e64 v1, v1, v12, s2
	v_cndmask_b32_e64 v2, v2, v16, s2
	v_cndmask_b32_e64 v5, v5, v4, s3
	v_cndmask_b32_e64 v3, v3, v8, s3
	v_cmp_eq_u32_e64 s2, 7, v145
	v_cndmask_b32_e64 v1, v1, v4, s6
	v_cndmask_b32_e64 v2, v2, v8, s6
	v_cmp_eq_u32_e64 s3, 7, v140
	v_cndmask_b32_e32 v4, v21, v8, vcc_lo
	v_cndmask_b32_e64 v18, v18, v13, s4
	v_cndmask_b32_e64 v20, v20, v13, s5
	;; [unrolled: 1-line block ×8, first 2 shown]
	s_mov_b32 s2, exec_lo
	v_perm_b32 v4, v2, v1, 0x5040100
	v_perm_b32 v3, v3, v5, 0x5040100
	;; [unrolled: 1-line block ×4, first 2 shown]
	ds_store_b128 v9, v[1:4]
	s_waitcnt lgkmcnt(0)
	s_barrier
	buffer_gl0_inv
	v_cmpx_gt_u32_e32 32, v0
	s_cbranch_execz .LBB633_2
; %bb.111:
	s_load_b64 s[0:1], s[0:1], 0x68
	v_lshlrev_b32_e32 v0, 10, v0
	v_or_b32_e32 v1, s29, v138
	s_lshl_b32 s4, s34, 7
	v_lshlrev_b32_e32 v2, 4, v139
	s_mul_i32 s2, s4, s30
	v_lshlrev_b32_e32 v3, 6, v138
	v_mul_lo_u32 v8, v1, s4
	v_and_b32_e32 v0, 0x3800, v0
	v_or_b32_e32 v1, 2, v1
	s_mul_i32 s2, s2, s7
	s_delay_alu instid0(SALU_CYCLE_1) | instskip(NEXT) | instid1(VALU_DEP_2)
	s_ashr_i32 s3, s2, 31
	v_or3_b32 v4, v0, v2, v3
	s_lshl_b64 s[2:3], s[2:3], 1
	v_mul_lo_u32 v10, v1, s4
	v_ashrrev_i32_e32 v9, 31, v8
	ds_load_b128 v[0:3], v4
	ds_load_b128 v[4:7], v4 offset:128
	s_waitcnt lgkmcnt(0)
	s_add_u32 s2, s0, s2
	s_addc_u32 s3, s1, s3
	s_lshl_b32 s0, s14, 7
	v_ashrrev_i32_e32 v11, 31, v10
	s_ashr_i32 s1, s0, 31
	v_lshlrev_b64 v[8:9], 1, v[8:9]
	s_lshl_b64 s[0:1], s[0:1], 1
	s_delay_alu instid0(SALU_CYCLE_1) | instskip(SKIP_2) | instid1(VALU_DEP_1)
	s_add_u32 s0, s2, s0
	s_addc_u32 s1, s3, s1
	v_add_co_u32 v12, s0, s0, v137
	v_add_co_ci_u32_e64 v13, null, s1, 0, s0
	v_lshlrev_b64 v[10:11], 1, v[10:11]
	s_delay_alu instid0(VALU_DEP_3) | instskip(NEXT) | instid1(VALU_DEP_3)
	v_add_co_u32 v8, vcc_lo, v12, v8
	v_add_co_ci_u32_e32 v9, vcc_lo, v13, v9, vcc_lo
	s_delay_alu instid0(VALU_DEP_3) | instskip(NEXT) | instid1(VALU_DEP_4)
	v_add_co_u32 v10, vcc_lo, v12, v10
	v_add_co_ci_u32_e32 v11, vcc_lo, v13, v11, vcc_lo
	s_clause 0x1
	global_store_b128 v[8:9], v[0:3], off
	global_store_b128 v[10:11], v[4:7], off
	s_nop 0
	s_sendmsg sendmsg(MSG_DEALLOC_VGPRS)
	s_endpgm
	.section	.rodata,"a",@progbits
	.p2align	6, 0x0
	.amdhsa_kernel _Z39paged_attention_ll4mi_QKV_mfma16_kernelI14__hip_bfloat16S0_LN4vllm18Fp8KVCacheDataTypeE0EhLi16ELi128ELi256ELb0ELi4EL8MFMAType0EEvPKT_PKT0_S9_ifPKiSB_SB_iPKfiiiPfSE_PS4_PT2_iSD_SD_
		.amdhsa_group_segment_fixed_size 17472
		.amdhsa_private_segment_fixed_size 0
		.amdhsa_kernarg_size 400
		.amdhsa_user_sgpr_count 13
		.amdhsa_user_sgpr_dispatch_ptr 0
		.amdhsa_user_sgpr_queue_ptr 0
		.amdhsa_user_sgpr_kernarg_segment_ptr 1
		.amdhsa_user_sgpr_dispatch_id 0
		.amdhsa_user_sgpr_private_segment_size 0
		.amdhsa_wavefront_size32 1
		.amdhsa_uses_dynamic_stack 0
		.amdhsa_enable_private_segment 0
		.amdhsa_system_sgpr_workgroup_id_x 1
		.amdhsa_system_sgpr_workgroup_id_y 1
		.amdhsa_system_sgpr_workgroup_id_z 1
		.amdhsa_system_sgpr_workgroup_info 0
		.amdhsa_system_vgpr_workitem_id 0
		.amdhsa_next_free_vgpr 218
		.amdhsa_next_free_sgpr 50
		.amdhsa_reserve_vcc 1
		.amdhsa_float_round_mode_32 0
		.amdhsa_float_round_mode_16_64 0
		.amdhsa_float_denorm_mode_32 3
		.amdhsa_float_denorm_mode_16_64 3
		.amdhsa_dx10_clamp 1
		.amdhsa_ieee_mode 1
		.amdhsa_fp16_overflow 0
		.amdhsa_workgroup_processor_mode 1
		.amdhsa_memory_ordered 1
		.amdhsa_forward_progress 0
		.amdhsa_shared_vgpr_count 0
		.amdhsa_exception_fp_ieee_invalid_op 0
		.amdhsa_exception_fp_denorm_src 0
		.amdhsa_exception_fp_ieee_div_zero 0
		.amdhsa_exception_fp_ieee_overflow 0
		.amdhsa_exception_fp_ieee_underflow 0
		.amdhsa_exception_fp_ieee_inexact 0
		.amdhsa_exception_int_div_zero 0
	.end_amdhsa_kernel
	.section	.text._Z39paged_attention_ll4mi_QKV_mfma16_kernelI14__hip_bfloat16S0_LN4vllm18Fp8KVCacheDataTypeE0EhLi16ELi128ELi256ELb0ELi4EL8MFMAType0EEvPKT_PKT0_S9_ifPKiSB_SB_iPKfiiiPfSE_PS4_PT2_iSD_SD_,"axG",@progbits,_Z39paged_attention_ll4mi_QKV_mfma16_kernelI14__hip_bfloat16S0_LN4vllm18Fp8KVCacheDataTypeE0EhLi16ELi128ELi256ELb0ELi4EL8MFMAType0EEvPKT_PKT0_S9_ifPKiSB_SB_iPKfiiiPfSE_PS4_PT2_iSD_SD_,comdat
.Lfunc_end633:
	.size	_Z39paged_attention_ll4mi_QKV_mfma16_kernelI14__hip_bfloat16S0_LN4vllm18Fp8KVCacheDataTypeE0EhLi16ELi128ELi256ELb0ELi4EL8MFMAType0EEvPKT_PKT0_S9_ifPKiSB_SB_iPKfiiiPfSE_PS4_PT2_iSD_SD_, .Lfunc_end633-_Z39paged_attention_ll4mi_QKV_mfma16_kernelI14__hip_bfloat16S0_LN4vllm18Fp8KVCacheDataTypeE0EhLi16ELi128ELi256ELb0ELi4EL8MFMAType0EEvPKT_PKT0_S9_ifPKiSB_SB_iPKfiiiPfSE_PS4_PT2_iSD_SD_
                                        ; -- End function
	.section	.AMDGPU.csdata,"",@progbits
; Kernel info:
; codeLenInByte = 10156
; NumSgprs: 52
; NumVgprs: 218
; ScratchSize: 0
; MemoryBound: 0
; FloatMode: 240
; IeeeMode: 1
; LDSByteSize: 17472 bytes/workgroup (compile time only)
; SGPRBlocks: 6
; VGPRBlocks: 27
; NumSGPRsForWavesPerEU: 52
; NumVGPRsForWavesPerEU: 218
; Occupancy: 6
; WaveLimiterHint : 1
; COMPUTE_PGM_RSRC2:SCRATCH_EN: 0
; COMPUTE_PGM_RSRC2:USER_SGPR: 13
; COMPUTE_PGM_RSRC2:TRAP_HANDLER: 0
; COMPUTE_PGM_RSRC2:TGID_X_EN: 1
; COMPUTE_PGM_RSRC2:TGID_Y_EN: 1
; COMPUTE_PGM_RSRC2:TGID_Z_EN: 1
; COMPUTE_PGM_RSRC2:TIDIG_COMP_CNT: 0
	.section	.text._Z38paged_attention_ll4mi_QKV_mfma4_kernelI14__hip_bfloat16S0_LN4vllm18Fp8KVCacheDataTypeE0ES0_Li16ELi128ELi256ELb1ELi1EEvPKT_PKT0_S8_ifPKiSA_SA_iPKfiiiPfSD_PS3_PT2_iSC_SC_,"axG",@progbits,_Z38paged_attention_ll4mi_QKV_mfma4_kernelI14__hip_bfloat16S0_LN4vllm18Fp8KVCacheDataTypeE0ES0_Li16ELi128ELi256ELb1ELi1EEvPKT_PKT0_S8_ifPKiSA_SA_iPKfiiiPfSD_PS3_PT2_iSC_SC_,comdat
	.protected	_Z38paged_attention_ll4mi_QKV_mfma4_kernelI14__hip_bfloat16S0_LN4vllm18Fp8KVCacheDataTypeE0ES0_Li16ELi128ELi256ELb1ELi1EEvPKT_PKT0_S8_ifPKiSA_SA_iPKfiiiPfSD_PS3_PT2_iSC_SC_ ; -- Begin function _Z38paged_attention_ll4mi_QKV_mfma4_kernelI14__hip_bfloat16S0_LN4vllm18Fp8KVCacheDataTypeE0ES0_Li16ELi128ELi256ELb1ELi1EEvPKT_PKT0_S8_ifPKiSA_SA_iPKfiiiPfSD_PS3_PT2_iSC_SC_
	.globl	_Z38paged_attention_ll4mi_QKV_mfma4_kernelI14__hip_bfloat16S0_LN4vllm18Fp8KVCacheDataTypeE0ES0_Li16ELi128ELi256ELb1ELi1EEvPKT_PKT0_S8_ifPKiSA_SA_iPKfiiiPfSD_PS3_PT2_iSC_SC_
	.p2align	8
	.type	_Z38paged_attention_ll4mi_QKV_mfma4_kernelI14__hip_bfloat16S0_LN4vllm18Fp8KVCacheDataTypeE0ES0_Li16ELi128ELi256ELb1ELi1EEvPKT_PKT0_S8_ifPKiSA_SA_iPKfiiiPfSD_PS3_PT2_iSC_SC_,@function
_Z38paged_attention_ll4mi_QKV_mfma4_kernelI14__hip_bfloat16S0_LN4vllm18Fp8KVCacheDataTypeE0ES0_Li16ELi128ELi256ELb1ELi1EEvPKT_PKT0_S8_ifPKiSA_SA_iPKfiiiPfSD_PS3_PT2_iSC_SC_: ; @_Z38paged_attention_ll4mi_QKV_mfma4_kernelI14__hip_bfloat16S0_LN4vllm18Fp8KVCacheDataTypeE0ES0_Li16ELi128ELi256ELb1ELi1EEvPKT_PKT0_S8_ifPKiSA_SA_iPKfiiiPfSD_PS3_PT2_iSC_SC_
; %bb.0:
	s_add_u32 s8, s0, 0x90
	s_addc_u32 s9, s1, 0
	s_getpc_b64 s[0:1]
	s_add_u32 s0, s0, __PRETTY_FUNCTION__._Z38paged_attention_ll4mi_QKV_mfma4_kernelI14__hip_bfloat16S0_LN4vllm18Fp8KVCacheDataTypeE0ES0_Li16ELi128ELi256ELb1ELi1EEvPKT_PKT0_S8_ifPKiSA_SA_iPKfiiiPfSD_PS3_PT2_iSC_SC_@rel32@lo+4
	s_addc_u32 s1, s1, __PRETTY_FUNCTION__._Z38paged_attention_ll4mi_QKV_mfma4_kernelI14__hip_bfloat16S0_LN4vllm18Fp8KVCacheDataTypeE0ES0_Li16ELi128ELi256ELb1ELi1EEvPKT_PKT0_S8_ifPKiSA_SA_iPKfiiiPfSD_PS3_PT2_iSC_SC_@rel32@hi+12
	s_delay_alu instid0(SALU_CYCLE_1) | instskip(SKIP_4) | instid1(SALU_CYCLE_1)
	v_dual_mov_b32 v0, s0 :: v_dual_mov_b32 v1, s1
	s_mov_b32 s32, 0
	s_getpc_b64 s[2:3]
	s_add_u32 s2, s2, __assert_fail@rel32@lo+4
	s_addc_u32 s3, s3, __assert_fail@rel32@hi+12
	s_swappc_b64 s[30:31], s[2:3]
	.section	.rodata,"a",@progbits
	.p2align	6, 0x0
	.amdhsa_kernel _Z38paged_attention_ll4mi_QKV_mfma4_kernelI14__hip_bfloat16S0_LN4vllm18Fp8KVCacheDataTypeE0ES0_Li16ELi128ELi256ELb1ELi1EEvPKT_PKT0_S8_ifPKiSA_SA_iPKfiiiPfSD_PS3_PT2_iSC_SC_
		.amdhsa_group_segment_fixed_size 0
		.amdhsa_private_segment_fixed_size 64
		.amdhsa_kernarg_size 400
		.amdhsa_user_sgpr_count 15
		.amdhsa_user_sgpr_dispatch_ptr 0
		.amdhsa_user_sgpr_queue_ptr 0
		.amdhsa_user_sgpr_kernarg_segment_ptr 1
		.amdhsa_user_sgpr_dispatch_id 0
		.amdhsa_user_sgpr_private_segment_size 0
		.amdhsa_wavefront_size32 1
		.amdhsa_uses_dynamic_stack 0
		.amdhsa_enable_private_segment 1
		.amdhsa_system_sgpr_workgroup_id_x 1
		.amdhsa_system_sgpr_workgroup_id_y 0
		.amdhsa_system_sgpr_workgroup_id_z 0
		.amdhsa_system_sgpr_workgroup_info 0
		.amdhsa_system_vgpr_workitem_id 0
		.amdhsa_next_free_vgpr 41
		.amdhsa_next_free_sgpr 34
		.amdhsa_reserve_vcc 1
		.amdhsa_float_round_mode_32 0
		.amdhsa_float_round_mode_16_64 0
		.amdhsa_float_denorm_mode_32 3
		.amdhsa_float_denorm_mode_16_64 3
		.amdhsa_dx10_clamp 1
		.amdhsa_ieee_mode 1
		.amdhsa_fp16_overflow 0
		.amdhsa_workgroup_processor_mode 1
		.amdhsa_memory_ordered 1
		.amdhsa_forward_progress 0
		.amdhsa_shared_vgpr_count 0
		.amdhsa_exception_fp_ieee_invalid_op 0
		.amdhsa_exception_fp_denorm_src 0
		.amdhsa_exception_fp_ieee_div_zero 0
		.amdhsa_exception_fp_ieee_overflow 0
		.amdhsa_exception_fp_ieee_underflow 0
		.amdhsa_exception_fp_ieee_inexact 0
		.amdhsa_exception_int_div_zero 0
	.end_amdhsa_kernel
	.section	.text._Z38paged_attention_ll4mi_QKV_mfma4_kernelI14__hip_bfloat16S0_LN4vllm18Fp8KVCacheDataTypeE0ES0_Li16ELi128ELi256ELb1ELi1EEvPKT_PKT0_S8_ifPKiSA_SA_iPKfiiiPfSD_PS3_PT2_iSC_SC_,"axG",@progbits,_Z38paged_attention_ll4mi_QKV_mfma4_kernelI14__hip_bfloat16S0_LN4vllm18Fp8KVCacheDataTypeE0ES0_Li16ELi128ELi256ELb1ELi1EEvPKT_PKT0_S8_ifPKiSA_SA_iPKfiiiPfSD_PS3_PT2_iSC_SC_,comdat
.Lfunc_end634:
	.size	_Z38paged_attention_ll4mi_QKV_mfma4_kernelI14__hip_bfloat16S0_LN4vllm18Fp8KVCacheDataTypeE0ES0_Li16ELi128ELi256ELb1ELi1EEvPKT_PKT0_S8_ifPKiSA_SA_iPKfiiiPfSD_PS3_PT2_iSC_SC_, .Lfunc_end634-_Z38paged_attention_ll4mi_QKV_mfma4_kernelI14__hip_bfloat16S0_LN4vllm18Fp8KVCacheDataTypeE0ES0_Li16ELi128ELi256ELb1ELi1EEvPKT_PKT0_S8_ifPKiSA_SA_iPKfiiiPfSD_PS3_PT2_iSC_SC_
                                        ; -- End function
	.section	.AMDGPU.csdata,"",@progbits
; Kernel info:
; codeLenInByte = 72
; NumSgprs: 36
; NumVgprs: 41
; ScratchSize: 64
; MemoryBound: 0
; FloatMode: 240
; IeeeMode: 1
; LDSByteSize: 0 bytes/workgroup (compile time only)
; SGPRBlocks: 4
; VGPRBlocks: 5
; NumSGPRsForWavesPerEU: 36
; NumVGPRsForWavesPerEU: 41
; Occupancy: 16
; WaveLimiterHint : 1
; COMPUTE_PGM_RSRC2:SCRATCH_EN: 1
; COMPUTE_PGM_RSRC2:USER_SGPR: 15
; COMPUTE_PGM_RSRC2:TRAP_HANDLER: 0
; COMPUTE_PGM_RSRC2:TGID_X_EN: 1
; COMPUTE_PGM_RSRC2:TGID_Y_EN: 0
; COMPUTE_PGM_RSRC2:TGID_Z_EN: 0
; COMPUTE_PGM_RSRC2:TIDIG_COMP_CNT: 0
	.section	.text._Z38paged_attention_ll4mi_QKV_mfma4_kernelI14__hip_bfloat16S0_LN4vllm18Fp8KVCacheDataTypeE0ES0_Li16ELi128ELi256ELb1ELi2EEvPKT_PKT0_S8_ifPKiSA_SA_iPKfiiiPfSD_PS3_PT2_iSC_SC_,"axG",@progbits,_Z38paged_attention_ll4mi_QKV_mfma4_kernelI14__hip_bfloat16S0_LN4vllm18Fp8KVCacheDataTypeE0ES0_Li16ELi128ELi256ELb1ELi2EEvPKT_PKT0_S8_ifPKiSA_SA_iPKfiiiPfSD_PS3_PT2_iSC_SC_,comdat
	.protected	_Z38paged_attention_ll4mi_QKV_mfma4_kernelI14__hip_bfloat16S0_LN4vllm18Fp8KVCacheDataTypeE0ES0_Li16ELi128ELi256ELb1ELi2EEvPKT_PKT0_S8_ifPKiSA_SA_iPKfiiiPfSD_PS3_PT2_iSC_SC_ ; -- Begin function _Z38paged_attention_ll4mi_QKV_mfma4_kernelI14__hip_bfloat16S0_LN4vllm18Fp8KVCacheDataTypeE0ES0_Li16ELi128ELi256ELb1ELi2EEvPKT_PKT0_S8_ifPKiSA_SA_iPKfiiiPfSD_PS3_PT2_iSC_SC_
	.globl	_Z38paged_attention_ll4mi_QKV_mfma4_kernelI14__hip_bfloat16S0_LN4vllm18Fp8KVCacheDataTypeE0ES0_Li16ELi128ELi256ELb1ELi2EEvPKT_PKT0_S8_ifPKiSA_SA_iPKfiiiPfSD_PS3_PT2_iSC_SC_
	.p2align	8
	.type	_Z38paged_attention_ll4mi_QKV_mfma4_kernelI14__hip_bfloat16S0_LN4vllm18Fp8KVCacheDataTypeE0ES0_Li16ELi128ELi256ELb1ELi2EEvPKT_PKT0_S8_ifPKiSA_SA_iPKfiiiPfSD_PS3_PT2_iSC_SC_,@function
_Z38paged_attention_ll4mi_QKV_mfma4_kernelI14__hip_bfloat16S0_LN4vllm18Fp8KVCacheDataTypeE0ES0_Li16ELi128ELi256ELb1ELi2EEvPKT_PKT0_S8_ifPKiSA_SA_iPKfiiiPfSD_PS3_PT2_iSC_SC_: ; @_Z38paged_attention_ll4mi_QKV_mfma4_kernelI14__hip_bfloat16S0_LN4vllm18Fp8KVCacheDataTypeE0ES0_Li16ELi128ELi256ELb1ELi2EEvPKT_PKT0_S8_ifPKiSA_SA_iPKfiiiPfSD_PS3_PT2_iSC_SC_
; %bb.0:
	s_add_u32 s8, s0, 0x90
	s_addc_u32 s9, s1, 0
	s_getpc_b64 s[0:1]
	s_add_u32 s0, s0, __PRETTY_FUNCTION__._Z38paged_attention_ll4mi_QKV_mfma4_kernelI14__hip_bfloat16S0_LN4vllm18Fp8KVCacheDataTypeE0ES0_Li16ELi128ELi256ELb1ELi2EEvPKT_PKT0_S8_ifPKiSA_SA_iPKfiiiPfSD_PS3_PT2_iSC_SC_@rel32@lo+4
	s_addc_u32 s1, s1, __PRETTY_FUNCTION__._Z38paged_attention_ll4mi_QKV_mfma4_kernelI14__hip_bfloat16S0_LN4vllm18Fp8KVCacheDataTypeE0ES0_Li16ELi128ELi256ELb1ELi2EEvPKT_PKT0_S8_ifPKiSA_SA_iPKfiiiPfSD_PS3_PT2_iSC_SC_@rel32@hi+12
	s_delay_alu instid0(SALU_CYCLE_1) | instskip(SKIP_4) | instid1(SALU_CYCLE_1)
	v_dual_mov_b32 v0, s0 :: v_dual_mov_b32 v1, s1
	s_mov_b32 s32, 0
	s_getpc_b64 s[2:3]
	s_add_u32 s2, s2, __assert_fail@rel32@lo+4
	s_addc_u32 s3, s3, __assert_fail@rel32@hi+12
	s_swappc_b64 s[30:31], s[2:3]
	.section	.rodata,"a",@progbits
	.p2align	6, 0x0
	.amdhsa_kernel _Z38paged_attention_ll4mi_QKV_mfma4_kernelI14__hip_bfloat16S0_LN4vllm18Fp8KVCacheDataTypeE0ES0_Li16ELi128ELi256ELb1ELi2EEvPKT_PKT0_S8_ifPKiSA_SA_iPKfiiiPfSD_PS3_PT2_iSC_SC_
		.amdhsa_group_segment_fixed_size 0
		.amdhsa_private_segment_fixed_size 64
		.amdhsa_kernarg_size 400
		.amdhsa_user_sgpr_count 15
		.amdhsa_user_sgpr_dispatch_ptr 0
		.amdhsa_user_sgpr_queue_ptr 0
		.amdhsa_user_sgpr_kernarg_segment_ptr 1
		.amdhsa_user_sgpr_dispatch_id 0
		.amdhsa_user_sgpr_private_segment_size 0
		.amdhsa_wavefront_size32 1
		.amdhsa_uses_dynamic_stack 0
		.amdhsa_enable_private_segment 1
		.amdhsa_system_sgpr_workgroup_id_x 1
		.amdhsa_system_sgpr_workgroup_id_y 0
		.amdhsa_system_sgpr_workgroup_id_z 0
		.amdhsa_system_sgpr_workgroup_info 0
		.amdhsa_system_vgpr_workitem_id 0
		.amdhsa_next_free_vgpr 41
		.amdhsa_next_free_sgpr 34
		.amdhsa_reserve_vcc 1
		.amdhsa_float_round_mode_32 0
		.amdhsa_float_round_mode_16_64 0
		.amdhsa_float_denorm_mode_32 3
		.amdhsa_float_denorm_mode_16_64 3
		.amdhsa_dx10_clamp 1
		.amdhsa_ieee_mode 1
		.amdhsa_fp16_overflow 0
		.amdhsa_workgroup_processor_mode 1
		.amdhsa_memory_ordered 1
		.amdhsa_forward_progress 0
		.amdhsa_shared_vgpr_count 0
		.amdhsa_exception_fp_ieee_invalid_op 0
		.amdhsa_exception_fp_denorm_src 0
		.amdhsa_exception_fp_ieee_div_zero 0
		.amdhsa_exception_fp_ieee_overflow 0
		.amdhsa_exception_fp_ieee_underflow 0
		.amdhsa_exception_fp_ieee_inexact 0
		.amdhsa_exception_int_div_zero 0
	.end_amdhsa_kernel
	.section	.text._Z38paged_attention_ll4mi_QKV_mfma4_kernelI14__hip_bfloat16S0_LN4vllm18Fp8KVCacheDataTypeE0ES0_Li16ELi128ELi256ELb1ELi2EEvPKT_PKT0_S8_ifPKiSA_SA_iPKfiiiPfSD_PS3_PT2_iSC_SC_,"axG",@progbits,_Z38paged_attention_ll4mi_QKV_mfma4_kernelI14__hip_bfloat16S0_LN4vllm18Fp8KVCacheDataTypeE0ES0_Li16ELi128ELi256ELb1ELi2EEvPKT_PKT0_S8_ifPKiSA_SA_iPKfiiiPfSD_PS3_PT2_iSC_SC_,comdat
.Lfunc_end635:
	.size	_Z38paged_attention_ll4mi_QKV_mfma4_kernelI14__hip_bfloat16S0_LN4vllm18Fp8KVCacheDataTypeE0ES0_Li16ELi128ELi256ELb1ELi2EEvPKT_PKT0_S8_ifPKiSA_SA_iPKfiiiPfSD_PS3_PT2_iSC_SC_, .Lfunc_end635-_Z38paged_attention_ll4mi_QKV_mfma4_kernelI14__hip_bfloat16S0_LN4vllm18Fp8KVCacheDataTypeE0ES0_Li16ELi128ELi256ELb1ELi2EEvPKT_PKT0_S8_ifPKiSA_SA_iPKfiiiPfSD_PS3_PT2_iSC_SC_
                                        ; -- End function
	.section	.AMDGPU.csdata,"",@progbits
; Kernel info:
; codeLenInByte = 72
; NumSgprs: 36
; NumVgprs: 41
; ScratchSize: 64
; MemoryBound: 0
; FloatMode: 240
; IeeeMode: 1
; LDSByteSize: 0 bytes/workgroup (compile time only)
; SGPRBlocks: 4
; VGPRBlocks: 5
; NumSGPRsForWavesPerEU: 36
; NumVGPRsForWavesPerEU: 41
; Occupancy: 16
; WaveLimiterHint : 1
; COMPUTE_PGM_RSRC2:SCRATCH_EN: 1
; COMPUTE_PGM_RSRC2:USER_SGPR: 15
; COMPUTE_PGM_RSRC2:TRAP_HANDLER: 0
; COMPUTE_PGM_RSRC2:TGID_X_EN: 1
; COMPUTE_PGM_RSRC2:TGID_Y_EN: 0
; COMPUTE_PGM_RSRC2:TGID_Z_EN: 0
; COMPUTE_PGM_RSRC2:TIDIG_COMP_CNT: 0
	.section	.text._Z38paged_attention_ll4mi_QKV_mfma4_kernelI14__hip_bfloat16S0_LN4vllm18Fp8KVCacheDataTypeE0ES0_Li16ELi128ELi256ELb1ELi3EEvPKT_PKT0_S8_ifPKiSA_SA_iPKfiiiPfSD_PS3_PT2_iSC_SC_,"axG",@progbits,_Z38paged_attention_ll4mi_QKV_mfma4_kernelI14__hip_bfloat16S0_LN4vllm18Fp8KVCacheDataTypeE0ES0_Li16ELi128ELi256ELb1ELi3EEvPKT_PKT0_S8_ifPKiSA_SA_iPKfiiiPfSD_PS3_PT2_iSC_SC_,comdat
	.protected	_Z38paged_attention_ll4mi_QKV_mfma4_kernelI14__hip_bfloat16S0_LN4vllm18Fp8KVCacheDataTypeE0ES0_Li16ELi128ELi256ELb1ELi3EEvPKT_PKT0_S8_ifPKiSA_SA_iPKfiiiPfSD_PS3_PT2_iSC_SC_ ; -- Begin function _Z38paged_attention_ll4mi_QKV_mfma4_kernelI14__hip_bfloat16S0_LN4vllm18Fp8KVCacheDataTypeE0ES0_Li16ELi128ELi256ELb1ELi3EEvPKT_PKT0_S8_ifPKiSA_SA_iPKfiiiPfSD_PS3_PT2_iSC_SC_
	.globl	_Z38paged_attention_ll4mi_QKV_mfma4_kernelI14__hip_bfloat16S0_LN4vllm18Fp8KVCacheDataTypeE0ES0_Li16ELi128ELi256ELb1ELi3EEvPKT_PKT0_S8_ifPKiSA_SA_iPKfiiiPfSD_PS3_PT2_iSC_SC_
	.p2align	8
	.type	_Z38paged_attention_ll4mi_QKV_mfma4_kernelI14__hip_bfloat16S0_LN4vllm18Fp8KVCacheDataTypeE0ES0_Li16ELi128ELi256ELb1ELi3EEvPKT_PKT0_S8_ifPKiSA_SA_iPKfiiiPfSD_PS3_PT2_iSC_SC_,@function
_Z38paged_attention_ll4mi_QKV_mfma4_kernelI14__hip_bfloat16S0_LN4vllm18Fp8KVCacheDataTypeE0ES0_Li16ELi128ELi256ELb1ELi3EEvPKT_PKT0_S8_ifPKiSA_SA_iPKfiiiPfSD_PS3_PT2_iSC_SC_: ; @_Z38paged_attention_ll4mi_QKV_mfma4_kernelI14__hip_bfloat16S0_LN4vllm18Fp8KVCacheDataTypeE0ES0_Li16ELi128ELi256ELb1ELi3EEvPKT_PKT0_S8_ifPKiSA_SA_iPKfiiiPfSD_PS3_PT2_iSC_SC_
; %bb.0:
	s_add_u32 s8, s0, 0x90
	s_addc_u32 s9, s1, 0
	s_getpc_b64 s[0:1]
	s_add_u32 s0, s0, __PRETTY_FUNCTION__._Z38paged_attention_ll4mi_QKV_mfma4_kernelI14__hip_bfloat16S0_LN4vllm18Fp8KVCacheDataTypeE0ES0_Li16ELi128ELi256ELb1ELi3EEvPKT_PKT0_S8_ifPKiSA_SA_iPKfiiiPfSD_PS3_PT2_iSC_SC_@rel32@lo+4
	s_addc_u32 s1, s1, __PRETTY_FUNCTION__._Z38paged_attention_ll4mi_QKV_mfma4_kernelI14__hip_bfloat16S0_LN4vllm18Fp8KVCacheDataTypeE0ES0_Li16ELi128ELi256ELb1ELi3EEvPKT_PKT0_S8_ifPKiSA_SA_iPKfiiiPfSD_PS3_PT2_iSC_SC_@rel32@hi+12
	s_delay_alu instid0(SALU_CYCLE_1) | instskip(SKIP_4) | instid1(SALU_CYCLE_1)
	v_dual_mov_b32 v0, s0 :: v_dual_mov_b32 v1, s1
	s_mov_b32 s32, 0
	s_getpc_b64 s[2:3]
	s_add_u32 s2, s2, __assert_fail@rel32@lo+4
	s_addc_u32 s3, s3, __assert_fail@rel32@hi+12
	s_swappc_b64 s[30:31], s[2:3]
	.section	.rodata,"a",@progbits
	.p2align	6, 0x0
	.amdhsa_kernel _Z38paged_attention_ll4mi_QKV_mfma4_kernelI14__hip_bfloat16S0_LN4vllm18Fp8KVCacheDataTypeE0ES0_Li16ELi128ELi256ELb1ELi3EEvPKT_PKT0_S8_ifPKiSA_SA_iPKfiiiPfSD_PS3_PT2_iSC_SC_
		.amdhsa_group_segment_fixed_size 0
		.amdhsa_private_segment_fixed_size 64
		.amdhsa_kernarg_size 400
		.amdhsa_user_sgpr_count 15
		.amdhsa_user_sgpr_dispatch_ptr 0
		.amdhsa_user_sgpr_queue_ptr 0
		.amdhsa_user_sgpr_kernarg_segment_ptr 1
		.amdhsa_user_sgpr_dispatch_id 0
		.amdhsa_user_sgpr_private_segment_size 0
		.amdhsa_wavefront_size32 1
		.amdhsa_uses_dynamic_stack 0
		.amdhsa_enable_private_segment 1
		.amdhsa_system_sgpr_workgroup_id_x 1
		.amdhsa_system_sgpr_workgroup_id_y 0
		.amdhsa_system_sgpr_workgroup_id_z 0
		.amdhsa_system_sgpr_workgroup_info 0
		.amdhsa_system_vgpr_workitem_id 0
		.amdhsa_next_free_vgpr 41
		.amdhsa_next_free_sgpr 34
		.amdhsa_reserve_vcc 1
		.amdhsa_float_round_mode_32 0
		.amdhsa_float_round_mode_16_64 0
		.amdhsa_float_denorm_mode_32 3
		.amdhsa_float_denorm_mode_16_64 3
		.amdhsa_dx10_clamp 1
		.amdhsa_ieee_mode 1
		.amdhsa_fp16_overflow 0
		.amdhsa_workgroup_processor_mode 1
		.amdhsa_memory_ordered 1
		.amdhsa_forward_progress 0
		.amdhsa_shared_vgpr_count 0
		.amdhsa_exception_fp_ieee_invalid_op 0
		.amdhsa_exception_fp_denorm_src 0
		.amdhsa_exception_fp_ieee_div_zero 0
		.amdhsa_exception_fp_ieee_overflow 0
		.amdhsa_exception_fp_ieee_underflow 0
		.amdhsa_exception_fp_ieee_inexact 0
		.amdhsa_exception_int_div_zero 0
	.end_amdhsa_kernel
	.section	.text._Z38paged_attention_ll4mi_QKV_mfma4_kernelI14__hip_bfloat16S0_LN4vllm18Fp8KVCacheDataTypeE0ES0_Li16ELi128ELi256ELb1ELi3EEvPKT_PKT0_S8_ifPKiSA_SA_iPKfiiiPfSD_PS3_PT2_iSC_SC_,"axG",@progbits,_Z38paged_attention_ll4mi_QKV_mfma4_kernelI14__hip_bfloat16S0_LN4vllm18Fp8KVCacheDataTypeE0ES0_Li16ELi128ELi256ELb1ELi3EEvPKT_PKT0_S8_ifPKiSA_SA_iPKfiiiPfSD_PS3_PT2_iSC_SC_,comdat
.Lfunc_end636:
	.size	_Z38paged_attention_ll4mi_QKV_mfma4_kernelI14__hip_bfloat16S0_LN4vllm18Fp8KVCacheDataTypeE0ES0_Li16ELi128ELi256ELb1ELi3EEvPKT_PKT0_S8_ifPKiSA_SA_iPKfiiiPfSD_PS3_PT2_iSC_SC_, .Lfunc_end636-_Z38paged_attention_ll4mi_QKV_mfma4_kernelI14__hip_bfloat16S0_LN4vllm18Fp8KVCacheDataTypeE0ES0_Li16ELi128ELi256ELb1ELi3EEvPKT_PKT0_S8_ifPKiSA_SA_iPKfiiiPfSD_PS3_PT2_iSC_SC_
                                        ; -- End function
	.section	.AMDGPU.csdata,"",@progbits
; Kernel info:
; codeLenInByte = 72
; NumSgprs: 36
; NumVgprs: 41
; ScratchSize: 64
; MemoryBound: 0
; FloatMode: 240
; IeeeMode: 1
; LDSByteSize: 0 bytes/workgroup (compile time only)
; SGPRBlocks: 4
; VGPRBlocks: 5
; NumSGPRsForWavesPerEU: 36
; NumVGPRsForWavesPerEU: 41
; Occupancy: 16
; WaveLimiterHint : 1
; COMPUTE_PGM_RSRC2:SCRATCH_EN: 1
; COMPUTE_PGM_RSRC2:USER_SGPR: 15
; COMPUTE_PGM_RSRC2:TRAP_HANDLER: 0
; COMPUTE_PGM_RSRC2:TGID_X_EN: 1
; COMPUTE_PGM_RSRC2:TGID_Y_EN: 0
; COMPUTE_PGM_RSRC2:TGID_Z_EN: 0
; COMPUTE_PGM_RSRC2:TIDIG_COMP_CNT: 0
	.section	.text._Z38paged_attention_ll4mi_QKV_mfma4_kernelI14__hip_bfloat16S0_LN4vllm18Fp8KVCacheDataTypeE0ES0_Li16ELi128ELi256ELb1ELi4EEvPKT_PKT0_S8_ifPKiSA_SA_iPKfiiiPfSD_PS3_PT2_iSC_SC_,"axG",@progbits,_Z38paged_attention_ll4mi_QKV_mfma4_kernelI14__hip_bfloat16S0_LN4vllm18Fp8KVCacheDataTypeE0ES0_Li16ELi128ELi256ELb1ELi4EEvPKT_PKT0_S8_ifPKiSA_SA_iPKfiiiPfSD_PS3_PT2_iSC_SC_,comdat
	.protected	_Z38paged_attention_ll4mi_QKV_mfma4_kernelI14__hip_bfloat16S0_LN4vllm18Fp8KVCacheDataTypeE0ES0_Li16ELi128ELi256ELb1ELi4EEvPKT_PKT0_S8_ifPKiSA_SA_iPKfiiiPfSD_PS3_PT2_iSC_SC_ ; -- Begin function _Z38paged_attention_ll4mi_QKV_mfma4_kernelI14__hip_bfloat16S0_LN4vllm18Fp8KVCacheDataTypeE0ES0_Li16ELi128ELi256ELb1ELi4EEvPKT_PKT0_S8_ifPKiSA_SA_iPKfiiiPfSD_PS3_PT2_iSC_SC_
	.globl	_Z38paged_attention_ll4mi_QKV_mfma4_kernelI14__hip_bfloat16S0_LN4vllm18Fp8KVCacheDataTypeE0ES0_Li16ELi128ELi256ELb1ELi4EEvPKT_PKT0_S8_ifPKiSA_SA_iPKfiiiPfSD_PS3_PT2_iSC_SC_
	.p2align	8
	.type	_Z38paged_attention_ll4mi_QKV_mfma4_kernelI14__hip_bfloat16S0_LN4vllm18Fp8KVCacheDataTypeE0ES0_Li16ELi128ELi256ELb1ELi4EEvPKT_PKT0_S8_ifPKiSA_SA_iPKfiiiPfSD_PS3_PT2_iSC_SC_,@function
_Z38paged_attention_ll4mi_QKV_mfma4_kernelI14__hip_bfloat16S0_LN4vllm18Fp8KVCacheDataTypeE0ES0_Li16ELi128ELi256ELb1ELi4EEvPKT_PKT0_S8_ifPKiSA_SA_iPKfiiiPfSD_PS3_PT2_iSC_SC_: ; @_Z38paged_attention_ll4mi_QKV_mfma4_kernelI14__hip_bfloat16S0_LN4vllm18Fp8KVCacheDataTypeE0ES0_Li16ELi128ELi256ELb1ELi4EEvPKT_PKT0_S8_ifPKiSA_SA_iPKfiiiPfSD_PS3_PT2_iSC_SC_
; %bb.0:
	s_add_u32 s8, s0, 0x90
	s_addc_u32 s9, s1, 0
	s_getpc_b64 s[0:1]
	s_add_u32 s0, s0, __PRETTY_FUNCTION__._Z38paged_attention_ll4mi_QKV_mfma4_kernelI14__hip_bfloat16S0_LN4vllm18Fp8KVCacheDataTypeE0ES0_Li16ELi128ELi256ELb1ELi4EEvPKT_PKT0_S8_ifPKiSA_SA_iPKfiiiPfSD_PS3_PT2_iSC_SC_@rel32@lo+4
	s_addc_u32 s1, s1, __PRETTY_FUNCTION__._Z38paged_attention_ll4mi_QKV_mfma4_kernelI14__hip_bfloat16S0_LN4vllm18Fp8KVCacheDataTypeE0ES0_Li16ELi128ELi256ELb1ELi4EEvPKT_PKT0_S8_ifPKiSA_SA_iPKfiiiPfSD_PS3_PT2_iSC_SC_@rel32@hi+12
	s_delay_alu instid0(SALU_CYCLE_1) | instskip(SKIP_4) | instid1(SALU_CYCLE_1)
	v_dual_mov_b32 v0, s0 :: v_dual_mov_b32 v1, s1
	s_mov_b32 s32, 0
	s_getpc_b64 s[2:3]
	s_add_u32 s2, s2, __assert_fail@rel32@lo+4
	s_addc_u32 s3, s3, __assert_fail@rel32@hi+12
	s_swappc_b64 s[30:31], s[2:3]
	.section	.rodata,"a",@progbits
	.p2align	6, 0x0
	.amdhsa_kernel _Z38paged_attention_ll4mi_QKV_mfma4_kernelI14__hip_bfloat16S0_LN4vllm18Fp8KVCacheDataTypeE0ES0_Li16ELi128ELi256ELb1ELi4EEvPKT_PKT0_S8_ifPKiSA_SA_iPKfiiiPfSD_PS3_PT2_iSC_SC_
		.amdhsa_group_segment_fixed_size 0
		.amdhsa_private_segment_fixed_size 64
		.amdhsa_kernarg_size 400
		.amdhsa_user_sgpr_count 15
		.amdhsa_user_sgpr_dispatch_ptr 0
		.amdhsa_user_sgpr_queue_ptr 0
		.amdhsa_user_sgpr_kernarg_segment_ptr 1
		.amdhsa_user_sgpr_dispatch_id 0
		.amdhsa_user_sgpr_private_segment_size 0
		.amdhsa_wavefront_size32 1
		.amdhsa_uses_dynamic_stack 0
		.amdhsa_enable_private_segment 1
		.amdhsa_system_sgpr_workgroup_id_x 1
		.amdhsa_system_sgpr_workgroup_id_y 0
		.amdhsa_system_sgpr_workgroup_id_z 0
		.amdhsa_system_sgpr_workgroup_info 0
		.amdhsa_system_vgpr_workitem_id 0
		.amdhsa_next_free_vgpr 41
		.amdhsa_next_free_sgpr 34
		.amdhsa_reserve_vcc 1
		.amdhsa_float_round_mode_32 0
		.amdhsa_float_round_mode_16_64 0
		.amdhsa_float_denorm_mode_32 3
		.amdhsa_float_denorm_mode_16_64 3
		.amdhsa_dx10_clamp 1
		.amdhsa_ieee_mode 1
		.amdhsa_fp16_overflow 0
		.amdhsa_workgroup_processor_mode 1
		.amdhsa_memory_ordered 1
		.amdhsa_forward_progress 0
		.amdhsa_shared_vgpr_count 0
		.amdhsa_exception_fp_ieee_invalid_op 0
		.amdhsa_exception_fp_denorm_src 0
		.amdhsa_exception_fp_ieee_div_zero 0
		.amdhsa_exception_fp_ieee_overflow 0
		.amdhsa_exception_fp_ieee_underflow 0
		.amdhsa_exception_fp_ieee_inexact 0
		.amdhsa_exception_int_div_zero 0
	.end_amdhsa_kernel
	.section	.text._Z38paged_attention_ll4mi_QKV_mfma4_kernelI14__hip_bfloat16S0_LN4vllm18Fp8KVCacheDataTypeE0ES0_Li16ELi128ELi256ELb1ELi4EEvPKT_PKT0_S8_ifPKiSA_SA_iPKfiiiPfSD_PS3_PT2_iSC_SC_,"axG",@progbits,_Z38paged_attention_ll4mi_QKV_mfma4_kernelI14__hip_bfloat16S0_LN4vllm18Fp8KVCacheDataTypeE0ES0_Li16ELi128ELi256ELb1ELi4EEvPKT_PKT0_S8_ifPKiSA_SA_iPKfiiiPfSD_PS3_PT2_iSC_SC_,comdat
.Lfunc_end637:
	.size	_Z38paged_attention_ll4mi_QKV_mfma4_kernelI14__hip_bfloat16S0_LN4vllm18Fp8KVCacheDataTypeE0ES0_Li16ELi128ELi256ELb1ELi4EEvPKT_PKT0_S8_ifPKiSA_SA_iPKfiiiPfSD_PS3_PT2_iSC_SC_, .Lfunc_end637-_Z38paged_attention_ll4mi_QKV_mfma4_kernelI14__hip_bfloat16S0_LN4vllm18Fp8KVCacheDataTypeE0ES0_Li16ELi128ELi256ELb1ELi4EEvPKT_PKT0_S8_ifPKiSA_SA_iPKfiiiPfSD_PS3_PT2_iSC_SC_
                                        ; -- End function
	.section	.AMDGPU.csdata,"",@progbits
; Kernel info:
; codeLenInByte = 72
; NumSgprs: 36
; NumVgprs: 41
; ScratchSize: 64
; MemoryBound: 0
; FloatMode: 240
; IeeeMode: 1
; LDSByteSize: 0 bytes/workgroup (compile time only)
; SGPRBlocks: 4
; VGPRBlocks: 5
; NumSGPRsForWavesPerEU: 36
; NumVGPRsForWavesPerEU: 41
; Occupancy: 16
; WaveLimiterHint : 1
; COMPUTE_PGM_RSRC2:SCRATCH_EN: 1
; COMPUTE_PGM_RSRC2:USER_SGPR: 15
; COMPUTE_PGM_RSRC2:TRAP_HANDLER: 0
; COMPUTE_PGM_RSRC2:TGID_X_EN: 1
; COMPUTE_PGM_RSRC2:TGID_Y_EN: 0
; COMPUTE_PGM_RSRC2:TGID_Z_EN: 0
; COMPUTE_PGM_RSRC2:TIDIG_COMP_CNT: 0
	.section	.text._Z39paged_attention_ll4mi_QKV_mfma16_kernelI14__hip_bfloat16S0_LN4vllm18Fp8KVCacheDataTypeE0ES0_Li16ELi128ELi256ELb1ELi5EL8MFMAType0EEvPKT_PKT0_S9_ifPKiSB_SB_iPKfiiiPfSE_PS4_PT2_iSD_SD_,"axG",@progbits,_Z39paged_attention_ll4mi_QKV_mfma16_kernelI14__hip_bfloat16S0_LN4vllm18Fp8KVCacheDataTypeE0ES0_Li16ELi128ELi256ELb1ELi5EL8MFMAType0EEvPKT_PKT0_S9_ifPKiSB_SB_iPKfiiiPfSE_PS4_PT2_iSD_SD_,comdat
	.protected	_Z39paged_attention_ll4mi_QKV_mfma16_kernelI14__hip_bfloat16S0_LN4vllm18Fp8KVCacheDataTypeE0ES0_Li16ELi128ELi256ELb1ELi5EL8MFMAType0EEvPKT_PKT0_S9_ifPKiSB_SB_iPKfiiiPfSE_PS4_PT2_iSD_SD_ ; -- Begin function _Z39paged_attention_ll4mi_QKV_mfma16_kernelI14__hip_bfloat16S0_LN4vllm18Fp8KVCacheDataTypeE0ES0_Li16ELi128ELi256ELb1ELi5EL8MFMAType0EEvPKT_PKT0_S9_ifPKiSB_SB_iPKfiiiPfSE_PS4_PT2_iSD_SD_
	.globl	_Z39paged_attention_ll4mi_QKV_mfma16_kernelI14__hip_bfloat16S0_LN4vllm18Fp8KVCacheDataTypeE0ES0_Li16ELi128ELi256ELb1ELi5EL8MFMAType0EEvPKT_PKT0_S9_ifPKiSB_SB_iPKfiiiPfSE_PS4_PT2_iSD_SD_
	.p2align	8
	.type	_Z39paged_attention_ll4mi_QKV_mfma16_kernelI14__hip_bfloat16S0_LN4vllm18Fp8KVCacheDataTypeE0ES0_Li16ELi128ELi256ELb1ELi5EL8MFMAType0EEvPKT_PKT0_S9_ifPKiSB_SB_iPKfiiiPfSE_PS4_PT2_iSD_SD_,@function
_Z39paged_attention_ll4mi_QKV_mfma16_kernelI14__hip_bfloat16S0_LN4vllm18Fp8KVCacheDataTypeE0ES0_Li16ELi128ELi256ELb1ELi5EL8MFMAType0EEvPKT_PKT0_S9_ifPKiSB_SB_iPKfiiiPfSE_PS4_PT2_iSD_SD_: ; @_Z39paged_attention_ll4mi_QKV_mfma16_kernelI14__hip_bfloat16S0_LN4vllm18Fp8KVCacheDataTypeE0ES0_Li16ELi128ELi256ELb1ELi5EL8MFMAType0EEvPKT_PKT0_S9_ifPKiSB_SB_iPKfiiiPfSE_PS4_PT2_iSD_SD_
; %bb.0:
	s_load_b64 s[4:5], s[0:1], 0x30
	s_mov_b32 s30, s13
	s_waitcnt lgkmcnt(0)
	s_cmp_lg_u64 s[4:5], 0
	s_cselect_b32 s8, -1, 0
	s_ashr_i32 s31, s13, 31
	s_cmp_eq_u64 s[4:5], 0
	s_cbranch_scc1 .LBB638_3
; %bb.1:
	s_lshl_b64 s[2:3], s[30:31], 2
	s_delay_alu instid0(SALU_CYCLE_1) | instskip(SKIP_4) | instid1(SALU_CYCLE_1)
	s_add_u32 s2, s4, s2
	s_addc_u32 s3, s5, s3
	s_load_b64 s[2:3], s[2:3], 0x0
	s_waitcnt lgkmcnt(0)
	s_sub_i32 s2, s3, s2
	s_cmp_eq_u32 s2, 1
	s_cselect_b32 s2, -1, 0
	s_delay_alu instid0(SALU_CYCLE_1)
	s_and_not1_b32 vcc_lo, exec_lo, s2
	s_cbranch_vccz .LBB638_4
.LBB638_2:
	s_nop 0
	s_sendmsg sendmsg(MSG_DEALLOC_VGPRS)
	s_endpgm
.LBB638_3:
.LBB638_4:
	s_load_b64 s[2:3], s[0:1], 0x28
	s_lshl_b64 s[6:7], s[30:31], 2
	s_waitcnt lgkmcnt(0)
	s_add_u32 s2, s2, s6
	s_addc_u32 s3, s3, s7
	s_lshl_b32 s29, s14, 8
	s_load_b32 s28, s[2:3], 0x0
	s_waitcnt lgkmcnt(0)
	s_cmp_ge_i32 s29, s28
	s_cbranch_scc1 .LBB638_2
; %bb.5:
	s_clause 0x1
	s_load_b128 s[20:23], s[0:1], 0x8
	s_load_b64 s[2:3], s[0:1], 0x20
	s_and_not1_b32 vcc_lo, exec_lo, s8
	s_cbranch_vccnz .LBB638_7
; %bb.6:
	s_add_u32 s4, s4, s6
	s_addc_u32 s5, s5, s7
	s_load_b32 s5, s[4:5], 0x0
	s_branch .LBB638_8
.LBB638_7:
	s_mov_b32 s5, s30
.LBB638_8:
	s_load_b128 s[16:19], s[0:1], 0x48
	v_and_b32_e32 v140, 15, v0
	v_lshrrev_b32_e32 v141, 5, v0
	v_bfe_u32 v138, v0, 4, 1
	v_and_b32_e32 v142, 31, v0
	v_and_b32_e32 v139, 1, v0
	v_lshlrev_b32_e32 v2, 3, v140
	s_mul_i32 s31, s15, 5
	v_lshl_or_b32 v1, v141, 1, v138
	s_mov_b32 s4, exec_lo
	s_delay_alu instid0(VALU_DEP_2) | instskip(NEXT) | instid1(VALU_DEP_2)
	v_lshlrev_b32_e32 v137, 1, v2
	v_cmpx_gt_u32_e32 5, v1
	s_cbranch_execz .LBB638_10
; %bb.9:
	s_load_b64 s[6:7], s[0:1], 0x0
	v_add_lshl_u32 v2, v1, s31, 7
	s_waitcnt lgkmcnt(0)
	s_mul_hi_i32 s9, s5, s16
	s_mul_i32 s8, s5, s16
	v_lshlrev_b32_e32 v6, 10, v140
	s_lshl_b64 s[8:9], s[8:9], 1
	v_ashrrev_i32_e32 v3, 31, v2
	v_lshlrev_b32_e32 v1, 6, v1
	v_lshlrev_b32_e32 v7, 10, v139
	v_and_b32_e32 v6, 0x3800, v6
	s_delay_alu instid0(VALU_DEP_4) | instskip(NEXT) | instid1(VALU_DEP_2)
	v_lshlrev_b64 v[2:3], 1, v[2:3]
	v_or3_b32 v1, v6, v7, v1
	s_add_u32 s5, s6, s8
	s_addc_u32 s6, s7, s9
	s_delay_alu instid0(VALU_DEP_2) | instskip(NEXT) | instid1(VALU_DEP_3)
	v_add_co_u32 v2, vcc_lo, s5, v2
	v_add_co_ci_u32_e32 v3, vcc_lo, s6, v3, vcc_lo
	s_delay_alu instid0(VALU_DEP_2) | instskip(NEXT) | instid1(VALU_DEP_2)
	v_add_co_u32 v2, vcc_lo, v2, v137
	v_add_co_ci_u32_e32 v3, vcc_lo, 0, v3, vcc_lo
	global_load_b128 v[2:5], v[2:3], off
	s_waitcnt vmcnt(0)
	ds_store_b128 v1, v[2:5]
.LBB638_10:
	s_or_b32 exec_lo, exec_lo, s4
	v_and_b32_e32 v1, 0xef, v0
	s_waitcnt lgkmcnt(0)
	s_add_i32 s5, s28, 15
	s_clause 0x1
	s_load_b32 s4, s[0:1], 0x38
	s_load_b32 s33, s[0:1], 0x1c
	s_ashr_i32 s6, s5, 31
	v_add_nc_u32_e32 v1, s29, v1
	s_lshr_b32 s6, s6, 28
	s_waitcnt lgkmcnt(0)
	s_add_i32 s5, s5, s6
	s_barrier
	v_ashrrev_i32_e32 v2, 31, v1
	v_cmp_gt_i32_e32 vcc_lo, s28, v1
	s_ashr_i32 s16, s5, 4
	buffer_gl0_inv
	s_add_i32 s16, s16, -1
	v_lshrrev_b32_e32 v3, 28, v2
	v_or_b32_e32 v2, 16, v1
	v_mul_lo_u16 v105, v140, 52
	v_lshlrev_b32_e32 v106, 5, v140
	s_delay_alu instid0(VALU_DEP_4) | instskip(NEXT) | instid1(VALU_DEP_4)
	v_add_nc_u32_e32 v4, v1, v3
	v_add_nc_u32_e32 v3, v2, v3
	s_mul_i32 s4, s30, s4
	v_lshrrev_b16 v105, 8, v105
	s_ashr_i32 s5, s4, 31
	v_ashrrev_i32_e32 v4, 4, v4
	v_ashrrev_i32_e32 v3, 4, v3
	s_lshl_b64 s[4:5], s[4:5], 2
	v_mul_lo_u16 v105, v105, 5
	s_add_u32 s34, s2, s4
	v_cndmask_b32_e32 v1, s16, v4, vcc_lo
	v_cmp_gt_i32_e32 vcc_lo, s28, v2
	s_addc_u32 s35, s3, s5
	s_mul_i32 s2, s15, s18
	v_sub_nc_u16 v105, v140, v105
	v_ashrrev_i32_e32 v2, 31, v1
	v_cndmask_b32_e32 v3, s16, v3, vcc_lo
	s_ashr_i32 s3, s2, 31
	v_lshl_or_b32 v125, v141, 9, v106
	s_lshl_b64 s[2:3], s[2:3], 1
	v_lshlrev_b64 v[1:2], 2, v[1:2]
	v_ashrrev_i32_e32 v4, 31, v3
	s_add_u32 s24, s20, s2
	s_addc_u32 s25, s21, s3
	s_lshl_b32 s4, s14, 4
	v_and_b32_e32 v105, 0xff, v105
	v_lshlrev_b64 v[3:4], 2, v[3:4]
	v_add_co_u32 v1, vcc_lo, s34, v1
	v_add_co_ci_u32_e32 v2, vcc_lo, s35, v2, vcc_lo
	s_ashr_i32 s5, s4, 31
	s_delay_alu instid0(VALU_DEP_3) | instskip(NEXT) | instid1(VALU_DEP_4)
	v_add_co_u32 v3, vcc_lo, s34, v3
	v_add_co_ci_u32_e32 v4, vcc_lo, s35, v4, vcc_lo
	s_lshl_b64 s[4:5], s[4:5], 2
	s_clause 0x1
	global_load_b32 v5, v[1:2], off
	global_load_b32 v6, v[3:4], off
	s_add_u32 s4, s34, s4
	s_addc_u32 s5, s35, s5
	s_or_b32 s6, s29, 16
	v_lshlrev_b32_e32 v3, 4, v0
	s_ashr_i32 s7, s6, 4
	s_cmp_lt_i32 s6, s28
	v_lshlrev_b32_e32 v215, 6, v105
	s_cselect_b32 s6, s7, s16
	s_delay_alu instid0(SALU_CYCLE_1) | instskip(NEXT) | instid1(SALU_CYCLE_1)
	s_ashr_i32 s7, s6, 31
	s_lshl_b64 s[6:7], s[6:7], 2
	s_delay_alu instid0(SALU_CYCLE_1) | instskip(SKIP_2) | instid1(SALU_CYCLE_1)
	s_add_u32 s6, s34, s6
	s_addc_u32 s7, s35, s7
	s_or_b32 s8, s29, 32
	s_ashr_i32 s9, s8, 4
	s_cmp_lt_i32 s8, s28
	s_cselect_b32 s8, s9, s16
	s_delay_alu instid0(SALU_CYCLE_1) | instskip(NEXT) | instid1(SALU_CYCLE_1)
	s_ashr_i32 s9, s8, 31
	s_lshl_b64 s[8:9], s[8:9], 2
	s_delay_alu instid0(SALU_CYCLE_1) | instskip(SKIP_2) | instid1(SALU_CYCLE_1)
	s_add_u32 s8, s34, s8
	s_addc_u32 s9, s35, s9
	s_or_b32 s10, s29, 48
	s_ashr_i32 s11, s10, 4
	s_cmp_lt_i32 s10, s28
	;; [unrolled: 10-line block ×4, first 2 shown]
	s_cselect_b32 s12, s13, s16
	s_delay_alu instid0(SALU_CYCLE_1) | instskip(NEXT) | instid1(SALU_CYCLE_1)
	s_ashr_i32 s13, s12, 31
	s_lshl_b64 s[12:13], s[12:13], 2
	s_delay_alu instid0(SALU_CYCLE_1)
	s_add_u32 s20, s34, s12
	s_addc_u32 s21, s35, s13
	s_clause 0x5
	s_load_b32 s38, s[4:5], 0x0
	s_load_b32 s37, s[6:7], 0x0
	;; [unrolled: 1-line block ×6, first 2 shown]
	s_waitcnt vmcnt(1)
	v_mad_i64_i32 v[1:2], null, v5, s17, 0
	v_and_b32_e32 v5, 0xf0, v3
	s_waitcnt vmcnt(0)
	v_mad_i64_i32 v[3:4], null, v6, s17, 0
	s_delay_alu instid0(VALU_DEP_2) | instskip(NEXT) | instid1(VALU_DEP_4)
	v_add_co_u32 v5, s4, s24, v5
	v_lshlrev_b64 v[1:2], 1, v[1:2]
	v_add_co_ci_u32_e64 v6, null, s25, 0, s4
	s_delay_alu instid0(VALU_DEP_4) | instskip(SKIP_1) | instid1(VALU_DEP_3)
	v_lshlrev_b64 v[3:4], 1, v[3:4]
	s_or_b32 s4, s29, 0x60
	v_add_co_u32 v121, vcc_lo, v5, v1
	s_delay_alu instid0(VALU_DEP_3) | instskip(NEXT) | instid1(VALU_DEP_3)
	v_add_co_ci_u32_e32 v122, vcc_lo, v6, v2, vcc_lo
	v_add_co_u32 v123, vcc_lo, v5, v3
	s_delay_alu instid0(VALU_DEP_4)
	v_add_co_ci_u32_e32 v124, vcc_lo, v6, v4, vcc_lo
	s_clause 0x19
	global_load_b128 v[89:92], v[121:122], off
	global_load_b128 v[93:96], v[121:122], off offset:256
	global_load_b128 v[97:100], v[123:124], off
	global_load_b128 v[101:104], v[123:124], off offset:256
	global_load_b128 v[81:84], v[121:122], off offset:512
	;; [unrolled: 1-line block ×23, first 2 shown]
	s_ashr_i32 s5, s4, 4
	s_cmp_lt_i32 s4, s28
	ds_load_b128 v[105:108], v215
	ds_load_b128 v[109:112], v215 offset:1024
	s_cselect_b32 s4, s5, s16
	ds_load_b128 v[113:116], v215 offset:2048
	ds_load_b128 v[117:120], v215 offset:3072
	s_ashr_i32 s5, s4, 31
	ds_load_b128 v[143:146], v215 offset:4096
	ds_load_b128 v[147:150], v215 offset:5120
	s_lshl_b64 s[6:7], s[4:5], 2
	ds_load_b128 v[151:154], v215 offset:6144
	ds_load_b128 v[155:158], v215 offset:7168
	s_add_u32 s18, s34, s6
	s_addc_u32 s19, s35, s7
	s_or_b32 s5, s29, 0x70
	ds_load_b128 v[159:162], v215 offset:8192
	ds_load_b128 v[163:166], v215 offset:9216
	s_ashr_i32 s6, s5, 4
	s_cmp_lt_i32 s5, s28
	s_clause 0x1
	global_load_b128 v[167:170], v[123:124], off offset:3072
	global_load_b128 v[171:174], v[123:124], off offset:3328
	s_cselect_b32 s8, s6, s16
	s_mov_b32 s4, 0
	s_ashr_i32 s9, s8, 31
	s_mov_b32 s5, s4
	s_lshl_b64 s[8:9], s[8:9], 2
	s_mov_b32 s6, s4
	s_add_u32 s20, s34, s8
	s_addc_u32 s21, s35, s9
	s_clause 0x1
	s_load_b32 s44, s[18:19], 0x0
	s_load_b32 s45, s[20:21], 0x0
	s_clause 0x3
	global_load_b128 v[175:178], v[121:122], off offset:3584
	global_load_b128 v[179:182], v[121:122], off offset:3840
	;; [unrolled: 1-line block ×4, first 2 shown]
	s_or_b32 s8, s29, 0x80
	s_mov_b32 s7, s4
	s_ashr_i32 s9, s8, 4
	s_cmp_lt_i32 s8, s28
	s_mov_b32 s8, s4
	s_cselect_b32 s10, s9, s16
	s_mov_b32 s9, s4
	s_ashr_i32 s11, s10, 31
	s_delay_alu instid0(SALU_CYCLE_1)
	s_lshl_b64 s[24:25], s[10:11], 2
	s_mov_b32 s10, s4
	s_add_u32 s24, s34, s24
	s_addc_u32 s25, s35, s25
	s_or_b32 s11, s29, 0x90
	s_load_b32 s46, s[24:25], 0x0
	s_ashr_i32 s26, s11, 4
	s_cmp_lt_i32 s11, s28
	s_mov_b32 s11, s4
	s_cselect_b32 s26, s26, s16
	v_mov_b32_e32 v136, s11
	s_ashr_i32 s27, s26, 31
	v_dual_mov_b32 v135, s10 :: v_dual_mov_b32 v134, s9
	v_dual_mov_b32 v133, s8 :: v_dual_mov_b32 v132, s7
	;; [unrolled: 1-line block ×3, first 2 shown]
	v_mov_b32_e32 v129, s4
	s_lshl_b64 s[4:5], s[26:27], 2
	s_waitcnt lgkmcnt(0)
	s_mul_hi_i32 s7, s37, s17
	s_add_u32 s26, s34, s4
	s_addc_u32 s27, s35, s5
	s_or_b32 s4, s29, 0xa0
	s_load_b32 s39, s[26:27], 0x0
	s_ashr_i32 s5, s4, 4
	s_cmp_lt_i32 s4, s28
	s_cselect_b32 s4, s5, s16
	s_delay_alu instid0(SALU_CYCLE_1) | instskip(NEXT) | instid1(SALU_CYCLE_1)
	s_ashr_i32 s5, s4, 31
	s_lshl_b64 s[4:5], s[4:5], 2
	s_delay_alu instid0(SALU_CYCLE_1)
	s_add_u32 s40, s34, s4
	s_addc_u32 s41, s35, s5
	s_or_b32 s4, s29, 0xb0
	s_mul_hi_i32 s5, s38, s17
	s_ashr_i32 s6, s4, 4
	s_cmp_lt_i32 s4, s28
	s_mul_i32 s4, s38, s17
	s_load_b32 s38, s[40:41], 0x0
	s_cselect_b32 s8, s6, s16
	s_mul_i32 s6, s37, s17
	s_ashr_i32 s9, s8, 31
	s_mul_hi_i32 s27, s46, s17
	s_lshl_b64 s[10:11], s[8:9], 2
	s_mul_hi_i32 s9, s36, s17
	s_add_u32 s42, s34, s10
	s_addc_u32 s43, s35, s11
	s_or_b32 s10, s29, 0xc0
	s_mul_i32 s8, s36, s17
	s_ashr_i32 s36, s10, 4
	s_cmp_lt_i32 s10, s28
	s_mul_i32 s26, s46, s17
	s_cselect_b32 s36, s36, s16
	s_mul_hi_i32 s11, s13, s17
	s_ashr_i32 s37, s36, 31
	s_mul_i32 s10, s13, s17
	s_lshl_b64 s[36:37], s[36:37], 2
	s_mul_hi_i32 s13, s12, s17
	s_add_u32 s20, s34, s36
	s_addc_u32 s21, s35, s37
	s_or_b32 s18, s29, 0xd0
	s_mul_i32 s12, s12, s17
	s_ashr_i32 s19, s18, 4
	s_cmp_lt_i32 s18, s28
	s_mul_i32 s18, s15, s17
	s_cselect_b32 s24, s19, s16
	s_mul_hi_i32 s19, s15, s17
	s_ashr_i32 s25, s24, 31
	s_waitcnt lgkmcnt(0)
	s_mul_hi_i32 s41, s39, s17
	s_lshl_b64 s[24:25], s[24:25], 2
	s_delay_alu instid0(SALU_CYCLE_1)
	s_add_u32 s24, s34, s24
	s_addc_u32 s25, s35, s25
	s_or_b32 s40, s29, 0xe0
	s_clause 0x2
	s_load_b32 s37, s[42:43], 0x0
	s_load_b32 s36, s[20:21], 0x0
	;; [unrolled: 1-line block ×3, first 2 shown]
	s_ashr_i32 s47, s40, 4
	s_cmp_lt_i32 s40, s28
	s_mul_hi_i32 s21, s44, s17
	s_cselect_b32 s42, s47, s16
	s_mul_i32 s20, s44, s17
	s_ashr_i32 s43, s42, 31
	s_mul_hi_i32 s25, s45, s17
	s_lshl_b64 s[42:43], s[42:43], 2
	s_mul_i32 s24, s45, s17
	s_add_u32 s42, s34, s42
	s_addc_u32 s43, s35, s43
	s_or_b32 s44, s29, 0xf0
	s_mul_i32 s40, s39, s17
	s_ashr_i32 s46, s44, 4
	s_cmp_lt_i32 s44, s28
	s_mul_hi_i32 s39, s38, s17
	s_cselect_b32 s46, s46, s16
	s_mul_i32 s38, s38, s17
	s_ashr_i32 s47, s46, 31
	s_waitcnt lgkmcnt(0)
	s_mul_hi_i32 s49, s15, s17
	s_lshl_b64 s[46:47], s[46:47], 2
	s_mul_i32 s48, s15, s17
	s_add_u32 s34, s34, s46
	s_addc_u32 s35, s35, s47
	s_add_u32 s15, s22, s2
	s_addc_u32 s16, s23, s3
	v_add_co_u32 v216, s15, s15, v125
	s_delay_alu instid0(VALU_DEP_1) | instskip(SKIP_2) | instid1(VALU_DEP_2)
	v_add_co_ci_u32_e64 v217, null, s16, 0, s15
	s_lshl_b64 s[2:3], s[4:5], 1
	s_lshl_b64 s[4:5], s[6:7], 1
	v_add_co_u32 v125, vcc_lo, v216, s2
	s_delay_alu instid0(VALU_DEP_2)
	v_add_co_ci_u32_e32 v126, vcc_lo, s3, v217, vcc_lo
	v_add_co_u32 v199, vcc_lo, v216, s4
	s_lshl_b64 s[6:7], s[8:9], 1
	v_add_co_ci_u32_e32 v200, vcc_lo, s5, v217, vcc_lo
	s_lshl_b64 s[8:9], s[10:11], 1
	s_lshl_b64 s[10:11], s[12:13], 1
	;; [unrolled: 1-line block ×8, first 2 shown]
	s_mul_hi_i32 s45, s37, s17
	s_mul_i32 s44, s37, s17
	s_mul_hi_i32 s37, s36, s17
	s_lshl_b64 s[38:39], s[44:45], 1
	s_mul_i32 s36, s36, s17
	s_clause 0x1
	s_load_b32 s15, s[42:43], 0x0
	s_load_b32 s16, s[34:35], 0x0
	s_lshl_b64 s[36:37], s[36:37], 1
	s_lshl_b64 s[40:41], s[48:49], 1
	s_waitcnt lgkmcnt(0)
	s_mul_hi_i32 s3, s15, s17
	s_mul_i32 s2, s15, s17
	s_mul_hi_i32 s5, s16, s17
	s_lshl_b64 s[2:3], s[2:3], 1
	s_mul_i32 s4, s16, s17
	s_waitcnt vmcnt(30)
	v_wmma_f32_16x16x16_bf16 v[191:198], v[89:96], v[105:112], v[129:136]
	v_add_co_u32 v89, vcc_lo, v216, s6
	v_add_co_ci_u32_e32 v90, vcc_lo, s7, v217, vcc_lo
	v_add_co_u32 v91, vcc_lo, v216, s8
	v_add_co_ci_u32_e32 v92, vcc_lo, s9, v217, vcc_lo
	;; [unrolled: 2-line block ×5, first 2 shown]
	v_add_co_u32 v205, vcc_lo, v216, s20
	s_waitcnt vmcnt(28)
	v_wmma_f32_16x16x16_bf16 v[129:136], v[97:104], v[105:112], v[129:136]
	v_add_co_ci_u32_e32 v206, vcc_lo, s21, v217, vcc_lo
	v_add_co_u32 v207, vcc_lo, v216, s22
	v_add_co_ci_u32_e32 v208, vcc_lo, s23, v217, vcc_lo
	v_add_co_u32 v209, vcc_lo, v216, s24
	s_waitcnt vmcnt(26)
	v_wmma_f32_16x16x16_bf16 v[191:198], v[81:88], v[113:120], v[191:198]
	s_waitcnt vmcnt(24)
	v_wmma_f32_16x16x16_bf16 v[129:136], v[73:80], v[113:120], v[129:136]
	v_add_co_ci_u32_e32 v210, vcc_lo, s25, v217, vcc_lo
	v_add_co_u32 v211, vcc_lo, v216, s26
	v_add_co_ci_u32_e32 v212, vcc_lo, s27, v217, vcc_lo
	v_add_co_u32 v213, vcc_lo, v216, s38
	s_waitcnt vmcnt(22)
	v_wmma_f32_16x16x16_bf16 v[191:198], v[65:72], v[143:150], v[191:198]
	s_waitcnt vmcnt(20)
	v_wmma_f32_16x16x16_bf16 v[129:136], v[57:64], v[143:150], v[129:136]
	v_add_co_ci_u32_e32 v214, vcc_lo, s39, v217, vcc_lo
	v_add_co_u32 v143, vcc_lo, v216, s36
	s_waitcnt vmcnt(18)
	v_wmma_f32_16x16x16_bf16 v[191:198], v[49:56], v[151:158], v[191:198]
	s_waitcnt vmcnt(16)
	v_wmma_f32_16x16x16_bf16 v[129:136], v[41:48], v[151:158], v[129:136]
	v_add_co_ci_u32_e32 v144, vcc_lo, s37, v217, vcc_lo
	s_clause 0x15
	global_load_b128 v[121:124], v[125:126], off
	global_load_b128 v[125:128], v[125:126], off offset:16
	global_load_b128 v[113:116], v[199:200], off
	global_load_b128 v[117:120], v[199:200], off offset:16
	;; [unrolled: 2-line block ×11, first 2 shown]
	s_waitcnt vmcnt(36)
	v_wmma_f32_16x16x16_bf16 v[191:198], v[17:24], v[159:166], v[191:198]
	s_clause 0x1
	global_load_b128 v[17:20], v[213:214], off
	global_load_b128 v[21:24], v[213:214], off offset:16
	s_waitcnt vmcnt(36)
	v_wmma_f32_16x16x16_bf16 v[129:136], v[1:8], v[159:166], v[129:136]
	s_clause 0x1
	global_load_b128 v[1:4], v[143:144], off
	global_load_b128 v[5:8], v[143:144], off offset:16
	ds_load_b128 v[143:146], v215 offset:10240
	ds_load_b128 v[147:150], v215 offset:11264
	;; [unrolled: 1-line block ×4, first 2 shown]
	v_add_co_u32 v199, vcc_lo, v216, s40
	v_add_co_ci_u32_e32 v200, vcc_lo, s41, v217, vcc_lo
	v_add_co_u32 v159, vcc_lo, v216, s2
	v_add_co_ci_u32_e32 v160, vcc_lo, s3, v217, vcc_lo
	s_lshl_b64 s[2:3], s[4:5], 1
	s_delay_alu instid0(SALU_CYCLE_1)
	v_add_co_u32 v161, vcc_lo, v216, s2
	v_add_co_ci_u32_e32 v162, vcc_lo, s3, v217, vcc_lo
	s_waitcnt vmcnt(36) lgkmcnt(2)
	v_wmma_f32_16x16x16_bf16 v[191:198], v[33:40], v[143:150], v[191:198]
	s_waitcnt vmcnt(34)
	v_wmma_f32_16x16x16_bf16 v[129:136], v[25:32], v[143:150], v[129:136]
	s_clause 0x3
	global_load_b128 v[25:28], v[199:200], off
	global_load_b128 v[29:32], v[199:200], off offset:16
	global_load_b128 v[33:36], v[159:160], off
	global_load_b128 v[37:40], v[159:160], off offset:16
	v_and_b32_e32 v143, 0xe0, v0
	v_mbcnt_lo_u32_b32 v159, -1, 0
	s_waitcnt vmcnt(36) lgkmcnt(0)
	v_wmma_f32_16x16x16_bf16 v[191:198], v[9:16], v[151:158], v[191:198]
	s_clause 0x1
	global_load_b128 v[9:12], v[161:162], off
	global_load_b128 v[13:16], v[161:162], off offset:16
	s_waitcnt vmcnt(36)
	v_wmma_f32_16x16x16_bf16 v[129:136], v[167:174], v[151:158], v[129:136]
	v_add_nc_u32_e32 v160, s29, v143
	ds_load_b128 v[143:146], v215 offset:14336
	ds_load_b128 v[147:150], v215 offset:15360
	v_xor_b32_e32 v151, 16, v159
	s_waitcnt vmcnt(0) lgkmcnt(0)
	s_barrier
	v_or_b32_e32 v152, v160, v138
	buffer_gl0_inv
	v_cmp_gt_i32_e32 vcc_lo, 32, v151
	v_or_b32_e32 v153, 2, v152
	v_or_b32_e32 v154, 4, v152
	;; [unrolled: 1-line block ×5, first 2 shown]
	v_cmp_gt_i32_e64 s2, s28, v153
	v_cmp_gt_i32_e64 s3, s28, v154
	;; [unrolled: 1-line block ×3, first 2 shown]
	v_or_b32_e32 v158, 12, v152
	v_cmp_gt_i32_e64 s5, s28, v156
	v_cmp_gt_i32_e64 s6, s28, v157
	v_wmma_f32_16x16x16_bf16 v[191:198], v[175:182], v[143:150], v[191:198]
	v_wmma_f32_16x16x16_bf16 v[129:136], v[183:190], v[143:150], v[129:136]
	v_cndmask_b32_e32 v151, v159, v151, vcc_lo
	v_cmp_gt_i32_e32 vcc_lo, s28, v152
	v_or_b32_e32 v159, 14, v152
	v_dual_mul_f32 v149, s33, v192 :: v_dual_mul_f32 v150, s33, v191
	v_dual_mul_f32 v147, s33, v194 :: v_dual_mul_f32 v148, s33, v193
	;; [unrolled: 1-line block ×3, first 2 shown]
	s_delay_alu instid0(VALU_DEP_3) | instskip(NEXT) | instid1(VALU_DEP_4)
	v_cndmask_b32_e32 v150, 0xff7fffff, v150, vcc_lo
	v_cndmask_b32_e64 v149, 0xff7fffff, v149, s2
	v_mul_f32_e32 v146, s33, v195
	v_cndmask_b32_e64 v148, 0xff7fffff, v148, s3
	v_cndmask_b32_e64 v147, 0xff7fffff, v147, s4
	v_or_b32_e32 v160, 16, v152
	v_max3_f32 v149, v150, 0xff7fffff, v149
	v_or_b32_e32 v161, 18, v152
	v_dual_mul_f32 v143, s33, v198 :: v_dual_mul_f32 v144, s33, v197
	v_cndmask_b32_e64 v146, 0xff7fffff, v146, s5
	v_cndmask_b32_e64 v145, 0xff7fffff, v145, s6
	v_max3_f32 v147, v149, v148, v147
	v_cmp_gt_i32_e64 s7, s28, v158
	v_cmp_gt_i32_e64 s8, s28, v159
	v_or_b32_e32 v162, 20, v152
	v_or_b32_e32 v163, 22, v152
	v_mul_f32_e32 v175, s33, v129
	v_cndmask_b32_e64 v144, 0xff7fffff, v144, s7
	v_cndmask_b32_e64 v143, 0xff7fffff, v143, s8
	v_max3_f32 v145, v147, v146, v145
	v_cmp_gt_i32_e64 s9, s28, v160
	v_cmp_gt_i32_e64 s10, s28, v161
	v_or_b32_e32 v164, 24, v152
	v_or_b32_e32 v165, 26, v152
	v_dual_mul_f32 v172, s33, v132 :: v_dual_mul_f32 v173, s33, v131
	v_cndmask_b32_e64 v146, 0xff7fffff, v175, s9
	v_cndmask_b32_e64 v147, 0xff7fffff, v174, s10
	v_max3_f32 v143, v145, v144, v143
	v_cmp_gt_i32_e64 s11, s28, v162
	v_cmp_gt_i32_e64 s12, s28, v163
	v_or_b32_e32 v166, 28, v152
	v_or_b32_e32 v167, 30, v152
	v_dual_mul_f32 v170, s33, v134 :: v_dual_mul_f32 v171, s33, v133
	v_cndmask_b32_e64 v144, 0xff7fffff, v173, s11
	v_cndmask_b32_e64 v145, 0xff7fffff, v172, s12
	v_max3_f32 v143, v143, v146, v147
	v_cmp_gt_i32_e64 s13, s28, v164
	v_cmp_gt_i32_e64 s15, s28, v165
	v_dual_mul_f32 v168, s33, v136 :: v_dual_mul_f32 v169, s33, v135
	s_delay_alu instid0(VALU_DEP_4) | instskip(NEXT) | instid1(VALU_DEP_4)
	v_max3_f32 v143, v143, v144, v145
	v_cndmask_b32_e64 v146, 0xff7fffff, v171, s13
	s_delay_alu instid0(VALU_DEP_4) | instskip(SKIP_3) | instid1(VALU_DEP_4)
	v_cndmask_b32_e64 v147, 0xff7fffff, v170, s15
	v_cmp_gt_i32_e64 s16, s28, v166
	v_cmp_gt_i32_e64 s17, s28, v167
	v_lshlrev_b32_e32 v154, 2, v151
	v_max3_f32 v143, v143, v146, v147
	s_delay_alu instid0(VALU_DEP_4) | instskip(NEXT) | instid1(VALU_DEP_4)
	v_cndmask_b32_e64 v144, 0xff7fffff, v169, s16
	v_cndmask_b32_e64 v145, 0xff7fffff, v168, s17
	s_delay_alu instid0(VALU_DEP_1) | instskip(SKIP_3) | instid1(VALU_DEP_1)
	v_max3_f32 v143, v143, v144, v145
	ds_bpermute_b32 v144, v154, v143
	s_waitcnt lgkmcnt(0)
	v_max_f32_e32 v144, v144, v144
	v_max_f32_e32 v153, v143, v144
	s_delay_alu instid0(VALU_DEP_1) | instskip(SKIP_4) | instid1(VALU_DEP_4)
	v_fma_f32 v143, s33, v191, -v153
	v_fma_f32 v144, s33, v192, -v153
	;; [unrolled: 1-line block ×5, first 2 shown]
	v_dual_mul_f32 v143, 0x3fb8aa3b, v143 :: v_dual_mul_f32 v144, 0x3fb8aa3b, v144
	s_delay_alu instid0(VALU_DEP_4) | instskip(SKIP_2) | instid1(VALU_DEP_4)
	v_mul_f32_e32 v130, 0x3fb8aa3b, v130
	v_fma_f32 v132, s33, v132, -v153
	v_mul_f32_e32 v145, 0x3fb8aa3b, v145
	v_exp_f32_e32 v143, v143
	v_exp_f32_e32 v147, v144
	v_fma_f32 v148, s33, v195, -v153
	v_mul_f32_e32 v132, 0x3fb8aa3b, v132
	v_mul_f32_e32 v146, 0x3fb8aa3b, v146
	v_exp_f32_e32 v145, v145
	v_fma_f32 v151, s33, v197, -v153
	v_mul_f32_e32 v148, 0x3fb8aa3b, v148
	v_fma_f32 v134, s33, v134, -v153
	v_exp_f32_e32 v149, v146
	v_cndmask_b32_e32 v144, 0, v143, vcc_lo
	v_fma_f32 v143, s33, v196, -v153
	v_cndmask_b32_e64 v146, 0, v147, s2
	v_exp_f32_e32 v148, v148
	s_delay_alu instid0(VALU_DEP_3) | instskip(NEXT) | instid1(VALU_DEP_3)
	v_dual_mul_f32 v151, 0x3fb8aa3b, v151 :: v_dual_add_f32 v150, 0, v144
	v_dual_mul_f32 v143, 0x3fb8aa3b, v143 :: v_dual_mul_f32 v134, 0x3fb8aa3b, v134
	v_cndmask_b32_e64 v147, 0, v145, s3
	s_delay_alu instid0(TRANS32_DEP_2) | instskip(NEXT) | instid1(VALU_DEP_4)
	v_cndmask_b32_e64 v149, 0, v149, s4
	v_add_f32_e32 v145, v150, v146
	v_fma_f32 v150, s33, v198, -v153
	v_exp_f32_e32 v143, v143
	v_fma_f32 v129, s33, v129, -v153
	v_exp_f32_e32 v155, v151
	s_delay_alu instid0(VALU_DEP_2) | instskip(SKIP_1) | instid1(VALU_DEP_3)
	v_dual_add_f32 v145, v145, v147 :: v_dual_mul_f32 v152, 0x3fb8aa3b, v150
	v_cndmask_b32_e64 v150, 0, v148, s5
	v_mul_f32_e32 v129, 0x3fb8aa3b, v129
	v_fma_f32 v131, s33, v131, -v153
	s_delay_alu instid0(VALU_DEP_4) | instskip(SKIP_1) | instid1(TRANS32_DEP_3)
	v_add_f32_e32 v145, v145, v149
	v_exp_f32_e32 v152, v152
	v_cndmask_b32_e64 v151, 0, v143, s6
	v_exp_f32_e32 v129, v129
	s_delay_alu instid0(TRANS32_DEP_3)
	v_cndmask_b32_e64 v148, 0, v155, s7
	v_add_f32_e32 v143, v145, v150
	v_mul_f32_e32 v131, 0x3fb8aa3b, v131
	v_exp_f32_e32 v130, v130
	v_fma_f32 v133, s33, v133, -v153
	v_fma_f32 v136, s33, v136, -v153
	v_add_f32_e32 v143, v143, v151
	v_cndmask_b32_e64 v152, 0, v152, s8
	v_exp_f32_e32 v145, v131
	v_cndmask_b32_e64 v131, 0, v129, s9
	v_mul_f32_e32 v133, 0x3fb8aa3b, v133
	v_add_f32_e32 v143, v143, v148
	v_cmp_gt_u32_e64 s2, 16, v142
	s_delay_alu instid0(VALU_DEP_2)
	v_add_f32_e32 v129, v143, v152
	v_exp_f32_e32 v143, v132
	v_cndmask_b32_e64 v132, 0, v130, s10
	v_fma_f32 v130, s33, v135, -v153
	v_exp_f32_e32 v135, v133
	v_add_f32_e32 v129, v129, v131
	v_cndmask_b32_e64 v133, 0, v145, s11
	v_exp_f32_e32 v145, v134
	s_delay_alu instid0(VALU_DEP_2) | instskip(NEXT) | instid1(TRANS32_DEP_3)
	v_dual_mul_f32 v130, 0x3fb8aa3b, v130 :: v_dual_add_f32 v129, v129, v132
	v_cndmask_b32_e64 v134, 0, v143, s12
	v_mul_f32_e32 v143, 0x3fb8aa3b, v136
	s_delay_alu instid0(VALU_DEP_3) | instskip(NEXT) | instid1(TRANS32_DEP_3)
	v_exp_f32_e32 v130, v130
	v_cndmask_b32_e64 v135, 0, v135, s13
	v_add_f32_e32 v129, v129, v133
	s_delay_alu instid0(TRANS32_DEP_2) | instskip(SKIP_1) | instid1(VALU_DEP_2)
	v_cndmask_b32_e64 v136, 0, v145, s15
	v_exp_f32_e32 v145, v143
	v_add_f32_e32 v129, v129, v134
	s_waitcnt_depctr 0xfff
	v_cndmask_b32_e64 v143, 0, v130, s16
	v_add_f32_e32 v129, v129, v135
	v_cndmask_b32_e64 v145, 0, v145, s17
	s_delay_alu instid0(VALU_DEP_2) | instskip(NEXT) | instid1(VALU_DEP_1)
	v_add_f32_e32 v129, v129, v136
	v_add_f32_e32 v129, v129, v143
	s_delay_alu instid0(VALU_DEP_1)
	v_add_f32_e32 v129, v129, v145
	ds_bpermute_b32 v130, v154, v129
	s_and_saveexec_b32 s3, s2
	s_cbranch_execz .LBB638_12
; %bb.11:
	v_mul_u32_u24_e32 v142, 0x44, v141
	s_waitcnt lgkmcnt(0)
	v_add_f32_e32 v129, v129, v130
	s_delay_alu instid0(VALU_DEP_2) | instskip(NEXT) | instid1(VALU_DEP_1)
	v_lshl_add_u32 v142, v140, 2, v142
	v_add_nc_u32_e32 v130, 0x4000, v142
	ds_store_2addr_b32 v130, v153, v129 offset1:136
.LBB638_12:
	s_or_b32 exec_lo, exec_lo, s3
	v_lshlrev_b32_e32 v129, 2, v140
	s_waitcnt lgkmcnt(0)
	s_barrier
	buffer_gl0_inv
	v_cmp_eq_u32_e64 s3, 1, v141
	v_add_nc_u32_e32 v142, 0x4000, v129
	ds_load_2addr_b32 v[153:154], v142 offset1:17
	ds_load_2addr_b32 v[155:156], v142 offset0:34 offset1:51
	ds_load_2addr_b32 v[157:158], v142 offset0:68 offset1:85
	;; [unrolled: 1-line block ×4, first 2 shown]
	s_waitcnt lgkmcnt(4)
	v_max3_f32 v129, v153, 0xff7fffff, v154
	s_waitcnt lgkmcnt(3)
	s_delay_alu instid0(VALU_DEP_1) | instskip(SKIP_1) | instid1(VALU_DEP_1)
	v_max3_f32 v129, v129, v155, v156
	s_waitcnt lgkmcnt(2)
	v_max3_f32 v129, v129, v157, v158
	s_waitcnt lgkmcnt(1)
	s_delay_alu instid0(VALU_DEP_1) | instskip(NEXT) | instid1(VALU_DEP_1)
	v_max3_f32 v129, v129, v159, v160
	v_sub_f32_e32 v163, v154, v129
	v_sub_f32_e32 v130, v153, v129
	ds_load_2addr_b32 v[153:154], v142 offset0:170 offset1:187
	v_sub_f32_e32 v155, v155, v129
	v_dual_mul_f32 v163, 0x3fb8aa3b, v163 :: v_dual_mul_f32 v130, 0x3fb8aa3b, v130
	s_delay_alu instid0(VALU_DEP_2) | instskip(NEXT) | instid1(VALU_DEP_2)
	v_mul_f32_e32 v165, 0x3fb8aa3b, v155
	v_exp_f32_e32 v163, v163
	s_delay_alu instid0(VALU_DEP_2)
	v_exp_f32_e32 v164, v130
	v_sub_f32_e32 v130, v156, v129
	ds_load_2addr_b32 v[155:156], v142 offset0:204 offset1:221
	v_exp_f32_e32 v165, v165
	v_mul_f32_e32 v166, 0x3fb8aa3b, v130
	s_waitcnt lgkmcnt(2)
	v_fma_f32 v130, v164, v161, 0
	v_sub_f32_e32 v157, v157, v129
	s_delay_alu instid0(VALU_DEP_3) | instskip(NEXT) | instid1(VALU_DEP_2)
	v_exp_f32_e32 v166, v166
	v_dual_sub_f32 v161, v158, v129 :: v_dual_fmac_f32 v130, v163, v162
	s_waitcnt lgkmcnt(1)
	s_waitcnt_depctr 0xfff
	v_fmac_f32_e32 v130, v165, v153
	v_mul_f32_e32 v167, 0x3fb8aa3b, v157
	ds_load_2addr_b32 v[157:158], v142 offset0:238 offset1:255
	v_sub_f32_e32 v142, v159, v129
	v_dual_sub_f32 v153, v160, v129 :: v_dual_fmac_f32 v130, v166, v154
	v_mul_f32_e32 v159, 0x3fb8aa3b, v161
	v_exp_f32_e32 v161, v167
	s_delay_alu instid0(VALU_DEP_2)
	v_dual_mul_f32 v142, 0x3fb8aa3b, v142 :: v_dual_mul_f32 v153, 0x3fb8aa3b, v153
	s_waitcnt lgkmcnt(0)
	s_barrier
	buffer_gl0_inv
	v_exp_f32_e32 v142, v142
	v_exp_f32_e32 v153, v153
	v_fmac_f32_e32 v130, v161, v155
	v_exp_f32_e32 v159, v159
	s_waitcnt_depctr 0xfff
	v_fmac_f32_e32 v130, v159, v156
	s_delay_alu instid0(VALU_DEP_1) | instskip(NEXT) | instid1(VALU_DEP_1)
	v_fmac_f32_e32 v130, v142, v157
	v_fmac_f32_e32 v130, v153, v158
	s_delay_alu instid0(VALU_DEP_1) | instskip(NEXT) | instid1(VALU_DEP_1)
	v_add_f32_e32 v154, 0x358637bd, v130
	v_div_scale_f32 v155, null, v154, v154, 1.0
	v_div_scale_f32 v158, vcc_lo, 1.0, v154, 1.0
	s_delay_alu instid0(VALU_DEP_2) | instskip(SKIP_2) | instid1(VALU_DEP_1)
	v_rcp_f32_e32 v156, v155
	s_waitcnt_depctr 0xfff
	v_fma_f32 v157, -v155, v156, 1.0
	v_fmac_f32_e32 v156, v157, v156
	v_cndmask_b32_e64 v157, v164, v163, s3
	v_cmp_eq_u32_e64 s3, 2, v141
	s_delay_alu instid0(VALU_DEP_3) | instskip(NEXT) | instid1(VALU_DEP_2)
	v_mul_f32_e32 v160, v158, v156
	v_cndmask_b32_e64 v157, v157, v165, s3
	v_cmp_eq_u32_e64 s3, 3, v141
	s_delay_alu instid0(VALU_DEP_3) | instskip(NEXT) | instid1(VALU_DEP_2)
	v_fma_f32 v162, -v155, v160, v158
	v_cndmask_b32_e64 v157, v157, v166, s3
	v_cmp_eq_u32_e64 s3, 4, v141
	s_delay_alu instid0(VALU_DEP_3) | instskip(NEXT) | instid1(VALU_DEP_2)
	v_fmac_f32_e32 v160, v162, v156
	v_cndmask_b32_e64 v157, v157, v161, s3
	s_delay_alu instid0(VALU_DEP_2) | instskip(SKIP_1) | instid1(VALU_DEP_2)
	v_fma_f32 v155, -v155, v160, v158
	v_cmp_eq_u32_e64 s3, 5, v141
	v_div_fmas_f32 v155, v155, v156, v160
	s_delay_alu instid0(VALU_DEP_2) | instskip(SKIP_2) | instid1(VALU_DEP_3)
	v_cndmask_b32_e64 v157, v157, v159, s3
	v_cmp_eq_u32_e32 vcc_lo, 6, v141
	s_mov_b32 s3, exec_lo
	v_div_fixup_f32 v154, v155, v154, 1.0
	s_delay_alu instid0(VALU_DEP_3) | instskip(SKIP_1) | instid1(VALU_DEP_2)
	v_cndmask_b32_e32 v142, v157, v142, vcc_lo
	v_cmp_eq_u32_e32 vcc_lo, 7, v141
	v_cndmask_b32_e32 v142, v142, v153, vcc_lo
	s_delay_alu instid0(VALU_DEP_1) | instskip(NEXT) | instid1(VALU_DEP_1)
	v_mul_f32_e32 v142, v142, v154
	v_mul_f32_e32 v153, v142, v149
	;; [unrolled: 1-line block ×7, first 2 shown]
	v_dual_mul_f32 v150, v142, v147 :: v_dual_and_b32 v155, 0x7f800000, v154
	v_mul_f32_e32 v149, v142, v146
                                        ; implicit-def: $vgpr146
	s_delay_alu instid0(VALU_DEP_2)
	v_cmpx_ne_u32_e32 0x7f800000, v155
	s_xor_b32 s3, exec_lo, s3
; %bb.13:
	v_bfe_u32 v146, v154, 16, 1
	s_delay_alu instid0(VALU_DEP_1)
	v_add3_u32 v146, v154, v146, 0x7fff
                                        ; implicit-def: $vgpr154
; %bb.14:
	s_and_not1_saveexec_b32 s3, s3
; %bb.15:
	v_and_b32_e32 v146, 0xffff, v154
	v_or_b32_e32 v147, 0x10000, v154
	s_delay_alu instid0(VALU_DEP_2) | instskip(NEXT) | instid1(VALU_DEP_2)
	v_cmp_eq_u32_e32 vcc_lo, 0, v146
	v_cndmask_b32_e32 v146, v147, v154, vcc_lo
; %bb.16:
	s_or_b32 exec_lo, exec_lo, s3
	v_and_b32_e32 v147, 0x7f800000, v149
	s_delay_alu instid0(VALU_DEP_1) | instskip(SKIP_1) | instid1(SALU_CYCLE_1)
	v_cmp_ne_u32_e32 vcc_lo, 0x7f800000, v147
                                        ; implicit-def: $vgpr147
	s_and_saveexec_b32 s3, vcc_lo
	s_xor_b32 s3, exec_lo, s3
; %bb.17:
	v_bfe_u32 v147, v149, 16, 1
	s_delay_alu instid0(VALU_DEP_1)
	v_add3_u32 v147, v149, v147, 0x7fff
                                        ; implicit-def: $vgpr149
; %bb.18:
	s_and_not1_saveexec_b32 s3, s3
; %bb.19:
	v_and_b32_e32 v147, 0xffff, v149
	v_or_b32_e32 v154, 0x10000, v149
	s_delay_alu instid0(VALU_DEP_2) | instskip(NEXT) | instid1(VALU_DEP_2)
	v_cmp_eq_u32_e32 vcc_lo, 0, v147
	v_cndmask_b32_e32 v147, v154, v149, vcc_lo
; %bb.20:
	s_or_b32 exec_lo, exec_lo, s3
	v_and_b32_e32 v149, 0x7f800000, v150
	s_delay_alu instid0(VALU_DEP_1) | instskip(SKIP_1) | instid1(SALU_CYCLE_1)
	v_cmp_ne_u32_e32 vcc_lo, 0x7f800000, v149
                                        ; implicit-def: $vgpr149
	s_and_saveexec_b32 s3, vcc_lo
	s_xor_b32 s3, exec_lo, s3
; %bb.21:
	v_bfe_u32 v149, v150, 16, 1
	s_delay_alu instid0(VALU_DEP_1)
	v_add3_u32 v149, v150, v149, 0x7fff
                                        ; implicit-def: $vgpr150
; %bb.22:
	s_and_not1_saveexec_b32 s3, s3
; %bb.23:
	v_and_b32_e32 v149, 0xffff, v150
	v_or_b32_e32 v154, 0x10000, v150
	s_delay_alu instid0(VALU_DEP_2) | instskip(NEXT) | instid1(VALU_DEP_2)
	v_cmp_eq_u32_e32 vcc_lo, 0, v149
	v_cndmask_b32_e32 v149, v154, v150, vcc_lo
; %bb.24:
	s_or_b32 exec_lo, exec_lo, s3
	v_and_b32_e32 v150, 0x7f800000, v153
	s_delay_alu instid0(VALU_DEP_1) | instskip(SKIP_1) | instid1(SALU_CYCLE_1)
	v_cmp_ne_u32_e32 vcc_lo, 0x7f800000, v150
                                        ; implicit-def: $vgpr150
	s_and_saveexec_b32 s3, vcc_lo
	s_xor_b32 s3, exec_lo, s3
; %bb.25:
	v_bfe_u32 v150, v153, 16, 1
	s_delay_alu instid0(VALU_DEP_1)
	v_add3_u32 v150, v153, v150, 0x7fff
                                        ; implicit-def: $vgpr153
; %bb.26:
	s_and_not1_saveexec_b32 s3, s3
; %bb.27:
	v_and_b32_e32 v150, 0xffff, v153
	v_or_b32_e32 v154, 0x10000, v153
	s_delay_alu instid0(VALU_DEP_2) | instskip(NEXT) | instid1(VALU_DEP_2)
	v_cmp_eq_u32_e32 vcc_lo, 0, v150
	v_cndmask_b32_e32 v150, v154, v153, vcc_lo
; %bb.28:
	s_or_b32 exec_lo, exec_lo, s3
	v_and_b32_e32 v153, 0x7f800000, v152
	s_delay_alu instid0(VALU_DEP_1) | instskip(SKIP_1) | instid1(SALU_CYCLE_1)
	v_cmp_ne_u32_e32 vcc_lo, 0x7f800000, v153
                                        ; implicit-def: $vgpr153
	s_and_saveexec_b32 s3, vcc_lo
	s_xor_b32 s3, exec_lo, s3
; %bb.29:
	v_bfe_u32 v153, v152, 16, 1
	s_delay_alu instid0(VALU_DEP_1)
	v_add3_u32 v153, v152, v153, 0x7fff
                                        ; implicit-def: $vgpr152
; %bb.30:
	s_and_not1_saveexec_b32 s3, s3
; %bb.31:
	v_and_b32_e32 v153, 0xffff, v152
	v_or_b32_e32 v154, 0x10000, v152
	s_delay_alu instid0(VALU_DEP_2) | instskip(NEXT) | instid1(VALU_DEP_2)
	v_cmp_eq_u32_e32 vcc_lo, 0, v153
	v_cndmask_b32_e32 v153, v154, v152, vcc_lo
; %bb.32:
	s_or_b32 exec_lo, exec_lo, s3
	v_and_b32_e32 v152, 0x7f800000, v151
	s_delay_alu instid0(VALU_DEP_1) | instskip(SKIP_1) | instid1(SALU_CYCLE_1)
	v_cmp_ne_u32_e32 vcc_lo, 0x7f800000, v152
                                        ; implicit-def: $vgpr152
	s_and_saveexec_b32 s3, vcc_lo
	s_xor_b32 s3, exec_lo, s3
; %bb.33:
	v_bfe_u32 v152, v151, 16, 1
	s_delay_alu instid0(VALU_DEP_1)
	v_add3_u32 v152, v151, v152, 0x7fff
                                        ; implicit-def: $vgpr151
; %bb.34:
	s_and_not1_saveexec_b32 s3, s3
; %bb.35:
	v_and_b32_e32 v152, 0xffff, v151
	v_or_b32_e32 v154, 0x10000, v151
	s_delay_alu instid0(VALU_DEP_2) | instskip(NEXT) | instid1(VALU_DEP_2)
	v_cmp_eq_u32_e32 vcc_lo, 0, v152
	v_cndmask_b32_e32 v152, v154, v151, vcc_lo
; %bb.36:
	s_or_b32 exec_lo, exec_lo, s3
	v_and_b32_e32 v151, 0x7f800000, v148
	s_delay_alu instid0(VALU_DEP_1) | instskip(SKIP_1) | instid1(SALU_CYCLE_1)
	v_cmp_ne_u32_e32 vcc_lo, 0x7f800000, v151
                                        ; implicit-def: $vgpr151
	s_and_saveexec_b32 s3, vcc_lo
	s_xor_b32 s3, exec_lo, s3
; %bb.37:
	v_bfe_u32 v151, v148, 16, 1
	s_delay_alu instid0(VALU_DEP_1)
	v_add3_u32 v151, v148, v151, 0x7fff
                                        ; implicit-def: $vgpr148
; %bb.38:
	s_and_not1_saveexec_b32 s3, s3
; %bb.39:
	v_and_b32_e32 v151, 0xffff, v148
	v_or_b32_e32 v154, 0x10000, v148
	s_delay_alu instid0(VALU_DEP_2) | instskip(NEXT) | instid1(VALU_DEP_2)
	v_cmp_eq_u32_e32 vcc_lo, 0, v151
	v_cndmask_b32_e32 v151, v154, v148, vcc_lo
; %bb.40:
	s_or_b32 exec_lo, exec_lo, s3
	v_and_b32_e32 v148, 0x7f800000, v144
	s_delay_alu instid0(VALU_DEP_1) | instskip(SKIP_1) | instid1(SALU_CYCLE_1)
	v_cmp_ne_u32_e32 vcc_lo, 0x7f800000, v148
                                        ; implicit-def: $vgpr148
	s_and_saveexec_b32 s3, vcc_lo
	s_xor_b32 s3, exec_lo, s3
; %bb.41:
	v_bfe_u32 v148, v144, 16, 1
	s_delay_alu instid0(VALU_DEP_1)
	v_add3_u32 v148, v144, v148, 0x7fff
                                        ; implicit-def: $vgpr144
; %bb.42:
	s_and_not1_saveexec_b32 s3, s3
; %bb.43:
	v_and_b32_e32 v148, 0xffff, v144
	v_or_b32_e32 v154, 0x10000, v144
	s_delay_alu instid0(VALU_DEP_2) | instskip(NEXT) | instid1(VALU_DEP_2)
	v_cmp_eq_u32_e32 vcc_lo, 0, v148
	v_cndmask_b32_e32 v148, v154, v144, vcc_lo
; %bb.44:
	s_or_b32 exec_lo, exec_lo, s3
	s_load_b64 s[34:35], s[0:1], 0x94
	v_lshlrev_b32_e32 v155, 4, v138
	s_delay_alu instid0(VALU_DEP_2)
	v_perm_b32 v154, v148, v151, 0x7060302
	v_mul_f32_e32 v148, v142, v131
	v_dual_mul_f32 v145, v142, v145 :: v_dual_lshlrev_b32 v144, 6, v140
	v_dual_mul_f32 v143, v142, v143 :: v_dual_lshlrev_b32 v156, 11, v141
	v_perm_b32 v153, v152, v153, 0x7060302
	v_perm_b32 v152, v150, v149, 0x7060302
	;; [unrolled: 1-line block ×3, first 2 shown]
	s_delay_alu instid0(VALU_DEP_4)
	v_or3_b32 v131, v155, v156, v144
	v_mul_f32_e32 v136, v142, v136
	v_dual_mul_f32 v146, v142, v134 :: v_dual_and_b32 v149, 0x7f800000, v148
	v_mul_f32_e32 v135, v142, v135
	v_mul_f32_e32 v147, v142, v133
	;; [unrolled: 1-line block ×3, first 2 shown]
	s_mov_b32 s3, exec_lo
	ds_store_b128 v131, v[151:154]
                                        ; implicit-def: $vgpr132
	v_cmpx_ne_u32_e32 0x7f800000, v149
	s_xor_b32 s3, exec_lo, s3
; %bb.45:
	v_bfe_u32 v132, v148, 16, 1
	s_delay_alu instid0(VALU_DEP_1)
	v_add3_u32 v132, v148, v132, 0x7fff
                                        ; implicit-def: $vgpr148
; %bb.46:
	s_and_not1_saveexec_b32 s3, s3
; %bb.47:
	v_and_b32_e32 v132, 0xffff, v148
	v_or_b32_e32 v133, 0x10000, v148
	s_delay_alu instid0(VALU_DEP_2) | instskip(NEXT) | instid1(VALU_DEP_2)
	v_cmp_eq_u32_e32 vcc_lo, 0, v132
	v_cndmask_b32_e32 v132, v133, v148, vcc_lo
; %bb.48:
	s_or_b32 exec_lo, exec_lo, s3
	v_and_b32_e32 v133, 0x7f800000, v134
	s_delay_alu instid0(VALU_DEP_1) | instskip(SKIP_1) | instid1(SALU_CYCLE_1)
	v_cmp_ne_u32_e32 vcc_lo, 0x7f800000, v133
                                        ; implicit-def: $vgpr133
	s_and_saveexec_b32 s3, vcc_lo
	s_xor_b32 s3, exec_lo, s3
; %bb.49:
	v_bfe_u32 v133, v134, 16, 1
	s_delay_alu instid0(VALU_DEP_1)
	v_add3_u32 v133, v134, v133, 0x7fff
                                        ; implicit-def: $vgpr134
; %bb.50:
	s_and_not1_saveexec_b32 s3, s3
; %bb.51:
	v_and_b32_e32 v133, 0xffff, v134
	v_or_b32_e32 v142, 0x10000, v134
	s_delay_alu instid0(VALU_DEP_2) | instskip(NEXT) | instid1(VALU_DEP_2)
	v_cmp_eq_u32_e32 vcc_lo, 0, v133
	v_cndmask_b32_e32 v133, v142, v134, vcc_lo
; %bb.52:
	s_or_b32 exec_lo, exec_lo, s3
	v_and_b32_e32 v134, 0x7f800000, v147
	s_delay_alu instid0(VALU_DEP_1) | instskip(SKIP_1) | instid1(SALU_CYCLE_1)
	v_cmp_ne_u32_e32 vcc_lo, 0x7f800000, v134
                                        ; implicit-def: $vgpr134
	s_and_saveexec_b32 s3, vcc_lo
	s_xor_b32 s3, exec_lo, s3
; %bb.53:
	v_bfe_u32 v134, v147, 16, 1
	s_delay_alu instid0(VALU_DEP_1)
	v_add3_u32 v134, v147, v134, 0x7fff
                                        ; implicit-def: $vgpr147
; %bb.54:
	s_and_not1_saveexec_b32 s3, s3
; %bb.55:
	v_and_b32_e32 v134, 0xffff, v147
	v_or_b32_e32 v142, 0x10000, v147
	s_delay_alu instid0(VALU_DEP_2) | instskip(NEXT) | instid1(VALU_DEP_2)
	v_cmp_eq_u32_e32 vcc_lo, 0, v134
	v_cndmask_b32_e32 v134, v142, v147, vcc_lo
; %bb.56:
	s_or_b32 exec_lo, exec_lo, s3
	v_and_b32_e32 v142, 0x7f800000, v146
	s_delay_alu instid0(VALU_DEP_1) | instskip(SKIP_1) | instid1(SALU_CYCLE_1)
	v_cmp_ne_u32_e32 vcc_lo, 0x7f800000, v142
                                        ; implicit-def: $vgpr142
	s_and_saveexec_b32 s3, vcc_lo
	s_xor_b32 s3, exec_lo, s3
; %bb.57:
	v_bfe_u32 v142, v146, 16, 1
	s_delay_alu instid0(VALU_DEP_1)
	v_add3_u32 v142, v146, v142, 0x7fff
                                        ; implicit-def: $vgpr146
; %bb.58:
	s_and_not1_saveexec_b32 s3, s3
; %bb.59:
	v_and_b32_e32 v142, 0xffff, v146
	v_or_b32_e32 v147, 0x10000, v146
	s_delay_alu instid0(VALU_DEP_2) | instskip(NEXT) | instid1(VALU_DEP_2)
	v_cmp_eq_u32_e32 vcc_lo, 0, v142
	v_cndmask_b32_e32 v142, v147, v146, vcc_lo
; %bb.60:
	s_or_b32 exec_lo, exec_lo, s3
	v_and_b32_e32 v146, 0x7f800000, v135
	s_delay_alu instid0(VALU_DEP_1) | instskip(SKIP_1) | instid1(SALU_CYCLE_1)
	v_cmp_ne_u32_e32 vcc_lo, 0x7f800000, v146
                                        ; implicit-def: $vgpr146
	s_and_saveexec_b32 s3, vcc_lo
	s_xor_b32 s3, exec_lo, s3
; %bb.61:
	v_bfe_u32 v146, v135, 16, 1
	s_delay_alu instid0(VALU_DEP_1)
	v_add3_u32 v146, v135, v146, 0x7fff
                                        ; implicit-def: $vgpr135
; %bb.62:
	s_and_not1_saveexec_b32 s3, s3
; %bb.63:
	v_and_b32_e32 v146, 0xffff, v135
	v_or_b32_e32 v147, 0x10000, v135
	s_delay_alu instid0(VALU_DEP_2) | instskip(NEXT) | instid1(VALU_DEP_2)
	v_cmp_eq_u32_e32 vcc_lo, 0, v146
	v_cndmask_b32_e32 v146, v147, v135, vcc_lo
; %bb.64:
	s_or_b32 exec_lo, exec_lo, s3
	v_and_b32_e32 v135, 0x7f800000, v136
	s_delay_alu instid0(VALU_DEP_1) | instskip(SKIP_1) | instid1(SALU_CYCLE_1)
	v_cmp_ne_u32_e32 vcc_lo, 0x7f800000, v135
                                        ; implicit-def: $vgpr135
	s_and_saveexec_b32 s3, vcc_lo
	s_xor_b32 s3, exec_lo, s3
; %bb.65:
	v_bfe_u32 v135, v136, 16, 1
	s_delay_alu instid0(VALU_DEP_1)
	v_add3_u32 v135, v136, v135, 0x7fff
                                        ; implicit-def: $vgpr136
; %bb.66:
	s_and_not1_saveexec_b32 s3, s3
; %bb.67:
	v_and_b32_e32 v135, 0xffff, v136
	v_or_b32_e32 v147, 0x10000, v136
	s_delay_alu instid0(VALU_DEP_2) | instskip(NEXT) | instid1(VALU_DEP_2)
	v_cmp_eq_u32_e32 vcc_lo, 0, v135
	v_cndmask_b32_e32 v135, v147, v136, vcc_lo
; %bb.68:
	s_or_b32 exec_lo, exec_lo, s3
	v_and_b32_e32 v136, 0x7f800000, v143
	s_delay_alu instid0(VALU_DEP_1) | instskip(SKIP_1) | instid1(SALU_CYCLE_1)
	v_cmp_ne_u32_e32 vcc_lo, 0x7f800000, v136
                                        ; implicit-def: $vgpr136
	s_and_saveexec_b32 s3, vcc_lo
	s_xor_b32 s3, exec_lo, s3
; %bb.69:
	v_bfe_u32 v136, v143, 16, 1
	s_delay_alu instid0(VALU_DEP_1)
	v_add3_u32 v136, v143, v136, 0x7fff
                                        ; implicit-def: $vgpr143
; %bb.70:
	s_and_not1_saveexec_b32 s3, s3
; %bb.71:
	v_and_b32_e32 v136, 0xffff, v143
	v_or_b32_e32 v147, 0x10000, v143
	s_delay_alu instid0(VALU_DEP_2) | instskip(NEXT) | instid1(VALU_DEP_2)
	v_cmp_eq_u32_e32 vcc_lo, 0, v136
	v_cndmask_b32_e32 v136, v147, v143, vcc_lo
; %bb.72:
	s_or_b32 exec_lo, exec_lo, s3
	v_and_b32_e32 v143, 0x7f800000, v145
	s_delay_alu instid0(VALU_DEP_1) | instskip(SKIP_1) | instid1(SALU_CYCLE_1)
	v_cmp_ne_u32_e32 vcc_lo, 0x7f800000, v143
                                        ; implicit-def: $vgpr143
	s_and_saveexec_b32 s3, vcc_lo
	s_xor_b32 s3, exec_lo, s3
; %bb.73:
	v_bfe_u32 v143, v145, 16, 1
	s_delay_alu instid0(VALU_DEP_1)
	v_add3_u32 v143, v145, v143, 0x7fff
                                        ; implicit-def: $vgpr145
; %bb.74:
	s_and_not1_saveexec_b32 s3, s3
; %bb.75:
	v_and_b32_e32 v143, 0xffff, v145
	v_or_b32_e32 v147, 0x10000, v145
	s_delay_alu instid0(VALU_DEP_2) | instskip(NEXT) | instid1(VALU_DEP_2)
	v_cmp_eq_u32_e32 vcc_lo, 0, v143
	v_cndmask_b32_e32 v143, v147, v145, vcc_lo
; %bb.76:
	s_or_b32 exec_lo, exec_lo, s3
	s_delay_alu instid0(VALU_DEP_1)
	v_perm_b32 v136, v143, v136, 0x7060302
	v_perm_b32 v135, v135, v146, 0x7060302
	;; [unrolled: 1-line block ×4, first 2 shown]
	v_lshl_or_b32 v145, v141, 11, v144
	v_lshlrev_b32_e32 v142, 2, v138
	ds_store_b128 v131, v[133:136] offset:1024
	s_waitcnt lgkmcnt(0)
	s_barrier
	buffer_gl0_inv
	ds_load_b128 v[132:135], v145
	ds_load_b128 v[147:150], v145 offset:16
	v_or_b32_e32 v143, 1, v142
	v_cmp_eq_u32_e64 s12, 1, v142
	v_cmp_eq_u32_e64 s11, 2, v142
	;; [unrolled: 1-line block ×3, first 2 shown]
	v_or_b32_e32 v141, 2, v142
	v_cmp_eq_u32_e64 s7, 1, v143
	v_cmp_eq_u32_e64 s6, 2, v143
	;; [unrolled: 1-line block ×8, first 2 shown]
	v_cmp_eq_u32_e32 vcc_lo, 5, v143
	v_cmp_eq_u32_e64 s10, 2, v141
	v_cmp_eq_u32_e64 s4, 6, v143
	;; [unrolled: 1-line block ×4, first 2 shown]
	s_waitcnt lgkmcnt(1)
	v_lshrrev_b32_e32 v136, 16, v132
	s_waitcnt lgkmcnt(0)
	v_lshrrev_b32_e32 v155, 16, v147
	v_lshrrev_b32_e32 v161, 16, v148
	;; [unrolled: 1-line block ×4, first 2 shown]
	v_cndmask_b32_e64 v146, v132, v136, s12
	v_cndmask_b32_e64 v151, v147, v155, s12
	;; [unrolled: 1-line block ×4, first 2 shown]
	v_lshrrev_b32_e32 v160, 16, v134
	v_cndmask_b32_e64 v146, v146, v133, s11
	v_cndmask_b32_e64 v151, v151, v148, s11
	;; [unrolled: 1-line block ×8, first 2 shown]
	v_lshrrev_b32_e32 v164, 16, v150
	v_cndmask_b32_e64 v153, v153, v161, s5
	v_cndmask_b32_e64 v146, v146, v134, s17
	;; [unrolled: 1-line block ×5, first 2 shown]
	v_lshrrev_b32_e32 v162, 16, v135
	v_cndmask_b32_e64 v146, v146, v160, s13
	v_cndmask_b32_e64 v151, v151, v163, s13
	v_cndmask_b32_e32 v152, v152, v160, vcc_lo
	v_cndmask_b32_e64 v153, v153, v149, s3
	v_cmp_eq_u32_e64 s19, 7, v143
	v_cndmask_b32_e64 v146, v146, v135, s15
	v_cndmask_b32_e64 v151, v151, v150, s15
	;; [unrolled: 1-line block ×4, first 2 shown]
	v_cmp_eq_u32_e64 s20, 4, v141
	v_cndmask_b32_e64 v165, v146, v162, s9
	v_cndmask_b32_e64 v166, v151, v164, s9
	;; [unrolled: 1-line block ×3, first 2 shown]
	v_or_b32_e32 v146, 3, v142
	v_cndmask_b32_e64 v167, v152, v162, s19
	v_cndmask_b32_e32 v156, v153, v163, vcc_lo
	v_cndmask_b32_e64 v158, v154, v134, s20
	v_cndmask_b32_e64 v157, v151, v148, s10
	ds_load_b128 v[151:154], v145 offset:1024
	v_cmp_eq_u32_e64 s21, 1, v146
	v_cmp_eq_u32_e64 s22, 5, v141
	;; [unrolled: 1-line block ×3, first 2 shown]
	v_cndmask_b32_e64 v157, v157, v161, s18
	v_cmp_eq_u32_e64 s24, 3, v146
	v_cndmask_b32_e64 v132, v132, v136, s21
	v_cndmask_b32_e64 v136, v156, v150, s4
	;; [unrolled: 1-line block ×5, first 2 shown]
	ds_load_b128 v[155:158], v145 offset:1040
	v_cndmask_b32_e64 v132, v132, v133, s23
	v_cmp_eq_u32_e64 s26, 4, v146
	v_cmp_eq_u32_e64 s28, 5, v146
	v_cndmask_b32_e64 v147, v147, v148, s23
	v_cmp_eq_u32_e64 s25, 6, v141
	v_cndmask_b32_e64 v132, v132, v159, s24
	;; [unrolled: 2-line block ×3, first 2 shown]
	v_cndmask_b32_e64 v147, v147, v161, s24
	s_waitcnt lgkmcnt(1)
	v_lshrrev_b32_e32 v159, 16, v151
	v_cndmask_b32_e64 v132, v132, v134, s26
	v_cndmask_b32_e64 v148, v168, v135, s25
	;; [unrolled: 1-line block ×6, first 2 shown]
	v_lshrrev_b32_e32 v160, 16, v152
	v_cndmask_b32_e64 v161, v151, v159, s7
	v_cndmask_b32_e64 v134, v134, v163, s28
	s_waitcnt lgkmcnt(0)
	v_lshrrev_b32_e32 v149, 16, v155
	v_cndmask_b32_e64 v147, v147, v152, s11
	v_cndmask_b32_e64 v132, v132, v135, s29
	v_cmp_eq_u32_e64 s27, 7, v141
	v_cndmask_b32_e64 v134, v134, v150, s29
	v_cndmask_b32_e64 v163, v155, v149, s12
	;; [unrolled: 1-line block ×4, first 2 shown]
	v_lshrrev_b32_e32 v161, 16, v156
	v_cndmask_b32_e64 v136, v136, v164, s19
	v_cndmask_b32_e64 v150, v163, v156, s11
	v_cmp_eq_u32_e64 s11, 7, v146
	v_cndmask_b32_e64 v147, v147, v160, s5
	v_cndmask_b32_e64 v135, v135, v153, s17
	v_lshrrev_b32_e32 v163, 16, v153
	v_cndmask_b32_e64 v150, v150, v161, s16
	v_cndmask_b32_e64 v132, v132, v162, s11
	;; [unrolled: 1-line block ×8, first 2 shown]
	v_lshrrev_b32_e32 v164, 16, v157
	v_perm_b32 v135, v134, v132, 0x5040100
	v_cndmask_b32_e32 v132, v147, v163, vcc_lo
	v_cndmask_b32_e64 v147, v162, v154, s15
	v_lshrrev_b32_e32 v162, 16, v154
	v_cndmask_b32_e64 v150, v150, v164, s13
	v_perm_b32 v134, v133, v148, 0x5040100
	v_cndmask_b32_e64 v132, v132, v154, s4
	v_perm_b32 v133, v136, v167, 0x5040100
	v_cndmask_b32_e64 v136, v147, v162, s9
	v_cndmask_b32_e64 v147, v150, v158, s15
	;; [unrolled: 1-line block ×27, first 2 shown]
	v_cndmask_b32_e32 v149, v149, v164, vcc_lo
	v_lshrrev_b32_e32 v148, 16, v158
	v_cndmask_b32_e64 v132, v132, v154, s25
	v_cndmask_b32_e64 v150, v150, v154, s29
	;; [unrolled: 1-line block ×11, first 2 shown]
	v_perm_b32 v132, v166, v165, 0x5040100
	v_perm_b32 v150, v151, v150, 0x5040100
	;; [unrolled: 1-line block ×5, first 2 shown]
	s_mul_i32 s8, s35, 5
	s_mov_b32 s3, exec_lo
	ds_store_b128 v131, v[132:135]
	ds_store_b128 v131, v[147:150] offset:1024
	v_cmpx_gt_u32_e32 5, v0
	s_cbranch_execz .LBB638_78
; %bb.77:
	s_mul_i32 s4, s8, s30
	s_delay_alu instid0(SALU_CYCLE_1) | instskip(SKIP_1) | instid1(VALU_DEP_1)
	v_add3_u32 v133, s4, s31, v140
	s_load_b128 s[4:7], s[0:1], 0x58
	v_mad_u64_u32 v[131:132], null, v133, s34, s[14:15]
	s_delay_alu instid0(VALU_DEP_1) | instskip(NEXT) | instid1(VALU_DEP_1)
	v_ashrrev_i32_e32 v132, 31, v131
	v_lshlrev_b64 v[131:132], 2, v[131:132]
	s_waitcnt lgkmcnt(0)
	s_delay_alu instid0(VALU_DEP_1) | instskip(NEXT) | instid1(VALU_DEP_2)
	v_add_co_u32 v133, vcc_lo, s6, v131
	v_add_co_ci_u32_e32 v134, vcc_lo, s7, v132, vcc_lo
	v_add_co_u32 v131, vcc_lo, s4, v131
	v_add_co_ci_u32_e32 v132, vcc_lo, s5, v132, vcc_lo
	global_store_b32 v[133:134], v129, off
	global_store_b32 v[131:132], v130, off
.LBB638_78:
	s_or_b32 exec_lo, exec_lo, s3
	s_waitcnt lgkmcnt(0)
	s_waitcnt_vscnt null, 0x0
	s_barrier
	buffer_gl0_inv
	ds_load_b128 v[147:150], v144
	ds_load_b128 v[151:154], v144 offset:16
	ds_load_b128 v[159:162], v144 offset:1040
	;; [unrolled: 1-line block ×3, first 2 shown]
	v_mov_b32_e32 v129, 0
	ds_load_b128 v[167:170], v144 offset:2064
	ds_load_b128 v[163:166], v144 offset:2048
	ds_load_b128 v[175:178], v144 offset:3088
	ds_load_b128 v[171:174], v144 offset:3072
	ds_load_b128 v[183:186], v144 offset:4112
	ds_load_b128 v[179:182], v144 offset:4096
	v_mov_b32_e32 v130, v129
	v_mov_b32_e32 v131, v129
	;; [unrolled: 1-line block ×7, first 2 shown]
	s_waitcnt lgkmcnt(8)
	s_delay_alu instid0(VALU_DEP_1)
	v_wmma_f32_16x16x16_bf16 v[129:136], v[121:128], v[147:154], v[129:136]
	ds_load_b128 v[125:128], v144 offset:5136
	ds_load_b128 v[121:124], v144 offset:5120
	s_waitcnt lgkmcnt(8)
	v_wmma_f32_16x16x16_bf16 v[129:136], v[113:120], v[155:162], v[129:136]
	ds_load_b128 v[117:120], v144 offset:6160
	ds_load_b128 v[113:116], v144 offset:6144
	s_waitcnt lgkmcnt(8)
	;; [unrolled: 4-line block ×8, first 2 shown]
	v_wmma_f32_16x16x16_bf16 v[129:136], v[65:72], v[97:104], v[129:136]
	s_waitcnt lgkmcnt(6)
	s_delay_alu instid0(VALU_DEP_1)
	v_wmma_f32_16x16x16_bf16 v[129:136], v[49:56], v[89:96], v[129:136]
	ds_load_b128 v[53:56], v144 offset:13328
	ds_load_b128 v[49:52], v144 offset:13312
	s_waitcnt lgkmcnt(6)
	v_wmma_f32_16x16x16_bf16 v[129:136], v[41:48], v[81:88], v[129:136]
	ds_load_b128 v[45:48], v144 offset:14352
	ds_load_b128 v[41:44], v144 offset:14336
	s_waitcnt lgkmcnt(6)
	;; [unrolled: 4-line block ×3, first 2 shown]
	v_wmma_f32_16x16x16_bf16 v[129:136], v[1:8], v[57:64], v[129:136]
	s_waitcnt lgkmcnt(4)
	s_delay_alu instid0(VALU_DEP_1) | instskip(SKIP_1) | instid1(VALU_DEP_1)
	v_wmma_f32_16x16x16_bf16 v[129:136], v[25:32], v[49:56], v[129:136]
	s_waitcnt lgkmcnt(2)
	v_wmma_f32_16x16x16_bf16 v[129:136], v[33:40], v[41:48], v[129:136]
	s_waitcnt lgkmcnt(0)
	s_delay_alu instid0(VALU_DEP_1) | instskip(NEXT) | instid1(VALU_DEP_1)
	v_wmma_f32_16x16x16_bf16 v[129:136], v[9:16], v[17:24], v[129:136]
	v_and_b32_e32 v1, 0x7f800000, v129
	s_delay_alu instid0(VALU_DEP_1) | instskip(SKIP_1) | instid1(SALU_CYCLE_1)
	v_cmp_ne_u32_e32 vcc_lo, 0x7f800000, v1
                                        ; implicit-def: $vgpr1
	s_and_saveexec_b32 s3, vcc_lo
	s_xor_b32 s3, exec_lo, s3
; %bb.79:
	v_bfe_u32 v1, v129, 16, 1
	s_delay_alu instid0(VALU_DEP_1)
	v_add3_u32 v1, v129, v1, 0x7fff
; %bb.80:
	s_and_not1_saveexec_b32 s3, s3
; %bb.81:
	v_and_b32_e32 v1, 0xffff, v129
	v_or_b32_e32 v2, 0x10000, v129
	s_delay_alu instid0(VALU_DEP_2) | instskip(NEXT) | instid1(VALU_DEP_2)
	v_cmp_eq_u32_e32 vcc_lo, 0, v1
	v_cndmask_b32_e32 v1, v2, v129, vcc_lo
; %bb.82:
	s_or_b32 exec_lo, exec_lo, s3
	v_and_b32_e32 v2, 0x7f800000, v130
	s_delay_alu instid0(VALU_DEP_1) | instskip(SKIP_1) | instid1(SALU_CYCLE_1)
	v_cmp_ne_u32_e32 vcc_lo, 0x7f800000, v2
                                        ; implicit-def: $vgpr2
	s_and_saveexec_b32 s3, vcc_lo
	s_xor_b32 s3, exec_lo, s3
; %bb.83:
	v_bfe_u32 v2, v130, 16, 1
	s_delay_alu instid0(VALU_DEP_1)
	v_add3_u32 v2, v130, v2, 0x7fff
; %bb.84:
	s_and_not1_saveexec_b32 s3, s3
; %bb.85:
	v_and_b32_e32 v2, 0xffff, v130
	v_or_b32_e32 v3, 0x10000, v130
	s_delay_alu instid0(VALU_DEP_2) | instskip(NEXT) | instid1(VALU_DEP_2)
	v_cmp_eq_u32_e32 vcc_lo, 0, v2
	v_cndmask_b32_e32 v2, v3, v130, vcc_lo
; %bb.86:
	s_or_b32 exec_lo, exec_lo, s3
	v_and_b32_e32 v3, 0x7f800000, v131
	s_delay_alu instid0(VALU_DEP_1) | instskip(SKIP_1) | instid1(SALU_CYCLE_1)
	v_cmp_ne_u32_e32 vcc_lo, 0x7f800000, v3
                                        ; implicit-def: $vgpr3
	s_and_saveexec_b32 s3, vcc_lo
	s_xor_b32 s3, exec_lo, s3
; %bb.87:
	v_bfe_u32 v3, v131, 16, 1
	s_delay_alu instid0(VALU_DEP_1)
	v_add3_u32 v3, v131, v3, 0x7fff
; %bb.88:
	s_and_not1_saveexec_b32 s3, s3
; %bb.89:
	v_and_b32_e32 v3, 0xffff, v131
	v_or_b32_e32 v4, 0x10000, v131
	s_delay_alu instid0(VALU_DEP_2) | instskip(NEXT) | instid1(VALU_DEP_2)
	v_cmp_eq_u32_e32 vcc_lo, 0, v3
	v_cndmask_b32_e32 v3, v4, v131, vcc_lo
; %bb.90:
	s_or_b32 exec_lo, exec_lo, s3
	v_and_b32_e32 v4, 0x7f800000, v132
	s_delay_alu instid0(VALU_DEP_1) | instskip(SKIP_1) | instid1(SALU_CYCLE_1)
	v_cmp_ne_u32_e32 vcc_lo, 0x7f800000, v4
                                        ; implicit-def: $vgpr4
	s_and_saveexec_b32 s3, vcc_lo
	s_xor_b32 s3, exec_lo, s3
; %bb.91:
	v_bfe_u32 v4, v132, 16, 1
	s_delay_alu instid0(VALU_DEP_1)
	v_add3_u32 v4, v132, v4, 0x7fff
; %bb.92:
	s_and_not1_saveexec_b32 s3, s3
; %bb.93:
	v_and_b32_e32 v4, 0xffff, v132
	v_or_b32_e32 v5, 0x10000, v132
	s_delay_alu instid0(VALU_DEP_2) | instskip(NEXT) | instid1(VALU_DEP_2)
	v_cmp_eq_u32_e32 vcc_lo, 0, v4
	v_cndmask_b32_e32 v4, v5, v132, vcc_lo
; %bb.94:
	s_or_b32 exec_lo, exec_lo, s3
	v_and_b32_e32 v5, 0x7f800000, v133
	s_delay_alu instid0(VALU_DEP_1) | instskip(SKIP_1) | instid1(SALU_CYCLE_1)
	v_cmp_ne_u32_e32 vcc_lo, 0x7f800000, v5
                                        ; implicit-def: $vgpr5
	s_and_saveexec_b32 s3, vcc_lo
	s_xor_b32 s3, exec_lo, s3
; %bb.95:
	v_bfe_u32 v5, v133, 16, 1
	s_delay_alu instid0(VALU_DEP_1)
	v_add3_u32 v5, v133, v5, 0x7fff
; %bb.96:
	s_and_not1_saveexec_b32 s3, s3
; %bb.97:
	v_and_b32_e32 v5, 0xffff, v133
	v_or_b32_e32 v6, 0x10000, v133
	s_delay_alu instid0(VALU_DEP_2) | instskip(NEXT) | instid1(VALU_DEP_2)
	v_cmp_eq_u32_e32 vcc_lo, 0, v5
	v_cndmask_b32_e32 v5, v6, v133, vcc_lo
; %bb.98:
	s_or_b32 exec_lo, exec_lo, s3
	v_and_b32_e32 v6, 0x7f800000, v134
	s_delay_alu instid0(VALU_DEP_1) | instskip(SKIP_1) | instid1(SALU_CYCLE_1)
	v_cmp_ne_u32_e32 vcc_lo, 0x7f800000, v6
                                        ; implicit-def: $vgpr6
	s_and_saveexec_b32 s3, vcc_lo
	s_xor_b32 s3, exec_lo, s3
; %bb.99:
	v_bfe_u32 v6, v134, 16, 1
	s_delay_alu instid0(VALU_DEP_1)
	v_add3_u32 v6, v134, v6, 0x7fff
; %bb.100:
	s_and_not1_saveexec_b32 s3, s3
; %bb.101:
	v_and_b32_e32 v6, 0xffff, v134
	v_or_b32_e32 v7, 0x10000, v134
	s_delay_alu instid0(VALU_DEP_2) | instskip(NEXT) | instid1(VALU_DEP_2)
	v_cmp_eq_u32_e32 vcc_lo, 0, v6
	v_cndmask_b32_e32 v6, v7, v134, vcc_lo
; %bb.102:
	s_or_b32 exec_lo, exec_lo, s3
	v_and_b32_e32 v7, 0x7f800000, v135
	s_delay_alu instid0(VALU_DEP_1) | instskip(SKIP_1) | instid1(SALU_CYCLE_1)
	v_cmp_ne_u32_e32 vcc_lo, 0x7f800000, v7
                                        ; implicit-def: $vgpr7
	s_and_saveexec_b32 s3, vcc_lo
	s_xor_b32 s3, exec_lo, s3
; %bb.103:
	v_bfe_u32 v7, v135, 16, 1
	s_delay_alu instid0(VALU_DEP_1)
	v_add3_u32 v7, v135, v7, 0x7fff
; %bb.104:
	s_and_not1_saveexec_b32 s3, s3
; %bb.105:
	v_and_b32_e32 v7, 0xffff, v135
	v_or_b32_e32 v8, 0x10000, v135
	s_delay_alu instid0(VALU_DEP_2) | instskip(NEXT) | instid1(VALU_DEP_2)
	v_cmp_eq_u32_e32 vcc_lo, 0, v7
	v_cndmask_b32_e32 v7, v8, v135, vcc_lo
; %bb.106:
	s_or_b32 exec_lo, exec_lo, s3
	v_and_b32_e32 v8, 0x7f800000, v136
	s_delay_alu instid0(VALU_DEP_1) | instskip(SKIP_1) | instid1(SALU_CYCLE_1)
	v_cmp_ne_u32_e32 vcc_lo, 0x7f800000, v8
                                        ; implicit-def: $vgpr8
	s_and_saveexec_b32 s3, vcc_lo
	s_xor_b32 s3, exec_lo, s3
; %bb.107:
	v_bfe_u32 v8, v136, 16, 1
	s_delay_alu instid0(VALU_DEP_1)
	v_add3_u32 v8, v136, v8, 0x7fff
                                        ; implicit-def: $vgpr129_vgpr130_vgpr131_vgpr132_vgpr133_vgpr134_vgpr135_vgpr136
; %bb.108:
	s_and_not1_saveexec_b32 s3, s3
; %bb.109:
	v_and_b32_e32 v8, 0xffff, v136
	v_or_b32_e32 v9, 0x10000, v136
	s_delay_alu instid0(VALU_DEP_2) | instskip(NEXT) | instid1(VALU_DEP_2)
	v_cmp_eq_u32_e32 vcc_lo, 0, v8
	v_cndmask_b32_e32 v8, v9, v136, vcc_lo
; %bb.110:
	s_or_b32 exec_lo, exec_lo, s3
	s_delay_alu instid0(VALU_DEP_1)
	v_perm_b32 v7, v8, v7, 0x7060302
	v_perm_b32 v6, v6, v5, 0x7060302
	;; [unrolled: 1-line block ×4, first 2 shown]
	v_lshl_or_b32 v9, v138, 4, v145
	s_barrier
	buffer_gl0_inv
	v_cmp_eq_u32_e32 vcc_lo, 1, v142
	ds_store_b128 v9, v[4:7]
	s_waitcnt lgkmcnt(0)
	s_barrier
	buffer_gl0_inv
	ds_load_b128 v[1:4], v145
	ds_load_b128 v[5:8], v145 offset:16
	v_cmp_eq_u32_e64 s4, 2, v142
	v_cmp_eq_u32_e64 s3, 1, v143
	v_cmp_eq_u32_e64 s5, 3, v142
	v_cmp_eq_u32_e64 s7, 2, v141
	v_cmp_eq_u32_e64 s6, 7, v143
	s_waitcnt lgkmcnt(1)
	v_lshrrev_b32_e32 v10, 16, v1
	s_waitcnt lgkmcnt(0)
	v_lshrrev_b32_e32 v14, 16, v5
	v_lshrrev_b32_e32 v15, 16, v6
	v_lshrrev_b32_e32 v11, 16, v2
	v_lshrrev_b32_e32 v12, 16, v3
	v_cndmask_b32_e64 v20, v1, v10, s3
	v_cndmask_b32_e32 v19, v5, v14, vcc_lo
	v_cndmask_b32_e64 v21, v5, v14, s3
	v_lshrrev_b32_e32 v16, 16, v7
	v_cmp_eq_u32_e64 s3, 1, v141
	v_lshrrev_b32_e32 v13, 16, v4
	v_cndmask_b32_e64 v19, v19, v6, s4
	v_lshrrev_b32_e32 v17, 16, v8
	s_delay_alu instid0(VALU_DEP_4) | instskip(SKIP_1) | instid1(VALU_DEP_4)
	v_cndmask_b32_e64 v22, v1, v10, s3
	v_cndmask_b32_e64 v23, v5, v14, s3
	;; [unrolled: 1-line block ×3, first 2 shown]
	v_cndmask_b32_e32 v18, v1, v10, vcc_lo
	v_cmp_eq_u32_e32 vcc_lo, 2, v143
	v_cmp_eq_u32_e64 s3, 2, v146
	v_cndmask_b32_e64 v22, v22, v2, s7
	v_cndmask_b32_e32 v20, v20, v2, vcc_lo
	v_cndmask_b32_e32 v21, v21, v6, vcc_lo
	v_cmp_eq_u32_e32 vcc_lo, 4, v142
	v_cndmask_b32_e32 v19, v19, v7, vcc_lo
	v_cndmask_b32_e64 v18, v18, v2, s4
	v_cmp_eq_u32_e64 s4, 3, v143
	s_delay_alu instid0(VALU_DEP_2) | instskip(NEXT) | instid1(VALU_DEP_2)
	v_cndmask_b32_e64 v18, v18, v11, s5
	v_cndmask_b32_e64 v21, v21, v15, s4
	v_cmp_eq_u32_e64 s5, 5, v142
	s_delay_alu instid0(VALU_DEP_3) | instskip(SKIP_1) | instid1(VALU_DEP_3)
	v_cndmask_b32_e32 v18, v18, v3, vcc_lo
	v_cmp_eq_u32_e32 vcc_lo, 4, v143
	v_cndmask_b32_e64 v19, v19, v16, s5
	s_delay_alu instid0(VALU_DEP_3) | instskip(SKIP_4) | instid1(VALU_DEP_3)
	v_cndmask_b32_e64 v18, v18, v12, s5
	v_cndmask_b32_e32 v21, v21, v7, vcc_lo
	v_cndmask_b32_e64 v20, v20, v11, s4
	v_cmp_eq_u32_e64 s4, 5, v143
	v_cmp_eq_u32_e64 s5, 6, v142
	v_cndmask_b32_e32 v20, v20, v3, vcc_lo
	s_delay_alu instid0(VALU_DEP_3) | instskip(SKIP_1) | instid1(VALU_DEP_4)
	v_cndmask_b32_e64 v21, v21, v16, s4
	v_cmp_eq_u32_e32 vcc_lo, 6, v143
	v_cndmask_b32_e64 v18, v18, v4, s5
	v_cndmask_b32_e64 v19, v19, v8, s5
	;; [unrolled: 1-line block ×3, first 2 shown]
	v_cmp_eq_u32_e64 s4, 1, v146
	v_cmp_eq_u32_e64 s5, 7, v142
	s_delay_alu instid0(VALU_DEP_3) | instskip(NEXT) | instid1(VALU_DEP_3)
	v_cndmask_b32_e32 v20, v20, v4, vcc_lo
	v_cndmask_b32_e64 v1, v1, v10, s4
	v_cndmask_b32_e64 v5, v5, v14, s4
	v_cmp_eq_u32_e64 s4, 3, v141
	v_cndmask_b32_e64 v14, v23, v6, s7
	v_cmp_eq_u32_e64 s7, 3, v146
	v_cndmask_b32_e64 v1, v1, v2, s3
	v_cndmask_b32_e64 v2, v5, v6, s3
	;; [unrolled: 1-line block ×3, first 2 shown]
	v_cmp_eq_u32_e64 s3, 4, v141
	v_cndmask_b32_e64 v6, v14, v15, s4
	v_cndmask_b32_e64 v1, v1, v11, s7
	v_cmp_eq_u32_e64 s4, 4, v146
	v_cndmask_b32_e64 v2, v2, v15, s7
	v_cndmask_b32_e64 v5, v10, v3, s3
	;; [unrolled: 3-line block ×3, first 2 shown]
	v_cndmask_b32_e64 v2, v2, v7, s4
	v_cmp_eq_u32_e64 s3, 5, v146
	v_cndmask_b32_e64 v5, v5, v12, s7
	v_cmp_eq_u32_e64 s4, 6, v141
	;; [unrolled: 2-line block ×3, first 2 shown]
	v_cndmask_b32_e64 v1, v1, v12, s3
	v_cndmask_b32_e64 v2, v2, v16, s3
	;; [unrolled: 1-line block ×4, first 2 shown]
	v_cmp_eq_u32_e64 s3, 7, v146
	v_cndmask_b32_e64 v1, v1, v4, s7
	v_cndmask_b32_e64 v2, v2, v8, s7
	v_cmp_eq_u32_e64 s4, 7, v141
	v_cndmask_b32_e32 v4, v21, v8, vcc_lo
	v_cndmask_b32_e64 v18, v18, v13, s5
	v_cndmask_b32_e64 v20, v20, v13, s6
	;; [unrolled: 1-line block ×8, first 2 shown]
	s_mov_b32 s3, exec_lo
	v_perm_b32 v4, v2, v1, 0x5040100
	v_perm_b32 v3, v3, v5, 0x5040100
	;; [unrolled: 1-line block ×4, first 2 shown]
	ds_store_b128 v9, v[1:4]
	s_waitcnt lgkmcnt(0)
	s_barrier
	buffer_gl0_inv
	v_cmpx_gt_u32_e32 32, v0
	s_cbranch_execz .LBB638_2
; %bb.111:
	s_load_b64 s[4:5], s[0:1], 0x68
	v_lshlrev_b32_e32 v0, 10, v0
	v_add_nc_u32_e32 v2, s31, v138
	v_lshlrev_b32_e32 v3, 4, v139
	s_lshl_b32 s0, s34, 7
	s_delay_alu instid0(SALU_CYCLE_1) | instskip(NEXT) | instid1(VALU_DEP_2)
	s_mul_i32 s1, s0, s30
	v_mul_lo_u32 v1, v2, s0
	s_delay_alu instid0(VALU_DEP_2) | instskip(SKIP_2) | instid1(SALU_CYCLE_1)
	v_and_or_b32 v0, 0x3800, v0, v3
	v_add_nc_u32_e32 v2, 2, v2
	s_mul_i32 s6, s1, s8
	s_ashr_i32 s7, s6, 31
	s_delay_alu instid0(VALU_DEP_2)
	v_lshl_or_b32 v7, v138, 6, v0
	s_lshl_b64 s[6:7], s[6:7], 1
	v_mul_lo_u32 v11, v2, s0
	v_ashrrev_i32_e32 v2, 31, v1
	ds_load_b128 v[3:6], v7
	ds_load_b128 v[7:10], v7 offset:128
	s_waitcnt lgkmcnt(0)
	s_add_u32 s1, s4, s6
	s_addc_u32 s3, s5, s7
	s_lshl_b32 s4, s14, 7
	v_ashrrev_i32_e32 v12, 31, v11
	s_ashr_i32 s5, s4, 31
	v_lshlrev_b64 v[13:14], 1, v[1:2]
	s_lshl_b64 s[4:5], s[4:5], 1
	s_delay_alu instid0(SALU_CYCLE_1) | instskip(SKIP_2) | instid1(VALU_DEP_1)
	s_add_u32 s1, s1, s4
	s_addc_u32 s3, s3, s5
	v_add_co_u32 v1, s1, s1, v137
	v_add_co_ci_u32_e64 v2, null, s3, 0, s1
	v_lshlrev_b64 v[11:12], 1, v[11:12]
	s_delay_alu instid0(VALU_DEP_3) | instskip(NEXT) | instid1(VALU_DEP_3)
	v_add_co_u32 v13, vcc_lo, v1, v13
	v_add_co_ci_u32_e32 v14, vcc_lo, v2, v14, vcc_lo
	s_delay_alu instid0(VALU_DEP_3) | instskip(NEXT) | instid1(VALU_DEP_4)
	v_add_co_u32 v11, vcc_lo, v1, v11
	v_add_co_ci_u32_e32 v12, vcc_lo, v2, v12, vcc_lo
	s_clause 0x1
	global_store_b128 v[13:14], v[3:6], off
	global_store_b128 v[11:12], v[7:10], off
	s_and_b32 exec_lo, exec_lo, s2
	s_cbranch_execz .LBB638_2
; %bb.112:
	ds_load_b128 v[3:6], v0 offset:256
	s_add_i32 s1, s31, 4
	s_delay_alu instid0(SALU_CYCLE_1) | instskip(NEXT) | instid1(SALU_CYCLE_1)
	s_mul_i32 s0, s1, s0
	s_ashr_i32 s1, s0, 31
	s_delay_alu instid0(SALU_CYCLE_1) | instskip(NEXT) | instid1(SALU_CYCLE_1)
	s_lshl_b64 s[0:1], s[0:1], 1
	v_add_co_u32 v0, vcc_lo, v1, s0
	v_add_co_ci_u32_e32 v1, vcc_lo, s1, v2, vcc_lo
	s_waitcnt lgkmcnt(0)
	global_store_b128 v[0:1], v[3:6], off
	s_nop 0
	s_sendmsg sendmsg(MSG_DEALLOC_VGPRS)
	s_endpgm
	.section	.rodata,"a",@progbits
	.p2align	6, 0x0
	.amdhsa_kernel _Z39paged_attention_ll4mi_QKV_mfma16_kernelI14__hip_bfloat16S0_LN4vllm18Fp8KVCacheDataTypeE0ES0_Li16ELi128ELi256ELb1ELi5EL8MFMAType0EEvPKT_PKT0_S9_ifPKiSB_SB_iPKfiiiPfSE_PS4_PT2_iSD_SD_
		.amdhsa_group_segment_fixed_size 17472
		.amdhsa_private_segment_fixed_size 0
		.amdhsa_kernarg_size 400
		.amdhsa_user_sgpr_count 13
		.amdhsa_user_sgpr_dispatch_ptr 0
		.amdhsa_user_sgpr_queue_ptr 0
		.amdhsa_user_sgpr_kernarg_segment_ptr 1
		.amdhsa_user_sgpr_dispatch_id 0
		.amdhsa_user_sgpr_private_segment_size 0
		.amdhsa_wavefront_size32 1
		.amdhsa_uses_dynamic_stack 0
		.amdhsa_enable_private_segment 0
		.amdhsa_system_sgpr_workgroup_id_x 1
		.amdhsa_system_sgpr_workgroup_id_y 1
		.amdhsa_system_sgpr_workgroup_id_z 1
		.amdhsa_system_sgpr_workgroup_info 0
		.amdhsa_system_vgpr_workitem_id 0
		.amdhsa_next_free_vgpr 218
		.amdhsa_next_free_sgpr 50
		.amdhsa_reserve_vcc 1
		.amdhsa_float_round_mode_32 0
		.amdhsa_float_round_mode_16_64 0
		.amdhsa_float_denorm_mode_32 3
		.amdhsa_float_denorm_mode_16_64 3
		.amdhsa_dx10_clamp 1
		.amdhsa_ieee_mode 1
		.amdhsa_fp16_overflow 0
		.amdhsa_workgroup_processor_mode 1
		.amdhsa_memory_ordered 1
		.amdhsa_forward_progress 0
		.amdhsa_shared_vgpr_count 0
		.amdhsa_exception_fp_ieee_invalid_op 0
		.amdhsa_exception_fp_denorm_src 0
		.amdhsa_exception_fp_ieee_div_zero 0
		.amdhsa_exception_fp_ieee_overflow 0
		.amdhsa_exception_fp_ieee_underflow 0
		.amdhsa_exception_fp_ieee_inexact 0
		.amdhsa_exception_int_div_zero 0
	.end_amdhsa_kernel
	.section	.text._Z39paged_attention_ll4mi_QKV_mfma16_kernelI14__hip_bfloat16S0_LN4vllm18Fp8KVCacheDataTypeE0ES0_Li16ELi128ELi256ELb1ELi5EL8MFMAType0EEvPKT_PKT0_S9_ifPKiSB_SB_iPKfiiiPfSE_PS4_PT2_iSD_SD_,"axG",@progbits,_Z39paged_attention_ll4mi_QKV_mfma16_kernelI14__hip_bfloat16S0_LN4vllm18Fp8KVCacheDataTypeE0ES0_Li16ELi128ELi256ELb1ELi5EL8MFMAType0EEvPKT_PKT0_S9_ifPKiSB_SB_iPKfiiiPfSE_PS4_PT2_iSD_SD_,comdat
.Lfunc_end638:
	.size	_Z39paged_attention_ll4mi_QKV_mfma16_kernelI14__hip_bfloat16S0_LN4vllm18Fp8KVCacheDataTypeE0ES0_Li16ELi128ELi256ELb1ELi5EL8MFMAType0EEvPKT_PKT0_S9_ifPKiSB_SB_iPKfiiiPfSE_PS4_PT2_iSD_SD_, .Lfunc_end638-_Z39paged_attention_ll4mi_QKV_mfma16_kernelI14__hip_bfloat16S0_LN4vllm18Fp8KVCacheDataTypeE0ES0_Li16ELi128ELi256ELb1ELi5EL8MFMAType0EEvPKT_PKT0_S9_ifPKiSB_SB_iPKfiiiPfSE_PS4_PT2_iSD_SD_
                                        ; -- End function
	.section	.AMDGPU.csdata,"",@progbits
; Kernel info:
; codeLenInByte = 10220
; NumSgprs: 52
; NumVgprs: 218
; ScratchSize: 0
; MemoryBound: 0
; FloatMode: 240
; IeeeMode: 1
; LDSByteSize: 17472 bytes/workgroup (compile time only)
; SGPRBlocks: 6
; VGPRBlocks: 27
; NumSGPRsForWavesPerEU: 52
; NumVGPRsForWavesPerEU: 218
; Occupancy: 6
; WaveLimiterHint : 1
; COMPUTE_PGM_RSRC2:SCRATCH_EN: 0
; COMPUTE_PGM_RSRC2:USER_SGPR: 13
; COMPUTE_PGM_RSRC2:TRAP_HANDLER: 0
; COMPUTE_PGM_RSRC2:TGID_X_EN: 1
; COMPUTE_PGM_RSRC2:TGID_Y_EN: 1
; COMPUTE_PGM_RSRC2:TGID_Z_EN: 1
; COMPUTE_PGM_RSRC2:TIDIG_COMP_CNT: 0
	.section	.text._Z39paged_attention_ll4mi_QKV_mfma16_kernelI14__hip_bfloat16S0_LN4vllm18Fp8KVCacheDataTypeE0ES0_Li16ELi128ELi256ELb1ELi6EL8MFMAType0EEvPKT_PKT0_S9_ifPKiSB_SB_iPKfiiiPfSE_PS4_PT2_iSD_SD_,"axG",@progbits,_Z39paged_attention_ll4mi_QKV_mfma16_kernelI14__hip_bfloat16S0_LN4vllm18Fp8KVCacheDataTypeE0ES0_Li16ELi128ELi256ELb1ELi6EL8MFMAType0EEvPKT_PKT0_S9_ifPKiSB_SB_iPKfiiiPfSE_PS4_PT2_iSD_SD_,comdat
	.protected	_Z39paged_attention_ll4mi_QKV_mfma16_kernelI14__hip_bfloat16S0_LN4vllm18Fp8KVCacheDataTypeE0ES0_Li16ELi128ELi256ELb1ELi6EL8MFMAType0EEvPKT_PKT0_S9_ifPKiSB_SB_iPKfiiiPfSE_PS4_PT2_iSD_SD_ ; -- Begin function _Z39paged_attention_ll4mi_QKV_mfma16_kernelI14__hip_bfloat16S0_LN4vllm18Fp8KVCacheDataTypeE0ES0_Li16ELi128ELi256ELb1ELi6EL8MFMAType0EEvPKT_PKT0_S9_ifPKiSB_SB_iPKfiiiPfSE_PS4_PT2_iSD_SD_
	.globl	_Z39paged_attention_ll4mi_QKV_mfma16_kernelI14__hip_bfloat16S0_LN4vllm18Fp8KVCacheDataTypeE0ES0_Li16ELi128ELi256ELb1ELi6EL8MFMAType0EEvPKT_PKT0_S9_ifPKiSB_SB_iPKfiiiPfSE_PS4_PT2_iSD_SD_
	.p2align	8
	.type	_Z39paged_attention_ll4mi_QKV_mfma16_kernelI14__hip_bfloat16S0_LN4vllm18Fp8KVCacheDataTypeE0ES0_Li16ELi128ELi256ELb1ELi6EL8MFMAType0EEvPKT_PKT0_S9_ifPKiSB_SB_iPKfiiiPfSE_PS4_PT2_iSD_SD_,@function
_Z39paged_attention_ll4mi_QKV_mfma16_kernelI14__hip_bfloat16S0_LN4vllm18Fp8KVCacheDataTypeE0ES0_Li16ELi128ELi256ELb1ELi6EL8MFMAType0EEvPKT_PKT0_S9_ifPKiSB_SB_iPKfiiiPfSE_PS4_PT2_iSD_SD_: ; @_Z39paged_attention_ll4mi_QKV_mfma16_kernelI14__hip_bfloat16S0_LN4vllm18Fp8KVCacheDataTypeE0ES0_Li16ELi128ELi256ELb1ELi6EL8MFMAType0EEvPKT_PKT0_S9_ifPKiSB_SB_iPKfiiiPfSE_PS4_PT2_iSD_SD_
; %bb.0:
	s_load_b64 s[4:5], s[0:1], 0x30
	s_mov_b32 s30, s13
	s_waitcnt lgkmcnt(0)
	s_cmp_lg_u64 s[4:5], 0
	s_cselect_b32 s8, -1, 0
	s_ashr_i32 s31, s13, 31
	s_cmp_eq_u64 s[4:5], 0
	s_cbranch_scc1 .LBB639_3
; %bb.1:
	s_lshl_b64 s[2:3], s[30:31], 2
	s_delay_alu instid0(SALU_CYCLE_1) | instskip(SKIP_4) | instid1(SALU_CYCLE_1)
	s_add_u32 s2, s4, s2
	s_addc_u32 s3, s5, s3
	s_load_b64 s[2:3], s[2:3], 0x0
	s_waitcnt lgkmcnt(0)
	s_sub_i32 s2, s3, s2
	s_cmp_eq_u32 s2, 1
	s_cselect_b32 s2, -1, 0
	s_delay_alu instid0(SALU_CYCLE_1)
	s_and_not1_b32 vcc_lo, exec_lo, s2
	s_cbranch_vccz .LBB639_4
.LBB639_2:
	s_endpgm
.LBB639_3:
.LBB639_4:
	s_load_b64 s[2:3], s[0:1], 0x28
	s_lshl_b64 s[6:7], s[30:31], 2
	s_waitcnt lgkmcnt(0)
	s_add_u32 s2, s2, s6
	s_addc_u32 s3, s3, s7
	s_lshl_b32 s31, s14, 8
	s_load_b32 s28, s[2:3], 0x0
	s_waitcnt lgkmcnt(0)
	s_cmp_ge_i32 s31, s28
	s_cbranch_scc1 .LBB639_2
; %bb.5:
	s_clause 0x1
	s_load_b128 s[20:23], s[0:1], 0x8
	s_load_b64 s[2:3], s[0:1], 0x20
	s_and_not1_b32 vcc_lo, exec_lo, s8
	s_cbranch_vccnz .LBB639_7
; %bb.6:
	s_add_u32 s4, s4, s6
	s_addc_u32 s5, s5, s7
	s_load_b32 s5, s[4:5], 0x0
	s_branch .LBB639_8
.LBB639_7:
	s_mov_b32 s5, s30
.LBB639_8:
	s_load_b128 s[16:19], s[0:1], 0x48
	v_and_b32_e32 v140, 15, v0
	v_lshrrev_b32_e32 v141, 5, v0
	v_and_b32_e32 v142, 31, v0
	v_and_b32_e32 v139, 1, v0
	v_bfe_u32 v138, v0, 4, 1
	v_lshlrev_b32_e32 v1, 3, v140
	s_mul_i32 s29, s15, 6
	s_mov_b32 s4, exec_lo
	s_delay_alu instid0(VALU_DEP_1)
	v_lshlrev_b32_e32 v137, 1, v1
	v_cmpx_gt_u32_e32 0x60, v0
	s_cbranch_execz .LBB639_10
; %bb.9:
	s_load_b64 s[6:7], s[0:1], 0x0
	v_lshl_or_b32 v5, v141, 1, v138
	s_waitcnt lgkmcnt(0)
	s_mul_hi_i32 s9, s5, s16
	s_mul_i32 s8, s5, s16
	v_lshlrev_b32_e32 v6, 10, v140
	s_lshl_b64 s[8:9], s[8:9], 1
	v_add_lshl_u32 v1, v5, s29, 7
	v_lshlrev_b32_e32 v5, 6, v5
	v_lshlrev_b32_e32 v7, 10, v139
	v_and_b32_e32 v6, 0x3800, v6
	s_delay_alu instid0(VALU_DEP_4) | instskip(NEXT) | instid1(VALU_DEP_2)
	v_ashrrev_i32_e32 v2, 31, v1
	v_or3_b32 v5, v6, v7, v5
	s_delay_alu instid0(VALU_DEP_2) | instskip(SKIP_2) | instid1(VALU_DEP_1)
	v_lshlrev_b64 v[1:2], 1, v[1:2]
	s_add_u32 s5, s6, s8
	s_addc_u32 s6, s7, s9
	v_add_co_u32 v1, vcc_lo, s5, v1
	s_delay_alu instid0(VALU_DEP_2) | instskip(NEXT) | instid1(VALU_DEP_2)
	v_add_co_ci_u32_e32 v2, vcc_lo, s6, v2, vcc_lo
	v_add_co_u32 v1, vcc_lo, v1, v137
	s_delay_alu instid0(VALU_DEP_2)
	v_add_co_ci_u32_e32 v2, vcc_lo, 0, v2, vcc_lo
	global_load_b128 v[1:4], v[1:2], off
	s_waitcnt vmcnt(0)
	ds_store_b128 v5, v[1:4]
.LBB639_10:
	s_or_b32 exec_lo, exec_lo, s4
	v_and_b32_e32 v1, 0xef, v0
	s_waitcnt lgkmcnt(0)
	s_add_i32 s5, s28, 15
	s_clause 0x1
	s_load_b32 s4, s[0:1], 0x38
	s_load_b32 s33, s[0:1], 0x1c
	s_ashr_i32 s6, s5, 31
	v_add_nc_u32_e32 v1, s31, v1
	s_lshr_b32 s6, s6, 28
	s_waitcnt lgkmcnt(0)
	s_add_i32 s5, s5, s6
	s_barrier
	v_ashrrev_i32_e32 v2, 31, v1
	v_cmp_gt_i32_e32 vcc_lo, s28, v1
	s_ashr_i32 s16, s5, 4
	buffer_gl0_inv
	s_add_i32 s16, s16, -1
	v_lshrrev_b32_e32 v3, 28, v2
	v_or_b32_e32 v2, 16, v1
	v_mul_lo_u16 v105, v140, 43
	v_lshlrev_b32_e32 v106, 5, v140
	s_delay_alu instid0(VALU_DEP_4) | instskip(NEXT) | instid1(VALU_DEP_4)
	v_add_nc_u32_e32 v4, v1, v3
	v_add_nc_u32_e32 v3, v2, v3
	s_mul_i32 s4, s30, s4
	v_lshrrev_b16 v105, 8, v105
	s_ashr_i32 s5, s4, 31
	v_ashrrev_i32_e32 v4, 4, v4
	v_ashrrev_i32_e32 v3, 4, v3
	s_lshl_b64 s[4:5], s[4:5], 2
	v_mul_lo_u16 v105, v105, 6
	s_add_u32 s34, s2, s4
	v_cndmask_b32_e32 v1, s16, v4, vcc_lo
	v_cmp_gt_i32_e32 vcc_lo, s28, v2
	s_addc_u32 s35, s3, s5
	s_mul_i32 s2, s15, s18
	v_sub_nc_u16 v105, v140, v105
	v_ashrrev_i32_e32 v2, 31, v1
	v_cndmask_b32_e32 v3, s16, v3, vcc_lo
	s_ashr_i32 s3, s2, 31
	v_lshl_or_b32 v125, v141, 9, v106
	s_lshl_b64 s[2:3], s[2:3], 1
	v_lshlrev_b64 v[1:2], 2, v[1:2]
	v_ashrrev_i32_e32 v4, 31, v3
	s_add_u32 s24, s20, s2
	s_addc_u32 s25, s21, s3
	s_lshl_b32 s4, s14, 4
	v_and_b32_e32 v105, 0xff, v105
	v_lshlrev_b64 v[3:4], 2, v[3:4]
	v_add_co_u32 v1, vcc_lo, s34, v1
	v_add_co_ci_u32_e32 v2, vcc_lo, s35, v2, vcc_lo
	s_ashr_i32 s5, s4, 31
	s_delay_alu instid0(VALU_DEP_3) | instskip(NEXT) | instid1(VALU_DEP_4)
	v_add_co_u32 v3, vcc_lo, s34, v3
	v_add_co_ci_u32_e32 v4, vcc_lo, s35, v4, vcc_lo
	s_lshl_b64 s[4:5], s[4:5], 2
	s_clause 0x1
	global_load_b32 v5, v[1:2], off
	global_load_b32 v6, v[3:4], off
	s_add_u32 s4, s34, s4
	s_addc_u32 s5, s35, s5
	s_or_b32 s6, s31, 16
	v_lshlrev_b32_e32 v3, 4, v0
	s_ashr_i32 s7, s6, 4
	s_cmp_lt_i32 s6, s28
	v_lshlrev_b32_e32 v215, 6, v105
	s_cselect_b32 s6, s7, s16
	s_delay_alu instid0(SALU_CYCLE_1) | instskip(NEXT) | instid1(SALU_CYCLE_1)
	s_ashr_i32 s7, s6, 31
	s_lshl_b64 s[6:7], s[6:7], 2
	s_delay_alu instid0(SALU_CYCLE_1) | instskip(SKIP_2) | instid1(SALU_CYCLE_1)
	s_add_u32 s6, s34, s6
	s_addc_u32 s7, s35, s7
	s_or_b32 s8, s31, 32
	s_ashr_i32 s9, s8, 4
	s_cmp_lt_i32 s8, s28
	s_cselect_b32 s8, s9, s16
	s_delay_alu instid0(SALU_CYCLE_1) | instskip(NEXT) | instid1(SALU_CYCLE_1)
	s_ashr_i32 s9, s8, 31
	s_lshl_b64 s[8:9], s[8:9], 2
	s_delay_alu instid0(SALU_CYCLE_1) | instskip(SKIP_2) | instid1(SALU_CYCLE_1)
	s_add_u32 s8, s34, s8
	s_addc_u32 s9, s35, s9
	s_or_b32 s10, s31, 48
	s_ashr_i32 s11, s10, 4
	s_cmp_lt_i32 s10, s28
	;; [unrolled: 10-line block ×4, first 2 shown]
	s_cselect_b32 s12, s13, s16
	s_delay_alu instid0(SALU_CYCLE_1) | instskip(NEXT) | instid1(SALU_CYCLE_1)
	s_ashr_i32 s13, s12, 31
	s_lshl_b64 s[12:13], s[12:13], 2
	s_delay_alu instid0(SALU_CYCLE_1)
	s_add_u32 s20, s34, s12
	s_addc_u32 s21, s35, s13
	s_clause 0x5
	s_load_b32 s38, s[4:5], 0x0
	s_load_b32 s37, s[6:7], 0x0
	;; [unrolled: 1-line block ×6, first 2 shown]
	s_waitcnt vmcnt(1)
	v_mad_i64_i32 v[1:2], null, v5, s17, 0
	v_and_b32_e32 v5, 0xf0, v3
	s_waitcnt vmcnt(0)
	v_mad_i64_i32 v[3:4], null, v6, s17, 0
	s_delay_alu instid0(VALU_DEP_2) | instskip(NEXT) | instid1(VALU_DEP_4)
	v_add_co_u32 v5, s4, s24, v5
	v_lshlrev_b64 v[1:2], 1, v[1:2]
	v_add_co_ci_u32_e64 v6, null, s25, 0, s4
	s_delay_alu instid0(VALU_DEP_4) | instskip(SKIP_1) | instid1(VALU_DEP_3)
	v_lshlrev_b64 v[3:4], 1, v[3:4]
	s_or_b32 s4, s31, 0x60
	v_add_co_u32 v121, vcc_lo, v5, v1
	s_delay_alu instid0(VALU_DEP_3) | instskip(NEXT) | instid1(VALU_DEP_3)
	v_add_co_ci_u32_e32 v122, vcc_lo, v6, v2, vcc_lo
	v_add_co_u32 v123, vcc_lo, v5, v3
	s_delay_alu instid0(VALU_DEP_4)
	v_add_co_ci_u32_e32 v124, vcc_lo, v6, v4, vcc_lo
	s_clause 0x19
	global_load_b128 v[89:92], v[121:122], off
	global_load_b128 v[93:96], v[121:122], off offset:256
	global_load_b128 v[97:100], v[123:124], off
	global_load_b128 v[101:104], v[123:124], off offset:256
	global_load_b128 v[81:84], v[121:122], off offset:512
	;; [unrolled: 1-line block ×23, first 2 shown]
	s_ashr_i32 s5, s4, 4
	s_cmp_lt_i32 s4, s28
	ds_load_b128 v[105:108], v215
	ds_load_b128 v[109:112], v215 offset:1024
	s_cselect_b32 s4, s5, s16
	ds_load_b128 v[113:116], v215 offset:2048
	ds_load_b128 v[117:120], v215 offset:3072
	s_ashr_i32 s5, s4, 31
	ds_load_b128 v[143:146], v215 offset:4096
	ds_load_b128 v[147:150], v215 offset:5120
	s_lshl_b64 s[6:7], s[4:5], 2
	ds_load_b128 v[151:154], v215 offset:6144
	ds_load_b128 v[155:158], v215 offset:7168
	s_add_u32 s18, s34, s6
	s_addc_u32 s19, s35, s7
	s_or_b32 s5, s31, 0x70
	ds_load_b128 v[159:162], v215 offset:8192
	ds_load_b128 v[163:166], v215 offset:9216
	s_ashr_i32 s6, s5, 4
	s_cmp_lt_i32 s5, s28
	s_clause 0x1
	global_load_b128 v[167:170], v[123:124], off offset:3072
	global_load_b128 v[171:174], v[123:124], off offset:3328
	s_cselect_b32 s8, s6, s16
	s_mov_b32 s4, 0
	s_ashr_i32 s9, s8, 31
	s_mov_b32 s5, s4
	s_lshl_b64 s[8:9], s[8:9], 2
	s_mov_b32 s6, s4
	s_add_u32 s20, s34, s8
	s_addc_u32 s21, s35, s9
	s_clause 0x1
	s_load_b32 s44, s[18:19], 0x0
	s_load_b32 s45, s[20:21], 0x0
	s_clause 0x3
	global_load_b128 v[175:178], v[121:122], off offset:3584
	global_load_b128 v[179:182], v[121:122], off offset:3840
	;; [unrolled: 1-line block ×4, first 2 shown]
	s_or_b32 s8, s31, 0x80
	s_mov_b32 s7, s4
	s_ashr_i32 s9, s8, 4
	s_cmp_lt_i32 s8, s28
	s_mov_b32 s8, s4
	s_cselect_b32 s10, s9, s16
	s_mov_b32 s9, s4
	s_ashr_i32 s11, s10, 31
	s_delay_alu instid0(SALU_CYCLE_1)
	s_lshl_b64 s[24:25], s[10:11], 2
	s_mov_b32 s10, s4
	s_add_u32 s24, s34, s24
	s_addc_u32 s25, s35, s25
	s_or_b32 s11, s31, 0x90
	s_load_b32 s46, s[24:25], 0x0
	s_ashr_i32 s26, s11, 4
	s_cmp_lt_i32 s11, s28
	s_mov_b32 s11, s4
	s_cselect_b32 s26, s26, s16
	v_mov_b32_e32 v136, s11
	s_ashr_i32 s27, s26, 31
	v_dual_mov_b32 v135, s10 :: v_dual_mov_b32 v134, s9
	v_dual_mov_b32 v133, s8 :: v_dual_mov_b32 v132, s7
	;; [unrolled: 1-line block ×3, first 2 shown]
	v_mov_b32_e32 v129, s4
	s_lshl_b64 s[4:5], s[26:27], 2
	s_waitcnt lgkmcnt(0)
	s_mul_hi_i32 s7, s37, s17
	s_add_u32 s26, s34, s4
	s_addc_u32 s27, s35, s5
	s_or_b32 s4, s31, 0xa0
	s_load_b32 s39, s[26:27], 0x0
	s_ashr_i32 s5, s4, 4
	s_cmp_lt_i32 s4, s28
	s_cselect_b32 s4, s5, s16
	s_delay_alu instid0(SALU_CYCLE_1) | instskip(NEXT) | instid1(SALU_CYCLE_1)
	s_ashr_i32 s5, s4, 31
	s_lshl_b64 s[4:5], s[4:5], 2
	s_delay_alu instid0(SALU_CYCLE_1)
	s_add_u32 s40, s34, s4
	s_addc_u32 s41, s35, s5
	s_or_b32 s4, s31, 0xb0
	s_mul_hi_i32 s5, s38, s17
	s_ashr_i32 s6, s4, 4
	s_cmp_lt_i32 s4, s28
	s_mul_i32 s4, s38, s17
	s_load_b32 s38, s[40:41], 0x0
	s_cselect_b32 s8, s6, s16
	s_mul_i32 s6, s37, s17
	s_ashr_i32 s9, s8, 31
	s_mul_hi_i32 s27, s46, s17
	s_lshl_b64 s[10:11], s[8:9], 2
	s_mul_hi_i32 s9, s36, s17
	s_add_u32 s42, s34, s10
	s_addc_u32 s43, s35, s11
	s_or_b32 s10, s31, 0xc0
	s_mul_i32 s8, s36, s17
	s_ashr_i32 s36, s10, 4
	s_cmp_lt_i32 s10, s28
	s_mul_i32 s26, s46, s17
	s_cselect_b32 s36, s36, s16
	s_mul_hi_i32 s11, s13, s17
	s_ashr_i32 s37, s36, 31
	s_mul_i32 s10, s13, s17
	s_lshl_b64 s[36:37], s[36:37], 2
	s_mul_hi_i32 s13, s12, s17
	s_add_u32 s20, s34, s36
	s_addc_u32 s21, s35, s37
	s_or_b32 s18, s31, 0xd0
	s_mul_i32 s12, s12, s17
	s_ashr_i32 s19, s18, 4
	s_cmp_lt_i32 s18, s28
	s_mul_i32 s18, s15, s17
	s_cselect_b32 s24, s19, s16
	s_mul_hi_i32 s19, s15, s17
	s_ashr_i32 s25, s24, 31
	s_waitcnt lgkmcnt(0)
	s_mul_hi_i32 s41, s39, s17
	s_lshl_b64 s[24:25], s[24:25], 2
	s_delay_alu instid0(SALU_CYCLE_1)
	s_add_u32 s24, s34, s24
	s_addc_u32 s25, s35, s25
	s_or_b32 s40, s31, 0xe0
	s_clause 0x2
	s_load_b32 s37, s[42:43], 0x0
	s_load_b32 s36, s[20:21], 0x0
	;; [unrolled: 1-line block ×3, first 2 shown]
	s_ashr_i32 s47, s40, 4
	s_cmp_lt_i32 s40, s28
	s_mul_hi_i32 s21, s44, s17
	s_cselect_b32 s42, s47, s16
	s_mul_i32 s20, s44, s17
	s_ashr_i32 s43, s42, 31
	s_mul_hi_i32 s25, s45, s17
	s_lshl_b64 s[42:43], s[42:43], 2
	s_mul_i32 s24, s45, s17
	s_add_u32 s42, s34, s42
	s_addc_u32 s43, s35, s43
	s_or_b32 s44, s31, 0xf0
	s_mul_i32 s40, s39, s17
	s_ashr_i32 s46, s44, 4
	s_cmp_lt_i32 s44, s28
	s_mul_hi_i32 s39, s38, s17
	s_cselect_b32 s46, s46, s16
	s_mul_i32 s38, s38, s17
	s_ashr_i32 s47, s46, 31
	s_waitcnt lgkmcnt(0)
	s_mul_hi_i32 s49, s15, s17
	s_lshl_b64 s[46:47], s[46:47], 2
	s_mul_i32 s48, s15, s17
	s_add_u32 s34, s34, s46
	s_addc_u32 s35, s35, s47
	s_add_u32 s15, s22, s2
	s_addc_u32 s16, s23, s3
	v_add_co_u32 v216, s15, s15, v125
	s_delay_alu instid0(VALU_DEP_1) | instskip(SKIP_2) | instid1(VALU_DEP_2)
	v_add_co_ci_u32_e64 v217, null, s16, 0, s15
	s_lshl_b64 s[2:3], s[4:5], 1
	s_lshl_b64 s[4:5], s[6:7], 1
	v_add_co_u32 v125, vcc_lo, v216, s2
	s_delay_alu instid0(VALU_DEP_2)
	v_add_co_ci_u32_e32 v126, vcc_lo, s3, v217, vcc_lo
	v_add_co_u32 v199, vcc_lo, v216, s4
	s_lshl_b64 s[6:7], s[8:9], 1
	v_add_co_ci_u32_e32 v200, vcc_lo, s5, v217, vcc_lo
	s_lshl_b64 s[8:9], s[10:11], 1
	s_lshl_b64 s[10:11], s[12:13], 1
	;; [unrolled: 1-line block ×8, first 2 shown]
	s_mul_hi_i32 s45, s37, s17
	s_mul_i32 s44, s37, s17
	s_mul_hi_i32 s37, s36, s17
	s_lshl_b64 s[38:39], s[44:45], 1
	s_mul_i32 s36, s36, s17
	s_clause 0x1
	s_load_b32 s15, s[42:43], 0x0
	s_load_b32 s16, s[34:35], 0x0
	s_lshl_b64 s[36:37], s[36:37], 1
	s_lshl_b64 s[40:41], s[48:49], 1
	s_waitcnt lgkmcnt(0)
	s_mul_hi_i32 s3, s15, s17
	s_mul_i32 s2, s15, s17
	s_mul_hi_i32 s5, s16, s17
	s_lshl_b64 s[2:3], s[2:3], 1
	s_mul_i32 s4, s16, s17
	s_waitcnt vmcnt(30)
	v_wmma_f32_16x16x16_bf16 v[191:198], v[89:96], v[105:112], v[129:136]
	v_add_co_u32 v89, vcc_lo, v216, s6
	v_add_co_ci_u32_e32 v90, vcc_lo, s7, v217, vcc_lo
	v_add_co_u32 v91, vcc_lo, v216, s8
	v_add_co_ci_u32_e32 v92, vcc_lo, s9, v217, vcc_lo
	;; [unrolled: 2-line block ×5, first 2 shown]
	v_add_co_u32 v205, vcc_lo, v216, s20
	s_waitcnt vmcnt(28)
	v_wmma_f32_16x16x16_bf16 v[129:136], v[97:104], v[105:112], v[129:136]
	v_add_co_ci_u32_e32 v206, vcc_lo, s21, v217, vcc_lo
	v_add_co_u32 v207, vcc_lo, v216, s22
	v_add_co_ci_u32_e32 v208, vcc_lo, s23, v217, vcc_lo
	v_add_co_u32 v209, vcc_lo, v216, s24
	s_waitcnt vmcnt(26)
	v_wmma_f32_16x16x16_bf16 v[191:198], v[81:88], v[113:120], v[191:198]
	s_waitcnt vmcnt(24)
	v_wmma_f32_16x16x16_bf16 v[129:136], v[73:80], v[113:120], v[129:136]
	v_add_co_ci_u32_e32 v210, vcc_lo, s25, v217, vcc_lo
	v_add_co_u32 v211, vcc_lo, v216, s26
	v_add_co_ci_u32_e32 v212, vcc_lo, s27, v217, vcc_lo
	v_add_co_u32 v213, vcc_lo, v216, s38
	s_waitcnt vmcnt(22)
	v_wmma_f32_16x16x16_bf16 v[191:198], v[65:72], v[143:150], v[191:198]
	s_waitcnt vmcnt(20)
	v_wmma_f32_16x16x16_bf16 v[129:136], v[57:64], v[143:150], v[129:136]
	v_add_co_ci_u32_e32 v214, vcc_lo, s39, v217, vcc_lo
	v_add_co_u32 v143, vcc_lo, v216, s36
	s_waitcnt vmcnt(18)
	v_wmma_f32_16x16x16_bf16 v[191:198], v[49:56], v[151:158], v[191:198]
	s_waitcnt vmcnt(16)
	v_wmma_f32_16x16x16_bf16 v[129:136], v[41:48], v[151:158], v[129:136]
	v_add_co_ci_u32_e32 v144, vcc_lo, s37, v217, vcc_lo
	s_clause 0x15
	global_load_b128 v[121:124], v[125:126], off
	global_load_b128 v[125:128], v[125:126], off offset:16
	global_load_b128 v[113:116], v[199:200], off
	global_load_b128 v[117:120], v[199:200], off offset:16
	;; [unrolled: 2-line block ×11, first 2 shown]
	s_waitcnt vmcnt(36)
	v_wmma_f32_16x16x16_bf16 v[191:198], v[17:24], v[159:166], v[191:198]
	s_clause 0x1
	global_load_b128 v[17:20], v[213:214], off
	global_load_b128 v[21:24], v[213:214], off offset:16
	s_waitcnt vmcnt(36)
	v_wmma_f32_16x16x16_bf16 v[129:136], v[1:8], v[159:166], v[129:136]
	s_clause 0x1
	global_load_b128 v[1:4], v[143:144], off
	global_load_b128 v[5:8], v[143:144], off offset:16
	ds_load_b128 v[143:146], v215 offset:10240
	ds_load_b128 v[147:150], v215 offset:11264
	;; [unrolled: 1-line block ×4, first 2 shown]
	v_add_co_u32 v199, vcc_lo, v216, s40
	v_add_co_ci_u32_e32 v200, vcc_lo, s41, v217, vcc_lo
	v_add_co_u32 v159, vcc_lo, v216, s2
	v_add_co_ci_u32_e32 v160, vcc_lo, s3, v217, vcc_lo
	s_lshl_b64 s[2:3], s[4:5], 1
	s_delay_alu instid0(SALU_CYCLE_1)
	v_add_co_u32 v161, vcc_lo, v216, s2
	v_add_co_ci_u32_e32 v162, vcc_lo, s3, v217, vcc_lo
	s_waitcnt vmcnt(36) lgkmcnt(2)
	v_wmma_f32_16x16x16_bf16 v[191:198], v[33:40], v[143:150], v[191:198]
	s_waitcnt vmcnt(34)
	v_wmma_f32_16x16x16_bf16 v[129:136], v[25:32], v[143:150], v[129:136]
	s_clause 0x3
	global_load_b128 v[25:28], v[199:200], off
	global_load_b128 v[29:32], v[199:200], off offset:16
	global_load_b128 v[33:36], v[159:160], off
	global_load_b128 v[37:40], v[159:160], off offset:16
	v_and_b32_e32 v143, 0xe0, v0
	v_mbcnt_lo_u32_b32 v159, -1, 0
	s_waitcnt vmcnt(36) lgkmcnt(0)
	v_wmma_f32_16x16x16_bf16 v[191:198], v[9:16], v[151:158], v[191:198]
	s_clause 0x1
	global_load_b128 v[9:12], v[161:162], off
	global_load_b128 v[13:16], v[161:162], off offset:16
	s_waitcnt vmcnt(36)
	v_wmma_f32_16x16x16_bf16 v[129:136], v[167:174], v[151:158], v[129:136]
	v_add_nc_u32_e32 v160, s31, v143
	ds_load_b128 v[143:146], v215 offset:14336
	ds_load_b128 v[147:150], v215 offset:15360
	v_xor_b32_e32 v151, 16, v159
	s_waitcnt vmcnt(0) lgkmcnt(0)
	s_barrier
	v_or_b32_e32 v152, v160, v138
	buffer_gl0_inv
	v_cmp_gt_i32_e32 vcc_lo, 32, v151
	v_or_b32_e32 v153, 2, v152
	v_or_b32_e32 v154, 4, v152
	;; [unrolled: 1-line block ×5, first 2 shown]
	v_cmp_gt_i32_e64 s2, s28, v153
	v_cmp_gt_i32_e64 s3, s28, v154
	;; [unrolled: 1-line block ×3, first 2 shown]
	v_or_b32_e32 v158, 12, v152
	v_cmp_gt_i32_e64 s5, s28, v156
	v_cmp_gt_i32_e64 s6, s28, v157
	v_wmma_f32_16x16x16_bf16 v[191:198], v[175:182], v[143:150], v[191:198]
	v_wmma_f32_16x16x16_bf16 v[129:136], v[183:190], v[143:150], v[129:136]
	v_cndmask_b32_e32 v151, v159, v151, vcc_lo
	v_cmp_gt_i32_e32 vcc_lo, s28, v152
	v_or_b32_e32 v159, 14, v152
	v_dual_mul_f32 v149, s33, v192 :: v_dual_mul_f32 v150, s33, v191
	v_dual_mul_f32 v147, s33, v194 :: v_dual_mul_f32 v148, s33, v193
	;; [unrolled: 1-line block ×3, first 2 shown]
	s_delay_alu instid0(VALU_DEP_3) | instskip(NEXT) | instid1(VALU_DEP_4)
	v_cndmask_b32_e32 v150, 0xff7fffff, v150, vcc_lo
	v_cndmask_b32_e64 v149, 0xff7fffff, v149, s2
	v_mul_f32_e32 v146, s33, v195
	v_cndmask_b32_e64 v148, 0xff7fffff, v148, s3
	v_cndmask_b32_e64 v147, 0xff7fffff, v147, s4
	v_or_b32_e32 v160, 16, v152
	v_max3_f32 v149, v150, 0xff7fffff, v149
	v_or_b32_e32 v161, 18, v152
	v_dual_mul_f32 v143, s33, v198 :: v_dual_mul_f32 v144, s33, v197
	v_cndmask_b32_e64 v146, 0xff7fffff, v146, s5
	v_cndmask_b32_e64 v145, 0xff7fffff, v145, s6
	v_max3_f32 v147, v149, v148, v147
	v_cmp_gt_i32_e64 s7, s28, v158
	v_cmp_gt_i32_e64 s8, s28, v159
	v_or_b32_e32 v162, 20, v152
	v_or_b32_e32 v163, 22, v152
	v_mul_f32_e32 v175, s33, v129
	v_cndmask_b32_e64 v144, 0xff7fffff, v144, s7
	v_cndmask_b32_e64 v143, 0xff7fffff, v143, s8
	v_max3_f32 v145, v147, v146, v145
	v_cmp_gt_i32_e64 s9, s28, v160
	v_cmp_gt_i32_e64 s10, s28, v161
	v_or_b32_e32 v164, 24, v152
	v_or_b32_e32 v165, 26, v152
	v_dual_mul_f32 v172, s33, v132 :: v_dual_mul_f32 v173, s33, v131
	v_cndmask_b32_e64 v146, 0xff7fffff, v175, s9
	v_cndmask_b32_e64 v147, 0xff7fffff, v174, s10
	v_max3_f32 v143, v145, v144, v143
	v_cmp_gt_i32_e64 s11, s28, v162
	v_cmp_gt_i32_e64 s12, s28, v163
	v_or_b32_e32 v166, 28, v152
	v_or_b32_e32 v167, 30, v152
	v_dual_mul_f32 v170, s33, v134 :: v_dual_mul_f32 v171, s33, v133
	v_cndmask_b32_e64 v144, 0xff7fffff, v173, s11
	v_cndmask_b32_e64 v145, 0xff7fffff, v172, s12
	v_max3_f32 v143, v143, v146, v147
	v_cmp_gt_i32_e64 s13, s28, v164
	v_cmp_gt_i32_e64 s15, s28, v165
	v_dual_mul_f32 v168, s33, v136 :: v_dual_mul_f32 v169, s33, v135
	s_delay_alu instid0(VALU_DEP_4) | instskip(NEXT) | instid1(VALU_DEP_4)
	v_max3_f32 v143, v143, v144, v145
	v_cndmask_b32_e64 v146, 0xff7fffff, v171, s13
	s_delay_alu instid0(VALU_DEP_4) | instskip(SKIP_3) | instid1(VALU_DEP_4)
	v_cndmask_b32_e64 v147, 0xff7fffff, v170, s15
	v_cmp_gt_i32_e64 s16, s28, v166
	v_cmp_gt_i32_e64 s17, s28, v167
	v_lshlrev_b32_e32 v154, 2, v151
	v_max3_f32 v143, v143, v146, v147
	s_delay_alu instid0(VALU_DEP_4) | instskip(NEXT) | instid1(VALU_DEP_4)
	v_cndmask_b32_e64 v144, 0xff7fffff, v169, s16
	v_cndmask_b32_e64 v145, 0xff7fffff, v168, s17
	s_delay_alu instid0(VALU_DEP_1) | instskip(SKIP_3) | instid1(VALU_DEP_1)
	v_max3_f32 v143, v143, v144, v145
	ds_bpermute_b32 v144, v154, v143
	s_waitcnt lgkmcnt(0)
	v_max_f32_e32 v144, v144, v144
	v_max_f32_e32 v153, v143, v144
	s_delay_alu instid0(VALU_DEP_1) | instskip(SKIP_4) | instid1(VALU_DEP_4)
	v_fma_f32 v143, s33, v191, -v153
	v_fma_f32 v144, s33, v192, -v153
	;; [unrolled: 1-line block ×5, first 2 shown]
	v_dual_mul_f32 v143, 0x3fb8aa3b, v143 :: v_dual_mul_f32 v144, 0x3fb8aa3b, v144
	s_delay_alu instid0(VALU_DEP_4) | instskip(SKIP_2) | instid1(VALU_DEP_4)
	v_mul_f32_e32 v130, 0x3fb8aa3b, v130
	v_fma_f32 v132, s33, v132, -v153
	v_mul_f32_e32 v145, 0x3fb8aa3b, v145
	v_exp_f32_e32 v143, v143
	v_exp_f32_e32 v147, v144
	v_fma_f32 v148, s33, v195, -v153
	v_mul_f32_e32 v132, 0x3fb8aa3b, v132
	v_mul_f32_e32 v146, 0x3fb8aa3b, v146
	v_exp_f32_e32 v145, v145
	v_fma_f32 v151, s33, v197, -v153
	v_mul_f32_e32 v148, 0x3fb8aa3b, v148
	v_fma_f32 v134, s33, v134, -v153
	v_exp_f32_e32 v149, v146
	v_cndmask_b32_e32 v144, 0, v143, vcc_lo
	v_fma_f32 v143, s33, v196, -v153
	v_cndmask_b32_e64 v146, 0, v147, s2
	v_exp_f32_e32 v148, v148
	s_delay_alu instid0(VALU_DEP_3) | instskip(NEXT) | instid1(VALU_DEP_3)
	v_dual_mul_f32 v151, 0x3fb8aa3b, v151 :: v_dual_add_f32 v150, 0, v144
	v_dual_mul_f32 v143, 0x3fb8aa3b, v143 :: v_dual_mul_f32 v134, 0x3fb8aa3b, v134
	v_cndmask_b32_e64 v147, 0, v145, s3
	s_delay_alu instid0(TRANS32_DEP_2) | instskip(NEXT) | instid1(VALU_DEP_4)
	v_cndmask_b32_e64 v149, 0, v149, s4
	v_add_f32_e32 v145, v150, v146
	v_fma_f32 v150, s33, v198, -v153
	v_exp_f32_e32 v143, v143
	v_fma_f32 v129, s33, v129, -v153
	v_exp_f32_e32 v155, v151
	s_delay_alu instid0(VALU_DEP_2) | instskip(SKIP_1) | instid1(VALU_DEP_3)
	v_dual_add_f32 v145, v145, v147 :: v_dual_mul_f32 v152, 0x3fb8aa3b, v150
	v_cndmask_b32_e64 v150, 0, v148, s5
	v_mul_f32_e32 v129, 0x3fb8aa3b, v129
	v_fma_f32 v131, s33, v131, -v153
	s_delay_alu instid0(VALU_DEP_4) | instskip(SKIP_1) | instid1(TRANS32_DEP_3)
	v_add_f32_e32 v145, v145, v149
	v_exp_f32_e32 v152, v152
	v_cndmask_b32_e64 v151, 0, v143, s6
	v_exp_f32_e32 v129, v129
	s_delay_alu instid0(TRANS32_DEP_3)
	v_cndmask_b32_e64 v148, 0, v155, s7
	v_add_f32_e32 v143, v145, v150
	v_mul_f32_e32 v131, 0x3fb8aa3b, v131
	v_exp_f32_e32 v130, v130
	v_fma_f32 v133, s33, v133, -v153
	v_fma_f32 v136, s33, v136, -v153
	v_add_f32_e32 v143, v143, v151
	v_cndmask_b32_e64 v152, 0, v152, s8
	v_exp_f32_e32 v145, v131
	v_cndmask_b32_e64 v131, 0, v129, s9
	v_mul_f32_e32 v133, 0x3fb8aa3b, v133
	v_add_f32_e32 v143, v143, v148
	s_mov_b32 s2, exec_lo
	s_delay_alu instid0(VALU_DEP_1)
	v_add_f32_e32 v129, v143, v152
	v_exp_f32_e32 v143, v132
	v_cndmask_b32_e64 v132, 0, v130, s10
	v_fma_f32 v130, s33, v135, -v153
	v_exp_f32_e32 v135, v133
	v_add_f32_e32 v129, v129, v131
	v_cndmask_b32_e64 v133, 0, v145, s11
	v_exp_f32_e32 v145, v134
	s_delay_alu instid0(VALU_DEP_2) | instskip(NEXT) | instid1(TRANS32_DEP_3)
	v_dual_mul_f32 v130, 0x3fb8aa3b, v130 :: v_dual_add_f32 v129, v129, v132
	v_cndmask_b32_e64 v134, 0, v143, s12
	v_mul_f32_e32 v143, 0x3fb8aa3b, v136
	s_delay_alu instid0(VALU_DEP_3) | instskip(NEXT) | instid1(TRANS32_DEP_3)
	v_exp_f32_e32 v130, v130
	v_cndmask_b32_e64 v135, 0, v135, s13
	v_add_f32_e32 v129, v129, v133
	s_delay_alu instid0(TRANS32_DEP_2) | instskip(SKIP_1) | instid1(VALU_DEP_2)
	v_cndmask_b32_e64 v136, 0, v145, s15
	v_exp_f32_e32 v145, v143
	v_add_f32_e32 v129, v129, v134
	s_waitcnt_depctr 0xfff
	v_cndmask_b32_e64 v143, 0, v130, s16
	v_add_f32_e32 v129, v129, v135
	v_cndmask_b32_e64 v145, 0, v145, s17
	s_delay_alu instid0(VALU_DEP_2) | instskip(NEXT) | instid1(VALU_DEP_1)
	v_add_f32_e32 v129, v129, v136
	v_add_f32_e32 v129, v129, v143
	s_delay_alu instid0(VALU_DEP_1)
	v_add_f32_e32 v129, v129, v145
	ds_bpermute_b32 v130, v154, v129
	v_cmpx_gt_u32_e32 16, v142
	s_cbranch_execz .LBB639_12
; %bb.11:
	v_mul_u32_u24_e32 v142, 0x44, v141
	s_waitcnt lgkmcnt(0)
	v_add_f32_e32 v129, v129, v130
	s_delay_alu instid0(VALU_DEP_2) | instskip(NEXT) | instid1(VALU_DEP_1)
	v_lshl_add_u32 v142, v140, 2, v142
	v_add_nc_u32_e32 v130, 0x4000, v142
	ds_store_2addr_b32 v130, v153, v129 offset1:136
.LBB639_12:
	s_or_b32 exec_lo, exec_lo, s2
	v_lshlrev_b32_e32 v129, 2, v140
	s_waitcnt lgkmcnt(0)
	s_barrier
	buffer_gl0_inv
	v_cmp_eq_u32_e64 s2, 1, v141
	v_add_nc_u32_e32 v142, 0x4000, v129
	ds_load_2addr_b32 v[153:154], v142 offset1:17
	ds_load_2addr_b32 v[155:156], v142 offset0:34 offset1:51
	ds_load_2addr_b32 v[157:158], v142 offset0:68 offset1:85
	;; [unrolled: 1-line block ×4, first 2 shown]
	s_waitcnt lgkmcnt(4)
	v_max3_f32 v129, v153, 0xff7fffff, v154
	s_waitcnt lgkmcnt(3)
	s_delay_alu instid0(VALU_DEP_1) | instskip(SKIP_1) | instid1(VALU_DEP_1)
	v_max3_f32 v129, v129, v155, v156
	s_waitcnt lgkmcnt(2)
	v_max3_f32 v129, v129, v157, v158
	s_waitcnt lgkmcnt(1)
	s_delay_alu instid0(VALU_DEP_1) | instskip(NEXT) | instid1(VALU_DEP_1)
	v_max3_f32 v129, v129, v159, v160
	v_sub_f32_e32 v163, v154, v129
	v_sub_f32_e32 v130, v153, v129
	ds_load_2addr_b32 v[153:154], v142 offset0:170 offset1:187
	v_sub_f32_e32 v155, v155, v129
	v_dual_mul_f32 v163, 0x3fb8aa3b, v163 :: v_dual_mul_f32 v130, 0x3fb8aa3b, v130
	s_delay_alu instid0(VALU_DEP_2) | instskip(NEXT) | instid1(VALU_DEP_2)
	v_mul_f32_e32 v165, 0x3fb8aa3b, v155
	v_exp_f32_e32 v163, v163
	s_delay_alu instid0(VALU_DEP_2)
	v_exp_f32_e32 v164, v130
	v_sub_f32_e32 v130, v156, v129
	ds_load_2addr_b32 v[155:156], v142 offset0:204 offset1:221
	v_exp_f32_e32 v165, v165
	v_mul_f32_e32 v166, 0x3fb8aa3b, v130
	s_waitcnt lgkmcnt(2)
	v_fma_f32 v130, v164, v161, 0
	v_sub_f32_e32 v157, v157, v129
	s_delay_alu instid0(VALU_DEP_3) | instskip(NEXT) | instid1(VALU_DEP_2)
	v_exp_f32_e32 v166, v166
	v_dual_sub_f32 v161, v158, v129 :: v_dual_fmac_f32 v130, v163, v162
	s_waitcnt lgkmcnt(1)
	s_waitcnt_depctr 0xfff
	v_fmac_f32_e32 v130, v165, v153
	v_mul_f32_e32 v167, 0x3fb8aa3b, v157
	ds_load_2addr_b32 v[157:158], v142 offset0:238 offset1:255
	v_sub_f32_e32 v142, v159, v129
	v_dual_sub_f32 v153, v160, v129 :: v_dual_fmac_f32 v130, v166, v154
	v_mul_f32_e32 v159, 0x3fb8aa3b, v161
	v_exp_f32_e32 v161, v167
	s_delay_alu instid0(VALU_DEP_2)
	v_dual_mul_f32 v142, 0x3fb8aa3b, v142 :: v_dual_mul_f32 v153, 0x3fb8aa3b, v153
	s_waitcnt lgkmcnt(0)
	s_barrier
	buffer_gl0_inv
	v_exp_f32_e32 v142, v142
	v_exp_f32_e32 v153, v153
	v_fmac_f32_e32 v130, v161, v155
	v_exp_f32_e32 v159, v159
	s_waitcnt_depctr 0xfff
	v_fmac_f32_e32 v130, v159, v156
	s_delay_alu instid0(VALU_DEP_1) | instskip(NEXT) | instid1(VALU_DEP_1)
	v_fmac_f32_e32 v130, v142, v157
	v_fmac_f32_e32 v130, v153, v158
	s_delay_alu instid0(VALU_DEP_1) | instskip(NEXT) | instid1(VALU_DEP_1)
	v_add_f32_e32 v154, 0x358637bd, v130
	v_div_scale_f32 v155, null, v154, v154, 1.0
	v_div_scale_f32 v158, vcc_lo, 1.0, v154, 1.0
	s_delay_alu instid0(VALU_DEP_2) | instskip(SKIP_2) | instid1(VALU_DEP_1)
	v_rcp_f32_e32 v156, v155
	s_waitcnt_depctr 0xfff
	v_fma_f32 v157, -v155, v156, 1.0
	v_fmac_f32_e32 v156, v157, v156
	v_cndmask_b32_e64 v157, v164, v163, s2
	v_cmp_eq_u32_e64 s2, 2, v141
	s_delay_alu instid0(VALU_DEP_3) | instskip(NEXT) | instid1(VALU_DEP_2)
	v_mul_f32_e32 v160, v158, v156
	v_cndmask_b32_e64 v157, v157, v165, s2
	v_cmp_eq_u32_e64 s2, 3, v141
	s_delay_alu instid0(VALU_DEP_3) | instskip(NEXT) | instid1(VALU_DEP_2)
	v_fma_f32 v162, -v155, v160, v158
	v_cndmask_b32_e64 v157, v157, v166, s2
	v_cmp_eq_u32_e64 s2, 4, v141
	s_delay_alu instid0(VALU_DEP_3) | instskip(NEXT) | instid1(VALU_DEP_2)
	v_fmac_f32_e32 v160, v162, v156
	v_cndmask_b32_e64 v157, v157, v161, s2
	s_delay_alu instid0(VALU_DEP_2) | instskip(SKIP_1) | instid1(VALU_DEP_2)
	v_fma_f32 v155, -v155, v160, v158
	v_cmp_eq_u32_e64 s2, 5, v141
	v_div_fmas_f32 v155, v155, v156, v160
	s_delay_alu instid0(VALU_DEP_2) | instskip(SKIP_2) | instid1(VALU_DEP_3)
	v_cndmask_b32_e64 v157, v157, v159, s2
	v_cmp_eq_u32_e32 vcc_lo, 6, v141
	s_mov_b32 s2, exec_lo
	v_div_fixup_f32 v154, v155, v154, 1.0
	s_delay_alu instid0(VALU_DEP_3) | instskip(SKIP_1) | instid1(VALU_DEP_2)
	v_cndmask_b32_e32 v142, v157, v142, vcc_lo
	v_cmp_eq_u32_e32 vcc_lo, 7, v141
	v_cndmask_b32_e32 v142, v142, v153, vcc_lo
	s_delay_alu instid0(VALU_DEP_1) | instskip(NEXT) | instid1(VALU_DEP_1)
	v_mul_f32_e32 v142, v142, v154
	v_mul_f32_e32 v153, v142, v149
	;; [unrolled: 1-line block ×7, first 2 shown]
	v_dual_mul_f32 v150, v142, v147 :: v_dual_and_b32 v155, 0x7f800000, v154
	v_mul_f32_e32 v149, v142, v146
                                        ; implicit-def: $vgpr146
	s_delay_alu instid0(VALU_DEP_2)
	v_cmpx_ne_u32_e32 0x7f800000, v155
	s_xor_b32 s2, exec_lo, s2
; %bb.13:
	v_bfe_u32 v146, v154, 16, 1
	s_delay_alu instid0(VALU_DEP_1)
	v_add3_u32 v146, v154, v146, 0x7fff
                                        ; implicit-def: $vgpr154
; %bb.14:
	s_and_not1_saveexec_b32 s2, s2
; %bb.15:
	v_and_b32_e32 v146, 0xffff, v154
	v_or_b32_e32 v147, 0x10000, v154
	s_delay_alu instid0(VALU_DEP_2) | instskip(NEXT) | instid1(VALU_DEP_2)
	v_cmp_eq_u32_e32 vcc_lo, 0, v146
	v_cndmask_b32_e32 v146, v147, v154, vcc_lo
; %bb.16:
	s_or_b32 exec_lo, exec_lo, s2
	v_and_b32_e32 v147, 0x7f800000, v149
	s_delay_alu instid0(VALU_DEP_1) | instskip(SKIP_1) | instid1(SALU_CYCLE_1)
	v_cmp_ne_u32_e32 vcc_lo, 0x7f800000, v147
                                        ; implicit-def: $vgpr147
	s_and_saveexec_b32 s2, vcc_lo
	s_xor_b32 s2, exec_lo, s2
; %bb.17:
	v_bfe_u32 v147, v149, 16, 1
	s_delay_alu instid0(VALU_DEP_1)
	v_add3_u32 v147, v149, v147, 0x7fff
                                        ; implicit-def: $vgpr149
; %bb.18:
	s_and_not1_saveexec_b32 s2, s2
; %bb.19:
	v_and_b32_e32 v147, 0xffff, v149
	v_or_b32_e32 v154, 0x10000, v149
	s_delay_alu instid0(VALU_DEP_2) | instskip(NEXT) | instid1(VALU_DEP_2)
	v_cmp_eq_u32_e32 vcc_lo, 0, v147
	v_cndmask_b32_e32 v147, v154, v149, vcc_lo
; %bb.20:
	s_or_b32 exec_lo, exec_lo, s2
	v_and_b32_e32 v149, 0x7f800000, v150
	s_delay_alu instid0(VALU_DEP_1) | instskip(SKIP_1) | instid1(SALU_CYCLE_1)
	v_cmp_ne_u32_e32 vcc_lo, 0x7f800000, v149
                                        ; implicit-def: $vgpr149
	s_and_saveexec_b32 s2, vcc_lo
	s_xor_b32 s2, exec_lo, s2
; %bb.21:
	v_bfe_u32 v149, v150, 16, 1
	s_delay_alu instid0(VALU_DEP_1)
	v_add3_u32 v149, v150, v149, 0x7fff
                                        ; implicit-def: $vgpr150
; %bb.22:
	s_and_not1_saveexec_b32 s2, s2
; %bb.23:
	v_and_b32_e32 v149, 0xffff, v150
	v_or_b32_e32 v154, 0x10000, v150
	s_delay_alu instid0(VALU_DEP_2) | instskip(NEXT) | instid1(VALU_DEP_2)
	v_cmp_eq_u32_e32 vcc_lo, 0, v149
	v_cndmask_b32_e32 v149, v154, v150, vcc_lo
; %bb.24:
	s_or_b32 exec_lo, exec_lo, s2
	v_and_b32_e32 v150, 0x7f800000, v153
	s_delay_alu instid0(VALU_DEP_1) | instskip(SKIP_1) | instid1(SALU_CYCLE_1)
	v_cmp_ne_u32_e32 vcc_lo, 0x7f800000, v150
                                        ; implicit-def: $vgpr150
	s_and_saveexec_b32 s2, vcc_lo
	s_xor_b32 s2, exec_lo, s2
; %bb.25:
	v_bfe_u32 v150, v153, 16, 1
	s_delay_alu instid0(VALU_DEP_1)
	v_add3_u32 v150, v153, v150, 0x7fff
                                        ; implicit-def: $vgpr153
; %bb.26:
	s_and_not1_saveexec_b32 s2, s2
; %bb.27:
	v_and_b32_e32 v150, 0xffff, v153
	v_or_b32_e32 v154, 0x10000, v153
	s_delay_alu instid0(VALU_DEP_2) | instskip(NEXT) | instid1(VALU_DEP_2)
	v_cmp_eq_u32_e32 vcc_lo, 0, v150
	v_cndmask_b32_e32 v150, v154, v153, vcc_lo
; %bb.28:
	s_or_b32 exec_lo, exec_lo, s2
	v_and_b32_e32 v153, 0x7f800000, v152
	s_delay_alu instid0(VALU_DEP_1) | instskip(SKIP_1) | instid1(SALU_CYCLE_1)
	v_cmp_ne_u32_e32 vcc_lo, 0x7f800000, v153
                                        ; implicit-def: $vgpr153
	s_and_saveexec_b32 s2, vcc_lo
	s_xor_b32 s2, exec_lo, s2
; %bb.29:
	v_bfe_u32 v153, v152, 16, 1
	s_delay_alu instid0(VALU_DEP_1)
	v_add3_u32 v153, v152, v153, 0x7fff
                                        ; implicit-def: $vgpr152
; %bb.30:
	s_and_not1_saveexec_b32 s2, s2
; %bb.31:
	v_and_b32_e32 v153, 0xffff, v152
	v_or_b32_e32 v154, 0x10000, v152
	s_delay_alu instid0(VALU_DEP_2) | instskip(NEXT) | instid1(VALU_DEP_2)
	v_cmp_eq_u32_e32 vcc_lo, 0, v153
	v_cndmask_b32_e32 v153, v154, v152, vcc_lo
; %bb.32:
	s_or_b32 exec_lo, exec_lo, s2
	v_and_b32_e32 v152, 0x7f800000, v151
	s_delay_alu instid0(VALU_DEP_1) | instskip(SKIP_1) | instid1(SALU_CYCLE_1)
	v_cmp_ne_u32_e32 vcc_lo, 0x7f800000, v152
                                        ; implicit-def: $vgpr152
	s_and_saveexec_b32 s2, vcc_lo
	s_xor_b32 s2, exec_lo, s2
; %bb.33:
	v_bfe_u32 v152, v151, 16, 1
	s_delay_alu instid0(VALU_DEP_1)
	v_add3_u32 v152, v151, v152, 0x7fff
                                        ; implicit-def: $vgpr151
; %bb.34:
	s_and_not1_saveexec_b32 s2, s2
; %bb.35:
	v_and_b32_e32 v152, 0xffff, v151
	v_or_b32_e32 v154, 0x10000, v151
	s_delay_alu instid0(VALU_DEP_2) | instskip(NEXT) | instid1(VALU_DEP_2)
	v_cmp_eq_u32_e32 vcc_lo, 0, v152
	v_cndmask_b32_e32 v152, v154, v151, vcc_lo
; %bb.36:
	s_or_b32 exec_lo, exec_lo, s2
	v_and_b32_e32 v151, 0x7f800000, v148
	s_delay_alu instid0(VALU_DEP_1) | instskip(SKIP_1) | instid1(SALU_CYCLE_1)
	v_cmp_ne_u32_e32 vcc_lo, 0x7f800000, v151
                                        ; implicit-def: $vgpr151
	s_and_saveexec_b32 s2, vcc_lo
	s_xor_b32 s2, exec_lo, s2
; %bb.37:
	v_bfe_u32 v151, v148, 16, 1
	s_delay_alu instid0(VALU_DEP_1)
	v_add3_u32 v151, v148, v151, 0x7fff
                                        ; implicit-def: $vgpr148
; %bb.38:
	s_and_not1_saveexec_b32 s2, s2
; %bb.39:
	v_and_b32_e32 v151, 0xffff, v148
	v_or_b32_e32 v154, 0x10000, v148
	s_delay_alu instid0(VALU_DEP_2) | instskip(NEXT) | instid1(VALU_DEP_2)
	v_cmp_eq_u32_e32 vcc_lo, 0, v151
	v_cndmask_b32_e32 v151, v154, v148, vcc_lo
; %bb.40:
	s_or_b32 exec_lo, exec_lo, s2
	v_and_b32_e32 v148, 0x7f800000, v144
	s_delay_alu instid0(VALU_DEP_1) | instskip(SKIP_1) | instid1(SALU_CYCLE_1)
	v_cmp_ne_u32_e32 vcc_lo, 0x7f800000, v148
                                        ; implicit-def: $vgpr148
	s_and_saveexec_b32 s2, vcc_lo
	s_xor_b32 s2, exec_lo, s2
; %bb.41:
	v_bfe_u32 v148, v144, 16, 1
	s_delay_alu instid0(VALU_DEP_1)
	v_add3_u32 v148, v144, v148, 0x7fff
                                        ; implicit-def: $vgpr144
; %bb.42:
	s_and_not1_saveexec_b32 s2, s2
; %bb.43:
	v_and_b32_e32 v148, 0xffff, v144
	v_or_b32_e32 v154, 0x10000, v144
	s_delay_alu instid0(VALU_DEP_2) | instskip(NEXT) | instid1(VALU_DEP_2)
	v_cmp_eq_u32_e32 vcc_lo, 0, v148
	v_cndmask_b32_e32 v148, v154, v144, vcc_lo
; %bb.44:
	s_or_b32 exec_lo, exec_lo, s2
	s_load_b64 s[34:35], s[0:1], 0x94
	v_lshlrev_b32_e32 v155, 4, v138
	s_delay_alu instid0(VALU_DEP_2)
	v_perm_b32 v154, v148, v151, 0x7060302
	v_mul_f32_e32 v148, v142, v131
	v_dual_mul_f32 v145, v142, v145 :: v_dual_lshlrev_b32 v144, 6, v140
	v_dual_mul_f32 v143, v142, v143 :: v_dual_lshlrev_b32 v156, 11, v141
	v_perm_b32 v153, v152, v153, 0x7060302
	v_perm_b32 v152, v150, v149, 0x7060302
	;; [unrolled: 1-line block ×3, first 2 shown]
	s_delay_alu instid0(VALU_DEP_4)
	v_or3_b32 v131, v155, v156, v144
	v_mul_f32_e32 v136, v142, v136
	v_dual_mul_f32 v146, v142, v134 :: v_dual_and_b32 v149, 0x7f800000, v148
	v_mul_f32_e32 v135, v142, v135
	v_mul_f32_e32 v147, v142, v133
	;; [unrolled: 1-line block ×3, first 2 shown]
	s_mov_b32 s2, exec_lo
	ds_store_b128 v131, v[151:154]
                                        ; implicit-def: $vgpr132
	v_cmpx_ne_u32_e32 0x7f800000, v149
	s_xor_b32 s2, exec_lo, s2
; %bb.45:
	v_bfe_u32 v132, v148, 16, 1
	s_delay_alu instid0(VALU_DEP_1)
	v_add3_u32 v132, v148, v132, 0x7fff
                                        ; implicit-def: $vgpr148
; %bb.46:
	s_and_not1_saveexec_b32 s2, s2
; %bb.47:
	v_and_b32_e32 v132, 0xffff, v148
	v_or_b32_e32 v133, 0x10000, v148
	s_delay_alu instid0(VALU_DEP_2) | instskip(NEXT) | instid1(VALU_DEP_2)
	v_cmp_eq_u32_e32 vcc_lo, 0, v132
	v_cndmask_b32_e32 v132, v133, v148, vcc_lo
; %bb.48:
	s_or_b32 exec_lo, exec_lo, s2
	v_and_b32_e32 v133, 0x7f800000, v134
	s_delay_alu instid0(VALU_DEP_1) | instskip(SKIP_1) | instid1(SALU_CYCLE_1)
	v_cmp_ne_u32_e32 vcc_lo, 0x7f800000, v133
                                        ; implicit-def: $vgpr133
	s_and_saveexec_b32 s2, vcc_lo
	s_xor_b32 s2, exec_lo, s2
; %bb.49:
	v_bfe_u32 v133, v134, 16, 1
	s_delay_alu instid0(VALU_DEP_1)
	v_add3_u32 v133, v134, v133, 0x7fff
                                        ; implicit-def: $vgpr134
; %bb.50:
	s_and_not1_saveexec_b32 s2, s2
; %bb.51:
	v_and_b32_e32 v133, 0xffff, v134
	v_or_b32_e32 v142, 0x10000, v134
	s_delay_alu instid0(VALU_DEP_2) | instskip(NEXT) | instid1(VALU_DEP_2)
	v_cmp_eq_u32_e32 vcc_lo, 0, v133
	v_cndmask_b32_e32 v133, v142, v134, vcc_lo
; %bb.52:
	s_or_b32 exec_lo, exec_lo, s2
	v_and_b32_e32 v134, 0x7f800000, v147
	s_delay_alu instid0(VALU_DEP_1) | instskip(SKIP_1) | instid1(SALU_CYCLE_1)
	v_cmp_ne_u32_e32 vcc_lo, 0x7f800000, v134
                                        ; implicit-def: $vgpr134
	s_and_saveexec_b32 s2, vcc_lo
	s_xor_b32 s2, exec_lo, s2
; %bb.53:
	v_bfe_u32 v134, v147, 16, 1
	s_delay_alu instid0(VALU_DEP_1)
	v_add3_u32 v134, v147, v134, 0x7fff
                                        ; implicit-def: $vgpr147
; %bb.54:
	s_and_not1_saveexec_b32 s2, s2
; %bb.55:
	v_and_b32_e32 v134, 0xffff, v147
	v_or_b32_e32 v142, 0x10000, v147
	s_delay_alu instid0(VALU_DEP_2) | instskip(NEXT) | instid1(VALU_DEP_2)
	v_cmp_eq_u32_e32 vcc_lo, 0, v134
	v_cndmask_b32_e32 v134, v142, v147, vcc_lo
; %bb.56:
	s_or_b32 exec_lo, exec_lo, s2
	v_and_b32_e32 v142, 0x7f800000, v146
	s_delay_alu instid0(VALU_DEP_1) | instskip(SKIP_1) | instid1(SALU_CYCLE_1)
	v_cmp_ne_u32_e32 vcc_lo, 0x7f800000, v142
                                        ; implicit-def: $vgpr142
	s_and_saveexec_b32 s2, vcc_lo
	s_xor_b32 s2, exec_lo, s2
; %bb.57:
	v_bfe_u32 v142, v146, 16, 1
	s_delay_alu instid0(VALU_DEP_1)
	v_add3_u32 v142, v146, v142, 0x7fff
                                        ; implicit-def: $vgpr146
; %bb.58:
	s_and_not1_saveexec_b32 s2, s2
; %bb.59:
	v_and_b32_e32 v142, 0xffff, v146
	v_or_b32_e32 v147, 0x10000, v146
	s_delay_alu instid0(VALU_DEP_2) | instskip(NEXT) | instid1(VALU_DEP_2)
	v_cmp_eq_u32_e32 vcc_lo, 0, v142
	v_cndmask_b32_e32 v142, v147, v146, vcc_lo
; %bb.60:
	s_or_b32 exec_lo, exec_lo, s2
	v_and_b32_e32 v146, 0x7f800000, v135
	s_delay_alu instid0(VALU_DEP_1) | instskip(SKIP_1) | instid1(SALU_CYCLE_1)
	v_cmp_ne_u32_e32 vcc_lo, 0x7f800000, v146
                                        ; implicit-def: $vgpr146
	s_and_saveexec_b32 s2, vcc_lo
	s_xor_b32 s2, exec_lo, s2
; %bb.61:
	v_bfe_u32 v146, v135, 16, 1
	s_delay_alu instid0(VALU_DEP_1)
	v_add3_u32 v146, v135, v146, 0x7fff
                                        ; implicit-def: $vgpr135
; %bb.62:
	s_and_not1_saveexec_b32 s2, s2
; %bb.63:
	v_and_b32_e32 v146, 0xffff, v135
	v_or_b32_e32 v147, 0x10000, v135
	s_delay_alu instid0(VALU_DEP_2) | instskip(NEXT) | instid1(VALU_DEP_2)
	v_cmp_eq_u32_e32 vcc_lo, 0, v146
	v_cndmask_b32_e32 v146, v147, v135, vcc_lo
; %bb.64:
	s_or_b32 exec_lo, exec_lo, s2
	v_and_b32_e32 v135, 0x7f800000, v136
	s_delay_alu instid0(VALU_DEP_1) | instskip(SKIP_1) | instid1(SALU_CYCLE_1)
	v_cmp_ne_u32_e32 vcc_lo, 0x7f800000, v135
                                        ; implicit-def: $vgpr135
	s_and_saveexec_b32 s2, vcc_lo
	s_xor_b32 s2, exec_lo, s2
; %bb.65:
	v_bfe_u32 v135, v136, 16, 1
	s_delay_alu instid0(VALU_DEP_1)
	v_add3_u32 v135, v136, v135, 0x7fff
                                        ; implicit-def: $vgpr136
; %bb.66:
	s_and_not1_saveexec_b32 s2, s2
; %bb.67:
	v_and_b32_e32 v135, 0xffff, v136
	v_or_b32_e32 v147, 0x10000, v136
	s_delay_alu instid0(VALU_DEP_2) | instskip(NEXT) | instid1(VALU_DEP_2)
	v_cmp_eq_u32_e32 vcc_lo, 0, v135
	v_cndmask_b32_e32 v135, v147, v136, vcc_lo
; %bb.68:
	s_or_b32 exec_lo, exec_lo, s2
	v_and_b32_e32 v136, 0x7f800000, v143
	s_delay_alu instid0(VALU_DEP_1) | instskip(SKIP_1) | instid1(SALU_CYCLE_1)
	v_cmp_ne_u32_e32 vcc_lo, 0x7f800000, v136
                                        ; implicit-def: $vgpr136
	s_and_saveexec_b32 s2, vcc_lo
	s_xor_b32 s2, exec_lo, s2
; %bb.69:
	v_bfe_u32 v136, v143, 16, 1
	s_delay_alu instid0(VALU_DEP_1)
	v_add3_u32 v136, v143, v136, 0x7fff
                                        ; implicit-def: $vgpr143
; %bb.70:
	s_and_not1_saveexec_b32 s2, s2
; %bb.71:
	v_and_b32_e32 v136, 0xffff, v143
	v_or_b32_e32 v147, 0x10000, v143
	s_delay_alu instid0(VALU_DEP_2) | instskip(NEXT) | instid1(VALU_DEP_2)
	v_cmp_eq_u32_e32 vcc_lo, 0, v136
	v_cndmask_b32_e32 v136, v147, v143, vcc_lo
; %bb.72:
	s_or_b32 exec_lo, exec_lo, s2
	v_and_b32_e32 v143, 0x7f800000, v145
	s_delay_alu instid0(VALU_DEP_1) | instskip(SKIP_1) | instid1(SALU_CYCLE_1)
	v_cmp_ne_u32_e32 vcc_lo, 0x7f800000, v143
                                        ; implicit-def: $vgpr143
	s_and_saveexec_b32 s2, vcc_lo
	s_xor_b32 s2, exec_lo, s2
; %bb.73:
	v_bfe_u32 v143, v145, 16, 1
	s_delay_alu instid0(VALU_DEP_1)
	v_add3_u32 v143, v145, v143, 0x7fff
                                        ; implicit-def: $vgpr145
; %bb.74:
	s_and_not1_saveexec_b32 s2, s2
; %bb.75:
	v_and_b32_e32 v143, 0xffff, v145
	v_or_b32_e32 v147, 0x10000, v145
	s_delay_alu instid0(VALU_DEP_2) | instskip(NEXT) | instid1(VALU_DEP_2)
	v_cmp_eq_u32_e32 vcc_lo, 0, v143
	v_cndmask_b32_e32 v143, v147, v145, vcc_lo
; %bb.76:
	s_or_b32 exec_lo, exec_lo, s2
	s_delay_alu instid0(VALU_DEP_1)
	v_perm_b32 v136, v143, v136, 0x7060302
	v_perm_b32 v135, v135, v146, 0x7060302
	;; [unrolled: 1-line block ×4, first 2 shown]
	v_lshl_or_b32 v145, v141, 11, v144
	v_lshlrev_b32_e32 v142, 2, v138
	ds_store_b128 v131, v[133:136] offset:1024
	s_waitcnt lgkmcnt(0)
	s_barrier
	buffer_gl0_inv
	ds_load_b128 v[132:135], v145
	ds_load_b128 v[147:150], v145 offset:16
	v_or_b32_e32 v143, 1, v142
	v_cmp_eq_u32_e64 s11, 1, v142
	v_cmp_eq_u32_e64 s10, 2, v142
	;; [unrolled: 1-line block ×3, first 2 shown]
	v_or_b32_e32 v141, 2, v142
	v_cmp_eq_u32_e64 s6, 1, v143
	v_cmp_eq_u32_e64 s5, 2, v143
	;; [unrolled: 1-line block ×8, first 2 shown]
	v_cmp_eq_u32_e32 vcc_lo, 5, v143
	v_cmp_eq_u32_e64 s9, 2, v141
	v_cmp_eq_u32_e64 s3, 6, v143
	;; [unrolled: 1-line block ×4, first 2 shown]
	s_waitcnt lgkmcnt(1)
	v_lshrrev_b32_e32 v136, 16, v132
	s_waitcnt lgkmcnt(0)
	v_lshrrev_b32_e32 v155, 16, v147
	v_lshrrev_b32_e32 v161, 16, v148
	;; [unrolled: 1-line block ×4, first 2 shown]
	v_cndmask_b32_e64 v146, v132, v136, s11
	v_cndmask_b32_e64 v151, v147, v155, s11
	;; [unrolled: 1-line block ×4, first 2 shown]
	v_lshrrev_b32_e32 v160, 16, v134
	v_cndmask_b32_e64 v146, v146, v133, s10
	v_cndmask_b32_e64 v151, v151, v148, s10
	;; [unrolled: 1-line block ×8, first 2 shown]
	v_lshrrev_b32_e32 v164, 16, v150
	v_cndmask_b32_e64 v153, v153, v161, s4
	v_cndmask_b32_e64 v146, v146, v134, s16
	;; [unrolled: 1-line block ×5, first 2 shown]
	v_lshrrev_b32_e32 v162, 16, v135
	v_cndmask_b32_e64 v146, v146, v160, s12
	v_cndmask_b32_e64 v151, v151, v163, s12
	v_cndmask_b32_e32 v152, v152, v160, vcc_lo
	v_cndmask_b32_e64 v153, v153, v149, s2
	v_cmp_eq_u32_e64 s18, 7, v143
	v_cndmask_b32_e64 v146, v146, v135, s13
	v_cndmask_b32_e64 v151, v151, v150, s13
	;; [unrolled: 1-line block ×4, first 2 shown]
	v_cmp_eq_u32_e64 s19, 4, v141
	v_cndmask_b32_e64 v165, v146, v162, s8
	v_cndmask_b32_e64 v166, v151, v164, s8
	;; [unrolled: 1-line block ×3, first 2 shown]
	v_or_b32_e32 v146, 3, v142
	v_cndmask_b32_e64 v167, v152, v162, s18
	v_cndmask_b32_e32 v156, v153, v163, vcc_lo
	v_cndmask_b32_e64 v158, v154, v134, s19
	v_cndmask_b32_e64 v157, v151, v148, s9
	ds_load_b128 v[151:154], v145 offset:1024
	v_cmp_eq_u32_e64 s20, 1, v146
	v_cmp_eq_u32_e64 s21, 5, v141
	;; [unrolled: 1-line block ×3, first 2 shown]
	v_cndmask_b32_e64 v157, v157, v161, s17
	v_cmp_eq_u32_e64 s23, 3, v146
	v_cndmask_b32_e64 v132, v132, v136, s20
	v_cndmask_b32_e64 v136, v156, v150, s3
	;; [unrolled: 1-line block ×5, first 2 shown]
	ds_load_b128 v[155:158], v145 offset:1040
	v_cndmask_b32_e64 v132, v132, v133, s22
	v_cmp_eq_u32_e64 s25, 4, v146
	v_cmp_eq_u32_e64 s27, 5, v146
	v_cndmask_b32_e64 v147, v147, v148, s22
	v_cmp_eq_u32_e64 s24, 6, v141
	v_cndmask_b32_e64 v132, v132, v159, s23
	;; [unrolled: 2-line block ×3, first 2 shown]
	v_cndmask_b32_e64 v147, v147, v161, s23
	s_waitcnt lgkmcnt(1)
	v_lshrrev_b32_e32 v159, 16, v151
	v_cndmask_b32_e64 v132, v132, v134, s25
	v_cndmask_b32_e64 v148, v168, v135, s24
	;; [unrolled: 1-line block ×6, first 2 shown]
	v_lshrrev_b32_e32 v160, 16, v152
	v_cndmask_b32_e64 v161, v151, v159, s6
	v_cndmask_b32_e64 v134, v134, v163, s27
	s_waitcnt lgkmcnt(0)
	v_lshrrev_b32_e32 v149, 16, v155
	v_cndmask_b32_e64 v147, v147, v152, s10
	v_cndmask_b32_e64 v132, v132, v135, s28
	v_cmp_eq_u32_e64 s26, 7, v141
	v_cndmask_b32_e64 v134, v134, v150, s28
	v_cndmask_b32_e64 v163, v155, v149, s11
	;; [unrolled: 1-line block ×4, first 2 shown]
	v_lshrrev_b32_e32 v161, 16, v156
	v_cndmask_b32_e64 v136, v136, v164, s18
	v_cndmask_b32_e64 v150, v163, v156, s10
	v_cmp_eq_u32_e64 s10, 7, v146
	v_cndmask_b32_e64 v147, v147, v160, s4
	v_cndmask_b32_e64 v135, v135, v153, s16
	v_lshrrev_b32_e32 v163, 16, v153
	v_cndmask_b32_e64 v150, v150, v161, s15
	v_cndmask_b32_e64 v132, v132, v162, s10
	;; [unrolled: 1-line block ×8, first 2 shown]
	v_lshrrev_b32_e32 v164, 16, v157
	v_perm_b32 v135, v134, v132, 0x5040100
	v_cndmask_b32_e32 v132, v147, v163, vcc_lo
	v_cndmask_b32_e64 v147, v162, v154, s13
	v_lshrrev_b32_e32 v162, 16, v154
	v_cndmask_b32_e64 v150, v150, v164, s12
	v_perm_b32 v134, v133, v148, 0x5040100
	v_cndmask_b32_e64 v132, v132, v154, s3
	v_perm_b32 v133, v136, v167, 0x5040100
	v_cndmask_b32_e64 v136, v147, v162, s8
	v_cndmask_b32_e64 v147, v150, v158, s13
	;; [unrolled: 1-line block ×27, first 2 shown]
	v_cndmask_b32_e32 v149, v149, v164, vcc_lo
	v_lshrrev_b32_e32 v148, 16, v158
	v_cndmask_b32_e64 v132, v132, v154, s24
	v_cndmask_b32_e64 v150, v150, v154, s28
	;; [unrolled: 1-line block ×11, first 2 shown]
	v_perm_b32 v132, v166, v165, 0x5040100
	v_perm_b32 v150, v151, v150, 0x5040100
	;; [unrolled: 1-line block ×5, first 2 shown]
	s_mul_i32 s7, s35, 6
	s_mov_b32 s2, exec_lo
	ds_store_b128 v131, v[132:135]
	ds_store_b128 v131, v[147:150] offset:1024
	v_cmpx_gt_u32_e32 6, v0
	s_cbranch_execz .LBB639_78
; %bb.77:
	s_mul_i32 s3, s7, s30
	s_load_b128 s[8:11], s[0:1], 0x58
	v_add3_u32 v133, s3, s29, v140
	s_delay_alu instid0(VALU_DEP_1) | instskip(NEXT) | instid1(VALU_DEP_1)
	v_mad_u64_u32 v[131:132], null, v133, s34, s[14:15]
	v_ashrrev_i32_e32 v132, 31, v131
	s_delay_alu instid0(VALU_DEP_1) | instskip(SKIP_1) | instid1(VALU_DEP_1)
	v_lshlrev_b64 v[131:132], 2, v[131:132]
	s_waitcnt lgkmcnt(0)
	v_add_co_u32 v133, vcc_lo, s10, v131
	s_delay_alu instid0(VALU_DEP_2)
	v_add_co_ci_u32_e32 v134, vcc_lo, s11, v132, vcc_lo
	v_add_co_u32 v131, vcc_lo, s8, v131
	v_add_co_ci_u32_e32 v132, vcc_lo, s9, v132, vcc_lo
	global_store_b32 v[133:134], v129, off
	global_store_b32 v[131:132], v130, off
.LBB639_78:
	s_or_b32 exec_lo, exec_lo, s2
	s_waitcnt lgkmcnt(0)
	s_waitcnt_vscnt null, 0x0
	s_barrier
	buffer_gl0_inv
	ds_load_b128 v[147:150], v144
	ds_load_b128 v[151:154], v144 offset:16
	ds_load_b128 v[159:162], v144 offset:1040
	;; [unrolled: 1-line block ×3, first 2 shown]
	v_mov_b32_e32 v129, 0
	ds_load_b128 v[167:170], v144 offset:2064
	ds_load_b128 v[163:166], v144 offset:2048
	;; [unrolled: 1-line block ×6, first 2 shown]
	v_mov_b32_e32 v130, v129
	v_mov_b32_e32 v131, v129
	;; [unrolled: 1-line block ×7, first 2 shown]
	s_waitcnt lgkmcnt(8)
	s_delay_alu instid0(VALU_DEP_1)
	v_wmma_f32_16x16x16_bf16 v[129:136], v[121:128], v[147:154], v[129:136]
	ds_load_b128 v[125:128], v144 offset:5136
	ds_load_b128 v[121:124], v144 offset:5120
	s_waitcnt lgkmcnt(8)
	v_wmma_f32_16x16x16_bf16 v[129:136], v[113:120], v[155:162], v[129:136]
	ds_load_b128 v[117:120], v144 offset:6160
	ds_load_b128 v[113:116], v144 offset:6144
	s_waitcnt lgkmcnt(8)
	;; [unrolled: 4-line block ×8, first 2 shown]
	v_wmma_f32_16x16x16_bf16 v[129:136], v[65:72], v[97:104], v[129:136]
	s_waitcnt lgkmcnt(6)
	s_delay_alu instid0(VALU_DEP_1)
	v_wmma_f32_16x16x16_bf16 v[129:136], v[49:56], v[89:96], v[129:136]
	ds_load_b128 v[53:56], v144 offset:13328
	ds_load_b128 v[49:52], v144 offset:13312
	s_waitcnt lgkmcnt(6)
	v_wmma_f32_16x16x16_bf16 v[129:136], v[41:48], v[81:88], v[129:136]
	ds_load_b128 v[45:48], v144 offset:14352
	ds_load_b128 v[41:44], v144 offset:14336
	s_waitcnt lgkmcnt(6)
	;; [unrolled: 4-line block ×3, first 2 shown]
	v_wmma_f32_16x16x16_bf16 v[129:136], v[1:8], v[57:64], v[129:136]
	s_waitcnt lgkmcnt(4)
	s_delay_alu instid0(VALU_DEP_1) | instskip(SKIP_1) | instid1(VALU_DEP_1)
	v_wmma_f32_16x16x16_bf16 v[129:136], v[25:32], v[49:56], v[129:136]
	s_waitcnt lgkmcnt(2)
	v_wmma_f32_16x16x16_bf16 v[129:136], v[33:40], v[41:48], v[129:136]
	s_waitcnt lgkmcnt(0)
	s_delay_alu instid0(VALU_DEP_1) | instskip(NEXT) | instid1(VALU_DEP_1)
	v_wmma_f32_16x16x16_bf16 v[129:136], v[9:16], v[17:24], v[129:136]
	v_and_b32_e32 v1, 0x7f800000, v129
	s_delay_alu instid0(VALU_DEP_1) | instskip(SKIP_1) | instid1(SALU_CYCLE_1)
	v_cmp_ne_u32_e32 vcc_lo, 0x7f800000, v1
                                        ; implicit-def: $vgpr1
	s_and_saveexec_b32 s2, vcc_lo
	s_xor_b32 s2, exec_lo, s2
; %bb.79:
	v_bfe_u32 v1, v129, 16, 1
	s_delay_alu instid0(VALU_DEP_1)
	v_add3_u32 v1, v129, v1, 0x7fff
; %bb.80:
	s_and_not1_saveexec_b32 s2, s2
; %bb.81:
	v_and_b32_e32 v1, 0xffff, v129
	v_or_b32_e32 v2, 0x10000, v129
	s_delay_alu instid0(VALU_DEP_2) | instskip(NEXT) | instid1(VALU_DEP_2)
	v_cmp_eq_u32_e32 vcc_lo, 0, v1
	v_cndmask_b32_e32 v1, v2, v129, vcc_lo
; %bb.82:
	s_or_b32 exec_lo, exec_lo, s2
	v_and_b32_e32 v2, 0x7f800000, v130
	s_delay_alu instid0(VALU_DEP_1) | instskip(SKIP_1) | instid1(SALU_CYCLE_1)
	v_cmp_ne_u32_e32 vcc_lo, 0x7f800000, v2
                                        ; implicit-def: $vgpr2
	s_and_saveexec_b32 s2, vcc_lo
	s_xor_b32 s2, exec_lo, s2
; %bb.83:
	v_bfe_u32 v2, v130, 16, 1
	s_delay_alu instid0(VALU_DEP_1)
	v_add3_u32 v2, v130, v2, 0x7fff
; %bb.84:
	s_and_not1_saveexec_b32 s2, s2
; %bb.85:
	v_and_b32_e32 v2, 0xffff, v130
	v_or_b32_e32 v3, 0x10000, v130
	s_delay_alu instid0(VALU_DEP_2) | instskip(NEXT) | instid1(VALU_DEP_2)
	v_cmp_eq_u32_e32 vcc_lo, 0, v2
	v_cndmask_b32_e32 v2, v3, v130, vcc_lo
; %bb.86:
	s_or_b32 exec_lo, exec_lo, s2
	v_and_b32_e32 v3, 0x7f800000, v131
	s_delay_alu instid0(VALU_DEP_1) | instskip(SKIP_1) | instid1(SALU_CYCLE_1)
	v_cmp_ne_u32_e32 vcc_lo, 0x7f800000, v3
                                        ; implicit-def: $vgpr3
	s_and_saveexec_b32 s2, vcc_lo
	s_xor_b32 s2, exec_lo, s2
; %bb.87:
	v_bfe_u32 v3, v131, 16, 1
	s_delay_alu instid0(VALU_DEP_1)
	v_add3_u32 v3, v131, v3, 0x7fff
; %bb.88:
	s_and_not1_saveexec_b32 s2, s2
; %bb.89:
	v_and_b32_e32 v3, 0xffff, v131
	v_or_b32_e32 v4, 0x10000, v131
	s_delay_alu instid0(VALU_DEP_2) | instskip(NEXT) | instid1(VALU_DEP_2)
	v_cmp_eq_u32_e32 vcc_lo, 0, v3
	v_cndmask_b32_e32 v3, v4, v131, vcc_lo
; %bb.90:
	s_or_b32 exec_lo, exec_lo, s2
	v_and_b32_e32 v4, 0x7f800000, v132
	s_delay_alu instid0(VALU_DEP_1) | instskip(SKIP_1) | instid1(SALU_CYCLE_1)
	v_cmp_ne_u32_e32 vcc_lo, 0x7f800000, v4
                                        ; implicit-def: $vgpr4
	s_and_saveexec_b32 s2, vcc_lo
	s_xor_b32 s2, exec_lo, s2
; %bb.91:
	v_bfe_u32 v4, v132, 16, 1
	s_delay_alu instid0(VALU_DEP_1)
	v_add3_u32 v4, v132, v4, 0x7fff
; %bb.92:
	s_and_not1_saveexec_b32 s2, s2
; %bb.93:
	v_and_b32_e32 v4, 0xffff, v132
	v_or_b32_e32 v5, 0x10000, v132
	s_delay_alu instid0(VALU_DEP_2) | instskip(NEXT) | instid1(VALU_DEP_2)
	v_cmp_eq_u32_e32 vcc_lo, 0, v4
	v_cndmask_b32_e32 v4, v5, v132, vcc_lo
; %bb.94:
	s_or_b32 exec_lo, exec_lo, s2
	v_and_b32_e32 v5, 0x7f800000, v133
	s_delay_alu instid0(VALU_DEP_1) | instskip(SKIP_1) | instid1(SALU_CYCLE_1)
	v_cmp_ne_u32_e32 vcc_lo, 0x7f800000, v5
                                        ; implicit-def: $vgpr5
	s_and_saveexec_b32 s2, vcc_lo
	s_xor_b32 s2, exec_lo, s2
; %bb.95:
	v_bfe_u32 v5, v133, 16, 1
	s_delay_alu instid0(VALU_DEP_1)
	v_add3_u32 v5, v133, v5, 0x7fff
; %bb.96:
	s_and_not1_saveexec_b32 s2, s2
; %bb.97:
	v_and_b32_e32 v5, 0xffff, v133
	v_or_b32_e32 v6, 0x10000, v133
	s_delay_alu instid0(VALU_DEP_2) | instskip(NEXT) | instid1(VALU_DEP_2)
	v_cmp_eq_u32_e32 vcc_lo, 0, v5
	v_cndmask_b32_e32 v5, v6, v133, vcc_lo
; %bb.98:
	s_or_b32 exec_lo, exec_lo, s2
	v_and_b32_e32 v6, 0x7f800000, v134
	s_delay_alu instid0(VALU_DEP_1) | instskip(SKIP_1) | instid1(SALU_CYCLE_1)
	v_cmp_ne_u32_e32 vcc_lo, 0x7f800000, v6
                                        ; implicit-def: $vgpr6
	s_and_saveexec_b32 s2, vcc_lo
	s_xor_b32 s2, exec_lo, s2
; %bb.99:
	v_bfe_u32 v6, v134, 16, 1
	s_delay_alu instid0(VALU_DEP_1)
	v_add3_u32 v6, v134, v6, 0x7fff
; %bb.100:
	s_and_not1_saveexec_b32 s2, s2
; %bb.101:
	v_and_b32_e32 v6, 0xffff, v134
	v_or_b32_e32 v7, 0x10000, v134
	s_delay_alu instid0(VALU_DEP_2) | instskip(NEXT) | instid1(VALU_DEP_2)
	v_cmp_eq_u32_e32 vcc_lo, 0, v6
	v_cndmask_b32_e32 v6, v7, v134, vcc_lo
; %bb.102:
	s_or_b32 exec_lo, exec_lo, s2
	v_and_b32_e32 v7, 0x7f800000, v135
	s_delay_alu instid0(VALU_DEP_1) | instskip(SKIP_1) | instid1(SALU_CYCLE_1)
	v_cmp_ne_u32_e32 vcc_lo, 0x7f800000, v7
                                        ; implicit-def: $vgpr7
	s_and_saveexec_b32 s2, vcc_lo
	s_xor_b32 s2, exec_lo, s2
; %bb.103:
	v_bfe_u32 v7, v135, 16, 1
	s_delay_alu instid0(VALU_DEP_1)
	v_add3_u32 v7, v135, v7, 0x7fff
; %bb.104:
	s_and_not1_saveexec_b32 s2, s2
; %bb.105:
	v_and_b32_e32 v7, 0xffff, v135
	v_or_b32_e32 v8, 0x10000, v135
	s_delay_alu instid0(VALU_DEP_2) | instskip(NEXT) | instid1(VALU_DEP_2)
	v_cmp_eq_u32_e32 vcc_lo, 0, v7
	v_cndmask_b32_e32 v7, v8, v135, vcc_lo
; %bb.106:
	s_or_b32 exec_lo, exec_lo, s2
	v_and_b32_e32 v8, 0x7f800000, v136
	s_delay_alu instid0(VALU_DEP_1) | instskip(SKIP_1) | instid1(SALU_CYCLE_1)
	v_cmp_ne_u32_e32 vcc_lo, 0x7f800000, v8
                                        ; implicit-def: $vgpr8
	s_and_saveexec_b32 s2, vcc_lo
	s_xor_b32 s2, exec_lo, s2
; %bb.107:
	v_bfe_u32 v8, v136, 16, 1
	s_delay_alu instid0(VALU_DEP_1)
	v_add3_u32 v8, v136, v8, 0x7fff
                                        ; implicit-def: $vgpr129_vgpr130_vgpr131_vgpr132_vgpr133_vgpr134_vgpr135_vgpr136
; %bb.108:
	s_and_not1_saveexec_b32 s2, s2
; %bb.109:
	v_and_b32_e32 v8, 0xffff, v136
	v_or_b32_e32 v9, 0x10000, v136
	s_delay_alu instid0(VALU_DEP_2) | instskip(NEXT) | instid1(VALU_DEP_2)
	v_cmp_eq_u32_e32 vcc_lo, 0, v8
	v_cndmask_b32_e32 v8, v9, v136, vcc_lo
; %bb.110:
	s_or_b32 exec_lo, exec_lo, s2
	s_delay_alu instid0(VALU_DEP_1)
	v_perm_b32 v7, v8, v7, 0x7060302
	v_perm_b32 v6, v6, v5, 0x7060302
	;; [unrolled: 1-line block ×4, first 2 shown]
	v_lshl_or_b32 v9, v138, 4, v145
	s_barrier
	buffer_gl0_inv
	v_cmp_eq_u32_e32 vcc_lo, 1, v142
	ds_store_b128 v9, v[4:7]
	s_waitcnt lgkmcnt(0)
	s_barrier
	buffer_gl0_inv
	ds_load_b128 v[1:4], v145
	ds_load_b128 v[5:8], v145 offset:16
	v_cmp_eq_u32_e64 s3, 2, v142
	v_cmp_eq_u32_e64 s2, 1, v143
	v_cmp_eq_u32_e64 s4, 3, v142
	v_cmp_eq_u32_e64 s6, 2, v141
	v_cmp_eq_u32_e64 s5, 7, v143
	s_waitcnt lgkmcnt(1)
	v_lshrrev_b32_e32 v10, 16, v1
	s_waitcnt lgkmcnt(0)
	v_lshrrev_b32_e32 v14, 16, v5
	v_lshrrev_b32_e32 v15, 16, v6
	;; [unrolled: 1-line block ×4, first 2 shown]
	v_cndmask_b32_e64 v20, v1, v10, s2
	v_cndmask_b32_e32 v19, v5, v14, vcc_lo
	v_cndmask_b32_e64 v21, v5, v14, s2
	v_lshrrev_b32_e32 v16, 16, v7
	v_cmp_eq_u32_e64 s2, 1, v141
	v_lshrrev_b32_e32 v13, 16, v4
	v_cndmask_b32_e64 v19, v19, v6, s3
	v_lshrrev_b32_e32 v17, 16, v8
	s_delay_alu instid0(VALU_DEP_4) | instskip(SKIP_1) | instid1(VALU_DEP_4)
	v_cndmask_b32_e64 v22, v1, v10, s2
	v_cndmask_b32_e64 v23, v5, v14, s2
	;; [unrolled: 1-line block ×3, first 2 shown]
	v_cndmask_b32_e32 v18, v1, v10, vcc_lo
	v_cmp_eq_u32_e32 vcc_lo, 2, v143
	v_cmp_eq_u32_e64 s2, 2, v146
	v_cndmask_b32_e64 v22, v22, v2, s6
	v_cndmask_b32_e32 v20, v20, v2, vcc_lo
	v_cndmask_b32_e32 v21, v21, v6, vcc_lo
	v_cmp_eq_u32_e32 vcc_lo, 4, v142
	v_cndmask_b32_e32 v19, v19, v7, vcc_lo
	v_cndmask_b32_e64 v18, v18, v2, s3
	v_cmp_eq_u32_e64 s3, 3, v143
	s_delay_alu instid0(VALU_DEP_2) | instskip(NEXT) | instid1(VALU_DEP_2)
	v_cndmask_b32_e64 v18, v18, v11, s4
	v_cndmask_b32_e64 v21, v21, v15, s3
	v_cmp_eq_u32_e64 s4, 5, v142
	s_delay_alu instid0(VALU_DEP_3) | instskip(SKIP_1) | instid1(VALU_DEP_3)
	v_cndmask_b32_e32 v18, v18, v3, vcc_lo
	v_cmp_eq_u32_e32 vcc_lo, 4, v143
	v_cndmask_b32_e64 v19, v19, v16, s4
	s_delay_alu instid0(VALU_DEP_3) | instskip(SKIP_4) | instid1(VALU_DEP_3)
	v_cndmask_b32_e64 v18, v18, v12, s4
	v_cndmask_b32_e32 v21, v21, v7, vcc_lo
	v_cndmask_b32_e64 v20, v20, v11, s3
	v_cmp_eq_u32_e64 s3, 5, v143
	v_cmp_eq_u32_e64 s4, 6, v142
	v_cndmask_b32_e32 v20, v20, v3, vcc_lo
	s_delay_alu instid0(VALU_DEP_3) | instskip(SKIP_1) | instid1(VALU_DEP_4)
	v_cndmask_b32_e64 v21, v21, v16, s3
	v_cmp_eq_u32_e32 vcc_lo, 6, v143
	v_cndmask_b32_e64 v18, v18, v4, s4
	v_cndmask_b32_e64 v19, v19, v8, s4
	;; [unrolled: 1-line block ×3, first 2 shown]
	v_cmp_eq_u32_e64 s3, 1, v146
	v_cmp_eq_u32_e64 s4, 7, v142
	s_delay_alu instid0(VALU_DEP_3) | instskip(NEXT) | instid1(VALU_DEP_3)
	v_cndmask_b32_e32 v20, v20, v4, vcc_lo
	v_cndmask_b32_e64 v1, v1, v10, s3
	v_cndmask_b32_e64 v5, v5, v14, s3
	v_cmp_eq_u32_e64 s3, 3, v141
	v_cndmask_b32_e64 v14, v23, v6, s6
	v_cmp_eq_u32_e64 s6, 3, v146
	v_cndmask_b32_e64 v1, v1, v2, s2
	v_cndmask_b32_e64 v2, v5, v6, s2
	;; [unrolled: 1-line block ×3, first 2 shown]
	v_cmp_eq_u32_e64 s2, 4, v141
	v_cndmask_b32_e64 v6, v14, v15, s3
	v_cndmask_b32_e64 v1, v1, v11, s6
	v_cmp_eq_u32_e64 s3, 4, v146
	v_cndmask_b32_e64 v2, v2, v15, s6
	v_cndmask_b32_e64 v5, v10, v3, s2
	;; [unrolled: 3-line block ×3, first 2 shown]
	v_cndmask_b32_e64 v2, v2, v7, s3
	v_cmp_eq_u32_e64 s2, 5, v146
	v_cndmask_b32_e64 v5, v5, v12, s6
	v_cmp_eq_u32_e64 s3, 6, v141
	;; [unrolled: 2-line block ×3, first 2 shown]
	v_cndmask_b32_e64 v1, v1, v12, s2
	v_cndmask_b32_e64 v2, v2, v16, s2
	;; [unrolled: 1-line block ×4, first 2 shown]
	v_cmp_eq_u32_e64 s2, 7, v146
	v_cndmask_b32_e64 v1, v1, v4, s6
	v_cndmask_b32_e64 v2, v2, v8, s6
	v_cmp_eq_u32_e64 s3, 7, v141
	v_cndmask_b32_e32 v4, v21, v8, vcc_lo
	v_cndmask_b32_e64 v18, v18, v13, s4
	v_cndmask_b32_e64 v20, v20, v13, s5
	;; [unrolled: 1-line block ×8, first 2 shown]
	s_mov_b32 s2, exec_lo
	v_perm_b32 v4, v2, v1, 0x5040100
	v_perm_b32 v3, v3, v5, 0x5040100
	;; [unrolled: 1-line block ×4, first 2 shown]
	ds_store_b128 v9, v[1:4]
	s_waitcnt lgkmcnt(0)
	s_barrier
	buffer_gl0_inv
	v_cmpx_gt_u32_e32 32, v0
	s_cbranch_execz .LBB639_2
; %bb.111:
	s_load_b64 s[0:1], s[0:1], 0x68
	s_lshl_b32 s4, s34, 7
	v_or_b32_e32 v3, s29, v138
	s_mul_i32 s2, s4, s30
	v_lshlrev_b32_e32 v0, 10, v0
	s_mul_i32 s2, s2, s7
	v_lshlrev_b32_e32 v1, 4, v139
	s_ashr_i32 s3, s2, 31
	v_mul_lo_u32 v12, v3, s4
	s_lshl_b64 s[2:3], s[2:3], 1
	v_lshlrev_b32_e32 v2, 6, v138
	v_and_b32_e32 v0, 0x3800, v0
	s_delay_alu instid0(VALU_DEP_1) | instskip(NEXT) | instid1(VALU_DEP_4)
	v_or3_b32 v8, v0, v1, v2
	v_ashrrev_i32_e32 v13, 31, v12
	ds_load_b128 v[0:3], v8
	ds_load_b128 v[4:7], v8 offset:128
	ds_load_b128 v[8:11], v8 offset:256
	s_waitcnt lgkmcnt(0)
	s_add_u32 s2, s0, s2
	s_addc_u32 s3, s1, s3
	s_lshl_b32 s0, s14, 7
	s_delay_alu instid0(SALU_CYCLE_1) | instskip(NEXT) | instid1(SALU_CYCLE_1)
	s_ashr_i32 s1, s0, 31
	s_lshl_b64 s[0:1], s[0:1], 1
	s_delay_alu instid0(SALU_CYCLE_1)
	s_add_u32 s0, s2, s0
	s_addc_u32 s1, s3, s1
	s_lshl_b32 s2, s34, 8
	v_add_co_u32 v18, s0, s0, v137
	v_add_nc_u32_e32 v14, s2, v12
	v_lshlrev_b64 v[12:13], 1, v[12:13]
	v_add_co_ci_u32_e64 v19, null, s1, 0, s0
	s_delay_alu instid0(VALU_DEP_3) | instskip(SKIP_1) | instid1(VALU_DEP_4)
	v_add_nc_u32_e32 v16, s2, v14
	v_ashrrev_i32_e32 v15, 31, v14
	v_add_co_u32 v12, vcc_lo, v18, v12
	s_delay_alu instid0(VALU_DEP_4) | instskip(NEXT) | instid1(VALU_DEP_4)
	v_add_co_ci_u32_e32 v13, vcc_lo, v19, v13, vcc_lo
	v_ashrrev_i32_e32 v17, 31, v16
	s_delay_alu instid0(VALU_DEP_4) | instskip(NEXT) | instid1(VALU_DEP_2)
	v_lshlrev_b64 v[14:15], 1, v[14:15]
	v_lshlrev_b64 v[16:17], 1, v[16:17]
	s_delay_alu instid0(VALU_DEP_2) | instskip(NEXT) | instid1(VALU_DEP_3)
	v_add_co_u32 v14, vcc_lo, v18, v14
	v_add_co_ci_u32_e32 v15, vcc_lo, v19, v15, vcc_lo
	s_delay_alu instid0(VALU_DEP_3) | instskip(NEXT) | instid1(VALU_DEP_4)
	v_add_co_u32 v16, vcc_lo, v18, v16
	v_add_co_ci_u32_e32 v17, vcc_lo, v19, v17, vcc_lo
	s_clause 0x2
	global_store_b128 v[12:13], v[0:3], off
	global_store_b128 v[14:15], v[4:7], off
	global_store_b128 v[16:17], v[8:11], off
	s_nop 0
	s_sendmsg sendmsg(MSG_DEALLOC_VGPRS)
	s_endpgm
	.section	.rodata,"a",@progbits
	.p2align	6, 0x0
	.amdhsa_kernel _Z39paged_attention_ll4mi_QKV_mfma16_kernelI14__hip_bfloat16S0_LN4vllm18Fp8KVCacheDataTypeE0ES0_Li16ELi128ELi256ELb1ELi6EL8MFMAType0EEvPKT_PKT0_S9_ifPKiSB_SB_iPKfiiiPfSE_PS4_PT2_iSD_SD_
		.amdhsa_group_segment_fixed_size 17472
		.amdhsa_private_segment_fixed_size 0
		.amdhsa_kernarg_size 400
		.amdhsa_user_sgpr_count 13
		.amdhsa_user_sgpr_dispatch_ptr 0
		.amdhsa_user_sgpr_queue_ptr 0
		.amdhsa_user_sgpr_kernarg_segment_ptr 1
		.amdhsa_user_sgpr_dispatch_id 0
		.amdhsa_user_sgpr_private_segment_size 0
		.amdhsa_wavefront_size32 1
		.amdhsa_uses_dynamic_stack 0
		.amdhsa_enable_private_segment 0
		.amdhsa_system_sgpr_workgroup_id_x 1
		.amdhsa_system_sgpr_workgroup_id_y 1
		.amdhsa_system_sgpr_workgroup_id_z 1
		.amdhsa_system_sgpr_workgroup_info 0
		.amdhsa_system_vgpr_workitem_id 0
		.amdhsa_next_free_vgpr 218
		.amdhsa_next_free_sgpr 50
		.amdhsa_reserve_vcc 1
		.amdhsa_float_round_mode_32 0
		.amdhsa_float_round_mode_16_64 0
		.amdhsa_float_denorm_mode_32 3
		.amdhsa_float_denorm_mode_16_64 3
		.amdhsa_dx10_clamp 1
		.amdhsa_ieee_mode 1
		.amdhsa_fp16_overflow 0
		.amdhsa_workgroup_processor_mode 1
		.amdhsa_memory_ordered 1
		.amdhsa_forward_progress 0
		.amdhsa_shared_vgpr_count 0
		.amdhsa_exception_fp_ieee_invalid_op 0
		.amdhsa_exception_fp_denorm_src 0
		.amdhsa_exception_fp_ieee_div_zero 0
		.amdhsa_exception_fp_ieee_overflow 0
		.amdhsa_exception_fp_ieee_underflow 0
		.amdhsa_exception_fp_ieee_inexact 0
		.amdhsa_exception_int_div_zero 0
	.end_amdhsa_kernel
	.section	.text._Z39paged_attention_ll4mi_QKV_mfma16_kernelI14__hip_bfloat16S0_LN4vllm18Fp8KVCacheDataTypeE0ES0_Li16ELi128ELi256ELb1ELi6EL8MFMAType0EEvPKT_PKT0_S9_ifPKiSB_SB_iPKfiiiPfSE_PS4_PT2_iSD_SD_,"axG",@progbits,_Z39paged_attention_ll4mi_QKV_mfma16_kernelI14__hip_bfloat16S0_LN4vllm18Fp8KVCacheDataTypeE0ES0_Li16ELi128ELi256ELb1ELi6EL8MFMAType0EEvPKT_PKT0_S9_ifPKiSB_SB_iPKfiiiPfSE_PS4_PT2_iSD_SD_,comdat
.Lfunc_end639:
	.size	_Z39paged_attention_ll4mi_QKV_mfma16_kernelI14__hip_bfloat16S0_LN4vllm18Fp8KVCacheDataTypeE0ES0_Li16ELi128ELi256ELb1ELi6EL8MFMAType0EEvPKT_PKT0_S9_ifPKiSB_SB_iPKfiiiPfSE_PS4_PT2_iSD_SD_, .Lfunc_end639-_Z39paged_attention_ll4mi_QKV_mfma16_kernelI14__hip_bfloat16S0_LN4vllm18Fp8KVCacheDataTypeE0ES0_Li16ELi128ELi256ELb1ELi6EL8MFMAType0EEvPKT_PKT0_S9_ifPKiSB_SB_iPKfiiiPfSE_PS4_PT2_iSD_SD_
                                        ; -- End function
	.section	.AMDGPU.csdata,"",@progbits
; Kernel info:
; codeLenInByte = 10200
; NumSgprs: 52
; NumVgprs: 218
; ScratchSize: 0
; MemoryBound: 0
; FloatMode: 240
; IeeeMode: 1
; LDSByteSize: 17472 bytes/workgroup (compile time only)
; SGPRBlocks: 6
; VGPRBlocks: 27
; NumSGPRsForWavesPerEU: 52
; NumVGPRsForWavesPerEU: 218
; Occupancy: 6
; WaveLimiterHint : 1
; COMPUTE_PGM_RSRC2:SCRATCH_EN: 0
; COMPUTE_PGM_RSRC2:USER_SGPR: 13
; COMPUTE_PGM_RSRC2:TRAP_HANDLER: 0
; COMPUTE_PGM_RSRC2:TGID_X_EN: 1
; COMPUTE_PGM_RSRC2:TGID_Y_EN: 1
; COMPUTE_PGM_RSRC2:TGID_Z_EN: 1
; COMPUTE_PGM_RSRC2:TIDIG_COMP_CNT: 0
	.section	.text._Z39paged_attention_ll4mi_QKV_mfma16_kernelI14__hip_bfloat16S0_LN4vllm18Fp8KVCacheDataTypeE0ES0_Li16ELi128ELi256ELb1ELi7EL8MFMAType0EEvPKT_PKT0_S9_ifPKiSB_SB_iPKfiiiPfSE_PS4_PT2_iSD_SD_,"axG",@progbits,_Z39paged_attention_ll4mi_QKV_mfma16_kernelI14__hip_bfloat16S0_LN4vllm18Fp8KVCacheDataTypeE0ES0_Li16ELi128ELi256ELb1ELi7EL8MFMAType0EEvPKT_PKT0_S9_ifPKiSB_SB_iPKfiiiPfSE_PS4_PT2_iSD_SD_,comdat
	.protected	_Z39paged_attention_ll4mi_QKV_mfma16_kernelI14__hip_bfloat16S0_LN4vllm18Fp8KVCacheDataTypeE0ES0_Li16ELi128ELi256ELb1ELi7EL8MFMAType0EEvPKT_PKT0_S9_ifPKiSB_SB_iPKfiiiPfSE_PS4_PT2_iSD_SD_ ; -- Begin function _Z39paged_attention_ll4mi_QKV_mfma16_kernelI14__hip_bfloat16S0_LN4vllm18Fp8KVCacheDataTypeE0ES0_Li16ELi128ELi256ELb1ELi7EL8MFMAType0EEvPKT_PKT0_S9_ifPKiSB_SB_iPKfiiiPfSE_PS4_PT2_iSD_SD_
	.globl	_Z39paged_attention_ll4mi_QKV_mfma16_kernelI14__hip_bfloat16S0_LN4vllm18Fp8KVCacheDataTypeE0ES0_Li16ELi128ELi256ELb1ELi7EL8MFMAType0EEvPKT_PKT0_S9_ifPKiSB_SB_iPKfiiiPfSE_PS4_PT2_iSD_SD_
	.p2align	8
	.type	_Z39paged_attention_ll4mi_QKV_mfma16_kernelI14__hip_bfloat16S0_LN4vllm18Fp8KVCacheDataTypeE0ES0_Li16ELi128ELi256ELb1ELi7EL8MFMAType0EEvPKT_PKT0_S9_ifPKiSB_SB_iPKfiiiPfSE_PS4_PT2_iSD_SD_,@function
_Z39paged_attention_ll4mi_QKV_mfma16_kernelI14__hip_bfloat16S0_LN4vllm18Fp8KVCacheDataTypeE0ES0_Li16ELi128ELi256ELb1ELi7EL8MFMAType0EEvPKT_PKT0_S9_ifPKiSB_SB_iPKfiiiPfSE_PS4_PT2_iSD_SD_: ; @_Z39paged_attention_ll4mi_QKV_mfma16_kernelI14__hip_bfloat16S0_LN4vllm18Fp8KVCacheDataTypeE0ES0_Li16ELi128ELi256ELb1ELi7EL8MFMAType0EEvPKT_PKT0_S9_ifPKiSB_SB_iPKfiiiPfSE_PS4_PT2_iSD_SD_
; %bb.0:
	s_load_b64 s[4:5], s[0:1], 0x30
	s_mov_b32 s30, s13
	s_waitcnt lgkmcnt(0)
	s_cmp_lg_u64 s[4:5], 0
	s_cselect_b32 s8, -1, 0
	s_ashr_i32 s31, s13, 31
	s_cmp_eq_u64 s[4:5], 0
	s_cbranch_scc1 .LBB640_3
; %bb.1:
	s_lshl_b64 s[2:3], s[30:31], 2
	s_delay_alu instid0(SALU_CYCLE_1) | instskip(SKIP_4) | instid1(SALU_CYCLE_1)
	s_add_u32 s2, s4, s2
	s_addc_u32 s3, s5, s3
	s_load_b64 s[2:3], s[2:3], 0x0
	s_waitcnt lgkmcnt(0)
	s_sub_i32 s2, s3, s2
	s_cmp_eq_u32 s2, 1
	s_cselect_b32 s2, -1, 0
	s_delay_alu instid0(SALU_CYCLE_1)
	s_and_not1_b32 vcc_lo, exec_lo, s2
	s_cbranch_vccz .LBB640_4
.LBB640_2:
	s_nop 0
	s_sendmsg sendmsg(MSG_DEALLOC_VGPRS)
	s_endpgm
.LBB640_3:
.LBB640_4:
	s_load_b64 s[2:3], s[0:1], 0x28
	s_lshl_b64 s[6:7], s[30:31], 2
	s_waitcnt lgkmcnt(0)
	s_add_u32 s2, s2, s6
	s_addc_u32 s3, s3, s7
	s_lshl_b32 s29, s14, 8
	s_load_b32 s28, s[2:3], 0x0
	s_waitcnt lgkmcnt(0)
	s_cmp_ge_i32 s29, s28
	s_cbranch_scc1 .LBB640_2
; %bb.5:
	s_clause 0x1
	s_load_b128 s[20:23], s[0:1], 0x8
	s_load_b64 s[2:3], s[0:1], 0x20
	s_and_not1_b32 vcc_lo, exec_lo, s8
	s_cbranch_vccnz .LBB640_7
; %bb.6:
	s_add_u32 s4, s4, s6
	s_addc_u32 s5, s5, s7
	s_load_b32 s5, s[4:5], 0x0
	s_branch .LBB640_8
.LBB640_7:
	s_mov_b32 s5, s30
.LBB640_8:
	s_load_b128 s[16:19], s[0:1], 0x48
	v_and_b32_e32 v140, 15, v0
	v_lshrrev_b32_e32 v141, 5, v0
	v_bfe_u32 v138, v0, 4, 1
	v_and_b32_e32 v142, 31, v0
	v_and_b32_e32 v139, 1, v0
	v_lshlrev_b32_e32 v2, 3, v140
	s_mul_i32 s31, s15, 7
	v_lshl_or_b32 v1, v141, 1, v138
	s_mov_b32 s4, exec_lo
	s_delay_alu instid0(VALU_DEP_2) | instskip(NEXT) | instid1(VALU_DEP_2)
	v_lshlrev_b32_e32 v137, 1, v2
	v_cmpx_gt_u32_e32 7, v1
	s_cbranch_execz .LBB640_10
; %bb.9:
	s_load_b64 s[6:7], s[0:1], 0x0
	v_add_lshl_u32 v2, v1, s31, 7
	s_waitcnt lgkmcnt(0)
	s_mul_hi_i32 s9, s5, s16
	s_mul_i32 s8, s5, s16
	v_lshlrev_b32_e32 v6, 10, v140
	s_lshl_b64 s[8:9], s[8:9], 1
	v_ashrrev_i32_e32 v3, 31, v2
	v_lshlrev_b32_e32 v1, 6, v1
	v_lshlrev_b32_e32 v7, 10, v139
	v_and_b32_e32 v6, 0x3800, v6
	s_delay_alu instid0(VALU_DEP_4) | instskip(NEXT) | instid1(VALU_DEP_2)
	v_lshlrev_b64 v[2:3], 1, v[2:3]
	v_or3_b32 v1, v6, v7, v1
	s_add_u32 s5, s6, s8
	s_addc_u32 s6, s7, s9
	s_delay_alu instid0(VALU_DEP_2) | instskip(NEXT) | instid1(VALU_DEP_3)
	v_add_co_u32 v2, vcc_lo, s5, v2
	v_add_co_ci_u32_e32 v3, vcc_lo, s6, v3, vcc_lo
	s_delay_alu instid0(VALU_DEP_2) | instskip(NEXT) | instid1(VALU_DEP_2)
	v_add_co_u32 v2, vcc_lo, v2, v137
	v_add_co_ci_u32_e32 v3, vcc_lo, 0, v3, vcc_lo
	global_load_b128 v[2:5], v[2:3], off
	s_waitcnt vmcnt(0)
	ds_store_b128 v1, v[2:5]
.LBB640_10:
	s_or_b32 exec_lo, exec_lo, s4
	v_and_b32_e32 v1, 0xef, v0
	s_waitcnt lgkmcnt(0)
	s_add_i32 s5, s28, 15
	s_clause 0x1
	s_load_b32 s4, s[0:1], 0x38
	s_load_b32 s33, s[0:1], 0x1c
	s_ashr_i32 s6, s5, 31
	v_add_nc_u32_e32 v1, s29, v1
	s_lshr_b32 s6, s6, 28
	s_waitcnt lgkmcnt(0)
	s_add_i32 s5, s5, s6
	s_barrier
	v_ashrrev_i32_e32 v2, 31, v1
	v_cmp_gt_i32_e32 vcc_lo, s28, v1
	s_ashr_i32 s16, s5, 4
	buffer_gl0_inv
	s_add_i32 s16, s16, -1
	v_lshrrev_b32_e32 v3, 28, v2
	v_or_b32_e32 v2, 16, v1
	v_mul_lo_u16 v105, v140, 37
	v_lshlrev_b32_e32 v106, 5, v140
	s_delay_alu instid0(VALU_DEP_4) | instskip(NEXT) | instid1(VALU_DEP_4)
	v_add_nc_u32_e32 v4, v1, v3
	v_add_nc_u32_e32 v3, v2, v3
	s_mul_i32 s4, s30, s4
	v_lshrrev_b16 v105, 8, v105
	s_ashr_i32 s5, s4, 31
	v_ashrrev_i32_e32 v4, 4, v4
	v_ashrrev_i32_e32 v3, 4, v3
	s_lshl_b64 s[4:5], s[4:5], 2
	v_mul_lo_u16 v105, v105, 7
	s_add_u32 s34, s2, s4
	v_cndmask_b32_e32 v1, s16, v4, vcc_lo
	v_cmp_gt_i32_e32 vcc_lo, s28, v2
	s_addc_u32 s35, s3, s5
	s_mul_i32 s2, s15, s18
	v_sub_nc_u16 v105, v140, v105
	v_ashrrev_i32_e32 v2, 31, v1
	v_cndmask_b32_e32 v3, s16, v3, vcc_lo
	s_ashr_i32 s3, s2, 31
	v_lshl_or_b32 v125, v141, 9, v106
	s_lshl_b64 s[2:3], s[2:3], 1
	v_lshlrev_b64 v[1:2], 2, v[1:2]
	v_ashrrev_i32_e32 v4, 31, v3
	s_add_u32 s24, s20, s2
	s_addc_u32 s25, s21, s3
	s_lshl_b32 s4, s14, 4
	v_and_b32_e32 v105, 0xff, v105
	v_lshlrev_b64 v[3:4], 2, v[3:4]
	v_add_co_u32 v1, vcc_lo, s34, v1
	v_add_co_ci_u32_e32 v2, vcc_lo, s35, v2, vcc_lo
	s_ashr_i32 s5, s4, 31
	s_delay_alu instid0(VALU_DEP_3) | instskip(NEXT) | instid1(VALU_DEP_4)
	v_add_co_u32 v3, vcc_lo, s34, v3
	v_add_co_ci_u32_e32 v4, vcc_lo, s35, v4, vcc_lo
	s_lshl_b64 s[4:5], s[4:5], 2
	s_clause 0x1
	global_load_b32 v5, v[1:2], off
	global_load_b32 v6, v[3:4], off
	s_add_u32 s4, s34, s4
	s_addc_u32 s5, s35, s5
	s_or_b32 s6, s29, 16
	v_lshlrev_b32_e32 v3, 4, v0
	s_ashr_i32 s7, s6, 4
	s_cmp_lt_i32 s6, s28
	v_lshlrev_b32_e32 v215, 6, v105
	s_cselect_b32 s6, s7, s16
	s_delay_alu instid0(SALU_CYCLE_1) | instskip(NEXT) | instid1(SALU_CYCLE_1)
	s_ashr_i32 s7, s6, 31
	s_lshl_b64 s[6:7], s[6:7], 2
	s_delay_alu instid0(SALU_CYCLE_1) | instskip(SKIP_2) | instid1(SALU_CYCLE_1)
	s_add_u32 s6, s34, s6
	s_addc_u32 s7, s35, s7
	s_or_b32 s8, s29, 32
	s_ashr_i32 s9, s8, 4
	s_cmp_lt_i32 s8, s28
	s_cselect_b32 s8, s9, s16
	s_delay_alu instid0(SALU_CYCLE_1) | instskip(NEXT) | instid1(SALU_CYCLE_1)
	s_ashr_i32 s9, s8, 31
	s_lshl_b64 s[8:9], s[8:9], 2
	s_delay_alu instid0(SALU_CYCLE_1) | instskip(SKIP_2) | instid1(SALU_CYCLE_1)
	s_add_u32 s8, s34, s8
	s_addc_u32 s9, s35, s9
	s_or_b32 s10, s29, 48
	s_ashr_i32 s11, s10, 4
	s_cmp_lt_i32 s10, s28
	;; [unrolled: 10-line block ×4, first 2 shown]
	s_cselect_b32 s12, s13, s16
	s_delay_alu instid0(SALU_CYCLE_1) | instskip(NEXT) | instid1(SALU_CYCLE_1)
	s_ashr_i32 s13, s12, 31
	s_lshl_b64 s[12:13], s[12:13], 2
	s_delay_alu instid0(SALU_CYCLE_1)
	s_add_u32 s20, s34, s12
	s_addc_u32 s21, s35, s13
	s_clause 0x5
	s_load_b32 s38, s[4:5], 0x0
	s_load_b32 s37, s[6:7], 0x0
	;; [unrolled: 1-line block ×6, first 2 shown]
	s_waitcnt vmcnt(1)
	v_mad_i64_i32 v[1:2], null, v5, s17, 0
	v_and_b32_e32 v5, 0xf0, v3
	s_waitcnt vmcnt(0)
	v_mad_i64_i32 v[3:4], null, v6, s17, 0
	s_delay_alu instid0(VALU_DEP_2) | instskip(NEXT) | instid1(VALU_DEP_4)
	v_add_co_u32 v5, s4, s24, v5
	v_lshlrev_b64 v[1:2], 1, v[1:2]
	v_add_co_ci_u32_e64 v6, null, s25, 0, s4
	s_delay_alu instid0(VALU_DEP_4) | instskip(SKIP_1) | instid1(VALU_DEP_3)
	v_lshlrev_b64 v[3:4], 1, v[3:4]
	s_or_b32 s4, s29, 0x60
	v_add_co_u32 v121, vcc_lo, v5, v1
	s_delay_alu instid0(VALU_DEP_3) | instskip(NEXT) | instid1(VALU_DEP_3)
	v_add_co_ci_u32_e32 v122, vcc_lo, v6, v2, vcc_lo
	v_add_co_u32 v123, vcc_lo, v5, v3
	s_delay_alu instid0(VALU_DEP_4)
	v_add_co_ci_u32_e32 v124, vcc_lo, v6, v4, vcc_lo
	s_clause 0x19
	global_load_b128 v[89:92], v[121:122], off
	global_load_b128 v[93:96], v[121:122], off offset:256
	global_load_b128 v[97:100], v[123:124], off
	global_load_b128 v[101:104], v[123:124], off offset:256
	global_load_b128 v[81:84], v[121:122], off offset:512
	;; [unrolled: 1-line block ×23, first 2 shown]
	s_ashr_i32 s5, s4, 4
	s_cmp_lt_i32 s4, s28
	ds_load_b128 v[105:108], v215
	ds_load_b128 v[109:112], v215 offset:1024
	s_cselect_b32 s4, s5, s16
	ds_load_b128 v[113:116], v215 offset:2048
	ds_load_b128 v[117:120], v215 offset:3072
	s_ashr_i32 s5, s4, 31
	ds_load_b128 v[143:146], v215 offset:4096
	ds_load_b128 v[147:150], v215 offset:5120
	s_lshl_b64 s[6:7], s[4:5], 2
	ds_load_b128 v[151:154], v215 offset:6144
	ds_load_b128 v[155:158], v215 offset:7168
	s_add_u32 s18, s34, s6
	s_addc_u32 s19, s35, s7
	s_or_b32 s5, s29, 0x70
	ds_load_b128 v[159:162], v215 offset:8192
	ds_load_b128 v[163:166], v215 offset:9216
	s_ashr_i32 s6, s5, 4
	s_cmp_lt_i32 s5, s28
	s_clause 0x1
	global_load_b128 v[167:170], v[123:124], off offset:3072
	global_load_b128 v[171:174], v[123:124], off offset:3328
	s_cselect_b32 s8, s6, s16
	s_mov_b32 s4, 0
	s_ashr_i32 s9, s8, 31
	s_mov_b32 s5, s4
	s_lshl_b64 s[8:9], s[8:9], 2
	s_mov_b32 s6, s4
	s_add_u32 s20, s34, s8
	s_addc_u32 s21, s35, s9
	s_clause 0x1
	s_load_b32 s44, s[18:19], 0x0
	s_load_b32 s45, s[20:21], 0x0
	s_clause 0x3
	global_load_b128 v[175:178], v[121:122], off offset:3584
	global_load_b128 v[179:182], v[121:122], off offset:3840
	global_load_b128 v[183:186], v[123:124], off offset:3584
	global_load_b128 v[187:190], v[123:124], off offset:3840
	s_or_b32 s8, s29, 0x80
	s_mov_b32 s7, s4
	s_ashr_i32 s9, s8, 4
	s_cmp_lt_i32 s8, s28
	s_mov_b32 s8, s4
	s_cselect_b32 s10, s9, s16
	s_mov_b32 s9, s4
	s_ashr_i32 s11, s10, 31
	s_delay_alu instid0(SALU_CYCLE_1)
	s_lshl_b64 s[24:25], s[10:11], 2
	s_mov_b32 s10, s4
	s_add_u32 s24, s34, s24
	s_addc_u32 s25, s35, s25
	s_or_b32 s11, s29, 0x90
	s_load_b32 s46, s[24:25], 0x0
	s_ashr_i32 s26, s11, 4
	s_cmp_lt_i32 s11, s28
	s_mov_b32 s11, s4
	s_cselect_b32 s26, s26, s16
	v_mov_b32_e32 v136, s11
	s_ashr_i32 s27, s26, 31
	v_dual_mov_b32 v135, s10 :: v_dual_mov_b32 v134, s9
	v_dual_mov_b32 v133, s8 :: v_dual_mov_b32 v132, s7
	v_dual_mov_b32 v131, s6 :: v_dual_mov_b32 v130, s5
	v_mov_b32_e32 v129, s4
	s_lshl_b64 s[4:5], s[26:27], 2
	s_waitcnt lgkmcnt(0)
	s_mul_hi_i32 s7, s37, s17
	s_add_u32 s26, s34, s4
	s_addc_u32 s27, s35, s5
	s_or_b32 s4, s29, 0xa0
	s_load_b32 s39, s[26:27], 0x0
	s_ashr_i32 s5, s4, 4
	s_cmp_lt_i32 s4, s28
	s_cselect_b32 s4, s5, s16
	s_delay_alu instid0(SALU_CYCLE_1) | instskip(NEXT) | instid1(SALU_CYCLE_1)
	s_ashr_i32 s5, s4, 31
	s_lshl_b64 s[4:5], s[4:5], 2
	s_delay_alu instid0(SALU_CYCLE_1)
	s_add_u32 s40, s34, s4
	s_addc_u32 s41, s35, s5
	s_or_b32 s4, s29, 0xb0
	s_mul_hi_i32 s5, s38, s17
	s_ashr_i32 s6, s4, 4
	s_cmp_lt_i32 s4, s28
	s_mul_i32 s4, s38, s17
	s_load_b32 s38, s[40:41], 0x0
	s_cselect_b32 s8, s6, s16
	s_mul_i32 s6, s37, s17
	s_ashr_i32 s9, s8, 31
	s_mul_hi_i32 s27, s46, s17
	s_lshl_b64 s[10:11], s[8:9], 2
	s_mul_hi_i32 s9, s36, s17
	s_add_u32 s42, s34, s10
	s_addc_u32 s43, s35, s11
	s_or_b32 s10, s29, 0xc0
	s_mul_i32 s8, s36, s17
	s_ashr_i32 s36, s10, 4
	s_cmp_lt_i32 s10, s28
	s_mul_i32 s26, s46, s17
	s_cselect_b32 s36, s36, s16
	s_mul_hi_i32 s11, s13, s17
	s_ashr_i32 s37, s36, 31
	s_mul_i32 s10, s13, s17
	s_lshl_b64 s[36:37], s[36:37], 2
	s_mul_hi_i32 s13, s12, s17
	s_add_u32 s20, s34, s36
	s_addc_u32 s21, s35, s37
	s_or_b32 s18, s29, 0xd0
	s_mul_i32 s12, s12, s17
	s_ashr_i32 s19, s18, 4
	s_cmp_lt_i32 s18, s28
	s_mul_i32 s18, s15, s17
	s_cselect_b32 s24, s19, s16
	s_mul_hi_i32 s19, s15, s17
	s_ashr_i32 s25, s24, 31
	s_waitcnt lgkmcnt(0)
	s_mul_hi_i32 s41, s39, s17
	s_lshl_b64 s[24:25], s[24:25], 2
	s_delay_alu instid0(SALU_CYCLE_1)
	s_add_u32 s24, s34, s24
	s_addc_u32 s25, s35, s25
	s_or_b32 s40, s29, 0xe0
	s_clause 0x2
	s_load_b32 s37, s[42:43], 0x0
	s_load_b32 s36, s[20:21], 0x0
	;; [unrolled: 1-line block ×3, first 2 shown]
	s_ashr_i32 s47, s40, 4
	s_cmp_lt_i32 s40, s28
	s_mul_hi_i32 s21, s44, s17
	s_cselect_b32 s42, s47, s16
	s_mul_i32 s20, s44, s17
	s_ashr_i32 s43, s42, 31
	s_mul_hi_i32 s25, s45, s17
	s_lshl_b64 s[42:43], s[42:43], 2
	s_mul_i32 s24, s45, s17
	s_add_u32 s42, s34, s42
	s_addc_u32 s43, s35, s43
	s_or_b32 s44, s29, 0xf0
	s_mul_i32 s40, s39, s17
	s_ashr_i32 s46, s44, 4
	s_cmp_lt_i32 s44, s28
	s_mul_hi_i32 s39, s38, s17
	s_cselect_b32 s46, s46, s16
	s_mul_i32 s38, s38, s17
	s_ashr_i32 s47, s46, 31
	s_waitcnt lgkmcnt(0)
	s_mul_hi_i32 s49, s15, s17
	s_lshl_b64 s[46:47], s[46:47], 2
	s_mul_i32 s48, s15, s17
	s_add_u32 s34, s34, s46
	s_addc_u32 s35, s35, s47
	s_add_u32 s15, s22, s2
	s_addc_u32 s16, s23, s3
	v_add_co_u32 v216, s15, s15, v125
	s_delay_alu instid0(VALU_DEP_1) | instskip(SKIP_2) | instid1(VALU_DEP_2)
	v_add_co_ci_u32_e64 v217, null, s16, 0, s15
	s_lshl_b64 s[2:3], s[4:5], 1
	s_lshl_b64 s[4:5], s[6:7], 1
	v_add_co_u32 v125, vcc_lo, v216, s2
	s_delay_alu instid0(VALU_DEP_2)
	v_add_co_ci_u32_e32 v126, vcc_lo, s3, v217, vcc_lo
	v_add_co_u32 v199, vcc_lo, v216, s4
	s_lshl_b64 s[6:7], s[8:9], 1
	v_add_co_ci_u32_e32 v200, vcc_lo, s5, v217, vcc_lo
	s_lshl_b64 s[8:9], s[10:11], 1
	s_lshl_b64 s[10:11], s[12:13], 1
	s_lshl_b64 s[12:13], s[18:19], 1
	s_lshl_b64 s[18:19], s[20:21], 1
	s_lshl_b64 s[20:21], s[24:25], 1
	s_lshl_b64 s[22:23], s[26:27], 1
	s_lshl_b64 s[24:25], s[40:41], 1
	s_lshl_b64 s[26:27], s[38:39], 1
	s_mul_hi_i32 s45, s37, s17
	s_mul_i32 s44, s37, s17
	s_mul_hi_i32 s37, s36, s17
	s_lshl_b64 s[38:39], s[44:45], 1
	s_mul_i32 s36, s36, s17
	s_clause 0x1
	s_load_b32 s15, s[42:43], 0x0
	s_load_b32 s16, s[34:35], 0x0
	s_lshl_b64 s[36:37], s[36:37], 1
	s_lshl_b64 s[40:41], s[48:49], 1
	s_waitcnt lgkmcnt(0)
	s_mul_hi_i32 s3, s15, s17
	s_mul_i32 s2, s15, s17
	s_mul_hi_i32 s5, s16, s17
	s_lshl_b64 s[2:3], s[2:3], 1
	s_mul_i32 s4, s16, s17
	s_waitcnt vmcnt(30)
	v_wmma_f32_16x16x16_bf16 v[191:198], v[89:96], v[105:112], v[129:136]
	v_add_co_u32 v89, vcc_lo, v216, s6
	v_add_co_ci_u32_e32 v90, vcc_lo, s7, v217, vcc_lo
	v_add_co_u32 v91, vcc_lo, v216, s8
	v_add_co_ci_u32_e32 v92, vcc_lo, s9, v217, vcc_lo
	;; [unrolled: 2-line block ×5, first 2 shown]
	v_add_co_u32 v205, vcc_lo, v216, s20
	s_waitcnt vmcnt(28)
	v_wmma_f32_16x16x16_bf16 v[129:136], v[97:104], v[105:112], v[129:136]
	v_add_co_ci_u32_e32 v206, vcc_lo, s21, v217, vcc_lo
	v_add_co_u32 v207, vcc_lo, v216, s22
	v_add_co_ci_u32_e32 v208, vcc_lo, s23, v217, vcc_lo
	v_add_co_u32 v209, vcc_lo, v216, s24
	s_waitcnt vmcnt(26)
	v_wmma_f32_16x16x16_bf16 v[191:198], v[81:88], v[113:120], v[191:198]
	s_waitcnt vmcnt(24)
	v_wmma_f32_16x16x16_bf16 v[129:136], v[73:80], v[113:120], v[129:136]
	v_add_co_ci_u32_e32 v210, vcc_lo, s25, v217, vcc_lo
	v_add_co_u32 v211, vcc_lo, v216, s26
	v_add_co_ci_u32_e32 v212, vcc_lo, s27, v217, vcc_lo
	v_add_co_u32 v213, vcc_lo, v216, s38
	s_waitcnt vmcnt(22)
	v_wmma_f32_16x16x16_bf16 v[191:198], v[65:72], v[143:150], v[191:198]
	s_waitcnt vmcnt(20)
	v_wmma_f32_16x16x16_bf16 v[129:136], v[57:64], v[143:150], v[129:136]
	v_add_co_ci_u32_e32 v214, vcc_lo, s39, v217, vcc_lo
	v_add_co_u32 v143, vcc_lo, v216, s36
	s_waitcnt vmcnt(18)
	v_wmma_f32_16x16x16_bf16 v[191:198], v[49:56], v[151:158], v[191:198]
	s_waitcnt vmcnt(16)
	v_wmma_f32_16x16x16_bf16 v[129:136], v[41:48], v[151:158], v[129:136]
	v_add_co_ci_u32_e32 v144, vcc_lo, s37, v217, vcc_lo
	s_clause 0x15
	global_load_b128 v[121:124], v[125:126], off
	global_load_b128 v[125:128], v[125:126], off offset:16
	global_load_b128 v[113:116], v[199:200], off
	global_load_b128 v[117:120], v[199:200], off offset:16
	;; [unrolled: 2-line block ×11, first 2 shown]
	s_waitcnt vmcnt(36)
	v_wmma_f32_16x16x16_bf16 v[191:198], v[17:24], v[159:166], v[191:198]
	s_clause 0x1
	global_load_b128 v[17:20], v[213:214], off
	global_load_b128 v[21:24], v[213:214], off offset:16
	s_waitcnt vmcnt(36)
	v_wmma_f32_16x16x16_bf16 v[129:136], v[1:8], v[159:166], v[129:136]
	s_clause 0x1
	global_load_b128 v[1:4], v[143:144], off
	global_load_b128 v[5:8], v[143:144], off offset:16
	ds_load_b128 v[143:146], v215 offset:10240
	ds_load_b128 v[147:150], v215 offset:11264
	;; [unrolled: 1-line block ×4, first 2 shown]
	v_add_co_u32 v199, vcc_lo, v216, s40
	v_add_co_ci_u32_e32 v200, vcc_lo, s41, v217, vcc_lo
	v_add_co_u32 v159, vcc_lo, v216, s2
	v_add_co_ci_u32_e32 v160, vcc_lo, s3, v217, vcc_lo
	s_lshl_b64 s[2:3], s[4:5], 1
	s_delay_alu instid0(SALU_CYCLE_1)
	v_add_co_u32 v161, vcc_lo, v216, s2
	v_add_co_ci_u32_e32 v162, vcc_lo, s3, v217, vcc_lo
	s_waitcnt vmcnt(36) lgkmcnt(2)
	v_wmma_f32_16x16x16_bf16 v[191:198], v[33:40], v[143:150], v[191:198]
	s_waitcnt vmcnt(34)
	v_wmma_f32_16x16x16_bf16 v[129:136], v[25:32], v[143:150], v[129:136]
	s_clause 0x3
	global_load_b128 v[25:28], v[199:200], off
	global_load_b128 v[29:32], v[199:200], off offset:16
	global_load_b128 v[33:36], v[159:160], off
	global_load_b128 v[37:40], v[159:160], off offset:16
	v_and_b32_e32 v143, 0xe0, v0
	v_mbcnt_lo_u32_b32 v159, -1, 0
	s_waitcnt vmcnt(36) lgkmcnt(0)
	v_wmma_f32_16x16x16_bf16 v[191:198], v[9:16], v[151:158], v[191:198]
	s_clause 0x1
	global_load_b128 v[9:12], v[161:162], off
	global_load_b128 v[13:16], v[161:162], off offset:16
	s_waitcnt vmcnt(36)
	v_wmma_f32_16x16x16_bf16 v[129:136], v[167:174], v[151:158], v[129:136]
	v_add_nc_u32_e32 v160, s29, v143
	ds_load_b128 v[143:146], v215 offset:14336
	ds_load_b128 v[147:150], v215 offset:15360
	v_xor_b32_e32 v151, 16, v159
	s_waitcnt vmcnt(0) lgkmcnt(0)
	s_barrier
	v_or_b32_e32 v152, v160, v138
	buffer_gl0_inv
	v_cmp_gt_i32_e32 vcc_lo, 32, v151
	v_or_b32_e32 v153, 2, v152
	v_or_b32_e32 v154, 4, v152
	;; [unrolled: 1-line block ×5, first 2 shown]
	v_cmp_gt_i32_e64 s2, s28, v153
	v_cmp_gt_i32_e64 s3, s28, v154
	;; [unrolled: 1-line block ×3, first 2 shown]
	v_or_b32_e32 v158, 12, v152
	v_cmp_gt_i32_e64 s5, s28, v156
	v_cmp_gt_i32_e64 s6, s28, v157
	v_wmma_f32_16x16x16_bf16 v[191:198], v[175:182], v[143:150], v[191:198]
	v_wmma_f32_16x16x16_bf16 v[129:136], v[183:190], v[143:150], v[129:136]
	v_cndmask_b32_e32 v151, v159, v151, vcc_lo
	v_cmp_gt_i32_e32 vcc_lo, s28, v152
	v_or_b32_e32 v159, 14, v152
	v_dual_mul_f32 v149, s33, v192 :: v_dual_mul_f32 v150, s33, v191
	v_dual_mul_f32 v147, s33, v194 :: v_dual_mul_f32 v148, s33, v193
	;; [unrolled: 1-line block ×3, first 2 shown]
	s_delay_alu instid0(VALU_DEP_3) | instskip(NEXT) | instid1(VALU_DEP_4)
	v_cndmask_b32_e32 v150, 0xff7fffff, v150, vcc_lo
	v_cndmask_b32_e64 v149, 0xff7fffff, v149, s2
	v_mul_f32_e32 v146, s33, v195
	v_cndmask_b32_e64 v148, 0xff7fffff, v148, s3
	v_cndmask_b32_e64 v147, 0xff7fffff, v147, s4
	v_or_b32_e32 v160, 16, v152
	v_max3_f32 v149, v150, 0xff7fffff, v149
	v_or_b32_e32 v161, 18, v152
	v_dual_mul_f32 v143, s33, v198 :: v_dual_mul_f32 v144, s33, v197
	v_cndmask_b32_e64 v146, 0xff7fffff, v146, s5
	v_cndmask_b32_e64 v145, 0xff7fffff, v145, s6
	v_max3_f32 v147, v149, v148, v147
	v_cmp_gt_i32_e64 s7, s28, v158
	v_cmp_gt_i32_e64 s8, s28, v159
	v_or_b32_e32 v162, 20, v152
	v_or_b32_e32 v163, 22, v152
	v_mul_f32_e32 v175, s33, v129
	v_cndmask_b32_e64 v144, 0xff7fffff, v144, s7
	v_cndmask_b32_e64 v143, 0xff7fffff, v143, s8
	v_max3_f32 v145, v147, v146, v145
	v_cmp_gt_i32_e64 s9, s28, v160
	v_cmp_gt_i32_e64 s10, s28, v161
	v_or_b32_e32 v164, 24, v152
	v_or_b32_e32 v165, 26, v152
	v_dual_mul_f32 v172, s33, v132 :: v_dual_mul_f32 v173, s33, v131
	v_cndmask_b32_e64 v146, 0xff7fffff, v175, s9
	v_cndmask_b32_e64 v147, 0xff7fffff, v174, s10
	v_max3_f32 v143, v145, v144, v143
	v_cmp_gt_i32_e64 s11, s28, v162
	v_cmp_gt_i32_e64 s12, s28, v163
	v_or_b32_e32 v166, 28, v152
	v_or_b32_e32 v167, 30, v152
	v_dual_mul_f32 v170, s33, v134 :: v_dual_mul_f32 v171, s33, v133
	v_cndmask_b32_e64 v144, 0xff7fffff, v173, s11
	v_cndmask_b32_e64 v145, 0xff7fffff, v172, s12
	v_max3_f32 v143, v143, v146, v147
	v_cmp_gt_i32_e64 s13, s28, v164
	v_cmp_gt_i32_e64 s15, s28, v165
	v_dual_mul_f32 v168, s33, v136 :: v_dual_mul_f32 v169, s33, v135
	s_delay_alu instid0(VALU_DEP_4) | instskip(NEXT) | instid1(VALU_DEP_4)
	v_max3_f32 v143, v143, v144, v145
	v_cndmask_b32_e64 v146, 0xff7fffff, v171, s13
	s_delay_alu instid0(VALU_DEP_4) | instskip(SKIP_3) | instid1(VALU_DEP_4)
	v_cndmask_b32_e64 v147, 0xff7fffff, v170, s15
	v_cmp_gt_i32_e64 s16, s28, v166
	v_cmp_gt_i32_e64 s17, s28, v167
	v_lshlrev_b32_e32 v154, 2, v151
	v_max3_f32 v143, v143, v146, v147
	s_delay_alu instid0(VALU_DEP_4) | instskip(NEXT) | instid1(VALU_DEP_4)
	v_cndmask_b32_e64 v144, 0xff7fffff, v169, s16
	v_cndmask_b32_e64 v145, 0xff7fffff, v168, s17
	s_delay_alu instid0(VALU_DEP_1) | instskip(SKIP_3) | instid1(VALU_DEP_1)
	v_max3_f32 v143, v143, v144, v145
	ds_bpermute_b32 v144, v154, v143
	s_waitcnt lgkmcnt(0)
	v_max_f32_e32 v144, v144, v144
	v_max_f32_e32 v153, v143, v144
	s_delay_alu instid0(VALU_DEP_1) | instskip(SKIP_4) | instid1(VALU_DEP_4)
	v_fma_f32 v143, s33, v191, -v153
	v_fma_f32 v144, s33, v192, -v153
	;; [unrolled: 1-line block ×5, first 2 shown]
	v_dual_mul_f32 v143, 0x3fb8aa3b, v143 :: v_dual_mul_f32 v144, 0x3fb8aa3b, v144
	s_delay_alu instid0(VALU_DEP_4) | instskip(SKIP_2) | instid1(VALU_DEP_4)
	v_mul_f32_e32 v130, 0x3fb8aa3b, v130
	v_fma_f32 v132, s33, v132, -v153
	v_mul_f32_e32 v145, 0x3fb8aa3b, v145
	v_exp_f32_e32 v143, v143
	v_exp_f32_e32 v147, v144
	v_fma_f32 v148, s33, v195, -v153
	v_mul_f32_e32 v132, 0x3fb8aa3b, v132
	v_mul_f32_e32 v146, 0x3fb8aa3b, v146
	v_exp_f32_e32 v145, v145
	v_fma_f32 v151, s33, v197, -v153
	v_mul_f32_e32 v148, 0x3fb8aa3b, v148
	v_fma_f32 v134, s33, v134, -v153
	v_exp_f32_e32 v149, v146
	v_cndmask_b32_e32 v144, 0, v143, vcc_lo
	v_fma_f32 v143, s33, v196, -v153
	v_cndmask_b32_e64 v146, 0, v147, s2
	v_exp_f32_e32 v148, v148
	s_delay_alu instid0(VALU_DEP_3) | instskip(NEXT) | instid1(VALU_DEP_3)
	v_dual_mul_f32 v151, 0x3fb8aa3b, v151 :: v_dual_add_f32 v150, 0, v144
	v_dual_mul_f32 v143, 0x3fb8aa3b, v143 :: v_dual_mul_f32 v134, 0x3fb8aa3b, v134
	v_cndmask_b32_e64 v147, 0, v145, s3
	s_delay_alu instid0(TRANS32_DEP_2) | instskip(NEXT) | instid1(VALU_DEP_4)
	v_cndmask_b32_e64 v149, 0, v149, s4
	v_add_f32_e32 v145, v150, v146
	v_fma_f32 v150, s33, v198, -v153
	v_exp_f32_e32 v143, v143
	v_fma_f32 v129, s33, v129, -v153
	v_exp_f32_e32 v155, v151
	s_delay_alu instid0(VALU_DEP_2) | instskip(SKIP_1) | instid1(VALU_DEP_3)
	v_dual_add_f32 v145, v145, v147 :: v_dual_mul_f32 v152, 0x3fb8aa3b, v150
	v_cndmask_b32_e64 v150, 0, v148, s5
	v_mul_f32_e32 v129, 0x3fb8aa3b, v129
	v_fma_f32 v131, s33, v131, -v153
	s_delay_alu instid0(VALU_DEP_4) | instskip(SKIP_1) | instid1(TRANS32_DEP_3)
	v_add_f32_e32 v145, v145, v149
	v_exp_f32_e32 v152, v152
	v_cndmask_b32_e64 v151, 0, v143, s6
	v_exp_f32_e32 v129, v129
	s_delay_alu instid0(TRANS32_DEP_3)
	v_cndmask_b32_e64 v148, 0, v155, s7
	v_add_f32_e32 v143, v145, v150
	v_mul_f32_e32 v131, 0x3fb8aa3b, v131
	v_exp_f32_e32 v130, v130
	v_fma_f32 v133, s33, v133, -v153
	v_fma_f32 v136, s33, v136, -v153
	v_add_f32_e32 v143, v143, v151
	v_cndmask_b32_e64 v152, 0, v152, s8
	v_exp_f32_e32 v145, v131
	v_cndmask_b32_e64 v131, 0, v129, s9
	v_mul_f32_e32 v133, 0x3fb8aa3b, v133
	v_add_f32_e32 v143, v143, v148
	v_cmp_gt_u32_e64 s2, 16, v142
	s_delay_alu instid0(VALU_DEP_2)
	v_add_f32_e32 v129, v143, v152
	v_exp_f32_e32 v143, v132
	v_cndmask_b32_e64 v132, 0, v130, s10
	v_fma_f32 v130, s33, v135, -v153
	v_exp_f32_e32 v135, v133
	v_add_f32_e32 v129, v129, v131
	v_cndmask_b32_e64 v133, 0, v145, s11
	v_exp_f32_e32 v145, v134
	s_delay_alu instid0(VALU_DEP_2) | instskip(NEXT) | instid1(TRANS32_DEP_3)
	v_dual_mul_f32 v130, 0x3fb8aa3b, v130 :: v_dual_add_f32 v129, v129, v132
	v_cndmask_b32_e64 v134, 0, v143, s12
	v_mul_f32_e32 v143, 0x3fb8aa3b, v136
	s_delay_alu instid0(VALU_DEP_3) | instskip(NEXT) | instid1(TRANS32_DEP_3)
	v_exp_f32_e32 v130, v130
	v_cndmask_b32_e64 v135, 0, v135, s13
	v_add_f32_e32 v129, v129, v133
	s_delay_alu instid0(TRANS32_DEP_2) | instskip(SKIP_1) | instid1(VALU_DEP_2)
	v_cndmask_b32_e64 v136, 0, v145, s15
	v_exp_f32_e32 v145, v143
	v_add_f32_e32 v129, v129, v134
	s_waitcnt_depctr 0xfff
	v_cndmask_b32_e64 v143, 0, v130, s16
	v_add_f32_e32 v129, v129, v135
	v_cndmask_b32_e64 v145, 0, v145, s17
	s_delay_alu instid0(VALU_DEP_2) | instskip(NEXT) | instid1(VALU_DEP_1)
	v_add_f32_e32 v129, v129, v136
	v_add_f32_e32 v129, v129, v143
	s_delay_alu instid0(VALU_DEP_1)
	v_add_f32_e32 v129, v129, v145
	ds_bpermute_b32 v130, v154, v129
	s_and_saveexec_b32 s3, s2
	s_cbranch_execz .LBB640_12
; %bb.11:
	v_mul_u32_u24_e32 v142, 0x44, v141
	s_waitcnt lgkmcnt(0)
	v_add_f32_e32 v129, v129, v130
	s_delay_alu instid0(VALU_DEP_2) | instskip(NEXT) | instid1(VALU_DEP_1)
	v_lshl_add_u32 v142, v140, 2, v142
	v_add_nc_u32_e32 v130, 0x4000, v142
	ds_store_2addr_b32 v130, v153, v129 offset1:136
.LBB640_12:
	s_or_b32 exec_lo, exec_lo, s3
	v_lshlrev_b32_e32 v129, 2, v140
	s_waitcnt lgkmcnt(0)
	s_barrier
	buffer_gl0_inv
	v_cmp_eq_u32_e64 s3, 1, v141
	v_add_nc_u32_e32 v142, 0x4000, v129
	ds_load_2addr_b32 v[153:154], v142 offset1:17
	ds_load_2addr_b32 v[155:156], v142 offset0:34 offset1:51
	ds_load_2addr_b32 v[157:158], v142 offset0:68 offset1:85
	;; [unrolled: 1-line block ×4, first 2 shown]
	s_waitcnt lgkmcnt(4)
	v_max3_f32 v129, v153, 0xff7fffff, v154
	s_waitcnt lgkmcnt(3)
	s_delay_alu instid0(VALU_DEP_1) | instskip(SKIP_1) | instid1(VALU_DEP_1)
	v_max3_f32 v129, v129, v155, v156
	s_waitcnt lgkmcnt(2)
	v_max3_f32 v129, v129, v157, v158
	s_waitcnt lgkmcnt(1)
	s_delay_alu instid0(VALU_DEP_1) | instskip(NEXT) | instid1(VALU_DEP_1)
	v_max3_f32 v129, v129, v159, v160
	v_sub_f32_e32 v163, v154, v129
	v_sub_f32_e32 v130, v153, v129
	ds_load_2addr_b32 v[153:154], v142 offset0:170 offset1:187
	v_sub_f32_e32 v155, v155, v129
	v_dual_mul_f32 v163, 0x3fb8aa3b, v163 :: v_dual_mul_f32 v130, 0x3fb8aa3b, v130
	s_delay_alu instid0(VALU_DEP_2) | instskip(NEXT) | instid1(VALU_DEP_2)
	v_mul_f32_e32 v165, 0x3fb8aa3b, v155
	v_exp_f32_e32 v163, v163
	s_delay_alu instid0(VALU_DEP_2)
	v_exp_f32_e32 v164, v130
	v_sub_f32_e32 v130, v156, v129
	ds_load_2addr_b32 v[155:156], v142 offset0:204 offset1:221
	v_exp_f32_e32 v165, v165
	v_mul_f32_e32 v166, 0x3fb8aa3b, v130
	s_waitcnt lgkmcnt(2)
	v_fma_f32 v130, v164, v161, 0
	v_sub_f32_e32 v157, v157, v129
	s_delay_alu instid0(VALU_DEP_3) | instskip(NEXT) | instid1(VALU_DEP_2)
	v_exp_f32_e32 v166, v166
	v_dual_sub_f32 v161, v158, v129 :: v_dual_fmac_f32 v130, v163, v162
	s_waitcnt lgkmcnt(1)
	s_waitcnt_depctr 0xfff
	v_fmac_f32_e32 v130, v165, v153
	v_mul_f32_e32 v167, 0x3fb8aa3b, v157
	ds_load_2addr_b32 v[157:158], v142 offset0:238 offset1:255
	v_sub_f32_e32 v142, v159, v129
	v_dual_sub_f32 v153, v160, v129 :: v_dual_fmac_f32 v130, v166, v154
	v_mul_f32_e32 v159, 0x3fb8aa3b, v161
	v_exp_f32_e32 v161, v167
	s_delay_alu instid0(VALU_DEP_2)
	v_dual_mul_f32 v142, 0x3fb8aa3b, v142 :: v_dual_mul_f32 v153, 0x3fb8aa3b, v153
	s_waitcnt lgkmcnt(0)
	s_barrier
	buffer_gl0_inv
	v_exp_f32_e32 v142, v142
	v_exp_f32_e32 v153, v153
	v_fmac_f32_e32 v130, v161, v155
	v_exp_f32_e32 v159, v159
	s_waitcnt_depctr 0xfff
	v_fmac_f32_e32 v130, v159, v156
	s_delay_alu instid0(VALU_DEP_1) | instskip(NEXT) | instid1(VALU_DEP_1)
	v_fmac_f32_e32 v130, v142, v157
	v_fmac_f32_e32 v130, v153, v158
	s_delay_alu instid0(VALU_DEP_1) | instskip(NEXT) | instid1(VALU_DEP_1)
	v_add_f32_e32 v154, 0x358637bd, v130
	v_div_scale_f32 v155, null, v154, v154, 1.0
	v_div_scale_f32 v158, vcc_lo, 1.0, v154, 1.0
	s_delay_alu instid0(VALU_DEP_2) | instskip(SKIP_2) | instid1(VALU_DEP_1)
	v_rcp_f32_e32 v156, v155
	s_waitcnt_depctr 0xfff
	v_fma_f32 v157, -v155, v156, 1.0
	v_fmac_f32_e32 v156, v157, v156
	v_cndmask_b32_e64 v157, v164, v163, s3
	v_cmp_eq_u32_e64 s3, 2, v141
	s_delay_alu instid0(VALU_DEP_3) | instskip(NEXT) | instid1(VALU_DEP_2)
	v_mul_f32_e32 v160, v158, v156
	v_cndmask_b32_e64 v157, v157, v165, s3
	v_cmp_eq_u32_e64 s3, 3, v141
	s_delay_alu instid0(VALU_DEP_3) | instskip(NEXT) | instid1(VALU_DEP_2)
	v_fma_f32 v162, -v155, v160, v158
	v_cndmask_b32_e64 v157, v157, v166, s3
	v_cmp_eq_u32_e64 s3, 4, v141
	s_delay_alu instid0(VALU_DEP_3) | instskip(NEXT) | instid1(VALU_DEP_2)
	v_fmac_f32_e32 v160, v162, v156
	v_cndmask_b32_e64 v157, v157, v161, s3
	s_delay_alu instid0(VALU_DEP_2) | instskip(SKIP_1) | instid1(VALU_DEP_2)
	v_fma_f32 v155, -v155, v160, v158
	v_cmp_eq_u32_e64 s3, 5, v141
	v_div_fmas_f32 v155, v155, v156, v160
	s_delay_alu instid0(VALU_DEP_2) | instskip(SKIP_2) | instid1(VALU_DEP_3)
	v_cndmask_b32_e64 v157, v157, v159, s3
	v_cmp_eq_u32_e32 vcc_lo, 6, v141
	s_mov_b32 s3, exec_lo
	v_div_fixup_f32 v154, v155, v154, 1.0
	s_delay_alu instid0(VALU_DEP_3) | instskip(SKIP_1) | instid1(VALU_DEP_2)
	v_cndmask_b32_e32 v142, v157, v142, vcc_lo
	v_cmp_eq_u32_e32 vcc_lo, 7, v141
	v_cndmask_b32_e32 v142, v142, v153, vcc_lo
	s_delay_alu instid0(VALU_DEP_1) | instskip(NEXT) | instid1(VALU_DEP_1)
	v_mul_f32_e32 v142, v142, v154
	v_mul_f32_e32 v153, v142, v149
	;; [unrolled: 1-line block ×7, first 2 shown]
	v_dual_mul_f32 v150, v142, v147 :: v_dual_and_b32 v155, 0x7f800000, v154
	v_mul_f32_e32 v149, v142, v146
                                        ; implicit-def: $vgpr146
	s_delay_alu instid0(VALU_DEP_2)
	v_cmpx_ne_u32_e32 0x7f800000, v155
	s_xor_b32 s3, exec_lo, s3
; %bb.13:
	v_bfe_u32 v146, v154, 16, 1
	s_delay_alu instid0(VALU_DEP_1)
	v_add3_u32 v146, v154, v146, 0x7fff
                                        ; implicit-def: $vgpr154
; %bb.14:
	s_and_not1_saveexec_b32 s3, s3
; %bb.15:
	v_and_b32_e32 v146, 0xffff, v154
	v_or_b32_e32 v147, 0x10000, v154
	s_delay_alu instid0(VALU_DEP_2) | instskip(NEXT) | instid1(VALU_DEP_2)
	v_cmp_eq_u32_e32 vcc_lo, 0, v146
	v_cndmask_b32_e32 v146, v147, v154, vcc_lo
; %bb.16:
	s_or_b32 exec_lo, exec_lo, s3
	v_and_b32_e32 v147, 0x7f800000, v149
	s_delay_alu instid0(VALU_DEP_1) | instskip(SKIP_1) | instid1(SALU_CYCLE_1)
	v_cmp_ne_u32_e32 vcc_lo, 0x7f800000, v147
                                        ; implicit-def: $vgpr147
	s_and_saveexec_b32 s3, vcc_lo
	s_xor_b32 s3, exec_lo, s3
; %bb.17:
	v_bfe_u32 v147, v149, 16, 1
	s_delay_alu instid0(VALU_DEP_1)
	v_add3_u32 v147, v149, v147, 0x7fff
                                        ; implicit-def: $vgpr149
; %bb.18:
	s_and_not1_saveexec_b32 s3, s3
; %bb.19:
	v_and_b32_e32 v147, 0xffff, v149
	v_or_b32_e32 v154, 0x10000, v149
	s_delay_alu instid0(VALU_DEP_2) | instskip(NEXT) | instid1(VALU_DEP_2)
	v_cmp_eq_u32_e32 vcc_lo, 0, v147
	v_cndmask_b32_e32 v147, v154, v149, vcc_lo
; %bb.20:
	s_or_b32 exec_lo, exec_lo, s3
	v_and_b32_e32 v149, 0x7f800000, v150
	s_delay_alu instid0(VALU_DEP_1) | instskip(SKIP_1) | instid1(SALU_CYCLE_1)
	v_cmp_ne_u32_e32 vcc_lo, 0x7f800000, v149
                                        ; implicit-def: $vgpr149
	s_and_saveexec_b32 s3, vcc_lo
	s_xor_b32 s3, exec_lo, s3
; %bb.21:
	v_bfe_u32 v149, v150, 16, 1
	s_delay_alu instid0(VALU_DEP_1)
	v_add3_u32 v149, v150, v149, 0x7fff
                                        ; implicit-def: $vgpr150
; %bb.22:
	s_and_not1_saveexec_b32 s3, s3
; %bb.23:
	v_and_b32_e32 v149, 0xffff, v150
	v_or_b32_e32 v154, 0x10000, v150
	s_delay_alu instid0(VALU_DEP_2) | instskip(NEXT) | instid1(VALU_DEP_2)
	v_cmp_eq_u32_e32 vcc_lo, 0, v149
	v_cndmask_b32_e32 v149, v154, v150, vcc_lo
; %bb.24:
	s_or_b32 exec_lo, exec_lo, s3
	v_and_b32_e32 v150, 0x7f800000, v153
	s_delay_alu instid0(VALU_DEP_1) | instskip(SKIP_1) | instid1(SALU_CYCLE_1)
	v_cmp_ne_u32_e32 vcc_lo, 0x7f800000, v150
                                        ; implicit-def: $vgpr150
	s_and_saveexec_b32 s3, vcc_lo
	s_xor_b32 s3, exec_lo, s3
; %bb.25:
	v_bfe_u32 v150, v153, 16, 1
	s_delay_alu instid0(VALU_DEP_1)
	v_add3_u32 v150, v153, v150, 0x7fff
                                        ; implicit-def: $vgpr153
; %bb.26:
	s_and_not1_saveexec_b32 s3, s3
; %bb.27:
	v_and_b32_e32 v150, 0xffff, v153
	v_or_b32_e32 v154, 0x10000, v153
	s_delay_alu instid0(VALU_DEP_2) | instskip(NEXT) | instid1(VALU_DEP_2)
	v_cmp_eq_u32_e32 vcc_lo, 0, v150
	v_cndmask_b32_e32 v150, v154, v153, vcc_lo
; %bb.28:
	s_or_b32 exec_lo, exec_lo, s3
	v_and_b32_e32 v153, 0x7f800000, v152
	s_delay_alu instid0(VALU_DEP_1) | instskip(SKIP_1) | instid1(SALU_CYCLE_1)
	v_cmp_ne_u32_e32 vcc_lo, 0x7f800000, v153
                                        ; implicit-def: $vgpr153
	s_and_saveexec_b32 s3, vcc_lo
	s_xor_b32 s3, exec_lo, s3
; %bb.29:
	v_bfe_u32 v153, v152, 16, 1
	s_delay_alu instid0(VALU_DEP_1)
	v_add3_u32 v153, v152, v153, 0x7fff
                                        ; implicit-def: $vgpr152
; %bb.30:
	s_and_not1_saveexec_b32 s3, s3
; %bb.31:
	v_and_b32_e32 v153, 0xffff, v152
	v_or_b32_e32 v154, 0x10000, v152
	s_delay_alu instid0(VALU_DEP_2) | instskip(NEXT) | instid1(VALU_DEP_2)
	v_cmp_eq_u32_e32 vcc_lo, 0, v153
	v_cndmask_b32_e32 v153, v154, v152, vcc_lo
; %bb.32:
	s_or_b32 exec_lo, exec_lo, s3
	v_and_b32_e32 v152, 0x7f800000, v151
	s_delay_alu instid0(VALU_DEP_1) | instskip(SKIP_1) | instid1(SALU_CYCLE_1)
	v_cmp_ne_u32_e32 vcc_lo, 0x7f800000, v152
                                        ; implicit-def: $vgpr152
	s_and_saveexec_b32 s3, vcc_lo
	s_xor_b32 s3, exec_lo, s3
; %bb.33:
	v_bfe_u32 v152, v151, 16, 1
	s_delay_alu instid0(VALU_DEP_1)
	v_add3_u32 v152, v151, v152, 0x7fff
                                        ; implicit-def: $vgpr151
; %bb.34:
	s_and_not1_saveexec_b32 s3, s3
; %bb.35:
	v_and_b32_e32 v152, 0xffff, v151
	v_or_b32_e32 v154, 0x10000, v151
	s_delay_alu instid0(VALU_DEP_2) | instskip(NEXT) | instid1(VALU_DEP_2)
	v_cmp_eq_u32_e32 vcc_lo, 0, v152
	v_cndmask_b32_e32 v152, v154, v151, vcc_lo
; %bb.36:
	s_or_b32 exec_lo, exec_lo, s3
	v_and_b32_e32 v151, 0x7f800000, v148
	s_delay_alu instid0(VALU_DEP_1) | instskip(SKIP_1) | instid1(SALU_CYCLE_1)
	v_cmp_ne_u32_e32 vcc_lo, 0x7f800000, v151
                                        ; implicit-def: $vgpr151
	s_and_saveexec_b32 s3, vcc_lo
	s_xor_b32 s3, exec_lo, s3
; %bb.37:
	v_bfe_u32 v151, v148, 16, 1
	s_delay_alu instid0(VALU_DEP_1)
	v_add3_u32 v151, v148, v151, 0x7fff
                                        ; implicit-def: $vgpr148
; %bb.38:
	s_and_not1_saveexec_b32 s3, s3
; %bb.39:
	v_and_b32_e32 v151, 0xffff, v148
	v_or_b32_e32 v154, 0x10000, v148
	s_delay_alu instid0(VALU_DEP_2) | instskip(NEXT) | instid1(VALU_DEP_2)
	v_cmp_eq_u32_e32 vcc_lo, 0, v151
	v_cndmask_b32_e32 v151, v154, v148, vcc_lo
; %bb.40:
	s_or_b32 exec_lo, exec_lo, s3
	v_and_b32_e32 v148, 0x7f800000, v144
	s_delay_alu instid0(VALU_DEP_1) | instskip(SKIP_1) | instid1(SALU_CYCLE_1)
	v_cmp_ne_u32_e32 vcc_lo, 0x7f800000, v148
                                        ; implicit-def: $vgpr148
	s_and_saveexec_b32 s3, vcc_lo
	s_xor_b32 s3, exec_lo, s3
; %bb.41:
	v_bfe_u32 v148, v144, 16, 1
	s_delay_alu instid0(VALU_DEP_1)
	v_add3_u32 v148, v144, v148, 0x7fff
                                        ; implicit-def: $vgpr144
; %bb.42:
	s_and_not1_saveexec_b32 s3, s3
; %bb.43:
	v_and_b32_e32 v148, 0xffff, v144
	v_or_b32_e32 v154, 0x10000, v144
	s_delay_alu instid0(VALU_DEP_2) | instskip(NEXT) | instid1(VALU_DEP_2)
	v_cmp_eq_u32_e32 vcc_lo, 0, v148
	v_cndmask_b32_e32 v148, v154, v144, vcc_lo
; %bb.44:
	s_or_b32 exec_lo, exec_lo, s3
	s_load_b64 s[34:35], s[0:1], 0x94
	v_lshlrev_b32_e32 v155, 4, v138
	s_delay_alu instid0(VALU_DEP_2)
	v_perm_b32 v154, v148, v151, 0x7060302
	v_mul_f32_e32 v148, v142, v131
	v_dual_mul_f32 v145, v142, v145 :: v_dual_lshlrev_b32 v144, 6, v140
	v_dual_mul_f32 v143, v142, v143 :: v_dual_lshlrev_b32 v156, 11, v141
	v_perm_b32 v153, v152, v153, 0x7060302
	v_perm_b32 v152, v150, v149, 0x7060302
	;; [unrolled: 1-line block ×3, first 2 shown]
	s_delay_alu instid0(VALU_DEP_4)
	v_or3_b32 v131, v155, v156, v144
	v_mul_f32_e32 v136, v142, v136
	v_dual_mul_f32 v146, v142, v134 :: v_dual_and_b32 v149, 0x7f800000, v148
	v_mul_f32_e32 v135, v142, v135
	v_mul_f32_e32 v147, v142, v133
	v_mul_f32_e32 v134, v142, v132
	s_mov_b32 s3, exec_lo
	ds_store_b128 v131, v[151:154]
                                        ; implicit-def: $vgpr132
	v_cmpx_ne_u32_e32 0x7f800000, v149
	s_xor_b32 s3, exec_lo, s3
; %bb.45:
	v_bfe_u32 v132, v148, 16, 1
	s_delay_alu instid0(VALU_DEP_1)
	v_add3_u32 v132, v148, v132, 0x7fff
                                        ; implicit-def: $vgpr148
; %bb.46:
	s_and_not1_saveexec_b32 s3, s3
; %bb.47:
	v_and_b32_e32 v132, 0xffff, v148
	v_or_b32_e32 v133, 0x10000, v148
	s_delay_alu instid0(VALU_DEP_2) | instskip(NEXT) | instid1(VALU_DEP_2)
	v_cmp_eq_u32_e32 vcc_lo, 0, v132
	v_cndmask_b32_e32 v132, v133, v148, vcc_lo
; %bb.48:
	s_or_b32 exec_lo, exec_lo, s3
	v_and_b32_e32 v133, 0x7f800000, v134
	s_delay_alu instid0(VALU_DEP_1) | instskip(SKIP_1) | instid1(SALU_CYCLE_1)
	v_cmp_ne_u32_e32 vcc_lo, 0x7f800000, v133
                                        ; implicit-def: $vgpr133
	s_and_saveexec_b32 s3, vcc_lo
	s_xor_b32 s3, exec_lo, s3
; %bb.49:
	v_bfe_u32 v133, v134, 16, 1
	s_delay_alu instid0(VALU_DEP_1)
	v_add3_u32 v133, v134, v133, 0x7fff
                                        ; implicit-def: $vgpr134
; %bb.50:
	s_and_not1_saveexec_b32 s3, s3
; %bb.51:
	v_and_b32_e32 v133, 0xffff, v134
	v_or_b32_e32 v142, 0x10000, v134
	s_delay_alu instid0(VALU_DEP_2) | instskip(NEXT) | instid1(VALU_DEP_2)
	v_cmp_eq_u32_e32 vcc_lo, 0, v133
	v_cndmask_b32_e32 v133, v142, v134, vcc_lo
; %bb.52:
	s_or_b32 exec_lo, exec_lo, s3
	v_and_b32_e32 v134, 0x7f800000, v147
	s_delay_alu instid0(VALU_DEP_1) | instskip(SKIP_1) | instid1(SALU_CYCLE_1)
	v_cmp_ne_u32_e32 vcc_lo, 0x7f800000, v134
                                        ; implicit-def: $vgpr134
	s_and_saveexec_b32 s3, vcc_lo
	s_xor_b32 s3, exec_lo, s3
; %bb.53:
	v_bfe_u32 v134, v147, 16, 1
	s_delay_alu instid0(VALU_DEP_1)
	v_add3_u32 v134, v147, v134, 0x7fff
                                        ; implicit-def: $vgpr147
; %bb.54:
	s_and_not1_saveexec_b32 s3, s3
; %bb.55:
	v_and_b32_e32 v134, 0xffff, v147
	v_or_b32_e32 v142, 0x10000, v147
	s_delay_alu instid0(VALU_DEP_2) | instskip(NEXT) | instid1(VALU_DEP_2)
	v_cmp_eq_u32_e32 vcc_lo, 0, v134
	v_cndmask_b32_e32 v134, v142, v147, vcc_lo
; %bb.56:
	s_or_b32 exec_lo, exec_lo, s3
	v_and_b32_e32 v142, 0x7f800000, v146
	s_delay_alu instid0(VALU_DEP_1) | instskip(SKIP_1) | instid1(SALU_CYCLE_1)
	v_cmp_ne_u32_e32 vcc_lo, 0x7f800000, v142
                                        ; implicit-def: $vgpr142
	s_and_saveexec_b32 s3, vcc_lo
	s_xor_b32 s3, exec_lo, s3
; %bb.57:
	v_bfe_u32 v142, v146, 16, 1
	s_delay_alu instid0(VALU_DEP_1)
	v_add3_u32 v142, v146, v142, 0x7fff
                                        ; implicit-def: $vgpr146
; %bb.58:
	s_and_not1_saveexec_b32 s3, s3
; %bb.59:
	v_and_b32_e32 v142, 0xffff, v146
	v_or_b32_e32 v147, 0x10000, v146
	s_delay_alu instid0(VALU_DEP_2) | instskip(NEXT) | instid1(VALU_DEP_2)
	v_cmp_eq_u32_e32 vcc_lo, 0, v142
	v_cndmask_b32_e32 v142, v147, v146, vcc_lo
; %bb.60:
	s_or_b32 exec_lo, exec_lo, s3
	v_and_b32_e32 v146, 0x7f800000, v135
	s_delay_alu instid0(VALU_DEP_1) | instskip(SKIP_1) | instid1(SALU_CYCLE_1)
	v_cmp_ne_u32_e32 vcc_lo, 0x7f800000, v146
                                        ; implicit-def: $vgpr146
	s_and_saveexec_b32 s3, vcc_lo
	s_xor_b32 s3, exec_lo, s3
; %bb.61:
	v_bfe_u32 v146, v135, 16, 1
	s_delay_alu instid0(VALU_DEP_1)
	v_add3_u32 v146, v135, v146, 0x7fff
                                        ; implicit-def: $vgpr135
; %bb.62:
	s_and_not1_saveexec_b32 s3, s3
; %bb.63:
	v_and_b32_e32 v146, 0xffff, v135
	v_or_b32_e32 v147, 0x10000, v135
	s_delay_alu instid0(VALU_DEP_2) | instskip(NEXT) | instid1(VALU_DEP_2)
	v_cmp_eq_u32_e32 vcc_lo, 0, v146
	v_cndmask_b32_e32 v146, v147, v135, vcc_lo
; %bb.64:
	s_or_b32 exec_lo, exec_lo, s3
	v_and_b32_e32 v135, 0x7f800000, v136
	s_delay_alu instid0(VALU_DEP_1) | instskip(SKIP_1) | instid1(SALU_CYCLE_1)
	v_cmp_ne_u32_e32 vcc_lo, 0x7f800000, v135
                                        ; implicit-def: $vgpr135
	s_and_saveexec_b32 s3, vcc_lo
	s_xor_b32 s3, exec_lo, s3
; %bb.65:
	v_bfe_u32 v135, v136, 16, 1
	s_delay_alu instid0(VALU_DEP_1)
	v_add3_u32 v135, v136, v135, 0x7fff
                                        ; implicit-def: $vgpr136
; %bb.66:
	s_and_not1_saveexec_b32 s3, s3
; %bb.67:
	v_and_b32_e32 v135, 0xffff, v136
	v_or_b32_e32 v147, 0x10000, v136
	s_delay_alu instid0(VALU_DEP_2) | instskip(NEXT) | instid1(VALU_DEP_2)
	v_cmp_eq_u32_e32 vcc_lo, 0, v135
	v_cndmask_b32_e32 v135, v147, v136, vcc_lo
; %bb.68:
	s_or_b32 exec_lo, exec_lo, s3
	v_and_b32_e32 v136, 0x7f800000, v143
	s_delay_alu instid0(VALU_DEP_1) | instskip(SKIP_1) | instid1(SALU_CYCLE_1)
	v_cmp_ne_u32_e32 vcc_lo, 0x7f800000, v136
                                        ; implicit-def: $vgpr136
	s_and_saveexec_b32 s3, vcc_lo
	s_xor_b32 s3, exec_lo, s3
; %bb.69:
	v_bfe_u32 v136, v143, 16, 1
	s_delay_alu instid0(VALU_DEP_1)
	v_add3_u32 v136, v143, v136, 0x7fff
                                        ; implicit-def: $vgpr143
; %bb.70:
	s_and_not1_saveexec_b32 s3, s3
; %bb.71:
	v_and_b32_e32 v136, 0xffff, v143
	v_or_b32_e32 v147, 0x10000, v143
	s_delay_alu instid0(VALU_DEP_2) | instskip(NEXT) | instid1(VALU_DEP_2)
	v_cmp_eq_u32_e32 vcc_lo, 0, v136
	v_cndmask_b32_e32 v136, v147, v143, vcc_lo
; %bb.72:
	s_or_b32 exec_lo, exec_lo, s3
	v_and_b32_e32 v143, 0x7f800000, v145
	s_delay_alu instid0(VALU_DEP_1) | instskip(SKIP_1) | instid1(SALU_CYCLE_1)
	v_cmp_ne_u32_e32 vcc_lo, 0x7f800000, v143
                                        ; implicit-def: $vgpr143
	s_and_saveexec_b32 s3, vcc_lo
	s_xor_b32 s3, exec_lo, s3
; %bb.73:
	v_bfe_u32 v143, v145, 16, 1
	s_delay_alu instid0(VALU_DEP_1)
	v_add3_u32 v143, v145, v143, 0x7fff
                                        ; implicit-def: $vgpr145
; %bb.74:
	s_and_not1_saveexec_b32 s3, s3
; %bb.75:
	v_and_b32_e32 v143, 0xffff, v145
	v_or_b32_e32 v147, 0x10000, v145
	s_delay_alu instid0(VALU_DEP_2) | instskip(NEXT) | instid1(VALU_DEP_2)
	v_cmp_eq_u32_e32 vcc_lo, 0, v143
	v_cndmask_b32_e32 v143, v147, v145, vcc_lo
; %bb.76:
	s_or_b32 exec_lo, exec_lo, s3
	s_delay_alu instid0(VALU_DEP_1)
	v_perm_b32 v136, v143, v136, 0x7060302
	v_perm_b32 v135, v135, v146, 0x7060302
	;; [unrolled: 1-line block ×4, first 2 shown]
	v_lshl_or_b32 v145, v141, 11, v144
	v_lshlrev_b32_e32 v142, 2, v138
	ds_store_b128 v131, v[133:136] offset:1024
	s_waitcnt lgkmcnt(0)
	s_barrier
	buffer_gl0_inv
	ds_load_b128 v[132:135], v145
	ds_load_b128 v[147:150], v145 offset:16
	v_or_b32_e32 v143, 1, v142
	v_cmp_eq_u32_e64 s12, 1, v142
	v_cmp_eq_u32_e64 s11, 2, v142
	;; [unrolled: 1-line block ×3, first 2 shown]
	v_or_b32_e32 v141, 2, v142
	v_cmp_eq_u32_e64 s7, 1, v143
	v_cmp_eq_u32_e64 s6, 2, v143
	;; [unrolled: 1-line block ×8, first 2 shown]
	v_cmp_eq_u32_e32 vcc_lo, 5, v143
	v_cmp_eq_u32_e64 s10, 2, v141
	v_cmp_eq_u32_e64 s4, 6, v143
	;; [unrolled: 1-line block ×4, first 2 shown]
	s_waitcnt lgkmcnt(1)
	v_lshrrev_b32_e32 v136, 16, v132
	s_waitcnt lgkmcnt(0)
	v_lshrrev_b32_e32 v155, 16, v147
	v_lshrrev_b32_e32 v161, 16, v148
	;; [unrolled: 1-line block ×4, first 2 shown]
	v_cndmask_b32_e64 v146, v132, v136, s12
	v_cndmask_b32_e64 v151, v147, v155, s12
	;; [unrolled: 1-line block ×4, first 2 shown]
	v_lshrrev_b32_e32 v160, 16, v134
	v_cndmask_b32_e64 v146, v146, v133, s11
	v_cndmask_b32_e64 v151, v151, v148, s11
	;; [unrolled: 1-line block ×8, first 2 shown]
	v_lshrrev_b32_e32 v164, 16, v150
	v_cndmask_b32_e64 v153, v153, v161, s5
	v_cndmask_b32_e64 v146, v146, v134, s17
	;; [unrolled: 1-line block ×5, first 2 shown]
	v_lshrrev_b32_e32 v162, 16, v135
	v_cndmask_b32_e64 v146, v146, v160, s13
	v_cndmask_b32_e64 v151, v151, v163, s13
	v_cndmask_b32_e32 v152, v152, v160, vcc_lo
	v_cndmask_b32_e64 v153, v153, v149, s3
	v_cmp_eq_u32_e64 s19, 7, v143
	v_cndmask_b32_e64 v146, v146, v135, s15
	v_cndmask_b32_e64 v151, v151, v150, s15
	;; [unrolled: 1-line block ×4, first 2 shown]
	v_cmp_eq_u32_e64 s20, 4, v141
	v_cndmask_b32_e64 v165, v146, v162, s9
	v_cndmask_b32_e64 v166, v151, v164, s9
	;; [unrolled: 1-line block ×3, first 2 shown]
	v_or_b32_e32 v146, 3, v142
	v_cndmask_b32_e64 v167, v152, v162, s19
	v_cndmask_b32_e32 v156, v153, v163, vcc_lo
	v_cndmask_b32_e64 v158, v154, v134, s20
	v_cndmask_b32_e64 v157, v151, v148, s10
	ds_load_b128 v[151:154], v145 offset:1024
	v_cmp_eq_u32_e64 s21, 1, v146
	v_cmp_eq_u32_e64 s22, 5, v141
	;; [unrolled: 1-line block ×3, first 2 shown]
	v_cndmask_b32_e64 v157, v157, v161, s18
	v_cmp_eq_u32_e64 s24, 3, v146
	v_cndmask_b32_e64 v132, v132, v136, s21
	v_cndmask_b32_e64 v136, v156, v150, s4
	;; [unrolled: 1-line block ×5, first 2 shown]
	ds_load_b128 v[155:158], v145 offset:1040
	v_cndmask_b32_e64 v132, v132, v133, s23
	v_cmp_eq_u32_e64 s26, 4, v146
	v_cmp_eq_u32_e64 s28, 5, v146
	v_cndmask_b32_e64 v147, v147, v148, s23
	v_cmp_eq_u32_e64 s25, 6, v141
	v_cndmask_b32_e64 v132, v132, v159, s24
	v_cmp_eq_u32_e64 s29, 6, v146
	v_cndmask_b32_e64 v133, v169, v163, s22
	v_cndmask_b32_e64 v147, v147, v161, s24
	s_waitcnt lgkmcnt(1)
	v_lshrrev_b32_e32 v159, 16, v151
	v_cndmask_b32_e64 v132, v132, v134, s26
	v_cndmask_b32_e64 v148, v168, v135, s25
	;; [unrolled: 1-line block ×6, first 2 shown]
	v_lshrrev_b32_e32 v160, 16, v152
	v_cndmask_b32_e64 v161, v151, v159, s7
	v_cndmask_b32_e64 v134, v134, v163, s28
	s_waitcnt lgkmcnt(0)
	v_lshrrev_b32_e32 v149, 16, v155
	v_cndmask_b32_e64 v147, v147, v152, s11
	v_cndmask_b32_e64 v132, v132, v135, s29
	v_cmp_eq_u32_e64 s27, 7, v141
	v_cndmask_b32_e64 v134, v134, v150, s29
	v_cndmask_b32_e64 v163, v155, v149, s12
	;; [unrolled: 1-line block ×4, first 2 shown]
	v_lshrrev_b32_e32 v161, 16, v156
	v_cndmask_b32_e64 v136, v136, v164, s19
	v_cndmask_b32_e64 v150, v163, v156, s11
	v_cmp_eq_u32_e64 s11, 7, v146
	v_cndmask_b32_e64 v147, v147, v160, s5
	v_cndmask_b32_e64 v135, v135, v153, s17
	v_lshrrev_b32_e32 v163, 16, v153
	v_cndmask_b32_e64 v150, v150, v161, s16
	v_cndmask_b32_e64 v132, v132, v162, s11
	;; [unrolled: 1-line block ×8, first 2 shown]
	v_lshrrev_b32_e32 v164, 16, v157
	v_perm_b32 v135, v134, v132, 0x5040100
	v_cndmask_b32_e32 v132, v147, v163, vcc_lo
	v_cndmask_b32_e64 v147, v162, v154, s15
	v_lshrrev_b32_e32 v162, 16, v154
	v_cndmask_b32_e64 v150, v150, v164, s13
	v_perm_b32 v134, v133, v148, 0x5040100
	v_cndmask_b32_e64 v132, v132, v154, s4
	v_perm_b32 v133, v136, v167, 0x5040100
	v_cndmask_b32_e64 v136, v147, v162, s9
	v_cndmask_b32_e64 v147, v150, v158, s15
	;; [unrolled: 1-line block ×27, first 2 shown]
	v_cndmask_b32_e32 v149, v149, v164, vcc_lo
	v_lshrrev_b32_e32 v148, 16, v158
	v_cndmask_b32_e64 v132, v132, v154, s25
	v_cndmask_b32_e64 v150, v150, v154, s29
	;; [unrolled: 1-line block ×11, first 2 shown]
	v_perm_b32 v132, v166, v165, 0x5040100
	v_perm_b32 v150, v151, v150, 0x5040100
	v_perm_b32 v149, v152, v153, 0x5040100
	v_perm_b32 v148, v154, v167, 0x5040100
	v_perm_b32 v147, v147, v136, 0x5040100
	s_mul_i32 s8, s35, 7
	s_mov_b32 s3, exec_lo
	ds_store_b128 v131, v[132:135]
	ds_store_b128 v131, v[147:150] offset:1024
	v_cmpx_gt_u32_e32 7, v0
	s_cbranch_execz .LBB640_78
; %bb.77:
	s_mul_i32 s4, s8, s30
	s_delay_alu instid0(SALU_CYCLE_1) | instskip(SKIP_1) | instid1(VALU_DEP_1)
	v_add3_u32 v133, s4, s31, v140
	s_load_b128 s[4:7], s[0:1], 0x58
	v_mad_u64_u32 v[131:132], null, v133, s34, s[14:15]
	s_delay_alu instid0(VALU_DEP_1) | instskip(NEXT) | instid1(VALU_DEP_1)
	v_ashrrev_i32_e32 v132, 31, v131
	v_lshlrev_b64 v[131:132], 2, v[131:132]
	s_waitcnt lgkmcnt(0)
	s_delay_alu instid0(VALU_DEP_1) | instskip(NEXT) | instid1(VALU_DEP_2)
	v_add_co_u32 v133, vcc_lo, s6, v131
	v_add_co_ci_u32_e32 v134, vcc_lo, s7, v132, vcc_lo
	v_add_co_u32 v131, vcc_lo, s4, v131
	v_add_co_ci_u32_e32 v132, vcc_lo, s5, v132, vcc_lo
	global_store_b32 v[133:134], v129, off
	global_store_b32 v[131:132], v130, off
.LBB640_78:
	s_or_b32 exec_lo, exec_lo, s3
	s_waitcnt lgkmcnt(0)
	s_waitcnt_vscnt null, 0x0
	s_barrier
	buffer_gl0_inv
	ds_load_b128 v[147:150], v144
	ds_load_b128 v[151:154], v144 offset:16
	ds_load_b128 v[159:162], v144 offset:1040
	;; [unrolled: 1-line block ×3, first 2 shown]
	v_mov_b32_e32 v129, 0
	ds_load_b128 v[167:170], v144 offset:2064
	ds_load_b128 v[163:166], v144 offset:2048
	;; [unrolled: 1-line block ×6, first 2 shown]
	v_mov_b32_e32 v130, v129
	v_mov_b32_e32 v131, v129
	;; [unrolled: 1-line block ×7, first 2 shown]
	s_waitcnt lgkmcnt(8)
	s_delay_alu instid0(VALU_DEP_1)
	v_wmma_f32_16x16x16_bf16 v[129:136], v[121:128], v[147:154], v[129:136]
	ds_load_b128 v[125:128], v144 offset:5136
	ds_load_b128 v[121:124], v144 offset:5120
	s_waitcnt lgkmcnt(8)
	v_wmma_f32_16x16x16_bf16 v[129:136], v[113:120], v[155:162], v[129:136]
	ds_load_b128 v[117:120], v144 offset:6160
	ds_load_b128 v[113:116], v144 offset:6144
	s_waitcnt lgkmcnt(8)
	;; [unrolled: 4-line block ×8, first 2 shown]
	v_wmma_f32_16x16x16_bf16 v[129:136], v[65:72], v[97:104], v[129:136]
	s_waitcnt lgkmcnt(6)
	s_delay_alu instid0(VALU_DEP_1)
	v_wmma_f32_16x16x16_bf16 v[129:136], v[49:56], v[89:96], v[129:136]
	ds_load_b128 v[53:56], v144 offset:13328
	ds_load_b128 v[49:52], v144 offset:13312
	s_waitcnt lgkmcnt(6)
	v_wmma_f32_16x16x16_bf16 v[129:136], v[41:48], v[81:88], v[129:136]
	ds_load_b128 v[45:48], v144 offset:14352
	ds_load_b128 v[41:44], v144 offset:14336
	s_waitcnt lgkmcnt(6)
	v_wmma_f32_16x16x16_bf16 v[129:136], v[17:24], v[73:80], v[129:136]
	ds_load_b128 v[21:24], v144 offset:15376
	ds_load_b128 v[17:20], v144 offset:15360
	s_waitcnt lgkmcnt(6)
	v_wmma_f32_16x16x16_bf16 v[129:136], v[1:8], v[57:64], v[129:136]
	s_waitcnt lgkmcnt(4)
	s_delay_alu instid0(VALU_DEP_1) | instskip(SKIP_1) | instid1(VALU_DEP_1)
	v_wmma_f32_16x16x16_bf16 v[129:136], v[25:32], v[49:56], v[129:136]
	s_waitcnt lgkmcnt(2)
	v_wmma_f32_16x16x16_bf16 v[129:136], v[33:40], v[41:48], v[129:136]
	s_waitcnt lgkmcnt(0)
	s_delay_alu instid0(VALU_DEP_1) | instskip(NEXT) | instid1(VALU_DEP_1)
	v_wmma_f32_16x16x16_bf16 v[129:136], v[9:16], v[17:24], v[129:136]
	v_and_b32_e32 v1, 0x7f800000, v129
	s_delay_alu instid0(VALU_DEP_1) | instskip(SKIP_1) | instid1(SALU_CYCLE_1)
	v_cmp_ne_u32_e32 vcc_lo, 0x7f800000, v1
                                        ; implicit-def: $vgpr1
	s_and_saveexec_b32 s3, vcc_lo
	s_xor_b32 s3, exec_lo, s3
; %bb.79:
	v_bfe_u32 v1, v129, 16, 1
	s_delay_alu instid0(VALU_DEP_1)
	v_add3_u32 v1, v129, v1, 0x7fff
; %bb.80:
	s_and_not1_saveexec_b32 s3, s3
; %bb.81:
	v_and_b32_e32 v1, 0xffff, v129
	v_or_b32_e32 v2, 0x10000, v129
	s_delay_alu instid0(VALU_DEP_2) | instskip(NEXT) | instid1(VALU_DEP_2)
	v_cmp_eq_u32_e32 vcc_lo, 0, v1
	v_cndmask_b32_e32 v1, v2, v129, vcc_lo
; %bb.82:
	s_or_b32 exec_lo, exec_lo, s3
	v_and_b32_e32 v2, 0x7f800000, v130
	s_delay_alu instid0(VALU_DEP_1) | instskip(SKIP_1) | instid1(SALU_CYCLE_1)
	v_cmp_ne_u32_e32 vcc_lo, 0x7f800000, v2
                                        ; implicit-def: $vgpr2
	s_and_saveexec_b32 s3, vcc_lo
	s_xor_b32 s3, exec_lo, s3
; %bb.83:
	v_bfe_u32 v2, v130, 16, 1
	s_delay_alu instid0(VALU_DEP_1)
	v_add3_u32 v2, v130, v2, 0x7fff
; %bb.84:
	s_and_not1_saveexec_b32 s3, s3
; %bb.85:
	v_and_b32_e32 v2, 0xffff, v130
	v_or_b32_e32 v3, 0x10000, v130
	s_delay_alu instid0(VALU_DEP_2) | instskip(NEXT) | instid1(VALU_DEP_2)
	v_cmp_eq_u32_e32 vcc_lo, 0, v2
	v_cndmask_b32_e32 v2, v3, v130, vcc_lo
; %bb.86:
	s_or_b32 exec_lo, exec_lo, s3
	v_and_b32_e32 v3, 0x7f800000, v131
	s_delay_alu instid0(VALU_DEP_1) | instskip(SKIP_1) | instid1(SALU_CYCLE_1)
	v_cmp_ne_u32_e32 vcc_lo, 0x7f800000, v3
                                        ; implicit-def: $vgpr3
	s_and_saveexec_b32 s3, vcc_lo
	s_xor_b32 s3, exec_lo, s3
; %bb.87:
	v_bfe_u32 v3, v131, 16, 1
	s_delay_alu instid0(VALU_DEP_1)
	v_add3_u32 v3, v131, v3, 0x7fff
; %bb.88:
	s_and_not1_saveexec_b32 s3, s3
; %bb.89:
	v_and_b32_e32 v3, 0xffff, v131
	v_or_b32_e32 v4, 0x10000, v131
	s_delay_alu instid0(VALU_DEP_2) | instskip(NEXT) | instid1(VALU_DEP_2)
	v_cmp_eq_u32_e32 vcc_lo, 0, v3
	v_cndmask_b32_e32 v3, v4, v131, vcc_lo
; %bb.90:
	s_or_b32 exec_lo, exec_lo, s3
	v_and_b32_e32 v4, 0x7f800000, v132
	s_delay_alu instid0(VALU_DEP_1) | instskip(SKIP_1) | instid1(SALU_CYCLE_1)
	v_cmp_ne_u32_e32 vcc_lo, 0x7f800000, v4
                                        ; implicit-def: $vgpr4
	s_and_saveexec_b32 s3, vcc_lo
	s_xor_b32 s3, exec_lo, s3
; %bb.91:
	v_bfe_u32 v4, v132, 16, 1
	s_delay_alu instid0(VALU_DEP_1)
	v_add3_u32 v4, v132, v4, 0x7fff
; %bb.92:
	s_and_not1_saveexec_b32 s3, s3
; %bb.93:
	v_and_b32_e32 v4, 0xffff, v132
	v_or_b32_e32 v5, 0x10000, v132
	s_delay_alu instid0(VALU_DEP_2) | instskip(NEXT) | instid1(VALU_DEP_2)
	v_cmp_eq_u32_e32 vcc_lo, 0, v4
	v_cndmask_b32_e32 v4, v5, v132, vcc_lo
; %bb.94:
	s_or_b32 exec_lo, exec_lo, s3
	v_and_b32_e32 v5, 0x7f800000, v133
	s_delay_alu instid0(VALU_DEP_1) | instskip(SKIP_1) | instid1(SALU_CYCLE_1)
	v_cmp_ne_u32_e32 vcc_lo, 0x7f800000, v5
                                        ; implicit-def: $vgpr5
	s_and_saveexec_b32 s3, vcc_lo
	s_xor_b32 s3, exec_lo, s3
; %bb.95:
	v_bfe_u32 v5, v133, 16, 1
	s_delay_alu instid0(VALU_DEP_1)
	v_add3_u32 v5, v133, v5, 0x7fff
; %bb.96:
	s_and_not1_saveexec_b32 s3, s3
; %bb.97:
	v_and_b32_e32 v5, 0xffff, v133
	v_or_b32_e32 v6, 0x10000, v133
	s_delay_alu instid0(VALU_DEP_2) | instskip(NEXT) | instid1(VALU_DEP_2)
	v_cmp_eq_u32_e32 vcc_lo, 0, v5
	v_cndmask_b32_e32 v5, v6, v133, vcc_lo
; %bb.98:
	s_or_b32 exec_lo, exec_lo, s3
	v_and_b32_e32 v6, 0x7f800000, v134
	s_delay_alu instid0(VALU_DEP_1) | instskip(SKIP_1) | instid1(SALU_CYCLE_1)
	v_cmp_ne_u32_e32 vcc_lo, 0x7f800000, v6
                                        ; implicit-def: $vgpr6
	s_and_saveexec_b32 s3, vcc_lo
	s_xor_b32 s3, exec_lo, s3
; %bb.99:
	v_bfe_u32 v6, v134, 16, 1
	s_delay_alu instid0(VALU_DEP_1)
	v_add3_u32 v6, v134, v6, 0x7fff
; %bb.100:
	s_and_not1_saveexec_b32 s3, s3
; %bb.101:
	v_and_b32_e32 v6, 0xffff, v134
	v_or_b32_e32 v7, 0x10000, v134
	s_delay_alu instid0(VALU_DEP_2) | instskip(NEXT) | instid1(VALU_DEP_2)
	v_cmp_eq_u32_e32 vcc_lo, 0, v6
	v_cndmask_b32_e32 v6, v7, v134, vcc_lo
; %bb.102:
	s_or_b32 exec_lo, exec_lo, s3
	v_and_b32_e32 v7, 0x7f800000, v135
	s_delay_alu instid0(VALU_DEP_1) | instskip(SKIP_1) | instid1(SALU_CYCLE_1)
	v_cmp_ne_u32_e32 vcc_lo, 0x7f800000, v7
                                        ; implicit-def: $vgpr7
	s_and_saveexec_b32 s3, vcc_lo
	s_xor_b32 s3, exec_lo, s3
; %bb.103:
	v_bfe_u32 v7, v135, 16, 1
	s_delay_alu instid0(VALU_DEP_1)
	v_add3_u32 v7, v135, v7, 0x7fff
; %bb.104:
	s_and_not1_saveexec_b32 s3, s3
; %bb.105:
	v_and_b32_e32 v7, 0xffff, v135
	v_or_b32_e32 v8, 0x10000, v135
	s_delay_alu instid0(VALU_DEP_2) | instskip(NEXT) | instid1(VALU_DEP_2)
	v_cmp_eq_u32_e32 vcc_lo, 0, v7
	v_cndmask_b32_e32 v7, v8, v135, vcc_lo
; %bb.106:
	s_or_b32 exec_lo, exec_lo, s3
	v_and_b32_e32 v8, 0x7f800000, v136
	s_delay_alu instid0(VALU_DEP_1) | instskip(SKIP_1) | instid1(SALU_CYCLE_1)
	v_cmp_ne_u32_e32 vcc_lo, 0x7f800000, v8
                                        ; implicit-def: $vgpr8
	s_and_saveexec_b32 s3, vcc_lo
	s_xor_b32 s3, exec_lo, s3
; %bb.107:
	v_bfe_u32 v8, v136, 16, 1
	s_delay_alu instid0(VALU_DEP_1)
	v_add3_u32 v8, v136, v8, 0x7fff
                                        ; implicit-def: $vgpr129_vgpr130_vgpr131_vgpr132_vgpr133_vgpr134_vgpr135_vgpr136
; %bb.108:
	s_and_not1_saveexec_b32 s3, s3
; %bb.109:
	v_and_b32_e32 v8, 0xffff, v136
	v_or_b32_e32 v9, 0x10000, v136
	s_delay_alu instid0(VALU_DEP_2) | instskip(NEXT) | instid1(VALU_DEP_2)
	v_cmp_eq_u32_e32 vcc_lo, 0, v8
	v_cndmask_b32_e32 v8, v9, v136, vcc_lo
; %bb.110:
	s_or_b32 exec_lo, exec_lo, s3
	s_delay_alu instid0(VALU_DEP_1)
	v_perm_b32 v7, v8, v7, 0x7060302
	v_perm_b32 v6, v6, v5, 0x7060302
	;; [unrolled: 1-line block ×4, first 2 shown]
	v_lshl_or_b32 v9, v138, 4, v145
	s_barrier
	buffer_gl0_inv
	v_cmp_eq_u32_e32 vcc_lo, 1, v142
	ds_store_b128 v9, v[4:7]
	s_waitcnt lgkmcnt(0)
	s_barrier
	buffer_gl0_inv
	ds_load_b128 v[1:4], v145
	ds_load_b128 v[5:8], v145 offset:16
	v_cmp_eq_u32_e64 s4, 2, v142
	v_cmp_eq_u32_e64 s3, 1, v143
	;; [unrolled: 1-line block ×5, first 2 shown]
	s_waitcnt lgkmcnt(1)
	v_lshrrev_b32_e32 v10, 16, v1
	s_waitcnt lgkmcnt(0)
	v_lshrrev_b32_e32 v14, 16, v5
	v_lshrrev_b32_e32 v15, 16, v6
	;; [unrolled: 1-line block ×4, first 2 shown]
	v_cndmask_b32_e64 v20, v1, v10, s3
	v_cndmask_b32_e32 v19, v5, v14, vcc_lo
	v_cndmask_b32_e64 v21, v5, v14, s3
	v_lshrrev_b32_e32 v16, 16, v7
	v_cmp_eq_u32_e64 s3, 1, v141
	v_lshrrev_b32_e32 v13, 16, v4
	v_cndmask_b32_e64 v19, v19, v6, s4
	v_lshrrev_b32_e32 v17, 16, v8
	s_delay_alu instid0(VALU_DEP_4) | instskip(SKIP_1) | instid1(VALU_DEP_4)
	v_cndmask_b32_e64 v22, v1, v10, s3
	v_cndmask_b32_e64 v23, v5, v14, s3
	;; [unrolled: 1-line block ×3, first 2 shown]
	v_cndmask_b32_e32 v18, v1, v10, vcc_lo
	v_cmp_eq_u32_e32 vcc_lo, 2, v143
	v_cmp_eq_u32_e64 s3, 2, v146
	v_cndmask_b32_e64 v22, v22, v2, s7
	v_cndmask_b32_e32 v20, v20, v2, vcc_lo
	v_cndmask_b32_e32 v21, v21, v6, vcc_lo
	v_cmp_eq_u32_e32 vcc_lo, 4, v142
	v_cndmask_b32_e32 v19, v19, v7, vcc_lo
	v_cndmask_b32_e64 v18, v18, v2, s4
	v_cmp_eq_u32_e64 s4, 3, v143
	s_delay_alu instid0(VALU_DEP_2) | instskip(NEXT) | instid1(VALU_DEP_2)
	v_cndmask_b32_e64 v18, v18, v11, s5
	v_cndmask_b32_e64 v21, v21, v15, s4
	v_cmp_eq_u32_e64 s5, 5, v142
	s_delay_alu instid0(VALU_DEP_3) | instskip(SKIP_1) | instid1(VALU_DEP_3)
	v_cndmask_b32_e32 v18, v18, v3, vcc_lo
	v_cmp_eq_u32_e32 vcc_lo, 4, v143
	v_cndmask_b32_e64 v19, v19, v16, s5
	s_delay_alu instid0(VALU_DEP_3) | instskip(SKIP_4) | instid1(VALU_DEP_3)
	v_cndmask_b32_e64 v18, v18, v12, s5
	v_cndmask_b32_e32 v21, v21, v7, vcc_lo
	v_cndmask_b32_e64 v20, v20, v11, s4
	v_cmp_eq_u32_e64 s4, 5, v143
	v_cmp_eq_u32_e64 s5, 6, v142
	v_cndmask_b32_e32 v20, v20, v3, vcc_lo
	s_delay_alu instid0(VALU_DEP_3) | instskip(SKIP_1) | instid1(VALU_DEP_4)
	v_cndmask_b32_e64 v21, v21, v16, s4
	v_cmp_eq_u32_e32 vcc_lo, 6, v143
	v_cndmask_b32_e64 v18, v18, v4, s5
	v_cndmask_b32_e64 v19, v19, v8, s5
	;; [unrolled: 1-line block ×3, first 2 shown]
	v_cmp_eq_u32_e64 s4, 1, v146
	v_cmp_eq_u32_e64 s5, 7, v142
	s_delay_alu instid0(VALU_DEP_3) | instskip(NEXT) | instid1(VALU_DEP_3)
	v_cndmask_b32_e32 v20, v20, v4, vcc_lo
	v_cndmask_b32_e64 v1, v1, v10, s4
	v_cndmask_b32_e64 v5, v5, v14, s4
	v_cmp_eq_u32_e64 s4, 3, v141
	v_cndmask_b32_e64 v14, v23, v6, s7
	v_cmp_eq_u32_e64 s7, 3, v146
	v_cndmask_b32_e64 v1, v1, v2, s3
	v_cndmask_b32_e64 v2, v5, v6, s3
	;; [unrolled: 1-line block ×3, first 2 shown]
	v_cmp_eq_u32_e64 s3, 4, v141
	v_cndmask_b32_e64 v6, v14, v15, s4
	v_cndmask_b32_e64 v1, v1, v11, s7
	v_cmp_eq_u32_e64 s4, 4, v146
	v_cndmask_b32_e64 v2, v2, v15, s7
	v_cndmask_b32_e64 v5, v10, v3, s3
	;; [unrolled: 3-line block ×3, first 2 shown]
	v_cndmask_b32_e64 v2, v2, v7, s4
	v_cmp_eq_u32_e64 s3, 5, v146
	v_cndmask_b32_e64 v5, v5, v12, s7
	v_cmp_eq_u32_e64 s4, 6, v141
	;; [unrolled: 2-line block ×3, first 2 shown]
	v_cndmask_b32_e64 v1, v1, v12, s3
	v_cndmask_b32_e64 v2, v2, v16, s3
	;; [unrolled: 1-line block ×4, first 2 shown]
	v_cmp_eq_u32_e64 s3, 7, v146
	v_cndmask_b32_e64 v1, v1, v4, s7
	v_cndmask_b32_e64 v2, v2, v8, s7
	v_cmp_eq_u32_e64 s4, 7, v141
	v_cndmask_b32_e32 v4, v21, v8, vcc_lo
	v_cndmask_b32_e64 v18, v18, v13, s5
	v_cndmask_b32_e64 v20, v20, v13, s6
	;; [unrolled: 1-line block ×8, first 2 shown]
	s_mov_b32 s3, exec_lo
	v_perm_b32 v4, v2, v1, 0x5040100
	v_perm_b32 v3, v3, v5, 0x5040100
	;; [unrolled: 1-line block ×4, first 2 shown]
	ds_store_b128 v9, v[1:4]
	s_waitcnt lgkmcnt(0)
	s_barrier
	buffer_gl0_inv
	v_cmpx_gt_u32_e32 32, v0
	s_cbranch_execz .LBB640_2
; %bb.111:
	s_load_b64 s[4:5], s[0:1], 0x68
	v_lshlrev_b32_e32 v0, 10, v0
	v_add_nc_u32_e32 v2, s31, v138
	v_lshlrev_b32_e32 v3, 4, v139
	s_lshl_b32 s0, s34, 7
	s_delay_alu instid0(SALU_CYCLE_1) | instskip(NEXT) | instid1(VALU_DEP_2)
	s_mul_i32 s1, s0, s30
	v_mul_lo_u32 v1, v2, s0
	s_delay_alu instid0(VALU_DEP_2)
	v_and_or_b32 v0, 0x3800, v0, v3
	v_add_nc_u32_e32 v3, 2, v2
	s_mul_i32 s6, s1, s8
	v_add_nc_u32_e32 v4, 4, v2
	s_ashr_i32 s7, s6, 31
	v_lshl_or_b32 v11, v138, 6, v0
	s_lshl_b64 s[6:7], s[6:7], 1
	v_mul_lo_u32 v15, v3, s0
	v_mul_lo_u32 v17, v4, s0
	v_ashrrev_i32_e32 v2, 31, v1
	ds_load_b128 v[3:6], v11
	ds_load_b128 v[7:10], v11 offset:128
	ds_load_b128 v[11:14], v11 offset:256
	s_waitcnt lgkmcnt(0)
	s_add_u32 s1, s4, s6
	s_addc_u32 s3, s5, s7
	s_lshl_b32 s4, s14, 7
	v_ashrrev_i32_e32 v16, 31, v15
	s_ashr_i32 s5, s4, 31
	v_lshlrev_b64 v[19:20], 1, v[1:2]
	s_lshl_b64 s[4:5], s[4:5], 1
	v_ashrrev_i32_e32 v18, 31, v17
	s_add_u32 s1, s1, s4
	s_addc_u32 s3, s3, s5
	v_add_co_u32 v1, s1, s1, v137
	s_delay_alu instid0(VALU_DEP_1) | instskip(SKIP_1) | instid1(VALU_DEP_3)
	v_add_co_ci_u32_e64 v2, null, s3, 0, s1
	v_lshlrev_b64 v[15:16], 1, v[15:16]
	v_add_co_u32 v19, vcc_lo, v1, v19
	v_lshlrev_b64 v[17:18], 1, v[17:18]
	s_delay_alu instid0(VALU_DEP_4) | instskip(NEXT) | instid1(VALU_DEP_4)
	v_add_co_ci_u32_e32 v20, vcc_lo, v2, v20, vcc_lo
	v_add_co_u32 v15, vcc_lo, v1, v15
	v_add_co_ci_u32_e32 v16, vcc_lo, v2, v16, vcc_lo
	s_delay_alu instid0(VALU_DEP_4)
	v_add_co_u32 v17, vcc_lo, v1, v17
	v_add_co_ci_u32_e32 v18, vcc_lo, v2, v18, vcc_lo
	s_clause 0x2
	global_store_b128 v[19:20], v[3:6], off
	global_store_b128 v[15:16], v[7:10], off
	;; [unrolled: 1-line block ×3, first 2 shown]
	s_and_b32 exec_lo, exec_lo, s2
	s_cbranch_execz .LBB640_2
; %bb.112:
	ds_load_b128 v[3:6], v0 offset:384
	s_add_i32 s1, s31, 6
	s_delay_alu instid0(SALU_CYCLE_1) | instskip(NEXT) | instid1(SALU_CYCLE_1)
	s_mul_i32 s0, s1, s0
	s_ashr_i32 s1, s0, 31
	s_delay_alu instid0(SALU_CYCLE_1) | instskip(NEXT) | instid1(SALU_CYCLE_1)
	s_lshl_b64 s[0:1], s[0:1], 1
	v_add_co_u32 v0, vcc_lo, v1, s0
	v_add_co_ci_u32_e32 v1, vcc_lo, s1, v2, vcc_lo
	s_waitcnt lgkmcnt(0)
	global_store_b128 v[0:1], v[3:6], off
	s_nop 0
	s_sendmsg sendmsg(MSG_DEALLOC_VGPRS)
	s_endpgm
	.section	.rodata,"a",@progbits
	.p2align	6, 0x0
	.amdhsa_kernel _Z39paged_attention_ll4mi_QKV_mfma16_kernelI14__hip_bfloat16S0_LN4vllm18Fp8KVCacheDataTypeE0ES0_Li16ELi128ELi256ELb1ELi7EL8MFMAType0EEvPKT_PKT0_S9_ifPKiSB_SB_iPKfiiiPfSE_PS4_PT2_iSD_SD_
		.amdhsa_group_segment_fixed_size 17472
		.amdhsa_private_segment_fixed_size 0
		.amdhsa_kernarg_size 400
		.amdhsa_user_sgpr_count 13
		.amdhsa_user_sgpr_dispatch_ptr 0
		.amdhsa_user_sgpr_queue_ptr 0
		.amdhsa_user_sgpr_kernarg_segment_ptr 1
		.amdhsa_user_sgpr_dispatch_id 0
		.amdhsa_user_sgpr_private_segment_size 0
		.amdhsa_wavefront_size32 1
		.amdhsa_uses_dynamic_stack 0
		.amdhsa_enable_private_segment 0
		.amdhsa_system_sgpr_workgroup_id_x 1
		.amdhsa_system_sgpr_workgroup_id_y 1
		.amdhsa_system_sgpr_workgroup_id_z 1
		.amdhsa_system_sgpr_workgroup_info 0
		.amdhsa_system_vgpr_workitem_id 0
		.amdhsa_next_free_vgpr 218
		.amdhsa_next_free_sgpr 50
		.amdhsa_reserve_vcc 1
		.amdhsa_float_round_mode_32 0
		.amdhsa_float_round_mode_16_64 0
		.amdhsa_float_denorm_mode_32 3
		.amdhsa_float_denorm_mode_16_64 3
		.amdhsa_dx10_clamp 1
		.amdhsa_ieee_mode 1
		.amdhsa_fp16_overflow 0
		.amdhsa_workgroup_processor_mode 1
		.amdhsa_memory_ordered 1
		.amdhsa_forward_progress 0
		.amdhsa_shared_vgpr_count 0
		.amdhsa_exception_fp_ieee_invalid_op 0
		.amdhsa_exception_fp_denorm_src 0
		.amdhsa_exception_fp_ieee_div_zero 0
		.amdhsa_exception_fp_ieee_overflow 0
		.amdhsa_exception_fp_ieee_underflow 0
		.amdhsa_exception_fp_ieee_inexact 0
		.amdhsa_exception_int_div_zero 0
	.end_amdhsa_kernel
	.section	.text._Z39paged_attention_ll4mi_QKV_mfma16_kernelI14__hip_bfloat16S0_LN4vllm18Fp8KVCacheDataTypeE0ES0_Li16ELi128ELi256ELb1ELi7EL8MFMAType0EEvPKT_PKT0_S9_ifPKiSB_SB_iPKfiiiPfSE_PS4_PT2_iSD_SD_,"axG",@progbits,_Z39paged_attention_ll4mi_QKV_mfma16_kernelI14__hip_bfloat16S0_LN4vllm18Fp8KVCacheDataTypeE0ES0_Li16ELi128ELi256ELb1ELi7EL8MFMAType0EEvPKT_PKT0_S9_ifPKiSB_SB_iPKfiiiPfSE_PS4_PT2_iSD_SD_,comdat
.Lfunc_end640:
	.size	_Z39paged_attention_ll4mi_QKV_mfma16_kernelI14__hip_bfloat16S0_LN4vllm18Fp8KVCacheDataTypeE0ES0_Li16ELi128ELi256ELb1ELi7EL8MFMAType0EEvPKT_PKT0_S9_ifPKiSB_SB_iPKfiiiPfSE_PS4_PT2_iSD_SD_, .Lfunc_end640-_Z39paged_attention_ll4mi_QKV_mfma16_kernelI14__hip_bfloat16S0_LN4vllm18Fp8KVCacheDataTypeE0ES0_Li16ELi128ELi256ELb1ELi7EL8MFMAType0EEvPKT_PKT0_S9_ifPKiSB_SB_iPKfiiiPfSE_PS4_PT2_iSD_SD_
                                        ; -- End function
	.section	.AMDGPU.csdata,"",@progbits
; Kernel info:
; codeLenInByte = 10268
; NumSgprs: 52
; NumVgprs: 218
; ScratchSize: 0
; MemoryBound: 0
; FloatMode: 240
; IeeeMode: 1
; LDSByteSize: 17472 bytes/workgroup (compile time only)
; SGPRBlocks: 6
; VGPRBlocks: 27
; NumSGPRsForWavesPerEU: 52
; NumVGPRsForWavesPerEU: 218
; Occupancy: 6
; WaveLimiterHint : 1
; COMPUTE_PGM_RSRC2:SCRATCH_EN: 0
; COMPUTE_PGM_RSRC2:USER_SGPR: 13
; COMPUTE_PGM_RSRC2:TRAP_HANDLER: 0
; COMPUTE_PGM_RSRC2:TGID_X_EN: 1
; COMPUTE_PGM_RSRC2:TGID_Y_EN: 1
; COMPUTE_PGM_RSRC2:TGID_Z_EN: 1
; COMPUTE_PGM_RSRC2:TIDIG_COMP_CNT: 0
	.section	.text._Z39paged_attention_ll4mi_QKV_mfma16_kernelI14__hip_bfloat16S0_LN4vllm18Fp8KVCacheDataTypeE0ES0_Li16ELi128ELi256ELb1ELi8EL8MFMAType0EEvPKT_PKT0_S9_ifPKiSB_SB_iPKfiiiPfSE_PS4_PT2_iSD_SD_,"axG",@progbits,_Z39paged_attention_ll4mi_QKV_mfma16_kernelI14__hip_bfloat16S0_LN4vllm18Fp8KVCacheDataTypeE0ES0_Li16ELi128ELi256ELb1ELi8EL8MFMAType0EEvPKT_PKT0_S9_ifPKiSB_SB_iPKfiiiPfSE_PS4_PT2_iSD_SD_,comdat
	.protected	_Z39paged_attention_ll4mi_QKV_mfma16_kernelI14__hip_bfloat16S0_LN4vllm18Fp8KVCacheDataTypeE0ES0_Li16ELi128ELi256ELb1ELi8EL8MFMAType0EEvPKT_PKT0_S9_ifPKiSB_SB_iPKfiiiPfSE_PS4_PT2_iSD_SD_ ; -- Begin function _Z39paged_attention_ll4mi_QKV_mfma16_kernelI14__hip_bfloat16S0_LN4vllm18Fp8KVCacheDataTypeE0ES0_Li16ELi128ELi256ELb1ELi8EL8MFMAType0EEvPKT_PKT0_S9_ifPKiSB_SB_iPKfiiiPfSE_PS4_PT2_iSD_SD_
	.globl	_Z39paged_attention_ll4mi_QKV_mfma16_kernelI14__hip_bfloat16S0_LN4vllm18Fp8KVCacheDataTypeE0ES0_Li16ELi128ELi256ELb1ELi8EL8MFMAType0EEvPKT_PKT0_S9_ifPKiSB_SB_iPKfiiiPfSE_PS4_PT2_iSD_SD_
	.p2align	8
	.type	_Z39paged_attention_ll4mi_QKV_mfma16_kernelI14__hip_bfloat16S0_LN4vllm18Fp8KVCacheDataTypeE0ES0_Li16ELi128ELi256ELb1ELi8EL8MFMAType0EEvPKT_PKT0_S9_ifPKiSB_SB_iPKfiiiPfSE_PS4_PT2_iSD_SD_,@function
_Z39paged_attention_ll4mi_QKV_mfma16_kernelI14__hip_bfloat16S0_LN4vllm18Fp8KVCacheDataTypeE0ES0_Li16ELi128ELi256ELb1ELi8EL8MFMAType0EEvPKT_PKT0_S9_ifPKiSB_SB_iPKfiiiPfSE_PS4_PT2_iSD_SD_: ; @_Z39paged_attention_ll4mi_QKV_mfma16_kernelI14__hip_bfloat16S0_LN4vllm18Fp8KVCacheDataTypeE0ES0_Li16ELi128ELi256ELb1ELi8EL8MFMAType0EEvPKT_PKT0_S9_ifPKiSB_SB_iPKfiiiPfSE_PS4_PT2_iSD_SD_
; %bb.0:
	s_load_b64 s[4:5], s[0:1], 0x30
	s_mov_b32 s30, s13
	s_waitcnt lgkmcnt(0)
	s_cmp_lg_u64 s[4:5], 0
	s_cselect_b32 s12, -1, 0
	s_ashr_i32 s31, s13, 31
	s_cmp_eq_u64 s[4:5], 0
	s_cbranch_scc1 .LBB641_3
; %bb.1:
	s_lshl_b64 s[2:3], s[30:31], 2
	s_delay_alu instid0(SALU_CYCLE_1) | instskip(SKIP_4) | instid1(SALU_CYCLE_1)
	s_add_u32 s2, s4, s2
	s_addc_u32 s3, s5, s3
	s_load_b64 s[2:3], s[2:3], 0x0
	s_waitcnt lgkmcnt(0)
	s_sub_i32 s2, s3, s2
	s_cmp_eq_u32 s2, 1
	s_cselect_b32 s2, -1, 0
	s_delay_alu instid0(SALU_CYCLE_1)
	s_and_not1_b32 vcc_lo, exec_lo, s2
	s_cbranch_vccz .LBB641_4
.LBB641_2:
	s_endpgm
.LBB641_3:
.LBB641_4:
	s_load_b64 s[2:3], s[0:1], 0x28
	s_lshl_b64 s[6:7], s[30:31], 2
	s_waitcnt lgkmcnt(0)
	s_add_u32 s2, s2, s6
	s_addc_u32 s3, s3, s7
	s_lshl_b32 s31, s14, 8
	s_load_b32 s28, s[2:3], 0x0
	s_waitcnt lgkmcnt(0)
	s_cmp_ge_i32 s31, s28
	s_cbranch_scc1 .LBB641_2
; %bb.5:
	s_clause 0x1
	s_load_b128 s[8:11], s[0:1], 0x8
	s_load_b64 s[2:3], s[0:1], 0x20
	s_and_not1_b32 vcc_lo, exec_lo, s12
	s_cbranch_vccnz .LBB641_7
; %bb.6:
	s_add_u32 s4, s4, s6
	s_addc_u32 s5, s5, s7
	s_load_b32 s12, s[4:5], 0x0
	s_branch .LBB641_8
.LBB641_7:
	s_mov_b32 s12, s30
.LBB641_8:
	s_load_b128 s[4:7], s[0:1], 0x48
	v_and_b32_e32 v141, 15, v0
	v_lshrrev_b32_e32 v140, 5, v0
	v_and_b32_e32 v142, 31, v0
	v_and_b32_e32 v139, 1, v0
	v_bfe_u32 v138, v0, 4, 1
	v_lshlrev_b32_e32 v1, 3, v141
	s_lshl_b32 s29, s15, 3
	s_waitcnt lgkmcnt(0)
	s_mov_b32 s7, exec_lo
	s_delay_alu instid0(VALU_DEP_1)
	v_lshlrev_b32_e32 v137, 1, v1
	v_cmpx_gt_u32_e32 0x80, v0
	s_cbranch_execz .LBB641_10
; %bb.9:
	v_lshl_or_b32 v5, v140, 1, v138
	s_load_b64 s[16:17], s[0:1], 0x0
	s_mul_hi_i32 s13, s12, s4
	s_mul_i32 s12, s12, s4
	v_lshlrev_b32_e32 v6, 10, v141
	v_or_b32_e32 v1, s29, v5
	s_lshl_b64 s[12:13], s[12:13], 1
	v_lshlrev_b32_e32 v5, 6, v5
	v_lshlrev_b32_e32 v7, 10, v139
	v_and_b32_e32 v6, 0x3800, v6
	v_lshlrev_b32_e32 v1, 7, v1
	s_delay_alu instid0(VALU_DEP_2) | instskip(NEXT) | instid1(VALU_DEP_2)
	v_or3_b32 v5, v6, v7, v5
	v_ashrrev_i32_e32 v2, 31, v1
	s_delay_alu instid0(VALU_DEP_1) | instskip(SKIP_3) | instid1(VALU_DEP_1)
	v_lshlrev_b64 v[1:2], 1, v[1:2]
	s_waitcnt lgkmcnt(0)
	s_add_u32 s4, s16, s12
	s_addc_u32 s12, s17, s13
	v_add_co_u32 v1, vcc_lo, s4, v1
	s_delay_alu instid0(VALU_DEP_2) | instskip(NEXT) | instid1(VALU_DEP_2)
	v_add_co_ci_u32_e32 v2, vcc_lo, s12, v2, vcc_lo
	v_add_co_u32 v1, vcc_lo, v1, v137
	s_delay_alu instid0(VALU_DEP_2)
	v_add_co_ci_u32_e32 v2, vcc_lo, 0, v2, vcc_lo
	global_load_b128 v[1:4], v[1:2], off
	s_waitcnt vmcnt(0)
	ds_store_b128 v5, v[1:4]
.LBB641_10:
	s_or_b32 exec_lo, exec_lo, s7
	s_mov_b32 s36, 0
	s_add_i32 s4, s28, 15
	s_mov_b32 s37, s36
	s_mov_b32 s38, s36
	;; [unrolled: 1-line block ×7, first 2 shown]
	s_delay_alu instid0(SALU_CYCLE_1)
	v_dual_mov_b32 v136, s43 :: v_dual_and_b32 v1, 0xef, v0
	v_mov_b32_e32 v134, s41
	s_clause 0x1
	s_load_b32 s7, s[0:1], 0x38
	s_load_b32 s33, s[0:1], 0x1c
	v_add_nc_u32_e32 v1, s31, v1
	s_ashr_i32 s12, s4, 31
	s_waitcnt lgkmcnt(0)
	s_lshr_b32 s12, s12, 28
	s_barrier
	v_ashrrev_i32_e32 v2, 31, v1
	s_add_i32 s4, s4, s12
	v_cmp_gt_i32_e32 vcc_lo, s28, v1
	v_mov_b32_e32 v135, s42
	s_ashr_i32 s4, s4, 4
	v_lshrrev_b32_e32 v3, 28, v2
	v_or_b32_e32 v2, 16, v1
	s_add_i32 s4, s4, -1
	v_mov_b32_e32 v132, s39
	buffer_gl0_inv
	v_add_nc_u32_e32 v4, v1, v3
	v_add_nc_u32_e32 v3, v2, v3
	v_and_b32_e32 v105, 7, v0
	v_lshlrev_b32_e32 v106, 5, v141
	s_mul_i32 s12, s30, s7
	v_ashrrev_i32_e32 v4, 4, v4
	v_ashrrev_i32_e32 v3, 4, v3
	s_ashr_i32 s13, s12, 31
	v_lshlrev_b32_e32 v215, 6, v105
	s_lshl_b64 s[12:13], s[12:13], 2
	v_cndmask_b32_e32 v1, s4, v4, vcc_lo
	v_cmp_gt_i32_e32 vcc_lo, s28, v2
	s_add_u32 s34, s2, s12
	s_addc_u32 s35, s3, s13
	s_mul_i32 s2, s15, s6
	v_ashrrev_i32_e32 v2, 31, v1
	v_cndmask_b32_e32 v3, s4, v3, vcc_lo
	s_ashr_i32 s3, s2, 31
	v_lshl_or_b32 v125, v140, 9, v106
	s_lshl_b64 s[2:3], s[2:3], 1
	v_lshlrev_b64 v[1:2], 2, v[1:2]
	v_ashrrev_i32_e32 v4, 31, v3
	s_add_u32 s22, s8, s2
	s_addc_u32 s23, s9, s3
	s_lshl_b32 s6, s14, 4
	v_mov_b32_e32 v133, s40
	v_lshlrev_b64 v[3:4], 2, v[3:4]
	v_add_co_u32 v1, vcc_lo, s34, v1
	v_add_co_ci_u32_e32 v2, vcc_lo, s35, v2, vcc_lo
	s_ashr_i32 s7, s6, 31
	s_delay_alu instid0(VALU_DEP_3) | instskip(NEXT) | instid1(VALU_DEP_4)
	v_add_co_u32 v3, vcc_lo, s34, v3
	v_add_co_ci_u32_e32 v4, vcc_lo, s35, v4, vcc_lo
	s_clause 0x1
	global_load_b32 v5, v[1:2], off
	global_load_b32 v6, v[3:4], off
	s_lshl_b64 s[6:7], s[6:7], 2
	v_dual_mov_b32 v130, s37 :: v_dual_lshlrev_b32 v3, 4, v0
	s_add_u32 s6, s34, s6
	s_addc_u32 s7, s35, s7
	s_or_b32 s8, s31, 16
	v_mov_b32_e32 v131, s38
	s_ashr_i32 s9, s8, 4
	s_cmp_lt_i32 s8, s28
	v_mov_b32_e32 v129, s36
	s_cselect_b32 s8, s9, s4
	s_delay_alu instid0(SALU_CYCLE_1) | instskip(NEXT) | instid1(SALU_CYCLE_1)
	s_ashr_i32 s9, s8, 31
	s_lshl_b64 s[8:9], s[8:9], 2
	s_delay_alu instid0(SALU_CYCLE_1) | instskip(SKIP_2) | instid1(SALU_CYCLE_1)
	s_add_u32 s8, s34, s8
	s_addc_u32 s9, s35, s9
	s_or_b32 s12, s31, 32
	s_ashr_i32 s13, s12, 4
	s_cmp_lt_i32 s12, s28
	s_cselect_b32 s12, s13, s4
	s_delay_alu instid0(SALU_CYCLE_1) | instskip(NEXT) | instid1(SALU_CYCLE_1)
	s_ashr_i32 s13, s12, 31
	s_lshl_b64 s[12:13], s[12:13], 2
	s_delay_alu instid0(SALU_CYCLE_1) | instskip(SKIP_2) | instid1(SALU_CYCLE_1)
	s_add_u32 s12, s34, s12
	s_addc_u32 s13, s35, s13
	s_or_b32 s15, s31, 48
	s_ashr_i32 s16, s15, 4
	s_cmp_lt_i32 s15, s28
	;; [unrolled: 10-line block ×4, first 2 shown]
	s_cselect_b32 s20, s20, s4
	s_delay_alu instid0(SALU_CYCLE_1) | instskip(NEXT) | instid1(SALU_CYCLE_1)
	s_ashr_i32 s21, s20, 31
	s_lshl_b64 s[20:21], s[20:21], 2
	s_delay_alu instid0(SALU_CYCLE_1)
	s_add_u32 s20, s34, s20
	s_addc_u32 s21, s35, s21
	s_clause 0x5
	s_load_b32 s6, s[6:7], 0x0
	s_load_b32 s8, s[8:9], 0x0
	;; [unrolled: 1-line block ×6, first 2 shown]
	s_waitcnt vmcnt(1)
	v_mad_i64_i32 v[1:2], null, v5, s5, 0
	v_and_b32_e32 v5, 0xf0, v3
	s_waitcnt vmcnt(0)
	v_mad_i64_i32 v[3:4], null, v6, s5, 0
	s_delay_alu instid0(VALU_DEP_2) | instskip(NEXT) | instid1(VALU_DEP_4)
	v_add_co_u32 v5, s7, s22, v5
	v_lshlrev_b64 v[1:2], 1, v[1:2]
	v_add_co_ci_u32_e64 v6, null, s23, 0, s7
	s_delay_alu instid0(VALU_DEP_4) | instskip(SKIP_1) | instid1(VALU_DEP_3)
	v_lshlrev_b64 v[3:4], 1, v[3:4]
	s_or_b32 s7, s31, 0x60
	v_add_co_u32 v121, vcc_lo, v5, v1
	s_delay_alu instid0(VALU_DEP_3) | instskip(NEXT) | instid1(VALU_DEP_3)
	v_add_co_ci_u32_e32 v122, vcc_lo, v6, v2, vcc_lo
	v_add_co_u32 v123, vcc_lo, v5, v3
	s_delay_alu instid0(VALU_DEP_4)
	v_add_co_ci_u32_e32 v124, vcc_lo, v6, v4, vcc_lo
	s_clause 0x19
	global_load_b128 v[89:92], v[121:122], off
	global_load_b128 v[93:96], v[121:122], off offset:256
	global_load_b128 v[97:100], v[123:124], off
	global_load_b128 v[101:104], v[123:124], off offset:256
	global_load_b128 v[81:84], v[121:122], off offset:512
	;; [unrolled: 1-line block ×23, first 2 shown]
	s_ashr_i32 s9, s7, 4
	s_cmp_lt_i32 s7, s28
	ds_load_b128 v[105:108], v215
	ds_load_b128 v[109:112], v215 offset:1024
	s_cselect_b32 s20, s9, s4
	ds_load_b128 v[113:116], v215 offset:2048
	ds_load_b128 v[117:120], v215 offset:3072
	s_ashr_i32 s21, s20, 31
	ds_load_b128 v[143:146], v215 offset:4096
	ds_load_b128 v[147:150], v215 offset:5120
	s_lshl_b64 s[20:21], s[20:21], 2
	ds_load_b128 v[151:154], v215 offset:6144
	ds_load_b128 v[155:158], v215 offset:7168
	s_add_u32 s20, s34, s20
	s_addc_u32 s21, s35, s21
	s_or_b32 s7, s31, 0x70
	ds_load_b128 v[159:162], v215 offset:8192
	ds_load_b128 v[163:166], v215 offset:9216
	s_ashr_i32 s9, s7, 4
	s_cmp_lt_i32 s7, s28
	s_clause 0x1
	global_load_b128 v[167:170], v[123:124], off offset:3072
	global_load_b128 v[171:174], v[123:124], off offset:3328
	s_cselect_b32 s22, s9, s4
	s_delay_alu instid0(SALU_CYCLE_1) | instskip(NEXT) | instid1(SALU_CYCLE_1)
	s_ashr_i32 s23, s22, 31
	s_lshl_b64 s[22:23], s[22:23], 2
	s_delay_alu instid0(SALU_CYCLE_1)
	s_add_u32 s22, s34, s22
	s_addc_u32 s23, s35, s23
	s_clause 0x1
	s_load_b32 s42, s[20:21], 0x0
	s_load_b32 s43, s[22:23], 0x0
	s_clause 0x3
	global_load_b128 v[175:178], v[121:122], off offset:3584
	global_load_b128 v[179:182], v[121:122], off offset:3840
	global_load_b128 v[183:186], v[123:124], off offset:3584
	global_load_b128 v[187:190], v[123:124], off offset:3840
	s_or_b32 s7, s31, 0x80
	s_delay_alu instid0(SALU_CYCLE_1) | instskip(SKIP_2) | instid1(SALU_CYCLE_1)
	s_ashr_i32 s9, s7, 4
	s_cmp_lt_i32 s7, s28
	s_cselect_b32 s24, s9, s4
	s_ashr_i32 s25, s24, 31
	s_delay_alu instid0(SALU_CYCLE_1) | instskip(NEXT) | instid1(SALU_CYCLE_1)
	s_lshl_b64 s[24:25], s[24:25], 2
	s_add_u32 s24, s34, s24
	s_addc_u32 s25, s35, s25
	s_or_b32 s7, s31, 0x90
	s_load_b32 s44, s[24:25], 0x0
	s_ashr_i32 s9, s7, 4
	s_cmp_lt_i32 s7, s28
	s_cselect_b32 s26, s9, s4
	s_delay_alu instid0(SALU_CYCLE_1) | instskip(NEXT) | instid1(SALU_CYCLE_1)
	s_ashr_i32 s27, s26, 31
	s_lshl_b64 s[26:27], s[26:27], 2
	s_delay_alu instid0(SALU_CYCLE_1) | instskip(SKIP_2) | instid1(SALU_CYCLE_1)
	s_add_u32 s26, s34, s26
	s_addc_u32 s27, s35, s27
	s_or_b32 s7, s31, 0xa0
	s_ashr_i32 s9, s7, 4
	s_cmp_lt_i32 s7, s28
	s_waitcnt lgkmcnt(0)
	s_mul_hi_i32 s7, s6, s5
	s_cselect_b32 s36, s9, s4
	s_mul_i32 s6, s6, s5
	s_ashr_i32 s37, s36, 31
	s_delay_alu instid0(SALU_CYCLE_1) | instskip(NEXT) | instid1(SALU_CYCLE_1)
	s_lshl_b64 s[36:37], s[36:37], 2
	s_add_u32 s36, s34, s36
	s_addc_u32 s37, s35, s37
	s_or_b32 s9, s31, 0xb0
	s_delay_alu instid0(SALU_CYCLE_1)
	s_ashr_i32 s13, s9, 4
	s_cmp_lt_i32 s9, s28
	s_mul_hi_i32 s9, s8, s5
	s_cselect_b32 s38, s13, s4
	s_mul_i32 s8, s8, s5
	s_ashr_i32 s39, s38, 31
	s_mul_hi_i32 s13, s12, s5
	s_lshl_b64 s[38:39], s[38:39], 2
	s_mul_i32 s12, s12, s5
	s_add_u32 s40, s34, s38
	s_addc_u32 s41, s35, s39
	s_or_b32 s17, s31, 0xc0
	s_delay_alu instid0(SALU_CYCLE_1)
	s_ashr_i32 s19, s17, 4
	s_cmp_lt_i32 s17, s28
	s_mul_hi_i32 s17, s16, s5
	s_cselect_b32 s38, s19, s4
	s_mul_i32 s16, s16, s5
	s_ashr_i32 s39, s38, 31
	s_mul_hi_i32 s19, s18, s5
	s_lshl_b64 s[38:39], s[38:39], 2
	s_mul_i32 s18, s18, s5
	s_add_u32 s22, s34, s38
	s_addc_u32 s23, s35, s39
	s_clause 0x1
	s_load_b32 s39, s[26:27], 0x0
	s_load_b32 s38, s[36:37], 0x0
	s_or_b32 s20, s31, 0xd0
	s_mul_hi_i32 s27, s44, s5
	s_ashr_i32 s21, s20, 4
	s_cmp_lt_i32 s20, s28
	s_mul_i32 s20, s15, s5
	s_cselect_b32 s24, s21, s4
	s_mul_hi_i32 s21, s15, s5
	s_ashr_i32 s25, s24, 31
	s_mul_i32 s26, s44, s5
	s_lshl_b64 s[24:25], s[24:25], 2
	s_delay_alu instid0(SALU_CYCLE_1)
	s_add_u32 s24, s34, s24
	s_addc_u32 s25, s35, s25
	s_or_b32 s45, s31, 0xe0
	s_clause 0x2
	s_load_b32 s37, s[40:41], 0x0
	s_load_b32 s36, s[22:23], 0x0
	;; [unrolled: 1-line block ×3, first 2 shown]
	s_ashr_i32 s46, s45, 4
	s_cmp_lt_i32 s45, s28
	s_mul_hi_i32 s23, s42, s5
	s_mul_i32 s22, s42, s5
	s_cselect_b32 s42, s46, s4
	s_mul_hi_i32 s25, s43, s5
	s_mul_i32 s24, s43, s5
	s_ashr_i32 s43, s42, 31
	s_waitcnt lgkmcnt(0)
	s_mul_hi_i32 s41, s39, s5
	s_lshl_b64 s[42:43], s[42:43], 2
	s_mul_i32 s40, s39, s5
	s_add_u32 s42, s34, s42
	s_addc_u32 s43, s35, s43
	s_or_b32 s44, s31, 0xf0
	s_mul_hi_i32 s39, s38, s5
	s_ashr_i32 s46, s44, 4
	s_cmp_lt_i32 s44, s28
	s_mul_i32 s38, s38, s5
	s_cselect_b32 s46, s46, s4
	s_mul_hi_i32 s49, s15, s5
	s_ashr_i32 s47, s46, 31
	s_mul_i32 s48, s15, s5
	s_lshl_b64 s[46:47], s[46:47], 2
	s_mul_hi_i32 s45, s37, s5
	s_add_u32 s34, s34, s46
	s_addc_u32 s35, s35, s47
	s_add_u32 s4, s10, s2
	s_addc_u32 s15, s11, s3
	v_add_co_u32 v216, s4, s4, v125
	s_delay_alu instid0(VALU_DEP_1) | instskip(SKIP_2) | instid1(VALU_DEP_2)
	v_add_co_ci_u32_e64 v217, null, s15, 0, s4
	s_lshl_b64 s[2:3], s[6:7], 1
	s_lshl_b64 s[6:7], s[8:9], 1
	v_add_co_u32 v125, vcc_lo, v216, s2
	s_delay_alu instid0(VALU_DEP_2)
	v_add_co_ci_u32_e32 v126, vcc_lo, s3, v217, vcc_lo
	v_add_co_u32 v199, vcc_lo, v216, s6
	s_lshl_b64 s[8:9], s[12:13], 1
	v_add_co_ci_u32_e32 v200, vcc_lo, s7, v217, vcc_lo
	s_lshl_b64 s[10:11], s[16:17], 1
	s_lshl_b64 s[12:13], s[18:19], 1
	;; [unrolled: 1-line block ×8, first 2 shown]
	s_mul_i32 s44, s37, s5
	s_mul_hi_i32 s37, s36, s5
	s_lshl_b64 s[38:39], s[44:45], 1
	s_mul_i32 s36, s36, s5
	s_clause 0x1
	s_load_b32 s4, s[42:43], 0x0
	s_load_b32 s15, s[34:35], 0x0
	s_lshl_b64 s[36:37], s[36:37], 1
	s_lshl_b64 s[40:41], s[48:49], 1
	s_waitcnt lgkmcnt(0)
	s_mul_hi_i32 s3, s4, s5
	s_mul_i32 s2, s4, s5
	s_mul_hi_i32 s7, s15, s5
	s_lshl_b64 s[2:3], s[2:3], 1
	s_mul_i32 s6, s15, s5
	s_waitcnt vmcnt(30)
	v_wmma_f32_16x16x16_bf16 v[191:198], v[89:96], v[105:112], v[129:136]
	v_add_co_u32 v89, vcc_lo, v216, s8
	v_add_co_ci_u32_e32 v90, vcc_lo, s9, v217, vcc_lo
	v_add_co_u32 v91, vcc_lo, v216, s10
	v_add_co_ci_u32_e32 v92, vcc_lo, s11, v217, vcc_lo
	;; [unrolled: 2-line block ×5, first 2 shown]
	v_add_co_u32 v205, vcc_lo, v216, s20
	s_waitcnt vmcnt(28)
	v_wmma_f32_16x16x16_bf16 v[129:136], v[97:104], v[105:112], v[129:136]
	v_add_co_ci_u32_e32 v206, vcc_lo, s21, v217, vcc_lo
	v_add_co_u32 v207, vcc_lo, v216, s22
	v_add_co_ci_u32_e32 v208, vcc_lo, s23, v217, vcc_lo
	v_add_co_u32 v209, vcc_lo, v216, s24
	s_waitcnt vmcnt(26)
	v_wmma_f32_16x16x16_bf16 v[191:198], v[81:88], v[113:120], v[191:198]
	s_waitcnt vmcnt(24)
	v_wmma_f32_16x16x16_bf16 v[129:136], v[73:80], v[113:120], v[129:136]
	v_add_co_ci_u32_e32 v210, vcc_lo, s25, v217, vcc_lo
	v_add_co_u32 v211, vcc_lo, v216, s26
	v_add_co_ci_u32_e32 v212, vcc_lo, s27, v217, vcc_lo
	v_add_co_u32 v213, vcc_lo, v216, s38
	s_waitcnt vmcnt(22)
	v_wmma_f32_16x16x16_bf16 v[191:198], v[65:72], v[143:150], v[191:198]
	s_waitcnt vmcnt(20)
	v_wmma_f32_16x16x16_bf16 v[129:136], v[57:64], v[143:150], v[129:136]
	v_add_co_ci_u32_e32 v214, vcc_lo, s39, v217, vcc_lo
	v_add_co_u32 v143, vcc_lo, v216, s36
	s_waitcnt vmcnt(18)
	v_wmma_f32_16x16x16_bf16 v[191:198], v[49:56], v[151:158], v[191:198]
	s_waitcnt vmcnt(16)
	v_wmma_f32_16x16x16_bf16 v[129:136], v[41:48], v[151:158], v[129:136]
	v_add_co_ci_u32_e32 v144, vcc_lo, s37, v217, vcc_lo
	s_clause 0x15
	global_load_b128 v[121:124], v[125:126], off
	global_load_b128 v[125:128], v[125:126], off offset:16
	global_load_b128 v[113:116], v[199:200], off
	global_load_b128 v[117:120], v[199:200], off offset:16
	global_load_b128 v[105:108], v[89:90], off
	global_load_b128 v[109:112], v[89:90], off offset:16
	global_load_b128 v[97:100], v[91:92], off
	global_load_b128 v[101:104], v[91:92], off offset:16
	global_load_b128 v[89:92], v[93:94], off
	global_load_b128 v[93:96], v[93:94], off offset:16
	global_load_b128 v[81:84], v[201:202], off
	global_load_b128 v[85:88], v[201:202], off offset:16
	global_load_b128 v[73:76], v[203:204], off
	global_load_b128 v[77:80], v[203:204], off offset:16
	global_load_b128 v[57:60], v[205:206], off
	global_load_b128 v[61:64], v[205:206], off offset:16
	global_load_b128 v[65:68], v[207:208], off
	global_load_b128 v[69:72], v[207:208], off offset:16
	global_load_b128 v[49:52], v[209:210], off
	global_load_b128 v[53:56], v[209:210], off offset:16
	global_load_b128 v[41:44], v[211:212], off
	global_load_b128 v[45:48], v[211:212], off offset:16
	s_waitcnt vmcnt(36)
	v_wmma_f32_16x16x16_bf16 v[191:198], v[17:24], v[159:166], v[191:198]
	s_clause 0x1
	global_load_b128 v[17:20], v[213:214], off
	global_load_b128 v[21:24], v[213:214], off offset:16
	s_waitcnt vmcnt(36)
	v_wmma_f32_16x16x16_bf16 v[129:136], v[1:8], v[159:166], v[129:136]
	s_clause 0x1
	global_load_b128 v[1:4], v[143:144], off
	global_load_b128 v[5:8], v[143:144], off offset:16
	ds_load_b128 v[143:146], v215 offset:10240
	ds_load_b128 v[147:150], v215 offset:11264
	;; [unrolled: 1-line block ×4, first 2 shown]
	v_add_co_u32 v199, vcc_lo, v216, s40
	v_add_co_ci_u32_e32 v200, vcc_lo, s41, v217, vcc_lo
	v_add_co_u32 v159, vcc_lo, v216, s2
	v_add_co_ci_u32_e32 v160, vcc_lo, s3, v217, vcc_lo
	s_lshl_b64 s[2:3], s[6:7], 1
	s_delay_alu instid0(SALU_CYCLE_1)
	v_add_co_u32 v161, vcc_lo, v216, s2
	v_add_co_ci_u32_e32 v162, vcc_lo, s3, v217, vcc_lo
	s_waitcnt vmcnt(36) lgkmcnt(2)
	v_wmma_f32_16x16x16_bf16 v[191:198], v[33:40], v[143:150], v[191:198]
	s_waitcnt vmcnt(34)
	v_wmma_f32_16x16x16_bf16 v[129:136], v[25:32], v[143:150], v[129:136]
	s_clause 0x3
	global_load_b128 v[25:28], v[199:200], off
	global_load_b128 v[29:32], v[199:200], off offset:16
	global_load_b128 v[33:36], v[159:160], off
	global_load_b128 v[37:40], v[159:160], off offset:16
	v_and_b32_e32 v143, 0xe0, v0
	v_mbcnt_lo_u32_b32 v159, -1, 0
	s_waitcnt vmcnt(36) lgkmcnt(0)
	v_wmma_f32_16x16x16_bf16 v[191:198], v[9:16], v[151:158], v[191:198]
	s_clause 0x1
	global_load_b128 v[9:12], v[161:162], off
	global_load_b128 v[13:16], v[161:162], off offset:16
	s_waitcnt vmcnt(36)
	v_wmma_f32_16x16x16_bf16 v[129:136], v[167:174], v[151:158], v[129:136]
	v_add_nc_u32_e32 v160, s31, v143
	ds_load_b128 v[143:146], v215 offset:14336
	ds_load_b128 v[147:150], v215 offset:15360
	v_xor_b32_e32 v151, 16, v159
	s_waitcnt vmcnt(0) lgkmcnt(0)
	s_barrier
	v_or_b32_e32 v152, v160, v138
	buffer_gl0_inv
	v_cmp_gt_i32_e32 vcc_lo, 32, v151
	v_or_b32_e32 v153, 2, v152
	v_or_b32_e32 v154, 4, v152
	;; [unrolled: 1-line block ×5, first 2 shown]
	v_cmp_gt_i32_e64 s2, s28, v153
	v_cmp_gt_i32_e64 s3, s28, v154
	;; [unrolled: 1-line block ×3, first 2 shown]
	v_or_b32_e32 v158, 12, v152
	v_cmp_gt_i32_e64 s5, s28, v156
	v_cmp_gt_i32_e64 s6, s28, v157
	v_wmma_f32_16x16x16_bf16 v[191:198], v[175:182], v[143:150], v[191:198]
	v_wmma_f32_16x16x16_bf16 v[129:136], v[183:190], v[143:150], v[129:136]
	v_cndmask_b32_e32 v151, v159, v151, vcc_lo
	v_cmp_gt_i32_e32 vcc_lo, s28, v152
	v_or_b32_e32 v159, 14, v152
	v_dual_mul_f32 v149, s33, v192 :: v_dual_mul_f32 v150, s33, v191
	v_dual_mul_f32 v147, s33, v194 :: v_dual_mul_f32 v148, s33, v193
	;; [unrolled: 1-line block ×3, first 2 shown]
	s_delay_alu instid0(VALU_DEP_3) | instskip(NEXT) | instid1(VALU_DEP_4)
	v_cndmask_b32_e32 v150, 0xff7fffff, v150, vcc_lo
	v_cndmask_b32_e64 v149, 0xff7fffff, v149, s2
	v_mul_f32_e32 v146, s33, v195
	v_cndmask_b32_e64 v148, 0xff7fffff, v148, s3
	v_cndmask_b32_e64 v147, 0xff7fffff, v147, s4
	v_or_b32_e32 v160, 16, v152
	v_max3_f32 v149, v150, 0xff7fffff, v149
	v_or_b32_e32 v161, 18, v152
	v_mul_f32_e32 v144, s33, v197
	v_dual_mul_f32 v172, s33, v132 :: v_dual_mul_f32 v143, s33, v198
	v_lshlrev_b32_e32 v154, 2, v151
	v_cndmask_b32_e64 v146, 0xff7fffff, v146, s5
	v_cndmask_b32_e64 v145, 0xff7fffff, v145, s6
	v_max3_f32 v147, v149, v148, v147
	v_cmp_gt_i32_e64 s7, s28, v158
	v_cmp_gt_i32_e64 s8, s28, v159
	v_or_b32_e32 v162, 20, v152
	v_or_b32_e32 v163, 22, v152
	v_mul_f32_e32 v175, s33, v129
	v_cndmask_b32_e64 v144, 0xff7fffff, v144, s7
	v_cndmask_b32_e64 v143, 0xff7fffff, v143, s8
	v_max3_f32 v145, v147, v146, v145
	v_cmp_gt_i32_e64 s9, s28, v160
	v_cmp_gt_i32_e64 s10, s28, v161
	v_or_b32_e32 v164, 24, v152
	v_or_b32_e32 v165, 26, v152
	v_mul_f32_e32 v173, s33, v131
	v_cndmask_b32_e64 v146, 0xff7fffff, v175, s9
	v_cndmask_b32_e64 v147, 0xff7fffff, v174, s10
	v_max3_f32 v143, v145, v144, v143
	v_cmp_gt_i32_e64 s11, s28, v162
	v_cmp_gt_i32_e64 s12, s28, v163
	v_or_b32_e32 v166, 28, v152
	v_or_b32_e32 v167, 30, v152
	v_dual_mul_f32 v170, s33, v134 :: v_dual_mul_f32 v171, s33, v133
	v_cndmask_b32_e64 v144, 0xff7fffff, v173, s11
	v_cndmask_b32_e64 v145, 0xff7fffff, v172, s12
	v_max3_f32 v143, v143, v146, v147
	v_cmp_gt_i32_e64 s13, s28, v164
	v_cmp_gt_i32_e64 s15, s28, v165
	v_dual_mul_f32 v168, s33, v136 :: v_dual_mul_f32 v169, s33, v135
	s_delay_alu instid0(VALU_DEP_4) | instskip(NEXT) | instid1(VALU_DEP_4)
	v_max3_f32 v143, v143, v144, v145
	v_cndmask_b32_e64 v146, 0xff7fffff, v171, s13
	s_delay_alu instid0(VALU_DEP_4) | instskip(SKIP_2) | instid1(VALU_DEP_3)
	v_cndmask_b32_e64 v147, 0xff7fffff, v170, s15
	v_cmp_gt_i32_e64 s16, s28, v166
	v_cmp_gt_i32_e64 s17, s28, v167
	v_max3_f32 v143, v143, v146, v147
	s_delay_alu instid0(VALU_DEP_3) | instskip(NEXT) | instid1(VALU_DEP_3)
	v_cndmask_b32_e64 v144, 0xff7fffff, v169, s16
	v_cndmask_b32_e64 v145, 0xff7fffff, v168, s17
	s_delay_alu instid0(VALU_DEP_1) | instskip(SKIP_3) | instid1(VALU_DEP_1)
	v_max3_f32 v143, v143, v144, v145
	ds_bpermute_b32 v144, v154, v143
	s_waitcnt lgkmcnt(0)
	v_max_f32_e32 v144, v144, v144
	v_max_f32_e32 v153, v143, v144
	s_delay_alu instid0(VALU_DEP_1)
	v_fma_f32 v146, s33, v194, -v153
	v_fma_f32 v143, s33, v191, -v153
	;; [unrolled: 1-line block ×5, first 2 shown]
	v_mul_f32_e32 v146, 0x3fb8aa3b, v146
	v_fma_f32 v150, s33, v197, -v153
	s_delay_alu instid0(VALU_DEP_4) | instskip(NEXT) | instid1(VALU_DEP_4)
	v_dual_mul_f32 v147, 0x3fb8aa3b, v147 :: v_dual_mul_f32 v144, 0x3fb8aa3b, v144
	v_mul_f32_e32 v130, 0x3fb8aa3b, v130
	s_delay_alu instid0(VALU_DEP_4) | instskip(NEXT) | instid1(VALU_DEP_3)
	v_exp_f32_e32 v149, v146
	v_mul_f32_e32 v150, 0x3fb8aa3b, v150
	s_delay_alu instid0(VALU_DEP_3)
	v_exp_f32_e32 v151, v147
	v_exp_f32_e32 v144, v144
	v_fma_f32 v145, s33, v193, -v153
	v_fma_f32 v148, s33, v196, -v153
	v_exp_f32_e32 v152, v150
	v_fma_f32 v129, s33, v129, -v153
	v_fma_f32 v131, s33, v131, -v153
	;; [unrolled: 1-line block ×3, first 2 shown]
	v_cndmask_b32_e64 v149, 0, v149, s4
	v_mul_f32_e32 v143, 0x3fb8aa3b, v143
	v_cndmask_b32_e64 v150, 0, v151, s5
	v_cndmask_b32_e64 v146, 0, v144, s2
	v_dual_mul_f32 v148, 0x3fb8aa3b, v148 :: v_dual_mul_f32 v131, 0x3fb8aa3b, v131
	v_mul_f32_e32 v132, 0x3fb8aa3b, v132
	v_exp_f32_e32 v143, v143
	v_exp_f32_e32 v130, v130
	s_delay_alu instid0(VALU_DEP_2)
	v_exp_f32_e32 v148, v148
	v_fma_f32 v133, s33, v133, -v153
	v_fma_f32 v134, s33, v134, -v153
	;; [unrolled: 1-line block ×3, first 2 shown]
	s_mov_b32 s2, exec_lo
	s_delay_alu instid0(TRANS32_DEP_3) | instid1(VALU_DEP_2)
	v_dual_mul_f32 v134, 0x3fb8aa3b, v134 :: v_dual_cndmask_b32 v143, 0, v143
	s_waitcnt_depctr 0xfff
	v_cndmask_b32_e64 v151, 0, v148, s6
	v_cndmask_b32_e64 v148, 0, v152, s7
	v_add_f32_e32 v144, 0, v143
	s_delay_alu instid0(VALU_DEP_1) | instskip(NEXT) | instid1(VALU_DEP_1)
	v_dual_add_f32 v144, v144, v146 :: v_dual_mul_f32 v145, 0x3fb8aa3b, v145
	v_exp_f32_e32 v145, v145
	s_waitcnt_depctr 0xfff
	v_cndmask_b32_e64 v147, 0, v145, s3
	v_fma_f32 v145, s33, v198, -v153
	s_delay_alu instid0(VALU_DEP_2) | instskip(NEXT) | instid1(VALU_DEP_1)
	v_add_f32_e32 v144, v144, v147
	v_add_f32_e32 v144, v144, v149
	s_delay_alu instid0(VALU_DEP_1) | instskip(NEXT) | instid1(VALU_DEP_1)
	v_dual_add_f32 v144, v144, v150 :: v_dual_mul_f32 v145, 0x3fb8aa3b, v145
	v_dual_add_f32 v144, v144, v151 :: v_dual_mul_f32 v129, 0x3fb8aa3b, v129
	s_delay_alu instid0(VALU_DEP_2) | instskip(NEXT) | instid1(VALU_DEP_1)
	v_exp_f32_e32 v145, v145
	v_add_f32_e32 v144, v144, v148
	s_delay_alu instid0(VALU_DEP_2) | instskip(SKIP_4) | instid1(VALU_DEP_2)
	v_exp_f32_e32 v129, v129
	s_waitcnt_depctr 0xfff
	v_cndmask_b32_e64 v152, 0, v145, s8
	v_exp_f32_e32 v145, v131
	v_cndmask_b32_e64 v131, 0, v129, s9
	v_add_f32_e32 v129, v144, v152
	v_exp_f32_e32 v144, v132
	v_cndmask_b32_e64 v132, 0, v130, s10
	v_fma_f32 v130, s33, v135, -v153
	v_mul_f32_e32 v133, 0x3fb8aa3b, v133
	s_delay_alu instid0(VALU_DEP_2) | instskip(NEXT) | instid1(VALU_DEP_2)
	v_dual_add_f32 v129, v129, v131 :: v_dual_mul_f32 v130, 0x3fb8aa3b, v130
	v_exp_f32_e32 v135, v133
	s_delay_alu instid0(TRANS32_DEP_3) | instskip(SKIP_1) | instid1(TRANS32_DEP_3)
	v_cndmask_b32_e64 v133, 0, v145, s11
	v_exp_f32_e32 v145, v134
	v_cndmask_b32_e64 v134, 0, v144, s12
	v_mul_f32_e32 v144, 0x3fb8aa3b, v136
	v_add_f32_e32 v129, v129, v132
	v_exp_f32_e32 v130, v130
	s_delay_alu instid0(VALU_DEP_1) | instskip(NEXT) | instid1(TRANS32_DEP_3)
	v_add_f32_e32 v129, v129, v133
	v_cndmask_b32_e64 v135, 0, v135, s13
	s_delay_alu instid0(TRANS32_DEP_2) | instskip(SKIP_1) | instid1(VALU_DEP_3)
	v_cndmask_b32_e64 v136, 0, v145, s15
	v_exp_f32_e32 v145, v144
	v_add_f32_e32 v129, v129, v134
	s_waitcnt_depctr 0xfff
	v_cndmask_b32_e64 v144, 0, v130, s16
	v_add_f32_e32 v129, v129, v135
	v_cndmask_b32_e64 v145, 0, v145, s17
	s_delay_alu instid0(VALU_DEP_2) | instskip(NEXT) | instid1(VALU_DEP_1)
	v_add_f32_e32 v129, v129, v136
	v_add_f32_e32 v129, v129, v144
	s_delay_alu instid0(VALU_DEP_1)
	v_add_f32_e32 v129, v129, v145
	ds_bpermute_b32 v130, v154, v129
	v_cmpx_gt_u32_e32 16, v142
	s_cbranch_execz .LBB641_12
; %bb.11:
	v_mul_u32_u24_e32 v142, 0x44, v140
	s_waitcnt lgkmcnt(0)
	v_add_f32_e32 v129, v129, v130
	s_delay_alu instid0(VALU_DEP_2) | instskip(NEXT) | instid1(VALU_DEP_1)
	v_lshl_add_u32 v142, v141, 2, v142
	v_add_nc_u32_e32 v130, 0x4000, v142
	ds_store_2addr_b32 v130, v153, v129 offset1:136
.LBB641_12:
	s_or_b32 exec_lo, exec_lo, s2
	v_lshlrev_b32_e32 v129, 2, v141
	s_waitcnt lgkmcnt(0)
	s_barrier
	buffer_gl0_inv
	v_cmp_eq_u32_e64 s2, 1, v140
	v_add_nc_u32_e32 v142, 0x4000, v129
	ds_load_2addr_b32 v[153:154], v142 offset1:17
	ds_load_2addr_b32 v[155:156], v142 offset0:34 offset1:51
	ds_load_2addr_b32 v[157:158], v142 offset0:68 offset1:85
	ds_load_2addr_b32 v[159:160], v142 offset0:102 offset1:119
	ds_load_2addr_b32 v[161:162], v142 offset0:136 offset1:153
	s_waitcnt lgkmcnt(4)
	v_max3_f32 v129, v153, 0xff7fffff, v154
	s_waitcnt lgkmcnt(3)
	s_delay_alu instid0(VALU_DEP_1) | instskip(SKIP_1) | instid1(VALU_DEP_1)
	v_max3_f32 v129, v129, v155, v156
	s_waitcnt lgkmcnt(2)
	v_max3_f32 v129, v129, v157, v158
	s_waitcnt lgkmcnt(1)
	s_delay_alu instid0(VALU_DEP_1) | instskip(NEXT) | instid1(VALU_DEP_1)
	v_max3_f32 v129, v129, v159, v160
	v_sub_f32_e32 v163, v154, v129
	v_sub_f32_e32 v130, v153, v129
	ds_load_2addr_b32 v[153:154], v142 offset0:170 offset1:187
	v_sub_f32_e32 v155, v155, v129
	v_dual_mul_f32 v163, 0x3fb8aa3b, v163 :: v_dual_mul_f32 v130, 0x3fb8aa3b, v130
	s_delay_alu instid0(VALU_DEP_2) | instskip(NEXT) | instid1(VALU_DEP_2)
	v_mul_f32_e32 v165, 0x3fb8aa3b, v155
	v_exp_f32_e32 v163, v163
	s_delay_alu instid0(VALU_DEP_2)
	v_exp_f32_e32 v164, v130
	v_sub_f32_e32 v130, v156, v129
	ds_load_2addr_b32 v[155:156], v142 offset0:204 offset1:221
	v_exp_f32_e32 v165, v165
	v_mul_f32_e32 v166, 0x3fb8aa3b, v130
	s_waitcnt lgkmcnt(2)
	v_fma_f32 v130, v164, v161, 0
	v_sub_f32_e32 v157, v157, v129
	s_delay_alu instid0(VALU_DEP_3) | instskip(NEXT) | instid1(VALU_DEP_2)
	v_exp_f32_e32 v166, v166
	v_dual_sub_f32 v161, v158, v129 :: v_dual_fmac_f32 v130, v163, v162
	s_waitcnt lgkmcnt(1)
	s_waitcnt_depctr 0xfff
	v_fmac_f32_e32 v130, v165, v153
	v_mul_f32_e32 v167, 0x3fb8aa3b, v157
	ds_load_2addr_b32 v[157:158], v142 offset0:238 offset1:255
	v_sub_f32_e32 v142, v159, v129
	v_dual_sub_f32 v153, v160, v129 :: v_dual_fmac_f32 v130, v166, v154
	v_mul_f32_e32 v159, 0x3fb8aa3b, v161
	v_exp_f32_e32 v161, v167
	s_delay_alu instid0(VALU_DEP_2)
	v_dual_mul_f32 v142, 0x3fb8aa3b, v142 :: v_dual_mul_f32 v153, 0x3fb8aa3b, v153
	s_waitcnt lgkmcnt(0)
	s_barrier
	buffer_gl0_inv
	v_exp_f32_e32 v142, v142
	v_exp_f32_e32 v153, v153
	v_fmac_f32_e32 v130, v161, v155
	v_exp_f32_e32 v159, v159
	s_waitcnt_depctr 0xfff
	v_fmac_f32_e32 v130, v159, v156
	s_delay_alu instid0(VALU_DEP_1) | instskip(NEXT) | instid1(VALU_DEP_1)
	v_fmac_f32_e32 v130, v142, v157
	v_fmac_f32_e32 v130, v153, v158
	s_delay_alu instid0(VALU_DEP_1) | instskip(NEXT) | instid1(VALU_DEP_1)
	v_add_f32_e32 v154, 0x358637bd, v130
	v_div_scale_f32 v155, null, v154, v154, 1.0
	v_div_scale_f32 v158, vcc_lo, 1.0, v154, 1.0
	s_delay_alu instid0(VALU_DEP_2) | instskip(SKIP_2) | instid1(VALU_DEP_1)
	v_rcp_f32_e32 v156, v155
	s_waitcnt_depctr 0xfff
	v_fma_f32 v157, -v155, v156, 1.0
	v_fmac_f32_e32 v156, v157, v156
	v_cndmask_b32_e64 v157, v164, v163, s2
	v_cmp_eq_u32_e64 s2, 2, v140
	s_delay_alu instid0(VALU_DEP_3) | instskip(NEXT) | instid1(VALU_DEP_2)
	v_mul_f32_e32 v160, v158, v156
	v_cndmask_b32_e64 v157, v157, v165, s2
	v_cmp_eq_u32_e64 s2, 3, v140
	s_delay_alu instid0(VALU_DEP_3) | instskip(NEXT) | instid1(VALU_DEP_2)
	v_fma_f32 v162, -v155, v160, v158
	v_cndmask_b32_e64 v157, v157, v166, s2
	v_cmp_eq_u32_e64 s2, 4, v140
	s_delay_alu instid0(VALU_DEP_3) | instskip(NEXT) | instid1(VALU_DEP_2)
	v_fmac_f32_e32 v160, v162, v156
	v_cndmask_b32_e64 v157, v157, v161, s2
	s_delay_alu instid0(VALU_DEP_2) | instskip(SKIP_1) | instid1(VALU_DEP_2)
	v_fma_f32 v155, -v155, v160, v158
	v_cmp_eq_u32_e64 s2, 5, v140
	v_div_fmas_f32 v155, v155, v156, v160
	s_delay_alu instid0(VALU_DEP_2) | instskip(SKIP_2) | instid1(VALU_DEP_3)
	v_cndmask_b32_e64 v157, v157, v159, s2
	v_cmp_eq_u32_e32 vcc_lo, 6, v140
	s_mov_b32 s2, exec_lo
	v_div_fixup_f32 v154, v155, v154, 1.0
	s_delay_alu instid0(VALU_DEP_3) | instskip(SKIP_1) | instid1(VALU_DEP_2)
	v_cndmask_b32_e32 v142, v157, v142, vcc_lo
	v_cmp_eq_u32_e32 vcc_lo, 7, v140
	v_cndmask_b32_e32 v142, v142, v153, vcc_lo
	s_delay_alu instid0(VALU_DEP_1) | instskip(NEXT) | instid1(VALU_DEP_1)
	v_mul_f32_e32 v142, v142, v154
	v_mul_f32_e32 v151, v142, v151
	;; [unrolled: 1-line block ×7, first 2 shown]
	v_dual_mul_f32 v150, v142, v147 :: v_dual_and_b32 v155, 0x7f800000, v154
	v_mul_f32_e32 v149, v142, v146
                                        ; implicit-def: $vgpr146
	s_delay_alu instid0(VALU_DEP_2)
	v_cmpx_ne_u32_e32 0x7f800000, v155
	s_xor_b32 s2, exec_lo, s2
; %bb.13:
	v_bfe_u32 v146, v154, 16, 1
	s_delay_alu instid0(VALU_DEP_1)
	v_add3_u32 v146, v154, v146, 0x7fff
                                        ; implicit-def: $vgpr154
; %bb.14:
	s_and_not1_saveexec_b32 s2, s2
; %bb.15:
	v_and_b32_e32 v146, 0xffff, v154
	v_or_b32_e32 v147, 0x10000, v154
	s_delay_alu instid0(VALU_DEP_2) | instskip(NEXT) | instid1(VALU_DEP_2)
	v_cmp_eq_u32_e32 vcc_lo, 0, v146
	v_cndmask_b32_e32 v146, v147, v154, vcc_lo
; %bb.16:
	s_or_b32 exec_lo, exec_lo, s2
	v_and_b32_e32 v147, 0x7f800000, v149
	s_delay_alu instid0(VALU_DEP_1) | instskip(SKIP_1) | instid1(SALU_CYCLE_1)
	v_cmp_ne_u32_e32 vcc_lo, 0x7f800000, v147
                                        ; implicit-def: $vgpr147
	s_and_saveexec_b32 s2, vcc_lo
	s_xor_b32 s2, exec_lo, s2
; %bb.17:
	v_bfe_u32 v147, v149, 16, 1
	s_delay_alu instid0(VALU_DEP_1)
	v_add3_u32 v147, v149, v147, 0x7fff
                                        ; implicit-def: $vgpr149
; %bb.18:
	s_and_not1_saveexec_b32 s2, s2
; %bb.19:
	v_and_b32_e32 v147, 0xffff, v149
	v_or_b32_e32 v154, 0x10000, v149
	s_delay_alu instid0(VALU_DEP_2) | instskip(NEXT) | instid1(VALU_DEP_2)
	v_cmp_eq_u32_e32 vcc_lo, 0, v147
	v_cndmask_b32_e32 v147, v154, v149, vcc_lo
; %bb.20:
	s_or_b32 exec_lo, exec_lo, s2
	v_and_b32_e32 v149, 0x7f800000, v150
	s_delay_alu instid0(VALU_DEP_1) | instskip(SKIP_1) | instid1(SALU_CYCLE_1)
	v_cmp_ne_u32_e32 vcc_lo, 0x7f800000, v149
                                        ; implicit-def: $vgpr149
	s_and_saveexec_b32 s2, vcc_lo
	s_xor_b32 s2, exec_lo, s2
; %bb.21:
	v_bfe_u32 v149, v150, 16, 1
	s_delay_alu instid0(VALU_DEP_1)
	v_add3_u32 v149, v150, v149, 0x7fff
                                        ; implicit-def: $vgpr150
; %bb.22:
	s_and_not1_saveexec_b32 s2, s2
; %bb.23:
	v_and_b32_e32 v149, 0xffff, v150
	v_or_b32_e32 v154, 0x10000, v150
	s_delay_alu instid0(VALU_DEP_2) | instskip(NEXT) | instid1(VALU_DEP_2)
	v_cmp_eq_u32_e32 vcc_lo, 0, v149
	v_cndmask_b32_e32 v149, v154, v150, vcc_lo
; %bb.24:
	s_or_b32 exec_lo, exec_lo, s2
	v_and_b32_e32 v150, 0x7f800000, v153
	s_delay_alu instid0(VALU_DEP_1) | instskip(SKIP_1) | instid1(SALU_CYCLE_1)
	v_cmp_ne_u32_e32 vcc_lo, 0x7f800000, v150
                                        ; implicit-def: $vgpr150
	s_and_saveexec_b32 s2, vcc_lo
	s_xor_b32 s2, exec_lo, s2
; %bb.25:
	v_bfe_u32 v150, v153, 16, 1
	s_delay_alu instid0(VALU_DEP_1)
	v_add3_u32 v150, v153, v150, 0x7fff
                                        ; implicit-def: $vgpr153
; %bb.26:
	s_and_not1_saveexec_b32 s2, s2
; %bb.27:
	v_and_b32_e32 v150, 0xffff, v153
	v_or_b32_e32 v154, 0x10000, v153
	s_delay_alu instid0(VALU_DEP_2) | instskip(NEXT) | instid1(VALU_DEP_2)
	v_cmp_eq_u32_e32 vcc_lo, 0, v150
	v_cndmask_b32_e32 v150, v154, v153, vcc_lo
; %bb.28:
	s_or_b32 exec_lo, exec_lo, s2
	v_and_b32_e32 v153, 0x7f800000, v152
	s_delay_alu instid0(VALU_DEP_1) | instskip(SKIP_1) | instid1(SALU_CYCLE_1)
	v_cmp_ne_u32_e32 vcc_lo, 0x7f800000, v153
                                        ; implicit-def: $vgpr153
	s_and_saveexec_b32 s2, vcc_lo
	s_xor_b32 s2, exec_lo, s2
; %bb.29:
	v_bfe_u32 v153, v152, 16, 1
	s_delay_alu instid0(VALU_DEP_1)
	v_add3_u32 v153, v152, v153, 0x7fff
                                        ; implicit-def: $vgpr152
; %bb.30:
	s_and_not1_saveexec_b32 s2, s2
; %bb.31:
	v_and_b32_e32 v153, 0xffff, v152
	v_or_b32_e32 v154, 0x10000, v152
	s_delay_alu instid0(VALU_DEP_2) | instskip(NEXT) | instid1(VALU_DEP_2)
	v_cmp_eq_u32_e32 vcc_lo, 0, v153
	v_cndmask_b32_e32 v153, v154, v152, vcc_lo
; %bb.32:
	s_or_b32 exec_lo, exec_lo, s2
	v_and_b32_e32 v152, 0x7f800000, v151
	s_delay_alu instid0(VALU_DEP_1) | instskip(SKIP_1) | instid1(SALU_CYCLE_1)
	v_cmp_ne_u32_e32 vcc_lo, 0x7f800000, v152
                                        ; implicit-def: $vgpr152
	s_and_saveexec_b32 s2, vcc_lo
	s_xor_b32 s2, exec_lo, s2
; %bb.33:
	v_bfe_u32 v152, v151, 16, 1
	s_delay_alu instid0(VALU_DEP_1)
	v_add3_u32 v152, v151, v152, 0x7fff
                                        ; implicit-def: $vgpr151
; %bb.34:
	s_and_not1_saveexec_b32 s2, s2
; %bb.35:
	v_and_b32_e32 v152, 0xffff, v151
	v_or_b32_e32 v154, 0x10000, v151
	s_delay_alu instid0(VALU_DEP_2) | instskip(NEXT) | instid1(VALU_DEP_2)
	v_cmp_eq_u32_e32 vcc_lo, 0, v152
	v_cndmask_b32_e32 v152, v154, v151, vcc_lo
; %bb.36:
	s_or_b32 exec_lo, exec_lo, s2
	v_and_b32_e32 v151, 0x7f800000, v148
	s_delay_alu instid0(VALU_DEP_1) | instskip(SKIP_1) | instid1(SALU_CYCLE_1)
	v_cmp_ne_u32_e32 vcc_lo, 0x7f800000, v151
                                        ; implicit-def: $vgpr151
	s_and_saveexec_b32 s2, vcc_lo
	s_xor_b32 s2, exec_lo, s2
; %bb.37:
	v_bfe_u32 v151, v148, 16, 1
	s_delay_alu instid0(VALU_DEP_1)
	v_add3_u32 v151, v148, v151, 0x7fff
                                        ; implicit-def: $vgpr148
; %bb.38:
	s_and_not1_saveexec_b32 s2, s2
; %bb.39:
	v_and_b32_e32 v151, 0xffff, v148
	v_or_b32_e32 v154, 0x10000, v148
	s_delay_alu instid0(VALU_DEP_2) | instskip(NEXT) | instid1(VALU_DEP_2)
	v_cmp_eq_u32_e32 vcc_lo, 0, v151
	v_cndmask_b32_e32 v151, v154, v148, vcc_lo
; %bb.40:
	s_or_b32 exec_lo, exec_lo, s2
	v_and_b32_e32 v148, 0x7f800000, v143
	s_delay_alu instid0(VALU_DEP_1) | instskip(SKIP_1) | instid1(SALU_CYCLE_1)
	v_cmp_ne_u32_e32 vcc_lo, 0x7f800000, v148
                                        ; implicit-def: $vgpr148
	s_and_saveexec_b32 s2, vcc_lo
	s_xor_b32 s2, exec_lo, s2
; %bb.41:
	v_bfe_u32 v148, v143, 16, 1
	s_delay_alu instid0(VALU_DEP_1)
	v_add3_u32 v148, v143, v148, 0x7fff
                                        ; implicit-def: $vgpr143
; %bb.42:
	s_and_not1_saveexec_b32 s2, s2
; %bb.43:
	v_and_b32_e32 v148, 0xffff, v143
	v_or_b32_e32 v154, 0x10000, v143
	s_delay_alu instid0(VALU_DEP_2) | instskip(NEXT) | instid1(VALU_DEP_2)
	v_cmp_eq_u32_e32 vcc_lo, 0, v148
	v_cndmask_b32_e32 v148, v154, v143, vcc_lo
; %bb.44:
	s_or_b32 exec_lo, exec_lo, s2
	s_load_b64 s[34:35], s[0:1], 0x94
	v_dual_mul_f32 v144, v142, v144 :: v_dual_lshlrev_b32 v155, 4, v138
	s_delay_alu instid0(VALU_DEP_2)
	v_perm_b32 v154, v148, v151, 0x7060302
	v_dual_mul_f32 v136, v142, v136 :: v_dual_lshlrev_b32 v143, 6, v141
	v_lshlrev_b32_e32 v141, 11, v140
	v_perm_b32 v151, v147, v146, 0x7060302
	v_mul_f32_e32 v146, v142, v133
	v_mul_f32_e32 v147, v142, v131
	v_perm_b32 v153, v152, v153, 0x7060302
	v_perm_b32 v152, v150, v149, 0x7060302
	v_or3_b32 v131, v155, v141, v143
	s_delay_alu instid0(VALU_DEP_4)
	v_dual_mul_f32 v141, v142, v145 :: v_dual_and_b32 v148, 0x7f800000, v147
	v_mul_f32_e32 v135, v142, v135
	v_mul_f32_e32 v145, v142, v134
	;; [unrolled: 1-line block ×3, first 2 shown]
	s_mov_b32 s2, exec_lo
	ds_store_b128 v131, v[151:154]
                                        ; implicit-def: $vgpr132
	v_cmpx_ne_u32_e32 0x7f800000, v148
	s_xor_b32 s2, exec_lo, s2
; %bb.45:
	v_bfe_u32 v132, v147, 16, 1
	s_delay_alu instid0(VALU_DEP_1)
	v_add3_u32 v132, v147, v132, 0x7fff
                                        ; implicit-def: $vgpr147
; %bb.46:
	s_and_not1_saveexec_b32 s2, s2
; %bb.47:
	v_and_b32_e32 v132, 0xffff, v147
	v_or_b32_e32 v133, 0x10000, v147
	s_delay_alu instid0(VALU_DEP_2) | instskip(NEXT) | instid1(VALU_DEP_2)
	v_cmp_eq_u32_e32 vcc_lo, 0, v132
	v_cndmask_b32_e32 v132, v133, v147, vcc_lo
; %bb.48:
	s_or_b32 exec_lo, exec_lo, s2
	v_and_b32_e32 v133, 0x7f800000, v134
	s_delay_alu instid0(VALU_DEP_1) | instskip(SKIP_1) | instid1(SALU_CYCLE_1)
	v_cmp_ne_u32_e32 vcc_lo, 0x7f800000, v133
                                        ; implicit-def: $vgpr133
	s_and_saveexec_b32 s2, vcc_lo
	s_xor_b32 s2, exec_lo, s2
; %bb.49:
	v_bfe_u32 v133, v134, 16, 1
	s_delay_alu instid0(VALU_DEP_1)
	v_add3_u32 v133, v134, v133, 0x7fff
                                        ; implicit-def: $vgpr134
; %bb.50:
	s_and_not1_saveexec_b32 s2, s2
; %bb.51:
	v_and_b32_e32 v133, 0xffff, v134
	v_or_b32_e32 v142, 0x10000, v134
	s_delay_alu instid0(VALU_DEP_2) | instskip(NEXT) | instid1(VALU_DEP_2)
	v_cmp_eq_u32_e32 vcc_lo, 0, v133
	v_cndmask_b32_e32 v133, v142, v134, vcc_lo
; %bb.52:
	s_or_b32 exec_lo, exec_lo, s2
	v_and_b32_e32 v134, 0x7f800000, v146
	s_delay_alu instid0(VALU_DEP_1) | instskip(SKIP_1) | instid1(SALU_CYCLE_1)
	v_cmp_ne_u32_e32 vcc_lo, 0x7f800000, v134
                                        ; implicit-def: $vgpr134
	s_and_saveexec_b32 s2, vcc_lo
	s_xor_b32 s2, exec_lo, s2
; %bb.53:
	v_bfe_u32 v134, v146, 16, 1
	s_delay_alu instid0(VALU_DEP_1)
	v_add3_u32 v134, v146, v134, 0x7fff
                                        ; implicit-def: $vgpr146
; %bb.54:
	s_and_not1_saveexec_b32 s2, s2
; %bb.55:
	v_and_b32_e32 v134, 0xffff, v146
	v_or_b32_e32 v142, 0x10000, v146
	s_delay_alu instid0(VALU_DEP_2) | instskip(NEXT) | instid1(VALU_DEP_2)
	v_cmp_eq_u32_e32 vcc_lo, 0, v134
	v_cndmask_b32_e32 v134, v142, v146, vcc_lo
; %bb.56:
	s_or_b32 exec_lo, exec_lo, s2
	v_and_b32_e32 v142, 0x7f800000, v145
	s_delay_alu instid0(VALU_DEP_1) | instskip(SKIP_1) | instid1(SALU_CYCLE_1)
	v_cmp_ne_u32_e32 vcc_lo, 0x7f800000, v142
                                        ; implicit-def: $vgpr142
	s_and_saveexec_b32 s2, vcc_lo
	s_xor_b32 s2, exec_lo, s2
; %bb.57:
	v_bfe_u32 v142, v145, 16, 1
	s_delay_alu instid0(VALU_DEP_1)
	v_add3_u32 v142, v145, v142, 0x7fff
                                        ; implicit-def: $vgpr145
; %bb.58:
	s_and_not1_saveexec_b32 s2, s2
; %bb.59:
	v_and_b32_e32 v142, 0xffff, v145
	v_or_b32_e32 v146, 0x10000, v145
	s_delay_alu instid0(VALU_DEP_2) | instskip(NEXT) | instid1(VALU_DEP_2)
	v_cmp_eq_u32_e32 vcc_lo, 0, v142
	v_cndmask_b32_e32 v142, v146, v145, vcc_lo
; %bb.60:
	s_or_b32 exec_lo, exec_lo, s2
	v_and_b32_e32 v145, 0x7f800000, v135
	s_delay_alu instid0(VALU_DEP_1) | instskip(SKIP_1) | instid1(SALU_CYCLE_1)
	v_cmp_ne_u32_e32 vcc_lo, 0x7f800000, v145
                                        ; implicit-def: $vgpr145
	s_and_saveexec_b32 s2, vcc_lo
	s_xor_b32 s2, exec_lo, s2
; %bb.61:
	v_bfe_u32 v145, v135, 16, 1
	s_delay_alu instid0(VALU_DEP_1)
	v_add3_u32 v145, v135, v145, 0x7fff
                                        ; implicit-def: $vgpr135
; %bb.62:
	s_and_not1_saveexec_b32 s2, s2
; %bb.63:
	v_and_b32_e32 v145, 0xffff, v135
	v_or_b32_e32 v146, 0x10000, v135
	s_delay_alu instid0(VALU_DEP_2) | instskip(NEXT) | instid1(VALU_DEP_2)
	v_cmp_eq_u32_e32 vcc_lo, 0, v145
	v_cndmask_b32_e32 v145, v146, v135, vcc_lo
; %bb.64:
	s_or_b32 exec_lo, exec_lo, s2
	v_and_b32_e32 v135, 0x7f800000, v136
	s_delay_alu instid0(VALU_DEP_1) | instskip(SKIP_1) | instid1(SALU_CYCLE_1)
	v_cmp_ne_u32_e32 vcc_lo, 0x7f800000, v135
                                        ; implicit-def: $vgpr135
	s_and_saveexec_b32 s2, vcc_lo
	s_xor_b32 s2, exec_lo, s2
; %bb.65:
	v_bfe_u32 v135, v136, 16, 1
	s_delay_alu instid0(VALU_DEP_1)
	v_add3_u32 v135, v136, v135, 0x7fff
                                        ; implicit-def: $vgpr136
; %bb.66:
	s_and_not1_saveexec_b32 s2, s2
; %bb.67:
	v_and_b32_e32 v135, 0xffff, v136
	v_or_b32_e32 v146, 0x10000, v136
	s_delay_alu instid0(VALU_DEP_2) | instskip(NEXT) | instid1(VALU_DEP_2)
	v_cmp_eq_u32_e32 vcc_lo, 0, v135
	v_cndmask_b32_e32 v135, v146, v136, vcc_lo
; %bb.68:
	s_or_b32 exec_lo, exec_lo, s2
	v_and_b32_e32 v136, 0x7f800000, v144
	s_delay_alu instid0(VALU_DEP_1) | instskip(SKIP_1) | instid1(SALU_CYCLE_1)
	v_cmp_ne_u32_e32 vcc_lo, 0x7f800000, v136
                                        ; implicit-def: $vgpr136
	s_and_saveexec_b32 s2, vcc_lo
	s_xor_b32 s2, exec_lo, s2
; %bb.69:
	v_bfe_u32 v136, v144, 16, 1
	s_delay_alu instid0(VALU_DEP_1)
	v_add3_u32 v136, v144, v136, 0x7fff
                                        ; implicit-def: $vgpr144
; %bb.70:
	s_and_not1_saveexec_b32 s2, s2
; %bb.71:
	v_and_b32_e32 v136, 0xffff, v144
	v_or_b32_e32 v146, 0x10000, v144
	s_delay_alu instid0(VALU_DEP_2) | instskip(NEXT) | instid1(VALU_DEP_2)
	v_cmp_eq_u32_e32 vcc_lo, 0, v136
	v_cndmask_b32_e32 v136, v146, v144, vcc_lo
; %bb.72:
	s_or_b32 exec_lo, exec_lo, s2
	v_and_b32_e32 v144, 0x7f800000, v141
	s_delay_alu instid0(VALU_DEP_1) | instskip(SKIP_1) | instid1(SALU_CYCLE_1)
	v_cmp_ne_u32_e32 vcc_lo, 0x7f800000, v144
                                        ; implicit-def: $vgpr144
	s_and_saveexec_b32 s2, vcc_lo
	s_xor_b32 s2, exec_lo, s2
; %bb.73:
	v_bfe_u32 v144, v141, 16, 1
	s_delay_alu instid0(VALU_DEP_1)
	v_add3_u32 v144, v141, v144, 0x7fff
                                        ; implicit-def: $vgpr141
; %bb.74:
	s_and_not1_saveexec_b32 s2, s2
; %bb.75:
	v_and_b32_e32 v144, 0xffff, v141
	v_or_b32_e32 v146, 0x10000, v141
	s_delay_alu instid0(VALU_DEP_2) | instskip(NEXT) | instid1(VALU_DEP_2)
	v_cmp_eq_u32_e32 vcc_lo, 0, v144
	v_cndmask_b32_e32 v144, v146, v141, vcc_lo
; %bb.76:
	s_or_b32 exec_lo, exec_lo, s2
	s_delay_alu instid0(VALU_DEP_1)
	v_perm_b32 v136, v144, v136, 0x7060302
	v_perm_b32 v135, v135, v145, 0x7060302
	;; [unrolled: 1-line block ×4, first 2 shown]
	v_lshl_or_b32 v144, v140, 11, v143
	v_lshlrev_b32_e32 v141, 2, v138
	ds_store_b128 v131, v[133:136] offset:1024
	s_waitcnt lgkmcnt(0)
	s_barrier
	buffer_gl0_inv
	ds_load_b128 v[132:135], v144
	ds_load_b128 v[146:149], v144 offset:16
	v_or_b32_e32 v142, 1, v141
	v_cmp_eq_u32_e64 s11, 1, v141
	v_cmp_eq_u32_e64 s10, 2, v141
	;; [unrolled: 1-line block ×3, first 2 shown]
	v_or_b32_e32 v140, 2, v141
	v_cmp_eq_u32_e64 s6, 1, v142
	v_cmp_eq_u32_e64 s5, 2, v142
	v_cmp_eq_u32_e64 s16, 4, v141
	v_cmp_eq_u32_e64 s4, 3, v142
	v_cmp_eq_u32_e64 s12, 5, v141
	v_cmp_eq_u32_e64 s7, 1, v140
	v_cmp_eq_u32_e64 s2, 4, v142
	v_cmp_eq_u32_e64 s13, 6, v141
	v_cmp_eq_u32_e32 vcc_lo, 5, v142
	v_cmp_eq_u32_e64 s9, 2, v140
	v_cmp_eq_u32_e64 s3, 6, v142
	;; [unrolled: 1-line block ×4, first 2 shown]
	s_waitcnt lgkmcnt(1)
	v_lshrrev_b32_e32 v136, 16, v132
	s_waitcnt lgkmcnt(0)
	v_lshrrev_b32_e32 v154, 16, v146
	v_lshrrev_b32_e32 v160, 16, v147
	;; [unrolled: 1-line block ×4, first 2 shown]
	v_cndmask_b32_e64 v145, v132, v136, s11
	v_cndmask_b32_e64 v150, v146, v154, s11
	;; [unrolled: 1-line block ×4, first 2 shown]
	v_lshrrev_b32_e32 v159, 16, v134
	v_cndmask_b32_e64 v145, v145, v133, s10
	v_cndmask_b32_e64 v150, v150, v147, s10
	;; [unrolled: 1-line block ×8, first 2 shown]
	v_lshrrev_b32_e32 v163, 16, v149
	v_cndmask_b32_e64 v152, v152, v160, s4
	v_cndmask_b32_e64 v145, v145, v134, s16
	;; [unrolled: 1-line block ×5, first 2 shown]
	v_lshrrev_b32_e32 v161, 16, v135
	v_cndmask_b32_e64 v145, v145, v159, s12
	v_cndmask_b32_e64 v150, v150, v162, s12
	v_cndmask_b32_e32 v151, v151, v159, vcc_lo
	v_cndmask_b32_e64 v152, v152, v148, s2
	v_cmp_eq_u32_e64 s18, 7, v142
	v_cndmask_b32_e64 v145, v145, v135, s13
	v_cndmask_b32_e64 v150, v150, v149, s13
	;; [unrolled: 1-line block ×4, first 2 shown]
	v_cmp_eq_u32_e64 s19, 4, v140
	v_cndmask_b32_e64 v164, v145, v161, s8
	v_cndmask_b32_e64 v165, v150, v163, s8
	;; [unrolled: 1-line block ×3, first 2 shown]
	v_or_b32_e32 v145, 3, v141
	v_cndmask_b32_e64 v166, v151, v161, s18
	v_cndmask_b32_e32 v155, v152, v162, vcc_lo
	v_cndmask_b32_e64 v157, v153, v134, s19
	v_cndmask_b32_e64 v156, v150, v147, s9
	ds_load_b128 v[150:153], v144 offset:1024
	v_cmp_eq_u32_e64 s20, 1, v145
	v_cmp_eq_u32_e64 s21, 5, v140
	;; [unrolled: 1-line block ×3, first 2 shown]
	v_cndmask_b32_e64 v156, v156, v160, s17
	v_cmp_eq_u32_e64 s23, 3, v145
	v_cndmask_b32_e64 v132, v132, v136, s20
	v_cndmask_b32_e64 v136, v155, v149, s3
	v_cndmask_b32_e64 v167, v157, v159, s21
	v_cndmask_b32_e64 v168, v156, v148, s19
	v_cndmask_b32_e64 v146, v146, v154, s20
	ds_load_b128 v[154:157], v144 offset:1040
	v_cndmask_b32_e64 v132, v132, v133, s22
	v_cmp_eq_u32_e64 s25, 4, v145
	v_cmp_eq_u32_e64 s27, 5, v145
	v_cndmask_b32_e64 v146, v146, v147, s22
	v_cmp_eq_u32_e64 s24, 6, v140
	v_cndmask_b32_e64 v132, v132, v158, s23
	;; [unrolled: 2-line block ×3, first 2 shown]
	v_cndmask_b32_e64 v146, v146, v160, s23
	s_waitcnt lgkmcnt(1)
	v_lshrrev_b32_e32 v158, 16, v150
	v_cndmask_b32_e64 v132, v132, v134, s25
	v_cndmask_b32_e64 v147, v167, v135, s24
	;; [unrolled: 1-line block ×6, first 2 shown]
	v_lshrrev_b32_e32 v159, 16, v151
	v_cndmask_b32_e64 v160, v150, v158, s6
	v_cndmask_b32_e64 v134, v134, v162, s27
	s_waitcnt lgkmcnt(0)
	v_lshrrev_b32_e32 v148, 16, v154
	v_cndmask_b32_e64 v146, v146, v151, s10
	v_cndmask_b32_e64 v132, v132, v135, s28
	v_cmp_eq_u32_e64 s26, 7, v140
	v_cndmask_b32_e64 v134, v134, v149, s28
	v_cndmask_b32_e64 v162, v154, v148, s11
	;; [unrolled: 1-line block ×4, first 2 shown]
	v_lshrrev_b32_e32 v160, 16, v155
	v_cndmask_b32_e64 v136, v136, v163, s18
	v_cndmask_b32_e64 v149, v162, v155, s10
	v_cmp_eq_u32_e64 s10, 7, v145
	v_cndmask_b32_e64 v146, v146, v159, s4
	v_cndmask_b32_e64 v135, v135, v152, s16
	v_lshrrev_b32_e32 v162, 16, v152
	v_cndmask_b32_e64 v149, v149, v160, s15
	v_cndmask_b32_e64 v132, v132, v161, s10
	;; [unrolled: 1-line block ×8, first 2 shown]
	v_lshrrev_b32_e32 v163, 16, v156
	v_perm_b32 v135, v134, v132, 0x5040100
	v_cndmask_b32_e32 v132, v146, v162, vcc_lo
	v_cndmask_b32_e64 v146, v161, v153, s13
	v_lshrrev_b32_e32 v161, 16, v153
	v_cndmask_b32_e64 v149, v149, v163, s12
	v_perm_b32 v134, v133, v147, 0x5040100
	v_cndmask_b32_e64 v132, v132, v153, s3
	v_perm_b32 v133, v136, v166, 0x5040100
	v_cndmask_b32_e64 v136, v146, v161, s8
	v_cndmask_b32_e64 v146, v149, v157, s13
	v_cndmask_b32_e64 v149, v150, v158, s20
	v_cndmask_b32_e64 v166, v132, v161, s18
	v_cndmask_b32_e64 v132, v150, v158, s7
	v_cndmask_b32_e64 v150, v154, v148, s20
	v_cndmask_b32_e64 v158, v154, v148, s7
	v_cndmask_b32_e64 v148, v154, v148, s6
	v_cndmask_b32_e64 v149, v149, v151, s22
	v_cndmask_b32_e64 v132, v132, v151, s9
	v_cndmask_b32_e64 v150, v150, v155, s22
	v_cndmask_b32_e64 v151, v158, v155, s9
	v_cndmask_b32_e64 v148, v148, v155, s5
	v_cndmask_b32_e64 v149, v149, v159, s23
	v_cndmask_b32_e64 v132, v132, v159, s17
	v_cndmask_b32_e64 v150, v150, v160, s23
	v_cndmask_b32_e64 v151, v151, v160, s17
	v_cndmask_b32_e64 v148, v148, v160, s4
	v_cndmask_b32_e64 v149, v149, v152, s25
	v_cndmask_b32_e64 v132, v132, v152, s19
	v_cndmask_b32_e64 v150, v150, v156, s25
	v_cndmask_b32_e64 v151, v151, v156, s19
	v_cndmask_b32_e64 v148, v148, v156, s2
	v_cndmask_b32_e64 v149, v149, v162, s27
	v_cndmask_b32_e64 v132, v132, v162, s21
	v_cndmask_b32_e64 v150, v150, v163, s27
	v_cndmask_b32_e64 v151, v151, v163, s21
	v_cndmask_b32_e32 v148, v148, v163, vcc_lo
	v_lshrrev_b32_e32 v147, 16, v157
	v_cndmask_b32_e64 v132, v132, v153, s24
	v_cndmask_b32_e64 v149, v149, v153, s28
	;; [unrolled: 1-line block ×11, first 2 shown]
	v_perm_b32 v132, v165, v164, 0x5040100
	v_perm_b32 v149, v150, v149, 0x5040100
	;; [unrolled: 1-line block ×5, first 2 shown]
	s_lshl_b32 s7, s35, 3
	s_mov_b32 s2, exec_lo
	ds_store_b128 v131, v[132:135]
	ds_store_b128 v131, v[146:149] offset:1024
	v_cmpx_gt_u32_e32 8, v0
	s_cbranch_execz .LBB641_78
; %bb.77:
	v_or_b32_e32 v131, s29, v0
	s_load_b128 s[8:11], s[0:1], 0x58
	s_delay_alu instid0(VALU_DEP_1) | instskip(NEXT) | instid1(VALU_DEP_1)
	v_mad_u64_u32 v[132:133], null, s7, s30, v[131:132]
	v_mad_u64_u32 v[133:134], null, v132, s34, s[14:15]
	s_delay_alu instid0(VALU_DEP_1) | instskip(NEXT) | instid1(VALU_DEP_1)
	v_ashrrev_i32_e32 v134, 31, v133
	v_lshlrev_b64 v[131:132], 2, v[133:134]
	s_waitcnt lgkmcnt(0)
	s_delay_alu instid0(VALU_DEP_1) | instskip(NEXT) | instid1(VALU_DEP_2)
	v_add_co_u32 v133, vcc_lo, s10, v131
	v_add_co_ci_u32_e32 v134, vcc_lo, s11, v132, vcc_lo
	v_add_co_u32 v131, vcc_lo, s8, v131
	v_add_co_ci_u32_e32 v132, vcc_lo, s9, v132, vcc_lo
	global_store_b32 v[133:134], v129, off
	global_store_b32 v[131:132], v130, off
.LBB641_78:
	s_or_b32 exec_lo, exec_lo, s2
	s_waitcnt lgkmcnt(0)
	s_waitcnt_vscnt null, 0x0
	s_barrier
	buffer_gl0_inv
	ds_load_b128 v[146:149], v143
	ds_load_b128 v[150:153], v143 offset:16
	ds_load_b128 v[158:161], v143 offset:1040
	;; [unrolled: 1-line block ×3, first 2 shown]
	v_mov_b32_e32 v129, 0
	ds_load_b128 v[166:169], v143 offset:2064
	ds_load_b128 v[162:165], v143 offset:2048
	;; [unrolled: 1-line block ×6, first 2 shown]
	v_mov_b32_e32 v130, v129
	v_mov_b32_e32 v131, v129
	;; [unrolled: 1-line block ×7, first 2 shown]
	s_waitcnt lgkmcnt(8)
	s_delay_alu instid0(VALU_DEP_1)
	v_wmma_f32_16x16x16_bf16 v[129:136], v[121:128], v[146:153], v[129:136]
	ds_load_b128 v[125:128], v143 offset:5136
	ds_load_b128 v[121:124], v143 offset:5120
	s_waitcnt lgkmcnt(8)
	v_wmma_f32_16x16x16_bf16 v[129:136], v[113:120], v[154:161], v[129:136]
	ds_load_b128 v[117:120], v143 offset:6160
	ds_load_b128 v[113:116], v143 offset:6144
	s_waitcnt lgkmcnt(8)
	;; [unrolled: 4-line block ×8, first 2 shown]
	v_wmma_f32_16x16x16_bf16 v[129:136], v[65:72], v[97:104], v[129:136]
	s_waitcnt lgkmcnt(6)
	s_delay_alu instid0(VALU_DEP_1)
	v_wmma_f32_16x16x16_bf16 v[129:136], v[49:56], v[89:96], v[129:136]
	ds_load_b128 v[53:56], v143 offset:13328
	ds_load_b128 v[49:52], v143 offset:13312
	s_waitcnt lgkmcnt(6)
	v_wmma_f32_16x16x16_bf16 v[129:136], v[41:48], v[81:88], v[129:136]
	ds_load_b128 v[45:48], v143 offset:14352
	ds_load_b128 v[41:44], v143 offset:14336
	s_waitcnt lgkmcnt(6)
	;; [unrolled: 4-line block ×3, first 2 shown]
	v_wmma_f32_16x16x16_bf16 v[129:136], v[1:8], v[57:64], v[129:136]
	s_waitcnt lgkmcnt(4)
	s_delay_alu instid0(VALU_DEP_1) | instskip(SKIP_1) | instid1(VALU_DEP_1)
	v_wmma_f32_16x16x16_bf16 v[129:136], v[25:32], v[49:56], v[129:136]
	s_waitcnt lgkmcnt(2)
	v_wmma_f32_16x16x16_bf16 v[129:136], v[33:40], v[41:48], v[129:136]
	s_waitcnt lgkmcnt(0)
	s_delay_alu instid0(VALU_DEP_1) | instskip(NEXT) | instid1(VALU_DEP_1)
	v_wmma_f32_16x16x16_bf16 v[129:136], v[9:16], v[17:24], v[129:136]
	v_and_b32_e32 v1, 0x7f800000, v129
	s_delay_alu instid0(VALU_DEP_1) | instskip(SKIP_1) | instid1(SALU_CYCLE_1)
	v_cmp_ne_u32_e32 vcc_lo, 0x7f800000, v1
                                        ; implicit-def: $vgpr1
	s_and_saveexec_b32 s2, vcc_lo
	s_xor_b32 s2, exec_lo, s2
; %bb.79:
	v_bfe_u32 v1, v129, 16, 1
	s_delay_alu instid0(VALU_DEP_1)
	v_add3_u32 v1, v129, v1, 0x7fff
; %bb.80:
	s_and_not1_saveexec_b32 s2, s2
; %bb.81:
	v_and_b32_e32 v1, 0xffff, v129
	v_or_b32_e32 v2, 0x10000, v129
	s_delay_alu instid0(VALU_DEP_2) | instskip(NEXT) | instid1(VALU_DEP_2)
	v_cmp_eq_u32_e32 vcc_lo, 0, v1
	v_cndmask_b32_e32 v1, v2, v129, vcc_lo
; %bb.82:
	s_or_b32 exec_lo, exec_lo, s2
	v_and_b32_e32 v2, 0x7f800000, v130
	s_delay_alu instid0(VALU_DEP_1) | instskip(SKIP_1) | instid1(SALU_CYCLE_1)
	v_cmp_ne_u32_e32 vcc_lo, 0x7f800000, v2
                                        ; implicit-def: $vgpr2
	s_and_saveexec_b32 s2, vcc_lo
	s_xor_b32 s2, exec_lo, s2
; %bb.83:
	v_bfe_u32 v2, v130, 16, 1
	s_delay_alu instid0(VALU_DEP_1)
	v_add3_u32 v2, v130, v2, 0x7fff
; %bb.84:
	s_and_not1_saveexec_b32 s2, s2
; %bb.85:
	v_and_b32_e32 v2, 0xffff, v130
	v_or_b32_e32 v3, 0x10000, v130
	s_delay_alu instid0(VALU_DEP_2) | instskip(NEXT) | instid1(VALU_DEP_2)
	v_cmp_eq_u32_e32 vcc_lo, 0, v2
	v_cndmask_b32_e32 v2, v3, v130, vcc_lo
; %bb.86:
	s_or_b32 exec_lo, exec_lo, s2
	v_and_b32_e32 v3, 0x7f800000, v131
	s_delay_alu instid0(VALU_DEP_1) | instskip(SKIP_1) | instid1(SALU_CYCLE_1)
	v_cmp_ne_u32_e32 vcc_lo, 0x7f800000, v3
                                        ; implicit-def: $vgpr3
	s_and_saveexec_b32 s2, vcc_lo
	s_xor_b32 s2, exec_lo, s2
; %bb.87:
	v_bfe_u32 v3, v131, 16, 1
	s_delay_alu instid0(VALU_DEP_1)
	v_add3_u32 v3, v131, v3, 0x7fff
; %bb.88:
	s_and_not1_saveexec_b32 s2, s2
; %bb.89:
	v_and_b32_e32 v3, 0xffff, v131
	v_or_b32_e32 v4, 0x10000, v131
	s_delay_alu instid0(VALU_DEP_2) | instskip(NEXT) | instid1(VALU_DEP_2)
	v_cmp_eq_u32_e32 vcc_lo, 0, v3
	v_cndmask_b32_e32 v3, v4, v131, vcc_lo
; %bb.90:
	s_or_b32 exec_lo, exec_lo, s2
	v_and_b32_e32 v4, 0x7f800000, v132
	s_delay_alu instid0(VALU_DEP_1) | instskip(SKIP_1) | instid1(SALU_CYCLE_1)
	v_cmp_ne_u32_e32 vcc_lo, 0x7f800000, v4
                                        ; implicit-def: $vgpr4
	s_and_saveexec_b32 s2, vcc_lo
	s_xor_b32 s2, exec_lo, s2
; %bb.91:
	v_bfe_u32 v4, v132, 16, 1
	s_delay_alu instid0(VALU_DEP_1)
	v_add3_u32 v4, v132, v4, 0x7fff
; %bb.92:
	s_and_not1_saveexec_b32 s2, s2
; %bb.93:
	v_and_b32_e32 v4, 0xffff, v132
	v_or_b32_e32 v5, 0x10000, v132
	s_delay_alu instid0(VALU_DEP_2) | instskip(NEXT) | instid1(VALU_DEP_2)
	v_cmp_eq_u32_e32 vcc_lo, 0, v4
	v_cndmask_b32_e32 v4, v5, v132, vcc_lo
; %bb.94:
	s_or_b32 exec_lo, exec_lo, s2
	v_and_b32_e32 v5, 0x7f800000, v133
	s_delay_alu instid0(VALU_DEP_1) | instskip(SKIP_1) | instid1(SALU_CYCLE_1)
	v_cmp_ne_u32_e32 vcc_lo, 0x7f800000, v5
                                        ; implicit-def: $vgpr5
	s_and_saveexec_b32 s2, vcc_lo
	s_xor_b32 s2, exec_lo, s2
; %bb.95:
	v_bfe_u32 v5, v133, 16, 1
	s_delay_alu instid0(VALU_DEP_1)
	v_add3_u32 v5, v133, v5, 0x7fff
; %bb.96:
	s_and_not1_saveexec_b32 s2, s2
; %bb.97:
	v_and_b32_e32 v5, 0xffff, v133
	v_or_b32_e32 v6, 0x10000, v133
	s_delay_alu instid0(VALU_DEP_2) | instskip(NEXT) | instid1(VALU_DEP_2)
	v_cmp_eq_u32_e32 vcc_lo, 0, v5
	v_cndmask_b32_e32 v5, v6, v133, vcc_lo
; %bb.98:
	s_or_b32 exec_lo, exec_lo, s2
	v_and_b32_e32 v6, 0x7f800000, v134
	s_delay_alu instid0(VALU_DEP_1) | instskip(SKIP_1) | instid1(SALU_CYCLE_1)
	v_cmp_ne_u32_e32 vcc_lo, 0x7f800000, v6
                                        ; implicit-def: $vgpr6
	s_and_saveexec_b32 s2, vcc_lo
	s_xor_b32 s2, exec_lo, s2
; %bb.99:
	v_bfe_u32 v6, v134, 16, 1
	s_delay_alu instid0(VALU_DEP_1)
	v_add3_u32 v6, v134, v6, 0x7fff
; %bb.100:
	s_and_not1_saveexec_b32 s2, s2
; %bb.101:
	v_and_b32_e32 v6, 0xffff, v134
	v_or_b32_e32 v7, 0x10000, v134
	s_delay_alu instid0(VALU_DEP_2) | instskip(NEXT) | instid1(VALU_DEP_2)
	v_cmp_eq_u32_e32 vcc_lo, 0, v6
	v_cndmask_b32_e32 v6, v7, v134, vcc_lo
; %bb.102:
	s_or_b32 exec_lo, exec_lo, s2
	v_and_b32_e32 v7, 0x7f800000, v135
	s_delay_alu instid0(VALU_DEP_1) | instskip(SKIP_1) | instid1(SALU_CYCLE_1)
	v_cmp_ne_u32_e32 vcc_lo, 0x7f800000, v7
                                        ; implicit-def: $vgpr7
	s_and_saveexec_b32 s2, vcc_lo
	s_xor_b32 s2, exec_lo, s2
; %bb.103:
	v_bfe_u32 v7, v135, 16, 1
	s_delay_alu instid0(VALU_DEP_1)
	v_add3_u32 v7, v135, v7, 0x7fff
; %bb.104:
	s_and_not1_saveexec_b32 s2, s2
; %bb.105:
	v_and_b32_e32 v7, 0xffff, v135
	v_or_b32_e32 v8, 0x10000, v135
	s_delay_alu instid0(VALU_DEP_2) | instskip(NEXT) | instid1(VALU_DEP_2)
	v_cmp_eq_u32_e32 vcc_lo, 0, v7
	v_cndmask_b32_e32 v7, v8, v135, vcc_lo
; %bb.106:
	s_or_b32 exec_lo, exec_lo, s2
	v_and_b32_e32 v8, 0x7f800000, v136
	s_delay_alu instid0(VALU_DEP_1) | instskip(SKIP_1) | instid1(SALU_CYCLE_1)
	v_cmp_ne_u32_e32 vcc_lo, 0x7f800000, v8
                                        ; implicit-def: $vgpr8
	s_and_saveexec_b32 s2, vcc_lo
	s_xor_b32 s2, exec_lo, s2
; %bb.107:
	v_bfe_u32 v8, v136, 16, 1
	s_delay_alu instid0(VALU_DEP_1)
	v_add3_u32 v8, v136, v8, 0x7fff
                                        ; implicit-def: $vgpr129_vgpr130_vgpr131_vgpr132_vgpr133_vgpr134_vgpr135_vgpr136
; %bb.108:
	s_and_not1_saveexec_b32 s2, s2
; %bb.109:
	v_and_b32_e32 v8, 0xffff, v136
	v_or_b32_e32 v9, 0x10000, v136
	s_delay_alu instid0(VALU_DEP_2) | instskip(NEXT) | instid1(VALU_DEP_2)
	v_cmp_eq_u32_e32 vcc_lo, 0, v8
	v_cndmask_b32_e32 v8, v9, v136, vcc_lo
; %bb.110:
	s_or_b32 exec_lo, exec_lo, s2
	s_delay_alu instid0(VALU_DEP_1)
	v_perm_b32 v7, v8, v7, 0x7060302
	v_perm_b32 v6, v6, v5, 0x7060302
	;; [unrolled: 1-line block ×4, first 2 shown]
	v_lshl_or_b32 v9, v138, 4, v144
	s_barrier
	buffer_gl0_inv
	v_cmp_eq_u32_e32 vcc_lo, 1, v141
	ds_store_b128 v9, v[4:7]
	s_waitcnt lgkmcnt(0)
	s_barrier
	buffer_gl0_inv
	ds_load_b128 v[1:4], v144
	ds_load_b128 v[5:8], v144 offset:16
	v_cmp_eq_u32_e64 s3, 2, v141
	v_cmp_eq_u32_e64 s2, 1, v142
	;; [unrolled: 1-line block ×5, first 2 shown]
	s_waitcnt lgkmcnt(1)
	v_lshrrev_b32_e32 v10, 16, v1
	s_waitcnt lgkmcnt(0)
	v_lshrrev_b32_e32 v14, 16, v5
	v_lshrrev_b32_e32 v15, 16, v6
	v_lshrrev_b32_e32 v11, 16, v2
	v_lshrrev_b32_e32 v12, 16, v3
	v_cndmask_b32_e64 v20, v1, v10, s2
	v_cndmask_b32_e32 v19, v5, v14, vcc_lo
	v_cndmask_b32_e64 v21, v5, v14, s2
	v_lshrrev_b32_e32 v16, 16, v7
	v_cmp_eq_u32_e64 s2, 1, v140
	v_lshrrev_b32_e32 v13, 16, v4
	v_cndmask_b32_e64 v19, v19, v6, s3
	v_lshrrev_b32_e32 v17, 16, v8
	s_delay_alu instid0(VALU_DEP_4) | instskip(SKIP_1) | instid1(VALU_DEP_4)
	v_cndmask_b32_e64 v22, v1, v10, s2
	v_cndmask_b32_e64 v23, v5, v14, s2
	;; [unrolled: 1-line block ×3, first 2 shown]
	v_cndmask_b32_e32 v18, v1, v10, vcc_lo
	v_cmp_eq_u32_e32 vcc_lo, 2, v142
	v_cmp_eq_u32_e64 s2, 2, v145
	v_cndmask_b32_e64 v22, v22, v2, s6
	v_cndmask_b32_e32 v20, v20, v2, vcc_lo
	v_cndmask_b32_e32 v21, v21, v6, vcc_lo
	v_cmp_eq_u32_e32 vcc_lo, 4, v141
	v_cndmask_b32_e32 v19, v19, v7, vcc_lo
	v_cndmask_b32_e64 v18, v18, v2, s3
	v_cmp_eq_u32_e64 s3, 3, v142
	s_delay_alu instid0(VALU_DEP_2) | instskip(NEXT) | instid1(VALU_DEP_2)
	v_cndmask_b32_e64 v18, v18, v11, s4
	v_cndmask_b32_e64 v21, v21, v15, s3
	v_cmp_eq_u32_e64 s4, 5, v141
	s_delay_alu instid0(VALU_DEP_3) | instskip(SKIP_1) | instid1(VALU_DEP_3)
	v_cndmask_b32_e32 v18, v18, v3, vcc_lo
	v_cmp_eq_u32_e32 vcc_lo, 4, v142
	v_cndmask_b32_e64 v19, v19, v16, s4
	s_delay_alu instid0(VALU_DEP_3) | instskip(SKIP_4) | instid1(VALU_DEP_3)
	v_cndmask_b32_e64 v18, v18, v12, s4
	v_cndmask_b32_e32 v21, v21, v7, vcc_lo
	v_cndmask_b32_e64 v20, v20, v11, s3
	v_cmp_eq_u32_e64 s3, 5, v142
	v_cmp_eq_u32_e64 s4, 6, v141
	v_cndmask_b32_e32 v20, v20, v3, vcc_lo
	s_delay_alu instid0(VALU_DEP_3) | instskip(SKIP_1) | instid1(VALU_DEP_4)
	v_cndmask_b32_e64 v21, v21, v16, s3
	v_cmp_eq_u32_e32 vcc_lo, 6, v142
	v_cndmask_b32_e64 v18, v18, v4, s4
	v_cndmask_b32_e64 v19, v19, v8, s4
	;; [unrolled: 1-line block ×3, first 2 shown]
	v_cmp_eq_u32_e64 s3, 1, v145
	v_cmp_eq_u32_e64 s4, 7, v141
	s_delay_alu instid0(VALU_DEP_3) | instskip(NEXT) | instid1(VALU_DEP_3)
	v_cndmask_b32_e32 v20, v20, v4, vcc_lo
	v_cndmask_b32_e64 v1, v1, v10, s3
	v_cndmask_b32_e64 v5, v5, v14, s3
	v_cmp_eq_u32_e64 s3, 3, v140
	v_cndmask_b32_e64 v14, v23, v6, s6
	v_cmp_eq_u32_e64 s6, 3, v145
	v_cndmask_b32_e64 v1, v1, v2, s2
	v_cndmask_b32_e64 v2, v5, v6, s2
	;; [unrolled: 1-line block ×3, first 2 shown]
	v_cmp_eq_u32_e64 s2, 4, v140
	v_cndmask_b32_e64 v6, v14, v15, s3
	v_cndmask_b32_e64 v1, v1, v11, s6
	v_cmp_eq_u32_e64 s3, 4, v145
	v_cndmask_b32_e64 v2, v2, v15, s6
	v_cndmask_b32_e64 v5, v10, v3, s2
	;; [unrolled: 3-line block ×3, first 2 shown]
	v_cndmask_b32_e64 v2, v2, v7, s3
	v_cmp_eq_u32_e64 s2, 5, v145
	v_cndmask_b32_e64 v5, v5, v12, s6
	v_cmp_eq_u32_e64 s3, 6, v140
	;; [unrolled: 2-line block ×3, first 2 shown]
	v_cndmask_b32_e64 v1, v1, v12, s2
	v_cndmask_b32_e64 v2, v2, v16, s2
	v_cndmask_b32_e64 v5, v5, v4, s3
	v_cndmask_b32_e64 v3, v3, v8, s3
	v_cmp_eq_u32_e64 s2, 7, v145
	v_cndmask_b32_e64 v1, v1, v4, s6
	v_cndmask_b32_e64 v2, v2, v8, s6
	v_cmp_eq_u32_e64 s3, 7, v140
	v_cndmask_b32_e32 v4, v21, v8, vcc_lo
	v_cndmask_b32_e64 v18, v18, v13, s4
	v_cndmask_b32_e64 v20, v20, v13, s5
	;; [unrolled: 1-line block ×8, first 2 shown]
	s_mov_b32 s2, exec_lo
	v_perm_b32 v4, v2, v1, 0x5040100
	v_perm_b32 v3, v3, v5, 0x5040100
	v_perm_b32 v2, v6, v20, 0x5040100
	v_perm_b32 v1, v7, v18, 0x5040100
	ds_store_b128 v9, v[1:4]
	s_waitcnt lgkmcnt(0)
	s_barrier
	buffer_gl0_inv
	v_cmpx_gt_u32_e32 32, v0
	s_cbranch_execz .LBB641_2
; %bb.111:
	s_load_b64 s[0:1], s[0:1], 0x68
	s_lshl_b32 s4, s34, 7
	v_or_b32_e32 v2, s29, v138
	s_mul_i32 s2, s4, s30
	v_lshlrev_b32_e32 v1, 10, v0
	s_mul_i32 s2, s2, s7
	v_lshlrev_b32_e32 v3, 4, v139
	v_mul_lo_u32 v0, v2, s4
	s_ashr_i32 s3, s2, 31
	v_lshlrev_b32_e32 v4, 6, v138
	v_and_b32_e32 v1, 0x3800, v1
	v_or_b32_e32 v5, 2, v2
	s_lshl_b64 s[2:3], s[2:3], 1
	v_or_b32_e32 v6, 4, v2
	v_or_b32_e32 v7, 6, v2
	v_or3_b32 v12, v1, v3, v4
	v_ashrrev_i32_e32 v1, 31, v0
	v_mul_lo_u32 v2, v5, s4
	v_mul_lo_u32 v16, v6, s4
	;; [unrolled: 1-line block ×3, first 2 shown]
	s_waitcnt lgkmcnt(0)
	s_add_u32 s2, s0, s2
	s_addc_u32 s3, s1, s3
	s_lshl_b32 s0, s14, 7
	v_lshlrev_b64 v[0:1], 1, v[0:1]
	s_ashr_i32 s1, s0, 31
	v_ashrrev_i32_e32 v3, 31, v2
	s_lshl_b64 s[0:1], s[0:1], 1
	v_ashrrev_i32_e32 v17, 31, v16
	s_add_u32 s0, s2, s0
	s_addc_u32 s1, s3, s1
	v_add_co_u32 v24, s0, s0, v137
	s_delay_alu instid0(VALU_DEP_1) | instskip(SKIP_1) | instid1(VALU_DEP_3)
	v_add_co_ci_u32_e64 v25, null, s1, 0, s0
	v_lshlrev_b64 v[22:23], 1, v[2:3]
	v_add_co_u32 v18, vcc_lo, v24, v0
	s_delay_alu instid0(VALU_DEP_3)
	v_add_co_ci_u32_e32 v19, vcc_lo, v25, v1, vcc_lo
	ds_load_b128 v[0:3], v12
	ds_load_b128 v[4:7], v12 offset:128
	ds_load_b128 v[8:11], v12 offset:256
	;; [unrolled: 1-line block ×3, first 2 shown]
	v_ashrrev_i32_e32 v21, 31, v20
	v_lshlrev_b64 v[16:17], 1, v[16:17]
	v_add_co_u32 v22, vcc_lo, v24, v22
	v_add_co_ci_u32_e32 v23, vcc_lo, v25, v23, vcc_lo
	s_delay_alu instid0(VALU_DEP_4) | instskip(NEXT) | instid1(VALU_DEP_4)
	v_lshlrev_b64 v[20:21], 1, v[20:21]
	v_add_co_u32 v16, vcc_lo, v24, v16
	v_add_co_ci_u32_e32 v17, vcc_lo, v25, v17, vcc_lo
	s_delay_alu instid0(VALU_DEP_3) | instskip(NEXT) | instid1(VALU_DEP_4)
	v_add_co_u32 v20, vcc_lo, v24, v20
	v_add_co_ci_u32_e32 v21, vcc_lo, v25, v21, vcc_lo
	s_waitcnt lgkmcnt(3)
	global_store_b128 v[18:19], v[0:3], off
	s_waitcnt lgkmcnt(2)
	global_store_b128 v[22:23], v[4:7], off
	;; [unrolled: 2-line block ×4, first 2 shown]
	s_nop 0
	s_sendmsg sendmsg(MSG_DEALLOC_VGPRS)
	s_endpgm
	.section	.rodata,"a",@progbits
	.p2align	6, 0x0
	.amdhsa_kernel _Z39paged_attention_ll4mi_QKV_mfma16_kernelI14__hip_bfloat16S0_LN4vllm18Fp8KVCacheDataTypeE0ES0_Li16ELi128ELi256ELb1ELi8EL8MFMAType0EEvPKT_PKT0_S9_ifPKiSB_SB_iPKfiiiPfSE_PS4_PT2_iSD_SD_
		.amdhsa_group_segment_fixed_size 17472
		.amdhsa_private_segment_fixed_size 0
		.amdhsa_kernarg_size 400
		.amdhsa_user_sgpr_count 13
		.amdhsa_user_sgpr_dispatch_ptr 0
		.amdhsa_user_sgpr_queue_ptr 0
		.amdhsa_user_sgpr_kernarg_segment_ptr 1
		.amdhsa_user_sgpr_dispatch_id 0
		.amdhsa_user_sgpr_private_segment_size 0
		.amdhsa_wavefront_size32 1
		.amdhsa_uses_dynamic_stack 0
		.amdhsa_enable_private_segment 0
		.amdhsa_system_sgpr_workgroup_id_x 1
		.amdhsa_system_sgpr_workgroup_id_y 1
		.amdhsa_system_sgpr_workgroup_id_z 1
		.amdhsa_system_sgpr_workgroup_info 0
		.amdhsa_system_vgpr_workitem_id 0
		.amdhsa_next_free_vgpr 218
		.amdhsa_next_free_sgpr 50
		.amdhsa_reserve_vcc 1
		.amdhsa_float_round_mode_32 0
		.amdhsa_float_round_mode_16_64 0
		.amdhsa_float_denorm_mode_32 3
		.amdhsa_float_denorm_mode_16_64 3
		.amdhsa_dx10_clamp 1
		.amdhsa_ieee_mode 1
		.amdhsa_fp16_overflow 0
		.amdhsa_workgroup_processor_mode 1
		.amdhsa_memory_ordered 1
		.amdhsa_forward_progress 0
		.amdhsa_shared_vgpr_count 0
		.amdhsa_exception_fp_ieee_invalid_op 0
		.amdhsa_exception_fp_denorm_src 0
		.amdhsa_exception_fp_ieee_div_zero 0
		.amdhsa_exception_fp_ieee_overflow 0
		.amdhsa_exception_fp_ieee_underflow 0
		.amdhsa_exception_fp_ieee_inexact 0
		.amdhsa_exception_int_div_zero 0
	.end_amdhsa_kernel
	.section	.text._Z39paged_attention_ll4mi_QKV_mfma16_kernelI14__hip_bfloat16S0_LN4vllm18Fp8KVCacheDataTypeE0ES0_Li16ELi128ELi256ELb1ELi8EL8MFMAType0EEvPKT_PKT0_S9_ifPKiSB_SB_iPKfiiiPfSE_PS4_PT2_iSD_SD_,"axG",@progbits,_Z39paged_attention_ll4mi_QKV_mfma16_kernelI14__hip_bfloat16S0_LN4vllm18Fp8KVCacheDataTypeE0ES0_Li16ELi128ELi256ELb1ELi8EL8MFMAType0EEvPKT_PKT0_S9_ifPKiSB_SB_iPKfiiiPfSE_PS4_PT2_iSD_SD_,comdat
.Lfunc_end641:
	.size	_Z39paged_attention_ll4mi_QKV_mfma16_kernelI14__hip_bfloat16S0_LN4vllm18Fp8KVCacheDataTypeE0ES0_Li16ELi128ELi256ELb1ELi8EL8MFMAType0EEvPKT_PKT0_S9_ifPKiSB_SB_iPKfiiiPfSE_PS4_PT2_iSD_SD_, .Lfunc_end641-_Z39paged_attention_ll4mi_QKV_mfma16_kernelI14__hip_bfloat16S0_LN4vllm18Fp8KVCacheDataTypeE0ES0_Li16ELi128ELi256ELb1ELi8EL8MFMAType0EEvPKT_PKT0_S9_ifPKiSB_SB_iPKfiiiPfSE_PS4_PT2_iSD_SD_
                                        ; -- End function
	.section	.AMDGPU.csdata,"",@progbits
; Kernel info:
; codeLenInByte = 10276
; NumSgprs: 52
; NumVgprs: 218
; ScratchSize: 0
; MemoryBound: 0
; FloatMode: 240
; IeeeMode: 1
; LDSByteSize: 17472 bytes/workgroup (compile time only)
; SGPRBlocks: 6
; VGPRBlocks: 27
; NumSGPRsForWavesPerEU: 52
; NumVGPRsForWavesPerEU: 218
; Occupancy: 6
; WaveLimiterHint : 1
; COMPUTE_PGM_RSRC2:SCRATCH_EN: 0
; COMPUTE_PGM_RSRC2:USER_SGPR: 13
; COMPUTE_PGM_RSRC2:TRAP_HANDLER: 0
; COMPUTE_PGM_RSRC2:TGID_X_EN: 1
; COMPUTE_PGM_RSRC2:TGID_Y_EN: 1
; COMPUTE_PGM_RSRC2:TGID_Z_EN: 1
; COMPUTE_PGM_RSRC2:TIDIG_COMP_CNT: 0
	.section	.text._Z39paged_attention_ll4mi_QKV_mfma16_kernelI14__hip_bfloat16S0_LN4vllm18Fp8KVCacheDataTypeE0ES0_Li16ELi128ELi256ELb1ELi9EL8MFMAType0EEvPKT_PKT0_S9_ifPKiSB_SB_iPKfiiiPfSE_PS4_PT2_iSD_SD_,"axG",@progbits,_Z39paged_attention_ll4mi_QKV_mfma16_kernelI14__hip_bfloat16S0_LN4vllm18Fp8KVCacheDataTypeE0ES0_Li16ELi128ELi256ELb1ELi9EL8MFMAType0EEvPKT_PKT0_S9_ifPKiSB_SB_iPKfiiiPfSE_PS4_PT2_iSD_SD_,comdat
	.protected	_Z39paged_attention_ll4mi_QKV_mfma16_kernelI14__hip_bfloat16S0_LN4vllm18Fp8KVCacheDataTypeE0ES0_Li16ELi128ELi256ELb1ELi9EL8MFMAType0EEvPKT_PKT0_S9_ifPKiSB_SB_iPKfiiiPfSE_PS4_PT2_iSD_SD_ ; -- Begin function _Z39paged_attention_ll4mi_QKV_mfma16_kernelI14__hip_bfloat16S0_LN4vllm18Fp8KVCacheDataTypeE0ES0_Li16ELi128ELi256ELb1ELi9EL8MFMAType0EEvPKT_PKT0_S9_ifPKiSB_SB_iPKfiiiPfSE_PS4_PT2_iSD_SD_
	.globl	_Z39paged_attention_ll4mi_QKV_mfma16_kernelI14__hip_bfloat16S0_LN4vllm18Fp8KVCacheDataTypeE0ES0_Li16ELi128ELi256ELb1ELi9EL8MFMAType0EEvPKT_PKT0_S9_ifPKiSB_SB_iPKfiiiPfSE_PS4_PT2_iSD_SD_
	.p2align	8
	.type	_Z39paged_attention_ll4mi_QKV_mfma16_kernelI14__hip_bfloat16S0_LN4vllm18Fp8KVCacheDataTypeE0ES0_Li16ELi128ELi256ELb1ELi9EL8MFMAType0EEvPKT_PKT0_S9_ifPKiSB_SB_iPKfiiiPfSE_PS4_PT2_iSD_SD_,@function
_Z39paged_attention_ll4mi_QKV_mfma16_kernelI14__hip_bfloat16S0_LN4vllm18Fp8KVCacheDataTypeE0ES0_Li16ELi128ELi256ELb1ELi9EL8MFMAType0EEvPKT_PKT0_S9_ifPKiSB_SB_iPKfiiiPfSE_PS4_PT2_iSD_SD_: ; @_Z39paged_attention_ll4mi_QKV_mfma16_kernelI14__hip_bfloat16S0_LN4vllm18Fp8KVCacheDataTypeE0ES0_Li16ELi128ELi256ELb1ELi9EL8MFMAType0EEvPKT_PKT0_S9_ifPKiSB_SB_iPKfiiiPfSE_PS4_PT2_iSD_SD_
; %bb.0:
	s_load_b64 s[4:5], s[0:1], 0x30
	s_mov_b32 s30, s13
	s_waitcnt lgkmcnt(0)
	s_cmp_lg_u64 s[4:5], 0
	s_cselect_b32 s8, -1, 0
	s_ashr_i32 s31, s13, 31
	s_cmp_eq_u64 s[4:5], 0
	s_cbranch_scc1 .LBB642_3
; %bb.1:
	s_lshl_b64 s[2:3], s[30:31], 2
	s_delay_alu instid0(SALU_CYCLE_1) | instskip(SKIP_4) | instid1(SALU_CYCLE_1)
	s_add_u32 s2, s4, s2
	s_addc_u32 s3, s5, s3
	s_load_b64 s[2:3], s[2:3], 0x0
	s_waitcnt lgkmcnt(0)
	s_sub_i32 s2, s3, s2
	s_cmp_eq_u32 s2, 1
	s_cselect_b32 s2, -1, 0
	s_delay_alu instid0(SALU_CYCLE_1)
	s_and_not1_b32 vcc_lo, exec_lo, s2
	s_cbranch_vccz .LBB642_4
.LBB642_2:
	s_nop 0
	s_sendmsg sendmsg(MSG_DEALLOC_VGPRS)
	s_endpgm
.LBB642_3:
.LBB642_4:
	s_load_b64 s[2:3], s[0:1], 0x28
	s_lshl_b64 s[6:7], s[30:31], 2
	s_waitcnt lgkmcnt(0)
	s_add_u32 s2, s2, s6
	s_addc_u32 s3, s3, s7
	s_lshl_b32 s29, s14, 8
	s_load_b32 s28, s[2:3], 0x0
	s_waitcnt lgkmcnt(0)
	s_cmp_ge_i32 s29, s28
	s_cbranch_scc1 .LBB642_2
; %bb.5:
	s_clause 0x1
	s_load_b128 s[20:23], s[0:1], 0x8
	s_load_b64 s[2:3], s[0:1], 0x20
	s_and_not1_b32 vcc_lo, exec_lo, s8
	s_cbranch_vccnz .LBB642_7
; %bb.6:
	s_add_u32 s4, s4, s6
	s_addc_u32 s5, s5, s7
	s_load_b32 s5, s[4:5], 0x0
	s_branch .LBB642_8
.LBB642_7:
	s_mov_b32 s5, s30
.LBB642_8:
	s_load_b128 s[16:19], s[0:1], 0x48
	v_and_b32_e32 v140, 15, v0
	v_lshrrev_b32_e32 v141, 5, v0
	v_bfe_u32 v138, v0, 4, 1
	v_and_b32_e32 v142, 31, v0
	v_and_b32_e32 v139, 1, v0
	v_lshlrev_b32_e32 v2, 3, v140
	s_mul_i32 s31, s15, 9
	v_lshl_or_b32 v1, v141, 1, v138
	s_mov_b32 s4, exec_lo
	s_delay_alu instid0(VALU_DEP_2) | instskip(NEXT) | instid1(VALU_DEP_2)
	v_lshlrev_b32_e32 v137, 1, v2
	v_cmpx_gt_u32_e32 9, v1
	s_cbranch_execz .LBB642_10
; %bb.9:
	s_load_b64 s[6:7], s[0:1], 0x0
	v_add_lshl_u32 v2, v1, s31, 7
	s_waitcnt lgkmcnt(0)
	s_mul_hi_i32 s9, s5, s16
	s_mul_i32 s8, s5, s16
	v_lshlrev_b32_e32 v6, 10, v140
	s_lshl_b64 s[8:9], s[8:9], 1
	v_ashrrev_i32_e32 v3, 31, v2
	v_lshlrev_b32_e32 v1, 6, v1
	v_lshlrev_b32_e32 v7, 10, v139
	v_and_b32_e32 v6, 0x3800, v6
	s_delay_alu instid0(VALU_DEP_4) | instskip(NEXT) | instid1(VALU_DEP_2)
	v_lshlrev_b64 v[2:3], 1, v[2:3]
	v_or3_b32 v1, v6, v7, v1
	s_add_u32 s5, s6, s8
	s_addc_u32 s6, s7, s9
	s_delay_alu instid0(VALU_DEP_2) | instskip(NEXT) | instid1(VALU_DEP_3)
	v_add_co_u32 v2, vcc_lo, s5, v2
	v_add_co_ci_u32_e32 v3, vcc_lo, s6, v3, vcc_lo
	s_delay_alu instid0(VALU_DEP_2) | instskip(NEXT) | instid1(VALU_DEP_2)
	v_add_co_u32 v2, vcc_lo, v2, v137
	v_add_co_ci_u32_e32 v3, vcc_lo, 0, v3, vcc_lo
	global_load_b128 v[2:5], v[2:3], off
	s_waitcnt vmcnt(0)
	ds_store_b128 v1, v[2:5]
.LBB642_10:
	s_or_b32 exec_lo, exec_lo, s4
	v_and_b32_e32 v1, 0xef, v0
	s_waitcnt lgkmcnt(0)
	s_add_i32 s5, s28, 15
	s_clause 0x1
	s_load_b32 s4, s[0:1], 0x38
	s_load_b32 s33, s[0:1], 0x1c
	s_ashr_i32 s6, s5, 31
	v_add_nc_u32_e32 v1, s29, v1
	s_lshr_b32 s6, s6, 28
	s_waitcnt lgkmcnt(0)
	s_add_i32 s5, s5, s6
	s_barrier
	v_ashrrev_i32_e32 v2, 31, v1
	v_cmp_gt_i32_e32 vcc_lo, s28, v1
	s_ashr_i32 s16, s5, 4
	buffer_gl0_inv
	s_add_i32 s16, s16, -1
	v_lshrrev_b32_e32 v3, 28, v2
	v_or_b32_e32 v2, 16, v1
	v_add_nc_u32_e32 v105, -9, v140
	v_lshlrev_b32_e32 v106, 5, v140
	s_delay_alu instid0(VALU_DEP_4) | instskip(NEXT) | instid1(VALU_DEP_4)
	v_add_nc_u32_e32 v4, v1, v3
	v_add_nc_u32_e32 v3, v2, v3
	s_mul_i32 s4, s30, s4
	s_delay_alu instid0(VALU_DEP_3) | instskip(SKIP_4) | instid1(SALU_CYCLE_1)
	v_lshl_or_b32 v125, v141, 9, v106
	s_ashr_i32 s5, s4, 31
	v_ashrrev_i32_e32 v4, 4, v4
	v_ashrrev_i32_e32 v3, 4, v3
	s_lshl_b64 s[4:5], s[4:5], 2
	s_add_u32 s34, s2, s4
	s_delay_alu instid0(VALU_DEP_2) | instskip(SKIP_3) | instid1(VALU_DEP_2)
	v_cndmask_b32_e32 v1, s16, v4, vcc_lo
	v_cmp_gt_i32_e32 vcc_lo, s28, v2
	s_addc_u32 s35, s3, s5
	s_mul_i32 s2, s15, s18
	v_ashrrev_i32_e32 v2, 31, v1
	v_cndmask_b32_e32 v3, s16, v3, vcc_lo
	s_ashr_i32 s3, s2, 31
	s_delay_alu instid0(SALU_CYCLE_1) | instskip(NEXT) | instid1(VALU_DEP_2)
	s_lshl_b64 s[2:3], s[2:3], 1
	v_lshlrev_b64 v[1:2], 2, v[1:2]
	s_delay_alu instid0(VALU_DEP_2) | instskip(SKIP_3) | instid1(VALU_DEP_1)
	v_ashrrev_i32_e32 v4, 31, v3
	s_add_u32 s24, s20, s2
	s_addc_u32 s25, s21, s3
	s_lshl_b32 s4, s14, 4
	v_lshlrev_b64 v[3:4], 2, v[3:4]
	v_add_co_u32 v1, vcc_lo, s34, v1
	v_add_co_ci_u32_e32 v2, vcc_lo, s35, v2, vcc_lo
	s_ashr_i32 s5, s4, 31
	s_delay_alu instid0(VALU_DEP_3) | instskip(NEXT) | instid1(VALU_DEP_4)
	v_add_co_u32 v3, vcc_lo, s34, v3
	v_add_co_ci_u32_e32 v4, vcc_lo, s35, v4, vcc_lo
	s_lshl_b64 s[4:5], s[4:5], 2
	s_clause 0x1
	global_load_b32 v5, v[1:2], off
	global_load_b32 v6, v[3:4], off
	s_add_u32 s4, s34, s4
	s_addc_u32 s5, s35, s5
	s_or_b32 s6, s29, 16
	v_lshlrev_b32_e32 v3, 4, v0
	s_ashr_i32 s7, s6, 4
	s_cmp_lt_i32 s6, s28
	s_cselect_b32 s6, s7, s16
	s_delay_alu instid0(SALU_CYCLE_1) | instskip(NEXT) | instid1(SALU_CYCLE_1)
	s_ashr_i32 s7, s6, 31
	s_lshl_b64 s[6:7], s[6:7], 2
	s_delay_alu instid0(SALU_CYCLE_1) | instskip(SKIP_2) | instid1(SALU_CYCLE_1)
	s_add_u32 s6, s34, s6
	s_addc_u32 s7, s35, s7
	s_or_b32 s8, s29, 32
	s_ashr_i32 s9, s8, 4
	s_cmp_lt_i32 s8, s28
	s_cselect_b32 s8, s9, s16
	s_delay_alu instid0(SALU_CYCLE_1) | instskip(NEXT) | instid1(SALU_CYCLE_1)
	s_ashr_i32 s9, s8, 31
	s_lshl_b64 s[8:9], s[8:9], 2
	s_delay_alu instid0(SALU_CYCLE_1) | instskip(SKIP_2) | instid1(SALU_CYCLE_1)
	s_add_u32 s8, s34, s8
	s_addc_u32 s9, s35, s9
	s_or_b32 s10, s29, 48
	;; [unrolled: 10-line block ×4, first 2 shown]
	s_ashr_i32 s13, s12, 4
	s_cmp_lt_i32 s12, s28
	s_cselect_b32 s12, s13, s16
	s_delay_alu instid0(SALU_CYCLE_1) | instskip(NEXT) | instid1(SALU_CYCLE_1)
	s_ashr_i32 s13, s12, 31
	s_lshl_b64 s[12:13], s[12:13], 2
	s_delay_alu instid0(SALU_CYCLE_1)
	s_add_u32 s20, s34, s12
	s_addc_u32 s21, s35, s13
	s_clause 0x5
	s_load_b32 s36, s[4:5], 0x0
	s_load_b32 s27, s[6:7], 0x0
	;; [unrolled: 1-line block ×6, first 2 shown]
	s_waitcnt vmcnt(1)
	v_mad_i64_i32 v[1:2], null, v5, s17, 0
	v_and_b32_e32 v5, 0xf0, v3
	s_waitcnt vmcnt(0)
	v_mad_i64_i32 v[3:4], null, v6, s17, 0
	s_delay_alu instid0(VALU_DEP_2) | instskip(NEXT) | instid1(VALU_DEP_4)
	v_add_co_u32 v5, s4, s24, v5
	v_lshlrev_b64 v[1:2], 1, v[1:2]
	v_add_co_ci_u32_e64 v6, null, s25, 0, s4
	s_delay_alu instid0(VALU_DEP_4) | instskip(SKIP_1) | instid1(VALU_DEP_3)
	v_lshlrev_b64 v[3:4], 1, v[3:4]
	s_or_b32 s4, s29, 0x60
	v_add_co_u32 v121, vcc_lo, v5, v1
	s_delay_alu instid0(VALU_DEP_3) | instskip(NEXT) | instid1(VALU_DEP_3)
	v_add_co_ci_u32_e32 v122, vcc_lo, v6, v2, vcc_lo
	v_add_co_u32 v123, vcc_lo, v5, v3
	s_delay_alu instid0(VALU_DEP_4)
	v_add_co_ci_u32_e32 v124, vcc_lo, v6, v4, vcc_lo
	s_clause 0x19
	global_load_b128 v[89:92], v[121:122], off
	global_load_b128 v[93:96], v[121:122], off offset:256
	global_load_b128 v[97:100], v[123:124], off
	global_load_b128 v[101:104], v[123:124], off offset:256
	global_load_b128 v[81:84], v[121:122], off offset:512
	;; [unrolled: 1-line block ×23, first 2 shown]
	s_ashr_i32 s5, s4, 4
	s_cmp_lt_i32 s4, s28
	v_cmp_gt_u32_e32 vcc_lo, 9, v140
	s_cselect_b32 s4, s5, s16
	s_delay_alu instid0(SALU_CYCLE_1) | instskip(NEXT) | instid1(SALU_CYCLE_1)
	s_ashr_i32 s5, s4, 31
	s_lshl_b64 s[4:5], s[4:5], 2
	v_cndmask_b32_e32 v105, v105, v140, vcc_lo
	s_add_u32 s18, s34, s4
	s_addc_u32 s19, s35, s5
	s_or_b32 s4, s29, 0x70
	s_delay_alu instid0(SALU_CYCLE_1)
	s_ashr_i32 s5, s4, 4
	s_cmp_lt_i32 s4, s28
	v_lshlrev_b32_e32 v215, 6, v105
	s_cselect_b32 s6, s5, s16
	ds_load_b128 v[105:108], v215
	ds_load_b128 v[109:112], v215 offset:1024
	s_ashr_i32 s7, s6, 31
	ds_load_b128 v[113:116], v215 offset:2048
	ds_load_b128 v[117:120], v215 offset:3072
	;; [unrolled: 1-line block ×8, first 2 shown]
	s_clause 0x1
	global_load_b128 v[167:170], v[123:124], off offset:3072
	global_load_b128 v[171:174], v[123:124], off offset:3328
	s_lshl_b64 s[6:7], s[6:7], 2
	s_mov_b32 s4, 0
	s_add_u32 s20, s34, s6
	s_addc_u32 s21, s35, s7
	s_clause 0x1
	s_load_b32 s42, s[18:19], 0x0
	s_load_b32 s43, s[20:21], 0x0
	s_clause 0x3
	global_load_b128 v[175:178], v[121:122], off offset:3584
	global_load_b128 v[179:182], v[121:122], off offset:3840
	;; [unrolled: 1-line block ×4, first 2 shown]
	s_or_b32 s7, s29, 0x80
	s_mov_b32 s5, s4
	s_ashr_i32 s8, s7, 4
	s_cmp_lt_i32 s7, s28
	s_mov_b32 s6, s4
	s_cselect_b32 s10, s8, s16
	s_mov_b32 s7, s4
	s_ashr_i32 s11, s10, 31
	s_mov_b32 s8, s4
	s_lshl_b64 s[24:25], s[10:11], 2
	s_mov_b32 s9, s4
	s_add_u32 s24, s34, s24
	s_addc_u32 s25, s35, s25
	s_or_b32 s11, s29, 0x90
	s_mov_b32 s10, s4
	s_ashr_i32 s37, s11, 4
	s_cmp_lt_i32 s11, s28
	s_mov_b32 s11, s4
	s_cselect_b32 s38, s37, s16
	v_mov_b32_e32 v136, s11
	s_ashr_i32 s39, s38, 31
	v_dual_mov_b32 v135, s10 :: v_dual_mov_b32 v134, s9
	v_dual_mov_b32 v133, s8 :: v_dual_mov_b32 v132, s7
	;; [unrolled: 1-line block ×3, first 2 shown]
	v_mov_b32_e32 v129, s4
	s_lshl_b64 s[4:5], s[38:39], 2
	s_waitcnt lgkmcnt(0)
	s_mul_hi_i32 s7, s27, s17
	s_add_u32 s38, s34, s4
	s_addc_u32 s39, s35, s5
	s_or_b32 s4, s29, 0xa0
	s_load_b32 s39, s[38:39], 0x0
	s_ashr_i32 s5, s4, 4
	s_cmp_lt_i32 s4, s28
	s_cselect_b32 s4, s5, s16
	s_delay_alu instid0(SALU_CYCLE_1) | instskip(NEXT) | instid1(SALU_CYCLE_1)
	s_ashr_i32 s5, s4, 31
	s_lshl_b64 s[4:5], s[4:5], 2
	s_delay_alu instid0(SALU_CYCLE_1)
	s_add_u32 s40, s34, s4
	s_addc_u32 s41, s35, s5
	s_or_b32 s4, s29, 0xb0
	s_mul_hi_i32 s5, s36, s17
	s_ashr_i32 s6, s4, 4
	s_cmp_lt_i32 s4, s28
	s_mul_i32 s4, s36, s17
	s_cselect_b32 s8, s6, s16
	s_mul_i32 s6, s27, s17
	s_ashr_i32 s9, s8, 31
	s_load_b32 s38, s[40:41], 0x0
	s_lshl_b64 s[10:11], s[8:9], 2
	s_mul_hi_i32 s9, s26, s17
	s_add_u32 s36, s34, s10
	s_addc_u32 s37, s35, s11
	s_or_b32 s10, s29, 0xc0
	s_mul_i32 s8, s26, s17
	s_ashr_i32 s26, s10, 4
	s_cmp_lt_i32 s10, s28
	s_mul_hi_i32 s11, s13, s17
	s_cselect_b32 s26, s26, s16
	s_mul_i32 s10, s13, s17
	s_ashr_i32 s27, s26, 31
	s_mul_hi_i32 s13, s12, s17
	s_lshl_b64 s[26:27], s[26:27], 2
	s_mul_i32 s12, s12, s17
	s_add_u32 s20, s34, s26
	s_addc_u32 s21, s35, s27
	s_or_b32 s18, s29, 0xd0
	s_load_b32 s26, s[24:25], 0x0
	s_ashr_i32 s19, s18, 4
	s_cmp_lt_i32 s18, s28
	s_mul_i32 s18, s15, s17
	s_cselect_b32 s24, s19, s16
	s_mul_hi_i32 s19, s15, s17
	s_ashr_i32 s25, s24, 31
	s_waitcnt lgkmcnt(0)
	s_mul_hi_i32 s41, s39, s17
	s_lshl_b64 s[24:25], s[24:25], 2
	s_delay_alu instid0(SALU_CYCLE_1)
	s_add_u32 s24, s34, s24
	s_addc_u32 s25, s35, s25
	s_or_b32 s40, s29, 0xe0
	s_clause 0x2
	s_load_b32 s37, s[36:37], 0x0
	s_load_b32 s36, s[20:21], 0x0
	;; [unrolled: 1-line block ×3, first 2 shown]
	s_ashr_i32 s44, s40, 4
	s_cmp_lt_i32 s40, s28
	s_mul_hi_i32 s21, s42, s17
	s_mul_i32 s20, s42, s17
	s_cselect_b32 s42, s44, s16
	s_mul_hi_i32 s25, s43, s17
	s_mul_i32 s24, s43, s17
	s_ashr_i32 s43, s42, 31
	s_mul_hi_i32 s27, s26, s17
	s_lshl_b64 s[42:43], s[42:43], 2
	s_mul_i32 s26, s26, s17
	s_add_u32 s42, s34, s42
	s_addc_u32 s43, s35, s43
	s_or_b32 s44, s29, 0xf0
	s_mul_i32 s40, s39, s17
	s_ashr_i32 s46, s44, 4
	s_cmp_lt_i32 s44, s28
	s_mul_hi_i32 s39, s38, s17
	s_cselect_b32 s46, s46, s16
	s_waitcnt lgkmcnt(0)
	s_mul_hi_i32 s49, s15, s17
	s_ashr_i32 s47, s46, 31
	s_mul_i32 s48, s15, s17
	s_lshl_b64 s[46:47], s[46:47], 2
	s_mul_i32 s38, s38, s17
	s_add_u32 s34, s34, s46
	s_addc_u32 s35, s35, s47
	s_add_u32 s15, s22, s2
	s_addc_u32 s16, s23, s3
	v_add_co_u32 v216, s15, s15, v125
	s_delay_alu instid0(VALU_DEP_1) | instskip(SKIP_2) | instid1(VALU_DEP_2)
	v_add_co_ci_u32_e64 v217, null, s16, 0, s15
	s_lshl_b64 s[2:3], s[4:5], 1
	s_lshl_b64 s[4:5], s[6:7], 1
	v_add_co_u32 v125, vcc_lo, v216, s2
	s_delay_alu instid0(VALU_DEP_2)
	v_add_co_ci_u32_e32 v126, vcc_lo, s3, v217, vcc_lo
	v_add_co_u32 v199, vcc_lo, v216, s4
	s_lshl_b64 s[6:7], s[8:9], 1
	v_add_co_ci_u32_e32 v200, vcc_lo, s5, v217, vcc_lo
	s_lshl_b64 s[8:9], s[10:11], 1
	s_lshl_b64 s[10:11], s[12:13], 1
	s_lshl_b64 s[12:13], s[18:19], 1
	s_lshl_b64 s[18:19], s[20:21], 1
	s_lshl_b64 s[20:21], s[24:25], 1
	s_lshl_b64 s[22:23], s[26:27], 1
	s_lshl_b64 s[24:25], s[40:41], 1
	s_lshl_b64 s[26:27], s[38:39], 1
	s_mul_hi_i32 s45, s37, s17
	s_mul_i32 s44, s37, s17
	s_mul_hi_i32 s37, s36, s17
	s_lshl_b64 s[38:39], s[44:45], 1
	s_mul_i32 s36, s36, s17
	s_clause 0x1
	s_load_b32 s15, s[42:43], 0x0
	s_load_b32 s16, s[34:35], 0x0
	s_lshl_b64 s[36:37], s[36:37], 1
	s_lshl_b64 s[40:41], s[48:49], 1
	s_waitcnt lgkmcnt(0)
	s_mul_hi_i32 s3, s15, s17
	s_mul_i32 s2, s15, s17
	s_mul_hi_i32 s5, s16, s17
	s_lshl_b64 s[2:3], s[2:3], 1
	s_mul_i32 s4, s16, s17
	s_waitcnt vmcnt(30)
	v_wmma_f32_16x16x16_bf16 v[191:198], v[89:96], v[105:112], v[129:136]
	v_add_co_u32 v89, vcc_lo, v216, s6
	v_add_co_ci_u32_e32 v90, vcc_lo, s7, v217, vcc_lo
	v_add_co_u32 v91, vcc_lo, v216, s8
	v_add_co_ci_u32_e32 v92, vcc_lo, s9, v217, vcc_lo
	;; [unrolled: 2-line block ×5, first 2 shown]
	v_add_co_u32 v205, vcc_lo, v216, s20
	s_waitcnt vmcnt(28)
	v_wmma_f32_16x16x16_bf16 v[129:136], v[97:104], v[105:112], v[129:136]
	v_add_co_ci_u32_e32 v206, vcc_lo, s21, v217, vcc_lo
	v_add_co_u32 v207, vcc_lo, v216, s22
	v_add_co_ci_u32_e32 v208, vcc_lo, s23, v217, vcc_lo
	v_add_co_u32 v209, vcc_lo, v216, s24
	s_waitcnt vmcnt(26)
	v_wmma_f32_16x16x16_bf16 v[191:198], v[81:88], v[113:120], v[191:198]
	s_waitcnt vmcnt(24)
	v_wmma_f32_16x16x16_bf16 v[129:136], v[73:80], v[113:120], v[129:136]
	v_add_co_ci_u32_e32 v210, vcc_lo, s25, v217, vcc_lo
	v_add_co_u32 v211, vcc_lo, v216, s26
	v_add_co_ci_u32_e32 v212, vcc_lo, s27, v217, vcc_lo
	v_add_co_u32 v213, vcc_lo, v216, s38
	s_waitcnt vmcnt(22)
	v_wmma_f32_16x16x16_bf16 v[191:198], v[65:72], v[143:150], v[191:198]
	s_waitcnt vmcnt(20)
	v_wmma_f32_16x16x16_bf16 v[129:136], v[57:64], v[143:150], v[129:136]
	v_add_co_ci_u32_e32 v214, vcc_lo, s39, v217, vcc_lo
	v_add_co_u32 v143, vcc_lo, v216, s36
	s_waitcnt vmcnt(18)
	v_wmma_f32_16x16x16_bf16 v[191:198], v[49:56], v[151:158], v[191:198]
	s_waitcnt vmcnt(16)
	v_wmma_f32_16x16x16_bf16 v[129:136], v[41:48], v[151:158], v[129:136]
	v_add_co_ci_u32_e32 v144, vcc_lo, s37, v217, vcc_lo
	s_clause 0x15
	global_load_b128 v[121:124], v[125:126], off
	global_load_b128 v[125:128], v[125:126], off offset:16
	global_load_b128 v[113:116], v[199:200], off
	global_load_b128 v[117:120], v[199:200], off offset:16
	;; [unrolled: 2-line block ×11, first 2 shown]
	s_waitcnt vmcnt(36)
	v_wmma_f32_16x16x16_bf16 v[191:198], v[17:24], v[159:166], v[191:198]
	s_clause 0x1
	global_load_b128 v[17:20], v[213:214], off
	global_load_b128 v[21:24], v[213:214], off offset:16
	s_waitcnt vmcnt(36)
	v_wmma_f32_16x16x16_bf16 v[129:136], v[1:8], v[159:166], v[129:136]
	s_clause 0x1
	global_load_b128 v[1:4], v[143:144], off
	global_load_b128 v[5:8], v[143:144], off offset:16
	ds_load_b128 v[143:146], v215 offset:10240
	ds_load_b128 v[147:150], v215 offset:11264
	ds_load_b128 v[151:154], v215 offset:12288
	ds_load_b128 v[155:158], v215 offset:13312
	v_add_co_u32 v199, vcc_lo, v216, s40
	v_add_co_ci_u32_e32 v200, vcc_lo, s41, v217, vcc_lo
	v_add_co_u32 v159, vcc_lo, v216, s2
	v_add_co_ci_u32_e32 v160, vcc_lo, s3, v217, vcc_lo
	s_lshl_b64 s[2:3], s[4:5], 1
	s_delay_alu instid0(SALU_CYCLE_1)
	v_add_co_u32 v161, vcc_lo, v216, s2
	v_add_co_ci_u32_e32 v162, vcc_lo, s3, v217, vcc_lo
	s_waitcnt vmcnt(36) lgkmcnt(2)
	v_wmma_f32_16x16x16_bf16 v[191:198], v[25:32], v[143:150], v[191:198]
	s_waitcnt vmcnt(34)
	v_wmma_f32_16x16x16_bf16 v[129:136], v[33:40], v[143:150], v[129:136]
	s_clause 0x3
	global_load_b128 v[25:28], v[199:200], off
	global_load_b128 v[29:32], v[199:200], off offset:16
	global_load_b128 v[33:36], v[159:160], off
	global_load_b128 v[37:40], v[159:160], off offset:16
	v_and_b32_e32 v143, 0xe0, v0
	v_mbcnt_lo_u32_b32 v159, -1, 0
	s_waitcnt vmcnt(36) lgkmcnt(0)
	v_wmma_f32_16x16x16_bf16 v[191:198], v[9:16], v[151:158], v[191:198]
	s_clause 0x1
	global_load_b128 v[9:12], v[161:162], off
	global_load_b128 v[13:16], v[161:162], off offset:16
	s_waitcnt vmcnt(36)
	v_wmma_f32_16x16x16_bf16 v[129:136], v[167:174], v[151:158], v[129:136]
	v_add_nc_u32_e32 v160, s29, v143
	ds_load_b128 v[143:146], v215 offset:14336
	ds_load_b128 v[147:150], v215 offset:15360
	v_xor_b32_e32 v151, 16, v159
	s_waitcnt vmcnt(0) lgkmcnt(0)
	s_barrier
	v_or_b32_e32 v152, v160, v138
	buffer_gl0_inv
	v_cmp_gt_i32_e32 vcc_lo, 32, v151
	v_or_b32_e32 v153, 2, v152
	v_or_b32_e32 v154, 4, v152
	;; [unrolled: 1-line block ×5, first 2 shown]
	v_cmp_gt_i32_e64 s2, s28, v153
	v_cmp_gt_i32_e64 s3, s28, v154
	;; [unrolled: 1-line block ×3, first 2 shown]
	v_or_b32_e32 v158, 12, v152
	v_cmp_gt_i32_e64 s5, s28, v156
	v_cmp_gt_i32_e64 s6, s28, v157
	v_wmma_f32_16x16x16_bf16 v[191:198], v[175:182], v[143:150], v[191:198]
	v_wmma_f32_16x16x16_bf16 v[129:136], v[183:190], v[143:150], v[129:136]
	v_cndmask_b32_e32 v151, v159, v151, vcc_lo
	v_cmp_gt_i32_e32 vcc_lo, s28, v152
	v_or_b32_e32 v159, 14, v152
	v_dual_mul_f32 v149, s33, v192 :: v_dual_mul_f32 v150, s33, v191
	v_dual_mul_f32 v147, s33, v194 :: v_dual_mul_f32 v148, s33, v193
	v_mul_f32_e32 v145, s33, v196
	s_delay_alu instid0(VALU_DEP_3) | instskip(NEXT) | instid1(VALU_DEP_4)
	v_cndmask_b32_e64 v149, 0xff7fffff, v149, s2
	v_cndmask_b32_e32 v150, 0xff7fffff, v150, vcc_lo
	v_mul_f32_e32 v146, s33, v195
	v_cndmask_b32_e64 v148, 0xff7fffff, v148, s3
	v_cndmask_b32_e64 v147, 0xff7fffff, v147, s4
	v_or_b32_e32 v160, 16, v152
	v_max3_f32 v149, v150, 0xff7fffff, v149
	v_or_b32_e32 v161, 18, v152
	v_dual_mul_f32 v143, s33, v198 :: v_dual_mul_f32 v144, s33, v197
	v_cndmask_b32_e64 v146, 0xff7fffff, v146, s5
	v_cndmask_b32_e64 v145, 0xff7fffff, v145, s6
	v_max3_f32 v147, v149, v148, v147
	v_cmp_gt_i32_e64 s7, s28, v158
	v_cmp_gt_i32_e64 s8, s28, v159
	v_or_b32_e32 v162, 20, v152
	v_or_b32_e32 v163, 22, v152
	v_dual_mul_f32 v174, s33, v130 :: v_dual_mul_f32 v175, s33, v129
	v_cndmask_b32_e64 v144, 0xff7fffff, v144, s7
	v_cndmask_b32_e64 v143, 0xff7fffff, v143, s8
	v_max3_f32 v145, v147, v146, v145
	v_cmp_gt_i32_e64 s9, s28, v160
	v_cmp_gt_i32_e64 s10, s28, v161
	v_or_b32_e32 v164, 24, v152
	;; [unrolled: 8-line block ×3, first 2 shown]
	v_or_b32_e32 v167, 30, v152
	v_dual_mul_f32 v170, s33, v134 :: v_dual_mul_f32 v171, s33, v133
	v_cndmask_b32_e64 v144, 0xff7fffff, v173, s11
	v_cndmask_b32_e64 v145, 0xff7fffff, v172, s12
	v_max3_f32 v143, v143, v146, v147
	v_cmp_gt_i32_e64 s13, s28, v164
	v_cmp_gt_i32_e64 s15, s28, v165
	v_dual_mul_f32 v168, s33, v136 :: v_dual_mul_f32 v169, s33, v135
	s_delay_alu instid0(VALU_DEP_4) | instskip(NEXT) | instid1(VALU_DEP_4)
	v_max3_f32 v143, v143, v144, v145
	v_cndmask_b32_e64 v146, 0xff7fffff, v171, s13
	s_delay_alu instid0(VALU_DEP_4) | instskip(SKIP_3) | instid1(VALU_DEP_4)
	v_cndmask_b32_e64 v147, 0xff7fffff, v170, s15
	v_cmp_gt_i32_e64 s16, s28, v166
	v_cmp_gt_i32_e64 s17, s28, v167
	v_lshlrev_b32_e32 v154, 2, v151
	v_max3_f32 v143, v143, v146, v147
	s_delay_alu instid0(VALU_DEP_4) | instskip(NEXT) | instid1(VALU_DEP_4)
	v_cndmask_b32_e64 v144, 0xff7fffff, v169, s16
	v_cndmask_b32_e64 v145, 0xff7fffff, v168, s17
	s_delay_alu instid0(VALU_DEP_1) | instskip(SKIP_3) | instid1(VALU_DEP_1)
	v_max3_f32 v143, v143, v144, v145
	ds_bpermute_b32 v144, v154, v143
	s_waitcnt lgkmcnt(0)
	v_max_f32_e32 v144, v144, v144
	v_max_f32_e32 v153, v143, v144
	s_delay_alu instid0(VALU_DEP_1) | instskip(SKIP_4) | instid1(VALU_DEP_4)
	v_fma_f32 v143, s33, v191, -v153
	v_fma_f32 v144, s33, v192, -v153
	;; [unrolled: 1-line block ×5, first 2 shown]
	v_dual_mul_f32 v143, 0x3fb8aa3b, v143 :: v_dual_mul_f32 v144, 0x3fb8aa3b, v144
	s_delay_alu instid0(VALU_DEP_4) | instskip(SKIP_2) | instid1(VALU_DEP_4)
	v_mul_f32_e32 v132, 0x3fb8aa3b, v132
	v_fma_f32 v134, s33, v134, -v153
	v_mul_f32_e32 v145, 0x3fb8aa3b, v145
	v_exp_f32_e32 v143, v143
	v_exp_f32_e32 v147, v144
	v_fma_f32 v148, s33, v195, -v153
	v_mul_f32_e32 v134, 0x3fb8aa3b, v134
	v_mul_f32_e32 v146, 0x3fb8aa3b, v146
	v_exp_f32_e32 v145, v145
	v_fma_f32 v151, s33, v197, -v153
	v_mul_f32_e32 v148, 0x3fb8aa3b, v148
	v_fma_f32 v129, s33, v129, -v153
	v_exp_f32_e32 v149, v146
	v_cndmask_b32_e32 v144, 0, v143, vcc_lo
	v_fma_f32 v143, s33, v196, -v153
	v_cndmask_b32_e64 v146, 0, v147, s2
	v_exp_f32_e32 v148, v148
	s_delay_alu instid0(VALU_DEP_3) | instskip(NEXT) | instid1(VALU_DEP_3)
	v_dual_mul_f32 v151, 0x3fb8aa3b, v151 :: v_dual_add_f32 v150, 0, v144
	v_mul_f32_e32 v143, 0x3fb8aa3b, v143
	v_cndmask_b32_e64 v147, 0, v145, s3
	v_fma_f32 v130, s33, v130, -v153
	s_delay_alu instid0(TRANS32_DEP_2)
	v_cndmask_b32_e64 v149, 0, v149, s4
	v_add_f32_e32 v145, v150, v146
	v_fma_f32 v150, s33, v198, -v153
	v_exp_f32_e32 v143, v143
	v_exp_f32_e32 v155, v151
	v_mul_f32_e32 v129, 0x3fb8aa3b, v129
	s_delay_alu instid0(VALU_DEP_2) | instskip(SKIP_2) | instid1(VALU_DEP_3)
	v_dual_add_f32 v145, v145, v147 :: v_dual_mul_f32 v152, 0x3fb8aa3b, v150
	v_cndmask_b32_e64 v150, 0, v148, s5
	v_fma_f32 v131, s33, v131, -v153
	v_dual_mul_f32 v130, 0x3fb8aa3b, v130 :: v_dual_add_f32 v145, v145, v149
	s_delay_alu instid0(VALU_DEP_4) | instskip(NEXT) | instid1(TRANS32_DEP_3)
	v_exp_f32_e32 v152, v152
	v_cndmask_b32_e64 v151, 0, v143, s6
	v_exp_f32_e32 v129, v129
	s_delay_alu instid0(TRANS32_DEP_3)
	v_cndmask_b32_e64 v148, 0, v155, s7
	v_add_f32_e32 v143, v145, v150
	v_mul_f32_e32 v131, 0x3fb8aa3b, v131
	v_exp_f32_e32 v130, v130
	v_fma_f32 v133, s33, v133, -v153
	v_fma_f32 v136, s33, v136, -v153
	v_add_f32_e32 v143, v143, v151
	v_cndmask_b32_e64 v152, 0, v152, s8
	v_exp_f32_e32 v145, v131
	v_cndmask_b32_e64 v131, 0, v129, s9
	v_mul_f32_e32 v133, 0x3fb8aa3b, v133
	v_add_f32_e32 v143, v143, v148
	v_cmp_gt_u32_e64 s2, 16, v142
	s_delay_alu instid0(VALU_DEP_2)
	v_add_f32_e32 v129, v143, v152
	v_exp_f32_e32 v143, v132
	v_cndmask_b32_e64 v132, 0, v130, s10
	v_fma_f32 v130, s33, v135, -v153
	v_exp_f32_e32 v135, v133
	v_add_f32_e32 v129, v129, v131
	v_cndmask_b32_e64 v133, 0, v145, s11
	v_exp_f32_e32 v145, v134
	s_delay_alu instid0(VALU_DEP_2) | instskip(NEXT) | instid1(TRANS32_DEP_3)
	v_dual_mul_f32 v130, 0x3fb8aa3b, v130 :: v_dual_add_f32 v129, v129, v132
	v_cndmask_b32_e64 v134, 0, v143, s12
	v_mul_f32_e32 v143, 0x3fb8aa3b, v136
	s_delay_alu instid0(VALU_DEP_3) | instskip(NEXT) | instid1(TRANS32_DEP_3)
	v_exp_f32_e32 v130, v130
	v_cndmask_b32_e64 v135, 0, v135, s13
	v_add_f32_e32 v129, v129, v133
	s_delay_alu instid0(TRANS32_DEP_2) | instskip(SKIP_1) | instid1(VALU_DEP_2)
	v_cndmask_b32_e64 v136, 0, v145, s15
	v_exp_f32_e32 v145, v143
	v_add_f32_e32 v129, v129, v134
	s_waitcnt_depctr 0xfff
	v_cndmask_b32_e64 v143, 0, v130, s16
	v_add_f32_e32 v129, v129, v135
	v_cndmask_b32_e64 v145, 0, v145, s17
	s_delay_alu instid0(VALU_DEP_2) | instskip(NEXT) | instid1(VALU_DEP_1)
	v_add_f32_e32 v129, v129, v136
	v_add_f32_e32 v129, v129, v143
	s_delay_alu instid0(VALU_DEP_1)
	v_add_f32_e32 v129, v129, v145
	ds_bpermute_b32 v130, v154, v129
	s_and_saveexec_b32 s3, s2
	s_cbranch_execz .LBB642_12
; %bb.11:
	v_mul_u32_u24_e32 v142, 0x44, v141
	s_waitcnt lgkmcnt(0)
	v_add_f32_e32 v129, v129, v130
	s_delay_alu instid0(VALU_DEP_2) | instskip(NEXT) | instid1(VALU_DEP_1)
	v_lshl_add_u32 v142, v140, 2, v142
	v_add_nc_u32_e32 v130, 0x4000, v142
	ds_store_2addr_b32 v130, v153, v129 offset1:136
.LBB642_12:
	s_or_b32 exec_lo, exec_lo, s3
	v_lshlrev_b32_e32 v129, 2, v140
	s_waitcnt lgkmcnt(0)
	s_barrier
	buffer_gl0_inv
	v_cmp_eq_u32_e64 s3, 1, v141
	v_add_nc_u32_e32 v142, 0x4000, v129
	ds_load_2addr_b32 v[153:154], v142 offset1:17
	ds_load_2addr_b32 v[155:156], v142 offset0:34 offset1:51
	ds_load_2addr_b32 v[157:158], v142 offset0:68 offset1:85
	;; [unrolled: 1-line block ×4, first 2 shown]
	s_waitcnt lgkmcnt(4)
	v_max3_f32 v129, v153, 0xff7fffff, v154
	s_waitcnt lgkmcnt(3)
	s_delay_alu instid0(VALU_DEP_1) | instskip(SKIP_1) | instid1(VALU_DEP_1)
	v_max3_f32 v129, v129, v155, v156
	s_waitcnt lgkmcnt(2)
	v_max3_f32 v129, v129, v157, v158
	s_waitcnt lgkmcnt(1)
	s_delay_alu instid0(VALU_DEP_1) | instskip(NEXT) | instid1(VALU_DEP_1)
	v_max3_f32 v129, v129, v159, v160
	v_sub_f32_e32 v163, v154, v129
	v_sub_f32_e32 v130, v153, v129
	ds_load_2addr_b32 v[153:154], v142 offset0:170 offset1:187
	v_sub_f32_e32 v155, v155, v129
	v_dual_mul_f32 v163, 0x3fb8aa3b, v163 :: v_dual_mul_f32 v130, 0x3fb8aa3b, v130
	s_delay_alu instid0(VALU_DEP_2) | instskip(NEXT) | instid1(VALU_DEP_2)
	v_mul_f32_e32 v165, 0x3fb8aa3b, v155
	v_exp_f32_e32 v163, v163
	s_delay_alu instid0(VALU_DEP_2)
	v_exp_f32_e32 v164, v130
	v_sub_f32_e32 v130, v156, v129
	ds_load_2addr_b32 v[155:156], v142 offset0:204 offset1:221
	v_exp_f32_e32 v165, v165
	v_mul_f32_e32 v166, 0x3fb8aa3b, v130
	s_waitcnt lgkmcnt(2)
	v_fma_f32 v130, v164, v161, 0
	v_sub_f32_e32 v157, v157, v129
	s_delay_alu instid0(VALU_DEP_3) | instskip(NEXT) | instid1(VALU_DEP_2)
	v_exp_f32_e32 v166, v166
	v_dual_sub_f32 v161, v158, v129 :: v_dual_fmac_f32 v130, v163, v162
	s_waitcnt lgkmcnt(1)
	s_waitcnt_depctr 0xfff
	v_fmac_f32_e32 v130, v165, v153
	v_mul_f32_e32 v167, 0x3fb8aa3b, v157
	ds_load_2addr_b32 v[157:158], v142 offset0:238 offset1:255
	v_sub_f32_e32 v142, v159, v129
	v_dual_sub_f32 v153, v160, v129 :: v_dual_fmac_f32 v130, v166, v154
	v_mul_f32_e32 v159, 0x3fb8aa3b, v161
	v_exp_f32_e32 v161, v167
	s_delay_alu instid0(VALU_DEP_2)
	v_dual_mul_f32 v142, 0x3fb8aa3b, v142 :: v_dual_mul_f32 v153, 0x3fb8aa3b, v153
	s_waitcnt lgkmcnt(0)
	s_barrier
	buffer_gl0_inv
	v_exp_f32_e32 v142, v142
	v_exp_f32_e32 v153, v153
	v_fmac_f32_e32 v130, v161, v155
	v_exp_f32_e32 v159, v159
	s_waitcnt_depctr 0xfff
	v_fmac_f32_e32 v130, v159, v156
	s_delay_alu instid0(VALU_DEP_1) | instskip(NEXT) | instid1(VALU_DEP_1)
	v_fmac_f32_e32 v130, v142, v157
	v_fmac_f32_e32 v130, v153, v158
	s_delay_alu instid0(VALU_DEP_1) | instskip(NEXT) | instid1(VALU_DEP_1)
	v_add_f32_e32 v154, 0x358637bd, v130
	v_div_scale_f32 v155, null, v154, v154, 1.0
	v_div_scale_f32 v158, vcc_lo, 1.0, v154, 1.0
	s_delay_alu instid0(VALU_DEP_2) | instskip(SKIP_2) | instid1(VALU_DEP_1)
	v_rcp_f32_e32 v156, v155
	s_waitcnt_depctr 0xfff
	v_fma_f32 v157, -v155, v156, 1.0
	v_fmac_f32_e32 v156, v157, v156
	v_cndmask_b32_e64 v157, v164, v163, s3
	v_cmp_eq_u32_e64 s3, 2, v141
	s_delay_alu instid0(VALU_DEP_3) | instskip(NEXT) | instid1(VALU_DEP_2)
	v_mul_f32_e32 v160, v158, v156
	v_cndmask_b32_e64 v157, v157, v165, s3
	v_cmp_eq_u32_e64 s3, 3, v141
	s_delay_alu instid0(VALU_DEP_3) | instskip(NEXT) | instid1(VALU_DEP_2)
	v_fma_f32 v162, -v155, v160, v158
	v_cndmask_b32_e64 v157, v157, v166, s3
	v_cmp_eq_u32_e64 s3, 4, v141
	s_delay_alu instid0(VALU_DEP_3) | instskip(NEXT) | instid1(VALU_DEP_2)
	v_fmac_f32_e32 v160, v162, v156
	v_cndmask_b32_e64 v157, v157, v161, s3
	s_delay_alu instid0(VALU_DEP_2) | instskip(SKIP_1) | instid1(VALU_DEP_2)
	v_fma_f32 v155, -v155, v160, v158
	v_cmp_eq_u32_e64 s3, 5, v141
	v_div_fmas_f32 v155, v155, v156, v160
	s_delay_alu instid0(VALU_DEP_2) | instskip(SKIP_2) | instid1(VALU_DEP_3)
	v_cndmask_b32_e64 v157, v157, v159, s3
	v_cmp_eq_u32_e32 vcc_lo, 6, v141
	s_mov_b32 s3, exec_lo
	v_div_fixup_f32 v154, v155, v154, 1.0
	s_delay_alu instid0(VALU_DEP_3) | instskip(SKIP_1) | instid1(VALU_DEP_2)
	v_cndmask_b32_e32 v142, v157, v142, vcc_lo
	v_cmp_eq_u32_e32 vcc_lo, 7, v141
	v_cndmask_b32_e32 v142, v142, v153, vcc_lo
	s_delay_alu instid0(VALU_DEP_1) | instskip(NEXT) | instid1(VALU_DEP_1)
	v_mul_f32_e32 v142, v142, v154
	v_mul_f32_e32 v153, v142, v149
	v_mul_f32_e32 v154, v142, v144
	v_mul_f32_e32 v144, v142, v152
	v_mul_f32_e32 v148, v142, v148
	v_mul_f32_e32 v151, v142, v151
	v_mul_f32_e32 v152, v142, v150
	v_dual_mul_f32 v150, v142, v147 :: v_dual_and_b32 v155, 0x7f800000, v154
	v_mul_f32_e32 v149, v142, v146
                                        ; implicit-def: $vgpr146
	s_delay_alu instid0(VALU_DEP_2)
	v_cmpx_ne_u32_e32 0x7f800000, v155
	s_xor_b32 s3, exec_lo, s3
; %bb.13:
	v_bfe_u32 v146, v154, 16, 1
	s_delay_alu instid0(VALU_DEP_1)
	v_add3_u32 v146, v154, v146, 0x7fff
                                        ; implicit-def: $vgpr154
; %bb.14:
	s_and_not1_saveexec_b32 s3, s3
; %bb.15:
	v_and_b32_e32 v146, 0xffff, v154
	v_or_b32_e32 v147, 0x10000, v154
	s_delay_alu instid0(VALU_DEP_2) | instskip(NEXT) | instid1(VALU_DEP_2)
	v_cmp_eq_u32_e32 vcc_lo, 0, v146
	v_cndmask_b32_e32 v146, v147, v154, vcc_lo
; %bb.16:
	s_or_b32 exec_lo, exec_lo, s3
	v_and_b32_e32 v147, 0x7f800000, v149
	s_delay_alu instid0(VALU_DEP_1) | instskip(SKIP_1) | instid1(SALU_CYCLE_1)
	v_cmp_ne_u32_e32 vcc_lo, 0x7f800000, v147
                                        ; implicit-def: $vgpr147
	s_and_saveexec_b32 s3, vcc_lo
	s_xor_b32 s3, exec_lo, s3
; %bb.17:
	v_bfe_u32 v147, v149, 16, 1
	s_delay_alu instid0(VALU_DEP_1)
	v_add3_u32 v147, v149, v147, 0x7fff
                                        ; implicit-def: $vgpr149
; %bb.18:
	s_and_not1_saveexec_b32 s3, s3
; %bb.19:
	v_and_b32_e32 v147, 0xffff, v149
	v_or_b32_e32 v154, 0x10000, v149
	s_delay_alu instid0(VALU_DEP_2) | instskip(NEXT) | instid1(VALU_DEP_2)
	v_cmp_eq_u32_e32 vcc_lo, 0, v147
	v_cndmask_b32_e32 v147, v154, v149, vcc_lo
; %bb.20:
	s_or_b32 exec_lo, exec_lo, s3
	v_and_b32_e32 v149, 0x7f800000, v150
	s_delay_alu instid0(VALU_DEP_1) | instskip(SKIP_1) | instid1(SALU_CYCLE_1)
	v_cmp_ne_u32_e32 vcc_lo, 0x7f800000, v149
                                        ; implicit-def: $vgpr149
	s_and_saveexec_b32 s3, vcc_lo
	s_xor_b32 s3, exec_lo, s3
; %bb.21:
	v_bfe_u32 v149, v150, 16, 1
	s_delay_alu instid0(VALU_DEP_1)
	v_add3_u32 v149, v150, v149, 0x7fff
                                        ; implicit-def: $vgpr150
; %bb.22:
	s_and_not1_saveexec_b32 s3, s3
; %bb.23:
	v_and_b32_e32 v149, 0xffff, v150
	v_or_b32_e32 v154, 0x10000, v150
	s_delay_alu instid0(VALU_DEP_2) | instskip(NEXT) | instid1(VALU_DEP_2)
	v_cmp_eq_u32_e32 vcc_lo, 0, v149
	v_cndmask_b32_e32 v149, v154, v150, vcc_lo
; %bb.24:
	s_or_b32 exec_lo, exec_lo, s3
	v_and_b32_e32 v150, 0x7f800000, v153
	s_delay_alu instid0(VALU_DEP_1) | instskip(SKIP_1) | instid1(SALU_CYCLE_1)
	v_cmp_ne_u32_e32 vcc_lo, 0x7f800000, v150
                                        ; implicit-def: $vgpr150
	s_and_saveexec_b32 s3, vcc_lo
	s_xor_b32 s3, exec_lo, s3
; %bb.25:
	v_bfe_u32 v150, v153, 16, 1
	s_delay_alu instid0(VALU_DEP_1)
	v_add3_u32 v150, v153, v150, 0x7fff
                                        ; implicit-def: $vgpr153
; %bb.26:
	s_and_not1_saveexec_b32 s3, s3
; %bb.27:
	v_and_b32_e32 v150, 0xffff, v153
	v_or_b32_e32 v154, 0x10000, v153
	s_delay_alu instid0(VALU_DEP_2) | instskip(NEXT) | instid1(VALU_DEP_2)
	v_cmp_eq_u32_e32 vcc_lo, 0, v150
	v_cndmask_b32_e32 v150, v154, v153, vcc_lo
; %bb.28:
	s_or_b32 exec_lo, exec_lo, s3
	v_and_b32_e32 v153, 0x7f800000, v152
	s_delay_alu instid0(VALU_DEP_1) | instskip(SKIP_1) | instid1(SALU_CYCLE_1)
	v_cmp_ne_u32_e32 vcc_lo, 0x7f800000, v153
                                        ; implicit-def: $vgpr153
	s_and_saveexec_b32 s3, vcc_lo
	s_xor_b32 s3, exec_lo, s3
; %bb.29:
	v_bfe_u32 v153, v152, 16, 1
	s_delay_alu instid0(VALU_DEP_1)
	v_add3_u32 v153, v152, v153, 0x7fff
                                        ; implicit-def: $vgpr152
; %bb.30:
	s_and_not1_saveexec_b32 s3, s3
; %bb.31:
	v_and_b32_e32 v153, 0xffff, v152
	v_or_b32_e32 v154, 0x10000, v152
	s_delay_alu instid0(VALU_DEP_2) | instskip(NEXT) | instid1(VALU_DEP_2)
	v_cmp_eq_u32_e32 vcc_lo, 0, v153
	v_cndmask_b32_e32 v153, v154, v152, vcc_lo
; %bb.32:
	s_or_b32 exec_lo, exec_lo, s3
	v_and_b32_e32 v152, 0x7f800000, v151
	s_delay_alu instid0(VALU_DEP_1) | instskip(SKIP_1) | instid1(SALU_CYCLE_1)
	v_cmp_ne_u32_e32 vcc_lo, 0x7f800000, v152
                                        ; implicit-def: $vgpr152
	s_and_saveexec_b32 s3, vcc_lo
	s_xor_b32 s3, exec_lo, s3
; %bb.33:
	v_bfe_u32 v152, v151, 16, 1
	s_delay_alu instid0(VALU_DEP_1)
	v_add3_u32 v152, v151, v152, 0x7fff
                                        ; implicit-def: $vgpr151
; %bb.34:
	s_and_not1_saveexec_b32 s3, s3
; %bb.35:
	v_and_b32_e32 v152, 0xffff, v151
	v_or_b32_e32 v154, 0x10000, v151
	s_delay_alu instid0(VALU_DEP_2) | instskip(NEXT) | instid1(VALU_DEP_2)
	v_cmp_eq_u32_e32 vcc_lo, 0, v152
	v_cndmask_b32_e32 v152, v154, v151, vcc_lo
; %bb.36:
	s_or_b32 exec_lo, exec_lo, s3
	v_and_b32_e32 v151, 0x7f800000, v148
	s_delay_alu instid0(VALU_DEP_1) | instskip(SKIP_1) | instid1(SALU_CYCLE_1)
	v_cmp_ne_u32_e32 vcc_lo, 0x7f800000, v151
                                        ; implicit-def: $vgpr151
	s_and_saveexec_b32 s3, vcc_lo
	s_xor_b32 s3, exec_lo, s3
; %bb.37:
	v_bfe_u32 v151, v148, 16, 1
	s_delay_alu instid0(VALU_DEP_1)
	v_add3_u32 v151, v148, v151, 0x7fff
                                        ; implicit-def: $vgpr148
; %bb.38:
	s_and_not1_saveexec_b32 s3, s3
; %bb.39:
	v_and_b32_e32 v151, 0xffff, v148
	v_or_b32_e32 v154, 0x10000, v148
	s_delay_alu instid0(VALU_DEP_2) | instskip(NEXT) | instid1(VALU_DEP_2)
	v_cmp_eq_u32_e32 vcc_lo, 0, v151
	v_cndmask_b32_e32 v151, v154, v148, vcc_lo
; %bb.40:
	s_or_b32 exec_lo, exec_lo, s3
	v_and_b32_e32 v148, 0x7f800000, v144
	s_delay_alu instid0(VALU_DEP_1) | instskip(SKIP_1) | instid1(SALU_CYCLE_1)
	v_cmp_ne_u32_e32 vcc_lo, 0x7f800000, v148
                                        ; implicit-def: $vgpr148
	s_and_saveexec_b32 s3, vcc_lo
	s_xor_b32 s3, exec_lo, s3
; %bb.41:
	v_bfe_u32 v148, v144, 16, 1
	s_delay_alu instid0(VALU_DEP_1)
	v_add3_u32 v148, v144, v148, 0x7fff
                                        ; implicit-def: $vgpr144
; %bb.42:
	s_and_not1_saveexec_b32 s3, s3
; %bb.43:
	v_and_b32_e32 v148, 0xffff, v144
	v_or_b32_e32 v154, 0x10000, v144
	s_delay_alu instid0(VALU_DEP_2) | instskip(NEXT) | instid1(VALU_DEP_2)
	v_cmp_eq_u32_e32 vcc_lo, 0, v148
	v_cndmask_b32_e32 v148, v154, v144, vcc_lo
; %bb.44:
	s_or_b32 exec_lo, exec_lo, s3
	s_load_b64 s[34:35], s[0:1], 0x94
	v_lshlrev_b32_e32 v155, 4, v138
	s_delay_alu instid0(VALU_DEP_2)
	v_perm_b32 v154, v148, v151, 0x7060302
	v_mul_f32_e32 v148, v142, v131
	v_dual_mul_f32 v145, v142, v145 :: v_dual_lshlrev_b32 v144, 6, v140
	v_dual_mul_f32 v143, v142, v143 :: v_dual_lshlrev_b32 v156, 11, v141
	v_perm_b32 v153, v152, v153, 0x7060302
	v_perm_b32 v152, v150, v149, 0x7060302
	;; [unrolled: 1-line block ×3, first 2 shown]
	s_delay_alu instid0(VALU_DEP_4)
	v_or3_b32 v131, v155, v156, v144
	v_mul_f32_e32 v136, v142, v136
	v_dual_mul_f32 v146, v142, v134 :: v_dual_and_b32 v149, 0x7f800000, v148
	v_mul_f32_e32 v135, v142, v135
	v_mul_f32_e32 v147, v142, v133
	;; [unrolled: 1-line block ×3, first 2 shown]
	s_mov_b32 s3, exec_lo
	ds_store_b128 v131, v[151:154]
                                        ; implicit-def: $vgpr132
	v_cmpx_ne_u32_e32 0x7f800000, v149
	s_xor_b32 s3, exec_lo, s3
; %bb.45:
	v_bfe_u32 v132, v148, 16, 1
	s_delay_alu instid0(VALU_DEP_1)
	v_add3_u32 v132, v148, v132, 0x7fff
                                        ; implicit-def: $vgpr148
; %bb.46:
	s_and_not1_saveexec_b32 s3, s3
; %bb.47:
	v_and_b32_e32 v132, 0xffff, v148
	v_or_b32_e32 v133, 0x10000, v148
	s_delay_alu instid0(VALU_DEP_2) | instskip(NEXT) | instid1(VALU_DEP_2)
	v_cmp_eq_u32_e32 vcc_lo, 0, v132
	v_cndmask_b32_e32 v132, v133, v148, vcc_lo
; %bb.48:
	s_or_b32 exec_lo, exec_lo, s3
	v_and_b32_e32 v133, 0x7f800000, v134
	s_delay_alu instid0(VALU_DEP_1) | instskip(SKIP_1) | instid1(SALU_CYCLE_1)
	v_cmp_ne_u32_e32 vcc_lo, 0x7f800000, v133
                                        ; implicit-def: $vgpr133
	s_and_saveexec_b32 s3, vcc_lo
	s_xor_b32 s3, exec_lo, s3
; %bb.49:
	v_bfe_u32 v133, v134, 16, 1
	s_delay_alu instid0(VALU_DEP_1)
	v_add3_u32 v133, v134, v133, 0x7fff
                                        ; implicit-def: $vgpr134
; %bb.50:
	s_and_not1_saveexec_b32 s3, s3
; %bb.51:
	v_and_b32_e32 v133, 0xffff, v134
	v_or_b32_e32 v142, 0x10000, v134
	s_delay_alu instid0(VALU_DEP_2) | instskip(NEXT) | instid1(VALU_DEP_2)
	v_cmp_eq_u32_e32 vcc_lo, 0, v133
	v_cndmask_b32_e32 v133, v142, v134, vcc_lo
; %bb.52:
	s_or_b32 exec_lo, exec_lo, s3
	v_and_b32_e32 v134, 0x7f800000, v147
	s_delay_alu instid0(VALU_DEP_1) | instskip(SKIP_1) | instid1(SALU_CYCLE_1)
	v_cmp_ne_u32_e32 vcc_lo, 0x7f800000, v134
                                        ; implicit-def: $vgpr134
	s_and_saveexec_b32 s3, vcc_lo
	s_xor_b32 s3, exec_lo, s3
; %bb.53:
	v_bfe_u32 v134, v147, 16, 1
	s_delay_alu instid0(VALU_DEP_1)
	v_add3_u32 v134, v147, v134, 0x7fff
                                        ; implicit-def: $vgpr147
; %bb.54:
	s_and_not1_saveexec_b32 s3, s3
; %bb.55:
	v_and_b32_e32 v134, 0xffff, v147
	v_or_b32_e32 v142, 0x10000, v147
	s_delay_alu instid0(VALU_DEP_2) | instskip(NEXT) | instid1(VALU_DEP_2)
	v_cmp_eq_u32_e32 vcc_lo, 0, v134
	v_cndmask_b32_e32 v134, v142, v147, vcc_lo
; %bb.56:
	s_or_b32 exec_lo, exec_lo, s3
	v_and_b32_e32 v142, 0x7f800000, v146
	s_delay_alu instid0(VALU_DEP_1) | instskip(SKIP_1) | instid1(SALU_CYCLE_1)
	v_cmp_ne_u32_e32 vcc_lo, 0x7f800000, v142
                                        ; implicit-def: $vgpr142
	s_and_saveexec_b32 s3, vcc_lo
	s_xor_b32 s3, exec_lo, s3
; %bb.57:
	v_bfe_u32 v142, v146, 16, 1
	s_delay_alu instid0(VALU_DEP_1)
	v_add3_u32 v142, v146, v142, 0x7fff
                                        ; implicit-def: $vgpr146
; %bb.58:
	s_and_not1_saveexec_b32 s3, s3
; %bb.59:
	v_and_b32_e32 v142, 0xffff, v146
	v_or_b32_e32 v147, 0x10000, v146
	s_delay_alu instid0(VALU_DEP_2) | instskip(NEXT) | instid1(VALU_DEP_2)
	v_cmp_eq_u32_e32 vcc_lo, 0, v142
	v_cndmask_b32_e32 v142, v147, v146, vcc_lo
; %bb.60:
	s_or_b32 exec_lo, exec_lo, s3
	v_and_b32_e32 v146, 0x7f800000, v135
	s_delay_alu instid0(VALU_DEP_1) | instskip(SKIP_1) | instid1(SALU_CYCLE_1)
	v_cmp_ne_u32_e32 vcc_lo, 0x7f800000, v146
                                        ; implicit-def: $vgpr146
	s_and_saveexec_b32 s3, vcc_lo
	s_xor_b32 s3, exec_lo, s3
; %bb.61:
	v_bfe_u32 v146, v135, 16, 1
	s_delay_alu instid0(VALU_DEP_1)
	v_add3_u32 v146, v135, v146, 0x7fff
                                        ; implicit-def: $vgpr135
; %bb.62:
	s_and_not1_saveexec_b32 s3, s3
; %bb.63:
	v_and_b32_e32 v146, 0xffff, v135
	v_or_b32_e32 v147, 0x10000, v135
	s_delay_alu instid0(VALU_DEP_2) | instskip(NEXT) | instid1(VALU_DEP_2)
	v_cmp_eq_u32_e32 vcc_lo, 0, v146
	v_cndmask_b32_e32 v146, v147, v135, vcc_lo
; %bb.64:
	s_or_b32 exec_lo, exec_lo, s3
	v_and_b32_e32 v135, 0x7f800000, v136
	s_delay_alu instid0(VALU_DEP_1) | instskip(SKIP_1) | instid1(SALU_CYCLE_1)
	v_cmp_ne_u32_e32 vcc_lo, 0x7f800000, v135
                                        ; implicit-def: $vgpr135
	s_and_saveexec_b32 s3, vcc_lo
	s_xor_b32 s3, exec_lo, s3
; %bb.65:
	v_bfe_u32 v135, v136, 16, 1
	s_delay_alu instid0(VALU_DEP_1)
	v_add3_u32 v135, v136, v135, 0x7fff
                                        ; implicit-def: $vgpr136
; %bb.66:
	s_and_not1_saveexec_b32 s3, s3
; %bb.67:
	v_and_b32_e32 v135, 0xffff, v136
	v_or_b32_e32 v147, 0x10000, v136
	s_delay_alu instid0(VALU_DEP_2) | instskip(NEXT) | instid1(VALU_DEP_2)
	v_cmp_eq_u32_e32 vcc_lo, 0, v135
	v_cndmask_b32_e32 v135, v147, v136, vcc_lo
; %bb.68:
	s_or_b32 exec_lo, exec_lo, s3
	v_and_b32_e32 v136, 0x7f800000, v143
	s_delay_alu instid0(VALU_DEP_1) | instskip(SKIP_1) | instid1(SALU_CYCLE_1)
	v_cmp_ne_u32_e32 vcc_lo, 0x7f800000, v136
                                        ; implicit-def: $vgpr136
	s_and_saveexec_b32 s3, vcc_lo
	s_xor_b32 s3, exec_lo, s3
; %bb.69:
	v_bfe_u32 v136, v143, 16, 1
	s_delay_alu instid0(VALU_DEP_1)
	v_add3_u32 v136, v143, v136, 0x7fff
                                        ; implicit-def: $vgpr143
; %bb.70:
	s_and_not1_saveexec_b32 s3, s3
; %bb.71:
	v_and_b32_e32 v136, 0xffff, v143
	v_or_b32_e32 v147, 0x10000, v143
	s_delay_alu instid0(VALU_DEP_2) | instskip(NEXT) | instid1(VALU_DEP_2)
	v_cmp_eq_u32_e32 vcc_lo, 0, v136
	v_cndmask_b32_e32 v136, v147, v143, vcc_lo
; %bb.72:
	s_or_b32 exec_lo, exec_lo, s3
	v_and_b32_e32 v143, 0x7f800000, v145
	s_delay_alu instid0(VALU_DEP_1) | instskip(SKIP_1) | instid1(SALU_CYCLE_1)
	v_cmp_ne_u32_e32 vcc_lo, 0x7f800000, v143
                                        ; implicit-def: $vgpr143
	s_and_saveexec_b32 s3, vcc_lo
	s_xor_b32 s3, exec_lo, s3
; %bb.73:
	v_bfe_u32 v143, v145, 16, 1
	s_delay_alu instid0(VALU_DEP_1)
	v_add3_u32 v143, v145, v143, 0x7fff
                                        ; implicit-def: $vgpr145
; %bb.74:
	s_and_not1_saveexec_b32 s3, s3
; %bb.75:
	v_and_b32_e32 v143, 0xffff, v145
	v_or_b32_e32 v147, 0x10000, v145
	s_delay_alu instid0(VALU_DEP_2) | instskip(NEXT) | instid1(VALU_DEP_2)
	v_cmp_eq_u32_e32 vcc_lo, 0, v143
	v_cndmask_b32_e32 v143, v147, v145, vcc_lo
; %bb.76:
	s_or_b32 exec_lo, exec_lo, s3
	s_delay_alu instid0(VALU_DEP_1)
	v_perm_b32 v136, v143, v136, 0x7060302
	v_perm_b32 v135, v135, v146, 0x7060302
	;; [unrolled: 1-line block ×4, first 2 shown]
	v_lshl_or_b32 v145, v141, 11, v144
	v_lshlrev_b32_e32 v142, 2, v138
	ds_store_b128 v131, v[133:136] offset:1024
	s_waitcnt lgkmcnt(0)
	s_barrier
	buffer_gl0_inv
	ds_load_b128 v[132:135], v145
	ds_load_b128 v[147:150], v145 offset:16
	v_or_b32_e32 v143, 1, v142
	v_cmp_eq_u32_e64 s12, 1, v142
	v_cmp_eq_u32_e64 s11, 2, v142
	;; [unrolled: 1-line block ×3, first 2 shown]
	v_or_b32_e32 v141, 2, v142
	v_cmp_eq_u32_e64 s7, 1, v143
	v_cmp_eq_u32_e64 s6, 2, v143
	;; [unrolled: 1-line block ×8, first 2 shown]
	v_cmp_eq_u32_e32 vcc_lo, 5, v143
	v_cmp_eq_u32_e64 s10, 2, v141
	v_cmp_eq_u32_e64 s4, 6, v143
	;; [unrolled: 1-line block ×4, first 2 shown]
	s_waitcnt lgkmcnt(1)
	v_lshrrev_b32_e32 v136, 16, v132
	s_waitcnt lgkmcnt(0)
	v_lshrrev_b32_e32 v155, 16, v147
	v_lshrrev_b32_e32 v161, 16, v148
	;; [unrolled: 1-line block ×4, first 2 shown]
	v_cndmask_b32_e64 v146, v132, v136, s12
	v_cndmask_b32_e64 v151, v147, v155, s12
	;; [unrolled: 1-line block ×4, first 2 shown]
	v_lshrrev_b32_e32 v160, 16, v134
	v_cndmask_b32_e64 v146, v146, v133, s11
	v_cndmask_b32_e64 v151, v151, v148, s11
	;; [unrolled: 1-line block ×8, first 2 shown]
	v_lshrrev_b32_e32 v164, 16, v150
	v_cndmask_b32_e64 v153, v153, v161, s5
	v_cndmask_b32_e64 v146, v146, v134, s17
	;; [unrolled: 1-line block ×5, first 2 shown]
	v_lshrrev_b32_e32 v162, 16, v135
	v_cndmask_b32_e64 v146, v146, v160, s13
	v_cndmask_b32_e64 v151, v151, v163, s13
	v_cndmask_b32_e32 v152, v152, v160, vcc_lo
	v_cndmask_b32_e64 v153, v153, v149, s3
	v_cmp_eq_u32_e64 s19, 7, v143
	v_cndmask_b32_e64 v146, v146, v135, s15
	v_cndmask_b32_e64 v151, v151, v150, s15
	v_cndmask_b32_e64 v152, v152, v135, s4
	v_cndmask_b32_e64 v154, v154, v159, s18
	v_cmp_eq_u32_e64 s20, 4, v141
	v_cndmask_b32_e64 v165, v146, v162, s9
	v_cndmask_b32_e64 v166, v151, v164, s9
	;; [unrolled: 1-line block ×3, first 2 shown]
	v_or_b32_e32 v146, 3, v142
	v_cndmask_b32_e64 v167, v152, v162, s19
	v_cndmask_b32_e32 v156, v153, v163, vcc_lo
	v_cndmask_b32_e64 v158, v154, v134, s20
	v_cndmask_b32_e64 v157, v151, v148, s10
	ds_load_b128 v[151:154], v145 offset:1024
	v_cmp_eq_u32_e64 s21, 1, v146
	v_cmp_eq_u32_e64 s22, 5, v141
	;; [unrolled: 1-line block ×3, first 2 shown]
	v_cndmask_b32_e64 v157, v157, v161, s18
	v_cmp_eq_u32_e64 s24, 3, v146
	v_cndmask_b32_e64 v132, v132, v136, s21
	v_cndmask_b32_e64 v136, v156, v150, s4
	;; [unrolled: 1-line block ×5, first 2 shown]
	ds_load_b128 v[155:158], v145 offset:1040
	v_cndmask_b32_e64 v132, v132, v133, s23
	v_cmp_eq_u32_e64 s26, 4, v146
	v_cmp_eq_u32_e64 s28, 5, v146
	v_cndmask_b32_e64 v147, v147, v148, s23
	v_cmp_eq_u32_e64 s25, 6, v141
	v_cndmask_b32_e64 v132, v132, v159, s24
	;; [unrolled: 2-line block ×3, first 2 shown]
	v_cndmask_b32_e64 v147, v147, v161, s24
	s_waitcnt lgkmcnt(1)
	v_lshrrev_b32_e32 v159, 16, v151
	v_cndmask_b32_e64 v132, v132, v134, s26
	v_cndmask_b32_e64 v148, v168, v135, s25
	;; [unrolled: 1-line block ×6, first 2 shown]
	v_lshrrev_b32_e32 v160, 16, v152
	v_cndmask_b32_e64 v161, v151, v159, s7
	v_cndmask_b32_e64 v134, v134, v163, s28
	s_waitcnt lgkmcnt(0)
	v_lshrrev_b32_e32 v149, 16, v155
	v_cndmask_b32_e64 v147, v147, v152, s11
	v_cndmask_b32_e64 v132, v132, v135, s29
	v_cmp_eq_u32_e64 s27, 7, v141
	v_cndmask_b32_e64 v134, v134, v150, s29
	v_cndmask_b32_e64 v163, v155, v149, s12
	;; [unrolled: 1-line block ×4, first 2 shown]
	v_lshrrev_b32_e32 v161, 16, v156
	v_cndmask_b32_e64 v136, v136, v164, s19
	v_cndmask_b32_e64 v150, v163, v156, s11
	v_cmp_eq_u32_e64 s11, 7, v146
	v_cndmask_b32_e64 v147, v147, v160, s5
	v_cndmask_b32_e64 v135, v135, v153, s17
	v_lshrrev_b32_e32 v163, 16, v153
	v_cndmask_b32_e64 v150, v150, v161, s16
	v_cndmask_b32_e64 v132, v132, v162, s11
	;; [unrolled: 1-line block ×8, first 2 shown]
	v_lshrrev_b32_e32 v164, 16, v157
	v_perm_b32 v135, v134, v132, 0x5040100
	v_cndmask_b32_e32 v132, v147, v163, vcc_lo
	v_cndmask_b32_e64 v147, v162, v154, s15
	v_lshrrev_b32_e32 v162, 16, v154
	v_cndmask_b32_e64 v150, v150, v164, s13
	v_perm_b32 v134, v133, v148, 0x5040100
	v_cndmask_b32_e64 v132, v132, v154, s4
	v_perm_b32 v133, v136, v167, 0x5040100
	v_cndmask_b32_e64 v136, v147, v162, s9
	v_cndmask_b32_e64 v147, v150, v158, s15
	;; [unrolled: 1-line block ×27, first 2 shown]
	v_cndmask_b32_e32 v149, v149, v164, vcc_lo
	v_lshrrev_b32_e32 v148, 16, v158
	v_cndmask_b32_e64 v132, v132, v154, s25
	v_cndmask_b32_e64 v150, v150, v154, s29
	;; [unrolled: 1-line block ×11, first 2 shown]
	v_perm_b32 v132, v166, v165, 0x5040100
	v_perm_b32 v150, v151, v150, 0x5040100
	;; [unrolled: 1-line block ×5, first 2 shown]
	s_mul_i32 s8, s35, 9
	s_mov_b32 s3, exec_lo
	ds_store_b128 v131, v[132:135]
	ds_store_b128 v131, v[147:150] offset:1024
	v_cmpx_gt_u32_e32 9, v0
	s_cbranch_execz .LBB642_78
; %bb.77:
	s_mul_i32 s4, s8, s30
	s_delay_alu instid0(SALU_CYCLE_1) | instskip(SKIP_1) | instid1(VALU_DEP_1)
	v_add3_u32 v133, s4, s31, v140
	s_load_b128 s[4:7], s[0:1], 0x58
	v_mad_u64_u32 v[131:132], null, v133, s34, s[14:15]
	s_delay_alu instid0(VALU_DEP_1) | instskip(NEXT) | instid1(VALU_DEP_1)
	v_ashrrev_i32_e32 v132, 31, v131
	v_lshlrev_b64 v[131:132], 2, v[131:132]
	s_waitcnt lgkmcnt(0)
	s_delay_alu instid0(VALU_DEP_1) | instskip(NEXT) | instid1(VALU_DEP_2)
	v_add_co_u32 v133, vcc_lo, s6, v131
	v_add_co_ci_u32_e32 v134, vcc_lo, s7, v132, vcc_lo
	v_add_co_u32 v131, vcc_lo, s4, v131
	v_add_co_ci_u32_e32 v132, vcc_lo, s5, v132, vcc_lo
	global_store_b32 v[133:134], v129, off
	global_store_b32 v[131:132], v130, off
.LBB642_78:
	s_or_b32 exec_lo, exec_lo, s3
	s_waitcnt lgkmcnt(0)
	s_waitcnt_vscnt null, 0x0
	s_barrier
	buffer_gl0_inv
	ds_load_b128 v[147:150], v144
	ds_load_b128 v[151:154], v144 offset:16
	ds_load_b128 v[159:162], v144 offset:1040
	;; [unrolled: 1-line block ×3, first 2 shown]
	v_mov_b32_e32 v129, 0
	ds_load_b128 v[167:170], v144 offset:2064
	ds_load_b128 v[163:166], v144 offset:2048
	;; [unrolled: 1-line block ×6, first 2 shown]
	v_mov_b32_e32 v130, v129
	v_mov_b32_e32 v131, v129
	;; [unrolled: 1-line block ×7, first 2 shown]
	s_waitcnt lgkmcnt(8)
	s_delay_alu instid0(VALU_DEP_1)
	v_wmma_f32_16x16x16_bf16 v[129:136], v[121:128], v[147:154], v[129:136]
	ds_load_b128 v[125:128], v144 offset:5136
	ds_load_b128 v[121:124], v144 offset:5120
	s_waitcnt lgkmcnt(8)
	v_wmma_f32_16x16x16_bf16 v[129:136], v[113:120], v[155:162], v[129:136]
	ds_load_b128 v[117:120], v144 offset:6160
	ds_load_b128 v[113:116], v144 offset:6144
	s_waitcnt lgkmcnt(8)
	v_wmma_f32_16x16x16_bf16 v[129:136], v[105:112], v[163:170], v[129:136]
	ds_load_b128 v[109:112], v144 offset:7184
	ds_load_b128 v[105:108], v144 offset:7168
	s_waitcnt lgkmcnt(8)
	v_wmma_f32_16x16x16_bf16 v[129:136], v[97:104], v[171:178], v[129:136]
	ds_load_b128 v[101:104], v144 offset:8208
	ds_load_b128 v[97:100], v144 offset:8192
	s_waitcnt lgkmcnt(8)
	v_wmma_f32_16x16x16_bf16 v[129:136], v[89:96], v[179:186], v[129:136]
	ds_load_b128 v[93:96], v144 offset:9232
	ds_load_b128 v[89:92], v144 offset:9216
	s_waitcnt lgkmcnt(8)
	v_wmma_f32_16x16x16_bf16 v[129:136], v[81:88], v[121:128], v[129:136]
	ds_load_b128 v[85:88], v144 offset:10256
	ds_load_b128 v[81:84], v144 offset:10240
	s_waitcnt lgkmcnt(8)
	v_wmma_f32_16x16x16_bf16 v[129:136], v[73:80], v[113:120], v[129:136]
	ds_load_b128 v[77:80], v144 offset:11280
	ds_load_b128 v[73:76], v144 offset:11264
	s_waitcnt lgkmcnt(8)
	v_wmma_f32_16x16x16_bf16 v[129:136], v[57:64], v[105:112], v[129:136]
	ds_load_b128 v[61:64], v144 offset:12304
	ds_load_b128 v[57:60], v144 offset:12288
	s_waitcnt lgkmcnt(8)
	v_wmma_f32_16x16x16_bf16 v[129:136], v[65:72], v[97:104], v[129:136]
	s_waitcnt lgkmcnt(6)
	s_delay_alu instid0(VALU_DEP_1)
	v_wmma_f32_16x16x16_bf16 v[129:136], v[49:56], v[89:96], v[129:136]
	ds_load_b128 v[53:56], v144 offset:13328
	ds_load_b128 v[49:52], v144 offset:13312
	s_waitcnt lgkmcnt(6)
	v_wmma_f32_16x16x16_bf16 v[129:136], v[41:48], v[81:88], v[129:136]
	ds_load_b128 v[45:48], v144 offset:14352
	ds_load_b128 v[41:44], v144 offset:14336
	s_waitcnt lgkmcnt(6)
	;; [unrolled: 4-line block ×3, first 2 shown]
	v_wmma_f32_16x16x16_bf16 v[129:136], v[1:8], v[57:64], v[129:136]
	s_waitcnt lgkmcnt(4)
	s_delay_alu instid0(VALU_DEP_1) | instskip(SKIP_1) | instid1(VALU_DEP_1)
	v_wmma_f32_16x16x16_bf16 v[129:136], v[25:32], v[49:56], v[129:136]
	s_waitcnt lgkmcnt(2)
	v_wmma_f32_16x16x16_bf16 v[129:136], v[33:40], v[41:48], v[129:136]
	s_waitcnt lgkmcnt(0)
	s_delay_alu instid0(VALU_DEP_1) | instskip(NEXT) | instid1(VALU_DEP_1)
	v_wmma_f32_16x16x16_bf16 v[129:136], v[9:16], v[17:24], v[129:136]
	v_and_b32_e32 v1, 0x7f800000, v129
	s_delay_alu instid0(VALU_DEP_1) | instskip(SKIP_1) | instid1(SALU_CYCLE_1)
	v_cmp_ne_u32_e32 vcc_lo, 0x7f800000, v1
                                        ; implicit-def: $vgpr1
	s_and_saveexec_b32 s3, vcc_lo
	s_xor_b32 s3, exec_lo, s3
; %bb.79:
	v_bfe_u32 v1, v129, 16, 1
	s_delay_alu instid0(VALU_DEP_1)
	v_add3_u32 v1, v129, v1, 0x7fff
; %bb.80:
	s_and_not1_saveexec_b32 s3, s3
; %bb.81:
	v_and_b32_e32 v1, 0xffff, v129
	v_or_b32_e32 v2, 0x10000, v129
	s_delay_alu instid0(VALU_DEP_2) | instskip(NEXT) | instid1(VALU_DEP_2)
	v_cmp_eq_u32_e32 vcc_lo, 0, v1
	v_cndmask_b32_e32 v1, v2, v129, vcc_lo
; %bb.82:
	s_or_b32 exec_lo, exec_lo, s3
	v_and_b32_e32 v2, 0x7f800000, v130
	s_delay_alu instid0(VALU_DEP_1) | instskip(SKIP_1) | instid1(SALU_CYCLE_1)
	v_cmp_ne_u32_e32 vcc_lo, 0x7f800000, v2
                                        ; implicit-def: $vgpr2
	s_and_saveexec_b32 s3, vcc_lo
	s_xor_b32 s3, exec_lo, s3
; %bb.83:
	v_bfe_u32 v2, v130, 16, 1
	s_delay_alu instid0(VALU_DEP_1)
	v_add3_u32 v2, v130, v2, 0x7fff
; %bb.84:
	s_and_not1_saveexec_b32 s3, s3
; %bb.85:
	v_and_b32_e32 v2, 0xffff, v130
	v_or_b32_e32 v3, 0x10000, v130
	s_delay_alu instid0(VALU_DEP_2) | instskip(NEXT) | instid1(VALU_DEP_2)
	v_cmp_eq_u32_e32 vcc_lo, 0, v2
	v_cndmask_b32_e32 v2, v3, v130, vcc_lo
; %bb.86:
	s_or_b32 exec_lo, exec_lo, s3
	v_and_b32_e32 v3, 0x7f800000, v131
	s_delay_alu instid0(VALU_DEP_1) | instskip(SKIP_1) | instid1(SALU_CYCLE_1)
	v_cmp_ne_u32_e32 vcc_lo, 0x7f800000, v3
                                        ; implicit-def: $vgpr3
	s_and_saveexec_b32 s3, vcc_lo
	s_xor_b32 s3, exec_lo, s3
; %bb.87:
	v_bfe_u32 v3, v131, 16, 1
	s_delay_alu instid0(VALU_DEP_1)
	v_add3_u32 v3, v131, v3, 0x7fff
; %bb.88:
	s_and_not1_saveexec_b32 s3, s3
; %bb.89:
	v_and_b32_e32 v3, 0xffff, v131
	v_or_b32_e32 v4, 0x10000, v131
	s_delay_alu instid0(VALU_DEP_2) | instskip(NEXT) | instid1(VALU_DEP_2)
	v_cmp_eq_u32_e32 vcc_lo, 0, v3
	v_cndmask_b32_e32 v3, v4, v131, vcc_lo
; %bb.90:
	s_or_b32 exec_lo, exec_lo, s3
	v_and_b32_e32 v4, 0x7f800000, v132
	s_delay_alu instid0(VALU_DEP_1) | instskip(SKIP_1) | instid1(SALU_CYCLE_1)
	v_cmp_ne_u32_e32 vcc_lo, 0x7f800000, v4
                                        ; implicit-def: $vgpr4
	s_and_saveexec_b32 s3, vcc_lo
	s_xor_b32 s3, exec_lo, s3
; %bb.91:
	v_bfe_u32 v4, v132, 16, 1
	s_delay_alu instid0(VALU_DEP_1)
	v_add3_u32 v4, v132, v4, 0x7fff
; %bb.92:
	s_and_not1_saveexec_b32 s3, s3
; %bb.93:
	v_and_b32_e32 v4, 0xffff, v132
	v_or_b32_e32 v5, 0x10000, v132
	s_delay_alu instid0(VALU_DEP_2) | instskip(NEXT) | instid1(VALU_DEP_2)
	v_cmp_eq_u32_e32 vcc_lo, 0, v4
	v_cndmask_b32_e32 v4, v5, v132, vcc_lo
; %bb.94:
	s_or_b32 exec_lo, exec_lo, s3
	v_and_b32_e32 v5, 0x7f800000, v133
	s_delay_alu instid0(VALU_DEP_1) | instskip(SKIP_1) | instid1(SALU_CYCLE_1)
	v_cmp_ne_u32_e32 vcc_lo, 0x7f800000, v5
                                        ; implicit-def: $vgpr5
	s_and_saveexec_b32 s3, vcc_lo
	s_xor_b32 s3, exec_lo, s3
; %bb.95:
	v_bfe_u32 v5, v133, 16, 1
	s_delay_alu instid0(VALU_DEP_1)
	v_add3_u32 v5, v133, v5, 0x7fff
; %bb.96:
	s_and_not1_saveexec_b32 s3, s3
; %bb.97:
	v_and_b32_e32 v5, 0xffff, v133
	v_or_b32_e32 v6, 0x10000, v133
	s_delay_alu instid0(VALU_DEP_2) | instskip(NEXT) | instid1(VALU_DEP_2)
	v_cmp_eq_u32_e32 vcc_lo, 0, v5
	v_cndmask_b32_e32 v5, v6, v133, vcc_lo
; %bb.98:
	s_or_b32 exec_lo, exec_lo, s3
	v_and_b32_e32 v6, 0x7f800000, v134
	s_delay_alu instid0(VALU_DEP_1) | instskip(SKIP_1) | instid1(SALU_CYCLE_1)
	v_cmp_ne_u32_e32 vcc_lo, 0x7f800000, v6
                                        ; implicit-def: $vgpr6
	s_and_saveexec_b32 s3, vcc_lo
	s_xor_b32 s3, exec_lo, s3
; %bb.99:
	v_bfe_u32 v6, v134, 16, 1
	s_delay_alu instid0(VALU_DEP_1)
	v_add3_u32 v6, v134, v6, 0x7fff
; %bb.100:
	s_and_not1_saveexec_b32 s3, s3
; %bb.101:
	v_and_b32_e32 v6, 0xffff, v134
	v_or_b32_e32 v7, 0x10000, v134
	s_delay_alu instid0(VALU_DEP_2) | instskip(NEXT) | instid1(VALU_DEP_2)
	v_cmp_eq_u32_e32 vcc_lo, 0, v6
	v_cndmask_b32_e32 v6, v7, v134, vcc_lo
; %bb.102:
	s_or_b32 exec_lo, exec_lo, s3
	v_and_b32_e32 v7, 0x7f800000, v135
	s_delay_alu instid0(VALU_DEP_1) | instskip(SKIP_1) | instid1(SALU_CYCLE_1)
	v_cmp_ne_u32_e32 vcc_lo, 0x7f800000, v7
                                        ; implicit-def: $vgpr7
	s_and_saveexec_b32 s3, vcc_lo
	s_xor_b32 s3, exec_lo, s3
; %bb.103:
	v_bfe_u32 v7, v135, 16, 1
	s_delay_alu instid0(VALU_DEP_1)
	v_add3_u32 v7, v135, v7, 0x7fff
; %bb.104:
	s_and_not1_saveexec_b32 s3, s3
; %bb.105:
	v_and_b32_e32 v7, 0xffff, v135
	v_or_b32_e32 v8, 0x10000, v135
	s_delay_alu instid0(VALU_DEP_2) | instskip(NEXT) | instid1(VALU_DEP_2)
	v_cmp_eq_u32_e32 vcc_lo, 0, v7
	v_cndmask_b32_e32 v7, v8, v135, vcc_lo
; %bb.106:
	s_or_b32 exec_lo, exec_lo, s3
	v_and_b32_e32 v8, 0x7f800000, v136
	s_delay_alu instid0(VALU_DEP_1) | instskip(SKIP_1) | instid1(SALU_CYCLE_1)
	v_cmp_ne_u32_e32 vcc_lo, 0x7f800000, v8
                                        ; implicit-def: $vgpr8
	s_and_saveexec_b32 s3, vcc_lo
	s_xor_b32 s3, exec_lo, s3
; %bb.107:
	v_bfe_u32 v8, v136, 16, 1
	s_delay_alu instid0(VALU_DEP_1)
	v_add3_u32 v8, v136, v8, 0x7fff
                                        ; implicit-def: $vgpr129_vgpr130_vgpr131_vgpr132_vgpr133_vgpr134_vgpr135_vgpr136
; %bb.108:
	s_and_not1_saveexec_b32 s3, s3
; %bb.109:
	v_and_b32_e32 v8, 0xffff, v136
	v_or_b32_e32 v9, 0x10000, v136
	s_delay_alu instid0(VALU_DEP_2) | instskip(NEXT) | instid1(VALU_DEP_2)
	v_cmp_eq_u32_e32 vcc_lo, 0, v8
	v_cndmask_b32_e32 v8, v9, v136, vcc_lo
; %bb.110:
	s_or_b32 exec_lo, exec_lo, s3
	s_delay_alu instid0(VALU_DEP_1)
	v_perm_b32 v7, v8, v7, 0x7060302
	v_perm_b32 v6, v6, v5, 0x7060302
	;; [unrolled: 1-line block ×4, first 2 shown]
	v_lshl_or_b32 v9, v138, 4, v145
	s_barrier
	buffer_gl0_inv
	v_cmp_eq_u32_e32 vcc_lo, 1, v142
	ds_store_b128 v9, v[4:7]
	s_waitcnt lgkmcnt(0)
	s_barrier
	buffer_gl0_inv
	ds_load_b128 v[1:4], v145
	ds_load_b128 v[5:8], v145 offset:16
	v_cmp_eq_u32_e64 s4, 2, v142
	v_cmp_eq_u32_e64 s3, 1, v143
	;; [unrolled: 1-line block ×5, first 2 shown]
	s_waitcnt lgkmcnt(1)
	v_lshrrev_b32_e32 v10, 16, v1
	s_waitcnt lgkmcnt(0)
	v_lshrrev_b32_e32 v14, 16, v5
	v_lshrrev_b32_e32 v15, 16, v6
	v_lshrrev_b32_e32 v11, 16, v2
	v_lshrrev_b32_e32 v12, 16, v3
	v_cndmask_b32_e64 v20, v1, v10, s3
	v_cndmask_b32_e32 v19, v5, v14, vcc_lo
	v_cndmask_b32_e64 v21, v5, v14, s3
	v_lshrrev_b32_e32 v16, 16, v7
	v_cmp_eq_u32_e64 s3, 1, v141
	v_lshrrev_b32_e32 v13, 16, v4
	v_cndmask_b32_e64 v19, v19, v6, s4
	v_lshrrev_b32_e32 v17, 16, v8
	s_delay_alu instid0(VALU_DEP_4) | instskip(SKIP_1) | instid1(VALU_DEP_4)
	v_cndmask_b32_e64 v22, v1, v10, s3
	v_cndmask_b32_e64 v23, v5, v14, s3
	v_cndmask_b32_e64 v19, v19, v15, s5
	v_cndmask_b32_e32 v18, v1, v10, vcc_lo
	v_cmp_eq_u32_e32 vcc_lo, 2, v143
	v_cmp_eq_u32_e64 s3, 2, v146
	v_cndmask_b32_e64 v22, v22, v2, s7
	v_cndmask_b32_e32 v20, v20, v2, vcc_lo
	v_cndmask_b32_e32 v21, v21, v6, vcc_lo
	v_cmp_eq_u32_e32 vcc_lo, 4, v142
	v_cndmask_b32_e32 v19, v19, v7, vcc_lo
	v_cndmask_b32_e64 v18, v18, v2, s4
	v_cmp_eq_u32_e64 s4, 3, v143
	s_delay_alu instid0(VALU_DEP_2) | instskip(NEXT) | instid1(VALU_DEP_2)
	v_cndmask_b32_e64 v18, v18, v11, s5
	v_cndmask_b32_e64 v21, v21, v15, s4
	v_cmp_eq_u32_e64 s5, 5, v142
	s_delay_alu instid0(VALU_DEP_3) | instskip(SKIP_1) | instid1(VALU_DEP_3)
	v_cndmask_b32_e32 v18, v18, v3, vcc_lo
	v_cmp_eq_u32_e32 vcc_lo, 4, v143
	v_cndmask_b32_e64 v19, v19, v16, s5
	s_delay_alu instid0(VALU_DEP_3) | instskip(SKIP_4) | instid1(VALU_DEP_3)
	v_cndmask_b32_e64 v18, v18, v12, s5
	v_cndmask_b32_e32 v21, v21, v7, vcc_lo
	v_cndmask_b32_e64 v20, v20, v11, s4
	v_cmp_eq_u32_e64 s4, 5, v143
	v_cmp_eq_u32_e64 s5, 6, v142
	v_cndmask_b32_e32 v20, v20, v3, vcc_lo
	s_delay_alu instid0(VALU_DEP_3) | instskip(SKIP_1) | instid1(VALU_DEP_4)
	v_cndmask_b32_e64 v21, v21, v16, s4
	v_cmp_eq_u32_e32 vcc_lo, 6, v143
	v_cndmask_b32_e64 v18, v18, v4, s5
	v_cndmask_b32_e64 v19, v19, v8, s5
	;; [unrolled: 1-line block ×3, first 2 shown]
	v_cmp_eq_u32_e64 s4, 1, v146
	v_cmp_eq_u32_e64 s5, 7, v142
	s_delay_alu instid0(VALU_DEP_3) | instskip(NEXT) | instid1(VALU_DEP_3)
	v_cndmask_b32_e32 v20, v20, v4, vcc_lo
	v_cndmask_b32_e64 v1, v1, v10, s4
	v_cndmask_b32_e64 v5, v5, v14, s4
	v_cmp_eq_u32_e64 s4, 3, v141
	v_cndmask_b32_e64 v14, v23, v6, s7
	v_cmp_eq_u32_e64 s7, 3, v146
	v_cndmask_b32_e64 v1, v1, v2, s3
	v_cndmask_b32_e64 v2, v5, v6, s3
	v_cndmask_b32_e64 v10, v22, v11, s4
	v_cmp_eq_u32_e64 s3, 4, v141
	v_cndmask_b32_e64 v6, v14, v15, s4
	v_cndmask_b32_e64 v1, v1, v11, s7
	v_cmp_eq_u32_e64 s4, 4, v146
	v_cndmask_b32_e64 v2, v2, v15, s7
	v_cndmask_b32_e64 v5, v10, v3, s3
	;; [unrolled: 3-line block ×3, first 2 shown]
	v_cndmask_b32_e64 v2, v2, v7, s4
	v_cmp_eq_u32_e64 s3, 5, v146
	v_cndmask_b32_e64 v5, v5, v12, s7
	v_cmp_eq_u32_e64 s4, 6, v141
	;; [unrolled: 2-line block ×3, first 2 shown]
	v_cndmask_b32_e64 v1, v1, v12, s3
	v_cndmask_b32_e64 v2, v2, v16, s3
	;; [unrolled: 1-line block ×4, first 2 shown]
	v_cmp_eq_u32_e64 s3, 7, v146
	v_cndmask_b32_e64 v1, v1, v4, s7
	v_cndmask_b32_e64 v2, v2, v8, s7
	v_cmp_eq_u32_e64 s4, 7, v141
	v_cndmask_b32_e32 v4, v21, v8, vcc_lo
	v_cndmask_b32_e64 v18, v18, v13, s5
	v_cndmask_b32_e64 v20, v20, v13, s6
	;; [unrolled: 1-line block ×8, first 2 shown]
	s_mov_b32 s3, exec_lo
	v_perm_b32 v4, v2, v1, 0x5040100
	v_perm_b32 v3, v3, v5, 0x5040100
	;; [unrolled: 1-line block ×4, first 2 shown]
	ds_store_b128 v9, v[1:4]
	s_waitcnt lgkmcnt(0)
	s_barrier
	buffer_gl0_inv
	v_cmpx_gt_u32_e32 32, v0
	s_cbranch_execz .LBB642_2
; %bb.111:
	s_load_b64 s[4:5], s[0:1], 0x68
	v_lshlrev_b32_e32 v0, 10, v0
	v_lshlrev_b32_e32 v1, 4, v139
	s_lshl_b32 s0, s34, 7
	v_add_nc_u32_e32 v2, s31, v138
	s_mul_i32 s1, s0, s30
	s_delay_alu instid0(SALU_CYCLE_1) | instskip(SKIP_1) | instid1(VALU_DEP_2)
	s_mul_i32 s6, s1, s8
	v_and_or_b32 v0, 0x3800, v0, v1
	v_mul_lo_u32 v1, v2, s0
	s_ashr_i32 s7, s6, 31
	v_add_nc_u32_e32 v3, 2, v2
	s_lshl_b64 s[6:7], s[6:7], 1
	v_add_nc_u32_e32 v4, 4, v2
	v_add_nc_u32_e32 v5, 6, v2
	v_lshl_or_b32 v15, v138, 6, v0
	v_mul_lo_u32 v3, v3, s0
	v_ashrrev_i32_e32 v2, 31, v1
	v_mul_lo_u32 v19, v4, s0
	v_mul_lo_u32 v21, v5, s0
	s_waitcnt lgkmcnt(0)
	s_add_u32 s1, s4, s6
	s_addc_u32 s3, s5, s7
	s_lshl_b32 s4, s14, 7
	v_lshlrev_b64 v[5:6], 1, v[1:2]
	s_ashr_i32 s5, s4, 31
	v_ashrrev_i32_e32 v4, 31, v3
	s_lshl_b64 s[4:5], s[4:5], 1
	v_ashrrev_i32_e32 v20, 31, v19
	s_add_u32 s1, s1, s4
	s_addc_u32 s3, s3, s5
	v_add_co_u32 v1, s1, s1, v137
	s_delay_alu instid0(VALU_DEP_1) | instskip(SKIP_1) | instid1(VALU_DEP_3)
	v_add_co_ci_u32_e64 v2, null, s3, 0, s1
	v_lshlrev_b64 v[25:26], 1, v[3:4]
	v_add_co_u32 v23, vcc_lo, v1, v5
	s_delay_alu instid0(VALU_DEP_3)
	v_add_co_ci_u32_e32 v24, vcc_lo, v2, v6, vcc_lo
	ds_load_b128 v[3:6], v15
	ds_load_b128 v[7:10], v15 offset:128
	ds_load_b128 v[11:14], v15 offset:256
	;; [unrolled: 1-line block ×3, first 2 shown]
	v_ashrrev_i32_e32 v22, 31, v21
	v_lshlrev_b64 v[19:20], 1, v[19:20]
	v_add_co_u32 v25, vcc_lo, v1, v25
	v_add_co_ci_u32_e32 v26, vcc_lo, v2, v26, vcc_lo
	s_delay_alu instid0(VALU_DEP_4) | instskip(NEXT) | instid1(VALU_DEP_4)
	v_lshlrev_b64 v[21:22], 1, v[21:22]
	v_add_co_u32 v19, vcc_lo, v1, v19
	v_add_co_ci_u32_e32 v20, vcc_lo, v2, v20, vcc_lo
	s_delay_alu instid0(VALU_DEP_3) | instskip(NEXT) | instid1(VALU_DEP_4)
	v_add_co_u32 v21, vcc_lo, v1, v21
	v_add_co_ci_u32_e32 v22, vcc_lo, v2, v22, vcc_lo
	s_waitcnt lgkmcnt(3)
	global_store_b128 v[23:24], v[3:6], off
	s_waitcnt lgkmcnt(2)
	global_store_b128 v[25:26], v[7:10], off
	;; [unrolled: 2-line block ×4, first 2 shown]
	s_and_b32 exec_lo, exec_lo, s2
	s_cbranch_execz .LBB642_2
; %bb.112:
	ds_load_b128 v[3:6], v0 offset:512
	s_add_i32 s1, s31, 8
	s_delay_alu instid0(SALU_CYCLE_1) | instskip(NEXT) | instid1(SALU_CYCLE_1)
	s_mul_i32 s0, s1, s0
	s_ashr_i32 s1, s0, 31
	s_delay_alu instid0(SALU_CYCLE_1) | instskip(NEXT) | instid1(SALU_CYCLE_1)
	s_lshl_b64 s[0:1], s[0:1], 1
	v_add_co_u32 v0, vcc_lo, v1, s0
	v_add_co_ci_u32_e32 v1, vcc_lo, s1, v2, vcc_lo
	s_waitcnt lgkmcnt(0)
	global_store_b128 v[0:1], v[3:6], off
	s_nop 0
	s_sendmsg sendmsg(MSG_DEALLOC_VGPRS)
	s_endpgm
	.section	.rodata,"a",@progbits
	.p2align	6, 0x0
	.amdhsa_kernel _Z39paged_attention_ll4mi_QKV_mfma16_kernelI14__hip_bfloat16S0_LN4vllm18Fp8KVCacheDataTypeE0ES0_Li16ELi128ELi256ELb1ELi9EL8MFMAType0EEvPKT_PKT0_S9_ifPKiSB_SB_iPKfiiiPfSE_PS4_PT2_iSD_SD_
		.amdhsa_group_segment_fixed_size 17472
		.amdhsa_private_segment_fixed_size 0
		.amdhsa_kernarg_size 400
		.amdhsa_user_sgpr_count 13
		.amdhsa_user_sgpr_dispatch_ptr 0
		.amdhsa_user_sgpr_queue_ptr 0
		.amdhsa_user_sgpr_kernarg_segment_ptr 1
		.amdhsa_user_sgpr_dispatch_id 0
		.amdhsa_user_sgpr_private_segment_size 0
		.amdhsa_wavefront_size32 1
		.amdhsa_uses_dynamic_stack 0
		.amdhsa_enable_private_segment 0
		.amdhsa_system_sgpr_workgroup_id_x 1
		.amdhsa_system_sgpr_workgroup_id_y 1
		.amdhsa_system_sgpr_workgroup_id_z 1
		.amdhsa_system_sgpr_workgroup_info 0
		.amdhsa_system_vgpr_workitem_id 0
		.amdhsa_next_free_vgpr 218
		.amdhsa_next_free_sgpr 50
		.amdhsa_reserve_vcc 1
		.amdhsa_float_round_mode_32 0
		.amdhsa_float_round_mode_16_64 0
		.amdhsa_float_denorm_mode_32 3
		.amdhsa_float_denorm_mode_16_64 3
		.amdhsa_dx10_clamp 1
		.amdhsa_ieee_mode 1
		.amdhsa_fp16_overflow 0
		.amdhsa_workgroup_processor_mode 1
		.amdhsa_memory_ordered 1
		.amdhsa_forward_progress 0
		.amdhsa_shared_vgpr_count 0
		.amdhsa_exception_fp_ieee_invalid_op 0
		.amdhsa_exception_fp_denorm_src 0
		.amdhsa_exception_fp_ieee_div_zero 0
		.amdhsa_exception_fp_ieee_overflow 0
		.amdhsa_exception_fp_ieee_underflow 0
		.amdhsa_exception_fp_ieee_inexact 0
		.amdhsa_exception_int_div_zero 0
	.end_amdhsa_kernel
	.section	.text._Z39paged_attention_ll4mi_QKV_mfma16_kernelI14__hip_bfloat16S0_LN4vllm18Fp8KVCacheDataTypeE0ES0_Li16ELi128ELi256ELb1ELi9EL8MFMAType0EEvPKT_PKT0_S9_ifPKiSB_SB_iPKfiiiPfSE_PS4_PT2_iSD_SD_,"axG",@progbits,_Z39paged_attention_ll4mi_QKV_mfma16_kernelI14__hip_bfloat16S0_LN4vllm18Fp8KVCacheDataTypeE0ES0_Li16ELi128ELi256ELb1ELi9EL8MFMAType0EEvPKT_PKT0_S9_ifPKiSB_SB_iPKfiiiPfSE_PS4_PT2_iSD_SD_,comdat
.Lfunc_end642:
	.size	_Z39paged_attention_ll4mi_QKV_mfma16_kernelI14__hip_bfloat16S0_LN4vllm18Fp8KVCacheDataTypeE0ES0_Li16ELi128ELi256ELb1ELi9EL8MFMAType0EEvPKT_PKT0_S9_ifPKiSB_SB_iPKfiiiPfSE_PS4_PT2_iSD_SD_, .Lfunc_end642-_Z39paged_attention_ll4mi_QKV_mfma16_kernelI14__hip_bfloat16S0_LN4vllm18Fp8KVCacheDataTypeE0ES0_Li16ELi128ELi256ELb1ELi9EL8MFMAType0EEvPKT_PKT0_S9_ifPKiSB_SB_iPKfiiiPfSE_PS4_PT2_iSD_SD_
                                        ; -- End function
	.section	.AMDGPU.csdata,"",@progbits
; Kernel info:
; codeLenInByte = 10328
; NumSgprs: 52
; NumVgprs: 218
; ScratchSize: 0
; MemoryBound: 0
; FloatMode: 240
; IeeeMode: 1
; LDSByteSize: 17472 bytes/workgroup (compile time only)
; SGPRBlocks: 6
; VGPRBlocks: 27
; NumSGPRsForWavesPerEU: 52
; NumVGPRsForWavesPerEU: 218
; Occupancy: 6
; WaveLimiterHint : 1
; COMPUTE_PGM_RSRC2:SCRATCH_EN: 0
; COMPUTE_PGM_RSRC2:USER_SGPR: 13
; COMPUTE_PGM_RSRC2:TRAP_HANDLER: 0
; COMPUTE_PGM_RSRC2:TGID_X_EN: 1
; COMPUTE_PGM_RSRC2:TGID_Y_EN: 1
; COMPUTE_PGM_RSRC2:TGID_Z_EN: 1
; COMPUTE_PGM_RSRC2:TIDIG_COMP_CNT: 0
	.section	.text._Z39paged_attention_ll4mi_QKV_mfma16_kernelI14__hip_bfloat16S0_LN4vllm18Fp8KVCacheDataTypeE0ES0_Li16ELi128ELi256ELb1ELi10EL8MFMAType0EEvPKT_PKT0_S9_ifPKiSB_SB_iPKfiiiPfSE_PS4_PT2_iSD_SD_,"axG",@progbits,_Z39paged_attention_ll4mi_QKV_mfma16_kernelI14__hip_bfloat16S0_LN4vllm18Fp8KVCacheDataTypeE0ES0_Li16ELi128ELi256ELb1ELi10EL8MFMAType0EEvPKT_PKT0_S9_ifPKiSB_SB_iPKfiiiPfSE_PS4_PT2_iSD_SD_,comdat
	.protected	_Z39paged_attention_ll4mi_QKV_mfma16_kernelI14__hip_bfloat16S0_LN4vllm18Fp8KVCacheDataTypeE0ES0_Li16ELi128ELi256ELb1ELi10EL8MFMAType0EEvPKT_PKT0_S9_ifPKiSB_SB_iPKfiiiPfSE_PS4_PT2_iSD_SD_ ; -- Begin function _Z39paged_attention_ll4mi_QKV_mfma16_kernelI14__hip_bfloat16S0_LN4vllm18Fp8KVCacheDataTypeE0ES0_Li16ELi128ELi256ELb1ELi10EL8MFMAType0EEvPKT_PKT0_S9_ifPKiSB_SB_iPKfiiiPfSE_PS4_PT2_iSD_SD_
	.globl	_Z39paged_attention_ll4mi_QKV_mfma16_kernelI14__hip_bfloat16S0_LN4vllm18Fp8KVCacheDataTypeE0ES0_Li16ELi128ELi256ELb1ELi10EL8MFMAType0EEvPKT_PKT0_S9_ifPKiSB_SB_iPKfiiiPfSE_PS4_PT2_iSD_SD_
	.p2align	8
	.type	_Z39paged_attention_ll4mi_QKV_mfma16_kernelI14__hip_bfloat16S0_LN4vllm18Fp8KVCacheDataTypeE0ES0_Li16ELi128ELi256ELb1ELi10EL8MFMAType0EEvPKT_PKT0_S9_ifPKiSB_SB_iPKfiiiPfSE_PS4_PT2_iSD_SD_,@function
_Z39paged_attention_ll4mi_QKV_mfma16_kernelI14__hip_bfloat16S0_LN4vllm18Fp8KVCacheDataTypeE0ES0_Li16ELi128ELi256ELb1ELi10EL8MFMAType0EEvPKT_PKT0_S9_ifPKiSB_SB_iPKfiiiPfSE_PS4_PT2_iSD_SD_: ; @_Z39paged_attention_ll4mi_QKV_mfma16_kernelI14__hip_bfloat16S0_LN4vllm18Fp8KVCacheDataTypeE0ES0_Li16ELi128ELi256ELb1ELi10EL8MFMAType0EEvPKT_PKT0_S9_ifPKiSB_SB_iPKfiiiPfSE_PS4_PT2_iSD_SD_
; %bb.0:
	s_load_b64 s[4:5], s[0:1], 0x30
	s_mov_b32 s30, s13
	s_waitcnt lgkmcnt(0)
	s_cmp_lg_u64 s[4:5], 0
	s_cselect_b32 s8, -1, 0
	s_ashr_i32 s31, s13, 31
	s_cmp_eq_u64 s[4:5], 0
	s_cbranch_scc1 .LBB643_3
; %bb.1:
	s_lshl_b64 s[2:3], s[30:31], 2
	s_delay_alu instid0(SALU_CYCLE_1) | instskip(SKIP_4) | instid1(SALU_CYCLE_1)
	s_add_u32 s2, s4, s2
	s_addc_u32 s3, s5, s3
	s_load_b64 s[2:3], s[2:3], 0x0
	s_waitcnt lgkmcnt(0)
	s_sub_i32 s2, s3, s2
	s_cmp_eq_u32 s2, 1
	s_cselect_b32 s2, -1, 0
	s_delay_alu instid0(SALU_CYCLE_1)
	s_and_not1_b32 vcc_lo, exec_lo, s2
	s_cbranch_vccz .LBB643_4
.LBB643_2:
	s_endpgm
.LBB643_3:
.LBB643_4:
	s_load_b64 s[2:3], s[0:1], 0x28
	s_lshl_b64 s[6:7], s[30:31], 2
	s_waitcnt lgkmcnt(0)
	s_add_u32 s2, s2, s6
	s_addc_u32 s3, s3, s7
	s_lshl_b32 s31, s14, 8
	s_load_b32 s28, s[2:3], 0x0
	s_waitcnt lgkmcnt(0)
	s_cmp_ge_i32 s31, s28
	s_cbranch_scc1 .LBB643_2
; %bb.5:
	s_clause 0x1
	s_load_b128 s[20:23], s[0:1], 0x8
	s_load_b64 s[2:3], s[0:1], 0x20
	s_and_not1_b32 vcc_lo, exec_lo, s8
	s_cbranch_vccnz .LBB643_7
; %bb.6:
	s_add_u32 s4, s4, s6
	s_addc_u32 s5, s5, s7
	s_load_b32 s5, s[4:5], 0x0
	s_branch .LBB643_8
.LBB643_7:
	s_mov_b32 s5, s30
.LBB643_8:
	s_load_b128 s[16:19], s[0:1], 0x48
	v_and_b32_e32 v140, 15, v0
	v_lshrrev_b32_e32 v141, 5, v0
	v_and_b32_e32 v142, 31, v0
	v_and_b32_e32 v139, 1, v0
	v_bfe_u32 v138, v0, 4, 1
	v_lshlrev_b32_e32 v1, 3, v140
	s_mul_i32 s29, s15, 10
	s_mov_b32 s4, exec_lo
	s_delay_alu instid0(VALU_DEP_1)
	v_lshlrev_b32_e32 v137, 1, v1
	v_cmpx_gt_u32_e32 0xa0, v0
	s_cbranch_execz .LBB643_10
; %bb.9:
	s_load_b64 s[6:7], s[0:1], 0x0
	v_lshl_or_b32 v5, v141, 1, v138
	s_waitcnt lgkmcnt(0)
	s_mul_hi_i32 s9, s5, s16
	s_mul_i32 s8, s5, s16
	v_lshlrev_b32_e32 v6, 10, v140
	s_lshl_b64 s[8:9], s[8:9], 1
	v_add_lshl_u32 v1, v5, s29, 7
	v_lshlrev_b32_e32 v5, 6, v5
	v_lshlrev_b32_e32 v7, 10, v139
	v_and_b32_e32 v6, 0x3800, v6
	s_delay_alu instid0(VALU_DEP_4) | instskip(NEXT) | instid1(VALU_DEP_2)
	v_ashrrev_i32_e32 v2, 31, v1
	v_or3_b32 v5, v6, v7, v5
	s_delay_alu instid0(VALU_DEP_2) | instskip(SKIP_2) | instid1(VALU_DEP_1)
	v_lshlrev_b64 v[1:2], 1, v[1:2]
	s_add_u32 s5, s6, s8
	s_addc_u32 s6, s7, s9
	v_add_co_u32 v1, vcc_lo, s5, v1
	s_delay_alu instid0(VALU_DEP_2) | instskip(NEXT) | instid1(VALU_DEP_2)
	v_add_co_ci_u32_e32 v2, vcc_lo, s6, v2, vcc_lo
	v_add_co_u32 v1, vcc_lo, v1, v137
	s_delay_alu instid0(VALU_DEP_2)
	v_add_co_ci_u32_e32 v2, vcc_lo, 0, v2, vcc_lo
	global_load_b128 v[1:4], v[1:2], off
	s_waitcnt vmcnt(0)
	ds_store_b128 v5, v[1:4]
.LBB643_10:
	s_or_b32 exec_lo, exec_lo, s4
	v_and_b32_e32 v1, 0xef, v0
	s_waitcnt lgkmcnt(0)
	s_add_i32 s5, s28, 15
	s_clause 0x1
	s_load_b32 s4, s[0:1], 0x38
	s_load_b32 s33, s[0:1], 0x1c
	s_ashr_i32 s6, s5, 31
	v_add_nc_u32_e32 v1, s31, v1
	s_lshr_b32 s6, s6, 28
	s_waitcnt lgkmcnt(0)
	s_add_i32 s5, s5, s6
	s_barrier
	v_ashrrev_i32_e32 v2, 31, v1
	v_cmp_gt_i32_e32 vcc_lo, s28, v1
	s_ashr_i32 s16, s5, 4
	buffer_gl0_inv
	s_add_i32 s16, s16, -1
	v_lshrrev_b32_e32 v3, 28, v2
	v_or_b32_e32 v2, 16, v1
	v_add_nc_u32_e32 v105, -10, v140
	v_lshlrev_b32_e32 v106, 5, v140
	s_delay_alu instid0(VALU_DEP_4) | instskip(NEXT) | instid1(VALU_DEP_4)
	v_add_nc_u32_e32 v4, v1, v3
	v_add_nc_u32_e32 v3, v2, v3
	s_mul_i32 s4, s30, s4
	s_delay_alu instid0(VALU_DEP_3) | instskip(SKIP_4) | instid1(SALU_CYCLE_1)
	v_lshl_or_b32 v125, v141, 9, v106
	s_ashr_i32 s5, s4, 31
	v_ashrrev_i32_e32 v4, 4, v4
	v_ashrrev_i32_e32 v3, 4, v3
	s_lshl_b64 s[4:5], s[4:5], 2
	s_add_u32 s34, s2, s4
	s_delay_alu instid0(VALU_DEP_2) | instskip(SKIP_3) | instid1(VALU_DEP_2)
	v_cndmask_b32_e32 v1, s16, v4, vcc_lo
	v_cmp_gt_i32_e32 vcc_lo, s28, v2
	s_addc_u32 s35, s3, s5
	s_mul_i32 s2, s15, s18
	v_ashrrev_i32_e32 v2, 31, v1
	v_cndmask_b32_e32 v3, s16, v3, vcc_lo
	s_ashr_i32 s3, s2, 31
	s_delay_alu instid0(SALU_CYCLE_1) | instskip(NEXT) | instid1(VALU_DEP_2)
	s_lshl_b64 s[2:3], s[2:3], 1
	v_lshlrev_b64 v[1:2], 2, v[1:2]
	s_delay_alu instid0(VALU_DEP_2) | instskip(SKIP_3) | instid1(VALU_DEP_1)
	v_ashrrev_i32_e32 v4, 31, v3
	s_add_u32 s24, s20, s2
	s_addc_u32 s25, s21, s3
	s_lshl_b32 s4, s14, 4
	v_lshlrev_b64 v[3:4], 2, v[3:4]
	v_add_co_u32 v1, vcc_lo, s34, v1
	v_add_co_ci_u32_e32 v2, vcc_lo, s35, v2, vcc_lo
	s_ashr_i32 s5, s4, 31
	s_delay_alu instid0(VALU_DEP_3) | instskip(NEXT) | instid1(VALU_DEP_4)
	v_add_co_u32 v3, vcc_lo, s34, v3
	v_add_co_ci_u32_e32 v4, vcc_lo, s35, v4, vcc_lo
	s_lshl_b64 s[4:5], s[4:5], 2
	s_clause 0x1
	global_load_b32 v5, v[1:2], off
	global_load_b32 v6, v[3:4], off
	s_add_u32 s4, s34, s4
	s_addc_u32 s5, s35, s5
	s_or_b32 s6, s31, 16
	v_lshlrev_b32_e32 v3, 4, v0
	s_ashr_i32 s7, s6, 4
	s_cmp_lt_i32 s6, s28
	s_cselect_b32 s6, s7, s16
	s_delay_alu instid0(SALU_CYCLE_1) | instskip(NEXT) | instid1(SALU_CYCLE_1)
	s_ashr_i32 s7, s6, 31
	s_lshl_b64 s[6:7], s[6:7], 2
	s_delay_alu instid0(SALU_CYCLE_1) | instskip(SKIP_2) | instid1(SALU_CYCLE_1)
	s_add_u32 s6, s34, s6
	s_addc_u32 s7, s35, s7
	s_or_b32 s8, s31, 32
	s_ashr_i32 s9, s8, 4
	s_cmp_lt_i32 s8, s28
	s_cselect_b32 s8, s9, s16
	s_delay_alu instid0(SALU_CYCLE_1) | instskip(NEXT) | instid1(SALU_CYCLE_1)
	s_ashr_i32 s9, s8, 31
	s_lshl_b64 s[8:9], s[8:9], 2
	s_delay_alu instid0(SALU_CYCLE_1) | instskip(SKIP_2) | instid1(SALU_CYCLE_1)
	s_add_u32 s8, s34, s8
	s_addc_u32 s9, s35, s9
	s_or_b32 s10, s31, 48
	;; [unrolled: 10-line block ×4, first 2 shown]
	s_ashr_i32 s13, s12, 4
	s_cmp_lt_i32 s12, s28
	s_cselect_b32 s12, s13, s16
	s_delay_alu instid0(SALU_CYCLE_1) | instskip(NEXT) | instid1(SALU_CYCLE_1)
	s_ashr_i32 s13, s12, 31
	s_lshl_b64 s[12:13], s[12:13], 2
	s_delay_alu instid0(SALU_CYCLE_1)
	s_add_u32 s20, s34, s12
	s_addc_u32 s21, s35, s13
	s_clause 0x5
	s_load_b32 s36, s[4:5], 0x0
	s_load_b32 s27, s[6:7], 0x0
	;; [unrolled: 1-line block ×6, first 2 shown]
	s_waitcnt vmcnt(1)
	v_mad_i64_i32 v[1:2], null, v5, s17, 0
	v_and_b32_e32 v5, 0xf0, v3
	s_waitcnt vmcnt(0)
	v_mad_i64_i32 v[3:4], null, v6, s17, 0
	s_delay_alu instid0(VALU_DEP_2) | instskip(NEXT) | instid1(VALU_DEP_4)
	v_add_co_u32 v5, s4, s24, v5
	v_lshlrev_b64 v[1:2], 1, v[1:2]
	v_add_co_ci_u32_e64 v6, null, s25, 0, s4
	s_delay_alu instid0(VALU_DEP_4) | instskip(SKIP_1) | instid1(VALU_DEP_3)
	v_lshlrev_b64 v[3:4], 1, v[3:4]
	s_or_b32 s4, s31, 0x60
	v_add_co_u32 v121, vcc_lo, v5, v1
	s_delay_alu instid0(VALU_DEP_3) | instskip(NEXT) | instid1(VALU_DEP_3)
	v_add_co_ci_u32_e32 v122, vcc_lo, v6, v2, vcc_lo
	v_add_co_u32 v123, vcc_lo, v5, v3
	s_delay_alu instid0(VALU_DEP_4)
	v_add_co_ci_u32_e32 v124, vcc_lo, v6, v4, vcc_lo
	s_clause 0x19
	global_load_b128 v[89:92], v[121:122], off
	global_load_b128 v[93:96], v[121:122], off offset:256
	global_load_b128 v[97:100], v[123:124], off
	global_load_b128 v[101:104], v[123:124], off offset:256
	global_load_b128 v[81:84], v[121:122], off offset:512
	;; [unrolled: 1-line block ×23, first 2 shown]
	s_ashr_i32 s5, s4, 4
	s_cmp_lt_i32 s4, s28
	v_cmp_gt_u32_e32 vcc_lo, 10, v140
	s_cselect_b32 s4, s5, s16
	s_delay_alu instid0(SALU_CYCLE_1) | instskip(NEXT) | instid1(SALU_CYCLE_1)
	s_ashr_i32 s5, s4, 31
	s_lshl_b64 s[4:5], s[4:5], 2
	v_cndmask_b32_e32 v105, v105, v140, vcc_lo
	s_add_u32 s18, s34, s4
	s_addc_u32 s19, s35, s5
	s_or_b32 s4, s31, 0x70
	s_delay_alu instid0(SALU_CYCLE_1)
	s_ashr_i32 s5, s4, 4
	s_cmp_lt_i32 s4, s28
	v_lshlrev_b32_e32 v215, 6, v105
	s_cselect_b32 s6, s5, s16
	ds_load_b128 v[105:108], v215
	ds_load_b128 v[109:112], v215 offset:1024
	s_ashr_i32 s7, s6, 31
	ds_load_b128 v[113:116], v215 offset:2048
	ds_load_b128 v[117:120], v215 offset:3072
	;; [unrolled: 1-line block ×8, first 2 shown]
	s_clause 0x1
	global_load_b128 v[167:170], v[123:124], off offset:3072
	global_load_b128 v[171:174], v[123:124], off offset:3328
	s_lshl_b64 s[6:7], s[6:7], 2
	s_mov_b32 s4, 0
	s_add_u32 s20, s34, s6
	s_addc_u32 s21, s35, s7
	s_clause 0x1
	s_load_b32 s42, s[18:19], 0x0
	s_load_b32 s43, s[20:21], 0x0
	s_clause 0x3
	global_load_b128 v[175:178], v[121:122], off offset:3584
	global_load_b128 v[179:182], v[121:122], off offset:3840
	;; [unrolled: 1-line block ×4, first 2 shown]
	s_or_b32 s7, s31, 0x80
	s_mov_b32 s5, s4
	s_ashr_i32 s8, s7, 4
	s_cmp_lt_i32 s7, s28
	s_mov_b32 s6, s4
	s_cselect_b32 s10, s8, s16
	s_mov_b32 s7, s4
	s_ashr_i32 s11, s10, 31
	s_mov_b32 s8, s4
	s_lshl_b64 s[24:25], s[10:11], 2
	s_mov_b32 s9, s4
	s_add_u32 s24, s34, s24
	s_addc_u32 s25, s35, s25
	s_or_b32 s11, s31, 0x90
	s_mov_b32 s10, s4
	s_ashr_i32 s37, s11, 4
	s_cmp_lt_i32 s11, s28
	s_mov_b32 s11, s4
	s_cselect_b32 s38, s37, s16
	v_mov_b32_e32 v136, s11
	s_ashr_i32 s39, s38, 31
	v_dual_mov_b32 v135, s10 :: v_dual_mov_b32 v134, s9
	v_dual_mov_b32 v133, s8 :: v_dual_mov_b32 v132, s7
	v_dual_mov_b32 v131, s6 :: v_dual_mov_b32 v130, s5
	v_mov_b32_e32 v129, s4
	s_lshl_b64 s[4:5], s[38:39], 2
	s_waitcnt lgkmcnt(0)
	s_mul_hi_i32 s7, s27, s17
	s_add_u32 s38, s34, s4
	s_addc_u32 s39, s35, s5
	s_or_b32 s4, s31, 0xa0
	s_load_b32 s39, s[38:39], 0x0
	s_ashr_i32 s5, s4, 4
	s_cmp_lt_i32 s4, s28
	s_cselect_b32 s4, s5, s16
	s_delay_alu instid0(SALU_CYCLE_1) | instskip(NEXT) | instid1(SALU_CYCLE_1)
	s_ashr_i32 s5, s4, 31
	s_lshl_b64 s[4:5], s[4:5], 2
	s_delay_alu instid0(SALU_CYCLE_1)
	s_add_u32 s40, s34, s4
	s_addc_u32 s41, s35, s5
	s_or_b32 s4, s31, 0xb0
	s_mul_hi_i32 s5, s36, s17
	s_ashr_i32 s6, s4, 4
	s_cmp_lt_i32 s4, s28
	s_mul_i32 s4, s36, s17
	s_cselect_b32 s8, s6, s16
	s_mul_i32 s6, s27, s17
	s_ashr_i32 s9, s8, 31
	s_load_b32 s38, s[40:41], 0x0
	s_lshl_b64 s[10:11], s[8:9], 2
	s_mul_hi_i32 s9, s26, s17
	s_add_u32 s36, s34, s10
	s_addc_u32 s37, s35, s11
	s_or_b32 s10, s31, 0xc0
	s_mul_i32 s8, s26, s17
	s_ashr_i32 s26, s10, 4
	s_cmp_lt_i32 s10, s28
	s_mul_hi_i32 s11, s13, s17
	s_cselect_b32 s26, s26, s16
	s_mul_i32 s10, s13, s17
	s_ashr_i32 s27, s26, 31
	s_mul_hi_i32 s13, s12, s17
	s_lshl_b64 s[26:27], s[26:27], 2
	s_mul_i32 s12, s12, s17
	s_add_u32 s20, s34, s26
	s_addc_u32 s21, s35, s27
	s_or_b32 s18, s31, 0xd0
	s_load_b32 s26, s[24:25], 0x0
	s_ashr_i32 s19, s18, 4
	s_cmp_lt_i32 s18, s28
	s_mul_i32 s18, s15, s17
	s_cselect_b32 s24, s19, s16
	s_mul_hi_i32 s19, s15, s17
	s_ashr_i32 s25, s24, 31
	s_waitcnt lgkmcnt(0)
	s_mul_hi_i32 s41, s39, s17
	s_lshl_b64 s[24:25], s[24:25], 2
	s_delay_alu instid0(SALU_CYCLE_1)
	s_add_u32 s24, s34, s24
	s_addc_u32 s25, s35, s25
	s_or_b32 s40, s31, 0xe0
	s_clause 0x2
	s_load_b32 s37, s[36:37], 0x0
	s_load_b32 s36, s[20:21], 0x0
	;; [unrolled: 1-line block ×3, first 2 shown]
	s_ashr_i32 s44, s40, 4
	s_cmp_lt_i32 s40, s28
	s_mul_hi_i32 s21, s42, s17
	s_mul_i32 s20, s42, s17
	s_cselect_b32 s42, s44, s16
	s_mul_hi_i32 s25, s43, s17
	s_mul_i32 s24, s43, s17
	s_ashr_i32 s43, s42, 31
	s_mul_hi_i32 s27, s26, s17
	s_lshl_b64 s[42:43], s[42:43], 2
	s_mul_i32 s26, s26, s17
	s_add_u32 s42, s34, s42
	s_addc_u32 s43, s35, s43
	s_or_b32 s44, s31, 0xf0
	s_mul_i32 s40, s39, s17
	s_ashr_i32 s46, s44, 4
	s_cmp_lt_i32 s44, s28
	s_mul_hi_i32 s39, s38, s17
	s_cselect_b32 s46, s46, s16
	s_waitcnt lgkmcnt(0)
	s_mul_hi_i32 s49, s15, s17
	s_ashr_i32 s47, s46, 31
	s_mul_i32 s48, s15, s17
	s_lshl_b64 s[46:47], s[46:47], 2
	s_mul_i32 s38, s38, s17
	s_add_u32 s34, s34, s46
	s_addc_u32 s35, s35, s47
	s_add_u32 s15, s22, s2
	s_addc_u32 s16, s23, s3
	v_add_co_u32 v216, s15, s15, v125
	s_delay_alu instid0(VALU_DEP_1) | instskip(SKIP_2) | instid1(VALU_DEP_2)
	v_add_co_ci_u32_e64 v217, null, s16, 0, s15
	s_lshl_b64 s[2:3], s[4:5], 1
	s_lshl_b64 s[4:5], s[6:7], 1
	v_add_co_u32 v125, vcc_lo, v216, s2
	s_delay_alu instid0(VALU_DEP_2)
	v_add_co_ci_u32_e32 v126, vcc_lo, s3, v217, vcc_lo
	v_add_co_u32 v199, vcc_lo, v216, s4
	s_lshl_b64 s[6:7], s[8:9], 1
	v_add_co_ci_u32_e32 v200, vcc_lo, s5, v217, vcc_lo
	s_lshl_b64 s[8:9], s[10:11], 1
	s_lshl_b64 s[10:11], s[12:13], 1
	;; [unrolled: 1-line block ×8, first 2 shown]
	s_mul_hi_i32 s45, s37, s17
	s_mul_i32 s44, s37, s17
	s_mul_hi_i32 s37, s36, s17
	s_lshl_b64 s[38:39], s[44:45], 1
	s_mul_i32 s36, s36, s17
	s_clause 0x1
	s_load_b32 s15, s[42:43], 0x0
	s_load_b32 s16, s[34:35], 0x0
	s_lshl_b64 s[36:37], s[36:37], 1
	s_lshl_b64 s[40:41], s[48:49], 1
	s_waitcnt lgkmcnt(0)
	s_mul_hi_i32 s3, s15, s17
	s_mul_i32 s2, s15, s17
	s_mul_hi_i32 s5, s16, s17
	s_lshl_b64 s[2:3], s[2:3], 1
	s_mul_i32 s4, s16, s17
	s_waitcnt vmcnt(30)
	v_wmma_f32_16x16x16_bf16 v[191:198], v[89:96], v[105:112], v[129:136]
	v_add_co_u32 v89, vcc_lo, v216, s6
	v_add_co_ci_u32_e32 v90, vcc_lo, s7, v217, vcc_lo
	v_add_co_u32 v91, vcc_lo, v216, s8
	v_add_co_ci_u32_e32 v92, vcc_lo, s9, v217, vcc_lo
	;; [unrolled: 2-line block ×5, first 2 shown]
	v_add_co_u32 v205, vcc_lo, v216, s20
	s_waitcnt vmcnt(28)
	v_wmma_f32_16x16x16_bf16 v[129:136], v[97:104], v[105:112], v[129:136]
	v_add_co_ci_u32_e32 v206, vcc_lo, s21, v217, vcc_lo
	v_add_co_u32 v207, vcc_lo, v216, s22
	v_add_co_ci_u32_e32 v208, vcc_lo, s23, v217, vcc_lo
	v_add_co_u32 v209, vcc_lo, v216, s24
	s_waitcnt vmcnt(26)
	v_wmma_f32_16x16x16_bf16 v[191:198], v[81:88], v[113:120], v[191:198]
	s_waitcnt vmcnt(24)
	v_wmma_f32_16x16x16_bf16 v[129:136], v[73:80], v[113:120], v[129:136]
	v_add_co_ci_u32_e32 v210, vcc_lo, s25, v217, vcc_lo
	v_add_co_u32 v211, vcc_lo, v216, s26
	v_add_co_ci_u32_e32 v212, vcc_lo, s27, v217, vcc_lo
	v_add_co_u32 v213, vcc_lo, v216, s38
	s_waitcnt vmcnt(22)
	v_wmma_f32_16x16x16_bf16 v[191:198], v[65:72], v[143:150], v[191:198]
	s_waitcnt vmcnt(20)
	v_wmma_f32_16x16x16_bf16 v[129:136], v[57:64], v[143:150], v[129:136]
	v_add_co_ci_u32_e32 v214, vcc_lo, s39, v217, vcc_lo
	v_add_co_u32 v143, vcc_lo, v216, s36
	s_waitcnt vmcnt(18)
	v_wmma_f32_16x16x16_bf16 v[191:198], v[49:56], v[151:158], v[191:198]
	s_waitcnt vmcnt(16)
	v_wmma_f32_16x16x16_bf16 v[129:136], v[41:48], v[151:158], v[129:136]
	v_add_co_ci_u32_e32 v144, vcc_lo, s37, v217, vcc_lo
	s_clause 0x15
	global_load_b128 v[121:124], v[125:126], off
	global_load_b128 v[125:128], v[125:126], off offset:16
	global_load_b128 v[113:116], v[199:200], off
	global_load_b128 v[117:120], v[199:200], off offset:16
	global_load_b128 v[105:108], v[89:90], off
	global_load_b128 v[109:112], v[89:90], off offset:16
	global_load_b128 v[97:100], v[91:92], off
	global_load_b128 v[101:104], v[91:92], off offset:16
	global_load_b128 v[89:92], v[93:94], off
	global_load_b128 v[93:96], v[93:94], off offset:16
	global_load_b128 v[81:84], v[201:202], off
	global_load_b128 v[85:88], v[201:202], off offset:16
	global_load_b128 v[73:76], v[203:204], off
	global_load_b128 v[77:80], v[203:204], off offset:16
	global_load_b128 v[57:60], v[205:206], off
	global_load_b128 v[61:64], v[205:206], off offset:16
	global_load_b128 v[65:68], v[207:208], off
	global_load_b128 v[69:72], v[207:208], off offset:16
	global_load_b128 v[49:52], v[209:210], off
	global_load_b128 v[53:56], v[209:210], off offset:16
	global_load_b128 v[41:44], v[211:212], off
	global_load_b128 v[45:48], v[211:212], off offset:16
	s_waitcnt vmcnt(36)
	v_wmma_f32_16x16x16_bf16 v[191:198], v[17:24], v[159:166], v[191:198]
	s_clause 0x1
	global_load_b128 v[17:20], v[213:214], off
	global_load_b128 v[21:24], v[213:214], off offset:16
	s_waitcnt vmcnt(36)
	v_wmma_f32_16x16x16_bf16 v[129:136], v[1:8], v[159:166], v[129:136]
	s_clause 0x1
	global_load_b128 v[1:4], v[143:144], off
	global_load_b128 v[5:8], v[143:144], off offset:16
	ds_load_b128 v[143:146], v215 offset:10240
	ds_load_b128 v[147:150], v215 offset:11264
	;; [unrolled: 1-line block ×4, first 2 shown]
	v_add_co_u32 v199, vcc_lo, v216, s40
	v_add_co_ci_u32_e32 v200, vcc_lo, s41, v217, vcc_lo
	v_add_co_u32 v159, vcc_lo, v216, s2
	v_add_co_ci_u32_e32 v160, vcc_lo, s3, v217, vcc_lo
	s_lshl_b64 s[2:3], s[4:5], 1
	s_delay_alu instid0(SALU_CYCLE_1)
	v_add_co_u32 v161, vcc_lo, v216, s2
	v_add_co_ci_u32_e32 v162, vcc_lo, s3, v217, vcc_lo
	s_waitcnt vmcnt(36) lgkmcnt(2)
	v_wmma_f32_16x16x16_bf16 v[191:198], v[25:32], v[143:150], v[191:198]
	s_waitcnt vmcnt(34)
	v_wmma_f32_16x16x16_bf16 v[129:136], v[33:40], v[143:150], v[129:136]
	s_clause 0x3
	global_load_b128 v[25:28], v[199:200], off
	global_load_b128 v[29:32], v[199:200], off offset:16
	global_load_b128 v[33:36], v[159:160], off
	global_load_b128 v[37:40], v[159:160], off offset:16
	v_and_b32_e32 v143, 0xe0, v0
	v_mbcnt_lo_u32_b32 v159, -1, 0
	s_waitcnt vmcnt(36) lgkmcnt(0)
	v_wmma_f32_16x16x16_bf16 v[191:198], v[9:16], v[151:158], v[191:198]
	s_clause 0x1
	global_load_b128 v[9:12], v[161:162], off
	global_load_b128 v[13:16], v[161:162], off offset:16
	s_waitcnt vmcnt(36)
	v_wmma_f32_16x16x16_bf16 v[129:136], v[167:174], v[151:158], v[129:136]
	v_add_nc_u32_e32 v160, s31, v143
	ds_load_b128 v[143:146], v215 offset:14336
	ds_load_b128 v[147:150], v215 offset:15360
	v_xor_b32_e32 v151, 16, v159
	s_waitcnt vmcnt(0) lgkmcnt(0)
	s_barrier
	v_or_b32_e32 v152, v160, v138
	buffer_gl0_inv
	v_cmp_gt_i32_e32 vcc_lo, 32, v151
	v_or_b32_e32 v153, 2, v152
	v_or_b32_e32 v154, 4, v152
	;; [unrolled: 1-line block ×5, first 2 shown]
	v_cmp_gt_i32_e64 s2, s28, v153
	v_cmp_gt_i32_e64 s3, s28, v154
	;; [unrolled: 1-line block ×3, first 2 shown]
	v_or_b32_e32 v158, 12, v152
	v_cmp_gt_i32_e64 s5, s28, v156
	v_cmp_gt_i32_e64 s6, s28, v157
	v_wmma_f32_16x16x16_bf16 v[191:198], v[175:182], v[143:150], v[191:198]
	v_wmma_f32_16x16x16_bf16 v[129:136], v[183:190], v[143:150], v[129:136]
	v_cndmask_b32_e32 v151, v159, v151, vcc_lo
	v_cmp_gt_i32_e32 vcc_lo, s28, v152
	v_or_b32_e32 v159, 14, v152
	v_dual_mul_f32 v149, s33, v192 :: v_dual_mul_f32 v150, s33, v191
	v_dual_mul_f32 v147, s33, v194 :: v_dual_mul_f32 v148, s33, v193
	v_mul_f32_e32 v145, s33, v196
	s_delay_alu instid0(VALU_DEP_3) | instskip(NEXT) | instid1(VALU_DEP_4)
	v_cndmask_b32_e64 v149, 0xff7fffff, v149, s2
	v_cndmask_b32_e32 v150, 0xff7fffff, v150, vcc_lo
	v_mul_f32_e32 v146, s33, v195
	v_cndmask_b32_e64 v148, 0xff7fffff, v148, s3
	v_cndmask_b32_e64 v147, 0xff7fffff, v147, s4
	v_or_b32_e32 v160, 16, v152
	v_max3_f32 v149, v150, 0xff7fffff, v149
	v_or_b32_e32 v161, 18, v152
	v_dual_mul_f32 v143, s33, v198 :: v_dual_mul_f32 v144, s33, v197
	v_cndmask_b32_e64 v146, 0xff7fffff, v146, s5
	v_cndmask_b32_e64 v145, 0xff7fffff, v145, s6
	v_max3_f32 v147, v149, v148, v147
	v_cmp_gt_i32_e64 s7, s28, v158
	v_cmp_gt_i32_e64 s8, s28, v159
	v_or_b32_e32 v162, 20, v152
	v_or_b32_e32 v163, 22, v152
	v_dual_mul_f32 v174, s33, v130 :: v_dual_mul_f32 v175, s33, v129
	v_cndmask_b32_e64 v144, 0xff7fffff, v144, s7
	v_cndmask_b32_e64 v143, 0xff7fffff, v143, s8
	v_max3_f32 v145, v147, v146, v145
	v_cmp_gt_i32_e64 s9, s28, v160
	v_cmp_gt_i32_e64 s10, s28, v161
	v_or_b32_e32 v164, 24, v152
	;; [unrolled: 8-line block ×3, first 2 shown]
	v_or_b32_e32 v167, 30, v152
	v_dual_mul_f32 v170, s33, v134 :: v_dual_mul_f32 v171, s33, v133
	v_cndmask_b32_e64 v144, 0xff7fffff, v173, s11
	v_cndmask_b32_e64 v145, 0xff7fffff, v172, s12
	v_max3_f32 v143, v143, v146, v147
	v_cmp_gt_i32_e64 s13, s28, v164
	v_cmp_gt_i32_e64 s15, s28, v165
	v_dual_mul_f32 v168, s33, v136 :: v_dual_mul_f32 v169, s33, v135
	s_delay_alu instid0(VALU_DEP_4) | instskip(NEXT) | instid1(VALU_DEP_4)
	v_max3_f32 v143, v143, v144, v145
	v_cndmask_b32_e64 v146, 0xff7fffff, v171, s13
	s_delay_alu instid0(VALU_DEP_4) | instskip(SKIP_3) | instid1(VALU_DEP_4)
	v_cndmask_b32_e64 v147, 0xff7fffff, v170, s15
	v_cmp_gt_i32_e64 s16, s28, v166
	v_cmp_gt_i32_e64 s17, s28, v167
	v_lshlrev_b32_e32 v154, 2, v151
	v_max3_f32 v143, v143, v146, v147
	s_delay_alu instid0(VALU_DEP_4) | instskip(NEXT) | instid1(VALU_DEP_4)
	v_cndmask_b32_e64 v144, 0xff7fffff, v169, s16
	v_cndmask_b32_e64 v145, 0xff7fffff, v168, s17
	s_delay_alu instid0(VALU_DEP_1) | instskip(SKIP_3) | instid1(VALU_DEP_1)
	v_max3_f32 v143, v143, v144, v145
	ds_bpermute_b32 v144, v154, v143
	s_waitcnt lgkmcnt(0)
	v_max_f32_e32 v144, v144, v144
	v_max_f32_e32 v153, v143, v144
	s_delay_alu instid0(VALU_DEP_1) | instskip(SKIP_4) | instid1(VALU_DEP_4)
	v_fma_f32 v143, s33, v191, -v153
	v_fma_f32 v144, s33, v192, -v153
	;; [unrolled: 1-line block ×5, first 2 shown]
	v_dual_mul_f32 v143, 0x3fb8aa3b, v143 :: v_dual_mul_f32 v144, 0x3fb8aa3b, v144
	s_delay_alu instid0(VALU_DEP_4) | instskip(SKIP_2) | instid1(VALU_DEP_4)
	v_mul_f32_e32 v132, 0x3fb8aa3b, v132
	v_fma_f32 v134, s33, v134, -v153
	v_mul_f32_e32 v145, 0x3fb8aa3b, v145
	v_exp_f32_e32 v143, v143
	v_exp_f32_e32 v147, v144
	v_fma_f32 v148, s33, v195, -v153
	v_mul_f32_e32 v134, 0x3fb8aa3b, v134
	v_mul_f32_e32 v146, 0x3fb8aa3b, v146
	v_exp_f32_e32 v145, v145
	v_fma_f32 v151, s33, v197, -v153
	v_mul_f32_e32 v148, 0x3fb8aa3b, v148
	v_fma_f32 v129, s33, v129, -v153
	v_exp_f32_e32 v149, v146
	v_cndmask_b32_e32 v144, 0, v143, vcc_lo
	v_fma_f32 v143, s33, v196, -v153
	v_cndmask_b32_e64 v146, 0, v147, s2
	v_exp_f32_e32 v148, v148
	s_delay_alu instid0(VALU_DEP_3) | instskip(NEXT) | instid1(VALU_DEP_3)
	v_dual_mul_f32 v151, 0x3fb8aa3b, v151 :: v_dual_add_f32 v150, 0, v144
	v_mul_f32_e32 v143, 0x3fb8aa3b, v143
	v_cndmask_b32_e64 v147, 0, v145, s3
	v_fma_f32 v130, s33, v130, -v153
	s_delay_alu instid0(TRANS32_DEP_2)
	v_cndmask_b32_e64 v149, 0, v149, s4
	v_add_f32_e32 v145, v150, v146
	v_fma_f32 v150, s33, v198, -v153
	v_exp_f32_e32 v143, v143
	v_exp_f32_e32 v155, v151
	v_mul_f32_e32 v129, 0x3fb8aa3b, v129
	s_delay_alu instid0(VALU_DEP_2) | instskip(SKIP_2) | instid1(VALU_DEP_3)
	v_dual_add_f32 v145, v145, v147 :: v_dual_mul_f32 v152, 0x3fb8aa3b, v150
	v_cndmask_b32_e64 v150, 0, v148, s5
	v_fma_f32 v131, s33, v131, -v153
	v_dual_mul_f32 v130, 0x3fb8aa3b, v130 :: v_dual_add_f32 v145, v145, v149
	s_delay_alu instid0(VALU_DEP_4) | instskip(NEXT) | instid1(TRANS32_DEP_3)
	v_exp_f32_e32 v152, v152
	v_cndmask_b32_e64 v151, 0, v143, s6
	v_exp_f32_e32 v129, v129
	s_delay_alu instid0(TRANS32_DEP_3)
	v_cndmask_b32_e64 v148, 0, v155, s7
	v_add_f32_e32 v143, v145, v150
	v_mul_f32_e32 v131, 0x3fb8aa3b, v131
	v_exp_f32_e32 v130, v130
	v_fma_f32 v133, s33, v133, -v153
	v_fma_f32 v136, s33, v136, -v153
	v_add_f32_e32 v143, v143, v151
	v_cndmask_b32_e64 v152, 0, v152, s8
	v_exp_f32_e32 v145, v131
	v_cndmask_b32_e64 v131, 0, v129, s9
	v_mul_f32_e32 v133, 0x3fb8aa3b, v133
	v_add_f32_e32 v143, v143, v148
	s_mov_b32 s2, exec_lo
	s_delay_alu instid0(VALU_DEP_1)
	v_add_f32_e32 v129, v143, v152
	v_exp_f32_e32 v143, v132
	v_cndmask_b32_e64 v132, 0, v130, s10
	v_fma_f32 v130, s33, v135, -v153
	v_exp_f32_e32 v135, v133
	v_add_f32_e32 v129, v129, v131
	v_cndmask_b32_e64 v133, 0, v145, s11
	v_exp_f32_e32 v145, v134
	s_delay_alu instid0(VALU_DEP_2) | instskip(NEXT) | instid1(TRANS32_DEP_3)
	v_dual_mul_f32 v130, 0x3fb8aa3b, v130 :: v_dual_add_f32 v129, v129, v132
	v_cndmask_b32_e64 v134, 0, v143, s12
	v_mul_f32_e32 v143, 0x3fb8aa3b, v136
	s_delay_alu instid0(VALU_DEP_3) | instskip(NEXT) | instid1(TRANS32_DEP_3)
	v_exp_f32_e32 v130, v130
	v_cndmask_b32_e64 v135, 0, v135, s13
	v_add_f32_e32 v129, v129, v133
	s_delay_alu instid0(TRANS32_DEP_2) | instskip(SKIP_1) | instid1(VALU_DEP_2)
	v_cndmask_b32_e64 v136, 0, v145, s15
	v_exp_f32_e32 v145, v143
	v_add_f32_e32 v129, v129, v134
	s_waitcnt_depctr 0xfff
	v_cndmask_b32_e64 v143, 0, v130, s16
	v_add_f32_e32 v129, v129, v135
	v_cndmask_b32_e64 v145, 0, v145, s17
	s_delay_alu instid0(VALU_DEP_2) | instskip(NEXT) | instid1(VALU_DEP_1)
	v_add_f32_e32 v129, v129, v136
	v_add_f32_e32 v129, v129, v143
	s_delay_alu instid0(VALU_DEP_1)
	v_add_f32_e32 v129, v129, v145
	ds_bpermute_b32 v130, v154, v129
	v_cmpx_gt_u32_e32 16, v142
	s_cbranch_execz .LBB643_12
; %bb.11:
	v_mul_u32_u24_e32 v142, 0x44, v141
	s_waitcnt lgkmcnt(0)
	v_add_f32_e32 v129, v129, v130
	s_delay_alu instid0(VALU_DEP_2) | instskip(NEXT) | instid1(VALU_DEP_1)
	v_lshl_add_u32 v142, v140, 2, v142
	v_add_nc_u32_e32 v130, 0x4000, v142
	ds_store_2addr_b32 v130, v153, v129 offset1:136
.LBB643_12:
	s_or_b32 exec_lo, exec_lo, s2
	v_lshlrev_b32_e32 v129, 2, v140
	s_waitcnt lgkmcnt(0)
	s_barrier
	buffer_gl0_inv
	v_cmp_eq_u32_e64 s2, 1, v141
	v_add_nc_u32_e32 v142, 0x4000, v129
	ds_load_2addr_b32 v[153:154], v142 offset1:17
	ds_load_2addr_b32 v[155:156], v142 offset0:34 offset1:51
	ds_load_2addr_b32 v[157:158], v142 offset0:68 offset1:85
	;; [unrolled: 1-line block ×4, first 2 shown]
	s_waitcnt lgkmcnt(4)
	v_max3_f32 v129, v153, 0xff7fffff, v154
	s_waitcnt lgkmcnt(3)
	s_delay_alu instid0(VALU_DEP_1) | instskip(SKIP_1) | instid1(VALU_DEP_1)
	v_max3_f32 v129, v129, v155, v156
	s_waitcnt lgkmcnt(2)
	v_max3_f32 v129, v129, v157, v158
	s_waitcnt lgkmcnt(1)
	s_delay_alu instid0(VALU_DEP_1) | instskip(NEXT) | instid1(VALU_DEP_1)
	v_max3_f32 v129, v129, v159, v160
	v_sub_f32_e32 v163, v154, v129
	v_sub_f32_e32 v130, v153, v129
	ds_load_2addr_b32 v[153:154], v142 offset0:170 offset1:187
	v_sub_f32_e32 v155, v155, v129
	v_dual_mul_f32 v163, 0x3fb8aa3b, v163 :: v_dual_mul_f32 v130, 0x3fb8aa3b, v130
	s_delay_alu instid0(VALU_DEP_2) | instskip(NEXT) | instid1(VALU_DEP_2)
	v_mul_f32_e32 v165, 0x3fb8aa3b, v155
	v_exp_f32_e32 v163, v163
	s_delay_alu instid0(VALU_DEP_2)
	v_exp_f32_e32 v164, v130
	v_sub_f32_e32 v130, v156, v129
	ds_load_2addr_b32 v[155:156], v142 offset0:204 offset1:221
	v_exp_f32_e32 v165, v165
	v_mul_f32_e32 v166, 0x3fb8aa3b, v130
	s_waitcnt lgkmcnt(2)
	v_fma_f32 v130, v164, v161, 0
	v_sub_f32_e32 v157, v157, v129
	s_delay_alu instid0(VALU_DEP_3) | instskip(NEXT) | instid1(VALU_DEP_2)
	v_exp_f32_e32 v166, v166
	v_dual_sub_f32 v161, v158, v129 :: v_dual_fmac_f32 v130, v163, v162
	s_waitcnt lgkmcnt(1)
	s_waitcnt_depctr 0xfff
	v_fmac_f32_e32 v130, v165, v153
	v_mul_f32_e32 v167, 0x3fb8aa3b, v157
	ds_load_2addr_b32 v[157:158], v142 offset0:238 offset1:255
	v_sub_f32_e32 v142, v159, v129
	v_dual_sub_f32 v153, v160, v129 :: v_dual_fmac_f32 v130, v166, v154
	v_mul_f32_e32 v159, 0x3fb8aa3b, v161
	v_exp_f32_e32 v161, v167
	s_delay_alu instid0(VALU_DEP_2)
	v_dual_mul_f32 v142, 0x3fb8aa3b, v142 :: v_dual_mul_f32 v153, 0x3fb8aa3b, v153
	s_waitcnt lgkmcnt(0)
	s_barrier
	buffer_gl0_inv
	v_exp_f32_e32 v142, v142
	v_exp_f32_e32 v153, v153
	v_fmac_f32_e32 v130, v161, v155
	v_exp_f32_e32 v159, v159
	s_waitcnt_depctr 0xfff
	v_fmac_f32_e32 v130, v159, v156
	s_delay_alu instid0(VALU_DEP_1) | instskip(NEXT) | instid1(VALU_DEP_1)
	v_fmac_f32_e32 v130, v142, v157
	v_fmac_f32_e32 v130, v153, v158
	s_delay_alu instid0(VALU_DEP_1) | instskip(NEXT) | instid1(VALU_DEP_1)
	v_add_f32_e32 v154, 0x358637bd, v130
	v_div_scale_f32 v155, null, v154, v154, 1.0
	v_div_scale_f32 v158, vcc_lo, 1.0, v154, 1.0
	s_delay_alu instid0(VALU_DEP_2) | instskip(SKIP_2) | instid1(VALU_DEP_1)
	v_rcp_f32_e32 v156, v155
	s_waitcnt_depctr 0xfff
	v_fma_f32 v157, -v155, v156, 1.0
	v_fmac_f32_e32 v156, v157, v156
	v_cndmask_b32_e64 v157, v164, v163, s2
	v_cmp_eq_u32_e64 s2, 2, v141
	s_delay_alu instid0(VALU_DEP_3) | instskip(NEXT) | instid1(VALU_DEP_2)
	v_mul_f32_e32 v160, v158, v156
	v_cndmask_b32_e64 v157, v157, v165, s2
	v_cmp_eq_u32_e64 s2, 3, v141
	s_delay_alu instid0(VALU_DEP_3) | instskip(NEXT) | instid1(VALU_DEP_2)
	v_fma_f32 v162, -v155, v160, v158
	v_cndmask_b32_e64 v157, v157, v166, s2
	v_cmp_eq_u32_e64 s2, 4, v141
	s_delay_alu instid0(VALU_DEP_3) | instskip(NEXT) | instid1(VALU_DEP_2)
	v_fmac_f32_e32 v160, v162, v156
	v_cndmask_b32_e64 v157, v157, v161, s2
	s_delay_alu instid0(VALU_DEP_2) | instskip(SKIP_1) | instid1(VALU_DEP_2)
	v_fma_f32 v155, -v155, v160, v158
	v_cmp_eq_u32_e64 s2, 5, v141
	v_div_fmas_f32 v155, v155, v156, v160
	s_delay_alu instid0(VALU_DEP_2) | instskip(SKIP_2) | instid1(VALU_DEP_3)
	v_cndmask_b32_e64 v157, v157, v159, s2
	v_cmp_eq_u32_e32 vcc_lo, 6, v141
	s_mov_b32 s2, exec_lo
	v_div_fixup_f32 v154, v155, v154, 1.0
	s_delay_alu instid0(VALU_DEP_3) | instskip(SKIP_1) | instid1(VALU_DEP_2)
	v_cndmask_b32_e32 v142, v157, v142, vcc_lo
	v_cmp_eq_u32_e32 vcc_lo, 7, v141
	v_cndmask_b32_e32 v142, v142, v153, vcc_lo
	s_delay_alu instid0(VALU_DEP_1) | instskip(NEXT) | instid1(VALU_DEP_1)
	v_mul_f32_e32 v142, v142, v154
	v_mul_f32_e32 v153, v142, v149
	;; [unrolled: 1-line block ×7, first 2 shown]
	v_dual_mul_f32 v150, v142, v147 :: v_dual_and_b32 v155, 0x7f800000, v154
	v_mul_f32_e32 v149, v142, v146
                                        ; implicit-def: $vgpr146
	s_delay_alu instid0(VALU_DEP_2)
	v_cmpx_ne_u32_e32 0x7f800000, v155
	s_xor_b32 s2, exec_lo, s2
; %bb.13:
	v_bfe_u32 v146, v154, 16, 1
	s_delay_alu instid0(VALU_DEP_1)
	v_add3_u32 v146, v154, v146, 0x7fff
                                        ; implicit-def: $vgpr154
; %bb.14:
	s_and_not1_saveexec_b32 s2, s2
; %bb.15:
	v_and_b32_e32 v146, 0xffff, v154
	v_or_b32_e32 v147, 0x10000, v154
	s_delay_alu instid0(VALU_DEP_2) | instskip(NEXT) | instid1(VALU_DEP_2)
	v_cmp_eq_u32_e32 vcc_lo, 0, v146
	v_cndmask_b32_e32 v146, v147, v154, vcc_lo
; %bb.16:
	s_or_b32 exec_lo, exec_lo, s2
	v_and_b32_e32 v147, 0x7f800000, v149
	s_delay_alu instid0(VALU_DEP_1) | instskip(SKIP_1) | instid1(SALU_CYCLE_1)
	v_cmp_ne_u32_e32 vcc_lo, 0x7f800000, v147
                                        ; implicit-def: $vgpr147
	s_and_saveexec_b32 s2, vcc_lo
	s_xor_b32 s2, exec_lo, s2
; %bb.17:
	v_bfe_u32 v147, v149, 16, 1
	s_delay_alu instid0(VALU_DEP_1)
	v_add3_u32 v147, v149, v147, 0x7fff
                                        ; implicit-def: $vgpr149
; %bb.18:
	s_and_not1_saveexec_b32 s2, s2
; %bb.19:
	v_and_b32_e32 v147, 0xffff, v149
	v_or_b32_e32 v154, 0x10000, v149
	s_delay_alu instid0(VALU_DEP_2) | instskip(NEXT) | instid1(VALU_DEP_2)
	v_cmp_eq_u32_e32 vcc_lo, 0, v147
	v_cndmask_b32_e32 v147, v154, v149, vcc_lo
; %bb.20:
	s_or_b32 exec_lo, exec_lo, s2
	v_and_b32_e32 v149, 0x7f800000, v150
	s_delay_alu instid0(VALU_DEP_1) | instskip(SKIP_1) | instid1(SALU_CYCLE_1)
	v_cmp_ne_u32_e32 vcc_lo, 0x7f800000, v149
                                        ; implicit-def: $vgpr149
	s_and_saveexec_b32 s2, vcc_lo
	s_xor_b32 s2, exec_lo, s2
; %bb.21:
	v_bfe_u32 v149, v150, 16, 1
	s_delay_alu instid0(VALU_DEP_1)
	v_add3_u32 v149, v150, v149, 0x7fff
                                        ; implicit-def: $vgpr150
; %bb.22:
	s_and_not1_saveexec_b32 s2, s2
; %bb.23:
	v_and_b32_e32 v149, 0xffff, v150
	v_or_b32_e32 v154, 0x10000, v150
	s_delay_alu instid0(VALU_DEP_2) | instskip(NEXT) | instid1(VALU_DEP_2)
	v_cmp_eq_u32_e32 vcc_lo, 0, v149
	v_cndmask_b32_e32 v149, v154, v150, vcc_lo
; %bb.24:
	s_or_b32 exec_lo, exec_lo, s2
	v_and_b32_e32 v150, 0x7f800000, v153
	s_delay_alu instid0(VALU_DEP_1) | instskip(SKIP_1) | instid1(SALU_CYCLE_1)
	v_cmp_ne_u32_e32 vcc_lo, 0x7f800000, v150
                                        ; implicit-def: $vgpr150
	s_and_saveexec_b32 s2, vcc_lo
	s_xor_b32 s2, exec_lo, s2
; %bb.25:
	v_bfe_u32 v150, v153, 16, 1
	s_delay_alu instid0(VALU_DEP_1)
	v_add3_u32 v150, v153, v150, 0x7fff
                                        ; implicit-def: $vgpr153
; %bb.26:
	s_and_not1_saveexec_b32 s2, s2
; %bb.27:
	v_and_b32_e32 v150, 0xffff, v153
	v_or_b32_e32 v154, 0x10000, v153
	s_delay_alu instid0(VALU_DEP_2) | instskip(NEXT) | instid1(VALU_DEP_2)
	v_cmp_eq_u32_e32 vcc_lo, 0, v150
	v_cndmask_b32_e32 v150, v154, v153, vcc_lo
; %bb.28:
	s_or_b32 exec_lo, exec_lo, s2
	v_and_b32_e32 v153, 0x7f800000, v152
	s_delay_alu instid0(VALU_DEP_1) | instskip(SKIP_1) | instid1(SALU_CYCLE_1)
	v_cmp_ne_u32_e32 vcc_lo, 0x7f800000, v153
                                        ; implicit-def: $vgpr153
	s_and_saveexec_b32 s2, vcc_lo
	s_xor_b32 s2, exec_lo, s2
; %bb.29:
	v_bfe_u32 v153, v152, 16, 1
	s_delay_alu instid0(VALU_DEP_1)
	v_add3_u32 v153, v152, v153, 0x7fff
                                        ; implicit-def: $vgpr152
; %bb.30:
	s_and_not1_saveexec_b32 s2, s2
; %bb.31:
	v_and_b32_e32 v153, 0xffff, v152
	v_or_b32_e32 v154, 0x10000, v152
	s_delay_alu instid0(VALU_DEP_2) | instskip(NEXT) | instid1(VALU_DEP_2)
	v_cmp_eq_u32_e32 vcc_lo, 0, v153
	v_cndmask_b32_e32 v153, v154, v152, vcc_lo
; %bb.32:
	s_or_b32 exec_lo, exec_lo, s2
	v_and_b32_e32 v152, 0x7f800000, v151
	s_delay_alu instid0(VALU_DEP_1) | instskip(SKIP_1) | instid1(SALU_CYCLE_1)
	v_cmp_ne_u32_e32 vcc_lo, 0x7f800000, v152
                                        ; implicit-def: $vgpr152
	s_and_saveexec_b32 s2, vcc_lo
	s_xor_b32 s2, exec_lo, s2
; %bb.33:
	v_bfe_u32 v152, v151, 16, 1
	s_delay_alu instid0(VALU_DEP_1)
	v_add3_u32 v152, v151, v152, 0x7fff
                                        ; implicit-def: $vgpr151
; %bb.34:
	s_and_not1_saveexec_b32 s2, s2
; %bb.35:
	v_and_b32_e32 v152, 0xffff, v151
	v_or_b32_e32 v154, 0x10000, v151
	s_delay_alu instid0(VALU_DEP_2) | instskip(NEXT) | instid1(VALU_DEP_2)
	v_cmp_eq_u32_e32 vcc_lo, 0, v152
	v_cndmask_b32_e32 v152, v154, v151, vcc_lo
; %bb.36:
	s_or_b32 exec_lo, exec_lo, s2
	v_and_b32_e32 v151, 0x7f800000, v148
	s_delay_alu instid0(VALU_DEP_1) | instskip(SKIP_1) | instid1(SALU_CYCLE_1)
	v_cmp_ne_u32_e32 vcc_lo, 0x7f800000, v151
                                        ; implicit-def: $vgpr151
	s_and_saveexec_b32 s2, vcc_lo
	s_xor_b32 s2, exec_lo, s2
; %bb.37:
	v_bfe_u32 v151, v148, 16, 1
	s_delay_alu instid0(VALU_DEP_1)
	v_add3_u32 v151, v148, v151, 0x7fff
                                        ; implicit-def: $vgpr148
; %bb.38:
	s_and_not1_saveexec_b32 s2, s2
; %bb.39:
	v_and_b32_e32 v151, 0xffff, v148
	v_or_b32_e32 v154, 0x10000, v148
	s_delay_alu instid0(VALU_DEP_2) | instskip(NEXT) | instid1(VALU_DEP_2)
	v_cmp_eq_u32_e32 vcc_lo, 0, v151
	v_cndmask_b32_e32 v151, v154, v148, vcc_lo
; %bb.40:
	s_or_b32 exec_lo, exec_lo, s2
	v_and_b32_e32 v148, 0x7f800000, v144
	s_delay_alu instid0(VALU_DEP_1) | instskip(SKIP_1) | instid1(SALU_CYCLE_1)
	v_cmp_ne_u32_e32 vcc_lo, 0x7f800000, v148
                                        ; implicit-def: $vgpr148
	s_and_saveexec_b32 s2, vcc_lo
	s_xor_b32 s2, exec_lo, s2
; %bb.41:
	v_bfe_u32 v148, v144, 16, 1
	s_delay_alu instid0(VALU_DEP_1)
	v_add3_u32 v148, v144, v148, 0x7fff
                                        ; implicit-def: $vgpr144
; %bb.42:
	s_and_not1_saveexec_b32 s2, s2
; %bb.43:
	v_and_b32_e32 v148, 0xffff, v144
	v_or_b32_e32 v154, 0x10000, v144
	s_delay_alu instid0(VALU_DEP_2) | instskip(NEXT) | instid1(VALU_DEP_2)
	v_cmp_eq_u32_e32 vcc_lo, 0, v148
	v_cndmask_b32_e32 v148, v154, v144, vcc_lo
; %bb.44:
	s_or_b32 exec_lo, exec_lo, s2
	s_load_b64 s[34:35], s[0:1], 0x94
	v_lshlrev_b32_e32 v155, 4, v138
	s_delay_alu instid0(VALU_DEP_2)
	v_perm_b32 v154, v148, v151, 0x7060302
	v_mul_f32_e32 v148, v142, v131
	v_dual_mul_f32 v145, v142, v145 :: v_dual_lshlrev_b32 v144, 6, v140
	v_dual_mul_f32 v143, v142, v143 :: v_dual_lshlrev_b32 v156, 11, v141
	v_perm_b32 v153, v152, v153, 0x7060302
	v_perm_b32 v152, v150, v149, 0x7060302
	;; [unrolled: 1-line block ×3, first 2 shown]
	s_delay_alu instid0(VALU_DEP_4)
	v_or3_b32 v131, v155, v156, v144
	v_mul_f32_e32 v136, v142, v136
	v_dual_mul_f32 v146, v142, v134 :: v_dual_and_b32 v149, 0x7f800000, v148
	v_mul_f32_e32 v135, v142, v135
	v_mul_f32_e32 v147, v142, v133
	;; [unrolled: 1-line block ×3, first 2 shown]
	s_mov_b32 s2, exec_lo
	ds_store_b128 v131, v[151:154]
                                        ; implicit-def: $vgpr132
	v_cmpx_ne_u32_e32 0x7f800000, v149
	s_xor_b32 s2, exec_lo, s2
; %bb.45:
	v_bfe_u32 v132, v148, 16, 1
	s_delay_alu instid0(VALU_DEP_1)
	v_add3_u32 v132, v148, v132, 0x7fff
                                        ; implicit-def: $vgpr148
; %bb.46:
	s_and_not1_saveexec_b32 s2, s2
; %bb.47:
	v_and_b32_e32 v132, 0xffff, v148
	v_or_b32_e32 v133, 0x10000, v148
	s_delay_alu instid0(VALU_DEP_2) | instskip(NEXT) | instid1(VALU_DEP_2)
	v_cmp_eq_u32_e32 vcc_lo, 0, v132
	v_cndmask_b32_e32 v132, v133, v148, vcc_lo
; %bb.48:
	s_or_b32 exec_lo, exec_lo, s2
	v_and_b32_e32 v133, 0x7f800000, v134
	s_delay_alu instid0(VALU_DEP_1) | instskip(SKIP_1) | instid1(SALU_CYCLE_1)
	v_cmp_ne_u32_e32 vcc_lo, 0x7f800000, v133
                                        ; implicit-def: $vgpr133
	s_and_saveexec_b32 s2, vcc_lo
	s_xor_b32 s2, exec_lo, s2
; %bb.49:
	v_bfe_u32 v133, v134, 16, 1
	s_delay_alu instid0(VALU_DEP_1)
	v_add3_u32 v133, v134, v133, 0x7fff
                                        ; implicit-def: $vgpr134
; %bb.50:
	s_and_not1_saveexec_b32 s2, s2
; %bb.51:
	v_and_b32_e32 v133, 0xffff, v134
	v_or_b32_e32 v142, 0x10000, v134
	s_delay_alu instid0(VALU_DEP_2) | instskip(NEXT) | instid1(VALU_DEP_2)
	v_cmp_eq_u32_e32 vcc_lo, 0, v133
	v_cndmask_b32_e32 v133, v142, v134, vcc_lo
; %bb.52:
	s_or_b32 exec_lo, exec_lo, s2
	v_and_b32_e32 v134, 0x7f800000, v147
	s_delay_alu instid0(VALU_DEP_1) | instskip(SKIP_1) | instid1(SALU_CYCLE_1)
	v_cmp_ne_u32_e32 vcc_lo, 0x7f800000, v134
                                        ; implicit-def: $vgpr134
	s_and_saveexec_b32 s2, vcc_lo
	s_xor_b32 s2, exec_lo, s2
; %bb.53:
	v_bfe_u32 v134, v147, 16, 1
	s_delay_alu instid0(VALU_DEP_1)
	v_add3_u32 v134, v147, v134, 0x7fff
                                        ; implicit-def: $vgpr147
; %bb.54:
	s_and_not1_saveexec_b32 s2, s2
; %bb.55:
	v_and_b32_e32 v134, 0xffff, v147
	v_or_b32_e32 v142, 0x10000, v147
	s_delay_alu instid0(VALU_DEP_2) | instskip(NEXT) | instid1(VALU_DEP_2)
	v_cmp_eq_u32_e32 vcc_lo, 0, v134
	v_cndmask_b32_e32 v134, v142, v147, vcc_lo
; %bb.56:
	s_or_b32 exec_lo, exec_lo, s2
	v_and_b32_e32 v142, 0x7f800000, v146
	s_delay_alu instid0(VALU_DEP_1) | instskip(SKIP_1) | instid1(SALU_CYCLE_1)
	v_cmp_ne_u32_e32 vcc_lo, 0x7f800000, v142
                                        ; implicit-def: $vgpr142
	s_and_saveexec_b32 s2, vcc_lo
	s_xor_b32 s2, exec_lo, s2
; %bb.57:
	v_bfe_u32 v142, v146, 16, 1
	s_delay_alu instid0(VALU_DEP_1)
	v_add3_u32 v142, v146, v142, 0x7fff
                                        ; implicit-def: $vgpr146
; %bb.58:
	s_and_not1_saveexec_b32 s2, s2
; %bb.59:
	v_and_b32_e32 v142, 0xffff, v146
	v_or_b32_e32 v147, 0x10000, v146
	s_delay_alu instid0(VALU_DEP_2) | instskip(NEXT) | instid1(VALU_DEP_2)
	v_cmp_eq_u32_e32 vcc_lo, 0, v142
	v_cndmask_b32_e32 v142, v147, v146, vcc_lo
; %bb.60:
	s_or_b32 exec_lo, exec_lo, s2
	v_and_b32_e32 v146, 0x7f800000, v135
	s_delay_alu instid0(VALU_DEP_1) | instskip(SKIP_1) | instid1(SALU_CYCLE_1)
	v_cmp_ne_u32_e32 vcc_lo, 0x7f800000, v146
                                        ; implicit-def: $vgpr146
	s_and_saveexec_b32 s2, vcc_lo
	s_xor_b32 s2, exec_lo, s2
; %bb.61:
	v_bfe_u32 v146, v135, 16, 1
	s_delay_alu instid0(VALU_DEP_1)
	v_add3_u32 v146, v135, v146, 0x7fff
                                        ; implicit-def: $vgpr135
; %bb.62:
	s_and_not1_saveexec_b32 s2, s2
; %bb.63:
	v_and_b32_e32 v146, 0xffff, v135
	v_or_b32_e32 v147, 0x10000, v135
	s_delay_alu instid0(VALU_DEP_2) | instskip(NEXT) | instid1(VALU_DEP_2)
	v_cmp_eq_u32_e32 vcc_lo, 0, v146
	v_cndmask_b32_e32 v146, v147, v135, vcc_lo
; %bb.64:
	s_or_b32 exec_lo, exec_lo, s2
	v_and_b32_e32 v135, 0x7f800000, v136
	s_delay_alu instid0(VALU_DEP_1) | instskip(SKIP_1) | instid1(SALU_CYCLE_1)
	v_cmp_ne_u32_e32 vcc_lo, 0x7f800000, v135
                                        ; implicit-def: $vgpr135
	s_and_saveexec_b32 s2, vcc_lo
	s_xor_b32 s2, exec_lo, s2
; %bb.65:
	v_bfe_u32 v135, v136, 16, 1
	s_delay_alu instid0(VALU_DEP_1)
	v_add3_u32 v135, v136, v135, 0x7fff
                                        ; implicit-def: $vgpr136
; %bb.66:
	s_and_not1_saveexec_b32 s2, s2
; %bb.67:
	v_and_b32_e32 v135, 0xffff, v136
	v_or_b32_e32 v147, 0x10000, v136
	s_delay_alu instid0(VALU_DEP_2) | instskip(NEXT) | instid1(VALU_DEP_2)
	v_cmp_eq_u32_e32 vcc_lo, 0, v135
	v_cndmask_b32_e32 v135, v147, v136, vcc_lo
; %bb.68:
	s_or_b32 exec_lo, exec_lo, s2
	v_and_b32_e32 v136, 0x7f800000, v143
	s_delay_alu instid0(VALU_DEP_1) | instskip(SKIP_1) | instid1(SALU_CYCLE_1)
	v_cmp_ne_u32_e32 vcc_lo, 0x7f800000, v136
                                        ; implicit-def: $vgpr136
	s_and_saveexec_b32 s2, vcc_lo
	s_xor_b32 s2, exec_lo, s2
; %bb.69:
	v_bfe_u32 v136, v143, 16, 1
	s_delay_alu instid0(VALU_DEP_1)
	v_add3_u32 v136, v143, v136, 0x7fff
                                        ; implicit-def: $vgpr143
; %bb.70:
	s_and_not1_saveexec_b32 s2, s2
; %bb.71:
	v_and_b32_e32 v136, 0xffff, v143
	v_or_b32_e32 v147, 0x10000, v143
	s_delay_alu instid0(VALU_DEP_2) | instskip(NEXT) | instid1(VALU_DEP_2)
	v_cmp_eq_u32_e32 vcc_lo, 0, v136
	v_cndmask_b32_e32 v136, v147, v143, vcc_lo
; %bb.72:
	s_or_b32 exec_lo, exec_lo, s2
	v_and_b32_e32 v143, 0x7f800000, v145
	s_delay_alu instid0(VALU_DEP_1) | instskip(SKIP_1) | instid1(SALU_CYCLE_1)
	v_cmp_ne_u32_e32 vcc_lo, 0x7f800000, v143
                                        ; implicit-def: $vgpr143
	s_and_saveexec_b32 s2, vcc_lo
	s_xor_b32 s2, exec_lo, s2
; %bb.73:
	v_bfe_u32 v143, v145, 16, 1
	s_delay_alu instid0(VALU_DEP_1)
	v_add3_u32 v143, v145, v143, 0x7fff
                                        ; implicit-def: $vgpr145
; %bb.74:
	s_and_not1_saveexec_b32 s2, s2
; %bb.75:
	v_and_b32_e32 v143, 0xffff, v145
	v_or_b32_e32 v147, 0x10000, v145
	s_delay_alu instid0(VALU_DEP_2) | instskip(NEXT) | instid1(VALU_DEP_2)
	v_cmp_eq_u32_e32 vcc_lo, 0, v143
	v_cndmask_b32_e32 v143, v147, v145, vcc_lo
; %bb.76:
	s_or_b32 exec_lo, exec_lo, s2
	s_delay_alu instid0(VALU_DEP_1)
	v_perm_b32 v136, v143, v136, 0x7060302
	v_perm_b32 v135, v135, v146, 0x7060302
	;; [unrolled: 1-line block ×4, first 2 shown]
	v_lshl_or_b32 v145, v141, 11, v144
	v_lshlrev_b32_e32 v142, 2, v138
	ds_store_b128 v131, v[133:136] offset:1024
	s_waitcnt lgkmcnt(0)
	s_barrier
	buffer_gl0_inv
	ds_load_b128 v[132:135], v145
	ds_load_b128 v[147:150], v145 offset:16
	v_or_b32_e32 v143, 1, v142
	v_cmp_eq_u32_e64 s11, 1, v142
	v_cmp_eq_u32_e64 s10, 2, v142
	v_cmp_eq_u32_e64 s15, 3, v142
	v_or_b32_e32 v141, 2, v142
	v_cmp_eq_u32_e64 s6, 1, v143
	v_cmp_eq_u32_e64 s5, 2, v143
	;; [unrolled: 1-line block ×8, first 2 shown]
	v_cmp_eq_u32_e32 vcc_lo, 5, v143
	v_cmp_eq_u32_e64 s9, 2, v141
	v_cmp_eq_u32_e64 s3, 6, v143
	;; [unrolled: 1-line block ×4, first 2 shown]
	s_waitcnt lgkmcnt(1)
	v_lshrrev_b32_e32 v136, 16, v132
	s_waitcnt lgkmcnt(0)
	v_lshrrev_b32_e32 v155, 16, v147
	v_lshrrev_b32_e32 v161, 16, v148
	;; [unrolled: 1-line block ×4, first 2 shown]
	v_cndmask_b32_e64 v146, v132, v136, s11
	v_cndmask_b32_e64 v151, v147, v155, s11
	;; [unrolled: 1-line block ×4, first 2 shown]
	v_lshrrev_b32_e32 v160, 16, v134
	v_cndmask_b32_e64 v146, v146, v133, s10
	v_cndmask_b32_e64 v151, v151, v148, s10
	;; [unrolled: 1-line block ×8, first 2 shown]
	v_lshrrev_b32_e32 v164, 16, v150
	v_cndmask_b32_e64 v153, v153, v161, s4
	v_cndmask_b32_e64 v146, v146, v134, s16
	;; [unrolled: 1-line block ×5, first 2 shown]
	v_lshrrev_b32_e32 v162, 16, v135
	v_cndmask_b32_e64 v146, v146, v160, s12
	v_cndmask_b32_e64 v151, v151, v163, s12
	v_cndmask_b32_e32 v152, v152, v160, vcc_lo
	v_cndmask_b32_e64 v153, v153, v149, s2
	v_cmp_eq_u32_e64 s18, 7, v143
	v_cndmask_b32_e64 v146, v146, v135, s13
	v_cndmask_b32_e64 v151, v151, v150, s13
	;; [unrolled: 1-line block ×4, first 2 shown]
	v_cmp_eq_u32_e64 s19, 4, v141
	v_cndmask_b32_e64 v165, v146, v162, s8
	v_cndmask_b32_e64 v166, v151, v164, s8
	;; [unrolled: 1-line block ×3, first 2 shown]
	v_or_b32_e32 v146, 3, v142
	v_cndmask_b32_e64 v167, v152, v162, s18
	v_cndmask_b32_e32 v156, v153, v163, vcc_lo
	v_cndmask_b32_e64 v158, v154, v134, s19
	v_cndmask_b32_e64 v157, v151, v148, s9
	ds_load_b128 v[151:154], v145 offset:1024
	v_cmp_eq_u32_e64 s20, 1, v146
	v_cmp_eq_u32_e64 s21, 5, v141
	;; [unrolled: 1-line block ×3, first 2 shown]
	v_cndmask_b32_e64 v157, v157, v161, s17
	v_cmp_eq_u32_e64 s23, 3, v146
	v_cndmask_b32_e64 v132, v132, v136, s20
	v_cndmask_b32_e64 v136, v156, v150, s3
	;; [unrolled: 1-line block ×5, first 2 shown]
	ds_load_b128 v[155:158], v145 offset:1040
	v_cndmask_b32_e64 v132, v132, v133, s22
	v_cmp_eq_u32_e64 s25, 4, v146
	v_cmp_eq_u32_e64 s27, 5, v146
	v_cndmask_b32_e64 v147, v147, v148, s22
	v_cmp_eq_u32_e64 s24, 6, v141
	v_cndmask_b32_e64 v132, v132, v159, s23
	;; [unrolled: 2-line block ×3, first 2 shown]
	v_cndmask_b32_e64 v147, v147, v161, s23
	s_waitcnt lgkmcnt(1)
	v_lshrrev_b32_e32 v159, 16, v151
	v_cndmask_b32_e64 v132, v132, v134, s25
	v_cndmask_b32_e64 v148, v168, v135, s24
	;; [unrolled: 1-line block ×6, first 2 shown]
	v_lshrrev_b32_e32 v160, 16, v152
	v_cndmask_b32_e64 v161, v151, v159, s6
	v_cndmask_b32_e64 v134, v134, v163, s27
	s_waitcnt lgkmcnt(0)
	v_lshrrev_b32_e32 v149, 16, v155
	v_cndmask_b32_e64 v147, v147, v152, s10
	v_cndmask_b32_e64 v132, v132, v135, s28
	v_cmp_eq_u32_e64 s26, 7, v141
	v_cndmask_b32_e64 v134, v134, v150, s28
	v_cndmask_b32_e64 v163, v155, v149, s11
	;; [unrolled: 1-line block ×4, first 2 shown]
	v_lshrrev_b32_e32 v161, 16, v156
	v_cndmask_b32_e64 v136, v136, v164, s18
	v_cndmask_b32_e64 v150, v163, v156, s10
	v_cmp_eq_u32_e64 s10, 7, v146
	v_cndmask_b32_e64 v147, v147, v160, s4
	v_cndmask_b32_e64 v135, v135, v153, s16
	v_lshrrev_b32_e32 v163, 16, v153
	v_cndmask_b32_e64 v150, v150, v161, s15
	v_cndmask_b32_e64 v132, v132, v162, s10
	;; [unrolled: 1-line block ×8, first 2 shown]
	v_lshrrev_b32_e32 v164, 16, v157
	v_perm_b32 v135, v134, v132, 0x5040100
	v_cndmask_b32_e32 v132, v147, v163, vcc_lo
	v_cndmask_b32_e64 v147, v162, v154, s13
	v_lshrrev_b32_e32 v162, 16, v154
	v_cndmask_b32_e64 v150, v150, v164, s12
	v_perm_b32 v134, v133, v148, 0x5040100
	v_cndmask_b32_e64 v132, v132, v154, s3
	v_perm_b32 v133, v136, v167, 0x5040100
	v_cndmask_b32_e64 v136, v147, v162, s8
	v_cndmask_b32_e64 v147, v150, v158, s13
	;; [unrolled: 1-line block ×27, first 2 shown]
	v_cndmask_b32_e32 v149, v149, v164, vcc_lo
	v_lshrrev_b32_e32 v148, 16, v158
	v_cndmask_b32_e64 v132, v132, v154, s24
	v_cndmask_b32_e64 v150, v150, v154, s28
	;; [unrolled: 1-line block ×11, first 2 shown]
	v_perm_b32 v132, v166, v165, 0x5040100
	v_perm_b32 v150, v151, v150, 0x5040100
	;; [unrolled: 1-line block ×5, first 2 shown]
	s_mul_i32 s7, s35, 10
	s_mov_b32 s2, exec_lo
	ds_store_b128 v131, v[132:135]
	ds_store_b128 v131, v[147:150] offset:1024
	v_cmpx_gt_u32_e32 10, v0
	s_cbranch_execz .LBB643_78
; %bb.77:
	s_mul_i32 s3, s7, s30
	s_load_b128 s[8:11], s[0:1], 0x58
	v_add3_u32 v133, s3, s29, v140
	s_delay_alu instid0(VALU_DEP_1) | instskip(NEXT) | instid1(VALU_DEP_1)
	v_mad_u64_u32 v[131:132], null, v133, s34, s[14:15]
	v_ashrrev_i32_e32 v132, 31, v131
	s_delay_alu instid0(VALU_DEP_1) | instskip(SKIP_1) | instid1(VALU_DEP_1)
	v_lshlrev_b64 v[131:132], 2, v[131:132]
	s_waitcnt lgkmcnt(0)
	v_add_co_u32 v133, vcc_lo, s10, v131
	s_delay_alu instid0(VALU_DEP_2)
	v_add_co_ci_u32_e32 v134, vcc_lo, s11, v132, vcc_lo
	v_add_co_u32 v131, vcc_lo, s8, v131
	v_add_co_ci_u32_e32 v132, vcc_lo, s9, v132, vcc_lo
	global_store_b32 v[133:134], v129, off
	global_store_b32 v[131:132], v130, off
.LBB643_78:
	s_or_b32 exec_lo, exec_lo, s2
	s_waitcnt lgkmcnt(0)
	s_waitcnt_vscnt null, 0x0
	s_barrier
	buffer_gl0_inv
	ds_load_b128 v[147:150], v144
	ds_load_b128 v[151:154], v144 offset:16
	ds_load_b128 v[159:162], v144 offset:1040
	;; [unrolled: 1-line block ×3, first 2 shown]
	v_mov_b32_e32 v129, 0
	ds_load_b128 v[167:170], v144 offset:2064
	ds_load_b128 v[163:166], v144 offset:2048
	;; [unrolled: 1-line block ×6, first 2 shown]
	v_mov_b32_e32 v130, v129
	v_mov_b32_e32 v131, v129
	v_mov_b32_e32 v132, v129
	v_mov_b32_e32 v133, v129
	v_mov_b32_e32 v134, v129
	v_mov_b32_e32 v135, v129
	v_mov_b32_e32 v136, v129
	s_waitcnt lgkmcnt(8)
	s_delay_alu instid0(VALU_DEP_1)
	v_wmma_f32_16x16x16_bf16 v[129:136], v[121:128], v[147:154], v[129:136]
	ds_load_b128 v[125:128], v144 offset:5136
	ds_load_b128 v[121:124], v144 offset:5120
	s_waitcnt lgkmcnt(8)
	v_wmma_f32_16x16x16_bf16 v[129:136], v[113:120], v[155:162], v[129:136]
	ds_load_b128 v[117:120], v144 offset:6160
	ds_load_b128 v[113:116], v144 offset:6144
	s_waitcnt lgkmcnt(8)
	;; [unrolled: 4-line block ×8, first 2 shown]
	v_wmma_f32_16x16x16_bf16 v[129:136], v[65:72], v[97:104], v[129:136]
	s_waitcnt lgkmcnt(6)
	s_delay_alu instid0(VALU_DEP_1)
	v_wmma_f32_16x16x16_bf16 v[129:136], v[49:56], v[89:96], v[129:136]
	ds_load_b128 v[53:56], v144 offset:13328
	ds_load_b128 v[49:52], v144 offset:13312
	s_waitcnt lgkmcnt(6)
	v_wmma_f32_16x16x16_bf16 v[129:136], v[41:48], v[81:88], v[129:136]
	ds_load_b128 v[45:48], v144 offset:14352
	ds_load_b128 v[41:44], v144 offset:14336
	s_waitcnt lgkmcnt(6)
	;; [unrolled: 4-line block ×3, first 2 shown]
	v_wmma_f32_16x16x16_bf16 v[129:136], v[1:8], v[57:64], v[129:136]
	s_waitcnt lgkmcnt(4)
	s_delay_alu instid0(VALU_DEP_1) | instskip(SKIP_1) | instid1(VALU_DEP_1)
	v_wmma_f32_16x16x16_bf16 v[129:136], v[25:32], v[49:56], v[129:136]
	s_waitcnt lgkmcnt(2)
	v_wmma_f32_16x16x16_bf16 v[129:136], v[33:40], v[41:48], v[129:136]
	s_waitcnt lgkmcnt(0)
	s_delay_alu instid0(VALU_DEP_1) | instskip(NEXT) | instid1(VALU_DEP_1)
	v_wmma_f32_16x16x16_bf16 v[129:136], v[9:16], v[17:24], v[129:136]
	v_and_b32_e32 v1, 0x7f800000, v129
	s_delay_alu instid0(VALU_DEP_1) | instskip(SKIP_1) | instid1(SALU_CYCLE_1)
	v_cmp_ne_u32_e32 vcc_lo, 0x7f800000, v1
                                        ; implicit-def: $vgpr1
	s_and_saveexec_b32 s2, vcc_lo
	s_xor_b32 s2, exec_lo, s2
; %bb.79:
	v_bfe_u32 v1, v129, 16, 1
	s_delay_alu instid0(VALU_DEP_1)
	v_add3_u32 v1, v129, v1, 0x7fff
; %bb.80:
	s_and_not1_saveexec_b32 s2, s2
; %bb.81:
	v_and_b32_e32 v1, 0xffff, v129
	v_or_b32_e32 v2, 0x10000, v129
	s_delay_alu instid0(VALU_DEP_2) | instskip(NEXT) | instid1(VALU_DEP_2)
	v_cmp_eq_u32_e32 vcc_lo, 0, v1
	v_cndmask_b32_e32 v1, v2, v129, vcc_lo
; %bb.82:
	s_or_b32 exec_lo, exec_lo, s2
	v_and_b32_e32 v2, 0x7f800000, v130
	s_delay_alu instid0(VALU_DEP_1) | instskip(SKIP_1) | instid1(SALU_CYCLE_1)
	v_cmp_ne_u32_e32 vcc_lo, 0x7f800000, v2
                                        ; implicit-def: $vgpr2
	s_and_saveexec_b32 s2, vcc_lo
	s_xor_b32 s2, exec_lo, s2
; %bb.83:
	v_bfe_u32 v2, v130, 16, 1
	s_delay_alu instid0(VALU_DEP_1)
	v_add3_u32 v2, v130, v2, 0x7fff
; %bb.84:
	s_and_not1_saveexec_b32 s2, s2
; %bb.85:
	v_and_b32_e32 v2, 0xffff, v130
	v_or_b32_e32 v3, 0x10000, v130
	s_delay_alu instid0(VALU_DEP_2) | instskip(NEXT) | instid1(VALU_DEP_2)
	v_cmp_eq_u32_e32 vcc_lo, 0, v2
	v_cndmask_b32_e32 v2, v3, v130, vcc_lo
; %bb.86:
	s_or_b32 exec_lo, exec_lo, s2
	v_and_b32_e32 v3, 0x7f800000, v131
	s_delay_alu instid0(VALU_DEP_1) | instskip(SKIP_1) | instid1(SALU_CYCLE_1)
	v_cmp_ne_u32_e32 vcc_lo, 0x7f800000, v3
                                        ; implicit-def: $vgpr3
	s_and_saveexec_b32 s2, vcc_lo
	s_xor_b32 s2, exec_lo, s2
; %bb.87:
	v_bfe_u32 v3, v131, 16, 1
	s_delay_alu instid0(VALU_DEP_1)
	v_add3_u32 v3, v131, v3, 0x7fff
; %bb.88:
	s_and_not1_saveexec_b32 s2, s2
; %bb.89:
	v_and_b32_e32 v3, 0xffff, v131
	v_or_b32_e32 v4, 0x10000, v131
	s_delay_alu instid0(VALU_DEP_2) | instskip(NEXT) | instid1(VALU_DEP_2)
	v_cmp_eq_u32_e32 vcc_lo, 0, v3
	v_cndmask_b32_e32 v3, v4, v131, vcc_lo
; %bb.90:
	s_or_b32 exec_lo, exec_lo, s2
	v_and_b32_e32 v4, 0x7f800000, v132
	s_delay_alu instid0(VALU_DEP_1) | instskip(SKIP_1) | instid1(SALU_CYCLE_1)
	v_cmp_ne_u32_e32 vcc_lo, 0x7f800000, v4
                                        ; implicit-def: $vgpr4
	s_and_saveexec_b32 s2, vcc_lo
	s_xor_b32 s2, exec_lo, s2
; %bb.91:
	v_bfe_u32 v4, v132, 16, 1
	s_delay_alu instid0(VALU_DEP_1)
	v_add3_u32 v4, v132, v4, 0x7fff
; %bb.92:
	s_and_not1_saveexec_b32 s2, s2
; %bb.93:
	v_and_b32_e32 v4, 0xffff, v132
	v_or_b32_e32 v5, 0x10000, v132
	s_delay_alu instid0(VALU_DEP_2) | instskip(NEXT) | instid1(VALU_DEP_2)
	v_cmp_eq_u32_e32 vcc_lo, 0, v4
	v_cndmask_b32_e32 v4, v5, v132, vcc_lo
; %bb.94:
	s_or_b32 exec_lo, exec_lo, s2
	v_and_b32_e32 v5, 0x7f800000, v133
	s_delay_alu instid0(VALU_DEP_1) | instskip(SKIP_1) | instid1(SALU_CYCLE_1)
	v_cmp_ne_u32_e32 vcc_lo, 0x7f800000, v5
                                        ; implicit-def: $vgpr5
	s_and_saveexec_b32 s2, vcc_lo
	s_xor_b32 s2, exec_lo, s2
; %bb.95:
	v_bfe_u32 v5, v133, 16, 1
	s_delay_alu instid0(VALU_DEP_1)
	v_add3_u32 v5, v133, v5, 0x7fff
; %bb.96:
	s_and_not1_saveexec_b32 s2, s2
; %bb.97:
	v_and_b32_e32 v5, 0xffff, v133
	v_or_b32_e32 v6, 0x10000, v133
	s_delay_alu instid0(VALU_DEP_2) | instskip(NEXT) | instid1(VALU_DEP_2)
	v_cmp_eq_u32_e32 vcc_lo, 0, v5
	v_cndmask_b32_e32 v5, v6, v133, vcc_lo
; %bb.98:
	s_or_b32 exec_lo, exec_lo, s2
	v_and_b32_e32 v6, 0x7f800000, v134
	s_delay_alu instid0(VALU_DEP_1) | instskip(SKIP_1) | instid1(SALU_CYCLE_1)
	v_cmp_ne_u32_e32 vcc_lo, 0x7f800000, v6
                                        ; implicit-def: $vgpr6
	s_and_saveexec_b32 s2, vcc_lo
	s_xor_b32 s2, exec_lo, s2
; %bb.99:
	v_bfe_u32 v6, v134, 16, 1
	s_delay_alu instid0(VALU_DEP_1)
	v_add3_u32 v6, v134, v6, 0x7fff
; %bb.100:
	s_and_not1_saveexec_b32 s2, s2
; %bb.101:
	v_and_b32_e32 v6, 0xffff, v134
	v_or_b32_e32 v7, 0x10000, v134
	s_delay_alu instid0(VALU_DEP_2) | instskip(NEXT) | instid1(VALU_DEP_2)
	v_cmp_eq_u32_e32 vcc_lo, 0, v6
	v_cndmask_b32_e32 v6, v7, v134, vcc_lo
; %bb.102:
	s_or_b32 exec_lo, exec_lo, s2
	v_and_b32_e32 v7, 0x7f800000, v135
	s_delay_alu instid0(VALU_DEP_1) | instskip(SKIP_1) | instid1(SALU_CYCLE_1)
	v_cmp_ne_u32_e32 vcc_lo, 0x7f800000, v7
                                        ; implicit-def: $vgpr7
	s_and_saveexec_b32 s2, vcc_lo
	s_xor_b32 s2, exec_lo, s2
; %bb.103:
	v_bfe_u32 v7, v135, 16, 1
	s_delay_alu instid0(VALU_DEP_1)
	v_add3_u32 v7, v135, v7, 0x7fff
; %bb.104:
	s_and_not1_saveexec_b32 s2, s2
; %bb.105:
	v_and_b32_e32 v7, 0xffff, v135
	v_or_b32_e32 v8, 0x10000, v135
	s_delay_alu instid0(VALU_DEP_2) | instskip(NEXT) | instid1(VALU_DEP_2)
	v_cmp_eq_u32_e32 vcc_lo, 0, v7
	v_cndmask_b32_e32 v7, v8, v135, vcc_lo
; %bb.106:
	s_or_b32 exec_lo, exec_lo, s2
	v_and_b32_e32 v8, 0x7f800000, v136
	s_delay_alu instid0(VALU_DEP_1) | instskip(SKIP_1) | instid1(SALU_CYCLE_1)
	v_cmp_ne_u32_e32 vcc_lo, 0x7f800000, v8
                                        ; implicit-def: $vgpr8
	s_and_saveexec_b32 s2, vcc_lo
	s_xor_b32 s2, exec_lo, s2
; %bb.107:
	v_bfe_u32 v8, v136, 16, 1
	s_delay_alu instid0(VALU_DEP_1)
	v_add3_u32 v8, v136, v8, 0x7fff
                                        ; implicit-def: $vgpr129_vgpr130_vgpr131_vgpr132_vgpr133_vgpr134_vgpr135_vgpr136
; %bb.108:
	s_and_not1_saveexec_b32 s2, s2
; %bb.109:
	v_and_b32_e32 v8, 0xffff, v136
	v_or_b32_e32 v9, 0x10000, v136
	s_delay_alu instid0(VALU_DEP_2) | instskip(NEXT) | instid1(VALU_DEP_2)
	v_cmp_eq_u32_e32 vcc_lo, 0, v8
	v_cndmask_b32_e32 v8, v9, v136, vcc_lo
; %bb.110:
	s_or_b32 exec_lo, exec_lo, s2
	s_delay_alu instid0(VALU_DEP_1)
	v_perm_b32 v7, v8, v7, 0x7060302
	v_perm_b32 v6, v6, v5, 0x7060302
	;; [unrolled: 1-line block ×4, first 2 shown]
	v_lshl_or_b32 v9, v138, 4, v145
	s_barrier
	buffer_gl0_inv
	v_cmp_eq_u32_e32 vcc_lo, 1, v142
	ds_store_b128 v9, v[4:7]
	s_waitcnt lgkmcnt(0)
	s_barrier
	buffer_gl0_inv
	ds_load_b128 v[1:4], v145
	ds_load_b128 v[5:8], v145 offset:16
	v_cmp_eq_u32_e64 s3, 2, v142
	v_cmp_eq_u32_e64 s2, 1, v143
	;; [unrolled: 1-line block ×5, first 2 shown]
	s_waitcnt lgkmcnt(1)
	v_lshrrev_b32_e32 v10, 16, v1
	s_waitcnt lgkmcnt(0)
	v_lshrrev_b32_e32 v14, 16, v5
	v_lshrrev_b32_e32 v15, 16, v6
	;; [unrolled: 1-line block ×4, first 2 shown]
	v_cndmask_b32_e64 v20, v1, v10, s2
	v_cndmask_b32_e32 v19, v5, v14, vcc_lo
	v_cndmask_b32_e64 v21, v5, v14, s2
	v_lshrrev_b32_e32 v16, 16, v7
	v_cmp_eq_u32_e64 s2, 1, v141
	v_lshrrev_b32_e32 v13, 16, v4
	v_cndmask_b32_e64 v19, v19, v6, s3
	v_lshrrev_b32_e32 v17, 16, v8
	s_delay_alu instid0(VALU_DEP_4) | instskip(SKIP_1) | instid1(VALU_DEP_4)
	v_cndmask_b32_e64 v22, v1, v10, s2
	v_cndmask_b32_e64 v23, v5, v14, s2
	;; [unrolled: 1-line block ×3, first 2 shown]
	v_cndmask_b32_e32 v18, v1, v10, vcc_lo
	v_cmp_eq_u32_e32 vcc_lo, 2, v143
	v_cmp_eq_u32_e64 s2, 2, v146
	v_cndmask_b32_e64 v22, v22, v2, s6
	v_cndmask_b32_e32 v20, v20, v2, vcc_lo
	v_cndmask_b32_e32 v21, v21, v6, vcc_lo
	v_cmp_eq_u32_e32 vcc_lo, 4, v142
	v_cndmask_b32_e32 v19, v19, v7, vcc_lo
	v_cndmask_b32_e64 v18, v18, v2, s3
	v_cmp_eq_u32_e64 s3, 3, v143
	s_delay_alu instid0(VALU_DEP_2) | instskip(NEXT) | instid1(VALU_DEP_2)
	v_cndmask_b32_e64 v18, v18, v11, s4
	v_cndmask_b32_e64 v21, v21, v15, s3
	v_cmp_eq_u32_e64 s4, 5, v142
	s_delay_alu instid0(VALU_DEP_3) | instskip(SKIP_1) | instid1(VALU_DEP_3)
	v_cndmask_b32_e32 v18, v18, v3, vcc_lo
	v_cmp_eq_u32_e32 vcc_lo, 4, v143
	v_cndmask_b32_e64 v19, v19, v16, s4
	s_delay_alu instid0(VALU_DEP_3) | instskip(SKIP_4) | instid1(VALU_DEP_3)
	v_cndmask_b32_e64 v18, v18, v12, s4
	v_cndmask_b32_e32 v21, v21, v7, vcc_lo
	v_cndmask_b32_e64 v20, v20, v11, s3
	v_cmp_eq_u32_e64 s3, 5, v143
	v_cmp_eq_u32_e64 s4, 6, v142
	v_cndmask_b32_e32 v20, v20, v3, vcc_lo
	s_delay_alu instid0(VALU_DEP_3) | instskip(SKIP_1) | instid1(VALU_DEP_4)
	v_cndmask_b32_e64 v21, v21, v16, s3
	v_cmp_eq_u32_e32 vcc_lo, 6, v143
	v_cndmask_b32_e64 v18, v18, v4, s4
	v_cndmask_b32_e64 v19, v19, v8, s4
	;; [unrolled: 1-line block ×3, first 2 shown]
	v_cmp_eq_u32_e64 s3, 1, v146
	v_cmp_eq_u32_e64 s4, 7, v142
	s_delay_alu instid0(VALU_DEP_3) | instskip(NEXT) | instid1(VALU_DEP_3)
	v_cndmask_b32_e32 v20, v20, v4, vcc_lo
	v_cndmask_b32_e64 v1, v1, v10, s3
	v_cndmask_b32_e64 v5, v5, v14, s3
	v_cmp_eq_u32_e64 s3, 3, v141
	v_cndmask_b32_e64 v14, v23, v6, s6
	v_cmp_eq_u32_e64 s6, 3, v146
	v_cndmask_b32_e64 v1, v1, v2, s2
	v_cndmask_b32_e64 v2, v5, v6, s2
	;; [unrolled: 1-line block ×3, first 2 shown]
	v_cmp_eq_u32_e64 s2, 4, v141
	v_cndmask_b32_e64 v6, v14, v15, s3
	v_cndmask_b32_e64 v1, v1, v11, s6
	v_cmp_eq_u32_e64 s3, 4, v146
	v_cndmask_b32_e64 v2, v2, v15, s6
	v_cndmask_b32_e64 v5, v10, v3, s2
	;; [unrolled: 3-line block ×3, first 2 shown]
	v_cndmask_b32_e64 v2, v2, v7, s3
	v_cmp_eq_u32_e64 s2, 5, v146
	v_cndmask_b32_e64 v5, v5, v12, s6
	v_cmp_eq_u32_e64 s3, 6, v141
	;; [unrolled: 2-line block ×3, first 2 shown]
	v_cndmask_b32_e64 v1, v1, v12, s2
	v_cndmask_b32_e64 v2, v2, v16, s2
	;; [unrolled: 1-line block ×4, first 2 shown]
	v_cmp_eq_u32_e64 s2, 7, v146
	v_cndmask_b32_e64 v1, v1, v4, s6
	v_cndmask_b32_e64 v2, v2, v8, s6
	v_cmp_eq_u32_e64 s3, 7, v141
	v_cndmask_b32_e32 v4, v21, v8, vcc_lo
	v_cndmask_b32_e64 v18, v18, v13, s4
	v_cndmask_b32_e64 v20, v20, v13, s5
	;; [unrolled: 1-line block ×8, first 2 shown]
	s_mov_b32 s2, exec_lo
	v_perm_b32 v4, v2, v1, 0x5040100
	v_perm_b32 v3, v3, v5, 0x5040100
	;; [unrolled: 1-line block ×4, first 2 shown]
	ds_store_b128 v9, v[1:4]
	s_waitcnt lgkmcnt(0)
	s_barrier
	buffer_gl0_inv
	v_cmpx_gt_u32_e32 32, v0
	s_cbranch_execz .LBB643_2
; %bb.111:
	s_load_b64 s[0:1], s[0:1], 0x68
	s_lshl_b32 s4, s34, 7
	v_or_b32_e32 v2, s29, v138
	s_mul_i32 s2, s4, s30
	v_lshlrev_b32_e32 v0, 10, v0
	s_mul_i32 s2, s2, s7
	v_lshlrev_b32_e32 v1, 4, v139
	s_ashr_i32 s3, s2, 31
	v_mul_lo_u32 v20, v2, s4
	s_lshl_b64 s[2:3], s[2:3], 1
	v_lshlrev_b32_e32 v3, 6, v138
	v_and_b32_e32 v0, 0x3800, v0
	s_delay_alu instid0(VALU_DEP_1) | instskip(NEXT) | instid1(VALU_DEP_4)
	v_or3_b32 v16, v0, v1, v3
	v_ashrrev_i32_e32 v21, 31, v20
	ds_load_b128 v[0:3], v16
	ds_load_b128 v[4:7], v16 offset:128
	s_waitcnt lgkmcnt(0)
	s_add_u32 s2, s0, s2
	s_addc_u32 s3, s1, s3
	s_lshl_b32 s0, s14, 7
	ds_load_b128 v[8:11], v16 offset:256
	ds_load_b128 v[12:15], v16 offset:384
	;; [unrolled: 1-line block ×3, first 2 shown]
	s_ashr_i32 s1, s0, 31
	s_delay_alu instid0(SALU_CYCLE_1) | instskip(NEXT) | instid1(SALU_CYCLE_1)
	s_lshl_b64 s[0:1], s[0:1], 1
	s_add_u32 s0, s2, s0
	s_addc_u32 s1, s3, s1
	s_lshl_b32 s2, s34, 8
	v_add_co_u32 v30, s0, s0, v137
	v_add_nc_u32_e32 v22, s2, v20
	v_lshlrev_b64 v[20:21], 1, v[20:21]
	v_add_co_ci_u32_e64 v31, null, s1, 0, s0
	s_delay_alu instid0(VALU_DEP_3) | instskip(SKIP_1) | instid1(VALU_DEP_4)
	v_add_nc_u32_e32 v24, s2, v22
	v_ashrrev_i32_e32 v23, 31, v22
	v_add_co_u32 v20, vcc_lo, v30, v20
	s_delay_alu instid0(VALU_DEP_4) | instskip(NEXT) | instid1(VALU_DEP_4)
	v_add_co_ci_u32_e32 v21, vcc_lo, v31, v21, vcc_lo
	v_add_nc_u32_e32 v26, s2, v24
	v_ashrrev_i32_e32 v25, 31, v24
	v_lshlrev_b64 v[22:23], 1, v[22:23]
	s_delay_alu instid0(VALU_DEP_3) | instskip(SKIP_1) | instid1(VALU_DEP_4)
	v_add_nc_u32_e32 v28, s2, v26
	v_ashrrev_i32_e32 v27, 31, v26
	v_lshlrev_b64 v[24:25], 1, v[24:25]
	s_delay_alu instid0(VALU_DEP_4) | instskip(NEXT) | instid1(VALU_DEP_4)
	v_add_co_u32 v22, vcc_lo, v30, v22
	v_ashrrev_i32_e32 v29, 31, v28
	s_delay_alu instid0(VALU_DEP_4) | instskip(SKIP_2) | instid1(VALU_DEP_4)
	v_lshlrev_b64 v[26:27], 1, v[26:27]
	v_add_co_ci_u32_e32 v23, vcc_lo, v31, v23, vcc_lo
	v_add_co_u32 v24, vcc_lo, v30, v24
	v_lshlrev_b64 v[28:29], 1, v[28:29]
	v_add_co_ci_u32_e32 v25, vcc_lo, v31, v25, vcc_lo
	v_add_co_u32 v26, vcc_lo, v30, v26
	v_add_co_ci_u32_e32 v27, vcc_lo, v31, v27, vcc_lo
	s_delay_alu instid0(VALU_DEP_4)
	v_add_co_u32 v28, vcc_lo, v30, v28
	v_add_co_ci_u32_e32 v29, vcc_lo, v31, v29, vcc_lo
	s_clause 0x1
	global_store_b128 v[20:21], v[0:3], off
	global_store_b128 v[22:23], v[4:7], off
	s_waitcnt lgkmcnt(2)
	global_store_b128 v[24:25], v[8:11], off
	s_waitcnt lgkmcnt(1)
	;; [unrolled: 2-line block ×3, first 2 shown]
	global_store_b128 v[28:29], v[16:19], off
	s_nop 0
	s_sendmsg sendmsg(MSG_DEALLOC_VGPRS)
	s_endpgm
	.section	.rodata,"a",@progbits
	.p2align	6, 0x0
	.amdhsa_kernel _Z39paged_attention_ll4mi_QKV_mfma16_kernelI14__hip_bfloat16S0_LN4vllm18Fp8KVCacheDataTypeE0ES0_Li16ELi128ELi256ELb1ELi10EL8MFMAType0EEvPKT_PKT0_S9_ifPKiSB_SB_iPKfiiiPfSE_PS4_PT2_iSD_SD_
		.amdhsa_group_segment_fixed_size 17472
		.amdhsa_private_segment_fixed_size 0
		.amdhsa_kernarg_size 400
		.amdhsa_user_sgpr_count 13
		.amdhsa_user_sgpr_dispatch_ptr 0
		.amdhsa_user_sgpr_queue_ptr 0
		.amdhsa_user_sgpr_kernarg_segment_ptr 1
		.amdhsa_user_sgpr_dispatch_id 0
		.amdhsa_user_sgpr_private_segment_size 0
		.amdhsa_wavefront_size32 1
		.amdhsa_uses_dynamic_stack 0
		.amdhsa_enable_private_segment 0
		.amdhsa_system_sgpr_workgroup_id_x 1
		.amdhsa_system_sgpr_workgroup_id_y 1
		.amdhsa_system_sgpr_workgroup_id_z 1
		.amdhsa_system_sgpr_workgroup_info 0
		.amdhsa_system_vgpr_workitem_id 0
		.amdhsa_next_free_vgpr 218
		.amdhsa_next_free_sgpr 50
		.amdhsa_reserve_vcc 1
		.amdhsa_float_round_mode_32 0
		.amdhsa_float_round_mode_16_64 0
		.amdhsa_float_denorm_mode_32 3
		.amdhsa_float_denorm_mode_16_64 3
		.amdhsa_dx10_clamp 1
		.amdhsa_ieee_mode 1
		.amdhsa_fp16_overflow 0
		.amdhsa_workgroup_processor_mode 1
		.amdhsa_memory_ordered 1
		.amdhsa_forward_progress 0
		.amdhsa_shared_vgpr_count 0
		.amdhsa_exception_fp_ieee_invalid_op 0
		.amdhsa_exception_fp_denorm_src 0
		.amdhsa_exception_fp_ieee_div_zero 0
		.amdhsa_exception_fp_ieee_overflow 0
		.amdhsa_exception_fp_ieee_underflow 0
		.amdhsa_exception_fp_ieee_inexact 0
		.amdhsa_exception_int_div_zero 0
	.end_amdhsa_kernel
	.section	.text._Z39paged_attention_ll4mi_QKV_mfma16_kernelI14__hip_bfloat16S0_LN4vllm18Fp8KVCacheDataTypeE0ES0_Li16ELi128ELi256ELb1ELi10EL8MFMAType0EEvPKT_PKT0_S9_ifPKiSB_SB_iPKfiiiPfSE_PS4_PT2_iSD_SD_,"axG",@progbits,_Z39paged_attention_ll4mi_QKV_mfma16_kernelI14__hip_bfloat16S0_LN4vllm18Fp8KVCacheDataTypeE0ES0_Li16ELi128ELi256ELb1ELi10EL8MFMAType0EEvPKT_PKT0_S9_ifPKiSB_SB_iPKfiiiPfSE_PS4_PT2_iSD_SD_,comdat
.Lfunc_end643:
	.size	_Z39paged_attention_ll4mi_QKV_mfma16_kernelI14__hip_bfloat16S0_LN4vllm18Fp8KVCacheDataTypeE0ES0_Li16ELi128ELi256ELb1ELi10EL8MFMAType0EEvPKT_PKT0_S9_ifPKiSB_SB_iPKfiiiPfSE_PS4_PT2_iSD_SD_, .Lfunc_end643-_Z39paged_attention_ll4mi_QKV_mfma16_kernelI14__hip_bfloat16S0_LN4vllm18Fp8KVCacheDataTypeE0ES0_Li16ELi128ELi256ELb1ELi10EL8MFMAType0EEvPKT_PKT0_S9_ifPKiSB_SB_iPKfiiiPfSE_PS4_PT2_iSD_SD_
                                        ; -- End function
	.section	.AMDGPU.csdata,"",@progbits
; Kernel info:
; codeLenInByte = 10296
; NumSgprs: 52
; NumVgprs: 218
; ScratchSize: 0
; MemoryBound: 0
; FloatMode: 240
; IeeeMode: 1
; LDSByteSize: 17472 bytes/workgroup (compile time only)
; SGPRBlocks: 6
; VGPRBlocks: 27
; NumSGPRsForWavesPerEU: 52
; NumVGPRsForWavesPerEU: 218
; Occupancy: 6
; WaveLimiterHint : 1
; COMPUTE_PGM_RSRC2:SCRATCH_EN: 0
; COMPUTE_PGM_RSRC2:USER_SGPR: 13
; COMPUTE_PGM_RSRC2:TRAP_HANDLER: 0
; COMPUTE_PGM_RSRC2:TGID_X_EN: 1
; COMPUTE_PGM_RSRC2:TGID_Y_EN: 1
; COMPUTE_PGM_RSRC2:TGID_Z_EN: 1
; COMPUTE_PGM_RSRC2:TIDIG_COMP_CNT: 0
	.section	.text._Z39paged_attention_ll4mi_QKV_mfma16_kernelI14__hip_bfloat16S0_LN4vllm18Fp8KVCacheDataTypeE0ES0_Li16ELi128ELi256ELb1ELi11EL8MFMAType0EEvPKT_PKT0_S9_ifPKiSB_SB_iPKfiiiPfSE_PS4_PT2_iSD_SD_,"axG",@progbits,_Z39paged_attention_ll4mi_QKV_mfma16_kernelI14__hip_bfloat16S0_LN4vllm18Fp8KVCacheDataTypeE0ES0_Li16ELi128ELi256ELb1ELi11EL8MFMAType0EEvPKT_PKT0_S9_ifPKiSB_SB_iPKfiiiPfSE_PS4_PT2_iSD_SD_,comdat
	.protected	_Z39paged_attention_ll4mi_QKV_mfma16_kernelI14__hip_bfloat16S0_LN4vllm18Fp8KVCacheDataTypeE0ES0_Li16ELi128ELi256ELb1ELi11EL8MFMAType0EEvPKT_PKT0_S9_ifPKiSB_SB_iPKfiiiPfSE_PS4_PT2_iSD_SD_ ; -- Begin function _Z39paged_attention_ll4mi_QKV_mfma16_kernelI14__hip_bfloat16S0_LN4vllm18Fp8KVCacheDataTypeE0ES0_Li16ELi128ELi256ELb1ELi11EL8MFMAType0EEvPKT_PKT0_S9_ifPKiSB_SB_iPKfiiiPfSE_PS4_PT2_iSD_SD_
	.globl	_Z39paged_attention_ll4mi_QKV_mfma16_kernelI14__hip_bfloat16S0_LN4vllm18Fp8KVCacheDataTypeE0ES0_Li16ELi128ELi256ELb1ELi11EL8MFMAType0EEvPKT_PKT0_S9_ifPKiSB_SB_iPKfiiiPfSE_PS4_PT2_iSD_SD_
	.p2align	8
	.type	_Z39paged_attention_ll4mi_QKV_mfma16_kernelI14__hip_bfloat16S0_LN4vllm18Fp8KVCacheDataTypeE0ES0_Li16ELi128ELi256ELb1ELi11EL8MFMAType0EEvPKT_PKT0_S9_ifPKiSB_SB_iPKfiiiPfSE_PS4_PT2_iSD_SD_,@function
_Z39paged_attention_ll4mi_QKV_mfma16_kernelI14__hip_bfloat16S0_LN4vllm18Fp8KVCacheDataTypeE0ES0_Li16ELi128ELi256ELb1ELi11EL8MFMAType0EEvPKT_PKT0_S9_ifPKiSB_SB_iPKfiiiPfSE_PS4_PT2_iSD_SD_: ; @_Z39paged_attention_ll4mi_QKV_mfma16_kernelI14__hip_bfloat16S0_LN4vllm18Fp8KVCacheDataTypeE0ES0_Li16ELi128ELi256ELb1ELi11EL8MFMAType0EEvPKT_PKT0_S9_ifPKiSB_SB_iPKfiiiPfSE_PS4_PT2_iSD_SD_
; %bb.0:
	s_load_b64 s[4:5], s[0:1], 0x30
	s_mov_b32 s30, s13
	s_waitcnt lgkmcnt(0)
	s_cmp_lg_u64 s[4:5], 0
	s_cselect_b32 s8, -1, 0
	s_ashr_i32 s31, s13, 31
	s_cmp_eq_u64 s[4:5], 0
	s_cbranch_scc1 .LBB644_3
; %bb.1:
	s_lshl_b64 s[2:3], s[30:31], 2
	s_delay_alu instid0(SALU_CYCLE_1) | instskip(SKIP_4) | instid1(SALU_CYCLE_1)
	s_add_u32 s2, s4, s2
	s_addc_u32 s3, s5, s3
	s_load_b64 s[2:3], s[2:3], 0x0
	s_waitcnt lgkmcnt(0)
	s_sub_i32 s2, s3, s2
	s_cmp_eq_u32 s2, 1
	s_cselect_b32 s2, -1, 0
	s_delay_alu instid0(SALU_CYCLE_1)
	s_and_not1_b32 vcc_lo, exec_lo, s2
	s_cbranch_vccz .LBB644_4
.LBB644_2:
	s_nop 0
	s_sendmsg sendmsg(MSG_DEALLOC_VGPRS)
	s_endpgm
.LBB644_3:
.LBB644_4:
	s_load_b64 s[2:3], s[0:1], 0x28
	s_lshl_b64 s[6:7], s[30:31], 2
	s_waitcnt lgkmcnt(0)
	s_add_u32 s2, s2, s6
	s_addc_u32 s3, s3, s7
	s_lshl_b32 s29, s14, 8
	s_load_b32 s28, s[2:3], 0x0
	s_waitcnt lgkmcnt(0)
	s_cmp_ge_i32 s29, s28
	s_cbranch_scc1 .LBB644_2
; %bb.5:
	s_clause 0x1
	s_load_b128 s[20:23], s[0:1], 0x8
	s_load_b64 s[2:3], s[0:1], 0x20
	s_and_not1_b32 vcc_lo, exec_lo, s8
	s_cbranch_vccnz .LBB644_7
; %bb.6:
	s_add_u32 s4, s4, s6
	s_addc_u32 s5, s5, s7
	s_load_b32 s5, s[4:5], 0x0
	s_branch .LBB644_8
.LBB644_7:
	s_mov_b32 s5, s30
.LBB644_8:
	s_load_b128 s[16:19], s[0:1], 0x48
	v_and_b32_e32 v140, 15, v0
	v_lshrrev_b32_e32 v141, 5, v0
	v_bfe_u32 v138, v0, 4, 1
	v_and_b32_e32 v142, 31, v0
	v_and_b32_e32 v139, 1, v0
	v_lshlrev_b32_e32 v2, 3, v140
	s_mul_i32 s31, s15, 11
	v_lshl_or_b32 v1, v141, 1, v138
	s_mov_b32 s4, exec_lo
	s_delay_alu instid0(VALU_DEP_2) | instskip(NEXT) | instid1(VALU_DEP_2)
	v_lshlrev_b32_e32 v137, 1, v2
	v_cmpx_gt_u32_e32 11, v1
	s_cbranch_execz .LBB644_10
; %bb.9:
	s_load_b64 s[6:7], s[0:1], 0x0
	v_add_lshl_u32 v2, v1, s31, 7
	s_waitcnt lgkmcnt(0)
	s_mul_hi_i32 s9, s5, s16
	s_mul_i32 s8, s5, s16
	v_lshlrev_b32_e32 v6, 10, v140
	s_lshl_b64 s[8:9], s[8:9], 1
	v_ashrrev_i32_e32 v3, 31, v2
	v_lshlrev_b32_e32 v1, 6, v1
	v_lshlrev_b32_e32 v7, 10, v139
	v_and_b32_e32 v6, 0x3800, v6
	s_delay_alu instid0(VALU_DEP_4) | instskip(NEXT) | instid1(VALU_DEP_2)
	v_lshlrev_b64 v[2:3], 1, v[2:3]
	v_or3_b32 v1, v6, v7, v1
	s_add_u32 s5, s6, s8
	s_addc_u32 s6, s7, s9
	s_delay_alu instid0(VALU_DEP_2) | instskip(NEXT) | instid1(VALU_DEP_3)
	v_add_co_u32 v2, vcc_lo, s5, v2
	v_add_co_ci_u32_e32 v3, vcc_lo, s6, v3, vcc_lo
	s_delay_alu instid0(VALU_DEP_2) | instskip(NEXT) | instid1(VALU_DEP_2)
	v_add_co_u32 v2, vcc_lo, v2, v137
	v_add_co_ci_u32_e32 v3, vcc_lo, 0, v3, vcc_lo
	global_load_b128 v[2:5], v[2:3], off
	s_waitcnt vmcnt(0)
	ds_store_b128 v1, v[2:5]
.LBB644_10:
	s_or_b32 exec_lo, exec_lo, s4
	v_and_b32_e32 v1, 0xef, v0
	s_waitcnt lgkmcnt(0)
	s_add_i32 s5, s28, 15
	s_clause 0x1
	s_load_b32 s4, s[0:1], 0x38
	s_load_b32 s33, s[0:1], 0x1c
	s_ashr_i32 s6, s5, 31
	v_add_nc_u32_e32 v1, s29, v1
	s_lshr_b32 s6, s6, 28
	s_waitcnt lgkmcnt(0)
	s_add_i32 s5, s5, s6
	s_barrier
	v_ashrrev_i32_e32 v2, 31, v1
	v_cmp_gt_i32_e32 vcc_lo, s28, v1
	s_ashr_i32 s16, s5, 4
	buffer_gl0_inv
	s_add_i32 s16, s16, -1
	v_lshrrev_b32_e32 v3, 28, v2
	v_or_b32_e32 v2, 16, v1
	v_add_nc_u32_e32 v105, -11, v140
	v_lshlrev_b32_e32 v106, 5, v140
	s_delay_alu instid0(VALU_DEP_4) | instskip(NEXT) | instid1(VALU_DEP_4)
	v_add_nc_u32_e32 v4, v1, v3
	v_add_nc_u32_e32 v3, v2, v3
	s_mul_i32 s4, s30, s4
	s_delay_alu instid0(VALU_DEP_3) | instskip(SKIP_4) | instid1(SALU_CYCLE_1)
	v_lshl_or_b32 v125, v141, 9, v106
	s_ashr_i32 s5, s4, 31
	v_ashrrev_i32_e32 v4, 4, v4
	v_ashrrev_i32_e32 v3, 4, v3
	s_lshl_b64 s[4:5], s[4:5], 2
	s_add_u32 s34, s2, s4
	s_delay_alu instid0(VALU_DEP_2) | instskip(SKIP_3) | instid1(VALU_DEP_2)
	v_cndmask_b32_e32 v1, s16, v4, vcc_lo
	v_cmp_gt_i32_e32 vcc_lo, s28, v2
	s_addc_u32 s35, s3, s5
	s_mul_i32 s2, s15, s18
	v_ashrrev_i32_e32 v2, 31, v1
	v_cndmask_b32_e32 v3, s16, v3, vcc_lo
	s_ashr_i32 s3, s2, 31
	s_delay_alu instid0(SALU_CYCLE_1) | instskip(NEXT) | instid1(VALU_DEP_2)
	s_lshl_b64 s[2:3], s[2:3], 1
	v_lshlrev_b64 v[1:2], 2, v[1:2]
	s_delay_alu instid0(VALU_DEP_2) | instskip(SKIP_3) | instid1(VALU_DEP_1)
	v_ashrrev_i32_e32 v4, 31, v3
	s_add_u32 s24, s20, s2
	s_addc_u32 s25, s21, s3
	s_lshl_b32 s4, s14, 4
	v_lshlrev_b64 v[3:4], 2, v[3:4]
	v_add_co_u32 v1, vcc_lo, s34, v1
	v_add_co_ci_u32_e32 v2, vcc_lo, s35, v2, vcc_lo
	s_ashr_i32 s5, s4, 31
	s_delay_alu instid0(VALU_DEP_3) | instskip(NEXT) | instid1(VALU_DEP_4)
	v_add_co_u32 v3, vcc_lo, s34, v3
	v_add_co_ci_u32_e32 v4, vcc_lo, s35, v4, vcc_lo
	s_lshl_b64 s[4:5], s[4:5], 2
	s_clause 0x1
	global_load_b32 v5, v[1:2], off
	global_load_b32 v6, v[3:4], off
	s_add_u32 s4, s34, s4
	s_addc_u32 s5, s35, s5
	s_or_b32 s6, s29, 16
	v_lshlrev_b32_e32 v3, 4, v0
	s_ashr_i32 s7, s6, 4
	s_cmp_lt_i32 s6, s28
	s_cselect_b32 s6, s7, s16
	s_delay_alu instid0(SALU_CYCLE_1) | instskip(NEXT) | instid1(SALU_CYCLE_1)
	s_ashr_i32 s7, s6, 31
	s_lshl_b64 s[6:7], s[6:7], 2
	s_delay_alu instid0(SALU_CYCLE_1) | instskip(SKIP_2) | instid1(SALU_CYCLE_1)
	s_add_u32 s6, s34, s6
	s_addc_u32 s7, s35, s7
	s_or_b32 s8, s29, 32
	s_ashr_i32 s9, s8, 4
	s_cmp_lt_i32 s8, s28
	s_cselect_b32 s8, s9, s16
	s_delay_alu instid0(SALU_CYCLE_1) | instskip(NEXT) | instid1(SALU_CYCLE_1)
	s_ashr_i32 s9, s8, 31
	s_lshl_b64 s[8:9], s[8:9], 2
	s_delay_alu instid0(SALU_CYCLE_1) | instskip(SKIP_2) | instid1(SALU_CYCLE_1)
	s_add_u32 s8, s34, s8
	s_addc_u32 s9, s35, s9
	s_or_b32 s10, s29, 48
	;; [unrolled: 10-line block ×4, first 2 shown]
	s_ashr_i32 s13, s12, 4
	s_cmp_lt_i32 s12, s28
	s_cselect_b32 s12, s13, s16
	s_delay_alu instid0(SALU_CYCLE_1) | instskip(NEXT) | instid1(SALU_CYCLE_1)
	s_ashr_i32 s13, s12, 31
	s_lshl_b64 s[12:13], s[12:13], 2
	s_delay_alu instid0(SALU_CYCLE_1)
	s_add_u32 s20, s34, s12
	s_addc_u32 s21, s35, s13
	s_clause 0x5
	s_load_b32 s36, s[4:5], 0x0
	s_load_b32 s27, s[6:7], 0x0
	;; [unrolled: 1-line block ×6, first 2 shown]
	s_waitcnt vmcnt(1)
	v_mad_i64_i32 v[1:2], null, v5, s17, 0
	v_and_b32_e32 v5, 0xf0, v3
	s_waitcnt vmcnt(0)
	v_mad_i64_i32 v[3:4], null, v6, s17, 0
	s_delay_alu instid0(VALU_DEP_2) | instskip(NEXT) | instid1(VALU_DEP_4)
	v_add_co_u32 v5, s4, s24, v5
	v_lshlrev_b64 v[1:2], 1, v[1:2]
	v_add_co_ci_u32_e64 v6, null, s25, 0, s4
	s_delay_alu instid0(VALU_DEP_4) | instskip(SKIP_1) | instid1(VALU_DEP_3)
	v_lshlrev_b64 v[3:4], 1, v[3:4]
	s_or_b32 s4, s29, 0x60
	v_add_co_u32 v121, vcc_lo, v5, v1
	s_delay_alu instid0(VALU_DEP_3) | instskip(NEXT) | instid1(VALU_DEP_3)
	v_add_co_ci_u32_e32 v122, vcc_lo, v6, v2, vcc_lo
	v_add_co_u32 v123, vcc_lo, v5, v3
	s_delay_alu instid0(VALU_DEP_4)
	v_add_co_ci_u32_e32 v124, vcc_lo, v6, v4, vcc_lo
	s_clause 0x19
	global_load_b128 v[89:92], v[121:122], off
	global_load_b128 v[93:96], v[121:122], off offset:256
	global_load_b128 v[97:100], v[123:124], off
	global_load_b128 v[101:104], v[123:124], off offset:256
	global_load_b128 v[81:84], v[121:122], off offset:512
	;; [unrolled: 1-line block ×23, first 2 shown]
	s_ashr_i32 s5, s4, 4
	s_cmp_lt_i32 s4, s28
	v_cmp_gt_u32_e32 vcc_lo, 11, v140
	s_cselect_b32 s4, s5, s16
	s_delay_alu instid0(SALU_CYCLE_1) | instskip(NEXT) | instid1(SALU_CYCLE_1)
	s_ashr_i32 s5, s4, 31
	s_lshl_b64 s[4:5], s[4:5], 2
	v_cndmask_b32_e32 v105, v105, v140, vcc_lo
	s_add_u32 s18, s34, s4
	s_addc_u32 s19, s35, s5
	s_or_b32 s4, s29, 0x70
	s_delay_alu instid0(SALU_CYCLE_1)
	s_ashr_i32 s5, s4, 4
	s_cmp_lt_i32 s4, s28
	v_lshlrev_b32_e32 v215, 6, v105
	s_cselect_b32 s6, s5, s16
	ds_load_b128 v[105:108], v215
	ds_load_b128 v[109:112], v215 offset:1024
	s_ashr_i32 s7, s6, 31
	ds_load_b128 v[113:116], v215 offset:2048
	ds_load_b128 v[117:120], v215 offset:3072
	;; [unrolled: 1-line block ×8, first 2 shown]
	s_clause 0x1
	global_load_b128 v[167:170], v[123:124], off offset:3072
	global_load_b128 v[171:174], v[123:124], off offset:3328
	s_lshl_b64 s[6:7], s[6:7], 2
	s_mov_b32 s4, 0
	s_add_u32 s20, s34, s6
	s_addc_u32 s21, s35, s7
	s_clause 0x1
	s_load_b32 s42, s[18:19], 0x0
	s_load_b32 s43, s[20:21], 0x0
	s_clause 0x3
	global_load_b128 v[175:178], v[121:122], off offset:3584
	global_load_b128 v[179:182], v[121:122], off offset:3840
	;; [unrolled: 1-line block ×4, first 2 shown]
	s_or_b32 s7, s29, 0x80
	s_mov_b32 s5, s4
	s_ashr_i32 s8, s7, 4
	s_cmp_lt_i32 s7, s28
	s_mov_b32 s6, s4
	s_cselect_b32 s10, s8, s16
	s_mov_b32 s7, s4
	s_ashr_i32 s11, s10, 31
	s_mov_b32 s8, s4
	s_lshl_b64 s[24:25], s[10:11], 2
	s_mov_b32 s9, s4
	s_add_u32 s24, s34, s24
	s_addc_u32 s25, s35, s25
	s_or_b32 s11, s29, 0x90
	s_mov_b32 s10, s4
	s_ashr_i32 s37, s11, 4
	s_cmp_lt_i32 s11, s28
	s_mov_b32 s11, s4
	s_cselect_b32 s38, s37, s16
	v_mov_b32_e32 v136, s11
	s_ashr_i32 s39, s38, 31
	v_dual_mov_b32 v135, s10 :: v_dual_mov_b32 v134, s9
	v_dual_mov_b32 v133, s8 :: v_dual_mov_b32 v132, s7
	v_dual_mov_b32 v131, s6 :: v_dual_mov_b32 v130, s5
	v_mov_b32_e32 v129, s4
	s_lshl_b64 s[4:5], s[38:39], 2
	s_waitcnt lgkmcnt(0)
	s_mul_hi_i32 s7, s27, s17
	s_add_u32 s38, s34, s4
	s_addc_u32 s39, s35, s5
	s_or_b32 s4, s29, 0xa0
	s_load_b32 s39, s[38:39], 0x0
	s_ashr_i32 s5, s4, 4
	s_cmp_lt_i32 s4, s28
	s_cselect_b32 s4, s5, s16
	s_delay_alu instid0(SALU_CYCLE_1) | instskip(NEXT) | instid1(SALU_CYCLE_1)
	s_ashr_i32 s5, s4, 31
	s_lshl_b64 s[4:5], s[4:5], 2
	s_delay_alu instid0(SALU_CYCLE_1)
	s_add_u32 s40, s34, s4
	s_addc_u32 s41, s35, s5
	s_or_b32 s4, s29, 0xb0
	s_mul_hi_i32 s5, s36, s17
	s_ashr_i32 s6, s4, 4
	s_cmp_lt_i32 s4, s28
	s_mul_i32 s4, s36, s17
	s_cselect_b32 s8, s6, s16
	s_mul_i32 s6, s27, s17
	s_ashr_i32 s9, s8, 31
	s_load_b32 s38, s[40:41], 0x0
	s_lshl_b64 s[10:11], s[8:9], 2
	s_mul_hi_i32 s9, s26, s17
	s_add_u32 s36, s34, s10
	s_addc_u32 s37, s35, s11
	s_or_b32 s10, s29, 0xc0
	s_mul_i32 s8, s26, s17
	s_ashr_i32 s26, s10, 4
	s_cmp_lt_i32 s10, s28
	s_mul_hi_i32 s11, s13, s17
	s_cselect_b32 s26, s26, s16
	s_mul_i32 s10, s13, s17
	s_ashr_i32 s27, s26, 31
	s_mul_hi_i32 s13, s12, s17
	s_lshl_b64 s[26:27], s[26:27], 2
	s_mul_i32 s12, s12, s17
	s_add_u32 s20, s34, s26
	s_addc_u32 s21, s35, s27
	s_or_b32 s18, s29, 0xd0
	s_load_b32 s26, s[24:25], 0x0
	s_ashr_i32 s19, s18, 4
	s_cmp_lt_i32 s18, s28
	s_mul_i32 s18, s15, s17
	s_cselect_b32 s24, s19, s16
	s_mul_hi_i32 s19, s15, s17
	s_ashr_i32 s25, s24, 31
	s_waitcnt lgkmcnt(0)
	s_mul_hi_i32 s41, s39, s17
	s_lshl_b64 s[24:25], s[24:25], 2
	s_delay_alu instid0(SALU_CYCLE_1)
	s_add_u32 s24, s34, s24
	s_addc_u32 s25, s35, s25
	s_or_b32 s40, s29, 0xe0
	s_clause 0x2
	s_load_b32 s37, s[36:37], 0x0
	s_load_b32 s36, s[20:21], 0x0
	;; [unrolled: 1-line block ×3, first 2 shown]
	s_ashr_i32 s44, s40, 4
	s_cmp_lt_i32 s40, s28
	s_mul_hi_i32 s21, s42, s17
	s_mul_i32 s20, s42, s17
	s_cselect_b32 s42, s44, s16
	s_mul_hi_i32 s25, s43, s17
	s_mul_i32 s24, s43, s17
	s_ashr_i32 s43, s42, 31
	s_mul_hi_i32 s27, s26, s17
	s_lshl_b64 s[42:43], s[42:43], 2
	s_mul_i32 s26, s26, s17
	s_add_u32 s42, s34, s42
	s_addc_u32 s43, s35, s43
	s_or_b32 s44, s29, 0xf0
	s_mul_i32 s40, s39, s17
	s_ashr_i32 s46, s44, 4
	s_cmp_lt_i32 s44, s28
	s_mul_hi_i32 s39, s38, s17
	s_cselect_b32 s46, s46, s16
	s_waitcnt lgkmcnt(0)
	s_mul_hi_i32 s49, s15, s17
	s_ashr_i32 s47, s46, 31
	s_mul_i32 s48, s15, s17
	s_lshl_b64 s[46:47], s[46:47], 2
	s_mul_i32 s38, s38, s17
	s_add_u32 s34, s34, s46
	s_addc_u32 s35, s35, s47
	s_add_u32 s15, s22, s2
	s_addc_u32 s16, s23, s3
	v_add_co_u32 v216, s15, s15, v125
	s_delay_alu instid0(VALU_DEP_1) | instskip(SKIP_2) | instid1(VALU_DEP_2)
	v_add_co_ci_u32_e64 v217, null, s16, 0, s15
	s_lshl_b64 s[2:3], s[4:5], 1
	s_lshl_b64 s[4:5], s[6:7], 1
	v_add_co_u32 v125, vcc_lo, v216, s2
	s_delay_alu instid0(VALU_DEP_2)
	v_add_co_ci_u32_e32 v126, vcc_lo, s3, v217, vcc_lo
	v_add_co_u32 v199, vcc_lo, v216, s4
	s_lshl_b64 s[6:7], s[8:9], 1
	v_add_co_ci_u32_e32 v200, vcc_lo, s5, v217, vcc_lo
	s_lshl_b64 s[8:9], s[10:11], 1
	s_lshl_b64 s[10:11], s[12:13], 1
	;; [unrolled: 1-line block ×8, first 2 shown]
	s_mul_hi_i32 s45, s37, s17
	s_mul_i32 s44, s37, s17
	s_mul_hi_i32 s37, s36, s17
	s_lshl_b64 s[38:39], s[44:45], 1
	s_mul_i32 s36, s36, s17
	s_clause 0x1
	s_load_b32 s15, s[42:43], 0x0
	s_load_b32 s16, s[34:35], 0x0
	s_lshl_b64 s[36:37], s[36:37], 1
	s_lshl_b64 s[40:41], s[48:49], 1
	s_waitcnt lgkmcnt(0)
	s_mul_hi_i32 s3, s15, s17
	s_mul_i32 s2, s15, s17
	s_mul_hi_i32 s5, s16, s17
	s_lshl_b64 s[2:3], s[2:3], 1
	s_mul_i32 s4, s16, s17
	s_waitcnt vmcnt(30)
	v_wmma_f32_16x16x16_bf16 v[191:198], v[89:96], v[105:112], v[129:136]
	v_add_co_u32 v89, vcc_lo, v216, s6
	v_add_co_ci_u32_e32 v90, vcc_lo, s7, v217, vcc_lo
	v_add_co_u32 v91, vcc_lo, v216, s8
	v_add_co_ci_u32_e32 v92, vcc_lo, s9, v217, vcc_lo
	v_add_co_u32 v93, vcc_lo, v216, s10
	v_add_co_ci_u32_e32 v94, vcc_lo, s11, v217, vcc_lo
	v_add_co_u32 v201, vcc_lo, v216, s12
	v_add_co_ci_u32_e32 v202, vcc_lo, s13, v217, vcc_lo
	v_add_co_u32 v203, vcc_lo, v216, s18
	v_add_co_ci_u32_e32 v204, vcc_lo, s19, v217, vcc_lo
	v_add_co_u32 v205, vcc_lo, v216, s20
	s_waitcnt vmcnt(28)
	v_wmma_f32_16x16x16_bf16 v[129:136], v[97:104], v[105:112], v[129:136]
	v_add_co_ci_u32_e32 v206, vcc_lo, s21, v217, vcc_lo
	v_add_co_u32 v207, vcc_lo, v216, s22
	v_add_co_ci_u32_e32 v208, vcc_lo, s23, v217, vcc_lo
	v_add_co_u32 v209, vcc_lo, v216, s24
	s_waitcnt vmcnt(26)
	v_wmma_f32_16x16x16_bf16 v[191:198], v[81:88], v[113:120], v[191:198]
	s_waitcnt vmcnt(24)
	v_wmma_f32_16x16x16_bf16 v[129:136], v[73:80], v[113:120], v[129:136]
	v_add_co_ci_u32_e32 v210, vcc_lo, s25, v217, vcc_lo
	v_add_co_u32 v211, vcc_lo, v216, s26
	v_add_co_ci_u32_e32 v212, vcc_lo, s27, v217, vcc_lo
	v_add_co_u32 v213, vcc_lo, v216, s38
	s_waitcnt vmcnt(22)
	v_wmma_f32_16x16x16_bf16 v[191:198], v[65:72], v[143:150], v[191:198]
	s_waitcnt vmcnt(20)
	v_wmma_f32_16x16x16_bf16 v[129:136], v[57:64], v[143:150], v[129:136]
	v_add_co_ci_u32_e32 v214, vcc_lo, s39, v217, vcc_lo
	v_add_co_u32 v143, vcc_lo, v216, s36
	s_waitcnt vmcnt(18)
	v_wmma_f32_16x16x16_bf16 v[191:198], v[49:56], v[151:158], v[191:198]
	s_waitcnt vmcnt(16)
	v_wmma_f32_16x16x16_bf16 v[129:136], v[41:48], v[151:158], v[129:136]
	v_add_co_ci_u32_e32 v144, vcc_lo, s37, v217, vcc_lo
	s_clause 0x15
	global_load_b128 v[121:124], v[125:126], off
	global_load_b128 v[125:128], v[125:126], off offset:16
	global_load_b128 v[113:116], v[199:200], off
	global_load_b128 v[117:120], v[199:200], off offset:16
	;; [unrolled: 2-line block ×11, first 2 shown]
	s_waitcnt vmcnt(36)
	v_wmma_f32_16x16x16_bf16 v[191:198], v[17:24], v[159:166], v[191:198]
	s_clause 0x1
	global_load_b128 v[17:20], v[213:214], off
	global_load_b128 v[21:24], v[213:214], off offset:16
	s_waitcnt vmcnt(36)
	v_wmma_f32_16x16x16_bf16 v[129:136], v[1:8], v[159:166], v[129:136]
	s_clause 0x1
	global_load_b128 v[1:4], v[143:144], off
	global_load_b128 v[5:8], v[143:144], off offset:16
	ds_load_b128 v[143:146], v215 offset:10240
	ds_load_b128 v[147:150], v215 offset:11264
	;; [unrolled: 1-line block ×4, first 2 shown]
	v_add_co_u32 v199, vcc_lo, v216, s40
	v_add_co_ci_u32_e32 v200, vcc_lo, s41, v217, vcc_lo
	v_add_co_u32 v159, vcc_lo, v216, s2
	v_add_co_ci_u32_e32 v160, vcc_lo, s3, v217, vcc_lo
	s_lshl_b64 s[2:3], s[4:5], 1
	s_delay_alu instid0(SALU_CYCLE_1)
	v_add_co_u32 v161, vcc_lo, v216, s2
	v_add_co_ci_u32_e32 v162, vcc_lo, s3, v217, vcc_lo
	s_waitcnt vmcnt(36) lgkmcnt(2)
	v_wmma_f32_16x16x16_bf16 v[191:198], v[25:32], v[143:150], v[191:198]
	s_waitcnt vmcnt(34)
	v_wmma_f32_16x16x16_bf16 v[129:136], v[33:40], v[143:150], v[129:136]
	s_clause 0x3
	global_load_b128 v[25:28], v[199:200], off
	global_load_b128 v[29:32], v[199:200], off offset:16
	global_load_b128 v[33:36], v[159:160], off
	global_load_b128 v[37:40], v[159:160], off offset:16
	v_and_b32_e32 v143, 0xe0, v0
	v_mbcnt_lo_u32_b32 v159, -1, 0
	s_waitcnt vmcnt(36) lgkmcnt(0)
	v_wmma_f32_16x16x16_bf16 v[191:198], v[9:16], v[151:158], v[191:198]
	s_clause 0x1
	global_load_b128 v[9:12], v[161:162], off
	global_load_b128 v[13:16], v[161:162], off offset:16
	s_waitcnt vmcnt(36)
	v_wmma_f32_16x16x16_bf16 v[129:136], v[167:174], v[151:158], v[129:136]
	v_add_nc_u32_e32 v160, s29, v143
	ds_load_b128 v[143:146], v215 offset:14336
	ds_load_b128 v[147:150], v215 offset:15360
	v_xor_b32_e32 v151, 16, v159
	s_waitcnt vmcnt(0) lgkmcnt(0)
	s_barrier
	v_or_b32_e32 v152, v160, v138
	buffer_gl0_inv
	v_cmp_gt_i32_e32 vcc_lo, 32, v151
	v_or_b32_e32 v153, 2, v152
	v_or_b32_e32 v154, 4, v152
	;; [unrolled: 1-line block ×5, first 2 shown]
	v_cmp_gt_i32_e64 s2, s28, v153
	v_cmp_gt_i32_e64 s3, s28, v154
	;; [unrolled: 1-line block ×3, first 2 shown]
	v_or_b32_e32 v158, 12, v152
	v_cmp_gt_i32_e64 s5, s28, v156
	v_cmp_gt_i32_e64 s6, s28, v157
	v_wmma_f32_16x16x16_bf16 v[191:198], v[175:182], v[143:150], v[191:198]
	v_wmma_f32_16x16x16_bf16 v[129:136], v[183:190], v[143:150], v[129:136]
	v_cndmask_b32_e32 v151, v159, v151, vcc_lo
	v_cmp_gt_i32_e32 vcc_lo, s28, v152
	v_or_b32_e32 v159, 14, v152
	v_dual_mul_f32 v149, s33, v192 :: v_dual_mul_f32 v150, s33, v191
	v_dual_mul_f32 v147, s33, v194 :: v_dual_mul_f32 v148, s33, v193
	v_mul_f32_e32 v145, s33, v196
	s_delay_alu instid0(VALU_DEP_3) | instskip(NEXT) | instid1(VALU_DEP_4)
	v_cndmask_b32_e64 v149, 0xff7fffff, v149, s2
	v_cndmask_b32_e32 v150, 0xff7fffff, v150, vcc_lo
	v_mul_f32_e32 v146, s33, v195
	v_cndmask_b32_e64 v148, 0xff7fffff, v148, s3
	v_cndmask_b32_e64 v147, 0xff7fffff, v147, s4
	v_or_b32_e32 v160, 16, v152
	v_max3_f32 v149, v150, 0xff7fffff, v149
	v_or_b32_e32 v161, 18, v152
	v_dual_mul_f32 v143, s33, v198 :: v_dual_mul_f32 v144, s33, v197
	v_cndmask_b32_e64 v146, 0xff7fffff, v146, s5
	v_cndmask_b32_e64 v145, 0xff7fffff, v145, s6
	v_max3_f32 v147, v149, v148, v147
	v_cmp_gt_i32_e64 s7, s28, v158
	v_cmp_gt_i32_e64 s8, s28, v159
	v_or_b32_e32 v162, 20, v152
	v_or_b32_e32 v163, 22, v152
	v_dual_mul_f32 v174, s33, v130 :: v_dual_mul_f32 v175, s33, v129
	v_cndmask_b32_e64 v144, 0xff7fffff, v144, s7
	v_cndmask_b32_e64 v143, 0xff7fffff, v143, s8
	v_max3_f32 v145, v147, v146, v145
	v_cmp_gt_i32_e64 s9, s28, v160
	v_cmp_gt_i32_e64 s10, s28, v161
	v_or_b32_e32 v164, 24, v152
	;; [unrolled: 8-line block ×3, first 2 shown]
	v_or_b32_e32 v167, 30, v152
	v_dual_mul_f32 v170, s33, v134 :: v_dual_mul_f32 v171, s33, v133
	v_cndmask_b32_e64 v144, 0xff7fffff, v173, s11
	v_cndmask_b32_e64 v145, 0xff7fffff, v172, s12
	v_max3_f32 v143, v143, v146, v147
	v_cmp_gt_i32_e64 s13, s28, v164
	v_cmp_gt_i32_e64 s15, s28, v165
	v_dual_mul_f32 v168, s33, v136 :: v_dual_mul_f32 v169, s33, v135
	s_delay_alu instid0(VALU_DEP_4) | instskip(NEXT) | instid1(VALU_DEP_4)
	v_max3_f32 v143, v143, v144, v145
	v_cndmask_b32_e64 v146, 0xff7fffff, v171, s13
	s_delay_alu instid0(VALU_DEP_4) | instskip(SKIP_3) | instid1(VALU_DEP_4)
	v_cndmask_b32_e64 v147, 0xff7fffff, v170, s15
	v_cmp_gt_i32_e64 s16, s28, v166
	v_cmp_gt_i32_e64 s17, s28, v167
	v_lshlrev_b32_e32 v154, 2, v151
	v_max3_f32 v143, v143, v146, v147
	s_delay_alu instid0(VALU_DEP_4) | instskip(NEXT) | instid1(VALU_DEP_4)
	v_cndmask_b32_e64 v144, 0xff7fffff, v169, s16
	v_cndmask_b32_e64 v145, 0xff7fffff, v168, s17
	s_delay_alu instid0(VALU_DEP_1) | instskip(SKIP_3) | instid1(VALU_DEP_1)
	v_max3_f32 v143, v143, v144, v145
	ds_bpermute_b32 v144, v154, v143
	s_waitcnt lgkmcnt(0)
	v_max_f32_e32 v144, v144, v144
	v_max_f32_e32 v153, v143, v144
	s_delay_alu instid0(VALU_DEP_1) | instskip(SKIP_4) | instid1(VALU_DEP_4)
	v_fma_f32 v143, s33, v191, -v153
	v_fma_f32 v144, s33, v192, -v153
	;; [unrolled: 1-line block ×5, first 2 shown]
	v_dual_mul_f32 v143, 0x3fb8aa3b, v143 :: v_dual_mul_f32 v144, 0x3fb8aa3b, v144
	s_delay_alu instid0(VALU_DEP_4) | instskip(SKIP_2) | instid1(VALU_DEP_4)
	v_mul_f32_e32 v132, 0x3fb8aa3b, v132
	v_fma_f32 v134, s33, v134, -v153
	v_mul_f32_e32 v145, 0x3fb8aa3b, v145
	v_exp_f32_e32 v143, v143
	v_exp_f32_e32 v147, v144
	v_fma_f32 v148, s33, v195, -v153
	v_mul_f32_e32 v134, 0x3fb8aa3b, v134
	v_mul_f32_e32 v146, 0x3fb8aa3b, v146
	v_exp_f32_e32 v145, v145
	v_fma_f32 v151, s33, v197, -v153
	v_mul_f32_e32 v148, 0x3fb8aa3b, v148
	v_fma_f32 v129, s33, v129, -v153
	v_exp_f32_e32 v149, v146
	v_cndmask_b32_e32 v144, 0, v143, vcc_lo
	v_fma_f32 v143, s33, v196, -v153
	v_cndmask_b32_e64 v146, 0, v147, s2
	v_exp_f32_e32 v148, v148
	s_delay_alu instid0(VALU_DEP_3) | instskip(NEXT) | instid1(VALU_DEP_3)
	v_dual_mul_f32 v151, 0x3fb8aa3b, v151 :: v_dual_add_f32 v150, 0, v144
	v_mul_f32_e32 v143, 0x3fb8aa3b, v143
	v_cndmask_b32_e64 v147, 0, v145, s3
	v_fma_f32 v130, s33, v130, -v153
	s_delay_alu instid0(TRANS32_DEP_2)
	v_cndmask_b32_e64 v149, 0, v149, s4
	v_add_f32_e32 v145, v150, v146
	v_fma_f32 v150, s33, v198, -v153
	v_exp_f32_e32 v143, v143
	v_exp_f32_e32 v155, v151
	v_mul_f32_e32 v129, 0x3fb8aa3b, v129
	s_delay_alu instid0(VALU_DEP_2) | instskip(SKIP_2) | instid1(VALU_DEP_3)
	v_dual_add_f32 v145, v145, v147 :: v_dual_mul_f32 v152, 0x3fb8aa3b, v150
	v_cndmask_b32_e64 v150, 0, v148, s5
	v_fma_f32 v131, s33, v131, -v153
	v_dual_mul_f32 v130, 0x3fb8aa3b, v130 :: v_dual_add_f32 v145, v145, v149
	s_delay_alu instid0(VALU_DEP_4) | instskip(NEXT) | instid1(TRANS32_DEP_3)
	v_exp_f32_e32 v152, v152
	v_cndmask_b32_e64 v151, 0, v143, s6
	v_exp_f32_e32 v129, v129
	s_delay_alu instid0(TRANS32_DEP_3)
	v_cndmask_b32_e64 v148, 0, v155, s7
	v_add_f32_e32 v143, v145, v150
	v_mul_f32_e32 v131, 0x3fb8aa3b, v131
	v_exp_f32_e32 v130, v130
	v_fma_f32 v133, s33, v133, -v153
	v_fma_f32 v136, s33, v136, -v153
	v_add_f32_e32 v143, v143, v151
	v_cndmask_b32_e64 v152, 0, v152, s8
	v_exp_f32_e32 v145, v131
	v_cndmask_b32_e64 v131, 0, v129, s9
	v_mul_f32_e32 v133, 0x3fb8aa3b, v133
	v_add_f32_e32 v143, v143, v148
	v_cmp_gt_u32_e64 s2, 16, v142
	s_delay_alu instid0(VALU_DEP_2)
	v_add_f32_e32 v129, v143, v152
	v_exp_f32_e32 v143, v132
	v_cndmask_b32_e64 v132, 0, v130, s10
	v_fma_f32 v130, s33, v135, -v153
	v_exp_f32_e32 v135, v133
	v_add_f32_e32 v129, v129, v131
	v_cndmask_b32_e64 v133, 0, v145, s11
	v_exp_f32_e32 v145, v134
	s_delay_alu instid0(VALU_DEP_2) | instskip(NEXT) | instid1(TRANS32_DEP_3)
	v_dual_mul_f32 v130, 0x3fb8aa3b, v130 :: v_dual_add_f32 v129, v129, v132
	v_cndmask_b32_e64 v134, 0, v143, s12
	v_mul_f32_e32 v143, 0x3fb8aa3b, v136
	s_delay_alu instid0(VALU_DEP_3) | instskip(NEXT) | instid1(TRANS32_DEP_3)
	v_exp_f32_e32 v130, v130
	v_cndmask_b32_e64 v135, 0, v135, s13
	v_add_f32_e32 v129, v129, v133
	s_delay_alu instid0(TRANS32_DEP_2) | instskip(SKIP_1) | instid1(VALU_DEP_2)
	v_cndmask_b32_e64 v136, 0, v145, s15
	v_exp_f32_e32 v145, v143
	v_add_f32_e32 v129, v129, v134
	s_waitcnt_depctr 0xfff
	v_cndmask_b32_e64 v143, 0, v130, s16
	v_add_f32_e32 v129, v129, v135
	v_cndmask_b32_e64 v145, 0, v145, s17
	s_delay_alu instid0(VALU_DEP_2) | instskip(NEXT) | instid1(VALU_DEP_1)
	v_add_f32_e32 v129, v129, v136
	v_add_f32_e32 v129, v129, v143
	s_delay_alu instid0(VALU_DEP_1)
	v_add_f32_e32 v129, v129, v145
	ds_bpermute_b32 v130, v154, v129
	s_and_saveexec_b32 s3, s2
	s_cbranch_execz .LBB644_12
; %bb.11:
	v_mul_u32_u24_e32 v142, 0x44, v141
	s_waitcnt lgkmcnt(0)
	v_add_f32_e32 v129, v129, v130
	s_delay_alu instid0(VALU_DEP_2) | instskip(NEXT) | instid1(VALU_DEP_1)
	v_lshl_add_u32 v142, v140, 2, v142
	v_add_nc_u32_e32 v130, 0x4000, v142
	ds_store_2addr_b32 v130, v153, v129 offset1:136
.LBB644_12:
	s_or_b32 exec_lo, exec_lo, s3
	v_lshlrev_b32_e32 v129, 2, v140
	s_waitcnt lgkmcnt(0)
	s_barrier
	buffer_gl0_inv
	v_cmp_eq_u32_e64 s3, 1, v141
	v_add_nc_u32_e32 v142, 0x4000, v129
	ds_load_2addr_b32 v[153:154], v142 offset1:17
	ds_load_2addr_b32 v[155:156], v142 offset0:34 offset1:51
	ds_load_2addr_b32 v[157:158], v142 offset0:68 offset1:85
	;; [unrolled: 1-line block ×4, first 2 shown]
	s_waitcnt lgkmcnt(4)
	v_max3_f32 v129, v153, 0xff7fffff, v154
	s_waitcnt lgkmcnt(3)
	s_delay_alu instid0(VALU_DEP_1) | instskip(SKIP_1) | instid1(VALU_DEP_1)
	v_max3_f32 v129, v129, v155, v156
	s_waitcnt lgkmcnt(2)
	v_max3_f32 v129, v129, v157, v158
	s_waitcnt lgkmcnt(1)
	s_delay_alu instid0(VALU_DEP_1) | instskip(NEXT) | instid1(VALU_DEP_1)
	v_max3_f32 v129, v129, v159, v160
	v_sub_f32_e32 v163, v154, v129
	v_sub_f32_e32 v130, v153, v129
	ds_load_2addr_b32 v[153:154], v142 offset0:170 offset1:187
	v_sub_f32_e32 v155, v155, v129
	v_dual_mul_f32 v163, 0x3fb8aa3b, v163 :: v_dual_mul_f32 v130, 0x3fb8aa3b, v130
	s_delay_alu instid0(VALU_DEP_2) | instskip(NEXT) | instid1(VALU_DEP_2)
	v_mul_f32_e32 v165, 0x3fb8aa3b, v155
	v_exp_f32_e32 v163, v163
	s_delay_alu instid0(VALU_DEP_2)
	v_exp_f32_e32 v164, v130
	v_sub_f32_e32 v130, v156, v129
	ds_load_2addr_b32 v[155:156], v142 offset0:204 offset1:221
	v_exp_f32_e32 v165, v165
	v_mul_f32_e32 v166, 0x3fb8aa3b, v130
	s_waitcnt lgkmcnt(2)
	v_fma_f32 v130, v164, v161, 0
	v_sub_f32_e32 v157, v157, v129
	s_delay_alu instid0(VALU_DEP_3) | instskip(NEXT) | instid1(VALU_DEP_2)
	v_exp_f32_e32 v166, v166
	v_dual_sub_f32 v161, v158, v129 :: v_dual_fmac_f32 v130, v163, v162
	s_waitcnt lgkmcnt(1)
	s_waitcnt_depctr 0xfff
	v_fmac_f32_e32 v130, v165, v153
	v_mul_f32_e32 v167, 0x3fb8aa3b, v157
	ds_load_2addr_b32 v[157:158], v142 offset0:238 offset1:255
	v_sub_f32_e32 v142, v159, v129
	v_dual_sub_f32 v153, v160, v129 :: v_dual_fmac_f32 v130, v166, v154
	v_mul_f32_e32 v159, 0x3fb8aa3b, v161
	v_exp_f32_e32 v161, v167
	s_delay_alu instid0(VALU_DEP_2)
	v_dual_mul_f32 v142, 0x3fb8aa3b, v142 :: v_dual_mul_f32 v153, 0x3fb8aa3b, v153
	s_waitcnt lgkmcnt(0)
	s_barrier
	buffer_gl0_inv
	v_exp_f32_e32 v142, v142
	v_exp_f32_e32 v153, v153
	v_fmac_f32_e32 v130, v161, v155
	v_exp_f32_e32 v159, v159
	s_waitcnt_depctr 0xfff
	v_fmac_f32_e32 v130, v159, v156
	s_delay_alu instid0(VALU_DEP_1) | instskip(NEXT) | instid1(VALU_DEP_1)
	v_fmac_f32_e32 v130, v142, v157
	v_fmac_f32_e32 v130, v153, v158
	s_delay_alu instid0(VALU_DEP_1) | instskip(NEXT) | instid1(VALU_DEP_1)
	v_add_f32_e32 v154, 0x358637bd, v130
	v_div_scale_f32 v155, null, v154, v154, 1.0
	v_div_scale_f32 v158, vcc_lo, 1.0, v154, 1.0
	s_delay_alu instid0(VALU_DEP_2) | instskip(SKIP_2) | instid1(VALU_DEP_1)
	v_rcp_f32_e32 v156, v155
	s_waitcnt_depctr 0xfff
	v_fma_f32 v157, -v155, v156, 1.0
	v_fmac_f32_e32 v156, v157, v156
	v_cndmask_b32_e64 v157, v164, v163, s3
	v_cmp_eq_u32_e64 s3, 2, v141
	s_delay_alu instid0(VALU_DEP_3) | instskip(NEXT) | instid1(VALU_DEP_2)
	v_mul_f32_e32 v160, v158, v156
	v_cndmask_b32_e64 v157, v157, v165, s3
	v_cmp_eq_u32_e64 s3, 3, v141
	s_delay_alu instid0(VALU_DEP_3) | instskip(NEXT) | instid1(VALU_DEP_2)
	v_fma_f32 v162, -v155, v160, v158
	v_cndmask_b32_e64 v157, v157, v166, s3
	v_cmp_eq_u32_e64 s3, 4, v141
	s_delay_alu instid0(VALU_DEP_3) | instskip(NEXT) | instid1(VALU_DEP_2)
	v_fmac_f32_e32 v160, v162, v156
	v_cndmask_b32_e64 v157, v157, v161, s3
	s_delay_alu instid0(VALU_DEP_2) | instskip(SKIP_1) | instid1(VALU_DEP_2)
	v_fma_f32 v155, -v155, v160, v158
	v_cmp_eq_u32_e64 s3, 5, v141
	v_div_fmas_f32 v155, v155, v156, v160
	s_delay_alu instid0(VALU_DEP_2) | instskip(SKIP_2) | instid1(VALU_DEP_3)
	v_cndmask_b32_e64 v157, v157, v159, s3
	v_cmp_eq_u32_e32 vcc_lo, 6, v141
	s_mov_b32 s3, exec_lo
	v_div_fixup_f32 v154, v155, v154, 1.0
	s_delay_alu instid0(VALU_DEP_3) | instskip(SKIP_1) | instid1(VALU_DEP_2)
	v_cndmask_b32_e32 v142, v157, v142, vcc_lo
	v_cmp_eq_u32_e32 vcc_lo, 7, v141
	v_cndmask_b32_e32 v142, v142, v153, vcc_lo
	s_delay_alu instid0(VALU_DEP_1) | instskip(NEXT) | instid1(VALU_DEP_1)
	v_mul_f32_e32 v142, v142, v154
	v_mul_f32_e32 v153, v142, v149
	;; [unrolled: 1-line block ×7, first 2 shown]
	v_dual_mul_f32 v150, v142, v147 :: v_dual_and_b32 v155, 0x7f800000, v154
	v_mul_f32_e32 v149, v142, v146
                                        ; implicit-def: $vgpr146
	s_delay_alu instid0(VALU_DEP_2)
	v_cmpx_ne_u32_e32 0x7f800000, v155
	s_xor_b32 s3, exec_lo, s3
; %bb.13:
	v_bfe_u32 v146, v154, 16, 1
	s_delay_alu instid0(VALU_DEP_1)
	v_add3_u32 v146, v154, v146, 0x7fff
                                        ; implicit-def: $vgpr154
; %bb.14:
	s_and_not1_saveexec_b32 s3, s3
; %bb.15:
	v_and_b32_e32 v146, 0xffff, v154
	v_or_b32_e32 v147, 0x10000, v154
	s_delay_alu instid0(VALU_DEP_2) | instskip(NEXT) | instid1(VALU_DEP_2)
	v_cmp_eq_u32_e32 vcc_lo, 0, v146
	v_cndmask_b32_e32 v146, v147, v154, vcc_lo
; %bb.16:
	s_or_b32 exec_lo, exec_lo, s3
	v_and_b32_e32 v147, 0x7f800000, v149
	s_delay_alu instid0(VALU_DEP_1) | instskip(SKIP_1) | instid1(SALU_CYCLE_1)
	v_cmp_ne_u32_e32 vcc_lo, 0x7f800000, v147
                                        ; implicit-def: $vgpr147
	s_and_saveexec_b32 s3, vcc_lo
	s_xor_b32 s3, exec_lo, s3
; %bb.17:
	v_bfe_u32 v147, v149, 16, 1
	s_delay_alu instid0(VALU_DEP_1)
	v_add3_u32 v147, v149, v147, 0x7fff
                                        ; implicit-def: $vgpr149
; %bb.18:
	s_and_not1_saveexec_b32 s3, s3
; %bb.19:
	v_and_b32_e32 v147, 0xffff, v149
	v_or_b32_e32 v154, 0x10000, v149
	s_delay_alu instid0(VALU_DEP_2) | instskip(NEXT) | instid1(VALU_DEP_2)
	v_cmp_eq_u32_e32 vcc_lo, 0, v147
	v_cndmask_b32_e32 v147, v154, v149, vcc_lo
; %bb.20:
	s_or_b32 exec_lo, exec_lo, s3
	v_and_b32_e32 v149, 0x7f800000, v150
	s_delay_alu instid0(VALU_DEP_1) | instskip(SKIP_1) | instid1(SALU_CYCLE_1)
	v_cmp_ne_u32_e32 vcc_lo, 0x7f800000, v149
                                        ; implicit-def: $vgpr149
	s_and_saveexec_b32 s3, vcc_lo
	s_xor_b32 s3, exec_lo, s3
; %bb.21:
	v_bfe_u32 v149, v150, 16, 1
	s_delay_alu instid0(VALU_DEP_1)
	v_add3_u32 v149, v150, v149, 0x7fff
                                        ; implicit-def: $vgpr150
; %bb.22:
	s_and_not1_saveexec_b32 s3, s3
; %bb.23:
	v_and_b32_e32 v149, 0xffff, v150
	v_or_b32_e32 v154, 0x10000, v150
	s_delay_alu instid0(VALU_DEP_2) | instskip(NEXT) | instid1(VALU_DEP_2)
	v_cmp_eq_u32_e32 vcc_lo, 0, v149
	v_cndmask_b32_e32 v149, v154, v150, vcc_lo
; %bb.24:
	s_or_b32 exec_lo, exec_lo, s3
	v_and_b32_e32 v150, 0x7f800000, v153
	s_delay_alu instid0(VALU_DEP_1) | instskip(SKIP_1) | instid1(SALU_CYCLE_1)
	v_cmp_ne_u32_e32 vcc_lo, 0x7f800000, v150
                                        ; implicit-def: $vgpr150
	s_and_saveexec_b32 s3, vcc_lo
	s_xor_b32 s3, exec_lo, s3
; %bb.25:
	v_bfe_u32 v150, v153, 16, 1
	s_delay_alu instid0(VALU_DEP_1)
	v_add3_u32 v150, v153, v150, 0x7fff
                                        ; implicit-def: $vgpr153
; %bb.26:
	s_and_not1_saveexec_b32 s3, s3
; %bb.27:
	v_and_b32_e32 v150, 0xffff, v153
	v_or_b32_e32 v154, 0x10000, v153
	s_delay_alu instid0(VALU_DEP_2) | instskip(NEXT) | instid1(VALU_DEP_2)
	v_cmp_eq_u32_e32 vcc_lo, 0, v150
	v_cndmask_b32_e32 v150, v154, v153, vcc_lo
; %bb.28:
	s_or_b32 exec_lo, exec_lo, s3
	v_and_b32_e32 v153, 0x7f800000, v152
	s_delay_alu instid0(VALU_DEP_1) | instskip(SKIP_1) | instid1(SALU_CYCLE_1)
	v_cmp_ne_u32_e32 vcc_lo, 0x7f800000, v153
                                        ; implicit-def: $vgpr153
	s_and_saveexec_b32 s3, vcc_lo
	s_xor_b32 s3, exec_lo, s3
; %bb.29:
	v_bfe_u32 v153, v152, 16, 1
	s_delay_alu instid0(VALU_DEP_1)
	v_add3_u32 v153, v152, v153, 0x7fff
                                        ; implicit-def: $vgpr152
; %bb.30:
	s_and_not1_saveexec_b32 s3, s3
; %bb.31:
	v_and_b32_e32 v153, 0xffff, v152
	v_or_b32_e32 v154, 0x10000, v152
	s_delay_alu instid0(VALU_DEP_2) | instskip(NEXT) | instid1(VALU_DEP_2)
	v_cmp_eq_u32_e32 vcc_lo, 0, v153
	v_cndmask_b32_e32 v153, v154, v152, vcc_lo
; %bb.32:
	s_or_b32 exec_lo, exec_lo, s3
	v_and_b32_e32 v152, 0x7f800000, v151
	s_delay_alu instid0(VALU_DEP_1) | instskip(SKIP_1) | instid1(SALU_CYCLE_1)
	v_cmp_ne_u32_e32 vcc_lo, 0x7f800000, v152
                                        ; implicit-def: $vgpr152
	s_and_saveexec_b32 s3, vcc_lo
	s_xor_b32 s3, exec_lo, s3
; %bb.33:
	v_bfe_u32 v152, v151, 16, 1
	s_delay_alu instid0(VALU_DEP_1)
	v_add3_u32 v152, v151, v152, 0x7fff
                                        ; implicit-def: $vgpr151
; %bb.34:
	s_and_not1_saveexec_b32 s3, s3
; %bb.35:
	v_and_b32_e32 v152, 0xffff, v151
	v_or_b32_e32 v154, 0x10000, v151
	s_delay_alu instid0(VALU_DEP_2) | instskip(NEXT) | instid1(VALU_DEP_2)
	v_cmp_eq_u32_e32 vcc_lo, 0, v152
	v_cndmask_b32_e32 v152, v154, v151, vcc_lo
; %bb.36:
	s_or_b32 exec_lo, exec_lo, s3
	v_and_b32_e32 v151, 0x7f800000, v148
	s_delay_alu instid0(VALU_DEP_1) | instskip(SKIP_1) | instid1(SALU_CYCLE_1)
	v_cmp_ne_u32_e32 vcc_lo, 0x7f800000, v151
                                        ; implicit-def: $vgpr151
	s_and_saveexec_b32 s3, vcc_lo
	s_xor_b32 s3, exec_lo, s3
; %bb.37:
	v_bfe_u32 v151, v148, 16, 1
	s_delay_alu instid0(VALU_DEP_1)
	v_add3_u32 v151, v148, v151, 0x7fff
                                        ; implicit-def: $vgpr148
; %bb.38:
	s_and_not1_saveexec_b32 s3, s3
; %bb.39:
	v_and_b32_e32 v151, 0xffff, v148
	v_or_b32_e32 v154, 0x10000, v148
	s_delay_alu instid0(VALU_DEP_2) | instskip(NEXT) | instid1(VALU_DEP_2)
	v_cmp_eq_u32_e32 vcc_lo, 0, v151
	v_cndmask_b32_e32 v151, v154, v148, vcc_lo
; %bb.40:
	s_or_b32 exec_lo, exec_lo, s3
	v_and_b32_e32 v148, 0x7f800000, v144
	s_delay_alu instid0(VALU_DEP_1) | instskip(SKIP_1) | instid1(SALU_CYCLE_1)
	v_cmp_ne_u32_e32 vcc_lo, 0x7f800000, v148
                                        ; implicit-def: $vgpr148
	s_and_saveexec_b32 s3, vcc_lo
	s_xor_b32 s3, exec_lo, s3
; %bb.41:
	v_bfe_u32 v148, v144, 16, 1
	s_delay_alu instid0(VALU_DEP_1)
	v_add3_u32 v148, v144, v148, 0x7fff
                                        ; implicit-def: $vgpr144
; %bb.42:
	s_and_not1_saveexec_b32 s3, s3
; %bb.43:
	v_and_b32_e32 v148, 0xffff, v144
	v_or_b32_e32 v154, 0x10000, v144
	s_delay_alu instid0(VALU_DEP_2) | instskip(NEXT) | instid1(VALU_DEP_2)
	v_cmp_eq_u32_e32 vcc_lo, 0, v148
	v_cndmask_b32_e32 v148, v154, v144, vcc_lo
; %bb.44:
	s_or_b32 exec_lo, exec_lo, s3
	s_load_b64 s[34:35], s[0:1], 0x94
	v_lshlrev_b32_e32 v155, 4, v138
	s_delay_alu instid0(VALU_DEP_2)
	v_perm_b32 v154, v148, v151, 0x7060302
	v_mul_f32_e32 v148, v142, v131
	v_dual_mul_f32 v145, v142, v145 :: v_dual_lshlrev_b32 v144, 6, v140
	v_dual_mul_f32 v143, v142, v143 :: v_dual_lshlrev_b32 v156, 11, v141
	v_perm_b32 v153, v152, v153, 0x7060302
	v_perm_b32 v152, v150, v149, 0x7060302
	;; [unrolled: 1-line block ×3, first 2 shown]
	s_delay_alu instid0(VALU_DEP_4)
	v_or3_b32 v131, v155, v156, v144
	v_mul_f32_e32 v136, v142, v136
	v_dual_mul_f32 v146, v142, v134 :: v_dual_and_b32 v149, 0x7f800000, v148
	v_mul_f32_e32 v135, v142, v135
	v_mul_f32_e32 v147, v142, v133
	;; [unrolled: 1-line block ×3, first 2 shown]
	s_mov_b32 s3, exec_lo
	ds_store_b128 v131, v[151:154]
                                        ; implicit-def: $vgpr132
	v_cmpx_ne_u32_e32 0x7f800000, v149
	s_xor_b32 s3, exec_lo, s3
; %bb.45:
	v_bfe_u32 v132, v148, 16, 1
	s_delay_alu instid0(VALU_DEP_1)
	v_add3_u32 v132, v148, v132, 0x7fff
                                        ; implicit-def: $vgpr148
; %bb.46:
	s_and_not1_saveexec_b32 s3, s3
; %bb.47:
	v_and_b32_e32 v132, 0xffff, v148
	v_or_b32_e32 v133, 0x10000, v148
	s_delay_alu instid0(VALU_DEP_2) | instskip(NEXT) | instid1(VALU_DEP_2)
	v_cmp_eq_u32_e32 vcc_lo, 0, v132
	v_cndmask_b32_e32 v132, v133, v148, vcc_lo
; %bb.48:
	s_or_b32 exec_lo, exec_lo, s3
	v_and_b32_e32 v133, 0x7f800000, v134
	s_delay_alu instid0(VALU_DEP_1) | instskip(SKIP_1) | instid1(SALU_CYCLE_1)
	v_cmp_ne_u32_e32 vcc_lo, 0x7f800000, v133
                                        ; implicit-def: $vgpr133
	s_and_saveexec_b32 s3, vcc_lo
	s_xor_b32 s3, exec_lo, s3
; %bb.49:
	v_bfe_u32 v133, v134, 16, 1
	s_delay_alu instid0(VALU_DEP_1)
	v_add3_u32 v133, v134, v133, 0x7fff
                                        ; implicit-def: $vgpr134
; %bb.50:
	s_and_not1_saveexec_b32 s3, s3
; %bb.51:
	v_and_b32_e32 v133, 0xffff, v134
	v_or_b32_e32 v142, 0x10000, v134
	s_delay_alu instid0(VALU_DEP_2) | instskip(NEXT) | instid1(VALU_DEP_2)
	v_cmp_eq_u32_e32 vcc_lo, 0, v133
	v_cndmask_b32_e32 v133, v142, v134, vcc_lo
; %bb.52:
	s_or_b32 exec_lo, exec_lo, s3
	v_and_b32_e32 v134, 0x7f800000, v147
	s_delay_alu instid0(VALU_DEP_1) | instskip(SKIP_1) | instid1(SALU_CYCLE_1)
	v_cmp_ne_u32_e32 vcc_lo, 0x7f800000, v134
                                        ; implicit-def: $vgpr134
	s_and_saveexec_b32 s3, vcc_lo
	s_xor_b32 s3, exec_lo, s3
; %bb.53:
	v_bfe_u32 v134, v147, 16, 1
	s_delay_alu instid0(VALU_DEP_1)
	v_add3_u32 v134, v147, v134, 0x7fff
                                        ; implicit-def: $vgpr147
; %bb.54:
	s_and_not1_saveexec_b32 s3, s3
; %bb.55:
	v_and_b32_e32 v134, 0xffff, v147
	v_or_b32_e32 v142, 0x10000, v147
	s_delay_alu instid0(VALU_DEP_2) | instskip(NEXT) | instid1(VALU_DEP_2)
	v_cmp_eq_u32_e32 vcc_lo, 0, v134
	v_cndmask_b32_e32 v134, v142, v147, vcc_lo
; %bb.56:
	s_or_b32 exec_lo, exec_lo, s3
	v_and_b32_e32 v142, 0x7f800000, v146
	s_delay_alu instid0(VALU_DEP_1) | instskip(SKIP_1) | instid1(SALU_CYCLE_1)
	v_cmp_ne_u32_e32 vcc_lo, 0x7f800000, v142
                                        ; implicit-def: $vgpr142
	s_and_saveexec_b32 s3, vcc_lo
	s_xor_b32 s3, exec_lo, s3
; %bb.57:
	v_bfe_u32 v142, v146, 16, 1
	s_delay_alu instid0(VALU_DEP_1)
	v_add3_u32 v142, v146, v142, 0x7fff
                                        ; implicit-def: $vgpr146
; %bb.58:
	s_and_not1_saveexec_b32 s3, s3
; %bb.59:
	v_and_b32_e32 v142, 0xffff, v146
	v_or_b32_e32 v147, 0x10000, v146
	s_delay_alu instid0(VALU_DEP_2) | instskip(NEXT) | instid1(VALU_DEP_2)
	v_cmp_eq_u32_e32 vcc_lo, 0, v142
	v_cndmask_b32_e32 v142, v147, v146, vcc_lo
; %bb.60:
	s_or_b32 exec_lo, exec_lo, s3
	v_and_b32_e32 v146, 0x7f800000, v135
	s_delay_alu instid0(VALU_DEP_1) | instskip(SKIP_1) | instid1(SALU_CYCLE_1)
	v_cmp_ne_u32_e32 vcc_lo, 0x7f800000, v146
                                        ; implicit-def: $vgpr146
	s_and_saveexec_b32 s3, vcc_lo
	s_xor_b32 s3, exec_lo, s3
; %bb.61:
	v_bfe_u32 v146, v135, 16, 1
	s_delay_alu instid0(VALU_DEP_1)
	v_add3_u32 v146, v135, v146, 0x7fff
                                        ; implicit-def: $vgpr135
; %bb.62:
	s_and_not1_saveexec_b32 s3, s3
; %bb.63:
	v_and_b32_e32 v146, 0xffff, v135
	v_or_b32_e32 v147, 0x10000, v135
	s_delay_alu instid0(VALU_DEP_2) | instskip(NEXT) | instid1(VALU_DEP_2)
	v_cmp_eq_u32_e32 vcc_lo, 0, v146
	v_cndmask_b32_e32 v146, v147, v135, vcc_lo
; %bb.64:
	s_or_b32 exec_lo, exec_lo, s3
	v_and_b32_e32 v135, 0x7f800000, v136
	s_delay_alu instid0(VALU_DEP_1) | instskip(SKIP_1) | instid1(SALU_CYCLE_1)
	v_cmp_ne_u32_e32 vcc_lo, 0x7f800000, v135
                                        ; implicit-def: $vgpr135
	s_and_saveexec_b32 s3, vcc_lo
	s_xor_b32 s3, exec_lo, s3
; %bb.65:
	v_bfe_u32 v135, v136, 16, 1
	s_delay_alu instid0(VALU_DEP_1)
	v_add3_u32 v135, v136, v135, 0x7fff
                                        ; implicit-def: $vgpr136
; %bb.66:
	s_and_not1_saveexec_b32 s3, s3
; %bb.67:
	v_and_b32_e32 v135, 0xffff, v136
	v_or_b32_e32 v147, 0x10000, v136
	s_delay_alu instid0(VALU_DEP_2) | instskip(NEXT) | instid1(VALU_DEP_2)
	v_cmp_eq_u32_e32 vcc_lo, 0, v135
	v_cndmask_b32_e32 v135, v147, v136, vcc_lo
; %bb.68:
	s_or_b32 exec_lo, exec_lo, s3
	v_and_b32_e32 v136, 0x7f800000, v143
	s_delay_alu instid0(VALU_DEP_1) | instskip(SKIP_1) | instid1(SALU_CYCLE_1)
	v_cmp_ne_u32_e32 vcc_lo, 0x7f800000, v136
                                        ; implicit-def: $vgpr136
	s_and_saveexec_b32 s3, vcc_lo
	s_xor_b32 s3, exec_lo, s3
; %bb.69:
	v_bfe_u32 v136, v143, 16, 1
	s_delay_alu instid0(VALU_DEP_1)
	v_add3_u32 v136, v143, v136, 0x7fff
                                        ; implicit-def: $vgpr143
; %bb.70:
	s_and_not1_saveexec_b32 s3, s3
; %bb.71:
	v_and_b32_e32 v136, 0xffff, v143
	v_or_b32_e32 v147, 0x10000, v143
	s_delay_alu instid0(VALU_DEP_2) | instskip(NEXT) | instid1(VALU_DEP_2)
	v_cmp_eq_u32_e32 vcc_lo, 0, v136
	v_cndmask_b32_e32 v136, v147, v143, vcc_lo
; %bb.72:
	s_or_b32 exec_lo, exec_lo, s3
	v_and_b32_e32 v143, 0x7f800000, v145
	s_delay_alu instid0(VALU_DEP_1) | instskip(SKIP_1) | instid1(SALU_CYCLE_1)
	v_cmp_ne_u32_e32 vcc_lo, 0x7f800000, v143
                                        ; implicit-def: $vgpr143
	s_and_saveexec_b32 s3, vcc_lo
	s_xor_b32 s3, exec_lo, s3
; %bb.73:
	v_bfe_u32 v143, v145, 16, 1
	s_delay_alu instid0(VALU_DEP_1)
	v_add3_u32 v143, v145, v143, 0x7fff
                                        ; implicit-def: $vgpr145
; %bb.74:
	s_and_not1_saveexec_b32 s3, s3
; %bb.75:
	v_and_b32_e32 v143, 0xffff, v145
	v_or_b32_e32 v147, 0x10000, v145
	s_delay_alu instid0(VALU_DEP_2) | instskip(NEXT) | instid1(VALU_DEP_2)
	v_cmp_eq_u32_e32 vcc_lo, 0, v143
	v_cndmask_b32_e32 v143, v147, v145, vcc_lo
; %bb.76:
	s_or_b32 exec_lo, exec_lo, s3
	s_delay_alu instid0(VALU_DEP_1)
	v_perm_b32 v136, v143, v136, 0x7060302
	v_perm_b32 v135, v135, v146, 0x7060302
	;; [unrolled: 1-line block ×4, first 2 shown]
	v_lshl_or_b32 v145, v141, 11, v144
	v_lshlrev_b32_e32 v142, 2, v138
	ds_store_b128 v131, v[133:136] offset:1024
	s_waitcnt lgkmcnt(0)
	s_barrier
	buffer_gl0_inv
	ds_load_b128 v[132:135], v145
	ds_load_b128 v[147:150], v145 offset:16
	v_or_b32_e32 v143, 1, v142
	v_cmp_eq_u32_e64 s12, 1, v142
	v_cmp_eq_u32_e64 s11, 2, v142
	;; [unrolled: 1-line block ×3, first 2 shown]
	v_or_b32_e32 v141, 2, v142
	v_cmp_eq_u32_e64 s7, 1, v143
	v_cmp_eq_u32_e64 s6, 2, v143
	v_cmp_eq_u32_e64 s17, 4, v142
	v_cmp_eq_u32_e64 s5, 3, v143
	v_cmp_eq_u32_e64 s13, 5, v142
	v_cmp_eq_u32_e64 s8, 1, v141
	v_cmp_eq_u32_e64 s3, 4, v143
	v_cmp_eq_u32_e64 s15, 6, v142
	v_cmp_eq_u32_e32 vcc_lo, 5, v143
	v_cmp_eq_u32_e64 s10, 2, v141
	v_cmp_eq_u32_e64 s4, 6, v143
	;; [unrolled: 1-line block ×4, first 2 shown]
	s_waitcnt lgkmcnt(1)
	v_lshrrev_b32_e32 v136, 16, v132
	s_waitcnt lgkmcnt(0)
	v_lshrrev_b32_e32 v155, 16, v147
	v_lshrrev_b32_e32 v161, 16, v148
	v_lshrrev_b32_e32 v159, 16, v133
	v_lshrrev_b32_e32 v163, 16, v149
	v_cndmask_b32_e64 v146, v132, v136, s12
	v_cndmask_b32_e64 v151, v147, v155, s12
	;; [unrolled: 1-line block ×4, first 2 shown]
	v_lshrrev_b32_e32 v160, 16, v134
	v_cndmask_b32_e64 v146, v146, v133, s11
	v_cndmask_b32_e64 v151, v151, v148, s11
	;; [unrolled: 1-line block ×8, first 2 shown]
	v_lshrrev_b32_e32 v164, 16, v150
	v_cndmask_b32_e64 v153, v153, v161, s5
	v_cndmask_b32_e64 v146, v146, v134, s17
	;; [unrolled: 1-line block ×5, first 2 shown]
	v_lshrrev_b32_e32 v162, 16, v135
	v_cndmask_b32_e64 v146, v146, v160, s13
	v_cndmask_b32_e64 v151, v151, v163, s13
	v_cndmask_b32_e32 v152, v152, v160, vcc_lo
	v_cndmask_b32_e64 v153, v153, v149, s3
	v_cmp_eq_u32_e64 s19, 7, v143
	v_cndmask_b32_e64 v146, v146, v135, s15
	v_cndmask_b32_e64 v151, v151, v150, s15
	;; [unrolled: 1-line block ×4, first 2 shown]
	v_cmp_eq_u32_e64 s20, 4, v141
	v_cndmask_b32_e64 v165, v146, v162, s9
	v_cndmask_b32_e64 v166, v151, v164, s9
	;; [unrolled: 1-line block ×3, first 2 shown]
	v_or_b32_e32 v146, 3, v142
	v_cndmask_b32_e64 v167, v152, v162, s19
	v_cndmask_b32_e32 v156, v153, v163, vcc_lo
	v_cndmask_b32_e64 v158, v154, v134, s20
	v_cndmask_b32_e64 v157, v151, v148, s10
	ds_load_b128 v[151:154], v145 offset:1024
	v_cmp_eq_u32_e64 s21, 1, v146
	v_cmp_eq_u32_e64 s22, 5, v141
	;; [unrolled: 1-line block ×3, first 2 shown]
	v_cndmask_b32_e64 v157, v157, v161, s18
	v_cmp_eq_u32_e64 s24, 3, v146
	v_cndmask_b32_e64 v132, v132, v136, s21
	v_cndmask_b32_e64 v136, v156, v150, s4
	v_cndmask_b32_e64 v168, v158, v160, s22
	v_cndmask_b32_e64 v169, v157, v149, s20
	v_cndmask_b32_e64 v147, v147, v155, s21
	ds_load_b128 v[155:158], v145 offset:1040
	v_cndmask_b32_e64 v132, v132, v133, s23
	v_cmp_eq_u32_e64 s26, 4, v146
	v_cmp_eq_u32_e64 s28, 5, v146
	v_cndmask_b32_e64 v147, v147, v148, s23
	v_cmp_eq_u32_e64 s25, 6, v141
	v_cndmask_b32_e64 v132, v132, v159, s24
	v_cmp_eq_u32_e64 s29, 6, v146
	v_cndmask_b32_e64 v133, v169, v163, s22
	v_cndmask_b32_e64 v147, v147, v161, s24
	s_waitcnt lgkmcnt(1)
	v_lshrrev_b32_e32 v159, 16, v151
	v_cndmask_b32_e64 v132, v132, v134, s26
	v_cndmask_b32_e64 v148, v168, v135, s25
	;; [unrolled: 1-line block ×6, first 2 shown]
	v_lshrrev_b32_e32 v160, 16, v152
	v_cndmask_b32_e64 v161, v151, v159, s7
	v_cndmask_b32_e64 v134, v134, v163, s28
	s_waitcnt lgkmcnt(0)
	v_lshrrev_b32_e32 v149, 16, v155
	v_cndmask_b32_e64 v147, v147, v152, s11
	v_cndmask_b32_e64 v132, v132, v135, s29
	v_cmp_eq_u32_e64 s27, 7, v141
	v_cndmask_b32_e64 v134, v134, v150, s29
	v_cndmask_b32_e64 v163, v155, v149, s12
	;; [unrolled: 1-line block ×4, first 2 shown]
	v_lshrrev_b32_e32 v161, 16, v156
	v_cndmask_b32_e64 v136, v136, v164, s19
	v_cndmask_b32_e64 v150, v163, v156, s11
	v_cmp_eq_u32_e64 s11, 7, v146
	v_cndmask_b32_e64 v147, v147, v160, s5
	v_cndmask_b32_e64 v135, v135, v153, s17
	v_lshrrev_b32_e32 v163, 16, v153
	v_cndmask_b32_e64 v150, v150, v161, s16
	v_cndmask_b32_e64 v132, v132, v162, s11
	v_cndmask_b32_e64 v134, v134, v164, s11
	v_cndmask_b32_e64 v147, v147, v153, s3
	v_cndmask_b32_e64 v148, v148, v162, s27
	v_cndmask_b32_e64 v133, v133, v164, s27
	v_cndmask_b32_e64 v162, v135, v163, s13
	v_cndmask_b32_e64 v150, v150, v157, s17
	v_lshrrev_b32_e32 v164, 16, v157
	v_perm_b32 v135, v134, v132, 0x5040100
	v_cndmask_b32_e32 v132, v147, v163, vcc_lo
	v_cndmask_b32_e64 v147, v162, v154, s15
	v_lshrrev_b32_e32 v162, 16, v154
	v_cndmask_b32_e64 v150, v150, v164, s13
	v_perm_b32 v134, v133, v148, 0x5040100
	v_cndmask_b32_e64 v132, v132, v154, s4
	v_perm_b32 v133, v136, v167, 0x5040100
	v_cndmask_b32_e64 v136, v147, v162, s9
	v_cndmask_b32_e64 v147, v150, v158, s15
	;; [unrolled: 1-line block ×27, first 2 shown]
	v_cndmask_b32_e32 v149, v149, v164, vcc_lo
	v_lshrrev_b32_e32 v148, 16, v158
	v_cndmask_b32_e64 v132, v132, v154, s25
	v_cndmask_b32_e64 v150, v150, v154, s29
	;; [unrolled: 1-line block ×11, first 2 shown]
	v_perm_b32 v132, v166, v165, 0x5040100
	v_perm_b32 v150, v151, v150, 0x5040100
	;; [unrolled: 1-line block ×5, first 2 shown]
	s_mul_i32 s8, s35, 11
	s_mov_b32 s3, exec_lo
	ds_store_b128 v131, v[132:135]
	ds_store_b128 v131, v[147:150] offset:1024
	v_cmpx_gt_u32_e32 11, v0
	s_cbranch_execz .LBB644_78
; %bb.77:
	s_mul_i32 s4, s8, s30
	s_delay_alu instid0(SALU_CYCLE_1) | instskip(SKIP_1) | instid1(VALU_DEP_1)
	v_add3_u32 v133, s4, s31, v140
	s_load_b128 s[4:7], s[0:1], 0x58
	v_mad_u64_u32 v[131:132], null, v133, s34, s[14:15]
	s_delay_alu instid0(VALU_DEP_1) | instskip(NEXT) | instid1(VALU_DEP_1)
	v_ashrrev_i32_e32 v132, 31, v131
	v_lshlrev_b64 v[131:132], 2, v[131:132]
	s_waitcnt lgkmcnt(0)
	s_delay_alu instid0(VALU_DEP_1) | instskip(NEXT) | instid1(VALU_DEP_2)
	v_add_co_u32 v133, vcc_lo, s6, v131
	v_add_co_ci_u32_e32 v134, vcc_lo, s7, v132, vcc_lo
	v_add_co_u32 v131, vcc_lo, s4, v131
	v_add_co_ci_u32_e32 v132, vcc_lo, s5, v132, vcc_lo
	global_store_b32 v[133:134], v129, off
	global_store_b32 v[131:132], v130, off
.LBB644_78:
	s_or_b32 exec_lo, exec_lo, s3
	s_waitcnt lgkmcnt(0)
	s_waitcnt_vscnt null, 0x0
	s_barrier
	buffer_gl0_inv
	ds_load_b128 v[147:150], v144
	ds_load_b128 v[151:154], v144 offset:16
	ds_load_b128 v[159:162], v144 offset:1040
	;; [unrolled: 1-line block ×3, first 2 shown]
	v_mov_b32_e32 v129, 0
	ds_load_b128 v[167:170], v144 offset:2064
	ds_load_b128 v[163:166], v144 offset:2048
	;; [unrolled: 1-line block ×6, first 2 shown]
	v_mov_b32_e32 v130, v129
	v_mov_b32_e32 v131, v129
	;; [unrolled: 1-line block ×7, first 2 shown]
	s_waitcnt lgkmcnt(8)
	s_delay_alu instid0(VALU_DEP_1)
	v_wmma_f32_16x16x16_bf16 v[129:136], v[121:128], v[147:154], v[129:136]
	ds_load_b128 v[125:128], v144 offset:5136
	ds_load_b128 v[121:124], v144 offset:5120
	s_waitcnt lgkmcnt(8)
	v_wmma_f32_16x16x16_bf16 v[129:136], v[113:120], v[155:162], v[129:136]
	ds_load_b128 v[117:120], v144 offset:6160
	ds_load_b128 v[113:116], v144 offset:6144
	s_waitcnt lgkmcnt(8)
	v_wmma_f32_16x16x16_bf16 v[129:136], v[105:112], v[163:170], v[129:136]
	ds_load_b128 v[109:112], v144 offset:7184
	ds_load_b128 v[105:108], v144 offset:7168
	s_waitcnt lgkmcnt(8)
	v_wmma_f32_16x16x16_bf16 v[129:136], v[97:104], v[171:178], v[129:136]
	ds_load_b128 v[101:104], v144 offset:8208
	ds_load_b128 v[97:100], v144 offset:8192
	s_waitcnt lgkmcnt(8)
	v_wmma_f32_16x16x16_bf16 v[129:136], v[89:96], v[179:186], v[129:136]
	ds_load_b128 v[93:96], v144 offset:9232
	ds_load_b128 v[89:92], v144 offset:9216
	s_waitcnt lgkmcnt(8)
	v_wmma_f32_16x16x16_bf16 v[129:136], v[81:88], v[121:128], v[129:136]
	ds_load_b128 v[85:88], v144 offset:10256
	ds_load_b128 v[81:84], v144 offset:10240
	s_waitcnt lgkmcnt(8)
	v_wmma_f32_16x16x16_bf16 v[129:136], v[73:80], v[113:120], v[129:136]
	ds_load_b128 v[77:80], v144 offset:11280
	ds_load_b128 v[73:76], v144 offset:11264
	s_waitcnt lgkmcnt(8)
	v_wmma_f32_16x16x16_bf16 v[129:136], v[57:64], v[105:112], v[129:136]
	ds_load_b128 v[61:64], v144 offset:12304
	ds_load_b128 v[57:60], v144 offset:12288
	s_waitcnt lgkmcnt(8)
	v_wmma_f32_16x16x16_bf16 v[129:136], v[65:72], v[97:104], v[129:136]
	s_waitcnt lgkmcnt(6)
	s_delay_alu instid0(VALU_DEP_1)
	v_wmma_f32_16x16x16_bf16 v[129:136], v[49:56], v[89:96], v[129:136]
	ds_load_b128 v[53:56], v144 offset:13328
	ds_load_b128 v[49:52], v144 offset:13312
	s_waitcnt lgkmcnt(6)
	v_wmma_f32_16x16x16_bf16 v[129:136], v[41:48], v[81:88], v[129:136]
	ds_load_b128 v[45:48], v144 offset:14352
	ds_load_b128 v[41:44], v144 offset:14336
	s_waitcnt lgkmcnt(6)
	;; [unrolled: 4-line block ×3, first 2 shown]
	v_wmma_f32_16x16x16_bf16 v[129:136], v[1:8], v[57:64], v[129:136]
	s_waitcnt lgkmcnt(4)
	s_delay_alu instid0(VALU_DEP_1) | instskip(SKIP_1) | instid1(VALU_DEP_1)
	v_wmma_f32_16x16x16_bf16 v[129:136], v[25:32], v[49:56], v[129:136]
	s_waitcnt lgkmcnt(2)
	v_wmma_f32_16x16x16_bf16 v[129:136], v[33:40], v[41:48], v[129:136]
	s_waitcnt lgkmcnt(0)
	s_delay_alu instid0(VALU_DEP_1) | instskip(NEXT) | instid1(VALU_DEP_1)
	v_wmma_f32_16x16x16_bf16 v[129:136], v[9:16], v[17:24], v[129:136]
	v_and_b32_e32 v1, 0x7f800000, v129
	s_delay_alu instid0(VALU_DEP_1) | instskip(SKIP_1) | instid1(SALU_CYCLE_1)
	v_cmp_ne_u32_e32 vcc_lo, 0x7f800000, v1
                                        ; implicit-def: $vgpr1
	s_and_saveexec_b32 s3, vcc_lo
	s_xor_b32 s3, exec_lo, s3
; %bb.79:
	v_bfe_u32 v1, v129, 16, 1
	s_delay_alu instid0(VALU_DEP_1)
	v_add3_u32 v1, v129, v1, 0x7fff
; %bb.80:
	s_and_not1_saveexec_b32 s3, s3
; %bb.81:
	v_and_b32_e32 v1, 0xffff, v129
	v_or_b32_e32 v2, 0x10000, v129
	s_delay_alu instid0(VALU_DEP_2) | instskip(NEXT) | instid1(VALU_DEP_2)
	v_cmp_eq_u32_e32 vcc_lo, 0, v1
	v_cndmask_b32_e32 v1, v2, v129, vcc_lo
; %bb.82:
	s_or_b32 exec_lo, exec_lo, s3
	v_and_b32_e32 v2, 0x7f800000, v130
	s_delay_alu instid0(VALU_DEP_1) | instskip(SKIP_1) | instid1(SALU_CYCLE_1)
	v_cmp_ne_u32_e32 vcc_lo, 0x7f800000, v2
                                        ; implicit-def: $vgpr2
	s_and_saveexec_b32 s3, vcc_lo
	s_xor_b32 s3, exec_lo, s3
; %bb.83:
	v_bfe_u32 v2, v130, 16, 1
	s_delay_alu instid0(VALU_DEP_1)
	v_add3_u32 v2, v130, v2, 0x7fff
; %bb.84:
	s_and_not1_saveexec_b32 s3, s3
; %bb.85:
	v_and_b32_e32 v2, 0xffff, v130
	v_or_b32_e32 v3, 0x10000, v130
	s_delay_alu instid0(VALU_DEP_2) | instskip(NEXT) | instid1(VALU_DEP_2)
	v_cmp_eq_u32_e32 vcc_lo, 0, v2
	v_cndmask_b32_e32 v2, v3, v130, vcc_lo
; %bb.86:
	s_or_b32 exec_lo, exec_lo, s3
	v_and_b32_e32 v3, 0x7f800000, v131
	s_delay_alu instid0(VALU_DEP_1) | instskip(SKIP_1) | instid1(SALU_CYCLE_1)
	v_cmp_ne_u32_e32 vcc_lo, 0x7f800000, v3
                                        ; implicit-def: $vgpr3
	s_and_saveexec_b32 s3, vcc_lo
	s_xor_b32 s3, exec_lo, s3
; %bb.87:
	v_bfe_u32 v3, v131, 16, 1
	s_delay_alu instid0(VALU_DEP_1)
	v_add3_u32 v3, v131, v3, 0x7fff
; %bb.88:
	s_and_not1_saveexec_b32 s3, s3
; %bb.89:
	v_and_b32_e32 v3, 0xffff, v131
	v_or_b32_e32 v4, 0x10000, v131
	s_delay_alu instid0(VALU_DEP_2) | instskip(NEXT) | instid1(VALU_DEP_2)
	v_cmp_eq_u32_e32 vcc_lo, 0, v3
	v_cndmask_b32_e32 v3, v4, v131, vcc_lo
; %bb.90:
	s_or_b32 exec_lo, exec_lo, s3
	v_and_b32_e32 v4, 0x7f800000, v132
	s_delay_alu instid0(VALU_DEP_1) | instskip(SKIP_1) | instid1(SALU_CYCLE_1)
	v_cmp_ne_u32_e32 vcc_lo, 0x7f800000, v4
                                        ; implicit-def: $vgpr4
	s_and_saveexec_b32 s3, vcc_lo
	s_xor_b32 s3, exec_lo, s3
; %bb.91:
	v_bfe_u32 v4, v132, 16, 1
	s_delay_alu instid0(VALU_DEP_1)
	v_add3_u32 v4, v132, v4, 0x7fff
; %bb.92:
	s_and_not1_saveexec_b32 s3, s3
; %bb.93:
	v_and_b32_e32 v4, 0xffff, v132
	v_or_b32_e32 v5, 0x10000, v132
	s_delay_alu instid0(VALU_DEP_2) | instskip(NEXT) | instid1(VALU_DEP_2)
	v_cmp_eq_u32_e32 vcc_lo, 0, v4
	v_cndmask_b32_e32 v4, v5, v132, vcc_lo
; %bb.94:
	s_or_b32 exec_lo, exec_lo, s3
	v_and_b32_e32 v5, 0x7f800000, v133
	s_delay_alu instid0(VALU_DEP_1) | instskip(SKIP_1) | instid1(SALU_CYCLE_1)
	v_cmp_ne_u32_e32 vcc_lo, 0x7f800000, v5
                                        ; implicit-def: $vgpr5
	s_and_saveexec_b32 s3, vcc_lo
	s_xor_b32 s3, exec_lo, s3
; %bb.95:
	v_bfe_u32 v5, v133, 16, 1
	s_delay_alu instid0(VALU_DEP_1)
	v_add3_u32 v5, v133, v5, 0x7fff
; %bb.96:
	s_and_not1_saveexec_b32 s3, s3
; %bb.97:
	v_and_b32_e32 v5, 0xffff, v133
	v_or_b32_e32 v6, 0x10000, v133
	s_delay_alu instid0(VALU_DEP_2) | instskip(NEXT) | instid1(VALU_DEP_2)
	v_cmp_eq_u32_e32 vcc_lo, 0, v5
	v_cndmask_b32_e32 v5, v6, v133, vcc_lo
; %bb.98:
	s_or_b32 exec_lo, exec_lo, s3
	v_and_b32_e32 v6, 0x7f800000, v134
	s_delay_alu instid0(VALU_DEP_1) | instskip(SKIP_1) | instid1(SALU_CYCLE_1)
	v_cmp_ne_u32_e32 vcc_lo, 0x7f800000, v6
                                        ; implicit-def: $vgpr6
	s_and_saveexec_b32 s3, vcc_lo
	s_xor_b32 s3, exec_lo, s3
; %bb.99:
	v_bfe_u32 v6, v134, 16, 1
	s_delay_alu instid0(VALU_DEP_1)
	v_add3_u32 v6, v134, v6, 0x7fff
; %bb.100:
	s_and_not1_saveexec_b32 s3, s3
; %bb.101:
	v_and_b32_e32 v6, 0xffff, v134
	v_or_b32_e32 v7, 0x10000, v134
	s_delay_alu instid0(VALU_DEP_2) | instskip(NEXT) | instid1(VALU_DEP_2)
	v_cmp_eq_u32_e32 vcc_lo, 0, v6
	v_cndmask_b32_e32 v6, v7, v134, vcc_lo
; %bb.102:
	s_or_b32 exec_lo, exec_lo, s3
	v_and_b32_e32 v7, 0x7f800000, v135
	s_delay_alu instid0(VALU_DEP_1) | instskip(SKIP_1) | instid1(SALU_CYCLE_1)
	v_cmp_ne_u32_e32 vcc_lo, 0x7f800000, v7
                                        ; implicit-def: $vgpr7
	s_and_saveexec_b32 s3, vcc_lo
	s_xor_b32 s3, exec_lo, s3
; %bb.103:
	v_bfe_u32 v7, v135, 16, 1
	s_delay_alu instid0(VALU_DEP_1)
	v_add3_u32 v7, v135, v7, 0x7fff
; %bb.104:
	s_and_not1_saveexec_b32 s3, s3
; %bb.105:
	v_and_b32_e32 v7, 0xffff, v135
	v_or_b32_e32 v8, 0x10000, v135
	s_delay_alu instid0(VALU_DEP_2) | instskip(NEXT) | instid1(VALU_DEP_2)
	v_cmp_eq_u32_e32 vcc_lo, 0, v7
	v_cndmask_b32_e32 v7, v8, v135, vcc_lo
; %bb.106:
	s_or_b32 exec_lo, exec_lo, s3
	v_and_b32_e32 v8, 0x7f800000, v136
	s_delay_alu instid0(VALU_DEP_1) | instskip(SKIP_1) | instid1(SALU_CYCLE_1)
	v_cmp_ne_u32_e32 vcc_lo, 0x7f800000, v8
                                        ; implicit-def: $vgpr8
	s_and_saveexec_b32 s3, vcc_lo
	s_xor_b32 s3, exec_lo, s3
; %bb.107:
	v_bfe_u32 v8, v136, 16, 1
	s_delay_alu instid0(VALU_DEP_1)
	v_add3_u32 v8, v136, v8, 0x7fff
                                        ; implicit-def: $vgpr129_vgpr130_vgpr131_vgpr132_vgpr133_vgpr134_vgpr135_vgpr136
; %bb.108:
	s_and_not1_saveexec_b32 s3, s3
; %bb.109:
	v_and_b32_e32 v8, 0xffff, v136
	v_or_b32_e32 v9, 0x10000, v136
	s_delay_alu instid0(VALU_DEP_2) | instskip(NEXT) | instid1(VALU_DEP_2)
	v_cmp_eq_u32_e32 vcc_lo, 0, v8
	v_cndmask_b32_e32 v8, v9, v136, vcc_lo
; %bb.110:
	s_or_b32 exec_lo, exec_lo, s3
	s_delay_alu instid0(VALU_DEP_1)
	v_perm_b32 v7, v8, v7, 0x7060302
	v_perm_b32 v6, v6, v5, 0x7060302
	;; [unrolled: 1-line block ×4, first 2 shown]
	v_lshl_or_b32 v9, v138, 4, v145
	s_barrier
	buffer_gl0_inv
	v_cmp_eq_u32_e32 vcc_lo, 1, v142
	ds_store_b128 v9, v[4:7]
	s_waitcnt lgkmcnt(0)
	s_barrier
	buffer_gl0_inv
	ds_load_b128 v[1:4], v145
	ds_load_b128 v[5:8], v145 offset:16
	v_cmp_eq_u32_e64 s4, 2, v142
	v_cmp_eq_u32_e64 s3, 1, v143
	;; [unrolled: 1-line block ×5, first 2 shown]
	s_waitcnt lgkmcnt(1)
	v_lshrrev_b32_e32 v10, 16, v1
	s_waitcnt lgkmcnt(0)
	v_lshrrev_b32_e32 v14, 16, v5
	v_lshrrev_b32_e32 v15, 16, v6
	v_lshrrev_b32_e32 v11, 16, v2
	v_lshrrev_b32_e32 v12, 16, v3
	v_cndmask_b32_e64 v20, v1, v10, s3
	v_cndmask_b32_e32 v19, v5, v14, vcc_lo
	v_cndmask_b32_e64 v21, v5, v14, s3
	v_lshrrev_b32_e32 v16, 16, v7
	v_cmp_eq_u32_e64 s3, 1, v141
	v_lshrrev_b32_e32 v13, 16, v4
	v_cndmask_b32_e64 v19, v19, v6, s4
	v_lshrrev_b32_e32 v17, 16, v8
	s_delay_alu instid0(VALU_DEP_4) | instskip(SKIP_1) | instid1(VALU_DEP_4)
	v_cndmask_b32_e64 v22, v1, v10, s3
	v_cndmask_b32_e64 v23, v5, v14, s3
	;; [unrolled: 1-line block ×3, first 2 shown]
	v_cndmask_b32_e32 v18, v1, v10, vcc_lo
	v_cmp_eq_u32_e32 vcc_lo, 2, v143
	v_cmp_eq_u32_e64 s3, 2, v146
	v_cndmask_b32_e64 v22, v22, v2, s7
	v_cndmask_b32_e32 v20, v20, v2, vcc_lo
	v_cndmask_b32_e32 v21, v21, v6, vcc_lo
	v_cmp_eq_u32_e32 vcc_lo, 4, v142
	v_cndmask_b32_e32 v19, v19, v7, vcc_lo
	v_cndmask_b32_e64 v18, v18, v2, s4
	v_cmp_eq_u32_e64 s4, 3, v143
	s_delay_alu instid0(VALU_DEP_2) | instskip(NEXT) | instid1(VALU_DEP_2)
	v_cndmask_b32_e64 v18, v18, v11, s5
	v_cndmask_b32_e64 v21, v21, v15, s4
	v_cmp_eq_u32_e64 s5, 5, v142
	s_delay_alu instid0(VALU_DEP_3) | instskip(SKIP_1) | instid1(VALU_DEP_3)
	v_cndmask_b32_e32 v18, v18, v3, vcc_lo
	v_cmp_eq_u32_e32 vcc_lo, 4, v143
	v_cndmask_b32_e64 v19, v19, v16, s5
	s_delay_alu instid0(VALU_DEP_3) | instskip(SKIP_4) | instid1(VALU_DEP_3)
	v_cndmask_b32_e64 v18, v18, v12, s5
	v_cndmask_b32_e32 v21, v21, v7, vcc_lo
	v_cndmask_b32_e64 v20, v20, v11, s4
	v_cmp_eq_u32_e64 s4, 5, v143
	v_cmp_eq_u32_e64 s5, 6, v142
	v_cndmask_b32_e32 v20, v20, v3, vcc_lo
	s_delay_alu instid0(VALU_DEP_3) | instskip(SKIP_1) | instid1(VALU_DEP_4)
	v_cndmask_b32_e64 v21, v21, v16, s4
	v_cmp_eq_u32_e32 vcc_lo, 6, v143
	v_cndmask_b32_e64 v18, v18, v4, s5
	v_cndmask_b32_e64 v19, v19, v8, s5
	;; [unrolled: 1-line block ×3, first 2 shown]
	v_cmp_eq_u32_e64 s4, 1, v146
	v_cmp_eq_u32_e64 s5, 7, v142
	s_delay_alu instid0(VALU_DEP_3) | instskip(NEXT) | instid1(VALU_DEP_3)
	v_cndmask_b32_e32 v20, v20, v4, vcc_lo
	v_cndmask_b32_e64 v1, v1, v10, s4
	v_cndmask_b32_e64 v5, v5, v14, s4
	v_cmp_eq_u32_e64 s4, 3, v141
	v_cndmask_b32_e64 v14, v23, v6, s7
	v_cmp_eq_u32_e64 s7, 3, v146
	v_cndmask_b32_e64 v1, v1, v2, s3
	v_cndmask_b32_e64 v2, v5, v6, s3
	;; [unrolled: 1-line block ×3, first 2 shown]
	v_cmp_eq_u32_e64 s3, 4, v141
	v_cndmask_b32_e64 v6, v14, v15, s4
	v_cndmask_b32_e64 v1, v1, v11, s7
	v_cmp_eq_u32_e64 s4, 4, v146
	v_cndmask_b32_e64 v2, v2, v15, s7
	v_cndmask_b32_e64 v5, v10, v3, s3
	v_cmp_eq_u32_e64 s7, 5, v141
	v_cndmask_b32_e64 v6, v6, v7, s3
	v_cndmask_b32_e64 v1, v1, v3, s4
	v_cndmask_b32_e64 v2, v2, v7, s4
	v_cmp_eq_u32_e64 s3, 5, v146
	v_cndmask_b32_e64 v5, v5, v12, s7
	v_cmp_eq_u32_e64 s4, 6, v141
	;; [unrolled: 2-line block ×3, first 2 shown]
	v_cndmask_b32_e64 v1, v1, v12, s3
	v_cndmask_b32_e64 v2, v2, v16, s3
	;; [unrolled: 1-line block ×4, first 2 shown]
	v_cmp_eq_u32_e64 s3, 7, v146
	v_cndmask_b32_e64 v1, v1, v4, s7
	v_cndmask_b32_e64 v2, v2, v8, s7
	v_cmp_eq_u32_e64 s4, 7, v141
	v_cndmask_b32_e32 v4, v21, v8, vcc_lo
	v_cndmask_b32_e64 v18, v18, v13, s5
	v_cndmask_b32_e64 v20, v20, v13, s6
	;; [unrolled: 1-line block ×8, first 2 shown]
	s_mov_b32 s3, exec_lo
	v_perm_b32 v4, v2, v1, 0x5040100
	v_perm_b32 v3, v3, v5, 0x5040100
	;; [unrolled: 1-line block ×4, first 2 shown]
	ds_store_b128 v9, v[1:4]
	s_waitcnt lgkmcnt(0)
	s_barrier
	buffer_gl0_inv
	v_cmpx_gt_u32_e32 32, v0
	s_cbranch_execz .LBB644_2
; %bb.111:
	s_load_b64 s[4:5], s[0:1], 0x68
	v_lshlrev_b32_e32 v0, 10, v0
	v_lshlrev_b32_e32 v1, 4, v139
	s_lshl_b32 s0, s34, 7
	v_add_nc_u32_e32 v7, s31, v138
	s_mul_i32 s1, s0, s30
	s_delay_alu instid0(SALU_CYCLE_1) | instskip(SKIP_1) | instid1(VALU_DEP_2)
	s_mul_i32 s6, s1, s8
	v_and_or_b32 v0, 0x3800, v0, v1
	v_mul_lo_u32 v1, v7, s0
	v_add_nc_u32_e32 v2, 2, v7
	s_ashr_i32 s7, s6, 31
	v_add_nc_u32_e32 v4, 4, v7
	s_lshl_b64 s[6:7], s[6:7], 1
	v_add_nc_u32_e32 v8, 6, v7
	v_mul_lo_u32 v3, v2, s0
	v_lshl_or_b32 v19, v138, 6, v0
	v_ashrrev_i32_e32 v2, 31, v1
	v_mul_lo_u32 v11, v4, s0
	v_mul_lo_u32 v25, v8, s0
	s_waitcnt lgkmcnt(0)
	s_add_u32 s1, s4, s6
	s_addc_u32 s3, s5, s7
	s_lshl_b32 s4, s14, 7
	v_lshlrev_b64 v[5:6], 1, v[1:2]
	s_ashr_i32 s5, s4, 31
	v_ashrrev_i32_e32 v4, 31, v3
	s_lshl_b64 s[4:5], s[4:5], 1
	v_ashrrev_i32_e32 v12, 31, v11
	s_add_u32 s1, s1, s4
	s_addc_u32 s3, s3, s5
	v_add_co_u32 v1, s1, s1, v137
	s_delay_alu instid0(VALU_DEP_1) | instskip(SKIP_1) | instid1(VALU_DEP_3)
	v_add_co_ci_u32_e64 v2, null, s3, 0, s1
	v_lshlrev_b64 v[3:4], 1, v[3:4]
	v_add_co_u32 v23, vcc_lo, v1, v5
	v_add_nc_u32_e32 v5, 8, v7
	s_delay_alu instid0(VALU_DEP_4) | instskip(NEXT) | instid1(VALU_DEP_4)
	v_add_co_ci_u32_e32 v24, vcc_lo, v2, v6, vcc_lo
	v_add_co_u32 v27, vcc_lo, v1, v3
	s_delay_alu instid0(VALU_DEP_3)
	v_mul_lo_u32 v29, v5, s0
	v_add_co_ci_u32_e32 v28, vcc_lo, v2, v4, vcc_lo
	ds_load_b128 v[3:6], v19
	ds_load_b128 v[7:10], v19 offset:128
	v_lshlrev_b64 v[31:32], 1, v[11:12]
	ds_load_b128 v[11:14], v19 offset:256
	ds_load_b128 v[15:18], v19 offset:384
	;; [unrolled: 1-line block ×3, first 2 shown]
	v_ashrrev_i32_e32 v26, 31, v25
	v_ashrrev_i32_e32 v30, 31, v29
	v_add_co_u32 v31, vcc_lo, v1, v31
	s_delay_alu instid0(VALU_DEP_3) | instskip(NEXT) | instid1(VALU_DEP_3)
	v_lshlrev_b64 v[25:26], 1, v[25:26]
	v_lshlrev_b64 v[29:30], 1, v[29:30]
	v_add_co_ci_u32_e32 v32, vcc_lo, v2, v32, vcc_lo
	s_delay_alu instid0(VALU_DEP_3) | instskip(NEXT) | instid1(VALU_DEP_4)
	v_add_co_u32 v25, vcc_lo, v1, v25
	v_add_co_ci_u32_e32 v26, vcc_lo, v2, v26, vcc_lo
	s_delay_alu instid0(VALU_DEP_4)
	v_add_co_u32 v29, vcc_lo, v1, v29
	v_add_co_ci_u32_e32 v30, vcc_lo, v2, v30, vcc_lo
	s_waitcnt lgkmcnt(4)
	global_store_b128 v[23:24], v[3:6], off
	s_waitcnt lgkmcnt(3)
	global_store_b128 v[27:28], v[7:10], off
	;; [unrolled: 2-line block ×5, first 2 shown]
	s_and_b32 exec_lo, exec_lo, s2
	s_cbranch_execz .LBB644_2
; %bb.112:
	ds_load_b128 v[3:6], v0 offset:640
	s_add_i32 s1, s31, 10
	s_delay_alu instid0(SALU_CYCLE_1) | instskip(NEXT) | instid1(SALU_CYCLE_1)
	s_mul_i32 s0, s1, s0
	s_ashr_i32 s1, s0, 31
	s_delay_alu instid0(SALU_CYCLE_1) | instskip(NEXT) | instid1(SALU_CYCLE_1)
	s_lshl_b64 s[0:1], s[0:1], 1
	v_add_co_u32 v0, vcc_lo, v1, s0
	v_add_co_ci_u32_e32 v1, vcc_lo, s1, v2, vcc_lo
	s_waitcnt lgkmcnt(0)
	global_store_b128 v[0:1], v[3:6], off
	s_nop 0
	s_sendmsg sendmsg(MSG_DEALLOC_VGPRS)
	s_endpgm
	.section	.rodata,"a",@progbits
	.p2align	6, 0x0
	.amdhsa_kernel _Z39paged_attention_ll4mi_QKV_mfma16_kernelI14__hip_bfloat16S0_LN4vllm18Fp8KVCacheDataTypeE0ES0_Li16ELi128ELi256ELb1ELi11EL8MFMAType0EEvPKT_PKT0_S9_ifPKiSB_SB_iPKfiiiPfSE_PS4_PT2_iSD_SD_
		.amdhsa_group_segment_fixed_size 17472
		.amdhsa_private_segment_fixed_size 0
		.amdhsa_kernarg_size 400
		.amdhsa_user_sgpr_count 13
		.amdhsa_user_sgpr_dispatch_ptr 0
		.amdhsa_user_sgpr_queue_ptr 0
		.amdhsa_user_sgpr_kernarg_segment_ptr 1
		.amdhsa_user_sgpr_dispatch_id 0
		.amdhsa_user_sgpr_private_segment_size 0
		.amdhsa_wavefront_size32 1
		.amdhsa_uses_dynamic_stack 0
		.amdhsa_enable_private_segment 0
		.amdhsa_system_sgpr_workgroup_id_x 1
		.amdhsa_system_sgpr_workgroup_id_y 1
		.amdhsa_system_sgpr_workgroup_id_z 1
		.amdhsa_system_sgpr_workgroup_info 0
		.amdhsa_system_vgpr_workitem_id 0
		.amdhsa_next_free_vgpr 218
		.amdhsa_next_free_sgpr 50
		.amdhsa_reserve_vcc 1
		.amdhsa_float_round_mode_32 0
		.amdhsa_float_round_mode_16_64 0
		.amdhsa_float_denorm_mode_32 3
		.amdhsa_float_denorm_mode_16_64 3
		.amdhsa_dx10_clamp 1
		.amdhsa_ieee_mode 1
		.amdhsa_fp16_overflow 0
		.amdhsa_workgroup_processor_mode 1
		.amdhsa_memory_ordered 1
		.amdhsa_forward_progress 0
		.amdhsa_shared_vgpr_count 0
		.amdhsa_exception_fp_ieee_invalid_op 0
		.amdhsa_exception_fp_denorm_src 0
		.amdhsa_exception_fp_ieee_div_zero 0
		.amdhsa_exception_fp_ieee_overflow 0
		.amdhsa_exception_fp_ieee_underflow 0
		.amdhsa_exception_fp_ieee_inexact 0
		.amdhsa_exception_int_div_zero 0
	.end_amdhsa_kernel
	.section	.text._Z39paged_attention_ll4mi_QKV_mfma16_kernelI14__hip_bfloat16S0_LN4vllm18Fp8KVCacheDataTypeE0ES0_Li16ELi128ELi256ELb1ELi11EL8MFMAType0EEvPKT_PKT0_S9_ifPKiSB_SB_iPKfiiiPfSE_PS4_PT2_iSD_SD_,"axG",@progbits,_Z39paged_attention_ll4mi_QKV_mfma16_kernelI14__hip_bfloat16S0_LN4vllm18Fp8KVCacheDataTypeE0ES0_Li16ELi128ELi256ELb1ELi11EL8MFMAType0EEvPKT_PKT0_S9_ifPKiSB_SB_iPKfiiiPfSE_PS4_PT2_iSD_SD_,comdat
.Lfunc_end644:
	.size	_Z39paged_attention_ll4mi_QKV_mfma16_kernelI14__hip_bfloat16S0_LN4vllm18Fp8KVCacheDataTypeE0ES0_Li16ELi128ELi256ELb1ELi11EL8MFMAType0EEvPKT_PKT0_S9_ifPKiSB_SB_iPKfiiiPfSE_PS4_PT2_iSD_SD_, .Lfunc_end644-_Z39paged_attention_ll4mi_QKV_mfma16_kernelI14__hip_bfloat16S0_LN4vllm18Fp8KVCacheDataTypeE0ES0_Li16ELi128ELi256ELb1ELi11EL8MFMAType0EEvPKT_PKT0_S9_ifPKiSB_SB_iPKfiiiPfSE_PS4_PT2_iSD_SD_
                                        ; -- End function
	.section	.AMDGPU.csdata,"",@progbits
; Kernel info:
; codeLenInByte = 10392
; NumSgprs: 52
; NumVgprs: 218
; ScratchSize: 0
; MemoryBound: 0
; FloatMode: 240
; IeeeMode: 1
; LDSByteSize: 17472 bytes/workgroup (compile time only)
; SGPRBlocks: 6
; VGPRBlocks: 27
; NumSGPRsForWavesPerEU: 52
; NumVGPRsForWavesPerEU: 218
; Occupancy: 6
; WaveLimiterHint : 1
; COMPUTE_PGM_RSRC2:SCRATCH_EN: 0
; COMPUTE_PGM_RSRC2:USER_SGPR: 13
; COMPUTE_PGM_RSRC2:TRAP_HANDLER: 0
; COMPUTE_PGM_RSRC2:TGID_X_EN: 1
; COMPUTE_PGM_RSRC2:TGID_Y_EN: 1
; COMPUTE_PGM_RSRC2:TGID_Z_EN: 1
; COMPUTE_PGM_RSRC2:TIDIG_COMP_CNT: 0
	.section	.text._Z39paged_attention_ll4mi_QKV_mfma16_kernelI14__hip_bfloat16S0_LN4vllm18Fp8KVCacheDataTypeE0ES0_Li16ELi128ELi256ELb1ELi12EL8MFMAType0EEvPKT_PKT0_S9_ifPKiSB_SB_iPKfiiiPfSE_PS4_PT2_iSD_SD_,"axG",@progbits,_Z39paged_attention_ll4mi_QKV_mfma16_kernelI14__hip_bfloat16S0_LN4vllm18Fp8KVCacheDataTypeE0ES0_Li16ELi128ELi256ELb1ELi12EL8MFMAType0EEvPKT_PKT0_S9_ifPKiSB_SB_iPKfiiiPfSE_PS4_PT2_iSD_SD_,comdat
	.protected	_Z39paged_attention_ll4mi_QKV_mfma16_kernelI14__hip_bfloat16S0_LN4vllm18Fp8KVCacheDataTypeE0ES0_Li16ELi128ELi256ELb1ELi12EL8MFMAType0EEvPKT_PKT0_S9_ifPKiSB_SB_iPKfiiiPfSE_PS4_PT2_iSD_SD_ ; -- Begin function _Z39paged_attention_ll4mi_QKV_mfma16_kernelI14__hip_bfloat16S0_LN4vllm18Fp8KVCacheDataTypeE0ES0_Li16ELi128ELi256ELb1ELi12EL8MFMAType0EEvPKT_PKT0_S9_ifPKiSB_SB_iPKfiiiPfSE_PS4_PT2_iSD_SD_
	.globl	_Z39paged_attention_ll4mi_QKV_mfma16_kernelI14__hip_bfloat16S0_LN4vllm18Fp8KVCacheDataTypeE0ES0_Li16ELi128ELi256ELb1ELi12EL8MFMAType0EEvPKT_PKT0_S9_ifPKiSB_SB_iPKfiiiPfSE_PS4_PT2_iSD_SD_
	.p2align	8
	.type	_Z39paged_attention_ll4mi_QKV_mfma16_kernelI14__hip_bfloat16S0_LN4vllm18Fp8KVCacheDataTypeE0ES0_Li16ELi128ELi256ELb1ELi12EL8MFMAType0EEvPKT_PKT0_S9_ifPKiSB_SB_iPKfiiiPfSE_PS4_PT2_iSD_SD_,@function
_Z39paged_attention_ll4mi_QKV_mfma16_kernelI14__hip_bfloat16S0_LN4vllm18Fp8KVCacheDataTypeE0ES0_Li16ELi128ELi256ELb1ELi12EL8MFMAType0EEvPKT_PKT0_S9_ifPKiSB_SB_iPKfiiiPfSE_PS4_PT2_iSD_SD_: ; @_Z39paged_attention_ll4mi_QKV_mfma16_kernelI14__hip_bfloat16S0_LN4vllm18Fp8KVCacheDataTypeE0ES0_Li16ELi128ELi256ELb1ELi12EL8MFMAType0EEvPKT_PKT0_S9_ifPKiSB_SB_iPKfiiiPfSE_PS4_PT2_iSD_SD_
; %bb.0:
	s_load_b64 s[4:5], s[0:1], 0x30
	s_mov_b32 s30, s13
	s_waitcnt lgkmcnt(0)
	s_cmp_lg_u64 s[4:5], 0
	s_cselect_b32 s8, -1, 0
	s_ashr_i32 s31, s13, 31
	s_cmp_eq_u64 s[4:5], 0
	s_cbranch_scc1 .LBB645_3
; %bb.1:
	s_lshl_b64 s[2:3], s[30:31], 2
	s_delay_alu instid0(SALU_CYCLE_1) | instskip(SKIP_4) | instid1(SALU_CYCLE_1)
	s_add_u32 s2, s4, s2
	s_addc_u32 s3, s5, s3
	s_load_b64 s[2:3], s[2:3], 0x0
	s_waitcnt lgkmcnt(0)
	s_sub_i32 s2, s3, s2
	s_cmp_eq_u32 s2, 1
	s_cselect_b32 s2, -1, 0
	s_delay_alu instid0(SALU_CYCLE_1)
	s_and_not1_b32 vcc_lo, exec_lo, s2
	s_cbranch_vccz .LBB645_4
.LBB645_2:
	s_endpgm
.LBB645_3:
.LBB645_4:
	s_load_b64 s[2:3], s[0:1], 0x28
	s_lshl_b64 s[6:7], s[30:31], 2
	s_waitcnt lgkmcnt(0)
	s_add_u32 s2, s2, s6
	s_addc_u32 s3, s3, s7
	s_lshl_b32 s31, s14, 8
	s_load_b32 s28, s[2:3], 0x0
	s_waitcnt lgkmcnt(0)
	s_cmp_ge_i32 s31, s28
	s_cbranch_scc1 .LBB645_2
; %bb.5:
	s_clause 0x1
	s_load_b128 s[20:23], s[0:1], 0x8
	s_load_b64 s[2:3], s[0:1], 0x20
	s_and_not1_b32 vcc_lo, exec_lo, s8
	s_cbranch_vccnz .LBB645_7
; %bb.6:
	s_add_u32 s4, s4, s6
	s_addc_u32 s5, s5, s7
	s_load_b32 s5, s[4:5], 0x0
	s_branch .LBB645_8
.LBB645_7:
	s_mov_b32 s5, s30
.LBB645_8:
	s_load_b128 s[16:19], s[0:1], 0x48
	v_and_b32_e32 v140, 15, v0
	v_lshrrev_b32_e32 v141, 5, v0
	v_and_b32_e32 v142, 31, v0
	v_and_b32_e32 v139, 1, v0
	v_bfe_u32 v138, v0, 4, 1
	v_lshlrev_b32_e32 v1, 3, v140
	s_mul_i32 s29, s15, 12
	s_mov_b32 s4, exec_lo
	s_delay_alu instid0(VALU_DEP_1)
	v_lshlrev_b32_e32 v137, 1, v1
	v_cmpx_gt_u32_e32 0xc0, v0
	s_cbranch_execz .LBB645_10
; %bb.9:
	s_load_b64 s[6:7], s[0:1], 0x0
	v_lshl_or_b32 v5, v141, 1, v138
	s_waitcnt lgkmcnt(0)
	s_mul_hi_i32 s9, s5, s16
	s_mul_i32 s8, s5, s16
	v_lshlrev_b32_e32 v6, 10, v140
	s_lshl_b64 s[8:9], s[8:9], 1
	v_add_lshl_u32 v1, v5, s29, 7
	v_lshlrev_b32_e32 v5, 6, v5
	v_lshlrev_b32_e32 v7, 10, v139
	v_and_b32_e32 v6, 0x3800, v6
	s_delay_alu instid0(VALU_DEP_4) | instskip(NEXT) | instid1(VALU_DEP_2)
	v_ashrrev_i32_e32 v2, 31, v1
	v_or3_b32 v5, v6, v7, v5
	s_delay_alu instid0(VALU_DEP_2) | instskip(SKIP_2) | instid1(VALU_DEP_1)
	v_lshlrev_b64 v[1:2], 1, v[1:2]
	s_add_u32 s5, s6, s8
	s_addc_u32 s6, s7, s9
	v_add_co_u32 v1, vcc_lo, s5, v1
	s_delay_alu instid0(VALU_DEP_2) | instskip(NEXT) | instid1(VALU_DEP_2)
	v_add_co_ci_u32_e32 v2, vcc_lo, s6, v2, vcc_lo
	v_add_co_u32 v1, vcc_lo, v1, v137
	s_delay_alu instid0(VALU_DEP_2)
	v_add_co_ci_u32_e32 v2, vcc_lo, 0, v2, vcc_lo
	global_load_b128 v[1:4], v[1:2], off
	s_waitcnt vmcnt(0)
	ds_store_b128 v5, v[1:4]
.LBB645_10:
	s_or_b32 exec_lo, exec_lo, s4
	v_and_b32_e32 v1, 0xef, v0
	s_waitcnt lgkmcnt(0)
	s_add_i32 s5, s28, 15
	s_clause 0x1
	s_load_b32 s4, s[0:1], 0x38
	s_load_b32 s33, s[0:1], 0x1c
	s_ashr_i32 s6, s5, 31
	v_add_nc_u32_e32 v1, s31, v1
	s_lshr_b32 s6, s6, 28
	s_waitcnt lgkmcnt(0)
	s_add_i32 s5, s5, s6
	s_barrier
	v_ashrrev_i32_e32 v2, 31, v1
	v_cmp_gt_i32_e32 vcc_lo, s28, v1
	s_ashr_i32 s16, s5, 4
	buffer_gl0_inv
	s_add_i32 s16, s16, -1
	v_lshrrev_b32_e32 v3, 28, v2
	v_or_b32_e32 v2, 16, v1
	v_add_nc_u32_e32 v105, -12, v140
	v_lshlrev_b32_e32 v106, 5, v140
	s_delay_alu instid0(VALU_DEP_4) | instskip(NEXT) | instid1(VALU_DEP_4)
	v_add_nc_u32_e32 v4, v1, v3
	v_add_nc_u32_e32 v3, v2, v3
	s_mul_i32 s4, s30, s4
	s_delay_alu instid0(VALU_DEP_3) | instskip(SKIP_4) | instid1(SALU_CYCLE_1)
	v_lshl_or_b32 v125, v141, 9, v106
	s_ashr_i32 s5, s4, 31
	v_ashrrev_i32_e32 v4, 4, v4
	v_ashrrev_i32_e32 v3, 4, v3
	s_lshl_b64 s[4:5], s[4:5], 2
	s_add_u32 s34, s2, s4
	s_delay_alu instid0(VALU_DEP_2) | instskip(SKIP_3) | instid1(VALU_DEP_2)
	v_cndmask_b32_e32 v1, s16, v4, vcc_lo
	v_cmp_gt_i32_e32 vcc_lo, s28, v2
	s_addc_u32 s35, s3, s5
	s_mul_i32 s2, s15, s18
	v_ashrrev_i32_e32 v2, 31, v1
	v_cndmask_b32_e32 v3, s16, v3, vcc_lo
	s_ashr_i32 s3, s2, 31
	s_delay_alu instid0(SALU_CYCLE_1) | instskip(NEXT) | instid1(VALU_DEP_2)
	s_lshl_b64 s[2:3], s[2:3], 1
	v_lshlrev_b64 v[1:2], 2, v[1:2]
	s_delay_alu instid0(VALU_DEP_2) | instskip(SKIP_3) | instid1(VALU_DEP_1)
	v_ashrrev_i32_e32 v4, 31, v3
	s_add_u32 s24, s20, s2
	s_addc_u32 s25, s21, s3
	s_lshl_b32 s4, s14, 4
	v_lshlrev_b64 v[3:4], 2, v[3:4]
	v_add_co_u32 v1, vcc_lo, s34, v1
	v_add_co_ci_u32_e32 v2, vcc_lo, s35, v2, vcc_lo
	s_ashr_i32 s5, s4, 31
	s_delay_alu instid0(VALU_DEP_3) | instskip(NEXT) | instid1(VALU_DEP_4)
	v_add_co_u32 v3, vcc_lo, s34, v3
	v_add_co_ci_u32_e32 v4, vcc_lo, s35, v4, vcc_lo
	s_lshl_b64 s[4:5], s[4:5], 2
	s_clause 0x1
	global_load_b32 v5, v[1:2], off
	global_load_b32 v6, v[3:4], off
	s_add_u32 s4, s34, s4
	s_addc_u32 s5, s35, s5
	s_or_b32 s6, s31, 16
	v_lshlrev_b32_e32 v3, 4, v0
	s_ashr_i32 s7, s6, 4
	s_cmp_lt_i32 s6, s28
	s_cselect_b32 s6, s7, s16
	s_delay_alu instid0(SALU_CYCLE_1) | instskip(NEXT) | instid1(SALU_CYCLE_1)
	s_ashr_i32 s7, s6, 31
	s_lshl_b64 s[6:7], s[6:7], 2
	s_delay_alu instid0(SALU_CYCLE_1) | instskip(SKIP_2) | instid1(SALU_CYCLE_1)
	s_add_u32 s6, s34, s6
	s_addc_u32 s7, s35, s7
	s_or_b32 s8, s31, 32
	s_ashr_i32 s9, s8, 4
	s_cmp_lt_i32 s8, s28
	s_cselect_b32 s8, s9, s16
	s_delay_alu instid0(SALU_CYCLE_1) | instskip(NEXT) | instid1(SALU_CYCLE_1)
	s_ashr_i32 s9, s8, 31
	s_lshl_b64 s[8:9], s[8:9], 2
	s_delay_alu instid0(SALU_CYCLE_1) | instskip(SKIP_2) | instid1(SALU_CYCLE_1)
	s_add_u32 s8, s34, s8
	s_addc_u32 s9, s35, s9
	s_or_b32 s10, s31, 48
	;; [unrolled: 10-line block ×4, first 2 shown]
	s_ashr_i32 s13, s12, 4
	s_cmp_lt_i32 s12, s28
	s_cselect_b32 s12, s13, s16
	s_delay_alu instid0(SALU_CYCLE_1) | instskip(NEXT) | instid1(SALU_CYCLE_1)
	s_ashr_i32 s13, s12, 31
	s_lshl_b64 s[12:13], s[12:13], 2
	s_delay_alu instid0(SALU_CYCLE_1)
	s_add_u32 s20, s34, s12
	s_addc_u32 s21, s35, s13
	s_clause 0x5
	s_load_b32 s36, s[4:5], 0x0
	s_load_b32 s27, s[6:7], 0x0
	;; [unrolled: 1-line block ×6, first 2 shown]
	s_waitcnt vmcnt(1)
	v_mad_i64_i32 v[1:2], null, v5, s17, 0
	v_and_b32_e32 v5, 0xf0, v3
	s_waitcnt vmcnt(0)
	v_mad_i64_i32 v[3:4], null, v6, s17, 0
	s_delay_alu instid0(VALU_DEP_2) | instskip(NEXT) | instid1(VALU_DEP_4)
	v_add_co_u32 v5, s4, s24, v5
	v_lshlrev_b64 v[1:2], 1, v[1:2]
	v_add_co_ci_u32_e64 v6, null, s25, 0, s4
	s_delay_alu instid0(VALU_DEP_4) | instskip(SKIP_1) | instid1(VALU_DEP_3)
	v_lshlrev_b64 v[3:4], 1, v[3:4]
	s_or_b32 s4, s31, 0x60
	v_add_co_u32 v121, vcc_lo, v5, v1
	s_delay_alu instid0(VALU_DEP_3) | instskip(NEXT) | instid1(VALU_DEP_3)
	v_add_co_ci_u32_e32 v122, vcc_lo, v6, v2, vcc_lo
	v_add_co_u32 v123, vcc_lo, v5, v3
	s_delay_alu instid0(VALU_DEP_4)
	v_add_co_ci_u32_e32 v124, vcc_lo, v6, v4, vcc_lo
	s_clause 0x19
	global_load_b128 v[89:92], v[121:122], off
	global_load_b128 v[93:96], v[121:122], off offset:256
	global_load_b128 v[97:100], v[123:124], off
	global_load_b128 v[101:104], v[123:124], off offset:256
	global_load_b128 v[81:84], v[121:122], off offset:512
	;; [unrolled: 1-line block ×23, first 2 shown]
	s_ashr_i32 s5, s4, 4
	s_cmp_lt_i32 s4, s28
	v_cmp_gt_u32_e32 vcc_lo, 12, v140
	s_cselect_b32 s4, s5, s16
	s_delay_alu instid0(SALU_CYCLE_1) | instskip(NEXT) | instid1(SALU_CYCLE_1)
	s_ashr_i32 s5, s4, 31
	s_lshl_b64 s[4:5], s[4:5], 2
	v_cndmask_b32_e32 v105, v105, v140, vcc_lo
	s_add_u32 s18, s34, s4
	s_addc_u32 s19, s35, s5
	s_or_b32 s4, s31, 0x70
	s_delay_alu instid0(SALU_CYCLE_1)
	s_ashr_i32 s5, s4, 4
	s_cmp_lt_i32 s4, s28
	v_lshlrev_b32_e32 v215, 6, v105
	s_cselect_b32 s6, s5, s16
	ds_load_b128 v[105:108], v215
	ds_load_b128 v[109:112], v215 offset:1024
	s_ashr_i32 s7, s6, 31
	ds_load_b128 v[113:116], v215 offset:2048
	ds_load_b128 v[117:120], v215 offset:3072
	;; [unrolled: 1-line block ×8, first 2 shown]
	s_clause 0x1
	global_load_b128 v[167:170], v[123:124], off offset:3072
	global_load_b128 v[171:174], v[123:124], off offset:3328
	s_lshl_b64 s[6:7], s[6:7], 2
	s_mov_b32 s4, 0
	s_add_u32 s20, s34, s6
	s_addc_u32 s21, s35, s7
	s_clause 0x1
	s_load_b32 s42, s[18:19], 0x0
	s_load_b32 s43, s[20:21], 0x0
	s_clause 0x3
	global_load_b128 v[175:178], v[121:122], off offset:3584
	global_load_b128 v[179:182], v[121:122], off offset:3840
	;; [unrolled: 1-line block ×4, first 2 shown]
	s_or_b32 s7, s31, 0x80
	s_mov_b32 s5, s4
	s_ashr_i32 s8, s7, 4
	s_cmp_lt_i32 s7, s28
	s_mov_b32 s6, s4
	s_cselect_b32 s10, s8, s16
	s_mov_b32 s7, s4
	s_ashr_i32 s11, s10, 31
	s_mov_b32 s8, s4
	s_lshl_b64 s[24:25], s[10:11], 2
	s_mov_b32 s9, s4
	s_add_u32 s24, s34, s24
	s_addc_u32 s25, s35, s25
	s_or_b32 s11, s31, 0x90
	s_mov_b32 s10, s4
	s_ashr_i32 s37, s11, 4
	s_cmp_lt_i32 s11, s28
	s_mov_b32 s11, s4
	s_cselect_b32 s38, s37, s16
	v_mov_b32_e32 v136, s11
	s_ashr_i32 s39, s38, 31
	v_dual_mov_b32 v135, s10 :: v_dual_mov_b32 v134, s9
	v_dual_mov_b32 v133, s8 :: v_dual_mov_b32 v132, s7
	;; [unrolled: 1-line block ×3, first 2 shown]
	v_mov_b32_e32 v129, s4
	s_lshl_b64 s[4:5], s[38:39], 2
	s_waitcnt lgkmcnt(0)
	s_mul_hi_i32 s7, s27, s17
	s_add_u32 s38, s34, s4
	s_addc_u32 s39, s35, s5
	s_or_b32 s4, s31, 0xa0
	s_load_b32 s39, s[38:39], 0x0
	s_ashr_i32 s5, s4, 4
	s_cmp_lt_i32 s4, s28
	s_cselect_b32 s4, s5, s16
	s_delay_alu instid0(SALU_CYCLE_1) | instskip(NEXT) | instid1(SALU_CYCLE_1)
	s_ashr_i32 s5, s4, 31
	s_lshl_b64 s[4:5], s[4:5], 2
	s_delay_alu instid0(SALU_CYCLE_1)
	s_add_u32 s40, s34, s4
	s_addc_u32 s41, s35, s5
	s_or_b32 s4, s31, 0xb0
	s_mul_hi_i32 s5, s36, s17
	s_ashr_i32 s6, s4, 4
	s_cmp_lt_i32 s4, s28
	s_mul_i32 s4, s36, s17
	s_cselect_b32 s8, s6, s16
	s_mul_i32 s6, s27, s17
	s_ashr_i32 s9, s8, 31
	s_load_b32 s38, s[40:41], 0x0
	s_lshl_b64 s[10:11], s[8:9], 2
	s_mul_hi_i32 s9, s26, s17
	s_add_u32 s36, s34, s10
	s_addc_u32 s37, s35, s11
	s_or_b32 s10, s31, 0xc0
	s_mul_i32 s8, s26, s17
	s_ashr_i32 s26, s10, 4
	s_cmp_lt_i32 s10, s28
	s_mul_hi_i32 s11, s13, s17
	s_cselect_b32 s26, s26, s16
	s_mul_i32 s10, s13, s17
	s_ashr_i32 s27, s26, 31
	s_mul_hi_i32 s13, s12, s17
	s_lshl_b64 s[26:27], s[26:27], 2
	s_mul_i32 s12, s12, s17
	s_add_u32 s20, s34, s26
	s_addc_u32 s21, s35, s27
	s_or_b32 s18, s31, 0xd0
	s_load_b32 s26, s[24:25], 0x0
	s_ashr_i32 s19, s18, 4
	s_cmp_lt_i32 s18, s28
	s_mul_i32 s18, s15, s17
	s_cselect_b32 s24, s19, s16
	s_mul_hi_i32 s19, s15, s17
	s_ashr_i32 s25, s24, 31
	s_waitcnt lgkmcnt(0)
	s_mul_hi_i32 s41, s39, s17
	s_lshl_b64 s[24:25], s[24:25], 2
	s_delay_alu instid0(SALU_CYCLE_1)
	s_add_u32 s24, s34, s24
	s_addc_u32 s25, s35, s25
	s_or_b32 s40, s31, 0xe0
	s_clause 0x2
	s_load_b32 s37, s[36:37], 0x0
	s_load_b32 s36, s[20:21], 0x0
	;; [unrolled: 1-line block ×3, first 2 shown]
	s_ashr_i32 s44, s40, 4
	s_cmp_lt_i32 s40, s28
	s_mul_hi_i32 s21, s42, s17
	s_mul_i32 s20, s42, s17
	s_cselect_b32 s42, s44, s16
	s_mul_hi_i32 s25, s43, s17
	s_mul_i32 s24, s43, s17
	s_ashr_i32 s43, s42, 31
	s_mul_hi_i32 s27, s26, s17
	s_lshl_b64 s[42:43], s[42:43], 2
	s_mul_i32 s26, s26, s17
	s_add_u32 s42, s34, s42
	s_addc_u32 s43, s35, s43
	s_or_b32 s44, s31, 0xf0
	s_mul_i32 s40, s39, s17
	s_ashr_i32 s46, s44, 4
	s_cmp_lt_i32 s44, s28
	s_mul_hi_i32 s39, s38, s17
	s_cselect_b32 s46, s46, s16
	s_waitcnt lgkmcnt(0)
	s_mul_hi_i32 s49, s15, s17
	s_ashr_i32 s47, s46, 31
	s_mul_i32 s48, s15, s17
	s_lshl_b64 s[46:47], s[46:47], 2
	s_mul_i32 s38, s38, s17
	s_add_u32 s34, s34, s46
	s_addc_u32 s35, s35, s47
	s_add_u32 s15, s22, s2
	s_addc_u32 s16, s23, s3
	v_add_co_u32 v216, s15, s15, v125
	s_delay_alu instid0(VALU_DEP_1) | instskip(SKIP_2) | instid1(VALU_DEP_2)
	v_add_co_ci_u32_e64 v217, null, s16, 0, s15
	s_lshl_b64 s[2:3], s[4:5], 1
	s_lshl_b64 s[4:5], s[6:7], 1
	v_add_co_u32 v125, vcc_lo, v216, s2
	s_delay_alu instid0(VALU_DEP_2)
	v_add_co_ci_u32_e32 v126, vcc_lo, s3, v217, vcc_lo
	v_add_co_u32 v199, vcc_lo, v216, s4
	s_lshl_b64 s[6:7], s[8:9], 1
	v_add_co_ci_u32_e32 v200, vcc_lo, s5, v217, vcc_lo
	s_lshl_b64 s[8:9], s[10:11], 1
	s_lshl_b64 s[10:11], s[12:13], 1
	;; [unrolled: 1-line block ×8, first 2 shown]
	s_mul_hi_i32 s45, s37, s17
	s_mul_i32 s44, s37, s17
	s_mul_hi_i32 s37, s36, s17
	s_lshl_b64 s[38:39], s[44:45], 1
	s_mul_i32 s36, s36, s17
	s_clause 0x1
	s_load_b32 s15, s[42:43], 0x0
	s_load_b32 s16, s[34:35], 0x0
	s_lshl_b64 s[36:37], s[36:37], 1
	s_lshl_b64 s[40:41], s[48:49], 1
	s_waitcnt lgkmcnt(0)
	s_mul_hi_i32 s3, s15, s17
	s_mul_i32 s2, s15, s17
	s_mul_hi_i32 s5, s16, s17
	s_lshl_b64 s[2:3], s[2:3], 1
	s_mul_i32 s4, s16, s17
	s_waitcnt vmcnt(30)
	v_wmma_f32_16x16x16_bf16 v[191:198], v[89:96], v[105:112], v[129:136]
	v_add_co_u32 v89, vcc_lo, v216, s6
	v_add_co_ci_u32_e32 v90, vcc_lo, s7, v217, vcc_lo
	v_add_co_u32 v91, vcc_lo, v216, s8
	v_add_co_ci_u32_e32 v92, vcc_lo, s9, v217, vcc_lo
	;; [unrolled: 2-line block ×5, first 2 shown]
	v_add_co_u32 v205, vcc_lo, v216, s20
	s_waitcnt vmcnt(28)
	v_wmma_f32_16x16x16_bf16 v[129:136], v[97:104], v[105:112], v[129:136]
	v_add_co_ci_u32_e32 v206, vcc_lo, s21, v217, vcc_lo
	v_add_co_u32 v207, vcc_lo, v216, s22
	v_add_co_ci_u32_e32 v208, vcc_lo, s23, v217, vcc_lo
	v_add_co_u32 v209, vcc_lo, v216, s24
	s_waitcnt vmcnt(26)
	v_wmma_f32_16x16x16_bf16 v[191:198], v[81:88], v[113:120], v[191:198]
	s_waitcnt vmcnt(24)
	v_wmma_f32_16x16x16_bf16 v[129:136], v[73:80], v[113:120], v[129:136]
	v_add_co_ci_u32_e32 v210, vcc_lo, s25, v217, vcc_lo
	v_add_co_u32 v211, vcc_lo, v216, s26
	v_add_co_ci_u32_e32 v212, vcc_lo, s27, v217, vcc_lo
	v_add_co_u32 v213, vcc_lo, v216, s38
	s_waitcnt vmcnt(22)
	v_wmma_f32_16x16x16_bf16 v[191:198], v[65:72], v[143:150], v[191:198]
	s_waitcnt vmcnt(20)
	v_wmma_f32_16x16x16_bf16 v[129:136], v[57:64], v[143:150], v[129:136]
	v_add_co_ci_u32_e32 v214, vcc_lo, s39, v217, vcc_lo
	v_add_co_u32 v143, vcc_lo, v216, s36
	s_waitcnt vmcnt(18)
	v_wmma_f32_16x16x16_bf16 v[191:198], v[49:56], v[151:158], v[191:198]
	s_waitcnt vmcnt(16)
	v_wmma_f32_16x16x16_bf16 v[129:136], v[41:48], v[151:158], v[129:136]
	v_add_co_ci_u32_e32 v144, vcc_lo, s37, v217, vcc_lo
	s_clause 0x15
	global_load_b128 v[121:124], v[125:126], off
	global_load_b128 v[125:128], v[125:126], off offset:16
	global_load_b128 v[113:116], v[199:200], off
	global_load_b128 v[117:120], v[199:200], off offset:16
	;; [unrolled: 2-line block ×11, first 2 shown]
	s_waitcnt vmcnt(36)
	v_wmma_f32_16x16x16_bf16 v[191:198], v[17:24], v[159:166], v[191:198]
	s_clause 0x1
	global_load_b128 v[17:20], v[213:214], off
	global_load_b128 v[21:24], v[213:214], off offset:16
	s_waitcnt vmcnt(36)
	v_wmma_f32_16x16x16_bf16 v[129:136], v[1:8], v[159:166], v[129:136]
	s_clause 0x1
	global_load_b128 v[1:4], v[143:144], off
	global_load_b128 v[5:8], v[143:144], off offset:16
	ds_load_b128 v[143:146], v215 offset:10240
	ds_load_b128 v[147:150], v215 offset:11264
	;; [unrolled: 1-line block ×4, first 2 shown]
	v_add_co_u32 v199, vcc_lo, v216, s40
	v_add_co_ci_u32_e32 v200, vcc_lo, s41, v217, vcc_lo
	v_add_co_u32 v159, vcc_lo, v216, s2
	v_add_co_ci_u32_e32 v160, vcc_lo, s3, v217, vcc_lo
	s_lshl_b64 s[2:3], s[4:5], 1
	s_delay_alu instid0(SALU_CYCLE_1)
	v_add_co_u32 v161, vcc_lo, v216, s2
	v_add_co_ci_u32_e32 v162, vcc_lo, s3, v217, vcc_lo
	s_waitcnt vmcnt(36) lgkmcnt(2)
	v_wmma_f32_16x16x16_bf16 v[191:198], v[25:32], v[143:150], v[191:198]
	s_waitcnt vmcnt(34)
	v_wmma_f32_16x16x16_bf16 v[129:136], v[33:40], v[143:150], v[129:136]
	s_clause 0x3
	global_load_b128 v[25:28], v[199:200], off
	global_load_b128 v[29:32], v[199:200], off offset:16
	global_load_b128 v[33:36], v[159:160], off
	global_load_b128 v[37:40], v[159:160], off offset:16
	v_and_b32_e32 v143, 0xe0, v0
	v_mbcnt_lo_u32_b32 v159, -1, 0
	s_waitcnt vmcnt(36) lgkmcnt(0)
	v_wmma_f32_16x16x16_bf16 v[191:198], v[9:16], v[151:158], v[191:198]
	s_clause 0x1
	global_load_b128 v[9:12], v[161:162], off
	global_load_b128 v[13:16], v[161:162], off offset:16
	s_waitcnt vmcnt(36)
	v_wmma_f32_16x16x16_bf16 v[129:136], v[167:174], v[151:158], v[129:136]
	v_add_nc_u32_e32 v160, s31, v143
	ds_load_b128 v[143:146], v215 offset:14336
	ds_load_b128 v[147:150], v215 offset:15360
	v_xor_b32_e32 v151, 16, v159
	s_waitcnt vmcnt(0) lgkmcnt(0)
	s_barrier
	v_or_b32_e32 v152, v160, v138
	buffer_gl0_inv
	v_cmp_gt_i32_e32 vcc_lo, 32, v151
	v_or_b32_e32 v153, 2, v152
	v_or_b32_e32 v154, 4, v152
	v_or_b32_e32 v155, 6, v152
	v_or_b32_e32 v156, 8, v152
	v_or_b32_e32 v157, 10, v152
	v_cmp_gt_i32_e64 s2, s28, v153
	v_cmp_gt_i32_e64 s3, s28, v154
	;; [unrolled: 1-line block ×3, first 2 shown]
	v_or_b32_e32 v158, 12, v152
	v_cmp_gt_i32_e64 s5, s28, v156
	v_cmp_gt_i32_e64 s6, s28, v157
	v_wmma_f32_16x16x16_bf16 v[191:198], v[175:182], v[143:150], v[191:198]
	v_wmma_f32_16x16x16_bf16 v[129:136], v[183:190], v[143:150], v[129:136]
	v_cndmask_b32_e32 v151, v159, v151, vcc_lo
	v_cmp_gt_i32_e32 vcc_lo, s28, v152
	v_or_b32_e32 v159, 14, v152
	v_dual_mul_f32 v149, s33, v192 :: v_dual_mul_f32 v150, s33, v191
	v_dual_mul_f32 v147, s33, v194 :: v_dual_mul_f32 v148, s33, v193
	v_mul_f32_e32 v145, s33, v196
	s_delay_alu instid0(VALU_DEP_3) | instskip(NEXT) | instid1(VALU_DEP_4)
	v_cndmask_b32_e64 v149, 0xff7fffff, v149, s2
	v_cndmask_b32_e32 v150, 0xff7fffff, v150, vcc_lo
	v_mul_f32_e32 v146, s33, v195
	v_cndmask_b32_e64 v148, 0xff7fffff, v148, s3
	v_cndmask_b32_e64 v147, 0xff7fffff, v147, s4
	v_or_b32_e32 v160, 16, v152
	v_max3_f32 v149, v150, 0xff7fffff, v149
	v_or_b32_e32 v161, 18, v152
	v_dual_mul_f32 v143, s33, v198 :: v_dual_mul_f32 v144, s33, v197
	v_cndmask_b32_e64 v146, 0xff7fffff, v146, s5
	v_cndmask_b32_e64 v145, 0xff7fffff, v145, s6
	v_max3_f32 v147, v149, v148, v147
	v_cmp_gt_i32_e64 s7, s28, v158
	v_cmp_gt_i32_e64 s8, s28, v159
	v_or_b32_e32 v162, 20, v152
	v_or_b32_e32 v163, 22, v152
	v_dual_mul_f32 v174, s33, v130 :: v_dual_mul_f32 v175, s33, v129
	v_cndmask_b32_e64 v144, 0xff7fffff, v144, s7
	v_cndmask_b32_e64 v143, 0xff7fffff, v143, s8
	v_max3_f32 v145, v147, v146, v145
	v_cmp_gt_i32_e64 s9, s28, v160
	v_cmp_gt_i32_e64 s10, s28, v161
	v_or_b32_e32 v164, 24, v152
	;; [unrolled: 8-line block ×3, first 2 shown]
	v_or_b32_e32 v167, 30, v152
	v_dual_mul_f32 v170, s33, v134 :: v_dual_mul_f32 v171, s33, v133
	v_cndmask_b32_e64 v144, 0xff7fffff, v173, s11
	v_cndmask_b32_e64 v145, 0xff7fffff, v172, s12
	v_max3_f32 v143, v143, v146, v147
	v_cmp_gt_i32_e64 s13, s28, v164
	v_cmp_gt_i32_e64 s15, s28, v165
	v_dual_mul_f32 v168, s33, v136 :: v_dual_mul_f32 v169, s33, v135
	s_delay_alu instid0(VALU_DEP_4) | instskip(NEXT) | instid1(VALU_DEP_4)
	v_max3_f32 v143, v143, v144, v145
	v_cndmask_b32_e64 v146, 0xff7fffff, v171, s13
	s_delay_alu instid0(VALU_DEP_4) | instskip(SKIP_3) | instid1(VALU_DEP_4)
	v_cndmask_b32_e64 v147, 0xff7fffff, v170, s15
	v_cmp_gt_i32_e64 s16, s28, v166
	v_cmp_gt_i32_e64 s17, s28, v167
	v_lshlrev_b32_e32 v154, 2, v151
	v_max3_f32 v143, v143, v146, v147
	s_delay_alu instid0(VALU_DEP_4) | instskip(NEXT) | instid1(VALU_DEP_4)
	v_cndmask_b32_e64 v144, 0xff7fffff, v169, s16
	v_cndmask_b32_e64 v145, 0xff7fffff, v168, s17
	s_delay_alu instid0(VALU_DEP_1) | instskip(SKIP_3) | instid1(VALU_DEP_1)
	v_max3_f32 v143, v143, v144, v145
	ds_bpermute_b32 v144, v154, v143
	s_waitcnt lgkmcnt(0)
	v_max_f32_e32 v144, v144, v144
	v_max_f32_e32 v153, v143, v144
	s_delay_alu instid0(VALU_DEP_1) | instskip(SKIP_4) | instid1(VALU_DEP_4)
	v_fma_f32 v143, s33, v191, -v153
	v_fma_f32 v144, s33, v192, -v153
	;; [unrolled: 1-line block ×5, first 2 shown]
	v_dual_mul_f32 v143, 0x3fb8aa3b, v143 :: v_dual_mul_f32 v144, 0x3fb8aa3b, v144
	s_delay_alu instid0(VALU_DEP_4) | instskip(SKIP_2) | instid1(VALU_DEP_4)
	v_mul_f32_e32 v132, 0x3fb8aa3b, v132
	v_fma_f32 v134, s33, v134, -v153
	v_mul_f32_e32 v145, 0x3fb8aa3b, v145
	v_exp_f32_e32 v143, v143
	v_exp_f32_e32 v147, v144
	v_fma_f32 v148, s33, v195, -v153
	v_mul_f32_e32 v134, 0x3fb8aa3b, v134
	v_mul_f32_e32 v146, 0x3fb8aa3b, v146
	v_exp_f32_e32 v145, v145
	v_fma_f32 v151, s33, v197, -v153
	v_mul_f32_e32 v148, 0x3fb8aa3b, v148
	v_fma_f32 v129, s33, v129, -v153
	v_exp_f32_e32 v149, v146
	v_cndmask_b32_e32 v144, 0, v143, vcc_lo
	v_fma_f32 v143, s33, v196, -v153
	v_cndmask_b32_e64 v146, 0, v147, s2
	v_exp_f32_e32 v148, v148
	s_delay_alu instid0(VALU_DEP_3) | instskip(NEXT) | instid1(VALU_DEP_3)
	v_dual_mul_f32 v151, 0x3fb8aa3b, v151 :: v_dual_add_f32 v150, 0, v144
	v_mul_f32_e32 v143, 0x3fb8aa3b, v143
	v_cndmask_b32_e64 v147, 0, v145, s3
	v_fma_f32 v130, s33, v130, -v153
	s_delay_alu instid0(TRANS32_DEP_2)
	v_cndmask_b32_e64 v149, 0, v149, s4
	v_add_f32_e32 v145, v150, v146
	v_fma_f32 v150, s33, v198, -v153
	v_exp_f32_e32 v143, v143
	v_exp_f32_e32 v155, v151
	v_mul_f32_e32 v129, 0x3fb8aa3b, v129
	s_delay_alu instid0(VALU_DEP_2) | instskip(SKIP_2) | instid1(VALU_DEP_3)
	v_dual_add_f32 v145, v145, v147 :: v_dual_mul_f32 v152, 0x3fb8aa3b, v150
	v_cndmask_b32_e64 v150, 0, v148, s5
	v_fma_f32 v131, s33, v131, -v153
	v_dual_mul_f32 v130, 0x3fb8aa3b, v130 :: v_dual_add_f32 v145, v145, v149
	s_delay_alu instid0(VALU_DEP_4) | instskip(NEXT) | instid1(TRANS32_DEP_3)
	v_exp_f32_e32 v152, v152
	v_cndmask_b32_e64 v151, 0, v143, s6
	v_exp_f32_e32 v129, v129
	s_delay_alu instid0(TRANS32_DEP_3)
	v_cndmask_b32_e64 v148, 0, v155, s7
	v_add_f32_e32 v143, v145, v150
	v_mul_f32_e32 v131, 0x3fb8aa3b, v131
	v_exp_f32_e32 v130, v130
	v_fma_f32 v133, s33, v133, -v153
	v_fma_f32 v136, s33, v136, -v153
	v_add_f32_e32 v143, v143, v151
	v_cndmask_b32_e64 v152, 0, v152, s8
	v_exp_f32_e32 v145, v131
	v_cndmask_b32_e64 v131, 0, v129, s9
	v_mul_f32_e32 v133, 0x3fb8aa3b, v133
	v_add_f32_e32 v143, v143, v148
	s_mov_b32 s2, exec_lo
	s_delay_alu instid0(VALU_DEP_1)
	v_add_f32_e32 v129, v143, v152
	v_exp_f32_e32 v143, v132
	v_cndmask_b32_e64 v132, 0, v130, s10
	v_fma_f32 v130, s33, v135, -v153
	v_exp_f32_e32 v135, v133
	v_add_f32_e32 v129, v129, v131
	v_cndmask_b32_e64 v133, 0, v145, s11
	v_exp_f32_e32 v145, v134
	s_delay_alu instid0(VALU_DEP_2) | instskip(NEXT) | instid1(TRANS32_DEP_3)
	v_dual_mul_f32 v130, 0x3fb8aa3b, v130 :: v_dual_add_f32 v129, v129, v132
	v_cndmask_b32_e64 v134, 0, v143, s12
	v_mul_f32_e32 v143, 0x3fb8aa3b, v136
	s_delay_alu instid0(VALU_DEP_3) | instskip(NEXT) | instid1(TRANS32_DEP_3)
	v_exp_f32_e32 v130, v130
	v_cndmask_b32_e64 v135, 0, v135, s13
	v_add_f32_e32 v129, v129, v133
	s_delay_alu instid0(TRANS32_DEP_2) | instskip(SKIP_1) | instid1(VALU_DEP_2)
	v_cndmask_b32_e64 v136, 0, v145, s15
	v_exp_f32_e32 v145, v143
	v_add_f32_e32 v129, v129, v134
	s_waitcnt_depctr 0xfff
	v_cndmask_b32_e64 v143, 0, v130, s16
	v_add_f32_e32 v129, v129, v135
	v_cndmask_b32_e64 v145, 0, v145, s17
	s_delay_alu instid0(VALU_DEP_2) | instskip(NEXT) | instid1(VALU_DEP_1)
	v_add_f32_e32 v129, v129, v136
	v_add_f32_e32 v129, v129, v143
	s_delay_alu instid0(VALU_DEP_1)
	v_add_f32_e32 v129, v129, v145
	ds_bpermute_b32 v130, v154, v129
	v_cmpx_gt_u32_e32 16, v142
	s_cbranch_execz .LBB645_12
; %bb.11:
	v_mul_u32_u24_e32 v142, 0x44, v141
	s_waitcnt lgkmcnt(0)
	v_add_f32_e32 v129, v129, v130
	s_delay_alu instid0(VALU_DEP_2) | instskip(NEXT) | instid1(VALU_DEP_1)
	v_lshl_add_u32 v142, v140, 2, v142
	v_add_nc_u32_e32 v130, 0x4000, v142
	ds_store_2addr_b32 v130, v153, v129 offset1:136
.LBB645_12:
	s_or_b32 exec_lo, exec_lo, s2
	v_lshlrev_b32_e32 v129, 2, v140
	s_waitcnt lgkmcnt(0)
	s_barrier
	buffer_gl0_inv
	v_cmp_eq_u32_e64 s2, 1, v141
	v_add_nc_u32_e32 v142, 0x4000, v129
	ds_load_2addr_b32 v[153:154], v142 offset1:17
	ds_load_2addr_b32 v[155:156], v142 offset0:34 offset1:51
	ds_load_2addr_b32 v[157:158], v142 offset0:68 offset1:85
	;; [unrolled: 1-line block ×4, first 2 shown]
	s_waitcnt lgkmcnt(4)
	v_max3_f32 v129, v153, 0xff7fffff, v154
	s_waitcnt lgkmcnt(3)
	s_delay_alu instid0(VALU_DEP_1) | instskip(SKIP_1) | instid1(VALU_DEP_1)
	v_max3_f32 v129, v129, v155, v156
	s_waitcnt lgkmcnt(2)
	v_max3_f32 v129, v129, v157, v158
	s_waitcnt lgkmcnt(1)
	s_delay_alu instid0(VALU_DEP_1) | instskip(NEXT) | instid1(VALU_DEP_1)
	v_max3_f32 v129, v129, v159, v160
	v_sub_f32_e32 v163, v154, v129
	v_sub_f32_e32 v130, v153, v129
	ds_load_2addr_b32 v[153:154], v142 offset0:170 offset1:187
	v_sub_f32_e32 v155, v155, v129
	v_dual_mul_f32 v163, 0x3fb8aa3b, v163 :: v_dual_mul_f32 v130, 0x3fb8aa3b, v130
	s_delay_alu instid0(VALU_DEP_2) | instskip(NEXT) | instid1(VALU_DEP_2)
	v_mul_f32_e32 v165, 0x3fb8aa3b, v155
	v_exp_f32_e32 v163, v163
	s_delay_alu instid0(VALU_DEP_2)
	v_exp_f32_e32 v164, v130
	v_sub_f32_e32 v130, v156, v129
	ds_load_2addr_b32 v[155:156], v142 offset0:204 offset1:221
	v_exp_f32_e32 v165, v165
	v_mul_f32_e32 v166, 0x3fb8aa3b, v130
	s_waitcnt lgkmcnt(2)
	v_fma_f32 v130, v164, v161, 0
	v_sub_f32_e32 v157, v157, v129
	s_delay_alu instid0(VALU_DEP_3) | instskip(NEXT) | instid1(VALU_DEP_2)
	v_exp_f32_e32 v166, v166
	v_dual_sub_f32 v161, v158, v129 :: v_dual_fmac_f32 v130, v163, v162
	s_waitcnt lgkmcnt(1)
	s_waitcnt_depctr 0xfff
	v_fmac_f32_e32 v130, v165, v153
	v_mul_f32_e32 v167, 0x3fb8aa3b, v157
	ds_load_2addr_b32 v[157:158], v142 offset0:238 offset1:255
	v_sub_f32_e32 v142, v159, v129
	v_dual_sub_f32 v153, v160, v129 :: v_dual_fmac_f32 v130, v166, v154
	v_mul_f32_e32 v159, 0x3fb8aa3b, v161
	v_exp_f32_e32 v161, v167
	s_delay_alu instid0(VALU_DEP_2)
	v_dual_mul_f32 v142, 0x3fb8aa3b, v142 :: v_dual_mul_f32 v153, 0x3fb8aa3b, v153
	s_waitcnt lgkmcnt(0)
	s_barrier
	buffer_gl0_inv
	v_exp_f32_e32 v142, v142
	v_exp_f32_e32 v153, v153
	v_fmac_f32_e32 v130, v161, v155
	v_exp_f32_e32 v159, v159
	s_waitcnt_depctr 0xfff
	v_fmac_f32_e32 v130, v159, v156
	s_delay_alu instid0(VALU_DEP_1) | instskip(NEXT) | instid1(VALU_DEP_1)
	v_fmac_f32_e32 v130, v142, v157
	v_fmac_f32_e32 v130, v153, v158
	s_delay_alu instid0(VALU_DEP_1) | instskip(NEXT) | instid1(VALU_DEP_1)
	v_add_f32_e32 v154, 0x358637bd, v130
	v_div_scale_f32 v155, null, v154, v154, 1.0
	v_div_scale_f32 v158, vcc_lo, 1.0, v154, 1.0
	s_delay_alu instid0(VALU_DEP_2) | instskip(SKIP_2) | instid1(VALU_DEP_1)
	v_rcp_f32_e32 v156, v155
	s_waitcnt_depctr 0xfff
	v_fma_f32 v157, -v155, v156, 1.0
	v_fmac_f32_e32 v156, v157, v156
	v_cndmask_b32_e64 v157, v164, v163, s2
	v_cmp_eq_u32_e64 s2, 2, v141
	s_delay_alu instid0(VALU_DEP_3) | instskip(NEXT) | instid1(VALU_DEP_2)
	v_mul_f32_e32 v160, v158, v156
	v_cndmask_b32_e64 v157, v157, v165, s2
	v_cmp_eq_u32_e64 s2, 3, v141
	s_delay_alu instid0(VALU_DEP_3) | instskip(NEXT) | instid1(VALU_DEP_2)
	v_fma_f32 v162, -v155, v160, v158
	v_cndmask_b32_e64 v157, v157, v166, s2
	v_cmp_eq_u32_e64 s2, 4, v141
	s_delay_alu instid0(VALU_DEP_3) | instskip(NEXT) | instid1(VALU_DEP_2)
	v_fmac_f32_e32 v160, v162, v156
	v_cndmask_b32_e64 v157, v157, v161, s2
	s_delay_alu instid0(VALU_DEP_2) | instskip(SKIP_1) | instid1(VALU_DEP_2)
	v_fma_f32 v155, -v155, v160, v158
	v_cmp_eq_u32_e64 s2, 5, v141
	v_div_fmas_f32 v155, v155, v156, v160
	s_delay_alu instid0(VALU_DEP_2) | instskip(SKIP_2) | instid1(VALU_DEP_3)
	v_cndmask_b32_e64 v157, v157, v159, s2
	v_cmp_eq_u32_e32 vcc_lo, 6, v141
	s_mov_b32 s2, exec_lo
	v_div_fixup_f32 v154, v155, v154, 1.0
	s_delay_alu instid0(VALU_DEP_3) | instskip(SKIP_1) | instid1(VALU_DEP_2)
	v_cndmask_b32_e32 v142, v157, v142, vcc_lo
	v_cmp_eq_u32_e32 vcc_lo, 7, v141
	v_cndmask_b32_e32 v142, v142, v153, vcc_lo
	s_delay_alu instid0(VALU_DEP_1) | instskip(NEXT) | instid1(VALU_DEP_1)
	v_mul_f32_e32 v142, v142, v154
	v_mul_f32_e32 v153, v142, v149
	;; [unrolled: 1-line block ×7, first 2 shown]
	v_dual_mul_f32 v150, v142, v147 :: v_dual_and_b32 v155, 0x7f800000, v154
	v_mul_f32_e32 v149, v142, v146
                                        ; implicit-def: $vgpr146
	s_delay_alu instid0(VALU_DEP_2)
	v_cmpx_ne_u32_e32 0x7f800000, v155
	s_xor_b32 s2, exec_lo, s2
; %bb.13:
	v_bfe_u32 v146, v154, 16, 1
	s_delay_alu instid0(VALU_DEP_1)
	v_add3_u32 v146, v154, v146, 0x7fff
                                        ; implicit-def: $vgpr154
; %bb.14:
	s_and_not1_saveexec_b32 s2, s2
; %bb.15:
	v_and_b32_e32 v146, 0xffff, v154
	v_or_b32_e32 v147, 0x10000, v154
	s_delay_alu instid0(VALU_DEP_2) | instskip(NEXT) | instid1(VALU_DEP_2)
	v_cmp_eq_u32_e32 vcc_lo, 0, v146
	v_cndmask_b32_e32 v146, v147, v154, vcc_lo
; %bb.16:
	s_or_b32 exec_lo, exec_lo, s2
	v_and_b32_e32 v147, 0x7f800000, v149
	s_delay_alu instid0(VALU_DEP_1) | instskip(SKIP_1) | instid1(SALU_CYCLE_1)
	v_cmp_ne_u32_e32 vcc_lo, 0x7f800000, v147
                                        ; implicit-def: $vgpr147
	s_and_saveexec_b32 s2, vcc_lo
	s_xor_b32 s2, exec_lo, s2
; %bb.17:
	v_bfe_u32 v147, v149, 16, 1
	s_delay_alu instid0(VALU_DEP_1)
	v_add3_u32 v147, v149, v147, 0x7fff
                                        ; implicit-def: $vgpr149
; %bb.18:
	s_and_not1_saveexec_b32 s2, s2
; %bb.19:
	v_and_b32_e32 v147, 0xffff, v149
	v_or_b32_e32 v154, 0x10000, v149
	s_delay_alu instid0(VALU_DEP_2) | instskip(NEXT) | instid1(VALU_DEP_2)
	v_cmp_eq_u32_e32 vcc_lo, 0, v147
	v_cndmask_b32_e32 v147, v154, v149, vcc_lo
; %bb.20:
	s_or_b32 exec_lo, exec_lo, s2
	v_and_b32_e32 v149, 0x7f800000, v150
	s_delay_alu instid0(VALU_DEP_1) | instskip(SKIP_1) | instid1(SALU_CYCLE_1)
	v_cmp_ne_u32_e32 vcc_lo, 0x7f800000, v149
                                        ; implicit-def: $vgpr149
	s_and_saveexec_b32 s2, vcc_lo
	s_xor_b32 s2, exec_lo, s2
; %bb.21:
	v_bfe_u32 v149, v150, 16, 1
	s_delay_alu instid0(VALU_DEP_1)
	v_add3_u32 v149, v150, v149, 0x7fff
                                        ; implicit-def: $vgpr150
; %bb.22:
	s_and_not1_saveexec_b32 s2, s2
; %bb.23:
	v_and_b32_e32 v149, 0xffff, v150
	v_or_b32_e32 v154, 0x10000, v150
	s_delay_alu instid0(VALU_DEP_2) | instskip(NEXT) | instid1(VALU_DEP_2)
	v_cmp_eq_u32_e32 vcc_lo, 0, v149
	v_cndmask_b32_e32 v149, v154, v150, vcc_lo
; %bb.24:
	s_or_b32 exec_lo, exec_lo, s2
	v_and_b32_e32 v150, 0x7f800000, v153
	s_delay_alu instid0(VALU_DEP_1) | instskip(SKIP_1) | instid1(SALU_CYCLE_1)
	v_cmp_ne_u32_e32 vcc_lo, 0x7f800000, v150
                                        ; implicit-def: $vgpr150
	s_and_saveexec_b32 s2, vcc_lo
	s_xor_b32 s2, exec_lo, s2
; %bb.25:
	v_bfe_u32 v150, v153, 16, 1
	s_delay_alu instid0(VALU_DEP_1)
	v_add3_u32 v150, v153, v150, 0x7fff
                                        ; implicit-def: $vgpr153
; %bb.26:
	s_and_not1_saveexec_b32 s2, s2
; %bb.27:
	v_and_b32_e32 v150, 0xffff, v153
	v_or_b32_e32 v154, 0x10000, v153
	s_delay_alu instid0(VALU_DEP_2) | instskip(NEXT) | instid1(VALU_DEP_2)
	v_cmp_eq_u32_e32 vcc_lo, 0, v150
	v_cndmask_b32_e32 v150, v154, v153, vcc_lo
; %bb.28:
	s_or_b32 exec_lo, exec_lo, s2
	v_and_b32_e32 v153, 0x7f800000, v152
	s_delay_alu instid0(VALU_DEP_1) | instskip(SKIP_1) | instid1(SALU_CYCLE_1)
	v_cmp_ne_u32_e32 vcc_lo, 0x7f800000, v153
                                        ; implicit-def: $vgpr153
	s_and_saveexec_b32 s2, vcc_lo
	s_xor_b32 s2, exec_lo, s2
; %bb.29:
	v_bfe_u32 v153, v152, 16, 1
	s_delay_alu instid0(VALU_DEP_1)
	v_add3_u32 v153, v152, v153, 0x7fff
                                        ; implicit-def: $vgpr152
; %bb.30:
	s_and_not1_saveexec_b32 s2, s2
; %bb.31:
	v_and_b32_e32 v153, 0xffff, v152
	v_or_b32_e32 v154, 0x10000, v152
	s_delay_alu instid0(VALU_DEP_2) | instskip(NEXT) | instid1(VALU_DEP_2)
	v_cmp_eq_u32_e32 vcc_lo, 0, v153
	v_cndmask_b32_e32 v153, v154, v152, vcc_lo
; %bb.32:
	s_or_b32 exec_lo, exec_lo, s2
	v_and_b32_e32 v152, 0x7f800000, v151
	s_delay_alu instid0(VALU_DEP_1) | instskip(SKIP_1) | instid1(SALU_CYCLE_1)
	v_cmp_ne_u32_e32 vcc_lo, 0x7f800000, v152
                                        ; implicit-def: $vgpr152
	s_and_saveexec_b32 s2, vcc_lo
	s_xor_b32 s2, exec_lo, s2
; %bb.33:
	v_bfe_u32 v152, v151, 16, 1
	s_delay_alu instid0(VALU_DEP_1)
	v_add3_u32 v152, v151, v152, 0x7fff
                                        ; implicit-def: $vgpr151
; %bb.34:
	s_and_not1_saveexec_b32 s2, s2
; %bb.35:
	v_and_b32_e32 v152, 0xffff, v151
	v_or_b32_e32 v154, 0x10000, v151
	s_delay_alu instid0(VALU_DEP_2) | instskip(NEXT) | instid1(VALU_DEP_2)
	v_cmp_eq_u32_e32 vcc_lo, 0, v152
	v_cndmask_b32_e32 v152, v154, v151, vcc_lo
; %bb.36:
	s_or_b32 exec_lo, exec_lo, s2
	v_and_b32_e32 v151, 0x7f800000, v148
	s_delay_alu instid0(VALU_DEP_1) | instskip(SKIP_1) | instid1(SALU_CYCLE_1)
	v_cmp_ne_u32_e32 vcc_lo, 0x7f800000, v151
                                        ; implicit-def: $vgpr151
	s_and_saveexec_b32 s2, vcc_lo
	s_xor_b32 s2, exec_lo, s2
; %bb.37:
	v_bfe_u32 v151, v148, 16, 1
	s_delay_alu instid0(VALU_DEP_1)
	v_add3_u32 v151, v148, v151, 0x7fff
                                        ; implicit-def: $vgpr148
; %bb.38:
	s_and_not1_saveexec_b32 s2, s2
; %bb.39:
	v_and_b32_e32 v151, 0xffff, v148
	v_or_b32_e32 v154, 0x10000, v148
	s_delay_alu instid0(VALU_DEP_2) | instskip(NEXT) | instid1(VALU_DEP_2)
	v_cmp_eq_u32_e32 vcc_lo, 0, v151
	v_cndmask_b32_e32 v151, v154, v148, vcc_lo
; %bb.40:
	s_or_b32 exec_lo, exec_lo, s2
	v_and_b32_e32 v148, 0x7f800000, v144
	s_delay_alu instid0(VALU_DEP_1) | instskip(SKIP_1) | instid1(SALU_CYCLE_1)
	v_cmp_ne_u32_e32 vcc_lo, 0x7f800000, v148
                                        ; implicit-def: $vgpr148
	s_and_saveexec_b32 s2, vcc_lo
	s_xor_b32 s2, exec_lo, s2
; %bb.41:
	v_bfe_u32 v148, v144, 16, 1
	s_delay_alu instid0(VALU_DEP_1)
	v_add3_u32 v148, v144, v148, 0x7fff
                                        ; implicit-def: $vgpr144
; %bb.42:
	s_and_not1_saveexec_b32 s2, s2
; %bb.43:
	v_and_b32_e32 v148, 0xffff, v144
	v_or_b32_e32 v154, 0x10000, v144
	s_delay_alu instid0(VALU_DEP_2) | instskip(NEXT) | instid1(VALU_DEP_2)
	v_cmp_eq_u32_e32 vcc_lo, 0, v148
	v_cndmask_b32_e32 v148, v154, v144, vcc_lo
; %bb.44:
	s_or_b32 exec_lo, exec_lo, s2
	s_load_b64 s[34:35], s[0:1], 0x94
	v_lshlrev_b32_e32 v155, 4, v138
	s_delay_alu instid0(VALU_DEP_2)
	v_perm_b32 v154, v148, v151, 0x7060302
	v_mul_f32_e32 v148, v142, v131
	v_dual_mul_f32 v145, v142, v145 :: v_dual_lshlrev_b32 v144, 6, v140
	v_dual_mul_f32 v143, v142, v143 :: v_dual_lshlrev_b32 v156, 11, v141
	v_perm_b32 v153, v152, v153, 0x7060302
	v_perm_b32 v152, v150, v149, 0x7060302
	;; [unrolled: 1-line block ×3, first 2 shown]
	s_delay_alu instid0(VALU_DEP_4)
	v_or3_b32 v131, v155, v156, v144
	v_mul_f32_e32 v136, v142, v136
	v_dual_mul_f32 v146, v142, v134 :: v_dual_and_b32 v149, 0x7f800000, v148
	v_mul_f32_e32 v135, v142, v135
	v_mul_f32_e32 v147, v142, v133
	;; [unrolled: 1-line block ×3, first 2 shown]
	s_mov_b32 s2, exec_lo
	ds_store_b128 v131, v[151:154]
                                        ; implicit-def: $vgpr132
	v_cmpx_ne_u32_e32 0x7f800000, v149
	s_xor_b32 s2, exec_lo, s2
; %bb.45:
	v_bfe_u32 v132, v148, 16, 1
	s_delay_alu instid0(VALU_DEP_1)
	v_add3_u32 v132, v148, v132, 0x7fff
                                        ; implicit-def: $vgpr148
; %bb.46:
	s_and_not1_saveexec_b32 s2, s2
; %bb.47:
	v_and_b32_e32 v132, 0xffff, v148
	v_or_b32_e32 v133, 0x10000, v148
	s_delay_alu instid0(VALU_DEP_2) | instskip(NEXT) | instid1(VALU_DEP_2)
	v_cmp_eq_u32_e32 vcc_lo, 0, v132
	v_cndmask_b32_e32 v132, v133, v148, vcc_lo
; %bb.48:
	s_or_b32 exec_lo, exec_lo, s2
	v_and_b32_e32 v133, 0x7f800000, v134
	s_delay_alu instid0(VALU_DEP_1) | instskip(SKIP_1) | instid1(SALU_CYCLE_1)
	v_cmp_ne_u32_e32 vcc_lo, 0x7f800000, v133
                                        ; implicit-def: $vgpr133
	s_and_saveexec_b32 s2, vcc_lo
	s_xor_b32 s2, exec_lo, s2
; %bb.49:
	v_bfe_u32 v133, v134, 16, 1
	s_delay_alu instid0(VALU_DEP_1)
	v_add3_u32 v133, v134, v133, 0x7fff
                                        ; implicit-def: $vgpr134
; %bb.50:
	s_and_not1_saveexec_b32 s2, s2
; %bb.51:
	v_and_b32_e32 v133, 0xffff, v134
	v_or_b32_e32 v142, 0x10000, v134
	s_delay_alu instid0(VALU_DEP_2) | instskip(NEXT) | instid1(VALU_DEP_2)
	v_cmp_eq_u32_e32 vcc_lo, 0, v133
	v_cndmask_b32_e32 v133, v142, v134, vcc_lo
; %bb.52:
	s_or_b32 exec_lo, exec_lo, s2
	v_and_b32_e32 v134, 0x7f800000, v147
	s_delay_alu instid0(VALU_DEP_1) | instskip(SKIP_1) | instid1(SALU_CYCLE_1)
	v_cmp_ne_u32_e32 vcc_lo, 0x7f800000, v134
                                        ; implicit-def: $vgpr134
	s_and_saveexec_b32 s2, vcc_lo
	s_xor_b32 s2, exec_lo, s2
; %bb.53:
	v_bfe_u32 v134, v147, 16, 1
	s_delay_alu instid0(VALU_DEP_1)
	v_add3_u32 v134, v147, v134, 0x7fff
                                        ; implicit-def: $vgpr147
; %bb.54:
	s_and_not1_saveexec_b32 s2, s2
; %bb.55:
	v_and_b32_e32 v134, 0xffff, v147
	v_or_b32_e32 v142, 0x10000, v147
	s_delay_alu instid0(VALU_DEP_2) | instskip(NEXT) | instid1(VALU_DEP_2)
	v_cmp_eq_u32_e32 vcc_lo, 0, v134
	v_cndmask_b32_e32 v134, v142, v147, vcc_lo
; %bb.56:
	s_or_b32 exec_lo, exec_lo, s2
	v_and_b32_e32 v142, 0x7f800000, v146
	s_delay_alu instid0(VALU_DEP_1) | instskip(SKIP_1) | instid1(SALU_CYCLE_1)
	v_cmp_ne_u32_e32 vcc_lo, 0x7f800000, v142
                                        ; implicit-def: $vgpr142
	s_and_saveexec_b32 s2, vcc_lo
	s_xor_b32 s2, exec_lo, s2
; %bb.57:
	v_bfe_u32 v142, v146, 16, 1
	s_delay_alu instid0(VALU_DEP_1)
	v_add3_u32 v142, v146, v142, 0x7fff
                                        ; implicit-def: $vgpr146
; %bb.58:
	s_and_not1_saveexec_b32 s2, s2
; %bb.59:
	v_and_b32_e32 v142, 0xffff, v146
	v_or_b32_e32 v147, 0x10000, v146
	s_delay_alu instid0(VALU_DEP_2) | instskip(NEXT) | instid1(VALU_DEP_2)
	v_cmp_eq_u32_e32 vcc_lo, 0, v142
	v_cndmask_b32_e32 v142, v147, v146, vcc_lo
; %bb.60:
	s_or_b32 exec_lo, exec_lo, s2
	v_and_b32_e32 v146, 0x7f800000, v135
	s_delay_alu instid0(VALU_DEP_1) | instskip(SKIP_1) | instid1(SALU_CYCLE_1)
	v_cmp_ne_u32_e32 vcc_lo, 0x7f800000, v146
                                        ; implicit-def: $vgpr146
	s_and_saveexec_b32 s2, vcc_lo
	s_xor_b32 s2, exec_lo, s2
; %bb.61:
	v_bfe_u32 v146, v135, 16, 1
	s_delay_alu instid0(VALU_DEP_1)
	v_add3_u32 v146, v135, v146, 0x7fff
                                        ; implicit-def: $vgpr135
; %bb.62:
	s_and_not1_saveexec_b32 s2, s2
; %bb.63:
	v_and_b32_e32 v146, 0xffff, v135
	v_or_b32_e32 v147, 0x10000, v135
	s_delay_alu instid0(VALU_DEP_2) | instskip(NEXT) | instid1(VALU_DEP_2)
	v_cmp_eq_u32_e32 vcc_lo, 0, v146
	v_cndmask_b32_e32 v146, v147, v135, vcc_lo
; %bb.64:
	s_or_b32 exec_lo, exec_lo, s2
	v_and_b32_e32 v135, 0x7f800000, v136
	s_delay_alu instid0(VALU_DEP_1) | instskip(SKIP_1) | instid1(SALU_CYCLE_1)
	v_cmp_ne_u32_e32 vcc_lo, 0x7f800000, v135
                                        ; implicit-def: $vgpr135
	s_and_saveexec_b32 s2, vcc_lo
	s_xor_b32 s2, exec_lo, s2
; %bb.65:
	v_bfe_u32 v135, v136, 16, 1
	s_delay_alu instid0(VALU_DEP_1)
	v_add3_u32 v135, v136, v135, 0x7fff
                                        ; implicit-def: $vgpr136
; %bb.66:
	s_and_not1_saveexec_b32 s2, s2
; %bb.67:
	v_and_b32_e32 v135, 0xffff, v136
	v_or_b32_e32 v147, 0x10000, v136
	s_delay_alu instid0(VALU_DEP_2) | instskip(NEXT) | instid1(VALU_DEP_2)
	v_cmp_eq_u32_e32 vcc_lo, 0, v135
	v_cndmask_b32_e32 v135, v147, v136, vcc_lo
; %bb.68:
	s_or_b32 exec_lo, exec_lo, s2
	v_and_b32_e32 v136, 0x7f800000, v143
	s_delay_alu instid0(VALU_DEP_1) | instskip(SKIP_1) | instid1(SALU_CYCLE_1)
	v_cmp_ne_u32_e32 vcc_lo, 0x7f800000, v136
                                        ; implicit-def: $vgpr136
	s_and_saveexec_b32 s2, vcc_lo
	s_xor_b32 s2, exec_lo, s2
; %bb.69:
	v_bfe_u32 v136, v143, 16, 1
	s_delay_alu instid0(VALU_DEP_1)
	v_add3_u32 v136, v143, v136, 0x7fff
                                        ; implicit-def: $vgpr143
; %bb.70:
	s_and_not1_saveexec_b32 s2, s2
; %bb.71:
	v_and_b32_e32 v136, 0xffff, v143
	v_or_b32_e32 v147, 0x10000, v143
	s_delay_alu instid0(VALU_DEP_2) | instskip(NEXT) | instid1(VALU_DEP_2)
	v_cmp_eq_u32_e32 vcc_lo, 0, v136
	v_cndmask_b32_e32 v136, v147, v143, vcc_lo
; %bb.72:
	s_or_b32 exec_lo, exec_lo, s2
	v_and_b32_e32 v143, 0x7f800000, v145
	s_delay_alu instid0(VALU_DEP_1) | instskip(SKIP_1) | instid1(SALU_CYCLE_1)
	v_cmp_ne_u32_e32 vcc_lo, 0x7f800000, v143
                                        ; implicit-def: $vgpr143
	s_and_saveexec_b32 s2, vcc_lo
	s_xor_b32 s2, exec_lo, s2
; %bb.73:
	v_bfe_u32 v143, v145, 16, 1
	s_delay_alu instid0(VALU_DEP_1)
	v_add3_u32 v143, v145, v143, 0x7fff
                                        ; implicit-def: $vgpr145
; %bb.74:
	s_and_not1_saveexec_b32 s2, s2
; %bb.75:
	v_and_b32_e32 v143, 0xffff, v145
	v_or_b32_e32 v147, 0x10000, v145
	s_delay_alu instid0(VALU_DEP_2) | instskip(NEXT) | instid1(VALU_DEP_2)
	v_cmp_eq_u32_e32 vcc_lo, 0, v143
	v_cndmask_b32_e32 v143, v147, v145, vcc_lo
; %bb.76:
	s_or_b32 exec_lo, exec_lo, s2
	s_delay_alu instid0(VALU_DEP_1)
	v_perm_b32 v136, v143, v136, 0x7060302
	v_perm_b32 v135, v135, v146, 0x7060302
	;; [unrolled: 1-line block ×4, first 2 shown]
	v_lshl_or_b32 v145, v141, 11, v144
	v_lshlrev_b32_e32 v142, 2, v138
	ds_store_b128 v131, v[133:136] offset:1024
	s_waitcnt lgkmcnt(0)
	s_barrier
	buffer_gl0_inv
	ds_load_b128 v[132:135], v145
	ds_load_b128 v[147:150], v145 offset:16
	v_or_b32_e32 v143, 1, v142
	v_cmp_eq_u32_e64 s11, 1, v142
	v_cmp_eq_u32_e64 s10, 2, v142
	;; [unrolled: 1-line block ×3, first 2 shown]
	v_or_b32_e32 v141, 2, v142
	v_cmp_eq_u32_e64 s6, 1, v143
	v_cmp_eq_u32_e64 s5, 2, v143
	;; [unrolled: 1-line block ×8, first 2 shown]
	v_cmp_eq_u32_e32 vcc_lo, 5, v143
	v_cmp_eq_u32_e64 s9, 2, v141
	v_cmp_eq_u32_e64 s3, 6, v143
	;; [unrolled: 1-line block ×4, first 2 shown]
	s_waitcnt lgkmcnt(1)
	v_lshrrev_b32_e32 v136, 16, v132
	s_waitcnt lgkmcnt(0)
	v_lshrrev_b32_e32 v155, 16, v147
	v_lshrrev_b32_e32 v161, 16, v148
	;; [unrolled: 1-line block ×4, first 2 shown]
	v_cndmask_b32_e64 v146, v132, v136, s11
	v_cndmask_b32_e64 v151, v147, v155, s11
	;; [unrolled: 1-line block ×4, first 2 shown]
	v_lshrrev_b32_e32 v160, 16, v134
	v_cndmask_b32_e64 v146, v146, v133, s10
	v_cndmask_b32_e64 v151, v151, v148, s10
	;; [unrolled: 1-line block ×8, first 2 shown]
	v_lshrrev_b32_e32 v164, 16, v150
	v_cndmask_b32_e64 v153, v153, v161, s4
	v_cndmask_b32_e64 v146, v146, v134, s16
	;; [unrolled: 1-line block ×5, first 2 shown]
	v_lshrrev_b32_e32 v162, 16, v135
	v_cndmask_b32_e64 v146, v146, v160, s12
	v_cndmask_b32_e64 v151, v151, v163, s12
	v_cndmask_b32_e32 v152, v152, v160, vcc_lo
	v_cndmask_b32_e64 v153, v153, v149, s2
	v_cmp_eq_u32_e64 s18, 7, v143
	v_cndmask_b32_e64 v146, v146, v135, s13
	v_cndmask_b32_e64 v151, v151, v150, s13
	;; [unrolled: 1-line block ×4, first 2 shown]
	v_cmp_eq_u32_e64 s19, 4, v141
	v_cndmask_b32_e64 v165, v146, v162, s8
	v_cndmask_b32_e64 v166, v151, v164, s8
	;; [unrolled: 1-line block ×3, first 2 shown]
	v_or_b32_e32 v146, 3, v142
	v_cndmask_b32_e64 v167, v152, v162, s18
	v_cndmask_b32_e32 v156, v153, v163, vcc_lo
	v_cndmask_b32_e64 v158, v154, v134, s19
	v_cndmask_b32_e64 v157, v151, v148, s9
	ds_load_b128 v[151:154], v145 offset:1024
	v_cmp_eq_u32_e64 s20, 1, v146
	v_cmp_eq_u32_e64 s21, 5, v141
	v_cmp_eq_u32_e64 s22, 2, v146
	v_cndmask_b32_e64 v157, v157, v161, s17
	v_cmp_eq_u32_e64 s23, 3, v146
	v_cndmask_b32_e64 v132, v132, v136, s20
	v_cndmask_b32_e64 v136, v156, v150, s3
	;; [unrolled: 1-line block ×5, first 2 shown]
	ds_load_b128 v[155:158], v145 offset:1040
	v_cndmask_b32_e64 v132, v132, v133, s22
	v_cmp_eq_u32_e64 s25, 4, v146
	v_cmp_eq_u32_e64 s27, 5, v146
	v_cndmask_b32_e64 v147, v147, v148, s22
	v_cmp_eq_u32_e64 s24, 6, v141
	v_cndmask_b32_e64 v132, v132, v159, s23
	;; [unrolled: 2-line block ×3, first 2 shown]
	v_cndmask_b32_e64 v147, v147, v161, s23
	s_waitcnt lgkmcnt(1)
	v_lshrrev_b32_e32 v159, 16, v151
	v_cndmask_b32_e64 v132, v132, v134, s25
	v_cndmask_b32_e64 v148, v168, v135, s24
	;; [unrolled: 1-line block ×6, first 2 shown]
	v_lshrrev_b32_e32 v160, 16, v152
	v_cndmask_b32_e64 v161, v151, v159, s6
	v_cndmask_b32_e64 v134, v134, v163, s27
	s_waitcnt lgkmcnt(0)
	v_lshrrev_b32_e32 v149, 16, v155
	v_cndmask_b32_e64 v147, v147, v152, s10
	v_cndmask_b32_e64 v132, v132, v135, s28
	v_cmp_eq_u32_e64 s26, 7, v141
	v_cndmask_b32_e64 v134, v134, v150, s28
	v_cndmask_b32_e64 v163, v155, v149, s11
	;; [unrolled: 1-line block ×4, first 2 shown]
	v_lshrrev_b32_e32 v161, 16, v156
	v_cndmask_b32_e64 v136, v136, v164, s18
	v_cndmask_b32_e64 v150, v163, v156, s10
	v_cmp_eq_u32_e64 s10, 7, v146
	v_cndmask_b32_e64 v147, v147, v160, s4
	v_cndmask_b32_e64 v135, v135, v153, s16
	v_lshrrev_b32_e32 v163, 16, v153
	v_cndmask_b32_e64 v150, v150, v161, s15
	v_cndmask_b32_e64 v132, v132, v162, s10
	;; [unrolled: 1-line block ×8, first 2 shown]
	v_lshrrev_b32_e32 v164, 16, v157
	v_perm_b32 v135, v134, v132, 0x5040100
	v_cndmask_b32_e32 v132, v147, v163, vcc_lo
	v_cndmask_b32_e64 v147, v162, v154, s13
	v_lshrrev_b32_e32 v162, 16, v154
	v_cndmask_b32_e64 v150, v150, v164, s12
	v_perm_b32 v134, v133, v148, 0x5040100
	v_cndmask_b32_e64 v132, v132, v154, s3
	v_perm_b32 v133, v136, v167, 0x5040100
	v_cndmask_b32_e64 v136, v147, v162, s8
	v_cndmask_b32_e64 v147, v150, v158, s13
	;; [unrolled: 1-line block ×27, first 2 shown]
	v_cndmask_b32_e32 v149, v149, v164, vcc_lo
	v_lshrrev_b32_e32 v148, 16, v158
	v_cndmask_b32_e64 v132, v132, v154, s24
	v_cndmask_b32_e64 v150, v150, v154, s28
	;; [unrolled: 1-line block ×11, first 2 shown]
	v_perm_b32 v132, v166, v165, 0x5040100
	v_perm_b32 v150, v151, v150, 0x5040100
	v_perm_b32 v149, v152, v153, 0x5040100
	v_perm_b32 v148, v154, v167, 0x5040100
	v_perm_b32 v147, v147, v136, 0x5040100
	s_mul_i32 s7, s35, 12
	s_mov_b32 s2, exec_lo
	ds_store_b128 v131, v[132:135]
	ds_store_b128 v131, v[147:150] offset:1024
	v_cmpx_gt_u32_e32 12, v0
	s_cbranch_execz .LBB645_78
; %bb.77:
	s_mul_i32 s3, s7, s30
	s_load_b128 s[8:11], s[0:1], 0x58
	v_add3_u32 v133, s3, s29, v140
	s_delay_alu instid0(VALU_DEP_1) | instskip(NEXT) | instid1(VALU_DEP_1)
	v_mad_u64_u32 v[131:132], null, v133, s34, s[14:15]
	v_ashrrev_i32_e32 v132, 31, v131
	s_delay_alu instid0(VALU_DEP_1) | instskip(SKIP_1) | instid1(VALU_DEP_1)
	v_lshlrev_b64 v[131:132], 2, v[131:132]
	s_waitcnt lgkmcnt(0)
	v_add_co_u32 v133, vcc_lo, s10, v131
	s_delay_alu instid0(VALU_DEP_2)
	v_add_co_ci_u32_e32 v134, vcc_lo, s11, v132, vcc_lo
	v_add_co_u32 v131, vcc_lo, s8, v131
	v_add_co_ci_u32_e32 v132, vcc_lo, s9, v132, vcc_lo
	global_store_b32 v[133:134], v129, off
	global_store_b32 v[131:132], v130, off
.LBB645_78:
	s_or_b32 exec_lo, exec_lo, s2
	s_waitcnt lgkmcnt(0)
	s_waitcnt_vscnt null, 0x0
	s_barrier
	buffer_gl0_inv
	ds_load_b128 v[147:150], v144
	ds_load_b128 v[151:154], v144 offset:16
	ds_load_b128 v[159:162], v144 offset:1040
	;; [unrolled: 1-line block ×3, first 2 shown]
	v_mov_b32_e32 v129, 0
	ds_load_b128 v[167:170], v144 offset:2064
	ds_load_b128 v[163:166], v144 offset:2048
	ds_load_b128 v[175:178], v144 offset:3088
	ds_load_b128 v[171:174], v144 offset:3072
	ds_load_b128 v[183:186], v144 offset:4112
	ds_load_b128 v[179:182], v144 offset:4096
	v_mov_b32_e32 v130, v129
	v_mov_b32_e32 v131, v129
	;; [unrolled: 1-line block ×7, first 2 shown]
	s_waitcnt lgkmcnt(8)
	s_delay_alu instid0(VALU_DEP_1)
	v_wmma_f32_16x16x16_bf16 v[129:136], v[121:128], v[147:154], v[129:136]
	ds_load_b128 v[125:128], v144 offset:5136
	ds_load_b128 v[121:124], v144 offset:5120
	s_waitcnt lgkmcnt(8)
	v_wmma_f32_16x16x16_bf16 v[129:136], v[113:120], v[155:162], v[129:136]
	ds_load_b128 v[117:120], v144 offset:6160
	ds_load_b128 v[113:116], v144 offset:6144
	s_waitcnt lgkmcnt(8)
	;; [unrolled: 4-line block ×8, first 2 shown]
	v_wmma_f32_16x16x16_bf16 v[129:136], v[65:72], v[97:104], v[129:136]
	s_waitcnt lgkmcnt(6)
	s_delay_alu instid0(VALU_DEP_1)
	v_wmma_f32_16x16x16_bf16 v[129:136], v[49:56], v[89:96], v[129:136]
	ds_load_b128 v[53:56], v144 offset:13328
	ds_load_b128 v[49:52], v144 offset:13312
	s_waitcnt lgkmcnt(6)
	v_wmma_f32_16x16x16_bf16 v[129:136], v[41:48], v[81:88], v[129:136]
	ds_load_b128 v[45:48], v144 offset:14352
	ds_load_b128 v[41:44], v144 offset:14336
	s_waitcnt lgkmcnt(6)
	;; [unrolled: 4-line block ×3, first 2 shown]
	v_wmma_f32_16x16x16_bf16 v[129:136], v[1:8], v[57:64], v[129:136]
	s_waitcnt lgkmcnt(4)
	s_delay_alu instid0(VALU_DEP_1) | instskip(SKIP_1) | instid1(VALU_DEP_1)
	v_wmma_f32_16x16x16_bf16 v[129:136], v[25:32], v[49:56], v[129:136]
	s_waitcnt lgkmcnt(2)
	v_wmma_f32_16x16x16_bf16 v[129:136], v[33:40], v[41:48], v[129:136]
	s_waitcnt lgkmcnt(0)
	s_delay_alu instid0(VALU_DEP_1) | instskip(NEXT) | instid1(VALU_DEP_1)
	v_wmma_f32_16x16x16_bf16 v[129:136], v[9:16], v[17:24], v[129:136]
	v_and_b32_e32 v1, 0x7f800000, v129
	s_delay_alu instid0(VALU_DEP_1) | instskip(SKIP_1) | instid1(SALU_CYCLE_1)
	v_cmp_ne_u32_e32 vcc_lo, 0x7f800000, v1
                                        ; implicit-def: $vgpr1
	s_and_saveexec_b32 s2, vcc_lo
	s_xor_b32 s2, exec_lo, s2
; %bb.79:
	v_bfe_u32 v1, v129, 16, 1
	s_delay_alu instid0(VALU_DEP_1)
	v_add3_u32 v1, v129, v1, 0x7fff
; %bb.80:
	s_and_not1_saveexec_b32 s2, s2
; %bb.81:
	v_and_b32_e32 v1, 0xffff, v129
	v_or_b32_e32 v2, 0x10000, v129
	s_delay_alu instid0(VALU_DEP_2) | instskip(NEXT) | instid1(VALU_DEP_2)
	v_cmp_eq_u32_e32 vcc_lo, 0, v1
	v_cndmask_b32_e32 v1, v2, v129, vcc_lo
; %bb.82:
	s_or_b32 exec_lo, exec_lo, s2
	v_and_b32_e32 v2, 0x7f800000, v130
	s_delay_alu instid0(VALU_DEP_1) | instskip(SKIP_1) | instid1(SALU_CYCLE_1)
	v_cmp_ne_u32_e32 vcc_lo, 0x7f800000, v2
                                        ; implicit-def: $vgpr2
	s_and_saveexec_b32 s2, vcc_lo
	s_xor_b32 s2, exec_lo, s2
; %bb.83:
	v_bfe_u32 v2, v130, 16, 1
	s_delay_alu instid0(VALU_DEP_1)
	v_add3_u32 v2, v130, v2, 0x7fff
; %bb.84:
	s_and_not1_saveexec_b32 s2, s2
; %bb.85:
	v_and_b32_e32 v2, 0xffff, v130
	v_or_b32_e32 v3, 0x10000, v130
	s_delay_alu instid0(VALU_DEP_2) | instskip(NEXT) | instid1(VALU_DEP_2)
	v_cmp_eq_u32_e32 vcc_lo, 0, v2
	v_cndmask_b32_e32 v2, v3, v130, vcc_lo
; %bb.86:
	s_or_b32 exec_lo, exec_lo, s2
	v_and_b32_e32 v3, 0x7f800000, v131
	s_delay_alu instid0(VALU_DEP_1) | instskip(SKIP_1) | instid1(SALU_CYCLE_1)
	v_cmp_ne_u32_e32 vcc_lo, 0x7f800000, v3
                                        ; implicit-def: $vgpr3
	s_and_saveexec_b32 s2, vcc_lo
	s_xor_b32 s2, exec_lo, s2
; %bb.87:
	v_bfe_u32 v3, v131, 16, 1
	s_delay_alu instid0(VALU_DEP_1)
	v_add3_u32 v3, v131, v3, 0x7fff
; %bb.88:
	s_and_not1_saveexec_b32 s2, s2
; %bb.89:
	v_and_b32_e32 v3, 0xffff, v131
	v_or_b32_e32 v4, 0x10000, v131
	s_delay_alu instid0(VALU_DEP_2) | instskip(NEXT) | instid1(VALU_DEP_2)
	v_cmp_eq_u32_e32 vcc_lo, 0, v3
	v_cndmask_b32_e32 v3, v4, v131, vcc_lo
; %bb.90:
	s_or_b32 exec_lo, exec_lo, s2
	v_and_b32_e32 v4, 0x7f800000, v132
	s_delay_alu instid0(VALU_DEP_1) | instskip(SKIP_1) | instid1(SALU_CYCLE_1)
	v_cmp_ne_u32_e32 vcc_lo, 0x7f800000, v4
                                        ; implicit-def: $vgpr4
	s_and_saveexec_b32 s2, vcc_lo
	s_xor_b32 s2, exec_lo, s2
; %bb.91:
	v_bfe_u32 v4, v132, 16, 1
	s_delay_alu instid0(VALU_DEP_1)
	v_add3_u32 v4, v132, v4, 0x7fff
; %bb.92:
	s_and_not1_saveexec_b32 s2, s2
; %bb.93:
	v_and_b32_e32 v4, 0xffff, v132
	v_or_b32_e32 v5, 0x10000, v132
	s_delay_alu instid0(VALU_DEP_2) | instskip(NEXT) | instid1(VALU_DEP_2)
	v_cmp_eq_u32_e32 vcc_lo, 0, v4
	v_cndmask_b32_e32 v4, v5, v132, vcc_lo
; %bb.94:
	s_or_b32 exec_lo, exec_lo, s2
	v_and_b32_e32 v5, 0x7f800000, v133
	s_delay_alu instid0(VALU_DEP_1) | instskip(SKIP_1) | instid1(SALU_CYCLE_1)
	v_cmp_ne_u32_e32 vcc_lo, 0x7f800000, v5
                                        ; implicit-def: $vgpr5
	s_and_saveexec_b32 s2, vcc_lo
	s_xor_b32 s2, exec_lo, s2
; %bb.95:
	v_bfe_u32 v5, v133, 16, 1
	s_delay_alu instid0(VALU_DEP_1)
	v_add3_u32 v5, v133, v5, 0x7fff
; %bb.96:
	s_and_not1_saveexec_b32 s2, s2
; %bb.97:
	v_and_b32_e32 v5, 0xffff, v133
	v_or_b32_e32 v6, 0x10000, v133
	s_delay_alu instid0(VALU_DEP_2) | instskip(NEXT) | instid1(VALU_DEP_2)
	v_cmp_eq_u32_e32 vcc_lo, 0, v5
	v_cndmask_b32_e32 v5, v6, v133, vcc_lo
; %bb.98:
	s_or_b32 exec_lo, exec_lo, s2
	v_and_b32_e32 v6, 0x7f800000, v134
	s_delay_alu instid0(VALU_DEP_1) | instskip(SKIP_1) | instid1(SALU_CYCLE_1)
	v_cmp_ne_u32_e32 vcc_lo, 0x7f800000, v6
                                        ; implicit-def: $vgpr6
	s_and_saveexec_b32 s2, vcc_lo
	s_xor_b32 s2, exec_lo, s2
; %bb.99:
	v_bfe_u32 v6, v134, 16, 1
	s_delay_alu instid0(VALU_DEP_1)
	v_add3_u32 v6, v134, v6, 0x7fff
; %bb.100:
	s_and_not1_saveexec_b32 s2, s2
; %bb.101:
	v_and_b32_e32 v6, 0xffff, v134
	v_or_b32_e32 v7, 0x10000, v134
	s_delay_alu instid0(VALU_DEP_2) | instskip(NEXT) | instid1(VALU_DEP_2)
	v_cmp_eq_u32_e32 vcc_lo, 0, v6
	v_cndmask_b32_e32 v6, v7, v134, vcc_lo
; %bb.102:
	s_or_b32 exec_lo, exec_lo, s2
	v_and_b32_e32 v7, 0x7f800000, v135
	s_delay_alu instid0(VALU_DEP_1) | instskip(SKIP_1) | instid1(SALU_CYCLE_1)
	v_cmp_ne_u32_e32 vcc_lo, 0x7f800000, v7
                                        ; implicit-def: $vgpr7
	s_and_saveexec_b32 s2, vcc_lo
	s_xor_b32 s2, exec_lo, s2
; %bb.103:
	v_bfe_u32 v7, v135, 16, 1
	s_delay_alu instid0(VALU_DEP_1)
	v_add3_u32 v7, v135, v7, 0x7fff
; %bb.104:
	s_and_not1_saveexec_b32 s2, s2
; %bb.105:
	v_and_b32_e32 v7, 0xffff, v135
	v_or_b32_e32 v8, 0x10000, v135
	s_delay_alu instid0(VALU_DEP_2) | instskip(NEXT) | instid1(VALU_DEP_2)
	v_cmp_eq_u32_e32 vcc_lo, 0, v7
	v_cndmask_b32_e32 v7, v8, v135, vcc_lo
; %bb.106:
	s_or_b32 exec_lo, exec_lo, s2
	v_and_b32_e32 v8, 0x7f800000, v136
	s_delay_alu instid0(VALU_DEP_1) | instskip(SKIP_1) | instid1(SALU_CYCLE_1)
	v_cmp_ne_u32_e32 vcc_lo, 0x7f800000, v8
                                        ; implicit-def: $vgpr8
	s_and_saveexec_b32 s2, vcc_lo
	s_xor_b32 s2, exec_lo, s2
; %bb.107:
	v_bfe_u32 v8, v136, 16, 1
	s_delay_alu instid0(VALU_DEP_1)
	v_add3_u32 v8, v136, v8, 0x7fff
                                        ; implicit-def: $vgpr129_vgpr130_vgpr131_vgpr132_vgpr133_vgpr134_vgpr135_vgpr136
; %bb.108:
	s_and_not1_saveexec_b32 s2, s2
; %bb.109:
	v_and_b32_e32 v8, 0xffff, v136
	v_or_b32_e32 v9, 0x10000, v136
	s_delay_alu instid0(VALU_DEP_2) | instskip(NEXT) | instid1(VALU_DEP_2)
	v_cmp_eq_u32_e32 vcc_lo, 0, v8
	v_cndmask_b32_e32 v8, v9, v136, vcc_lo
; %bb.110:
	s_or_b32 exec_lo, exec_lo, s2
	s_delay_alu instid0(VALU_DEP_1)
	v_perm_b32 v7, v8, v7, 0x7060302
	v_perm_b32 v6, v6, v5, 0x7060302
	v_perm_b32 v5, v4, v3, 0x7060302
	v_perm_b32 v4, v2, v1, 0x7060302
	v_lshl_or_b32 v9, v138, 4, v145
	s_barrier
	buffer_gl0_inv
	v_cmp_eq_u32_e32 vcc_lo, 1, v142
	ds_store_b128 v9, v[4:7]
	s_waitcnt lgkmcnt(0)
	s_barrier
	buffer_gl0_inv
	ds_load_b128 v[1:4], v145
	ds_load_b128 v[5:8], v145 offset:16
	v_cmp_eq_u32_e64 s3, 2, v142
	v_cmp_eq_u32_e64 s2, 1, v143
	;; [unrolled: 1-line block ×5, first 2 shown]
	s_waitcnt lgkmcnt(1)
	v_lshrrev_b32_e32 v10, 16, v1
	s_waitcnt lgkmcnt(0)
	v_lshrrev_b32_e32 v14, 16, v5
	v_lshrrev_b32_e32 v15, 16, v6
	;; [unrolled: 1-line block ×4, first 2 shown]
	v_cndmask_b32_e64 v20, v1, v10, s2
	v_cndmask_b32_e32 v19, v5, v14, vcc_lo
	v_cndmask_b32_e64 v21, v5, v14, s2
	v_lshrrev_b32_e32 v16, 16, v7
	v_cmp_eq_u32_e64 s2, 1, v141
	v_lshrrev_b32_e32 v13, 16, v4
	v_cndmask_b32_e64 v19, v19, v6, s3
	v_lshrrev_b32_e32 v17, 16, v8
	s_delay_alu instid0(VALU_DEP_4) | instskip(SKIP_1) | instid1(VALU_DEP_4)
	v_cndmask_b32_e64 v22, v1, v10, s2
	v_cndmask_b32_e64 v23, v5, v14, s2
	;; [unrolled: 1-line block ×3, first 2 shown]
	v_cndmask_b32_e32 v18, v1, v10, vcc_lo
	v_cmp_eq_u32_e32 vcc_lo, 2, v143
	v_cmp_eq_u32_e64 s2, 2, v146
	v_cndmask_b32_e64 v22, v22, v2, s6
	v_cndmask_b32_e32 v20, v20, v2, vcc_lo
	v_cndmask_b32_e32 v21, v21, v6, vcc_lo
	v_cmp_eq_u32_e32 vcc_lo, 4, v142
	v_cndmask_b32_e32 v19, v19, v7, vcc_lo
	v_cndmask_b32_e64 v18, v18, v2, s3
	v_cmp_eq_u32_e64 s3, 3, v143
	s_delay_alu instid0(VALU_DEP_2) | instskip(NEXT) | instid1(VALU_DEP_2)
	v_cndmask_b32_e64 v18, v18, v11, s4
	v_cndmask_b32_e64 v21, v21, v15, s3
	v_cmp_eq_u32_e64 s4, 5, v142
	s_delay_alu instid0(VALU_DEP_3) | instskip(SKIP_1) | instid1(VALU_DEP_3)
	v_cndmask_b32_e32 v18, v18, v3, vcc_lo
	v_cmp_eq_u32_e32 vcc_lo, 4, v143
	v_cndmask_b32_e64 v19, v19, v16, s4
	s_delay_alu instid0(VALU_DEP_3) | instskip(SKIP_4) | instid1(VALU_DEP_3)
	v_cndmask_b32_e64 v18, v18, v12, s4
	v_cndmask_b32_e32 v21, v21, v7, vcc_lo
	v_cndmask_b32_e64 v20, v20, v11, s3
	v_cmp_eq_u32_e64 s3, 5, v143
	v_cmp_eq_u32_e64 s4, 6, v142
	v_cndmask_b32_e32 v20, v20, v3, vcc_lo
	s_delay_alu instid0(VALU_DEP_3) | instskip(SKIP_1) | instid1(VALU_DEP_4)
	v_cndmask_b32_e64 v21, v21, v16, s3
	v_cmp_eq_u32_e32 vcc_lo, 6, v143
	v_cndmask_b32_e64 v18, v18, v4, s4
	v_cndmask_b32_e64 v19, v19, v8, s4
	;; [unrolled: 1-line block ×3, first 2 shown]
	v_cmp_eq_u32_e64 s3, 1, v146
	v_cmp_eq_u32_e64 s4, 7, v142
	s_delay_alu instid0(VALU_DEP_3) | instskip(NEXT) | instid1(VALU_DEP_3)
	v_cndmask_b32_e32 v20, v20, v4, vcc_lo
	v_cndmask_b32_e64 v1, v1, v10, s3
	v_cndmask_b32_e64 v5, v5, v14, s3
	v_cmp_eq_u32_e64 s3, 3, v141
	v_cndmask_b32_e64 v14, v23, v6, s6
	v_cmp_eq_u32_e64 s6, 3, v146
	v_cndmask_b32_e64 v1, v1, v2, s2
	v_cndmask_b32_e64 v2, v5, v6, s2
	;; [unrolled: 1-line block ×3, first 2 shown]
	v_cmp_eq_u32_e64 s2, 4, v141
	v_cndmask_b32_e64 v6, v14, v15, s3
	v_cndmask_b32_e64 v1, v1, v11, s6
	v_cmp_eq_u32_e64 s3, 4, v146
	v_cndmask_b32_e64 v2, v2, v15, s6
	v_cndmask_b32_e64 v5, v10, v3, s2
	;; [unrolled: 3-line block ×3, first 2 shown]
	v_cndmask_b32_e64 v2, v2, v7, s3
	v_cmp_eq_u32_e64 s2, 5, v146
	v_cndmask_b32_e64 v5, v5, v12, s6
	v_cmp_eq_u32_e64 s3, 6, v141
	;; [unrolled: 2-line block ×3, first 2 shown]
	v_cndmask_b32_e64 v1, v1, v12, s2
	v_cndmask_b32_e64 v2, v2, v16, s2
	;; [unrolled: 1-line block ×4, first 2 shown]
	v_cmp_eq_u32_e64 s2, 7, v146
	v_cndmask_b32_e64 v1, v1, v4, s6
	v_cndmask_b32_e64 v2, v2, v8, s6
	v_cmp_eq_u32_e64 s3, 7, v141
	v_cndmask_b32_e32 v4, v21, v8, vcc_lo
	v_cndmask_b32_e64 v18, v18, v13, s4
	v_cndmask_b32_e64 v20, v20, v13, s5
	;; [unrolled: 1-line block ×8, first 2 shown]
	s_mov_b32 s2, exec_lo
	v_perm_b32 v4, v2, v1, 0x5040100
	v_perm_b32 v3, v3, v5, 0x5040100
	;; [unrolled: 1-line block ×4, first 2 shown]
	ds_store_b128 v9, v[1:4]
	s_waitcnt lgkmcnt(0)
	s_barrier
	buffer_gl0_inv
	v_cmpx_gt_u32_e32 32, v0
	s_cbranch_execz .LBB645_2
; %bb.111:
	s_load_b64 s[0:1], s[0:1], 0x68
	v_lshlrev_b32_e32 v0, 10, v0
	s_lshl_b32 s4, s34, 7
	v_or_b32_e32 v3, s29, v138
	s_mul_i32 s2, s4, s30
	v_lshlrev_b32_e32 v1, 4, v139
	s_mul_i32 s2, s2, s7
	v_lshlrev_b32_e32 v2, 6, v138
	v_and_b32_e32 v0, 0x3800, v0
	s_ashr_i32 s3, s2, 31
	v_mul_lo_u32 v4, v3, s4
	s_lshl_b64 s[2:3], s[2:3], 1
	s_delay_alu instid0(VALU_DEP_2) | instskip(NEXT) | instid1(VALU_DEP_2)
	v_or3_b32 v16, v0, v1, v2
	v_ashrrev_i32_e32 v5, 31, v4
	ds_load_b128 v[0:3], v16
	s_waitcnt lgkmcnt(0)
	s_add_u32 s2, s0, s2
	s_addc_u32 s3, s1, s3
	s_lshl_b32 s0, s14, 7
	v_lshlrev_b64 v[5:6], 1, v[4:5]
	s_ashr_i32 s1, s0, 31
	s_delay_alu instid0(SALU_CYCLE_1) | instskip(NEXT) | instid1(SALU_CYCLE_1)
	s_lshl_b64 s[0:1], s[0:1], 1
	s_add_u32 s0, s2, s0
	s_addc_u32 s1, s3, s1
	s_lshl_b32 s2, s34, 8
	v_add_co_u32 v30, s0, s0, v137
	v_add_nc_u32_e32 v8, s2, v4
	v_add_co_ci_u32_e64 v31, null, s1, 0, s0
	s_delay_alu instid0(VALU_DEP_3) | instskip(NEXT) | instid1(VALU_DEP_3)
	v_add_co_u32 v12, vcc_lo, v30, v5
	v_add_nc_u32_e32 v10, s2, v8
	v_ashrrev_i32_e32 v9, 31, v8
	s_delay_alu instid0(VALU_DEP_4)
	v_add_co_ci_u32_e32 v13, vcc_lo, v31, v6, vcc_lo
	ds_load_b128 v[4:7], v16 offset:128
	v_ashrrev_i32_e32 v11, 31, v10
	v_lshlrev_b64 v[8:9], 1, v[8:9]
	v_add_nc_u32_e32 v14, s2, v10
	global_store_b128 v[12:13], v[0:3], off
	v_lshlrev_b64 v[0:1], 1, v[10:11]
	v_ashrrev_i32_e32 v15, 31, v14
	v_add_co_u32 v22, vcc_lo, v30, v8
	v_add_nc_u32_e32 v20, s2, v14
	v_add_co_ci_u32_e32 v23, vcc_lo, v31, v9, vcc_lo
	v_add_co_u32 v26, vcc_lo, v30, v0
	v_lshlrev_b64 v[24:25], 1, v[14:15]
	v_add_co_ci_u32_e32 v27, vcc_lo, v31, v1, vcc_lo
	ds_load_b128 v[0:3], v16 offset:256
	ds_load_b128 v[8:11], v16 offset:384
	;; [unrolled: 1-line block ×4, first 2 shown]
	v_add_nc_u32_e32 v28, s2, v20
	v_ashrrev_i32_e32 v21, 31, v20
	v_add_co_u32 v24, vcc_lo, v30, v24
	v_add_co_ci_u32_e32 v25, vcc_lo, v31, v25, vcc_lo
	s_delay_alu instid0(VALU_DEP_4) | instskip(NEXT) | instid1(VALU_DEP_4)
	v_ashrrev_i32_e32 v29, 31, v28
	v_lshlrev_b64 v[20:21], 1, v[20:21]
	s_delay_alu instid0(VALU_DEP_2) | instskip(NEXT) | instid1(VALU_DEP_2)
	v_lshlrev_b64 v[28:29], 1, v[28:29]
	v_add_co_u32 v20, vcc_lo, v30, v20
	s_delay_alu instid0(VALU_DEP_3) | instskip(NEXT) | instid1(VALU_DEP_3)
	v_add_co_ci_u32_e32 v21, vcc_lo, v31, v21, vcc_lo
	v_add_co_u32 v28, vcc_lo, v30, v28
	s_delay_alu instid0(VALU_DEP_4)
	v_add_co_ci_u32_e32 v29, vcc_lo, v31, v29, vcc_lo
	s_waitcnt lgkmcnt(4)
	global_store_b128 v[22:23], v[4:7], off
	s_waitcnt lgkmcnt(3)
	global_store_b128 v[26:27], v[0:3], off
	;; [unrolled: 2-line block ×5, first 2 shown]
	s_nop 0
	s_sendmsg sendmsg(MSG_DEALLOC_VGPRS)
	s_endpgm
	.section	.rodata,"a",@progbits
	.p2align	6, 0x0
	.amdhsa_kernel _Z39paged_attention_ll4mi_QKV_mfma16_kernelI14__hip_bfloat16S0_LN4vllm18Fp8KVCacheDataTypeE0ES0_Li16ELi128ELi256ELb1ELi12EL8MFMAType0EEvPKT_PKT0_S9_ifPKiSB_SB_iPKfiiiPfSE_PS4_PT2_iSD_SD_
		.amdhsa_group_segment_fixed_size 17472
		.amdhsa_private_segment_fixed_size 0
		.amdhsa_kernarg_size 400
		.amdhsa_user_sgpr_count 13
		.amdhsa_user_sgpr_dispatch_ptr 0
		.amdhsa_user_sgpr_queue_ptr 0
		.amdhsa_user_sgpr_kernarg_segment_ptr 1
		.amdhsa_user_sgpr_dispatch_id 0
		.amdhsa_user_sgpr_private_segment_size 0
		.amdhsa_wavefront_size32 1
		.amdhsa_uses_dynamic_stack 0
		.amdhsa_enable_private_segment 0
		.amdhsa_system_sgpr_workgroup_id_x 1
		.amdhsa_system_sgpr_workgroup_id_y 1
		.amdhsa_system_sgpr_workgroup_id_z 1
		.amdhsa_system_sgpr_workgroup_info 0
		.amdhsa_system_vgpr_workitem_id 0
		.amdhsa_next_free_vgpr 218
		.amdhsa_next_free_sgpr 50
		.amdhsa_reserve_vcc 1
		.amdhsa_float_round_mode_32 0
		.amdhsa_float_round_mode_16_64 0
		.amdhsa_float_denorm_mode_32 3
		.amdhsa_float_denorm_mode_16_64 3
		.amdhsa_dx10_clamp 1
		.amdhsa_ieee_mode 1
		.amdhsa_fp16_overflow 0
		.amdhsa_workgroup_processor_mode 1
		.amdhsa_memory_ordered 1
		.amdhsa_forward_progress 0
		.amdhsa_shared_vgpr_count 0
		.amdhsa_exception_fp_ieee_invalid_op 0
		.amdhsa_exception_fp_denorm_src 0
		.amdhsa_exception_fp_ieee_div_zero 0
		.amdhsa_exception_fp_ieee_overflow 0
		.amdhsa_exception_fp_ieee_underflow 0
		.amdhsa_exception_fp_ieee_inexact 0
		.amdhsa_exception_int_div_zero 0
	.end_amdhsa_kernel
	.section	.text._Z39paged_attention_ll4mi_QKV_mfma16_kernelI14__hip_bfloat16S0_LN4vllm18Fp8KVCacheDataTypeE0ES0_Li16ELi128ELi256ELb1ELi12EL8MFMAType0EEvPKT_PKT0_S9_ifPKiSB_SB_iPKfiiiPfSE_PS4_PT2_iSD_SD_,"axG",@progbits,_Z39paged_attention_ll4mi_QKV_mfma16_kernelI14__hip_bfloat16S0_LN4vllm18Fp8KVCacheDataTypeE0ES0_Li16ELi128ELi256ELb1ELi12EL8MFMAType0EEvPKT_PKT0_S9_ifPKiSB_SB_iPKfiiiPfSE_PS4_PT2_iSD_SD_,comdat
.Lfunc_end645:
	.size	_Z39paged_attention_ll4mi_QKV_mfma16_kernelI14__hip_bfloat16S0_LN4vllm18Fp8KVCacheDataTypeE0ES0_Li16ELi128ELi256ELb1ELi12EL8MFMAType0EEvPKT_PKT0_S9_ifPKiSB_SB_iPKfiiiPfSE_PS4_PT2_iSD_SD_, .Lfunc_end645-_Z39paged_attention_ll4mi_QKV_mfma16_kernelI14__hip_bfloat16S0_LN4vllm18Fp8KVCacheDataTypeE0ES0_Li16ELi128ELi256ELb1ELi12EL8MFMAType0EEvPKT_PKT0_S9_ifPKiSB_SB_iPKfiiiPfSE_PS4_PT2_iSD_SD_
                                        ; -- End function
	.section	.AMDGPU.csdata,"",@progbits
; Kernel info:
; codeLenInByte = 10344
; NumSgprs: 52
; NumVgprs: 218
; ScratchSize: 0
; MemoryBound: 0
; FloatMode: 240
; IeeeMode: 1
; LDSByteSize: 17472 bytes/workgroup (compile time only)
; SGPRBlocks: 6
; VGPRBlocks: 27
; NumSGPRsForWavesPerEU: 52
; NumVGPRsForWavesPerEU: 218
; Occupancy: 6
; WaveLimiterHint : 1
; COMPUTE_PGM_RSRC2:SCRATCH_EN: 0
; COMPUTE_PGM_RSRC2:USER_SGPR: 13
; COMPUTE_PGM_RSRC2:TRAP_HANDLER: 0
; COMPUTE_PGM_RSRC2:TGID_X_EN: 1
; COMPUTE_PGM_RSRC2:TGID_Y_EN: 1
; COMPUTE_PGM_RSRC2:TGID_Z_EN: 1
; COMPUTE_PGM_RSRC2:TIDIG_COMP_CNT: 0
	.section	.text._Z39paged_attention_ll4mi_QKV_mfma16_kernelI14__hip_bfloat16S0_LN4vllm18Fp8KVCacheDataTypeE0ES0_Li16ELi128ELi256ELb1ELi13EL8MFMAType0EEvPKT_PKT0_S9_ifPKiSB_SB_iPKfiiiPfSE_PS4_PT2_iSD_SD_,"axG",@progbits,_Z39paged_attention_ll4mi_QKV_mfma16_kernelI14__hip_bfloat16S0_LN4vllm18Fp8KVCacheDataTypeE0ES0_Li16ELi128ELi256ELb1ELi13EL8MFMAType0EEvPKT_PKT0_S9_ifPKiSB_SB_iPKfiiiPfSE_PS4_PT2_iSD_SD_,comdat
	.protected	_Z39paged_attention_ll4mi_QKV_mfma16_kernelI14__hip_bfloat16S0_LN4vllm18Fp8KVCacheDataTypeE0ES0_Li16ELi128ELi256ELb1ELi13EL8MFMAType0EEvPKT_PKT0_S9_ifPKiSB_SB_iPKfiiiPfSE_PS4_PT2_iSD_SD_ ; -- Begin function _Z39paged_attention_ll4mi_QKV_mfma16_kernelI14__hip_bfloat16S0_LN4vllm18Fp8KVCacheDataTypeE0ES0_Li16ELi128ELi256ELb1ELi13EL8MFMAType0EEvPKT_PKT0_S9_ifPKiSB_SB_iPKfiiiPfSE_PS4_PT2_iSD_SD_
	.globl	_Z39paged_attention_ll4mi_QKV_mfma16_kernelI14__hip_bfloat16S0_LN4vllm18Fp8KVCacheDataTypeE0ES0_Li16ELi128ELi256ELb1ELi13EL8MFMAType0EEvPKT_PKT0_S9_ifPKiSB_SB_iPKfiiiPfSE_PS4_PT2_iSD_SD_
	.p2align	8
	.type	_Z39paged_attention_ll4mi_QKV_mfma16_kernelI14__hip_bfloat16S0_LN4vllm18Fp8KVCacheDataTypeE0ES0_Li16ELi128ELi256ELb1ELi13EL8MFMAType0EEvPKT_PKT0_S9_ifPKiSB_SB_iPKfiiiPfSE_PS4_PT2_iSD_SD_,@function
_Z39paged_attention_ll4mi_QKV_mfma16_kernelI14__hip_bfloat16S0_LN4vllm18Fp8KVCacheDataTypeE0ES0_Li16ELi128ELi256ELb1ELi13EL8MFMAType0EEvPKT_PKT0_S9_ifPKiSB_SB_iPKfiiiPfSE_PS4_PT2_iSD_SD_: ; @_Z39paged_attention_ll4mi_QKV_mfma16_kernelI14__hip_bfloat16S0_LN4vllm18Fp8KVCacheDataTypeE0ES0_Li16ELi128ELi256ELb1ELi13EL8MFMAType0EEvPKT_PKT0_S9_ifPKiSB_SB_iPKfiiiPfSE_PS4_PT2_iSD_SD_
; %bb.0:
	s_load_b64 s[4:5], s[0:1], 0x30
	s_mov_b32 s30, s13
	s_waitcnt lgkmcnt(0)
	s_cmp_lg_u64 s[4:5], 0
	s_cselect_b32 s8, -1, 0
	s_ashr_i32 s31, s13, 31
	s_cmp_eq_u64 s[4:5], 0
	s_cbranch_scc1 .LBB646_3
; %bb.1:
	s_lshl_b64 s[2:3], s[30:31], 2
	s_delay_alu instid0(SALU_CYCLE_1) | instskip(SKIP_4) | instid1(SALU_CYCLE_1)
	s_add_u32 s2, s4, s2
	s_addc_u32 s3, s5, s3
	s_load_b64 s[2:3], s[2:3], 0x0
	s_waitcnt lgkmcnt(0)
	s_sub_i32 s2, s3, s2
	s_cmp_eq_u32 s2, 1
	s_cselect_b32 s2, -1, 0
	s_delay_alu instid0(SALU_CYCLE_1)
	s_and_not1_b32 vcc_lo, exec_lo, s2
	s_cbranch_vccz .LBB646_4
.LBB646_2:
	s_nop 0
	s_sendmsg sendmsg(MSG_DEALLOC_VGPRS)
	s_endpgm
.LBB646_3:
.LBB646_4:
	s_load_b64 s[2:3], s[0:1], 0x28
	s_lshl_b64 s[6:7], s[30:31], 2
	s_waitcnt lgkmcnt(0)
	s_add_u32 s2, s2, s6
	s_addc_u32 s3, s3, s7
	s_lshl_b32 s29, s14, 8
	s_load_b32 s28, s[2:3], 0x0
	s_waitcnt lgkmcnt(0)
	s_cmp_ge_i32 s29, s28
	s_cbranch_scc1 .LBB646_2
; %bb.5:
	s_clause 0x1
	s_load_b128 s[20:23], s[0:1], 0x8
	s_load_b64 s[2:3], s[0:1], 0x20
	s_and_not1_b32 vcc_lo, exec_lo, s8
	s_cbranch_vccnz .LBB646_7
; %bb.6:
	s_add_u32 s4, s4, s6
	s_addc_u32 s5, s5, s7
	s_load_b32 s5, s[4:5], 0x0
	s_branch .LBB646_8
.LBB646_7:
	s_mov_b32 s5, s30
.LBB646_8:
	s_load_b128 s[16:19], s[0:1], 0x48
	v_and_b32_e32 v140, 15, v0
	v_lshrrev_b32_e32 v141, 5, v0
	v_bfe_u32 v138, v0, 4, 1
	v_and_b32_e32 v142, 31, v0
	v_and_b32_e32 v139, 1, v0
	v_lshlrev_b32_e32 v2, 3, v140
	s_mul_i32 s31, s15, 13
	v_lshl_or_b32 v1, v141, 1, v138
	s_mov_b32 s4, exec_lo
	s_delay_alu instid0(VALU_DEP_2) | instskip(NEXT) | instid1(VALU_DEP_2)
	v_lshlrev_b32_e32 v137, 1, v2
	v_cmpx_gt_u32_e32 13, v1
	s_cbranch_execz .LBB646_10
; %bb.9:
	s_load_b64 s[6:7], s[0:1], 0x0
	v_add_lshl_u32 v2, v1, s31, 7
	s_waitcnt lgkmcnt(0)
	s_mul_hi_i32 s9, s5, s16
	s_mul_i32 s8, s5, s16
	v_lshlrev_b32_e32 v6, 10, v140
	s_lshl_b64 s[8:9], s[8:9], 1
	v_ashrrev_i32_e32 v3, 31, v2
	v_lshlrev_b32_e32 v1, 6, v1
	v_lshlrev_b32_e32 v7, 10, v139
	v_and_b32_e32 v6, 0x3800, v6
	s_delay_alu instid0(VALU_DEP_4) | instskip(NEXT) | instid1(VALU_DEP_2)
	v_lshlrev_b64 v[2:3], 1, v[2:3]
	v_or3_b32 v1, v6, v7, v1
	s_add_u32 s5, s6, s8
	s_addc_u32 s6, s7, s9
	s_delay_alu instid0(VALU_DEP_2) | instskip(NEXT) | instid1(VALU_DEP_3)
	v_add_co_u32 v2, vcc_lo, s5, v2
	v_add_co_ci_u32_e32 v3, vcc_lo, s6, v3, vcc_lo
	s_delay_alu instid0(VALU_DEP_2) | instskip(NEXT) | instid1(VALU_DEP_2)
	v_add_co_u32 v2, vcc_lo, v2, v137
	v_add_co_ci_u32_e32 v3, vcc_lo, 0, v3, vcc_lo
	global_load_b128 v[2:5], v[2:3], off
	s_waitcnt vmcnt(0)
	ds_store_b128 v1, v[2:5]
.LBB646_10:
	s_or_b32 exec_lo, exec_lo, s4
	v_and_b32_e32 v1, 0xef, v0
	s_waitcnt lgkmcnt(0)
	s_add_i32 s5, s28, 15
	s_clause 0x1
	s_load_b32 s4, s[0:1], 0x38
	s_load_b32 s33, s[0:1], 0x1c
	s_ashr_i32 s6, s5, 31
	v_add_nc_u32_e32 v1, s29, v1
	s_lshr_b32 s6, s6, 28
	s_waitcnt lgkmcnt(0)
	s_add_i32 s5, s5, s6
	s_barrier
	v_ashrrev_i32_e32 v2, 31, v1
	v_cmp_gt_i32_e32 vcc_lo, s28, v1
	s_ashr_i32 s16, s5, 4
	buffer_gl0_inv
	s_add_i32 s16, s16, -1
	v_lshrrev_b32_e32 v3, 28, v2
	v_or_b32_e32 v2, 16, v1
	v_add_nc_u32_e32 v105, -13, v140
	v_lshlrev_b32_e32 v106, 5, v140
	s_delay_alu instid0(VALU_DEP_4) | instskip(NEXT) | instid1(VALU_DEP_4)
	v_add_nc_u32_e32 v4, v1, v3
	v_add_nc_u32_e32 v3, v2, v3
	s_mul_i32 s4, s30, s4
	s_delay_alu instid0(VALU_DEP_3) | instskip(SKIP_4) | instid1(SALU_CYCLE_1)
	v_lshl_or_b32 v125, v141, 9, v106
	s_ashr_i32 s5, s4, 31
	v_ashrrev_i32_e32 v4, 4, v4
	v_ashrrev_i32_e32 v3, 4, v3
	s_lshl_b64 s[4:5], s[4:5], 2
	s_add_u32 s34, s2, s4
	s_delay_alu instid0(VALU_DEP_2) | instskip(SKIP_3) | instid1(VALU_DEP_2)
	v_cndmask_b32_e32 v1, s16, v4, vcc_lo
	v_cmp_gt_i32_e32 vcc_lo, s28, v2
	s_addc_u32 s35, s3, s5
	s_mul_i32 s2, s15, s18
	v_ashrrev_i32_e32 v2, 31, v1
	v_cndmask_b32_e32 v3, s16, v3, vcc_lo
	s_ashr_i32 s3, s2, 31
	s_delay_alu instid0(SALU_CYCLE_1) | instskip(NEXT) | instid1(VALU_DEP_2)
	s_lshl_b64 s[2:3], s[2:3], 1
	v_lshlrev_b64 v[1:2], 2, v[1:2]
	s_delay_alu instid0(VALU_DEP_2) | instskip(SKIP_3) | instid1(VALU_DEP_1)
	v_ashrrev_i32_e32 v4, 31, v3
	s_add_u32 s24, s20, s2
	s_addc_u32 s25, s21, s3
	s_lshl_b32 s4, s14, 4
	v_lshlrev_b64 v[3:4], 2, v[3:4]
	v_add_co_u32 v1, vcc_lo, s34, v1
	v_add_co_ci_u32_e32 v2, vcc_lo, s35, v2, vcc_lo
	s_ashr_i32 s5, s4, 31
	s_delay_alu instid0(VALU_DEP_3) | instskip(NEXT) | instid1(VALU_DEP_4)
	v_add_co_u32 v3, vcc_lo, s34, v3
	v_add_co_ci_u32_e32 v4, vcc_lo, s35, v4, vcc_lo
	s_lshl_b64 s[4:5], s[4:5], 2
	s_clause 0x1
	global_load_b32 v5, v[1:2], off
	global_load_b32 v6, v[3:4], off
	s_add_u32 s4, s34, s4
	s_addc_u32 s5, s35, s5
	s_or_b32 s6, s29, 16
	v_lshlrev_b32_e32 v3, 4, v0
	s_ashr_i32 s7, s6, 4
	s_cmp_lt_i32 s6, s28
	s_cselect_b32 s6, s7, s16
	s_delay_alu instid0(SALU_CYCLE_1) | instskip(NEXT) | instid1(SALU_CYCLE_1)
	s_ashr_i32 s7, s6, 31
	s_lshl_b64 s[6:7], s[6:7], 2
	s_delay_alu instid0(SALU_CYCLE_1) | instskip(SKIP_2) | instid1(SALU_CYCLE_1)
	s_add_u32 s6, s34, s6
	s_addc_u32 s7, s35, s7
	s_or_b32 s8, s29, 32
	s_ashr_i32 s9, s8, 4
	s_cmp_lt_i32 s8, s28
	s_cselect_b32 s8, s9, s16
	s_delay_alu instid0(SALU_CYCLE_1) | instskip(NEXT) | instid1(SALU_CYCLE_1)
	s_ashr_i32 s9, s8, 31
	s_lshl_b64 s[8:9], s[8:9], 2
	s_delay_alu instid0(SALU_CYCLE_1) | instskip(SKIP_2) | instid1(SALU_CYCLE_1)
	s_add_u32 s8, s34, s8
	s_addc_u32 s9, s35, s9
	s_or_b32 s10, s29, 48
	;; [unrolled: 10-line block ×4, first 2 shown]
	s_ashr_i32 s13, s12, 4
	s_cmp_lt_i32 s12, s28
	s_cselect_b32 s12, s13, s16
	s_delay_alu instid0(SALU_CYCLE_1) | instskip(NEXT) | instid1(SALU_CYCLE_1)
	s_ashr_i32 s13, s12, 31
	s_lshl_b64 s[12:13], s[12:13], 2
	s_delay_alu instid0(SALU_CYCLE_1)
	s_add_u32 s20, s34, s12
	s_addc_u32 s21, s35, s13
	s_clause 0x5
	s_load_b32 s36, s[4:5], 0x0
	s_load_b32 s27, s[6:7], 0x0
	;; [unrolled: 1-line block ×6, first 2 shown]
	s_waitcnt vmcnt(1)
	v_mad_i64_i32 v[1:2], null, v5, s17, 0
	v_and_b32_e32 v5, 0xf0, v3
	s_waitcnt vmcnt(0)
	v_mad_i64_i32 v[3:4], null, v6, s17, 0
	s_delay_alu instid0(VALU_DEP_2) | instskip(NEXT) | instid1(VALU_DEP_4)
	v_add_co_u32 v5, s4, s24, v5
	v_lshlrev_b64 v[1:2], 1, v[1:2]
	v_add_co_ci_u32_e64 v6, null, s25, 0, s4
	s_delay_alu instid0(VALU_DEP_4) | instskip(SKIP_1) | instid1(VALU_DEP_3)
	v_lshlrev_b64 v[3:4], 1, v[3:4]
	s_or_b32 s4, s29, 0x60
	v_add_co_u32 v121, vcc_lo, v5, v1
	s_delay_alu instid0(VALU_DEP_3) | instskip(NEXT) | instid1(VALU_DEP_3)
	v_add_co_ci_u32_e32 v122, vcc_lo, v6, v2, vcc_lo
	v_add_co_u32 v123, vcc_lo, v5, v3
	s_delay_alu instid0(VALU_DEP_4)
	v_add_co_ci_u32_e32 v124, vcc_lo, v6, v4, vcc_lo
	s_clause 0x19
	global_load_b128 v[89:92], v[121:122], off
	global_load_b128 v[93:96], v[121:122], off offset:256
	global_load_b128 v[97:100], v[123:124], off
	global_load_b128 v[101:104], v[123:124], off offset:256
	global_load_b128 v[81:84], v[121:122], off offset:512
	;; [unrolled: 1-line block ×23, first 2 shown]
	s_ashr_i32 s5, s4, 4
	s_cmp_lt_i32 s4, s28
	v_cmp_gt_u32_e32 vcc_lo, 13, v140
	s_cselect_b32 s4, s5, s16
	s_delay_alu instid0(SALU_CYCLE_1) | instskip(NEXT) | instid1(SALU_CYCLE_1)
	s_ashr_i32 s5, s4, 31
	s_lshl_b64 s[4:5], s[4:5], 2
	v_cndmask_b32_e32 v105, v105, v140, vcc_lo
	s_add_u32 s18, s34, s4
	s_addc_u32 s19, s35, s5
	s_or_b32 s4, s29, 0x70
	s_delay_alu instid0(SALU_CYCLE_1)
	s_ashr_i32 s5, s4, 4
	s_cmp_lt_i32 s4, s28
	v_lshlrev_b32_e32 v215, 6, v105
	s_cselect_b32 s6, s5, s16
	ds_load_b128 v[105:108], v215
	ds_load_b128 v[109:112], v215 offset:1024
	s_ashr_i32 s7, s6, 31
	ds_load_b128 v[113:116], v215 offset:2048
	ds_load_b128 v[117:120], v215 offset:3072
	;; [unrolled: 1-line block ×8, first 2 shown]
	s_clause 0x1
	global_load_b128 v[167:170], v[123:124], off offset:3072
	global_load_b128 v[171:174], v[123:124], off offset:3328
	s_lshl_b64 s[6:7], s[6:7], 2
	s_mov_b32 s4, 0
	s_add_u32 s20, s34, s6
	s_addc_u32 s21, s35, s7
	s_clause 0x1
	s_load_b32 s42, s[18:19], 0x0
	s_load_b32 s43, s[20:21], 0x0
	s_clause 0x3
	global_load_b128 v[175:178], v[121:122], off offset:3584
	global_load_b128 v[179:182], v[121:122], off offset:3840
	;; [unrolled: 1-line block ×4, first 2 shown]
	s_or_b32 s7, s29, 0x80
	s_mov_b32 s5, s4
	s_ashr_i32 s8, s7, 4
	s_cmp_lt_i32 s7, s28
	s_mov_b32 s6, s4
	s_cselect_b32 s10, s8, s16
	s_mov_b32 s7, s4
	s_ashr_i32 s11, s10, 31
	s_mov_b32 s8, s4
	s_lshl_b64 s[24:25], s[10:11], 2
	s_mov_b32 s9, s4
	s_add_u32 s24, s34, s24
	s_addc_u32 s25, s35, s25
	s_or_b32 s11, s29, 0x90
	s_mov_b32 s10, s4
	s_ashr_i32 s37, s11, 4
	s_cmp_lt_i32 s11, s28
	s_mov_b32 s11, s4
	s_cselect_b32 s38, s37, s16
	v_mov_b32_e32 v136, s11
	s_ashr_i32 s39, s38, 31
	v_dual_mov_b32 v135, s10 :: v_dual_mov_b32 v134, s9
	v_dual_mov_b32 v133, s8 :: v_dual_mov_b32 v132, s7
	;; [unrolled: 1-line block ×3, first 2 shown]
	v_mov_b32_e32 v129, s4
	s_lshl_b64 s[4:5], s[38:39], 2
	s_waitcnt lgkmcnt(0)
	s_mul_hi_i32 s7, s27, s17
	s_add_u32 s38, s34, s4
	s_addc_u32 s39, s35, s5
	s_or_b32 s4, s29, 0xa0
	s_load_b32 s39, s[38:39], 0x0
	s_ashr_i32 s5, s4, 4
	s_cmp_lt_i32 s4, s28
	s_cselect_b32 s4, s5, s16
	s_delay_alu instid0(SALU_CYCLE_1) | instskip(NEXT) | instid1(SALU_CYCLE_1)
	s_ashr_i32 s5, s4, 31
	s_lshl_b64 s[4:5], s[4:5], 2
	s_delay_alu instid0(SALU_CYCLE_1)
	s_add_u32 s40, s34, s4
	s_addc_u32 s41, s35, s5
	s_or_b32 s4, s29, 0xb0
	s_mul_hi_i32 s5, s36, s17
	s_ashr_i32 s6, s4, 4
	s_cmp_lt_i32 s4, s28
	s_mul_i32 s4, s36, s17
	s_cselect_b32 s8, s6, s16
	s_mul_i32 s6, s27, s17
	s_ashr_i32 s9, s8, 31
	s_load_b32 s38, s[40:41], 0x0
	s_lshl_b64 s[10:11], s[8:9], 2
	s_mul_hi_i32 s9, s26, s17
	s_add_u32 s36, s34, s10
	s_addc_u32 s37, s35, s11
	s_or_b32 s10, s29, 0xc0
	s_mul_i32 s8, s26, s17
	s_ashr_i32 s26, s10, 4
	s_cmp_lt_i32 s10, s28
	s_mul_hi_i32 s11, s13, s17
	s_cselect_b32 s26, s26, s16
	s_mul_i32 s10, s13, s17
	s_ashr_i32 s27, s26, 31
	s_mul_hi_i32 s13, s12, s17
	s_lshl_b64 s[26:27], s[26:27], 2
	s_mul_i32 s12, s12, s17
	s_add_u32 s20, s34, s26
	s_addc_u32 s21, s35, s27
	s_or_b32 s18, s29, 0xd0
	s_load_b32 s26, s[24:25], 0x0
	s_ashr_i32 s19, s18, 4
	s_cmp_lt_i32 s18, s28
	s_mul_i32 s18, s15, s17
	s_cselect_b32 s24, s19, s16
	s_mul_hi_i32 s19, s15, s17
	s_ashr_i32 s25, s24, 31
	s_waitcnt lgkmcnt(0)
	s_mul_hi_i32 s41, s39, s17
	s_lshl_b64 s[24:25], s[24:25], 2
	s_delay_alu instid0(SALU_CYCLE_1)
	s_add_u32 s24, s34, s24
	s_addc_u32 s25, s35, s25
	s_or_b32 s40, s29, 0xe0
	s_clause 0x2
	s_load_b32 s37, s[36:37], 0x0
	s_load_b32 s36, s[20:21], 0x0
	;; [unrolled: 1-line block ×3, first 2 shown]
	s_ashr_i32 s44, s40, 4
	s_cmp_lt_i32 s40, s28
	s_mul_hi_i32 s21, s42, s17
	s_mul_i32 s20, s42, s17
	s_cselect_b32 s42, s44, s16
	s_mul_hi_i32 s25, s43, s17
	s_mul_i32 s24, s43, s17
	s_ashr_i32 s43, s42, 31
	s_mul_hi_i32 s27, s26, s17
	s_lshl_b64 s[42:43], s[42:43], 2
	s_mul_i32 s26, s26, s17
	s_add_u32 s42, s34, s42
	s_addc_u32 s43, s35, s43
	s_or_b32 s44, s29, 0xf0
	s_mul_i32 s40, s39, s17
	s_ashr_i32 s46, s44, 4
	s_cmp_lt_i32 s44, s28
	s_mul_hi_i32 s39, s38, s17
	s_cselect_b32 s46, s46, s16
	s_waitcnt lgkmcnt(0)
	s_mul_hi_i32 s49, s15, s17
	s_ashr_i32 s47, s46, 31
	s_mul_i32 s48, s15, s17
	s_lshl_b64 s[46:47], s[46:47], 2
	s_mul_i32 s38, s38, s17
	s_add_u32 s34, s34, s46
	s_addc_u32 s35, s35, s47
	s_add_u32 s15, s22, s2
	s_addc_u32 s16, s23, s3
	v_add_co_u32 v216, s15, s15, v125
	s_delay_alu instid0(VALU_DEP_1) | instskip(SKIP_2) | instid1(VALU_DEP_2)
	v_add_co_ci_u32_e64 v217, null, s16, 0, s15
	s_lshl_b64 s[2:3], s[4:5], 1
	s_lshl_b64 s[4:5], s[6:7], 1
	v_add_co_u32 v125, vcc_lo, v216, s2
	s_delay_alu instid0(VALU_DEP_2)
	v_add_co_ci_u32_e32 v126, vcc_lo, s3, v217, vcc_lo
	v_add_co_u32 v199, vcc_lo, v216, s4
	s_lshl_b64 s[6:7], s[8:9], 1
	v_add_co_ci_u32_e32 v200, vcc_lo, s5, v217, vcc_lo
	s_lshl_b64 s[8:9], s[10:11], 1
	s_lshl_b64 s[10:11], s[12:13], 1
	;; [unrolled: 1-line block ×8, first 2 shown]
	s_mul_hi_i32 s45, s37, s17
	s_mul_i32 s44, s37, s17
	s_mul_hi_i32 s37, s36, s17
	s_lshl_b64 s[38:39], s[44:45], 1
	s_mul_i32 s36, s36, s17
	s_clause 0x1
	s_load_b32 s15, s[42:43], 0x0
	s_load_b32 s16, s[34:35], 0x0
	s_lshl_b64 s[36:37], s[36:37], 1
	s_lshl_b64 s[40:41], s[48:49], 1
	s_waitcnt lgkmcnt(0)
	s_mul_hi_i32 s3, s15, s17
	s_mul_i32 s2, s15, s17
	s_mul_hi_i32 s5, s16, s17
	s_lshl_b64 s[2:3], s[2:3], 1
	s_mul_i32 s4, s16, s17
	s_waitcnt vmcnt(30)
	v_wmma_f32_16x16x16_bf16 v[191:198], v[89:96], v[105:112], v[129:136]
	v_add_co_u32 v89, vcc_lo, v216, s6
	v_add_co_ci_u32_e32 v90, vcc_lo, s7, v217, vcc_lo
	v_add_co_u32 v91, vcc_lo, v216, s8
	v_add_co_ci_u32_e32 v92, vcc_lo, s9, v217, vcc_lo
	;; [unrolled: 2-line block ×5, first 2 shown]
	v_add_co_u32 v205, vcc_lo, v216, s20
	s_waitcnt vmcnt(28)
	v_wmma_f32_16x16x16_bf16 v[129:136], v[97:104], v[105:112], v[129:136]
	v_add_co_ci_u32_e32 v206, vcc_lo, s21, v217, vcc_lo
	v_add_co_u32 v207, vcc_lo, v216, s22
	v_add_co_ci_u32_e32 v208, vcc_lo, s23, v217, vcc_lo
	v_add_co_u32 v209, vcc_lo, v216, s24
	s_waitcnt vmcnt(26)
	v_wmma_f32_16x16x16_bf16 v[191:198], v[81:88], v[113:120], v[191:198]
	s_waitcnt vmcnt(24)
	v_wmma_f32_16x16x16_bf16 v[129:136], v[73:80], v[113:120], v[129:136]
	v_add_co_ci_u32_e32 v210, vcc_lo, s25, v217, vcc_lo
	v_add_co_u32 v211, vcc_lo, v216, s26
	v_add_co_ci_u32_e32 v212, vcc_lo, s27, v217, vcc_lo
	v_add_co_u32 v213, vcc_lo, v216, s38
	s_waitcnt vmcnt(22)
	v_wmma_f32_16x16x16_bf16 v[191:198], v[65:72], v[143:150], v[191:198]
	s_waitcnt vmcnt(20)
	v_wmma_f32_16x16x16_bf16 v[129:136], v[57:64], v[143:150], v[129:136]
	v_add_co_ci_u32_e32 v214, vcc_lo, s39, v217, vcc_lo
	v_add_co_u32 v143, vcc_lo, v216, s36
	s_waitcnt vmcnt(18)
	v_wmma_f32_16x16x16_bf16 v[191:198], v[49:56], v[151:158], v[191:198]
	s_waitcnt vmcnt(16)
	v_wmma_f32_16x16x16_bf16 v[129:136], v[41:48], v[151:158], v[129:136]
	v_add_co_ci_u32_e32 v144, vcc_lo, s37, v217, vcc_lo
	s_clause 0x15
	global_load_b128 v[121:124], v[125:126], off
	global_load_b128 v[125:128], v[125:126], off offset:16
	global_load_b128 v[113:116], v[199:200], off
	global_load_b128 v[117:120], v[199:200], off offset:16
	;; [unrolled: 2-line block ×11, first 2 shown]
	s_waitcnt vmcnt(36)
	v_wmma_f32_16x16x16_bf16 v[191:198], v[17:24], v[159:166], v[191:198]
	s_clause 0x1
	global_load_b128 v[17:20], v[213:214], off
	global_load_b128 v[21:24], v[213:214], off offset:16
	s_waitcnt vmcnt(36)
	v_wmma_f32_16x16x16_bf16 v[129:136], v[1:8], v[159:166], v[129:136]
	s_clause 0x1
	global_load_b128 v[1:4], v[143:144], off
	global_load_b128 v[5:8], v[143:144], off offset:16
	ds_load_b128 v[143:146], v215 offset:10240
	ds_load_b128 v[147:150], v215 offset:11264
	;; [unrolled: 1-line block ×4, first 2 shown]
	v_add_co_u32 v199, vcc_lo, v216, s40
	v_add_co_ci_u32_e32 v200, vcc_lo, s41, v217, vcc_lo
	v_add_co_u32 v159, vcc_lo, v216, s2
	v_add_co_ci_u32_e32 v160, vcc_lo, s3, v217, vcc_lo
	s_lshl_b64 s[2:3], s[4:5], 1
	s_delay_alu instid0(SALU_CYCLE_1)
	v_add_co_u32 v161, vcc_lo, v216, s2
	v_add_co_ci_u32_e32 v162, vcc_lo, s3, v217, vcc_lo
	s_waitcnt vmcnt(36) lgkmcnt(2)
	v_wmma_f32_16x16x16_bf16 v[191:198], v[25:32], v[143:150], v[191:198]
	s_waitcnt vmcnt(34)
	v_wmma_f32_16x16x16_bf16 v[129:136], v[33:40], v[143:150], v[129:136]
	s_clause 0x3
	global_load_b128 v[25:28], v[199:200], off
	global_load_b128 v[29:32], v[199:200], off offset:16
	global_load_b128 v[33:36], v[159:160], off
	global_load_b128 v[37:40], v[159:160], off offset:16
	v_and_b32_e32 v143, 0xe0, v0
	v_mbcnt_lo_u32_b32 v159, -1, 0
	s_waitcnt vmcnt(36) lgkmcnt(0)
	v_wmma_f32_16x16x16_bf16 v[191:198], v[9:16], v[151:158], v[191:198]
	s_clause 0x1
	global_load_b128 v[9:12], v[161:162], off
	global_load_b128 v[13:16], v[161:162], off offset:16
	s_waitcnt vmcnt(36)
	v_wmma_f32_16x16x16_bf16 v[129:136], v[167:174], v[151:158], v[129:136]
	v_add_nc_u32_e32 v160, s29, v143
	ds_load_b128 v[143:146], v215 offset:14336
	ds_load_b128 v[147:150], v215 offset:15360
	v_xor_b32_e32 v151, 16, v159
	s_waitcnt vmcnt(0) lgkmcnt(0)
	s_barrier
	v_or_b32_e32 v152, v160, v138
	buffer_gl0_inv
	v_cmp_gt_i32_e32 vcc_lo, 32, v151
	v_or_b32_e32 v153, 2, v152
	v_or_b32_e32 v154, 4, v152
	;; [unrolled: 1-line block ×5, first 2 shown]
	v_cmp_gt_i32_e64 s2, s28, v153
	v_cmp_gt_i32_e64 s3, s28, v154
	;; [unrolled: 1-line block ×3, first 2 shown]
	v_or_b32_e32 v158, 12, v152
	v_cmp_gt_i32_e64 s5, s28, v156
	v_cmp_gt_i32_e64 s6, s28, v157
	v_wmma_f32_16x16x16_bf16 v[191:198], v[175:182], v[143:150], v[191:198]
	v_wmma_f32_16x16x16_bf16 v[129:136], v[183:190], v[143:150], v[129:136]
	v_cndmask_b32_e32 v151, v159, v151, vcc_lo
	v_cmp_gt_i32_e32 vcc_lo, s28, v152
	v_or_b32_e32 v159, 14, v152
	v_dual_mul_f32 v149, s33, v192 :: v_dual_mul_f32 v150, s33, v191
	v_dual_mul_f32 v147, s33, v194 :: v_dual_mul_f32 v148, s33, v193
	v_mul_f32_e32 v145, s33, v196
	s_delay_alu instid0(VALU_DEP_3) | instskip(NEXT) | instid1(VALU_DEP_4)
	v_cndmask_b32_e64 v149, 0xff7fffff, v149, s2
	v_cndmask_b32_e32 v150, 0xff7fffff, v150, vcc_lo
	v_mul_f32_e32 v146, s33, v195
	v_cndmask_b32_e64 v148, 0xff7fffff, v148, s3
	v_cndmask_b32_e64 v147, 0xff7fffff, v147, s4
	v_or_b32_e32 v160, 16, v152
	v_max3_f32 v149, v150, 0xff7fffff, v149
	v_or_b32_e32 v161, 18, v152
	v_dual_mul_f32 v143, s33, v198 :: v_dual_mul_f32 v144, s33, v197
	v_cndmask_b32_e64 v146, 0xff7fffff, v146, s5
	v_cndmask_b32_e64 v145, 0xff7fffff, v145, s6
	v_max3_f32 v147, v149, v148, v147
	v_cmp_gt_i32_e64 s7, s28, v158
	v_cmp_gt_i32_e64 s8, s28, v159
	v_or_b32_e32 v162, 20, v152
	v_or_b32_e32 v163, 22, v152
	v_dual_mul_f32 v174, s33, v130 :: v_dual_mul_f32 v175, s33, v129
	v_cndmask_b32_e64 v144, 0xff7fffff, v144, s7
	v_cndmask_b32_e64 v143, 0xff7fffff, v143, s8
	v_max3_f32 v145, v147, v146, v145
	v_cmp_gt_i32_e64 s9, s28, v160
	v_cmp_gt_i32_e64 s10, s28, v161
	v_or_b32_e32 v164, 24, v152
	;; [unrolled: 8-line block ×3, first 2 shown]
	v_or_b32_e32 v167, 30, v152
	v_dual_mul_f32 v170, s33, v134 :: v_dual_mul_f32 v171, s33, v133
	v_cndmask_b32_e64 v144, 0xff7fffff, v173, s11
	v_cndmask_b32_e64 v145, 0xff7fffff, v172, s12
	v_max3_f32 v143, v143, v146, v147
	v_cmp_gt_i32_e64 s13, s28, v164
	v_cmp_gt_i32_e64 s15, s28, v165
	v_dual_mul_f32 v168, s33, v136 :: v_dual_mul_f32 v169, s33, v135
	s_delay_alu instid0(VALU_DEP_4) | instskip(NEXT) | instid1(VALU_DEP_4)
	v_max3_f32 v143, v143, v144, v145
	v_cndmask_b32_e64 v146, 0xff7fffff, v171, s13
	s_delay_alu instid0(VALU_DEP_4) | instskip(SKIP_3) | instid1(VALU_DEP_4)
	v_cndmask_b32_e64 v147, 0xff7fffff, v170, s15
	v_cmp_gt_i32_e64 s16, s28, v166
	v_cmp_gt_i32_e64 s17, s28, v167
	v_lshlrev_b32_e32 v154, 2, v151
	v_max3_f32 v143, v143, v146, v147
	s_delay_alu instid0(VALU_DEP_4) | instskip(NEXT) | instid1(VALU_DEP_4)
	v_cndmask_b32_e64 v144, 0xff7fffff, v169, s16
	v_cndmask_b32_e64 v145, 0xff7fffff, v168, s17
	s_delay_alu instid0(VALU_DEP_1) | instskip(SKIP_3) | instid1(VALU_DEP_1)
	v_max3_f32 v143, v143, v144, v145
	ds_bpermute_b32 v144, v154, v143
	s_waitcnt lgkmcnt(0)
	v_max_f32_e32 v144, v144, v144
	v_max_f32_e32 v153, v143, v144
	s_delay_alu instid0(VALU_DEP_1) | instskip(SKIP_4) | instid1(VALU_DEP_4)
	v_fma_f32 v143, s33, v191, -v153
	v_fma_f32 v144, s33, v192, -v153
	;; [unrolled: 1-line block ×5, first 2 shown]
	v_dual_mul_f32 v143, 0x3fb8aa3b, v143 :: v_dual_mul_f32 v144, 0x3fb8aa3b, v144
	s_delay_alu instid0(VALU_DEP_4) | instskip(SKIP_2) | instid1(VALU_DEP_4)
	v_mul_f32_e32 v132, 0x3fb8aa3b, v132
	v_fma_f32 v134, s33, v134, -v153
	v_mul_f32_e32 v145, 0x3fb8aa3b, v145
	v_exp_f32_e32 v143, v143
	v_exp_f32_e32 v147, v144
	v_fma_f32 v148, s33, v195, -v153
	v_mul_f32_e32 v134, 0x3fb8aa3b, v134
	v_mul_f32_e32 v146, 0x3fb8aa3b, v146
	v_exp_f32_e32 v145, v145
	v_fma_f32 v151, s33, v197, -v153
	v_mul_f32_e32 v148, 0x3fb8aa3b, v148
	v_fma_f32 v129, s33, v129, -v153
	v_exp_f32_e32 v149, v146
	v_cndmask_b32_e32 v144, 0, v143, vcc_lo
	v_fma_f32 v143, s33, v196, -v153
	v_cndmask_b32_e64 v146, 0, v147, s2
	v_exp_f32_e32 v148, v148
	s_delay_alu instid0(VALU_DEP_3) | instskip(NEXT) | instid1(VALU_DEP_3)
	v_dual_mul_f32 v151, 0x3fb8aa3b, v151 :: v_dual_add_f32 v150, 0, v144
	v_mul_f32_e32 v143, 0x3fb8aa3b, v143
	v_cndmask_b32_e64 v147, 0, v145, s3
	v_fma_f32 v130, s33, v130, -v153
	s_delay_alu instid0(TRANS32_DEP_2)
	v_cndmask_b32_e64 v149, 0, v149, s4
	v_add_f32_e32 v145, v150, v146
	v_fma_f32 v150, s33, v198, -v153
	v_exp_f32_e32 v143, v143
	v_exp_f32_e32 v155, v151
	v_mul_f32_e32 v129, 0x3fb8aa3b, v129
	s_delay_alu instid0(VALU_DEP_2) | instskip(SKIP_2) | instid1(VALU_DEP_3)
	v_dual_add_f32 v145, v145, v147 :: v_dual_mul_f32 v152, 0x3fb8aa3b, v150
	v_cndmask_b32_e64 v150, 0, v148, s5
	v_fma_f32 v131, s33, v131, -v153
	v_dual_mul_f32 v130, 0x3fb8aa3b, v130 :: v_dual_add_f32 v145, v145, v149
	s_delay_alu instid0(VALU_DEP_4) | instskip(NEXT) | instid1(TRANS32_DEP_3)
	v_exp_f32_e32 v152, v152
	v_cndmask_b32_e64 v151, 0, v143, s6
	v_exp_f32_e32 v129, v129
	s_delay_alu instid0(TRANS32_DEP_3)
	v_cndmask_b32_e64 v148, 0, v155, s7
	v_add_f32_e32 v143, v145, v150
	v_mul_f32_e32 v131, 0x3fb8aa3b, v131
	v_exp_f32_e32 v130, v130
	v_fma_f32 v133, s33, v133, -v153
	v_fma_f32 v136, s33, v136, -v153
	v_add_f32_e32 v143, v143, v151
	v_cndmask_b32_e64 v152, 0, v152, s8
	v_exp_f32_e32 v145, v131
	v_cndmask_b32_e64 v131, 0, v129, s9
	v_mul_f32_e32 v133, 0x3fb8aa3b, v133
	v_add_f32_e32 v143, v143, v148
	v_cmp_gt_u32_e64 s2, 16, v142
	s_delay_alu instid0(VALU_DEP_2)
	v_add_f32_e32 v129, v143, v152
	v_exp_f32_e32 v143, v132
	v_cndmask_b32_e64 v132, 0, v130, s10
	v_fma_f32 v130, s33, v135, -v153
	v_exp_f32_e32 v135, v133
	v_add_f32_e32 v129, v129, v131
	v_cndmask_b32_e64 v133, 0, v145, s11
	v_exp_f32_e32 v145, v134
	s_delay_alu instid0(VALU_DEP_2) | instskip(NEXT) | instid1(TRANS32_DEP_3)
	v_dual_mul_f32 v130, 0x3fb8aa3b, v130 :: v_dual_add_f32 v129, v129, v132
	v_cndmask_b32_e64 v134, 0, v143, s12
	v_mul_f32_e32 v143, 0x3fb8aa3b, v136
	s_delay_alu instid0(VALU_DEP_3) | instskip(NEXT) | instid1(TRANS32_DEP_3)
	v_exp_f32_e32 v130, v130
	v_cndmask_b32_e64 v135, 0, v135, s13
	v_add_f32_e32 v129, v129, v133
	s_delay_alu instid0(TRANS32_DEP_2) | instskip(SKIP_1) | instid1(VALU_DEP_2)
	v_cndmask_b32_e64 v136, 0, v145, s15
	v_exp_f32_e32 v145, v143
	v_add_f32_e32 v129, v129, v134
	s_waitcnt_depctr 0xfff
	v_cndmask_b32_e64 v143, 0, v130, s16
	v_add_f32_e32 v129, v129, v135
	v_cndmask_b32_e64 v145, 0, v145, s17
	s_delay_alu instid0(VALU_DEP_2) | instskip(NEXT) | instid1(VALU_DEP_1)
	v_add_f32_e32 v129, v129, v136
	v_add_f32_e32 v129, v129, v143
	s_delay_alu instid0(VALU_DEP_1)
	v_add_f32_e32 v129, v129, v145
	ds_bpermute_b32 v130, v154, v129
	s_and_saveexec_b32 s3, s2
	s_cbranch_execz .LBB646_12
; %bb.11:
	v_mul_u32_u24_e32 v142, 0x44, v141
	s_waitcnt lgkmcnt(0)
	v_add_f32_e32 v129, v129, v130
	s_delay_alu instid0(VALU_DEP_2) | instskip(NEXT) | instid1(VALU_DEP_1)
	v_lshl_add_u32 v142, v140, 2, v142
	v_add_nc_u32_e32 v130, 0x4000, v142
	ds_store_2addr_b32 v130, v153, v129 offset1:136
.LBB646_12:
	s_or_b32 exec_lo, exec_lo, s3
	v_lshlrev_b32_e32 v129, 2, v140
	s_waitcnt lgkmcnt(0)
	s_barrier
	buffer_gl0_inv
	v_cmp_eq_u32_e64 s3, 1, v141
	v_add_nc_u32_e32 v142, 0x4000, v129
	ds_load_2addr_b32 v[153:154], v142 offset1:17
	ds_load_2addr_b32 v[155:156], v142 offset0:34 offset1:51
	ds_load_2addr_b32 v[157:158], v142 offset0:68 offset1:85
	;; [unrolled: 1-line block ×4, first 2 shown]
	s_waitcnt lgkmcnt(4)
	v_max3_f32 v129, v153, 0xff7fffff, v154
	s_waitcnt lgkmcnt(3)
	s_delay_alu instid0(VALU_DEP_1) | instskip(SKIP_1) | instid1(VALU_DEP_1)
	v_max3_f32 v129, v129, v155, v156
	s_waitcnt lgkmcnt(2)
	v_max3_f32 v129, v129, v157, v158
	s_waitcnt lgkmcnt(1)
	s_delay_alu instid0(VALU_DEP_1) | instskip(NEXT) | instid1(VALU_DEP_1)
	v_max3_f32 v129, v129, v159, v160
	v_sub_f32_e32 v163, v154, v129
	v_sub_f32_e32 v130, v153, v129
	ds_load_2addr_b32 v[153:154], v142 offset0:170 offset1:187
	v_sub_f32_e32 v155, v155, v129
	v_dual_mul_f32 v163, 0x3fb8aa3b, v163 :: v_dual_mul_f32 v130, 0x3fb8aa3b, v130
	s_delay_alu instid0(VALU_DEP_2) | instskip(NEXT) | instid1(VALU_DEP_2)
	v_mul_f32_e32 v165, 0x3fb8aa3b, v155
	v_exp_f32_e32 v163, v163
	s_delay_alu instid0(VALU_DEP_2)
	v_exp_f32_e32 v164, v130
	v_sub_f32_e32 v130, v156, v129
	ds_load_2addr_b32 v[155:156], v142 offset0:204 offset1:221
	v_exp_f32_e32 v165, v165
	v_mul_f32_e32 v166, 0x3fb8aa3b, v130
	s_waitcnt lgkmcnt(2)
	v_fma_f32 v130, v164, v161, 0
	v_sub_f32_e32 v157, v157, v129
	s_delay_alu instid0(VALU_DEP_3) | instskip(NEXT) | instid1(VALU_DEP_2)
	v_exp_f32_e32 v166, v166
	v_dual_sub_f32 v161, v158, v129 :: v_dual_fmac_f32 v130, v163, v162
	s_waitcnt lgkmcnt(1)
	s_waitcnt_depctr 0xfff
	v_fmac_f32_e32 v130, v165, v153
	v_mul_f32_e32 v167, 0x3fb8aa3b, v157
	ds_load_2addr_b32 v[157:158], v142 offset0:238 offset1:255
	v_sub_f32_e32 v142, v159, v129
	v_dual_sub_f32 v153, v160, v129 :: v_dual_fmac_f32 v130, v166, v154
	v_mul_f32_e32 v159, 0x3fb8aa3b, v161
	v_exp_f32_e32 v161, v167
	s_delay_alu instid0(VALU_DEP_2)
	v_dual_mul_f32 v142, 0x3fb8aa3b, v142 :: v_dual_mul_f32 v153, 0x3fb8aa3b, v153
	s_waitcnt lgkmcnt(0)
	s_barrier
	buffer_gl0_inv
	v_exp_f32_e32 v142, v142
	v_exp_f32_e32 v153, v153
	v_fmac_f32_e32 v130, v161, v155
	v_exp_f32_e32 v159, v159
	s_waitcnt_depctr 0xfff
	v_fmac_f32_e32 v130, v159, v156
	s_delay_alu instid0(VALU_DEP_1) | instskip(NEXT) | instid1(VALU_DEP_1)
	v_fmac_f32_e32 v130, v142, v157
	v_fmac_f32_e32 v130, v153, v158
	s_delay_alu instid0(VALU_DEP_1) | instskip(NEXT) | instid1(VALU_DEP_1)
	v_add_f32_e32 v154, 0x358637bd, v130
	v_div_scale_f32 v155, null, v154, v154, 1.0
	v_div_scale_f32 v158, vcc_lo, 1.0, v154, 1.0
	s_delay_alu instid0(VALU_DEP_2) | instskip(SKIP_2) | instid1(VALU_DEP_1)
	v_rcp_f32_e32 v156, v155
	s_waitcnt_depctr 0xfff
	v_fma_f32 v157, -v155, v156, 1.0
	v_fmac_f32_e32 v156, v157, v156
	v_cndmask_b32_e64 v157, v164, v163, s3
	v_cmp_eq_u32_e64 s3, 2, v141
	s_delay_alu instid0(VALU_DEP_3) | instskip(NEXT) | instid1(VALU_DEP_2)
	v_mul_f32_e32 v160, v158, v156
	v_cndmask_b32_e64 v157, v157, v165, s3
	v_cmp_eq_u32_e64 s3, 3, v141
	s_delay_alu instid0(VALU_DEP_3) | instskip(NEXT) | instid1(VALU_DEP_2)
	v_fma_f32 v162, -v155, v160, v158
	v_cndmask_b32_e64 v157, v157, v166, s3
	v_cmp_eq_u32_e64 s3, 4, v141
	s_delay_alu instid0(VALU_DEP_3) | instskip(NEXT) | instid1(VALU_DEP_2)
	v_fmac_f32_e32 v160, v162, v156
	v_cndmask_b32_e64 v157, v157, v161, s3
	s_delay_alu instid0(VALU_DEP_2) | instskip(SKIP_1) | instid1(VALU_DEP_2)
	v_fma_f32 v155, -v155, v160, v158
	v_cmp_eq_u32_e64 s3, 5, v141
	v_div_fmas_f32 v155, v155, v156, v160
	s_delay_alu instid0(VALU_DEP_2) | instskip(SKIP_2) | instid1(VALU_DEP_3)
	v_cndmask_b32_e64 v157, v157, v159, s3
	v_cmp_eq_u32_e32 vcc_lo, 6, v141
	s_mov_b32 s3, exec_lo
	v_div_fixup_f32 v154, v155, v154, 1.0
	s_delay_alu instid0(VALU_DEP_3) | instskip(SKIP_1) | instid1(VALU_DEP_2)
	v_cndmask_b32_e32 v142, v157, v142, vcc_lo
	v_cmp_eq_u32_e32 vcc_lo, 7, v141
	v_cndmask_b32_e32 v142, v142, v153, vcc_lo
	s_delay_alu instid0(VALU_DEP_1) | instskip(NEXT) | instid1(VALU_DEP_1)
	v_mul_f32_e32 v142, v142, v154
	v_mul_f32_e32 v153, v142, v149
	;; [unrolled: 1-line block ×7, first 2 shown]
	v_dual_mul_f32 v150, v142, v147 :: v_dual_and_b32 v155, 0x7f800000, v154
	v_mul_f32_e32 v149, v142, v146
                                        ; implicit-def: $vgpr146
	s_delay_alu instid0(VALU_DEP_2)
	v_cmpx_ne_u32_e32 0x7f800000, v155
	s_xor_b32 s3, exec_lo, s3
; %bb.13:
	v_bfe_u32 v146, v154, 16, 1
	s_delay_alu instid0(VALU_DEP_1)
	v_add3_u32 v146, v154, v146, 0x7fff
                                        ; implicit-def: $vgpr154
; %bb.14:
	s_and_not1_saveexec_b32 s3, s3
; %bb.15:
	v_and_b32_e32 v146, 0xffff, v154
	v_or_b32_e32 v147, 0x10000, v154
	s_delay_alu instid0(VALU_DEP_2) | instskip(NEXT) | instid1(VALU_DEP_2)
	v_cmp_eq_u32_e32 vcc_lo, 0, v146
	v_cndmask_b32_e32 v146, v147, v154, vcc_lo
; %bb.16:
	s_or_b32 exec_lo, exec_lo, s3
	v_and_b32_e32 v147, 0x7f800000, v149
	s_delay_alu instid0(VALU_DEP_1) | instskip(SKIP_1) | instid1(SALU_CYCLE_1)
	v_cmp_ne_u32_e32 vcc_lo, 0x7f800000, v147
                                        ; implicit-def: $vgpr147
	s_and_saveexec_b32 s3, vcc_lo
	s_xor_b32 s3, exec_lo, s3
; %bb.17:
	v_bfe_u32 v147, v149, 16, 1
	s_delay_alu instid0(VALU_DEP_1)
	v_add3_u32 v147, v149, v147, 0x7fff
                                        ; implicit-def: $vgpr149
; %bb.18:
	s_and_not1_saveexec_b32 s3, s3
; %bb.19:
	v_and_b32_e32 v147, 0xffff, v149
	v_or_b32_e32 v154, 0x10000, v149
	s_delay_alu instid0(VALU_DEP_2) | instskip(NEXT) | instid1(VALU_DEP_2)
	v_cmp_eq_u32_e32 vcc_lo, 0, v147
	v_cndmask_b32_e32 v147, v154, v149, vcc_lo
; %bb.20:
	s_or_b32 exec_lo, exec_lo, s3
	v_and_b32_e32 v149, 0x7f800000, v150
	s_delay_alu instid0(VALU_DEP_1) | instskip(SKIP_1) | instid1(SALU_CYCLE_1)
	v_cmp_ne_u32_e32 vcc_lo, 0x7f800000, v149
                                        ; implicit-def: $vgpr149
	s_and_saveexec_b32 s3, vcc_lo
	s_xor_b32 s3, exec_lo, s3
; %bb.21:
	v_bfe_u32 v149, v150, 16, 1
	s_delay_alu instid0(VALU_DEP_1)
	v_add3_u32 v149, v150, v149, 0x7fff
                                        ; implicit-def: $vgpr150
; %bb.22:
	s_and_not1_saveexec_b32 s3, s3
; %bb.23:
	v_and_b32_e32 v149, 0xffff, v150
	v_or_b32_e32 v154, 0x10000, v150
	s_delay_alu instid0(VALU_DEP_2) | instskip(NEXT) | instid1(VALU_DEP_2)
	v_cmp_eq_u32_e32 vcc_lo, 0, v149
	v_cndmask_b32_e32 v149, v154, v150, vcc_lo
; %bb.24:
	s_or_b32 exec_lo, exec_lo, s3
	v_and_b32_e32 v150, 0x7f800000, v153
	s_delay_alu instid0(VALU_DEP_1) | instskip(SKIP_1) | instid1(SALU_CYCLE_1)
	v_cmp_ne_u32_e32 vcc_lo, 0x7f800000, v150
                                        ; implicit-def: $vgpr150
	s_and_saveexec_b32 s3, vcc_lo
	s_xor_b32 s3, exec_lo, s3
; %bb.25:
	v_bfe_u32 v150, v153, 16, 1
	s_delay_alu instid0(VALU_DEP_1)
	v_add3_u32 v150, v153, v150, 0x7fff
                                        ; implicit-def: $vgpr153
; %bb.26:
	s_and_not1_saveexec_b32 s3, s3
; %bb.27:
	v_and_b32_e32 v150, 0xffff, v153
	v_or_b32_e32 v154, 0x10000, v153
	s_delay_alu instid0(VALU_DEP_2) | instskip(NEXT) | instid1(VALU_DEP_2)
	v_cmp_eq_u32_e32 vcc_lo, 0, v150
	v_cndmask_b32_e32 v150, v154, v153, vcc_lo
; %bb.28:
	s_or_b32 exec_lo, exec_lo, s3
	v_and_b32_e32 v153, 0x7f800000, v152
	s_delay_alu instid0(VALU_DEP_1) | instskip(SKIP_1) | instid1(SALU_CYCLE_1)
	v_cmp_ne_u32_e32 vcc_lo, 0x7f800000, v153
                                        ; implicit-def: $vgpr153
	s_and_saveexec_b32 s3, vcc_lo
	s_xor_b32 s3, exec_lo, s3
; %bb.29:
	v_bfe_u32 v153, v152, 16, 1
	s_delay_alu instid0(VALU_DEP_1)
	v_add3_u32 v153, v152, v153, 0x7fff
                                        ; implicit-def: $vgpr152
; %bb.30:
	s_and_not1_saveexec_b32 s3, s3
; %bb.31:
	v_and_b32_e32 v153, 0xffff, v152
	v_or_b32_e32 v154, 0x10000, v152
	s_delay_alu instid0(VALU_DEP_2) | instskip(NEXT) | instid1(VALU_DEP_2)
	v_cmp_eq_u32_e32 vcc_lo, 0, v153
	v_cndmask_b32_e32 v153, v154, v152, vcc_lo
; %bb.32:
	s_or_b32 exec_lo, exec_lo, s3
	v_and_b32_e32 v152, 0x7f800000, v151
	s_delay_alu instid0(VALU_DEP_1) | instskip(SKIP_1) | instid1(SALU_CYCLE_1)
	v_cmp_ne_u32_e32 vcc_lo, 0x7f800000, v152
                                        ; implicit-def: $vgpr152
	s_and_saveexec_b32 s3, vcc_lo
	s_xor_b32 s3, exec_lo, s3
; %bb.33:
	v_bfe_u32 v152, v151, 16, 1
	s_delay_alu instid0(VALU_DEP_1)
	v_add3_u32 v152, v151, v152, 0x7fff
                                        ; implicit-def: $vgpr151
; %bb.34:
	s_and_not1_saveexec_b32 s3, s3
; %bb.35:
	v_and_b32_e32 v152, 0xffff, v151
	v_or_b32_e32 v154, 0x10000, v151
	s_delay_alu instid0(VALU_DEP_2) | instskip(NEXT) | instid1(VALU_DEP_2)
	v_cmp_eq_u32_e32 vcc_lo, 0, v152
	v_cndmask_b32_e32 v152, v154, v151, vcc_lo
; %bb.36:
	s_or_b32 exec_lo, exec_lo, s3
	v_and_b32_e32 v151, 0x7f800000, v148
	s_delay_alu instid0(VALU_DEP_1) | instskip(SKIP_1) | instid1(SALU_CYCLE_1)
	v_cmp_ne_u32_e32 vcc_lo, 0x7f800000, v151
                                        ; implicit-def: $vgpr151
	s_and_saveexec_b32 s3, vcc_lo
	s_xor_b32 s3, exec_lo, s3
; %bb.37:
	v_bfe_u32 v151, v148, 16, 1
	s_delay_alu instid0(VALU_DEP_1)
	v_add3_u32 v151, v148, v151, 0x7fff
                                        ; implicit-def: $vgpr148
; %bb.38:
	s_and_not1_saveexec_b32 s3, s3
; %bb.39:
	v_and_b32_e32 v151, 0xffff, v148
	v_or_b32_e32 v154, 0x10000, v148
	s_delay_alu instid0(VALU_DEP_2) | instskip(NEXT) | instid1(VALU_DEP_2)
	v_cmp_eq_u32_e32 vcc_lo, 0, v151
	v_cndmask_b32_e32 v151, v154, v148, vcc_lo
; %bb.40:
	s_or_b32 exec_lo, exec_lo, s3
	v_and_b32_e32 v148, 0x7f800000, v144
	s_delay_alu instid0(VALU_DEP_1) | instskip(SKIP_1) | instid1(SALU_CYCLE_1)
	v_cmp_ne_u32_e32 vcc_lo, 0x7f800000, v148
                                        ; implicit-def: $vgpr148
	s_and_saveexec_b32 s3, vcc_lo
	s_xor_b32 s3, exec_lo, s3
; %bb.41:
	v_bfe_u32 v148, v144, 16, 1
	s_delay_alu instid0(VALU_DEP_1)
	v_add3_u32 v148, v144, v148, 0x7fff
                                        ; implicit-def: $vgpr144
; %bb.42:
	s_and_not1_saveexec_b32 s3, s3
; %bb.43:
	v_and_b32_e32 v148, 0xffff, v144
	v_or_b32_e32 v154, 0x10000, v144
	s_delay_alu instid0(VALU_DEP_2) | instskip(NEXT) | instid1(VALU_DEP_2)
	v_cmp_eq_u32_e32 vcc_lo, 0, v148
	v_cndmask_b32_e32 v148, v154, v144, vcc_lo
; %bb.44:
	s_or_b32 exec_lo, exec_lo, s3
	s_load_b64 s[34:35], s[0:1], 0x94
	v_lshlrev_b32_e32 v155, 4, v138
	s_delay_alu instid0(VALU_DEP_2)
	v_perm_b32 v154, v148, v151, 0x7060302
	v_mul_f32_e32 v148, v142, v131
	v_dual_mul_f32 v145, v142, v145 :: v_dual_lshlrev_b32 v144, 6, v140
	v_dual_mul_f32 v143, v142, v143 :: v_dual_lshlrev_b32 v156, 11, v141
	v_perm_b32 v153, v152, v153, 0x7060302
	v_perm_b32 v152, v150, v149, 0x7060302
	v_perm_b32 v151, v147, v146, 0x7060302
	s_delay_alu instid0(VALU_DEP_4)
	v_or3_b32 v131, v155, v156, v144
	v_mul_f32_e32 v136, v142, v136
	v_dual_mul_f32 v146, v142, v134 :: v_dual_and_b32 v149, 0x7f800000, v148
	v_mul_f32_e32 v135, v142, v135
	v_mul_f32_e32 v147, v142, v133
	;; [unrolled: 1-line block ×3, first 2 shown]
	s_mov_b32 s3, exec_lo
	ds_store_b128 v131, v[151:154]
                                        ; implicit-def: $vgpr132
	v_cmpx_ne_u32_e32 0x7f800000, v149
	s_xor_b32 s3, exec_lo, s3
; %bb.45:
	v_bfe_u32 v132, v148, 16, 1
	s_delay_alu instid0(VALU_DEP_1)
	v_add3_u32 v132, v148, v132, 0x7fff
                                        ; implicit-def: $vgpr148
; %bb.46:
	s_and_not1_saveexec_b32 s3, s3
; %bb.47:
	v_and_b32_e32 v132, 0xffff, v148
	v_or_b32_e32 v133, 0x10000, v148
	s_delay_alu instid0(VALU_DEP_2) | instskip(NEXT) | instid1(VALU_DEP_2)
	v_cmp_eq_u32_e32 vcc_lo, 0, v132
	v_cndmask_b32_e32 v132, v133, v148, vcc_lo
; %bb.48:
	s_or_b32 exec_lo, exec_lo, s3
	v_and_b32_e32 v133, 0x7f800000, v134
	s_delay_alu instid0(VALU_DEP_1) | instskip(SKIP_1) | instid1(SALU_CYCLE_1)
	v_cmp_ne_u32_e32 vcc_lo, 0x7f800000, v133
                                        ; implicit-def: $vgpr133
	s_and_saveexec_b32 s3, vcc_lo
	s_xor_b32 s3, exec_lo, s3
; %bb.49:
	v_bfe_u32 v133, v134, 16, 1
	s_delay_alu instid0(VALU_DEP_1)
	v_add3_u32 v133, v134, v133, 0x7fff
                                        ; implicit-def: $vgpr134
; %bb.50:
	s_and_not1_saveexec_b32 s3, s3
; %bb.51:
	v_and_b32_e32 v133, 0xffff, v134
	v_or_b32_e32 v142, 0x10000, v134
	s_delay_alu instid0(VALU_DEP_2) | instskip(NEXT) | instid1(VALU_DEP_2)
	v_cmp_eq_u32_e32 vcc_lo, 0, v133
	v_cndmask_b32_e32 v133, v142, v134, vcc_lo
; %bb.52:
	s_or_b32 exec_lo, exec_lo, s3
	v_and_b32_e32 v134, 0x7f800000, v147
	s_delay_alu instid0(VALU_DEP_1) | instskip(SKIP_1) | instid1(SALU_CYCLE_1)
	v_cmp_ne_u32_e32 vcc_lo, 0x7f800000, v134
                                        ; implicit-def: $vgpr134
	s_and_saveexec_b32 s3, vcc_lo
	s_xor_b32 s3, exec_lo, s3
; %bb.53:
	v_bfe_u32 v134, v147, 16, 1
	s_delay_alu instid0(VALU_DEP_1)
	v_add3_u32 v134, v147, v134, 0x7fff
                                        ; implicit-def: $vgpr147
; %bb.54:
	s_and_not1_saveexec_b32 s3, s3
; %bb.55:
	v_and_b32_e32 v134, 0xffff, v147
	v_or_b32_e32 v142, 0x10000, v147
	s_delay_alu instid0(VALU_DEP_2) | instskip(NEXT) | instid1(VALU_DEP_2)
	v_cmp_eq_u32_e32 vcc_lo, 0, v134
	v_cndmask_b32_e32 v134, v142, v147, vcc_lo
; %bb.56:
	s_or_b32 exec_lo, exec_lo, s3
	v_and_b32_e32 v142, 0x7f800000, v146
	s_delay_alu instid0(VALU_DEP_1) | instskip(SKIP_1) | instid1(SALU_CYCLE_1)
	v_cmp_ne_u32_e32 vcc_lo, 0x7f800000, v142
                                        ; implicit-def: $vgpr142
	s_and_saveexec_b32 s3, vcc_lo
	s_xor_b32 s3, exec_lo, s3
; %bb.57:
	v_bfe_u32 v142, v146, 16, 1
	s_delay_alu instid0(VALU_DEP_1)
	v_add3_u32 v142, v146, v142, 0x7fff
                                        ; implicit-def: $vgpr146
; %bb.58:
	s_and_not1_saveexec_b32 s3, s3
; %bb.59:
	v_and_b32_e32 v142, 0xffff, v146
	v_or_b32_e32 v147, 0x10000, v146
	s_delay_alu instid0(VALU_DEP_2) | instskip(NEXT) | instid1(VALU_DEP_2)
	v_cmp_eq_u32_e32 vcc_lo, 0, v142
	v_cndmask_b32_e32 v142, v147, v146, vcc_lo
; %bb.60:
	s_or_b32 exec_lo, exec_lo, s3
	v_and_b32_e32 v146, 0x7f800000, v135
	s_delay_alu instid0(VALU_DEP_1) | instskip(SKIP_1) | instid1(SALU_CYCLE_1)
	v_cmp_ne_u32_e32 vcc_lo, 0x7f800000, v146
                                        ; implicit-def: $vgpr146
	s_and_saveexec_b32 s3, vcc_lo
	s_xor_b32 s3, exec_lo, s3
; %bb.61:
	v_bfe_u32 v146, v135, 16, 1
	s_delay_alu instid0(VALU_DEP_1)
	v_add3_u32 v146, v135, v146, 0x7fff
                                        ; implicit-def: $vgpr135
; %bb.62:
	s_and_not1_saveexec_b32 s3, s3
; %bb.63:
	v_and_b32_e32 v146, 0xffff, v135
	v_or_b32_e32 v147, 0x10000, v135
	s_delay_alu instid0(VALU_DEP_2) | instskip(NEXT) | instid1(VALU_DEP_2)
	v_cmp_eq_u32_e32 vcc_lo, 0, v146
	v_cndmask_b32_e32 v146, v147, v135, vcc_lo
; %bb.64:
	s_or_b32 exec_lo, exec_lo, s3
	v_and_b32_e32 v135, 0x7f800000, v136
	s_delay_alu instid0(VALU_DEP_1) | instskip(SKIP_1) | instid1(SALU_CYCLE_1)
	v_cmp_ne_u32_e32 vcc_lo, 0x7f800000, v135
                                        ; implicit-def: $vgpr135
	s_and_saveexec_b32 s3, vcc_lo
	s_xor_b32 s3, exec_lo, s3
; %bb.65:
	v_bfe_u32 v135, v136, 16, 1
	s_delay_alu instid0(VALU_DEP_1)
	v_add3_u32 v135, v136, v135, 0x7fff
                                        ; implicit-def: $vgpr136
; %bb.66:
	s_and_not1_saveexec_b32 s3, s3
; %bb.67:
	v_and_b32_e32 v135, 0xffff, v136
	v_or_b32_e32 v147, 0x10000, v136
	s_delay_alu instid0(VALU_DEP_2) | instskip(NEXT) | instid1(VALU_DEP_2)
	v_cmp_eq_u32_e32 vcc_lo, 0, v135
	v_cndmask_b32_e32 v135, v147, v136, vcc_lo
; %bb.68:
	s_or_b32 exec_lo, exec_lo, s3
	v_and_b32_e32 v136, 0x7f800000, v143
	s_delay_alu instid0(VALU_DEP_1) | instskip(SKIP_1) | instid1(SALU_CYCLE_1)
	v_cmp_ne_u32_e32 vcc_lo, 0x7f800000, v136
                                        ; implicit-def: $vgpr136
	s_and_saveexec_b32 s3, vcc_lo
	s_xor_b32 s3, exec_lo, s3
; %bb.69:
	v_bfe_u32 v136, v143, 16, 1
	s_delay_alu instid0(VALU_DEP_1)
	v_add3_u32 v136, v143, v136, 0x7fff
                                        ; implicit-def: $vgpr143
; %bb.70:
	s_and_not1_saveexec_b32 s3, s3
; %bb.71:
	v_and_b32_e32 v136, 0xffff, v143
	v_or_b32_e32 v147, 0x10000, v143
	s_delay_alu instid0(VALU_DEP_2) | instskip(NEXT) | instid1(VALU_DEP_2)
	v_cmp_eq_u32_e32 vcc_lo, 0, v136
	v_cndmask_b32_e32 v136, v147, v143, vcc_lo
; %bb.72:
	s_or_b32 exec_lo, exec_lo, s3
	v_and_b32_e32 v143, 0x7f800000, v145
	s_delay_alu instid0(VALU_DEP_1) | instskip(SKIP_1) | instid1(SALU_CYCLE_1)
	v_cmp_ne_u32_e32 vcc_lo, 0x7f800000, v143
                                        ; implicit-def: $vgpr143
	s_and_saveexec_b32 s3, vcc_lo
	s_xor_b32 s3, exec_lo, s3
; %bb.73:
	v_bfe_u32 v143, v145, 16, 1
	s_delay_alu instid0(VALU_DEP_1)
	v_add3_u32 v143, v145, v143, 0x7fff
                                        ; implicit-def: $vgpr145
; %bb.74:
	s_and_not1_saveexec_b32 s3, s3
; %bb.75:
	v_and_b32_e32 v143, 0xffff, v145
	v_or_b32_e32 v147, 0x10000, v145
	s_delay_alu instid0(VALU_DEP_2) | instskip(NEXT) | instid1(VALU_DEP_2)
	v_cmp_eq_u32_e32 vcc_lo, 0, v143
	v_cndmask_b32_e32 v143, v147, v145, vcc_lo
; %bb.76:
	s_or_b32 exec_lo, exec_lo, s3
	s_delay_alu instid0(VALU_DEP_1)
	v_perm_b32 v136, v143, v136, 0x7060302
	v_perm_b32 v135, v135, v146, 0x7060302
	;; [unrolled: 1-line block ×4, first 2 shown]
	v_lshl_or_b32 v145, v141, 11, v144
	v_lshlrev_b32_e32 v142, 2, v138
	ds_store_b128 v131, v[133:136] offset:1024
	s_waitcnt lgkmcnt(0)
	s_barrier
	buffer_gl0_inv
	ds_load_b128 v[132:135], v145
	ds_load_b128 v[147:150], v145 offset:16
	v_or_b32_e32 v143, 1, v142
	v_cmp_eq_u32_e64 s12, 1, v142
	v_cmp_eq_u32_e64 s11, 2, v142
	;; [unrolled: 1-line block ×3, first 2 shown]
	v_or_b32_e32 v141, 2, v142
	v_cmp_eq_u32_e64 s7, 1, v143
	v_cmp_eq_u32_e64 s6, 2, v143
	;; [unrolled: 1-line block ×8, first 2 shown]
	v_cmp_eq_u32_e32 vcc_lo, 5, v143
	v_cmp_eq_u32_e64 s10, 2, v141
	v_cmp_eq_u32_e64 s4, 6, v143
	;; [unrolled: 1-line block ×4, first 2 shown]
	s_waitcnt lgkmcnt(1)
	v_lshrrev_b32_e32 v136, 16, v132
	s_waitcnt lgkmcnt(0)
	v_lshrrev_b32_e32 v155, 16, v147
	v_lshrrev_b32_e32 v161, 16, v148
	;; [unrolled: 1-line block ×4, first 2 shown]
	v_cndmask_b32_e64 v146, v132, v136, s12
	v_cndmask_b32_e64 v151, v147, v155, s12
	;; [unrolled: 1-line block ×4, first 2 shown]
	v_lshrrev_b32_e32 v160, 16, v134
	v_cndmask_b32_e64 v146, v146, v133, s11
	v_cndmask_b32_e64 v151, v151, v148, s11
	;; [unrolled: 1-line block ×8, first 2 shown]
	v_lshrrev_b32_e32 v164, 16, v150
	v_cndmask_b32_e64 v153, v153, v161, s5
	v_cndmask_b32_e64 v146, v146, v134, s17
	;; [unrolled: 1-line block ×5, first 2 shown]
	v_lshrrev_b32_e32 v162, 16, v135
	v_cndmask_b32_e64 v146, v146, v160, s13
	v_cndmask_b32_e64 v151, v151, v163, s13
	v_cndmask_b32_e32 v152, v152, v160, vcc_lo
	v_cndmask_b32_e64 v153, v153, v149, s3
	v_cmp_eq_u32_e64 s19, 7, v143
	v_cndmask_b32_e64 v146, v146, v135, s15
	v_cndmask_b32_e64 v151, v151, v150, s15
	;; [unrolled: 1-line block ×4, first 2 shown]
	v_cmp_eq_u32_e64 s20, 4, v141
	v_cndmask_b32_e64 v165, v146, v162, s9
	v_cndmask_b32_e64 v166, v151, v164, s9
	;; [unrolled: 1-line block ×3, first 2 shown]
	v_or_b32_e32 v146, 3, v142
	v_cndmask_b32_e64 v167, v152, v162, s19
	v_cndmask_b32_e32 v156, v153, v163, vcc_lo
	v_cndmask_b32_e64 v158, v154, v134, s20
	v_cndmask_b32_e64 v157, v151, v148, s10
	ds_load_b128 v[151:154], v145 offset:1024
	v_cmp_eq_u32_e64 s21, 1, v146
	v_cmp_eq_u32_e64 s22, 5, v141
	;; [unrolled: 1-line block ×3, first 2 shown]
	v_cndmask_b32_e64 v157, v157, v161, s18
	v_cmp_eq_u32_e64 s24, 3, v146
	v_cndmask_b32_e64 v132, v132, v136, s21
	v_cndmask_b32_e64 v136, v156, v150, s4
	;; [unrolled: 1-line block ×5, first 2 shown]
	ds_load_b128 v[155:158], v145 offset:1040
	v_cndmask_b32_e64 v132, v132, v133, s23
	v_cmp_eq_u32_e64 s26, 4, v146
	v_cmp_eq_u32_e64 s28, 5, v146
	v_cndmask_b32_e64 v147, v147, v148, s23
	v_cmp_eq_u32_e64 s25, 6, v141
	v_cndmask_b32_e64 v132, v132, v159, s24
	;; [unrolled: 2-line block ×3, first 2 shown]
	v_cndmask_b32_e64 v147, v147, v161, s24
	s_waitcnt lgkmcnt(1)
	v_lshrrev_b32_e32 v159, 16, v151
	v_cndmask_b32_e64 v132, v132, v134, s26
	v_cndmask_b32_e64 v148, v168, v135, s25
	;; [unrolled: 1-line block ×6, first 2 shown]
	v_lshrrev_b32_e32 v160, 16, v152
	v_cndmask_b32_e64 v161, v151, v159, s7
	v_cndmask_b32_e64 v134, v134, v163, s28
	s_waitcnt lgkmcnt(0)
	v_lshrrev_b32_e32 v149, 16, v155
	v_cndmask_b32_e64 v147, v147, v152, s11
	v_cndmask_b32_e64 v132, v132, v135, s29
	v_cmp_eq_u32_e64 s27, 7, v141
	v_cndmask_b32_e64 v134, v134, v150, s29
	v_cndmask_b32_e64 v163, v155, v149, s12
	;; [unrolled: 1-line block ×4, first 2 shown]
	v_lshrrev_b32_e32 v161, 16, v156
	v_cndmask_b32_e64 v136, v136, v164, s19
	v_cndmask_b32_e64 v150, v163, v156, s11
	v_cmp_eq_u32_e64 s11, 7, v146
	v_cndmask_b32_e64 v147, v147, v160, s5
	v_cndmask_b32_e64 v135, v135, v153, s17
	v_lshrrev_b32_e32 v163, 16, v153
	v_cndmask_b32_e64 v150, v150, v161, s16
	v_cndmask_b32_e64 v132, v132, v162, s11
	;; [unrolled: 1-line block ×8, first 2 shown]
	v_lshrrev_b32_e32 v164, 16, v157
	v_perm_b32 v135, v134, v132, 0x5040100
	v_cndmask_b32_e32 v132, v147, v163, vcc_lo
	v_cndmask_b32_e64 v147, v162, v154, s15
	v_lshrrev_b32_e32 v162, 16, v154
	v_cndmask_b32_e64 v150, v150, v164, s13
	v_perm_b32 v134, v133, v148, 0x5040100
	v_cndmask_b32_e64 v132, v132, v154, s4
	v_perm_b32 v133, v136, v167, 0x5040100
	v_cndmask_b32_e64 v136, v147, v162, s9
	v_cndmask_b32_e64 v147, v150, v158, s15
	;; [unrolled: 1-line block ×27, first 2 shown]
	v_cndmask_b32_e32 v149, v149, v164, vcc_lo
	v_lshrrev_b32_e32 v148, 16, v158
	v_cndmask_b32_e64 v132, v132, v154, s25
	v_cndmask_b32_e64 v150, v150, v154, s29
	;; [unrolled: 1-line block ×11, first 2 shown]
	v_perm_b32 v132, v166, v165, 0x5040100
	v_perm_b32 v150, v151, v150, 0x5040100
	;; [unrolled: 1-line block ×5, first 2 shown]
	s_mul_i32 s8, s35, 13
	s_mov_b32 s3, exec_lo
	ds_store_b128 v131, v[132:135]
	ds_store_b128 v131, v[147:150] offset:1024
	v_cmpx_gt_u32_e32 13, v0
	s_cbranch_execz .LBB646_78
; %bb.77:
	s_mul_i32 s4, s8, s30
	s_delay_alu instid0(SALU_CYCLE_1) | instskip(SKIP_1) | instid1(VALU_DEP_1)
	v_add3_u32 v133, s4, s31, v140
	s_load_b128 s[4:7], s[0:1], 0x58
	v_mad_u64_u32 v[131:132], null, v133, s34, s[14:15]
	s_delay_alu instid0(VALU_DEP_1) | instskip(NEXT) | instid1(VALU_DEP_1)
	v_ashrrev_i32_e32 v132, 31, v131
	v_lshlrev_b64 v[131:132], 2, v[131:132]
	s_waitcnt lgkmcnt(0)
	s_delay_alu instid0(VALU_DEP_1) | instskip(NEXT) | instid1(VALU_DEP_2)
	v_add_co_u32 v133, vcc_lo, s6, v131
	v_add_co_ci_u32_e32 v134, vcc_lo, s7, v132, vcc_lo
	v_add_co_u32 v131, vcc_lo, s4, v131
	v_add_co_ci_u32_e32 v132, vcc_lo, s5, v132, vcc_lo
	global_store_b32 v[133:134], v129, off
	global_store_b32 v[131:132], v130, off
.LBB646_78:
	s_or_b32 exec_lo, exec_lo, s3
	s_waitcnt lgkmcnt(0)
	s_waitcnt_vscnt null, 0x0
	s_barrier
	buffer_gl0_inv
	ds_load_b128 v[147:150], v144
	ds_load_b128 v[151:154], v144 offset:16
	ds_load_b128 v[159:162], v144 offset:1040
	;; [unrolled: 1-line block ×3, first 2 shown]
	v_mov_b32_e32 v129, 0
	ds_load_b128 v[167:170], v144 offset:2064
	ds_load_b128 v[163:166], v144 offset:2048
	;; [unrolled: 1-line block ×6, first 2 shown]
	v_mov_b32_e32 v130, v129
	v_mov_b32_e32 v131, v129
	;; [unrolled: 1-line block ×7, first 2 shown]
	s_waitcnt lgkmcnt(8)
	s_delay_alu instid0(VALU_DEP_1)
	v_wmma_f32_16x16x16_bf16 v[129:136], v[121:128], v[147:154], v[129:136]
	ds_load_b128 v[125:128], v144 offset:5136
	ds_load_b128 v[121:124], v144 offset:5120
	s_waitcnt lgkmcnt(8)
	v_wmma_f32_16x16x16_bf16 v[129:136], v[113:120], v[155:162], v[129:136]
	ds_load_b128 v[117:120], v144 offset:6160
	ds_load_b128 v[113:116], v144 offset:6144
	s_waitcnt lgkmcnt(8)
	;; [unrolled: 4-line block ×8, first 2 shown]
	v_wmma_f32_16x16x16_bf16 v[129:136], v[65:72], v[97:104], v[129:136]
	s_waitcnt lgkmcnt(6)
	s_delay_alu instid0(VALU_DEP_1)
	v_wmma_f32_16x16x16_bf16 v[129:136], v[49:56], v[89:96], v[129:136]
	ds_load_b128 v[53:56], v144 offset:13328
	ds_load_b128 v[49:52], v144 offset:13312
	s_waitcnt lgkmcnt(6)
	v_wmma_f32_16x16x16_bf16 v[129:136], v[41:48], v[81:88], v[129:136]
	ds_load_b128 v[45:48], v144 offset:14352
	ds_load_b128 v[41:44], v144 offset:14336
	s_waitcnt lgkmcnt(6)
	;; [unrolled: 4-line block ×3, first 2 shown]
	v_wmma_f32_16x16x16_bf16 v[129:136], v[1:8], v[57:64], v[129:136]
	s_waitcnt lgkmcnt(4)
	s_delay_alu instid0(VALU_DEP_1) | instskip(SKIP_1) | instid1(VALU_DEP_1)
	v_wmma_f32_16x16x16_bf16 v[129:136], v[25:32], v[49:56], v[129:136]
	s_waitcnt lgkmcnt(2)
	v_wmma_f32_16x16x16_bf16 v[129:136], v[33:40], v[41:48], v[129:136]
	s_waitcnt lgkmcnt(0)
	s_delay_alu instid0(VALU_DEP_1) | instskip(NEXT) | instid1(VALU_DEP_1)
	v_wmma_f32_16x16x16_bf16 v[129:136], v[9:16], v[17:24], v[129:136]
	v_and_b32_e32 v1, 0x7f800000, v129
	s_delay_alu instid0(VALU_DEP_1) | instskip(SKIP_1) | instid1(SALU_CYCLE_1)
	v_cmp_ne_u32_e32 vcc_lo, 0x7f800000, v1
                                        ; implicit-def: $vgpr1
	s_and_saveexec_b32 s3, vcc_lo
	s_xor_b32 s3, exec_lo, s3
; %bb.79:
	v_bfe_u32 v1, v129, 16, 1
	s_delay_alu instid0(VALU_DEP_1)
	v_add3_u32 v1, v129, v1, 0x7fff
; %bb.80:
	s_and_not1_saveexec_b32 s3, s3
; %bb.81:
	v_and_b32_e32 v1, 0xffff, v129
	v_or_b32_e32 v2, 0x10000, v129
	s_delay_alu instid0(VALU_DEP_2) | instskip(NEXT) | instid1(VALU_DEP_2)
	v_cmp_eq_u32_e32 vcc_lo, 0, v1
	v_cndmask_b32_e32 v1, v2, v129, vcc_lo
; %bb.82:
	s_or_b32 exec_lo, exec_lo, s3
	v_and_b32_e32 v2, 0x7f800000, v130
	s_delay_alu instid0(VALU_DEP_1) | instskip(SKIP_1) | instid1(SALU_CYCLE_1)
	v_cmp_ne_u32_e32 vcc_lo, 0x7f800000, v2
                                        ; implicit-def: $vgpr2
	s_and_saveexec_b32 s3, vcc_lo
	s_xor_b32 s3, exec_lo, s3
; %bb.83:
	v_bfe_u32 v2, v130, 16, 1
	s_delay_alu instid0(VALU_DEP_1)
	v_add3_u32 v2, v130, v2, 0x7fff
; %bb.84:
	s_and_not1_saveexec_b32 s3, s3
; %bb.85:
	v_and_b32_e32 v2, 0xffff, v130
	v_or_b32_e32 v3, 0x10000, v130
	s_delay_alu instid0(VALU_DEP_2) | instskip(NEXT) | instid1(VALU_DEP_2)
	v_cmp_eq_u32_e32 vcc_lo, 0, v2
	v_cndmask_b32_e32 v2, v3, v130, vcc_lo
; %bb.86:
	s_or_b32 exec_lo, exec_lo, s3
	v_and_b32_e32 v3, 0x7f800000, v131
	s_delay_alu instid0(VALU_DEP_1) | instskip(SKIP_1) | instid1(SALU_CYCLE_1)
	v_cmp_ne_u32_e32 vcc_lo, 0x7f800000, v3
                                        ; implicit-def: $vgpr3
	s_and_saveexec_b32 s3, vcc_lo
	s_xor_b32 s3, exec_lo, s3
; %bb.87:
	v_bfe_u32 v3, v131, 16, 1
	s_delay_alu instid0(VALU_DEP_1)
	v_add3_u32 v3, v131, v3, 0x7fff
; %bb.88:
	s_and_not1_saveexec_b32 s3, s3
; %bb.89:
	v_and_b32_e32 v3, 0xffff, v131
	v_or_b32_e32 v4, 0x10000, v131
	s_delay_alu instid0(VALU_DEP_2) | instskip(NEXT) | instid1(VALU_DEP_2)
	v_cmp_eq_u32_e32 vcc_lo, 0, v3
	v_cndmask_b32_e32 v3, v4, v131, vcc_lo
; %bb.90:
	s_or_b32 exec_lo, exec_lo, s3
	v_and_b32_e32 v4, 0x7f800000, v132
	s_delay_alu instid0(VALU_DEP_1) | instskip(SKIP_1) | instid1(SALU_CYCLE_1)
	v_cmp_ne_u32_e32 vcc_lo, 0x7f800000, v4
                                        ; implicit-def: $vgpr4
	s_and_saveexec_b32 s3, vcc_lo
	s_xor_b32 s3, exec_lo, s3
; %bb.91:
	v_bfe_u32 v4, v132, 16, 1
	s_delay_alu instid0(VALU_DEP_1)
	v_add3_u32 v4, v132, v4, 0x7fff
; %bb.92:
	s_and_not1_saveexec_b32 s3, s3
; %bb.93:
	v_and_b32_e32 v4, 0xffff, v132
	v_or_b32_e32 v5, 0x10000, v132
	s_delay_alu instid0(VALU_DEP_2) | instskip(NEXT) | instid1(VALU_DEP_2)
	v_cmp_eq_u32_e32 vcc_lo, 0, v4
	v_cndmask_b32_e32 v4, v5, v132, vcc_lo
; %bb.94:
	s_or_b32 exec_lo, exec_lo, s3
	v_and_b32_e32 v5, 0x7f800000, v133
	s_delay_alu instid0(VALU_DEP_1) | instskip(SKIP_1) | instid1(SALU_CYCLE_1)
	v_cmp_ne_u32_e32 vcc_lo, 0x7f800000, v5
                                        ; implicit-def: $vgpr5
	s_and_saveexec_b32 s3, vcc_lo
	s_xor_b32 s3, exec_lo, s3
; %bb.95:
	v_bfe_u32 v5, v133, 16, 1
	s_delay_alu instid0(VALU_DEP_1)
	v_add3_u32 v5, v133, v5, 0x7fff
; %bb.96:
	s_and_not1_saveexec_b32 s3, s3
; %bb.97:
	v_and_b32_e32 v5, 0xffff, v133
	v_or_b32_e32 v6, 0x10000, v133
	s_delay_alu instid0(VALU_DEP_2) | instskip(NEXT) | instid1(VALU_DEP_2)
	v_cmp_eq_u32_e32 vcc_lo, 0, v5
	v_cndmask_b32_e32 v5, v6, v133, vcc_lo
; %bb.98:
	s_or_b32 exec_lo, exec_lo, s3
	v_and_b32_e32 v6, 0x7f800000, v134
	s_delay_alu instid0(VALU_DEP_1) | instskip(SKIP_1) | instid1(SALU_CYCLE_1)
	v_cmp_ne_u32_e32 vcc_lo, 0x7f800000, v6
                                        ; implicit-def: $vgpr6
	s_and_saveexec_b32 s3, vcc_lo
	s_xor_b32 s3, exec_lo, s3
; %bb.99:
	v_bfe_u32 v6, v134, 16, 1
	s_delay_alu instid0(VALU_DEP_1)
	v_add3_u32 v6, v134, v6, 0x7fff
; %bb.100:
	s_and_not1_saveexec_b32 s3, s3
; %bb.101:
	v_and_b32_e32 v6, 0xffff, v134
	v_or_b32_e32 v7, 0x10000, v134
	s_delay_alu instid0(VALU_DEP_2) | instskip(NEXT) | instid1(VALU_DEP_2)
	v_cmp_eq_u32_e32 vcc_lo, 0, v6
	v_cndmask_b32_e32 v6, v7, v134, vcc_lo
; %bb.102:
	s_or_b32 exec_lo, exec_lo, s3
	v_and_b32_e32 v7, 0x7f800000, v135
	s_delay_alu instid0(VALU_DEP_1) | instskip(SKIP_1) | instid1(SALU_CYCLE_1)
	v_cmp_ne_u32_e32 vcc_lo, 0x7f800000, v7
                                        ; implicit-def: $vgpr7
	s_and_saveexec_b32 s3, vcc_lo
	s_xor_b32 s3, exec_lo, s3
; %bb.103:
	v_bfe_u32 v7, v135, 16, 1
	s_delay_alu instid0(VALU_DEP_1)
	v_add3_u32 v7, v135, v7, 0x7fff
; %bb.104:
	s_and_not1_saveexec_b32 s3, s3
; %bb.105:
	v_and_b32_e32 v7, 0xffff, v135
	v_or_b32_e32 v8, 0x10000, v135
	s_delay_alu instid0(VALU_DEP_2) | instskip(NEXT) | instid1(VALU_DEP_2)
	v_cmp_eq_u32_e32 vcc_lo, 0, v7
	v_cndmask_b32_e32 v7, v8, v135, vcc_lo
; %bb.106:
	s_or_b32 exec_lo, exec_lo, s3
	v_and_b32_e32 v8, 0x7f800000, v136
	s_delay_alu instid0(VALU_DEP_1) | instskip(SKIP_1) | instid1(SALU_CYCLE_1)
	v_cmp_ne_u32_e32 vcc_lo, 0x7f800000, v8
                                        ; implicit-def: $vgpr8
	s_and_saveexec_b32 s3, vcc_lo
	s_xor_b32 s3, exec_lo, s3
; %bb.107:
	v_bfe_u32 v8, v136, 16, 1
	s_delay_alu instid0(VALU_DEP_1)
	v_add3_u32 v8, v136, v8, 0x7fff
                                        ; implicit-def: $vgpr129_vgpr130_vgpr131_vgpr132_vgpr133_vgpr134_vgpr135_vgpr136
; %bb.108:
	s_and_not1_saveexec_b32 s3, s3
; %bb.109:
	v_and_b32_e32 v8, 0xffff, v136
	v_or_b32_e32 v9, 0x10000, v136
	s_delay_alu instid0(VALU_DEP_2) | instskip(NEXT) | instid1(VALU_DEP_2)
	v_cmp_eq_u32_e32 vcc_lo, 0, v8
	v_cndmask_b32_e32 v8, v9, v136, vcc_lo
; %bb.110:
	s_or_b32 exec_lo, exec_lo, s3
	s_delay_alu instid0(VALU_DEP_1)
	v_perm_b32 v7, v8, v7, 0x7060302
	v_perm_b32 v6, v6, v5, 0x7060302
	;; [unrolled: 1-line block ×4, first 2 shown]
	v_lshl_or_b32 v9, v138, 4, v145
	s_barrier
	buffer_gl0_inv
	v_cmp_eq_u32_e32 vcc_lo, 1, v142
	ds_store_b128 v9, v[4:7]
	s_waitcnt lgkmcnt(0)
	s_barrier
	buffer_gl0_inv
	ds_load_b128 v[1:4], v145
	ds_load_b128 v[5:8], v145 offset:16
	v_cmp_eq_u32_e64 s4, 2, v142
	v_cmp_eq_u32_e64 s3, 1, v143
	;; [unrolled: 1-line block ×5, first 2 shown]
	s_waitcnt lgkmcnt(1)
	v_lshrrev_b32_e32 v10, 16, v1
	s_waitcnt lgkmcnt(0)
	v_lshrrev_b32_e32 v14, 16, v5
	v_lshrrev_b32_e32 v15, 16, v6
	;; [unrolled: 1-line block ×4, first 2 shown]
	v_cndmask_b32_e64 v20, v1, v10, s3
	v_cndmask_b32_e32 v19, v5, v14, vcc_lo
	v_cndmask_b32_e64 v21, v5, v14, s3
	v_lshrrev_b32_e32 v16, 16, v7
	v_cmp_eq_u32_e64 s3, 1, v141
	v_lshrrev_b32_e32 v13, 16, v4
	v_cndmask_b32_e64 v19, v19, v6, s4
	v_lshrrev_b32_e32 v17, 16, v8
	s_delay_alu instid0(VALU_DEP_4) | instskip(SKIP_1) | instid1(VALU_DEP_4)
	v_cndmask_b32_e64 v22, v1, v10, s3
	v_cndmask_b32_e64 v23, v5, v14, s3
	;; [unrolled: 1-line block ×3, first 2 shown]
	v_cndmask_b32_e32 v18, v1, v10, vcc_lo
	v_cmp_eq_u32_e32 vcc_lo, 2, v143
	v_cmp_eq_u32_e64 s3, 2, v146
	v_cndmask_b32_e64 v22, v22, v2, s7
	v_cndmask_b32_e32 v20, v20, v2, vcc_lo
	v_cndmask_b32_e32 v21, v21, v6, vcc_lo
	v_cmp_eq_u32_e32 vcc_lo, 4, v142
	v_cndmask_b32_e32 v19, v19, v7, vcc_lo
	v_cndmask_b32_e64 v18, v18, v2, s4
	v_cmp_eq_u32_e64 s4, 3, v143
	s_delay_alu instid0(VALU_DEP_2) | instskip(NEXT) | instid1(VALU_DEP_2)
	v_cndmask_b32_e64 v18, v18, v11, s5
	v_cndmask_b32_e64 v21, v21, v15, s4
	v_cmp_eq_u32_e64 s5, 5, v142
	s_delay_alu instid0(VALU_DEP_3) | instskip(SKIP_1) | instid1(VALU_DEP_3)
	v_cndmask_b32_e32 v18, v18, v3, vcc_lo
	v_cmp_eq_u32_e32 vcc_lo, 4, v143
	v_cndmask_b32_e64 v19, v19, v16, s5
	s_delay_alu instid0(VALU_DEP_3) | instskip(SKIP_4) | instid1(VALU_DEP_3)
	v_cndmask_b32_e64 v18, v18, v12, s5
	v_cndmask_b32_e32 v21, v21, v7, vcc_lo
	v_cndmask_b32_e64 v20, v20, v11, s4
	v_cmp_eq_u32_e64 s4, 5, v143
	v_cmp_eq_u32_e64 s5, 6, v142
	v_cndmask_b32_e32 v20, v20, v3, vcc_lo
	s_delay_alu instid0(VALU_DEP_3) | instskip(SKIP_1) | instid1(VALU_DEP_4)
	v_cndmask_b32_e64 v21, v21, v16, s4
	v_cmp_eq_u32_e32 vcc_lo, 6, v143
	v_cndmask_b32_e64 v18, v18, v4, s5
	v_cndmask_b32_e64 v19, v19, v8, s5
	;; [unrolled: 1-line block ×3, first 2 shown]
	v_cmp_eq_u32_e64 s4, 1, v146
	v_cmp_eq_u32_e64 s5, 7, v142
	s_delay_alu instid0(VALU_DEP_3) | instskip(NEXT) | instid1(VALU_DEP_3)
	v_cndmask_b32_e32 v20, v20, v4, vcc_lo
	v_cndmask_b32_e64 v1, v1, v10, s4
	v_cndmask_b32_e64 v5, v5, v14, s4
	v_cmp_eq_u32_e64 s4, 3, v141
	v_cndmask_b32_e64 v14, v23, v6, s7
	v_cmp_eq_u32_e64 s7, 3, v146
	v_cndmask_b32_e64 v1, v1, v2, s3
	v_cndmask_b32_e64 v2, v5, v6, s3
	;; [unrolled: 1-line block ×3, first 2 shown]
	v_cmp_eq_u32_e64 s3, 4, v141
	v_cndmask_b32_e64 v6, v14, v15, s4
	v_cndmask_b32_e64 v1, v1, v11, s7
	v_cmp_eq_u32_e64 s4, 4, v146
	v_cndmask_b32_e64 v2, v2, v15, s7
	v_cndmask_b32_e64 v5, v10, v3, s3
	;; [unrolled: 3-line block ×3, first 2 shown]
	v_cndmask_b32_e64 v2, v2, v7, s4
	v_cmp_eq_u32_e64 s3, 5, v146
	v_cndmask_b32_e64 v5, v5, v12, s7
	v_cmp_eq_u32_e64 s4, 6, v141
	v_cndmask_b32_e64 v3, v6, v16, s7
	v_cmp_eq_u32_e64 s7, 6, v146
	v_cndmask_b32_e64 v1, v1, v12, s3
	v_cndmask_b32_e64 v2, v2, v16, s3
	;; [unrolled: 1-line block ×4, first 2 shown]
	v_cmp_eq_u32_e64 s3, 7, v146
	v_cndmask_b32_e64 v1, v1, v4, s7
	v_cndmask_b32_e64 v2, v2, v8, s7
	v_cmp_eq_u32_e64 s4, 7, v141
	v_cndmask_b32_e32 v4, v21, v8, vcc_lo
	v_cndmask_b32_e64 v18, v18, v13, s5
	v_cndmask_b32_e64 v20, v20, v13, s6
	;; [unrolled: 1-line block ×8, first 2 shown]
	s_mov_b32 s3, exec_lo
	v_perm_b32 v4, v2, v1, 0x5040100
	v_perm_b32 v3, v3, v5, 0x5040100
	;; [unrolled: 1-line block ×4, first 2 shown]
	ds_store_b128 v9, v[1:4]
	s_waitcnt lgkmcnt(0)
	s_barrier
	buffer_gl0_inv
	v_cmpx_gt_u32_e32 32, v0
	s_cbranch_execz .LBB646_2
; %bb.111:
	s_load_b64 s[4:5], s[0:1], 0x68
	v_lshlrev_b32_e32 v0, 10, v0
	v_lshlrev_b32_e32 v1, 4, v139
	s_lshl_b32 s0, s34, 7
	v_add_nc_u32_e32 v18, s31, v138
	s_mul_i32 s1, s0, s30
	s_delay_alu instid0(VALU_DEP_2) | instskip(SKIP_1) | instid1(VALU_DEP_2)
	v_and_or_b32 v0, 0x3800, v0, v1
	s_mul_i32 s6, s1, s8
	v_mul_lo_u32 v1, v18, s0
	s_ashr_i32 s7, s6, 31
	v_add_nc_u32_e32 v2, 2, v18
	v_lshl_or_b32 v19, v138, 6, v0
	s_lshl_b64 s[6:7], s[6:7], 1
	v_add_nc_u32_e32 v8, 4, v18
	v_add_nc_u32_e32 v15, 6, v18
	v_mul_lo_u32 v7, v2, s0
	ds_load_b128 v[3:6], v19
	v_ashrrev_i32_e32 v2, 31, v1
	v_mul_lo_u32 v11, v8, s0
	s_waitcnt lgkmcnt(0)
	s_add_u32 s1, s4, s6
	s_addc_u32 s3, s5, s7
	s_lshl_b32 s4, s14, 7
	v_lshlrev_b64 v[9:10], 1, v[1:2]
	s_ashr_i32 s5, s4, 31
	v_ashrrev_i32_e32 v8, 31, v7
	s_lshl_b64 s[4:5], s[4:5], 1
	v_ashrrev_i32_e32 v12, 31, v11
	s_add_u32 s1, s1, s4
	s_addc_u32 s3, s3, s5
	v_add_co_u32 v1, s1, s1, v137
	s_delay_alu instid0(VALU_DEP_1) | instskip(SKIP_1) | instid1(VALU_DEP_3)
	v_add_co_ci_u32_e64 v2, null, s3, 0, s1
	v_mul_lo_u32 v15, v15, s0
	v_add_co_u32 v13, vcc_lo, v1, v9
	s_delay_alu instid0(VALU_DEP_3)
	v_add_co_ci_u32_e32 v14, vcc_lo, v2, v10, vcc_lo
	v_lshlrev_b64 v[16:17], 1, v[7:8]
	ds_load_b128 v[7:10], v19 offset:128
	global_store_b128 v[13:14], v[3:6], off
	v_add_nc_u32_e32 v5, 8, v18
	v_lshlrev_b64 v[3:4], 1, v[11:12]
	v_add_co_u32 v23, vcc_lo, v1, v16
	v_ashrrev_i32_e32 v16, 31, v15
	s_delay_alu instid0(VALU_DEP_4) | instskip(SKIP_3) | instid1(VALU_DEP_3)
	v_mul_lo_u32 v25, v5, s0
	v_add_nc_u32_e32 v5, 10, v18
	v_add_co_ci_u32_e32 v24, vcc_lo, v2, v17, vcc_lo
	v_add_co_u32 v27, vcc_lo, v1, v3
	v_mul_lo_u32 v29, v5, s0
	v_add_co_ci_u32_e32 v28, vcc_lo, v2, v4, vcc_lo
	v_lshlrev_b64 v[31:32], 1, v[15:16]
	ds_load_b128 v[3:6], v19 offset:256
	ds_load_b128 v[11:14], v19 offset:384
	;; [unrolled: 1-line block ×4, first 2 shown]
	v_ashrrev_i32_e32 v26, 31, v25
	v_ashrrev_i32_e32 v30, 31, v29
	v_add_co_u32 v31, vcc_lo, v1, v31
	s_delay_alu instid0(VALU_DEP_3) | instskip(SKIP_1) | instid1(VALU_DEP_4)
	v_lshlrev_b64 v[25:26], 1, v[25:26]
	v_add_co_ci_u32_e32 v32, vcc_lo, v2, v32, vcc_lo
	v_lshlrev_b64 v[29:30], 1, v[29:30]
	s_delay_alu instid0(VALU_DEP_3) | instskip(NEXT) | instid1(VALU_DEP_4)
	v_add_co_u32 v25, vcc_lo, v1, v25
	v_add_co_ci_u32_e32 v26, vcc_lo, v2, v26, vcc_lo
	s_delay_alu instid0(VALU_DEP_3) | instskip(NEXT) | instid1(VALU_DEP_4)
	v_add_co_u32 v29, vcc_lo, v1, v29
	v_add_co_ci_u32_e32 v30, vcc_lo, v2, v30, vcc_lo
	s_waitcnt lgkmcnt(4)
	global_store_b128 v[23:24], v[7:10], off
	s_waitcnt lgkmcnt(3)
	global_store_b128 v[27:28], v[3:6], off
	;; [unrolled: 2-line block ×5, first 2 shown]
	s_and_b32 exec_lo, exec_lo, s2
	s_cbranch_execz .LBB646_2
; %bb.112:
	ds_load_b128 v[3:6], v0 offset:768
	s_add_i32 s1, s31, 12
	s_delay_alu instid0(SALU_CYCLE_1) | instskip(NEXT) | instid1(SALU_CYCLE_1)
	s_mul_i32 s0, s1, s0
	s_ashr_i32 s1, s0, 31
	s_delay_alu instid0(SALU_CYCLE_1) | instskip(NEXT) | instid1(SALU_CYCLE_1)
	s_lshl_b64 s[0:1], s[0:1], 1
	v_add_co_u32 v0, vcc_lo, v1, s0
	v_add_co_ci_u32_e32 v1, vcc_lo, s1, v2, vcc_lo
	s_waitcnt lgkmcnt(0)
	global_store_b128 v[0:1], v[3:6], off
	s_nop 0
	s_sendmsg sendmsg(MSG_DEALLOC_VGPRS)
	s_endpgm
	.section	.rodata,"a",@progbits
	.p2align	6, 0x0
	.amdhsa_kernel _Z39paged_attention_ll4mi_QKV_mfma16_kernelI14__hip_bfloat16S0_LN4vllm18Fp8KVCacheDataTypeE0ES0_Li16ELi128ELi256ELb1ELi13EL8MFMAType0EEvPKT_PKT0_S9_ifPKiSB_SB_iPKfiiiPfSE_PS4_PT2_iSD_SD_
		.amdhsa_group_segment_fixed_size 17472
		.amdhsa_private_segment_fixed_size 0
		.amdhsa_kernarg_size 400
		.amdhsa_user_sgpr_count 13
		.amdhsa_user_sgpr_dispatch_ptr 0
		.amdhsa_user_sgpr_queue_ptr 0
		.amdhsa_user_sgpr_kernarg_segment_ptr 1
		.amdhsa_user_sgpr_dispatch_id 0
		.amdhsa_user_sgpr_private_segment_size 0
		.amdhsa_wavefront_size32 1
		.amdhsa_uses_dynamic_stack 0
		.amdhsa_enable_private_segment 0
		.amdhsa_system_sgpr_workgroup_id_x 1
		.amdhsa_system_sgpr_workgroup_id_y 1
		.amdhsa_system_sgpr_workgroup_id_z 1
		.amdhsa_system_sgpr_workgroup_info 0
		.amdhsa_system_vgpr_workitem_id 0
		.amdhsa_next_free_vgpr 218
		.amdhsa_next_free_sgpr 50
		.amdhsa_reserve_vcc 1
		.amdhsa_float_round_mode_32 0
		.amdhsa_float_round_mode_16_64 0
		.amdhsa_float_denorm_mode_32 3
		.amdhsa_float_denorm_mode_16_64 3
		.amdhsa_dx10_clamp 1
		.amdhsa_ieee_mode 1
		.amdhsa_fp16_overflow 0
		.amdhsa_workgroup_processor_mode 1
		.amdhsa_memory_ordered 1
		.amdhsa_forward_progress 0
		.amdhsa_shared_vgpr_count 0
		.amdhsa_exception_fp_ieee_invalid_op 0
		.amdhsa_exception_fp_denorm_src 0
		.amdhsa_exception_fp_ieee_div_zero 0
		.amdhsa_exception_fp_ieee_overflow 0
		.amdhsa_exception_fp_ieee_underflow 0
		.amdhsa_exception_fp_ieee_inexact 0
		.amdhsa_exception_int_div_zero 0
	.end_amdhsa_kernel
	.section	.text._Z39paged_attention_ll4mi_QKV_mfma16_kernelI14__hip_bfloat16S0_LN4vllm18Fp8KVCacheDataTypeE0ES0_Li16ELi128ELi256ELb1ELi13EL8MFMAType0EEvPKT_PKT0_S9_ifPKiSB_SB_iPKfiiiPfSE_PS4_PT2_iSD_SD_,"axG",@progbits,_Z39paged_attention_ll4mi_QKV_mfma16_kernelI14__hip_bfloat16S0_LN4vllm18Fp8KVCacheDataTypeE0ES0_Li16ELi128ELi256ELb1ELi13EL8MFMAType0EEvPKT_PKT0_S9_ifPKiSB_SB_iPKfiiiPfSE_PS4_PT2_iSD_SD_,comdat
.Lfunc_end646:
	.size	_Z39paged_attention_ll4mi_QKV_mfma16_kernelI14__hip_bfloat16S0_LN4vllm18Fp8KVCacheDataTypeE0ES0_Li16ELi128ELi256ELb1ELi13EL8MFMAType0EEvPKT_PKT0_S9_ifPKiSB_SB_iPKfiiiPfSE_PS4_PT2_iSD_SD_, .Lfunc_end646-_Z39paged_attention_ll4mi_QKV_mfma16_kernelI14__hip_bfloat16S0_LN4vllm18Fp8KVCacheDataTypeE0ES0_Li16ELi128ELi256ELb1ELi13EL8MFMAType0EEvPKT_PKT0_S9_ifPKiSB_SB_iPKfiiiPfSE_PS4_PT2_iSD_SD_
                                        ; -- End function
	.section	.AMDGPU.csdata,"",@progbits
; Kernel info:
; codeLenInByte = 10444
; NumSgprs: 52
; NumVgprs: 218
; ScratchSize: 0
; MemoryBound: 0
; FloatMode: 240
; IeeeMode: 1
; LDSByteSize: 17472 bytes/workgroup (compile time only)
; SGPRBlocks: 6
; VGPRBlocks: 27
; NumSGPRsForWavesPerEU: 52
; NumVGPRsForWavesPerEU: 218
; Occupancy: 6
; WaveLimiterHint : 1
; COMPUTE_PGM_RSRC2:SCRATCH_EN: 0
; COMPUTE_PGM_RSRC2:USER_SGPR: 13
; COMPUTE_PGM_RSRC2:TRAP_HANDLER: 0
; COMPUTE_PGM_RSRC2:TGID_X_EN: 1
; COMPUTE_PGM_RSRC2:TGID_Y_EN: 1
; COMPUTE_PGM_RSRC2:TGID_Z_EN: 1
; COMPUTE_PGM_RSRC2:TIDIG_COMP_CNT: 0
	.section	.text._Z39paged_attention_ll4mi_QKV_mfma16_kernelI14__hip_bfloat16S0_LN4vllm18Fp8KVCacheDataTypeE0ES0_Li16ELi128ELi256ELb1ELi14EL8MFMAType0EEvPKT_PKT0_S9_ifPKiSB_SB_iPKfiiiPfSE_PS4_PT2_iSD_SD_,"axG",@progbits,_Z39paged_attention_ll4mi_QKV_mfma16_kernelI14__hip_bfloat16S0_LN4vllm18Fp8KVCacheDataTypeE0ES0_Li16ELi128ELi256ELb1ELi14EL8MFMAType0EEvPKT_PKT0_S9_ifPKiSB_SB_iPKfiiiPfSE_PS4_PT2_iSD_SD_,comdat
	.protected	_Z39paged_attention_ll4mi_QKV_mfma16_kernelI14__hip_bfloat16S0_LN4vllm18Fp8KVCacheDataTypeE0ES0_Li16ELi128ELi256ELb1ELi14EL8MFMAType0EEvPKT_PKT0_S9_ifPKiSB_SB_iPKfiiiPfSE_PS4_PT2_iSD_SD_ ; -- Begin function _Z39paged_attention_ll4mi_QKV_mfma16_kernelI14__hip_bfloat16S0_LN4vllm18Fp8KVCacheDataTypeE0ES0_Li16ELi128ELi256ELb1ELi14EL8MFMAType0EEvPKT_PKT0_S9_ifPKiSB_SB_iPKfiiiPfSE_PS4_PT2_iSD_SD_
	.globl	_Z39paged_attention_ll4mi_QKV_mfma16_kernelI14__hip_bfloat16S0_LN4vllm18Fp8KVCacheDataTypeE0ES0_Li16ELi128ELi256ELb1ELi14EL8MFMAType0EEvPKT_PKT0_S9_ifPKiSB_SB_iPKfiiiPfSE_PS4_PT2_iSD_SD_
	.p2align	8
	.type	_Z39paged_attention_ll4mi_QKV_mfma16_kernelI14__hip_bfloat16S0_LN4vllm18Fp8KVCacheDataTypeE0ES0_Li16ELi128ELi256ELb1ELi14EL8MFMAType0EEvPKT_PKT0_S9_ifPKiSB_SB_iPKfiiiPfSE_PS4_PT2_iSD_SD_,@function
_Z39paged_attention_ll4mi_QKV_mfma16_kernelI14__hip_bfloat16S0_LN4vllm18Fp8KVCacheDataTypeE0ES0_Li16ELi128ELi256ELb1ELi14EL8MFMAType0EEvPKT_PKT0_S9_ifPKiSB_SB_iPKfiiiPfSE_PS4_PT2_iSD_SD_: ; @_Z39paged_attention_ll4mi_QKV_mfma16_kernelI14__hip_bfloat16S0_LN4vllm18Fp8KVCacheDataTypeE0ES0_Li16ELi128ELi256ELb1ELi14EL8MFMAType0EEvPKT_PKT0_S9_ifPKiSB_SB_iPKfiiiPfSE_PS4_PT2_iSD_SD_
; %bb.0:
	s_load_b64 s[4:5], s[0:1], 0x30
	s_mov_b32 s30, s13
	s_waitcnt lgkmcnt(0)
	s_cmp_lg_u64 s[4:5], 0
	s_cselect_b32 s8, -1, 0
	s_ashr_i32 s31, s13, 31
	s_cmp_eq_u64 s[4:5], 0
	s_cbranch_scc1 .LBB647_3
; %bb.1:
	s_lshl_b64 s[2:3], s[30:31], 2
	s_delay_alu instid0(SALU_CYCLE_1) | instskip(SKIP_4) | instid1(SALU_CYCLE_1)
	s_add_u32 s2, s4, s2
	s_addc_u32 s3, s5, s3
	s_load_b64 s[2:3], s[2:3], 0x0
	s_waitcnt lgkmcnt(0)
	s_sub_i32 s2, s3, s2
	s_cmp_eq_u32 s2, 1
	s_cselect_b32 s2, -1, 0
	s_delay_alu instid0(SALU_CYCLE_1)
	s_and_not1_b32 vcc_lo, exec_lo, s2
	s_cbranch_vccz .LBB647_4
.LBB647_2:
	s_endpgm
.LBB647_3:
.LBB647_4:
	s_load_b64 s[2:3], s[0:1], 0x28
	s_lshl_b64 s[6:7], s[30:31], 2
	s_waitcnt lgkmcnt(0)
	s_add_u32 s2, s2, s6
	s_addc_u32 s3, s3, s7
	s_lshl_b32 s31, s14, 8
	s_load_b32 s28, s[2:3], 0x0
	s_waitcnt lgkmcnt(0)
	s_cmp_ge_i32 s31, s28
	s_cbranch_scc1 .LBB647_2
; %bb.5:
	s_clause 0x1
	s_load_b128 s[20:23], s[0:1], 0x8
	s_load_b64 s[2:3], s[0:1], 0x20
	s_and_not1_b32 vcc_lo, exec_lo, s8
	s_cbranch_vccnz .LBB647_7
; %bb.6:
	s_add_u32 s4, s4, s6
	s_addc_u32 s5, s5, s7
	s_load_b32 s5, s[4:5], 0x0
	s_branch .LBB647_8
.LBB647_7:
	s_mov_b32 s5, s30
.LBB647_8:
	s_load_b128 s[16:19], s[0:1], 0x48
	v_and_b32_e32 v140, 15, v0
	v_lshrrev_b32_e32 v141, 5, v0
	v_and_b32_e32 v142, 31, v0
	v_and_b32_e32 v139, 1, v0
	v_bfe_u32 v138, v0, 4, 1
	v_lshlrev_b32_e32 v1, 3, v140
	s_mul_i32 s29, s15, 14
	s_mov_b32 s4, exec_lo
	s_delay_alu instid0(VALU_DEP_1)
	v_lshlrev_b32_e32 v137, 1, v1
	v_cmpx_gt_u32_e32 0xe0, v0
	s_cbranch_execz .LBB647_10
; %bb.9:
	s_load_b64 s[6:7], s[0:1], 0x0
	v_lshl_or_b32 v5, v141, 1, v138
	s_waitcnt lgkmcnt(0)
	s_mul_hi_i32 s9, s5, s16
	s_mul_i32 s8, s5, s16
	v_lshlrev_b32_e32 v6, 10, v140
	s_lshl_b64 s[8:9], s[8:9], 1
	v_add_lshl_u32 v1, v5, s29, 7
	v_lshlrev_b32_e32 v5, 6, v5
	v_lshlrev_b32_e32 v7, 10, v139
	v_and_b32_e32 v6, 0x3800, v6
	s_delay_alu instid0(VALU_DEP_4) | instskip(NEXT) | instid1(VALU_DEP_2)
	v_ashrrev_i32_e32 v2, 31, v1
	v_or3_b32 v5, v6, v7, v5
	s_delay_alu instid0(VALU_DEP_2) | instskip(SKIP_2) | instid1(VALU_DEP_1)
	v_lshlrev_b64 v[1:2], 1, v[1:2]
	s_add_u32 s5, s6, s8
	s_addc_u32 s6, s7, s9
	v_add_co_u32 v1, vcc_lo, s5, v1
	s_delay_alu instid0(VALU_DEP_2) | instskip(NEXT) | instid1(VALU_DEP_2)
	v_add_co_ci_u32_e32 v2, vcc_lo, s6, v2, vcc_lo
	v_add_co_u32 v1, vcc_lo, v1, v137
	s_delay_alu instid0(VALU_DEP_2)
	v_add_co_ci_u32_e32 v2, vcc_lo, 0, v2, vcc_lo
	global_load_b128 v[1:4], v[1:2], off
	s_waitcnt vmcnt(0)
	ds_store_b128 v5, v[1:4]
.LBB647_10:
	s_or_b32 exec_lo, exec_lo, s4
	v_and_b32_e32 v1, 0xef, v0
	s_waitcnt lgkmcnt(0)
	s_add_i32 s5, s28, 15
	s_clause 0x1
	s_load_b32 s4, s[0:1], 0x38
	s_load_b32 s33, s[0:1], 0x1c
	s_ashr_i32 s6, s5, 31
	v_add_nc_u32_e32 v1, s31, v1
	s_lshr_b32 s6, s6, 28
	s_waitcnt lgkmcnt(0)
	s_add_i32 s5, s5, s6
	s_barrier
	v_ashrrev_i32_e32 v2, 31, v1
	v_cmp_gt_i32_e32 vcc_lo, s28, v1
	s_ashr_i32 s16, s5, 4
	buffer_gl0_inv
	s_add_i32 s16, s16, -1
	v_lshrrev_b32_e32 v3, 28, v2
	v_or_b32_e32 v2, 16, v1
	v_add_nc_u32_e32 v105, -14, v140
	v_lshlrev_b32_e32 v106, 5, v140
	s_delay_alu instid0(VALU_DEP_4) | instskip(NEXT) | instid1(VALU_DEP_4)
	v_add_nc_u32_e32 v4, v1, v3
	v_add_nc_u32_e32 v3, v2, v3
	s_mul_i32 s4, s30, s4
	s_delay_alu instid0(VALU_DEP_3) | instskip(SKIP_4) | instid1(SALU_CYCLE_1)
	v_lshl_or_b32 v125, v141, 9, v106
	s_ashr_i32 s5, s4, 31
	v_ashrrev_i32_e32 v4, 4, v4
	v_ashrrev_i32_e32 v3, 4, v3
	s_lshl_b64 s[4:5], s[4:5], 2
	s_add_u32 s34, s2, s4
	s_delay_alu instid0(VALU_DEP_2) | instskip(SKIP_3) | instid1(VALU_DEP_2)
	v_cndmask_b32_e32 v1, s16, v4, vcc_lo
	v_cmp_gt_i32_e32 vcc_lo, s28, v2
	s_addc_u32 s35, s3, s5
	s_mul_i32 s2, s15, s18
	v_ashrrev_i32_e32 v2, 31, v1
	v_cndmask_b32_e32 v3, s16, v3, vcc_lo
	s_ashr_i32 s3, s2, 31
	s_delay_alu instid0(SALU_CYCLE_1) | instskip(NEXT) | instid1(VALU_DEP_2)
	s_lshl_b64 s[2:3], s[2:3], 1
	v_lshlrev_b64 v[1:2], 2, v[1:2]
	s_delay_alu instid0(VALU_DEP_2) | instskip(SKIP_3) | instid1(VALU_DEP_1)
	v_ashrrev_i32_e32 v4, 31, v3
	s_add_u32 s24, s20, s2
	s_addc_u32 s25, s21, s3
	s_lshl_b32 s4, s14, 4
	v_lshlrev_b64 v[3:4], 2, v[3:4]
	v_add_co_u32 v1, vcc_lo, s34, v1
	v_add_co_ci_u32_e32 v2, vcc_lo, s35, v2, vcc_lo
	s_ashr_i32 s5, s4, 31
	s_delay_alu instid0(VALU_DEP_3) | instskip(NEXT) | instid1(VALU_DEP_4)
	v_add_co_u32 v3, vcc_lo, s34, v3
	v_add_co_ci_u32_e32 v4, vcc_lo, s35, v4, vcc_lo
	s_lshl_b64 s[4:5], s[4:5], 2
	s_clause 0x1
	global_load_b32 v5, v[1:2], off
	global_load_b32 v6, v[3:4], off
	s_add_u32 s4, s34, s4
	s_addc_u32 s5, s35, s5
	s_or_b32 s6, s31, 16
	v_lshlrev_b32_e32 v3, 4, v0
	s_ashr_i32 s7, s6, 4
	s_cmp_lt_i32 s6, s28
	s_cselect_b32 s6, s7, s16
	s_delay_alu instid0(SALU_CYCLE_1) | instskip(NEXT) | instid1(SALU_CYCLE_1)
	s_ashr_i32 s7, s6, 31
	s_lshl_b64 s[6:7], s[6:7], 2
	s_delay_alu instid0(SALU_CYCLE_1) | instskip(SKIP_2) | instid1(SALU_CYCLE_1)
	s_add_u32 s6, s34, s6
	s_addc_u32 s7, s35, s7
	s_or_b32 s8, s31, 32
	s_ashr_i32 s9, s8, 4
	s_cmp_lt_i32 s8, s28
	s_cselect_b32 s8, s9, s16
	s_delay_alu instid0(SALU_CYCLE_1) | instskip(NEXT) | instid1(SALU_CYCLE_1)
	s_ashr_i32 s9, s8, 31
	s_lshl_b64 s[8:9], s[8:9], 2
	s_delay_alu instid0(SALU_CYCLE_1) | instskip(SKIP_2) | instid1(SALU_CYCLE_1)
	s_add_u32 s8, s34, s8
	s_addc_u32 s9, s35, s9
	s_or_b32 s10, s31, 48
	;; [unrolled: 10-line block ×4, first 2 shown]
	s_ashr_i32 s13, s12, 4
	s_cmp_lt_i32 s12, s28
	s_cselect_b32 s12, s13, s16
	s_delay_alu instid0(SALU_CYCLE_1) | instskip(NEXT) | instid1(SALU_CYCLE_1)
	s_ashr_i32 s13, s12, 31
	s_lshl_b64 s[12:13], s[12:13], 2
	s_delay_alu instid0(SALU_CYCLE_1)
	s_add_u32 s20, s34, s12
	s_addc_u32 s21, s35, s13
	s_clause 0x5
	s_load_b32 s36, s[4:5], 0x0
	s_load_b32 s27, s[6:7], 0x0
	;; [unrolled: 1-line block ×6, first 2 shown]
	s_waitcnt vmcnt(1)
	v_mad_i64_i32 v[1:2], null, v5, s17, 0
	v_and_b32_e32 v5, 0xf0, v3
	s_waitcnt vmcnt(0)
	v_mad_i64_i32 v[3:4], null, v6, s17, 0
	s_delay_alu instid0(VALU_DEP_2) | instskip(NEXT) | instid1(VALU_DEP_4)
	v_add_co_u32 v5, s4, s24, v5
	v_lshlrev_b64 v[1:2], 1, v[1:2]
	v_add_co_ci_u32_e64 v6, null, s25, 0, s4
	s_delay_alu instid0(VALU_DEP_4) | instskip(SKIP_1) | instid1(VALU_DEP_3)
	v_lshlrev_b64 v[3:4], 1, v[3:4]
	s_or_b32 s4, s31, 0x60
	v_add_co_u32 v121, vcc_lo, v5, v1
	s_delay_alu instid0(VALU_DEP_3) | instskip(NEXT) | instid1(VALU_DEP_3)
	v_add_co_ci_u32_e32 v122, vcc_lo, v6, v2, vcc_lo
	v_add_co_u32 v123, vcc_lo, v5, v3
	s_delay_alu instid0(VALU_DEP_4)
	v_add_co_ci_u32_e32 v124, vcc_lo, v6, v4, vcc_lo
	s_clause 0x19
	global_load_b128 v[89:92], v[121:122], off
	global_load_b128 v[93:96], v[121:122], off offset:256
	global_load_b128 v[97:100], v[123:124], off
	global_load_b128 v[101:104], v[123:124], off offset:256
	global_load_b128 v[81:84], v[121:122], off offset:512
	;; [unrolled: 1-line block ×23, first 2 shown]
	s_ashr_i32 s5, s4, 4
	s_cmp_lt_i32 s4, s28
	v_cmp_gt_u32_e32 vcc_lo, 14, v140
	s_cselect_b32 s4, s5, s16
	s_delay_alu instid0(SALU_CYCLE_1) | instskip(NEXT) | instid1(SALU_CYCLE_1)
	s_ashr_i32 s5, s4, 31
	s_lshl_b64 s[4:5], s[4:5], 2
	v_cndmask_b32_e32 v105, v105, v140, vcc_lo
	s_add_u32 s18, s34, s4
	s_addc_u32 s19, s35, s5
	s_or_b32 s4, s31, 0x70
	s_delay_alu instid0(SALU_CYCLE_1)
	s_ashr_i32 s5, s4, 4
	s_cmp_lt_i32 s4, s28
	v_lshlrev_b32_e32 v215, 6, v105
	s_cselect_b32 s6, s5, s16
	ds_load_b128 v[105:108], v215
	ds_load_b128 v[109:112], v215 offset:1024
	s_ashr_i32 s7, s6, 31
	ds_load_b128 v[113:116], v215 offset:2048
	ds_load_b128 v[117:120], v215 offset:3072
	ds_load_b128 v[143:146], v215 offset:4096
	ds_load_b128 v[147:150], v215 offset:5120
	ds_load_b128 v[151:154], v215 offset:6144
	ds_load_b128 v[155:158], v215 offset:7168
	ds_load_b128 v[159:162], v215 offset:8192
	ds_load_b128 v[163:166], v215 offset:9216
	s_clause 0x1
	global_load_b128 v[167:170], v[123:124], off offset:3072
	global_load_b128 v[171:174], v[123:124], off offset:3328
	s_lshl_b64 s[6:7], s[6:7], 2
	s_mov_b32 s4, 0
	s_add_u32 s20, s34, s6
	s_addc_u32 s21, s35, s7
	s_clause 0x1
	s_load_b32 s42, s[18:19], 0x0
	s_load_b32 s43, s[20:21], 0x0
	s_clause 0x3
	global_load_b128 v[175:178], v[121:122], off offset:3584
	global_load_b128 v[179:182], v[121:122], off offset:3840
	;; [unrolled: 1-line block ×4, first 2 shown]
	s_or_b32 s7, s31, 0x80
	s_mov_b32 s5, s4
	s_ashr_i32 s8, s7, 4
	s_cmp_lt_i32 s7, s28
	s_mov_b32 s6, s4
	s_cselect_b32 s10, s8, s16
	s_mov_b32 s7, s4
	s_ashr_i32 s11, s10, 31
	s_mov_b32 s8, s4
	s_lshl_b64 s[24:25], s[10:11], 2
	s_mov_b32 s9, s4
	s_add_u32 s24, s34, s24
	s_addc_u32 s25, s35, s25
	s_or_b32 s11, s31, 0x90
	s_mov_b32 s10, s4
	s_ashr_i32 s37, s11, 4
	s_cmp_lt_i32 s11, s28
	s_mov_b32 s11, s4
	s_cselect_b32 s38, s37, s16
	v_mov_b32_e32 v136, s11
	s_ashr_i32 s39, s38, 31
	v_dual_mov_b32 v135, s10 :: v_dual_mov_b32 v134, s9
	v_dual_mov_b32 v133, s8 :: v_dual_mov_b32 v132, s7
	;; [unrolled: 1-line block ×3, first 2 shown]
	v_mov_b32_e32 v129, s4
	s_lshl_b64 s[4:5], s[38:39], 2
	s_waitcnt lgkmcnt(0)
	s_mul_hi_i32 s7, s27, s17
	s_add_u32 s38, s34, s4
	s_addc_u32 s39, s35, s5
	s_or_b32 s4, s31, 0xa0
	s_load_b32 s39, s[38:39], 0x0
	s_ashr_i32 s5, s4, 4
	s_cmp_lt_i32 s4, s28
	s_cselect_b32 s4, s5, s16
	s_delay_alu instid0(SALU_CYCLE_1) | instskip(NEXT) | instid1(SALU_CYCLE_1)
	s_ashr_i32 s5, s4, 31
	s_lshl_b64 s[4:5], s[4:5], 2
	s_delay_alu instid0(SALU_CYCLE_1)
	s_add_u32 s40, s34, s4
	s_addc_u32 s41, s35, s5
	s_or_b32 s4, s31, 0xb0
	s_mul_hi_i32 s5, s36, s17
	s_ashr_i32 s6, s4, 4
	s_cmp_lt_i32 s4, s28
	s_mul_i32 s4, s36, s17
	s_cselect_b32 s8, s6, s16
	s_mul_i32 s6, s27, s17
	s_ashr_i32 s9, s8, 31
	s_load_b32 s38, s[40:41], 0x0
	s_lshl_b64 s[10:11], s[8:9], 2
	s_mul_hi_i32 s9, s26, s17
	s_add_u32 s36, s34, s10
	s_addc_u32 s37, s35, s11
	s_or_b32 s10, s31, 0xc0
	s_mul_i32 s8, s26, s17
	s_ashr_i32 s26, s10, 4
	s_cmp_lt_i32 s10, s28
	s_mul_hi_i32 s11, s13, s17
	s_cselect_b32 s26, s26, s16
	s_mul_i32 s10, s13, s17
	s_ashr_i32 s27, s26, 31
	s_mul_hi_i32 s13, s12, s17
	s_lshl_b64 s[26:27], s[26:27], 2
	s_mul_i32 s12, s12, s17
	s_add_u32 s20, s34, s26
	s_addc_u32 s21, s35, s27
	s_or_b32 s18, s31, 0xd0
	s_load_b32 s26, s[24:25], 0x0
	s_ashr_i32 s19, s18, 4
	s_cmp_lt_i32 s18, s28
	s_mul_i32 s18, s15, s17
	s_cselect_b32 s24, s19, s16
	s_mul_hi_i32 s19, s15, s17
	s_ashr_i32 s25, s24, 31
	s_waitcnt lgkmcnt(0)
	s_mul_hi_i32 s41, s39, s17
	s_lshl_b64 s[24:25], s[24:25], 2
	s_delay_alu instid0(SALU_CYCLE_1)
	s_add_u32 s24, s34, s24
	s_addc_u32 s25, s35, s25
	s_or_b32 s40, s31, 0xe0
	s_clause 0x2
	s_load_b32 s37, s[36:37], 0x0
	s_load_b32 s36, s[20:21], 0x0
	s_load_b32 s15, s[24:25], 0x0
	s_ashr_i32 s44, s40, 4
	s_cmp_lt_i32 s40, s28
	s_mul_hi_i32 s21, s42, s17
	s_mul_i32 s20, s42, s17
	s_cselect_b32 s42, s44, s16
	s_mul_hi_i32 s25, s43, s17
	s_mul_i32 s24, s43, s17
	s_ashr_i32 s43, s42, 31
	s_mul_hi_i32 s27, s26, s17
	s_lshl_b64 s[42:43], s[42:43], 2
	s_mul_i32 s26, s26, s17
	s_add_u32 s42, s34, s42
	s_addc_u32 s43, s35, s43
	s_or_b32 s44, s31, 0xf0
	s_mul_i32 s40, s39, s17
	s_ashr_i32 s46, s44, 4
	s_cmp_lt_i32 s44, s28
	s_mul_hi_i32 s39, s38, s17
	s_cselect_b32 s46, s46, s16
	s_waitcnt lgkmcnt(0)
	s_mul_hi_i32 s49, s15, s17
	s_ashr_i32 s47, s46, 31
	s_mul_i32 s48, s15, s17
	s_lshl_b64 s[46:47], s[46:47], 2
	s_mul_i32 s38, s38, s17
	s_add_u32 s34, s34, s46
	s_addc_u32 s35, s35, s47
	s_add_u32 s15, s22, s2
	s_addc_u32 s16, s23, s3
	v_add_co_u32 v216, s15, s15, v125
	s_delay_alu instid0(VALU_DEP_1) | instskip(SKIP_2) | instid1(VALU_DEP_2)
	v_add_co_ci_u32_e64 v217, null, s16, 0, s15
	s_lshl_b64 s[2:3], s[4:5], 1
	s_lshl_b64 s[4:5], s[6:7], 1
	v_add_co_u32 v125, vcc_lo, v216, s2
	s_delay_alu instid0(VALU_DEP_2)
	v_add_co_ci_u32_e32 v126, vcc_lo, s3, v217, vcc_lo
	v_add_co_u32 v199, vcc_lo, v216, s4
	s_lshl_b64 s[6:7], s[8:9], 1
	v_add_co_ci_u32_e32 v200, vcc_lo, s5, v217, vcc_lo
	s_lshl_b64 s[8:9], s[10:11], 1
	s_lshl_b64 s[10:11], s[12:13], 1
	;; [unrolled: 1-line block ×8, first 2 shown]
	s_mul_hi_i32 s45, s37, s17
	s_mul_i32 s44, s37, s17
	s_mul_hi_i32 s37, s36, s17
	s_lshl_b64 s[38:39], s[44:45], 1
	s_mul_i32 s36, s36, s17
	s_clause 0x1
	s_load_b32 s15, s[42:43], 0x0
	s_load_b32 s16, s[34:35], 0x0
	s_lshl_b64 s[36:37], s[36:37], 1
	s_lshl_b64 s[40:41], s[48:49], 1
	s_waitcnt lgkmcnt(0)
	s_mul_hi_i32 s3, s15, s17
	s_mul_i32 s2, s15, s17
	s_mul_hi_i32 s5, s16, s17
	s_lshl_b64 s[2:3], s[2:3], 1
	s_mul_i32 s4, s16, s17
	s_waitcnt vmcnt(30)
	v_wmma_f32_16x16x16_bf16 v[191:198], v[89:96], v[105:112], v[129:136]
	v_add_co_u32 v89, vcc_lo, v216, s6
	v_add_co_ci_u32_e32 v90, vcc_lo, s7, v217, vcc_lo
	v_add_co_u32 v91, vcc_lo, v216, s8
	v_add_co_ci_u32_e32 v92, vcc_lo, s9, v217, vcc_lo
	;; [unrolled: 2-line block ×5, first 2 shown]
	v_add_co_u32 v205, vcc_lo, v216, s20
	s_waitcnt vmcnt(28)
	v_wmma_f32_16x16x16_bf16 v[129:136], v[97:104], v[105:112], v[129:136]
	v_add_co_ci_u32_e32 v206, vcc_lo, s21, v217, vcc_lo
	v_add_co_u32 v207, vcc_lo, v216, s22
	v_add_co_ci_u32_e32 v208, vcc_lo, s23, v217, vcc_lo
	v_add_co_u32 v209, vcc_lo, v216, s24
	s_waitcnt vmcnt(26)
	v_wmma_f32_16x16x16_bf16 v[191:198], v[81:88], v[113:120], v[191:198]
	s_waitcnt vmcnt(24)
	v_wmma_f32_16x16x16_bf16 v[129:136], v[73:80], v[113:120], v[129:136]
	v_add_co_ci_u32_e32 v210, vcc_lo, s25, v217, vcc_lo
	v_add_co_u32 v211, vcc_lo, v216, s26
	v_add_co_ci_u32_e32 v212, vcc_lo, s27, v217, vcc_lo
	v_add_co_u32 v213, vcc_lo, v216, s38
	s_waitcnt vmcnt(22)
	v_wmma_f32_16x16x16_bf16 v[191:198], v[65:72], v[143:150], v[191:198]
	s_waitcnt vmcnt(20)
	v_wmma_f32_16x16x16_bf16 v[129:136], v[57:64], v[143:150], v[129:136]
	v_add_co_ci_u32_e32 v214, vcc_lo, s39, v217, vcc_lo
	v_add_co_u32 v143, vcc_lo, v216, s36
	s_waitcnt vmcnt(18)
	v_wmma_f32_16x16x16_bf16 v[191:198], v[49:56], v[151:158], v[191:198]
	s_waitcnt vmcnt(16)
	v_wmma_f32_16x16x16_bf16 v[129:136], v[41:48], v[151:158], v[129:136]
	v_add_co_ci_u32_e32 v144, vcc_lo, s37, v217, vcc_lo
	s_clause 0x15
	global_load_b128 v[121:124], v[125:126], off
	global_load_b128 v[125:128], v[125:126], off offset:16
	global_load_b128 v[113:116], v[199:200], off
	global_load_b128 v[117:120], v[199:200], off offset:16
	global_load_b128 v[105:108], v[89:90], off
	global_load_b128 v[109:112], v[89:90], off offset:16
	global_load_b128 v[97:100], v[91:92], off
	global_load_b128 v[101:104], v[91:92], off offset:16
	global_load_b128 v[89:92], v[93:94], off
	global_load_b128 v[93:96], v[93:94], off offset:16
	global_load_b128 v[81:84], v[201:202], off
	global_load_b128 v[85:88], v[201:202], off offset:16
	global_load_b128 v[73:76], v[203:204], off
	global_load_b128 v[77:80], v[203:204], off offset:16
	global_load_b128 v[57:60], v[205:206], off
	global_load_b128 v[61:64], v[205:206], off offset:16
	global_load_b128 v[65:68], v[207:208], off
	global_load_b128 v[69:72], v[207:208], off offset:16
	global_load_b128 v[49:52], v[209:210], off
	global_load_b128 v[53:56], v[209:210], off offset:16
	global_load_b128 v[41:44], v[211:212], off
	global_load_b128 v[45:48], v[211:212], off offset:16
	s_waitcnt vmcnt(36)
	v_wmma_f32_16x16x16_bf16 v[191:198], v[17:24], v[159:166], v[191:198]
	s_clause 0x1
	global_load_b128 v[17:20], v[213:214], off
	global_load_b128 v[21:24], v[213:214], off offset:16
	s_waitcnt vmcnt(36)
	v_wmma_f32_16x16x16_bf16 v[129:136], v[1:8], v[159:166], v[129:136]
	s_clause 0x1
	global_load_b128 v[1:4], v[143:144], off
	global_load_b128 v[5:8], v[143:144], off offset:16
	ds_load_b128 v[143:146], v215 offset:10240
	ds_load_b128 v[147:150], v215 offset:11264
	;; [unrolled: 1-line block ×4, first 2 shown]
	v_add_co_u32 v199, vcc_lo, v216, s40
	v_add_co_ci_u32_e32 v200, vcc_lo, s41, v217, vcc_lo
	v_add_co_u32 v159, vcc_lo, v216, s2
	v_add_co_ci_u32_e32 v160, vcc_lo, s3, v217, vcc_lo
	s_lshl_b64 s[2:3], s[4:5], 1
	s_delay_alu instid0(SALU_CYCLE_1)
	v_add_co_u32 v161, vcc_lo, v216, s2
	v_add_co_ci_u32_e32 v162, vcc_lo, s3, v217, vcc_lo
	s_waitcnt vmcnt(36) lgkmcnt(2)
	v_wmma_f32_16x16x16_bf16 v[191:198], v[25:32], v[143:150], v[191:198]
	s_waitcnt vmcnt(34)
	v_wmma_f32_16x16x16_bf16 v[129:136], v[33:40], v[143:150], v[129:136]
	s_clause 0x3
	global_load_b128 v[25:28], v[199:200], off
	global_load_b128 v[29:32], v[199:200], off offset:16
	global_load_b128 v[33:36], v[159:160], off
	global_load_b128 v[37:40], v[159:160], off offset:16
	v_and_b32_e32 v143, 0xe0, v0
	v_mbcnt_lo_u32_b32 v159, -1, 0
	s_waitcnt vmcnt(36) lgkmcnt(0)
	v_wmma_f32_16x16x16_bf16 v[191:198], v[9:16], v[151:158], v[191:198]
	s_clause 0x1
	global_load_b128 v[9:12], v[161:162], off
	global_load_b128 v[13:16], v[161:162], off offset:16
	s_waitcnt vmcnt(36)
	v_wmma_f32_16x16x16_bf16 v[129:136], v[167:174], v[151:158], v[129:136]
	v_add_nc_u32_e32 v160, s31, v143
	ds_load_b128 v[143:146], v215 offset:14336
	ds_load_b128 v[147:150], v215 offset:15360
	v_xor_b32_e32 v151, 16, v159
	s_waitcnt vmcnt(0) lgkmcnt(0)
	s_barrier
	v_or_b32_e32 v152, v160, v138
	buffer_gl0_inv
	v_cmp_gt_i32_e32 vcc_lo, 32, v151
	v_or_b32_e32 v153, 2, v152
	v_or_b32_e32 v154, 4, v152
	v_or_b32_e32 v155, 6, v152
	v_or_b32_e32 v156, 8, v152
	v_or_b32_e32 v157, 10, v152
	v_cmp_gt_i32_e64 s2, s28, v153
	v_cmp_gt_i32_e64 s3, s28, v154
	v_cmp_gt_i32_e64 s4, s28, v155
	v_or_b32_e32 v158, 12, v152
	v_cmp_gt_i32_e64 s5, s28, v156
	v_cmp_gt_i32_e64 s6, s28, v157
	v_wmma_f32_16x16x16_bf16 v[191:198], v[175:182], v[143:150], v[191:198]
	v_wmma_f32_16x16x16_bf16 v[129:136], v[183:190], v[143:150], v[129:136]
	v_cndmask_b32_e32 v151, v159, v151, vcc_lo
	v_cmp_gt_i32_e32 vcc_lo, s28, v152
	v_or_b32_e32 v159, 14, v152
	v_dual_mul_f32 v149, s33, v192 :: v_dual_mul_f32 v150, s33, v191
	v_dual_mul_f32 v147, s33, v194 :: v_dual_mul_f32 v148, s33, v193
	v_mul_f32_e32 v145, s33, v196
	s_delay_alu instid0(VALU_DEP_3) | instskip(NEXT) | instid1(VALU_DEP_4)
	v_cndmask_b32_e64 v149, 0xff7fffff, v149, s2
	v_cndmask_b32_e32 v150, 0xff7fffff, v150, vcc_lo
	v_mul_f32_e32 v146, s33, v195
	v_cndmask_b32_e64 v148, 0xff7fffff, v148, s3
	v_cndmask_b32_e64 v147, 0xff7fffff, v147, s4
	v_or_b32_e32 v160, 16, v152
	v_max3_f32 v149, v150, 0xff7fffff, v149
	v_or_b32_e32 v161, 18, v152
	v_dual_mul_f32 v143, s33, v198 :: v_dual_mul_f32 v144, s33, v197
	v_cndmask_b32_e64 v146, 0xff7fffff, v146, s5
	v_cndmask_b32_e64 v145, 0xff7fffff, v145, s6
	v_max3_f32 v147, v149, v148, v147
	v_cmp_gt_i32_e64 s7, s28, v158
	v_cmp_gt_i32_e64 s8, s28, v159
	v_or_b32_e32 v162, 20, v152
	v_or_b32_e32 v163, 22, v152
	v_dual_mul_f32 v174, s33, v130 :: v_dual_mul_f32 v175, s33, v129
	v_cndmask_b32_e64 v144, 0xff7fffff, v144, s7
	v_cndmask_b32_e64 v143, 0xff7fffff, v143, s8
	v_max3_f32 v145, v147, v146, v145
	v_cmp_gt_i32_e64 s9, s28, v160
	v_cmp_gt_i32_e64 s10, s28, v161
	v_or_b32_e32 v164, 24, v152
	;; [unrolled: 8-line block ×3, first 2 shown]
	v_or_b32_e32 v167, 30, v152
	v_dual_mul_f32 v170, s33, v134 :: v_dual_mul_f32 v171, s33, v133
	v_cndmask_b32_e64 v144, 0xff7fffff, v173, s11
	v_cndmask_b32_e64 v145, 0xff7fffff, v172, s12
	v_max3_f32 v143, v143, v146, v147
	v_cmp_gt_i32_e64 s13, s28, v164
	v_cmp_gt_i32_e64 s15, s28, v165
	v_dual_mul_f32 v168, s33, v136 :: v_dual_mul_f32 v169, s33, v135
	s_delay_alu instid0(VALU_DEP_4) | instskip(NEXT) | instid1(VALU_DEP_4)
	v_max3_f32 v143, v143, v144, v145
	v_cndmask_b32_e64 v146, 0xff7fffff, v171, s13
	s_delay_alu instid0(VALU_DEP_4) | instskip(SKIP_3) | instid1(VALU_DEP_4)
	v_cndmask_b32_e64 v147, 0xff7fffff, v170, s15
	v_cmp_gt_i32_e64 s16, s28, v166
	v_cmp_gt_i32_e64 s17, s28, v167
	v_lshlrev_b32_e32 v154, 2, v151
	v_max3_f32 v143, v143, v146, v147
	s_delay_alu instid0(VALU_DEP_4) | instskip(NEXT) | instid1(VALU_DEP_4)
	v_cndmask_b32_e64 v144, 0xff7fffff, v169, s16
	v_cndmask_b32_e64 v145, 0xff7fffff, v168, s17
	s_delay_alu instid0(VALU_DEP_1) | instskip(SKIP_3) | instid1(VALU_DEP_1)
	v_max3_f32 v143, v143, v144, v145
	ds_bpermute_b32 v144, v154, v143
	s_waitcnt lgkmcnt(0)
	v_max_f32_e32 v144, v144, v144
	v_max_f32_e32 v153, v143, v144
	s_delay_alu instid0(VALU_DEP_1) | instskip(SKIP_4) | instid1(VALU_DEP_4)
	v_fma_f32 v143, s33, v191, -v153
	v_fma_f32 v144, s33, v192, -v153
	;; [unrolled: 1-line block ×5, first 2 shown]
	v_dual_mul_f32 v143, 0x3fb8aa3b, v143 :: v_dual_mul_f32 v144, 0x3fb8aa3b, v144
	s_delay_alu instid0(VALU_DEP_4) | instskip(SKIP_2) | instid1(VALU_DEP_4)
	v_mul_f32_e32 v132, 0x3fb8aa3b, v132
	v_fma_f32 v134, s33, v134, -v153
	v_mul_f32_e32 v145, 0x3fb8aa3b, v145
	v_exp_f32_e32 v143, v143
	v_exp_f32_e32 v147, v144
	v_fma_f32 v148, s33, v195, -v153
	v_mul_f32_e32 v134, 0x3fb8aa3b, v134
	v_mul_f32_e32 v146, 0x3fb8aa3b, v146
	v_exp_f32_e32 v145, v145
	v_fma_f32 v151, s33, v197, -v153
	v_mul_f32_e32 v148, 0x3fb8aa3b, v148
	v_fma_f32 v129, s33, v129, -v153
	v_exp_f32_e32 v149, v146
	v_cndmask_b32_e32 v144, 0, v143, vcc_lo
	v_fma_f32 v143, s33, v196, -v153
	v_cndmask_b32_e64 v146, 0, v147, s2
	v_exp_f32_e32 v148, v148
	s_delay_alu instid0(VALU_DEP_3) | instskip(NEXT) | instid1(VALU_DEP_3)
	v_dual_mul_f32 v151, 0x3fb8aa3b, v151 :: v_dual_add_f32 v150, 0, v144
	v_mul_f32_e32 v143, 0x3fb8aa3b, v143
	v_cndmask_b32_e64 v147, 0, v145, s3
	v_fma_f32 v130, s33, v130, -v153
	s_delay_alu instid0(TRANS32_DEP_2)
	v_cndmask_b32_e64 v149, 0, v149, s4
	v_add_f32_e32 v145, v150, v146
	v_fma_f32 v150, s33, v198, -v153
	v_exp_f32_e32 v143, v143
	v_exp_f32_e32 v155, v151
	v_mul_f32_e32 v129, 0x3fb8aa3b, v129
	s_delay_alu instid0(VALU_DEP_2) | instskip(SKIP_2) | instid1(VALU_DEP_3)
	v_dual_add_f32 v145, v145, v147 :: v_dual_mul_f32 v152, 0x3fb8aa3b, v150
	v_cndmask_b32_e64 v150, 0, v148, s5
	v_fma_f32 v131, s33, v131, -v153
	v_dual_mul_f32 v130, 0x3fb8aa3b, v130 :: v_dual_add_f32 v145, v145, v149
	s_delay_alu instid0(VALU_DEP_4) | instskip(NEXT) | instid1(TRANS32_DEP_3)
	v_exp_f32_e32 v152, v152
	v_cndmask_b32_e64 v151, 0, v143, s6
	v_exp_f32_e32 v129, v129
	s_delay_alu instid0(TRANS32_DEP_3)
	v_cndmask_b32_e64 v148, 0, v155, s7
	v_add_f32_e32 v143, v145, v150
	v_mul_f32_e32 v131, 0x3fb8aa3b, v131
	v_exp_f32_e32 v130, v130
	v_fma_f32 v133, s33, v133, -v153
	v_fma_f32 v136, s33, v136, -v153
	v_add_f32_e32 v143, v143, v151
	v_cndmask_b32_e64 v152, 0, v152, s8
	v_exp_f32_e32 v145, v131
	v_cndmask_b32_e64 v131, 0, v129, s9
	v_mul_f32_e32 v133, 0x3fb8aa3b, v133
	v_add_f32_e32 v143, v143, v148
	s_mov_b32 s2, exec_lo
	s_delay_alu instid0(VALU_DEP_1)
	v_add_f32_e32 v129, v143, v152
	v_exp_f32_e32 v143, v132
	v_cndmask_b32_e64 v132, 0, v130, s10
	v_fma_f32 v130, s33, v135, -v153
	v_exp_f32_e32 v135, v133
	v_add_f32_e32 v129, v129, v131
	v_cndmask_b32_e64 v133, 0, v145, s11
	v_exp_f32_e32 v145, v134
	s_delay_alu instid0(VALU_DEP_2) | instskip(NEXT) | instid1(TRANS32_DEP_3)
	v_dual_mul_f32 v130, 0x3fb8aa3b, v130 :: v_dual_add_f32 v129, v129, v132
	v_cndmask_b32_e64 v134, 0, v143, s12
	v_mul_f32_e32 v143, 0x3fb8aa3b, v136
	s_delay_alu instid0(VALU_DEP_3) | instskip(NEXT) | instid1(TRANS32_DEP_3)
	v_exp_f32_e32 v130, v130
	v_cndmask_b32_e64 v135, 0, v135, s13
	v_add_f32_e32 v129, v129, v133
	s_delay_alu instid0(TRANS32_DEP_2) | instskip(SKIP_1) | instid1(VALU_DEP_2)
	v_cndmask_b32_e64 v136, 0, v145, s15
	v_exp_f32_e32 v145, v143
	v_add_f32_e32 v129, v129, v134
	s_waitcnt_depctr 0xfff
	v_cndmask_b32_e64 v143, 0, v130, s16
	v_add_f32_e32 v129, v129, v135
	v_cndmask_b32_e64 v145, 0, v145, s17
	s_delay_alu instid0(VALU_DEP_2) | instskip(NEXT) | instid1(VALU_DEP_1)
	v_add_f32_e32 v129, v129, v136
	v_add_f32_e32 v129, v129, v143
	s_delay_alu instid0(VALU_DEP_1)
	v_add_f32_e32 v129, v129, v145
	ds_bpermute_b32 v130, v154, v129
	v_cmpx_gt_u32_e32 16, v142
	s_cbranch_execz .LBB647_12
; %bb.11:
	v_mul_u32_u24_e32 v142, 0x44, v141
	s_waitcnt lgkmcnt(0)
	v_add_f32_e32 v129, v129, v130
	s_delay_alu instid0(VALU_DEP_2) | instskip(NEXT) | instid1(VALU_DEP_1)
	v_lshl_add_u32 v142, v140, 2, v142
	v_add_nc_u32_e32 v130, 0x4000, v142
	ds_store_2addr_b32 v130, v153, v129 offset1:136
.LBB647_12:
	s_or_b32 exec_lo, exec_lo, s2
	v_lshlrev_b32_e32 v129, 2, v140
	s_waitcnt lgkmcnt(0)
	s_barrier
	buffer_gl0_inv
	v_cmp_eq_u32_e64 s2, 1, v141
	v_add_nc_u32_e32 v142, 0x4000, v129
	ds_load_2addr_b32 v[153:154], v142 offset1:17
	ds_load_2addr_b32 v[155:156], v142 offset0:34 offset1:51
	ds_load_2addr_b32 v[157:158], v142 offset0:68 offset1:85
	;; [unrolled: 1-line block ×4, first 2 shown]
	s_waitcnt lgkmcnt(4)
	v_max3_f32 v129, v153, 0xff7fffff, v154
	s_waitcnt lgkmcnt(3)
	s_delay_alu instid0(VALU_DEP_1) | instskip(SKIP_1) | instid1(VALU_DEP_1)
	v_max3_f32 v129, v129, v155, v156
	s_waitcnt lgkmcnt(2)
	v_max3_f32 v129, v129, v157, v158
	s_waitcnt lgkmcnt(1)
	s_delay_alu instid0(VALU_DEP_1) | instskip(NEXT) | instid1(VALU_DEP_1)
	v_max3_f32 v129, v129, v159, v160
	v_sub_f32_e32 v163, v154, v129
	v_sub_f32_e32 v130, v153, v129
	ds_load_2addr_b32 v[153:154], v142 offset0:170 offset1:187
	v_sub_f32_e32 v155, v155, v129
	v_dual_mul_f32 v163, 0x3fb8aa3b, v163 :: v_dual_mul_f32 v130, 0x3fb8aa3b, v130
	s_delay_alu instid0(VALU_DEP_2) | instskip(NEXT) | instid1(VALU_DEP_2)
	v_mul_f32_e32 v165, 0x3fb8aa3b, v155
	v_exp_f32_e32 v163, v163
	s_delay_alu instid0(VALU_DEP_2)
	v_exp_f32_e32 v164, v130
	v_sub_f32_e32 v130, v156, v129
	ds_load_2addr_b32 v[155:156], v142 offset0:204 offset1:221
	v_exp_f32_e32 v165, v165
	v_mul_f32_e32 v166, 0x3fb8aa3b, v130
	s_waitcnt lgkmcnt(2)
	v_fma_f32 v130, v164, v161, 0
	v_sub_f32_e32 v157, v157, v129
	s_delay_alu instid0(VALU_DEP_3) | instskip(NEXT) | instid1(VALU_DEP_2)
	v_exp_f32_e32 v166, v166
	v_dual_sub_f32 v161, v158, v129 :: v_dual_fmac_f32 v130, v163, v162
	s_waitcnt lgkmcnt(1)
	s_waitcnt_depctr 0xfff
	v_fmac_f32_e32 v130, v165, v153
	v_mul_f32_e32 v167, 0x3fb8aa3b, v157
	ds_load_2addr_b32 v[157:158], v142 offset0:238 offset1:255
	v_sub_f32_e32 v142, v159, v129
	v_dual_sub_f32 v153, v160, v129 :: v_dual_fmac_f32 v130, v166, v154
	v_mul_f32_e32 v159, 0x3fb8aa3b, v161
	v_exp_f32_e32 v161, v167
	s_delay_alu instid0(VALU_DEP_2)
	v_dual_mul_f32 v142, 0x3fb8aa3b, v142 :: v_dual_mul_f32 v153, 0x3fb8aa3b, v153
	s_waitcnt lgkmcnt(0)
	s_barrier
	buffer_gl0_inv
	v_exp_f32_e32 v142, v142
	v_exp_f32_e32 v153, v153
	v_fmac_f32_e32 v130, v161, v155
	v_exp_f32_e32 v159, v159
	s_waitcnt_depctr 0xfff
	v_fmac_f32_e32 v130, v159, v156
	s_delay_alu instid0(VALU_DEP_1) | instskip(NEXT) | instid1(VALU_DEP_1)
	v_fmac_f32_e32 v130, v142, v157
	v_fmac_f32_e32 v130, v153, v158
	s_delay_alu instid0(VALU_DEP_1) | instskip(NEXT) | instid1(VALU_DEP_1)
	v_add_f32_e32 v154, 0x358637bd, v130
	v_div_scale_f32 v155, null, v154, v154, 1.0
	v_div_scale_f32 v158, vcc_lo, 1.0, v154, 1.0
	s_delay_alu instid0(VALU_DEP_2) | instskip(SKIP_2) | instid1(VALU_DEP_1)
	v_rcp_f32_e32 v156, v155
	s_waitcnt_depctr 0xfff
	v_fma_f32 v157, -v155, v156, 1.0
	v_fmac_f32_e32 v156, v157, v156
	v_cndmask_b32_e64 v157, v164, v163, s2
	v_cmp_eq_u32_e64 s2, 2, v141
	s_delay_alu instid0(VALU_DEP_3) | instskip(NEXT) | instid1(VALU_DEP_2)
	v_mul_f32_e32 v160, v158, v156
	v_cndmask_b32_e64 v157, v157, v165, s2
	v_cmp_eq_u32_e64 s2, 3, v141
	s_delay_alu instid0(VALU_DEP_3) | instskip(NEXT) | instid1(VALU_DEP_2)
	v_fma_f32 v162, -v155, v160, v158
	v_cndmask_b32_e64 v157, v157, v166, s2
	v_cmp_eq_u32_e64 s2, 4, v141
	s_delay_alu instid0(VALU_DEP_3) | instskip(NEXT) | instid1(VALU_DEP_2)
	v_fmac_f32_e32 v160, v162, v156
	v_cndmask_b32_e64 v157, v157, v161, s2
	s_delay_alu instid0(VALU_DEP_2) | instskip(SKIP_1) | instid1(VALU_DEP_2)
	v_fma_f32 v155, -v155, v160, v158
	v_cmp_eq_u32_e64 s2, 5, v141
	v_div_fmas_f32 v155, v155, v156, v160
	s_delay_alu instid0(VALU_DEP_2) | instskip(SKIP_2) | instid1(VALU_DEP_3)
	v_cndmask_b32_e64 v157, v157, v159, s2
	v_cmp_eq_u32_e32 vcc_lo, 6, v141
	s_mov_b32 s2, exec_lo
	v_div_fixup_f32 v154, v155, v154, 1.0
	s_delay_alu instid0(VALU_DEP_3) | instskip(SKIP_1) | instid1(VALU_DEP_2)
	v_cndmask_b32_e32 v142, v157, v142, vcc_lo
	v_cmp_eq_u32_e32 vcc_lo, 7, v141
	v_cndmask_b32_e32 v142, v142, v153, vcc_lo
	s_delay_alu instid0(VALU_DEP_1) | instskip(NEXT) | instid1(VALU_DEP_1)
	v_mul_f32_e32 v142, v142, v154
	v_mul_f32_e32 v153, v142, v149
	;; [unrolled: 1-line block ×7, first 2 shown]
	v_dual_mul_f32 v150, v142, v147 :: v_dual_and_b32 v155, 0x7f800000, v154
	v_mul_f32_e32 v149, v142, v146
                                        ; implicit-def: $vgpr146
	s_delay_alu instid0(VALU_DEP_2)
	v_cmpx_ne_u32_e32 0x7f800000, v155
	s_xor_b32 s2, exec_lo, s2
; %bb.13:
	v_bfe_u32 v146, v154, 16, 1
	s_delay_alu instid0(VALU_DEP_1)
	v_add3_u32 v146, v154, v146, 0x7fff
                                        ; implicit-def: $vgpr154
; %bb.14:
	s_and_not1_saveexec_b32 s2, s2
; %bb.15:
	v_and_b32_e32 v146, 0xffff, v154
	v_or_b32_e32 v147, 0x10000, v154
	s_delay_alu instid0(VALU_DEP_2) | instskip(NEXT) | instid1(VALU_DEP_2)
	v_cmp_eq_u32_e32 vcc_lo, 0, v146
	v_cndmask_b32_e32 v146, v147, v154, vcc_lo
; %bb.16:
	s_or_b32 exec_lo, exec_lo, s2
	v_and_b32_e32 v147, 0x7f800000, v149
	s_delay_alu instid0(VALU_DEP_1) | instskip(SKIP_1) | instid1(SALU_CYCLE_1)
	v_cmp_ne_u32_e32 vcc_lo, 0x7f800000, v147
                                        ; implicit-def: $vgpr147
	s_and_saveexec_b32 s2, vcc_lo
	s_xor_b32 s2, exec_lo, s2
; %bb.17:
	v_bfe_u32 v147, v149, 16, 1
	s_delay_alu instid0(VALU_DEP_1)
	v_add3_u32 v147, v149, v147, 0x7fff
                                        ; implicit-def: $vgpr149
; %bb.18:
	s_and_not1_saveexec_b32 s2, s2
; %bb.19:
	v_and_b32_e32 v147, 0xffff, v149
	v_or_b32_e32 v154, 0x10000, v149
	s_delay_alu instid0(VALU_DEP_2) | instskip(NEXT) | instid1(VALU_DEP_2)
	v_cmp_eq_u32_e32 vcc_lo, 0, v147
	v_cndmask_b32_e32 v147, v154, v149, vcc_lo
; %bb.20:
	s_or_b32 exec_lo, exec_lo, s2
	v_and_b32_e32 v149, 0x7f800000, v150
	s_delay_alu instid0(VALU_DEP_1) | instskip(SKIP_1) | instid1(SALU_CYCLE_1)
	v_cmp_ne_u32_e32 vcc_lo, 0x7f800000, v149
                                        ; implicit-def: $vgpr149
	s_and_saveexec_b32 s2, vcc_lo
	s_xor_b32 s2, exec_lo, s2
; %bb.21:
	v_bfe_u32 v149, v150, 16, 1
	s_delay_alu instid0(VALU_DEP_1)
	v_add3_u32 v149, v150, v149, 0x7fff
                                        ; implicit-def: $vgpr150
; %bb.22:
	s_and_not1_saveexec_b32 s2, s2
; %bb.23:
	v_and_b32_e32 v149, 0xffff, v150
	v_or_b32_e32 v154, 0x10000, v150
	s_delay_alu instid0(VALU_DEP_2) | instskip(NEXT) | instid1(VALU_DEP_2)
	v_cmp_eq_u32_e32 vcc_lo, 0, v149
	v_cndmask_b32_e32 v149, v154, v150, vcc_lo
; %bb.24:
	s_or_b32 exec_lo, exec_lo, s2
	v_and_b32_e32 v150, 0x7f800000, v153
	s_delay_alu instid0(VALU_DEP_1) | instskip(SKIP_1) | instid1(SALU_CYCLE_1)
	v_cmp_ne_u32_e32 vcc_lo, 0x7f800000, v150
                                        ; implicit-def: $vgpr150
	s_and_saveexec_b32 s2, vcc_lo
	s_xor_b32 s2, exec_lo, s2
; %bb.25:
	v_bfe_u32 v150, v153, 16, 1
	s_delay_alu instid0(VALU_DEP_1)
	v_add3_u32 v150, v153, v150, 0x7fff
                                        ; implicit-def: $vgpr153
; %bb.26:
	s_and_not1_saveexec_b32 s2, s2
; %bb.27:
	v_and_b32_e32 v150, 0xffff, v153
	v_or_b32_e32 v154, 0x10000, v153
	s_delay_alu instid0(VALU_DEP_2) | instskip(NEXT) | instid1(VALU_DEP_2)
	v_cmp_eq_u32_e32 vcc_lo, 0, v150
	v_cndmask_b32_e32 v150, v154, v153, vcc_lo
; %bb.28:
	s_or_b32 exec_lo, exec_lo, s2
	v_and_b32_e32 v153, 0x7f800000, v152
	s_delay_alu instid0(VALU_DEP_1) | instskip(SKIP_1) | instid1(SALU_CYCLE_1)
	v_cmp_ne_u32_e32 vcc_lo, 0x7f800000, v153
                                        ; implicit-def: $vgpr153
	s_and_saveexec_b32 s2, vcc_lo
	s_xor_b32 s2, exec_lo, s2
; %bb.29:
	v_bfe_u32 v153, v152, 16, 1
	s_delay_alu instid0(VALU_DEP_1)
	v_add3_u32 v153, v152, v153, 0x7fff
                                        ; implicit-def: $vgpr152
; %bb.30:
	s_and_not1_saveexec_b32 s2, s2
; %bb.31:
	v_and_b32_e32 v153, 0xffff, v152
	v_or_b32_e32 v154, 0x10000, v152
	s_delay_alu instid0(VALU_DEP_2) | instskip(NEXT) | instid1(VALU_DEP_2)
	v_cmp_eq_u32_e32 vcc_lo, 0, v153
	v_cndmask_b32_e32 v153, v154, v152, vcc_lo
; %bb.32:
	s_or_b32 exec_lo, exec_lo, s2
	v_and_b32_e32 v152, 0x7f800000, v151
	s_delay_alu instid0(VALU_DEP_1) | instskip(SKIP_1) | instid1(SALU_CYCLE_1)
	v_cmp_ne_u32_e32 vcc_lo, 0x7f800000, v152
                                        ; implicit-def: $vgpr152
	s_and_saveexec_b32 s2, vcc_lo
	s_xor_b32 s2, exec_lo, s2
; %bb.33:
	v_bfe_u32 v152, v151, 16, 1
	s_delay_alu instid0(VALU_DEP_1)
	v_add3_u32 v152, v151, v152, 0x7fff
                                        ; implicit-def: $vgpr151
; %bb.34:
	s_and_not1_saveexec_b32 s2, s2
; %bb.35:
	v_and_b32_e32 v152, 0xffff, v151
	v_or_b32_e32 v154, 0x10000, v151
	s_delay_alu instid0(VALU_DEP_2) | instskip(NEXT) | instid1(VALU_DEP_2)
	v_cmp_eq_u32_e32 vcc_lo, 0, v152
	v_cndmask_b32_e32 v152, v154, v151, vcc_lo
; %bb.36:
	s_or_b32 exec_lo, exec_lo, s2
	v_and_b32_e32 v151, 0x7f800000, v148
	s_delay_alu instid0(VALU_DEP_1) | instskip(SKIP_1) | instid1(SALU_CYCLE_1)
	v_cmp_ne_u32_e32 vcc_lo, 0x7f800000, v151
                                        ; implicit-def: $vgpr151
	s_and_saveexec_b32 s2, vcc_lo
	s_xor_b32 s2, exec_lo, s2
; %bb.37:
	v_bfe_u32 v151, v148, 16, 1
	s_delay_alu instid0(VALU_DEP_1)
	v_add3_u32 v151, v148, v151, 0x7fff
                                        ; implicit-def: $vgpr148
; %bb.38:
	s_and_not1_saveexec_b32 s2, s2
; %bb.39:
	v_and_b32_e32 v151, 0xffff, v148
	v_or_b32_e32 v154, 0x10000, v148
	s_delay_alu instid0(VALU_DEP_2) | instskip(NEXT) | instid1(VALU_DEP_2)
	v_cmp_eq_u32_e32 vcc_lo, 0, v151
	v_cndmask_b32_e32 v151, v154, v148, vcc_lo
; %bb.40:
	s_or_b32 exec_lo, exec_lo, s2
	v_and_b32_e32 v148, 0x7f800000, v144
	s_delay_alu instid0(VALU_DEP_1) | instskip(SKIP_1) | instid1(SALU_CYCLE_1)
	v_cmp_ne_u32_e32 vcc_lo, 0x7f800000, v148
                                        ; implicit-def: $vgpr148
	s_and_saveexec_b32 s2, vcc_lo
	s_xor_b32 s2, exec_lo, s2
; %bb.41:
	v_bfe_u32 v148, v144, 16, 1
	s_delay_alu instid0(VALU_DEP_1)
	v_add3_u32 v148, v144, v148, 0x7fff
                                        ; implicit-def: $vgpr144
; %bb.42:
	s_and_not1_saveexec_b32 s2, s2
; %bb.43:
	v_and_b32_e32 v148, 0xffff, v144
	v_or_b32_e32 v154, 0x10000, v144
	s_delay_alu instid0(VALU_DEP_2) | instskip(NEXT) | instid1(VALU_DEP_2)
	v_cmp_eq_u32_e32 vcc_lo, 0, v148
	v_cndmask_b32_e32 v148, v154, v144, vcc_lo
; %bb.44:
	s_or_b32 exec_lo, exec_lo, s2
	s_load_b64 s[34:35], s[0:1], 0x94
	v_lshlrev_b32_e32 v155, 4, v138
	s_delay_alu instid0(VALU_DEP_2)
	v_perm_b32 v154, v148, v151, 0x7060302
	v_mul_f32_e32 v148, v142, v131
	v_dual_mul_f32 v145, v142, v145 :: v_dual_lshlrev_b32 v144, 6, v140
	v_dual_mul_f32 v143, v142, v143 :: v_dual_lshlrev_b32 v156, 11, v141
	v_perm_b32 v153, v152, v153, 0x7060302
	v_perm_b32 v152, v150, v149, 0x7060302
	;; [unrolled: 1-line block ×3, first 2 shown]
	s_delay_alu instid0(VALU_DEP_4)
	v_or3_b32 v131, v155, v156, v144
	v_mul_f32_e32 v136, v142, v136
	v_dual_mul_f32 v146, v142, v134 :: v_dual_and_b32 v149, 0x7f800000, v148
	v_mul_f32_e32 v135, v142, v135
	v_mul_f32_e32 v147, v142, v133
	;; [unrolled: 1-line block ×3, first 2 shown]
	s_mov_b32 s2, exec_lo
	ds_store_b128 v131, v[151:154]
                                        ; implicit-def: $vgpr132
	v_cmpx_ne_u32_e32 0x7f800000, v149
	s_xor_b32 s2, exec_lo, s2
; %bb.45:
	v_bfe_u32 v132, v148, 16, 1
	s_delay_alu instid0(VALU_DEP_1)
	v_add3_u32 v132, v148, v132, 0x7fff
                                        ; implicit-def: $vgpr148
; %bb.46:
	s_and_not1_saveexec_b32 s2, s2
; %bb.47:
	v_and_b32_e32 v132, 0xffff, v148
	v_or_b32_e32 v133, 0x10000, v148
	s_delay_alu instid0(VALU_DEP_2) | instskip(NEXT) | instid1(VALU_DEP_2)
	v_cmp_eq_u32_e32 vcc_lo, 0, v132
	v_cndmask_b32_e32 v132, v133, v148, vcc_lo
; %bb.48:
	s_or_b32 exec_lo, exec_lo, s2
	v_and_b32_e32 v133, 0x7f800000, v134
	s_delay_alu instid0(VALU_DEP_1) | instskip(SKIP_1) | instid1(SALU_CYCLE_1)
	v_cmp_ne_u32_e32 vcc_lo, 0x7f800000, v133
                                        ; implicit-def: $vgpr133
	s_and_saveexec_b32 s2, vcc_lo
	s_xor_b32 s2, exec_lo, s2
; %bb.49:
	v_bfe_u32 v133, v134, 16, 1
	s_delay_alu instid0(VALU_DEP_1)
	v_add3_u32 v133, v134, v133, 0x7fff
                                        ; implicit-def: $vgpr134
; %bb.50:
	s_and_not1_saveexec_b32 s2, s2
; %bb.51:
	v_and_b32_e32 v133, 0xffff, v134
	v_or_b32_e32 v142, 0x10000, v134
	s_delay_alu instid0(VALU_DEP_2) | instskip(NEXT) | instid1(VALU_DEP_2)
	v_cmp_eq_u32_e32 vcc_lo, 0, v133
	v_cndmask_b32_e32 v133, v142, v134, vcc_lo
; %bb.52:
	s_or_b32 exec_lo, exec_lo, s2
	v_and_b32_e32 v134, 0x7f800000, v147
	s_delay_alu instid0(VALU_DEP_1) | instskip(SKIP_1) | instid1(SALU_CYCLE_1)
	v_cmp_ne_u32_e32 vcc_lo, 0x7f800000, v134
                                        ; implicit-def: $vgpr134
	s_and_saveexec_b32 s2, vcc_lo
	s_xor_b32 s2, exec_lo, s2
; %bb.53:
	v_bfe_u32 v134, v147, 16, 1
	s_delay_alu instid0(VALU_DEP_1)
	v_add3_u32 v134, v147, v134, 0x7fff
                                        ; implicit-def: $vgpr147
; %bb.54:
	s_and_not1_saveexec_b32 s2, s2
; %bb.55:
	v_and_b32_e32 v134, 0xffff, v147
	v_or_b32_e32 v142, 0x10000, v147
	s_delay_alu instid0(VALU_DEP_2) | instskip(NEXT) | instid1(VALU_DEP_2)
	v_cmp_eq_u32_e32 vcc_lo, 0, v134
	v_cndmask_b32_e32 v134, v142, v147, vcc_lo
; %bb.56:
	s_or_b32 exec_lo, exec_lo, s2
	v_and_b32_e32 v142, 0x7f800000, v146
	s_delay_alu instid0(VALU_DEP_1) | instskip(SKIP_1) | instid1(SALU_CYCLE_1)
	v_cmp_ne_u32_e32 vcc_lo, 0x7f800000, v142
                                        ; implicit-def: $vgpr142
	s_and_saveexec_b32 s2, vcc_lo
	s_xor_b32 s2, exec_lo, s2
; %bb.57:
	v_bfe_u32 v142, v146, 16, 1
	s_delay_alu instid0(VALU_DEP_1)
	v_add3_u32 v142, v146, v142, 0x7fff
                                        ; implicit-def: $vgpr146
; %bb.58:
	s_and_not1_saveexec_b32 s2, s2
; %bb.59:
	v_and_b32_e32 v142, 0xffff, v146
	v_or_b32_e32 v147, 0x10000, v146
	s_delay_alu instid0(VALU_DEP_2) | instskip(NEXT) | instid1(VALU_DEP_2)
	v_cmp_eq_u32_e32 vcc_lo, 0, v142
	v_cndmask_b32_e32 v142, v147, v146, vcc_lo
; %bb.60:
	s_or_b32 exec_lo, exec_lo, s2
	v_and_b32_e32 v146, 0x7f800000, v135
	s_delay_alu instid0(VALU_DEP_1) | instskip(SKIP_1) | instid1(SALU_CYCLE_1)
	v_cmp_ne_u32_e32 vcc_lo, 0x7f800000, v146
                                        ; implicit-def: $vgpr146
	s_and_saveexec_b32 s2, vcc_lo
	s_xor_b32 s2, exec_lo, s2
; %bb.61:
	v_bfe_u32 v146, v135, 16, 1
	s_delay_alu instid0(VALU_DEP_1)
	v_add3_u32 v146, v135, v146, 0x7fff
                                        ; implicit-def: $vgpr135
; %bb.62:
	s_and_not1_saveexec_b32 s2, s2
; %bb.63:
	v_and_b32_e32 v146, 0xffff, v135
	v_or_b32_e32 v147, 0x10000, v135
	s_delay_alu instid0(VALU_DEP_2) | instskip(NEXT) | instid1(VALU_DEP_2)
	v_cmp_eq_u32_e32 vcc_lo, 0, v146
	v_cndmask_b32_e32 v146, v147, v135, vcc_lo
; %bb.64:
	s_or_b32 exec_lo, exec_lo, s2
	v_and_b32_e32 v135, 0x7f800000, v136
	s_delay_alu instid0(VALU_DEP_1) | instskip(SKIP_1) | instid1(SALU_CYCLE_1)
	v_cmp_ne_u32_e32 vcc_lo, 0x7f800000, v135
                                        ; implicit-def: $vgpr135
	s_and_saveexec_b32 s2, vcc_lo
	s_xor_b32 s2, exec_lo, s2
; %bb.65:
	v_bfe_u32 v135, v136, 16, 1
	s_delay_alu instid0(VALU_DEP_1)
	v_add3_u32 v135, v136, v135, 0x7fff
                                        ; implicit-def: $vgpr136
; %bb.66:
	s_and_not1_saveexec_b32 s2, s2
; %bb.67:
	v_and_b32_e32 v135, 0xffff, v136
	v_or_b32_e32 v147, 0x10000, v136
	s_delay_alu instid0(VALU_DEP_2) | instskip(NEXT) | instid1(VALU_DEP_2)
	v_cmp_eq_u32_e32 vcc_lo, 0, v135
	v_cndmask_b32_e32 v135, v147, v136, vcc_lo
; %bb.68:
	s_or_b32 exec_lo, exec_lo, s2
	v_and_b32_e32 v136, 0x7f800000, v143
	s_delay_alu instid0(VALU_DEP_1) | instskip(SKIP_1) | instid1(SALU_CYCLE_1)
	v_cmp_ne_u32_e32 vcc_lo, 0x7f800000, v136
                                        ; implicit-def: $vgpr136
	s_and_saveexec_b32 s2, vcc_lo
	s_xor_b32 s2, exec_lo, s2
; %bb.69:
	v_bfe_u32 v136, v143, 16, 1
	s_delay_alu instid0(VALU_DEP_1)
	v_add3_u32 v136, v143, v136, 0x7fff
                                        ; implicit-def: $vgpr143
; %bb.70:
	s_and_not1_saveexec_b32 s2, s2
; %bb.71:
	v_and_b32_e32 v136, 0xffff, v143
	v_or_b32_e32 v147, 0x10000, v143
	s_delay_alu instid0(VALU_DEP_2) | instskip(NEXT) | instid1(VALU_DEP_2)
	v_cmp_eq_u32_e32 vcc_lo, 0, v136
	v_cndmask_b32_e32 v136, v147, v143, vcc_lo
; %bb.72:
	s_or_b32 exec_lo, exec_lo, s2
	v_and_b32_e32 v143, 0x7f800000, v145
	s_delay_alu instid0(VALU_DEP_1) | instskip(SKIP_1) | instid1(SALU_CYCLE_1)
	v_cmp_ne_u32_e32 vcc_lo, 0x7f800000, v143
                                        ; implicit-def: $vgpr143
	s_and_saveexec_b32 s2, vcc_lo
	s_xor_b32 s2, exec_lo, s2
; %bb.73:
	v_bfe_u32 v143, v145, 16, 1
	s_delay_alu instid0(VALU_DEP_1)
	v_add3_u32 v143, v145, v143, 0x7fff
                                        ; implicit-def: $vgpr145
; %bb.74:
	s_and_not1_saveexec_b32 s2, s2
; %bb.75:
	v_and_b32_e32 v143, 0xffff, v145
	v_or_b32_e32 v147, 0x10000, v145
	s_delay_alu instid0(VALU_DEP_2) | instskip(NEXT) | instid1(VALU_DEP_2)
	v_cmp_eq_u32_e32 vcc_lo, 0, v143
	v_cndmask_b32_e32 v143, v147, v145, vcc_lo
; %bb.76:
	s_or_b32 exec_lo, exec_lo, s2
	s_delay_alu instid0(VALU_DEP_1)
	v_perm_b32 v136, v143, v136, 0x7060302
	v_perm_b32 v135, v135, v146, 0x7060302
	;; [unrolled: 1-line block ×4, first 2 shown]
	v_lshl_or_b32 v145, v141, 11, v144
	v_lshlrev_b32_e32 v142, 2, v138
	ds_store_b128 v131, v[133:136] offset:1024
	s_waitcnt lgkmcnt(0)
	s_barrier
	buffer_gl0_inv
	ds_load_b128 v[132:135], v145
	ds_load_b128 v[147:150], v145 offset:16
	v_or_b32_e32 v143, 1, v142
	v_cmp_eq_u32_e64 s11, 1, v142
	v_cmp_eq_u32_e64 s10, 2, v142
	;; [unrolled: 1-line block ×3, first 2 shown]
	v_or_b32_e32 v141, 2, v142
	v_cmp_eq_u32_e64 s6, 1, v143
	v_cmp_eq_u32_e64 s5, 2, v143
	;; [unrolled: 1-line block ×8, first 2 shown]
	v_cmp_eq_u32_e32 vcc_lo, 5, v143
	v_cmp_eq_u32_e64 s9, 2, v141
	v_cmp_eq_u32_e64 s3, 6, v143
	;; [unrolled: 1-line block ×4, first 2 shown]
	s_waitcnt lgkmcnt(1)
	v_lshrrev_b32_e32 v136, 16, v132
	s_waitcnt lgkmcnt(0)
	v_lshrrev_b32_e32 v155, 16, v147
	v_lshrrev_b32_e32 v161, 16, v148
	;; [unrolled: 1-line block ×4, first 2 shown]
	v_cndmask_b32_e64 v146, v132, v136, s11
	v_cndmask_b32_e64 v151, v147, v155, s11
	v_cndmask_b32_e64 v152, v132, v136, s6
	v_cndmask_b32_e64 v153, v147, v155, s6
	v_lshrrev_b32_e32 v160, 16, v134
	v_cndmask_b32_e64 v146, v146, v133, s10
	v_cndmask_b32_e64 v151, v151, v148, s10
	;; [unrolled: 1-line block ×8, first 2 shown]
	v_lshrrev_b32_e32 v164, 16, v150
	v_cndmask_b32_e64 v153, v153, v161, s4
	v_cndmask_b32_e64 v146, v146, v134, s16
	;; [unrolled: 1-line block ×5, first 2 shown]
	v_lshrrev_b32_e32 v162, 16, v135
	v_cndmask_b32_e64 v146, v146, v160, s12
	v_cndmask_b32_e64 v151, v151, v163, s12
	v_cndmask_b32_e32 v152, v152, v160, vcc_lo
	v_cndmask_b32_e64 v153, v153, v149, s2
	v_cmp_eq_u32_e64 s18, 7, v143
	v_cndmask_b32_e64 v146, v146, v135, s13
	v_cndmask_b32_e64 v151, v151, v150, s13
	;; [unrolled: 1-line block ×4, first 2 shown]
	v_cmp_eq_u32_e64 s19, 4, v141
	v_cndmask_b32_e64 v165, v146, v162, s8
	v_cndmask_b32_e64 v166, v151, v164, s8
	;; [unrolled: 1-line block ×3, first 2 shown]
	v_or_b32_e32 v146, 3, v142
	v_cndmask_b32_e64 v167, v152, v162, s18
	v_cndmask_b32_e32 v156, v153, v163, vcc_lo
	v_cndmask_b32_e64 v158, v154, v134, s19
	v_cndmask_b32_e64 v157, v151, v148, s9
	ds_load_b128 v[151:154], v145 offset:1024
	v_cmp_eq_u32_e64 s20, 1, v146
	v_cmp_eq_u32_e64 s21, 5, v141
	;; [unrolled: 1-line block ×3, first 2 shown]
	v_cndmask_b32_e64 v157, v157, v161, s17
	v_cmp_eq_u32_e64 s23, 3, v146
	v_cndmask_b32_e64 v132, v132, v136, s20
	v_cndmask_b32_e64 v136, v156, v150, s3
	;; [unrolled: 1-line block ×5, first 2 shown]
	ds_load_b128 v[155:158], v145 offset:1040
	v_cndmask_b32_e64 v132, v132, v133, s22
	v_cmp_eq_u32_e64 s25, 4, v146
	v_cmp_eq_u32_e64 s27, 5, v146
	v_cndmask_b32_e64 v147, v147, v148, s22
	v_cmp_eq_u32_e64 s24, 6, v141
	v_cndmask_b32_e64 v132, v132, v159, s23
	;; [unrolled: 2-line block ×3, first 2 shown]
	v_cndmask_b32_e64 v147, v147, v161, s23
	s_waitcnt lgkmcnt(1)
	v_lshrrev_b32_e32 v159, 16, v151
	v_cndmask_b32_e64 v132, v132, v134, s25
	v_cndmask_b32_e64 v148, v168, v135, s24
	;; [unrolled: 1-line block ×6, first 2 shown]
	v_lshrrev_b32_e32 v160, 16, v152
	v_cndmask_b32_e64 v161, v151, v159, s6
	v_cndmask_b32_e64 v134, v134, v163, s27
	s_waitcnt lgkmcnt(0)
	v_lshrrev_b32_e32 v149, 16, v155
	v_cndmask_b32_e64 v147, v147, v152, s10
	v_cndmask_b32_e64 v132, v132, v135, s28
	v_cmp_eq_u32_e64 s26, 7, v141
	v_cndmask_b32_e64 v134, v134, v150, s28
	v_cndmask_b32_e64 v163, v155, v149, s11
	;; [unrolled: 1-line block ×4, first 2 shown]
	v_lshrrev_b32_e32 v161, 16, v156
	v_cndmask_b32_e64 v136, v136, v164, s18
	v_cndmask_b32_e64 v150, v163, v156, s10
	v_cmp_eq_u32_e64 s10, 7, v146
	v_cndmask_b32_e64 v147, v147, v160, s4
	v_cndmask_b32_e64 v135, v135, v153, s16
	v_lshrrev_b32_e32 v163, 16, v153
	v_cndmask_b32_e64 v150, v150, v161, s15
	v_cndmask_b32_e64 v132, v132, v162, s10
	;; [unrolled: 1-line block ×8, first 2 shown]
	v_lshrrev_b32_e32 v164, 16, v157
	v_perm_b32 v135, v134, v132, 0x5040100
	v_cndmask_b32_e32 v132, v147, v163, vcc_lo
	v_cndmask_b32_e64 v147, v162, v154, s13
	v_lshrrev_b32_e32 v162, 16, v154
	v_cndmask_b32_e64 v150, v150, v164, s12
	v_perm_b32 v134, v133, v148, 0x5040100
	v_cndmask_b32_e64 v132, v132, v154, s3
	v_perm_b32 v133, v136, v167, 0x5040100
	v_cndmask_b32_e64 v136, v147, v162, s8
	v_cndmask_b32_e64 v147, v150, v158, s13
	v_cndmask_b32_e64 v150, v151, v159, s20
	v_cndmask_b32_e64 v167, v132, v162, s18
	v_cndmask_b32_e64 v132, v151, v159, s7
	v_cndmask_b32_e64 v151, v155, v149, s20
	v_cndmask_b32_e64 v159, v155, v149, s7
	v_cndmask_b32_e64 v149, v155, v149, s6
	v_cndmask_b32_e64 v150, v150, v152, s22
	v_cndmask_b32_e64 v132, v132, v152, s9
	v_cndmask_b32_e64 v151, v151, v156, s22
	v_cndmask_b32_e64 v152, v159, v156, s9
	v_cndmask_b32_e64 v149, v149, v156, s5
	v_cndmask_b32_e64 v150, v150, v160, s23
	v_cndmask_b32_e64 v132, v132, v160, s17
	v_cndmask_b32_e64 v151, v151, v161, s23
	v_cndmask_b32_e64 v152, v152, v161, s17
	v_cndmask_b32_e64 v149, v149, v161, s4
	v_cndmask_b32_e64 v150, v150, v153, s25
	v_cndmask_b32_e64 v132, v132, v153, s19
	v_cndmask_b32_e64 v151, v151, v157, s25
	v_cndmask_b32_e64 v152, v152, v157, s19
	v_cndmask_b32_e64 v149, v149, v157, s2
	v_cndmask_b32_e64 v150, v150, v163, s27
	v_cndmask_b32_e64 v132, v132, v163, s21
	v_cndmask_b32_e64 v151, v151, v164, s27
	v_cndmask_b32_e64 v152, v152, v164, s21
	v_cndmask_b32_e32 v149, v149, v164, vcc_lo
	v_lshrrev_b32_e32 v148, 16, v158
	v_cndmask_b32_e64 v132, v132, v154, s24
	v_cndmask_b32_e64 v150, v150, v154, s28
	;; [unrolled: 1-line block ×11, first 2 shown]
	v_perm_b32 v132, v166, v165, 0x5040100
	v_perm_b32 v150, v151, v150, 0x5040100
	;; [unrolled: 1-line block ×5, first 2 shown]
	s_mul_i32 s7, s35, 14
	s_mov_b32 s2, exec_lo
	ds_store_b128 v131, v[132:135]
	ds_store_b128 v131, v[147:150] offset:1024
	v_cmpx_gt_u32_e32 14, v0
	s_cbranch_execz .LBB647_78
; %bb.77:
	s_mul_i32 s3, s7, s30
	s_load_b128 s[8:11], s[0:1], 0x58
	v_add3_u32 v133, s3, s29, v140
	s_delay_alu instid0(VALU_DEP_1) | instskip(NEXT) | instid1(VALU_DEP_1)
	v_mad_u64_u32 v[131:132], null, v133, s34, s[14:15]
	v_ashrrev_i32_e32 v132, 31, v131
	s_delay_alu instid0(VALU_DEP_1) | instskip(SKIP_1) | instid1(VALU_DEP_1)
	v_lshlrev_b64 v[131:132], 2, v[131:132]
	s_waitcnt lgkmcnt(0)
	v_add_co_u32 v133, vcc_lo, s10, v131
	s_delay_alu instid0(VALU_DEP_2)
	v_add_co_ci_u32_e32 v134, vcc_lo, s11, v132, vcc_lo
	v_add_co_u32 v131, vcc_lo, s8, v131
	v_add_co_ci_u32_e32 v132, vcc_lo, s9, v132, vcc_lo
	global_store_b32 v[133:134], v129, off
	global_store_b32 v[131:132], v130, off
.LBB647_78:
	s_or_b32 exec_lo, exec_lo, s2
	s_waitcnt lgkmcnt(0)
	s_waitcnt_vscnt null, 0x0
	s_barrier
	buffer_gl0_inv
	ds_load_b128 v[147:150], v144
	ds_load_b128 v[151:154], v144 offset:16
	ds_load_b128 v[159:162], v144 offset:1040
	;; [unrolled: 1-line block ×3, first 2 shown]
	v_mov_b32_e32 v129, 0
	ds_load_b128 v[167:170], v144 offset:2064
	ds_load_b128 v[163:166], v144 offset:2048
	;; [unrolled: 1-line block ×6, first 2 shown]
	v_mov_b32_e32 v130, v129
	v_mov_b32_e32 v131, v129
	;; [unrolled: 1-line block ×7, first 2 shown]
	s_waitcnt lgkmcnt(8)
	s_delay_alu instid0(VALU_DEP_1)
	v_wmma_f32_16x16x16_bf16 v[129:136], v[121:128], v[147:154], v[129:136]
	ds_load_b128 v[125:128], v144 offset:5136
	ds_load_b128 v[121:124], v144 offset:5120
	s_waitcnt lgkmcnt(8)
	v_wmma_f32_16x16x16_bf16 v[129:136], v[113:120], v[155:162], v[129:136]
	ds_load_b128 v[117:120], v144 offset:6160
	ds_load_b128 v[113:116], v144 offset:6144
	s_waitcnt lgkmcnt(8)
	;; [unrolled: 4-line block ×8, first 2 shown]
	v_wmma_f32_16x16x16_bf16 v[129:136], v[65:72], v[97:104], v[129:136]
	s_waitcnt lgkmcnt(6)
	s_delay_alu instid0(VALU_DEP_1)
	v_wmma_f32_16x16x16_bf16 v[129:136], v[49:56], v[89:96], v[129:136]
	ds_load_b128 v[53:56], v144 offset:13328
	ds_load_b128 v[49:52], v144 offset:13312
	s_waitcnt lgkmcnt(6)
	v_wmma_f32_16x16x16_bf16 v[129:136], v[41:48], v[81:88], v[129:136]
	ds_load_b128 v[45:48], v144 offset:14352
	ds_load_b128 v[41:44], v144 offset:14336
	s_waitcnt lgkmcnt(6)
	;; [unrolled: 4-line block ×3, first 2 shown]
	v_wmma_f32_16x16x16_bf16 v[129:136], v[1:8], v[57:64], v[129:136]
	s_waitcnt lgkmcnt(4)
	s_delay_alu instid0(VALU_DEP_1) | instskip(SKIP_1) | instid1(VALU_DEP_1)
	v_wmma_f32_16x16x16_bf16 v[129:136], v[25:32], v[49:56], v[129:136]
	s_waitcnt lgkmcnt(2)
	v_wmma_f32_16x16x16_bf16 v[129:136], v[33:40], v[41:48], v[129:136]
	s_waitcnt lgkmcnt(0)
	s_delay_alu instid0(VALU_DEP_1) | instskip(NEXT) | instid1(VALU_DEP_1)
	v_wmma_f32_16x16x16_bf16 v[129:136], v[9:16], v[17:24], v[129:136]
	v_and_b32_e32 v1, 0x7f800000, v129
	s_delay_alu instid0(VALU_DEP_1) | instskip(SKIP_1) | instid1(SALU_CYCLE_1)
	v_cmp_ne_u32_e32 vcc_lo, 0x7f800000, v1
                                        ; implicit-def: $vgpr1
	s_and_saveexec_b32 s2, vcc_lo
	s_xor_b32 s2, exec_lo, s2
; %bb.79:
	v_bfe_u32 v1, v129, 16, 1
	s_delay_alu instid0(VALU_DEP_1)
	v_add3_u32 v1, v129, v1, 0x7fff
; %bb.80:
	s_and_not1_saveexec_b32 s2, s2
; %bb.81:
	v_and_b32_e32 v1, 0xffff, v129
	v_or_b32_e32 v2, 0x10000, v129
	s_delay_alu instid0(VALU_DEP_2) | instskip(NEXT) | instid1(VALU_DEP_2)
	v_cmp_eq_u32_e32 vcc_lo, 0, v1
	v_cndmask_b32_e32 v1, v2, v129, vcc_lo
; %bb.82:
	s_or_b32 exec_lo, exec_lo, s2
	v_and_b32_e32 v2, 0x7f800000, v130
	s_delay_alu instid0(VALU_DEP_1) | instskip(SKIP_1) | instid1(SALU_CYCLE_1)
	v_cmp_ne_u32_e32 vcc_lo, 0x7f800000, v2
                                        ; implicit-def: $vgpr2
	s_and_saveexec_b32 s2, vcc_lo
	s_xor_b32 s2, exec_lo, s2
; %bb.83:
	v_bfe_u32 v2, v130, 16, 1
	s_delay_alu instid0(VALU_DEP_1)
	v_add3_u32 v2, v130, v2, 0x7fff
; %bb.84:
	s_and_not1_saveexec_b32 s2, s2
; %bb.85:
	v_and_b32_e32 v2, 0xffff, v130
	v_or_b32_e32 v3, 0x10000, v130
	s_delay_alu instid0(VALU_DEP_2) | instskip(NEXT) | instid1(VALU_DEP_2)
	v_cmp_eq_u32_e32 vcc_lo, 0, v2
	v_cndmask_b32_e32 v2, v3, v130, vcc_lo
; %bb.86:
	s_or_b32 exec_lo, exec_lo, s2
	v_and_b32_e32 v3, 0x7f800000, v131
	s_delay_alu instid0(VALU_DEP_1) | instskip(SKIP_1) | instid1(SALU_CYCLE_1)
	v_cmp_ne_u32_e32 vcc_lo, 0x7f800000, v3
                                        ; implicit-def: $vgpr3
	s_and_saveexec_b32 s2, vcc_lo
	s_xor_b32 s2, exec_lo, s2
; %bb.87:
	v_bfe_u32 v3, v131, 16, 1
	s_delay_alu instid0(VALU_DEP_1)
	v_add3_u32 v3, v131, v3, 0x7fff
; %bb.88:
	s_and_not1_saveexec_b32 s2, s2
; %bb.89:
	v_and_b32_e32 v3, 0xffff, v131
	v_or_b32_e32 v4, 0x10000, v131
	s_delay_alu instid0(VALU_DEP_2) | instskip(NEXT) | instid1(VALU_DEP_2)
	v_cmp_eq_u32_e32 vcc_lo, 0, v3
	v_cndmask_b32_e32 v3, v4, v131, vcc_lo
; %bb.90:
	s_or_b32 exec_lo, exec_lo, s2
	v_and_b32_e32 v4, 0x7f800000, v132
	s_delay_alu instid0(VALU_DEP_1) | instskip(SKIP_1) | instid1(SALU_CYCLE_1)
	v_cmp_ne_u32_e32 vcc_lo, 0x7f800000, v4
                                        ; implicit-def: $vgpr4
	s_and_saveexec_b32 s2, vcc_lo
	s_xor_b32 s2, exec_lo, s2
; %bb.91:
	v_bfe_u32 v4, v132, 16, 1
	s_delay_alu instid0(VALU_DEP_1)
	v_add3_u32 v4, v132, v4, 0x7fff
; %bb.92:
	s_and_not1_saveexec_b32 s2, s2
; %bb.93:
	v_and_b32_e32 v4, 0xffff, v132
	v_or_b32_e32 v5, 0x10000, v132
	s_delay_alu instid0(VALU_DEP_2) | instskip(NEXT) | instid1(VALU_DEP_2)
	v_cmp_eq_u32_e32 vcc_lo, 0, v4
	v_cndmask_b32_e32 v4, v5, v132, vcc_lo
; %bb.94:
	s_or_b32 exec_lo, exec_lo, s2
	v_and_b32_e32 v5, 0x7f800000, v133
	s_delay_alu instid0(VALU_DEP_1) | instskip(SKIP_1) | instid1(SALU_CYCLE_1)
	v_cmp_ne_u32_e32 vcc_lo, 0x7f800000, v5
                                        ; implicit-def: $vgpr5
	s_and_saveexec_b32 s2, vcc_lo
	s_xor_b32 s2, exec_lo, s2
; %bb.95:
	v_bfe_u32 v5, v133, 16, 1
	s_delay_alu instid0(VALU_DEP_1)
	v_add3_u32 v5, v133, v5, 0x7fff
; %bb.96:
	s_and_not1_saveexec_b32 s2, s2
; %bb.97:
	v_and_b32_e32 v5, 0xffff, v133
	v_or_b32_e32 v6, 0x10000, v133
	s_delay_alu instid0(VALU_DEP_2) | instskip(NEXT) | instid1(VALU_DEP_2)
	v_cmp_eq_u32_e32 vcc_lo, 0, v5
	v_cndmask_b32_e32 v5, v6, v133, vcc_lo
; %bb.98:
	s_or_b32 exec_lo, exec_lo, s2
	v_and_b32_e32 v6, 0x7f800000, v134
	s_delay_alu instid0(VALU_DEP_1) | instskip(SKIP_1) | instid1(SALU_CYCLE_1)
	v_cmp_ne_u32_e32 vcc_lo, 0x7f800000, v6
                                        ; implicit-def: $vgpr6
	s_and_saveexec_b32 s2, vcc_lo
	s_xor_b32 s2, exec_lo, s2
; %bb.99:
	v_bfe_u32 v6, v134, 16, 1
	s_delay_alu instid0(VALU_DEP_1)
	v_add3_u32 v6, v134, v6, 0x7fff
; %bb.100:
	s_and_not1_saveexec_b32 s2, s2
; %bb.101:
	v_and_b32_e32 v6, 0xffff, v134
	v_or_b32_e32 v7, 0x10000, v134
	s_delay_alu instid0(VALU_DEP_2) | instskip(NEXT) | instid1(VALU_DEP_2)
	v_cmp_eq_u32_e32 vcc_lo, 0, v6
	v_cndmask_b32_e32 v6, v7, v134, vcc_lo
; %bb.102:
	s_or_b32 exec_lo, exec_lo, s2
	v_and_b32_e32 v7, 0x7f800000, v135
	s_delay_alu instid0(VALU_DEP_1) | instskip(SKIP_1) | instid1(SALU_CYCLE_1)
	v_cmp_ne_u32_e32 vcc_lo, 0x7f800000, v7
                                        ; implicit-def: $vgpr7
	s_and_saveexec_b32 s2, vcc_lo
	s_xor_b32 s2, exec_lo, s2
; %bb.103:
	v_bfe_u32 v7, v135, 16, 1
	s_delay_alu instid0(VALU_DEP_1)
	v_add3_u32 v7, v135, v7, 0x7fff
; %bb.104:
	s_and_not1_saveexec_b32 s2, s2
; %bb.105:
	v_and_b32_e32 v7, 0xffff, v135
	v_or_b32_e32 v8, 0x10000, v135
	s_delay_alu instid0(VALU_DEP_2) | instskip(NEXT) | instid1(VALU_DEP_2)
	v_cmp_eq_u32_e32 vcc_lo, 0, v7
	v_cndmask_b32_e32 v7, v8, v135, vcc_lo
; %bb.106:
	s_or_b32 exec_lo, exec_lo, s2
	v_and_b32_e32 v8, 0x7f800000, v136
	s_delay_alu instid0(VALU_DEP_1) | instskip(SKIP_1) | instid1(SALU_CYCLE_1)
	v_cmp_ne_u32_e32 vcc_lo, 0x7f800000, v8
                                        ; implicit-def: $vgpr8
	s_and_saveexec_b32 s2, vcc_lo
	s_xor_b32 s2, exec_lo, s2
; %bb.107:
	v_bfe_u32 v8, v136, 16, 1
	s_delay_alu instid0(VALU_DEP_1)
	v_add3_u32 v8, v136, v8, 0x7fff
                                        ; implicit-def: $vgpr129_vgpr130_vgpr131_vgpr132_vgpr133_vgpr134_vgpr135_vgpr136
; %bb.108:
	s_and_not1_saveexec_b32 s2, s2
; %bb.109:
	v_and_b32_e32 v8, 0xffff, v136
	v_or_b32_e32 v9, 0x10000, v136
	s_delay_alu instid0(VALU_DEP_2) | instskip(NEXT) | instid1(VALU_DEP_2)
	v_cmp_eq_u32_e32 vcc_lo, 0, v8
	v_cndmask_b32_e32 v8, v9, v136, vcc_lo
; %bb.110:
	s_or_b32 exec_lo, exec_lo, s2
	s_delay_alu instid0(VALU_DEP_1)
	v_perm_b32 v7, v8, v7, 0x7060302
	v_perm_b32 v6, v6, v5, 0x7060302
	;; [unrolled: 1-line block ×4, first 2 shown]
	v_lshl_or_b32 v9, v138, 4, v145
	s_barrier
	buffer_gl0_inv
	v_cmp_eq_u32_e32 vcc_lo, 1, v142
	ds_store_b128 v9, v[4:7]
	s_waitcnt lgkmcnt(0)
	s_barrier
	buffer_gl0_inv
	ds_load_b128 v[1:4], v145
	ds_load_b128 v[5:8], v145 offset:16
	v_cmp_eq_u32_e64 s3, 2, v142
	v_cmp_eq_u32_e64 s2, 1, v143
	;; [unrolled: 1-line block ×5, first 2 shown]
	s_waitcnt lgkmcnt(1)
	v_lshrrev_b32_e32 v10, 16, v1
	s_waitcnt lgkmcnt(0)
	v_lshrrev_b32_e32 v14, 16, v5
	v_lshrrev_b32_e32 v15, 16, v6
	;; [unrolled: 1-line block ×4, first 2 shown]
	v_cndmask_b32_e64 v20, v1, v10, s2
	v_cndmask_b32_e32 v19, v5, v14, vcc_lo
	v_cndmask_b32_e64 v21, v5, v14, s2
	v_lshrrev_b32_e32 v16, 16, v7
	v_cmp_eq_u32_e64 s2, 1, v141
	v_lshrrev_b32_e32 v13, 16, v4
	v_cndmask_b32_e64 v19, v19, v6, s3
	v_lshrrev_b32_e32 v17, 16, v8
	s_delay_alu instid0(VALU_DEP_4) | instskip(SKIP_1) | instid1(VALU_DEP_4)
	v_cndmask_b32_e64 v22, v1, v10, s2
	v_cndmask_b32_e64 v23, v5, v14, s2
	;; [unrolled: 1-line block ×3, first 2 shown]
	v_cndmask_b32_e32 v18, v1, v10, vcc_lo
	v_cmp_eq_u32_e32 vcc_lo, 2, v143
	v_cmp_eq_u32_e64 s2, 2, v146
	v_cndmask_b32_e64 v22, v22, v2, s6
	v_cndmask_b32_e32 v20, v20, v2, vcc_lo
	v_cndmask_b32_e32 v21, v21, v6, vcc_lo
	v_cmp_eq_u32_e32 vcc_lo, 4, v142
	v_cndmask_b32_e32 v19, v19, v7, vcc_lo
	v_cndmask_b32_e64 v18, v18, v2, s3
	v_cmp_eq_u32_e64 s3, 3, v143
	s_delay_alu instid0(VALU_DEP_2) | instskip(NEXT) | instid1(VALU_DEP_2)
	v_cndmask_b32_e64 v18, v18, v11, s4
	v_cndmask_b32_e64 v21, v21, v15, s3
	v_cmp_eq_u32_e64 s4, 5, v142
	s_delay_alu instid0(VALU_DEP_3) | instskip(SKIP_1) | instid1(VALU_DEP_3)
	v_cndmask_b32_e32 v18, v18, v3, vcc_lo
	v_cmp_eq_u32_e32 vcc_lo, 4, v143
	v_cndmask_b32_e64 v19, v19, v16, s4
	s_delay_alu instid0(VALU_DEP_3) | instskip(SKIP_4) | instid1(VALU_DEP_3)
	v_cndmask_b32_e64 v18, v18, v12, s4
	v_cndmask_b32_e32 v21, v21, v7, vcc_lo
	v_cndmask_b32_e64 v20, v20, v11, s3
	v_cmp_eq_u32_e64 s3, 5, v143
	v_cmp_eq_u32_e64 s4, 6, v142
	v_cndmask_b32_e32 v20, v20, v3, vcc_lo
	s_delay_alu instid0(VALU_DEP_3) | instskip(SKIP_1) | instid1(VALU_DEP_4)
	v_cndmask_b32_e64 v21, v21, v16, s3
	v_cmp_eq_u32_e32 vcc_lo, 6, v143
	v_cndmask_b32_e64 v18, v18, v4, s4
	v_cndmask_b32_e64 v19, v19, v8, s4
	;; [unrolled: 1-line block ×3, first 2 shown]
	v_cmp_eq_u32_e64 s3, 1, v146
	v_cmp_eq_u32_e64 s4, 7, v142
	s_delay_alu instid0(VALU_DEP_3) | instskip(NEXT) | instid1(VALU_DEP_3)
	v_cndmask_b32_e32 v20, v20, v4, vcc_lo
	v_cndmask_b32_e64 v1, v1, v10, s3
	v_cndmask_b32_e64 v5, v5, v14, s3
	v_cmp_eq_u32_e64 s3, 3, v141
	v_cndmask_b32_e64 v14, v23, v6, s6
	v_cmp_eq_u32_e64 s6, 3, v146
	v_cndmask_b32_e64 v1, v1, v2, s2
	v_cndmask_b32_e64 v2, v5, v6, s2
	v_cndmask_b32_e64 v10, v22, v11, s3
	v_cmp_eq_u32_e64 s2, 4, v141
	v_cndmask_b32_e64 v6, v14, v15, s3
	v_cndmask_b32_e64 v1, v1, v11, s6
	v_cmp_eq_u32_e64 s3, 4, v146
	v_cndmask_b32_e64 v2, v2, v15, s6
	v_cndmask_b32_e64 v5, v10, v3, s2
	;; [unrolled: 3-line block ×3, first 2 shown]
	v_cndmask_b32_e64 v2, v2, v7, s3
	v_cmp_eq_u32_e64 s2, 5, v146
	v_cndmask_b32_e64 v5, v5, v12, s6
	v_cmp_eq_u32_e64 s3, 6, v141
	;; [unrolled: 2-line block ×3, first 2 shown]
	v_cndmask_b32_e64 v1, v1, v12, s2
	v_cndmask_b32_e64 v2, v2, v16, s2
	v_cndmask_b32_e64 v5, v5, v4, s3
	v_cndmask_b32_e64 v3, v3, v8, s3
	v_cmp_eq_u32_e64 s2, 7, v146
	v_cndmask_b32_e64 v1, v1, v4, s6
	v_cndmask_b32_e64 v2, v2, v8, s6
	v_cmp_eq_u32_e64 s3, 7, v141
	v_cndmask_b32_e32 v4, v21, v8, vcc_lo
	v_cndmask_b32_e64 v18, v18, v13, s4
	v_cndmask_b32_e64 v20, v20, v13, s5
	;; [unrolled: 1-line block ×8, first 2 shown]
	s_mov_b32 s2, exec_lo
	v_perm_b32 v4, v2, v1, 0x5040100
	v_perm_b32 v3, v3, v5, 0x5040100
	;; [unrolled: 1-line block ×4, first 2 shown]
	ds_store_b128 v9, v[1:4]
	s_waitcnt lgkmcnt(0)
	s_barrier
	buffer_gl0_inv
	v_cmpx_gt_u32_e32 32, v0
	s_cbranch_execz .LBB647_2
; %bb.111:
	s_load_b64 s[0:1], s[0:1], 0x68
	v_lshlrev_b32_e32 v0, 10, v0
	s_lshl_b32 s4, s34, 7
	v_or_b32_e32 v3, s29, v138
	s_mul_i32 s2, s4, s30
	v_lshlrev_b32_e32 v1, 4, v139
	v_lshlrev_b32_e32 v2, 6, v138
	v_and_b32_e32 v0, 0x3800, v0
	s_mul_i32 s2, s2, s7
	v_mul_lo_u32 v8, v3, s4
	s_ashr_i32 s3, s2, 31
	s_delay_alu instid0(SALU_CYCLE_1)
	s_lshl_b64 s[2:3], s[2:3], 1
	v_or3_b32 v16, v0, v1, v2
	ds_load_b128 v[0:3], v16
	ds_load_b128 v[4:7], v16 offset:128
	v_ashrrev_i32_e32 v9, 31, v8
	s_waitcnt lgkmcnt(0)
	s_add_u32 s2, s0, s2
	s_addc_u32 s3, s1, s3
	s_lshl_b32 s0, s14, 7
	s_delay_alu instid0(SALU_CYCLE_1) | instskip(SKIP_2) | instid1(SALU_CYCLE_1)
	s_ashr_i32 s1, s0, 31
	v_lshlrev_b64 v[9:10], 1, v[8:9]
	s_lshl_b64 s[0:1], s[0:1], 1
	s_add_u32 s0, s2, s0
	s_addc_u32 s1, s3, s1
	s_lshl_b32 s2, s34, 8
	v_add_co_u32 v30, s0, s0, v137
	v_add_nc_u32_e32 v11, s2, v8
	v_add_co_ci_u32_e64 v31, null, s1, 0, s0
	s_delay_alu instid0(VALU_DEP_3) | instskip(NEXT) | instid1(VALU_DEP_3)
	v_add_co_u32 v9, vcc_lo, v30, v9
	v_add_nc_u32_e32 v8, s2, v11
	s_delay_alu instid0(VALU_DEP_3) | instskip(SKIP_1) | instid1(VALU_DEP_3)
	v_add_co_ci_u32_e32 v10, vcc_lo, v31, v10, vcc_lo
	v_ashrrev_i32_e32 v12, 31, v11
	v_add_nc_u32_e32 v13, s2, v8
	global_store_b128 v[9:10], v[0:3], off
	v_ashrrev_i32_e32 v9, 31, v8
	v_lshlrev_b64 v[11:12], 1, v[11:12]
	v_ashrrev_i32_e32 v14, 31, v13
	v_add_nc_u32_e32 v10, s2, v13
	s_delay_alu instid0(VALU_DEP_4) | instskip(NEXT) | instid1(VALU_DEP_4)
	v_lshlrev_b64 v[2:3], 1, v[8:9]
	v_add_co_u32 v0, vcc_lo, v30, v11
	s_delay_alu instid0(VALU_DEP_4)
	v_lshlrev_b64 v[8:9], 1, v[13:14]
	v_add_co_ci_u32_e32 v1, vcc_lo, v31, v12, vcc_lo
	v_ashrrev_i32_e32 v11, 31, v10
	v_add_co_u32 v22, vcc_lo, v30, v2
	v_add_nc_u32_e32 v20, s2, v10
	v_add_co_ci_u32_e32 v23, vcc_lo, v31, v3, vcc_lo
	v_add_co_u32 v24, vcc_lo, v30, v8
	global_store_b128 v[0:1], v[4:7], off
	v_add_co_ci_u32_e32 v25, vcc_lo, v31, v9, vcc_lo
	ds_load_b128 v[0:3], v16 offset:256
	ds_load_b128 v[4:7], v16 offset:384
	v_lshlrev_b64 v[26:27], 1, v[10:11]
	ds_load_b128 v[8:11], v16 offset:512
	ds_load_b128 v[12:15], v16 offset:640
	;; [unrolled: 1-line block ×3, first 2 shown]
	v_add_nc_u32_e32 v28, s2, v20
	v_ashrrev_i32_e32 v21, 31, v20
	v_add_co_u32 v26, vcc_lo, v30, v26
	s_delay_alu instid0(VALU_DEP_3) | instskip(NEXT) | instid1(VALU_DEP_3)
	v_ashrrev_i32_e32 v29, 31, v28
	v_lshlrev_b64 v[20:21], 1, v[20:21]
	v_add_co_ci_u32_e32 v27, vcc_lo, v31, v27, vcc_lo
	s_delay_alu instid0(VALU_DEP_3) | instskip(NEXT) | instid1(VALU_DEP_3)
	v_lshlrev_b64 v[28:29], 1, v[28:29]
	v_add_co_u32 v20, vcc_lo, v30, v20
	s_delay_alu instid0(VALU_DEP_4) | instskip(NEXT) | instid1(VALU_DEP_3)
	v_add_co_ci_u32_e32 v21, vcc_lo, v31, v21, vcc_lo
	v_add_co_u32 v28, vcc_lo, v30, v28
	s_delay_alu instid0(VALU_DEP_4)
	v_add_co_ci_u32_e32 v29, vcc_lo, v31, v29, vcc_lo
	s_waitcnt lgkmcnt(4)
	global_store_b128 v[22:23], v[0:3], off
	s_waitcnt lgkmcnt(3)
	global_store_b128 v[24:25], v[4:7], off
	;; [unrolled: 2-line block ×5, first 2 shown]
	s_nop 0
	s_sendmsg sendmsg(MSG_DEALLOC_VGPRS)
	s_endpgm
	.section	.rodata,"a",@progbits
	.p2align	6, 0x0
	.amdhsa_kernel _Z39paged_attention_ll4mi_QKV_mfma16_kernelI14__hip_bfloat16S0_LN4vllm18Fp8KVCacheDataTypeE0ES0_Li16ELi128ELi256ELb1ELi14EL8MFMAType0EEvPKT_PKT0_S9_ifPKiSB_SB_iPKfiiiPfSE_PS4_PT2_iSD_SD_
		.amdhsa_group_segment_fixed_size 17472
		.amdhsa_private_segment_fixed_size 0
		.amdhsa_kernarg_size 400
		.amdhsa_user_sgpr_count 13
		.amdhsa_user_sgpr_dispatch_ptr 0
		.amdhsa_user_sgpr_queue_ptr 0
		.amdhsa_user_sgpr_kernarg_segment_ptr 1
		.amdhsa_user_sgpr_dispatch_id 0
		.amdhsa_user_sgpr_private_segment_size 0
		.amdhsa_wavefront_size32 1
		.amdhsa_uses_dynamic_stack 0
		.amdhsa_enable_private_segment 0
		.amdhsa_system_sgpr_workgroup_id_x 1
		.amdhsa_system_sgpr_workgroup_id_y 1
		.amdhsa_system_sgpr_workgroup_id_z 1
		.amdhsa_system_sgpr_workgroup_info 0
		.amdhsa_system_vgpr_workitem_id 0
		.amdhsa_next_free_vgpr 218
		.amdhsa_next_free_sgpr 50
		.amdhsa_reserve_vcc 1
		.amdhsa_float_round_mode_32 0
		.amdhsa_float_round_mode_16_64 0
		.amdhsa_float_denorm_mode_32 3
		.amdhsa_float_denorm_mode_16_64 3
		.amdhsa_dx10_clamp 1
		.amdhsa_ieee_mode 1
		.amdhsa_fp16_overflow 0
		.amdhsa_workgroup_processor_mode 1
		.amdhsa_memory_ordered 1
		.amdhsa_forward_progress 0
		.amdhsa_shared_vgpr_count 0
		.amdhsa_exception_fp_ieee_invalid_op 0
		.amdhsa_exception_fp_denorm_src 0
		.amdhsa_exception_fp_ieee_div_zero 0
		.amdhsa_exception_fp_ieee_overflow 0
		.amdhsa_exception_fp_ieee_underflow 0
		.amdhsa_exception_fp_ieee_inexact 0
		.amdhsa_exception_int_div_zero 0
	.end_amdhsa_kernel
	.section	.text._Z39paged_attention_ll4mi_QKV_mfma16_kernelI14__hip_bfloat16S0_LN4vllm18Fp8KVCacheDataTypeE0ES0_Li16ELi128ELi256ELb1ELi14EL8MFMAType0EEvPKT_PKT0_S9_ifPKiSB_SB_iPKfiiiPfSE_PS4_PT2_iSD_SD_,"axG",@progbits,_Z39paged_attention_ll4mi_QKV_mfma16_kernelI14__hip_bfloat16S0_LN4vllm18Fp8KVCacheDataTypeE0ES0_Li16ELi128ELi256ELb1ELi14EL8MFMAType0EEvPKT_PKT0_S9_ifPKiSB_SB_iPKfiiiPfSE_PS4_PT2_iSD_SD_,comdat
.Lfunc_end647:
	.size	_Z39paged_attention_ll4mi_QKV_mfma16_kernelI14__hip_bfloat16S0_LN4vllm18Fp8KVCacheDataTypeE0ES0_Li16ELi128ELi256ELb1ELi14EL8MFMAType0EEvPKT_PKT0_S9_ifPKiSB_SB_iPKfiiiPfSE_PS4_PT2_iSD_SD_, .Lfunc_end647-_Z39paged_attention_ll4mi_QKV_mfma16_kernelI14__hip_bfloat16S0_LN4vllm18Fp8KVCacheDataTypeE0ES0_Li16ELi128ELi256ELb1ELi14EL8MFMAType0EEvPKT_PKT0_S9_ifPKiSB_SB_iPKfiiiPfSE_PS4_PT2_iSD_SD_
                                        ; -- End function
	.section	.AMDGPU.csdata,"",@progbits
; Kernel info:
; codeLenInByte = 10396
; NumSgprs: 52
; NumVgprs: 218
; ScratchSize: 0
; MemoryBound: 0
; FloatMode: 240
; IeeeMode: 1
; LDSByteSize: 17472 bytes/workgroup (compile time only)
; SGPRBlocks: 6
; VGPRBlocks: 27
; NumSGPRsForWavesPerEU: 52
; NumVGPRsForWavesPerEU: 218
; Occupancy: 6
; WaveLimiterHint : 1
; COMPUTE_PGM_RSRC2:SCRATCH_EN: 0
; COMPUTE_PGM_RSRC2:USER_SGPR: 13
; COMPUTE_PGM_RSRC2:TRAP_HANDLER: 0
; COMPUTE_PGM_RSRC2:TGID_X_EN: 1
; COMPUTE_PGM_RSRC2:TGID_Y_EN: 1
; COMPUTE_PGM_RSRC2:TGID_Z_EN: 1
; COMPUTE_PGM_RSRC2:TIDIG_COMP_CNT: 0
	.section	.text._Z39paged_attention_ll4mi_QKV_mfma16_kernelI14__hip_bfloat16S0_LN4vllm18Fp8KVCacheDataTypeE0ES0_Li16ELi128ELi256ELb1ELi15EL8MFMAType0EEvPKT_PKT0_S9_ifPKiSB_SB_iPKfiiiPfSE_PS4_PT2_iSD_SD_,"axG",@progbits,_Z39paged_attention_ll4mi_QKV_mfma16_kernelI14__hip_bfloat16S0_LN4vllm18Fp8KVCacheDataTypeE0ES0_Li16ELi128ELi256ELb1ELi15EL8MFMAType0EEvPKT_PKT0_S9_ifPKiSB_SB_iPKfiiiPfSE_PS4_PT2_iSD_SD_,comdat
	.protected	_Z39paged_attention_ll4mi_QKV_mfma16_kernelI14__hip_bfloat16S0_LN4vllm18Fp8KVCacheDataTypeE0ES0_Li16ELi128ELi256ELb1ELi15EL8MFMAType0EEvPKT_PKT0_S9_ifPKiSB_SB_iPKfiiiPfSE_PS4_PT2_iSD_SD_ ; -- Begin function _Z39paged_attention_ll4mi_QKV_mfma16_kernelI14__hip_bfloat16S0_LN4vllm18Fp8KVCacheDataTypeE0ES0_Li16ELi128ELi256ELb1ELi15EL8MFMAType0EEvPKT_PKT0_S9_ifPKiSB_SB_iPKfiiiPfSE_PS4_PT2_iSD_SD_
	.globl	_Z39paged_attention_ll4mi_QKV_mfma16_kernelI14__hip_bfloat16S0_LN4vllm18Fp8KVCacheDataTypeE0ES0_Li16ELi128ELi256ELb1ELi15EL8MFMAType0EEvPKT_PKT0_S9_ifPKiSB_SB_iPKfiiiPfSE_PS4_PT2_iSD_SD_
	.p2align	8
	.type	_Z39paged_attention_ll4mi_QKV_mfma16_kernelI14__hip_bfloat16S0_LN4vllm18Fp8KVCacheDataTypeE0ES0_Li16ELi128ELi256ELb1ELi15EL8MFMAType0EEvPKT_PKT0_S9_ifPKiSB_SB_iPKfiiiPfSE_PS4_PT2_iSD_SD_,@function
_Z39paged_attention_ll4mi_QKV_mfma16_kernelI14__hip_bfloat16S0_LN4vllm18Fp8KVCacheDataTypeE0ES0_Li16ELi128ELi256ELb1ELi15EL8MFMAType0EEvPKT_PKT0_S9_ifPKiSB_SB_iPKfiiiPfSE_PS4_PT2_iSD_SD_: ; @_Z39paged_attention_ll4mi_QKV_mfma16_kernelI14__hip_bfloat16S0_LN4vllm18Fp8KVCacheDataTypeE0ES0_Li16ELi128ELi256ELb1ELi15EL8MFMAType0EEvPKT_PKT0_S9_ifPKiSB_SB_iPKfiiiPfSE_PS4_PT2_iSD_SD_
; %bb.0:
	s_load_b64 s[4:5], s[0:1], 0x30
	s_mov_b32 s30, s13
	s_waitcnt lgkmcnt(0)
	s_cmp_lg_u64 s[4:5], 0
	s_cselect_b32 s12, -1, 0
	s_ashr_i32 s31, s13, 31
	s_cmp_eq_u64 s[4:5], 0
	s_cbranch_scc1 .LBB648_3
; %bb.1:
	s_lshl_b64 s[2:3], s[30:31], 2
	s_delay_alu instid0(SALU_CYCLE_1) | instskip(SKIP_4) | instid1(SALU_CYCLE_1)
	s_add_u32 s2, s4, s2
	s_addc_u32 s3, s5, s3
	s_load_b64 s[2:3], s[2:3], 0x0
	s_waitcnt lgkmcnt(0)
	s_sub_i32 s2, s3, s2
	s_cmp_eq_u32 s2, 1
	s_cselect_b32 s2, -1, 0
	s_delay_alu instid0(SALU_CYCLE_1)
	s_and_not1_b32 vcc_lo, exec_lo, s2
	s_cbranch_vccz .LBB648_4
.LBB648_2:
	s_nop 0
	s_sendmsg sendmsg(MSG_DEALLOC_VGPRS)
	s_endpgm
.LBB648_3:
.LBB648_4:
	s_load_b64 s[2:3], s[0:1], 0x28
	s_lshl_b64 s[6:7], s[30:31], 2
	s_waitcnt lgkmcnt(0)
	s_add_u32 s2, s2, s6
	s_addc_u32 s3, s3, s7
	s_lshl_b32 s29, s14, 8
	s_load_b32 s28, s[2:3], 0x0
	s_waitcnt lgkmcnt(0)
	s_cmp_ge_i32 s29, s28
	s_cbranch_scc1 .LBB648_2
; %bb.5:
	s_clause 0x1
	s_load_b128 s[8:11], s[0:1], 0x8
	s_load_b64 s[2:3], s[0:1], 0x20
	s_and_not1_b32 vcc_lo, exec_lo, s12
	s_cbranch_vccnz .LBB648_7
; %bb.6:
	s_add_u32 s4, s4, s6
	s_addc_u32 s5, s5, s7
	s_load_b32 s12, s[4:5], 0x0
	s_branch .LBB648_8
.LBB648_7:
	s_mov_b32 s12, s30
.LBB648_8:
	s_load_b128 s[4:7], s[0:1], 0x48
	v_and_b32_e32 v140, 15, v0
	v_lshrrev_b32_e32 v141, 5, v0
	v_bfe_u32 v138, v0, 4, 1
	v_and_b32_e32 v142, 31, v0
	v_and_b32_e32 v139, 1, v0
	v_lshlrev_b32_e32 v2, 3, v140
	s_mul_i32 s31, s15, 15
	v_lshl_or_b32 v1, v141, 1, v138
	s_waitcnt lgkmcnt(0)
	s_mov_b32 s7, exec_lo
	v_lshlrev_b32_e32 v137, 1, v2
	s_delay_alu instid0(VALU_DEP_2)
	v_cmpx_gt_u32_e32 15, v1
	s_cbranch_execz .LBB648_10
; %bb.9:
	s_load_b64 s[16:17], s[0:1], 0x0
	v_add_lshl_u32 v2, v1, s31, 7
	s_mul_hi_i32 s13, s12, s4
	s_mul_i32 s12, s12, s4
	v_lshlrev_b32_e32 v6, 10, v140
	s_lshl_b64 s[12:13], s[12:13], 1
	v_ashrrev_i32_e32 v3, 31, v2
	v_lshlrev_b32_e32 v1, 6, v1
	v_lshlrev_b32_e32 v7, 10, v139
	v_and_b32_e32 v6, 0x3800, v6
	s_delay_alu instid0(VALU_DEP_4) | instskip(NEXT) | instid1(VALU_DEP_2)
	v_lshlrev_b64 v[2:3], 1, v[2:3]
	v_or3_b32 v1, v6, v7, v1
	s_waitcnt lgkmcnt(0)
	s_add_u32 s4, s16, s12
	s_addc_u32 s12, s17, s13
	s_delay_alu instid0(VALU_DEP_2) | instskip(SKIP_1) | instid1(VALU_DEP_2)
	v_add_co_u32 v2, vcc_lo, s4, v2
	v_add_co_ci_u32_e32 v3, vcc_lo, s12, v3, vcc_lo
	v_add_co_u32 v2, vcc_lo, v2, v137
	s_delay_alu instid0(VALU_DEP_2)
	v_add_co_ci_u32_e32 v3, vcc_lo, 0, v3, vcc_lo
	global_load_b128 v[2:5], v[2:3], off
	s_waitcnt vmcnt(0)
	ds_store_b128 v1, v[2:5]
.LBB648_10:
	s_or_b32 exec_lo, exec_lo, s7
	s_mov_b32 s36, 0
	s_add_i32 s4, s28, 15
	s_mov_b32 s37, s36
	s_mov_b32 s38, s36
	;; [unrolled: 1-line block ×7, first 2 shown]
	s_delay_alu instid0(SALU_CYCLE_1)
	v_dual_mov_b32 v136, s43 :: v_dual_and_b32 v1, 0xef, v0
	v_mov_b32_e32 v134, s41
	s_clause 0x1
	s_load_b32 s7, s[0:1], 0x38
	s_load_b32 s33, s[0:1], 0x1c
	v_add_nc_u32_e32 v1, s29, v1
	s_ashr_i32 s12, s4, 31
	s_waitcnt lgkmcnt(0)
	s_lshr_b32 s12, s12, 28
	s_barrier
	v_ashrrev_i32_e32 v2, 31, v1
	s_add_i32 s4, s4, s12
	v_cmp_gt_i32_e32 vcc_lo, s28, v1
	s_ashr_i32 s4, s4, 4
	v_mov_b32_e32 v132, s39
	v_lshrrev_b32_e32 v3, 28, v2
	v_or_b32_e32 v2, 16, v1
	s_add_i32 s4, s4, -1
	buffer_gl0_inv
	v_dual_mov_b32 v135, s42 :: v_dual_add_nc_u32 v4, v1, v3
	v_add_nc_u32_e32 v3, v2, v3
	v_mov_b32_e32 v133, s40
	s_mul_i32 s12, s30, s7
	v_mov_b32_e32 v131, s38
	v_ashrrev_i32_e32 v4, 4, v4
	v_ashrrev_i32_e32 v3, 4, v3
	s_ashr_i32 s13, s12, 31
	v_lshlrev_b32_e32 v106, 5, v140
	s_lshl_b64 s[12:13], s[12:13], 2
	v_cndmask_b32_e32 v1, s4, v4, vcc_lo
	v_cmp_gt_i32_e32 vcc_lo, s28, v2
	s_add_u32 s34, s2, s12
	s_addc_u32 s35, s3, s13
	s_mul_i32 s2, s15, s6
	v_ashrrev_i32_e32 v2, 31, v1
	v_cndmask_b32_e32 v3, s4, v3, vcc_lo
	s_ashr_i32 s3, s2, 31
	v_lshl_or_b32 v125, v141, 9, v106
	s_lshl_b64 s[2:3], s[2:3], 1
	v_lshlrev_b64 v[1:2], 2, v[1:2]
	v_ashrrev_i32_e32 v4, 31, v3
	s_add_u32 s22, s8, s2
	s_addc_u32 s23, s9, s3
	s_lshl_b32 s6, s14, 4
	v_mov_b32_e32 v129, s36
	v_lshlrev_b64 v[3:4], 2, v[3:4]
	v_add_co_u32 v1, vcc_lo, s34, v1
	v_add_co_ci_u32_e32 v2, vcc_lo, s35, v2, vcc_lo
	s_ashr_i32 s7, s6, 31
	s_delay_alu instid0(VALU_DEP_3) | instskip(NEXT) | instid1(VALU_DEP_4)
	v_add_co_u32 v3, vcc_lo, s34, v3
	v_add_co_ci_u32_e32 v4, vcc_lo, s35, v4, vcc_lo
	s_clause 0x1
	global_load_b32 v5, v[1:2], off
	global_load_b32 v6, v[3:4], off
	s_lshl_b64 s[6:7], s[6:7], 2
	v_dual_mov_b32 v130, s37 :: v_dual_lshlrev_b32 v3, 4, v0
	s_add_u32 s6, s34, s6
	s_addc_u32 s7, s35, s7
	s_or_b32 s8, s29, 16
	s_delay_alu instid0(SALU_CYCLE_1) | instskip(SKIP_2) | instid1(SALU_CYCLE_1)
	s_ashr_i32 s9, s8, 4
	s_cmp_lt_i32 s8, s28
	s_cselect_b32 s8, s9, s4
	s_ashr_i32 s9, s8, 31
	s_delay_alu instid0(SALU_CYCLE_1) | instskip(NEXT) | instid1(SALU_CYCLE_1)
	s_lshl_b64 s[8:9], s[8:9], 2
	s_add_u32 s8, s34, s8
	s_addc_u32 s9, s35, s9
	s_or_b32 s12, s29, 32
	s_delay_alu instid0(SALU_CYCLE_1) | instskip(SKIP_2) | instid1(SALU_CYCLE_1)
	s_ashr_i32 s13, s12, 4
	s_cmp_lt_i32 s12, s28
	s_cselect_b32 s12, s13, s4
	s_ashr_i32 s13, s12, 31
	s_delay_alu instid0(SALU_CYCLE_1) | instskip(NEXT) | instid1(SALU_CYCLE_1)
	s_lshl_b64 s[12:13], s[12:13], 2
	;; [unrolled: 10-line block ×5, first 2 shown]
	s_add_u32 s20, s34, s20
	s_addc_u32 s21, s35, s21
	s_clause 0x5
	s_load_b32 s6, s[6:7], 0x0
	s_load_b32 s8, s[8:9], 0x0
	;; [unrolled: 1-line block ×6, first 2 shown]
	s_waitcnt vmcnt(1)
	v_mad_i64_i32 v[1:2], null, v5, s5, 0
	v_and_b32_e32 v5, 0xf0, v3
	s_waitcnt vmcnt(0)
	v_mad_i64_i32 v[3:4], null, v6, s5, 0
	s_delay_alu instid0(VALU_DEP_2) | instskip(NEXT) | instid1(VALU_DEP_4)
	v_add_co_u32 v5, s7, s22, v5
	v_lshlrev_b64 v[1:2], 1, v[1:2]
	v_add_co_ci_u32_e64 v6, null, s23, 0, s7
	s_delay_alu instid0(VALU_DEP_4) | instskip(SKIP_1) | instid1(VALU_DEP_3)
	v_lshlrev_b64 v[3:4], 1, v[3:4]
	s_or_b32 s7, s29, 0x60
	v_add_co_u32 v121, vcc_lo, v5, v1
	s_delay_alu instid0(VALU_DEP_3) | instskip(NEXT) | instid1(VALU_DEP_3)
	v_add_co_ci_u32_e32 v122, vcc_lo, v6, v2, vcc_lo
	v_add_co_u32 v123, vcc_lo, v5, v3
	s_delay_alu instid0(VALU_DEP_4)
	v_add_co_ci_u32_e32 v124, vcc_lo, v6, v4, vcc_lo
	s_clause 0x19
	global_load_b128 v[89:92], v[121:122], off
	global_load_b128 v[93:96], v[121:122], off offset:256
	global_load_b128 v[97:100], v[123:124], off
	global_load_b128 v[101:104], v[123:124], off offset:256
	global_load_b128 v[81:84], v[121:122], off offset:512
	;; [unrolled: 1-line block ×23, first 2 shown]
	s_ashr_i32 s9, s7, 4
	s_cmp_lt_i32 s7, s28
	v_cmp_ne_u32_e32 vcc_lo, 15, v140
	s_cselect_b32 s20, s9, s4
	s_delay_alu instid0(SALU_CYCLE_1) | instskip(NEXT) | instid1(SALU_CYCLE_1)
	s_ashr_i32 s21, s20, 31
	s_lshl_b64 s[20:21], s[20:21], 2
	v_cndmask_b32_e32 v105, 0, v140, vcc_lo
	s_add_u32 s20, s34, s20
	s_addc_u32 s21, s35, s21
	s_or_b32 s7, s29, 0x70
	s_delay_alu instid0(SALU_CYCLE_1)
	s_ashr_i32 s9, s7, 4
	s_cmp_lt_i32 s7, s28
	v_lshlrev_b32_e32 v215, 6, v105
	s_cselect_b32 s22, s9, s4
	ds_load_b128 v[105:108], v215
	ds_load_b128 v[109:112], v215 offset:1024
	s_ashr_i32 s23, s22, 31
	ds_load_b128 v[113:116], v215 offset:2048
	ds_load_b128 v[117:120], v215 offset:3072
	;; [unrolled: 1-line block ×8, first 2 shown]
	s_clause 0x1
	global_load_b128 v[167:170], v[123:124], off offset:3072
	global_load_b128 v[171:174], v[123:124], off offset:3328
	s_lshl_b64 s[22:23], s[22:23], 2
	s_delay_alu instid0(SALU_CYCLE_1)
	s_add_u32 s22, s34, s22
	s_addc_u32 s23, s35, s23
	s_clause 0x1
	s_load_b32 s42, s[20:21], 0x0
	s_load_b32 s43, s[22:23], 0x0
	s_clause 0x3
	global_load_b128 v[175:178], v[121:122], off offset:3584
	global_load_b128 v[179:182], v[121:122], off offset:3840
	global_load_b128 v[183:186], v[123:124], off offset:3584
	global_load_b128 v[187:190], v[123:124], off offset:3840
	s_or_b32 s7, s29, 0x80
	s_delay_alu instid0(SALU_CYCLE_1) | instskip(SKIP_2) | instid1(SALU_CYCLE_1)
	s_ashr_i32 s9, s7, 4
	s_cmp_lt_i32 s7, s28
	s_cselect_b32 s24, s9, s4
	s_ashr_i32 s25, s24, 31
	s_delay_alu instid0(SALU_CYCLE_1) | instskip(NEXT) | instid1(SALU_CYCLE_1)
	s_lshl_b64 s[24:25], s[24:25], 2
	s_add_u32 s24, s34, s24
	s_addc_u32 s25, s35, s25
	s_or_b32 s7, s29, 0x90
	s_load_b32 s44, s[24:25], 0x0
	s_ashr_i32 s9, s7, 4
	s_cmp_lt_i32 s7, s28
	s_cselect_b32 s26, s9, s4
	s_delay_alu instid0(SALU_CYCLE_1) | instskip(NEXT) | instid1(SALU_CYCLE_1)
	s_ashr_i32 s27, s26, 31
	s_lshl_b64 s[26:27], s[26:27], 2
	s_delay_alu instid0(SALU_CYCLE_1) | instskip(SKIP_2) | instid1(SALU_CYCLE_1)
	s_add_u32 s26, s34, s26
	s_addc_u32 s27, s35, s27
	s_or_b32 s7, s29, 0xa0
	s_ashr_i32 s9, s7, 4
	s_cmp_lt_i32 s7, s28
	s_waitcnt lgkmcnt(0)
	s_mul_hi_i32 s7, s6, s5
	s_cselect_b32 s36, s9, s4
	s_mul_i32 s6, s6, s5
	s_ashr_i32 s37, s36, 31
	s_delay_alu instid0(SALU_CYCLE_1) | instskip(NEXT) | instid1(SALU_CYCLE_1)
	s_lshl_b64 s[36:37], s[36:37], 2
	s_add_u32 s36, s34, s36
	s_addc_u32 s37, s35, s37
	s_or_b32 s9, s29, 0xb0
	s_delay_alu instid0(SALU_CYCLE_1)
	s_ashr_i32 s13, s9, 4
	s_cmp_lt_i32 s9, s28
	s_mul_hi_i32 s9, s8, s5
	s_cselect_b32 s38, s13, s4
	s_mul_i32 s8, s8, s5
	s_ashr_i32 s39, s38, 31
	s_mul_hi_i32 s13, s12, s5
	s_lshl_b64 s[38:39], s[38:39], 2
	s_mul_i32 s12, s12, s5
	s_add_u32 s40, s34, s38
	s_addc_u32 s41, s35, s39
	s_or_b32 s17, s29, 0xc0
	s_delay_alu instid0(SALU_CYCLE_1)
	s_ashr_i32 s19, s17, 4
	s_cmp_lt_i32 s17, s28
	s_mul_hi_i32 s17, s16, s5
	s_cselect_b32 s38, s19, s4
	s_mul_i32 s16, s16, s5
	s_ashr_i32 s39, s38, 31
	s_mul_hi_i32 s19, s18, s5
	s_lshl_b64 s[38:39], s[38:39], 2
	s_mul_i32 s18, s18, s5
	s_add_u32 s22, s34, s38
	s_addc_u32 s23, s35, s39
	s_clause 0x1
	s_load_b32 s39, s[26:27], 0x0
	s_load_b32 s38, s[36:37], 0x0
	s_or_b32 s20, s29, 0xd0
	s_mul_hi_i32 s27, s44, s5
	s_ashr_i32 s21, s20, 4
	s_cmp_lt_i32 s20, s28
	s_mul_i32 s20, s15, s5
	s_cselect_b32 s24, s21, s4
	s_mul_hi_i32 s21, s15, s5
	s_ashr_i32 s25, s24, 31
	s_mul_i32 s26, s44, s5
	s_lshl_b64 s[24:25], s[24:25], 2
	s_delay_alu instid0(SALU_CYCLE_1)
	s_add_u32 s24, s34, s24
	s_addc_u32 s25, s35, s25
	s_or_b32 s45, s29, 0xe0
	s_clause 0x2
	s_load_b32 s37, s[40:41], 0x0
	s_load_b32 s36, s[22:23], 0x0
	;; [unrolled: 1-line block ×3, first 2 shown]
	s_ashr_i32 s46, s45, 4
	s_cmp_lt_i32 s45, s28
	s_mul_hi_i32 s23, s42, s5
	s_mul_i32 s22, s42, s5
	s_cselect_b32 s42, s46, s4
	s_mul_hi_i32 s25, s43, s5
	s_mul_i32 s24, s43, s5
	s_ashr_i32 s43, s42, 31
	s_waitcnt lgkmcnt(0)
	s_mul_hi_i32 s41, s39, s5
	s_lshl_b64 s[42:43], s[42:43], 2
	s_mul_i32 s40, s39, s5
	s_add_u32 s42, s34, s42
	s_addc_u32 s43, s35, s43
	s_or_b32 s44, s29, 0xf0
	s_mul_hi_i32 s39, s38, s5
	s_ashr_i32 s46, s44, 4
	s_cmp_lt_i32 s44, s28
	s_mul_i32 s38, s38, s5
	s_cselect_b32 s46, s46, s4
	s_mul_hi_i32 s49, s15, s5
	s_ashr_i32 s47, s46, 31
	s_mul_i32 s48, s15, s5
	s_lshl_b64 s[46:47], s[46:47], 2
	s_mul_hi_i32 s45, s37, s5
	s_add_u32 s34, s34, s46
	s_addc_u32 s35, s35, s47
	s_add_u32 s4, s10, s2
	s_addc_u32 s15, s11, s3
	v_add_co_u32 v216, s4, s4, v125
	s_delay_alu instid0(VALU_DEP_1) | instskip(SKIP_2) | instid1(VALU_DEP_2)
	v_add_co_ci_u32_e64 v217, null, s15, 0, s4
	s_lshl_b64 s[2:3], s[6:7], 1
	s_lshl_b64 s[6:7], s[8:9], 1
	v_add_co_u32 v125, vcc_lo, v216, s2
	s_delay_alu instid0(VALU_DEP_2)
	v_add_co_ci_u32_e32 v126, vcc_lo, s3, v217, vcc_lo
	v_add_co_u32 v199, vcc_lo, v216, s6
	s_lshl_b64 s[8:9], s[12:13], 1
	v_add_co_ci_u32_e32 v200, vcc_lo, s7, v217, vcc_lo
	s_lshl_b64 s[10:11], s[16:17], 1
	s_lshl_b64 s[12:13], s[18:19], 1
	;; [unrolled: 1-line block ×8, first 2 shown]
	s_mul_i32 s44, s37, s5
	s_mul_hi_i32 s37, s36, s5
	s_lshl_b64 s[38:39], s[44:45], 1
	s_mul_i32 s36, s36, s5
	s_clause 0x1
	s_load_b32 s4, s[42:43], 0x0
	s_load_b32 s15, s[34:35], 0x0
	s_lshl_b64 s[36:37], s[36:37], 1
	s_lshl_b64 s[40:41], s[48:49], 1
	s_waitcnt lgkmcnt(0)
	s_mul_hi_i32 s3, s4, s5
	s_mul_i32 s2, s4, s5
	s_mul_hi_i32 s7, s15, s5
	s_lshl_b64 s[2:3], s[2:3], 1
	s_mul_i32 s6, s15, s5
	s_waitcnt vmcnt(30)
	v_wmma_f32_16x16x16_bf16 v[191:198], v[89:96], v[105:112], v[129:136]
	v_add_co_u32 v89, vcc_lo, v216, s8
	v_add_co_ci_u32_e32 v90, vcc_lo, s9, v217, vcc_lo
	v_add_co_u32 v91, vcc_lo, v216, s10
	v_add_co_ci_u32_e32 v92, vcc_lo, s11, v217, vcc_lo
	;; [unrolled: 2-line block ×5, first 2 shown]
	v_add_co_u32 v205, vcc_lo, v216, s20
	s_waitcnt vmcnt(28)
	v_wmma_f32_16x16x16_bf16 v[129:136], v[97:104], v[105:112], v[129:136]
	v_add_co_ci_u32_e32 v206, vcc_lo, s21, v217, vcc_lo
	v_add_co_u32 v207, vcc_lo, v216, s22
	v_add_co_ci_u32_e32 v208, vcc_lo, s23, v217, vcc_lo
	v_add_co_u32 v209, vcc_lo, v216, s24
	s_waitcnt vmcnt(26)
	v_wmma_f32_16x16x16_bf16 v[191:198], v[81:88], v[113:120], v[191:198]
	s_waitcnt vmcnt(24)
	v_wmma_f32_16x16x16_bf16 v[129:136], v[73:80], v[113:120], v[129:136]
	v_add_co_ci_u32_e32 v210, vcc_lo, s25, v217, vcc_lo
	v_add_co_u32 v211, vcc_lo, v216, s26
	v_add_co_ci_u32_e32 v212, vcc_lo, s27, v217, vcc_lo
	v_add_co_u32 v213, vcc_lo, v216, s38
	s_waitcnt vmcnt(22)
	v_wmma_f32_16x16x16_bf16 v[191:198], v[65:72], v[143:150], v[191:198]
	s_waitcnt vmcnt(20)
	v_wmma_f32_16x16x16_bf16 v[129:136], v[57:64], v[143:150], v[129:136]
	v_add_co_ci_u32_e32 v214, vcc_lo, s39, v217, vcc_lo
	v_add_co_u32 v143, vcc_lo, v216, s36
	s_waitcnt vmcnt(18)
	v_wmma_f32_16x16x16_bf16 v[191:198], v[49:56], v[151:158], v[191:198]
	s_waitcnt vmcnt(16)
	v_wmma_f32_16x16x16_bf16 v[129:136], v[41:48], v[151:158], v[129:136]
	v_add_co_ci_u32_e32 v144, vcc_lo, s37, v217, vcc_lo
	s_clause 0x15
	global_load_b128 v[121:124], v[125:126], off
	global_load_b128 v[125:128], v[125:126], off offset:16
	global_load_b128 v[113:116], v[199:200], off
	global_load_b128 v[117:120], v[199:200], off offset:16
	;; [unrolled: 2-line block ×11, first 2 shown]
	s_waitcnt vmcnt(36)
	v_wmma_f32_16x16x16_bf16 v[191:198], v[17:24], v[159:166], v[191:198]
	s_clause 0x1
	global_load_b128 v[17:20], v[213:214], off
	global_load_b128 v[21:24], v[213:214], off offset:16
	s_waitcnt vmcnt(36)
	v_wmma_f32_16x16x16_bf16 v[129:136], v[1:8], v[159:166], v[129:136]
	s_clause 0x1
	global_load_b128 v[1:4], v[143:144], off
	global_load_b128 v[5:8], v[143:144], off offset:16
	ds_load_b128 v[143:146], v215 offset:10240
	ds_load_b128 v[147:150], v215 offset:11264
	;; [unrolled: 1-line block ×4, first 2 shown]
	v_add_co_u32 v199, vcc_lo, v216, s40
	v_add_co_ci_u32_e32 v200, vcc_lo, s41, v217, vcc_lo
	v_add_co_u32 v159, vcc_lo, v216, s2
	v_add_co_ci_u32_e32 v160, vcc_lo, s3, v217, vcc_lo
	s_lshl_b64 s[2:3], s[6:7], 1
	s_delay_alu instid0(SALU_CYCLE_1)
	v_add_co_u32 v161, vcc_lo, v216, s2
	v_add_co_ci_u32_e32 v162, vcc_lo, s3, v217, vcc_lo
	s_waitcnt vmcnt(36) lgkmcnt(2)
	v_wmma_f32_16x16x16_bf16 v[191:198], v[25:32], v[143:150], v[191:198]
	s_waitcnt vmcnt(34)
	v_wmma_f32_16x16x16_bf16 v[129:136], v[33:40], v[143:150], v[129:136]
	s_clause 0x3
	global_load_b128 v[25:28], v[199:200], off
	global_load_b128 v[29:32], v[199:200], off offset:16
	global_load_b128 v[33:36], v[159:160], off
	global_load_b128 v[37:40], v[159:160], off offset:16
	v_and_b32_e32 v143, 0xe0, v0
	v_mbcnt_lo_u32_b32 v159, -1, 0
	s_waitcnt vmcnt(36) lgkmcnt(0)
	v_wmma_f32_16x16x16_bf16 v[191:198], v[9:16], v[151:158], v[191:198]
	s_clause 0x1
	global_load_b128 v[9:12], v[161:162], off
	global_load_b128 v[13:16], v[161:162], off offset:16
	s_waitcnt vmcnt(36)
	v_wmma_f32_16x16x16_bf16 v[129:136], v[167:174], v[151:158], v[129:136]
	v_add_nc_u32_e32 v160, s29, v143
	ds_load_b128 v[143:146], v215 offset:14336
	ds_load_b128 v[147:150], v215 offset:15360
	v_xor_b32_e32 v151, 16, v159
	s_waitcnt vmcnt(0) lgkmcnt(0)
	s_barrier
	v_or_b32_e32 v152, v160, v138
	buffer_gl0_inv
	v_cmp_gt_i32_e32 vcc_lo, 32, v151
	v_or_b32_e32 v153, 2, v152
	v_or_b32_e32 v154, 4, v152
	;; [unrolled: 1-line block ×5, first 2 shown]
	v_cmp_gt_i32_e64 s2, s28, v153
	v_cmp_gt_i32_e64 s3, s28, v154
	;; [unrolled: 1-line block ×3, first 2 shown]
	v_or_b32_e32 v158, 12, v152
	v_cmp_gt_i32_e64 s5, s28, v156
	v_cmp_gt_i32_e64 s6, s28, v157
	v_wmma_f32_16x16x16_bf16 v[191:198], v[175:182], v[143:150], v[191:198]
	v_wmma_f32_16x16x16_bf16 v[129:136], v[183:190], v[143:150], v[129:136]
	v_cndmask_b32_e32 v151, v159, v151, vcc_lo
	v_cmp_gt_i32_e32 vcc_lo, s28, v152
	v_or_b32_e32 v159, 14, v152
	v_dual_mul_f32 v149, s33, v192 :: v_dual_mul_f32 v150, s33, v191
	v_dual_mul_f32 v147, s33, v194 :: v_dual_mul_f32 v148, s33, v193
	;; [unrolled: 1-line block ×3, first 2 shown]
	s_delay_alu instid0(VALU_DEP_3) | instskip(NEXT) | instid1(VALU_DEP_4)
	v_cndmask_b32_e32 v150, 0xff7fffff, v150, vcc_lo
	v_cndmask_b32_e64 v149, 0xff7fffff, v149, s2
	v_mul_f32_e32 v146, s33, v195
	v_cndmask_b32_e64 v148, 0xff7fffff, v148, s3
	v_cndmask_b32_e64 v147, 0xff7fffff, v147, s4
	v_or_b32_e32 v160, 16, v152
	v_max3_f32 v149, v150, 0xff7fffff, v149
	v_or_b32_e32 v161, 18, v152
	v_dual_mul_f32 v143, s33, v198 :: v_dual_mul_f32 v144, s33, v197
	v_cndmask_b32_e64 v146, 0xff7fffff, v146, s5
	v_cndmask_b32_e64 v145, 0xff7fffff, v145, s6
	v_max3_f32 v147, v149, v148, v147
	v_cmp_gt_i32_e64 s7, s28, v158
	v_cmp_gt_i32_e64 s8, s28, v159
	v_or_b32_e32 v162, 20, v152
	v_or_b32_e32 v163, 22, v152
	v_mul_f32_e32 v175, s33, v129
	v_cndmask_b32_e64 v144, 0xff7fffff, v144, s7
	v_cndmask_b32_e64 v143, 0xff7fffff, v143, s8
	v_max3_f32 v145, v147, v146, v145
	v_cmp_gt_i32_e64 s9, s28, v160
	v_cmp_gt_i32_e64 s10, s28, v161
	v_or_b32_e32 v164, 24, v152
	v_or_b32_e32 v165, 26, v152
	v_dual_mul_f32 v172, s33, v132 :: v_dual_mul_f32 v173, s33, v131
	v_cndmask_b32_e64 v146, 0xff7fffff, v175, s9
	v_cndmask_b32_e64 v147, 0xff7fffff, v174, s10
	v_max3_f32 v143, v145, v144, v143
	v_cmp_gt_i32_e64 s11, s28, v162
	v_cmp_gt_i32_e64 s12, s28, v163
	v_or_b32_e32 v166, 28, v152
	v_or_b32_e32 v167, 30, v152
	v_dual_mul_f32 v170, s33, v134 :: v_dual_mul_f32 v171, s33, v133
	v_cndmask_b32_e64 v144, 0xff7fffff, v173, s11
	v_cndmask_b32_e64 v145, 0xff7fffff, v172, s12
	v_max3_f32 v143, v143, v146, v147
	v_cmp_gt_i32_e64 s13, s28, v164
	v_cmp_gt_i32_e64 s15, s28, v165
	v_dual_mul_f32 v168, s33, v136 :: v_dual_mul_f32 v169, s33, v135
	s_delay_alu instid0(VALU_DEP_4) | instskip(NEXT) | instid1(VALU_DEP_4)
	v_max3_f32 v143, v143, v144, v145
	v_cndmask_b32_e64 v146, 0xff7fffff, v171, s13
	s_delay_alu instid0(VALU_DEP_4) | instskip(SKIP_3) | instid1(VALU_DEP_4)
	v_cndmask_b32_e64 v147, 0xff7fffff, v170, s15
	v_cmp_gt_i32_e64 s16, s28, v166
	v_cmp_gt_i32_e64 s17, s28, v167
	v_lshlrev_b32_e32 v154, 2, v151
	v_max3_f32 v143, v143, v146, v147
	s_delay_alu instid0(VALU_DEP_4) | instskip(NEXT) | instid1(VALU_DEP_4)
	v_cndmask_b32_e64 v144, 0xff7fffff, v169, s16
	v_cndmask_b32_e64 v145, 0xff7fffff, v168, s17
	s_delay_alu instid0(VALU_DEP_1) | instskip(SKIP_3) | instid1(VALU_DEP_1)
	v_max3_f32 v143, v143, v144, v145
	ds_bpermute_b32 v144, v154, v143
	s_waitcnt lgkmcnt(0)
	v_max_f32_e32 v144, v144, v144
	v_max_f32_e32 v153, v143, v144
	s_delay_alu instid0(VALU_DEP_1) | instskip(SKIP_4) | instid1(VALU_DEP_4)
	v_fma_f32 v143, s33, v191, -v153
	v_fma_f32 v144, s33, v192, -v153
	;; [unrolled: 1-line block ×5, first 2 shown]
	v_dual_mul_f32 v143, 0x3fb8aa3b, v143 :: v_dual_mul_f32 v144, 0x3fb8aa3b, v144
	s_delay_alu instid0(VALU_DEP_4) | instskip(SKIP_2) | instid1(VALU_DEP_4)
	v_mul_f32_e32 v130, 0x3fb8aa3b, v130
	v_fma_f32 v132, s33, v132, -v153
	v_mul_f32_e32 v145, 0x3fb8aa3b, v145
	v_exp_f32_e32 v143, v143
	v_exp_f32_e32 v147, v144
	v_fma_f32 v148, s33, v195, -v153
	v_mul_f32_e32 v132, 0x3fb8aa3b, v132
	v_mul_f32_e32 v146, 0x3fb8aa3b, v146
	v_exp_f32_e32 v145, v145
	v_fma_f32 v151, s33, v197, -v153
	v_mul_f32_e32 v148, 0x3fb8aa3b, v148
	v_fma_f32 v134, s33, v134, -v153
	v_exp_f32_e32 v149, v146
	v_cndmask_b32_e32 v144, 0, v143, vcc_lo
	v_fma_f32 v143, s33, v196, -v153
	v_cndmask_b32_e64 v146, 0, v147, s2
	v_exp_f32_e32 v148, v148
	s_delay_alu instid0(VALU_DEP_3) | instskip(NEXT) | instid1(VALU_DEP_3)
	v_dual_mul_f32 v151, 0x3fb8aa3b, v151 :: v_dual_add_f32 v150, 0, v144
	v_dual_mul_f32 v143, 0x3fb8aa3b, v143 :: v_dual_mul_f32 v134, 0x3fb8aa3b, v134
	v_cndmask_b32_e64 v147, 0, v145, s3
	s_delay_alu instid0(TRANS32_DEP_2) | instskip(NEXT) | instid1(VALU_DEP_4)
	v_cndmask_b32_e64 v149, 0, v149, s4
	v_add_f32_e32 v145, v150, v146
	v_fma_f32 v150, s33, v198, -v153
	v_exp_f32_e32 v143, v143
	v_fma_f32 v129, s33, v129, -v153
	v_exp_f32_e32 v155, v151
	s_delay_alu instid0(VALU_DEP_2) | instskip(SKIP_1) | instid1(VALU_DEP_3)
	v_dual_add_f32 v145, v145, v147 :: v_dual_mul_f32 v152, 0x3fb8aa3b, v150
	v_cndmask_b32_e64 v150, 0, v148, s5
	v_mul_f32_e32 v129, 0x3fb8aa3b, v129
	v_fma_f32 v131, s33, v131, -v153
	s_delay_alu instid0(VALU_DEP_4) | instskip(SKIP_1) | instid1(TRANS32_DEP_3)
	v_add_f32_e32 v145, v145, v149
	v_exp_f32_e32 v152, v152
	v_cndmask_b32_e64 v151, 0, v143, s6
	v_exp_f32_e32 v129, v129
	s_delay_alu instid0(TRANS32_DEP_3)
	v_cndmask_b32_e64 v148, 0, v155, s7
	v_add_f32_e32 v143, v145, v150
	v_mul_f32_e32 v131, 0x3fb8aa3b, v131
	v_exp_f32_e32 v130, v130
	v_fma_f32 v133, s33, v133, -v153
	v_fma_f32 v136, s33, v136, -v153
	v_add_f32_e32 v143, v143, v151
	v_cndmask_b32_e64 v152, 0, v152, s8
	v_exp_f32_e32 v145, v131
	v_cndmask_b32_e64 v131, 0, v129, s9
	v_mul_f32_e32 v133, 0x3fb8aa3b, v133
	v_add_f32_e32 v143, v143, v148
	v_cmp_gt_u32_e64 s2, 16, v142
	s_delay_alu instid0(VALU_DEP_2)
	v_add_f32_e32 v129, v143, v152
	v_exp_f32_e32 v143, v132
	v_cndmask_b32_e64 v132, 0, v130, s10
	v_fma_f32 v130, s33, v135, -v153
	v_exp_f32_e32 v135, v133
	v_add_f32_e32 v129, v129, v131
	v_cndmask_b32_e64 v133, 0, v145, s11
	v_exp_f32_e32 v145, v134
	s_delay_alu instid0(VALU_DEP_2) | instskip(NEXT) | instid1(TRANS32_DEP_3)
	v_dual_mul_f32 v130, 0x3fb8aa3b, v130 :: v_dual_add_f32 v129, v129, v132
	v_cndmask_b32_e64 v134, 0, v143, s12
	v_mul_f32_e32 v143, 0x3fb8aa3b, v136
	s_delay_alu instid0(VALU_DEP_3) | instskip(NEXT) | instid1(TRANS32_DEP_3)
	v_exp_f32_e32 v130, v130
	v_cndmask_b32_e64 v135, 0, v135, s13
	v_add_f32_e32 v129, v129, v133
	s_delay_alu instid0(TRANS32_DEP_2) | instskip(SKIP_1) | instid1(VALU_DEP_2)
	v_cndmask_b32_e64 v136, 0, v145, s15
	v_exp_f32_e32 v145, v143
	v_add_f32_e32 v129, v129, v134
	s_waitcnt_depctr 0xfff
	v_cndmask_b32_e64 v143, 0, v130, s16
	v_add_f32_e32 v129, v129, v135
	v_cndmask_b32_e64 v145, 0, v145, s17
	s_delay_alu instid0(VALU_DEP_2) | instskip(NEXT) | instid1(VALU_DEP_1)
	v_add_f32_e32 v129, v129, v136
	v_add_f32_e32 v129, v129, v143
	s_delay_alu instid0(VALU_DEP_1)
	v_add_f32_e32 v129, v129, v145
	ds_bpermute_b32 v130, v154, v129
	s_and_saveexec_b32 s3, s2
	s_cbranch_execz .LBB648_12
; %bb.11:
	v_mul_u32_u24_e32 v142, 0x44, v141
	s_waitcnt lgkmcnt(0)
	v_add_f32_e32 v129, v129, v130
	s_delay_alu instid0(VALU_DEP_2) | instskip(NEXT) | instid1(VALU_DEP_1)
	v_lshl_add_u32 v142, v140, 2, v142
	v_add_nc_u32_e32 v130, 0x4000, v142
	ds_store_2addr_b32 v130, v153, v129 offset1:136
.LBB648_12:
	s_or_b32 exec_lo, exec_lo, s3
	v_lshlrev_b32_e32 v129, 2, v140
	s_waitcnt lgkmcnt(0)
	s_barrier
	buffer_gl0_inv
	v_cmp_eq_u32_e64 s3, 1, v141
	v_add_nc_u32_e32 v142, 0x4000, v129
	ds_load_2addr_b32 v[153:154], v142 offset1:17
	ds_load_2addr_b32 v[155:156], v142 offset0:34 offset1:51
	ds_load_2addr_b32 v[157:158], v142 offset0:68 offset1:85
	;; [unrolled: 1-line block ×4, first 2 shown]
	s_waitcnt lgkmcnt(4)
	v_max3_f32 v129, v153, 0xff7fffff, v154
	s_waitcnt lgkmcnt(3)
	s_delay_alu instid0(VALU_DEP_1) | instskip(SKIP_1) | instid1(VALU_DEP_1)
	v_max3_f32 v129, v129, v155, v156
	s_waitcnt lgkmcnt(2)
	v_max3_f32 v129, v129, v157, v158
	s_waitcnt lgkmcnt(1)
	s_delay_alu instid0(VALU_DEP_1) | instskip(NEXT) | instid1(VALU_DEP_1)
	v_max3_f32 v129, v129, v159, v160
	v_sub_f32_e32 v163, v154, v129
	v_sub_f32_e32 v130, v153, v129
	ds_load_2addr_b32 v[153:154], v142 offset0:170 offset1:187
	v_sub_f32_e32 v155, v155, v129
	v_dual_mul_f32 v163, 0x3fb8aa3b, v163 :: v_dual_mul_f32 v130, 0x3fb8aa3b, v130
	s_delay_alu instid0(VALU_DEP_2) | instskip(NEXT) | instid1(VALU_DEP_2)
	v_mul_f32_e32 v165, 0x3fb8aa3b, v155
	v_exp_f32_e32 v163, v163
	s_delay_alu instid0(VALU_DEP_2)
	v_exp_f32_e32 v164, v130
	v_sub_f32_e32 v130, v156, v129
	ds_load_2addr_b32 v[155:156], v142 offset0:204 offset1:221
	v_exp_f32_e32 v165, v165
	v_mul_f32_e32 v166, 0x3fb8aa3b, v130
	s_waitcnt lgkmcnt(2)
	v_fma_f32 v130, v164, v161, 0
	v_sub_f32_e32 v157, v157, v129
	s_delay_alu instid0(VALU_DEP_3) | instskip(NEXT) | instid1(VALU_DEP_2)
	v_exp_f32_e32 v166, v166
	v_dual_sub_f32 v161, v158, v129 :: v_dual_fmac_f32 v130, v163, v162
	s_waitcnt lgkmcnt(1)
	s_waitcnt_depctr 0xfff
	v_fmac_f32_e32 v130, v165, v153
	v_mul_f32_e32 v167, 0x3fb8aa3b, v157
	ds_load_2addr_b32 v[157:158], v142 offset0:238 offset1:255
	v_sub_f32_e32 v142, v159, v129
	v_dual_sub_f32 v153, v160, v129 :: v_dual_fmac_f32 v130, v166, v154
	v_mul_f32_e32 v159, 0x3fb8aa3b, v161
	v_exp_f32_e32 v161, v167
	s_delay_alu instid0(VALU_DEP_2)
	v_dual_mul_f32 v142, 0x3fb8aa3b, v142 :: v_dual_mul_f32 v153, 0x3fb8aa3b, v153
	s_waitcnt lgkmcnt(0)
	s_barrier
	buffer_gl0_inv
	v_exp_f32_e32 v142, v142
	v_exp_f32_e32 v153, v153
	v_fmac_f32_e32 v130, v161, v155
	v_exp_f32_e32 v159, v159
	s_waitcnt_depctr 0xfff
	v_fmac_f32_e32 v130, v159, v156
	s_delay_alu instid0(VALU_DEP_1) | instskip(NEXT) | instid1(VALU_DEP_1)
	v_fmac_f32_e32 v130, v142, v157
	v_fmac_f32_e32 v130, v153, v158
	s_delay_alu instid0(VALU_DEP_1) | instskip(NEXT) | instid1(VALU_DEP_1)
	v_add_f32_e32 v154, 0x358637bd, v130
	v_div_scale_f32 v155, null, v154, v154, 1.0
	v_div_scale_f32 v158, vcc_lo, 1.0, v154, 1.0
	s_delay_alu instid0(VALU_DEP_2) | instskip(SKIP_2) | instid1(VALU_DEP_1)
	v_rcp_f32_e32 v156, v155
	s_waitcnt_depctr 0xfff
	v_fma_f32 v157, -v155, v156, 1.0
	v_fmac_f32_e32 v156, v157, v156
	v_cndmask_b32_e64 v157, v164, v163, s3
	v_cmp_eq_u32_e64 s3, 2, v141
	s_delay_alu instid0(VALU_DEP_3) | instskip(NEXT) | instid1(VALU_DEP_2)
	v_mul_f32_e32 v160, v158, v156
	v_cndmask_b32_e64 v157, v157, v165, s3
	v_cmp_eq_u32_e64 s3, 3, v141
	s_delay_alu instid0(VALU_DEP_3) | instskip(NEXT) | instid1(VALU_DEP_2)
	v_fma_f32 v162, -v155, v160, v158
	v_cndmask_b32_e64 v157, v157, v166, s3
	v_cmp_eq_u32_e64 s3, 4, v141
	s_delay_alu instid0(VALU_DEP_3) | instskip(NEXT) | instid1(VALU_DEP_2)
	v_fmac_f32_e32 v160, v162, v156
	v_cndmask_b32_e64 v157, v157, v161, s3
	s_delay_alu instid0(VALU_DEP_2) | instskip(SKIP_1) | instid1(VALU_DEP_2)
	v_fma_f32 v155, -v155, v160, v158
	v_cmp_eq_u32_e64 s3, 5, v141
	v_div_fmas_f32 v155, v155, v156, v160
	s_delay_alu instid0(VALU_DEP_2) | instskip(SKIP_2) | instid1(VALU_DEP_3)
	v_cndmask_b32_e64 v157, v157, v159, s3
	v_cmp_eq_u32_e32 vcc_lo, 6, v141
	s_mov_b32 s3, exec_lo
	v_div_fixup_f32 v154, v155, v154, 1.0
	s_delay_alu instid0(VALU_DEP_3) | instskip(SKIP_1) | instid1(VALU_DEP_2)
	v_cndmask_b32_e32 v142, v157, v142, vcc_lo
	v_cmp_eq_u32_e32 vcc_lo, 7, v141
	v_cndmask_b32_e32 v142, v142, v153, vcc_lo
	s_delay_alu instid0(VALU_DEP_1) | instskip(NEXT) | instid1(VALU_DEP_1)
	v_mul_f32_e32 v142, v142, v154
	v_mul_f32_e32 v153, v142, v149
	;; [unrolled: 1-line block ×7, first 2 shown]
	v_dual_mul_f32 v150, v142, v147 :: v_dual_and_b32 v155, 0x7f800000, v154
	v_mul_f32_e32 v149, v142, v146
                                        ; implicit-def: $vgpr146
	s_delay_alu instid0(VALU_DEP_2)
	v_cmpx_ne_u32_e32 0x7f800000, v155
	s_xor_b32 s3, exec_lo, s3
; %bb.13:
	v_bfe_u32 v146, v154, 16, 1
	s_delay_alu instid0(VALU_DEP_1)
	v_add3_u32 v146, v154, v146, 0x7fff
                                        ; implicit-def: $vgpr154
; %bb.14:
	s_and_not1_saveexec_b32 s3, s3
; %bb.15:
	v_and_b32_e32 v146, 0xffff, v154
	v_or_b32_e32 v147, 0x10000, v154
	s_delay_alu instid0(VALU_DEP_2) | instskip(NEXT) | instid1(VALU_DEP_2)
	v_cmp_eq_u32_e32 vcc_lo, 0, v146
	v_cndmask_b32_e32 v146, v147, v154, vcc_lo
; %bb.16:
	s_or_b32 exec_lo, exec_lo, s3
	v_and_b32_e32 v147, 0x7f800000, v149
	s_delay_alu instid0(VALU_DEP_1) | instskip(SKIP_1) | instid1(SALU_CYCLE_1)
	v_cmp_ne_u32_e32 vcc_lo, 0x7f800000, v147
                                        ; implicit-def: $vgpr147
	s_and_saveexec_b32 s3, vcc_lo
	s_xor_b32 s3, exec_lo, s3
; %bb.17:
	v_bfe_u32 v147, v149, 16, 1
	s_delay_alu instid0(VALU_DEP_1)
	v_add3_u32 v147, v149, v147, 0x7fff
                                        ; implicit-def: $vgpr149
; %bb.18:
	s_and_not1_saveexec_b32 s3, s3
; %bb.19:
	v_and_b32_e32 v147, 0xffff, v149
	v_or_b32_e32 v154, 0x10000, v149
	s_delay_alu instid0(VALU_DEP_2) | instskip(NEXT) | instid1(VALU_DEP_2)
	v_cmp_eq_u32_e32 vcc_lo, 0, v147
	v_cndmask_b32_e32 v147, v154, v149, vcc_lo
; %bb.20:
	s_or_b32 exec_lo, exec_lo, s3
	v_and_b32_e32 v149, 0x7f800000, v150
	s_delay_alu instid0(VALU_DEP_1) | instskip(SKIP_1) | instid1(SALU_CYCLE_1)
	v_cmp_ne_u32_e32 vcc_lo, 0x7f800000, v149
                                        ; implicit-def: $vgpr149
	s_and_saveexec_b32 s3, vcc_lo
	s_xor_b32 s3, exec_lo, s3
; %bb.21:
	v_bfe_u32 v149, v150, 16, 1
	s_delay_alu instid0(VALU_DEP_1)
	v_add3_u32 v149, v150, v149, 0x7fff
                                        ; implicit-def: $vgpr150
; %bb.22:
	s_and_not1_saveexec_b32 s3, s3
; %bb.23:
	v_and_b32_e32 v149, 0xffff, v150
	v_or_b32_e32 v154, 0x10000, v150
	s_delay_alu instid0(VALU_DEP_2) | instskip(NEXT) | instid1(VALU_DEP_2)
	v_cmp_eq_u32_e32 vcc_lo, 0, v149
	v_cndmask_b32_e32 v149, v154, v150, vcc_lo
; %bb.24:
	s_or_b32 exec_lo, exec_lo, s3
	v_and_b32_e32 v150, 0x7f800000, v153
	s_delay_alu instid0(VALU_DEP_1) | instskip(SKIP_1) | instid1(SALU_CYCLE_1)
	v_cmp_ne_u32_e32 vcc_lo, 0x7f800000, v150
                                        ; implicit-def: $vgpr150
	s_and_saveexec_b32 s3, vcc_lo
	s_xor_b32 s3, exec_lo, s3
; %bb.25:
	v_bfe_u32 v150, v153, 16, 1
	s_delay_alu instid0(VALU_DEP_1)
	v_add3_u32 v150, v153, v150, 0x7fff
                                        ; implicit-def: $vgpr153
; %bb.26:
	s_and_not1_saveexec_b32 s3, s3
; %bb.27:
	v_and_b32_e32 v150, 0xffff, v153
	v_or_b32_e32 v154, 0x10000, v153
	s_delay_alu instid0(VALU_DEP_2) | instskip(NEXT) | instid1(VALU_DEP_2)
	v_cmp_eq_u32_e32 vcc_lo, 0, v150
	v_cndmask_b32_e32 v150, v154, v153, vcc_lo
; %bb.28:
	s_or_b32 exec_lo, exec_lo, s3
	v_and_b32_e32 v153, 0x7f800000, v152
	s_delay_alu instid0(VALU_DEP_1) | instskip(SKIP_1) | instid1(SALU_CYCLE_1)
	v_cmp_ne_u32_e32 vcc_lo, 0x7f800000, v153
                                        ; implicit-def: $vgpr153
	s_and_saveexec_b32 s3, vcc_lo
	s_xor_b32 s3, exec_lo, s3
; %bb.29:
	v_bfe_u32 v153, v152, 16, 1
	s_delay_alu instid0(VALU_DEP_1)
	v_add3_u32 v153, v152, v153, 0x7fff
                                        ; implicit-def: $vgpr152
; %bb.30:
	s_and_not1_saveexec_b32 s3, s3
; %bb.31:
	v_and_b32_e32 v153, 0xffff, v152
	v_or_b32_e32 v154, 0x10000, v152
	s_delay_alu instid0(VALU_DEP_2) | instskip(NEXT) | instid1(VALU_DEP_2)
	v_cmp_eq_u32_e32 vcc_lo, 0, v153
	v_cndmask_b32_e32 v153, v154, v152, vcc_lo
; %bb.32:
	s_or_b32 exec_lo, exec_lo, s3
	v_and_b32_e32 v152, 0x7f800000, v151
	s_delay_alu instid0(VALU_DEP_1) | instskip(SKIP_1) | instid1(SALU_CYCLE_1)
	v_cmp_ne_u32_e32 vcc_lo, 0x7f800000, v152
                                        ; implicit-def: $vgpr152
	s_and_saveexec_b32 s3, vcc_lo
	s_xor_b32 s3, exec_lo, s3
; %bb.33:
	v_bfe_u32 v152, v151, 16, 1
	s_delay_alu instid0(VALU_DEP_1)
	v_add3_u32 v152, v151, v152, 0x7fff
                                        ; implicit-def: $vgpr151
; %bb.34:
	s_and_not1_saveexec_b32 s3, s3
; %bb.35:
	v_and_b32_e32 v152, 0xffff, v151
	v_or_b32_e32 v154, 0x10000, v151
	s_delay_alu instid0(VALU_DEP_2) | instskip(NEXT) | instid1(VALU_DEP_2)
	v_cmp_eq_u32_e32 vcc_lo, 0, v152
	v_cndmask_b32_e32 v152, v154, v151, vcc_lo
; %bb.36:
	s_or_b32 exec_lo, exec_lo, s3
	v_and_b32_e32 v151, 0x7f800000, v148
	s_delay_alu instid0(VALU_DEP_1) | instskip(SKIP_1) | instid1(SALU_CYCLE_1)
	v_cmp_ne_u32_e32 vcc_lo, 0x7f800000, v151
                                        ; implicit-def: $vgpr151
	s_and_saveexec_b32 s3, vcc_lo
	s_xor_b32 s3, exec_lo, s3
; %bb.37:
	v_bfe_u32 v151, v148, 16, 1
	s_delay_alu instid0(VALU_DEP_1)
	v_add3_u32 v151, v148, v151, 0x7fff
                                        ; implicit-def: $vgpr148
; %bb.38:
	s_and_not1_saveexec_b32 s3, s3
; %bb.39:
	v_and_b32_e32 v151, 0xffff, v148
	v_or_b32_e32 v154, 0x10000, v148
	s_delay_alu instid0(VALU_DEP_2) | instskip(NEXT) | instid1(VALU_DEP_2)
	v_cmp_eq_u32_e32 vcc_lo, 0, v151
	v_cndmask_b32_e32 v151, v154, v148, vcc_lo
; %bb.40:
	s_or_b32 exec_lo, exec_lo, s3
	v_and_b32_e32 v148, 0x7f800000, v144
	s_delay_alu instid0(VALU_DEP_1) | instskip(SKIP_1) | instid1(SALU_CYCLE_1)
	v_cmp_ne_u32_e32 vcc_lo, 0x7f800000, v148
                                        ; implicit-def: $vgpr148
	s_and_saveexec_b32 s3, vcc_lo
	s_xor_b32 s3, exec_lo, s3
; %bb.41:
	v_bfe_u32 v148, v144, 16, 1
	s_delay_alu instid0(VALU_DEP_1)
	v_add3_u32 v148, v144, v148, 0x7fff
                                        ; implicit-def: $vgpr144
; %bb.42:
	s_and_not1_saveexec_b32 s3, s3
; %bb.43:
	v_and_b32_e32 v148, 0xffff, v144
	v_or_b32_e32 v154, 0x10000, v144
	s_delay_alu instid0(VALU_DEP_2) | instskip(NEXT) | instid1(VALU_DEP_2)
	v_cmp_eq_u32_e32 vcc_lo, 0, v148
	v_cndmask_b32_e32 v148, v154, v144, vcc_lo
; %bb.44:
	s_or_b32 exec_lo, exec_lo, s3
	s_load_b64 s[34:35], s[0:1], 0x94
	v_lshlrev_b32_e32 v155, 4, v138
	s_delay_alu instid0(VALU_DEP_2)
	v_perm_b32 v154, v148, v151, 0x7060302
	v_mul_f32_e32 v148, v142, v131
	v_dual_mul_f32 v145, v142, v145 :: v_dual_lshlrev_b32 v144, 6, v140
	v_dual_mul_f32 v143, v142, v143 :: v_dual_lshlrev_b32 v156, 11, v141
	v_perm_b32 v153, v152, v153, 0x7060302
	v_perm_b32 v152, v150, v149, 0x7060302
	;; [unrolled: 1-line block ×3, first 2 shown]
	s_delay_alu instid0(VALU_DEP_4)
	v_or3_b32 v131, v155, v156, v144
	v_mul_f32_e32 v136, v142, v136
	v_dual_mul_f32 v146, v142, v134 :: v_dual_and_b32 v149, 0x7f800000, v148
	v_mul_f32_e32 v135, v142, v135
	v_mul_f32_e32 v147, v142, v133
	;; [unrolled: 1-line block ×3, first 2 shown]
	s_mov_b32 s3, exec_lo
	ds_store_b128 v131, v[151:154]
                                        ; implicit-def: $vgpr132
	v_cmpx_ne_u32_e32 0x7f800000, v149
	s_xor_b32 s3, exec_lo, s3
; %bb.45:
	v_bfe_u32 v132, v148, 16, 1
	s_delay_alu instid0(VALU_DEP_1)
	v_add3_u32 v132, v148, v132, 0x7fff
                                        ; implicit-def: $vgpr148
; %bb.46:
	s_and_not1_saveexec_b32 s3, s3
; %bb.47:
	v_and_b32_e32 v132, 0xffff, v148
	v_or_b32_e32 v133, 0x10000, v148
	s_delay_alu instid0(VALU_DEP_2) | instskip(NEXT) | instid1(VALU_DEP_2)
	v_cmp_eq_u32_e32 vcc_lo, 0, v132
	v_cndmask_b32_e32 v132, v133, v148, vcc_lo
; %bb.48:
	s_or_b32 exec_lo, exec_lo, s3
	v_and_b32_e32 v133, 0x7f800000, v134
	s_delay_alu instid0(VALU_DEP_1) | instskip(SKIP_1) | instid1(SALU_CYCLE_1)
	v_cmp_ne_u32_e32 vcc_lo, 0x7f800000, v133
                                        ; implicit-def: $vgpr133
	s_and_saveexec_b32 s3, vcc_lo
	s_xor_b32 s3, exec_lo, s3
; %bb.49:
	v_bfe_u32 v133, v134, 16, 1
	s_delay_alu instid0(VALU_DEP_1)
	v_add3_u32 v133, v134, v133, 0x7fff
                                        ; implicit-def: $vgpr134
; %bb.50:
	s_and_not1_saveexec_b32 s3, s3
; %bb.51:
	v_and_b32_e32 v133, 0xffff, v134
	v_or_b32_e32 v142, 0x10000, v134
	s_delay_alu instid0(VALU_DEP_2) | instskip(NEXT) | instid1(VALU_DEP_2)
	v_cmp_eq_u32_e32 vcc_lo, 0, v133
	v_cndmask_b32_e32 v133, v142, v134, vcc_lo
; %bb.52:
	s_or_b32 exec_lo, exec_lo, s3
	v_and_b32_e32 v134, 0x7f800000, v147
	s_delay_alu instid0(VALU_DEP_1) | instskip(SKIP_1) | instid1(SALU_CYCLE_1)
	v_cmp_ne_u32_e32 vcc_lo, 0x7f800000, v134
                                        ; implicit-def: $vgpr134
	s_and_saveexec_b32 s3, vcc_lo
	s_xor_b32 s3, exec_lo, s3
; %bb.53:
	v_bfe_u32 v134, v147, 16, 1
	s_delay_alu instid0(VALU_DEP_1)
	v_add3_u32 v134, v147, v134, 0x7fff
                                        ; implicit-def: $vgpr147
; %bb.54:
	s_and_not1_saveexec_b32 s3, s3
; %bb.55:
	v_and_b32_e32 v134, 0xffff, v147
	v_or_b32_e32 v142, 0x10000, v147
	s_delay_alu instid0(VALU_DEP_2) | instskip(NEXT) | instid1(VALU_DEP_2)
	v_cmp_eq_u32_e32 vcc_lo, 0, v134
	v_cndmask_b32_e32 v134, v142, v147, vcc_lo
; %bb.56:
	s_or_b32 exec_lo, exec_lo, s3
	v_and_b32_e32 v142, 0x7f800000, v146
	s_delay_alu instid0(VALU_DEP_1) | instskip(SKIP_1) | instid1(SALU_CYCLE_1)
	v_cmp_ne_u32_e32 vcc_lo, 0x7f800000, v142
                                        ; implicit-def: $vgpr142
	s_and_saveexec_b32 s3, vcc_lo
	s_xor_b32 s3, exec_lo, s3
; %bb.57:
	v_bfe_u32 v142, v146, 16, 1
	s_delay_alu instid0(VALU_DEP_1)
	v_add3_u32 v142, v146, v142, 0x7fff
                                        ; implicit-def: $vgpr146
; %bb.58:
	s_and_not1_saveexec_b32 s3, s3
; %bb.59:
	v_and_b32_e32 v142, 0xffff, v146
	v_or_b32_e32 v147, 0x10000, v146
	s_delay_alu instid0(VALU_DEP_2) | instskip(NEXT) | instid1(VALU_DEP_2)
	v_cmp_eq_u32_e32 vcc_lo, 0, v142
	v_cndmask_b32_e32 v142, v147, v146, vcc_lo
; %bb.60:
	s_or_b32 exec_lo, exec_lo, s3
	v_and_b32_e32 v146, 0x7f800000, v135
	s_delay_alu instid0(VALU_DEP_1) | instskip(SKIP_1) | instid1(SALU_CYCLE_1)
	v_cmp_ne_u32_e32 vcc_lo, 0x7f800000, v146
                                        ; implicit-def: $vgpr146
	s_and_saveexec_b32 s3, vcc_lo
	s_xor_b32 s3, exec_lo, s3
; %bb.61:
	v_bfe_u32 v146, v135, 16, 1
	s_delay_alu instid0(VALU_DEP_1)
	v_add3_u32 v146, v135, v146, 0x7fff
                                        ; implicit-def: $vgpr135
; %bb.62:
	s_and_not1_saveexec_b32 s3, s3
; %bb.63:
	v_and_b32_e32 v146, 0xffff, v135
	v_or_b32_e32 v147, 0x10000, v135
	s_delay_alu instid0(VALU_DEP_2) | instskip(NEXT) | instid1(VALU_DEP_2)
	v_cmp_eq_u32_e32 vcc_lo, 0, v146
	v_cndmask_b32_e32 v146, v147, v135, vcc_lo
; %bb.64:
	s_or_b32 exec_lo, exec_lo, s3
	v_and_b32_e32 v135, 0x7f800000, v136
	s_delay_alu instid0(VALU_DEP_1) | instskip(SKIP_1) | instid1(SALU_CYCLE_1)
	v_cmp_ne_u32_e32 vcc_lo, 0x7f800000, v135
                                        ; implicit-def: $vgpr135
	s_and_saveexec_b32 s3, vcc_lo
	s_xor_b32 s3, exec_lo, s3
; %bb.65:
	v_bfe_u32 v135, v136, 16, 1
	s_delay_alu instid0(VALU_DEP_1)
	v_add3_u32 v135, v136, v135, 0x7fff
                                        ; implicit-def: $vgpr136
; %bb.66:
	s_and_not1_saveexec_b32 s3, s3
; %bb.67:
	v_and_b32_e32 v135, 0xffff, v136
	v_or_b32_e32 v147, 0x10000, v136
	s_delay_alu instid0(VALU_DEP_2) | instskip(NEXT) | instid1(VALU_DEP_2)
	v_cmp_eq_u32_e32 vcc_lo, 0, v135
	v_cndmask_b32_e32 v135, v147, v136, vcc_lo
; %bb.68:
	s_or_b32 exec_lo, exec_lo, s3
	v_and_b32_e32 v136, 0x7f800000, v143
	s_delay_alu instid0(VALU_DEP_1) | instskip(SKIP_1) | instid1(SALU_CYCLE_1)
	v_cmp_ne_u32_e32 vcc_lo, 0x7f800000, v136
                                        ; implicit-def: $vgpr136
	s_and_saveexec_b32 s3, vcc_lo
	s_xor_b32 s3, exec_lo, s3
; %bb.69:
	v_bfe_u32 v136, v143, 16, 1
	s_delay_alu instid0(VALU_DEP_1)
	v_add3_u32 v136, v143, v136, 0x7fff
                                        ; implicit-def: $vgpr143
; %bb.70:
	s_and_not1_saveexec_b32 s3, s3
; %bb.71:
	v_and_b32_e32 v136, 0xffff, v143
	v_or_b32_e32 v147, 0x10000, v143
	s_delay_alu instid0(VALU_DEP_2) | instskip(NEXT) | instid1(VALU_DEP_2)
	v_cmp_eq_u32_e32 vcc_lo, 0, v136
	v_cndmask_b32_e32 v136, v147, v143, vcc_lo
; %bb.72:
	s_or_b32 exec_lo, exec_lo, s3
	v_and_b32_e32 v143, 0x7f800000, v145
	s_delay_alu instid0(VALU_DEP_1) | instskip(SKIP_1) | instid1(SALU_CYCLE_1)
	v_cmp_ne_u32_e32 vcc_lo, 0x7f800000, v143
                                        ; implicit-def: $vgpr143
	s_and_saveexec_b32 s3, vcc_lo
	s_xor_b32 s3, exec_lo, s3
; %bb.73:
	v_bfe_u32 v143, v145, 16, 1
	s_delay_alu instid0(VALU_DEP_1)
	v_add3_u32 v143, v145, v143, 0x7fff
                                        ; implicit-def: $vgpr145
; %bb.74:
	s_and_not1_saveexec_b32 s3, s3
; %bb.75:
	v_and_b32_e32 v143, 0xffff, v145
	v_or_b32_e32 v147, 0x10000, v145
	s_delay_alu instid0(VALU_DEP_2) | instskip(NEXT) | instid1(VALU_DEP_2)
	v_cmp_eq_u32_e32 vcc_lo, 0, v143
	v_cndmask_b32_e32 v143, v147, v145, vcc_lo
; %bb.76:
	s_or_b32 exec_lo, exec_lo, s3
	s_delay_alu instid0(VALU_DEP_1)
	v_perm_b32 v136, v143, v136, 0x7060302
	v_perm_b32 v135, v135, v146, 0x7060302
	;; [unrolled: 1-line block ×4, first 2 shown]
	v_lshl_or_b32 v145, v141, 11, v144
	v_lshlrev_b32_e32 v142, 2, v138
	ds_store_b128 v131, v[133:136] offset:1024
	s_waitcnt lgkmcnt(0)
	s_barrier
	buffer_gl0_inv
	ds_load_b128 v[132:135], v145
	ds_load_b128 v[147:150], v145 offset:16
	v_or_b32_e32 v143, 1, v142
	v_cmp_eq_u32_e64 s12, 1, v142
	v_cmp_eq_u32_e64 s11, 2, v142
	;; [unrolled: 1-line block ×3, first 2 shown]
	v_or_b32_e32 v141, 2, v142
	v_cmp_eq_u32_e64 s7, 1, v143
	v_cmp_eq_u32_e64 s6, 2, v143
	;; [unrolled: 1-line block ×8, first 2 shown]
	v_cmp_eq_u32_e32 vcc_lo, 5, v143
	v_cmp_eq_u32_e64 s10, 2, v141
	v_cmp_eq_u32_e64 s4, 6, v143
	;; [unrolled: 1-line block ×4, first 2 shown]
	s_waitcnt lgkmcnt(1)
	v_lshrrev_b32_e32 v136, 16, v132
	s_waitcnt lgkmcnt(0)
	v_lshrrev_b32_e32 v155, 16, v147
	v_lshrrev_b32_e32 v161, 16, v148
	;; [unrolled: 1-line block ×4, first 2 shown]
	v_cndmask_b32_e64 v146, v132, v136, s12
	v_cndmask_b32_e64 v151, v147, v155, s12
	;; [unrolled: 1-line block ×4, first 2 shown]
	v_lshrrev_b32_e32 v160, 16, v134
	v_cndmask_b32_e64 v146, v146, v133, s11
	v_cndmask_b32_e64 v151, v151, v148, s11
	;; [unrolled: 1-line block ×8, first 2 shown]
	v_lshrrev_b32_e32 v164, 16, v150
	v_cndmask_b32_e64 v153, v153, v161, s5
	v_cndmask_b32_e64 v146, v146, v134, s17
	;; [unrolled: 1-line block ×5, first 2 shown]
	v_lshrrev_b32_e32 v162, 16, v135
	v_cndmask_b32_e64 v146, v146, v160, s13
	v_cndmask_b32_e64 v151, v151, v163, s13
	v_cndmask_b32_e32 v152, v152, v160, vcc_lo
	v_cndmask_b32_e64 v153, v153, v149, s3
	v_cmp_eq_u32_e64 s19, 7, v143
	v_cndmask_b32_e64 v146, v146, v135, s15
	v_cndmask_b32_e64 v151, v151, v150, s15
	;; [unrolled: 1-line block ×4, first 2 shown]
	v_cmp_eq_u32_e64 s20, 4, v141
	v_cndmask_b32_e64 v165, v146, v162, s9
	v_cndmask_b32_e64 v166, v151, v164, s9
	;; [unrolled: 1-line block ×3, first 2 shown]
	v_or_b32_e32 v146, 3, v142
	v_cndmask_b32_e64 v167, v152, v162, s19
	v_cndmask_b32_e32 v156, v153, v163, vcc_lo
	v_cndmask_b32_e64 v158, v154, v134, s20
	v_cndmask_b32_e64 v157, v151, v148, s10
	ds_load_b128 v[151:154], v145 offset:1024
	v_cmp_eq_u32_e64 s21, 1, v146
	v_cmp_eq_u32_e64 s22, 5, v141
	;; [unrolled: 1-line block ×3, first 2 shown]
	v_cndmask_b32_e64 v157, v157, v161, s18
	v_cmp_eq_u32_e64 s24, 3, v146
	v_cndmask_b32_e64 v132, v132, v136, s21
	v_cndmask_b32_e64 v136, v156, v150, s4
	;; [unrolled: 1-line block ×5, first 2 shown]
	ds_load_b128 v[155:158], v145 offset:1040
	v_cndmask_b32_e64 v132, v132, v133, s23
	v_cmp_eq_u32_e64 s26, 4, v146
	v_cmp_eq_u32_e64 s28, 5, v146
	v_cndmask_b32_e64 v147, v147, v148, s23
	v_cmp_eq_u32_e64 s25, 6, v141
	v_cndmask_b32_e64 v132, v132, v159, s24
	;; [unrolled: 2-line block ×3, first 2 shown]
	v_cndmask_b32_e64 v147, v147, v161, s24
	s_waitcnt lgkmcnt(1)
	v_lshrrev_b32_e32 v159, 16, v151
	v_cndmask_b32_e64 v132, v132, v134, s26
	v_cndmask_b32_e64 v148, v168, v135, s25
	;; [unrolled: 1-line block ×6, first 2 shown]
	v_lshrrev_b32_e32 v160, 16, v152
	v_cndmask_b32_e64 v161, v151, v159, s7
	v_cndmask_b32_e64 v134, v134, v163, s28
	s_waitcnt lgkmcnt(0)
	v_lshrrev_b32_e32 v149, 16, v155
	v_cndmask_b32_e64 v147, v147, v152, s11
	v_cndmask_b32_e64 v132, v132, v135, s29
	v_cmp_eq_u32_e64 s27, 7, v141
	v_cndmask_b32_e64 v134, v134, v150, s29
	v_cndmask_b32_e64 v163, v155, v149, s12
	;; [unrolled: 1-line block ×4, first 2 shown]
	v_lshrrev_b32_e32 v161, 16, v156
	v_cndmask_b32_e64 v136, v136, v164, s19
	v_cndmask_b32_e64 v150, v163, v156, s11
	v_cmp_eq_u32_e64 s11, 7, v146
	v_cndmask_b32_e64 v147, v147, v160, s5
	v_cndmask_b32_e64 v135, v135, v153, s17
	v_lshrrev_b32_e32 v163, 16, v153
	v_cndmask_b32_e64 v150, v150, v161, s16
	v_cndmask_b32_e64 v132, v132, v162, s11
	;; [unrolled: 1-line block ×8, first 2 shown]
	v_lshrrev_b32_e32 v164, 16, v157
	v_perm_b32 v135, v134, v132, 0x5040100
	v_cndmask_b32_e32 v132, v147, v163, vcc_lo
	v_cndmask_b32_e64 v147, v162, v154, s15
	v_lshrrev_b32_e32 v162, 16, v154
	v_cndmask_b32_e64 v150, v150, v164, s13
	v_perm_b32 v134, v133, v148, 0x5040100
	v_cndmask_b32_e64 v132, v132, v154, s4
	v_perm_b32 v133, v136, v167, 0x5040100
	v_cndmask_b32_e64 v136, v147, v162, s9
	v_cndmask_b32_e64 v147, v150, v158, s15
	;; [unrolled: 1-line block ×27, first 2 shown]
	v_cndmask_b32_e32 v149, v149, v164, vcc_lo
	v_lshrrev_b32_e32 v148, 16, v158
	v_cndmask_b32_e64 v132, v132, v154, s25
	v_cndmask_b32_e64 v150, v150, v154, s29
	;; [unrolled: 1-line block ×11, first 2 shown]
	v_perm_b32 v132, v166, v165, 0x5040100
	v_perm_b32 v150, v151, v150, 0x5040100
	;; [unrolled: 1-line block ×5, first 2 shown]
	s_mul_i32 s8, s35, 15
	s_mov_b32 s3, exec_lo
	ds_store_b128 v131, v[132:135]
	ds_store_b128 v131, v[147:150] offset:1024
	v_cmpx_gt_u32_e32 15, v0
	s_cbranch_execz .LBB648_78
; %bb.77:
	s_mul_i32 s4, s8, s30
	s_delay_alu instid0(SALU_CYCLE_1) | instskip(SKIP_1) | instid1(VALU_DEP_1)
	v_add3_u32 v133, s4, s31, v140
	s_load_b128 s[4:7], s[0:1], 0x58
	v_mad_u64_u32 v[131:132], null, v133, s34, s[14:15]
	s_delay_alu instid0(VALU_DEP_1) | instskip(NEXT) | instid1(VALU_DEP_1)
	v_ashrrev_i32_e32 v132, 31, v131
	v_lshlrev_b64 v[131:132], 2, v[131:132]
	s_waitcnt lgkmcnt(0)
	s_delay_alu instid0(VALU_DEP_1) | instskip(NEXT) | instid1(VALU_DEP_2)
	v_add_co_u32 v133, vcc_lo, s6, v131
	v_add_co_ci_u32_e32 v134, vcc_lo, s7, v132, vcc_lo
	v_add_co_u32 v131, vcc_lo, s4, v131
	v_add_co_ci_u32_e32 v132, vcc_lo, s5, v132, vcc_lo
	global_store_b32 v[133:134], v129, off
	global_store_b32 v[131:132], v130, off
.LBB648_78:
	s_or_b32 exec_lo, exec_lo, s3
	s_waitcnt lgkmcnt(0)
	s_waitcnt_vscnt null, 0x0
	s_barrier
	buffer_gl0_inv
	ds_load_b128 v[147:150], v144
	ds_load_b128 v[151:154], v144 offset:16
	ds_load_b128 v[159:162], v144 offset:1040
	;; [unrolled: 1-line block ×3, first 2 shown]
	v_mov_b32_e32 v129, 0
	ds_load_b128 v[167:170], v144 offset:2064
	ds_load_b128 v[163:166], v144 offset:2048
	;; [unrolled: 1-line block ×6, first 2 shown]
	v_mov_b32_e32 v130, v129
	v_mov_b32_e32 v131, v129
	;; [unrolled: 1-line block ×7, first 2 shown]
	s_waitcnt lgkmcnt(8)
	s_delay_alu instid0(VALU_DEP_1)
	v_wmma_f32_16x16x16_bf16 v[129:136], v[121:128], v[147:154], v[129:136]
	ds_load_b128 v[125:128], v144 offset:5136
	ds_load_b128 v[121:124], v144 offset:5120
	s_waitcnt lgkmcnt(8)
	v_wmma_f32_16x16x16_bf16 v[129:136], v[113:120], v[155:162], v[129:136]
	ds_load_b128 v[117:120], v144 offset:6160
	ds_load_b128 v[113:116], v144 offset:6144
	s_waitcnt lgkmcnt(8)
	;; [unrolled: 4-line block ×8, first 2 shown]
	v_wmma_f32_16x16x16_bf16 v[129:136], v[65:72], v[97:104], v[129:136]
	s_waitcnt lgkmcnt(6)
	s_delay_alu instid0(VALU_DEP_1)
	v_wmma_f32_16x16x16_bf16 v[129:136], v[49:56], v[89:96], v[129:136]
	ds_load_b128 v[53:56], v144 offset:13328
	ds_load_b128 v[49:52], v144 offset:13312
	s_waitcnt lgkmcnt(6)
	v_wmma_f32_16x16x16_bf16 v[129:136], v[41:48], v[81:88], v[129:136]
	ds_load_b128 v[45:48], v144 offset:14352
	ds_load_b128 v[41:44], v144 offset:14336
	s_waitcnt lgkmcnt(6)
	;; [unrolled: 4-line block ×3, first 2 shown]
	v_wmma_f32_16x16x16_bf16 v[129:136], v[1:8], v[57:64], v[129:136]
	s_waitcnt lgkmcnt(4)
	s_delay_alu instid0(VALU_DEP_1) | instskip(SKIP_1) | instid1(VALU_DEP_1)
	v_wmma_f32_16x16x16_bf16 v[129:136], v[25:32], v[49:56], v[129:136]
	s_waitcnt lgkmcnt(2)
	v_wmma_f32_16x16x16_bf16 v[129:136], v[33:40], v[41:48], v[129:136]
	s_waitcnt lgkmcnt(0)
	s_delay_alu instid0(VALU_DEP_1) | instskip(NEXT) | instid1(VALU_DEP_1)
	v_wmma_f32_16x16x16_bf16 v[129:136], v[9:16], v[17:24], v[129:136]
	v_and_b32_e32 v1, 0x7f800000, v129
	s_delay_alu instid0(VALU_DEP_1) | instskip(SKIP_1) | instid1(SALU_CYCLE_1)
	v_cmp_ne_u32_e32 vcc_lo, 0x7f800000, v1
                                        ; implicit-def: $vgpr1
	s_and_saveexec_b32 s3, vcc_lo
	s_xor_b32 s3, exec_lo, s3
; %bb.79:
	v_bfe_u32 v1, v129, 16, 1
	s_delay_alu instid0(VALU_DEP_1)
	v_add3_u32 v1, v129, v1, 0x7fff
; %bb.80:
	s_and_not1_saveexec_b32 s3, s3
; %bb.81:
	v_and_b32_e32 v1, 0xffff, v129
	v_or_b32_e32 v2, 0x10000, v129
	s_delay_alu instid0(VALU_DEP_2) | instskip(NEXT) | instid1(VALU_DEP_2)
	v_cmp_eq_u32_e32 vcc_lo, 0, v1
	v_cndmask_b32_e32 v1, v2, v129, vcc_lo
; %bb.82:
	s_or_b32 exec_lo, exec_lo, s3
	v_and_b32_e32 v2, 0x7f800000, v130
	s_delay_alu instid0(VALU_DEP_1) | instskip(SKIP_1) | instid1(SALU_CYCLE_1)
	v_cmp_ne_u32_e32 vcc_lo, 0x7f800000, v2
                                        ; implicit-def: $vgpr2
	s_and_saveexec_b32 s3, vcc_lo
	s_xor_b32 s3, exec_lo, s3
; %bb.83:
	v_bfe_u32 v2, v130, 16, 1
	s_delay_alu instid0(VALU_DEP_1)
	v_add3_u32 v2, v130, v2, 0x7fff
; %bb.84:
	s_and_not1_saveexec_b32 s3, s3
; %bb.85:
	v_and_b32_e32 v2, 0xffff, v130
	v_or_b32_e32 v3, 0x10000, v130
	s_delay_alu instid0(VALU_DEP_2) | instskip(NEXT) | instid1(VALU_DEP_2)
	v_cmp_eq_u32_e32 vcc_lo, 0, v2
	v_cndmask_b32_e32 v2, v3, v130, vcc_lo
; %bb.86:
	s_or_b32 exec_lo, exec_lo, s3
	v_and_b32_e32 v3, 0x7f800000, v131
	s_delay_alu instid0(VALU_DEP_1) | instskip(SKIP_1) | instid1(SALU_CYCLE_1)
	v_cmp_ne_u32_e32 vcc_lo, 0x7f800000, v3
                                        ; implicit-def: $vgpr3
	s_and_saveexec_b32 s3, vcc_lo
	s_xor_b32 s3, exec_lo, s3
; %bb.87:
	v_bfe_u32 v3, v131, 16, 1
	s_delay_alu instid0(VALU_DEP_1)
	v_add3_u32 v3, v131, v3, 0x7fff
; %bb.88:
	s_and_not1_saveexec_b32 s3, s3
; %bb.89:
	v_and_b32_e32 v3, 0xffff, v131
	v_or_b32_e32 v4, 0x10000, v131
	s_delay_alu instid0(VALU_DEP_2) | instskip(NEXT) | instid1(VALU_DEP_2)
	v_cmp_eq_u32_e32 vcc_lo, 0, v3
	v_cndmask_b32_e32 v3, v4, v131, vcc_lo
; %bb.90:
	s_or_b32 exec_lo, exec_lo, s3
	v_and_b32_e32 v4, 0x7f800000, v132
	s_delay_alu instid0(VALU_DEP_1) | instskip(SKIP_1) | instid1(SALU_CYCLE_1)
	v_cmp_ne_u32_e32 vcc_lo, 0x7f800000, v4
                                        ; implicit-def: $vgpr4
	s_and_saveexec_b32 s3, vcc_lo
	s_xor_b32 s3, exec_lo, s3
; %bb.91:
	v_bfe_u32 v4, v132, 16, 1
	s_delay_alu instid0(VALU_DEP_1)
	v_add3_u32 v4, v132, v4, 0x7fff
; %bb.92:
	s_and_not1_saveexec_b32 s3, s3
; %bb.93:
	v_and_b32_e32 v4, 0xffff, v132
	v_or_b32_e32 v5, 0x10000, v132
	s_delay_alu instid0(VALU_DEP_2) | instskip(NEXT) | instid1(VALU_DEP_2)
	v_cmp_eq_u32_e32 vcc_lo, 0, v4
	v_cndmask_b32_e32 v4, v5, v132, vcc_lo
; %bb.94:
	s_or_b32 exec_lo, exec_lo, s3
	v_and_b32_e32 v5, 0x7f800000, v133
	s_delay_alu instid0(VALU_DEP_1) | instskip(SKIP_1) | instid1(SALU_CYCLE_1)
	v_cmp_ne_u32_e32 vcc_lo, 0x7f800000, v5
                                        ; implicit-def: $vgpr5
	s_and_saveexec_b32 s3, vcc_lo
	s_xor_b32 s3, exec_lo, s3
; %bb.95:
	v_bfe_u32 v5, v133, 16, 1
	s_delay_alu instid0(VALU_DEP_1)
	v_add3_u32 v5, v133, v5, 0x7fff
; %bb.96:
	s_and_not1_saveexec_b32 s3, s3
; %bb.97:
	v_and_b32_e32 v5, 0xffff, v133
	v_or_b32_e32 v6, 0x10000, v133
	s_delay_alu instid0(VALU_DEP_2) | instskip(NEXT) | instid1(VALU_DEP_2)
	v_cmp_eq_u32_e32 vcc_lo, 0, v5
	v_cndmask_b32_e32 v5, v6, v133, vcc_lo
; %bb.98:
	s_or_b32 exec_lo, exec_lo, s3
	v_and_b32_e32 v6, 0x7f800000, v134
	s_delay_alu instid0(VALU_DEP_1) | instskip(SKIP_1) | instid1(SALU_CYCLE_1)
	v_cmp_ne_u32_e32 vcc_lo, 0x7f800000, v6
                                        ; implicit-def: $vgpr6
	s_and_saveexec_b32 s3, vcc_lo
	s_xor_b32 s3, exec_lo, s3
; %bb.99:
	v_bfe_u32 v6, v134, 16, 1
	s_delay_alu instid0(VALU_DEP_1)
	v_add3_u32 v6, v134, v6, 0x7fff
; %bb.100:
	s_and_not1_saveexec_b32 s3, s3
; %bb.101:
	v_and_b32_e32 v6, 0xffff, v134
	v_or_b32_e32 v7, 0x10000, v134
	s_delay_alu instid0(VALU_DEP_2) | instskip(NEXT) | instid1(VALU_DEP_2)
	v_cmp_eq_u32_e32 vcc_lo, 0, v6
	v_cndmask_b32_e32 v6, v7, v134, vcc_lo
; %bb.102:
	s_or_b32 exec_lo, exec_lo, s3
	v_and_b32_e32 v7, 0x7f800000, v135
	s_delay_alu instid0(VALU_DEP_1) | instskip(SKIP_1) | instid1(SALU_CYCLE_1)
	v_cmp_ne_u32_e32 vcc_lo, 0x7f800000, v7
                                        ; implicit-def: $vgpr7
	s_and_saveexec_b32 s3, vcc_lo
	s_xor_b32 s3, exec_lo, s3
; %bb.103:
	v_bfe_u32 v7, v135, 16, 1
	s_delay_alu instid0(VALU_DEP_1)
	v_add3_u32 v7, v135, v7, 0x7fff
; %bb.104:
	s_and_not1_saveexec_b32 s3, s3
; %bb.105:
	v_and_b32_e32 v7, 0xffff, v135
	v_or_b32_e32 v8, 0x10000, v135
	s_delay_alu instid0(VALU_DEP_2) | instskip(NEXT) | instid1(VALU_DEP_2)
	v_cmp_eq_u32_e32 vcc_lo, 0, v7
	v_cndmask_b32_e32 v7, v8, v135, vcc_lo
; %bb.106:
	s_or_b32 exec_lo, exec_lo, s3
	v_and_b32_e32 v8, 0x7f800000, v136
	s_delay_alu instid0(VALU_DEP_1) | instskip(SKIP_1) | instid1(SALU_CYCLE_1)
	v_cmp_ne_u32_e32 vcc_lo, 0x7f800000, v8
                                        ; implicit-def: $vgpr8
	s_and_saveexec_b32 s3, vcc_lo
	s_xor_b32 s3, exec_lo, s3
; %bb.107:
	v_bfe_u32 v8, v136, 16, 1
	s_delay_alu instid0(VALU_DEP_1)
	v_add3_u32 v8, v136, v8, 0x7fff
                                        ; implicit-def: $vgpr129_vgpr130_vgpr131_vgpr132_vgpr133_vgpr134_vgpr135_vgpr136
; %bb.108:
	s_and_not1_saveexec_b32 s3, s3
; %bb.109:
	v_and_b32_e32 v8, 0xffff, v136
	v_or_b32_e32 v9, 0x10000, v136
	s_delay_alu instid0(VALU_DEP_2) | instskip(NEXT) | instid1(VALU_DEP_2)
	v_cmp_eq_u32_e32 vcc_lo, 0, v8
	v_cndmask_b32_e32 v8, v9, v136, vcc_lo
; %bb.110:
	s_or_b32 exec_lo, exec_lo, s3
	s_delay_alu instid0(VALU_DEP_1)
	v_perm_b32 v7, v8, v7, 0x7060302
	v_perm_b32 v6, v6, v5, 0x7060302
	;; [unrolled: 1-line block ×4, first 2 shown]
	v_lshl_or_b32 v9, v138, 4, v145
	s_barrier
	buffer_gl0_inv
	v_cmp_eq_u32_e32 vcc_lo, 1, v142
	ds_store_b128 v9, v[4:7]
	s_waitcnt lgkmcnt(0)
	s_barrier
	buffer_gl0_inv
	ds_load_b128 v[1:4], v145
	ds_load_b128 v[5:8], v145 offset:16
	v_cmp_eq_u32_e64 s4, 2, v142
	v_cmp_eq_u32_e64 s3, 1, v143
	;; [unrolled: 1-line block ×5, first 2 shown]
	s_waitcnt lgkmcnt(1)
	v_lshrrev_b32_e32 v10, 16, v1
	s_waitcnt lgkmcnt(0)
	v_lshrrev_b32_e32 v14, 16, v5
	v_lshrrev_b32_e32 v15, 16, v6
	;; [unrolled: 1-line block ×4, first 2 shown]
	v_cndmask_b32_e64 v20, v1, v10, s3
	v_cndmask_b32_e32 v19, v5, v14, vcc_lo
	v_cndmask_b32_e64 v21, v5, v14, s3
	v_lshrrev_b32_e32 v16, 16, v7
	v_cmp_eq_u32_e64 s3, 1, v141
	v_lshrrev_b32_e32 v13, 16, v4
	v_cndmask_b32_e64 v19, v19, v6, s4
	v_lshrrev_b32_e32 v17, 16, v8
	s_delay_alu instid0(VALU_DEP_4) | instskip(SKIP_1) | instid1(VALU_DEP_4)
	v_cndmask_b32_e64 v22, v1, v10, s3
	v_cndmask_b32_e64 v23, v5, v14, s3
	;; [unrolled: 1-line block ×3, first 2 shown]
	v_cndmask_b32_e32 v18, v1, v10, vcc_lo
	v_cmp_eq_u32_e32 vcc_lo, 2, v143
	v_cmp_eq_u32_e64 s3, 2, v146
	v_cndmask_b32_e64 v22, v22, v2, s7
	v_cndmask_b32_e32 v20, v20, v2, vcc_lo
	v_cndmask_b32_e32 v21, v21, v6, vcc_lo
	v_cmp_eq_u32_e32 vcc_lo, 4, v142
	v_cndmask_b32_e32 v19, v19, v7, vcc_lo
	v_cndmask_b32_e64 v18, v18, v2, s4
	v_cmp_eq_u32_e64 s4, 3, v143
	s_delay_alu instid0(VALU_DEP_2) | instskip(NEXT) | instid1(VALU_DEP_2)
	v_cndmask_b32_e64 v18, v18, v11, s5
	v_cndmask_b32_e64 v21, v21, v15, s4
	v_cmp_eq_u32_e64 s5, 5, v142
	s_delay_alu instid0(VALU_DEP_3) | instskip(SKIP_1) | instid1(VALU_DEP_3)
	v_cndmask_b32_e32 v18, v18, v3, vcc_lo
	v_cmp_eq_u32_e32 vcc_lo, 4, v143
	v_cndmask_b32_e64 v19, v19, v16, s5
	s_delay_alu instid0(VALU_DEP_3) | instskip(SKIP_4) | instid1(VALU_DEP_3)
	v_cndmask_b32_e64 v18, v18, v12, s5
	v_cndmask_b32_e32 v21, v21, v7, vcc_lo
	v_cndmask_b32_e64 v20, v20, v11, s4
	v_cmp_eq_u32_e64 s4, 5, v143
	v_cmp_eq_u32_e64 s5, 6, v142
	v_cndmask_b32_e32 v20, v20, v3, vcc_lo
	s_delay_alu instid0(VALU_DEP_3) | instskip(SKIP_1) | instid1(VALU_DEP_4)
	v_cndmask_b32_e64 v21, v21, v16, s4
	v_cmp_eq_u32_e32 vcc_lo, 6, v143
	v_cndmask_b32_e64 v18, v18, v4, s5
	v_cndmask_b32_e64 v19, v19, v8, s5
	;; [unrolled: 1-line block ×3, first 2 shown]
	v_cmp_eq_u32_e64 s4, 1, v146
	v_cmp_eq_u32_e64 s5, 7, v142
	s_delay_alu instid0(VALU_DEP_3) | instskip(NEXT) | instid1(VALU_DEP_3)
	v_cndmask_b32_e32 v20, v20, v4, vcc_lo
	v_cndmask_b32_e64 v1, v1, v10, s4
	v_cndmask_b32_e64 v5, v5, v14, s4
	v_cmp_eq_u32_e64 s4, 3, v141
	v_cndmask_b32_e64 v14, v23, v6, s7
	v_cmp_eq_u32_e64 s7, 3, v146
	v_cndmask_b32_e64 v1, v1, v2, s3
	v_cndmask_b32_e64 v2, v5, v6, s3
	;; [unrolled: 1-line block ×3, first 2 shown]
	v_cmp_eq_u32_e64 s3, 4, v141
	v_cndmask_b32_e64 v6, v14, v15, s4
	v_cndmask_b32_e64 v1, v1, v11, s7
	v_cmp_eq_u32_e64 s4, 4, v146
	v_cndmask_b32_e64 v2, v2, v15, s7
	v_cndmask_b32_e64 v5, v10, v3, s3
	;; [unrolled: 3-line block ×3, first 2 shown]
	v_cndmask_b32_e64 v2, v2, v7, s4
	v_cmp_eq_u32_e64 s3, 5, v146
	v_cndmask_b32_e64 v5, v5, v12, s7
	v_cmp_eq_u32_e64 s4, 6, v141
	;; [unrolled: 2-line block ×3, first 2 shown]
	v_cndmask_b32_e64 v1, v1, v12, s3
	v_cndmask_b32_e64 v2, v2, v16, s3
	;; [unrolled: 1-line block ×4, first 2 shown]
	v_cmp_eq_u32_e64 s3, 7, v146
	v_cndmask_b32_e64 v1, v1, v4, s7
	v_cndmask_b32_e64 v2, v2, v8, s7
	v_cmp_eq_u32_e64 s4, 7, v141
	v_cndmask_b32_e32 v4, v21, v8, vcc_lo
	v_cndmask_b32_e64 v18, v18, v13, s5
	v_cndmask_b32_e64 v20, v20, v13, s6
	;; [unrolled: 1-line block ×8, first 2 shown]
	s_mov_b32 s3, exec_lo
	v_perm_b32 v4, v2, v1, 0x5040100
	v_perm_b32 v3, v3, v5, 0x5040100
	;; [unrolled: 1-line block ×4, first 2 shown]
	ds_store_b128 v9, v[1:4]
	s_waitcnt lgkmcnt(0)
	s_barrier
	buffer_gl0_inv
	v_cmpx_gt_u32_e32 32, v0
	s_cbranch_execz .LBB648_2
; %bb.111:
	s_load_b64 s[4:5], s[0:1], 0x68
	v_add_nc_u32_e32 v20, s31, v138
	v_lshlrev_b32_e32 v0, 10, v0
	v_lshlrev_b32_e32 v1, 4, v139
	s_lshl_b32 s0, s34, 7
	s_delay_alu instid0(SALU_CYCLE_1)
	s_mul_i32 s1, s0, s30
	v_add_nc_u32_e32 v2, 2, v20
	s_mul_i32 s6, s1, s8
	v_and_or_b32 v0, 0x3800, v0, v1
	v_mul_lo_u32 v1, v20, s0
	s_ashr_i32 s7, s6, 31
	v_mul_lo_u32 v11, v2, s0
	s_lshl_b64 s[6:7], s[6:7], 1
	v_add_nc_u32_e32 v3, 4, v20
	v_lshl_or_b32 v21, v138, 6, v0
	v_add_nc_u32_e32 v16, 6, v20
	v_ashrrev_i32_e32 v2, 31, v1
	s_delay_alu instid0(VALU_DEP_4)
	v_mul_lo_u32 v13, v3, s0
	s_waitcnt lgkmcnt(0)
	s_add_u32 s1, s4, s6
	s_addc_u32 s3, s5, s7
	s_lshl_b32 s4, s14, 7
	ds_load_b128 v[3:6], v21
	ds_load_b128 v[7:10], v21 offset:128
	s_ashr_i32 s5, s4, 31
	v_ashrrev_i32_e32 v12, 31, v11
	s_lshl_b64 s[4:5], s[4:5], 1
	v_lshlrev_b64 v[14:15], 1, v[1:2]
	s_add_u32 s1, s1, s4
	s_addc_u32 s3, s3, s5
	v_add_co_u32 v1, s1, s1, v137
	s_delay_alu instid0(VALU_DEP_1) | instskip(SKIP_1) | instid1(VALU_DEP_3)
	v_add_co_ci_u32_e64 v2, null, s3, 0, s1
	v_lshlrev_b64 v[11:12], 1, v[11:12]
	v_add_co_u32 v18, vcc_lo, v1, v14
	v_mul_lo_u32 v16, v16, s0
	s_delay_alu instid0(VALU_DEP_4) | instskip(NEXT) | instid1(VALU_DEP_4)
	v_add_co_ci_u32_e32 v19, vcc_lo, v2, v15, vcc_lo
	v_add_co_u32 v11, vcc_lo, v1, v11
	v_ashrrev_i32_e32 v14, 31, v13
	v_add_co_ci_u32_e32 v12, vcc_lo, v2, v12, vcc_lo
	v_add_nc_u32_e32 v15, 8, v20
	v_ashrrev_i32_e32 v17, 31, v16
	s_waitcnt lgkmcnt(1)
	global_store_b128 v[18:19], v[3:6], off
	v_lshlrev_b64 v[3:4], 1, v[13:14]
	s_waitcnt lgkmcnt(0)
	global_store_b128 v[11:12], v[7:10], off
	v_mul_lo_u32 v11, v15, s0
	v_add_nc_u32_e32 v7, 10, v20
	v_lshlrev_b64 v[5:6], 1, v[16:17]
	v_add_co_u32 v23, vcc_lo, v1, v3
	v_add_nc_u32_e32 v3, 12, v20
	s_delay_alu instid0(VALU_DEP_4)
	v_mul_lo_u32 v25, v7, s0
	v_ashrrev_i32_e32 v12, 31, v11
	v_add_co_ci_u32_e32 v24, vcc_lo, v2, v4, vcc_lo
	v_add_co_u32 v27, vcc_lo, v1, v5
	v_mul_lo_u32 v29, v3, s0
	v_add_co_ci_u32_e32 v28, vcc_lo, v2, v6, vcc_lo
	ds_load_b128 v[3:6], v21 offset:256
	ds_load_b128 v[7:10], v21 offset:384
	v_lshlrev_b64 v[31:32], 1, v[11:12]
	ds_load_b128 v[11:14], v21 offset:512
	ds_load_b128 v[15:18], v21 offset:640
	;; [unrolled: 1-line block ×3, first 2 shown]
	v_ashrrev_i32_e32 v26, 31, v25
	v_ashrrev_i32_e32 v30, 31, v29
	v_add_co_u32 v31, vcc_lo, v1, v31
	s_delay_alu instid0(VALU_DEP_3) | instskip(NEXT) | instid1(VALU_DEP_3)
	v_lshlrev_b64 v[25:26], 1, v[25:26]
	v_lshlrev_b64 v[29:30], 1, v[29:30]
	v_add_co_ci_u32_e32 v32, vcc_lo, v2, v32, vcc_lo
	s_delay_alu instid0(VALU_DEP_3) | instskip(NEXT) | instid1(VALU_DEP_4)
	v_add_co_u32 v25, vcc_lo, v1, v25
	v_add_co_ci_u32_e32 v26, vcc_lo, v2, v26, vcc_lo
	s_delay_alu instid0(VALU_DEP_4)
	v_add_co_u32 v29, vcc_lo, v1, v29
	v_add_co_ci_u32_e32 v30, vcc_lo, v2, v30, vcc_lo
	s_waitcnt lgkmcnt(4)
	global_store_b128 v[23:24], v[3:6], off
	s_waitcnt lgkmcnt(3)
	global_store_b128 v[27:28], v[7:10], off
	;; [unrolled: 2-line block ×5, first 2 shown]
	s_and_b32 exec_lo, exec_lo, s2
	s_cbranch_execz .LBB648_2
; %bb.112:
	ds_load_b128 v[3:6], v0 offset:896
	s_add_i32 s1, s31, 14
	s_delay_alu instid0(SALU_CYCLE_1) | instskip(NEXT) | instid1(SALU_CYCLE_1)
	s_mul_i32 s0, s1, s0
	s_ashr_i32 s1, s0, 31
	s_delay_alu instid0(SALU_CYCLE_1) | instskip(NEXT) | instid1(SALU_CYCLE_1)
	s_lshl_b64 s[0:1], s[0:1], 1
	v_add_co_u32 v0, vcc_lo, v1, s0
	v_add_co_ci_u32_e32 v1, vcc_lo, s1, v2, vcc_lo
	s_waitcnt lgkmcnt(0)
	global_store_b128 v[0:1], v[3:6], off
	s_nop 0
	s_sendmsg sendmsg(MSG_DEALLOC_VGPRS)
	s_endpgm
	.section	.rodata,"a",@progbits
	.p2align	6, 0x0
	.amdhsa_kernel _Z39paged_attention_ll4mi_QKV_mfma16_kernelI14__hip_bfloat16S0_LN4vllm18Fp8KVCacheDataTypeE0ES0_Li16ELi128ELi256ELb1ELi15EL8MFMAType0EEvPKT_PKT0_S9_ifPKiSB_SB_iPKfiiiPfSE_PS4_PT2_iSD_SD_
		.amdhsa_group_segment_fixed_size 17472
		.amdhsa_private_segment_fixed_size 0
		.amdhsa_kernarg_size 400
		.amdhsa_user_sgpr_count 13
		.amdhsa_user_sgpr_dispatch_ptr 0
		.amdhsa_user_sgpr_queue_ptr 0
		.amdhsa_user_sgpr_kernarg_segment_ptr 1
		.amdhsa_user_sgpr_dispatch_id 0
		.amdhsa_user_sgpr_private_segment_size 0
		.amdhsa_wavefront_size32 1
		.amdhsa_uses_dynamic_stack 0
		.amdhsa_enable_private_segment 0
		.amdhsa_system_sgpr_workgroup_id_x 1
		.amdhsa_system_sgpr_workgroup_id_y 1
		.amdhsa_system_sgpr_workgroup_id_z 1
		.amdhsa_system_sgpr_workgroup_info 0
		.amdhsa_system_vgpr_workitem_id 0
		.amdhsa_next_free_vgpr 218
		.amdhsa_next_free_sgpr 50
		.amdhsa_reserve_vcc 1
		.amdhsa_float_round_mode_32 0
		.amdhsa_float_round_mode_16_64 0
		.amdhsa_float_denorm_mode_32 3
		.amdhsa_float_denorm_mode_16_64 3
		.amdhsa_dx10_clamp 1
		.amdhsa_ieee_mode 1
		.amdhsa_fp16_overflow 0
		.amdhsa_workgroup_processor_mode 1
		.amdhsa_memory_ordered 1
		.amdhsa_forward_progress 0
		.amdhsa_shared_vgpr_count 0
		.amdhsa_exception_fp_ieee_invalid_op 0
		.amdhsa_exception_fp_denorm_src 0
		.amdhsa_exception_fp_ieee_div_zero 0
		.amdhsa_exception_fp_ieee_overflow 0
		.amdhsa_exception_fp_ieee_underflow 0
		.amdhsa_exception_fp_ieee_inexact 0
		.amdhsa_exception_int_div_zero 0
	.end_amdhsa_kernel
	.section	.text._Z39paged_attention_ll4mi_QKV_mfma16_kernelI14__hip_bfloat16S0_LN4vllm18Fp8KVCacheDataTypeE0ES0_Li16ELi128ELi256ELb1ELi15EL8MFMAType0EEvPKT_PKT0_S9_ifPKiSB_SB_iPKfiiiPfSE_PS4_PT2_iSD_SD_,"axG",@progbits,_Z39paged_attention_ll4mi_QKV_mfma16_kernelI14__hip_bfloat16S0_LN4vllm18Fp8KVCacheDataTypeE0ES0_Li16ELi128ELi256ELb1ELi15EL8MFMAType0EEvPKT_PKT0_S9_ifPKiSB_SB_iPKfiiiPfSE_PS4_PT2_iSD_SD_,comdat
.Lfunc_end648:
	.size	_Z39paged_attention_ll4mi_QKV_mfma16_kernelI14__hip_bfloat16S0_LN4vllm18Fp8KVCacheDataTypeE0ES0_Li16ELi128ELi256ELb1ELi15EL8MFMAType0EEvPKT_PKT0_S9_ifPKiSB_SB_iPKfiiiPfSE_PS4_PT2_iSD_SD_, .Lfunc_end648-_Z39paged_attention_ll4mi_QKV_mfma16_kernelI14__hip_bfloat16S0_LN4vllm18Fp8KVCacheDataTypeE0ES0_Li16ELi128ELi256ELb1ELi15EL8MFMAType0EEvPKT_PKT0_S9_ifPKiSB_SB_iPKfiiiPfSE_PS4_PT2_iSD_SD_
                                        ; -- End function
	.section	.AMDGPU.csdata,"",@progbits
; Kernel info:
; codeLenInByte = 10508
; NumSgprs: 52
; NumVgprs: 218
; ScratchSize: 0
; MemoryBound: 0
; FloatMode: 240
; IeeeMode: 1
; LDSByteSize: 17472 bytes/workgroup (compile time only)
; SGPRBlocks: 6
; VGPRBlocks: 27
; NumSGPRsForWavesPerEU: 52
; NumVGPRsForWavesPerEU: 218
; Occupancy: 6
; WaveLimiterHint : 1
; COMPUTE_PGM_RSRC2:SCRATCH_EN: 0
; COMPUTE_PGM_RSRC2:USER_SGPR: 13
; COMPUTE_PGM_RSRC2:TRAP_HANDLER: 0
; COMPUTE_PGM_RSRC2:TGID_X_EN: 1
; COMPUTE_PGM_RSRC2:TGID_Y_EN: 1
; COMPUTE_PGM_RSRC2:TGID_Z_EN: 1
; COMPUTE_PGM_RSRC2:TIDIG_COMP_CNT: 0
	.section	.text._Z39paged_attention_ll4mi_QKV_mfma16_kernelI14__hip_bfloat16S0_LN4vllm18Fp8KVCacheDataTypeE0ES0_Li16ELi128ELi256ELb1ELi16EL8MFMAType0EEvPKT_PKT0_S9_ifPKiSB_SB_iPKfiiiPfSE_PS4_PT2_iSD_SD_,"axG",@progbits,_Z39paged_attention_ll4mi_QKV_mfma16_kernelI14__hip_bfloat16S0_LN4vllm18Fp8KVCacheDataTypeE0ES0_Li16ELi128ELi256ELb1ELi16EL8MFMAType0EEvPKT_PKT0_S9_ifPKiSB_SB_iPKfiiiPfSE_PS4_PT2_iSD_SD_,comdat
	.protected	_Z39paged_attention_ll4mi_QKV_mfma16_kernelI14__hip_bfloat16S0_LN4vllm18Fp8KVCacheDataTypeE0ES0_Li16ELi128ELi256ELb1ELi16EL8MFMAType0EEvPKT_PKT0_S9_ifPKiSB_SB_iPKfiiiPfSE_PS4_PT2_iSD_SD_ ; -- Begin function _Z39paged_attention_ll4mi_QKV_mfma16_kernelI14__hip_bfloat16S0_LN4vllm18Fp8KVCacheDataTypeE0ES0_Li16ELi128ELi256ELb1ELi16EL8MFMAType0EEvPKT_PKT0_S9_ifPKiSB_SB_iPKfiiiPfSE_PS4_PT2_iSD_SD_
	.globl	_Z39paged_attention_ll4mi_QKV_mfma16_kernelI14__hip_bfloat16S0_LN4vllm18Fp8KVCacheDataTypeE0ES0_Li16ELi128ELi256ELb1ELi16EL8MFMAType0EEvPKT_PKT0_S9_ifPKiSB_SB_iPKfiiiPfSE_PS4_PT2_iSD_SD_
	.p2align	8
	.type	_Z39paged_attention_ll4mi_QKV_mfma16_kernelI14__hip_bfloat16S0_LN4vllm18Fp8KVCacheDataTypeE0ES0_Li16ELi128ELi256ELb1ELi16EL8MFMAType0EEvPKT_PKT0_S9_ifPKiSB_SB_iPKfiiiPfSE_PS4_PT2_iSD_SD_,@function
_Z39paged_attention_ll4mi_QKV_mfma16_kernelI14__hip_bfloat16S0_LN4vllm18Fp8KVCacheDataTypeE0ES0_Li16ELi128ELi256ELb1ELi16EL8MFMAType0EEvPKT_PKT0_S9_ifPKiSB_SB_iPKfiiiPfSE_PS4_PT2_iSD_SD_: ; @_Z39paged_attention_ll4mi_QKV_mfma16_kernelI14__hip_bfloat16S0_LN4vllm18Fp8KVCacheDataTypeE0ES0_Li16ELi128ELi256ELb1ELi16EL8MFMAType0EEvPKT_PKT0_S9_ifPKiSB_SB_iPKfiiiPfSE_PS4_PT2_iSD_SD_
; %bb.0:
	s_load_b64 s[4:5], s[0:1], 0x30
	s_mov_b32 s30, s13
	s_waitcnt lgkmcnt(0)
	s_cmp_lg_u64 s[4:5], 0
	s_cselect_b32 s12, -1, 0
	s_ashr_i32 s31, s13, 31
	s_cmp_eq_u64 s[4:5], 0
	s_cbranch_scc1 .LBB649_3
; %bb.1:
	s_lshl_b64 s[2:3], s[30:31], 2
	s_delay_alu instid0(SALU_CYCLE_1) | instskip(SKIP_4) | instid1(SALU_CYCLE_1)
	s_add_u32 s2, s4, s2
	s_addc_u32 s3, s5, s3
	s_load_b64 s[2:3], s[2:3], 0x0
	s_waitcnt lgkmcnt(0)
	s_sub_i32 s2, s3, s2
	s_cmp_eq_u32 s2, 1
	s_cselect_b32 s2, -1, 0
	s_delay_alu instid0(SALU_CYCLE_1)
	s_and_not1_b32 vcc_lo, exec_lo, s2
	s_cbranch_vccz .LBB649_4
.LBB649_2:
	s_endpgm
.LBB649_3:
.LBB649_4:
	s_load_b64 s[2:3], s[0:1], 0x28
	s_lshl_b64 s[6:7], s[30:31], 2
	s_waitcnt lgkmcnt(0)
	s_add_u32 s2, s2, s6
	s_addc_u32 s3, s3, s7
	s_lshl_b32 s31, s14, 8
	s_load_b32 s28, s[2:3], 0x0
	s_waitcnt lgkmcnt(0)
	s_cmp_ge_i32 s31, s28
	s_cbranch_scc1 .LBB649_2
; %bb.5:
	s_clause 0x1
	s_load_b128 s[8:11], s[0:1], 0x8
	s_load_b64 s[2:3], s[0:1], 0x20
	s_and_not1_b32 vcc_lo, exec_lo, s12
	s_cbranch_vccnz .LBB649_7
; %bb.6:
	s_add_u32 s4, s4, s6
	s_addc_u32 s5, s5, s7
	s_load_b32 s12, s[4:5], 0x0
	s_branch .LBB649_8
.LBB649_7:
	s_mov_b32 s12, s30
.LBB649_8:
	s_load_b128 s[4:7], s[0:1], 0x48
	v_and_b32_e32 v142, 15, v0
	v_lshrrev_b32_e32 v140, 5, v0
	v_and_b32_e32 v143, 31, v0
	v_and_b32_e32 v139, 1, v0
	v_bfe_u32 v138, v0, 4, 1
	v_lshlrev_b32_e32 v1, 3, v142
	s_lshl_b32 s29, s15, 4
	s_waitcnt lgkmcnt(0)
	s_mov_b32 s7, exec_lo
	s_delay_alu instid0(VALU_DEP_1)
	v_lshlrev_b32_e32 v137, 1, v1
	v_cmpx_gt_u32_e32 0x100, v0
	s_cbranch_execz .LBB649_10
; %bb.9:
	v_lshl_or_b32 v5, v140, 1, v138
	s_load_b64 s[16:17], s[0:1], 0x0
	s_mul_hi_i32 s13, s12, s4
	s_mul_i32 s12, s12, s4
	v_lshlrev_b32_e32 v6, 10, v142
	v_or_b32_e32 v1, s29, v5
	s_lshl_b64 s[12:13], s[12:13], 1
	v_lshlrev_b32_e32 v5, 6, v5
	v_lshlrev_b32_e32 v7, 10, v139
	v_and_b32_e32 v6, 0x3800, v6
	v_lshlrev_b32_e32 v1, 7, v1
	s_delay_alu instid0(VALU_DEP_2) | instskip(NEXT) | instid1(VALU_DEP_2)
	v_or3_b32 v5, v6, v7, v5
	v_ashrrev_i32_e32 v2, 31, v1
	s_delay_alu instid0(VALU_DEP_1) | instskip(SKIP_3) | instid1(VALU_DEP_1)
	v_lshlrev_b64 v[1:2], 1, v[1:2]
	s_waitcnt lgkmcnt(0)
	s_add_u32 s4, s16, s12
	s_addc_u32 s12, s17, s13
	v_add_co_u32 v1, vcc_lo, s4, v1
	s_delay_alu instid0(VALU_DEP_2) | instskip(NEXT) | instid1(VALU_DEP_2)
	v_add_co_ci_u32_e32 v2, vcc_lo, s12, v2, vcc_lo
	v_add_co_u32 v1, vcc_lo, v1, v137
	s_delay_alu instid0(VALU_DEP_2)
	v_add_co_ci_u32_e32 v2, vcc_lo, 0, v2, vcc_lo
	global_load_b128 v[1:4], v[1:2], off
	s_waitcnt vmcnt(0)
	ds_store_b128 v5, v[1:4]
.LBB649_10:
	s_or_b32 exec_lo, exec_lo, s7
	s_mov_b32 s36, 0
	s_add_i32 s4, s28, 15
	s_mov_b32 s37, s36
	s_mov_b32 s38, s36
	;; [unrolled: 1-line block ×7, first 2 shown]
	s_delay_alu instid0(SALU_CYCLE_1)
	v_dual_mov_b32 v136, s43 :: v_dual_and_b32 v1, 0xef, v0
	v_mov_b32_e32 v134, s41
	s_clause 0x1
	s_load_b32 s7, s[0:1], 0x38
	s_load_b32 s33, s[0:1], 0x1c
	v_add_nc_u32_e32 v1, s31, v1
	s_ashr_i32 s12, s4, 31
	s_waitcnt lgkmcnt(0)
	s_lshr_b32 s12, s12, 28
	s_barrier
	v_ashrrev_i32_e32 v2, 31, v1
	s_add_i32 s4, s4, s12
	v_cmp_gt_i32_e32 vcc_lo, s28, v1
	v_mov_b32_e32 v135, s42
	s_ashr_i32 s4, s4, 4
	v_lshrrev_b32_e32 v3, 28, v2
	v_or_b32_e32 v2, 16, v1
	s_add_i32 s4, s4, -1
	v_mov_b32_e32 v132, s39
	buffer_gl0_inv
	v_add_nc_u32_e32 v4, v1, v3
	v_add_nc_u32_e32 v3, v2, v3
	v_lshlrev_b32_e32 v141, 6, v142
	s_mul_i32 s12, s30, s7
	v_mov_b32_e32 v133, s40
	v_ashrrev_i32_e32 v4, 4, v4
	v_ashrrev_i32_e32 v3, 4, v3
	s_ashr_i32 s13, s12, 31
	v_mov_b32_e32 v131, s38
	s_lshl_b64 s[12:13], s[12:13], 2
	v_cndmask_b32_e32 v1, s4, v4, vcc_lo
	v_cmp_gt_i32_e32 vcc_lo, s28, v2
	s_add_u32 s34, s2, s12
	s_addc_u32 s35, s3, s13
	s_mul_i32 s2, s15, s6
	v_ashrrev_i32_e32 v2, 31, v1
	v_cndmask_b32_e32 v3, s4, v3, vcc_lo
	s_ashr_i32 s3, s2, 31
	v_mov_b32_e32 v129, s36
	s_lshl_b64 s[2:3], s[2:3], 1
	v_lshlrev_b64 v[1:2], 2, v[1:2]
	v_ashrrev_i32_e32 v4, 31, v3
	s_add_u32 s22, s8, s2
	s_addc_u32 s23, s9, s3
	s_lshl_b32 s6, s14, 4
	v_lshlrev_b32_e32 v125, 5, v142
	v_lshlrev_b64 v[3:4], 2, v[3:4]
	v_add_co_u32 v1, vcc_lo, s34, v1
	v_add_co_ci_u32_e32 v2, vcc_lo, s35, v2, vcc_lo
	s_ashr_i32 s7, s6, 31
	s_delay_alu instid0(VALU_DEP_3) | instskip(NEXT) | instid1(VALU_DEP_4)
	v_add_co_u32 v3, vcc_lo, s34, v3
	v_add_co_ci_u32_e32 v4, vcc_lo, s35, v4, vcc_lo
	s_clause 0x1
	global_load_b32 v5, v[1:2], off
	global_load_b32 v6, v[3:4], off
	s_lshl_b64 s[6:7], s[6:7], 2
	v_dual_mov_b32 v130, s37 :: v_dual_lshlrev_b32 v3, 4, v0
	s_add_u32 s6, s34, s6
	s_addc_u32 s7, s35, s7
	s_or_b32 s8, s31, 16
	v_lshl_or_b32 v125, v140, 9, v125
	s_ashr_i32 s9, s8, 4
	s_cmp_lt_i32 s8, s28
	s_cselect_b32 s8, s9, s4
	s_delay_alu instid0(SALU_CYCLE_1) | instskip(NEXT) | instid1(SALU_CYCLE_1)
	s_ashr_i32 s9, s8, 31
	s_lshl_b64 s[8:9], s[8:9], 2
	s_delay_alu instid0(SALU_CYCLE_1) | instskip(SKIP_2) | instid1(SALU_CYCLE_1)
	s_add_u32 s8, s34, s8
	s_addc_u32 s9, s35, s9
	s_or_b32 s12, s31, 32
	s_ashr_i32 s13, s12, 4
	s_cmp_lt_i32 s12, s28
	s_cselect_b32 s12, s13, s4
	s_delay_alu instid0(SALU_CYCLE_1) | instskip(NEXT) | instid1(SALU_CYCLE_1)
	s_ashr_i32 s13, s12, 31
	s_lshl_b64 s[12:13], s[12:13], 2
	s_delay_alu instid0(SALU_CYCLE_1) | instskip(SKIP_2) | instid1(SALU_CYCLE_1)
	s_add_u32 s12, s34, s12
	s_addc_u32 s13, s35, s13
	s_or_b32 s15, s31, 48
	s_ashr_i32 s16, s15, 4
	s_cmp_lt_i32 s15, s28
	s_cselect_b32 s16, s16, s4
	s_delay_alu instid0(SALU_CYCLE_1) | instskip(NEXT) | instid1(SALU_CYCLE_1)
	s_ashr_i32 s17, s16, 31
	s_lshl_b64 s[16:17], s[16:17], 2
	s_delay_alu instid0(SALU_CYCLE_1) | instskip(SKIP_2) | instid1(SALU_CYCLE_1)
	s_add_u32 s16, s34, s16
	s_addc_u32 s17, s35, s17
	s_or_b32 s15, s31, 64
	s_ashr_i32 s18, s15, 4
	s_cmp_lt_i32 s15, s28
	s_cselect_b32 s18, s18, s4
	s_delay_alu instid0(SALU_CYCLE_1) | instskip(NEXT) | instid1(SALU_CYCLE_1)
	s_ashr_i32 s19, s18, 31
	s_lshl_b64 s[18:19], s[18:19], 2
	s_delay_alu instid0(SALU_CYCLE_1) | instskip(SKIP_2) | instid1(SALU_CYCLE_1)
	s_add_u32 s18, s34, s18
	s_addc_u32 s19, s35, s19
	s_or_b32 s15, s31, 0x50
	s_ashr_i32 s20, s15, 4
	s_cmp_lt_i32 s15, s28
	s_cselect_b32 s20, s20, s4
	s_delay_alu instid0(SALU_CYCLE_1) | instskip(NEXT) | instid1(SALU_CYCLE_1)
	s_ashr_i32 s21, s20, 31
	s_lshl_b64 s[20:21], s[20:21], 2
	s_delay_alu instid0(SALU_CYCLE_1)
	s_add_u32 s20, s34, s20
	s_addc_u32 s21, s35, s21
	s_clause 0x5
	s_load_b32 s6, s[6:7], 0x0
	s_load_b32 s8, s[8:9], 0x0
	;; [unrolled: 1-line block ×6, first 2 shown]
	s_waitcnt vmcnt(1)
	v_mad_i64_i32 v[1:2], null, v5, s5, 0
	v_and_b32_e32 v5, 0xf0, v3
	s_waitcnt vmcnt(0)
	v_mad_i64_i32 v[3:4], null, v6, s5, 0
	s_delay_alu instid0(VALU_DEP_2) | instskip(NEXT) | instid1(VALU_DEP_4)
	v_add_co_u32 v5, s7, s22, v5
	v_lshlrev_b64 v[1:2], 1, v[1:2]
	v_add_co_ci_u32_e64 v6, null, s23, 0, s7
	s_delay_alu instid0(VALU_DEP_4) | instskip(SKIP_1) | instid1(VALU_DEP_3)
	v_lshlrev_b64 v[3:4], 1, v[3:4]
	s_or_b32 s7, s31, 0x60
	v_add_co_u32 v121, vcc_lo, v5, v1
	s_delay_alu instid0(VALU_DEP_3) | instskip(NEXT) | instid1(VALU_DEP_3)
	v_add_co_ci_u32_e32 v122, vcc_lo, v6, v2, vcc_lo
	v_add_co_u32 v123, vcc_lo, v5, v3
	s_delay_alu instid0(VALU_DEP_4)
	v_add_co_ci_u32_e32 v124, vcc_lo, v6, v4, vcc_lo
	s_clause 0x19
	global_load_b128 v[89:92], v[121:122], off
	global_load_b128 v[93:96], v[121:122], off offset:256
	global_load_b128 v[97:100], v[123:124], off
	global_load_b128 v[101:104], v[123:124], off offset:256
	global_load_b128 v[81:84], v[121:122], off offset:512
	;; [unrolled: 1-line block ×23, first 2 shown]
	s_ashr_i32 s9, s7, 4
	s_cmp_lt_i32 s7, s28
	ds_load_b128 v[105:108], v141
	ds_load_b128 v[109:112], v141 offset:1024
	s_cselect_b32 s20, s9, s4
	ds_load_b128 v[113:116], v141 offset:2048
	ds_load_b128 v[117:120], v141 offset:3072
	s_ashr_i32 s21, s20, 31
	ds_load_b128 v[144:147], v141 offset:4096
	ds_load_b128 v[148:151], v141 offset:5120
	s_lshl_b64 s[20:21], s[20:21], 2
	ds_load_b128 v[152:155], v141 offset:6144
	ds_load_b128 v[156:159], v141 offset:7168
	s_add_u32 s20, s34, s20
	s_addc_u32 s21, s35, s21
	s_or_b32 s7, s31, 0x70
	ds_load_b128 v[160:163], v141 offset:8192
	ds_load_b128 v[164:167], v141 offset:9216
	s_ashr_i32 s9, s7, 4
	s_cmp_lt_i32 s7, s28
	s_clause 0x1
	global_load_b128 v[168:171], v[123:124], off offset:3072
	global_load_b128 v[172:175], v[123:124], off offset:3328
	s_cselect_b32 s22, s9, s4
	s_delay_alu instid0(SALU_CYCLE_1) | instskip(NEXT) | instid1(SALU_CYCLE_1)
	s_ashr_i32 s23, s22, 31
	s_lshl_b64 s[22:23], s[22:23], 2
	s_delay_alu instid0(SALU_CYCLE_1)
	s_add_u32 s22, s34, s22
	s_addc_u32 s23, s35, s23
	s_clause 0x1
	s_load_b32 s42, s[20:21], 0x0
	s_load_b32 s43, s[22:23], 0x0
	s_clause 0x3
	global_load_b128 v[176:179], v[121:122], off offset:3584
	global_load_b128 v[180:183], v[121:122], off offset:3840
	;; [unrolled: 1-line block ×4, first 2 shown]
	s_or_b32 s7, s31, 0x80
	s_delay_alu instid0(SALU_CYCLE_1) | instskip(SKIP_2) | instid1(SALU_CYCLE_1)
	s_ashr_i32 s9, s7, 4
	s_cmp_lt_i32 s7, s28
	s_cselect_b32 s24, s9, s4
	s_ashr_i32 s25, s24, 31
	s_delay_alu instid0(SALU_CYCLE_1) | instskip(NEXT) | instid1(SALU_CYCLE_1)
	s_lshl_b64 s[24:25], s[24:25], 2
	s_add_u32 s24, s34, s24
	s_addc_u32 s25, s35, s25
	s_or_b32 s7, s31, 0x90
	s_load_b32 s44, s[24:25], 0x0
	s_ashr_i32 s9, s7, 4
	s_cmp_lt_i32 s7, s28
	s_cselect_b32 s26, s9, s4
	s_delay_alu instid0(SALU_CYCLE_1) | instskip(NEXT) | instid1(SALU_CYCLE_1)
	s_ashr_i32 s27, s26, 31
	s_lshl_b64 s[26:27], s[26:27], 2
	s_delay_alu instid0(SALU_CYCLE_1) | instskip(SKIP_2) | instid1(SALU_CYCLE_1)
	s_add_u32 s26, s34, s26
	s_addc_u32 s27, s35, s27
	s_or_b32 s7, s31, 0xa0
	s_ashr_i32 s9, s7, 4
	s_cmp_lt_i32 s7, s28
	s_waitcnt lgkmcnt(0)
	s_mul_hi_i32 s7, s6, s5
	s_cselect_b32 s36, s9, s4
	s_mul_i32 s6, s6, s5
	s_ashr_i32 s37, s36, 31
	s_delay_alu instid0(SALU_CYCLE_1) | instskip(NEXT) | instid1(SALU_CYCLE_1)
	s_lshl_b64 s[36:37], s[36:37], 2
	s_add_u32 s36, s34, s36
	s_addc_u32 s37, s35, s37
	s_or_b32 s9, s31, 0xb0
	s_delay_alu instid0(SALU_CYCLE_1)
	s_ashr_i32 s13, s9, 4
	s_cmp_lt_i32 s9, s28
	s_mul_hi_i32 s9, s8, s5
	s_cselect_b32 s38, s13, s4
	s_mul_i32 s8, s8, s5
	s_ashr_i32 s39, s38, 31
	s_mul_hi_i32 s13, s12, s5
	s_lshl_b64 s[38:39], s[38:39], 2
	s_mul_i32 s12, s12, s5
	s_add_u32 s40, s34, s38
	s_addc_u32 s41, s35, s39
	s_or_b32 s17, s31, 0xc0
	s_delay_alu instid0(SALU_CYCLE_1)
	s_ashr_i32 s19, s17, 4
	s_cmp_lt_i32 s17, s28
	s_mul_hi_i32 s17, s16, s5
	s_cselect_b32 s38, s19, s4
	s_mul_i32 s16, s16, s5
	s_ashr_i32 s39, s38, 31
	s_mul_hi_i32 s19, s18, s5
	s_lshl_b64 s[38:39], s[38:39], 2
	s_mul_i32 s18, s18, s5
	s_add_u32 s22, s34, s38
	s_addc_u32 s23, s35, s39
	s_clause 0x1
	s_load_b32 s39, s[26:27], 0x0
	s_load_b32 s38, s[36:37], 0x0
	s_or_b32 s20, s31, 0xd0
	s_mul_hi_i32 s27, s44, s5
	s_ashr_i32 s21, s20, 4
	s_cmp_lt_i32 s20, s28
	s_mul_i32 s20, s15, s5
	s_cselect_b32 s24, s21, s4
	s_mul_hi_i32 s21, s15, s5
	s_ashr_i32 s25, s24, 31
	s_mul_i32 s26, s44, s5
	s_lshl_b64 s[24:25], s[24:25], 2
	s_delay_alu instid0(SALU_CYCLE_1)
	s_add_u32 s24, s34, s24
	s_addc_u32 s25, s35, s25
	s_or_b32 s45, s31, 0xe0
	s_clause 0x2
	s_load_b32 s37, s[40:41], 0x0
	s_load_b32 s36, s[22:23], 0x0
	s_load_b32 s15, s[24:25], 0x0
	s_ashr_i32 s46, s45, 4
	s_cmp_lt_i32 s45, s28
	s_mul_hi_i32 s23, s42, s5
	s_mul_i32 s22, s42, s5
	s_cselect_b32 s42, s46, s4
	s_mul_hi_i32 s25, s43, s5
	s_mul_i32 s24, s43, s5
	s_ashr_i32 s43, s42, 31
	s_waitcnt lgkmcnt(0)
	s_mul_hi_i32 s41, s39, s5
	s_lshl_b64 s[42:43], s[42:43], 2
	s_mul_i32 s40, s39, s5
	s_add_u32 s42, s34, s42
	s_addc_u32 s43, s35, s43
	s_or_b32 s44, s31, 0xf0
	s_mul_hi_i32 s39, s38, s5
	s_ashr_i32 s46, s44, 4
	s_cmp_lt_i32 s44, s28
	s_mul_i32 s38, s38, s5
	s_cselect_b32 s46, s46, s4
	s_mul_hi_i32 s49, s15, s5
	s_ashr_i32 s47, s46, 31
	s_mul_i32 s48, s15, s5
	s_lshl_b64 s[46:47], s[46:47], 2
	s_mul_hi_i32 s45, s37, s5
	s_add_u32 s34, s34, s46
	s_addc_u32 s35, s35, s47
	s_add_u32 s4, s10, s2
	s_addc_u32 s15, s11, s3
	v_add_co_u32 v216, s4, s4, v125
	s_delay_alu instid0(VALU_DEP_1) | instskip(SKIP_2) | instid1(VALU_DEP_2)
	v_add_co_ci_u32_e64 v217, null, s15, 0, s4
	s_lshl_b64 s[2:3], s[6:7], 1
	s_lshl_b64 s[6:7], s[8:9], 1
	v_add_co_u32 v125, vcc_lo, v216, s2
	s_delay_alu instid0(VALU_DEP_2)
	v_add_co_ci_u32_e32 v126, vcc_lo, s3, v217, vcc_lo
	v_add_co_u32 v200, vcc_lo, v216, s6
	s_lshl_b64 s[8:9], s[12:13], 1
	v_add_co_ci_u32_e32 v201, vcc_lo, s7, v217, vcc_lo
	s_lshl_b64 s[10:11], s[16:17], 1
	s_lshl_b64 s[12:13], s[18:19], 1
	s_lshl_b64 s[16:17], s[20:21], 1
	s_lshl_b64 s[18:19], s[22:23], 1
	s_lshl_b64 s[20:21], s[24:25], 1
	s_lshl_b64 s[22:23], s[26:27], 1
	s_lshl_b64 s[24:25], s[40:41], 1
	s_lshl_b64 s[26:27], s[38:39], 1
	s_mul_i32 s44, s37, s5
	s_mul_hi_i32 s37, s36, s5
	s_lshl_b64 s[38:39], s[44:45], 1
	s_mul_i32 s36, s36, s5
	s_clause 0x1
	s_load_b32 s4, s[42:43], 0x0
	s_load_b32 s15, s[34:35], 0x0
	s_lshl_b64 s[36:37], s[36:37], 1
	s_lshl_b64 s[40:41], s[48:49], 1
	s_waitcnt lgkmcnt(0)
	s_mul_hi_i32 s3, s4, s5
	s_mul_i32 s2, s4, s5
	s_mul_hi_i32 s7, s15, s5
	s_lshl_b64 s[2:3], s[2:3], 1
	s_mul_i32 s6, s15, s5
	s_waitcnt vmcnt(30)
	v_wmma_f32_16x16x16_bf16 v[192:199], v[89:96], v[105:112], v[129:136]
	v_add_co_u32 v89, vcc_lo, v216, s8
	v_add_co_ci_u32_e32 v90, vcc_lo, s9, v217, vcc_lo
	v_add_co_u32 v91, vcc_lo, v216, s10
	v_add_co_ci_u32_e32 v92, vcc_lo, s11, v217, vcc_lo
	;; [unrolled: 2-line block ×5, first 2 shown]
	v_add_co_u32 v206, vcc_lo, v216, s20
	s_waitcnt vmcnt(28)
	v_wmma_f32_16x16x16_bf16 v[129:136], v[97:104], v[105:112], v[129:136]
	v_add_co_ci_u32_e32 v207, vcc_lo, s21, v217, vcc_lo
	v_add_co_u32 v208, vcc_lo, v216, s22
	v_add_co_ci_u32_e32 v209, vcc_lo, s23, v217, vcc_lo
	v_add_co_u32 v210, vcc_lo, v216, s24
	s_waitcnt vmcnt(26)
	v_wmma_f32_16x16x16_bf16 v[192:199], v[81:88], v[113:120], v[192:199]
	s_waitcnt vmcnt(24)
	v_wmma_f32_16x16x16_bf16 v[129:136], v[73:80], v[113:120], v[129:136]
	v_add_co_ci_u32_e32 v211, vcc_lo, s25, v217, vcc_lo
	v_add_co_u32 v212, vcc_lo, v216, s26
	v_add_co_ci_u32_e32 v213, vcc_lo, s27, v217, vcc_lo
	v_add_co_u32 v214, vcc_lo, v216, s38
	s_waitcnt vmcnt(22)
	v_wmma_f32_16x16x16_bf16 v[192:199], v[65:72], v[144:151], v[192:199]
	s_waitcnt vmcnt(20)
	v_wmma_f32_16x16x16_bf16 v[129:136], v[57:64], v[144:151], v[129:136]
	v_add_co_ci_u32_e32 v215, vcc_lo, s39, v217, vcc_lo
	v_add_co_u32 v144, vcc_lo, v216, s36
	s_waitcnt vmcnt(18)
	v_wmma_f32_16x16x16_bf16 v[192:199], v[49:56], v[152:159], v[192:199]
	s_waitcnt vmcnt(16)
	v_wmma_f32_16x16x16_bf16 v[129:136], v[41:48], v[152:159], v[129:136]
	v_add_co_ci_u32_e32 v145, vcc_lo, s37, v217, vcc_lo
	s_clause 0x15
	global_load_b128 v[121:124], v[125:126], off
	global_load_b128 v[125:128], v[125:126], off offset:16
	global_load_b128 v[113:116], v[200:201], off
	global_load_b128 v[117:120], v[200:201], off offset:16
	;; [unrolled: 2-line block ×11, first 2 shown]
	s_waitcnt vmcnt(36)
	v_wmma_f32_16x16x16_bf16 v[192:199], v[17:24], v[160:167], v[192:199]
	s_clause 0x1
	global_load_b128 v[17:20], v[214:215], off
	global_load_b128 v[21:24], v[214:215], off offset:16
	s_waitcnt vmcnt(36)
	v_wmma_f32_16x16x16_bf16 v[129:136], v[1:8], v[160:167], v[129:136]
	s_clause 0x1
	global_load_b128 v[1:4], v[144:145], off
	global_load_b128 v[5:8], v[144:145], off offset:16
	ds_load_b128 v[144:147], v141 offset:10240
	ds_load_b128 v[148:151], v141 offset:11264
	;; [unrolled: 1-line block ×4, first 2 shown]
	v_add_co_u32 v200, vcc_lo, v216, s40
	v_add_co_ci_u32_e32 v201, vcc_lo, s41, v217, vcc_lo
	v_add_co_u32 v160, vcc_lo, v216, s2
	v_add_co_ci_u32_e32 v161, vcc_lo, s3, v217, vcc_lo
	s_lshl_b64 s[2:3], s[6:7], 1
	s_delay_alu instid0(SALU_CYCLE_1)
	v_add_co_u32 v162, vcc_lo, v216, s2
	v_add_co_ci_u32_e32 v163, vcc_lo, s3, v217, vcc_lo
	s_waitcnt vmcnt(36) lgkmcnt(2)
	v_wmma_f32_16x16x16_bf16 v[192:199], v[33:40], v[144:151], v[192:199]
	s_waitcnt vmcnt(34)
	v_wmma_f32_16x16x16_bf16 v[129:136], v[25:32], v[144:151], v[129:136]
	s_clause 0x3
	global_load_b128 v[25:28], v[200:201], off
	global_load_b128 v[29:32], v[200:201], off offset:16
	global_load_b128 v[33:36], v[160:161], off
	global_load_b128 v[37:40], v[160:161], off offset:16
	v_and_b32_e32 v144, 0xe0, v0
	v_mbcnt_lo_u32_b32 v160, -1, 0
	s_waitcnt vmcnt(36) lgkmcnt(0)
	v_wmma_f32_16x16x16_bf16 v[192:199], v[9:16], v[152:159], v[192:199]
	s_clause 0x1
	global_load_b128 v[9:12], v[162:163], off
	global_load_b128 v[13:16], v[162:163], off offset:16
	s_waitcnt vmcnt(36)
	v_wmma_f32_16x16x16_bf16 v[129:136], v[168:175], v[152:159], v[129:136]
	v_add_nc_u32_e32 v161, s31, v144
	ds_load_b128 v[144:147], v141 offset:14336
	ds_load_b128 v[148:151], v141 offset:15360
	v_xor_b32_e32 v152, 16, v160
	s_waitcnt vmcnt(0) lgkmcnt(0)
	s_barrier
	buffer_gl0_inv
	v_cmp_gt_i32_e32 vcc_lo, 32, v152
	v_cndmask_b32_e32 v152, v160, v152, vcc_lo
	v_wmma_f32_16x16x16_bf16 v[129:136], v[184:191], v[144:151], v[129:136]
	v_wmma_f32_16x16x16_bf16 v[192:199], v[176:183], v[144:151], v[192:199]
	s_delay_alu instid0(VALU_DEP_2) | instskip(SKIP_1) | instid1(VALU_DEP_3)
	v_mul_f32_e32 v170, s33, v135
	v_or_b32_e32 v153, v161, v138
	v_dual_mul_f32 v150, s33, v193 :: v_dual_mul_f32 v151, s33, v192
	s_delay_alu instid0(VALU_DEP_4) | instskip(SKIP_1) | instid1(VALU_DEP_4)
	v_dual_mul_f32 v148, s33, v195 :: v_dual_mul_f32 v149, s33, v194
	v_mul_f32_e32 v176, s33, v129
	v_or_b32_e32 v154, 2, v153
	v_or_b32_e32 v155, 4, v153
	;; [unrolled: 1-line block ×3, first 2 shown]
	v_cmp_gt_i32_e32 vcc_lo, s28, v153
	v_or_b32_e32 v157, 8, v153
	v_cmp_gt_i32_e64 s2, s28, v154
	v_or_b32_e32 v158, 10, v153
	v_cmp_gt_i32_e64 s3, s28, v155
	v_cndmask_b32_e32 v151, 0xff7fffff, v151, vcc_lo
	v_cmp_gt_i32_e64 s4, s28, v156
	v_cndmask_b32_e64 v150, 0xff7fffff, v150, s2
	v_or_b32_e32 v159, 12, v153
	v_or_b32_e32 v160, 14, v153
	v_dual_mul_f32 v146, s33, v197 :: v_dual_mul_f32 v147, s33, v196
	v_mul_f32_e32 v174, s33, v131
	v_cndmask_b32_e64 v149, 0xff7fffff, v149, s3
	v_cndmask_b32_e64 v148, 0xff7fffff, v148, s4
	v_max3_f32 v150, v151, 0xff7fffff, v150
	v_cmp_gt_i32_e64 s5, s28, v157
	v_cmp_gt_i32_e64 s6, s28, v158
	v_or_b32_e32 v161, 16, v153
	v_or_b32_e32 v162, 18, v153
	v_dual_mul_f32 v144, s33, v199 :: v_dual_mul_f32 v145, s33, v198
	v_mul_f32_e32 v172, s33, v133
	v_cndmask_b32_e64 v147, 0xff7fffff, v147, s5
	v_cndmask_b32_e64 v146, 0xff7fffff, v146, s6
	v_max3_f32 v148, v150, v149, v148
	v_cmp_gt_i32_e64 s7, s28, v159
	v_cmp_gt_i32_e64 s8, s28, v160
	v_or_b32_e32 v163, 20, v153
	v_or_b32_e32 v164, 22, v153
	v_mul_f32_e32 v175, s33, v130
	v_cndmask_b32_e64 v145, 0xff7fffff, v145, s7
	v_cndmask_b32_e64 v144, 0xff7fffff, v144, s8
	v_max3_f32 v146, v148, v147, v146
	v_cmp_gt_i32_e64 s9, s28, v161
	v_cmp_gt_i32_e64 s10, s28, v162
	v_or_b32_e32 v165, 24, v153
	v_or_b32_e32 v166, 26, v153
	;; [unrolled: 8-line block ×3, first 2 shown]
	v_mul_f32_e32 v171, s33, v134
	v_cndmask_b32_e64 v145, 0xff7fffff, v174, s11
	v_cndmask_b32_e64 v146, 0xff7fffff, v173, s12
	v_max3_f32 v144, v144, v147, v148
	v_cmp_gt_i32_e64 s13, s28, v165
	v_cmp_gt_i32_e64 s15, s28, v166
	v_mul_f32_e32 v169, s33, v136
	v_cmp_gt_i32_e64 s16, s28, v167
	v_max3_f32 v144, v144, v145, v146
	v_cndmask_b32_e64 v147, 0xff7fffff, v172, s13
	v_cndmask_b32_e64 v148, 0xff7fffff, v171, s15
	v_cmp_gt_i32_e64 s17, s28, v168
	v_cndmask_b32_e64 v145, 0xff7fffff, v170, s16
	v_lshlrev_b32_e32 v155, 2, v152
	s_delay_alu instid0(VALU_DEP_4) | instskip(NEXT) | instid1(VALU_DEP_4)
	v_max3_f32 v144, v144, v147, v148
	v_cndmask_b32_e64 v146, 0xff7fffff, v169, s17
	s_delay_alu instid0(VALU_DEP_1) | instskip(SKIP_3) | instid1(VALU_DEP_1)
	v_max3_f32 v144, v144, v145, v146
	ds_bpermute_b32 v145, v155, v144
	s_waitcnt lgkmcnt(0)
	v_max_f32_e32 v145, v145, v145
	v_max_f32_e32 v154, v144, v145
	s_delay_alu instid0(VALU_DEP_1)
	v_fma_f32 v144, s33, v192, -v154
	v_fma_f32 v146, s33, v194, -v154
	;; [unrolled: 1-line block ×5, first 2 shown]
	v_mul_f32_e32 v144, 0x3fb8aa3b, v144
	v_mul_f32_e32 v146, 0x3fb8aa3b, v146
	v_fma_f32 v152, s33, v199, -v154
	s_delay_alu instid0(VALU_DEP_4) | instskip(NEXT) | instid1(VALU_DEP_4)
	v_dual_mul_f32 v147, 0x3fb8aa3b, v147 :: v_dual_mul_f32 v148, 0x3fb8aa3b, v148
	v_exp_f32_e32 v144, v144
	s_delay_alu instid0(VALU_DEP_3) | instskip(NEXT) | instid1(VALU_DEP_2)
	v_exp_f32_e32 v149, v146
	v_mul_f32_e32 v152, 0x3fb8aa3b, v152
	s_delay_alu instid0(VALU_DEP_2)
	v_exp_f32_e32 v150, v147
	v_fma_f32 v132, s33, v132, -v154
	v_fma_f32 v151, s33, v198, -v154
	v_exp_f32_e32 v148, v148
	v_fma_f32 v136, s33, v136, -v154
	v_fma_f32 v129, s33, v129, -v154
	v_mul_f32_e32 v132, 0x3fb8aa3b, v132
	v_cndmask_b32_e32 v146, 0, v144, vcc_lo
	v_fma_f32 v144, s33, v197, -v154
	v_mul_f32_e32 v145, 0x3fb8aa3b, v145
	v_cndmask_b32_e64 v149, 0, v149, s3
	v_mul_f32_e32 v151, 0x3fb8aa3b, v151
	v_cndmask_b32_e64 v150, 0, v150, s4
	v_mul_f32_e32 v144, 0x3fb8aa3b, v144
	v_exp_f32_e32 v145, v145
	v_fma_f32 v130, s33, v130, -v154
	v_exp_f32_e32 v153, v151
	v_cndmask_b32_e64 v151, 0, v148, s5
	v_exp_f32_e32 v144, v144
	v_mul_f32_e32 v129, 0x3fb8aa3b, v129
	v_exp_f32_e32 v156, v152
	v_fma_f32 v131, s33, v131, -v154
	v_mul_f32_e32 v130, 0x3fb8aa3b, v130
	v_fma_f32 v133, s33, v133, -v154
	v_cndmask_b32_e64 v147, 0, v145, s2
	v_add_f32_e32 v145, 0, v146
	v_exp_f32_e32 v129, v129
	v_cndmask_b32_e64 v148, 0, v153, s7
	v_cndmask_b32_e64 v152, 0, v144, s6
	v_mul_f32_e32 v131, 0x3fb8aa3b, v131
	v_add_f32_e32 v145, v145, v147
	v_exp_f32_e32 v130, v130
	v_cndmask_b32_e64 v153, 0, v156, s8
	v_fma_f32 v134, s33, v134, -v154
	v_mul_f32_e32 v133, 0x3fb8aa3b, v133
	v_add_f32_e32 v145, v145, v149
	s_mov_b32 s2, exec_lo
	s_delay_alu instid0(VALU_DEP_3) | instskip(NEXT) | instid1(VALU_DEP_2)
	v_mul_f32_e32 v134, 0x3fb8aa3b, v134
	v_add_f32_e32 v145, v145, v150
	s_delay_alu instid0(VALU_DEP_1) | instskip(SKIP_2) | instid1(VALU_DEP_2)
	v_add_f32_e32 v144, v145, v151
	v_exp_f32_e32 v145, v131
	v_cndmask_b32_e64 v131, 0, v129, s9
	v_add_f32_e32 v144, v144, v152
	s_delay_alu instid0(VALU_DEP_1) | instskip(NEXT) | instid1(VALU_DEP_1)
	v_add_f32_e32 v144, v144, v148
	v_add_f32_e32 v129, v144, v153
	v_exp_f32_e32 v144, v132
	v_cndmask_b32_e64 v132, 0, v130, s10
	v_fma_f32 v130, s33, v135, -v154
	v_exp_f32_e32 v135, v133
	v_add_f32_e32 v129, v129, v131
	v_cndmask_b32_e64 v133, 0, v145, s11
	v_exp_f32_e32 v145, v134
	s_delay_alu instid0(VALU_DEP_2) | instskip(NEXT) | instid1(TRANS32_DEP_3)
	v_dual_mul_f32 v130, 0x3fb8aa3b, v130 :: v_dual_add_f32 v129, v129, v132
	v_cndmask_b32_e64 v134, 0, v144, s12
	v_mul_f32_e32 v144, 0x3fb8aa3b, v136
	s_delay_alu instid0(VALU_DEP_3) | instskip(NEXT) | instid1(TRANS32_DEP_3)
	v_exp_f32_e32 v130, v130
	v_cndmask_b32_e64 v135, 0, v135, s13
	v_add_f32_e32 v129, v129, v133
	s_delay_alu instid0(TRANS32_DEP_2) | instskip(SKIP_1) | instid1(VALU_DEP_2)
	v_cndmask_b32_e64 v136, 0, v145, s15
	v_exp_f32_e32 v145, v144
	v_add_f32_e32 v129, v129, v134
	s_waitcnt_depctr 0xfff
	v_cndmask_b32_e64 v144, 0, v130, s16
	v_add_f32_e32 v129, v129, v135
	v_cndmask_b32_e64 v145, 0, v145, s17
	s_delay_alu instid0(VALU_DEP_2) | instskip(NEXT) | instid1(VALU_DEP_1)
	v_add_f32_e32 v129, v129, v136
	v_add_f32_e32 v129, v129, v144
	s_delay_alu instid0(VALU_DEP_1)
	v_add_f32_e32 v129, v129, v145
	ds_bpermute_b32 v130, v155, v129
	v_cmpx_gt_u32_e32 16, v143
	s_cbranch_execz .LBB649_12
; %bb.11:
	v_mul_u32_u24_e32 v143, 0x44, v140
	s_delay_alu instid0(VALU_DEP_1) | instskip(SKIP_1) | instid1(VALU_DEP_1)
	v_lshl_add_u32 v143, v142, 2, v143
	s_waitcnt lgkmcnt(0)
	v_dual_add_f32 v129, v129, v130 :: v_dual_add_nc_u32 v130, 0x4000, v143
	ds_store_2addr_b32 v130, v154, v129 offset1:136
.LBB649_12:
	s_or_b32 exec_lo, exec_lo, s2
	v_lshlrev_b32_e32 v129, 2, v142
	s_waitcnt lgkmcnt(0)
	s_barrier
	buffer_gl0_inv
	v_cmp_eq_u32_e64 s2, 1, v140
	v_add_nc_u32_e32 v162, 0x4000, v129
	ds_load_2addr_b32 v[142:143], v162 offset1:17
	ds_load_2addr_b32 v[154:155], v162 offset0:34 offset1:51
	ds_load_2addr_b32 v[156:157], v162 offset0:68 offset1:85
	;; [unrolled: 1-line block ×4, first 2 shown]
	s_waitcnt lgkmcnt(4)
	v_max3_f32 v129, v142, 0xff7fffff, v143
	s_waitcnt lgkmcnt(3)
	s_delay_alu instid0(VALU_DEP_1) | instskip(SKIP_1) | instid1(VALU_DEP_1)
	v_max3_f32 v129, v129, v154, v155
	s_waitcnt lgkmcnt(2)
	v_max3_f32 v129, v129, v156, v157
	s_waitcnt lgkmcnt(1)
	s_delay_alu instid0(VALU_DEP_1) | instskip(NEXT) | instid1(VALU_DEP_1)
	v_max3_f32 v129, v129, v158, v159
	v_sub_f32_e32 v163, v143, v129
	v_sub_f32_e32 v130, v142, v129
	ds_load_2addr_b32 v[142:143], v162 offset0:170 offset1:187
	v_sub_f32_e32 v156, v156, v129
	v_dual_sub_f32 v154, v154, v129 :: v_dual_mul_f32 v163, 0x3fb8aa3b, v163
	v_mul_f32_e32 v130, 0x3fb8aa3b, v130
	s_delay_alu instid0(VALU_DEP_3) | instskip(NEXT) | instid1(VALU_DEP_3)
	v_dual_sub_f32 v158, v158, v129 :: v_dual_mul_f32 v167, 0x3fb8aa3b, v156
	v_mul_f32_e32 v165, 0x3fb8aa3b, v154
	s_delay_alu instid0(VALU_DEP_4) | instskip(NEXT) | instid1(VALU_DEP_3)
	v_exp_f32_e32 v163, v163
	v_exp_f32_e32 v164, v130
	v_sub_f32_e32 v130, v155, v129
	ds_load_2addr_b32 v[154:155], v162 offset0:204 offset1:221
	v_mul_f32_e32 v158, 0x3fb8aa3b, v158
	v_exp_f32_e32 v165, v165
	v_mul_f32_e32 v166, 0x3fb8aa3b, v130
	s_waitcnt lgkmcnt(2)
	v_fma_f32 v130, v164, v160, 0
	v_sub_f32_e32 v160, v157, v129
	s_delay_alu instid0(VALU_DEP_3)
	v_exp_f32_e32 v166, v166
	ds_load_2addr_b32 v[156:157], v162 offset0:238 offset1:255
	s_waitcnt lgkmcnt(0)
	v_fmac_f32_e32 v130, v163, v161
	v_mul_f32_e32 v160, 0x3fb8aa3b, v160
	v_exp_f32_e32 v161, v167
	s_barrier
	buffer_gl0_inv
	v_fmac_f32_e32 v130, v165, v142
	v_sub_f32_e32 v142, v159, v129
	v_exp_f32_e32 v159, v160
	s_delay_alu instid0(VALU_DEP_2) | instskip(NEXT) | instid1(VALU_DEP_2)
	v_fmac_f32_e32 v130, v166, v143
	v_mul_f32_e32 v142, 0x3fb8aa3b, v142
	v_exp_f32_e32 v143, v158
	s_delay_alu instid0(VALU_DEP_2) | instskip(NEXT) | instid1(VALU_DEP_2)
	v_fmac_f32_e32 v130, v161, v154
	v_exp_f32_e32 v142, v142
	s_delay_alu instid0(TRANS32_DEP_3) | instid1(VALU_DEP_1)
	v_fmac_f32_e32 v130, v159, v155
	s_waitcnt_depctr 0xfff
	v_fmac_f32_e32 v130, v143, v156
	s_delay_alu instid0(VALU_DEP_1) | instskip(NEXT) | instid1(VALU_DEP_1)
	v_fmac_f32_e32 v130, v142, v157
	v_add_f32_e32 v154, 0x358637bd, v130
	s_delay_alu instid0(VALU_DEP_1) | instskip(SKIP_1) | instid1(VALU_DEP_2)
	v_div_scale_f32 v155, null, v154, v154, 1.0
	v_div_scale_f32 v158, vcc_lo, 1.0, v154, 1.0
	v_rcp_f32_e32 v156, v155
	s_waitcnt_depctr 0xfff
	v_fma_f32 v157, -v155, v156, 1.0
	s_delay_alu instid0(VALU_DEP_1) | instskip(SKIP_2) | instid1(VALU_DEP_3)
	v_fmac_f32_e32 v156, v157, v156
	v_cndmask_b32_e64 v157, v164, v163, s2
	v_cmp_eq_u32_e64 s2, 2, v140
	v_mul_f32_e32 v160, v158, v156
	s_delay_alu instid0(VALU_DEP_2) | instskip(SKIP_1) | instid1(VALU_DEP_3)
	v_cndmask_b32_e64 v157, v157, v165, s2
	v_cmp_eq_u32_e64 s2, 3, v140
	v_fma_f32 v162, -v155, v160, v158
	s_delay_alu instid0(VALU_DEP_2) | instskip(SKIP_1) | instid1(VALU_DEP_3)
	v_cndmask_b32_e64 v157, v157, v166, s2
	v_cmp_eq_u32_e64 s2, 4, v140
	v_fmac_f32_e32 v160, v162, v156
	s_delay_alu instid0(VALU_DEP_2) | instskip(NEXT) | instid1(VALU_DEP_2)
	v_cndmask_b32_e64 v157, v157, v161, s2
	v_fma_f32 v155, -v155, v160, v158
	v_cmp_eq_u32_e64 s2, 5, v140
	s_delay_alu instid0(VALU_DEP_2) | instskip(NEXT) | instid1(VALU_DEP_2)
	v_div_fmas_f32 v155, v155, v156, v160
	v_cndmask_b32_e64 v157, v157, v159, s2
	v_cmp_eq_u32_e32 vcc_lo, 6, v140
	s_delay_alu instid0(VALU_DEP_3) | instskip(NEXT) | instid1(VALU_DEP_3)
	v_div_fixup_f32 v154, v155, v154, 1.0
	v_cndmask_b32_e32 v143, v157, v143, vcc_lo
	v_cmp_eq_u32_e32 vcc_lo, 7, v140
	s_delay_alu instid0(VALU_DEP_2) | instskip(NEXT) | instid1(VALU_DEP_1)
	v_cndmask_b32_e32 v142, v143, v142, vcc_lo
	v_mul_f32_e32 v142, v142, v154
	s_delay_alu instid0(VALU_DEP_1)
	v_mul_f32_e32 v154, v142, v146
	v_mul_f32_e32 v146, v142, v153
	;; [unrolled: 1-line block ×5, first 2 shown]
	v_and_b32_e32 v143, 0x7f800000, v154
	v_mul_f32_e32 v153, v142, v150
	v_mul_f32_e32 v150, v142, v149
	;; [unrolled: 1-line block ×3, first 2 shown]
	s_delay_alu instid0(VALU_DEP_4) | instskip(SKIP_1) | instid1(SALU_CYCLE_1)
	v_cmp_ne_u32_e32 vcc_lo, 0x7f800000, v143
                                        ; implicit-def: $vgpr143
	s_and_saveexec_b32 s2, vcc_lo
	s_xor_b32 s2, exec_lo, s2
; %bb.13:
	v_bfe_u32 v143, v154, 16, 1
	s_delay_alu instid0(VALU_DEP_1)
	v_add3_u32 v143, v154, v143, 0x7fff
                                        ; implicit-def: $vgpr154
; %bb.14:
	s_and_not1_saveexec_b32 s2, s2
; %bb.15:
	v_and_b32_e32 v143, 0xffff, v154
	v_or_b32_e32 v147, 0x10000, v154
	s_delay_alu instid0(VALU_DEP_2) | instskip(NEXT) | instid1(VALU_DEP_2)
	v_cmp_eq_u32_e32 vcc_lo, 0, v143
	v_cndmask_b32_e32 v143, v147, v154, vcc_lo
; %bb.16:
	s_or_b32 exec_lo, exec_lo, s2
	v_and_b32_e32 v147, 0x7f800000, v149
	s_delay_alu instid0(VALU_DEP_1) | instskip(SKIP_1) | instid1(SALU_CYCLE_1)
	v_cmp_ne_u32_e32 vcc_lo, 0x7f800000, v147
                                        ; implicit-def: $vgpr147
	s_and_saveexec_b32 s2, vcc_lo
	s_xor_b32 s2, exec_lo, s2
; %bb.17:
	v_bfe_u32 v147, v149, 16, 1
	s_delay_alu instid0(VALU_DEP_1)
	v_add3_u32 v147, v149, v147, 0x7fff
                                        ; implicit-def: $vgpr149
; %bb.18:
	s_and_not1_saveexec_b32 s2, s2
; %bb.19:
	v_and_b32_e32 v147, 0xffff, v149
	v_or_b32_e32 v154, 0x10000, v149
	s_delay_alu instid0(VALU_DEP_2) | instskip(NEXT) | instid1(VALU_DEP_2)
	v_cmp_eq_u32_e32 vcc_lo, 0, v147
	v_cndmask_b32_e32 v147, v154, v149, vcc_lo
; %bb.20:
	s_or_b32 exec_lo, exec_lo, s2
	v_and_b32_e32 v149, 0x7f800000, v150
	s_delay_alu instid0(VALU_DEP_1) | instskip(SKIP_1) | instid1(SALU_CYCLE_1)
	v_cmp_ne_u32_e32 vcc_lo, 0x7f800000, v149
                                        ; implicit-def: $vgpr149
	s_and_saveexec_b32 s2, vcc_lo
	s_xor_b32 s2, exec_lo, s2
; %bb.21:
	v_bfe_u32 v149, v150, 16, 1
	s_delay_alu instid0(VALU_DEP_1)
	v_add3_u32 v149, v150, v149, 0x7fff
                                        ; implicit-def: $vgpr150
; %bb.22:
	s_and_not1_saveexec_b32 s2, s2
; %bb.23:
	v_and_b32_e32 v149, 0xffff, v150
	v_or_b32_e32 v154, 0x10000, v150
	s_delay_alu instid0(VALU_DEP_2) | instskip(NEXT) | instid1(VALU_DEP_2)
	v_cmp_eq_u32_e32 vcc_lo, 0, v149
	v_cndmask_b32_e32 v149, v154, v150, vcc_lo
; %bb.24:
	s_or_b32 exec_lo, exec_lo, s2
	v_and_b32_e32 v150, 0x7f800000, v153
	s_delay_alu instid0(VALU_DEP_1) | instskip(SKIP_1) | instid1(SALU_CYCLE_1)
	v_cmp_ne_u32_e32 vcc_lo, 0x7f800000, v150
                                        ; implicit-def: $vgpr150
	s_and_saveexec_b32 s2, vcc_lo
	s_xor_b32 s2, exec_lo, s2
; %bb.25:
	v_bfe_u32 v150, v153, 16, 1
	s_delay_alu instid0(VALU_DEP_1)
	v_add3_u32 v150, v153, v150, 0x7fff
                                        ; implicit-def: $vgpr153
; %bb.26:
	s_and_not1_saveexec_b32 s2, s2
; %bb.27:
	v_and_b32_e32 v150, 0xffff, v153
	v_or_b32_e32 v154, 0x10000, v153
	s_delay_alu instid0(VALU_DEP_2) | instskip(NEXT) | instid1(VALU_DEP_2)
	v_cmp_eq_u32_e32 vcc_lo, 0, v150
	v_cndmask_b32_e32 v150, v154, v153, vcc_lo
; %bb.28:
	s_or_b32 exec_lo, exec_lo, s2
	v_and_b32_e32 v153, 0x7f800000, v151
	s_delay_alu instid0(VALU_DEP_1) | instskip(SKIP_1) | instid1(SALU_CYCLE_1)
	v_cmp_ne_u32_e32 vcc_lo, 0x7f800000, v153
                                        ; implicit-def: $vgpr153
	s_and_saveexec_b32 s2, vcc_lo
	s_xor_b32 s2, exec_lo, s2
; %bb.29:
	v_bfe_u32 v153, v151, 16, 1
	s_delay_alu instid0(VALU_DEP_1)
	v_add3_u32 v153, v151, v153, 0x7fff
                                        ; implicit-def: $vgpr151
; %bb.30:
	s_and_not1_saveexec_b32 s2, s2
; %bb.31:
	v_and_b32_e32 v153, 0xffff, v151
	v_or_b32_e32 v154, 0x10000, v151
	s_delay_alu instid0(VALU_DEP_2) | instskip(NEXT) | instid1(VALU_DEP_2)
	v_cmp_eq_u32_e32 vcc_lo, 0, v153
	v_cndmask_b32_e32 v153, v154, v151, vcc_lo
; %bb.32:
	s_or_b32 exec_lo, exec_lo, s2
	v_and_b32_e32 v151, 0x7f800000, v152
	s_delay_alu instid0(VALU_DEP_1) | instskip(SKIP_1) | instid1(SALU_CYCLE_1)
	v_cmp_ne_u32_e32 vcc_lo, 0x7f800000, v151
                                        ; implicit-def: $vgpr151
	s_and_saveexec_b32 s2, vcc_lo
	s_xor_b32 s2, exec_lo, s2
; %bb.33:
	v_bfe_u32 v151, v152, 16, 1
	s_delay_alu instid0(VALU_DEP_1)
	v_add3_u32 v151, v152, v151, 0x7fff
                                        ; implicit-def: $vgpr152
; %bb.34:
	s_and_not1_saveexec_b32 s2, s2
; %bb.35:
	v_and_b32_e32 v151, 0xffff, v152
	v_or_b32_e32 v154, 0x10000, v152
	s_delay_alu instid0(VALU_DEP_2) | instskip(NEXT) | instid1(VALU_DEP_2)
	v_cmp_eq_u32_e32 vcc_lo, 0, v151
	v_cndmask_b32_e32 v151, v154, v152, vcc_lo
; %bb.36:
	s_or_b32 exec_lo, exec_lo, s2
	v_and_b32_e32 v152, 0x7f800000, v148
	s_delay_alu instid0(VALU_DEP_1) | instskip(SKIP_1) | instid1(SALU_CYCLE_1)
	v_cmp_ne_u32_e32 vcc_lo, 0x7f800000, v152
                                        ; implicit-def: $vgpr152
	s_and_saveexec_b32 s2, vcc_lo
	s_xor_b32 s2, exec_lo, s2
; %bb.37:
	v_bfe_u32 v152, v148, 16, 1
	s_delay_alu instid0(VALU_DEP_1)
	v_add3_u32 v152, v148, v152, 0x7fff
                                        ; implicit-def: $vgpr148
; %bb.38:
	s_and_not1_saveexec_b32 s2, s2
; %bb.39:
	v_and_b32_e32 v152, 0xffff, v148
	v_or_b32_e32 v154, 0x10000, v148
	s_delay_alu instid0(VALU_DEP_2) | instskip(NEXT) | instid1(VALU_DEP_2)
	v_cmp_eq_u32_e32 vcc_lo, 0, v152
	v_cndmask_b32_e32 v152, v154, v148, vcc_lo
; %bb.40:
	s_or_b32 exec_lo, exec_lo, s2
	v_and_b32_e32 v148, 0x7f800000, v146
	s_delay_alu instid0(VALU_DEP_1) | instskip(SKIP_1) | instid1(SALU_CYCLE_1)
	v_cmp_ne_u32_e32 vcc_lo, 0x7f800000, v148
                                        ; implicit-def: $vgpr148
	s_and_saveexec_b32 s2, vcc_lo
	s_xor_b32 s2, exec_lo, s2
; %bb.41:
	v_bfe_u32 v148, v146, 16, 1
	s_delay_alu instid0(VALU_DEP_1)
	v_add3_u32 v148, v146, v148, 0x7fff
                                        ; implicit-def: $vgpr146
; %bb.42:
	s_and_not1_saveexec_b32 s2, s2
; %bb.43:
	v_and_b32_e32 v148, 0xffff, v146
	v_or_b32_e32 v154, 0x10000, v146
	s_delay_alu instid0(VALU_DEP_2) | instskip(NEXT) | instid1(VALU_DEP_2)
	v_cmp_eq_u32_e32 vcc_lo, 0, v148
	v_cndmask_b32_e32 v148, v154, v146, vcc_lo
; %bb.44:
	s_or_b32 exec_lo, exec_lo, s2
	s_load_b64 s[34:35], s[0:1], 0x94
	v_lshlrev_b32_e32 v146, 4, v138
	s_delay_alu instid0(VALU_DEP_2)
	v_perm_b32 v152, v148, v152, 0x7060302
	v_lshlrev_b32_e32 v148, 11, v140
	v_perm_b32 v150, v150, v149, 0x7060302
	v_perm_b32 v149, v147, v143, 0x7060302
	v_mul_f32_e32 v143, v142, v145
	v_mul_f32_e32 v147, v142, v131
	v_perm_b32 v151, v151, v153, 0x7060302
	v_or3_b32 v131, v146, v148, v141
	v_mul_f32_e32 v144, v142, v144
	v_mul_f32_e32 v136, v142, v136
	v_dual_mul_f32 v145, v142, v134 :: v_dual_and_b32 v148, 0x7f800000, v147
	v_mul_f32_e32 v135, v142, v135
	v_mul_f32_e32 v146, v142, v133
	;; [unrolled: 1-line block ×3, first 2 shown]
	s_mov_b32 s2, exec_lo
	ds_store_b128 v131, v[149:152]
                                        ; implicit-def: $vgpr132
	v_cmpx_ne_u32_e32 0x7f800000, v148
	s_xor_b32 s2, exec_lo, s2
; %bb.45:
	v_bfe_u32 v132, v147, 16, 1
	s_delay_alu instid0(VALU_DEP_1)
	v_add3_u32 v132, v147, v132, 0x7fff
                                        ; implicit-def: $vgpr147
; %bb.46:
	s_and_not1_saveexec_b32 s2, s2
; %bb.47:
	v_and_b32_e32 v132, 0xffff, v147
	v_or_b32_e32 v133, 0x10000, v147
	s_delay_alu instid0(VALU_DEP_2) | instskip(NEXT) | instid1(VALU_DEP_2)
	v_cmp_eq_u32_e32 vcc_lo, 0, v132
	v_cndmask_b32_e32 v132, v133, v147, vcc_lo
; %bb.48:
	s_or_b32 exec_lo, exec_lo, s2
	v_and_b32_e32 v133, 0x7f800000, v134
	s_delay_alu instid0(VALU_DEP_1) | instskip(SKIP_1) | instid1(SALU_CYCLE_1)
	v_cmp_ne_u32_e32 vcc_lo, 0x7f800000, v133
                                        ; implicit-def: $vgpr133
	s_and_saveexec_b32 s2, vcc_lo
	s_xor_b32 s2, exec_lo, s2
; %bb.49:
	v_bfe_u32 v133, v134, 16, 1
	s_delay_alu instid0(VALU_DEP_1)
	v_add3_u32 v133, v134, v133, 0x7fff
                                        ; implicit-def: $vgpr134
; %bb.50:
	s_and_not1_saveexec_b32 s2, s2
; %bb.51:
	v_and_b32_e32 v133, 0xffff, v134
	v_or_b32_e32 v142, 0x10000, v134
	s_delay_alu instid0(VALU_DEP_2) | instskip(NEXT) | instid1(VALU_DEP_2)
	v_cmp_eq_u32_e32 vcc_lo, 0, v133
	v_cndmask_b32_e32 v133, v142, v134, vcc_lo
; %bb.52:
	s_or_b32 exec_lo, exec_lo, s2
	v_and_b32_e32 v134, 0x7f800000, v146
	s_delay_alu instid0(VALU_DEP_1) | instskip(SKIP_1) | instid1(SALU_CYCLE_1)
	v_cmp_ne_u32_e32 vcc_lo, 0x7f800000, v134
                                        ; implicit-def: $vgpr134
	s_and_saveexec_b32 s2, vcc_lo
	s_xor_b32 s2, exec_lo, s2
; %bb.53:
	v_bfe_u32 v134, v146, 16, 1
	s_delay_alu instid0(VALU_DEP_1)
	v_add3_u32 v134, v146, v134, 0x7fff
                                        ; implicit-def: $vgpr146
; %bb.54:
	s_and_not1_saveexec_b32 s2, s2
; %bb.55:
	v_and_b32_e32 v134, 0xffff, v146
	v_or_b32_e32 v142, 0x10000, v146
	s_delay_alu instid0(VALU_DEP_2) | instskip(NEXT) | instid1(VALU_DEP_2)
	v_cmp_eq_u32_e32 vcc_lo, 0, v134
	v_cndmask_b32_e32 v134, v142, v146, vcc_lo
; %bb.56:
	s_or_b32 exec_lo, exec_lo, s2
	v_and_b32_e32 v142, 0x7f800000, v145
	s_delay_alu instid0(VALU_DEP_1) | instskip(SKIP_1) | instid1(SALU_CYCLE_1)
	v_cmp_ne_u32_e32 vcc_lo, 0x7f800000, v142
                                        ; implicit-def: $vgpr142
	s_and_saveexec_b32 s2, vcc_lo
	s_xor_b32 s2, exec_lo, s2
; %bb.57:
	v_bfe_u32 v142, v145, 16, 1
	s_delay_alu instid0(VALU_DEP_1)
	v_add3_u32 v142, v145, v142, 0x7fff
                                        ; implicit-def: $vgpr145
; %bb.58:
	s_and_not1_saveexec_b32 s2, s2
; %bb.59:
	v_and_b32_e32 v142, 0xffff, v145
	v_or_b32_e32 v146, 0x10000, v145
	s_delay_alu instid0(VALU_DEP_2) | instskip(NEXT) | instid1(VALU_DEP_2)
	v_cmp_eq_u32_e32 vcc_lo, 0, v142
	v_cndmask_b32_e32 v142, v146, v145, vcc_lo
; %bb.60:
	s_or_b32 exec_lo, exec_lo, s2
	v_and_b32_e32 v145, 0x7f800000, v135
	s_delay_alu instid0(VALU_DEP_1) | instskip(SKIP_1) | instid1(SALU_CYCLE_1)
	v_cmp_ne_u32_e32 vcc_lo, 0x7f800000, v145
                                        ; implicit-def: $vgpr145
	s_and_saveexec_b32 s2, vcc_lo
	s_xor_b32 s2, exec_lo, s2
; %bb.61:
	v_bfe_u32 v145, v135, 16, 1
	s_delay_alu instid0(VALU_DEP_1)
	v_add3_u32 v145, v135, v145, 0x7fff
                                        ; implicit-def: $vgpr135
; %bb.62:
	s_and_not1_saveexec_b32 s2, s2
; %bb.63:
	v_and_b32_e32 v145, 0xffff, v135
	v_or_b32_e32 v146, 0x10000, v135
	s_delay_alu instid0(VALU_DEP_2) | instskip(NEXT) | instid1(VALU_DEP_2)
	v_cmp_eq_u32_e32 vcc_lo, 0, v145
	v_cndmask_b32_e32 v145, v146, v135, vcc_lo
; %bb.64:
	s_or_b32 exec_lo, exec_lo, s2
	v_and_b32_e32 v135, 0x7f800000, v136
	s_delay_alu instid0(VALU_DEP_1) | instskip(SKIP_1) | instid1(SALU_CYCLE_1)
	v_cmp_ne_u32_e32 vcc_lo, 0x7f800000, v135
                                        ; implicit-def: $vgpr135
	s_and_saveexec_b32 s2, vcc_lo
	s_xor_b32 s2, exec_lo, s2
; %bb.65:
	v_bfe_u32 v135, v136, 16, 1
	s_delay_alu instid0(VALU_DEP_1)
	v_add3_u32 v135, v136, v135, 0x7fff
                                        ; implicit-def: $vgpr136
; %bb.66:
	s_and_not1_saveexec_b32 s2, s2
; %bb.67:
	v_and_b32_e32 v135, 0xffff, v136
	v_or_b32_e32 v146, 0x10000, v136
	s_delay_alu instid0(VALU_DEP_2) | instskip(NEXT) | instid1(VALU_DEP_2)
	v_cmp_eq_u32_e32 vcc_lo, 0, v135
	v_cndmask_b32_e32 v135, v146, v136, vcc_lo
; %bb.68:
	s_or_b32 exec_lo, exec_lo, s2
	v_and_b32_e32 v136, 0x7f800000, v144
	s_delay_alu instid0(VALU_DEP_1) | instskip(SKIP_1) | instid1(SALU_CYCLE_1)
	v_cmp_ne_u32_e32 vcc_lo, 0x7f800000, v136
                                        ; implicit-def: $vgpr136
	s_and_saveexec_b32 s2, vcc_lo
	s_xor_b32 s2, exec_lo, s2
; %bb.69:
	v_bfe_u32 v136, v144, 16, 1
	s_delay_alu instid0(VALU_DEP_1)
	v_add3_u32 v136, v144, v136, 0x7fff
                                        ; implicit-def: $vgpr144
; %bb.70:
	s_and_not1_saveexec_b32 s2, s2
; %bb.71:
	v_and_b32_e32 v136, 0xffff, v144
	v_or_b32_e32 v146, 0x10000, v144
	s_delay_alu instid0(VALU_DEP_2) | instskip(NEXT) | instid1(VALU_DEP_2)
	v_cmp_eq_u32_e32 vcc_lo, 0, v136
	v_cndmask_b32_e32 v136, v146, v144, vcc_lo
; %bb.72:
	s_or_b32 exec_lo, exec_lo, s2
	v_and_b32_e32 v144, 0x7f800000, v143
	s_delay_alu instid0(VALU_DEP_1) | instskip(SKIP_1) | instid1(SALU_CYCLE_1)
	v_cmp_ne_u32_e32 vcc_lo, 0x7f800000, v144
                                        ; implicit-def: $vgpr144
	s_and_saveexec_b32 s2, vcc_lo
	s_xor_b32 s2, exec_lo, s2
; %bb.73:
	v_bfe_u32 v144, v143, 16, 1
	s_delay_alu instid0(VALU_DEP_1)
	v_add3_u32 v144, v143, v144, 0x7fff
                                        ; implicit-def: $vgpr143
; %bb.74:
	s_and_not1_saveexec_b32 s2, s2
; %bb.75:
	v_and_b32_e32 v144, 0xffff, v143
	v_or_b32_e32 v146, 0x10000, v143
	s_delay_alu instid0(VALU_DEP_2) | instskip(NEXT) | instid1(VALU_DEP_2)
	v_cmp_eq_u32_e32 vcc_lo, 0, v144
	v_cndmask_b32_e32 v144, v146, v143, vcc_lo
; %bb.76:
	s_or_b32 exec_lo, exec_lo, s2
	s_delay_alu instid0(VALU_DEP_1)
	v_perm_b32 v136, v144, v136, 0x7060302
	v_perm_b32 v135, v135, v145, 0x7060302
	;; [unrolled: 1-line block ×4, first 2 shown]
	v_lshl_or_b32 v144, v140, 11, v141
	ds_store_b128 v131, v[133:136] offset:1024
	s_waitcnt lgkmcnt(0)
	s_barrier
	buffer_gl0_inv
	ds_load_b128 v[132:135], v144
	ds_load_b128 v[146:149], v144 offset:16
	s_waitcnt lgkmcnt(1)
	v_lshrrev_b32_e32 v159, 16, v134
	v_lshlrev_b32_e32 v142, 2, v138
	v_lshrrev_b32_e32 v136, 16, v132
	v_lshrrev_b32_e32 v158, 16, v133
	s_waitcnt lgkmcnt(0)
	v_lshrrev_b32_e32 v154, 16, v146
	v_lshrrev_b32_e32 v160, 16, v147
	v_or_b32_e32 v143, 1, v142
	v_lshrrev_b32_e32 v162, 16, v148
	v_lshrrev_b32_e32 v163, 16, v149
	;; [unrolled: 1-line block ×3, first 2 shown]
	s_delay_alu instid0(VALU_DEP_4)
	v_cmp_eq_u32_e64 s6, 1, v143
	v_cmp_eq_u32_e64 s5, 2, v143
	;; [unrolled: 1-line block ×4, first 2 shown]
	v_cmp_eq_u32_e32 vcc_lo, 5, v143
	v_cndmask_b32_e64 v151, v132, v136, s6
	v_cndmask_b32_e64 v152, v146, v154, s6
	v_cmp_eq_u32_e64 s3, 6, v143
	v_cmp_eq_u32_e64 s18, 7, v143
	s_delay_alu instid0(VALU_DEP_4) | instskip(NEXT) | instid1(VALU_DEP_4)
	v_cndmask_b32_e64 v151, v151, v133, s5
	v_cndmask_b32_e64 v152, v152, v147, s5
	s_delay_alu instid0(VALU_DEP_2) | instskip(NEXT) | instid1(VALU_DEP_2)
	v_cndmask_b32_e64 v151, v151, v158, s4
	v_cndmask_b32_e64 v152, v152, v160, s4
	s_delay_alu instid0(VALU_DEP_2) | instskip(NEXT) | instid1(VALU_DEP_2)
	v_cndmask_b32_e64 v151, v151, v134, s2
	v_cndmask_b32_e64 v152, v152, v148, s2
	s_delay_alu instid0(VALU_DEP_2)
	v_cndmask_b32_e32 v151, v151, v159, vcc_lo
	v_cmp_eq_u32_e64 s11, 1, v142
	v_cmp_eq_u32_e64 s10, 2, v142
	;; [unrolled: 1-line block ×3, first 2 shown]
	v_or_b32_e32 v140, 2, v142
	v_cmp_eq_u32_e64 s16, 4, v142
	v_cndmask_b32_e64 v150, v146, v154, s11
	v_cndmask_b32_e64 v145, v132, v136, s11
	v_cmp_eq_u32_e64 s12, 5, v142
	v_cmp_eq_u32_e64 s7, 1, v140
	;; [unrolled: 1-line block ×3, first 2 shown]
	v_cndmask_b32_e64 v150, v150, v147, s10
	v_cndmask_b32_e64 v145, v145, v133, s10
	v_cmp_eq_u32_e64 s9, 2, v140
	v_cndmask_b32_e64 v153, v132, v136, s7
	v_cmp_eq_u32_e64 s8, 7, v142
	v_cndmask_b32_e64 v150, v150, v160, s15
	v_cndmask_b32_e64 v145, v145, v158, s15
	v_cmp_eq_u32_e64 s17, 3, v140
	v_cndmask_b32_e64 v153, v153, v133, s9
	v_cndmask_b32_e64 v151, v151, v135, s3
	;; [unrolled: 1-line block ×4, first 2 shown]
	v_cmp_eq_u32_e64 s19, 4, v140
	v_cndmask_b32_e64 v153, v153, v158, s17
	v_cndmask_b32_e64 v166, v151, v161, s18
	;; [unrolled: 1-line block ×4, first 2 shown]
	v_cndmask_b32_e32 v155, v152, v162, vcc_lo
	v_cndmask_b32_e64 v157, v153, v134, s19
	v_cmp_eq_u32_e64 s21, 5, v140
	v_cndmask_b32_e64 v150, v150, v149, s13
	v_cndmask_b32_e64 v145, v145, v135, s13
	v_cmp_eq_u32_e64 s24, 6, v140
	v_cmp_eq_u32_e64 s26, 7, v140
	v_cndmask_b32_e64 v167, v157, v159, s21
	v_cndmask_b32_e64 v165, v150, v163, s8
	;; [unrolled: 1-line block ×4, first 2 shown]
	v_or_b32_e32 v145, 3, v142
	s_delay_alu instid0(VALU_DEP_3)
	v_cndmask_b32_e64 v156, v150, v147, s9
	ds_load_b128 v[150:153], v144 offset:1024
	v_cmp_eq_u32_e64 s20, 1, v145
	v_cmp_eq_u32_e64 s22, 2, v145
	;; [unrolled: 1-line block ×3, first 2 shown]
	v_cndmask_b32_e64 v156, v156, v160, s17
	v_cmp_eq_u32_e64 s25, 4, v145
	v_cndmask_b32_e64 v132, v132, v136, s20
	v_cndmask_b32_e64 v136, v155, v149, s3
	;; [unrolled: 1-line block ×4, first 2 shown]
	ds_load_b128 v[154:157], v144 offset:1040
	v_cndmask_b32_e64 v132, v132, v133, s22
	v_cmp_eq_u32_e64 s27, 5, v145
	v_cndmask_b32_e64 v146, v146, v147, s22
	v_cmp_eq_u32_e64 s28, 6, v145
	v_cndmask_b32_e64 v133, v168, v162, s21
	v_cndmask_b32_e64 v132, v132, v158, s23
	;; [unrolled: 1-line block ×5, first 2 shown]
	s_waitcnt lgkmcnt(1)
	v_lshrrev_b32_e32 v158, 16, v150
	v_cndmask_b32_e64 v132, v132, v134, s25
	v_cndmask_b32_e64 v133, v133, v149, s24
	;; [unrolled: 1-line block ×6, first 2 shown]
	v_lshrrev_b32_e32 v159, 16, v151
	v_cndmask_b32_e64 v160, v150, v158, s6
	v_cndmask_b32_e64 v134, v134, v162, s27
	s_waitcnt lgkmcnt(0)
	v_lshrrev_b32_e32 v148, 16, v154
	v_cndmask_b32_e64 v146, v146, v151, s10
	v_cndmask_b32_e64 v132, v132, v135, s28
	;; [unrolled: 1-line block ×7, first 2 shown]
	v_lshrrev_b32_e32 v160, 16, v155
	s_delay_alu instid0(VALU_DEP_4) | instskip(SKIP_1) | instid1(VALU_DEP_4)
	v_cndmask_b32_e64 v149, v162, v155, s10
	v_cmp_eq_u32_e64 s10, 7, v145
	v_cndmask_b32_e64 v146, v146, v159, s4
	v_cndmask_b32_e64 v135, v135, v152, s16
	v_lshrrev_b32_e32 v162, 16, v152
	v_cndmask_b32_e64 v149, v149, v160, s15
	v_cndmask_b32_e64 v132, v132, v161, s10
	;; [unrolled: 1-line block ×6, first 2 shown]
	v_lshrrev_b32_e32 v163, 16, v156
	v_perm_b32 v135, v134, v132, 0x5040100
	v_cndmask_b32_e32 v132, v146, v162, vcc_lo
	v_cndmask_b32_e64 v146, v161, v153, s13
	v_lshrrev_b32_e32 v161, 16, v153
	v_cndmask_b32_e64 v149, v149, v163, s12
	v_perm_b32 v134, v133, v147, 0x5040100
	v_cndmask_b32_e64 v132, v132, v153, s3
	v_perm_b32 v133, v136, v166, 0x5040100
	v_cndmask_b32_e64 v136, v146, v161, s8
	v_cndmask_b32_e64 v146, v149, v157, s13
	;; [unrolled: 1-line block ×27, first 2 shown]
	v_cndmask_b32_e32 v148, v148, v163, vcc_lo
	v_lshrrev_b32_e32 v147, 16, v157
	v_cndmask_b32_e64 v132, v132, v153, s24
	v_cndmask_b32_e64 v149, v149, v153, s28
	;; [unrolled: 1-line block ×11, first 2 shown]
	v_perm_b32 v132, v165, v164, 0x5040100
	v_perm_b32 v149, v150, v149, 0x5040100
	;; [unrolled: 1-line block ×5, first 2 shown]
	s_lshl_b32 s7, s35, 4
	s_mov_b32 s2, exec_lo
	ds_store_b128 v131, v[132:135]
	ds_store_b128 v131, v[146:149] offset:1024
	v_cmpx_gt_u32_e32 16, v0
	s_cbranch_execz .LBB649_78
; %bb.77:
	v_or_b32_e32 v131, s29, v0
	s_load_b128 s[8:11], s[0:1], 0x58
	s_delay_alu instid0(VALU_DEP_1) | instskip(NEXT) | instid1(VALU_DEP_1)
	v_mad_u64_u32 v[132:133], null, s7, s30, v[131:132]
	v_mad_u64_u32 v[133:134], null, v132, s34, s[14:15]
	s_delay_alu instid0(VALU_DEP_1) | instskip(NEXT) | instid1(VALU_DEP_1)
	v_ashrrev_i32_e32 v134, 31, v133
	v_lshlrev_b64 v[131:132], 2, v[133:134]
	s_waitcnt lgkmcnt(0)
	s_delay_alu instid0(VALU_DEP_1) | instskip(NEXT) | instid1(VALU_DEP_2)
	v_add_co_u32 v133, vcc_lo, s10, v131
	v_add_co_ci_u32_e32 v134, vcc_lo, s11, v132, vcc_lo
	v_add_co_u32 v131, vcc_lo, s8, v131
	v_add_co_ci_u32_e32 v132, vcc_lo, s9, v132, vcc_lo
	global_store_b32 v[133:134], v129, off
	global_store_b32 v[131:132], v130, off
.LBB649_78:
	s_or_b32 exec_lo, exec_lo, s2
	s_waitcnt lgkmcnt(0)
	s_waitcnt_vscnt null, 0x0
	s_barrier
	buffer_gl0_inv
	ds_load_b128 v[146:149], v141
	ds_load_b128 v[150:153], v141 offset:16
	ds_load_b128 v[158:161], v141 offset:1040
	;; [unrolled: 1-line block ×3, first 2 shown]
	v_mov_b32_e32 v129, 0
	ds_load_b128 v[166:169], v141 offset:2064
	ds_load_b128 v[162:165], v141 offset:2048
	;; [unrolled: 1-line block ×6, first 2 shown]
	v_mov_b32_e32 v130, v129
	v_mov_b32_e32 v131, v129
	;; [unrolled: 1-line block ×7, first 2 shown]
	s_waitcnt lgkmcnt(8)
	s_delay_alu instid0(VALU_DEP_1)
	v_wmma_f32_16x16x16_bf16 v[129:136], v[121:128], v[146:153], v[129:136]
	ds_load_b128 v[125:128], v141 offset:5136
	ds_load_b128 v[121:124], v141 offset:5120
	s_waitcnt lgkmcnt(8)
	v_wmma_f32_16x16x16_bf16 v[129:136], v[113:120], v[154:161], v[129:136]
	ds_load_b128 v[117:120], v141 offset:6160
	ds_load_b128 v[113:116], v141 offset:6144
	s_waitcnt lgkmcnt(8)
	;; [unrolled: 4-line block ×8, first 2 shown]
	v_wmma_f32_16x16x16_bf16 v[129:136], v[65:72], v[97:104], v[129:136]
	s_waitcnt lgkmcnt(6)
	s_delay_alu instid0(VALU_DEP_1)
	v_wmma_f32_16x16x16_bf16 v[129:136], v[49:56], v[89:96], v[129:136]
	ds_load_b128 v[53:56], v141 offset:13328
	ds_load_b128 v[49:52], v141 offset:13312
	s_waitcnt lgkmcnt(6)
	v_wmma_f32_16x16x16_bf16 v[129:136], v[41:48], v[81:88], v[129:136]
	ds_load_b128 v[45:48], v141 offset:14352
	ds_load_b128 v[41:44], v141 offset:14336
	s_waitcnt lgkmcnt(6)
	;; [unrolled: 4-line block ×3, first 2 shown]
	v_wmma_f32_16x16x16_bf16 v[129:136], v[1:8], v[57:64], v[129:136]
	s_waitcnt lgkmcnt(4)
	s_delay_alu instid0(VALU_DEP_1) | instskip(SKIP_1) | instid1(VALU_DEP_1)
	v_wmma_f32_16x16x16_bf16 v[129:136], v[25:32], v[49:56], v[129:136]
	s_waitcnt lgkmcnt(2)
	v_wmma_f32_16x16x16_bf16 v[129:136], v[33:40], v[41:48], v[129:136]
	s_waitcnt lgkmcnt(0)
	s_delay_alu instid0(VALU_DEP_1) | instskip(NEXT) | instid1(VALU_DEP_1)
	v_wmma_f32_16x16x16_bf16 v[129:136], v[9:16], v[17:24], v[129:136]
	v_and_b32_e32 v1, 0x7f800000, v129
	s_delay_alu instid0(VALU_DEP_1) | instskip(SKIP_1) | instid1(SALU_CYCLE_1)
	v_cmp_ne_u32_e32 vcc_lo, 0x7f800000, v1
                                        ; implicit-def: $vgpr1
	s_and_saveexec_b32 s2, vcc_lo
	s_xor_b32 s2, exec_lo, s2
; %bb.79:
	v_bfe_u32 v1, v129, 16, 1
	s_delay_alu instid0(VALU_DEP_1)
	v_add3_u32 v1, v129, v1, 0x7fff
; %bb.80:
	s_and_not1_saveexec_b32 s2, s2
; %bb.81:
	v_and_b32_e32 v1, 0xffff, v129
	v_or_b32_e32 v2, 0x10000, v129
	s_delay_alu instid0(VALU_DEP_2) | instskip(NEXT) | instid1(VALU_DEP_2)
	v_cmp_eq_u32_e32 vcc_lo, 0, v1
	v_cndmask_b32_e32 v1, v2, v129, vcc_lo
; %bb.82:
	s_or_b32 exec_lo, exec_lo, s2
	v_and_b32_e32 v2, 0x7f800000, v130
	s_delay_alu instid0(VALU_DEP_1) | instskip(SKIP_1) | instid1(SALU_CYCLE_1)
	v_cmp_ne_u32_e32 vcc_lo, 0x7f800000, v2
                                        ; implicit-def: $vgpr2
	s_and_saveexec_b32 s2, vcc_lo
	s_xor_b32 s2, exec_lo, s2
; %bb.83:
	v_bfe_u32 v2, v130, 16, 1
	s_delay_alu instid0(VALU_DEP_1)
	v_add3_u32 v2, v130, v2, 0x7fff
; %bb.84:
	s_and_not1_saveexec_b32 s2, s2
; %bb.85:
	v_and_b32_e32 v2, 0xffff, v130
	v_or_b32_e32 v3, 0x10000, v130
	s_delay_alu instid0(VALU_DEP_2) | instskip(NEXT) | instid1(VALU_DEP_2)
	v_cmp_eq_u32_e32 vcc_lo, 0, v2
	v_cndmask_b32_e32 v2, v3, v130, vcc_lo
; %bb.86:
	s_or_b32 exec_lo, exec_lo, s2
	v_and_b32_e32 v3, 0x7f800000, v131
	s_delay_alu instid0(VALU_DEP_1) | instskip(SKIP_1) | instid1(SALU_CYCLE_1)
	v_cmp_ne_u32_e32 vcc_lo, 0x7f800000, v3
                                        ; implicit-def: $vgpr3
	s_and_saveexec_b32 s2, vcc_lo
	s_xor_b32 s2, exec_lo, s2
; %bb.87:
	v_bfe_u32 v3, v131, 16, 1
	s_delay_alu instid0(VALU_DEP_1)
	v_add3_u32 v3, v131, v3, 0x7fff
; %bb.88:
	s_and_not1_saveexec_b32 s2, s2
; %bb.89:
	v_and_b32_e32 v3, 0xffff, v131
	v_or_b32_e32 v4, 0x10000, v131
	s_delay_alu instid0(VALU_DEP_2) | instskip(NEXT) | instid1(VALU_DEP_2)
	v_cmp_eq_u32_e32 vcc_lo, 0, v3
	v_cndmask_b32_e32 v3, v4, v131, vcc_lo
; %bb.90:
	s_or_b32 exec_lo, exec_lo, s2
	v_and_b32_e32 v4, 0x7f800000, v132
	s_delay_alu instid0(VALU_DEP_1) | instskip(SKIP_1) | instid1(SALU_CYCLE_1)
	v_cmp_ne_u32_e32 vcc_lo, 0x7f800000, v4
                                        ; implicit-def: $vgpr4
	s_and_saveexec_b32 s2, vcc_lo
	s_xor_b32 s2, exec_lo, s2
; %bb.91:
	v_bfe_u32 v4, v132, 16, 1
	s_delay_alu instid0(VALU_DEP_1)
	v_add3_u32 v4, v132, v4, 0x7fff
; %bb.92:
	s_and_not1_saveexec_b32 s2, s2
; %bb.93:
	v_and_b32_e32 v4, 0xffff, v132
	v_or_b32_e32 v5, 0x10000, v132
	s_delay_alu instid0(VALU_DEP_2) | instskip(NEXT) | instid1(VALU_DEP_2)
	v_cmp_eq_u32_e32 vcc_lo, 0, v4
	v_cndmask_b32_e32 v4, v5, v132, vcc_lo
; %bb.94:
	s_or_b32 exec_lo, exec_lo, s2
	v_and_b32_e32 v5, 0x7f800000, v133
	s_delay_alu instid0(VALU_DEP_1) | instskip(SKIP_1) | instid1(SALU_CYCLE_1)
	v_cmp_ne_u32_e32 vcc_lo, 0x7f800000, v5
                                        ; implicit-def: $vgpr5
	s_and_saveexec_b32 s2, vcc_lo
	s_xor_b32 s2, exec_lo, s2
; %bb.95:
	v_bfe_u32 v5, v133, 16, 1
	s_delay_alu instid0(VALU_DEP_1)
	v_add3_u32 v5, v133, v5, 0x7fff
; %bb.96:
	s_and_not1_saveexec_b32 s2, s2
; %bb.97:
	v_and_b32_e32 v5, 0xffff, v133
	v_or_b32_e32 v6, 0x10000, v133
	s_delay_alu instid0(VALU_DEP_2) | instskip(NEXT) | instid1(VALU_DEP_2)
	v_cmp_eq_u32_e32 vcc_lo, 0, v5
	v_cndmask_b32_e32 v5, v6, v133, vcc_lo
; %bb.98:
	s_or_b32 exec_lo, exec_lo, s2
	v_and_b32_e32 v6, 0x7f800000, v134
	s_delay_alu instid0(VALU_DEP_1) | instskip(SKIP_1) | instid1(SALU_CYCLE_1)
	v_cmp_ne_u32_e32 vcc_lo, 0x7f800000, v6
                                        ; implicit-def: $vgpr6
	s_and_saveexec_b32 s2, vcc_lo
	s_xor_b32 s2, exec_lo, s2
; %bb.99:
	v_bfe_u32 v6, v134, 16, 1
	s_delay_alu instid0(VALU_DEP_1)
	v_add3_u32 v6, v134, v6, 0x7fff
; %bb.100:
	s_and_not1_saveexec_b32 s2, s2
; %bb.101:
	v_and_b32_e32 v6, 0xffff, v134
	v_or_b32_e32 v7, 0x10000, v134
	s_delay_alu instid0(VALU_DEP_2) | instskip(NEXT) | instid1(VALU_DEP_2)
	v_cmp_eq_u32_e32 vcc_lo, 0, v6
	v_cndmask_b32_e32 v6, v7, v134, vcc_lo
; %bb.102:
	s_or_b32 exec_lo, exec_lo, s2
	v_and_b32_e32 v7, 0x7f800000, v135
	s_delay_alu instid0(VALU_DEP_1) | instskip(SKIP_1) | instid1(SALU_CYCLE_1)
	v_cmp_ne_u32_e32 vcc_lo, 0x7f800000, v7
                                        ; implicit-def: $vgpr7
	s_and_saveexec_b32 s2, vcc_lo
	s_xor_b32 s2, exec_lo, s2
; %bb.103:
	v_bfe_u32 v7, v135, 16, 1
	s_delay_alu instid0(VALU_DEP_1)
	v_add3_u32 v7, v135, v7, 0x7fff
; %bb.104:
	s_and_not1_saveexec_b32 s2, s2
; %bb.105:
	v_and_b32_e32 v7, 0xffff, v135
	v_or_b32_e32 v8, 0x10000, v135
	s_delay_alu instid0(VALU_DEP_2) | instskip(NEXT) | instid1(VALU_DEP_2)
	v_cmp_eq_u32_e32 vcc_lo, 0, v7
	v_cndmask_b32_e32 v7, v8, v135, vcc_lo
; %bb.106:
	s_or_b32 exec_lo, exec_lo, s2
	v_and_b32_e32 v8, 0x7f800000, v136
	s_delay_alu instid0(VALU_DEP_1) | instskip(SKIP_1) | instid1(SALU_CYCLE_1)
	v_cmp_ne_u32_e32 vcc_lo, 0x7f800000, v8
                                        ; implicit-def: $vgpr8
	s_and_saveexec_b32 s2, vcc_lo
	s_xor_b32 s2, exec_lo, s2
; %bb.107:
	v_bfe_u32 v8, v136, 16, 1
	s_delay_alu instid0(VALU_DEP_1)
	v_add3_u32 v8, v136, v8, 0x7fff
                                        ; implicit-def: $vgpr129_vgpr130_vgpr131_vgpr132_vgpr133_vgpr134_vgpr135_vgpr136
; %bb.108:
	s_and_not1_saveexec_b32 s2, s2
; %bb.109:
	v_and_b32_e32 v8, 0xffff, v136
	v_or_b32_e32 v9, 0x10000, v136
	s_delay_alu instid0(VALU_DEP_2) | instskip(NEXT) | instid1(VALU_DEP_2)
	v_cmp_eq_u32_e32 vcc_lo, 0, v8
	v_cndmask_b32_e32 v8, v9, v136, vcc_lo
; %bb.110:
	s_or_b32 exec_lo, exec_lo, s2
	s_delay_alu instid0(VALU_DEP_1)
	v_perm_b32 v7, v8, v7, 0x7060302
	v_perm_b32 v6, v6, v5, 0x7060302
	;; [unrolled: 1-line block ×4, first 2 shown]
	v_lshl_or_b32 v9, v138, 4, v144
	s_barrier
	buffer_gl0_inv
	v_cmp_eq_u32_e32 vcc_lo, 1, v142
	ds_store_b128 v9, v[4:7]
	s_waitcnt lgkmcnt(0)
	s_barrier
	buffer_gl0_inv
	ds_load_b128 v[1:4], v144
	ds_load_b128 v[5:8], v144 offset:16
	v_cmp_eq_u32_e64 s3, 2, v142
	v_cmp_eq_u32_e64 s2, 1, v143
	;; [unrolled: 1-line block ×5, first 2 shown]
	s_waitcnt lgkmcnt(1)
	v_lshrrev_b32_e32 v10, 16, v1
	s_waitcnt lgkmcnt(0)
	v_lshrrev_b32_e32 v14, 16, v5
	v_lshrrev_b32_e32 v15, 16, v6
	;; [unrolled: 1-line block ×4, first 2 shown]
	v_cndmask_b32_e64 v20, v1, v10, s2
	v_cndmask_b32_e32 v19, v5, v14, vcc_lo
	v_cndmask_b32_e64 v21, v5, v14, s2
	v_lshrrev_b32_e32 v16, 16, v7
	v_cmp_eq_u32_e64 s2, 1, v140
	v_lshrrev_b32_e32 v13, 16, v4
	v_cndmask_b32_e64 v19, v19, v6, s3
	v_lshrrev_b32_e32 v17, 16, v8
	s_delay_alu instid0(VALU_DEP_4) | instskip(SKIP_1) | instid1(VALU_DEP_4)
	v_cndmask_b32_e64 v22, v1, v10, s2
	v_cndmask_b32_e64 v23, v5, v14, s2
	;; [unrolled: 1-line block ×3, first 2 shown]
	v_cndmask_b32_e32 v18, v1, v10, vcc_lo
	v_cmp_eq_u32_e32 vcc_lo, 2, v143
	v_cmp_eq_u32_e64 s2, 2, v145
	v_cndmask_b32_e64 v22, v22, v2, s6
	v_cndmask_b32_e32 v20, v20, v2, vcc_lo
	v_cndmask_b32_e32 v21, v21, v6, vcc_lo
	v_cmp_eq_u32_e32 vcc_lo, 4, v142
	v_cndmask_b32_e32 v19, v19, v7, vcc_lo
	v_cndmask_b32_e64 v18, v18, v2, s3
	v_cmp_eq_u32_e64 s3, 3, v143
	s_delay_alu instid0(VALU_DEP_2) | instskip(NEXT) | instid1(VALU_DEP_2)
	v_cndmask_b32_e64 v18, v18, v11, s4
	v_cndmask_b32_e64 v21, v21, v15, s3
	v_cmp_eq_u32_e64 s4, 5, v142
	s_delay_alu instid0(VALU_DEP_3) | instskip(SKIP_1) | instid1(VALU_DEP_3)
	v_cndmask_b32_e32 v18, v18, v3, vcc_lo
	v_cmp_eq_u32_e32 vcc_lo, 4, v143
	v_cndmask_b32_e64 v19, v19, v16, s4
	s_delay_alu instid0(VALU_DEP_3) | instskip(SKIP_4) | instid1(VALU_DEP_3)
	v_cndmask_b32_e64 v18, v18, v12, s4
	v_cndmask_b32_e32 v21, v21, v7, vcc_lo
	v_cndmask_b32_e64 v20, v20, v11, s3
	v_cmp_eq_u32_e64 s3, 5, v143
	v_cmp_eq_u32_e64 s4, 6, v142
	v_cndmask_b32_e32 v20, v20, v3, vcc_lo
	s_delay_alu instid0(VALU_DEP_3) | instskip(SKIP_1) | instid1(VALU_DEP_4)
	v_cndmask_b32_e64 v21, v21, v16, s3
	v_cmp_eq_u32_e32 vcc_lo, 6, v143
	v_cndmask_b32_e64 v18, v18, v4, s4
	v_cndmask_b32_e64 v19, v19, v8, s4
	;; [unrolled: 1-line block ×3, first 2 shown]
	v_cmp_eq_u32_e64 s3, 1, v145
	v_cmp_eq_u32_e64 s4, 7, v142
	s_delay_alu instid0(VALU_DEP_3) | instskip(NEXT) | instid1(VALU_DEP_3)
	v_cndmask_b32_e32 v20, v20, v4, vcc_lo
	v_cndmask_b32_e64 v1, v1, v10, s3
	v_cndmask_b32_e64 v5, v5, v14, s3
	v_cmp_eq_u32_e64 s3, 3, v140
	v_cndmask_b32_e64 v14, v23, v6, s6
	v_cmp_eq_u32_e64 s6, 3, v145
	v_cndmask_b32_e64 v1, v1, v2, s2
	v_cndmask_b32_e64 v2, v5, v6, s2
	;; [unrolled: 1-line block ×3, first 2 shown]
	v_cmp_eq_u32_e64 s2, 4, v140
	v_cndmask_b32_e64 v6, v14, v15, s3
	v_cndmask_b32_e64 v1, v1, v11, s6
	v_cmp_eq_u32_e64 s3, 4, v145
	v_cndmask_b32_e64 v2, v2, v15, s6
	v_cndmask_b32_e64 v5, v10, v3, s2
	;; [unrolled: 3-line block ×3, first 2 shown]
	v_cndmask_b32_e64 v2, v2, v7, s3
	v_cmp_eq_u32_e64 s2, 5, v145
	v_cndmask_b32_e64 v5, v5, v12, s6
	v_cmp_eq_u32_e64 s3, 6, v140
	;; [unrolled: 2-line block ×3, first 2 shown]
	v_cndmask_b32_e64 v1, v1, v12, s2
	v_cndmask_b32_e64 v2, v2, v16, s2
	;; [unrolled: 1-line block ×4, first 2 shown]
	v_cmp_eq_u32_e64 s2, 7, v145
	v_cndmask_b32_e64 v1, v1, v4, s6
	v_cndmask_b32_e64 v2, v2, v8, s6
	v_cmp_eq_u32_e64 s3, 7, v140
	v_cndmask_b32_e32 v4, v21, v8, vcc_lo
	v_cndmask_b32_e64 v18, v18, v13, s4
	v_cndmask_b32_e64 v20, v20, v13, s5
	;; [unrolled: 1-line block ×8, first 2 shown]
	s_mov_b32 s2, exec_lo
	v_perm_b32 v4, v2, v1, 0x5040100
	v_perm_b32 v3, v3, v5, 0x5040100
	;; [unrolled: 1-line block ×4, first 2 shown]
	ds_store_b128 v9, v[1:4]
	s_waitcnt lgkmcnt(0)
	s_barrier
	buffer_gl0_inv
	v_cmpx_gt_u32_e32 32, v0
	s_cbranch_execz .LBB649_2
; %bb.111:
	s_load_b64 s[0:1], s[0:1], 0x68
	v_lshlrev_b32_e32 v0, 10, v0
	s_lshl_b32 s4, s34, 7
	v_or_b32_e32 v23, s29, v138
	s_mul_i32 s2, s4, s30
	v_lshlrev_b32_e32 v1, 4, v139
	v_lshlrev_b32_e32 v2, 6, v138
	s_mul_i32 s2, s2, s7
	v_and_b32_e32 v0, 0x3800, v0
	v_mul_lo_u32 v8, v23, s4
	s_ashr_i32 s3, s2, 31
	v_or_b32_e32 v3, 2, v23
	s_lshl_b64 s[2:3], s[2:3], 1
	v_or3_b32 v27, v0, v1, v2
	v_or_b32_e32 v11, 4, v23
	v_or_b32_e32 v18, 6, v23
	v_mul_lo_u32 v10, v3, s4
	v_ashrrev_i32_e32 v9, 31, v8
	ds_load_b128 v[0:3], v27
	ds_load_b128 v[4:7], v27 offset:128
	v_mul_lo_u32 v12, v11, s4
	s_waitcnt lgkmcnt(0)
	s_add_u32 s2, s0, s2
	s_addc_u32 s3, s1, s3
	s_lshl_b32 s0, s14, 7
	v_lshlrev_b64 v[8:9], 1, v[8:9]
	s_ashr_i32 s1, s0, 31
	v_ashrrev_i32_e32 v11, 31, v10
	s_lshl_b64 s[0:1], s[0:1], 1
	v_ashrrev_i32_e32 v13, 31, v12
	s_add_u32 s0, s2, s0
	s_addc_u32 s1, s3, s1
	v_add_co_u32 v30, s0, s0, v137
	s_delay_alu instid0(VALU_DEP_1) | instskip(SKIP_1) | instid1(VALU_DEP_3)
	v_add_co_ci_u32_e64 v31, null, s1, 0, s0
	v_lshlrev_b64 v[16:17], 1, v[10:11]
	v_add_co_u32 v14, vcc_lo, v30, v8
	s_delay_alu instid0(VALU_DEP_3)
	v_add_co_ci_u32_e32 v15, vcc_lo, v31, v9, vcc_lo
	ds_load_b128 v[8:11], v27 offset:256
	v_mul_lo_u32 v18, v18, s4
	v_or_b32_e32 v19, 8, v23
	v_add_co_u32 v16, vcc_lo, v30, v16
	global_store_b128 v[14:15], v[0:3], off
	v_lshlrev_b64 v[0:1], 1, v[12:13]
	v_add_co_ci_u32_e32 v17, vcc_lo, v31, v17, vcc_lo
	v_mul_lo_u32 v12, v19, s4
	v_ashrrev_i32_e32 v19, 31, v18
	v_or_b32_e32 v14, 10, v23
	global_store_b128 v[16:17], v[4:7], off
	v_add_co_u32 v4, vcc_lo, v30, v0
	v_add_co_ci_u32_e32 v5, vcc_lo, v31, v1, vcc_lo
	ds_load_b128 v[0:3], v27 offset:384
	v_ashrrev_i32_e32 v13, 31, v12
	v_lshlrev_b64 v[6:7], 1, v[18:19]
	v_mul_lo_u32 v14, v14, s4
	s_waitcnt lgkmcnt(1)
	global_store_b128 v[4:5], v[8:11], off
	v_or_b32_e32 v8, 12, v23
	v_lshlrev_b64 v[4:5], 1, v[12:13]
	v_add_co_u32 v20, vcc_lo, v30, v6
	v_or_b32_e32 v6, 14, v23
	v_ashrrev_i32_e32 v15, 31, v14
	v_mul_lo_u32 v22, v8, s4
	v_add_co_ci_u32_e32 v21, vcc_lo, v31, v7, vcc_lo
	v_add_co_u32 v24, vcc_lo, v30, v4
	v_mul_lo_u32 v26, v6, s4
	v_add_co_ci_u32_e32 v25, vcc_lo, v31, v5, vcc_lo
	v_lshlrev_b64 v[28:29], 1, v[14:15]
	ds_load_b128 v[4:7], v27 offset:512
	ds_load_b128 v[8:11], v27 offset:640
	;; [unrolled: 1-line block ×4, first 2 shown]
	v_ashrrev_i32_e32 v23, 31, v22
	v_ashrrev_i32_e32 v27, 31, v26
	v_add_co_u32 v28, vcc_lo, v30, v28
	s_delay_alu instid0(VALU_DEP_3) | instskip(SKIP_1) | instid1(VALU_DEP_4)
	v_lshlrev_b64 v[22:23], 1, v[22:23]
	v_add_co_ci_u32_e32 v29, vcc_lo, v31, v29, vcc_lo
	v_lshlrev_b64 v[26:27], 1, v[26:27]
	s_delay_alu instid0(VALU_DEP_3) | instskip(NEXT) | instid1(VALU_DEP_4)
	v_add_co_u32 v22, vcc_lo, v30, v22
	v_add_co_ci_u32_e32 v23, vcc_lo, v31, v23, vcc_lo
	s_delay_alu instid0(VALU_DEP_3) | instskip(NEXT) | instid1(VALU_DEP_4)
	v_add_co_u32 v26, vcc_lo, v30, v26
	v_add_co_ci_u32_e32 v27, vcc_lo, v31, v27, vcc_lo
	s_waitcnt lgkmcnt(4)
	global_store_b128 v[20:21], v[0:3], off
	s_waitcnt lgkmcnt(3)
	global_store_b128 v[24:25], v[4:7], off
	;; [unrolled: 2-line block ×5, first 2 shown]
	s_nop 0
	s_sendmsg sendmsg(MSG_DEALLOC_VGPRS)
	s_endpgm
	.section	.rodata,"a",@progbits
	.p2align	6, 0x0
	.amdhsa_kernel _Z39paged_attention_ll4mi_QKV_mfma16_kernelI14__hip_bfloat16S0_LN4vllm18Fp8KVCacheDataTypeE0ES0_Li16ELi128ELi256ELb1ELi16EL8MFMAType0EEvPKT_PKT0_S9_ifPKiSB_SB_iPKfiiiPfSE_PS4_PT2_iSD_SD_
		.amdhsa_group_segment_fixed_size 17472
		.amdhsa_private_segment_fixed_size 0
		.amdhsa_kernarg_size 400
		.amdhsa_user_sgpr_count 13
		.amdhsa_user_sgpr_dispatch_ptr 0
		.amdhsa_user_sgpr_queue_ptr 0
		.amdhsa_user_sgpr_kernarg_segment_ptr 1
		.amdhsa_user_sgpr_dispatch_id 0
		.amdhsa_user_sgpr_private_segment_size 0
		.amdhsa_wavefront_size32 1
		.amdhsa_uses_dynamic_stack 0
		.amdhsa_enable_private_segment 0
		.amdhsa_system_sgpr_workgroup_id_x 1
		.amdhsa_system_sgpr_workgroup_id_y 1
		.amdhsa_system_sgpr_workgroup_id_z 1
		.amdhsa_system_sgpr_workgroup_info 0
		.amdhsa_system_vgpr_workitem_id 0
		.amdhsa_next_free_vgpr 218
		.amdhsa_next_free_sgpr 50
		.amdhsa_reserve_vcc 1
		.amdhsa_float_round_mode_32 0
		.amdhsa_float_round_mode_16_64 0
		.amdhsa_float_denorm_mode_32 3
		.amdhsa_float_denorm_mode_16_64 3
		.amdhsa_dx10_clamp 1
		.amdhsa_ieee_mode 1
		.amdhsa_fp16_overflow 0
		.amdhsa_workgroup_processor_mode 1
		.amdhsa_memory_ordered 1
		.amdhsa_forward_progress 0
		.amdhsa_shared_vgpr_count 0
		.amdhsa_exception_fp_ieee_invalid_op 0
		.amdhsa_exception_fp_denorm_src 0
		.amdhsa_exception_fp_ieee_div_zero 0
		.amdhsa_exception_fp_ieee_overflow 0
		.amdhsa_exception_fp_ieee_underflow 0
		.amdhsa_exception_fp_ieee_inexact 0
		.amdhsa_exception_int_div_zero 0
	.end_amdhsa_kernel
	.section	.text._Z39paged_attention_ll4mi_QKV_mfma16_kernelI14__hip_bfloat16S0_LN4vllm18Fp8KVCacheDataTypeE0ES0_Li16ELi128ELi256ELb1ELi16EL8MFMAType0EEvPKT_PKT0_S9_ifPKiSB_SB_iPKfiiiPfSE_PS4_PT2_iSD_SD_,"axG",@progbits,_Z39paged_attention_ll4mi_QKV_mfma16_kernelI14__hip_bfloat16S0_LN4vllm18Fp8KVCacheDataTypeE0ES0_Li16ELi128ELi256ELb1ELi16EL8MFMAType0EEvPKT_PKT0_S9_ifPKiSB_SB_iPKfiiiPfSE_PS4_PT2_iSD_SD_,comdat
.Lfunc_end649:
	.size	_Z39paged_attention_ll4mi_QKV_mfma16_kernelI14__hip_bfloat16S0_LN4vllm18Fp8KVCacheDataTypeE0ES0_Li16ELi128ELi256ELb1ELi16EL8MFMAType0EEvPKT_PKT0_S9_ifPKiSB_SB_iPKfiiiPfSE_PS4_PT2_iSD_SD_, .Lfunc_end649-_Z39paged_attention_ll4mi_QKV_mfma16_kernelI14__hip_bfloat16S0_LN4vllm18Fp8KVCacheDataTypeE0ES0_Li16ELi128ELi256ELb1ELi16EL8MFMAType0EEvPKT_PKT0_S9_ifPKiSB_SB_iPKfiiiPfSE_PS4_PT2_iSD_SD_
                                        ; -- End function
	.section	.AMDGPU.csdata,"",@progbits
; Kernel info:
; codeLenInByte = 10488
; NumSgprs: 52
; NumVgprs: 218
; ScratchSize: 0
; MemoryBound: 0
; FloatMode: 240
; IeeeMode: 1
; LDSByteSize: 17472 bytes/workgroup (compile time only)
; SGPRBlocks: 6
; VGPRBlocks: 27
; NumSGPRsForWavesPerEU: 52
; NumVGPRsForWavesPerEU: 218
; Occupancy: 6
; WaveLimiterHint : 1
; COMPUTE_PGM_RSRC2:SCRATCH_EN: 0
; COMPUTE_PGM_RSRC2:USER_SGPR: 13
; COMPUTE_PGM_RSRC2:TRAP_HANDLER: 0
; COMPUTE_PGM_RSRC2:TGID_X_EN: 1
; COMPUTE_PGM_RSRC2:TGID_Y_EN: 1
; COMPUTE_PGM_RSRC2:TGID_Z_EN: 1
; COMPUTE_PGM_RSRC2:TIDIG_COMP_CNT: 0
	.section	.text._Z35paged_attention_ll4mi_reduce_kernelI14__hip_bfloat16S0_Li128ELi128ELi256ELi1EEvPT0_PKfS4_PKT_PKiS9_iS4_,"axG",@progbits,_Z35paged_attention_ll4mi_reduce_kernelI14__hip_bfloat16S0_Li128ELi128ELi256ELi1EEvPT0_PKfS4_PKT_PKiS9_iS4_,comdat
	.protected	_Z35paged_attention_ll4mi_reduce_kernelI14__hip_bfloat16S0_Li128ELi128ELi256ELi1EEvPT0_PKfS4_PKT_PKiS9_iS4_ ; -- Begin function _Z35paged_attention_ll4mi_reduce_kernelI14__hip_bfloat16S0_Li128ELi128ELi256ELi1EEvPT0_PKfS4_PKT_PKiS9_iS4_
	.globl	_Z35paged_attention_ll4mi_reduce_kernelI14__hip_bfloat16S0_Li128ELi128ELi256ELi1EEvPT0_PKfS4_PKT_PKiS9_iS4_
	.p2align	8
	.type	_Z35paged_attention_ll4mi_reduce_kernelI14__hip_bfloat16S0_Li128ELi128ELi256ELi1EEvPT0_PKfS4_PKT_PKiS9_iS4_,@function
_Z35paged_attention_ll4mi_reduce_kernelI14__hip_bfloat16S0_Li128ELi128ELi256ELi1EEvPT0_PKfS4_PKT_PKiS9_iS4_: ; @_Z35paged_attention_ll4mi_reduce_kernelI14__hip_bfloat16S0_Li128ELi128ELi256ELi1EEvPT0_PKfS4_PKT_PKiS9_iS4_
; %bb.0:
	s_load_b64 s[16:17], s[0:1], 0x28
	s_mov_b32 s12, s15
	s_waitcnt lgkmcnt(0)
	s_cmp_lg_u64 s[16:17], 0
	s_cselect_b32 s15, -1, 0
	s_delay_alu instid0(SALU_CYCLE_1)
	s_and_b32 vcc_lo, exec_lo, s15
	s_cbranch_vccz .LBB650_20
; %bb.1:
	s_add_i32 s2, s12, 1
	s_mov_b32 s3, 0
	s_delay_alu instid0(SALU_CYCLE_1) | instskip(SKIP_4) | instid1(SALU_CYCLE_1)
	s_lshl_b64 s[4:5], s[2:3], 2
	s_mov_b32 s13, s3
	s_add_u32 s4, s16, s4
	s_addc_u32 s5, s17, s5
	s_lshl_b64 s[6:7], s[12:13], 2
	s_add_u32 s6, s16, s6
	s_addc_u32 s7, s17, s7
	s_clause 0x1
	s_load_b32 s2, s[4:5], 0x0
	s_load_b32 s4, s[6:7], 0x0
	s_waitcnt lgkmcnt(0)
	s_sub_i32 s2, s2, s4
	s_delay_alu instid0(SALU_CYCLE_1)
	s_cmp_eq_u32 s2, 1
	s_cselect_b32 s2, -1, 0
	s_cbranch_execnz .LBB650_3
.LBB650_2:
	s_mov_b32 s13, 0
	s_mov_b32 s2, -1
.LBB650_3:
	s_delay_alu instid0(SALU_CYCLE_1)
	s_and_not1_b32 vcc_lo, exec_lo, s2
	s_cbranch_vccz .LBB650_5
; %bb.4:
	s_endpgm
.LBB650_5:
	s_clause 0x1
	s_load_b128 s[4:7], s[0:1], 0x18
	s_load_b32 s8, s[0:1], 0x30
	s_lshl_b64 s[18:19], s[12:13], 2
	s_waitcnt lgkmcnt(0)
	s_add_u32 s2, s6, s18
	s_addc_u32 s3, s7, s19
	s_mov_b32 s7, exec_lo
	s_load_b32 s23, s[2:3], 0x0
	s_load_b32 s22, s[0:1], 0x40
	s_waitcnt lgkmcnt(0)
	s_add_i32 s3, s23, 0xff
	s_delay_alu instid0(SALU_CYCLE_1) | instskip(NEXT) | instid1(SALU_CYCLE_1)
	s_ashr_i32 s2, s3, 31
	s_lshr_b32 s6, s2, 24
	s_mul_i32 s2, s12, s8
	s_add_i32 s3, s3, s6
	s_mul_i32 s6, s14, s8
	v_cmpx_lt_u32_e32 31, v0
	s_xor_b32 s7, exec_lo, s7
	s_delay_alu instid0(SALU_CYCLE_1)
	s_or_saveexec_b32 s24, s7
	v_mov_b32_e32 v1, s6
	s_ashr_i32 s3, s3, 8
	s_mul_i32 s20, s2, s22
	s_xor_b32 exec_lo, exec_lo, s24
	s_cbranch_execz .LBB650_9
; %bb.6:
	s_load_b128 s[8:11], s[0:1], 0x8
	s_mov_b32 s21, 0
	v_cmp_gt_i32_e32 vcc_lo, s3, v0
	s_lshl_b64 s[26:27], s[20:21], 2
	s_mov_b32 s7, s21
	s_waitcnt lgkmcnt(0)
	s_add_u32 s2, s10, s26
	s_addc_u32 s21, s11, s27
	s_lshl_b64 s[10:11], s[6:7], 2
	s_delay_alu instid0(SALU_CYCLE_1) | instskip(SKIP_2) | instid1(SALU_CYCLE_1)
	s_add_u32 s2, s2, s10
	s_addc_u32 s7, s21, s11
	s_add_i32 s21, s3, -1
	v_cndmask_b32_e32 v1, s21, v0, vcc_lo
	s_delay_alu instid0(VALU_DEP_1) | instskip(NEXT) | instid1(VALU_DEP_1)
	v_ashrrev_i32_e32 v2, 31, v1
	v_lshlrev_b64 v[1:2], 2, v[1:2]
	s_delay_alu instid0(VALU_DEP_1) | instskip(NEXT) | instid1(VALU_DEP_1)
	v_add_co_u32 v3, s2, s2, v1
	v_add_co_ci_u32_e64 v4, s2, s7, v2, s2
	s_add_u32 s2, s8, s26
	s_addc_u32 s7, s9, s27
	s_add_u32 s2, s2, s10
	global_load_b32 v3, v[3:4], off
	s_addc_u32 s7, s7, s11
	v_add_co_u32 v1, s2, s2, v1
	s_delay_alu instid0(VALU_DEP_1) | instskip(SKIP_2) | instid1(VALU_DEP_1)
	v_add_co_ci_u32_e64 v2, s2, s7, v2, s2
	global_load_b32 v1, v[1:2], off
	v_mbcnt_lo_u32_b32 v2, -1, 0
	v_xor_b32_e32 v4, 16, v2
	v_xor_b32_e32 v6, 8, v2
	;; [unrolled: 1-line block ×5, first 2 shown]
	v_cmp_gt_i32_e64 s2, 32, v4
	s_delay_alu instid0(VALU_DEP_1) | instskip(SKIP_1) | instid1(VALU_DEP_2)
	v_cndmask_b32_e64 v4, v2, v4, s2
	v_cmp_gt_i32_e64 s2, 32, v6
	v_lshlrev_b32_e32 v4, 2, v4
	s_delay_alu instid0(VALU_DEP_2) | instskip(SKIP_1) | instid1(VALU_DEP_2)
	v_cndmask_b32_e64 v6, v2, v6, s2
	v_cmp_gt_i32_e64 s2, 32, v8
	v_lshlrev_b32_e32 v6, 2, v6
	s_delay_alu instid0(VALU_DEP_2) | instskip(SKIP_1) | instid1(VALU_DEP_2)
	;; [unrolled: 4-line block ×3, first 2 shown]
	v_cndmask_b32_e64 v9, v2, v9, s2
	v_cmp_gt_i32_e64 s2, 32, v10
	v_lshlrev_b32_e32 v9, 2, v9
	s_delay_alu instid0(VALU_DEP_2) | instskip(SKIP_1) | instid1(VALU_DEP_1)
	v_cndmask_b32_e64 v2, v2, v10, s2
	s_waitcnt vmcnt(1)
	v_dual_max_f32 v7, v3, v3 :: v_dual_lshlrev_b32 v2, 2, v2
	ds_bpermute_b32 v5, v4, v3
	s_waitcnt lgkmcnt(0)
	v_max_f32_e32 v5, v5, v5
	s_delay_alu instid0(VALU_DEP_1) | instskip(SKIP_3) | instid1(VALU_DEP_1)
	v_max_f32_e32 v5, v7, v5
	ds_bpermute_b32 v7, v6, v5
	s_waitcnt lgkmcnt(0)
	v_max_f32_e32 v7, v7, v7
	v_max_f32_e32 v5, v5, v7
	ds_bpermute_b32 v7, v8, v5
	s_waitcnt lgkmcnt(0)
	v_max_f32_e32 v7, v7, v7
	s_delay_alu instid0(VALU_DEP_1) | instskip(SKIP_3) | instid1(VALU_DEP_1)
	v_max_f32_e32 v5, v5, v7
	ds_bpermute_b32 v7, v9, v5
	s_waitcnt lgkmcnt(0)
	v_max_f32_e32 v7, v7, v7
	v_max_f32_e32 v5, v5, v7
	ds_bpermute_b32 v7, v2, v5
	s_waitcnt lgkmcnt(0)
	v_max_f32_e32 v7, v7, v7
	s_delay_alu instid0(VALU_DEP_1) | instskip(NEXT) | instid1(VALU_DEP_1)
	v_max_f32_e32 v5, v5, v7
	v_sub_f32_e32 v3, v3, v5
	s_delay_alu instid0(VALU_DEP_1) | instskip(SKIP_1) | instid1(VALU_DEP_2)
	v_mul_f32_e32 v5, 0x3fb8aa3b, v3
	v_cmp_ngt_f32_e64 s2, 0xc2ce8ed0, v3
	v_fma_f32 v7, 0x3fb8aa3b, v3, -v5
	v_rndne_f32_e32 v10, v5
	s_delay_alu instid0(VALU_DEP_2) | instskip(NEXT) | instid1(VALU_DEP_2)
	v_fmamk_f32 v7, v3, 0x32a5705f, v7
	v_sub_f32_e32 v5, v5, v10
	s_delay_alu instid0(VALU_DEP_1) | instskip(SKIP_1) | instid1(VALU_DEP_2)
	v_add_f32_e32 v5, v5, v7
	v_cvt_i32_f32_e32 v7, v10
	v_exp_f32_e32 v5, v5
	s_waitcnt_depctr 0xfff
	v_ldexp_f32 v5, v5, v7
	s_delay_alu instid0(VALU_DEP_1) | instskip(SKIP_1) | instid1(VALU_DEP_1)
	v_cndmask_b32_e64 v5, 0, v5, s2
	v_cmp_nlt_f32_e64 s2, 0x42b17218, v3
	v_cndmask_b32_e64 v3, 0x7f800000, v5, s2
	s_mov_b32 s2, exec_lo
	s_delay_alu instid0(VALU_DEP_1) | instskip(SKIP_1) | instid1(VALU_DEP_1)
	v_cndmask_b32_e32 v3, 0, v3, vcc_lo
	s_waitcnt vmcnt(0)
	v_mul_f32_e32 v3, v3, v1
	ds_bpermute_b32 v1, v4, v3
	s_waitcnt lgkmcnt(0)
	v_add_f32_e32 v1, v3, v1
	ds_bpermute_b32 v4, v6, v1
	s_waitcnt lgkmcnt(0)
	v_add_f32_e32 v1, v1, v4
	;; [unrolled: 3-line block ×4, first 2 shown]
	v_lshlrev_b32_e32 v4, 2, v0
	ds_bpermute_b32 v2, v2, v1
	ds_store_b32 v4, v3
	v_cmpx_eq_u32_e32 0, v0
	s_cbranch_execz .LBB650_8
; %bb.7:
	s_waitcnt lgkmcnt(1)
	v_dual_add_f32 v1, v1, v2 :: v_dual_mov_b32 v2, 0
	ds_store_b32 v2, v1 offset:128
.LBB650_8:
	s_or_b32 exec_lo, exec_lo, s2
	v_mov_b32_e32 v1, s6
.LBB650_9:
	s_or_b32 exec_lo, exec_lo, s24
	s_lshl_b32 s6, s20, 7
	s_mov_b32 s7, 0
	s_waitcnt lgkmcnt(1)
	v_dual_mov_b32 v2, 0 :: v_dual_lshlrev_b32 v1, 7, v1
	s_lshl_b64 s[6:7], s[6:7], 1
	v_lshlrev_b32_e32 v0, 1, v0
	s_add_u32 s9, s4, s6
	s_addc_u32 s33, s5, s7
	s_lshl_b32 s8, s3, 7
	v_lshlrev_b64 v[3:4], 1, v[1:2]
	s_addk_i32 s8, 0xff80
	s_cmp_lt_i32 s23, 1
	v_dual_mov_b32 v32, 0 :: v_dual_mov_b32 v35, 0
	s_cselect_b32 s2, s8, 0
	s_delay_alu instid0(VALU_DEP_2)
	v_add_co_u32 v1, vcc_lo, s9, v3
	s_ashr_i32 s3, s2, 31
	v_add_co_ci_u32_e32 v3, vcc_lo, s33, v4, vcc_lo
	s_lshl_b64 s[2:3], s[2:3], 1
	s_cmpk_lt_i32 s23, 0x101
	v_add_co_u32 v18, vcc_lo, v1, v0
	s_cselect_b32 s4, s8, 0x80
	v_add_co_ci_u32_e32 v19, vcc_lo, 0, v3, vcc_lo
	s_ashr_i32 s5, s4, 31
	s_delay_alu instid0(VALU_DEP_2)
	v_add_co_u32 v3, vcc_lo, v18, s2
	s_lshl_b64 s[4:5], s[4:5], 1
	s_cmpk_lt_i32 s23, 0x201
	v_add_co_ci_u32_e32 v4, vcc_lo, s3, v19, vcc_lo
	s_cselect_b32 s6, s8, 0x100
	v_add_co_u32 v5, vcc_lo, v18, s4
	s_ashr_i32 s7, s6, 31
	v_add_co_ci_u32_e32 v6, vcc_lo, s5, v19, vcc_lo
	s_lshl_b64 s[6:7], s[6:7], 1
	s_cmpk_lt_i32 s23, 0x301
	v_add_co_u32 v7, vcc_lo, v18, s6
	s_cselect_b32 s10, s8, 0x180
	v_add_co_ci_u32_e32 v8, vcc_lo, s7, v19, vcc_lo
	s_ashr_i32 s11, s10, 31
	v_mov_b32_e32 v34, 0
	s_lshl_b64 s[10:11], s[10:11], 1
	s_cmpk_lt_i32 s23, 0x401
	v_add_co_u32 v12, vcc_lo, v18, s10
	s_cselect_b32 s20, s8, 0x200
	v_add_co_ci_u32_e32 v13, vcc_lo, s11, v19, vcc_lo
	s_ashr_i32 s21, s20, 31
	v_mov_b32_e32 v33, 0
	s_lshl_b64 s[20:21], s[20:21], 1
	s_cmpk_lt_i32 s23, 0x501
	v_add_co_u32 v14, vcc_lo, v18, s20
	s_cselect_b32 s24, s8, 0x280
	v_add_co_ci_u32_e32 v15, vcc_lo, s21, v19, vcc_lo
	s_ashr_i32 s25, s24, 31
	s_delay_alu instid0(SALU_CYCLE_1)
	s_lshl_b64 s[24:25], s[24:25], 1
	s_cmpk_lt_i32 s23, 0x601
	v_add_co_u32 v16, vcc_lo, v18, s24
	s_cselect_b32 s26, s8, 0x300
	v_add_co_ci_u32_e32 v17, vcc_lo, s25, v19, vcc_lo
	s_ashr_i32 s27, s26, 31
	s_delay_alu instid0(SALU_CYCLE_1)
	;; [unrolled: 7-line block ×3, first 2 shown]
	s_lshl_b64 s[28:29], s[28:29], 1
	s_cmpk_lt_i32 s23, 0x801
	v_add_co_u32 v22, vcc_lo, v18, s28
	s_cselect_b32 s30, s8, 0x400
	v_add_co_ci_u32_e32 v23, vcc_lo, s29, v19, vcc_lo
	s_ashr_i32 s31, s30, 31
	s_clause 0x7
	global_load_u16 v11, v[3:4], off
	global_load_u16 v9, v[5:6], off
	;; [unrolled: 1-line block ×8, first 2 shown]
	s_lshl_b64 s[30:31], s[30:31], 1
	s_cmpk_lt_i32 s23, 0x901
	v_add_co_u32 v12, vcc_lo, v18, s30
	s_cselect_b32 s34, s8, 0x480
	v_add_co_ci_u32_e32 v13, vcc_lo, s31, v19, vcc_lo
	s_ashr_i32 s35, s34, 31
	s_delay_alu instid0(SALU_CYCLE_1)
	s_lshl_b64 s[34:35], s[34:35], 1
	s_cmpk_lt_i32 s23, 0xa01
	v_add_co_u32 v14, vcc_lo, v18, s34
	s_cselect_b32 s36, s8, 0x500
	v_add_co_ci_u32_e32 v15, vcc_lo, s35, v19, vcc_lo
	s_ashr_i32 s37, s36, 31
	s_delay_alu instid0(SALU_CYCLE_1)
	;; [unrolled: 7-line block ×7, first 2 shown]
	s_lshl_b64 s[2:3], s[4:5], 1
	s_cmpk_gt_i32 s23, 0x1000
	v_add_co_u32 v30, vcc_lo, v18, s2
	v_add_co_ci_u32_e32 v31, vcc_lo, s3, v19, vcc_lo
	s_clause 0x7
	global_load_u16 v17, v[12:13], off
	global_load_u16 v16, v[14:15], off
	;; [unrolled: 1-line block ×8, first 2 shown]
	v_dual_mov_b32 v20, 0 :: v_dual_mov_b32 v23, 0
	v_dual_mov_b32 v21, 0 :: v_dual_mov_b32 v22, 0
	;; [unrolled: 1-line block ×6, first 2 shown]
	s_cselect_b32 s2, -1, 0
	s_cmpk_lt_i32 s23, 0x1001
	s_waitcnt vmcnt(0) lgkmcnt(0)
	s_barrier
	buffer_gl0_inv
	s_cbranch_scc1 .LBB650_11
; %bb.10:
	s_cmpk_lt_u32 s23, 0x1101
	s_cselect_b32 s4, s8, 0x880
	s_delay_alu instid0(SALU_CYCLE_1) | instskip(NEXT) | instid1(SALU_CYCLE_1)
	s_ashr_i32 s5, s4, 31
	s_lshl_b64 s[4:5], s[4:5], 1
	s_cmpk_lt_u32 s23, 0x1201
	v_add_co_u32 v20, vcc_lo, v18, s4
	s_cselect_b32 s6, s8, 0x900
	v_add_co_ci_u32_e32 v21, vcc_lo, s5, v19, vcc_lo
	s_ashr_i32 s7, s6, 31
	s_delay_alu instid0(SALU_CYCLE_1)
	s_lshl_b64 s[6:7], s[6:7], 1
	s_cmpk_lt_u32 s23, 0x1301
	v_add_co_u32 v22, vcc_lo, v18, s6
	s_cselect_b32 s10, s8, 0x980
	v_add_co_ci_u32_e32 v23, vcc_lo, s7, v19, vcc_lo
	s_ashr_i32 s11, s10, 31
	s_delay_alu instid0(SALU_CYCLE_1)
	;; [unrolled: 7-line block ×13, first 2 shown]
	s_lshl_b64 s[4:5], s[20:21], 1
	s_cmpk_lt_u32 s23, 0x1f01
	v_add_co_u32 v46, vcc_lo, v18, s4
	s_cselect_b32 s6, s8, 0xf80
	v_add_co_ci_u32_e32 v47, vcc_lo, s5, v19, vcc_lo
	s_ashr_i32 s7, s6, 31
	v_add_co_u32 v48, vcc_lo, 0x1000, v18
	s_lshl_b64 s[4:5], s[6:7], 1
	v_add_co_ci_u32_e32 v49, vcc_lo, 0, v19, vcc_lo
	v_add_co_u32 v18, vcc_lo, v18, s4
	v_add_co_ci_u32_e32 v19, vcc_lo, s5, v19, vcc_lo
	s_clause 0xf
	global_load_u16 v48, v[48:49], off
	global_load_u16 v20, v[20:21], off
	;; [unrolled: 1-line block ×16, first 2 shown]
	s_waitcnt vmcnt(15)
	v_lshlrev_b32_e32 v35, 16, v48
	s_waitcnt vmcnt(14)
	v_lshlrev_b32_e32 v34, 16, v20
	;; [unrolled: 2-line block ×16, first 2 shown]
.LBB650_11:
	ds_load_b128 v[36:39], v2
	ds_load_b128 v[40:43], v2 offset:16
	v_lshlrev_b32_e32 v11, 16, v11
	v_lshlrev_b32_e32 v8, 16, v8
	v_lshlrev_b32_e32 v18, 16, v9
	v_lshlrev_b32_e32 v5, 16, v5
	v_lshlrev_b32_e32 v6, 16, v6
	v_lshlrev_b32_e32 v3, 16, v3
	v_lshlrev_b32_e32 v1, 16, v1
	s_and_not1_b32 vcc_lo, exec_lo, s2
	v_lshlrev_b32_e32 v4, 16, v4
	s_waitcnt lgkmcnt(1)
	v_fma_f32 v9, v36, v11, 0
	s_delay_alu instid0(VALU_DEP_1) | instskip(NEXT) | instid1(VALU_DEP_1)
	v_fmac_f32_e32 v9, v37, v18
	v_dual_fmac_f32 v9, v38, v8 :: v_dual_lshlrev_b32 v8, 16, v17
	s_delay_alu instid0(VALU_DEP_1) | instskip(SKIP_3) | instid1(VALU_DEP_1)
	v_fmac_f32_e32 v9, v39, v6
	ds_load_b128 v[36:39], v2 offset:32
	s_waitcnt lgkmcnt(1)
	v_fmac_f32_e32 v9, v40, v5
	v_fmac_f32_e32 v9, v41, v4
	s_delay_alu instid0(VALU_DEP_1) | instskip(SKIP_4) | instid1(VALU_DEP_2)
	v_fmac_f32_e32 v9, v42, v3
	ds_load_b128 v[3:6], v2 offset:48
	v_fmac_f32_e32 v9, v43, v1
	v_lshlrev_b32_e32 v1, 16, v16
	s_waitcnt lgkmcnt(1)
	v_dual_fmac_f32 v9, v36, v8 :: v_dual_lshlrev_b32 v8, 16, v15
	s_delay_alu instid0(VALU_DEP_1) | instskip(SKIP_1) | instid1(VALU_DEP_2)
	v_fmac_f32_e32 v9, v37, v1
	v_lshlrev_b32_e32 v1, 16, v14
	v_dual_fmac_f32 v9, v38, v8 :: v_dual_lshlrev_b32 v8, 16, v13
	s_delay_alu instid0(VALU_DEP_1) | instskip(SKIP_2) | instid1(VALU_DEP_2)
	v_fmac_f32_e32 v9, v39, v1
	v_lshlrev_b32_e32 v1, 16, v12
	s_waitcnt lgkmcnt(0)
	v_fmac_f32_e32 v9, v3, v8
	v_lshlrev_b32_e32 v3, 16, v10
	s_delay_alu instid0(VALU_DEP_2) | instskip(SKIP_1) | instid1(VALU_DEP_2)
	v_fmac_f32_e32 v9, v4, v1
	v_lshlrev_b32_e32 v1, 16, v7
	v_fmac_f32_e32 v9, v5, v3
	s_delay_alu instid0(VALU_DEP_1)
	v_fmac_f32_e32 v9, v6, v1
	s_cbranch_vccnz .LBB650_13
; %bb.12:
	ds_load_b128 v[3:6], v2 offset:64
	ds_load_b128 v[10:13], v2 offset:80
	s_waitcnt lgkmcnt(1)
	v_fmac_f32_e32 v9, v3, v35
	s_delay_alu instid0(VALU_DEP_1) | instskip(NEXT) | instid1(VALU_DEP_1)
	v_fmac_f32_e32 v9, v4, v34
	v_fmac_f32_e32 v9, v5, v33
	s_delay_alu instid0(VALU_DEP_1) | instskip(SKIP_3) | instid1(VALU_DEP_1)
	v_fmac_f32_e32 v9, v6, v32
	ds_load_b128 v[3:6], v2 offset:96
	s_waitcnt lgkmcnt(1)
	v_fmac_f32_e32 v9, v10, v31
	v_fmac_f32_e32 v9, v11, v30
	s_delay_alu instid0(VALU_DEP_1) | instskip(NEXT) | instid1(VALU_DEP_1)
	v_fmac_f32_e32 v9, v12, v29
	v_fmac_f32_e32 v9, v13, v28
	ds_load_b128 v[10:13], v2 offset:112
	s_waitcnt lgkmcnt(1)
	v_fmac_f32_e32 v9, v3, v27
	s_delay_alu instid0(VALU_DEP_1) | instskip(NEXT) | instid1(VALU_DEP_1)
	v_fmac_f32_e32 v9, v4, v26
	v_fmac_f32_e32 v9, v5, v25
	s_delay_alu instid0(VALU_DEP_1) | instskip(SKIP_1) | instid1(VALU_DEP_1)
	v_fmac_f32_e32 v9, v6, v24
	s_waitcnt lgkmcnt(0)
	v_fmac_f32_e32 v9, v10, v23
	s_delay_alu instid0(VALU_DEP_1) | instskip(NEXT) | instid1(VALU_DEP_1)
	v_fmac_f32_e32 v9, v11, v22
	v_fmac_f32_e32 v9, v12, v21
	s_delay_alu instid0(VALU_DEP_1)
	v_fmac_f32_e32 v9, v13, v20
.LBB650_13:
	ds_load_b32 v1, v2 offset:128
	s_and_not1_b32 vcc_lo, exec_lo, s15
	s_cbranch_vccnz .LBB650_15
; %bb.14:
	s_add_u32 s2, s16, s18
	s_addc_u32 s3, s17, s19
	s_mov_b32 s13, 0
	s_load_b32 s12, s[2:3], 0x0
.LBB650_15:
	s_waitcnt lgkmcnt(0)
	v_add_f32_e32 v1, 0x358637bd, v1
	s_load_b64 s[0:1], s[0:1], 0x0
	s_delay_alu instid0(VALU_DEP_1) | instskip(NEXT) | instid1(VALU_DEP_1)
	v_div_scale_f32 v2, null, v1, v1, 1.0
	v_rcp_f32_e32 v3, v2
	s_waitcnt_depctr 0xfff
	v_fma_f32 v4, -v2, v3, 1.0
	s_delay_alu instid0(VALU_DEP_1) | instskip(SKIP_1) | instid1(VALU_DEP_1)
	v_fmac_f32_e32 v3, v4, v3
	v_div_scale_f32 v4, vcc_lo, 1.0, v1, 1.0
	v_mul_f32_e32 v5, v4, v3
	s_delay_alu instid0(VALU_DEP_1) | instskip(NEXT) | instid1(VALU_DEP_1)
	v_fma_f32 v6, -v2, v5, v4
	v_fmac_f32_e32 v5, v6, v3
	s_delay_alu instid0(VALU_DEP_1) | instskip(NEXT) | instid1(VALU_DEP_1)
	v_fma_f32 v2, -v2, v5, v4
	v_div_fmas_f32 v2, v2, v3, v5
	s_delay_alu instid0(VALU_DEP_1) | instskip(NEXT) | instid1(VALU_DEP_1)
	v_div_fixup_f32 v1, v2, v1, 1.0
	v_mul_f32_e32 v2, v9, v1
	s_delay_alu instid0(VALU_DEP_1) | instskip(NEXT) | instid1(VALU_DEP_1)
	v_and_b32_e32 v1, 0x7f800000, v2
	v_cmp_ne_u32_e32 vcc_lo, 0x7f800000, v1
                                        ; implicit-def: $vgpr1
	s_and_saveexec_b32 s2, vcc_lo
	s_delay_alu instid0(SALU_CYCLE_1)
	s_xor_b32 s2, exec_lo, s2
; %bb.16:
	v_bfe_u32 v1, v2, 16, 1
	s_delay_alu instid0(VALU_DEP_1)
	v_add3_u32 v1, v2, v1, 0x7fff
                                        ; implicit-def: $vgpr2
; %bb.17:
	s_and_not1_saveexec_b32 s2, s2
; %bb.18:
	v_and_b32_e32 v1, 0xffff, v2
	v_or_b32_e32 v3, 0x10000, v2
	s_delay_alu instid0(VALU_DEP_2) | instskip(NEXT) | instid1(VALU_DEP_2)
	v_cmp_eq_u32_e32 vcc_lo, 0, v1
	v_cndmask_b32_e32 v1, v3, v2, vcc_lo
; %bb.19:
	s_or_b32 exec_lo, exec_lo, s2
	s_mul_i32 s3, s22, s13
	s_mul_hi_u32 s4, s22, s12
	s_mul_i32 s2, s22, s12
	s_add_i32 s3, s4, s3
	s_mov_b32 s15, 0
	s_lshl_b64 s[2:3], s[2:3], 8
	s_waitcnt lgkmcnt(0)
	s_add_u32 s2, s0, s2
	s_addc_u32 s3, s1, s3
	s_lshl_b64 s[0:1], s[14:15], 8
	s_delay_alu instid0(SALU_CYCLE_1)
	s_add_u32 s0, s2, s0
	s_addc_u32 s1, s3, s1
	global_store_d16_hi_b16 v0, v1, s[0:1]
	s_nop 0
	s_sendmsg sendmsg(MSG_DEALLOC_VGPRS)
	s_endpgm
.LBB650_20:
	s_mov_b32 s2, 0
	s_branch .LBB650_2
	.section	.rodata,"a",@progbits
	.p2align	6, 0x0
	.amdhsa_kernel _Z35paged_attention_ll4mi_reduce_kernelI14__hip_bfloat16S0_Li128ELi128ELi256ELi1EEvPT0_PKfS4_PKT_PKiS9_iS4_
		.amdhsa_group_segment_fixed_size 132
		.amdhsa_private_segment_fixed_size 0
		.amdhsa_kernarg_size 320
		.amdhsa_user_sgpr_count 14
		.amdhsa_user_sgpr_dispatch_ptr 0
		.amdhsa_user_sgpr_queue_ptr 0
		.amdhsa_user_sgpr_kernarg_segment_ptr 1
		.amdhsa_user_sgpr_dispatch_id 0
		.amdhsa_user_sgpr_private_segment_size 0
		.amdhsa_wavefront_size32 1
		.amdhsa_uses_dynamic_stack 0
		.amdhsa_enable_private_segment 0
		.amdhsa_system_sgpr_workgroup_id_x 1
		.amdhsa_system_sgpr_workgroup_id_y 1
		.amdhsa_system_sgpr_workgroup_id_z 0
		.amdhsa_system_sgpr_workgroup_info 0
		.amdhsa_system_vgpr_workitem_id 0
		.amdhsa_next_free_vgpr 50
		.amdhsa_next_free_sgpr 40
		.amdhsa_reserve_vcc 1
		.amdhsa_float_round_mode_32 0
		.amdhsa_float_round_mode_16_64 0
		.amdhsa_float_denorm_mode_32 3
		.amdhsa_float_denorm_mode_16_64 3
		.amdhsa_dx10_clamp 1
		.amdhsa_ieee_mode 1
		.amdhsa_fp16_overflow 0
		.amdhsa_workgroup_processor_mode 1
		.amdhsa_memory_ordered 1
		.amdhsa_forward_progress 0
		.amdhsa_shared_vgpr_count 0
		.amdhsa_exception_fp_ieee_invalid_op 0
		.amdhsa_exception_fp_denorm_src 0
		.amdhsa_exception_fp_ieee_div_zero 0
		.amdhsa_exception_fp_ieee_overflow 0
		.amdhsa_exception_fp_ieee_underflow 0
		.amdhsa_exception_fp_ieee_inexact 0
		.amdhsa_exception_int_div_zero 0
	.end_amdhsa_kernel
	.section	.text._Z35paged_attention_ll4mi_reduce_kernelI14__hip_bfloat16S0_Li128ELi128ELi256ELi1EEvPT0_PKfS4_PKT_PKiS9_iS4_,"axG",@progbits,_Z35paged_attention_ll4mi_reduce_kernelI14__hip_bfloat16S0_Li128ELi128ELi256ELi1EEvPT0_PKfS4_PKT_PKiS9_iS4_,comdat
.Lfunc_end650:
	.size	_Z35paged_attention_ll4mi_reduce_kernelI14__hip_bfloat16S0_Li128ELi128ELi256ELi1EEvPT0_PKfS4_PKT_PKiS9_iS4_, .Lfunc_end650-_Z35paged_attention_ll4mi_reduce_kernelI14__hip_bfloat16S0_Li128ELi128ELi256ELi1EEvPT0_PKfS4_PKT_PKiS9_iS4_
                                        ; -- End function
	.section	.AMDGPU.csdata,"",@progbits
; Kernel info:
; codeLenInByte = 3316
; NumSgprs: 42
; NumVgprs: 50
; ScratchSize: 0
; MemoryBound: 0
; FloatMode: 240
; IeeeMode: 1
; LDSByteSize: 132 bytes/workgroup (compile time only)
; SGPRBlocks: 5
; VGPRBlocks: 6
; NumSGPRsForWavesPerEU: 42
; NumVGPRsForWavesPerEU: 50
; Occupancy: 16
; WaveLimiterHint : 1
; COMPUTE_PGM_RSRC2:SCRATCH_EN: 0
; COMPUTE_PGM_RSRC2:USER_SGPR: 14
; COMPUTE_PGM_RSRC2:TRAP_HANDLER: 0
; COMPUTE_PGM_RSRC2:TGID_X_EN: 1
; COMPUTE_PGM_RSRC2:TGID_Y_EN: 1
; COMPUTE_PGM_RSRC2:TGID_Z_EN: 0
; COMPUTE_PGM_RSRC2:TIDIG_COMP_CNT: 0
	.section	.text._Z35paged_attention_ll4mi_reduce_kernelI14__hip_bfloat16S0_Li128ELi128ELi256ELi2EEvPT0_PKfS4_PKT_PKiS9_iS4_,"axG",@progbits,_Z35paged_attention_ll4mi_reduce_kernelI14__hip_bfloat16S0_Li128ELi128ELi256ELi2EEvPT0_PKfS4_PKT_PKiS9_iS4_,comdat
	.protected	_Z35paged_attention_ll4mi_reduce_kernelI14__hip_bfloat16S0_Li128ELi128ELi256ELi2EEvPT0_PKfS4_PKT_PKiS9_iS4_ ; -- Begin function _Z35paged_attention_ll4mi_reduce_kernelI14__hip_bfloat16S0_Li128ELi128ELi256ELi2EEvPT0_PKfS4_PKT_PKiS9_iS4_
	.globl	_Z35paged_attention_ll4mi_reduce_kernelI14__hip_bfloat16S0_Li128ELi128ELi256ELi2EEvPT0_PKfS4_PKT_PKiS9_iS4_
	.p2align	8
	.type	_Z35paged_attention_ll4mi_reduce_kernelI14__hip_bfloat16S0_Li128ELi128ELi256ELi2EEvPT0_PKfS4_PKT_PKiS9_iS4_,@function
_Z35paged_attention_ll4mi_reduce_kernelI14__hip_bfloat16S0_Li128ELi128ELi256ELi2EEvPT0_PKfS4_PKT_PKiS9_iS4_: ; @_Z35paged_attention_ll4mi_reduce_kernelI14__hip_bfloat16S0_Li128ELi128ELi256ELi2EEvPT0_PKfS4_PKT_PKiS9_iS4_
; %bb.0:
	s_load_b64 s[12:13], s[0:1], 0x28
	s_mov_b32 s2, s15
	s_waitcnt lgkmcnt(0)
	s_cmp_lg_u64 s[12:13], 0
	s_cselect_b32 s15, -1, 0
	s_delay_alu instid0(SALU_CYCLE_1)
	s_and_b32 vcc_lo, exec_lo, s15
	s_cbranch_vccz .LBB651_20
; %bb.1:
	s_add_i32 s4, s2, 1
	s_mov_b32 s5, 0
	s_delay_alu instid0(SALU_CYCLE_1) | instskip(SKIP_4) | instid1(SALU_CYCLE_1)
	s_lshl_b64 s[6:7], s[4:5], 2
	s_mov_b32 s3, s5
	s_add_u32 s6, s12, s6
	s_addc_u32 s7, s13, s7
	s_lshl_b64 s[8:9], s[2:3], 2
	s_add_u32 s8, s12, s8
	s_addc_u32 s9, s13, s9
	s_clause 0x1
	s_load_b32 s4, s[6:7], 0x0
	s_load_b32 s6, s[8:9], 0x0
	s_waitcnt lgkmcnt(0)
	s_sub_i32 s4, s4, s6
	s_delay_alu instid0(SALU_CYCLE_1)
	s_cmp_eq_u32 s4, 1
	s_cselect_b32 s4, -1, 0
	s_cbranch_execnz .LBB651_3
.LBB651_2:
	s_mov_b32 s3, 0
	s_mov_b32 s4, -1
.LBB651_3:
	s_delay_alu instid0(SALU_CYCLE_1)
	s_and_not1_b32 vcc_lo, exec_lo, s4
	s_cbranch_vccz .LBB651_5
; %bb.4:
	s_endpgm
.LBB651_5:
	s_clause 0x1
	s_load_b128 s[4:7], s[0:1], 0x18
	s_load_b32 s9, s[0:1], 0x30
	s_lshl_b64 s[16:17], s[2:3], 2
	s_waitcnt lgkmcnt(0)
	s_add_u32 s6, s6, s16
	s_addc_u32 s7, s7, s17
	s_load_b32 s20, s[6:7], 0x0
	s_load_b32 s33, s[0:1], 0x40
	s_mul_i32 s7, s2, s9
	s_waitcnt lgkmcnt(0)
	s_add_i32 s50, s20, 0xff
	s_delay_alu instid0(SALU_CYCLE_1) | instskip(NEXT) | instid1(SALU_CYCLE_1)
	s_ashr_i32 s6, s50, 31
	s_lshr_b32 s6, s6, 24
	s_delay_alu instid0(SALU_CYCLE_1) | instskip(SKIP_4) | instid1(SALU_CYCLE_1)
	s_add_i32 s8, s50, s6
	s_mul_i32 s6, s14, s9
	s_mov_b32 s9, exec_lo
	v_cmpx_lt_u32_e32 31, v0
	s_xor_b32 s9, exec_lo, s9
	s_or_saveexec_b32 s22, s9
	v_mov_b32_e32 v1, s6
	s_ashr_i32 s21, s8, 8
	s_mul_i32 s18, s7, s33
	s_xor_b32 exec_lo, exec_lo, s22
	s_cbranch_execz .LBB651_9
; %bb.6:
	v_or_b32_e32 v1, 32, v0
	s_load_b128 s[8:11], s[0:1], 0x8
	s_add_i32 s7, s21, -1
	s_mov_b32 s19, 0
	s_delay_alu instid0(SALU_CYCLE_1) | instskip(SKIP_3) | instid1(VALU_DEP_2)
	s_lshl_b64 s[24:25], s[18:19], 2
	v_cmp_gt_i32_e32 vcc_lo, s21, v1
	v_cndmask_b32_e32 v1, s7, v1, vcc_lo
	v_cmp_gt_i32_e32 vcc_lo, s21, v0
	v_ashrrev_i32_e32 v2, 31, v1
	v_cndmask_b32_e32 v3, s7, v0, vcc_lo
	s_mov_b32 s7, s19
	s_delay_alu instid0(VALU_DEP_2) | instskip(NEXT) | instid1(VALU_DEP_2)
	v_lshlrev_b64 v[1:2], 2, v[1:2]
	v_ashrrev_i32_e32 v4, 31, v3
	s_waitcnt lgkmcnt(0)
	s_add_u32 s19, s10, s24
	s_addc_u32 s23, s11, s25
	s_lshl_b64 s[10:11], s[6:7], 2
	v_lshlrev_b64 v[3:4], 2, v[3:4]
	s_add_u32 s7, s19, s10
	s_addc_u32 s19, s23, s11
	v_add_co_u32 v5, vcc_lo, s7, v1
	v_add_co_ci_u32_e32 v6, vcc_lo, s19, v2, vcc_lo
	s_delay_alu instid0(VALU_DEP_3)
	v_add_co_u32 v7, vcc_lo, s7, v3
	v_add_co_ci_u32_e32 v8, vcc_lo, s19, v4, vcc_lo
	s_clause 0x1
	global_load_b32 v5, v[5:6], off
	global_load_b32 v6, v[7:8], off
	s_add_u32 s7, s8, s24
	s_addc_u32 s8, s9, s25
	s_add_u32 s7, s7, s10
	s_addc_u32 s8, s8, s11
	v_add_co_u32 v3, vcc_lo, s7, v3
	v_add_co_ci_u32_e32 v4, vcc_lo, s8, v4, vcc_lo
	v_add_co_u32 v1, vcc_lo, s7, v1
	v_add_co_ci_u32_e32 v2, vcc_lo, s8, v2, vcc_lo
	s_clause 0x1
	global_load_b32 v3, v[3:4], off
	global_load_b32 v1, v[1:2], off
	v_mbcnt_lo_u32_b32 v2, -1, 0
	s_mov_b32 s7, exec_lo
	s_delay_alu instid0(VALU_DEP_1)
	v_xor_b32_e32 v4, 16, v2
	v_xor_b32_e32 v9, 8, v2
	;; [unrolled: 1-line block ×5, first 2 shown]
	v_cmp_gt_i32_e32 vcc_lo, 32, v4
	v_cndmask_b32_e32 v4, v2, v4, vcc_lo
	v_cmp_gt_i32_e32 vcc_lo, 32, v9
	s_waitcnt vmcnt(2)
	v_dual_max_f32 v7, v5, v5 :: v_dual_max_f32 v8, v6, v6
	s_delay_alu instid0(VALU_DEP_1)
	v_dual_max_f32 v7, v8, v7 :: v_dual_lshlrev_b32 v4, 2, v4
	ds_bpermute_b32 v8, v4, v7
	v_cndmask_b32_e32 v9, v2, v9, vcc_lo
	v_cmp_gt_i32_e32 vcc_lo, 32, v10
	v_cndmask_b32_e32 v10, v2, v10, vcc_lo
	v_cmp_gt_i32_e32 vcc_lo, 32, v11
	s_delay_alu instid0(VALU_DEP_2) | instskip(SKIP_1) | instid1(VALU_DEP_2)
	v_dual_cndmask_b32 v11, v2, v11 :: v_dual_lshlrev_b32 v10, 2, v10
	v_cmp_gt_i32_e32 vcc_lo, 32, v12
	v_dual_cndmask_b32 v2, v2, v12 :: v_dual_lshlrev_b32 v11, 2, v11
	s_waitcnt lgkmcnt(0)
	v_dual_max_f32 v8, v8, v8 :: v_dual_lshlrev_b32 v9, 2, v9
	s_delay_alu instid0(VALU_DEP_1) | instskip(SKIP_3) | instid1(VALU_DEP_1)
	v_dual_max_f32 v7, v7, v8 :: v_dual_lshlrev_b32 v2, 2, v2
	ds_bpermute_b32 v8, v9, v7
	s_waitcnt lgkmcnt(0)
	v_max_f32_e32 v8, v8, v8
	v_max_f32_e32 v7, v7, v8
	ds_bpermute_b32 v8, v10, v7
	s_waitcnt lgkmcnt(0)
	v_max_f32_e32 v8, v8, v8
	s_delay_alu instid0(VALU_DEP_1) | instskip(SKIP_3) | instid1(VALU_DEP_1)
	v_max_f32_e32 v7, v7, v8
	ds_bpermute_b32 v8, v11, v7
	s_waitcnt lgkmcnt(0)
	v_max_f32_e32 v8, v8, v8
	v_max_f32_e32 v7, v7, v8
	ds_bpermute_b32 v8, v2, v7
	s_waitcnt lgkmcnt(0)
	v_max_f32_e32 v8, v8, v8
	s_delay_alu instid0(VALU_DEP_1) | instskip(NEXT) | instid1(VALU_DEP_1)
	v_max_f32_e32 v7, v7, v8
	v_sub_f32_e32 v5, v5, v7
	s_delay_alu instid0(VALU_DEP_1) | instskip(NEXT) | instid1(VALU_DEP_1)
	v_mul_f32_e32 v8, 0x3fb8aa3b, v5
	v_rndne_f32_e32 v15, v8
	v_fma_f32 v14, 0x3fb8aa3b, v5, -v8
	s_delay_alu instid0(VALU_DEP_2) | instskip(SKIP_1) | instid1(VALU_DEP_3)
	v_sub_f32_e32 v8, v8, v15
	v_sub_f32_e32 v6, v6, v7
	v_fmac_f32_e32 v14, 0x32a5705f, v5
	s_delay_alu instid0(VALU_DEP_2) | instskip(NEXT) | instid1(VALU_DEP_1)
	v_mul_f32_e32 v7, 0x3fb8aa3b, v6
	v_fma_f32 v12, 0x3fb8aa3b, v6, -v7
	v_rndne_f32_e32 v13, v7
	s_delay_alu instid0(VALU_DEP_1) | instskip(NEXT) | instid1(VALU_DEP_1)
	v_dual_fmac_f32 v12, 0x32a5705f, v6 :: v_dual_sub_f32 v7, v7, v13
	v_add_f32_e32 v7, v7, v12
	v_cvt_i32_f32_e32 v12, v13
	v_cmp_ngt_f32_e32 vcc_lo, 0xc2ce8ed0, v6
	v_cvt_i32_f32_e32 v13, v15
	s_delay_alu instid0(VALU_DEP_4) | instskip(SKIP_4) | instid1(VALU_DEP_3)
	v_exp_f32_e32 v7, v7
	s_waitcnt_depctr 0xfff
	v_ldexp_f32 v7, v7, v12
	v_add_f32_e32 v8, v8, v14
	v_sub_nc_u32_e32 v12, s21, v0
	v_cndmask_b32_e32 v7, 0, v7, vcc_lo
	s_delay_alu instid0(VALU_DEP_3) | instskip(SKIP_3) | instid1(VALU_DEP_1)
	v_exp_f32_e32 v8, v8
	v_cmp_ngt_f32_e32 vcc_lo, 0xc2ce8ed0, v5
	s_waitcnt_depctr 0xfff
	v_ldexp_f32 v8, v8, v13
	v_cndmask_b32_e32 v8, 0, v8, vcc_lo
	v_cmp_nlt_f32_e32 vcc_lo, 0x42b17218, v6
	v_dual_cndmask_b32 v6, 0x7f800000, v7 :: v_dual_lshlrev_b32 v7, 2, v0
	v_cmp_nlt_f32_e32 vcc_lo, 0x42b17218, v5
	s_delay_alu instid0(VALU_DEP_4) | instskip(SKIP_1) | instid1(VALU_DEP_4)
	v_cndmask_b32_e32 v5, 0x7f800000, v8, vcc_lo
	v_cmp_lt_i32_e32 vcc_lo, 0, v12
	v_cndmask_b32_e32 v6, 0, v6, vcc_lo
	v_cmp_lt_i32_e32 vcc_lo, 32, v12
	s_delay_alu instid0(VALU_DEP_4) | instskip(SKIP_1) | instid1(VALU_DEP_1)
	v_cndmask_b32_e32 v5, 0, v5, vcc_lo
	s_waitcnt vmcnt(0)
	v_dual_mul_f32 v3, v3, v6 :: v_dual_mul_f32 v6, v1, v5
	ds_store_2addr_b32 v7, v3, v6 offset1:32
	v_fmac_f32_e32 v3, v1, v5
	ds_bpermute_b32 v1, v4, v3
	s_waitcnt lgkmcnt(0)
	v_add_f32_e32 v1, v3, v1
	ds_bpermute_b32 v3, v9, v1
	s_waitcnt lgkmcnt(0)
	v_add_f32_e32 v1, v1, v3
	;; [unrolled: 3-line block ×4, first 2 shown]
	ds_bpermute_b32 v2, v2, v1
	v_cmpx_eq_u32_e32 0, v0
	s_cbranch_execz .LBB651_8
; %bb.7:
	s_waitcnt lgkmcnt(0)
	v_dual_add_f32 v1, v1, v2 :: v_dual_mov_b32 v2, 0
	ds_store_b32 v2, v1 offset:256
.LBB651_8:
	s_or_b32 exec_lo, exec_lo, s7
	v_mov_b32_e32 v1, s6
.LBB651_9:
	s_or_b32 exec_lo, exec_lo, s22
	s_lshl_b32 s6, s18, 7
	s_mov_b32 s7, 0
	s_waitcnt lgkmcnt(0)
	v_dual_mov_b32 v2, 0 :: v_dual_lshlrev_b32 v1, 7, v1
	s_lshl_b64 s[6:7], s[6:7], 1
	v_lshlrev_b32_e32 v0, 1, v0
	s_add_u32 s34, s4, s6
	s_addc_u32 s35, s5, s7
	s_lshl_b32 s51, s21, 7
	v_lshlrev_b64 v[3:4], 1, v[1:2]
	s_addk_i32 s51, 0xff80
	s_cmpk_lt_i32 s50, 0x100
	v_dual_mov_b32 v32, 0 :: v_dual_mov_b32 v35, 0
	s_cselect_b32 s4, s51, 0
	s_delay_alu instid0(VALU_DEP_2)
	v_add_co_u32 v1, vcc_lo, s34, v3
	s_ashr_i32 s5, s4, 31
	v_add_co_ci_u32_e32 v3, vcc_lo, s35, v4, vcc_lo
	s_lshl_b64 s[4:5], s[4:5], 1
	s_cmpk_lt_i32 s50, 0x200
	v_add_co_u32 v1, vcc_lo, v1, v0
	s_cselect_b32 s6, s51, 0x80
	v_add_co_ci_u32_e32 v3, vcc_lo, 0, v3, vcc_lo
	s_ashr_i32 s7, s6, 31
	s_delay_alu instid0(VALU_DEP_2)
	v_add_co_u32 v4, vcc_lo, v1, s4
	s_lshl_b64 s[6:7], s[6:7], 1
	s_cmpk_lt_i32 s50, 0x300
	v_add_co_ci_u32_e32 v5, vcc_lo, s5, v3, vcc_lo
	s_cselect_b32 s8, s51, 0x100
	v_add_co_u32 v6, vcc_lo, v1, s6
	s_ashr_i32 s9, s8, 31
	v_add_co_ci_u32_e32 v7, vcc_lo, s7, v3, vcc_lo
	s_lshl_b64 s[8:9], s[8:9], 1
	s_cmpk_lt_i32 s50, 0x400
	v_add_co_u32 v8, vcc_lo, v1, s8
	s_cselect_b32 s10, s51, 0x180
	v_add_co_ci_u32_e32 v9, vcc_lo, s9, v3, vcc_lo
	s_ashr_i32 s11, s10, 31
	v_mov_b32_e32 v34, 0
	s_lshl_b64 s[10:11], s[10:11], 1
	s_cmpk_lt_i32 s50, 0x500
	v_add_co_u32 v14, vcc_lo, v1, s10
	s_cselect_b32 s18, s51, 0x200
	v_add_co_ci_u32_e32 v15, vcc_lo, s11, v3, vcc_lo
	s_ashr_i32 s19, s18, 31
	v_mov_b32_e32 v33, 0
	s_lshl_b64 s[18:19], s[18:19], 1
	s_cmpk_lt_i32 s50, 0x600
	v_add_co_u32 v16, vcc_lo, v1, s18
	s_cselect_b32 s22, s51, 0x280
	v_add_co_ci_u32_e32 v17, vcc_lo, s19, v3, vcc_lo
	s_ashr_i32 s23, s22, 31
	s_delay_alu instid0(SALU_CYCLE_1)
	s_lshl_b64 s[22:23], s[22:23], 1
	s_cmpk_lt_i32 s50, 0x700
	v_add_co_u32 v18, vcc_lo, v1, s22
	s_cselect_b32 s24, s51, 0x300
	v_add_co_ci_u32_e32 v19, vcc_lo, s23, v3, vcc_lo
	s_ashr_i32 s25, s24, 31
	s_delay_alu instid0(SALU_CYCLE_1)
	;; [unrolled: 7-line block ×3, first 2 shown]
	s_lshl_b64 s[26:27], s[26:27], 1
	s_cmpk_lt_i32 s50, 0x900
	v_add_co_u32 v22, vcc_lo, v1, s26
	s_cselect_b32 s28, s51, 0x400
	v_add_co_ci_u32_e32 v23, vcc_lo, s27, v3, vcc_lo
	s_ashr_i32 s29, s28, 31
	s_clause 0x7
	global_load_u16 v13, v[4:5], off
	global_load_u16 v4, v[6:7], off
	;; [unrolled: 1-line block ×8, first 2 shown]
	s_lshl_b64 s[28:29], s[28:29], 1
	s_cmpk_lt_i32 s50, 0xa00
	v_add_co_u32 v14, vcc_lo, v1, s28
	s_cselect_b32 s30, s51, 0x480
	v_add_co_ci_u32_e32 v15, vcc_lo, s29, v3, vcc_lo
	s_ashr_i32 s31, s30, 31
	s_delay_alu instid0(SALU_CYCLE_1)
	s_lshl_b64 s[30:31], s[30:31], 1
	s_cmpk_lt_i32 s50, 0xb00
	v_add_co_u32 v16, vcc_lo, v1, s30
	s_cselect_b32 s34, s51, 0x500
	v_add_co_ci_u32_e32 v17, vcc_lo, s31, v3, vcc_lo
	s_ashr_i32 s35, s34, 31
	s_delay_alu instid0(SALU_CYCLE_1)
	s_lshl_b64 s[4:5], s[34:35], 1
	s_cmpk_lt_i32 s50, 0xc00
	v_add_co_u32 v20, vcc_lo, v1, s4
	s_cselect_b32 s6, s51, 0x580
	v_add_co_ci_u32_e32 v21, vcc_lo, s5, v3, vcc_lo
	s_ashr_i32 s7, s6, 31
	s_delay_alu instid0(SALU_CYCLE_1)
	s_lshl_b64 s[6:7], s[6:7], 1
	s_cmpk_lt_i32 s50, 0xd00
	v_add_co_u32 v22, vcc_lo, v1, s6
	s_cselect_b32 s8, s51, 0x600
	v_add_co_ci_u32_e32 v23, vcc_lo, s7, v3, vcc_lo
	s_ashr_i32 s9, s8, 31
	s_delay_alu instid0(SALU_CYCLE_1)
	s_lshl_b64 s[8:9], s[8:9], 1
	s_cmpk_lt_i32 s50, 0xe00
	v_add_co_u32 v24, vcc_lo, v1, s8
	s_cselect_b32 s10, s51, 0x680
	v_add_co_ci_u32_e32 v25, vcc_lo, s9, v3, vcc_lo
	s_ashr_i32 s11, s10, 31
	s_delay_alu instid0(SALU_CYCLE_1)
	s_lshl_b64 s[10:11], s[10:11], 1
	s_cmpk_lt_i32 s50, 0xf00
	v_add_co_u32 v26, vcc_lo, v1, s10
	s_cselect_b32 s18, s51, 0x700
	v_add_co_ci_u32_e32 v27, vcc_lo, s11, v3, vcc_lo
	s_ashr_i32 s19, s18, 31
	s_delay_alu instid0(SALU_CYCLE_1)
	s_lshl_b64 s[4:5], s[18:19], 1
	s_cmpk_lt_i32 s50, 0x1000
	v_add_co_u32 v28, vcc_lo, v1, s4
	s_cselect_b32 s6, s51, 0x780
	v_add_co_ci_u32_e32 v29, vcc_lo, s5, v3, vcc_lo
	s_ashr_i32 s7, s6, 31
	s_delay_alu instid0(SALU_CYCLE_1)
	s_lshl_b64 s[4:5], s[6:7], 1
	s_cmpk_gt_i32 s20, 0x1000
	v_add_co_u32 v30, vcc_lo, v1, s4
	v_add_co_ci_u32_e32 v31, vcc_lo, s5, v3, vcc_lo
	s_clause 0x7
	global_load_u16 v19, v[14:15], off
	global_load_u16 v18, v[16:17], off
	;; [unrolled: 1-line block ×8, first 2 shown]
	v_dual_mov_b32 v20, 0 :: v_dual_mov_b32 v23, 0
	v_dual_mov_b32 v21, 0 :: v_dual_mov_b32 v22, 0
	;; [unrolled: 1-line block ×6, first 2 shown]
	s_cselect_b32 s6, -1, 0
	s_cmpk_lt_i32 s20, 0x1001
	s_waitcnt vmcnt(0)
	s_barrier
	buffer_gl0_inv
	s_cbranch_scc1 .LBB651_11
; %bb.10:
	s_cmpk_lt_i32 s50, 0x1100
	s_cselect_b32 s4, s51, 0x800
	s_delay_alu instid0(SALU_CYCLE_1) | instskip(NEXT) | instid1(SALU_CYCLE_1)
	s_ashr_i32 s5, s4, 31
	s_lshl_b64 s[4:5], s[4:5], 1
	s_cmpk_lt_i32 s50, 0x1200
	v_add_co_u32 v20, vcc_lo, v1, s4
	s_cselect_b32 s8, s51, 0x880
	v_add_co_ci_u32_e32 v21, vcc_lo, s5, v3, vcc_lo
	s_ashr_i32 s9, s8, 31
	s_delay_alu instid0(SALU_CYCLE_1)
	s_lshl_b64 s[8:9], s[8:9], 1
	s_cmpk_lt_i32 s50, 0x1300
	v_add_co_u32 v22, vcc_lo, v1, s8
	s_cselect_b32 s10, s51, 0x900
	v_add_co_ci_u32_e32 v23, vcc_lo, s9, v3, vcc_lo
	s_ashr_i32 s11, s10, 31
	s_delay_alu instid0(SALU_CYCLE_1)
	;; [unrolled: 7-line block ×14, first 2 shown]
	s_lshl_b64 s[4:5], s[18:19], 1
	s_cmpk_lt_i32 s50, 0x2000
	v_add_co_u32 v48, vcc_lo, v1, s4
	s_cselect_b32 s8, s51, 0xf80
	v_add_co_ci_u32_e32 v49, vcc_lo, s5, v3, vcc_lo
	s_ashr_i32 s9, s8, 31
	s_delay_alu instid0(SALU_CYCLE_1) | instskip(NEXT) | instid1(SALU_CYCLE_1)
	s_lshl_b64 s[4:5], s[8:9], 1
	v_add_co_u32 v50, vcc_lo, v1, s4
	v_add_co_ci_u32_e32 v51, vcc_lo, s5, v3, vcc_lo
	s_clause 0xf
	global_load_u16 v20, v[20:21], off
	global_load_u16 v21, v[22:23], off
	;; [unrolled: 1-line block ×16, first 2 shown]
	s_waitcnt vmcnt(15)
	v_lshlrev_b32_e32 v35, 16, v20
	s_waitcnt vmcnt(14)
	v_lshlrev_b32_e32 v34, 16, v21
	;; [unrolled: 2-line block ×16, first 2 shown]
.LBB651_11:
	ds_load_b128 v[36:39], v2
	ds_load_b128 v[40:43], v2 offset:16
	v_lshlrev_b32_e32 v44, 16, v4
	v_lshlrev_b32_e32 v13, 16, v13
	;; [unrolled: 1-line block ×4, first 2 shown]
	s_and_not1_b32 vcc_lo, exec_lo, s6
	v_lshlrev_b32_e32 v5, 16, v5
	s_waitcnt lgkmcnt(1)
	v_fma_f32 v4, v36, v13, 0
	s_delay_alu instid0(VALU_DEP_1) | instskip(SKIP_1) | instid1(VALU_DEP_1)
	v_dual_fmac_f32 v4, v37, v44 :: v_dual_lshlrev_b32 v9, 16, v9
	v_lshlrev_b32_e32 v11, 16, v11
	v_dual_fmac_f32 v4, v38, v11 :: v_dual_lshlrev_b32 v11, 16, v18
	s_delay_alu instid0(VALU_DEP_1) | instskip(SKIP_3) | instid1(VALU_DEP_1)
	v_dual_fmac_f32 v4, v39, v9 :: v_dual_lshlrev_b32 v7, 16, v7
	ds_load_b128 v[36:39], v2 offset:32
	s_waitcnt lgkmcnt(1)
	v_dual_fmac_f32 v4, v40, v8 :: v_dual_lshlrev_b32 v9, 16, v19
	v_fmac_f32_e32 v4, v41, v7
	s_delay_alu instid0(VALU_DEP_1) | instskip(NEXT) | instid1(VALU_DEP_1)
	v_fmac_f32_e32 v4, v42, v6
	v_fmac_f32_e32 v4, v43, v5
	ds_load_b128 v[5:8], v2 offset:48
	s_waitcnt lgkmcnt(1)
	v_fmac_f32_e32 v4, v36, v9
	s_delay_alu instid0(VALU_DEP_1) | instskip(NEXT) | instid1(VALU_DEP_1)
	v_dual_fmac_f32 v4, v37, v11 :: v_dual_lshlrev_b32 v9, 16, v17
	v_dual_fmac_f32 v4, v38, v9 :: v_dual_lshlrev_b32 v11, 16, v16
	v_lshlrev_b32_e32 v9, 16, v15
	s_delay_alu instid0(VALU_DEP_2) | instskip(SKIP_1) | instid1(VALU_DEP_1)
	v_dual_fmac_f32 v4, v39, v11 :: v_dual_lshlrev_b32 v11, 16, v14
	s_waitcnt lgkmcnt(0)
	v_dual_fmac_f32 v4, v5, v9 :: v_dual_lshlrev_b32 v5, 16, v12
	s_delay_alu instid0(VALU_DEP_1) | instskip(NEXT) | instid1(VALU_DEP_1)
	v_fmac_f32_e32 v4, v6, v11
	v_dual_fmac_f32 v4, v7, v5 :: v_dual_lshlrev_b32 v5, 16, v10
	s_delay_alu instid0(VALU_DEP_1)
	v_fmac_f32_e32 v4, v8, v5
	s_cbranch_vccz .LBB651_21
; %bb.12:
	s_cmpk_lt_i32 s20, 0x2001
	s_cbranch_scc0 .LBB651_22
.LBB651_13:
	v_mov_b32_e32 v1, 0
	s_and_not1_b32 vcc_lo, exec_lo, s15
	ds_load_b32 v1, v1 offset:256
	s_cbranch_vccnz .LBB651_15
.LBB651_14:
	s_add_u32 s2, s12, s16
	s_addc_u32 s3, s13, s17
	s_load_b32 s2, s[2:3], 0x0
	s_mov_b32 s3, 0
.LBB651_15:
	s_waitcnt lgkmcnt(0)
	v_add_f32_e32 v1, 0x358637bd, v1
	s_load_b64 s[0:1], s[0:1], 0x0
	s_delay_alu instid0(VALU_DEP_1) | instskip(NEXT) | instid1(VALU_DEP_1)
	v_div_scale_f32 v2, null, v1, v1, 1.0
	v_rcp_f32_e32 v3, v2
	s_waitcnt_depctr 0xfff
	v_fma_f32 v5, -v2, v3, 1.0
	s_delay_alu instid0(VALU_DEP_1) | instskip(SKIP_1) | instid1(VALU_DEP_1)
	v_fmac_f32_e32 v3, v5, v3
	v_div_scale_f32 v5, vcc_lo, 1.0, v1, 1.0
	v_mul_f32_e32 v6, v5, v3
	s_delay_alu instid0(VALU_DEP_1) | instskip(NEXT) | instid1(VALU_DEP_1)
	v_fma_f32 v7, -v2, v6, v5
	v_fmac_f32_e32 v6, v7, v3
	s_delay_alu instid0(VALU_DEP_1) | instskip(NEXT) | instid1(VALU_DEP_1)
	v_fma_f32 v2, -v2, v6, v5
	v_div_fmas_f32 v2, v2, v3, v6
	s_delay_alu instid0(VALU_DEP_1) | instskip(NEXT) | instid1(VALU_DEP_1)
	v_div_fixup_f32 v1, v2, v1, 1.0
	v_mul_f32_e32 v2, v4, v1
	s_delay_alu instid0(VALU_DEP_1) | instskip(NEXT) | instid1(VALU_DEP_1)
	v_and_b32_e32 v1, 0x7f800000, v2
	v_cmp_ne_u32_e32 vcc_lo, 0x7f800000, v1
                                        ; implicit-def: $vgpr1
	s_and_saveexec_b32 s4, vcc_lo
	s_delay_alu instid0(SALU_CYCLE_1)
	s_xor_b32 s4, exec_lo, s4
; %bb.16:
	v_bfe_u32 v1, v2, 16, 1
	s_delay_alu instid0(VALU_DEP_1)
	v_add3_u32 v1, v2, v1, 0x7fff
                                        ; implicit-def: $vgpr2
; %bb.17:
	s_and_not1_saveexec_b32 s4, s4
; %bb.18:
	v_and_b32_e32 v1, 0xffff, v2
	v_or_b32_e32 v3, 0x10000, v2
	s_delay_alu instid0(VALU_DEP_2) | instskip(NEXT) | instid1(VALU_DEP_2)
	v_cmp_eq_u32_e32 vcc_lo, 0, v1
	v_cndmask_b32_e32 v1, v3, v2, vcc_lo
; %bb.19:
	s_or_b32 exec_lo, exec_lo, s4
	s_mul_i32 s3, s33, s3
	s_mul_hi_u32 s4, s33, s2
	s_mul_i32 s2, s33, s2
	s_add_i32 s3, s4, s3
	s_mov_b32 s15, 0
	s_lshl_b64 s[2:3], s[2:3], 8
	s_waitcnt lgkmcnt(0)
	s_add_u32 s2, s0, s2
	s_addc_u32 s3, s1, s3
	s_lshl_b64 s[0:1], s[14:15], 8
	s_delay_alu instid0(SALU_CYCLE_1)
	s_add_u32 s0, s2, s0
	s_addc_u32 s1, s3, s1
	global_store_d16_hi_b16 v0, v1, s[0:1]
	s_nop 0
	s_sendmsg sendmsg(MSG_DEALLOC_VGPRS)
	s_endpgm
.LBB651_20:
	s_mov_b32 s4, 0
	s_branch .LBB651_2
.LBB651_21:
	ds_load_b128 v[5:8], v2 offset:64
	ds_load_b128 v[9:12], v2 offset:80
	s_waitcnt lgkmcnt(1)
	v_fmac_f32_e32 v4, v5, v35
	s_delay_alu instid0(VALU_DEP_1) | instskip(NEXT) | instid1(VALU_DEP_1)
	v_fmac_f32_e32 v4, v6, v34
	v_fmac_f32_e32 v4, v7, v33
	s_delay_alu instid0(VALU_DEP_1) | instskip(SKIP_3) | instid1(VALU_DEP_1)
	v_fmac_f32_e32 v4, v8, v32
	ds_load_b128 v[5:8], v2 offset:96
	s_waitcnt lgkmcnt(1)
	v_fmac_f32_e32 v4, v9, v31
	v_fmac_f32_e32 v4, v10, v30
	s_delay_alu instid0(VALU_DEP_1) | instskip(NEXT) | instid1(VALU_DEP_1)
	v_fmac_f32_e32 v4, v11, v29
	v_fmac_f32_e32 v4, v12, v28
	ds_load_b128 v[9:12], v2 offset:112
	s_waitcnt lgkmcnt(1)
	v_fmac_f32_e32 v4, v5, v27
	s_delay_alu instid0(VALU_DEP_1) | instskip(NEXT) | instid1(VALU_DEP_1)
	v_fmac_f32_e32 v4, v6, v26
	v_fmac_f32_e32 v4, v7, v25
	s_delay_alu instid0(VALU_DEP_1) | instskip(SKIP_1) | instid1(VALU_DEP_1)
	v_fmac_f32_e32 v4, v8, v24
	s_waitcnt lgkmcnt(0)
	v_fmac_f32_e32 v4, v9, v23
	s_delay_alu instid0(VALU_DEP_1) | instskip(NEXT) | instid1(VALU_DEP_1)
	v_fmac_f32_e32 v4, v10, v22
	v_fmac_f32_e32 v4, v11, v21
	s_delay_alu instid0(VALU_DEP_1)
	v_fmac_f32_e32 v4, v12, v20
	s_cmpk_lt_i32 s20, 0x2001
	s_cbranch_scc1 .LBB651_13
.LBB651_22:
	s_cmpk_lt_i32 s50, 0x2100
	s_cselect_b32 s4, s51, 0x1000
	s_delay_alu instid0(SALU_CYCLE_1) | instskip(NEXT) | instid1(SALU_CYCLE_1)
	s_ashr_i32 s5, s4, 31
	s_lshl_b64 s[40:41], s[4:5], 1
	s_cmpk_lt_i32 s50, 0x2200
	v_add_co_u32 v5, vcc_lo, v1, s40
	s_cselect_b32 s4, s51, 0x1080
	v_add_co_ci_u32_e32 v6, vcc_lo, s41, v3, vcc_lo
	s_ashr_i32 s5, s4, 31
	s_delay_alu instid0(SALU_CYCLE_1)
	s_lshl_b64 s[42:43], s[4:5], 1
	s_cmpk_lt_i32 s50, 0x2300
	v_add_co_u32 v7, vcc_lo, v1, s42
	s_cselect_b32 s4, s51, 0x1100
	v_add_co_ci_u32_e32 v8, vcc_lo, s43, v3, vcc_lo
	s_ashr_i32 s5, s4, 31
	s_delay_alu instid0(SALU_CYCLE_1)
	;; [unrolled: 7-line block ×4, first 2 shown]
	s_lshl_b64 s[48:49], s[4:5], 1
	s_cmpk_lt_i32 s50, 0x2600
	v_add_co_u32 v13, vcc_lo, v1, s48
	s_cselect_b32 s4, s51, 0x1280
	v_add_co_ci_u32_e32 v14, vcc_lo, s49, v3, vcc_lo
	s_ashr_i32 s5, s4, 31
	s_clause 0x4
	global_load_u16 v15, v[5:6], off
	global_load_u16 v16, v[7:8], off
	;; [unrolled: 1-line block ×5, first 2 shown]
	s_lshl_b64 s[4:5], s[4:5], 1
	s_cmpk_lt_i32 s50, 0x2700
	v_add_co_u32 v5, vcc_lo, v1, s4
	s_cselect_b32 s6, s51, 0x1300
	v_add_co_ci_u32_e32 v6, vcc_lo, s5, v3, vcc_lo
	s_ashr_i32 s7, s6, 31
	s_delay_alu instid0(SALU_CYCLE_1)
	s_lshl_b64 s[6:7], s[6:7], 1
	s_cmpk_lt_i32 s50, 0x2800
	v_add_co_u32 v7, vcc_lo, v1, s6
	s_cselect_b32 s8, s51, 0x1380
	v_add_co_ci_u32_e32 v8, vcc_lo, s7, v3, vcc_lo
	s_ashr_i32 s9, s8, 31
	global_load_u16 v20, v[5:6], off
	s_lshl_b64 s[10:11], s[8:9], 1
	s_cmpk_lt_i32 s50, 0x2900
	v_add_co_u32 v9, vcc_lo, v1, s10
	s_cselect_b32 s8, s51, 0x1400
	v_add_co_ci_u32_e32 v10, vcc_lo, s11, v3, vcc_lo
	s_ashr_i32 s9, s8, 31
	s_clause 0x1
	global_load_u16 v21, v[7:8], off
	global_load_u16 v22, v[9:10], off
	s_lshl_b64 s[22:23], s[8:9], 1
	s_cmpk_lt_i32 s50, 0x2a00
	v_add_co_u32 v11, vcc_lo, v1, s22
	s_cselect_b32 s8, s51, 0x1480
	v_add_co_ci_u32_e32 v12, vcc_lo, s23, v3, vcc_lo
	s_ashr_i32 s9, s8, 31
	s_delay_alu instid0(SALU_CYCLE_1)
	s_lshl_b64 s[28:29], s[8:9], 1
	s_cmpk_lt_i32 s50, 0x2b00
	v_add_co_u32 v13, vcc_lo, v1, s28
	s_cselect_b32 s8, s51, 0x1500
	v_add_co_ci_u32_e32 v14, vcc_lo, s29, v3, vcc_lo
	s_ashr_i32 s9, s8, 31
	s_clause 0x1
	global_load_u16 v23, v[11:12], off
	global_load_u16 v13, v[13:14], off
	s_lshl_b64 s[8:9], s[8:9], 1
	s_cmpk_lt_i32 s50, 0x2c00
	v_add_co_u32 v5, vcc_lo, v1, s8
	s_cselect_b32 s18, s51, 0x1580
	v_add_co_ci_u32_e32 v6, vcc_lo, s9, v3, vcc_lo
	s_ashr_i32 s19, s18, 31
	s_delay_alu instid0(SALU_CYCLE_1)
	s_lshl_b64 s[18:19], s[18:19], 1
	s_cmpk_lt_i32 s50, 0x2d00
	v_add_co_u32 v7, vcc_lo, v1, s18
	s_cselect_b32 s20, s51, 0x1600
	v_add_co_ci_u32_e32 v8, vcc_lo, s19, v3, vcc_lo
	s_ashr_i32 s21, s20, 31
	global_load_u16 v14, v[5:6], off
	s_lshl_b64 s[24:25], s[20:21], 1
	s_cmpk_lt_i32 s50, 0x2e00
	v_add_co_u32 v9, vcc_lo, v1, s24
	s_cselect_b32 s20, s51, 0x1680
	v_add_co_ci_u32_e32 v10, vcc_lo, s25, v3, vcc_lo
	s_ashr_i32 s21, s20, 31
	s_delay_alu instid0(SALU_CYCLE_1)
	s_lshl_b64 s[30:31], s[20:21], 1
	s_cmpk_lt_i32 s50, 0x2f00
	v_add_co_u32 v11, vcc_lo, v1, s30
	s_cselect_b32 s20, s51, 0x1700
	v_add_co_ci_u32_e32 v12, vcc_lo, s31, v3, vcc_lo
	s_ashr_i32 s21, s20, 31
	s_clause 0x2
	global_load_u16 v24, v[7:8], off
	global_load_u16 v25, v[9:10], off
	;; [unrolled: 1-line block ×3, first 2 shown]
	s_lshl_b64 s[20:21], s[20:21], 1
	s_cmpk_lt_i32 s50, 0x3000
	v_add_co_u32 v5, vcc_lo, v1, s20
	s_cselect_b32 s26, s51, 0x1780
	v_add_co_ci_u32_e32 v6, vcc_lo, s21, v3, vcc_lo
	s_ashr_i32 s27, s26, 31
	s_delay_alu instid0(SALU_CYCLE_1)
	s_lshl_b64 s[26:27], s[26:27], 1
	s_cmpk_lt_i32 s50, 0x3100
	v_add_co_u32 v7, vcc_lo, v1, s26
	s_cselect_b32 s34, s51, 0x1800
	v_add_co_ci_u32_e32 v8, vcc_lo, s27, v3, vcc_lo
	s_ashr_i32 s35, s34, 31
	global_load_u16 v27, v[5:6], off
	s_lshl_b64 s[34:35], s[34:35], 1
	global_load_u16 v28, v[7:8], off
	s_cmpk_lt_i32 s50, 0x3200
	v_add_co_u32 v9, vcc_lo, v1, s34
	s_cselect_b32 s36, s51, 0x1880
	v_add_co_ci_u32_e32 v10, vcc_lo, s35, v3, vcc_lo
	s_ashr_i32 s37, s36, 31
	s_delay_alu instid0(SALU_CYCLE_1)
	s_lshl_b64 s[36:37], s[36:37], 1
	global_load_u16 v29, v[9:10], off
	s_cmpk_lt_i32 s50, 0x3300
	v_add_co_u32 v5, vcc_lo, v1, s36
	s_cselect_b32 s38, s51, 0x1900
	v_add_co_ci_u32_e32 v6, vcc_lo, s37, v3, vcc_lo
	s_ashr_i32 s39, s38, 31
	s_delay_alu instid0(SALU_CYCLE_1)
	s_lshl_b64 s[38:39], s[38:39], 1
	s_cmpk_lt_i32 s50, 0x3400
	v_add_co_u32 v7, vcc_lo, v1, s38
	s_cselect_b32 s52, s51, 0x1980
	v_add_co_ci_u32_e32 v8, vcc_lo, s39, v3, vcc_lo
	s_ashr_i32 s53, s52, 31
	global_load_u16 v30, v[5:6], off
	s_lshl_b64 s[40:41], s[52:53], 1
	global_load_u16 v31, v[7:8], off
	s_cmpk_lt_i32 s50, 0x3500
	v_add_co_u32 v9, vcc_lo, v1, s40
	s_cselect_b32 s42, s51, 0x1a00
	v_add_co_ci_u32_e32 v10, vcc_lo, s41, v3, vcc_lo
	s_ashr_i32 s43, s42, 31
	s_delay_alu instid0(SALU_CYCLE_1)
	s_lshl_b64 s[42:43], s[42:43], 1
	s_cmpk_lt_i32 s50, 0x3600
	v_add_co_u32 v5, vcc_lo, v1, s42
	s_cselect_b32 s44, s51, 0x1a80
	v_add_co_ci_u32_e32 v6, vcc_lo, s43, v3, vcc_lo
	s_ashr_i32 s45, s44, 31
	global_load_u16 v32, v[9:10], off
	s_lshl_b64 s[4:5], s[44:45], 1
	s_cmpk_lt_i32 s50, 0x3700
	v_add_co_u32 v7, vcc_lo, v1, s4
	s_cselect_b32 s6, s51, 0x1b00
	v_add_co_ci_u32_e32 v8, vcc_lo, s5, v3, vcc_lo
	s_ashr_i32 s7, s6, 31
	global_load_u16 v33, v[5:6], off
	s_lshl_b64 s[6:7], s[6:7], 1
	global_load_u16 v34, v[7:8], off
	s_cmpk_lt_i32 s50, 0x3800
	v_add_co_u32 v5, vcc_lo, v1, s6
	s_cselect_b32 s10, s51, 0x1b80
	v_add_co_ci_u32_e32 v6, vcc_lo, s7, v3, vcc_lo
	s_ashr_i32 s11, s10, 31
	s_delay_alu instid0(SALU_CYCLE_1)
	s_lshl_b64 s[8:9], s[10:11], 1
	s_cmpk_lt_i32 s50, 0x3900
	v_add_co_u32 v7, vcc_lo, v1, s8
	s_cselect_b32 s10, s51, 0x1c00
	v_add_co_ci_u32_e32 v8, vcc_lo, s9, v3, vcc_lo
	s_ashr_i32 s11, s10, 31
	global_load_u16 v35, v[5:6], off
	s_lshl_b64 s[10:11], s[10:11], 1
	global_load_u16 v36, v[7:8], off
	s_cmpk_lt_i32 s50, 0x3a00
	v_add_co_u32 v5, vcc_lo, v1, s10
	s_cselect_b32 s18, s51, 0x1c80
	v_add_co_ci_u32_e32 v6, vcc_lo, s11, v3, vcc_lo
	s_ashr_i32 s19, s18, 31
	s_delay_alu instid0(SALU_CYCLE_1)
	;; [unrolled: 15-line block ×5, first 2 shown]
	s_lshl_b64 s[4:5], s[6:7], 1
	global_load_u16 v43, v[5:6], off
	v_add_co_u32 v1, vcc_lo, v1, s4
	v_add_co_ci_u32_e32 v2, vcc_lo, s5, v3, vcc_lo
	global_load_u16 v1, v[1:2], off
	s_waitcnt vmcnt(31)
	v_dual_mov_b32 v2, 0 :: v_dual_lshlrev_b32 v3, 16, v15
	ds_load_b128 v[5:8], v2 offset:128
	ds_load_b128 v[9:12], v2 offset:144
	s_waitcnt vmcnt(30) lgkmcnt(1)
	v_dual_fmac_f32 v4, v5, v3 :: v_dual_lshlrev_b32 v3, 16, v16
	s_waitcnt vmcnt(29)
	s_delay_alu instid0(VALU_DEP_1) | instskip(SKIP_1) | instid1(VALU_DEP_1)
	v_dual_fmac_f32 v4, v6, v3 :: v_dual_lshlrev_b32 v3, 16, v17
	s_waitcnt vmcnt(28)
	v_dual_fmac_f32 v4, v7, v3 :: v_dual_lshlrev_b32 v3, 16, v18
	s_delay_alu instid0(VALU_DEP_1)
	v_fmac_f32_e32 v4, v8, v3
	s_waitcnt vmcnt(27)
	v_lshlrev_b32_e32 v3, 16, v19
	ds_load_b128 v[5:8], v2 offset:160
	s_waitcnt vmcnt(26) lgkmcnt(1)
	v_dual_fmac_f32 v4, v9, v3 :: v_dual_lshlrev_b32 v3, 16, v20
	s_waitcnt vmcnt(25)
	s_delay_alu instid0(VALU_DEP_1) | instskip(SKIP_1) | instid1(VALU_DEP_1)
	v_dual_fmac_f32 v4, v10, v3 :: v_dual_lshlrev_b32 v3, 16, v21
	s_waitcnt vmcnt(24)
	v_dual_fmac_f32 v4, v11, v3 :: v_dual_lshlrev_b32 v3, 16, v22
	s_delay_alu instid0(VALU_DEP_1)
	v_fmac_f32_e32 v4, v12, v3
	s_waitcnt vmcnt(23)
	v_lshlrev_b32_e32 v3, 16, v23
	ds_load_b128 v[9:12], v2 offset:176
	s_waitcnt vmcnt(22) lgkmcnt(1)
	v_dual_fmac_f32 v4, v5, v3 :: v_dual_lshlrev_b32 v3, 16, v13
	s_waitcnt vmcnt(21)
	s_delay_alu instid0(VALU_DEP_1) | instskip(SKIP_1) | instid1(VALU_DEP_1)
	v_dual_fmac_f32 v4, v6, v3 :: v_dual_lshlrev_b32 v3, 16, v14
	s_waitcnt vmcnt(20)
	v_dual_fmac_f32 v4, v7, v3 :: v_dual_lshlrev_b32 v3, 16, v24
	s_waitcnt vmcnt(19)
	s_delay_alu instid0(VALU_DEP_1) | instskip(SKIP_3) | instid1(VALU_DEP_1)
	v_dual_fmac_f32 v4, v8, v3 :: v_dual_lshlrev_b32 v3, 16, v25
	ds_load_b128 v[5:8], v2 offset:192
	s_waitcnt vmcnt(18) lgkmcnt(1)
	v_dual_fmac_f32 v4, v9, v3 :: v_dual_lshlrev_b32 v3, 16, v26
	v_fmac_f32_e32 v4, v10, v3
	s_waitcnt vmcnt(17)
	v_lshlrev_b32_e32 v3, 16, v27
	s_waitcnt vmcnt(16)
	s_delay_alu instid0(VALU_DEP_1) | instskip(SKIP_1) | instid1(VALU_DEP_1)
	v_dual_fmac_f32 v4, v11, v3 :: v_dual_lshlrev_b32 v3, 16, v28
	s_waitcnt vmcnt(15)
	v_dual_fmac_f32 v4, v12, v3 :: v_dual_lshlrev_b32 v3, 16, v29
	ds_load_b128 v[9:12], v2 offset:208
	s_waitcnt vmcnt(14) lgkmcnt(1)
	v_dual_fmac_f32 v4, v5, v3 :: v_dual_lshlrev_b32 v3, 16, v30
	s_delay_alu instid0(VALU_DEP_1) | instskip(SKIP_3) | instid1(VALU_DEP_1)
	v_fmac_f32_e32 v4, v6, v3
	s_waitcnt vmcnt(13)
	v_lshlrev_b32_e32 v3, 16, v31
	s_waitcnt vmcnt(12)
	v_dual_fmac_f32 v4, v7, v3 :: v_dual_lshlrev_b32 v3, 16, v32
	s_delay_alu instid0(VALU_DEP_1) | instskip(SKIP_4) | instid1(VALU_DEP_1)
	v_fmac_f32_e32 v4, v8, v3
	ds_load_b128 v[5:8], v2 offset:224
	s_waitcnt vmcnt(11)
	v_lshlrev_b32_e32 v3, 16, v33
	s_waitcnt vmcnt(0) lgkmcnt(1)
	v_dual_fmac_f32 v4, v9, v3 :: v_dual_lshlrev_b32 v1, 16, v1
	v_lshlrev_b32_e32 v3, 16, v34
	s_delay_alu instid0(VALU_DEP_1) | instskip(SKIP_1) | instid1(VALU_DEP_1)
	v_fmac_f32_e32 v4, v10, v3
	v_lshlrev_b32_e32 v3, 16, v35
	v_dual_fmac_f32 v4, v11, v3 :: v_dual_lshlrev_b32 v3, 16, v36
	s_delay_alu instid0(VALU_DEP_1) | instskip(SKIP_4) | instid1(VALU_DEP_1)
	v_dual_fmac_f32 v4, v12, v3 :: v_dual_lshlrev_b32 v3, 16, v37
	ds_load_b128 v[9:12], v2 offset:240
	v_lshlrev_b32_e32 v2, 16, v38
	s_waitcnt lgkmcnt(1)
	v_fmac_f32_e32 v4, v5, v3
	v_fmac_f32_e32 v4, v6, v2
	v_lshlrev_b32_e32 v2, 16, v39
	s_delay_alu instid0(VALU_DEP_1) | instskip(SKIP_1) | instid1(VALU_DEP_1)
	v_fmac_f32_e32 v4, v7, v2
	v_lshlrev_b32_e32 v2, 16, v40
	v_fmac_f32_e32 v4, v8, v2
	v_lshlrev_b32_e32 v2, 16, v41
	s_waitcnt lgkmcnt(0)
	s_delay_alu instid0(VALU_DEP_1) | instskip(SKIP_1) | instid1(VALU_DEP_1)
	v_fmac_f32_e32 v4, v9, v2
	v_lshlrev_b32_e32 v2, 16, v42
	v_fmac_f32_e32 v4, v10, v2
	v_lshlrev_b32_e32 v2, 16, v43
	s_delay_alu instid0(VALU_DEP_1) | instskip(NEXT) | instid1(VALU_DEP_1)
	v_fmac_f32_e32 v4, v11, v2
	v_dual_fmac_f32 v4, v12, v1 :: v_dual_mov_b32 v1, 0
	s_and_not1_b32 vcc_lo, exec_lo, s15
	ds_load_b32 v1, v1 offset:256
	s_cbranch_vccz .LBB651_14
	s_branch .LBB651_15
	.section	.rodata,"a",@progbits
	.p2align	6, 0x0
	.amdhsa_kernel _Z35paged_attention_ll4mi_reduce_kernelI14__hip_bfloat16S0_Li128ELi128ELi256ELi2EEvPT0_PKfS4_PKT_PKiS9_iS4_
		.amdhsa_group_segment_fixed_size 260
		.amdhsa_private_segment_fixed_size 0
		.amdhsa_kernarg_size 320
		.amdhsa_user_sgpr_count 14
		.amdhsa_user_sgpr_dispatch_ptr 0
		.amdhsa_user_sgpr_queue_ptr 0
		.amdhsa_user_sgpr_kernarg_segment_ptr 1
		.amdhsa_user_sgpr_dispatch_id 0
		.amdhsa_user_sgpr_private_segment_size 0
		.amdhsa_wavefront_size32 1
		.amdhsa_uses_dynamic_stack 0
		.amdhsa_enable_private_segment 0
		.amdhsa_system_sgpr_workgroup_id_x 1
		.amdhsa_system_sgpr_workgroup_id_y 1
		.amdhsa_system_sgpr_workgroup_id_z 0
		.amdhsa_system_sgpr_workgroup_info 0
		.amdhsa_system_vgpr_workitem_id 0
		.amdhsa_next_free_vgpr 52
		.amdhsa_next_free_sgpr 54
		.amdhsa_reserve_vcc 1
		.amdhsa_float_round_mode_32 0
		.amdhsa_float_round_mode_16_64 0
		.amdhsa_float_denorm_mode_32 3
		.amdhsa_float_denorm_mode_16_64 3
		.amdhsa_dx10_clamp 1
		.amdhsa_ieee_mode 1
		.amdhsa_fp16_overflow 0
		.amdhsa_workgroup_processor_mode 1
		.amdhsa_memory_ordered 1
		.amdhsa_forward_progress 0
		.amdhsa_shared_vgpr_count 0
		.amdhsa_exception_fp_ieee_invalid_op 0
		.amdhsa_exception_fp_denorm_src 0
		.amdhsa_exception_fp_ieee_div_zero 0
		.amdhsa_exception_fp_ieee_overflow 0
		.amdhsa_exception_fp_ieee_underflow 0
		.amdhsa_exception_fp_ieee_inexact 0
		.amdhsa_exception_int_div_zero 0
	.end_amdhsa_kernel
	.section	.text._Z35paged_attention_ll4mi_reduce_kernelI14__hip_bfloat16S0_Li128ELi128ELi256ELi2EEvPT0_PKfS4_PKT_PKiS9_iS4_,"axG",@progbits,_Z35paged_attention_ll4mi_reduce_kernelI14__hip_bfloat16S0_Li128ELi128ELi256ELi2EEvPT0_PKfS4_PKT_PKiS9_iS4_,comdat
.Lfunc_end651:
	.size	_Z35paged_attention_ll4mi_reduce_kernelI14__hip_bfloat16S0_Li128ELi128ELi256ELi2EEvPT0_PKfS4_PKT_PKiS9_iS4_, .Lfunc_end651-_Z35paged_attention_ll4mi_reduce_kernelI14__hip_bfloat16S0_Li128ELi128ELi256ELi2EEvPT0_PKfS4_PKT_PKiS9_iS4_
                                        ; -- End function
	.section	.AMDGPU.csdata,"",@progbits
; Kernel info:
; codeLenInByte = 5360
; NumSgprs: 56
; NumVgprs: 52
; ScratchSize: 0
; MemoryBound: 0
; FloatMode: 240
; IeeeMode: 1
; LDSByteSize: 260 bytes/workgroup (compile time only)
; SGPRBlocks: 6
; VGPRBlocks: 6
; NumSGPRsForWavesPerEU: 56
; NumVGPRsForWavesPerEU: 52
; Occupancy: 16
; WaveLimiterHint : 0
; COMPUTE_PGM_RSRC2:SCRATCH_EN: 0
; COMPUTE_PGM_RSRC2:USER_SGPR: 14
; COMPUTE_PGM_RSRC2:TRAP_HANDLER: 0
; COMPUTE_PGM_RSRC2:TGID_X_EN: 1
; COMPUTE_PGM_RSRC2:TGID_Y_EN: 1
; COMPUTE_PGM_RSRC2:TGID_Z_EN: 0
; COMPUTE_PGM_RSRC2:TIDIG_COMP_CNT: 0
	.section	.text._Z35paged_attention_ll4mi_reduce_kernelI14__hip_bfloat16S0_Li128ELi128ELi256ELi3EEvPT0_PKfS4_PKT_PKiS9_iS4_,"axG",@progbits,_Z35paged_attention_ll4mi_reduce_kernelI14__hip_bfloat16S0_Li128ELi128ELi256ELi3EEvPT0_PKfS4_PKT_PKiS9_iS4_,comdat
	.protected	_Z35paged_attention_ll4mi_reduce_kernelI14__hip_bfloat16S0_Li128ELi128ELi256ELi3EEvPT0_PKfS4_PKT_PKiS9_iS4_ ; -- Begin function _Z35paged_attention_ll4mi_reduce_kernelI14__hip_bfloat16S0_Li128ELi128ELi256ELi3EEvPT0_PKfS4_PKT_PKiS9_iS4_
	.globl	_Z35paged_attention_ll4mi_reduce_kernelI14__hip_bfloat16S0_Li128ELi128ELi256ELi3EEvPT0_PKfS4_PKT_PKiS9_iS4_
	.p2align	8
	.type	_Z35paged_attention_ll4mi_reduce_kernelI14__hip_bfloat16S0_Li128ELi128ELi256ELi3EEvPT0_PKfS4_PKT_PKiS9_iS4_,@function
_Z35paged_attention_ll4mi_reduce_kernelI14__hip_bfloat16S0_Li128ELi128ELi256ELi3EEvPT0_PKfS4_PKT_PKiS9_iS4_: ; @_Z35paged_attention_ll4mi_reduce_kernelI14__hip_bfloat16S0_Li128ELi128ELi256ELi3EEvPT0_PKfS4_PKT_PKiS9_iS4_
; %bb.0:
	s_load_b64 s[12:13], s[0:1], 0x28
	s_mov_b32 s2, s15
	s_waitcnt lgkmcnt(0)
	s_cmp_lg_u64 s[12:13], 0
	s_cselect_b32 s15, -1, 0
	s_delay_alu instid0(SALU_CYCLE_1)
	s_and_b32 vcc_lo, exec_lo, s15
	s_cbranch_vccz .LBB652_21
; %bb.1:
	s_add_i32 s4, s2, 1
	s_mov_b32 s5, 0
	s_delay_alu instid0(SALU_CYCLE_1) | instskip(SKIP_4) | instid1(SALU_CYCLE_1)
	s_lshl_b64 s[6:7], s[4:5], 2
	s_mov_b32 s3, s5
	s_add_u32 s6, s12, s6
	s_addc_u32 s7, s13, s7
	s_lshl_b64 s[8:9], s[2:3], 2
	s_add_u32 s8, s12, s8
	s_addc_u32 s9, s13, s9
	s_clause 0x1
	s_load_b32 s4, s[6:7], 0x0
	s_load_b32 s6, s[8:9], 0x0
	s_waitcnt lgkmcnt(0)
	s_sub_i32 s4, s4, s6
	s_delay_alu instid0(SALU_CYCLE_1)
	s_cmp_eq_u32 s4, 1
	s_cselect_b32 s4, -1, 0
	s_cbranch_execnz .LBB652_3
.LBB652_2:
	s_mov_b32 s3, 0
	s_mov_b32 s4, -1
.LBB652_3:
	s_delay_alu instid0(SALU_CYCLE_1)
	s_and_not1_b32 vcc_lo, exec_lo, s4
	s_cbranch_vccz .LBB652_5
; %bb.4:
	s_endpgm
.LBB652_5:
	s_clause 0x1
	s_load_b128 s[4:7], s[0:1], 0x18
	s_load_b32 s9, s[0:1], 0x30
	s_lshl_b64 s[16:17], s[2:3], 2
	s_waitcnt lgkmcnt(0)
	s_add_u32 s6, s6, s16
	s_addc_u32 s7, s7, s17
	s_load_b32 s20, s[6:7], 0x0
	s_load_b32 s33, s[0:1], 0x40
	s_mul_i32 s7, s2, s9
	s_waitcnt lgkmcnt(0)
	s_add_i32 s50, s20, 0xff
	s_delay_alu instid0(SALU_CYCLE_1) | instskip(NEXT) | instid1(SALU_CYCLE_1)
	s_ashr_i32 s6, s50, 31
	s_lshr_b32 s6, s6, 24
	s_delay_alu instid0(SALU_CYCLE_1) | instskip(SKIP_4) | instid1(SALU_CYCLE_1)
	s_add_i32 s8, s50, s6
	s_mul_i32 s6, s14, s9
	s_mov_b32 s9, exec_lo
	v_cmpx_lt_u32_e32 31, v0
	s_xor_b32 s9, exec_lo, s9
	s_or_saveexec_b32 s22, s9
	v_mov_b32_e32 v1, s6
	s_ashr_i32 s21, s8, 8
	s_mul_i32 s18, s7, s33
	s_xor_b32 exec_lo, exec_lo, s22
	s_cbranch_execz .LBB652_9
; %bb.6:
	s_load_b128 s[8:11], s[0:1], 0x8
	v_or_b32_e32 v2, 32, v0
	v_cmp_gt_i32_e32 vcc_lo, s21, v0
	s_add_i32 s7, s21, -1
	v_or_b32_e32 v4, 64, v0
	s_mov_b32 s19, 0
	v_cndmask_b32_e32 v1, s7, v0, vcc_lo
	v_cmp_gt_i32_e32 vcc_lo, s21, v2
	s_lshl_b64 s[24:25], s[18:19], 2
	v_cndmask_b32_e32 v3, s7, v2, vcc_lo
	v_cmp_gt_i32_e32 vcc_lo, s21, v4
	v_ashrrev_i32_e32 v2, 31, v1
	v_cndmask_b32_e32 v5, s7, v4, vcc_lo
	s_delay_alu instid0(VALU_DEP_4) | instskip(SKIP_1) | instid1(VALU_DEP_3)
	v_ashrrev_i32_e32 v4, 31, v3
	s_mov_b32 s7, s19
	v_lshlrev_b64 v[1:2], 2, v[1:2]
	s_waitcnt lgkmcnt(0)
	s_add_u32 s19, s10, s24
	v_ashrrev_i32_e32 v6, 31, v5
	s_addc_u32 s23, s11, s25
	s_lshl_b64 s[10:11], s[6:7], 2
	v_lshlrev_b64 v[3:4], 2, v[3:4]
	s_add_u32 s7, s19, s10
	s_addc_u32 s19, s23, s11
	v_add_co_u32 v7, vcc_lo, s7, v1
	v_lshlrev_b64 v[5:6], 2, v[5:6]
	v_add_co_ci_u32_e32 v8, vcc_lo, s19, v2, vcc_lo
	v_add_co_u32 v9, vcc_lo, s7, v3
	v_add_co_ci_u32_e32 v10, vcc_lo, s19, v4, vcc_lo
	s_delay_alu instid0(VALU_DEP_4)
	v_add_co_u32 v11, vcc_lo, s7, v5
	v_add_co_ci_u32_e32 v12, vcc_lo, s19, v6, vcc_lo
	s_clause 0x2
	global_load_b32 v7, v[7:8], off
	global_load_b32 v8, v[9:10], off
	;; [unrolled: 1-line block ×3, first 2 shown]
	s_add_u32 s7, s8, s24
	s_addc_u32 s8, s9, s25
	s_add_u32 s7, s7, s10
	s_addc_u32 s8, s8, s11
	v_add_co_u32 v1, vcc_lo, s7, v1
	v_add_co_ci_u32_e32 v2, vcc_lo, s8, v2, vcc_lo
	v_add_co_u32 v3, vcc_lo, s7, v3
	v_add_co_ci_u32_e32 v4, vcc_lo, s8, v4, vcc_lo
	;; [unrolled: 2-line block ×3, first 2 shown]
	s_clause 0x2
	global_load_b32 v1, v[1:2], off
	global_load_b32 v2, v[3:4], off
	global_load_b32 v3, v[5:6], off
	v_mbcnt_lo_u32_b32 v4, -1, 0
	s_mov_b32 s7, exec_lo
	s_delay_alu instid0(VALU_DEP_1)
	v_xor_b32_e32 v5, 16, v4
	v_xor_b32_e32 v11, 8, v4
	;; [unrolled: 1-line block ×5, first 2 shown]
	v_cmp_gt_i32_e32 vcc_lo, 32, v5
	v_cndmask_b32_e32 v5, v4, v5, vcc_lo
	v_cmp_gt_i32_e32 vcc_lo, 32, v11
	v_cndmask_b32_e32 v11, v4, v11, vcc_lo
	v_cmp_gt_i32_e32 vcc_lo, 32, v12
	s_delay_alu instid0(VALU_DEP_4) | instskip(NEXT) | instid1(VALU_DEP_3)
	v_lshlrev_b32_e32 v5, 2, v5
	v_dual_cndmask_b32 v12, v4, v12 :: v_dual_lshlrev_b32 v11, 2, v11
	v_cmp_gt_i32_e32 vcc_lo, 32, v13
	s_delay_alu instid0(VALU_DEP_2)
	v_lshlrev_b32_e32 v12, 2, v12
	s_waitcnt vmcnt(3)
	v_max3_f32 v6, v7, v8, v9
	ds_bpermute_b32 v10, v5, v6
	s_waitcnt lgkmcnt(0)
	v_max_f32_e32 v10, v10, v10
	s_delay_alu instid0(VALU_DEP_1) | instskip(SKIP_3) | instid1(VALU_DEP_1)
	v_max_f32_e32 v6, v6, v10
	ds_bpermute_b32 v10, v11, v6
	s_waitcnt lgkmcnt(0)
	v_max_f32_e32 v10, v10, v10
	v_max_f32_e32 v6, v6, v10
	ds_bpermute_b32 v10, v12, v6
	s_waitcnt lgkmcnt(0)
	v_dual_max_f32 v10, v10, v10 :: v_dual_cndmask_b32 v13, v4, v13
	v_cmp_gt_i32_e32 vcc_lo, 32, v14
	s_delay_alu instid0(VALU_DEP_2)
	v_dual_max_f32 v6, v6, v10 :: v_dual_lshlrev_b32 v13, 2, v13
	v_cndmask_b32_e32 v4, v4, v14, vcc_lo
	ds_bpermute_b32 v10, v13, v6
	v_lshlrev_b32_e32 v4, 2, v4
	s_waitcnt lgkmcnt(0)
	v_max_f32_e32 v10, v10, v10
	s_delay_alu instid0(VALU_DEP_1) | instskip(SKIP_3) | instid1(VALU_DEP_1)
	v_max_f32_e32 v6, v6, v10
	ds_bpermute_b32 v10, v4, v6
	s_waitcnt lgkmcnt(0)
	v_max_f32_e32 v10, v10, v10
	v_max_f32_e32 v6, v6, v10
	s_delay_alu instid0(VALU_DEP_1) | instskip(NEXT) | instid1(VALU_DEP_1)
	v_sub_f32_e32 v8, v8, v6
	v_mul_f32_e32 v10, 0x3fb8aa3b, v8
	s_delay_alu instid0(VALU_DEP_1) | instskip(SKIP_1) | instid1(VALU_DEP_2)
	v_fma_f32 v17, 0x3fb8aa3b, v8, -v10
	v_rndne_f32_e32 v18, v10
	v_fmac_f32_e32 v17, 0x32a5705f, v8
	v_sub_f32_e32 v7, v7, v6
	s_delay_alu instid0(VALU_DEP_1) | instskip(SKIP_1) | instid1(VALU_DEP_1)
	v_cmp_ngt_f32_e32 vcc_lo, 0xc2ce8ed0, v7
	v_dual_sub_f32 v6, v9, v6 :: v_dual_mul_f32 v9, 0x3fb8aa3b, v7
	v_fma_f32 v15, 0x3fb8aa3b, v7, -v9
	v_rndne_f32_e32 v16, v9
	s_delay_alu instid0(VALU_DEP_2) | instskip(NEXT) | instid1(VALU_DEP_2)
	v_fmac_f32_e32 v15, 0x32a5705f, v7
	v_sub_f32_e32 v9, v9, v16
	s_delay_alu instid0(VALU_DEP_1) | instskip(SKIP_2) | instid1(VALU_DEP_3)
	v_add_f32_e32 v9, v9, v15
	v_cvt_i32_f32_e32 v15, v16
	v_cvt_i32_f32_e32 v16, v18
	v_exp_f32_e32 v9, v9
	s_waitcnt_depctr 0xfff
	v_ldexp_f32 v9, v9, v15
	v_sub_nc_u32_e32 v15, s21, v0
	s_delay_alu instid0(VALU_DEP_2) | instskip(SKIP_2) | instid1(VALU_DEP_3)
	v_dual_cndmask_b32 v9, 0, v9 :: v_dual_mul_f32 v14, 0x3fb8aa3b, v6
	v_sub_f32_e32 v10, v10, v18
	v_cmp_ngt_f32_e32 vcc_lo, 0xc2ce8ed0, v8
	v_fma_f32 v19, 0x3fb8aa3b, v6, -v14
	v_rndne_f32_e32 v20, v14
	s_delay_alu instid0(VALU_DEP_2) | instskip(NEXT) | instid1(VALU_DEP_2)
	v_dual_add_f32 v10, v10, v17 :: v_dual_fmac_f32 v19, 0x32a5705f, v6
	v_sub_f32_e32 v14, v14, v20
	s_delay_alu instid0(VALU_DEP_2) | instskip(SKIP_1) | instid1(VALU_DEP_2)
	v_exp_f32_e32 v10, v10
	v_cvt_i32_f32_e32 v17, v20
	v_add_f32_e32 v14, v14, v19
	s_delay_alu instid0(VALU_DEP_1) | instskip(SKIP_2) | instid1(VALU_DEP_1)
	v_exp_f32_e32 v14, v14
	s_waitcnt_depctr 0xfff
	v_ldexp_f32 v10, v10, v16
	v_cndmask_b32_e32 v10, 0, v10, vcc_lo
	v_cmp_ngt_f32_e32 vcc_lo, 0xc2ce8ed0, v6
	v_ldexp_f32 v14, v14, v17
	s_delay_alu instid0(VALU_DEP_1)
	v_cndmask_b32_e32 v14, 0, v14, vcc_lo
	v_cmp_nlt_f32_e32 vcc_lo, 0x42b17218, v7
	v_cndmask_b32_e32 v7, 0x7f800000, v9, vcc_lo
	v_cmp_nlt_f32_e32 vcc_lo, 0x42b17218, v8
	;; [unrolled: 2-line block ×3, first 2 shown]
	v_cndmask_b32_e32 v6, 0x7f800000, v14, vcc_lo
	v_cmp_lt_i32_e32 vcc_lo, 0, v15
	v_cndmask_b32_e32 v7, 0, v7, vcc_lo
	v_cmp_lt_i32_e32 vcc_lo, 32, v15
	s_waitcnt vmcnt(2)
	s_delay_alu instid0(VALU_DEP_2) | instskip(SKIP_2) | instid1(VALU_DEP_2)
	v_dual_mul_f32 v7, v1, v7 :: v_dual_cndmask_b32 v8, 0, v8
	v_cmp_lt_i32_e32 vcc_lo, 64, v15
	s_waitcnt vmcnt(1)
	v_mul_f32_e32 v8, v2, v8
	s_delay_alu instid0(VALU_DEP_1) | instskip(SKIP_1) | instid1(VALU_DEP_1)
	v_dual_cndmask_b32 v6, 0, v6 :: v_dual_add_f32 v1, v7, v8
	s_waitcnt vmcnt(0)
	v_mul_f32_e32 v3, v3, v6
	s_delay_alu instid0(VALU_DEP_1)
	v_add_f32_e32 v1, v1, v3
	ds_bpermute_b32 v2, v5, v1
	s_waitcnt lgkmcnt(0)
	v_add_f32_e32 v1, v1, v2
	ds_bpermute_b32 v2, v11, v1
	s_waitcnt lgkmcnt(0)
	;; [unrolled: 3-line block ×4, first 2 shown]
	v_add_f32_e32 v1, v1, v2
	ds_bpermute_b32 v2, v4, v1
	v_lshlrev_b32_e32 v4, 2, v0
	ds_store_2addr_b32 v4, v7, v8 offset1:32
	ds_store_b32 v4, v3 offset:256
	v_cmpx_eq_u32_e32 0, v0
	s_cbranch_execz .LBB652_8
; %bb.7:
	s_waitcnt lgkmcnt(2)
	v_dual_add_f32 v1, v1, v2 :: v_dual_mov_b32 v2, 0
	ds_store_b32 v2, v1 offset:384
.LBB652_8:
	s_or_b32 exec_lo, exec_lo, s7
	v_mov_b32_e32 v1, s6
.LBB652_9:
	s_or_b32 exec_lo, exec_lo, s22
	s_lshl_b32 s6, s18, 7
	s_mov_b32 s7, 0
	s_waitcnt lgkmcnt(2)
	v_dual_mov_b32 v2, 0 :: v_dual_lshlrev_b32 v1, 7, v1
	s_lshl_b64 s[6:7], s[6:7], 1
	v_lshlrev_b32_e32 v0, 1, v0
	s_add_u32 s34, s4, s6
	s_addc_u32 s35, s5, s7
	s_lshl_b32 s51, s21, 7
	v_lshlrev_b64 v[3:4], 1, v[1:2]
	s_addk_i32 s51, 0xff80
	s_cmpk_lt_i32 s50, 0x100
	v_dual_mov_b32 v32, 0 :: v_dual_mov_b32 v35, 0
	s_cselect_b32 s4, s51, 0
	s_delay_alu instid0(VALU_DEP_2)
	v_add_co_u32 v1, vcc_lo, s34, v3
	s_ashr_i32 s5, s4, 31
	v_add_co_ci_u32_e32 v3, vcc_lo, s35, v4, vcc_lo
	s_lshl_b64 s[4:5], s[4:5], 1
	s_cmpk_lt_i32 s50, 0x200
	v_add_co_u32 v1, vcc_lo, v1, v0
	s_cselect_b32 s6, s51, 0x80
	v_add_co_ci_u32_e32 v3, vcc_lo, 0, v3, vcc_lo
	s_ashr_i32 s7, s6, 31
	s_delay_alu instid0(VALU_DEP_2)
	v_add_co_u32 v4, vcc_lo, v1, s4
	s_lshl_b64 s[6:7], s[6:7], 1
	s_cmpk_lt_i32 s50, 0x300
	v_add_co_ci_u32_e32 v5, vcc_lo, s5, v3, vcc_lo
	s_cselect_b32 s8, s51, 0x100
	v_add_co_u32 v6, vcc_lo, v1, s6
	s_ashr_i32 s9, s8, 31
	v_add_co_ci_u32_e32 v7, vcc_lo, s7, v3, vcc_lo
	s_lshl_b64 s[8:9], s[8:9], 1
	s_cmpk_lt_i32 s50, 0x400
	v_add_co_u32 v8, vcc_lo, v1, s8
	s_cselect_b32 s10, s51, 0x180
	v_add_co_ci_u32_e32 v9, vcc_lo, s9, v3, vcc_lo
	s_ashr_i32 s11, s10, 31
	v_mov_b32_e32 v34, 0
	s_lshl_b64 s[10:11], s[10:11], 1
	s_cmpk_lt_i32 s50, 0x500
	v_add_co_u32 v14, vcc_lo, v1, s10
	s_cselect_b32 s18, s51, 0x200
	v_add_co_ci_u32_e32 v15, vcc_lo, s11, v3, vcc_lo
	s_ashr_i32 s19, s18, 31
	v_mov_b32_e32 v33, 0
	s_lshl_b64 s[18:19], s[18:19], 1
	s_cmpk_lt_i32 s50, 0x600
	v_add_co_u32 v16, vcc_lo, v1, s18
	s_cselect_b32 s22, s51, 0x280
	v_add_co_ci_u32_e32 v17, vcc_lo, s19, v3, vcc_lo
	s_ashr_i32 s23, s22, 31
	s_delay_alu instid0(SALU_CYCLE_1)
	s_lshl_b64 s[22:23], s[22:23], 1
	s_cmpk_lt_i32 s50, 0x700
	v_add_co_u32 v18, vcc_lo, v1, s22
	s_cselect_b32 s24, s51, 0x300
	v_add_co_ci_u32_e32 v19, vcc_lo, s23, v3, vcc_lo
	s_ashr_i32 s25, s24, 31
	s_delay_alu instid0(SALU_CYCLE_1)
	;; [unrolled: 7-line block ×3, first 2 shown]
	s_lshl_b64 s[26:27], s[26:27], 1
	s_cmpk_lt_i32 s50, 0x900
	v_add_co_u32 v22, vcc_lo, v1, s26
	s_cselect_b32 s28, s51, 0x400
	v_add_co_ci_u32_e32 v23, vcc_lo, s27, v3, vcc_lo
	s_ashr_i32 s29, s28, 31
	s_clause 0x7
	global_load_u16 v13, v[4:5], off
	global_load_u16 v4, v[6:7], off
	;; [unrolled: 1-line block ×8, first 2 shown]
	s_lshl_b64 s[28:29], s[28:29], 1
	s_cmpk_lt_i32 s50, 0xa00
	v_add_co_u32 v14, vcc_lo, v1, s28
	s_cselect_b32 s30, s51, 0x480
	v_add_co_ci_u32_e32 v15, vcc_lo, s29, v3, vcc_lo
	s_ashr_i32 s31, s30, 31
	s_delay_alu instid0(SALU_CYCLE_1)
	s_lshl_b64 s[30:31], s[30:31], 1
	s_cmpk_lt_i32 s50, 0xb00
	v_add_co_u32 v16, vcc_lo, v1, s30
	s_cselect_b32 s34, s51, 0x500
	v_add_co_ci_u32_e32 v17, vcc_lo, s31, v3, vcc_lo
	s_ashr_i32 s35, s34, 31
	s_delay_alu instid0(SALU_CYCLE_1)
	;; [unrolled: 7-line block ×7, first 2 shown]
	s_lshl_b64 s[4:5], s[6:7], 1
	s_cmpk_gt_i32 s20, 0x1000
	v_add_co_u32 v30, vcc_lo, v1, s4
	v_add_co_ci_u32_e32 v31, vcc_lo, s5, v3, vcc_lo
	s_clause 0x7
	global_load_u16 v19, v[14:15], off
	global_load_u16 v18, v[16:17], off
	;; [unrolled: 1-line block ×8, first 2 shown]
	v_dual_mov_b32 v20, 0 :: v_dual_mov_b32 v23, 0
	v_dual_mov_b32 v21, 0 :: v_dual_mov_b32 v22, 0
	;; [unrolled: 1-line block ×6, first 2 shown]
	s_cselect_b32 s6, -1, 0
	s_cmpk_lt_i32 s20, 0x1001
	s_waitcnt vmcnt(0) lgkmcnt(0)
	s_barrier
	buffer_gl0_inv
	s_cbranch_scc1 .LBB652_11
; %bb.10:
	s_cmpk_lt_i32 s50, 0x1100
	s_cselect_b32 s4, s51, 0x800
	s_delay_alu instid0(SALU_CYCLE_1) | instskip(NEXT) | instid1(SALU_CYCLE_1)
	s_ashr_i32 s5, s4, 31
	s_lshl_b64 s[4:5], s[4:5], 1
	s_cmpk_lt_i32 s50, 0x1200
	v_add_co_u32 v20, vcc_lo, v1, s4
	s_cselect_b32 s8, s51, 0x880
	v_add_co_ci_u32_e32 v21, vcc_lo, s5, v3, vcc_lo
	s_ashr_i32 s9, s8, 31
	s_delay_alu instid0(SALU_CYCLE_1)
	s_lshl_b64 s[8:9], s[8:9], 1
	s_cmpk_lt_i32 s50, 0x1300
	v_add_co_u32 v22, vcc_lo, v1, s8
	s_cselect_b32 s10, s51, 0x900
	v_add_co_ci_u32_e32 v23, vcc_lo, s9, v3, vcc_lo
	s_ashr_i32 s11, s10, 31
	s_delay_alu instid0(SALU_CYCLE_1)
	;; [unrolled: 7-line block ×14, first 2 shown]
	s_lshl_b64 s[4:5], s[18:19], 1
	s_cmpk_lt_i32 s50, 0x2000
	v_add_co_u32 v48, vcc_lo, v1, s4
	s_cselect_b32 s8, s51, 0xf80
	v_add_co_ci_u32_e32 v49, vcc_lo, s5, v3, vcc_lo
	s_ashr_i32 s9, s8, 31
	s_delay_alu instid0(SALU_CYCLE_1) | instskip(NEXT) | instid1(SALU_CYCLE_1)
	s_lshl_b64 s[4:5], s[8:9], 1
	v_add_co_u32 v50, vcc_lo, v1, s4
	v_add_co_ci_u32_e32 v51, vcc_lo, s5, v3, vcc_lo
	s_clause 0xf
	global_load_u16 v20, v[20:21], off
	global_load_u16 v21, v[22:23], off
	;; [unrolled: 1-line block ×16, first 2 shown]
	s_waitcnt vmcnt(15)
	v_lshlrev_b32_e32 v35, 16, v20
	s_waitcnt vmcnt(14)
	v_lshlrev_b32_e32 v34, 16, v21
	;; [unrolled: 2-line block ×16, first 2 shown]
.LBB652_11:
	ds_load_b128 v[36:39], v2
	ds_load_b128 v[40:43], v2 offset:16
	v_lshlrev_b32_e32 v44, 16, v4
	v_lshlrev_b32_e32 v13, 16, v13
	;; [unrolled: 1-line block ×4, first 2 shown]
	s_and_not1_b32 vcc_lo, exec_lo, s6
	v_lshlrev_b32_e32 v5, 16, v5
	s_waitcnt lgkmcnt(1)
	v_fma_f32 v4, v36, v13, 0
	s_delay_alu instid0(VALU_DEP_1) | instskip(SKIP_1) | instid1(VALU_DEP_1)
	v_dual_fmac_f32 v4, v37, v44 :: v_dual_lshlrev_b32 v9, 16, v9
	v_lshlrev_b32_e32 v11, 16, v11
	v_dual_fmac_f32 v4, v38, v11 :: v_dual_lshlrev_b32 v11, 16, v18
	s_delay_alu instid0(VALU_DEP_1) | instskip(SKIP_3) | instid1(VALU_DEP_1)
	v_dual_fmac_f32 v4, v39, v9 :: v_dual_lshlrev_b32 v7, 16, v7
	ds_load_b128 v[36:39], v2 offset:32
	s_waitcnt lgkmcnt(1)
	v_dual_fmac_f32 v4, v40, v8 :: v_dual_lshlrev_b32 v9, 16, v19
	v_fmac_f32_e32 v4, v41, v7
	s_delay_alu instid0(VALU_DEP_1) | instskip(NEXT) | instid1(VALU_DEP_1)
	v_fmac_f32_e32 v4, v42, v6
	v_fmac_f32_e32 v4, v43, v5
	ds_load_b128 v[5:8], v2 offset:48
	s_waitcnt lgkmcnt(1)
	v_fmac_f32_e32 v4, v36, v9
	s_delay_alu instid0(VALU_DEP_1) | instskip(NEXT) | instid1(VALU_DEP_1)
	v_dual_fmac_f32 v4, v37, v11 :: v_dual_lshlrev_b32 v9, 16, v17
	v_dual_fmac_f32 v4, v38, v9 :: v_dual_lshlrev_b32 v11, 16, v16
	v_lshlrev_b32_e32 v9, 16, v15
	s_delay_alu instid0(VALU_DEP_2) | instskip(SKIP_1) | instid1(VALU_DEP_1)
	v_dual_fmac_f32 v4, v39, v11 :: v_dual_lshlrev_b32 v11, 16, v14
	s_waitcnt lgkmcnt(0)
	v_dual_fmac_f32 v4, v5, v9 :: v_dual_lshlrev_b32 v5, 16, v12
	s_delay_alu instid0(VALU_DEP_1) | instskip(NEXT) | instid1(VALU_DEP_1)
	v_fmac_f32_e32 v4, v6, v11
	v_dual_fmac_f32 v4, v7, v5 :: v_dual_lshlrev_b32 v5, 16, v10
	s_delay_alu instid0(VALU_DEP_1)
	v_fmac_f32_e32 v4, v8, v5
	s_cbranch_vccz .LBB652_22
; %bb.12:
	s_cmpk_lt_i32 s50, 0x2100
	s_cbranch_scc0 .LBB652_23
.LBB652_13:
	s_cmpk_lt_i32 s50, 0x4100
	s_cbranch_scc0 .LBB652_24
.LBB652_14:
	v_mov_b32_e32 v1, 0
	s_and_not1_b32 vcc_lo, exec_lo, s15
	ds_load_b32 v1, v1 offset:384
	s_cbranch_vccnz .LBB652_16
.LBB652_15:
	s_add_u32 s2, s12, s16
	s_addc_u32 s3, s13, s17
	s_load_b32 s2, s[2:3], 0x0
	s_mov_b32 s3, 0
.LBB652_16:
	s_waitcnt lgkmcnt(0)
	v_add_f32_e32 v1, 0x358637bd, v1
	s_load_b64 s[0:1], s[0:1], 0x0
	s_delay_alu instid0(VALU_DEP_1) | instskip(NEXT) | instid1(VALU_DEP_1)
	v_div_scale_f32 v2, null, v1, v1, 1.0
	v_rcp_f32_e32 v3, v2
	s_waitcnt_depctr 0xfff
	v_fma_f32 v5, -v2, v3, 1.0
	s_delay_alu instid0(VALU_DEP_1) | instskip(SKIP_1) | instid1(VALU_DEP_1)
	v_fmac_f32_e32 v3, v5, v3
	v_div_scale_f32 v5, vcc_lo, 1.0, v1, 1.0
	v_mul_f32_e32 v6, v5, v3
	s_delay_alu instid0(VALU_DEP_1) | instskip(NEXT) | instid1(VALU_DEP_1)
	v_fma_f32 v7, -v2, v6, v5
	v_fmac_f32_e32 v6, v7, v3
	s_delay_alu instid0(VALU_DEP_1) | instskip(NEXT) | instid1(VALU_DEP_1)
	v_fma_f32 v2, -v2, v6, v5
	v_div_fmas_f32 v2, v2, v3, v6
	s_delay_alu instid0(VALU_DEP_1) | instskip(NEXT) | instid1(VALU_DEP_1)
	v_div_fixup_f32 v1, v2, v1, 1.0
	v_mul_f32_e32 v2, v4, v1
	s_delay_alu instid0(VALU_DEP_1) | instskip(NEXT) | instid1(VALU_DEP_1)
	v_and_b32_e32 v1, 0x7f800000, v2
	v_cmp_ne_u32_e32 vcc_lo, 0x7f800000, v1
                                        ; implicit-def: $vgpr1
	s_and_saveexec_b32 s4, vcc_lo
	s_delay_alu instid0(SALU_CYCLE_1)
	s_xor_b32 s4, exec_lo, s4
; %bb.17:
	v_bfe_u32 v1, v2, 16, 1
	s_delay_alu instid0(VALU_DEP_1)
	v_add3_u32 v1, v2, v1, 0x7fff
                                        ; implicit-def: $vgpr2
; %bb.18:
	s_and_not1_saveexec_b32 s4, s4
; %bb.19:
	v_and_b32_e32 v1, 0xffff, v2
	v_or_b32_e32 v3, 0x10000, v2
	s_delay_alu instid0(VALU_DEP_2) | instskip(NEXT) | instid1(VALU_DEP_2)
	v_cmp_eq_u32_e32 vcc_lo, 0, v1
	v_cndmask_b32_e32 v1, v3, v2, vcc_lo
; %bb.20:
	s_or_b32 exec_lo, exec_lo, s4
	s_mul_i32 s3, s33, s3
	s_mul_hi_u32 s4, s33, s2
	s_mul_i32 s2, s33, s2
	s_add_i32 s3, s4, s3
	s_mov_b32 s15, 0
	s_lshl_b64 s[2:3], s[2:3], 8
	s_waitcnt lgkmcnt(0)
	s_add_u32 s2, s0, s2
	s_addc_u32 s3, s1, s3
	s_lshl_b64 s[0:1], s[14:15], 8
	s_delay_alu instid0(SALU_CYCLE_1)
	s_add_u32 s0, s2, s0
	s_addc_u32 s1, s3, s1
	global_store_d16_hi_b16 v0, v1, s[0:1]
	s_nop 0
	s_sendmsg sendmsg(MSG_DEALLOC_VGPRS)
	s_endpgm
.LBB652_21:
	s_mov_b32 s4, 0
	s_branch .LBB652_2
.LBB652_22:
	ds_load_b128 v[5:8], v2 offset:64
	ds_load_b128 v[9:12], v2 offset:80
	s_waitcnt lgkmcnt(1)
	v_fmac_f32_e32 v4, v5, v35
	s_delay_alu instid0(VALU_DEP_1) | instskip(NEXT) | instid1(VALU_DEP_1)
	v_fmac_f32_e32 v4, v6, v34
	v_fmac_f32_e32 v4, v7, v33
	s_delay_alu instid0(VALU_DEP_1) | instskip(SKIP_3) | instid1(VALU_DEP_1)
	v_fmac_f32_e32 v4, v8, v32
	ds_load_b128 v[5:8], v2 offset:96
	s_waitcnt lgkmcnt(1)
	v_fmac_f32_e32 v4, v9, v31
	v_fmac_f32_e32 v4, v10, v30
	s_delay_alu instid0(VALU_DEP_1) | instskip(NEXT) | instid1(VALU_DEP_1)
	v_fmac_f32_e32 v4, v11, v29
	v_fmac_f32_e32 v4, v12, v28
	ds_load_b128 v[9:12], v2 offset:112
	s_waitcnt lgkmcnt(1)
	v_fmac_f32_e32 v4, v5, v27
	s_delay_alu instid0(VALU_DEP_1) | instskip(NEXT) | instid1(VALU_DEP_1)
	v_fmac_f32_e32 v4, v6, v26
	v_fmac_f32_e32 v4, v7, v25
	s_delay_alu instid0(VALU_DEP_1) | instskip(SKIP_1) | instid1(VALU_DEP_1)
	v_fmac_f32_e32 v4, v8, v24
	s_waitcnt lgkmcnt(0)
	v_fmac_f32_e32 v4, v9, v23
	s_delay_alu instid0(VALU_DEP_1) | instskip(NEXT) | instid1(VALU_DEP_1)
	v_fmac_f32_e32 v4, v10, v22
	v_fmac_f32_e32 v4, v11, v21
	s_delay_alu instid0(VALU_DEP_1)
	v_fmac_f32_e32 v4, v12, v20
	s_cmpk_lt_i32 s50, 0x2100
	s_cbranch_scc1 .LBB652_13
.LBB652_23:
	s_cmpk_lt_u32 s50, 0x2200
	v_add_co_u32 v5, vcc_lo, 0x2000, v1
	s_cselect_b32 s4, s51, 0x1080
	v_add_co_ci_u32_e32 v6, vcc_lo, 0, v3, vcc_lo
	s_ashr_i32 s5, s4, 31
	v_mov_b32_e32 v44, 0
	s_lshl_b64 s[4:5], s[4:5], 1
	s_cmpk_lt_u32 s50, 0x2300
	global_load_u16 v2, v[5:6], off
	s_cselect_b32 s6, s51, 0x1100
	v_add_co_u32 v5, vcc_lo, v1, s4
	s_ashr_i32 s7, s6, 31
	v_add_co_ci_u32_e32 v6, vcc_lo, s5, v3, vcc_lo
	s_lshl_b64 s[8:9], s[6:7], 1
	s_cmpk_lt_u32 s50, 0x2400
	v_add_co_u32 v7, vcc_lo, v1, s8
	s_cselect_b32 s6, s51, 0x1180
	v_add_co_ci_u32_e32 v8, vcc_lo, s9, v3, vcc_lo
	s_ashr_i32 s7, s6, 31
	s_delay_alu instid0(SALU_CYCLE_1)
	s_lshl_b64 s[18:19], s[6:7], 1
	s_cmpk_lt_u32 s50, 0x2500
	v_add_co_u32 v9, vcc_lo, v1, s18
	s_cselect_b32 s6, s51, 0x1200
	v_add_co_ci_u32_e32 v10, vcc_lo, s19, v3, vcc_lo
	s_ashr_i32 s7, s6, 31
	s_delay_alu instid0(SALU_CYCLE_1)
	s_lshl_b64 s[24:25], s[6:7], 1
	s_cmpk_lt_u32 s50, 0x2600
	v_add_co_u32 v11, vcc_lo, v1, s24
	s_cselect_b32 s6, s51, 0x1280
	v_add_co_ci_u32_e32 v12, vcc_lo, s25, v3, vcc_lo
	s_ashr_i32 s7, s6, 31
	s_clause 0x3
	global_load_u16 v13, v[5:6], off
	global_load_u16 v14, v[7:8], off
	;; [unrolled: 1-line block ×4, first 2 shown]
	s_lshl_b64 s[6:7], s[6:7], 1
	s_cmpk_lt_u32 s50, 0x2700
	v_add_co_u32 v5, vcc_lo, v1, s6
	s_cselect_b32 s10, s51, 0x1300
	v_add_co_ci_u32_e32 v6, vcc_lo, s7, v3, vcc_lo
	s_ashr_i32 s11, s10, 31
	s_delay_alu instid0(SALU_CYCLE_1)
	s_lshl_b64 s[10:11], s[10:11], 1
	s_cmpk_lt_u32 s50, 0x2800
	v_add_co_u32 v7, vcc_lo, v1, s10
	s_cselect_b32 s20, s51, 0x1380
	v_add_co_ci_u32_e32 v8, vcc_lo, s11, v3, vcc_lo
	s_ashr_i32 s21, s20, 31
	s_delay_alu instid0(SALU_CYCLE_1)
	;; [unrolled: 7-line block ×3, first 2 shown]
	s_lshl_b64 s[30:31], s[20:21], 1
	s_cmpk_lt_u32 s50, 0x2a00
	v_add_co_u32 v11, vcc_lo, v1, s30
	s_cselect_b32 s20, s51, 0x1480
	v_add_co_ci_u32_e32 v12, vcc_lo, s31, v3, vcc_lo
	s_ashr_i32 s21, s20, 31
	s_clause 0x3
	global_load_u16 v17, v[5:6], off
	global_load_u16 v18, v[7:8], off
	;; [unrolled: 1-line block ×4, first 2 shown]
	s_lshl_b64 s[20:21], s[20:21], 1
	s_cmpk_lt_u32 s50, 0x2b00
	v_add_co_u32 v5, vcc_lo, v1, s20
	s_cselect_b32 s26, s51, 0x1500
	v_add_co_ci_u32_e32 v6, vcc_lo, s21, v3, vcc_lo
	s_ashr_i32 s27, s26, 31
	s_delay_alu instid0(SALU_CYCLE_1)
	s_lshl_b64 s[26:27], s[26:27], 1
	s_cmpk_lt_u32 s50, 0x2c00
	v_add_co_u32 v7, vcc_lo, v1, s26
	s_cselect_b32 s28, s51, 0x1580
	v_add_co_ci_u32_e32 v8, vcc_lo, s27, v3, vcc_lo
	s_ashr_i32 s29, s28, 31
	global_load_u16 v21, v[5:6], off
	s_lshl_b64 s[34:35], s[28:29], 1
	s_cmpk_lt_u32 s50, 0x2d00
	v_add_co_u32 v9, vcc_lo, v1, s34
	s_cselect_b32 s28, s51, 0x1600
	v_add_co_ci_u32_e32 v10, vcc_lo, s35, v3, vcc_lo
	s_ashr_i32 s29, s28, 31
	s_delay_alu instid0(SALU_CYCLE_1)
	s_lshl_b64 s[38:39], s[28:29], 1
	s_cmpk_lt_u32 s50, 0x2e00
	v_add_co_u32 v11, vcc_lo, v1, s38
	s_cselect_b32 s28, s51, 0x1680
	v_add_co_ci_u32_e32 v12, vcc_lo, s39, v3, vcc_lo
	s_ashr_i32 s29, s28, 31
	s_clause 0x2
	global_load_u16 v22, v[7:8], off
	global_load_u16 v23, v[9:10], off
	;; [unrolled: 1-line block ×3, first 2 shown]
	s_lshl_b64 s[28:29], s[28:29], 1
	s_cmpk_lt_u32 s50, 0x2f00
	v_add_co_u32 v5, vcc_lo, v1, s28
	s_cselect_b32 s36, s51, 0x1700
	v_add_co_ci_u32_e32 v6, vcc_lo, s29, v3, vcc_lo
	s_ashr_i32 s37, s36, 31
	s_delay_alu instid0(SALU_CYCLE_1)
	s_lshl_b64 s[36:37], s[36:37], 1
	s_cmpk_lt_u32 s50, 0x3000
	v_add_co_u32 v7, vcc_lo, v1, s36
	s_cselect_b32 s40, s51, 0x1780
	v_add_co_ci_u32_e32 v8, vcc_lo, s37, v3, vcc_lo
	s_ashr_i32 s41, s40, 31
	global_load_u16 v25, v[5:6], off
	s_lshl_b64 s[40:41], s[40:41], 1
	global_load_u16 v26, v[7:8], off
	s_cmpk_lt_u32 s50, 0x3100
	v_add_co_u32 v9, vcc_lo, v1, s40
	s_cselect_b32 s42, s51, 0x1800
	v_add_co_ci_u32_e32 v10, vcc_lo, s41, v3, vcc_lo
	s_ashr_i32 s43, s42, 31
	s_delay_alu instid0(SALU_CYCLE_1)
	s_lshl_b64 s[42:43], s[42:43], 1
	global_load_u16 v27, v[9:10], off
	s_cmpk_lt_u32 s50, 0x3200
	v_add_co_u32 v5, vcc_lo, v1, s42
	s_cselect_b32 s44, s51, 0x1880
	v_add_co_ci_u32_e32 v6, vcc_lo, s43, v3, vcc_lo
	s_ashr_i32 s45, s44, 31
	s_delay_alu instid0(SALU_CYCLE_1)
	s_lshl_b64 s[44:45], s[44:45], 1
	s_cmpk_lt_u32 s50, 0x3300
	v_add_co_u32 v7, vcc_lo, v1, s44
	s_cselect_b32 s46, s51, 0x1900
	v_add_co_ci_u32_e32 v8, vcc_lo, s45, v3, vcc_lo
	s_ashr_i32 s47, s46, 31
	global_load_u16 v28, v[5:6], off
	s_lshl_b64 s[46:47], s[46:47], 1
	global_load_u16 v29, v[7:8], off
	s_cmpk_lt_u32 s50, 0x3400
	v_add_co_u32 v9, vcc_lo, v1, s46
	s_cselect_b32 s48, s51, 0x1980
	v_add_co_ci_u32_e32 v10, vcc_lo, s47, v3, vcc_lo
	s_ashr_i32 s49, s48, 31
	s_delay_alu instid0(SALU_CYCLE_1)
	s_lshl_b64 s[48:49], s[48:49], 1
	s_cmpk_lt_u32 s50, 0x3500
	v_add_co_u32 v5, vcc_lo, v1, s48
	s_cselect_b32 s4, s51, 0x1a00
	v_add_co_ci_u32_e32 v6, vcc_lo, s49, v3, vcc_lo
	s_ashr_i32 s5, s4, 31
	global_load_u16 v30, v[9:10], off
	s_lshl_b64 s[4:5], s[4:5], 1
	s_cmpk_lt_u32 s50, 0x3600
	v_add_co_u32 v7, vcc_lo, v1, s4
	s_cselect_b32 s8, s51, 0x1a80
	v_add_co_ci_u32_e32 v8, vcc_lo, s5, v3, vcc_lo
	s_ashr_i32 s9, s8, 31
	global_load_u16 v31, v[5:6], off
	s_lshl_b64 s[6:7], s[8:9], 1
	global_load_u16 v32, v[7:8], off
	s_cmpk_lt_u32 s50, 0x3700
	v_add_co_u32 v5, vcc_lo, v1, s6
	s_cselect_b32 s8, s51, 0x1b00
	v_add_co_ci_u32_e32 v6, vcc_lo, s7, v3, vcc_lo
	s_ashr_i32 s9, s8, 31
	s_delay_alu instid0(SALU_CYCLE_1)
	s_lshl_b64 s[8:9], s[8:9], 1
	s_cmpk_lt_u32 s50, 0x3800
	v_add_co_u32 v7, vcc_lo, v1, s8
	s_cselect_b32 s10, s51, 0x1b80
	v_add_co_ci_u32_e32 v8, vcc_lo, s9, v3, vcc_lo
	s_ashr_i32 s11, s10, 31
	global_load_u16 v33, v[5:6], off
	s_lshl_b64 s[10:11], s[10:11], 1
	global_load_u16 v34, v[7:8], off
	s_cmpk_lt_u32 s50, 0x3900
	v_add_co_u32 v5, vcc_lo, v1, s10
	s_cselect_b32 s18, s51, 0x1c00
	v_add_co_ci_u32_e32 v6, vcc_lo, s11, v3, vcc_lo
	s_ashr_i32 s19, s18, 31
	s_delay_alu instid0(SALU_CYCLE_1)
	s_lshl_b64 s[18:19], s[18:19], 1
	s_cmpk_lt_u32 s50, 0x3a00
	v_add_co_u32 v7, vcc_lo, v1, s18
	s_cselect_b32 s20, s51, 0x1c80
	v_add_co_ci_u32_e32 v8, vcc_lo, s19, v3, vcc_lo
	s_ashr_i32 s21, s20, 31
	global_load_u16 v35, v[5:6], off
	s_lshl_b64 s[20:21], s[20:21], 1
	global_load_u16 v36, v[7:8], off
	s_cmpk_lt_u32 s50, 0x3b00
	v_add_co_u32 v5, vcc_lo, v1, s20
	s_cselect_b32 s22, s51, 0x1d00
	v_add_co_ci_u32_e32 v6, vcc_lo, s21, v3, vcc_lo
	s_ashr_i32 s23, s22, 31
	s_delay_alu instid0(SALU_CYCLE_1)
	s_lshl_b64 s[22:23], s[22:23], 1
	s_cmpk_lt_u32 s50, 0x3c00
	v_add_co_u32 v7, vcc_lo, v1, s22
	s_cselect_b32 s24, s51, 0x1d80
	v_add_co_ci_u32_e32 v8, vcc_lo, s23, v3, vcc_lo
	s_ashr_i32 s25, s24, 31
	global_load_u16 v37, v[5:6], off
	s_lshl_b64 s[24:25], s[24:25], 1
	global_load_u16 v38, v[7:8], off
	s_cmpk_lt_u32 s50, 0x3d00
	v_add_co_u32 v5, vcc_lo, v1, s24
	s_cselect_b32 s4, s51, 0x1e00
	v_add_co_ci_u32_e32 v6, vcc_lo, s25, v3, vcc_lo
	s_ashr_i32 s5, s4, 31
	s_delay_alu instid0(SALU_CYCLE_1)
	s_lshl_b64 s[4:5], s[4:5], 1
	s_cmpk_lt_u32 s50, 0x3e00
	v_add_co_u32 v7, vcc_lo, v1, s4
	s_cselect_b32 s6, s51, 0x1e80
	v_add_co_ci_u32_e32 v8, vcc_lo, s5, v3, vcc_lo
	s_ashr_i32 s7, s6, 31
	global_load_u16 v39, v[5:6], off
	s_lshl_b64 s[6:7], s[6:7], 1
	global_load_u16 v40, v[7:8], off
	s_cmpk_lt_u32 s50, 0x3f00
	v_add_co_u32 v5, vcc_lo, v1, s6
	s_cselect_b32 s8, s51, 0x1f00
	v_add_co_ci_u32_e32 v6, vcc_lo, s7, v3, vcc_lo
	s_ashr_i32 s9, s8, 31
	s_delay_alu instid0(SALU_CYCLE_1)
	s_lshl_b64 s[4:5], s[8:9], 1
	s_cmpk_lt_u32 s50, 0x4000
	v_add_co_u32 v7, vcc_lo, v1, s4
	s_cselect_b32 s6, s51, 0x1f80
	v_add_co_ci_u32_e32 v8, vcc_lo, s5, v3, vcc_lo
	s_ashr_i32 s7, s6, 31
	global_load_u16 v41, v[5:6], off
	s_lshl_b64 s[4:5], s[6:7], 1
	global_load_u16 v42, v[7:8], off
	v_add_co_u32 v5, vcc_lo, v1, s4
	v_add_co_ci_u32_e32 v6, vcc_lo, s5, v3, vcc_lo
	global_load_u16 v43, v[5:6], off
	ds_load_b128 v[5:8], v44 offset:128
	ds_load_b128 v[9:12], v44 offset:144
	s_waitcnt vmcnt(31)
	v_lshlrev_b32_e32 v2, 16, v2
	s_waitcnt lgkmcnt(1)
	s_delay_alu instid0(VALU_DEP_1) | instskip(SKIP_2) | instid1(VALU_DEP_1)
	v_fmac_f32_e32 v4, v5, v2
	s_waitcnt vmcnt(30)
	v_lshlrev_b32_e32 v2, 16, v13
	v_fmac_f32_e32 v4, v6, v2
	s_waitcnt vmcnt(29)
	v_lshlrev_b32_e32 v2, 16, v14
	s_delay_alu instid0(VALU_DEP_1) | instskip(SKIP_2) | instid1(VALU_DEP_1)
	v_fmac_f32_e32 v4, v7, v2
	s_waitcnt vmcnt(28)
	v_lshlrev_b32_e32 v2, 16, v15
	v_fmac_f32_e32 v4, v8, v2
	s_waitcnt vmcnt(27)
	v_lshlrev_b32_e32 v2, 16, v16
	ds_load_b128 v[5:8], v44 offset:160
	s_waitcnt lgkmcnt(1)
	v_fmac_f32_e32 v4, v9, v2
	s_waitcnt vmcnt(26)
	v_lshlrev_b32_e32 v2, 16, v17
	s_delay_alu instid0(VALU_DEP_1) | instskip(SKIP_2) | instid1(VALU_DEP_1)
	v_fmac_f32_e32 v4, v10, v2
	s_waitcnt vmcnt(25)
	v_lshlrev_b32_e32 v2, 16, v18
	v_fmac_f32_e32 v4, v11, v2
	s_waitcnt vmcnt(24)
	v_lshlrev_b32_e32 v2, 16, v19
	s_delay_alu instid0(VALU_DEP_1) | instskip(SKIP_4) | instid1(VALU_DEP_1)
	v_fmac_f32_e32 v4, v12, v2
	ds_load_b128 v[9:12], v44 offset:176
	s_waitcnt vmcnt(23)
	v_lshlrev_b32_e32 v2, 16, v20
	s_waitcnt lgkmcnt(1)
	v_fmac_f32_e32 v4, v5, v2
	s_waitcnt vmcnt(22)
	v_lshlrev_b32_e32 v2, 16, v21
	s_delay_alu instid0(VALU_DEP_1) | instskip(SKIP_2) | instid1(VALU_DEP_1)
	v_fmac_f32_e32 v4, v6, v2
	s_waitcnt vmcnt(21)
	v_lshlrev_b32_e32 v2, 16, v22
	v_fmac_f32_e32 v4, v7, v2
	s_waitcnt vmcnt(20)
	v_lshlrev_b32_e32 v2, 16, v23
	s_delay_alu instid0(VALU_DEP_1)
	v_fmac_f32_e32 v4, v8, v2
	s_waitcnt vmcnt(19)
	v_lshlrev_b32_e32 v2, 16, v24
	ds_load_b128 v[5:8], v44 offset:192
	s_waitcnt lgkmcnt(1)
	v_fmac_f32_e32 v4, v9, v2
	s_waitcnt vmcnt(18)
	v_lshlrev_b32_e32 v2, 16, v25
	s_delay_alu instid0(VALU_DEP_1) | instskip(SKIP_2) | instid1(VALU_DEP_1)
	v_fmac_f32_e32 v4, v10, v2
	s_waitcnt vmcnt(17)
	v_lshlrev_b32_e32 v2, 16, v26
	v_fmac_f32_e32 v4, v11, v2
	s_waitcnt vmcnt(16)
	v_lshlrev_b32_e32 v2, 16, v27
	s_delay_alu instid0(VALU_DEP_1) | instskip(SKIP_4) | instid1(VALU_DEP_1)
	v_fmac_f32_e32 v4, v12, v2
	ds_load_b128 v[9:12], v44 offset:208
	s_waitcnt vmcnt(15)
	v_lshlrev_b32_e32 v2, 16, v28
	s_waitcnt lgkmcnt(1)
	v_fmac_f32_e32 v4, v5, v2
	s_waitcnt vmcnt(14)
	v_lshlrev_b32_e32 v2, 16, v29
	s_delay_alu instid0(VALU_DEP_1) | instskip(SKIP_2) | instid1(VALU_DEP_1)
	v_fmac_f32_e32 v4, v6, v2
	s_waitcnt vmcnt(13)
	v_lshlrev_b32_e32 v2, 16, v30
	v_fmac_f32_e32 v4, v7, v2
	s_waitcnt vmcnt(12)
	v_lshlrev_b32_e32 v2, 16, v31
	s_delay_alu instid0(VALU_DEP_1)
	v_fmac_f32_e32 v4, v8, v2
	s_waitcnt vmcnt(11)
	v_lshlrev_b32_e32 v2, 16, v32
	ds_load_b128 v[5:8], v44 offset:224
	s_waitcnt lgkmcnt(1)
	v_fmac_f32_e32 v4, v9, v2
	s_waitcnt vmcnt(10)
	v_lshlrev_b32_e32 v2, 16, v33
	s_delay_alu instid0(VALU_DEP_1) | instskip(SKIP_2) | instid1(VALU_DEP_1)
	v_fmac_f32_e32 v4, v10, v2
	s_waitcnt vmcnt(9)
	v_lshlrev_b32_e32 v2, 16, v34
	v_fmac_f32_e32 v4, v11, v2
	s_waitcnt vmcnt(8)
	v_lshlrev_b32_e32 v2, 16, v35
	s_delay_alu instid0(VALU_DEP_1) | instskip(SKIP_4) | instid1(VALU_DEP_1)
	v_fmac_f32_e32 v4, v12, v2
	ds_load_b128 v[9:12], v44 offset:240
	s_waitcnt vmcnt(7)
	v_lshlrev_b32_e32 v2, 16, v36
	s_waitcnt lgkmcnt(1)
	v_fmac_f32_e32 v4, v5, v2
	s_waitcnt vmcnt(6)
	v_lshlrev_b32_e32 v2, 16, v37
	s_delay_alu instid0(VALU_DEP_1) | instskip(SKIP_2) | instid1(VALU_DEP_1)
	v_fmac_f32_e32 v4, v6, v2
	s_waitcnt vmcnt(5)
	v_lshlrev_b32_e32 v2, 16, v38
	v_fmac_f32_e32 v4, v7, v2
	s_waitcnt vmcnt(4)
	v_lshlrev_b32_e32 v2, 16, v39
	s_delay_alu instid0(VALU_DEP_1) | instskip(SKIP_3) | instid1(VALU_DEP_1)
	v_fmac_f32_e32 v4, v8, v2
	s_waitcnt vmcnt(3)
	v_lshlrev_b32_e32 v2, 16, v40
	s_waitcnt lgkmcnt(0)
	v_fmac_f32_e32 v4, v9, v2
	s_waitcnt vmcnt(2)
	v_lshlrev_b32_e32 v2, 16, v41
	s_delay_alu instid0(VALU_DEP_1) | instskip(SKIP_2) | instid1(VALU_DEP_1)
	v_fmac_f32_e32 v4, v10, v2
	s_waitcnt vmcnt(1)
	v_lshlrev_b32_e32 v2, 16, v42
	v_fmac_f32_e32 v4, v11, v2
	s_waitcnt vmcnt(0)
	v_lshlrev_b32_e32 v2, 16, v43
	s_delay_alu instid0(VALU_DEP_1)
	v_fmac_f32_e32 v4, v12, v2
	s_cmpk_lt_i32 s50, 0x4100
	s_cbranch_scc1 .LBB652_14
.LBB652_24:
	s_cmpk_lt_u32 s50, 0x4200
	v_add_co_u32 v5, vcc_lo, 0x4000, v1
	s_cselect_b32 s4, s51, 0x2080
	v_add_co_ci_u32_e32 v6, vcc_lo, 0, v3, vcc_lo
	s_ashr_i32 s5, s4, 31
	s_delay_alu instid0(SALU_CYCLE_1)
	s_lshl_b64 s[4:5], s[4:5], 1
	s_cmpk_lt_u32 s50, 0x4300
	global_load_u16 v13, v[5:6], off
	s_cselect_b32 s6, s51, 0x2100
	v_add_co_u32 v5, vcc_lo, v1, s4
	s_ashr_i32 s7, s6, 31
	v_add_co_ci_u32_e32 v6, vcc_lo, s5, v3, vcc_lo
	s_lshl_b64 s[8:9], s[6:7], 1
	s_cmpk_lt_u32 s50, 0x4400
	v_add_co_u32 v7, vcc_lo, v1, s8
	s_cselect_b32 s6, s51, 0x2180
	v_add_co_ci_u32_e32 v8, vcc_lo, s9, v3, vcc_lo
	s_ashr_i32 s7, s6, 31
	s_delay_alu instid0(SALU_CYCLE_1)
	s_lshl_b64 s[18:19], s[6:7], 1
	s_cmpk_lt_u32 s50, 0x4500
	v_add_co_u32 v9, vcc_lo, v1, s18
	s_cselect_b32 s6, s51, 0x2200
	v_add_co_ci_u32_e32 v10, vcc_lo, s19, v3, vcc_lo
	s_ashr_i32 s7, s6, 31
	s_delay_alu instid0(SALU_CYCLE_1)
	s_lshl_b64 s[24:25], s[6:7], 1
	s_cmpk_lt_u32 s50, 0x4600
	v_add_co_u32 v11, vcc_lo, v1, s24
	s_cselect_b32 s6, s51, 0x2280
	v_add_co_ci_u32_e32 v12, vcc_lo, s25, v3, vcc_lo
	s_ashr_i32 s7, s6, 31
	s_clause 0x3
	global_load_u16 v14, v[5:6], off
	global_load_u16 v15, v[7:8], off
	;; [unrolled: 1-line block ×4, first 2 shown]
	s_lshl_b64 s[6:7], s[6:7], 1
	s_cmpk_lt_u32 s50, 0x4700
	v_add_co_u32 v5, vcc_lo, v1, s6
	s_cselect_b32 s10, s51, 0x2300
	v_add_co_ci_u32_e32 v6, vcc_lo, s7, v3, vcc_lo
	s_ashr_i32 s11, s10, 31
	s_delay_alu instid0(SALU_CYCLE_1)
	s_lshl_b64 s[10:11], s[10:11], 1
	s_cmpk_lt_u32 s50, 0x4800
	v_add_co_u32 v7, vcc_lo, v1, s10
	s_cselect_b32 s20, s51, 0x2380
	v_add_co_ci_u32_e32 v8, vcc_lo, s11, v3, vcc_lo
	s_ashr_i32 s21, s20, 31
	s_delay_alu instid0(SALU_CYCLE_1)
	;; [unrolled: 7-line block ×3, first 2 shown]
	s_lshl_b64 s[30:31], s[20:21], 1
	s_cmpk_lt_u32 s50, 0x4a00
	v_add_co_u32 v11, vcc_lo, v1, s30
	s_cselect_b32 s20, s51, 0x2480
	v_add_co_ci_u32_e32 v12, vcc_lo, s31, v3, vcc_lo
	s_ashr_i32 s21, s20, 31
	s_clause 0x3
	global_load_u16 v18, v[5:6], off
	global_load_u16 v19, v[7:8], off
	;; [unrolled: 1-line block ×4, first 2 shown]
	s_lshl_b64 s[20:21], s[20:21], 1
	s_cmpk_lt_u32 s50, 0x4b00
	v_add_co_u32 v5, vcc_lo, v1, s20
	s_cselect_b32 s26, s51, 0x2500
	v_add_co_ci_u32_e32 v6, vcc_lo, s21, v3, vcc_lo
	s_ashr_i32 s27, s26, 31
	s_delay_alu instid0(SALU_CYCLE_1)
	s_lshl_b64 s[26:27], s[26:27], 1
	s_cmpk_lt_u32 s50, 0x4c00
	v_add_co_u32 v7, vcc_lo, v1, s26
	s_cselect_b32 s28, s51, 0x2580
	v_add_co_ci_u32_e32 v8, vcc_lo, s27, v3, vcc_lo
	s_ashr_i32 s29, s28, 31
	global_load_u16 v22, v[5:6], off
	s_lshl_b64 s[34:35], s[28:29], 1
	s_cmpk_lt_u32 s50, 0x4d00
	v_add_co_u32 v9, vcc_lo, v1, s34
	s_cselect_b32 s28, s51, 0x2600
	v_add_co_ci_u32_e32 v10, vcc_lo, s35, v3, vcc_lo
	s_ashr_i32 s29, s28, 31
	s_delay_alu instid0(SALU_CYCLE_1)
	s_lshl_b64 s[38:39], s[28:29], 1
	s_cmpk_lt_u32 s50, 0x4e00
	v_add_co_u32 v11, vcc_lo, v1, s38
	s_cselect_b32 s28, s51, 0x2680
	v_add_co_ci_u32_e32 v12, vcc_lo, s39, v3, vcc_lo
	s_ashr_i32 s29, s28, 31
	s_clause 0x2
	global_load_u16 v23, v[7:8], off
	global_load_u16 v24, v[9:10], off
	;; [unrolled: 1-line block ×3, first 2 shown]
	s_lshl_b64 s[28:29], s[28:29], 1
	s_cmpk_lt_u32 s50, 0x4f00
	v_add_co_u32 v5, vcc_lo, v1, s28
	s_cselect_b32 s36, s51, 0x2700
	v_add_co_ci_u32_e32 v6, vcc_lo, s29, v3, vcc_lo
	s_ashr_i32 s37, s36, 31
	s_delay_alu instid0(SALU_CYCLE_1)
	s_lshl_b64 s[36:37], s[36:37], 1
	s_cmpk_lt_u32 s50, 0x5000
	v_add_co_u32 v7, vcc_lo, v1, s36
	s_cselect_b32 s40, s51, 0x2780
	v_add_co_ci_u32_e32 v8, vcc_lo, s37, v3, vcc_lo
	s_ashr_i32 s41, s40, 31
	global_load_u16 v26, v[5:6], off
	s_lshl_b64 s[40:41], s[40:41], 1
	global_load_u16 v27, v[7:8], off
	s_cmpk_lt_u32 s50, 0x5100
	v_add_co_u32 v9, vcc_lo, v1, s40
	s_cselect_b32 s42, s51, 0x2800
	v_add_co_ci_u32_e32 v10, vcc_lo, s41, v3, vcc_lo
	s_ashr_i32 s43, s42, 31
	s_delay_alu instid0(SALU_CYCLE_1)
	s_lshl_b64 s[42:43], s[42:43], 1
	global_load_u16 v28, v[9:10], off
	s_cmpk_lt_u32 s50, 0x5200
	v_add_co_u32 v5, vcc_lo, v1, s42
	s_cselect_b32 s44, s51, 0x2880
	v_add_co_ci_u32_e32 v6, vcc_lo, s43, v3, vcc_lo
	s_ashr_i32 s45, s44, 31
	s_delay_alu instid0(SALU_CYCLE_1)
	s_lshl_b64 s[44:45], s[44:45], 1
	s_cmpk_lt_u32 s50, 0x5300
	v_add_co_u32 v7, vcc_lo, v1, s44
	s_cselect_b32 s46, s51, 0x2900
	v_add_co_ci_u32_e32 v8, vcc_lo, s45, v3, vcc_lo
	s_ashr_i32 s47, s46, 31
	global_load_u16 v29, v[5:6], off
	s_lshl_b64 s[46:47], s[46:47], 1
	global_load_u16 v30, v[7:8], off
	s_cmpk_lt_u32 s50, 0x5400
	v_add_co_u32 v9, vcc_lo, v1, s46
	s_cselect_b32 s48, s51, 0x2980
	v_add_co_ci_u32_e32 v10, vcc_lo, s47, v3, vcc_lo
	s_ashr_i32 s49, s48, 31
	s_delay_alu instid0(SALU_CYCLE_1)
	s_lshl_b64 s[48:49], s[48:49], 1
	global_load_u16 v31, v[9:10], off
	s_cmpk_lt_u32 s50, 0x5500
	v_add_co_u32 v5, vcc_lo, v1, s48
	s_cselect_b32 s4, s51, 0x2a00
	v_add_co_ci_u32_e32 v6, vcc_lo, s49, v3, vcc_lo
	s_ashr_i32 s5, s4, 31
	s_delay_alu instid0(SALU_CYCLE_1)
	s_lshl_b64 s[4:5], s[4:5], 1
	s_cmpk_lt_u32 s50, 0x5600
	v_add_co_u32 v7, vcc_lo, v1, s4
	s_cselect_b32 s8, s51, 0x2a80
	v_add_co_ci_u32_e32 v8, vcc_lo, s5, v3, vcc_lo
	s_ashr_i32 s9, s8, 31
	global_load_u16 v32, v[5:6], off
	s_lshl_b64 s[6:7], s[8:9], 1
	global_load_u16 v33, v[7:8], off
	s_cmpk_lt_u32 s50, 0x5700
	v_add_co_u32 v5, vcc_lo, v1, s6
	s_cselect_b32 s8, s51, 0x2b00
	v_add_co_ci_u32_e32 v6, vcc_lo, s7, v3, vcc_lo
	s_ashr_i32 s9, s8, 31
	s_delay_alu instid0(SALU_CYCLE_1)
	s_lshl_b64 s[8:9], s[8:9], 1
	s_cmpk_lt_u32 s50, 0x5800
	v_add_co_u32 v7, vcc_lo, v1, s8
	s_cselect_b32 s10, s51, 0x2b80
	v_add_co_ci_u32_e32 v8, vcc_lo, s9, v3, vcc_lo
	s_ashr_i32 s11, s10, 31
	global_load_u16 v34, v[5:6], off
	;; [unrolled: 15-line block ×6, first 2 shown]
	s_lshl_b64 s[4:5], s[6:7], 1
	global_load_u16 v43, v[7:8], off
	v_add_co_u32 v1, vcc_lo, v1, s4
	v_add_co_ci_u32_e32 v2, vcc_lo, s5, v3, vcc_lo
	global_load_u16 v1, v[1:2], off
	s_waitcnt vmcnt(31)
	v_dual_mov_b32 v2, 0 :: v_dual_lshlrev_b32 v3, 16, v13
	ds_load_b128 v[5:8], v2 offset:256
	ds_load_b128 v[9:12], v2 offset:272
	s_waitcnt vmcnt(30) lgkmcnt(1)
	v_dual_fmac_f32 v4, v5, v3 :: v_dual_lshlrev_b32 v3, 16, v14
	s_delay_alu instid0(VALU_DEP_1) | instskip(SKIP_3) | instid1(VALU_DEP_1)
	v_fmac_f32_e32 v4, v6, v3
	s_waitcnt vmcnt(29)
	v_lshlrev_b32_e32 v3, 16, v15
	s_waitcnt vmcnt(28)
	v_dual_fmac_f32 v4, v7, v3 :: v_dual_lshlrev_b32 v3, 16, v16
	s_waitcnt vmcnt(27)
	s_delay_alu instid0(VALU_DEP_1) | instskip(SKIP_3) | instid1(VALU_DEP_1)
	v_dual_fmac_f32 v4, v8, v3 :: v_dual_lshlrev_b32 v3, 16, v17
	ds_load_b128 v[5:8], v2 offset:288
	s_waitcnt vmcnt(26) lgkmcnt(1)
	v_dual_fmac_f32 v4, v9, v3 :: v_dual_lshlrev_b32 v3, 16, v18
	v_fmac_f32_e32 v4, v10, v3
	s_waitcnt vmcnt(25)
	v_lshlrev_b32_e32 v3, 16, v19
	s_waitcnt vmcnt(24)
	s_delay_alu instid0(VALU_DEP_1) | instskip(SKIP_1) | instid1(VALU_DEP_1)
	v_dual_fmac_f32 v4, v11, v3 :: v_dual_lshlrev_b32 v3, 16, v20
	s_waitcnt vmcnt(23)
	v_dual_fmac_f32 v4, v12, v3 :: v_dual_lshlrev_b32 v3, 16, v21
	ds_load_b128 v[9:12], v2 offset:304
	s_waitcnt vmcnt(22) lgkmcnt(1)
	v_dual_fmac_f32 v4, v5, v3 :: v_dual_lshlrev_b32 v3, 16, v22
	s_delay_alu instid0(VALU_DEP_1) | instskip(SKIP_3) | instid1(VALU_DEP_1)
	v_fmac_f32_e32 v4, v6, v3
	s_waitcnt vmcnt(21)
	v_lshlrev_b32_e32 v3, 16, v23
	s_waitcnt vmcnt(20)
	v_dual_fmac_f32 v4, v7, v3 :: v_dual_lshlrev_b32 v3, 16, v24
	s_waitcnt vmcnt(19)
	s_delay_alu instid0(VALU_DEP_1) | instskip(SKIP_3) | instid1(VALU_DEP_1)
	v_dual_fmac_f32 v4, v8, v3 :: v_dual_lshlrev_b32 v3, 16, v25
	ds_load_b128 v[5:8], v2 offset:320
	s_waitcnt vmcnt(18) lgkmcnt(1)
	v_dual_fmac_f32 v4, v9, v3 :: v_dual_lshlrev_b32 v3, 16, v26
	v_fmac_f32_e32 v4, v10, v3
	s_waitcnt vmcnt(17)
	v_lshlrev_b32_e32 v3, 16, v27
	s_waitcnt vmcnt(16)
	s_delay_alu instid0(VALU_DEP_1) | instskip(NEXT) | instid1(VALU_DEP_1)
	v_dual_fmac_f32 v4, v11, v3 :: v_dual_lshlrev_b32 v3, 16, v28
	v_fmac_f32_e32 v4, v12, v3
	ds_load_b128 v[9:12], v2 offset:336
	s_waitcnt vmcnt(15)
	v_lshlrev_b32_e32 v3, 16, v29
	s_waitcnt vmcnt(14) lgkmcnt(1)
	s_delay_alu instid0(VALU_DEP_1) | instskip(NEXT) | instid1(VALU_DEP_1)
	v_dual_fmac_f32 v4, v5, v3 :: v_dual_lshlrev_b32 v3, 16, v30
	v_fmac_f32_e32 v4, v6, v3
	s_waitcnt vmcnt(13)
	v_lshlrev_b32_e32 v3, 16, v31
	s_waitcnt vmcnt(12)
	s_delay_alu instid0(VALU_DEP_1) | instskip(SKIP_1) | instid1(VALU_DEP_1)
	v_dual_fmac_f32 v4, v7, v3 :: v_dual_lshlrev_b32 v3, 16, v32
	s_waitcnt vmcnt(0)
	v_dual_fmac_f32 v4, v8, v3 :: v_dual_lshlrev_b32 v1, 16, v1
	v_lshlrev_b32_e32 v3, 16, v33
	ds_load_b128 v[5:8], v2 offset:352
	s_waitcnt lgkmcnt(1)
	v_dual_fmac_f32 v4, v9, v3 :: v_dual_lshlrev_b32 v3, 16, v34
	s_delay_alu instid0(VALU_DEP_1) | instskip(SKIP_1) | instid1(VALU_DEP_1)
	v_fmac_f32_e32 v4, v10, v3
	v_lshlrev_b32_e32 v3, 16, v35
	v_dual_fmac_f32 v4, v11, v3 :: v_dual_lshlrev_b32 v3, 16, v36
	s_delay_alu instid0(VALU_DEP_1) | instskip(SKIP_4) | instid1(VALU_DEP_1)
	v_dual_fmac_f32 v4, v12, v3 :: v_dual_lshlrev_b32 v3, 16, v37
	ds_load_b128 v[9:12], v2 offset:368
	v_lshlrev_b32_e32 v2, 16, v38
	s_waitcnt lgkmcnt(1)
	v_fmac_f32_e32 v4, v5, v3
	v_fmac_f32_e32 v4, v6, v2
	v_lshlrev_b32_e32 v2, 16, v39
	s_delay_alu instid0(VALU_DEP_1) | instskip(SKIP_1) | instid1(VALU_DEP_1)
	v_fmac_f32_e32 v4, v7, v2
	v_lshlrev_b32_e32 v2, 16, v40
	v_fmac_f32_e32 v4, v8, v2
	v_lshlrev_b32_e32 v2, 16, v41
	s_waitcnt lgkmcnt(0)
	s_delay_alu instid0(VALU_DEP_1) | instskip(SKIP_1) | instid1(VALU_DEP_1)
	v_fmac_f32_e32 v4, v9, v2
	v_lshlrev_b32_e32 v2, 16, v42
	v_fmac_f32_e32 v4, v10, v2
	v_lshlrev_b32_e32 v2, 16, v43
	s_delay_alu instid0(VALU_DEP_1) | instskip(NEXT) | instid1(VALU_DEP_1)
	v_fmac_f32_e32 v4, v11, v2
	v_dual_fmac_f32 v4, v12, v1 :: v_dual_mov_b32 v1, 0
	s_and_not1_b32 vcc_lo, exec_lo, s15
	ds_load_b32 v1, v1 offset:384
	s_cbranch_vccz .LBB652_15
	s_branch .LBB652_16
	.section	.rodata,"a",@progbits
	.p2align	6, 0x0
	.amdhsa_kernel _Z35paged_attention_ll4mi_reduce_kernelI14__hip_bfloat16S0_Li128ELi128ELi256ELi3EEvPT0_PKfS4_PKT_PKiS9_iS4_
		.amdhsa_group_segment_fixed_size 388
		.amdhsa_private_segment_fixed_size 0
		.amdhsa_kernarg_size 320
		.amdhsa_user_sgpr_count 14
		.amdhsa_user_sgpr_dispatch_ptr 0
		.amdhsa_user_sgpr_queue_ptr 0
		.amdhsa_user_sgpr_kernarg_segment_ptr 1
		.amdhsa_user_sgpr_dispatch_id 0
		.amdhsa_user_sgpr_private_segment_size 0
		.amdhsa_wavefront_size32 1
		.amdhsa_uses_dynamic_stack 0
		.amdhsa_enable_private_segment 0
		.amdhsa_system_sgpr_workgroup_id_x 1
		.amdhsa_system_sgpr_workgroup_id_y 1
		.amdhsa_system_sgpr_workgroup_id_z 0
		.amdhsa_system_sgpr_workgroup_info 0
		.amdhsa_system_vgpr_workitem_id 0
		.amdhsa_next_free_vgpr 52
		.amdhsa_next_free_sgpr 52
		.amdhsa_reserve_vcc 1
		.amdhsa_float_round_mode_32 0
		.amdhsa_float_round_mode_16_64 0
		.amdhsa_float_denorm_mode_32 3
		.amdhsa_float_denorm_mode_16_64 3
		.amdhsa_dx10_clamp 1
		.amdhsa_ieee_mode 1
		.amdhsa_fp16_overflow 0
		.amdhsa_workgroup_processor_mode 1
		.amdhsa_memory_ordered 1
		.amdhsa_forward_progress 0
		.amdhsa_shared_vgpr_count 0
		.amdhsa_exception_fp_ieee_invalid_op 0
		.amdhsa_exception_fp_denorm_src 0
		.amdhsa_exception_fp_ieee_div_zero 0
		.amdhsa_exception_fp_ieee_overflow 0
		.amdhsa_exception_fp_ieee_underflow 0
		.amdhsa_exception_fp_ieee_inexact 0
		.amdhsa_exception_int_div_zero 0
	.end_amdhsa_kernel
	.section	.text._Z35paged_attention_ll4mi_reduce_kernelI14__hip_bfloat16S0_Li128ELi128ELi256ELi3EEvPT0_PKfS4_PKT_PKiS9_iS4_,"axG",@progbits,_Z35paged_attention_ll4mi_reduce_kernelI14__hip_bfloat16S0_Li128ELi128ELi256ELi3EEvPT0_PKfS4_PKT_PKiS9_iS4_,comdat
.Lfunc_end652:
	.size	_Z35paged_attention_ll4mi_reduce_kernelI14__hip_bfloat16S0_Li128ELi128ELi256ELi3EEvPT0_PKfS4_PKT_PKiS9_iS4_, .Lfunc_end652-_Z35paged_attention_ll4mi_reduce_kernelI14__hip_bfloat16S0_Li128ELi128ELi256ELi3EEvPT0_PKfS4_PKT_PKiS9_iS4_
                                        ; -- End function
	.section	.AMDGPU.csdata,"",@progbits
; Kernel info:
; codeLenInByte = 7436
; NumSgprs: 54
; NumVgprs: 52
; ScratchSize: 0
; MemoryBound: 0
; FloatMode: 240
; IeeeMode: 1
; LDSByteSize: 388 bytes/workgroup (compile time only)
; SGPRBlocks: 6
; VGPRBlocks: 6
; NumSGPRsForWavesPerEU: 54
; NumVGPRsForWavesPerEU: 52
; Occupancy: 16
; WaveLimiterHint : 0
; COMPUTE_PGM_RSRC2:SCRATCH_EN: 0
; COMPUTE_PGM_RSRC2:USER_SGPR: 14
; COMPUTE_PGM_RSRC2:TRAP_HANDLER: 0
; COMPUTE_PGM_RSRC2:TGID_X_EN: 1
; COMPUTE_PGM_RSRC2:TGID_Y_EN: 1
; COMPUTE_PGM_RSRC2:TGID_Z_EN: 0
; COMPUTE_PGM_RSRC2:TIDIG_COMP_CNT: 0
	.section	.text._Z35paged_attention_ll4mi_reduce_kernelI14__hip_bfloat16S0_Li128ELi128ELi256ELi4EEvPT0_PKfS4_PKT_PKiS9_iS4_,"axG",@progbits,_Z35paged_attention_ll4mi_reduce_kernelI14__hip_bfloat16S0_Li128ELi128ELi256ELi4EEvPT0_PKfS4_PKT_PKiS9_iS4_,comdat
	.protected	_Z35paged_attention_ll4mi_reduce_kernelI14__hip_bfloat16S0_Li128ELi128ELi256ELi4EEvPT0_PKfS4_PKT_PKiS9_iS4_ ; -- Begin function _Z35paged_attention_ll4mi_reduce_kernelI14__hip_bfloat16S0_Li128ELi128ELi256ELi4EEvPT0_PKfS4_PKT_PKiS9_iS4_
	.globl	_Z35paged_attention_ll4mi_reduce_kernelI14__hip_bfloat16S0_Li128ELi128ELi256ELi4EEvPT0_PKfS4_PKT_PKiS9_iS4_
	.p2align	8
	.type	_Z35paged_attention_ll4mi_reduce_kernelI14__hip_bfloat16S0_Li128ELi128ELi256ELi4EEvPT0_PKfS4_PKT_PKiS9_iS4_,@function
_Z35paged_attention_ll4mi_reduce_kernelI14__hip_bfloat16S0_Li128ELi128ELi256ELi4EEvPT0_PKfS4_PKT_PKiS9_iS4_: ; @_Z35paged_attention_ll4mi_reduce_kernelI14__hip_bfloat16S0_Li128ELi128ELi256ELi4EEvPT0_PKfS4_PKT_PKiS9_iS4_
; %bb.0:
	s_load_b64 s[12:13], s[0:1], 0x28
	s_mov_b32 s2, s15
	s_waitcnt lgkmcnt(0)
	s_cmp_lg_u64 s[12:13], 0
	s_cselect_b32 s15, -1, 0
	s_delay_alu instid0(SALU_CYCLE_1)
	s_and_b32 vcc_lo, exec_lo, s15
	s_cbranch_vccz .LBB653_22
; %bb.1:
	s_add_i32 s4, s2, 1
	s_mov_b32 s5, 0
	s_delay_alu instid0(SALU_CYCLE_1) | instskip(SKIP_4) | instid1(SALU_CYCLE_1)
	s_lshl_b64 s[6:7], s[4:5], 2
	s_mov_b32 s3, s5
	s_add_u32 s6, s12, s6
	s_addc_u32 s7, s13, s7
	s_lshl_b64 s[8:9], s[2:3], 2
	s_add_u32 s8, s12, s8
	s_addc_u32 s9, s13, s9
	s_clause 0x1
	s_load_b32 s4, s[6:7], 0x0
	s_load_b32 s6, s[8:9], 0x0
	s_waitcnt lgkmcnt(0)
	s_sub_i32 s4, s4, s6
	s_delay_alu instid0(SALU_CYCLE_1)
	s_cmp_eq_u32 s4, 1
	s_cselect_b32 s4, -1, 0
	s_cbranch_execnz .LBB653_3
.LBB653_2:
	s_mov_b32 s3, 0
	s_mov_b32 s4, -1
.LBB653_3:
	s_delay_alu instid0(SALU_CYCLE_1)
	s_and_not1_b32 vcc_lo, exec_lo, s4
	s_cbranch_vccz .LBB653_5
; %bb.4:
	s_endpgm
.LBB653_5:
	s_clause 0x1
	s_load_b128 s[4:7], s[0:1], 0x18
	s_load_b32 s9, s[0:1], 0x30
	s_lshl_b64 s[16:17], s[2:3], 2
	s_waitcnt lgkmcnt(0)
	s_add_u32 s6, s6, s16
	s_addc_u32 s7, s7, s17
	s_load_b32 s20, s[6:7], 0x0
	s_load_b32 s33, s[0:1], 0x40
	s_mul_i32 s7, s2, s9
	s_waitcnt lgkmcnt(0)
	s_add_i32 s50, s20, 0xff
	s_delay_alu instid0(SALU_CYCLE_1) | instskip(NEXT) | instid1(SALU_CYCLE_1)
	s_ashr_i32 s6, s50, 31
	s_lshr_b32 s6, s6, 24
	s_delay_alu instid0(SALU_CYCLE_1) | instskip(SKIP_4) | instid1(SALU_CYCLE_1)
	s_add_i32 s8, s50, s6
	s_mul_i32 s6, s14, s9
	s_mov_b32 s9, exec_lo
	v_cmpx_lt_u32_e32 31, v0
	s_xor_b32 s9, exec_lo, s9
	s_or_saveexec_b32 s22, s9
	v_mov_b32_e32 v1, s6
	s_ashr_i32 s21, s8, 8
	s_mul_i32 s18, s7, s33
	s_xor_b32 exec_lo, exec_lo, s22
	s_cbranch_execz .LBB653_9
; %bb.6:
	s_load_b128 s[8:11], s[0:1], 0x8
	v_or_b32_e32 v2, 32, v0
	v_cmp_gt_i32_e32 vcc_lo, s21, v0
	s_add_i32 s23, s21, -1
	v_or_b32_e32 v4, 64, v0
	v_or_b32_e32 v6, 0x60, v0
	s_mov_b32 s19, 0
	v_cndmask_b32_e32 v1, s23, v0, vcc_lo
	v_cmp_gt_i32_e32 vcc_lo, s21, v2
	s_lshl_b64 s[24:25], s[18:19], 2
	s_mov_b32 s7, s19
	v_cndmask_b32_e32 v3, s23, v2, vcc_lo
	v_cmp_gt_i32_e32 vcc_lo, s21, v4
	v_ashrrev_i32_e32 v2, 31, v1
	v_cndmask_b32_e32 v5, s23, v4, vcc_lo
	v_cmp_gt_i32_e32 vcc_lo, s21, v6
	v_ashrrev_i32_e32 v4, 31, v3
	s_delay_alu instid0(VALU_DEP_4)
	v_lshlrev_b64 v[1:2], 2, v[1:2]
	s_waitcnt lgkmcnt(0)
	s_add_u32 s19, s10, s24
	v_cndmask_b32_e32 v7, s23, v6, vcc_lo
	s_addc_u32 s23, s11, s25
	s_lshl_b64 s[10:11], s[6:7], 2
	v_lshlrev_b64 v[3:4], 2, v[3:4]
	s_add_u32 s7, s19, s10
	v_ashrrev_i32_e32 v6, 31, v5
	s_addc_u32 s19, s23, s11
	v_add_co_u32 v9, vcc_lo, s7, v1
	v_add_co_ci_u32_e32 v10, vcc_lo, s19, v2, vcc_lo
	v_ashrrev_i32_e32 v8, 31, v7
	v_add_co_u32 v11, vcc_lo, s7, v3
	v_lshlrev_b64 v[5:6], 2, v[5:6]
	v_add_co_ci_u32_e32 v12, vcc_lo, s19, v4, vcc_lo
	s_delay_alu instid0(VALU_DEP_4)
	v_lshlrev_b64 v[7:8], 2, v[7:8]
	s_clause 0x1
	global_load_b32 v13, v[9:10], off
	global_load_b32 v14, v[11:12], off
	v_add_co_u32 v9, vcc_lo, s7, v5
	v_add_co_ci_u32_e32 v10, vcc_lo, s19, v6, vcc_lo
	v_add_co_u32 v11, vcc_lo, s7, v7
	v_add_co_ci_u32_e32 v12, vcc_lo, s19, v8, vcc_lo
	s_clause 0x1
	global_load_b32 v9, v[9:10], off
	global_load_b32 v10, v[11:12], off
	s_add_u32 s7, s8, s24
	s_addc_u32 s8, s9, s25
	s_add_u32 s7, s7, s10
	s_addc_u32 s8, s8, s11
	v_add_co_u32 v1, vcc_lo, s7, v1
	v_add_co_ci_u32_e32 v2, vcc_lo, s8, v2, vcc_lo
	v_add_co_u32 v3, vcc_lo, s7, v3
	v_add_co_ci_u32_e32 v4, vcc_lo, s8, v4, vcc_lo
	;; [unrolled: 2-line block ×3, first 2 shown]
	s_clause 0x2
	global_load_b32 v11, v[1:2], off
	global_load_b32 v3, v[3:4], off
	;; [unrolled: 1-line block ×3, first 2 shown]
	v_add_co_u32 v1, vcc_lo, s7, v7
	v_add_co_ci_u32_e32 v2, vcc_lo, s8, v8, vcc_lo
	s_mov_b32 s7, exec_lo
	global_load_b32 v5, v[1:2], off
	v_mbcnt_lo_u32_b32 v1, -1, 0
	s_delay_alu instid0(VALU_DEP_1)
	v_xor_b32_e32 v2, 16, v1
	v_xor_b32_e32 v8, 8, v1
	v_xor_b32_e32 v12, 4, v1
	v_xor_b32_e32 v15, 2, v1
	v_xor_b32_e32 v16, 1, v1
	v_cmp_gt_i32_e32 vcc_lo, 32, v2
	v_cndmask_b32_e32 v2, v1, v2, vcc_lo
	v_cmp_gt_i32_e32 vcc_lo, 32, v8
	s_delay_alu instid0(VALU_DEP_2) | instskip(SKIP_2) | instid1(VALU_DEP_2)
	v_lshlrev_b32_e32 v2, 2, v2
	v_cndmask_b32_e32 v8, v1, v8, vcc_lo
	v_cmp_gt_i32_e32 vcc_lo, 32, v12
	v_lshlrev_b32_e32 v8, 2, v8
	v_cndmask_b32_e32 v12, v1, v12, vcc_lo
	v_cmp_gt_i32_e32 vcc_lo, 32, v15
	s_delay_alu instid0(VALU_DEP_2) | instskip(SKIP_2) | instid1(VALU_DEP_1)
	v_dual_cndmask_b32 v15, v1, v15 :: v_dual_lshlrev_b32 v12, 2, v12
	v_cmp_gt_i32_e32 vcc_lo, 32, v16
	v_cndmask_b32_e32 v1, v1, v16, vcc_lo
	v_lshlrev_b32_e32 v16, 2, v1
	s_delay_alu instid0(VALU_DEP_4) | instskip(SKIP_2) | instid1(VALU_DEP_1)
	v_lshlrev_b32_e32 v15, 2, v15
	s_waitcnt vmcnt(6)
	v_dual_max_f32 v7, v13, v13 :: v_dual_max_f32 v6, v14, v14
	v_max_f32_e32 v6, v7, v6
	s_waitcnt vmcnt(4)
	s_delay_alu instid0(VALU_DEP_1) | instskip(SKIP_3) | instid1(VALU_DEP_1)
	v_max3_f32 v6, v6, v9, v10
	ds_bpermute_b32 v7, v2, v6
	s_waitcnt lgkmcnt(0)
	v_max_f32_e32 v7, v7, v7
	v_max_f32_e32 v6, v6, v7
	ds_bpermute_b32 v7, v8, v6
	s_waitcnt lgkmcnt(0)
	v_max_f32_e32 v7, v7, v7
	s_delay_alu instid0(VALU_DEP_1) | instskip(SKIP_3) | instid1(VALU_DEP_1)
	v_max_f32_e32 v6, v6, v7
	ds_bpermute_b32 v7, v12, v6
	s_waitcnt lgkmcnt(0)
	v_max_f32_e32 v7, v7, v7
	v_max_f32_e32 v6, v6, v7
	ds_bpermute_b32 v7, v15, v6
	s_waitcnt lgkmcnt(0)
	v_max_f32_e32 v7, v7, v7
	s_delay_alu instid0(VALU_DEP_1) | instskip(SKIP_3) | instid1(VALU_DEP_1)
	v_max_f32_e32 v1, v6, v7
	ds_bpermute_b32 v6, v16, v1
	s_waitcnt lgkmcnt(0)
	v_max_f32_e32 v6, v6, v6
	v_max_f32_e32 v1, v1, v6
	s_delay_alu instid0(VALU_DEP_1) | instskip(SKIP_1) | instid1(VALU_DEP_2)
	v_sub_f32_e32 v9, v9, v1
	v_sub_f32_e32 v7, v14, v1
	v_mul_f32_e32 v14, 0x3fb8aa3b, v9
	v_sub_f32_e32 v6, v13, v1
	v_sub_f32_e32 v1, v10, v1
	s_delay_alu instid0(VALU_DEP_3) | instskip(NEXT) | instid1(VALU_DEP_3)
	v_fma_f32 v22, 0x3fb8aa3b, v9, -v14
	v_mul_f32_e32 v10, 0x3fb8aa3b, v6
	v_rndne_f32_e32 v23, v14
	v_cmp_ngt_f32_e32 vcc_lo, 0xc2ce8ed0, v6
	s_delay_alu instid0(VALU_DEP_3) | instskip(SKIP_1) | instid1(VALU_DEP_2)
	v_fma_f32 v18, 0x3fb8aa3b, v6, -v10
	v_rndne_f32_e32 v19, v10
	v_fmac_f32_e32 v18, 0x32a5705f, v6
	s_delay_alu instid0(VALU_DEP_2) | instskip(NEXT) | instid1(VALU_DEP_1)
	v_sub_f32_e32 v10, v10, v19
	v_dual_mul_f32 v13, 0x3fb8aa3b, v7 :: v_dual_add_f32 v10, v10, v18
	s_delay_alu instid0(VALU_DEP_1) | instskip(SKIP_2) | instid1(VALU_DEP_4)
	v_fma_f32 v20, 0x3fb8aa3b, v7, -v13
	v_rndne_f32_e32 v21, v13
	v_cvt_i32_f32_e32 v18, v19
	v_exp_f32_e32 v10, v10
	s_delay_alu instid0(VALU_DEP_3) | instskip(SKIP_4) | instid1(VALU_DEP_4)
	v_fmac_f32_e32 v20, 0x32a5705f, v7
	v_mul_f32_e32 v17, 0x3fb8aa3b, v1
	v_sub_f32_e32 v13, v13, v21
	v_fmac_f32_e32 v22, 0x32a5705f, v9
	v_cvt_i32_f32_e32 v19, v21
	v_rndne_f32_e32 v25, v17
	s_delay_alu instid0(VALU_DEP_4) | instskip(SKIP_1) | instid1(TRANS32_DEP_1)
	v_dual_add_f32 v13, v13, v20 :: v_dual_sub_f32 v14, v14, v23
	v_fma_f32 v24, 0x3fb8aa3b, v1, -v17
	v_ldexp_f32 v10, v10, v18
	s_delay_alu instid0(VALU_DEP_4) | instskip(NEXT) | instid1(VALU_DEP_4)
	v_sub_f32_e32 v17, v17, v25
	v_exp_f32_e32 v13, v13
	v_add_f32_e32 v14, v14, v22
	v_cvt_i32_f32_e32 v20, v23
	v_sub_nc_u32_e32 v22, s21, v0
	v_cvt_i32_f32_e32 v21, v25
	s_delay_alu instid0(VALU_DEP_4)
	v_exp_f32_e32 v14, v14
	s_waitcnt_depctr 0xfff
	v_ldexp_f32 v13, v13, v19
	v_cndmask_b32_e32 v10, 0, v10, vcc_lo
	v_cmp_ngt_f32_e32 vcc_lo, 0xc2ce8ed0, v7
	v_ldexp_f32 v14, v14, v20
	s_delay_alu instid0(VALU_DEP_4) | instskip(SKIP_1) | instid1(VALU_DEP_3)
	v_cndmask_b32_e32 v13, 0, v13, vcc_lo
	v_cmp_ngt_f32_e32 vcc_lo, 0xc2ce8ed0, v9
	v_cndmask_b32_e32 v14, 0, v14, vcc_lo
	v_cmp_nlt_f32_e32 vcc_lo, 0x42b17218, v6
	v_cndmask_b32_e32 v6, 0x7f800000, v10, vcc_lo
	v_cmp_nlt_f32_e32 vcc_lo, 0x42b17218, v7
	;; [unrolled: 2-line block ×3, first 2 shown]
	v_cndmask_b32_e32 v9, 0x7f800000, v14, vcc_lo
	v_cmp_lt_i32_e32 vcc_lo, 0, v22
	v_cndmask_b32_e32 v6, 0, v6, vcc_lo
	v_cmp_lt_i32_e32 vcc_lo, 32, v22
	s_waitcnt vmcnt(3)
	s_delay_alu instid0(VALU_DEP_2) | instskip(SKIP_2) | instid1(VALU_DEP_2)
	v_mul_f32_e32 v6, v11, v6
	v_dual_fmac_f32 v24, 0x32a5705f, v1 :: v_dual_cndmask_b32 v7, 0, v7
	v_cmp_lt_i32_e32 vcc_lo, 64, v22
	v_add_f32_e32 v17, v17, v24
	s_waitcnt vmcnt(2)
	s_delay_alu instid0(VALU_DEP_3) | instskip(SKIP_3) | instid1(VALU_DEP_3)
	v_mul_f32_e32 v3, v3, v7
	v_cndmask_b32_e32 v9, 0, v9, vcc_lo
	v_cmp_ngt_f32_e32 vcc_lo, 0xc2ce8ed0, v1
	v_exp_f32_e32 v17, v17
	v_add_f32_e32 v7, v6, v3
	s_waitcnt_depctr 0xfff
	v_ldexp_f32 v17, v17, v21
	s_delay_alu instid0(VALU_DEP_1) | instskip(SKIP_2) | instid1(VALU_DEP_2)
	v_cndmask_b32_e32 v10, 0, v17, vcc_lo
	v_cmp_nlt_f32_e32 vcc_lo, 0x42b17218, v1
	s_waitcnt vmcnt(1)
	v_dual_mul_f32 v4, v4, v9 :: v_dual_cndmask_b32 v1, 0x7f800000, v10
	v_cmp_lt_i32_e32 vcc_lo, 0x60, v22
	s_delay_alu instid0(VALU_DEP_2) | instskip(NEXT) | instid1(VALU_DEP_3)
	v_cndmask_b32_e32 v9, 0, v1, vcc_lo
	v_add_f32_e32 v1, v7, v4
	v_lshlrev_b32_e32 v7, 2, v0
	s_waitcnt vmcnt(0)
	s_delay_alu instid0(VALU_DEP_2)
	v_fmac_f32_e32 v1, v5, v9
	v_mul_f32_e32 v5, v5, v9
	ds_store_2addr_b32 v7, v6, v3 offset1:32
	ds_store_2addr_b32 v7, v4, v5 offset0:64 offset1:96
	ds_bpermute_b32 v2, v2, v1
	s_waitcnt lgkmcnt(0)
	v_add_f32_e32 v1, v1, v2
	ds_bpermute_b32 v2, v8, v1
	s_waitcnt lgkmcnt(0)
	v_add_f32_e32 v1, v1, v2
	;; [unrolled: 3-line block ×4, first 2 shown]
	ds_bpermute_b32 v2, v16, v1
	v_cmpx_eq_u32_e32 0, v0
	s_cbranch_execz .LBB653_8
; %bb.7:
	s_waitcnt lgkmcnt(0)
	v_dual_add_f32 v1, v1, v2 :: v_dual_mov_b32 v2, 0
	ds_store_b32 v2, v1 offset:512
.LBB653_8:
	s_or_b32 exec_lo, exec_lo, s7
	v_mov_b32_e32 v1, s6
.LBB653_9:
	s_or_b32 exec_lo, exec_lo, s22
	s_lshl_b32 s6, s18, 7
	s_mov_b32 s7, 0
	s_waitcnt lgkmcnt(0)
	v_dual_mov_b32 v2, 0 :: v_dual_lshlrev_b32 v1, 7, v1
	s_lshl_b64 s[6:7], s[6:7], 1
	v_lshlrev_b32_e32 v0, 1, v0
	s_add_u32 s34, s4, s6
	s_addc_u32 s35, s5, s7
	s_lshl_b32 s51, s21, 7
	v_lshlrev_b64 v[3:4], 1, v[1:2]
	s_addk_i32 s51, 0xff80
	s_cmpk_lt_i32 s50, 0x100
	v_dual_mov_b32 v32, 0 :: v_dual_mov_b32 v35, 0
	s_cselect_b32 s4, s51, 0
	s_delay_alu instid0(VALU_DEP_2)
	v_add_co_u32 v1, vcc_lo, s34, v3
	s_ashr_i32 s5, s4, 31
	v_add_co_ci_u32_e32 v3, vcc_lo, s35, v4, vcc_lo
	s_lshl_b64 s[4:5], s[4:5], 1
	s_cmpk_lt_i32 s50, 0x200
	v_add_co_u32 v1, vcc_lo, v1, v0
	s_cselect_b32 s6, s51, 0x80
	v_add_co_ci_u32_e32 v3, vcc_lo, 0, v3, vcc_lo
	s_ashr_i32 s7, s6, 31
	s_delay_alu instid0(VALU_DEP_2)
	v_add_co_u32 v4, vcc_lo, v1, s4
	s_lshl_b64 s[6:7], s[6:7], 1
	s_cmpk_lt_i32 s50, 0x300
	v_add_co_ci_u32_e32 v5, vcc_lo, s5, v3, vcc_lo
	s_cselect_b32 s8, s51, 0x100
	v_add_co_u32 v6, vcc_lo, v1, s6
	s_ashr_i32 s9, s8, 31
	v_add_co_ci_u32_e32 v7, vcc_lo, s7, v3, vcc_lo
	s_lshl_b64 s[8:9], s[8:9], 1
	s_cmpk_lt_i32 s50, 0x400
	v_add_co_u32 v8, vcc_lo, v1, s8
	s_cselect_b32 s10, s51, 0x180
	v_add_co_ci_u32_e32 v9, vcc_lo, s9, v3, vcc_lo
	s_ashr_i32 s11, s10, 31
	v_mov_b32_e32 v34, 0
	s_lshl_b64 s[10:11], s[10:11], 1
	s_cmpk_lt_i32 s50, 0x500
	v_add_co_u32 v14, vcc_lo, v1, s10
	s_cselect_b32 s18, s51, 0x200
	v_add_co_ci_u32_e32 v15, vcc_lo, s11, v3, vcc_lo
	s_ashr_i32 s19, s18, 31
	v_mov_b32_e32 v33, 0
	s_lshl_b64 s[18:19], s[18:19], 1
	s_cmpk_lt_i32 s50, 0x600
	v_add_co_u32 v16, vcc_lo, v1, s18
	s_cselect_b32 s22, s51, 0x280
	v_add_co_ci_u32_e32 v17, vcc_lo, s19, v3, vcc_lo
	s_ashr_i32 s23, s22, 31
	s_delay_alu instid0(SALU_CYCLE_1)
	s_lshl_b64 s[22:23], s[22:23], 1
	s_cmpk_lt_i32 s50, 0x700
	v_add_co_u32 v18, vcc_lo, v1, s22
	s_cselect_b32 s24, s51, 0x300
	v_add_co_ci_u32_e32 v19, vcc_lo, s23, v3, vcc_lo
	s_ashr_i32 s25, s24, 31
	s_delay_alu instid0(SALU_CYCLE_1)
	;; [unrolled: 7-line block ×3, first 2 shown]
	s_lshl_b64 s[26:27], s[26:27], 1
	s_cmpk_lt_i32 s50, 0x900
	v_add_co_u32 v22, vcc_lo, v1, s26
	s_cselect_b32 s28, s51, 0x400
	v_add_co_ci_u32_e32 v23, vcc_lo, s27, v3, vcc_lo
	s_ashr_i32 s29, s28, 31
	s_clause 0x7
	global_load_u16 v13, v[4:5], off
	global_load_u16 v4, v[6:7], off
	;; [unrolled: 1-line block ×8, first 2 shown]
	s_lshl_b64 s[28:29], s[28:29], 1
	s_cmpk_lt_i32 s50, 0xa00
	v_add_co_u32 v14, vcc_lo, v1, s28
	s_cselect_b32 s30, s51, 0x480
	v_add_co_ci_u32_e32 v15, vcc_lo, s29, v3, vcc_lo
	s_ashr_i32 s31, s30, 31
	s_delay_alu instid0(SALU_CYCLE_1)
	s_lshl_b64 s[30:31], s[30:31], 1
	s_cmpk_lt_i32 s50, 0xb00
	v_add_co_u32 v16, vcc_lo, v1, s30
	s_cselect_b32 s34, s51, 0x500
	v_add_co_ci_u32_e32 v17, vcc_lo, s31, v3, vcc_lo
	s_ashr_i32 s35, s34, 31
	s_delay_alu instid0(SALU_CYCLE_1)
	;; [unrolled: 7-line block ×7, first 2 shown]
	s_lshl_b64 s[4:5], s[6:7], 1
	s_cmpk_gt_i32 s20, 0x1000
	v_add_co_u32 v30, vcc_lo, v1, s4
	v_add_co_ci_u32_e32 v31, vcc_lo, s5, v3, vcc_lo
	s_clause 0x7
	global_load_u16 v19, v[14:15], off
	global_load_u16 v18, v[16:17], off
	;; [unrolled: 1-line block ×8, first 2 shown]
	v_dual_mov_b32 v20, 0 :: v_dual_mov_b32 v23, 0
	v_dual_mov_b32 v21, 0 :: v_dual_mov_b32 v22, 0
	v_dual_mov_b32 v25, 0 :: v_dual_mov_b32 v24, 0
	v_dual_mov_b32 v27, 0 :: v_dual_mov_b32 v26, 0
	v_dual_mov_b32 v29, 0 :: v_dual_mov_b32 v28, 0
	v_dual_mov_b32 v31, 0 :: v_dual_mov_b32 v30, 0
	s_cselect_b32 s6, -1, 0
	s_cmpk_lt_i32 s20, 0x1001
	s_waitcnt vmcnt(0)
	s_barrier
	buffer_gl0_inv
	s_cbranch_scc1 .LBB653_11
; %bb.10:
	s_cmpk_lt_i32 s50, 0x1100
	s_cselect_b32 s4, s51, 0x800
	s_delay_alu instid0(SALU_CYCLE_1) | instskip(NEXT) | instid1(SALU_CYCLE_1)
	s_ashr_i32 s5, s4, 31
	s_lshl_b64 s[4:5], s[4:5], 1
	s_cmpk_lt_i32 s50, 0x1200
	v_add_co_u32 v20, vcc_lo, v1, s4
	s_cselect_b32 s8, s51, 0x880
	v_add_co_ci_u32_e32 v21, vcc_lo, s5, v3, vcc_lo
	s_ashr_i32 s9, s8, 31
	s_delay_alu instid0(SALU_CYCLE_1)
	s_lshl_b64 s[8:9], s[8:9], 1
	s_cmpk_lt_i32 s50, 0x1300
	v_add_co_u32 v22, vcc_lo, v1, s8
	s_cselect_b32 s10, s51, 0x900
	v_add_co_ci_u32_e32 v23, vcc_lo, s9, v3, vcc_lo
	s_ashr_i32 s11, s10, 31
	s_delay_alu instid0(SALU_CYCLE_1)
	;; [unrolled: 7-line block ×14, first 2 shown]
	s_lshl_b64 s[4:5], s[18:19], 1
	s_cmpk_lt_i32 s50, 0x2000
	v_add_co_u32 v48, vcc_lo, v1, s4
	s_cselect_b32 s8, s51, 0xf80
	v_add_co_ci_u32_e32 v49, vcc_lo, s5, v3, vcc_lo
	s_ashr_i32 s9, s8, 31
	s_delay_alu instid0(SALU_CYCLE_1) | instskip(NEXT) | instid1(SALU_CYCLE_1)
	s_lshl_b64 s[4:5], s[8:9], 1
	v_add_co_u32 v50, vcc_lo, v1, s4
	v_add_co_ci_u32_e32 v51, vcc_lo, s5, v3, vcc_lo
	s_clause 0xf
	global_load_u16 v20, v[20:21], off
	global_load_u16 v21, v[22:23], off
	;; [unrolled: 1-line block ×16, first 2 shown]
	s_waitcnt vmcnt(15)
	v_lshlrev_b32_e32 v35, 16, v20
	s_waitcnt vmcnt(14)
	v_lshlrev_b32_e32 v34, 16, v21
	;; [unrolled: 2-line block ×16, first 2 shown]
.LBB653_11:
	ds_load_b128 v[36:39], v2
	ds_load_b128 v[40:43], v2 offset:16
	v_lshlrev_b32_e32 v44, 16, v4
	v_lshlrev_b32_e32 v13, 16, v13
	;; [unrolled: 1-line block ×4, first 2 shown]
	s_and_not1_b32 vcc_lo, exec_lo, s6
	v_lshlrev_b32_e32 v5, 16, v5
	s_waitcnt lgkmcnt(1)
	v_fma_f32 v4, v36, v13, 0
	s_delay_alu instid0(VALU_DEP_1) | instskip(SKIP_1) | instid1(VALU_DEP_1)
	v_dual_fmac_f32 v4, v37, v44 :: v_dual_lshlrev_b32 v9, 16, v9
	v_lshlrev_b32_e32 v11, 16, v11
	v_dual_fmac_f32 v4, v38, v11 :: v_dual_lshlrev_b32 v11, 16, v18
	s_delay_alu instid0(VALU_DEP_1) | instskip(SKIP_3) | instid1(VALU_DEP_1)
	v_dual_fmac_f32 v4, v39, v9 :: v_dual_lshlrev_b32 v7, 16, v7
	ds_load_b128 v[36:39], v2 offset:32
	s_waitcnt lgkmcnt(1)
	v_dual_fmac_f32 v4, v40, v8 :: v_dual_lshlrev_b32 v9, 16, v19
	v_fmac_f32_e32 v4, v41, v7
	s_delay_alu instid0(VALU_DEP_1) | instskip(NEXT) | instid1(VALU_DEP_1)
	v_fmac_f32_e32 v4, v42, v6
	v_fmac_f32_e32 v4, v43, v5
	ds_load_b128 v[5:8], v2 offset:48
	s_waitcnt lgkmcnt(1)
	v_fmac_f32_e32 v4, v36, v9
	s_delay_alu instid0(VALU_DEP_1) | instskip(NEXT) | instid1(VALU_DEP_1)
	v_dual_fmac_f32 v4, v37, v11 :: v_dual_lshlrev_b32 v9, 16, v17
	v_dual_fmac_f32 v4, v38, v9 :: v_dual_lshlrev_b32 v11, 16, v16
	v_lshlrev_b32_e32 v9, 16, v15
	s_delay_alu instid0(VALU_DEP_2) | instskip(SKIP_1) | instid1(VALU_DEP_1)
	v_dual_fmac_f32 v4, v39, v11 :: v_dual_lshlrev_b32 v11, 16, v14
	s_waitcnt lgkmcnt(0)
	v_dual_fmac_f32 v4, v5, v9 :: v_dual_lshlrev_b32 v5, 16, v12
	s_delay_alu instid0(VALU_DEP_1) | instskip(NEXT) | instid1(VALU_DEP_1)
	v_fmac_f32_e32 v4, v6, v11
	v_dual_fmac_f32 v4, v7, v5 :: v_dual_lshlrev_b32 v5, 16, v10
	s_delay_alu instid0(VALU_DEP_1)
	v_fmac_f32_e32 v4, v8, v5
	s_cbranch_vccz .LBB653_23
; %bb.12:
	s_cmpk_lt_i32 s50, 0x2100
	s_cbranch_scc0 .LBB653_24
.LBB653_13:
	s_cmpk_lt_i32 s50, 0x4100
	s_cbranch_scc0 .LBB653_25
.LBB653_14:
	s_cmpk_lt_i32 s50, 0x6100
	s_cbranch_scc0 .LBB653_26
.LBB653_15:
	v_mov_b32_e32 v1, 0
	s_and_not1_b32 vcc_lo, exec_lo, s15
	ds_load_b32 v1, v1 offset:512
	s_cbranch_vccnz .LBB653_17
.LBB653_16:
	s_add_u32 s2, s12, s16
	s_addc_u32 s3, s13, s17
	s_load_b32 s2, s[2:3], 0x0
	s_mov_b32 s3, 0
.LBB653_17:
	s_waitcnt lgkmcnt(0)
	v_add_f32_e32 v1, 0x358637bd, v1
	s_load_b64 s[0:1], s[0:1], 0x0
	s_delay_alu instid0(VALU_DEP_1) | instskip(NEXT) | instid1(VALU_DEP_1)
	v_div_scale_f32 v2, null, v1, v1, 1.0
	v_rcp_f32_e32 v3, v2
	s_waitcnt_depctr 0xfff
	v_fma_f32 v5, -v2, v3, 1.0
	s_delay_alu instid0(VALU_DEP_1) | instskip(SKIP_1) | instid1(VALU_DEP_1)
	v_fmac_f32_e32 v3, v5, v3
	v_div_scale_f32 v5, vcc_lo, 1.0, v1, 1.0
	v_mul_f32_e32 v6, v5, v3
	s_delay_alu instid0(VALU_DEP_1) | instskip(NEXT) | instid1(VALU_DEP_1)
	v_fma_f32 v7, -v2, v6, v5
	v_fmac_f32_e32 v6, v7, v3
	s_delay_alu instid0(VALU_DEP_1) | instskip(NEXT) | instid1(VALU_DEP_1)
	v_fma_f32 v2, -v2, v6, v5
	v_div_fmas_f32 v2, v2, v3, v6
	s_delay_alu instid0(VALU_DEP_1) | instskip(NEXT) | instid1(VALU_DEP_1)
	v_div_fixup_f32 v1, v2, v1, 1.0
	v_mul_f32_e32 v2, v4, v1
	s_delay_alu instid0(VALU_DEP_1) | instskip(NEXT) | instid1(VALU_DEP_1)
	v_and_b32_e32 v1, 0x7f800000, v2
	v_cmp_ne_u32_e32 vcc_lo, 0x7f800000, v1
                                        ; implicit-def: $vgpr1
	s_and_saveexec_b32 s4, vcc_lo
	s_delay_alu instid0(SALU_CYCLE_1)
	s_xor_b32 s4, exec_lo, s4
; %bb.18:
	v_bfe_u32 v1, v2, 16, 1
	s_delay_alu instid0(VALU_DEP_1)
	v_add3_u32 v1, v2, v1, 0x7fff
                                        ; implicit-def: $vgpr2
; %bb.19:
	s_and_not1_saveexec_b32 s4, s4
; %bb.20:
	v_and_b32_e32 v1, 0xffff, v2
	v_or_b32_e32 v3, 0x10000, v2
	s_delay_alu instid0(VALU_DEP_2) | instskip(NEXT) | instid1(VALU_DEP_2)
	v_cmp_eq_u32_e32 vcc_lo, 0, v1
	v_cndmask_b32_e32 v1, v3, v2, vcc_lo
; %bb.21:
	s_or_b32 exec_lo, exec_lo, s4
	s_mul_i32 s3, s33, s3
	s_mul_hi_u32 s4, s33, s2
	s_mul_i32 s2, s33, s2
	s_add_i32 s3, s4, s3
	s_mov_b32 s15, 0
	s_lshl_b64 s[2:3], s[2:3], 8
	s_waitcnt lgkmcnt(0)
	s_add_u32 s2, s0, s2
	s_addc_u32 s3, s1, s3
	s_lshl_b64 s[0:1], s[14:15], 8
	s_delay_alu instid0(SALU_CYCLE_1)
	s_add_u32 s0, s2, s0
	s_addc_u32 s1, s3, s1
	global_store_d16_hi_b16 v0, v1, s[0:1]
	s_nop 0
	s_sendmsg sendmsg(MSG_DEALLOC_VGPRS)
	s_endpgm
.LBB653_22:
	s_mov_b32 s4, 0
	s_branch .LBB653_2
.LBB653_23:
	ds_load_b128 v[5:8], v2 offset:64
	ds_load_b128 v[9:12], v2 offset:80
	s_waitcnt lgkmcnt(1)
	v_fmac_f32_e32 v4, v5, v35
	s_delay_alu instid0(VALU_DEP_1) | instskip(NEXT) | instid1(VALU_DEP_1)
	v_fmac_f32_e32 v4, v6, v34
	v_fmac_f32_e32 v4, v7, v33
	s_delay_alu instid0(VALU_DEP_1) | instskip(SKIP_3) | instid1(VALU_DEP_1)
	v_fmac_f32_e32 v4, v8, v32
	ds_load_b128 v[5:8], v2 offset:96
	s_waitcnt lgkmcnt(1)
	v_fmac_f32_e32 v4, v9, v31
	v_fmac_f32_e32 v4, v10, v30
	s_delay_alu instid0(VALU_DEP_1) | instskip(NEXT) | instid1(VALU_DEP_1)
	v_fmac_f32_e32 v4, v11, v29
	v_fmac_f32_e32 v4, v12, v28
	ds_load_b128 v[9:12], v2 offset:112
	s_waitcnt lgkmcnt(1)
	v_fmac_f32_e32 v4, v5, v27
	s_delay_alu instid0(VALU_DEP_1) | instskip(NEXT) | instid1(VALU_DEP_1)
	v_fmac_f32_e32 v4, v6, v26
	v_fmac_f32_e32 v4, v7, v25
	s_delay_alu instid0(VALU_DEP_1) | instskip(SKIP_1) | instid1(VALU_DEP_1)
	v_fmac_f32_e32 v4, v8, v24
	s_waitcnt lgkmcnt(0)
	v_fmac_f32_e32 v4, v9, v23
	s_delay_alu instid0(VALU_DEP_1) | instskip(NEXT) | instid1(VALU_DEP_1)
	v_fmac_f32_e32 v4, v10, v22
	v_fmac_f32_e32 v4, v11, v21
	s_delay_alu instid0(VALU_DEP_1)
	v_fmac_f32_e32 v4, v12, v20
	s_cmpk_lt_i32 s50, 0x2100
	s_cbranch_scc1 .LBB653_13
.LBB653_24:
	s_cmpk_lt_u32 s50, 0x2200
	v_add_co_u32 v5, vcc_lo, 0x2000, v1
	s_cselect_b32 s4, s51, 0x1080
	v_add_co_ci_u32_e32 v6, vcc_lo, 0, v3, vcc_lo
	s_ashr_i32 s5, s4, 31
	v_mov_b32_e32 v44, 0
	s_lshl_b64 s[4:5], s[4:5], 1
	s_cmpk_lt_u32 s50, 0x2300
	global_load_u16 v2, v[5:6], off
	s_cselect_b32 s6, s51, 0x1100
	v_add_co_u32 v5, vcc_lo, v1, s4
	s_ashr_i32 s7, s6, 31
	v_add_co_ci_u32_e32 v6, vcc_lo, s5, v3, vcc_lo
	s_lshl_b64 s[8:9], s[6:7], 1
	s_cmpk_lt_u32 s50, 0x2400
	v_add_co_u32 v7, vcc_lo, v1, s8
	s_cselect_b32 s6, s51, 0x1180
	v_add_co_ci_u32_e32 v8, vcc_lo, s9, v3, vcc_lo
	s_ashr_i32 s7, s6, 31
	s_delay_alu instid0(SALU_CYCLE_1)
	s_lshl_b64 s[18:19], s[6:7], 1
	s_cmpk_lt_u32 s50, 0x2500
	v_add_co_u32 v9, vcc_lo, v1, s18
	s_cselect_b32 s6, s51, 0x1200
	v_add_co_ci_u32_e32 v10, vcc_lo, s19, v3, vcc_lo
	s_ashr_i32 s7, s6, 31
	s_delay_alu instid0(SALU_CYCLE_1)
	s_lshl_b64 s[24:25], s[6:7], 1
	s_cmpk_lt_u32 s50, 0x2600
	v_add_co_u32 v11, vcc_lo, v1, s24
	s_cselect_b32 s6, s51, 0x1280
	v_add_co_ci_u32_e32 v12, vcc_lo, s25, v3, vcc_lo
	s_ashr_i32 s7, s6, 31
	s_clause 0x3
	global_load_u16 v13, v[5:6], off
	global_load_u16 v14, v[7:8], off
	;; [unrolled: 1-line block ×4, first 2 shown]
	s_lshl_b64 s[6:7], s[6:7], 1
	s_cmpk_lt_u32 s50, 0x2700
	v_add_co_u32 v5, vcc_lo, v1, s6
	s_cselect_b32 s10, s51, 0x1300
	v_add_co_ci_u32_e32 v6, vcc_lo, s7, v3, vcc_lo
	s_ashr_i32 s11, s10, 31
	s_delay_alu instid0(SALU_CYCLE_1)
	s_lshl_b64 s[10:11], s[10:11], 1
	s_cmpk_lt_u32 s50, 0x2800
	v_add_co_u32 v7, vcc_lo, v1, s10
	s_cselect_b32 s20, s51, 0x1380
	v_add_co_ci_u32_e32 v8, vcc_lo, s11, v3, vcc_lo
	s_ashr_i32 s21, s20, 31
	s_delay_alu instid0(SALU_CYCLE_1)
	;; [unrolled: 7-line block ×3, first 2 shown]
	s_lshl_b64 s[30:31], s[20:21], 1
	s_cmpk_lt_u32 s50, 0x2a00
	v_add_co_u32 v11, vcc_lo, v1, s30
	s_cselect_b32 s20, s51, 0x1480
	v_add_co_ci_u32_e32 v12, vcc_lo, s31, v3, vcc_lo
	s_ashr_i32 s21, s20, 31
	s_clause 0x3
	global_load_u16 v17, v[5:6], off
	global_load_u16 v18, v[7:8], off
	;; [unrolled: 1-line block ×4, first 2 shown]
	s_lshl_b64 s[20:21], s[20:21], 1
	s_cmpk_lt_u32 s50, 0x2b00
	v_add_co_u32 v5, vcc_lo, v1, s20
	s_cselect_b32 s26, s51, 0x1500
	v_add_co_ci_u32_e32 v6, vcc_lo, s21, v3, vcc_lo
	s_ashr_i32 s27, s26, 31
	s_delay_alu instid0(SALU_CYCLE_1)
	s_lshl_b64 s[26:27], s[26:27], 1
	s_cmpk_lt_u32 s50, 0x2c00
	v_add_co_u32 v7, vcc_lo, v1, s26
	s_cselect_b32 s28, s51, 0x1580
	v_add_co_ci_u32_e32 v8, vcc_lo, s27, v3, vcc_lo
	s_ashr_i32 s29, s28, 31
	global_load_u16 v21, v[5:6], off
	s_lshl_b64 s[34:35], s[28:29], 1
	s_cmpk_lt_u32 s50, 0x2d00
	v_add_co_u32 v9, vcc_lo, v1, s34
	s_cselect_b32 s28, s51, 0x1600
	v_add_co_ci_u32_e32 v10, vcc_lo, s35, v3, vcc_lo
	s_ashr_i32 s29, s28, 31
	s_delay_alu instid0(SALU_CYCLE_1)
	s_lshl_b64 s[38:39], s[28:29], 1
	s_cmpk_lt_u32 s50, 0x2e00
	v_add_co_u32 v11, vcc_lo, v1, s38
	s_cselect_b32 s28, s51, 0x1680
	v_add_co_ci_u32_e32 v12, vcc_lo, s39, v3, vcc_lo
	s_ashr_i32 s29, s28, 31
	s_clause 0x2
	global_load_u16 v22, v[7:8], off
	global_load_u16 v23, v[9:10], off
	;; [unrolled: 1-line block ×3, first 2 shown]
	s_lshl_b64 s[28:29], s[28:29], 1
	s_cmpk_lt_u32 s50, 0x2f00
	v_add_co_u32 v5, vcc_lo, v1, s28
	s_cselect_b32 s36, s51, 0x1700
	v_add_co_ci_u32_e32 v6, vcc_lo, s29, v3, vcc_lo
	s_ashr_i32 s37, s36, 31
	s_delay_alu instid0(SALU_CYCLE_1)
	s_lshl_b64 s[36:37], s[36:37], 1
	s_cmpk_lt_u32 s50, 0x3000
	v_add_co_u32 v7, vcc_lo, v1, s36
	s_cselect_b32 s40, s51, 0x1780
	v_add_co_ci_u32_e32 v8, vcc_lo, s37, v3, vcc_lo
	s_ashr_i32 s41, s40, 31
	global_load_u16 v25, v[5:6], off
	s_lshl_b64 s[40:41], s[40:41], 1
	global_load_u16 v26, v[7:8], off
	s_cmpk_lt_u32 s50, 0x3100
	v_add_co_u32 v9, vcc_lo, v1, s40
	s_cselect_b32 s42, s51, 0x1800
	v_add_co_ci_u32_e32 v10, vcc_lo, s41, v3, vcc_lo
	s_ashr_i32 s43, s42, 31
	s_delay_alu instid0(SALU_CYCLE_1)
	s_lshl_b64 s[42:43], s[42:43], 1
	global_load_u16 v27, v[9:10], off
	s_cmpk_lt_u32 s50, 0x3200
	v_add_co_u32 v5, vcc_lo, v1, s42
	s_cselect_b32 s44, s51, 0x1880
	v_add_co_ci_u32_e32 v6, vcc_lo, s43, v3, vcc_lo
	s_ashr_i32 s45, s44, 31
	s_delay_alu instid0(SALU_CYCLE_1)
	s_lshl_b64 s[44:45], s[44:45], 1
	s_cmpk_lt_u32 s50, 0x3300
	v_add_co_u32 v7, vcc_lo, v1, s44
	s_cselect_b32 s46, s51, 0x1900
	v_add_co_ci_u32_e32 v8, vcc_lo, s45, v3, vcc_lo
	s_ashr_i32 s47, s46, 31
	global_load_u16 v28, v[5:6], off
	s_lshl_b64 s[46:47], s[46:47], 1
	global_load_u16 v29, v[7:8], off
	s_cmpk_lt_u32 s50, 0x3400
	v_add_co_u32 v9, vcc_lo, v1, s46
	s_cselect_b32 s48, s51, 0x1980
	v_add_co_ci_u32_e32 v10, vcc_lo, s47, v3, vcc_lo
	s_ashr_i32 s49, s48, 31
	s_delay_alu instid0(SALU_CYCLE_1)
	s_lshl_b64 s[48:49], s[48:49], 1
	s_cmpk_lt_u32 s50, 0x3500
	v_add_co_u32 v5, vcc_lo, v1, s48
	s_cselect_b32 s4, s51, 0x1a00
	v_add_co_ci_u32_e32 v6, vcc_lo, s49, v3, vcc_lo
	s_ashr_i32 s5, s4, 31
	global_load_u16 v30, v[9:10], off
	s_lshl_b64 s[4:5], s[4:5], 1
	s_cmpk_lt_u32 s50, 0x3600
	v_add_co_u32 v7, vcc_lo, v1, s4
	s_cselect_b32 s8, s51, 0x1a80
	v_add_co_ci_u32_e32 v8, vcc_lo, s5, v3, vcc_lo
	s_ashr_i32 s9, s8, 31
	global_load_u16 v31, v[5:6], off
	s_lshl_b64 s[6:7], s[8:9], 1
	global_load_u16 v32, v[7:8], off
	s_cmpk_lt_u32 s50, 0x3700
	v_add_co_u32 v5, vcc_lo, v1, s6
	s_cselect_b32 s8, s51, 0x1b00
	v_add_co_ci_u32_e32 v6, vcc_lo, s7, v3, vcc_lo
	s_ashr_i32 s9, s8, 31
	s_delay_alu instid0(SALU_CYCLE_1)
	s_lshl_b64 s[8:9], s[8:9], 1
	s_cmpk_lt_u32 s50, 0x3800
	v_add_co_u32 v7, vcc_lo, v1, s8
	s_cselect_b32 s10, s51, 0x1b80
	v_add_co_ci_u32_e32 v8, vcc_lo, s9, v3, vcc_lo
	s_ashr_i32 s11, s10, 31
	global_load_u16 v33, v[5:6], off
	s_lshl_b64 s[10:11], s[10:11], 1
	global_load_u16 v34, v[7:8], off
	s_cmpk_lt_u32 s50, 0x3900
	v_add_co_u32 v5, vcc_lo, v1, s10
	s_cselect_b32 s18, s51, 0x1c00
	v_add_co_ci_u32_e32 v6, vcc_lo, s11, v3, vcc_lo
	s_ashr_i32 s19, s18, 31
	s_delay_alu instid0(SALU_CYCLE_1)
	;; [unrolled: 15-line block ×5, first 2 shown]
	s_lshl_b64 s[4:5], s[8:9], 1
	s_cmpk_lt_u32 s50, 0x4000
	v_add_co_u32 v7, vcc_lo, v1, s4
	s_cselect_b32 s6, s51, 0x1f80
	v_add_co_ci_u32_e32 v8, vcc_lo, s5, v3, vcc_lo
	s_ashr_i32 s7, s6, 31
	global_load_u16 v41, v[5:6], off
	s_lshl_b64 s[4:5], s[6:7], 1
	global_load_u16 v42, v[7:8], off
	v_add_co_u32 v5, vcc_lo, v1, s4
	v_add_co_ci_u32_e32 v6, vcc_lo, s5, v3, vcc_lo
	global_load_u16 v43, v[5:6], off
	ds_load_b128 v[5:8], v44 offset:128
	ds_load_b128 v[9:12], v44 offset:144
	s_waitcnt vmcnt(31)
	v_lshlrev_b32_e32 v2, 16, v2
	s_waitcnt lgkmcnt(1)
	s_delay_alu instid0(VALU_DEP_1) | instskip(SKIP_2) | instid1(VALU_DEP_1)
	v_fmac_f32_e32 v4, v5, v2
	s_waitcnt vmcnt(30)
	v_lshlrev_b32_e32 v2, 16, v13
	v_fmac_f32_e32 v4, v6, v2
	s_waitcnt vmcnt(29)
	v_lshlrev_b32_e32 v2, 16, v14
	s_delay_alu instid0(VALU_DEP_1) | instskip(SKIP_2) | instid1(VALU_DEP_1)
	v_fmac_f32_e32 v4, v7, v2
	s_waitcnt vmcnt(28)
	v_lshlrev_b32_e32 v2, 16, v15
	v_fmac_f32_e32 v4, v8, v2
	s_waitcnt vmcnt(27)
	v_lshlrev_b32_e32 v2, 16, v16
	ds_load_b128 v[5:8], v44 offset:160
	s_waitcnt lgkmcnt(1)
	v_fmac_f32_e32 v4, v9, v2
	s_waitcnt vmcnt(26)
	v_lshlrev_b32_e32 v2, 16, v17
	s_delay_alu instid0(VALU_DEP_1) | instskip(SKIP_2) | instid1(VALU_DEP_1)
	v_fmac_f32_e32 v4, v10, v2
	s_waitcnt vmcnt(25)
	v_lshlrev_b32_e32 v2, 16, v18
	v_fmac_f32_e32 v4, v11, v2
	s_waitcnt vmcnt(24)
	v_lshlrev_b32_e32 v2, 16, v19
	s_delay_alu instid0(VALU_DEP_1) | instskip(SKIP_4) | instid1(VALU_DEP_1)
	v_fmac_f32_e32 v4, v12, v2
	ds_load_b128 v[9:12], v44 offset:176
	s_waitcnt vmcnt(23)
	v_lshlrev_b32_e32 v2, 16, v20
	s_waitcnt lgkmcnt(1)
	v_fmac_f32_e32 v4, v5, v2
	s_waitcnt vmcnt(22)
	v_lshlrev_b32_e32 v2, 16, v21
	s_delay_alu instid0(VALU_DEP_1) | instskip(SKIP_2) | instid1(VALU_DEP_1)
	v_fmac_f32_e32 v4, v6, v2
	s_waitcnt vmcnt(21)
	v_lshlrev_b32_e32 v2, 16, v22
	v_fmac_f32_e32 v4, v7, v2
	s_waitcnt vmcnt(20)
	v_lshlrev_b32_e32 v2, 16, v23
	s_delay_alu instid0(VALU_DEP_1)
	v_fmac_f32_e32 v4, v8, v2
	s_waitcnt vmcnt(19)
	v_lshlrev_b32_e32 v2, 16, v24
	ds_load_b128 v[5:8], v44 offset:192
	s_waitcnt lgkmcnt(1)
	v_fmac_f32_e32 v4, v9, v2
	s_waitcnt vmcnt(18)
	v_lshlrev_b32_e32 v2, 16, v25
	s_delay_alu instid0(VALU_DEP_1) | instskip(SKIP_2) | instid1(VALU_DEP_1)
	v_fmac_f32_e32 v4, v10, v2
	s_waitcnt vmcnt(17)
	v_lshlrev_b32_e32 v2, 16, v26
	v_fmac_f32_e32 v4, v11, v2
	s_waitcnt vmcnt(16)
	v_lshlrev_b32_e32 v2, 16, v27
	s_delay_alu instid0(VALU_DEP_1) | instskip(SKIP_4) | instid1(VALU_DEP_1)
	v_fmac_f32_e32 v4, v12, v2
	ds_load_b128 v[9:12], v44 offset:208
	s_waitcnt vmcnt(15)
	v_lshlrev_b32_e32 v2, 16, v28
	s_waitcnt lgkmcnt(1)
	v_fmac_f32_e32 v4, v5, v2
	s_waitcnt vmcnt(14)
	v_lshlrev_b32_e32 v2, 16, v29
	s_delay_alu instid0(VALU_DEP_1) | instskip(SKIP_2) | instid1(VALU_DEP_1)
	v_fmac_f32_e32 v4, v6, v2
	s_waitcnt vmcnt(13)
	v_lshlrev_b32_e32 v2, 16, v30
	v_fmac_f32_e32 v4, v7, v2
	s_waitcnt vmcnt(12)
	v_lshlrev_b32_e32 v2, 16, v31
	s_delay_alu instid0(VALU_DEP_1)
	v_fmac_f32_e32 v4, v8, v2
	s_waitcnt vmcnt(11)
	v_lshlrev_b32_e32 v2, 16, v32
	ds_load_b128 v[5:8], v44 offset:224
	s_waitcnt lgkmcnt(1)
	v_fmac_f32_e32 v4, v9, v2
	s_waitcnt vmcnt(10)
	v_lshlrev_b32_e32 v2, 16, v33
	s_delay_alu instid0(VALU_DEP_1) | instskip(SKIP_2) | instid1(VALU_DEP_1)
	v_fmac_f32_e32 v4, v10, v2
	s_waitcnt vmcnt(9)
	v_lshlrev_b32_e32 v2, 16, v34
	v_fmac_f32_e32 v4, v11, v2
	s_waitcnt vmcnt(8)
	v_lshlrev_b32_e32 v2, 16, v35
	s_delay_alu instid0(VALU_DEP_1) | instskip(SKIP_4) | instid1(VALU_DEP_1)
	v_fmac_f32_e32 v4, v12, v2
	ds_load_b128 v[9:12], v44 offset:240
	s_waitcnt vmcnt(7)
	v_lshlrev_b32_e32 v2, 16, v36
	s_waitcnt lgkmcnt(1)
	v_fmac_f32_e32 v4, v5, v2
	s_waitcnt vmcnt(6)
	v_lshlrev_b32_e32 v2, 16, v37
	s_delay_alu instid0(VALU_DEP_1) | instskip(SKIP_2) | instid1(VALU_DEP_1)
	v_fmac_f32_e32 v4, v6, v2
	s_waitcnt vmcnt(5)
	v_lshlrev_b32_e32 v2, 16, v38
	v_fmac_f32_e32 v4, v7, v2
	s_waitcnt vmcnt(4)
	v_lshlrev_b32_e32 v2, 16, v39
	s_delay_alu instid0(VALU_DEP_1) | instskip(SKIP_3) | instid1(VALU_DEP_1)
	v_fmac_f32_e32 v4, v8, v2
	s_waitcnt vmcnt(3)
	v_lshlrev_b32_e32 v2, 16, v40
	s_waitcnt lgkmcnt(0)
	v_fmac_f32_e32 v4, v9, v2
	s_waitcnt vmcnt(2)
	v_lshlrev_b32_e32 v2, 16, v41
	s_delay_alu instid0(VALU_DEP_1) | instskip(SKIP_2) | instid1(VALU_DEP_1)
	v_fmac_f32_e32 v4, v10, v2
	s_waitcnt vmcnt(1)
	v_lshlrev_b32_e32 v2, 16, v42
	v_fmac_f32_e32 v4, v11, v2
	s_waitcnt vmcnt(0)
	v_lshlrev_b32_e32 v2, 16, v43
	s_delay_alu instid0(VALU_DEP_1)
	v_fmac_f32_e32 v4, v12, v2
	s_cmpk_lt_i32 s50, 0x4100
	s_cbranch_scc1 .LBB653_14
.LBB653_25:
	s_cmpk_lt_u32 s50, 0x4200
	v_add_co_u32 v5, vcc_lo, 0x4000, v1
	s_cselect_b32 s4, s51, 0x2080
	v_add_co_ci_u32_e32 v6, vcc_lo, 0, v3, vcc_lo
	s_ashr_i32 s5, s4, 31
	v_mov_b32_e32 v44, 0
	s_lshl_b64 s[4:5], s[4:5], 1
	s_cmpk_lt_u32 s50, 0x4300
	global_load_u16 v2, v[5:6], off
	s_cselect_b32 s6, s51, 0x2100
	v_add_co_u32 v5, vcc_lo, v1, s4
	s_ashr_i32 s7, s6, 31
	v_add_co_ci_u32_e32 v6, vcc_lo, s5, v3, vcc_lo
	s_lshl_b64 s[8:9], s[6:7], 1
	s_cmpk_lt_u32 s50, 0x4400
	v_add_co_u32 v7, vcc_lo, v1, s8
	s_cselect_b32 s6, s51, 0x2180
	v_add_co_ci_u32_e32 v8, vcc_lo, s9, v3, vcc_lo
	s_ashr_i32 s7, s6, 31
	s_delay_alu instid0(SALU_CYCLE_1)
	s_lshl_b64 s[18:19], s[6:7], 1
	s_cmpk_lt_u32 s50, 0x4500
	v_add_co_u32 v9, vcc_lo, v1, s18
	s_cselect_b32 s6, s51, 0x2200
	v_add_co_ci_u32_e32 v10, vcc_lo, s19, v3, vcc_lo
	s_ashr_i32 s7, s6, 31
	s_delay_alu instid0(SALU_CYCLE_1)
	s_lshl_b64 s[24:25], s[6:7], 1
	s_cmpk_lt_u32 s50, 0x4600
	v_add_co_u32 v11, vcc_lo, v1, s24
	s_cselect_b32 s6, s51, 0x2280
	v_add_co_ci_u32_e32 v12, vcc_lo, s25, v3, vcc_lo
	s_ashr_i32 s7, s6, 31
	s_clause 0x3
	global_load_u16 v13, v[5:6], off
	global_load_u16 v14, v[7:8], off
	global_load_u16 v15, v[9:10], off
	global_load_u16 v16, v[11:12], off
	s_lshl_b64 s[6:7], s[6:7], 1
	s_cmpk_lt_u32 s50, 0x4700
	v_add_co_u32 v5, vcc_lo, v1, s6
	s_cselect_b32 s10, s51, 0x2300
	v_add_co_ci_u32_e32 v6, vcc_lo, s7, v3, vcc_lo
	s_ashr_i32 s11, s10, 31
	s_delay_alu instid0(SALU_CYCLE_1)
	s_lshl_b64 s[10:11], s[10:11], 1
	s_cmpk_lt_u32 s50, 0x4800
	v_add_co_u32 v7, vcc_lo, v1, s10
	s_cselect_b32 s20, s51, 0x2380
	v_add_co_ci_u32_e32 v8, vcc_lo, s11, v3, vcc_lo
	s_ashr_i32 s21, s20, 31
	s_delay_alu instid0(SALU_CYCLE_1)
	s_lshl_b64 s[22:23], s[20:21], 1
	s_cmpk_lt_u32 s50, 0x4900
	v_add_co_u32 v9, vcc_lo, v1, s22
	s_cselect_b32 s20, s51, 0x2400
	v_add_co_ci_u32_e32 v10, vcc_lo, s23, v3, vcc_lo
	s_ashr_i32 s21, s20, 31
	s_delay_alu instid0(SALU_CYCLE_1)
	s_lshl_b64 s[30:31], s[20:21], 1
	s_cmpk_lt_u32 s50, 0x4a00
	v_add_co_u32 v11, vcc_lo, v1, s30
	s_cselect_b32 s20, s51, 0x2480
	v_add_co_ci_u32_e32 v12, vcc_lo, s31, v3, vcc_lo
	s_ashr_i32 s21, s20, 31
	s_clause 0x3
	global_load_u16 v17, v[5:6], off
	global_load_u16 v18, v[7:8], off
	;; [unrolled: 1-line block ×4, first 2 shown]
	s_lshl_b64 s[20:21], s[20:21], 1
	s_cmpk_lt_u32 s50, 0x4b00
	v_add_co_u32 v5, vcc_lo, v1, s20
	s_cselect_b32 s26, s51, 0x2500
	v_add_co_ci_u32_e32 v6, vcc_lo, s21, v3, vcc_lo
	s_ashr_i32 s27, s26, 31
	s_delay_alu instid0(SALU_CYCLE_1)
	s_lshl_b64 s[26:27], s[26:27], 1
	s_cmpk_lt_u32 s50, 0x4c00
	v_add_co_u32 v7, vcc_lo, v1, s26
	s_cselect_b32 s28, s51, 0x2580
	v_add_co_ci_u32_e32 v8, vcc_lo, s27, v3, vcc_lo
	s_ashr_i32 s29, s28, 31
	global_load_u16 v21, v[5:6], off
	s_lshl_b64 s[34:35], s[28:29], 1
	s_cmpk_lt_u32 s50, 0x4d00
	v_add_co_u32 v9, vcc_lo, v1, s34
	s_cselect_b32 s28, s51, 0x2600
	v_add_co_ci_u32_e32 v10, vcc_lo, s35, v3, vcc_lo
	s_ashr_i32 s29, s28, 31
	s_delay_alu instid0(SALU_CYCLE_1)
	s_lshl_b64 s[38:39], s[28:29], 1
	s_cmpk_lt_u32 s50, 0x4e00
	v_add_co_u32 v11, vcc_lo, v1, s38
	s_cselect_b32 s28, s51, 0x2680
	v_add_co_ci_u32_e32 v12, vcc_lo, s39, v3, vcc_lo
	s_ashr_i32 s29, s28, 31
	s_clause 0x2
	global_load_u16 v22, v[7:8], off
	global_load_u16 v23, v[9:10], off
	global_load_u16 v24, v[11:12], off
	s_lshl_b64 s[28:29], s[28:29], 1
	s_cmpk_lt_u32 s50, 0x4f00
	v_add_co_u32 v5, vcc_lo, v1, s28
	s_cselect_b32 s36, s51, 0x2700
	v_add_co_ci_u32_e32 v6, vcc_lo, s29, v3, vcc_lo
	s_ashr_i32 s37, s36, 31
	s_delay_alu instid0(SALU_CYCLE_1)
	s_lshl_b64 s[36:37], s[36:37], 1
	s_cmpk_lt_u32 s50, 0x5000
	v_add_co_u32 v7, vcc_lo, v1, s36
	s_cselect_b32 s40, s51, 0x2780
	v_add_co_ci_u32_e32 v8, vcc_lo, s37, v3, vcc_lo
	s_ashr_i32 s41, s40, 31
	global_load_u16 v25, v[5:6], off
	s_lshl_b64 s[40:41], s[40:41], 1
	global_load_u16 v26, v[7:8], off
	s_cmpk_lt_u32 s50, 0x5100
	v_add_co_u32 v9, vcc_lo, v1, s40
	s_cselect_b32 s42, s51, 0x2800
	v_add_co_ci_u32_e32 v10, vcc_lo, s41, v3, vcc_lo
	s_ashr_i32 s43, s42, 31
	s_delay_alu instid0(SALU_CYCLE_1)
	s_lshl_b64 s[42:43], s[42:43], 1
	global_load_u16 v27, v[9:10], off
	s_cmpk_lt_u32 s50, 0x5200
	v_add_co_u32 v5, vcc_lo, v1, s42
	s_cselect_b32 s44, s51, 0x2880
	v_add_co_ci_u32_e32 v6, vcc_lo, s43, v3, vcc_lo
	s_ashr_i32 s45, s44, 31
	s_delay_alu instid0(SALU_CYCLE_1)
	s_lshl_b64 s[44:45], s[44:45], 1
	s_cmpk_lt_u32 s50, 0x5300
	v_add_co_u32 v7, vcc_lo, v1, s44
	s_cselect_b32 s46, s51, 0x2900
	v_add_co_ci_u32_e32 v8, vcc_lo, s45, v3, vcc_lo
	s_ashr_i32 s47, s46, 31
	global_load_u16 v28, v[5:6], off
	s_lshl_b64 s[46:47], s[46:47], 1
	global_load_u16 v29, v[7:8], off
	s_cmpk_lt_u32 s50, 0x5400
	v_add_co_u32 v9, vcc_lo, v1, s46
	s_cselect_b32 s48, s51, 0x2980
	v_add_co_ci_u32_e32 v10, vcc_lo, s47, v3, vcc_lo
	s_ashr_i32 s49, s48, 31
	s_delay_alu instid0(SALU_CYCLE_1)
	s_lshl_b64 s[48:49], s[48:49], 1
	s_cmpk_lt_u32 s50, 0x5500
	v_add_co_u32 v5, vcc_lo, v1, s48
	s_cselect_b32 s4, s51, 0x2a00
	v_add_co_ci_u32_e32 v6, vcc_lo, s49, v3, vcc_lo
	s_ashr_i32 s5, s4, 31
	global_load_u16 v30, v[9:10], off
	s_lshl_b64 s[4:5], s[4:5], 1
	s_cmpk_lt_u32 s50, 0x5600
	v_add_co_u32 v7, vcc_lo, v1, s4
	s_cselect_b32 s8, s51, 0x2a80
	v_add_co_ci_u32_e32 v8, vcc_lo, s5, v3, vcc_lo
	s_ashr_i32 s9, s8, 31
	global_load_u16 v31, v[5:6], off
	s_lshl_b64 s[6:7], s[8:9], 1
	global_load_u16 v32, v[7:8], off
	s_cmpk_lt_u32 s50, 0x5700
	v_add_co_u32 v5, vcc_lo, v1, s6
	s_cselect_b32 s8, s51, 0x2b00
	v_add_co_ci_u32_e32 v6, vcc_lo, s7, v3, vcc_lo
	s_ashr_i32 s9, s8, 31
	s_delay_alu instid0(SALU_CYCLE_1)
	s_lshl_b64 s[8:9], s[8:9], 1
	s_cmpk_lt_u32 s50, 0x5800
	v_add_co_u32 v7, vcc_lo, v1, s8
	s_cselect_b32 s10, s51, 0x2b80
	v_add_co_ci_u32_e32 v8, vcc_lo, s9, v3, vcc_lo
	s_ashr_i32 s11, s10, 31
	global_load_u16 v33, v[5:6], off
	s_lshl_b64 s[10:11], s[10:11], 1
	global_load_u16 v34, v[7:8], off
	s_cmpk_lt_u32 s50, 0x5900
	v_add_co_u32 v5, vcc_lo, v1, s10
	s_cselect_b32 s18, s51, 0x2c00
	v_add_co_ci_u32_e32 v6, vcc_lo, s11, v3, vcc_lo
	s_ashr_i32 s19, s18, 31
	s_delay_alu instid0(SALU_CYCLE_1)
	;; [unrolled: 15-line block ×5, first 2 shown]
	s_lshl_b64 s[4:5], s[8:9], 1
	s_cmpk_lt_u32 s50, 0x6000
	v_add_co_u32 v7, vcc_lo, v1, s4
	s_cselect_b32 s6, s51, 0x2f80
	v_add_co_ci_u32_e32 v8, vcc_lo, s5, v3, vcc_lo
	s_ashr_i32 s7, s6, 31
	global_load_u16 v41, v[5:6], off
	s_lshl_b64 s[4:5], s[6:7], 1
	global_load_u16 v42, v[7:8], off
	v_add_co_u32 v5, vcc_lo, v1, s4
	v_add_co_ci_u32_e32 v6, vcc_lo, s5, v3, vcc_lo
	global_load_u16 v43, v[5:6], off
	ds_load_b128 v[5:8], v44 offset:256
	ds_load_b128 v[9:12], v44 offset:272
	s_waitcnt vmcnt(31)
	v_lshlrev_b32_e32 v2, 16, v2
	s_waitcnt lgkmcnt(1)
	s_delay_alu instid0(VALU_DEP_1) | instskip(SKIP_2) | instid1(VALU_DEP_1)
	v_fmac_f32_e32 v4, v5, v2
	s_waitcnt vmcnt(30)
	v_lshlrev_b32_e32 v2, 16, v13
	v_fmac_f32_e32 v4, v6, v2
	s_waitcnt vmcnt(29)
	v_lshlrev_b32_e32 v2, 16, v14
	s_delay_alu instid0(VALU_DEP_1) | instskip(SKIP_2) | instid1(VALU_DEP_1)
	v_fmac_f32_e32 v4, v7, v2
	s_waitcnt vmcnt(28)
	v_lshlrev_b32_e32 v2, 16, v15
	v_fmac_f32_e32 v4, v8, v2
	s_waitcnt vmcnt(27)
	v_lshlrev_b32_e32 v2, 16, v16
	ds_load_b128 v[5:8], v44 offset:288
	s_waitcnt lgkmcnt(1)
	v_fmac_f32_e32 v4, v9, v2
	s_waitcnt vmcnt(26)
	v_lshlrev_b32_e32 v2, 16, v17
	s_delay_alu instid0(VALU_DEP_1) | instskip(SKIP_2) | instid1(VALU_DEP_1)
	v_fmac_f32_e32 v4, v10, v2
	s_waitcnt vmcnt(25)
	v_lshlrev_b32_e32 v2, 16, v18
	v_fmac_f32_e32 v4, v11, v2
	s_waitcnt vmcnt(24)
	v_lshlrev_b32_e32 v2, 16, v19
	s_delay_alu instid0(VALU_DEP_1) | instskip(SKIP_4) | instid1(VALU_DEP_1)
	v_fmac_f32_e32 v4, v12, v2
	ds_load_b128 v[9:12], v44 offset:304
	s_waitcnt vmcnt(23)
	v_lshlrev_b32_e32 v2, 16, v20
	s_waitcnt lgkmcnt(1)
	v_fmac_f32_e32 v4, v5, v2
	s_waitcnt vmcnt(22)
	v_lshlrev_b32_e32 v2, 16, v21
	s_delay_alu instid0(VALU_DEP_1) | instskip(SKIP_2) | instid1(VALU_DEP_1)
	v_fmac_f32_e32 v4, v6, v2
	s_waitcnt vmcnt(21)
	v_lshlrev_b32_e32 v2, 16, v22
	v_fmac_f32_e32 v4, v7, v2
	s_waitcnt vmcnt(20)
	v_lshlrev_b32_e32 v2, 16, v23
	s_delay_alu instid0(VALU_DEP_1)
	v_fmac_f32_e32 v4, v8, v2
	s_waitcnt vmcnt(19)
	v_lshlrev_b32_e32 v2, 16, v24
	ds_load_b128 v[5:8], v44 offset:320
	s_waitcnt lgkmcnt(1)
	v_fmac_f32_e32 v4, v9, v2
	s_waitcnt vmcnt(18)
	v_lshlrev_b32_e32 v2, 16, v25
	s_delay_alu instid0(VALU_DEP_1) | instskip(SKIP_2) | instid1(VALU_DEP_1)
	v_fmac_f32_e32 v4, v10, v2
	s_waitcnt vmcnt(17)
	v_lshlrev_b32_e32 v2, 16, v26
	v_fmac_f32_e32 v4, v11, v2
	s_waitcnt vmcnt(16)
	v_lshlrev_b32_e32 v2, 16, v27
	s_delay_alu instid0(VALU_DEP_1) | instskip(SKIP_4) | instid1(VALU_DEP_1)
	v_fmac_f32_e32 v4, v12, v2
	ds_load_b128 v[9:12], v44 offset:336
	s_waitcnt vmcnt(15)
	v_lshlrev_b32_e32 v2, 16, v28
	s_waitcnt lgkmcnt(1)
	v_fmac_f32_e32 v4, v5, v2
	s_waitcnt vmcnt(14)
	v_lshlrev_b32_e32 v2, 16, v29
	s_delay_alu instid0(VALU_DEP_1) | instskip(SKIP_2) | instid1(VALU_DEP_1)
	v_fmac_f32_e32 v4, v6, v2
	s_waitcnt vmcnt(13)
	v_lshlrev_b32_e32 v2, 16, v30
	v_fmac_f32_e32 v4, v7, v2
	s_waitcnt vmcnt(12)
	v_lshlrev_b32_e32 v2, 16, v31
	s_delay_alu instid0(VALU_DEP_1)
	v_fmac_f32_e32 v4, v8, v2
	s_waitcnt vmcnt(11)
	v_lshlrev_b32_e32 v2, 16, v32
	ds_load_b128 v[5:8], v44 offset:352
	s_waitcnt lgkmcnt(1)
	v_fmac_f32_e32 v4, v9, v2
	s_waitcnt vmcnt(10)
	v_lshlrev_b32_e32 v2, 16, v33
	s_delay_alu instid0(VALU_DEP_1) | instskip(SKIP_2) | instid1(VALU_DEP_1)
	v_fmac_f32_e32 v4, v10, v2
	s_waitcnt vmcnt(9)
	v_lshlrev_b32_e32 v2, 16, v34
	v_fmac_f32_e32 v4, v11, v2
	s_waitcnt vmcnt(8)
	v_lshlrev_b32_e32 v2, 16, v35
	s_delay_alu instid0(VALU_DEP_1) | instskip(SKIP_4) | instid1(VALU_DEP_1)
	v_fmac_f32_e32 v4, v12, v2
	ds_load_b128 v[9:12], v44 offset:368
	s_waitcnt vmcnt(7)
	v_lshlrev_b32_e32 v2, 16, v36
	s_waitcnt lgkmcnt(1)
	v_fmac_f32_e32 v4, v5, v2
	s_waitcnt vmcnt(6)
	v_lshlrev_b32_e32 v2, 16, v37
	s_delay_alu instid0(VALU_DEP_1) | instskip(SKIP_2) | instid1(VALU_DEP_1)
	v_fmac_f32_e32 v4, v6, v2
	s_waitcnt vmcnt(5)
	v_lshlrev_b32_e32 v2, 16, v38
	v_fmac_f32_e32 v4, v7, v2
	s_waitcnt vmcnt(4)
	v_lshlrev_b32_e32 v2, 16, v39
	s_delay_alu instid0(VALU_DEP_1) | instskip(SKIP_3) | instid1(VALU_DEP_1)
	v_fmac_f32_e32 v4, v8, v2
	s_waitcnt vmcnt(3)
	v_lshlrev_b32_e32 v2, 16, v40
	s_waitcnt lgkmcnt(0)
	v_fmac_f32_e32 v4, v9, v2
	s_waitcnt vmcnt(2)
	v_lshlrev_b32_e32 v2, 16, v41
	s_delay_alu instid0(VALU_DEP_1) | instskip(SKIP_2) | instid1(VALU_DEP_1)
	v_fmac_f32_e32 v4, v10, v2
	s_waitcnt vmcnt(1)
	v_lshlrev_b32_e32 v2, 16, v42
	v_fmac_f32_e32 v4, v11, v2
	s_waitcnt vmcnt(0)
	v_lshlrev_b32_e32 v2, 16, v43
	s_delay_alu instid0(VALU_DEP_1)
	v_fmac_f32_e32 v4, v12, v2
	s_cmpk_lt_i32 s50, 0x6100
	s_cbranch_scc1 .LBB653_15
.LBB653_26:
	s_cmpk_lt_u32 s50, 0x6200
	v_add_co_u32 v5, vcc_lo, 0x6000, v1
	s_cselect_b32 s4, s51, 0x3080
	v_add_co_ci_u32_e32 v6, vcc_lo, 0, v3, vcc_lo
	s_ashr_i32 s5, s4, 31
	s_delay_alu instid0(SALU_CYCLE_1)
	s_lshl_b64 s[4:5], s[4:5], 1
	s_cmpk_lt_u32 s50, 0x6300
	global_load_u16 v13, v[5:6], off
	s_cselect_b32 s6, s51, 0x3100
	v_add_co_u32 v5, vcc_lo, v1, s4
	s_ashr_i32 s7, s6, 31
	v_add_co_ci_u32_e32 v6, vcc_lo, s5, v3, vcc_lo
	s_lshl_b64 s[8:9], s[6:7], 1
	s_cmpk_lt_u32 s50, 0x6400
	v_add_co_u32 v7, vcc_lo, v1, s8
	s_cselect_b32 s6, s51, 0x3180
	v_add_co_ci_u32_e32 v8, vcc_lo, s9, v3, vcc_lo
	s_ashr_i32 s7, s6, 31
	s_delay_alu instid0(SALU_CYCLE_1)
	s_lshl_b64 s[18:19], s[6:7], 1
	s_cmpk_lt_u32 s50, 0x6500
	v_add_co_u32 v9, vcc_lo, v1, s18
	s_cselect_b32 s6, s51, 0x3200
	v_add_co_ci_u32_e32 v10, vcc_lo, s19, v3, vcc_lo
	s_ashr_i32 s7, s6, 31
	s_delay_alu instid0(SALU_CYCLE_1)
	s_lshl_b64 s[24:25], s[6:7], 1
	s_cmpk_lt_u32 s50, 0x6600
	v_add_co_u32 v11, vcc_lo, v1, s24
	s_cselect_b32 s6, s51, 0x3280
	v_add_co_ci_u32_e32 v12, vcc_lo, s25, v3, vcc_lo
	s_ashr_i32 s7, s6, 31
	s_clause 0x3
	global_load_u16 v14, v[5:6], off
	global_load_u16 v15, v[7:8], off
	;; [unrolled: 1-line block ×4, first 2 shown]
	s_lshl_b64 s[6:7], s[6:7], 1
	s_cmpk_lt_u32 s50, 0x6700
	v_add_co_u32 v5, vcc_lo, v1, s6
	s_cselect_b32 s10, s51, 0x3300
	v_add_co_ci_u32_e32 v6, vcc_lo, s7, v3, vcc_lo
	s_ashr_i32 s11, s10, 31
	s_delay_alu instid0(SALU_CYCLE_1)
	s_lshl_b64 s[10:11], s[10:11], 1
	s_cmpk_lt_u32 s50, 0x6800
	v_add_co_u32 v7, vcc_lo, v1, s10
	s_cselect_b32 s20, s51, 0x3380
	v_add_co_ci_u32_e32 v8, vcc_lo, s11, v3, vcc_lo
	s_ashr_i32 s21, s20, 31
	s_delay_alu instid0(SALU_CYCLE_1)
	;; [unrolled: 7-line block ×3, first 2 shown]
	s_lshl_b64 s[30:31], s[20:21], 1
	s_cmpk_lt_u32 s50, 0x6a00
	v_add_co_u32 v11, vcc_lo, v1, s30
	s_cselect_b32 s20, s51, 0x3480
	v_add_co_ci_u32_e32 v12, vcc_lo, s31, v3, vcc_lo
	s_ashr_i32 s21, s20, 31
	s_clause 0x3
	global_load_u16 v18, v[5:6], off
	global_load_u16 v19, v[7:8], off
	;; [unrolled: 1-line block ×4, first 2 shown]
	s_lshl_b64 s[20:21], s[20:21], 1
	s_cmpk_lt_u32 s50, 0x6b00
	v_add_co_u32 v5, vcc_lo, v1, s20
	s_cselect_b32 s26, s51, 0x3500
	v_add_co_ci_u32_e32 v6, vcc_lo, s21, v3, vcc_lo
	s_ashr_i32 s27, s26, 31
	s_delay_alu instid0(SALU_CYCLE_1)
	s_lshl_b64 s[26:27], s[26:27], 1
	s_cmpk_lt_u32 s50, 0x6c00
	v_add_co_u32 v7, vcc_lo, v1, s26
	s_cselect_b32 s28, s51, 0x3580
	v_add_co_ci_u32_e32 v8, vcc_lo, s27, v3, vcc_lo
	s_ashr_i32 s29, s28, 31
	global_load_u16 v22, v[5:6], off
	s_lshl_b64 s[34:35], s[28:29], 1
	s_cmpk_lt_u32 s50, 0x6d00
	v_add_co_u32 v9, vcc_lo, v1, s34
	s_cselect_b32 s28, s51, 0x3600
	v_add_co_ci_u32_e32 v10, vcc_lo, s35, v3, vcc_lo
	s_ashr_i32 s29, s28, 31
	s_delay_alu instid0(SALU_CYCLE_1)
	s_lshl_b64 s[38:39], s[28:29], 1
	s_cmpk_lt_u32 s50, 0x6e00
	v_add_co_u32 v11, vcc_lo, v1, s38
	s_cselect_b32 s28, s51, 0x3680
	v_add_co_ci_u32_e32 v12, vcc_lo, s39, v3, vcc_lo
	s_ashr_i32 s29, s28, 31
	s_clause 0x2
	global_load_u16 v23, v[7:8], off
	global_load_u16 v24, v[9:10], off
	;; [unrolled: 1-line block ×3, first 2 shown]
	s_lshl_b64 s[28:29], s[28:29], 1
	s_cmpk_lt_u32 s50, 0x6f00
	v_add_co_u32 v5, vcc_lo, v1, s28
	s_cselect_b32 s36, s51, 0x3700
	v_add_co_ci_u32_e32 v6, vcc_lo, s29, v3, vcc_lo
	s_ashr_i32 s37, s36, 31
	s_delay_alu instid0(SALU_CYCLE_1)
	s_lshl_b64 s[36:37], s[36:37], 1
	s_cmpk_lt_u32 s50, 0x7000
	v_add_co_u32 v7, vcc_lo, v1, s36
	s_cselect_b32 s40, s51, 0x3780
	v_add_co_ci_u32_e32 v8, vcc_lo, s37, v3, vcc_lo
	s_ashr_i32 s41, s40, 31
	global_load_u16 v26, v[5:6], off
	s_lshl_b64 s[40:41], s[40:41], 1
	global_load_u16 v27, v[7:8], off
	s_cmpk_lt_u32 s50, 0x7100
	v_add_co_u32 v9, vcc_lo, v1, s40
	s_cselect_b32 s42, s51, 0x3800
	v_add_co_ci_u32_e32 v10, vcc_lo, s41, v3, vcc_lo
	s_ashr_i32 s43, s42, 31
	s_delay_alu instid0(SALU_CYCLE_1)
	s_lshl_b64 s[42:43], s[42:43], 1
	global_load_u16 v28, v[9:10], off
	s_cmpk_lt_u32 s50, 0x7200
	v_add_co_u32 v5, vcc_lo, v1, s42
	s_cselect_b32 s44, s51, 0x3880
	v_add_co_ci_u32_e32 v6, vcc_lo, s43, v3, vcc_lo
	s_ashr_i32 s45, s44, 31
	s_delay_alu instid0(SALU_CYCLE_1)
	s_lshl_b64 s[44:45], s[44:45], 1
	s_cmpk_lt_u32 s50, 0x7300
	v_add_co_u32 v7, vcc_lo, v1, s44
	s_cselect_b32 s46, s51, 0x3900
	v_add_co_ci_u32_e32 v8, vcc_lo, s45, v3, vcc_lo
	s_ashr_i32 s47, s46, 31
	global_load_u16 v29, v[5:6], off
	s_lshl_b64 s[46:47], s[46:47], 1
	global_load_u16 v30, v[7:8], off
	s_cmpk_lt_u32 s50, 0x7400
	v_add_co_u32 v9, vcc_lo, v1, s46
	s_cselect_b32 s48, s51, 0x3980
	v_add_co_ci_u32_e32 v10, vcc_lo, s47, v3, vcc_lo
	s_ashr_i32 s49, s48, 31
	s_delay_alu instid0(SALU_CYCLE_1)
	s_lshl_b64 s[48:49], s[48:49], 1
	global_load_u16 v31, v[9:10], off
	s_cmpk_lt_u32 s50, 0x7500
	v_add_co_u32 v5, vcc_lo, v1, s48
	s_cselect_b32 s4, s51, 0x3a00
	v_add_co_ci_u32_e32 v6, vcc_lo, s49, v3, vcc_lo
	s_ashr_i32 s5, s4, 31
	s_delay_alu instid0(SALU_CYCLE_1)
	s_lshl_b64 s[4:5], s[4:5], 1
	s_cmpk_lt_u32 s50, 0x7600
	v_add_co_u32 v7, vcc_lo, v1, s4
	s_cselect_b32 s8, s51, 0x3a80
	v_add_co_ci_u32_e32 v8, vcc_lo, s5, v3, vcc_lo
	s_ashr_i32 s9, s8, 31
	global_load_u16 v32, v[5:6], off
	s_lshl_b64 s[6:7], s[8:9], 1
	global_load_u16 v33, v[7:8], off
	s_cmpk_lt_u32 s50, 0x7700
	v_add_co_u32 v5, vcc_lo, v1, s6
	s_cselect_b32 s8, s51, 0x3b00
	v_add_co_ci_u32_e32 v6, vcc_lo, s7, v3, vcc_lo
	s_ashr_i32 s9, s8, 31
	s_delay_alu instid0(SALU_CYCLE_1)
	s_lshl_b64 s[8:9], s[8:9], 1
	s_cmpk_lt_u32 s50, 0x7800
	v_add_co_u32 v7, vcc_lo, v1, s8
	s_cselect_b32 s10, s51, 0x3b80
	v_add_co_ci_u32_e32 v8, vcc_lo, s9, v3, vcc_lo
	s_ashr_i32 s11, s10, 31
	global_load_u16 v34, v[5:6], off
	;; [unrolled: 15-line block ×6, first 2 shown]
	s_lshl_b64 s[4:5], s[6:7], 1
	global_load_u16 v43, v[7:8], off
	v_add_co_u32 v1, vcc_lo, v1, s4
	v_add_co_ci_u32_e32 v2, vcc_lo, s5, v3, vcc_lo
	global_load_u16 v1, v[1:2], off
	s_waitcnt vmcnt(31)
	v_dual_mov_b32 v2, 0 :: v_dual_lshlrev_b32 v3, 16, v13
	ds_load_b128 v[5:8], v2 offset:384
	ds_load_b128 v[9:12], v2 offset:400
	s_waitcnt vmcnt(30) lgkmcnt(1)
	v_dual_fmac_f32 v4, v5, v3 :: v_dual_lshlrev_b32 v3, 16, v14
	s_delay_alu instid0(VALU_DEP_1) | instskip(SKIP_3) | instid1(VALU_DEP_1)
	v_fmac_f32_e32 v4, v6, v3
	s_waitcnt vmcnt(29)
	v_lshlrev_b32_e32 v3, 16, v15
	s_waitcnt vmcnt(28)
	v_dual_fmac_f32 v4, v7, v3 :: v_dual_lshlrev_b32 v3, 16, v16
	s_waitcnt vmcnt(27)
	s_delay_alu instid0(VALU_DEP_1) | instskip(SKIP_3) | instid1(VALU_DEP_1)
	v_dual_fmac_f32 v4, v8, v3 :: v_dual_lshlrev_b32 v3, 16, v17
	ds_load_b128 v[5:8], v2 offset:416
	s_waitcnt vmcnt(26) lgkmcnt(1)
	v_dual_fmac_f32 v4, v9, v3 :: v_dual_lshlrev_b32 v3, 16, v18
	v_fmac_f32_e32 v4, v10, v3
	s_waitcnt vmcnt(25)
	v_lshlrev_b32_e32 v3, 16, v19
	s_waitcnt vmcnt(24)
	s_delay_alu instid0(VALU_DEP_1) | instskip(SKIP_1) | instid1(VALU_DEP_1)
	v_dual_fmac_f32 v4, v11, v3 :: v_dual_lshlrev_b32 v3, 16, v20
	s_waitcnt vmcnt(23)
	v_dual_fmac_f32 v4, v12, v3 :: v_dual_lshlrev_b32 v3, 16, v21
	ds_load_b128 v[9:12], v2 offset:432
	s_waitcnt vmcnt(22) lgkmcnt(1)
	v_dual_fmac_f32 v4, v5, v3 :: v_dual_lshlrev_b32 v3, 16, v22
	s_delay_alu instid0(VALU_DEP_1) | instskip(SKIP_3) | instid1(VALU_DEP_1)
	v_fmac_f32_e32 v4, v6, v3
	s_waitcnt vmcnt(21)
	v_lshlrev_b32_e32 v3, 16, v23
	s_waitcnt vmcnt(20)
	v_dual_fmac_f32 v4, v7, v3 :: v_dual_lshlrev_b32 v3, 16, v24
	s_waitcnt vmcnt(19)
	s_delay_alu instid0(VALU_DEP_1) | instskip(SKIP_3) | instid1(VALU_DEP_1)
	v_dual_fmac_f32 v4, v8, v3 :: v_dual_lshlrev_b32 v3, 16, v25
	ds_load_b128 v[5:8], v2 offset:448
	s_waitcnt vmcnt(18) lgkmcnt(1)
	v_dual_fmac_f32 v4, v9, v3 :: v_dual_lshlrev_b32 v3, 16, v26
	v_fmac_f32_e32 v4, v10, v3
	s_waitcnt vmcnt(17)
	v_lshlrev_b32_e32 v3, 16, v27
	s_waitcnt vmcnt(16)
	s_delay_alu instid0(VALU_DEP_1) | instskip(NEXT) | instid1(VALU_DEP_1)
	v_dual_fmac_f32 v4, v11, v3 :: v_dual_lshlrev_b32 v3, 16, v28
	v_fmac_f32_e32 v4, v12, v3
	ds_load_b128 v[9:12], v2 offset:464
	s_waitcnt vmcnt(15)
	v_lshlrev_b32_e32 v3, 16, v29
	s_waitcnt vmcnt(14) lgkmcnt(1)
	s_delay_alu instid0(VALU_DEP_1) | instskip(NEXT) | instid1(VALU_DEP_1)
	v_dual_fmac_f32 v4, v5, v3 :: v_dual_lshlrev_b32 v3, 16, v30
	v_fmac_f32_e32 v4, v6, v3
	s_waitcnt vmcnt(13)
	v_lshlrev_b32_e32 v3, 16, v31
	s_waitcnt vmcnt(12)
	s_delay_alu instid0(VALU_DEP_1) | instskip(SKIP_1) | instid1(VALU_DEP_1)
	v_dual_fmac_f32 v4, v7, v3 :: v_dual_lshlrev_b32 v3, 16, v32
	s_waitcnt vmcnt(0)
	v_dual_fmac_f32 v4, v8, v3 :: v_dual_lshlrev_b32 v1, 16, v1
	v_lshlrev_b32_e32 v3, 16, v33
	ds_load_b128 v[5:8], v2 offset:480
	s_waitcnt lgkmcnt(1)
	v_dual_fmac_f32 v4, v9, v3 :: v_dual_lshlrev_b32 v3, 16, v34
	s_delay_alu instid0(VALU_DEP_1) | instskip(SKIP_1) | instid1(VALU_DEP_1)
	v_fmac_f32_e32 v4, v10, v3
	v_lshlrev_b32_e32 v3, 16, v35
	v_dual_fmac_f32 v4, v11, v3 :: v_dual_lshlrev_b32 v3, 16, v36
	s_delay_alu instid0(VALU_DEP_1) | instskip(SKIP_4) | instid1(VALU_DEP_1)
	v_dual_fmac_f32 v4, v12, v3 :: v_dual_lshlrev_b32 v3, 16, v37
	ds_load_b128 v[9:12], v2 offset:496
	v_lshlrev_b32_e32 v2, 16, v38
	s_waitcnt lgkmcnt(1)
	v_fmac_f32_e32 v4, v5, v3
	v_fmac_f32_e32 v4, v6, v2
	v_lshlrev_b32_e32 v2, 16, v39
	s_delay_alu instid0(VALU_DEP_1) | instskip(SKIP_1) | instid1(VALU_DEP_1)
	v_fmac_f32_e32 v4, v7, v2
	v_lshlrev_b32_e32 v2, 16, v40
	v_fmac_f32_e32 v4, v8, v2
	v_lshlrev_b32_e32 v2, 16, v41
	s_waitcnt lgkmcnt(0)
	s_delay_alu instid0(VALU_DEP_1) | instskip(SKIP_1) | instid1(VALU_DEP_1)
	v_fmac_f32_e32 v4, v9, v2
	v_lshlrev_b32_e32 v2, 16, v42
	v_fmac_f32_e32 v4, v10, v2
	v_lshlrev_b32_e32 v2, 16, v43
	s_delay_alu instid0(VALU_DEP_1) | instskip(NEXT) | instid1(VALU_DEP_1)
	v_fmac_f32_e32 v4, v11, v2
	v_dual_fmac_f32 v4, v12, v1 :: v_dual_mov_b32 v1, 0
	s_and_not1_b32 vcc_lo, exec_lo, s15
	ds_load_b32 v1, v1 offset:512
	s_cbranch_vccz .LBB653_16
	s_branch .LBB653_17
	.section	.rodata,"a",@progbits
	.p2align	6, 0x0
	.amdhsa_kernel _Z35paged_attention_ll4mi_reduce_kernelI14__hip_bfloat16S0_Li128ELi128ELi256ELi4EEvPT0_PKfS4_PKT_PKiS9_iS4_
		.amdhsa_group_segment_fixed_size 516
		.amdhsa_private_segment_fixed_size 0
		.amdhsa_kernarg_size 320
		.amdhsa_user_sgpr_count 14
		.amdhsa_user_sgpr_dispatch_ptr 0
		.amdhsa_user_sgpr_queue_ptr 0
		.amdhsa_user_sgpr_kernarg_segment_ptr 1
		.amdhsa_user_sgpr_dispatch_id 0
		.amdhsa_user_sgpr_private_segment_size 0
		.amdhsa_wavefront_size32 1
		.amdhsa_uses_dynamic_stack 0
		.amdhsa_enable_private_segment 0
		.amdhsa_system_sgpr_workgroup_id_x 1
		.amdhsa_system_sgpr_workgroup_id_y 1
		.amdhsa_system_sgpr_workgroup_id_z 0
		.amdhsa_system_sgpr_workgroup_info 0
		.amdhsa_system_vgpr_workitem_id 0
		.amdhsa_next_free_vgpr 52
		.amdhsa_next_free_sgpr 52
		.amdhsa_reserve_vcc 1
		.amdhsa_float_round_mode_32 0
		.amdhsa_float_round_mode_16_64 0
		.amdhsa_float_denorm_mode_32 3
		.amdhsa_float_denorm_mode_16_64 3
		.amdhsa_dx10_clamp 1
		.amdhsa_ieee_mode 1
		.amdhsa_fp16_overflow 0
		.amdhsa_workgroup_processor_mode 1
		.amdhsa_memory_ordered 1
		.amdhsa_forward_progress 0
		.amdhsa_shared_vgpr_count 0
		.amdhsa_exception_fp_ieee_invalid_op 0
		.amdhsa_exception_fp_denorm_src 0
		.amdhsa_exception_fp_ieee_div_zero 0
		.amdhsa_exception_fp_ieee_overflow 0
		.amdhsa_exception_fp_ieee_underflow 0
		.amdhsa_exception_fp_ieee_inexact 0
		.amdhsa_exception_int_div_zero 0
	.end_amdhsa_kernel
	.section	.text._Z35paged_attention_ll4mi_reduce_kernelI14__hip_bfloat16S0_Li128ELi128ELi256ELi4EEvPT0_PKfS4_PKT_PKiS9_iS4_,"axG",@progbits,_Z35paged_attention_ll4mi_reduce_kernelI14__hip_bfloat16S0_Li128ELi128ELi256ELi4EEvPT0_PKfS4_PKT_PKiS9_iS4_,comdat
.Lfunc_end653:
	.size	_Z35paged_attention_ll4mi_reduce_kernelI14__hip_bfloat16S0_Li128ELi128ELi256ELi4EEvPT0_PKfS4_PKT_PKiS9_iS4_, .Lfunc_end653-_Z35paged_attention_ll4mi_reduce_kernelI14__hip_bfloat16S0_Li128ELi128ELi256ELi4EEvPT0_PKfS4_PKT_PKiS9_iS4_
                                        ; -- End function
	.section	.AMDGPU.csdata,"",@progbits
; Kernel info:
; codeLenInByte = 9552
; NumSgprs: 54
; NumVgprs: 52
; ScratchSize: 0
; MemoryBound: 0
; FloatMode: 240
; IeeeMode: 1
; LDSByteSize: 516 bytes/workgroup (compile time only)
; SGPRBlocks: 6
; VGPRBlocks: 6
; NumSGPRsForWavesPerEU: 54
; NumVGPRsForWavesPerEU: 52
; Occupancy: 16
; WaveLimiterHint : 0
; COMPUTE_PGM_RSRC2:SCRATCH_EN: 0
; COMPUTE_PGM_RSRC2:USER_SGPR: 14
; COMPUTE_PGM_RSRC2:TRAP_HANDLER: 0
; COMPUTE_PGM_RSRC2:TGID_X_EN: 1
; COMPUTE_PGM_RSRC2:TGID_Y_EN: 1
; COMPUTE_PGM_RSRC2:TGID_Z_EN: 0
; COMPUTE_PGM_RSRC2:TIDIG_COMP_CNT: 0
	.section	.text._Z35paged_attention_ll4mi_reduce_kernelI14__hip_bfloat16S0_Li128ELi128ELi256ELi5EEvPT0_PKfS4_PKT_PKiS9_iS4_,"axG",@progbits,_Z35paged_attention_ll4mi_reduce_kernelI14__hip_bfloat16S0_Li128ELi128ELi256ELi5EEvPT0_PKfS4_PKT_PKiS9_iS4_,comdat
	.protected	_Z35paged_attention_ll4mi_reduce_kernelI14__hip_bfloat16S0_Li128ELi128ELi256ELi5EEvPT0_PKfS4_PKT_PKiS9_iS4_ ; -- Begin function _Z35paged_attention_ll4mi_reduce_kernelI14__hip_bfloat16S0_Li128ELi128ELi256ELi5EEvPT0_PKfS4_PKT_PKiS9_iS4_
	.globl	_Z35paged_attention_ll4mi_reduce_kernelI14__hip_bfloat16S0_Li128ELi128ELi256ELi5EEvPT0_PKfS4_PKT_PKiS9_iS4_
	.p2align	8
	.type	_Z35paged_attention_ll4mi_reduce_kernelI14__hip_bfloat16S0_Li128ELi128ELi256ELi5EEvPT0_PKfS4_PKT_PKiS9_iS4_,@function
_Z35paged_attention_ll4mi_reduce_kernelI14__hip_bfloat16S0_Li128ELi128ELi256ELi5EEvPT0_PKfS4_PKT_PKiS9_iS4_: ; @_Z35paged_attention_ll4mi_reduce_kernelI14__hip_bfloat16S0_Li128ELi128ELi256ELi5EEvPT0_PKfS4_PKT_PKiS9_iS4_
; %bb.0:
	s_load_b64 s[12:13], s[0:1], 0x28
	s_mov_b32 s2, s15
	s_waitcnt lgkmcnt(0)
	s_cmp_lg_u64 s[12:13], 0
	s_cselect_b32 s15, -1, 0
	s_delay_alu instid0(SALU_CYCLE_1)
	s_and_b32 vcc_lo, exec_lo, s15
	s_cbranch_vccz .LBB654_23
; %bb.1:
	s_add_i32 s4, s2, 1
	s_mov_b32 s5, 0
	s_delay_alu instid0(SALU_CYCLE_1) | instskip(SKIP_4) | instid1(SALU_CYCLE_1)
	s_lshl_b64 s[6:7], s[4:5], 2
	s_mov_b32 s3, s5
	s_add_u32 s6, s12, s6
	s_addc_u32 s7, s13, s7
	s_lshl_b64 s[8:9], s[2:3], 2
	s_add_u32 s8, s12, s8
	s_addc_u32 s9, s13, s9
	s_clause 0x1
	s_load_b32 s4, s[6:7], 0x0
	s_load_b32 s6, s[8:9], 0x0
	s_waitcnt lgkmcnt(0)
	s_sub_i32 s4, s4, s6
	s_delay_alu instid0(SALU_CYCLE_1)
	s_cmp_eq_u32 s4, 1
	s_cselect_b32 s4, -1, 0
	s_cbranch_execnz .LBB654_3
.LBB654_2:
	s_mov_b32 s3, 0
	s_mov_b32 s4, -1
.LBB654_3:
	s_delay_alu instid0(SALU_CYCLE_1)
	s_and_not1_b32 vcc_lo, exec_lo, s4
	s_cbranch_vccz .LBB654_5
; %bb.4:
	s_endpgm
.LBB654_5:
	s_clause 0x1
	s_load_b128 s[4:7], s[0:1], 0x18
	s_load_b32 s9, s[0:1], 0x30
	s_lshl_b64 s[16:17], s[2:3], 2
	s_waitcnt lgkmcnt(0)
	s_add_u32 s6, s6, s16
	s_addc_u32 s7, s7, s17
	s_load_b32 s22, s[6:7], 0x0
	s_load_b32 s33, s[0:1], 0x40
	s_mul_i32 s7, s2, s9
	s_waitcnt lgkmcnt(0)
	s_add_i32 s50, s22, 0xff
	s_delay_alu instid0(SALU_CYCLE_1) | instskip(NEXT) | instid1(SALU_CYCLE_1)
	s_ashr_i32 s6, s50, 31
	s_lshr_b32 s6, s6, 24
	s_delay_alu instid0(SALU_CYCLE_1) | instskip(SKIP_4) | instid1(SALU_CYCLE_1)
	s_add_i32 s8, s50, s6
	s_mul_i32 s6, s14, s9
	s_mov_b32 s9, exec_lo
	v_cmpx_lt_u32_e32 31, v0
	s_xor_b32 s9, exec_lo, s9
	s_or_saveexec_b32 s24, s9
	v_mov_b32_e32 v1, s6
	s_ashr_i32 s23, s8, 8
	s_mul_i32 s18, s7, s33
	s_xor_b32 exec_lo, exec_lo, s24
	s_cbranch_execz .LBB654_9
; %bb.6:
	v_or_b32_e32 v2, 32, v0
	v_cmp_gt_i32_e32 vcc_lo, s23, v0
	s_add_i32 s25, s23, -1
	s_load_b128 s[8:11], s[0:1], 0x8
	v_or_b32_e32 v4, 64, v0
	v_or_b32_e32 v6, 0x60, v0
	v_cndmask_b32_e32 v1, s25, v0, vcc_lo
	v_cmp_gt_i32_e32 vcc_lo, s23, v2
	v_or_b32_e32 v8, 0x80, v0
	s_mov_b32 s19, 0
	s_delay_alu instid0(SALU_CYCLE_1)
	s_lshl_b64 s[20:21], s[18:19], 2
	v_cndmask_b32_e32 v3, s25, v2, vcc_lo
	v_cmp_gt_i32_e32 vcc_lo, s23, v4
	v_ashrrev_i32_e32 v2, 31, v1
	s_mov_b32 s7, s19
	v_cndmask_b32_e32 v5, s25, v4, vcc_lo
	v_cmp_gt_i32_e32 vcc_lo, s23, v6
	v_ashrrev_i32_e32 v4, 31, v3
	v_lshlrev_b64 v[1:2], 2, v[1:2]
	s_waitcnt lgkmcnt(0)
	s_add_u32 s19, s10, s20
	v_cndmask_b32_e32 v7, s25, v6, vcc_lo
	v_cmp_gt_i32_e32 vcc_lo, s23, v8
	v_ashrrev_i32_e32 v6, 31, v5
	v_lshlrev_b64 v[3:4], 2, v[3:4]
	v_cndmask_b32_e32 v9, s25, v8, vcc_lo
	s_addc_u32 s25, s11, s21
	s_lshl_b64 s[10:11], s[6:7], 2
	v_ashrrev_i32_e32 v8, 31, v7
	s_add_u32 s7, s19, s10
	s_addc_u32 s19, s25, s11
	v_add_co_u32 v11, vcc_lo, s7, v1
	v_lshlrev_b64 v[5:6], 2, v[5:6]
	v_ashrrev_i32_e32 v10, 31, v9
	v_add_co_ci_u32_e32 v12, vcc_lo, s19, v2, vcc_lo
	v_add_co_u32 v13, vcc_lo, s7, v3
	v_lshlrev_b64 v[7:8], 2, v[7:8]
	v_add_co_ci_u32_e32 v14, vcc_lo, s19, v4, vcc_lo
	v_add_co_u32 v15, vcc_lo, s7, v5
	v_lshlrev_b64 v[9:10], 2, v[9:10]
	v_add_co_ci_u32_e32 v16, vcc_lo, s19, v6, vcc_lo
	v_add_co_u32 v17, vcc_lo, s7, v7
	v_add_co_ci_u32_e32 v18, vcc_lo, s19, v8, vcc_lo
	s_delay_alu instid0(VALU_DEP_4)
	v_add_co_u32 v19, vcc_lo, s7, v9
	v_add_co_ci_u32_e32 v20, vcc_lo, s19, v10, vcc_lo
	s_clause 0x4
	global_load_b32 v11, v[11:12], off
	global_load_b32 v12, v[13:14], off
	;; [unrolled: 1-line block ×5, first 2 shown]
	s_add_u32 s7, s8, s20
	s_addc_u32 s8, s9, s21
	s_add_u32 s7, s7, s10
	s_addc_u32 s8, s8, s11
	v_add_co_u32 v1, vcc_lo, s7, v1
	v_add_co_ci_u32_e32 v2, vcc_lo, s8, v2, vcc_lo
	v_add_co_u32 v3, vcc_lo, s7, v3
	v_add_co_ci_u32_e32 v4, vcc_lo, s8, v4, vcc_lo
	;; [unrolled: 2-line block ×4, first 2 shown]
	s_clause 0x3
	global_load_b32 v16, v[1:2], off
	global_load_b32 v3, v[3:4], off
	;; [unrolled: 1-line block ×4, first 2 shown]
	v_add_co_u32 v1, vcc_lo, s7, v9
	v_add_co_ci_u32_e32 v2, vcc_lo, s8, v10, vcc_lo
	s_mov_b32 s7, exec_lo
	global_load_b32 v1, v[1:2], off
	v_mbcnt_lo_u32_b32 v2, -1, 0
	s_delay_alu instid0(VALU_DEP_1)
	v_xor_b32_e32 v6, 16, v2
	v_xor_b32_e32 v9, 8, v2
	;; [unrolled: 1-line block ×5, first 2 shown]
	v_cmp_gt_i32_e32 vcc_lo, 32, v6
	v_cndmask_b32_e32 v6, v2, v6, vcc_lo
	v_cmp_gt_i32_e32 vcc_lo, 32, v9
	v_cndmask_b32_e32 v9, v2, v9, vcc_lo
	v_cmp_gt_i32_e32 vcc_lo, 32, v10
	s_delay_alu instid0(VALU_DEP_2) | instskip(SKIP_3) | instid1(VALU_DEP_2)
	v_lshlrev_b32_e32 v9, 2, v9
	v_lshlrev_b32_e32 v6, 2, v6
	v_cndmask_b32_e32 v10, v2, v10, vcc_lo
	v_cmp_gt_i32_e32 vcc_lo, 32, v17
	v_dual_cndmask_b32 v17, v2, v17 :: v_dual_lshlrev_b32 v10, 2, v10
	v_cmp_gt_i32_e32 vcc_lo, 32, v18
	s_delay_alu instid0(VALU_DEP_2) | instskip(NEXT) | instid1(VALU_DEP_1)
	v_dual_cndmask_b32 v2, v2, v18 :: v_dual_lshlrev_b32 v17, 2, v17
	v_lshlrev_b32_e32 v2, 2, v2
	s_waitcnt vmcnt(7)
	v_max3_f32 v7, v11, v12, v13
	s_waitcnt vmcnt(5)
	s_delay_alu instid0(VALU_DEP_1) | instskip(SKIP_3) | instid1(VALU_DEP_1)
	v_max3_f32 v7, v7, v14, v15
	ds_bpermute_b32 v8, v6, v7
	s_waitcnt lgkmcnt(0)
	v_max_f32_e32 v8, v8, v8
	v_max_f32_e32 v7, v7, v8
	ds_bpermute_b32 v8, v9, v7
	s_waitcnt lgkmcnt(0)
	v_max_f32_e32 v8, v8, v8
	s_delay_alu instid0(VALU_DEP_1) | instskip(SKIP_3) | instid1(VALU_DEP_1)
	v_max_f32_e32 v7, v7, v8
	ds_bpermute_b32 v8, v10, v7
	s_waitcnt lgkmcnt(0)
	v_max_f32_e32 v8, v8, v8
	v_max_f32_e32 v7, v7, v8
	ds_bpermute_b32 v8, v17, v7
	s_waitcnt lgkmcnt(0)
	v_max_f32_e32 v8, v8, v8
	s_delay_alu instid0(VALU_DEP_1) | instskip(SKIP_3) | instid1(VALU_DEP_1)
	v_max_f32_e32 v7, v7, v8
	ds_bpermute_b32 v8, v2, v7
	s_waitcnt lgkmcnt(0)
	v_max_f32_e32 v8, v8, v8
	v_max_f32_e32 v7, v7, v8
	v_sub_nc_u32_e32 v8, s23, v0
	s_delay_alu instid0(VALU_DEP_2) | instskip(NEXT) | instid1(VALU_DEP_1)
	v_sub_f32_e32 v12, v12, v7
	v_mul_f32_e32 v18, 0x3fb8aa3b, v12
	s_delay_alu instid0(VALU_DEP_1) | instskip(SKIP_1) | instid1(VALU_DEP_2)
	v_rndne_f32_e32 v25, v18
	v_fma_f32 v24, 0x3fb8aa3b, v12, -v18
	v_sub_f32_e32 v18, v18, v25
	v_sub_f32_e32 v14, v14, v7
	s_delay_alu instid0(VALU_DEP_1) | instskip(NEXT) | instid1(VALU_DEP_1)
	v_mul_f32_e32 v20, 0x3fb8aa3b, v14
	v_fma_f32 v28, 0x3fb8aa3b, v14, -v20
	v_sub_f32_e32 v13, v13, v7
	v_rndne_f32_e32 v29, v20
	s_delay_alu instid0(VALU_DEP_3) | instskip(NEXT) | instid1(VALU_DEP_3)
	v_fmac_f32_e32 v28, 0x32a5705f, v14
	v_mul_f32_e32 v19, 0x3fb8aa3b, v13
	v_dual_sub_f32 v11, v11, v7 :: v_dual_fmac_f32 v24, 0x32a5705f, v12
	s_delay_alu instid0(VALU_DEP_4) | instskip(NEXT) | instid1(VALU_DEP_3)
	v_sub_f32_e32 v20, v20, v29
	v_fma_f32 v26, 0x3fb8aa3b, v13, -v19
	v_sub_f32_e32 v7, v15, v7
	s_delay_alu instid0(VALU_DEP_4)
	v_mul_f32_e32 v15, 0x3fb8aa3b, v11
	v_rndne_f32_e32 v27, v19
	v_add_f32_e32 v18, v18, v24
	v_fmac_f32_e32 v26, 0x32a5705f, v13
	v_mul_f32_e32 v21, 0x3fb8aa3b, v7
	v_fma_f32 v22, 0x3fb8aa3b, v11, -v15
	v_rndne_f32_e32 v23, v15
	v_dual_sub_f32 v19, v19, v27 :: v_dual_add_f32 v20, v20, v28
	s_delay_alu instid0(VALU_DEP_4) | instskip(NEXT) | instid1(VALU_DEP_4)
	v_fma_f32 v30, 0x3fb8aa3b, v7, -v21
	v_fmac_f32_e32 v22, 0x32a5705f, v11
	s_delay_alu instid0(VALU_DEP_4) | instskip(NEXT) | instid1(VALU_DEP_4)
	v_sub_f32_e32 v15, v15, v23
	v_add_f32_e32 v19, v19, v26
	v_exp_f32_e32 v18, v18
	v_fmac_f32_e32 v30, 0x32a5705f, v7
	v_cmp_ngt_f32_e32 vcc_lo, 0xc2ce8ed0, v11
	v_add_f32_e32 v15, v15, v22
	v_cvt_i32_f32_e32 v22, v23
	v_exp_f32_e32 v19, v19
	v_cvt_i32_f32_e32 v23, v25
	v_rndne_f32_e32 v31, v21
	v_exp_f32_e32 v15, v15
	v_exp_f32_e32 v20, v20
	v_cvt_i32_f32_e32 v24, v27
	v_ldexp_f32 v18, v18, v23
	v_cvt_i32_f32_e32 v25, v29
	v_cvt_i32_f32_e32 v26, v31
	s_delay_alu instid0(TRANS32_DEP_3) | instid1(VALU_DEP_4)
	v_ldexp_f32 v19, v19, v24
	s_delay_alu instid0(TRANS32_DEP_2)
	v_ldexp_f32 v15, v15, v22
	s_delay_alu instid0(TRANS32_DEP_1) | instid1(VALU_DEP_4)
	v_ldexp_f32 v20, v20, v25
	s_delay_alu instid0(VALU_DEP_2)
	v_cndmask_b32_e32 v15, 0, v15, vcc_lo
	v_cmp_ngt_f32_e32 vcc_lo, 0xc2ce8ed0, v12
	v_dual_sub_f32 v21, v21, v31 :: v_dual_cndmask_b32 v18, 0, v18
	v_cmp_ngt_f32_e32 vcc_lo, 0xc2ce8ed0, v13
	v_cndmask_b32_e32 v19, 0, v19, vcc_lo
	v_cmp_ngt_f32_e32 vcc_lo, 0xc2ce8ed0, v14
	s_delay_alu instid0(VALU_DEP_4) | instskip(NEXT) | instid1(VALU_DEP_1)
	v_dual_add_f32 v21, v21, v30 :: v_dual_cndmask_b32 v20, 0, v20
	v_exp_f32_e32 v21, v21
	v_cmp_ngt_f32_e32 vcc_lo, 0xc2ce8ed0, v7
	s_waitcnt_depctr 0xfff
	v_ldexp_f32 v21, v21, v26
	s_delay_alu instid0(VALU_DEP_1)
	v_cndmask_b32_e32 v21, 0, v21, vcc_lo
	v_cmp_nlt_f32_e32 vcc_lo, 0x42b17218, v11
	v_cndmask_b32_e32 v11, 0x7f800000, v15, vcc_lo
	v_cmp_nlt_f32_e32 vcc_lo, 0x42b17218, v12
	;; [unrolled: 2-line block ×3, first 2 shown]
	v_cndmask_b32_e32 v13, 0x7f800000, v19, vcc_lo
	v_cmp_lt_i32_e32 vcc_lo, 0, v8
	v_cndmask_b32_e32 v11, 0, v11, vcc_lo
	v_cmp_lt_i32_e32 vcc_lo, 32, v8
	s_waitcnt vmcnt(4)
	s_delay_alu instid0(VALU_DEP_2) | instskip(SKIP_2) | instid1(VALU_DEP_2)
	v_dual_mul_f32 v11, v16, v11 :: v_dual_cndmask_b32 v12, 0, v12
	v_cmp_lt_i32_e32 vcc_lo, 64, v8
	s_waitcnt vmcnt(3)
	v_mul_f32_e32 v3, v3, v12
	v_cndmask_b32_e32 v13, 0, v13, vcc_lo
	v_cmp_nlt_f32_e32 vcc_lo, 0x42b17218, v14
	s_waitcnt vmcnt(2)
	s_delay_alu instid0(VALU_DEP_2) | instskip(SKIP_2) | instid1(VALU_DEP_2)
	v_mul_f32_e32 v4, v4, v13
	v_dual_cndmask_b32 v14, 0x7f800000, v20 :: v_dual_add_f32 v13, v11, v3
	v_cmp_lt_i32_e32 vcc_lo, 0x60, v8
	v_cndmask_b32_e32 v12, 0, v14, vcc_lo
	v_cmp_nlt_f32_e32 vcc_lo, 0x42b17218, v7
	s_waitcnt vmcnt(1)
	s_delay_alu instid0(VALU_DEP_2) | instskip(SKIP_2) | instid1(VALU_DEP_2)
	v_mul_f32_e32 v5, v5, v12
	v_cndmask_b32_e32 v7, 0x7f800000, v21, vcc_lo
	v_cmp_lt_i32_e32 vcc_lo, 0x80, v8
	v_dual_add_f32 v8, v13, v4 :: v_dual_cndmask_b32 v7, 0, v7
	s_waitcnt vmcnt(0)
	s_delay_alu instid0(VALU_DEP_1) | instskip(NEXT) | instid1(VALU_DEP_2)
	v_mul_f32_e32 v7, v1, v7
	v_add_f32_e32 v1, v8, v5
	s_delay_alu instid0(VALU_DEP_1)
	v_add_f32_e32 v1, v1, v7
	ds_bpermute_b32 v6, v6, v1
	s_waitcnt lgkmcnt(0)
	v_add_f32_e32 v1, v1, v6
	ds_bpermute_b32 v6, v9, v1
	s_waitcnt lgkmcnt(0)
	;; [unrolled: 3-line block ×4, first 2 shown]
	v_dual_add_f32 v1, v1, v6 :: v_dual_lshlrev_b32 v6, 2, v0
	ds_store_2addr_b32 v6, v11, v3 offset1:32
	ds_store_2addr_b32 v6, v4, v5 offset0:64 offset1:96
	ds_store_b32 v6, v7 offset:512
	ds_bpermute_b32 v2, v2, v1
	v_cmpx_eq_u32_e32 0, v0
	s_cbranch_execz .LBB654_8
; %bb.7:
	s_waitcnt lgkmcnt(0)
	v_dual_add_f32 v1, v1, v2 :: v_dual_mov_b32 v2, 0
	ds_store_b32 v2, v1 offset:640
.LBB654_8:
	s_or_b32 exec_lo, exec_lo, s7
	v_mov_b32_e32 v1, s6
.LBB654_9:
	s_or_b32 exec_lo, exec_lo, s24
	s_lshl_b32 s6, s18, 7
	s_mov_b32 s7, 0
	s_waitcnt lgkmcnt(0)
	v_dual_mov_b32 v2, 0 :: v_dual_lshlrev_b32 v1, 7, v1
	s_lshl_b64 s[6:7], s[6:7], 1
	v_lshlrev_b32_e32 v0, 1, v0
	s_add_u32 s34, s4, s6
	s_addc_u32 s35, s5, s7
	s_lshl_b32 s51, s23, 7
	v_lshlrev_b64 v[3:4], 1, v[1:2]
	s_addk_i32 s51, 0xff80
	s_cmpk_lt_i32 s50, 0x100
	v_dual_mov_b32 v32, 0 :: v_dual_mov_b32 v35, 0
	s_cselect_b32 s4, s51, 0
	s_delay_alu instid0(VALU_DEP_2)
	v_add_co_u32 v1, vcc_lo, s34, v3
	s_ashr_i32 s5, s4, 31
	v_add_co_ci_u32_e32 v3, vcc_lo, s35, v4, vcc_lo
	s_lshl_b64 s[4:5], s[4:5], 1
	s_cmpk_lt_i32 s50, 0x200
	v_add_co_u32 v1, vcc_lo, v1, v0
	s_cselect_b32 s6, s51, 0x80
	v_add_co_ci_u32_e32 v3, vcc_lo, 0, v3, vcc_lo
	s_ashr_i32 s7, s6, 31
	s_delay_alu instid0(VALU_DEP_2)
	v_add_co_u32 v4, vcc_lo, v1, s4
	s_lshl_b64 s[6:7], s[6:7], 1
	s_cmpk_lt_i32 s50, 0x300
	v_add_co_ci_u32_e32 v5, vcc_lo, s5, v3, vcc_lo
	s_cselect_b32 s8, s51, 0x100
	v_add_co_u32 v6, vcc_lo, v1, s6
	s_ashr_i32 s9, s8, 31
	v_add_co_ci_u32_e32 v7, vcc_lo, s7, v3, vcc_lo
	s_lshl_b64 s[8:9], s[8:9], 1
	s_cmpk_lt_i32 s50, 0x400
	v_add_co_u32 v8, vcc_lo, v1, s8
	s_cselect_b32 s10, s51, 0x180
	v_add_co_ci_u32_e32 v9, vcc_lo, s9, v3, vcc_lo
	s_ashr_i32 s11, s10, 31
	v_mov_b32_e32 v34, 0
	s_lshl_b64 s[10:11], s[10:11], 1
	s_cmpk_lt_i32 s50, 0x500
	v_add_co_u32 v14, vcc_lo, v1, s10
	s_cselect_b32 s18, s51, 0x200
	v_add_co_ci_u32_e32 v15, vcc_lo, s11, v3, vcc_lo
	s_ashr_i32 s19, s18, 31
	v_mov_b32_e32 v33, 0
	s_lshl_b64 s[18:19], s[18:19], 1
	s_cmpk_lt_i32 s50, 0x600
	v_add_co_u32 v16, vcc_lo, v1, s18
	s_cselect_b32 s20, s51, 0x280
	v_add_co_ci_u32_e32 v17, vcc_lo, s19, v3, vcc_lo
	s_ashr_i32 s21, s20, 31
	s_delay_alu instid0(SALU_CYCLE_1)
	s_lshl_b64 s[20:21], s[20:21], 1
	s_cmpk_lt_i32 s50, 0x700
	v_add_co_u32 v18, vcc_lo, v1, s20
	s_cselect_b32 s24, s51, 0x300
	v_add_co_ci_u32_e32 v19, vcc_lo, s21, v3, vcc_lo
	s_ashr_i32 s25, s24, 31
	s_delay_alu instid0(SALU_CYCLE_1)
	;; [unrolled: 7-line block ×3, first 2 shown]
	s_lshl_b64 s[26:27], s[26:27], 1
	s_cmpk_lt_i32 s50, 0x900
	v_add_co_u32 v22, vcc_lo, v1, s26
	s_cselect_b32 s28, s51, 0x400
	v_add_co_ci_u32_e32 v23, vcc_lo, s27, v3, vcc_lo
	s_ashr_i32 s29, s28, 31
	s_clause 0x7
	global_load_u16 v13, v[4:5], off
	global_load_u16 v4, v[6:7], off
	;; [unrolled: 1-line block ×8, first 2 shown]
	s_lshl_b64 s[28:29], s[28:29], 1
	s_cmpk_lt_i32 s50, 0xa00
	v_add_co_u32 v14, vcc_lo, v1, s28
	s_cselect_b32 s30, s51, 0x480
	v_add_co_ci_u32_e32 v15, vcc_lo, s29, v3, vcc_lo
	s_ashr_i32 s31, s30, 31
	s_delay_alu instid0(SALU_CYCLE_1)
	s_lshl_b64 s[30:31], s[30:31], 1
	s_cmpk_lt_i32 s50, 0xb00
	v_add_co_u32 v16, vcc_lo, v1, s30
	s_cselect_b32 s34, s51, 0x500
	v_add_co_ci_u32_e32 v17, vcc_lo, s31, v3, vcc_lo
	s_ashr_i32 s35, s34, 31
	s_delay_alu instid0(SALU_CYCLE_1)
	;; [unrolled: 7-line block ×7, first 2 shown]
	s_lshl_b64 s[4:5], s[6:7], 1
	s_cmpk_gt_i32 s22, 0x1000
	v_add_co_u32 v30, vcc_lo, v1, s4
	v_add_co_ci_u32_e32 v31, vcc_lo, s5, v3, vcc_lo
	s_clause 0x7
	global_load_u16 v19, v[14:15], off
	global_load_u16 v18, v[16:17], off
	global_load_u16 v17, v[20:21], off
	global_load_u16 v16, v[22:23], off
	global_load_u16 v15, v[24:25], off
	global_load_u16 v14, v[26:27], off
	global_load_u16 v12, v[28:29], off
	global_load_u16 v10, v[30:31], off
	v_dual_mov_b32 v20, 0 :: v_dual_mov_b32 v23, 0
	v_dual_mov_b32 v21, 0 :: v_dual_mov_b32 v22, 0
	;; [unrolled: 1-line block ×6, first 2 shown]
	s_cselect_b32 s6, -1, 0
	s_cmpk_lt_i32 s22, 0x1001
	s_waitcnt vmcnt(0)
	s_barrier
	buffer_gl0_inv
	s_cbranch_scc1 .LBB654_11
; %bb.10:
	s_cmpk_lt_i32 s50, 0x1100
	s_cselect_b32 s4, s51, 0x800
	s_delay_alu instid0(SALU_CYCLE_1) | instskip(NEXT) | instid1(SALU_CYCLE_1)
	s_ashr_i32 s5, s4, 31
	s_lshl_b64 s[4:5], s[4:5], 1
	s_cmpk_lt_i32 s50, 0x1200
	v_add_co_u32 v20, vcc_lo, v1, s4
	s_cselect_b32 s8, s51, 0x880
	v_add_co_ci_u32_e32 v21, vcc_lo, s5, v3, vcc_lo
	s_ashr_i32 s9, s8, 31
	s_delay_alu instid0(SALU_CYCLE_1)
	s_lshl_b64 s[8:9], s[8:9], 1
	s_cmpk_lt_i32 s50, 0x1300
	v_add_co_u32 v22, vcc_lo, v1, s8
	s_cselect_b32 s10, s51, 0x900
	v_add_co_ci_u32_e32 v23, vcc_lo, s9, v3, vcc_lo
	s_ashr_i32 s11, s10, 31
	s_delay_alu instid0(SALU_CYCLE_1)
	;; [unrolled: 7-line block ×14, first 2 shown]
	s_lshl_b64 s[4:5], s[18:19], 1
	s_cmpk_lt_i32 s50, 0x2000
	v_add_co_u32 v48, vcc_lo, v1, s4
	s_cselect_b32 s8, s51, 0xf80
	v_add_co_ci_u32_e32 v49, vcc_lo, s5, v3, vcc_lo
	s_ashr_i32 s9, s8, 31
	s_delay_alu instid0(SALU_CYCLE_1) | instskip(NEXT) | instid1(SALU_CYCLE_1)
	s_lshl_b64 s[4:5], s[8:9], 1
	v_add_co_u32 v50, vcc_lo, v1, s4
	v_add_co_ci_u32_e32 v51, vcc_lo, s5, v3, vcc_lo
	s_clause 0xf
	global_load_u16 v20, v[20:21], off
	global_load_u16 v21, v[22:23], off
	;; [unrolled: 1-line block ×16, first 2 shown]
	s_waitcnt vmcnt(15)
	v_lshlrev_b32_e32 v35, 16, v20
	s_waitcnt vmcnt(14)
	v_lshlrev_b32_e32 v34, 16, v21
	s_waitcnt vmcnt(13)
	v_lshlrev_b32_e32 v33, 16, v22
	s_waitcnt vmcnt(12)
	v_lshlrev_b32_e32 v32, 16, v23
	s_waitcnt vmcnt(11)
	v_lshlrev_b32_e32 v31, 16, v24
	s_waitcnt vmcnt(10)
	v_lshlrev_b32_e32 v30, 16, v25
	s_waitcnt vmcnt(9)
	v_lshlrev_b32_e32 v29, 16, v26
	s_waitcnt vmcnt(8)
	v_lshlrev_b32_e32 v28, 16, v27
	s_waitcnt vmcnt(7)
	v_lshlrev_b32_e32 v27, 16, v36
	s_waitcnt vmcnt(6)
	v_lshlrev_b32_e32 v26, 16, v37
	s_waitcnt vmcnt(5)
	v_lshlrev_b32_e32 v25, 16, v38
	s_waitcnt vmcnt(4)
	v_lshlrev_b32_e32 v24, 16, v39
	s_waitcnt vmcnt(3)
	v_lshlrev_b32_e32 v23, 16, v40
	s_waitcnt vmcnt(2)
	v_lshlrev_b32_e32 v22, 16, v41
	s_waitcnt vmcnt(1)
	v_lshlrev_b32_e32 v21, 16, v42
	s_waitcnt vmcnt(0)
	v_lshlrev_b32_e32 v20, 16, v43
.LBB654_11:
	ds_load_b128 v[36:39], v2
	ds_load_b128 v[40:43], v2 offset:16
	v_lshlrev_b32_e32 v44, 16, v4
	v_lshlrev_b32_e32 v13, 16, v13
	;; [unrolled: 1-line block ×4, first 2 shown]
	s_and_not1_b32 vcc_lo, exec_lo, s6
	v_lshlrev_b32_e32 v5, 16, v5
	s_waitcnt lgkmcnt(1)
	v_fma_f32 v4, v36, v13, 0
	s_delay_alu instid0(VALU_DEP_1) | instskip(SKIP_1) | instid1(VALU_DEP_1)
	v_dual_fmac_f32 v4, v37, v44 :: v_dual_lshlrev_b32 v9, 16, v9
	v_lshlrev_b32_e32 v11, 16, v11
	v_dual_fmac_f32 v4, v38, v11 :: v_dual_lshlrev_b32 v11, 16, v18
	s_delay_alu instid0(VALU_DEP_1) | instskip(SKIP_3) | instid1(VALU_DEP_1)
	v_dual_fmac_f32 v4, v39, v9 :: v_dual_lshlrev_b32 v7, 16, v7
	ds_load_b128 v[36:39], v2 offset:32
	s_waitcnt lgkmcnt(1)
	v_dual_fmac_f32 v4, v40, v8 :: v_dual_lshlrev_b32 v9, 16, v19
	v_fmac_f32_e32 v4, v41, v7
	s_delay_alu instid0(VALU_DEP_1) | instskip(NEXT) | instid1(VALU_DEP_1)
	v_fmac_f32_e32 v4, v42, v6
	v_fmac_f32_e32 v4, v43, v5
	ds_load_b128 v[5:8], v2 offset:48
	s_waitcnt lgkmcnt(1)
	v_fmac_f32_e32 v4, v36, v9
	s_delay_alu instid0(VALU_DEP_1) | instskip(NEXT) | instid1(VALU_DEP_1)
	v_dual_fmac_f32 v4, v37, v11 :: v_dual_lshlrev_b32 v9, 16, v17
	v_dual_fmac_f32 v4, v38, v9 :: v_dual_lshlrev_b32 v11, 16, v16
	v_lshlrev_b32_e32 v9, 16, v15
	s_delay_alu instid0(VALU_DEP_2) | instskip(SKIP_1) | instid1(VALU_DEP_1)
	v_dual_fmac_f32 v4, v39, v11 :: v_dual_lshlrev_b32 v11, 16, v14
	s_waitcnt lgkmcnt(0)
	v_dual_fmac_f32 v4, v5, v9 :: v_dual_lshlrev_b32 v5, 16, v12
	s_delay_alu instid0(VALU_DEP_1) | instskip(NEXT) | instid1(VALU_DEP_1)
	v_fmac_f32_e32 v4, v6, v11
	v_dual_fmac_f32 v4, v7, v5 :: v_dual_lshlrev_b32 v5, 16, v10
	s_delay_alu instid0(VALU_DEP_1)
	v_fmac_f32_e32 v4, v8, v5
	s_cbranch_vccz .LBB654_24
; %bb.12:
	s_cmpk_lt_i32 s50, 0x2100
	s_cbranch_scc0 .LBB654_25
.LBB654_13:
	s_cmpk_lt_i32 s50, 0x4100
	s_cbranch_scc0 .LBB654_26
.LBB654_14:
	s_cmpk_lt_i32 s50, 0x6100
	s_cbranch_scc0 .LBB654_27
.LBB654_15:
	s_cmp_lt_i32 s50, 0x8100
	s_cbranch_scc0 .LBB654_28
.LBB654_16:
	v_mov_b32_e32 v1, 0
	s_and_not1_b32 vcc_lo, exec_lo, s15
	ds_load_b32 v1, v1 offset:640
	s_cbranch_vccnz .LBB654_18
.LBB654_17:
	s_add_u32 s2, s12, s16
	s_addc_u32 s3, s13, s17
	s_load_b32 s2, s[2:3], 0x0
	s_mov_b32 s3, 0
.LBB654_18:
	s_waitcnt lgkmcnt(0)
	v_add_f32_e32 v1, 0x358637bd, v1
	s_load_b64 s[0:1], s[0:1], 0x0
	s_delay_alu instid0(VALU_DEP_1) | instskip(NEXT) | instid1(VALU_DEP_1)
	v_div_scale_f32 v2, null, v1, v1, 1.0
	v_rcp_f32_e32 v3, v2
	s_waitcnt_depctr 0xfff
	v_fma_f32 v5, -v2, v3, 1.0
	s_delay_alu instid0(VALU_DEP_1) | instskip(SKIP_1) | instid1(VALU_DEP_1)
	v_fmac_f32_e32 v3, v5, v3
	v_div_scale_f32 v5, vcc_lo, 1.0, v1, 1.0
	v_mul_f32_e32 v6, v5, v3
	s_delay_alu instid0(VALU_DEP_1) | instskip(NEXT) | instid1(VALU_DEP_1)
	v_fma_f32 v7, -v2, v6, v5
	v_fmac_f32_e32 v6, v7, v3
	s_delay_alu instid0(VALU_DEP_1) | instskip(NEXT) | instid1(VALU_DEP_1)
	v_fma_f32 v2, -v2, v6, v5
	v_div_fmas_f32 v2, v2, v3, v6
	s_delay_alu instid0(VALU_DEP_1) | instskip(NEXT) | instid1(VALU_DEP_1)
	v_div_fixup_f32 v1, v2, v1, 1.0
	v_mul_f32_e32 v2, v4, v1
	s_delay_alu instid0(VALU_DEP_1) | instskip(NEXT) | instid1(VALU_DEP_1)
	v_and_b32_e32 v1, 0x7f800000, v2
	v_cmp_ne_u32_e32 vcc_lo, 0x7f800000, v1
                                        ; implicit-def: $vgpr1
	s_and_saveexec_b32 s4, vcc_lo
	s_delay_alu instid0(SALU_CYCLE_1)
	s_xor_b32 s4, exec_lo, s4
; %bb.19:
	v_bfe_u32 v1, v2, 16, 1
	s_delay_alu instid0(VALU_DEP_1)
	v_add3_u32 v1, v2, v1, 0x7fff
                                        ; implicit-def: $vgpr2
; %bb.20:
	s_and_not1_saveexec_b32 s4, s4
; %bb.21:
	v_and_b32_e32 v1, 0xffff, v2
	v_or_b32_e32 v3, 0x10000, v2
	s_delay_alu instid0(VALU_DEP_2) | instskip(NEXT) | instid1(VALU_DEP_2)
	v_cmp_eq_u32_e32 vcc_lo, 0, v1
	v_cndmask_b32_e32 v1, v3, v2, vcc_lo
; %bb.22:
	s_or_b32 exec_lo, exec_lo, s4
	s_mul_i32 s3, s33, s3
	s_mul_hi_u32 s4, s33, s2
	s_mul_i32 s2, s33, s2
	s_add_i32 s3, s4, s3
	s_mov_b32 s15, 0
	s_lshl_b64 s[2:3], s[2:3], 8
	s_waitcnt lgkmcnt(0)
	s_add_u32 s2, s0, s2
	s_addc_u32 s3, s1, s3
	s_lshl_b64 s[0:1], s[14:15], 8
	s_delay_alu instid0(SALU_CYCLE_1)
	s_add_u32 s0, s2, s0
	s_addc_u32 s1, s3, s1
	global_store_d16_hi_b16 v0, v1, s[0:1]
	s_nop 0
	s_sendmsg sendmsg(MSG_DEALLOC_VGPRS)
	s_endpgm
.LBB654_23:
	s_mov_b32 s4, 0
	s_branch .LBB654_2
.LBB654_24:
	ds_load_b128 v[5:8], v2 offset:64
	ds_load_b128 v[9:12], v2 offset:80
	s_waitcnt lgkmcnt(1)
	v_fmac_f32_e32 v4, v5, v35
	s_delay_alu instid0(VALU_DEP_1) | instskip(NEXT) | instid1(VALU_DEP_1)
	v_fmac_f32_e32 v4, v6, v34
	v_fmac_f32_e32 v4, v7, v33
	s_delay_alu instid0(VALU_DEP_1) | instskip(SKIP_3) | instid1(VALU_DEP_1)
	v_fmac_f32_e32 v4, v8, v32
	ds_load_b128 v[5:8], v2 offset:96
	s_waitcnt lgkmcnt(1)
	v_fmac_f32_e32 v4, v9, v31
	v_fmac_f32_e32 v4, v10, v30
	s_delay_alu instid0(VALU_DEP_1) | instskip(NEXT) | instid1(VALU_DEP_1)
	v_fmac_f32_e32 v4, v11, v29
	v_fmac_f32_e32 v4, v12, v28
	ds_load_b128 v[9:12], v2 offset:112
	s_waitcnt lgkmcnt(1)
	v_fmac_f32_e32 v4, v5, v27
	s_delay_alu instid0(VALU_DEP_1) | instskip(NEXT) | instid1(VALU_DEP_1)
	v_fmac_f32_e32 v4, v6, v26
	v_fmac_f32_e32 v4, v7, v25
	s_delay_alu instid0(VALU_DEP_1) | instskip(SKIP_1) | instid1(VALU_DEP_1)
	v_fmac_f32_e32 v4, v8, v24
	s_waitcnt lgkmcnt(0)
	v_fmac_f32_e32 v4, v9, v23
	s_delay_alu instid0(VALU_DEP_1) | instskip(NEXT) | instid1(VALU_DEP_1)
	v_fmac_f32_e32 v4, v10, v22
	v_fmac_f32_e32 v4, v11, v21
	s_delay_alu instid0(VALU_DEP_1)
	v_fmac_f32_e32 v4, v12, v20
	s_cmpk_lt_i32 s50, 0x2100
	s_cbranch_scc1 .LBB654_13
.LBB654_25:
	s_cmpk_lt_i32 s50, 0x2200
	v_add_co_u32 v5, vcc_lo, 0x2000, v1
	s_cselect_b32 s4, s51, 0x1080
	v_add_co_ci_u32_e32 v6, vcc_lo, 0, v3, vcc_lo
	s_ashr_i32 s5, s4, 31
	v_mov_b32_e32 v44, 0
	s_lshl_b64 s[4:5], s[4:5], 1
	s_cmpk_lt_i32 s50, 0x2300
	global_load_u16 v2, v[5:6], off
	s_cselect_b32 s6, s51, 0x1100
	v_add_co_u32 v5, vcc_lo, v1, s4
	s_ashr_i32 s7, s6, 31
	v_add_co_ci_u32_e32 v6, vcc_lo, s5, v3, vcc_lo
	s_lshl_b64 s[8:9], s[6:7], 1
	s_cmpk_lt_i32 s50, 0x2400
	v_add_co_u32 v7, vcc_lo, v1, s8
	s_cselect_b32 s6, s51, 0x1180
	v_add_co_ci_u32_e32 v8, vcc_lo, s9, v3, vcc_lo
	s_ashr_i32 s7, s6, 31
	s_delay_alu instid0(SALU_CYCLE_1)
	s_lshl_b64 s[18:19], s[6:7], 1
	s_cmpk_lt_i32 s50, 0x2500
	v_add_co_u32 v9, vcc_lo, v1, s18
	s_cselect_b32 s6, s51, 0x1200
	v_add_co_ci_u32_e32 v10, vcc_lo, s19, v3, vcc_lo
	s_ashr_i32 s7, s6, 31
	s_delay_alu instid0(SALU_CYCLE_1)
	s_lshl_b64 s[24:25], s[6:7], 1
	s_cmpk_lt_i32 s50, 0x2600
	v_add_co_u32 v11, vcc_lo, v1, s24
	s_cselect_b32 s6, s51, 0x1280
	v_add_co_ci_u32_e32 v12, vcc_lo, s25, v3, vcc_lo
	s_ashr_i32 s7, s6, 31
	s_clause 0x3
	global_load_u16 v13, v[5:6], off
	global_load_u16 v14, v[7:8], off
	;; [unrolled: 1-line block ×4, first 2 shown]
	s_lshl_b64 s[6:7], s[6:7], 1
	s_cmpk_lt_i32 s50, 0x2700
	v_add_co_u32 v5, vcc_lo, v1, s6
	s_cselect_b32 s10, s51, 0x1300
	v_add_co_ci_u32_e32 v6, vcc_lo, s7, v3, vcc_lo
	s_ashr_i32 s11, s10, 31
	s_delay_alu instid0(SALU_CYCLE_1)
	s_lshl_b64 s[10:11], s[10:11], 1
	s_cmpk_lt_i32 s50, 0x2800
	v_add_co_u32 v7, vcc_lo, v1, s10
	s_cselect_b32 s20, s51, 0x1380
	v_add_co_ci_u32_e32 v8, vcc_lo, s11, v3, vcc_lo
	s_ashr_i32 s21, s20, 31
	s_delay_alu instid0(SALU_CYCLE_1)
	;; [unrolled: 7-line block ×3, first 2 shown]
	s_lshl_b64 s[30:31], s[20:21], 1
	s_cmpk_lt_i32 s50, 0x2a00
	v_add_co_u32 v11, vcc_lo, v1, s30
	s_cselect_b32 s20, s51, 0x1480
	v_add_co_ci_u32_e32 v12, vcc_lo, s31, v3, vcc_lo
	s_ashr_i32 s21, s20, 31
	s_clause 0x3
	global_load_u16 v17, v[5:6], off
	global_load_u16 v18, v[7:8], off
	;; [unrolled: 1-line block ×4, first 2 shown]
	s_lshl_b64 s[20:21], s[20:21], 1
	s_cmpk_lt_i32 s50, 0x2b00
	v_add_co_u32 v5, vcc_lo, v1, s20
	s_cselect_b32 s26, s51, 0x1500
	v_add_co_ci_u32_e32 v6, vcc_lo, s21, v3, vcc_lo
	s_ashr_i32 s27, s26, 31
	s_delay_alu instid0(SALU_CYCLE_1)
	s_lshl_b64 s[26:27], s[26:27], 1
	s_cmpk_lt_i32 s50, 0x2c00
	v_add_co_u32 v7, vcc_lo, v1, s26
	s_cselect_b32 s28, s51, 0x1580
	v_add_co_ci_u32_e32 v8, vcc_lo, s27, v3, vcc_lo
	s_ashr_i32 s29, s28, 31
	global_load_u16 v21, v[5:6], off
	s_lshl_b64 s[34:35], s[28:29], 1
	s_cmpk_lt_i32 s50, 0x2d00
	v_add_co_u32 v9, vcc_lo, v1, s34
	s_cselect_b32 s28, s51, 0x1600
	v_add_co_ci_u32_e32 v10, vcc_lo, s35, v3, vcc_lo
	s_ashr_i32 s29, s28, 31
	s_delay_alu instid0(SALU_CYCLE_1)
	s_lshl_b64 s[38:39], s[28:29], 1
	s_cmpk_lt_i32 s50, 0x2e00
	v_add_co_u32 v11, vcc_lo, v1, s38
	s_cselect_b32 s28, s51, 0x1680
	v_add_co_ci_u32_e32 v12, vcc_lo, s39, v3, vcc_lo
	s_ashr_i32 s29, s28, 31
	s_clause 0x2
	global_load_u16 v22, v[7:8], off
	global_load_u16 v23, v[9:10], off
	;; [unrolled: 1-line block ×3, first 2 shown]
	s_lshl_b64 s[28:29], s[28:29], 1
	s_cmpk_lt_i32 s50, 0x2f00
	v_add_co_u32 v5, vcc_lo, v1, s28
	s_cselect_b32 s36, s51, 0x1700
	v_add_co_ci_u32_e32 v6, vcc_lo, s29, v3, vcc_lo
	s_ashr_i32 s37, s36, 31
	s_delay_alu instid0(SALU_CYCLE_1)
	s_lshl_b64 s[36:37], s[36:37], 1
	s_cmpk_lt_i32 s50, 0x3000
	v_add_co_u32 v7, vcc_lo, v1, s36
	s_cselect_b32 s40, s51, 0x1780
	v_add_co_ci_u32_e32 v8, vcc_lo, s37, v3, vcc_lo
	s_ashr_i32 s41, s40, 31
	global_load_u16 v25, v[5:6], off
	s_lshl_b64 s[40:41], s[40:41], 1
	global_load_u16 v26, v[7:8], off
	s_cmpk_lt_i32 s50, 0x3100
	v_add_co_u32 v9, vcc_lo, v1, s40
	s_cselect_b32 s42, s51, 0x1800
	v_add_co_ci_u32_e32 v10, vcc_lo, s41, v3, vcc_lo
	s_ashr_i32 s43, s42, 31
	s_delay_alu instid0(SALU_CYCLE_1)
	s_lshl_b64 s[42:43], s[42:43], 1
	global_load_u16 v27, v[9:10], off
	s_cmpk_lt_i32 s50, 0x3200
	v_add_co_u32 v5, vcc_lo, v1, s42
	s_cselect_b32 s44, s51, 0x1880
	v_add_co_ci_u32_e32 v6, vcc_lo, s43, v3, vcc_lo
	s_ashr_i32 s45, s44, 31
	s_delay_alu instid0(SALU_CYCLE_1)
	s_lshl_b64 s[44:45], s[44:45], 1
	s_cmpk_lt_i32 s50, 0x3300
	v_add_co_u32 v7, vcc_lo, v1, s44
	s_cselect_b32 s46, s51, 0x1900
	v_add_co_ci_u32_e32 v8, vcc_lo, s45, v3, vcc_lo
	s_ashr_i32 s47, s46, 31
	global_load_u16 v28, v[5:6], off
	s_lshl_b64 s[46:47], s[46:47], 1
	global_load_u16 v29, v[7:8], off
	s_cmpk_lt_i32 s50, 0x3400
	v_add_co_u32 v9, vcc_lo, v1, s46
	s_cselect_b32 s48, s51, 0x1980
	v_add_co_ci_u32_e32 v10, vcc_lo, s47, v3, vcc_lo
	s_ashr_i32 s49, s48, 31
	s_delay_alu instid0(SALU_CYCLE_1)
	s_lshl_b64 s[48:49], s[48:49], 1
	s_cmpk_lt_i32 s50, 0x3500
	v_add_co_u32 v5, vcc_lo, v1, s48
	s_cselect_b32 s4, s51, 0x1a00
	v_add_co_ci_u32_e32 v6, vcc_lo, s49, v3, vcc_lo
	s_ashr_i32 s5, s4, 31
	global_load_u16 v30, v[9:10], off
	s_lshl_b64 s[4:5], s[4:5], 1
	s_cmpk_lt_i32 s50, 0x3600
	v_add_co_u32 v7, vcc_lo, v1, s4
	s_cselect_b32 s8, s51, 0x1a80
	v_add_co_ci_u32_e32 v8, vcc_lo, s5, v3, vcc_lo
	s_ashr_i32 s9, s8, 31
	global_load_u16 v31, v[5:6], off
	s_lshl_b64 s[6:7], s[8:9], 1
	global_load_u16 v32, v[7:8], off
	s_cmpk_lt_i32 s50, 0x3700
	v_add_co_u32 v5, vcc_lo, v1, s6
	s_cselect_b32 s8, s51, 0x1b00
	v_add_co_ci_u32_e32 v6, vcc_lo, s7, v3, vcc_lo
	s_ashr_i32 s9, s8, 31
	s_delay_alu instid0(SALU_CYCLE_1)
	s_lshl_b64 s[8:9], s[8:9], 1
	s_cmpk_lt_i32 s50, 0x3800
	v_add_co_u32 v7, vcc_lo, v1, s8
	s_cselect_b32 s10, s51, 0x1b80
	v_add_co_ci_u32_e32 v8, vcc_lo, s9, v3, vcc_lo
	s_ashr_i32 s11, s10, 31
	global_load_u16 v33, v[5:6], off
	s_lshl_b64 s[10:11], s[10:11], 1
	global_load_u16 v34, v[7:8], off
	s_cmpk_lt_i32 s50, 0x3900
	v_add_co_u32 v5, vcc_lo, v1, s10
	s_cselect_b32 s18, s51, 0x1c00
	v_add_co_ci_u32_e32 v6, vcc_lo, s11, v3, vcc_lo
	s_ashr_i32 s19, s18, 31
	s_delay_alu instid0(SALU_CYCLE_1)
	;; [unrolled: 15-line block ×5, first 2 shown]
	s_lshl_b64 s[4:5], s[8:9], 1
	s_cmpk_lt_i32 s50, 0x4000
	v_add_co_u32 v7, vcc_lo, v1, s4
	s_cselect_b32 s6, s51, 0x1f80
	v_add_co_ci_u32_e32 v8, vcc_lo, s5, v3, vcc_lo
	s_ashr_i32 s7, s6, 31
	global_load_u16 v41, v[5:6], off
	s_lshl_b64 s[4:5], s[6:7], 1
	global_load_u16 v42, v[7:8], off
	v_add_co_u32 v5, vcc_lo, v1, s4
	v_add_co_ci_u32_e32 v6, vcc_lo, s5, v3, vcc_lo
	global_load_u16 v43, v[5:6], off
	ds_load_b128 v[5:8], v44 offset:128
	ds_load_b128 v[9:12], v44 offset:144
	s_waitcnt vmcnt(31)
	v_lshlrev_b32_e32 v2, 16, v2
	s_waitcnt lgkmcnt(1)
	s_delay_alu instid0(VALU_DEP_1) | instskip(SKIP_2) | instid1(VALU_DEP_1)
	v_fmac_f32_e32 v4, v5, v2
	s_waitcnt vmcnt(30)
	v_lshlrev_b32_e32 v2, 16, v13
	v_fmac_f32_e32 v4, v6, v2
	s_waitcnt vmcnt(29)
	v_lshlrev_b32_e32 v2, 16, v14
	s_delay_alu instid0(VALU_DEP_1) | instskip(SKIP_2) | instid1(VALU_DEP_1)
	v_fmac_f32_e32 v4, v7, v2
	s_waitcnt vmcnt(28)
	v_lshlrev_b32_e32 v2, 16, v15
	v_fmac_f32_e32 v4, v8, v2
	s_waitcnt vmcnt(27)
	v_lshlrev_b32_e32 v2, 16, v16
	ds_load_b128 v[5:8], v44 offset:160
	s_waitcnt lgkmcnt(1)
	v_fmac_f32_e32 v4, v9, v2
	s_waitcnt vmcnt(26)
	v_lshlrev_b32_e32 v2, 16, v17
	s_delay_alu instid0(VALU_DEP_1) | instskip(SKIP_2) | instid1(VALU_DEP_1)
	v_fmac_f32_e32 v4, v10, v2
	s_waitcnt vmcnt(25)
	v_lshlrev_b32_e32 v2, 16, v18
	v_fmac_f32_e32 v4, v11, v2
	s_waitcnt vmcnt(24)
	v_lshlrev_b32_e32 v2, 16, v19
	s_delay_alu instid0(VALU_DEP_1) | instskip(SKIP_4) | instid1(VALU_DEP_1)
	v_fmac_f32_e32 v4, v12, v2
	ds_load_b128 v[9:12], v44 offset:176
	s_waitcnt vmcnt(23)
	v_lshlrev_b32_e32 v2, 16, v20
	s_waitcnt lgkmcnt(1)
	v_fmac_f32_e32 v4, v5, v2
	s_waitcnt vmcnt(22)
	v_lshlrev_b32_e32 v2, 16, v21
	s_delay_alu instid0(VALU_DEP_1) | instskip(SKIP_2) | instid1(VALU_DEP_1)
	v_fmac_f32_e32 v4, v6, v2
	s_waitcnt vmcnt(21)
	v_lshlrev_b32_e32 v2, 16, v22
	v_fmac_f32_e32 v4, v7, v2
	s_waitcnt vmcnt(20)
	v_lshlrev_b32_e32 v2, 16, v23
	s_delay_alu instid0(VALU_DEP_1)
	v_fmac_f32_e32 v4, v8, v2
	s_waitcnt vmcnt(19)
	v_lshlrev_b32_e32 v2, 16, v24
	ds_load_b128 v[5:8], v44 offset:192
	s_waitcnt lgkmcnt(1)
	v_fmac_f32_e32 v4, v9, v2
	s_waitcnt vmcnt(18)
	v_lshlrev_b32_e32 v2, 16, v25
	s_delay_alu instid0(VALU_DEP_1) | instskip(SKIP_2) | instid1(VALU_DEP_1)
	v_fmac_f32_e32 v4, v10, v2
	s_waitcnt vmcnt(17)
	v_lshlrev_b32_e32 v2, 16, v26
	v_fmac_f32_e32 v4, v11, v2
	s_waitcnt vmcnt(16)
	v_lshlrev_b32_e32 v2, 16, v27
	s_delay_alu instid0(VALU_DEP_1) | instskip(SKIP_4) | instid1(VALU_DEP_1)
	v_fmac_f32_e32 v4, v12, v2
	ds_load_b128 v[9:12], v44 offset:208
	s_waitcnt vmcnt(15)
	v_lshlrev_b32_e32 v2, 16, v28
	s_waitcnt lgkmcnt(1)
	v_fmac_f32_e32 v4, v5, v2
	s_waitcnt vmcnt(14)
	v_lshlrev_b32_e32 v2, 16, v29
	s_delay_alu instid0(VALU_DEP_1) | instskip(SKIP_2) | instid1(VALU_DEP_1)
	v_fmac_f32_e32 v4, v6, v2
	s_waitcnt vmcnt(13)
	v_lshlrev_b32_e32 v2, 16, v30
	v_fmac_f32_e32 v4, v7, v2
	s_waitcnt vmcnt(12)
	v_lshlrev_b32_e32 v2, 16, v31
	s_delay_alu instid0(VALU_DEP_1)
	v_fmac_f32_e32 v4, v8, v2
	s_waitcnt vmcnt(11)
	v_lshlrev_b32_e32 v2, 16, v32
	ds_load_b128 v[5:8], v44 offset:224
	s_waitcnt lgkmcnt(1)
	v_fmac_f32_e32 v4, v9, v2
	s_waitcnt vmcnt(10)
	v_lshlrev_b32_e32 v2, 16, v33
	s_delay_alu instid0(VALU_DEP_1) | instskip(SKIP_2) | instid1(VALU_DEP_1)
	v_fmac_f32_e32 v4, v10, v2
	s_waitcnt vmcnt(9)
	v_lshlrev_b32_e32 v2, 16, v34
	v_fmac_f32_e32 v4, v11, v2
	s_waitcnt vmcnt(8)
	v_lshlrev_b32_e32 v2, 16, v35
	s_delay_alu instid0(VALU_DEP_1) | instskip(SKIP_4) | instid1(VALU_DEP_1)
	v_fmac_f32_e32 v4, v12, v2
	ds_load_b128 v[9:12], v44 offset:240
	s_waitcnt vmcnt(7)
	v_lshlrev_b32_e32 v2, 16, v36
	s_waitcnt lgkmcnt(1)
	v_fmac_f32_e32 v4, v5, v2
	s_waitcnt vmcnt(6)
	v_lshlrev_b32_e32 v2, 16, v37
	s_delay_alu instid0(VALU_DEP_1) | instskip(SKIP_2) | instid1(VALU_DEP_1)
	v_fmac_f32_e32 v4, v6, v2
	s_waitcnt vmcnt(5)
	v_lshlrev_b32_e32 v2, 16, v38
	v_fmac_f32_e32 v4, v7, v2
	s_waitcnt vmcnt(4)
	v_lshlrev_b32_e32 v2, 16, v39
	s_delay_alu instid0(VALU_DEP_1) | instskip(SKIP_3) | instid1(VALU_DEP_1)
	v_fmac_f32_e32 v4, v8, v2
	s_waitcnt vmcnt(3)
	v_lshlrev_b32_e32 v2, 16, v40
	s_waitcnt lgkmcnt(0)
	v_fmac_f32_e32 v4, v9, v2
	s_waitcnt vmcnt(2)
	v_lshlrev_b32_e32 v2, 16, v41
	s_delay_alu instid0(VALU_DEP_1) | instskip(SKIP_2) | instid1(VALU_DEP_1)
	v_fmac_f32_e32 v4, v10, v2
	s_waitcnt vmcnt(1)
	v_lshlrev_b32_e32 v2, 16, v42
	v_fmac_f32_e32 v4, v11, v2
	s_waitcnt vmcnt(0)
	v_lshlrev_b32_e32 v2, 16, v43
	s_delay_alu instid0(VALU_DEP_1)
	v_fmac_f32_e32 v4, v12, v2
	s_cmpk_lt_i32 s50, 0x4100
	s_cbranch_scc1 .LBB654_14
.LBB654_26:
	s_cmpk_lt_i32 s50, 0x4200
	v_add_co_u32 v5, vcc_lo, 0x4000, v1
	s_cselect_b32 s4, s51, 0x2080
	v_add_co_ci_u32_e32 v6, vcc_lo, 0, v3, vcc_lo
	s_ashr_i32 s5, s4, 31
	v_mov_b32_e32 v44, 0
	s_lshl_b64 s[4:5], s[4:5], 1
	s_cmpk_lt_i32 s50, 0x4300
	global_load_u16 v2, v[5:6], off
	s_cselect_b32 s6, s51, 0x2100
	v_add_co_u32 v5, vcc_lo, v1, s4
	s_ashr_i32 s7, s6, 31
	v_add_co_ci_u32_e32 v6, vcc_lo, s5, v3, vcc_lo
	s_lshl_b64 s[8:9], s[6:7], 1
	s_cmpk_lt_i32 s50, 0x4400
	v_add_co_u32 v7, vcc_lo, v1, s8
	s_cselect_b32 s6, s51, 0x2180
	v_add_co_ci_u32_e32 v8, vcc_lo, s9, v3, vcc_lo
	s_ashr_i32 s7, s6, 31
	s_delay_alu instid0(SALU_CYCLE_1)
	s_lshl_b64 s[18:19], s[6:7], 1
	s_cmpk_lt_i32 s50, 0x4500
	v_add_co_u32 v9, vcc_lo, v1, s18
	s_cselect_b32 s6, s51, 0x2200
	v_add_co_ci_u32_e32 v10, vcc_lo, s19, v3, vcc_lo
	s_ashr_i32 s7, s6, 31
	s_delay_alu instid0(SALU_CYCLE_1)
	s_lshl_b64 s[24:25], s[6:7], 1
	s_cmpk_lt_i32 s50, 0x4600
	v_add_co_u32 v11, vcc_lo, v1, s24
	s_cselect_b32 s6, s51, 0x2280
	v_add_co_ci_u32_e32 v12, vcc_lo, s25, v3, vcc_lo
	s_ashr_i32 s7, s6, 31
	s_clause 0x3
	global_load_u16 v13, v[5:6], off
	global_load_u16 v14, v[7:8], off
	;; [unrolled: 1-line block ×4, first 2 shown]
	s_lshl_b64 s[6:7], s[6:7], 1
	s_cmpk_lt_i32 s50, 0x4700
	v_add_co_u32 v5, vcc_lo, v1, s6
	s_cselect_b32 s10, s51, 0x2300
	v_add_co_ci_u32_e32 v6, vcc_lo, s7, v3, vcc_lo
	s_ashr_i32 s11, s10, 31
	s_delay_alu instid0(SALU_CYCLE_1)
	s_lshl_b64 s[10:11], s[10:11], 1
	s_cmpk_lt_i32 s50, 0x4800
	v_add_co_u32 v7, vcc_lo, v1, s10
	s_cselect_b32 s20, s51, 0x2380
	v_add_co_ci_u32_e32 v8, vcc_lo, s11, v3, vcc_lo
	s_ashr_i32 s21, s20, 31
	s_delay_alu instid0(SALU_CYCLE_1)
	;; [unrolled: 7-line block ×3, first 2 shown]
	s_lshl_b64 s[30:31], s[20:21], 1
	s_cmpk_lt_i32 s50, 0x4a00
	v_add_co_u32 v11, vcc_lo, v1, s30
	s_cselect_b32 s20, s51, 0x2480
	v_add_co_ci_u32_e32 v12, vcc_lo, s31, v3, vcc_lo
	s_ashr_i32 s21, s20, 31
	s_clause 0x3
	global_load_u16 v17, v[5:6], off
	global_load_u16 v18, v[7:8], off
	global_load_u16 v19, v[9:10], off
	global_load_u16 v20, v[11:12], off
	s_lshl_b64 s[20:21], s[20:21], 1
	s_cmpk_lt_i32 s50, 0x4b00
	v_add_co_u32 v5, vcc_lo, v1, s20
	s_cselect_b32 s26, s51, 0x2500
	v_add_co_ci_u32_e32 v6, vcc_lo, s21, v3, vcc_lo
	s_ashr_i32 s27, s26, 31
	s_delay_alu instid0(SALU_CYCLE_1)
	s_lshl_b64 s[26:27], s[26:27], 1
	s_cmpk_lt_i32 s50, 0x4c00
	v_add_co_u32 v7, vcc_lo, v1, s26
	s_cselect_b32 s28, s51, 0x2580
	v_add_co_ci_u32_e32 v8, vcc_lo, s27, v3, vcc_lo
	s_ashr_i32 s29, s28, 31
	global_load_u16 v21, v[5:6], off
	s_lshl_b64 s[34:35], s[28:29], 1
	s_cmpk_lt_i32 s50, 0x4d00
	v_add_co_u32 v9, vcc_lo, v1, s34
	s_cselect_b32 s28, s51, 0x2600
	v_add_co_ci_u32_e32 v10, vcc_lo, s35, v3, vcc_lo
	s_ashr_i32 s29, s28, 31
	s_delay_alu instid0(SALU_CYCLE_1)
	s_lshl_b64 s[38:39], s[28:29], 1
	s_cmpk_lt_i32 s50, 0x4e00
	v_add_co_u32 v11, vcc_lo, v1, s38
	s_cselect_b32 s28, s51, 0x2680
	v_add_co_ci_u32_e32 v12, vcc_lo, s39, v3, vcc_lo
	s_ashr_i32 s29, s28, 31
	s_clause 0x2
	global_load_u16 v22, v[7:8], off
	global_load_u16 v23, v[9:10], off
	;; [unrolled: 1-line block ×3, first 2 shown]
	s_lshl_b64 s[28:29], s[28:29], 1
	s_cmpk_lt_i32 s50, 0x4f00
	v_add_co_u32 v5, vcc_lo, v1, s28
	s_cselect_b32 s36, s51, 0x2700
	v_add_co_ci_u32_e32 v6, vcc_lo, s29, v3, vcc_lo
	s_ashr_i32 s37, s36, 31
	s_delay_alu instid0(SALU_CYCLE_1)
	s_lshl_b64 s[36:37], s[36:37], 1
	s_cmpk_lt_i32 s50, 0x5000
	v_add_co_u32 v7, vcc_lo, v1, s36
	s_cselect_b32 s40, s51, 0x2780
	v_add_co_ci_u32_e32 v8, vcc_lo, s37, v3, vcc_lo
	s_ashr_i32 s41, s40, 31
	global_load_u16 v25, v[5:6], off
	s_lshl_b64 s[40:41], s[40:41], 1
	global_load_u16 v26, v[7:8], off
	s_cmpk_lt_i32 s50, 0x5100
	v_add_co_u32 v9, vcc_lo, v1, s40
	s_cselect_b32 s42, s51, 0x2800
	v_add_co_ci_u32_e32 v10, vcc_lo, s41, v3, vcc_lo
	s_ashr_i32 s43, s42, 31
	s_delay_alu instid0(SALU_CYCLE_1)
	s_lshl_b64 s[42:43], s[42:43], 1
	global_load_u16 v27, v[9:10], off
	s_cmpk_lt_i32 s50, 0x5200
	v_add_co_u32 v5, vcc_lo, v1, s42
	s_cselect_b32 s44, s51, 0x2880
	v_add_co_ci_u32_e32 v6, vcc_lo, s43, v3, vcc_lo
	s_ashr_i32 s45, s44, 31
	s_delay_alu instid0(SALU_CYCLE_1)
	s_lshl_b64 s[44:45], s[44:45], 1
	s_cmpk_lt_i32 s50, 0x5300
	v_add_co_u32 v7, vcc_lo, v1, s44
	s_cselect_b32 s46, s51, 0x2900
	v_add_co_ci_u32_e32 v8, vcc_lo, s45, v3, vcc_lo
	s_ashr_i32 s47, s46, 31
	global_load_u16 v28, v[5:6], off
	s_lshl_b64 s[46:47], s[46:47], 1
	global_load_u16 v29, v[7:8], off
	s_cmpk_lt_i32 s50, 0x5400
	v_add_co_u32 v9, vcc_lo, v1, s46
	s_cselect_b32 s48, s51, 0x2980
	v_add_co_ci_u32_e32 v10, vcc_lo, s47, v3, vcc_lo
	s_ashr_i32 s49, s48, 31
	s_delay_alu instid0(SALU_CYCLE_1)
	s_lshl_b64 s[48:49], s[48:49], 1
	s_cmpk_lt_i32 s50, 0x5500
	v_add_co_u32 v5, vcc_lo, v1, s48
	s_cselect_b32 s4, s51, 0x2a00
	v_add_co_ci_u32_e32 v6, vcc_lo, s49, v3, vcc_lo
	s_ashr_i32 s5, s4, 31
	global_load_u16 v30, v[9:10], off
	s_lshl_b64 s[4:5], s[4:5], 1
	s_cmpk_lt_i32 s50, 0x5600
	v_add_co_u32 v7, vcc_lo, v1, s4
	s_cselect_b32 s8, s51, 0x2a80
	v_add_co_ci_u32_e32 v8, vcc_lo, s5, v3, vcc_lo
	s_ashr_i32 s9, s8, 31
	global_load_u16 v31, v[5:6], off
	s_lshl_b64 s[6:7], s[8:9], 1
	global_load_u16 v32, v[7:8], off
	s_cmpk_lt_i32 s50, 0x5700
	v_add_co_u32 v5, vcc_lo, v1, s6
	s_cselect_b32 s8, s51, 0x2b00
	v_add_co_ci_u32_e32 v6, vcc_lo, s7, v3, vcc_lo
	s_ashr_i32 s9, s8, 31
	s_delay_alu instid0(SALU_CYCLE_1)
	s_lshl_b64 s[8:9], s[8:9], 1
	s_cmpk_lt_i32 s50, 0x5800
	v_add_co_u32 v7, vcc_lo, v1, s8
	s_cselect_b32 s10, s51, 0x2b80
	v_add_co_ci_u32_e32 v8, vcc_lo, s9, v3, vcc_lo
	s_ashr_i32 s11, s10, 31
	global_load_u16 v33, v[5:6], off
	s_lshl_b64 s[10:11], s[10:11], 1
	global_load_u16 v34, v[7:8], off
	s_cmpk_lt_i32 s50, 0x5900
	v_add_co_u32 v5, vcc_lo, v1, s10
	s_cselect_b32 s18, s51, 0x2c00
	v_add_co_ci_u32_e32 v6, vcc_lo, s11, v3, vcc_lo
	s_ashr_i32 s19, s18, 31
	s_delay_alu instid0(SALU_CYCLE_1)
	;; [unrolled: 15-line block ×5, first 2 shown]
	s_lshl_b64 s[4:5], s[8:9], 1
	s_cmpk_lt_i32 s50, 0x6000
	v_add_co_u32 v7, vcc_lo, v1, s4
	s_cselect_b32 s6, s51, 0x2f80
	v_add_co_ci_u32_e32 v8, vcc_lo, s5, v3, vcc_lo
	s_ashr_i32 s7, s6, 31
	global_load_u16 v41, v[5:6], off
	s_lshl_b64 s[4:5], s[6:7], 1
	global_load_u16 v42, v[7:8], off
	v_add_co_u32 v5, vcc_lo, v1, s4
	v_add_co_ci_u32_e32 v6, vcc_lo, s5, v3, vcc_lo
	global_load_u16 v43, v[5:6], off
	ds_load_b128 v[5:8], v44 offset:256
	ds_load_b128 v[9:12], v44 offset:272
	s_waitcnt vmcnt(31)
	v_lshlrev_b32_e32 v2, 16, v2
	s_waitcnt lgkmcnt(1)
	s_delay_alu instid0(VALU_DEP_1) | instskip(SKIP_2) | instid1(VALU_DEP_1)
	v_fmac_f32_e32 v4, v5, v2
	s_waitcnt vmcnt(30)
	v_lshlrev_b32_e32 v2, 16, v13
	v_fmac_f32_e32 v4, v6, v2
	s_waitcnt vmcnt(29)
	v_lshlrev_b32_e32 v2, 16, v14
	s_delay_alu instid0(VALU_DEP_1) | instskip(SKIP_2) | instid1(VALU_DEP_1)
	v_fmac_f32_e32 v4, v7, v2
	s_waitcnt vmcnt(28)
	v_lshlrev_b32_e32 v2, 16, v15
	v_fmac_f32_e32 v4, v8, v2
	s_waitcnt vmcnt(27)
	v_lshlrev_b32_e32 v2, 16, v16
	ds_load_b128 v[5:8], v44 offset:288
	s_waitcnt lgkmcnt(1)
	v_fmac_f32_e32 v4, v9, v2
	s_waitcnt vmcnt(26)
	v_lshlrev_b32_e32 v2, 16, v17
	s_delay_alu instid0(VALU_DEP_1) | instskip(SKIP_2) | instid1(VALU_DEP_1)
	v_fmac_f32_e32 v4, v10, v2
	s_waitcnt vmcnt(25)
	v_lshlrev_b32_e32 v2, 16, v18
	v_fmac_f32_e32 v4, v11, v2
	s_waitcnt vmcnt(24)
	v_lshlrev_b32_e32 v2, 16, v19
	s_delay_alu instid0(VALU_DEP_1) | instskip(SKIP_4) | instid1(VALU_DEP_1)
	v_fmac_f32_e32 v4, v12, v2
	ds_load_b128 v[9:12], v44 offset:304
	s_waitcnt vmcnt(23)
	v_lshlrev_b32_e32 v2, 16, v20
	s_waitcnt lgkmcnt(1)
	v_fmac_f32_e32 v4, v5, v2
	s_waitcnt vmcnt(22)
	v_lshlrev_b32_e32 v2, 16, v21
	s_delay_alu instid0(VALU_DEP_1) | instskip(SKIP_2) | instid1(VALU_DEP_1)
	v_fmac_f32_e32 v4, v6, v2
	s_waitcnt vmcnt(21)
	v_lshlrev_b32_e32 v2, 16, v22
	v_fmac_f32_e32 v4, v7, v2
	s_waitcnt vmcnt(20)
	v_lshlrev_b32_e32 v2, 16, v23
	s_delay_alu instid0(VALU_DEP_1)
	v_fmac_f32_e32 v4, v8, v2
	s_waitcnt vmcnt(19)
	v_lshlrev_b32_e32 v2, 16, v24
	ds_load_b128 v[5:8], v44 offset:320
	s_waitcnt lgkmcnt(1)
	v_fmac_f32_e32 v4, v9, v2
	s_waitcnt vmcnt(18)
	v_lshlrev_b32_e32 v2, 16, v25
	s_delay_alu instid0(VALU_DEP_1) | instskip(SKIP_2) | instid1(VALU_DEP_1)
	v_fmac_f32_e32 v4, v10, v2
	s_waitcnt vmcnt(17)
	v_lshlrev_b32_e32 v2, 16, v26
	v_fmac_f32_e32 v4, v11, v2
	s_waitcnt vmcnt(16)
	v_lshlrev_b32_e32 v2, 16, v27
	s_delay_alu instid0(VALU_DEP_1) | instskip(SKIP_4) | instid1(VALU_DEP_1)
	v_fmac_f32_e32 v4, v12, v2
	ds_load_b128 v[9:12], v44 offset:336
	s_waitcnt vmcnt(15)
	v_lshlrev_b32_e32 v2, 16, v28
	s_waitcnt lgkmcnt(1)
	v_fmac_f32_e32 v4, v5, v2
	s_waitcnt vmcnt(14)
	v_lshlrev_b32_e32 v2, 16, v29
	s_delay_alu instid0(VALU_DEP_1) | instskip(SKIP_2) | instid1(VALU_DEP_1)
	v_fmac_f32_e32 v4, v6, v2
	s_waitcnt vmcnt(13)
	v_lshlrev_b32_e32 v2, 16, v30
	v_fmac_f32_e32 v4, v7, v2
	s_waitcnt vmcnt(12)
	v_lshlrev_b32_e32 v2, 16, v31
	s_delay_alu instid0(VALU_DEP_1)
	v_fmac_f32_e32 v4, v8, v2
	s_waitcnt vmcnt(11)
	v_lshlrev_b32_e32 v2, 16, v32
	ds_load_b128 v[5:8], v44 offset:352
	s_waitcnt lgkmcnt(1)
	v_fmac_f32_e32 v4, v9, v2
	s_waitcnt vmcnt(10)
	v_lshlrev_b32_e32 v2, 16, v33
	s_delay_alu instid0(VALU_DEP_1) | instskip(SKIP_2) | instid1(VALU_DEP_1)
	v_fmac_f32_e32 v4, v10, v2
	s_waitcnt vmcnt(9)
	v_lshlrev_b32_e32 v2, 16, v34
	v_fmac_f32_e32 v4, v11, v2
	s_waitcnt vmcnt(8)
	v_lshlrev_b32_e32 v2, 16, v35
	s_delay_alu instid0(VALU_DEP_1) | instskip(SKIP_4) | instid1(VALU_DEP_1)
	v_fmac_f32_e32 v4, v12, v2
	ds_load_b128 v[9:12], v44 offset:368
	s_waitcnt vmcnt(7)
	v_lshlrev_b32_e32 v2, 16, v36
	s_waitcnt lgkmcnt(1)
	v_fmac_f32_e32 v4, v5, v2
	s_waitcnt vmcnt(6)
	v_lshlrev_b32_e32 v2, 16, v37
	s_delay_alu instid0(VALU_DEP_1) | instskip(SKIP_2) | instid1(VALU_DEP_1)
	v_fmac_f32_e32 v4, v6, v2
	s_waitcnt vmcnt(5)
	v_lshlrev_b32_e32 v2, 16, v38
	v_fmac_f32_e32 v4, v7, v2
	s_waitcnt vmcnt(4)
	v_lshlrev_b32_e32 v2, 16, v39
	s_delay_alu instid0(VALU_DEP_1) | instskip(SKIP_3) | instid1(VALU_DEP_1)
	v_fmac_f32_e32 v4, v8, v2
	s_waitcnt vmcnt(3)
	v_lshlrev_b32_e32 v2, 16, v40
	s_waitcnt lgkmcnt(0)
	v_fmac_f32_e32 v4, v9, v2
	s_waitcnt vmcnt(2)
	v_lshlrev_b32_e32 v2, 16, v41
	s_delay_alu instid0(VALU_DEP_1) | instskip(SKIP_2) | instid1(VALU_DEP_1)
	v_fmac_f32_e32 v4, v10, v2
	s_waitcnt vmcnt(1)
	v_lshlrev_b32_e32 v2, 16, v42
	v_fmac_f32_e32 v4, v11, v2
	s_waitcnt vmcnt(0)
	v_lshlrev_b32_e32 v2, 16, v43
	s_delay_alu instid0(VALU_DEP_1)
	v_fmac_f32_e32 v4, v12, v2
	s_cmpk_lt_i32 s50, 0x6100
	s_cbranch_scc1 .LBB654_15
.LBB654_27:
	s_cmpk_lt_i32 s50, 0x6200
	v_add_co_u32 v5, vcc_lo, 0x6000, v1
	s_cselect_b32 s4, s51, 0x3080
	v_add_co_ci_u32_e32 v6, vcc_lo, 0, v3, vcc_lo
	s_ashr_i32 s5, s4, 31
	v_mov_b32_e32 v44, 0
	s_lshl_b64 s[4:5], s[4:5], 1
	s_cmpk_lt_i32 s50, 0x6300
	global_load_u16 v2, v[5:6], off
	s_cselect_b32 s6, s51, 0x3100
	v_add_co_u32 v5, vcc_lo, v1, s4
	s_ashr_i32 s7, s6, 31
	v_add_co_ci_u32_e32 v6, vcc_lo, s5, v3, vcc_lo
	s_lshl_b64 s[8:9], s[6:7], 1
	s_cmpk_lt_i32 s50, 0x6400
	v_add_co_u32 v7, vcc_lo, v1, s8
	s_cselect_b32 s6, s51, 0x3180
	v_add_co_ci_u32_e32 v8, vcc_lo, s9, v3, vcc_lo
	s_ashr_i32 s7, s6, 31
	s_delay_alu instid0(SALU_CYCLE_1)
	s_lshl_b64 s[18:19], s[6:7], 1
	s_cmpk_lt_i32 s50, 0x6500
	v_add_co_u32 v9, vcc_lo, v1, s18
	s_cselect_b32 s6, s51, 0x3200
	v_add_co_ci_u32_e32 v10, vcc_lo, s19, v3, vcc_lo
	s_ashr_i32 s7, s6, 31
	s_delay_alu instid0(SALU_CYCLE_1)
	s_lshl_b64 s[24:25], s[6:7], 1
	s_cmpk_lt_i32 s50, 0x6600
	v_add_co_u32 v11, vcc_lo, v1, s24
	s_cselect_b32 s6, s51, 0x3280
	v_add_co_ci_u32_e32 v12, vcc_lo, s25, v3, vcc_lo
	s_ashr_i32 s7, s6, 31
	s_clause 0x3
	global_load_u16 v13, v[5:6], off
	global_load_u16 v14, v[7:8], off
	;; [unrolled: 1-line block ×4, first 2 shown]
	s_lshl_b64 s[6:7], s[6:7], 1
	s_cmpk_lt_i32 s50, 0x6700
	v_add_co_u32 v5, vcc_lo, v1, s6
	s_cselect_b32 s10, s51, 0x3300
	v_add_co_ci_u32_e32 v6, vcc_lo, s7, v3, vcc_lo
	s_ashr_i32 s11, s10, 31
	s_delay_alu instid0(SALU_CYCLE_1)
	s_lshl_b64 s[10:11], s[10:11], 1
	s_cmpk_lt_i32 s50, 0x6800
	v_add_co_u32 v7, vcc_lo, v1, s10
	s_cselect_b32 s20, s51, 0x3380
	v_add_co_ci_u32_e32 v8, vcc_lo, s11, v3, vcc_lo
	s_ashr_i32 s21, s20, 31
	s_delay_alu instid0(SALU_CYCLE_1)
	;; [unrolled: 7-line block ×3, first 2 shown]
	s_lshl_b64 s[30:31], s[20:21], 1
	s_cmpk_lt_i32 s50, 0x6a00
	v_add_co_u32 v11, vcc_lo, v1, s30
	s_cselect_b32 s20, s51, 0x3480
	v_add_co_ci_u32_e32 v12, vcc_lo, s31, v3, vcc_lo
	s_ashr_i32 s21, s20, 31
	s_clause 0x3
	global_load_u16 v17, v[5:6], off
	global_load_u16 v18, v[7:8], off
	;; [unrolled: 1-line block ×4, first 2 shown]
	s_lshl_b64 s[20:21], s[20:21], 1
	s_cmpk_lt_i32 s50, 0x6b00
	v_add_co_u32 v5, vcc_lo, v1, s20
	s_cselect_b32 s26, s51, 0x3500
	v_add_co_ci_u32_e32 v6, vcc_lo, s21, v3, vcc_lo
	s_ashr_i32 s27, s26, 31
	s_delay_alu instid0(SALU_CYCLE_1)
	s_lshl_b64 s[26:27], s[26:27], 1
	s_cmpk_lt_i32 s50, 0x6c00
	v_add_co_u32 v7, vcc_lo, v1, s26
	s_cselect_b32 s28, s51, 0x3580
	v_add_co_ci_u32_e32 v8, vcc_lo, s27, v3, vcc_lo
	s_ashr_i32 s29, s28, 31
	global_load_u16 v21, v[5:6], off
	s_lshl_b64 s[34:35], s[28:29], 1
	s_cmpk_lt_i32 s50, 0x6d00
	v_add_co_u32 v9, vcc_lo, v1, s34
	s_cselect_b32 s28, s51, 0x3600
	v_add_co_ci_u32_e32 v10, vcc_lo, s35, v3, vcc_lo
	s_ashr_i32 s29, s28, 31
	s_delay_alu instid0(SALU_CYCLE_1)
	s_lshl_b64 s[38:39], s[28:29], 1
	s_cmpk_lt_i32 s50, 0x6e00
	v_add_co_u32 v11, vcc_lo, v1, s38
	s_cselect_b32 s28, s51, 0x3680
	v_add_co_ci_u32_e32 v12, vcc_lo, s39, v3, vcc_lo
	s_ashr_i32 s29, s28, 31
	s_clause 0x2
	global_load_u16 v22, v[7:8], off
	global_load_u16 v23, v[9:10], off
	;; [unrolled: 1-line block ×3, first 2 shown]
	s_lshl_b64 s[28:29], s[28:29], 1
	s_cmpk_lt_i32 s50, 0x6f00
	v_add_co_u32 v5, vcc_lo, v1, s28
	s_cselect_b32 s36, s51, 0x3700
	v_add_co_ci_u32_e32 v6, vcc_lo, s29, v3, vcc_lo
	s_ashr_i32 s37, s36, 31
	s_delay_alu instid0(SALU_CYCLE_1)
	s_lshl_b64 s[36:37], s[36:37], 1
	s_cmpk_lt_i32 s50, 0x7000
	v_add_co_u32 v7, vcc_lo, v1, s36
	s_cselect_b32 s40, s51, 0x3780
	v_add_co_ci_u32_e32 v8, vcc_lo, s37, v3, vcc_lo
	s_ashr_i32 s41, s40, 31
	global_load_u16 v25, v[5:6], off
	s_lshl_b64 s[40:41], s[40:41], 1
	global_load_u16 v26, v[7:8], off
	s_cmpk_lt_i32 s50, 0x7100
	v_add_co_u32 v9, vcc_lo, v1, s40
	s_cselect_b32 s42, s51, 0x3800
	v_add_co_ci_u32_e32 v10, vcc_lo, s41, v3, vcc_lo
	s_ashr_i32 s43, s42, 31
	s_delay_alu instid0(SALU_CYCLE_1)
	s_lshl_b64 s[42:43], s[42:43], 1
	global_load_u16 v27, v[9:10], off
	s_cmpk_lt_i32 s50, 0x7200
	v_add_co_u32 v5, vcc_lo, v1, s42
	s_cselect_b32 s44, s51, 0x3880
	v_add_co_ci_u32_e32 v6, vcc_lo, s43, v3, vcc_lo
	s_ashr_i32 s45, s44, 31
	s_delay_alu instid0(SALU_CYCLE_1)
	s_lshl_b64 s[44:45], s[44:45], 1
	s_cmpk_lt_i32 s50, 0x7300
	v_add_co_u32 v7, vcc_lo, v1, s44
	s_cselect_b32 s46, s51, 0x3900
	v_add_co_ci_u32_e32 v8, vcc_lo, s45, v3, vcc_lo
	s_ashr_i32 s47, s46, 31
	global_load_u16 v28, v[5:6], off
	s_lshl_b64 s[46:47], s[46:47], 1
	global_load_u16 v29, v[7:8], off
	s_cmpk_lt_i32 s50, 0x7400
	v_add_co_u32 v9, vcc_lo, v1, s46
	s_cselect_b32 s48, s51, 0x3980
	v_add_co_ci_u32_e32 v10, vcc_lo, s47, v3, vcc_lo
	s_ashr_i32 s49, s48, 31
	s_delay_alu instid0(SALU_CYCLE_1)
	s_lshl_b64 s[48:49], s[48:49], 1
	s_cmpk_lt_i32 s50, 0x7500
	v_add_co_u32 v5, vcc_lo, v1, s48
	s_cselect_b32 s4, s51, 0x3a00
	v_add_co_ci_u32_e32 v6, vcc_lo, s49, v3, vcc_lo
	s_ashr_i32 s5, s4, 31
	global_load_u16 v30, v[9:10], off
	s_lshl_b64 s[4:5], s[4:5], 1
	s_cmpk_lt_i32 s50, 0x7600
	v_add_co_u32 v7, vcc_lo, v1, s4
	s_cselect_b32 s8, s51, 0x3a80
	v_add_co_ci_u32_e32 v8, vcc_lo, s5, v3, vcc_lo
	s_ashr_i32 s9, s8, 31
	global_load_u16 v31, v[5:6], off
	s_lshl_b64 s[6:7], s[8:9], 1
	global_load_u16 v32, v[7:8], off
	s_cmpk_lt_i32 s50, 0x7700
	v_add_co_u32 v5, vcc_lo, v1, s6
	s_cselect_b32 s8, s51, 0x3b00
	v_add_co_ci_u32_e32 v6, vcc_lo, s7, v3, vcc_lo
	s_ashr_i32 s9, s8, 31
	s_delay_alu instid0(SALU_CYCLE_1)
	s_lshl_b64 s[8:9], s[8:9], 1
	s_cmpk_lt_i32 s50, 0x7800
	v_add_co_u32 v7, vcc_lo, v1, s8
	s_cselect_b32 s10, s51, 0x3b80
	v_add_co_ci_u32_e32 v8, vcc_lo, s9, v3, vcc_lo
	s_ashr_i32 s11, s10, 31
	global_load_u16 v33, v[5:6], off
	s_lshl_b64 s[10:11], s[10:11], 1
	global_load_u16 v34, v[7:8], off
	s_cmpk_lt_i32 s50, 0x7900
	v_add_co_u32 v5, vcc_lo, v1, s10
	s_cselect_b32 s18, s51, 0x3c00
	v_add_co_ci_u32_e32 v6, vcc_lo, s11, v3, vcc_lo
	s_ashr_i32 s19, s18, 31
	s_delay_alu instid0(SALU_CYCLE_1)
	;; [unrolled: 15-line block ×5, first 2 shown]
	s_lshl_b64 s[4:5], s[8:9], 1
	s_cmp_lt_i32 s50, 0x8000
	v_add_co_u32 v7, vcc_lo, v1, s4
	s_cselect_b32 s6, s51, 0x3f80
	v_add_co_ci_u32_e32 v8, vcc_lo, s5, v3, vcc_lo
	s_ashr_i32 s7, s6, 31
	global_load_u16 v41, v[5:6], off
	s_lshl_b64 s[4:5], s[6:7], 1
	global_load_u16 v42, v[7:8], off
	v_add_co_u32 v5, vcc_lo, v1, s4
	v_add_co_ci_u32_e32 v6, vcc_lo, s5, v3, vcc_lo
	global_load_u16 v43, v[5:6], off
	ds_load_b128 v[5:8], v44 offset:384
	ds_load_b128 v[9:12], v44 offset:400
	s_waitcnt vmcnt(31)
	v_lshlrev_b32_e32 v2, 16, v2
	s_waitcnt lgkmcnt(1)
	s_delay_alu instid0(VALU_DEP_1) | instskip(SKIP_2) | instid1(VALU_DEP_1)
	v_fmac_f32_e32 v4, v5, v2
	s_waitcnt vmcnt(30)
	v_lshlrev_b32_e32 v2, 16, v13
	v_fmac_f32_e32 v4, v6, v2
	s_waitcnt vmcnt(29)
	v_lshlrev_b32_e32 v2, 16, v14
	s_delay_alu instid0(VALU_DEP_1) | instskip(SKIP_2) | instid1(VALU_DEP_1)
	v_fmac_f32_e32 v4, v7, v2
	s_waitcnt vmcnt(28)
	v_lshlrev_b32_e32 v2, 16, v15
	v_fmac_f32_e32 v4, v8, v2
	s_waitcnt vmcnt(27)
	v_lshlrev_b32_e32 v2, 16, v16
	ds_load_b128 v[5:8], v44 offset:416
	s_waitcnt lgkmcnt(1)
	v_fmac_f32_e32 v4, v9, v2
	s_waitcnt vmcnt(26)
	v_lshlrev_b32_e32 v2, 16, v17
	s_delay_alu instid0(VALU_DEP_1) | instskip(SKIP_2) | instid1(VALU_DEP_1)
	v_fmac_f32_e32 v4, v10, v2
	s_waitcnt vmcnt(25)
	v_lshlrev_b32_e32 v2, 16, v18
	v_fmac_f32_e32 v4, v11, v2
	s_waitcnt vmcnt(24)
	v_lshlrev_b32_e32 v2, 16, v19
	s_delay_alu instid0(VALU_DEP_1) | instskip(SKIP_4) | instid1(VALU_DEP_1)
	v_fmac_f32_e32 v4, v12, v2
	ds_load_b128 v[9:12], v44 offset:432
	s_waitcnt vmcnt(23)
	v_lshlrev_b32_e32 v2, 16, v20
	s_waitcnt lgkmcnt(1)
	v_fmac_f32_e32 v4, v5, v2
	s_waitcnt vmcnt(22)
	v_lshlrev_b32_e32 v2, 16, v21
	s_delay_alu instid0(VALU_DEP_1) | instskip(SKIP_2) | instid1(VALU_DEP_1)
	v_fmac_f32_e32 v4, v6, v2
	s_waitcnt vmcnt(21)
	v_lshlrev_b32_e32 v2, 16, v22
	v_fmac_f32_e32 v4, v7, v2
	s_waitcnt vmcnt(20)
	v_lshlrev_b32_e32 v2, 16, v23
	s_delay_alu instid0(VALU_DEP_1)
	v_fmac_f32_e32 v4, v8, v2
	s_waitcnt vmcnt(19)
	v_lshlrev_b32_e32 v2, 16, v24
	ds_load_b128 v[5:8], v44 offset:448
	s_waitcnt lgkmcnt(1)
	v_fmac_f32_e32 v4, v9, v2
	s_waitcnt vmcnt(18)
	v_lshlrev_b32_e32 v2, 16, v25
	s_delay_alu instid0(VALU_DEP_1) | instskip(SKIP_2) | instid1(VALU_DEP_1)
	v_fmac_f32_e32 v4, v10, v2
	s_waitcnt vmcnt(17)
	v_lshlrev_b32_e32 v2, 16, v26
	v_fmac_f32_e32 v4, v11, v2
	s_waitcnt vmcnt(16)
	v_lshlrev_b32_e32 v2, 16, v27
	s_delay_alu instid0(VALU_DEP_1) | instskip(SKIP_4) | instid1(VALU_DEP_1)
	v_fmac_f32_e32 v4, v12, v2
	ds_load_b128 v[9:12], v44 offset:464
	s_waitcnt vmcnt(15)
	v_lshlrev_b32_e32 v2, 16, v28
	s_waitcnt lgkmcnt(1)
	v_fmac_f32_e32 v4, v5, v2
	s_waitcnt vmcnt(14)
	v_lshlrev_b32_e32 v2, 16, v29
	s_delay_alu instid0(VALU_DEP_1) | instskip(SKIP_2) | instid1(VALU_DEP_1)
	v_fmac_f32_e32 v4, v6, v2
	s_waitcnt vmcnt(13)
	v_lshlrev_b32_e32 v2, 16, v30
	v_fmac_f32_e32 v4, v7, v2
	s_waitcnt vmcnt(12)
	v_lshlrev_b32_e32 v2, 16, v31
	s_delay_alu instid0(VALU_DEP_1)
	v_fmac_f32_e32 v4, v8, v2
	s_waitcnt vmcnt(11)
	v_lshlrev_b32_e32 v2, 16, v32
	ds_load_b128 v[5:8], v44 offset:480
	s_waitcnt lgkmcnt(1)
	v_fmac_f32_e32 v4, v9, v2
	s_waitcnt vmcnt(10)
	v_lshlrev_b32_e32 v2, 16, v33
	s_delay_alu instid0(VALU_DEP_1) | instskip(SKIP_2) | instid1(VALU_DEP_1)
	v_fmac_f32_e32 v4, v10, v2
	s_waitcnt vmcnt(9)
	v_lshlrev_b32_e32 v2, 16, v34
	v_fmac_f32_e32 v4, v11, v2
	s_waitcnt vmcnt(8)
	v_lshlrev_b32_e32 v2, 16, v35
	s_delay_alu instid0(VALU_DEP_1) | instskip(SKIP_4) | instid1(VALU_DEP_1)
	v_fmac_f32_e32 v4, v12, v2
	ds_load_b128 v[9:12], v44 offset:496
	s_waitcnt vmcnt(7)
	v_lshlrev_b32_e32 v2, 16, v36
	s_waitcnt lgkmcnt(1)
	v_fmac_f32_e32 v4, v5, v2
	s_waitcnt vmcnt(6)
	v_lshlrev_b32_e32 v2, 16, v37
	s_delay_alu instid0(VALU_DEP_1) | instskip(SKIP_2) | instid1(VALU_DEP_1)
	v_fmac_f32_e32 v4, v6, v2
	s_waitcnt vmcnt(5)
	v_lshlrev_b32_e32 v2, 16, v38
	v_fmac_f32_e32 v4, v7, v2
	s_waitcnt vmcnt(4)
	v_lshlrev_b32_e32 v2, 16, v39
	s_delay_alu instid0(VALU_DEP_1) | instskip(SKIP_3) | instid1(VALU_DEP_1)
	v_fmac_f32_e32 v4, v8, v2
	s_waitcnt vmcnt(3)
	v_lshlrev_b32_e32 v2, 16, v40
	s_waitcnt lgkmcnt(0)
	v_fmac_f32_e32 v4, v9, v2
	s_waitcnt vmcnt(2)
	v_lshlrev_b32_e32 v2, 16, v41
	s_delay_alu instid0(VALU_DEP_1) | instskip(SKIP_2) | instid1(VALU_DEP_1)
	v_fmac_f32_e32 v4, v10, v2
	s_waitcnt vmcnt(1)
	v_lshlrev_b32_e32 v2, 16, v42
	v_fmac_f32_e32 v4, v11, v2
	s_waitcnt vmcnt(0)
	v_lshlrev_b32_e32 v2, 16, v43
	s_delay_alu instid0(VALU_DEP_1)
	v_fmac_f32_e32 v4, v12, v2
	s_cmp_lt_i32 s50, 0x8100
	s_cbranch_scc1 .LBB654_16
.LBB654_28:
	s_cmp_lt_i32 s50, 0x8200
	v_add_co_u32 v5, vcc_lo, 0x8000, v1
	s_cselect_b32 s4, s51, 0x4080
	v_add_co_ci_u32_e32 v6, vcc_lo, 0, v3, vcc_lo
	s_ashr_i32 s5, s4, 31
	s_delay_alu instid0(SALU_CYCLE_1)
	s_lshl_b64 s[4:5], s[4:5], 1
	s_cmp_lt_i32 s50, 0x8300
	global_load_u16 v13, v[5:6], off
	s_cselect_b32 s6, s51, 0x4100
	v_add_co_u32 v5, vcc_lo, v1, s4
	s_ashr_i32 s7, s6, 31
	v_add_co_ci_u32_e32 v6, vcc_lo, s5, v3, vcc_lo
	s_lshl_b64 s[8:9], s[6:7], 1
	s_cmp_lt_i32 s50, 0x8400
	v_add_co_u32 v7, vcc_lo, v1, s8
	s_cselect_b32 s6, s51, 0x4180
	v_add_co_ci_u32_e32 v8, vcc_lo, s9, v3, vcc_lo
	s_ashr_i32 s7, s6, 31
	s_delay_alu instid0(SALU_CYCLE_1)
	s_lshl_b64 s[18:19], s[6:7], 1
	s_cmp_lt_i32 s50, 0x8500
	v_add_co_u32 v9, vcc_lo, v1, s18
	s_cselect_b32 s6, s51, 0x4200
	v_add_co_ci_u32_e32 v10, vcc_lo, s19, v3, vcc_lo
	s_ashr_i32 s7, s6, 31
	s_delay_alu instid0(SALU_CYCLE_1)
	s_lshl_b64 s[24:25], s[6:7], 1
	s_cmp_lt_i32 s50, 0x8600
	v_add_co_u32 v11, vcc_lo, v1, s24
	s_cselect_b32 s6, s51, 0x4280
	v_add_co_ci_u32_e32 v12, vcc_lo, s25, v3, vcc_lo
	s_ashr_i32 s7, s6, 31
	s_clause 0x3
	global_load_u16 v14, v[5:6], off
	global_load_u16 v15, v[7:8], off
	;; [unrolled: 1-line block ×4, first 2 shown]
	s_lshl_b64 s[6:7], s[6:7], 1
	s_cmp_lt_i32 s50, 0x8700
	v_add_co_u32 v5, vcc_lo, v1, s6
	s_cselect_b32 s10, s51, 0x4300
	v_add_co_ci_u32_e32 v6, vcc_lo, s7, v3, vcc_lo
	s_ashr_i32 s11, s10, 31
	s_delay_alu instid0(SALU_CYCLE_1)
	s_lshl_b64 s[10:11], s[10:11], 1
	s_cmp_lt_i32 s50, 0x8800
	v_add_co_u32 v7, vcc_lo, v1, s10
	s_cselect_b32 s20, s51, 0x4380
	v_add_co_ci_u32_e32 v8, vcc_lo, s11, v3, vcc_lo
	s_ashr_i32 s21, s20, 31
	s_delay_alu instid0(SALU_CYCLE_1)
	;; [unrolled: 7-line block ×3, first 2 shown]
	s_lshl_b64 s[30:31], s[20:21], 1
	s_cmp_lt_i32 s50, 0x8a00
	v_add_co_u32 v11, vcc_lo, v1, s30
	s_cselect_b32 s20, s51, 0x4480
	v_add_co_ci_u32_e32 v12, vcc_lo, s31, v3, vcc_lo
	s_ashr_i32 s21, s20, 31
	s_clause 0x3
	global_load_u16 v18, v[5:6], off
	global_load_u16 v19, v[7:8], off
	;; [unrolled: 1-line block ×4, first 2 shown]
	s_lshl_b64 s[20:21], s[20:21], 1
	s_cmp_lt_i32 s50, 0x8b00
	v_add_co_u32 v5, vcc_lo, v1, s20
	s_cselect_b32 s26, s51, 0x4500
	v_add_co_ci_u32_e32 v6, vcc_lo, s21, v3, vcc_lo
	s_ashr_i32 s27, s26, 31
	s_delay_alu instid0(SALU_CYCLE_1)
	s_lshl_b64 s[26:27], s[26:27], 1
	s_cmp_lt_i32 s50, 0x8c00
	v_add_co_u32 v7, vcc_lo, v1, s26
	s_cselect_b32 s28, s51, 0x4580
	v_add_co_ci_u32_e32 v8, vcc_lo, s27, v3, vcc_lo
	s_ashr_i32 s29, s28, 31
	global_load_u16 v22, v[5:6], off
	s_lshl_b64 s[34:35], s[28:29], 1
	s_cmp_lt_i32 s50, 0x8d00
	v_add_co_u32 v9, vcc_lo, v1, s34
	s_cselect_b32 s28, s51, 0x4600
	v_add_co_ci_u32_e32 v10, vcc_lo, s35, v3, vcc_lo
	s_ashr_i32 s29, s28, 31
	s_delay_alu instid0(SALU_CYCLE_1)
	s_lshl_b64 s[38:39], s[28:29], 1
	s_cmp_lt_i32 s50, 0x8e00
	v_add_co_u32 v11, vcc_lo, v1, s38
	s_cselect_b32 s28, s51, 0x4680
	v_add_co_ci_u32_e32 v12, vcc_lo, s39, v3, vcc_lo
	s_ashr_i32 s29, s28, 31
	s_clause 0x2
	global_load_u16 v23, v[7:8], off
	global_load_u16 v24, v[9:10], off
	;; [unrolled: 1-line block ×3, first 2 shown]
	s_lshl_b64 s[28:29], s[28:29], 1
	s_cmp_lt_i32 s50, 0x8f00
	v_add_co_u32 v5, vcc_lo, v1, s28
	s_cselect_b32 s36, s51, 0x4700
	v_add_co_ci_u32_e32 v6, vcc_lo, s29, v3, vcc_lo
	s_ashr_i32 s37, s36, 31
	s_delay_alu instid0(SALU_CYCLE_1)
	s_lshl_b64 s[36:37], s[36:37], 1
	s_cmp_lt_i32 s50, 0x9000
	v_add_co_u32 v7, vcc_lo, v1, s36
	s_cselect_b32 s40, s51, 0x4780
	v_add_co_ci_u32_e32 v8, vcc_lo, s37, v3, vcc_lo
	s_ashr_i32 s41, s40, 31
	global_load_u16 v26, v[5:6], off
	s_lshl_b64 s[40:41], s[40:41], 1
	global_load_u16 v27, v[7:8], off
	s_cmp_lt_i32 s50, 0x9100
	v_add_co_u32 v9, vcc_lo, v1, s40
	s_cselect_b32 s42, s51, 0x4800
	v_add_co_ci_u32_e32 v10, vcc_lo, s41, v3, vcc_lo
	s_ashr_i32 s43, s42, 31
	s_delay_alu instid0(SALU_CYCLE_1)
	s_lshl_b64 s[42:43], s[42:43], 1
	global_load_u16 v28, v[9:10], off
	s_cmp_lt_i32 s50, 0x9200
	v_add_co_u32 v5, vcc_lo, v1, s42
	s_cselect_b32 s44, s51, 0x4880
	v_add_co_ci_u32_e32 v6, vcc_lo, s43, v3, vcc_lo
	s_ashr_i32 s45, s44, 31
	s_delay_alu instid0(SALU_CYCLE_1)
	s_lshl_b64 s[44:45], s[44:45], 1
	s_cmp_lt_i32 s50, 0x9300
	v_add_co_u32 v7, vcc_lo, v1, s44
	s_cselect_b32 s46, s51, 0x4900
	v_add_co_ci_u32_e32 v8, vcc_lo, s45, v3, vcc_lo
	s_ashr_i32 s47, s46, 31
	global_load_u16 v29, v[5:6], off
	s_lshl_b64 s[46:47], s[46:47], 1
	global_load_u16 v30, v[7:8], off
	s_cmp_lt_i32 s50, 0x9400
	v_add_co_u32 v9, vcc_lo, v1, s46
	s_cselect_b32 s48, s51, 0x4980
	v_add_co_ci_u32_e32 v10, vcc_lo, s47, v3, vcc_lo
	s_ashr_i32 s49, s48, 31
	s_delay_alu instid0(SALU_CYCLE_1)
	s_lshl_b64 s[48:49], s[48:49], 1
	global_load_u16 v31, v[9:10], off
	s_cmp_lt_i32 s50, 0x9500
	v_add_co_u32 v5, vcc_lo, v1, s48
	s_cselect_b32 s4, s51, 0x4a00
	v_add_co_ci_u32_e32 v6, vcc_lo, s49, v3, vcc_lo
	s_ashr_i32 s5, s4, 31
	s_delay_alu instid0(SALU_CYCLE_1)
	s_lshl_b64 s[4:5], s[4:5], 1
	s_cmp_lt_i32 s50, 0x9600
	v_add_co_u32 v7, vcc_lo, v1, s4
	s_cselect_b32 s8, s51, 0x4a80
	v_add_co_ci_u32_e32 v8, vcc_lo, s5, v3, vcc_lo
	s_ashr_i32 s9, s8, 31
	global_load_u16 v32, v[5:6], off
	s_lshl_b64 s[6:7], s[8:9], 1
	global_load_u16 v33, v[7:8], off
	s_cmp_lt_i32 s50, 0x9700
	v_add_co_u32 v5, vcc_lo, v1, s6
	s_cselect_b32 s8, s51, 0x4b00
	v_add_co_ci_u32_e32 v6, vcc_lo, s7, v3, vcc_lo
	s_ashr_i32 s9, s8, 31
	s_delay_alu instid0(SALU_CYCLE_1)
	s_lshl_b64 s[8:9], s[8:9], 1
	s_cmp_lt_i32 s50, 0x9800
	v_add_co_u32 v7, vcc_lo, v1, s8
	s_cselect_b32 s10, s51, 0x4b80
	v_add_co_ci_u32_e32 v8, vcc_lo, s9, v3, vcc_lo
	s_ashr_i32 s11, s10, 31
	global_load_u16 v34, v[5:6], off
	;; [unrolled: 15-line block ×6, first 2 shown]
	s_lshl_b64 s[4:5], s[6:7], 1
	global_load_u16 v43, v[7:8], off
	v_add_co_u32 v1, vcc_lo, v1, s4
	v_add_co_ci_u32_e32 v2, vcc_lo, s5, v3, vcc_lo
	global_load_u16 v1, v[1:2], off
	s_waitcnt vmcnt(31)
	v_dual_mov_b32 v2, 0 :: v_dual_lshlrev_b32 v3, 16, v13
	ds_load_b128 v[5:8], v2 offset:512
	ds_load_b128 v[9:12], v2 offset:528
	s_waitcnt vmcnt(30) lgkmcnt(1)
	v_dual_fmac_f32 v4, v5, v3 :: v_dual_lshlrev_b32 v3, 16, v14
	s_delay_alu instid0(VALU_DEP_1) | instskip(SKIP_3) | instid1(VALU_DEP_1)
	v_fmac_f32_e32 v4, v6, v3
	s_waitcnt vmcnt(29)
	v_lshlrev_b32_e32 v3, 16, v15
	s_waitcnt vmcnt(28)
	v_dual_fmac_f32 v4, v7, v3 :: v_dual_lshlrev_b32 v3, 16, v16
	s_waitcnt vmcnt(27)
	s_delay_alu instid0(VALU_DEP_1) | instskip(SKIP_3) | instid1(VALU_DEP_1)
	v_dual_fmac_f32 v4, v8, v3 :: v_dual_lshlrev_b32 v3, 16, v17
	ds_load_b128 v[5:8], v2 offset:544
	s_waitcnt vmcnt(26) lgkmcnt(1)
	v_dual_fmac_f32 v4, v9, v3 :: v_dual_lshlrev_b32 v3, 16, v18
	v_fmac_f32_e32 v4, v10, v3
	s_waitcnt vmcnt(25)
	v_lshlrev_b32_e32 v3, 16, v19
	s_waitcnt vmcnt(24)
	s_delay_alu instid0(VALU_DEP_1) | instskip(SKIP_1) | instid1(VALU_DEP_1)
	v_dual_fmac_f32 v4, v11, v3 :: v_dual_lshlrev_b32 v3, 16, v20
	s_waitcnt vmcnt(23)
	v_dual_fmac_f32 v4, v12, v3 :: v_dual_lshlrev_b32 v3, 16, v21
	ds_load_b128 v[9:12], v2 offset:560
	s_waitcnt vmcnt(22) lgkmcnt(1)
	v_dual_fmac_f32 v4, v5, v3 :: v_dual_lshlrev_b32 v3, 16, v22
	s_delay_alu instid0(VALU_DEP_1) | instskip(SKIP_3) | instid1(VALU_DEP_1)
	v_fmac_f32_e32 v4, v6, v3
	s_waitcnt vmcnt(21)
	v_lshlrev_b32_e32 v3, 16, v23
	s_waitcnt vmcnt(20)
	v_dual_fmac_f32 v4, v7, v3 :: v_dual_lshlrev_b32 v3, 16, v24
	s_waitcnt vmcnt(19)
	s_delay_alu instid0(VALU_DEP_1) | instskip(SKIP_3) | instid1(VALU_DEP_1)
	v_dual_fmac_f32 v4, v8, v3 :: v_dual_lshlrev_b32 v3, 16, v25
	ds_load_b128 v[5:8], v2 offset:576
	s_waitcnt vmcnt(18) lgkmcnt(1)
	v_dual_fmac_f32 v4, v9, v3 :: v_dual_lshlrev_b32 v3, 16, v26
	v_fmac_f32_e32 v4, v10, v3
	s_waitcnt vmcnt(17)
	v_lshlrev_b32_e32 v3, 16, v27
	s_waitcnt vmcnt(16)
	s_delay_alu instid0(VALU_DEP_1) | instskip(NEXT) | instid1(VALU_DEP_1)
	v_dual_fmac_f32 v4, v11, v3 :: v_dual_lshlrev_b32 v3, 16, v28
	v_fmac_f32_e32 v4, v12, v3
	ds_load_b128 v[9:12], v2 offset:592
	s_waitcnt vmcnt(15)
	v_lshlrev_b32_e32 v3, 16, v29
	s_waitcnt vmcnt(14) lgkmcnt(1)
	s_delay_alu instid0(VALU_DEP_1) | instskip(NEXT) | instid1(VALU_DEP_1)
	v_dual_fmac_f32 v4, v5, v3 :: v_dual_lshlrev_b32 v3, 16, v30
	v_fmac_f32_e32 v4, v6, v3
	s_waitcnt vmcnt(13)
	v_lshlrev_b32_e32 v3, 16, v31
	s_waitcnt vmcnt(12)
	s_delay_alu instid0(VALU_DEP_1) | instskip(SKIP_1) | instid1(VALU_DEP_1)
	v_dual_fmac_f32 v4, v7, v3 :: v_dual_lshlrev_b32 v3, 16, v32
	s_waitcnt vmcnt(0)
	v_dual_fmac_f32 v4, v8, v3 :: v_dual_lshlrev_b32 v1, 16, v1
	v_lshlrev_b32_e32 v3, 16, v33
	ds_load_b128 v[5:8], v2 offset:608
	s_waitcnt lgkmcnt(1)
	v_dual_fmac_f32 v4, v9, v3 :: v_dual_lshlrev_b32 v3, 16, v34
	s_delay_alu instid0(VALU_DEP_1) | instskip(SKIP_1) | instid1(VALU_DEP_1)
	v_fmac_f32_e32 v4, v10, v3
	v_lshlrev_b32_e32 v3, 16, v35
	v_dual_fmac_f32 v4, v11, v3 :: v_dual_lshlrev_b32 v3, 16, v36
	s_delay_alu instid0(VALU_DEP_1) | instskip(SKIP_4) | instid1(VALU_DEP_1)
	v_dual_fmac_f32 v4, v12, v3 :: v_dual_lshlrev_b32 v3, 16, v37
	ds_load_b128 v[9:12], v2 offset:624
	v_lshlrev_b32_e32 v2, 16, v38
	s_waitcnt lgkmcnt(1)
	v_fmac_f32_e32 v4, v5, v3
	v_fmac_f32_e32 v4, v6, v2
	v_lshlrev_b32_e32 v2, 16, v39
	s_delay_alu instid0(VALU_DEP_1) | instskip(SKIP_1) | instid1(VALU_DEP_1)
	v_fmac_f32_e32 v4, v7, v2
	v_lshlrev_b32_e32 v2, 16, v40
	v_fmac_f32_e32 v4, v8, v2
	v_lshlrev_b32_e32 v2, 16, v41
	s_waitcnt lgkmcnt(0)
	s_delay_alu instid0(VALU_DEP_1) | instskip(SKIP_1) | instid1(VALU_DEP_1)
	v_fmac_f32_e32 v4, v9, v2
	v_lshlrev_b32_e32 v2, 16, v42
	v_fmac_f32_e32 v4, v10, v2
	v_lshlrev_b32_e32 v2, 16, v43
	s_delay_alu instid0(VALU_DEP_1) | instskip(NEXT) | instid1(VALU_DEP_1)
	v_fmac_f32_e32 v4, v11, v2
	v_dual_fmac_f32 v4, v12, v1 :: v_dual_mov_b32 v1, 0
	s_and_not1_b32 vcc_lo, exec_lo, s15
	ds_load_b32 v1, v1 offset:640
	s_cbranch_vccz .LBB654_17
	s_branch .LBB654_18
	.section	.rodata,"a",@progbits
	.p2align	6, 0x0
	.amdhsa_kernel _Z35paged_attention_ll4mi_reduce_kernelI14__hip_bfloat16S0_Li128ELi128ELi256ELi5EEvPT0_PKfS4_PKT_PKiS9_iS4_
		.amdhsa_group_segment_fixed_size 644
		.amdhsa_private_segment_fixed_size 0
		.amdhsa_kernarg_size 320
		.amdhsa_user_sgpr_count 14
		.amdhsa_user_sgpr_dispatch_ptr 0
		.amdhsa_user_sgpr_queue_ptr 0
		.amdhsa_user_sgpr_kernarg_segment_ptr 1
		.amdhsa_user_sgpr_dispatch_id 0
		.amdhsa_user_sgpr_private_segment_size 0
		.amdhsa_wavefront_size32 1
		.amdhsa_uses_dynamic_stack 0
		.amdhsa_enable_private_segment 0
		.amdhsa_system_sgpr_workgroup_id_x 1
		.amdhsa_system_sgpr_workgroup_id_y 1
		.amdhsa_system_sgpr_workgroup_id_z 0
		.amdhsa_system_sgpr_workgroup_info 0
		.amdhsa_system_vgpr_workitem_id 0
		.amdhsa_next_free_vgpr 52
		.amdhsa_next_free_sgpr 52
		.amdhsa_reserve_vcc 1
		.amdhsa_float_round_mode_32 0
		.amdhsa_float_round_mode_16_64 0
		.amdhsa_float_denorm_mode_32 3
		.amdhsa_float_denorm_mode_16_64 3
		.amdhsa_dx10_clamp 1
		.amdhsa_ieee_mode 1
		.amdhsa_fp16_overflow 0
		.amdhsa_workgroup_processor_mode 1
		.amdhsa_memory_ordered 1
		.amdhsa_forward_progress 0
		.amdhsa_shared_vgpr_count 0
		.amdhsa_exception_fp_ieee_invalid_op 0
		.amdhsa_exception_fp_denorm_src 0
		.amdhsa_exception_fp_ieee_div_zero 0
		.amdhsa_exception_fp_ieee_overflow 0
		.amdhsa_exception_fp_ieee_underflow 0
		.amdhsa_exception_fp_ieee_inexact 0
		.amdhsa_exception_int_div_zero 0
	.end_amdhsa_kernel
	.section	.text._Z35paged_attention_ll4mi_reduce_kernelI14__hip_bfloat16S0_Li128ELi128ELi256ELi5EEvPT0_PKfS4_PKT_PKiS9_iS4_,"axG",@progbits,_Z35paged_attention_ll4mi_reduce_kernelI14__hip_bfloat16S0_Li128ELi128ELi256ELi5EEvPT0_PKfS4_PKT_PKiS9_iS4_,comdat
.Lfunc_end654:
	.size	_Z35paged_attention_ll4mi_reduce_kernelI14__hip_bfloat16S0_Li128ELi128ELi256ELi5EEvPT0_PKfS4_PKT_PKiS9_iS4_, .Lfunc_end654-_Z35paged_attention_ll4mi_reduce_kernelI14__hip_bfloat16S0_Li128ELi128ELi256ELi5EEvPT0_PKfS4_PKT_PKiS9_iS4_
                                        ; -- End function
	.section	.AMDGPU.csdata,"",@progbits
; Kernel info:
; codeLenInByte = 11780
; NumSgprs: 54
; NumVgprs: 52
; ScratchSize: 0
; MemoryBound: 0
; FloatMode: 240
; IeeeMode: 1
; LDSByteSize: 644 bytes/workgroup (compile time only)
; SGPRBlocks: 6
; VGPRBlocks: 6
; NumSGPRsForWavesPerEU: 54
; NumVGPRsForWavesPerEU: 52
; Occupancy: 16
; WaveLimiterHint : 0
; COMPUTE_PGM_RSRC2:SCRATCH_EN: 0
; COMPUTE_PGM_RSRC2:USER_SGPR: 14
; COMPUTE_PGM_RSRC2:TRAP_HANDLER: 0
; COMPUTE_PGM_RSRC2:TGID_X_EN: 1
; COMPUTE_PGM_RSRC2:TGID_Y_EN: 1
; COMPUTE_PGM_RSRC2:TGID_Z_EN: 0
; COMPUTE_PGM_RSRC2:TIDIG_COMP_CNT: 0
	.section	.text._Z35paged_attention_ll4mi_reduce_kernelI14__hip_bfloat16S0_Li128ELi128ELi256ELi6EEvPT0_PKfS4_PKT_PKiS9_iS4_,"axG",@progbits,_Z35paged_attention_ll4mi_reduce_kernelI14__hip_bfloat16S0_Li128ELi128ELi256ELi6EEvPT0_PKfS4_PKT_PKiS9_iS4_,comdat
	.protected	_Z35paged_attention_ll4mi_reduce_kernelI14__hip_bfloat16S0_Li128ELi128ELi256ELi6EEvPT0_PKfS4_PKT_PKiS9_iS4_ ; -- Begin function _Z35paged_attention_ll4mi_reduce_kernelI14__hip_bfloat16S0_Li128ELi128ELi256ELi6EEvPT0_PKfS4_PKT_PKiS9_iS4_
	.globl	_Z35paged_attention_ll4mi_reduce_kernelI14__hip_bfloat16S0_Li128ELi128ELi256ELi6EEvPT0_PKfS4_PKT_PKiS9_iS4_
	.p2align	8
	.type	_Z35paged_attention_ll4mi_reduce_kernelI14__hip_bfloat16S0_Li128ELi128ELi256ELi6EEvPT0_PKfS4_PKT_PKiS9_iS4_,@function
_Z35paged_attention_ll4mi_reduce_kernelI14__hip_bfloat16S0_Li128ELi128ELi256ELi6EEvPT0_PKfS4_PKT_PKiS9_iS4_: ; @_Z35paged_attention_ll4mi_reduce_kernelI14__hip_bfloat16S0_Li128ELi128ELi256ELi6EEvPT0_PKfS4_PKT_PKiS9_iS4_
; %bb.0:
	s_load_b64 s[12:13], s[0:1], 0x28
	s_mov_b32 s2, s15
	s_waitcnt lgkmcnt(0)
	s_cmp_lg_u64 s[12:13], 0
	s_cselect_b32 s15, -1, 0
	s_delay_alu instid0(SALU_CYCLE_1)
	s_and_b32 vcc_lo, exec_lo, s15
	s_cbranch_vccz .LBB655_24
; %bb.1:
	s_add_i32 s4, s2, 1
	s_mov_b32 s5, 0
	s_delay_alu instid0(SALU_CYCLE_1) | instskip(SKIP_4) | instid1(SALU_CYCLE_1)
	s_lshl_b64 s[6:7], s[4:5], 2
	s_mov_b32 s3, s5
	s_add_u32 s6, s12, s6
	s_addc_u32 s7, s13, s7
	s_lshl_b64 s[8:9], s[2:3], 2
	s_add_u32 s8, s12, s8
	s_addc_u32 s9, s13, s9
	s_clause 0x1
	s_load_b32 s4, s[6:7], 0x0
	s_load_b32 s6, s[8:9], 0x0
	s_waitcnt lgkmcnt(0)
	s_sub_i32 s4, s4, s6
	s_delay_alu instid0(SALU_CYCLE_1)
	s_cmp_eq_u32 s4, 1
	s_cselect_b32 s4, -1, 0
	s_cbranch_execnz .LBB655_3
.LBB655_2:
	s_mov_b32 s3, 0
	s_mov_b32 s4, -1
.LBB655_3:
	s_delay_alu instid0(SALU_CYCLE_1)
	s_and_not1_b32 vcc_lo, exec_lo, s4
	s_cbranch_vccz .LBB655_5
; %bb.4:
	s_endpgm
.LBB655_5:
	s_clause 0x1
	s_load_b128 s[4:7], s[0:1], 0x18
	s_load_b32 s9, s[0:1], 0x30
	s_lshl_b64 s[16:17], s[2:3], 2
	s_waitcnt lgkmcnt(0)
	s_add_u32 s6, s6, s16
	s_addc_u32 s7, s7, s17
	s_load_b32 s23, s[6:7], 0x0
	s_load_b32 s33, s[0:1], 0x40
	s_mul_i32 s7, s2, s9
	s_waitcnt lgkmcnt(0)
	s_add_i32 s22, s23, 0xff
	s_delay_alu instid0(SALU_CYCLE_1) | instskip(NEXT) | instid1(SALU_CYCLE_1)
	s_ashr_i32 s6, s22, 31
	s_lshr_b32 s6, s6, 24
	s_delay_alu instid0(SALU_CYCLE_1) | instskip(SKIP_4) | instid1(SALU_CYCLE_1)
	s_add_i32 s8, s22, s6
	s_mul_i32 s6, s14, s9
	s_mov_b32 s9, exec_lo
	v_cmpx_lt_u32_e32 31, v0
	s_xor_b32 s9, exec_lo, s9
	s_or_saveexec_b32 s24, s9
	v_mov_b32_e32 v1, s6
	s_ashr_i32 s40, s8, 8
	s_mul_i32 s18, s7, s33
	s_xor_b32 exec_lo, exec_lo, s24
	s_cbranch_execz .LBB655_9
; %bb.6:
	s_load_b128 s[8:11], s[0:1], 0x8
	v_or_b32_e32 v2, 32, v0
	v_cmp_gt_i32_e32 vcc_lo, s40, v0
	s_add_i32 s25, s40, -1
	v_or_b32_e32 v4, 64, v0
	v_or_b32_e32 v6, 0x60, v0
	v_or_b32_e32 v8, 0x80, v0
	v_cndmask_b32_e32 v1, s25, v0, vcc_lo
	v_cmp_gt_i32_e32 vcc_lo, s40, v2
	s_mov_b32 s19, 0
	v_or_b32_e32 v14, 0xa0, v0
	s_lshl_b64 s[20:21], s[18:19], 2
	s_mov_b32 s7, s19
	v_cndmask_b32_e32 v3, s25, v2, vcc_lo
	v_cmp_gt_i32_e32 vcc_lo, s40, v4
	v_ashrrev_i32_e32 v2, 31, v1
	v_cndmask_b32_e32 v5, s25, v4, vcc_lo
	v_cmp_gt_i32_e32 vcc_lo, s40, v6
	v_ashrrev_i32_e32 v4, 31, v3
	s_delay_alu instid0(VALU_DEP_4)
	v_lshlrev_b64 v[1:2], 2, v[1:2]
	s_waitcnt lgkmcnt(0)
	s_add_u32 s19, s10, s20
	s_addc_u32 s26, s11, s21
	v_cndmask_b32_e32 v7, s25, v6, vcc_lo
	v_cmp_gt_i32_e32 vcc_lo, s40, v8
	s_lshl_b64 s[10:11], s[6:7], 2
	v_lshlrev_b64 v[3:4], 2, v[3:4]
	s_add_u32 s7, s19, s10
	s_addc_u32 s19, s26, s11
	v_cndmask_b32_e32 v9, s25, v8, vcc_lo
	v_add_co_u32 v10, vcc_lo, s7, v1
	v_add_co_ci_u32_e32 v11, vcc_lo, s19, v2, vcc_lo
	v_add_co_u32 v12, vcc_lo, s7, v3
	v_add_co_ci_u32_e32 v13, vcc_lo, s19, v4, vcc_lo
	v_cmp_gt_i32_e32 vcc_lo, s40, v14
	v_ashrrev_i32_e32 v6, 31, v5
	v_ashrrev_i32_e32 v8, 31, v7
	s_clause 0x1
	global_load_b32 v22, v[10:11], off
	global_load_b32 v23, v[12:13], off
	v_ashrrev_i32_e32 v10, 31, v9
	v_cndmask_b32_e32 v14, s25, v14, vcc_lo
	v_lshlrev_b64 v[5:6], 2, v[5:6]
	v_lshlrev_b64 v[7:8], 2, v[7:8]
	s_delay_alu instid0(VALU_DEP_4) | instskip(NEXT) | instid1(VALU_DEP_4)
	v_lshlrev_b64 v[9:10], 2, v[9:10]
	v_ashrrev_i32_e32 v15, 31, v14
	s_delay_alu instid0(VALU_DEP_4) | instskip(SKIP_2) | instid1(VALU_DEP_4)
	v_add_co_u32 v11, vcc_lo, s7, v5
	v_add_co_ci_u32_e32 v12, vcc_lo, s19, v6, vcc_lo
	v_add_co_u32 v16, vcc_lo, s7, v7
	v_lshlrev_b64 v[13:14], 2, v[14:15]
	v_add_co_ci_u32_e32 v17, vcc_lo, s19, v8, vcc_lo
	v_add_co_u32 v18, vcc_lo, s7, v9
	v_add_co_ci_u32_e32 v19, vcc_lo, s19, v10, vcc_lo
	s_delay_alu instid0(VALU_DEP_4)
	v_add_co_u32 v20, vcc_lo, s7, v13
	v_add_co_ci_u32_e32 v21, vcc_lo, s19, v14, vcc_lo
	s_clause 0x3
	global_load_b32 v11, v[11:12], off
	global_load_b32 v12, v[16:17], off
	;; [unrolled: 1-line block ×4, first 2 shown]
	s_add_u32 s7, s8, s20
	s_addc_u32 s8, s9, s21
	s_add_u32 s7, s7, s10
	s_addc_u32 s8, s8, s11
	v_add_co_u32 v1, vcc_lo, s7, v1
	v_add_co_ci_u32_e32 v2, vcc_lo, s8, v2, vcc_lo
	v_add_co_u32 v3, vcc_lo, s7, v3
	v_add_co_ci_u32_e32 v4, vcc_lo, s8, v4, vcc_lo
	;; [unrolled: 2-line block ×4, first 2 shown]
	s_clause 0x3
	global_load_b32 v17, v[1:2], off
	global_load_b32 v3, v[3:4], off
	;; [unrolled: 1-line block ×4, first 2 shown]
	v_add_co_u32 v1, vcc_lo, s7, v9
	v_add_co_ci_u32_e32 v2, vcc_lo, s8, v10, vcc_lo
	global_load_b32 v6, v[1:2], off
	v_add_co_u32 v1, vcc_lo, s7, v13
	v_add_co_ci_u32_e32 v2, vcc_lo, s8, v14, vcc_lo
	s_mov_b32 s7, exec_lo
	global_load_b32 v7, v[1:2], off
	v_mbcnt_lo_u32_b32 v1, -1, 0
	s_delay_alu instid0(VALU_DEP_1)
	v_xor_b32_e32 v9, 16, v1
	v_xor_b32_e32 v10, 8, v1
	;; [unrolled: 1-line block ×5, first 2 shown]
	v_cmp_gt_i32_e32 vcc_lo, 32, v9
	s_waitcnt vmcnt(11)
	v_max_f32_e32 v8, v22, v22
	s_waitcnt vmcnt(10)
	v_max_f32_e32 v2, v23, v23
	s_delay_alu instid0(VALU_DEP_1) | instskip(SKIP_2) | instid1(VALU_DEP_2)
	v_max_f32_e32 v2, v8, v2
	v_cndmask_b32_e32 v8, v1, v9, vcc_lo
	v_cmp_gt_i32_e32 vcc_lo, 32, v10
	v_lshlrev_b32_e32 v8, 2, v8
	v_cndmask_b32_e32 v10, v1, v10, vcc_lo
	v_cmp_gt_i32_e32 vcc_lo, 32, v13
	v_cndmask_b32_e32 v13, v1, v13, vcc_lo
	v_cmp_gt_i32_e32 vcc_lo, 32, v14
	s_waitcnt vmcnt(8)
	v_max3_f32 v2, v2, v11, v12
	v_cndmask_b32_e32 v14, v1, v14, vcc_lo
	v_cmp_gt_i32_e32 vcc_lo, 32, v18
	s_waitcnt vmcnt(6)
	s_delay_alu instid0(VALU_DEP_3) | instskip(NEXT) | instid1(VALU_DEP_3)
	v_max3_f32 v2, v2, v15, v16
	v_lshlrev_b32_e32 v14, 2, v14
	v_lshlrev_b32_e32 v13, 2, v13
	;; [unrolled: 1-line block ×3, first 2 shown]
	v_cndmask_b32_e32 v1, v1, v18, vcc_lo
	ds_bpermute_b32 v9, v8, v2
	v_lshlrev_b32_e32 v18, 2, v1
	s_waitcnt lgkmcnt(0)
	v_max_f32_e32 v9, v9, v9
	s_delay_alu instid0(VALU_DEP_1) | instskip(SKIP_3) | instid1(VALU_DEP_1)
	v_max_f32_e32 v2, v2, v9
	ds_bpermute_b32 v9, v10, v2
	s_waitcnt lgkmcnt(0)
	v_max_f32_e32 v9, v9, v9
	v_max_f32_e32 v2, v2, v9
	ds_bpermute_b32 v9, v13, v2
	s_waitcnt lgkmcnt(0)
	v_max_f32_e32 v9, v9, v9
	s_delay_alu instid0(VALU_DEP_1) | instskip(SKIP_3) | instid1(VALU_DEP_1)
	v_max_f32_e32 v2, v2, v9
	ds_bpermute_b32 v9, v14, v2
	s_waitcnt lgkmcnt(0)
	v_max_f32_e32 v9, v9, v9
	v_max_f32_e32 v1, v2, v9
	ds_bpermute_b32 v2, v18, v1
	s_waitcnt lgkmcnt(0)
	v_max_f32_e32 v2, v2, v2
	s_delay_alu instid0(VALU_DEP_1) | instskip(SKIP_1) | instid1(VALU_DEP_2)
	v_max_f32_e32 v1, v1, v2
	v_sub_nc_u32_e32 v2, s40, v0
	v_sub_f32_e32 v19, v23, v1
	v_sub_f32_e32 v12, v12, v1
	;; [unrolled: 1-line block ×3, first 2 shown]
	s_delay_alu instid0(VALU_DEP_2) | instskip(NEXT) | instid1(VALU_DEP_2)
	v_dual_sub_f32 v11, v11, v1 :: v_dual_mul_f32 v22, 0x3fb8aa3b, v12
	v_cmp_ngt_f32_e32 vcc_lo, 0xc2ce8ed0, v9
	s_delay_alu instid0(VALU_DEP_2) | instskip(SKIP_3) | instid1(VALU_DEP_1)
	v_rndne_f32_e32 v32, v22
	v_sub_f32_e32 v15, v15, v1
	v_sub_f32_e32 v1, v16, v1
	v_mul_f32_e32 v16, 0x3fb8aa3b, v9
	v_rndne_f32_e32 v26, v16
	v_fma_f32 v25, 0x3fb8aa3b, v9, -v16
	s_delay_alu instid0(VALU_DEP_2) | instskip(SKIP_2) | instid1(VALU_DEP_2)
	v_sub_f32_e32 v16, v16, v26
	v_mul_f32_e32 v20, 0x3fb8aa3b, v19
	v_cvt_i32_f32_e32 v26, v26
	v_fma_f32 v27, 0x3fb8aa3b, v19, -v20
	v_rndne_f32_e32 v28, v20
	s_delay_alu instid0(VALU_DEP_2) | instskip(SKIP_1) | instid1(VALU_DEP_3)
	v_fmac_f32_e32 v27, 0x32a5705f, v19
	v_fma_f32 v31, 0x3fb8aa3b, v12, -v22
	v_sub_f32_e32 v20, v20, v28
	v_dual_sub_f32 v22, v22, v32 :: v_dual_mul_f32 v23, 0x3fb8aa3b, v15
	v_mul_f32_e32 v21, 0x3fb8aa3b, v11
	s_delay_alu instid0(VALU_DEP_3) | instskip(SKIP_1) | instid1(VALU_DEP_4)
	v_dual_fmac_f32 v31, 0x32a5705f, v12 :: v_dual_add_f32 v20, v20, v27
	v_cvt_i32_f32_e32 v28, v28
	v_rndne_f32_e32 v34, v23
	s_delay_alu instid0(VALU_DEP_4) | instskip(NEXT) | instid1(VALU_DEP_4)
	v_fma_f32 v29, 0x3fb8aa3b, v11, -v21
	v_add_f32_e32 v22, v22, v31
	v_mul_f32_e32 v24, 0x3fb8aa3b, v1
	v_fma_f32 v33, 0x3fb8aa3b, v15, -v23
	v_sub_f32_e32 v23, v23, v34
	v_exp_f32_e32 v20, v20
	v_rndne_f32_e32 v30, v21
	v_rndne_f32_e32 v36, v24
	v_fmac_f32_e32 v25, 0x32a5705f, v9
	v_fma_f32 v35, 0x3fb8aa3b, v1, -v24
	v_exp_f32_e32 v22, v22
	s_delay_alu instid0(VALU_DEP_3) | instskip(NEXT) | instid1(VALU_DEP_3)
	v_dual_sub_f32 v21, v21, v30 :: v_dual_sub_f32 v24, v24, v36
	v_dual_fmac_f32 v29, 0x32a5705f, v11 :: v_dual_add_f32 v16, v16, v25
	s_delay_alu instid0(TRANS32_DEP_2)
	v_ldexp_f32 v20, v20, v28
	v_cvt_i32_f32_e32 v25, v30
	v_cvt_i32_f32_e32 v27, v32
	;; [unrolled: 1-line block ×3, first 2 shown]
	v_exp_f32_e32 v16, v16
	s_delay_alu instid0(TRANS32_DEP_2) | instid1(VALU_DEP_2)
	v_ldexp_f32 v22, v22, v27
	s_waitcnt_depctr 0xfff
	v_ldexp_f32 v16, v16, v26
	s_delay_alu instid0(VALU_DEP_1) | instskip(SKIP_2) | instid1(VALU_DEP_1)
	v_dual_fmac_f32 v33, 0x32a5705f, v15 :: v_dual_cndmask_b32 v16, 0, v16
	v_cmp_ngt_f32_e32 vcc_lo, 0xc2ce8ed0, v19
	v_dual_fmac_f32 v35, 0x32a5705f, v1 :: v_dual_cndmask_b32 v20, 0, v20
	v_dual_add_f32 v21, v21, v29 :: v_dual_add_f32 v24, v24, v35
	v_cmp_ngt_f32_e32 vcc_lo, 0xc2ce8ed0, v11
	v_cvt_i32_f32_e32 v29, v34
	s_delay_alu instid0(VALU_DEP_3) | instskip(NEXT) | instid1(VALU_DEP_3)
	v_exp_f32_e32 v21, v21
	v_exp_f32_e32 v24, v24
	s_waitcnt_depctr 0xfff
	v_ldexp_f32 v21, v21, v25
	s_delay_alu instid0(VALU_DEP_1) | instskip(SKIP_2) | instid1(VALU_DEP_1)
	v_cndmask_b32_e32 v21, 0, v21, vcc_lo
	v_cmp_ngt_f32_e32 vcc_lo, 0xc2ce8ed0, v12
	v_dual_add_f32 v23, v23, v33 :: v_dual_cndmask_b32 v22, 0, v22
	v_exp_f32_e32 v23, v23
	v_cmp_ngt_f32_e32 vcc_lo, 0xc2ce8ed0, v15
	s_waitcnt_depctr 0xfff
	v_ldexp_f32 v23, v23, v29
	s_delay_alu instid0(VALU_DEP_1)
	v_cndmask_b32_e32 v23, 0, v23, vcc_lo
	v_cmp_nlt_f32_e32 vcc_lo, 0x42b17218, v9
	v_cndmask_b32_e32 v9, 0x7f800000, v16, vcc_lo
	v_cmp_nlt_f32_e32 vcc_lo, 0x42b17218, v19
	;; [unrolled: 2-line block ×4, first 2 shown]
	v_cndmask_b32_e32 v12, 0x7f800000, v22, vcc_lo
	v_cmp_lt_i32_e32 vcc_lo, 0, v2
	v_cndmask_b32_e32 v9, 0, v9, vcc_lo
	v_cmp_lt_i32_e32 vcc_lo, 32, v2
	s_waitcnt vmcnt(5)
	s_delay_alu instid0(VALU_DEP_2) | instskip(SKIP_2) | instid1(VALU_DEP_2)
	v_dual_mul_f32 v9, v17, v9 :: v_dual_cndmask_b32 v16, 0, v16
	v_cmp_lt_i32_e32 vcc_lo, 64, v2
	s_waitcnt vmcnt(4)
	v_mul_f32_e32 v3, v3, v16
	v_cndmask_b32_e32 v11, 0, v11, vcc_lo
	v_cmp_lt_i32_e32 vcc_lo, 0x60, v2
	s_waitcnt vmcnt(3)
	s_delay_alu instid0(VALU_DEP_2)
	v_mul_f32_e32 v4, v4, v11
	v_cndmask_b32_e32 v12, 0, v12, vcc_lo
	v_cmp_nlt_f32_e32 vcc_lo, 0x42b17218, v15
	v_add_f32_e32 v15, v9, v3
	v_cndmask_b32_e32 v11, 0x7f800000, v23, vcc_lo
	v_cmp_lt_i32_e32 vcc_lo, 0x80, v2
	s_delay_alu instid0(VALU_DEP_3) | instskip(NEXT) | instid1(VALU_DEP_3)
	v_add_f32_e32 v15, v15, v4
	v_cndmask_b32_e32 v11, 0, v11, vcc_lo
	s_waitcnt vmcnt(2)
	v_mul_f32_e32 v5, v5, v12
	v_ldexp_f32 v12, v24, v30
	v_cmp_ngt_f32_e32 vcc_lo, 0xc2ce8ed0, v1
	s_waitcnt vmcnt(1)
	s_delay_alu instid0(VALU_DEP_3) | instskip(NEXT) | instid1(VALU_DEP_3)
	v_dual_mul_f32 v6, v6, v11 :: v_dual_add_f32 v11, v15, v5
	v_cndmask_b32_e32 v12, 0, v12, vcc_lo
	v_cmp_nlt_f32_e32 vcc_lo, 0x42b17218, v1
	s_delay_alu instid0(VALU_DEP_2) | instskip(SKIP_1) | instid1(VALU_DEP_2)
	v_cndmask_b32_e32 v1, 0x7f800000, v12, vcc_lo
	v_cmp_lt_i32_e32 vcc_lo, 0xa0, v2
	v_dual_cndmask_b32 v12, 0, v1 :: v_dual_add_f32 v1, v11, v6
	s_waitcnt vmcnt(0)
	s_delay_alu instid0(VALU_DEP_1)
	v_fmac_f32_e32 v1, v7, v12
	v_mul_f32_e32 v7, v7, v12
	ds_bpermute_b32 v2, v8, v1
	v_lshlrev_b32_e32 v8, 2, v0
	ds_store_2addr_b32 v8, v9, v3 offset1:32
	ds_store_2addr_b32 v8, v4, v5 offset0:64 offset1:96
	ds_store_2addr_b32 v8, v6, v7 offset0:128 offset1:160
	s_waitcnt lgkmcnt(3)
	v_add_f32_e32 v1, v1, v2
	ds_bpermute_b32 v2, v10, v1
	s_waitcnt lgkmcnt(0)
	v_add_f32_e32 v1, v1, v2
	ds_bpermute_b32 v2, v13, v1
	;; [unrolled: 3-line block ×4, first 2 shown]
	v_cmpx_eq_u32_e32 0, v0
	s_cbranch_execz .LBB655_8
; %bb.7:
	s_waitcnt lgkmcnt(0)
	v_dual_add_f32 v1, v1, v2 :: v_dual_mov_b32 v2, 0
	ds_store_b32 v2, v1 offset:768
.LBB655_8:
	s_or_b32 exec_lo, exec_lo, s7
	v_mov_b32_e32 v1, s6
.LBB655_9:
	s_or_b32 exec_lo, exec_lo, s24
	s_lshl_b32 s6, s18, 7
	s_mov_b32 s7, 0
	s_waitcnt lgkmcnt(0)
	v_dual_mov_b32 v2, 0 :: v_dual_lshlrev_b32 v1, 7, v1
	s_lshl_b64 s[6:7], s[6:7], 1
	v_lshlrev_b32_e32 v0, 1, v0
	s_add_u32 s34, s4, s6
	s_addc_u32 s35, s5, s7
	s_lshl_b32 s41, s40, 7
	v_lshlrev_b64 v[3:4], 1, v[1:2]
	s_add_i32 s42, s41, 0xffffff80
	s_cmpk_lt_i32 s22, 0x100
	v_dual_mov_b32 v30, 0 :: v_dual_mov_b32 v33, 0
	s_cselect_b32 s4, s42, 0
	s_delay_alu instid0(VALU_DEP_2)
	v_add_co_u32 v1, vcc_lo, s34, v3
	s_ashr_i32 s5, s4, 31
	v_add_co_ci_u32_e32 v3, vcc_lo, s35, v4, vcc_lo
	s_lshl_b64 s[4:5], s[4:5], 1
	s_cmpk_lt_i32 s22, 0x200
	v_add_co_u32 v1, vcc_lo, v1, v0
	s_cselect_b32 s6, s42, 0x80
	v_add_co_ci_u32_e32 v3, vcc_lo, 0, v3, vcc_lo
	s_ashr_i32 s7, s6, 31
	s_delay_alu instid0(VALU_DEP_2)
	v_add_co_u32 v4, vcc_lo, v1, s4
	s_lshl_b64 s[6:7], s[6:7], 1
	s_cmpk_lt_i32 s22, 0x300
	v_add_co_ci_u32_e32 v5, vcc_lo, s5, v3, vcc_lo
	s_cselect_b32 s8, s42, 0x100
	v_add_co_u32 v6, vcc_lo, v1, s6
	s_ashr_i32 s9, s8, 31
	v_add_co_ci_u32_e32 v7, vcc_lo, s7, v3, vcc_lo
	s_lshl_b64 s[8:9], s[8:9], 1
	s_cmpk_lt_i32 s22, 0x400
	v_add_co_u32 v8, vcc_lo, v1, s8
	s_cselect_b32 s10, s42, 0x180
	v_add_co_ci_u32_e32 v9, vcc_lo, s9, v3, vcc_lo
	s_ashr_i32 s11, s10, 31
	v_dual_mov_b32 v32, 0 :: v_dual_mov_b32 v35, 0
	s_lshl_b64 s[10:11], s[10:11], 1
	s_cmpk_lt_i32 s22, 0x500
	v_add_co_u32 v11, vcc_lo, v1, s10
	s_cselect_b32 s18, s42, 0x200
	v_add_co_ci_u32_e32 v12, vcc_lo, s11, v3, vcc_lo
	s_ashr_i32 s19, s18, 31
	v_mov_b32_e32 v34, 0
	s_lshl_b64 s[18:19], s[18:19], 1
	s_cmpk_lt_i32 s22, 0x600
	v_add_co_u32 v14, vcc_lo, v1, s18
	s_cselect_b32 s20, s42, 0x280
	v_add_co_ci_u32_e32 v15, vcc_lo, s19, v3, vcc_lo
	s_ashr_i32 s21, s20, 31
	v_mov_b32_e32 v31, 0
	s_lshl_b64 s[20:21], s[20:21], 1
	s_cmpk_lt_i32 s22, 0x700
	v_add_co_u32 v16, vcc_lo, v1, s20
	s_cselect_b32 s24, s42, 0x300
	v_add_co_ci_u32_e32 v17, vcc_lo, s21, v3, vcc_lo
	s_ashr_i32 s25, s24, 31
	s_delay_alu instid0(SALU_CYCLE_1)
	s_lshl_b64 s[24:25], s[24:25], 1
	s_cmpk_lt_i32 s22, 0x800
	v_add_co_u32 v18, vcc_lo, v1, s24
	s_cselect_b32 s26, s42, 0x380
	v_add_co_ci_u32_e32 v19, vcc_lo, s25, v3, vcc_lo
	s_ashr_i32 s27, s26, 31
	s_delay_alu instid0(SALU_CYCLE_1)
	s_lshl_b64 s[26:27], s[26:27], 1
	s_cmpk_lt_i32 s22, 0x900
	v_add_co_u32 v20, vcc_lo, v1, s26
	s_cselect_b32 s28, s42, 0x400
	v_add_co_ci_u32_e32 v21, vcc_lo, s27, v3, vcc_lo
	s_ashr_i32 s29, s28, 31
	s_clause 0x7
	global_load_u16 v13, v[4:5], off
	global_load_u16 v4, v[6:7], off
	;; [unrolled: 1-line block ×8, first 2 shown]
	s_lshl_b64 s[28:29], s[28:29], 1
	s_cmpk_lt_i32 s22, 0xa00
	v_add_co_u32 v11, vcc_lo, v1, s28
	s_cselect_b32 s30, s42, 0x480
	v_add_co_ci_u32_e32 v12, vcc_lo, s29, v3, vcc_lo
	s_ashr_i32 s31, s30, 31
	s_delay_alu instid0(SALU_CYCLE_1)
	s_lshl_b64 s[30:31], s[30:31], 1
	s_cmpk_lt_i32 s22, 0xb00
	v_add_co_u32 v14, vcc_lo, v1, s30
	s_cselect_b32 s34, s42, 0x500
	v_add_co_ci_u32_e32 v15, vcc_lo, s31, v3, vcc_lo
	s_ashr_i32 s35, s34, 31
	s_delay_alu instid0(SALU_CYCLE_1)
	s_lshl_b64 s[4:5], s[34:35], 1
	s_cmpk_lt_i32 s22, 0xc00
	v_add_co_u32 v16, vcc_lo, v1, s4
	s_cselect_b32 s6, s42, 0x580
	v_add_co_ci_u32_e32 v17, vcc_lo, s5, v3, vcc_lo
	s_ashr_i32 s7, s6, 31
	s_delay_alu instid0(SALU_CYCLE_1)
	s_lshl_b64 s[6:7], s[6:7], 1
	s_cmpk_lt_i32 s22, 0xd00
	v_add_co_u32 v20, vcc_lo, v1, s6
	s_cselect_b32 s8, s42, 0x600
	v_add_co_ci_u32_e32 v21, vcc_lo, s7, v3, vcc_lo
	s_ashr_i32 s9, s8, 31
	s_delay_alu instid0(SALU_CYCLE_1)
	s_lshl_b64 s[8:9], s[8:9], 1
	s_cmpk_lt_i32 s22, 0xe00
	v_add_co_u32 v22, vcc_lo, v1, s8
	s_cselect_b32 s10, s42, 0x680
	v_add_co_ci_u32_e32 v23, vcc_lo, s9, v3, vcc_lo
	s_ashr_i32 s11, s10, 31
	s_delay_alu instid0(SALU_CYCLE_1)
	s_lshl_b64 s[10:11], s[10:11], 1
	s_cmpk_lt_i32 s22, 0xf00
	v_add_co_u32 v24, vcc_lo, v1, s10
	s_cselect_b32 s18, s42, 0x700
	v_add_co_ci_u32_e32 v25, vcc_lo, s11, v3, vcc_lo
	s_ashr_i32 s19, s18, 31
	s_delay_alu instid0(SALU_CYCLE_1)
	s_lshl_b64 s[4:5], s[18:19], 1
	s_cmpk_lt_i32 s22, 0x1000
	v_add_co_u32 v26, vcc_lo, v1, s4
	s_cselect_b32 s6, s42, 0x780
	v_add_co_ci_u32_e32 v27, vcc_lo, s5, v3, vcc_lo
	s_ashr_i32 s7, s6, 31
	s_delay_alu instid0(SALU_CYCLE_1)
	s_lshl_b64 s[4:5], s[6:7], 1
	s_cmpk_gt_i32 s23, 0x1000
	v_add_co_u32 v28, vcc_lo, v1, s4
	v_add_co_ci_u32_e32 v29, vcc_lo, s5, v3, vcc_lo
	s_clause 0x7
	global_load_u16 v19, v[11:12], off
	global_load_u16 v18, v[14:15], off
	;; [unrolled: 1-line block ×8, first 2 shown]
	v_dual_mov_b32 v20, 0 :: v_dual_mov_b32 v23, 0
	v_dual_mov_b32 v21, 0 :: v_dual_mov_b32 v22, 0
	;; [unrolled: 1-line block ×5, first 2 shown]
	s_cselect_b32 s6, -1, 0
	s_cmpk_lt_i32 s23, 0x1001
	s_waitcnt vmcnt(0)
	s_barrier
	buffer_gl0_inv
	s_cbranch_scc1 .LBB655_11
; %bb.10:
	s_cmpk_lt_i32 s22, 0x1100
	s_cselect_b32 s4, s42, 0x800
	s_delay_alu instid0(SALU_CYCLE_1) | instskip(NEXT) | instid1(SALU_CYCLE_1)
	s_ashr_i32 s5, s4, 31
	s_lshl_b64 s[4:5], s[4:5], 1
	s_cmpk_lt_i32 s22, 0x1200
	v_add_co_u32 v20, vcc_lo, v1, s4
	s_cselect_b32 s8, s42, 0x880
	v_add_co_ci_u32_e32 v21, vcc_lo, s5, v3, vcc_lo
	s_ashr_i32 s9, s8, 31
	s_delay_alu instid0(SALU_CYCLE_1)
	s_lshl_b64 s[8:9], s[8:9], 1
	s_cmpk_lt_i32 s22, 0x1300
	v_add_co_u32 v22, vcc_lo, v1, s8
	s_cselect_b32 s10, s42, 0x900
	v_add_co_ci_u32_e32 v23, vcc_lo, s9, v3, vcc_lo
	s_ashr_i32 s11, s10, 31
	s_delay_alu instid0(SALU_CYCLE_1)
	;; [unrolled: 7-line block ×14, first 2 shown]
	s_lshl_b64 s[4:5], s[18:19], 1
	s_cmpk_lt_i32 s22, 0x2000
	v_add_co_u32 v48, vcc_lo, v1, s4
	s_cselect_b32 s8, s42, 0xf80
	v_add_co_ci_u32_e32 v49, vcc_lo, s5, v3, vcc_lo
	s_ashr_i32 s9, s8, 31
	s_delay_alu instid0(SALU_CYCLE_1) | instskip(NEXT) | instid1(SALU_CYCLE_1)
	s_lshl_b64 s[4:5], s[8:9], 1
	v_add_co_u32 v50, vcc_lo, v1, s4
	v_add_co_ci_u32_e32 v51, vcc_lo, s5, v3, vcc_lo
	s_clause 0xf
	global_load_u16 v20, v[20:21], off
	global_load_u16 v21, v[22:23], off
	;; [unrolled: 1-line block ×16, first 2 shown]
	s_waitcnt vmcnt(15)
	v_lshlrev_b32_e32 v35, 16, v20
	s_waitcnt vmcnt(14)
	v_lshlrev_b32_e32 v34, 16, v21
	;; [unrolled: 2-line block ×16, first 2 shown]
.LBB655_11:
	ds_load_b128 v[36:39], v2
	ds_load_b128 v[40:43], v2 offset:16
	v_lshlrev_b32_e32 v44, 16, v4
	v_lshlrev_b32_e32 v13, 16, v13
	;; [unrolled: 1-line block ×5, first 2 shown]
	s_load_b64 s[0:1], s[0:1], 0x0
	s_and_b32 vcc_lo, exec_lo, s6
	v_lshlrev_b32_e32 v5, 16, v5
	s_waitcnt lgkmcnt(0)
	v_fma_f32 v4, v36, v13, 0
	s_delay_alu instid0(VALU_DEP_1) | instskip(NEXT) | instid1(VALU_DEP_1)
	v_dual_fmac_f32 v4, v37, v44 :: v_dual_lshlrev_b32 v13, 16, v7
	v_dual_fmac_f32 v4, v38, v10 :: v_dual_lshlrev_b32 v9, 16, v9
	s_delay_alu instid0(VALU_DEP_1) | instskip(SKIP_4) | instid1(VALU_DEP_1)
	v_fmac_f32_e32 v4, v39, v9
	ds_load_b128 v[36:39], v2 offset:48
	v_fmac_f32_e32 v4, v40, v8
	ds_load_b128 v[7:10], v2 offset:32
	v_fmac_f32_e32 v4, v41, v13
	v_fmac_f32_e32 v4, v42, v6
	v_lshlrev_b32_e32 v6, 16, v19
	s_delay_alu instid0(VALU_DEP_2) | instskip(SKIP_1) | instid1(VALU_DEP_1)
	v_dual_fmac_f32 v4, v43, v5 :: v_dual_lshlrev_b32 v5, 16, v18
	s_waitcnt lgkmcnt(0)
	v_fmac_f32_e32 v4, v7, v6
	v_lshlrev_b32_e32 v6, 16, v17
	s_delay_alu instid0(VALU_DEP_2) | instskip(NEXT) | instid1(VALU_DEP_1)
	v_dual_fmac_f32 v4, v8, v5 :: v_dual_lshlrev_b32 v5, 16, v16
	v_fmac_f32_e32 v4, v9, v6
	v_lshlrev_b32_e32 v6, 16, v15
	s_delay_alu instid0(VALU_DEP_2) | instskip(NEXT) | instid1(VALU_DEP_1)
	v_dual_fmac_f32 v4, v10, v5 :: v_dual_lshlrev_b32 v5, 16, v14
	;; [unrolled: 4-line block ×3, first 2 shown]
	v_fmac_f32_e32 v4, v38, v6
	s_delay_alu instid0(VALU_DEP_1)
	v_fmac_f32_e32 v4, v39, v5
	s_cbranch_vccz .LBB655_13
; %bb.12:
	ds_load_b128 v[5:8], v2 offset:64
	ds_load_b128 v[9:12], v2 offset:80
	s_waitcnt lgkmcnt(1)
	v_fmac_f32_e32 v4, v5, v35
	s_delay_alu instid0(VALU_DEP_1) | instskip(NEXT) | instid1(VALU_DEP_1)
	v_fmac_f32_e32 v4, v6, v34
	v_fmac_f32_e32 v4, v7, v33
	s_delay_alu instid0(VALU_DEP_1) | instskip(SKIP_3) | instid1(VALU_DEP_1)
	v_fmac_f32_e32 v4, v8, v32
	ds_load_b128 v[5:8], v2 offset:96
	s_waitcnt lgkmcnt(1)
	v_fmac_f32_e32 v4, v9, v31
	v_fmac_f32_e32 v4, v10, v30
	s_delay_alu instid0(VALU_DEP_1) | instskip(NEXT) | instid1(VALU_DEP_1)
	v_fmac_f32_e32 v4, v11, v29
	v_fmac_f32_e32 v4, v12, v28
	ds_load_b128 v[9:12], v2 offset:112
	s_waitcnt lgkmcnt(1)
	v_fmac_f32_e32 v4, v5, v27
	s_delay_alu instid0(VALU_DEP_1) | instskip(NEXT) | instid1(VALU_DEP_1)
	v_fmac_f32_e32 v4, v6, v26
	v_fmac_f32_e32 v4, v7, v25
	s_delay_alu instid0(VALU_DEP_1) | instskip(SKIP_1) | instid1(VALU_DEP_1)
	v_fmac_f32_e32 v4, v8, v24
	s_waitcnt lgkmcnt(0)
	v_fmac_f32_e32 v4, v9, v23
	s_delay_alu instid0(VALU_DEP_1) | instskip(NEXT) | instid1(VALU_DEP_1)
	v_fmac_f32_e32 v4, v10, v22
	v_fmac_f32_e32 v4, v11, v21
	s_delay_alu instid0(VALU_DEP_1)
	v_fmac_f32_e32 v4, v12, v20
.LBB655_13:
	s_movk_i32 s43, 0x1f80
	s_movk_i32 s44, 0x80
	s_mov_b32 s45, 32
	s_branch .LBB655_15
.LBB655_14:                             ;   in Loop: Header=BB655_15 Depth=1
	s_addk_i32 s43, 0x1000
	s_addk_i32 s44, 0x80
	s_add_i32 s45, s45, 32
	s_cmpk_eq_i32 s43, 0x6f80
	s_cbranch_scc1 .LBB655_17
.LBB655_15:                             ; =>This Inner Loop Header: Depth=1
	s_cmp_le_i32 s40, s45
	s_cbranch_scc1 .LBB655_14
; %bb.16:                               ;   in Loop: Header=BB655_15 Depth=1
	s_add_i32 s4, s43, 0xfffff080
	v_mov_b32_e32 v44, s44
	s_cmp_lt_i32 s4, s41
	s_cselect_b32 s4, s4, s42
	s_add_i32 s6, s43, 0xfffff100
	s_ashr_i32 s5, s4, 31
	s_delay_alu instid0(SALU_CYCLE_1)
	s_lshl_b64 s[38:39], s[4:5], 1
	s_cmp_lt_i32 s6, s41
	v_add_co_u32 v5, vcc_lo, v1, s38
	s_cselect_b32 s4, s6, s42
	s_add_i32 s6, s43, 0xfffff180
	s_ashr_i32 s5, s4, 31
	v_add_co_ci_u32_e32 v6, vcc_lo, s39, v3, vcc_lo
	s_lshl_b64 s[4:5], s[4:5], 1
	s_cmp_lt_i32 s6, s41
	s_cselect_b32 s6, s6, s42
	s_add_i32 s8, s43, 0xfffff200
	s_ashr_i32 s7, s6, 31
	global_load_u16 v2, v[5:6], off
	s_lshl_b64 s[6:7], s[6:7], 1
	s_cmp_lt_i32 s8, s41
	v_add_co_u32 v5, vcc_lo, v1, s4
	s_cselect_b32 s8, s8, s42
	s_add_i32 s10, s43, 0xfffff280
	s_ashr_i32 s9, s8, 31
	v_add_co_ci_u32_e32 v6, vcc_lo, s5, v3, vcc_lo
	s_lshl_b64 s[8:9], s[8:9], 1
	s_cmp_lt_i32 s10, s41
	v_add_co_u32 v7, vcc_lo, v1, s6
	s_cselect_b32 s10, s10, s42
	s_add_i32 s18, s43, 0xfffff300
	s_ashr_i32 s11, s10, 31
	v_add_co_ci_u32_e32 v8, vcc_lo, s7, v3, vcc_lo
	s_lshl_b64 s[10:11], s[10:11], 1
	s_cmp_lt_i32 s18, s41
	v_add_co_u32 v9, vcc_lo, v1, s8
	s_cselect_b32 s18, s18, s42
	s_add_i32 s20, s43, 0xfffff380
	s_ashr_i32 s19, s18, 31
	s_clause 0x1
	global_load_u16 v23, v[5:6], off
	global_load_u16 v24, v[7:8], off
	s_lshl_b64 s[18:19], s[18:19], 1
	s_cmp_lt_i32 s20, s41
	v_add_co_ci_u32_e32 v10, vcc_lo, s9, v3, vcc_lo
	s_cselect_b32 s20, s20, s42
	s_add_i32 s22, s43, 0xfffff400
	s_ashr_i32 s21, s20, 31
	global_load_u16 v25, v[9:10], off
	s_lshl_b64 s[20:21], s[20:21], 1
	s_cmp_lt_i32 s22, s41
	v_add_co_u32 v11, vcc_lo, v1, s10
	s_cselect_b32 s22, s22, s42
	s_add_i32 s24, s43, 0xfffff480
	s_ashr_i32 s23, s22, 31
	v_add_co_ci_u32_e32 v12, vcc_lo, s11, v3, vcc_lo
	s_lshl_b64 s[22:23], s[22:23], 1
	s_cmp_lt_i32 s24, s41
	v_add_co_u32 v13, vcc_lo, v1, s18
	global_load_u16 v26, v[11:12], off
	s_cselect_b32 s24, s24, s42
	s_add_i32 s26, s43, 0xfffff500
	s_ashr_i32 s25, s24, 31
	v_add_co_ci_u32_e32 v14, vcc_lo, s19, v3, vcc_lo
	s_lshl_b64 s[24:25], s[24:25], 1
	s_cmp_lt_i32 s26, s41
	v_add_co_u32 v15, vcc_lo, v1, s20
	global_load_u16 v27, v[13:14], off
	s_cselect_b32 s26, s26, s42
	s_add_i32 s28, s43, 0xfffff580
	s_ashr_i32 s27, s26, 31
	v_add_co_ci_u32_e32 v16, vcc_lo, s21, v3, vcc_lo
	s_lshl_b64 s[36:37], s[26:27], 1
	s_cmp_lt_i32 s28, s41
	v_add_co_u32 v17, vcc_lo, v1, s22
	s_cselect_b32 s26, s28, s42
	s_add_i32 s30, s43, 0xfffff600
	s_ashr_i32 s27, s26, 31
	v_add_co_ci_u32_e32 v18, vcc_lo, s23, v3, vcc_lo
	s_lshl_b64 s[28:29], s[26:27], 1
	s_cmp_lt_i32 s30, s41
	v_add_co_u32 v19, vcc_lo, v1, s24
	global_load_u16 v17, v[17:18], off
	s_cselect_b32 s26, s30, s42
	s_add_i32 s30, s43, 0xfffff680
	s_ashr_i32 s27, s26, 31
	v_add_co_ci_u32_e32 v20, vcc_lo, s25, v3, vcc_lo
	s_lshl_b64 s[26:27], s[26:27], 1
	s_cmp_lt_i32 s30, s41
	v_add_co_u32 v21, vcc_lo, v1, s36
	s_cselect_b32 s30, s30, s42
	s_add_i32 s46, s43, 0xfffff700
	s_ashr_i32 s31, s30, 31
	v_add_co_ci_u32_e32 v22, vcc_lo, s37, v3, vcc_lo
	s_lshl_b64 s[34:35], s[30:31], 1
	s_cmp_lt_i32 s46, s41
	v_add_co_u32 v5, vcc_lo, v1, s28
	;; [unrolled: 7-line block ×3, first 2 shown]
	s_cselect_b32 s46, s46, s42
	s_add_i32 s48, s43, 0xfffff800
	s_ashr_i32 s47, s46, 31
	global_load_u16 v28, v[15:16], off
	s_lshl_b64 s[38:39], s[46:47], 1
	s_cmp_lt_i32 s48, s41
	v_add_co_ci_u32_e32 v8, vcc_lo, s27, v3, vcc_lo
	s_cselect_b32 s46, s48, s42
	v_add_co_u32 v9, vcc_lo, v1, s34
	s_ashr_i32 s47, s46, 31
	s_add_i32 s4, s43, 0xfffff880
	s_lshl_b64 s[46:47], s[46:47], 1
	v_add_co_ci_u32_e32 v10, vcc_lo, s35, v3, vcc_lo
	s_cmp_lt_i32 s4, s41
	v_add_co_u32 v11, vcc_lo, v1, s30
	s_cselect_b32 s4, s4, s42
	v_add_co_ci_u32_e32 v12, vcc_lo, s31, v3, vcc_lo
	v_add_co_u32 v13, vcc_lo, v1, s38
	s_ashr_i32 s5, s4, 31
	s_add_i32 s6, s43, 0xfffff900
	v_add_co_ci_u32_e32 v14, vcc_lo, s39, v3, vcc_lo
	global_load_u16 v18, v[19:20], off
	s_lshl_b64 s[8:9], s[4:5], 1
	s_cmp_lt_i32 s6, s41
	global_load_u16 v30, v[13:14], off
	s_cselect_b32 s4, s6, s42
	global_load_u16 v19, v[21:22], off
	s_ashr_i32 s5, s4, 31
	s_add_i32 s6, s43, 0xfffff980
	s_lshl_b64 s[10:11], s[4:5], 1
	s_cmp_lt_i32 s6, s41
	s_clause 0x3
	global_load_u16 v20, v[5:6], off
	global_load_u16 v21, v[7:8], off
	;; [unrolled: 1-line block ×4, first 2 shown]
	s_cselect_b32 s4, s6, s42
	s_add_i32 s6, s43, 0xfffffa00
	s_ashr_i32 s5, s4, 31
	v_add_co_u32 v15, vcc_lo, v1, s46
	s_lshl_b64 s[4:5], s[4:5], 1
	s_cmp_lt_i32 s6, s41
	v_add_co_ci_u32_e32 v16, vcc_lo, s47, v3, vcc_lo
	s_cselect_b32 s6, s6, s42
	s_add_i32 s18, s43, 0xfffffa80
	s_ashr_i32 s7, s6, 31
	v_add_co_u32 v5, vcc_lo, v1, s8
	s_lshl_b64 s[6:7], s[6:7], 1
	s_cmp_lt_i32 s18, s41
	v_add_co_ci_u32_e32 v6, vcc_lo, s9, v3, vcc_lo
	s_cselect_b32 s18, s18, s42
	v_add_co_u32 v7, vcc_lo, v1, s10
	s_ashr_i32 s19, s18, 31
	s_add_i32 s20, s43, 0xfffffb00
	s_lshl_b64 s[18:19], s[18:19], 1
	v_add_co_ci_u32_e32 v8, vcc_lo, s11, v3, vcc_lo
	s_cmp_lt_i32 s20, s41
	v_add_co_u32 v9, vcc_lo, v1, s4
	s_cselect_b32 s20, s20, s42
	v_add_co_ci_u32_e32 v10, vcc_lo, s5, v3, vcc_lo
	v_add_co_u32 v11, vcc_lo, v1, s6
	s_ashr_i32 s21, s20, 31
	s_add_i32 s22, s43, 0xfffffb80
	v_add_co_ci_u32_e32 v12, vcc_lo, s7, v3, vcc_lo
	global_load_u16 v15, v[15:16], off
	s_lshl_b64 s[20:21], s[20:21], 1
	s_cmp_lt_i32 s22, s41
	global_load_u16 v33, v[11:12], off
	s_cselect_b32 s22, s22, s42
	s_clause 0x2
	global_load_u16 v16, v[5:6], off
	global_load_u16 v31, v[7:8], off
	global_load_u16 v32, v[9:10], off
	s_ashr_i32 s23, s22, 31
	s_add_i32 s24, s43, 0xfffffc00
	s_lshl_b64 s[22:23], s[22:23], 1
	s_cmp_lt_i32 s24, s41
	v_add_co_u32 v13, vcc_lo, v1, s18
	s_cselect_b32 s24, s24, s42
	s_add_i32 s26, s43, 0xfffffc80
	s_ashr_i32 s25, s24, 31
	v_add_co_ci_u32_e32 v14, vcc_lo, s19, v3, vcc_lo
	s_lshl_b64 s[24:25], s[24:25], 1
	s_cmp_lt_i32 s26, s41
	v_add_co_u32 v5, vcc_lo, v1, s20
	s_cselect_b32 s8, s26, s42
	v_add_co_ci_u32_e32 v6, vcc_lo, s21, v3, vcc_lo
	s_ashr_i32 s9, s8, 31
	v_add_co_u32 v7, vcc_lo, v1, s22
	s_add_i32 s10, s43, 0xfffffd00
	s_lshl_b64 s[8:9], s[8:9], 1
	v_add_co_ci_u32_e32 v8, vcc_lo, s23, v3, vcc_lo
	s_cmp_lt_i32 s10, s41
	v_add_co_u32 v9, vcc_lo, v1, s24
	s_cselect_b32 s4, s10, s42
	global_load_u16 v13, v[13:14], off
	v_add_co_ci_u32_e32 v10, vcc_lo, s25, v3, vcc_lo
	s_ashr_i32 s5, s4, 31
	s_add_i32 s6, s43, 0xfffffd80
	s_lshl_b64 s[4:5], s[4:5], 1
	global_load_u16 v35, v[9:10], off
	s_cmp_lt_i32 s6, s41
	s_clause 0x1
	global_load_u16 v14, v[5:6], off
	global_load_u16 v34, v[7:8], off
	s_cselect_b32 s6, s6, s42
	s_add_i32 s10, s43, 0xfffffe00
	s_ashr_i32 s7, s6, 31
	v_add_co_u32 v5, vcc_lo, v1, s8
	s_lshl_b64 s[6:7], s[6:7], 1
	s_cmp_lt_i32 s10, s41
	v_add_co_ci_u32_e32 v6, vcc_lo, s9, v3, vcc_lo
	s_cselect_b32 s10, s10, s42
	v_add_co_u32 v7, vcc_lo, v1, s4
	s_ashr_i32 s11, s10, 31
	v_add_co_ci_u32_e32 v8, vcc_lo, s5, v3, vcc_lo
	s_add_i32 s18, s43, 0xfffffe80
	s_lshl_b64 s[10:11], s[10:11], 1
	s_cmp_lt_i32 s18, s41
	s_clause 0x1
	global_load_u16 v36, v[5:6], off
	global_load_u16 v37, v[7:8], off
	s_cselect_b32 s18, s18, s42
	v_add_co_u32 v5, vcc_lo, v1, s6
	s_ashr_i32 s19, s18, 31
	v_add_co_ci_u32_e32 v6, vcc_lo, s7, v3, vcc_lo
	s_add_i32 s20, s43, 0xffffff00
	v_add_co_u32 v7, vcc_lo, v1, s10
	s_lshl_b64 s[8:9], s[18:19], 1
	s_cmp_lt_i32 s20, s41
	v_add_co_ci_u32_e32 v8, vcc_lo, s11, v3, vcc_lo
	s_cselect_b32 s4, s20, s42
	global_load_u16 v38, v[5:6], off
	s_ashr_i32 s5, s4, 31
	global_load_u16 v39, v[7:8], off
	s_add_i32 s18, s43, 0xffffff80
	v_add_co_u32 v5, vcc_lo, v1, s8
	s_lshl_b64 s[4:5], s[4:5], 1
	s_cmp_lt_i32 s18, s41
	v_add_co_ci_u32_e32 v6, vcc_lo, s9, v3, vcc_lo
	v_add_co_u32 v7, vcc_lo, v1, s4
	s_cselect_b32 s6, s18, s42
	v_add_co_ci_u32_e32 v8, vcc_lo, s5, v3, vcc_lo
	s_ashr_i32 s7, s6, 31
	global_load_u16 v40, v[5:6], off
	s_lshl_b64 s[6:7], s[6:7], 1
	global_load_u16 v41, v[7:8], off
	s_cmp_lt_i32 s43, s41
	v_add_co_u32 v5, vcc_lo, v1, s6
	s_cselect_b32 s4, s43, s42
	v_add_co_ci_u32_e32 v6, vcc_lo, s7, v3, vcc_lo
	s_ashr_i32 s5, s4, 31
	s_delay_alu instid0(SALU_CYCLE_1)
	s_lshl_b64 s[4:5], s[4:5], 1
	global_load_u16 v42, v[5:6], off
	v_add_co_u32 v5, vcc_lo, v1, s4
	v_add_co_ci_u32_e32 v6, vcc_lo, s5, v3, vcc_lo
	global_load_u16 v43, v[5:6], off
	ds_load_b128 v[5:8], v44
	ds_load_b128 v[9:12], v44 offset:16
	s_waitcnt vmcnt(31)
	v_lshlrev_b32_e32 v2, 16, v2
	s_waitcnt lgkmcnt(1)
	s_delay_alu instid0(VALU_DEP_1) | instskip(SKIP_2) | instid1(VALU_DEP_1)
	v_fmac_f32_e32 v4, v5, v2
	s_waitcnt vmcnt(30)
	v_lshlrev_b32_e32 v2, 16, v23
	v_fmac_f32_e32 v4, v6, v2
	s_waitcnt vmcnt(29)
	v_lshlrev_b32_e32 v2, 16, v24
	s_delay_alu instid0(VALU_DEP_1) | instskip(SKIP_2) | instid1(VALU_DEP_1)
	v_fmac_f32_e32 v4, v7, v2
	s_waitcnt vmcnt(28)
	v_lshlrev_b32_e32 v2, 16, v25
	v_fmac_f32_e32 v4, v8, v2
	ds_load_b128 v[5:8], v44 offset:32
	s_waitcnt vmcnt(27)
	v_lshlrev_b32_e32 v2, 16, v26
	s_waitcnt lgkmcnt(1)
	s_delay_alu instid0(VALU_DEP_1) | instskip(SKIP_2) | instid1(VALU_DEP_1)
	v_fmac_f32_e32 v4, v9, v2
	s_waitcnt vmcnt(26)
	v_lshlrev_b32_e32 v2, 16, v27
	v_fmac_f32_e32 v4, v10, v2
	s_waitcnt vmcnt(24)
	v_lshlrev_b32_e32 v2, 16, v28
	s_delay_alu instid0(VALU_DEP_1) | instskip(SKIP_1) | instid1(VALU_DEP_1)
	v_fmac_f32_e32 v4, v11, v2
	v_lshlrev_b32_e32 v2, 16, v17
	v_fmac_f32_e32 v4, v12, v2
	ds_load_b128 v[9:12], v44 offset:48
	s_waitcnt vmcnt(23)
	v_lshlrev_b32_e32 v2, 16, v18
	s_waitcnt lgkmcnt(1)
	s_delay_alu instid0(VALU_DEP_1) | instskip(SKIP_2) | instid1(VALU_DEP_1)
	v_fmac_f32_e32 v4, v5, v2
	s_waitcnt vmcnt(21)
	v_lshlrev_b32_e32 v2, 16, v19
	v_fmac_f32_e32 v4, v6, v2
	s_waitcnt vmcnt(20)
	v_lshlrev_b32_e32 v2, 16, v20
	s_delay_alu instid0(VALU_DEP_1) | instskip(SKIP_2) | instid1(VALU_DEP_1)
	v_fmac_f32_e32 v4, v7, v2
	s_waitcnt vmcnt(19)
	v_lshlrev_b32_e32 v2, 16, v21
	v_fmac_f32_e32 v4, v8, v2
	s_waitcnt vmcnt(18)
	v_lshlrev_b32_e32 v2, 16, v22
	ds_load_b128 v[5:8], v44 offset:64
	s_waitcnt lgkmcnt(1)
	v_fmac_f32_e32 v4, v9, v2
	s_waitcnt vmcnt(17)
	v_lshlrev_b32_e32 v2, 16, v29
	s_delay_alu instid0(VALU_DEP_1) | instskip(SKIP_1) | instid1(VALU_DEP_1)
	v_fmac_f32_e32 v4, v10, v2
	v_lshlrev_b32_e32 v2, 16, v30
	v_fmac_f32_e32 v4, v11, v2
	s_waitcnt vmcnt(16)
	v_lshlrev_b32_e32 v2, 16, v15
	s_delay_alu instid0(VALU_DEP_1) | instskip(SKIP_4) | instid1(VALU_DEP_1)
	v_fmac_f32_e32 v4, v12, v2
	ds_load_b128 v[9:12], v44 offset:80
	s_waitcnt vmcnt(14)
	v_lshlrev_b32_e32 v2, 16, v16
	s_waitcnt lgkmcnt(1)
	v_fmac_f32_e32 v4, v5, v2
	s_waitcnt vmcnt(13)
	v_lshlrev_b32_e32 v2, 16, v31
	s_delay_alu instid0(VALU_DEP_1) | instskip(SKIP_2) | instid1(VALU_DEP_1)
	v_fmac_f32_e32 v4, v6, v2
	s_waitcnt vmcnt(12)
	v_lshlrev_b32_e32 v2, 16, v32
	v_fmac_f32_e32 v4, v7, v2
	v_lshlrev_b32_e32 v2, 16, v33
	s_delay_alu instid0(VALU_DEP_1) | instskip(SKIP_4) | instid1(VALU_DEP_1)
	v_fmac_f32_e32 v4, v8, v2
	ds_load_b128 v[5:8], v44 offset:96
	s_waitcnt vmcnt(11)
	v_lshlrev_b32_e32 v2, 16, v13
	s_waitcnt lgkmcnt(1)
	v_fmac_f32_e32 v4, v9, v2
	s_waitcnt vmcnt(9)
	v_lshlrev_b32_e32 v2, 16, v14
	s_delay_alu instid0(VALU_DEP_1) | instskip(SKIP_2) | instid1(VALU_DEP_1)
	v_fmac_f32_e32 v4, v10, v2
	s_waitcnt vmcnt(8)
	v_lshlrev_b32_e32 v2, 16, v34
	v_fmac_f32_e32 v4, v11, v2
	;; [unrolled: 15-line block ×3, first 2 shown]
	s_waitcnt vmcnt(4)
	v_lshlrev_b32_e32 v2, 16, v39
	s_delay_alu instid0(VALU_DEP_1) | instskip(SKIP_3) | instid1(VALU_DEP_1)
	v_fmac_f32_e32 v4, v8, v2
	s_waitcnt vmcnt(3)
	v_lshlrev_b32_e32 v2, 16, v40
	s_waitcnt lgkmcnt(0)
	v_fmac_f32_e32 v4, v9, v2
	s_waitcnt vmcnt(2)
	v_lshlrev_b32_e32 v2, 16, v41
	s_delay_alu instid0(VALU_DEP_1) | instskip(SKIP_2) | instid1(VALU_DEP_1)
	v_fmac_f32_e32 v4, v10, v2
	s_waitcnt vmcnt(1)
	v_lshlrev_b32_e32 v2, 16, v42
	v_fmac_f32_e32 v4, v11, v2
	s_waitcnt vmcnt(0)
	v_lshlrev_b32_e32 v2, 16, v43
	s_delay_alu instid0(VALU_DEP_1)
	v_fmac_f32_e32 v4, v12, v2
	s_branch .LBB655_14
.LBB655_17:
	v_mov_b32_e32 v1, 0
	s_and_b32 vcc_lo, exec_lo, s15
	ds_load_b32 v1, v1 offset:768
	s_cbranch_vccz .LBB655_19
; %bb.18:
	s_add_u32 s2, s12, s16
	s_addc_u32 s3, s13, s17
	s_load_b32 s2, s[2:3], 0x0
	s_mov_b32 s3, 0
.LBB655_19:
	s_waitcnt lgkmcnt(0)
	v_add_f32_e32 v1, 0x358637bd, v1
	s_delay_alu instid0(VALU_DEP_1) | instskip(NEXT) | instid1(VALU_DEP_1)
	v_div_scale_f32 v2, null, v1, v1, 1.0
	v_rcp_f32_e32 v3, v2
	s_waitcnt_depctr 0xfff
	v_fma_f32 v5, -v2, v3, 1.0
	s_delay_alu instid0(VALU_DEP_1) | instskip(SKIP_1) | instid1(VALU_DEP_1)
	v_fmac_f32_e32 v3, v5, v3
	v_div_scale_f32 v5, vcc_lo, 1.0, v1, 1.0
	v_mul_f32_e32 v6, v5, v3
	s_delay_alu instid0(VALU_DEP_1) | instskip(NEXT) | instid1(VALU_DEP_1)
	v_fma_f32 v7, -v2, v6, v5
	v_fmac_f32_e32 v6, v7, v3
	s_delay_alu instid0(VALU_DEP_1) | instskip(NEXT) | instid1(VALU_DEP_1)
	v_fma_f32 v2, -v2, v6, v5
	v_div_fmas_f32 v2, v2, v3, v6
	s_delay_alu instid0(VALU_DEP_1) | instskip(NEXT) | instid1(VALU_DEP_1)
	v_div_fixup_f32 v1, v2, v1, 1.0
	v_mul_f32_e32 v2, v4, v1
	s_delay_alu instid0(VALU_DEP_1) | instskip(NEXT) | instid1(VALU_DEP_1)
	v_and_b32_e32 v1, 0x7f800000, v2
	v_cmp_ne_u32_e32 vcc_lo, 0x7f800000, v1
                                        ; implicit-def: $vgpr1
	s_and_saveexec_b32 s4, vcc_lo
	s_delay_alu instid0(SALU_CYCLE_1)
	s_xor_b32 s4, exec_lo, s4
; %bb.20:
	v_bfe_u32 v1, v2, 16, 1
	s_delay_alu instid0(VALU_DEP_1)
	v_add3_u32 v1, v2, v1, 0x7fff
                                        ; implicit-def: $vgpr2
; %bb.21:
	s_and_not1_saveexec_b32 s4, s4
; %bb.22:
	v_and_b32_e32 v1, 0xffff, v2
	v_or_b32_e32 v3, 0x10000, v2
	s_delay_alu instid0(VALU_DEP_2) | instskip(NEXT) | instid1(VALU_DEP_2)
	v_cmp_eq_u32_e32 vcc_lo, 0, v1
	v_cndmask_b32_e32 v1, v3, v2, vcc_lo
; %bb.23:
	s_or_b32 exec_lo, exec_lo, s4
	s_mul_i32 s3, s33, s3
	s_mul_hi_u32 s4, s33, s2
	s_mul_i32 s2, s33, s2
	s_add_i32 s3, s4, s3
	s_mov_b32 s15, 0
	s_lshl_b64 s[2:3], s[2:3], 8
	s_delay_alu instid0(SALU_CYCLE_1) | instskip(SKIP_2) | instid1(SALU_CYCLE_1)
	s_add_u32 s2, s0, s2
	s_addc_u32 s3, s1, s3
	s_lshl_b64 s[0:1], s[14:15], 8
	s_add_u32 s0, s2, s0
	s_addc_u32 s1, s3, s1
	global_store_d16_hi_b16 v0, v1, s[0:1]
	s_nop 0
	s_sendmsg sendmsg(MSG_DEALLOC_VGPRS)
	s_endpgm
.LBB655_24:
	s_mov_b32 s4, 0
	s_branch .LBB655_2
	.section	.rodata,"a",@progbits
	.p2align	6, 0x0
	.amdhsa_kernel _Z35paged_attention_ll4mi_reduce_kernelI14__hip_bfloat16S0_Li128ELi128ELi256ELi6EEvPT0_PKfS4_PKT_PKiS9_iS4_
		.amdhsa_group_segment_fixed_size 772
		.amdhsa_private_segment_fixed_size 0
		.amdhsa_kernarg_size 320
		.amdhsa_user_sgpr_count 14
		.amdhsa_user_sgpr_dispatch_ptr 0
		.amdhsa_user_sgpr_queue_ptr 0
		.amdhsa_user_sgpr_kernarg_segment_ptr 1
		.amdhsa_user_sgpr_dispatch_id 0
		.amdhsa_user_sgpr_private_segment_size 0
		.amdhsa_wavefront_size32 1
		.amdhsa_uses_dynamic_stack 0
		.amdhsa_enable_private_segment 0
		.amdhsa_system_sgpr_workgroup_id_x 1
		.amdhsa_system_sgpr_workgroup_id_y 1
		.amdhsa_system_sgpr_workgroup_id_z 0
		.amdhsa_system_sgpr_workgroup_info 0
		.amdhsa_system_vgpr_workitem_id 0
		.amdhsa_next_free_vgpr 52
		.amdhsa_next_free_sgpr 49
		.amdhsa_reserve_vcc 1
		.amdhsa_float_round_mode_32 0
		.amdhsa_float_round_mode_16_64 0
		.amdhsa_float_denorm_mode_32 3
		.amdhsa_float_denorm_mode_16_64 3
		.amdhsa_dx10_clamp 1
		.amdhsa_ieee_mode 1
		.amdhsa_fp16_overflow 0
		.amdhsa_workgroup_processor_mode 1
		.amdhsa_memory_ordered 1
		.amdhsa_forward_progress 0
		.amdhsa_shared_vgpr_count 0
		.amdhsa_exception_fp_ieee_invalid_op 0
		.amdhsa_exception_fp_denorm_src 0
		.amdhsa_exception_fp_ieee_div_zero 0
		.amdhsa_exception_fp_ieee_overflow 0
		.amdhsa_exception_fp_ieee_underflow 0
		.amdhsa_exception_fp_ieee_inexact 0
		.amdhsa_exception_int_div_zero 0
	.end_amdhsa_kernel
	.section	.text._Z35paged_attention_ll4mi_reduce_kernelI14__hip_bfloat16S0_Li128ELi128ELi256ELi6EEvPT0_PKfS4_PKT_PKiS9_iS4_,"axG",@progbits,_Z35paged_attention_ll4mi_reduce_kernelI14__hip_bfloat16S0_Li128ELi128ELi256ELi6EEvPT0_PKfS4_PKT_PKiS9_iS4_,comdat
.Lfunc_end655:
	.size	_Z35paged_attention_ll4mi_reduce_kernelI14__hip_bfloat16S0_Li128ELi128ELi256ELi6EEvPT0_PKfS4_PKT_PKiS9_iS4_, .Lfunc_end655-_Z35paged_attention_ll4mi_reduce_kernelI14__hip_bfloat16S0_Li128ELi128ELi256ELi6EEvPT0_PKfS4_PKT_PKiS9_iS4_
                                        ; -- End function
	.section	.AMDGPU.csdata,"",@progbits
; Kernel info:
; codeLenInByte = 6288
; NumSgprs: 51
; NumVgprs: 52
; ScratchSize: 0
; MemoryBound: 0
; FloatMode: 240
; IeeeMode: 1
; LDSByteSize: 772 bytes/workgroup (compile time only)
; SGPRBlocks: 6
; VGPRBlocks: 6
; NumSGPRsForWavesPerEU: 51
; NumVGPRsForWavesPerEU: 52
; Occupancy: 16
; WaveLimiterHint : 0
; COMPUTE_PGM_RSRC2:SCRATCH_EN: 0
; COMPUTE_PGM_RSRC2:USER_SGPR: 14
; COMPUTE_PGM_RSRC2:TRAP_HANDLER: 0
; COMPUTE_PGM_RSRC2:TGID_X_EN: 1
; COMPUTE_PGM_RSRC2:TGID_Y_EN: 1
; COMPUTE_PGM_RSRC2:TGID_Z_EN: 0
; COMPUTE_PGM_RSRC2:TIDIG_COMP_CNT: 0
	.section	.text._Z35paged_attention_ll4mi_reduce_kernelI14__hip_bfloat16S0_Li128ELi128ELi256ELi7EEvPT0_PKfS4_PKT_PKiS9_iS4_,"axG",@progbits,_Z35paged_attention_ll4mi_reduce_kernelI14__hip_bfloat16S0_Li128ELi128ELi256ELi7EEvPT0_PKfS4_PKT_PKiS9_iS4_,comdat
	.protected	_Z35paged_attention_ll4mi_reduce_kernelI14__hip_bfloat16S0_Li128ELi128ELi256ELi7EEvPT0_PKfS4_PKT_PKiS9_iS4_ ; -- Begin function _Z35paged_attention_ll4mi_reduce_kernelI14__hip_bfloat16S0_Li128ELi128ELi256ELi7EEvPT0_PKfS4_PKT_PKiS9_iS4_
	.globl	_Z35paged_attention_ll4mi_reduce_kernelI14__hip_bfloat16S0_Li128ELi128ELi256ELi7EEvPT0_PKfS4_PKT_PKiS9_iS4_
	.p2align	8
	.type	_Z35paged_attention_ll4mi_reduce_kernelI14__hip_bfloat16S0_Li128ELi128ELi256ELi7EEvPT0_PKfS4_PKT_PKiS9_iS4_,@function
_Z35paged_attention_ll4mi_reduce_kernelI14__hip_bfloat16S0_Li128ELi128ELi256ELi7EEvPT0_PKfS4_PKT_PKiS9_iS4_: ; @_Z35paged_attention_ll4mi_reduce_kernelI14__hip_bfloat16S0_Li128ELi128ELi256ELi7EEvPT0_PKfS4_PKT_PKiS9_iS4_
; %bb.0:
	s_load_b64 s[12:13], s[0:1], 0x28
	s_mov_b32 s2, s15
	s_waitcnt lgkmcnt(0)
	s_cmp_lg_u64 s[12:13], 0
	s_cselect_b32 s15, -1, 0
	s_delay_alu instid0(SALU_CYCLE_1)
	s_and_b32 vcc_lo, exec_lo, s15
	s_cbranch_vccz .LBB656_24
; %bb.1:
	s_add_i32 s4, s2, 1
	s_mov_b32 s5, 0
	s_delay_alu instid0(SALU_CYCLE_1) | instskip(SKIP_4) | instid1(SALU_CYCLE_1)
	s_lshl_b64 s[6:7], s[4:5], 2
	s_mov_b32 s3, s5
	s_add_u32 s6, s12, s6
	s_addc_u32 s7, s13, s7
	s_lshl_b64 s[8:9], s[2:3], 2
	s_add_u32 s8, s12, s8
	s_addc_u32 s9, s13, s9
	s_clause 0x1
	s_load_b32 s4, s[6:7], 0x0
	s_load_b32 s6, s[8:9], 0x0
	s_waitcnt lgkmcnt(0)
	s_sub_i32 s4, s4, s6
	s_delay_alu instid0(SALU_CYCLE_1)
	s_cmp_eq_u32 s4, 1
	s_cselect_b32 s4, -1, 0
	s_cbranch_execnz .LBB656_3
.LBB656_2:
	s_mov_b32 s3, 0
	s_mov_b32 s4, -1
.LBB656_3:
	s_delay_alu instid0(SALU_CYCLE_1)
	s_and_not1_b32 vcc_lo, exec_lo, s4
	s_cbranch_vccz .LBB656_5
; %bb.4:
	s_endpgm
.LBB656_5:
	s_clause 0x1
	s_load_b128 s[4:7], s[0:1], 0x18
	s_load_b32 s9, s[0:1], 0x30
	s_lshl_b64 s[16:17], s[2:3], 2
	s_waitcnt lgkmcnt(0)
	s_add_u32 s6, s6, s16
	s_addc_u32 s7, s7, s17
	s_load_b32 s23, s[6:7], 0x0
	s_load_b32 s33, s[0:1], 0x40
	s_mul_i32 s7, s2, s9
	s_waitcnt lgkmcnt(0)
	s_add_i32 s22, s23, 0xff
	s_delay_alu instid0(SALU_CYCLE_1) | instskip(NEXT) | instid1(SALU_CYCLE_1)
	s_ashr_i32 s6, s22, 31
	s_lshr_b32 s6, s6, 24
	s_delay_alu instid0(SALU_CYCLE_1) | instskip(SKIP_4) | instid1(SALU_CYCLE_1)
	s_add_i32 s8, s22, s6
	s_mul_i32 s6, s14, s9
	s_mov_b32 s9, exec_lo
	v_cmpx_lt_u32_e32 31, v0
	s_xor_b32 s9, exec_lo, s9
	s_or_saveexec_b32 s24, s9
	v_mov_b32_e32 v1, s6
	s_ashr_i32 s40, s8, 8
	s_mul_i32 s18, s7, s33
	s_xor_b32 exec_lo, exec_lo, s24
	s_cbranch_execz .LBB656_9
; %bb.6:
	v_or_b32_e32 v2, 32, v0
	v_cmp_gt_i32_e32 vcc_lo, s40, v0
	s_add_i32 s20, s40, -1
	v_or_b32_e32 v4, 64, v0
	v_or_b32_e32 v6, 0xa0, v0
	s_load_b128 s[8:11], s[0:1], 0x8
	v_cndmask_b32_e32 v1, s20, v0, vcc_lo
	v_cmp_gt_i32_e32 vcc_lo, s40, v2
	s_mov_b32 s19, 0
	s_delay_alu instid0(SALU_CYCLE_1)
	s_mov_b32 s7, s19
	v_cndmask_b32_e32 v3, s20, v2, vcc_lo
	v_or_b32_e32 v2, 0x60, v0
	v_cmp_gt_i32_e32 vcc_lo, s40, v4
	v_cndmask_b32_e32 v5, s20, v4, vcc_lo
	v_or_b32_e32 v4, 0x80, v0
	s_delay_alu instid0(VALU_DEP_4) | instskip(SKIP_1) | instid1(VALU_DEP_3)
	v_cmp_gt_i32_e32 vcc_lo, s40, v2
	v_cndmask_b32_e32 v7, s20, v2, vcc_lo
	v_cmp_gt_i32_e32 vcc_lo, s40, v4
	v_or_b32_e32 v2, 0xc0, v0
	s_delay_alu instid0(VALU_DEP_3) | instskip(SKIP_3) | instid1(VALU_DEP_4)
	v_ashrrev_i32_e32 v8, 31, v7
	v_cndmask_b32_e32 v9, s20, v4, vcc_lo
	v_cmp_gt_i32_e32 vcc_lo, s40, v6
	v_ashrrev_i32_e32 v4, 31, v3
	v_lshlrev_b64 v[7:8], 2, v[7:8]
	s_delay_alu instid0(VALU_DEP_4)
	v_ashrrev_i32_e32 v10, 31, v9
	v_cndmask_b32_e32 v11, s20, v6, vcc_lo
	v_cmp_gt_i32_e32 vcc_lo, s40, v2
	v_ashrrev_i32_e32 v6, 31, v5
	v_lshlrev_b64 v[3:4], 2, v[3:4]
	v_lshlrev_b64 v[9:10], 2, v[9:10]
	v_ashrrev_i32_e32 v12, 31, v11
	v_cndmask_b32_e32 v13, s20, v2, vcc_lo
	v_ashrrev_i32_e32 v2, 31, v1
	s_lshl_b64 s[20:21], s[18:19], 2
	v_lshlrev_b64 v[5:6], 2, v[5:6]
	s_waitcnt lgkmcnt(0)
	s_add_u32 s19, s10, s20
	s_addc_u32 s25, s11, s21
	v_lshlrev_b64 v[1:2], 2, v[1:2]
	s_lshl_b64 s[10:11], s[6:7], 2
	v_lshlrev_b64 v[11:12], 2, v[11:12]
	s_add_u32 s7, s19, s10
	s_addc_u32 s19, s25, s11
	s_delay_alu instid0(VALU_DEP_2)
	v_add_co_u32 v14, vcc_lo, s7, v1
	v_add_co_ci_u32_e32 v15, vcc_lo, s19, v2, vcc_lo
	v_add_co_u32 v16, vcc_lo, s7, v3
	v_add_co_ci_u32_e32 v17, vcc_lo, s19, v4, vcc_lo
	;; [unrolled: 2-line block ×3, first 2 shown]
	s_clause 0x2
	global_load_b32 v23, v[14:15], off
	global_load_b32 v24, v[16:17], off
	;; [unrolled: 1-line block ×3, first 2 shown]
	v_ashrrev_i32_e32 v14, 31, v13
	v_add_co_u32 v15, vcc_lo, s7, v7
	v_add_co_ci_u32_e32 v16, vcc_lo, s19, v8, vcc_lo
	v_add_co_u32 v17, vcc_lo, s7, v9
	s_delay_alu instid0(VALU_DEP_4) | instskip(SKIP_3) | instid1(VALU_DEP_4)
	v_lshlrev_b64 v[13:14], 2, v[13:14]
	v_add_co_ci_u32_e32 v18, vcc_lo, s19, v10, vcc_lo
	v_add_co_u32 v19, vcc_lo, s7, v11
	v_add_co_ci_u32_e32 v20, vcc_lo, s19, v12, vcc_lo
	v_add_co_u32 v21, vcc_lo, s7, v13
	v_add_co_ci_u32_e32 v22, vcc_lo, s19, v14, vcc_lo
	s_clause 0x3
	global_load_b32 v15, v[15:16], off
	global_load_b32 v16, v[17:18], off
	;; [unrolled: 1-line block ×4, first 2 shown]
	s_add_u32 s7, s8, s20
	s_addc_u32 s8, s9, s21
	s_add_u32 s7, s7, s10
	s_addc_u32 s8, s8, s11
	v_add_co_u32 v1, vcc_lo, s7, v1
	v_add_co_ci_u32_e32 v2, vcc_lo, s8, v2, vcc_lo
	v_add_co_u32 v3, vcc_lo, s7, v3
	v_add_co_ci_u32_e32 v4, vcc_lo, s8, v4, vcc_lo
	;; [unrolled: 2-line block ×5, first 2 shown]
	s_clause 0x4
	global_load_b32 v19, v[1:2], off
	global_load_b32 v3, v[3:4], off
	;; [unrolled: 1-line block ×5, first 2 shown]
	v_add_co_u32 v1, vcc_lo, s7, v11
	v_add_co_ci_u32_e32 v2, vcc_lo, s8, v12, vcc_lo
	global_load_b32 v7, v[1:2], off
	v_add_co_u32 v1, vcc_lo, s7, v13
	v_add_co_ci_u32_e32 v2, vcc_lo, s8, v14, vcc_lo
	s_mov_b32 s7, exec_lo
	global_load_b32 v1, v[1:2], off
	v_mbcnt_lo_u32_b32 v2, -1, 0
	s_delay_alu instid0(VALU_DEP_1)
	v_xor_b32_e32 v8, 16, v2
	v_xor_b32_e32 v11, 8, v2
	v_xor_b32_e32 v12, 4, v2
	v_xor_b32_e32 v13, 2, v2
	v_xor_b32_e32 v14, 1, v2
	v_cmp_gt_i32_e32 vcc_lo, 32, v8
	v_cndmask_b32_e32 v8, v2, v8, vcc_lo
	v_cmp_gt_i32_e32 vcc_lo, 32, v11
	v_cndmask_b32_e32 v11, v2, v11, vcc_lo
	;; [unrolled: 2-line block ×4, first 2 shown]
	v_cmp_gt_i32_e32 vcc_lo, 32, v14
	s_delay_alu instid0(VALU_DEP_2) | instskip(NEXT) | instid1(VALU_DEP_1)
	v_dual_cndmask_b32 v2, v2, v14 :: v_dual_lshlrev_b32 v13, 2, v13
	v_lshlrev_b32_e32 v2, 2, v2
	v_lshlrev_b32_e32 v11, 2, v11
	;; [unrolled: 1-line block ×3, first 2 shown]
	s_waitcnt vmcnt(11)
	v_max3_f32 v9, v23, v24, v25
	s_waitcnt vmcnt(9)
	s_delay_alu instid0(VALU_DEP_1) | instskip(SKIP_1) | instid1(VALU_DEP_1)
	v_max3_f32 v9, v9, v15, v16
	s_waitcnt vmcnt(7)
	v_max3_f32 v9, v9, v17, v18
	ds_bpermute_b32 v10, v8, v9
	s_waitcnt lgkmcnt(0)
	v_max_f32_e32 v10, v10, v10
	s_delay_alu instid0(VALU_DEP_1) | instskip(SKIP_3) | instid1(VALU_DEP_1)
	v_max_f32_e32 v9, v9, v10
	ds_bpermute_b32 v10, v11, v9
	s_waitcnt lgkmcnt(0)
	v_max_f32_e32 v10, v10, v10
	v_dual_max_f32 v9, v9, v10 :: v_dual_lshlrev_b32 v12, 2, v12
	ds_bpermute_b32 v10, v12, v9
	s_waitcnt lgkmcnt(0)
	v_max_f32_e32 v10, v10, v10
	s_delay_alu instid0(VALU_DEP_1) | instskip(SKIP_3) | instid1(VALU_DEP_1)
	v_max_f32_e32 v9, v9, v10
	ds_bpermute_b32 v10, v13, v9
	s_waitcnt lgkmcnt(0)
	v_max_f32_e32 v10, v10, v10
	v_max_f32_e32 v9, v9, v10
	ds_bpermute_b32 v10, v2, v9
	s_waitcnt lgkmcnt(0)
	v_max_f32_e32 v10, v10, v10
	s_delay_alu instid0(VALU_DEP_1) | instskip(SKIP_1) | instid1(VALU_DEP_2)
	v_max_f32_e32 v9, v9, v10
	v_sub_nc_u32_e32 v10, s40, v0
	v_sub_f32_e32 v20, v24, v9
	v_sub_f32_e32 v21, v25, v9
	;; [unrolled: 1-line block ×4, first 2 shown]
	s_delay_alu instid0(VALU_DEP_4) | instskip(NEXT) | instid1(VALU_DEP_3)
	v_dual_sub_f32 v17, v17, v9 :: v_dual_mul_f32 v22, 0x3fb8aa3b, v20
	v_mul_f32_e32 v24, 0x3fb8aa3b, v15
	s_delay_alu instid0(VALU_DEP_3) | instskip(NEXT) | instid1(VALU_DEP_3)
	v_cmp_ngt_f32_e32 vcc_lo, 0xc2ce8ed0, v14
	v_rndne_f32_e32 v31, v22
	v_mul_f32_e32 v23, 0x3fb8aa3b, v21
	v_fma_f32 v30, 0x3fb8aa3b, v20, -v22
	v_fma_f32 v34, 0x3fb8aa3b, v15, -v24
	v_rndne_f32_e32 v35, v24
	v_sub_f32_e32 v22, v22, v31
	v_fma_f32 v32, 0x3fb8aa3b, v21, -v23
	v_rndne_f32_e32 v33, v23
	v_fmac_f32_e32 v34, 0x32a5705f, v15
	v_sub_f32_e32 v24, v24, v35
	v_fmac_f32_e32 v30, 0x32a5705f, v20
	v_fmac_f32_e32 v32, 0x32a5705f, v21
	v_sub_f32_e32 v23, v23, v33
	v_sub_f32_e32 v16, v16, v9
	v_dual_sub_f32 v9, v18, v9 :: v_dual_mul_f32 v18, 0x3fb8aa3b, v14
	v_cvt_i32_f32_e32 v31, v31
	s_delay_alu instid0(VALU_DEP_4) | instskip(NEXT) | instid1(VALU_DEP_4)
	v_add_f32_e32 v23, v23, v32
	v_dual_mul_f32 v25, 0x3fb8aa3b, v16 :: v_dual_add_f32 v24, v24, v34
	s_delay_alu instid0(VALU_DEP_4) | instskip(SKIP_1) | instid1(VALU_DEP_4)
	v_fma_f32 v28, 0x3fb8aa3b, v14, -v18
	v_rndne_f32_e32 v29, v18
	v_exp_f32_e32 v23, v23
	s_delay_alu instid0(VALU_DEP_3) | instskip(SKIP_4) | instid1(VALU_DEP_4)
	v_fma_f32 v36, 0x3fb8aa3b, v16, -v25
	v_rndne_f32_e32 v37, v25
	v_fmac_f32_e32 v28, 0x32a5705f, v14
	v_mul_f32_e32 v26, 0x3fb8aa3b, v17
	v_sub_f32_e32 v18, v18, v29
	v_dual_fmac_f32 v36, 0x32a5705f, v16 :: v_dual_sub_f32 v25, v25, v37
	v_cvt_i32_f32_e32 v29, v29
	s_delay_alu instid0(VALU_DEP_4)
	v_rndne_f32_e32 v39, v26
	v_mul_f32_e32 v27, 0x3fb8aa3b, v9
	v_fma_f32 v38, 0x3fb8aa3b, v17, -v26
	v_add_f32_e32 v25, v25, v36
	v_add_f32_e32 v18, v18, v28
	v_sub_f32_e32 v26, v26, v39
	v_rndne_f32_e32 v41, v27
	v_fma_f32 v40, 0x3fb8aa3b, v9, -v27
	v_exp_f32_e32 v25, v25
	v_cvt_i32_f32_e32 v28, v37
	v_exp_f32_e32 v18, v18
	v_sub_f32_e32 v27, v27, v41
	v_cvt_i32_f32_e32 v33, v33
	v_exp_f32_e32 v24, v24
	v_cvt_i32_f32_e32 v35, v35
	v_cvt_i32_f32_e32 v32, v41
	s_delay_alu instid0(VALU_DEP_3) | instskip(NEXT) | instid1(TRANS32_DEP_3)
	v_ldexp_f32 v23, v23, v33
	v_ldexp_f32 v25, v25, v28
	v_add_f32_e32 v22, v22, v30
	s_delay_alu instid0(TRANS32_DEP_2) | instskip(SKIP_1) | instid1(TRANS32_DEP_1)
	v_ldexp_f32 v18, v18, v29
	v_cvt_i32_f32_e32 v30, v39
	v_ldexp_f32 v24, v24, v35
	s_delay_alu instid0(VALU_DEP_4) | instskip(NEXT) | instid1(VALU_DEP_3)
	v_exp_f32_e32 v22, v22
	v_cndmask_b32_e32 v18, 0, v18, vcc_lo
	v_cmp_ngt_f32_e32 vcc_lo, 0xc2ce8ed0, v20
	s_waitcnt_depctr 0xfff
	v_ldexp_f32 v22, v22, v31
	s_delay_alu instid0(VALU_DEP_1) | instskip(SKIP_3) | instid1(VALU_DEP_2)
	v_cndmask_b32_e32 v22, 0, v22, vcc_lo
	v_cmp_ngt_f32_e32 vcc_lo, 0xc2ce8ed0, v21
	v_dual_fmac_f32 v40, 0x32a5705f, v9 :: v_dual_cndmask_b32 v23, 0, v23
	v_cmp_ngt_f32_e32 vcc_lo, 0xc2ce8ed0, v15
	v_dual_fmac_f32 v38, 0x32a5705f, v17 :: v_dual_add_f32 v27, v27, v40
	v_cndmask_b32_e32 v24, 0, v24, vcc_lo
	v_cmp_ngt_f32_e32 vcc_lo, 0xc2ce8ed0, v16
	s_delay_alu instid0(VALU_DEP_3)
	v_exp_f32_e32 v27, v27
	v_cndmask_b32_e32 v25, 0, v25, vcc_lo
	v_cmp_nlt_f32_e32 vcc_lo, 0x42b17218, v14
	v_cndmask_b32_e32 v14, 0x7f800000, v18, vcc_lo
	v_cmp_nlt_f32_e32 vcc_lo, 0x42b17218, v20
	v_cndmask_b32_e32 v18, 0x7f800000, v22, vcc_lo
	v_cmp_nlt_f32_e32 vcc_lo, 0x42b17218, v21
	v_cndmask_b32_e32 v20, 0x7f800000, v23, vcc_lo
	v_cmp_nlt_f32_e32 vcc_lo, 0x42b17218, v15
	v_dual_add_f32 v26, v26, v38 :: v_dual_cndmask_b32 v15, 0x7f800000, v24
	v_cmp_nlt_f32_e32 vcc_lo, 0x42b17218, v16
	s_delay_alu instid0(VALU_DEP_2)
	v_exp_f32_e32 v26, v26
	v_cndmask_b32_e32 v16, 0x7f800000, v25, vcc_lo
	v_cmp_lt_i32_e32 vcc_lo, 0, v10
	v_cndmask_b32_e32 v14, 0, v14, vcc_lo
	v_cmp_lt_i32_e32 vcc_lo, 32, v10
	s_waitcnt_depctr 0xfff
	v_ldexp_f32 v26, v26, v30
	v_cndmask_b32_e32 v18, 0, v18, vcc_lo
	v_cmp_lt_i32_e32 vcc_lo, 64, v10
	v_cndmask_b32_e32 v20, 0, v20, vcc_lo
	v_cmp_lt_i32_e32 vcc_lo, 0x60, v10
	;; [unrolled: 2-line block ×3, first 2 shown]
	s_waitcnt vmcnt(3)
	s_delay_alu instid0(VALU_DEP_2) | instskip(SKIP_2) | instid1(VALU_DEP_2)
	v_dual_mul_f32 v5, v5, v15 :: v_dual_cndmask_b32 v16, 0, v16
	v_cmp_ngt_f32_e32 vcc_lo, 0xc2ce8ed0, v17
	s_waitcnt vmcnt(2)
	v_dual_mul_f32 v6, v6, v16 :: v_dual_cndmask_b32 v15, 0, v26
	v_cmp_nlt_f32_e32 vcc_lo, 0x42b17218, v17
	v_mul_f32_e32 v4, v4, v20
	v_ldexp_f32 v16, v27, v32
	s_delay_alu instid0(VALU_DEP_4) | instskip(SKIP_1) | instid1(VALU_DEP_3)
	v_cndmask_b32_e32 v15, 0x7f800000, v15, vcc_lo
	v_cmp_ngt_f32_e32 vcc_lo, 0xc2ce8ed0, v9
	v_cndmask_b32_e32 v16, 0, v16, vcc_lo
	v_cmp_lt_i32_e32 vcc_lo, 0xa0, v10
	s_delay_alu instid0(VALU_DEP_4) | instskip(SKIP_3) | instid1(VALU_DEP_3)
	v_cndmask_b32_e32 v15, 0, v15, vcc_lo
	v_cmp_nlt_f32_e32 vcc_lo, 0x42b17218, v9
	v_mul_f32_e32 v14, v19, v14
	s_waitcnt vmcnt(1)
	v_mul_f32_e32 v7, v7, v15
	v_cndmask_b32_e32 v9, 0x7f800000, v16, vcc_lo
	v_cmp_lt_i32_e32 vcc_lo, 0xc0, v10
	s_delay_alu instid0(VALU_DEP_2) | instskip(SKIP_2) | instid1(VALU_DEP_1)
	v_cndmask_b32_e32 v9, 0, v9, vcc_lo
	v_mul_f32_e32 v3, v3, v18
	s_waitcnt vmcnt(0)
	v_dual_mul_f32 v9, v1, v9 :: v_dual_add_f32 v18, v14, v3
	s_delay_alu instid0(VALU_DEP_1) | instskip(NEXT) | instid1(VALU_DEP_1)
	v_add_f32_e32 v17, v18, v4
	v_add_f32_e32 v16, v17, v5
	s_delay_alu instid0(VALU_DEP_1) | instskip(NEXT) | instid1(VALU_DEP_1)
	v_add_f32_e32 v10, v16, v6
	v_add_f32_e32 v1, v10, v7
	s_delay_alu instid0(VALU_DEP_1)
	v_add_f32_e32 v1, v1, v9
	ds_bpermute_b32 v8, v8, v1
	s_waitcnt lgkmcnt(0)
	v_add_f32_e32 v1, v1, v8
	ds_bpermute_b32 v8, v11, v1
	s_waitcnt lgkmcnt(0)
	;; [unrolled: 3-line block ×4, first 2 shown]
	v_add_f32_e32 v1, v1, v8
	v_lshlrev_b32_e32 v8, 2, v0
	ds_store_2addr_b32 v8, v14, v3 offset1:32
	ds_store_2addr_b32 v8, v4, v5 offset0:64 offset1:96
	ds_store_2addr_b32 v8, v6, v7 offset0:128 offset1:160
	ds_store_b32 v8, v9 offset:768
	ds_bpermute_b32 v2, v2, v1
	v_cmpx_eq_u32_e32 0, v0
	s_cbranch_execz .LBB656_8
; %bb.7:
	s_waitcnt lgkmcnt(0)
	v_dual_add_f32 v1, v1, v2 :: v_dual_mov_b32 v2, 0
	ds_store_b32 v2, v1 offset:896
.LBB656_8:
	s_or_b32 exec_lo, exec_lo, s7
	v_mov_b32_e32 v1, s6
.LBB656_9:
	s_or_b32 exec_lo, exec_lo, s24
	s_lshl_b32 s6, s18, 7
	s_mov_b32 s7, 0
	s_waitcnt lgkmcnt(0)
	v_dual_mov_b32 v2, 0 :: v_dual_lshlrev_b32 v1, 7, v1
	s_lshl_b64 s[6:7], s[6:7], 1
	v_lshlrev_b32_e32 v0, 1, v0
	s_add_u32 s34, s4, s6
	s_addc_u32 s35, s5, s7
	s_lshl_b32 s41, s40, 7
	v_lshlrev_b64 v[3:4], 1, v[1:2]
	s_add_i32 s42, s41, 0xffffff80
	s_cmpk_lt_i32 s22, 0x100
	v_dual_mov_b32 v30, 0 :: v_dual_mov_b32 v33, 0
	s_cselect_b32 s4, s42, 0
	s_delay_alu instid0(VALU_DEP_2)
	v_add_co_u32 v1, vcc_lo, s34, v3
	s_ashr_i32 s5, s4, 31
	v_add_co_ci_u32_e32 v3, vcc_lo, s35, v4, vcc_lo
	s_lshl_b64 s[4:5], s[4:5], 1
	s_cmpk_lt_i32 s22, 0x200
	v_add_co_u32 v1, vcc_lo, v1, v0
	s_cselect_b32 s6, s42, 0x80
	v_add_co_ci_u32_e32 v3, vcc_lo, 0, v3, vcc_lo
	s_ashr_i32 s7, s6, 31
	s_delay_alu instid0(VALU_DEP_2)
	v_add_co_u32 v4, vcc_lo, v1, s4
	s_lshl_b64 s[6:7], s[6:7], 1
	s_cmpk_lt_i32 s22, 0x300
	v_add_co_ci_u32_e32 v5, vcc_lo, s5, v3, vcc_lo
	s_cselect_b32 s8, s42, 0x100
	v_add_co_u32 v6, vcc_lo, v1, s6
	s_ashr_i32 s9, s8, 31
	v_add_co_ci_u32_e32 v7, vcc_lo, s7, v3, vcc_lo
	s_lshl_b64 s[8:9], s[8:9], 1
	s_cmpk_lt_i32 s22, 0x400
	v_add_co_u32 v8, vcc_lo, v1, s8
	s_cselect_b32 s10, s42, 0x180
	v_add_co_ci_u32_e32 v9, vcc_lo, s9, v3, vcc_lo
	s_ashr_i32 s11, s10, 31
	v_dual_mov_b32 v32, 0 :: v_dual_mov_b32 v35, 0
	s_lshl_b64 s[10:11], s[10:11], 1
	s_cmpk_lt_i32 s22, 0x500
	v_add_co_u32 v11, vcc_lo, v1, s10
	s_cselect_b32 s18, s42, 0x200
	v_add_co_ci_u32_e32 v12, vcc_lo, s11, v3, vcc_lo
	s_ashr_i32 s19, s18, 31
	v_mov_b32_e32 v34, 0
	s_lshl_b64 s[18:19], s[18:19], 1
	s_cmpk_lt_i32 s22, 0x600
	v_add_co_u32 v14, vcc_lo, v1, s18
	s_cselect_b32 s20, s42, 0x280
	v_add_co_ci_u32_e32 v15, vcc_lo, s19, v3, vcc_lo
	s_ashr_i32 s21, s20, 31
	v_mov_b32_e32 v31, 0
	s_lshl_b64 s[20:21], s[20:21], 1
	s_cmpk_lt_i32 s22, 0x700
	v_add_co_u32 v16, vcc_lo, v1, s20
	s_cselect_b32 s24, s42, 0x300
	v_add_co_ci_u32_e32 v17, vcc_lo, s21, v3, vcc_lo
	s_ashr_i32 s25, s24, 31
	s_delay_alu instid0(SALU_CYCLE_1)
	s_lshl_b64 s[24:25], s[24:25], 1
	s_cmpk_lt_i32 s22, 0x800
	v_add_co_u32 v18, vcc_lo, v1, s24
	s_cselect_b32 s26, s42, 0x380
	v_add_co_ci_u32_e32 v19, vcc_lo, s25, v3, vcc_lo
	s_ashr_i32 s27, s26, 31
	s_delay_alu instid0(SALU_CYCLE_1)
	s_lshl_b64 s[26:27], s[26:27], 1
	s_cmpk_lt_i32 s22, 0x900
	v_add_co_u32 v20, vcc_lo, v1, s26
	s_cselect_b32 s28, s42, 0x400
	v_add_co_ci_u32_e32 v21, vcc_lo, s27, v3, vcc_lo
	s_ashr_i32 s29, s28, 31
	s_clause 0x7
	global_load_u16 v13, v[4:5], off
	global_load_u16 v4, v[6:7], off
	;; [unrolled: 1-line block ×8, first 2 shown]
	s_lshl_b64 s[28:29], s[28:29], 1
	s_cmpk_lt_i32 s22, 0xa00
	v_add_co_u32 v11, vcc_lo, v1, s28
	s_cselect_b32 s30, s42, 0x480
	v_add_co_ci_u32_e32 v12, vcc_lo, s29, v3, vcc_lo
	s_ashr_i32 s31, s30, 31
	s_delay_alu instid0(SALU_CYCLE_1)
	s_lshl_b64 s[30:31], s[30:31], 1
	s_cmpk_lt_i32 s22, 0xb00
	v_add_co_u32 v14, vcc_lo, v1, s30
	s_cselect_b32 s34, s42, 0x500
	v_add_co_ci_u32_e32 v15, vcc_lo, s31, v3, vcc_lo
	s_ashr_i32 s35, s34, 31
	s_delay_alu instid0(SALU_CYCLE_1)
	;; [unrolled: 7-line block ×7, first 2 shown]
	s_lshl_b64 s[4:5], s[6:7], 1
	s_cmpk_gt_i32 s23, 0x1000
	v_add_co_u32 v28, vcc_lo, v1, s4
	v_add_co_ci_u32_e32 v29, vcc_lo, s5, v3, vcc_lo
	s_clause 0x7
	global_load_u16 v19, v[11:12], off
	global_load_u16 v18, v[14:15], off
	;; [unrolled: 1-line block ×8, first 2 shown]
	v_dual_mov_b32 v20, 0 :: v_dual_mov_b32 v23, 0
	v_dual_mov_b32 v21, 0 :: v_dual_mov_b32 v22, 0
	;; [unrolled: 1-line block ×5, first 2 shown]
	s_cselect_b32 s6, -1, 0
	s_cmpk_lt_i32 s23, 0x1001
	s_waitcnt vmcnt(0)
	s_barrier
	buffer_gl0_inv
	s_cbranch_scc1 .LBB656_11
; %bb.10:
	s_cmpk_lt_i32 s22, 0x1100
	s_cselect_b32 s4, s42, 0x800
	s_delay_alu instid0(SALU_CYCLE_1) | instskip(NEXT) | instid1(SALU_CYCLE_1)
	s_ashr_i32 s5, s4, 31
	s_lshl_b64 s[4:5], s[4:5], 1
	s_cmpk_lt_i32 s22, 0x1200
	v_add_co_u32 v20, vcc_lo, v1, s4
	s_cselect_b32 s8, s42, 0x880
	v_add_co_ci_u32_e32 v21, vcc_lo, s5, v3, vcc_lo
	s_ashr_i32 s9, s8, 31
	s_delay_alu instid0(SALU_CYCLE_1)
	s_lshl_b64 s[8:9], s[8:9], 1
	s_cmpk_lt_i32 s22, 0x1300
	v_add_co_u32 v22, vcc_lo, v1, s8
	s_cselect_b32 s10, s42, 0x900
	v_add_co_ci_u32_e32 v23, vcc_lo, s9, v3, vcc_lo
	s_ashr_i32 s11, s10, 31
	s_delay_alu instid0(SALU_CYCLE_1)
	;; [unrolled: 7-line block ×14, first 2 shown]
	s_lshl_b64 s[4:5], s[18:19], 1
	s_cmpk_lt_i32 s22, 0x2000
	v_add_co_u32 v48, vcc_lo, v1, s4
	s_cselect_b32 s8, s42, 0xf80
	v_add_co_ci_u32_e32 v49, vcc_lo, s5, v3, vcc_lo
	s_ashr_i32 s9, s8, 31
	s_delay_alu instid0(SALU_CYCLE_1) | instskip(NEXT) | instid1(SALU_CYCLE_1)
	s_lshl_b64 s[4:5], s[8:9], 1
	v_add_co_u32 v50, vcc_lo, v1, s4
	v_add_co_ci_u32_e32 v51, vcc_lo, s5, v3, vcc_lo
	s_clause 0xf
	global_load_u16 v20, v[20:21], off
	global_load_u16 v21, v[22:23], off
	;; [unrolled: 1-line block ×16, first 2 shown]
	s_waitcnt vmcnt(15)
	v_lshlrev_b32_e32 v35, 16, v20
	s_waitcnt vmcnt(14)
	v_lshlrev_b32_e32 v34, 16, v21
	;; [unrolled: 2-line block ×16, first 2 shown]
.LBB656_11:
	ds_load_b128 v[36:39], v2
	ds_load_b128 v[40:43], v2 offset:16
	v_lshlrev_b32_e32 v44, 16, v4
	v_lshlrev_b32_e32 v13, 16, v13
	;; [unrolled: 1-line block ×5, first 2 shown]
	s_load_b64 s[0:1], s[0:1], 0x0
	s_and_b32 vcc_lo, exec_lo, s6
	v_lshlrev_b32_e32 v5, 16, v5
	s_waitcnt lgkmcnt(0)
	v_fma_f32 v4, v36, v13, 0
	s_delay_alu instid0(VALU_DEP_1) | instskip(NEXT) | instid1(VALU_DEP_1)
	v_dual_fmac_f32 v4, v37, v44 :: v_dual_lshlrev_b32 v13, 16, v7
	v_dual_fmac_f32 v4, v38, v10 :: v_dual_lshlrev_b32 v9, 16, v9
	s_delay_alu instid0(VALU_DEP_1) | instskip(SKIP_4) | instid1(VALU_DEP_1)
	v_fmac_f32_e32 v4, v39, v9
	ds_load_b128 v[36:39], v2 offset:48
	v_fmac_f32_e32 v4, v40, v8
	ds_load_b128 v[7:10], v2 offset:32
	v_fmac_f32_e32 v4, v41, v13
	v_fmac_f32_e32 v4, v42, v6
	v_lshlrev_b32_e32 v6, 16, v19
	s_delay_alu instid0(VALU_DEP_2) | instskip(SKIP_1) | instid1(VALU_DEP_1)
	v_dual_fmac_f32 v4, v43, v5 :: v_dual_lshlrev_b32 v5, 16, v18
	s_waitcnt lgkmcnt(0)
	v_fmac_f32_e32 v4, v7, v6
	v_lshlrev_b32_e32 v6, 16, v17
	s_delay_alu instid0(VALU_DEP_2) | instskip(NEXT) | instid1(VALU_DEP_1)
	v_dual_fmac_f32 v4, v8, v5 :: v_dual_lshlrev_b32 v5, 16, v16
	v_fmac_f32_e32 v4, v9, v6
	v_lshlrev_b32_e32 v6, 16, v15
	s_delay_alu instid0(VALU_DEP_2) | instskip(NEXT) | instid1(VALU_DEP_1)
	v_dual_fmac_f32 v4, v10, v5 :: v_dual_lshlrev_b32 v5, 16, v14
	;; [unrolled: 4-line block ×3, first 2 shown]
	v_fmac_f32_e32 v4, v38, v6
	s_delay_alu instid0(VALU_DEP_1)
	v_fmac_f32_e32 v4, v39, v5
	s_cbranch_vccz .LBB656_13
; %bb.12:
	ds_load_b128 v[5:8], v2 offset:64
	ds_load_b128 v[9:12], v2 offset:80
	s_waitcnt lgkmcnt(1)
	v_fmac_f32_e32 v4, v5, v35
	s_delay_alu instid0(VALU_DEP_1) | instskip(NEXT) | instid1(VALU_DEP_1)
	v_fmac_f32_e32 v4, v6, v34
	v_fmac_f32_e32 v4, v7, v33
	s_delay_alu instid0(VALU_DEP_1) | instskip(SKIP_3) | instid1(VALU_DEP_1)
	v_fmac_f32_e32 v4, v8, v32
	ds_load_b128 v[5:8], v2 offset:96
	s_waitcnt lgkmcnt(1)
	v_fmac_f32_e32 v4, v9, v31
	v_fmac_f32_e32 v4, v10, v30
	s_delay_alu instid0(VALU_DEP_1) | instskip(NEXT) | instid1(VALU_DEP_1)
	v_fmac_f32_e32 v4, v11, v29
	v_fmac_f32_e32 v4, v12, v28
	ds_load_b128 v[9:12], v2 offset:112
	s_waitcnt lgkmcnt(1)
	v_fmac_f32_e32 v4, v5, v27
	s_delay_alu instid0(VALU_DEP_1) | instskip(NEXT) | instid1(VALU_DEP_1)
	v_fmac_f32_e32 v4, v6, v26
	v_fmac_f32_e32 v4, v7, v25
	s_delay_alu instid0(VALU_DEP_1) | instskip(SKIP_1) | instid1(VALU_DEP_1)
	v_fmac_f32_e32 v4, v8, v24
	s_waitcnt lgkmcnt(0)
	v_fmac_f32_e32 v4, v9, v23
	s_delay_alu instid0(VALU_DEP_1) | instskip(NEXT) | instid1(VALU_DEP_1)
	v_fmac_f32_e32 v4, v10, v22
	v_fmac_f32_e32 v4, v11, v21
	s_delay_alu instid0(VALU_DEP_1)
	v_fmac_f32_e32 v4, v12, v20
.LBB656_13:
	s_movk_i32 s43, 0x1f80
	s_movk_i32 s44, 0x80
	s_mov_b32 s45, 32
	s_branch .LBB656_15
.LBB656_14:                             ;   in Loop: Header=BB656_15 Depth=1
	s_addk_i32 s43, 0x1000
	s_addk_i32 s44, 0x80
	s_add_i32 s45, s45, 32
	s_cmpk_eq_i32 s43, 0x7f80
	s_cbranch_scc1 .LBB656_17
.LBB656_15:                             ; =>This Inner Loop Header: Depth=1
	s_cmp_le_i32 s40, s45
	s_cbranch_scc1 .LBB656_14
; %bb.16:                               ;   in Loop: Header=BB656_15 Depth=1
	s_add_i32 s4, s43, 0xfffff080
	v_mov_b32_e32 v44, s44
	s_cmp_lt_i32 s4, s41
	s_cselect_b32 s4, s4, s42
	s_add_i32 s6, s43, 0xfffff100
	s_ashr_i32 s5, s4, 31
	s_delay_alu instid0(SALU_CYCLE_1)
	s_lshl_b64 s[38:39], s[4:5], 1
	s_cmp_lt_i32 s6, s41
	v_add_co_u32 v5, vcc_lo, v1, s38
	s_cselect_b32 s4, s6, s42
	s_add_i32 s6, s43, 0xfffff180
	s_ashr_i32 s5, s4, 31
	v_add_co_ci_u32_e32 v6, vcc_lo, s39, v3, vcc_lo
	s_lshl_b64 s[4:5], s[4:5], 1
	s_cmp_lt_i32 s6, s41
	s_cselect_b32 s6, s6, s42
	s_add_i32 s8, s43, 0xfffff200
	s_ashr_i32 s7, s6, 31
	global_load_u16 v2, v[5:6], off
	s_lshl_b64 s[6:7], s[6:7], 1
	s_cmp_lt_i32 s8, s41
	v_add_co_u32 v5, vcc_lo, v1, s4
	s_cselect_b32 s8, s8, s42
	s_add_i32 s10, s43, 0xfffff280
	s_ashr_i32 s9, s8, 31
	v_add_co_ci_u32_e32 v6, vcc_lo, s5, v3, vcc_lo
	s_lshl_b64 s[8:9], s[8:9], 1
	s_cmp_lt_i32 s10, s41
	v_add_co_u32 v7, vcc_lo, v1, s6
	s_cselect_b32 s10, s10, s42
	s_add_i32 s18, s43, 0xfffff300
	s_ashr_i32 s11, s10, 31
	v_add_co_ci_u32_e32 v8, vcc_lo, s7, v3, vcc_lo
	s_lshl_b64 s[10:11], s[10:11], 1
	s_cmp_lt_i32 s18, s41
	v_add_co_u32 v9, vcc_lo, v1, s8
	s_cselect_b32 s18, s18, s42
	s_add_i32 s20, s43, 0xfffff380
	s_ashr_i32 s19, s18, 31
	s_clause 0x1
	global_load_u16 v23, v[5:6], off
	global_load_u16 v24, v[7:8], off
	s_lshl_b64 s[18:19], s[18:19], 1
	s_cmp_lt_i32 s20, s41
	v_add_co_ci_u32_e32 v10, vcc_lo, s9, v3, vcc_lo
	s_cselect_b32 s20, s20, s42
	s_add_i32 s22, s43, 0xfffff400
	s_ashr_i32 s21, s20, 31
	global_load_u16 v25, v[9:10], off
	s_lshl_b64 s[20:21], s[20:21], 1
	s_cmp_lt_i32 s22, s41
	v_add_co_u32 v11, vcc_lo, v1, s10
	s_cselect_b32 s22, s22, s42
	s_add_i32 s24, s43, 0xfffff480
	s_ashr_i32 s23, s22, 31
	v_add_co_ci_u32_e32 v12, vcc_lo, s11, v3, vcc_lo
	s_lshl_b64 s[22:23], s[22:23], 1
	s_cmp_lt_i32 s24, s41
	v_add_co_u32 v13, vcc_lo, v1, s18
	global_load_u16 v26, v[11:12], off
	s_cselect_b32 s24, s24, s42
	s_add_i32 s26, s43, 0xfffff500
	s_ashr_i32 s25, s24, 31
	v_add_co_ci_u32_e32 v14, vcc_lo, s19, v3, vcc_lo
	s_lshl_b64 s[24:25], s[24:25], 1
	s_cmp_lt_i32 s26, s41
	v_add_co_u32 v15, vcc_lo, v1, s20
	global_load_u16 v27, v[13:14], off
	s_cselect_b32 s26, s26, s42
	s_add_i32 s28, s43, 0xfffff580
	s_ashr_i32 s27, s26, 31
	v_add_co_ci_u32_e32 v16, vcc_lo, s21, v3, vcc_lo
	s_lshl_b64 s[36:37], s[26:27], 1
	s_cmp_lt_i32 s28, s41
	v_add_co_u32 v17, vcc_lo, v1, s22
	s_cselect_b32 s26, s28, s42
	s_add_i32 s30, s43, 0xfffff600
	s_ashr_i32 s27, s26, 31
	v_add_co_ci_u32_e32 v18, vcc_lo, s23, v3, vcc_lo
	s_lshl_b64 s[28:29], s[26:27], 1
	s_cmp_lt_i32 s30, s41
	v_add_co_u32 v19, vcc_lo, v1, s24
	global_load_u16 v17, v[17:18], off
	s_cselect_b32 s26, s30, s42
	s_add_i32 s30, s43, 0xfffff680
	s_ashr_i32 s27, s26, 31
	v_add_co_ci_u32_e32 v20, vcc_lo, s25, v3, vcc_lo
	s_lshl_b64 s[26:27], s[26:27], 1
	s_cmp_lt_i32 s30, s41
	v_add_co_u32 v21, vcc_lo, v1, s36
	s_cselect_b32 s30, s30, s42
	s_add_i32 s46, s43, 0xfffff700
	s_ashr_i32 s31, s30, 31
	v_add_co_ci_u32_e32 v22, vcc_lo, s37, v3, vcc_lo
	s_lshl_b64 s[34:35], s[30:31], 1
	s_cmp_lt_i32 s46, s41
	v_add_co_u32 v5, vcc_lo, v1, s28
	s_cselect_b32 s30, s46, s42
	s_add_i32 s46, s43, 0xfffff780
	s_ashr_i32 s31, s30, 31
	v_add_co_ci_u32_e32 v6, vcc_lo, s29, v3, vcc_lo
	s_lshl_b64 s[30:31], s[30:31], 1
	s_cmp_lt_i32 s46, s41
	v_add_co_u32 v7, vcc_lo, v1, s26
	s_cselect_b32 s46, s46, s42
	s_add_i32 s48, s43, 0xfffff800
	s_ashr_i32 s47, s46, 31
	global_load_u16 v28, v[15:16], off
	s_lshl_b64 s[38:39], s[46:47], 1
	s_cmp_lt_i32 s48, s41
	v_add_co_ci_u32_e32 v8, vcc_lo, s27, v3, vcc_lo
	s_cselect_b32 s46, s48, s42
	v_add_co_u32 v9, vcc_lo, v1, s34
	s_ashr_i32 s47, s46, 31
	s_add_i32 s4, s43, 0xfffff880
	s_lshl_b64 s[46:47], s[46:47], 1
	v_add_co_ci_u32_e32 v10, vcc_lo, s35, v3, vcc_lo
	s_cmp_lt_i32 s4, s41
	v_add_co_u32 v11, vcc_lo, v1, s30
	s_cselect_b32 s4, s4, s42
	v_add_co_ci_u32_e32 v12, vcc_lo, s31, v3, vcc_lo
	v_add_co_u32 v13, vcc_lo, v1, s38
	s_ashr_i32 s5, s4, 31
	s_add_i32 s6, s43, 0xfffff900
	v_add_co_ci_u32_e32 v14, vcc_lo, s39, v3, vcc_lo
	global_load_u16 v18, v[19:20], off
	s_lshl_b64 s[8:9], s[4:5], 1
	s_cmp_lt_i32 s6, s41
	global_load_u16 v30, v[13:14], off
	s_cselect_b32 s4, s6, s42
	global_load_u16 v19, v[21:22], off
	s_ashr_i32 s5, s4, 31
	s_add_i32 s6, s43, 0xfffff980
	s_lshl_b64 s[10:11], s[4:5], 1
	s_cmp_lt_i32 s6, s41
	s_clause 0x3
	global_load_u16 v20, v[5:6], off
	global_load_u16 v21, v[7:8], off
	;; [unrolled: 1-line block ×4, first 2 shown]
	s_cselect_b32 s4, s6, s42
	s_add_i32 s6, s43, 0xfffffa00
	s_ashr_i32 s5, s4, 31
	v_add_co_u32 v15, vcc_lo, v1, s46
	s_lshl_b64 s[4:5], s[4:5], 1
	s_cmp_lt_i32 s6, s41
	v_add_co_ci_u32_e32 v16, vcc_lo, s47, v3, vcc_lo
	s_cselect_b32 s6, s6, s42
	s_add_i32 s18, s43, 0xfffffa80
	s_ashr_i32 s7, s6, 31
	v_add_co_u32 v5, vcc_lo, v1, s8
	s_lshl_b64 s[6:7], s[6:7], 1
	s_cmp_lt_i32 s18, s41
	v_add_co_ci_u32_e32 v6, vcc_lo, s9, v3, vcc_lo
	s_cselect_b32 s18, s18, s42
	v_add_co_u32 v7, vcc_lo, v1, s10
	s_ashr_i32 s19, s18, 31
	s_add_i32 s20, s43, 0xfffffb00
	s_lshl_b64 s[18:19], s[18:19], 1
	v_add_co_ci_u32_e32 v8, vcc_lo, s11, v3, vcc_lo
	s_cmp_lt_i32 s20, s41
	v_add_co_u32 v9, vcc_lo, v1, s4
	s_cselect_b32 s20, s20, s42
	v_add_co_ci_u32_e32 v10, vcc_lo, s5, v3, vcc_lo
	v_add_co_u32 v11, vcc_lo, v1, s6
	s_ashr_i32 s21, s20, 31
	s_add_i32 s22, s43, 0xfffffb80
	v_add_co_ci_u32_e32 v12, vcc_lo, s7, v3, vcc_lo
	global_load_u16 v15, v[15:16], off
	s_lshl_b64 s[20:21], s[20:21], 1
	s_cmp_lt_i32 s22, s41
	global_load_u16 v33, v[11:12], off
	s_cselect_b32 s22, s22, s42
	s_clause 0x2
	global_load_u16 v16, v[5:6], off
	global_load_u16 v31, v[7:8], off
	;; [unrolled: 1-line block ×3, first 2 shown]
	s_ashr_i32 s23, s22, 31
	s_add_i32 s24, s43, 0xfffffc00
	s_lshl_b64 s[22:23], s[22:23], 1
	s_cmp_lt_i32 s24, s41
	v_add_co_u32 v13, vcc_lo, v1, s18
	s_cselect_b32 s24, s24, s42
	s_add_i32 s26, s43, 0xfffffc80
	s_ashr_i32 s25, s24, 31
	v_add_co_ci_u32_e32 v14, vcc_lo, s19, v3, vcc_lo
	s_lshl_b64 s[24:25], s[24:25], 1
	s_cmp_lt_i32 s26, s41
	v_add_co_u32 v5, vcc_lo, v1, s20
	s_cselect_b32 s8, s26, s42
	v_add_co_ci_u32_e32 v6, vcc_lo, s21, v3, vcc_lo
	s_ashr_i32 s9, s8, 31
	v_add_co_u32 v7, vcc_lo, v1, s22
	s_add_i32 s10, s43, 0xfffffd00
	s_lshl_b64 s[8:9], s[8:9], 1
	v_add_co_ci_u32_e32 v8, vcc_lo, s23, v3, vcc_lo
	s_cmp_lt_i32 s10, s41
	v_add_co_u32 v9, vcc_lo, v1, s24
	s_cselect_b32 s4, s10, s42
	global_load_u16 v13, v[13:14], off
	v_add_co_ci_u32_e32 v10, vcc_lo, s25, v3, vcc_lo
	s_ashr_i32 s5, s4, 31
	s_add_i32 s6, s43, 0xfffffd80
	s_lshl_b64 s[4:5], s[4:5], 1
	global_load_u16 v35, v[9:10], off
	s_cmp_lt_i32 s6, s41
	s_clause 0x1
	global_load_u16 v14, v[5:6], off
	global_load_u16 v34, v[7:8], off
	s_cselect_b32 s6, s6, s42
	s_add_i32 s10, s43, 0xfffffe00
	s_ashr_i32 s7, s6, 31
	v_add_co_u32 v5, vcc_lo, v1, s8
	s_lshl_b64 s[6:7], s[6:7], 1
	s_cmp_lt_i32 s10, s41
	v_add_co_ci_u32_e32 v6, vcc_lo, s9, v3, vcc_lo
	s_cselect_b32 s10, s10, s42
	v_add_co_u32 v7, vcc_lo, v1, s4
	s_ashr_i32 s11, s10, 31
	v_add_co_ci_u32_e32 v8, vcc_lo, s5, v3, vcc_lo
	s_add_i32 s18, s43, 0xfffffe80
	s_lshl_b64 s[10:11], s[10:11], 1
	s_cmp_lt_i32 s18, s41
	s_clause 0x1
	global_load_u16 v36, v[5:6], off
	global_load_u16 v37, v[7:8], off
	s_cselect_b32 s18, s18, s42
	v_add_co_u32 v5, vcc_lo, v1, s6
	s_ashr_i32 s19, s18, 31
	v_add_co_ci_u32_e32 v6, vcc_lo, s7, v3, vcc_lo
	s_add_i32 s20, s43, 0xffffff00
	v_add_co_u32 v7, vcc_lo, v1, s10
	s_lshl_b64 s[8:9], s[18:19], 1
	s_cmp_lt_i32 s20, s41
	v_add_co_ci_u32_e32 v8, vcc_lo, s11, v3, vcc_lo
	s_cselect_b32 s4, s20, s42
	global_load_u16 v38, v[5:6], off
	s_ashr_i32 s5, s4, 31
	global_load_u16 v39, v[7:8], off
	s_add_i32 s18, s43, 0xffffff80
	v_add_co_u32 v5, vcc_lo, v1, s8
	s_lshl_b64 s[4:5], s[4:5], 1
	s_cmp_lt_i32 s18, s41
	v_add_co_ci_u32_e32 v6, vcc_lo, s9, v3, vcc_lo
	v_add_co_u32 v7, vcc_lo, v1, s4
	s_cselect_b32 s6, s18, s42
	v_add_co_ci_u32_e32 v8, vcc_lo, s5, v3, vcc_lo
	s_ashr_i32 s7, s6, 31
	global_load_u16 v40, v[5:6], off
	s_lshl_b64 s[6:7], s[6:7], 1
	global_load_u16 v41, v[7:8], off
	s_cmp_lt_i32 s43, s41
	v_add_co_u32 v5, vcc_lo, v1, s6
	s_cselect_b32 s4, s43, s42
	v_add_co_ci_u32_e32 v6, vcc_lo, s7, v3, vcc_lo
	s_ashr_i32 s5, s4, 31
	s_delay_alu instid0(SALU_CYCLE_1)
	s_lshl_b64 s[4:5], s[4:5], 1
	global_load_u16 v42, v[5:6], off
	v_add_co_u32 v5, vcc_lo, v1, s4
	v_add_co_ci_u32_e32 v6, vcc_lo, s5, v3, vcc_lo
	global_load_u16 v43, v[5:6], off
	ds_load_b128 v[5:8], v44
	ds_load_b128 v[9:12], v44 offset:16
	s_waitcnt vmcnt(31)
	v_lshlrev_b32_e32 v2, 16, v2
	s_waitcnt lgkmcnt(1)
	s_delay_alu instid0(VALU_DEP_1) | instskip(SKIP_2) | instid1(VALU_DEP_1)
	v_fmac_f32_e32 v4, v5, v2
	s_waitcnt vmcnt(30)
	v_lshlrev_b32_e32 v2, 16, v23
	v_fmac_f32_e32 v4, v6, v2
	s_waitcnt vmcnt(29)
	v_lshlrev_b32_e32 v2, 16, v24
	s_delay_alu instid0(VALU_DEP_1) | instskip(SKIP_2) | instid1(VALU_DEP_1)
	v_fmac_f32_e32 v4, v7, v2
	s_waitcnt vmcnt(28)
	v_lshlrev_b32_e32 v2, 16, v25
	v_fmac_f32_e32 v4, v8, v2
	ds_load_b128 v[5:8], v44 offset:32
	s_waitcnt vmcnt(27)
	v_lshlrev_b32_e32 v2, 16, v26
	s_waitcnt lgkmcnt(1)
	s_delay_alu instid0(VALU_DEP_1) | instskip(SKIP_2) | instid1(VALU_DEP_1)
	v_fmac_f32_e32 v4, v9, v2
	s_waitcnt vmcnt(26)
	v_lshlrev_b32_e32 v2, 16, v27
	v_fmac_f32_e32 v4, v10, v2
	s_waitcnt vmcnt(24)
	v_lshlrev_b32_e32 v2, 16, v28
	s_delay_alu instid0(VALU_DEP_1) | instskip(SKIP_1) | instid1(VALU_DEP_1)
	v_fmac_f32_e32 v4, v11, v2
	v_lshlrev_b32_e32 v2, 16, v17
	v_fmac_f32_e32 v4, v12, v2
	ds_load_b128 v[9:12], v44 offset:48
	s_waitcnt vmcnt(23)
	v_lshlrev_b32_e32 v2, 16, v18
	s_waitcnt lgkmcnt(1)
	s_delay_alu instid0(VALU_DEP_1) | instskip(SKIP_2) | instid1(VALU_DEP_1)
	v_fmac_f32_e32 v4, v5, v2
	s_waitcnt vmcnt(21)
	v_lshlrev_b32_e32 v2, 16, v19
	v_fmac_f32_e32 v4, v6, v2
	s_waitcnt vmcnt(20)
	v_lshlrev_b32_e32 v2, 16, v20
	s_delay_alu instid0(VALU_DEP_1) | instskip(SKIP_2) | instid1(VALU_DEP_1)
	v_fmac_f32_e32 v4, v7, v2
	s_waitcnt vmcnt(19)
	v_lshlrev_b32_e32 v2, 16, v21
	v_fmac_f32_e32 v4, v8, v2
	s_waitcnt vmcnt(18)
	v_lshlrev_b32_e32 v2, 16, v22
	ds_load_b128 v[5:8], v44 offset:64
	s_waitcnt lgkmcnt(1)
	v_fmac_f32_e32 v4, v9, v2
	s_waitcnt vmcnt(17)
	v_lshlrev_b32_e32 v2, 16, v29
	s_delay_alu instid0(VALU_DEP_1) | instskip(SKIP_1) | instid1(VALU_DEP_1)
	v_fmac_f32_e32 v4, v10, v2
	v_lshlrev_b32_e32 v2, 16, v30
	v_fmac_f32_e32 v4, v11, v2
	s_waitcnt vmcnt(16)
	v_lshlrev_b32_e32 v2, 16, v15
	s_delay_alu instid0(VALU_DEP_1) | instskip(SKIP_4) | instid1(VALU_DEP_1)
	v_fmac_f32_e32 v4, v12, v2
	ds_load_b128 v[9:12], v44 offset:80
	s_waitcnt vmcnt(14)
	v_lshlrev_b32_e32 v2, 16, v16
	s_waitcnt lgkmcnt(1)
	v_fmac_f32_e32 v4, v5, v2
	s_waitcnt vmcnt(13)
	v_lshlrev_b32_e32 v2, 16, v31
	s_delay_alu instid0(VALU_DEP_1) | instskip(SKIP_2) | instid1(VALU_DEP_1)
	v_fmac_f32_e32 v4, v6, v2
	s_waitcnt vmcnt(12)
	v_lshlrev_b32_e32 v2, 16, v32
	v_fmac_f32_e32 v4, v7, v2
	v_lshlrev_b32_e32 v2, 16, v33
	s_delay_alu instid0(VALU_DEP_1) | instskip(SKIP_4) | instid1(VALU_DEP_1)
	v_fmac_f32_e32 v4, v8, v2
	ds_load_b128 v[5:8], v44 offset:96
	s_waitcnt vmcnt(11)
	v_lshlrev_b32_e32 v2, 16, v13
	s_waitcnt lgkmcnt(1)
	v_fmac_f32_e32 v4, v9, v2
	s_waitcnt vmcnt(9)
	v_lshlrev_b32_e32 v2, 16, v14
	s_delay_alu instid0(VALU_DEP_1) | instskip(SKIP_2) | instid1(VALU_DEP_1)
	v_fmac_f32_e32 v4, v10, v2
	s_waitcnt vmcnt(8)
	v_lshlrev_b32_e32 v2, 16, v34
	v_fmac_f32_e32 v4, v11, v2
	;; [unrolled: 15-line block ×3, first 2 shown]
	s_waitcnt vmcnt(4)
	v_lshlrev_b32_e32 v2, 16, v39
	s_delay_alu instid0(VALU_DEP_1) | instskip(SKIP_3) | instid1(VALU_DEP_1)
	v_fmac_f32_e32 v4, v8, v2
	s_waitcnt vmcnt(3)
	v_lshlrev_b32_e32 v2, 16, v40
	s_waitcnt lgkmcnt(0)
	v_fmac_f32_e32 v4, v9, v2
	s_waitcnt vmcnt(2)
	v_lshlrev_b32_e32 v2, 16, v41
	s_delay_alu instid0(VALU_DEP_1) | instskip(SKIP_2) | instid1(VALU_DEP_1)
	v_fmac_f32_e32 v4, v10, v2
	s_waitcnt vmcnt(1)
	v_lshlrev_b32_e32 v2, 16, v42
	v_fmac_f32_e32 v4, v11, v2
	s_waitcnt vmcnt(0)
	v_lshlrev_b32_e32 v2, 16, v43
	s_delay_alu instid0(VALU_DEP_1)
	v_fmac_f32_e32 v4, v12, v2
	s_branch .LBB656_14
.LBB656_17:
	v_mov_b32_e32 v1, 0
	s_and_b32 vcc_lo, exec_lo, s15
	ds_load_b32 v1, v1 offset:896
	s_cbranch_vccz .LBB656_19
; %bb.18:
	s_add_u32 s2, s12, s16
	s_addc_u32 s3, s13, s17
	s_load_b32 s2, s[2:3], 0x0
	s_mov_b32 s3, 0
.LBB656_19:
	s_waitcnt lgkmcnt(0)
	v_add_f32_e32 v1, 0x358637bd, v1
	s_delay_alu instid0(VALU_DEP_1) | instskip(NEXT) | instid1(VALU_DEP_1)
	v_div_scale_f32 v2, null, v1, v1, 1.0
	v_rcp_f32_e32 v3, v2
	s_waitcnt_depctr 0xfff
	v_fma_f32 v5, -v2, v3, 1.0
	s_delay_alu instid0(VALU_DEP_1) | instskip(SKIP_1) | instid1(VALU_DEP_1)
	v_fmac_f32_e32 v3, v5, v3
	v_div_scale_f32 v5, vcc_lo, 1.0, v1, 1.0
	v_mul_f32_e32 v6, v5, v3
	s_delay_alu instid0(VALU_DEP_1) | instskip(NEXT) | instid1(VALU_DEP_1)
	v_fma_f32 v7, -v2, v6, v5
	v_fmac_f32_e32 v6, v7, v3
	s_delay_alu instid0(VALU_DEP_1) | instskip(NEXT) | instid1(VALU_DEP_1)
	v_fma_f32 v2, -v2, v6, v5
	v_div_fmas_f32 v2, v2, v3, v6
	s_delay_alu instid0(VALU_DEP_1) | instskip(NEXT) | instid1(VALU_DEP_1)
	v_div_fixup_f32 v1, v2, v1, 1.0
	v_mul_f32_e32 v2, v4, v1
	s_delay_alu instid0(VALU_DEP_1) | instskip(NEXT) | instid1(VALU_DEP_1)
	v_and_b32_e32 v1, 0x7f800000, v2
	v_cmp_ne_u32_e32 vcc_lo, 0x7f800000, v1
                                        ; implicit-def: $vgpr1
	s_and_saveexec_b32 s4, vcc_lo
	s_delay_alu instid0(SALU_CYCLE_1)
	s_xor_b32 s4, exec_lo, s4
; %bb.20:
	v_bfe_u32 v1, v2, 16, 1
	s_delay_alu instid0(VALU_DEP_1)
	v_add3_u32 v1, v2, v1, 0x7fff
                                        ; implicit-def: $vgpr2
; %bb.21:
	s_and_not1_saveexec_b32 s4, s4
; %bb.22:
	v_and_b32_e32 v1, 0xffff, v2
	v_or_b32_e32 v3, 0x10000, v2
	s_delay_alu instid0(VALU_DEP_2) | instskip(NEXT) | instid1(VALU_DEP_2)
	v_cmp_eq_u32_e32 vcc_lo, 0, v1
	v_cndmask_b32_e32 v1, v3, v2, vcc_lo
; %bb.23:
	s_or_b32 exec_lo, exec_lo, s4
	s_mul_i32 s3, s33, s3
	s_mul_hi_u32 s4, s33, s2
	s_mul_i32 s2, s33, s2
	s_add_i32 s3, s4, s3
	s_mov_b32 s15, 0
	s_lshl_b64 s[2:3], s[2:3], 8
	s_delay_alu instid0(SALU_CYCLE_1) | instskip(SKIP_2) | instid1(SALU_CYCLE_1)
	s_add_u32 s2, s0, s2
	s_addc_u32 s3, s1, s3
	s_lshl_b64 s[0:1], s[14:15], 8
	s_add_u32 s0, s2, s0
	s_addc_u32 s1, s3, s1
	global_store_d16_hi_b16 v0, v1, s[0:1]
	s_nop 0
	s_sendmsg sendmsg(MSG_DEALLOC_VGPRS)
	s_endpgm
.LBB656_24:
	s_mov_b32 s4, 0
	s_branch .LBB656_2
	.section	.rodata,"a",@progbits
	.p2align	6, 0x0
	.amdhsa_kernel _Z35paged_attention_ll4mi_reduce_kernelI14__hip_bfloat16S0_Li128ELi128ELi256ELi7EEvPT0_PKfS4_PKT_PKiS9_iS4_
		.amdhsa_group_segment_fixed_size 900
		.amdhsa_private_segment_fixed_size 0
		.amdhsa_kernarg_size 320
		.amdhsa_user_sgpr_count 14
		.amdhsa_user_sgpr_dispatch_ptr 0
		.amdhsa_user_sgpr_queue_ptr 0
		.amdhsa_user_sgpr_kernarg_segment_ptr 1
		.amdhsa_user_sgpr_dispatch_id 0
		.amdhsa_user_sgpr_private_segment_size 0
		.amdhsa_wavefront_size32 1
		.amdhsa_uses_dynamic_stack 0
		.amdhsa_enable_private_segment 0
		.amdhsa_system_sgpr_workgroup_id_x 1
		.amdhsa_system_sgpr_workgroup_id_y 1
		.amdhsa_system_sgpr_workgroup_id_z 0
		.amdhsa_system_sgpr_workgroup_info 0
		.amdhsa_system_vgpr_workitem_id 0
		.amdhsa_next_free_vgpr 52
		.amdhsa_next_free_sgpr 49
		.amdhsa_reserve_vcc 1
		.amdhsa_float_round_mode_32 0
		.amdhsa_float_round_mode_16_64 0
		.amdhsa_float_denorm_mode_32 3
		.amdhsa_float_denorm_mode_16_64 3
		.amdhsa_dx10_clamp 1
		.amdhsa_ieee_mode 1
		.amdhsa_fp16_overflow 0
		.amdhsa_workgroup_processor_mode 1
		.amdhsa_memory_ordered 1
		.amdhsa_forward_progress 0
		.amdhsa_shared_vgpr_count 0
		.amdhsa_exception_fp_ieee_invalid_op 0
		.amdhsa_exception_fp_denorm_src 0
		.amdhsa_exception_fp_ieee_div_zero 0
		.amdhsa_exception_fp_ieee_overflow 0
		.amdhsa_exception_fp_ieee_underflow 0
		.amdhsa_exception_fp_ieee_inexact 0
		.amdhsa_exception_int_div_zero 0
	.end_amdhsa_kernel
	.section	.text._Z35paged_attention_ll4mi_reduce_kernelI14__hip_bfloat16S0_Li128ELi128ELi256ELi7EEvPT0_PKfS4_PKT_PKiS9_iS4_,"axG",@progbits,_Z35paged_attention_ll4mi_reduce_kernelI14__hip_bfloat16S0_Li128ELi128ELi256ELi7EEvPT0_PKfS4_PKT_PKiS9_iS4_,comdat
.Lfunc_end656:
	.size	_Z35paged_attention_ll4mi_reduce_kernelI14__hip_bfloat16S0_Li128ELi128ELi256ELi7EEvPT0_PKfS4_PKT_PKiS9_iS4_, .Lfunc_end656-_Z35paged_attention_ll4mi_reduce_kernelI14__hip_bfloat16S0_Li128ELi128ELi256ELi7EEvPT0_PKfS4_PKT_PKiS9_iS4_
                                        ; -- End function
	.section	.AMDGPU.csdata,"",@progbits
; Kernel info:
; codeLenInByte = 6460
; NumSgprs: 51
; NumVgprs: 52
; ScratchSize: 0
; MemoryBound: 0
; FloatMode: 240
; IeeeMode: 1
; LDSByteSize: 900 bytes/workgroup (compile time only)
; SGPRBlocks: 6
; VGPRBlocks: 6
; NumSGPRsForWavesPerEU: 51
; NumVGPRsForWavesPerEU: 52
; Occupancy: 16
; WaveLimiterHint : 0
; COMPUTE_PGM_RSRC2:SCRATCH_EN: 0
; COMPUTE_PGM_RSRC2:USER_SGPR: 14
; COMPUTE_PGM_RSRC2:TRAP_HANDLER: 0
; COMPUTE_PGM_RSRC2:TGID_X_EN: 1
; COMPUTE_PGM_RSRC2:TGID_Y_EN: 1
; COMPUTE_PGM_RSRC2:TGID_Z_EN: 0
; COMPUTE_PGM_RSRC2:TIDIG_COMP_CNT: 0
	.section	.text._Z35paged_attention_ll4mi_reduce_kernelI14__hip_bfloat16S0_Li128ELi128ELi256ELi8EEvPT0_PKfS4_PKT_PKiS9_iS4_,"axG",@progbits,_Z35paged_attention_ll4mi_reduce_kernelI14__hip_bfloat16S0_Li128ELi128ELi256ELi8EEvPT0_PKfS4_PKT_PKiS9_iS4_,comdat
	.protected	_Z35paged_attention_ll4mi_reduce_kernelI14__hip_bfloat16S0_Li128ELi128ELi256ELi8EEvPT0_PKfS4_PKT_PKiS9_iS4_ ; -- Begin function _Z35paged_attention_ll4mi_reduce_kernelI14__hip_bfloat16S0_Li128ELi128ELi256ELi8EEvPT0_PKfS4_PKT_PKiS9_iS4_
	.globl	_Z35paged_attention_ll4mi_reduce_kernelI14__hip_bfloat16S0_Li128ELi128ELi256ELi8EEvPT0_PKfS4_PKT_PKiS9_iS4_
	.p2align	8
	.type	_Z35paged_attention_ll4mi_reduce_kernelI14__hip_bfloat16S0_Li128ELi128ELi256ELi8EEvPT0_PKfS4_PKT_PKiS9_iS4_,@function
_Z35paged_attention_ll4mi_reduce_kernelI14__hip_bfloat16S0_Li128ELi128ELi256ELi8EEvPT0_PKfS4_PKT_PKiS9_iS4_: ; @_Z35paged_attention_ll4mi_reduce_kernelI14__hip_bfloat16S0_Li128ELi128ELi256ELi8EEvPT0_PKfS4_PKT_PKiS9_iS4_
; %bb.0:
	s_load_b64 s[12:13], s[0:1], 0x28
	s_mov_b32 s2, s15
	s_waitcnt lgkmcnt(0)
	s_cmp_lg_u64 s[12:13], 0
	s_cselect_b32 s15, -1, 0
	s_delay_alu instid0(SALU_CYCLE_1)
	s_and_b32 vcc_lo, exec_lo, s15
	s_cbranch_vccz .LBB657_24
; %bb.1:
	s_add_i32 s4, s2, 1
	s_mov_b32 s5, 0
	s_delay_alu instid0(SALU_CYCLE_1) | instskip(SKIP_4) | instid1(SALU_CYCLE_1)
	s_lshl_b64 s[6:7], s[4:5], 2
	s_mov_b32 s3, s5
	s_add_u32 s6, s12, s6
	s_addc_u32 s7, s13, s7
	s_lshl_b64 s[8:9], s[2:3], 2
	s_add_u32 s8, s12, s8
	s_addc_u32 s9, s13, s9
	s_clause 0x1
	s_load_b32 s4, s[6:7], 0x0
	s_load_b32 s6, s[8:9], 0x0
	s_waitcnt lgkmcnt(0)
	s_sub_i32 s4, s4, s6
	s_delay_alu instid0(SALU_CYCLE_1)
	s_cmp_eq_u32 s4, 1
	s_cselect_b32 s4, -1, 0
	s_cbranch_execnz .LBB657_3
.LBB657_2:
	s_mov_b32 s3, 0
	s_mov_b32 s4, -1
.LBB657_3:
	s_delay_alu instid0(SALU_CYCLE_1)
	s_and_not1_b32 vcc_lo, exec_lo, s4
	s_cbranch_vccz .LBB657_5
; %bb.4:
	s_endpgm
.LBB657_5:
	s_clause 0x1
	s_load_b128 s[4:7], s[0:1], 0x18
	s_load_b32 s9, s[0:1], 0x30
	s_lshl_b64 s[16:17], s[2:3], 2
	s_waitcnt lgkmcnt(0)
	s_add_u32 s6, s6, s16
	s_addc_u32 s7, s7, s17
	s_load_b32 s23, s[6:7], 0x0
	s_load_b32 s33, s[0:1], 0x40
	s_mul_i32 s7, s2, s9
	s_waitcnt lgkmcnt(0)
	s_add_i32 s22, s23, 0xff
	s_delay_alu instid0(SALU_CYCLE_1) | instskip(NEXT) | instid1(SALU_CYCLE_1)
	s_ashr_i32 s6, s22, 31
	s_lshr_b32 s6, s6, 24
	s_delay_alu instid0(SALU_CYCLE_1) | instskip(SKIP_4) | instid1(SALU_CYCLE_1)
	s_add_i32 s8, s22, s6
	s_mul_i32 s6, s14, s9
	s_mov_b32 s9, exec_lo
	v_cmpx_lt_u32_e32 31, v0
	s_xor_b32 s9, exec_lo, s9
	s_or_saveexec_b32 s24, s9
	v_mov_b32_e32 v1, s6
	s_ashr_i32 s40, s8, 8
	s_mul_i32 s18, s7, s33
	s_xor_b32 exec_lo, exec_lo, s24
	s_cbranch_execz .LBB657_9
; %bb.6:
	v_or_b32_e32 v2, 32, v0
	v_cmp_gt_i32_e32 vcc_lo, s40, v0
	s_add_i32 s20, s40, -1
	v_or_b32_e32 v4, 64, v0
	v_or_b32_e32 v6, 0x60, v0
	s_load_b128 s[8:11], s[0:1], 0x8
	v_cndmask_b32_e32 v1, s20, v0, vcc_lo
	v_cmp_gt_i32_e32 vcc_lo, s40, v2
	s_mov_b32 s19, 0
	s_delay_alu instid0(SALU_CYCLE_1)
	s_mov_b32 s7, s19
	v_cndmask_b32_e32 v3, s20, v2, vcc_lo
	v_cmp_gt_i32_e32 vcc_lo, s40, v4
	v_or_b32_e32 v2, 0x80, v0
	v_cndmask_b32_e32 v5, s20, v4, vcc_lo
	v_cmp_gt_i32_e32 vcc_lo, s40, v6
	v_or_b32_e32 v4, 0xa0, v0
	;; [unrolled: 3-line block ×3, first 2 shown]
	s_delay_alu instid0(VALU_DEP_3) | instskip(SKIP_3) | instid1(VALU_DEP_4)
	v_ashrrev_i32_e32 v8, 31, v7
	v_cndmask_b32_e32 v9, s20, v2, vcc_lo
	v_cmp_gt_i32_e32 vcc_lo, s40, v4
	v_or_b32_e32 v2, 0xe0, v0
	v_lshlrev_b64 v[7:8], 2, v[7:8]
	s_delay_alu instid0(VALU_DEP_4) | instskip(SKIP_3) | instid1(VALU_DEP_4)
	v_ashrrev_i32_e32 v10, 31, v9
	v_cndmask_b32_e32 v11, s20, v4, vcc_lo
	v_cmp_gt_i32_e32 vcc_lo, s40, v6
	v_ashrrev_i32_e32 v4, 31, v3
	v_lshlrev_b64 v[9:10], 2, v[9:10]
	s_delay_alu instid0(VALU_DEP_4)
	v_ashrrev_i32_e32 v12, 31, v11
	v_cndmask_b32_e32 v13, s20, v6, vcc_lo
	v_cmp_gt_i32_e32 vcc_lo, s40, v2
	v_ashrrev_i32_e32 v6, 31, v5
	v_lshlrev_b64 v[3:4], 2, v[3:4]
	v_lshlrev_b64 v[11:12], 2, v[11:12]
	v_ashrrev_i32_e32 v14, 31, v13
	v_cndmask_b32_e32 v15, s20, v2, vcc_lo
	v_ashrrev_i32_e32 v2, 31, v1
	s_lshl_b64 s[20:21], s[18:19], 2
	v_lshlrev_b64 v[5:6], 2, v[5:6]
	s_waitcnt lgkmcnt(0)
	s_add_u32 s19, s10, s20
	s_addc_u32 s25, s11, s21
	v_lshlrev_b64 v[1:2], 2, v[1:2]
	s_lshl_b64 s[10:11], s[6:7], 2
	v_lshlrev_b64 v[13:14], 2, v[13:14]
	s_add_u32 s7, s19, s10
	s_addc_u32 s19, s25, s11
	s_delay_alu instid0(VALU_DEP_2)
	v_add_co_u32 v16, vcc_lo, s7, v1
	v_add_co_ci_u32_e32 v17, vcc_lo, s19, v2, vcc_lo
	v_add_co_u32 v18, vcc_lo, s7, v3
	v_add_co_ci_u32_e32 v19, vcc_lo, s19, v4, vcc_lo
	;; [unrolled: 2-line block ×4, first 2 shown]
	s_clause 0x3
	global_load_b32 v25, v[16:17], off
	global_load_b32 v26, v[18:19], off
	;; [unrolled: 1-line block ×4, first 2 shown]
	v_ashrrev_i32_e32 v16, 31, v15
	v_add_co_u32 v17, vcc_lo, s7, v9
	v_add_co_ci_u32_e32 v18, vcc_lo, s19, v10, vcc_lo
	v_add_co_u32 v19, vcc_lo, s7, v11
	s_delay_alu instid0(VALU_DEP_4) | instskip(SKIP_3) | instid1(VALU_DEP_4)
	v_lshlrev_b64 v[15:16], 2, v[15:16]
	v_add_co_ci_u32_e32 v20, vcc_lo, s19, v12, vcc_lo
	v_add_co_u32 v21, vcc_lo, s7, v13
	v_add_co_ci_u32_e32 v22, vcc_lo, s19, v14, vcc_lo
	v_add_co_u32 v23, vcc_lo, s7, v15
	v_add_co_ci_u32_e32 v24, vcc_lo, s19, v16, vcc_lo
	s_clause 0x3
	global_load_b32 v17, v[17:18], off
	global_load_b32 v18, v[19:20], off
	global_load_b32 v19, v[21:22], off
	global_load_b32 v20, v[23:24], off
	s_add_u32 s7, s8, s20
	s_addc_u32 s8, s9, s21
	s_add_u32 s7, s7, s10
	s_addc_u32 s8, s8, s11
	v_add_co_u32 v1, vcc_lo, s7, v1
	v_add_co_ci_u32_e32 v2, vcc_lo, s8, v2, vcc_lo
	v_add_co_u32 v3, vcc_lo, s7, v3
	v_add_co_ci_u32_e32 v4, vcc_lo, s8, v4, vcc_lo
	;; [unrolled: 2-line block ×5, first 2 shown]
	s_clause 0x4
	global_load_b32 v21, v[1:2], off
	global_load_b32 v3, v[3:4], off
	;; [unrolled: 1-line block ×5, first 2 shown]
	v_add_co_u32 v1, vcc_lo, s7, v11
	v_add_co_ci_u32_e32 v2, vcc_lo, s8, v12, vcc_lo
	global_load_b32 v7, v[1:2], off
	v_add_co_u32 v1, vcc_lo, s7, v13
	v_add_co_ci_u32_e32 v2, vcc_lo, s8, v14, vcc_lo
	global_load_b32 v8, v[1:2], off
	v_add_co_u32 v1, vcc_lo, s7, v15
	v_add_co_ci_u32_e32 v2, vcc_lo, s8, v16, vcc_lo
	s_mov_b32 s7, exec_lo
	global_load_b32 v11, v[1:2], off
	v_mbcnt_lo_u32_b32 v1, -1, 0
	s_delay_alu instid0(VALU_DEP_1)
	v_xor_b32_e32 v12, 8, v1
	v_xor_b32_e32 v13, 4, v1
	;; [unrolled: 1-line block ×4, first 2 shown]
	s_waitcnt vmcnt(14)
	v_dual_max_f32 v10, v25, v25 :: v_dual_max_f32 v9, v26, v26
	s_delay_alu instid0(VALU_DEP_1) | instskip(SKIP_2) | instid1(VALU_DEP_2)
	v_max_f32_e32 v2, v10, v9
	v_xor_b32_e32 v9, 16, v1
	s_waitcnt vmcnt(12)
	v_max3_f32 v2, v2, v27, v28
	s_delay_alu instid0(VALU_DEP_2) | instskip(SKIP_4) | instid1(VALU_DEP_3)
	v_cmp_gt_i32_e32 vcc_lo, 32, v9
	v_cndmask_b32_e32 v9, v1, v9, vcc_lo
	v_cmp_gt_i32_e32 vcc_lo, 32, v12
	s_waitcnt vmcnt(10)
	v_max3_f32 v2, v2, v17, v18
	v_dual_cndmask_b32 v12, v1, v12 :: v_dual_lshlrev_b32 v9, 2, v9
	v_cmp_gt_i32_e32 vcc_lo, 32, v13
	s_waitcnt vmcnt(8)
	s_delay_alu instid0(VALU_DEP_3) | instskip(NEXT) | instid1(VALU_DEP_3)
	v_max3_f32 v2, v2, v19, v20
	v_dual_cndmask_b32 v13, v1, v13 :: v_dual_lshlrev_b32 v12, 2, v12
	ds_bpermute_b32 v10, v9, v2
	v_cmp_gt_i32_e32 vcc_lo, 32, v14
	v_dual_cndmask_b32 v14, v1, v14 :: v_dual_lshlrev_b32 v13, 2, v13
	v_cmp_gt_i32_e32 vcc_lo, 32, v15
	s_delay_alu instid0(VALU_DEP_2) | instskip(SKIP_1) | instid1(VALU_DEP_1)
	v_dual_cndmask_b32 v1, v1, v15 :: v_dual_lshlrev_b32 v14, 2, v14
	s_waitcnt lgkmcnt(0)
	v_dual_max_f32 v10, v10, v10 :: v_dual_lshlrev_b32 v15, 2, v1
	s_delay_alu instid0(VALU_DEP_1) | instskip(SKIP_3) | instid1(VALU_DEP_1)
	v_max_f32_e32 v2, v2, v10
	ds_bpermute_b32 v10, v12, v2
	s_waitcnt lgkmcnt(0)
	v_max_f32_e32 v10, v10, v10
	v_max_f32_e32 v2, v2, v10
	ds_bpermute_b32 v10, v13, v2
	s_waitcnt lgkmcnt(0)
	v_max_f32_e32 v10, v10, v10
	s_delay_alu instid0(VALU_DEP_1) | instskip(SKIP_3) | instid1(VALU_DEP_1)
	v_max_f32_e32 v2, v2, v10
	ds_bpermute_b32 v10, v14, v2
	s_waitcnt lgkmcnt(0)
	v_max_f32_e32 v10, v10, v10
	v_max_f32_e32 v1, v2, v10
	ds_bpermute_b32 v2, v15, v1
	s_waitcnt lgkmcnt(0)
	v_max_f32_e32 v2, v2, v2
	s_delay_alu instid0(VALU_DEP_1) | instskip(SKIP_1) | instid1(VALU_DEP_2)
	v_max_f32_e32 v1, v1, v2
	v_sub_nc_u32_e32 v2, s40, v0
	v_sub_f32_e32 v23, v28, v1
	v_sub_f32_e32 v16, v26, v1
	s_delay_alu instid0(VALU_DEP_2)
	v_mul_f32_e32 v26, 0x3fb8aa3b, v23
	v_sub_f32_e32 v10, v25, v1
	v_sub_f32_e32 v22, v27, v1
	;; [unrolled: 1-line block ×4, first 2 shown]
	v_dual_sub_f32 v19, v19, v1 :: v_dual_mul_f32 v24, 0x3fb8aa3b, v16
	s_delay_alu instid0(VALU_DEP_4) | instskip(NEXT) | instid1(VALU_DEP_3)
	v_mul_f32_e32 v25, 0x3fb8aa3b, v22
	v_dual_sub_f32 v1, v20, v1 :: v_dual_mul_f32 v28, 0x3fb8aa3b, v18
	v_mul_f32_e32 v20, 0x3fb8aa3b, v10
	s_delay_alu instid0(VALU_DEP_4)
	v_fma_f32 v33, 0x3fb8aa3b, v16, -v24
	v_rndne_f32_e32 v34, v24
	v_fma_f32 v35, 0x3fb8aa3b, v22, -v25
	v_dual_mul_f32 v29, 0x3fb8aa3b, v19 :: v_dual_mul_f32 v30, 0x3fb8aa3b, v1
	v_fma_f32 v31, 0x3fb8aa3b, v10, -v20
	v_rndne_f32_e32 v32, v20
	v_mul_f32_e32 v27, 0x3fb8aa3b, v17
	v_dual_fmac_f32 v33, 0x32a5705f, v16 :: v_dual_sub_f32 v24, v24, v34
	s_delay_alu instid0(VALU_DEP_3) | instskip(SKIP_2) | instid1(VALU_DEP_4)
	v_dual_fmac_f32 v31, 0x32a5705f, v10 :: v_dual_sub_f32 v20, v20, v32
	v_cvt_i32_f32_e32 v32, v32
	v_fma_f32 v37, 0x3fb8aa3b, v23, -v26
	v_dual_add_f32 v24, v24, v33 :: v_dual_fmac_f32 v35, 0x32a5705f, v22
	s_delay_alu instid0(VALU_DEP_4)
	v_add_f32_e32 v20, v20, v31
	v_fma_f32 v39, 0x3fb8aa3b, v17, -v27
	v_fma_f32 v41, 0x3fb8aa3b, v18, -v28
	v_rndne_f32_e32 v42, v28
	v_fma_f32 v45, 0x3fb8aa3b, v1, -v30
	v_exp_f32_e32 v20, v20
	v_rndne_f32_e32 v46, v30
	v_cmp_ngt_f32_e32 vcc_lo, 0xc2ce8ed0, v10
	v_rndne_f32_e32 v36, v25
	v_fma_f32 v43, 0x3fb8aa3b, v19, -v29
	v_dual_fmac_f32 v37, 0x32a5705f, v23 :: v_dual_sub_f32 v28, v28, v42
	v_dual_fmac_f32 v39, 0x32a5705f, v17 :: v_dual_sub_f32 v30, v30, v46
	v_exp_f32_e32 v24, v24
	s_delay_alu instid0(TRANS32_DEP_2)
	v_ldexp_f32 v20, v20, v32
	v_fmac_f32_e32 v45, 0x32a5705f, v1
	v_rndne_f32_e32 v38, v26
	v_cvt_i32_f32_e32 v34, v34
	v_sub_f32_e32 v25, v25, v36
	v_dual_cndmask_b32 v20, 0, v20 :: v_dual_fmac_f32 v41, 0x32a5705f, v18
	v_dual_add_f32 v30, v30, v45 :: v_dual_fmac_f32 v43, 0x32a5705f, v19
	v_rndne_f32_e32 v40, v27
	v_sub_f32_e32 v26, v26, v38
	s_delay_alu instid0(VALU_DEP_4)
	v_add_f32_e32 v28, v28, v41
	v_ldexp_f32 v24, v24, v34
	v_cmp_ngt_f32_e32 vcc_lo, 0xc2ce8ed0, v16
	v_add_f32_e32 v25, v25, v35
	v_dual_sub_f32 v27, v27, v40 :: v_dual_add_f32 v26, v26, v37
	v_exp_f32_e32 v28, v28
	v_cvt_i32_f32_e32 v31, v42
	v_cndmask_b32_e32 v24, 0, v24, vcc_lo
	v_exp_f32_e32 v25, v25
	v_cvt_i32_f32_e32 v36, v36
	v_exp_f32_e32 v26, v26
	v_cvt_i32_f32_e32 v38, v38
	v_cmp_ngt_f32_e32 vcc_lo, 0xc2ce8ed0, v22
	v_rndne_f32_e32 v44, v29
	v_cvt_i32_f32_e32 v40, v40
	v_ldexp_f32 v28, v28, v31
	v_add_f32_e32 v27, v27, v39
	v_exp_f32_e32 v30, v30
	v_ldexp_f32 v25, v25, v36
	v_cvt_i32_f32_e32 v33, v44
	v_ldexp_f32 v26, v26, v38
	v_exp_f32_e32 v27, v27
	s_delay_alu instid0(VALU_DEP_3) | instskip(SKIP_1) | instid1(VALU_DEP_3)
	v_cndmask_b32_e32 v25, 0, v25, vcc_lo
	v_cmp_ngt_f32_e32 vcc_lo, 0xc2ce8ed0, v23
	v_dual_sub_f32 v29, v29, v44 :: v_dual_cndmask_b32 v26, 0, v26
	v_cmp_ngt_f32_e32 vcc_lo, 0xc2ce8ed0, v17
	s_waitcnt_depctr 0xfff
	v_ldexp_f32 v27, v27, v40
	s_delay_alu instid0(VALU_DEP_1)
	v_cndmask_b32_e32 v27, 0, v27, vcc_lo
	v_cmp_ngt_f32_e32 vcc_lo, 0xc2ce8ed0, v18
	v_cndmask_b32_e32 v28, 0, v28, vcc_lo
	v_cmp_nlt_f32_e32 vcc_lo, 0x42b17218, v10
	v_dual_add_f32 v29, v29, v43 :: v_dual_cndmask_b32 v10, 0x7f800000, v20
	v_cmp_nlt_f32_e32 vcc_lo, 0x42b17218, v16
	s_delay_alu instid0(VALU_DEP_2)
	v_exp_f32_e32 v29, v29
	v_cndmask_b32_e32 v16, 0x7f800000, v24, vcc_lo
	v_cmp_nlt_f32_e32 vcc_lo, 0x42b17218, v22
	v_cndmask_b32_e32 v20, 0x7f800000, v25, vcc_lo
	v_cmp_nlt_f32_e32 vcc_lo, 0x42b17218, v23
	s_waitcnt_depctr 0xfff
	v_ldexp_f32 v29, v29, v33
	v_cndmask_b32_e32 v22, 0x7f800000, v26, vcc_lo
	v_cmp_nlt_f32_e32 vcc_lo, 0x42b17218, v17
	v_cndmask_b32_e32 v17, 0x7f800000, v27, vcc_lo
	v_cmp_lt_i32_e32 vcc_lo, 0, v2
	v_cndmask_b32_e32 v10, 0, v10, vcc_lo
	v_cmp_lt_i32_e32 vcc_lo, 32, v2
	s_waitcnt vmcnt(7)
	s_delay_alu instid0(VALU_DEP_2) | instskip(SKIP_3) | instid1(VALU_DEP_2)
	v_mul_f32_e32 v10, v21, v10
	v_cndmask_b32_e32 v16, 0, v16, vcc_lo
	v_cmp_lt_i32_e32 vcc_lo, 64, v2
	s_waitcnt vmcnt(6)
	v_mul_f32_e32 v3, v3, v16
	v_cndmask_b32_e32 v20, 0, v20, vcc_lo
	v_cmp_lt_i32_e32 vcc_lo, 0x60, v2
	v_cndmask_b32_e32 v22, 0, v22, vcc_lo
	v_cmp_lt_i32_e32 vcc_lo, 0x80, v2
	v_cndmask_b32_e32 v17, 0, v17, vcc_lo
	v_cmp_nlt_f32_e32 vcc_lo, 0x42b17218, v18
	s_waitcnt vmcnt(3)
	s_delay_alu instid0(VALU_DEP_2) | instskip(SKIP_2) | instid1(VALU_DEP_2)
	v_mul_f32_e32 v6, v6, v17
	v_dual_mul_f32 v4, v4, v20 :: v_dual_add_f32 v17, v10, v3
	v_cvt_i32_f32_e32 v20, v46
	v_add_f32_e32 v17, v17, v4
	v_dual_mul_f32 v5, v5, v22 :: v_dual_cndmask_b32 v16, 0x7f800000, v28
	v_cmp_ngt_f32_e32 vcc_lo, 0xc2ce8ed0, v19
	s_delay_alu instid0(VALU_DEP_2)
	v_add_f32_e32 v17, v17, v5
	v_cndmask_b32_e32 v18, 0, v29, vcc_lo
	v_cmp_lt_i32_e32 vcc_lo, 0xa0, v2
	v_cndmask_b32_e32 v16, 0, v16, vcc_lo
	v_cmp_nlt_f32_e32 vcc_lo, 0x42b17218, v19
	s_waitcnt vmcnt(2)
	s_delay_alu instid0(VALU_DEP_2) | instskip(SKIP_3) | instid1(VALU_DEP_4)
	v_dual_mul_f32 v7, v7, v16 :: v_dual_cndmask_b32 v18, 0x7f800000, v18
	v_cmp_lt_i32_e32 vcc_lo, 0xc0, v2
	v_ldexp_f32 v16, v30, v20
	v_add_f32_e32 v17, v17, v6
	v_cndmask_b32_e32 v18, 0, v18, vcc_lo
	v_cmp_ngt_f32_e32 vcc_lo, 0xc2ce8ed0, v1
	s_delay_alu instid0(VALU_DEP_4) | instskip(SKIP_2) | instid1(VALU_DEP_2)
	v_cndmask_b32_e32 v16, 0, v16, vcc_lo
	v_cmp_nlt_f32_e32 vcc_lo, 0x42b17218, v1
	s_waitcnt vmcnt(1)
	v_dual_mul_f32 v8, v8, v18 :: v_dual_cndmask_b32 v1, 0x7f800000, v16
	v_add_f32_e32 v16, v17, v7
	v_cmp_lt_i32_e32 vcc_lo, 0xe0, v2
	s_delay_alu instid0(VALU_DEP_3) | instskip(NEXT) | instid1(VALU_DEP_3)
	v_cndmask_b32_e32 v17, 0, v1, vcc_lo
	v_add_f32_e32 v1, v16, v8
	s_waitcnt vmcnt(0)
	s_delay_alu instid0(VALU_DEP_1)
	v_fmac_f32_e32 v1, v11, v17
	v_mul_f32_e32 v11, v11, v17
	ds_bpermute_b32 v2, v9, v1
	v_lshlrev_b32_e32 v9, 2, v0
	ds_store_2addr_b32 v9, v10, v3 offset1:32
	ds_store_2addr_b32 v9, v4, v5 offset0:64 offset1:96
	ds_store_2addr_b32 v9, v6, v7 offset0:128 offset1:160
	;; [unrolled: 1-line block ×3, first 2 shown]
	s_waitcnt lgkmcnt(4)
	v_add_f32_e32 v1, v1, v2
	ds_bpermute_b32 v2, v12, v1
	s_waitcnt lgkmcnt(0)
	v_add_f32_e32 v1, v1, v2
	ds_bpermute_b32 v2, v13, v1
	;; [unrolled: 3-line block ×4, first 2 shown]
	v_cmpx_eq_u32_e32 0, v0
	s_cbranch_execz .LBB657_8
; %bb.7:
	s_waitcnt lgkmcnt(0)
	v_dual_add_f32 v1, v1, v2 :: v_dual_mov_b32 v2, 0
	ds_store_b32 v2, v1 offset:1024
.LBB657_8:
	s_or_b32 exec_lo, exec_lo, s7
	v_mov_b32_e32 v1, s6
.LBB657_9:
	s_or_b32 exec_lo, exec_lo, s24
	s_lshl_b32 s6, s18, 7
	s_mov_b32 s7, 0
	s_waitcnt lgkmcnt(0)
	v_dual_mov_b32 v2, 0 :: v_dual_lshlrev_b32 v1, 7, v1
	s_lshl_b64 s[6:7], s[6:7], 1
	v_lshlrev_b32_e32 v0, 1, v0
	s_add_u32 s34, s4, s6
	s_addc_u32 s35, s5, s7
	s_lshl_b32 s41, s40, 7
	v_lshlrev_b64 v[3:4], 1, v[1:2]
	s_add_i32 s42, s41, 0xffffff80
	s_cmpk_lt_i32 s22, 0x100
	v_dual_mov_b32 v30, 0 :: v_dual_mov_b32 v33, 0
	s_cselect_b32 s4, s42, 0
	s_delay_alu instid0(VALU_DEP_2)
	v_add_co_u32 v1, vcc_lo, s34, v3
	s_ashr_i32 s5, s4, 31
	v_add_co_ci_u32_e32 v3, vcc_lo, s35, v4, vcc_lo
	s_lshl_b64 s[4:5], s[4:5], 1
	s_cmpk_lt_i32 s22, 0x200
	v_add_co_u32 v1, vcc_lo, v1, v0
	s_cselect_b32 s6, s42, 0x80
	v_add_co_ci_u32_e32 v3, vcc_lo, 0, v3, vcc_lo
	s_ashr_i32 s7, s6, 31
	s_delay_alu instid0(VALU_DEP_2)
	v_add_co_u32 v4, vcc_lo, v1, s4
	s_lshl_b64 s[6:7], s[6:7], 1
	s_cmpk_lt_i32 s22, 0x300
	v_add_co_ci_u32_e32 v5, vcc_lo, s5, v3, vcc_lo
	s_cselect_b32 s8, s42, 0x100
	v_add_co_u32 v6, vcc_lo, v1, s6
	s_ashr_i32 s9, s8, 31
	v_add_co_ci_u32_e32 v7, vcc_lo, s7, v3, vcc_lo
	s_lshl_b64 s[8:9], s[8:9], 1
	s_cmpk_lt_i32 s22, 0x400
	v_add_co_u32 v8, vcc_lo, v1, s8
	s_cselect_b32 s10, s42, 0x180
	v_add_co_ci_u32_e32 v9, vcc_lo, s9, v3, vcc_lo
	s_ashr_i32 s11, s10, 31
	v_dual_mov_b32 v32, 0 :: v_dual_mov_b32 v35, 0
	s_lshl_b64 s[10:11], s[10:11], 1
	s_cmpk_lt_i32 s22, 0x500
	v_add_co_u32 v11, vcc_lo, v1, s10
	s_cselect_b32 s18, s42, 0x200
	v_add_co_ci_u32_e32 v12, vcc_lo, s11, v3, vcc_lo
	s_ashr_i32 s19, s18, 31
	v_mov_b32_e32 v34, 0
	s_lshl_b64 s[18:19], s[18:19], 1
	s_cmpk_lt_i32 s22, 0x600
	v_add_co_u32 v14, vcc_lo, v1, s18
	s_cselect_b32 s20, s42, 0x280
	v_add_co_ci_u32_e32 v15, vcc_lo, s19, v3, vcc_lo
	s_ashr_i32 s21, s20, 31
	v_mov_b32_e32 v31, 0
	s_lshl_b64 s[20:21], s[20:21], 1
	s_cmpk_lt_i32 s22, 0x700
	v_add_co_u32 v16, vcc_lo, v1, s20
	s_cselect_b32 s24, s42, 0x300
	v_add_co_ci_u32_e32 v17, vcc_lo, s21, v3, vcc_lo
	s_ashr_i32 s25, s24, 31
	s_delay_alu instid0(SALU_CYCLE_1)
	s_lshl_b64 s[24:25], s[24:25], 1
	s_cmpk_lt_i32 s22, 0x800
	v_add_co_u32 v18, vcc_lo, v1, s24
	s_cselect_b32 s26, s42, 0x380
	v_add_co_ci_u32_e32 v19, vcc_lo, s25, v3, vcc_lo
	s_ashr_i32 s27, s26, 31
	s_delay_alu instid0(SALU_CYCLE_1)
	s_lshl_b64 s[26:27], s[26:27], 1
	s_cmpk_lt_i32 s22, 0x900
	v_add_co_u32 v20, vcc_lo, v1, s26
	s_cselect_b32 s28, s42, 0x400
	v_add_co_ci_u32_e32 v21, vcc_lo, s27, v3, vcc_lo
	s_ashr_i32 s29, s28, 31
	s_clause 0x7
	global_load_u16 v13, v[4:5], off
	global_load_u16 v4, v[6:7], off
	;; [unrolled: 1-line block ×8, first 2 shown]
	s_lshl_b64 s[28:29], s[28:29], 1
	s_cmpk_lt_i32 s22, 0xa00
	v_add_co_u32 v11, vcc_lo, v1, s28
	s_cselect_b32 s30, s42, 0x480
	v_add_co_ci_u32_e32 v12, vcc_lo, s29, v3, vcc_lo
	s_ashr_i32 s31, s30, 31
	s_delay_alu instid0(SALU_CYCLE_1)
	s_lshl_b64 s[30:31], s[30:31], 1
	s_cmpk_lt_i32 s22, 0xb00
	v_add_co_u32 v14, vcc_lo, v1, s30
	s_cselect_b32 s34, s42, 0x500
	v_add_co_ci_u32_e32 v15, vcc_lo, s31, v3, vcc_lo
	s_ashr_i32 s35, s34, 31
	s_delay_alu instid0(SALU_CYCLE_1)
	;; [unrolled: 7-line block ×7, first 2 shown]
	s_lshl_b64 s[4:5], s[6:7], 1
	s_cmpk_gt_i32 s23, 0x1000
	v_add_co_u32 v28, vcc_lo, v1, s4
	v_add_co_ci_u32_e32 v29, vcc_lo, s5, v3, vcc_lo
	s_clause 0x7
	global_load_u16 v19, v[11:12], off
	global_load_u16 v18, v[14:15], off
	;; [unrolled: 1-line block ×8, first 2 shown]
	v_dual_mov_b32 v20, 0 :: v_dual_mov_b32 v23, 0
	v_dual_mov_b32 v21, 0 :: v_dual_mov_b32 v22, 0
	;; [unrolled: 1-line block ×5, first 2 shown]
	s_cselect_b32 s6, -1, 0
	s_cmpk_lt_i32 s23, 0x1001
	s_waitcnt vmcnt(0)
	s_barrier
	buffer_gl0_inv
	s_cbranch_scc1 .LBB657_11
; %bb.10:
	s_cmpk_lt_i32 s22, 0x1100
	s_cselect_b32 s4, s42, 0x800
	s_delay_alu instid0(SALU_CYCLE_1) | instskip(NEXT) | instid1(SALU_CYCLE_1)
	s_ashr_i32 s5, s4, 31
	s_lshl_b64 s[4:5], s[4:5], 1
	s_cmpk_lt_i32 s22, 0x1200
	v_add_co_u32 v20, vcc_lo, v1, s4
	s_cselect_b32 s8, s42, 0x880
	v_add_co_ci_u32_e32 v21, vcc_lo, s5, v3, vcc_lo
	s_ashr_i32 s9, s8, 31
	s_delay_alu instid0(SALU_CYCLE_1)
	s_lshl_b64 s[8:9], s[8:9], 1
	s_cmpk_lt_i32 s22, 0x1300
	v_add_co_u32 v22, vcc_lo, v1, s8
	s_cselect_b32 s10, s42, 0x900
	v_add_co_ci_u32_e32 v23, vcc_lo, s9, v3, vcc_lo
	s_ashr_i32 s11, s10, 31
	s_delay_alu instid0(SALU_CYCLE_1)
	s_lshl_b64 s[10:11], s[10:11], 1
	s_cmpk_lt_i32 s22, 0x1400
	v_add_co_u32 v24, vcc_lo, v1, s10
	s_cselect_b32 s18, s42, 0x980
	v_add_co_ci_u32_e32 v25, vcc_lo, s11, v3, vcc_lo
	s_ashr_i32 s19, s18, 31
	s_delay_alu instid0(SALU_CYCLE_1)
	s_lshl_b64 s[18:19], s[18:19], 1
	s_cmpk_lt_i32 s22, 0x1500
	v_add_co_u32 v26, vcc_lo, v1, s18
	s_cselect_b32 s20, s42, 0xa00
	v_add_co_ci_u32_e32 v27, vcc_lo, s19, v3, vcc_lo
	s_ashr_i32 s21, s20, 31
	s_delay_alu instid0(SALU_CYCLE_1)
	s_lshl_b64 s[20:21], s[20:21], 1
	s_cmpk_lt_i32 s22, 0x1600
	v_add_co_u32 v28, vcc_lo, v1, s20
	s_cselect_b32 s24, s42, 0xa80
	v_add_co_ci_u32_e32 v29, vcc_lo, s21, v3, vcc_lo
	s_ashr_i32 s25, s24, 31
	s_delay_alu instid0(SALU_CYCLE_1)
	s_lshl_b64 s[24:25], s[24:25], 1
	s_cmpk_lt_i32 s22, 0x1700
	v_add_co_u32 v30, vcc_lo, v1, s24
	s_cselect_b32 s26, s42, 0xb00
	v_add_co_ci_u32_e32 v31, vcc_lo, s25, v3, vcc_lo
	s_ashr_i32 s27, s26, 31
	s_delay_alu instid0(SALU_CYCLE_1)
	s_lshl_b64 s[26:27], s[26:27], 1
	s_cmpk_lt_i32 s22, 0x1800
	v_add_co_u32 v32, vcc_lo, v1, s26
	s_cselect_b32 s28, s42, 0xb80
	v_add_co_ci_u32_e32 v33, vcc_lo, s27, v3, vcc_lo
	s_ashr_i32 s29, s28, 31
	s_delay_alu instid0(SALU_CYCLE_1)
	s_lshl_b64 s[28:29], s[28:29], 1
	s_cmpk_lt_i32 s22, 0x1900
	v_add_co_u32 v34, vcc_lo, v1, s28
	s_cselect_b32 s30, s42, 0xc00
	v_add_co_ci_u32_e32 v35, vcc_lo, s29, v3, vcc_lo
	s_ashr_i32 s31, s30, 31
	s_delay_alu instid0(SALU_CYCLE_1)
	s_lshl_b64 s[30:31], s[30:31], 1
	s_cmpk_lt_i32 s22, 0x1a00
	v_add_co_u32 v36, vcc_lo, v1, s30
	s_cselect_b32 s34, s42, 0xc80
	v_add_co_ci_u32_e32 v37, vcc_lo, s31, v3, vcc_lo
	s_ashr_i32 s35, s34, 31
	s_delay_alu instid0(SALU_CYCLE_1)
	s_lshl_b64 s[34:35], s[34:35], 1
	s_cmpk_lt_i32 s22, 0x1b00
	v_add_co_u32 v38, vcc_lo, v1, s34
	s_cselect_b32 s36, s42, 0xd00
	v_add_co_ci_u32_e32 v39, vcc_lo, s35, v3, vcc_lo
	s_ashr_i32 s37, s36, 31
	s_delay_alu instid0(SALU_CYCLE_1)
	s_lshl_b64 s[36:37], s[36:37], 1
	s_cmpk_lt_i32 s22, 0x1c00
	v_add_co_u32 v40, vcc_lo, v1, s36
	s_cselect_b32 s4, s42, 0xd80
	v_add_co_ci_u32_e32 v41, vcc_lo, s37, v3, vcc_lo
	s_ashr_i32 s5, s4, 31
	s_delay_alu instid0(SALU_CYCLE_1)
	s_lshl_b64 s[4:5], s[4:5], 1
	s_cmpk_lt_i32 s22, 0x1d00
	v_add_co_u32 v42, vcc_lo, v1, s4
	s_cselect_b32 s8, s42, 0xe00
	v_add_co_ci_u32_e32 v43, vcc_lo, s5, v3, vcc_lo
	s_ashr_i32 s9, s8, 31
	s_delay_alu instid0(SALU_CYCLE_1)
	s_lshl_b64 s[8:9], s[8:9], 1
	s_cmpk_lt_i32 s22, 0x1e00
	v_add_co_u32 v44, vcc_lo, v1, s8
	s_cselect_b32 s10, s42, 0xe80
	v_add_co_ci_u32_e32 v45, vcc_lo, s9, v3, vcc_lo
	s_ashr_i32 s11, s10, 31
	s_delay_alu instid0(SALU_CYCLE_1)
	s_lshl_b64 s[10:11], s[10:11], 1
	s_cmpk_lt_i32 s22, 0x1f00
	v_add_co_u32 v46, vcc_lo, v1, s10
	s_cselect_b32 s18, s42, 0xf00
	v_add_co_ci_u32_e32 v47, vcc_lo, s11, v3, vcc_lo
	s_ashr_i32 s19, s18, 31
	s_delay_alu instid0(SALU_CYCLE_1)
	s_lshl_b64 s[4:5], s[18:19], 1
	s_cmpk_lt_i32 s22, 0x2000
	v_add_co_u32 v48, vcc_lo, v1, s4
	s_cselect_b32 s8, s42, 0xf80
	v_add_co_ci_u32_e32 v49, vcc_lo, s5, v3, vcc_lo
	s_ashr_i32 s9, s8, 31
	s_delay_alu instid0(SALU_CYCLE_1) | instskip(NEXT) | instid1(SALU_CYCLE_1)
	s_lshl_b64 s[4:5], s[8:9], 1
	v_add_co_u32 v50, vcc_lo, v1, s4
	v_add_co_ci_u32_e32 v51, vcc_lo, s5, v3, vcc_lo
	s_clause 0xf
	global_load_u16 v20, v[20:21], off
	global_load_u16 v21, v[22:23], off
	;; [unrolled: 1-line block ×16, first 2 shown]
	s_waitcnt vmcnt(15)
	v_lshlrev_b32_e32 v35, 16, v20
	s_waitcnt vmcnt(14)
	v_lshlrev_b32_e32 v34, 16, v21
	;; [unrolled: 2-line block ×16, first 2 shown]
.LBB657_11:
	ds_load_b128 v[36:39], v2
	ds_load_b128 v[40:43], v2 offset:16
	v_lshlrev_b32_e32 v44, 16, v4
	v_lshlrev_b32_e32 v13, 16, v13
	v_lshlrev_b32_e32 v10, 16, v10
	v_lshlrev_b32_e32 v8, 16, v8
	v_lshlrev_b32_e32 v6, 16, v6
	s_load_b64 s[0:1], s[0:1], 0x0
	s_and_b32 vcc_lo, exec_lo, s6
	v_lshlrev_b32_e32 v5, 16, v5
	s_waitcnt lgkmcnt(0)
	v_fma_f32 v4, v36, v13, 0
	s_delay_alu instid0(VALU_DEP_1) | instskip(NEXT) | instid1(VALU_DEP_1)
	v_dual_fmac_f32 v4, v37, v44 :: v_dual_lshlrev_b32 v13, 16, v7
	v_dual_fmac_f32 v4, v38, v10 :: v_dual_lshlrev_b32 v9, 16, v9
	s_delay_alu instid0(VALU_DEP_1) | instskip(SKIP_4) | instid1(VALU_DEP_1)
	v_fmac_f32_e32 v4, v39, v9
	ds_load_b128 v[36:39], v2 offset:48
	v_fmac_f32_e32 v4, v40, v8
	ds_load_b128 v[7:10], v2 offset:32
	v_fmac_f32_e32 v4, v41, v13
	v_fmac_f32_e32 v4, v42, v6
	v_lshlrev_b32_e32 v6, 16, v19
	s_delay_alu instid0(VALU_DEP_2) | instskip(SKIP_1) | instid1(VALU_DEP_1)
	v_dual_fmac_f32 v4, v43, v5 :: v_dual_lshlrev_b32 v5, 16, v18
	s_waitcnt lgkmcnt(0)
	v_fmac_f32_e32 v4, v7, v6
	v_lshlrev_b32_e32 v6, 16, v17
	s_delay_alu instid0(VALU_DEP_2) | instskip(NEXT) | instid1(VALU_DEP_1)
	v_dual_fmac_f32 v4, v8, v5 :: v_dual_lshlrev_b32 v5, 16, v16
	v_fmac_f32_e32 v4, v9, v6
	v_lshlrev_b32_e32 v6, 16, v15
	s_delay_alu instid0(VALU_DEP_2) | instskip(NEXT) | instid1(VALU_DEP_1)
	v_dual_fmac_f32 v4, v10, v5 :: v_dual_lshlrev_b32 v5, 16, v14
	;; [unrolled: 4-line block ×3, first 2 shown]
	v_fmac_f32_e32 v4, v38, v6
	s_delay_alu instid0(VALU_DEP_1)
	v_fmac_f32_e32 v4, v39, v5
	s_cbranch_vccz .LBB657_13
; %bb.12:
	ds_load_b128 v[5:8], v2 offset:64
	ds_load_b128 v[9:12], v2 offset:80
	s_waitcnt lgkmcnt(1)
	v_fmac_f32_e32 v4, v5, v35
	s_delay_alu instid0(VALU_DEP_1) | instskip(NEXT) | instid1(VALU_DEP_1)
	v_fmac_f32_e32 v4, v6, v34
	v_fmac_f32_e32 v4, v7, v33
	s_delay_alu instid0(VALU_DEP_1) | instskip(SKIP_3) | instid1(VALU_DEP_1)
	v_fmac_f32_e32 v4, v8, v32
	ds_load_b128 v[5:8], v2 offset:96
	s_waitcnt lgkmcnt(1)
	v_fmac_f32_e32 v4, v9, v31
	v_fmac_f32_e32 v4, v10, v30
	s_delay_alu instid0(VALU_DEP_1) | instskip(NEXT) | instid1(VALU_DEP_1)
	v_fmac_f32_e32 v4, v11, v29
	v_fmac_f32_e32 v4, v12, v28
	ds_load_b128 v[9:12], v2 offset:112
	s_waitcnt lgkmcnt(1)
	v_fmac_f32_e32 v4, v5, v27
	s_delay_alu instid0(VALU_DEP_1) | instskip(NEXT) | instid1(VALU_DEP_1)
	v_fmac_f32_e32 v4, v6, v26
	v_fmac_f32_e32 v4, v7, v25
	s_delay_alu instid0(VALU_DEP_1) | instskip(SKIP_1) | instid1(VALU_DEP_1)
	v_fmac_f32_e32 v4, v8, v24
	s_waitcnt lgkmcnt(0)
	v_fmac_f32_e32 v4, v9, v23
	s_delay_alu instid0(VALU_DEP_1) | instskip(NEXT) | instid1(VALU_DEP_1)
	v_fmac_f32_e32 v4, v10, v22
	v_fmac_f32_e32 v4, v11, v21
	s_delay_alu instid0(VALU_DEP_1)
	v_fmac_f32_e32 v4, v12, v20
.LBB657_13:
	s_movk_i32 s43, 0x1f80
	s_movk_i32 s44, 0x80
	s_mov_b32 s45, 32
	s_branch .LBB657_15
.LBB657_14:                             ;   in Loop: Header=BB657_15 Depth=1
	s_addk_i32 s43, 0x1000
	s_addk_i32 s44, 0x80
	s_add_i32 s45, s45, 32
	s_cmpk_eq_u32 s43, 0x8f80
	s_cbranch_scc1 .LBB657_17
.LBB657_15:                             ; =>This Inner Loop Header: Depth=1
	s_cmp_le_i32 s40, s45
	s_cbranch_scc1 .LBB657_14
; %bb.16:                               ;   in Loop: Header=BB657_15 Depth=1
	s_add_i32 s4, s43, 0xfffff080
	v_mov_b32_e32 v44, s44
	s_cmp_lt_i32 s4, s41
	s_cselect_b32 s4, s4, s42
	s_add_i32 s6, s43, 0xfffff100
	s_ashr_i32 s5, s4, 31
	s_delay_alu instid0(SALU_CYCLE_1)
	s_lshl_b64 s[38:39], s[4:5], 1
	s_cmp_lt_i32 s6, s41
	v_add_co_u32 v5, vcc_lo, v1, s38
	s_cselect_b32 s4, s6, s42
	s_add_i32 s6, s43, 0xfffff180
	s_ashr_i32 s5, s4, 31
	v_add_co_ci_u32_e32 v6, vcc_lo, s39, v3, vcc_lo
	s_lshl_b64 s[4:5], s[4:5], 1
	s_cmp_lt_i32 s6, s41
	s_cselect_b32 s6, s6, s42
	s_add_i32 s8, s43, 0xfffff200
	s_ashr_i32 s7, s6, 31
	global_load_u16 v2, v[5:6], off
	s_lshl_b64 s[6:7], s[6:7], 1
	s_cmp_lt_i32 s8, s41
	v_add_co_u32 v5, vcc_lo, v1, s4
	s_cselect_b32 s8, s8, s42
	s_add_i32 s10, s43, 0xfffff280
	s_ashr_i32 s9, s8, 31
	v_add_co_ci_u32_e32 v6, vcc_lo, s5, v3, vcc_lo
	s_lshl_b64 s[8:9], s[8:9], 1
	s_cmp_lt_i32 s10, s41
	v_add_co_u32 v7, vcc_lo, v1, s6
	s_cselect_b32 s10, s10, s42
	s_add_i32 s18, s43, 0xfffff300
	s_ashr_i32 s11, s10, 31
	v_add_co_ci_u32_e32 v8, vcc_lo, s7, v3, vcc_lo
	s_lshl_b64 s[10:11], s[10:11], 1
	s_cmp_lt_i32 s18, s41
	v_add_co_u32 v9, vcc_lo, v1, s8
	s_cselect_b32 s18, s18, s42
	s_add_i32 s20, s43, 0xfffff380
	s_ashr_i32 s19, s18, 31
	s_clause 0x1
	global_load_u16 v23, v[5:6], off
	global_load_u16 v24, v[7:8], off
	s_lshl_b64 s[18:19], s[18:19], 1
	s_cmp_lt_i32 s20, s41
	v_add_co_ci_u32_e32 v10, vcc_lo, s9, v3, vcc_lo
	s_cselect_b32 s20, s20, s42
	s_add_i32 s22, s43, 0xfffff400
	s_ashr_i32 s21, s20, 31
	global_load_u16 v25, v[9:10], off
	s_lshl_b64 s[20:21], s[20:21], 1
	s_cmp_lt_i32 s22, s41
	v_add_co_u32 v11, vcc_lo, v1, s10
	s_cselect_b32 s22, s22, s42
	s_add_i32 s24, s43, 0xfffff480
	s_ashr_i32 s23, s22, 31
	v_add_co_ci_u32_e32 v12, vcc_lo, s11, v3, vcc_lo
	s_lshl_b64 s[22:23], s[22:23], 1
	s_cmp_lt_i32 s24, s41
	v_add_co_u32 v13, vcc_lo, v1, s18
	global_load_u16 v26, v[11:12], off
	s_cselect_b32 s24, s24, s42
	s_add_i32 s26, s43, 0xfffff500
	s_ashr_i32 s25, s24, 31
	v_add_co_ci_u32_e32 v14, vcc_lo, s19, v3, vcc_lo
	s_lshl_b64 s[24:25], s[24:25], 1
	s_cmp_lt_i32 s26, s41
	v_add_co_u32 v15, vcc_lo, v1, s20
	global_load_u16 v27, v[13:14], off
	s_cselect_b32 s26, s26, s42
	s_add_i32 s28, s43, 0xfffff580
	s_ashr_i32 s27, s26, 31
	v_add_co_ci_u32_e32 v16, vcc_lo, s21, v3, vcc_lo
	s_lshl_b64 s[36:37], s[26:27], 1
	s_cmp_lt_i32 s28, s41
	v_add_co_u32 v17, vcc_lo, v1, s22
	s_cselect_b32 s26, s28, s42
	s_add_i32 s30, s43, 0xfffff600
	s_ashr_i32 s27, s26, 31
	v_add_co_ci_u32_e32 v18, vcc_lo, s23, v3, vcc_lo
	s_lshl_b64 s[28:29], s[26:27], 1
	s_cmp_lt_i32 s30, s41
	v_add_co_u32 v19, vcc_lo, v1, s24
	global_load_u16 v17, v[17:18], off
	s_cselect_b32 s26, s30, s42
	s_add_i32 s30, s43, 0xfffff680
	s_ashr_i32 s27, s26, 31
	v_add_co_ci_u32_e32 v20, vcc_lo, s25, v3, vcc_lo
	s_lshl_b64 s[26:27], s[26:27], 1
	s_cmp_lt_i32 s30, s41
	v_add_co_u32 v21, vcc_lo, v1, s36
	s_cselect_b32 s30, s30, s42
	s_add_i32 s46, s43, 0xfffff700
	s_ashr_i32 s31, s30, 31
	v_add_co_ci_u32_e32 v22, vcc_lo, s37, v3, vcc_lo
	s_lshl_b64 s[34:35], s[30:31], 1
	s_cmp_lt_i32 s46, s41
	v_add_co_u32 v5, vcc_lo, v1, s28
	;; [unrolled: 7-line block ×3, first 2 shown]
	s_cselect_b32 s46, s46, s42
	s_add_i32 s48, s43, 0xfffff800
	s_ashr_i32 s47, s46, 31
	global_load_u16 v28, v[15:16], off
	s_lshl_b64 s[38:39], s[46:47], 1
	s_cmp_lt_i32 s48, s41
	v_add_co_ci_u32_e32 v8, vcc_lo, s27, v3, vcc_lo
	s_cselect_b32 s46, s48, s42
	v_add_co_u32 v9, vcc_lo, v1, s34
	s_ashr_i32 s47, s46, 31
	s_add_i32 s4, s43, 0xfffff880
	s_lshl_b64 s[46:47], s[46:47], 1
	v_add_co_ci_u32_e32 v10, vcc_lo, s35, v3, vcc_lo
	s_cmp_lt_i32 s4, s41
	v_add_co_u32 v11, vcc_lo, v1, s30
	s_cselect_b32 s4, s4, s42
	v_add_co_ci_u32_e32 v12, vcc_lo, s31, v3, vcc_lo
	v_add_co_u32 v13, vcc_lo, v1, s38
	s_ashr_i32 s5, s4, 31
	s_add_i32 s6, s43, 0xfffff900
	v_add_co_ci_u32_e32 v14, vcc_lo, s39, v3, vcc_lo
	global_load_u16 v18, v[19:20], off
	s_lshl_b64 s[8:9], s[4:5], 1
	s_cmp_lt_i32 s6, s41
	global_load_u16 v30, v[13:14], off
	s_cselect_b32 s4, s6, s42
	global_load_u16 v19, v[21:22], off
	s_ashr_i32 s5, s4, 31
	s_add_i32 s6, s43, 0xfffff980
	s_lshl_b64 s[10:11], s[4:5], 1
	s_cmp_lt_i32 s6, s41
	s_clause 0x3
	global_load_u16 v20, v[5:6], off
	global_load_u16 v21, v[7:8], off
	;; [unrolled: 1-line block ×4, first 2 shown]
	s_cselect_b32 s4, s6, s42
	s_add_i32 s6, s43, 0xfffffa00
	s_ashr_i32 s5, s4, 31
	v_add_co_u32 v15, vcc_lo, v1, s46
	s_lshl_b64 s[4:5], s[4:5], 1
	s_cmp_lt_i32 s6, s41
	v_add_co_ci_u32_e32 v16, vcc_lo, s47, v3, vcc_lo
	s_cselect_b32 s6, s6, s42
	s_add_i32 s18, s43, 0xfffffa80
	s_ashr_i32 s7, s6, 31
	v_add_co_u32 v5, vcc_lo, v1, s8
	s_lshl_b64 s[6:7], s[6:7], 1
	s_cmp_lt_i32 s18, s41
	v_add_co_ci_u32_e32 v6, vcc_lo, s9, v3, vcc_lo
	s_cselect_b32 s18, s18, s42
	v_add_co_u32 v7, vcc_lo, v1, s10
	s_ashr_i32 s19, s18, 31
	s_add_i32 s20, s43, 0xfffffb00
	s_lshl_b64 s[18:19], s[18:19], 1
	v_add_co_ci_u32_e32 v8, vcc_lo, s11, v3, vcc_lo
	s_cmp_lt_i32 s20, s41
	v_add_co_u32 v9, vcc_lo, v1, s4
	s_cselect_b32 s20, s20, s42
	v_add_co_ci_u32_e32 v10, vcc_lo, s5, v3, vcc_lo
	v_add_co_u32 v11, vcc_lo, v1, s6
	s_ashr_i32 s21, s20, 31
	s_add_i32 s22, s43, 0xfffffb80
	v_add_co_ci_u32_e32 v12, vcc_lo, s7, v3, vcc_lo
	global_load_u16 v15, v[15:16], off
	s_lshl_b64 s[20:21], s[20:21], 1
	s_cmp_lt_i32 s22, s41
	global_load_u16 v33, v[11:12], off
	s_cselect_b32 s22, s22, s42
	s_clause 0x2
	global_load_u16 v16, v[5:6], off
	global_load_u16 v31, v[7:8], off
	;; [unrolled: 1-line block ×3, first 2 shown]
	s_ashr_i32 s23, s22, 31
	s_add_i32 s24, s43, 0xfffffc00
	s_lshl_b64 s[22:23], s[22:23], 1
	s_cmp_lt_i32 s24, s41
	v_add_co_u32 v13, vcc_lo, v1, s18
	s_cselect_b32 s24, s24, s42
	s_add_i32 s26, s43, 0xfffffc80
	s_ashr_i32 s25, s24, 31
	v_add_co_ci_u32_e32 v14, vcc_lo, s19, v3, vcc_lo
	s_lshl_b64 s[24:25], s[24:25], 1
	s_cmp_lt_i32 s26, s41
	v_add_co_u32 v5, vcc_lo, v1, s20
	s_cselect_b32 s8, s26, s42
	v_add_co_ci_u32_e32 v6, vcc_lo, s21, v3, vcc_lo
	s_ashr_i32 s9, s8, 31
	v_add_co_u32 v7, vcc_lo, v1, s22
	s_add_i32 s10, s43, 0xfffffd00
	s_lshl_b64 s[8:9], s[8:9], 1
	v_add_co_ci_u32_e32 v8, vcc_lo, s23, v3, vcc_lo
	s_cmp_lt_i32 s10, s41
	v_add_co_u32 v9, vcc_lo, v1, s24
	s_cselect_b32 s4, s10, s42
	global_load_u16 v13, v[13:14], off
	v_add_co_ci_u32_e32 v10, vcc_lo, s25, v3, vcc_lo
	s_ashr_i32 s5, s4, 31
	s_add_i32 s6, s43, 0xfffffd80
	s_lshl_b64 s[4:5], s[4:5], 1
	global_load_u16 v35, v[9:10], off
	s_cmp_lt_i32 s6, s41
	s_clause 0x1
	global_load_u16 v14, v[5:6], off
	global_load_u16 v34, v[7:8], off
	s_cselect_b32 s6, s6, s42
	s_add_i32 s10, s43, 0xfffffe00
	s_ashr_i32 s7, s6, 31
	v_add_co_u32 v5, vcc_lo, v1, s8
	s_lshl_b64 s[6:7], s[6:7], 1
	s_cmp_lt_i32 s10, s41
	v_add_co_ci_u32_e32 v6, vcc_lo, s9, v3, vcc_lo
	s_cselect_b32 s10, s10, s42
	v_add_co_u32 v7, vcc_lo, v1, s4
	s_ashr_i32 s11, s10, 31
	v_add_co_ci_u32_e32 v8, vcc_lo, s5, v3, vcc_lo
	s_add_i32 s18, s43, 0xfffffe80
	s_lshl_b64 s[10:11], s[10:11], 1
	s_cmp_lt_i32 s18, s41
	s_clause 0x1
	global_load_u16 v36, v[5:6], off
	global_load_u16 v37, v[7:8], off
	s_cselect_b32 s18, s18, s42
	v_add_co_u32 v5, vcc_lo, v1, s6
	s_ashr_i32 s19, s18, 31
	v_add_co_ci_u32_e32 v6, vcc_lo, s7, v3, vcc_lo
	s_add_i32 s20, s43, 0xffffff00
	v_add_co_u32 v7, vcc_lo, v1, s10
	s_lshl_b64 s[8:9], s[18:19], 1
	s_cmp_lt_i32 s20, s41
	v_add_co_ci_u32_e32 v8, vcc_lo, s11, v3, vcc_lo
	s_cselect_b32 s4, s20, s42
	global_load_u16 v38, v[5:6], off
	s_ashr_i32 s5, s4, 31
	global_load_u16 v39, v[7:8], off
	s_add_i32 s18, s43, 0xffffff80
	v_add_co_u32 v5, vcc_lo, v1, s8
	s_lshl_b64 s[4:5], s[4:5], 1
	s_cmp_lt_i32 s18, s41
	v_add_co_ci_u32_e32 v6, vcc_lo, s9, v3, vcc_lo
	v_add_co_u32 v7, vcc_lo, v1, s4
	s_cselect_b32 s6, s18, s42
	v_add_co_ci_u32_e32 v8, vcc_lo, s5, v3, vcc_lo
	s_ashr_i32 s7, s6, 31
	global_load_u16 v40, v[5:6], off
	s_lshl_b64 s[6:7], s[6:7], 1
	global_load_u16 v41, v[7:8], off
	s_cmp_lt_i32 s43, s41
	v_add_co_u32 v5, vcc_lo, v1, s6
	s_cselect_b32 s4, s43, s42
	v_add_co_ci_u32_e32 v6, vcc_lo, s7, v3, vcc_lo
	s_ashr_i32 s5, s4, 31
	s_delay_alu instid0(SALU_CYCLE_1)
	s_lshl_b64 s[4:5], s[4:5], 1
	global_load_u16 v42, v[5:6], off
	v_add_co_u32 v5, vcc_lo, v1, s4
	v_add_co_ci_u32_e32 v6, vcc_lo, s5, v3, vcc_lo
	global_load_u16 v43, v[5:6], off
	ds_load_b128 v[5:8], v44
	ds_load_b128 v[9:12], v44 offset:16
	s_waitcnt vmcnt(31)
	v_lshlrev_b32_e32 v2, 16, v2
	s_waitcnt lgkmcnt(1)
	s_delay_alu instid0(VALU_DEP_1) | instskip(SKIP_2) | instid1(VALU_DEP_1)
	v_fmac_f32_e32 v4, v5, v2
	s_waitcnt vmcnt(30)
	v_lshlrev_b32_e32 v2, 16, v23
	v_fmac_f32_e32 v4, v6, v2
	s_waitcnt vmcnt(29)
	v_lshlrev_b32_e32 v2, 16, v24
	s_delay_alu instid0(VALU_DEP_1) | instskip(SKIP_2) | instid1(VALU_DEP_1)
	v_fmac_f32_e32 v4, v7, v2
	s_waitcnt vmcnt(28)
	v_lshlrev_b32_e32 v2, 16, v25
	v_fmac_f32_e32 v4, v8, v2
	ds_load_b128 v[5:8], v44 offset:32
	s_waitcnt vmcnt(27)
	v_lshlrev_b32_e32 v2, 16, v26
	s_waitcnt lgkmcnt(1)
	s_delay_alu instid0(VALU_DEP_1) | instskip(SKIP_2) | instid1(VALU_DEP_1)
	v_fmac_f32_e32 v4, v9, v2
	s_waitcnt vmcnt(26)
	v_lshlrev_b32_e32 v2, 16, v27
	v_fmac_f32_e32 v4, v10, v2
	s_waitcnt vmcnt(24)
	v_lshlrev_b32_e32 v2, 16, v28
	s_delay_alu instid0(VALU_DEP_1) | instskip(SKIP_1) | instid1(VALU_DEP_1)
	v_fmac_f32_e32 v4, v11, v2
	v_lshlrev_b32_e32 v2, 16, v17
	v_fmac_f32_e32 v4, v12, v2
	ds_load_b128 v[9:12], v44 offset:48
	s_waitcnt vmcnt(23)
	v_lshlrev_b32_e32 v2, 16, v18
	s_waitcnt lgkmcnt(1)
	s_delay_alu instid0(VALU_DEP_1) | instskip(SKIP_2) | instid1(VALU_DEP_1)
	v_fmac_f32_e32 v4, v5, v2
	s_waitcnt vmcnt(21)
	v_lshlrev_b32_e32 v2, 16, v19
	v_fmac_f32_e32 v4, v6, v2
	s_waitcnt vmcnt(20)
	v_lshlrev_b32_e32 v2, 16, v20
	s_delay_alu instid0(VALU_DEP_1) | instskip(SKIP_2) | instid1(VALU_DEP_1)
	v_fmac_f32_e32 v4, v7, v2
	s_waitcnt vmcnt(19)
	v_lshlrev_b32_e32 v2, 16, v21
	v_fmac_f32_e32 v4, v8, v2
	s_waitcnt vmcnt(18)
	v_lshlrev_b32_e32 v2, 16, v22
	ds_load_b128 v[5:8], v44 offset:64
	s_waitcnt lgkmcnt(1)
	v_fmac_f32_e32 v4, v9, v2
	s_waitcnt vmcnt(17)
	v_lshlrev_b32_e32 v2, 16, v29
	s_delay_alu instid0(VALU_DEP_1) | instskip(SKIP_1) | instid1(VALU_DEP_1)
	v_fmac_f32_e32 v4, v10, v2
	v_lshlrev_b32_e32 v2, 16, v30
	v_fmac_f32_e32 v4, v11, v2
	s_waitcnt vmcnt(16)
	v_lshlrev_b32_e32 v2, 16, v15
	s_delay_alu instid0(VALU_DEP_1) | instskip(SKIP_4) | instid1(VALU_DEP_1)
	v_fmac_f32_e32 v4, v12, v2
	ds_load_b128 v[9:12], v44 offset:80
	s_waitcnt vmcnt(14)
	v_lshlrev_b32_e32 v2, 16, v16
	s_waitcnt lgkmcnt(1)
	v_fmac_f32_e32 v4, v5, v2
	s_waitcnt vmcnt(13)
	v_lshlrev_b32_e32 v2, 16, v31
	s_delay_alu instid0(VALU_DEP_1) | instskip(SKIP_2) | instid1(VALU_DEP_1)
	v_fmac_f32_e32 v4, v6, v2
	s_waitcnt vmcnt(12)
	v_lshlrev_b32_e32 v2, 16, v32
	v_fmac_f32_e32 v4, v7, v2
	v_lshlrev_b32_e32 v2, 16, v33
	s_delay_alu instid0(VALU_DEP_1) | instskip(SKIP_4) | instid1(VALU_DEP_1)
	v_fmac_f32_e32 v4, v8, v2
	ds_load_b128 v[5:8], v44 offset:96
	s_waitcnt vmcnt(11)
	v_lshlrev_b32_e32 v2, 16, v13
	s_waitcnt lgkmcnt(1)
	v_fmac_f32_e32 v4, v9, v2
	s_waitcnt vmcnt(9)
	v_lshlrev_b32_e32 v2, 16, v14
	s_delay_alu instid0(VALU_DEP_1) | instskip(SKIP_2) | instid1(VALU_DEP_1)
	v_fmac_f32_e32 v4, v10, v2
	s_waitcnt vmcnt(8)
	v_lshlrev_b32_e32 v2, 16, v34
	v_fmac_f32_e32 v4, v11, v2
	;; [unrolled: 15-line block ×3, first 2 shown]
	s_waitcnt vmcnt(4)
	v_lshlrev_b32_e32 v2, 16, v39
	s_delay_alu instid0(VALU_DEP_1) | instskip(SKIP_3) | instid1(VALU_DEP_1)
	v_fmac_f32_e32 v4, v8, v2
	s_waitcnt vmcnt(3)
	v_lshlrev_b32_e32 v2, 16, v40
	s_waitcnt lgkmcnt(0)
	v_fmac_f32_e32 v4, v9, v2
	s_waitcnt vmcnt(2)
	v_lshlrev_b32_e32 v2, 16, v41
	s_delay_alu instid0(VALU_DEP_1) | instskip(SKIP_2) | instid1(VALU_DEP_1)
	v_fmac_f32_e32 v4, v10, v2
	s_waitcnt vmcnt(1)
	v_lshlrev_b32_e32 v2, 16, v42
	v_fmac_f32_e32 v4, v11, v2
	s_waitcnt vmcnt(0)
	v_lshlrev_b32_e32 v2, 16, v43
	s_delay_alu instid0(VALU_DEP_1)
	v_fmac_f32_e32 v4, v12, v2
	s_branch .LBB657_14
.LBB657_17:
	v_mov_b32_e32 v1, 0
	s_and_b32 vcc_lo, exec_lo, s15
	ds_load_b32 v1, v1 offset:1024
	s_cbranch_vccz .LBB657_19
; %bb.18:
	s_add_u32 s2, s12, s16
	s_addc_u32 s3, s13, s17
	s_load_b32 s2, s[2:3], 0x0
	s_mov_b32 s3, 0
.LBB657_19:
	s_waitcnt lgkmcnt(0)
	v_add_f32_e32 v1, 0x358637bd, v1
	s_delay_alu instid0(VALU_DEP_1) | instskip(NEXT) | instid1(VALU_DEP_1)
	v_div_scale_f32 v2, null, v1, v1, 1.0
	v_rcp_f32_e32 v3, v2
	s_waitcnt_depctr 0xfff
	v_fma_f32 v5, -v2, v3, 1.0
	s_delay_alu instid0(VALU_DEP_1) | instskip(SKIP_1) | instid1(VALU_DEP_1)
	v_fmac_f32_e32 v3, v5, v3
	v_div_scale_f32 v5, vcc_lo, 1.0, v1, 1.0
	v_mul_f32_e32 v6, v5, v3
	s_delay_alu instid0(VALU_DEP_1) | instskip(NEXT) | instid1(VALU_DEP_1)
	v_fma_f32 v7, -v2, v6, v5
	v_fmac_f32_e32 v6, v7, v3
	s_delay_alu instid0(VALU_DEP_1) | instskip(NEXT) | instid1(VALU_DEP_1)
	v_fma_f32 v2, -v2, v6, v5
	v_div_fmas_f32 v2, v2, v3, v6
	s_delay_alu instid0(VALU_DEP_1) | instskip(NEXT) | instid1(VALU_DEP_1)
	v_div_fixup_f32 v1, v2, v1, 1.0
	v_mul_f32_e32 v2, v4, v1
	s_delay_alu instid0(VALU_DEP_1) | instskip(NEXT) | instid1(VALU_DEP_1)
	v_and_b32_e32 v1, 0x7f800000, v2
	v_cmp_ne_u32_e32 vcc_lo, 0x7f800000, v1
                                        ; implicit-def: $vgpr1
	s_and_saveexec_b32 s4, vcc_lo
	s_delay_alu instid0(SALU_CYCLE_1)
	s_xor_b32 s4, exec_lo, s4
; %bb.20:
	v_bfe_u32 v1, v2, 16, 1
	s_delay_alu instid0(VALU_DEP_1)
	v_add3_u32 v1, v2, v1, 0x7fff
                                        ; implicit-def: $vgpr2
; %bb.21:
	s_and_not1_saveexec_b32 s4, s4
; %bb.22:
	v_and_b32_e32 v1, 0xffff, v2
	v_or_b32_e32 v3, 0x10000, v2
	s_delay_alu instid0(VALU_DEP_2) | instskip(NEXT) | instid1(VALU_DEP_2)
	v_cmp_eq_u32_e32 vcc_lo, 0, v1
	v_cndmask_b32_e32 v1, v3, v2, vcc_lo
; %bb.23:
	s_or_b32 exec_lo, exec_lo, s4
	s_mul_i32 s3, s33, s3
	s_mul_hi_u32 s4, s33, s2
	s_mul_i32 s2, s33, s2
	s_add_i32 s3, s4, s3
	s_mov_b32 s15, 0
	s_lshl_b64 s[2:3], s[2:3], 8
	s_delay_alu instid0(SALU_CYCLE_1) | instskip(SKIP_2) | instid1(SALU_CYCLE_1)
	s_add_u32 s2, s0, s2
	s_addc_u32 s3, s1, s3
	s_lshl_b64 s[0:1], s[14:15], 8
	s_add_u32 s0, s2, s0
	s_addc_u32 s1, s3, s1
	global_store_d16_hi_b16 v0, v1, s[0:1]
	s_nop 0
	s_sendmsg sendmsg(MSG_DEALLOC_VGPRS)
	s_endpgm
.LBB657_24:
	s_mov_b32 s4, 0
	s_branch .LBB657_2
	.section	.rodata,"a",@progbits
	.p2align	6, 0x0
	.amdhsa_kernel _Z35paged_attention_ll4mi_reduce_kernelI14__hip_bfloat16S0_Li128ELi128ELi256ELi8EEvPT0_PKfS4_PKT_PKiS9_iS4_
		.amdhsa_group_segment_fixed_size 1028
		.amdhsa_private_segment_fixed_size 0
		.amdhsa_kernarg_size 320
		.amdhsa_user_sgpr_count 14
		.amdhsa_user_sgpr_dispatch_ptr 0
		.amdhsa_user_sgpr_queue_ptr 0
		.amdhsa_user_sgpr_kernarg_segment_ptr 1
		.amdhsa_user_sgpr_dispatch_id 0
		.amdhsa_user_sgpr_private_segment_size 0
		.amdhsa_wavefront_size32 1
		.amdhsa_uses_dynamic_stack 0
		.amdhsa_enable_private_segment 0
		.amdhsa_system_sgpr_workgroup_id_x 1
		.amdhsa_system_sgpr_workgroup_id_y 1
		.amdhsa_system_sgpr_workgroup_id_z 0
		.amdhsa_system_sgpr_workgroup_info 0
		.amdhsa_system_vgpr_workitem_id 0
		.amdhsa_next_free_vgpr 52
		.amdhsa_next_free_sgpr 49
		.amdhsa_reserve_vcc 1
		.amdhsa_float_round_mode_32 0
		.amdhsa_float_round_mode_16_64 0
		.amdhsa_float_denorm_mode_32 3
		.amdhsa_float_denorm_mode_16_64 3
		.amdhsa_dx10_clamp 1
		.amdhsa_ieee_mode 1
		.amdhsa_fp16_overflow 0
		.amdhsa_workgroup_processor_mode 1
		.amdhsa_memory_ordered 1
		.amdhsa_forward_progress 0
		.amdhsa_shared_vgpr_count 0
		.amdhsa_exception_fp_ieee_invalid_op 0
		.amdhsa_exception_fp_denorm_src 0
		.amdhsa_exception_fp_ieee_div_zero 0
		.amdhsa_exception_fp_ieee_overflow 0
		.amdhsa_exception_fp_ieee_underflow 0
		.amdhsa_exception_fp_ieee_inexact 0
		.amdhsa_exception_int_div_zero 0
	.end_amdhsa_kernel
	.section	.text._Z35paged_attention_ll4mi_reduce_kernelI14__hip_bfloat16S0_Li128ELi128ELi256ELi8EEvPT0_PKfS4_PKT_PKiS9_iS4_,"axG",@progbits,_Z35paged_attention_ll4mi_reduce_kernelI14__hip_bfloat16S0_Li128ELi128ELi256ELi8EEvPT0_PKfS4_PKT_PKiS9_iS4_,comdat
.Lfunc_end657:
	.size	_Z35paged_attention_ll4mi_reduce_kernelI14__hip_bfloat16S0_Li128ELi128ELi256ELi8EEvPT0_PKfS4_PKT_PKiS9_iS4_, .Lfunc_end657-_Z35paged_attention_ll4mi_reduce_kernelI14__hip_bfloat16S0_Li128ELi128ELi256ELi8EEvPT0_PKfS4_PKT_PKiS9_iS4_
                                        ; -- End function
	.section	.AMDGPU.csdata,"",@progbits
; Kernel info:
; codeLenInByte = 6656
; NumSgprs: 51
; NumVgprs: 52
; ScratchSize: 0
; MemoryBound: 0
; FloatMode: 240
; IeeeMode: 1
; LDSByteSize: 1028 bytes/workgroup (compile time only)
; SGPRBlocks: 6
; VGPRBlocks: 6
; NumSGPRsForWavesPerEU: 51
; NumVGPRsForWavesPerEU: 52
; Occupancy: 16
; WaveLimiterHint : 0
; COMPUTE_PGM_RSRC2:SCRATCH_EN: 0
; COMPUTE_PGM_RSRC2:USER_SGPR: 14
; COMPUTE_PGM_RSRC2:TRAP_HANDLER: 0
; COMPUTE_PGM_RSRC2:TGID_X_EN: 1
; COMPUTE_PGM_RSRC2:TGID_Y_EN: 1
; COMPUTE_PGM_RSRC2:TGID_Z_EN: 0
; COMPUTE_PGM_RSRC2:TIDIG_COMP_CNT: 0
	.section	.text._Z39paged_attention_ll4mi_QKV_mfma16_kernelI14__hip_bfloat16S0_LN4vllm18Fp8KVCacheDataTypeE0ES0_Li16ELi128ELi256ELb1ELi1EL8MFMAType0EEvPKT_PKT0_S9_ifPKiSB_SB_iPKfiiiPfSE_PS4_PT2_iSD_SD_,"axG",@progbits,_Z39paged_attention_ll4mi_QKV_mfma16_kernelI14__hip_bfloat16S0_LN4vllm18Fp8KVCacheDataTypeE0ES0_Li16ELi128ELi256ELb1ELi1EL8MFMAType0EEvPKT_PKT0_S9_ifPKiSB_SB_iPKfiiiPfSE_PS4_PT2_iSD_SD_,comdat
	.protected	_Z39paged_attention_ll4mi_QKV_mfma16_kernelI14__hip_bfloat16S0_LN4vllm18Fp8KVCacheDataTypeE0ES0_Li16ELi128ELi256ELb1ELi1EL8MFMAType0EEvPKT_PKT0_S9_ifPKiSB_SB_iPKfiiiPfSE_PS4_PT2_iSD_SD_ ; -- Begin function _Z39paged_attention_ll4mi_QKV_mfma16_kernelI14__hip_bfloat16S0_LN4vllm18Fp8KVCacheDataTypeE0ES0_Li16ELi128ELi256ELb1ELi1EL8MFMAType0EEvPKT_PKT0_S9_ifPKiSB_SB_iPKfiiiPfSE_PS4_PT2_iSD_SD_
	.globl	_Z39paged_attention_ll4mi_QKV_mfma16_kernelI14__hip_bfloat16S0_LN4vllm18Fp8KVCacheDataTypeE0ES0_Li16ELi128ELi256ELb1ELi1EL8MFMAType0EEvPKT_PKT0_S9_ifPKiSB_SB_iPKfiiiPfSE_PS4_PT2_iSD_SD_
	.p2align	8
	.type	_Z39paged_attention_ll4mi_QKV_mfma16_kernelI14__hip_bfloat16S0_LN4vllm18Fp8KVCacheDataTypeE0ES0_Li16ELi128ELi256ELb1ELi1EL8MFMAType0EEvPKT_PKT0_S9_ifPKiSB_SB_iPKfiiiPfSE_PS4_PT2_iSD_SD_,@function
_Z39paged_attention_ll4mi_QKV_mfma16_kernelI14__hip_bfloat16S0_LN4vllm18Fp8KVCacheDataTypeE0ES0_Li16ELi128ELi256ELb1ELi1EL8MFMAType0EEvPKT_PKT0_S9_ifPKiSB_SB_iPKfiiiPfSE_PS4_PT2_iSD_SD_: ; @_Z39paged_attention_ll4mi_QKV_mfma16_kernelI14__hip_bfloat16S0_LN4vllm18Fp8KVCacheDataTypeE0ES0_Li16ELi128ELi256ELb1ELi1EL8MFMAType0EEvPKT_PKT0_S9_ifPKiSB_SB_iPKfiiiPfSE_PS4_PT2_iSD_SD_
; %bb.0:
	s_load_b64 s[4:5], s[0:1], 0x30
	s_mov_b32 s34, s13
	s_waitcnt lgkmcnt(0)
	s_cmp_lg_u64 s[4:5], 0
	s_cselect_b32 s6, -1, 0
	s_ashr_i32 s35, s13, 31
	s_cmp_eq_u64 s[4:5], 0
	s_cbranch_scc1 .LBB658_3
; %bb.1:
	s_lshl_b64 s[2:3], s[34:35], 2
	s_delay_alu instid0(SALU_CYCLE_1) | instskip(SKIP_4) | instid1(SALU_CYCLE_1)
	s_add_u32 s2, s4, s2
	s_addc_u32 s3, s5, s3
	s_load_b64 s[2:3], s[2:3], 0x0
	s_waitcnt lgkmcnt(0)
	s_sub_i32 s2, s3, s2
	s_cmp_eq_u32 s2, 1
	s_cselect_b32 s2, -1, 0
	s_delay_alu instid0(SALU_CYCLE_1)
	s_and_not1_b32 vcc_lo, exec_lo, s2
	s_cbranch_vccz .LBB658_4
.LBB658_2:
	s_endpgm
.LBB658_3:
.LBB658_4:
	s_load_b64 s[2:3], s[0:1], 0x28
	s_lshl_b64 s[8:9], s[34:35], 2
	s_waitcnt lgkmcnt(0)
	s_add_u32 s2, s2, s8
	s_addc_u32 s3, s3, s9
	s_lshl_b32 s84, s14, 8
	s_load_b32 s33, s[2:3], 0x0
	s_waitcnt lgkmcnt(0)
	s_cmp_ge_i32 s84, s33
	s_cbranch_scc1 .LBB658_2
; %bb.5:
	s_clause 0x1
	s_load_b128 s[80:83], s[0:1], 0x8
	s_load_b64 s[2:3], s[0:1], 0x20
	s_and_not1_b32 vcc_lo, exec_lo, s6
	s_mov_b64 s[6:7], s[34:35]
	s_cbranch_vccnz .LBB658_7
; %bb.6:
	s_add_u32 s4, s4, s8
	s_addc_u32 s5, s5, s9
	s_load_b32 s6, s[4:5], 0x0
.LBB658_7:
	s_load_b128 s[76:79], s[0:1], 0x48
	v_and_b32_e32 v145, 15, v0
	s_mov_b32 s12, exec_lo
                                        ; implicit-def: $sgpr60
                                        ; implicit-def: $sgpr68
                                        ; implicit-def: $sgpr4
                                        ; implicit-def: $sgpr16
                                        ; implicit-def: $sgpr44
                                        ; implicit-def: $sgpr24
                                        ; implicit-def: $sgpr36
                                        ; implicit-def: $sgpr52
	s_delay_alu instid0(VALU_DEP_1)
	v_cmpx_eq_u32_e32 0, v145
	s_cbranch_execz .LBB658_9
; %bb.8:
	s_load_b64 s[4:5], s[0:1], 0x0
	s_waitcnt lgkmcnt(0)
	s_mul_hi_i32 s7, s6, s76
	s_mul_i32 s6, s6, s76
	s_delay_alu instid0(SALU_CYCLE_1) | instskip(NEXT) | instid1(SALU_CYCLE_1)
	s_lshl_b64 s[6:7], s[6:7], 1
	s_add_u32 s6, s4, s6
	s_addc_u32 s7, s5, s7
	s_lshl_b32 s4, s15, 7
	s_delay_alu instid0(SALU_CYCLE_1) | instskip(NEXT) | instid1(SALU_CYCLE_1)
	s_ashr_i32 s5, s4, 31
	s_lshl_b64 s[4:5], s[4:5], 1
	s_delay_alu instid0(SALU_CYCLE_1)
	s_add_u32 s52, s6, s4
	s_addc_u32 s53, s7, s5
	s_clause 0x7
	s_load_b256 s[60:67], s[52:53], 0x0
	s_load_b256 s[68:75], s[52:53], 0x20
	;; [unrolled: 1-line block ×8, first 2 shown]
.LBB658_9:
	s_or_b32 exec_lo, exec_lo, s12
	s_waitcnt lgkmcnt(0)
	v_dual_mov_b32 v128, s67 :: v_dual_and_b32 v1, 0xef, v0
	s_add_i32 s76, s33, 15
	s_clause 0x1
	s_load_b32 s13, s[0:1], 0x38
	s_load_b32 s35, s[0:1], 0x1c
	v_dual_mov_b32 v127, s66 :: v_dual_add_nc_u32 v2, s84, v1
	s_mul_i32 s12, s15, s78
	s_ashr_i32 s78, s76, 31
	v_mov_b32_e32 v125, s64
	s_delay_alu instid0(VALU_DEP_2)
	v_ashrrev_i32_e32 v1, 31, v2
	v_cmp_gt_i32_e32 vcc_lo, s33, v2
	s_lshr_b32 s79, s78, 28
	v_mov_b32_e32 v123, s62
	s_add_i32 s76, s76, s79
	v_lshrrev_b32_e32 v3, 28, v1
	s_ashr_i32 s86, s76, 4
	v_mov_b32_e32 v121, s60
	s_add_i32 s86, s86, -1
	v_mov_b32_e32 v171, s11
	v_dual_mov_b32 v126, s65 :: v_dual_add_nc_u32 v1, v2, v3
	v_or_b32_e32 v2, 16, v2
	s_waitcnt lgkmcnt(0)
	s_mul_i32 s78, s34, s13
	v_mov_b32_e32 v169, s9
	v_ashrrev_i32_e32 v1, 4, v1
	v_dual_mov_b32 v124, s63 :: v_dual_add_nc_u32 v3, v2, v3
	s_ashr_i32 s79, s78, 31
	v_mov_b32_e32 v167, s7
	s_delay_alu instid0(VALU_DEP_3)
	v_cndmask_b32_e32 v1, s86, v1, vcc_lo
	v_cmp_gt_i32_e32 vcc_lo, s33, v2
	v_ashrrev_i32_e32 v3, 4, v3
	s_lshl_b64 s[78:79], s[78:79], 2
	v_mov_b32_e32 v165, s5
	v_ashrrev_i32_e32 v2, 31, v1
	s_add_u32 s76, s2, s78
	v_cndmask_b32_e32 v3, s86, v3, vcc_lo
	s_addc_u32 s85, s3, s79
	s_ashr_i32 s13, s12, 31
	v_lshlrev_b64 v[1:2], 2, v[1:2]
	s_lshl_b64 s[2:3], s[12:13], 1
	v_ashrrev_i32_e32 v4, 31, v3
	s_add_u32 s96, s80, s2
	s_addc_u32 s97, s81, s3
	s_lshl_b32 s12, s14, 4
	v_add_co_u32 v1, vcc_lo, s76, v1
	v_lshlrev_b64 v[3:4], 2, v[3:4]
	v_add_co_ci_u32_e32 v2, vcc_lo, s85, v2, vcc_lo
	s_ashr_i32 s13, s12, 31
	v_mov_b32_e32 v179, s51
	s_lshl_b64 s[12:13], s[12:13], 2
	s_delay_alu instid0(VALU_DEP_3)
	v_add_co_u32 v3, vcc_lo, s76, v3
	v_add_co_ci_u32_e32 v4, vcc_lo, s85, v4, vcc_lo
	s_clause 0x1
	global_load_b32 v5, v[1:2], off
	global_load_b32 v6, v[3:4], off
	s_add_u32 s12, s76, s12
	s_addc_u32 s13, s85, s13
	s_or_b32 s78, s84, 16
	v_dual_mov_b32 v122, s61 :: v_dual_lshlrev_b32 v3, 4, v0
	s_ashr_i32 s79, s78, 4
	s_cmp_lt_i32 s78, s33
	s_mov_b32 s60, 0
	s_cselect_b32 s78, s79, s86
	s_mov_b32 s61, s60
	s_ashr_i32 s79, s78, 31
	s_mov_b32 s65, s60
	s_lshl_b64 s[78:79], s[78:79], 2
	v_mov_b32_e32 v155, s75
	s_add_u32 s78, s76, s78
	s_addc_u32 s79, s85, s79
	s_or_b32 s80, s84, 32
	v_mov_b32_e32 v153, s73
	s_ashr_i32 s81, s80, 4
	s_cmp_lt_i32 s80, s33
	v_mov_b32_e32 v152, s72
	s_cselect_b32 s80, s81, s86
	v_mov_b32_e32 v151, s71
	s_ashr_i32 s81, s80, 31
	v_mov_b32_e32 v150, s70
	s_lshl_b64 s[80:81], s[80:81], 2
	v_mov_b32_e32 v149, s69
	s_add_u32 s80, s76, s80
	s_addc_u32 s81, s85, s81
	s_or_b32 s87, s84, 48
	v_mov_b32_e32 v148, s68
	s_ashr_i32 s88, s87, 4
	s_cmp_lt_i32 s87, s33
	v_mov_b32_e32 v187, s31
	s_cselect_b32 s88, s88, s86
	v_dual_mov_b32 v177, s49 :: v_dual_mov_b32 v184, s28
	s_ashr_i32 s89, s88, 31
	v_dual_mov_b32 v175, s47 :: v_dual_mov_b32 v182, s26
	s_lshl_b64 s[88:89], s[88:89], 2
	v_dual_mov_b32 v173, s45 :: v_dual_mov_b32 v180, s24
	s_add_u32 s90, s76, s88
	s_addc_u32 s91, s85, s89
	s_or_b32 s87, s84, 64
	v_mov_b32_e32 v186, s30
	s_ashr_i32 s88, s87, 4
	s_cmp_lt_i32 s87, s33
	v_mov_b32_e32 v185, s29
	s_cselect_b32 s88, s88, s86
	v_mov_b32_e32 v183, s27
	s_ashr_i32 s89, s88, 31
	v_mov_b32_e32 v181, s25
	s_lshl_b64 s[88:89], s[88:89], 2
	v_lshrrev_b32_e32 v147, 5, v0
	s_add_u32 s92, s76, s88
	s_addc_u32 s93, s85, s89
	s_or_b32 s87, s84, 0x50
	v_mov_b32_e32 v195, s59
	s_ashr_i32 s88, s87, 4
	s_cmp_lt_i32 s87, s33
	v_mov_b32_e32 v194, s58
	s_cselect_b32 s88, s88, s86
	v_mov_b32_e32 v193, s57
	s_ashr_i32 s89, s88, 31
	v_mov_b32_e32 v191, s55
	s_lshl_b64 s[88:89], s[88:89], 2
	v_mov_b32_e32 v189, s53
	s_add_u32 s94, s76, s88
	s_addc_u32 s95, s85, s89
	s_clause 0x5
	s_load_b32 s88, s[12:13], 0x0
	s_load_b32 s87, s[78:79], 0x0
	;; [unrolled: 1-line block ×6, first 2 shown]
	v_mov_b32_e32 v154, s74
	v_mov_b32_e32 v170, s10
	;; [unrolled: 1-line block ×12, first 2 shown]
	s_waitcnt lgkmcnt(0)
	s_mul_hi_i32 s7, s87, s77
	s_mul_hi_i32 s11, s13, s77
	s_waitcnt vmcnt(1)
	v_mad_i64_i32 v[1:2], null, v5, s77, 0
	v_and_b32_e32 v5, 0xf0, v3
	s_waitcnt vmcnt(0)
	v_mad_i64_i32 v[3:4], null, v6, s77, 0
	s_delay_alu instid0(VALU_DEP_2) | instskip(NEXT) | instid1(VALU_DEP_4)
	v_add_co_u32 v5, s78, s96, v5
	v_lshlrev_b64 v[1:2], 1, v[1:2]
	v_add_co_ci_u32_e64 v6, null, s97, 0, s78
	s_delay_alu instid0(VALU_DEP_4) | instskip(SKIP_1) | instid1(VALU_DEP_3)
	v_lshlrev_b64 v[3:4], 1, v[3:4]
	s_or_b32 s78, s84, 0x60
	v_add_co_u32 v13, vcc_lo, v5, v1
	s_delay_alu instid0(VALU_DEP_3) | instskip(NEXT) | instid1(VALU_DEP_3)
	v_add_co_ci_u32_e32 v14, vcc_lo, v6, v2, vcc_lo
	v_add_co_u32 v129, vcc_lo, v5, v3
	s_delay_alu instid0(VALU_DEP_4)
	v_add_co_ci_u32_e32 v130, vcc_lo, v6, v4, vcc_lo
	s_clause 0x1f
	global_load_b128 v[89:92], v[13:14], off
	global_load_b128 v[93:96], v[13:14], off offset:256
	global_load_b128 v[97:100], v[129:130], off
	global_load_b128 v[101:104], v[129:130], off offset:256
	global_load_b128 v[105:108], v[13:14], off offset:512
	;; [unrolled: 1-line block ×29, first 2 shown]
	s_ashr_i32 s79, s78, 4
	s_cmp_lt_i32 s78, s33
	s_cselect_b32 s78, s79, s86
	s_delay_alu instid0(SALU_CYCLE_1) | instskip(NEXT) | instid1(SALU_CYCLE_1)
	s_ashr_i32 s79, s78, 31
	s_lshl_b64 s[78:79], s[78:79], 2
	s_delay_alu instid0(SALU_CYCLE_1)
	s_add_u32 s78, s76, s78
	s_addc_u32 s79, s85, s79
	s_or_b32 s89, s84, 0x70
	s_load_b32 s29, s[78:79], 0x0
	s_ashr_i32 s90, s89, 4
	s_cmp_lt_i32 s89, s33
	s_cselect_b32 s62, s90, s86
	s_delay_alu instid0(SALU_CYCLE_1) | instskip(NEXT) | instid1(SALU_CYCLE_1)
	s_ashr_i32 s63, s62, 31
	s_lshl_b64 s[62:63], s[62:63], 2
	s_delay_alu instid0(SALU_CYCLE_1)
	s_add_u32 s68, s76, s62
	s_addc_u32 s69, s85, s63
	s_or_b32 s63, s84, 0x80
	s_mov_b32 s62, s60
	s_ashr_i32 s64, s63, 4
	s_cmp_lt_i32 s63, s33
	s_mov_b32 s63, s60
	s_cselect_b32 s66, s64, s86
	s_mov_b32 s64, s60
	s_ashr_i32 s67, s66, 31
	s_load_b32 s30, s[68:69], 0x0
	s_lshl_b64 s[70:71], s[66:67], 2
	s_mov_b32 s67, s60
	s_add_u32 s70, s76, s70
	s_addc_u32 s71, s85, s71
	s_or_b32 s72, s84, 0x90
	s_load_b32 s31, s[70:71], 0x0
	s_ashr_i32 s73, s72, 4
	s_mov_b32 s66, s60
	s_cmp_lt_i32 s72, s33
	v_dual_mov_b32 v136, s67 :: v_dual_mov_b32 v135, s66
	v_dual_mov_b32 v134, s65 :: v_dual_mov_b32 v133, s64
	;; [unrolled: 1-line block ×4, first 2 shown]
	s_cselect_b32 s60, s73, s86
	s_delay_alu instid0(SALU_CYCLE_1) | instskip(NEXT) | instid1(SALU_CYCLE_1)
	s_ashr_i32 s61, s60, 31
	s_lshl_b64 s[4:5], s[60:61], 2
	s_waitcnt vmcnt(30)
	v_wmma_f32_16x16x16_bf16 v[137:144], v[89:96], v[121:128], v[129:136]
	v_dual_mov_b32 v96, s23 :: v_dual_mov_b32 v95, s22
	v_dual_mov_b32 v94, s21 :: v_dual_mov_b32 v93, s20
	;; [unrolled: 1-line block ×4, first 2 shown]
	s_add_u32 s16, s76, s4
	s_addc_u32 s17, s85, s5
	s_or_b32 s4, s84, 0xa0
	s_waitcnt vmcnt(28)
	v_wmma_f32_16x16x16_bf16 v[129:136], v[97:104], v[121:128], v[129:136]
	s_ashr_i32 s5, s4, 4
	s_cmp_lt_i32 s4, s33
	s_waitcnt vmcnt(26)
	v_wmma_f32_16x16x16_bf16 v[137:144], v[105:112], v[148:155], v[137:144]
	s_cselect_b32 s4, s5, s86
	s_waitcnt vmcnt(24)
	v_wmma_f32_16x16x16_bf16 v[129:136], v[113:120], v[148:155], v[129:136]
	s_ashr_i32 s5, s4, 31
	v_mov_b32_e32 v155, s43
	s_lshl_b64 s[4:5], s[4:5], 2
	s_load_b32 s28, s[16:17], 0x0
	s_add_u32 s18, s76, s4
	s_addc_u32 s19, s85, s5
	s_or_b32 s4, s84, 0xb0
	s_load_b32 s27, s[18:19], 0x0
	s_ashr_i32 s6, s4, 4
	s_cmp_lt_i32 s4, s33
	v_dual_mov_b32 v154, s42 :: v_dual_lshlrev_b32 v97, 5, v145
	s_cselect_b32 s8, s6, s86
	v_mov_b32_e32 v153, s41
	s_ashr_i32 s9, s8, 31
	v_mov_b32_e32 v152, s40
	s_lshl_b64 s[8:9], s[8:9], 2
	v_mov_b32_e32 v151, s39
	s_add_u32 s20, s76, s8
	s_addc_u32 s21, s85, s9
	s_or_b32 s8, s84, 0xc0
	v_mov_b32_e32 v150, s38
	s_ashr_i32 s10, s8, 4
	s_cmp_lt_i32 s8, s33
	v_mov_b32_e32 v149, s37
	s_cselect_b32 s22, s10, s86
	v_mov_b32_e32 v148, s36
	s_ashr_i32 s23, s22, 31
	v_lshl_or_b32 v97, v147, 9, v97
	s_lshl_b64 s[22:23], s[22:23], 2
	s_mul_hi_i32 s5, s88, s77
	s_add_u32 s22, s76, s22
	s_addc_u32 s23, s85, s23
	s_or_b32 s24, s84, 0xd0
	s_mul_i32 s4, s88, s77
	s_ashr_i32 s25, s24, 4
	s_cmp_lt_i32 s24, s33
	s_mul_i32 s6, s87, s77
	s_cselect_b32 s24, s25, s86
	s_mul_hi_i32 s9, s81, s77
	s_ashr_i32 s25, s24, 31
	s_mul_i32 s8, s81, s77
	s_lshl_b64 s[24:25], s[24:25], 2
	s_mul_i32 s10, s13, s77
	s_add_u32 s18, s76, s24
	s_addc_u32 s19, s85, s25
	s_or_b32 s36, s84, 0xe0
	s_clause 0x2
	s_load_b32 s26, s[20:21], 0x0
	s_load_b32 s25, s[22:23], 0x0
	;; [unrolled: 1-line block ×3, first 2 shown]
	s_ashr_i32 s37, s36, 4
	s_cmp_lt_i32 s36, s33
	s_waitcnt lgkmcnt(0)
	s_mul_hi_i32 s21, s30, s77
	s_mul_i32 s20, s30, s77
	s_cselect_b32 s30, s37, s86
	s_mul_hi_i32 s23, s31, s77
	s_mul_i32 s22, s31, s77
	s_ashr_i32 s31, s30, 31
	s_mul_hi_i32 s13, s12, s77
	s_lshl_b64 s[30:31], s[30:31], 2
	s_mul_i32 s12, s12, s77
	s_add_u32 s30, s76, s30
	s_addc_u32 s31, s85, s31
	s_or_b32 s38, s84, 0xf0
	s_mul_hi_i32 s17, s80, s77
	s_ashr_i32 s39, s38, 4
	s_cmp_lt_i32 s38, s33
	s_mul_i32 s16, s80, s77
	s_cselect_b32 s38, s39, s86
	s_mul_hi_i32 s19, s29, s77
	s_ashr_i32 s39, s38, 31
	s_mul_i32 s18, s29, s77
	s_lshl_b64 s[38:39], s[38:39], 2
	s_mul_hi_i32 s29, s28, s77
	s_add_u32 s38, s76, s38
	s_addc_u32 s39, s85, s39
	s_mul_i32 s28, s28, s77
	s_mul_hi_i32 s37, s27, s77
	s_mul_i32 s36, s27, s77
	s_mul_hi_i32 s41, s25, s77
	s_mul_i32 s40, s25, s77
	s_add_u32 s42, s82, s2
	s_addc_u32 s43, s83, s3
	s_lshl_b64 s[2:3], s[4:5], 1
	s_lshl_b64 s[4:5], s[6:7], 1
	;; [unrolled: 1-line block ×12, first 2 shown]
	v_add_co_u32 v146, s40, s42, v97
	s_delay_alu instid0(VALU_DEP_1) | instskip(SKIP_2) | instid1(VALU_DEP_3)
	v_add_co_ci_u32_e64 v200, null, s43, 0, s40
	s_waitcnt vmcnt(22)
	v_wmma_f32_16x16x16_bf16 v[137:144], v[81:88], v[164:171], v[137:144]
	v_add_co_u32 v81, vcc_lo, v146, s2
	s_delay_alu instid0(VALU_DEP_3)
	v_add_co_ci_u32_e32 v82, vcc_lo, s3, v200, vcc_lo
	v_add_co_u32 v83, vcc_lo, v146, s4
	v_add_co_ci_u32_e32 v84, vcc_lo, s5, v200, vcc_lo
	v_add_co_u32 v85, vcc_lo, v146, s6
	v_add_co_ci_u32_e32 v86, vcc_lo, s7, v200, vcc_lo
	s_waitcnt vmcnt(20)
	v_wmma_f32_16x16x16_bf16 v[129:136], v[73:80], v[164:171], v[129:136]
	v_add_co_u32 v73, vcc_lo, v146, s8
	v_add_co_ci_u32_e32 v74, vcc_lo, s9, v200, vcc_lo
	v_add_co_u32 v75, vcc_lo, v146, s10
	v_add_co_ci_u32_e32 v76, vcc_lo, s11, v200, vcc_lo
	;; [unrolled: 2-line block ×3, first 2 shown]
	v_add_co_u32 v79, vcc_lo, v146, s16
	s_clause 0x1
	s_load_b32 s30, s[30:31], 0x0
	s_load_b32 s31, s[38:39], 0x0
	v_add_co_ci_u32_e32 v80, vcc_lo, s17, v200, vcc_lo
	v_add_co_u32 v164, vcc_lo, v146, s18
	v_add_co_ci_u32_e32 v165, vcc_lo, s19, v200, vcc_lo
	v_add_co_u32 v166, vcc_lo, v146, s20
	;; [unrolled: 2-line block ×3, first 2 shown]
	s_mul_hi_i32 s27, s26, s77
	s_mul_i32 s26, s26, s77
	v_add_co_ci_u32_e32 v169, vcc_lo, s23, v200, vcc_lo
	s_waitcnt vmcnt(16)
	v_wmma_f32_16x16x16_bf16 v[129:136], v[57:64], v[89:96], v[129:136]
	v_add_co_u32 v170, vcc_lo, v146, s28
	s_lshl_b64 s[26:27], s[26:27], 1
	v_wmma_f32_16x16x16_bf16 v[137:144], v[65:72], v[89:96], v[137:144]
	v_add_co_ci_u32_e32 v171, vcc_lo, s29, v200, vcc_lo
	v_add_co_u32 v196, vcc_lo, v146, s26
	s_waitcnt vmcnt(12)
	v_wmma_f32_16x16x16_bf16 v[129:136], v[41:48], v[172:179], v[129:136]
	s_mul_hi_i32 s25, s24, s77
	s_mul_i32 s24, s24, s77
	v_add_co_ci_u32_e32 v197, vcc_lo, s27, v200, vcc_lo
	v_add_co_u32 v198, vcc_lo, v146, s36
	v_wmma_f32_16x16x16_bf16 v[137:144], v[49:56], v[172:179], v[137:144]
	s_lshl_b64 s[24:25], s[24:25], 1
	v_add_co_ci_u32_e32 v199, vcc_lo, s37, v200, vcc_lo
	s_waitcnt lgkmcnt(0)
	s_mul_hi_i32 s3, s30, s77
	s_mul_i32 s2, s30, s77
	s_waitcnt vmcnt(8)
	v_wmma_f32_16x16x16_bf16 v[129:136], v[25:32], v[180:187], v[129:136]
	v_add_co_u32 v29, vcc_lo, v146, s24
	s_lshl_b64 s[2:3], s[2:3], 1
	v_wmma_f32_16x16x16_bf16 v[137:144], v[33:40], v[180:187], v[137:144]
	v_add_co_ci_u32_e32 v30, vcc_lo, s25, v200, vcc_lo
	s_mul_hi_i32 s5, s31, s77
	s_mul_i32 s4, s31, s77
	v_add_co_u32 v37, vcc_lo, v146, s2
	v_add_co_ci_u32_e32 v38, vcc_lo, s3, v200, vcc_lo
	s_lshl_b64 s[2:3], s[4:5], 1
	s_waitcnt vmcnt(6)
	v_wmma_f32_16x16x16_bf16 v[137:144], v[17:24], v[148:155], v[137:144]
	s_waitcnt vmcnt(4)
	v_wmma_f32_16x16x16_bf16 v[129:136], v[1:8], v[148:155], v[129:136]
	v_add_co_u32 v148, vcc_lo, v146, s2
	v_add_co_ci_u32_e32 v149, vcc_lo, s3, v200, vcc_lo
	s_clause 0x1b
	global_load_b128 v[121:124], v[81:82], off
	global_load_b128 v[125:128], v[81:82], off offset:16
	global_load_b128 v[113:116], v[83:84], off
	global_load_b128 v[117:120], v[83:84], off offset:16
	;; [unrolled: 2-line block ×14, first 2 shown]
	s_waitcnt vmcnt(30)
	v_wmma_f32_16x16x16_bf16 v[137:144], v[9:16], v[188:195], v[137:144]
	s_clause 0x3
	global_load_b128 v[33:36], v[37:38], off
	global_load_b128 v[37:40], v[37:38], off offset:16
	global_load_b128 v[9:12], v[148:149], off
	global_load_b128 v[13:16], v[148:149], off offset:16
	v_and_b32_e32 v148, 0xe0, v0
	v_mbcnt_lo_u32_b32 v149, -1, 0
	v_bfe_u32 v146, v0, 4, 1
	s_waitcnt vmcnt(0)
	s_barrier
	v_add_nc_u32_e32 v148, s84, v148
	v_xor_b32_e32 v150, 16, v149
	buffer_gl0_inv
	v_or_b32_e32 v148, v148, v146
	v_cmp_gt_i32_e32 vcc_lo, 32, v150
	s_delay_alu instid0(VALU_DEP_2)
	v_or_b32_e32 v151, 4, v148
	v_cndmask_b32_e32 v149, v149, v150, vcc_lo
	v_or_b32_e32 v150, 2, v148
	v_or_b32_e32 v152, 6, v148
	v_cmp_gt_i32_e64 s2, s33, v148
	v_cmp_gt_i32_e64 s3, s33, v151
	v_or_b32_e32 v153, 8, v148
	v_cmp_gt_i32_e32 vcc_lo, s33, v150
	v_mul_f32_e32 v150, s35, v139
	v_wmma_f32_16x16x16_bf16 v[129:136], v[156:163], v[188:195], v[129:136]
	v_or_b32_e32 v156, 14, v148
	v_dual_mul_f32 v162, s35, v137 :: v_dual_mul_f32 v163, s35, v138
	v_mul_f32_e32 v161, s35, v140
	v_cmp_gt_i32_e64 s4, s33, v152
	s_delay_alu instid0(VALU_DEP_4) | instskip(NEXT) | instid1(VALU_DEP_4)
	v_cmp_gt_i32_e64 s8, s33, v156
	v_cndmask_b32_e64 v162, 0xff7fffff, v162, s2
	v_mul_f32_e32 v156, s35, v133
	v_cndmask_b32_e32 v163, 0xff7fffff, v163, vcc_lo
	v_or_b32_e32 v154, 10, v148
	v_cndmask_b32_e64 v150, 0xff7fffff, v150, s3
	v_cndmask_b32_e64 v151, 0xff7fffff, v161, s4
	v_or_b32_e32 v155, 12, v148
	v_max3_f32 v152, v162, 0xff7fffff, v163
	v_cmp_gt_i32_e64 s5, s33, v154
	v_cmp_gt_i32_e64 s6, s33, v153
	v_or_b32_e32 v158, 18, v148
	v_mul_f32_e32 v154, s35, v143
	v_max3_f32 v150, v152, v150, v151
	v_dual_mul_f32 v151, s35, v142 :: v_dual_mul_f32 v152, s35, v141
	v_mul_f32_e32 v153, s35, v144
	v_cmp_gt_i32_e64 s7, s33, v155
	v_or_b32_e32 v157, 16, v148
	s_delay_alu instid0(VALU_DEP_4)
	v_cndmask_b32_e64 v151, 0xff7fffff, v151, s5
	v_cndmask_b32_e64 v152, 0xff7fffff, v152, s6
	v_cmp_gt_i32_e64 s9, s33, v158
	v_mul_f32_e32 v158, s35, v131
	v_cndmask_b32_e64 v154, 0xff7fffff, v154, s7
	v_cndmask_b32_e64 v153, 0xff7fffff, v153, s8
	v_max3_f32 v150, v150, v152, v151
	v_or_b32_e32 v159, 20, v148
	v_or_b32_e32 v160, 22, v148
	v_cmp_gt_i32_e64 s10, s33, v157
	v_or_b32_e32 v161, 24, v148
	v_max3_f32 v150, v150, v154, v153
	v_dual_mul_f32 v153, s35, v130 :: v_dual_mul_f32 v154, s35, v129
	v_or_b32_e32 v162, 26, v148
	v_mul_f32_e32 v157, s35, v132
	v_cmp_gt_i32_e64 s11, s33, v159
	s_delay_alu instid0(VALU_DEP_4)
	v_cndmask_b32_e64 v153, 0xff7fffff, v153, s9
	v_cndmask_b32_e64 v154, 0xff7fffff, v154, s10
	v_cmp_gt_i32_e64 s12, s33, v160
	v_or_b32_e32 v163, 28, v148
	v_or_b32_e32 v148, 30, v148
	v_mul_f32_e32 v155, s35, v134
	v_cndmask_b32_e64 v158, 0xff7fffff, v158, s11
	v_cndmask_b32_e64 v157, 0xff7fffff, v157, s12
	v_max3_f32 v150, v150, v154, v153
	v_cmp_gt_i32_e64 s13, s33, v161
	v_cmp_gt_i32_e64 s16, s33, v162
	v_dual_mul_f32 v151, s35, v136 :: v_dual_mul_f32 v152, s35, v135
	s_delay_alu instid0(VALU_DEP_4) | instskip(NEXT) | instid1(VALU_DEP_4)
	v_max3_f32 v150, v150, v158, v157
	v_cndmask_b32_e64 v153, 0xff7fffff, v156, s13
	s_delay_alu instid0(VALU_DEP_4) | instskip(SKIP_2) | instid1(VALU_DEP_3)
	v_cndmask_b32_e64 v154, 0xff7fffff, v155, s16
	v_cmp_gt_i32_e64 s17, s33, v163
	v_cmp_gt_i32_e64 s18, s33, v148
	v_max3_f32 v150, v150, v153, v154
	s_delay_alu instid0(VALU_DEP_3) | instskip(NEXT) | instid1(VALU_DEP_3)
	v_cndmask_b32_e64 v152, 0xff7fffff, v152, s17
	v_cndmask_b32_e64 v148, 0xff7fffff, v151, s18
	v_lshlrev_b32_e32 v153, 2, v149
	s_delay_alu instid0(VALU_DEP_2) | instskip(SKIP_3) | instid1(VALU_DEP_1)
	v_max3_f32 v148, v150, v152, v148
	ds_bpermute_b32 v149, v153, v148
	s_waitcnt lgkmcnt(0)
	v_max_f32_e32 v149, v149, v149
	v_max_f32_e32 v151, v148, v149
	s_delay_alu instid0(VALU_DEP_1) | instskip(NEXT) | instid1(VALU_DEP_1)
	v_fma_f32 v132, s35, v132, -v151
	v_mul_f32_e32 v132, 0x3fb8aa3b, v132
	v_fma_f32 v137, s35, v137, -v151
	v_fma_f32 v138, s35, v138, -v151
	;; [unrolled: 1-line block ×5, first 2 shown]
	s_delay_alu instid0(VALU_DEP_4) | instskip(NEXT) | instid1(VALU_DEP_3)
	v_dual_mul_f32 v137, 0x3fb8aa3b, v137 :: v_dual_mul_f32 v138, 0x3fb8aa3b, v138
	v_dual_mul_f32 v134, 0x3fb8aa3b, v134 :: v_dual_mul_f32 v139, 0x3fb8aa3b, v139
	v_fma_f32 v148, s35, v141, -v151
	s_delay_alu instid0(VALU_DEP_3) | instskip(NEXT) | instid1(VALU_DEP_3)
	v_exp_f32_e32 v137, v137
	v_exp_f32_e32 v138, v138
	v_mul_f32_e32 v140, 0x3fb8aa3b, v140
	v_exp_f32_e32 v139, v139
	v_fma_f32 v143, s35, v143, -v151
	v_fma_f32 v129, s35, v129, -v151
	;; [unrolled: 1-line block ×5, first 2 shown]
	v_mul_f32_e32 v143, 0x3fb8aa3b, v143
	v_cndmask_b32_e64 v141, 0, v137, s2
	v_fma_f32 v137, s35, v142, -v151
	v_mul_f32_e32 v142, 0x3fb8aa3b, v148
	v_exp_f32_e32 v148, v140
	v_cndmask_b32_e32 v140, 0, v138, vcc_lo
	v_add_f32_e32 v138, 0, v141
	v_mul_f32_e32 v137, 0x3fb8aa3b, v137
	v_exp_f32_e32 v149, v142
	v_cndmask_b32_e64 v142, 0, v139, s3
	v_fma_f32 v139, s35, v144, -v151
	v_add_f32_e32 v138, v138, v140
	v_exp_f32_e32 v137, v137
	v_exp_f32_e32 v143, v143
	v_cndmask_b32_e64 v144, 0, v148, s4
	s_delay_alu instid0(VALU_DEP_2) | instskip(SKIP_1) | instid1(TRANS32_DEP_3)
	v_dual_mul_f32 v139, 0x3fb8aa3b, v139 :: v_dual_add_f32 v138, v138, v142
	v_mul_f32_e32 v129, 0x3fb8aa3b, v129
	v_cndmask_b32_e64 v148, 0, v149, s6
	v_mul_f32_e32 v130, 0x3fb8aa3b, v130
	s_delay_alu instid0(VALU_DEP_4) | instskip(SKIP_1) | instid1(TRANS32_DEP_3)
	v_exp_f32_e32 v139, v139
	v_add_f32_e32 v138, v138, v144
	v_cndmask_b32_e64 v149, 0, v137, s5
	v_exp_f32_e32 v129, v129
	v_cndmask_b32_e64 v143, 0, v143, s7
	v_mul_f32_e32 v131, 0x3fb8aa3b, v131
	v_add_f32_e32 v137, v138, v148
	v_exp_f32_e32 v130, v130
	v_mul_f32_e32 v133, 0x3fb8aa3b, v133
	v_fma_f32 v136, s35, v136, -v151
	v_cndmask_b32_e64 v150, 0, v139, s8
	v_add_f32_e32 v137, v137, v149
	v_exp_f32_e32 v138, v131
	v_cndmask_b32_e64 v131, 0, v129, s10
	v_and_b32_e32 v139, 31, v0
	s_mov_b32 s3, exec_lo
	v_add_f32_e32 v137, v137, v143
	s_delay_alu instid0(VALU_DEP_2) | instskip(NEXT) | instid1(VALU_DEP_2)
	v_cmp_lt_u32_e64 s2, 15, v139
	v_add_f32_e32 v129, v137, v150
	v_exp_f32_e32 v137, v132
	v_cndmask_b32_e64 v132, 0, v130, s9
	v_fma_f32 v130, s35, v135, -v151
	v_exp_f32_e32 v135, v133
	v_add_f32_e32 v129, v129, v131
	v_cndmask_b32_e64 v133, 0, v138, s11
	v_exp_f32_e32 v138, v134
	s_delay_alu instid0(VALU_DEP_2) | instskip(NEXT) | instid1(TRANS32_DEP_3)
	v_dual_mul_f32 v130, 0x3fb8aa3b, v130 :: v_dual_add_f32 v129, v129, v132
	v_cndmask_b32_e64 v134, 0, v137, s12
	v_mul_f32_e32 v137, 0x3fb8aa3b, v136
	s_delay_alu instid0(VALU_DEP_3) | instskip(NEXT) | instid1(TRANS32_DEP_3)
	v_exp_f32_e32 v130, v130
	v_cndmask_b32_e64 v135, 0, v135, s13
	v_add_f32_e32 v129, v129, v133
	s_delay_alu instid0(TRANS32_DEP_2) | instskip(SKIP_1) | instid1(VALU_DEP_2)
	v_cndmask_b32_e64 v136, 0, v138, s16
	v_exp_f32_e32 v138, v137
	v_add_f32_e32 v129, v129, v134
	s_waitcnt_depctr 0xfff
	v_cndmask_b32_e64 v137, 0, v130, s17
	v_add_f32_e32 v129, v129, v135
	v_cndmask_b32_e64 v138, 0, v138, s18
	s_delay_alu instid0(VALU_DEP_2) | instskip(NEXT) | instid1(VALU_DEP_1)
	v_add_f32_e32 v129, v129, v136
	v_add_f32_e32 v129, v129, v137
	s_delay_alu instid0(VALU_DEP_1)
	v_add_f32_e32 v129, v129, v138
	ds_bpermute_b32 v130, v153, v129
	v_cmpx_gt_u32_e32 16, v139
	s_cbranch_execz .LBB658_11
; %bb.10:
	v_mul_u32_u24_e32 v139, 0x44, v147
	s_delay_alu instid0(VALU_DEP_1) | instskip(SKIP_1) | instid1(VALU_DEP_1)
	v_lshl_add_u32 v139, v145, 2, v139
	s_waitcnt lgkmcnt(0)
	v_dual_add_f32 v129, v129, v130 :: v_dual_add_nc_u32 v130, 0x4000, v139
	ds_store_2addr_b32 v130, v151, v129 offset1:136
.LBB658_11:
	s_or_b32 exec_lo, exec_lo, s3
	v_lshlrev_b32_e32 v129, 2, v145
	s_waitcnt lgkmcnt(0)
	s_barrier
	buffer_gl0_inv
	v_cmp_eq_u32_e64 s3, 1, v147
	v_add_nc_u32_e32 v139, 0x4000, v129
	ds_load_2addr_b32 v[151:152], v139 offset1:17
	ds_load_2addr_b32 v[153:154], v139 offset0:34 offset1:51
	ds_load_2addr_b32 v[155:156], v139 offset0:68 offset1:85
	;; [unrolled: 1-line block ×4, first 2 shown]
	s_waitcnt lgkmcnt(4)
	v_max3_f32 v129, v151, 0xff7fffff, v152
	s_waitcnt lgkmcnt(3)
	s_delay_alu instid0(VALU_DEP_1) | instskip(SKIP_1) | instid1(VALU_DEP_1)
	v_max3_f32 v129, v129, v153, v154
	s_waitcnt lgkmcnt(2)
	v_max3_f32 v129, v129, v155, v156
	s_waitcnt lgkmcnt(1)
	s_delay_alu instid0(VALU_DEP_1) | instskip(NEXT) | instid1(VALU_DEP_1)
	v_max3_f32 v129, v129, v157, v158
	v_sub_f32_e32 v155, v155, v129
	s_delay_alu instid0(VALU_DEP_1) | instskip(NEXT) | instid1(VALU_DEP_1)
	v_dual_sub_f32 v130, v151, v129 :: v_dual_mul_f32 v165, 0x3fb8aa3b, v155
	v_mul_f32_e32 v130, 0x3fb8aa3b, v130
	s_delay_alu instid0(VALU_DEP_1) | instskip(SKIP_1) | instid1(VALU_DEP_1)
	v_exp_f32_e32 v162, v130
	v_sub_f32_e32 v130, v154, v129
	v_dual_sub_f32 v161, v152, v129 :: v_dual_mul_f32 v164, 0x3fb8aa3b, v130
	s_waitcnt lgkmcnt(0)
	s_waitcnt_depctr 0xfff
	v_fma_f32 v130, v162, v159, 0
	v_exp_f32_e32 v164, v164
	v_mul_f32_e32 v161, 0x3fb8aa3b, v161
	v_sub_f32_e32 v159, v156, v129
	s_delay_alu instid0(VALU_DEP_2)
	v_exp_f32_e32 v161, v161
	s_waitcnt_depctr 0xfff
	v_fmac_f32_e32 v130, v161, v160
	ds_load_2addr_b32 v[151:152], v139 offset0:170 offset1:187
	v_sub_f32_e32 v153, v153, v129
	ds_load_2addr_b32 v[155:156], v139 offset0:238 offset1:255
	v_mul_f32_e32 v163, 0x3fb8aa3b, v153
	ds_load_2addr_b32 v[153:154], v139 offset0:204 offset1:221
	s_waitcnt lgkmcnt(0)
	s_barrier
	buffer_gl0_inv
	v_exp_f32_e32 v163, v163
	s_waitcnt_depctr 0xfff
	v_dual_fmac_f32 v130, v163, v151 :: v_dual_sub_f32 v151, v158, v129
	s_delay_alu instid0(VALU_DEP_1) | instskip(NEXT) | instid1(VALU_DEP_1)
	v_dual_fmac_f32 v130, v164, v152 :: v_dual_mul_f32 v151, 0x3fb8aa3b, v151
	v_exp_f32_e32 v151, v151
	v_sub_f32_e32 v139, v157, v129
	v_mul_f32_e32 v157, 0x3fb8aa3b, v159
	v_exp_f32_e32 v159, v165
	s_delay_alu instid0(VALU_DEP_2) | instskip(NEXT) | instid1(VALU_DEP_2)
	v_mul_f32_e32 v139, 0x3fb8aa3b, v139
	v_exp_f32_e32 v157, v157
	s_waitcnt_depctr 0xfff
	v_fmac_f32_e32 v130, v159, v153
	v_exp_f32_e32 v139, v139
	s_delay_alu instid0(VALU_DEP_1) | instskip(SKIP_2) | instid1(VALU_DEP_1)
	v_fmac_f32_e32 v130, v157, v154
	s_waitcnt_depctr 0xfff
	v_fmac_f32_e32 v130, v139, v155
	v_fmac_f32_e32 v130, v151, v156
	s_delay_alu instid0(VALU_DEP_1) | instskip(NEXT) | instid1(VALU_DEP_1)
	v_add_f32_e32 v152, 0x358637bd, v130
	v_div_scale_f32 v153, null, v152, v152, 1.0
	v_div_scale_f32 v156, vcc_lo, 1.0, v152, 1.0
	s_delay_alu instid0(VALU_DEP_2) | instskip(SKIP_2) | instid1(VALU_DEP_1)
	v_rcp_f32_e32 v154, v153
	s_waitcnt_depctr 0xfff
	v_fma_f32 v155, -v153, v154, 1.0
	v_fmac_f32_e32 v154, v155, v154
	v_cndmask_b32_e64 v155, v162, v161, s3
	v_cmp_eq_u32_e64 s3, 2, v147
	s_delay_alu instid0(VALU_DEP_3) | instskip(NEXT) | instid1(VALU_DEP_2)
	v_mul_f32_e32 v158, v156, v154
	v_cndmask_b32_e64 v155, v155, v163, s3
	v_cmp_eq_u32_e64 s3, 3, v147
	s_delay_alu instid0(VALU_DEP_3) | instskip(NEXT) | instid1(VALU_DEP_2)
	v_fma_f32 v160, -v153, v158, v156
	v_cndmask_b32_e64 v155, v155, v164, s3
	v_cmp_eq_u32_e64 s3, 4, v147
	s_delay_alu instid0(VALU_DEP_1) | instskip(SKIP_1) | instid1(VALU_DEP_1)
	v_cndmask_b32_e64 v155, v155, v159, s3
	v_cmp_eq_u32_e64 s3, 5, v147
	v_cndmask_b32_e64 v155, v155, v157, s3
	v_fmac_f32_e32 v158, v160, v154
	s_mov_b32 s3, exec_lo
	s_delay_alu instid0(VALU_DEP_1) | instskip(NEXT) | instid1(VALU_DEP_1)
	v_fma_f32 v153, -v153, v158, v156
	v_div_fmas_f32 v153, v153, v154, v158
	v_cmp_eq_u32_e32 vcc_lo, 6, v147
	s_delay_alu instid0(VALU_DEP_2) | instskip(SKIP_2) | instid1(VALU_DEP_2)
	v_div_fixup_f32 v152, v153, v152, 1.0
	v_cndmask_b32_e32 v139, v155, v139, vcc_lo
	v_cmp_eq_u32_e32 vcc_lo, 7, v147
	v_cndmask_b32_e32 v139, v139, v151, vcc_lo
	s_delay_alu instid0(VALU_DEP_1) | instskip(NEXT) | instid1(VALU_DEP_1)
	v_mul_f32_e32 v139, v139, v152
	v_mul_f32_e32 v152, v139, v141
	v_mul_f32_e32 v141, v139, v150
	v_mul_f32_e32 v143, v139, v143
	v_mul_f32_e32 v149, v139, v149
	v_mul_f32_e32 v150, v139, v148
	v_dual_mul_f32 v148, v139, v142 :: v_dual_and_b32 v153, 0x7f800000, v152
	v_mul_f32_e32 v151, v139, v144
	v_mul_f32_e32 v144, v139, v140
                                        ; implicit-def: $vgpr140
	s_delay_alu instid0(VALU_DEP_3)
	v_cmpx_ne_u32_e32 0x7f800000, v153
	s_xor_b32 s3, exec_lo, s3
; %bb.12:
	v_bfe_u32 v140, v152, 16, 1
	s_delay_alu instid0(VALU_DEP_1)
	v_add3_u32 v140, v152, v140, 0x7fff
                                        ; implicit-def: $vgpr152
; %bb.13:
	s_and_not1_saveexec_b32 s3, s3
; %bb.14:
	v_and_b32_e32 v140, 0xffff, v152
	v_or_b32_e32 v142, 0x10000, v152
	s_delay_alu instid0(VALU_DEP_2) | instskip(NEXT) | instid1(VALU_DEP_2)
	v_cmp_eq_u32_e32 vcc_lo, 0, v140
	v_cndmask_b32_e32 v140, v142, v152, vcc_lo
; %bb.15:
	s_or_b32 exec_lo, exec_lo, s3
	v_and_b32_e32 v142, 0x7f800000, v144
	s_delay_alu instid0(VALU_DEP_1) | instskip(SKIP_1) | instid1(SALU_CYCLE_1)
	v_cmp_ne_u32_e32 vcc_lo, 0x7f800000, v142
                                        ; implicit-def: $vgpr142
	s_and_saveexec_b32 s3, vcc_lo
	s_xor_b32 s3, exec_lo, s3
; %bb.16:
	v_bfe_u32 v142, v144, 16, 1
	s_delay_alu instid0(VALU_DEP_1)
	v_add3_u32 v142, v144, v142, 0x7fff
                                        ; implicit-def: $vgpr144
; %bb.17:
	s_and_not1_saveexec_b32 s3, s3
; %bb.18:
	v_and_b32_e32 v142, 0xffff, v144
	v_or_b32_e32 v152, 0x10000, v144
	s_delay_alu instid0(VALU_DEP_2) | instskip(NEXT) | instid1(VALU_DEP_2)
	v_cmp_eq_u32_e32 vcc_lo, 0, v142
	v_cndmask_b32_e32 v142, v152, v144, vcc_lo
; %bb.19:
	s_or_b32 exec_lo, exec_lo, s3
	v_and_b32_e32 v144, 0x7f800000, v148
	s_delay_alu instid0(VALU_DEP_1) | instskip(SKIP_1) | instid1(SALU_CYCLE_1)
	v_cmp_ne_u32_e32 vcc_lo, 0x7f800000, v144
                                        ; implicit-def: $vgpr144
	s_and_saveexec_b32 s3, vcc_lo
	s_xor_b32 s3, exec_lo, s3
; %bb.20:
	v_bfe_u32 v144, v148, 16, 1
	s_delay_alu instid0(VALU_DEP_1)
	v_add3_u32 v144, v148, v144, 0x7fff
                                        ; implicit-def: $vgpr148
; %bb.21:
	s_and_not1_saveexec_b32 s3, s3
; %bb.22:
	v_and_b32_e32 v144, 0xffff, v148
	v_or_b32_e32 v152, 0x10000, v148
	s_delay_alu instid0(VALU_DEP_2) | instskip(NEXT) | instid1(VALU_DEP_2)
	v_cmp_eq_u32_e32 vcc_lo, 0, v144
	v_cndmask_b32_e32 v144, v152, v148, vcc_lo
; %bb.23:
	s_or_b32 exec_lo, exec_lo, s3
	v_and_b32_e32 v148, 0x7f800000, v151
	s_delay_alu instid0(VALU_DEP_1) | instskip(SKIP_1) | instid1(SALU_CYCLE_1)
	v_cmp_ne_u32_e32 vcc_lo, 0x7f800000, v148
                                        ; implicit-def: $vgpr148
	s_and_saveexec_b32 s3, vcc_lo
	s_xor_b32 s3, exec_lo, s3
; %bb.24:
	v_bfe_u32 v148, v151, 16, 1
	s_delay_alu instid0(VALU_DEP_1)
	v_add3_u32 v148, v151, v148, 0x7fff
                                        ; implicit-def: $vgpr151
; %bb.25:
	s_and_not1_saveexec_b32 s3, s3
; %bb.26:
	v_and_b32_e32 v148, 0xffff, v151
	v_or_b32_e32 v152, 0x10000, v151
	s_delay_alu instid0(VALU_DEP_2) | instskip(NEXT) | instid1(VALU_DEP_2)
	v_cmp_eq_u32_e32 vcc_lo, 0, v148
	v_cndmask_b32_e32 v148, v152, v151, vcc_lo
; %bb.27:
	s_or_b32 exec_lo, exec_lo, s3
	v_and_b32_e32 v151, 0x7f800000, v150
	s_delay_alu instid0(VALU_DEP_1) | instskip(SKIP_1) | instid1(SALU_CYCLE_1)
	v_cmp_ne_u32_e32 vcc_lo, 0x7f800000, v151
                                        ; implicit-def: $vgpr151
	s_and_saveexec_b32 s3, vcc_lo
	s_xor_b32 s3, exec_lo, s3
; %bb.28:
	v_bfe_u32 v151, v150, 16, 1
	s_delay_alu instid0(VALU_DEP_1)
	v_add3_u32 v151, v150, v151, 0x7fff
                                        ; implicit-def: $vgpr150
; %bb.29:
	s_and_not1_saveexec_b32 s3, s3
; %bb.30:
	v_and_b32_e32 v151, 0xffff, v150
	v_or_b32_e32 v152, 0x10000, v150
	s_delay_alu instid0(VALU_DEP_2) | instskip(NEXT) | instid1(VALU_DEP_2)
	v_cmp_eq_u32_e32 vcc_lo, 0, v151
	v_cndmask_b32_e32 v151, v152, v150, vcc_lo
; %bb.31:
	s_or_b32 exec_lo, exec_lo, s3
	v_and_b32_e32 v150, 0x7f800000, v149
	s_delay_alu instid0(VALU_DEP_1) | instskip(SKIP_1) | instid1(SALU_CYCLE_1)
	v_cmp_ne_u32_e32 vcc_lo, 0x7f800000, v150
                                        ; implicit-def: $vgpr150
	s_and_saveexec_b32 s3, vcc_lo
	s_xor_b32 s3, exec_lo, s3
; %bb.32:
	v_bfe_u32 v150, v149, 16, 1
	s_delay_alu instid0(VALU_DEP_1)
	v_add3_u32 v150, v149, v150, 0x7fff
                                        ; implicit-def: $vgpr149
; %bb.33:
	s_and_not1_saveexec_b32 s3, s3
; %bb.34:
	v_and_b32_e32 v150, 0xffff, v149
	v_or_b32_e32 v152, 0x10000, v149
	s_delay_alu instid0(VALU_DEP_2) | instskip(NEXT) | instid1(VALU_DEP_2)
	v_cmp_eq_u32_e32 vcc_lo, 0, v150
	v_cndmask_b32_e32 v150, v152, v149, vcc_lo
; %bb.35:
	s_or_b32 exec_lo, exec_lo, s3
	v_and_b32_e32 v149, 0x7f800000, v143
	s_delay_alu instid0(VALU_DEP_1) | instskip(SKIP_1) | instid1(SALU_CYCLE_1)
	v_cmp_ne_u32_e32 vcc_lo, 0x7f800000, v149
                                        ; implicit-def: $vgpr149
	s_and_saveexec_b32 s3, vcc_lo
	s_xor_b32 s3, exec_lo, s3
; %bb.36:
	v_bfe_u32 v149, v143, 16, 1
	s_delay_alu instid0(VALU_DEP_1)
	v_add3_u32 v149, v143, v149, 0x7fff
                                        ; implicit-def: $vgpr143
; %bb.37:
	s_and_not1_saveexec_b32 s3, s3
; %bb.38:
	v_and_b32_e32 v149, 0xffff, v143
	v_or_b32_e32 v152, 0x10000, v143
	s_delay_alu instid0(VALU_DEP_2) | instskip(NEXT) | instid1(VALU_DEP_2)
	v_cmp_eq_u32_e32 vcc_lo, 0, v149
	v_cndmask_b32_e32 v149, v152, v143, vcc_lo
; %bb.39:
	s_or_b32 exec_lo, exec_lo, s3
	v_and_b32_e32 v143, 0x7f800000, v141
	s_delay_alu instid0(VALU_DEP_1) | instskip(SKIP_1) | instid1(SALU_CYCLE_1)
	v_cmp_ne_u32_e32 vcc_lo, 0x7f800000, v143
                                        ; implicit-def: $vgpr143
	s_and_saveexec_b32 s3, vcc_lo
	s_xor_b32 s3, exec_lo, s3
; %bb.40:
	v_bfe_u32 v143, v141, 16, 1
	s_delay_alu instid0(VALU_DEP_1)
	v_add3_u32 v143, v141, v143, 0x7fff
                                        ; implicit-def: $vgpr141
; %bb.41:
	s_and_not1_saveexec_b32 s3, s3
; %bb.42:
	v_and_b32_e32 v143, 0xffff, v141
	v_or_b32_e32 v152, 0x10000, v141
	s_delay_alu instid0(VALU_DEP_2) | instskip(NEXT) | instid1(VALU_DEP_2)
	v_cmp_eq_u32_e32 vcc_lo, 0, v143
	v_cndmask_b32_e32 v143, v152, v141, vcc_lo
; %bb.43:
	s_or_b32 exec_lo, exec_lo, s3
	s_load_b64 s[36:37], s[0:1], 0x94
	v_dual_mul_f32 v136, v139, v136 :: v_dual_lshlrev_b32 v153, 4, v146
	s_delay_alu instid0(VALU_DEP_2)
	v_perm_b32 v152, v143, v149, 0x7060302
	v_dual_mul_f32 v138, v139, v138 :: v_dual_lshlrev_b32 v141, 6, v145
	v_dual_mul_f32 v137, v139, v137 :: v_dual_lshlrev_b32 v154, 11, v147
	v_mul_f32_e32 v143, v139, v131
	v_perm_b32 v151, v150, v151, 0x7060302
	v_perm_b32 v150, v148, v144, 0x7060302
	;; [unrolled: 1-line block ×3, first 2 shown]
	v_or3_b32 v131, v153, v154, v141
	v_and_b32_e32 v144, 0x7f800000, v143
	v_mul_f32_e32 v135, v139, v135
	v_mul_f32_e32 v140, v139, v134
	;; [unrolled: 1-line block ×4, first 2 shown]
	s_mov_b32 s3, exec_lo
	ds_store_b128 v131, v[149:152]
                                        ; implicit-def: $vgpr132
	v_cmpx_ne_u32_e32 0x7f800000, v144
	s_xor_b32 s3, exec_lo, s3
; %bb.44:
	v_bfe_u32 v132, v143, 16, 1
	s_delay_alu instid0(VALU_DEP_1)
	v_add3_u32 v132, v143, v132, 0x7fff
                                        ; implicit-def: $vgpr143
; %bb.45:
	s_and_not1_saveexec_b32 s3, s3
; %bb.46:
	v_and_b32_e32 v132, 0xffff, v143
	v_or_b32_e32 v133, 0x10000, v143
	s_delay_alu instid0(VALU_DEP_2) | instskip(NEXT) | instid1(VALU_DEP_2)
	v_cmp_eq_u32_e32 vcc_lo, 0, v132
	v_cndmask_b32_e32 v132, v133, v143, vcc_lo
; %bb.47:
	s_or_b32 exec_lo, exec_lo, s3
	v_and_b32_e32 v133, 0x7f800000, v134
	s_delay_alu instid0(VALU_DEP_1) | instskip(SKIP_1) | instid1(SALU_CYCLE_1)
	v_cmp_ne_u32_e32 vcc_lo, 0x7f800000, v133
                                        ; implicit-def: $vgpr133
	s_and_saveexec_b32 s3, vcc_lo
	s_xor_b32 s3, exec_lo, s3
; %bb.48:
	v_bfe_u32 v133, v134, 16, 1
	s_delay_alu instid0(VALU_DEP_1)
	v_add3_u32 v133, v134, v133, 0x7fff
                                        ; implicit-def: $vgpr134
; %bb.49:
	s_and_not1_saveexec_b32 s3, s3
; %bb.50:
	v_and_b32_e32 v133, 0xffff, v134
	v_or_b32_e32 v139, 0x10000, v134
	s_delay_alu instid0(VALU_DEP_2) | instskip(NEXT) | instid1(VALU_DEP_2)
	v_cmp_eq_u32_e32 vcc_lo, 0, v133
	v_cndmask_b32_e32 v133, v139, v134, vcc_lo
; %bb.51:
	s_or_b32 exec_lo, exec_lo, s3
	v_and_b32_e32 v134, 0x7f800000, v142
	s_delay_alu instid0(VALU_DEP_1) | instskip(SKIP_1) | instid1(SALU_CYCLE_1)
	v_cmp_ne_u32_e32 vcc_lo, 0x7f800000, v134
                                        ; implicit-def: $vgpr134
	s_and_saveexec_b32 s3, vcc_lo
	s_xor_b32 s3, exec_lo, s3
; %bb.52:
	v_bfe_u32 v134, v142, 16, 1
	s_delay_alu instid0(VALU_DEP_1)
	v_add3_u32 v134, v142, v134, 0x7fff
                                        ; implicit-def: $vgpr142
; %bb.53:
	s_and_not1_saveexec_b32 s3, s3
; %bb.54:
	v_and_b32_e32 v134, 0xffff, v142
	v_or_b32_e32 v139, 0x10000, v142
	s_delay_alu instid0(VALU_DEP_2) | instskip(NEXT) | instid1(VALU_DEP_2)
	v_cmp_eq_u32_e32 vcc_lo, 0, v134
	v_cndmask_b32_e32 v134, v139, v142, vcc_lo
; %bb.55:
	s_or_b32 exec_lo, exec_lo, s3
	v_and_b32_e32 v139, 0x7f800000, v140
	s_delay_alu instid0(VALU_DEP_1) | instskip(SKIP_1) | instid1(SALU_CYCLE_1)
	v_cmp_ne_u32_e32 vcc_lo, 0x7f800000, v139
                                        ; implicit-def: $vgpr139
	s_and_saveexec_b32 s3, vcc_lo
	s_xor_b32 s3, exec_lo, s3
; %bb.56:
	v_bfe_u32 v139, v140, 16, 1
	s_delay_alu instid0(VALU_DEP_1)
	v_add3_u32 v139, v140, v139, 0x7fff
                                        ; implicit-def: $vgpr140
; %bb.57:
	s_and_not1_saveexec_b32 s3, s3
; %bb.58:
	v_and_b32_e32 v139, 0xffff, v140
	v_or_b32_e32 v142, 0x10000, v140
	s_delay_alu instid0(VALU_DEP_2) | instskip(NEXT) | instid1(VALU_DEP_2)
	v_cmp_eq_u32_e32 vcc_lo, 0, v139
	v_cndmask_b32_e32 v139, v142, v140, vcc_lo
; %bb.59:
	s_or_b32 exec_lo, exec_lo, s3
	v_and_b32_e32 v140, 0x7f800000, v135
	s_delay_alu instid0(VALU_DEP_1) | instskip(SKIP_1) | instid1(SALU_CYCLE_1)
	v_cmp_ne_u32_e32 vcc_lo, 0x7f800000, v140
                                        ; implicit-def: $vgpr140
	s_and_saveexec_b32 s3, vcc_lo
	s_xor_b32 s3, exec_lo, s3
; %bb.60:
	v_bfe_u32 v140, v135, 16, 1
	s_delay_alu instid0(VALU_DEP_1)
	v_add3_u32 v140, v135, v140, 0x7fff
                                        ; implicit-def: $vgpr135
; %bb.61:
	s_and_not1_saveexec_b32 s3, s3
; %bb.62:
	v_and_b32_e32 v140, 0xffff, v135
	v_or_b32_e32 v142, 0x10000, v135
	s_delay_alu instid0(VALU_DEP_2) | instskip(NEXT) | instid1(VALU_DEP_2)
	v_cmp_eq_u32_e32 vcc_lo, 0, v140
	v_cndmask_b32_e32 v140, v142, v135, vcc_lo
; %bb.63:
	s_or_b32 exec_lo, exec_lo, s3
	v_and_b32_e32 v135, 0x7f800000, v136
	s_delay_alu instid0(VALU_DEP_1) | instskip(SKIP_1) | instid1(SALU_CYCLE_1)
	v_cmp_ne_u32_e32 vcc_lo, 0x7f800000, v135
                                        ; implicit-def: $vgpr135
	s_and_saveexec_b32 s3, vcc_lo
	s_xor_b32 s3, exec_lo, s3
; %bb.64:
	v_bfe_u32 v135, v136, 16, 1
	s_delay_alu instid0(VALU_DEP_1)
	v_add3_u32 v135, v136, v135, 0x7fff
                                        ; implicit-def: $vgpr136
; %bb.65:
	s_and_not1_saveexec_b32 s3, s3
; %bb.66:
	v_and_b32_e32 v135, 0xffff, v136
	v_or_b32_e32 v142, 0x10000, v136
	s_delay_alu instid0(VALU_DEP_2) | instskip(NEXT) | instid1(VALU_DEP_2)
	v_cmp_eq_u32_e32 vcc_lo, 0, v135
	v_cndmask_b32_e32 v135, v142, v136, vcc_lo
; %bb.67:
	s_or_b32 exec_lo, exec_lo, s3
	v_and_b32_e32 v136, 0x7f800000, v137
	s_delay_alu instid0(VALU_DEP_1) | instskip(SKIP_1) | instid1(SALU_CYCLE_1)
	v_cmp_ne_u32_e32 vcc_lo, 0x7f800000, v136
                                        ; implicit-def: $vgpr136
	s_and_saveexec_b32 s3, vcc_lo
	s_xor_b32 s3, exec_lo, s3
; %bb.68:
	v_bfe_u32 v136, v137, 16, 1
	s_delay_alu instid0(VALU_DEP_1)
	v_add3_u32 v136, v137, v136, 0x7fff
                                        ; implicit-def: $vgpr137
; %bb.69:
	s_and_not1_saveexec_b32 s3, s3
; %bb.70:
	v_and_b32_e32 v136, 0xffff, v137
	v_or_b32_e32 v142, 0x10000, v137
	s_delay_alu instid0(VALU_DEP_2) | instskip(NEXT) | instid1(VALU_DEP_2)
	v_cmp_eq_u32_e32 vcc_lo, 0, v136
	v_cndmask_b32_e32 v136, v142, v137, vcc_lo
; %bb.71:
	s_or_b32 exec_lo, exec_lo, s3
	v_and_b32_e32 v137, 0x7f800000, v138
	s_delay_alu instid0(VALU_DEP_1) | instskip(SKIP_1) | instid1(SALU_CYCLE_1)
	v_cmp_ne_u32_e32 vcc_lo, 0x7f800000, v137
                                        ; implicit-def: $vgpr137
	s_and_saveexec_b32 s3, vcc_lo
	s_xor_b32 s3, exec_lo, s3
; %bb.72:
	v_bfe_u32 v137, v138, 16, 1
	s_delay_alu instid0(VALU_DEP_1)
	v_add3_u32 v137, v138, v137, 0x7fff
                                        ; implicit-def: $vgpr138
; %bb.73:
	s_and_not1_saveexec_b32 s3, s3
; %bb.74:
	v_and_b32_e32 v137, 0xffff, v138
	v_or_b32_e32 v142, 0x10000, v138
	s_delay_alu instid0(VALU_DEP_2) | instskip(NEXT) | instid1(VALU_DEP_2)
	v_cmp_eq_u32_e32 vcc_lo, 0, v137
	v_cndmask_b32_e32 v137, v142, v138, vcc_lo
; %bb.75:
	s_or_b32 exec_lo, exec_lo, s3
	s_delay_alu instid0(VALU_DEP_1)
	v_perm_b32 v136, v137, v136, 0x7060302
	v_perm_b32 v135, v135, v140, 0x7060302
	v_perm_b32 v134, v139, v134, 0x7060302
	v_perm_b32 v133, v133, v132, 0x7060302
	v_lshl_or_b32 v142, v147, 11, v141
	ds_store_b128 v131, v[133:136] offset:1024
	s_waitcnt lgkmcnt(0)
	s_barrier
	buffer_gl0_inv
	ds_load_b128 v[132:135], v142
	ds_load_b128 v[147:150], v142 offset:16
	s_waitcnt lgkmcnt(1)
	v_lshrrev_b32_e32 v136, 16, v132
	s_waitcnt lgkmcnt(0)
	v_lshrrev_b32_e32 v155, 16, v147
	v_lshlrev_b32_e32 v138, 2, v146
	v_lshrrev_b32_e32 v143, 16, v133
	v_lshrrev_b32_e32 v160, 16, v148
	;; [unrolled: 1-line block ×4, first 2 shown]
	v_cmp_eq_u32_e32 vcc_lo, 1, v138
	v_lshrrev_b32_e32 v159, 16, v135
	v_lshrrev_b32_e32 v162, 16, v150
	v_cndmask_b32_e32 v151, v147, v155, vcc_lo
	v_or_b32_e32 v139, 1, v138
	v_cndmask_b32_e32 v140, v132, v136, vcc_lo
	v_cmp_eq_u32_e64 s4, 2, v138
	v_cmp_eq_u32_e64 s7, 3, v138
	;; [unrolled: 1-line block ×5, first 2 shown]
	v_cndmask_b32_e64 v140, v140, v133, s4
	v_cndmask_b32_e64 v151, v151, v148, s4
	v_cmp_eq_u32_e64 s8, 3, v139
	v_cndmask_b32_e64 v152, v132, v136, s3
	v_or_b32_e32 v137, 2, v138
	v_cndmask_b32_e64 v140, v140, v143, s7
	v_cndmask_b32_e64 v151, v151, v160, s7
	v_cndmask_b32_e64 v153, v147, v155, s3
	v_cndmask_b32_e64 v152, v152, v133, s6
	v_cmp_eq_u32_e64 s10, 5, v138
	v_cndmask_b32_e64 v140, v140, v134, s9
	v_cndmask_b32_e64 v151, v151, v149, s9
	v_cmp_eq_u32_e64 s11, 4, v139
	v_cndmask_b32_e64 v152, v152, v143, s8
	v_cmp_eq_u32_e64 s5, 1, v137
	v_cndmask_b32_e64 v153, v153, v148, s6
	v_cndmask_b32_e64 v140, v140, v144, s10
	v_cmp_eq_u32_e64 s12, 6, v138
	v_cndmask_b32_e64 v152, v152, v134, s11
	v_cndmask_b32_e64 v151, v151, v161, s10
	v_cmp_eq_u32_e64 s13, 5, v139
	v_cndmask_b32_e64 v154, v132, v136, s5
	v_cndmask_b32_e64 v153, v153, v160, s8
	v_cndmask_b32_e64 v140, v140, v135, s12
	v_cmp_eq_u32_e64 s16, 7, v138
	v_cndmask_b32_e64 v152, v152, v144, s13
	v_cndmask_b32_e64 v151, v151, v150, s12
	v_cmp_eq_u32_e64 s17, 6, v139
	v_cmp_eq_u32_e64 s18, 2, v137
	v_cndmask_b32_e64 v153, v153, v149, s11
	v_cndmask_b32_e64 v163, v140, v159, s16
	;; [unrolled: 1-line block ×6, first 2 shown]
	v_cmp_eq_u32_e64 s19, 7, v139
	v_cmp_eq_u32_e64 s20, 3, v137
	;; [unrolled: 1-line block ×4, first 2 shown]
	v_cndmask_b32_e64 v151, v151, v148, s18
	v_cndmask_b32_e64 v165, v152, v159, s19
	;; [unrolled: 1-line block ×4, first 2 shown]
	v_or_b32_e32 v140, 3, v138
	v_cndmask_b32_e64 v157, v151, v160, s20
	v_cmp_eq_u32_e64 s25, 6, v137
	v_cndmask_b32_e64 v166, v152, v150, s17
	v_cndmask_b32_e64 v156, v153, v134, s21
	v_cmp_eq_u32_e64 s22, 1, v140
	ds_load_b128 v[151:154], v142 offset:1024
	v_cmp_eq_u32_e64 s24, 2, v140
	v_cmp_eq_u32_e64 s26, 3, v140
	v_cndmask_b32_e64 v167, v156, v144, s23
	v_cndmask_b32_e64 v132, v132, v136, s22
	;; [unrolled: 1-line block ×4, first 2 shown]
	ds_load_b128 v[155:158], v142 offset:1040
	v_cmp_eq_u32_e64 s27, 4, v140
	v_cndmask_b32_e64 v132, v132, v133, s24
	v_cndmask_b32_e64 v133, v136, v161, s23
	;; [unrolled: 1-line block ×3, first 2 shown]
	v_cmp_eq_u32_e64 s29, 5, v140
	v_cmp_eq_u32_e64 s28, 7, v137
	v_cndmask_b32_e64 v132, v132, v143, s26
	v_cndmask_b32_e64 v143, v167, v135, s25
	;; [unrolled: 1-line block ×3, first 2 shown]
	v_cmp_eq_u32_e64 s30, 6, v140
	v_cndmask_b32_e64 v133, v133, v150, s25
	v_cndmask_b32_e64 v132, v132, v134, s27
	s_waitcnt lgkmcnt(1)
	v_lshrrev_b32_e32 v148, 16, v151
	v_cndmask_b32_e64 v134, v136, v149, s27
	v_cndmask_b32_e64 v136, v143, v159, s28
	v_lshrrev_b32_e32 v149, 16, v152
	v_cndmask_b32_e64 v132, v132, v144, s29
	v_cndmask_b32_e64 v160, v151, v148, s3
	;; [unrolled: 1-line block ×3, first 2 shown]
	s_waitcnt lgkmcnt(0)
	v_lshrrev_b32_e32 v144, 16, v155
	v_cndmask_b32_e64 v147, v166, v162, s19
	v_cndmask_b32_e64 v132, v132, v135, s30
	v_cndmask_b32_e32 v143, v151, v148, vcc_lo
	v_cndmask_b32_e64 v134, v134, v150, s30
	v_cndmask_b32_e32 v161, v155, v144, vcc_lo
	v_cmp_eq_u32_e32 vcc_lo, 7, v140
	v_cndmask_b32_e64 v133, v133, v162, s28
	s_delay_alu instid0(VALU_DEP_4)
	v_cndmask_b32_e32 v134, v134, v162, vcc_lo
	v_cndmask_b32_e32 v132, v132, v159, vcc_lo
	v_cndmask_b32_e64 v143, v143, v152, s4
	v_cndmask_b32_e64 v150, v161, v156, s4
	v_lshrrev_b32_e32 v161, 16, v153
	v_lshrrev_b32_e32 v162, 16, v157
	s_delay_alu instid0(VALU_DEP_4) | instskip(SKIP_2) | instid1(VALU_DEP_3)
	v_cndmask_b32_e64 v135, v143, v149, s7
	v_cndmask_b32_e64 v143, v160, v152, s6
	v_lshrrev_b32_e32 v160, 16, v156
	v_cndmask_b32_e64 v135, v135, v153, s9
	s_delay_alu instid0(VALU_DEP_3) | instskip(NEXT) | instid1(VALU_DEP_3)
	v_cndmask_b32_e64 v143, v143, v149, s8
	v_cndmask_b32_e64 v150, v150, v160, s7
	s_delay_alu instid0(VALU_DEP_3) | instskip(NEXT) | instid1(VALU_DEP_3)
	v_cndmask_b32_e64 v159, v135, v161, s10
	v_cndmask_b32_e64 v143, v143, v153, s11
	s_delay_alu instid0(VALU_DEP_3)
	v_cndmask_b32_e64 v150, v150, v157, s9
	v_perm_b32 v135, v134, v132, 0x5040100
	v_perm_b32 v134, v133, v136, 0x5040100
	;; [unrolled: 1-line block ×3, first 2 shown]
	v_cndmask_b32_e64 v132, v143, v161, s13
	v_cndmask_b32_e64 v143, v159, v154, s12
	v_lshrrev_b32_e32 v159, 16, v154
	v_cndmask_b32_e64 v150, v150, v162, s10
	v_lshrrev_b32_e32 v147, 16, v158
	v_cndmask_b32_e64 v132, v132, v154, s17
	s_delay_alu instid0(VALU_DEP_4) | instskip(NEXT) | instid1(VALU_DEP_4)
	v_cndmask_b32_e64 v136, v143, v159, s16
	v_cndmask_b32_e64 v143, v150, v158, s12
	;; [unrolled: 1-line block ×3, first 2 shown]
	s_delay_alu instid0(VALU_DEP_4)
	v_cndmask_b32_e64 v165, v132, v159, s19
	v_cndmask_b32_e64 v132, v151, v148, s5
	;; [unrolled: 1-line block ×32, first 2 shown]
	v_cndmask_b32_e32 v148, v148, v159, vcc_lo
	v_cndmask_b32_e32 v149, v149, v147, vcc_lo
	v_cndmask_b32_e64 v152, v150, v147, s28
	v_cndmask_b32_e64 v144, v144, v147, s19
	v_perm_b32 v132, v164, v163, 0x5040100
	v_perm_b32 v147, v143, v136, 0x5040100
	;; [unrolled: 1-line block ×5, first 2 shown]
	s_mov_b32 s3, exec_lo
	ds_store_b128 v131, v[132:135]
	ds_store_b128 v131, v[147:150] offset:1024
	v_cmpx_eq_u32_e32 0, v0
	s_cbranch_execz .LBB658_77
; %bb.76:
	s_load_b128 s[4:7], s[0:1], 0x58
	s_mul_i32 s8, s37, s34
	v_mov_b32_e32 v131, 0
	s_add_i32 s8, s8, s15
	s_delay_alu instid0(SALU_CYCLE_1) | instskip(NEXT) | instid1(SALU_CYCLE_1)
	s_mul_i32 s8, s8, s36
	s_add_i32 s8, s8, s14
	s_delay_alu instid0(SALU_CYCLE_1) | instskip(NEXT) | instid1(SALU_CYCLE_1)
	s_ashr_i32 s9, s8, 31
	s_lshl_b64 s[8:9], s[8:9], 2
	s_waitcnt lgkmcnt(0)
	s_add_u32 s6, s6, s8
	s_addc_u32 s7, s7, s9
	s_add_u32 s4, s4, s8
	s_addc_u32 s5, s5, s9
	s_clause 0x1
	global_store_b32 v131, v129, s[6:7]
	global_store_b32 v131, v130, s[4:5]
.LBB658_77:
	s_or_b32 exec_lo, exec_lo, s3
	s_waitcnt lgkmcnt(0)
	s_waitcnt_vscnt null, 0x0
	s_barrier
	buffer_gl0_inv
	ds_load_b128 v[147:150], v141
	ds_load_b128 v[151:154], v141 offset:16
	ds_load_b128 v[159:162], v141 offset:1040
	;; [unrolled: 1-line block ×3, first 2 shown]
	v_mov_b32_e32 v129, 0
	ds_load_b128 v[167:170], v141 offset:2064
	ds_load_b128 v[163:166], v141 offset:2048
	ds_load_b128 v[175:178], v141 offset:3088
	ds_load_b128 v[171:174], v141 offset:3072
	ds_load_b128 v[183:186], v141 offset:4112
	ds_load_b128 v[179:182], v141 offset:4096
	v_mov_b32_e32 v130, v129
	v_mov_b32_e32 v131, v129
	;; [unrolled: 1-line block ×7, first 2 shown]
	s_waitcnt lgkmcnt(8)
	s_delay_alu instid0(VALU_DEP_1)
	v_wmma_f32_16x16x16_bf16 v[129:136], v[121:128], v[147:154], v[129:136]
	ds_load_b128 v[125:128], v141 offset:5136
	ds_load_b128 v[121:124], v141 offset:5120
	s_waitcnt lgkmcnt(8)
	v_wmma_f32_16x16x16_bf16 v[129:136], v[113:120], v[155:162], v[129:136]
	ds_load_b128 v[117:120], v141 offset:6160
	ds_load_b128 v[113:116], v141 offset:6144
	s_waitcnt lgkmcnt(8)
	;; [unrolled: 4-line block ×7, first 2 shown]
	v_wmma_f32_16x16x16_bf16 v[129:136], v[65:72], v[105:112], v[129:136]
	s_waitcnt lgkmcnt(6)
	s_delay_alu instid0(VALU_DEP_1)
	v_wmma_f32_16x16x16_bf16 v[129:136], v[57:64], v[97:104], v[129:136]
	ds_load_b128 v[61:64], v141 offset:12304
	ds_load_b128 v[57:60], v141 offset:12288
	s_waitcnt lgkmcnt(6)
	v_wmma_f32_16x16x16_bf16 v[129:136], v[49:56], v[89:96], v[129:136]
	ds_load_b128 v[53:56], v141 offset:13328
	ds_load_b128 v[49:52], v141 offset:13312
	s_waitcnt lgkmcnt(6)
	;; [unrolled: 4-line block ×4, first 2 shown]
	v_wmma_f32_16x16x16_bf16 v[129:136], v[1:8], v[57:64], v[129:136]
	s_waitcnt lgkmcnt(4)
	s_delay_alu instid0(VALU_DEP_1) | instskip(SKIP_1) | instid1(VALU_DEP_1)
	v_wmma_f32_16x16x16_bf16 v[129:136], v[25:32], v[49:56], v[129:136]
	s_waitcnt lgkmcnt(2)
	v_wmma_f32_16x16x16_bf16 v[129:136], v[33:40], v[41:48], v[129:136]
	s_waitcnt lgkmcnt(0)
	s_delay_alu instid0(VALU_DEP_1) | instskip(NEXT) | instid1(VALU_DEP_1)
	v_wmma_f32_16x16x16_bf16 v[129:136], v[9:16], v[17:24], v[129:136]
	v_and_b32_e32 v1, 0x7f800000, v129
	s_delay_alu instid0(VALU_DEP_1) | instskip(SKIP_1) | instid1(SALU_CYCLE_1)
	v_cmp_ne_u32_e32 vcc_lo, 0x7f800000, v1
                                        ; implicit-def: $vgpr1
	s_and_saveexec_b32 s3, vcc_lo
	s_xor_b32 s3, exec_lo, s3
; %bb.78:
	v_bfe_u32 v1, v129, 16, 1
	s_delay_alu instid0(VALU_DEP_1)
	v_add3_u32 v1, v129, v1, 0x7fff
; %bb.79:
	s_and_not1_saveexec_b32 s3, s3
; %bb.80:
	v_and_b32_e32 v1, 0xffff, v129
	v_or_b32_e32 v2, 0x10000, v129
	s_delay_alu instid0(VALU_DEP_2) | instskip(NEXT) | instid1(VALU_DEP_2)
	v_cmp_eq_u32_e32 vcc_lo, 0, v1
	v_cndmask_b32_e32 v1, v2, v129, vcc_lo
; %bb.81:
	s_or_b32 exec_lo, exec_lo, s3
	v_and_b32_e32 v2, 0x7f800000, v130
	s_delay_alu instid0(VALU_DEP_1) | instskip(SKIP_1) | instid1(SALU_CYCLE_1)
	v_cmp_ne_u32_e32 vcc_lo, 0x7f800000, v2
                                        ; implicit-def: $vgpr2
	s_and_saveexec_b32 s3, vcc_lo
	s_xor_b32 s3, exec_lo, s3
; %bb.82:
	v_bfe_u32 v2, v130, 16, 1
	s_delay_alu instid0(VALU_DEP_1)
	v_add3_u32 v2, v130, v2, 0x7fff
; %bb.83:
	s_and_not1_saveexec_b32 s3, s3
; %bb.84:
	v_and_b32_e32 v2, 0xffff, v130
	v_or_b32_e32 v3, 0x10000, v130
	s_delay_alu instid0(VALU_DEP_2) | instskip(NEXT) | instid1(VALU_DEP_2)
	v_cmp_eq_u32_e32 vcc_lo, 0, v2
	v_cndmask_b32_e32 v2, v3, v130, vcc_lo
; %bb.85:
	s_or_b32 exec_lo, exec_lo, s3
	v_and_b32_e32 v3, 0x7f800000, v131
	s_delay_alu instid0(VALU_DEP_1) | instskip(SKIP_1) | instid1(SALU_CYCLE_1)
	v_cmp_ne_u32_e32 vcc_lo, 0x7f800000, v3
                                        ; implicit-def: $vgpr3
	s_and_saveexec_b32 s3, vcc_lo
	s_xor_b32 s3, exec_lo, s3
; %bb.86:
	v_bfe_u32 v3, v131, 16, 1
	s_delay_alu instid0(VALU_DEP_1)
	v_add3_u32 v3, v131, v3, 0x7fff
; %bb.87:
	s_and_not1_saveexec_b32 s3, s3
; %bb.88:
	v_and_b32_e32 v3, 0xffff, v131
	v_or_b32_e32 v4, 0x10000, v131
	s_delay_alu instid0(VALU_DEP_2) | instskip(NEXT) | instid1(VALU_DEP_2)
	v_cmp_eq_u32_e32 vcc_lo, 0, v3
	v_cndmask_b32_e32 v3, v4, v131, vcc_lo
; %bb.89:
	s_or_b32 exec_lo, exec_lo, s3
	v_and_b32_e32 v4, 0x7f800000, v132
	s_delay_alu instid0(VALU_DEP_1) | instskip(SKIP_1) | instid1(SALU_CYCLE_1)
	v_cmp_ne_u32_e32 vcc_lo, 0x7f800000, v4
                                        ; implicit-def: $vgpr4
	s_and_saveexec_b32 s3, vcc_lo
	s_xor_b32 s3, exec_lo, s3
; %bb.90:
	v_bfe_u32 v4, v132, 16, 1
	s_delay_alu instid0(VALU_DEP_1)
	v_add3_u32 v4, v132, v4, 0x7fff
; %bb.91:
	s_and_not1_saveexec_b32 s3, s3
; %bb.92:
	v_and_b32_e32 v4, 0xffff, v132
	v_or_b32_e32 v5, 0x10000, v132
	s_delay_alu instid0(VALU_DEP_2) | instskip(NEXT) | instid1(VALU_DEP_2)
	v_cmp_eq_u32_e32 vcc_lo, 0, v4
	v_cndmask_b32_e32 v4, v5, v132, vcc_lo
; %bb.93:
	s_or_b32 exec_lo, exec_lo, s3
	v_and_b32_e32 v5, 0x7f800000, v133
	s_delay_alu instid0(VALU_DEP_1) | instskip(SKIP_1) | instid1(SALU_CYCLE_1)
	v_cmp_ne_u32_e32 vcc_lo, 0x7f800000, v5
                                        ; implicit-def: $vgpr5
	s_and_saveexec_b32 s3, vcc_lo
	s_xor_b32 s3, exec_lo, s3
; %bb.94:
	v_bfe_u32 v5, v133, 16, 1
	s_delay_alu instid0(VALU_DEP_1)
	v_add3_u32 v5, v133, v5, 0x7fff
; %bb.95:
	s_and_not1_saveexec_b32 s3, s3
; %bb.96:
	v_and_b32_e32 v5, 0xffff, v133
	v_or_b32_e32 v6, 0x10000, v133
	s_delay_alu instid0(VALU_DEP_2) | instskip(NEXT) | instid1(VALU_DEP_2)
	v_cmp_eq_u32_e32 vcc_lo, 0, v5
	v_cndmask_b32_e32 v5, v6, v133, vcc_lo
; %bb.97:
	s_or_b32 exec_lo, exec_lo, s3
	v_and_b32_e32 v6, 0x7f800000, v134
	s_delay_alu instid0(VALU_DEP_1) | instskip(SKIP_1) | instid1(SALU_CYCLE_1)
	v_cmp_ne_u32_e32 vcc_lo, 0x7f800000, v6
                                        ; implicit-def: $vgpr6
	s_and_saveexec_b32 s3, vcc_lo
	s_xor_b32 s3, exec_lo, s3
; %bb.98:
	v_bfe_u32 v6, v134, 16, 1
	s_delay_alu instid0(VALU_DEP_1)
	v_add3_u32 v6, v134, v6, 0x7fff
; %bb.99:
	s_and_not1_saveexec_b32 s3, s3
; %bb.100:
	v_and_b32_e32 v6, 0xffff, v134
	v_or_b32_e32 v7, 0x10000, v134
	s_delay_alu instid0(VALU_DEP_2) | instskip(NEXT) | instid1(VALU_DEP_2)
	v_cmp_eq_u32_e32 vcc_lo, 0, v6
	v_cndmask_b32_e32 v6, v7, v134, vcc_lo
; %bb.101:
	s_or_b32 exec_lo, exec_lo, s3
	v_and_b32_e32 v7, 0x7f800000, v135
	s_delay_alu instid0(VALU_DEP_1) | instskip(SKIP_1) | instid1(SALU_CYCLE_1)
	v_cmp_ne_u32_e32 vcc_lo, 0x7f800000, v7
                                        ; implicit-def: $vgpr7
	s_and_saveexec_b32 s3, vcc_lo
	s_xor_b32 s3, exec_lo, s3
; %bb.102:
	v_bfe_u32 v7, v135, 16, 1
	s_delay_alu instid0(VALU_DEP_1)
	v_add3_u32 v7, v135, v7, 0x7fff
; %bb.103:
	s_and_not1_saveexec_b32 s3, s3
; %bb.104:
	v_and_b32_e32 v7, 0xffff, v135
	v_or_b32_e32 v8, 0x10000, v135
	s_delay_alu instid0(VALU_DEP_2) | instskip(NEXT) | instid1(VALU_DEP_2)
	v_cmp_eq_u32_e32 vcc_lo, 0, v7
	v_cndmask_b32_e32 v7, v8, v135, vcc_lo
; %bb.105:
	s_or_b32 exec_lo, exec_lo, s3
	v_and_b32_e32 v8, 0x7f800000, v136
	s_delay_alu instid0(VALU_DEP_1) | instskip(SKIP_1) | instid1(SALU_CYCLE_1)
	v_cmp_ne_u32_e32 vcc_lo, 0x7f800000, v8
                                        ; implicit-def: $vgpr8
	s_and_saveexec_b32 s3, vcc_lo
	s_xor_b32 s3, exec_lo, s3
; %bb.106:
	v_bfe_u32 v8, v136, 16, 1
	s_delay_alu instid0(VALU_DEP_1)
	v_add3_u32 v8, v136, v8, 0x7fff
                                        ; implicit-def: $vgpr129_vgpr130_vgpr131_vgpr132_vgpr133_vgpr134_vgpr135_vgpr136
; %bb.107:
	s_and_not1_saveexec_b32 s3, s3
; %bb.108:
	v_and_b32_e32 v8, 0xffff, v136
	v_or_b32_e32 v9, 0x10000, v136
	s_delay_alu instid0(VALU_DEP_2) | instskip(NEXT) | instid1(VALU_DEP_2)
	v_cmp_eq_u32_e32 vcc_lo, 0, v8
	v_cndmask_b32_e32 v8, v9, v136, vcc_lo
; %bb.109:
	s_or_b32 exec_lo, exec_lo, s3
	s_delay_alu instid0(VALU_DEP_1)
	v_perm_b32 v7, v8, v7, 0x7060302
	v_perm_b32 v6, v6, v5, 0x7060302
	;; [unrolled: 1-line block ×4, first 2 shown]
	v_lshl_or_b32 v9, v146, 4, v142
	s_barrier
	buffer_gl0_inv
	v_cmp_eq_u32_e32 vcc_lo, 1, v138
	ds_store_b128 v9, v[4:7]
	s_waitcnt lgkmcnt(0)
	s_barrier
	buffer_gl0_inv
	ds_load_b128 v[1:4], v142
	ds_load_b128 v[5:8], v142 offset:16
	v_cmp_eq_u32_e64 s4, 2, v138
	v_cmp_eq_u32_e64 s3, 1, v139
	;; [unrolled: 1-line block ×5, first 2 shown]
	s_xor_b32 s2, s2, -1
	s_waitcnt lgkmcnt(1)
	v_lshrrev_b32_e32 v10, 16, v1
	s_waitcnt lgkmcnt(0)
	v_lshrrev_b32_e32 v14, 16, v5
	v_lshrrev_b32_e32 v15, 16, v6
	;; [unrolled: 1-line block ×4, first 2 shown]
	v_cndmask_b32_e64 v20, v1, v10, s3
	v_cndmask_b32_e32 v19, v5, v14, vcc_lo
	v_cndmask_b32_e64 v21, v5, v14, s3
	v_lshrrev_b32_e32 v16, 16, v7
	v_cmp_eq_u32_e64 s3, 1, v137
	v_lshrrev_b32_e32 v13, 16, v4
	v_cndmask_b32_e64 v19, v19, v6, s4
	v_lshrrev_b32_e32 v17, 16, v8
	s_delay_alu instid0(VALU_DEP_4) | instskip(SKIP_1) | instid1(VALU_DEP_4)
	v_cndmask_b32_e64 v22, v1, v10, s3
	v_cndmask_b32_e64 v23, v5, v14, s3
	;; [unrolled: 1-line block ×3, first 2 shown]
	v_cndmask_b32_e32 v18, v1, v10, vcc_lo
	v_cmp_eq_u32_e32 vcc_lo, 2, v139
	v_cmp_eq_u32_e64 s3, 2, v140
	v_cndmask_b32_e64 v22, v22, v2, s7
	v_cndmask_b32_e32 v20, v20, v2, vcc_lo
	v_cndmask_b32_e32 v21, v21, v6, vcc_lo
	v_cmp_eq_u32_e32 vcc_lo, 4, v138
	v_cndmask_b32_e32 v19, v19, v7, vcc_lo
	v_cndmask_b32_e64 v18, v18, v2, s4
	v_cmp_eq_u32_e64 s4, 3, v139
	s_delay_alu instid0(VALU_DEP_2) | instskip(NEXT) | instid1(VALU_DEP_2)
	v_cndmask_b32_e64 v18, v18, v11, s5
	v_cndmask_b32_e64 v21, v21, v15, s4
	v_cmp_eq_u32_e64 s5, 5, v138
	s_delay_alu instid0(VALU_DEP_3) | instskip(SKIP_1) | instid1(VALU_DEP_3)
	v_cndmask_b32_e32 v18, v18, v3, vcc_lo
	v_cmp_eq_u32_e32 vcc_lo, 4, v139
	v_cndmask_b32_e64 v19, v19, v16, s5
	s_delay_alu instid0(VALU_DEP_3) | instskip(SKIP_4) | instid1(VALU_DEP_3)
	v_cndmask_b32_e64 v18, v18, v12, s5
	v_cndmask_b32_e32 v21, v21, v7, vcc_lo
	v_cndmask_b32_e64 v20, v20, v11, s4
	v_cmp_eq_u32_e64 s4, 5, v139
	v_cmp_eq_u32_e64 s5, 6, v138
	v_cndmask_b32_e32 v20, v20, v3, vcc_lo
	s_delay_alu instid0(VALU_DEP_3) | instskip(SKIP_1) | instid1(VALU_DEP_4)
	v_cndmask_b32_e64 v21, v21, v16, s4
	v_cmp_eq_u32_e32 vcc_lo, 6, v139
	v_cndmask_b32_e64 v18, v18, v4, s5
	v_cndmask_b32_e64 v19, v19, v8, s5
	;; [unrolled: 1-line block ×3, first 2 shown]
	v_cmp_eq_u32_e64 s4, 1, v140
	v_cmp_eq_u32_e64 s5, 7, v138
	s_delay_alu instid0(VALU_DEP_3) | instskip(NEXT) | instid1(VALU_DEP_3)
	v_cndmask_b32_e32 v20, v20, v4, vcc_lo
	v_cndmask_b32_e64 v1, v1, v10, s4
	v_cndmask_b32_e64 v5, v5, v14, s4
	v_cmp_eq_u32_e64 s4, 3, v137
	v_cndmask_b32_e64 v14, v23, v6, s7
	v_cmp_eq_u32_e64 s7, 3, v140
	v_cndmask_b32_e64 v1, v1, v2, s3
	v_cndmask_b32_e64 v2, v5, v6, s3
	;; [unrolled: 1-line block ×3, first 2 shown]
	v_cmp_eq_u32_e64 s3, 4, v137
	v_cndmask_b32_e64 v6, v14, v15, s4
	v_cndmask_b32_e64 v1, v1, v11, s7
	v_cmp_eq_u32_e64 s4, 4, v140
	v_cndmask_b32_e64 v2, v2, v15, s7
	v_cndmask_b32_e64 v5, v10, v3, s3
	;; [unrolled: 3-line block ×3, first 2 shown]
	v_cndmask_b32_e64 v2, v2, v7, s4
	v_cmp_eq_u32_e64 s3, 5, v140
	v_cndmask_b32_e64 v5, v5, v12, s7
	v_cmp_eq_u32_e64 s4, 6, v137
	;; [unrolled: 2-line block ×3, first 2 shown]
	v_cndmask_b32_e64 v1, v1, v12, s3
	v_cndmask_b32_e64 v2, v2, v16, s3
	;; [unrolled: 1-line block ×4, first 2 shown]
	v_cmp_eq_u32_e64 s3, 7, v140
	v_cndmask_b32_e64 v1, v1, v4, s7
	v_cndmask_b32_e64 v2, v2, v8, s7
	v_cmp_eq_u32_e64 s4, 7, v137
	v_cndmask_b32_e32 v4, v21, v8, vcc_lo
	v_cndmask_b32_e64 v18, v18, v13, s5
	v_cndmask_b32_e64 v20, v20, v13, s6
	v_cndmask_b32_e64 v1, v1, v13, s3
	v_cndmask_b32_e64 v5, v5, v13, s4
	v_cndmask_b32_e64 v2, v2, v17, s3
	v_cndmask_b32_e64 v3, v3, v17, s4
	v_cndmask_b32_e64 v6, v4, v17, s6
	v_cndmask_b32_e64 v7, v19, v17, s5
	v_cmp_gt_u32_e32 vcc_lo, 32, v0
	v_perm_b32 v4, v2, v1, 0x5040100
	v_perm_b32 v3, v3, v5, 0x5040100
	;; [unrolled: 1-line block ×4, first 2 shown]
	s_and_b32 s2, vcc_lo, s2
	ds_store_b128 v9, v[1:4]
	s_waitcnt lgkmcnt(0)
	s_barrier
	buffer_gl0_inv
	s_and_saveexec_b32 s3, s2
	s_cbranch_execz .LBB658_2
; %bb.110:
	s_load_b64 s[0:1], s[0:1], 0x68
	v_lshlrev_b32_e32 v1, 10, v0
	v_and_b32_e32 v0, 1, v0
	v_lshlrev_b32_e32 v2, 6, v146
	s_lshl_b32 s4, s36, 7
	v_lshlrev_b32_e32 v4, 4, v145
	v_and_b32_e32 v1, 0x3800, v1
	v_lshlrev_b32_e32 v0, 4, v0
	s_mul_i32 s2, s4, s34
	s_delay_alu instid0(SALU_CYCLE_1) | instskip(NEXT) | instid1(VALU_DEP_1)
	s_mul_i32 s2, s2, s37
	v_or3_b32 v0, v1, v2, v0
	s_ashr_i32 s3, s2, 31
	s_delay_alu instid0(SALU_CYCLE_1)
	s_lshl_b64 s[2:3], s[2:3], 1
	ds_load_b128 v[0:3], v0
	s_waitcnt lgkmcnt(0)
	s_add_u32 s5, s0, s2
	s_addc_u32 s3, s1, s3
	s_lshl_b32 s0, s14, 7
	s_mul_i32 s2, s4, s15
	s_ashr_i32 s1, s0, 31
	s_delay_alu instid0(SALU_CYCLE_1) | instskip(NEXT) | instid1(SALU_CYCLE_1)
	s_lshl_b64 s[0:1], s[0:1], 1
	s_add_u32 s4, s5, s0
	s_addc_u32 s5, s3, s1
	s_ashr_i32 s3, s2, 31
	s_delay_alu instid0(SALU_CYCLE_1) | instskip(NEXT) | instid1(SALU_CYCLE_1)
	s_lshl_b64 s[0:1], s[2:3], 1
	s_add_u32 s0, s4, s0
	s_addc_u32 s1, s5, s1
	global_store_b128 v4, v[0:3], s[0:1]
	s_nop 0
	s_sendmsg sendmsg(MSG_DEALLOC_VGPRS)
	s_endpgm
	.section	.rodata,"a",@progbits
	.p2align	6, 0x0
	.amdhsa_kernel _Z39paged_attention_ll4mi_QKV_mfma16_kernelI14__hip_bfloat16S0_LN4vllm18Fp8KVCacheDataTypeE0ES0_Li16ELi128ELi256ELb1ELi1EL8MFMAType0EEvPKT_PKT0_S9_ifPKiSB_SB_iPKfiiiPfSE_PS4_PT2_iSD_SD_
		.amdhsa_group_segment_fixed_size 17472
		.amdhsa_private_segment_fixed_size 0
		.amdhsa_kernarg_size 400
		.amdhsa_user_sgpr_count 13
		.amdhsa_user_sgpr_dispatch_ptr 0
		.amdhsa_user_sgpr_queue_ptr 0
		.amdhsa_user_sgpr_kernarg_segment_ptr 1
		.amdhsa_user_sgpr_dispatch_id 0
		.amdhsa_user_sgpr_private_segment_size 0
		.amdhsa_wavefront_size32 1
		.amdhsa_uses_dynamic_stack 0
		.amdhsa_enable_private_segment 0
		.amdhsa_system_sgpr_workgroup_id_x 1
		.amdhsa_system_sgpr_workgroup_id_y 1
		.amdhsa_system_sgpr_workgroup_id_z 1
		.amdhsa_system_sgpr_workgroup_info 0
		.amdhsa_system_vgpr_workitem_id 0
		.amdhsa_next_free_vgpr 201
		.amdhsa_next_free_sgpr 98
		.amdhsa_reserve_vcc 1
		.amdhsa_float_round_mode_32 0
		.amdhsa_float_round_mode_16_64 0
		.amdhsa_float_denorm_mode_32 3
		.amdhsa_float_denorm_mode_16_64 3
		.amdhsa_dx10_clamp 1
		.amdhsa_ieee_mode 1
		.amdhsa_fp16_overflow 0
		.amdhsa_workgroup_processor_mode 1
		.amdhsa_memory_ordered 1
		.amdhsa_forward_progress 0
		.amdhsa_shared_vgpr_count 0
		.amdhsa_exception_fp_ieee_invalid_op 0
		.amdhsa_exception_fp_denorm_src 0
		.amdhsa_exception_fp_ieee_div_zero 0
		.amdhsa_exception_fp_ieee_overflow 0
		.amdhsa_exception_fp_ieee_underflow 0
		.amdhsa_exception_fp_ieee_inexact 0
		.amdhsa_exception_int_div_zero 0
	.end_amdhsa_kernel
	.section	.text._Z39paged_attention_ll4mi_QKV_mfma16_kernelI14__hip_bfloat16S0_LN4vllm18Fp8KVCacheDataTypeE0ES0_Li16ELi128ELi256ELb1ELi1EL8MFMAType0EEvPKT_PKT0_S9_ifPKiSB_SB_iPKfiiiPfSE_PS4_PT2_iSD_SD_,"axG",@progbits,_Z39paged_attention_ll4mi_QKV_mfma16_kernelI14__hip_bfloat16S0_LN4vllm18Fp8KVCacheDataTypeE0ES0_Li16ELi128ELi256ELb1ELi1EL8MFMAType0EEvPKT_PKT0_S9_ifPKiSB_SB_iPKfiiiPfSE_PS4_PT2_iSD_SD_,comdat
.Lfunc_end658:
	.size	_Z39paged_attention_ll4mi_QKV_mfma16_kernelI14__hip_bfloat16S0_LN4vllm18Fp8KVCacheDataTypeE0ES0_Li16ELi128ELi256ELb1ELi1EL8MFMAType0EEvPKT_PKT0_S9_ifPKiSB_SB_iPKfiiiPfSE_PS4_PT2_iSD_SD_, .Lfunc_end658-_Z39paged_attention_ll4mi_QKV_mfma16_kernelI14__hip_bfloat16S0_LN4vllm18Fp8KVCacheDataTypeE0ES0_Li16ELi128ELi256ELb1ELi1EL8MFMAType0EEvPKT_PKT0_S9_ifPKiSB_SB_iPKfiiiPfSE_PS4_PT2_iSD_SD_
                                        ; -- End function
	.section	.AMDGPU.csdata,"",@progbits
; Kernel info:
; codeLenInByte = 10048
; NumSgprs: 100
; NumVgprs: 201
; ScratchSize: 0
; MemoryBound: 1
; FloatMode: 240
; IeeeMode: 1
; LDSByteSize: 17472 bytes/workgroup (compile time only)
; SGPRBlocks: 12
; VGPRBlocks: 25
; NumSGPRsForWavesPerEU: 100
; NumVGPRsForWavesPerEU: 201
; Occupancy: 7
; WaveLimiterHint : 1
; COMPUTE_PGM_RSRC2:SCRATCH_EN: 0
; COMPUTE_PGM_RSRC2:USER_SGPR: 13
; COMPUTE_PGM_RSRC2:TRAP_HANDLER: 0
; COMPUTE_PGM_RSRC2:TGID_X_EN: 1
; COMPUTE_PGM_RSRC2:TGID_Y_EN: 1
; COMPUTE_PGM_RSRC2:TGID_Z_EN: 1
; COMPUTE_PGM_RSRC2:TIDIG_COMP_CNT: 0
	.section	.text._Z39paged_attention_ll4mi_QKV_mfma16_kernelI14__hip_bfloat16S0_LN4vllm18Fp8KVCacheDataTypeE0ES0_Li16ELi128ELi256ELb1ELi2EL8MFMAType0EEvPKT_PKT0_S9_ifPKiSB_SB_iPKfiiiPfSE_PS4_PT2_iSD_SD_,"axG",@progbits,_Z39paged_attention_ll4mi_QKV_mfma16_kernelI14__hip_bfloat16S0_LN4vllm18Fp8KVCacheDataTypeE0ES0_Li16ELi128ELi256ELb1ELi2EL8MFMAType0EEvPKT_PKT0_S9_ifPKiSB_SB_iPKfiiiPfSE_PS4_PT2_iSD_SD_,comdat
	.protected	_Z39paged_attention_ll4mi_QKV_mfma16_kernelI14__hip_bfloat16S0_LN4vllm18Fp8KVCacheDataTypeE0ES0_Li16ELi128ELi256ELb1ELi2EL8MFMAType0EEvPKT_PKT0_S9_ifPKiSB_SB_iPKfiiiPfSE_PS4_PT2_iSD_SD_ ; -- Begin function _Z39paged_attention_ll4mi_QKV_mfma16_kernelI14__hip_bfloat16S0_LN4vllm18Fp8KVCacheDataTypeE0ES0_Li16ELi128ELi256ELb1ELi2EL8MFMAType0EEvPKT_PKT0_S9_ifPKiSB_SB_iPKfiiiPfSE_PS4_PT2_iSD_SD_
	.globl	_Z39paged_attention_ll4mi_QKV_mfma16_kernelI14__hip_bfloat16S0_LN4vllm18Fp8KVCacheDataTypeE0ES0_Li16ELi128ELi256ELb1ELi2EL8MFMAType0EEvPKT_PKT0_S9_ifPKiSB_SB_iPKfiiiPfSE_PS4_PT2_iSD_SD_
	.p2align	8
	.type	_Z39paged_attention_ll4mi_QKV_mfma16_kernelI14__hip_bfloat16S0_LN4vllm18Fp8KVCacheDataTypeE0ES0_Li16ELi128ELi256ELb1ELi2EL8MFMAType0EEvPKT_PKT0_S9_ifPKiSB_SB_iPKfiiiPfSE_PS4_PT2_iSD_SD_,@function
_Z39paged_attention_ll4mi_QKV_mfma16_kernelI14__hip_bfloat16S0_LN4vllm18Fp8KVCacheDataTypeE0ES0_Li16ELi128ELi256ELb1ELi2EL8MFMAType0EEvPKT_PKT0_S9_ifPKiSB_SB_iPKfiiiPfSE_PS4_PT2_iSD_SD_: ; @_Z39paged_attention_ll4mi_QKV_mfma16_kernelI14__hip_bfloat16S0_LN4vllm18Fp8KVCacheDataTypeE0ES0_Li16ELi128ELi256ELb1ELi2EL8MFMAType0EEvPKT_PKT0_S9_ifPKiSB_SB_iPKfiiiPfSE_PS4_PT2_iSD_SD_
; %bb.0:
	s_load_b64 s[2:3], s[0:1], 0x30
	s_mov_b32 s30, s13
	s_waitcnt lgkmcnt(0)
	s_cmp_lg_u64 s[2:3], 0
	s_cselect_b32 s8, -1, 0
	s_ashr_i32 s31, s13, 31
	s_cmp_eq_u64 s[2:3], 0
	s_cbranch_scc1 .LBB659_3
; %bb.1:
	s_lshl_b64 s[4:5], s[30:31], 2
	s_delay_alu instid0(SALU_CYCLE_1) | instskip(SKIP_4) | instid1(SALU_CYCLE_1)
	s_add_u32 s4, s2, s4
	s_addc_u32 s5, s3, s5
	s_load_b64 s[4:5], s[4:5], 0x0
	s_waitcnt lgkmcnt(0)
	s_sub_i32 s4, s5, s4
	s_cmp_eq_u32 s4, 1
	s_cselect_b32 s4, -1, 0
	s_delay_alu instid0(SALU_CYCLE_1)
	s_and_not1_b32 vcc_lo, exec_lo, s4
	s_cbranch_vccz .LBB659_4
.LBB659_2:
	s_endpgm
.LBB659_3:
.LBB659_4:
	s_load_b64 s[4:5], s[0:1], 0x28
	s_lshl_b64 s[6:7], s[30:31], 2
	s_waitcnt lgkmcnt(0)
	s_add_u32 s4, s4, s6
	s_addc_u32 s5, s5, s7
	s_lshl_b32 s34, s14, 8
	s_load_b32 s33, s[4:5], 0x0
	s_waitcnt lgkmcnt(0)
	s_cmp_ge_i32 s34, s33
	s_cbranch_scc1 .LBB659_2
; %bb.5:
	s_clause 0x1
	s_load_b128 s[20:23], s[0:1], 0x8
	s_load_b64 s[4:5], s[0:1], 0x20
	s_and_not1_b32 vcc_lo, exec_lo, s8
	s_cbranch_vccnz .LBB659_7
; %bb.6:
	s_add_u32 s2, s2, s6
	s_addc_u32 s3, s3, s7
	s_load_b32 s3, s[2:3], 0x0
	s_branch .LBB659_8
.LBB659_7:
	s_mov_b32 s3, s30
.LBB659_8:
	s_load_b128 s[16:19], s[0:1], 0x48
	v_and_b32_e32 v150, 15, v0
	v_bfe_u32 v149, v0, 4, 1
	s_lshl_b32 s31, s15, 1
	v_and_b32_e32 v151, 31, v0
	v_and_b32_e32 v148, 1, v0
	v_lshlrev_b32_e32 v1, 3, v150
	v_cmp_gt_u32_e64 s2, 32, v0
	v_or_b32_e32 v147, s31, v149
	v_lshlrev_b32_e32 v146, 6, v149
	s_delay_alu instid0(VALU_DEP_4) | instskip(NEXT) | instid1(VALU_DEP_4)
	v_lshlrev_b32_e32 v145, 1, v1
	s_and_saveexec_b32 s6, s2
	s_cbranch_execz .LBB659_10
; %bb.9:
	s_load_b64 s[8:9], s[0:1], 0x0
	v_lshlrev_b32_e32 v1, 7, v147
	s_waitcnt lgkmcnt(0)
	s_mul_hi_i32 s11, s3, s16
	s_mul_i32 s10, s3, s16
	v_lshlrev_b32_e32 v5, 10, v150
	s_lshl_b64 s[10:11], s[10:11], 1
	v_ashrrev_i32_e32 v2, 31, v1
	v_lshlrev_b32_e32 v6, 10, v148
	s_delay_alu instid0(VALU_DEP_3) | instskip(NEXT) | instid1(VALU_DEP_3)
	v_and_b32_e32 v5, 0x3800, v5
	v_lshlrev_b64 v[1:2], 1, v[1:2]
	s_delay_alu instid0(VALU_DEP_2) | instskip(SKIP_2) | instid1(VALU_DEP_2)
	v_or3_b32 v5, v5, v6, v146
	s_add_u32 s3, s8, s10
	s_addc_u32 s7, s9, s11
	v_add_co_u32 v1, vcc_lo, s3, v1
	s_delay_alu instid0(VALU_DEP_3) | instskip(NEXT) | instid1(VALU_DEP_2)
	v_add_co_ci_u32_e32 v2, vcc_lo, s7, v2, vcc_lo
	v_add_co_u32 v1, vcc_lo, v1, v145
	s_delay_alu instid0(VALU_DEP_2)
	v_add_co_ci_u32_e32 v2, vcc_lo, 0, v2, vcc_lo
	global_load_b128 v[1:4], v[1:2], off
	s_waitcnt vmcnt(0)
	ds_store_b128 v5, v[1:4]
.LBB659_10:
	s_or_b32 exec_lo, exec_lo, s6
	v_and_b32_e32 v1, 0xef, v0
	s_waitcnt lgkmcnt(0)
	s_add_i32 s3, s33, 15
	s_clause 0x1
	s_load_b32 s6, s[0:1], 0x38
	s_load_b32 s35, s[0:1], 0x1c
	s_ashr_i32 s7, s3, 31
	v_add_nc_u32_e32 v1, s34, v1
	s_lshr_b32 s7, s7, 28
	s_waitcnt lgkmcnt(0)
	s_add_i32 s3, s3, s7
	s_barrier
	v_ashrrev_i32_e32 v2, 31, v1
	v_cmp_gt_i32_e32 vcc_lo, s33, v1
	s_ashr_i32 s3, s3, 4
	buffer_gl0_inv
	s_add_i32 s3, s3, -1
	v_lshrrev_b32_e32 v3, 28, v2
	v_or_b32_e32 v2, 16, v1
	v_lshlrev_b32_e32 v153, 6, v148
	v_lshrrev_b32_e32 v152, 5, v0
	v_lshlrev_b32_e32 v125, 5, v150
	v_add_nc_u32_e32 v4, v1, v3
	v_add_nc_u32_e32 v3, v2, v3
	s_mul_i32 s6, s30, s6
	s_delay_alu instid0(SALU_CYCLE_1) | instskip(NEXT) | instid1(VALU_DEP_2)
	s_ashr_i32 s7, s6, 31
	v_ashrrev_i32_e32 v4, 4, v4
	s_delay_alu instid0(VALU_DEP_2) | instskip(SKIP_1) | instid1(SALU_CYCLE_1)
	v_ashrrev_i32_e32 v3, 4, v3
	s_lshl_b64 s[6:7], s[6:7], 2
	s_add_u32 s16, s4, s6
	s_delay_alu instid0(VALU_DEP_2) | instskip(SKIP_3) | instid1(SALU_CYCLE_1)
	v_cndmask_b32_e32 v1, s3, v4, vcc_lo
	v_cmp_gt_i32_e32 vcc_lo, s33, v2
	s_addc_u32 s36, s5, s7
	s_mul_i32 s4, s15, s18
	s_ashr_i32 s5, s4, 31
	v_cndmask_b32_e32 v3, s3, v3, vcc_lo
	v_ashrrev_i32_e32 v2, 31, v1
	s_lshl_b64 s[12:13], s[4:5], 1
	s_delay_alu instid0(SALU_CYCLE_1) | instskip(NEXT) | instid1(VALU_DEP_2)
	s_add_u32 s26, s20, s12
	v_ashrrev_i32_e32 v4, 31, v3
	s_delay_alu instid0(VALU_DEP_2) | instskip(SKIP_2) | instid1(VALU_DEP_2)
	v_lshlrev_b64 v[1:2], 2, v[1:2]
	s_addc_u32 s27, s21, s13
	s_lshl_b32 s4, s14, 4
	v_lshlrev_b64 v[3:4], 2, v[3:4]
	s_ashr_i32 s5, s4, 31
	s_delay_alu instid0(VALU_DEP_2) | instskip(SKIP_1) | instid1(VALU_DEP_3)
	v_add_co_u32 v1, vcc_lo, s16, v1
	v_add_co_ci_u32_e32 v2, vcc_lo, s36, v2, vcc_lo
	v_add_co_u32 v3, vcc_lo, s16, v3
	s_delay_alu instid0(VALU_DEP_4)
	v_add_co_ci_u32_e32 v4, vcc_lo, s36, v4, vcc_lo
	s_lshl_b64 s[4:5], s[4:5], 2
	s_clause 0x1
	global_load_b32 v5, v[1:2], off
	global_load_b32 v6, v[3:4], off
	s_add_u32 s4, s16, s4
	s_addc_u32 s5, s36, s5
	s_or_b32 s6, s34, 16
	v_lshlrev_b32_e32 v3, 4, v0
	s_ashr_i32 s7, s6, 4
	s_cmp_lt_i32 s6, s33
	s_cselect_b32 s6, s7, s3
	s_delay_alu instid0(SALU_CYCLE_1) | instskip(NEXT) | instid1(SALU_CYCLE_1)
	s_ashr_i32 s7, s6, 31
	s_lshl_b64 s[6:7], s[6:7], 2
	s_delay_alu instid0(SALU_CYCLE_1) | instskip(SKIP_2) | instid1(SALU_CYCLE_1)
	s_add_u32 s6, s16, s6
	s_addc_u32 s7, s36, s7
	s_or_b32 s8, s34, 32
	s_ashr_i32 s9, s8, 4
	s_cmp_lt_i32 s8, s33
	s_cselect_b32 s8, s9, s3
	s_delay_alu instid0(SALU_CYCLE_1) | instskip(NEXT) | instid1(SALU_CYCLE_1)
	s_ashr_i32 s9, s8, 31
	s_lshl_b64 s[8:9], s[8:9], 2
	s_delay_alu instid0(SALU_CYCLE_1) | instskip(SKIP_2) | instid1(SALU_CYCLE_1)
	s_add_u32 s8, s16, s8
	s_addc_u32 s9, s36, s9
	s_or_b32 s10, s34, 48
	;; [unrolled: 10-line block ×4, first 2 shown]
	s_ashr_i32 s18, s15, 4
	s_cmp_lt_i32 s15, s33
	s_cselect_b32 s18, s18, s3
	s_delay_alu instid0(SALU_CYCLE_1) | instskip(NEXT) | instid1(SALU_CYCLE_1)
	s_ashr_i32 s19, s18, 31
	s_lshl_b64 s[18:19], s[18:19], 2
	s_delay_alu instid0(SALU_CYCLE_1)
	s_add_u32 s24, s16, s18
	s_addc_u32 s25, s36, s19
	s_clause 0x5
	s_load_b32 s37, s[4:5], 0x0
	s_load_b32 s29, s[6:7], 0x0
	;; [unrolled: 1-line block ×6, first 2 shown]
	s_waitcnt vmcnt(1)
	v_mad_i64_i32 v[1:2], null, v5, s17, 0
	v_and_b32_e32 v5, 0xf0, v3
	s_waitcnt vmcnt(0)
	v_mad_i64_i32 v[3:4], null, v6, s17, 0
	s_delay_alu instid0(VALU_DEP_2) | instskip(NEXT) | instid1(VALU_DEP_4)
	v_add_co_u32 v5, s4, s26, v5
	v_lshlrev_b64 v[1:2], 1, v[1:2]
	v_add_co_ci_u32_e64 v6, null, s27, 0, s4
	s_delay_alu instid0(VALU_DEP_4) | instskip(SKIP_1) | instid1(VALU_DEP_3)
	v_lshlrev_b64 v[3:4], 1, v[3:4]
	s_or_b32 s4, s34, 0x60
	v_add_co_u32 v121, vcc_lo, v5, v1
	s_delay_alu instid0(VALU_DEP_3) | instskip(NEXT) | instid1(VALU_DEP_3)
	v_add_co_ci_u32_e32 v122, vcc_lo, v6, v2, vcc_lo
	v_add_co_u32 v123, vcc_lo, v5, v3
	s_delay_alu instid0(VALU_DEP_4)
	v_add_co_ci_u32_e32 v124, vcc_lo, v6, v4, vcc_lo
	s_clause 0x1b
	global_load_b128 v[89:92], v[121:122], off
	global_load_b128 v[93:96], v[121:122], off offset:256
	global_load_b128 v[97:100], v[123:124], off
	global_load_b128 v[101:104], v[123:124], off offset:256
	global_load_b128 v[81:84], v[121:122], off offset:512
	;; [unrolled: 1-line block ×25, first 2 shown]
	ds_load_b128 v[105:108], v153
	ds_load_b128 v[109:112], v153 offset:1024
	ds_load_b128 v[113:116], v153 offset:2048
	;; [unrolled: 1-line block ×9, first 2 shown]
	s_clause 0x3
	global_load_b128 v[186:189], v[121:122], off offset:3584
	global_load_b128 v[190:193], v[121:122], off offset:3840
	;; [unrolled: 1-line block ×4, first 2 shown]
	s_ashr_i32 s5, s4, 4
	s_cmp_lt_i32 s4, s33
	ds_load_b128 v[202:205], v153 offset:10240
	ds_load_b128 v[206:209], v153 offset:11264
	s_cselect_b32 s4, s5, s3
	ds_load_b128 v[210:213], v153 offset:12288
	ds_load_b128 v[214:217], v153 offset:13312
	s_ashr_i32 s5, s4, 31
	s_delay_alu instid0(SALU_CYCLE_1) | instskip(NEXT) | instid1(SALU_CYCLE_1)
	s_lshl_b64 s[4:5], s[4:5], 2
	s_add_u32 s20, s16, s4
	s_addc_u32 s21, s36, s5
	s_or_b32 s4, s34, 0x70
	s_load_b32 s41, s[20:21], 0x0
	s_ashr_i32 s5, s4, 4
	s_cmp_lt_i32 s4, s33
	s_mov_b32 s4, 0
	s_cselect_b32 s6, s5, s3
	s_mov_b32 s5, s4
	s_ashr_i32 s7, s6, 31
	s_mov_b32 s9, s4
	s_lshl_b64 s[6:7], s[6:7], 2
	s_delay_alu instid0(SALU_CYCLE_1)
	s_add_u32 s24, s16, s6
	s_addc_u32 s25, s36, s7
	s_or_b32 s7, s34, 0x80
	s_load_b32 s46, s[24:25], 0x0
	s_ashr_i32 s8, s7, 4
	s_cmp_lt_i32 s7, s33
	s_mov_b32 s6, s4
	s_cselect_b32 s10, s8, s3
	s_mov_b32 s7, s4
	s_ashr_i32 s11, s10, 31
	s_mov_b32 s8, s4
	s_lshl_b64 s[26:27], s[10:11], 2
	s_mov_b32 s11, s4
	s_add_u32 s26, s16, s26
	s_addc_u32 s27, s36, s27
	s_or_b32 s38, s34, 0x90
	s_load_b32 s47, s[26:27], 0x0
	s_ashr_i32 s39, s38, 4
	s_mov_b32 s10, s4
	s_cmp_lt_i32 s38, s33
	v_dual_mov_b32 v136, s11 :: v_dual_mov_b32 v135, s10
	v_dual_mov_b32 v134, s9 :: v_dual_mov_b32 v133, s8
	;; [unrolled: 1-line block ×4, first 2 shown]
	s_cselect_b32 s4, s39, s3
	s_waitcnt lgkmcnt(0)
	s_mul_hi_i32 s7, s29, s17
	s_ashr_i32 s5, s4, 31
	s_mul_hi_i32 s11, s19, s17
	s_lshl_b64 s[4:5], s[4:5], 2
	s_delay_alu instid0(SALU_CYCLE_1)
	s_add_u32 s38, s16, s4
	s_addc_u32 s39, s36, s5
	s_or_b32 s4, s34, 0xa0
	s_load_b32 s40, s[38:39], 0x0
	s_ashr_i32 s5, s4, 4
	s_cmp_lt_i32 s4, s33
	s_mul_hi_i32 s21, s15, s17
	s_cselect_b32 s4, s5, s3
	s_mul_hi_i32 s27, s46, s17
	s_ashr_i32 s5, s4, 31
	s_mul_i32 s26, s46, s17
	s_lshl_b64 s[4:5], s[4:5], 2
	s_delay_alu instid0(SALU_CYCLE_1)
	s_add_u32 s42, s16, s4
	s_addc_u32 s43, s36, s5
	s_or_b32 s4, s34, 0xb0
	s_mul_hi_i32 s5, s37, s17
	s_ashr_i32 s6, s4, 4
	s_cmp_lt_i32 s4, s33
	s_mul_i32 s4, s37, s17
	s_cselect_b32 s8, s6, s3
	s_mul_i32 s6, s29, s17
	s_ashr_i32 s9, s8, 31
	s_load_b32 s39, s[42:43], 0x0
	s_lshl_b64 s[8:9], s[8:9], 2
	s_delay_alu instid0(SALU_CYCLE_1)
	s_add_u32 s44, s16, s8
	s_addc_u32 s45, s36, s9
	s_or_b32 s8, s34, 0xc0
	s_mul_hi_i32 s9, s28, s17
	s_ashr_i32 s10, s8, 4
	s_cmp_lt_i32 s8, s33
	s_mul_i32 s8, s28, s17
	s_cselect_b32 s28, s10, s3
	s_mul_i32 s10, s19, s17
	s_ashr_i32 s29, s28, 31
	s_mul_hi_i32 s19, s18, s17
	s_lshl_b64 s[28:29], s[28:29], 2
	s_mul_i32 s18, s18, s17
	s_add_u32 s28, s16, s28
	s_addc_u32 s29, s36, s29
	s_or_b32 s37, s34, 0xd0
	s_delay_alu instid0(SALU_CYCLE_1) | instskip(SKIP_4) | instid1(SALU_CYCLE_1)
	s_ashr_i32 s20, s37, 4
	s_cmp_lt_i32 s37, s33
	s_cselect_b32 s24, s20, s3
	s_mul_i32 s20, s15, s17
	s_ashr_i32 s25, s24, 31
	s_lshl_b64 s[24:25], s[24:25], 2
	s_delay_alu instid0(SALU_CYCLE_1)
	s_add_u32 s24, s16, s24
	s_addc_u32 s25, s36, s25
	s_or_b32 s42, s34, 0xe0
	s_clause 0x2
	s_load_b32 s38, s[44:45], 0x0
	s_load_b32 s37, s[28:29], 0x0
	;; [unrolled: 1-line block ×3, first 2 shown]
	s_ashr_i32 s43, s42, 4
	s_cmp_lt_i32 s42, s33
	s_mul_hi_i32 s29, s47, s17
	s_cselect_b32 s42, s43, s3
	s_mul_i32 s28, s47, s17
	s_ashr_i32 s43, s42, 31
	s_mul_hi_i32 s25, s41, s17
	s_lshl_b64 s[42:43], s[42:43], 2
	s_mul_i32 s24, s41, s17
	s_add_u32 s42, s16, s42
	s_addc_u32 s43, s36, s43
	s_or_b32 s46, s34, 0xf0
	s_waitcnt lgkmcnt(0)
	s_mul_hi_i32 s41, s40, s17
	s_ashr_i32 s47, s46, 4
	s_cmp_lt_i32 s46, s33
	s_mul_i32 s40, s40, s17
	s_cselect_b32 s46, s47, s3
	s_mul_hi_i32 s45, s39, s17
	s_ashr_i32 s47, s46, 31
	s_mul_hi_i32 s51, s15, s17
	s_lshl_b64 s[46:47], s[46:47], 2
	s_mul_i32 s50, s15, s17
	s_add_u32 s46, s16, s46
	s_addc_u32 s47, s36, s47
	s_add_u32 s3, s22, s12
	s_addc_u32 s15, s23, s13
	s_lshl_b64 s[4:5], s[4:5], 1
	s_lshl_b64 s[6:7], s[6:7], 1
	;; [unrolled: 1-line block ×10, first 2 shown]
	s_mul_i32 s44, s39, s17
	s_mul_hi_i32 s39, s38, s17
	s_lshl_b64 s[28:29], s[44:45], 1
	s_mul_i32 s38, s38, s17
	s_mul_hi_i32 s49, s37, s17
	s_mul_i32 s48, s37, s17
	s_lshl_b64 s[36:37], s[38:39], 1
	s_lshl_b64 s[38:39], s[48:49], 1
	s_waitcnt vmcnt(30)
	v_wmma_f32_16x16x16_bf16 v[137:144], v[89:96], v[105:112], v[129:136]
	v_lshl_or_b32 v89, v152, 9, v125
	s_waitcnt vmcnt(28)
	v_wmma_f32_16x16x16_bf16 v[129:136], v[97:104], v[105:112], v[129:136]
	s_waitcnt vmcnt(26)
	v_wmma_f32_16x16x16_bf16 v[137:144], v[81:88], v[113:120], v[137:144]
	v_add_co_u32 v228, s3, s3, v89
	s_delay_alu instid0(VALU_DEP_1) | instskip(SKIP_2) | instid1(VALU_DEP_3)
	v_add_co_ci_u32_e64 v229, null, s15, 0, s3
	s_waitcnt vmcnt(24)
	v_wmma_f32_16x16x16_bf16 v[129:136], v[73:80], v[113:120], v[129:136]
	v_add_co_u32 v89, vcc_lo, v228, s4
	s_delay_alu instid0(VALU_DEP_3)
	v_add_co_ci_u32_e32 v90, vcc_lo, s5, v229, vcc_lo
	v_add_co_u32 v81, vcc_lo, v228, s6
	v_add_co_ci_u32_e32 v82, vcc_lo, s7, v229, vcc_lo
	v_add_co_u32 v83, vcc_lo, v228, s8
	;; [unrolled: 2-line block ×7, first 2 shown]
	v_add_co_ci_u32_e32 v219, vcc_lo, s23, v229, vcc_lo
	s_clause 0x1
	s_load_b32 s3, s[42:43], 0x0
	s_load_b32 s15, s[46:47], 0x0
	v_add_co_u32 v220, vcc_lo, v228, s24
	v_add_co_ci_u32_e32 v221, vcc_lo, s25, v229, vcc_lo
	s_waitcnt vmcnt(22)
	v_wmma_f32_16x16x16_bf16 v[137:144], v[65:72], v[162:169], v[137:144]
	v_add_co_u32 v222, vcc_lo, v228, s26
	v_add_co_ci_u32_e32 v223, vcc_lo, s27, v229, vcc_lo
	v_add_co_u32 v224, vcc_lo, v228, s28
	s_waitcnt vmcnt(18)
	v_wmma_f32_16x16x16_bf16 v[137:144], v[49:56], v[170:177], v[137:144]
	v_add_co_ci_u32_e32 v225, vcc_lo, s29, v229, vcc_lo
	v_add_co_u32 v226, vcc_lo, v228, s36
	v_wmma_f32_16x16x16_bf16 v[129:136], v[57:64], v[162:169], v[129:136]
	v_add_co_ci_u32_e32 v227, vcc_lo, s37, v229, vcc_lo
	s_waitcnt vmcnt(14)
	v_wmma_f32_16x16x16_bf16 v[137:144], v[33:40], v[178:185], v[137:144]
	v_add_co_u32 v33, vcc_lo, v228, s38
	v_wmma_f32_16x16x16_bf16 v[129:136], v[41:48], v[170:177], v[129:136]
	v_add_co_ci_u32_e32 v34, vcc_lo, s39, v229, vcc_lo
	s_lshl_b64 s[4:5], s[50:51], 1
	s_clause 0x11
	global_load_b128 v[121:124], v[89:90], off
	global_load_b128 v[125:128], v[89:90], off offset:16
	global_load_b128 v[113:116], v[81:82], off
	global_load_b128 v[117:120], v[81:82], off offset:16
	global_load_b128 v[105:108], v[83:84], off
	global_load_b128 v[109:112], v[83:84], off offset:16
	global_load_b128 v[97:100], v[85:86], off
	global_load_b128 v[101:104], v[85:86], off offset:16
	global_load_b128 v[89:92], v[87:88], off
	global_load_b128 v[93:96], v[87:88], off offset:16
	global_load_b128 v[81:84], v[73:74], off
	global_load_b128 v[85:88], v[73:74], off offset:16
	global_load_b128 v[73:76], v[77:78], off
	global_load_b128 v[77:80], v[77:78], off offset:16
	global_load_b128 v[57:60], v[218:219], off
	global_load_b128 v[61:64], v[218:219], off offset:16
	global_load_b128 v[65:68], v[220:221], off
	global_load_b128 v[69:72], v[220:221], off offset:16
	s_waitcnt vmcnt(30)
	v_wmma_f32_16x16x16_bf16 v[129:136], v[17:24], v[178:185], v[129:136]
	s_clause 0x5
	global_load_b128 v[49:52], v[222:223], off
	global_load_b128 v[53:56], v[222:223], off offset:16
	global_load_b128 v[41:44], v[224:225], off
	global_load_b128 v[45:48], v[224:225], off offset:16
	global_load_b128 v[17:20], v[226:227], off
	global_load_b128 v[21:24], v[226:227], off offset:16
	s_waitcnt lgkmcnt(0)
	s_mul_hi_i32 s7, s3, s17
	s_mul_i32 s6, s3, s17
	s_waitcnt vmcnt(34)
	v_wmma_f32_16x16x16_bf16 v[137:144], v[1:8], v[202:209], v[137:144]
	s_clause 0x1
	global_load_b128 v[1:4], v[33:34], off
	global_load_b128 v[5:8], v[33:34], off offset:16
	v_add_co_u32 v33, vcc_lo, v228, s4
	v_add_co_ci_u32_e32 v34, vcc_lo, s5, v229, vcc_lo
	s_lshl_b64 s[4:5], s[6:7], 1
	s_mul_hi_i32 s7, s15, s17
	s_mul_i32 s6, s15, s17
	v_add_co_u32 v37, vcc_lo, v228, s4
	v_add_co_ci_u32_e32 v38, vcc_lo, s5, v229, vcc_lo
	s_lshl_b64 s[4:5], s[6:7], 1
	s_waitcnt vmcnt(34)
	v_wmma_f32_16x16x16_bf16 v[129:136], v[25:32], v[202:209], v[129:136]
	v_add_co_u32 v162, vcc_lo, v228, s4
	v_add_co_ci_u32_e32 v163, vcc_lo, s5, v229, vcc_lo
	s_clause 0x3
	global_load_b128 v[25:28], v[33:34], off
	global_load_b128 v[29:32], v[33:34], off offset:16
	global_load_b128 v[33:36], v[37:38], off
	global_load_b128 v[37:40], v[37:38], off offset:16
	s_waitcnt vmcnt(36)
	v_wmma_f32_16x16x16_bf16 v[137:144], v[9:16], v[210:217], v[137:144]
	s_clause 0x1
	global_load_b128 v[9:12], v[162:163], off
	global_load_b128 v[13:16], v[162:163], off offset:16
	s_waitcnt vmcnt(36)
	v_wmma_f32_16x16x16_bf16 v[129:136], v[154:161], v[210:217], v[129:136]
	ds_load_b128 v[154:157], v153 offset:14336
	ds_load_b128 v[158:161], v153 offset:15360
	v_and_b32_e32 v162, 0xe0, v0
	v_mbcnt_lo_u32_b32 v163, -1, 0
	s_waitcnt vmcnt(0) lgkmcnt(0)
	s_barrier
	buffer_gl0_inv
	v_add_nc_u32_e32 v162, s34, v162
	v_xor_b32_e32 v153, 16, v163
	s_delay_alu instid0(VALU_DEP_2) | instskip(NEXT) | instid1(VALU_DEP_2)
	v_or_b32_e32 v162, v162, v149
	v_cmp_gt_i32_e32 vcc_lo, 32, v153
	s_delay_alu instid0(VALU_DEP_2)
	v_or_b32_e32 v164, 4, v162
	v_or_b32_e32 v165, 6, v162
	;; [unrolled: 1-line block ×4, first 2 shown]
	v_wmma_f32_16x16x16_bf16 v[137:144], v[186:193], v[154:161], v[137:144]
	v_wmma_f32_16x16x16_bf16 v[129:136], v[194:201], v[154:161], v[129:136]
	v_cndmask_b32_e32 v153, v163, v153, vcc_lo
	v_or_b32_e32 v163, 2, v162
	v_cmp_gt_i32_e32 vcc_lo, s33, v162
	v_mul_f32_e32 v160, s35, v138
	v_dual_mul_f32 v178, s35, v136 :: v_dual_mul_f32 v161, s35, v137
	s_delay_alu instid0(VALU_DEP_4) | instskip(SKIP_2) | instid1(VALU_DEP_4)
	v_cmp_gt_i32_e64 s3, s33, v163
	v_dual_mul_f32 v158, s35, v140 :: v_dual_mul_f32 v159, s35, v139
	v_mul_f32_e32 v184, s35, v130
	v_cndmask_b32_e32 v161, 0xff7fffff, v161, vcc_lo
	s_delay_alu instid0(VALU_DEP_4)
	v_cndmask_b32_e64 v160, 0xff7fffff, v160, s3
	v_cmp_gt_i32_e64 s4, s33, v164
	v_cmp_gt_i32_e64 s5, s33, v165
	v_or_b32_e32 v168, 12, v162
	v_or_b32_e32 v169, 14, v162
	v_dual_mul_f32 v156, s35, v142 :: v_dual_mul_f32 v157, s35, v141
	v_mul_f32_e32 v182, s35, v132
	v_cndmask_b32_e64 v159, 0xff7fffff, v159, s4
	v_cndmask_b32_e64 v158, 0xff7fffff, v158, s5
	v_max3_f32 v160, v161, 0xff7fffff, v160
	v_cmp_gt_i32_e64 s6, s33, v166
	v_cmp_gt_i32_e64 s7, s33, v167
	v_or_b32_e32 v170, 16, v162
	v_or_b32_e32 v171, 18, v162
	v_dual_mul_f32 v154, s35, v144 :: v_dual_mul_f32 v155, s35, v143
	v_mul_f32_e32 v180, s35, v134
	v_cndmask_b32_e64 v157, 0xff7fffff, v157, s6
	v_cndmask_b32_e64 v156, 0xff7fffff, v156, s7
	v_max3_f32 v158, v160, v159, v158
	v_cmp_gt_i32_e64 s8, s33, v168
	v_cmp_gt_i32_e64 s9, s33, v169
	v_or_b32_e32 v172, 20, v162
	v_or_b32_e32 v173, 22, v162
	v_mul_f32_e32 v185, s35, v129
	v_cndmask_b32_e64 v155, 0xff7fffff, v155, s8
	v_cndmask_b32_e64 v154, 0xff7fffff, v154, s9
	v_max3_f32 v156, v158, v157, v156
	v_cmp_gt_i32_e64 s10, s33, v170
	v_cmp_gt_i32_e64 s11, s33, v171
	v_or_b32_e32 v174, 24, v162
	v_or_b32_e32 v175, 26, v162
	;; [unrolled: 8-line block ×3, first 2 shown]
	v_mul_f32_e32 v181, s35, v133
	v_cndmask_b32_e64 v155, 0xff7fffff, v183, s12
	v_cndmask_b32_e64 v156, 0xff7fffff, v182, s13
	v_max3_f32 v154, v154, v157, v158
	v_cmp_gt_i32_e64 s15, s33, v174
	v_cmp_gt_i32_e64 s16, s33, v175
	v_mul_f32_e32 v179, s35, v135
	v_cmp_gt_i32_e64 s17, s33, v176
	v_max3_f32 v154, v154, v155, v156
	v_cndmask_b32_e64 v157, 0xff7fffff, v181, s15
	v_cndmask_b32_e64 v158, 0xff7fffff, v180, s16
	v_cmp_gt_i32_e64 s18, s33, v177
	v_cndmask_b32_e64 v155, 0xff7fffff, v179, s17
	s_delay_alu instid0(VALU_DEP_3) | instskip(NEXT) | instid1(VALU_DEP_3)
	v_max3_f32 v154, v154, v157, v158
	v_cndmask_b32_e64 v156, 0xff7fffff, v178, s18
	v_lshlrev_b32_e32 v157, 2, v153
	s_delay_alu instid0(VALU_DEP_2) | instskip(SKIP_3) | instid1(VALU_DEP_1)
	v_max3_f32 v153, v154, v155, v156
	ds_bpermute_b32 v154, v157, v153
	s_waitcnt lgkmcnt(0)
	v_max_f32_e32 v154, v154, v154
	v_max_f32_e32 v156, v153, v154
	s_delay_alu instid0(VALU_DEP_1) | instskip(SKIP_4) | instid1(VALU_DEP_4)
	v_fma_f32 v137, s35, v137, -v156
	v_fma_f32 v138, s35, v138, -v156
	;; [unrolled: 1-line block ×5, first 2 shown]
	v_dual_mul_f32 v137, 0x3fb8aa3b, v137 :: v_dual_mul_f32 v138, 0x3fb8aa3b, v138
	s_delay_alu instid0(VALU_DEP_4) | instskip(SKIP_2) | instid1(VALU_DEP_4)
	v_mul_f32_e32 v132, 0x3fb8aa3b, v132
	v_fma_f32 v141, s35, v141, -v156
	v_fma_f32 v134, s35, v134, -v156
	v_exp_f32_e32 v137, v137
	v_exp_f32_e32 v138, v138
	v_mul_f32_e32 v153, 0x3fb8aa3b, v140
	v_fma_f32 v143, s35, v143, -v156
	v_mul_f32_e32 v134, 0x3fb8aa3b, v134
	v_fma_f32 v129, s35, v129, -v156
	v_fma_f32 v130, s35, v130, -v156
	v_exp_f32_e32 v153, v153
	v_mul_f32_e32 v143, 0x3fb8aa3b, v143
	v_fma_f32 v131, s35, v131, -v156
	v_cndmask_b32_e32 v140, 0, v137, vcc_lo
	v_fma_f32 v137, s35, v142, -v156
	v_mul_f32_e32 v142, 0x3fb8aa3b, v141
	v_cndmask_b32_e64 v141, 0, v138, s3
	v_exp_f32_e32 v143, v143
	v_dual_add_f32 v138, 0, v140 :: v_dual_mul_f32 v139, 0x3fb8aa3b, v139
	v_mul_f32_e32 v137, 0x3fb8aa3b, v137
	v_exp_f32_e32 v154, v142
	v_mul_f32_e32 v129, 0x3fb8aa3b, v129
	s_delay_alu instid0(VALU_DEP_3)
	v_add_f32_e32 v138, v138, v141
	v_exp_f32_e32 v139, v139
	v_exp_f32_e32 v137, v137
	v_mul_f32_e32 v130, 0x3fb8aa3b, v130
	v_exp_f32_e32 v129, v129
	v_cndmask_b32_e64 v143, 0, v143, s8
	v_mul_f32_e32 v131, 0x3fb8aa3b, v131
	v_fma_f32 v133, s35, v133, -v156
	v_exp_f32_e32 v130, v130
	v_fma_f32 v136, s35, v136, -v156
	s_mov_b32 s3, exec_lo
	v_cndmask_b32_e64 v142, 0, v139, s4
	v_fma_f32 v139, s35, v144, -v156
	v_cndmask_b32_e64 v144, 0, v153, s5
	v_cndmask_b32_e64 v153, 0, v154, s6
	;; [unrolled: 1-line block ×3, first 2 shown]
	s_delay_alu instid0(VALU_DEP_4) | instskip(NEXT) | instid1(VALU_DEP_1)
	v_dual_add_f32 v138, v138, v142 :: v_dual_mul_f32 v139, 0x3fb8aa3b, v139
	v_dual_mul_f32 v133, 0x3fb8aa3b, v133 :: v_dual_add_f32 v138, v138, v144
	s_delay_alu instid0(VALU_DEP_2) | instskip(NEXT) | instid1(VALU_DEP_1)
	v_exp_f32_e32 v139, v139
	v_add_f32_e32 v137, v138, v153
	v_exp_f32_e32 v138, v131
	v_cndmask_b32_e64 v131, 0, v129, s10
	s_delay_alu instid0(VALU_DEP_2) | instskip(SKIP_3) | instid1(VALU_DEP_1)
	v_add_f32_e32 v137, v137, v154
	s_waitcnt_depctr 0xfff
	v_cndmask_b32_e64 v155, 0, v139, s9
	v_add_f32_e32 v137, v137, v143
	v_add_f32_e32 v129, v137, v155
	v_exp_f32_e32 v137, v132
	v_cndmask_b32_e64 v132, 0, v130, s11
	v_fma_f32 v130, s35, v135, -v156
	v_exp_f32_e32 v135, v133
	v_add_f32_e32 v129, v129, v131
	v_cndmask_b32_e64 v133, 0, v138, s12
	v_exp_f32_e32 v138, v134
	s_delay_alu instid0(VALU_DEP_2) | instskip(NEXT) | instid1(TRANS32_DEP_3)
	v_dual_mul_f32 v130, 0x3fb8aa3b, v130 :: v_dual_add_f32 v129, v129, v132
	v_cndmask_b32_e64 v134, 0, v137, s13
	v_mul_f32_e32 v137, 0x3fb8aa3b, v136
	s_delay_alu instid0(VALU_DEP_3) | instskip(NEXT) | instid1(TRANS32_DEP_3)
	v_exp_f32_e32 v130, v130
	v_cndmask_b32_e64 v135, 0, v135, s15
	v_add_f32_e32 v129, v129, v133
	s_delay_alu instid0(TRANS32_DEP_2) | instskip(SKIP_1) | instid1(VALU_DEP_2)
	v_cndmask_b32_e64 v136, 0, v138, s16
	v_exp_f32_e32 v138, v137
	v_add_f32_e32 v129, v129, v134
	s_waitcnt_depctr 0xfff
	v_cndmask_b32_e64 v137, 0, v130, s17
	v_add_f32_e32 v129, v129, v135
	v_cndmask_b32_e64 v138, 0, v138, s18
	s_delay_alu instid0(VALU_DEP_2) | instskip(NEXT) | instid1(VALU_DEP_1)
	v_add_f32_e32 v129, v129, v136
	v_add_f32_e32 v129, v129, v137
	s_delay_alu instid0(VALU_DEP_1)
	v_add_f32_e32 v129, v129, v138
	ds_bpermute_b32 v130, v157, v129
	v_cmpx_gt_u32_e32 16, v151
	s_cbranch_execz .LBB659_12
; %bb.11:
	v_mul_u32_u24_e32 v139, 0x44, v152
	s_delay_alu instid0(VALU_DEP_1) | instskip(SKIP_1) | instid1(VALU_DEP_1)
	v_lshl_add_u32 v139, v150, 2, v139
	s_waitcnt lgkmcnt(0)
	v_dual_add_f32 v129, v129, v130 :: v_dual_add_nc_u32 v130, 0x4000, v139
	ds_store_2addr_b32 v130, v156, v129 offset1:136
.LBB659_12:
	s_or_b32 exec_lo, exec_lo, s3
	v_lshlrev_b32_e32 v129, 2, v150
	s_waitcnt lgkmcnt(0)
	s_barrier
	buffer_gl0_inv
	v_cmp_eq_u32_e32 vcc_lo, 1, v152
	v_add_nc_u32_e32 v139, 0x4000, v129
	v_cmp_eq_u32_e64 s3, 2, v152
	v_cmp_eq_u32_e64 s5, 7, v152
	ds_load_2addr_b32 v[156:157], v139 offset1:17
	ds_load_2addr_b32 v[158:159], v139 offset0:34 offset1:51
	ds_load_2addr_b32 v[160:161], v139 offset0:68 offset1:85
	;; [unrolled: 1-line block ×4, first 2 shown]
	s_waitcnt lgkmcnt(4)
	v_max3_f32 v129, v156, 0xff7fffff, v157
	s_waitcnt lgkmcnt(3)
	s_delay_alu instid0(VALU_DEP_1) | instskip(SKIP_1) | instid1(VALU_DEP_1)
	v_max3_f32 v129, v129, v158, v159
	s_waitcnt lgkmcnt(2)
	v_max3_f32 v129, v129, v160, v161
	s_waitcnt lgkmcnt(1)
	s_delay_alu instid0(VALU_DEP_1) | instskip(NEXT) | instid1(VALU_DEP_1)
	v_max3_f32 v129, v129, v162, v163
	v_sub_f32_e32 v151, v157, v129
	v_sub_f32_e32 v130, v156, v129
	ds_load_2addr_b32 v[156:157], v139 offset0:170 offset1:187
	v_sub_f32_e32 v160, v160, v129
	v_dual_sub_f32 v158, v158, v129 :: v_dual_mul_f32 v151, 0x3fb8aa3b, v151
	s_delay_alu instid0(VALU_DEP_2) | instskip(NEXT) | instid1(VALU_DEP_2)
	v_dual_mul_f32 v130, 0x3fb8aa3b, v130 :: v_dual_mul_f32 v169, 0x3fb8aa3b, v160
	v_mul_f32_e32 v167, 0x3fb8aa3b, v158
	s_delay_alu instid0(VALU_DEP_3) | instskip(NEXT) | instid1(VALU_DEP_2)
	v_exp_f32_e32 v151, v151
	v_exp_f32_e32 v166, v130
	v_sub_f32_e32 v130, v159, v129
	s_delay_alu instid0(VALU_DEP_2) | instskip(NEXT) | instid1(VALU_DEP_1)
	v_exp_f32_e32 v167, v167
	v_mul_f32_e32 v168, 0x3fb8aa3b, v130
	s_waitcnt lgkmcnt(1)
	s_waitcnt_depctr 0xfff
	v_fma_f32 v130, v166, v164, 0
	v_sub_f32_e32 v164, v161, v129
	s_delay_alu instid0(VALU_DEP_2) | instskip(SKIP_2) | instid1(VALU_DEP_2)
	v_dual_fmac_f32 v130, v151, v165 :: v_dual_cndmask_b32 v151, v166, v151
	v_cmp_eq_u32_e32 vcc_lo, 3, v152
	s_waitcnt lgkmcnt(0)
	v_fmac_f32_e32 v130, v167, v156
	ds_load_2addr_b32 v[158:159], v139 offset0:204 offset1:221
	ds_load_2addr_b32 v[160:161], v139 offset0:238 offset1:255
	v_sub_f32_e32 v139, v162, v129
	v_exp_f32_e32 v168, v168
	v_sub_f32_e32 v156, v163, v129
	v_mul_f32_e32 v162, 0x3fb8aa3b, v164
	v_exp_f32_e32 v164, v169
	v_cndmask_b32_e64 v151, v151, v167, s3
	v_mul_f32_e32 v139, 0x3fb8aa3b, v139
	v_cmp_eq_u32_e64 s3, 4, v152
	v_exp_f32_e32 v162, v162
	s_waitcnt lgkmcnt(0)
	s_barrier
	v_dual_fmac_f32 v130, v168, v157 :: v_dual_cndmask_b32 v151, v151, v168
	v_exp_f32_e32 v139, v139
	v_cmp_eq_u32_e32 vcc_lo, 5, v152
	buffer_gl0_inv
	v_cndmask_b32_e64 v151, v151, v164, s3
	v_mul_f32_e32 v156, 0x3fb8aa3b, v156
	v_fmac_f32_e32 v130, v164, v158
	v_cmp_eq_u32_e64 s3, 6, v152
	s_delay_alu instid0(VALU_DEP_4) | instskip(NEXT) | instid1(VALU_DEP_4)
	v_cndmask_b32_e32 v151, v151, v162, vcc_lo
	v_exp_f32_e32 v156, v156
	s_delay_alu instid0(VALU_DEP_3) | instskip(NEXT) | instid1(VALU_DEP_1)
	v_fmac_f32_e32 v130, v162, v159
	v_fmac_f32_e32 v130, v139, v160
	s_delay_alu instid0(VALU_DEP_3) | instskip(SKIP_4) | instid1(VALU_DEP_2)
	v_cndmask_b32_e64 v139, v151, v139, s3
	s_mov_b32 s3, exec_lo
	s_waitcnt_depctr 0xfff
	v_fmac_f32_e32 v130, v156, v161
	v_cndmask_b32_e64 v139, v139, v156, s5
	v_add_f32_e32 v157, 0x358637bd, v130
	s_delay_alu instid0(VALU_DEP_1) | instskip(SKIP_1) | instid1(VALU_DEP_1)
	v_div_scale_f32 v158, null, v157, v157, 1.0
	v_div_scale_f32 v161, s4, 1.0, v157, 1.0
	s_mov_b32 vcc_lo, s4
	s_delay_alu instid0(VALU_DEP_2) | instskip(SKIP_2) | instid1(VALU_DEP_1)
	v_rcp_f32_e32 v159, v158
	s_waitcnt_depctr 0xfff
	v_fma_f32 v160, -v158, v159, 1.0
	v_fmac_f32_e32 v159, v160, v159
	s_delay_alu instid0(VALU_DEP_1) | instskip(NEXT) | instid1(VALU_DEP_1)
	v_mul_f32_e32 v160, v161, v159
	v_fma_f32 v163, -v158, v160, v161
	s_delay_alu instid0(VALU_DEP_1) | instskip(NEXT) | instid1(VALU_DEP_1)
	v_fmac_f32_e32 v160, v163, v159
	v_fma_f32 v158, -v158, v160, v161
	s_delay_alu instid0(VALU_DEP_1) | instskip(NEXT) | instid1(VALU_DEP_1)
	v_div_fmas_f32 v158, v158, v159, v160
	v_div_fixup_f32 v151, v158, v157, 1.0
	s_delay_alu instid0(VALU_DEP_1) | instskip(NEXT) | instid1(VALU_DEP_1)
	v_mul_f32_e32 v139, v139, v151
	v_mul_f32_e32 v156, v139, v140
	;; [unrolled: 1-line block ×5, first 2 shown]
	s_delay_alu instid0(VALU_DEP_4) | instskip(SKIP_3) | instid1(VALU_DEP_4)
	v_dual_mul_f32 v154, v139, v153 :: v_dual_and_b32 v157, 0x7f800000, v156
	v_mul_f32_e32 v155, v139, v144
	v_mul_f32_e32 v153, v139, v142
	;; [unrolled: 1-line block ×3, first 2 shown]
                                        ; implicit-def: $vgpr141
	v_cmpx_ne_u32_e32 0x7f800000, v157
	s_xor_b32 s3, exec_lo, s3
; %bb.13:
	v_bfe_u32 v141, v156, 16, 1
	s_delay_alu instid0(VALU_DEP_1)
	v_add3_u32 v141, v156, v141, 0x7fff
                                        ; implicit-def: $vgpr156
; %bb.14:
	s_and_not1_saveexec_b32 s3, s3
; %bb.15:
	v_and_b32_e32 v141, 0xffff, v156
	v_or_b32_e32 v142, 0x10000, v156
	s_delay_alu instid0(VALU_DEP_2) | instskip(NEXT) | instid1(VALU_DEP_2)
	v_cmp_eq_u32_e32 vcc_lo, 0, v141
	v_cndmask_b32_e32 v141, v142, v156, vcc_lo
; %bb.16:
	s_or_b32 exec_lo, exec_lo, s3
	v_and_b32_e32 v142, 0x7f800000, v144
	s_delay_alu instid0(VALU_DEP_1) | instskip(SKIP_1) | instid1(SALU_CYCLE_1)
	v_cmp_ne_u32_e32 vcc_lo, 0x7f800000, v142
                                        ; implicit-def: $vgpr142
	s_and_saveexec_b32 s3, vcc_lo
	s_xor_b32 s3, exec_lo, s3
; %bb.17:
	v_bfe_u32 v142, v144, 16, 1
	s_delay_alu instid0(VALU_DEP_1)
	v_add3_u32 v142, v144, v142, 0x7fff
                                        ; implicit-def: $vgpr144
; %bb.18:
	s_and_not1_saveexec_b32 s3, s3
; %bb.19:
	v_and_b32_e32 v142, 0xffff, v144
	v_or_b32_e32 v156, 0x10000, v144
	s_delay_alu instid0(VALU_DEP_2) | instskip(NEXT) | instid1(VALU_DEP_2)
	v_cmp_eq_u32_e32 vcc_lo, 0, v142
	v_cndmask_b32_e32 v142, v156, v144, vcc_lo
; %bb.20:
	s_or_b32 exec_lo, exec_lo, s3
	v_and_b32_e32 v144, 0x7f800000, v153
	s_delay_alu instid0(VALU_DEP_1) | instskip(SKIP_1) | instid1(SALU_CYCLE_1)
	v_cmp_ne_u32_e32 vcc_lo, 0x7f800000, v144
                                        ; implicit-def: $vgpr144
	s_and_saveexec_b32 s3, vcc_lo
	s_xor_b32 s3, exec_lo, s3
; %bb.21:
	v_bfe_u32 v144, v153, 16, 1
	s_delay_alu instid0(VALU_DEP_1)
	v_add3_u32 v144, v153, v144, 0x7fff
                                        ; implicit-def: $vgpr153
; %bb.22:
	s_and_not1_saveexec_b32 s3, s3
; %bb.23:
	v_and_b32_e32 v144, 0xffff, v153
	v_or_b32_e32 v156, 0x10000, v153
	s_delay_alu instid0(VALU_DEP_2) | instskip(NEXT) | instid1(VALU_DEP_2)
	v_cmp_eq_u32_e32 vcc_lo, 0, v144
	v_cndmask_b32_e32 v144, v156, v153, vcc_lo
; %bb.24:
	s_or_b32 exec_lo, exec_lo, s3
	v_and_b32_e32 v153, 0x7f800000, v155
	s_delay_alu instid0(VALU_DEP_1) | instskip(SKIP_1) | instid1(SALU_CYCLE_1)
	v_cmp_ne_u32_e32 vcc_lo, 0x7f800000, v153
                                        ; implicit-def: $vgpr153
	s_and_saveexec_b32 s3, vcc_lo
	s_xor_b32 s3, exec_lo, s3
; %bb.25:
	v_bfe_u32 v153, v155, 16, 1
	s_delay_alu instid0(VALU_DEP_1)
	v_add3_u32 v153, v155, v153, 0x7fff
                                        ; implicit-def: $vgpr155
; %bb.26:
	s_and_not1_saveexec_b32 s3, s3
; %bb.27:
	v_and_b32_e32 v153, 0xffff, v155
	v_or_b32_e32 v156, 0x10000, v155
	s_delay_alu instid0(VALU_DEP_2) | instskip(NEXT) | instid1(VALU_DEP_2)
	v_cmp_eq_u32_e32 vcc_lo, 0, v153
	v_cndmask_b32_e32 v153, v156, v155, vcc_lo
; %bb.28:
	s_or_b32 exec_lo, exec_lo, s3
	v_and_b32_e32 v155, 0x7f800000, v154
	s_delay_alu instid0(VALU_DEP_1) | instskip(SKIP_1) | instid1(SALU_CYCLE_1)
	v_cmp_ne_u32_e32 vcc_lo, 0x7f800000, v155
                                        ; implicit-def: $vgpr155
	s_and_saveexec_b32 s3, vcc_lo
	s_xor_b32 s3, exec_lo, s3
; %bb.29:
	v_bfe_u32 v155, v154, 16, 1
	s_delay_alu instid0(VALU_DEP_1)
	v_add3_u32 v155, v154, v155, 0x7fff
                                        ; implicit-def: $vgpr154
; %bb.30:
	s_and_not1_saveexec_b32 s3, s3
; %bb.31:
	v_and_b32_e32 v155, 0xffff, v154
	v_or_b32_e32 v156, 0x10000, v154
	s_delay_alu instid0(VALU_DEP_2) | instskip(NEXT) | instid1(VALU_DEP_2)
	v_cmp_eq_u32_e32 vcc_lo, 0, v155
	v_cndmask_b32_e32 v155, v156, v154, vcc_lo
; %bb.32:
	s_or_b32 exec_lo, exec_lo, s3
	v_and_b32_e32 v154, 0x7f800000, v151
	s_delay_alu instid0(VALU_DEP_1) | instskip(SKIP_1) | instid1(SALU_CYCLE_1)
	v_cmp_ne_u32_e32 vcc_lo, 0x7f800000, v154
                                        ; implicit-def: $vgpr154
	s_and_saveexec_b32 s3, vcc_lo
	s_xor_b32 s3, exec_lo, s3
; %bb.33:
	v_bfe_u32 v154, v151, 16, 1
	s_delay_alu instid0(VALU_DEP_1)
	v_add3_u32 v154, v151, v154, 0x7fff
                                        ; implicit-def: $vgpr151
; %bb.34:
	s_and_not1_saveexec_b32 s3, s3
; %bb.35:
	v_and_b32_e32 v154, 0xffff, v151
	v_or_b32_e32 v156, 0x10000, v151
	s_delay_alu instid0(VALU_DEP_2) | instskip(NEXT) | instid1(VALU_DEP_2)
	v_cmp_eq_u32_e32 vcc_lo, 0, v154
	v_cndmask_b32_e32 v154, v156, v151, vcc_lo
; %bb.36:
	s_or_b32 exec_lo, exec_lo, s3
	v_and_b32_e32 v151, 0x7f800000, v143
	s_delay_alu instid0(VALU_DEP_1) | instskip(SKIP_1) | instid1(SALU_CYCLE_1)
	v_cmp_ne_u32_e32 vcc_lo, 0x7f800000, v151
                                        ; implicit-def: $vgpr151
	s_and_saveexec_b32 s3, vcc_lo
	s_xor_b32 s3, exec_lo, s3
; %bb.37:
	v_bfe_u32 v151, v143, 16, 1
	s_delay_alu instid0(VALU_DEP_1)
	v_add3_u32 v151, v143, v151, 0x7fff
                                        ; implicit-def: $vgpr143
; %bb.38:
	s_and_not1_saveexec_b32 s3, s3
; %bb.39:
	v_and_b32_e32 v151, 0xffff, v143
	v_or_b32_e32 v156, 0x10000, v143
	s_delay_alu instid0(VALU_DEP_2) | instskip(NEXT) | instid1(VALU_DEP_2)
	v_cmp_eq_u32_e32 vcc_lo, 0, v151
	v_cndmask_b32_e32 v151, v156, v143, vcc_lo
; %bb.40:
	s_or_b32 exec_lo, exec_lo, s3
	v_and_b32_e32 v143, 0x7f800000, v140
	s_delay_alu instid0(VALU_DEP_1) | instskip(SKIP_1) | instid1(SALU_CYCLE_1)
	v_cmp_ne_u32_e32 vcc_lo, 0x7f800000, v143
                                        ; implicit-def: $vgpr143
	s_and_saveexec_b32 s3, vcc_lo
	s_xor_b32 s3, exec_lo, s3
; %bb.41:
	v_bfe_u32 v143, v140, 16, 1
	s_delay_alu instid0(VALU_DEP_1)
	v_add3_u32 v143, v140, v143, 0x7fff
                                        ; implicit-def: $vgpr140
; %bb.42:
	s_and_not1_saveexec_b32 s3, s3
; %bb.43:
	v_and_b32_e32 v143, 0xffff, v140
	v_or_b32_e32 v156, 0x10000, v140
	s_delay_alu instid0(VALU_DEP_2) | instskip(NEXT) | instid1(VALU_DEP_2)
	v_cmp_eq_u32_e32 vcc_lo, 0, v143
	v_cndmask_b32_e32 v143, v156, v140, vcc_lo
; %bb.44:
	s_or_b32 exec_lo, exec_lo, s3
	s_load_b64 s[34:35], s[0:1], 0x94
	v_dual_mul_f32 v138, v139, v138 :: v_dual_lshlrev_b32 v157, 4, v149
	s_delay_alu instid0(VALU_DEP_2)
	v_perm_b32 v156, v143, v151, 0x7060302
	v_dual_mul_f32 v143, v139, v131 :: v_dual_lshlrev_b32 v140, 6, v150
	v_dual_mul_f32 v137, v139, v137 :: v_dual_lshlrev_b32 v150, 11, v152
	v_perm_b32 v155, v154, v155, 0x7060302
	v_perm_b32 v154, v153, v144, 0x7060302
	;; [unrolled: 1-line block ×3, first 2 shown]
	s_delay_alu instid0(VALU_DEP_4)
	v_or3_b32 v131, v157, v150, v140
	v_mul_f32_e32 v136, v139, v136
	v_dual_mul_f32 v141, v139, v134 :: v_dual_and_b32 v144, 0x7f800000, v143
	v_mul_f32_e32 v135, v139, v135
	v_mul_f32_e32 v142, v139, v133
	;; [unrolled: 1-line block ×3, first 2 shown]
	s_mov_b32 s3, exec_lo
	ds_store_b128 v131, v[153:156]
                                        ; implicit-def: $vgpr132
	v_cmpx_ne_u32_e32 0x7f800000, v144
	s_xor_b32 s3, exec_lo, s3
; %bb.45:
	v_bfe_u32 v132, v143, 16, 1
	s_delay_alu instid0(VALU_DEP_1)
	v_add3_u32 v132, v143, v132, 0x7fff
                                        ; implicit-def: $vgpr143
; %bb.46:
	s_and_not1_saveexec_b32 s3, s3
; %bb.47:
	v_and_b32_e32 v132, 0xffff, v143
	v_or_b32_e32 v133, 0x10000, v143
	s_delay_alu instid0(VALU_DEP_2) | instskip(NEXT) | instid1(VALU_DEP_2)
	v_cmp_eq_u32_e32 vcc_lo, 0, v132
	v_cndmask_b32_e32 v132, v133, v143, vcc_lo
; %bb.48:
	s_or_b32 exec_lo, exec_lo, s3
	v_and_b32_e32 v133, 0x7f800000, v134
	s_delay_alu instid0(VALU_DEP_1) | instskip(SKIP_1) | instid1(SALU_CYCLE_1)
	v_cmp_ne_u32_e32 vcc_lo, 0x7f800000, v133
                                        ; implicit-def: $vgpr133
	s_and_saveexec_b32 s3, vcc_lo
	s_xor_b32 s3, exec_lo, s3
; %bb.49:
	v_bfe_u32 v133, v134, 16, 1
	s_delay_alu instid0(VALU_DEP_1)
	v_add3_u32 v133, v134, v133, 0x7fff
                                        ; implicit-def: $vgpr134
; %bb.50:
	s_and_not1_saveexec_b32 s3, s3
; %bb.51:
	v_and_b32_e32 v133, 0xffff, v134
	v_or_b32_e32 v139, 0x10000, v134
	s_delay_alu instid0(VALU_DEP_2) | instskip(NEXT) | instid1(VALU_DEP_2)
	v_cmp_eq_u32_e32 vcc_lo, 0, v133
	v_cndmask_b32_e32 v133, v139, v134, vcc_lo
; %bb.52:
	s_or_b32 exec_lo, exec_lo, s3
	v_and_b32_e32 v134, 0x7f800000, v142
	s_delay_alu instid0(VALU_DEP_1) | instskip(SKIP_1) | instid1(SALU_CYCLE_1)
	v_cmp_ne_u32_e32 vcc_lo, 0x7f800000, v134
                                        ; implicit-def: $vgpr134
	s_and_saveexec_b32 s3, vcc_lo
	s_xor_b32 s3, exec_lo, s3
; %bb.53:
	v_bfe_u32 v134, v142, 16, 1
	s_delay_alu instid0(VALU_DEP_1)
	v_add3_u32 v134, v142, v134, 0x7fff
                                        ; implicit-def: $vgpr142
; %bb.54:
	s_and_not1_saveexec_b32 s3, s3
; %bb.55:
	v_and_b32_e32 v134, 0xffff, v142
	v_or_b32_e32 v139, 0x10000, v142
	s_delay_alu instid0(VALU_DEP_2) | instskip(NEXT) | instid1(VALU_DEP_2)
	v_cmp_eq_u32_e32 vcc_lo, 0, v134
	v_cndmask_b32_e32 v134, v139, v142, vcc_lo
; %bb.56:
	s_or_b32 exec_lo, exec_lo, s3
	v_and_b32_e32 v139, 0x7f800000, v141
	s_delay_alu instid0(VALU_DEP_1) | instskip(SKIP_1) | instid1(SALU_CYCLE_1)
	v_cmp_ne_u32_e32 vcc_lo, 0x7f800000, v139
                                        ; implicit-def: $vgpr139
	s_and_saveexec_b32 s3, vcc_lo
	s_xor_b32 s3, exec_lo, s3
; %bb.57:
	v_bfe_u32 v139, v141, 16, 1
	s_delay_alu instid0(VALU_DEP_1)
	v_add3_u32 v139, v141, v139, 0x7fff
                                        ; implicit-def: $vgpr141
; %bb.58:
	s_and_not1_saveexec_b32 s3, s3
; %bb.59:
	v_and_b32_e32 v139, 0xffff, v141
	v_or_b32_e32 v142, 0x10000, v141
	s_delay_alu instid0(VALU_DEP_2) | instskip(NEXT) | instid1(VALU_DEP_2)
	v_cmp_eq_u32_e32 vcc_lo, 0, v139
	v_cndmask_b32_e32 v139, v142, v141, vcc_lo
; %bb.60:
	s_or_b32 exec_lo, exec_lo, s3
	v_and_b32_e32 v141, 0x7f800000, v135
	s_delay_alu instid0(VALU_DEP_1) | instskip(SKIP_1) | instid1(SALU_CYCLE_1)
	v_cmp_ne_u32_e32 vcc_lo, 0x7f800000, v141
                                        ; implicit-def: $vgpr141
	s_and_saveexec_b32 s3, vcc_lo
	s_xor_b32 s3, exec_lo, s3
; %bb.61:
	v_bfe_u32 v141, v135, 16, 1
	s_delay_alu instid0(VALU_DEP_1)
	v_add3_u32 v141, v135, v141, 0x7fff
                                        ; implicit-def: $vgpr135
; %bb.62:
	s_and_not1_saveexec_b32 s3, s3
; %bb.63:
	v_and_b32_e32 v141, 0xffff, v135
	v_or_b32_e32 v142, 0x10000, v135
	s_delay_alu instid0(VALU_DEP_2) | instskip(NEXT) | instid1(VALU_DEP_2)
	v_cmp_eq_u32_e32 vcc_lo, 0, v141
	v_cndmask_b32_e32 v141, v142, v135, vcc_lo
; %bb.64:
	s_or_b32 exec_lo, exec_lo, s3
	v_and_b32_e32 v135, 0x7f800000, v136
	s_delay_alu instid0(VALU_DEP_1) | instskip(SKIP_1) | instid1(SALU_CYCLE_1)
	v_cmp_ne_u32_e32 vcc_lo, 0x7f800000, v135
                                        ; implicit-def: $vgpr135
	s_and_saveexec_b32 s3, vcc_lo
	s_xor_b32 s3, exec_lo, s3
; %bb.65:
	v_bfe_u32 v135, v136, 16, 1
	s_delay_alu instid0(VALU_DEP_1)
	v_add3_u32 v135, v136, v135, 0x7fff
                                        ; implicit-def: $vgpr136
; %bb.66:
	s_and_not1_saveexec_b32 s3, s3
; %bb.67:
	v_and_b32_e32 v135, 0xffff, v136
	v_or_b32_e32 v142, 0x10000, v136
	s_delay_alu instid0(VALU_DEP_2) | instskip(NEXT) | instid1(VALU_DEP_2)
	v_cmp_eq_u32_e32 vcc_lo, 0, v135
	v_cndmask_b32_e32 v135, v142, v136, vcc_lo
; %bb.68:
	s_or_b32 exec_lo, exec_lo, s3
	v_and_b32_e32 v136, 0x7f800000, v137
	s_delay_alu instid0(VALU_DEP_1) | instskip(SKIP_1) | instid1(SALU_CYCLE_1)
	v_cmp_ne_u32_e32 vcc_lo, 0x7f800000, v136
                                        ; implicit-def: $vgpr136
	s_and_saveexec_b32 s3, vcc_lo
	s_xor_b32 s3, exec_lo, s3
; %bb.69:
	v_bfe_u32 v136, v137, 16, 1
	s_delay_alu instid0(VALU_DEP_1)
	v_add3_u32 v136, v137, v136, 0x7fff
                                        ; implicit-def: $vgpr137
; %bb.70:
	s_and_not1_saveexec_b32 s3, s3
; %bb.71:
	v_and_b32_e32 v136, 0xffff, v137
	v_or_b32_e32 v142, 0x10000, v137
	s_delay_alu instid0(VALU_DEP_2) | instskip(NEXT) | instid1(VALU_DEP_2)
	v_cmp_eq_u32_e32 vcc_lo, 0, v136
	v_cndmask_b32_e32 v136, v142, v137, vcc_lo
; %bb.72:
	s_or_b32 exec_lo, exec_lo, s3
	v_and_b32_e32 v137, 0x7f800000, v138
	s_delay_alu instid0(VALU_DEP_1) | instskip(SKIP_1) | instid1(SALU_CYCLE_1)
	v_cmp_ne_u32_e32 vcc_lo, 0x7f800000, v137
                                        ; implicit-def: $vgpr137
	s_and_saveexec_b32 s3, vcc_lo
	s_xor_b32 s3, exec_lo, s3
; %bb.73:
	v_bfe_u32 v137, v138, 16, 1
	s_delay_alu instid0(VALU_DEP_1)
	v_add3_u32 v137, v138, v137, 0x7fff
                                        ; implicit-def: $vgpr138
; %bb.74:
	s_and_not1_saveexec_b32 s3, s3
; %bb.75:
	v_and_b32_e32 v137, 0xffff, v138
	v_or_b32_e32 v142, 0x10000, v138
	s_delay_alu instid0(VALU_DEP_2) | instskip(NEXT) | instid1(VALU_DEP_2)
	v_cmp_eq_u32_e32 vcc_lo, 0, v137
	v_cndmask_b32_e32 v137, v142, v138, vcc_lo
; %bb.76:
	s_or_b32 exec_lo, exec_lo, s3
	s_delay_alu instid0(VALU_DEP_1)
	v_perm_b32 v136, v137, v136, 0x7060302
	v_perm_b32 v135, v135, v141, 0x7060302
	;; [unrolled: 1-line block ×4, first 2 shown]
	v_lshl_or_b32 v142, v152, 11, v140
	ds_store_b128 v131, v[133:136] offset:1024
	s_waitcnt lgkmcnt(0)
	s_barrier
	buffer_gl0_inv
	ds_load_b128 v[132:135], v142
	ds_load_b128 v[150:153], v142 offset:16
	s_waitcnt lgkmcnt(1)
	v_lshrrev_b32_e32 v136, 16, v132
	v_lshlrev_b32_e32 v138, 2, v149
	s_waitcnt lgkmcnt(0)
	v_lshrrev_b32_e32 v158, 16, v150
	v_lshrrev_b32_e32 v143, 16, v133
	;; [unrolled: 1-line block ×4, first 2 shown]
	v_cmp_eq_u32_e32 vcc_lo, 1, v138
	v_lshrrev_b32_e32 v164, 16, v152
	v_lshrrev_b32_e32 v162, 16, v135
	v_lshrrev_b32_e32 v165, 16, v153
	v_cndmask_b32_e32 v141, v132, v136, vcc_lo
	v_or_b32_e32 v139, 1, v138
	v_cmp_eq_u32_e64 s4, 2, v138
	v_cndmask_b32_e32 v154, v150, v158, vcc_lo
	v_cmp_eq_u32_e64 s7, 3, v138
	v_cmp_eq_u32_e64 s9, 4, v138
	;; [unrolled: 1-line block ×3, first 2 shown]
	v_cndmask_b32_e64 v141, v141, v133, s4
	v_cmp_eq_u32_e64 s6, 2, v139
	v_cndmask_b32_e64 v154, v154, v151, s4
	v_cmp_eq_u32_e64 s8, 3, v139
	v_cndmask_b32_e64 v155, v132, v136, s3
	v_cndmask_b32_e64 v141, v141, v143, s7
	v_or_b32_e32 v137, 2, v138
	v_cndmask_b32_e64 v154, v154, v163, s7
	v_cndmask_b32_e64 v156, v150, v158, s3
	;; [unrolled: 1-line block ×4, first 2 shown]
	v_cmp_eq_u32_e64 s10, 5, v138
	v_cndmask_b32_e64 v154, v154, v152, s9
	v_cmp_eq_u32_e64 s11, 4, v139
	v_cndmask_b32_e64 v155, v155, v143, s8
	;; [unrolled: 2-line block ×3, first 2 shown]
	v_cndmask_b32_e64 v141, v141, v144, s10
	v_cmp_eq_u32_e64 s12, 6, v138
	v_cndmask_b32_e64 v155, v155, v134, s11
	v_cndmask_b32_e64 v154, v154, v164, s10
	v_cmp_eq_u32_e64 s13, 5, v139
	v_cndmask_b32_e64 v157, v132, v136, s5
	v_cndmask_b32_e64 v156, v156, v163, s8
	v_cndmask_b32_e64 v141, v141, v135, s12
	v_cmp_eq_u32_e64 s15, 7, v138
	v_cndmask_b32_e64 v155, v155, v144, s13
	v_cndmask_b32_e64 v154, v154, v153, s12
	v_cmp_eq_u32_e64 s16, 6, v139
	v_cmp_eq_u32_e64 s17, 2, v137
	v_cndmask_b32_e64 v156, v156, v152, s11
	v_cndmask_b32_e64 v166, v141, v162, s15
	;; [unrolled: 1-line block ×6, first 2 shown]
	v_cmp_eq_u32_e64 s18, 7, v139
	v_cmp_eq_u32_e64 s19, 3, v137
	;; [unrolled: 1-line block ×4, first 2 shown]
	v_cndmask_b32_e64 v154, v154, v151, s17
	v_cndmask_b32_e64 v168, v155, v162, s18
	;; [unrolled: 1-line block ×4, first 2 shown]
	v_or_b32_e32 v141, 3, v138
	v_cndmask_b32_e64 v160, v154, v163, s19
	v_cmp_eq_u32_e64 s24, 6, v137
	v_cndmask_b32_e64 v169, v155, v153, s16
	v_cndmask_b32_e64 v159, v156, v134, s20
	v_cmp_eq_u32_e64 s21, 1, v141
	ds_load_b128 v[154:157], v142 offset:1024
	v_cmp_eq_u32_e64 s23, 2, v141
	v_cmp_eq_u32_e64 s25, 3, v141
	v_cndmask_b32_e64 v170, v159, v144, s22
	v_cndmask_b32_e64 v132, v132, v136, s21
	;; [unrolled: 1-line block ×4, first 2 shown]
	ds_load_b128 v[158:161], v142 offset:1040
	v_cmp_eq_u32_e64 s26, 4, v141
	v_cndmask_b32_e64 v132, v132, v133, s23
	v_cndmask_b32_e64 v133, v136, v164, s22
	v_cndmask_b32_e64 v136, v150, v151, s23
	v_cmp_eq_u32_e64 s28, 5, v141
	v_cmp_eq_u32_e64 s27, 7, v137
	v_cndmask_b32_e64 v132, v132, v143, s25
	v_cndmask_b32_e64 v143, v170, v135, s24
	;; [unrolled: 1-line block ×3, first 2 shown]
	v_cmp_eq_u32_e64 s29, 6, v141
	v_cndmask_b32_e64 v133, v133, v153, s24
	v_cndmask_b32_e64 v132, v132, v134, s26
	s_waitcnt lgkmcnt(1)
	v_lshrrev_b32_e32 v151, 16, v154
	v_cndmask_b32_e64 v134, v136, v152, s26
	v_cndmask_b32_e64 v136, v143, v162, s27
	v_lshrrev_b32_e32 v152, 16, v155
	v_cndmask_b32_e64 v132, v132, v144, s28
	v_cndmask_b32_e64 v163, v154, v151, s3
	;; [unrolled: 1-line block ×3, first 2 shown]
	s_waitcnt lgkmcnt(0)
	v_lshrrev_b32_e32 v144, 16, v158
	v_cndmask_b32_e64 v150, v169, v165, s18
	v_cndmask_b32_e64 v132, v132, v135, s29
	v_cndmask_b32_e32 v143, v154, v151, vcc_lo
	v_cndmask_b32_e64 v134, v134, v153, s29
	v_cndmask_b32_e32 v164, v158, v144, vcc_lo
	v_cmp_eq_u32_e32 vcc_lo, 7, v141
	v_cndmask_b32_e64 v133, v133, v165, s27
	s_delay_alu instid0(VALU_DEP_3)
	v_cndmask_b32_e64 v153, v164, v159, s4
	v_cndmask_b32_e32 v132, v132, v162, vcc_lo
	v_cndmask_b32_e64 v143, v143, v155, s4
	v_lshrrev_b32_e32 v164, 16, v156
	v_cndmask_b32_e32 v134, v134, v165, vcc_lo
	v_lshrrev_b32_e32 v165, 16, v160
	s_delay_alu instid0(VALU_DEP_4) | instskip(SKIP_2) | instid1(VALU_DEP_3)
	v_cndmask_b32_e64 v135, v143, v152, s7
	v_cndmask_b32_e64 v143, v163, v155, s6
	v_lshrrev_b32_e32 v163, 16, v159
	v_cndmask_b32_e64 v135, v135, v156, s9
	s_delay_alu instid0(VALU_DEP_3) | instskip(NEXT) | instid1(VALU_DEP_3)
	v_cndmask_b32_e64 v143, v143, v152, s8
	v_cndmask_b32_e64 v153, v153, v163, s7
	s_delay_alu instid0(VALU_DEP_3) | instskip(NEXT) | instid1(VALU_DEP_3)
	v_cndmask_b32_e64 v162, v135, v164, s10
	v_cndmask_b32_e64 v143, v143, v156, s11
	s_delay_alu instid0(VALU_DEP_3)
	v_cndmask_b32_e64 v153, v153, v160, s9
	v_perm_b32 v135, v134, v132, 0x5040100
	v_perm_b32 v134, v133, v136, 0x5040100
	;; [unrolled: 1-line block ×3, first 2 shown]
	v_cndmask_b32_e64 v132, v143, v164, s13
	v_cndmask_b32_e64 v143, v162, v157, s12
	v_lshrrev_b32_e32 v162, 16, v157
	v_cndmask_b32_e64 v153, v153, v165, s10
	v_lshrrev_b32_e32 v150, 16, v161
	v_cndmask_b32_e64 v132, v132, v157, s16
	s_delay_alu instid0(VALU_DEP_4) | instskip(NEXT) | instid1(VALU_DEP_4)
	v_cndmask_b32_e64 v136, v143, v162, s15
	v_cndmask_b32_e64 v143, v153, v161, s12
	;; [unrolled: 1-line block ×3, first 2 shown]
	s_delay_alu instid0(VALU_DEP_4)
	v_cndmask_b32_e64 v168, v132, v162, s18
	v_cndmask_b32_e64 v132, v154, v151, s5
	;; [unrolled: 1-line block ×32, first 2 shown]
	v_cndmask_b32_e32 v151, v151, v162, vcc_lo
	v_cndmask_b32_e32 v152, v152, v150, vcc_lo
	v_cndmask_b32_e64 v155, v153, v150, s27
	v_cndmask_b32_e64 v144, v144, v150, s18
	v_perm_b32 v132, v167, v166, 0x5040100
	v_perm_b32 v150, v143, v136, 0x5040100
	;; [unrolled: 1-line block ×5, first 2 shown]
	s_lshl_b32 s8, s35, 1
	s_mov_b32 s3, exec_lo
	ds_store_b128 v131, v[132:135]
	ds_store_b128 v131, v[150:153] offset:1024
	v_cmpx_gt_u32_e32 2, v0
	s_cbranch_execz .LBB659_78
; %bb.77:
	v_or_b32_e32 v131, s31, v0
	s_load_b128 s[4:7], s[0:1], 0x58
	s_delay_alu instid0(VALU_DEP_1) | instskip(NEXT) | instid1(VALU_DEP_1)
	v_mad_u64_u32 v[132:133], null, s8, s30, v[131:132]
	v_mad_u64_u32 v[133:134], null, v132, s34, s[14:15]
	s_delay_alu instid0(VALU_DEP_1) | instskip(NEXT) | instid1(VALU_DEP_1)
	v_ashrrev_i32_e32 v134, 31, v133
	v_lshlrev_b64 v[131:132], 2, v[133:134]
	s_waitcnt lgkmcnt(0)
	s_delay_alu instid0(VALU_DEP_1) | instskip(NEXT) | instid1(VALU_DEP_2)
	v_add_co_u32 v133, vcc_lo, s6, v131
	v_add_co_ci_u32_e32 v134, vcc_lo, s7, v132, vcc_lo
	v_add_co_u32 v131, vcc_lo, s4, v131
	v_add_co_ci_u32_e32 v132, vcc_lo, s5, v132, vcc_lo
	global_store_b32 v[133:134], v129, off
	global_store_b32 v[131:132], v130, off
.LBB659_78:
	s_or_b32 exec_lo, exec_lo, s3
	s_waitcnt lgkmcnt(0)
	s_waitcnt_vscnt null, 0x0
	s_barrier
	buffer_gl0_inv
	ds_load_b128 v[150:153], v140
	ds_load_b128 v[154:157], v140 offset:16
	ds_load_b128 v[162:165], v140 offset:1040
	;; [unrolled: 1-line block ×3, first 2 shown]
	v_mov_b32_e32 v129, 0
	ds_load_b128 v[170:173], v140 offset:2064
	ds_load_b128 v[166:169], v140 offset:2048
	;; [unrolled: 1-line block ×6, first 2 shown]
	v_mov_b32_e32 v130, v129
	v_mov_b32_e32 v131, v129
	;; [unrolled: 1-line block ×7, first 2 shown]
	s_waitcnt lgkmcnt(8)
	s_delay_alu instid0(VALU_DEP_1)
	v_wmma_f32_16x16x16_bf16 v[129:136], v[121:128], v[150:157], v[129:136]
	ds_load_b128 v[125:128], v140 offset:5136
	ds_load_b128 v[121:124], v140 offset:5120
	s_waitcnt lgkmcnt(8)
	v_wmma_f32_16x16x16_bf16 v[129:136], v[113:120], v[158:165], v[129:136]
	ds_load_b128 v[117:120], v140 offset:6160
	ds_load_b128 v[113:116], v140 offset:6144
	s_waitcnt lgkmcnt(8)
	;; [unrolled: 4-line block ×8, first 2 shown]
	v_wmma_f32_16x16x16_bf16 v[129:136], v[65:72], v[97:104], v[129:136]
	s_waitcnt lgkmcnt(6)
	s_delay_alu instid0(VALU_DEP_1)
	v_wmma_f32_16x16x16_bf16 v[129:136], v[49:56], v[89:96], v[129:136]
	ds_load_b128 v[53:56], v140 offset:13328
	ds_load_b128 v[49:52], v140 offset:13312
	s_waitcnt lgkmcnt(6)
	v_wmma_f32_16x16x16_bf16 v[129:136], v[41:48], v[81:88], v[129:136]
	ds_load_b128 v[45:48], v140 offset:14352
	ds_load_b128 v[41:44], v140 offset:14336
	s_waitcnt lgkmcnt(6)
	v_wmma_f32_16x16x16_bf16 v[129:136], v[17:24], v[73:80], v[129:136]
	ds_load_b128 v[21:24], v140 offset:15376
	ds_load_b128 v[17:20], v140 offset:15360
	s_waitcnt lgkmcnt(6)
	v_wmma_f32_16x16x16_bf16 v[129:136], v[1:8], v[57:64], v[129:136]
	s_waitcnt lgkmcnt(4)
	s_delay_alu instid0(VALU_DEP_1) | instskip(SKIP_1) | instid1(VALU_DEP_1)
	v_wmma_f32_16x16x16_bf16 v[129:136], v[25:32], v[49:56], v[129:136]
	s_waitcnt lgkmcnt(2)
	v_wmma_f32_16x16x16_bf16 v[129:136], v[33:40], v[41:48], v[129:136]
	s_waitcnt lgkmcnt(0)
	s_delay_alu instid0(VALU_DEP_1) | instskip(NEXT) | instid1(VALU_DEP_1)
	v_wmma_f32_16x16x16_bf16 v[129:136], v[9:16], v[17:24], v[129:136]
	v_and_b32_e32 v1, 0x7f800000, v129
	s_delay_alu instid0(VALU_DEP_1) | instskip(SKIP_1) | instid1(SALU_CYCLE_1)
	v_cmp_ne_u32_e32 vcc_lo, 0x7f800000, v1
                                        ; implicit-def: $vgpr1
	s_and_saveexec_b32 s3, vcc_lo
	s_xor_b32 s3, exec_lo, s3
; %bb.79:
	v_bfe_u32 v1, v129, 16, 1
	s_delay_alu instid0(VALU_DEP_1)
	v_add3_u32 v1, v129, v1, 0x7fff
; %bb.80:
	s_and_not1_saveexec_b32 s3, s3
; %bb.81:
	v_and_b32_e32 v1, 0xffff, v129
	v_or_b32_e32 v2, 0x10000, v129
	s_delay_alu instid0(VALU_DEP_2) | instskip(NEXT) | instid1(VALU_DEP_2)
	v_cmp_eq_u32_e32 vcc_lo, 0, v1
	v_cndmask_b32_e32 v1, v2, v129, vcc_lo
; %bb.82:
	s_or_b32 exec_lo, exec_lo, s3
	v_and_b32_e32 v2, 0x7f800000, v130
	s_delay_alu instid0(VALU_DEP_1) | instskip(SKIP_1) | instid1(SALU_CYCLE_1)
	v_cmp_ne_u32_e32 vcc_lo, 0x7f800000, v2
                                        ; implicit-def: $vgpr2
	s_and_saveexec_b32 s3, vcc_lo
	s_xor_b32 s3, exec_lo, s3
; %bb.83:
	v_bfe_u32 v2, v130, 16, 1
	s_delay_alu instid0(VALU_DEP_1)
	v_add3_u32 v2, v130, v2, 0x7fff
; %bb.84:
	s_and_not1_saveexec_b32 s3, s3
; %bb.85:
	v_and_b32_e32 v2, 0xffff, v130
	v_or_b32_e32 v3, 0x10000, v130
	s_delay_alu instid0(VALU_DEP_2) | instskip(NEXT) | instid1(VALU_DEP_2)
	v_cmp_eq_u32_e32 vcc_lo, 0, v2
	v_cndmask_b32_e32 v2, v3, v130, vcc_lo
; %bb.86:
	s_or_b32 exec_lo, exec_lo, s3
	v_and_b32_e32 v3, 0x7f800000, v131
	s_delay_alu instid0(VALU_DEP_1) | instskip(SKIP_1) | instid1(SALU_CYCLE_1)
	v_cmp_ne_u32_e32 vcc_lo, 0x7f800000, v3
                                        ; implicit-def: $vgpr3
	s_and_saveexec_b32 s3, vcc_lo
	s_xor_b32 s3, exec_lo, s3
; %bb.87:
	v_bfe_u32 v3, v131, 16, 1
	s_delay_alu instid0(VALU_DEP_1)
	v_add3_u32 v3, v131, v3, 0x7fff
; %bb.88:
	s_and_not1_saveexec_b32 s3, s3
; %bb.89:
	v_and_b32_e32 v3, 0xffff, v131
	v_or_b32_e32 v4, 0x10000, v131
	s_delay_alu instid0(VALU_DEP_2) | instskip(NEXT) | instid1(VALU_DEP_2)
	v_cmp_eq_u32_e32 vcc_lo, 0, v3
	v_cndmask_b32_e32 v3, v4, v131, vcc_lo
; %bb.90:
	s_or_b32 exec_lo, exec_lo, s3
	v_and_b32_e32 v4, 0x7f800000, v132
	s_delay_alu instid0(VALU_DEP_1) | instskip(SKIP_1) | instid1(SALU_CYCLE_1)
	v_cmp_ne_u32_e32 vcc_lo, 0x7f800000, v4
                                        ; implicit-def: $vgpr4
	s_and_saveexec_b32 s3, vcc_lo
	s_xor_b32 s3, exec_lo, s3
; %bb.91:
	v_bfe_u32 v4, v132, 16, 1
	s_delay_alu instid0(VALU_DEP_1)
	v_add3_u32 v4, v132, v4, 0x7fff
; %bb.92:
	s_and_not1_saveexec_b32 s3, s3
; %bb.93:
	v_and_b32_e32 v4, 0xffff, v132
	v_or_b32_e32 v5, 0x10000, v132
	s_delay_alu instid0(VALU_DEP_2) | instskip(NEXT) | instid1(VALU_DEP_2)
	v_cmp_eq_u32_e32 vcc_lo, 0, v4
	v_cndmask_b32_e32 v4, v5, v132, vcc_lo
; %bb.94:
	s_or_b32 exec_lo, exec_lo, s3
	v_and_b32_e32 v5, 0x7f800000, v133
	s_delay_alu instid0(VALU_DEP_1) | instskip(SKIP_1) | instid1(SALU_CYCLE_1)
	v_cmp_ne_u32_e32 vcc_lo, 0x7f800000, v5
                                        ; implicit-def: $vgpr5
	s_and_saveexec_b32 s3, vcc_lo
	s_xor_b32 s3, exec_lo, s3
; %bb.95:
	v_bfe_u32 v5, v133, 16, 1
	s_delay_alu instid0(VALU_DEP_1)
	v_add3_u32 v5, v133, v5, 0x7fff
; %bb.96:
	s_and_not1_saveexec_b32 s3, s3
; %bb.97:
	v_and_b32_e32 v5, 0xffff, v133
	v_or_b32_e32 v6, 0x10000, v133
	s_delay_alu instid0(VALU_DEP_2) | instskip(NEXT) | instid1(VALU_DEP_2)
	v_cmp_eq_u32_e32 vcc_lo, 0, v5
	v_cndmask_b32_e32 v5, v6, v133, vcc_lo
; %bb.98:
	s_or_b32 exec_lo, exec_lo, s3
	v_and_b32_e32 v6, 0x7f800000, v134
	s_delay_alu instid0(VALU_DEP_1) | instskip(SKIP_1) | instid1(SALU_CYCLE_1)
	v_cmp_ne_u32_e32 vcc_lo, 0x7f800000, v6
                                        ; implicit-def: $vgpr6
	s_and_saveexec_b32 s3, vcc_lo
	s_xor_b32 s3, exec_lo, s3
; %bb.99:
	v_bfe_u32 v6, v134, 16, 1
	s_delay_alu instid0(VALU_DEP_1)
	v_add3_u32 v6, v134, v6, 0x7fff
; %bb.100:
	s_and_not1_saveexec_b32 s3, s3
; %bb.101:
	v_and_b32_e32 v6, 0xffff, v134
	v_or_b32_e32 v7, 0x10000, v134
	s_delay_alu instid0(VALU_DEP_2) | instskip(NEXT) | instid1(VALU_DEP_2)
	v_cmp_eq_u32_e32 vcc_lo, 0, v6
	v_cndmask_b32_e32 v6, v7, v134, vcc_lo
; %bb.102:
	s_or_b32 exec_lo, exec_lo, s3
	v_and_b32_e32 v7, 0x7f800000, v135
	s_delay_alu instid0(VALU_DEP_1) | instskip(SKIP_1) | instid1(SALU_CYCLE_1)
	v_cmp_ne_u32_e32 vcc_lo, 0x7f800000, v7
                                        ; implicit-def: $vgpr7
	s_and_saveexec_b32 s3, vcc_lo
	s_xor_b32 s3, exec_lo, s3
; %bb.103:
	v_bfe_u32 v7, v135, 16, 1
	s_delay_alu instid0(VALU_DEP_1)
	v_add3_u32 v7, v135, v7, 0x7fff
; %bb.104:
	s_and_not1_saveexec_b32 s3, s3
; %bb.105:
	v_and_b32_e32 v7, 0xffff, v135
	v_or_b32_e32 v8, 0x10000, v135
	s_delay_alu instid0(VALU_DEP_2) | instskip(NEXT) | instid1(VALU_DEP_2)
	v_cmp_eq_u32_e32 vcc_lo, 0, v7
	v_cndmask_b32_e32 v7, v8, v135, vcc_lo
; %bb.106:
	s_or_b32 exec_lo, exec_lo, s3
	v_and_b32_e32 v8, 0x7f800000, v136
	s_delay_alu instid0(VALU_DEP_1) | instskip(SKIP_1) | instid1(SALU_CYCLE_1)
	v_cmp_ne_u32_e32 vcc_lo, 0x7f800000, v8
                                        ; implicit-def: $vgpr8
	s_and_saveexec_b32 s3, vcc_lo
	s_xor_b32 s3, exec_lo, s3
; %bb.107:
	v_bfe_u32 v8, v136, 16, 1
	s_delay_alu instid0(VALU_DEP_1)
	v_add3_u32 v8, v136, v8, 0x7fff
                                        ; implicit-def: $vgpr129_vgpr130_vgpr131_vgpr132_vgpr133_vgpr134_vgpr135_vgpr136
; %bb.108:
	s_and_not1_saveexec_b32 s3, s3
; %bb.109:
	v_and_b32_e32 v8, 0xffff, v136
	v_or_b32_e32 v9, 0x10000, v136
	s_delay_alu instid0(VALU_DEP_2) | instskip(NEXT) | instid1(VALU_DEP_2)
	v_cmp_eq_u32_e32 vcc_lo, 0, v8
	v_cndmask_b32_e32 v8, v9, v136, vcc_lo
; %bb.110:
	s_or_b32 exec_lo, exec_lo, s3
	s_delay_alu instid0(VALU_DEP_1)
	v_perm_b32 v7, v8, v7, 0x7060302
	v_perm_b32 v6, v6, v5, 0x7060302
	v_perm_b32 v5, v4, v3, 0x7060302
	v_perm_b32 v4, v2, v1, 0x7060302
	v_lshl_or_b32 v9, v149, 4, v142
	s_barrier
	buffer_gl0_inv
	v_cmp_eq_u32_e32 vcc_lo, 1, v138
	ds_store_b128 v9, v[4:7]
	s_waitcnt lgkmcnt(0)
	s_barrier
	buffer_gl0_inv
	ds_load_b128 v[1:4], v142
	ds_load_b128 v[5:8], v142 offset:16
	v_cmp_eq_u32_e64 s4, 2, v138
	v_cmp_eq_u32_e64 s3, 1, v139
	;; [unrolled: 1-line block ×5, first 2 shown]
	s_waitcnt lgkmcnt(1)
	v_lshrrev_b32_e32 v10, 16, v1
	s_waitcnt lgkmcnt(0)
	v_lshrrev_b32_e32 v14, 16, v5
	v_lshrrev_b32_e32 v15, 16, v6
	;; [unrolled: 1-line block ×4, first 2 shown]
	v_cndmask_b32_e64 v20, v1, v10, s3
	v_cndmask_b32_e32 v19, v5, v14, vcc_lo
	v_cndmask_b32_e64 v21, v5, v14, s3
	v_lshrrev_b32_e32 v16, 16, v7
	v_cmp_eq_u32_e64 s3, 1, v137
	v_lshrrev_b32_e32 v13, 16, v4
	v_cndmask_b32_e64 v19, v19, v6, s4
	v_lshrrev_b32_e32 v17, 16, v8
	s_delay_alu instid0(VALU_DEP_4) | instskip(SKIP_1) | instid1(VALU_DEP_4)
	v_cndmask_b32_e64 v22, v1, v10, s3
	v_cndmask_b32_e64 v23, v5, v14, s3
	;; [unrolled: 1-line block ×3, first 2 shown]
	v_cndmask_b32_e32 v18, v1, v10, vcc_lo
	v_cmp_eq_u32_e32 vcc_lo, 2, v139
	v_cmp_eq_u32_e64 s3, 2, v141
	v_cndmask_b32_e64 v22, v22, v2, s7
	v_cndmask_b32_e32 v20, v20, v2, vcc_lo
	v_cndmask_b32_e32 v21, v21, v6, vcc_lo
	v_cmp_eq_u32_e32 vcc_lo, 4, v138
	v_cndmask_b32_e32 v19, v19, v7, vcc_lo
	v_cndmask_b32_e64 v18, v18, v2, s4
	v_cmp_eq_u32_e64 s4, 3, v139
	s_delay_alu instid0(VALU_DEP_2) | instskip(NEXT) | instid1(VALU_DEP_2)
	v_cndmask_b32_e64 v18, v18, v11, s5
	v_cndmask_b32_e64 v21, v21, v15, s4
	v_cmp_eq_u32_e64 s5, 5, v138
	s_delay_alu instid0(VALU_DEP_3) | instskip(SKIP_1) | instid1(VALU_DEP_3)
	v_cndmask_b32_e32 v18, v18, v3, vcc_lo
	v_cmp_eq_u32_e32 vcc_lo, 4, v139
	v_cndmask_b32_e64 v19, v19, v16, s5
	s_delay_alu instid0(VALU_DEP_3) | instskip(SKIP_4) | instid1(VALU_DEP_3)
	v_cndmask_b32_e64 v18, v18, v12, s5
	v_cndmask_b32_e32 v21, v21, v7, vcc_lo
	v_cndmask_b32_e64 v20, v20, v11, s4
	v_cmp_eq_u32_e64 s4, 5, v139
	v_cmp_eq_u32_e64 s5, 6, v138
	v_cndmask_b32_e32 v20, v20, v3, vcc_lo
	s_delay_alu instid0(VALU_DEP_3) | instskip(SKIP_1) | instid1(VALU_DEP_4)
	v_cndmask_b32_e64 v21, v21, v16, s4
	v_cmp_eq_u32_e32 vcc_lo, 6, v139
	v_cndmask_b32_e64 v18, v18, v4, s5
	v_cndmask_b32_e64 v19, v19, v8, s5
	;; [unrolled: 1-line block ×3, first 2 shown]
	v_cmp_eq_u32_e64 s4, 1, v141
	v_cmp_eq_u32_e64 s5, 7, v138
	s_delay_alu instid0(VALU_DEP_3) | instskip(NEXT) | instid1(VALU_DEP_3)
	v_cndmask_b32_e32 v20, v20, v4, vcc_lo
	v_cndmask_b32_e64 v1, v1, v10, s4
	v_cndmask_b32_e64 v5, v5, v14, s4
	v_cmp_eq_u32_e64 s4, 3, v137
	v_cndmask_b32_e64 v14, v23, v6, s7
	v_cmp_eq_u32_e64 s7, 3, v141
	v_cndmask_b32_e64 v1, v1, v2, s3
	v_cndmask_b32_e64 v2, v5, v6, s3
	v_cndmask_b32_e64 v10, v22, v11, s4
	v_cmp_eq_u32_e64 s3, 4, v137
	v_cndmask_b32_e64 v6, v14, v15, s4
	v_cndmask_b32_e64 v1, v1, v11, s7
	v_cmp_eq_u32_e64 s4, 4, v141
	v_cndmask_b32_e64 v2, v2, v15, s7
	v_cndmask_b32_e64 v5, v10, v3, s3
	;; [unrolled: 3-line block ×3, first 2 shown]
	v_cndmask_b32_e64 v2, v2, v7, s4
	v_cmp_eq_u32_e64 s3, 5, v141
	v_cndmask_b32_e64 v5, v5, v12, s7
	v_cmp_eq_u32_e64 s4, 6, v137
	;; [unrolled: 2-line block ×3, first 2 shown]
	v_cndmask_b32_e64 v1, v1, v12, s3
	v_cndmask_b32_e64 v2, v2, v16, s3
	;; [unrolled: 1-line block ×4, first 2 shown]
	v_cmp_eq_u32_e64 s3, 7, v141
	v_cndmask_b32_e64 v1, v1, v4, s7
	v_cndmask_b32_e64 v2, v2, v8, s7
	v_cmp_eq_u32_e64 s4, 7, v137
	v_cndmask_b32_e32 v4, v21, v8, vcc_lo
	v_cndmask_b32_e64 v18, v18, v13, s5
	v_cndmask_b32_e64 v20, v20, v13, s6
	;; [unrolled: 1-line block ×8, first 2 shown]
	s_delay_alu instid0(VALU_DEP_4) | instskip(NEXT) | instid1(VALU_DEP_4)
	v_perm_b32 v4, v2, v1, 0x5040100
	v_perm_b32 v3, v3, v5, 0x5040100
	s_delay_alu instid0(VALU_DEP_4) | instskip(NEXT) | instid1(VALU_DEP_4)
	v_perm_b32 v2, v6, v20, 0x5040100
	v_perm_b32 v1, v7, v18, 0x5040100
	ds_store_b128 v9, v[1:4]
	s_waitcnt lgkmcnt(0)
	s_barrier
	buffer_gl0_inv
	s_and_saveexec_b32 s3, s2
	s_cbranch_execz .LBB659_2
; %bb.111:
	s_load_b64 s[0:1], s[0:1], 0x68
	v_lshlrev_b32_e32 v0, 10, v0
	s_lshl_b32 s2, s34, 7
	v_lshlrev_b32_e32 v1, 4, v148
	v_mul_lo_u32 v4, s2, v147
	s_mul_i32 s3, s2, s30
	v_and_b32_e32 v0, 0x3800, v0
	s_mul_i32 s2, s3, s8
	s_delay_alu instid0(SALU_CYCLE_1) | instskip(NEXT) | instid1(VALU_DEP_1)
	s_ashr_i32 s3, s2, 31
	v_or3_b32 v0, v0, v146, v1
	s_lshl_b64 s[2:3], s[2:3], 1
	s_delay_alu instid0(VALU_DEP_3)
	v_ashrrev_i32_e32 v5, 31, v4
	ds_load_b128 v[0:3], v0
	v_lshlrev_b64 v[4:5], 1, v[4:5]
	s_waitcnt lgkmcnt(0)
	s_add_u32 s2, s0, s2
	s_addc_u32 s3, s1, s3
	s_lshl_b32 s0, s14, 7
	s_delay_alu instid0(SALU_CYCLE_1) | instskip(NEXT) | instid1(SALU_CYCLE_1)
	s_ashr_i32 s1, s0, 31
	s_lshl_b64 s[0:1], s[0:1], 1
	s_delay_alu instid0(SALU_CYCLE_1) | instskip(SKIP_3) | instid1(VALU_DEP_2)
	s_add_u32 s0, s2, s0
	s_addc_u32 s1, s3, s1
	v_add_co_u32 v4, vcc_lo, s0, v4
	v_add_co_ci_u32_e32 v5, vcc_lo, s1, v5, vcc_lo
	v_add_co_u32 v4, vcc_lo, v4, v145
	s_delay_alu instid0(VALU_DEP_2)
	v_add_co_ci_u32_e32 v5, vcc_lo, 0, v5, vcc_lo
	global_store_b128 v[4:5], v[0:3], off
	s_nop 0
	s_sendmsg sendmsg(MSG_DEALLOC_VGPRS)
	s_endpgm
	.section	.rodata,"a",@progbits
	.p2align	6, 0x0
	.amdhsa_kernel _Z39paged_attention_ll4mi_QKV_mfma16_kernelI14__hip_bfloat16S0_LN4vllm18Fp8KVCacheDataTypeE0ES0_Li16ELi128ELi256ELb1ELi2EL8MFMAType0EEvPKT_PKT0_S9_ifPKiSB_SB_iPKfiiiPfSE_PS4_PT2_iSD_SD_
		.amdhsa_group_segment_fixed_size 17472
		.amdhsa_private_segment_fixed_size 0
		.amdhsa_kernarg_size 400
		.amdhsa_user_sgpr_count 13
		.amdhsa_user_sgpr_dispatch_ptr 0
		.amdhsa_user_sgpr_queue_ptr 0
		.amdhsa_user_sgpr_kernarg_segment_ptr 1
		.amdhsa_user_sgpr_dispatch_id 0
		.amdhsa_user_sgpr_private_segment_size 0
		.amdhsa_wavefront_size32 1
		.amdhsa_uses_dynamic_stack 0
		.amdhsa_enable_private_segment 0
		.amdhsa_system_sgpr_workgroup_id_x 1
		.amdhsa_system_sgpr_workgroup_id_y 1
		.amdhsa_system_sgpr_workgroup_id_z 1
		.amdhsa_system_sgpr_workgroup_info 0
		.amdhsa_system_vgpr_workitem_id 0
		.amdhsa_next_free_vgpr 230
		.amdhsa_next_free_sgpr 52
		.amdhsa_reserve_vcc 1
		.amdhsa_float_round_mode_32 0
		.amdhsa_float_round_mode_16_64 0
		.amdhsa_float_denorm_mode_32 3
		.amdhsa_float_denorm_mode_16_64 3
		.amdhsa_dx10_clamp 1
		.amdhsa_ieee_mode 1
		.amdhsa_fp16_overflow 0
		.amdhsa_workgroup_processor_mode 1
		.amdhsa_memory_ordered 1
		.amdhsa_forward_progress 0
		.amdhsa_shared_vgpr_count 0
		.amdhsa_exception_fp_ieee_invalid_op 0
		.amdhsa_exception_fp_denorm_src 0
		.amdhsa_exception_fp_ieee_div_zero 0
		.amdhsa_exception_fp_ieee_overflow 0
		.amdhsa_exception_fp_ieee_underflow 0
		.amdhsa_exception_fp_ieee_inexact 0
		.amdhsa_exception_int_div_zero 0
	.end_amdhsa_kernel
	.section	.text._Z39paged_attention_ll4mi_QKV_mfma16_kernelI14__hip_bfloat16S0_LN4vllm18Fp8KVCacheDataTypeE0ES0_Li16ELi128ELi256ELb1ELi2EL8MFMAType0EEvPKT_PKT0_S9_ifPKiSB_SB_iPKfiiiPfSE_PS4_PT2_iSD_SD_,"axG",@progbits,_Z39paged_attention_ll4mi_QKV_mfma16_kernelI14__hip_bfloat16S0_LN4vllm18Fp8KVCacheDataTypeE0ES0_Li16ELi128ELi256ELb1ELi2EL8MFMAType0EEvPKT_PKT0_S9_ifPKiSB_SB_iPKfiiiPfSE_PS4_PT2_iSD_SD_,comdat
.Lfunc_end659:
	.size	_Z39paged_attention_ll4mi_QKV_mfma16_kernelI14__hip_bfloat16S0_LN4vllm18Fp8KVCacheDataTypeE0ES0_Li16ELi128ELi256ELb1ELi2EL8MFMAType0EEvPKT_PKT0_S9_ifPKiSB_SB_iPKfiiiPfSE_PS4_PT2_iSD_SD_, .Lfunc_end659-_Z39paged_attention_ll4mi_QKV_mfma16_kernelI14__hip_bfloat16S0_LN4vllm18Fp8KVCacheDataTypeE0ES0_Li16ELi128ELi256ELb1ELi2EL8MFMAType0EEvPKT_PKT0_S9_ifPKiSB_SB_iPKfiiiPfSE_PS4_PT2_iSD_SD_
                                        ; -- End function
	.section	.AMDGPU.csdata,"",@progbits
; Kernel info:
; codeLenInByte = 10052
; NumSgprs: 54
; NumVgprs: 230
; ScratchSize: 0
; MemoryBound: 0
; FloatMode: 240
; IeeeMode: 1
; LDSByteSize: 17472 bytes/workgroup (compile time only)
; SGPRBlocks: 6
; VGPRBlocks: 28
; NumSGPRsForWavesPerEU: 54
; NumVGPRsForWavesPerEU: 230
; Occupancy: 6
; WaveLimiterHint : 1
; COMPUTE_PGM_RSRC2:SCRATCH_EN: 0
; COMPUTE_PGM_RSRC2:USER_SGPR: 13
; COMPUTE_PGM_RSRC2:TRAP_HANDLER: 0
; COMPUTE_PGM_RSRC2:TGID_X_EN: 1
; COMPUTE_PGM_RSRC2:TGID_Y_EN: 1
; COMPUTE_PGM_RSRC2:TGID_Z_EN: 1
; COMPUTE_PGM_RSRC2:TIDIG_COMP_CNT: 0
	.section	.text._Z39paged_attention_ll4mi_QKV_mfma16_kernelI14__hip_bfloat16S0_LN4vllm18Fp8KVCacheDataTypeE0ES0_Li16ELi128ELi256ELb1ELi3EL8MFMAType0EEvPKT_PKT0_S9_ifPKiSB_SB_iPKfiiiPfSE_PS4_PT2_iSD_SD_,"axG",@progbits,_Z39paged_attention_ll4mi_QKV_mfma16_kernelI14__hip_bfloat16S0_LN4vllm18Fp8KVCacheDataTypeE0ES0_Li16ELi128ELi256ELb1ELi3EL8MFMAType0EEvPKT_PKT0_S9_ifPKiSB_SB_iPKfiiiPfSE_PS4_PT2_iSD_SD_,comdat
	.protected	_Z39paged_attention_ll4mi_QKV_mfma16_kernelI14__hip_bfloat16S0_LN4vllm18Fp8KVCacheDataTypeE0ES0_Li16ELi128ELi256ELb1ELi3EL8MFMAType0EEvPKT_PKT0_S9_ifPKiSB_SB_iPKfiiiPfSE_PS4_PT2_iSD_SD_ ; -- Begin function _Z39paged_attention_ll4mi_QKV_mfma16_kernelI14__hip_bfloat16S0_LN4vllm18Fp8KVCacheDataTypeE0ES0_Li16ELi128ELi256ELb1ELi3EL8MFMAType0EEvPKT_PKT0_S9_ifPKiSB_SB_iPKfiiiPfSE_PS4_PT2_iSD_SD_
	.globl	_Z39paged_attention_ll4mi_QKV_mfma16_kernelI14__hip_bfloat16S0_LN4vllm18Fp8KVCacheDataTypeE0ES0_Li16ELi128ELi256ELb1ELi3EL8MFMAType0EEvPKT_PKT0_S9_ifPKiSB_SB_iPKfiiiPfSE_PS4_PT2_iSD_SD_
	.p2align	8
	.type	_Z39paged_attention_ll4mi_QKV_mfma16_kernelI14__hip_bfloat16S0_LN4vllm18Fp8KVCacheDataTypeE0ES0_Li16ELi128ELi256ELb1ELi3EL8MFMAType0EEvPKT_PKT0_S9_ifPKiSB_SB_iPKfiiiPfSE_PS4_PT2_iSD_SD_,@function
_Z39paged_attention_ll4mi_QKV_mfma16_kernelI14__hip_bfloat16S0_LN4vllm18Fp8KVCacheDataTypeE0ES0_Li16ELi128ELi256ELb1ELi3EL8MFMAType0EEvPKT_PKT0_S9_ifPKiSB_SB_iPKfiiiPfSE_PS4_PT2_iSD_SD_: ; @_Z39paged_attention_ll4mi_QKV_mfma16_kernelI14__hip_bfloat16S0_LN4vllm18Fp8KVCacheDataTypeE0ES0_Li16ELi128ELi256ELb1ELi3EL8MFMAType0EEvPKT_PKT0_S9_ifPKiSB_SB_iPKfiiiPfSE_PS4_PT2_iSD_SD_
; %bb.0:
	s_load_b64 s[4:5], s[0:1], 0x30
	s_mov_b32 s30, s13
	s_waitcnt lgkmcnt(0)
	s_cmp_lg_u64 s[4:5], 0
	s_cselect_b32 s8, -1, 0
	s_ashr_i32 s31, s13, 31
	s_cmp_eq_u64 s[4:5], 0
	s_cbranch_scc1 .LBB660_3
; %bb.1:
	s_lshl_b64 s[2:3], s[30:31], 2
	s_delay_alu instid0(SALU_CYCLE_1) | instskip(SKIP_4) | instid1(SALU_CYCLE_1)
	s_add_u32 s2, s4, s2
	s_addc_u32 s3, s5, s3
	s_load_b64 s[2:3], s[2:3], 0x0
	s_waitcnt lgkmcnt(0)
	s_sub_i32 s2, s3, s2
	s_cmp_eq_u32 s2, 1
	s_cselect_b32 s2, -1, 0
	s_delay_alu instid0(SALU_CYCLE_1)
	s_and_not1_b32 vcc_lo, exec_lo, s2
	s_cbranch_vccz .LBB660_4
.LBB660_2:
	s_nop 0
	s_sendmsg sendmsg(MSG_DEALLOC_VGPRS)
	s_endpgm
.LBB660_3:
.LBB660_4:
	s_load_b64 s[2:3], s[0:1], 0x28
	s_lshl_b64 s[6:7], s[30:31], 2
	s_waitcnt lgkmcnt(0)
	s_add_u32 s2, s2, s6
	s_addc_u32 s3, s3, s7
	s_lshl_b32 s29, s14, 8
	s_load_b32 s28, s[2:3], 0x0
	s_waitcnt lgkmcnt(0)
	s_cmp_ge_i32 s29, s28
	s_cbranch_scc1 .LBB660_2
; %bb.5:
	s_clause 0x1
	s_load_b128 s[20:23], s[0:1], 0x8
	s_load_b64 s[2:3], s[0:1], 0x20
	s_and_not1_b32 vcc_lo, exec_lo, s8
	s_cbranch_vccnz .LBB660_7
; %bb.6:
	s_add_u32 s4, s4, s6
	s_addc_u32 s5, s5, s7
	s_load_b32 s5, s[4:5], 0x0
	s_branch .LBB660_8
.LBB660_7:
	s_mov_b32 s5, s30
.LBB660_8:
	s_load_b128 s[16:19], s[0:1], 0x48
	v_and_b32_e32 v140, 15, v0
	v_lshrrev_b32_e32 v141, 5, v0
	v_bfe_u32 v138, v0, 4, 1
	v_and_b32_e32 v142, 31, v0
	v_and_b32_e32 v139, 1, v0
	v_lshlrev_b32_e32 v2, 3, v140
	s_mul_i32 s31, s15, 3
	v_lshl_or_b32 v1, v141, 1, v138
	s_mov_b32 s4, exec_lo
	s_delay_alu instid0(VALU_DEP_2) | instskip(NEXT) | instid1(VALU_DEP_2)
	v_lshlrev_b32_e32 v137, 1, v2
	v_cmpx_gt_u32_e32 3, v1
	s_cbranch_execz .LBB660_10
; %bb.9:
	s_load_b64 s[6:7], s[0:1], 0x0
	v_add_lshl_u32 v2, v1, s31, 7
	s_waitcnt lgkmcnt(0)
	s_mul_hi_i32 s9, s5, s16
	s_mul_i32 s8, s5, s16
	v_lshlrev_b32_e32 v6, 10, v140
	s_lshl_b64 s[8:9], s[8:9], 1
	v_ashrrev_i32_e32 v3, 31, v2
	v_lshlrev_b32_e32 v1, 6, v1
	v_lshlrev_b32_e32 v7, 10, v139
	v_and_b32_e32 v6, 0x3800, v6
	s_delay_alu instid0(VALU_DEP_4) | instskip(NEXT) | instid1(VALU_DEP_2)
	v_lshlrev_b64 v[2:3], 1, v[2:3]
	v_or3_b32 v1, v6, v7, v1
	s_add_u32 s5, s6, s8
	s_addc_u32 s6, s7, s9
	s_delay_alu instid0(VALU_DEP_2) | instskip(NEXT) | instid1(VALU_DEP_3)
	v_add_co_u32 v2, vcc_lo, s5, v2
	v_add_co_ci_u32_e32 v3, vcc_lo, s6, v3, vcc_lo
	s_delay_alu instid0(VALU_DEP_2) | instskip(NEXT) | instid1(VALU_DEP_2)
	v_add_co_u32 v2, vcc_lo, v2, v137
	v_add_co_ci_u32_e32 v3, vcc_lo, 0, v3, vcc_lo
	global_load_b128 v[2:5], v[2:3], off
	s_waitcnt vmcnt(0)
	ds_store_b128 v1, v[2:5]
.LBB660_10:
	s_or_b32 exec_lo, exec_lo, s4
	v_and_b32_e32 v1, 0xef, v0
	s_waitcnt lgkmcnt(0)
	s_add_i32 s5, s28, 15
	s_clause 0x1
	s_load_b32 s4, s[0:1], 0x38
	s_load_b32 s33, s[0:1], 0x1c
	s_ashr_i32 s6, s5, 31
	v_add_nc_u32_e32 v1, s29, v1
	s_lshr_b32 s6, s6, 28
	s_waitcnt lgkmcnt(0)
	s_add_i32 s5, s5, s6
	s_barrier
	v_ashrrev_i32_e32 v2, 31, v1
	v_cmp_gt_i32_e32 vcc_lo, s28, v1
	s_ashr_i32 s16, s5, 4
	buffer_gl0_inv
	s_add_i32 s16, s16, -1
	v_lshrrev_b32_e32 v3, 28, v2
	v_or_b32_e32 v2, 16, v1
	v_mul_lo_u16 v105, 0x56, v140
	v_lshlrev_b32_e32 v106, 5, v140
	s_delay_alu instid0(VALU_DEP_4) | instskip(NEXT) | instid1(VALU_DEP_4)
	v_add_nc_u32_e32 v4, v1, v3
	v_add_nc_u32_e32 v3, v2, v3
	s_mul_i32 s4, s30, s4
	v_lshrrev_b16 v105, 8, v105
	s_ashr_i32 s5, s4, 31
	v_ashrrev_i32_e32 v4, 4, v4
	v_ashrrev_i32_e32 v3, 4, v3
	s_lshl_b64 s[4:5], s[4:5], 2
	v_mul_lo_u16 v105, v105, 3
	s_add_u32 s34, s2, s4
	v_cndmask_b32_e32 v1, s16, v4, vcc_lo
	v_cmp_gt_i32_e32 vcc_lo, s28, v2
	s_addc_u32 s35, s3, s5
	s_mul_i32 s2, s15, s18
	v_sub_nc_u16 v105, v140, v105
	v_ashrrev_i32_e32 v2, 31, v1
	v_cndmask_b32_e32 v3, s16, v3, vcc_lo
	s_ashr_i32 s3, s2, 31
	v_lshl_or_b32 v125, v141, 9, v106
	s_lshl_b64 s[2:3], s[2:3], 1
	v_lshlrev_b64 v[1:2], 2, v[1:2]
	v_ashrrev_i32_e32 v4, 31, v3
	s_add_u32 s24, s20, s2
	s_addc_u32 s25, s21, s3
	s_lshl_b32 s4, s14, 4
	v_and_b32_e32 v105, 0xff, v105
	v_lshlrev_b64 v[3:4], 2, v[3:4]
	v_add_co_u32 v1, vcc_lo, s34, v1
	v_add_co_ci_u32_e32 v2, vcc_lo, s35, v2, vcc_lo
	s_ashr_i32 s5, s4, 31
	s_delay_alu instid0(VALU_DEP_3) | instskip(NEXT) | instid1(VALU_DEP_4)
	v_add_co_u32 v3, vcc_lo, s34, v3
	v_add_co_ci_u32_e32 v4, vcc_lo, s35, v4, vcc_lo
	s_lshl_b64 s[4:5], s[4:5], 2
	s_clause 0x1
	global_load_b32 v5, v[1:2], off
	global_load_b32 v6, v[3:4], off
	s_add_u32 s4, s34, s4
	s_addc_u32 s5, s35, s5
	s_or_b32 s6, s29, 16
	v_lshlrev_b32_e32 v3, 4, v0
	s_ashr_i32 s7, s6, 4
	s_cmp_lt_i32 s6, s28
	v_lshlrev_b32_e32 v215, 6, v105
	s_cselect_b32 s6, s7, s16
	s_delay_alu instid0(SALU_CYCLE_1) | instskip(NEXT) | instid1(SALU_CYCLE_1)
	s_ashr_i32 s7, s6, 31
	s_lshl_b64 s[6:7], s[6:7], 2
	s_delay_alu instid0(SALU_CYCLE_1) | instskip(SKIP_2) | instid1(SALU_CYCLE_1)
	s_add_u32 s6, s34, s6
	s_addc_u32 s7, s35, s7
	s_or_b32 s8, s29, 32
	s_ashr_i32 s9, s8, 4
	s_cmp_lt_i32 s8, s28
	s_cselect_b32 s8, s9, s16
	s_delay_alu instid0(SALU_CYCLE_1) | instskip(NEXT) | instid1(SALU_CYCLE_1)
	s_ashr_i32 s9, s8, 31
	s_lshl_b64 s[8:9], s[8:9], 2
	s_delay_alu instid0(SALU_CYCLE_1) | instskip(SKIP_2) | instid1(SALU_CYCLE_1)
	s_add_u32 s8, s34, s8
	s_addc_u32 s9, s35, s9
	s_or_b32 s10, s29, 48
	s_ashr_i32 s11, s10, 4
	s_cmp_lt_i32 s10, s28
	;; [unrolled: 10-line block ×4, first 2 shown]
	s_cselect_b32 s12, s13, s16
	s_delay_alu instid0(SALU_CYCLE_1) | instskip(NEXT) | instid1(SALU_CYCLE_1)
	s_ashr_i32 s13, s12, 31
	s_lshl_b64 s[12:13], s[12:13], 2
	s_delay_alu instid0(SALU_CYCLE_1)
	s_add_u32 s20, s34, s12
	s_addc_u32 s21, s35, s13
	s_clause 0x5
	s_load_b32 s38, s[4:5], 0x0
	s_load_b32 s37, s[6:7], 0x0
	;; [unrolled: 1-line block ×6, first 2 shown]
	s_waitcnt vmcnt(1)
	v_mad_i64_i32 v[1:2], null, v5, s17, 0
	v_and_b32_e32 v5, 0xf0, v3
	s_waitcnt vmcnt(0)
	v_mad_i64_i32 v[3:4], null, v6, s17, 0
	s_delay_alu instid0(VALU_DEP_2) | instskip(NEXT) | instid1(VALU_DEP_4)
	v_add_co_u32 v5, s4, s24, v5
	v_lshlrev_b64 v[1:2], 1, v[1:2]
	v_add_co_ci_u32_e64 v6, null, s25, 0, s4
	s_delay_alu instid0(VALU_DEP_4) | instskip(SKIP_1) | instid1(VALU_DEP_3)
	v_lshlrev_b64 v[3:4], 1, v[3:4]
	s_or_b32 s4, s29, 0x60
	v_add_co_u32 v121, vcc_lo, v5, v1
	s_delay_alu instid0(VALU_DEP_3) | instskip(NEXT) | instid1(VALU_DEP_3)
	v_add_co_ci_u32_e32 v122, vcc_lo, v6, v2, vcc_lo
	v_add_co_u32 v123, vcc_lo, v5, v3
	s_delay_alu instid0(VALU_DEP_4)
	v_add_co_ci_u32_e32 v124, vcc_lo, v6, v4, vcc_lo
	s_clause 0x19
	global_load_b128 v[89:92], v[121:122], off
	global_load_b128 v[93:96], v[121:122], off offset:256
	global_load_b128 v[97:100], v[123:124], off
	global_load_b128 v[101:104], v[123:124], off offset:256
	global_load_b128 v[81:84], v[121:122], off offset:512
	;; [unrolled: 1-line block ×23, first 2 shown]
	s_ashr_i32 s5, s4, 4
	s_cmp_lt_i32 s4, s28
	ds_load_b128 v[105:108], v215
	ds_load_b128 v[109:112], v215 offset:1024
	s_cselect_b32 s4, s5, s16
	ds_load_b128 v[113:116], v215 offset:2048
	ds_load_b128 v[117:120], v215 offset:3072
	s_ashr_i32 s5, s4, 31
	ds_load_b128 v[143:146], v215 offset:4096
	ds_load_b128 v[147:150], v215 offset:5120
	s_lshl_b64 s[6:7], s[4:5], 2
	ds_load_b128 v[151:154], v215 offset:6144
	ds_load_b128 v[155:158], v215 offset:7168
	s_add_u32 s18, s34, s6
	s_addc_u32 s19, s35, s7
	s_or_b32 s5, s29, 0x70
	ds_load_b128 v[159:162], v215 offset:8192
	ds_load_b128 v[163:166], v215 offset:9216
	s_ashr_i32 s6, s5, 4
	s_cmp_lt_i32 s5, s28
	s_clause 0x1
	global_load_b128 v[167:170], v[123:124], off offset:3072
	global_load_b128 v[171:174], v[123:124], off offset:3328
	s_cselect_b32 s8, s6, s16
	s_mov_b32 s4, 0
	s_ashr_i32 s9, s8, 31
	s_mov_b32 s5, s4
	s_lshl_b64 s[8:9], s[8:9], 2
	s_mov_b32 s6, s4
	s_add_u32 s20, s34, s8
	s_addc_u32 s21, s35, s9
	s_clause 0x1
	s_load_b32 s44, s[18:19], 0x0
	s_load_b32 s45, s[20:21], 0x0
	s_clause 0x3
	global_load_b128 v[175:178], v[121:122], off offset:3584
	global_load_b128 v[179:182], v[121:122], off offset:3840
	;; [unrolled: 1-line block ×4, first 2 shown]
	s_or_b32 s8, s29, 0x80
	s_mov_b32 s7, s4
	s_ashr_i32 s9, s8, 4
	s_cmp_lt_i32 s8, s28
	s_mov_b32 s8, s4
	s_cselect_b32 s10, s9, s16
	s_mov_b32 s9, s4
	s_ashr_i32 s11, s10, 31
	s_delay_alu instid0(SALU_CYCLE_1)
	s_lshl_b64 s[24:25], s[10:11], 2
	s_mov_b32 s10, s4
	s_add_u32 s24, s34, s24
	s_addc_u32 s25, s35, s25
	s_or_b32 s11, s29, 0x90
	s_load_b32 s46, s[24:25], 0x0
	s_ashr_i32 s26, s11, 4
	s_cmp_lt_i32 s11, s28
	s_mov_b32 s11, s4
	s_cselect_b32 s26, s26, s16
	v_mov_b32_e32 v136, s11
	s_ashr_i32 s27, s26, 31
	v_dual_mov_b32 v135, s10 :: v_dual_mov_b32 v134, s9
	v_dual_mov_b32 v133, s8 :: v_dual_mov_b32 v132, s7
	;; [unrolled: 1-line block ×3, first 2 shown]
	v_mov_b32_e32 v129, s4
	s_lshl_b64 s[4:5], s[26:27], 2
	s_waitcnt lgkmcnt(0)
	s_mul_hi_i32 s7, s37, s17
	s_add_u32 s26, s34, s4
	s_addc_u32 s27, s35, s5
	s_or_b32 s4, s29, 0xa0
	s_load_b32 s39, s[26:27], 0x0
	s_ashr_i32 s5, s4, 4
	s_cmp_lt_i32 s4, s28
	s_cselect_b32 s4, s5, s16
	s_delay_alu instid0(SALU_CYCLE_1) | instskip(NEXT) | instid1(SALU_CYCLE_1)
	s_ashr_i32 s5, s4, 31
	s_lshl_b64 s[4:5], s[4:5], 2
	s_delay_alu instid0(SALU_CYCLE_1)
	s_add_u32 s40, s34, s4
	s_addc_u32 s41, s35, s5
	s_or_b32 s4, s29, 0xb0
	s_mul_hi_i32 s5, s38, s17
	s_ashr_i32 s6, s4, 4
	s_cmp_lt_i32 s4, s28
	s_mul_i32 s4, s38, s17
	s_load_b32 s38, s[40:41], 0x0
	s_cselect_b32 s8, s6, s16
	s_mul_i32 s6, s37, s17
	s_ashr_i32 s9, s8, 31
	s_mul_hi_i32 s27, s46, s17
	s_lshl_b64 s[10:11], s[8:9], 2
	s_mul_hi_i32 s9, s36, s17
	s_add_u32 s42, s34, s10
	s_addc_u32 s43, s35, s11
	s_or_b32 s10, s29, 0xc0
	s_mul_i32 s8, s36, s17
	s_ashr_i32 s36, s10, 4
	s_cmp_lt_i32 s10, s28
	s_mul_i32 s26, s46, s17
	s_cselect_b32 s36, s36, s16
	s_mul_hi_i32 s11, s13, s17
	s_ashr_i32 s37, s36, 31
	s_mul_i32 s10, s13, s17
	s_lshl_b64 s[36:37], s[36:37], 2
	s_mul_hi_i32 s13, s12, s17
	s_add_u32 s20, s34, s36
	s_addc_u32 s21, s35, s37
	s_or_b32 s18, s29, 0xd0
	s_mul_i32 s12, s12, s17
	s_ashr_i32 s19, s18, 4
	s_cmp_lt_i32 s18, s28
	s_mul_i32 s18, s15, s17
	s_cselect_b32 s24, s19, s16
	s_mul_hi_i32 s19, s15, s17
	s_ashr_i32 s25, s24, 31
	s_waitcnt lgkmcnt(0)
	s_mul_hi_i32 s41, s39, s17
	s_lshl_b64 s[24:25], s[24:25], 2
	s_delay_alu instid0(SALU_CYCLE_1)
	s_add_u32 s24, s34, s24
	s_addc_u32 s25, s35, s25
	s_or_b32 s40, s29, 0xe0
	s_clause 0x2
	s_load_b32 s37, s[42:43], 0x0
	s_load_b32 s36, s[20:21], 0x0
	;; [unrolled: 1-line block ×3, first 2 shown]
	s_ashr_i32 s47, s40, 4
	s_cmp_lt_i32 s40, s28
	s_mul_hi_i32 s21, s44, s17
	s_cselect_b32 s42, s47, s16
	s_mul_i32 s20, s44, s17
	s_ashr_i32 s43, s42, 31
	s_mul_hi_i32 s25, s45, s17
	s_lshl_b64 s[42:43], s[42:43], 2
	s_mul_i32 s24, s45, s17
	s_add_u32 s42, s34, s42
	s_addc_u32 s43, s35, s43
	s_or_b32 s44, s29, 0xf0
	s_mul_i32 s40, s39, s17
	s_ashr_i32 s46, s44, 4
	s_cmp_lt_i32 s44, s28
	s_mul_hi_i32 s39, s38, s17
	s_cselect_b32 s46, s46, s16
	s_mul_i32 s38, s38, s17
	s_ashr_i32 s47, s46, 31
	s_waitcnt lgkmcnt(0)
	s_mul_hi_i32 s49, s15, s17
	s_lshl_b64 s[46:47], s[46:47], 2
	s_mul_i32 s48, s15, s17
	s_add_u32 s34, s34, s46
	s_addc_u32 s35, s35, s47
	s_add_u32 s15, s22, s2
	s_addc_u32 s16, s23, s3
	v_add_co_u32 v216, s15, s15, v125
	s_delay_alu instid0(VALU_DEP_1) | instskip(SKIP_2) | instid1(VALU_DEP_2)
	v_add_co_ci_u32_e64 v217, null, s16, 0, s15
	s_lshl_b64 s[2:3], s[4:5], 1
	s_lshl_b64 s[4:5], s[6:7], 1
	v_add_co_u32 v125, vcc_lo, v216, s2
	s_delay_alu instid0(VALU_DEP_2)
	v_add_co_ci_u32_e32 v126, vcc_lo, s3, v217, vcc_lo
	v_add_co_u32 v199, vcc_lo, v216, s4
	s_lshl_b64 s[6:7], s[8:9], 1
	v_add_co_ci_u32_e32 v200, vcc_lo, s5, v217, vcc_lo
	s_lshl_b64 s[8:9], s[10:11], 1
	s_lshl_b64 s[10:11], s[12:13], 1
	;; [unrolled: 1-line block ×8, first 2 shown]
	s_mul_hi_i32 s45, s37, s17
	s_mul_i32 s44, s37, s17
	s_mul_hi_i32 s37, s36, s17
	s_lshl_b64 s[38:39], s[44:45], 1
	s_mul_i32 s36, s36, s17
	s_clause 0x1
	s_load_b32 s15, s[42:43], 0x0
	s_load_b32 s16, s[34:35], 0x0
	s_lshl_b64 s[36:37], s[36:37], 1
	s_lshl_b64 s[40:41], s[48:49], 1
	s_waitcnt lgkmcnt(0)
	s_mul_hi_i32 s3, s15, s17
	s_mul_i32 s2, s15, s17
	s_mul_hi_i32 s5, s16, s17
	s_lshl_b64 s[2:3], s[2:3], 1
	s_mul_i32 s4, s16, s17
	s_waitcnt vmcnt(30)
	v_wmma_f32_16x16x16_bf16 v[191:198], v[89:96], v[105:112], v[129:136]
	v_add_co_u32 v89, vcc_lo, v216, s6
	v_add_co_ci_u32_e32 v90, vcc_lo, s7, v217, vcc_lo
	v_add_co_u32 v91, vcc_lo, v216, s8
	v_add_co_ci_u32_e32 v92, vcc_lo, s9, v217, vcc_lo
	;; [unrolled: 2-line block ×5, first 2 shown]
	v_add_co_u32 v205, vcc_lo, v216, s20
	s_waitcnt vmcnt(28)
	v_wmma_f32_16x16x16_bf16 v[129:136], v[97:104], v[105:112], v[129:136]
	v_add_co_ci_u32_e32 v206, vcc_lo, s21, v217, vcc_lo
	v_add_co_u32 v207, vcc_lo, v216, s22
	v_add_co_ci_u32_e32 v208, vcc_lo, s23, v217, vcc_lo
	v_add_co_u32 v209, vcc_lo, v216, s24
	s_waitcnt vmcnt(26)
	v_wmma_f32_16x16x16_bf16 v[191:198], v[81:88], v[113:120], v[191:198]
	s_waitcnt vmcnt(24)
	v_wmma_f32_16x16x16_bf16 v[129:136], v[73:80], v[113:120], v[129:136]
	v_add_co_ci_u32_e32 v210, vcc_lo, s25, v217, vcc_lo
	v_add_co_u32 v211, vcc_lo, v216, s26
	v_add_co_ci_u32_e32 v212, vcc_lo, s27, v217, vcc_lo
	v_add_co_u32 v213, vcc_lo, v216, s38
	s_waitcnt vmcnt(22)
	v_wmma_f32_16x16x16_bf16 v[191:198], v[65:72], v[143:150], v[191:198]
	s_waitcnt vmcnt(20)
	v_wmma_f32_16x16x16_bf16 v[129:136], v[57:64], v[143:150], v[129:136]
	v_add_co_ci_u32_e32 v214, vcc_lo, s39, v217, vcc_lo
	v_add_co_u32 v143, vcc_lo, v216, s36
	s_waitcnt vmcnt(18)
	v_wmma_f32_16x16x16_bf16 v[191:198], v[49:56], v[151:158], v[191:198]
	s_waitcnt vmcnt(16)
	v_wmma_f32_16x16x16_bf16 v[129:136], v[41:48], v[151:158], v[129:136]
	v_add_co_ci_u32_e32 v144, vcc_lo, s37, v217, vcc_lo
	s_clause 0x15
	global_load_b128 v[121:124], v[125:126], off
	global_load_b128 v[125:128], v[125:126], off offset:16
	global_load_b128 v[113:116], v[199:200], off
	global_load_b128 v[117:120], v[199:200], off offset:16
	;; [unrolled: 2-line block ×11, first 2 shown]
	s_waitcnt vmcnt(36)
	v_wmma_f32_16x16x16_bf16 v[191:198], v[17:24], v[159:166], v[191:198]
	s_clause 0x1
	global_load_b128 v[17:20], v[213:214], off
	global_load_b128 v[21:24], v[213:214], off offset:16
	s_waitcnt vmcnt(36)
	v_wmma_f32_16x16x16_bf16 v[129:136], v[1:8], v[159:166], v[129:136]
	s_clause 0x1
	global_load_b128 v[1:4], v[143:144], off
	global_load_b128 v[5:8], v[143:144], off offset:16
	ds_load_b128 v[143:146], v215 offset:10240
	ds_load_b128 v[147:150], v215 offset:11264
	;; [unrolled: 1-line block ×4, first 2 shown]
	v_add_co_u32 v199, vcc_lo, v216, s40
	v_add_co_ci_u32_e32 v200, vcc_lo, s41, v217, vcc_lo
	v_add_co_u32 v159, vcc_lo, v216, s2
	v_add_co_ci_u32_e32 v160, vcc_lo, s3, v217, vcc_lo
	s_lshl_b64 s[2:3], s[4:5], 1
	s_delay_alu instid0(SALU_CYCLE_1)
	v_add_co_u32 v161, vcc_lo, v216, s2
	v_add_co_ci_u32_e32 v162, vcc_lo, s3, v217, vcc_lo
	s_waitcnt vmcnt(36) lgkmcnt(2)
	v_wmma_f32_16x16x16_bf16 v[191:198], v[33:40], v[143:150], v[191:198]
	s_waitcnt vmcnt(34)
	v_wmma_f32_16x16x16_bf16 v[129:136], v[25:32], v[143:150], v[129:136]
	s_clause 0x3
	global_load_b128 v[25:28], v[199:200], off
	global_load_b128 v[29:32], v[199:200], off offset:16
	global_load_b128 v[33:36], v[159:160], off
	global_load_b128 v[37:40], v[159:160], off offset:16
	v_and_b32_e32 v143, 0xe0, v0
	v_mbcnt_lo_u32_b32 v159, -1, 0
	s_waitcnt vmcnt(36) lgkmcnt(0)
	v_wmma_f32_16x16x16_bf16 v[191:198], v[9:16], v[151:158], v[191:198]
	s_clause 0x1
	global_load_b128 v[9:12], v[161:162], off
	global_load_b128 v[13:16], v[161:162], off offset:16
	s_waitcnt vmcnt(36)
	v_wmma_f32_16x16x16_bf16 v[129:136], v[167:174], v[151:158], v[129:136]
	v_add_nc_u32_e32 v160, s29, v143
	ds_load_b128 v[143:146], v215 offset:14336
	ds_load_b128 v[147:150], v215 offset:15360
	v_xor_b32_e32 v151, 16, v159
	s_waitcnt vmcnt(0) lgkmcnt(0)
	s_barrier
	v_or_b32_e32 v152, v160, v138
	buffer_gl0_inv
	v_cmp_gt_i32_e32 vcc_lo, 32, v151
	v_or_b32_e32 v153, 2, v152
	v_or_b32_e32 v154, 4, v152
	;; [unrolled: 1-line block ×5, first 2 shown]
	v_cmp_gt_i32_e64 s2, s28, v153
	v_cmp_gt_i32_e64 s3, s28, v154
	;; [unrolled: 1-line block ×3, first 2 shown]
	v_or_b32_e32 v158, 12, v152
	v_cmp_gt_i32_e64 s5, s28, v156
	v_cmp_gt_i32_e64 s6, s28, v157
	v_wmma_f32_16x16x16_bf16 v[191:198], v[175:182], v[143:150], v[191:198]
	v_wmma_f32_16x16x16_bf16 v[129:136], v[183:190], v[143:150], v[129:136]
	v_cndmask_b32_e32 v151, v159, v151, vcc_lo
	v_cmp_gt_i32_e32 vcc_lo, s28, v152
	v_or_b32_e32 v159, 14, v152
	v_dual_mul_f32 v149, s33, v192 :: v_dual_mul_f32 v150, s33, v191
	v_dual_mul_f32 v147, s33, v194 :: v_dual_mul_f32 v148, s33, v193
	;; [unrolled: 1-line block ×3, first 2 shown]
	s_delay_alu instid0(VALU_DEP_3) | instskip(NEXT) | instid1(VALU_DEP_4)
	v_cndmask_b32_e32 v150, 0xff7fffff, v150, vcc_lo
	v_cndmask_b32_e64 v149, 0xff7fffff, v149, s2
	v_mul_f32_e32 v146, s33, v195
	v_cndmask_b32_e64 v148, 0xff7fffff, v148, s3
	v_cndmask_b32_e64 v147, 0xff7fffff, v147, s4
	v_or_b32_e32 v160, 16, v152
	v_max3_f32 v149, v150, 0xff7fffff, v149
	v_or_b32_e32 v161, 18, v152
	v_dual_mul_f32 v143, s33, v198 :: v_dual_mul_f32 v144, s33, v197
	v_cndmask_b32_e64 v146, 0xff7fffff, v146, s5
	v_cndmask_b32_e64 v145, 0xff7fffff, v145, s6
	v_max3_f32 v147, v149, v148, v147
	v_cmp_gt_i32_e64 s7, s28, v158
	v_cmp_gt_i32_e64 s8, s28, v159
	v_or_b32_e32 v162, 20, v152
	v_or_b32_e32 v163, 22, v152
	v_mul_f32_e32 v175, s33, v129
	v_cndmask_b32_e64 v144, 0xff7fffff, v144, s7
	v_cndmask_b32_e64 v143, 0xff7fffff, v143, s8
	v_max3_f32 v145, v147, v146, v145
	v_cmp_gt_i32_e64 s9, s28, v160
	v_cmp_gt_i32_e64 s10, s28, v161
	v_or_b32_e32 v164, 24, v152
	v_or_b32_e32 v165, 26, v152
	v_dual_mul_f32 v172, s33, v132 :: v_dual_mul_f32 v173, s33, v131
	v_cndmask_b32_e64 v146, 0xff7fffff, v175, s9
	v_cndmask_b32_e64 v147, 0xff7fffff, v174, s10
	v_max3_f32 v143, v145, v144, v143
	v_cmp_gt_i32_e64 s11, s28, v162
	v_cmp_gt_i32_e64 s12, s28, v163
	v_or_b32_e32 v166, 28, v152
	v_or_b32_e32 v167, 30, v152
	v_dual_mul_f32 v170, s33, v134 :: v_dual_mul_f32 v171, s33, v133
	v_cndmask_b32_e64 v144, 0xff7fffff, v173, s11
	v_cndmask_b32_e64 v145, 0xff7fffff, v172, s12
	v_max3_f32 v143, v143, v146, v147
	v_cmp_gt_i32_e64 s13, s28, v164
	v_cmp_gt_i32_e64 s15, s28, v165
	v_dual_mul_f32 v168, s33, v136 :: v_dual_mul_f32 v169, s33, v135
	s_delay_alu instid0(VALU_DEP_4) | instskip(NEXT) | instid1(VALU_DEP_4)
	v_max3_f32 v143, v143, v144, v145
	v_cndmask_b32_e64 v146, 0xff7fffff, v171, s13
	s_delay_alu instid0(VALU_DEP_4) | instskip(SKIP_3) | instid1(VALU_DEP_4)
	v_cndmask_b32_e64 v147, 0xff7fffff, v170, s15
	v_cmp_gt_i32_e64 s16, s28, v166
	v_cmp_gt_i32_e64 s17, s28, v167
	v_lshlrev_b32_e32 v154, 2, v151
	v_max3_f32 v143, v143, v146, v147
	s_delay_alu instid0(VALU_DEP_4) | instskip(NEXT) | instid1(VALU_DEP_4)
	v_cndmask_b32_e64 v144, 0xff7fffff, v169, s16
	v_cndmask_b32_e64 v145, 0xff7fffff, v168, s17
	s_delay_alu instid0(VALU_DEP_1) | instskip(SKIP_3) | instid1(VALU_DEP_1)
	v_max3_f32 v143, v143, v144, v145
	ds_bpermute_b32 v144, v154, v143
	s_waitcnt lgkmcnt(0)
	v_max_f32_e32 v144, v144, v144
	v_max_f32_e32 v153, v143, v144
	s_delay_alu instid0(VALU_DEP_1) | instskip(SKIP_4) | instid1(VALU_DEP_4)
	v_fma_f32 v143, s33, v191, -v153
	v_fma_f32 v144, s33, v192, -v153
	;; [unrolled: 1-line block ×5, first 2 shown]
	v_dual_mul_f32 v143, 0x3fb8aa3b, v143 :: v_dual_mul_f32 v144, 0x3fb8aa3b, v144
	s_delay_alu instid0(VALU_DEP_4) | instskip(SKIP_2) | instid1(VALU_DEP_4)
	v_mul_f32_e32 v130, 0x3fb8aa3b, v130
	v_fma_f32 v132, s33, v132, -v153
	v_mul_f32_e32 v145, 0x3fb8aa3b, v145
	v_exp_f32_e32 v143, v143
	v_exp_f32_e32 v147, v144
	v_fma_f32 v148, s33, v195, -v153
	v_mul_f32_e32 v132, 0x3fb8aa3b, v132
	v_mul_f32_e32 v146, 0x3fb8aa3b, v146
	v_exp_f32_e32 v145, v145
	v_fma_f32 v151, s33, v197, -v153
	v_mul_f32_e32 v148, 0x3fb8aa3b, v148
	v_fma_f32 v134, s33, v134, -v153
	v_exp_f32_e32 v149, v146
	v_cndmask_b32_e32 v144, 0, v143, vcc_lo
	v_fma_f32 v143, s33, v196, -v153
	v_cndmask_b32_e64 v146, 0, v147, s2
	v_exp_f32_e32 v148, v148
	s_delay_alu instid0(VALU_DEP_3) | instskip(NEXT) | instid1(VALU_DEP_3)
	v_dual_mul_f32 v151, 0x3fb8aa3b, v151 :: v_dual_add_f32 v150, 0, v144
	v_dual_mul_f32 v143, 0x3fb8aa3b, v143 :: v_dual_mul_f32 v134, 0x3fb8aa3b, v134
	v_cndmask_b32_e64 v147, 0, v145, s3
	s_delay_alu instid0(TRANS32_DEP_2) | instskip(NEXT) | instid1(VALU_DEP_4)
	v_cndmask_b32_e64 v149, 0, v149, s4
	v_add_f32_e32 v145, v150, v146
	v_fma_f32 v150, s33, v198, -v153
	v_exp_f32_e32 v143, v143
	v_fma_f32 v129, s33, v129, -v153
	v_exp_f32_e32 v155, v151
	s_delay_alu instid0(VALU_DEP_2) | instskip(SKIP_1) | instid1(VALU_DEP_3)
	v_dual_add_f32 v145, v145, v147 :: v_dual_mul_f32 v152, 0x3fb8aa3b, v150
	v_cndmask_b32_e64 v150, 0, v148, s5
	v_mul_f32_e32 v129, 0x3fb8aa3b, v129
	v_fma_f32 v131, s33, v131, -v153
	s_delay_alu instid0(VALU_DEP_4) | instskip(SKIP_1) | instid1(TRANS32_DEP_3)
	v_add_f32_e32 v145, v145, v149
	v_exp_f32_e32 v152, v152
	v_cndmask_b32_e64 v151, 0, v143, s6
	v_exp_f32_e32 v129, v129
	s_delay_alu instid0(TRANS32_DEP_3)
	v_cndmask_b32_e64 v148, 0, v155, s7
	v_add_f32_e32 v143, v145, v150
	v_mul_f32_e32 v131, 0x3fb8aa3b, v131
	v_exp_f32_e32 v130, v130
	v_fma_f32 v133, s33, v133, -v153
	v_fma_f32 v136, s33, v136, -v153
	v_add_f32_e32 v143, v143, v151
	v_cndmask_b32_e64 v152, 0, v152, s8
	v_exp_f32_e32 v145, v131
	v_cndmask_b32_e64 v131, 0, v129, s9
	v_mul_f32_e32 v133, 0x3fb8aa3b, v133
	v_add_f32_e32 v143, v143, v148
	v_cmp_gt_u32_e64 s2, 16, v142
	s_delay_alu instid0(VALU_DEP_2)
	v_add_f32_e32 v129, v143, v152
	v_exp_f32_e32 v143, v132
	v_cndmask_b32_e64 v132, 0, v130, s10
	v_fma_f32 v130, s33, v135, -v153
	v_exp_f32_e32 v135, v133
	v_add_f32_e32 v129, v129, v131
	v_cndmask_b32_e64 v133, 0, v145, s11
	v_exp_f32_e32 v145, v134
	s_delay_alu instid0(VALU_DEP_2) | instskip(NEXT) | instid1(TRANS32_DEP_3)
	v_dual_mul_f32 v130, 0x3fb8aa3b, v130 :: v_dual_add_f32 v129, v129, v132
	v_cndmask_b32_e64 v134, 0, v143, s12
	v_mul_f32_e32 v143, 0x3fb8aa3b, v136
	s_delay_alu instid0(VALU_DEP_3) | instskip(NEXT) | instid1(TRANS32_DEP_3)
	v_exp_f32_e32 v130, v130
	v_cndmask_b32_e64 v135, 0, v135, s13
	v_add_f32_e32 v129, v129, v133
	s_delay_alu instid0(TRANS32_DEP_2) | instskip(SKIP_1) | instid1(VALU_DEP_2)
	v_cndmask_b32_e64 v136, 0, v145, s15
	v_exp_f32_e32 v145, v143
	v_add_f32_e32 v129, v129, v134
	s_waitcnt_depctr 0xfff
	v_cndmask_b32_e64 v143, 0, v130, s16
	v_add_f32_e32 v129, v129, v135
	v_cndmask_b32_e64 v145, 0, v145, s17
	s_delay_alu instid0(VALU_DEP_2) | instskip(NEXT) | instid1(VALU_DEP_1)
	v_add_f32_e32 v129, v129, v136
	v_add_f32_e32 v129, v129, v143
	s_delay_alu instid0(VALU_DEP_1)
	v_add_f32_e32 v129, v129, v145
	ds_bpermute_b32 v130, v154, v129
	s_and_saveexec_b32 s3, s2
	s_cbranch_execz .LBB660_12
; %bb.11:
	v_mul_u32_u24_e32 v142, 0x44, v141
	s_waitcnt lgkmcnt(0)
	v_add_f32_e32 v129, v129, v130
	s_delay_alu instid0(VALU_DEP_2) | instskip(NEXT) | instid1(VALU_DEP_1)
	v_lshl_add_u32 v142, v140, 2, v142
	v_add_nc_u32_e32 v130, 0x4000, v142
	ds_store_2addr_b32 v130, v153, v129 offset1:136
.LBB660_12:
	s_or_b32 exec_lo, exec_lo, s3
	v_lshlrev_b32_e32 v129, 2, v140
	s_waitcnt lgkmcnt(0)
	s_barrier
	buffer_gl0_inv
	v_cmp_eq_u32_e64 s3, 1, v141
	v_add_nc_u32_e32 v142, 0x4000, v129
	ds_load_2addr_b32 v[153:154], v142 offset1:17
	ds_load_2addr_b32 v[155:156], v142 offset0:34 offset1:51
	ds_load_2addr_b32 v[157:158], v142 offset0:68 offset1:85
	;; [unrolled: 1-line block ×4, first 2 shown]
	s_waitcnt lgkmcnt(4)
	v_max3_f32 v129, v153, 0xff7fffff, v154
	s_waitcnt lgkmcnt(3)
	s_delay_alu instid0(VALU_DEP_1) | instskip(SKIP_1) | instid1(VALU_DEP_1)
	v_max3_f32 v129, v129, v155, v156
	s_waitcnt lgkmcnt(2)
	v_max3_f32 v129, v129, v157, v158
	s_waitcnt lgkmcnt(1)
	s_delay_alu instid0(VALU_DEP_1) | instskip(NEXT) | instid1(VALU_DEP_1)
	v_max3_f32 v129, v129, v159, v160
	v_sub_f32_e32 v163, v154, v129
	v_sub_f32_e32 v130, v153, v129
	ds_load_2addr_b32 v[153:154], v142 offset0:170 offset1:187
	v_sub_f32_e32 v155, v155, v129
	v_dual_mul_f32 v163, 0x3fb8aa3b, v163 :: v_dual_mul_f32 v130, 0x3fb8aa3b, v130
	s_delay_alu instid0(VALU_DEP_2) | instskip(NEXT) | instid1(VALU_DEP_2)
	v_mul_f32_e32 v165, 0x3fb8aa3b, v155
	v_exp_f32_e32 v163, v163
	s_delay_alu instid0(VALU_DEP_2)
	v_exp_f32_e32 v164, v130
	v_sub_f32_e32 v130, v156, v129
	ds_load_2addr_b32 v[155:156], v142 offset0:204 offset1:221
	v_exp_f32_e32 v165, v165
	v_mul_f32_e32 v166, 0x3fb8aa3b, v130
	s_waitcnt lgkmcnt(2)
	v_fma_f32 v130, v164, v161, 0
	v_sub_f32_e32 v157, v157, v129
	s_delay_alu instid0(VALU_DEP_3) | instskip(NEXT) | instid1(VALU_DEP_2)
	v_exp_f32_e32 v166, v166
	v_dual_sub_f32 v161, v158, v129 :: v_dual_fmac_f32 v130, v163, v162
	s_waitcnt lgkmcnt(1)
	s_waitcnt_depctr 0xfff
	v_fmac_f32_e32 v130, v165, v153
	v_mul_f32_e32 v167, 0x3fb8aa3b, v157
	ds_load_2addr_b32 v[157:158], v142 offset0:238 offset1:255
	v_sub_f32_e32 v142, v159, v129
	v_dual_sub_f32 v153, v160, v129 :: v_dual_fmac_f32 v130, v166, v154
	v_mul_f32_e32 v159, 0x3fb8aa3b, v161
	v_exp_f32_e32 v161, v167
	s_delay_alu instid0(VALU_DEP_2)
	v_dual_mul_f32 v142, 0x3fb8aa3b, v142 :: v_dual_mul_f32 v153, 0x3fb8aa3b, v153
	s_waitcnt lgkmcnt(0)
	s_barrier
	buffer_gl0_inv
	v_exp_f32_e32 v142, v142
	v_exp_f32_e32 v153, v153
	v_fmac_f32_e32 v130, v161, v155
	v_exp_f32_e32 v159, v159
	s_waitcnt_depctr 0xfff
	v_fmac_f32_e32 v130, v159, v156
	s_delay_alu instid0(VALU_DEP_1) | instskip(NEXT) | instid1(VALU_DEP_1)
	v_fmac_f32_e32 v130, v142, v157
	v_fmac_f32_e32 v130, v153, v158
	s_delay_alu instid0(VALU_DEP_1) | instskip(NEXT) | instid1(VALU_DEP_1)
	v_add_f32_e32 v154, 0x358637bd, v130
	v_div_scale_f32 v155, null, v154, v154, 1.0
	v_div_scale_f32 v158, vcc_lo, 1.0, v154, 1.0
	s_delay_alu instid0(VALU_DEP_2) | instskip(SKIP_2) | instid1(VALU_DEP_1)
	v_rcp_f32_e32 v156, v155
	s_waitcnt_depctr 0xfff
	v_fma_f32 v157, -v155, v156, 1.0
	v_fmac_f32_e32 v156, v157, v156
	v_cndmask_b32_e64 v157, v164, v163, s3
	v_cmp_eq_u32_e64 s3, 2, v141
	s_delay_alu instid0(VALU_DEP_3) | instskip(NEXT) | instid1(VALU_DEP_2)
	v_mul_f32_e32 v160, v158, v156
	v_cndmask_b32_e64 v157, v157, v165, s3
	v_cmp_eq_u32_e64 s3, 3, v141
	s_delay_alu instid0(VALU_DEP_3) | instskip(NEXT) | instid1(VALU_DEP_2)
	v_fma_f32 v162, -v155, v160, v158
	v_cndmask_b32_e64 v157, v157, v166, s3
	v_cmp_eq_u32_e64 s3, 4, v141
	s_delay_alu instid0(VALU_DEP_3) | instskip(NEXT) | instid1(VALU_DEP_2)
	v_fmac_f32_e32 v160, v162, v156
	v_cndmask_b32_e64 v157, v157, v161, s3
	s_delay_alu instid0(VALU_DEP_2) | instskip(SKIP_1) | instid1(VALU_DEP_2)
	v_fma_f32 v155, -v155, v160, v158
	v_cmp_eq_u32_e64 s3, 5, v141
	v_div_fmas_f32 v155, v155, v156, v160
	s_delay_alu instid0(VALU_DEP_2) | instskip(SKIP_2) | instid1(VALU_DEP_3)
	v_cndmask_b32_e64 v157, v157, v159, s3
	v_cmp_eq_u32_e32 vcc_lo, 6, v141
	s_mov_b32 s3, exec_lo
	v_div_fixup_f32 v154, v155, v154, 1.0
	s_delay_alu instid0(VALU_DEP_3) | instskip(SKIP_1) | instid1(VALU_DEP_2)
	v_cndmask_b32_e32 v142, v157, v142, vcc_lo
	v_cmp_eq_u32_e32 vcc_lo, 7, v141
	v_cndmask_b32_e32 v142, v142, v153, vcc_lo
	s_delay_alu instid0(VALU_DEP_1) | instskip(NEXT) | instid1(VALU_DEP_1)
	v_mul_f32_e32 v142, v142, v154
	v_mul_f32_e32 v153, v142, v149
	;; [unrolled: 1-line block ×7, first 2 shown]
	v_dual_mul_f32 v150, v142, v147 :: v_dual_and_b32 v155, 0x7f800000, v154
	v_mul_f32_e32 v149, v142, v146
                                        ; implicit-def: $vgpr146
	s_delay_alu instid0(VALU_DEP_2)
	v_cmpx_ne_u32_e32 0x7f800000, v155
	s_xor_b32 s3, exec_lo, s3
; %bb.13:
	v_bfe_u32 v146, v154, 16, 1
	s_delay_alu instid0(VALU_DEP_1)
	v_add3_u32 v146, v154, v146, 0x7fff
                                        ; implicit-def: $vgpr154
; %bb.14:
	s_and_not1_saveexec_b32 s3, s3
; %bb.15:
	v_and_b32_e32 v146, 0xffff, v154
	v_or_b32_e32 v147, 0x10000, v154
	s_delay_alu instid0(VALU_DEP_2) | instskip(NEXT) | instid1(VALU_DEP_2)
	v_cmp_eq_u32_e32 vcc_lo, 0, v146
	v_cndmask_b32_e32 v146, v147, v154, vcc_lo
; %bb.16:
	s_or_b32 exec_lo, exec_lo, s3
	v_and_b32_e32 v147, 0x7f800000, v149
	s_delay_alu instid0(VALU_DEP_1) | instskip(SKIP_1) | instid1(SALU_CYCLE_1)
	v_cmp_ne_u32_e32 vcc_lo, 0x7f800000, v147
                                        ; implicit-def: $vgpr147
	s_and_saveexec_b32 s3, vcc_lo
	s_xor_b32 s3, exec_lo, s3
; %bb.17:
	v_bfe_u32 v147, v149, 16, 1
	s_delay_alu instid0(VALU_DEP_1)
	v_add3_u32 v147, v149, v147, 0x7fff
                                        ; implicit-def: $vgpr149
; %bb.18:
	s_and_not1_saveexec_b32 s3, s3
; %bb.19:
	v_and_b32_e32 v147, 0xffff, v149
	v_or_b32_e32 v154, 0x10000, v149
	s_delay_alu instid0(VALU_DEP_2) | instskip(NEXT) | instid1(VALU_DEP_2)
	v_cmp_eq_u32_e32 vcc_lo, 0, v147
	v_cndmask_b32_e32 v147, v154, v149, vcc_lo
; %bb.20:
	s_or_b32 exec_lo, exec_lo, s3
	v_and_b32_e32 v149, 0x7f800000, v150
	s_delay_alu instid0(VALU_DEP_1) | instskip(SKIP_1) | instid1(SALU_CYCLE_1)
	v_cmp_ne_u32_e32 vcc_lo, 0x7f800000, v149
                                        ; implicit-def: $vgpr149
	s_and_saveexec_b32 s3, vcc_lo
	s_xor_b32 s3, exec_lo, s3
; %bb.21:
	v_bfe_u32 v149, v150, 16, 1
	s_delay_alu instid0(VALU_DEP_1)
	v_add3_u32 v149, v150, v149, 0x7fff
                                        ; implicit-def: $vgpr150
; %bb.22:
	s_and_not1_saveexec_b32 s3, s3
; %bb.23:
	v_and_b32_e32 v149, 0xffff, v150
	v_or_b32_e32 v154, 0x10000, v150
	s_delay_alu instid0(VALU_DEP_2) | instskip(NEXT) | instid1(VALU_DEP_2)
	v_cmp_eq_u32_e32 vcc_lo, 0, v149
	v_cndmask_b32_e32 v149, v154, v150, vcc_lo
; %bb.24:
	s_or_b32 exec_lo, exec_lo, s3
	v_and_b32_e32 v150, 0x7f800000, v153
	s_delay_alu instid0(VALU_DEP_1) | instskip(SKIP_1) | instid1(SALU_CYCLE_1)
	v_cmp_ne_u32_e32 vcc_lo, 0x7f800000, v150
                                        ; implicit-def: $vgpr150
	s_and_saveexec_b32 s3, vcc_lo
	s_xor_b32 s3, exec_lo, s3
; %bb.25:
	v_bfe_u32 v150, v153, 16, 1
	s_delay_alu instid0(VALU_DEP_1)
	v_add3_u32 v150, v153, v150, 0x7fff
                                        ; implicit-def: $vgpr153
; %bb.26:
	s_and_not1_saveexec_b32 s3, s3
; %bb.27:
	v_and_b32_e32 v150, 0xffff, v153
	v_or_b32_e32 v154, 0x10000, v153
	s_delay_alu instid0(VALU_DEP_2) | instskip(NEXT) | instid1(VALU_DEP_2)
	v_cmp_eq_u32_e32 vcc_lo, 0, v150
	v_cndmask_b32_e32 v150, v154, v153, vcc_lo
; %bb.28:
	s_or_b32 exec_lo, exec_lo, s3
	v_and_b32_e32 v153, 0x7f800000, v152
	s_delay_alu instid0(VALU_DEP_1) | instskip(SKIP_1) | instid1(SALU_CYCLE_1)
	v_cmp_ne_u32_e32 vcc_lo, 0x7f800000, v153
                                        ; implicit-def: $vgpr153
	s_and_saveexec_b32 s3, vcc_lo
	s_xor_b32 s3, exec_lo, s3
; %bb.29:
	v_bfe_u32 v153, v152, 16, 1
	s_delay_alu instid0(VALU_DEP_1)
	v_add3_u32 v153, v152, v153, 0x7fff
                                        ; implicit-def: $vgpr152
; %bb.30:
	s_and_not1_saveexec_b32 s3, s3
; %bb.31:
	v_and_b32_e32 v153, 0xffff, v152
	v_or_b32_e32 v154, 0x10000, v152
	s_delay_alu instid0(VALU_DEP_2) | instskip(NEXT) | instid1(VALU_DEP_2)
	v_cmp_eq_u32_e32 vcc_lo, 0, v153
	v_cndmask_b32_e32 v153, v154, v152, vcc_lo
; %bb.32:
	s_or_b32 exec_lo, exec_lo, s3
	v_and_b32_e32 v152, 0x7f800000, v151
	s_delay_alu instid0(VALU_DEP_1) | instskip(SKIP_1) | instid1(SALU_CYCLE_1)
	v_cmp_ne_u32_e32 vcc_lo, 0x7f800000, v152
                                        ; implicit-def: $vgpr152
	s_and_saveexec_b32 s3, vcc_lo
	s_xor_b32 s3, exec_lo, s3
; %bb.33:
	v_bfe_u32 v152, v151, 16, 1
	s_delay_alu instid0(VALU_DEP_1)
	v_add3_u32 v152, v151, v152, 0x7fff
                                        ; implicit-def: $vgpr151
; %bb.34:
	s_and_not1_saveexec_b32 s3, s3
; %bb.35:
	v_and_b32_e32 v152, 0xffff, v151
	v_or_b32_e32 v154, 0x10000, v151
	s_delay_alu instid0(VALU_DEP_2) | instskip(NEXT) | instid1(VALU_DEP_2)
	v_cmp_eq_u32_e32 vcc_lo, 0, v152
	v_cndmask_b32_e32 v152, v154, v151, vcc_lo
; %bb.36:
	s_or_b32 exec_lo, exec_lo, s3
	v_and_b32_e32 v151, 0x7f800000, v148
	s_delay_alu instid0(VALU_DEP_1) | instskip(SKIP_1) | instid1(SALU_CYCLE_1)
	v_cmp_ne_u32_e32 vcc_lo, 0x7f800000, v151
                                        ; implicit-def: $vgpr151
	s_and_saveexec_b32 s3, vcc_lo
	s_xor_b32 s3, exec_lo, s3
; %bb.37:
	v_bfe_u32 v151, v148, 16, 1
	s_delay_alu instid0(VALU_DEP_1)
	v_add3_u32 v151, v148, v151, 0x7fff
                                        ; implicit-def: $vgpr148
; %bb.38:
	s_and_not1_saveexec_b32 s3, s3
; %bb.39:
	v_and_b32_e32 v151, 0xffff, v148
	v_or_b32_e32 v154, 0x10000, v148
	s_delay_alu instid0(VALU_DEP_2) | instskip(NEXT) | instid1(VALU_DEP_2)
	v_cmp_eq_u32_e32 vcc_lo, 0, v151
	v_cndmask_b32_e32 v151, v154, v148, vcc_lo
; %bb.40:
	s_or_b32 exec_lo, exec_lo, s3
	v_and_b32_e32 v148, 0x7f800000, v144
	s_delay_alu instid0(VALU_DEP_1) | instskip(SKIP_1) | instid1(SALU_CYCLE_1)
	v_cmp_ne_u32_e32 vcc_lo, 0x7f800000, v148
                                        ; implicit-def: $vgpr148
	s_and_saveexec_b32 s3, vcc_lo
	s_xor_b32 s3, exec_lo, s3
; %bb.41:
	v_bfe_u32 v148, v144, 16, 1
	s_delay_alu instid0(VALU_DEP_1)
	v_add3_u32 v148, v144, v148, 0x7fff
                                        ; implicit-def: $vgpr144
; %bb.42:
	s_and_not1_saveexec_b32 s3, s3
; %bb.43:
	v_and_b32_e32 v148, 0xffff, v144
	v_or_b32_e32 v154, 0x10000, v144
	s_delay_alu instid0(VALU_DEP_2) | instskip(NEXT) | instid1(VALU_DEP_2)
	v_cmp_eq_u32_e32 vcc_lo, 0, v148
	v_cndmask_b32_e32 v148, v154, v144, vcc_lo
; %bb.44:
	s_or_b32 exec_lo, exec_lo, s3
	s_load_b64 s[34:35], s[0:1], 0x94
	v_lshlrev_b32_e32 v155, 4, v138
	s_delay_alu instid0(VALU_DEP_2)
	v_perm_b32 v154, v148, v151, 0x7060302
	v_mul_f32_e32 v148, v142, v131
	v_dual_mul_f32 v145, v142, v145 :: v_dual_lshlrev_b32 v144, 6, v140
	v_dual_mul_f32 v143, v142, v143 :: v_dual_lshlrev_b32 v156, 11, v141
	v_perm_b32 v153, v152, v153, 0x7060302
	v_perm_b32 v152, v150, v149, 0x7060302
	;; [unrolled: 1-line block ×3, first 2 shown]
	s_delay_alu instid0(VALU_DEP_4)
	v_or3_b32 v131, v155, v156, v144
	v_mul_f32_e32 v136, v142, v136
	v_dual_mul_f32 v146, v142, v134 :: v_dual_and_b32 v149, 0x7f800000, v148
	v_mul_f32_e32 v135, v142, v135
	v_mul_f32_e32 v147, v142, v133
	;; [unrolled: 1-line block ×3, first 2 shown]
	s_mov_b32 s3, exec_lo
	ds_store_b128 v131, v[151:154]
                                        ; implicit-def: $vgpr132
	v_cmpx_ne_u32_e32 0x7f800000, v149
	s_xor_b32 s3, exec_lo, s3
; %bb.45:
	v_bfe_u32 v132, v148, 16, 1
	s_delay_alu instid0(VALU_DEP_1)
	v_add3_u32 v132, v148, v132, 0x7fff
                                        ; implicit-def: $vgpr148
; %bb.46:
	s_and_not1_saveexec_b32 s3, s3
; %bb.47:
	v_and_b32_e32 v132, 0xffff, v148
	v_or_b32_e32 v133, 0x10000, v148
	s_delay_alu instid0(VALU_DEP_2) | instskip(NEXT) | instid1(VALU_DEP_2)
	v_cmp_eq_u32_e32 vcc_lo, 0, v132
	v_cndmask_b32_e32 v132, v133, v148, vcc_lo
; %bb.48:
	s_or_b32 exec_lo, exec_lo, s3
	v_and_b32_e32 v133, 0x7f800000, v134
	s_delay_alu instid0(VALU_DEP_1) | instskip(SKIP_1) | instid1(SALU_CYCLE_1)
	v_cmp_ne_u32_e32 vcc_lo, 0x7f800000, v133
                                        ; implicit-def: $vgpr133
	s_and_saveexec_b32 s3, vcc_lo
	s_xor_b32 s3, exec_lo, s3
; %bb.49:
	v_bfe_u32 v133, v134, 16, 1
	s_delay_alu instid0(VALU_DEP_1)
	v_add3_u32 v133, v134, v133, 0x7fff
                                        ; implicit-def: $vgpr134
; %bb.50:
	s_and_not1_saveexec_b32 s3, s3
; %bb.51:
	v_and_b32_e32 v133, 0xffff, v134
	v_or_b32_e32 v142, 0x10000, v134
	s_delay_alu instid0(VALU_DEP_2) | instskip(NEXT) | instid1(VALU_DEP_2)
	v_cmp_eq_u32_e32 vcc_lo, 0, v133
	v_cndmask_b32_e32 v133, v142, v134, vcc_lo
; %bb.52:
	s_or_b32 exec_lo, exec_lo, s3
	v_and_b32_e32 v134, 0x7f800000, v147
	s_delay_alu instid0(VALU_DEP_1) | instskip(SKIP_1) | instid1(SALU_CYCLE_1)
	v_cmp_ne_u32_e32 vcc_lo, 0x7f800000, v134
                                        ; implicit-def: $vgpr134
	s_and_saveexec_b32 s3, vcc_lo
	s_xor_b32 s3, exec_lo, s3
; %bb.53:
	v_bfe_u32 v134, v147, 16, 1
	s_delay_alu instid0(VALU_DEP_1)
	v_add3_u32 v134, v147, v134, 0x7fff
                                        ; implicit-def: $vgpr147
; %bb.54:
	s_and_not1_saveexec_b32 s3, s3
; %bb.55:
	v_and_b32_e32 v134, 0xffff, v147
	v_or_b32_e32 v142, 0x10000, v147
	s_delay_alu instid0(VALU_DEP_2) | instskip(NEXT) | instid1(VALU_DEP_2)
	v_cmp_eq_u32_e32 vcc_lo, 0, v134
	v_cndmask_b32_e32 v134, v142, v147, vcc_lo
; %bb.56:
	s_or_b32 exec_lo, exec_lo, s3
	v_and_b32_e32 v142, 0x7f800000, v146
	s_delay_alu instid0(VALU_DEP_1) | instskip(SKIP_1) | instid1(SALU_CYCLE_1)
	v_cmp_ne_u32_e32 vcc_lo, 0x7f800000, v142
                                        ; implicit-def: $vgpr142
	s_and_saveexec_b32 s3, vcc_lo
	s_xor_b32 s3, exec_lo, s3
; %bb.57:
	v_bfe_u32 v142, v146, 16, 1
	s_delay_alu instid0(VALU_DEP_1)
	v_add3_u32 v142, v146, v142, 0x7fff
                                        ; implicit-def: $vgpr146
; %bb.58:
	s_and_not1_saveexec_b32 s3, s3
; %bb.59:
	v_and_b32_e32 v142, 0xffff, v146
	v_or_b32_e32 v147, 0x10000, v146
	s_delay_alu instid0(VALU_DEP_2) | instskip(NEXT) | instid1(VALU_DEP_2)
	v_cmp_eq_u32_e32 vcc_lo, 0, v142
	v_cndmask_b32_e32 v142, v147, v146, vcc_lo
; %bb.60:
	s_or_b32 exec_lo, exec_lo, s3
	v_and_b32_e32 v146, 0x7f800000, v135
	s_delay_alu instid0(VALU_DEP_1) | instskip(SKIP_1) | instid1(SALU_CYCLE_1)
	v_cmp_ne_u32_e32 vcc_lo, 0x7f800000, v146
                                        ; implicit-def: $vgpr146
	s_and_saveexec_b32 s3, vcc_lo
	s_xor_b32 s3, exec_lo, s3
; %bb.61:
	v_bfe_u32 v146, v135, 16, 1
	s_delay_alu instid0(VALU_DEP_1)
	v_add3_u32 v146, v135, v146, 0x7fff
                                        ; implicit-def: $vgpr135
; %bb.62:
	s_and_not1_saveexec_b32 s3, s3
; %bb.63:
	v_and_b32_e32 v146, 0xffff, v135
	v_or_b32_e32 v147, 0x10000, v135
	s_delay_alu instid0(VALU_DEP_2) | instskip(NEXT) | instid1(VALU_DEP_2)
	v_cmp_eq_u32_e32 vcc_lo, 0, v146
	v_cndmask_b32_e32 v146, v147, v135, vcc_lo
; %bb.64:
	s_or_b32 exec_lo, exec_lo, s3
	v_and_b32_e32 v135, 0x7f800000, v136
	s_delay_alu instid0(VALU_DEP_1) | instskip(SKIP_1) | instid1(SALU_CYCLE_1)
	v_cmp_ne_u32_e32 vcc_lo, 0x7f800000, v135
                                        ; implicit-def: $vgpr135
	s_and_saveexec_b32 s3, vcc_lo
	s_xor_b32 s3, exec_lo, s3
; %bb.65:
	v_bfe_u32 v135, v136, 16, 1
	s_delay_alu instid0(VALU_DEP_1)
	v_add3_u32 v135, v136, v135, 0x7fff
                                        ; implicit-def: $vgpr136
; %bb.66:
	s_and_not1_saveexec_b32 s3, s3
; %bb.67:
	v_and_b32_e32 v135, 0xffff, v136
	v_or_b32_e32 v147, 0x10000, v136
	s_delay_alu instid0(VALU_DEP_2) | instskip(NEXT) | instid1(VALU_DEP_2)
	v_cmp_eq_u32_e32 vcc_lo, 0, v135
	v_cndmask_b32_e32 v135, v147, v136, vcc_lo
; %bb.68:
	s_or_b32 exec_lo, exec_lo, s3
	v_and_b32_e32 v136, 0x7f800000, v143
	s_delay_alu instid0(VALU_DEP_1) | instskip(SKIP_1) | instid1(SALU_CYCLE_1)
	v_cmp_ne_u32_e32 vcc_lo, 0x7f800000, v136
                                        ; implicit-def: $vgpr136
	s_and_saveexec_b32 s3, vcc_lo
	s_xor_b32 s3, exec_lo, s3
; %bb.69:
	v_bfe_u32 v136, v143, 16, 1
	s_delay_alu instid0(VALU_DEP_1)
	v_add3_u32 v136, v143, v136, 0x7fff
                                        ; implicit-def: $vgpr143
; %bb.70:
	s_and_not1_saveexec_b32 s3, s3
; %bb.71:
	v_and_b32_e32 v136, 0xffff, v143
	v_or_b32_e32 v147, 0x10000, v143
	s_delay_alu instid0(VALU_DEP_2) | instskip(NEXT) | instid1(VALU_DEP_2)
	v_cmp_eq_u32_e32 vcc_lo, 0, v136
	v_cndmask_b32_e32 v136, v147, v143, vcc_lo
; %bb.72:
	s_or_b32 exec_lo, exec_lo, s3
	v_and_b32_e32 v143, 0x7f800000, v145
	s_delay_alu instid0(VALU_DEP_1) | instskip(SKIP_1) | instid1(SALU_CYCLE_1)
	v_cmp_ne_u32_e32 vcc_lo, 0x7f800000, v143
                                        ; implicit-def: $vgpr143
	s_and_saveexec_b32 s3, vcc_lo
	s_xor_b32 s3, exec_lo, s3
; %bb.73:
	v_bfe_u32 v143, v145, 16, 1
	s_delay_alu instid0(VALU_DEP_1)
	v_add3_u32 v143, v145, v143, 0x7fff
                                        ; implicit-def: $vgpr145
; %bb.74:
	s_and_not1_saveexec_b32 s3, s3
; %bb.75:
	v_and_b32_e32 v143, 0xffff, v145
	v_or_b32_e32 v147, 0x10000, v145
	s_delay_alu instid0(VALU_DEP_2) | instskip(NEXT) | instid1(VALU_DEP_2)
	v_cmp_eq_u32_e32 vcc_lo, 0, v143
	v_cndmask_b32_e32 v143, v147, v145, vcc_lo
; %bb.76:
	s_or_b32 exec_lo, exec_lo, s3
	s_delay_alu instid0(VALU_DEP_1)
	v_perm_b32 v136, v143, v136, 0x7060302
	v_perm_b32 v135, v135, v146, 0x7060302
	;; [unrolled: 1-line block ×4, first 2 shown]
	v_lshl_or_b32 v145, v141, 11, v144
	v_lshlrev_b32_e32 v142, 2, v138
	ds_store_b128 v131, v[133:136] offset:1024
	s_waitcnt lgkmcnt(0)
	s_barrier
	buffer_gl0_inv
	ds_load_b128 v[132:135], v145
	ds_load_b128 v[147:150], v145 offset:16
	v_or_b32_e32 v143, 1, v142
	v_cmp_eq_u32_e64 s12, 1, v142
	v_cmp_eq_u32_e64 s11, 2, v142
	;; [unrolled: 1-line block ×3, first 2 shown]
	v_or_b32_e32 v141, 2, v142
	v_cmp_eq_u32_e64 s7, 1, v143
	v_cmp_eq_u32_e64 s6, 2, v143
	;; [unrolled: 1-line block ×8, first 2 shown]
	v_cmp_eq_u32_e32 vcc_lo, 5, v143
	v_cmp_eq_u32_e64 s10, 2, v141
	v_cmp_eq_u32_e64 s4, 6, v143
	;; [unrolled: 1-line block ×4, first 2 shown]
	s_waitcnt lgkmcnt(1)
	v_lshrrev_b32_e32 v136, 16, v132
	s_waitcnt lgkmcnt(0)
	v_lshrrev_b32_e32 v155, 16, v147
	v_lshrrev_b32_e32 v161, 16, v148
	;; [unrolled: 1-line block ×4, first 2 shown]
	v_cndmask_b32_e64 v146, v132, v136, s12
	v_cndmask_b32_e64 v151, v147, v155, s12
	v_cndmask_b32_e64 v152, v132, v136, s7
	v_cndmask_b32_e64 v153, v147, v155, s7
	v_lshrrev_b32_e32 v160, 16, v134
	v_cndmask_b32_e64 v146, v146, v133, s11
	v_cndmask_b32_e64 v151, v151, v148, s11
	;; [unrolled: 1-line block ×8, first 2 shown]
	v_lshrrev_b32_e32 v164, 16, v150
	v_cndmask_b32_e64 v153, v153, v161, s5
	v_cndmask_b32_e64 v146, v146, v134, s17
	;; [unrolled: 1-line block ×5, first 2 shown]
	v_lshrrev_b32_e32 v162, 16, v135
	v_cndmask_b32_e64 v146, v146, v160, s13
	v_cndmask_b32_e64 v151, v151, v163, s13
	v_cndmask_b32_e32 v152, v152, v160, vcc_lo
	v_cndmask_b32_e64 v153, v153, v149, s3
	v_cmp_eq_u32_e64 s19, 7, v143
	v_cndmask_b32_e64 v146, v146, v135, s15
	v_cndmask_b32_e64 v151, v151, v150, s15
	v_cndmask_b32_e64 v152, v152, v135, s4
	v_cndmask_b32_e64 v154, v154, v159, s18
	v_cmp_eq_u32_e64 s20, 4, v141
	v_cndmask_b32_e64 v165, v146, v162, s9
	v_cndmask_b32_e64 v166, v151, v164, s9
	;; [unrolled: 1-line block ×3, first 2 shown]
	v_or_b32_e32 v146, 3, v142
	v_cndmask_b32_e64 v167, v152, v162, s19
	v_cndmask_b32_e32 v156, v153, v163, vcc_lo
	v_cndmask_b32_e64 v158, v154, v134, s20
	v_cndmask_b32_e64 v157, v151, v148, s10
	ds_load_b128 v[151:154], v145 offset:1024
	v_cmp_eq_u32_e64 s21, 1, v146
	v_cmp_eq_u32_e64 s22, 5, v141
	v_cmp_eq_u32_e64 s23, 2, v146
	v_cndmask_b32_e64 v157, v157, v161, s18
	v_cmp_eq_u32_e64 s24, 3, v146
	v_cndmask_b32_e64 v132, v132, v136, s21
	v_cndmask_b32_e64 v136, v156, v150, s4
	;; [unrolled: 1-line block ×5, first 2 shown]
	ds_load_b128 v[155:158], v145 offset:1040
	v_cndmask_b32_e64 v132, v132, v133, s23
	v_cmp_eq_u32_e64 s26, 4, v146
	v_cmp_eq_u32_e64 s28, 5, v146
	v_cndmask_b32_e64 v147, v147, v148, s23
	v_cmp_eq_u32_e64 s25, 6, v141
	v_cndmask_b32_e64 v132, v132, v159, s24
	;; [unrolled: 2-line block ×3, first 2 shown]
	v_cndmask_b32_e64 v147, v147, v161, s24
	s_waitcnt lgkmcnt(1)
	v_lshrrev_b32_e32 v159, 16, v151
	v_cndmask_b32_e64 v132, v132, v134, s26
	v_cndmask_b32_e64 v148, v168, v135, s25
	;; [unrolled: 1-line block ×6, first 2 shown]
	v_lshrrev_b32_e32 v160, 16, v152
	v_cndmask_b32_e64 v161, v151, v159, s7
	v_cndmask_b32_e64 v134, v134, v163, s28
	s_waitcnt lgkmcnt(0)
	v_lshrrev_b32_e32 v149, 16, v155
	v_cndmask_b32_e64 v147, v147, v152, s11
	v_cndmask_b32_e64 v132, v132, v135, s29
	v_cmp_eq_u32_e64 s27, 7, v141
	v_cndmask_b32_e64 v134, v134, v150, s29
	v_cndmask_b32_e64 v163, v155, v149, s12
	;; [unrolled: 1-line block ×4, first 2 shown]
	v_lshrrev_b32_e32 v161, 16, v156
	v_cndmask_b32_e64 v136, v136, v164, s19
	v_cndmask_b32_e64 v150, v163, v156, s11
	v_cmp_eq_u32_e64 s11, 7, v146
	v_cndmask_b32_e64 v147, v147, v160, s5
	v_cndmask_b32_e64 v135, v135, v153, s17
	v_lshrrev_b32_e32 v163, 16, v153
	v_cndmask_b32_e64 v150, v150, v161, s16
	v_cndmask_b32_e64 v132, v132, v162, s11
	;; [unrolled: 1-line block ×8, first 2 shown]
	v_lshrrev_b32_e32 v164, 16, v157
	v_perm_b32 v135, v134, v132, 0x5040100
	v_cndmask_b32_e32 v132, v147, v163, vcc_lo
	v_cndmask_b32_e64 v147, v162, v154, s15
	v_lshrrev_b32_e32 v162, 16, v154
	v_cndmask_b32_e64 v150, v150, v164, s13
	v_perm_b32 v134, v133, v148, 0x5040100
	v_cndmask_b32_e64 v132, v132, v154, s4
	v_perm_b32 v133, v136, v167, 0x5040100
	v_cndmask_b32_e64 v136, v147, v162, s9
	v_cndmask_b32_e64 v147, v150, v158, s15
	;; [unrolled: 1-line block ×27, first 2 shown]
	v_cndmask_b32_e32 v149, v149, v164, vcc_lo
	v_lshrrev_b32_e32 v148, 16, v158
	v_cndmask_b32_e64 v132, v132, v154, s25
	v_cndmask_b32_e64 v150, v150, v154, s29
	;; [unrolled: 1-line block ×11, first 2 shown]
	v_perm_b32 v132, v166, v165, 0x5040100
	v_perm_b32 v150, v151, v150, 0x5040100
	;; [unrolled: 1-line block ×5, first 2 shown]
	s_mul_i32 s8, s35, 3
	s_mov_b32 s3, exec_lo
	ds_store_b128 v131, v[132:135]
	ds_store_b128 v131, v[147:150] offset:1024
	v_cmpx_gt_u32_e32 3, v0
	s_cbranch_execz .LBB660_78
; %bb.77:
	s_mul_i32 s4, s8, s30
	s_delay_alu instid0(SALU_CYCLE_1) | instskip(SKIP_1) | instid1(VALU_DEP_1)
	v_add3_u32 v133, s4, s31, v140
	s_load_b128 s[4:7], s[0:1], 0x58
	v_mad_u64_u32 v[131:132], null, v133, s34, s[14:15]
	s_delay_alu instid0(VALU_DEP_1) | instskip(NEXT) | instid1(VALU_DEP_1)
	v_ashrrev_i32_e32 v132, 31, v131
	v_lshlrev_b64 v[131:132], 2, v[131:132]
	s_waitcnt lgkmcnt(0)
	s_delay_alu instid0(VALU_DEP_1) | instskip(NEXT) | instid1(VALU_DEP_2)
	v_add_co_u32 v133, vcc_lo, s6, v131
	v_add_co_ci_u32_e32 v134, vcc_lo, s7, v132, vcc_lo
	v_add_co_u32 v131, vcc_lo, s4, v131
	v_add_co_ci_u32_e32 v132, vcc_lo, s5, v132, vcc_lo
	global_store_b32 v[133:134], v129, off
	global_store_b32 v[131:132], v130, off
.LBB660_78:
	s_or_b32 exec_lo, exec_lo, s3
	s_waitcnt lgkmcnt(0)
	s_waitcnt_vscnt null, 0x0
	s_barrier
	buffer_gl0_inv
	ds_load_b128 v[147:150], v144
	ds_load_b128 v[151:154], v144 offset:16
	ds_load_b128 v[159:162], v144 offset:1040
	ds_load_b128 v[155:158], v144 offset:1024
	v_mov_b32_e32 v129, 0
	ds_load_b128 v[167:170], v144 offset:2064
	ds_load_b128 v[163:166], v144 offset:2048
	ds_load_b128 v[175:178], v144 offset:3088
	ds_load_b128 v[171:174], v144 offset:3072
	ds_load_b128 v[183:186], v144 offset:4112
	ds_load_b128 v[179:182], v144 offset:4096
	v_mov_b32_e32 v130, v129
	v_mov_b32_e32 v131, v129
	;; [unrolled: 1-line block ×7, first 2 shown]
	s_waitcnt lgkmcnt(8)
	s_delay_alu instid0(VALU_DEP_1)
	v_wmma_f32_16x16x16_bf16 v[129:136], v[121:128], v[147:154], v[129:136]
	ds_load_b128 v[125:128], v144 offset:5136
	ds_load_b128 v[121:124], v144 offset:5120
	s_waitcnt lgkmcnt(8)
	v_wmma_f32_16x16x16_bf16 v[129:136], v[113:120], v[155:162], v[129:136]
	ds_load_b128 v[117:120], v144 offset:6160
	ds_load_b128 v[113:116], v144 offset:6144
	s_waitcnt lgkmcnt(8)
	;; [unrolled: 4-line block ×8, first 2 shown]
	v_wmma_f32_16x16x16_bf16 v[129:136], v[65:72], v[97:104], v[129:136]
	s_waitcnt lgkmcnt(6)
	s_delay_alu instid0(VALU_DEP_1)
	v_wmma_f32_16x16x16_bf16 v[129:136], v[49:56], v[89:96], v[129:136]
	ds_load_b128 v[53:56], v144 offset:13328
	ds_load_b128 v[49:52], v144 offset:13312
	s_waitcnt lgkmcnt(6)
	v_wmma_f32_16x16x16_bf16 v[129:136], v[41:48], v[81:88], v[129:136]
	ds_load_b128 v[45:48], v144 offset:14352
	ds_load_b128 v[41:44], v144 offset:14336
	s_waitcnt lgkmcnt(6)
	;; [unrolled: 4-line block ×3, first 2 shown]
	v_wmma_f32_16x16x16_bf16 v[129:136], v[1:8], v[57:64], v[129:136]
	s_waitcnt lgkmcnt(4)
	s_delay_alu instid0(VALU_DEP_1) | instskip(SKIP_1) | instid1(VALU_DEP_1)
	v_wmma_f32_16x16x16_bf16 v[129:136], v[25:32], v[49:56], v[129:136]
	s_waitcnt lgkmcnt(2)
	v_wmma_f32_16x16x16_bf16 v[129:136], v[33:40], v[41:48], v[129:136]
	s_waitcnt lgkmcnt(0)
	s_delay_alu instid0(VALU_DEP_1) | instskip(NEXT) | instid1(VALU_DEP_1)
	v_wmma_f32_16x16x16_bf16 v[129:136], v[9:16], v[17:24], v[129:136]
	v_and_b32_e32 v1, 0x7f800000, v129
	s_delay_alu instid0(VALU_DEP_1) | instskip(SKIP_1) | instid1(SALU_CYCLE_1)
	v_cmp_ne_u32_e32 vcc_lo, 0x7f800000, v1
                                        ; implicit-def: $vgpr1
	s_and_saveexec_b32 s3, vcc_lo
	s_xor_b32 s3, exec_lo, s3
; %bb.79:
	v_bfe_u32 v1, v129, 16, 1
	s_delay_alu instid0(VALU_DEP_1)
	v_add3_u32 v1, v129, v1, 0x7fff
; %bb.80:
	s_and_not1_saveexec_b32 s3, s3
; %bb.81:
	v_and_b32_e32 v1, 0xffff, v129
	v_or_b32_e32 v2, 0x10000, v129
	s_delay_alu instid0(VALU_DEP_2) | instskip(NEXT) | instid1(VALU_DEP_2)
	v_cmp_eq_u32_e32 vcc_lo, 0, v1
	v_cndmask_b32_e32 v1, v2, v129, vcc_lo
; %bb.82:
	s_or_b32 exec_lo, exec_lo, s3
	v_and_b32_e32 v2, 0x7f800000, v130
	s_delay_alu instid0(VALU_DEP_1) | instskip(SKIP_1) | instid1(SALU_CYCLE_1)
	v_cmp_ne_u32_e32 vcc_lo, 0x7f800000, v2
                                        ; implicit-def: $vgpr2
	s_and_saveexec_b32 s3, vcc_lo
	s_xor_b32 s3, exec_lo, s3
; %bb.83:
	v_bfe_u32 v2, v130, 16, 1
	s_delay_alu instid0(VALU_DEP_1)
	v_add3_u32 v2, v130, v2, 0x7fff
; %bb.84:
	s_and_not1_saveexec_b32 s3, s3
; %bb.85:
	v_and_b32_e32 v2, 0xffff, v130
	v_or_b32_e32 v3, 0x10000, v130
	s_delay_alu instid0(VALU_DEP_2) | instskip(NEXT) | instid1(VALU_DEP_2)
	v_cmp_eq_u32_e32 vcc_lo, 0, v2
	v_cndmask_b32_e32 v2, v3, v130, vcc_lo
; %bb.86:
	s_or_b32 exec_lo, exec_lo, s3
	v_and_b32_e32 v3, 0x7f800000, v131
	s_delay_alu instid0(VALU_DEP_1) | instskip(SKIP_1) | instid1(SALU_CYCLE_1)
	v_cmp_ne_u32_e32 vcc_lo, 0x7f800000, v3
                                        ; implicit-def: $vgpr3
	s_and_saveexec_b32 s3, vcc_lo
	s_xor_b32 s3, exec_lo, s3
; %bb.87:
	v_bfe_u32 v3, v131, 16, 1
	s_delay_alu instid0(VALU_DEP_1)
	v_add3_u32 v3, v131, v3, 0x7fff
; %bb.88:
	s_and_not1_saveexec_b32 s3, s3
; %bb.89:
	v_and_b32_e32 v3, 0xffff, v131
	v_or_b32_e32 v4, 0x10000, v131
	s_delay_alu instid0(VALU_DEP_2) | instskip(NEXT) | instid1(VALU_DEP_2)
	v_cmp_eq_u32_e32 vcc_lo, 0, v3
	v_cndmask_b32_e32 v3, v4, v131, vcc_lo
; %bb.90:
	s_or_b32 exec_lo, exec_lo, s3
	v_and_b32_e32 v4, 0x7f800000, v132
	s_delay_alu instid0(VALU_DEP_1) | instskip(SKIP_1) | instid1(SALU_CYCLE_1)
	v_cmp_ne_u32_e32 vcc_lo, 0x7f800000, v4
                                        ; implicit-def: $vgpr4
	s_and_saveexec_b32 s3, vcc_lo
	s_xor_b32 s3, exec_lo, s3
; %bb.91:
	v_bfe_u32 v4, v132, 16, 1
	s_delay_alu instid0(VALU_DEP_1)
	v_add3_u32 v4, v132, v4, 0x7fff
; %bb.92:
	s_and_not1_saveexec_b32 s3, s3
; %bb.93:
	v_and_b32_e32 v4, 0xffff, v132
	v_or_b32_e32 v5, 0x10000, v132
	s_delay_alu instid0(VALU_DEP_2) | instskip(NEXT) | instid1(VALU_DEP_2)
	v_cmp_eq_u32_e32 vcc_lo, 0, v4
	v_cndmask_b32_e32 v4, v5, v132, vcc_lo
; %bb.94:
	s_or_b32 exec_lo, exec_lo, s3
	v_and_b32_e32 v5, 0x7f800000, v133
	s_delay_alu instid0(VALU_DEP_1) | instskip(SKIP_1) | instid1(SALU_CYCLE_1)
	v_cmp_ne_u32_e32 vcc_lo, 0x7f800000, v5
                                        ; implicit-def: $vgpr5
	s_and_saveexec_b32 s3, vcc_lo
	s_xor_b32 s3, exec_lo, s3
; %bb.95:
	v_bfe_u32 v5, v133, 16, 1
	s_delay_alu instid0(VALU_DEP_1)
	v_add3_u32 v5, v133, v5, 0x7fff
; %bb.96:
	s_and_not1_saveexec_b32 s3, s3
; %bb.97:
	v_and_b32_e32 v5, 0xffff, v133
	v_or_b32_e32 v6, 0x10000, v133
	s_delay_alu instid0(VALU_DEP_2) | instskip(NEXT) | instid1(VALU_DEP_2)
	v_cmp_eq_u32_e32 vcc_lo, 0, v5
	v_cndmask_b32_e32 v5, v6, v133, vcc_lo
; %bb.98:
	s_or_b32 exec_lo, exec_lo, s3
	v_and_b32_e32 v6, 0x7f800000, v134
	s_delay_alu instid0(VALU_DEP_1) | instskip(SKIP_1) | instid1(SALU_CYCLE_1)
	v_cmp_ne_u32_e32 vcc_lo, 0x7f800000, v6
                                        ; implicit-def: $vgpr6
	s_and_saveexec_b32 s3, vcc_lo
	s_xor_b32 s3, exec_lo, s3
; %bb.99:
	v_bfe_u32 v6, v134, 16, 1
	s_delay_alu instid0(VALU_DEP_1)
	v_add3_u32 v6, v134, v6, 0x7fff
; %bb.100:
	s_and_not1_saveexec_b32 s3, s3
; %bb.101:
	v_and_b32_e32 v6, 0xffff, v134
	v_or_b32_e32 v7, 0x10000, v134
	s_delay_alu instid0(VALU_DEP_2) | instskip(NEXT) | instid1(VALU_DEP_2)
	v_cmp_eq_u32_e32 vcc_lo, 0, v6
	v_cndmask_b32_e32 v6, v7, v134, vcc_lo
; %bb.102:
	s_or_b32 exec_lo, exec_lo, s3
	v_and_b32_e32 v7, 0x7f800000, v135
	s_delay_alu instid0(VALU_DEP_1) | instskip(SKIP_1) | instid1(SALU_CYCLE_1)
	v_cmp_ne_u32_e32 vcc_lo, 0x7f800000, v7
                                        ; implicit-def: $vgpr7
	s_and_saveexec_b32 s3, vcc_lo
	s_xor_b32 s3, exec_lo, s3
; %bb.103:
	v_bfe_u32 v7, v135, 16, 1
	s_delay_alu instid0(VALU_DEP_1)
	v_add3_u32 v7, v135, v7, 0x7fff
; %bb.104:
	s_and_not1_saveexec_b32 s3, s3
; %bb.105:
	v_and_b32_e32 v7, 0xffff, v135
	v_or_b32_e32 v8, 0x10000, v135
	s_delay_alu instid0(VALU_DEP_2) | instskip(NEXT) | instid1(VALU_DEP_2)
	v_cmp_eq_u32_e32 vcc_lo, 0, v7
	v_cndmask_b32_e32 v7, v8, v135, vcc_lo
; %bb.106:
	s_or_b32 exec_lo, exec_lo, s3
	v_and_b32_e32 v8, 0x7f800000, v136
	s_delay_alu instid0(VALU_DEP_1) | instskip(SKIP_1) | instid1(SALU_CYCLE_1)
	v_cmp_ne_u32_e32 vcc_lo, 0x7f800000, v8
                                        ; implicit-def: $vgpr8
	s_and_saveexec_b32 s3, vcc_lo
	s_xor_b32 s3, exec_lo, s3
; %bb.107:
	v_bfe_u32 v8, v136, 16, 1
	s_delay_alu instid0(VALU_DEP_1)
	v_add3_u32 v8, v136, v8, 0x7fff
                                        ; implicit-def: $vgpr129_vgpr130_vgpr131_vgpr132_vgpr133_vgpr134_vgpr135_vgpr136
; %bb.108:
	s_and_not1_saveexec_b32 s3, s3
; %bb.109:
	v_and_b32_e32 v8, 0xffff, v136
	v_or_b32_e32 v9, 0x10000, v136
	s_delay_alu instid0(VALU_DEP_2) | instskip(NEXT) | instid1(VALU_DEP_2)
	v_cmp_eq_u32_e32 vcc_lo, 0, v8
	v_cndmask_b32_e32 v8, v9, v136, vcc_lo
; %bb.110:
	s_or_b32 exec_lo, exec_lo, s3
	s_delay_alu instid0(VALU_DEP_1)
	v_perm_b32 v7, v8, v7, 0x7060302
	v_perm_b32 v6, v6, v5, 0x7060302
	;; [unrolled: 1-line block ×4, first 2 shown]
	v_lshl_or_b32 v9, v138, 4, v145
	s_barrier
	buffer_gl0_inv
	v_cmp_eq_u32_e32 vcc_lo, 1, v142
	ds_store_b128 v9, v[4:7]
	s_waitcnt lgkmcnt(0)
	s_barrier
	buffer_gl0_inv
	ds_load_b128 v[1:4], v145
	ds_load_b128 v[5:8], v145 offset:16
	v_cmp_eq_u32_e64 s4, 2, v142
	v_cmp_eq_u32_e64 s3, 1, v143
	;; [unrolled: 1-line block ×5, first 2 shown]
	s_waitcnt lgkmcnt(1)
	v_lshrrev_b32_e32 v10, 16, v1
	s_waitcnt lgkmcnt(0)
	v_lshrrev_b32_e32 v14, 16, v5
	v_lshrrev_b32_e32 v15, 16, v6
	;; [unrolled: 1-line block ×4, first 2 shown]
	v_cndmask_b32_e64 v20, v1, v10, s3
	v_cndmask_b32_e32 v19, v5, v14, vcc_lo
	v_cndmask_b32_e64 v21, v5, v14, s3
	v_lshrrev_b32_e32 v16, 16, v7
	v_cmp_eq_u32_e64 s3, 1, v141
	v_lshrrev_b32_e32 v13, 16, v4
	v_cndmask_b32_e64 v19, v19, v6, s4
	v_lshrrev_b32_e32 v17, 16, v8
	s_delay_alu instid0(VALU_DEP_4) | instskip(SKIP_1) | instid1(VALU_DEP_4)
	v_cndmask_b32_e64 v22, v1, v10, s3
	v_cndmask_b32_e64 v23, v5, v14, s3
	;; [unrolled: 1-line block ×3, first 2 shown]
	v_cndmask_b32_e32 v18, v1, v10, vcc_lo
	v_cmp_eq_u32_e32 vcc_lo, 2, v143
	v_cmp_eq_u32_e64 s3, 2, v146
	v_cndmask_b32_e64 v22, v22, v2, s7
	v_cndmask_b32_e32 v20, v20, v2, vcc_lo
	v_cndmask_b32_e32 v21, v21, v6, vcc_lo
	v_cmp_eq_u32_e32 vcc_lo, 4, v142
	v_cndmask_b32_e32 v19, v19, v7, vcc_lo
	v_cndmask_b32_e64 v18, v18, v2, s4
	v_cmp_eq_u32_e64 s4, 3, v143
	s_delay_alu instid0(VALU_DEP_2) | instskip(NEXT) | instid1(VALU_DEP_2)
	v_cndmask_b32_e64 v18, v18, v11, s5
	v_cndmask_b32_e64 v21, v21, v15, s4
	v_cmp_eq_u32_e64 s5, 5, v142
	s_delay_alu instid0(VALU_DEP_3) | instskip(SKIP_1) | instid1(VALU_DEP_3)
	v_cndmask_b32_e32 v18, v18, v3, vcc_lo
	v_cmp_eq_u32_e32 vcc_lo, 4, v143
	v_cndmask_b32_e64 v19, v19, v16, s5
	s_delay_alu instid0(VALU_DEP_3) | instskip(SKIP_4) | instid1(VALU_DEP_3)
	v_cndmask_b32_e64 v18, v18, v12, s5
	v_cndmask_b32_e32 v21, v21, v7, vcc_lo
	v_cndmask_b32_e64 v20, v20, v11, s4
	v_cmp_eq_u32_e64 s4, 5, v143
	v_cmp_eq_u32_e64 s5, 6, v142
	v_cndmask_b32_e32 v20, v20, v3, vcc_lo
	s_delay_alu instid0(VALU_DEP_3) | instskip(SKIP_1) | instid1(VALU_DEP_4)
	v_cndmask_b32_e64 v21, v21, v16, s4
	v_cmp_eq_u32_e32 vcc_lo, 6, v143
	v_cndmask_b32_e64 v18, v18, v4, s5
	v_cndmask_b32_e64 v19, v19, v8, s5
	;; [unrolled: 1-line block ×3, first 2 shown]
	v_cmp_eq_u32_e64 s4, 1, v146
	v_cmp_eq_u32_e64 s5, 7, v142
	s_delay_alu instid0(VALU_DEP_3) | instskip(NEXT) | instid1(VALU_DEP_3)
	v_cndmask_b32_e32 v20, v20, v4, vcc_lo
	v_cndmask_b32_e64 v1, v1, v10, s4
	v_cndmask_b32_e64 v5, v5, v14, s4
	v_cmp_eq_u32_e64 s4, 3, v141
	v_cndmask_b32_e64 v14, v23, v6, s7
	v_cmp_eq_u32_e64 s7, 3, v146
	v_cndmask_b32_e64 v1, v1, v2, s3
	v_cndmask_b32_e64 v2, v5, v6, s3
	;; [unrolled: 1-line block ×3, first 2 shown]
	v_cmp_eq_u32_e64 s3, 4, v141
	v_cndmask_b32_e64 v6, v14, v15, s4
	v_cndmask_b32_e64 v1, v1, v11, s7
	v_cmp_eq_u32_e64 s4, 4, v146
	v_cndmask_b32_e64 v2, v2, v15, s7
	v_cndmask_b32_e64 v5, v10, v3, s3
	;; [unrolled: 3-line block ×3, first 2 shown]
	v_cndmask_b32_e64 v2, v2, v7, s4
	v_cmp_eq_u32_e64 s3, 5, v146
	v_cndmask_b32_e64 v5, v5, v12, s7
	v_cmp_eq_u32_e64 s4, 6, v141
	v_cndmask_b32_e64 v3, v6, v16, s7
	v_cmp_eq_u32_e64 s7, 6, v146
	v_cndmask_b32_e64 v1, v1, v12, s3
	v_cndmask_b32_e64 v2, v2, v16, s3
	;; [unrolled: 1-line block ×4, first 2 shown]
	v_cmp_eq_u32_e64 s3, 7, v146
	v_cndmask_b32_e64 v1, v1, v4, s7
	v_cndmask_b32_e64 v2, v2, v8, s7
	v_cmp_eq_u32_e64 s4, 7, v141
	v_cndmask_b32_e32 v4, v21, v8, vcc_lo
	v_cndmask_b32_e64 v18, v18, v13, s5
	v_cndmask_b32_e64 v20, v20, v13, s6
	;; [unrolled: 1-line block ×8, first 2 shown]
	s_mov_b32 s3, exec_lo
	v_perm_b32 v4, v2, v1, 0x5040100
	v_perm_b32 v3, v3, v5, 0x5040100
	;; [unrolled: 1-line block ×4, first 2 shown]
	ds_store_b128 v9, v[1:4]
	s_waitcnt lgkmcnt(0)
	s_barrier
	buffer_gl0_inv
	v_cmpx_gt_u32_e32 32, v0
	s_cbranch_execz .LBB660_2
; %bb.111:
	s_load_b64 s[4:5], s[0:1], 0x68
	v_lshlrev_b32_e32 v0, 10, v0
	v_lshlrev_b32_e32 v2, 4, v139
	v_add_nc_u32_e32 v1, s31, v138
	s_lshl_b32 s0, s34, 7
	s_delay_alu instid0(SALU_CYCLE_1) | instskip(NEXT) | instid1(VALU_DEP_2)
	s_mul_i32 s1, s0, s30
	v_and_or_b32 v0, 0x3800, v0, v2
	s_mul_i32 s6, s1, s8
	v_mul_lo_u32 v1, v1, s0
	s_ashr_i32 s7, s6, 31
	s_delay_alu instid0(VALU_DEP_2) | instskip(SKIP_1) | instid1(VALU_DEP_2)
	v_lshl_or_b32 v3, v138, 6, v0
	s_lshl_b64 s[6:7], s[6:7], 1
	v_ashrrev_i32_e32 v2, 31, v1
	ds_load_b128 v[3:6], v3
	s_waitcnt lgkmcnt(0)
	s_add_u32 s1, s4, s6
	s_addc_u32 s3, s5, s7
	s_lshl_b32 s4, s14, 7
	v_lshlrev_b64 v[7:8], 1, v[1:2]
	s_ashr_i32 s5, s4, 31
	s_delay_alu instid0(SALU_CYCLE_1) | instskip(NEXT) | instid1(SALU_CYCLE_1)
	s_lshl_b64 s[4:5], s[4:5], 1
	s_add_u32 s1, s1, s4
	s_addc_u32 s3, s3, s5
	v_add_co_u32 v1, s1, s1, v137
	s_delay_alu instid0(VALU_DEP_1) | instskip(NEXT) | instid1(VALU_DEP_2)
	v_add_co_ci_u32_e64 v2, null, s3, 0, s1
	v_add_co_u32 v7, vcc_lo, v1, v7
	s_delay_alu instid0(VALU_DEP_2)
	v_add_co_ci_u32_e32 v8, vcc_lo, v2, v8, vcc_lo
	global_store_b128 v[7:8], v[3:6], off
	s_and_b32 exec_lo, exec_lo, s2
	s_cbranch_execz .LBB660_2
; %bb.112:
	ds_load_b128 v[3:6], v0 offset:128
	s_add_i32 s1, s31, 2
	s_delay_alu instid0(SALU_CYCLE_1) | instskip(NEXT) | instid1(SALU_CYCLE_1)
	s_mul_i32 s0, s1, s0
	s_ashr_i32 s1, s0, 31
	s_delay_alu instid0(SALU_CYCLE_1) | instskip(NEXT) | instid1(SALU_CYCLE_1)
	s_lshl_b64 s[0:1], s[0:1], 1
	v_add_co_u32 v0, vcc_lo, v1, s0
	v_add_co_ci_u32_e32 v1, vcc_lo, s1, v2, vcc_lo
	s_waitcnt lgkmcnt(0)
	global_store_b128 v[0:1], v[3:6], off
	s_nop 0
	s_sendmsg sendmsg(MSG_DEALLOC_VGPRS)
	s_endpgm
	.section	.rodata,"a",@progbits
	.p2align	6, 0x0
	.amdhsa_kernel _Z39paged_attention_ll4mi_QKV_mfma16_kernelI14__hip_bfloat16S0_LN4vllm18Fp8KVCacheDataTypeE0ES0_Li16ELi128ELi256ELb1ELi3EL8MFMAType0EEvPKT_PKT0_S9_ifPKiSB_SB_iPKfiiiPfSE_PS4_PT2_iSD_SD_
		.amdhsa_group_segment_fixed_size 17472
		.amdhsa_private_segment_fixed_size 0
		.amdhsa_kernarg_size 400
		.amdhsa_user_sgpr_count 13
		.amdhsa_user_sgpr_dispatch_ptr 0
		.amdhsa_user_sgpr_queue_ptr 0
		.amdhsa_user_sgpr_kernarg_segment_ptr 1
		.amdhsa_user_sgpr_dispatch_id 0
		.amdhsa_user_sgpr_private_segment_size 0
		.amdhsa_wavefront_size32 1
		.amdhsa_uses_dynamic_stack 0
		.amdhsa_enable_private_segment 0
		.amdhsa_system_sgpr_workgroup_id_x 1
		.amdhsa_system_sgpr_workgroup_id_y 1
		.amdhsa_system_sgpr_workgroup_id_z 1
		.amdhsa_system_sgpr_workgroup_info 0
		.amdhsa_system_vgpr_workitem_id 0
		.amdhsa_next_free_vgpr 218
		.amdhsa_next_free_sgpr 50
		.amdhsa_reserve_vcc 1
		.amdhsa_float_round_mode_32 0
		.amdhsa_float_round_mode_16_64 0
		.amdhsa_float_denorm_mode_32 3
		.amdhsa_float_denorm_mode_16_64 3
		.amdhsa_dx10_clamp 1
		.amdhsa_ieee_mode 1
		.amdhsa_fp16_overflow 0
		.amdhsa_workgroup_processor_mode 1
		.amdhsa_memory_ordered 1
		.amdhsa_forward_progress 0
		.amdhsa_shared_vgpr_count 0
		.amdhsa_exception_fp_ieee_invalid_op 0
		.amdhsa_exception_fp_denorm_src 0
		.amdhsa_exception_fp_ieee_div_zero 0
		.amdhsa_exception_fp_ieee_overflow 0
		.amdhsa_exception_fp_ieee_underflow 0
		.amdhsa_exception_fp_ieee_inexact 0
		.amdhsa_exception_int_div_zero 0
	.end_amdhsa_kernel
	.section	.text._Z39paged_attention_ll4mi_QKV_mfma16_kernelI14__hip_bfloat16S0_LN4vllm18Fp8KVCacheDataTypeE0ES0_Li16ELi128ELi256ELb1ELi3EL8MFMAType0EEvPKT_PKT0_S9_ifPKiSB_SB_iPKfiiiPfSE_PS4_PT2_iSD_SD_,"axG",@progbits,_Z39paged_attention_ll4mi_QKV_mfma16_kernelI14__hip_bfloat16S0_LN4vllm18Fp8KVCacheDataTypeE0ES0_Li16ELi128ELi256ELb1ELi3EL8MFMAType0EEvPKT_PKT0_S9_ifPKiSB_SB_iPKfiiiPfSE_PS4_PT2_iSD_SD_,comdat
.Lfunc_end660:
	.size	_Z39paged_attention_ll4mi_QKV_mfma16_kernelI14__hip_bfloat16S0_LN4vllm18Fp8KVCacheDataTypeE0ES0_Li16ELi128ELi256ELb1ELi3EL8MFMAType0EEvPKT_PKT0_S9_ifPKiSB_SB_iPKfiiiPfSE_PS4_PT2_iSD_SD_, .Lfunc_end660-_Z39paged_attention_ll4mi_QKV_mfma16_kernelI14__hip_bfloat16S0_LN4vllm18Fp8KVCacheDataTypeE0ES0_Li16ELi128ELi256ELb1ELi3EL8MFMAType0EEvPKT_PKT0_S9_ifPKiSB_SB_iPKfiiiPfSE_PS4_PT2_iSD_SD_
                                        ; -- End function
	.section	.AMDGPU.csdata,"",@progbits
; Kernel info:
; codeLenInByte = 10164
; NumSgprs: 52
; NumVgprs: 218
; ScratchSize: 0
; MemoryBound: 0
; FloatMode: 240
; IeeeMode: 1
; LDSByteSize: 17472 bytes/workgroup (compile time only)
; SGPRBlocks: 6
; VGPRBlocks: 27
; NumSGPRsForWavesPerEU: 52
; NumVGPRsForWavesPerEU: 218
; Occupancy: 6
; WaveLimiterHint : 1
; COMPUTE_PGM_RSRC2:SCRATCH_EN: 0
; COMPUTE_PGM_RSRC2:USER_SGPR: 13
; COMPUTE_PGM_RSRC2:TRAP_HANDLER: 0
; COMPUTE_PGM_RSRC2:TGID_X_EN: 1
; COMPUTE_PGM_RSRC2:TGID_Y_EN: 1
; COMPUTE_PGM_RSRC2:TGID_Z_EN: 1
; COMPUTE_PGM_RSRC2:TIDIG_COMP_CNT: 0
	.section	.text._Z39paged_attention_ll4mi_QKV_mfma16_kernelI14__hip_bfloat16S0_LN4vllm18Fp8KVCacheDataTypeE0ES0_Li16ELi128ELi256ELb1ELi4EL8MFMAType0EEvPKT_PKT0_S9_ifPKiSB_SB_iPKfiiiPfSE_PS4_PT2_iSD_SD_,"axG",@progbits,_Z39paged_attention_ll4mi_QKV_mfma16_kernelI14__hip_bfloat16S0_LN4vllm18Fp8KVCacheDataTypeE0ES0_Li16ELi128ELi256ELb1ELi4EL8MFMAType0EEvPKT_PKT0_S9_ifPKiSB_SB_iPKfiiiPfSE_PS4_PT2_iSD_SD_,comdat
	.protected	_Z39paged_attention_ll4mi_QKV_mfma16_kernelI14__hip_bfloat16S0_LN4vllm18Fp8KVCacheDataTypeE0ES0_Li16ELi128ELi256ELb1ELi4EL8MFMAType0EEvPKT_PKT0_S9_ifPKiSB_SB_iPKfiiiPfSE_PS4_PT2_iSD_SD_ ; -- Begin function _Z39paged_attention_ll4mi_QKV_mfma16_kernelI14__hip_bfloat16S0_LN4vllm18Fp8KVCacheDataTypeE0ES0_Li16ELi128ELi256ELb1ELi4EL8MFMAType0EEvPKT_PKT0_S9_ifPKiSB_SB_iPKfiiiPfSE_PS4_PT2_iSD_SD_
	.globl	_Z39paged_attention_ll4mi_QKV_mfma16_kernelI14__hip_bfloat16S0_LN4vllm18Fp8KVCacheDataTypeE0ES0_Li16ELi128ELi256ELb1ELi4EL8MFMAType0EEvPKT_PKT0_S9_ifPKiSB_SB_iPKfiiiPfSE_PS4_PT2_iSD_SD_
	.p2align	8
	.type	_Z39paged_attention_ll4mi_QKV_mfma16_kernelI14__hip_bfloat16S0_LN4vllm18Fp8KVCacheDataTypeE0ES0_Li16ELi128ELi256ELb1ELi4EL8MFMAType0EEvPKT_PKT0_S9_ifPKiSB_SB_iPKfiiiPfSE_PS4_PT2_iSD_SD_,@function
_Z39paged_attention_ll4mi_QKV_mfma16_kernelI14__hip_bfloat16S0_LN4vllm18Fp8KVCacheDataTypeE0ES0_Li16ELi128ELi256ELb1ELi4EL8MFMAType0EEvPKT_PKT0_S9_ifPKiSB_SB_iPKfiiiPfSE_PS4_PT2_iSD_SD_: ; @_Z39paged_attention_ll4mi_QKV_mfma16_kernelI14__hip_bfloat16S0_LN4vllm18Fp8KVCacheDataTypeE0ES0_Li16ELi128ELi256ELb1ELi4EL8MFMAType0EEvPKT_PKT0_S9_ifPKiSB_SB_iPKfiiiPfSE_PS4_PT2_iSD_SD_
; %bb.0:
	s_load_b64 s[4:5], s[0:1], 0x30
	s_mov_b32 s30, s13
	s_waitcnt lgkmcnt(0)
	s_cmp_lg_u64 s[4:5], 0
	s_cselect_b32 s12, -1, 0
	s_ashr_i32 s31, s13, 31
	s_cmp_eq_u64 s[4:5], 0
	s_cbranch_scc1 .LBB661_3
; %bb.1:
	s_lshl_b64 s[2:3], s[30:31], 2
	s_delay_alu instid0(SALU_CYCLE_1) | instskip(SKIP_4) | instid1(SALU_CYCLE_1)
	s_add_u32 s2, s4, s2
	s_addc_u32 s3, s5, s3
	s_load_b64 s[2:3], s[2:3], 0x0
	s_waitcnt lgkmcnt(0)
	s_sub_i32 s2, s3, s2
	s_cmp_eq_u32 s2, 1
	s_cselect_b32 s2, -1, 0
	s_delay_alu instid0(SALU_CYCLE_1)
	s_and_not1_b32 vcc_lo, exec_lo, s2
	s_cbranch_vccz .LBB661_4
.LBB661_2:
	s_endpgm
.LBB661_3:
.LBB661_4:
	s_load_b64 s[2:3], s[0:1], 0x28
	s_lshl_b64 s[6:7], s[30:31], 2
	s_waitcnt lgkmcnt(0)
	s_add_u32 s2, s2, s6
	s_addc_u32 s3, s3, s7
	s_lshl_b32 s31, s14, 8
	s_load_b32 s28, s[2:3], 0x0
	s_waitcnt lgkmcnt(0)
	s_cmp_ge_i32 s31, s28
	s_cbranch_scc1 .LBB661_2
; %bb.5:
	s_clause 0x1
	s_load_b128 s[8:11], s[0:1], 0x8
	s_load_b64 s[2:3], s[0:1], 0x20
	s_and_not1_b32 vcc_lo, exec_lo, s12
	s_cbranch_vccnz .LBB661_7
; %bb.6:
	s_add_u32 s4, s4, s6
	s_addc_u32 s5, s5, s7
	s_load_b32 s12, s[4:5], 0x0
	s_branch .LBB661_8
.LBB661_7:
	s_mov_b32 s12, s30
.LBB661_8:
	s_load_b128 s[4:7], s[0:1], 0x48
	v_and_b32_e32 v141, 15, v0
	v_lshrrev_b32_e32 v140, 5, v0
	v_and_b32_e32 v142, 31, v0
	v_and_b32_e32 v139, 1, v0
	v_bfe_u32 v138, v0, 4, 1
	v_lshlrev_b32_e32 v1, 3, v141
	s_lshl_b32 s29, s15, 2
	s_waitcnt lgkmcnt(0)
	s_mov_b32 s7, exec_lo
	s_delay_alu instid0(VALU_DEP_1)
	v_lshlrev_b32_e32 v137, 1, v1
	v_cmpx_gt_u32_e32 64, v0
	s_cbranch_execz .LBB661_10
; %bb.9:
	v_lshl_or_b32 v5, v140, 1, v138
	s_load_b64 s[16:17], s[0:1], 0x0
	s_mul_hi_i32 s13, s12, s4
	s_mul_i32 s12, s12, s4
	v_lshlrev_b32_e32 v6, 10, v141
	v_or_b32_e32 v1, s29, v5
	s_lshl_b64 s[12:13], s[12:13], 1
	v_lshlrev_b32_e32 v5, 6, v5
	v_lshlrev_b32_e32 v7, 10, v139
	v_and_b32_e32 v6, 0x3800, v6
	v_lshlrev_b32_e32 v1, 7, v1
	s_delay_alu instid0(VALU_DEP_2) | instskip(NEXT) | instid1(VALU_DEP_2)
	v_or3_b32 v5, v6, v7, v5
	v_ashrrev_i32_e32 v2, 31, v1
	s_delay_alu instid0(VALU_DEP_1) | instskip(SKIP_3) | instid1(VALU_DEP_1)
	v_lshlrev_b64 v[1:2], 1, v[1:2]
	s_waitcnt lgkmcnt(0)
	s_add_u32 s4, s16, s12
	s_addc_u32 s12, s17, s13
	v_add_co_u32 v1, vcc_lo, s4, v1
	s_delay_alu instid0(VALU_DEP_2) | instskip(NEXT) | instid1(VALU_DEP_2)
	v_add_co_ci_u32_e32 v2, vcc_lo, s12, v2, vcc_lo
	v_add_co_u32 v1, vcc_lo, v1, v137
	s_delay_alu instid0(VALU_DEP_2)
	v_add_co_ci_u32_e32 v2, vcc_lo, 0, v2, vcc_lo
	global_load_b128 v[1:4], v[1:2], off
	s_waitcnt vmcnt(0)
	ds_store_b128 v5, v[1:4]
.LBB661_10:
	s_or_b32 exec_lo, exec_lo, s7
	s_mov_b32 s36, 0
	s_add_i32 s4, s28, 15
	s_mov_b32 s37, s36
	s_mov_b32 s38, s36
	s_mov_b32 s39, s36
	s_mov_b32 s40, s36
	s_mov_b32 s41, s36
	s_mov_b32 s42, s36
	s_mov_b32 s43, s36
	s_delay_alu instid0(SALU_CYCLE_1)
	v_dual_mov_b32 v136, s43 :: v_dual_and_b32 v1, 0xef, v0
	v_mov_b32_e32 v134, s41
	s_clause 0x1
	s_load_b32 s7, s[0:1], 0x38
	s_load_b32 s33, s[0:1], 0x1c
	v_add_nc_u32_e32 v1, s31, v1
	s_ashr_i32 s12, s4, 31
	s_waitcnt lgkmcnt(0)
	s_lshr_b32 s12, s12, 28
	s_barrier
	v_ashrrev_i32_e32 v2, 31, v1
	s_add_i32 s4, s4, s12
	v_cmp_gt_i32_e32 vcc_lo, s28, v1
	v_mov_b32_e32 v135, s42
	s_ashr_i32 s4, s4, 4
	v_lshrrev_b32_e32 v3, 28, v2
	v_or_b32_e32 v2, 16, v1
	s_add_i32 s4, s4, -1
	v_mov_b32_e32 v132, s39
	buffer_gl0_inv
	v_add_nc_u32_e32 v4, v1, v3
	v_add_nc_u32_e32 v3, v2, v3
	v_and_b32_e32 v105, 3, v0
	v_lshlrev_b32_e32 v106, 5, v141
	s_mul_i32 s12, s30, s7
	v_ashrrev_i32_e32 v4, 4, v4
	v_ashrrev_i32_e32 v3, 4, v3
	s_ashr_i32 s13, s12, 31
	v_lshlrev_b32_e32 v215, 6, v105
	s_lshl_b64 s[12:13], s[12:13], 2
	v_cndmask_b32_e32 v1, s4, v4, vcc_lo
	v_cmp_gt_i32_e32 vcc_lo, s28, v2
	s_add_u32 s34, s2, s12
	s_addc_u32 s35, s3, s13
	s_mul_i32 s2, s15, s6
	v_ashrrev_i32_e32 v2, 31, v1
	v_cndmask_b32_e32 v3, s4, v3, vcc_lo
	s_ashr_i32 s3, s2, 31
	v_lshl_or_b32 v125, v140, 9, v106
	s_lshl_b64 s[2:3], s[2:3], 1
	v_lshlrev_b64 v[1:2], 2, v[1:2]
	v_ashrrev_i32_e32 v4, 31, v3
	s_add_u32 s22, s8, s2
	s_addc_u32 s23, s9, s3
	s_lshl_b32 s6, s14, 4
	v_mov_b32_e32 v133, s40
	v_lshlrev_b64 v[3:4], 2, v[3:4]
	v_add_co_u32 v1, vcc_lo, s34, v1
	v_add_co_ci_u32_e32 v2, vcc_lo, s35, v2, vcc_lo
	s_ashr_i32 s7, s6, 31
	s_delay_alu instid0(VALU_DEP_3) | instskip(NEXT) | instid1(VALU_DEP_4)
	v_add_co_u32 v3, vcc_lo, s34, v3
	v_add_co_ci_u32_e32 v4, vcc_lo, s35, v4, vcc_lo
	s_clause 0x1
	global_load_b32 v5, v[1:2], off
	global_load_b32 v6, v[3:4], off
	s_lshl_b64 s[6:7], s[6:7], 2
	v_dual_mov_b32 v130, s37 :: v_dual_lshlrev_b32 v3, 4, v0
	s_add_u32 s6, s34, s6
	s_addc_u32 s7, s35, s7
	s_or_b32 s8, s31, 16
	v_mov_b32_e32 v131, s38
	s_ashr_i32 s9, s8, 4
	s_cmp_lt_i32 s8, s28
	v_mov_b32_e32 v129, s36
	s_cselect_b32 s8, s9, s4
	s_delay_alu instid0(SALU_CYCLE_1) | instskip(NEXT) | instid1(SALU_CYCLE_1)
	s_ashr_i32 s9, s8, 31
	s_lshl_b64 s[8:9], s[8:9], 2
	s_delay_alu instid0(SALU_CYCLE_1) | instskip(SKIP_2) | instid1(SALU_CYCLE_1)
	s_add_u32 s8, s34, s8
	s_addc_u32 s9, s35, s9
	s_or_b32 s12, s31, 32
	s_ashr_i32 s13, s12, 4
	s_cmp_lt_i32 s12, s28
	s_cselect_b32 s12, s13, s4
	s_delay_alu instid0(SALU_CYCLE_1) | instskip(NEXT) | instid1(SALU_CYCLE_1)
	s_ashr_i32 s13, s12, 31
	s_lshl_b64 s[12:13], s[12:13], 2
	s_delay_alu instid0(SALU_CYCLE_1) | instskip(SKIP_2) | instid1(SALU_CYCLE_1)
	s_add_u32 s12, s34, s12
	s_addc_u32 s13, s35, s13
	s_or_b32 s15, s31, 48
	s_ashr_i32 s16, s15, 4
	s_cmp_lt_i32 s15, s28
	;; [unrolled: 10-line block ×4, first 2 shown]
	s_cselect_b32 s20, s20, s4
	s_delay_alu instid0(SALU_CYCLE_1) | instskip(NEXT) | instid1(SALU_CYCLE_1)
	s_ashr_i32 s21, s20, 31
	s_lshl_b64 s[20:21], s[20:21], 2
	s_delay_alu instid0(SALU_CYCLE_1)
	s_add_u32 s20, s34, s20
	s_addc_u32 s21, s35, s21
	s_clause 0x5
	s_load_b32 s6, s[6:7], 0x0
	s_load_b32 s8, s[8:9], 0x0
	;; [unrolled: 1-line block ×6, first 2 shown]
	s_waitcnt vmcnt(1)
	v_mad_i64_i32 v[1:2], null, v5, s5, 0
	v_and_b32_e32 v5, 0xf0, v3
	s_waitcnt vmcnt(0)
	v_mad_i64_i32 v[3:4], null, v6, s5, 0
	s_delay_alu instid0(VALU_DEP_2) | instskip(NEXT) | instid1(VALU_DEP_4)
	v_add_co_u32 v5, s7, s22, v5
	v_lshlrev_b64 v[1:2], 1, v[1:2]
	v_add_co_ci_u32_e64 v6, null, s23, 0, s7
	s_delay_alu instid0(VALU_DEP_4) | instskip(SKIP_1) | instid1(VALU_DEP_3)
	v_lshlrev_b64 v[3:4], 1, v[3:4]
	s_or_b32 s7, s31, 0x60
	v_add_co_u32 v121, vcc_lo, v5, v1
	s_delay_alu instid0(VALU_DEP_3) | instskip(NEXT) | instid1(VALU_DEP_3)
	v_add_co_ci_u32_e32 v122, vcc_lo, v6, v2, vcc_lo
	v_add_co_u32 v123, vcc_lo, v5, v3
	s_delay_alu instid0(VALU_DEP_4)
	v_add_co_ci_u32_e32 v124, vcc_lo, v6, v4, vcc_lo
	s_clause 0x19
	global_load_b128 v[89:92], v[121:122], off
	global_load_b128 v[93:96], v[121:122], off offset:256
	global_load_b128 v[97:100], v[123:124], off
	global_load_b128 v[101:104], v[123:124], off offset:256
	global_load_b128 v[81:84], v[121:122], off offset:512
	;; [unrolled: 1-line block ×23, first 2 shown]
	s_ashr_i32 s9, s7, 4
	s_cmp_lt_i32 s7, s28
	ds_load_b128 v[105:108], v215
	ds_load_b128 v[109:112], v215 offset:1024
	s_cselect_b32 s20, s9, s4
	ds_load_b128 v[113:116], v215 offset:2048
	ds_load_b128 v[117:120], v215 offset:3072
	s_ashr_i32 s21, s20, 31
	ds_load_b128 v[143:146], v215 offset:4096
	ds_load_b128 v[147:150], v215 offset:5120
	s_lshl_b64 s[20:21], s[20:21], 2
	ds_load_b128 v[151:154], v215 offset:6144
	ds_load_b128 v[155:158], v215 offset:7168
	s_add_u32 s20, s34, s20
	s_addc_u32 s21, s35, s21
	s_or_b32 s7, s31, 0x70
	ds_load_b128 v[159:162], v215 offset:8192
	ds_load_b128 v[163:166], v215 offset:9216
	s_ashr_i32 s9, s7, 4
	s_cmp_lt_i32 s7, s28
	s_clause 0x1
	global_load_b128 v[167:170], v[123:124], off offset:3072
	global_load_b128 v[171:174], v[123:124], off offset:3328
	s_cselect_b32 s22, s9, s4
	s_delay_alu instid0(SALU_CYCLE_1) | instskip(NEXT) | instid1(SALU_CYCLE_1)
	s_ashr_i32 s23, s22, 31
	s_lshl_b64 s[22:23], s[22:23], 2
	s_delay_alu instid0(SALU_CYCLE_1)
	s_add_u32 s22, s34, s22
	s_addc_u32 s23, s35, s23
	s_clause 0x1
	s_load_b32 s42, s[20:21], 0x0
	s_load_b32 s43, s[22:23], 0x0
	s_clause 0x3
	global_load_b128 v[175:178], v[121:122], off offset:3584
	global_load_b128 v[179:182], v[121:122], off offset:3840
	;; [unrolled: 1-line block ×4, first 2 shown]
	s_or_b32 s7, s31, 0x80
	s_delay_alu instid0(SALU_CYCLE_1) | instskip(SKIP_2) | instid1(SALU_CYCLE_1)
	s_ashr_i32 s9, s7, 4
	s_cmp_lt_i32 s7, s28
	s_cselect_b32 s24, s9, s4
	s_ashr_i32 s25, s24, 31
	s_delay_alu instid0(SALU_CYCLE_1) | instskip(NEXT) | instid1(SALU_CYCLE_1)
	s_lshl_b64 s[24:25], s[24:25], 2
	s_add_u32 s24, s34, s24
	s_addc_u32 s25, s35, s25
	s_or_b32 s7, s31, 0x90
	s_load_b32 s44, s[24:25], 0x0
	s_ashr_i32 s9, s7, 4
	s_cmp_lt_i32 s7, s28
	s_cselect_b32 s26, s9, s4
	s_delay_alu instid0(SALU_CYCLE_1) | instskip(NEXT) | instid1(SALU_CYCLE_1)
	s_ashr_i32 s27, s26, 31
	s_lshl_b64 s[26:27], s[26:27], 2
	s_delay_alu instid0(SALU_CYCLE_1) | instskip(SKIP_2) | instid1(SALU_CYCLE_1)
	s_add_u32 s26, s34, s26
	s_addc_u32 s27, s35, s27
	s_or_b32 s7, s31, 0xa0
	s_ashr_i32 s9, s7, 4
	s_cmp_lt_i32 s7, s28
	s_waitcnt lgkmcnt(0)
	s_mul_hi_i32 s7, s6, s5
	s_cselect_b32 s36, s9, s4
	s_mul_i32 s6, s6, s5
	s_ashr_i32 s37, s36, 31
	s_delay_alu instid0(SALU_CYCLE_1) | instskip(NEXT) | instid1(SALU_CYCLE_1)
	s_lshl_b64 s[36:37], s[36:37], 2
	s_add_u32 s36, s34, s36
	s_addc_u32 s37, s35, s37
	s_or_b32 s9, s31, 0xb0
	s_delay_alu instid0(SALU_CYCLE_1)
	s_ashr_i32 s13, s9, 4
	s_cmp_lt_i32 s9, s28
	s_mul_hi_i32 s9, s8, s5
	s_cselect_b32 s38, s13, s4
	s_mul_i32 s8, s8, s5
	s_ashr_i32 s39, s38, 31
	s_mul_hi_i32 s13, s12, s5
	s_lshl_b64 s[38:39], s[38:39], 2
	s_mul_i32 s12, s12, s5
	s_add_u32 s40, s34, s38
	s_addc_u32 s41, s35, s39
	s_or_b32 s17, s31, 0xc0
	s_delay_alu instid0(SALU_CYCLE_1)
	s_ashr_i32 s19, s17, 4
	s_cmp_lt_i32 s17, s28
	s_mul_hi_i32 s17, s16, s5
	s_cselect_b32 s38, s19, s4
	s_mul_i32 s16, s16, s5
	s_ashr_i32 s39, s38, 31
	s_mul_hi_i32 s19, s18, s5
	s_lshl_b64 s[38:39], s[38:39], 2
	s_mul_i32 s18, s18, s5
	s_add_u32 s22, s34, s38
	s_addc_u32 s23, s35, s39
	s_clause 0x1
	s_load_b32 s39, s[26:27], 0x0
	s_load_b32 s38, s[36:37], 0x0
	s_or_b32 s20, s31, 0xd0
	s_mul_hi_i32 s27, s44, s5
	s_ashr_i32 s21, s20, 4
	s_cmp_lt_i32 s20, s28
	s_mul_i32 s20, s15, s5
	s_cselect_b32 s24, s21, s4
	s_mul_hi_i32 s21, s15, s5
	s_ashr_i32 s25, s24, 31
	s_mul_i32 s26, s44, s5
	s_lshl_b64 s[24:25], s[24:25], 2
	s_delay_alu instid0(SALU_CYCLE_1)
	s_add_u32 s24, s34, s24
	s_addc_u32 s25, s35, s25
	s_or_b32 s45, s31, 0xe0
	s_clause 0x2
	s_load_b32 s37, s[40:41], 0x0
	s_load_b32 s36, s[22:23], 0x0
	;; [unrolled: 1-line block ×3, first 2 shown]
	s_ashr_i32 s46, s45, 4
	s_cmp_lt_i32 s45, s28
	s_mul_hi_i32 s23, s42, s5
	s_mul_i32 s22, s42, s5
	s_cselect_b32 s42, s46, s4
	s_mul_hi_i32 s25, s43, s5
	s_mul_i32 s24, s43, s5
	s_ashr_i32 s43, s42, 31
	s_waitcnt lgkmcnt(0)
	s_mul_hi_i32 s41, s39, s5
	s_lshl_b64 s[42:43], s[42:43], 2
	s_mul_i32 s40, s39, s5
	s_add_u32 s42, s34, s42
	s_addc_u32 s43, s35, s43
	s_or_b32 s44, s31, 0xf0
	s_mul_hi_i32 s39, s38, s5
	s_ashr_i32 s46, s44, 4
	s_cmp_lt_i32 s44, s28
	s_mul_i32 s38, s38, s5
	s_cselect_b32 s46, s46, s4
	s_mul_hi_i32 s49, s15, s5
	s_ashr_i32 s47, s46, 31
	s_mul_i32 s48, s15, s5
	s_lshl_b64 s[46:47], s[46:47], 2
	s_mul_hi_i32 s45, s37, s5
	s_add_u32 s34, s34, s46
	s_addc_u32 s35, s35, s47
	s_add_u32 s4, s10, s2
	s_addc_u32 s15, s11, s3
	v_add_co_u32 v216, s4, s4, v125
	s_delay_alu instid0(VALU_DEP_1) | instskip(SKIP_2) | instid1(VALU_DEP_2)
	v_add_co_ci_u32_e64 v217, null, s15, 0, s4
	s_lshl_b64 s[2:3], s[6:7], 1
	s_lshl_b64 s[6:7], s[8:9], 1
	v_add_co_u32 v125, vcc_lo, v216, s2
	s_delay_alu instid0(VALU_DEP_2)
	v_add_co_ci_u32_e32 v126, vcc_lo, s3, v217, vcc_lo
	v_add_co_u32 v199, vcc_lo, v216, s6
	s_lshl_b64 s[8:9], s[12:13], 1
	v_add_co_ci_u32_e32 v200, vcc_lo, s7, v217, vcc_lo
	s_lshl_b64 s[10:11], s[16:17], 1
	s_lshl_b64 s[12:13], s[18:19], 1
	;; [unrolled: 1-line block ×8, first 2 shown]
	s_mul_i32 s44, s37, s5
	s_mul_hi_i32 s37, s36, s5
	s_lshl_b64 s[38:39], s[44:45], 1
	s_mul_i32 s36, s36, s5
	s_clause 0x1
	s_load_b32 s4, s[42:43], 0x0
	s_load_b32 s15, s[34:35], 0x0
	s_lshl_b64 s[36:37], s[36:37], 1
	s_lshl_b64 s[40:41], s[48:49], 1
	s_waitcnt lgkmcnt(0)
	s_mul_hi_i32 s3, s4, s5
	s_mul_i32 s2, s4, s5
	s_mul_hi_i32 s7, s15, s5
	s_lshl_b64 s[2:3], s[2:3], 1
	s_mul_i32 s6, s15, s5
	s_waitcnt vmcnt(30)
	v_wmma_f32_16x16x16_bf16 v[191:198], v[89:96], v[105:112], v[129:136]
	v_add_co_u32 v89, vcc_lo, v216, s8
	v_add_co_ci_u32_e32 v90, vcc_lo, s9, v217, vcc_lo
	v_add_co_u32 v91, vcc_lo, v216, s10
	v_add_co_ci_u32_e32 v92, vcc_lo, s11, v217, vcc_lo
	;; [unrolled: 2-line block ×5, first 2 shown]
	v_add_co_u32 v205, vcc_lo, v216, s20
	s_waitcnt vmcnt(28)
	v_wmma_f32_16x16x16_bf16 v[129:136], v[97:104], v[105:112], v[129:136]
	v_add_co_ci_u32_e32 v206, vcc_lo, s21, v217, vcc_lo
	v_add_co_u32 v207, vcc_lo, v216, s22
	v_add_co_ci_u32_e32 v208, vcc_lo, s23, v217, vcc_lo
	v_add_co_u32 v209, vcc_lo, v216, s24
	s_waitcnt vmcnt(26)
	v_wmma_f32_16x16x16_bf16 v[191:198], v[81:88], v[113:120], v[191:198]
	s_waitcnt vmcnt(24)
	v_wmma_f32_16x16x16_bf16 v[129:136], v[73:80], v[113:120], v[129:136]
	v_add_co_ci_u32_e32 v210, vcc_lo, s25, v217, vcc_lo
	v_add_co_u32 v211, vcc_lo, v216, s26
	v_add_co_ci_u32_e32 v212, vcc_lo, s27, v217, vcc_lo
	v_add_co_u32 v213, vcc_lo, v216, s38
	s_waitcnt vmcnt(22)
	v_wmma_f32_16x16x16_bf16 v[191:198], v[65:72], v[143:150], v[191:198]
	s_waitcnt vmcnt(20)
	v_wmma_f32_16x16x16_bf16 v[129:136], v[57:64], v[143:150], v[129:136]
	v_add_co_ci_u32_e32 v214, vcc_lo, s39, v217, vcc_lo
	v_add_co_u32 v143, vcc_lo, v216, s36
	s_waitcnt vmcnt(18)
	v_wmma_f32_16x16x16_bf16 v[191:198], v[49:56], v[151:158], v[191:198]
	s_waitcnt vmcnt(16)
	v_wmma_f32_16x16x16_bf16 v[129:136], v[41:48], v[151:158], v[129:136]
	v_add_co_ci_u32_e32 v144, vcc_lo, s37, v217, vcc_lo
	s_clause 0x15
	global_load_b128 v[121:124], v[125:126], off
	global_load_b128 v[125:128], v[125:126], off offset:16
	global_load_b128 v[113:116], v[199:200], off
	global_load_b128 v[117:120], v[199:200], off offset:16
	;; [unrolled: 2-line block ×11, first 2 shown]
	s_waitcnt vmcnt(36)
	v_wmma_f32_16x16x16_bf16 v[191:198], v[17:24], v[159:166], v[191:198]
	s_clause 0x1
	global_load_b128 v[17:20], v[213:214], off
	global_load_b128 v[21:24], v[213:214], off offset:16
	s_waitcnt vmcnt(36)
	v_wmma_f32_16x16x16_bf16 v[129:136], v[1:8], v[159:166], v[129:136]
	s_clause 0x1
	global_load_b128 v[1:4], v[143:144], off
	global_load_b128 v[5:8], v[143:144], off offset:16
	ds_load_b128 v[143:146], v215 offset:10240
	ds_load_b128 v[147:150], v215 offset:11264
	;; [unrolled: 1-line block ×4, first 2 shown]
	v_add_co_u32 v199, vcc_lo, v216, s40
	v_add_co_ci_u32_e32 v200, vcc_lo, s41, v217, vcc_lo
	v_add_co_u32 v159, vcc_lo, v216, s2
	v_add_co_ci_u32_e32 v160, vcc_lo, s3, v217, vcc_lo
	s_lshl_b64 s[2:3], s[6:7], 1
	s_delay_alu instid0(SALU_CYCLE_1)
	v_add_co_u32 v161, vcc_lo, v216, s2
	v_add_co_ci_u32_e32 v162, vcc_lo, s3, v217, vcc_lo
	s_waitcnt vmcnt(36) lgkmcnt(2)
	v_wmma_f32_16x16x16_bf16 v[191:198], v[33:40], v[143:150], v[191:198]
	s_waitcnt vmcnt(34)
	v_wmma_f32_16x16x16_bf16 v[129:136], v[25:32], v[143:150], v[129:136]
	s_clause 0x3
	global_load_b128 v[25:28], v[199:200], off
	global_load_b128 v[29:32], v[199:200], off offset:16
	global_load_b128 v[33:36], v[159:160], off
	global_load_b128 v[37:40], v[159:160], off offset:16
	v_and_b32_e32 v143, 0xe0, v0
	v_mbcnt_lo_u32_b32 v159, -1, 0
	s_waitcnt vmcnt(36) lgkmcnt(0)
	v_wmma_f32_16x16x16_bf16 v[191:198], v[9:16], v[151:158], v[191:198]
	s_clause 0x1
	global_load_b128 v[9:12], v[161:162], off
	global_load_b128 v[13:16], v[161:162], off offset:16
	s_waitcnt vmcnt(36)
	v_wmma_f32_16x16x16_bf16 v[129:136], v[167:174], v[151:158], v[129:136]
	v_add_nc_u32_e32 v160, s31, v143
	ds_load_b128 v[143:146], v215 offset:14336
	ds_load_b128 v[147:150], v215 offset:15360
	v_xor_b32_e32 v151, 16, v159
	s_waitcnt vmcnt(0) lgkmcnt(0)
	s_barrier
	v_or_b32_e32 v152, v160, v138
	buffer_gl0_inv
	v_cmp_gt_i32_e32 vcc_lo, 32, v151
	v_or_b32_e32 v153, 2, v152
	v_or_b32_e32 v154, 4, v152
	;; [unrolled: 1-line block ×5, first 2 shown]
	v_cmp_gt_i32_e64 s2, s28, v153
	v_cmp_gt_i32_e64 s3, s28, v154
	;; [unrolled: 1-line block ×3, first 2 shown]
	v_or_b32_e32 v158, 12, v152
	v_cmp_gt_i32_e64 s5, s28, v156
	v_cmp_gt_i32_e64 s6, s28, v157
	v_wmma_f32_16x16x16_bf16 v[191:198], v[175:182], v[143:150], v[191:198]
	v_wmma_f32_16x16x16_bf16 v[129:136], v[183:190], v[143:150], v[129:136]
	v_cndmask_b32_e32 v151, v159, v151, vcc_lo
	v_cmp_gt_i32_e32 vcc_lo, s28, v152
	v_or_b32_e32 v159, 14, v152
	v_dual_mul_f32 v149, s33, v192 :: v_dual_mul_f32 v150, s33, v191
	v_dual_mul_f32 v147, s33, v194 :: v_dual_mul_f32 v148, s33, v193
	;; [unrolled: 1-line block ×3, first 2 shown]
	s_delay_alu instid0(VALU_DEP_3) | instskip(NEXT) | instid1(VALU_DEP_4)
	v_cndmask_b32_e32 v150, 0xff7fffff, v150, vcc_lo
	v_cndmask_b32_e64 v149, 0xff7fffff, v149, s2
	v_mul_f32_e32 v146, s33, v195
	v_cndmask_b32_e64 v148, 0xff7fffff, v148, s3
	v_cndmask_b32_e64 v147, 0xff7fffff, v147, s4
	v_or_b32_e32 v160, 16, v152
	v_max3_f32 v149, v150, 0xff7fffff, v149
	v_or_b32_e32 v161, 18, v152
	v_mul_f32_e32 v144, s33, v197
	v_dual_mul_f32 v172, s33, v132 :: v_dual_mul_f32 v143, s33, v198
	v_lshlrev_b32_e32 v154, 2, v151
	v_cndmask_b32_e64 v146, 0xff7fffff, v146, s5
	v_cndmask_b32_e64 v145, 0xff7fffff, v145, s6
	v_max3_f32 v147, v149, v148, v147
	v_cmp_gt_i32_e64 s7, s28, v158
	v_cmp_gt_i32_e64 s8, s28, v159
	v_or_b32_e32 v162, 20, v152
	v_or_b32_e32 v163, 22, v152
	v_mul_f32_e32 v175, s33, v129
	v_cndmask_b32_e64 v144, 0xff7fffff, v144, s7
	v_cndmask_b32_e64 v143, 0xff7fffff, v143, s8
	v_max3_f32 v145, v147, v146, v145
	v_cmp_gt_i32_e64 s9, s28, v160
	v_cmp_gt_i32_e64 s10, s28, v161
	v_or_b32_e32 v164, 24, v152
	v_or_b32_e32 v165, 26, v152
	v_mul_f32_e32 v173, s33, v131
	v_cndmask_b32_e64 v146, 0xff7fffff, v175, s9
	v_cndmask_b32_e64 v147, 0xff7fffff, v174, s10
	v_max3_f32 v143, v145, v144, v143
	v_cmp_gt_i32_e64 s11, s28, v162
	v_cmp_gt_i32_e64 s12, s28, v163
	v_or_b32_e32 v166, 28, v152
	v_or_b32_e32 v167, 30, v152
	v_dual_mul_f32 v170, s33, v134 :: v_dual_mul_f32 v171, s33, v133
	v_cndmask_b32_e64 v144, 0xff7fffff, v173, s11
	v_cndmask_b32_e64 v145, 0xff7fffff, v172, s12
	v_max3_f32 v143, v143, v146, v147
	v_cmp_gt_i32_e64 s13, s28, v164
	v_cmp_gt_i32_e64 s15, s28, v165
	v_dual_mul_f32 v168, s33, v136 :: v_dual_mul_f32 v169, s33, v135
	s_delay_alu instid0(VALU_DEP_4) | instskip(NEXT) | instid1(VALU_DEP_4)
	v_max3_f32 v143, v143, v144, v145
	v_cndmask_b32_e64 v146, 0xff7fffff, v171, s13
	s_delay_alu instid0(VALU_DEP_4) | instskip(SKIP_2) | instid1(VALU_DEP_3)
	v_cndmask_b32_e64 v147, 0xff7fffff, v170, s15
	v_cmp_gt_i32_e64 s16, s28, v166
	v_cmp_gt_i32_e64 s17, s28, v167
	v_max3_f32 v143, v143, v146, v147
	s_delay_alu instid0(VALU_DEP_3) | instskip(NEXT) | instid1(VALU_DEP_3)
	v_cndmask_b32_e64 v144, 0xff7fffff, v169, s16
	v_cndmask_b32_e64 v145, 0xff7fffff, v168, s17
	s_delay_alu instid0(VALU_DEP_1) | instskip(SKIP_3) | instid1(VALU_DEP_1)
	v_max3_f32 v143, v143, v144, v145
	ds_bpermute_b32 v144, v154, v143
	s_waitcnt lgkmcnt(0)
	v_max_f32_e32 v144, v144, v144
	v_max_f32_e32 v153, v143, v144
	s_delay_alu instid0(VALU_DEP_1)
	v_fma_f32 v146, s33, v194, -v153
	v_fma_f32 v143, s33, v191, -v153
	;; [unrolled: 1-line block ×5, first 2 shown]
	v_mul_f32_e32 v146, 0x3fb8aa3b, v146
	v_fma_f32 v150, s33, v197, -v153
	s_delay_alu instid0(VALU_DEP_4) | instskip(NEXT) | instid1(VALU_DEP_4)
	v_dual_mul_f32 v147, 0x3fb8aa3b, v147 :: v_dual_mul_f32 v144, 0x3fb8aa3b, v144
	v_mul_f32_e32 v130, 0x3fb8aa3b, v130
	s_delay_alu instid0(VALU_DEP_4) | instskip(NEXT) | instid1(VALU_DEP_3)
	v_exp_f32_e32 v149, v146
	v_mul_f32_e32 v150, 0x3fb8aa3b, v150
	s_delay_alu instid0(VALU_DEP_3)
	v_exp_f32_e32 v151, v147
	v_exp_f32_e32 v144, v144
	v_fma_f32 v145, s33, v193, -v153
	v_fma_f32 v148, s33, v196, -v153
	v_exp_f32_e32 v152, v150
	v_fma_f32 v129, s33, v129, -v153
	v_fma_f32 v131, s33, v131, -v153
	;; [unrolled: 1-line block ×3, first 2 shown]
	v_cndmask_b32_e64 v149, 0, v149, s4
	v_mul_f32_e32 v143, 0x3fb8aa3b, v143
	v_cndmask_b32_e64 v150, 0, v151, s5
	v_cndmask_b32_e64 v146, 0, v144, s2
	v_dual_mul_f32 v148, 0x3fb8aa3b, v148 :: v_dual_mul_f32 v131, 0x3fb8aa3b, v131
	v_mul_f32_e32 v132, 0x3fb8aa3b, v132
	v_exp_f32_e32 v143, v143
	v_exp_f32_e32 v130, v130
	s_delay_alu instid0(VALU_DEP_2)
	v_exp_f32_e32 v148, v148
	v_fma_f32 v133, s33, v133, -v153
	v_fma_f32 v134, s33, v134, -v153
	;; [unrolled: 1-line block ×3, first 2 shown]
	s_mov_b32 s2, exec_lo
	s_delay_alu instid0(TRANS32_DEP_3) | instid1(VALU_DEP_2)
	v_dual_mul_f32 v134, 0x3fb8aa3b, v134 :: v_dual_cndmask_b32 v143, 0, v143
	s_waitcnt_depctr 0xfff
	v_cndmask_b32_e64 v151, 0, v148, s6
	v_cndmask_b32_e64 v148, 0, v152, s7
	v_add_f32_e32 v144, 0, v143
	s_delay_alu instid0(VALU_DEP_1) | instskip(NEXT) | instid1(VALU_DEP_1)
	v_dual_add_f32 v144, v144, v146 :: v_dual_mul_f32 v145, 0x3fb8aa3b, v145
	v_exp_f32_e32 v145, v145
	s_waitcnt_depctr 0xfff
	v_cndmask_b32_e64 v147, 0, v145, s3
	v_fma_f32 v145, s33, v198, -v153
	s_delay_alu instid0(VALU_DEP_2) | instskip(NEXT) | instid1(VALU_DEP_1)
	v_add_f32_e32 v144, v144, v147
	v_add_f32_e32 v144, v144, v149
	s_delay_alu instid0(VALU_DEP_1) | instskip(NEXT) | instid1(VALU_DEP_1)
	v_dual_add_f32 v144, v144, v150 :: v_dual_mul_f32 v145, 0x3fb8aa3b, v145
	v_dual_add_f32 v144, v144, v151 :: v_dual_mul_f32 v129, 0x3fb8aa3b, v129
	s_delay_alu instid0(VALU_DEP_2) | instskip(NEXT) | instid1(VALU_DEP_1)
	v_exp_f32_e32 v145, v145
	v_add_f32_e32 v144, v144, v148
	s_delay_alu instid0(VALU_DEP_2) | instskip(SKIP_4) | instid1(VALU_DEP_2)
	v_exp_f32_e32 v129, v129
	s_waitcnt_depctr 0xfff
	v_cndmask_b32_e64 v152, 0, v145, s8
	v_exp_f32_e32 v145, v131
	v_cndmask_b32_e64 v131, 0, v129, s9
	v_add_f32_e32 v129, v144, v152
	v_exp_f32_e32 v144, v132
	v_cndmask_b32_e64 v132, 0, v130, s10
	v_fma_f32 v130, s33, v135, -v153
	v_mul_f32_e32 v133, 0x3fb8aa3b, v133
	s_delay_alu instid0(VALU_DEP_2) | instskip(NEXT) | instid1(VALU_DEP_2)
	v_dual_add_f32 v129, v129, v131 :: v_dual_mul_f32 v130, 0x3fb8aa3b, v130
	v_exp_f32_e32 v135, v133
	s_delay_alu instid0(TRANS32_DEP_3) | instskip(SKIP_1) | instid1(TRANS32_DEP_3)
	v_cndmask_b32_e64 v133, 0, v145, s11
	v_exp_f32_e32 v145, v134
	v_cndmask_b32_e64 v134, 0, v144, s12
	v_mul_f32_e32 v144, 0x3fb8aa3b, v136
	v_add_f32_e32 v129, v129, v132
	v_exp_f32_e32 v130, v130
	s_delay_alu instid0(VALU_DEP_1) | instskip(NEXT) | instid1(TRANS32_DEP_3)
	v_add_f32_e32 v129, v129, v133
	v_cndmask_b32_e64 v135, 0, v135, s13
	s_delay_alu instid0(TRANS32_DEP_2) | instskip(SKIP_1) | instid1(VALU_DEP_3)
	v_cndmask_b32_e64 v136, 0, v145, s15
	v_exp_f32_e32 v145, v144
	v_add_f32_e32 v129, v129, v134
	s_waitcnt_depctr 0xfff
	v_cndmask_b32_e64 v144, 0, v130, s16
	v_add_f32_e32 v129, v129, v135
	v_cndmask_b32_e64 v145, 0, v145, s17
	s_delay_alu instid0(VALU_DEP_2) | instskip(NEXT) | instid1(VALU_DEP_1)
	v_add_f32_e32 v129, v129, v136
	v_add_f32_e32 v129, v129, v144
	s_delay_alu instid0(VALU_DEP_1)
	v_add_f32_e32 v129, v129, v145
	ds_bpermute_b32 v130, v154, v129
	v_cmpx_gt_u32_e32 16, v142
	s_cbranch_execz .LBB661_12
; %bb.11:
	v_mul_u32_u24_e32 v142, 0x44, v140
	s_waitcnt lgkmcnt(0)
	v_add_f32_e32 v129, v129, v130
	s_delay_alu instid0(VALU_DEP_2) | instskip(NEXT) | instid1(VALU_DEP_1)
	v_lshl_add_u32 v142, v141, 2, v142
	v_add_nc_u32_e32 v130, 0x4000, v142
	ds_store_2addr_b32 v130, v153, v129 offset1:136
.LBB661_12:
	s_or_b32 exec_lo, exec_lo, s2
	v_lshlrev_b32_e32 v129, 2, v141
	s_waitcnt lgkmcnt(0)
	s_barrier
	buffer_gl0_inv
	v_cmp_eq_u32_e64 s2, 1, v140
	v_add_nc_u32_e32 v142, 0x4000, v129
	ds_load_2addr_b32 v[153:154], v142 offset1:17
	ds_load_2addr_b32 v[155:156], v142 offset0:34 offset1:51
	ds_load_2addr_b32 v[157:158], v142 offset0:68 offset1:85
	;; [unrolled: 1-line block ×4, first 2 shown]
	s_waitcnt lgkmcnt(4)
	v_max3_f32 v129, v153, 0xff7fffff, v154
	s_waitcnt lgkmcnt(3)
	s_delay_alu instid0(VALU_DEP_1) | instskip(SKIP_1) | instid1(VALU_DEP_1)
	v_max3_f32 v129, v129, v155, v156
	s_waitcnt lgkmcnt(2)
	v_max3_f32 v129, v129, v157, v158
	s_waitcnt lgkmcnt(1)
	s_delay_alu instid0(VALU_DEP_1) | instskip(NEXT) | instid1(VALU_DEP_1)
	v_max3_f32 v129, v129, v159, v160
	v_sub_f32_e32 v163, v154, v129
	v_sub_f32_e32 v130, v153, v129
	ds_load_2addr_b32 v[153:154], v142 offset0:170 offset1:187
	v_sub_f32_e32 v155, v155, v129
	v_dual_mul_f32 v163, 0x3fb8aa3b, v163 :: v_dual_mul_f32 v130, 0x3fb8aa3b, v130
	s_delay_alu instid0(VALU_DEP_2) | instskip(NEXT) | instid1(VALU_DEP_2)
	v_mul_f32_e32 v165, 0x3fb8aa3b, v155
	v_exp_f32_e32 v163, v163
	s_delay_alu instid0(VALU_DEP_2)
	v_exp_f32_e32 v164, v130
	v_sub_f32_e32 v130, v156, v129
	ds_load_2addr_b32 v[155:156], v142 offset0:204 offset1:221
	v_exp_f32_e32 v165, v165
	v_mul_f32_e32 v166, 0x3fb8aa3b, v130
	s_waitcnt lgkmcnt(2)
	v_fma_f32 v130, v164, v161, 0
	v_sub_f32_e32 v157, v157, v129
	s_delay_alu instid0(VALU_DEP_3) | instskip(NEXT) | instid1(VALU_DEP_2)
	v_exp_f32_e32 v166, v166
	v_dual_sub_f32 v161, v158, v129 :: v_dual_fmac_f32 v130, v163, v162
	s_waitcnt lgkmcnt(1)
	s_waitcnt_depctr 0xfff
	v_fmac_f32_e32 v130, v165, v153
	v_mul_f32_e32 v167, 0x3fb8aa3b, v157
	ds_load_2addr_b32 v[157:158], v142 offset0:238 offset1:255
	v_sub_f32_e32 v142, v159, v129
	v_dual_sub_f32 v153, v160, v129 :: v_dual_fmac_f32 v130, v166, v154
	v_mul_f32_e32 v159, 0x3fb8aa3b, v161
	v_exp_f32_e32 v161, v167
	s_delay_alu instid0(VALU_DEP_2)
	v_dual_mul_f32 v142, 0x3fb8aa3b, v142 :: v_dual_mul_f32 v153, 0x3fb8aa3b, v153
	s_waitcnt lgkmcnt(0)
	s_barrier
	buffer_gl0_inv
	v_exp_f32_e32 v142, v142
	v_exp_f32_e32 v153, v153
	v_fmac_f32_e32 v130, v161, v155
	v_exp_f32_e32 v159, v159
	s_waitcnt_depctr 0xfff
	v_fmac_f32_e32 v130, v159, v156
	s_delay_alu instid0(VALU_DEP_1) | instskip(NEXT) | instid1(VALU_DEP_1)
	v_fmac_f32_e32 v130, v142, v157
	v_fmac_f32_e32 v130, v153, v158
	s_delay_alu instid0(VALU_DEP_1) | instskip(NEXT) | instid1(VALU_DEP_1)
	v_add_f32_e32 v154, 0x358637bd, v130
	v_div_scale_f32 v155, null, v154, v154, 1.0
	v_div_scale_f32 v158, vcc_lo, 1.0, v154, 1.0
	s_delay_alu instid0(VALU_DEP_2) | instskip(SKIP_2) | instid1(VALU_DEP_1)
	v_rcp_f32_e32 v156, v155
	s_waitcnt_depctr 0xfff
	v_fma_f32 v157, -v155, v156, 1.0
	v_fmac_f32_e32 v156, v157, v156
	v_cndmask_b32_e64 v157, v164, v163, s2
	v_cmp_eq_u32_e64 s2, 2, v140
	s_delay_alu instid0(VALU_DEP_3) | instskip(NEXT) | instid1(VALU_DEP_2)
	v_mul_f32_e32 v160, v158, v156
	v_cndmask_b32_e64 v157, v157, v165, s2
	v_cmp_eq_u32_e64 s2, 3, v140
	s_delay_alu instid0(VALU_DEP_3) | instskip(NEXT) | instid1(VALU_DEP_2)
	v_fma_f32 v162, -v155, v160, v158
	v_cndmask_b32_e64 v157, v157, v166, s2
	v_cmp_eq_u32_e64 s2, 4, v140
	s_delay_alu instid0(VALU_DEP_3) | instskip(NEXT) | instid1(VALU_DEP_2)
	v_fmac_f32_e32 v160, v162, v156
	v_cndmask_b32_e64 v157, v157, v161, s2
	s_delay_alu instid0(VALU_DEP_2) | instskip(SKIP_1) | instid1(VALU_DEP_2)
	v_fma_f32 v155, -v155, v160, v158
	v_cmp_eq_u32_e64 s2, 5, v140
	v_div_fmas_f32 v155, v155, v156, v160
	s_delay_alu instid0(VALU_DEP_2) | instskip(SKIP_2) | instid1(VALU_DEP_3)
	v_cndmask_b32_e64 v157, v157, v159, s2
	v_cmp_eq_u32_e32 vcc_lo, 6, v140
	s_mov_b32 s2, exec_lo
	v_div_fixup_f32 v154, v155, v154, 1.0
	s_delay_alu instid0(VALU_DEP_3) | instskip(SKIP_1) | instid1(VALU_DEP_2)
	v_cndmask_b32_e32 v142, v157, v142, vcc_lo
	v_cmp_eq_u32_e32 vcc_lo, 7, v140
	v_cndmask_b32_e32 v142, v142, v153, vcc_lo
	s_delay_alu instid0(VALU_DEP_1) | instskip(NEXT) | instid1(VALU_DEP_1)
	v_mul_f32_e32 v142, v142, v154
	v_mul_f32_e32 v151, v142, v151
	;; [unrolled: 1-line block ×7, first 2 shown]
	v_dual_mul_f32 v150, v142, v147 :: v_dual_and_b32 v155, 0x7f800000, v154
	v_mul_f32_e32 v149, v142, v146
                                        ; implicit-def: $vgpr146
	s_delay_alu instid0(VALU_DEP_2)
	v_cmpx_ne_u32_e32 0x7f800000, v155
	s_xor_b32 s2, exec_lo, s2
; %bb.13:
	v_bfe_u32 v146, v154, 16, 1
	s_delay_alu instid0(VALU_DEP_1)
	v_add3_u32 v146, v154, v146, 0x7fff
                                        ; implicit-def: $vgpr154
; %bb.14:
	s_and_not1_saveexec_b32 s2, s2
; %bb.15:
	v_and_b32_e32 v146, 0xffff, v154
	v_or_b32_e32 v147, 0x10000, v154
	s_delay_alu instid0(VALU_DEP_2) | instskip(NEXT) | instid1(VALU_DEP_2)
	v_cmp_eq_u32_e32 vcc_lo, 0, v146
	v_cndmask_b32_e32 v146, v147, v154, vcc_lo
; %bb.16:
	s_or_b32 exec_lo, exec_lo, s2
	v_and_b32_e32 v147, 0x7f800000, v149
	s_delay_alu instid0(VALU_DEP_1) | instskip(SKIP_1) | instid1(SALU_CYCLE_1)
	v_cmp_ne_u32_e32 vcc_lo, 0x7f800000, v147
                                        ; implicit-def: $vgpr147
	s_and_saveexec_b32 s2, vcc_lo
	s_xor_b32 s2, exec_lo, s2
; %bb.17:
	v_bfe_u32 v147, v149, 16, 1
	s_delay_alu instid0(VALU_DEP_1)
	v_add3_u32 v147, v149, v147, 0x7fff
                                        ; implicit-def: $vgpr149
; %bb.18:
	s_and_not1_saveexec_b32 s2, s2
; %bb.19:
	v_and_b32_e32 v147, 0xffff, v149
	v_or_b32_e32 v154, 0x10000, v149
	s_delay_alu instid0(VALU_DEP_2) | instskip(NEXT) | instid1(VALU_DEP_2)
	v_cmp_eq_u32_e32 vcc_lo, 0, v147
	v_cndmask_b32_e32 v147, v154, v149, vcc_lo
; %bb.20:
	s_or_b32 exec_lo, exec_lo, s2
	v_and_b32_e32 v149, 0x7f800000, v150
	s_delay_alu instid0(VALU_DEP_1) | instskip(SKIP_1) | instid1(SALU_CYCLE_1)
	v_cmp_ne_u32_e32 vcc_lo, 0x7f800000, v149
                                        ; implicit-def: $vgpr149
	s_and_saveexec_b32 s2, vcc_lo
	s_xor_b32 s2, exec_lo, s2
; %bb.21:
	v_bfe_u32 v149, v150, 16, 1
	s_delay_alu instid0(VALU_DEP_1)
	v_add3_u32 v149, v150, v149, 0x7fff
                                        ; implicit-def: $vgpr150
; %bb.22:
	s_and_not1_saveexec_b32 s2, s2
; %bb.23:
	v_and_b32_e32 v149, 0xffff, v150
	v_or_b32_e32 v154, 0x10000, v150
	s_delay_alu instid0(VALU_DEP_2) | instskip(NEXT) | instid1(VALU_DEP_2)
	v_cmp_eq_u32_e32 vcc_lo, 0, v149
	v_cndmask_b32_e32 v149, v154, v150, vcc_lo
; %bb.24:
	s_or_b32 exec_lo, exec_lo, s2
	v_and_b32_e32 v150, 0x7f800000, v153
	s_delay_alu instid0(VALU_DEP_1) | instskip(SKIP_1) | instid1(SALU_CYCLE_1)
	v_cmp_ne_u32_e32 vcc_lo, 0x7f800000, v150
                                        ; implicit-def: $vgpr150
	s_and_saveexec_b32 s2, vcc_lo
	s_xor_b32 s2, exec_lo, s2
; %bb.25:
	v_bfe_u32 v150, v153, 16, 1
	s_delay_alu instid0(VALU_DEP_1)
	v_add3_u32 v150, v153, v150, 0x7fff
                                        ; implicit-def: $vgpr153
; %bb.26:
	s_and_not1_saveexec_b32 s2, s2
; %bb.27:
	v_and_b32_e32 v150, 0xffff, v153
	v_or_b32_e32 v154, 0x10000, v153
	s_delay_alu instid0(VALU_DEP_2) | instskip(NEXT) | instid1(VALU_DEP_2)
	v_cmp_eq_u32_e32 vcc_lo, 0, v150
	v_cndmask_b32_e32 v150, v154, v153, vcc_lo
; %bb.28:
	s_or_b32 exec_lo, exec_lo, s2
	v_and_b32_e32 v153, 0x7f800000, v152
	s_delay_alu instid0(VALU_DEP_1) | instskip(SKIP_1) | instid1(SALU_CYCLE_1)
	v_cmp_ne_u32_e32 vcc_lo, 0x7f800000, v153
                                        ; implicit-def: $vgpr153
	s_and_saveexec_b32 s2, vcc_lo
	s_xor_b32 s2, exec_lo, s2
; %bb.29:
	v_bfe_u32 v153, v152, 16, 1
	s_delay_alu instid0(VALU_DEP_1)
	v_add3_u32 v153, v152, v153, 0x7fff
                                        ; implicit-def: $vgpr152
; %bb.30:
	s_and_not1_saveexec_b32 s2, s2
; %bb.31:
	v_and_b32_e32 v153, 0xffff, v152
	v_or_b32_e32 v154, 0x10000, v152
	s_delay_alu instid0(VALU_DEP_2) | instskip(NEXT) | instid1(VALU_DEP_2)
	v_cmp_eq_u32_e32 vcc_lo, 0, v153
	v_cndmask_b32_e32 v153, v154, v152, vcc_lo
; %bb.32:
	s_or_b32 exec_lo, exec_lo, s2
	v_and_b32_e32 v152, 0x7f800000, v151
	s_delay_alu instid0(VALU_DEP_1) | instskip(SKIP_1) | instid1(SALU_CYCLE_1)
	v_cmp_ne_u32_e32 vcc_lo, 0x7f800000, v152
                                        ; implicit-def: $vgpr152
	s_and_saveexec_b32 s2, vcc_lo
	s_xor_b32 s2, exec_lo, s2
; %bb.33:
	v_bfe_u32 v152, v151, 16, 1
	s_delay_alu instid0(VALU_DEP_1)
	v_add3_u32 v152, v151, v152, 0x7fff
                                        ; implicit-def: $vgpr151
; %bb.34:
	s_and_not1_saveexec_b32 s2, s2
; %bb.35:
	v_and_b32_e32 v152, 0xffff, v151
	v_or_b32_e32 v154, 0x10000, v151
	s_delay_alu instid0(VALU_DEP_2) | instskip(NEXT) | instid1(VALU_DEP_2)
	v_cmp_eq_u32_e32 vcc_lo, 0, v152
	v_cndmask_b32_e32 v152, v154, v151, vcc_lo
; %bb.36:
	s_or_b32 exec_lo, exec_lo, s2
	v_and_b32_e32 v151, 0x7f800000, v148
	s_delay_alu instid0(VALU_DEP_1) | instskip(SKIP_1) | instid1(SALU_CYCLE_1)
	v_cmp_ne_u32_e32 vcc_lo, 0x7f800000, v151
                                        ; implicit-def: $vgpr151
	s_and_saveexec_b32 s2, vcc_lo
	s_xor_b32 s2, exec_lo, s2
; %bb.37:
	v_bfe_u32 v151, v148, 16, 1
	s_delay_alu instid0(VALU_DEP_1)
	v_add3_u32 v151, v148, v151, 0x7fff
                                        ; implicit-def: $vgpr148
; %bb.38:
	s_and_not1_saveexec_b32 s2, s2
; %bb.39:
	v_and_b32_e32 v151, 0xffff, v148
	v_or_b32_e32 v154, 0x10000, v148
	s_delay_alu instid0(VALU_DEP_2) | instskip(NEXT) | instid1(VALU_DEP_2)
	v_cmp_eq_u32_e32 vcc_lo, 0, v151
	v_cndmask_b32_e32 v151, v154, v148, vcc_lo
; %bb.40:
	s_or_b32 exec_lo, exec_lo, s2
	v_and_b32_e32 v148, 0x7f800000, v143
	s_delay_alu instid0(VALU_DEP_1) | instskip(SKIP_1) | instid1(SALU_CYCLE_1)
	v_cmp_ne_u32_e32 vcc_lo, 0x7f800000, v148
                                        ; implicit-def: $vgpr148
	s_and_saveexec_b32 s2, vcc_lo
	s_xor_b32 s2, exec_lo, s2
; %bb.41:
	v_bfe_u32 v148, v143, 16, 1
	s_delay_alu instid0(VALU_DEP_1)
	v_add3_u32 v148, v143, v148, 0x7fff
                                        ; implicit-def: $vgpr143
; %bb.42:
	s_and_not1_saveexec_b32 s2, s2
; %bb.43:
	v_and_b32_e32 v148, 0xffff, v143
	v_or_b32_e32 v154, 0x10000, v143
	s_delay_alu instid0(VALU_DEP_2) | instskip(NEXT) | instid1(VALU_DEP_2)
	v_cmp_eq_u32_e32 vcc_lo, 0, v148
	v_cndmask_b32_e32 v148, v154, v143, vcc_lo
; %bb.44:
	s_or_b32 exec_lo, exec_lo, s2
	s_load_b64 s[34:35], s[0:1], 0x94
	v_dual_mul_f32 v144, v142, v144 :: v_dual_lshlrev_b32 v155, 4, v138
	s_delay_alu instid0(VALU_DEP_2)
	v_perm_b32 v154, v148, v151, 0x7060302
	v_dual_mul_f32 v136, v142, v136 :: v_dual_lshlrev_b32 v143, 6, v141
	v_lshlrev_b32_e32 v141, 11, v140
	v_perm_b32 v151, v147, v146, 0x7060302
	v_mul_f32_e32 v146, v142, v133
	v_mul_f32_e32 v147, v142, v131
	v_perm_b32 v153, v152, v153, 0x7060302
	v_perm_b32 v152, v150, v149, 0x7060302
	v_or3_b32 v131, v155, v141, v143
	s_delay_alu instid0(VALU_DEP_4)
	v_dual_mul_f32 v141, v142, v145 :: v_dual_and_b32 v148, 0x7f800000, v147
	v_mul_f32_e32 v135, v142, v135
	v_mul_f32_e32 v145, v142, v134
	;; [unrolled: 1-line block ×3, first 2 shown]
	s_mov_b32 s2, exec_lo
	ds_store_b128 v131, v[151:154]
                                        ; implicit-def: $vgpr132
	v_cmpx_ne_u32_e32 0x7f800000, v148
	s_xor_b32 s2, exec_lo, s2
; %bb.45:
	v_bfe_u32 v132, v147, 16, 1
	s_delay_alu instid0(VALU_DEP_1)
	v_add3_u32 v132, v147, v132, 0x7fff
                                        ; implicit-def: $vgpr147
; %bb.46:
	s_and_not1_saveexec_b32 s2, s2
; %bb.47:
	v_and_b32_e32 v132, 0xffff, v147
	v_or_b32_e32 v133, 0x10000, v147
	s_delay_alu instid0(VALU_DEP_2) | instskip(NEXT) | instid1(VALU_DEP_2)
	v_cmp_eq_u32_e32 vcc_lo, 0, v132
	v_cndmask_b32_e32 v132, v133, v147, vcc_lo
; %bb.48:
	s_or_b32 exec_lo, exec_lo, s2
	v_and_b32_e32 v133, 0x7f800000, v134
	s_delay_alu instid0(VALU_DEP_1) | instskip(SKIP_1) | instid1(SALU_CYCLE_1)
	v_cmp_ne_u32_e32 vcc_lo, 0x7f800000, v133
                                        ; implicit-def: $vgpr133
	s_and_saveexec_b32 s2, vcc_lo
	s_xor_b32 s2, exec_lo, s2
; %bb.49:
	v_bfe_u32 v133, v134, 16, 1
	s_delay_alu instid0(VALU_DEP_1)
	v_add3_u32 v133, v134, v133, 0x7fff
                                        ; implicit-def: $vgpr134
; %bb.50:
	s_and_not1_saveexec_b32 s2, s2
; %bb.51:
	v_and_b32_e32 v133, 0xffff, v134
	v_or_b32_e32 v142, 0x10000, v134
	s_delay_alu instid0(VALU_DEP_2) | instskip(NEXT) | instid1(VALU_DEP_2)
	v_cmp_eq_u32_e32 vcc_lo, 0, v133
	v_cndmask_b32_e32 v133, v142, v134, vcc_lo
; %bb.52:
	s_or_b32 exec_lo, exec_lo, s2
	v_and_b32_e32 v134, 0x7f800000, v146
	s_delay_alu instid0(VALU_DEP_1) | instskip(SKIP_1) | instid1(SALU_CYCLE_1)
	v_cmp_ne_u32_e32 vcc_lo, 0x7f800000, v134
                                        ; implicit-def: $vgpr134
	s_and_saveexec_b32 s2, vcc_lo
	s_xor_b32 s2, exec_lo, s2
; %bb.53:
	v_bfe_u32 v134, v146, 16, 1
	s_delay_alu instid0(VALU_DEP_1)
	v_add3_u32 v134, v146, v134, 0x7fff
                                        ; implicit-def: $vgpr146
; %bb.54:
	s_and_not1_saveexec_b32 s2, s2
; %bb.55:
	v_and_b32_e32 v134, 0xffff, v146
	v_or_b32_e32 v142, 0x10000, v146
	s_delay_alu instid0(VALU_DEP_2) | instskip(NEXT) | instid1(VALU_DEP_2)
	v_cmp_eq_u32_e32 vcc_lo, 0, v134
	v_cndmask_b32_e32 v134, v142, v146, vcc_lo
; %bb.56:
	s_or_b32 exec_lo, exec_lo, s2
	v_and_b32_e32 v142, 0x7f800000, v145
	s_delay_alu instid0(VALU_DEP_1) | instskip(SKIP_1) | instid1(SALU_CYCLE_1)
	v_cmp_ne_u32_e32 vcc_lo, 0x7f800000, v142
                                        ; implicit-def: $vgpr142
	s_and_saveexec_b32 s2, vcc_lo
	s_xor_b32 s2, exec_lo, s2
; %bb.57:
	v_bfe_u32 v142, v145, 16, 1
	s_delay_alu instid0(VALU_DEP_1)
	v_add3_u32 v142, v145, v142, 0x7fff
                                        ; implicit-def: $vgpr145
; %bb.58:
	s_and_not1_saveexec_b32 s2, s2
; %bb.59:
	v_and_b32_e32 v142, 0xffff, v145
	v_or_b32_e32 v146, 0x10000, v145
	s_delay_alu instid0(VALU_DEP_2) | instskip(NEXT) | instid1(VALU_DEP_2)
	v_cmp_eq_u32_e32 vcc_lo, 0, v142
	v_cndmask_b32_e32 v142, v146, v145, vcc_lo
; %bb.60:
	s_or_b32 exec_lo, exec_lo, s2
	v_and_b32_e32 v145, 0x7f800000, v135
	s_delay_alu instid0(VALU_DEP_1) | instskip(SKIP_1) | instid1(SALU_CYCLE_1)
	v_cmp_ne_u32_e32 vcc_lo, 0x7f800000, v145
                                        ; implicit-def: $vgpr145
	s_and_saveexec_b32 s2, vcc_lo
	s_xor_b32 s2, exec_lo, s2
; %bb.61:
	v_bfe_u32 v145, v135, 16, 1
	s_delay_alu instid0(VALU_DEP_1)
	v_add3_u32 v145, v135, v145, 0x7fff
                                        ; implicit-def: $vgpr135
; %bb.62:
	s_and_not1_saveexec_b32 s2, s2
; %bb.63:
	v_and_b32_e32 v145, 0xffff, v135
	v_or_b32_e32 v146, 0x10000, v135
	s_delay_alu instid0(VALU_DEP_2) | instskip(NEXT) | instid1(VALU_DEP_2)
	v_cmp_eq_u32_e32 vcc_lo, 0, v145
	v_cndmask_b32_e32 v145, v146, v135, vcc_lo
; %bb.64:
	s_or_b32 exec_lo, exec_lo, s2
	v_and_b32_e32 v135, 0x7f800000, v136
	s_delay_alu instid0(VALU_DEP_1) | instskip(SKIP_1) | instid1(SALU_CYCLE_1)
	v_cmp_ne_u32_e32 vcc_lo, 0x7f800000, v135
                                        ; implicit-def: $vgpr135
	s_and_saveexec_b32 s2, vcc_lo
	s_xor_b32 s2, exec_lo, s2
; %bb.65:
	v_bfe_u32 v135, v136, 16, 1
	s_delay_alu instid0(VALU_DEP_1)
	v_add3_u32 v135, v136, v135, 0x7fff
                                        ; implicit-def: $vgpr136
; %bb.66:
	s_and_not1_saveexec_b32 s2, s2
; %bb.67:
	v_and_b32_e32 v135, 0xffff, v136
	v_or_b32_e32 v146, 0x10000, v136
	s_delay_alu instid0(VALU_DEP_2) | instskip(NEXT) | instid1(VALU_DEP_2)
	v_cmp_eq_u32_e32 vcc_lo, 0, v135
	v_cndmask_b32_e32 v135, v146, v136, vcc_lo
; %bb.68:
	s_or_b32 exec_lo, exec_lo, s2
	v_and_b32_e32 v136, 0x7f800000, v144
	s_delay_alu instid0(VALU_DEP_1) | instskip(SKIP_1) | instid1(SALU_CYCLE_1)
	v_cmp_ne_u32_e32 vcc_lo, 0x7f800000, v136
                                        ; implicit-def: $vgpr136
	s_and_saveexec_b32 s2, vcc_lo
	s_xor_b32 s2, exec_lo, s2
; %bb.69:
	v_bfe_u32 v136, v144, 16, 1
	s_delay_alu instid0(VALU_DEP_1)
	v_add3_u32 v136, v144, v136, 0x7fff
                                        ; implicit-def: $vgpr144
; %bb.70:
	s_and_not1_saveexec_b32 s2, s2
; %bb.71:
	v_and_b32_e32 v136, 0xffff, v144
	v_or_b32_e32 v146, 0x10000, v144
	s_delay_alu instid0(VALU_DEP_2) | instskip(NEXT) | instid1(VALU_DEP_2)
	v_cmp_eq_u32_e32 vcc_lo, 0, v136
	v_cndmask_b32_e32 v136, v146, v144, vcc_lo
; %bb.72:
	s_or_b32 exec_lo, exec_lo, s2
	v_and_b32_e32 v144, 0x7f800000, v141
	s_delay_alu instid0(VALU_DEP_1) | instskip(SKIP_1) | instid1(SALU_CYCLE_1)
	v_cmp_ne_u32_e32 vcc_lo, 0x7f800000, v144
                                        ; implicit-def: $vgpr144
	s_and_saveexec_b32 s2, vcc_lo
	s_xor_b32 s2, exec_lo, s2
; %bb.73:
	v_bfe_u32 v144, v141, 16, 1
	s_delay_alu instid0(VALU_DEP_1)
	v_add3_u32 v144, v141, v144, 0x7fff
                                        ; implicit-def: $vgpr141
; %bb.74:
	s_and_not1_saveexec_b32 s2, s2
; %bb.75:
	v_and_b32_e32 v144, 0xffff, v141
	v_or_b32_e32 v146, 0x10000, v141
	s_delay_alu instid0(VALU_DEP_2) | instskip(NEXT) | instid1(VALU_DEP_2)
	v_cmp_eq_u32_e32 vcc_lo, 0, v144
	v_cndmask_b32_e32 v144, v146, v141, vcc_lo
; %bb.76:
	s_or_b32 exec_lo, exec_lo, s2
	s_delay_alu instid0(VALU_DEP_1)
	v_perm_b32 v136, v144, v136, 0x7060302
	v_perm_b32 v135, v135, v145, 0x7060302
	;; [unrolled: 1-line block ×4, first 2 shown]
	v_lshl_or_b32 v144, v140, 11, v143
	v_lshlrev_b32_e32 v141, 2, v138
	ds_store_b128 v131, v[133:136] offset:1024
	s_waitcnt lgkmcnt(0)
	s_barrier
	buffer_gl0_inv
	ds_load_b128 v[132:135], v144
	ds_load_b128 v[146:149], v144 offset:16
	v_or_b32_e32 v142, 1, v141
	v_cmp_eq_u32_e64 s11, 1, v141
	v_cmp_eq_u32_e64 s10, 2, v141
	;; [unrolled: 1-line block ×3, first 2 shown]
	v_or_b32_e32 v140, 2, v141
	v_cmp_eq_u32_e64 s6, 1, v142
	v_cmp_eq_u32_e64 s5, 2, v142
	;; [unrolled: 1-line block ×8, first 2 shown]
	v_cmp_eq_u32_e32 vcc_lo, 5, v142
	v_cmp_eq_u32_e64 s9, 2, v140
	v_cmp_eq_u32_e64 s3, 6, v142
	;; [unrolled: 1-line block ×4, first 2 shown]
	s_waitcnt lgkmcnt(1)
	v_lshrrev_b32_e32 v136, 16, v132
	s_waitcnt lgkmcnt(0)
	v_lshrrev_b32_e32 v154, 16, v146
	v_lshrrev_b32_e32 v160, 16, v147
	;; [unrolled: 1-line block ×4, first 2 shown]
	v_cndmask_b32_e64 v145, v132, v136, s11
	v_cndmask_b32_e64 v150, v146, v154, s11
	;; [unrolled: 1-line block ×4, first 2 shown]
	v_lshrrev_b32_e32 v159, 16, v134
	v_cndmask_b32_e64 v145, v145, v133, s10
	v_cndmask_b32_e64 v150, v150, v147, s10
	;; [unrolled: 1-line block ×8, first 2 shown]
	v_lshrrev_b32_e32 v163, 16, v149
	v_cndmask_b32_e64 v152, v152, v160, s4
	v_cndmask_b32_e64 v145, v145, v134, s16
	v_cndmask_b32_e64 v150, v150, v148, s16
	v_cndmask_b32_e64 v151, v151, v134, s2
	v_cndmask_b32_e64 v153, v153, v133, s9
	v_lshrrev_b32_e32 v161, 16, v135
	v_cndmask_b32_e64 v145, v145, v159, s12
	v_cndmask_b32_e64 v150, v150, v162, s12
	v_cndmask_b32_e32 v151, v151, v159, vcc_lo
	v_cndmask_b32_e64 v152, v152, v148, s2
	v_cmp_eq_u32_e64 s18, 7, v142
	v_cndmask_b32_e64 v145, v145, v135, s13
	v_cndmask_b32_e64 v150, v150, v149, s13
	;; [unrolled: 1-line block ×4, first 2 shown]
	v_cmp_eq_u32_e64 s19, 4, v140
	v_cndmask_b32_e64 v164, v145, v161, s8
	v_cndmask_b32_e64 v165, v150, v163, s8
	;; [unrolled: 1-line block ×3, first 2 shown]
	v_or_b32_e32 v145, 3, v141
	v_cndmask_b32_e64 v166, v151, v161, s18
	v_cndmask_b32_e32 v155, v152, v162, vcc_lo
	v_cndmask_b32_e64 v157, v153, v134, s19
	v_cndmask_b32_e64 v156, v150, v147, s9
	ds_load_b128 v[150:153], v144 offset:1024
	v_cmp_eq_u32_e64 s20, 1, v145
	v_cmp_eq_u32_e64 s21, 5, v140
	;; [unrolled: 1-line block ×3, first 2 shown]
	v_cndmask_b32_e64 v156, v156, v160, s17
	v_cmp_eq_u32_e64 s23, 3, v145
	v_cndmask_b32_e64 v132, v132, v136, s20
	v_cndmask_b32_e64 v136, v155, v149, s3
	;; [unrolled: 1-line block ×5, first 2 shown]
	ds_load_b128 v[154:157], v144 offset:1040
	v_cndmask_b32_e64 v132, v132, v133, s22
	v_cmp_eq_u32_e64 s25, 4, v145
	v_cmp_eq_u32_e64 s27, 5, v145
	v_cndmask_b32_e64 v146, v146, v147, s22
	v_cmp_eq_u32_e64 s24, 6, v140
	v_cndmask_b32_e64 v132, v132, v158, s23
	;; [unrolled: 2-line block ×3, first 2 shown]
	v_cndmask_b32_e64 v146, v146, v160, s23
	s_waitcnt lgkmcnt(1)
	v_lshrrev_b32_e32 v158, 16, v150
	v_cndmask_b32_e64 v132, v132, v134, s25
	v_cndmask_b32_e64 v147, v167, v135, s24
	;; [unrolled: 1-line block ×6, first 2 shown]
	v_lshrrev_b32_e32 v159, 16, v151
	v_cndmask_b32_e64 v160, v150, v158, s6
	v_cndmask_b32_e64 v134, v134, v162, s27
	s_waitcnt lgkmcnt(0)
	v_lshrrev_b32_e32 v148, 16, v154
	v_cndmask_b32_e64 v146, v146, v151, s10
	v_cndmask_b32_e64 v132, v132, v135, s28
	v_cmp_eq_u32_e64 s26, 7, v140
	v_cndmask_b32_e64 v134, v134, v149, s28
	v_cndmask_b32_e64 v162, v154, v148, s11
	;; [unrolled: 1-line block ×4, first 2 shown]
	v_lshrrev_b32_e32 v160, 16, v155
	v_cndmask_b32_e64 v136, v136, v163, s18
	v_cndmask_b32_e64 v149, v162, v155, s10
	v_cmp_eq_u32_e64 s10, 7, v145
	v_cndmask_b32_e64 v146, v146, v159, s4
	v_cndmask_b32_e64 v135, v135, v152, s16
	v_lshrrev_b32_e32 v162, 16, v152
	v_cndmask_b32_e64 v149, v149, v160, s15
	v_cndmask_b32_e64 v132, v132, v161, s10
	;; [unrolled: 1-line block ×8, first 2 shown]
	v_lshrrev_b32_e32 v163, 16, v156
	v_perm_b32 v135, v134, v132, 0x5040100
	v_cndmask_b32_e32 v132, v146, v162, vcc_lo
	v_cndmask_b32_e64 v146, v161, v153, s13
	v_lshrrev_b32_e32 v161, 16, v153
	v_cndmask_b32_e64 v149, v149, v163, s12
	v_perm_b32 v134, v133, v147, 0x5040100
	v_cndmask_b32_e64 v132, v132, v153, s3
	v_perm_b32 v133, v136, v166, 0x5040100
	v_cndmask_b32_e64 v136, v146, v161, s8
	v_cndmask_b32_e64 v146, v149, v157, s13
	;; [unrolled: 1-line block ×27, first 2 shown]
	v_cndmask_b32_e32 v148, v148, v163, vcc_lo
	v_lshrrev_b32_e32 v147, 16, v157
	v_cndmask_b32_e64 v132, v132, v153, s24
	v_cndmask_b32_e64 v149, v149, v153, s28
	;; [unrolled: 1-line block ×11, first 2 shown]
	v_perm_b32 v132, v165, v164, 0x5040100
	v_perm_b32 v149, v150, v149, 0x5040100
	;; [unrolled: 1-line block ×5, first 2 shown]
	s_lshl_b32 s7, s35, 2
	s_mov_b32 s2, exec_lo
	ds_store_b128 v131, v[132:135]
	ds_store_b128 v131, v[146:149] offset:1024
	v_cmpx_gt_u32_e32 4, v0
	s_cbranch_execz .LBB661_78
; %bb.77:
	v_or_b32_e32 v131, s29, v0
	s_load_b128 s[8:11], s[0:1], 0x58
	s_delay_alu instid0(VALU_DEP_1) | instskip(NEXT) | instid1(VALU_DEP_1)
	v_mad_u64_u32 v[132:133], null, s7, s30, v[131:132]
	v_mad_u64_u32 v[133:134], null, v132, s34, s[14:15]
	s_delay_alu instid0(VALU_DEP_1) | instskip(NEXT) | instid1(VALU_DEP_1)
	v_ashrrev_i32_e32 v134, 31, v133
	v_lshlrev_b64 v[131:132], 2, v[133:134]
	s_waitcnt lgkmcnt(0)
	s_delay_alu instid0(VALU_DEP_1) | instskip(NEXT) | instid1(VALU_DEP_2)
	v_add_co_u32 v133, vcc_lo, s10, v131
	v_add_co_ci_u32_e32 v134, vcc_lo, s11, v132, vcc_lo
	v_add_co_u32 v131, vcc_lo, s8, v131
	v_add_co_ci_u32_e32 v132, vcc_lo, s9, v132, vcc_lo
	global_store_b32 v[133:134], v129, off
	global_store_b32 v[131:132], v130, off
.LBB661_78:
	s_or_b32 exec_lo, exec_lo, s2
	s_waitcnt lgkmcnt(0)
	s_waitcnt_vscnt null, 0x0
	s_barrier
	buffer_gl0_inv
	ds_load_b128 v[146:149], v143
	ds_load_b128 v[150:153], v143 offset:16
	ds_load_b128 v[158:161], v143 offset:1040
	ds_load_b128 v[154:157], v143 offset:1024
	v_mov_b32_e32 v129, 0
	ds_load_b128 v[166:169], v143 offset:2064
	ds_load_b128 v[162:165], v143 offset:2048
	;; [unrolled: 1-line block ×6, first 2 shown]
	v_mov_b32_e32 v130, v129
	v_mov_b32_e32 v131, v129
	;; [unrolled: 1-line block ×7, first 2 shown]
	s_waitcnt lgkmcnt(8)
	s_delay_alu instid0(VALU_DEP_1)
	v_wmma_f32_16x16x16_bf16 v[129:136], v[121:128], v[146:153], v[129:136]
	ds_load_b128 v[125:128], v143 offset:5136
	ds_load_b128 v[121:124], v143 offset:5120
	s_waitcnt lgkmcnt(8)
	v_wmma_f32_16x16x16_bf16 v[129:136], v[113:120], v[154:161], v[129:136]
	ds_load_b128 v[117:120], v143 offset:6160
	ds_load_b128 v[113:116], v143 offset:6144
	s_waitcnt lgkmcnt(8)
	;; [unrolled: 4-line block ×8, first 2 shown]
	v_wmma_f32_16x16x16_bf16 v[129:136], v[65:72], v[97:104], v[129:136]
	s_waitcnt lgkmcnt(6)
	s_delay_alu instid0(VALU_DEP_1)
	v_wmma_f32_16x16x16_bf16 v[129:136], v[49:56], v[89:96], v[129:136]
	ds_load_b128 v[53:56], v143 offset:13328
	ds_load_b128 v[49:52], v143 offset:13312
	s_waitcnt lgkmcnt(6)
	v_wmma_f32_16x16x16_bf16 v[129:136], v[41:48], v[81:88], v[129:136]
	ds_load_b128 v[45:48], v143 offset:14352
	ds_load_b128 v[41:44], v143 offset:14336
	s_waitcnt lgkmcnt(6)
	;; [unrolled: 4-line block ×3, first 2 shown]
	v_wmma_f32_16x16x16_bf16 v[129:136], v[1:8], v[57:64], v[129:136]
	s_waitcnt lgkmcnt(4)
	s_delay_alu instid0(VALU_DEP_1) | instskip(SKIP_1) | instid1(VALU_DEP_1)
	v_wmma_f32_16x16x16_bf16 v[129:136], v[25:32], v[49:56], v[129:136]
	s_waitcnt lgkmcnt(2)
	v_wmma_f32_16x16x16_bf16 v[129:136], v[33:40], v[41:48], v[129:136]
	s_waitcnt lgkmcnt(0)
	s_delay_alu instid0(VALU_DEP_1) | instskip(NEXT) | instid1(VALU_DEP_1)
	v_wmma_f32_16x16x16_bf16 v[129:136], v[9:16], v[17:24], v[129:136]
	v_and_b32_e32 v1, 0x7f800000, v129
	s_delay_alu instid0(VALU_DEP_1) | instskip(SKIP_1) | instid1(SALU_CYCLE_1)
	v_cmp_ne_u32_e32 vcc_lo, 0x7f800000, v1
                                        ; implicit-def: $vgpr1
	s_and_saveexec_b32 s2, vcc_lo
	s_xor_b32 s2, exec_lo, s2
; %bb.79:
	v_bfe_u32 v1, v129, 16, 1
	s_delay_alu instid0(VALU_DEP_1)
	v_add3_u32 v1, v129, v1, 0x7fff
; %bb.80:
	s_and_not1_saveexec_b32 s2, s2
; %bb.81:
	v_and_b32_e32 v1, 0xffff, v129
	v_or_b32_e32 v2, 0x10000, v129
	s_delay_alu instid0(VALU_DEP_2) | instskip(NEXT) | instid1(VALU_DEP_2)
	v_cmp_eq_u32_e32 vcc_lo, 0, v1
	v_cndmask_b32_e32 v1, v2, v129, vcc_lo
; %bb.82:
	s_or_b32 exec_lo, exec_lo, s2
	v_and_b32_e32 v2, 0x7f800000, v130
	s_delay_alu instid0(VALU_DEP_1) | instskip(SKIP_1) | instid1(SALU_CYCLE_1)
	v_cmp_ne_u32_e32 vcc_lo, 0x7f800000, v2
                                        ; implicit-def: $vgpr2
	s_and_saveexec_b32 s2, vcc_lo
	s_xor_b32 s2, exec_lo, s2
; %bb.83:
	v_bfe_u32 v2, v130, 16, 1
	s_delay_alu instid0(VALU_DEP_1)
	v_add3_u32 v2, v130, v2, 0x7fff
; %bb.84:
	s_and_not1_saveexec_b32 s2, s2
; %bb.85:
	v_and_b32_e32 v2, 0xffff, v130
	v_or_b32_e32 v3, 0x10000, v130
	s_delay_alu instid0(VALU_DEP_2) | instskip(NEXT) | instid1(VALU_DEP_2)
	v_cmp_eq_u32_e32 vcc_lo, 0, v2
	v_cndmask_b32_e32 v2, v3, v130, vcc_lo
; %bb.86:
	s_or_b32 exec_lo, exec_lo, s2
	v_and_b32_e32 v3, 0x7f800000, v131
	s_delay_alu instid0(VALU_DEP_1) | instskip(SKIP_1) | instid1(SALU_CYCLE_1)
	v_cmp_ne_u32_e32 vcc_lo, 0x7f800000, v3
                                        ; implicit-def: $vgpr3
	s_and_saveexec_b32 s2, vcc_lo
	s_xor_b32 s2, exec_lo, s2
; %bb.87:
	v_bfe_u32 v3, v131, 16, 1
	s_delay_alu instid0(VALU_DEP_1)
	v_add3_u32 v3, v131, v3, 0x7fff
; %bb.88:
	s_and_not1_saveexec_b32 s2, s2
; %bb.89:
	v_and_b32_e32 v3, 0xffff, v131
	v_or_b32_e32 v4, 0x10000, v131
	s_delay_alu instid0(VALU_DEP_2) | instskip(NEXT) | instid1(VALU_DEP_2)
	v_cmp_eq_u32_e32 vcc_lo, 0, v3
	v_cndmask_b32_e32 v3, v4, v131, vcc_lo
; %bb.90:
	s_or_b32 exec_lo, exec_lo, s2
	v_and_b32_e32 v4, 0x7f800000, v132
	s_delay_alu instid0(VALU_DEP_1) | instskip(SKIP_1) | instid1(SALU_CYCLE_1)
	v_cmp_ne_u32_e32 vcc_lo, 0x7f800000, v4
                                        ; implicit-def: $vgpr4
	s_and_saveexec_b32 s2, vcc_lo
	s_xor_b32 s2, exec_lo, s2
; %bb.91:
	v_bfe_u32 v4, v132, 16, 1
	s_delay_alu instid0(VALU_DEP_1)
	v_add3_u32 v4, v132, v4, 0x7fff
; %bb.92:
	s_and_not1_saveexec_b32 s2, s2
; %bb.93:
	v_and_b32_e32 v4, 0xffff, v132
	v_or_b32_e32 v5, 0x10000, v132
	s_delay_alu instid0(VALU_DEP_2) | instskip(NEXT) | instid1(VALU_DEP_2)
	v_cmp_eq_u32_e32 vcc_lo, 0, v4
	v_cndmask_b32_e32 v4, v5, v132, vcc_lo
; %bb.94:
	s_or_b32 exec_lo, exec_lo, s2
	v_and_b32_e32 v5, 0x7f800000, v133
	s_delay_alu instid0(VALU_DEP_1) | instskip(SKIP_1) | instid1(SALU_CYCLE_1)
	v_cmp_ne_u32_e32 vcc_lo, 0x7f800000, v5
                                        ; implicit-def: $vgpr5
	s_and_saveexec_b32 s2, vcc_lo
	s_xor_b32 s2, exec_lo, s2
; %bb.95:
	v_bfe_u32 v5, v133, 16, 1
	s_delay_alu instid0(VALU_DEP_1)
	v_add3_u32 v5, v133, v5, 0x7fff
; %bb.96:
	s_and_not1_saveexec_b32 s2, s2
; %bb.97:
	v_and_b32_e32 v5, 0xffff, v133
	v_or_b32_e32 v6, 0x10000, v133
	s_delay_alu instid0(VALU_DEP_2) | instskip(NEXT) | instid1(VALU_DEP_2)
	v_cmp_eq_u32_e32 vcc_lo, 0, v5
	v_cndmask_b32_e32 v5, v6, v133, vcc_lo
; %bb.98:
	s_or_b32 exec_lo, exec_lo, s2
	v_and_b32_e32 v6, 0x7f800000, v134
	s_delay_alu instid0(VALU_DEP_1) | instskip(SKIP_1) | instid1(SALU_CYCLE_1)
	v_cmp_ne_u32_e32 vcc_lo, 0x7f800000, v6
                                        ; implicit-def: $vgpr6
	s_and_saveexec_b32 s2, vcc_lo
	s_xor_b32 s2, exec_lo, s2
; %bb.99:
	v_bfe_u32 v6, v134, 16, 1
	s_delay_alu instid0(VALU_DEP_1)
	v_add3_u32 v6, v134, v6, 0x7fff
; %bb.100:
	s_and_not1_saveexec_b32 s2, s2
; %bb.101:
	v_and_b32_e32 v6, 0xffff, v134
	v_or_b32_e32 v7, 0x10000, v134
	s_delay_alu instid0(VALU_DEP_2) | instskip(NEXT) | instid1(VALU_DEP_2)
	v_cmp_eq_u32_e32 vcc_lo, 0, v6
	v_cndmask_b32_e32 v6, v7, v134, vcc_lo
; %bb.102:
	s_or_b32 exec_lo, exec_lo, s2
	v_and_b32_e32 v7, 0x7f800000, v135
	s_delay_alu instid0(VALU_DEP_1) | instskip(SKIP_1) | instid1(SALU_CYCLE_1)
	v_cmp_ne_u32_e32 vcc_lo, 0x7f800000, v7
                                        ; implicit-def: $vgpr7
	s_and_saveexec_b32 s2, vcc_lo
	s_xor_b32 s2, exec_lo, s2
; %bb.103:
	v_bfe_u32 v7, v135, 16, 1
	s_delay_alu instid0(VALU_DEP_1)
	v_add3_u32 v7, v135, v7, 0x7fff
; %bb.104:
	s_and_not1_saveexec_b32 s2, s2
; %bb.105:
	v_and_b32_e32 v7, 0xffff, v135
	v_or_b32_e32 v8, 0x10000, v135
	s_delay_alu instid0(VALU_DEP_2) | instskip(NEXT) | instid1(VALU_DEP_2)
	v_cmp_eq_u32_e32 vcc_lo, 0, v7
	v_cndmask_b32_e32 v7, v8, v135, vcc_lo
; %bb.106:
	s_or_b32 exec_lo, exec_lo, s2
	v_and_b32_e32 v8, 0x7f800000, v136
	s_delay_alu instid0(VALU_DEP_1) | instskip(SKIP_1) | instid1(SALU_CYCLE_1)
	v_cmp_ne_u32_e32 vcc_lo, 0x7f800000, v8
                                        ; implicit-def: $vgpr8
	s_and_saveexec_b32 s2, vcc_lo
	s_xor_b32 s2, exec_lo, s2
; %bb.107:
	v_bfe_u32 v8, v136, 16, 1
	s_delay_alu instid0(VALU_DEP_1)
	v_add3_u32 v8, v136, v8, 0x7fff
                                        ; implicit-def: $vgpr129_vgpr130_vgpr131_vgpr132_vgpr133_vgpr134_vgpr135_vgpr136
; %bb.108:
	s_and_not1_saveexec_b32 s2, s2
; %bb.109:
	v_and_b32_e32 v8, 0xffff, v136
	v_or_b32_e32 v9, 0x10000, v136
	s_delay_alu instid0(VALU_DEP_2) | instskip(NEXT) | instid1(VALU_DEP_2)
	v_cmp_eq_u32_e32 vcc_lo, 0, v8
	v_cndmask_b32_e32 v8, v9, v136, vcc_lo
; %bb.110:
	s_or_b32 exec_lo, exec_lo, s2
	s_delay_alu instid0(VALU_DEP_1)
	v_perm_b32 v7, v8, v7, 0x7060302
	v_perm_b32 v6, v6, v5, 0x7060302
	;; [unrolled: 1-line block ×4, first 2 shown]
	v_lshl_or_b32 v9, v138, 4, v144
	s_barrier
	buffer_gl0_inv
	v_cmp_eq_u32_e32 vcc_lo, 1, v141
	ds_store_b128 v9, v[4:7]
	s_waitcnt lgkmcnt(0)
	s_barrier
	buffer_gl0_inv
	ds_load_b128 v[1:4], v144
	ds_load_b128 v[5:8], v144 offset:16
	v_cmp_eq_u32_e64 s3, 2, v141
	v_cmp_eq_u32_e64 s2, 1, v142
	;; [unrolled: 1-line block ×5, first 2 shown]
	s_waitcnt lgkmcnt(1)
	v_lshrrev_b32_e32 v10, 16, v1
	s_waitcnt lgkmcnt(0)
	v_lshrrev_b32_e32 v14, 16, v5
	v_lshrrev_b32_e32 v15, 16, v6
	;; [unrolled: 1-line block ×4, first 2 shown]
	v_cndmask_b32_e64 v20, v1, v10, s2
	v_cndmask_b32_e32 v19, v5, v14, vcc_lo
	v_cndmask_b32_e64 v21, v5, v14, s2
	v_lshrrev_b32_e32 v16, 16, v7
	v_cmp_eq_u32_e64 s2, 1, v140
	v_lshrrev_b32_e32 v13, 16, v4
	v_cndmask_b32_e64 v19, v19, v6, s3
	v_lshrrev_b32_e32 v17, 16, v8
	s_delay_alu instid0(VALU_DEP_4) | instskip(SKIP_1) | instid1(VALU_DEP_4)
	v_cndmask_b32_e64 v22, v1, v10, s2
	v_cndmask_b32_e64 v23, v5, v14, s2
	v_cndmask_b32_e64 v19, v19, v15, s4
	v_cndmask_b32_e32 v18, v1, v10, vcc_lo
	v_cmp_eq_u32_e32 vcc_lo, 2, v142
	v_cmp_eq_u32_e64 s2, 2, v145
	v_cndmask_b32_e64 v22, v22, v2, s6
	v_cndmask_b32_e32 v20, v20, v2, vcc_lo
	v_cndmask_b32_e32 v21, v21, v6, vcc_lo
	v_cmp_eq_u32_e32 vcc_lo, 4, v141
	v_cndmask_b32_e32 v19, v19, v7, vcc_lo
	v_cndmask_b32_e64 v18, v18, v2, s3
	v_cmp_eq_u32_e64 s3, 3, v142
	s_delay_alu instid0(VALU_DEP_2) | instskip(NEXT) | instid1(VALU_DEP_2)
	v_cndmask_b32_e64 v18, v18, v11, s4
	v_cndmask_b32_e64 v21, v21, v15, s3
	v_cmp_eq_u32_e64 s4, 5, v141
	s_delay_alu instid0(VALU_DEP_3) | instskip(SKIP_1) | instid1(VALU_DEP_3)
	v_cndmask_b32_e32 v18, v18, v3, vcc_lo
	v_cmp_eq_u32_e32 vcc_lo, 4, v142
	v_cndmask_b32_e64 v19, v19, v16, s4
	s_delay_alu instid0(VALU_DEP_3) | instskip(SKIP_4) | instid1(VALU_DEP_3)
	v_cndmask_b32_e64 v18, v18, v12, s4
	v_cndmask_b32_e32 v21, v21, v7, vcc_lo
	v_cndmask_b32_e64 v20, v20, v11, s3
	v_cmp_eq_u32_e64 s3, 5, v142
	v_cmp_eq_u32_e64 s4, 6, v141
	v_cndmask_b32_e32 v20, v20, v3, vcc_lo
	s_delay_alu instid0(VALU_DEP_3) | instskip(SKIP_1) | instid1(VALU_DEP_4)
	v_cndmask_b32_e64 v21, v21, v16, s3
	v_cmp_eq_u32_e32 vcc_lo, 6, v142
	v_cndmask_b32_e64 v18, v18, v4, s4
	v_cndmask_b32_e64 v19, v19, v8, s4
	v_cndmask_b32_e64 v20, v20, v12, s3
	v_cmp_eq_u32_e64 s3, 1, v145
	v_cmp_eq_u32_e64 s4, 7, v141
	s_delay_alu instid0(VALU_DEP_3) | instskip(NEXT) | instid1(VALU_DEP_3)
	v_cndmask_b32_e32 v20, v20, v4, vcc_lo
	v_cndmask_b32_e64 v1, v1, v10, s3
	v_cndmask_b32_e64 v5, v5, v14, s3
	v_cmp_eq_u32_e64 s3, 3, v140
	v_cndmask_b32_e64 v14, v23, v6, s6
	v_cmp_eq_u32_e64 s6, 3, v145
	v_cndmask_b32_e64 v1, v1, v2, s2
	v_cndmask_b32_e64 v2, v5, v6, s2
	;; [unrolled: 1-line block ×3, first 2 shown]
	v_cmp_eq_u32_e64 s2, 4, v140
	v_cndmask_b32_e64 v6, v14, v15, s3
	v_cndmask_b32_e64 v1, v1, v11, s6
	v_cmp_eq_u32_e64 s3, 4, v145
	v_cndmask_b32_e64 v2, v2, v15, s6
	v_cndmask_b32_e64 v5, v10, v3, s2
	;; [unrolled: 3-line block ×3, first 2 shown]
	v_cndmask_b32_e64 v2, v2, v7, s3
	v_cmp_eq_u32_e64 s2, 5, v145
	v_cndmask_b32_e64 v5, v5, v12, s6
	v_cmp_eq_u32_e64 s3, 6, v140
	;; [unrolled: 2-line block ×3, first 2 shown]
	v_cndmask_b32_e64 v1, v1, v12, s2
	v_cndmask_b32_e64 v2, v2, v16, s2
	;; [unrolled: 1-line block ×4, first 2 shown]
	v_cmp_eq_u32_e64 s2, 7, v145
	v_cndmask_b32_e64 v1, v1, v4, s6
	v_cndmask_b32_e64 v2, v2, v8, s6
	v_cmp_eq_u32_e64 s3, 7, v140
	v_cndmask_b32_e32 v4, v21, v8, vcc_lo
	v_cndmask_b32_e64 v18, v18, v13, s4
	v_cndmask_b32_e64 v20, v20, v13, s5
	;; [unrolled: 1-line block ×8, first 2 shown]
	s_mov_b32 s2, exec_lo
	v_perm_b32 v4, v2, v1, 0x5040100
	v_perm_b32 v3, v3, v5, 0x5040100
	;; [unrolled: 1-line block ×4, first 2 shown]
	ds_store_b128 v9, v[1:4]
	s_waitcnt lgkmcnt(0)
	s_barrier
	buffer_gl0_inv
	v_cmpx_gt_u32_e32 32, v0
	s_cbranch_execz .LBB661_2
; %bb.111:
	s_load_b64 s[0:1], s[0:1], 0x68
	v_lshlrev_b32_e32 v0, 10, v0
	v_or_b32_e32 v1, s29, v138
	s_lshl_b32 s4, s34, 7
	v_lshlrev_b32_e32 v2, 4, v139
	s_mul_i32 s2, s4, s30
	v_lshlrev_b32_e32 v3, 6, v138
	v_mul_lo_u32 v8, v1, s4
	v_and_b32_e32 v0, 0x3800, v0
	v_or_b32_e32 v1, 2, v1
	s_mul_i32 s2, s2, s7
	s_delay_alu instid0(SALU_CYCLE_1) | instskip(NEXT) | instid1(VALU_DEP_2)
	s_ashr_i32 s3, s2, 31
	v_or3_b32 v4, v0, v2, v3
	s_lshl_b64 s[2:3], s[2:3], 1
	v_mul_lo_u32 v10, v1, s4
	v_ashrrev_i32_e32 v9, 31, v8
	ds_load_b128 v[0:3], v4
	ds_load_b128 v[4:7], v4 offset:128
	s_waitcnt lgkmcnt(0)
	s_add_u32 s2, s0, s2
	s_addc_u32 s3, s1, s3
	s_lshl_b32 s0, s14, 7
	v_ashrrev_i32_e32 v11, 31, v10
	s_ashr_i32 s1, s0, 31
	v_lshlrev_b64 v[8:9], 1, v[8:9]
	s_lshl_b64 s[0:1], s[0:1], 1
	s_delay_alu instid0(SALU_CYCLE_1) | instskip(SKIP_2) | instid1(VALU_DEP_1)
	s_add_u32 s0, s2, s0
	s_addc_u32 s1, s3, s1
	v_add_co_u32 v12, s0, s0, v137
	v_add_co_ci_u32_e64 v13, null, s1, 0, s0
	v_lshlrev_b64 v[10:11], 1, v[10:11]
	s_delay_alu instid0(VALU_DEP_3) | instskip(NEXT) | instid1(VALU_DEP_3)
	v_add_co_u32 v8, vcc_lo, v12, v8
	v_add_co_ci_u32_e32 v9, vcc_lo, v13, v9, vcc_lo
	s_delay_alu instid0(VALU_DEP_3) | instskip(NEXT) | instid1(VALU_DEP_4)
	v_add_co_u32 v10, vcc_lo, v12, v10
	v_add_co_ci_u32_e32 v11, vcc_lo, v13, v11, vcc_lo
	s_clause 0x1
	global_store_b128 v[8:9], v[0:3], off
	global_store_b128 v[10:11], v[4:7], off
	s_nop 0
	s_sendmsg sendmsg(MSG_DEALLOC_VGPRS)
	s_endpgm
	.section	.rodata,"a",@progbits
	.p2align	6, 0x0
	.amdhsa_kernel _Z39paged_attention_ll4mi_QKV_mfma16_kernelI14__hip_bfloat16S0_LN4vllm18Fp8KVCacheDataTypeE0ES0_Li16ELi128ELi256ELb1ELi4EL8MFMAType0EEvPKT_PKT0_S9_ifPKiSB_SB_iPKfiiiPfSE_PS4_PT2_iSD_SD_
		.amdhsa_group_segment_fixed_size 17472
		.amdhsa_private_segment_fixed_size 0
		.amdhsa_kernarg_size 400
		.amdhsa_user_sgpr_count 13
		.amdhsa_user_sgpr_dispatch_ptr 0
		.amdhsa_user_sgpr_queue_ptr 0
		.amdhsa_user_sgpr_kernarg_segment_ptr 1
		.amdhsa_user_sgpr_dispatch_id 0
		.amdhsa_user_sgpr_private_segment_size 0
		.amdhsa_wavefront_size32 1
		.amdhsa_uses_dynamic_stack 0
		.amdhsa_enable_private_segment 0
		.amdhsa_system_sgpr_workgroup_id_x 1
		.amdhsa_system_sgpr_workgroup_id_y 1
		.amdhsa_system_sgpr_workgroup_id_z 1
		.amdhsa_system_sgpr_workgroup_info 0
		.amdhsa_system_vgpr_workitem_id 0
		.amdhsa_next_free_vgpr 218
		.amdhsa_next_free_sgpr 50
		.amdhsa_reserve_vcc 1
		.amdhsa_float_round_mode_32 0
		.amdhsa_float_round_mode_16_64 0
		.amdhsa_float_denorm_mode_32 3
		.amdhsa_float_denorm_mode_16_64 3
		.amdhsa_dx10_clamp 1
		.amdhsa_ieee_mode 1
		.amdhsa_fp16_overflow 0
		.amdhsa_workgroup_processor_mode 1
		.amdhsa_memory_ordered 1
		.amdhsa_forward_progress 0
		.amdhsa_shared_vgpr_count 0
		.amdhsa_exception_fp_ieee_invalid_op 0
		.amdhsa_exception_fp_denorm_src 0
		.amdhsa_exception_fp_ieee_div_zero 0
		.amdhsa_exception_fp_ieee_overflow 0
		.amdhsa_exception_fp_ieee_underflow 0
		.amdhsa_exception_fp_ieee_inexact 0
		.amdhsa_exception_int_div_zero 0
	.end_amdhsa_kernel
	.section	.text._Z39paged_attention_ll4mi_QKV_mfma16_kernelI14__hip_bfloat16S0_LN4vllm18Fp8KVCacheDataTypeE0ES0_Li16ELi128ELi256ELb1ELi4EL8MFMAType0EEvPKT_PKT0_S9_ifPKiSB_SB_iPKfiiiPfSE_PS4_PT2_iSD_SD_,"axG",@progbits,_Z39paged_attention_ll4mi_QKV_mfma16_kernelI14__hip_bfloat16S0_LN4vllm18Fp8KVCacheDataTypeE0ES0_Li16ELi128ELi256ELb1ELi4EL8MFMAType0EEvPKT_PKT0_S9_ifPKiSB_SB_iPKfiiiPfSE_PS4_PT2_iSD_SD_,comdat
.Lfunc_end661:
	.size	_Z39paged_attention_ll4mi_QKV_mfma16_kernelI14__hip_bfloat16S0_LN4vllm18Fp8KVCacheDataTypeE0ES0_Li16ELi128ELi256ELb1ELi4EL8MFMAType0EEvPKT_PKT0_S9_ifPKiSB_SB_iPKfiiiPfSE_PS4_PT2_iSD_SD_, .Lfunc_end661-_Z39paged_attention_ll4mi_QKV_mfma16_kernelI14__hip_bfloat16S0_LN4vllm18Fp8KVCacheDataTypeE0ES0_Li16ELi128ELi256ELb1ELi4EL8MFMAType0EEvPKT_PKT0_S9_ifPKiSB_SB_iPKfiiiPfSE_PS4_PT2_iSD_SD_
                                        ; -- End function
	.section	.AMDGPU.csdata,"",@progbits
; Kernel info:
; codeLenInByte = 10156
; NumSgprs: 52
; NumVgprs: 218
; ScratchSize: 0
; MemoryBound: 0
; FloatMode: 240
; IeeeMode: 1
; LDSByteSize: 17472 bytes/workgroup (compile time only)
; SGPRBlocks: 6
; VGPRBlocks: 27
; NumSGPRsForWavesPerEU: 52
; NumVGPRsForWavesPerEU: 218
; Occupancy: 6
; WaveLimiterHint : 1
; COMPUTE_PGM_RSRC2:SCRATCH_EN: 0
; COMPUTE_PGM_RSRC2:USER_SGPR: 13
; COMPUTE_PGM_RSRC2:TRAP_HANDLER: 0
; COMPUTE_PGM_RSRC2:TGID_X_EN: 1
; COMPUTE_PGM_RSRC2:TGID_Y_EN: 1
; COMPUTE_PGM_RSRC2:TGID_Z_EN: 1
; COMPUTE_PGM_RSRC2:TIDIG_COMP_CNT: 0
	.section	.text._Z35paged_attention_ll4mi_reduce_kernelI14__hip_bfloat16S0_Li128ELi128ELi256ELi9EEvPT0_PKfS4_PKT_PKiS9_iS4_,"axG",@progbits,_Z35paged_attention_ll4mi_reduce_kernelI14__hip_bfloat16S0_Li128ELi128ELi256ELi9EEvPT0_PKfS4_PKT_PKiS9_iS4_,comdat
	.protected	_Z35paged_attention_ll4mi_reduce_kernelI14__hip_bfloat16S0_Li128ELi128ELi256ELi9EEvPT0_PKfS4_PKT_PKiS9_iS4_ ; -- Begin function _Z35paged_attention_ll4mi_reduce_kernelI14__hip_bfloat16S0_Li128ELi128ELi256ELi9EEvPT0_PKfS4_PKT_PKiS9_iS4_
	.globl	_Z35paged_attention_ll4mi_reduce_kernelI14__hip_bfloat16S0_Li128ELi128ELi256ELi9EEvPT0_PKfS4_PKT_PKiS9_iS4_
	.p2align	8
	.type	_Z35paged_attention_ll4mi_reduce_kernelI14__hip_bfloat16S0_Li128ELi128ELi256ELi9EEvPT0_PKfS4_PKT_PKiS9_iS4_,@function
_Z35paged_attention_ll4mi_reduce_kernelI14__hip_bfloat16S0_Li128ELi128ELi256ELi9EEvPT0_PKfS4_PKT_PKiS9_iS4_: ; @_Z35paged_attention_ll4mi_reduce_kernelI14__hip_bfloat16S0_Li128ELi128ELi256ELi9EEvPT0_PKfS4_PKT_PKiS9_iS4_
; %bb.0:
	s_load_b64 s[12:13], s[0:1], 0x28
	s_mov_b32 s2, s15
	s_waitcnt lgkmcnt(0)
	s_cmp_lg_u64 s[12:13], 0
	s_cselect_b32 s15, -1, 0
	s_delay_alu instid0(SALU_CYCLE_1)
	s_and_b32 vcc_lo, exec_lo, s15
	s_cbranch_vccz .LBB662_24
; %bb.1:
	s_add_i32 s4, s2, 1
	s_mov_b32 s5, 0
	s_delay_alu instid0(SALU_CYCLE_1) | instskip(SKIP_4) | instid1(SALU_CYCLE_1)
	s_lshl_b64 s[6:7], s[4:5], 2
	s_mov_b32 s3, s5
	s_add_u32 s6, s12, s6
	s_addc_u32 s7, s13, s7
	s_lshl_b64 s[8:9], s[2:3], 2
	s_add_u32 s8, s12, s8
	s_addc_u32 s9, s13, s9
	s_clause 0x1
	s_load_b32 s4, s[6:7], 0x0
	s_load_b32 s6, s[8:9], 0x0
	s_waitcnt lgkmcnt(0)
	s_sub_i32 s4, s4, s6
	s_delay_alu instid0(SALU_CYCLE_1)
	s_cmp_eq_u32 s4, 1
	s_cselect_b32 s4, -1, 0
	s_cbranch_execnz .LBB662_3
.LBB662_2:
	s_mov_b32 s3, 0
	s_mov_b32 s4, -1
.LBB662_3:
	s_delay_alu instid0(SALU_CYCLE_1)
	s_and_not1_b32 vcc_lo, exec_lo, s4
	s_cbranch_vccz .LBB662_5
; %bb.4:
	s_endpgm
.LBB662_5:
	s_clause 0x1
	s_load_b128 s[4:7], s[0:1], 0x18
	s_load_b32 s9, s[0:1], 0x30
	s_lshl_b64 s[16:17], s[2:3], 2
	s_waitcnt lgkmcnt(0)
	s_add_u32 s6, s6, s16
	s_addc_u32 s7, s7, s17
	s_load_b32 s23, s[6:7], 0x0
	s_load_b32 s33, s[0:1], 0x40
	s_mul_i32 s7, s2, s9
	s_waitcnt lgkmcnt(0)
	s_add_i32 s22, s23, 0xff
	s_delay_alu instid0(SALU_CYCLE_1) | instskip(NEXT) | instid1(SALU_CYCLE_1)
	s_ashr_i32 s6, s22, 31
	s_lshr_b32 s6, s6, 24
	s_delay_alu instid0(SALU_CYCLE_1) | instskip(SKIP_4) | instid1(SALU_CYCLE_1)
	s_add_i32 s8, s22, s6
	s_mul_i32 s6, s14, s9
	s_mov_b32 s9, exec_lo
	v_cmpx_lt_u32_e32 31, v0
	s_xor_b32 s9, exec_lo, s9
	s_or_saveexec_b32 s24, s9
	v_mov_b32_e32 v1, s6
	s_ashr_i32 s40, s8, 8
	s_mul_i32 s18, s7, s33
	s_xor_b32 exec_lo, exec_lo, s24
	s_cbranch_execz .LBB662_9
; %bb.6:
	v_or_b32_e32 v2, 32, v0
	v_cmp_gt_i32_e32 vcc_lo, s40, v0
	s_add_i32 s20, s40, -1
	v_or_b32_e32 v4, 64, v0
	v_or_b32_e32 v6, 0x60, v0
	s_load_b128 s[8:11], s[0:1], 0x8
	v_cndmask_b32_e32 v1, s20, v0, vcc_lo
	v_cmp_gt_i32_e32 vcc_lo, s40, v2
	s_mov_b32 s19, 0
	s_delay_alu instid0(SALU_CYCLE_1)
	s_mov_b32 s7, s19
	v_cndmask_b32_e32 v3, s20, v2, vcc_lo
	v_cmp_gt_i32_e32 vcc_lo, s40, v4
	v_or_b32_e32 v2, 0x80, v0
	v_cndmask_b32_e32 v5, s20, v4, vcc_lo
	v_cmp_gt_i32_e32 vcc_lo, s40, v6
	v_or_b32_e32 v4, 0xa0, v0
	;; [unrolled: 3-line block ×3, first 2 shown]
	s_delay_alu instid0(VALU_DEP_3) | instskip(SKIP_3) | instid1(VALU_DEP_4)
	v_ashrrev_i32_e32 v8, 31, v7
	v_cndmask_b32_e32 v9, s20, v2, vcc_lo
	v_or_b32_e32 v2, 0xc0, v0
	v_cmp_gt_i32_e32 vcc_lo, s40, v4
	v_lshlrev_b64 v[7:8], 2, v[7:8]
	s_delay_alu instid0(VALU_DEP_4) | instskip(SKIP_3) | instid1(VALU_DEP_4)
	v_ashrrev_i32_e32 v10, 31, v9
	v_cndmask_b32_e32 v11, s20, v4, vcc_lo
	v_cmp_gt_i32_e32 vcc_lo, s40, v2
	v_or_b32_e32 v4, 0x100, v0
	v_lshlrev_b64 v[9:10], 2, v[9:10]
	s_delay_alu instid0(VALU_DEP_4) | instskip(SKIP_3) | instid1(VALU_DEP_4)
	v_ashrrev_i32_e32 v12, 31, v11
	v_cndmask_b32_e32 v13, s20, v2, vcc_lo
	v_cmp_gt_i32_e32 vcc_lo, s40, v6
	v_ashrrev_i32_e32 v2, 31, v1
	v_lshlrev_b64 v[11:12], 2, v[11:12]
	s_delay_alu instid0(VALU_DEP_4)
	v_ashrrev_i32_e32 v14, 31, v13
	v_cndmask_b32_e32 v15, s20, v6, vcc_lo
	v_cmp_gt_i32_e32 vcc_lo, s40, v4
	v_lshlrev_b64 v[1:2], 2, v[1:2]
	v_ashrrev_i32_e32 v6, 31, v5
	v_lshlrev_b64 v[13:14], 2, v[13:14]
	v_ashrrev_i32_e32 v16, 31, v15
	v_cndmask_b32_e32 v17, s20, v4, vcc_lo
	v_ashrrev_i32_e32 v4, 31, v3
	s_lshl_b64 s[20:21], s[18:19], 2
	v_lshlrev_b64 v[5:6], 2, v[5:6]
	s_waitcnt lgkmcnt(0)
	s_add_u32 s19, s10, s20
	s_addc_u32 s25, s11, s21
	s_lshl_b64 s[10:11], s[6:7], 2
	v_lshlrev_b64 v[3:4], 2, v[3:4]
	s_add_u32 s7, s19, s10
	s_addc_u32 s19, s25, s11
	v_add_co_u32 v18, vcc_lo, s7, v1
	v_add_co_ci_u32_e32 v19, vcc_lo, s19, v2, vcc_lo
	s_delay_alu instid0(VALU_DEP_3)
	v_add_co_u32 v20, vcc_lo, s7, v3
	v_add_co_ci_u32_e32 v21, vcc_lo, s19, v4, vcc_lo
	v_add_co_u32 v22, vcc_lo, s7, v5
	v_add_co_ci_u32_e32 v23, vcc_lo, s19, v6, vcc_lo
	;; [unrolled: 2-line block ×4, first 2 shown]
	s_clause 0x4
	global_load_b32 v28, v[18:19], off
	global_load_b32 v29, v[20:21], off
	;; [unrolled: 1-line block ×5, first 2 shown]
	v_ashrrev_i32_e32 v18, 31, v17
	v_add_co_u32 v19, vcc_lo, s7, v11
	v_lshlrev_b64 v[15:16], 2, v[15:16]
	v_add_co_ci_u32_e32 v20, vcc_lo, s19, v12, vcc_lo
	v_add_co_u32 v21, vcc_lo, s7, v13
	v_lshlrev_b64 v[17:18], 2, v[17:18]
	v_add_co_ci_u32_e32 v22, vcc_lo, s19, v14, vcc_lo
	v_add_co_u32 v23, vcc_lo, s7, v15
	v_add_co_ci_u32_e32 v24, vcc_lo, s19, v16, vcc_lo
	s_delay_alu instid0(VALU_DEP_4)
	v_add_co_u32 v25, vcc_lo, s7, v17
	v_add_co_ci_u32_e32 v26, vcc_lo, s19, v18, vcc_lo
	s_clause 0x3
	global_load_b32 v19, v[19:20], off
	global_load_b32 v20, v[21:22], off
	;; [unrolled: 1-line block ×4, first 2 shown]
	s_add_u32 s7, s8, s20
	s_addc_u32 s8, s9, s21
	s_add_u32 s7, s7, s10
	s_addc_u32 s8, s8, s11
	v_add_co_u32 v1, vcc_lo, s7, v1
	v_add_co_ci_u32_e32 v2, vcc_lo, s8, v2, vcc_lo
	v_add_co_u32 v3, vcc_lo, s7, v3
	v_add_co_ci_u32_e32 v4, vcc_lo, s8, v4, vcc_lo
	;; [unrolled: 2-line block ×6, first 2 shown]
	s_clause 0x5
	global_load_b32 v23, v[1:2], off
	global_load_b32 v3, v[3:4], off
	;; [unrolled: 1-line block ×6, first 2 shown]
	v_add_co_u32 v1, vcc_lo, s7, v13
	v_add_co_ci_u32_e32 v2, vcc_lo, s8, v14, vcc_lo
	v_mbcnt_lo_u32_b32 v9, -1, 0
	global_load_b32 v8, v[1:2], off
	v_add_co_u32 v1, vcc_lo, s7, v15
	v_add_co_ci_u32_e32 v2, vcc_lo, s8, v16, vcc_lo
	v_xor_b32_e32 v11, 16, v9
	v_xor_b32_e32 v13, 8, v9
	v_xor_b32_e32 v14, 4, v9
	global_load_b32 v12, v[1:2], off
	v_add_co_u32 v1, vcc_lo, s7, v17
	v_add_co_ci_u32_e32 v2, vcc_lo, s8, v18, vcc_lo
	v_cmp_gt_i32_e32 vcc_lo, 32, v11
	v_xor_b32_e32 v15, 2, v9
	v_xor_b32_e32 v16, 1, v9
	global_load_b32 v1, v[1:2], off
	s_mov_b32 s7, exec_lo
	v_cndmask_b32_e32 v11, v9, v11, vcc_lo
	v_cmp_gt_i32_e32 vcc_lo, 32, v13
	s_delay_alu instid0(VALU_DEP_2) | instskip(SKIP_1) | instid1(VALU_DEP_2)
	v_dual_cndmask_b32 v13, v9, v13 :: v_dual_lshlrev_b32 v2, 2, v11
	v_cmp_gt_i32_e32 vcc_lo, 32, v14
	v_dual_cndmask_b32 v14, v9, v14 :: v_dual_lshlrev_b32 v13, 2, v13
	v_cmp_gt_i32_e32 vcc_lo, 32, v15
	s_delay_alu instid0(VALU_DEP_2) | instskip(SKIP_1) | instid1(VALU_DEP_2)
	v_dual_cndmask_b32 v15, v9, v15 :: v_dual_lshlrev_b32 v14, 2, v14
	v_cmp_gt_i32_e32 vcc_lo, 32, v16
	v_lshlrev_b32_e32 v15, 2, v15
	v_cndmask_b32_e32 v9, v9, v16, vcc_lo
	s_delay_alu instid0(VALU_DEP_1) | instskip(SKIP_3) | instid1(VALU_DEP_1)
	v_lshlrev_b32_e32 v9, 2, v9
	s_waitcnt vmcnt(15)
	v_max3_f32 v10, v28, v29, v30
	s_waitcnt vmcnt(13)
	v_max3_f32 v10, v10, v31, v27
	s_waitcnt vmcnt(11)
	s_delay_alu instid0(VALU_DEP_1) | instskip(SKIP_1) | instid1(VALU_DEP_1)
	v_max3_f32 v10, v10, v19, v20
	s_waitcnt vmcnt(9)
	v_max3_f32 v10, v10, v21, v22
	ds_bpermute_b32 v11, v2, v10
	s_waitcnt lgkmcnt(0)
	v_max_f32_e32 v11, v11, v11
	s_delay_alu instid0(VALU_DEP_1) | instskip(SKIP_3) | instid1(VALU_DEP_1)
	v_max_f32_e32 v10, v10, v11
	ds_bpermute_b32 v11, v13, v10
	s_waitcnt lgkmcnt(0)
	v_max_f32_e32 v11, v11, v11
	v_max_f32_e32 v10, v10, v11
	ds_bpermute_b32 v11, v14, v10
	s_waitcnt lgkmcnt(0)
	v_max_f32_e32 v11, v11, v11
	s_delay_alu instid0(VALU_DEP_1) | instskip(SKIP_3) | instid1(VALU_DEP_1)
	v_max_f32_e32 v10, v10, v11
	ds_bpermute_b32 v11, v15, v10
	s_waitcnt lgkmcnt(0)
	v_max_f32_e32 v11, v11, v11
	v_max_f32_e32 v10, v10, v11
	ds_bpermute_b32 v11, v9, v10
	s_waitcnt lgkmcnt(0)
	v_max_f32_e32 v11, v11, v11
	s_delay_alu instid0(VALU_DEP_1) | instskip(SKIP_1) | instid1(VALU_DEP_2)
	v_max_f32_e32 v10, v10, v11
	v_sub_nc_u32_e32 v11, s40, v0
	v_sub_f32_e32 v24, v31, v10
	v_sub_f32_e32 v16, v28, v10
	;; [unrolled: 1-line block ×5, first 2 shown]
	v_mul_f32_e32 v28, 0x3fb8aa3b, v24
	v_cmp_ngt_f32_e32 vcc_lo, 0xc2ce8ed0, v16
	v_mul_f32_e32 v26, 0x3fb8aa3b, v17
	s_delay_alu instid0(VALU_DEP_3)
	v_fma_f32 v40, 0x3fb8aa3b, v24, -v28
	v_sub_f32_e32 v25, v27, v10
	v_rndne_f32_e32 v41, v28
	v_sub_f32_e32 v19, v19, v10
	v_fma_f32 v36, 0x3fb8aa3b, v17, -v26
	v_fmac_f32_e32 v40, 0x32a5705f, v24
	v_mul_f32_e32 v29, 0x3fb8aa3b, v25
	v_sub_f32_e32 v28, v28, v41
	v_mul_f32_e32 v30, 0x3fb8aa3b, v19
	v_rndne_f32_e32 v37, v26
	v_cvt_i32_f32_e32 v41, v41
	v_fma_f32 v42, 0x3fb8aa3b, v25, -v29
	v_sub_f32_e32 v21, v21, v10
	v_sub_f32_e32 v10, v22, v10
	v_mul_f32_e32 v22, 0x3fb8aa3b, v16
	v_rndne_f32_e32 v45, v30
	v_fmac_f32_e32 v42, 0x32a5705f, v25
	v_dual_mul_f32 v27, 0x3fb8aa3b, v18 :: v_dual_mul_f32 v32, 0x3fb8aa3b, v21
	s_delay_alu instid0(VALU_DEP_4)
	v_fma_f32 v34, 0x3fb8aa3b, v16, -v22
	v_rndne_f32_e32 v35, v22
	v_fma_f32 v44, 0x3fb8aa3b, v19, -v30
	v_sub_f32_e32 v30, v30, v45
	v_fma_f32 v38, 0x3fb8aa3b, v18, -v27
	v_rndne_f32_e32 v39, v27
	v_fmac_f32_e32 v34, 0x32a5705f, v16
	v_sub_f32_e32 v22, v22, v35
	v_rndne_f32_e32 v49, v32
	v_dual_mul_f32 v31, 0x3fb8aa3b, v20 :: v_dual_sub_f32 v26, v26, v37
	v_fmac_f32_e32 v36, 0x32a5705f, v17
	v_dual_fmac_f32 v38, 0x32a5705f, v18 :: v_dual_sub_f32 v27, v27, v39
	v_add_f32_e32 v22, v22, v34
	v_rndne_f32_e32 v43, v29
	s_delay_alu instid0(VALU_DEP_4)
	v_dual_mul_f32 v33, 0x3fb8aa3b, v10 :: v_dual_add_f32 v26, v26, v36
	v_fma_f32 v48, 0x3fb8aa3b, v21, -v32
	v_dual_fmac_f32 v44, 0x32a5705f, v19 :: v_dual_add_f32 v27, v27, v38
	v_sub_f32_e32 v32, v32, v49
	v_fma_f32 v46, 0x3fb8aa3b, v20, -v31
	v_sub_f32_e32 v29, v29, v43
	v_exp_f32_e32 v22, v22
	v_rndne_f32_e32 v47, v31
	v_cvt_i32_f32_e32 v35, v35
	v_fmac_f32_e32 v46, 0x32a5705f, v20
	v_dual_add_f32 v28, v28, v40 :: v_dual_add_f32 v29, v29, v42
	v_exp_f32_e32 v26, v26
	v_exp_f32_e32 v27, v27
	v_cvt_i32_f32_e32 v37, v37
	v_cvt_i32_f32_e32 v39, v39
	v_dual_sub_f32 v31, v31, v47 :: v_dual_fmac_f32 v48, 0x32a5705f, v21
	v_exp_f32_e32 v29, v29
	v_ldexp_f32 v22, v22, v35
	v_cvt_i32_f32_e32 v43, v43
	s_delay_alu instid0(VALU_DEP_3)
	v_dual_add_f32 v30, v30, v44 :: v_dual_add_f32 v31, v31, v46
	v_exp_f32_e32 v28, v28
	v_ldexp_f32 v26, v26, v37
	v_ldexp_f32 v27, v27, v39
	v_cndmask_b32_e32 v22, 0, v22, vcc_lo
	v_cmp_ngt_f32_e32 vcc_lo, 0xc2ce8ed0, v17
	v_exp_f32_e32 v31, v31
	v_ldexp_f32 v29, v29, v43
	v_exp_f32_e32 v30, v30
	v_cvt_i32_f32_e32 v34, v47
	v_cndmask_b32_e32 v26, 0, v26, vcc_lo
	v_cmp_ngt_f32_e32 vcc_lo, 0xc2ce8ed0, v18
	v_ldexp_f32 v28, v28, v41
	v_cvt_i32_f32_e32 v45, v45
	v_fma_f32 v50, 0x3fb8aa3b, v10, -v33
	v_rndne_f32_e32 v51, v33
	v_cndmask_b32_e32 v27, 0, v27, vcc_lo
	v_cmp_ngt_f32_e32 vcc_lo, 0xc2ce8ed0, v24
	v_ldexp_f32 v31, v31, v34
	v_ldexp_f32 v30, v30, v45
	v_dual_fmac_f32 v50, 0x32a5705f, v10 :: v_dual_sub_f32 v33, v33, v51
	v_cndmask_b32_e32 v28, 0, v28, vcc_lo
	v_cmp_ngt_f32_e32 vcc_lo, 0xc2ce8ed0, v25
	s_delay_alu instid0(VALU_DEP_3) | instskip(SKIP_2) | instid1(VALU_DEP_3)
	v_dual_add_f32 v32, v32, v48 :: v_dual_add_f32 v33, v33, v50
	v_cndmask_b32_e32 v29, 0, v29, vcc_lo
	v_cmp_ngt_f32_e32 vcc_lo, 0xc2ce8ed0, v19
	v_exp_f32_e32 v32, v32
	v_cndmask_b32_e32 v30, 0, v30, vcc_lo
	v_cmp_ngt_f32_e32 vcc_lo, 0xc2ce8ed0, v20
	v_cndmask_b32_e32 v31, 0, v31, vcc_lo
	v_cmp_nlt_f32_e32 vcc_lo, 0x42b17218, v16
	v_cndmask_b32_e32 v16, 0x7f800000, v22, vcc_lo
	v_cmp_nlt_f32_e32 vcc_lo, 0x42b17218, v17
	;; [unrolled: 2-line block ×6, first 2 shown]
	v_cndmask_b32_e32 v19, 0x7f800000, v30, vcc_lo
	v_cmp_lt_i32_e32 vcc_lo, 0, v11
	v_cndmask_b32_e32 v16, 0, v16, vcc_lo
	v_cmp_lt_i32_e32 vcc_lo, 32, v11
	s_waitcnt vmcnt(8)
	s_delay_alu instid0(VALU_DEP_2) | instskip(SKIP_2) | instid1(VALU_DEP_2)
	v_dual_mul_f32 v16, v23, v16 :: v_dual_cndmask_b32 v17, 0, v17
	v_cmp_lt_i32_e32 vcc_lo, 64, v11
	s_waitcnt vmcnt(7)
	v_mul_f32_e32 v3, v3, v17
	v_cvt_i32_f32_e32 v17, v49
	s_delay_alu instid0(VALU_DEP_1) | instskip(SKIP_3) | instid1(VALU_DEP_2)
	v_ldexp_f32 v17, v32, v17
	v_cndmask_b32_e32 v18, 0, v18, vcc_lo
	v_cmp_lt_i32_e32 vcc_lo, 0x60, v11
	s_waitcnt vmcnt(6)
	v_mul_f32_e32 v4, v4, v18
	v_cndmask_b32_e32 v22, 0, v22, vcc_lo
	v_cmp_lt_i32_e32 vcc_lo, 0x80, v11
	s_waitcnt vmcnt(5)
	s_delay_alu instid0(VALU_DEP_2) | instskip(SKIP_3) | instid1(VALU_DEP_3)
	v_dual_mul_f32 v5, v5, v22 :: v_dual_cndmask_b32 v24, 0, v24
	v_cmp_lt_i32_e32 vcc_lo, 0xa0, v11
	v_cvt_i32_f32_e32 v22, v51
	s_waitcnt vmcnt(4)
	v_dual_mul_f32 v6, v6, v24 :: v_dual_cndmask_b32 v19, 0, v19
	v_cmp_nlt_f32_e32 vcc_lo, 0x42b17218, v20
	s_waitcnt vmcnt(3)
	s_delay_alu instid0(VALU_DEP_2) | instskip(SKIP_3) | instid1(VALU_DEP_2)
	v_mul_f32_e32 v7, v7, v19
	v_cndmask_b32_e32 v18, 0x7f800000, v31, vcc_lo
	v_cmp_lt_i32_e32 vcc_lo, 0xc0, v11
	v_exp_f32_e32 v19, v33
	v_cndmask_b32_e32 v18, 0, v18, vcc_lo
	v_cmp_ngt_f32_e32 vcc_lo, 0xc2ce8ed0, v21
	s_waitcnt vmcnt(2)
	s_delay_alu instid0(VALU_DEP_2)
	v_dual_mul_f32 v8, v8, v18 :: v_dual_cndmask_b32 v17, 0, v17
	v_cmp_nlt_f32_e32 vcc_lo, 0x42b17218, v21
	s_waitcnt_depctr 0xfff
	v_ldexp_f32 v18, v19, v22
	v_dual_add_f32 v20, v16, v3 :: v_dual_cndmask_b32 v17, 0x7f800000, v17
	v_cmp_ngt_f32_e32 vcc_lo, 0xc2ce8ed0, v10
	s_delay_alu instid0(VALU_DEP_3) | instskip(SKIP_1) | instid1(VALU_DEP_4)
	v_cndmask_b32_e32 v18, 0, v18, vcc_lo
	v_cmp_lt_i32_e32 vcc_lo, 0xe0, v11
	v_cndmask_b32_e32 v17, 0, v17, vcc_lo
	v_cmp_nlt_f32_e32 vcc_lo, 0x42b17218, v10
	s_waitcnt vmcnt(1)
	s_delay_alu instid0(VALU_DEP_2) | instskip(SKIP_2) | instid1(VALU_DEP_2)
	v_mul_f32_e32 v12, v12, v17
	v_cndmask_b32_e32 v10, 0x7f800000, v18, vcc_lo
	v_cmp_lt_i32_e32 vcc_lo, 0x100, v11
	v_cndmask_b32_e32 v10, 0, v10, vcc_lo
	s_waitcnt vmcnt(0)
	s_delay_alu instid0(VALU_DEP_1) | instskip(SKIP_1) | instid1(VALU_DEP_1)
	v_mul_f32_e32 v10, v1, v10
	v_add_f32_e32 v20, v20, v4
	v_add_f32_e32 v19, v20, v5
	s_delay_alu instid0(VALU_DEP_1) | instskip(NEXT) | instid1(VALU_DEP_1)
	v_add_f32_e32 v19, v19, v6
	v_add_f32_e32 v18, v19, v7
	s_delay_alu instid0(VALU_DEP_1) | instskip(NEXT) | instid1(VALU_DEP_1)
	v_add_f32_e32 v11, v18, v8
	v_add_f32_e32 v1, v11, v12
	s_delay_alu instid0(VALU_DEP_1)
	v_add_f32_e32 v1, v1, v10
	ds_bpermute_b32 v2, v2, v1
	s_waitcnt lgkmcnt(0)
	v_add_f32_e32 v1, v1, v2
	ds_bpermute_b32 v2, v13, v1
	s_waitcnt lgkmcnt(0)
	;; [unrolled: 3-line block ×4, first 2 shown]
	v_add_f32_e32 v1, v1, v2
	ds_bpermute_b32 v2, v9, v1
	v_lshlrev_b32_e32 v9, 2, v0
	ds_store_2addr_b32 v9, v16, v3 offset1:32
	ds_store_2addr_b32 v9, v4, v5 offset0:64 offset1:96
	ds_store_2addr_b32 v9, v6, v7 offset0:128 offset1:160
	;; [unrolled: 1-line block ×3, first 2 shown]
	ds_store_b32 v9, v10 offset:1024
	v_cmpx_eq_u32_e32 0, v0
	s_cbranch_execz .LBB662_8
; %bb.7:
	s_waitcnt lgkmcnt(5)
	v_dual_add_f32 v1, v1, v2 :: v_dual_mov_b32 v2, 0
	ds_store_b32 v2, v1 offset:1152
.LBB662_8:
	s_or_b32 exec_lo, exec_lo, s7
	v_mov_b32_e32 v1, s6
.LBB662_9:
	s_or_b32 exec_lo, exec_lo, s24
	s_lshl_b32 s6, s18, 7
	s_mov_b32 s7, 0
	s_waitcnt lgkmcnt(5)
	v_dual_mov_b32 v2, 0 :: v_dual_lshlrev_b32 v1, 7, v1
	s_lshl_b64 s[6:7], s[6:7], 1
	v_lshlrev_b32_e32 v0, 1, v0
	s_add_u32 s34, s4, s6
	s_addc_u32 s35, s5, s7
	s_lshl_b32 s41, s40, 7
	v_lshlrev_b64 v[3:4], 1, v[1:2]
	s_add_i32 s42, s41, 0xffffff80
	s_cmpk_lt_i32 s22, 0x100
	v_dual_mov_b32 v30, 0 :: v_dual_mov_b32 v33, 0
	s_cselect_b32 s4, s42, 0
	s_delay_alu instid0(VALU_DEP_2)
	v_add_co_u32 v1, vcc_lo, s34, v3
	s_ashr_i32 s5, s4, 31
	v_add_co_ci_u32_e32 v3, vcc_lo, s35, v4, vcc_lo
	s_lshl_b64 s[4:5], s[4:5], 1
	s_cmpk_lt_i32 s22, 0x200
	v_add_co_u32 v1, vcc_lo, v1, v0
	s_cselect_b32 s6, s42, 0x80
	v_add_co_ci_u32_e32 v3, vcc_lo, 0, v3, vcc_lo
	s_ashr_i32 s7, s6, 31
	s_delay_alu instid0(VALU_DEP_2)
	v_add_co_u32 v4, vcc_lo, v1, s4
	s_lshl_b64 s[6:7], s[6:7], 1
	s_cmpk_lt_i32 s22, 0x300
	v_add_co_ci_u32_e32 v5, vcc_lo, s5, v3, vcc_lo
	s_cselect_b32 s8, s42, 0x100
	v_add_co_u32 v6, vcc_lo, v1, s6
	s_ashr_i32 s9, s8, 31
	v_add_co_ci_u32_e32 v7, vcc_lo, s7, v3, vcc_lo
	s_lshl_b64 s[8:9], s[8:9], 1
	s_cmpk_lt_i32 s22, 0x400
	v_add_co_u32 v8, vcc_lo, v1, s8
	s_cselect_b32 s10, s42, 0x180
	v_add_co_ci_u32_e32 v9, vcc_lo, s9, v3, vcc_lo
	s_ashr_i32 s11, s10, 31
	v_dual_mov_b32 v32, 0 :: v_dual_mov_b32 v35, 0
	s_lshl_b64 s[10:11], s[10:11], 1
	s_cmpk_lt_i32 s22, 0x500
	v_add_co_u32 v11, vcc_lo, v1, s10
	s_cselect_b32 s18, s42, 0x200
	v_add_co_ci_u32_e32 v12, vcc_lo, s11, v3, vcc_lo
	s_ashr_i32 s19, s18, 31
	v_mov_b32_e32 v34, 0
	s_lshl_b64 s[18:19], s[18:19], 1
	s_cmpk_lt_i32 s22, 0x600
	v_add_co_u32 v14, vcc_lo, v1, s18
	s_cselect_b32 s20, s42, 0x280
	v_add_co_ci_u32_e32 v15, vcc_lo, s19, v3, vcc_lo
	s_ashr_i32 s21, s20, 31
	v_mov_b32_e32 v31, 0
	s_lshl_b64 s[20:21], s[20:21], 1
	s_cmpk_lt_i32 s22, 0x700
	v_add_co_u32 v16, vcc_lo, v1, s20
	s_cselect_b32 s24, s42, 0x300
	v_add_co_ci_u32_e32 v17, vcc_lo, s21, v3, vcc_lo
	s_ashr_i32 s25, s24, 31
	s_delay_alu instid0(SALU_CYCLE_1)
	s_lshl_b64 s[24:25], s[24:25], 1
	s_cmpk_lt_i32 s22, 0x800
	v_add_co_u32 v18, vcc_lo, v1, s24
	s_cselect_b32 s26, s42, 0x380
	v_add_co_ci_u32_e32 v19, vcc_lo, s25, v3, vcc_lo
	s_ashr_i32 s27, s26, 31
	s_delay_alu instid0(SALU_CYCLE_1)
	s_lshl_b64 s[26:27], s[26:27], 1
	s_cmpk_lt_i32 s22, 0x900
	v_add_co_u32 v20, vcc_lo, v1, s26
	s_cselect_b32 s28, s42, 0x400
	v_add_co_ci_u32_e32 v21, vcc_lo, s27, v3, vcc_lo
	s_ashr_i32 s29, s28, 31
	s_clause 0x7
	global_load_u16 v13, v[4:5], off
	global_load_u16 v4, v[6:7], off
	;; [unrolled: 1-line block ×8, first 2 shown]
	s_lshl_b64 s[28:29], s[28:29], 1
	s_cmpk_lt_i32 s22, 0xa00
	v_add_co_u32 v11, vcc_lo, v1, s28
	s_cselect_b32 s30, s42, 0x480
	v_add_co_ci_u32_e32 v12, vcc_lo, s29, v3, vcc_lo
	s_ashr_i32 s31, s30, 31
	s_delay_alu instid0(SALU_CYCLE_1)
	s_lshl_b64 s[30:31], s[30:31], 1
	s_cmpk_lt_i32 s22, 0xb00
	v_add_co_u32 v14, vcc_lo, v1, s30
	s_cselect_b32 s34, s42, 0x500
	v_add_co_ci_u32_e32 v15, vcc_lo, s31, v3, vcc_lo
	s_ashr_i32 s35, s34, 31
	s_delay_alu instid0(SALU_CYCLE_1)
	;; [unrolled: 7-line block ×7, first 2 shown]
	s_lshl_b64 s[4:5], s[6:7], 1
	s_cmpk_gt_i32 s23, 0x1000
	v_add_co_u32 v28, vcc_lo, v1, s4
	v_add_co_ci_u32_e32 v29, vcc_lo, s5, v3, vcc_lo
	s_clause 0x7
	global_load_u16 v19, v[11:12], off
	global_load_u16 v18, v[14:15], off
	;; [unrolled: 1-line block ×8, first 2 shown]
	v_dual_mov_b32 v20, 0 :: v_dual_mov_b32 v23, 0
	v_dual_mov_b32 v21, 0 :: v_dual_mov_b32 v22, 0
	v_dual_mov_b32 v25, 0 :: v_dual_mov_b32 v24, 0
	v_dual_mov_b32 v27, 0 :: v_dual_mov_b32 v26, 0
	v_dual_mov_b32 v29, 0 :: v_dual_mov_b32 v28, 0
	s_cselect_b32 s6, -1, 0
	s_cmpk_lt_i32 s23, 0x1001
	s_waitcnt vmcnt(0) lgkmcnt(0)
	s_barrier
	buffer_gl0_inv
	s_cbranch_scc1 .LBB662_11
; %bb.10:
	s_cmpk_lt_i32 s22, 0x1100
	s_cselect_b32 s4, s42, 0x800
	s_delay_alu instid0(SALU_CYCLE_1) | instskip(NEXT) | instid1(SALU_CYCLE_1)
	s_ashr_i32 s5, s4, 31
	s_lshl_b64 s[4:5], s[4:5], 1
	s_cmpk_lt_i32 s22, 0x1200
	v_add_co_u32 v20, vcc_lo, v1, s4
	s_cselect_b32 s8, s42, 0x880
	v_add_co_ci_u32_e32 v21, vcc_lo, s5, v3, vcc_lo
	s_ashr_i32 s9, s8, 31
	s_delay_alu instid0(SALU_CYCLE_1)
	s_lshl_b64 s[8:9], s[8:9], 1
	s_cmpk_lt_i32 s22, 0x1300
	v_add_co_u32 v22, vcc_lo, v1, s8
	s_cselect_b32 s10, s42, 0x900
	v_add_co_ci_u32_e32 v23, vcc_lo, s9, v3, vcc_lo
	s_ashr_i32 s11, s10, 31
	s_delay_alu instid0(SALU_CYCLE_1)
	;; [unrolled: 7-line block ×14, first 2 shown]
	s_lshl_b64 s[4:5], s[18:19], 1
	s_cmpk_lt_i32 s22, 0x2000
	v_add_co_u32 v48, vcc_lo, v1, s4
	s_cselect_b32 s8, s42, 0xf80
	v_add_co_ci_u32_e32 v49, vcc_lo, s5, v3, vcc_lo
	s_ashr_i32 s9, s8, 31
	s_delay_alu instid0(SALU_CYCLE_1) | instskip(NEXT) | instid1(SALU_CYCLE_1)
	s_lshl_b64 s[4:5], s[8:9], 1
	v_add_co_u32 v50, vcc_lo, v1, s4
	v_add_co_ci_u32_e32 v51, vcc_lo, s5, v3, vcc_lo
	s_clause 0xf
	global_load_u16 v20, v[20:21], off
	global_load_u16 v21, v[22:23], off
	global_load_u16 v22, v[24:25], off
	global_load_u16 v23, v[26:27], off
	global_load_u16 v24, v[28:29], off
	global_load_u16 v25, v[30:31], off
	global_load_u16 v26, v[32:33], off
	global_load_u16 v27, v[34:35], off
	global_load_u16 v36, v[36:37], off
	global_load_u16 v37, v[38:39], off
	global_load_u16 v38, v[40:41], off
	global_load_u16 v39, v[42:43], off
	global_load_u16 v40, v[44:45], off
	global_load_u16 v41, v[46:47], off
	global_load_u16 v42, v[48:49], off
	global_load_u16 v43, v[50:51], off
	s_waitcnt vmcnt(15)
	v_lshlrev_b32_e32 v35, 16, v20
	s_waitcnt vmcnt(14)
	v_lshlrev_b32_e32 v34, 16, v21
	;; [unrolled: 2-line block ×16, first 2 shown]
.LBB662_11:
	ds_load_b128 v[36:39], v2
	ds_load_b128 v[40:43], v2 offset:16
	v_lshlrev_b32_e32 v44, 16, v4
	v_lshlrev_b32_e32 v13, 16, v13
	;; [unrolled: 1-line block ×5, first 2 shown]
	s_load_b64 s[0:1], s[0:1], 0x0
	s_and_b32 vcc_lo, exec_lo, s6
	v_lshlrev_b32_e32 v5, 16, v5
	s_waitcnt lgkmcnt(0)
	v_fma_f32 v4, v36, v13, 0
	s_delay_alu instid0(VALU_DEP_1) | instskip(NEXT) | instid1(VALU_DEP_1)
	v_dual_fmac_f32 v4, v37, v44 :: v_dual_lshlrev_b32 v13, 16, v7
	v_dual_fmac_f32 v4, v38, v10 :: v_dual_lshlrev_b32 v9, 16, v9
	s_delay_alu instid0(VALU_DEP_1) | instskip(SKIP_4) | instid1(VALU_DEP_1)
	v_fmac_f32_e32 v4, v39, v9
	ds_load_b128 v[36:39], v2 offset:48
	v_fmac_f32_e32 v4, v40, v8
	ds_load_b128 v[7:10], v2 offset:32
	v_fmac_f32_e32 v4, v41, v13
	v_fmac_f32_e32 v4, v42, v6
	v_lshlrev_b32_e32 v6, 16, v19
	s_delay_alu instid0(VALU_DEP_2) | instskip(SKIP_1) | instid1(VALU_DEP_1)
	v_dual_fmac_f32 v4, v43, v5 :: v_dual_lshlrev_b32 v5, 16, v18
	s_waitcnt lgkmcnt(0)
	v_fmac_f32_e32 v4, v7, v6
	v_lshlrev_b32_e32 v6, 16, v17
	s_delay_alu instid0(VALU_DEP_2) | instskip(NEXT) | instid1(VALU_DEP_1)
	v_dual_fmac_f32 v4, v8, v5 :: v_dual_lshlrev_b32 v5, 16, v16
	v_fmac_f32_e32 v4, v9, v6
	v_lshlrev_b32_e32 v6, 16, v15
	s_delay_alu instid0(VALU_DEP_2) | instskip(NEXT) | instid1(VALU_DEP_1)
	v_dual_fmac_f32 v4, v10, v5 :: v_dual_lshlrev_b32 v5, 16, v14
	;; [unrolled: 4-line block ×3, first 2 shown]
	v_fmac_f32_e32 v4, v38, v6
	s_delay_alu instid0(VALU_DEP_1)
	v_fmac_f32_e32 v4, v39, v5
	s_cbranch_vccz .LBB662_13
; %bb.12:
	ds_load_b128 v[5:8], v2 offset:64
	ds_load_b128 v[9:12], v2 offset:80
	s_waitcnt lgkmcnt(1)
	v_fmac_f32_e32 v4, v5, v35
	s_delay_alu instid0(VALU_DEP_1) | instskip(NEXT) | instid1(VALU_DEP_1)
	v_fmac_f32_e32 v4, v6, v34
	v_fmac_f32_e32 v4, v7, v33
	s_delay_alu instid0(VALU_DEP_1) | instskip(SKIP_3) | instid1(VALU_DEP_1)
	v_fmac_f32_e32 v4, v8, v32
	ds_load_b128 v[5:8], v2 offset:96
	s_waitcnt lgkmcnt(1)
	v_fmac_f32_e32 v4, v9, v31
	v_fmac_f32_e32 v4, v10, v30
	s_delay_alu instid0(VALU_DEP_1) | instskip(NEXT) | instid1(VALU_DEP_1)
	v_fmac_f32_e32 v4, v11, v29
	v_fmac_f32_e32 v4, v12, v28
	ds_load_b128 v[9:12], v2 offset:112
	s_waitcnt lgkmcnt(1)
	v_fmac_f32_e32 v4, v5, v27
	s_delay_alu instid0(VALU_DEP_1) | instskip(NEXT) | instid1(VALU_DEP_1)
	v_fmac_f32_e32 v4, v6, v26
	v_fmac_f32_e32 v4, v7, v25
	s_delay_alu instid0(VALU_DEP_1) | instskip(SKIP_1) | instid1(VALU_DEP_1)
	v_fmac_f32_e32 v4, v8, v24
	s_waitcnt lgkmcnt(0)
	v_fmac_f32_e32 v4, v9, v23
	s_delay_alu instid0(VALU_DEP_1) | instskip(NEXT) | instid1(VALU_DEP_1)
	v_fmac_f32_e32 v4, v10, v22
	v_fmac_f32_e32 v4, v11, v21
	s_delay_alu instid0(VALU_DEP_1)
	v_fmac_f32_e32 v4, v12, v20
.LBB662_13:
	s_movk_i32 s43, 0x1f80
	s_movk_i32 s44, 0x80
	s_mov_b32 s45, 32
	s_branch .LBB662_15
.LBB662_14:                             ;   in Loop: Header=BB662_15 Depth=1
	s_addk_i32 s43, 0x1000
	s_addk_i32 s44, 0x80
	s_add_i32 s45, s45, 32
	s_cmpk_eq_u32 s43, 0x9f80
	s_cbranch_scc1 .LBB662_17
.LBB662_15:                             ; =>This Inner Loop Header: Depth=1
	s_cmp_le_i32 s40, s45
	s_cbranch_scc1 .LBB662_14
; %bb.16:                               ;   in Loop: Header=BB662_15 Depth=1
	s_add_i32 s4, s43, 0xfffff080
	v_mov_b32_e32 v44, s44
	s_cmp_lt_i32 s4, s41
	s_cselect_b32 s4, s4, s42
	s_add_i32 s6, s43, 0xfffff100
	s_ashr_i32 s5, s4, 31
	s_delay_alu instid0(SALU_CYCLE_1)
	s_lshl_b64 s[38:39], s[4:5], 1
	s_cmp_lt_i32 s6, s41
	v_add_co_u32 v5, vcc_lo, v1, s38
	s_cselect_b32 s4, s6, s42
	s_add_i32 s6, s43, 0xfffff180
	s_ashr_i32 s5, s4, 31
	v_add_co_ci_u32_e32 v6, vcc_lo, s39, v3, vcc_lo
	s_lshl_b64 s[4:5], s[4:5], 1
	s_cmp_lt_i32 s6, s41
	s_cselect_b32 s6, s6, s42
	s_add_i32 s8, s43, 0xfffff200
	s_ashr_i32 s7, s6, 31
	global_load_u16 v2, v[5:6], off
	s_lshl_b64 s[6:7], s[6:7], 1
	s_cmp_lt_i32 s8, s41
	v_add_co_u32 v5, vcc_lo, v1, s4
	s_cselect_b32 s8, s8, s42
	s_add_i32 s10, s43, 0xfffff280
	s_ashr_i32 s9, s8, 31
	v_add_co_ci_u32_e32 v6, vcc_lo, s5, v3, vcc_lo
	s_lshl_b64 s[8:9], s[8:9], 1
	s_cmp_lt_i32 s10, s41
	v_add_co_u32 v7, vcc_lo, v1, s6
	s_cselect_b32 s10, s10, s42
	s_add_i32 s18, s43, 0xfffff300
	s_ashr_i32 s11, s10, 31
	v_add_co_ci_u32_e32 v8, vcc_lo, s7, v3, vcc_lo
	s_lshl_b64 s[10:11], s[10:11], 1
	s_cmp_lt_i32 s18, s41
	v_add_co_u32 v9, vcc_lo, v1, s8
	s_cselect_b32 s18, s18, s42
	s_add_i32 s20, s43, 0xfffff380
	s_ashr_i32 s19, s18, 31
	s_clause 0x1
	global_load_u16 v23, v[5:6], off
	global_load_u16 v24, v[7:8], off
	s_lshl_b64 s[18:19], s[18:19], 1
	s_cmp_lt_i32 s20, s41
	v_add_co_ci_u32_e32 v10, vcc_lo, s9, v3, vcc_lo
	s_cselect_b32 s20, s20, s42
	s_add_i32 s22, s43, 0xfffff400
	s_ashr_i32 s21, s20, 31
	global_load_u16 v25, v[9:10], off
	s_lshl_b64 s[20:21], s[20:21], 1
	s_cmp_lt_i32 s22, s41
	v_add_co_u32 v11, vcc_lo, v1, s10
	s_cselect_b32 s22, s22, s42
	s_add_i32 s24, s43, 0xfffff480
	s_ashr_i32 s23, s22, 31
	v_add_co_ci_u32_e32 v12, vcc_lo, s11, v3, vcc_lo
	s_lshl_b64 s[22:23], s[22:23], 1
	s_cmp_lt_i32 s24, s41
	v_add_co_u32 v13, vcc_lo, v1, s18
	global_load_u16 v26, v[11:12], off
	s_cselect_b32 s24, s24, s42
	s_add_i32 s26, s43, 0xfffff500
	s_ashr_i32 s25, s24, 31
	v_add_co_ci_u32_e32 v14, vcc_lo, s19, v3, vcc_lo
	s_lshl_b64 s[24:25], s[24:25], 1
	s_cmp_lt_i32 s26, s41
	v_add_co_u32 v15, vcc_lo, v1, s20
	global_load_u16 v27, v[13:14], off
	s_cselect_b32 s26, s26, s42
	s_add_i32 s28, s43, 0xfffff580
	s_ashr_i32 s27, s26, 31
	v_add_co_ci_u32_e32 v16, vcc_lo, s21, v3, vcc_lo
	s_lshl_b64 s[36:37], s[26:27], 1
	s_cmp_lt_i32 s28, s41
	v_add_co_u32 v17, vcc_lo, v1, s22
	s_cselect_b32 s26, s28, s42
	s_add_i32 s30, s43, 0xfffff600
	s_ashr_i32 s27, s26, 31
	v_add_co_ci_u32_e32 v18, vcc_lo, s23, v3, vcc_lo
	s_lshl_b64 s[28:29], s[26:27], 1
	s_cmp_lt_i32 s30, s41
	v_add_co_u32 v19, vcc_lo, v1, s24
	global_load_u16 v17, v[17:18], off
	s_cselect_b32 s26, s30, s42
	s_add_i32 s30, s43, 0xfffff680
	s_ashr_i32 s27, s26, 31
	v_add_co_ci_u32_e32 v20, vcc_lo, s25, v3, vcc_lo
	s_lshl_b64 s[26:27], s[26:27], 1
	s_cmp_lt_i32 s30, s41
	v_add_co_u32 v21, vcc_lo, v1, s36
	s_cselect_b32 s30, s30, s42
	s_add_i32 s46, s43, 0xfffff700
	s_ashr_i32 s31, s30, 31
	v_add_co_ci_u32_e32 v22, vcc_lo, s37, v3, vcc_lo
	s_lshl_b64 s[34:35], s[30:31], 1
	s_cmp_lt_i32 s46, s41
	v_add_co_u32 v5, vcc_lo, v1, s28
	;; [unrolled: 7-line block ×3, first 2 shown]
	s_cselect_b32 s46, s46, s42
	s_add_i32 s48, s43, 0xfffff800
	s_ashr_i32 s47, s46, 31
	global_load_u16 v28, v[15:16], off
	s_lshl_b64 s[38:39], s[46:47], 1
	s_cmp_lt_i32 s48, s41
	v_add_co_ci_u32_e32 v8, vcc_lo, s27, v3, vcc_lo
	s_cselect_b32 s46, s48, s42
	v_add_co_u32 v9, vcc_lo, v1, s34
	s_ashr_i32 s47, s46, 31
	s_add_i32 s4, s43, 0xfffff880
	s_lshl_b64 s[46:47], s[46:47], 1
	v_add_co_ci_u32_e32 v10, vcc_lo, s35, v3, vcc_lo
	s_cmp_lt_i32 s4, s41
	v_add_co_u32 v11, vcc_lo, v1, s30
	s_cselect_b32 s4, s4, s42
	v_add_co_ci_u32_e32 v12, vcc_lo, s31, v3, vcc_lo
	v_add_co_u32 v13, vcc_lo, v1, s38
	s_ashr_i32 s5, s4, 31
	s_add_i32 s6, s43, 0xfffff900
	v_add_co_ci_u32_e32 v14, vcc_lo, s39, v3, vcc_lo
	global_load_u16 v18, v[19:20], off
	s_lshl_b64 s[8:9], s[4:5], 1
	s_cmp_lt_i32 s6, s41
	global_load_u16 v30, v[13:14], off
	s_cselect_b32 s4, s6, s42
	global_load_u16 v19, v[21:22], off
	s_ashr_i32 s5, s4, 31
	s_add_i32 s6, s43, 0xfffff980
	s_lshl_b64 s[10:11], s[4:5], 1
	s_cmp_lt_i32 s6, s41
	s_clause 0x3
	global_load_u16 v20, v[5:6], off
	global_load_u16 v21, v[7:8], off
	;; [unrolled: 1-line block ×4, first 2 shown]
	s_cselect_b32 s4, s6, s42
	s_add_i32 s6, s43, 0xfffffa00
	s_ashr_i32 s5, s4, 31
	v_add_co_u32 v15, vcc_lo, v1, s46
	s_lshl_b64 s[4:5], s[4:5], 1
	s_cmp_lt_i32 s6, s41
	v_add_co_ci_u32_e32 v16, vcc_lo, s47, v3, vcc_lo
	s_cselect_b32 s6, s6, s42
	s_add_i32 s18, s43, 0xfffffa80
	s_ashr_i32 s7, s6, 31
	v_add_co_u32 v5, vcc_lo, v1, s8
	s_lshl_b64 s[6:7], s[6:7], 1
	s_cmp_lt_i32 s18, s41
	v_add_co_ci_u32_e32 v6, vcc_lo, s9, v3, vcc_lo
	s_cselect_b32 s18, s18, s42
	v_add_co_u32 v7, vcc_lo, v1, s10
	s_ashr_i32 s19, s18, 31
	s_add_i32 s20, s43, 0xfffffb00
	s_lshl_b64 s[18:19], s[18:19], 1
	v_add_co_ci_u32_e32 v8, vcc_lo, s11, v3, vcc_lo
	s_cmp_lt_i32 s20, s41
	v_add_co_u32 v9, vcc_lo, v1, s4
	s_cselect_b32 s20, s20, s42
	v_add_co_ci_u32_e32 v10, vcc_lo, s5, v3, vcc_lo
	v_add_co_u32 v11, vcc_lo, v1, s6
	s_ashr_i32 s21, s20, 31
	s_add_i32 s22, s43, 0xfffffb80
	v_add_co_ci_u32_e32 v12, vcc_lo, s7, v3, vcc_lo
	global_load_u16 v15, v[15:16], off
	s_lshl_b64 s[20:21], s[20:21], 1
	s_cmp_lt_i32 s22, s41
	global_load_u16 v33, v[11:12], off
	s_cselect_b32 s22, s22, s42
	s_clause 0x2
	global_load_u16 v16, v[5:6], off
	global_load_u16 v31, v[7:8], off
	;; [unrolled: 1-line block ×3, first 2 shown]
	s_ashr_i32 s23, s22, 31
	s_add_i32 s24, s43, 0xfffffc00
	s_lshl_b64 s[22:23], s[22:23], 1
	s_cmp_lt_i32 s24, s41
	v_add_co_u32 v13, vcc_lo, v1, s18
	s_cselect_b32 s24, s24, s42
	s_add_i32 s26, s43, 0xfffffc80
	s_ashr_i32 s25, s24, 31
	v_add_co_ci_u32_e32 v14, vcc_lo, s19, v3, vcc_lo
	s_lshl_b64 s[24:25], s[24:25], 1
	s_cmp_lt_i32 s26, s41
	v_add_co_u32 v5, vcc_lo, v1, s20
	s_cselect_b32 s8, s26, s42
	v_add_co_ci_u32_e32 v6, vcc_lo, s21, v3, vcc_lo
	s_ashr_i32 s9, s8, 31
	v_add_co_u32 v7, vcc_lo, v1, s22
	s_add_i32 s10, s43, 0xfffffd00
	s_lshl_b64 s[8:9], s[8:9], 1
	v_add_co_ci_u32_e32 v8, vcc_lo, s23, v3, vcc_lo
	s_cmp_lt_i32 s10, s41
	v_add_co_u32 v9, vcc_lo, v1, s24
	s_cselect_b32 s4, s10, s42
	global_load_u16 v13, v[13:14], off
	v_add_co_ci_u32_e32 v10, vcc_lo, s25, v3, vcc_lo
	s_ashr_i32 s5, s4, 31
	s_add_i32 s6, s43, 0xfffffd80
	s_lshl_b64 s[4:5], s[4:5], 1
	global_load_u16 v35, v[9:10], off
	s_cmp_lt_i32 s6, s41
	s_clause 0x1
	global_load_u16 v14, v[5:6], off
	global_load_u16 v34, v[7:8], off
	s_cselect_b32 s6, s6, s42
	s_add_i32 s10, s43, 0xfffffe00
	s_ashr_i32 s7, s6, 31
	v_add_co_u32 v5, vcc_lo, v1, s8
	s_lshl_b64 s[6:7], s[6:7], 1
	s_cmp_lt_i32 s10, s41
	v_add_co_ci_u32_e32 v6, vcc_lo, s9, v3, vcc_lo
	s_cselect_b32 s10, s10, s42
	v_add_co_u32 v7, vcc_lo, v1, s4
	s_ashr_i32 s11, s10, 31
	v_add_co_ci_u32_e32 v8, vcc_lo, s5, v3, vcc_lo
	s_add_i32 s18, s43, 0xfffffe80
	s_lshl_b64 s[10:11], s[10:11], 1
	s_cmp_lt_i32 s18, s41
	s_clause 0x1
	global_load_u16 v36, v[5:6], off
	global_load_u16 v37, v[7:8], off
	s_cselect_b32 s18, s18, s42
	v_add_co_u32 v5, vcc_lo, v1, s6
	s_ashr_i32 s19, s18, 31
	v_add_co_ci_u32_e32 v6, vcc_lo, s7, v3, vcc_lo
	s_add_i32 s20, s43, 0xffffff00
	v_add_co_u32 v7, vcc_lo, v1, s10
	s_lshl_b64 s[8:9], s[18:19], 1
	s_cmp_lt_i32 s20, s41
	v_add_co_ci_u32_e32 v8, vcc_lo, s11, v3, vcc_lo
	s_cselect_b32 s4, s20, s42
	global_load_u16 v38, v[5:6], off
	s_ashr_i32 s5, s4, 31
	global_load_u16 v39, v[7:8], off
	s_add_i32 s18, s43, 0xffffff80
	v_add_co_u32 v5, vcc_lo, v1, s8
	s_lshl_b64 s[4:5], s[4:5], 1
	s_cmp_lt_i32 s18, s41
	v_add_co_ci_u32_e32 v6, vcc_lo, s9, v3, vcc_lo
	v_add_co_u32 v7, vcc_lo, v1, s4
	s_cselect_b32 s6, s18, s42
	v_add_co_ci_u32_e32 v8, vcc_lo, s5, v3, vcc_lo
	s_ashr_i32 s7, s6, 31
	global_load_u16 v40, v[5:6], off
	s_lshl_b64 s[6:7], s[6:7], 1
	global_load_u16 v41, v[7:8], off
	s_cmp_lt_i32 s43, s41
	v_add_co_u32 v5, vcc_lo, v1, s6
	s_cselect_b32 s4, s43, s42
	v_add_co_ci_u32_e32 v6, vcc_lo, s7, v3, vcc_lo
	s_ashr_i32 s5, s4, 31
	s_delay_alu instid0(SALU_CYCLE_1)
	s_lshl_b64 s[4:5], s[4:5], 1
	global_load_u16 v42, v[5:6], off
	v_add_co_u32 v5, vcc_lo, v1, s4
	v_add_co_ci_u32_e32 v6, vcc_lo, s5, v3, vcc_lo
	global_load_u16 v43, v[5:6], off
	ds_load_b128 v[5:8], v44
	ds_load_b128 v[9:12], v44 offset:16
	s_waitcnt vmcnt(31)
	v_lshlrev_b32_e32 v2, 16, v2
	s_waitcnt lgkmcnt(1)
	s_delay_alu instid0(VALU_DEP_1) | instskip(SKIP_2) | instid1(VALU_DEP_1)
	v_fmac_f32_e32 v4, v5, v2
	s_waitcnt vmcnt(30)
	v_lshlrev_b32_e32 v2, 16, v23
	v_fmac_f32_e32 v4, v6, v2
	s_waitcnt vmcnt(29)
	v_lshlrev_b32_e32 v2, 16, v24
	s_delay_alu instid0(VALU_DEP_1) | instskip(SKIP_2) | instid1(VALU_DEP_1)
	v_fmac_f32_e32 v4, v7, v2
	s_waitcnt vmcnt(28)
	v_lshlrev_b32_e32 v2, 16, v25
	v_fmac_f32_e32 v4, v8, v2
	ds_load_b128 v[5:8], v44 offset:32
	s_waitcnt vmcnt(27)
	v_lshlrev_b32_e32 v2, 16, v26
	s_waitcnt lgkmcnt(1)
	s_delay_alu instid0(VALU_DEP_1) | instskip(SKIP_2) | instid1(VALU_DEP_1)
	v_fmac_f32_e32 v4, v9, v2
	s_waitcnt vmcnt(26)
	v_lshlrev_b32_e32 v2, 16, v27
	v_fmac_f32_e32 v4, v10, v2
	s_waitcnt vmcnt(24)
	v_lshlrev_b32_e32 v2, 16, v28
	s_delay_alu instid0(VALU_DEP_1) | instskip(SKIP_1) | instid1(VALU_DEP_1)
	v_fmac_f32_e32 v4, v11, v2
	v_lshlrev_b32_e32 v2, 16, v17
	v_fmac_f32_e32 v4, v12, v2
	ds_load_b128 v[9:12], v44 offset:48
	s_waitcnt vmcnt(23)
	v_lshlrev_b32_e32 v2, 16, v18
	s_waitcnt lgkmcnt(1)
	s_delay_alu instid0(VALU_DEP_1) | instskip(SKIP_2) | instid1(VALU_DEP_1)
	v_fmac_f32_e32 v4, v5, v2
	s_waitcnt vmcnt(21)
	v_lshlrev_b32_e32 v2, 16, v19
	v_fmac_f32_e32 v4, v6, v2
	s_waitcnt vmcnt(20)
	v_lshlrev_b32_e32 v2, 16, v20
	s_delay_alu instid0(VALU_DEP_1) | instskip(SKIP_2) | instid1(VALU_DEP_1)
	v_fmac_f32_e32 v4, v7, v2
	s_waitcnt vmcnt(19)
	v_lshlrev_b32_e32 v2, 16, v21
	v_fmac_f32_e32 v4, v8, v2
	s_waitcnt vmcnt(18)
	v_lshlrev_b32_e32 v2, 16, v22
	ds_load_b128 v[5:8], v44 offset:64
	s_waitcnt lgkmcnt(1)
	v_fmac_f32_e32 v4, v9, v2
	s_waitcnt vmcnt(17)
	v_lshlrev_b32_e32 v2, 16, v29
	s_delay_alu instid0(VALU_DEP_1) | instskip(SKIP_1) | instid1(VALU_DEP_1)
	v_fmac_f32_e32 v4, v10, v2
	v_lshlrev_b32_e32 v2, 16, v30
	v_fmac_f32_e32 v4, v11, v2
	s_waitcnt vmcnt(16)
	v_lshlrev_b32_e32 v2, 16, v15
	s_delay_alu instid0(VALU_DEP_1) | instskip(SKIP_4) | instid1(VALU_DEP_1)
	v_fmac_f32_e32 v4, v12, v2
	ds_load_b128 v[9:12], v44 offset:80
	s_waitcnt vmcnt(14)
	v_lshlrev_b32_e32 v2, 16, v16
	s_waitcnt lgkmcnt(1)
	v_fmac_f32_e32 v4, v5, v2
	s_waitcnt vmcnt(13)
	v_lshlrev_b32_e32 v2, 16, v31
	s_delay_alu instid0(VALU_DEP_1) | instskip(SKIP_2) | instid1(VALU_DEP_1)
	v_fmac_f32_e32 v4, v6, v2
	s_waitcnt vmcnt(12)
	v_lshlrev_b32_e32 v2, 16, v32
	v_fmac_f32_e32 v4, v7, v2
	v_lshlrev_b32_e32 v2, 16, v33
	s_delay_alu instid0(VALU_DEP_1) | instskip(SKIP_4) | instid1(VALU_DEP_1)
	v_fmac_f32_e32 v4, v8, v2
	ds_load_b128 v[5:8], v44 offset:96
	s_waitcnt vmcnt(11)
	v_lshlrev_b32_e32 v2, 16, v13
	s_waitcnt lgkmcnt(1)
	v_fmac_f32_e32 v4, v9, v2
	s_waitcnt vmcnt(9)
	v_lshlrev_b32_e32 v2, 16, v14
	s_delay_alu instid0(VALU_DEP_1) | instskip(SKIP_2) | instid1(VALU_DEP_1)
	v_fmac_f32_e32 v4, v10, v2
	s_waitcnt vmcnt(8)
	v_lshlrev_b32_e32 v2, 16, v34
	v_fmac_f32_e32 v4, v11, v2
	;; [unrolled: 15-line block ×3, first 2 shown]
	s_waitcnt vmcnt(4)
	v_lshlrev_b32_e32 v2, 16, v39
	s_delay_alu instid0(VALU_DEP_1) | instskip(SKIP_3) | instid1(VALU_DEP_1)
	v_fmac_f32_e32 v4, v8, v2
	s_waitcnt vmcnt(3)
	v_lshlrev_b32_e32 v2, 16, v40
	s_waitcnt lgkmcnt(0)
	v_fmac_f32_e32 v4, v9, v2
	s_waitcnt vmcnt(2)
	v_lshlrev_b32_e32 v2, 16, v41
	s_delay_alu instid0(VALU_DEP_1) | instskip(SKIP_2) | instid1(VALU_DEP_1)
	v_fmac_f32_e32 v4, v10, v2
	s_waitcnt vmcnt(1)
	v_lshlrev_b32_e32 v2, 16, v42
	v_fmac_f32_e32 v4, v11, v2
	s_waitcnt vmcnt(0)
	v_lshlrev_b32_e32 v2, 16, v43
	s_delay_alu instid0(VALU_DEP_1)
	v_fmac_f32_e32 v4, v12, v2
	s_branch .LBB662_14
.LBB662_17:
	v_mov_b32_e32 v1, 0
	s_and_b32 vcc_lo, exec_lo, s15
	ds_load_b32 v1, v1 offset:1152
	s_cbranch_vccz .LBB662_19
; %bb.18:
	s_add_u32 s2, s12, s16
	s_addc_u32 s3, s13, s17
	s_load_b32 s2, s[2:3], 0x0
	s_mov_b32 s3, 0
.LBB662_19:
	s_waitcnt lgkmcnt(0)
	v_add_f32_e32 v1, 0x358637bd, v1
	s_delay_alu instid0(VALU_DEP_1) | instskip(NEXT) | instid1(VALU_DEP_1)
	v_div_scale_f32 v2, null, v1, v1, 1.0
	v_rcp_f32_e32 v3, v2
	s_waitcnt_depctr 0xfff
	v_fma_f32 v5, -v2, v3, 1.0
	s_delay_alu instid0(VALU_DEP_1) | instskip(SKIP_1) | instid1(VALU_DEP_1)
	v_fmac_f32_e32 v3, v5, v3
	v_div_scale_f32 v5, vcc_lo, 1.0, v1, 1.0
	v_mul_f32_e32 v6, v5, v3
	s_delay_alu instid0(VALU_DEP_1) | instskip(NEXT) | instid1(VALU_DEP_1)
	v_fma_f32 v7, -v2, v6, v5
	v_fmac_f32_e32 v6, v7, v3
	s_delay_alu instid0(VALU_DEP_1) | instskip(NEXT) | instid1(VALU_DEP_1)
	v_fma_f32 v2, -v2, v6, v5
	v_div_fmas_f32 v2, v2, v3, v6
	s_delay_alu instid0(VALU_DEP_1) | instskip(NEXT) | instid1(VALU_DEP_1)
	v_div_fixup_f32 v1, v2, v1, 1.0
	v_mul_f32_e32 v2, v4, v1
	s_delay_alu instid0(VALU_DEP_1) | instskip(NEXT) | instid1(VALU_DEP_1)
	v_and_b32_e32 v1, 0x7f800000, v2
	v_cmp_ne_u32_e32 vcc_lo, 0x7f800000, v1
                                        ; implicit-def: $vgpr1
	s_and_saveexec_b32 s4, vcc_lo
	s_delay_alu instid0(SALU_CYCLE_1)
	s_xor_b32 s4, exec_lo, s4
; %bb.20:
	v_bfe_u32 v1, v2, 16, 1
	s_delay_alu instid0(VALU_DEP_1)
	v_add3_u32 v1, v2, v1, 0x7fff
                                        ; implicit-def: $vgpr2
; %bb.21:
	s_and_not1_saveexec_b32 s4, s4
; %bb.22:
	v_and_b32_e32 v1, 0xffff, v2
	v_or_b32_e32 v3, 0x10000, v2
	s_delay_alu instid0(VALU_DEP_2) | instskip(NEXT) | instid1(VALU_DEP_2)
	v_cmp_eq_u32_e32 vcc_lo, 0, v1
	v_cndmask_b32_e32 v1, v3, v2, vcc_lo
; %bb.23:
	s_or_b32 exec_lo, exec_lo, s4
	s_mul_i32 s3, s33, s3
	s_mul_hi_u32 s4, s33, s2
	s_mul_i32 s2, s33, s2
	s_add_i32 s3, s4, s3
	s_mov_b32 s15, 0
	s_lshl_b64 s[2:3], s[2:3], 8
	s_delay_alu instid0(SALU_CYCLE_1) | instskip(SKIP_2) | instid1(SALU_CYCLE_1)
	s_add_u32 s2, s0, s2
	s_addc_u32 s3, s1, s3
	s_lshl_b64 s[0:1], s[14:15], 8
	s_add_u32 s0, s2, s0
	s_addc_u32 s1, s3, s1
	global_store_d16_hi_b16 v0, v1, s[0:1]
	s_nop 0
	s_sendmsg sendmsg(MSG_DEALLOC_VGPRS)
	s_endpgm
.LBB662_24:
	s_mov_b32 s4, 0
	s_branch .LBB662_2
	.section	.rodata,"a",@progbits
	.p2align	6, 0x0
	.amdhsa_kernel _Z35paged_attention_ll4mi_reduce_kernelI14__hip_bfloat16S0_Li128ELi128ELi256ELi9EEvPT0_PKfS4_PKT_PKiS9_iS4_
		.amdhsa_group_segment_fixed_size 1156
		.amdhsa_private_segment_fixed_size 0
		.amdhsa_kernarg_size 320
		.amdhsa_user_sgpr_count 14
		.amdhsa_user_sgpr_dispatch_ptr 0
		.amdhsa_user_sgpr_queue_ptr 0
		.amdhsa_user_sgpr_kernarg_segment_ptr 1
		.amdhsa_user_sgpr_dispatch_id 0
		.amdhsa_user_sgpr_private_segment_size 0
		.amdhsa_wavefront_size32 1
		.amdhsa_uses_dynamic_stack 0
		.amdhsa_enable_private_segment 0
		.amdhsa_system_sgpr_workgroup_id_x 1
		.amdhsa_system_sgpr_workgroup_id_y 1
		.amdhsa_system_sgpr_workgroup_id_z 0
		.amdhsa_system_sgpr_workgroup_info 0
		.amdhsa_system_vgpr_workitem_id 0
		.amdhsa_next_free_vgpr 52
		.amdhsa_next_free_sgpr 49
		.amdhsa_reserve_vcc 1
		.amdhsa_float_round_mode_32 0
		.amdhsa_float_round_mode_16_64 0
		.amdhsa_float_denorm_mode_32 3
		.amdhsa_float_denorm_mode_16_64 3
		.amdhsa_dx10_clamp 1
		.amdhsa_ieee_mode 1
		.amdhsa_fp16_overflow 0
		.amdhsa_workgroup_processor_mode 1
		.amdhsa_memory_ordered 1
		.amdhsa_forward_progress 0
		.amdhsa_shared_vgpr_count 0
		.amdhsa_exception_fp_ieee_invalid_op 0
		.amdhsa_exception_fp_denorm_src 0
		.amdhsa_exception_fp_ieee_div_zero 0
		.amdhsa_exception_fp_ieee_overflow 0
		.amdhsa_exception_fp_ieee_underflow 0
		.amdhsa_exception_fp_ieee_inexact 0
		.amdhsa_exception_int_div_zero 0
	.end_amdhsa_kernel
	.section	.text._Z35paged_attention_ll4mi_reduce_kernelI14__hip_bfloat16S0_Li128ELi128ELi256ELi9EEvPT0_PKfS4_PKT_PKiS9_iS4_,"axG",@progbits,_Z35paged_attention_ll4mi_reduce_kernelI14__hip_bfloat16S0_Li128ELi128ELi256ELi9EEvPT0_PKfS4_PKT_PKiS9_iS4_,comdat
.Lfunc_end662:
	.size	_Z35paged_attention_ll4mi_reduce_kernelI14__hip_bfloat16S0_Li128ELi128ELi256ELi9EEvPT0_PKfS4_PKT_PKiS9_iS4_, .Lfunc_end662-_Z35paged_attention_ll4mi_reduce_kernelI14__hip_bfloat16S0_Li128ELi128ELi256ELi9EEvPT0_PKfS4_PKT_PKiS9_iS4_
                                        ; -- End function
	.section	.AMDGPU.csdata,"",@progbits
; Kernel info:
; codeLenInByte = 6840
; NumSgprs: 51
; NumVgprs: 52
; ScratchSize: 0
; MemoryBound: 0
; FloatMode: 240
; IeeeMode: 1
; LDSByteSize: 1156 bytes/workgroup (compile time only)
; SGPRBlocks: 6
; VGPRBlocks: 6
; NumSGPRsForWavesPerEU: 51
; NumVGPRsForWavesPerEU: 52
; Occupancy: 16
; WaveLimiterHint : 0
; COMPUTE_PGM_RSRC2:SCRATCH_EN: 0
; COMPUTE_PGM_RSRC2:USER_SGPR: 14
; COMPUTE_PGM_RSRC2:TRAP_HANDLER: 0
; COMPUTE_PGM_RSRC2:TGID_X_EN: 1
; COMPUTE_PGM_RSRC2:TGID_Y_EN: 1
; COMPUTE_PGM_RSRC2:TGID_Z_EN: 0
; COMPUTE_PGM_RSRC2:TIDIG_COMP_CNT: 0
	.section	.text._Z35paged_attention_ll4mi_reduce_kernelI14__hip_bfloat16S0_Li128ELi128ELi256ELi10EEvPT0_PKfS4_PKT_PKiS9_iS4_,"axG",@progbits,_Z35paged_attention_ll4mi_reduce_kernelI14__hip_bfloat16S0_Li128ELi128ELi256ELi10EEvPT0_PKfS4_PKT_PKiS9_iS4_,comdat
	.protected	_Z35paged_attention_ll4mi_reduce_kernelI14__hip_bfloat16S0_Li128ELi128ELi256ELi10EEvPT0_PKfS4_PKT_PKiS9_iS4_ ; -- Begin function _Z35paged_attention_ll4mi_reduce_kernelI14__hip_bfloat16S0_Li128ELi128ELi256ELi10EEvPT0_PKfS4_PKT_PKiS9_iS4_
	.globl	_Z35paged_attention_ll4mi_reduce_kernelI14__hip_bfloat16S0_Li128ELi128ELi256ELi10EEvPT0_PKfS4_PKT_PKiS9_iS4_
	.p2align	8
	.type	_Z35paged_attention_ll4mi_reduce_kernelI14__hip_bfloat16S0_Li128ELi128ELi256ELi10EEvPT0_PKfS4_PKT_PKiS9_iS4_,@function
_Z35paged_attention_ll4mi_reduce_kernelI14__hip_bfloat16S0_Li128ELi128ELi256ELi10EEvPT0_PKfS4_PKT_PKiS9_iS4_: ; @_Z35paged_attention_ll4mi_reduce_kernelI14__hip_bfloat16S0_Li128ELi128ELi256ELi10EEvPT0_PKfS4_PKT_PKiS9_iS4_
; %bb.0:
	s_load_b64 s[12:13], s[0:1], 0x28
	s_mov_b32 s2, s15
	s_waitcnt lgkmcnt(0)
	s_cmp_lg_u64 s[12:13], 0
	s_cselect_b32 s15, -1, 0
	s_delay_alu instid0(SALU_CYCLE_1)
	s_and_b32 vcc_lo, exec_lo, s15
	s_cbranch_vccz .LBB663_24
; %bb.1:
	s_add_i32 s4, s2, 1
	s_mov_b32 s5, 0
	s_delay_alu instid0(SALU_CYCLE_1) | instskip(SKIP_4) | instid1(SALU_CYCLE_1)
	s_lshl_b64 s[6:7], s[4:5], 2
	s_mov_b32 s3, s5
	s_add_u32 s6, s12, s6
	s_addc_u32 s7, s13, s7
	s_lshl_b64 s[8:9], s[2:3], 2
	s_add_u32 s8, s12, s8
	s_addc_u32 s9, s13, s9
	s_clause 0x1
	s_load_b32 s4, s[6:7], 0x0
	s_load_b32 s6, s[8:9], 0x0
	s_waitcnt lgkmcnt(0)
	s_sub_i32 s4, s4, s6
	s_delay_alu instid0(SALU_CYCLE_1)
	s_cmp_eq_u32 s4, 1
	s_cselect_b32 s4, -1, 0
	s_cbranch_execnz .LBB663_3
.LBB663_2:
	s_mov_b32 s3, 0
	s_mov_b32 s4, -1
.LBB663_3:
	s_delay_alu instid0(SALU_CYCLE_1)
	s_and_not1_b32 vcc_lo, exec_lo, s4
	s_cbranch_vccz .LBB663_5
; %bb.4:
	s_endpgm
.LBB663_5:
	s_clause 0x1
	s_load_b128 s[4:7], s[0:1], 0x18
	s_load_b32 s9, s[0:1], 0x30
	s_lshl_b64 s[16:17], s[2:3], 2
	s_waitcnt lgkmcnt(0)
	s_add_u32 s6, s6, s16
	s_addc_u32 s7, s7, s17
	s_load_b32 s23, s[6:7], 0x0
	s_load_b32 s33, s[0:1], 0x40
	s_mul_i32 s7, s2, s9
	s_waitcnt lgkmcnt(0)
	s_add_i32 s22, s23, 0xff
	s_delay_alu instid0(SALU_CYCLE_1) | instskip(NEXT) | instid1(SALU_CYCLE_1)
	s_ashr_i32 s6, s22, 31
	s_lshr_b32 s6, s6, 24
	s_delay_alu instid0(SALU_CYCLE_1) | instskip(SKIP_4) | instid1(SALU_CYCLE_1)
	s_add_i32 s8, s22, s6
	s_mul_i32 s6, s14, s9
	s_mov_b32 s9, exec_lo
	v_cmpx_lt_u32_e32 31, v0
	s_xor_b32 s9, exec_lo, s9
	s_or_saveexec_b32 s24, s9
	v_mov_b32_e32 v1, s6
	s_ashr_i32 s40, s8, 8
	s_mul_i32 s18, s7, s33
	s_xor_b32 exec_lo, exec_lo, s24
	s_cbranch_execz .LBB663_9
; %bb.6:
	v_or_b32_e32 v2, 32, v0
	v_cmp_gt_i32_e32 vcc_lo, s40, v0
	s_add_i32 s25, s40, -1
	v_or_b32_e32 v4, 64, v0
	v_or_b32_e32 v6, 0x60, v0
	s_load_b128 s[8:11], s[0:1], 0x8
	v_cndmask_b32_e32 v1, s25, v0, vcc_lo
	v_cmp_gt_i32_e32 vcc_lo, s40, v2
	s_mov_b32 s19, 0
	v_or_b32_e32 v10, 0x120, v0
	s_lshl_b64 s[20:21], s[18:19], 2
	s_mov_b32 s7, s19
	v_cndmask_b32_e32 v3, s25, v2, vcc_lo
	v_cmp_gt_i32_e32 vcc_lo, s40, v4
	v_or_b32_e32 v2, 0x80, v0
	v_cndmask_b32_e32 v5, s25, v4, vcc_lo
	v_cmp_gt_i32_e32 vcc_lo, s40, v6
	v_or_b32_e32 v4, 0xa0, v0
	;; [unrolled: 3-line block ×3, first 2 shown]
	s_waitcnt lgkmcnt(0)
	s_add_u32 s19, s10, s20
	s_addc_u32 s26, s11, s21
	s_lshl_b64 s[10:11], s[6:7], 2
	v_cndmask_b32_e32 v9, s25, v2, vcc_lo
	v_or_b32_e32 v2, 0xc0, v0
	v_cmp_gt_i32_e32 vcc_lo, s40, v4
	s_add_u32 s7, s19, s10
	s_addc_u32 s19, s26, s11
	v_ashrrev_i32_e32 v8, 31, v7
	v_cndmask_b32_e32 v11, s25, v4, vcc_lo
	v_cmp_gt_i32_e32 vcc_lo, s40, v2
	v_or_b32_e32 v4, 0x100, v0
	s_delay_alu instid0(VALU_DEP_4) | instskip(NEXT) | instid1(VALU_DEP_4)
	v_lshlrev_b64 v[7:8], 2, v[7:8]
	v_ashrrev_i32_e32 v12, 31, v11
	v_cndmask_b32_e32 v13, s25, v2, vcc_lo
	v_cmp_gt_i32_e32 vcc_lo, s40, v6
	v_ashrrev_i32_e32 v2, 31, v1
	s_delay_alu instid0(VALU_DEP_4) | instskip(NEXT) | instid1(VALU_DEP_4)
	v_lshlrev_b64 v[11:12], 2, v[11:12]
	v_ashrrev_i32_e32 v14, 31, v13
	v_cndmask_b32_e32 v15, s25, v6, vcc_lo
	v_cmp_gt_i32_e32 vcc_lo, s40, v4
	v_lshlrev_b64 v[1:2], 2, v[1:2]
	v_ashrrev_i32_e32 v6, 31, v5
	v_lshlrev_b64 v[13:14], 2, v[13:14]
	v_ashrrev_i32_e32 v16, 31, v15
	v_cndmask_b32_e32 v17, s25, v4, vcc_lo
	v_ashrrev_i32_e32 v4, 31, v3
	v_add_co_u32 v18, vcc_lo, s7, v1
	v_add_co_ci_u32_e32 v19, vcc_lo, s19, v2, vcc_lo
	s_delay_alu instid0(VALU_DEP_3) | instskip(SKIP_2) | instid1(VALU_DEP_3)
	v_lshlrev_b64 v[3:4], 2, v[3:4]
	v_lshlrev_b64 v[5:6], 2, v[5:6]
	;; [unrolled: 1-line block ×3, first 2 shown]
	v_add_co_u32 v20, vcc_lo, s7, v3
	s_delay_alu instid0(VALU_DEP_4)
	v_add_co_ci_u32_e32 v21, vcc_lo, s19, v4, vcc_lo
	v_cmp_gt_i32_e32 vcc_lo, s40, v10
	s_clause 0x1
	global_load_b32 v34, v[18:19], off
	global_load_b32 v35, v[20:21], off
	v_ashrrev_i32_e32 v18, 31, v17
	v_cndmask_b32_e32 v22, s25, v10, vcc_lo
	v_ashrrev_i32_e32 v10, 31, v9
	v_add_co_u32 v19, vcc_lo, s7, v5
	v_add_co_ci_u32_e32 v20, vcc_lo, s19, v6, vcc_lo
	s_delay_alu instid0(VALU_DEP_3) | instskip(SKIP_3) | instid1(VALU_DEP_4)
	v_lshlrev_b64 v[9:10], 2, v[9:10]
	v_add_co_u32 v24, vcc_lo, s7, v7
	v_add_co_ci_u32_e32 v25, vcc_lo, s19, v8, vcc_lo
	v_ashrrev_i32_e32 v23, 31, v22
	v_add_co_u32 v26, vcc_lo, s7, v9
	v_add_co_ci_u32_e32 v27, vcc_lo, s19, v10, vcc_lo
	v_add_co_u32 v28, vcc_lo, s7, v11
	v_add_co_ci_u32_e32 v29, vcc_lo, s19, v12, vcc_lo
	;; [unrolled: 2-line block ×3, first 2 shown]
	v_lshlrev_b64 v[17:18], 2, v[17:18]
	v_add_co_u32 v32, vcc_lo, s7, v15
	v_add_co_ci_u32_e32 v33, vcc_lo, s19, v16, vcc_lo
	s_clause 0x5
	global_load_b32 v36, v[19:20], off
	global_load_b32 v25, v[24:25], off
	global_load_b32 v26, v[26:27], off
	global_load_b32 v27, v[28:29], off
	global_load_b32 v28, v[30:31], off
	global_load_b32 v29, v[32:33], off
	v_lshlrev_b64 v[19:20], 2, v[22:23]
	v_add_co_u32 v21, vcc_lo, s7, v17
	v_add_co_ci_u32_e32 v22, vcc_lo, s19, v18, vcc_lo
	s_delay_alu instid0(VALU_DEP_3) | instskip(NEXT) | instid1(VALU_DEP_4)
	v_add_co_u32 v23, vcc_lo, s7, v19
	v_add_co_ci_u32_e32 v24, vcc_lo, s19, v20, vcc_lo
	s_clause 0x1
	global_load_b32 v21, v[21:22], off
	global_load_b32 v22, v[23:24], off
	s_add_u32 s7, s8, s20
	s_addc_u32 s8, s9, s21
	s_add_u32 s7, s7, s10
	s_addc_u32 s8, s8, s11
	v_add_co_u32 v1, vcc_lo, s7, v1
	v_add_co_ci_u32_e32 v2, vcc_lo, s8, v2, vcc_lo
	v_add_co_u32 v3, vcc_lo, s7, v3
	v_add_co_ci_u32_e32 v4, vcc_lo, s8, v4, vcc_lo
	v_add_co_u32 v5, vcc_lo, s7, v5
	v_add_co_ci_u32_e32 v6, vcc_lo, s8, v6, vcc_lo
	v_add_co_u32 v7, vcc_lo, s7, v7
	v_add_co_ci_u32_e32 v8, vcc_lo, s8, v8, vcc_lo
	s_clause 0x1
	global_load_b32 v30, v[1:2], off
	global_load_b32 v31, v[3:4], off
	v_add_co_u32 v9, vcc_lo, s7, v9
	v_mbcnt_lo_u32_b32 v23, -1, 0
	s_clause 0x1
	global_load_b32 v5, v[5:6], off
	global_load_b32 v7, v[7:8], off
	v_add_co_ci_u32_e32 v10, vcc_lo, s8, v10, vcc_lo
	v_add_co_u32 v1, vcc_lo, s7, v11
	v_add_co_ci_u32_e32 v2, vcc_lo, s8, v12, vcc_lo
	v_xor_b32_e32 v24, 16, v23
	s_waitcnt vmcnt(12)
	v_dual_max_f32 v4, v34, v34 :: v_dual_max_f32 v3, v35, v35
	s_delay_alu instid0(VALU_DEP_1)
	v_max_f32_e32 v6, v4, v3
	v_add_co_u32 v3, vcc_lo, s7, v13
	v_add_co_ci_u32_e32 v4, vcc_lo, s8, v14, vcc_lo
	v_cmp_gt_i32_e32 vcc_lo, 32, v24
	s_clause 0x2
	global_load_b32 v9, v[9:10], off
	global_load_b32 v10, v[1:2], off
	global_load_b32 v3, v[3:4], off
	v_xor_b32_e32 v13, 8, v23
	v_cndmask_b32_e32 v8, v23, v24, vcc_lo
	v_add_co_u32 v1, vcc_lo, s7, v15
	v_add_co_ci_u32_e32 v2, vcc_lo, s8, v16, vcc_lo
	v_xor_b32_e32 v15, 1, v23
	s_waitcnt vmcnt(13)
	v_max3_f32 v6, v6, v36, v25
	s_waitcnt vmcnt(11)
	s_delay_alu instid0(VALU_DEP_1)
	v_max3_f32 v4, v6, v26, v27
	v_lshlrev_b32_e32 v6, 2, v8
	global_load_b32 v8, v[1:2], off
	v_add_co_u32 v1, vcc_lo, s7, v17
	s_waitcnt vmcnt(10)
	v_max3_f32 v4, v4, v28, v29
	v_add_co_ci_u32_e32 v2, vcc_lo, s8, v18, vcc_lo
	global_load_b32 v12, v[1:2], off
	s_waitcnt vmcnt(9)
	v_max3_f32 v4, v4, v21, v22
	v_add_co_u32 v1, vcc_lo, s7, v19
	v_add_co_ci_u32_e32 v2, vcc_lo, s8, v20, vcc_lo
	ds_bpermute_b32 v11, v6, v4
	v_cmp_gt_i32_e32 vcc_lo, 32, v13
	s_mov_b32 s7, exec_lo
	global_load_b32 v14, v[1:2], off
	v_cndmask_b32_e32 v1, v23, v13, vcc_lo
	v_xor_b32_e32 v13, 2, v23
	s_waitcnt lgkmcnt(0)
	s_delay_alu instid0(VALU_DEP_2) | instskip(SKIP_1) | instid1(VALU_DEP_2)
	v_dual_max_f32 v2, v11, v11 :: v_dual_lshlrev_b32 v1, 2, v1
	v_xor_b32_e32 v11, 4, v23
	v_max_f32_e32 v2, v4, v2
	s_delay_alu instid0(VALU_DEP_2) | instskip(SKIP_3) | instid1(VALU_DEP_2)
	v_cmp_gt_i32_e32 vcc_lo, 32, v11
	ds_bpermute_b32 v4, v1, v2
	v_cndmask_b32_e32 v11, v23, v11, vcc_lo
	v_cmp_gt_i32_e32 vcc_lo, 32, v13
	v_lshlrev_b32_e32 v11, 2, v11
	v_cndmask_b32_e32 v13, v23, v13, vcc_lo
	v_cmp_gt_i32_e32 vcc_lo, 32, v15
	s_delay_alu instid0(VALU_DEP_2) | instskip(SKIP_2) | instid1(VALU_DEP_1)
	v_lshlrev_b32_e32 v13, 2, v13
	v_cndmask_b32_e32 v15, v23, v15, vcc_lo
	s_waitcnt lgkmcnt(0)
	v_dual_max_f32 v4, v4, v4 :: v_dual_lshlrev_b32 v15, 2, v15
	s_delay_alu instid0(VALU_DEP_1) | instskip(SKIP_3) | instid1(VALU_DEP_1)
	v_max_f32_e32 v2, v2, v4
	ds_bpermute_b32 v4, v11, v2
	s_waitcnt lgkmcnt(0)
	v_max_f32_e32 v4, v4, v4
	v_max_f32_e32 v2, v2, v4
	ds_bpermute_b32 v4, v13, v2
	s_waitcnt lgkmcnt(0)
	v_max_f32_e32 v4, v4, v4
	s_delay_alu instid0(VALU_DEP_1) | instskip(SKIP_3) | instid1(VALU_DEP_1)
	v_max_f32_e32 v2, v2, v4
	ds_bpermute_b32 v4, v15, v2
	s_waitcnt lgkmcnt(0)
	v_max_f32_e32 v4, v4, v4
	v_max_f32_e32 v2, v2, v4
	v_sub_nc_u32_e32 v4, s40, v0
	s_delay_alu instid0(VALU_DEP_2)
	v_sub_f32_e32 v20, v26, v2
	v_sub_f32_e32 v16, v34, v2
	;; [unrolled: 1-line block ×9, first 2 shown]
	v_dual_mul_f32 v29, 0x3fb8aa3b, v20 :: v_dual_sub_f32 v2, v22, v2
	s_delay_alu instid0(VALU_DEP_4)
	v_mul_f32_e32 v33, 0x3fb8aa3b, v24
	v_mul_f32_e32 v22, 0x3fb8aa3b, v16
	;; [unrolled: 1-line block ×4, first 2 shown]
	v_fma_f32 v45, 0x3fb8aa3b, v20, -v29
	v_rndne_f32_e32 v46, v29
	v_fma_f32 v37, 0x3fb8aa3b, v16, -v22
	v_rndne_f32_e32 v38, v22
	;; [unrolled: 2-line block ×3, first 2 shown]
	v_mul_f32_e32 v27, 0x3fb8aa3b, v18
	s_delay_alu instid0(VALU_DEP_4) | instskip(SKIP_1) | instid1(VALU_DEP_4)
	v_dual_fmac_f32 v37, 0x32a5705f, v16 :: v_dual_sub_f32 v22, v22, v38
	v_rndne_f32_e32 v44, v28
	v_dual_fmac_f32 v39, 0x32a5705f, v17 :: v_dual_sub_f32 v26, v26, v40
	s_delay_alu instid0(VALU_DEP_3) | instskip(SKIP_1) | instid1(VALU_DEP_4)
	v_dual_fmac_f32 v45, 0x32a5705f, v20 :: v_dual_add_f32 v22, v22, v37
	v_fma_f32 v43, 0x3fb8aa3b, v19, -v28
	v_dual_sub_f32 v28, v28, v44 :: v_dual_sub_f32 v29, v29, v46
	s_delay_alu instid0(VALU_DEP_4) | instskip(NEXT) | instid1(VALU_DEP_4)
	v_add_f32_e32 v26, v26, v39
	v_exp_f32_e32 v22, v22
	v_mul_f32_e32 v32, 0x3fb8aa3b, v23
	v_mul_f32_e32 v34, 0x3fb8aa3b, v25
	v_fma_f32 v41, 0x3fb8aa3b, v18, -v27
	v_rndne_f32_e32 v42, v27
	v_cvt_i32_f32_e32 v38, v38
	v_exp_f32_e32 v26, v26
	v_dual_mul_f32 v35, 0x3fb8aa3b, v21 :: v_dual_mul_f32 v36, 0x3fb8aa3b, v2
	v_fma_f32 v47, 0x3fb8aa3b, v23, -v32
	v_rndne_f32_e32 v48, v32
	v_rndne_f32_e32 v52, v34
	v_cvt_i32_f32_e32 v40, v40
	v_fmac_f32_e32 v41, 0x32a5705f, v18
	v_sub_f32_e32 v27, v27, v42
	v_ldexp_f32 v22, v22, v38
	v_cmp_ngt_f32_e32 vcc_lo, 0xc2ce8ed0, v16
	v_fma_f32 v49, 0x3fb8aa3b, v24, -v33
	v_fma_f32 v51, 0x3fb8aa3b, v25, -v34
	v_sub_f32_e32 v34, v34, v52
	v_rndne_f32_e32 v56, v36
	v_fmac_f32_e32 v43, 0x32a5705f, v19
	v_dual_fmac_f32 v47, 0x32a5705f, v23 :: v_dual_cndmask_b32 v22, 0, v22
	v_sub_f32_e32 v32, v32, v48
	v_ldexp_f32 v26, v26, v40
	v_cmp_ngt_f32_e32 vcc_lo, 0xc2ce8ed0, v17
	v_add_f32_e32 v27, v27, v41
	v_fma_f32 v55, 0x3fb8aa3b, v2, -v36
	v_sub_f32_e32 v36, v36, v56
	v_dual_fmac_f32 v49, 0x32a5705f, v24 :: v_dual_add_f32 v28, v28, v43
	v_cndmask_b32_e32 v26, 0, v26, vcc_lo
	v_exp_f32_e32 v27, v27
	v_rndne_f32_e32 v50, v33
	v_cvt_i32_f32_e32 v42, v42
	v_add_f32_e32 v29, v29, v45
	v_exp_f32_e32 v28, v28
	v_cvt_i32_f32_e32 v44, v44
	v_dual_sub_f32 v33, v33, v50 :: v_dual_add_f32 v32, v32, v47
	s_delay_alu instid0(VALU_DEP_3) | instskip(SKIP_1) | instid1(TRANS32_DEP_3)
	v_exp_f32_e32 v29, v29
	v_cmp_ngt_f32_e32 vcc_lo, 0xc2ce8ed0, v18
	v_ldexp_f32 v27, v27, v42
	v_rndne_f32_e32 v54, v35
	v_cvt_i32_f32_e32 v46, v46
	v_exp_f32_e32 v32, v32
	s_delay_alu instid0(TRANS32_DEP_3)
	v_ldexp_f32 v28, v28, v44
	v_cndmask_b32_e32 v27, 0, v27, vcc_lo
	v_cmp_ngt_f32_e32 vcc_lo, 0xc2ce8ed0, v19
	v_fma_f32 v53, 0x3fb8aa3b, v21, -v35
	v_cvt_i32_f32_e32 v48, v48
	v_sub_f32_e32 v35, v35, v54
	v_ldexp_f32 v29, v29, v46
	v_cndmask_b32_e32 v28, 0, v28, vcc_lo
	v_cmp_ngt_f32_e32 vcc_lo, 0xc2ce8ed0, v20
	v_ldexp_f32 v32, v32, v48
	v_add_f32_e32 v33, v33, v49
	v_cvt_i32_f32_e32 v50, v50
	v_cvt_i32_f32_e32 v52, v52
	v_cndmask_b32_e32 v29, 0, v29, vcc_lo
	v_cmp_ngt_f32_e32 vcc_lo, 0xc2ce8ed0, v23
	v_fmac_f32_e32 v55, 0x32a5705f, v2
	v_exp_f32_e32 v33, v33
	v_cvt_i32_f32_e32 v54, v54
	v_dual_cndmask_b32 v32, 0, v32 :: v_dual_fmac_f32 v51, 0x32a5705f, v25
	s_delay_alu instid0(VALU_DEP_3) | instskip(SKIP_1) | instid1(VALU_DEP_3)
	v_dual_add_f32 v36, v36, v55 :: v_dual_fmac_f32 v53, 0x32a5705f, v21
	v_cmp_ngt_f32_e32 vcc_lo, 0xc2ce8ed0, v24
	v_add_f32_e32 v34, v34, v51
	s_waitcnt_depctr 0xfff
	v_ldexp_f32 v33, v33, v50
	v_exp_f32_e32 v36, v36
	v_exp_f32_e32 v34, v34
	s_delay_alu instid0(VALU_DEP_1) | instskip(SKIP_3) | instid1(VALU_DEP_1)
	v_cndmask_b32_e32 v33, 0, v33, vcc_lo
	v_cmp_ngt_f32_e32 vcc_lo, 0xc2ce8ed0, v25
	s_waitcnt_depctr 0xfff
	v_ldexp_f32 v34, v34, v52
	v_cndmask_b32_e32 v34, 0, v34, vcc_lo
	v_cmp_nlt_f32_e32 vcc_lo, 0x42b17218, v16
	v_cndmask_b32_e32 v16, 0x7f800000, v22, vcc_lo
	v_cmp_nlt_f32_e32 vcc_lo, 0x42b17218, v17
	;; [unrolled: 2-line block ×3, first 2 shown]
	v_dual_add_f32 v35, v35, v53 :: v_dual_cndmask_b32 v18, 0x7f800000, v27
	v_cmp_nlt_f32_e32 vcc_lo, 0x42b17218, v19
	s_delay_alu instid0(VALU_DEP_2)
	v_exp_f32_e32 v35, v35
	v_cndmask_b32_e32 v19, 0x7f800000, v28, vcc_lo
	v_cmp_nlt_f32_e32 vcc_lo, 0x42b17218, v20
	v_cndmask_b32_e32 v20, 0x7f800000, v29, vcc_lo
	v_cmp_nlt_f32_e32 vcc_lo, 0x42b17218, v23
	s_waitcnt_depctr 0xfff
	v_ldexp_f32 v35, v35, v54
	v_cndmask_b32_e32 v22, 0x7f800000, v32, vcc_lo
	v_cmp_lt_i32_e32 vcc_lo, 0, v4
	v_cndmask_b32_e32 v16, 0, v16, vcc_lo
	v_cmp_lt_i32_e32 vcc_lo, 32, v4
	s_waitcnt vmcnt(9)
	s_delay_alu instid0(VALU_DEP_2) | instskip(SKIP_2) | instid1(VALU_DEP_2)
	v_dual_mul_f32 v16, v30, v16 :: v_dual_cndmask_b32 v17, 0, v17
	v_cmp_nlt_f32_e32 vcc_lo, 0x42b17218, v24
	s_waitcnt vmcnt(8)
	v_mul_f32_e32 v17, v31, v17
	v_cndmask_b32_e32 v23, 0x7f800000, v33, vcc_lo
	v_cmp_lt_i32_e32 vcc_lo, 64, v4
	v_cndmask_b32_e32 v18, 0, v18, vcc_lo
	v_cmp_lt_i32_e32 vcc_lo, 0x60, v4
	s_waitcnt vmcnt(7)
	s_delay_alu instid0(VALU_DEP_2) | instskip(SKIP_2) | instid1(VALU_DEP_3)
	v_dual_mul_f32 v5, v5, v18 :: v_dual_add_f32 v18, v16, v17
	v_cndmask_b32_e32 v19, 0, v19, vcc_lo
	v_cmp_lt_i32_e32 vcc_lo, 0x80, v4
	v_add_f32_e32 v18, v18, v5
	v_cndmask_b32_e32 v20, 0, v20, vcc_lo
	v_cmp_lt_i32_e32 vcc_lo, 0xa0, v4
	s_waitcnt vmcnt(6)
	v_dual_cndmask_b32 v22, 0, v22 :: v_dual_mul_f32 v7, v7, v19
	v_cmp_lt_i32_e32 vcc_lo, 0xc0, v4
	s_waitcnt vmcnt(4)
	s_delay_alu instid0(VALU_DEP_2) | instskip(NEXT) | instid1(VALU_DEP_3)
	v_dual_mul_f32 v9, v9, v20 :: v_dual_mul_f32 v10, v10, v22
	v_add_f32_e32 v18, v18, v7
	v_cndmask_b32_e32 v23, 0, v23, vcc_lo
	v_cmp_nlt_f32_e32 vcc_lo, 0x42b17218, v25
	v_cvt_i32_f32_e32 v22, v56
	s_waitcnt vmcnt(3)
	s_delay_alu instid0(VALU_DEP_3) | instskip(NEXT) | instid1(VALU_DEP_1)
	v_dual_add_f32 v18, v18, v9 :: v_dual_mul_f32 v3, v3, v23
	v_add_f32_e32 v18, v18, v10
	v_cndmask_b32_e32 v19, 0x7f800000, v34, vcc_lo
	v_cmp_ngt_f32_e32 vcc_lo, 0xc2ce8ed0, v21
	s_delay_alu instid0(VALU_DEP_3) | instskip(SKIP_4) | instid1(VALU_DEP_4)
	v_add_f32_e32 v18, v18, v3
	v_cndmask_b32_e32 v20, 0, v35, vcc_lo
	v_cmp_lt_i32_e32 vcc_lo, 0xe0, v4
	v_cndmask_b32_e32 v19, 0, v19, vcc_lo
	v_cmp_nlt_f32_e32 vcc_lo, 0x42b17218, v21
	v_cndmask_b32_e32 v20, 0x7f800000, v20, vcc_lo
	v_cmp_lt_i32_e32 vcc_lo, 0x100, v4
	s_delay_alu instid0(VALU_DEP_2)
	v_cndmask_b32_e32 v20, 0, v20, vcc_lo
	s_waitcnt vmcnt(2)
	v_mul_f32_e32 v8, v8, v19
	v_ldexp_f32 v19, v36, v22
	v_cmp_ngt_f32_e32 vcc_lo, 0xc2ce8ed0, v2
	s_waitcnt vmcnt(1)
	v_mul_f32_e32 v12, v12, v20
	s_delay_alu instid0(VALU_DEP_3) | instskip(SKIP_1) | instid1(VALU_DEP_2)
	v_dual_add_f32 v18, v18, v8 :: v_dual_cndmask_b32 v19, 0, v19
	v_cmp_nlt_f32_e32 vcc_lo, 0x42b17218, v2
	v_cndmask_b32_e32 v2, 0x7f800000, v19, vcc_lo
	v_cmp_lt_i32_e32 vcc_lo, 0x120, v4
	s_delay_alu instid0(VALU_DEP_2) | instskip(SKIP_2) | instid1(VALU_DEP_1)
	v_cndmask_b32_e32 v4, 0, v2, vcc_lo
	v_add_f32_e32 v2, v18, v12
	s_waitcnt vmcnt(0)
	v_fmac_f32_e32 v2, v14, v4
	v_mul_f32_e32 v4, v14, v4
	ds_bpermute_b32 v6, v6, v2
	s_waitcnt lgkmcnt(0)
	v_add_f32_e32 v2, v2, v6
	v_lshlrev_b32_e32 v6, 2, v0
	ds_bpermute_b32 v1, v1, v2
	ds_store_2addr_b32 v6, v16, v17 offset1:32
	s_waitcnt lgkmcnt(1)
	v_add_f32_e32 v1, v2, v1
	ds_bpermute_b32 v2, v11, v1
	v_add_nc_u32_e32 v11, 0x400, v6
	s_waitcnt lgkmcnt(0)
	v_add_f32_e32 v1, v1, v2
	ds_store_2addr_b32 v6, v5, v7 offset0:64 offset1:96
	ds_store_2addr_b32 v6, v9, v10 offset0:128 offset1:160
	;; [unrolled: 1-line block ×3, first 2 shown]
	ds_store_2addr_b32 v11, v12, v4 offset1:32
	ds_bpermute_b32 v2, v13, v1
	s_waitcnt lgkmcnt(0)
	v_add_f32_e32 v1, v1, v2
	ds_bpermute_b32 v2, v15, v1
	v_cmpx_eq_u32_e32 0, v0
	s_cbranch_execz .LBB663_8
; %bb.7:
	s_waitcnt lgkmcnt(0)
	v_dual_add_f32 v1, v1, v2 :: v_dual_mov_b32 v2, 0
	ds_store_b32 v2, v1 offset:1280
.LBB663_8:
	s_or_b32 exec_lo, exec_lo, s7
	v_mov_b32_e32 v1, s6
.LBB663_9:
	s_or_b32 exec_lo, exec_lo, s24
	s_lshl_b32 s6, s18, 7
	s_mov_b32 s7, 0
	s_waitcnt lgkmcnt(0)
	v_dual_mov_b32 v2, 0 :: v_dual_lshlrev_b32 v1, 7, v1
	s_lshl_b64 s[6:7], s[6:7], 1
	v_lshlrev_b32_e32 v0, 1, v0
	s_add_u32 s34, s4, s6
	s_addc_u32 s35, s5, s7
	s_lshl_b32 s41, s40, 7
	v_lshlrev_b64 v[3:4], 1, v[1:2]
	s_add_i32 s42, s41, 0xffffff80
	s_cmpk_lt_i32 s22, 0x100
	v_dual_mov_b32 v30, 0 :: v_dual_mov_b32 v33, 0
	s_cselect_b32 s4, s42, 0
	s_delay_alu instid0(VALU_DEP_2)
	v_add_co_u32 v1, vcc_lo, s34, v3
	s_ashr_i32 s5, s4, 31
	v_add_co_ci_u32_e32 v3, vcc_lo, s35, v4, vcc_lo
	s_lshl_b64 s[4:5], s[4:5], 1
	s_cmpk_lt_i32 s22, 0x200
	v_add_co_u32 v1, vcc_lo, v1, v0
	s_cselect_b32 s6, s42, 0x80
	v_add_co_ci_u32_e32 v3, vcc_lo, 0, v3, vcc_lo
	s_ashr_i32 s7, s6, 31
	s_delay_alu instid0(VALU_DEP_2)
	v_add_co_u32 v4, vcc_lo, v1, s4
	s_lshl_b64 s[6:7], s[6:7], 1
	s_cmpk_lt_i32 s22, 0x300
	v_add_co_ci_u32_e32 v5, vcc_lo, s5, v3, vcc_lo
	s_cselect_b32 s8, s42, 0x100
	v_add_co_u32 v6, vcc_lo, v1, s6
	s_ashr_i32 s9, s8, 31
	v_add_co_ci_u32_e32 v7, vcc_lo, s7, v3, vcc_lo
	s_lshl_b64 s[8:9], s[8:9], 1
	s_cmpk_lt_i32 s22, 0x400
	v_add_co_u32 v8, vcc_lo, v1, s8
	s_cselect_b32 s10, s42, 0x180
	v_add_co_ci_u32_e32 v9, vcc_lo, s9, v3, vcc_lo
	s_ashr_i32 s11, s10, 31
	v_dual_mov_b32 v32, 0 :: v_dual_mov_b32 v35, 0
	s_lshl_b64 s[10:11], s[10:11], 1
	s_cmpk_lt_i32 s22, 0x500
	v_add_co_u32 v11, vcc_lo, v1, s10
	s_cselect_b32 s18, s42, 0x200
	v_add_co_ci_u32_e32 v12, vcc_lo, s11, v3, vcc_lo
	s_ashr_i32 s19, s18, 31
	v_mov_b32_e32 v34, 0
	s_lshl_b64 s[18:19], s[18:19], 1
	s_cmpk_lt_i32 s22, 0x600
	v_add_co_u32 v14, vcc_lo, v1, s18
	s_cselect_b32 s20, s42, 0x280
	v_add_co_ci_u32_e32 v15, vcc_lo, s19, v3, vcc_lo
	s_ashr_i32 s21, s20, 31
	v_mov_b32_e32 v31, 0
	s_lshl_b64 s[20:21], s[20:21], 1
	s_cmpk_lt_i32 s22, 0x700
	v_add_co_u32 v16, vcc_lo, v1, s20
	s_cselect_b32 s24, s42, 0x300
	v_add_co_ci_u32_e32 v17, vcc_lo, s21, v3, vcc_lo
	s_ashr_i32 s25, s24, 31
	s_delay_alu instid0(SALU_CYCLE_1)
	s_lshl_b64 s[24:25], s[24:25], 1
	s_cmpk_lt_i32 s22, 0x800
	v_add_co_u32 v18, vcc_lo, v1, s24
	s_cselect_b32 s26, s42, 0x380
	v_add_co_ci_u32_e32 v19, vcc_lo, s25, v3, vcc_lo
	s_ashr_i32 s27, s26, 31
	s_delay_alu instid0(SALU_CYCLE_1)
	s_lshl_b64 s[26:27], s[26:27], 1
	s_cmpk_lt_i32 s22, 0x900
	v_add_co_u32 v20, vcc_lo, v1, s26
	s_cselect_b32 s28, s42, 0x400
	v_add_co_ci_u32_e32 v21, vcc_lo, s27, v3, vcc_lo
	s_ashr_i32 s29, s28, 31
	s_clause 0x7
	global_load_u16 v13, v[4:5], off
	global_load_u16 v4, v[6:7], off
	;; [unrolled: 1-line block ×8, first 2 shown]
	s_lshl_b64 s[28:29], s[28:29], 1
	s_cmpk_lt_i32 s22, 0xa00
	v_add_co_u32 v11, vcc_lo, v1, s28
	s_cselect_b32 s30, s42, 0x480
	v_add_co_ci_u32_e32 v12, vcc_lo, s29, v3, vcc_lo
	s_ashr_i32 s31, s30, 31
	s_delay_alu instid0(SALU_CYCLE_1)
	s_lshl_b64 s[30:31], s[30:31], 1
	s_cmpk_lt_i32 s22, 0xb00
	v_add_co_u32 v14, vcc_lo, v1, s30
	s_cselect_b32 s34, s42, 0x500
	v_add_co_ci_u32_e32 v15, vcc_lo, s31, v3, vcc_lo
	s_ashr_i32 s35, s34, 31
	s_delay_alu instid0(SALU_CYCLE_1)
	;; [unrolled: 7-line block ×7, first 2 shown]
	s_lshl_b64 s[4:5], s[6:7], 1
	s_cmpk_gt_i32 s23, 0x1000
	v_add_co_u32 v28, vcc_lo, v1, s4
	v_add_co_ci_u32_e32 v29, vcc_lo, s5, v3, vcc_lo
	s_clause 0x7
	global_load_u16 v19, v[11:12], off
	global_load_u16 v18, v[14:15], off
	;; [unrolled: 1-line block ×8, first 2 shown]
	v_dual_mov_b32 v20, 0 :: v_dual_mov_b32 v23, 0
	v_dual_mov_b32 v21, 0 :: v_dual_mov_b32 v22, 0
	;; [unrolled: 1-line block ×5, first 2 shown]
	s_cselect_b32 s6, -1, 0
	s_cmpk_lt_i32 s23, 0x1001
	s_waitcnt vmcnt(0)
	s_barrier
	buffer_gl0_inv
	s_cbranch_scc1 .LBB663_11
; %bb.10:
	s_cmpk_lt_i32 s22, 0x1100
	s_cselect_b32 s4, s42, 0x800
	s_delay_alu instid0(SALU_CYCLE_1) | instskip(NEXT) | instid1(SALU_CYCLE_1)
	s_ashr_i32 s5, s4, 31
	s_lshl_b64 s[4:5], s[4:5], 1
	s_cmpk_lt_i32 s22, 0x1200
	v_add_co_u32 v20, vcc_lo, v1, s4
	s_cselect_b32 s8, s42, 0x880
	v_add_co_ci_u32_e32 v21, vcc_lo, s5, v3, vcc_lo
	s_ashr_i32 s9, s8, 31
	s_delay_alu instid0(SALU_CYCLE_1)
	s_lshl_b64 s[8:9], s[8:9], 1
	s_cmpk_lt_i32 s22, 0x1300
	v_add_co_u32 v22, vcc_lo, v1, s8
	s_cselect_b32 s10, s42, 0x900
	v_add_co_ci_u32_e32 v23, vcc_lo, s9, v3, vcc_lo
	s_ashr_i32 s11, s10, 31
	s_delay_alu instid0(SALU_CYCLE_1)
	;; [unrolled: 7-line block ×14, first 2 shown]
	s_lshl_b64 s[4:5], s[18:19], 1
	s_cmpk_lt_i32 s22, 0x2000
	v_add_co_u32 v48, vcc_lo, v1, s4
	s_cselect_b32 s8, s42, 0xf80
	v_add_co_ci_u32_e32 v49, vcc_lo, s5, v3, vcc_lo
	s_ashr_i32 s9, s8, 31
	s_delay_alu instid0(SALU_CYCLE_1) | instskip(NEXT) | instid1(SALU_CYCLE_1)
	s_lshl_b64 s[4:5], s[8:9], 1
	v_add_co_u32 v50, vcc_lo, v1, s4
	v_add_co_ci_u32_e32 v51, vcc_lo, s5, v3, vcc_lo
	s_clause 0xf
	global_load_u16 v20, v[20:21], off
	global_load_u16 v21, v[22:23], off
	;; [unrolled: 1-line block ×16, first 2 shown]
	s_waitcnt vmcnt(15)
	v_lshlrev_b32_e32 v35, 16, v20
	s_waitcnt vmcnt(14)
	v_lshlrev_b32_e32 v34, 16, v21
	;; [unrolled: 2-line block ×16, first 2 shown]
.LBB663_11:
	ds_load_b128 v[36:39], v2
	ds_load_b128 v[40:43], v2 offset:16
	v_lshlrev_b32_e32 v44, 16, v4
	v_lshlrev_b32_e32 v13, 16, v13
	;; [unrolled: 1-line block ×5, first 2 shown]
	s_load_b64 s[0:1], s[0:1], 0x0
	s_and_b32 vcc_lo, exec_lo, s6
	v_lshlrev_b32_e32 v5, 16, v5
	s_waitcnt lgkmcnt(0)
	v_fma_f32 v4, v36, v13, 0
	s_delay_alu instid0(VALU_DEP_1) | instskip(NEXT) | instid1(VALU_DEP_1)
	v_dual_fmac_f32 v4, v37, v44 :: v_dual_lshlrev_b32 v13, 16, v7
	v_dual_fmac_f32 v4, v38, v10 :: v_dual_lshlrev_b32 v9, 16, v9
	s_delay_alu instid0(VALU_DEP_1) | instskip(SKIP_4) | instid1(VALU_DEP_1)
	v_fmac_f32_e32 v4, v39, v9
	ds_load_b128 v[36:39], v2 offset:48
	v_fmac_f32_e32 v4, v40, v8
	ds_load_b128 v[7:10], v2 offset:32
	v_fmac_f32_e32 v4, v41, v13
	v_fmac_f32_e32 v4, v42, v6
	v_lshlrev_b32_e32 v6, 16, v19
	s_delay_alu instid0(VALU_DEP_2) | instskip(SKIP_1) | instid1(VALU_DEP_1)
	v_dual_fmac_f32 v4, v43, v5 :: v_dual_lshlrev_b32 v5, 16, v18
	s_waitcnt lgkmcnt(0)
	v_fmac_f32_e32 v4, v7, v6
	v_lshlrev_b32_e32 v6, 16, v17
	s_delay_alu instid0(VALU_DEP_2) | instskip(NEXT) | instid1(VALU_DEP_1)
	v_dual_fmac_f32 v4, v8, v5 :: v_dual_lshlrev_b32 v5, 16, v16
	v_fmac_f32_e32 v4, v9, v6
	v_lshlrev_b32_e32 v6, 16, v15
	s_delay_alu instid0(VALU_DEP_2) | instskip(NEXT) | instid1(VALU_DEP_1)
	v_dual_fmac_f32 v4, v10, v5 :: v_dual_lshlrev_b32 v5, 16, v14
	;; [unrolled: 4-line block ×3, first 2 shown]
	v_fmac_f32_e32 v4, v38, v6
	s_delay_alu instid0(VALU_DEP_1)
	v_fmac_f32_e32 v4, v39, v5
	s_cbranch_vccz .LBB663_13
; %bb.12:
	ds_load_b128 v[5:8], v2 offset:64
	ds_load_b128 v[9:12], v2 offset:80
	s_waitcnt lgkmcnt(1)
	v_fmac_f32_e32 v4, v5, v35
	s_delay_alu instid0(VALU_DEP_1) | instskip(NEXT) | instid1(VALU_DEP_1)
	v_fmac_f32_e32 v4, v6, v34
	v_fmac_f32_e32 v4, v7, v33
	s_delay_alu instid0(VALU_DEP_1) | instskip(SKIP_3) | instid1(VALU_DEP_1)
	v_fmac_f32_e32 v4, v8, v32
	ds_load_b128 v[5:8], v2 offset:96
	s_waitcnt lgkmcnt(1)
	v_fmac_f32_e32 v4, v9, v31
	v_fmac_f32_e32 v4, v10, v30
	s_delay_alu instid0(VALU_DEP_1) | instskip(NEXT) | instid1(VALU_DEP_1)
	v_fmac_f32_e32 v4, v11, v29
	v_fmac_f32_e32 v4, v12, v28
	ds_load_b128 v[9:12], v2 offset:112
	s_waitcnt lgkmcnt(1)
	v_fmac_f32_e32 v4, v5, v27
	s_delay_alu instid0(VALU_DEP_1) | instskip(NEXT) | instid1(VALU_DEP_1)
	v_fmac_f32_e32 v4, v6, v26
	v_fmac_f32_e32 v4, v7, v25
	s_delay_alu instid0(VALU_DEP_1) | instskip(SKIP_1) | instid1(VALU_DEP_1)
	v_fmac_f32_e32 v4, v8, v24
	s_waitcnt lgkmcnt(0)
	v_fmac_f32_e32 v4, v9, v23
	s_delay_alu instid0(VALU_DEP_1) | instskip(NEXT) | instid1(VALU_DEP_1)
	v_fmac_f32_e32 v4, v10, v22
	v_fmac_f32_e32 v4, v11, v21
	s_delay_alu instid0(VALU_DEP_1)
	v_fmac_f32_e32 v4, v12, v20
.LBB663_13:
	s_movk_i32 s43, 0x1f80
	s_movk_i32 s44, 0x80
	s_mov_b32 s45, 32
	s_branch .LBB663_15
.LBB663_14:                             ;   in Loop: Header=BB663_15 Depth=1
	s_addk_i32 s43, 0x1000
	s_addk_i32 s44, 0x80
	s_add_i32 s45, s45, 32
	s_cmpk_eq_u32 s43, 0xaf80
	s_cbranch_scc1 .LBB663_17
.LBB663_15:                             ; =>This Inner Loop Header: Depth=1
	s_cmp_le_i32 s40, s45
	s_cbranch_scc1 .LBB663_14
; %bb.16:                               ;   in Loop: Header=BB663_15 Depth=1
	s_add_i32 s4, s43, 0xfffff080
	v_mov_b32_e32 v44, s44
	s_cmp_lt_i32 s4, s41
	s_cselect_b32 s4, s4, s42
	s_add_i32 s6, s43, 0xfffff100
	s_ashr_i32 s5, s4, 31
	s_delay_alu instid0(SALU_CYCLE_1)
	s_lshl_b64 s[38:39], s[4:5], 1
	s_cmp_lt_i32 s6, s41
	v_add_co_u32 v5, vcc_lo, v1, s38
	s_cselect_b32 s4, s6, s42
	s_add_i32 s6, s43, 0xfffff180
	s_ashr_i32 s5, s4, 31
	v_add_co_ci_u32_e32 v6, vcc_lo, s39, v3, vcc_lo
	s_lshl_b64 s[4:5], s[4:5], 1
	s_cmp_lt_i32 s6, s41
	s_cselect_b32 s6, s6, s42
	s_add_i32 s8, s43, 0xfffff200
	s_ashr_i32 s7, s6, 31
	global_load_u16 v2, v[5:6], off
	s_lshl_b64 s[6:7], s[6:7], 1
	s_cmp_lt_i32 s8, s41
	v_add_co_u32 v5, vcc_lo, v1, s4
	s_cselect_b32 s8, s8, s42
	s_add_i32 s10, s43, 0xfffff280
	s_ashr_i32 s9, s8, 31
	v_add_co_ci_u32_e32 v6, vcc_lo, s5, v3, vcc_lo
	s_lshl_b64 s[8:9], s[8:9], 1
	s_cmp_lt_i32 s10, s41
	v_add_co_u32 v7, vcc_lo, v1, s6
	s_cselect_b32 s10, s10, s42
	s_add_i32 s18, s43, 0xfffff300
	s_ashr_i32 s11, s10, 31
	v_add_co_ci_u32_e32 v8, vcc_lo, s7, v3, vcc_lo
	s_lshl_b64 s[10:11], s[10:11], 1
	s_cmp_lt_i32 s18, s41
	v_add_co_u32 v9, vcc_lo, v1, s8
	s_cselect_b32 s18, s18, s42
	s_add_i32 s20, s43, 0xfffff380
	s_ashr_i32 s19, s18, 31
	s_clause 0x1
	global_load_u16 v23, v[5:6], off
	global_load_u16 v24, v[7:8], off
	s_lshl_b64 s[18:19], s[18:19], 1
	s_cmp_lt_i32 s20, s41
	v_add_co_ci_u32_e32 v10, vcc_lo, s9, v3, vcc_lo
	s_cselect_b32 s20, s20, s42
	s_add_i32 s22, s43, 0xfffff400
	s_ashr_i32 s21, s20, 31
	global_load_u16 v25, v[9:10], off
	s_lshl_b64 s[20:21], s[20:21], 1
	s_cmp_lt_i32 s22, s41
	v_add_co_u32 v11, vcc_lo, v1, s10
	s_cselect_b32 s22, s22, s42
	s_add_i32 s24, s43, 0xfffff480
	s_ashr_i32 s23, s22, 31
	v_add_co_ci_u32_e32 v12, vcc_lo, s11, v3, vcc_lo
	s_lshl_b64 s[22:23], s[22:23], 1
	s_cmp_lt_i32 s24, s41
	v_add_co_u32 v13, vcc_lo, v1, s18
	global_load_u16 v26, v[11:12], off
	s_cselect_b32 s24, s24, s42
	s_add_i32 s26, s43, 0xfffff500
	s_ashr_i32 s25, s24, 31
	v_add_co_ci_u32_e32 v14, vcc_lo, s19, v3, vcc_lo
	s_lshl_b64 s[24:25], s[24:25], 1
	s_cmp_lt_i32 s26, s41
	v_add_co_u32 v15, vcc_lo, v1, s20
	global_load_u16 v27, v[13:14], off
	s_cselect_b32 s26, s26, s42
	s_add_i32 s28, s43, 0xfffff580
	s_ashr_i32 s27, s26, 31
	v_add_co_ci_u32_e32 v16, vcc_lo, s21, v3, vcc_lo
	s_lshl_b64 s[36:37], s[26:27], 1
	s_cmp_lt_i32 s28, s41
	v_add_co_u32 v17, vcc_lo, v1, s22
	s_cselect_b32 s26, s28, s42
	s_add_i32 s30, s43, 0xfffff600
	s_ashr_i32 s27, s26, 31
	v_add_co_ci_u32_e32 v18, vcc_lo, s23, v3, vcc_lo
	s_lshl_b64 s[28:29], s[26:27], 1
	s_cmp_lt_i32 s30, s41
	v_add_co_u32 v19, vcc_lo, v1, s24
	global_load_u16 v17, v[17:18], off
	s_cselect_b32 s26, s30, s42
	s_add_i32 s30, s43, 0xfffff680
	s_ashr_i32 s27, s26, 31
	v_add_co_ci_u32_e32 v20, vcc_lo, s25, v3, vcc_lo
	s_lshl_b64 s[26:27], s[26:27], 1
	s_cmp_lt_i32 s30, s41
	v_add_co_u32 v21, vcc_lo, v1, s36
	s_cselect_b32 s30, s30, s42
	s_add_i32 s46, s43, 0xfffff700
	s_ashr_i32 s31, s30, 31
	v_add_co_ci_u32_e32 v22, vcc_lo, s37, v3, vcc_lo
	s_lshl_b64 s[34:35], s[30:31], 1
	s_cmp_lt_i32 s46, s41
	v_add_co_u32 v5, vcc_lo, v1, s28
	;; [unrolled: 7-line block ×3, first 2 shown]
	s_cselect_b32 s46, s46, s42
	s_add_i32 s48, s43, 0xfffff800
	s_ashr_i32 s47, s46, 31
	global_load_u16 v28, v[15:16], off
	s_lshl_b64 s[38:39], s[46:47], 1
	s_cmp_lt_i32 s48, s41
	v_add_co_ci_u32_e32 v8, vcc_lo, s27, v3, vcc_lo
	s_cselect_b32 s46, s48, s42
	v_add_co_u32 v9, vcc_lo, v1, s34
	s_ashr_i32 s47, s46, 31
	s_add_i32 s4, s43, 0xfffff880
	s_lshl_b64 s[46:47], s[46:47], 1
	v_add_co_ci_u32_e32 v10, vcc_lo, s35, v3, vcc_lo
	s_cmp_lt_i32 s4, s41
	v_add_co_u32 v11, vcc_lo, v1, s30
	s_cselect_b32 s4, s4, s42
	v_add_co_ci_u32_e32 v12, vcc_lo, s31, v3, vcc_lo
	v_add_co_u32 v13, vcc_lo, v1, s38
	s_ashr_i32 s5, s4, 31
	s_add_i32 s6, s43, 0xfffff900
	v_add_co_ci_u32_e32 v14, vcc_lo, s39, v3, vcc_lo
	global_load_u16 v18, v[19:20], off
	s_lshl_b64 s[8:9], s[4:5], 1
	s_cmp_lt_i32 s6, s41
	global_load_u16 v30, v[13:14], off
	s_cselect_b32 s4, s6, s42
	global_load_u16 v19, v[21:22], off
	s_ashr_i32 s5, s4, 31
	s_add_i32 s6, s43, 0xfffff980
	s_lshl_b64 s[10:11], s[4:5], 1
	s_cmp_lt_i32 s6, s41
	s_clause 0x3
	global_load_u16 v20, v[5:6], off
	global_load_u16 v21, v[7:8], off
	;; [unrolled: 1-line block ×4, first 2 shown]
	s_cselect_b32 s4, s6, s42
	s_add_i32 s6, s43, 0xfffffa00
	s_ashr_i32 s5, s4, 31
	v_add_co_u32 v15, vcc_lo, v1, s46
	s_lshl_b64 s[4:5], s[4:5], 1
	s_cmp_lt_i32 s6, s41
	v_add_co_ci_u32_e32 v16, vcc_lo, s47, v3, vcc_lo
	s_cselect_b32 s6, s6, s42
	s_add_i32 s18, s43, 0xfffffa80
	s_ashr_i32 s7, s6, 31
	v_add_co_u32 v5, vcc_lo, v1, s8
	s_lshl_b64 s[6:7], s[6:7], 1
	s_cmp_lt_i32 s18, s41
	v_add_co_ci_u32_e32 v6, vcc_lo, s9, v3, vcc_lo
	s_cselect_b32 s18, s18, s42
	v_add_co_u32 v7, vcc_lo, v1, s10
	s_ashr_i32 s19, s18, 31
	s_add_i32 s20, s43, 0xfffffb00
	s_lshl_b64 s[18:19], s[18:19], 1
	v_add_co_ci_u32_e32 v8, vcc_lo, s11, v3, vcc_lo
	s_cmp_lt_i32 s20, s41
	v_add_co_u32 v9, vcc_lo, v1, s4
	s_cselect_b32 s20, s20, s42
	v_add_co_ci_u32_e32 v10, vcc_lo, s5, v3, vcc_lo
	v_add_co_u32 v11, vcc_lo, v1, s6
	s_ashr_i32 s21, s20, 31
	s_add_i32 s22, s43, 0xfffffb80
	v_add_co_ci_u32_e32 v12, vcc_lo, s7, v3, vcc_lo
	global_load_u16 v15, v[15:16], off
	s_lshl_b64 s[20:21], s[20:21], 1
	s_cmp_lt_i32 s22, s41
	global_load_u16 v33, v[11:12], off
	s_cselect_b32 s22, s22, s42
	s_clause 0x2
	global_load_u16 v16, v[5:6], off
	global_load_u16 v31, v[7:8], off
	global_load_u16 v32, v[9:10], off
	s_ashr_i32 s23, s22, 31
	s_add_i32 s24, s43, 0xfffffc00
	s_lshl_b64 s[22:23], s[22:23], 1
	s_cmp_lt_i32 s24, s41
	v_add_co_u32 v13, vcc_lo, v1, s18
	s_cselect_b32 s24, s24, s42
	s_add_i32 s26, s43, 0xfffffc80
	s_ashr_i32 s25, s24, 31
	v_add_co_ci_u32_e32 v14, vcc_lo, s19, v3, vcc_lo
	s_lshl_b64 s[24:25], s[24:25], 1
	s_cmp_lt_i32 s26, s41
	v_add_co_u32 v5, vcc_lo, v1, s20
	s_cselect_b32 s8, s26, s42
	v_add_co_ci_u32_e32 v6, vcc_lo, s21, v3, vcc_lo
	s_ashr_i32 s9, s8, 31
	v_add_co_u32 v7, vcc_lo, v1, s22
	s_add_i32 s10, s43, 0xfffffd00
	s_lshl_b64 s[8:9], s[8:9], 1
	v_add_co_ci_u32_e32 v8, vcc_lo, s23, v3, vcc_lo
	s_cmp_lt_i32 s10, s41
	v_add_co_u32 v9, vcc_lo, v1, s24
	s_cselect_b32 s4, s10, s42
	global_load_u16 v13, v[13:14], off
	v_add_co_ci_u32_e32 v10, vcc_lo, s25, v3, vcc_lo
	s_ashr_i32 s5, s4, 31
	s_add_i32 s6, s43, 0xfffffd80
	s_lshl_b64 s[4:5], s[4:5], 1
	global_load_u16 v35, v[9:10], off
	s_cmp_lt_i32 s6, s41
	s_clause 0x1
	global_load_u16 v14, v[5:6], off
	global_load_u16 v34, v[7:8], off
	s_cselect_b32 s6, s6, s42
	s_add_i32 s10, s43, 0xfffffe00
	s_ashr_i32 s7, s6, 31
	v_add_co_u32 v5, vcc_lo, v1, s8
	s_lshl_b64 s[6:7], s[6:7], 1
	s_cmp_lt_i32 s10, s41
	v_add_co_ci_u32_e32 v6, vcc_lo, s9, v3, vcc_lo
	s_cselect_b32 s10, s10, s42
	v_add_co_u32 v7, vcc_lo, v1, s4
	s_ashr_i32 s11, s10, 31
	v_add_co_ci_u32_e32 v8, vcc_lo, s5, v3, vcc_lo
	s_add_i32 s18, s43, 0xfffffe80
	s_lshl_b64 s[10:11], s[10:11], 1
	s_cmp_lt_i32 s18, s41
	s_clause 0x1
	global_load_u16 v36, v[5:6], off
	global_load_u16 v37, v[7:8], off
	s_cselect_b32 s18, s18, s42
	v_add_co_u32 v5, vcc_lo, v1, s6
	s_ashr_i32 s19, s18, 31
	v_add_co_ci_u32_e32 v6, vcc_lo, s7, v3, vcc_lo
	s_add_i32 s20, s43, 0xffffff00
	v_add_co_u32 v7, vcc_lo, v1, s10
	s_lshl_b64 s[8:9], s[18:19], 1
	s_cmp_lt_i32 s20, s41
	v_add_co_ci_u32_e32 v8, vcc_lo, s11, v3, vcc_lo
	s_cselect_b32 s4, s20, s42
	global_load_u16 v38, v[5:6], off
	s_ashr_i32 s5, s4, 31
	global_load_u16 v39, v[7:8], off
	s_add_i32 s18, s43, 0xffffff80
	v_add_co_u32 v5, vcc_lo, v1, s8
	s_lshl_b64 s[4:5], s[4:5], 1
	s_cmp_lt_i32 s18, s41
	v_add_co_ci_u32_e32 v6, vcc_lo, s9, v3, vcc_lo
	v_add_co_u32 v7, vcc_lo, v1, s4
	s_cselect_b32 s6, s18, s42
	v_add_co_ci_u32_e32 v8, vcc_lo, s5, v3, vcc_lo
	s_ashr_i32 s7, s6, 31
	global_load_u16 v40, v[5:6], off
	s_lshl_b64 s[6:7], s[6:7], 1
	global_load_u16 v41, v[7:8], off
	s_cmp_lt_i32 s43, s41
	v_add_co_u32 v5, vcc_lo, v1, s6
	s_cselect_b32 s4, s43, s42
	v_add_co_ci_u32_e32 v6, vcc_lo, s7, v3, vcc_lo
	s_ashr_i32 s5, s4, 31
	s_delay_alu instid0(SALU_CYCLE_1)
	s_lshl_b64 s[4:5], s[4:5], 1
	global_load_u16 v42, v[5:6], off
	v_add_co_u32 v5, vcc_lo, v1, s4
	v_add_co_ci_u32_e32 v6, vcc_lo, s5, v3, vcc_lo
	global_load_u16 v43, v[5:6], off
	ds_load_b128 v[5:8], v44
	ds_load_b128 v[9:12], v44 offset:16
	s_waitcnt vmcnt(31)
	v_lshlrev_b32_e32 v2, 16, v2
	s_waitcnt lgkmcnt(1)
	s_delay_alu instid0(VALU_DEP_1) | instskip(SKIP_2) | instid1(VALU_DEP_1)
	v_fmac_f32_e32 v4, v5, v2
	s_waitcnt vmcnt(30)
	v_lshlrev_b32_e32 v2, 16, v23
	v_fmac_f32_e32 v4, v6, v2
	s_waitcnt vmcnt(29)
	v_lshlrev_b32_e32 v2, 16, v24
	s_delay_alu instid0(VALU_DEP_1) | instskip(SKIP_2) | instid1(VALU_DEP_1)
	v_fmac_f32_e32 v4, v7, v2
	s_waitcnt vmcnt(28)
	v_lshlrev_b32_e32 v2, 16, v25
	v_fmac_f32_e32 v4, v8, v2
	ds_load_b128 v[5:8], v44 offset:32
	s_waitcnt vmcnt(27)
	v_lshlrev_b32_e32 v2, 16, v26
	s_waitcnt lgkmcnt(1)
	s_delay_alu instid0(VALU_DEP_1) | instskip(SKIP_2) | instid1(VALU_DEP_1)
	v_fmac_f32_e32 v4, v9, v2
	s_waitcnt vmcnt(26)
	v_lshlrev_b32_e32 v2, 16, v27
	v_fmac_f32_e32 v4, v10, v2
	s_waitcnt vmcnt(24)
	v_lshlrev_b32_e32 v2, 16, v28
	s_delay_alu instid0(VALU_DEP_1) | instskip(SKIP_1) | instid1(VALU_DEP_1)
	v_fmac_f32_e32 v4, v11, v2
	v_lshlrev_b32_e32 v2, 16, v17
	v_fmac_f32_e32 v4, v12, v2
	ds_load_b128 v[9:12], v44 offset:48
	s_waitcnt vmcnt(23)
	v_lshlrev_b32_e32 v2, 16, v18
	s_waitcnt lgkmcnt(1)
	s_delay_alu instid0(VALU_DEP_1) | instskip(SKIP_2) | instid1(VALU_DEP_1)
	v_fmac_f32_e32 v4, v5, v2
	s_waitcnt vmcnt(21)
	v_lshlrev_b32_e32 v2, 16, v19
	v_fmac_f32_e32 v4, v6, v2
	s_waitcnt vmcnt(20)
	v_lshlrev_b32_e32 v2, 16, v20
	s_delay_alu instid0(VALU_DEP_1) | instskip(SKIP_2) | instid1(VALU_DEP_1)
	v_fmac_f32_e32 v4, v7, v2
	s_waitcnt vmcnt(19)
	v_lshlrev_b32_e32 v2, 16, v21
	v_fmac_f32_e32 v4, v8, v2
	s_waitcnt vmcnt(18)
	v_lshlrev_b32_e32 v2, 16, v22
	ds_load_b128 v[5:8], v44 offset:64
	s_waitcnt lgkmcnt(1)
	v_fmac_f32_e32 v4, v9, v2
	s_waitcnt vmcnt(17)
	v_lshlrev_b32_e32 v2, 16, v29
	s_delay_alu instid0(VALU_DEP_1) | instskip(SKIP_1) | instid1(VALU_DEP_1)
	v_fmac_f32_e32 v4, v10, v2
	v_lshlrev_b32_e32 v2, 16, v30
	v_fmac_f32_e32 v4, v11, v2
	s_waitcnt vmcnt(16)
	v_lshlrev_b32_e32 v2, 16, v15
	s_delay_alu instid0(VALU_DEP_1) | instskip(SKIP_4) | instid1(VALU_DEP_1)
	v_fmac_f32_e32 v4, v12, v2
	ds_load_b128 v[9:12], v44 offset:80
	s_waitcnt vmcnt(14)
	v_lshlrev_b32_e32 v2, 16, v16
	s_waitcnt lgkmcnt(1)
	v_fmac_f32_e32 v4, v5, v2
	s_waitcnt vmcnt(13)
	v_lshlrev_b32_e32 v2, 16, v31
	s_delay_alu instid0(VALU_DEP_1) | instskip(SKIP_2) | instid1(VALU_DEP_1)
	v_fmac_f32_e32 v4, v6, v2
	s_waitcnt vmcnt(12)
	v_lshlrev_b32_e32 v2, 16, v32
	v_fmac_f32_e32 v4, v7, v2
	v_lshlrev_b32_e32 v2, 16, v33
	s_delay_alu instid0(VALU_DEP_1) | instskip(SKIP_4) | instid1(VALU_DEP_1)
	v_fmac_f32_e32 v4, v8, v2
	ds_load_b128 v[5:8], v44 offset:96
	s_waitcnt vmcnt(11)
	v_lshlrev_b32_e32 v2, 16, v13
	s_waitcnt lgkmcnt(1)
	v_fmac_f32_e32 v4, v9, v2
	s_waitcnt vmcnt(9)
	v_lshlrev_b32_e32 v2, 16, v14
	s_delay_alu instid0(VALU_DEP_1) | instskip(SKIP_2) | instid1(VALU_DEP_1)
	v_fmac_f32_e32 v4, v10, v2
	s_waitcnt vmcnt(8)
	v_lshlrev_b32_e32 v2, 16, v34
	v_fmac_f32_e32 v4, v11, v2
	;; [unrolled: 15-line block ×3, first 2 shown]
	s_waitcnt vmcnt(4)
	v_lshlrev_b32_e32 v2, 16, v39
	s_delay_alu instid0(VALU_DEP_1) | instskip(SKIP_3) | instid1(VALU_DEP_1)
	v_fmac_f32_e32 v4, v8, v2
	s_waitcnt vmcnt(3)
	v_lshlrev_b32_e32 v2, 16, v40
	s_waitcnt lgkmcnt(0)
	v_fmac_f32_e32 v4, v9, v2
	s_waitcnt vmcnt(2)
	v_lshlrev_b32_e32 v2, 16, v41
	s_delay_alu instid0(VALU_DEP_1) | instskip(SKIP_2) | instid1(VALU_DEP_1)
	v_fmac_f32_e32 v4, v10, v2
	s_waitcnt vmcnt(1)
	v_lshlrev_b32_e32 v2, 16, v42
	v_fmac_f32_e32 v4, v11, v2
	s_waitcnt vmcnt(0)
	v_lshlrev_b32_e32 v2, 16, v43
	s_delay_alu instid0(VALU_DEP_1)
	v_fmac_f32_e32 v4, v12, v2
	s_branch .LBB663_14
.LBB663_17:
	v_mov_b32_e32 v1, 0
	s_and_b32 vcc_lo, exec_lo, s15
	ds_load_b32 v1, v1 offset:1280
	s_cbranch_vccz .LBB663_19
; %bb.18:
	s_add_u32 s2, s12, s16
	s_addc_u32 s3, s13, s17
	s_load_b32 s2, s[2:3], 0x0
	s_mov_b32 s3, 0
.LBB663_19:
	s_waitcnt lgkmcnt(0)
	v_add_f32_e32 v1, 0x358637bd, v1
	s_delay_alu instid0(VALU_DEP_1) | instskip(NEXT) | instid1(VALU_DEP_1)
	v_div_scale_f32 v2, null, v1, v1, 1.0
	v_rcp_f32_e32 v3, v2
	s_waitcnt_depctr 0xfff
	v_fma_f32 v5, -v2, v3, 1.0
	s_delay_alu instid0(VALU_DEP_1) | instskip(SKIP_1) | instid1(VALU_DEP_1)
	v_fmac_f32_e32 v3, v5, v3
	v_div_scale_f32 v5, vcc_lo, 1.0, v1, 1.0
	v_mul_f32_e32 v6, v5, v3
	s_delay_alu instid0(VALU_DEP_1) | instskip(NEXT) | instid1(VALU_DEP_1)
	v_fma_f32 v7, -v2, v6, v5
	v_fmac_f32_e32 v6, v7, v3
	s_delay_alu instid0(VALU_DEP_1) | instskip(NEXT) | instid1(VALU_DEP_1)
	v_fma_f32 v2, -v2, v6, v5
	v_div_fmas_f32 v2, v2, v3, v6
	s_delay_alu instid0(VALU_DEP_1) | instskip(NEXT) | instid1(VALU_DEP_1)
	v_div_fixup_f32 v1, v2, v1, 1.0
	v_mul_f32_e32 v2, v4, v1
	s_delay_alu instid0(VALU_DEP_1) | instskip(NEXT) | instid1(VALU_DEP_1)
	v_and_b32_e32 v1, 0x7f800000, v2
	v_cmp_ne_u32_e32 vcc_lo, 0x7f800000, v1
                                        ; implicit-def: $vgpr1
	s_and_saveexec_b32 s4, vcc_lo
	s_delay_alu instid0(SALU_CYCLE_1)
	s_xor_b32 s4, exec_lo, s4
; %bb.20:
	v_bfe_u32 v1, v2, 16, 1
	s_delay_alu instid0(VALU_DEP_1)
	v_add3_u32 v1, v2, v1, 0x7fff
                                        ; implicit-def: $vgpr2
; %bb.21:
	s_and_not1_saveexec_b32 s4, s4
; %bb.22:
	v_and_b32_e32 v1, 0xffff, v2
	v_or_b32_e32 v3, 0x10000, v2
	s_delay_alu instid0(VALU_DEP_2) | instskip(NEXT) | instid1(VALU_DEP_2)
	v_cmp_eq_u32_e32 vcc_lo, 0, v1
	v_cndmask_b32_e32 v1, v3, v2, vcc_lo
; %bb.23:
	s_or_b32 exec_lo, exec_lo, s4
	s_mul_i32 s3, s33, s3
	s_mul_hi_u32 s4, s33, s2
	s_mul_i32 s2, s33, s2
	s_add_i32 s3, s4, s3
	s_mov_b32 s15, 0
	s_lshl_b64 s[2:3], s[2:3], 8
	s_delay_alu instid0(SALU_CYCLE_1) | instskip(SKIP_2) | instid1(SALU_CYCLE_1)
	s_add_u32 s2, s0, s2
	s_addc_u32 s3, s1, s3
	s_lshl_b64 s[0:1], s[14:15], 8
	s_add_u32 s0, s2, s0
	s_addc_u32 s1, s3, s1
	global_store_d16_hi_b16 v0, v1, s[0:1]
	s_nop 0
	s_sendmsg sendmsg(MSG_DEALLOC_VGPRS)
	s_endpgm
.LBB663_24:
	s_mov_b32 s4, 0
	s_branch .LBB663_2
	.section	.rodata,"a",@progbits
	.p2align	6, 0x0
	.amdhsa_kernel _Z35paged_attention_ll4mi_reduce_kernelI14__hip_bfloat16S0_Li128ELi128ELi256ELi10EEvPT0_PKfS4_PKT_PKiS9_iS4_
		.amdhsa_group_segment_fixed_size 1284
		.amdhsa_private_segment_fixed_size 0
		.amdhsa_kernarg_size 320
		.amdhsa_user_sgpr_count 14
		.amdhsa_user_sgpr_dispatch_ptr 0
		.amdhsa_user_sgpr_queue_ptr 0
		.amdhsa_user_sgpr_kernarg_segment_ptr 1
		.amdhsa_user_sgpr_dispatch_id 0
		.amdhsa_user_sgpr_private_segment_size 0
		.amdhsa_wavefront_size32 1
		.amdhsa_uses_dynamic_stack 0
		.amdhsa_enable_private_segment 0
		.amdhsa_system_sgpr_workgroup_id_x 1
		.amdhsa_system_sgpr_workgroup_id_y 1
		.amdhsa_system_sgpr_workgroup_id_z 0
		.amdhsa_system_sgpr_workgroup_info 0
		.amdhsa_system_vgpr_workitem_id 0
		.amdhsa_next_free_vgpr 57
		.amdhsa_next_free_sgpr 49
		.amdhsa_reserve_vcc 1
		.amdhsa_float_round_mode_32 0
		.amdhsa_float_round_mode_16_64 0
		.amdhsa_float_denorm_mode_32 3
		.amdhsa_float_denorm_mode_16_64 3
		.amdhsa_dx10_clamp 1
		.amdhsa_ieee_mode 1
		.amdhsa_fp16_overflow 0
		.amdhsa_workgroup_processor_mode 1
		.amdhsa_memory_ordered 1
		.amdhsa_forward_progress 0
		.amdhsa_shared_vgpr_count 0
		.amdhsa_exception_fp_ieee_invalid_op 0
		.amdhsa_exception_fp_denorm_src 0
		.amdhsa_exception_fp_ieee_div_zero 0
		.amdhsa_exception_fp_ieee_overflow 0
		.amdhsa_exception_fp_ieee_underflow 0
		.amdhsa_exception_fp_ieee_inexact 0
		.amdhsa_exception_int_div_zero 0
	.end_amdhsa_kernel
	.section	.text._Z35paged_attention_ll4mi_reduce_kernelI14__hip_bfloat16S0_Li128ELi128ELi256ELi10EEvPT0_PKfS4_PKT_PKiS9_iS4_,"axG",@progbits,_Z35paged_attention_ll4mi_reduce_kernelI14__hip_bfloat16S0_Li128ELi128ELi256ELi10EEvPT0_PKfS4_PKT_PKiS9_iS4_,comdat
.Lfunc_end663:
	.size	_Z35paged_attention_ll4mi_reduce_kernelI14__hip_bfloat16S0_Li128ELi128ELi256ELi10EEvPT0_PKfS4_PKT_PKiS9_iS4_, .Lfunc_end663-_Z35paged_attention_ll4mi_reduce_kernelI14__hip_bfloat16S0_Li128ELi128ELi256ELi10EEvPT0_PKfS4_PKT_PKiS9_iS4_
                                        ; -- End function
	.section	.AMDGPU.csdata,"",@progbits
; Kernel info:
; codeLenInByte = 7064
; NumSgprs: 51
; NumVgprs: 57
; ScratchSize: 0
; MemoryBound: 0
; FloatMode: 240
; IeeeMode: 1
; LDSByteSize: 1284 bytes/workgroup (compile time only)
; SGPRBlocks: 6
; VGPRBlocks: 7
; NumSGPRsForWavesPerEU: 51
; NumVGPRsForWavesPerEU: 57
; Occupancy: 16
; WaveLimiterHint : 0
; COMPUTE_PGM_RSRC2:SCRATCH_EN: 0
; COMPUTE_PGM_RSRC2:USER_SGPR: 14
; COMPUTE_PGM_RSRC2:TRAP_HANDLER: 0
; COMPUTE_PGM_RSRC2:TGID_X_EN: 1
; COMPUTE_PGM_RSRC2:TGID_Y_EN: 1
; COMPUTE_PGM_RSRC2:TGID_Z_EN: 0
; COMPUTE_PGM_RSRC2:TIDIG_COMP_CNT: 0
	.section	.text._Z35paged_attention_ll4mi_reduce_kernelI14__hip_bfloat16S0_Li128ELi128ELi256ELi11EEvPT0_PKfS4_PKT_PKiS9_iS4_,"axG",@progbits,_Z35paged_attention_ll4mi_reduce_kernelI14__hip_bfloat16S0_Li128ELi128ELi256ELi11EEvPT0_PKfS4_PKT_PKiS9_iS4_,comdat
	.protected	_Z35paged_attention_ll4mi_reduce_kernelI14__hip_bfloat16S0_Li128ELi128ELi256ELi11EEvPT0_PKfS4_PKT_PKiS9_iS4_ ; -- Begin function _Z35paged_attention_ll4mi_reduce_kernelI14__hip_bfloat16S0_Li128ELi128ELi256ELi11EEvPT0_PKfS4_PKT_PKiS9_iS4_
	.globl	_Z35paged_attention_ll4mi_reduce_kernelI14__hip_bfloat16S0_Li128ELi128ELi256ELi11EEvPT0_PKfS4_PKT_PKiS9_iS4_
	.p2align	8
	.type	_Z35paged_attention_ll4mi_reduce_kernelI14__hip_bfloat16S0_Li128ELi128ELi256ELi11EEvPT0_PKfS4_PKT_PKiS9_iS4_,@function
_Z35paged_attention_ll4mi_reduce_kernelI14__hip_bfloat16S0_Li128ELi128ELi256ELi11EEvPT0_PKfS4_PKT_PKiS9_iS4_: ; @_Z35paged_attention_ll4mi_reduce_kernelI14__hip_bfloat16S0_Li128ELi128ELi256ELi11EEvPT0_PKfS4_PKT_PKiS9_iS4_
; %bb.0:
	s_load_b64 s[12:13], s[0:1], 0x28
	s_mov_b32 s2, s15
	s_waitcnt lgkmcnt(0)
	s_cmp_lg_u64 s[12:13], 0
	s_cselect_b32 s15, -1, 0
	s_delay_alu instid0(SALU_CYCLE_1)
	s_and_b32 vcc_lo, exec_lo, s15
	s_cbranch_vccz .LBB664_24
; %bb.1:
	s_add_i32 s4, s2, 1
	s_mov_b32 s5, 0
	s_delay_alu instid0(SALU_CYCLE_1) | instskip(SKIP_4) | instid1(SALU_CYCLE_1)
	s_lshl_b64 s[6:7], s[4:5], 2
	s_mov_b32 s3, s5
	s_add_u32 s6, s12, s6
	s_addc_u32 s7, s13, s7
	s_lshl_b64 s[8:9], s[2:3], 2
	s_add_u32 s8, s12, s8
	s_addc_u32 s9, s13, s9
	s_clause 0x1
	s_load_b32 s4, s[6:7], 0x0
	s_load_b32 s6, s[8:9], 0x0
	s_waitcnt lgkmcnt(0)
	s_sub_i32 s4, s4, s6
	s_delay_alu instid0(SALU_CYCLE_1)
	s_cmp_eq_u32 s4, 1
	s_cselect_b32 s4, -1, 0
	s_cbranch_execnz .LBB664_3
.LBB664_2:
	s_mov_b32 s3, 0
	s_mov_b32 s4, -1
.LBB664_3:
	s_delay_alu instid0(SALU_CYCLE_1)
	s_and_not1_b32 vcc_lo, exec_lo, s4
	s_cbranch_vccz .LBB664_5
; %bb.4:
	s_endpgm
.LBB664_5:
	s_clause 0x1
	s_load_b128 s[4:7], s[0:1], 0x18
	s_load_b32 s9, s[0:1], 0x30
	s_lshl_b64 s[16:17], s[2:3], 2
	s_waitcnt lgkmcnt(0)
	s_add_u32 s6, s6, s16
	s_addc_u32 s7, s7, s17
	s_load_b32 s23, s[6:7], 0x0
	s_load_b32 s33, s[0:1], 0x40
	s_mul_i32 s7, s2, s9
	s_waitcnt lgkmcnt(0)
	s_add_i32 s22, s23, 0xff
	s_delay_alu instid0(SALU_CYCLE_1) | instskip(NEXT) | instid1(SALU_CYCLE_1)
	s_ashr_i32 s6, s22, 31
	s_lshr_b32 s6, s6, 24
	s_delay_alu instid0(SALU_CYCLE_1) | instskip(SKIP_4) | instid1(SALU_CYCLE_1)
	s_add_i32 s8, s22, s6
	s_mul_i32 s6, s14, s9
	s_mov_b32 s9, exec_lo
	v_cmpx_lt_u32_e32 31, v0
	s_xor_b32 s9, exec_lo, s9
	s_or_saveexec_b32 s24, s9
	v_mov_b32_e32 v1, s6
	s_ashr_i32 s40, s8, 8
	s_mul_i32 s18, s7, s33
	s_xor_b32 exec_lo, exec_lo, s24
	s_cbranch_execz .LBB664_9
; %bb.6:
	v_or_b32_e32 v2, 32, v0
	v_cmp_gt_i32_e32 vcc_lo, s40, v0
	s_add_i32 s20, s40, -1
	v_or_b32_e32 v4, 64, v0
	v_or_b32_e32 v6, 0xa0, v0
	s_load_b128 s[8:11], s[0:1], 0x8
	v_cndmask_b32_e32 v1, s20, v0, vcc_lo
	v_cmp_gt_i32_e32 vcc_lo, s40, v2
	s_mov_b32 s19, 0
	s_delay_alu instid0(SALU_CYCLE_1)
	s_mov_b32 s7, s19
	v_cndmask_b32_e32 v3, s20, v2, vcc_lo
	v_or_b32_e32 v2, 0x60, v0
	v_cmp_gt_i32_e32 vcc_lo, s40, v4
	v_cndmask_b32_e32 v5, s20, v4, vcc_lo
	v_or_b32_e32 v4, 0x80, v0
	s_delay_alu instid0(VALU_DEP_4) | instskip(SKIP_1) | instid1(VALU_DEP_3)
	v_cmp_gt_i32_e32 vcc_lo, s40, v2
	v_cndmask_b32_e32 v7, s20, v2, vcc_lo
	v_cmp_gt_i32_e32 vcc_lo, s40, v4
	v_or_b32_e32 v2, 0xc0, v0
	s_delay_alu instid0(VALU_DEP_3) | instskip(SKIP_3) | instid1(VALU_DEP_4)
	v_ashrrev_i32_e32 v8, 31, v7
	v_cndmask_b32_e32 v9, s20, v4, vcc_lo
	v_cmp_gt_i32_e32 vcc_lo, s40, v6
	v_or_b32_e32 v4, 0xe0, v0
	v_lshlrev_b64 v[7:8], 2, v[7:8]
	s_delay_alu instid0(VALU_DEP_4) | instskip(SKIP_3) | instid1(VALU_DEP_4)
	v_ashrrev_i32_e32 v10, 31, v9
	v_cndmask_b32_e32 v11, s20, v6, vcc_lo
	v_cmp_gt_i32_e32 vcc_lo, s40, v2
	v_or_b32_e32 v6, 0x120, v0
	v_lshlrev_b64 v[9:10], 2, v[9:10]
	s_delay_alu instid0(VALU_DEP_4) | instskip(SKIP_3) | instid1(VALU_DEP_4)
	v_ashrrev_i32_e32 v12, 31, v11
	v_cndmask_b32_e32 v13, s20, v2, vcc_lo
	v_or_b32_e32 v2, 0x100, v0
	v_cmp_gt_i32_e32 vcc_lo, s40, v4
	v_lshlrev_b64 v[11:12], 2, v[11:12]
	s_delay_alu instid0(VALU_DEP_4) | instskip(SKIP_3) | instid1(VALU_DEP_4)
	v_ashrrev_i32_e32 v14, 31, v13
	v_cndmask_b32_e32 v15, s20, v4, vcc_lo
	v_cmp_gt_i32_e32 vcc_lo, s40, v2
	v_or_b32_e32 v4, 0x140, v0
	v_lshlrev_b64 v[13:14], 2, v[13:14]
	s_delay_alu instid0(VALU_DEP_4) | instskip(SKIP_3) | instid1(VALU_DEP_4)
	v_ashrrev_i32_e32 v16, 31, v15
	v_cndmask_b32_e32 v17, s20, v2, vcc_lo
	v_cmp_gt_i32_e32 vcc_lo, s40, v6
	v_ashrrev_i32_e32 v2, 31, v1
	v_lshlrev_b64 v[15:16], 2, v[15:16]
	s_delay_alu instid0(VALU_DEP_4)
	v_ashrrev_i32_e32 v18, 31, v17
	v_cndmask_b32_e32 v19, s20, v6, vcc_lo
	v_cmp_gt_i32_e32 vcc_lo, s40, v4
	v_lshlrev_b64 v[1:2], 2, v[1:2]
	v_ashrrev_i32_e32 v6, 31, v5
	v_lshlrev_b64 v[17:18], 2, v[17:18]
	v_ashrrev_i32_e32 v20, 31, v19
	v_cndmask_b32_e32 v21, s20, v4, vcc_lo
	v_ashrrev_i32_e32 v4, 31, v3
	s_lshl_b64 s[20:21], s[18:19], 2
	v_lshlrev_b64 v[5:6], 2, v[5:6]
	s_waitcnt lgkmcnt(0)
	s_add_u32 s19, s10, s20
	s_addc_u32 s25, s11, s21
	s_lshl_b64 s[10:11], s[6:7], 2
	v_lshlrev_b64 v[3:4], 2, v[3:4]
	s_add_u32 s7, s19, s10
	s_addc_u32 s19, s25, s11
	v_add_co_u32 v22, vcc_lo, s7, v1
	v_add_co_ci_u32_e32 v23, vcc_lo, s19, v2, vcc_lo
	s_delay_alu instid0(VALU_DEP_3)
	v_add_co_u32 v24, vcc_lo, s7, v3
	v_add_co_ci_u32_e32 v25, vcc_lo, s19, v4, vcc_lo
	v_add_co_u32 v26, vcc_lo, s7, v5
	v_add_co_ci_u32_e32 v27, vcc_lo, s19, v6, vcc_lo
	;; [unrolled: 2-line block ×5, first 2 shown]
	v_add_co_u32 v34, vcc_lo, s7, v13
	s_clause 0x2
	global_load_b32 v38, v[22:23], off
	global_load_b32 v39, v[24:25], off
	;; [unrolled: 1-line block ×3, first 2 shown]
	v_ashrrev_i32_e32 v22, 31, v21
	v_add_co_ci_u32_e32 v35, vcc_lo, s19, v14, vcc_lo
	v_add_co_u32 v36, vcc_lo, s7, v15
	v_lshlrev_b64 v[19:20], 2, v[19:20]
	v_add_co_ci_u32_e32 v37, vcc_lo, s19, v16, vcc_lo
	v_add_co_u32 v23, vcc_lo, s7, v17
	v_lshlrev_b64 v[21:22], 2, v[21:22]
	s_clause 0x4
	global_load_b32 v29, v[28:29], off
	global_load_b32 v30, v[30:31], off
	;; [unrolled: 1-line block ×5, first 2 shown]
	v_add_co_ci_u32_e32 v24, vcc_lo, s19, v18, vcc_lo
	v_add_co_u32 v25, vcc_lo, s7, v19
	v_add_co_ci_u32_e32 v26, vcc_lo, s19, v20, vcc_lo
	v_add_co_u32 v27, vcc_lo, s7, v21
	v_add_co_ci_u32_e32 v28, vcc_lo, s19, v22, vcc_lo
	s_clause 0x2
	global_load_b32 v23, v[23:24], off
	global_load_b32 v24, v[25:26], off
	;; [unrolled: 1-line block ×3, first 2 shown]
	s_add_u32 s7, s8, s20
	s_addc_u32 s8, s9, s21
	s_add_u32 s7, s7, s10
	s_addc_u32 s8, s8, s11
	v_add_co_u32 v1, vcc_lo, s7, v1
	v_add_co_ci_u32_e32 v2, vcc_lo, s8, v2, vcc_lo
	v_add_co_u32 v3, vcc_lo, s7, v3
	v_add_co_ci_u32_e32 v4, vcc_lo, s8, v4, vcc_lo
	;; [unrolled: 2-line block ×8, first 2 shown]
	s_clause 0x7
	global_load_b32 v34, v[1:2], off
	global_load_b32 v3, v[3:4], off
	;; [unrolled: 1-line block ×8, first 2 shown]
	v_mbcnt_lo_u32_b32 v26, -1, 0
	s_delay_alu instid0(VALU_DEP_1) | instskip(SKIP_2) | instid1(VALU_DEP_3)
	v_xor_b32_e32 v27, 16, v26
	v_xor_b32_e32 v14, 8, v26
	;; [unrolled: 1-line block ×3, first 2 shown]
	v_cmp_gt_i32_e32 vcc_lo, 32, v27
	v_cndmask_b32_e32 v1, v26, v27, vcc_lo
	s_delay_alu instid0(VALU_DEP_1)
	v_lshlrev_b32_e32 v10, 2, v1
	v_add_co_u32 v1, vcc_lo, s7, v17
	v_xor_b32_e32 v17, 1, v26
	s_waitcnt vmcnt(16)
	v_max3_f32 v28, v38, v39, v40
	s_waitcnt vmcnt(14)
	s_delay_alu instid0(VALU_DEP_1) | instskip(SKIP_1) | instid1(VALU_DEP_1)
	v_max3_f32 v28, v28, v29, v30
	s_waitcnt vmcnt(12)
	v_max3_f32 v28, v28, v31, v32
	s_waitcnt vmcnt(10)
	s_delay_alu instid0(VALU_DEP_1) | instskip(SKIP_1) | instid1(VALU_DEP_1)
	v_max3_f32 v2, v28, v33, v23
	s_waitcnt vmcnt(8)
	v_max3_f32 v11, v2, v24, v25
	v_add_co_ci_u32_e32 v2, vcc_lo, s8, v18, vcc_lo
	ds_bpermute_b32 v12, v10, v11
	global_load_b32 v13, v[1:2], off
	v_add_co_u32 v1, vcc_lo, s7, v19
	v_add_co_ci_u32_e32 v2, vcc_lo, s8, v20, vcc_lo
	v_cmp_gt_i32_e32 vcc_lo, 32, v14
	global_load_b32 v15, v[1:2], off
	s_waitcnt lgkmcnt(0)
	v_max_f32_e32 v12, v12, v12
	v_cndmask_b32_e32 v14, v26, v14, vcc_lo
	v_add_co_u32 v1, vcc_lo, s7, v21
	v_add_co_ci_u32_e32 v2, vcc_lo, s8, v22, vcc_lo
	s_delay_alu instid0(VALU_DEP_3)
	v_dual_max_f32 v11, v11, v12 :: v_dual_lshlrev_b32 v14, 2, v14
	v_xor_b32_e32 v12, 4, v26
	global_load_b32 v1, v[1:2], off
	s_mov_b32 s7, exec_lo
	ds_bpermute_b32 v2, v14, v11
	v_cmp_gt_i32_e32 vcc_lo, 32, v12
	v_cndmask_b32_e32 v12, v26, v12, vcc_lo
	v_cmp_gt_i32_e32 vcc_lo, 32, v16
	s_delay_alu instid0(VALU_DEP_2) | instskip(SKIP_2) | instid1(VALU_DEP_2)
	v_lshlrev_b32_e32 v12, 2, v12
	v_cndmask_b32_e32 v16, v26, v16, vcc_lo
	v_cmp_gt_i32_e32 vcc_lo, 32, v17
	v_dual_cndmask_b32 v17, v26, v17 :: v_dual_lshlrev_b32 v16, 2, v16
	s_waitcnt lgkmcnt(0)
	s_delay_alu instid0(VALU_DEP_1) | instskip(NEXT) | instid1(VALU_DEP_1)
	v_dual_max_f32 v2, v2, v2 :: v_dual_lshlrev_b32 v17, 2, v17
	v_max_f32_e32 v2, v11, v2
	ds_bpermute_b32 v11, v12, v2
	s_waitcnt lgkmcnt(0)
	v_max_f32_e32 v11, v11, v11
	s_delay_alu instid0(VALU_DEP_1) | instskip(SKIP_3) | instid1(VALU_DEP_1)
	v_max_f32_e32 v2, v2, v11
	ds_bpermute_b32 v11, v16, v2
	s_waitcnt lgkmcnt(0)
	v_max_f32_e32 v11, v11, v11
	v_max_f32_e32 v2, v2, v11
	ds_bpermute_b32 v11, v17, v2
	s_waitcnt lgkmcnt(0)
	v_max_f32_e32 v11, v11, v11
	s_delay_alu instid0(VALU_DEP_1) | instskip(SKIP_1) | instid1(VALU_DEP_2)
	v_max_f32_e32 v2, v2, v11
	v_sub_nc_u32_e32 v11, s40, v0
	v_sub_f32_e32 v28, v33, v2
	v_sub_f32_e32 v20, v40, v2
	;; [unrolled: 1-line block ×4, first 2 shown]
	s_delay_alu instid0(VALU_DEP_4)
	v_dual_sub_f32 v21, v29, v2 :: v_dual_mul_f32 v36, 0x3fb8aa3b, v28
	v_sub_f32_e32 v22, v30, v2
	v_mul_f32_e32 v30, 0x3fb8aa3b, v20
	v_dual_sub_f32 v24, v24, v2 :: v_dual_mul_f32 v29, 0x3fb8aa3b, v19
	v_sub_f32_e32 v26, v31, v2
	v_sub_f32_e32 v27, v32, v2
	s_delay_alu instid0(VALU_DEP_4) | instskip(NEXT) | instid1(VALU_DEP_4)
	v_fma_f32 v44, 0x3fb8aa3b, v20, -v30
	v_mul_f32_e32 v38, 0x3fb8aa3b, v24
	v_fma_f32 v42, 0x3fb8aa3b, v19, -v29
	v_sub_f32_e32 v23, v23, v2
	v_dual_sub_f32 v2, v25, v2 :: v_dual_mul_f32 v31, 0x3fb8aa3b, v21
	v_rndne_f32_e32 v43, v29
	v_rndne_f32_e32 v45, v30
	v_mul_f32_e32 v25, 0x3fb8aa3b, v18
	v_fmac_f32_e32 v42, 0x32a5705f, v19
	s_delay_alu instid0(VALU_DEP_4) | instskip(NEXT) | instid1(VALU_DEP_4)
	v_dual_fmac_f32 v44, 0x32a5705f, v20 :: v_dual_sub_f32 v29, v29, v43
	v_dual_sub_f32 v30, v30, v45 :: v_dual_mul_f32 v37, 0x3fb8aa3b, v23
	s_delay_alu instid0(VALU_DEP_4) | instskip(SKIP_2) | instid1(VALU_DEP_4)
	v_fma_f32 v40, 0x3fb8aa3b, v18, -v25
	v_rndne_f32_e32 v41, v25
	v_dual_mul_f32 v32, 0x3fb8aa3b, v22 :: v_dual_mul_f32 v35, 0x3fb8aa3b, v27
	v_add_f32_e32 v30, v30, v44
	v_fma_f32 v56, 0x3fb8aa3b, v23, -v37
	s_delay_alu instid0(VALU_DEP_4) | instskip(NEXT) | instid1(VALU_DEP_4)
	v_dual_fmac_f32 v40, 0x32a5705f, v18 :: v_dual_sub_f32 v25, v25, v41
	v_fma_f32 v48, 0x3fb8aa3b, v22, -v32
	v_rndne_f32_e32 v49, v32
	v_mul_f32_e32 v33, 0x3fb8aa3b, v26
	v_fma_f32 v54, 0x3fb8aa3b, v28, -v36
	v_dual_fmac_f32 v56, 0x32a5705f, v23 :: v_dual_add_f32 v25, v25, v40
	v_fma_f32 v46, 0x3fb8aa3b, v21, -v31
	v_rndne_f32_e32 v47, v31
	v_rndne_f32_e32 v53, v35
	v_sub_f32_e32 v32, v32, v49
	v_fma_f32 v50, 0x3fb8aa3b, v26, -v33
	v_rndne_f32_e32 v51, v33
	v_fmac_f32_e32 v48, 0x32a5705f, v22
	v_dual_fmac_f32 v54, 0x32a5705f, v28 :: v_dual_add_f32 v29, v29, v42
	v_exp_f32_e32 v25, v25
	v_fma_f32 v52, 0x3fb8aa3b, v27, -v35
	v_rndne_f32_e32 v55, v36
	v_fma_f32 v58, 0x3fb8aa3b, v24, -v38
	v_cvt_i32_f32_e32 v41, v41
	v_dual_fmac_f32 v46, 0x32a5705f, v21 :: v_dual_sub_f32 v31, v31, v47
	v_dual_fmac_f32 v50, 0x32a5705f, v26 :: v_dual_sub_f32 v35, v35, v53
	v_dual_sub_f32 v33, v33, v51 :: v_dual_add_f32 v32, v32, v48
	v_exp_f32_e32 v29, v29
	v_exp_f32_e32 v30, v30
	v_dual_mul_f32 v39, 0x3fb8aa3b, v2 :: v_dual_sub_f32 v36, v36, v55
	v_rndne_f32_e32 v57, v37
	v_cvt_i32_f32_e32 v43, v43
	v_cvt_i32_f32_e32 v45, v45
	v_fmac_f32_e32 v52, 0x32a5705f, v27
	v_dual_fmac_f32 v58, 0x32a5705f, v24 :: v_dual_add_f32 v31, v31, v46
	v_add_f32_e32 v33, v33, v50
	v_exp_f32_e32 v32, v32
	v_ldexp_f32 v25, v25, v41
	v_cmp_ngt_f32_e32 vcc_lo, 0xc2ce8ed0, v18
	v_cvt_i32_f32_e32 v49, v49
	v_sub_f32_e32 v37, v37, v57
	v_dual_add_f32 v35, v35, v52 :: v_dual_add_f32 v36, v36, v54
	v_exp_f32_e32 v31, v31
	v_ldexp_f32 v29, v29, v43
	v_ldexp_f32 v30, v30, v45
	v_cndmask_b32_e32 v25, 0, v25, vcc_lo
	v_cmp_ngt_f32_e32 vcc_lo, 0xc2ce8ed0, v19
	v_cvt_i32_f32_e32 v47, v47
	v_exp_f32_e32 v36, v36
	v_ldexp_f32 v32, v32, v49
	v_cvt_i32_f32_e32 v55, v55
	v_cndmask_b32_e32 v29, 0, v29, vcc_lo
	v_cmp_ngt_f32_e32 vcc_lo, 0xc2ce8ed0, v20
	v_exp_f32_e32 v33, v33
	v_ldexp_f32 v31, v31, v47
	v_cvt_i32_f32_e32 v51, v51
	v_exp_f32_e32 v35, v35
	v_cndmask_b32_e32 v30, 0, v30, vcc_lo
	v_cmp_ngt_f32_e32 vcc_lo, 0xc2ce8ed0, v21
	v_ldexp_f32 v36, v36, v55
	v_cvt_i32_f32_e32 v53, v53
	v_rndne_f32_e32 v59, v38
	v_add_f32_e32 v37, v37, v56
	v_cndmask_b32_e32 v31, 0, v31, vcc_lo
	v_cmp_ngt_f32_e32 vcc_lo, 0xc2ce8ed0, v22
	v_ldexp_f32 v33, v33, v51
	v_ldexp_f32 v35, v35, v53
	v_sub_f32_e32 v38, v38, v59
	v_fma_f32 v60, 0x3fb8aa3b, v2, -v39
	v_cndmask_b32_e32 v32, 0, v32, vcc_lo
	v_cmp_ngt_f32_e32 vcc_lo, 0xc2ce8ed0, v26
	v_exp_f32_e32 v37, v37
	v_rndne_f32_e32 v61, v39
	v_cvt_i32_f32_e32 v57, v57
	v_dual_fmac_f32 v60, 0x32a5705f, v2 :: v_dual_cndmask_b32 v33, 0, v33
	v_cmp_ngt_f32_e32 vcc_lo, 0xc2ce8ed0, v27
	v_cndmask_b32_e32 v35, 0, v35, vcc_lo
	v_cmp_ngt_f32_e32 vcc_lo, 0xc2ce8ed0, v28
	v_cndmask_b32_e32 v36, 0, v36, vcc_lo
	v_cmp_nlt_f32_e32 vcc_lo, 0x42b17218, v18
	v_cndmask_b32_e32 v18, 0x7f800000, v25, vcc_lo
	v_cmp_nlt_f32_e32 vcc_lo, 0x42b17218, v19
	;; [unrolled: 2-line block ×8, first 2 shown]
	v_cndmask_b32_e32 v27, 0x7f800000, v36, vcc_lo
	v_cmp_lt_i32_e32 vcc_lo, 0, v11
	v_cndmask_b32_e32 v18, 0, v18, vcc_lo
	v_cmp_lt_i32_e32 vcc_lo, 32, v11
	s_waitcnt vmcnt(10)
	s_delay_alu instid0(VALU_DEP_2) | instskip(SKIP_4) | instid1(VALU_DEP_2)
	v_dual_mul_f32 v18, v34, v18 :: v_dual_cndmask_b32 v19, 0, v19
	v_cmp_lt_i32_e32 vcc_lo, 64, v11
	v_cndmask_b32_e32 v20, 0, v20, vcc_lo
	v_cmp_lt_i32_e32 vcc_lo, 0x60, v11
	s_waitcnt vmcnt(8)
	v_dual_mul_f32 v4, v4, v20 :: v_dual_cndmask_b32 v21, 0, v21
	v_cmp_lt_i32_e32 vcc_lo, 0x80, v11
	v_ldexp_f32 v20, v37, v57
	v_cndmask_b32_e32 v22, 0, v22, vcc_lo
	v_cmp_lt_i32_e32 vcc_lo, 0xa0, v11
	v_mul_f32_e32 v3, v3, v19
	v_add_f32_e32 v19, v38, v58
	s_waitcnt vmcnt(6)
	v_dual_mul_f32 v6, v6, v22 :: v_dual_cndmask_b32 v25, 0, v25
	v_cmp_lt_i32_e32 vcc_lo, 0xc0, v11
	v_add_f32_e32 v22, v18, v3
	v_exp_f32_e32 v19, v19
	s_waitcnt vmcnt(5)
	v_dual_mul_f32 v7, v7, v25 :: v_dual_cndmask_b32 v26, 0, v26
	v_cmp_lt_i32_e32 vcc_lo, 0xe0, v11
	v_mul_f32_e32 v5, v5, v21
	v_dual_sub_f32 v21, v39, v61 :: v_dual_add_f32 v22, v22, v4
	s_waitcnt vmcnt(4)
	v_dual_mul_f32 v8, v8, v26 :: v_dual_cndmask_b32 v27, 0, v27
	v_cmp_ngt_f32_e32 vcc_lo, 0xc2ce8ed0, v23
	s_delay_alu instid0(VALU_DEP_3)
	v_dual_add_f32 v21, v21, v60 :: v_dual_add_f32 v22, v22, v5
	v_cvt_i32_f32_e32 v25, v59
	s_waitcnt vmcnt(3)
	v_dual_cndmask_b32 v20, 0, v20 :: v_dual_mul_f32 v9, v9, v27
	v_cmp_nlt_f32_e32 vcc_lo, 0x42b17218, v23
	v_exp_f32_e32 v21, v21
	v_add_f32_e32 v22, v22, v6
	v_ldexp_f32 v19, v19, v25
	v_cvt_i32_f32_e32 v23, v61
	v_cndmask_b32_e32 v20, 0x7f800000, v20, vcc_lo
	v_cmp_lt_i32_e32 vcc_lo, 0x100, v11
	s_delay_alu instid0(VALU_DEP_2) | instskip(SKIP_3) | instid1(VALU_DEP_3)
	v_cndmask_b32_e32 v20, 0, v20, vcc_lo
	v_cmp_ngt_f32_e32 vcc_lo, 0xc2ce8ed0, v24
	v_cndmask_b32_e32 v19, 0, v19, vcc_lo
	s_waitcnt vmcnt(2)
	v_mul_f32_e32 v13, v13, v20
	v_ldexp_f32 v20, v21, v23
	v_add_f32_e32 v21, v22, v7
	v_cmp_nlt_f32_e32 vcc_lo, 0x42b17218, v24
	s_delay_alu instid0(VALU_DEP_2) | instskip(SKIP_4) | instid1(VALU_DEP_4)
	v_add_f32_e32 v21, v21, v8
	v_cndmask_b32_e32 v19, 0x7f800000, v19, vcc_lo
	v_cmp_ngt_f32_e32 vcc_lo, 0xc2ce8ed0, v2
	v_cndmask_b32_e32 v20, 0, v20, vcc_lo
	v_cmp_lt_i32_e32 vcc_lo, 0x120, v11
	v_cndmask_b32_e32 v19, 0, v19, vcc_lo
	v_cmp_nlt_f32_e32 vcc_lo, 0x42b17218, v2
	s_waitcnt vmcnt(1)
	s_delay_alu instid0(VALU_DEP_2) | instskip(SKIP_1) | instid1(VALU_DEP_2)
	v_dual_mul_f32 v15, v15, v19 :: v_dual_cndmask_b32 v2, 0x7f800000, v20
	v_cmp_lt_i32_e32 vcc_lo, 0x140, v11
	v_cndmask_b32_e32 v2, 0, v2, vcc_lo
	v_add_f32_e32 v20, v21, v9
	s_waitcnt vmcnt(0)
	s_delay_alu instid0(VALU_DEP_2) | instskip(NEXT) | instid1(VALU_DEP_2)
	v_mul_f32_e32 v19, v1, v2
	v_add_f32_e32 v11, v20, v13
	s_delay_alu instid0(VALU_DEP_1) | instskip(NEXT) | instid1(VALU_DEP_1)
	v_add_f32_e32 v1, v11, v15
	v_add_f32_e32 v1, v1, v19
	ds_bpermute_b32 v2, v10, v1
	v_lshlrev_b32_e32 v10, 2, v0
	ds_store_2addr_b32 v10, v18, v3 offset1:32
	v_add_nc_u32_e32 v3, 0x400, v10
	ds_store_2addr_b32 v10, v4, v5 offset0:64 offset1:96
	ds_store_2addr_b32 v10, v6, v7 offset0:128 offset1:160
	;; [unrolled: 1-line block ×3, first 2 shown]
	ds_store_2addr_b32 v3, v13, v15 offset1:32
	ds_store_b32 v10, v19 offset:1280
	s_waitcnt lgkmcnt(6)
	v_add_f32_e32 v1, v1, v2
	ds_bpermute_b32 v2, v14, v1
	s_waitcnt lgkmcnt(0)
	v_add_f32_e32 v1, v1, v2
	ds_bpermute_b32 v2, v12, v1
	;; [unrolled: 3-line block ×4, first 2 shown]
	v_cmpx_eq_u32_e32 0, v0
	s_cbranch_execz .LBB664_8
; %bb.7:
	s_waitcnt lgkmcnt(0)
	v_dual_add_f32 v1, v1, v2 :: v_dual_mov_b32 v2, 0
	ds_store_b32 v2, v1 offset:1408
.LBB664_8:
	s_or_b32 exec_lo, exec_lo, s7
	v_mov_b32_e32 v1, s6
.LBB664_9:
	s_or_b32 exec_lo, exec_lo, s24
	s_lshl_b32 s6, s18, 7
	s_mov_b32 s7, 0
	s_waitcnt lgkmcnt(0)
	v_dual_mov_b32 v2, 0 :: v_dual_lshlrev_b32 v1, 7, v1
	s_lshl_b64 s[6:7], s[6:7], 1
	v_lshlrev_b32_e32 v0, 1, v0
	s_add_u32 s34, s4, s6
	s_addc_u32 s35, s5, s7
	s_lshl_b32 s41, s40, 7
	v_lshlrev_b64 v[3:4], 1, v[1:2]
	s_add_i32 s42, s41, 0xffffff80
	s_cmpk_lt_i32 s22, 0x100
	v_dual_mov_b32 v30, 0 :: v_dual_mov_b32 v33, 0
	s_cselect_b32 s4, s42, 0
	s_delay_alu instid0(VALU_DEP_2)
	v_add_co_u32 v1, vcc_lo, s34, v3
	s_ashr_i32 s5, s4, 31
	v_add_co_ci_u32_e32 v3, vcc_lo, s35, v4, vcc_lo
	s_lshl_b64 s[4:5], s[4:5], 1
	s_cmpk_lt_i32 s22, 0x200
	v_add_co_u32 v1, vcc_lo, v1, v0
	s_cselect_b32 s6, s42, 0x80
	v_add_co_ci_u32_e32 v3, vcc_lo, 0, v3, vcc_lo
	s_ashr_i32 s7, s6, 31
	s_delay_alu instid0(VALU_DEP_2)
	v_add_co_u32 v4, vcc_lo, v1, s4
	s_lshl_b64 s[6:7], s[6:7], 1
	s_cmpk_lt_i32 s22, 0x300
	v_add_co_ci_u32_e32 v5, vcc_lo, s5, v3, vcc_lo
	s_cselect_b32 s8, s42, 0x100
	v_add_co_u32 v6, vcc_lo, v1, s6
	s_ashr_i32 s9, s8, 31
	v_add_co_ci_u32_e32 v7, vcc_lo, s7, v3, vcc_lo
	s_lshl_b64 s[8:9], s[8:9], 1
	s_cmpk_lt_i32 s22, 0x400
	v_add_co_u32 v8, vcc_lo, v1, s8
	s_cselect_b32 s10, s42, 0x180
	v_add_co_ci_u32_e32 v9, vcc_lo, s9, v3, vcc_lo
	s_ashr_i32 s11, s10, 31
	v_dual_mov_b32 v32, 0 :: v_dual_mov_b32 v35, 0
	s_lshl_b64 s[10:11], s[10:11], 1
	s_cmpk_lt_i32 s22, 0x500
	v_add_co_u32 v11, vcc_lo, v1, s10
	s_cselect_b32 s18, s42, 0x200
	v_add_co_ci_u32_e32 v12, vcc_lo, s11, v3, vcc_lo
	s_ashr_i32 s19, s18, 31
	v_mov_b32_e32 v34, 0
	s_lshl_b64 s[18:19], s[18:19], 1
	s_cmpk_lt_i32 s22, 0x600
	v_add_co_u32 v14, vcc_lo, v1, s18
	s_cselect_b32 s20, s42, 0x280
	v_add_co_ci_u32_e32 v15, vcc_lo, s19, v3, vcc_lo
	s_ashr_i32 s21, s20, 31
	v_mov_b32_e32 v31, 0
	s_lshl_b64 s[20:21], s[20:21], 1
	s_cmpk_lt_i32 s22, 0x700
	v_add_co_u32 v16, vcc_lo, v1, s20
	s_cselect_b32 s24, s42, 0x300
	v_add_co_ci_u32_e32 v17, vcc_lo, s21, v3, vcc_lo
	s_ashr_i32 s25, s24, 31
	s_delay_alu instid0(SALU_CYCLE_1)
	s_lshl_b64 s[24:25], s[24:25], 1
	s_cmpk_lt_i32 s22, 0x800
	v_add_co_u32 v18, vcc_lo, v1, s24
	s_cselect_b32 s26, s42, 0x380
	v_add_co_ci_u32_e32 v19, vcc_lo, s25, v3, vcc_lo
	s_ashr_i32 s27, s26, 31
	s_delay_alu instid0(SALU_CYCLE_1)
	s_lshl_b64 s[26:27], s[26:27], 1
	s_cmpk_lt_i32 s22, 0x900
	v_add_co_u32 v20, vcc_lo, v1, s26
	s_cselect_b32 s28, s42, 0x400
	v_add_co_ci_u32_e32 v21, vcc_lo, s27, v3, vcc_lo
	s_ashr_i32 s29, s28, 31
	s_clause 0x7
	global_load_u16 v13, v[4:5], off
	global_load_u16 v4, v[6:7], off
	;; [unrolled: 1-line block ×8, first 2 shown]
	s_lshl_b64 s[28:29], s[28:29], 1
	s_cmpk_lt_i32 s22, 0xa00
	v_add_co_u32 v11, vcc_lo, v1, s28
	s_cselect_b32 s30, s42, 0x480
	v_add_co_ci_u32_e32 v12, vcc_lo, s29, v3, vcc_lo
	s_ashr_i32 s31, s30, 31
	s_delay_alu instid0(SALU_CYCLE_1)
	s_lshl_b64 s[30:31], s[30:31], 1
	s_cmpk_lt_i32 s22, 0xb00
	v_add_co_u32 v14, vcc_lo, v1, s30
	s_cselect_b32 s34, s42, 0x500
	v_add_co_ci_u32_e32 v15, vcc_lo, s31, v3, vcc_lo
	s_ashr_i32 s35, s34, 31
	s_delay_alu instid0(SALU_CYCLE_1)
	;; [unrolled: 7-line block ×7, first 2 shown]
	s_lshl_b64 s[4:5], s[6:7], 1
	s_cmpk_gt_i32 s23, 0x1000
	v_add_co_u32 v28, vcc_lo, v1, s4
	v_add_co_ci_u32_e32 v29, vcc_lo, s5, v3, vcc_lo
	s_clause 0x7
	global_load_u16 v19, v[11:12], off
	global_load_u16 v18, v[14:15], off
	;; [unrolled: 1-line block ×8, first 2 shown]
	v_dual_mov_b32 v20, 0 :: v_dual_mov_b32 v23, 0
	v_dual_mov_b32 v21, 0 :: v_dual_mov_b32 v22, 0
	;; [unrolled: 1-line block ×5, first 2 shown]
	s_cselect_b32 s6, -1, 0
	s_cmpk_lt_i32 s23, 0x1001
	s_waitcnt vmcnt(0)
	s_barrier
	buffer_gl0_inv
	s_cbranch_scc1 .LBB664_11
; %bb.10:
	s_cmpk_lt_i32 s22, 0x1100
	s_cselect_b32 s4, s42, 0x800
	s_delay_alu instid0(SALU_CYCLE_1) | instskip(NEXT) | instid1(SALU_CYCLE_1)
	s_ashr_i32 s5, s4, 31
	s_lshl_b64 s[4:5], s[4:5], 1
	s_cmpk_lt_i32 s22, 0x1200
	v_add_co_u32 v20, vcc_lo, v1, s4
	s_cselect_b32 s8, s42, 0x880
	v_add_co_ci_u32_e32 v21, vcc_lo, s5, v3, vcc_lo
	s_ashr_i32 s9, s8, 31
	s_delay_alu instid0(SALU_CYCLE_1)
	s_lshl_b64 s[8:9], s[8:9], 1
	s_cmpk_lt_i32 s22, 0x1300
	v_add_co_u32 v22, vcc_lo, v1, s8
	s_cselect_b32 s10, s42, 0x900
	v_add_co_ci_u32_e32 v23, vcc_lo, s9, v3, vcc_lo
	s_ashr_i32 s11, s10, 31
	s_delay_alu instid0(SALU_CYCLE_1)
	;; [unrolled: 7-line block ×14, first 2 shown]
	s_lshl_b64 s[4:5], s[18:19], 1
	s_cmpk_lt_i32 s22, 0x2000
	v_add_co_u32 v48, vcc_lo, v1, s4
	s_cselect_b32 s8, s42, 0xf80
	v_add_co_ci_u32_e32 v49, vcc_lo, s5, v3, vcc_lo
	s_ashr_i32 s9, s8, 31
	s_delay_alu instid0(SALU_CYCLE_1) | instskip(NEXT) | instid1(SALU_CYCLE_1)
	s_lshl_b64 s[4:5], s[8:9], 1
	v_add_co_u32 v50, vcc_lo, v1, s4
	v_add_co_ci_u32_e32 v51, vcc_lo, s5, v3, vcc_lo
	s_clause 0xf
	global_load_u16 v20, v[20:21], off
	global_load_u16 v21, v[22:23], off
	;; [unrolled: 1-line block ×16, first 2 shown]
	s_waitcnt vmcnt(15)
	v_lshlrev_b32_e32 v35, 16, v20
	s_waitcnt vmcnt(14)
	v_lshlrev_b32_e32 v34, 16, v21
	;; [unrolled: 2-line block ×16, first 2 shown]
.LBB664_11:
	ds_load_b128 v[36:39], v2
	ds_load_b128 v[40:43], v2 offset:16
	v_lshlrev_b32_e32 v44, 16, v4
	v_lshlrev_b32_e32 v13, 16, v13
	;; [unrolled: 1-line block ×5, first 2 shown]
	s_load_b64 s[0:1], s[0:1], 0x0
	s_and_b32 vcc_lo, exec_lo, s6
	v_lshlrev_b32_e32 v5, 16, v5
	s_waitcnt lgkmcnt(0)
	v_fma_f32 v4, v36, v13, 0
	s_delay_alu instid0(VALU_DEP_1) | instskip(NEXT) | instid1(VALU_DEP_1)
	v_dual_fmac_f32 v4, v37, v44 :: v_dual_lshlrev_b32 v13, 16, v7
	v_dual_fmac_f32 v4, v38, v10 :: v_dual_lshlrev_b32 v9, 16, v9
	s_delay_alu instid0(VALU_DEP_1) | instskip(SKIP_4) | instid1(VALU_DEP_1)
	v_fmac_f32_e32 v4, v39, v9
	ds_load_b128 v[36:39], v2 offset:48
	v_fmac_f32_e32 v4, v40, v8
	ds_load_b128 v[7:10], v2 offset:32
	v_fmac_f32_e32 v4, v41, v13
	v_fmac_f32_e32 v4, v42, v6
	v_lshlrev_b32_e32 v6, 16, v19
	s_delay_alu instid0(VALU_DEP_2) | instskip(SKIP_1) | instid1(VALU_DEP_1)
	v_dual_fmac_f32 v4, v43, v5 :: v_dual_lshlrev_b32 v5, 16, v18
	s_waitcnt lgkmcnt(0)
	v_fmac_f32_e32 v4, v7, v6
	v_lshlrev_b32_e32 v6, 16, v17
	s_delay_alu instid0(VALU_DEP_2) | instskip(NEXT) | instid1(VALU_DEP_1)
	v_dual_fmac_f32 v4, v8, v5 :: v_dual_lshlrev_b32 v5, 16, v16
	v_fmac_f32_e32 v4, v9, v6
	v_lshlrev_b32_e32 v6, 16, v15
	s_delay_alu instid0(VALU_DEP_2) | instskip(NEXT) | instid1(VALU_DEP_1)
	v_dual_fmac_f32 v4, v10, v5 :: v_dual_lshlrev_b32 v5, 16, v14
	;; [unrolled: 4-line block ×3, first 2 shown]
	v_fmac_f32_e32 v4, v38, v6
	s_delay_alu instid0(VALU_DEP_1)
	v_fmac_f32_e32 v4, v39, v5
	s_cbranch_vccz .LBB664_13
; %bb.12:
	ds_load_b128 v[5:8], v2 offset:64
	ds_load_b128 v[9:12], v2 offset:80
	s_waitcnt lgkmcnt(1)
	v_fmac_f32_e32 v4, v5, v35
	s_delay_alu instid0(VALU_DEP_1) | instskip(NEXT) | instid1(VALU_DEP_1)
	v_fmac_f32_e32 v4, v6, v34
	v_fmac_f32_e32 v4, v7, v33
	s_delay_alu instid0(VALU_DEP_1) | instskip(SKIP_3) | instid1(VALU_DEP_1)
	v_fmac_f32_e32 v4, v8, v32
	ds_load_b128 v[5:8], v2 offset:96
	s_waitcnt lgkmcnt(1)
	v_fmac_f32_e32 v4, v9, v31
	v_fmac_f32_e32 v4, v10, v30
	s_delay_alu instid0(VALU_DEP_1) | instskip(NEXT) | instid1(VALU_DEP_1)
	v_fmac_f32_e32 v4, v11, v29
	v_fmac_f32_e32 v4, v12, v28
	ds_load_b128 v[9:12], v2 offset:112
	s_waitcnt lgkmcnt(1)
	v_fmac_f32_e32 v4, v5, v27
	s_delay_alu instid0(VALU_DEP_1) | instskip(NEXT) | instid1(VALU_DEP_1)
	v_fmac_f32_e32 v4, v6, v26
	v_fmac_f32_e32 v4, v7, v25
	s_delay_alu instid0(VALU_DEP_1) | instskip(SKIP_1) | instid1(VALU_DEP_1)
	v_fmac_f32_e32 v4, v8, v24
	s_waitcnt lgkmcnt(0)
	v_fmac_f32_e32 v4, v9, v23
	s_delay_alu instid0(VALU_DEP_1) | instskip(NEXT) | instid1(VALU_DEP_1)
	v_fmac_f32_e32 v4, v10, v22
	v_fmac_f32_e32 v4, v11, v21
	s_delay_alu instid0(VALU_DEP_1)
	v_fmac_f32_e32 v4, v12, v20
.LBB664_13:
	s_movk_i32 s43, 0x1f80
	s_movk_i32 s44, 0x80
	s_mov_b32 s45, 32
	s_branch .LBB664_15
.LBB664_14:                             ;   in Loop: Header=BB664_15 Depth=1
	s_addk_i32 s43, 0x1000
	s_addk_i32 s44, 0x80
	s_add_i32 s45, s45, 32
	s_cmpk_eq_u32 s43, 0xbf80
	s_cbranch_scc1 .LBB664_17
.LBB664_15:                             ; =>This Inner Loop Header: Depth=1
	s_cmp_le_i32 s40, s45
	s_cbranch_scc1 .LBB664_14
; %bb.16:                               ;   in Loop: Header=BB664_15 Depth=1
	s_add_i32 s4, s43, 0xfffff080
	v_mov_b32_e32 v44, s44
	s_cmp_lt_i32 s4, s41
	s_cselect_b32 s4, s4, s42
	s_add_i32 s6, s43, 0xfffff100
	s_ashr_i32 s5, s4, 31
	s_delay_alu instid0(SALU_CYCLE_1)
	s_lshl_b64 s[38:39], s[4:5], 1
	s_cmp_lt_i32 s6, s41
	v_add_co_u32 v5, vcc_lo, v1, s38
	s_cselect_b32 s4, s6, s42
	s_add_i32 s6, s43, 0xfffff180
	s_ashr_i32 s5, s4, 31
	v_add_co_ci_u32_e32 v6, vcc_lo, s39, v3, vcc_lo
	s_lshl_b64 s[4:5], s[4:5], 1
	s_cmp_lt_i32 s6, s41
	s_cselect_b32 s6, s6, s42
	s_add_i32 s8, s43, 0xfffff200
	s_ashr_i32 s7, s6, 31
	global_load_u16 v2, v[5:6], off
	s_lshl_b64 s[6:7], s[6:7], 1
	s_cmp_lt_i32 s8, s41
	v_add_co_u32 v5, vcc_lo, v1, s4
	s_cselect_b32 s8, s8, s42
	s_add_i32 s10, s43, 0xfffff280
	s_ashr_i32 s9, s8, 31
	v_add_co_ci_u32_e32 v6, vcc_lo, s5, v3, vcc_lo
	s_lshl_b64 s[8:9], s[8:9], 1
	s_cmp_lt_i32 s10, s41
	v_add_co_u32 v7, vcc_lo, v1, s6
	s_cselect_b32 s10, s10, s42
	s_add_i32 s18, s43, 0xfffff300
	s_ashr_i32 s11, s10, 31
	v_add_co_ci_u32_e32 v8, vcc_lo, s7, v3, vcc_lo
	s_lshl_b64 s[10:11], s[10:11], 1
	s_cmp_lt_i32 s18, s41
	v_add_co_u32 v9, vcc_lo, v1, s8
	s_cselect_b32 s18, s18, s42
	s_add_i32 s20, s43, 0xfffff380
	s_ashr_i32 s19, s18, 31
	s_clause 0x1
	global_load_u16 v23, v[5:6], off
	global_load_u16 v24, v[7:8], off
	s_lshl_b64 s[18:19], s[18:19], 1
	s_cmp_lt_i32 s20, s41
	v_add_co_ci_u32_e32 v10, vcc_lo, s9, v3, vcc_lo
	s_cselect_b32 s20, s20, s42
	s_add_i32 s22, s43, 0xfffff400
	s_ashr_i32 s21, s20, 31
	global_load_u16 v25, v[9:10], off
	s_lshl_b64 s[20:21], s[20:21], 1
	s_cmp_lt_i32 s22, s41
	v_add_co_u32 v11, vcc_lo, v1, s10
	s_cselect_b32 s22, s22, s42
	s_add_i32 s24, s43, 0xfffff480
	s_ashr_i32 s23, s22, 31
	v_add_co_ci_u32_e32 v12, vcc_lo, s11, v3, vcc_lo
	s_lshl_b64 s[22:23], s[22:23], 1
	s_cmp_lt_i32 s24, s41
	v_add_co_u32 v13, vcc_lo, v1, s18
	global_load_u16 v26, v[11:12], off
	s_cselect_b32 s24, s24, s42
	s_add_i32 s26, s43, 0xfffff500
	s_ashr_i32 s25, s24, 31
	v_add_co_ci_u32_e32 v14, vcc_lo, s19, v3, vcc_lo
	s_lshl_b64 s[24:25], s[24:25], 1
	s_cmp_lt_i32 s26, s41
	v_add_co_u32 v15, vcc_lo, v1, s20
	global_load_u16 v27, v[13:14], off
	s_cselect_b32 s26, s26, s42
	s_add_i32 s28, s43, 0xfffff580
	s_ashr_i32 s27, s26, 31
	v_add_co_ci_u32_e32 v16, vcc_lo, s21, v3, vcc_lo
	s_lshl_b64 s[36:37], s[26:27], 1
	s_cmp_lt_i32 s28, s41
	v_add_co_u32 v17, vcc_lo, v1, s22
	s_cselect_b32 s26, s28, s42
	s_add_i32 s30, s43, 0xfffff600
	s_ashr_i32 s27, s26, 31
	v_add_co_ci_u32_e32 v18, vcc_lo, s23, v3, vcc_lo
	s_lshl_b64 s[28:29], s[26:27], 1
	s_cmp_lt_i32 s30, s41
	v_add_co_u32 v19, vcc_lo, v1, s24
	global_load_u16 v17, v[17:18], off
	s_cselect_b32 s26, s30, s42
	s_add_i32 s30, s43, 0xfffff680
	s_ashr_i32 s27, s26, 31
	v_add_co_ci_u32_e32 v20, vcc_lo, s25, v3, vcc_lo
	s_lshl_b64 s[26:27], s[26:27], 1
	s_cmp_lt_i32 s30, s41
	v_add_co_u32 v21, vcc_lo, v1, s36
	s_cselect_b32 s30, s30, s42
	s_add_i32 s46, s43, 0xfffff700
	s_ashr_i32 s31, s30, 31
	v_add_co_ci_u32_e32 v22, vcc_lo, s37, v3, vcc_lo
	s_lshl_b64 s[34:35], s[30:31], 1
	s_cmp_lt_i32 s46, s41
	v_add_co_u32 v5, vcc_lo, v1, s28
	;; [unrolled: 7-line block ×3, first 2 shown]
	s_cselect_b32 s46, s46, s42
	s_add_i32 s48, s43, 0xfffff800
	s_ashr_i32 s47, s46, 31
	global_load_u16 v28, v[15:16], off
	s_lshl_b64 s[38:39], s[46:47], 1
	s_cmp_lt_i32 s48, s41
	v_add_co_ci_u32_e32 v8, vcc_lo, s27, v3, vcc_lo
	s_cselect_b32 s46, s48, s42
	v_add_co_u32 v9, vcc_lo, v1, s34
	s_ashr_i32 s47, s46, 31
	s_add_i32 s4, s43, 0xfffff880
	s_lshl_b64 s[46:47], s[46:47], 1
	v_add_co_ci_u32_e32 v10, vcc_lo, s35, v3, vcc_lo
	s_cmp_lt_i32 s4, s41
	v_add_co_u32 v11, vcc_lo, v1, s30
	s_cselect_b32 s4, s4, s42
	v_add_co_ci_u32_e32 v12, vcc_lo, s31, v3, vcc_lo
	v_add_co_u32 v13, vcc_lo, v1, s38
	s_ashr_i32 s5, s4, 31
	s_add_i32 s6, s43, 0xfffff900
	v_add_co_ci_u32_e32 v14, vcc_lo, s39, v3, vcc_lo
	global_load_u16 v18, v[19:20], off
	s_lshl_b64 s[8:9], s[4:5], 1
	s_cmp_lt_i32 s6, s41
	global_load_u16 v30, v[13:14], off
	s_cselect_b32 s4, s6, s42
	global_load_u16 v19, v[21:22], off
	s_ashr_i32 s5, s4, 31
	s_add_i32 s6, s43, 0xfffff980
	s_lshl_b64 s[10:11], s[4:5], 1
	s_cmp_lt_i32 s6, s41
	s_clause 0x3
	global_load_u16 v20, v[5:6], off
	global_load_u16 v21, v[7:8], off
	;; [unrolled: 1-line block ×4, first 2 shown]
	s_cselect_b32 s4, s6, s42
	s_add_i32 s6, s43, 0xfffffa00
	s_ashr_i32 s5, s4, 31
	v_add_co_u32 v15, vcc_lo, v1, s46
	s_lshl_b64 s[4:5], s[4:5], 1
	s_cmp_lt_i32 s6, s41
	v_add_co_ci_u32_e32 v16, vcc_lo, s47, v3, vcc_lo
	s_cselect_b32 s6, s6, s42
	s_add_i32 s18, s43, 0xfffffa80
	s_ashr_i32 s7, s6, 31
	v_add_co_u32 v5, vcc_lo, v1, s8
	s_lshl_b64 s[6:7], s[6:7], 1
	s_cmp_lt_i32 s18, s41
	v_add_co_ci_u32_e32 v6, vcc_lo, s9, v3, vcc_lo
	s_cselect_b32 s18, s18, s42
	v_add_co_u32 v7, vcc_lo, v1, s10
	s_ashr_i32 s19, s18, 31
	s_add_i32 s20, s43, 0xfffffb00
	s_lshl_b64 s[18:19], s[18:19], 1
	v_add_co_ci_u32_e32 v8, vcc_lo, s11, v3, vcc_lo
	s_cmp_lt_i32 s20, s41
	v_add_co_u32 v9, vcc_lo, v1, s4
	s_cselect_b32 s20, s20, s42
	v_add_co_ci_u32_e32 v10, vcc_lo, s5, v3, vcc_lo
	v_add_co_u32 v11, vcc_lo, v1, s6
	s_ashr_i32 s21, s20, 31
	s_add_i32 s22, s43, 0xfffffb80
	v_add_co_ci_u32_e32 v12, vcc_lo, s7, v3, vcc_lo
	global_load_u16 v15, v[15:16], off
	s_lshl_b64 s[20:21], s[20:21], 1
	s_cmp_lt_i32 s22, s41
	global_load_u16 v33, v[11:12], off
	s_cselect_b32 s22, s22, s42
	s_clause 0x2
	global_load_u16 v16, v[5:6], off
	global_load_u16 v31, v[7:8], off
	;; [unrolled: 1-line block ×3, first 2 shown]
	s_ashr_i32 s23, s22, 31
	s_add_i32 s24, s43, 0xfffffc00
	s_lshl_b64 s[22:23], s[22:23], 1
	s_cmp_lt_i32 s24, s41
	v_add_co_u32 v13, vcc_lo, v1, s18
	s_cselect_b32 s24, s24, s42
	s_add_i32 s26, s43, 0xfffffc80
	s_ashr_i32 s25, s24, 31
	v_add_co_ci_u32_e32 v14, vcc_lo, s19, v3, vcc_lo
	s_lshl_b64 s[24:25], s[24:25], 1
	s_cmp_lt_i32 s26, s41
	v_add_co_u32 v5, vcc_lo, v1, s20
	s_cselect_b32 s8, s26, s42
	v_add_co_ci_u32_e32 v6, vcc_lo, s21, v3, vcc_lo
	s_ashr_i32 s9, s8, 31
	v_add_co_u32 v7, vcc_lo, v1, s22
	s_add_i32 s10, s43, 0xfffffd00
	s_lshl_b64 s[8:9], s[8:9], 1
	v_add_co_ci_u32_e32 v8, vcc_lo, s23, v3, vcc_lo
	s_cmp_lt_i32 s10, s41
	v_add_co_u32 v9, vcc_lo, v1, s24
	s_cselect_b32 s4, s10, s42
	global_load_u16 v13, v[13:14], off
	v_add_co_ci_u32_e32 v10, vcc_lo, s25, v3, vcc_lo
	s_ashr_i32 s5, s4, 31
	s_add_i32 s6, s43, 0xfffffd80
	s_lshl_b64 s[4:5], s[4:5], 1
	global_load_u16 v35, v[9:10], off
	s_cmp_lt_i32 s6, s41
	s_clause 0x1
	global_load_u16 v14, v[5:6], off
	global_load_u16 v34, v[7:8], off
	s_cselect_b32 s6, s6, s42
	s_add_i32 s10, s43, 0xfffffe00
	s_ashr_i32 s7, s6, 31
	v_add_co_u32 v5, vcc_lo, v1, s8
	s_lshl_b64 s[6:7], s[6:7], 1
	s_cmp_lt_i32 s10, s41
	v_add_co_ci_u32_e32 v6, vcc_lo, s9, v3, vcc_lo
	s_cselect_b32 s10, s10, s42
	v_add_co_u32 v7, vcc_lo, v1, s4
	s_ashr_i32 s11, s10, 31
	v_add_co_ci_u32_e32 v8, vcc_lo, s5, v3, vcc_lo
	s_add_i32 s18, s43, 0xfffffe80
	s_lshl_b64 s[10:11], s[10:11], 1
	s_cmp_lt_i32 s18, s41
	s_clause 0x1
	global_load_u16 v36, v[5:6], off
	global_load_u16 v37, v[7:8], off
	s_cselect_b32 s18, s18, s42
	v_add_co_u32 v5, vcc_lo, v1, s6
	s_ashr_i32 s19, s18, 31
	v_add_co_ci_u32_e32 v6, vcc_lo, s7, v3, vcc_lo
	s_add_i32 s20, s43, 0xffffff00
	v_add_co_u32 v7, vcc_lo, v1, s10
	s_lshl_b64 s[8:9], s[18:19], 1
	s_cmp_lt_i32 s20, s41
	v_add_co_ci_u32_e32 v8, vcc_lo, s11, v3, vcc_lo
	s_cselect_b32 s4, s20, s42
	global_load_u16 v38, v[5:6], off
	s_ashr_i32 s5, s4, 31
	global_load_u16 v39, v[7:8], off
	s_add_i32 s18, s43, 0xffffff80
	v_add_co_u32 v5, vcc_lo, v1, s8
	s_lshl_b64 s[4:5], s[4:5], 1
	s_cmp_lt_i32 s18, s41
	v_add_co_ci_u32_e32 v6, vcc_lo, s9, v3, vcc_lo
	v_add_co_u32 v7, vcc_lo, v1, s4
	s_cselect_b32 s6, s18, s42
	v_add_co_ci_u32_e32 v8, vcc_lo, s5, v3, vcc_lo
	s_ashr_i32 s7, s6, 31
	global_load_u16 v40, v[5:6], off
	s_lshl_b64 s[6:7], s[6:7], 1
	global_load_u16 v41, v[7:8], off
	s_cmp_lt_i32 s43, s41
	v_add_co_u32 v5, vcc_lo, v1, s6
	s_cselect_b32 s4, s43, s42
	v_add_co_ci_u32_e32 v6, vcc_lo, s7, v3, vcc_lo
	s_ashr_i32 s5, s4, 31
	s_delay_alu instid0(SALU_CYCLE_1)
	s_lshl_b64 s[4:5], s[4:5], 1
	global_load_u16 v42, v[5:6], off
	v_add_co_u32 v5, vcc_lo, v1, s4
	v_add_co_ci_u32_e32 v6, vcc_lo, s5, v3, vcc_lo
	global_load_u16 v43, v[5:6], off
	ds_load_b128 v[5:8], v44
	ds_load_b128 v[9:12], v44 offset:16
	s_waitcnt vmcnt(31)
	v_lshlrev_b32_e32 v2, 16, v2
	s_waitcnt lgkmcnt(1)
	s_delay_alu instid0(VALU_DEP_1) | instskip(SKIP_2) | instid1(VALU_DEP_1)
	v_fmac_f32_e32 v4, v5, v2
	s_waitcnt vmcnt(30)
	v_lshlrev_b32_e32 v2, 16, v23
	v_fmac_f32_e32 v4, v6, v2
	s_waitcnt vmcnt(29)
	v_lshlrev_b32_e32 v2, 16, v24
	s_delay_alu instid0(VALU_DEP_1) | instskip(SKIP_2) | instid1(VALU_DEP_1)
	v_fmac_f32_e32 v4, v7, v2
	s_waitcnt vmcnt(28)
	v_lshlrev_b32_e32 v2, 16, v25
	v_fmac_f32_e32 v4, v8, v2
	ds_load_b128 v[5:8], v44 offset:32
	s_waitcnt vmcnt(27)
	v_lshlrev_b32_e32 v2, 16, v26
	s_waitcnt lgkmcnt(1)
	s_delay_alu instid0(VALU_DEP_1) | instskip(SKIP_2) | instid1(VALU_DEP_1)
	v_fmac_f32_e32 v4, v9, v2
	s_waitcnt vmcnt(26)
	v_lshlrev_b32_e32 v2, 16, v27
	v_fmac_f32_e32 v4, v10, v2
	s_waitcnt vmcnt(24)
	v_lshlrev_b32_e32 v2, 16, v28
	s_delay_alu instid0(VALU_DEP_1) | instskip(SKIP_1) | instid1(VALU_DEP_1)
	v_fmac_f32_e32 v4, v11, v2
	v_lshlrev_b32_e32 v2, 16, v17
	v_fmac_f32_e32 v4, v12, v2
	ds_load_b128 v[9:12], v44 offset:48
	s_waitcnt vmcnt(23)
	v_lshlrev_b32_e32 v2, 16, v18
	s_waitcnt lgkmcnt(1)
	s_delay_alu instid0(VALU_DEP_1) | instskip(SKIP_2) | instid1(VALU_DEP_1)
	v_fmac_f32_e32 v4, v5, v2
	s_waitcnt vmcnt(21)
	v_lshlrev_b32_e32 v2, 16, v19
	v_fmac_f32_e32 v4, v6, v2
	s_waitcnt vmcnt(20)
	v_lshlrev_b32_e32 v2, 16, v20
	s_delay_alu instid0(VALU_DEP_1) | instskip(SKIP_2) | instid1(VALU_DEP_1)
	v_fmac_f32_e32 v4, v7, v2
	s_waitcnt vmcnt(19)
	v_lshlrev_b32_e32 v2, 16, v21
	v_fmac_f32_e32 v4, v8, v2
	s_waitcnt vmcnt(18)
	v_lshlrev_b32_e32 v2, 16, v22
	ds_load_b128 v[5:8], v44 offset:64
	s_waitcnt lgkmcnt(1)
	v_fmac_f32_e32 v4, v9, v2
	s_waitcnt vmcnt(17)
	v_lshlrev_b32_e32 v2, 16, v29
	s_delay_alu instid0(VALU_DEP_1) | instskip(SKIP_1) | instid1(VALU_DEP_1)
	v_fmac_f32_e32 v4, v10, v2
	v_lshlrev_b32_e32 v2, 16, v30
	v_fmac_f32_e32 v4, v11, v2
	s_waitcnt vmcnt(16)
	v_lshlrev_b32_e32 v2, 16, v15
	s_delay_alu instid0(VALU_DEP_1) | instskip(SKIP_4) | instid1(VALU_DEP_1)
	v_fmac_f32_e32 v4, v12, v2
	ds_load_b128 v[9:12], v44 offset:80
	s_waitcnt vmcnt(14)
	v_lshlrev_b32_e32 v2, 16, v16
	s_waitcnt lgkmcnt(1)
	v_fmac_f32_e32 v4, v5, v2
	s_waitcnt vmcnt(13)
	v_lshlrev_b32_e32 v2, 16, v31
	s_delay_alu instid0(VALU_DEP_1) | instskip(SKIP_2) | instid1(VALU_DEP_1)
	v_fmac_f32_e32 v4, v6, v2
	s_waitcnt vmcnt(12)
	v_lshlrev_b32_e32 v2, 16, v32
	v_fmac_f32_e32 v4, v7, v2
	v_lshlrev_b32_e32 v2, 16, v33
	s_delay_alu instid0(VALU_DEP_1) | instskip(SKIP_4) | instid1(VALU_DEP_1)
	v_fmac_f32_e32 v4, v8, v2
	ds_load_b128 v[5:8], v44 offset:96
	s_waitcnt vmcnt(11)
	v_lshlrev_b32_e32 v2, 16, v13
	s_waitcnt lgkmcnt(1)
	v_fmac_f32_e32 v4, v9, v2
	s_waitcnt vmcnt(9)
	v_lshlrev_b32_e32 v2, 16, v14
	s_delay_alu instid0(VALU_DEP_1) | instskip(SKIP_2) | instid1(VALU_DEP_1)
	v_fmac_f32_e32 v4, v10, v2
	s_waitcnt vmcnt(8)
	v_lshlrev_b32_e32 v2, 16, v34
	v_fmac_f32_e32 v4, v11, v2
	;; [unrolled: 15-line block ×3, first 2 shown]
	s_waitcnt vmcnt(4)
	v_lshlrev_b32_e32 v2, 16, v39
	s_delay_alu instid0(VALU_DEP_1) | instskip(SKIP_3) | instid1(VALU_DEP_1)
	v_fmac_f32_e32 v4, v8, v2
	s_waitcnt vmcnt(3)
	v_lshlrev_b32_e32 v2, 16, v40
	s_waitcnt lgkmcnt(0)
	v_fmac_f32_e32 v4, v9, v2
	s_waitcnt vmcnt(2)
	v_lshlrev_b32_e32 v2, 16, v41
	s_delay_alu instid0(VALU_DEP_1) | instskip(SKIP_2) | instid1(VALU_DEP_1)
	v_fmac_f32_e32 v4, v10, v2
	s_waitcnt vmcnt(1)
	v_lshlrev_b32_e32 v2, 16, v42
	v_fmac_f32_e32 v4, v11, v2
	s_waitcnt vmcnt(0)
	v_lshlrev_b32_e32 v2, 16, v43
	s_delay_alu instid0(VALU_DEP_1)
	v_fmac_f32_e32 v4, v12, v2
	s_branch .LBB664_14
.LBB664_17:
	v_mov_b32_e32 v1, 0
	s_and_b32 vcc_lo, exec_lo, s15
	ds_load_b32 v1, v1 offset:1408
	s_cbranch_vccz .LBB664_19
; %bb.18:
	s_add_u32 s2, s12, s16
	s_addc_u32 s3, s13, s17
	s_load_b32 s2, s[2:3], 0x0
	s_mov_b32 s3, 0
.LBB664_19:
	s_waitcnt lgkmcnt(0)
	v_add_f32_e32 v1, 0x358637bd, v1
	s_delay_alu instid0(VALU_DEP_1) | instskip(NEXT) | instid1(VALU_DEP_1)
	v_div_scale_f32 v2, null, v1, v1, 1.0
	v_rcp_f32_e32 v3, v2
	s_waitcnt_depctr 0xfff
	v_fma_f32 v5, -v2, v3, 1.0
	s_delay_alu instid0(VALU_DEP_1) | instskip(SKIP_1) | instid1(VALU_DEP_1)
	v_fmac_f32_e32 v3, v5, v3
	v_div_scale_f32 v5, vcc_lo, 1.0, v1, 1.0
	v_mul_f32_e32 v6, v5, v3
	s_delay_alu instid0(VALU_DEP_1) | instskip(NEXT) | instid1(VALU_DEP_1)
	v_fma_f32 v7, -v2, v6, v5
	v_fmac_f32_e32 v6, v7, v3
	s_delay_alu instid0(VALU_DEP_1) | instskip(NEXT) | instid1(VALU_DEP_1)
	v_fma_f32 v2, -v2, v6, v5
	v_div_fmas_f32 v2, v2, v3, v6
	s_delay_alu instid0(VALU_DEP_1) | instskip(NEXT) | instid1(VALU_DEP_1)
	v_div_fixup_f32 v1, v2, v1, 1.0
	v_mul_f32_e32 v2, v4, v1
	s_delay_alu instid0(VALU_DEP_1) | instskip(NEXT) | instid1(VALU_DEP_1)
	v_and_b32_e32 v1, 0x7f800000, v2
	v_cmp_ne_u32_e32 vcc_lo, 0x7f800000, v1
                                        ; implicit-def: $vgpr1
	s_and_saveexec_b32 s4, vcc_lo
	s_delay_alu instid0(SALU_CYCLE_1)
	s_xor_b32 s4, exec_lo, s4
; %bb.20:
	v_bfe_u32 v1, v2, 16, 1
	s_delay_alu instid0(VALU_DEP_1)
	v_add3_u32 v1, v2, v1, 0x7fff
                                        ; implicit-def: $vgpr2
; %bb.21:
	s_and_not1_saveexec_b32 s4, s4
; %bb.22:
	v_and_b32_e32 v1, 0xffff, v2
	v_or_b32_e32 v3, 0x10000, v2
	s_delay_alu instid0(VALU_DEP_2) | instskip(NEXT) | instid1(VALU_DEP_2)
	v_cmp_eq_u32_e32 vcc_lo, 0, v1
	v_cndmask_b32_e32 v1, v3, v2, vcc_lo
; %bb.23:
	s_or_b32 exec_lo, exec_lo, s4
	s_mul_i32 s3, s33, s3
	s_mul_hi_u32 s4, s33, s2
	s_mul_i32 s2, s33, s2
	s_add_i32 s3, s4, s3
	s_mov_b32 s15, 0
	s_lshl_b64 s[2:3], s[2:3], 8
	s_delay_alu instid0(SALU_CYCLE_1) | instskip(SKIP_2) | instid1(SALU_CYCLE_1)
	s_add_u32 s2, s0, s2
	s_addc_u32 s3, s1, s3
	s_lshl_b64 s[0:1], s[14:15], 8
	s_add_u32 s0, s2, s0
	s_addc_u32 s1, s3, s1
	global_store_d16_hi_b16 v0, v1, s[0:1]
	s_nop 0
	s_sendmsg sendmsg(MSG_DEALLOC_VGPRS)
	s_endpgm
.LBB664_24:
	s_mov_b32 s4, 0
	s_branch .LBB664_2
	.section	.rodata,"a",@progbits
	.p2align	6, 0x0
	.amdhsa_kernel _Z35paged_attention_ll4mi_reduce_kernelI14__hip_bfloat16S0_Li128ELi128ELi256ELi11EEvPT0_PKfS4_PKT_PKiS9_iS4_
		.amdhsa_group_segment_fixed_size 1412
		.amdhsa_private_segment_fixed_size 0
		.amdhsa_kernarg_size 320
		.amdhsa_user_sgpr_count 14
		.amdhsa_user_sgpr_dispatch_ptr 0
		.amdhsa_user_sgpr_queue_ptr 0
		.amdhsa_user_sgpr_kernarg_segment_ptr 1
		.amdhsa_user_sgpr_dispatch_id 0
		.amdhsa_user_sgpr_private_segment_size 0
		.amdhsa_wavefront_size32 1
		.amdhsa_uses_dynamic_stack 0
		.amdhsa_enable_private_segment 0
		.amdhsa_system_sgpr_workgroup_id_x 1
		.amdhsa_system_sgpr_workgroup_id_y 1
		.amdhsa_system_sgpr_workgroup_id_z 0
		.amdhsa_system_sgpr_workgroup_info 0
		.amdhsa_system_vgpr_workitem_id 0
		.amdhsa_next_free_vgpr 62
		.amdhsa_next_free_sgpr 49
		.amdhsa_reserve_vcc 1
		.amdhsa_float_round_mode_32 0
		.amdhsa_float_round_mode_16_64 0
		.amdhsa_float_denorm_mode_32 3
		.amdhsa_float_denorm_mode_16_64 3
		.amdhsa_dx10_clamp 1
		.amdhsa_ieee_mode 1
		.amdhsa_fp16_overflow 0
		.amdhsa_workgroup_processor_mode 1
		.amdhsa_memory_ordered 1
		.amdhsa_forward_progress 0
		.amdhsa_shared_vgpr_count 0
		.amdhsa_exception_fp_ieee_invalid_op 0
		.amdhsa_exception_fp_denorm_src 0
		.amdhsa_exception_fp_ieee_div_zero 0
		.amdhsa_exception_fp_ieee_overflow 0
		.amdhsa_exception_fp_ieee_underflow 0
		.amdhsa_exception_fp_ieee_inexact 0
		.amdhsa_exception_int_div_zero 0
	.end_amdhsa_kernel
	.section	.text._Z35paged_attention_ll4mi_reduce_kernelI14__hip_bfloat16S0_Li128ELi128ELi256ELi11EEvPT0_PKfS4_PKT_PKiS9_iS4_,"axG",@progbits,_Z35paged_attention_ll4mi_reduce_kernelI14__hip_bfloat16S0_Li128ELi128ELi256ELi11EEvPT0_PKfS4_PKT_PKiS9_iS4_,comdat
.Lfunc_end664:
	.size	_Z35paged_attention_ll4mi_reduce_kernelI14__hip_bfloat16S0_Li128ELi128ELi256ELi11EEvPT0_PKfS4_PKT_PKiS9_iS4_, .Lfunc_end664-_Z35paged_attention_ll4mi_reduce_kernelI14__hip_bfloat16S0_Li128ELi128ELi256ELi11EEvPT0_PKfS4_PKT_PKiS9_iS4_
                                        ; -- End function
	.section	.AMDGPU.csdata,"",@progbits
; Kernel info:
; codeLenInByte = 7220
; NumSgprs: 51
; NumVgprs: 62
; ScratchSize: 0
; MemoryBound: 0
; FloatMode: 240
; IeeeMode: 1
; LDSByteSize: 1412 bytes/workgroup (compile time only)
; SGPRBlocks: 6
; VGPRBlocks: 7
; NumSGPRsForWavesPerEU: 51
; NumVGPRsForWavesPerEU: 62
; Occupancy: 16
; WaveLimiterHint : 0
; COMPUTE_PGM_RSRC2:SCRATCH_EN: 0
; COMPUTE_PGM_RSRC2:USER_SGPR: 14
; COMPUTE_PGM_RSRC2:TRAP_HANDLER: 0
; COMPUTE_PGM_RSRC2:TGID_X_EN: 1
; COMPUTE_PGM_RSRC2:TGID_Y_EN: 1
; COMPUTE_PGM_RSRC2:TGID_Z_EN: 0
; COMPUTE_PGM_RSRC2:TIDIG_COMP_CNT: 0
	.section	.text._Z35paged_attention_ll4mi_reduce_kernelI14__hip_bfloat16S0_Li128ELi128ELi256ELi12EEvPT0_PKfS4_PKT_PKiS9_iS4_,"axG",@progbits,_Z35paged_attention_ll4mi_reduce_kernelI14__hip_bfloat16S0_Li128ELi128ELi256ELi12EEvPT0_PKfS4_PKT_PKiS9_iS4_,comdat
	.protected	_Z35paged_attention_ll4mi_reduce_kernelI14__hip_bfloat16S0_Li128ELi128ELi256ELi12EEvPT0_PKfS4_PKT_PKiS9_iS4_ ; -- Begin function _Z35paged_attention_ll4mi_reduce_kernelI14__hip_bfloat16S0_Li128ELi128ELi256ELi12EEvPT0_PKfS4_PKT_PKiS9_iS4_
	.globl	_Z35paged_attention_ll4mi_reduce_kernelI14__hip_bfloat16S0_Li128ELi128ELi256ELi12EEvPT0_PKfS4_PKT_PKiS9_iS4_
	.p2align	8
	.type	_Z35paged_attention_ll4mi_reduce_kernelI14__hip_bfloat16S0_Li128ELi128ELi256ELi12EEvPT0_PKfS4_PKT_PKiS9_iS4_,@function
_Z35paged_attention_ll4mi_reduce_kernelI14__hip_bfloat16S0_Li128ELi128ELi256ELi12EEvPT0_PKfS4_PKT_PKiS9_iS4_: ; @_Z35paged_attention_ll4mi_reduce_kernelI14__hip_bfloat16S0_Li128ELi128ELi256ELi12EEvPT0_PKfS4_PKT_PKiS9_iS4_
; %bb.0:
	s_load_b64 s[12:13], s[0:1], 0x28
	s_mov_b32 s2, s15
	s_waitcnt lgkmcnt(0)
	s_cmp_lg_u64 s[12:13], 0
	s_cselect_b32 s15, -1, 0
	s_delay_alu instid0(SALU_CYCLE_1)
	s_and_b32 vcc_lo, exec_lo, s15
	s_cbranch_vccz .LBB665_24
; %bb.1:
	s_add_i32 s4, s2, 1
	s_mov_b32 s5, 0
	s_delay_alu instid0(SALU_CYCLE_1) | instskip(SKIP_4) | instid1(SALU_CYCLE_1)
	s_lshl_b64 s[6:7], s[4:5], 2
	s_mov_b32 s3, s5
	s_add_u32 s6, s12, s6
	s_addc_u32 s7, s13, s7
	s_lshl_b64 s[8:9], s[2:3], 2
	s_add_u32 s8, s12, s8
	s_addc_u32 s9, s13, s9
	s_clause 0x1
	s_load_b32 s4, s[6:7], 0x0
	s_load_b32 s6, s[8:9], 0x0
	s_waitcnt lgkmcnt(0)
	s_sub_i32 s4, s4, s6
	s_delay_alu instid0(SALU_CYCLE_1)
	s_cmp_eq_u32 s4, 1
	s_cselect_b32 s4, -1, 0
	s_cbranch_execnz .LBB665_3
.LBB665_2:
	s_mov_b32 s3, 0
	s_mov_b32 s4, -1
.LBB665_3:
	s_delay_alu instid0(SALU_CYCLE_1)
	s_and_not1_b32 vcc_lo, exec_lo, s4
	s_cbranch_vccz .LBB665_5
; %bb.4:
	s_endpgm
.LBB665_5:
	s_clause 0x1
	s_load_b128 s[4:7], s[0:1], 0x18
	s_load_b32 s9, s[0:1], 0x30
	s_lshl_b64 s[16:17], s[2:3], 2
	s_waitcnt lgkmcnt(0)
	s_add_u32 s6, s6, s16
	s_addc_u32 s7, s7, s17
	s_load_b32 s23, s[6:7], 0x0
	s_load_b32 s33, s[0:1], 0x40
	s_mul_i32 s7, s2, s9
	s_waitcnt lgkmcnt(0)
	s_add_i32 s22, s23, 0xff
	s_delay_alu instid0(SALU_CYCLE_1) | instskip(NEXT) | instid1(SALU_CYCLE_1)
	s_ashr_i32 s6, s22, 31
	s_lshr_b32 s6, s6, 24
	s_delay_alu instid0(SALU_CYCLE_1) | instskip(SKIP_4) | instid1(SALU_CYCLE_1)
	s_add_i32 s8, s22, s6
	s_mul_i32 s6, s14, s9
	s_mov_b32 s9, exec_lo
	v_cmpx_lt_u32_e32 31, v0
	s_xor_b32 s9, exec_lo, s9
	s_or_saveexec_b32 s24, s9
	v_mov_b32_e32 v1, s6
	s_ashr_i32 s40, s8, 8
	s_mul_i32 s18, s7, s33
	s_xor_b32 exec_lo, exec_lo, s24
	s_cbranch_execz .LBB665_9
; %bb.6:
	v_or_b32_e32 v2, 32, v0
	v_cmp_gt_i32_e32 vcc_lo, s40, v0
	s_add_i32 s20, s40, -1
	v_or_b32_e32 v4, 64, v0
	v_or_b32_e32 v6, 0x60, v0
	s_load_b128 s[8:11], s[0:1], 0x8
	v_cndmask_b32_e32 v1, s20, v0, vcc_lo
	v_cmp_gt_i32_e32 vcc_lo, s40, v2
	s_mov_b32 s19, 0
	s_delay_alu instid0(SALU_CYCLE_1)
	s_mov_b32 s7, s19
	v_cndmask_b32_e32 v3, s20, v2, vcc_lo
	v_cmp_gt_i32_e32 vcc_lo, s40, v4
	v_or_b32_e32 v2, 0x80, v0
	v_cndmask_b32_e32 v5, s20, v4, vcc_lo
	v_cmp_gt_i32_e32 vcc_lo, s40, v6
	v_or_b32_e32 v4, 0xa0, v0
	;; [unrolled: 3-line block ×3, first 2 shown]
	s_delay_alu instid0(VALU_DEP_3) | instskip(SKIP_3) | instid1(VALU_DEP_3)
	v_ashrrev_i32_e32 v8, 31, v7
	v_cndmask_b32_e32 v9, s20, v2, vcc_lo
	v_cmp_gt_i32_e32 vcc_lo, s40, v4
	v_or_b32_e32 v2, 0xe0, v0
	v_ashrrev_i32_e32 v10, 31, v9
	v_cndmask_b32_e32 v11, s20, v4, vcc_lo
	v_cmp_gt_i32_e32 vcc_lo, s40, v6
	v_or_b32_e32 v4, 0x100, v0
	s_delay_alu instid0(VALU_DEP_3) | instskip(SKIP_3) | instid1(VALU_DEP_3)
	v_ashrrev_i32_e32 v12, 31, v11
	v_cndmask_b32_e32 v13, s20, v6, vcc_lo
	v_cmp_gt_i32_e32 vcc_lo, s40, v2
	v_or_b32_e32 v6, 0x140, v0
	v_ashrrev_i32_e32 v14, 31, v13
	v_cndmask_b32_e32 v15, s20, v2, vcc_lo
	v_or_b32_e32 v2, 0x120, v0
	v_cmp_gt_i32_e32 vcc_lo, s40, v4
	s_delay_alu instid0(VALU_DEP_3) | instskip(SKIP_1) | instid1(VALU_DEP_4)
	v_ashrrev_i32_e32 v16, 31, v15
	v_cndmask_b32_e32 v17, s20, v4, vcc_lo
	v_cmp_gt_i32_e32 vcc_lo, s40, v2
	v_or_b32_e32 v4, 0x160, v0
	s_delay_alu instid0(VALU_DEP_3) | instskip(SKIP_3) | instid1(VALU_DEP_3)
	v_ashrrev_i32_e32 v18, 31, v17
	v_cndmask_b32_e32 v19, s20, v2, vcc_lo
	v_cmp_gt_i32_e32 vcc_lo, s40, v6
	v_ashrrev_i32_e32 v2, 31, v1
	v_ashrrev_i32_e32 v20, 31, v19
	v_cndmask_b32_e32 v21, s20, v6, vcc_lo
	v_cmp_gt_i32_e32 vcc_lo, s40, v4
	s_delay_alu instid0(VALU_DEP_4) | instskip(SKIP_1) | instid1(VALU_DEP_4)
	v_lshlrev_b64 v[25:26], 2, v[1:2]
	v_ashrrev_i32_e32 v6, 31, v5
	v_ashrrev_i32_e32 v22, 31, v21
	v_cndmask_b32_e32 v23, s20, v4, vcc_lo
	v_ashrrev_i32_e32 v4, 31, v3
	s_lshl_b64 s[20:21], s[18:19], 2
	s_waitcnt lgkmcnt(0)
	s_add_u32 s19, s10, s20
	s_addc_u32 s25, s11, s21
	s_lshl_b64 s[10:11], s[6:7], 2
	v_lshlrev_b64 v[2:3], 2, v[3:4]
	s_add_u32 s7, s19, s10
	s_addc_u32 s19, s25, s11
	v_add_co_u32 v27, vcc_lo, s7, v25
	v_lshlrev_b64 v[4:5], 2, v[5:6]
	v_add_co_ci_u32_e32 v28, vcc_lo, s19, v26, vcc_lo
	v_add_co_u32 v29, vcc_lo, s7, v2
	v_lshlrev_b64 v[6:7], 2, v[7:8]
	v_add_co_ci_u32_e32 v30, vcc_lo, s19, v3, vcc_lo
	;; [unrolled: 3-line block ×4, first 2 shown]
	s_clause 0x3
	global_load_b32 v39, v[27:28], off
	global_load_b32 v40, v[29:30], off
	;; [unrolled: 1-line block ×4, first 2 shown]
	v_add_co_u32 v27, vcc_lo, s7, v8
	v_lshlrev_b64 v[12:13], 2, v[13:14]
	v_add_co_ci_u32_e32 v28, vcc_lo, s19, v9, vcc_lo
	v_add_co_u32 v29, vcc_lo, s7, v10
	v_lshlrev_b64 v[14:15], 2, v[15:16]
	v_add_co_ci_u32_e32 v30, vcc_lo, s19, v11, vcc_lo
	;; [unrolled: 3-line block ×4, first 2 shown]
	v_ashrrev_i32_e32 v24, 31, v23
	v_add_co_u32 v35, vcc_lo, s7, v16
	v_lshlrev_b64 v[20:21], 2, v[21:22]
	v_add_co_ci_u32_e32 v36, vcc_lo, s19, v17, vcc_lo
	v_add_co_u32 v37, vcc_lo, s7, v18
	v_lshlrev_b64 v[22:23], 2, v[23:24]
	v_add_co_ci_u32_e32 v38, vcc_lo, s19, v19, vcc_lo
	s_clause 0x5
	global_load_b32 v43, v[27:28], off
	global_load_b32 v44, v[29:30], off
	;; [unrolled: 1-line block ×6, first 2 shown]
	v_add_co_u32 v27, vcc_lo, s7, v20
	v_add_co_ci_u32_e32 v28, vcc_lo, s19, v21, vcc_lo
	v_add_co_u32 v29, vcc_lo, s7, v22
	v_add_co_ci_u32_e32 v30, vcc_lo, s19, v23, vcc_lo
	s_clause 0x1
	global_load_b32 v27, v[27:28], off
	global_load_b32 v28, v[29:30], off
	v_mbcnt_lo_u32_b32 v29, -1, 0
	s_add_u32 s7, s8, s20
	s_addc_u32 s8, s9, s21
	s_add_u32 s7, s7, s10
	s_addc_u32 s8, s8, s11
	v_xor_b32_e32 v1, 16, v29
	v_xor_b32_e32 v24, 8, v29
	s_delay_alu instid0(VALU_DEP_2) | instskip(SKIP_1) | instid1(VALU_DEP_3)
	v_cmp_gt_i32_e32 vcc_lo, 32, v1
	v_cndmask_b32_e32 v1, v29, v1, vcc_lo
	v_cmp_gt_i32_e32 vcc_lo, 32, v24
	s_delay_alu instid0(VALU_DEP_2) | instskip(SKIP_2) | instid1(VALU_DEP_1)
	v_dual_cndmask_b32 v30, v29, v24 :: v_dual_lshlrev_b32 v1, 2, v1
	s_waitcnt vmcnt(10)
	v_dual_max_f32 v35, v39, v39 :: v_dual_max_f32 v24, v40, v40
	v_max_f32_e32 v35, v35, v24
	v_add_co_u32 v24, vcc_lo, s7, v25
	v_add_co_ci_u32_e32 v25, vcc_lo, s8, v26, vcc_lo
	s_waitcnt vmcnt(8)
	s_delay_alu instid0(VALU_DEP_3)
	v_max3_f32 v26, v35, v41, v42
	v_add_co_u32 v2, vcc_lo, s7, v2
	v_add_co_ci_u32_e32 v3, vcc_lo, s8, v3, vcc_lo
	v_add_co_u32 v4, vcc_lo, s7, v4
	v_add_co_ci_u32_e32 v5, vcc_lo, s8, v5, vcc_lo
	;; [unrolled: 2-line block ×3, first 2 shown]
	s_clause 0x1
	global_load_b32 v24, v[24:25], off
	global_load_b32 v25, v[2:3], off
	v_add_co_u32 v2, vcc_lo, s7, v8
	v_add_co_ci_u32_e32 v3, vcc_lo, s8, v9, vcc_lo
	global_load_b32 v35, v[4:5], off
	v_add_co_u32 v4, vcc_lo, s7, v10
	s_waitcnt vmcnt(9)
	v_max3_f32 v26, v26, v43, v44
	v_add_co_ci_u32_e32 v5, vcc_lo, s8, v11, vcc_lo
	global_load_b32 v10, v[6:7], off
	v_add_co_u32 v6, vcc_lo, s7, v12
	s_waitcnt vmcnt(8)
	v_max3_f32 v26, v26, v31, v32
	v_add_co_ci_u32_e32 v7, vcc_lo, s8, v13, vcc_lo
	s_clause 0x1
	global_load_b32 v12, v[2:3], off
	global_load_b32 v4, v[4:5], off
	s_waitcnt vmcnt(8)
	v_max3_f32 v26, v26, v33, v34
	v_add_co_u32 v2, vcc_lo, s7, v14
	v_add_co_ci_u32_e32 v3, vcc_lo, s8, v15, vcc_lo
	s_waitcnt vmcnt(6)
	s_delay_alu instid0(VALU_DEP_3)
	v_max3_f32 v26, v26, v27, v28
	v_add_co_u32 v8, vcc_lo, s7, v16
	v_add_co_ci_u32_e32 v9, vcc_lo, s8, v17, vcc_lo
	ds_bpermute_b32 v11, v1, v26
	s_clause 0x2
	global_load_b32 v6, v[6:7], off
	global_load_b32 v7, v[2:3], off
	;; [unrolled: 1-line block ×3, first 2 shown]
	v_lshlrev_b32_e32 v5, 2, v30
	v_add_co_u32 v2, vcc_lo, s7, v18
	v_add_co_ci_u32_e32 v3, vcc_lo, s8, v19, vcc_lo
	v_xor_b32_e32 v15, 4, v29
	v_xor_b32_e32 v16, 1, v29
	s_waitcnt lgkmcnt(0)
	v_max_f32_e32 v9, v11, v11
	global_load_b32 v11, v[2:3], off
	v_add_co_u32 v2, vcc_lo, s7, v20
	v_add_co_ci_u32_e32 v3, vcc_lo, s8, v21, vcc_lo
	v_max_f32_e32 v9, v26, v9
	global_load_b32 v14, v[2:3], off
	v_add_co_u32 v2, vcc_lo, s7, v22
	ds_bpermute_b32 v13, v5, v9
	v_add_co_ci_u32_e32 v3, vcc_lo, s8, v23, vcc_lo
	v_cmp_gt_i32_e32 vcc_lo, 32, v15
	s_mov_b32 s7, exec_lo
	global_load_b32 v3, v[2:3], off
	v_cndmask_b32_e32 v15, v29, v15, vcc_lo
	s_waitcnt lgkmcnt(0)
	s_delay_alu instid0(VALU_DEP_1) | instskip(SKIP_1) | instid1(VALU_DEP_2)
	v_dual_max_f32 v2, v13, v13 :: v_dual_lshlrev_b32 v13, 2, v15
	v_xor_b32_e32 v15, 2, v29
	v_max_f32_e32 v2, v9, v2
	s_delay_alu instid0(VALU_DEP_2) | instskip(SKIP_3) | instid1(VALU_DEP_2)
	v_cmp_gt_i32_e32 vcc_lo, 32, v15
	ds_bpermute_b32 v9, v13, v2
	v_cndmask_b32_e32 v15, v29, v15, vcc_lo
	v_cmp_gt_i32_e32 vcc_lo, 32, v16
	v_dual_cndmask_b32 v16, v29, v16 :: v_dual_lshlrev_b32 v15, 2, v15
	s_waitcnt lgkmcnt(0)
	s_delay_alu instid0(VALU_DEP_1) | instskip(NEXT) | instid1(VALU_DEP_1)
	v_dual_max_f32 v9, v9, v9 :: v_dual_lshlrev_b32 v16, 2, v16
	v_max_f32_e32 v2, v2, v9
	ds_bpermute_b32 v9, v15, v2
	s_waitcnt lgkmcnt(0)
	v_max_f32_e32 v9, v9, v9
	s_delay_alu instid0(VALU_DEP_1) | instskip(SKIP_3) | instid1(VALU_DEP_1)
	v_max_f32_e32 v2, v2, v9
	ds_bpermute_b32 v9, v16, v2
	s_waitcnt lgkmcnt(0)
	v_max_f32_e32 v9, v9, v9
	v_max_f32_e32 v2, v2, v9
	v_sub_nc_u32_e32 v9, s40, v0
	s_delay_alu instid0(VALU_DEP_2)
	v_sub_f32_e32 v21, v43, v2
	v_sub_f32_e32 v30, v34, v2
	;; [unrolled: 1-line block ×5, first 2 shown]
	v_mul_f32_e32 v34, 0x3fb8aa3b, v21
	v_sub_f32_e32 v18, v40, v2
	v_mul_f32_e32 v36, 0x3fb8aa3b, v22
	v_mul_f32_e32 v32, 0x3fb8aa3b, v19
	;; [unrolled: 1-line block ×3, first 2 shown]
	v_fma_f32 v51, 0x3fb8aa3b, v21, -v34
	v_rndne_f32_e32 v52, v34
	v_mul_f32_e32 v40, 0x3fb8aa3b, v30
	v_fma_f32 v53, 0x3fb8aa3b, v22, -v36
	v_rndne_f32_e32 v54, v36
	s_delay_alu instid0(VALU_DEP_4)
	v_dual_fmac_f32 v51, 0x32a5705f, v21 :: v_dual_sub_f32 v34, v34, v52
	v_sub_f32_e32 v20, v42, v2
	v_fma_f32 v47, 0x3fb8aa3b, v19, -v32
	v_rndne_f32_e32 v48, v32
	v_fma_f32 v57, 0x3fb8aa3b, v26, -v38
	v_add_f32_e32 v34, v34, v51
	v_rndne_f32_e32 v58, v38
	v_fma_f32 v61, 0x3fb8aa3b, v30, -v40
	v_rndne_f32_e32 v62, v40
	v_cvt_i32_f32_e32 v52, v52
	v_exp_f32_e32 v34, v34
	v_fmac_f32_e32 v53, 0x32a5705f, v22
	v_sub_f32_e32 v36, v36, v54
	v_sub_f32_e32 v23, v31, v2
	v_dual_sub_f32 v17, v39, v2 :: v_dual_sub_f32 v32, v32, v48
	v_fmac_f32_e32 v57, 0x32a5705f, v26
	v_sub_f32_e32 v38, v38, v58
	v_sub_f32_e32 v29, v33, v2
	v_dual_mul_f32 v33, 0x3fb8aa3b, v20 :: v_dual_sub_f32 v40, v40, v62
	v_fmac_f32_e32 v61, 0x32a5705f, v30
	v_sub_f32_e32 v27, v27, v2
	v_sub_f32_e32 v2, v28, v2
	v_dual_add_f32 v36, v36, v53 :: v_dual_mul_f32 v37, 0x3fb8aa3b, v23
	v_ldexp_f32 v34, v34, v52
	v_fmac_f32_e32 v47, 0x32a5705f, v19
	s_delay_alu instid0(VALU_DEP_4)
	v_mul_f32_e32 v42, 0x3fb8aa3b, v2
	v_mul_f32_e32 v28, 0x3fb8aa3b, v17
	v_add_f32_e32 v40, v40, v61
	v_cvt_i32_f32_e32 v48, v48
	v_add_f32_e32 v32, v32, v47
	v_fma_f32 v65, 0x3fb8aa3b, v2, -v42
	v_rndne_f32_e32 v66, v42
	v_fma_f32 v43, 0x3fb8aa3b, v17, -v28
	v_rndne_f32_e32 v44, v28
	v_exp_f32_e32 v32, v32
	v_fmac_f32_e32 v65, 0x32a5705f, v2
	v_sub_f32_e32 v42, v42, v66
	v_dual_mul_f32 v31, 0x3fb8aa3b, v18 :: v_dual_add_f32 v38, v38, v57
	v_mul_f32_e32 v39, 0x3fb8aa3b, v29
	v_exp_f32_e32 v36, v36
	v_exp_f32_e32 v40, v40
	v_sub_f32_e32 v28, v28, v44
	v_cvt_i32_f32_e32 v54, v54
	v_cvt_i32_f32_e32 v62, v62
	v_add_f32_e32 v42, v42, v65
	v_fma_f32 v45, 0x3fb8aa3b, v18, -v31
	v_rndne_f32_e32 v46, v31
	v_ldexp_f32 v32, v32, v48
	v_fmac_f32_e32 v43, 0x32a5705f, v17
	v_ldexp_f32 v36, v36, v54
	v_fmac_f32_e32 v45, 0x32a5705f, v18
	v_ldexp_f32 v40, v40, v62
	s_delay_alu instid0(VALU_DEP_4) | instskip(SKIP_3) | instid1(VALU_DEP_3)
	v_dual_sub_f32 v31, v31, v46 :: v_dual_add_f32 v28, v28, v43
	v_cvt_i32_f32_e32 v44, v44
	v_cvt_i32_f32_e32 v46, v46
	v_exp_f32_e32 v38, v38
	v_add_f32_e32 v31, v31, v45
	v_exp_f32_e32 v28, v28
	v_cmp_ngt_f32_e32 vcc_lo, 0xc2ce8ed0, v17
	v_fma_f32 v49, 0x3fb8aa3b, v20, -v33
	v_rndne_f32_e32 v50, v33
	v_exp_f32_e32 v31, v31
	v_cvt_i32_f32_e32 v58, v58
	v_fma_f32 v55, 0x3fb8aa3b, v23, -v37
	v_rndne_f32_e32 v56, v37
	v_fma_f32 v59, 0x3fb8aa3b, v29, -v39
	v_rndne_f32_e32 v60, v39
	v_ldexp_f32 v28, v28, v44
	v_mul_f32_e32 v41, 0x3fb8aa3b, v27
	v_ldexp_f32 v38, v38, v58
	v_fmac_f32_e32 v49, 0x32a5705f, v20
	v_ldexp_f32 v31, v31, v46
	v_cndmask_b32_e32 v28, 0, v28, vcc_lo
	v_cmp_ngt_f32_e32 vcc_lo, 0xc2ce8ed0, v18
	v_fmac_f32_e32 v55, 0x32a5705f, v23
	v_fmac_f32_e32 v59, 0x32a5705f, v29
	v_rndne_f32_e32 v64, v41
	v_fma_f32 v63, 0x3fb8aa3b, v27, -v41
	v_cndmask_b32_e32 v31, 0, v31, vcc_lo
	v_sub_f32_e32 v33, v33, v50
	v_cvt_i32_f32_e32 v50, v50
	v_cmp_ngt_f32_e32 vcc_lo, 0xc2ce8ed0, v19
	v_exp_f32_e32 v42, v42
	s_delay_alu instid0(VALU_DEP_3) | instskip(SKIP_1) | instid1(VALU_DEP_2)
	v_dual_add_f32 v33, v33, v49 :: v_dual_cndmask_b32 v32, 0, v32
	v_cmp_ngt_f32_e32 vcc_lo, 0xc2ce8ed0, v20
	v_exp_f32_e32 v33, v33
	s_waitcnt_depctr 0xfff
	v_ldexp_f32 v33, v33, v50
	s_delay_alu instid0(VALU_DEP_1) | instskip(SKIP_3) | instid1(VALU_DEP_3)
	v_cndmask_b32_e32 v33, 0, v33, vcc_lo
	v_sub_f32_e32 v37, v37, v56
	v_cmp_ngt_f32_e32 vcc_lo, 0xc2ce8ed0, v21
	v_cvt_i32_f32_e32 v56, v56
	v_dual_add_f32 v37, v37, v55 :: v_dual_cndmask_b32 v34, 0, v34
	v_cmp_ngt_f32_e32 vcc_lo, 0xc2ce8ed0, v22
	s_delay_alu instid0(VALU_DEP_2) | instskip(SKIP_4) | instid1(VALU_DEP_1)
	v_exp_f32_e32 v37, v37
	v_cndmask_b32_e32 v36, 0, v36, vcc_lo
	v_cmp_ngt_f32_e32 vcc_lo, 0xc2ce8ed0, v23
	s_waitcnt_depctr 0xfff
	v_ldexp_f32 v37, v37, v56
	v_cndmask_b32_e32 v37, 0, v37, vcc_lo
	v_cmp_ngt_f32_e32 vcc_lo, 0xc2ce8ed0, v26
	v_dual_cndmask_b32 v38, 0, v38 :: v_dual_sub_f32 v39, v39, v60
	v_cvt_i32_f32_e32 v60, v60
	v_cmp_ngt_f32_e32 vcc_lo, 0xc2ce8ed0, v29
	s_delay_alu instid0(VALU_DEP_3) | instskip(NEXT) | instid1(VALU_DEP_1)
	v_add_f32_e32 v39, v39, v59
	v_exp_f32_e32 v39, v39
	s_waitcnt_depctr 0xfff
	v_ldexp_f32 v39, v39, v60
	s_delay_alu instid0(VALU_DEP_1)
	v_cndmask_b32_e32 v39, 0, v39, vcc_lo
	v_cmp_ngt_f32_e32 vcc_lo, 0xc2ce8ed0, v30
	v_cndmask_b32_e32 v40, 0, v40, vcc_lo
	v_cmp_nlt_f32_e32 vcc_lo, 0x42b17218, v17
	v_cndmask_b32_e32 v17, 0x7f800000, v28, vcc_lo
	v_cmp_nlt_f32_e32 vcc_lo, 0x42b17218, v18
	;; [unrolled: 2-line block ×6, first 2 shown]
	v_cndmask_b32_e32 v22, 0x7f800000, v36, vcc_lo
	v_cmp_lt_i32_e32 vcc_lo, 0, v9
	v_cndmask_b32_e32 v17, 0, v17, vcc_lo
	v_cmp_lt_i32_e32 vcc_lo, 32, v9
	s_waitcnt vmcnt(11)
	s_delay_alu instid0(VALU_DEP_2) | instskip(SKIP_2) | instid1(VALU_DEP_2)
	v_dual_mul_f32 v17, v24, v17 :: v_dual_cndmask_b32 v18, 0, v18
	v_cmp_nlt_f32_e32 vcc_lo, 0x42b17218, v23
	s_waitcnt vmcnt(10)
	v_dual_mul_f32 v18, v25, v18 :: v_dual_cndmask_b32 v23, 0x7f800000, v37
	v_cmp_lt_i32_e32 vcc_lo, 64, v9
	v_cndmask_b32_e32 v19, 0, v19, vcc_lo
	v_cmp_nlt_f32_e32 vcc_lo, 0x42b17218, v26
	v_cndmask_b32_e32 v24, 0x7f800000, v38, vcc_lo
	v_cmp_lt_i32_e32 vcc_lo, 0x60, v9
	v_cndmask_b32_e32 v20, 0, v20, vcc_lo
	v_cmp_nlt_f32_e32 vcc_lo, 0x42b17218, v29
	v_sub_f32_e32 v41, v41, v64
	v_cvt_i32_f32_e32 v64, v64
	s_waitcnt vmcnt(8)
	v_mul_f32_e32 v10, v10, v20
	v_cndmask_b32_e32 v26, 0x7f800000, v39, vcc_lo
	v_cmp_lt_i32_e32 vcc_lo, 0x80, v9
	v_cndmask_b32_e32 v21, 0, v21, vcc_lo
	v_cmp_lt_i32_e32 vcc_lo, 0xa0, v9
	s_waitcnt vmcnt(7)
	s_delay_alu instid0(VALU_DEP_2) | instskip(SKIP_3) | instid1(VALU_DEP_2)
	v_dual_fmac_f32 v63, 0x32a5705f, v27 :: v_dual_mul_f32 v12, v12, v21
	v_cndmask_b32_e32 v22, 0, v22, vcc_lo
	v_cmp_lt_i32_e32 vcc_lo, 0xc0, v9
	s_waitcnt vmcnt(6)
	v_dual_mul_f32 v4, v4, v22 :: v_dual_cndmask_b32 v23, 0, v23
	v_cmp_lt_i32_e32 vcc_lo, 0xe0, v9
	s_waitcnt vmcnt(5)
	s_delay_alu instid0(VALU_DEP_2) | instskip(SKIP_3) | instid1(VALU_DEP_3)
	v_dual_mul_f32 v6, v6, v23 :: v_dual_cndmask_b32 v21, 0, v24
	v_cmp_lt_i32_e32 vcc_lo, 0x100, v9
	v_cvt_i32_f32_e32 v23, v66
	s_waitcnt vmcnt(4)
	v_dual_mul_f32 v7, v7, v21 :: v_dual_cndmask_b32 v24, 0, v26
	v_cmp_nlt_f32_e32 vcc_lo, 0x42b17218, v30
	s_waitcnt vmcnt(3)
	s_delay_alu instid0(VALU_DEP_2) | instskip(SKIP_1) | instid1(VALU_DEP_2)
	v_dual_add_f32 v41, v41, v63 :: v_dual_mul_f32 v8, v8, v24
	v_cndmask_b32_e32 v22, 0x7f800000, v40, vcc_lo
	v_exp_f32_e32 v41, v41
	v_cmp_ngt_f32_e32 vcc_lo, 0xc2ce8ed0, v27
	s_waitcnt_depctr 0xfff
	v_ldexp_f32 v41, v41, v64
	s_delay_alu instid0(VALU_DEP_1) | instskip(SKIP_4) | instid1(VALU_DEP_2)
	v_cndmask_b32_e32 v21, 0, v41, vcc_lo
	v_cmp_lt_i32_e32 vcc_lo, 0x120, v9
	v_cndmask_b32_e32 v22, 0, v22, vcc_lo
	v_cmp_nlt_f32_e32 vcc_lo, 0x42b17218, v27
	s_waitcnt vmcnt(2)
	v_mul_f32_e32 v11, v11, v22
	v_cndmask_b32_e32 v21, 0x7f800000, v21, vcc_lo
	v_cmp_lt_i32_e32 vcc_lo, 0x140, v9
	v_ldexp_f32 v22, v42, v23
	s_delay_alu instid0(VALU_DEP_3) | instskip(SKIP_2) | instid1(VALU_DEP_2)
	v_cndmask_b32_e32 v21, 0, v21, vcc_lo
	v_cmp_ngt_f32_e32 vcc_lo, 0xc2ce8ed0, v2
	s_waitcnt vmcnt(1)
	v_mul_f32_e32 v14, v14, v21
	v_cndmask_b32_e32 v22, 0, v22, vcc_lo
	v_cmp_nlt_f32_e32 vcc_lo, 0x42b17218, v2
	s_delay_alu instid0(VALU_DEP_2) | instskip(SKIP_1) | instid1(VALU_DEP_2)
	v_dual_mul_f32 v19, v35, v19 :: v_dual_cndmask_b32 v2, 0x7f800000, v22
	v_cmp_lt_i32_e32 vcc_lo, 0x160, v9
	v_cndmask_b32_e32 v9, 0, v2, vcc_lo
	v_add_f32_e32 v25, v17, v18
	s_delay_alu instid0(VALU_DEP_1) | instskip(NEXT) | instid1(VALU_DEP_1)
	v_add_f32_e32 v20, v25, v19
	v_add_f32_e32 v20, v20, v10
	s_delay_alu instid0(VALU_DEP_1) | instskip(NEXT) | instid1(VALU_DEP_1)
	v_add_f32_e32 v20, v20, v12
	;; [unrolled: 3-line block ×4, first 2 shown]
	v_add_f32_e32 v20, v20, v11
	s_delay_alu instid0(VALU_DEP_1) | instskip(SKIP_1) | instid1(VALU_DEP_1)
	v_add_f32_e32 v2, v20, v14
	s_waitcnt vmcnt(0)
	v_fmac_f32_e32 v2, v3, v9
	v_mul_f32_e32 v3, v3, v9
	ds_bpermute_b32 v1, v1, v2
	s_waitcnt lgkmcnt(0)
	v_add_f32_e32 v1, v2, v1
	ds_bpermute_b32 v2, v5, v1
	v_lshlrev_b32_e32 v5, 2, v0
	s_delay_alu instid0(VALU_DEP_1)
	v_add_nc_u32_e32 v9, 0x400, v5
	ds_store_2addr_b32 v5, v17, v18 offset1:32
	ds_store_2addr_b32 v5, v19, v10 offset0:64 offset1:96
	ds_store_2addr_b32 v5, v12, v4 offset0:128 offset1:160
	;; [unrolled: 1-line block ×3, first 2 shown]
	ds_store_2addr_b32 v9, v8, v11 offset1:32
	ds_store_2addr_b32 v9, v14, v3 offset0:64 offset1:96
	s_waitcnt lgkmcnt(6)
	v_add_f32_e32 v1, v1, v2
	ds_bpermute_b32 v2, v13, v1
	s_waitcnt lgkmcnt(0)
	v_add_f32_e32 v1, v1, v2
	ds_bpermute_b32 v2, v15, v1
	;; [unrolled: 3-line block ×3, first 2 shown]
	v_cmpx_eq_u32_e32 0, v0
	s_cbranch_execz .LBB665_8
; %bb.7:
	s_waitcnt lgkmcnt(0)
	v_dual_add_f32 v1, v1, v2 :: v_dual_mov_b32 v2, 0
	ds_store_b32 v2, v1 offset:1536
.LBB665_8:
	s_or_b32 exec_lo, exec_lo, s7
	v_mov_b32_e32 v1, s6
.LBB665_9:
	s_or_b32 exec_lo, exec_lo, s24
	s_lshl_b32 s6, s18, 7
	s_mov_b32 s7, 0
	s_waitcnt lgkmcnt(0)
	v_dual_mov_b32 v2, 0 :: v_dual_lshlrev_b32 v1, 7, v1
	s_lshl_b64 s[6:7], s[6:7], 1
	v_lshlrev_b32_e32 v0, 1, v0
	s_add_u32 s34, s4, s6
	s_addc_u32 s35, s5, s7
	s_lshl_b32 s41, s40, 7
	v_lshlrev_b64 v[3:4], 1, v[1:2]
	s_add_i32 s42, s41, 0xffffff80
	s_cmpk_lt_i32 s22, 0x100
	v_dual_mov_b32 v30, 0 :: v_dual_mov_b32 v33, 0
	s_cselect_b32 s4, s42, 0
	s_delay_alu instid0(VALU_DEP_2)
	v_add_co_u32 v1, vcc_lo, s34, v3
	s_ashr_i32 s5, s4, 31
	v_add_co_ci_u32_e32 v3, vcc_lo, s35, v4, vcc_lo
	s_lshl_b64 s[4:5], s[4:5], 1
	s_cmpk_lt_i32 s22, 0x200
	v_add_co_u32 v1, vcc_lo, v1, v0
	s_cselect_b32 s6, s42, 0x80
	v_add_co_ci_u32_e32 v3, vcc_lo, 0, v3, vcc_lo
	s_ashr_i32 s7, s6, 31
	s_delay_alu instid0(VALU_DEP_2)
	v_add_co_u32 v4, vcc_lo, v1, s4
	s_lshl_b64 s[6:7], s[6:7], 1
	s_cmpk_lt_i32 s22, 0x300
	v_add_co_ci_u32_e32 v5, vcc_lo, s5, v3, vcc_lo
	s_cselect_b32 s8, s42, 0x100
	v_add_co_u32 v6, vcc_lo, v1, s6
	s_ashr_i32 s9, s8, 31
	v_add_co_ci_u32_e32 v7, vcc_lo, s7, v3, vcc_lo
	s_lshl_b64 s[8:9], s[8:9], 1
	s_cmpk_lt_i32 s22, 0x400
	v_add_co_u32 v8, vcc_lo, v1, s8
	s_cselect_b32 s10, s42, 0x180
	v_add_co_ci_u32_e32 v9, vcc_lo, s9, v3, vcc_lo
	s_ashr_i32 s11, s10, 31
	v_dual_mov_b32 v32, 0 :: v_dual_mov_b32 v35, 0
	s_lshl_b64 s[10:11], s[10:11], 1
	s_cmpk_lt_i32 s22, 0x500
	v_add_co_u32 v11, vcc_lo, v1, s10
	s_cselect_b32 s18, s42, 0x200
	v_add_co_ci_u32_e32 v12, vcc_lo, s11, v3, vcc_lo
	s_ashr_i32 s19, s18, 31
	v_mov_b32_e32 v34, 0
	s_lshl_b64 s[18:19], s[18:19], 1
	s_cmpk_lt_i32 s22, 0x600
	v_add_co_u32 v14, vcc_lo, v1, s18
	s_cselect_b32 s20, s42, 0x280
	v_add_co_ci_u32_e32 v15, vcc_lo, s19, v3, vcc_lo
	s_ashr_i32 s21, s20, 31
	v_mov_b32_e32 v31, 0
	s_lshl_b64 s[20:21], s[20:21], 1
	s_cmpk_lt_i32 s22, 0x700
	v_add_co_u32 v16, vcc_lo, v1, s20
	s_cselect_b32 s24, s42, 0x300
	v_add_co_ci_u32_e32 v17, vcc_lo, s21, v3, vcc_lo
	s_ashr_i32 s25, s24, 31
	s_delay_alu instid0(SALU_CYCLE_1)
	s_lshl_b64 s[24:25], s[24:25], 1
	s_cmpk_lt_i32 s22, 0x800
	v_add_co_u32 v18, vcc_lo, v1, s24
	s_cselect_b32 s26, s42, 0x380
	v_add_co_ci_u32_e32 v19, vcc_lo, s25, v3, vcc_lo
	s_ashr_i32 s27, s26, 31
	s_delay_alu instid0(SALU_CYCLE_1)
	s_lshl_b64 s[26:27], s[26:27], 1
	s_cmpk_lt_i32 s22, 0x900
	v_add_co_u32 v20, vcc_lo, v1, s26
	s_cselect_b32 s28, s42, 0x400
	v_add_co_ci_u32_e32 v21, vcc_lo, s27, v3, vcc_lo
	s_ashr_i32 s29, s28, 31
	s_clause 0x7
	global_load_u16 v13, v[4:5], off
	global_load_u16 v4, v[6:7], off
	;; [unrolled: 1-line block ×8, first 2 shown]
	s_lshl_b64 s[28:29], s[28:29], 1
	s_cmpk_lt_i32 s22, 0xa00
	v_add_co_u32 v11, vcc_lo, v1, s28
	s_cselect_b32 s30, s42, 0x480
	v_add_co_ci_u32_e32 v12, vcc_lo, s29, v3, vcc_lo
	s_ashr_i32 s31, s30, 31
	s_delay_alu instid0(SALU_CYCLE_1)
	s_lshl_b64 s[30:31], s[30:31], 1
	s_cmpk_lt_i32 s22, 0xb00
	v_add_co_u32 v14, vcc_lo, v1, s30
	s_cselect_b32 s34, s42, 0x500
	v_add_co_ci_u32_e32 v15, vcc_lo, s31, v3, vcc_lo
	s_ashr_i32 s35, s34, 31
	s_delay_alu instid0(SALU_CYCLE_1)
	;; [unrolled: 7-line block ×7, first 2 shown]
	s_lshl_b64 s[4:5], s[6:7], 1
	s_cmpk_gt_i32 s23, 0x1000
	v_add_co_u32 v28, vcc_lo, v1, s4
	v_add_co_ci_u32_e32 v29, vcc_lo, s5, v3, vcc_lo
	s_clause 0x7
	global_load_u16 v19, v[11:12], off
	global_load_u16 v18, v[14:15], off
	;; [unrolled: 1-line block ×8, first 2 shown]
	v_dual_mov_b32 v20, 0 :: v_dual_mov_b32 v23, 0
	v_dual_mov_b32 v21, 0 :: v_dual_mov_b32 v22, 0
	;; [unrolled: 1-line block ×5, first 2 shown]
	s_cselect_b32 s6, -1, 0
	s_cmpk_lt_i32 s23, 0x1001
	s_waitcnt vmcnt(0)
	s_barrier
	buffer_gl0_inv
	s_cbranch_scc1 .LBB665_11
; %bb.10:
	s_cmpk_lt_i32 s22, 0x1100
	s_cselect_b32 s4, s42, 0x800
	s_delay_alu instid0(SALU_CYCLE_1) | instskip(NEXT) | instid1(SALU_CYCLE_1)
	s_ashr_i32 s5, s4, 31
	s_lshl_b64 s[4:5], s[4:5], 1
	s_cmpk_lt_i32 s22, 0x1200
	v_add_co_u32 v20, vcc_lo, v1, s4
	s_cselect_b32 s8, s42, 0x880
	v_add_co_ci_u32_e32 v21, vcc_lo, s5, v3, vcc_lo
	s_ashr_i32 s9, s8, 31
	s_delay_alu instid0(SALU_CYCLE_1)
	s_lshl_b64 s[8:9], s[8:9], 1
	s_cmpk_lt_i32 s22, 0x1300
	v_add_co_u32 v22, vcc_lo, v1, s8
	s_cselect_b32 s10, s42, 0x900
	v_add_co_ci_u32_e32 v23, vcc_lo, s9, v3, vcc_lo
	s_ashr_i32 s11, s10, 31
	s_delay_alu instid0(SALU_CYCLE_1)
	;; [unrolled: 7-line block ×14, first 2 shown]
	s_lshl_b64 s[4:5], s[18:19], 1
	s_cmpk_lt_i32 s22, 0x2000
	v_add_co_u32 v48, vcc_lo, v1, s4
	s_cselect_b32 s8, s42, 0xf80
	v_add_co_ci_u32_e32 v49, vcc_lo, s5, v3, vcc_lo
	s_ashr_i32 s9, s8, 31
	s_delay_alu instid0(SALU_CYCLE_1) | instskip(NEXT) | instid1(SALU_CYCLE_1)
	s_lshl_b64 s[4:5], s[8:9], 1
	v_add_co_u32 v50, vcc_lo, v1, s4
	v_add_co_ci_u32_e32 v51, vcc_lo, s5, v3, vcc_lo
	s_clause 0xf
	global_load_u16 v20, v[20:21], off
	global_load_u16 v21, v[22:23], off
	;; [unrolled: 1-line block ×16, first 2 shown]
	s_waitcnt vmcnt(15)
	v_lshlrev_b32_e32 v35, 16, v20
	s_waitcnt vmcnt(14)
	v_lshlrev_b32_e32 v34, 16, v21
	;; [unrolled: 2-line block ×16, first 2 shown]
.LBB665_11:
	ds_load_b128 v[36:39], v2
	ds_load_b128 v[40:43], v2 offset:16
	v_lshlrev_b32_e32 v44, 16, v4
	v_lshlrev_b32_e32 v13, 16, v13
	;; [unrolled: 1-line block ×5, first 2 shown]
	s_load_b64 s[0:1], s[0:1], 0x0
	s_and_b32 vcc_lo, exec_lo, s6
	v_lshlrev_b32_e32 v5, 16, v5
	s_waitcnt lgkmcnt(0)
	v_fma_f32 v4, v36, v13, 0
	s_delay_alu instid0(VALU_DEP_1) | instskip(NEXT) | instid1(VALU_DEP_1)
	v_dual_fmac_f32 v4, v37, v44 :: v_dual_lshlrev_b32 v13, 16, v7
	v_dual_fmac_f32 v4, v38, v10 :: v_dual_lshlrev_b32 v9, 16, v9
	s_delay_alu instid0(VALU_DEP_1) | instskip(SKIP_4) | instid1(VALU_DEP_1)
	v_fmac_f32_e32 v4, v39, v9
	ds_load_b128 v[36:39], v2 offset:48
	v_fmac_f32_e32 v4, v40, v8
	ds_load_b128 v[7:10], v2 offset:32
	v_fmac_f32_e32 v4, v41, v13
	v_fmac_f32_e32 v4, v42, v6
	v_lshlrev_b32_e32 v6, 16, v19
	s_delay_alu instid0(VALU_DEP_2) | instskip(SKIP_1) | instid1(VALU_DEP_1)
	v_dual_fmac_f32 v4, v43, v5 :: v_dual_lshlrev_b32 v5, 16, v18
	s_waitcnt lgkmcnt(0)
	v_fmac_f32_e32 v4, v7, v6
	v_lshlrev_b32_e32 v6, 16, v17
	s_delay_alu instid0(VALU_DEP_2) | instskip(NEXT) | instid1(VALU_DEP_1)
	v_dual_fmac_f32 v4, v8, v5 :: v_dual_lshlrev_b32 v5, 16, v16
	v_fmac_f32_e32 v4, v9, v6
	v_lshlrev_b32_e32 v6, 16, v15
	s_delay_alu instid0(VALU_DEP_2) | instskip(NEXT) | instid1(VALU_DEP_1)
	v_dual_fmac_f32 v4, v10, v5 :: v_dual_lshlrev_b32 v5, 16, v14
	v_fmac_f32_e32 v4, v36, v6
	v_lshlrev_b32_e32 v6, 16, v12
	s_delay_alu instid0(VALU_DEP_2) | instskip(NEXT) | instid1(VALU_DEP_1)
	v_dual_fmac_f32 v4, v37, v5 :: v_dual_lshlrev_b32 v5, 16, v11
	v_fmac_f32_e32 v4, v38, v6
	s_delay_alu instid0(VALU_DEP_1)
	v_fmac_f32_e32 v4, v39, v5
	s_cbranch_vccz .LBB665_13
; %bb.12:
	ds_load_b128 v[5:8], v2 offset:64
	ds_load_b128 v[9:12], v2 offset:80
	s_waitcnt lgkmcnt(1)
	v_fmac_f32_e32 v4, v5, v35
	s_delay_alu instid0(VALU_DEP_1) | instskip(NEXT) | instid1(VALU_DEP_1)
	v_fmac_f32_e32 v4, v6, v34
	v_fmac_f32_e32 v4, v7, v33
	s_delay_alu instid0(VALU_DEP_1) | instskip(SKIP_3) | instid1(VALU_DEP_1)
	v_fmac_f32_e32 v4, v8, v32
	ds_load_b128 v[5:8], v2 offset:96
	s_waitcnt lgkmcnt(1)
	v_fmac_f32_e32 v4, v9, v31
	v_fmac_f32_e32 v4, v10, v30
	s_delay_alu instid0(VALU_DEP_1) | instskip(NEXT) | instid1(VALU_DEP_1)
	v_fmac_f32_e32 v4, v11, v29
	v_fmac_f32_e32 v4, v12, v28
	ds_load_b128 v[9:12], v2 offset:112
	s_waitcnt lgkmcnt(1)
	v_fmac_f32_e32 v4, v5, v27
	s_delay_alu instid0(VALU_DEP_1) | instskip(NEXT) | instid1(VALU_DEP_1)
	v_fmac_f32_e32 v4, v6, v26
	v_fmac_f32_e32 v4, v7, v25
	s_delay_alu instid0(VALU_DEP_1) | instskip(SKIP_1) | instid1(VALU_DEP_1)
	v_fmac_f32_e32 v4, v8, v24
	s_waitcnt lgkmcnt(0)
	v_fmac_f32_e32 v4, v9, v23
	s_delay_alu instid0(VALU_DEP_1) | instskip(NEXT) | instid1(VALU_DEP_1)
	v_fmac_f32_e32 v4, v10, v22
	v_fmac_f32_e32 v4, v11, v21
	s_delay_alu instid0(VALU_DEP_1)
	v_fmac_f32_e32 v4, v12, v20
.LBB665_13:
	s_movk_i32 s43, 0x1f80
	s_movk_i32 s44, 0x80
	s_mov_b32 s45, 32
	s_branch .LBB665_15
.LBB665_14:                             ;   in Loop: Header=BB665_15 Depth=1
	s_addk_i32 s43, 0x1000
	s_addk_i32 s44, 0x80
	s_add_i32 s45, s45, 32
	s_cmpk_eq_u32 s43, 0xcf80
	s_cbranch_scc1 .LBB665_17
.LBB665_15:                             ; =>This Inner Loop Header: Depth=1
	s_cmp_le_i32 s40, s45
	s_cbranch_scc1 .LBB665_14
; %bb.16:                               ;   in Loop: Header=BB665_15 Depth=1
	s_add_i32 s4, s43, 0xfffff080
	v_mov_b32_e32 v44, s44
	s_cmp_lt_i32 s4, s41
	s_cselect_b32 s4, s4, s42
	s_add_i32 s6, s43, 0xfffff100
	s_ashr_i32 s5, s4, 31
	s_delay_alu instid0(SALU_CYCLE_1)
	s_lshl_b64 s[38:39], s[4:5], 1
	s_cmp_lt_i32 s6, s41
	v_add_co_u32 v5, vcc_lo, v1, s38
	s_cselect_b32 s4, s6, s42
	s_add_i32 s6, s43, 0xfffff180
	s_ashr_i32 s5, s4, 31
	v_add_co_ci_u32_e32 v6, vcc_lo, s39, v3, vcc_lo
	s_lshl_b64 s[4:5], s[4:5], 1
	s_cmp_lt_i32 s6, s41
	s_cselect_b32 s6, s6, s42
	s_add_i32 s8, s43, 0xfffff200
	s_ashr_i32 s7, s6, 31
	global_load_u16 v2, v[5:6], off
	s_lshl_b64 s[6:7], s[6:7], 1
	s_cmp_lt_i32 s8, s41
	v_add_co_u32 v5, vcc_lo, v1, s4
	s_cselect_b32 s8, s8, s42
	s_add_i32 s10, s43, 0xfffff280
	s_ashr_i32 s9, s8, 31
	v_add_co_ci_u32_e32 v6, vcc_lo, s5, v3, vcc_lo
	s_lshl_b64 s[8:9], s[8:9], 1
	s_cmp_lt_i32 s10, s41
	v_add_co_u32 v7, vcc_lo, v1, s6
	s_cselect_b32 s10, s10, s42
	s_add_i32 s18, s43, 0xfffff300
	s_ashr_i32 s11, s10, 31
	v_add_co_ci_u32_e32 v8, vcc_lo, s7, v3, vcc_lo
	s_lshl_b64 s[10:11], s[10:11], 1
	s_cmp_lt_i32 s18, s41
	v_add_co_u32 v9, vcc_lo, v1, s8
	s_cselect_b32 s18, s18, s42
	s_add_i32 s20, s43, 0xfffff380
	s_ashr_i32 s19, s18, 31
	s_clause 0x1
	global_load_u16 v23, v[5:6], off
	global_load_u16 v24, v[7:8], off
	s_lshl_b64 s[18:19], s[18:19], 1
	s_cmp_lt_i32 s20, s41
	v_add_co_ci_u32_e32 v10, vcc_lo, s9, v3, vcc_lo
	s_cselect_b32 s20, s20, s42
	s_add_i32 s22, s43, 0xfffff400
	s_ashr_i32 s21, s20, 31
	global_load_u16 v25, v[9:10], off
	s_lshl_b64 s[20:21], s[20:21], 1
	s_cmp_lt_i32 s22, s41
	v_add_co_u32 v11, vcc_lo, v1, s10
	s_cselect_b32 s22, s22, s42
	s_add_i32 s24, s43, 0xfffff480
	s_ashr_i32 s23, s22, 31
	v_add_co_ci_u32_e32 v12, vcc_lo, s11, v3, vcc_lo
	s_lshl_b64 s[22:23], s[22:23], 1
	s_cmp_lt_i32 s24, s41
	v_add_co_u32 v13, vcc_lo, v1, s18
	global_load_u16 v26, v[11:12], off
	s_cselect_b32 s24, s24, s42
	s_add_i32 s26, s43, 0xfffff500
	s_ashr_i32 s25, s24, 31
	v_add_co_ci_u32_e32 v14, vcc_lo, s19, v3, vcc_lo
	s_lshl_b64 s[24:25], s[24:25], 1
	s_cmp_lt_i32 s26, s41
	v_add_co_u32 v15, vcc_lo, v1, s20
	global_load_u16 v27, v[13:14], off
	s_cselect_b32 s26, s26, s42
	s_add_i32 s28, s43, 0xfffff580
	s_ashr_i32 s27, s26, 31
	v_add_co_ci_u32_e32 v16, vcc_lo, s21, v3, vcc_lo
	s_lshl_b64 s[36:37], s[26:27], 1
	s_cmp_lt_i32 s28, s41
	v_add_co_u32 v17, vcc_lo, v1, s22
	s_cselect_b32 s26, s28, s42
	s_add_i32 s30, s43, 0xfffff600
	s_ashr_i32 s27, s26, 31
	v_add_co_ci_u32_e32 v18, vcc_lo, s23, v3, vcc_lo
	s_lshl_b64 s[28:29], s[26:27], 1
	s_cmp_lt_i32 s30, s41
	v_add_co_u32 v19, vcc_lo, v1, s24
	global_load_u16 v17, v[17:18], off
	s_cselect_b32 s26, s30, s42
	s_add_i32 s30, s43, 0xfffff680
	s_ashr_i32 s27, s26, 31
	v_add_co_ci_u32_e32 v20, vcc_lo, s25, v3, vcc_lo
	s_lshl_b64 s[26:27], s[26:27], 1
	s_cmp_lt_i32 s30, s41
	v_add_co_u32 v21, vcc_lo, v1, s36
	s_cselect_b32 s30, s30, s42
	s_add_i32 s46, s43, 0xfffff700
	s_ashr_i32 s31, s30, 31
	v_add_co_ci_u32_e32 v22, vcc_lo, s37, v3, vcc_lo
	s_lshl_b64 s[34:35], s[30:31], 1
	s_cmp_lt_i32 s46, s41
	v_add_co_u32 v5, vcc_lo, v1, s28
	;; [unrolled: 7-line block ×3, first 2 shown]
	s_cselect_b32 s46, s46, s42
	s_add_i32 s48, s43, 0xfffff800
	s_ashr_i32 s47, s46, 31
	global_load_u16 v28, v[15:16], off
	s_lshl_b64 s[38:39], s[46:47], 1
	s_cmp_lt_i32 s48, s41
	v_add_co_ci_u32_e32 v8, vcc_lo, s27, v3, vcc_lo
	s_cselect_b32 s46, s48, s42
	v_add_co_u32 v9, vcc_lo, v1, s34
	s_ashr_i32 s47, s46, 31
	s_add_i32 s4, s43, 0xfffff880
	s_lshl_b64 s[46:47], s[46:47], 1
	v_add_co_ci_u32_e32 v10, vcc_lo, s35, v3, vcc_lo
	s_cmp_lt_i32 s4, s41
	v_add_co_u32 v11, vcc_lo, v1, s30
	s_cselect_b32 s4, s4, s42
	v_add_co_ci_u32_e32 v12, vcc_lo, s31, v3, vcc_lo
	v_add_co_u32 v13, vcc_lo, v1, s38
	s_ashr_i32 s5, s4, 31
	s_add_i32 s6, s43, 0xfffff900
	v_add_co_ci_u32_e32 v14, vcc_lo, s39, v3, vcc_lo
	global_load_u16 v18, v[19:20], off
	s_lshl_b64 s[8:9], s[4:5], 1
	s_cmp_lt_i32 s6, s41
	global_load_u16 v30, v[13:14], off
	s_cselect_b32 s4, s6, s42
	global_load_u16 v19, v[21:22], off
	s_ashr_i32 s5, s4, 31
	s_add_i32 s6, s43, 0xfffff980
	s_lshl_b64 s[10:11], s[4:5], 1
	s_cmp_lt_i32 s6, s41
	s_clause 0x3
	global_load_u16 v20, v[5:6], off
	global_load_u16 v21, v[7:8], off
	;; [unrolled: 1-line block ×4, first 2 shown]
	s_cselect_b32 s4, s6, s42
	s_add_i32 s6, s43, 0xfffffa00
	s_ashr_i32 s5, s4, 31
	v_add_co_u32 v15, vcc_lo, v1, s46
	s_lshl_b64 s[4:5], s[4:5], 1
	s_cmp_lt_i32 s6, s41
	v_add_co_ci_u32_e32 v16, vcc_lo, s47, v3, vcc_lo
	s_cselect_b32 s6, s6, s42
	s_add_i32 s18, s43, 0xfffffa80
	s_ashr_i32 s7, s6, 31
	v_add_co_u32 v5, vcc_lo, v1, s8
	s_lshl_b64 s[6:7], s[6:7], 1
	s_cmp_lt_i32 s18, s41
	v_add_co_ci_u32_e32 v6, vcc_lo, s9, v3, vcc_lo
	s_cselect_b32 s18, s18, s42
	v_add_co_u32 v7, vcc_lo, v1, s10
	s_ashr_i32 s19, s18, 31
	s_add_i32 s20, s43, 0xfffffb00
	s_lshl_b64 s[18:19], s[18:19], 1
	v_add_co_ci_u32_e32 v8, vcc_lo, s11, v3, vcc_lo
	s_cmp_lt_i32 s20, s41
	v_add_co_u32 v9, vcc_lo, v1, s4
	s_cselect_b32 s20, s20, s42
	v_add_co_ci_u32_e32 v10, vcc_lo, s5, v3, vcc_lo
	v_add_co_u32 v11, vcc_lo, v1, s6
	s_ashr_i32 s21, s20, 31
	s_add_i32 s22, s43, 0xfffffb80
	v_add_co_ci_u32_e32 v12, vcc_lo, s7, v3, vcc_lo
	global_load_u16 v15, v[15:16], off
	s_lshl_b64 s[20:21], s[20:21], 1
	s_cmp_lt_i32 s22, s41
	global_load_u16 v33, v[11:12], off
	s_cselect_b32 s22, s22, s42
	s_clause 0x2
	global_load_u16 v16, v[5:6], off
	global_load_u16 v31, v[7:8], off
	;; [unrolled: 1-line block ×3, first 2 shown]
	s_ashr_i32 s23, s22, 31
	s_add_i32 s24, s43, 0xfffffc00
	s_lshl_b64 s[22:23], s[22:23], 1
	s_cmp_lt_i32 s24, s41
	v_add_co_u32 v13, vcc_lo, v1, s18
	s_cselect_b32 s24, s24, s42
	s_add_i32 s26, s43, 0xfffffc80
	s_ashr_i32 s25, s24, 31
	v_add_co_ci_u32_e32 v14, vcc_lo, s19, v3, vcc_lo
	s_lshl_b64 s[24:25], s[24:25], 1
	s_cmp_lt_i32 s26, s41
	v_add_co_u32 v5, vcc_lo, v1, s20
	s_cselect_b32 s8, s26, s42
	v_add_co_ci_u32_e32 v6, vcc_lo, s21, v3, vcc_lo
	s_ashr_i32 s9, s8, 31
	v_add_co_u32 v7, vcc_lo, v1, s22
	s_add_i32 s10, s43, 0xfffffd00
	s_lshl_b64 s[8:9], s[8:9], 1
	v_add_co_ci_u32_e32 v8, vcc_lo, s23, v3, vcc_lo
	s_cmp_lt_i32 s10, s41
	v_add_co_u32 v9, vcc_lo, v1, s24
	s_cselect_b32 s4, s10, s42
	global_load_u16 v13, v[13:14], off
	v_add_co_ci_u32_e32 v10, vcc_lo, s25, v3, vcc_lo
	s_ashr_i32 s5, s4, 31
	s_add_i32 s6, s43, 0xfffffd80
	s_lshl_b64 s[4:5], s[4:5], 1
	global_load_u16 v35, v[9:10], off
	s_cmp_lt_i32 s6, s41
	s_clause 0x1
	global_load_u16 v14, v[5:6], off
	global_load_u16 v34, v[7:8], off
	s_cselect_b32 s6, s6, s42
	s_add_i32 s10, s43, 0xfffffe00
	s_ashr_i32 s7, s6, 31
	v_add_co_u32 v5, vcc_lo, v1, s8
	s_lshl_b64 s[6:7], s[6:7], 1
	s_cmp_lt_i32 s10, s41
	v_add_co_ci_u32_e32 v6, vcc_lo, s9, v3, vcc_lo
	s_cselect_b32 s10, s10, s42
	v_add_co_u32 v7, vcc_lo, v1, s4
	s_ashr_i32 s11, s10, 31
	v_add_co_ci_u32_e32 v8, vcc_lo, s5, v3, vcc_lo
	s_add_i32 s18, s43, 0xfffffe80
	s_lshl_b64 s[10:11], s[10:11], 1
	s_cmp_lt_i32 s18, s41
	s_clause 0x1
	global_load_u16 v36, v[5:6], off
	global_load_u16 v37, v[7:8], off
	s_cselect_b32 s18, s18, s42
	v_add_co_u32 v5, vcc_lo, v1, s6
	s_ashr_i32 s19, s18, 31
	v_add_co_ci_u32_e32 v6, vcc_lo, s7, v3, vcc_lo
	s_add_i32 s20, s43, 0xffffff00
	v_add_co_u32 v7, vcc_lo, v1, s10
	s_lshl_b64 s[8:9], s[18:19], 1
	s_cmp_lt_i32 s20, s41
	v_add_co_ci_u32_e32 v8, vcc_lo, s11, v3, vcc_lo
	s_cselect_b32 s4, s20, s42
	global_load_u16 v38, v[5:6], off
	s_ashr_i32 s5, s4, 31
	global_load_u16 v39, v[7:8], off
	s_add_i32 s18, s43, 0xffffff80
	v_add_co_u32 v5, vcc_lo, v1, s8
	s_lshl_b64 s[4:5], s[4:5], 1
	s_cmp_lt_i32 s18, s41
	v_add_co_ci_u32_e32 v6, vcc_lo, s9, v3, vcc_lo
	v_add_co_u32 v7, vcc_lo, v1, s4
	s_cselect_b32 s6, s18, s42
	v_add_co_ci_u32_e32 v8, vcc_lo, s5, v3, vcc_lo
	s_ashr_i32 s7, s6, 31
	global_load_u16 v40, v[5:6], off
	s_lshl_b64 s[6:7], s[6:7], 1
	global_load_u16 v41, v[7:8], off
	s_cmp_lt_i32 s43, s41
	v_add_co_u32 v5, vcc_lo, v1, s6
	s_cselect_b32 s4, s43, s42
	v_add_co_ci_u32_e32 v6, vcc_lo, s7, v3, vcc_lo
	s_ashr_i32 s5, s4, 31
	s_delay_alu instid0(SALU_CYCLE_1)
	s_lshl_b64 s[4:5], s[4:5], 1
	global_load_u16 v42, v[5:6], off
	v_add_co_u32 v5, vcc_lo, v1, s4
	v_add_co_ci_u32_e32 v6, vcc_lo, s5, v3, vcc_lo
	global_load_u16 v43, v[5:6], off
	ds_load_b128 v[5:8], v44
	ds_load_b128 v[9:12], v44 offset:16
	s_waitcnt vmcnt(31)
	v_lshlrev_b32_e32 v2, 16, v2
	s_waitcnt lgkmcnt(1)
	s_delay_alu instid0(VALU_DEP_1) | instskip(SKIP_2) | instid1(VALU_DEP_1)
	v_fmac_f32_e32 v4, v5, v2
	s_waitcnt vmcnt(30)
	v_lshlrev_b32_e32 v2, 16, v23
	v_fmac_f32_e32 v4, v6, v2
	s_waitcnt vmcnt(29)
	v_lshlrev_b32_e32 v2, 16, v24
	s_delay_alu instid0(VALU_DEP_1) | instskip(SKIP_2) | instid1(VALU_DEP_1)
	v_fmac_f32_e32 v4, v7, v2
	s_waitcnt vmcnt(28)
	v_lshlrev_b32_e32 v2, 16, v25
	v_fmac_f32_e32 v4, v8, v2
	ds_load_b128 v[5:8], v44 offset:32
	s_waitcnt vmcnt(27)
	v_lshlrev_b32_e32 v2, 16, v26
	s_waitcnt lgkmcnt(1)
	s_delay_alu instid0(VALU_DEP_1) | instskip(SKIP_2) | instid1(VALU_DEP_1)
	v_fmac_f32_e32 v4, v9, v2
	s_waitcnt vmcnt(26)
	v_lshlrev_b32_e32 v2, 16, v27
	v_fmac_f32_e32 v4, v10, v2
	s_waitcnt vmcnt(24)
	v_lshlrev_b32_e32 v2, 16, v28
	s_delay_alu instid0(VALU_DEP_1) | instskip(SKIP_1) | instid1(VALU_DEP_1)
	v_fmac_f32_e32 v4, v11, v2
	v_lshlrev_b32_e32 v2, 16, v17
	v_fmac_f32_e32 v4, v12, v2
	ds_load_b128 v[9:12], v44 offset:48
	s_waitcnt vmcnt(23)
	v_lshlrev_b32_e32 v2, 16, v18
	s_waitcnt lgkmcnt(1)
	s_delay_alu instid0(VALU_DEP_1) | instskip(SKIP_2) | instid1(VALU_DEP_1)
	v_fmac_f32_e32 v4, v5, v2
	s_waitcnt vmcnt(21)
	v_lshlrev_b32_e32 v2, 16, v19
	v_fmac_f32_e32 v4, v6, v2
	s_waitcnt vmcnt(20)
	v_lshlrev_b32_e32 v2, 16, v20
	s_delay_alu instid0(VALU_DEP_1) | instskip(SKIP_2) | instid1(VALU_DEP_1)
	v_fmac_f32_e32 v4, v7, v2
	s_waitcnt vmcnt(19)
	v_lshlrev_b32_e32 v2, 16, v21
	v_fmac_f32_e32 v4, v8, v2
	s_waitcnt vmcnt(18)
	v_lshlrev_b32_e32 v2, 16, v22
	ds_load_b128 v[5:8], v44 offset:64
	s_waitcnt lgkmcnt(1)
	v_fmac_f32_e32 v4, v9, v2
	s_waitcnt vmcnt(17)
	v_lshlrev_b32_e32 v2, 16, v29
	s_delay_alu instid0(VALU_DEP_1) | instskip(SKIP_1) | instid1(VALU_DEP_1)
	v_fmac_f32_e32 v4, v10, v2
	v_lshlrev_b32_e32 v2, 16, v30
	v_fmac_f32_e32 v4, v11, v2
	s_waitcnt vmcnt(16)
	v_lshlrev_b32_e32 v2, 16, v15
	s_delay_alu instid0(VALU_DEP_1) | instskip(SKIP_4) | instid1(VALU_DEP_1)
	v_fmac_f32_e32 v4, v12, v2
	ds_load_b128 v[9:12], v44 offset:80
	s_waitcnt vmcnt(14)
	v_lshlrev_b32_e32 v2, 16, v16
	s_waitcnt lgkmcnt(1)
	v_fmac_f32_e32 v4, v5, v2
	s_waitcnt vmcnt(13)
	v_lshlrev_b32_e32 v2, 16, v31
	s_delay_alu instid0(VALU_DEP_1) | instskip(SKIP_2) | instid1(VALU_DEP_1)
	v_fmac_f32_e32 v4, v6, v2
	s_waitcnt vmcnt(12)
	v_lshlrev_b32_e32 v2, 16, v32
	v_fmac_f32_e32 v4, v7, v2
	v_lshlrev_b32_e32 v2, 16, v33
	s_delay_alu instid0(VALU_DEP_1) | instskip(SKIP_4) | instid1(VALU_DEP_1)
	v_fmac_f32_e32 v4, v8, v2
	ds_load_b128 v[5:8], v44 offset:96
	s_waitcnt vmcnt(11)
	v_lshlrev_b32_e32 v2, 16, v13
	s_waitcnt lgkmcnt(1)
	v_fmac_f32_e32 v4, v9, v2
	s_waitcnt vmcnt(9)
	v_lshlrev_b32_e32 v2, 16, v14
	s_delay_alu instid0(VALU_DEP_1) | instskip(SKIP_2) | instid1(VALU_DEP_1)
	v_fmac_f32_e32 v4, v10, v2
	s_waitcnt vmcnt(8)
	v_lshlrev_b32_e32 v2, 16, v34
	v_fmac_f32_e32 v4, v11, v2
	;; [unrolled: 15-line block ×3, first 2 shown]
	s_waitcnt vmcnt(4)
	v_lshlrev_b32_e32 v2, 16, v39
	s_delay_alu instid0(VALU_DEP_1) | instskip(SKIP_3) | instid1(VALU_DEP_1)
	v_fmac_f32_e32 v4, v8, v2
	s_waitcnt vmcnt(3)
	v_lshlrev_b32_e32 v2, 16, v40
	s_waitcnt lgkmcnt(0)
	v_fmac_f32_e32 v4, v9, v2
	s_waitcnt vmcnt(2)
	v_lshlrev_b32_e32 v2, 16, v41
	s_delay_alu instid0(VALU_DEP_1) | instskip(SKIP_2) | instid1(VALU_DEP_1)
	v_fmac_f32_e32 v4, v10, v2
	s_waitcnt vmcnt(1)
	v_lshlrev_b32_e32 v2, 16, v42
	v_fmac_f32_e32 v4, v11, v2
	s_waitcnt vmcnt(0)
	v_lshlrev_b32_e32 v2, 16, v43
	s_delay_alu instid0(VALU_DEP_1)
	v_fmac_f32_e32 v4, v12, v2
	s_branch .LBB665_14
.LBB665_17:
	v_mov_b32_e32 v1, 0
	s_and_b32 vcc_lo, exec_lo, s15
	ds_load_b32 v1, v1 offset:1536
	s_cbranch_vccz .LBB665_19
; %bb.18:
	s_add_u32 s2, s12, s16
	s_addc_u32 s3, s13, s17
	s_load_b32 s2, s[2:3], 0x0
	s_mov_b32 s3, 0
.LBB665_19:
	s_waitcnt lgkmcnt(0)
	v_add_f32_e32 v1, 0x358637bd, v1
	s_delay_alu instid0(VALU_DEP_1) | instskip(NEXT) | instid1(VALU_DEP_1)
	v_div_scale_f32 v2, null, v1, v1, 1.0
	v_rcp_f32_e32 v3, v2
	s_waitcnt_depctr 0xfff
	v_fma_f32 v5, -v2, v3, 1.0
	s_delay_alu instid0(VALU_DEP_1) | instskip(SKIP_1) | instid1(VALU_DEP_1)
	v_fmac_f32_e32 v3, v5, v3
	v_div_scale_f32 v5, vcc_lo, 1.0, v1, 1.0
	v_mul_f32_e32 v6, v5, v3
	s_delay_alu instid0(VALU_DEP_1) | instskip(NEXT) | instid1(VALU_DEP_1)
	v_fma_f32 v7, -v2, v6, v5
	v_fmac_f32_e32 v6, v7, v3
	s_delay_alu instid0(VALU_DEP_1) | instskip(NEXT) | instid1(VALU_DEP_1)
	v_fma_f32 v2, -v2, v6, v5
	v_div_fmas_f32 v2, v2, v3, v6
	s_delay_alu instid0(VALU_DEP_1) | instskip(NEXT) | instid1(VALU_DEP_1)
	v_div_fixup_f32 v1, v2, v1, 1.0
	v_mul_f32_e32 v2, v4, v1
	s_delay_alu instid0(VALU_DEP_1) | instskip(NEXT) | instid1(VALU_DEP_1)
	v_and_b32_e32 v1, 0x7f800000, v2
	v_cmp_ne_u32_e32 vcc_lo, 0x7f800000, v1
                                        ; implicit-def: $vgpr1
	s_and_saveexec_b32 s4, vcc_lo
	s_delay_alu instid0(SALU_CYCLE_1)
	s_xor_b32 s4, exec_lo, s4
; %bb.20:
	v_bfe_u32 v1, v2, 16, 1
	s_delay_alu instid0(VALU_DEP_1)
	v_add3_u32 v1, v2, v1, 0x7fff
                                        ; implicit-def: $vgpr2
; %bb.21:
	s_and_not1_saveexec_b32 s4, s4
; %bb.22:
	v_and_b32_e32 v1, 0xffff, v2
	v_or_b32_e32 v3, 0x10000, v2
	s_delay_alu instid0(VALU_DEP_2) | instskip(NEXT) | instid1(VALU_DEP_2)
	v_cmp_eq_u32_e32 vcc_lo, 0, v1
	v_cndmask_b32_e32 v1, v3, v2, vcc_lo
; %bb.23:
	s_or_b32 exec_lo, exec_lo, s4
	s_mul_i32 s3, s33, s3
	s_mul_hi_u32 s4, s33, s2
	s_mul_i32 s2, s33, s2
	s_add_i32 s3, s4, s3
	s_mov_b32 s15, 0
	s_lshl_b64 s[2:3], s[2:3], 8
	s_delay_alu instid0(SALU_CYCLE_1) | instskip(SKIP_2) | instid1(SALU_CYCLE_1)
	s_add_u32 s2, s0, s2
	s_addc_u32 s3, s1, s3
	s_lshl_b64 s[0:1], s[14:15], 8
	s_add_u32 s0, s2, s0
	s_addc_u32 s1, s3, s1
	global_store_d16_hi_b16 v0, v1, s[0:1]
	s_nop 0
	s_sendmsg sendmsg(MSG_DEALLOC_VGPRS)
	s_endpgm
.LBB665_24:
	s_mov_b32 s4, 0
	s_branch .LBB665_2
	.section	.rodata,"a",@progbits
	.p2align	6, 0x0
	.amdhsa_kernel _Z35paged_attention_ll4mi_reduce_kernelI14__hip_bfloat16S0_Li128ELi128ELi256ELi12EEvPT0_PKfS4_PKT_PKiS9_iS4_
		.amdhsa_group_segment_fixed_size 1540
		.amdhsa_private_segment_fixed_size 0
		.amdhsa_kernarg_size 320
		.amdhsa_user_sgpr_count 14
		.amdhsa_user_sgpr_dispatch_ptr 0
		.amdhsa_user_sgpr_queue_ptr 0
		.amdhsa_user_sgpr_kernarg_segment_ptr 1
		.amdhsa_user_sgpr_dispatch_id 0
		.amdhsa_user_sgpr_private_segment_size 0
		.amdhsa_wavefront_size32 1
		.amdhsa_uses_dynamic_stack 0
		.amdhsa_enable_private_segment 0
		.amdhsa_system_sgpr_workgroup_id_x 1
		.amdhsa_system_sgpr_workgroup_id_y 1
		.amdhsa_system_sgpr_workgroup_id_z 0
		.amdhsa_system_sgpr_workgroup_info 0
		.amdhsa_system_vgpr_workitem_id 0
		.amdhsa_next_free_vgpr 67
		.amdhsa_next_free_sgpr 49
		.amdhsa_reserve_vcc 1
		.amdhsa_float_round_mode_32 0
		.amdhsa_float_round_mode_16_64 0
		.amdhsa_float_denorm_mode_32 3
		.amdhsa_float_denorm_mode_16_64 3
		.amdhsa_dx10_clamp 1
		.amdhsa_ieee_mode 1
		.amdhsa_fp16_overflow 0
		.amdhsa_workgroup_processor_mode 1
		.amdhsa_memory_ordered 1
		.amdhsa_forward_progress 0
		.amdhsa_shared_vgpr_count 0
		.amdhsa_exception_fp_ieee_invalid_op 0
		.amdhsa_exception_fp_denorm_src 0
		.amdhsa_exception_fp_ieee_div_zero 0
		.amdhsa_exception_fp_ieee_overflow 0
		.amdhsa_exception_fp_ieee_underflow 0
		.amdhsa_exception_fp_ieee_inexact 0
		.amdhsa_exception_int_div_zero 0
	.end_amdhsa_kernel
	.section	.text._Z35paged_attention_ll4mi_reduce_kernelI14__hip_bfloat16S0_Li128ELi128ELi256ELi12EEvPT0_PKfS4_PKT_PKiS9_iS4_,"axG",@progbits,_Z35paged_attention_ll4mi_reduce_kernelI14__hip_bfloat16S0_Li128ELi128ELi256ELi12EEvPT0_PKfS4_PKT_PKiS9_iS4_,comdat
.Lfunc_end665:
	.size	_Z35paged_attention_ll4mi_reduce_kernelI14__hip_bfloat16S0_Li128ELi128ELi256ELi12EEvPT0_PKfS4_PKT_PKiS9_iS4_, .Lfunc_end665-_Z35paged_attention_ll4mi_reduce_kernelI14__hip_bfloat16S0_Li128ELi128ELi256ELi12EEvPT0_PKfS4_PKT_PKiS9_iS4_
                                        ; -- End function
	.section	.AMDGPU.csdata,"",@progbits
; Kernel info:
; codeLenInByte = 7472
; NumSgprs: 51
; NumVgprs: 67
; ScratchSize: 0
; MemoryBound: 0
; FloatMode: 240
; IeeeMode: 1
; LDSByteSize: 1540 bytes/workgroup (compile time only)
; SGPRBlocks: 6
; VGPRBlocks: 8
; NumSGPRsForWavesPerEU: 51
; NumVGPRsForWavesPerEU: 67
; Occupancy: 16
; WaveLimiterHint : 0
; COMPUTE_PGM_RSRC2:SCRATCH_EN: 0
; COMPUTE_PGM_RSRC2:USER_SGPR: 14
; COMPUTE_PGM_RSRC2:TRAP_HANDLER: 0
; COMPUTE_PGM_RSRC2:TGID_X_EN: 1
; COMPUTE_PGM_RSRC2:TGID_Y_EN: 1
; COMPUTE_PGM_RSRC2:TGID_Z_EN: 0
; COMPUTE_PGM_RSRC2:TIDIG_COMP_CNT: 0
	.section	.text._Z35paged_attention_ll4mi_reduce_kernelI14__hip_bfloat16S0_Li128ELi128ELi256ELi13EEvPT0_PKfS4_PKT_PKiS9_iS4_,"axG",@progbits,_Z35paged_attention_ll4mi_reduce_kernelI14__hip_bfloat16S0_Li128ELi128ELi256ELi13EEvPT0_PKfS4_PKT_PKiS9_iS4_,comdat
	.protected	_Z35paged_attention_ll4mi_reduce_kernelI14__hip_bfloat16S0_Li128ELi128ELi256ELi13EEvPT0_PKfS4_PKT_PKiS9_iS4_ ; -- Begin function _Z35paged_attention_ll4mi_reduce_kernelI14__hip_bfloat16S0_Li128ELi128ELi256ELi13EEvPT0_PKfS4_PKT_PKiS9_iS4_
	.globl	_Z35paged_attention_ll4mi_reduce_kernelI14__hip_bfloat16S0_Li128ELi128ELi256ELi13EEvPT0_PKfS4_PKT_PKiS9_iS4_
	.p2align	8
	.type	_Z35paged_attention_ll4mi_reduce_kernelI14__hip_bfloat16S0_Li128ELi128ELi256ELi13EEvPT0_PKfS4_PKT_PKiS9_iS4_,@function
_Z35paged_attention_ll4mi_reduce_kernelI14__hip_bfloat16S0_Li128ELi128ELi256ELi13EEvPT0_PKfS4_PKT_PKiS9_iS4_: ; @_Z35paged_attention_ll4mi_reduce_kernelI14__hip_bfloat16S0_Li128ELi128ELi256ELi13EEvPT0_PKfS4_PKT_PKiS9_iS4_
; %bb.0:
	s_load_b64 s[12:13], s[0:1], 0x28
	s_mov_b32 s2, s15
	s_waitcnt lgkmcnt(0)
	s_cmp_lg_u64 s[12:13], 0
	s_cselect_b32 s15, -1, 0
	s_delay_alu instid0(SALU_CYCLE_1)
	s_and_b32 vcc_lo, exec_lo, s15
	s_cbranch_vccz .LBB666_24
; %bb.1:
	s_add_i32 s4, s2, 1
	s_mov_b32 s5, 0
	s_delay_alu instid0(SALU_CYCLE_1) | instskip(SKIP_4) | instid1(SALU_CYCLE_1)
	s_lshl_b64 s[6:7], s[4:5], 2
	s_mov_b32 s3, s5
	s_add_u32 s6, s12, s6
	s_addc_u32 s7, s13, s7
	s_lshl_b64 s[8:9], s[2:3], 2
	s_add_u32 s8, s12, s8
	s_addc_u32 s9, s13, s9
	s_clause 0x1
	s_load_b32 s4, s[6:7], 0x0
	s_load_b32 s6, s[8:9], 0x0
	s_waitcnt lgkmcnt(0)
	s_sub_i32 s4, s4, s6
	s_delay_alu instid0(SALU_CYCLE_1)
	s_cmp_eq_u32 s4, 1
	s_cselect_b32 s4, -1, 0
	s_cbranch_execnz .LBB666_3
.LBB666_2:
	s_mov_b32 s3, 0
	s_mov_b32 s4, -1
.LBB666_3:
	s_delay_alu instid0(SALU_CYCLE_1)
	s_and_not1_b32 vcc_lo, exec_lo, s4
	s_cbranch_vccz .LBB666_5
; %bb.4:
	s_endpgm
.LBB666_5:
	s_clause 0x1
	s_load_b128 s[4:7], s[0:1], 0x18
	s_load_b32 s9, s[0:1], 0x30
	s_lshl_b64 s[16:17], s[2:3], 2
	s_waitcnt lgkmcnt(0)
	s_add_u32 s6, s6, s16
	s_addc_u32 s7, s7, s17
	s_load_b32 s23, s[6:7], 0x0
	s_load_b32 s33, s[0:1], 0x40
	s_mul_i32 s7, s2, s9
	s_waitcnt lgkmcnt(0)
	s_add_i32 s22, s23, 0xff
	s_delay_alu instid0(SALU_CYCLE_1) | instskip(NEXT) | instid1(SALU_CYCLE_1)
	s_ashr_i32 s6, s22, 31
	s_lshr_b32 s6, s6, 24
	s_delay_alu instid0(SALU_CYCLE_1) | instskip(SKIP_4) | instid1(SALU_CYCLE_1)
	s_add_i32 s8, s22, s6
	s_mul_i32 s6, s14, s9
	s_mov_b32 s9, exec_lo
	v_cmpx_lt_u32_e32 31, v0
	s_xor_b32 s9, exec_lo, s9
	s_or_saveexec_b32 s24, s9
	v_mov_b32_e32 v1, s6
	s_ashr_i32 s40, s8, 8
	s_mul_i32 s18, s7, s33
	s_xor_b32 exec_lo, exec_lo, s24
	s_cbranch_execz .LBB666_9
; %bb.6:
	v_or_b32_e32 v2, 32, v0
	v_cmp_gt_i32_e32 vcc_lo, s40, v0
	s_add_i32 s20, s40, -1
	v_or_b32_e32 v4, 64, v0
	v_or_b32_e32 v6, 0x60, v0
	s_load_b128 s[8:11], s[0:1], 0x8
	v_cndmask_b32_e32 v1, s20, v0, vcc_lo
	v_cmp_gt_i32_e32 vcc_lo, s40, v2
	s_mov_b32 s19, 0
	s_delay_alu instid0(SALU_CYCLE_1)
	s_mov_b32 s7, s19
	v_cndmask_b32_e32 v3, s20, v2, vcc_lo
	v_cmp_gt_i32_e32 vcc_lo, s40, v4
	v_or_b32_e32 v2, 0x80, v0
	v_cndmask_b32_e32 v5, s20, v4, vcc_lo
	v_cmp_gt_i32_e32 vcc_lo, s40, v6
	v_or_b32_e32 v4, 0xa0, v0
	;; [unrolled: 3-line block ×3, first 2 shown]
	s_delay_alu instid0(VALU_DEP_3) | instskip(SKIP_3) | instid1(VALU_DEP_3)
	v_ashrrev_i32_e32 v8, 31, v7
	v_cndmask_b32_e32 v9, s20, v2, vcc_lo
	v_or_b32_e32 v2, 0xc0, v0
	v_cmp_gt_i32_e32 vcc_lo, s40, v4
	v_ashrrev_i32_e32 v10, 31, v9
	v_cndmask_b32_e32 v11, s20, v4, vcc_lo
	s_delay_alu instid0(VALU_DEP_4) | instskip(SKIP_1) | instid1(VALU_DEP_3)
	v_cmp_gt_i32_e32 vcc_lo, s40, v2
	v_or_b32_e32 v4, 0x100, v0
	v_ashrrev_i32_e32 v12, 31, v11
	v_cndmask_b32_e32 v13, s20, v2, vcc_lo
	v_cmp_gt_i32_e32 vcc_lo, s40, v6
	v_or_b32_e32 v2, 0x120, v0
	s_delay_alu instid0(VALU_DEP_3) | instskip(SKIP_3) | instid1(VALU_DEP_3)
	v_ashrrev_i32_e32 v14, 31, v13
	v_cndmask_b32_e32 v15, s20, v6, vcc_lo
	v_cmp_gt_i32_e32 vcc_lo, s40, v4
	v_or_b32_e32 v6, 0x160, v0
	v_ashrrev_i32_e32 v16, 31, v15
	v_cndmask_b32_e32 v17, s20, v4, vcc_lo
	v_or_b32_e32 v4, 0x140, v0
	v_cmp_gt_i32_e32 vcc_lo, s40, v2
	s_delay_alu instid0(VALU_DEP_3) | instskip(SKIP_1) | instid1(VALU_DEP_4)
	v_ashrrev_i32_e32 v18, 31, v17
	v_cndmask_b32_e32 v19, s20, v2, vcc_lo
	v_cmp_gt_i32_e32 vcc_lo, s40, v4
	v_or_b32_e32 v2, 0x180, v0
	s_delay_alu instid0(VALU_DEP_3) | instskip(SKIP_3) | instid1(VALU_DEP_3)
	v_ashrrev_i32_e32 v20, 31, v19
	v_cndmask_b32_e32 v21, s20, v4, vcc_lo
	v_cmp_gt_i32_e32 vcc_lo, s40, v6
	v_ashrrev_i32_e32 v4, 31, v3
	v_ashrrev_i32_e32 v22, 31, v21
	v_cndmask_b32_e32 v23, s20, v6, vcc_lo
	v_cmp_gt_i32_e32 vcc_lo, s40, v2
	v_ashrrev_i32_e32 v6, 31, v5
	s_delay_alu instid0(VALU_DEP_3)
	v_ashrrev_i32_e32 v24, 31, v23
	v_cndmask_b32_e32 v25, s20, v2, vcc_lo
	v_ashrrev_i32_e32 v2, 31, v1
	s_lshl_b64 s[20:21], s[18:19], 2
	s_waitcnt lgkmcnt(0)
	s_add_u32 s19, s10, s20
	s_addc_u32 s25, s11, s21
	v_lshlrev_b64 v[27:28], 2, v[1:2]
	s_lshl_b64 s[10:11], s[6:7], 2
	v_lshlrev_b64 v[2:3], 2, v[3:4]
	s_add_u32 s7, s19, s10
	s_addc_u32 s19, s25, s11
	v_lshlrev_b64 v[4:5], 2, v[5:6]
	v_add_co_u32 v29, vcc_lo, s7, v27
	v_add_co_ci_u32_e32 v30, vcc_lo, s19, v28, vcc_lo
	v_add_co_u32 v31, vcc_lo, s7, v2
	v_lshlrev_b64 v[6:7], 2, v[7:8]
	v_add_co_ci_u32_e32 v32, vcc_lo, s19, v3, vcc_lo
	v_add_co_u32 v33, vcc_lo, s7, v4
	v_lshlrev_b64 v[8:9], 2, v[9:10]
	;; [unrolled: 3-line block ×6, first 2 shown]
	v_add_co_ci_u32_e32 v42, vcc_lo, s19, v13, vcc_lo
	v_add_co_u32 v43, vcc_lo, s7, v14
	v_add_co_ci_u32_e32 v44, vcc_lo, s19, v15, vcc_lo
	v_lshlrev_b64 v[18:19], 2, v[19:20]
	v_add_co_u32 v45, vcc_lo, s7, v16
	v_add_co_ci_u32_e32 v46, vcc_lo, s19, v17, vcc_lo
	s_clause 0x8
	global_load_b32 v47, v[29:30], off
	global_load_b32 v48, v[31:32], off
	;; [unrolled: 1-line block ×9, first 2 shown]
	v_lshlrev_b64 v[20:21], 2, v[21:22]
	v_ashrrev_i32_e32 v26, 31, v25
	v_add_co_u32 v29, vcc_lo, s7, v18
	v_lshlrev_b64 v[22:23], 2, v[23:24]
	v_add_co_ci_u32_e32 v30, vcc_lo, s19, v19, vcc_lo
	v_add_co_u32 v31, vcc_lo, s7, v20
	v_lshlrev_b64 v[24:25], 2, v[25:26]
	v_add_co_ci_u32_e32 v32, vcc_lo, s19, v21, vcc_lo
	v_add_co_u32 v33, vcc_lo, s7, v22
	v_add_co_ci_u32_e32 v34, vcc_lo, s19, v23, vcc_lo
	s_delay_alu instid0(VALU_DEP_4)
	v_add_co_u32 v35, vcc_lo, s7, v24
	v_add_co_ci_u32_e32 v36, vcc_lo, s19, v25, vcc_lo
	s_clause 0x3
	global_load_b32 v29, v[29:30], off
	global_load_b32 v30, v[31:32], off
	;; [unrolled: 1-line block ×4, first 2 shown]
	v_mbcnt_lo_u32_b32 v33, -1, 0
	s_add_u32 s7, s8, s20
	s_addc_u32 s8, s9, s21
	s_add_u32 s7, s7, s10
	s_addc_u32 s8, s8, s11
	v_xor_b32_e32 v1, 16, v33
	s_delay_alu instid0(VALU_DEP_1)
	v_cmp_gt_i32_e32 vcc_lo, 32, v1
	v_cndmask_b32_e32 v1, v33, v1, vcc_lo
	v_add_co_u32 v26, vcc_lo, s7, v27
	v_add_co_ci_u32_e32 v27, vcc_lo, s8, v28, vcc_lo
	v_add_co_u32 v2, vcc_lo, s7, v2
	v_add_co_ci_u32_e32 v3, vcc_lo, s8, v3, vcc_lo
	;; [unrolled: 2-line block ×10, first 2 shown]
	s_clause 0x9
	global_load_b32 v26, v[26:27], off
	global_load_b32 v27, v[2:3], off
	;; [unrolled: 1-line block ×10, first 2 shown]
	v_xor_b32_e32 v14, 4, v33
	v_lshlrev_b32_e32 v1, 2, v1
	v_xor_b32_e32 v5, 8, v33
	v_xor_b32_e32 v16, 1, v33
	s_delay_alu instid0(VALU_DEP_2) | instskip(SKIP_1) | instid1(VALU_DEP_1)
	v_cmp_gt_i32_e32 vcc_lo, 32, v5
	v_cndmask_b32_e32 v5, v33, v5, vcc_lo
	v_lshlrev_b32_e32 v6, 2, v5
	s_waitcnt vmcnt(20)
	v_max3_f32 v28, v47, v48, v49
	s_waitcnt vmcnt(18)
	s_delay_alu instid0(VALU_DEP_1) | instskip(SKIP_1) | instid1(VALU_DEP_1)
	v_max3_f32 v28, v28, v50, v37
	s_waitcnt vmcnt(16)
	v_max3_f32 v28, v28, v38, v39
	s_waitcnt vmcnt(14)
	s_delay_alu instid0(VALU_DEP_1) | instskip(SKIP_1) | instid1(VALU_DEP_1)
	v_max3_f32 v28, v28, v40, v41
	s_waitcnt vmcnt(12)
	v_max3_f32 v28, v28, v29, v30
	s_waitcnt vmcnt(10)
	s_delay_alu instid0(VALU_DEP_1) | instskip(SKIP_3) | instid1(VALU_DEP_1)
	v_max3_f32 v28, v28, v31, v32
	ds_bpermute_b32 v34, v1, v28
	s_waitcnt lgkmcnt(0)
	v_max_f32_e32 v7, v34, v34
	v_max_f32_e32 v12, v28, v7
	v_add_co_u32 v7, vcc_lo, s7, v20
	v_add_co_ci_u32_e32 v8, vcc_lo, s8, v21, vcc_lo
	ds_bpermute_b32 v13, v6, v12
	v_cmp_gt_i32_e32 vcc_lo, 32, v14
	global_load_b32 v5, v[7:8], off
	v_cndmask_b32_e32 v14, v33, v14, vcc_lo
	v_add_co_u32 v7, vcc_lo, s7, v22
	v_add_co_ci_u32_e32 v8, vcc_lo, s8, v23, vcc_lo
	s_delay_alu instid0(VALU_DEP_3)
	v_lshlrev_b32_e32 v14, 2, v14
	global_load_b32 v15, v[7:8], off
	v_add_co_u32 v7, vcc_lo, s7, v24
	v_add_co_ci_u32_e32 v8, vcc_lo, s8, v25, vcc_lo
	s_mov_b32 s7, exec_lo
	s_waitcnt lgkmcnt(0)
	v_max_f32_e32 v13, v13, v13
	global_load_b32 v7, v[7:8], off
	v_xor_b32_e32 v8, 2, v33
	v_max_f32_e32 v12, v12, v13
	s_delay_alu instid0(VALU_DEP_2) | instskip(SKIP_3) | instid1(VALU_DEP_2)
	v_cmp_gt_i32_e32 vcc_lo, 32, v8
	ds_bpermute_b32 v13, v14, v12
	v_cndmask_b32_e32 v8, v33, v8, vcc_lo
	v_cmp_gt_i32_e32 vcc_lo, 32, v16
	v_lshlrev_b32_e32 v8, 2, v8
	v_cndmask_b32_e32 v16, v33, v16, vcc_lo
	s_waitcnt lgkmcnt(0)
	s_delay_alu instid0(VALU_DEP_1) | instskip(NEXT) | instid1(VALU_DEP_1)
	v_dual_max_f32 v13, v13, v13 :: v_dual_lshlrev_b32 v16, 2, v16
	v_max_f32_e32 v12, v12, v13
	ds_bpermute_b32 v13, v8, v12
	s_waitcnt lgkmcnt(0)
	v_max_f32_e32 v13, v13, v13
	s_delay_alu instid0(VALU_DEP_1) | instskip(SKIP_3) | instid1(VALU_DEP_1)
	v_max_f32_e32 v12, v12, v13
	ds_bpermute_b32 v13, v16, v12
	s_waitcnt lgkmcnt(0)
	v_max_f32_e32 v13, v13, v13
	v_max_f32_e32 v12, v12, v13
	v_sub_nc_u32_e32 v13, s40, v0
	s_delay_alu instid0(VALU_DEP_2) | instskip(SKIP_3) | instid1(VALU_DEP_4)
	v_sub_f32_e32 v20, v50, v12
	v_sub_f32_e32 v22, v38, v12
	;; [unrolled: 1-line block ×4, first 2 shown]
	v_mul_f32_e32 v34, 0x3fb8aa3b, v20
	s_delay_alu instid0(VALU_DEP_4) | instskip(NEXT) | instid1(VALU_DEP_4)
	v_mul_f32_e32 v38, 0x3fb8aa3b, v22
	v_mul_f32_e32 v40, 0x3fb8aa3b, v24
	s_delay_alu instid0(VALU_DEP_3) | instskip(SKIP_1) | instid1(VALU_DEP_4)
	v_fma_f32 v51, 0x3fb8aa3b, v20, -v34
	v_rndne_f32_e32 v52, v34
	v_fma_f32 v55, 0x3fb8aa3b, v22, -v38
	v_rndne_f32_e32 v56, v38
	v_fma_f32 v59, 0x3fb8aa3b, v24, -v40
	v_fmac_f32_e32 v51, 0x32a5705f, v20
	v_sub_f32_e32 v34, v34, v52
	v_sub_f32_e32 v19, v49, v12
	v_cvt_i32_f32_e32 v52, v52
	v_dual_fmac_f32 v55, 0x32a5705f, v22 :: v_dual_sub_f32 v38, v38, v56
	s_delay_alu instid0(VALU_DEP_4) | instskip(NEXT) | instid1(VALU_DEP_4)
	v_add_f32_e32 v34, v34, v51
	v_dual_sub_f32 v28, v29, v12 :: v_dual_mul_f32 v33, 0x3fb8aa3b, v19
	s_delay_alu instid0(VALU_DEP_3) | instskip(NEXT) | instid1(VALU_DEP_3)
	v_dual_sub_f32 v21, v37, v12 :: v_dual_add_f32 v38, v38, v55
	v_exp_f32_e32 v34, v34
	v_rndne_f32_e32 v60, v40
	v_fmac_f32_e32 v59, 0x32a5705f, v24
	s_delay_alu instid0(VALU_DEP_3)
	v_mul_f32_e32 v37, 0x3fb8aa3b, v21
	v_fma_f32 v49, 0x3fb8aa3b, v19, -v33
	v_rndne_f32_e32 v50, v33
	v_sub_f32_e32 v40, v40, v60
	v_sub_f32_e32 v23, v39, v12
	v_mul_f32_e32 v42, 0x3fb8aa3b, v28
	v_cvt_i32_f32_e32 v60, v60
	v_ldexp_f32 v34, v34, v52
	v_dual_add_f32 v40, v40, v59 :: v_dual_sub_f32 v29, v30, v12
	v_sub_f32_e32 v30, v31, v12
	v_sub_f32_e32 v17, v47, v12
	v_mul_f32_e32 v39, 0x3fb8aa3b, v23
	v_fma_f32 v63, 0x3fb8aa3b, v28, -v42
	v_rndne_f32_e32 v64, v42
	s_delay_alu instid0(VALU_DEP_4) | instskip(SKIP_1) | instid1(VALU_DEP_4)
	v_dual_mul_f32 v44, 0x3fb8aa3b, v30 :: v_dual_mul_f32 v31, 0x3fb8aa3b, v17
	v_fmac_f32_e32 v49, 0x32a5705f, v19
	v_fmac_f32_e32 v63, 0x32a5705f, v28
	s_delay_alu instid0(VALU_DEP_4)
	v_sub_f32_e32 v42, v42, v64
	v_sub_f32_e32 v25, v41, v12
	v_fma_f32 v45, 0x3fb8aa3b, v17, -v31
	v_rndne_f32_e32 v46, v31
	v_sub_f32_e32 v12, v32, v12
	v_add_f32_e32 v42, v42, v63
	v_mul_f32_e32 v32, 0x3fb8aa3b, v18
	v_fmac_f32_e32 v45, 0x32a5705f, v17
	v_sub_f32_e32 v31, v31, v46
	v_cvt_i32_f32_e32 v46, v46
	v_cmp_ngt_f32_e32 vcc_lo, 0xc2ce8ed0, v17
	v_fma_f32 v47, 0x3fb8aa3b, v18, -v32
	v_rndne_f32_e32 v48, v32
	v_add_f32_e32 v31, v31, v45
	v_mul_f32_e32 v41, 0x3fb8aa3b, v25
	v_exp_f32_e32 v40, v40
	v_fma_f32 v53, 0x3fb8aa3b, v21, -v37
	v_sub_f32_e32 v32, v32, v48
	v_exp_f32_e32 v31, v31
	v_cvt_i32_f32_e32 v48, v48
	v_rndne_f32_e32 v54, v37
	v_fmac_f32_e32 v53, 0x32a5705f, v21
	v_fma_f32 v57, 0x3fb8aa3b, v23, -v39
	v_rndne_f32_e32 v58, v39
	v_fma_f32 v61, 0x3fb8aa3b, v25, -v41
	v_ldexp_f32 v40, v40, v60
	v_sub_f32_e32 v33, v33, v50
	v_cvt_i32_f32_e32 v50, v50
	v_ldexp_f32 v31, v31, v46
	v_fmac_f32_e32 v57, 0x32a5705f, v23
	v_sub_f32_e32 v39, v39, v58
	v_add_f32_e32 v33, v33, v49
	v_rndne_f32_e32 v62, v41
	v_cndmask_b32_e32 v31, 0, v31, vcc_lo
	v_cmp_ngt_f32_e32 vcc_lo, 0xc2ce8ed0, v18
	v_fmac_f32_e32 v47, 0x32a5705f, v18
	v_exp_f32_e32 v33, v33
	v_add_f32_e32 v39, v39, v57
	v_exp_f32_e32 v38, v38
	v_cvt_i32_f32_e32 v56, v56
	v_dual_add_f32 v32, v32, v47 :: v_dual_fmac_f32 v61, 0x32a5705f, v25
	v_sub_f32_e32 v41, v41, v62
	v_exp_f32_e32 v39, v39
	v_cvt_i32_f32_e32 v58, v58
	s_delay_alu instid0(VALU_DEP_3) | instskip(SKIP_2) | instid1(TRANS32_DEP_3)
	v_exp_f32_e32 v32, v32
	v_ldexp_f32 v33, v33, v50
	v_add_f32_e32 v41, v41, v61
	v_ldexp_f32 v38, v38, v56
	v_cvt_i32_f32_e32 v62, v62
	v_exp_f32_e32 v42, v42
	v_cvt_i32_f32_e32 v64, v64
	v_exp_f32_e32 v41, v41
	v_ldexp_f32 v39, v39, v58
	v_fma_f32 v67, 0x3fb8aa3b, v30, -v44
	v_ldexp_f32 v32, v32, v48
	s_delay_alu instid0(VALU_DEP_1) | instskip(SKIP_3) | instid1(TRANS32_DEP_1)
	v_dual_fmac_f32 v67, 0x32a5705f, v30 :: v_dual_cndmask_b32 v32, 0, v32
	v_sub_f32_e32 v37, v37, v54
	v_cmp_ngt_f32_e32 vcc_lo, 0xc2ce8ed0, v19
	v_cvt_i32_f32_e32 v54, v54
	v_ldexp_f32 v41, v41, v62
	v_ldexp_f32 v42, v42, v64
	v_add_f32_e32 v37, v37, v53
	v_cndmask_b32_e32 v33, 0, v33, vcc_lo
	v_cmp_ngt_f32_e32 vcc_lo, 0xc2ce8ed0, v20
	s_delay_alu instid0(VALU_DEP_3) | instskip(SKIP_4) | instid1(VALU_DEP_1)
	v_exp_f32_e32 v37, v37
	v_cndmask_b32_e32 v34, 0, v34, vcc_lo
	v_cmp_ngt_f32_e32 vcc_lo, 0xc2ce8ed0, v21
	s_waitcnt_depctr 0xfff
	v_ldexp_f32 v37, v37, v54
	v_cndmask_b32_e32 v37, 0, v37, vcc_lo
	v_cmp_ngt_f32_e32 vcc_lo, 0xc2ce8ed0, v22
	v_dual_mul_f32 v43, 0x3fb8aa3b, v29 :: v_dual_cndmask_b32 v38, 0, v38
	v_cmp_ngt_f32_e32 vcc_lo, 0xc2ce8ed0, v23
	s_delay_alu instid0(VALU_DEP_2)
	v_fma_f32 v65, 0x3fb8aa3b, v29, -v43
	v_rndne_f32_e32 v66, v43
	v_cndmask_b32_e32 v39, 0, v39, vcc_lo
	v_cmp_ngt_f32_e32 vcc_lo, 0xc2ce8ed0, v24
	v_cndmask_b32_e32 v40, 0, v40, vcc_lo
	v_cmp_ngt_f32_e32 vcc_lo, 0xc2ce8ed0, v25
	;; [unrolled: 2-line block ×3, first 2 shown]
	v_cndmask_b32_e32 v42, 0, v42, vcc_lo
	v_cmp_nlt_f32_e32 vcc_lo, 0x42b17218, v17
	v_cndmask_b32_e32 v17, 0x7f800000, v31, vcc_lo
	v_cmp_nlt_f32_e32 vcc_lo, 0x42b17218, v18
	;; [unrolled: 2-line block ×10, first 2 shown]
	v_cndmask_b32_e32 v28, 0x7f800000, v42, vcc_lo
	v_cmp_lt_i32_e32 vcc_lo, 0, v13
	v_cndmask_b32_e32 v17, 0, v17, vcc_lo
	v_cmp_lt_i32_e32 vcc_lo, 32, v13
	s_waitcnt vmcnt(12)
	s_delay_alu instid0(VALU_DEP_2) | instskip(SKIP_3) | instid1(VALU_DEP_3)
	v_dual_mul_f32 v17, v26, v17 :: v_dual_cndmask_b32 v18, 0, v18
	v_cmp_lt_i32_e32 vcc_lo, 64, v13
	v_cvt_i32_f32_e32 v26, v66
	s_waitcnt vmcnt(11)
	v_dual_mul_f32 v18, v27, v18 :: v_dual_cndmask_b32 v19, 0, v19
	v_cmp_lt_i32_e32 vcc_lo, 0x60, v13
	v_cndmask_b32_e32 v20, 0, v20, vcc_lo
	v_cmp_lt_i32_e32 vcc_lo, 0x80, v13
	s_waitcnt vmcnt(9)
	s_delay_alu instid0(VALU_DEP_2) | instskip(SKIP_3) | instid1(VALU_DEP_2)
	v_dual_fmac_f32 v65, 0x32a5705f, v29 :: v_dual_mul_f32 v20, v36, v20
	v_cndmask_b32_e32 v21, 0, v21, vcc_lo
	v_cmp_lt_i32_e32 vcc_lo, 0xa0, v13
	s_waitcnt vmcnt(8)
	v_dual_mul_f32 v9, v9, v21 :: v_dual_cndmask_b32 v22, 0, v22
	v_cmp_lt_i32_e32 vcc_lo, 0xc0, v13
	v_rndne_f32_e32 v21, v44
	s_waitcnt vmcnt(7)
	s_delay_alu instid0(VALU_DEP_3) | instskip(SKIP_2) | instid1(VALU_DEP_2)
	v_dual_mul_f32 v10, v10, v22 :: v_dual_cndmask_b32 v23, 0, v23
	v_cmp_lt_i32_e32 vcc_lo, 0xe0, v13
	s_waitcnt vmcnt(6)
	v_dual_mul_f32 v11, v11, v23 :: v_dual_cndmask_b32 v24, 0, v24
	v_sub_f32_e32 v43, v43, v66
	v_cmp_lt_i32_e32 vcc_lo, 0x100, v13
	v_mul_f32_e32 v23, 0x3fb8aa3b, v12
	s_waitcnt vmcnt(5)
	s_delay_alu instid0(VALU_DEP_3) | instskip(SKIP_3) | instid1(VALU_DEP_4)
	v_dual_mul_f32 v2, v2, v24 :: v_dual_add_f32 v43, v43, v65
	v_dual_add_f32 v24, v17, v18 :: v_dual_cndmask_b32 v25, 0, v25
	v_cmp_lt_i32_e32 vcc_lo, 0x120, v13
	v_fma_f32 v27, 0x3fb8aa3b, v12, -v23
	v_exp_f32_e32 v22, v43
	s_waitcnt vmcnt(4)
	v_dual_mul_f32 v3, v3, v25 :: v_dual_cndmask_b32 v28, 0, v28
	v_sub_f32_e32 v25, v44, v21
	v_cmp_ngt_f32_e32 vcc_lo, 0xc2ce8ed0, v29
	v_fmac_f32_e32 v27, 0x32a5705f, v12
	v_cvt_i32_f32_e32 v21, v21
	s_waitcnt vmcnt(3)
	v_mul_f32_e32 v4, v4, v28
	v_rndne_f32_e32 v28, v23
	v_add_f32_e32 v25, v25, v67
	v_ldexp_f32 v22, v22, v26
	s_delay_alu instid0(VALU_DEP_3) | instskip(NEXT) | instid1(VALU_DEP_3)
	v_sub_f32_e32 v23, v23, v28
	v_exp_f32_e32 v25, v25
	s_delay_alu instid0(VALU_DEP_2) | instskip(SKIP_1) | instid1(VALU_DEP_2)
	v_cndmask_b32_e32 v22, 0, v22, vcc_lo
	v_cmp_nlt_f32_e32 vcc_lo, 0x42b17218, v29
	v_dual_add_f32 v23, v23, v27 :: v_dual_cndmask_b32 v22, 0x7f800000, v22
	v_cmp_lt_i32_e32 vcc_lo, 0x140, v13
	s_delay_alu instid0(VALU_DEP_2)
	v_exp_f32_e32 v23, v23
	s_waitcnt_depctr 0xfff
	v_ldexp_f32 v21, v25, v21
	v_cvt_i32_f32_e32 v25, v28
	v_cndmask_b32_e32 v22, 0, v22, vcc_lo
	v_cmp_ngt_f32_e32 vcc_lo, 0xc2ce8ed0, v30
	s_waitcnt vmcnt(2)
	s_delay_alu instid0(VALU_DEP_2) | instskip(SKIP_3) | instid1(VALU_DEP_3)
	v_mul_f32_e32 v5, v5, v22
	v_cndmask_b32_e32 v21, 0, v21, vcc_lo
	v_cmp_nlt_f32_e32 vcc_lo, 0x42b17218, v30
	v_ldexp_f32 v22, v23, v25
	v_cndmask_b32_e32 v21, 0x7f800000, v21, vcc_lo
	v_cmp_ngt_f32_e32 vcc_lo, 0xc2ce8ed0, v12
	s_delay_alu instid0(VALU_DEP_3) | instskip(SKIP_1) | instid1(VALU_DEP_4)
	v_cndmask_b32_e32 v22, 0, v22, vcc_lo
	v_cmp_lt_i32_e32 vcc_lo, 0x160, v13
	v_cndmask_b32_e32 v21, 0, v21, vcc_lo
	v_cmp_nlt_f32_e32 vcc_lo, 0x42b17218, v12
	v_mul_f32_e32 v19, v35, v19
	s_waitcnt vmcnt(1)
	s_delay_alu instid0(VALU_DEP_3) | instskip(NEXT) | instid1(VALU_DEP_2)
	v_dual_mul_f32 v15, v15, v21 :: v_dual_cndmask_b32 v12, 0x7f800000, v22
	v_add_f32_e32 v24, v24, v19
	v_cmp_lt_i32_e32 vcc_lo, 0x180, v13
	s_delay_alu instid0(VALU_DEP_2) | instskip(NEXT) | instid1(VALU_DEP_4)
	v_add_f32_e32 v24, v24, v20
	v_cndmask_b32_e32 v12, 0, v12, vcc_lo
	s_waitcnt vmcnt(0)
	s_delay_alu instid0(VALU_DEP_1) | instskip(NEXT) | instid1(VALU_DEP_1)
	v_dual_add_f32 v24, v24, v9 :: v_dual_mul_f32 v7, v7, v12
	v_add_f32_e32 v24, v24, v10
	s_delay_alu instid0(VALU_DEP_1) | instskip(NEXT) | instid1(VALU_DEP_1)
	v_add_f32_e32 v24, v24, v11
	v_add_f32_e32 v23, v24, v2
	s_delay_alu instid0(VALU_DEP_1) | instskip(NEXT) | instid1(VALU_DEP_1)
	v_add_f32_e32 v23, v23, v3
	;; [unrolled: 3-line block ×3, first 2 shown]
	v_add_f32_e32 v12, v13, v15
	s_delay_alu instid0(VALU_DEP_1)
	v_add_f32_e32 v12, v12, v7
	ds_bpermute_b32 v1, v1, v12
	s_waitcnt lgkmcnt(0)
	v_add_f32_e32 v1, v12, v1
	ds_bpermute_b32 v6, v6, v1
	s_waitcnt lgkmcnt(0)
	;; [unrolled: 3-line block ×3, first 2 shown]
	v_add_f32_e32 v1, v1, v6
	ds_bpermute_b32 v6, v8, v1
	v_lshlrev_b32_e32 v8, 2, v0
	s_delay_alu instid0(VALU_DEP_1)
	v_add_nc_u32_e32 v12, 0x400, v8
	ds_store_2addr_b32 v8, v17, v18 offset1:32
	ds_store_2addr_b32 v8, v19, v20 offset0:64 offset1:96
	ds_store_2addr_b32 v8, v9, v10 offset0:128 offset1:160
	;; [unrolled: 1-line block ×3, first 2 shown]
	ds_store_2addr_b32 v12, v3, v4 offset1:32
	ds_store_2addr_b32 v12, v5, v15 offset0:64 offset1:96
	ds_store_b32 v8, v7 offset:1536
	s_waitcnt lgkmcnt(7)
	v_add_f32_e32 v1, v1, v6
	ds_bpermute_b32 v6, v16, v1
	v_cmpx_eq_u32_e32 0, v0
	s_cbranch_execz .LBB666_8
; %bb.7:
	s_waitcnt lgkmcnt(0)
	v_dual_add_f32 v1, v1, v6 :: v_dual_mov_b32 v2, 0
	ds_store_b32 v2, v1 offset:1664
.LBB666_8:
	s_or_b32 exec_lo, exec_lo, s7
	v_mov_b32_e32 v1, s6
.LBB666_9:
	s_or_b32 exec_lo, exec_lo, s24
	s_lshl_b32 s6, s18, 7
	s_mov_b32 s7, 0
	s_delay_alu instid0(VALU_DEP_1)
	v_dual_mov_b32 v2, 0 :: v_dual_lshlrev_b32 v1, 7, v1
	s_lshl_b64 s[6:7], s[6:7], 1
	v_lshlrev_b32_e32 v0, 1, v0
	s_add_u32 s34, s4, s6
	s_addc_u32 s35, s5, s7
	s_lshl_b32 s41, s40, 7
	v_lshlrev_b64 v[3:4], 1, v[1:2]
	s_add_i32 s42, s41, 0xffffff80
	s_cmpk_lt_i32 s22, 0x100
	v_dual_mov_b32 v30, 0 :: v_dual_mov_b32 v33, 0
	s_cselect_b32 s4, s42, 0
	s_delay_alu instid0(VALU_DEP_2)
	v_add_co_u32 v1, vcc_lo, s34, v3
	s_ashr_i32 s5, s4, 31
	v_add_co_ci_u32_e32 v3, vcc_lo, s35, v4, vcc_lo
	s_lshl_b64 s[4:5], s[4:5], 1
	s_cmpk_lt_i32 s22, 0x200
	v_add_co_u32 v1, vcc_lo, v1, v0
	s_cselect_b32 s6, s42, 0x80
	v_add_co_ci_u32_e32 v3, vcc_lo, 0, v3, vcc_lo
	s_ashr_i32 s7, s6, 31
	s_delay_alu instid0(VALU_DEP_2)
	v_add_co_u32 v4, vcc_lo, v1, s4
	s_lshl_b64 s[6:7], s[6:7], 1
	s_cmpk_lt_i32 s22, 0x300
	v_add_co_ci_u32_e32 v5, vcc_lo, s5, v3, vcc_lo
	s_cselect_b32 s8, s42, 0x100
	s_waitcnt lgkmcnt(0)
	v_add_co_u32 v6, vcc_lo, v1, s6
	s_ashr_i32 s9, s8, 31
	v_add_co_ci_u32_e32 v7, vcc_lo, s7, v3, vcc_lo
	s_lshl_b64 s[8:9], s[8:9], 1
	s_cmpk_lt_i32 s22, 0x400
	v_add_co_u32 v8, vcc_lo, v1, s8
	s_cselect_b32 s10, s42, 0x180
	v_add_co_ci_u32_e32 v9, vcc_lo, s9, v3, vcc_lo
	s_ashr_i32 s11, s10, 31
	v_dual_mov_b32 v32, 0 :: v_dual_mov_b32 v35, 0
	s_lshl_b64 s[10:11], s[10:11], 1
	s_cmpk_lt_i32 s22, 0x500
	v_add_co_u32 v11, vcc_lo, v1, s10
	s_cselect_b32 s18, s42, 0x200
	v_add_co_ci_u32_e32 v12, vcc_lo, s11, v3, vcc_lo
	s_ashr_i32 s19, s18, 31
	v_mov_b32_e32 v34, 0
	s_lshl_b64 s[18:19], s[18:19], 1
	s_cmpk_lt_i32 s22, 0x600
	v_add_co_u32 v14, vcc_lo, v1, s18
	s_cselect_b32 s20, s42, 0x280
	v_add_co_ci_u32_e32 v15, vcc_lo, s19, v3, vcc_lo
	s_ashr_i32 s21, s20, 31
	v_mov_b32_e32 v31, 0
	s_lshl_b64 s[20:21], s[20:21], 1
	s_cmpk_lt_i32 s22, 0x700
	v_add_co_u32 v16, vcc_lo, v1, s20
	s_cselect_b32 s24, s42, 0x300
	v_add_co_ci_u32_e32 v17, vcc_lo, s21, v3, vcc_lo
	s_ashr_i32 s25, s24, 31
	s_delay_alu instid0(SALU_CYCLE_1)
	s_lshl_b64 s[24:25], s[24:25], 1
	s_cmpk_lt_i32 s22, 0x800
	v_add_co_u32 v18, vcc_lo, v1, s24
	s_cselect_b32 s26, s42, 0x380
	v_add_co_ci_u32_e32 v19, vcc_lo, s25, v3, vcc_lo
	s_ashr_i32 s27, s26, 31
	s_delay_alu instid0(SALU_CYCLE_1)
	s_lshl_b64 s[26:27], s[26:27], 1
	s_cmpk_lt_i32 s22, 0x900
	v_add_co_u32 v20, vcc_lo, v1, s26
	s_cselect_b32 s28, s42, 0x400
	v_add_co_ci_u32_e32 v21, vcc_lo, s27, v3, vcc_lo
	s_ashr_i32 s29, s28, 31
	s_clause 0x7
	global_load_u16 v13, v[4:5], off
	global_load_u16 v4, v[6:7], off
	;; [unrolled: 1-line block ×8, first 2 shown]
	s_lshl_b64 s[28:29], s[28:29], 1
	s_cmpk_lt_i32 s22, 0xa00
	v_add_co_u32 v11, vcc_lo, v1, s28
	s_cselect_b32 s30, s42, 0x480
	v_add_co_ci_u32_e32 v12, vcc_lo, s29, v3, vcc_lo
	s_ashr_i32 s31, s30, 31
	s_delay_alu instid0(SALU_CYCLE_1)
	s_lshl_b64 s[30:31], s[30:31], 1
	s_cmpk_lt_i32 s22, 0xb00
	v_add_co_u32 v14, vcc_lo, v1, s30
	s_cselect_b32 s34, s42, 0x500
	v_add_co_ci_u32_e32 v15, vcc_lo, s31, v3, vcc_lo
	s_ashr_i32 s35, s34, 31
	s_delay_alu instid0(SALU_CYCLE_1)
	;; [unrolled: 7-line block ×7, first 2 shown]
	s_lshl_b64 s[4:5], s[6:7], 1
	s_cmpk_gt_i32 s23, 0x1000
	v_add_co_u32 v28, vcc_lo, v1, s4
	v_add_co_ci_u32_e32 v29, vcc_lo, s5, v3, vcc_lo
	s_clause 0x7
	global_load_u16 v19, v[11:12], off
	global_load_u16 v18, v[14:15], off
	;; [unrolled: 1-line block ×8, first 2 shown]
	v_dual_mov_b32 v20, 0 :: v_dual_mov_b32 v23, 0
	v_dual_mov_b32 v21, 0 :: v_dual_mov_b32 v22, 0
	;; [unrolled: 1-line block ×5, first 2 shown]
	s_cselect_b32 s6, -1, 0
	s_cmpk_lt_i32 s23, 0x1001
	s_waitcnt vmcnt(0)
	s_barrier
	buffer_gl0_inv
	s_cbranch_scc1 .LBB666_11
; %bb.10:
	s_cmpk_lt_i32 s22, 0x1100
	s_cselect_b32 s4, s42, 0x800
	s_delay_alu instid0(SALU_CYCLE_1) | instskip(NEXT) | instid1(SALU_CYCLE_1)
	s_ashr_i32 s5, s4, 31
	s_lshl_b64 s[4:5], s[4:5], 1
	s_cmpk_lt_i32 s22, 0x1200
	v_add_co_u32 v20, vcc_lo, v1, s4
	s_cselect_b32 s8, s42, 0x880
	v_add_co_ci_u32_e32 v21, vcc_lo, s5, v3, vcc_lo
	s_ashr_i32 s9, s8, 31
	s_delay_alu instid0(SALU_CYCLE_1)
	s_lshl_b64 s[8:9], s[8:9], 1
	s_cmpk_lt_i32 s22, 0x1300
	v_add_co_u32 v22, vcc_lo, v1, s8
	s_cselect_b32 s10, s42, 0x900
	v_add_co_ci_u32_e32 v23, vcc_lo, s9, v3, vcc_lo
	s_ashr_i32 s11, s10, 31
	s_delay_alu instid0(SALU_CYCLE_1)
	;; [unrolled: 7-line block ×14, first 2 shown]
	s_lshl_b64 s[4:5], s[18:19], 1
	s_cmpk_lt_i32 s22, 0x2000
	v_add_co_u32 v48, vcc_lo, v1, s4
	s_cselect_b32 s8, s42, 0xf80
	v_add_co_ci_u32_e32 v49, vcc_lo, s5, v3, vcc_lo
	s_ashr_i32 s9, s8, 31
	s_delay_alu instid0(SALU_CYCLE_1) | instskip(NEXT) | instid1(SALU_CYCLE_1)
	s_lshl_b64 s[4:5], s[8:9], 1
	v_add_co_u32 v50, vcc_lo, v1, s4
	v_add_co_ci_u32_e32 v51, vcc_lo, s5, v3, vcc_lo
	s_clause 0xf
	global_load_u16 v20, v[20:21], off
	global_load_u16 v21, v[22:23], off
	;; [unrolled: 1-line block ×16, first 2 shown]
	s_waitcnt vmcnt(15)
	v_lshlrev_b32_e32 v35, 16, v20
	s_waitcnt vmcnt(14)
	v_lshlrev_b32_e32 v34, 16, v21
	s_waitcnt vmcnt(13)
	v_lshlrev_b32_e32 v33, 16, v22
	s_waitcnt vmcnt(12)
	v_lshlrev_b32_e32 v32, 16, v23
	s_waitcnt vmcnt(11)
	v_lshlrev_b32_e32 v31, 16, v24
	s_waitcnt vmcnt(10)
	v_lshlrev_b32_e32 v30, 16, v25
	s_waitcnt vmcnt(9)
	v_lshlrev_b32_e32 v29, 16, v26
	s_waitcnt vmcnt(8)
	v_lshlrev_b32_e32 v28, 16, v27
	s_waitcnt vmcnt(7)
	v_lshlrev_b32_e32 v27, 16, v36
	s_waitcnt vmcnt(6)
	v_lshlrev_b32_e32 v26, 16, v37
	s_waitcnt vmcnt(5)
	v_lshlrev_b32_e32 v25, 16, v38
	s_waitcnt vmcnt(4)
	v_lshlrev_b32_e32 v24, 16, v39
	s_waitcnt vmcnt(3)
	v_lshlrev_b32_e32 v23, 16, v40
	s_waitcnt vmcnt(2)
	v_lshlrev_b32_e32 v22, 16, v41
	s_waitcnt vmcnt(1)
	v_lshlrev_b32_e32 v21, 16, v42
	s_waitcnt vmcnt(0)
	v_lshlrev_b32_e32 v20, 16, v43
.LBB666_11:
	ds_load_b128 v[36:39], v2
	ds_load_b128 v[40:43], v2 offset:16
	v_lshlrev_b32_e32 v44, 16, v4
	v_lshlrev_b32_e32 v13, 16, v13
	;; [unrolled: 1-line block ×5, first 2 shown]
	s_load_b64 s[0:1], s[0:1], 0x0
	s_and_b32 vcc_lo, exec_lo, s6
	v_lshlrev_b32_e32 v5, 16, v5
	s_waitcnt lgkmcnt(0)
	v_fma_f32 v4, v36, v13, 0
	s_delay_alu instid0(VALU_DEP_1) | instskip(NEXT) | instid1(VALU_DEP_1)
	v_dual_fmac_f32 v4, v37, v44 :: v_dual_lshlrev_b32 v13, 16, v7
	v_dual_fmac_f32 v4, v38, v10 :: v_dual_lshlrev_b32 v9, 16, v9
	s_delay_alu instid0(VALU_DEP_1) | instskip(SKIP_4) | instid1(VALU_DEP_1)
	v_fmac_f32_e32 v4, v39, v9
	ds_load_b128 v[36:39], v2 offset:48
	v_fmac_f32_e32 v4, v40, v8
	ds_load_b128 v[7:10], v2 offset:32
	v_fmac_f32_e32 v4, v41, v13
	v_fmac_f32_e32 v4, v42, v6
	v_lshlrev_b32_e32 v6, 16, v19
	s_delay_alu instid0(VALU_DEP_2) | instskip(SKIP_1) | instid1(VALU_DEP_1)
	v_dual_fmac_f32 v4, v43, v5 :: v_dual_lshlrev_b32 v5, 16, v18
	s_waitcnt lgkmcnt(0)
	v_fmac_f32_e32 v4, v7, v6
	v_lshlrev_b32_e32 v6, 16, v17
	s_delay_alu instid0(VALU_DEP_2) | instskip(NEXT) | instid1(VALU_DEP_1)
	v_dual_fmac_f32 v4, v8, v5 :: v_dual_lshlrev_b32 v5, 16, v16
	v_fmac_f32_e32 v4, v9, v6
	v_lshlrev_b32_e32 v6, 16, v15
	s_delay_alu instid0(VALU_DEP_2) | instskip(NEXT) | instid1(VALU_DEP_1)
	v_dual_fmac_f32 v4, v10, v5 :: v_dual_lshlrev_b32 v5, 16, v14
	;; [unrolled: 4-line block ×3, first 2 shown]
	v_fmac_f32_e32 v4, v38, v6
	s_delay_alu instid0(VALU_DEP_1)
	v_fmac_f32_e32 v4, v39, v5
	s_cbranch_vccz .LBB666_13
; %bb.12:
	ds_load_b128 v[5:8], v2 offset:64
	ds_load_b128 v[9:12], v2 offset:80
	s_waitcnt lgkmcnt(1)
	v_fmac_f32_e32 v4, v5, v35
	s_delay_alu instid0(VALU_DEP_1) | instskip(NEXT) | instid1(VALU_DEP_1)
	v_fmac_f32_e32 v4, v6, v34
	v_fmac_f32_e32 v4, v7, v33
	s_delay_alu instid0(VALU_DEP_1) | instskip(SKIP_3) | instid1(VALU_DEP_1)
	v_fmac_f32_e32 v4, v8, v32
	ds_load_b128 v[5:8], v2 offset:96
	s_waitcnt lgkmcnt(1)
	v_fmac_f32_e32 v4, v9, v31
	v_fmac_f32_e32 v4, v10, v30
	s_delay_alu instid0(VALU_DEP_1) | instskip(NEXT) | instid1(VALU_DEP_1)
	v_fmac_f32_e32 v4, v11, v29
	v_fmac_f32_e32 v4, v12, v28
	ds_load_b128 v[9:12], v2 offset:112
	s_waitcnt lgkmcnt(1)
	v_fmac_f32_e32 v4, v5, v27
	s_delay_alu instid0(VALU_DEP_1) | instskip(NEXT) | instid1(VALU_DEP_1)
	v_fmac_f32_e32 v4, v6, v26
	v_fmac_f32_e32 v4, v7, v25
	s_delay_alu instid0(VALU_DEP_1) | instskip(SKIP_1) | instid1(VALU_DEP_1)
	v_fmac_f32_e32 v4, v8, v24
	s_waitcnt lgkmcnt(0)
	v_fmac_f32_e32 v4, v9, v23
	s_delay_alu instid0(VALU_DEP_1) | instskip(NEXT) | instid1(VALU_DEP_1)
	v_fmac_f32_e32 v4, v10, v22
	v_fmac_f32_e32 v4, v11, v21
	s_delay_alu instid0(VALU_DEP_1)
	v_fmac_f32_e32 v4, v12, v20
.LBB666_13:
	s_movk_i32 s43, 0x1f80
	s_movk_i32 s44, 0x80
	s_mov_b32 s45, 32
	s_branch .LBB666_15
.LBB666_14:                             ;   in Loop: Header=BB666_15 Depth=1
	s_addk_i32 s43, 0x1000
	s_addk_i32 s44, 0x80
	s_add_i32 s45, s45, 32
	s_cmpk_eq_u32 s43, 0xdf80
	s_cbranch_scc1 .LBB666_17
.LBB666_15:                             ; =>This Inner Loop Header: Depth=1
	s_cmp_le_i32 s40, s45
	s_cbranch_scc1 .LBB666_14
; %bb.16:                               ;   in Loop: Header=BB666_15 Depth=1
	s_add_i32 s4, s43, 0xfffff080
	v_mov_b32_e32 v44, s44
	s_cmp_lt_i32 s4, s41
	s_cselect_b32 s4, s4, s42
	s_add_i32 s6, s43, 0xfffff100
	s_ashr_i32 s5, s4, 31
	s_delay_alu instid0(SALU_CYCLE_1)
	s_lshl_b64 s[38:39], s[4:5], 1
	s_cmp_lt_i32 s6, s41
	v_add_co_u32 v5, vcc_lo, v1, s38
	s_cselect_b32 s4, s6, s42
	s_add_i32 s6, s43, 0xfffff180
	s_ashr_i32 s5, s4, 31
	v_add_co_ci_u32_e32 v6, vcc_lo, s39, v3, vcc_lo
	s_lshl_b64 s[4:5], s[4:5], 1
	s_cmp_lt_i32 s6, s41
	s_cselect_b32 s6, s6, s42
	s_add_i32 s8, s43, 0xfffff200
	s_ashr_i32 s7, s6, 31
	global_load_u16 v2, v[5:6], off
	s_lshl_b64 s[6:7], s[6:7], 1
	s_cmp_lt_i32 s8, s41
	v_add_co_u32 v5, vcc_lo, v1, s4
	s_cselect_b32 s8, s8, s42
	s_add_i32 s10, s43, 0xfffff280
	s_ashr_i32 s9, s8, 31
	v_add_co_ci_u32_e32 v6, vcc_lo, s5, v3, vcc_lo
	s_lshl_b64 s[8:9], s[8:9], 1
	s_cmp_lt_i32 s10, s41
	v_add_co_u32 v7, vcc_lo, v1, s6
	s_cselect_b32 s10, s10, s42
	s_add_i32 s18, s43, 0xfffff300
	s_ashr_i32 s11, s10, 31
	v_add_co_ci_u32_e32 v8, vcc_lo, s7, v3, vcc_lo
	s_lshl_b64 s[10:11], s[10:11], 1
	s_cmp_lt_i32 s18, s41
	v_add_co_u32 v9, vcc_lo, v1, s8
	s_cselect_b32 s18, s18, s42
	s_add_i32 s20, s43, 0xfffff380
	s_ashr_i32 s19, s18, 31
	s_clause 0x1
	global_load_u16 v23, v[5:6], off
	global_load_u16 v24, v[7:8], off
	s_lshl_b64 s[18:19], s[18:19], 1
	s_cmp_lt_i32 s20, s41
	v_add_co_ci_u32_e32 v10, vcc_lo, s9, v3, vcc_lo
	s_cselect_b32 s20, s20, s42
	s_add_i32 s22, s43, 0xfffff400
	s_ashr_i32 s21, s20, 31
	global_load_u16 v25, v[9:10], off
	s_lshl_b64 s[20:21], s[20:21], 1
	s_cmp_lt_i32 s22, s41
	v_add_co_u32 v11, vcc_lo, v1, s10
	s_cselect_b32 s22, s22, s42
	s_add_i32 s24, s43, 0xfffff480
	s_ashr_i32 s23, s22, 31
	v_add_co_ci_u32_e32 v12, vcc_lo, s11, v3, vcc_lo
	s_lshl_b64 s[22:23], s[22:23], 1
	s_cmp_lt_i32 s24, s41
	v_add_co_u32 v13, vcc_lo, v1, s18
	global_load_u16 v26, v[11:12], off
	s_cselect_b32 s24, s24, s42
	s_add_i32 s26, s43, 0xfffff500
	s_ashr_i32 s25, s24, 31
	v_add_co_ci_u32_e32 v14, vcc_lo, s19, v3, vcc_lo
	s_lshl_b64 s[24:25], s[24:25], 1
	s_cmp_lt_i32 s26, s41
	v_add_co_u32 v15, vcc_lo, v1, s20
	global_load_u16 v27, v[13:14], off
	s_cselect_b32 s26, s26, s42
	s_add_i32 s28, s43, 0xfffff580
	s_ashr_i32 s27, s26, 31
	v_add_co_ci_u32_e32 v16, vcc_lo, s21, v3, vcc_lo
	s_lshl_b64 s[36:37], s[26:27], 1
	s_cmp_lt_i32 s28, s41
	v_add_co_u32 v17, vcc_lo, v1, s22
	s_cselect_b32 s26, s28, s42
	s_add_i32 s30, s43, 0xfffff600
	s_ashr_i32 s27, s26, 31
	v_add_co_ci_u32_e32 v18, vcc_lo, s23, v3, vcc_lo
	s_lshl_b64 s[28:29], s[26:27], 1
	s_cmp_lt_i32 s30, s41
	v_add_co_u32 v19, vcc_lo, v1, s24
	global_load_u16 v17, v[17:18], off
	s_cselect_b32 s26, s30, s42
	s_add_i32 s30, s43, 0xfffff680
	s_ashr_i32 s27, s26, 31
	v_add_co_ci_u32_e32 v20, vcc_lo, s25, v3, vcc_lo
	s_lshl_b64 s[26:27], s[26:27], 1
	s_cmp_lt_i32 s30, s41
	v_add_co_u32 v21, vcc_lo, v1, s36
	s_cselect_b32 s30, s30, s42
	s_add_i32 s46, s43, 0xfffff700
	s_ashr_i32 s31, s30, 31
	v_add_co_ci_u32_e32 v22, vcc_lo, s37, v3, vcc_lo
	s_lshl_b64 s[34:35], s[30:31], 1
	s_cmp_lt_i32 s46, s41
	v_add_co_u32 v5, vcc_lo, v1, s28
	;; [unrolled: 7-line block ×3, first 2 shown]
	s_cselect_b32 s46, s46, s42
	s_add_i32 s48, s43, 0xfffff800
	s_ashr_i32 s47, s46, 31
	global_load_u16 v28, v[15:16], off
	s_lshl_b64 s[38:39], s[46:47], 1
	s_cmp_lt_i32 s48, s41
	v_add_co_ci_u32_e32 v8, vcc_lo, s27, v3, vcc_lo
	s_cselect_b32 s46, s48, s42
	v_add_co_u32 v9, vcc_lo, v1, s34
	s_ashr_i32 s47, s46, 31
	s_add_i32 s4, s43, 0xfffff880
	s_lshl_b64 s[46:47], s[46:47], 1
	v_add_co_ci_u32_e32 v10, vcc_lo, s35, v3, vcc_lo
	s_cmp_lt_i32 s4, s41
	v_add_co_u32 v11, vcc_lo, v1, s30
	s_cselect_b32 s4, s4, s42
	v_add_co_ci_u32_e32 v12, vcc_lo, s31, v3, vcc_lo
	v_add_co_u32 v13, vcc_lo, v1, s38
	s_ashr_i32 s5, s4, 31
	s_add_i32 s6, s43, 0xfffff900
	v_add_co_ci_u32_e32 v14, vcc_lo, s39, v3, vcc_lo
	global_load_u16 v18, v[19:20], off
	s_lshl_b64 s[8:9], s[4:5], 1
	s_cmp_lt_i32 s6, s41
	global_load_u16 v30, v[13:14], off
	s_cselect_b32 s4, s6, s42
	global_load_u16 v19, v[21:22], off
	s_ashr_i32 s5, s4, 31
	s_add_i32 s6, s43, 0xfffff980
	s_lshl_b64 s[10:11], s[4:5], 1
	s_cmp_lt_i32 s6, s41
	s_clause 0x3
	global_load_u16 v20, v[5:6], off
	global_load_u16 v21, v[7:8], off
	;; [unrolled: 1-line block ×4, first 2 shown]
	s_cselect_b32 s4, s6, s42
	s_add_i32 s6, s43, 0xfffffa00
	s_ashr_i32 s5, s4, 31
	v_add_co_u32 v15, vcc_lo, v1, s46
	s_lshl_b64 s[4:5], s[4:5], 1
	s_cmp_lt_i32 s6, s41
	v_add_co_ci_u32_e32 v16, vcc_lo, s47, v3, vcc_lo
	s_cselect_b32 s6, s6, s42
	s_add_i32 s18, s43, 0xfffffa80
	s_ashr_i32 s7, s6, 31
	v_add_co_u32 v5, vcc_lo, v1, s8
	s_lshl_b64 s[6:7], s[6:7], 1
	s_cmp_lt_i32 s18, s41
	v_add_co_ci_u32_e32 v6, vcc_lo, s9, v3, vcc_lo
	s_cselect_b32 s18, s18, s42
	v_add_co_u32 v7, vcc_lo, v1, s10
	s_ashr_i32 s19, s18, 31
	s_add_i32 s20, s43, 0xfffffb00
	s_lshl_b64 s[18:19], s[18:19], 1
	v_add_co_ci_u32_e32 v8, vcc_lo, s11, v3, vcc_lo
	s_cmp_lt_i32 s20, s41
	v_add_co_u32 v9, vcc_lo, v1, s4
	s_cselect_b32 s20, s20, s42
	v_add_co_ci_u32_e32 v10, vcc_lo, s5, v3, vcc_lo
	v_add_co_u32 v11, vcc_lo, v1, s6
	s_ashr_i32 s21, s20, 31
	s_add_i32 s22, s43, 0xfffffb80
	v_add_co_ci_u32_e32 v12, vcc_lo, s7, v3, vcc_lo
	global_load_u16 v15, v[15:16], off
	s_lshl_b64 s[20:21], s[20:21], 1
	s_cmp_lt_i32 s22, s41
	global_load_u16 v33, v[11:12], off
	s_cselect_b32 s22, s22, s42
	s_clause 0x2
	global_load_u16 v16, v[5:6], off
	global_load_u16 v31, v[7:8], off
	;; [unrolled: 1-line block ×3, first 2 shown]
	s_ashr_i32 s23, s22, 31
	s_add_i32 s24, s43, 0xfffffc00
	s_lshl_b64 s[22:23], s[22:23], 1
	s_cmp_lt_i32 s24, s41
	v_add_co_u32 v13, vcc_lo, v1, s18
	s_cselect_b32 s24, s24, s42
	s_add_i32 s26, s43, 0xfffffc80
	s_ashr_i32 s25, s24, 31
	v_add_co_ci_u32_e32 v14, vcc_lo, s19, v3, vcc_lo
	s_lshl_b64 s[24:25], s[24:25], 1
	s_cmp_lt_i32 s26, s41
	v_add_co_u32 v5, vcc_lo, v1, s20
	s_cselect_b32 s8, s26, s42
	v_add_co_ci_u32_e32 v6, vcc_lo, s21, v3, vcc_lo
	s_ashr_i32 s9, s8, 31
	v_add_co_u32 v7, vcc_lo, v1, s22
	s_add_i32 s10, s43, 0xfffffd00
	s_lshl_b64 s[8:9], s[8:9], 1
	v_add_co_ci_u32_e32 v8, vcc_lo, s23, v3, vcc_lo
	s_cmp_lt_i32 s10, s41
	v_add_co_u32 v9, vcc_lo, v1, s24
	s_cselect_b32 s4, s10, s42
	global_load_u16 v13, v[13:14], off
	v_add_co_ci_u32_e32 v10, vcc_lo, s25, v3, vcc_lo
	s_ashr_i32 s5, s4, 31
	s_add_i32 s6, s43, 0xfffffd80
	s_lshl_b64 s[4:5], s[4:5], 1
	global_load_u16 v35, v[9:10], off
	s_cmp_lt_i32 s6, s41
	s_clause 0x1
	global_load_u16 v14, v[5:6], off
	global_load_u16 v34, v[7:8], off
	s_cselect_b32 s6, s6, s42
	s_add_i32 s10, s43, 0xfffffe00
	s_ashr_i32 s7, s6, 31
	v_add_co_u32 v5, vcc_lo, v1, s8
	s_lshl_b64 s[6:7], s[6:7], 1
	s_cmp_lt_i32 s10, s41
	v_add_co_ci_u32_e32 v6, vcc_lo, s9, v3, vcc_lo
	s_cselect_b32 s10, s10, s42
	v_add_co_u32 v7, vcc_lo, v1, s4
	s_ashr_i32 s11, s10, 31
	v_add_co_ci_u32_e32 v8, vcc_lo, s5, v3, vcc_lo
	s_add_i32 s18, s43, 0xfffffe80
	s_lshl_b64 s[10:11], s[10:11], 1
	s_cmp_lt_i32 s18, s41
	s_clause 0x1
	global_load_u16 v36, v[5:6], off
	global_load_u16 v37, v[7:8], off
	s_cselect_b32 s18, s18, s42
	v_add_co_u32 v5, vcc_lo, v1, s6
	s_ashr_i32 s19, s18, 31
	v_add_co_ci_u32_e32 v6, vcc_lo, s7, v3, vcc_lo
	s_add_i32 s20, s43, 0xffffff00
	v_add_co_u32 v7, vcc_lo, v1, s10
	s_lshl_b64 s[8:9], s[18:19], 1
	s_cmp_lt_i32 s20, s41
	v_add_co_ci_u32_e32 v8, vcc_lo, s11, v3, vcc_lo
	s_cselect_b32 s4, s20, s42
	global_load_u16 v38, v[5:6], off
	s_ashr_i32 s5, s4, 31
	global_load_u16 v39, v[7:8], off
	s_add_i32 s18, s43, 0xffffff80
	v_add_co_u32 v5, vcc_lo, v1, s8
	s_lshl_b64 s[4:5], s[4:5], 1
	s_cmp_lt_i32 s18, s41
	v_add_co_ci_u32_e32 v6, vcc_lo, s9, v3, vcc_lo
	v_add_co_u32 v7, vcc_lo, v1, s4
	s_cselect_b32 s6, s18, s42
	v_add_co_ci_u32_e32 v8, vcc_lo, s5, v3, vcc_lo
	s_ashr_i32 s7, s6, 31
	global_load_u16 v40, v[5:6], off
	s_lshl_b64 s[6:7], s[6:7], 1
	global_load_u16 v41, v[7:8], off
	s_cmp_lt_i32 s43, s41
	v_add_co_u32 v5, vcc_lo, v1, s6
	s_cselect_b32 s4, s43, s42
	v_add_co_ci_u32_e32 v6, vcc_lo, s7, v3, vcc_lo
	s_ashr_i32 s5, s4, 31
	s_delay_alu instid0(SALU_CYCLE_1)
	s_lshl_b64 s[4:5], s[4:5], 1
	global_load_u16 v42, v[5:6], off
	v_add_co_u32 v5, vcc_lo, v1, s4
	v_add_co_ci_u32_e32 v6, vcc_lo, s5, v3, vcc_lo
	global_load_u16 v43, v[5:6], off
	ds_load_b128 v[5:8], v44
	ds_load_b128 v[9:12], v44 offset:16
	s_waitcnt vmcnt(31)
	v_lshlrev_b32_e32 v2, 16, v2
	s_waitcnt lgkmcnt(1)
	s_delay_alu instid0(VALU_DEP_1) | instskip(SKIP_2) | instid1(VALU_DEP_1)
	v_fmac_f32_e32 v4, v5, v2
	s_waitcnt vmcnt(30)
	v_lshlrev_b32_e32 v2, 16, v23
	v_fmac_f32_e32 v4, v6, v2
	s_waitcnt vmcnt(29)
	v_lshlrev_b32_e32 v2, 16, v24
	s_delay_alu instid0(VALU_DEP_1) | instskip(SKIP_2) | instid1(VALU_DEP_1)
	v_fmac_f32_e32 v4, v7, v2
	s_waitcnt vmcnt(28)
	v_lshlrev_b32_e32 v2, 16, v25
	v_fmac_f32_e32 v4, v8, v2
	ds_load_b128 v[5:8], v44 offset:32
	s_waitcnt vmcnt(27)
	v_lshlrev_b32_e32 v2, 16, v26
	s_waitcnt lgkmcnt(1)
	s_delay_alu instid0(VALU_DEP_1) | instskip(SKIP_2) | instid1(VALU_DEP_1)
	v_fmac_f32_e32 v4, v9, v2
	s_waitcnt vmcnt(26)
	v_lshlrev_b32_e32 v2, 16, v27
	v_fmac_f32_e32 v4, v10, v2
	s_waitcnt vmcnt(24)
	v_lshlrev_b32_e32 v2, 16, v28
	s_delay_alu instid0(VALU_DEP_1) | instskip(SKIP_1) | instid1(VALU_DEP_1)
	v_fmac_f32_e32 v4, v11, v2
	v_lshlrev_b32_e32 v2, 16, v17
	v_fmac_f32_e32 v4, v12, v2
	ds_load_b128 v[9:12], v44 offset:48
	s_waitcnt vmcnt(23)
	v_lshlrev_b32_e32 v2, 16, v18
	s_waitcnt lgkmcnt(1)
	s_delay_alu instid0(VALU_DEP_1) | instskip(SKIP_2) | instid1(VALU_DEP_1)
	v_fmac_f32_e32 v4, v5, v2
	s_waitcnt vmcnt(21)
	v_lshlrev_b32_e32 v2, 16, v19
	v_fmac_f32_e32 v4, v6, v2
	s_waitcnt vmcnt(20)
	v_lshlrev_b32_e32 v2, 16, v20
	s_delay_alu instid0(VALU_DEP_1) | instskip(SKIP_2) | instid1(VALU_DEP_1)
	v_fmac_f32_e32 v4, v7, v2
	s_waitcnt vmcnt(19)
	v_lshlrev_b32_e32 v2, 16, v21
	v_fmac_f32_e32 v4, v8, v2
	s_waitcnt vmcnt(18)
	v_lshlrev_b32_e32 v2, 16, v22
	ds_load_b128 v[5:8], v44 offset:64
	s_waitcnt lgkmcnt(1)
	v_fmac_f32_e32 v4, v9, v2
	s_waitcnt vmcnt(17)
	v_lshlrev_b32_e32 v2, 16, v29
	s_delay_alu instid0(VALU_DEP_1) | instskip(SKIP_1) | instid1(VALU_DEP_1)
	v_fmac_f32_e32 v4, v10, v2
	v_lshlrev_b32_e32 v2, 16, v30
	v_fmac_f32_e32 v4, v11, v2
	s_waitcnt vmcnt(16)
	v_lshlrev_b32_e32 v2, 16, v15
	s_delay_alu instid0(VALU_DEP_1) | instskip(SKIP_4) | instid1(VALU_DEP_1)
	v_fmac_f32_e32 v4, v12, v2
	ds_load_b128 v[9:12], v44 offset:80
	s_waitcnt vmcnt(14)
	v_lshlrev_b32_e32 v2, 16, v16
	s_waitcnt lgkmcnt(1)
	v_fmac_f32_e32 v4, v5, v2
	s_waitcnt vmcnt(13)
	v_lshlrev_b32_e32 v2, 16, v31
	s_delay_alu instid0(VALU_DEP_1) | instskip(SKIP_2) | instid1(VALU_DEP_1)
	v_fmac_f32_e32 v4, v6, v2
	s_waitcnt vmcnt(12)
	v_lshlrev_b32_e32 v2, 16, v32
	v_fmac_f32_e32 v4, v7, v2
	v_lshlrev_b32_e32 v2, 16, v33
	s_delay_alu instid0(VALU_DEP_1) | instskip(SKIP_4) | instid1(VALU_DEP_1)
	v_fmac_f32_e32 v4, v8, v2
	ds_load_b128 v[5:8], v44 offset:96
	s_waitcnt vmcnt(11)
	v_lshlrev_b32_e32 v2, 16, v13
	s_waitcnt lgkmcnt(1)
	v_fmac_f32_e32 v4, v9, v2
	s_waitcnt vmcnt(9)
	v_lshlrev_b32_e32 v2, 16, v14
	s_delay_alu instid0(VALU_DEP_1) | instskip(SKIP_2) | instid1(VALU_DEP_1)
	v_fmac_f32_e32 v4, v10, v2
	s_waitcnt vmcnt(8)
	v_lshlrev_b32_e32 v2, 16, v34
	v_fmac_f32_e32 v4, v11, v2
	;; [unrolled: 15-line block ×3, first 2 shown]
	s_waitcnt vmcnt(4)
	v_lshlrev_b32_e32 v2, 16, v39
	s_delay_alu instid0(VALU_DEP_1) | instskip(SKIP_3) | instid1(VALU_DEP_1)
	v_fmac_f32_e32 v4, v8, v2
	s_waitcnt vmcnt(3)
	v_lshlrev_b32_e32 v2, 16, v40
	s_waitcnt lgkmcnt(0)
	v_fmac_f32_e32 v4, v9, v2
	s_waitcnt vmcnt(2)
	v_lshlrev_b32_e32 v2, 16, v41
	s_delay_alu instid0(VALU_DEP_1) | instskip(SKIP_2) | instid1(VALU_DEP_1)
	v_fmac_f32_e32 v4, v10, v2
	s_waitcnt vmcnt(1)
	v_lshlrev_b32_e32 v2, 16, v42
	v_fmac_f32_e32 v4, v11, v2
	s_waitcnt vmcnt(0)
	v_lshlrev_b32_e32 v2, 16, v43
	s_delay_alu instid0(VALU_DEP_1)
	v_fmac_f32_e32 v4, v12, v2
	s_branch .LBB666_14
.LBB666_17:
	v_mov_b32_e32 v1, 0
	s_and_b32 vcc_lo, exec_lo, s15
	ds_load_b32 v1, v1 offset:1664
	s_cbranch_vccz .LBB666_19
; %bb.18:
	s_add_u32 s2, s12, s16
	s_addc_u32 s3, s13, s17
	s_load_b32 s2, s[2:3], 0x0
	s_mov_b32 s3, 0
.LBB666_19:
	s_waitcnt lgkmcnt(0)
	v_add_f32_e32 v1, 0x358637bd, v1
	s_delay_alu instid0(VALU_DEP_1) | instskip(NEXT) | instid1(VALU_DEP_1)
	v_div_scale_f32 v2, null, v1, v1, 1.0
	v_rcp_f32_e32 v3, v2
	s_waitcnt_depctr 0xfff
	v_fma_f32 v5, -v2, v3, 1.0
	s_delay_alu instid0(VALU_DEP_1) | instskip(SKIP_1) | instid1(VALU_DEP_1)
	v_fmac_f32_e32 v3, v5, v3
	v_div_scale_f32 v5, vcc_lo, 1.0, v1, 1.0
	v_mul_f32_e32 v6, v5, v3
	s_delay_alu instid0(VALU_DEP_1) | instskip(NEXT) | instid1(VALU_DEP_1)
	v_fma_f32 v7, -v2, v6, v5
	v_fmac_f32_e32 v6, v7, v3
	s_delay_alu instid0(VALU_DEP_1) | instskip(NEXT) | instid1(VALU_DEP_1)
	v_fma_f32 v2, -v2, v6, v5
	v_div_fmas_f32 v2, v2, v3, v6
	s_delay_alu instid0(VALU_DEP_1) | instskip(NEXT) | instid1(VALU_DEP_1)
	v_div_fixup_f32 v1, v2, v1, 1.0
	v_mul_f32_e32 v2, v4, v1
	s_delay_alu instid0(VALU_DEP_1) | instskip(NEXT) | instid1(VALU_DEP_1)
	v_and_b32_e32 v1, 0x7f800000, v2
	v_cmp_ne_u32_e32 vcc_lo, 0x7f800000, v1
                                        ; implicit-def: $vgpr1
	s_and_saveexec_b32 s4, vcc_lo
	s_delay_alu instid0(SALU_CYCLE_1)
	s_xor_b32 s4, exec_lo, s4
; %bb.20:
	v_bfe_u32 v1, v2, 16, 1
	s_delay_alu instid0(VALU_DEP_1)
	v_add3_u32 v1, v2, v1, 0x7fff
                                        ; implicit-def: $vgpr2
; %bb.21:
	s_and_not1_saveexec_b32 s4, s4
; %bb.22:
	v_and_b32_e32 v1, 0xffff, v2
	v_or_b32_e32 v3, 0x10000, v2
	s_delay_alu instid0(VALU_DEP_2) | instskip(NEXT) | instid1(VALU_DEP_2)
	v_cmp_eq_u32_e32 vcc_lo, 0, v1
	v_cndmask_b32_e32 v1, v3, v2, vcc_lo
; %bb.23:
	s_or_b32 exec_lo, exec_lo, s4
	s_mul_i32 s3, s33, s3
	s_mul_hi_u32 s4, s33, s2
	s_mul_i32 s2, s33, s2
	s_add_i32 s3, s4, s3
	s_mov_b32 s15, 0
	s_lshl_b64 s[2:3], s[2:3], 8
	s_delay_alu instid0(SALU_CYCLE_1) | instskip(SKIP_2) | instid1(SALU_CYCLE_1)
	s_add_u32 s2, s0, s2
	s_addc_u32 s3, s1, s3
	s_lshl_b64 s[0:1], s[14:15], 8
	s_add_u32 s0, s2, s0
	s_addc_u32 s1, s3, s1
	global_store_d16_hi_b16 v0, v1, s[0:1]
	s_nop 0
	s_sendmsg sendmsg(MSG_DEALLOC_VGPRS)
	s_endpgm
.LBB666_24:
	s_mov_b32 s4, 0
	s_branch .LBB666_2
	.section	.rodata,"a",@progbits
	.p2align	6, 0x0
	.amdhsa_kernel _Z35paged_attention_ll4mi_reduce_kernelI14__hip_bfloat16S0_Li128ELi128ELi256ELi13EEvPT0_PKfS4_PKT_PKiS9_iS4_
		.amdhsa_group_segment_fixed_size 1668
		.amdhsa_private_segment_fixed_size 0
		.amdhsa_kernarg_size 320
		.amdhsa_user_sgpr_count 14
		.amdhsa_user_sgpr_dispatch_ptr 0
		.amdhsa_user_sgpr_queue_ptr 0
		.amdhsa_user_sgpr_kernarg_segment_ptr 1
		.amdhsa_user_sgpr_dispatch_id 0
		.amdhsa_user_sgpr_private_segment_size 0
		.amdhsa_wavefront_size32 1
		.amdhsa_uses_dynamic_stack 0
		.amdhsa_enable_private_segment 0
		.amdhsa_system_sgpr_workgroup_id_x 1
		.amdhsa_system_sgpr_workgroup_id_y 1
		.amdhsa_system_sgpr_workgroup_id_z 0
		.amdhsa_system_sgpr_workgroup_info 0
		.amdhsa_system_vgpr_workitem_id 0
		.amdhsa_next_free_vgpr 68
		.amdhsa_next_free_sgpr 49
		.amdhsa_reserve_vcc 1
		.amdhsa_float_round_mode_32 0
		.amdhsa_float_round_mode_16_64 0
		.amdhsa_float_denorm_mode_32 3
		.amdhsa_float_denorm_mode_16_64 3
		.amdhsa_dx10_clamp 1
		.amdhsa_ieee_mode 1
		.amdhsa_fp16_overflow 0
		.amdhsa_workgroup_processor_mode 1
		.amdhsa_memory_ordered 1
		.amdhsa_forward_progress 0
		.amdhsa_shared_vgpr_count 0
		.amdhsa_exception_fp_ieee_invalid_op 0
		.amdhsa_exception_fp_denorm_src 0
		.amdhsa_exception_fp_ieee_div_zero 0
		.amdhsa_exception_fp_ieee_overflow 0
		.amdhsa_exception_fp_ieee_underflow 0
		.amdhsa_exception_fp_ieee_inexact 0
		.amdhsa_exception_int_div_zero 0
	.end_amdhsa_kernel
	.section	.text._Z35paged_attention_ll4mi_reduce_kernelI14__hip_bfloat16S0_Li128ELi128ELi256ELi13EEvPT0_PKfS4_PKT_PKiS9_iS4_,"axG",@progbits,_Z35paged_attention_ll4mi_reduce_kernelI14__hip_bfloat16S0_Li128ELi128ELi256ELi13EEvPT0_PKfS4_PKT_PKiS9_iS4_,comdat
.Lfunc_end666:
	.size	_Z35paged_attention_ll4mi_reduce_kernelI14__hip_bfloat16S0_Li128ELi128ELi256ELi13EEvPT0_PKfS4_PKT_PKiS9_iS4_, .Lfunc_end666-_Z35paged_attention_ll4mi_reduce_kernelI14__hip_bfloat16S0_Li128ELi128ELi256ELi13EEvPT0_PKfS4_PKT_PKiS9_iS4_
                                        ; -- End function
	.section	.AMDGPU.csdata,"",@progbits
; Kernel info:
; codeLenInByte = 7676
; NumSgprs: 51
; NumVgprs: 68
; ScratchSize: 0
; MemoryBound: 0
; FloatMode: 240
; IeeeMode: 1
; LDSByteSize: 1668 bytes/workgroup (compile time only)
; SGPRBlocks: 6
; VGPRBlocks: 8
; NumSGPRsForWavesPerEU: 51
; NumVGPRsForWavesPerEU: 68
; Occupancy: 16
; WaveLimiterHint : 0
; COMPUTE_PGM_RSRC2:SCRATCH_EN: 0
; COMPUTE_PGM_RSRC2:USER_SGPR: 14
; COMPUTE_PGM_RSRC2:TRAP_HANDLER: 0
; COMPUTE_PGM_RSRC2:TGID_X_EN: 1
; COMPUTE_PGM_RSRC2:TGID_Y_EN: 1
; COMPUTE_PGM_RSRC2:TGID_Z_EN: 0
; COMPUTE_PGM_RSRC2:TIDIG_COMP_CNT: 0
	.section	.text._Z35paged_attention_ll4mi_reduce_kernelI14__hip_bfloat16S0_Li128ELi128ELi256ELi14EEvPT0_PKfS4_PKT_PKiS9_iS4_,"axG",@progbits,_Z35paged_attention_ll4mi_reduce_kernelI14__hip_bfloat16S0_Li128ELi128ELi256ELi14EEvPT0_PKfS4_PKT_PKiS9_iS4_,comdat
	.protected	_Z35paged_attention_ll4mi_reduce_kernelI14__hip_bfloat16S0_Li128ELi128ELi256ELi14EEvPT0_PKfS4_PKT_PKiS9_iS4_ ; -- Begin function _Z35paged_attention_ll4mi_reduce_kernelI14__hip_bfloat16S0_Li128ELi128ELi256ELi14EEvPT0_PKfS4_PKT_PKiS9_iS4_
	.globl	_Z35paged_attention_ll4mi_reduce_kernelI14__hip_bfloat16S0_Li128ELi128ELi256ELi14EEvPT0_PKfS4_PKT_PKiS9_iS4_
	.p2align	8
	.type	_Z35paged_attention_ll4mi_reduce_kernelI14__hip_bfloat16S0_Li128ELi128ELi256ELi14EEvPT0_PKfS4_PKT_PKiS9_iS4_,@function
_Z35paged_attention_ll4mi_reduce_kernelI14__hip_bfloat16S0_Li128ELi128ELi256ELi14EEvPT0_PKfS4_PKT_PKiS9_iS4_: ; @_Z35paged_attention_ll4mi_reduce_kernelI14__hip_bfloat16S0_Li128ELi128ELi256ELi14EEvPT0_PKfS4_PKT_PKiS9_iS4_
; %bb.0:
	s_load_b64 s[12:13], s[0:1], 0x28
	s_mov_b32 s2, s15
	s_waitcnt lgkmcnt(0)
	s_cmp_lg_u64 s[12:13], 0
	s_cselect_b32 s15, -1, 0
	s_delay_alu instid0(SALU_CYCLE_1)
	s_and_b32 vcc_lo, exec_lo, s15
	s_cbranch_vccz .LBB667_24
; %bb.1:
	s_add_i32 s4, s2, 1
	s_mov_b32 s5, 0
	s_delay_alu instid0(SALU_CYCLE_1) | instskip(SKIP_4) | instid1(SALU_CYCLE_1)
	s_lshl_b64 s[6:7], s[4:5], 2
	s_mov_b32 s3, s5
	s_add_u32 s6, s12, s6
	s_addc_u32 s7, s13, s7
	s_lshl_b64 s[8:9], s[2:3], 2
	s_add_u32 s8, s12, s8
	s_addc_u32 s9, s13, s9
	s_clause 0x1
	s_load_b32 s4, s[6:7], 0x0
	s_load_b32 s6, s[8:9], 0x0
	s_waitcnt lgkmcnt(0)
	s_sub_i32 s4, s4, s6
	s_delay_alu instid0(SALU_CYCLE_1)
	s_cmp_eq_u32 s4, 1
	s_cselect_b32 s4, -1, 0
	s_cbranch_execnz .LBB667_3
.LBB667_2:
	s_mov_b32 s3, 0
	s_mov_b32 s4, -1
.LBB667_3:
	s_delay_alu instid0(SALU_CYCLE_1)
	s_and_not1_b32 vcc_lo, exec_lo, s4
	s_cbranch_vccz .LBB667_5
; %bb.4:
	s_endpgm
.LBB667_5:
	s_clause 0x1
	s_load_b128 s[4:7], s[0:1], 0x18
	s_load_b32 s9, s[0:1], 0x30
	s_lshl_b64 s[16:17], s[2:3], 2
	s_waitcnt lgkmcnt(0)
	s_add_u32 s6, s6, s16
	s_addc_u32 s7, s7, s17
	s_load_b32 s23, s[6:7], 0x0
	s_load_b32 s33, s[0:1], 0x40
	s_mul_i32 s7, s2, s9
	s_waitcnt lgkmcnt(0)
	s_add_i32 s22, s23, 0xff
	s_delay_alu instid0(SALU_CYCLE_1) | instskip(NEXT) | instid1(SALU_CYCLE_1)
	s_ashr_i32 s6, s22, 31
	s_lshr_b32 s6, s6, 24
	s_delay_alu instid0(SALU_CYCLE_1) | instskip(SKIP_4) | instid1(SALU_CYCLE_1)
	s_add_i32 s8, s22, s6
	s_mul_i32 s6, s14, s9
	s_mov_b32 s9, exec_lo
	v_cmpx_lt_u32_e32 31, v0
	s_xor_b32 s9, exec_lo, s9
	s_or_saveexec_b32 s24, s9
	v_mov_b32_e32 v1, s6
	s_ashr_i32 s40, s8, 8
	s_mul_i32 s18, s7, s33
	s_xor_b32 exec_lo, exec_lo, s24
	s_cbranch_execz .LBB667_9
; %bb.6:
	v_or_b32_e32 v2, 32, v0
	v_cmp_gt_i32_e32 vcc_lo, s40, v0
	s_add_i32 s20, s40, -1
	v_or_b32_e32 v4, 64, v0
	v_or_b32_e32 v6, 0x80, v0
	s_load_b128 s[8:11], s[0:1], 0x8
	v_cndmask_b32_e32 v1, s20, v0, vcc_lo
	v_cmp_gt_i32_e32 vcc_lo, s40, v2
	s_mov_b32 s19, 0
	s_delay_alu instid0(SALU_CYCLE_1) | instskip(SKIP_4) | instid1(VALU_DEP_3)
	s_mov_b32 s7, s19
	v_cndmask_b32_e32 v3, s20, v2, vcc_lo
	v_or_b32_e32 v2, 0x60, v0
	v_cmp_gt_i32_e32 vcc_lo, s40, v4
	v_cndmask_b32_e32 v5, s20, v4, vcc_lo
	v_cmp_gt_i32_e32 vcc_lo, s40, v2
	v_or_b32_e32 v4, 0xa0, v0
	v_cndmask_b32_e32 v7, s20, v2, vcc_lo
	v_cmp_gt_i32_e32 vcc_lo, s40, v6
	v_or_b32_e32 v2, 0xc0, v0
	s_delay_alu instid0(VALU_DEP_3) | instskip(SKIP_3) | instid1(VALU_DEP_3)
	v_ashrrev_i32_e32 v8, 31, v7
	v_cndmask_b32_e32 v9, s20, v6, vcc_lo
	v_cmp_gt_i32_e32 vcc_lo, s40, v4
	v_or_b32_e32 v6, 0x100, v0
	v_ashrrev_i32_e32 v10, 31, v9
	v_cndmask_b32_e32 v11, s20, v4, vcc_lo
	v_or_b32_e32 v4, 0xe0, v0
	v_cmp_gt_i32_e32 vcc_lo, s40, v2
	s_delay_alu instid0(VALU_DEP_3) | instskip(SKIP_1) | instid1(VALU_DEP_4)
	v_ashrrev_i32_e32 v12, 31, v11
	v_cndmask_b32_e32 v13, s20, v2, vcc_lo
	v_cmp_gt_i32_e32 vcc_lo, s40, v4
	v_or_b32_e32 v2, 0x120, v0
	s_delay_alu instid0(VALU_DEP_3) | instskip(SKIP_3) | instid1(VALU_DEP_3)
	v_ashrrev_i32_e32 v14, 31, v13
	v_cndmask_b32_e32 v15, s20, v4, vcc_lo
	v_cmp_gt_i32_e32 vcc_lo, s40, v6
	v_or_b32_e32 v4, 0x140, v0
	v_ashrrev_i32_e32 v16, 31, v15
	v_cndmask_b32_e32 v17, s20, v6, vcc_lo
	v_cmp_gt_i32_e32 vcc_lo, s40, v2
	v_or_b32_e32 v6, 0x180, v0
	s_delay_alu instid0(VALU_DEP_3) | instskip(SKIP_3) | instid1(VALU_DEP_3)
	v_ashrrev_i32_e32 v18, 31, v17
	v_cndmask_b32_e32 v19, s20, v2, vcc_lo
	v_or_b32_e32 v2, 0x160, v0
	v_cmp_gt_i32_e32 vcc_lo, s40, v4
	v_ashrrev_i32_e32 v20, 31, v19
	v_cndmask_b32_e32 v21, s20, v4, vcc_lo
	s_delay_alu instid0(VALU_DEP_4) | instskip(SKIP_1) | instid1(VALU_DEP_3)
	v_cmp_gt_i32_e32 vcc_lo, s40, v2
	v_or_b32_e32 v4, 0x1a0, v0
	v_ashrrev_i32_e32 v22, 31, v21
	v_cndmask_b32_e32 v23, s20, v2, vcc_lo
	v_cmp_gt_i32_e32 vcc_lo, s40, v6
	v_ashrrev_i32_e32 v2, 31, v1
	s_delay_alu instid0(VALU_DEP_3) | instskip(SKIP_2) | instid1(VALU_DEP_4)
	v_ashrrev_i32_e32 v24, 31, v23
	v_cndmask_b32_e32 v25, s20, v6, vcc_lo
	v_cmp_gt_i32_e32 vcc_lo, s40, v4
	v_lshlrev_b64 v[29:30], 2, v[1:2]
	v_ashrrev_i32_e32 v6, 31, v5
	s_delay_alu instid0(VALU_DEP_4)
	v_ashrrev_i32_e32 v26, 31, v25
	v_cndmask_b32_e32 v27, s20, v4, vcc_lo
	v_ashrrev_i32_e32 v4, 31, v3
	s_lshl_b64 s[20:21], s[18:19], 2
	s_waitcnt lgkmcnt(0)
	s_add_u32 s19, s10, s20
	s_addc_u32 s25, s11, s21
	s_lshl_b64 s[10:11], s[6:7], 2
	v_lshlrev_b64 v[31:32], 2, v[3:4]
	s_add_u32 s7, s19, s10
	s_addc_u32 s19, s25, s11
	v_add_co_u32 v1, vcc_lo, s7, v29
	v_lshlrev_b64 v[4:5], 2, v[5:6]
	v_add_co_ci_u32_e32 v2, vcc_lo, s19, v30, vcc_lo
	v_add_co_u32 v33, vcc_lo, s7, v31
	v_lshlrev_b64 v[6:7], 2, v[7:8]
	v_add_co_ci_u32_e32 v34, vcc_lo, s19, v32, vcc_lo
	;; [unrolled: 3-line block ×6, first 2 shown]
	v_add_co_u32 v43, vcc_lo, s7, v12
	v_add_co_ci_u32_e32 v44, vcc_lo, s19, v13, vcc_lo
	s_delay_alu instid0(VALU_DEP_4)
	v_add_co_u32 v45, vcc_lo, s7, v14
	v_add_co_ci_u32_e32 v46, vcc_lo, s19, v15, vcc_lo
	s_clause 0x7
	global_load_b32 v47, v[1:2], off
	global_load_b32 v48, v[33:34], off
	;; [unrolled: 1-line block ×8, first 2 shown]
	v_lshlrev_b64 v[16:17], 2, v[17:18]
	v_lshlrev_b64 v[18:19], 2, v[19:20]
	;; [unrolled: 1-line block ×4, first 2 shown]
	v_ashrrev_i32_e32 v28, 31, v27
	v_lshlrev_b64 v[24:25], 2, v[25:26]
	v_add_co_u32 v1, vcc_lo, s7, v16
	v_add_co_ci_u32_e32 v2, vcc_lo, s19, v17, vcc_lo
	v_add_co_u32 v33, vcc_lo, s7, v18
	v_add_co_ci_u32_e32 v34, vcc_lo, s19, v19, vcc_lo
	;; [unrolled: 2-line block ×3, first 2 shown]
	v_add_co_u32 v37, vcc_lo, s7, v22
	v_lshlrev_b64 v[26:27], 2, v[27:28]
	v_add_co_ci_u32_e32 v38, vcc_lo, s19, v23, vcc_lo
	s_clause 0x3
	global_load_b32 v43, v[1:2], off
	global_load_b32 v44, v[33:34], off
	;; [unrolled: 1-line block ×4, first 2 shown]
	v_add_co_u32 v1, vcc_lo, s7, v24
	v_add_co_ci_u32_e32 v2, vcc_lo, s19, v25, vcc_lo
	v_add_co_u32 v33, vcc_lo, s7, v26
	v_add_co_ci_u32_e32 v34, vcc_lo, s19, v27, vcc_lo
	s_clause 0x1
	global_load_b32 v37, v[1:2], off
	global_load_b32 v33, v[33:34], off
	v_mbcnt_lo_u32_b32 v34, -1, 0
	s_add_u32 s7, s8, s20
	s_addc_u32 s8, s9, s21
	s_add_u32 s7, s7, s10
	s_addc_u32 s8, s8, s11
	v_xor_b32_e32 v3, 8, v34
	v_xor_b32_e32 v28, 4, v34
	s_waitcnt vmcnt(12)
	v_dual_max_f32 v2, v47, v47 :: v_dual_max_f32 v1, v48, v48
	s_delay_alu instid0(VALU_DEP_1) | instskip(SKIP_2) | instid1(VALU_DEP_2)
	v_max_f32_e32 v1, v2, v1
	v_xor_b32_e32 v2, 16, v34
	s_waitcnt vmcnt(10)
	v_max3_f32 v1, v1, v49, v50
	s_delay_alu instid0(VALU_DEP_2) | instskip(SKIP_1) | instid1(VALU_DEP_2)
	v_cmp_gt_i32_e32 vcc_lo, 32, v2
	s_waitcnt vmcnt(8)
	v_max3_f32 v1, v1, v39, v40
	v_cndmask_b32_e32 v2, v34, v2, vcc_lo
	v_cmp_gt_i32_e32 vcc_lo, 32, v3
	s_waitcnt vmcnt(6)
	s_delay_alu instid0(VALU_DEP_3) | instskip(NEXT) | instid1(VALU_DEP_3)
	v_max3_f32 v1, v1, v41, v42
	v_dual_cndmask_b32 v38, v34, v3 :: v_dual_lshlrev_b32 v3, 2, v2
	v_cmp_gt_i32_e32 vcc_lo, 32, v28
	s_waitcnt vmcnt(4)
	s_delay_alu instid0(VALU_DEP_3) | instskip(SKIP_2) | instid1(VALU_DEP_2)
	v_max3_f32 v1, v1, v43, v44
	v_cndmask_b32_e32 v28, v34, v28, vcc_lo
	s_waitcnt vmcnt(2)
	v_max3_f32 v45, v1, v35, v36
	v_lshlrev_b32_e32 v1, 2, v38
	s_delay_alu instid0(VALU_DEP_3)
	v_lshlrev_b32_e32 v2, 2, v28
	v_add_co_u32 v28, vcc_lo, s7, v29
	v_add_co_ci_u32_e32 v29, vcc_lo, s8, v30, vcc_lo
	v_add_co_u32 v30, vcc_lo, s7, v31
	s_waitcnt vmcnt(0)
	v_max3_f32 v38, v45, v37, v33
	v_add_co_ci_u32_e32 v31, vcc_lo, s8, v32, vcc_lo
	s_clause 0x1
	global_load_b32 v28, v[28:29], off
	global_load_b32 v29, v[30:31], off
	ds_bpermute_b32 v45, v3, v38
	v_add_co_u32 v4, vcc_lo, s7, v4
	v_add_co_ci_u32_e32 v5, vcc_lo, s8, v5, vcc_lo
	v_add_co_u32 v6, vcc_lo, s7, v6
	v_add_co_ci_u32_e32 v7, vcc_lo, s8, v7, vcc_lo
	;; [unrolled: 2-line block ×3, first 2 shown]
	global_load_b32 v31, v[4:5], off
	v_add_co_u32 v4, vcc_lo, s7, v10
	v_add_co_ci_u32_e32 v5, vcc_lo, s8, v11, vcc_lo
	global_load_b32 v11, v[6:7], off
	v_add_co_u32 v6, vcc_lo, s7, v12
	s_waitcnt lgkmcnt(0)
	v_max_f32_e32 v30, v45, v45
	v_add_co_ci_u32_e32 v7, vcc_lo, s8, v13, vcc_lo
	global_load_b32 v12, v[8:9], off
	v_add_co_u32 v8, vcc_lo, s7, v14
	v_max_f32_e32 v30, v38, v30
	s_clause 0x1
	global_load_b32 v13, v[4:5], off
	global_load_b32 v14, v[6:7], off
	v_add_co_ci_u32_e32 v9, vcc_lo, s8, v15, vcc_lo
	ds_bpermute_b32 v10, v1, v30
	v_add_co_u32 v15, vcc_lo, s7, v16
	v_add_co_ci_u32_e32 v16, vcc_lo, s8, v17, vcc_lo
	v_add_co_u32 v6, vcc_lo, s7, v18
	v_add_co_ci_u32_e32 v7, vcc_lo, s8, v19, vcc_lo
	global_load_b32 v4, v[8:9], off
	v_add_co_u32 v8, vcc_lo, s7, v20
	v_add_co_ci_u32_e32 v9, vcc_lo, s8, v21, vcc_lo
	v_xor_b32_e32 v18, 2, v34
	s_waitcnt lgkmcnt(0)
	v_max_f32_e32 v5, v10, v10
	s_delay_alu instid0(VALU_DEP_1)
	v_max_f32_e32 v17, v30, v5
	s_clause 0x2
	global_load_b32 v5, v[15:16], off
	global_load_b32 v6, v[6:7], off
	;; [unrolled: 1-line block ×3, first 2 shown]
	v_add_co_u32 v8, vcc_lo, s7, v22
	v_add_co_ci_u32_e32 v9, vcc_lo, s8, v23, vcc_lo
	ds_bpermute_b32 v10, v2, v17
	global_load_b32 v16, v[8:9], off
	v_add_co_u32 v8, vcc_lo, s7, v24
	v_add_co_ci_u32_e32 v9, vcc_lo, s8, v25, vcc_lo
	v_cmp_gt_i32_e32 vcc_lo, 32, v18
	global_load_b32 v15, v[8:9], off
	v_cndmask_b32_e32 v8, v34, v18, vcc_lo
	v_add_co_u32 v9, vcc_lo, s7, v26
	s_mov_b32 s7, exec_lo
	s_delay_alu instid0(VALU_DEP_2) | instskip(SKIP_3) | instid1(VALU_DEP_2)
	v_lshlrev_b32_e32 v8, 2, v8
	s_waitcnt lgkmcnt(0)
	v_max_f32_e32 v18, v10, v10
	v_add_co_ci_u32_e32 v10, vcc_lo, s8, v27, vcc_lo
	v_max_f32_e32 v17, v17, v18
	global_load_b32 v9, v[9:10], off
	v_xor_b32_e32 v18, 1, v34
	ds_bpermute_b32 v10, v8, v17
	v_cmp_gt_i32_e32 vcc_lo, 32, v18
	v_cndmask_b32_e32 v18, v34, v18, vcc_lo
	s_waitcnt lgkmcnt(0)
	v_max_f32_e32 v19, v10, v10
	s_delay_alu instid0(VALU_DEP_1) | instskip(SKIP_3) | instid1(VALU_DEP_1)
	v_dual_max_f32 v17, v17, v19 :: v_dual_lshlrev_b32 v10, 2, v18
	ds_bpermute_b32 v18, v10, v17
	s_waitcnt lgkmcnt(0)
	v_max_f32_e32 v18, v18, v18
	v_max_f32_e32 v17, v17, v18
	v_sub_nc_u32_e32 v18, s40, v0
	s_delay_alu instid0(VALU_DEP_2) | instskip(NEXT) | instid1(VALU_DEP_1)
	v_sub_f32_e32 v22, v50, v17
	v_mul_f32_e32 v38, 0x3fb8aa3b, v22
	s_delay_alu instid0(VALU_DEP_1) | instskip(SKIP_1) | instid1(VALU_DEP_2)
	v_rndne_f32_e32 v56, v38
	v_fma_f32 v55, 0x3fb8aa3b, v22, -v38
	v_sub_f32_e32 v38, v38, v56
	v_sub_f32_e32 v26, v42, v17
	;; [unrolled: 1-line block ×6, first 2 shown]
	v_mul_f32_e32 v42, 0x3fb8aa3b, v26
	v_mul_f32_e32 v46, 0x3fb8aa3b, v34
	v_sub_f32_e32 v30, v44, v17
	v_sub_f32_e32 v23, v39, v17
	;; [unrolled: 1-line block ×3, first 2 shown]
	v_rndne_f32_e32 v64, v42
	v_sub_f32_e32 v35, v37, v17
	v_fma_f32 v71, 0x3fb8aa3b, v34, -v46
	v_rndne_f32_e32 v72, v46
	v_dual_mul_f32 v37, 0x3fb8aa3b, v21 :: v_dual_mul_f32 v44, 0x3fb8aa3b, v30
	v_sub_f32_e32 v19, v47, v17
	s_delay_alu instid0(VALU_DEP_3) | instskip(NEXT) | instid1(VALU_DEP_3)
	v_dual_fmac_f32 v71, 0x32a5705f, v34 :: v_dual_sub_f32 v46, v46, v72
	v_rndne_f32_e32 v54, v37
	v_fma_f32 v53, 0x3fb8aa3b, v21, -v37
	v_mul_f32_e32 v40, 0x3fb8aa3b, v24
	v_rndne_f32_e32 v68, v44
	s_delay_alu instid0(VALU_DEP_4) | instskip(SKIP_1) | instid1(VALU_DEP_4)
	v_dual_add_f32 v46, v46, v71 :: v_dual_sub_f32 v37, v37, v54
	v_sub_f32_e32 v20, v48, v17
	v_fma_f32 v59, 0x3fb8aa3b, v24, -v40
	v_rndne_f32_e32 v60, v40
	s_delay_alu instid0(VALU_DEP_4)
	v_exp_f32_e32 v46, v46
	v_sub_f32_e32 v27, v43, v17
	v_sub_f32_e32 v17, v33, v17
	v_fma_f32 v67, 0x3fb8aa3b, v30, -v44
	v_dual_sub_f32 v44, v44, v68 :: v_dual_mul_f32 v33, 0x3fb8aa3b, v19
	v_cvt_i32_f32_e32 v72, v72
	s_delay_alu instid0(VALU_DEP_4)
	v_mul_f32_e32 v48, 0x3fb8aa3b, v17
	v_sub_f32_e32 v40, v40, v60
	v_mul_f32_e32 v36, 0x3fb8aa3b, v20
	v_rndne_f32_e32 v50, v33
	v_ldexp_f32 v46, v46, v72
	v_fmac_f32_e32 v59, 0x32a5705f, v24
	v_fma_f32 v49, 0x3fb8aa3b, v19, -v33
	v_fma_f32 v63, 0x3fb8aa3b, v26, -v42
	v_sub_f32_e32 v33, v33, v50
	v_cvt_i32_f32_e32 v60, v60
	v_add_f32_e32 v40, v40, v59
	v_fma_f32 v51, 0x3fb8aa3b, v20, -v36
	v_rndne_f32_e32 v52, v36
	v_dual_fmac_f32 v63, 0x32a5705f, v26 :: v_dual_sub_f32 v42, v42, v64
	s_delay_alu instid0(VALU_DEP_4) | instskip(SKIP_4) | instid1(VALU_DEP_4)
	v_exp_f32_e32 v40, v40
	v_fmac_f32_e32 v67, 0x32a5705f, v30
	v_fmac_f32_e32 v51, 0x32a5705f, v20
	v_sub_f32_e32 v36, v36, v52
	v_dual_add_f32 v42, v42, v63 :: v_dual_fmac_f32 v53, 0x32a5705f, v21
	v_dual_add_f32 v44, v44, v67 :: v_dual_mul_f32 v41, 0x3fb8aa3b, v25
	s_delay_alu instid0(VALU_DEP_3) | instskip(SKIP_1) | instid1(TRANS32_DEP_1)
	v_add_f32_e32 v36, v36, v51
	v_fma_f32 v75, 0x3fb8aa3b, v17, -v48
	v_ldexp_f32 v40, v40, v60
	v_fmac_f32_e32 v49, 0x32a5705f, v19
	v_rndne_f32_e32 v76, v48
	v_mul_f32_e32 v39, 0x3fb8aa3b, v23
	v_exp_f32_e32 v42, v42
	v_exp_f32_e32 v44, v44
	v_add_f32_e32 v33, v33, v49
	v_cvt_i32_f32_e32 v50, v50
	v_cvt_i32_f32_e32 v64, v64
	;; [unrolled: 1-line block ×3, first 2 shown]
	v_fmac_f32_e32 v75, 0x32a5705f, v17
	v_exp_f32_e32 v33, v33
	v_sub_f32_e32 v48, v48, v76
	v_fma_f32 v57, 0x3fb8aa3b, v23, -v39
	v_rndne_f32_e32 v58, v39
	v_fmac_f32_e32 v55, 0x32a5705f, v22
	v_add_f32_e32 v37, v37, v53
	v_exp_f32_e32 v36, v36
	v_cvt_i32_f32_e32 v52, v52
	v_dual_add_f32 v48, v48, v75 :: v_dual_mul_f32 v45, 0x3fb8aa3b, v32
	v_add_f32_e32 v38, v38, v55
	v_exp_f32_e32 v37, v37
	v_ldexp_f32 v33, v33, v50
	v_ldexp_f32 v42, v42, v64
	v_fmac_f32_e32 v57, 0x32a5705f, v23
	v_ldexp_f32 v44, v44, v68
	v_sub_f32_e32 v39, v39, v58
	v_cmp_ngt_f32_e32 vcc_lo, 0xc2ce8ed0, v19
	v_cvt_i32_f32_e32 v54, v54
	v_exp_f32_e32 v38, v38
	v_ldexp_f32 v36, v36, v52
	v_add_f32_e32 v39, v39, v57
	v_cndmask_b32_e32 v33, 0, v33, vcc_lo
	v_cmp_ngt_f32_e32 vcc_lo, 0xc2ce8ed0, v20
	v_mul_f32_e32 v43, 0x3fb8aa3b, v27
	v_cvt_i32_f32_e32 v56, v56
	v_exp_f32_e32 v39, v39
	v_ldexp_f32 v37, v37, v54
	v_cndmask_b32_e32 v36, 0, v36, vcc_lo
	v_cmp_ngt_f32_e32 vcc_lo, 0xc2ce8ed0, v21
	v_fma_f32 v61, 0x3fb8aa3b, v25, -v41
	v_rndne_f32_e32 v62, v41
	v_cvt_i32_f32_e32 v58, v58
	v_ldexp_f32 v38, v38, v56
	v_cndmask_b32_e32 v37, 0, v37, vcc_lo
	v_cmp_ngt_f32_e32 vcc_lo, 0xc2ce8ed0, v22
	v_mul_f32_e32 v47, 0x3fb8aa3b, v35
	v_fmac_f32_e32 v61, 0x32a5705f, v25
	v_sub_f32_e32 v41, v41, v62
	v_ldexp_f32 v39, v39, v58
	v_cndmask_b32_e32 v38, 0, v38, vcc_lo
	v_cmp_ngt_f32_e32 vcc_lo, 0xc2ce8ed0, v23
	v_fma_f32 v65, 0x3fb8aa3b, v27, -v43
	v_rndne_f32_e32 v66, v43
	v_add_f32_e32 v41, v41, v61
	v_cvt_i32_f32_e32 v62, v62
	v_cndmask_b32_e32 v39, 0, v39, vcc_lo
	v_cmp_ngt_f32_e32 vcc_lo, 0xc2ce8ed0, v24
	v_fmac_f32_e32 v65, 0x32a5705f, v27
	v_exp_f32_e32 v41, v41
	v_fma_f32 v69, 0x3fb8aa3b, v32, -v45
	v_rndne_f32_e32 v70, v45
	v_dual_cndmask_b32 v40, 0, v40 :: v_dual_sub_f32 v43, v43, v66
	v_cmp_ngt_f32_e32 vcc_lo, 0xc2ce8ed0, v25
	v_cvt_i32_f32_e32 v66, v66
	v_fmac_f32_e32 v69, 0x32a5705f, v32
	v_rndne_f32_e32 v74, v47
	v_add_f32_e32 v43, v43, v65
	s_delay_alu instid0(TRANS32_DEP_1) | instskip(SKIP_2) | instid1(VALU_DEP_3)
	v_ldexp_f32 v41, v41, v62
	v_fma_f32 v73, 0x3fb8aa3b, v35, -v47
	v_exp_f32_e32 v48, v48
	v_exp_f32_e32 v43, v43
	s_delay_alu instid0(VALU_DEP_2)
	v_cndmask_b32_e32 v41, 0, v41, vcc_lo
	v_cmp_ngt_f32_e32 vcc_lo, 0xc2ce8ed0, v26
	v_cndmask_b32_e32 v42, 0, v42, vcc_lo
	v_cmp_ngt_f32_e32 vcc_lo, 0xc2ce8ed0, v27
	s_waitcnt_depctr 0xfff
	v_ldexp_f32 v43, v43, v66
	s_delay_alu instid0(VALU_DEP_1) | instskip(SKIP_4) | instid1(VALU_DEP_3)
	v_cndmask_b32_e32 v43, 0, v43, vcc_lo
	v_cmp_ngt_f32_e32 vcc_lo, 0xc2ce8ed0, v30
	v_dual_cndmask_b32 v44, 0, v44 :: v_dual_sub_f32 v45, v45, v70
	v_cvt_i32_f32_e32 v70, v70
	v_cmp_ngt_f32_e32 vcc_lo, 0xc2ce8ed0, v32
	v_add_f32_e32 v45, v45, v69
	s_delay_alu instid0(VALU_DEP_1) | instskip(SKIP_2) | instid1(VALU_DEP_1)
	v_exp_f32_e32 v45, v45
	s_waitcnt_depctr 0xfff
	v_ldexp_f32 v45, v45, v70
	v_cndmask_b32_e32 v45, 0, v45, vcc_lo
	v_cmp_ngt_f32_e32 vcc_lo, 0xc2ce8ed0, v34
	v_cndmask_b32_e32 v46, 0, v46, vcc_lo
	v_cmp_nlt_f32_e32 vcc_lo, 0x42b17218, v19
	v_cndmask_b32_e32 v19, 0x7f800000, v33, vcc_lo
	v_cmp_nlt_f32_e32 vcc_lo, 0x42b17218, v20
	;; [unrolled: 2-line block ×6, first 2 shown]
	v_cndmask_b32_e32 v24, 0x7f800000, v40, vcc_lo
	v_cmp_lt_i32_e32 vcc_lo, 0, v18
	v_cndmask_b32_e32 v19, 0, v19, vcc_lo
	v_cmp_lt_i32_e32 vcc_lo, 32, v18
	s_waitcnt vmcnt(13)
	s_delay_alu instid0(VALU_DEP_2) | instskip(SKIP_2) | instid1(VALU_DEP_2)
	v_dual_mul_f32 v19, v28, v19 :: v_dual_cndmask_b32 v20, 0, v20
	v_cmp_nlt_f32_e32 vcc_lo, 0x42b17218, v25
	s_waitcnt vmcnt(12)
	v_dual_mul_f32 v20, v29, v20 :: v_dual_cndmask_b32 v25, 0x7f800000, v41
	v_cmp_lt_i32_e32 vcc_lo, 64, v18
	s_delay_alu instid0(VALU_DEP_2) | instskip(SKIP_2) | instid1(VALU_DEP_2)
	v_dual_add_f32 v28, v19, v20 :: v_dual_cndmask_b32 v21, 0, v21
	v_cmp_nlt_f32_e32 vcc_lo, 0x42b17218, v26
	s_waitcnt vmcnt(11)
	v_dual_mul_f32 v21, v31, v21 :: v_dual_cndmask_b32 v26, 0x7f800000, v42
	v_cmp_lt_i32_e32 vcc_lo, 0x60, v18
	v_cndmask_b32_e32 v22, 0, v22, vcc_lo
	v_cmp_nlt_f32_e32 vcc_lo, 0x42b17218, v27
	s_waitcnt vmcnt(10)
	s_delay_alu instid0(VALU_DEP_2) | instskip(SKIP_4) | instid1(VALU_DEP_2)
	v_mul_f32_e32 v11, v11, v22
	v_cndmask_b32_e32 v27, 0x7f800000, v43, vcc_lo
	v_cmp_lt_i32_e32 vcc_lo, 0x80, v18
	v_dual_add_f32 v22, v28, v21 :: v_dual_cndmask_b32 v23, 0, v23
	v_cmp_nlt_f32_e32 vcc_lo, 0x42b17218, v30
	v_dual_sub_f32 v47, v47, v74 :: v_dual_add_f32 v22, v22, v11
	v_cvt_i32_f32_e32 v74, v74
	s_waitcnt vmcnt(9)
	v_mul_f32_e32 v12, v12, v23
	v_cndmask_b32_e32 v28, 0x7f800000, v44, vcc_lo
	v_cmp_lt_i32_e32 vcc_lo, 0xa0, v18
	s_delay_alu instid0(VALU_DEP_3) | instskip(SKIP_3) | instid1(VALU_DEP_2)
	v_dual_fmac_f32 v73, 0x32a5705f, v35 :: v_dual_add_f32 v22, v22, v12
	v_cndmask_b32_e32 v24, 0, v24, vcc_lo
	v_cmp_nlt_f32_e32 vcc_lo, 0x42b17218, v32
	s_waitcnt vmcnt(8)
	v_mul_f32_e32 v13, v13, v24
	v_cndmask_b32_e32 v23, 0x7f800000, v45, vcc_lo
	v_cmp_lt_i32_e32 vcc_lo, 0xc0, v18
	s_delay_alu instid0(VALU_DEP_3) | instskip(SKIP_3) | instid1(VALU_DEP_2)
	v_add_f32_e32 v22, v22, v13
	v_cndmask_b32_e32 v25, 0, v25, vcc_lo
	v_cmp_lt_i32_e32 vcc_lo, 0xe0, v18
	s_waitcnt vmcnt(7)
	v_mul_f32_e32 v14, v14, v25
	v_cndmask_b32_e32 v24, 0, v26, vcc_lo
	v_cmp_lt_i32_e32 vcc_lo, 0x100, v18
	s_delay_alu instid0(VALU_DEP_3) | instskip(SKIP_1) | instid1(VALU_DEP_3)
	v_add_f32_e32 v22, v22, v14
	s_waitcnt vmcnt(6)
	v_mul_f32_e32 v4, v4, v24
	v_cndmask_b32_e32 v26, 0, v27, vcc_lo
	v_cmp_lt_i32_e32 vcc_lo, 0x120, v18
	s_waitcnt vmcnt(5)
	s_delay_alu instid0(VALU_DEP_2) | instskip(SKIP_2) | instid1(VALU_DEP_3)
	v_dual_add_f32 v22, v22, v4 :: v_dual_mul_f32 v5, v5, v26
	v_cndmask_b32_e32 v25, 0, v28, vcc_lo
	v_cmp_lt_i32_e32 vcc_lo, 0x140, v18
	v_add_f32_e32 v22, v22, v5
	s_waitcnt vmcnt(4)
	s_delay_alu instid0(VALU_DEP_3)
	v_dual_mul_f32 v6, v6, v25 :: v_dual_cndmask_b32 v23, 0, v23
	v_cmp_nlt_f32_e32 vcc_lo, 0x42b17218, v34
	v_add_f32_e32 v47, v47, v73
	v_cvt_i32_f32_e32 v25, v76
	s_waitcnt vmcnt(3)
	v_dual_add_f32 v22, v22, v6 :: v_dual_mul_f32 v7, v7, v23
	v_cndmask_b32_e32 v24, 0x7f800000, v46, vcc_lo
	v_exp_f32_e32 v47, v47
	v_cmp_ngt_f32_e32 vcc_lo, 0xc2ce8ed0, v35
	s_delay_alu instid0(VALU_DEP_3) | instskip(SKIP_2) | instid1(VALU_DEP_1)
	v_add_f32_e32 v22, v22, v7
	s_waitcnt_depctr 0xfff
	v_ldexp_f32 v47, v47, v74
	v_cndmask_b32_e32 v23, 0, v47, vcc_lo
	v_cmp_lt_i32_e32 vcc_lo, 0x160, v18
	v_cndmask_b32_e32 v24, 0, v24, vcc_lo
	v_cmp_nlt_f32_e32 vcc_lo, 0x42b17218, v35
	s_waitcnt vmcnt(2)
	s_delay_alu instid0(VALU_DEP_2) | instskip(SKIP_2) | instid1(VALU_DEP_3)
	v_dual_mul_f32 v16, v16, v24 :: v_dual_cndmask_b32 v23, 0x7f800000, v23
	v_cmp_lt_i32_e32 vcc_lo, 0x180, v18
	v_ldexp_f32 v24, v48, v25
	v_dual_add_f32 v22, v22, v16 :: v_dual_cndmask_b32 v23, 0, v23
	v_cmp_ngt_f32_e32 vcc_lo, 0xc2ce8ed0, v17
	s_waitcnt vmcnt(1)
	s_delay_alu instid0(VALU_DEP_2) | instskip(SKIP_1) | instid1(VALU_DEP_2)
	v_dual_mul_f32 v15, v15, v23 :: v_dual_cndmask_b32 v24, 0, v24
	v_cmp_nlt_f32_e32 vcc_lo, 0x42b17218, v17
	v_cndmask_b32_e32 v17, 0x7f800000, v24, vcc_lo
	v_cmp_lt_i32_e32 vcc_lo, 0x1a0, v18
	s_delay_alu instid0(VALU_DEP_2) | instskip(SKIP_1) | instid1(VALU_DEP_1)
	v_dual_add_f32 v18, v22, v15 :: v_dual_cndmask_b32 v17, 0, v17
	s_waitcnt vmcnt(0)
	v_fmac_f32_e32 v18, v9, v17
	ds_bpermute_b32 v3, v3, v18
	s_waitcnt lgkmcnt(0)
	v_add_f32_e32 v3, v18, v3
	ds_bpermute_b32 v1, v1, v3
	s_waitcnt lgkmcnt(0)
	v_add_f32_e32 v1, v3, v1
	v_lshlrev_b32_e32 v3, 2, v0
	ds_bpermute_b32 v2, v2, v1
	ds_store_2addr_b32 v3, v19, v20 offset1:32
	s_waitcnt lgkmcnt(1)
	v_add_f32_e32 v1, v1, v2
	ds_bpermute_b32 v2, v8, v1
	v_dual_mul_f32 v8, v9, v17 :: v_dual_add_nc_u32 v9, 0x400, v3
	ds_store_2addr_b32 v3, v21, v11 offset0:64 offset1:96
	ds_store_2addr_b32 v3, v12, v13 offset0:128 offset1:160
	;; [unrolled: 1-line block ×3, first 2 shown]
	ds_store_2addr_b32 v9, v5, v6 offset1:32
	ds_store_2addr_b32 v9, v7, v16 offset0:64 offset1:96
	ds_store_2addr_b32 v9, v15, v8 offset0:128 offset1:160
	s_waitcnt lgkmcnt(6)
	v_add_f32_e32 v1, v1, v2
	ds_bpermute_b32 v2, v10, v1
	v_cmpx_eq_u32_e32 0, v0
	s_cbranch_execz .LBB667_8
; %bb.7:
	s_waitcnt lgkmcnt(0)
	v_dual_add_f32 v1, v1, v2 :: v_dual_mov_b32 v2, 0
	ds_store_b32 v2, v1 offset:1792
.LBB667_8:
	s_or_b32 exec_lo, exec_lo, s7
	v_mov_b32_e32 v1, s6
.LBB667_9:
	s_or_b32 exec_lo, exec_lo, s24
	s_lshl_b32 s6, s18, 7
	s_mov_b32 s7, 0
	s_waitcnt lgkmcnt(0)
	v_dual_mov_b32 v2, 0 :: v_dual_lshlrev_b32 v1, 7, v1
	s_lshl_b64 s[6:7], s[6:7], 1
	v_lshlrev_b32_e32 v0, 1, v0
	s_add_u32 s34, s4, s6
	s_addc_u32 s35, s5, s7
	s_lshl_b32 s41, s40, 7
	v_lshlrev_b64 v[3:4], 1, v[1:2]
	s_add_i32 s42, s41, 0xffffff80
	s_cmpk_lt_i32 s22, 0x100
	v_dual_mov_b32 v30, 0 :: v_dual_mov_b32 v33, 0
	s_cselect_b32 s4, s42, 0
	s_delay_alu instid0(VALU_DEP_2)
	v_add_co_u32 v1, vcc_lo, s34, v3
	s_ashr_i32 s5, s4, 31
	v_add_co_ci_u32_e32 v3, vcc_lo, s35, v4, vcc_lo
	s_lshl_b64 s[4:5], s[4:5], 1
	s_cmpk_lt_i32 s22, 0x200
	v_add_co_u32 v1, vcc_lo, v1, v0
	s_cselect_b32 s6, s42, 0x80
	v_add_co_ci_u32_e32 v3, vcc_lo, 0, v3, vcc_lo
	s_ashr_i32 s7, s6, 31
	s_delay_alu instid0(VALU_DEP_2)
	v_add_co_u32 v4, vcc_lo, v1, s4
	s_lshl_b64 s[6:7], s[6:7], 1
	s_cmpk_lt_i32 s22, 0x300
	v_add_co_ci_u32_e32 v5, vcc_lo, s5, v3, vcc_lo
	s_cselect_b32 s8, s42, 0x100
	v_add_co_u32 v6, vcc_lo, v1, s6
	s_ashr_i32 s9, s8, 31
	v_add_co_ci_u32_e32 v7, vcc_lo, s7, v3, vcc_lo
	s_lshl_b64 s[8:9], s[8:9], 1
	s_cmpk_lt_i32 s22, 0x400
	v_add_co_u32 v8, vcc_lo, v1, s8
	s_cselect_b32 s10, s42, 0x180
	v_add_co_ci_u32_e32 v9, vcc_lo, s9, v3, vcc_lo
	s_ashr_i32 s11, s10, 31
	v_dual_mov_b32 v32, 0 :: v_dual_mov_b32 v35, 0
	s_lshl_b64 s[10:11], s[10:11], 1
	s_cmpk_lt_i32 s22, 0x500
	v_add_co_u32 v11, vcc_lo, v1, s10
	s_cselect_b32 s18, s42, 0x200
	v_add_co_ci_u32_e32 v12, vcc_lo, s11, v3, vcc_lo
	s_ashr_i32 s19, s18, 31
	v_mov_b32_e32 v34, 0
	s_lshl_b64 s[18:19], s[18:19], 1
	s_cmpk_lt_i32 s22, 0x600
	v_add_co_u32 v14, vcc_lo, v1, s18
	s_cselect_b32 s20, s42, 0x280
	v_add_co_ci_u32_e32 v15, vcc_lo, s19, v3, vcc_lo
	s_ashr_i32 s21, s20, 31
	v_mov_b32_e32 v31, 0
	s_lshl_b64 s[20:21], s[20:21], 1
	s_cmpk_lt_i32 s22, 0x700
	v_add_co_u32 v16, vcc_lo, v1, s20
	s_cselect_b32 s24, s42, 0x300
	v_add_co_ci_u32_e32 v17, vcc_lo, s21, v3, vcc_lo
	s_ashr_i32 s25, s24, 31
	s_delay_alu instid0(SALU_CYCLE_1)
	s_lshl_b64 s[24:25], s[24:25], 1
	s_cmpk_lt_i32 s22, 0x800
	v_add_co_u32 v18, vcc_lo, v1, s24
	s_cselect_b32 s26, s42, 0x380
	v_add_co_ci_u32_e32 v19, vcc_lo, s25, v3, vcc_lo
	s_ashr_i32 s27, s26, 31
	s_delay_alu instid0(SALU_CYCLE_1)
	s_lshl_b64 s[26:27], s[26:27], 1
	s_cmpk_lt_i32 s22, 0x900
	v_add_co_u32 v20, vcc_lo, v1, s26
	s_cselect_b32 s28, s42, 0x400
	v_add_co_ci_u32_e32 v21, vcc_lo, s27, v3, vcc_lo
	s_ashr_i32 s29, s28, 31
	s_clause 0x7
	global_load_u16 v13, v[4:5], off
	global_load_u16 v4, v[6:7], off
	;; [unrolled: 1-line block ×8, first 2 shown]
	s_lshl_b64 s[28:29], s[28:29], 1
	s_cmpk_lt_i32 s22, 0xa00
	v_add_co_u32 v11, vcc_lo, v1, s28
	s_cselect_b32 s30, s42, 0x480
	v_add_co_ci_u32_e32 v12, vcc_lo, s29, v3, vcc_lo
	s_ashr_i32 s31, s30, 31
	s_delay_alu instid0(SALU_CYCLE_1)
	s_lshl_b64 s[30:31], s[30:31], 1
	s_cmpk_lt_i32 s22, 0xb00
	v_add_co_u32 v14, vcc_lo, v1, s30
	s_cselect_b32 s34, s42, 0x500
	v_add_co_ci_u32_e32 v15, vcc_lo, s31, v3, vcc_lo
	s_ashr_i32 s35, s34, 31
	s_delay_alu instid0(SALU_CYCLE_1)
	;; [unrolled: 7-line block ×7, first 2 shown]
	s_lshl_b64 s[4:5], s[6:7], 1
	s_cmpk_gt_i32 s23, 0x1000
	v_add_co_u32 v28, vcc_lo, v1, s4
	v_add_co_ci_u32_e32 v29, vcc_lo, s5, v3, vcc_lo
	s_clause 0x7
	global_load_u16 v19, v[11:12], off
	global_load_u16 v18, v[14:15], off
	global_load_u16 v17, v[16:17], off
	global_load_u16 v16, v[20:21], off
	global_load_u16 v15, v[22:23], off
	global_load_u16 v14, v[24:25], off
	global_load_u16 v12, v[26:27], off
	global_load_u16 v11, v[28:29], off
	v_dual_mov_b32 v20, 0 :: v_dual_mov_b32 v23, 0
	v_dual_mov_b32 v21, 0 :: v_dual_mov_b32 v22, 0
	;; [unrolled: 1-line block ×5, first 2 shown]
	s_cselect_b32 s6, -1, 0
	s_cmpk_lt_i32 s23, 0x1001
	s_waitcnt vmcnt(0)
	s_barrier
	buffer_gl0_inv
	s_cbranch_scc1 .LBB667_11
; %bb.10:
	s_cmpk_lt_i32 s22, 0x1100
	s_cselect_b32 s4, s42, 0x800
	s_delay_alu instid0(SALU_CYCLE_1) | instskip(NEXT) | instid1(SALU_CYCLE_1)
	s_ashr_i32 s5, s4, 31
	s_lshl_b64 s[4:5], s[4:5], 1
	s_cmpk_lt_i32 s22, 0x1200
	v_add_co_u32 v20, vcc_lo, v1, s4
	s_cselect_b32 s8, s42, 0x880
	v_add_co_ci_u32_e32 v21, vcc_lo, s5, v3, vcc_lo
	s_ashr_i32 s9, s8, 31
	s_delay_alu instid0(SALU_CYCLE_1)
	s_lshl_b64 s[8:9], s[8:9], 1
	s_cmpk_lt_i32 s22, 0x1300
	v_add_co_u32 v22, vcc_lo, v1, s8
	s_cselect_b32 s10, s42, 0x900
	v_add_co_ci_u32_e32 v23, vcc_lo, s9, v3, vcc_lo
	s_ashr_i32 s11, s10, 31
	s_delay_alu instid0(SALU_CYCLE_1)
	;; [unrolled: 7-line block ×14, first 2 shown]
	s_lshl_b64 s[4:5], s[18:19], 1
	s_cmpk_lt_i32 s22, 0x2000
	v_add_co_u32 v48, vcc_lo, v1, s4
	s_cselect_b32 s8, s42, 0xf80
	v_add_co_ci_u32_e32 v49, vcc_lo, s5, v3, vcc_lo
	s_ashr_i32 s9, s8, 31
	s_delay_alu instid0(SALU_CYCLE_1) | instskip(NEXT) | instid1(SALU_CYCLE_1)
	s_lshl_b64 s[4:5], s[8:9], 1
	v_add_co_u32 v50, vcc_lo, v1, s4
	v_add_co_ci_u32_e32 v51, vcc_lo, s5, v3, vcc_lo
	s_clause 0xf
	global_load_u16 v20, v[20:21], off
	global_load_u16 v21, v[22:23], off
	;; [unrolled: 1-line block ×16, first 2 shown]
	s_waitcnt vmcnt(15)
	v_lshlrev_b32_e32 v35, 16, v20
	s_waitcnt vmcnt(14)
	v_lshlrev_b32_e32 v34, 16, v21
	;; [unrolled: 2-line block ×16, first 2 shown]
.LBB667_11:
	ds_load_b128 v[36:39], v2
	ds_load_b128 v[40:43], v2 offset:16
	v_lshlrev_b32_e32 v44, 16, v4
	v_lshlrev_b32_e32 v13, 16, v13
	;; [unrolled: 1-line block ×5, first 2 shown]
	s_load_b64 s[0:1], s[0:1], 0x0
	s_and_b32 vcc_lo, exec_lo, s6
	v_lshlrev_b32_e32 v5, 16, v5
	s_waitcnt lgkmcnt(0)
	v_fma_f32 v4, v36, v13, 0
	s_delay_alu instid0(VALU_DEP_1) | instskip(NEXT) | instid1(VALU_DEP_1)
	v_dual_fmac_f32 v4, v37, v44 :: v_dual_lshlrev_b32 v13, 16, v7
	v_dual_fmac_f32 v4, v38, v10 :: v_dual_lshlrev_b32 v9, 16, v9
	s_delay_alu instid0(VALU_DEP_1) | instskip(SKIP_4) | instid1(VALU_DEP_1)
	v_fmac_f32_e32 v4, v39, v9
	ds_load_b128 v[36:39], v2 offset:48
	v_fmac_f32_e32 v4, v40, v8
	ds_load_b128 v[7:10], v2 offset:32
	v_fmac_f32_e32 v4, v41, v13
	v_fmac_f32_e32 v4, v42, v6
	v_lshlrev_b32_e32 v6, 16, v19
	s_delay_alu instid0(VALU_DEP_2) | instskip(SKIP_1) | instid1(VALU_DEP_1)
	v_dual_fmac_f32 v4, v43, v5 :: v_dual_lshlrev_b32 v5, 16, v18
	s_waitcnt lgkmcnt(0)
	v_fmac_f32_e32 v4, v7, v6
	v_lshlrev_b32_e32 v6, 16, v17
	s_delay_alu instid0(VALU_DEP_2) | instskip(NEXT) | instid1(VALU_DEP_1)
	v_dual_fmac_f32 v4, v8, v5 :: v_dual_lshlrev_b32 v5, 16, v16
	v_fmac_f32_e32 v4, v9, v6
	v_lshlrev_b32_e32 v6, 16, v15
	s_delay_alu instid0(VALU_DEP_2) | instskip(NEXT) | instid1(VALU_DEP_1)
	v_dual_fmac_f32 v4, v10, v5 :: v_dual_lshlrev_b32 v5, 16, v14
	;; [unrolled: 4-line block ×3, first 2 shown]
	v_fmac_f32_e32 v4, v38, v6
	s_delay_alu instid0(VALU_DEP_1)
	v_fmac_f32_e32 v4, v39, v5
	s_cbranch_vccz .LBB667_13
; %bb.12:
	ds_load_b128 v[5:8], v2 offset:64
	ds_load_b128 v[9:12], v2 offset:80
	s_waitcnt lgkmcnt(1)
	v_fmac_f32_e32 v4, v5, v35
	s_delay_alu instid0(VALU_DEP_1) | instskip(NEXT) | instid1(VALU_DEP_1)
	v_fmac_f32_e32 v4, v6, v34
	v_fmac_f32_e32 v4, v7, v33
	s_delay_alu instid0(VALU_DEP_1) | instskip(SKIP_3) | instid1(VALU_DEP_1)
	v_fmac_f32_e32 v4, v8, v32
	ds_load_b128 v[5:8], v2 offset:96
	s_waitcnt lgkmcnt(1)
	v_fmac_f32_e32 v4, v9, v31
	v_fmac_f32_e32 v4, v10, v30
	s_delay_alu instid0(VALU_DEP_1) | instskip(NEXT) | instid1(VALU_DEP_1)
	v_fmac_f32_e32 v4, v11, v29
	v_fmac_f32_e32 v4, v12, v28
	ds_load_b128 v[9:12], v2 offset:112
	s_waitcnt lgkmcnt(1)
	v_fmac_f32_e32 v4, v5, v27
	s_delay_alu instid0(VALU_DEP_1) | instskip(NEXT) | instid1(VALU_DEP_1)
	v_fmac_f32_e32 v4, v6, v26
	v_fmac_f32_e32 v4, v7, v25
	s_delay_alu instid0(VALU_DEP_1) | instskip(SKIP_1) | instid1(VALU_DEP_1)
	v_fmac_f32_e32 v4, v8, v24
	s_waitcnt lgkmcnt(0)
	v_fmac_f32_e32 v4, v9, v23
	s_delay_alu instid0(VALU_DEP_1) | instskip(NEXT) | instid1(VALU_DEP_1)
	v_fmac_f32_e32 v4, v10, v22
	v_fmac_f32_e32 v4, v11, v21
	s_delay_alu instid0(VALU_DEP_1)
	v_fmac_f32_e32 v4, v12, v20
.LBB667_13:
	s_movk_i32 s43, 0x1f80
	s_movk_i32 s44, 0x80
	s_mov_b32 s45, 32
	s_branch .LBB667_15
.LBB667_14:                             ;   in Loop: Header=BB667_15 Depth=1
	s_addk_i32 s43, 0x1000
	s_addk_i32 s44, 0x80
	s_add_i32 s45, s45, 32
	s_cmpk_eq_u32 s43, 0xef80
	s_cbranch_scc1 .LBB667_17
.LBB667_15:                             ; =>This Inner Loop Header: Depth=1
	s_cmp_le_i32 s40, s45
	s_cbranch_scc1 .LBB667_14
; %bb.16:                               ;   in Loop: Header=BB667_15 Depth=1
	s_add_i32 s4, s43, 0xfffff080
	v_mov_b32_e32 v44, s44
	s_cmp_lt_i32 s4, s41
	s_cselect_b32 s4, s4, s42
	s_add_i32 s6, s43, 0xfffff100
	s_ashr_i32 s5, s4, 31
	s_delay_alu instid0(SALU_CYCLE_1)
	s_lshl_b64 s[38:39], s[4:5], 1
	s_cmp_lt_i32 s6, s41
	v_add_co_u32 v5, vcc_lo, v1, s38
	s_cselect_b32 s4, s6, s42
	s_add_i32 s6, s43, 0xfffff180
	s_ashr_i32 s5, s4, 31
	v_add_co_ci_u32_e32 v6, vcc_lo, s39, v3, vcc_lo
	s_lshl_b64 s[4:5], s[4:5], 1
	s_cmp_lt_i32 s6, s41
	s_cselect_b32 s6, s6, s42
	s_add_i32 s8, s43, 0xfffff200
	s_ashr_i32 s7, s6, 31
	global_load_u16 v2, v[5:6], off
	s_lshl_b64 s[6:7], s[6:7], 1
	s_cmp_lt_i32 s8, s41
	v_add_co_u32 v5, vcc_lo, v1, s4
	s_cselect_b32 s8, s8, s42
	s_add_i32 s10, s43, 0xfffff280
	s_ashr_i32 s9, s8, 31
	v_add_co_ci_u32_e32 v6, vcc_lo, s5, v3, vcc_lo
	s_lshl_b64 s[8:9], s[8:9], 1
	s_cmp_lt_i32 s10, s41
	v_add_co_u32 v7, vcc_lo, v1, s6
	s_cselect_b32 s10, s10, s42
	s_add_i32 s18, s43, 0xfffff300
	s_ashr_i32 s11, s10, 31
	v_add_co_ci_u32_e32 v8, vcc_lo, s7, v3, vcc_lo
	s_lshl_b64 s[10:11], s[10:11], 1
	s_cmp_lt_i32 s18, s41
	v_add_co_u32 v9, vcc_lo, v1, s8
	s_cselect_b32 s18, s18, s42
	s_add_i32 s20, s43, 0xfffff380
	s_ashr_i32 s19, s18, 31
	s_clause 0x1
	global_load_u16 v23, v[5:6], off
	global_load_u16 v24, v[7:8], off
	s_lshl_b64 s[18:19], s[18:19], 1
	s_cmp_lt_i32 s20, s41
	v_add_co_ci_u32_e32 v10, vcc_lo, s9, v3, vcc_lo
	s_cselect_b32 s20, s20, s42
	s_add_i32 s22, s43, 0xfffff400
	s_ashr_i32 s21, s20, 31
	global_load_u16 v25, v[9:10], off
	s_lshl_b64 s[20:21], s[20:21], 1
	s_cmp_lt_i32 s22, s41
	v_add_co_u32 v11, vcc_lo, v1, s10
	s_cselect_b32 s22, s22, s42
	s_add_i32 s24, s43, 0xfffff480
	s_ashr_i32 s23, s22, 31
	v_add_co_ci_u32_e32 v12, vcc_lo, s11, v3, vcc_lo
	s_lshl_b64 s[22:23], s[22:23], 1
	s_cmp_lt_i32 s24, s41
	v_add_co_u32 v13, vcc_lo, v1, s18
	global_load_u16 v26, v[11:12], off
	s_cselect_b32 s24, s24, s42
	s_add_i32 s26, s43, 0xfffff500
	s_ashr_i32 s25, s24, 31
	v_add_co_ci_u32_e32 v14, vcc_lo, s19, v3, vcc_lo
	s_lshl_b64 s[24:25], s[24:25], 1
	s_cmp_lt_i32 s26, s41
	v_add_co_u32 v15, vcc_lo, v1, s20
	global_load_u16 v27, v[13:14], off
	s_cselect_b32 s26, s26, s42
	s_add_i32 s28, s43, 0xfffff580
	s_ashr_i32 s27, s26, 31
	v_add_co_ci_u32_e32 v16, vcc_lo, s21, v3, vcc_lo
	s_lshl_b64 s[36:37], s[26:27], 1
	s_cmp_lt_i32 s28, s41
	v_add_co_u32 v17, vcc_lo, v1, s22
	s_cselect_b32 s26, s28, s42
	s_add_i32 s30, s43, 0xfffff600
	s_ashr_i32 s27, s26, 31
	v_add_co_ci_u32_e32 v18, vcc_lo, s23, v3, vcc_lo
	s_lshl_b64 s[28:29], s[26:27], 1
	s_cmp_lt_i32 s30, s41
	v_add_co_u32 v19, vcc_lo, v1, s24
	global_load_u16 v17, v[17:18], off
	s_cselect_b32 s26, s30, s42
	s_add_i32 s30, s43, 0xfffff680
	s_ashr_i32 s27, s26, 31
	v_add_co_ci_u32_e32 v20, vcc_lo, s25, v3, vcc_lo
	s_lshl_b64 s[26:27], s[26:27], 1
	s_cmp_lt_i32 s30, s41
	v_add_co_u32 v21, vcc_lo, v1, s36
	s_cselect_b32 s30, s30, s42
	s_add_i32 s46, s43, 0xfffff700
	s_ashr_i32 s31, s30, 31
	v_add_co_ci_u32_e32 v22, vcc_lo, s37, v3, vcc_lo
	s_lshl_b64 s[34:35], s[30:31], 1
	s_cmp_lt_i32 s46, s41
	v_add_co_u32 v5, vcc_lo, v1, s28
	;; [unrolled: 7-line block ×3, first 2 shown]
	s_cselect_b32 s46, s46, s42
	s_add_i32 s48, s43, 0xfffff800
	s_ashr_i32 s47, s46, 31
	global_load_u16 v28, v[15:16], off
	s_lshl_b64 s[38:39], s[46:47], 1
	s_cmp_lt_i32 s48, s41
	v_add_co_ci_u32_e32 v8, vcc_lo, s27, v3, vcc_lo
	s_cselect_b32 s46, s48, s42
	v_add_co_u32 v9, vcc_lo, v1, s34
	s_ashr_i32 s47, s46, 31
	s_add_i32 s4, s43, 0xfffff880
	s_lshl_b64 s[46:47], s[46:47], 1
	v_add_co_ci_u32_e32 v10, vcc_lo, s35, v3, vcc_lo
	s_cmp_lt_i32 s4, s41
	v_add_co_u32 v11, vcc_lo, v1, s30
	s_cselect_b32 s4, s4, s42
	v_add_co_ci_u32_e32 v12, vcc_lo, s31, v3, vcc_lo
	v_add_co_u32 v13, vcc_lo, v1, s38
	s_ashr_i32 s5, s4, 31
	s_add_i32 s6, s43, 0xfffff900
	v_add_co_ci_u32_e32 v14, vcc_lo, s39, v3, vcc_lo
	global_load_u16 v18, v[19:20], off
	s_lshl_b64 s[8:9], s[4:5], 1
	s_cmp_lt_i32 s6, s41
	global_load_u16 v30, v[13:14], off
	s_cselect_b32 s4, s6, s42
	global_load_u16 v19, v[21:22], off
	s_ashr_i32 s5, s4, 31
	s_add_i32 s6, s43, 0xfffff980
	s_lshl_b64 s[10:11], s[4:5], 1
	s_cmp_lt_i32 s6, s41
	s_clause 0x3
	global_load_u16 v20, v[5:6], off
	global_load_u16 v21, v[7:8], off
	;; [unrolled: 1-line block ×4, first 2 shown]
	s_cselect_b32 s4, s6, s42
	s_add_i32 s6, s43, 0xfffffa00
	s_ashr_i32 s5, s4, 31
	v_add_co_u32 v15, vcc_lo, v1, s46
	s_lshl_b64 s[4:5], s[4:5], 1
	s_cmp_lt_i32 s6, s41
	v_add_co_ci_u32_e32 v16, vcc_lo, s47, v3, vcc_lo
	s_cselect_b32 s6, s6, s42
	s_add_i32 s18, s43, 0xfffffa80
	s_ashr_i32 s7, s6, 31
	v_add_co_u32 v5, vcc_lo, v1, s8
	s_lshl_b64 s[6:7], s[6:7], 1
	s_cmp_lt_i32 s18, s41
	v_add_co_ci_u32_e32 v6, vcc_lo, s9, v3, vcc_lo
	s_cselect_b32 s18, s18, s42
	v_add_co_u32 v7, vcc_lo, v1, s10
	s_ashr_i32 s19, s18, 31
	s_add_i32 s20, s43, 0xfffffb00
	s_lshl_b64 s[18:19], s[18:19], 1
	v_add_co_ci_u32_e32 v8, vcc_lo, s11, v3, vcc_lo
	s_cmp_lt_i32 s20, s41
	v_add_co_u32 v9, vcc_lo, v1, s4
	s_cselect_b32 s20, s20, s42
	v_add_co_ci_u32_e32 v10, vcc_lo, s5, v3, vcc_lo
	v_add_co_u32 v11, vcc_lo, v1, s6
	s_ashr_i32 s21, s20, 31
	s_add_i32 s22, s43, 0xfffffb80
	v_add_co_ci_u32_e32 v12, vcc_lo, s7, v3, vcc_lo
	global_load_u16 v15, v[15:16], off
	s_lshl_b64 s[20:21], s[20:21], 1
	s_cmp_lt_i32 s22, s41
	global_load_u16 v33, v[11:12], off
	s_cselect_b32 s22, s22, s42
	s_clause 0x2
	global_load_u16 v16, v[5:6], off
	global_load_u16 v31, v[7:8], off
	;; [unrolled: 1-line block ×3, first 2 shown]
	s_ashr_i32 s23, s22, 31
	s_add_i32 s24, s43, 0xfffffc00
	s_lshl_b64 s[22:23], s[22:23], 1
	s_cmp_lt_i32 s24, s41
	v_add_co_u32 v13, vcc_lo, v1, s18
	s_cselect_b32 s24, s24, s42
	s_add_i32 s26, s43, 0xfffffc80
	s_ashr_i32 s25, s24, 31
	v_add_co_ci_u32_e32 v14, vcc_lo, s19, v3, vcc_lo
	s_lshl_b64 s[24:25], s[24:25], 1
	s_cmp_lt_i32 s26, s41
	v_add_co_u32 v5, vcc_lo, v1, s20
	s_cselect_b32 s8, s26, s42
	v_add_co_ci_u32_e32 v6, vcc_lo, s21, v3, vcc_lo
	s_ashr_i32 s9, s8, 31
	v_add_co_u32 v7, vcc_lo, v1, s22
	s_add_i32 s10, s43, 0xfffffd00
	s_lshl_b64 s[8:9], s[8:9], 1
	v_add_co_ci_u32_e32 v8, vcc_lo, s23, v3, vcc_lo
	s_cmp_lt_i32 s10, s41
	v_add_co_u32 v9, vcc_lo, v1, s24
	s_cselect_b32 s4, s10, s42
	global_load_u16 v13, v[13:14], off
	v_add_co_ci_u32_e32 v10, vcc_lo, s25, v3, vcc_lo
	s_ashr_i32 s5, s4, 31
	s_add_i32 s6, s43, 0xfffffd80
	s_lshl_b64 s[4:5], s[4:5], 1
	global_load_u16 v35, v[9:10], off
	s_cmp_lt_i32 s6, s41
	s_clause 0x1
	global_load_u16 v14, v[5:6], off
	global_load_u16 v34, v[7:8], off
	s_cselect_b32 s6, s6, s42
	s_add_i32 s10, s43, 0xfffffe00
	s_ashr_i32 s7, s6, 31
	v_add_co_u32 v5, vcc_lo, v1, s8
	s_lshl_b64 s[6:7], s[6:7], 1
	s_cmp_lt_i32 s10, s41
	v_add_co_ci_u32_e32 v6, vcc_lo, s9, v3, vcc_lo
	s_cselect_b32 s10, s10, s42
	v_add_co_u32 v7, vcc_lo, v1, s4
	s_ashr_i32 s11, s10, 31
	v_add_co_ci_u32_e32 v8, vcc_lo, s5, v3, vcc_lo
	s_add_i32 s18, s43, 0xfffffe80
	s_lshl_b64 s[10:11], s[10:11], 1
	s_cmp_lt_i32 s18, s41
	s_clause 0x1
	global_load_u16 v36, v[5:6], off
	global_load_u16 v37, v[7:8], off
	s_cselect_b32 s18, s18, s42
	v_add_co_u32 v5, vcc_lo, v1, s6
	s_ashr_i32 s19, s18, 31
	v_add_co_ci_u32_e32 v6, vcc_lo, s7, v3, vcc_lo
	s_add_i32 s20, s43, 0xffffff00
	v_add_co_u32 v7, vcc_lo, v1, s10
	s_lshl_b64 s[8:9], s[18:19], 1
	s_cmp_lt_i32 s20, s41
	v_add_co_ci_u32_e32 v8, vcc_lo, s11, v3, vcc_lo
	s_cselect_b32 s4, s20, s42
	global_load_u16 v38, v[5:6], off
	s_ashr_i32 s5, s4, 31
	global_load_u16 v39, v[7:8], off
	s_add_i32 s18, s43, 0xffffff80
	v_add_co_u32 v5, vcc_lo, v1, s8
	s_lshl_b64 s[4:5], s[4:5], 1
	s_cmp_lt_i32 s18, s41
	v_add_co_ci_u32_e32 v6, vcc_lo, s9, v3, vcc_lo
	v_add_co_u32 v7, vcc_lo, v1, s4
	s_cselect_b32 s6, s18, s42
	v_add_co_ci_u32_e32 v8, vcc_lo, s5, v3, vcc_lo
	s_ashr_i32 s7, s6, 31
	global_load_u16 v40, v[5:6], off
	s_lshl_b64 s[6:7], s[6:7], 1
	global_load_u16 v41, v[7:8], off
	s_cmp_lt_i32 s43, s41
	v_add_co_u32 v5, vcc_lo, v1, s6
	s_cselect_b32 s4, s43, s42
	v_add_co_ci_u32_e32 v6, vcc_lo, s7, v3, vcc_lo
	s_ashr_i32 s5, s4, 31
	s_delay_alu instid0(SALU_CYCLE_1)
	s_lshl_b64 s[4:5], s[4:5], 1
	global_load_u16 v42, v[5:6], off
	v_add_co_u32 v5, vcc_lo, v1, s4
	v_add_co_ci_u32_e32 v6, vcc_lo, s5, v3, vcc_lo
	global_load_u16 v43, v[5:6], off
	ds_load_b128 v[5:8], v44
	ds_load_b128 v[9:12], v44 offset:16
	s_waitcnt vmcnt(31)
	v_lshlrev_b32_e32 v2, 16, v2
	s_waitcnt lgkmcnt(1)
	s_delay_alu instid0(VALU_DEP_1) | instskip(SKIP_2) | instid1(VALU_DEP_1)
	v_fmac_f32_e32 v4, v5, v2
	s_waitcnt vmcnt(30)
	v_lshlrev_b32_e32 v2, 16, v23
	v_fmac_f32_e32 v4, v6, v2
	s_waitcnt vmcnt(29)
	v_lshlrev_b32_e32 v2, 16, v24
	s_delay_alu instid0(VALU_DEP_1) | instskip(SKIP_2) | instid1(VALU_DEP_1)
	v_fmac_f32_e32 v4, v7, v2
	s_waitcnt vmcnt(28)
	v_lshlrev_b32_e32 v2, 16, v25
	v_fmac_f32_e32 v4, v8, v2
	ds_load_b128 v[5:8], v44 offset:32
	s_waitcnt vmcnt(27)
	v_lshlrev_b32_e32 v2, 16, v26
	s_waitcnt lgkmcnt(1)
	s_delay_alu instid0(VALU_DEP_1) | instskip(SKIP_2) | instid1(VALU_DEP_1)
	v_fmac_f32_e32 v4, v9, v2
	s_waitcnt vmcnt(26)
	v_lshlrev_b32_e32 v2, 16, v27
	v_fmac_f32_e32 v4, v10, v2
	s_waitcnt vmcnt(24)
	v_lshlrev_b32_e32 v2, 16, v28
	s_delay_alu instid0(VALU_DEP_1) | instskip(SKIP_1) | instid1(VALU_DEP_1)
	v_fmac_f32_e32 v4, v11, v2
	v_lshlrev_b32_e32 v2, 16, v17
	v_fmac_f32_e32 v4, v12, v2
	ds_load_b128 v[9:12], v44 offset:48
	s_waitcnt vmcnt(23)
	v_lshlrev_b32_e32 v2, 16, v18
	s_waitcnt lgkmcnt(1)
	s_delay_alu instid0(VALU_DEP_1) | instskip(SKIP_2) | instid1(VALU_DEP_1)
	v_fmac_f32_e32 v4, v5, v2
	s_waitcnt vmcnt(21)
	v_lshlrev_b32_e32 v2, 16, v19
	v_fmac_f32_e32 v4, v6, v2
	s_waitcnt vmcnt(20)
	v_lshlrev_b32_e32 v2, 16, v20
	s_delay_alu instid0(VALU_DEP_1) | instskip(SKIP_2) | instid1(VALU_DEP_1)
	v_fmac_f32_e32 v4, v7, v2
	s_waitcnt vmcnt(19)
	v_lshlrev_b32_e32 v2, 16, v21
	v_fmac_f32_e32 v4, v8, v2
	s_waitcnt vmcnt(18)
	v_lshlrev_b32_e32 v2, 16, v22
	ds_load_b128 v[5:8], v44 offset:64
	s_waitcnt lgkmcnt(1)
	v_fmac_f32_e32 v4, v9, v2
	s_waitcnt vmcnt(17)
	v_lshlrev_b32_e32 v2, 16, v29
	s_delay_alu instid0(VALU_DEP_1) | instskip(SKIP_1) | instid1(VALU_DEP_1)
	v_fmac_f32_e32 v4, v10, v2
	v_lshlrev_b32_e32 v2, 16, v30
	v_fmac_f32_e32 v4, v11, v2
	s_waitcnt vmcnt(16)
	v_lshlrev_b32_e32 v2, 16, v15
	s_delay_alu instid0(VALU_DEP_1) | instskip(SKIP_4) | instid1(VALU_DEP_1)
	v_fmac_f32_e32 v4, v12, v2
	ds_load_b128 v[9:12], v44 offset:80
	s_waitcnt vmcnt(14)
	v_lshlrev_b32_e32 v2, 16, v16
	s_waitcnt lgkmcnt(1)
	v_fmac_f32_e32 v4, v5, v2
	s_waitcnt vmcnt(13)
	v_lshlrev_b32_e32 v2, 16, v31
	s_delay_alu instid0(VALU_DEP_1) | instskip(SKIP_2) | instid1(VALU_DEP_1)
	v_fmac_f32_e32 v4, v6, v2
	s_waitcnt vmcnt(12)
	v_lshlrev_b32_e32 v2, 16, v32
	v_fmac_f32_e32 v4, v7, v2
	v_lshlrev_b32_e32 v2, 16, v33
	s_delay_alu instid0(VALU_DEP_1) | instskip(SKIP_4) | instid1(VALU_DEP_1)
	v_fmac_f32_e32 v4, v8, v2
	ds_load_b128 v[5:8], v44 offset:96
	s_waitcnt vmcnt(11)
	v_lshlrev_b32_e32 v2, 16, v13
	s_waitcnt lgkmcnt(1)
	v_fmac_f32_e32 v4, v9, v2
	s_waitcnt vmcnt(9)
	v_lshlrev_b32_e32 v2, 16, v14
	s_delay_alu instid0(VALU_DEP_1) | instskip(SKIP_2) | instid1(VALU_DEP_1)
	v_fmac_f32_e32 v4, v10, v2
	s_waitcnt vmcnt(8)
	v_lshlrev_b32_e32 v2, 16, v34
	v_fmac_f32_e32 v4, v11, v2
	;; [unrolled: 15-line block ×3, first 2 shown]
	s_waitcnt vmcnt(4)
	v_lshlrev_b32_e32 v2, 16, v39
	s_delay_alu instid0(VALU_DEP_1) | instskip(SKIP_3) | instid1(VALU_DEP_1)
	v_fmac_f32_e32 v4, v8, v2
	s_waitcnt vmcnt(3)
	v_lshlrev_b32_e32 v2, 16, v40
	s_waitcnt lgkmcnt(0)
	v_fmac_f32_e32 v4, v9, v2
	s_waitcnt vmcnt(2)
	v_lshlrev_b32_e32 v2, 16, v41
	s_delay_alu instid0(VALU_DEP_1) | instskip(SKIP_2) | instid1(VALU_DEP_1)
	v_fmac_f32_e32 v4, v10, v2
	s_waitcnt vmcnt(1)
	v_lshlrev_b32_e32 v2, 16, v42
	v_fmac_f32_e32 v4, v11, v2
	s_waitcnt vmcnt(0)
	v_lshlrev_b32_e32 v2, 16, v43
	s_delay_alu instid0(VALU_DEP_1)
	v_fmac_f32_e32 v4, v12, v2
	s_branch .LBB667_14
.LBB667_17:
	v_mov_b32_e32 v1, 0
	s_and_b32 vcc_lo, exec_lo, s15
	ds_load_b32 v1, v1 offset:1792
	s_cbranch_vccz .LBB667_19
; %bb.18:
	s_add_u32 s2, s12, s16
	s_addc_u32 s3, s13, s17
	s_load_b32 s2, s[2:3], 0x0
	s_mov_b32 s3, 0
.LBB667_19:
	s_waitcnt lgkmcnt(0)
	v_add_f32_e32 v1, 0x358637bd, v1
	s_delay_alu instid0(VALU_DEP_1) | instskip(NEXT) | instid1(VALU_DEP_1)
	v_div_scale_f32 v2, null, v1, v1, 1.0
	v_rcp_f32_e32 v3, v2
	s_waitcnt_depctr 0xfff
	v_fma_f32 v5, -v2, v3, 1.0
	s_delay_alu instid0(VALU_DEP_1) | instskip(SKIP_1) | instid1(VALU_DEP_1)
	v_fmac_f32_e32 v3, v5, v3
	v_div_scale_f32 v5, vcc_lo, 1.0, v1, 1.0
	v_mul_f32_e32 v6, v5, v3
	s_delay_alu instid0(VALU_DEP_1) | instskip(NEXT) | instid1(VALU_DEP_1)
	v_fma_f32 v7, -v2, v6, v5
	v_fmac_f32_e32 v6, v7, v3
	s_delay_alu instid0(VALU_DEP_1) | instskip(NEXT) | instid1(VALU_DEP_1)
	v_fma_f32 v2, -v2, v6, v5
	v_div_fmas_f32 v2, v2, v3, v6
	s_delay_alu instid0(VALU_DEP_1) | instskip(NEXT) | instid1(VALU_DEP_1)
	v_div_fixup_f32 v1, v2, v1, 1.0
	v_mul_f32_e32 v2, v4, v1
	s_delay_alu instid0(VALU_DEP_1) | instskip(NEXT) | instid1(VALU_DEP_1)
	v_and_b32_e32 v1, 0x7f800000, v2
	v_cmp_ne_u32_e32 vcc_lo, 0x7f800000, v1
                                        ; implicit-def: $vgpr1
	s_and_saveexec_b32 s4, vcc_lo
	s_delay_alu instid0(SALU_CYCLE_1)
	s_xor_b32 s4, exec_lo, s4
; %bb.20:
	v_bfe_u32 v1, v2, 16, 1
	s_delay_alu instid0(VALU_DEP_1)
	v_add3_u32 v1, v2, v1, 0x7fff
                                        ; implicit-def: $vgpr2
; %bb.21:
	s_and_not1_saveexec_b32 s4, s4
; %bb.22:
	v_and_b32_e32 v1, 0xffff, v2
	v_or_b32_e32 v3, 0x10000, v2
	s_delay_alu instid0(VALU_DEP_2) | instskip(NEXT) | instid1(VALU_DEP_2)
	v_cmp_eq_u32_e32 vcc_lo, 0, v1
	v_cndmask_b32_e32 v1, v3, v2, vcc_lo
; %bb.23:
	s_or_b32 exec_lo, exec_lo, s4
	s_mul_i32 s3, s33, s3
	s_mul_hi_u32 s4, s33, s2
	s_mul_i32 s2, s33, s2
	s_add_i32 s3, s4, s3
	s_mov_b32 s15, 0
	s_lshl_b64 s[2:3], s[2:3], 8
	s_delay_alu instid0(SALU_CYCLE_1) | instskip(SKIP_2) | instid1(SALU_CYCLE_1)
	s_add_u32 s2, s0, s2
	s_addc_u32 s3, s1, s3
	s_lshl_b64 s[0:1], s[14:15], 8
	s_add_u32 s0, s2, s0
	s_addc_u32 s1, s3, s1
	global_store_d16_hi_b16 v0, v1, s[0:1]
	s_nop 0
	s_sendmsg sendmsg(MSG_DEALLOC_VGPRS)
	s_endpgm
.LBB667_24:
	s_mov_b32 s4, 0
	s_branch .LBB667_2
	.section	.rodata,"a",@progbits
	.p2align	6, 0x0
	.amdhsa_kernel _Z35paged_attention_ll4mi_reduce_kernelI14__hip_bfloat16S0_Li128ELi128ELi256ELi14EEvPT0_PKfS4_PKT_PKiS9_iS4_
		.amdhsa_group_segment_fixed_size 1796
		.amdhsa_private_segment_fixed_size 0
		.amdhsa_kernarg_size 320
		.amdhsa_user_sgpr_count 14
		.amdhsa_user_sgpr_dispatch_ptr 0
		.amdhsa_user_sgpr_queue_ptr 0
		.amdhsa_user_sgpr_kernarg_segment_ptr 1
		.amdhsa_user_sgpr_dispatch_id 0
		.amdhsa_user_sgpr_private_segment_size 0
		.amdhsa_wavefront_size32 1
		.amdhsa_uses_dynamic_stack 0
		.amdhsa_enable_private_segment 0
		.amdhsa_system_sgpr_workgroup_id_x 1
		.amdhsa_system_sgpr_workgroup_id_y 1
		.amdhsa_system_sgpr_workgroup_id_z 0
		.amdhsa_system_sgpr_workgroup_info 0
		.amdhsa_system_vgpr_workitem_id 0
		.amdhsa_next_free_vgpr 77
		.amdhsa_next_free_sgpr 49
		.amdhsa_reserve_vcc 1
		.amdhsa_float_round_mode_32 0
		.amdhsa_float_round_mode_16_64 0
		.amdhsa_float_denorm_mode_32 3
		.amdhsa_float_denorm_mode_16_64 3
		.amdhsa_dx10_clamp 1
		.amdhsa_ieee_mode 1
		.amdhsa_fp16_overflow 0
		.amdhsa_workgroup_processor_mode 1
		.amdhsa_memory_ordered 1
		.amdhsa_forward_progress 0
		.amdhsa_shared_vgpr_count 0
		.amdhsa_exception_fp_ieee_invalid_op 0
		.amdhsa_exception_fp_denorm_src 0
		.amdhsa_exception_fp_ieee_div_zero 0
		.amdhsa_exception_fp_ieee_overflow 0
		.amdhsa_exception_fp_ieee_underflow 0
		.amdhsa_exception_fp_ieee_inexact 0
		.amdhsa_exception_int_div_zero 0
	.end_amdhsa_kernel
	.section	.text._Z35paged_attention_ll4mi_reduce_kernelI14__hip_bfloat16S0_Li128ELi128ELi256ELi14EEvPT0_PKfS4_PKT_PKiS9_iS4_,"axG",@progbits,_Z35paged_attention_ll4mi_reduce_kernelI14__hip_bfloat16S0_Li128ELi128ELi256ELi14EEvPT0_PKfS4_PKT_PKiS9_iS4_,comdat
.Lfunc_end667:
	.size	_Z35paged_attention_ll4mi_reduce_kernelI14__hip_bfloat16S0_Li128ELi128ELi256ELi14EEvPT0_PKfS4_PKT_PKiS9_iS4_, .Lfunc_end667-_Z35paged_attention_ll4mi_reduce_kernelI14__hip_bfloat16S0_Li128ELi128ELi256ELi14EEvPT0_PKfS4_PKT_PKiS9_iS4_
                                        ; -- End function
	.section	.AMDGPU.csdata,"",@progbits
; Kernel info:
; codeLenInByte = 7868
; NumSgprs: 51
; NumVgprs: 77
; ScratchSize: 0
; MemoryBound: 0
; FloatMode: 240
; IeeeMode: 1
; LDSByteSize: 1796 bytes/workgroup (compile time only)
; SGPRBlocks: 6
; VGPRBlocks: 9
; NumSGPRsForWavesPerEU: 51
; NumVGPRsForWavesPerEU: 77
; Occupancy: 16
; WaveLimiterHint : 0
; COMPUTE_PGM_RSRC2:SCRATCH_EN: 0
; COMPUTE_PGM_RSRC2:USER_SGPR: 14
; COMPUTE_PGM_RSRC2:TRAP_HANDLER: 0
; COMPUTE_PGM_RSRC2:TGID_X_EN: 1
; COMPUTE_PGM_RSRC2:TGID_Y_EN: 1
; COMPUTE_PGM_RSRC2:TGID_Z_EN: 0
; COMPUTE_PGM_RSRC2:TIDIG_COMP_CNT: 0
	.section	.text._Z35paged_attention_ll4mi_reduce_kernelI14__hip_bfloat16S0_Li128ELi128ELi256ELi15EEvPT0_PKfS4_PKT_PKiS9_iS4_,"axG",@progbits,_Z35paged_attention_ll4mi_reduce_kernelI14__hip_bfloat16S0_Li128ELi128ELi256ELi15EEvPT0_PKfS4_PKT_PKiS9_iS4_,comdat
	.protected	_Z35paged_attention_ll4mi_reduce_kernelI14__hip_bfloat16S0_Li128ELi128ELi256ELi15EEvPT0_PKfS4_PKT_PKiS9_iS4_ ; -- Begin function _Z35paged_attention_ll4mi_reduce_kernelI14__hip_bfloat16S0_Li128ELi128ELi256ELi15EEvPT0_PKfS4_PKT_PKiS9_iS4_
	.globl	_Z35paged_attention_ll4mi_reduce_kernelI14__hip_bfloat16S0_Li128ELi128ELi256ELi15EEvPT0_PKfS4_PKT_PKiS9_iS4_
	.p2align	8
	.type	_Z35paged_attention_ll4mi_reduce_kernelI14__hip_bfloat16S0_Li128ELi128ELi256ELi15EEvPT0_PKfS4_PKT_PKiS9_iS4_,@function
_Z35paged_attention_ll4mi_reduce_kernelI14__hip_bfloat16S0_Li128ELi128ELi256ELi15EEvPT0_PKfS4_PKT_PKiS9_iS4_: ; @_Z35paged_attention_ll4mi_reduce_kernelI14__hip_bfloat16S0_Li128ELi128ELi256ELi15EEvPT0_PKfS4_PKT_PKiS9_iS4_
; %bb.0:
	s_load_b64 s[12:13], s[0:1], 0x28
	s_mov_b32 s2, s15
	s_waitcnt lgkmcnt(0)
	s_cmp_lg_u64 s[12:13], 0
	s_cselect_b32 s15, -1, 0
	s_delay_alu instid0(SALU_CYCLE_1)
	s_and_b32 vcc_lo, exec_lo, s15
	s_cbranch_vccz .LBB668_24
; %bb.1:
	s_add_i32 s4, s2, 1
	s_mov_b32 s5, 0
	s_delay_alu instid0(SALU_CYCLE_1) | instskip(SKIP_4) | instid1(SALU_CYCLE_1)
	s_lshl_b64 s[6:7], s[4:5], 2
	s_mov_b32 s3, s5
	s_add_u32 s6, s12, s6
	s_addc_u32 s7, s13, s7
	s_lshl_b64 s[8:9], s[2:3], 2
	s_add_u32 s8, s12, s8
	s_addc_u32 s9, s13, s9
	s_clause 0x1
	s_load_b32 s4, s[6:7], 0x0
	s_load_b32 s6, s[8:9], 0x0
	s_waitcnt lgkmcnt(0)
	s_sub_i32 s4, s4, s6
	s_delay_alu instid0(SALU_CYCLE_1)
	s_cmp_eq_u32 s4, 1
	s_cselect_b32 s4, -1, 0
	s_cbranch_execnz .LBB668_3
.LBB668_2:
	s_mov_b32 s3, 0
	s_mov_b32 s4, -1
.LBB668_3:
	s_delay_alu instid0(SALU_CYCLE_1)
	s_and_not1_b32 vcc_lo, exec_lo, s4
	s_cbranch_vccz .LBB668_5
; %bb.4:
	s_endpgm
.LBB668_5:
	s_clause 0x1
	s_load_b128 s[4:7], s[0:1], 0x18
	s_load_b32 s9, s[0:1], 0x30
	s_lshl_b64 s[16:17], s[2:3], 2
	s_waitcnt lgkmcnt(0)
	s_add_u32 s6, s6, s16
	s_addc_u32 s7, s7, s17
	s_load_b32 s23, s[6:7], 0x0
	s_load_b32 s33, s[0:1], 0x40
	s_mul_i32 s7, s2, s9
	s_waitcnt lgkmcnt(0)
	s_add_i32 s22, s23, 0xff
	s_delay_alu instid0(SALU_CYCLE_1) | instskip(NEXT) | instid1(SALU_CYCLE_1)
	s_ashr_i32 s6, s22, 31
	s_lshr_b32 s6, s6, 24
	s_delay_alu instid0(SALU_CYCLE_1) | instskip(SKIP_4) | instid1(SALU_CYCLE_1)
	s_add_i32 s8, s22, s6
	s_mul_i32 s6, s14, s9
	s_mov_b32 s9, exec_lo
	v_cmpx_lt_u32_e32 31, v0
	s_xor_b32 s9, exec_lo, s9
	s_or_saveexec_b32 s24, s9
	v_mov_b32_e32 v1, s6
	s_ashr_i32 s40, s8, 8
	s_mul_i32 s18, s7, s33
	s_xor_b32 exec_lo, exec_lo, s24
	s_cbranch_execz .LBB668_9
; %bb.6:
	v_or_b32_e32 v2, 32, v0
	v_cmp_gt_i32_e32 vcc_lo, s40, v0
	s_add_i32 s20, s40, -1
	v_or_b32_e32 v4, 64, v0
	v_or_b32_e32 v6, 0xa0, v0
	s_load_b128 s[8:11], s[0:1], 0x8
	v_cndmask_b32_e32 v1, s20, v0, vcc_lo
	v_cmp_gt_i32_e32 vcc_lo, s40, v2
	s_mov_b32 s19, 0
	s_delay_alu instid0(SALU_CYCLE_1)
	s_mov_b32 s7, s19
	v_cndmask_b32_e32 v3, s20, v2, vcc_lo
	v_or_b32_e32 v2, 0x60, v0
	v_cmp_gt_i32_e32 vcc_lo, s40, v4
	v_cndmask_b32_e32 v5, s20, v4, vcc_lo
	v_or_b32_e32 v4, 0x80, v0
	s_delay_alu instid0(VALU_DEP_4) | instskip(SKIP_1) | instid1(VALU_DEP_3)
	v_cmp_gt_i32_e32 vcc_lo, s40, v2
	v_cndmask_b32_e32 v7, s20, v2, vcc_lo
	v_cmp_gt_i32_e32 vcc_lo, s40, v4
	v_or_b32_e32 v2, 0xc0, v0
	s_delay_alu instid0(VALU_DEP_3) | instskip(SKIP_3) | instid1(VALU_DEP_3)
	v_ashrrev_i32_e32 v8, 31, v7
	v_cndmask_b32_e32 v9, s20, v4, vcc_lo
	v_cmp_gt_i32_e32 vcc_lo, s40, v6
	v_or_b32_e32 v4, 0xe0, v0
	v_ashrrev_i32_e32 v10, 31, v9
	v_cndmask_b32_e32 v11, s20, v6, vcc_lo
	v_cmp_gt_i32_e32 vcc_lo, s40, v2
	v_or_b32_e32 v6, 0x120, v0
	s_delay_alu instid0(VALU_DEP_3) | instskip(SKIP_3) | instid1(VALU_DEP_3)
	v_ashrrev_i32_e32 v12, 31, v11
	v_cndmask_b32_e32 v13, s20, v2, vcc_lo
	v_or_b32_e32 v2, 0x100, v0
	v_cmp_gt_i32_e32 vcc_lo, s40, v4
	v_ashrrev_i32_e32 v14, 31, v13
	v_cndmask_b32_e32 v15, s20, v4, vcc_lo
	s_delay_alu instid0(VALU_DEP_4) | instskip(SKIP_1) | instid1(VALU_DEP_3)
	v_cmp_gt_i32_e32 vcc_lo, s40, v2
	v_or_b32_e32 v4, 0x140, v0
	v_ashrrev_i32_e32 v16, 31, v15
	v_cndmask_b32_e32 v17, s20, v2, vcc_lo
	v_cmp_gt_i32_e32 vcc_lo, s40, v6
	v_or_b32_e32 v2, 0x160, v0
	s_delay_alu instid0(VALU_DEP_3) | instskip(SKIP_3) | instid1(VALU_DEP_3)
	v_ashrrev_i32_e32 v18, 31, v17
	v_cndmask_b32_e32 v19, s20, v6, vcc_lo
	v_cmp_gt_i32_e32 vcc_lo, s40, v4
	v_or_b32_e32 v6, 0x1a0, v0
	v_ashrrev_i32_e32 v20, 31, v19
	v_cndmask_b32_e32 v21, s20, v4, vcc_lo
	v_or_b32_e32 v4, 0x180, v0
	v_cmp_gt_i32_e32 vcc_lo, s40, v2
	s_delay_alu instid0(VALU_DEP_3) | instskip(SKIP_1) | instid1(VALU_DEP_4)
	v_ashrrev_i32_e32 v22, 31, v21
	v_cndmask_b32_e32 v23, s20, v2, vcc_lo
	v_cmp_gt_i32_e32 vcc_lo, s40, v4
	v_or_b32_e32 v2, 0x1c0, v0
	s_delay_alu instid0(VALU_DEP_3) | instskip(SKIP_3) | instid1(VALU_DEP_3)
	v_ashrrev_i32_e32 v24, 31, v23
	v_cndmask_b32_e32 v25, s20, v4, vcc_lo
	v_cmp_gt_i32_e32 vcc_lo, s40, v6
	v_ashrrev_i32_e32 v4, 31, v3
	v_ashrrev_i32_e32 v26, 31, v25
	v_cndmask_b32_e32 v27, s20, v6, vcc_lo
	v_cmp_gt_i32_e32 vcc_lo, s40, v2
	v_ashrrev_i32_e32 v6, 31, v5
	v_lshlrev_b64 v[33:34], 2, v[3:4]
	s_delay_alu instid0(VALU_DEP_4)
	v_ashrrev_i32_e32 v28, 31, v27
	v_cndmask_b32_e32 v29, s20, v2, vcc_lo
	v_ashrrev_i32_e32 v2, 31, v1
	s_lshl_b64 s[20:21], s[18:19], 2
	v_lshlrev_b64 v[4:5], 2, v[5:6]
	s_waitcnt lgkmcnt(0)
	s_add_u32 s19, s10, s20
	s_addc_u32 s25, s11, s21
	v_lshlrev_b64 v[31:32], 2, v[1:2]
	s_lshl_b64 s[10:11], s[6:7], 2
	v_lshlrev_b64 v[6:7], 2, v[7:8]
	s_add_u32 s7, s19, s10
	s_addc_u32 s19, s25, s11
	v_lshlrev_b64 v[8:9], 2, v[9:10]
	v_add_co_u32 v1, vcc_lo, s7, v31
	v_add_co_ci_u32_e32 v2, vcc_lo, s19, v32, vcc_lo
	v_add_co_u32 v35, vcc_lo, s7, v33
	v_add_co_ci_u32_e32 v36, vcc_lo, s19, v34, vcc_lo
	;; [unrolled: 2-line block ×3, first 2 shown]
	v_add_co_u32 v39, vcc_lo, s7, v6
	v_lshlrev_b64 v[10:11], 2, v[11:12]
	v_add_co_ci_u32_e32 v40, vcc_lo, s19, v7, vcc_lo
	v_add_co_u32 v41, vcc_lo, s7, v8
	v_lshlrev_b64 v[12:13], 2, v[13:14]
	v_add_co_ci_u32_e32 v42, vcc_lo, s19, v9, vcc_lo
	;; [unrolled: 3-line block ×5, first 2 shown]
	s_clause 0x7
	global_load_b32 v49, v[1:2], off
	global_load_b32 v50, v[35:36], off
	;; [unrolled: 1-line block ×8, first 2 shown]
	v_add_co_u32 v1, vcc_lo, s7, v16
	v_lshlrev_b64 v[20:21], 2, v[21:22]
	v_add_co_ci_u32_e32 v2, vcc_lo, s19, v17, vcc_lo
	v_add_co_u32 v35, vcc_lo, s7, v18
	v_add_co_ci_u32_e32 v36, vcc_lo, s19, v19, vcc_lo
	v_lshlrev_b64 v[22:23], 2, v[23:24]
	v_add_co_u32 v37, vcc_lo, s7, v20
	v_add_co_ci_u32_e32 v38, vcc_lo, s19, v21, vcc_lo
	v_lshlrev_b64 v[24:25], 2, v[25:26]
	v_ashrrev_i32_e32 v30, 31, v29
	s_clause 0x2
	global_load_b32 v45, v[1:2], off
	global_load_b32 v46, v[35:36], off
	;; [unrolled: 1-line block ×3, first 2 shown]
	v_add_co_u32 v1, vcc_lo, s7, v22
	v_lshlrev_b64 v[26:27], 2, v[27:28]
	v_add_co_ci_u32_e32 v2, vcc_lo, s19, v23, vcc_lo
	v_add_co_u32 v35, vcc_lo, s7, v24
	v_lshlrev_b64 v[28:29], 2, v[29:30]
	v_add_co_ci_u32_e32 v36, vcc_lo, s19, v25, vcc_lo
	v_add_co_u32 v37, vcc_lo, s7, v26
	v_add_co_ci_u32_e32 v38, vcc_lo, s19, v27, vcc_lo
	s_delay_alu instid0(VALU_DEP_4)
	v_add_co_u32 v39, vcc_lo, s7, v28
	v_add_co_ci_u32_e32 v40, vcc_lo, s19, v29, vcc_lo
	s_clause 0x3
	global_load_b32 v48, v[1:2], off
	global_load_b32 v35, v[35:36], off
	;; [unrolled: 1-line block ×4, first 2 shown]
	v_mbcnt_lo_u32_b32 v37, -1, 0
	s_add_u32 s7, s8, s20
	s_addc_u32 s8, s9, s21
	s_add_u32 s7, s7, s10
	s_addc_u32 s8, s8, s11
	v_xor_b32_e32 v1, 16, v37
	v_xor_b32_e32 v2, 8, v37
	s_delay_alu instid0(VALU_DEP_2) | instskip(SKIP_1) | instid1(VALU_DEP_3)
	v_cmp_gt_i32_e32 vcc_lo, 32, v1
	v_cndmask_b32_e32 v1, v37, v1, vcc_lo
	v_cmp_gt_i32_e32 vcc_lo, 32, v2
	v_cndmask_b32_e32 v38, v37, v2, vcc_lo
	s_delay_alu instid0(VALU_DEP_3) | instskip(NEXT) | instid1(VALU_DEP_2)
	v_lshlrev_b32_e32 v2, 2, v1
	v_lshlrev_b32_e32 v1, 2, v38
	s_waitcnt vmcnt(12)
	v_max3_f32 v30, v49, v50, v51
	s_waitcnt vmcnt(10)
	s_delay_alu instid0(VALU_DEP_1) | instskip(SKIP_1) | instid1(VALU_DEP_1)
	v_max3_f32 v30, v30, v52, v41
	s_waitcnt vmcnt(8)
	v_max3_f32 v30, v30, v42, v43
	s_waitcnt vmcnt(6)
	s_delay_alu instid0(VALU_DEP_1) | instskip(SKIP_3) | instid1(VALU_DEP_3)
	v_max3_f32 v38, v30, v44, v45
	v_add_co_u32 v30, vcc_lo, s7, v31
	v_add_co_ci_u32_e32 v31, vcc_lo, s8, v32, vcc_lo
	s_waitcnt vmcnt(4)
	v_max3_f32 v38, v38, v46, v47
	v_add_co_u32 v32, vcc_lo, s7, v33
	v_add_co_ci_u32_e32 v33, vcc_lo, s8, v34, vcc_lo
	v_add_co_u32 v4, vcc_lo, s7, v4
	v_add_co_ci_u32_e32 v5, vcc_lo, s8, v5, vcc_lo
	;; [unrolled: 2-line block ×3, first 2 shown]
	v_add_co_u32 v8, vcc_lo, s7, v8
	s_waitcnt vmcnt(2)
	v_max3_f32 v34, v38, v48, v35
	v_add_co_ci_u32_e32 v9, vcc_lo, s8, v9, vcc_lo
	v_add_co_u32 v10, vcc_lo, s7, v10
	s_waitcnt vmcnt(0)
	s_delay_alu instid0(VALU_DEP_3)
	v_max3_f32 v34, v34, v36, v3
	v_add_co_ci_u32_e32 v11, vcc_lo, s8, v11, vcc_lo
	v_add_co_u32 v12, vcc_lo, s7, v12
	ds_bpermute_b32 v38, v2, v34
	v_add_co_ci_u32_e32 v13, vcc_lo, s8, v13, vcc_lo
	v_add_co_u32 v14, vcc_lo, s7, v14
	v_add_co_ci_u32_e32 v15, vcc_lo, s8, v15, vcc_lo
	v_add_co_u32 v16, vcc_lo, s7, v16
	;; [unrolled: 2-line block ×4, first 2 shown]
	s_clause 0x9
	global_load_b32 v30, v[30:31], off
	global_load_b32 v31, v[32:33], off
	;; [unrolled: 1-line block ×10, first 2 shown]
	v_xor_b32_e32 v10, 4, v37
	v_add_co_ci_u32_e32 v21, vcc_lo, s8, v21, vcc_lo
	s_waitcnt lgkmcnt(0)
	v_max_f32_e32 v38, v38, v38
	v_add_co_u32 v8, vcc_lo, s7, v22
	v_add_co_ci_u32_e32 v9, vcc_lo, s8, v23, vcc_lo
	s_delay_alu instid0(VALU_DEP_3)
	v_max_f32_e32 v34, v34, v38
	v_cmp_gt_i32_e32 vcc_lo, 32, v10
	s_clause 0x1
	global_load_b32 v7, v[20:21], off
	global_load_b32 v8, v[8:9], off
	v_xor_b32_e32 v14, 2, v37
	ds_bpermute_b32 v38, v1, v34
	v_cndmask_b32_e32 v9, v37, v10, vcc_lo
	s_waitcnt lgkmcnt(0)
	s_delay_alu instid0(VALU_DEP_1) | instskip(NEXT) | instid1(VALU_DEP_1)
	v_dual_max_f32 v11, v38, v38 :: v_dual_lshlrev_b32 v10, 2, v9
	v_max_f32_e32 v13, v34, v11
	v_add_co_u32 v11, vcc_lo, s7, v24
	v_add_co_ci_u32_e32 v12, vcc_lo, s8, v25, vcc_lo
	ds_bpermute_b32 v9, v10, v13
	v_cmp_gt_i32_e32 vcc_lo, 32, v14
	s_waitcnt lgkmcnt(0)
	v_max_f32_e32 v15, v9, v9
	global_load_b32 v9, v[11:12], off
	v_max_f32_e32 v16, v13, v15
	v_cndmask_b32_e32 v14, v37, v14, vcc_lo
	v_add_co_u32 v12, vcc_lo, s7, v26
	v_add_co_ci_u32_e32 v13, vcc_lo, s8, v27, vcc_lo
	s_delay_alu instid0(VALU_DEP_3)
	v_lshlrev_b32_e32 v11, 2, v14
	v_add_co_u32 v14, vcc_lo, s7, v28
	v_add_co_ci_u32_e32 v15, vcc_lo, s8, v29, vcc_lo
	ds_bpermute_b32 v17, v11, v16
	global_load_b32 v13, v[12:13], off
	s_mov_b32 s7, exec_lo
	global_load_b32 v14, v[14:15], off
	v_xor_b32_e32 v12, 1, v37
	s_delay_alu instid0(VALU_DEP_1) | instskip(SKIP_2) | instid1(VALU_DEP_1)
	v_cmp_gt_i32_e32 vcc_lo, 32, v12
	v_cndmask_b32_e32 v12, v37, v12, vcc_lo
	s_waitcnt lgkmcnt(0)
	v_dual_max_f32 v15, v17, v17 :: v_dual_lshlrev_b32 v12, 2, v12
	s_delay_alu instid0(VALU_DEP_1) | instskip(SKIP_3) | instid1(VALU_DEP_1)
	v_max_f32_e32 v15, v16, v15
	ds_bpermute_b32 v16, v12, v15
	s_waitcnt lgkmcnt(0)
	v_max_f32_e32 v16, v16, v16
	v_max_f32_e32 v16, v15, v16
	v_sub_nc_u32_e32 v15, s40, v0
	s_delay_alu instid0(VALU_DEP_2)
	v_sub_f32_e32 v20, v52, v16
	v_sub_f32_e32 v26, v46, v16
	;; [unrolled: 1-line block ×5, first 2 shown]
	v_mul_f32_e32 v38, 0x3fb8aa3b, v20
	v_mul_f32_e32 v46, 0x3fb8aa3b, v26
	v_sub_f32_e32 v28, v48, v16
	v_mul_f32_e32 v44, 0x3fb8aa3b, v24
	v_sub_f32_e32 v22, v42, v16
	v_fma_f32 v57, 0x3fb8aa3b, v20, -v38
	v_rndne_f32_e32 v58, v38
	v_mul_f32_e32 v48, 0x3fb8aa3b, v28
	v_rndne_f32_e32 v66, v44
	v_mul_f32_e32 v42, 0x3fb8aa3b, v22
	s_delay_alu instid0(VALU_DEP_4)
	v_dual_fmac_f32 v57, 0x32a5705f, v20 :: v_dual_sub_f32 v38, v38, v58
	v_sub_f32_e32 v29, v35, v16
	v_mul_f32_e32 v35, 0x3fb8aa3b, v17
	v_fma_f32 v73, 0x3fb8aa3b, v28, -v48
	v_rndne_f32_e32 v74, v48
	v_sub_f32_e32 v27, v47, v16
	v_fma_f32 v61, 0x3fb8aa3b, v22, -v42
	v_fma_f32 v50, 0x3fb8aa3b, v17, -v35
	v_sub_f32_e32 v19, v51, v16
	v_dual_fmac_f32 v73, 0x32a5705f, v28 :: v_dual_sub_f32 v48, v48, v74
	v_rndne_f32_e32 v62, v42
	s_delay_alu instid0(VALU_DEP_4) | instskip(NEXT) | instid1(VALU_DEP_4)
	v_fmac_f32_e32 v50, 0x32a5705f, v17
	v_mul_f32_e32 v37, 0x3fb8aa3b, v19
	v_cvt_i32_f32_e32 v74, v74
	v_dual_add_f32 v48, v48, v73 :: v_dual_sub_f32 v23, v43, v16
	v_sub_f32_e32 v42, v42, v62
	s_delay_alu instid0(VALU_DEP_4) | instskip(SKIP_1) | instid1(VALU_DEP_4)
	v_fma_f32 v55, 0x3fb8aa3b, v19, -v37
	v_sub_f32_e32 v34, v36, v16
	v_exp_f32_e32 v48, v48
	v_mul_f32_e32 v36, 0x3fb8aa3b, v18
	v_rndne_f32_e32 v51, v35
	v_fmac_f32_e32 v55, 0x32a5705f, v19
	v_fma_f32 v65, 0x3fb8aa3b, v24, -v44
	v_fma_f32 v69, 0x3fb8aa3b, v26, -v46
	v_rndne_f32_e32 v70, v46
	v_dual_sub_f32 v44, v44, v66 :: v_dual_sub_f32 v25, v45, v16
	v_fma_f32 v52, 0x3fb8aa3b, v18, -v36
	s_delay_alu instid0(TRANS32_DEP_1) | instskip(NEXT) | instid1(VALU_DEP_4)
	v_ldexp_f32 v48, v48, v74
	v_sub_f32_e32 v46, v46, v70
	v_fmac_f32_e32 v61, 0x32a5705f, v22
	v_mul_f32_e32 v43, 0x3fb8aa3b, v23
	v_rndne_f32_e32 v54, v36
	v_fmac_f32_e32 v69, 0x32a5705f, v26
	s_delay_alu instid0(VALU_DEP_4) | instskip(SKIP_3) | instid1(VALU_DEP_4)
	v_dual_sub_f32 v35, v35, v51 :: v_dual_add_f32 v42, v42, v61
	v_dual_sub_f32 v21, v41, v16 :: v_dual_fmac_f32 v52, 0x32a5705f, v18
	v_rndne_f32_e32 v56, v37
	v_sub_f32_e32 v36, v36, v54
	v_exp_f32_e32 v42, v42
	v_cvt_i32_f32_e32 v62, v62
	v_dual_add_f32 v46, v46, v69 :: v_dual_add_f32 v35, v35, v50
	s_delay_alu instid0(VALU_DEP_3) | instskip(SKIP_2) | instid1(VALU_DEP_4)
	v_dual_mul_f32 v41, 0x3fb8aa3b, v21 :: v_dual_add_f32 v36, v36, v52
	v_cvt_i32_f32_e32 v51, v51
	v_cvt_i32_f32_e32 v54, v54
	v_exp_f32_e32 v35, v35
	v_fmac_f32_e32 v65, 0x32a5705f, v24
	s_delay_alu instid0(TRANS32_DEP_2)
	v_ldexp_f32 v42, v42, v62
	v_sub_f32_e32 v37, v37, v56
	v_exp_f32_e32 v36, v36
	v_add_f32_e32 v38, v38, v57
	v_cmp_ngt_f32_e32 vcc_lo, 0xc2ce8ed0, v17
	v_dual_mul_f32 v47, 0x3fb8aa3b, v27 :: v_dual_add_f32 v44, v44, v65
	v_add_f32_e32 v37, v37, v55
	s_delay_alu instid0(TRANS32_DEP_2)
	v_ldexp_f32 v35, v35, v51
	v_cvt_i32_f32_e32 v56, v56
	v_exp_f32_e32 v38, v38
	v_cvt_i32_f32_e32 v58, v58
	v_exp_f32_e32 v37, v37
	v_ldexp_f32 v36, v36, v54
	v_cndmask_b32_e32 v35, 0, v35, vcc_lo
	v_cmp_ngt_f32_e32 vcc_lo, 0xc2ce8ed0, v18
	v_mul_f32_e32 v45, 0x3fb8aa3b, v25
	v_exp_f32_e32 v44, v44
	v_fma_f32 v59, 0x3fb8aa3b, v21, -v41
	v_rndne_f32_e32 v60, v41
	v_cndmask_b32_e32 v36, 0, v36, vcc_lo
	v_cmp_ngt_f32_e32 vcc_lo, 0xc2ce8ed0, v19
	v_ldexp_f32 v37, v37, v56
	v_cvt_i32_f32_e32 v66, v66
	v_ldexp_f32 v38, v38, v58
	v_fma_f32 v63, 0x3fb8aa3b, v23, -v43
	v_rndne_f32_e32 v64, v43
	v_cndmask_b32_e32 v37, 0, v37, vcc_lo
	v_cmp_ngt_f32_e32 vcc_lo, 0xc2ce8ed0, v20
	v_mul_f32_e32 v49, 0x3fb8aa3b, v29
	v_ldexp_f32 v44, v44, v66
	v_fmac_f32_e32 v59, 0x32a5705f, v21
	v_dual_fmac_f32 v63, 0x32a5705f, v23 :: v_dual_cndmask_b32 v38, 0, v38
	v_sub_f32_e32 v41, v41, v60
	v_cvt_i32_f32_e32 v60, v60
	v_cmp_ngt_f32_e32 vcc_lo, 0xc2ce8ed0, v21
	v_fma_f32 v67, 0x3fb8aa3b, v25, -v45
	v_rndne_f32_e32 v68, v45
	v_add_f32_e32 v41, v41, v59
	v_fma_f32 v71, 0x3fb8aa3b, v27, -v47
	v_rndne_f32_e32 v72, v47
	v_fmac_f32_e32 v67, 0x32a5705f, v25
	v_sub_f32_e32 v45, v45, v68
	v_exp_f32_e32 v41, v41
	v_fmac_f32_e32 v71, 0x32a5705f, v27
	v_sub_f32_e32 v47, v47, v72
	v_cvt_i32_f32_e32 v68, v68
	v_add_f32_e32 v45, v45, v67
	v_exp_f32_e32 v46, v46
	v_fma_f32 v75, 0x3fb8aa3b, v29, -v49
	v_add_f32_e32 v47, v47, v71
	v_cvt_i32_f32_e32 v70, v70
	v_exp_f32_e32 v45, v45
	v_ldexp_f32 v41, v41, v60
	v_cvt_i32_f32_e32 v72, v72
	v_exp_f32_e32 v47, v47
	v_fmac_f32_e32 v75, 0x32a5705f, v29
	v_sub_f32_e32 v3, v3, v16
	v_cndmask_b32_e32 v41, 0, v41, vcc_lo
	v_cmp_ngt_f32_e32 vcc_lo, 0xc2ce8ed0, v22
	v_ldexp_f32 v46, v46, v70
	v_rndne_f32_e32 v76, v49
	v_ldexp_f32 v45, v45, v68
	v_dual_cndmask_b32 v42, 0, v42 :: v_dual_sub_f32 v43, v43, v64
	v_cvt_i32_f32_e32 v64, v64
	v_cmp_ngt_f32_e32 vcc_lo, 0xc2ce8ed0, v23
	v_ldexp_f32 v47, v47, v72
	s_delay_alu instid0(VALU_DEP_4) | instskip(NEXT) | instid1(VALU_DEP_1)
	v_add_f32_e32 v43, v43, v63
	v_exp_f32_e32 v43, v43
	s_waitcnt_depctr 0xfff
	v_ldexp_f32 v43, v43, v64
	s_delay_alu instid0(VALU_DEP_1)
	v_cndmask_b32_e32 v43, 0, v43, vcc_lo
	v_cmp_ngt_f32_e32 vcc_lo, 0xc2ce8ed0, v24
	v_cndmask_b32_e32 v44, 0, v44, vcc_lo
	v_cmp_ngt_f32_e32 vcc_lo, 0xc2ce8ed0, v25
	;; [unrolled: 2-line block ×5, first 2 shown]
	v_cndmask_b32_e32 v48, 0, v48, vcc_lo
	v_cmp_nlt_f32_e32 vcc_lo, 0x42b17218, v17
	v_cndmask_b32_e32 v17, 0x7f800000, v35, vcc_lo
	v_cmp_nlt_f32_e32 vcc_lo, 0x42b17218, v18
	;; [unrolled: 2-line block ×12, first 2 shown]
	v_cndmask_b32_e32 v28, 0x7f800000, v48, vcc_lo
	v_cmp_lt_i32_e32 vcc_lo, 0, v15
	v_cndmask_b32_e32 v17, 0, v17, vcc_lo
	v_cmp_lt_i32_e32 vcc_lo, 32, v15
	;; [unrolled: 2-line block ×3, first 2 shown]
	s_waitcnt vmcnt(13)
	s_delay_alu instid0(VALU_DEP_2) | instskip(SKIP_4) | instid1(VALU_DEP_2)
	v_dual_mul_f32 v18, v31, v18 :: v_dual_cndmask_b32 v19, 0, v19
	v_cmp_lt_i32_e32 vcc_lo, 0x60, v15
	v_cndmask_b32_e32 v20, 0, v20, vcc_lo
	v_cmp_lt_i32_e32 vcc_lo, 0x80, v15
	s_waitcnt vmcnt(11)
	v_dual_mul_f32 v20, v33, v20 :: v_dual_cndmask_b32 v21, 0, v21
	v_cmp_lt_i32_e32 vcc_lo, 0xa0, v15
	v_cndmask_b32_e32 v22, 0, v22, vcc_lo
	v_cmp_lt_i32_e32 vcc_lo, 0xc0, v15
	s_waitcnt vmcnt(9)
	s_delay_alu instid0(VALU_DEP_2) | instskip(SKIP_4) | instid1(VALU_DEP_2)
	v_dual_mul_f32 v22, v40, v22 :: v_dual_cndmask_b32 v23, 0, v23
	v_cmp_lt_i32_e32 vcc_lo, 0xe0, v15
	v_cndmask_b32_e32 v24, 0, v24, vcc_lo
	v_cmp_lt_i32_e32 vcc_lo, 0x100, v15
	s_waitcnt vmcnt(7)
	v_mul_f32_e32 v5, v5, v24
	v_cndmask_b32_e32 v25, 0, v25, vcc_lo
	v_cmp_lt_i32_e32 vcc_lo, 0x120, v15
	s_waitcnt vmcnt(6)
	s_delay_alu instid0(VALU_DEP_2) | instskip(SKIP_3) | instid1(VALU_DEP_2)
	v_mul_f32_e32 v4, v4, v25
	v_cndmask_b32_e32 v26, 0, v26, vcc_lo
	v_cmp_lt_i32_e32 vcc_lo, 0x140, v15
	s_waitcnt vmcnt(5)
	v_dual_sub_f32 v25, v49, v76 :: v_dual_mul_f32 v6, v6, v26
	v_cndmask_b32_e32 v27, 0, v27, vcc_lo
	v_cmp_lt_i32_e32 vcc_lo, 0x160, v15
	s_waitcnt vmcnt(4)
	s_delay_alu instid0(VALU_DEP_2)
	v_dual_mul_f32 v26, 0x3fb8aa3b, v34 :: v_dual_mul_f32 v7, v7, v27
	v_cndmask_b32_e32 v24, 0, v28, vcc_lo
	v_dual_mul_f32 v28, 0x3fb8aa3b, v3 :: v_dual_mul_f32 v17, v30, v17
	v_cvt_i32_f32_e32 v30, v76
	v_cmp_ngt_f32_e32 vcc_lo, 0xc2ce8ed0, v29
	s_waitcnt vmcnt(3)
	v_mul_f32_e32 v8, v8, v24
	v_add_f32_e32 v24, v25, v75
	v_fma_f32 v16, 0x3fb8aa3b, v34, -v26
	v_fma_f32 v31, 0x3fb8aa3b, v3, -v28
	s_delay_alu instid0(VALU_DEP_3) | instskip(NEXT) | instid1(VALU_DEP_1)
	v_exp_f32_e32 v24, v24
	v_dual_fmac_f32 v16, 0x32a5705f, v34 :: v_dual_fmac_f32 v31, 0x32a5705f, v3
	s_waitcnt_depctr 0xfff
	v_ldexp_f32 v24, v24, v30
	s_delay_alu instid0(VALU_DEP_1) | instskip(SKIP_3) | instid1(VALU_DEP_4)
	v_cndmask_b32_e32 v24, 0, v24, vcc_lo
	v_cmp_nlt_f32_e32 vcc_lo, 0x42b17218, v29
	v_mul_f32_e32 v19, v32, v19
	v_rndne_f32_e32 v32, v28
	v_dual_cndmask_b32 v24, 0x7f800000, v24 :: v_dual_add_f32 v27, v17, v18
	v_cmp_lt_i32_e32 vcc_lo, 0x180, v15
	s_delay_alu instid0(VALU_DEP_2) | instskip(SKIP_1) | instid1(VALU_DEP_4)
	v_add_f32_e32 v25, v27, v19
	v_rndne_f32_e32 v27, v26
	v_dual_cndmask_b32 v24, 0, v24 :: v_dual_mul_f32 v21, v39, v21
	v_cmp_ngt_f32_e32 vcc_lo, 0xc2ce8ed0, v34
	s_delay_alu instid0(VALU_DEP_3) | instskip(SKIP_3) | instid1(VALU_DEP_3)
	v_dual_add_f32 v25, v25, v20 :: v_dual_sub_f32 v26, v26, v27
	v_cvt_i32_f32_e32 v27, v27
	s_waitcnt vmcnt(2)
	v_mul_f32_e32 v9, v9, v24
	v_dual_add_f32 v25, v25, v21 :: v_dual_add_f32 v16, v26, v16
	s_delay_alu instid0(VALU_DEP_1) | instskip(NEXT) | instid1(VALU_DEP_2)
	v_dual_sub_f32 v26, v28, v32 :: v_dual_add_f32 v25, v25, v22
	v_exp_f32_e32 v16, v16
	s_delay_alu instid0(VALU_DEP_1) | instskip(NEXT) | instid1(VALU_DEP_1)
	v_add_f32_e32 v26, v26, v31
	v_exp_f32_e32 v26, v26
	s_waitcnt_depctr 0xfff
	v_ldexp_f32 v16, v16, v27
	v_cvt_i32_f32_e32 v27, v32
	s_delay_alu instid0(VALU_DEP_2) | instskip(SKIP_1) | instid1(VALU_DEP_3)
	v_dual_cndmask_b32 v16, 0, v16 :: v_dual_mul_f32 v23, v53, v23
	v_cmp_nlt_f32_e32 vcc_lo, 0x42b17218, v34
	v_ldexp_f32 v24, v26, v27
	s_delay_alu instid0(VALU_DEP_3) | instskip(SKIP_1) | instid1(VALU_DEP_2)
	v_dual_add_f32 v25, v25, v23 :: v_dual_cndmask_b32 v16, 0x7f800000, v16
	v_cmp_ngt_f32_e32 vcc_lo, 0xc2ce8ed0, v3
	v_dual_add_f32 v25, v25, v5 :: v_dual_cndmask_b32 v24, 0, v24
	v_cmp_lt_i32_e32 vcc_lo, 0x1a0, v15
	s_delay_alu instid0(VALU_DEP_2) | instskip(SKIP_2) | instid1(VALU_DEP_3)
	v_add_f32_e32 v25, v25, v4
	v_cndmask_b32_e32 v16, 0, v16, vcc_lo
	v_cmp_nlt_f32_e32 vcc_lo, 0x42b17218, v3
	v_add_f32_e32 v25, v25, v6
	s_waitcnt vmcnt(1)
	s_delay_alu instid0(VALU_DEP_3) | instskip(SKIP_1) | instid1(VALU_DEP_3)
	v_mul_f32_e32 v13, v13, v16
	v_cndmask_b32_e32 v3, 0x7f800000, v24, vcc_lo
	v_add_f32_e32 v25, v25, v7
	v_cmp_lt_i32_e32 vcc_lo, 0x1c0, v15
	s_delay_alu instid0(VALU_DEP_2) | instskip(NEXT) | instid1(VALU_DEP_1)
	v_dual_add_f32 v24, v25, v8 :: v_dual_cndmask_b32 v3, 0, v3
	v_add_f32_e32 v15, v24, v9
	s_waitcnt vmcnt(0)
	s_delay_alu instid0(VALU_DEP_1) | instskip(NEXT) | instid1(VALU_DEP_1)
	v_dual_mul_f32 v3, v14, v3 :: v_dual_add_f32 v14, v15, v13
	v_add_f32_e32 v14, v14, v3
	ds_bpermute_b32 v2, v2, v14
	s_waitcnt lgkmcnt(0)
	v_add_f32_e32 v2, v14, v2
	ds_bpermute_b32 v1, v1, v2
	s_waitcnt lgkmcnt(0)
	v_add_f32_e32 v1, v2, v1
	ds_bpermute_b32 v2, v10, v1
	v_lshlrev_b32_e32 v10, 2, v0
	ds_store_2addr_b32 v10, v17, v18 offset1:32
	s_waitcnt lgkmcnt(1)
	v_add_f32_e32 v1, v1, v2
	ds_bpermute_b32 v2, v11, v1
	v_add_nc_u32_e32 v11, 0x400, v10
	ds_store_2addr_b32 v10, v19, v20 offset0:64 offset1:96
	ds_store_2addr_b32 v10, v21, v22 offset0:128 offset1:160
	;; [unrolled: 1-line block ×3, first 2 shown]
	ds_store_2addr_b32 v11, v4, v6 offset1:32
	ds_store_2addr_b32 v11, v7, v8 offset0:64 offset1:96
	ds_store_2addr_b32 v11, v9, v13 offset0:128 offset1:160
	ds_store_b32 v10, v3 offset:1792
	s_waitcnt lgkmcnt(7)
	v_add_f32_e32 v1, v1, v2
	ds_bpermute_b32 v2, v12, v1
	v_cmpx_eq_u32_e32 0, v0
	s_cbranch_execz .LBB668_8
; %bb.7:
	s_waitcnt lgkmcnt(0)
	v_dual_add_f32 v1, v1, v2 :: v_dual_mov_b32 v2, 0
	ds_store_b32 v2, v1 offset:1920
.LBB668_8:
	s_or_b32 exec_lo, exec_lo, s7
	v_mov_b32_e32 v1, s6
.LBB668_9:
	s_or_b32 exec_lo, exec_lo, s24
	s_lshl_b32 s6, s18, 7
	s_mov_b32 s7, 0
	s_waitcnt lgkmcnt(0)
	v_dual_mov_b32 v2, 0 :: v_dual_lshlrev_b32 v1, 7, v1
	s_lshl_b64 s[6:7], s[6:7], 1
	v_lshlrev_b32_e32 v0, 1, v0
	s_add_u32 s34, s4, s6
	s_addc_u32 s35, s5, s7
	s_lshl_b32 s41, s40, 7
	v_lshlrev_b64 v[3:4], 1, v[1:2]
	s_add_i32 s42, s41, 0xffffff80
	s_cmpk_lt_i32 s22, 0x100
	v_dual_mov_b32 v30, 0 :: v_dual_mov_b32 v33, 0
	s_cselect_b32 s4, s42, 0
	s_delay_alu instid0(VALU_DEP_2)
	v_add_co_u32 v1, vcc_lo, s34, v3
	s_ashr_i32 s5, s4, 31
	v_add_co_ci_u32_e32 v3, vcc_lo, s35, v4, vcc_lo
	s_lshl_b64 s[4:5], s[4:5], 1
	s_cmpk_lt_i32 s22, 0x200
	v_add_co_u32 v1, vcc_lo, v1, v0
	s_cselect_b32 s6, s42, 0x80
	v_add_co_ci_u32_e32 v3, vcc_lo, 0, v3, vcc_lo
	s_ashr_i32 s7, s6, 31
	s_delay_alu instid0(VALU_DEP_2)
	v_add_co_u32 v4, vcc_lo, v1, s4
	s_lshl_b64 s[6:7], s[6:7], 1
	s_cmpk_lt_i32 s22, 0x300
	v_add_co_ci_u32_e32 v5, vcc_lo, s5, v3, vcc_lo
	s_cselect_b32 s8, s42, 0x100
	v_add_co_u32 v6, vcc_lo, v1, s6
	s_ashr_i32 s9, s8, 31
	v_add_co_ci_u32_e32 v7, vcc_lo, s7, v3, vcc_lo
	s_lshl_b64 s[8:9], s[8:9], 1
	s_cmpk_lt_i32 s22, 0x400
	v_add_co_u32 v8, vcc_lo, v1, s8
	s_cselect_b32 s10, s42, 0x180
	v_add_co_ci_u32_e32 v9, vcc_lo, s9, v3, vcc_lo
	s_ashr_i32 s11, s10, 31
	v_dual_mov_b32 v32, 0 :: v_dual_mov_b32 v35, 0
	s_lshl_b64 s[10:11], s[10:11], 1
	s_cmpk_lt_i32 s22, 0x500
	v_add_co_u32 v11, vcc_lo, v1, s10
	s_cselect_b32 s18, s42, 0x200
	v_add_co_ci_u32_e32 v12, vcc_lo, s11, v3, vcc_lo
	s_ashr_i32 s19, s18, 31
	v_mov_b32_e32 v34, 0
	s_lshl_b64 s[18:19], s[18:19], 1
	s_cmpk_lt_i32 s22, 0x600
	v_add_co_u32 v14, vcc_lo, v1, s18
	s_cselect_b32 s20, s42, 0x280
	v_add_co_ci_u32_e32 v15, vcc_lo, s19, v3, vcc_lo
	s_ashr_i32 s21, s20, 31
	v_mov_b32_e32 v31, 0
	s_lshl_b64 s[20:21], s[20:21], 1
	s_cmpk_lt_i32 s22, 0x700
	v_add_co_u32 v16, vcc_lo, v1, s20
	s_cselect_b32 s24, s42, 0x300
	v_add_co_ci_u32_e32 v17, vcc_lo, s21, v3, vcc_lo
	s_ashr_i32 s25, s24, 31
	s_delay_alu instid0(SALU_CYCLE_1)
	s_lshl_b64 s[24:25], s[24:25], 1
	s_cmpk_lt_i32 s22, 0x800
	v_add_co_u32 v18, vcc_lo, v1, s24
	s_cselect_b32 s26, s42, 0x380
	v_add_co_ci_u32_e32 v19, vcc_lo, s25, v3, vcc_lo
	s_ashr_i32 s27, s26, 31
	s_delay_alu instid0(SALU_CYCLE_1)
	s_lshl_b64 s[26:27], s[26:27], 1
	s_cmpk_lt_i32 s22, 0x900
	v_add_co_u32 v20, vcc_lo, v1, s26
	s_cselect_b32 s28, s42, 0x400
	v_add_co_ci_u32_e32 v21, vcc_lo, s27, v3, vcc_lo
	s_ashr_i32 s29, s28, 31
	s_clause 0x7
	global_load_u16 v13, v[4:5], off
	global_load_u16 v4, v[6:7], off
	;; [unrolled: 1-line block ×8, first 2 shown]
	s_lshl_b64 s[28:29], s[28:29], 1
	s_cmpk_lt_i32 s22, 0xa00
	v_add_co_u32 v11, vcc_lo, v1, s28
	s_cselect_b32 s30, s42, 0x480
	v_add_co_ci_u32_e32 v12, vcc_lo, s29, v3, vcc_lo
	s_ashr_i32 s31, s30, 31
	s_delay_alu instid0(SALU_CYCLE_1)
	s_lshl_b64 s[30:31], s[30:31], 1
	s_cmpk_lt_i32 s22, 0xb00
	v_add_co_u32 v14, vcc_lo, v1, s30
	s_cselect_b32 s34, s42, 0x500
	v_add_co_ci_u32_e32 v15, vcc_lo, s31, v3, vcc_lo
	s_ashr_i32 s35, s34, 31
	s_delay_alu instid0(SALU_CYCLE_1)
	;; [unrolled: 7-line block ×7, first 2 shown]
	s_lshl_b64 s[4:5], s[6:7], 1
	s_cmpk_gt_i32 s23, 0x1000
	v_add_co_u32 v28, vcc_lo, v1, s4
	v_add_co_ci_u32_e32 v29, vcc_lo, s5, v3, vcc_lo
	s_clause 0x7
	global_load_u16 v19, v[11:12], off
	global_load_u16 v18, v[14:15], off
	;; [unrolled: 1-line block ×8, first 2 shown]
	v_dual_mov_b32 v20, 0 :: v_dual_mov_b32 v23, 0
	v_dual_mov_b32 v21, 0 :: v_dual_mov_b32 v22, 0
	;; [unrolled: 1-line block ×5, first 2 shown]
	s_cselect_b32 s6, -1, 0
	s_cmpk_lt_i32 s23, 0x1001
	s_waitcnt vmcnt(0)
	s_barrier
	buffer_gl0_inv
	s_cbranch_scc1 .LBB668_11
; %bb.10:
	s_cmpk_lt_i32 s22, 0x1100
	s_cselect_b32 s4, s42, 0x800
	s_delay_alu instid0(SALU_CYCLE_1) | instskip(NEXT) | instid1(SALU_CYCLE_1)
	s_ashr_i32 s5, s4, 31
	s_lshl_b64 s[4:5], s[4:5], 1
	s_cmpk_lt_i32 s22, 0x1200
	v_add_co_u32 v20, vcc_lo, v1, s4
	s_cselect_b32 s8, s42, 0x880
	v_add_co_ci_u32_e32 v21, vcc_lo, s5, v3, vcc_lo
	s_ashr_i32 s9, s8, 31
	s_delay_alu instid0(SALU_CYCLE_1)
	s_lshl_b64 s[8:9], s[8:9], 1
	s_cmpk_lt_i32 s22, 0x1300
	v_add_co_u32 v22, vcc_lo, v1, s8
	s_cselect_b32 s10, s42, 0x900
	v_add_co_ci_u32_e32 v23, vcc_lo, s9, v3, vcc_lo
	s_ashr_i32 s11, s10, 31
	s_delay_alu instid0(SALU_CYCLE_1)
	;; [unrolled: 7-line block ×14, first 2 shown]
	s_lshl_b64 s[4:5], s[18:19], 1
	s_cmpk_lt_i32 s22, 0x2000
	v_add_co_u32 v48, vcc_lo, v1, s4
	s_cselect_b32 s8, s42, 0xf80
	v_add_co_ci_u32_e32 v49, vcc_lo, s5, v3, vcc_lo
	s_ashr_i32 s9, s8, 31
	s_delay_alu instid0(SALU_CYCLE_1) | instskip(NEXT) | instid1(SALU_CYCLE_1)
	s_lshl_b64 s[4:5], s[8:9], 1
	v_add_co_u32 v50, vcc_lo, v1, s4
	v_add_co_ci_u32_e32 v51, vcc_lo, s5, v3, vcc_lo
	s_clause 0xf
	global_load_u16 v20, v[20:21], off
	global_load_u16 v21, v[22:23], off
	;; [unrolled: 1-line block ×16, first 2 shown]
	s_waitcnt vmcnt(15)
	v_lshlrev_b32_e32 v35, 16, v20
	s_waitcnt vmcnt(14)
	v_lshlrev_b32_e32 v34, 16, v21
	;; [unrolled: 2-line block ×16, first 2 shown]
.LBB668_11:
	ds_load_b128 v[36:39], v2
	ds_load_b128 v[40:43], v2 offset:16
	v_lshlrev_b32_e32 v44, 16, v4
	v_lshlrev_b32_e32 v13, 16, v13
	;; [unrolled: 1-line block ×5, first 2 shown]
	s_load_b64 s[0:1], s[0:1], 0x0
	s_and_b32 vcc_lo, exec_lo, s6
	v_lshlrev_b32_e32 v5, 16, v5
	s_waitcnt lgkmcnt(0)
	v_fma_f32 v4, v36, v13, 0
	s_delay_alu instid0(VALU_DEP_1) | instskip(NEXT) | instid1(VALU_DEP_1)
	v_dual_fmac_f32 v4, v37, v44 :: v_dual_lshlrev_b32 v13, 16, v7
	v_dual_fmac_f32 v4, v38, v10 :: v_dual_lshlrev_b32 v9, 16, v9
	s_delay_alu instid0(VALU_DEP_1) | instskip(SKIP_4) | instid1(VALU_DEP_1)
	v_fmac_f32_e32 v4, v39, v9
	ds_load_b128 v[36:39], v2 offset:48
	v_fmac_f32_e32 v4, v40, v8
	ds_load_b128 v[7:10], v2 offset:32
	v_fmac_f32_e32 v4, v41, v13
	v_fmac_f32_e32 v4, v42, v6
	v_lshlrev_b32_e32 v6, 16, v19
	s_delay_alu instid0(VALU_DEP_2) | instskip(SKIP_1) | instid1(VALU_DEP_1)
	v_dual_fmac_f32 v4, v43, v5 :: v_dual_lshlrev_b32 v5, 16, v18
	s_waitcnt lgkmcnt(0)
	v_fmac_f32_e32 v4, v7, v6
	v_lshlrev_b32_e32 v6, 16, v17
	s_delay_alu instid0(VALU_DEP_2) | instskip(NEXT) | instid1(VALU_DEP_1)
	v_dual_fmac_f32 v4, v8, v5 :: v_dual_lshlrev_b32 v5, 16, v16
	v_fmac_f32_e32 v4, v9, v6
	v_lshlrev_b32_e32 v6, 16, v15
	s_delay_alu instid0(VALU_DEP_2) | instskip(NEXT) | instid1(VALU_DEP_1)
	v_dual_fmac_f32 v4, v10, v5 :: v_dual_lshlrev_b32 v5, 16, v14
	;; [unrolled: 4-line block ×3, first 2 shown]
	v_fmac_f32_e32 v4, v38, v6
	s_delay_alu instid0(VALU_DEP_1)
	v_fmac_f32_e32 v4, v39, v5
	s_cbranch_vccz .LBB668_13
; %bb.12:
	ds_load_b128 v[5:8], v2 offset:64
	ds_load_b128 v[9:12], v2 offset:80
	s_waitcnt lgkmcnt(1)
	v_fmac_f32_e32 v4, v5, v35
	s_delay_alu instid0(VALU_DEP_1) | instskip(NEXT) | instid1(VALU_DEP_1)
	v_fmac_f32_e32 v4, v6, v34
	v_fmac_f32_e32 v4, v7, v33
	s_delay_alu instid0(VALU_DEP_1) | instskip(SKIP_3) | instid1(VALU_DEP_1)
	v_fmac_f32_e32 v4, v8, v32
	ds_load_b128 v[5:8], v2 offset:96
	s_waitcnt lgkmcnt(1)
	v_fmac_f32_e32 v4, v9, v31
	v_fmac_f32_e32 v4, v10, v30
	s_delay_alu instid0(VALU_DEP_1) | instskip(NEXT) | instid1(VALU_DEP_1)
	v_fmac_f32_e32 v4, v11, v29
	v_fmac_f32_e32 v4, v12, v28
	ds_load_b128 v[9:12], v2 offset:112
	s_waitcnt lgkmcnt(1)
	v_fmac_f32_e32 v4, v5, v27
	s_delay_alu instid0(VALU_DEP_1) | instskip(NEXT) | instid1(VALU_DEP_1)
	v_fmac_f32_e32 v4, v6, v26
	v_fmac_f32_e32 v4, v7, v25
	s_delay_alu instid0(VALU_DEP_1) | instskip(SKIP_1) | instid1(VALU_DEP_1)
	v_fmac_f32_e32 v4, v8, v24
	s_waitcnt lgkmcnt(0)
	v_fmac_f32_e32 v4, v9, v23
	s_delay_alu instid0(VALU_DEP_1) | instskip(NEXT) | instid1(VALU_DEP_1)
	v_fmac_f32_e32 v4, v10, v22
	v_fmac_f32_e32 v4, v11, v21
	s_delay_alu instid0(VALU_DEP_1)
	v_fmac_f32_e32 v4, v12, v20
.LBB668_13:
	s_movk_i32 s43, 0x1f80
	s_movk_i32 s44, 0x80
	s_mov_b32 s45, 32
	s_branch .LBB668_15
.LBB668_14:                             ;   in Loop: Header=BB668_15 Depth=1
	s_addk_i32 s43, 0x1000
	s_addk_i32 s44, 0x80
	s_add_i32 s45, s45, 32
	s_cmpk_eq_u32 s43, 0xff80
	s_cbranch_scc1 .LBB668_17
.LBB668_15:                             ; =>This Inner Loop Header: Depth=1
	s_cmp_le_i32 s40, s45
	s_cbranch_scc1 .LBB668_14
; %bb.16:                               ;   in Loop: Header=BB668_15 Depth=1
	s_add_i32 s4, s43, 0xfffff080
	v_mov_b32_e32 v44, s44
	s_cmp_lt_i32 s4, s41
	s_cselect_b32 s4, s4, s42
	s_add_i32 s6, s43, 0xfffff100
	s_ashr_i32 s5, s4, 31
	s_delay_alu instid0(SALU_CYCLE_1)
	s_lshl_b64 s[38:39], s[4:5], 1
	s_cmp_lt_i32 s6, s41
	v_add_co_u32 v5, vcc_lo, v1, s38
	s_cselect_b32 s4, s6, s42
	s_add_i32 s6, s43, 0xfffff180
	s_ashr_i32 s5, s4, 31
	v_add_co_ci_u32_e32 v6, vcc_lo, s39, v3, vcc_lo
	s_lshl_b64 s[4:5], s[4:5], 1
	s_cmp_lt_i32 s6, s41
	s_cselect_b32 s6, s6, s42
	s_add_i32 s8, s43, 0xfffff200
	s_ashr_i32 s7, s6, 31
	global_load_u16 v2, v[5:6], off
	s_lshl_b64 s[6:7], s[6:7], 1
	s_cmp_lt_i32 s8, s41
	v_add_co_u32 v5, vcc_lo, v1, s4
	s_cselect_b32 s8, s8, s42
	s_add_i32 s10, s43, 0xfffff280
	s_ashr_i32 s9, s8, 31
	v_add_co_ci_u32_e32 v6, vcc_lo, s5, v3, vcc_lo
	s_lshl_b64 s[8:9], s[8:9], 1
	s_cmp_lt_i32 s10, s41
	v_add_co_u32 v7, vcc_lo, v1, s6
	s_cselect_b32 s10, s10, s42
	s_add_i32 s18, s43, 0xfffff300
	s_ashr_i32 s11, s10, 31
	v_add_co_ci_u32_e32 v8, vcc_lo, s7, v3, vcc_lo
	s_lshl_b64 s[10:11], s[10:11], 1
	s_cmp_lt_i32 s18, s41
	v_add_co_u32 v9, vcc_lo, v1, s8
	s_cselect_b32 s18, s18, s42
	s_add_i32 s20, s43, 0xfffff380
	s_ashr_i32 s19, s18, 31
	s_clause 0x1
	global_load_u16 v23, v[5:6], off
	global_load_u16 v24, v[7:8], off
	s_lshl_b64 s[18:19], s[18:19], 1
	s_cmp_lt_i32 s20, s41
	v_add_co_ci_u32_e32 v10, vcc_lo, s9, v3, vcc_lo
	s_cselect_b32 s20, s20, s42
	s_add_i32 s22, s43, 0xfffff400
	s_ashr_i32 s21, s20, 31
	global_load_u16 v25, v[9:10], off
	s_lshl_b64 s[20:21], s[20:21], 1
	s_cmp_lt_i32 s22, s41
	v_add_co_u32 v11, vcc_lo, v1, s10
	s_cselect_b32 s22, s22, s42
	s_add_i32 s24, s43, 0xfffff480
	s_ashr_i32 s23, s22, 31
	v_add_co_ci_u32_e32 v12, vcc_lo, s11, v3, vcc_lo
	s_lshl_b64 s[22:23], s[22:23], 1
	s_cmp_lt_i32 s24, s41
	v_add_co_u32 v13, vcc_lo, v1, s18
	global_load_u16 v26, v[11:12], off
	s_cselect_b32 s24, s24, s42
	s_add_i32 s26, s43, 0xfffff500
	s_ashr_i32 s25, s24, 31
	v_add_co_ci_u32_e32 v14, vcc_lo, s19, v3, vcc_lo
	s_lshl_b64 s[24:25], s[24:25], 1
	s_cmp_lt_i32 s26, s41
	v_add_co_u32 v15, vcc_lo, v1, s20
	global_load_u16 v27, v[13:14], off
	s_cselect_b32 s26, s26, s42
	s_add_i32 s28, s43, 0xfffff580
	s_ashr_i32 s27, s26, 31
	v_add_co_ci_u32_e32 v16, vcc_lo, s21, v3, vcc_lo
	s_lshl_b64 s[36:37], s[26:27], 1
	s_cmp_lt_i32 s28, s41
	v_add_co_u32 v17, vcc_lo, v1, s22
	s_cselect_b32 s26, s28, s42
	s_add_i32 s30, s43, 0xfffff600
	s_ashr_i32 s27, s26, 31
	v_add_co_ci_u32_e32 v18, vcc_lo, s23, v3, vcc_lo
	s_lshl_b64 s[28:29], s[26:27], 1
	s_cmp_lt_i32 s30, s41
	v_add_co_u32 v19, vcc_lo, v1, s24
	global_load_u16 v17, v[17:18], off
	s_cselect_b32 s26, s30, s42
	s_add_i32 s30, s43, 0xfffff680
	s_ashr_i32 s27, s26, 31
	v_add_co_ci_u32_e32 v20, vcc_lo, s25, v3, vcc_lo
	s_lshl_b64 s[26:27], s[26:27], 1
	s_cmp_lt_i32 s30, s41
	v_add_co_u32 v21, vcc_lo, v1, s36
	s_cselect_b32 s30, s30, s42
	s_add_i32 s46, s43, 0xfffff700
	s_ashr_i32 s31, s30, 31
	v_add_co_ci_u32_e32 v22, vcc_lo, s37, v3, vcc_lo
	s_lshl_b64 s[34:35], s[30:31], 1
	s_cmp_lt_i32 s46, s41
	v_add_co_u32 v5, vcc_lo, v1, s28
	;; [unrolled: 7-line block ×3, first 2 shown]
	s_cselect_b32 s46, s46, s42
	s_add_i32 s48, s43, 0xfffff800
	s_ashr_i32 s47, s46, 31
	global_load_u16 v28, v[15:16], off
	s_lshl_b64 s[38:39], s[46:47], 1
	s_cmp_lt_i32 s48, s41
	v_add_co_ci_u32_e32 v8, vcc_lo, s27, v3, vcc_lo
	s_cselect_b32 s46, s48, s42
	v_add_co_u32 v9, vcc_lo, v1, s34
	s_ashr_i32 s47, s46, 31
	s_add_i32 s4, s43, 0xfffff880
	s_lshl_b64 s[46:47], s[46:47], 1
	v_add_co_ci_u32_e32 v10, vcc_lo, s35, v3, vcc_lo
	s_cmp_lt_i32 s4, s41
	v_add_co_u32 v11, vcc_lo, v1, s30
	s_cselect_b32 s4, s4, s42
	v_add_co_ci_u32_e32 v12, vcc_lo, s31, v3, vcc_lo
	v_add_co_u32 v13, vcc_lo, v1, s38
	s_ashr_i32 s5, s4, 31
	s_add_i32 s6, s43, 0xfffff900
	v_add_co_ci_u32_e32 v14, vcc_lo, s39, v3, vcc_lo
	global_load_u16 v18, v[19:20], off
	s_lshl_b64 s[8:9], s[4:5], 1
	s_cmp_lt_i32 s6, s41
	global_load_u16 v30, v[13:14], off
	s_cselect_b32 s4, s6, s42
	global_load_u16 v19, v[21:22], off
	s_ashr_i32 s5, s4, 31
	s_add_i32 s6, s43, 0xfffff980
	s_lshl_b64 s[10:11], s[4:5], 1
	s_cmp_lt_i32 s6, s41
	s_clause 0x3
	global_load_u16 v20, v[5:6], off
	global_load_u16 v21, v[7:8], off
	;; [unrolled: 1-line block ×4, first 2 shown]
	s_cselect_b32 s4, s6, s42
	s_add_i32 s6, s43, 0xfffffa00
	s_ashr_i32 s5, s4, 31
	v_add_co_u32 v15, vcc_lo, v1, s46
	s_lshl_b64 s[4:5], s[4:5], 1
	s_cmp_lt_i32 s6, s41
	v_add_co_ci_u32_e32 v16, vcc_lo, s47, v3, vcc_lo
	s_cselect_b32 s6, s6, s42
	s_add_i32 s18, s43, 0xfffffa80
	s_ashr_i32 s7, s6, 31
	v_add_co_u32 v5, vcc_lo, v1, s8
	s_lshl_b64 s[6:7], s[6:7], 1
	s_cmp_lt_i32 s18, s41
	v_add_co_ci_u32_e32 v6, vcc_lo, s9, v3, vcc_lo
	s_cselect_b32 s18, s18, s42
	v_add_co_u32 v7, vcc_lo, v1, s10
	s_ashr_i32 s19, s18, 31
	s_add_i32 s20, s43, 0xfffffb00
	s_lshl_b64 s[18:19], s[18:19], 1
	v_add_co_ci_u32_e32 v8, vcc_lo, s11, v3, vcc_lo
	s_cmp_lt_i32 s20, s41
	v_add_co_u32 v9, vcc_lo, v1, s4
	s_cselect_b32 s20, s20, s42
	v_add_co_ci_u32_e32 v10, vcc_lo, s5, v3, vcc_lo
	v_add_co_u32 v11, vcc_lo, v1, s6
	s_ashr_i32 s21, s20, 31
	s_add_i32 s22, s43, 0xfffffb80
	v_add_co_ci_u32_e32 v12, vcc_lo, s7, v3, vcc_lo
	global_load_u16 v15, v[15:16], off
	s_lshl_b64 s[20:21], s[20:21], 1
	s_cmp_lt_i32 s22, s41
	global_load_u16 v33, v[11:12], off
	s_cselect_b32 s22, s22, s42
	s_clause 0x2
	global_load_u16 v16, v[5:6], off
	global_load_u16 v31, v[7:8], off
	global_load_u16 v32, v[9:10], off
	s_ashr_i32 s23, s22, 31
	s_add_i32 s24, s43, 0xfffffc00
	s_lshl_b64 s[22:23], s[22:23], 1
	s_cmp_lt_i32 s24, s41
	v_add_co_u32 v13, vcc_lo, v1, s18
	s_cselect_b32 s24, s24, s42
	s_add_i32 s26, s43, 0xfffffc80
	s_ashr_i32 s25, s24, 31
	v_add_co_ci_u32_e32 v14, vcc_lo, s19, v3, vcc_lo
	s_lshl_b64 s[24:25], s[24:25], 1
	s_cmp_lt_i32 s26, s41
	v_add_co_u32 v5, vcc_lo, v1, s20
	s_cselect_b32 s8, s26, s42
	v_add_co_ci_u32_e32 v6, vcc_lo, s21, v3, vcc_lo
	s_ashr_i32 s9, s8, 31
	v_add_co_u32 v7, vcc_lo, v1, s22
	s_add_i32 s10, s43, 0xfffffd00
	s_lshl_b64 s[8:9], s[8:9], 1
	v_add_co_ci_u32_e32 v8, vcc_lo, s23, v3, vcc_lo
	s_cmp_lt_i32 s10, s41
	v_add_co_u32 v9, vcc_lo, v1, s24
	s_cselect_b32 s4, s10, s42
	global_load_u16 v13, v[13:14], off
	v_add_co_ci_u32_e32 v10, vcc_lo, s25, v3, vcc_lo
	s_ashr_i32 s5, s4, 31
	s_add_i32 s6, s43, 0xfffffd80
	s_lshl_b64 s[4:5], s[4:5], 1
	global_load_u16 v35, v[9:10], off
	s_cmp_lt_i32 s6, s41
	s_clause 0x1
	global_load_u16 v14, v[5:6], off
	global_load_u16 v34, v[7:8], off
	s_cselect_b32 s6, s6, s42
	s_add_i32 s10, s43, 0xfffffe00
	s_ashr_i32 s7, s6, 31
	v_add_co_u32 v5, vcc_lo, v1, s8
	s_lshl_b64 s[6:7], s[6:7], 1
	s_cmp_lt_i32 s10, s41
	v_add_co_ci_u32_e32 v6, vcc_lo, s9, v3, vcc_lo
	s_cselect_b32 s10, s10, s42
	v_add_co_u32 v7, vcc_lo, v1, s4
	s_ashr_i32 s11, s10, 31
	v_add_co_ci_u32_e32 v8, vcc_lo, s5, v3, vcc_lo
	s_add_i32 s18, s43, 0xfffffe80
	s_lshl_b64 s[10:11], s[10:11], 1
	s_cmp_lt_i32 s18, s41
	s_clause 0x1
	global_load_u16 v36, v[5:6], off
	global_load_u16 v37, v[7:8], off
	s_cselect_b32 s18, s18, s42
	v_add_co_u32 v5, vcc_lo, v1, s6
	s_ashr_i32 s19, s18, 31
	v_add_co_ci_u32_e32 v6, vcc_lo, s7, v3, vcc_lo
	s_add_i32 s20, s43, 0xffffff00
	v_add_co_u32 v7, vcc_lo, v1, s10
	s_lshl_b64 s[8:9], s[18:19], 1
	s_cmp_lt_i32 s20, s41
	v_add_co_ci_u32_e32 v8, vcc_lo, s11, v3, vcc_lo
	s_cselect_b32 s4, s20, s42
	global_load_u16 v38, v[5:6], off
	s_ashr_i32 s5, s4, 31
	global_load_u16 v39, v[7:8], off
	s_add_i32 s18, s43, 0xffffff80
	v_add_co_u32 v5, vcc_lo, v1, s8
	s_lshl_b64 s[4:5], s[4:5], 1
	s_cmp_lt_i32 s18, s41
	v_add_co_ci_u32_e32 v6, vcc_lo, s9, v3, vcc_lo
	v_add_co_u32 v7, vcc_lo, v1, s4
	s_cselect_b32 s6, s18, s42
	v_add_co_ci_u32_e32 v8, vcc_lo, s5, v3, vcc_lo
	s_ashr_i32 s7, s6, 31
	global_load_u16 v40, v[5:6], off
	s_lshl_b64 s[6:7], s[6:7], 1
	global_load_u16 v41, v[7:8], off
	s_cmp_lt_i32 s43, s41
	v_add_co_u32 v5, vcc_lo, v1, s6
	s_cselect_b32 s4, s43, s42
	v_add_co_ci_u32_e32 v6, vcc_lo, s7, v3, vcc_lo
	s_ashr_i32 s5, s4, 31
	s_delay_alu instid0(SALU_CYCLE_1)
	s_lshl_b64 s[4:5], s[4:5], 1
	global_load_u16 v42, v[5:6], off
	v_add_co_u32 v5, vcc_lo, v1, s4
	v_add_co_ci_u32_e32 v6, vcc_lo, s5, v3, vcc_lo
	global_load_u16 v43, v[5:6], off
	ds_load_b128 v[5:8], v44
	ds_load_b128 v[9:12], v44 offset:16
	s_waitcnt vmcnt(31)
	v_lshlrev_b32_e32 v2, 16, v2
	s_waitcnt lgkmcnt(1)
	s_delay_alu instid0(VALU_DEP_1) | instskip(SKIP_2) | instid1(VALU_DEP_1)
	v_fmac_f32_e32 v4, v5, v2
	s_waitcnt vmcnt(30)
	v_lshlrev_b32_e32 v2, 16, v23
	v_fmac_f32_e32 v4, v6, v2
	s_waitcnt vmcnt(29)
	v_lshlrev_b32_e32 v2, 16, v24
	s_delay_alu instid0(VALU_DEP_1) | instskip(SKIP_2) | instid1(VALU_DEP_1)
	v_fmac_f32_e32 v4, v7, v2
	s_waitcnt vmcnt(28)
	v_lshlrev_b32_e32 v2, 16, v25
	v_fmac_f32_e32 v4, v8, v2
	ds_load_b128 v[5:8], v44 offset:32
	s_waitcnt vmcnt(27)
	v_lshlrev_b32_e32 v2, 16, v26
	s_waitcnt lgkmcnt(1)
	s_delay_alu instid0(VALU_DEP_1) | instskip(SKIP_2) | instid1(VALU_DEP_1)
	v_fmac_f32_e32 v4, v9, v2
	s_waitcnt vmcnt(26)
	v_lshlrev_b32_e32 v2, 16, v27
	v_fmac_f32_e32 v4, v10, v2
	s_waitcnt vmcnt(24)
	v_lshlrev_b32_e32 v2, 16, v28
	s_delay_alu instid0(VALU_DEP_1) | instskip(SKIP_1) | instid1(VALU_DEP_1)
	v_fmac_f32_e32 v4, v11, v2
	v_lshlrev_b32_e32 v2, 16, v17
	v_fmac_f32_e32 v4, v12, v2
	ds_load_b128 v[9:12], v44 offset:48
	s_waitcnt vmcnt(23)
	v_lshlrev_b32_e32 v2, 16, v18
	s_waitcnt lgkmcnt(1)
	s_delay_alu instid0(VALU_DEP_1) | instskip(SKIP_2) | instid1(VALU_DEP_1)
	v_fmac_f32_e32 v4, v5, v2
	s_waitcnt vmcnt(21)
	v_lshlrev_b32_e32 v2, 16, v19
	v_fmac_f32_e32 v4, v6, v2
	s_waitcnt vmcnt(20)
	v_lshlrev_b32_e32 v2, 16, v20
	s_delay_alu instid0(VALU_DEP_1) | instskip(SKIP_2) | instid1(VALU_DEP_1)
	v_fmac_f32_e32 v4, v7, v2
	s_waitcnt vmcnt(19)
	v_lshlrev_b32_e32 v2, 16, v21
	v_fmac_f32_e32 v4, v8, v2
	s_waitcnt vmcnt(18)
	v_lshlrev_b32_e32 v2, 16, v22
	ds_load_b128 v[5:8], v44 offset:64
	s_waitcnt lgkmcnt(1)
	v_fmac_f32_e32 v4, v9, v2
	s_waitcnt vmcnt(17)
	v_lshlrev_b32_e32 v2, 16, v29
	s_delay_alu instid0(VALU_DEP_1) | instskip(SKIP_1) | instid1(VALU_DEP_1)
	v_fmac_f32_e32 v4, v10, v2
	v_lshlrev_b32_e32 v2, 16, v30
	v_fmac_f32_e32 v4, v11, v2
	s_waitcnt vmcnt(16)
	v_lshlrev_b32_e32 v2, 16, v15
	s_delay_alu instid0(VALU_DEP_1) | instskip(SKIP_4) | instid1(VALU_DEP_1)
	v_fmac_f32_e32 v4, v12, v2
	ds_load_b128 v[9:12], v44 offset:80
	s_waitcnt vmcnt(14)
	v_lshlrev_b32_e32 v2, 16, v16
	s_waitcnt lgkmcnt(1)
	v_fmac_f32_e32 v4, v5, v2
	s_waitcnt vmcnt(13)
	v_lshlrev_b32_e32 v2, 16, v31
	s_delay_alu instid0(VALU_DEP_1) | instskip(SKIP_2) | instid1(VALU_DEP_1)
	v_fmac_f32_e32 v4, v6, v2
	s_waitcnt vmcnt(12)
	v_lshlrev_b32_e32 v2, 16, v32
	v_fmac_f32_e32 v4, v7, v2
	v_lshlrev_b32_e32 v2, 16, v33
	s_delay_alu instid0(VALU_DEP_1) | instskip(SKIP_4) | instid1(VALU_DEP_1)
	v_fmac_f32_e32 v4, v8, v2
	ds_load_b128 v[5:8], v44 offset:96
	s_waitcnt vmcnt(11)
	v_lshlrev_b32_e32 v2, 16, v13
	s_waitcnt lgkmcnt(1)
	v_fmac_f32_e32 v4, v9, v2
	s_waitcnt vmcnt(9)
	v_lshlrev_b32_e32 v2, 16, v14
	s_delay_alu instid0(VALU_DEP_1) | instskip(SKIP_2) | instid1(VALU_DEP_1)
	v_fmac_f32_e32 v4, v10, v2
	s_waitcnt vmcnt(8)
	v_lshlrev_b32_e32 v2, 16, v34
	v_fmac_f32_e32 v4, v11, v2
	;; [unrolled: 15-line block ×3, first 2 shown]
	s_waitcnt vmcnt(4)
	v_lshlrev_b32_e32 v2, 16, v39
	s_delay_alu instid0(VALU_DEP_1) | instskip(SKIP_3) | instid1(VALU_DEP_1)
	v_fmac_f32_e32 v4, v8, v2
	s_waitcnt vmcnt(3)
	v_lshlrev_b32_e32 v2, 16, v40
	s_waitcnt lgkmcnt(0)
	v_fmac_f32_e32 v4, v9, v2
	s_waitcnt vmcnt(2)
	v_lshlrev_b32_e32 v2, 16, v41
	s_delay_alu instid0(VALU_DEP_1) | instskip(SKIP_2) | instid1(VALU_DEP_1)
	v_fmac_f32_e32 v4, v10, v2
	s_waitcnt vmcnt(1)
	v_lshlrev_b32_e32 v2, 16, v42
	v_fmac_f32_e32 v4, v11, v2
	s_waitcnt vmcnt(0)
	v_lshlrev_b32_e32 v2, 16, v43
	s_delay_alu instid0(VALU_DEP_1)
	v_fmac_f32_e32 v4, v12, v2
	s_branch .LBB668_14
.LBB668_17:
	v_mov_b32_e32 v1, 0
	s_and_b32 vcc_lo, exec_lo, s15
	ds_load_b32 v1, v1 offset:1920
	s_cbranch_vccz .LBB668_19
; %bb.18:
	s_add_u32 s2, s12, s16
	s_addc_u32 s3, s13, s17
	s_load_b32 s2, s[2:3], 0x0
	s_mov_b32 s3, 0
.LBB668_19:
	s_waitcnt lgkmcnt(0)
	v_add_f32_e32 v1, 0x358637bd, v1
	s_delay_alu instid0(VALU_DEP_1) | instskip(NEXT) | instid1(VALU_DEP_1)
	v_div_scale_f32 v2, null, v1, v1, 1.0
	v_rcp_f32_e32 v3, v2
	s_waitcnt_depctr 0xfff
	v_fma_f32 v5, -v2, v3, 1.0
	s_delay_alu instid0(VALU_DEP_1) | instskip(SKIP_1) | instid1(VALU_DEP_1)
	v_fmac_f32_e32 v3, v5, v3
	v_div_scale_f32 v5, vcc_lo, 1.0, v1, 1.0
	v_mul_f32_e32 v6, v5, v3
	s_delay_alu instid0(VALU_DEP_1) | instskip(NEXT) | instid1(VALU_DEP_1)
	v_fma_f32 v7, -v2, v6, v5
	v_fmac_f32_e32 v6, v7, v3
	s_delay_alu instid0(VALU_DEP_1) | instskip(NEXT) | instid1(VALU_DEP_1)
	v_fma_f32 v2, -v2, v6, v5
	v_div_fmas_f32 v2, v2, v3, v6
	s_delay_alu instid0(VALU_DEP_1) | instskip(NEXT) | instid1(VALU_DEP_1)
	v_div_fixup_f32 v1, v2, v1, 1.0
	v_mul_f32_e32 v2, v4, v1
	s_delay_alu instid0(VALU_DEP_1) | instskip(NEXT) | instid1(VALU_DEP_1)
	v_and_b32_e32 v1, 0x7f800000, v2
	v_cmp_ne_u32_e32 vcc_lo, 0x7f800000, v1
                                        ; implicit-def: $vgpr1
	s_and_saveexec_b32 s4, vcc_lo
	s_delay_alu instid0(SALU_CYCLE_1)
	s_xor_b32 s4, exec_lo, s4
; %bb.20:
	v_bfe_u32 v1, v2, 16, 1
	s_delay_alu instid0(VALU_DEP_1)
	v_add3_u32 v1, v2, v1, 0x7fff
                                        ; implicit-def: $vgpr2
; %bb.21:
	s_and_not1_saveexec_b32 s4, s4
; %bb.22:
	v_and_b32_e32 v1, 0xffff, v2
	v_or_b32_e32 v3, 0x10000, v2
	s_delay_alu instid0(VALU_DEP_2) | instskip(NEXT) | instid1(VALU_DEP_2)
	v_cmp_eq_u32_e32 vcc_lo, 0, v1
	v_cndmask_b32_e32 v1, v3, v2, vcc_lo
; %bb.23:
	s_or_b32 exec_lo, exec_lo, s4
	s_mul_i32 s3, s33, s3
	s_mul_hi_u32 s4, s33, s2
	s_mul_i32 s2, s33, s2
	s_add_i32 s3, s4, s3
	s_mov_b32 s15, 0
	s_lshl_b64 s[2:3], s[2:3], 8
	s_delay_alu instid0(SALU_CYCLE_1) | instskip(SKIP_2) | instid1(SALU_CYCLE_1)
	s_add_u32 s2, s0, s2
	s_addc_u32 s3, s1, s3
	s_lshl_b64 s[0:1], s[14:15], 8
	s_add_u32 s0, s2, s0
	s_addc_u32 s1, s3, s1
	global_store_d16_hi_b16 v0, v1, s[0:1]
	s_nop 0
	s_sendmsg sendmsg(MSG_DEALLOC_VGPRS)
	s_endpgm
.LBB668_24:
	s_mov_b32 s4, 0
	s_branch .LBB668_2
	.section	.rodata,"a",@progbits
	.p2align	6, 0x0
	.amdhsa_kernel _Z35paged_attention_ll4mi_reduce_kernelI14__hip_bfloat16S0_Li128ELi128ELi256ELi15EEvPT0_PKfS4_PKT_PKiS9_iS4_
		.amdhsa_group_segment_fixed_size 1924
		.amdhsa_private_segment_fixed_size 0
		.amdhsa_kernarg_size 320
		.amdhsa_user_sgpr_count 14
		.amdhsa_user_sgpr_dispatch_ptr 0
		.amdhsa_user_sgpr_queue_ptr 0
		.amdhsa_user_sgpr_kernarg_segment_ptr 1
		.amdhsa_user_sgpr_dispatch_id 0
		.amdhsa_user_sgpr_private_segment_size 0
		.amdhsa_wavefront_size32 1
		.amdhsa_uses_dynamic_stack 0
		.amdhsa_enable_private_segment 0
		.amdhsa_system_sgpr_workgroup_id_x 1
		.amdhsa_system_sgpr_workgroup_id_y 1
		.amdhsa_system_sgpr_workgroup_id_z 0
		.amdhsa_system_sgpr_workgroup_info 0
		.amdhsa_system_vgpr_workitem_id 0
		.amdhsa_next_free_vgpr 77
		.amdhsa_next_free_sgpr 49
		.amdhsa_reserve_vcc 1
		.amdhsa_float_round_mode_32 0
		.amdhsa_float_round_mode_16_64 0
		.amdhsa_float_denorm_mode_32 3
		.amdhsa_float_denorm_mode_16_64 3
		.amdhsa_dx10_clamp 1
		.amdhsa_ieee_mode 1
		.amdhsa_fp16_overflow 0
		.amdhsa_workgroup_processor_mode 1
		.amdhsa_memory_ordered 1
		.amdhsa_forward_progress 0
		.amdhsa_shared_vgpr_count 0
		.amdhsa_exception_fp_ieee_invalid_op 0
		.amdhsa_exception_fp_denorm_src 0
		.amdhsa_exception_fp_ieee_div_zero 0
		.amdhsa_exception_fp_ieee_overflow 0
		.amdhsa_exception_fp_ieee_underflow 0
		.amdhsa_exception_fp_ieee_inexact 0
		.amdhsa_exception_int_div_zero 0
	.end_amdhsa_kernel
	.section	.text._Z35paged_attention_ll4mi_reduce_kernelI14__hip_bfloat16S0_Li128ELi128ELi256ELi15EEvPT0_PKfS4_PKT_PKiS9_iS4_,"axG",@progbits,_Z35paged_attention_ll4mi_reduce_kernelI14__hip_bfloat16S0_Li128ELi128ELi256ELi15EEvPT0_PKfS4_PKT_PKiS9_iS4_,comdat
.Lfunc_end668:
	.size	_Z35paged_attention_ll4mi_reduce_kernelI14__hip_bfloat16S0_Li128ELi128ELi256ELi15EEvPT0_PKfS4_PKT_PKiS9_iS4_, .Lfunc_end668-_Z35paged_attention_ll4mi_reduce_kernelI14__hip_bfloat16S0_Li128ELi128ELi256ELi15EEvPT0_PKfS4_PKT_PKiS9_iS4_
                                        ; -- End function
	.section	.AMDGPU.csdata,"",@progbits
; Kernel info:
; codeLenInByte = 8056
; NumSgprs: 51
; NumVgprs: 77
; ScratchSize: 0
; MemoryBound: 0
; FloatMode: 240
; IeeeMode: 1
; LDSByteSize: 1924 bytes/workgroup (compile time only)
; SGPRBlocks: 6
; VGPRBlocks: 9
; NumSGPRsForWavesPerEU: 51
; NumVGPRsForWavesPerEU: 77
; Occupancy: 16
; WaveLimiterHint : 0
; COMPUTE_PGM_RSRC2:SCRATCH_EN: 0
; COMPUTE_PGM_RSRC2:USER_SGPR: 14
; COMPUTE_PGM_RSRC2:TRAP_HANDLER: 0
; COMPUTE_PGM_RSRC2:TGID_X_EN: 1
; COMPUTE_PGM_RSRC2:TGID_Y_EN: 1
; COMPUTE_PGM_RSRC2:TGID_Z_EN: 0
; COMPUTE_PGM_RSRC2:TIDIG_COMP_CNT: 0
	.section	.text._Z35paged_attention_ll4mi_reduce_kernelI14__hip_bfloat16S0_Li128ELi128ELi256ELi16EEvPT0_PKfS4_PKT_PKiS9_iS4_,"axG",@progbits,_Z35paged_attention_ll4mi_reduce_kernelI14__hip_bfloat16S0_Li128ELi128ELi256ELi16EEvPT0_PKfS4_PKT_PKiS9_iS4_,comdat
	.protected	_Z35paged_attention_ll4mi_reduce_kernelI14__hip_bfloat16S0_Li128ELi128ELi256ELi16EEvPT0_PKfS4_PKT_PKiS9_iS4_ ; -- Begin function _Z35paged_attention_ll4mi_reduce_kernelI14__hip_bfloat16S0_Li128ELi128ELi256ELi16EEvPT0_PKfS4_PKT_PKiS9_iS4_
	.globl	_Z35paged_attention_ll4mi_reduce_kernelI14__hip_bfloat16S0_Li128ELi128ELi256ELi16EEvPT0_PKfS4_PKT_PKiS9_iS4_
	.p2align	8
	.type	_Z35paged_attention_ll4mi_reduce_kernelI14__hip_bfloat16S0_Li128ELi128ELi256ELi16EEvPT0_PKfS4_PKT_PKiS9_iS4_,@function
_Z35paged_attention_ll4mi_reduce_kernelI14__hip_bfloat16S0_Li128ELi128ELi256ELi16EEvPT0_PKfS4_PKT_PKiS9_iS4_: ; @_Z35paged_attention_ll4mi_reduce_kernelI14__hip_bfloat16S0_Li128ELi128ELi256ELi16EEvPT0_PKfS4_PKT_PKiS9_iS4_
; %bb.0:
	s_load_b64 s[12:13], s[0:1], 0x28
	s_mov_b32 s2, s15
	s_waitcnt lgkmcnt(0)
	s_cmp_lg_u64 s[12:13], 0
	s_cselect_b32 s15, -1, 0
	s_delay_alu instid0(SALU_CYCLE_1)
	s_and_b32 vcc_lo, exec_lo, s15
	s_cbranch_vccz .LBB669_24
; %bb.1:
	s_add_i32 s4, s2, 1
	s_mov_b32 s5, 0
	s_delay_alu instid0(SALU_CYCLE_1) | instskip(SKIP_4) | instid1(SALU_CYCLE_1)
	s_lshl_b64 s[6:7], s[4:5], 2
	s_mov_b32 s3, s5
	s_add_u32 s6, s12, s6
	s_addc_u32 s7, s13, s7
	s_lshl_b64 s[8:9], s[2:3], 2
	s_add_u32 s8, s12, s8
	s_addc_u32 s9, s13, s9
	s_clause 0x1
	s_load_b32 s4, s[6:7], 0x0
	s_load_b32 s6, s[8:9], 0x0
	s_waitcnt lgkmcnt(0)
	s_sub_i32 s4, s4, s6
	s_delay_alu instid0(SALU_CYCLE_1)
	s_cmp_eq_u32 s4, 1
	s_cselect_b32 s4, -1, 0
	s_cbranch_execnz .LBB669_3
.LBB669_2:
	s_mov_b32 s3, 0
	s_mov_b32 s4, -1
.LBB669_3:
	s_delay_alu instid0(SALU_CYCLE_1)
	s_and_not1_b32 vcc_lo, exec_lo, s4
	s_cbranch_vccz .LBB669_5
; %bb.4:
	s_endpgm
.LBB669_5:
	s_clause 0x1
	s_load_b128 s[4:7], s[0:1], 0x18
	s_load_b32 s9, s[0:1], 0x30
	s_lshl_b64 s[16:17], s[2:3], 2
	s_waitcnt lgkmcnt(0)
	s_add_u32 s6, s6, s16
	s_addc_u32 s7, s7, s17
	s_load_b32 s23, s[6:7], 0x0
	s_load_b32 s33, s[0:1], 0x40
	s_mul_i32 s7, s2, s9
	s_waitcnt lgkmcnt(0)
	s_add_i32 s22, s23, 0xff
	s_delay_alu instid0(SALU_CYCLE_1) | instskip(NEXT) | instid1(SALU_CYCLE_1)
	s_ashr_i32 s6, s22, 31
	s_lshr_b32 s6, s6, 24
	s_delay_alu instid0(SALU_CYCLE_1) | instskip(SKIP_4) | instid1(SALU_CYCLE_1)
	s_add_i32 s8, s22, s6
	s_mul_i32 s6, s14, s9
	s_mov_b32 s9, exec_lo
	v_cmpx_lt_u32_e32 31, v0
	s_xor_b32 s9, exec_lo, s9
	s_or_saveexec_b32 s24, s9
	v_mov_b32_e32 v1, s6
	s_ashr_i32 s40, s8, 8
	s_mul_i32 s18, s7, s33
	s_xor_b32 exec_lo, exec_lo, s24
	s_cbranch_execz .LBB669_9
; %bb.6:
	v_or_b32_e32 v2, 32, v0
	v_cmp_gt_i32_e32 vcc_lo, s40, v0
	s_add_i32 s20, s40, -1
	v_or_b32_e32 v4, 64, v0
	v_or_b32_e32 v6, 0x60, v0
	s_load_b128 s[8:11], s[0:1], 0x8
	v_cndmask_b32_e32 v1, s20, v0, vcc_lo
	v_cmp_gt_i32_e32 vcc_lo, s40, v2
	s_mov_b32 s19, 0
	s_delay_alu instid0(SALU_CYCLE_1)
	s_mov_b32 s7, s19
	v_cndmask_b32_e32 v3, s20, v2, vcc_lo
	v_cmp_gt_i32_e32 vcc_lo, s40, v4
	v_or_b32_e32 v2, 0x80, v0
	v_cndmask_b32_e32 v5, s20, v4, vcc_lo
	v_cmp_gt_i32_e32 vcc_lo, s40, v6
	v_or_b32_e32 v4, 0xa0, v0
	;; [unrolled: 3-line block ×3, first 2 shown]
	s_delay_alu instid0(VALU_DEP_3) | instskip(SKIP_3) | instid1(VALU_DEP_4)
	v_ashrrev_i32_e32 v8, 31, v7
	v_cndmask_b32_e32 v9, s20, v2, vcc_lo
	v_cmp_gt_i32_e32 vcc_lo, s40, v4
	v_or_b32_e32 v2, 0xe0, v0
	v_lshlrev_b64 v[7:8], 2, v[7:8]
	s_delay_alu instid0(VALU_DEP_4) | instskip(SKIP_3) | instid1(VALU_DEP_4)
	v_ashrrev_i32_e32 v10, 31, v9
	v_cndmask_b32_e32 v11, s20, v4, vcc_lo
	v_cmp_gt_i32_e32 vcc_lo, s40, v6
	v_or_b32_e32 v4, 0x100, v0
	v_lshlrev_b64 v[9:10], 2, v[9:10]
	s_delay_alu instid0(VALU_DEP_4) | instskip(SKIP_3) | instid1(VALU_DEP_4)
	;; [unrolled: 6-line block ×3, first 2 shown]
	v_ashrrev_i32_e32 v14, 31, v13
	v_cndmask_b32_e32 v15, s20, v2, vcc_lo
	v_or_b32_e32 v2, 0x120, v0
	v_cmp_gt_i32_e32 vcc_lo, s40, v4
	v_lshlrev_b64 v[13:14], 2, v[13:14]
	s_delay_alu instid0(VALU_DEP_4) | instskip(SKIP_3) | instid1(VALU_DEP_4)
	v_ashrrev_i32_e32 v16, 31, v15
	v_cndmask_b32_e32 v17, s20, v4, vcc_lo
	v_cmp_gt_i32_e32 vcc_lo, s40, v2
	v_or_b32_e32 v4, 0x160, v0
	v_lshlrev_b64 v[45:46], 2, v[15:16]
	s_delay_alu instid0(VALU_DEP_4) | instskip(SKIP_3) | instid1(VALU_DEP_4)
	v_ashrrev_i32_e32 v18, 31, v17
	v_cndmask_b32_e32 v19, s20, v2, vcc_lo
	v_cmp_gt_i32_e32 vcc_lo, s40, v6
	v_or_b32_e32 v2, 0x180, v0
	v_lshlrev_b64 v[17:18], 2, v[17:18]
	s_delay_alu instid0(VALU_DEP_4) | instskip(SKIP_3) | instid1(VALU_DEP_3)
	v_ashrrev_i32_e32 v20, 31, v19
	v_cndmask_b32_e32 v21, s20, v6, vcc_lo
	v_cmp_gt_i32_e32 vcc_lo, s40, v4
	v_or_b32_e32 v6, 0x1c0, v0
	v_ashrrev_i32_e32 v22, 31, v21
	v_cndmask_b32_e32 v23, s20, v4, vcc_lo
	v_or_b32_e32 v4, 0x1a0, v0
	v_cmp_gt_i32_e32 vcc_lo, s40, v2
	s_delay_alu instid0(VALU_DEP_3) | instskip(SKIP_1) | instid1(VALU_DEP_4)
	v_ashrrev_i32_e32 v24, 31, v23
	v_cndmask_b32_e32 v25, s20, v2, vcc_lo
	v_cmp_gt_i32_e32 vcc_lo, s40, v4
	v_or_b32_e32 v2, 0x1e0, v0
	s_delay_alu instid0(VALU_DEP_4) | instskip(NEXT) | instid1(VALU_DEP_4)
	v_lshlrev_b64 v[23:24], 2, v[23:24]
	v_ashrrev_i32_e32 v26, 31, v25
	v_cndmask_b32_e32 v27, s20, v4, vcc_lo
	v_cmp_gt_i32_e32 vcc_lo, s40, v6
	v_ashrrev_i32_e32 v4, 31, v3
	s_delay_alu instid0(VALU_DEP_4) | instskip(NEXT) | instid1(VALU_DEP_4)
	v_lshlrev_b64 v[25:26], 2, v[25:26]
	v_ashrrev_i32_e32 v28, 31, v27
	v_cndmask_b32_e32 v29, s20, v6, vcc_lo
	v_cmp_gt_i32_e32 vcc_lo, s40, v2
	v_ashrrev_i32_e32 v6, 31, v5
	v_lshlrev_b64 v[35:36], 2, v[3:4]
	v_lshlrev_b64 v[27:28], 2, v[27:28]
	v_ashrrev_i32_e32 v30, 31, v29
	v_cndmask_b32_e32 v31, s20, v2, vcc_lo
	v_ashrrev_i32_e32 v2, 31, v1
	s_lshl_b64 s[20:21], s[18:19], 2
	v_lshlrev_b64 v[5:6], 2, v[5:6]
	s_waitcnt lgkmcnt(0)
	s_add_u32 s19, s10, s20
	s_addc_u32 s25, s11, s21
	v_lshlrev_b64 v[33:34], 2, v[1:2]
	s_lshl_b64 s[10:11], s[6:7], 2
	v_ashrrev_i32_e32 v32, 31, v31
	s_add_u32 s7, s19, s10
	s_addc_u32 s19, s25, s11
	v_lshlrev_b64 v[29:30], 2, v[29:30]
	v_add_co_u32 v1, vcc_lo, s7, v33
	v_add_co_ci_u32_e32 v2, vcc_lo, s19, v34, vcc_lo
	v_add_co_u32 v3, vcc_lo, s7, v35
	v_add_co_ci_u32_e32 v4, vcc_lo, s19, v36, vcc_lo
	;; [unrolled: 2-line block ×8, first 2 shown]
	s_clause 0x7
	global_load_b32 v49, v[1:2], off
	global_load_b32 v50, v[3:4], off
	;; [unrolled: 1-line block ×8, first 2 shown]
	v_lshlrev_b64 v[37:38], 2, v[19:20]
	v_add_co_u32 v1, vcc_lo, s7, v17
	v_lshlrev_b64 v[39:40], 2, v[21:22]
	v_add_co_ci_u32_e32 v2, vcc_lo, s19, v18, vcc_lo
	s_delay_alu instid0(VALU_DEP_4) | instskip(SKIP_1) | instid1(VALU_DEP_4)
	v_add_co_u32 v3, vcc_lo, s7, v37
	v_add_co_ci_u32_e32 v4, vcc_lo, s19, v38, vcc_lo
	v_add_co_u32 v15, vcc_lo, s7, v39
	v_add_co_ci_u32_e32 v16, vcc_lo, s19, v40, vcc_lo
	;; [unrolled: 2-line block ×3, first 2 shown]
	s_clause 0x3
	global_load_b32 v47, v[1:2], off
	global_load_b32 v48, v[3:4], off
	;; [unrolled: 1-line block ×4, first 2 shown]
	v_add_co_u32 v1, vcc_lo, s7, v25
	v_add_co_ci_u32_e32 v2, vcc_lo, s19, v26, vcc_lo
	v_add_co_u32 v3, vcc_lo, s7, v27
	v_lshlrev_b64 v[31:32], 2, v[31:32]
	v_add_co_ci_u32_e32 v4, vcc_lo, s19, v28, vcc_lo
	v_add_co_u32 v15, vcc_lo, s7, v29
	v_add_co_ci_u32_e32 v16, vcc_lo, s19, v30, vcc_lo
	s_delay_alu instid0(VALU_DEP_4)
	v_add_co_u32 v19, vcc_lo, s7, v31
	v_add_co_ci_u32_e32 v20, vcc_lo, s19, v32, vcc_lo
	s_clause 0x3
	global_load_b32 v55, v[1:2], off
	global_load_b32 v56, v[3:4], off
	;; [unrolled: 1-line block ×4, first 2 shown]
	v_mbcnt_lo_u32_b32 v19, -1, 0
	s_add_u32 s7, s8, s20
	s_addc_u32 s8, s9, s21
	s_add_u32 s7, s7, s10
	s_addc_u32 s8, s8, s11
	v_xor_b32_e32 v4, 2, v19
	s_waitcnt vmcnt(14)
	v_dual_max_f32 v2, v49, v49 :: v_dual_max_f32 v1, v50, v50
	s_delay_alu instid0(VALU_DEP_1) | instskip(SKIP_1) | instid1(VALU_DEP_1)
	v_max_f32_e32 v1, v2, v1
	v_xor_b32_e32 v2, 16, v19
	v_cmp_gt_i32_e32 vcc_lo, 32, v2
	v_cndmask_b32_e32 v2, v19, v2, vcc_lo
	s_waitcnt vmcnt(12)
	v_max3_f32 v1, v1, v51, v52
	s_waitcnt vmcnt(10)
	s_delay_alu instid0(VALU_DEP_1) | instskip(SKIP_1) | instid1(VALU_DEP_1)
	v_max3_f32 v1, v1, v41, v42
	s_waitcnt vmcnt(8)
	v_max3_f32 v1, v1, v43, v44
	s_waitcnt vmcnt(6)
	s_delay_alu instid0(VALU_DEP_1) | instskip(SKIP_1) | instid1(VALU_DEP_1)
	v_max3_f32 v1, v1, v47, v48
	s_waitcnt vmcnt(4)
	v_max3_f32 v1, v1, v53, v54
	s_waitcnt vmcnt(2)
	s_delay_alu instid0(VALU_DEP_1) | instskip(SKIP_3) | instid1(VALU_DEP_3)
	v_max3_f32 v3, v1, v55, v56
	v_lshlrev_b32_e32 v1, 2, v2
	v_xor_b32_e32 v2, 8, v19
	s_waitcnt vmcnt(0)
	v_max3_f32 v15, v3, v57, v58
	v_xor_b32_e32 v3, 4, v19
	s_delay_alu instid0(VALU_DEP_3)
	v_cmp_gt_i32_e32 vcc_lo, 32, v2
	ds_bpermute_b32 v16, v1, v15
	v_cndmask_b32_e32 v2, v19, v2, vcc_lo
	v_cmp_gt_i32_e32 vcc_lo, 32, v3
	v_cndmask_b32_e32 v3, v19, v3, vcc_lo
	v_cmp_gt_i32_e32 vcc_lo, 32, v4
	s_delay_alu instid0(VALU_DEP_2) | instskip(SKIP_1) | instid1(VALU_DEP_2)
	v_dual_cndmask_b32 v20, v19, v4 :: v_dual_lshlrev_b32 v3, 2, v3
	v_lshlrev_b32_e32 v4, 2, v2
	v_lshlrev_b32_e32 v2, 2, v20
	s_waitcnt lgkmcnt(0)
	v_max_f32_e32 v16, v16, v16
	s_delay_alu instid0(VALU_DEP_1)
	v_max_f32_e32 v59, v15, v16
	v_add_co_u32 v15, vcc_lo, s7, v33
	v_add_co_ci_u32_e32 v16, vcc_lo, s8, v34, vcc_lo
	ds_bpermute_b32 v33, v4, v59
	v_add_co_u32 v21, vcc_lo, s7, v35
	v_add_co_ci_u32_e32 v22, vcc_lo, s8, v36, vcc_lo
	s_clause 0x1
	global_load_b32 v20, v[15:16], off
	global_load_b32 v21, v[21:22], off
	v_add_co_u32 v5, vcc_lo, s7, v5
	v_add_co_ci_u32_e32 v6, vcc_lo, s8, v6, vcc_lo
	v_add_co_u32 v7, vcc_lo, s7, v7
	v_add_co_ci_u32_e32 v8, vcc_lo, s8, v8, vcc_lo
	;; [unrolled: 2-line block ×3, first 2 shown]
	s_waitcnt lgkmcnt(0)
	v_max_f32_e32 v16, v33, v33
	s_clause 0x1
	global_load_b32 v22, v[5:6], off
	global_load_b32 v15, v[7:8], off
	v_add_co_u32 v5, vcc_lo, s7, v11
	v_max_f32_e32 v33, v59, v16
	v_add_co_ci_u32_e32 v6, vcc_lo, s8, v12, vcc_lo
	v_add_co_u32 v7, vcc_lo, s7, v13
	ds_bpermute_b32 v34, v3, v33
	v_add_co_ci_u32_e32 v8, vcc_lo, s8, v14, vcc_lo
	s_clause 0x1
	global_load_b32 v16, v[9:10], off
	global_load_b32 v5, v[5:6], off
	v_add_co_u32 v9, vcc_lo, s7, v45
	v_add_co_ci_u32_e32 v10, vcc_lo, s8, v46, vcc_lo
	v_add_co_u32 v11, vcc_lo, s7, v17
	v_add_co_ci_u32_e32 v12, vcc_lo, s8, v18, vcc_lo
	v_add_co_u32 v13, vcc_lo, s7, v37
	s_clause 0x2
	global_load_b32 v6, v[7:8], off
	global_load_b32 v7, v[9:10], off
	;; [unrolled: 1-line block ×3, first 2 shown]
	v_add_co_ci_u32_e32 v14, vcc_lo, s8, v38, vcc_lo
	s_waitcnt lgkmcnt(0)
	v_max_f32_e32 v10, v34, v34
	v_add_co_u32 v17, vcc_lo, s7, v39
	v_add_co_ci_u32_e32 v18, vcc_lo, s8, v40, vcc_lo
	v_add_co_u32 v11, vcc_lo, s7, v23
	s_delay_alu instid0(VALU_DEP_4)
	v_max_f32_e32 v23, v33, v10
	v_add_co_ci_u32_e32 v12, vcc_lo, s8, v24, vcc_lo
	global_load_b32 v9, v[13:14], off
	v_add_co_u32 v13, vcc_lo, s7, v25
	ds_bpermute_b32 v24, v2, v23
	v_add_co_ci_u32_e32 v14, vcc_lo, s8, v26, vcc_lo
	s_clause 0x2
	global_load_b32 v10, v[17:18], off
	global_load_b32 v11, v[11:12], off
	;; [unrolled: 1-line block ×3, first 2 shown]
	v_add_co_u32 v13, vcc_lo, s7, v27
	v_add_co_ci_u32_e32 v14, vcc_lo, s8, v28, vcc_lo
	v_xor_b32_e32 v18, 1, v19
	global_load_b32 v17, v[13:14], off
	v_add_co_u32 v13, vcc_lo, s7, v29
	v_add_co_ci_u32_e32 v14, vcc_lo, s8, v30, vcc_lo
	v_cmp_gt_i32_e32 vcc_lo, 32, v18
	s_waitcnt lgkmcnt(0)
	v_dual_max_f32 v24, v24, v24 :: v_dual_cndmask_b32 v19, v19, v18
	global_load_b32 v18, v[13:14], off
	v_lshlrev_b32_e32 v13, 2, v19
	v_max_f32_e32 v19, v23, v24
	v_add_co_u32 v23, vcc_lo, s7, v31
	v_add_co_ci_u32_e32 v24, vcc_lo, s8, v32, vcc_lo
	ds_bpermute_b32 v25, v13, v19
	s_mov_b32 s7, exec_lo
	global_load_b32 v14, v[23:24], off
	s_waitcnt lgkmcnt(0)
	v_max_f32_e32 v23, v25, v25
	s_delay_alu instid0(VALU_DEP_1) | instskip(SKIP_1) | instid1(VALU_DEP_2)
	v_max_f32_e32 v23, v19, v23
	v_sub_nc_u32_e32 v19, s40, v0
	v_sub_f32_e32 v29, v42, v23
	s_delay_alu instid0(VALU_DEP_1) | instskip(NEXT) | instid1(VALU_DEP_1)
	v_dual_sub_f32 v31, v44, v23 :: v_dual_mul_f32 v44, 0x3fb8aa3b, v29
	v_rndne_f32_e32 v66, v44
	v_fma_f32 v65, 0x3fb8aa3b, v29, -v44
	s_delay_alu instid0(VALU_DEP_2)
	v_sub_f32_e32 v44, v44, v66
	v_sub_f32_e32 v33, v48, v23
	;; [unrolled: 1-line block ×6, first 2 shown]
	v_mul_f32_e32 v48, 0x3fb8aa3b, v33
	v_sub_f32_e32 v30, v43, v23
	v_sub_f32_e32 v32, v47, v23
	;; [unrolled: 1-line block ×4, first 2 shown]
	v_rndne_f32_e32 v74, v48
	v_sub_f32_e32 v25, v50, v23
	v_mul_f32_e32 v50, 0x3fb8aa3b, v35
	v_sub_f32_e32 v38, v57, v23
	v_cmp_ngt_f32_e32 vcc_lo, 0xc2ce8ed0, v24
	v_cvt_i32_f32_e32 v66, v66
	s_delay_alu instid0(VALU_DEP_4) | instskip(SKIP_1) | instid1(VALU_DEP_2)
	v_rndne_f32_e32 v78, v50
	v_fma_f32 v77, 0x3fb8aa3b, v35, -v50
	v_sub_f32_e32 v50, v50, v78
	v_mul_f32_e32 v46, 0x3fb8aa3b, v31
	v_cvt_i32_f32_e32 v78, v78
	s_delay_alu instid0(VALU_DEP_2) | instskip(SKIP_2) | instid1(VALU_DEP_3)
	v_rndne_f32_e32 v70, v46
	v_sub_f32_e32 v27, v52, v23
	v_fma_f32 v69, 0x3fb8aa3b, v31, -v46
	v_sub_f32_e32 v46, v46, v70
	s_delay_alu instid0(VALU_DEP_3) | instskip(NEXT) | instid1(VALU_DEP_3)
	v_mul_f32_e32 v42, 0x3fb8aa3b, v27
	v_fmac_f32_e32 v69, 0x32a5705f, v31
	v_mul_f32_e32 v39, 0x3fb8aa3b, v24
	v_cvt_i32_f32_e32 v70, v70
	s_delay_alu instid0(VALU_DEP_4) | instskip(NEXT) | instid1(VALU_DEP_4)
	v_fma_f32 v61, 0x3fb8aa3b, v27, -v42
	v_add_f32_e32 v46, v46, v69
	v_rndne_f32_e32 v62, v42
	v_fma_f32 v55, 0x3fb8aa3b, v24, -v39
	s_delay_alu instid0(VALU_DEP_4) | instskip(NEXT) | instid1(VALU_DEP_4)
	v_fmac_f32_e32 v61, 0x32a5705f, v27
	v_exp_f32_e32 v46, v46
	s_delay_alu instid0(VALU_DEP_3) | instskip(SKIP_2) | instid1(VALU_DEP_3)
	v_dual_sub_f32 v42, v42, v62 :: v_dual_sub_f32 v37, v56, v23
	v_rndne_f32_e32 v56, v39
	v_cvt_i32_f32_e32 v62, v62
	v_add_f32_e32 v42, v42, v61
	s_delay_alu instid0(VALU_DEP_4)
	v_mul_f32_e32 v52, 0x3fb8aa3b, v37
	s_waitcnt_depctr 0xfff
	v_ldexp_f32 v46, v46, v70
	v_fmac_f32_e32 v55, 0x32a5705f, v24
	v_rndne_f32_e32 v82, v52
	v_fma_f32 v81, 0x3fb8aa3b, v37, -v52
	v_exp_f32_e32 v42, v42
	s_delay_alu instid0(VALU_DEP_2) | instskip(SKIP_1) | instid1(VALU_DEP_3)
	v_dual_sub_f32 v52, v52, v82 :: v_dual_fmac_f32 v65, 0x32a5705f, v29
	v_sub_f32_e32 v23, v58, v23
	v_fmac_f32_e32 v81, 0x32a5705f, v37
	v_mul_f32_e32 v45, 0x3fb8aa3b, v30
	v_cvt_i32_f32_e32 v82, v82
	v_add_f32_e32 v44, v44, v65
	v_mul_f32_e32 v54, 0x3fb8aa3b, v23
	v_add_f32_e32 v52, v52, v81
	s_delay_alu instid0(TRANS32_DEP_1)
	v_ldexp_f32 v42, v42, v62
	v_fma_f32 v67, 0x3fb8aa3b, v30, -v45
	v_rndne_f32_e32 v68, v45
	v_rndne_f32_e32 v86, v54
	v_fma_f32 v85, 0x3fb8aa3b, v23, -v54
	v_exp_f32_e32 v52, v52
	v_fmac_f32_e32 v67, 0x32a5705f, v30
	v_exp_f32_e32 v44, v44
	v_sub_f32_e32 v54, v54, v86
	v_fma_f32 v73, 0x3fb8aa3b, v33, -v48
	v_sub_f32_e32 v48, v48, v74
	v_mul_f32_e32 v40, 0x3fb8aa3b, v25
	v_cvt_i32_f32_e32 v74, v74
	v_fmac_f32_e32 v85, 0x32a5705f, v23
	v_fmac_f32_e32 v73, 0x32a5705f, v33
	v_mul_f32_e32 v41, 0x3fb8aa3b, v26
	v_fma_f32 v57, 0x3fb8aa3b, v25, -v40
	v_rndne_f32_e32 v58, v40
	v_ldexp_f32 v52, v52, v82
	v_add_f32_e32 v48, v48, v73
	v_fma_f32 v59, 0x3fb8aa3b, v26, -v41
	v_rndne_f32_e32 v60, v41
	v_sub_f32_e32 v40, v40, v58
	v_cvt_i32_f32_e32 v58, v58
	v_exp_f32_e32 v48, v48
	v_fmac_f32_e32 v59, 0x32a5705f, v26
	v_dual_mul_f32 v47, 0x3fb8aa3b, v32 :: v_dual_add_f32 v54, v54, v85
	v_ldexp_f32 v44, v44, v66
	s_delay_alu instid0(VALU_DEP_2) | instskip(SKIP_1) | instid1(VALU_DEP_4)
	v_fma_f32 v71, 0x3fb8aa3b, v32, -v47
	v_rndne_f32_e32 v72, v47
	v_exp_f32_e32 v54, v54
	s_delay_alu instid0(TRANS32_DEP_2) | instskip(SKIP_1) | instid1(VALU_DEP_1)
	v_ldexp_f32 v48, v48, v74
	v_fmac_f32_e32 v57, 0x32a5705f, v25
	v_dual_fmac_f32 v71, 0x32a5705f, v32 :: v_dual_add_f32 v40, v40, v57
	v_fmac_f32_e32 v77, 0x32a5705f, v35
	v_mul_f32_e32 v43, 0x3fb8aa3b, v28
	s_delay_alu instid0(VALU_DEP_3) | instskip(NEXT) | instid1(VALU_DEP_2)
	v_exp_f32_e32 v40, v40
	v_add_f32_e32 v50, v50, v77
	s_delay_alu instid0(VALU_DEP_2) | instskip(SKIP_1) | instid1(VALU_DEP_3)
	v_fma_f32 v63, 0x3fb8aa3b, v28, -v43
	v_rndne_f32_e32 v64, v43
	v_exp_f32_e32 v50, v50
	s_delay_alu instid0(VALU_DEP_2)
	v_fmac_f32_e32 v63, 0x32a5705f, v28
	s_waitcnt_depctr 0xfff
	v_ldexp_f32 v40, v40, v58
	v_ldexp_f32 v50, v50, v78
	v_sub_f32_e32 v39, v39, v56
	v_cvt_i32_f32_e32 v56, v56
	s_delay_alu instid0(VALU_DEP_2) | instskip(NEXT) | instid1(VALU_DEP_1)
	v_add_f32_e32 v39, v39, v55
	v_exp_f32_e32 v39, v39
	s_waitcnt_depctr 0xfff
	v_ldexp_f32 v39, v39, v56
	s_delay_alu instid0(VALU_DEP_1) | instskip(SKIP_4) | instid1(VALU_DEP_4)
	v_cndmask_b32_e32 v39, 0, v39, vcc_lo
	v_sub_f32_e32 v41, v41, v60
	v_cvt_i32_f32_e32 v60, v60
	v_cmp_ngt_f32_e32 vcc_lo, 0xc2ce8ed0, v25
	v_mul_f32_e32 v49, 0x3fb8aa3b, v34
	v_dual_add_f32 v41, v41, v59 :: v_dual_cndmask_b32 v40, 0, v40
	v_cmp_ngt_f32_e32 vcc_lo, 0xc2ce8ed0, v26
	s_delay_alu instid0(VALU_DEP_3) | instskip(NEXT) | instid1(VALU_DEP_3)
	v_fma_f32 v75, 0x3fb8aa3b, v34, -v49
	v_exp_f32_e32 v41, v41
	v_rndne_f32_e32 v76, v49
	s_delay_alu instid0(VALU_DEP_2) | instskip(SKIP_2) | instid1(VALU_DEP_1)
	v_fmac_f32_e32 v75, 0x32a5705f, v34
	s_waitcnt_depctr 0xfff
	v_ldexp_f32 v41, v41, v60
	v_cndmask_b32_e32 v41, 0, v41, vcc_lo
	v_sub_f32_e32 v43, v43, v64
	v_cvt_i32_f32_e32 v64, v64
	v_cmp_ngt_f32_e32 vcc_lo, 0xc2ce8ed0, v27
	v_mul_f32_e32 v51, 0x3fb8aa3b, v36
	s_delay_alu instid0(VALU_DEP_4) | instskip(SKIP_1) | instid1(VALU_DEP_3)
	v_dual_add_f32 v43, v43, v63 :: v_dual_cndmask_b32 v42, 0, v42
	v_cmp_ngt_f32_e32 vcc_lo, 0xc2ce8ed0, v28
	v_fma_f32 v79, 0x3fb8aa3b, v36, -v51
	s_delay_alu instid0(VALU_DEP_3) | instskip(SKIP_1) | instid1(VALU_DEP_2)
	v_exp_f32_e32 v43, v43
	v_rndne_f32_e32 v80, v51
	v_fmac_f32_e32 v79, 0x32a5705f, v36
	s_waitcnt_depctr 0xfff
	v_ldexp_f32 v43, v43, v64
	s_delay_alu instid0(VALU_DEP_1) | instskip(SKIP_4) | instid1(VALU_DEP_4)
	v_cndmask_b32_e32 v43, 0, v43, vcc_lo
	v_sub_f32_e32 v45, v45, v68
	v_cvt_i32_f32_e32 v68, v68
	v_cmp_ngt_f32_e32 vcc_lo, 0xc2ce8ed0, v29
	v_mul_f32_e32 v53, 0x3fb8aa3b, v38
	v_dual_add_f32 v45, v45, v67 :: v_dual_cndmask_b32 v44, 0, v44
	v_cmp_ngt_f32_e32 vcc_lo, 0xc2ce8ed0, v30
	s_delay_alu instid0(VALU_DEP_3) | instskip(NEXT) | instid1(VALU_DEP_3)
	v_rndne_f32_e32 v84, v53
	v_exp_f32_e32 v45, v45
	v_fma_f32 v83, 0x3fb8aa3b, v38, -v53
	s_waitcnt_depctr 0xfff
	v_ldexp_f32 v45, v45, v68
	s_delay_alu instid0(VALU_DEP_1) | instskip(SKIP_3) | instid1(VALU_DEP_3)
	v_cndmask_b32_e32 v45, 0, v45, vcc_lo
	v_sub_f32_e32 v47, v47, v72
	v_cmp_ngt_f32_e32 vcc_lo, 0xc2ce8ed0, v31
	v_cvt_i32_f32_e32 v72, v72
	v_dual_add_f32 v47, v47, v71 :: v_dual_cndmask_b32 v46, 0, v46
	v_sub_f32_e32 v49, v49, v76
	v_cmp_ngt_f32_e32 vcc_lo, 0xc2ce8ed0, v32
	v_cvt_i32_f32_e32 v76, v76
	s_delay_alu instid0(VALU_DEP_4) | instskip(NEXT) | instid1(VALU_DEP_3)
	v_exp_f32_e32 v47, v47
	v_add_f32_e32 v49, v49, v75
	s_delay_alu instid0(VALU_DEP_1) | instskip(SKIP_2) | instid1(VALU_DEP_1)
	v_exp_f32_e32 v49, v49
	s_waitcnt_depctr 0xfff
	v_ldexp_f32 v47, v47, v72
	v_cndmask_b32_e32 v47, 0, v47, vcc_lo
	v_cmp_ngt_f32_e32 vcc_lo, 0xc2ce8ed0, v33
	v_ldexp_f32 v49, v49, v76
	v_cndmask_b32_e32 v48, 0, v48, vcc_lo
	v_cmp_ngt_f32_e32 vcc_lo, 0xc2ce8ed0, v34
	s_delay_alu instid0(VALU_DEP_3) | instskip(SKIP_3) | instid1(VALU_DEP_3)
	v_cndmask_b32_e32 v49, 0, v49, vcc_lo
	v_sub_f32_e32 v51, v51, v80
	v_cvt_i32_f32_e32 v80, v80
	v_cmp_ngt_f32_e32 vcc_lo, 0xc2ce8ed0, v35
	v_dual_add_f32 v51, v51, v79 :: v_dual_cndmask_b32 v50, 0, v50
	v_cmp_ngt_f32_e32 vcc_lo, 0xc2ce8ed0, v36
	s_delay_alu instid0(VALU_DEP_2) | instskip(SKIP_2) | instid1(VALU_DEP_1)
	v_exp_f32_e32 v51, v51
	s_waitcnt_depctr 0xfff
	v_ldexp_f32 v51, v51, v80
	v_cndmask_b32_e32 v51, 0, v51, vcc_lo
	v_cmp_ngt_f32_e32 vcc_lo, 0xc2ce8ed0, v37
	v_cndmask_b32_e32 v52, 0, v52, vcc_lo
	v_cmp_nlt_f32_e32 vcc_lo, 0x42b17218, v24
	v_cndmask_b32_e32 v24, 0x7f800000, v39, vcc_lo
	v_cmp_nlt_f32_e32 vcc_lo, 0x42b17218, v25
	;; [unrolled: 2-line block ×6, first 2 shown]
	v_cndmask_b32_e32 v29, 0x7f800000, v44, vcc_lo
	v_cmp_lt_i32_e32 vcc_lo, 0, v19
	v_cndmask_b32_e32 v24, 0, v24, vcc_lo
	v_cmp_lt_i32_e32 vcc_lo, 32, v19
	s_waitcnt vmcnt(15)
	s_delay_alu instid0(VALU_DEP_2) | instskip(SKIP_2) | instid1(VALU_DEP_2)
	v_dual_mul_f32 v20, v20, v24 :: v_dual_cndmask_b32 v25, 0, v25
	v_cmp_nlt_f32_e32 vcc_lo, 0x42b17218, v30
	s_waitcnt vmcnt(14)
	v_mul_f32_e32 v21, v21, v25
	v_cndmask_b32_e32 v30, 0x7f800000, v45, vcc_lo
	v_cmp_lt_i32_e32 vcc_lo, 64, v19
	v_cndmask_b32_e32 v26, 0, v26, vcc_lo
	v_cmp_nlt_f32_e32 vcc_lo, 0x42b17218, v31
	s_waitcnt vmcnt(13)
	s_delay_alu instid0(VALU_DEP_2)
	v_mul_f32_e32 v22, v22, v26
	v_cndmask_b32_e32 v24, 0x7f800000, v46, vcc_lo
	v_cmp_lt_i32_e32 vcc_lo, 0x60, v19
	v_dual_add_f32 v26, v20, v21 :: v_dual_cndmask_b32 v25, 0, v27
	v_cmp_nlt_f32_e32 vcc_lo, 0x42b17218, v32
	s_waitcnt vmcnt(12)
	s_delay_alu instid0(VALU_DEP_2)
	v_mul_f32_e32 v15, v15, v25
	v_cndmask_b32_e32 v27, 0x7f800000, v47, vcc_lo
	v_cmp_lt_i32_e32 vcc_lo, 0x80, v19
	v_dual_add_f32 v25, v26, v22 :: v_dual_cndmask_b32 v28, 0, v28
	v_cmp_nlt_f32_e32 vcc_lo, 0x42b17218, v33
	s_waitcnt vmcnt(11)
	s_delay_alu instid0(VALU_DEP_2) | instskip(SKIP_2) | instid1(VALU_DEP_3)
	v_dual_add_f32 v25, v25, v15 :: v_dual_mul_f32 v16, v16, v28
	v_cndmask_b32_e32 v26, 0x7f800000, v48, vcc_lo
	v_cmp_lt_i32_e32 vcc_lo, 0xa0, v19
	v_add_f32_e32 v25, v25, v16
	v_cndmask_b32_e32 v29, 0, v29, vcc_lo
	v_cmp_nlt_f32_e32 vcc_lo, 0x42b17218, v34
	s_waitcnt vmcnt(10)
	s_delay_alu instid0(VALU_DEP_2) | instskip(SKIP_2) | instid1(VALU_DEP_3)
	v_mul_f32_e32 v5, v5, v29
	v_cndmask_b32_e32 v28, 0x7f800000, v49, vcc_lo
	v_cmp_lt_i32_e32 vcc_lo, 0xc0, v19
	v_dual_add_f32 v25, v25, v5 :: v_dual_cndmask_b32 v30, 0, v30
	v_cmp_nlt_f32_e32 vcc_lo, 0x42b17218, v35
	s_waitcnt vmcnt(9)
	s_delay_alu instid0(VALU_DEP_2)
	v_mul_f32_e32 v6, v6, v30
	v_cndmask_b32_e32 v29, 0x7f800000, v50, vcc_lo
	v_cmp_lt_i32_e32 vcc_lo, 0xe0, v19
	v_cndmask_b32_e32 v24, 0, v24, vcc_lo
	v_cmp_nlt_f32_e32 vcc_lo, 0x42b17218, v36
	v_sub_f32_e32 v53, v53, v84
	v_cvt_i32_f32_e32 v84, v84
	s_waitcnt vmcnt(8)
	v_dual_mul_f32 v7, v7, v24 :: v_dual_cndmask_b32 v30, 0x7f800000, v51
	v_cmp_lt_i32_e32 vcc_lo, 0x100, v19
	v_dual_add_f32 v24, v25, v6 :: v_dual_cndmask_b32 v27, 0, v27
	v_cmp_lt_i32_e32 vcc_lo, 0x120, v19
	s_delay_alu instid0(VALU_DEP_2) | instskip(SKIP_1) | instid1(VALU_DEP_3)
	v_add_f32_e32 v24, v24, v7
	s_waitcnt vmcnt(7)
	v_dual_mul_f32 v8, v8, v27 :: v_dual_cndmask_b32 v25, 0, v26
	v_cmp_lt_i32_e32 vcc_lo, 0x140, v19
	s_delay_alu instid0(VALU_DEP_2) | instskip(SKIP_1) | instid1(VALU_DEP_3)
	v_dual_fmac_f32 v83, 0x32a5705f, v38 :: v_dual_add_f32 v24, v24, v8
	s_waitcnt vmcnt(6)
	v_dual_mul_f32 v9, v9, v25 :: v_dual_cndmask_b32 v26, 0, v28
	s_delay_alu instid0(VALU_DEP_2) | instskip(SKIP_1) | instid1(VALU_DEP_3)
	v_add_f32_e32 v53, v53, v83
	v_cmp_lt_i32_e32 vcc_lo, 0x160, v19
	v_add_f32_e32 v24, v24, v9
	s_waitcnt vmcnt(5)
	v_mul_f32_e32 v10, v10, v26
	v_exp_f32_e32 v53, v53
	v_cndmask_b32_e32 v27, 0, v29, vcc_lo
	v_cmp_lt_i32_e32 vcc_lo, 0x180, v19
	s_waitcnt vmcnt(4)
	s_delay_alu instid0(VALU_DEP_2) | instskip(SKIP_3) | instid1(TRANS32_DEP_1)
	v_dual_add_f32 v24, v24, v10 :: v_dual_mul_f32 v11, v11, v27
	v_cndmask_b32_e32 v28, 0, v30, vcc_lo
	v_cmp_nlt_f32_e32 vcc_lo, 0x42b17218, v37
	v_cvt_i32_f32_e32 v27, v86
	v_ldexp_f32 v53, v53, v84
	v_add_f32_e32 v24, v24, v11
	s_waitcnt vmcnt(3)
	v_mul_f32_e32 v12, v12, v28
	v_cndmask_b32_e32 v25, 0x7f800000, v52, vcc_lo
	v_cmp_ngt_f32_e32 vcc_lo, 0xc2ce8ed0, v38
	s_delay_alu instid0(VALU_DEP_3)
	v_add_f32_e32 v24, v24, v12
	v_cndmask_b32_e32 v26, 0, v53, vcc_lo
	v_cmp_lt_i32_e32 vcc_lo, 0x1a0, v19
	v_cndmask_b32_e32 v25, 0, v25, vcc_lo
	v_cmp_nlt_f32_e32 vcc_lo, 0x42b17218, v38
	s_waitcnt vmcnt(2)
	s_delay_alu instid0(VALU_DEP_2) | instskip(SKIP_2) | instid1(VALU_DEP_3)
	v_dual_mul_f32 v17, v17, v25 :: v_dual_cndmask_b32 v26, 0x7f800000, v26
	v_cmp_lt_i32_e32 vcc_lo, 0x1c0, v19
	v_ldexp_f32 v25, v54, v27
	v_add_f32_e32 v24, v24, v17
	s_delay_alu instid0(VALU_DEP_4) | instskip(SKIP_2) | instid1(VALU_DEP_2)
	v_cndmask_b32_e32 v26, 0, v26, vcc_lo
	v_cmp_ngt_f32_e32 vcc_lo, 0xc2ce8ed0, v23
	s_waitcnt vmcnt(1)
	v_dual_mul_f32 v18, v18, v26 :: v_dual_cndmask_b32 v25, 0, v25
	v_cmp_nlt_f32_e32 vcc_lo, 0x42b17218, v23
	s_delay_alu instid0(VALU_DEP_2) | instskip(SKIP_1) | instid1(VALU_DEP_2)
	v_cndmask_b32_e32 v23, 0x7f800000, v25, vcc_lo
	v_cmp_lt_i32_e32 vcc_lo, 0x1e0, v19
	v_cndmask_b32_e32 v19, 0, v23, vcc_lo
	v_add_f32_e32 v23, v24, v18
	s_waitcnt vmcnt(0)
	s_delay_alu instid0(VALU_DEP_1)
	v_fmac_f32_e32 v23, v14, v19
	ds_bpermute_b32 v1, v1, v23
	s_waitcnt lgkmcnt(0)
	v_add_f32_e32 v1, v23, v1
	ds_bpermute_b32 v4, v4, v1
	s_waitcnt lgkmcnt(0)
	v_dual_add_f32 v1, v1, v4 :: v_dual_mul_f32 v4, v14, v19
	ds_bpermute_b32 v3, v3, v1
	s_waitcnt lgkmcnt(0)
	v_add_f32_e32 v1, v1, v3
	v_lshlrev_b32_e32 v3, 2, v0
	ds_bpermute_b32 v2, v2, v1
	ds_store_2addr_b32 v3, v20, v21 offset1:32
	s_waitcnt lgkmcnt(1)
	v_add_f32_e32 v1, v1, v2
	ds_bpermute_b32 v2, v13, v1
	v_add_nc_u32_e32 v13, 0x400, v3
	ds_store_2addr_b32 v3, v22, v15 offset0:64 offset1:96
	ds_store_2addr_b32 v3, v16, v5 offset0:128 offset1:160
	;; [unrolled: 1-line block ×3, first 2 shown]
	ds_store_2addr_b32 v13, v8, v9 offset1:32
	ds_store_2addr_b32 v13, v10, v11 offset0:64 offset1:96
	ds_store_2addr_b32 v13, v12, v17 offset0:128 offset1:160
	;; [unrolled: 1-line block ×3, first 2 shown]
	v_cmpx_eq_u32_e32 0, v0
	s_cbranch_execz .LBB669_8
; %bb.7:
	s_waitcnt lgkmcnt(7)
	v_dual_add_f32 v1, v1, v2 :: v_dual_mov_b32 v2, 0
	ds_store_b32 v2, v1 offset:2048
.LBB669_8:
	s_or_b32 exec_lo, exec_lo, s7
	v_mov_b32_e32 v1, s6
.LBB669_9:
	s_or_b32 exec_lo, exec_lo, s24
	s_lshl_b32 s6, s18, 7
	s_mov_b32 s7, 0
	s_waitcnt lgkmcnt(7)
	v_dual_mov_b32 v2, 0 :: v_dual_lshlrev_b32 v1, 7, v1
	s_lshl_b64 s[6:7], s[6:7], 1
	v_lshlrev_b32_e32 v0, 1, v0
	s_add_u32 s34, s4, s6
	s_addc_u32 s35, s5, s7
	s_lshl_b32 s41, s40, 7
	v_lshlrev_b64 v[3:4], 1, v[1:2]
	s_add_i32 s42, s41, 0xffffff80
	s_cmpk_lt_i32 s22, 0x100
	v_dual_mov_b32 v30, 0 :: v_dual_mov_b32 v33, 0
	s_cselect_b32 s4, s42, 0
	s_delay_alu instid0(VALU_DEP_2)
	v_add_co_u32 v1, vcc_lo, s34, v3
	s_ashr_i32 s5, s4, 31
	v_add_co_ci_u32_e32 v3, vcc_lo, s35, v4, vcc_lo
	s_lshl_b64 s[4:5], s[4:5], 1
	s_cmpk_lt_i32 s22, 0x200
	v_add_co_u32 v1, vcc_lo, v1, v0
	s_cselect_b32 s6, s42, 0x80
	v_add_co_ci_u32_e32 v3, vcc_lo, 0, v3, vcc_lo
	s_ashr_i32 s7, s6, 31
	s_delay_alu instid0(VALU_DEP_2)
	v_add_co_u32 v4, vcc_lo, v1, s4
	s_lshl_b64 s[6:7], s[6:7], 1
	s_cmpk_lt_i32 s22, 0x300
	v_add_co_ci_u32_e32 v5, vcc_lo, s5, v3, vcc_lo
	s_cselect_b32 s8, s42, 0x100
	v_add_co_u32 v6, vcc_lo, v1, s6
	s_ashr_i32 s9, s8, 31
	v_add_co_ci_u32_e32 v7, vcc_lo, s7, v3, vcc_lo
	s_lshl_b64 s[8:9], s[8:9], 1
	s_cmpk_lt_i32 s22, 0x400
	v_add_co_u32 v8, vcc_lo, v1, s8
	s_cselect_b32 s10, s42, 0x180
	v_add_co_ci_u32_e32 v9, vcc_lo, s9, v3, vcc_lo
	s_ashr_i32 s11, s10, 31
	v_dual_mov_b32 v32, 0 :: v_dual_mov_b32 v35, 0
	s_lshl_b64 s[10:11], s[10:11], 1
	s_cmpk_lt_i32 s22, 0x500
	v_add_co_u32 v11, vcc_lo, v1, s10
	s_cselect_b32 s18, s42, 0x200
	v_add_co_ci_u32_e32 v12, vcc_lo, s11, v3, vcc_lo
	s_ashr_i32 s19, s18, 31
	v_mov_b32_e32 v34, 0
	s_lshl_b64 s[18:19], s[18:19], 1
	s_cmpk_lt_i32 s22, 0x600
	v_add_co_u32 v14, vcc_lo, v1, s18
	s_cselect_b32 s20, s42, 0x280
	v_add_co_ci_u32_e32 v15, vcc_lo, s19, v3, vcc_lo
	s_ashr_i32 s21, s20, 31
	v_mov_b32_e32 v31, 0
	s_lshl_b64 s[20:21], s[20:21], 1
	s_cmpk_lt_i32 s22, 0x700
	v_add_co_u32 v16, vcc_lo, v1, s20
	s_cselect_b32 s24, s42, 0x300
	v_add_co_ci_u32_e32 v17, vcc_lo, s21, v3, vcc_lo
	s_ashr_i32 s25, s24, 31
	s_delay_alu instid0(SALU_CYCLE_1)
	s_lshl_b64 s[24:25], s[24:25], 1
	s_cmpk_lt_i32 s22, 0x800
	v_add_co_u32 v18, vcc_lo, v1, s24
	s_cselect_b32 s26, s42, 0x380
	v_add_co_ci_u32_e32 v19, vcc_lo, s25, v3, vcc_lo
	s_ashr_i32 s27, s26, 31
	s_delay_alu instid0(SALU_CYCLE_1)
	s_lshl_b64 s[26:27], s[26:27], 1
	s_cmpk_lt_i32 s22, 0x900
	v_add_co_u32 v20, vcc_lo, v1, s26
	s_cselect_b32 s28, s42, 0x400
	v_add_co_ci_u32_e32 v21, vcc_lo, s27, v3, vcc_lo
	s_ashr_i32 s29, s28, 31
	s_clause 0x7
	global_load_u16 v13, v[4:5], off
	global_load_u16 v4, v[6:7], off
	;; [unrolled: 1-line block ×8, first 2 shown]
	s_lshl_b64 s[28:29], s[28:29], 1
	s_cmpk_lt_i32 s22, 0xa00
	v_add_co_u32 v11, vcc_lo, v1, s28
	s_cselect_b32 s30, s42, 0x480
	v_add_co_ci_u32_e32 v12, vcc_lo, s29, v3, vcc_lo
	s_ashr_i32 s31, s30, 31
	s_delay_alu instid0(SALU_CYCLE_1)
	s_lshl_b64 s[30:31], s[30:31], 1
	s_cmpk_lt_i32 s22, 0xb00
	v_add_co_u32 v14, vcc_lo, v1, s30
	s_cselect_b32 s34, s42, 0x500
	v_add_co_ci_u32_e32 v15, vcc_lo, s31, v3, vcc_lo
	s_ashr_i32 s35, s34, 31
	s_delay_alu instid0(SALU_CYCLE_1)
	;; [unrolled: 7-line block ×7, first 2 shown]
	s_lshl_b64 s[4:5], s[6:7], 1
	s_cmpk_gt_i32 s23, 0x1000
	v_add_co_u32 v28, vcc_lo, v1, s4
	v_add_co_ci_u32_e32 v29, vcc_lo, s5, v3, vcc_lo
	s_clause 0x7
	global_load_u16 v19, v[11:12], off
	global_load_u16 v18, v[14:15], off
	;; [unrolled: 1-line block ×8, first 2 shown]
	v_dual_mov_b32 v20, 0 :: v_dual_mov_b32 v23, 0
	v_dual_mov_b32 v21, 0 :: v_dual_mov_b32 v22, 0
	;; [unrolled: 1-line block ×5, first 2 shown]
	s_cselect_b32 s6, -1, 0
	s_cmpk_lt_i32 s23, 0x1001
	s_waitcnt vmcnt(0) lgkmcnt(0)
	s_barrier
	buffer_gl0_inv
	s_cbranch_scc1 .LBB669_11
; %bb.10:
	s_cmpk_lt_i32 s22, 0x1100
	s_cselect_b32 s4, s42, 0x800
	s_delay_alu instid0(SALU_CYCLE_1) | instskip(NEXT) | instid1(SALU_CYCLE_1)
	s_ashr_i32 s5, s4, 31
	s_lshl_b64 s[4:5], s[4:5], 1
	s_cmpk_lt_i32 s22, 0x1200
	v_add_co_u32 v20, vcc_lo, v1, s4
	s_cselect_b32 s8, s42, 0x880
	v_add_co_ci_u32_e32 v21, vcc_lo, s5, v3, vcc_lo
	s_ashr_i32 s9, s8, 31
	s_delay_alu instid0(SALU_CYCLE_1)
	s_lshl_b64 s[8:9], s[8:9], 1
	s_cmpk_lt_i32 s22, 0x1300
	v_add_co_u32 v22, vcc_lo, v1, s8
	s_cselect_b32 s10, s42, 0x900
	v_add_co_ci_u32_e32 v23, vcc_lo, s9, v3, vcc_lo
	s_ashr_i32 s11, s10, 31
	s_delay_alu instid0(SALU_CYCLE_1)
	;; [unrolled: 7-line block ×14, first 2 shown]
	s_lshl_b64 s[4:5], s[18:19], 1
	s_cmpk_lt_i32 s22, 0x2000
	v_add_co_u32 v48, vcc_lo, v1, s4
	s_cselect_b32 s8, s42, 0xf80
	v_add_co_ci_u32_e32 v49, vcc_lo, s5, v3, vcc_lo
	s_ashr_i32 s9, s8, 31
	s_delay_alu instid0(SALU_CYCLE_1) | instskip(NEXT) | instid1(SALU_CYCLE_1)
	s_lshl_b64 s[4:5], s[8:9], 1
	v_add_co_u32 v50, vcc_lo, v1, s4
	v_add_co_ci_u32_e32 v51, vcc_lo, s5, v3, vcc_lo
	s_clause 0xf
	global_load_u16 v20, v[20:21], off
	global_load_u16 v21, v[22:23], off
	;; [unrolled: 1-line block ×16, first 2 shown]
	s_waitcnt vmcnt(15)
	v_lshlrev_b32_e32 v35, 16, v20
	s_waitcnt vmcnt(14)
	v_lshlrev_b32_e32 v34, 16, v21
	;; [unrolled: 2-line block ×16, first 2 shown]
.LBB669_11:
	ds_load_b128 v[36:39], v2
	ds_load_b128 v[40:43], v2 offset:16
	v_lshlrev_b32_e32 v44, 16, v4
	v_lshlrev_b32_e32 v13, 16, v13
	;; [unrolled: 1-line block ×5, first 2 shown]
	s_load_b64 s[0:1], s[0:1], 0x0
	s_and_b32 vcc_lo, exec_lo, s6
	v_lshlrev_b32_e32 v5, 16, v5
	s_waitcnt lgkmcnt(0)
	v_fma_f32 v4, v36, v13, 0
	s_delay_alu instid0(VALU_DEP_1) | instskip(NEXT) | instid1(VALU_DEP_1)
	v_dual_fmac_f32 v4, v37, v44 :: v_dual_lshlrev_b32 v13, 16, v7
	v_dual_fmac_f32 v4, v38, v10 :: v_dual_lshlrev_b32 v9, 16, v9
	s_delay_alu instid0(VALU_DEP_1) | instskip(SKIP_4) | instid1(VALU_DEP_1)
	v_fmac_f32_e32 v4, v39, v9
	ds_load_b128 v[36:39], v2 offset:48
	v_fmac_f32_e32 v4, v40, v8
	ds_load_b128 v[7:10], v2 offset:32
	v_fmac_f32_e32 v4, v41, v13
	v_fmac_f32_e32 v4, v42, v6
	v_lshlrev_b32_e32 v6, 16, v19
	s_delay_alu instid0(VALU_DEP_2) | instskip(SKIP_1) | instid1(VALU_DEP_1)
	v_dual_fmac_f32 v4, v43, v5 :: v_dual_lshlrev_b32 v5, 16, v18
	s_waitcnt lgkmcnt(0)
	v_fmac_f32_e32 v4, v7, v6
	v_lshlrev_b32_e32 v6, 16, v17
	s_delay_alu instid0(VALU_DEP_2) | instskip(NEXT) | instid1(VALU_DEP_1)
	v_dual_fmac_f32 v4, v8, v5 :: v_dual_lshlrev_b32 v5, 16, v16
	v_fmac_f32_e32 v4, v9, v6
	v_lshlrev_b32_e32 v6, 16, v15
	s_delay_alu instid0(VALU_DEP_2) | instskip(NEXT) | instid1(VALU_DEP_1)
	v_dual_fmac_f32 v4, v10, v5 :: v_dual_lshlrev_b32 v5, 16, v14
	;; [unrolled: 4-line block ×3, first 2 shown]
	v_fmac_f32_e32 v4, v38, v6
	s_delay_alu instid0(VALU_DEP_1)
	v_fmac_f32_e32 v4, v39, v5
	s_cbranch_vccz .LBB669_13
; %bb.12:
	ds_load_b128 v[5:8], v2 offset:64
	ds_load_b128 v[9:12], v2 offset:80
	s_waitcnt lgkmcnt(1)
	v_fmac_f32_e32 v4, v5, v35
	s_delay_alu instid0(VALU_DEP_1) | instskip(NEXT) | instid1(VALU_DEP_1)
	v_fmac_f32_e32 v4, v6, v34
	v_fmac_f32_e32 v4, v7, v33
	s_delay_alu instid0(VALU_DEP_1) | instskip(SKIP_3) | instid1(VALU_DEP_1)
	v_fmac_f32_e32 v4, v8, v32
	ds_load_b128 v[5:8], v2 offset:96
	s_waitcnt lgkmcnt(1)
	v_fmac_f32_e32 v4, v9, v31
	v_fmac_f32_e32 v4, v10, v30
	s_delay_alu instid0(VALU_DEP_1) | instskip(NEXT) | instid1(VALU_DEP_1)
	v_fmac_f32_e32 v4, v11, v29
	v_fmac_f32_e32 v4, v12, v28
	ds_load_b128 v[9:12], v2 offset:112
	s_waitcnt lgkmcnt(1)
	v_fmac_f32_e32 v4, v5, v27
	s_delay_alu instid0(VALU_DEP_1) | instskip(NEXT) | instid1(VALU_DEP_1)
	v_fmac_f32_e32 v4, v6, v26
	v_fmac_f32_e32 v4, v7, v25
	s_delay_alu instid0(VALU_DEP_1) | instskip(SKIP_1) | instid1(VALU_DEP_1)
	v_fmac_f32_e32 v4, v8, v24
	s_waitcnt lgkmcnt(0)
	v_fmac_f32_e32 v4, v9, v23
	s_delay_alu instid0(VALU_DEP_1) | instskip(NEXT) | instid1(VALU_DEP_1)
	v_fmac_f32_e32 v4, v10, v22
	v_fmac_f32_e32 v4, v11, v21
	s_delay_alu instid0(VALU_DEP_1)
	v_fmac_f32_e32 v4, v12, v20
.LBB669_13:
	s_movk_i32 s43, 0x1f80
	s_movk_i32 s44, 0x80
	s_mov_b32 s45, 32
	s_branch .LBB669_15
.LBB669_14:                             ;   in Loop: Header=BB669_15 Depth=1
	s_addk_i32 s43, 0x1000
	s_addk_i32 s44, 0x80
	s_add_i32 s45, s45, 32
	s_cmp_eq_u32 s43, 0x10f80
	s_cbranch_scc1 .LBB669_17
.LBB669_15:                             ; =>This Inner Loop Header: Depth=1
	s_cmp_le_i32 s40, s45
	s_cbranch_scc1 .LBB669_14
; %bb.16:                               ;   in Loop: Header=BB669_15 Depth=1
	s_add_i32 s4, s43, 0xfffff080
	v_mov_b32_e32 v44, s44
	s_cmp_lt_i32 s4, s41
	s_cselect_b32 s4, s4, s42
	s_add_i32 s6, s43, 0xfffff100
	s_ashr_i32 s5, s4, 31
	s_delay_alu instid0(SALU_CYCLE_1)
	s_lshl_b64 s[38:39], s[4:5], 1
	s_cmp_lt_i32 s6, s41
	v_add_co_u32 v5, vcc_lo, v1, s38
	s_cselect_b32 s4, s6, s42
	s_add_i32 s6, s43, 0xfffff180
	s_ashr_i32 s5, s4, 31
	v_add_co_ci_u32_e32 v6, vcc_lo, s39, v3, vcc_lo
	s_lshl_b64 s[4:5], s[4:5], 1
	s_cmp_lt_i32 s6, s41
	s_cselect_b32 s6, s6, s42
	s_add_i32 s8, s43, 0xfffff200
	s_ashr_i32 s7, s6, 31
	global_load_u16 v2, v[5:6], off
	s_lshl_b64 s[6:7], s[6:7], 1
	s_cmp_lt_i32 s8, s41
	v_add_co_u32 v5, vcc_lo, v1, s4
	s_cselect_b32 s8, s8, s42
	s_add_i32 s10, s43, 0xfffff280
	s_ashr_i32 s9, s8, 31
	v_add_co_ci_u32_e32 v6, vcc_lo, s5, v3, vcc_lo
	s_lshl_b64 s[8:9], s[8:9], 1
	s_cmp_lt_i32 s10, s41
	v_add_co_u32 v7, vcc_lo, v1, s6
	s_cselect_b32 s10, s10, s42
	s_add_i32 s18, s43, 0xfffff300
	s_ashr_i32 s11, s10, 31
	v_add_co_ci_u32_e32 v8, vcc_lo, s7, v3, vcc_lo
	s_lshl_b64 s[10:11], s[10:11], 1
	s_cmp_lt_i32 s18, s41
	v_add_co_u32 v9, vcc_lo, v1, s8
	s_cselect_b32 s18, s18, s42
	s_add_i32 s20, s43, 0xfffff380
	s_ashr_i32 s19, s18, 31
	s_clause 0x1
	global_load_u16 v23, v[5:6], off
	global_load_u16 v24, v[7:8], off
	s_lshl_b64 s[18:19], s[18:19], 1
	s_cmp_lt_i32 s20, s41
	v_add_co_ci_u32_e32 v10, vcc_lo, s9, v3, vcc_lo
	s_cselect_b32 s20, s20, s42
	s_add_i32 s22, s43, 0xfffff400
	s_ashr_i32 s21, s20, 31
	global_load_u16 v25, v[9:10], off
	s_lshl_b64 s[20:21], s[20:21], 1
	s_cmp_lt_i32 s22, s41
	v_add_co_u32 v11, vcc_lo, v1, s10
	s_cselect_b32 s22, s22, s42
	s_add_i32 s24, s43, 0xfffff480
	s_ashr_i32 s23, s22, 31
	v_add_co_ci_u32_e32 v12, vcc_lo, s11, v3, vcc_lo
	s_lshl_b64 s[22:23], s[22:23], 1
	s_cmp_lt_i32 s24, s41
	v_add_co_u32 v13, vcc_lo, v1, s18
	global_load_u16 v26, v[11:12], off
	s_cselect_b32 s24, s24, s42
	s_add_i32 s26, s43, 0xfffff500
	s_ashr_i32 s25, s24, 31
	v_add_co_ci_u32_e32 v14, vcc_lo, s19, v3, vcc_lo
	s_lshl_b64 s[24:25], s[24:25], 1
	s_cmp_lt_i32 s26, s41
	v_add_co_u32 v15, vcc_lo, v1, s20
	global_load_u16 v27, v[13:14], off
	s_cselect_b32 s26, s26, s42
	s_add_i32 s28, s43, 0xfffff580
	s_ashr_i32 s27, s26, 31
	v_add_co_ci_u32_e32 v16, vcc_lo, s21, v3, vcc_lo
	s_lshl_b64 s[36:37], s[26:27], 1
	s_cmp_lt_i32 s28, s41
	v_add_co_u32 v17, vcc_lo, v1, s22
	s_cselect_b32 s26, s28, s42
	s_add_i32 s30, s43, 0xfffff600
	s_ashr_i32 s27, s26, 31
	v_add_co_ci_u32_e32 v18, vcc_lo, s23, v3, vcc_lo
	s_lshl_b64 s[28:29], s[26:27], 1
	s_cmp_lt_i32 s30, s41
	v_add_co_u32 v19, vcc_lo, v1, s24
	global_load_u16 v17, v[17:18], off
	s_cselect_b32 s26, s30, s42
	s_add_i32 s30, s43, 0xfffff680
	s_ashr_i32 s27, s26, 31
	v_add_co_ci_u32_e32 v20, vcc_lo, s25, v3, vcc_lo
	s_lshl_b64 s[26:27], s[26:27], 1
	s_cmp_lt_i32 s30, s41
	v_add_co_u32 v21, vcc_lo, v1, s36
	s_cselect_b32 s30, s30, s42
	s_add_i32 s46, s43, 0xfffff700
	s_ashr_i32 s31, s30, 31
	v_add_co_ci_u32_e32 v22, vcc_lo, s37, v3, vcc_lo
	s_lshl_b64 s[34:35], s[30:31], 1
	s_cmp_lt_i32 s46, s41
	v_add_co_u32 v5, vcc_lo, v1, s28
	;; [unrolled: 7-line block ×3, first 2 shown]
	s_cselect_b32 s46, s46, s42
	s_add_i32 s48, s43, 0xfffff800
	s_ashr_i32 s47, s46, 31
	global_load_u16 v28, v[15:16], off
	s_lshl_b64 s[38:39], s[46:47], 1
	s_cmp_lt_i32 s48, s41
	v_add_co_ci_u32_e32 v8, vcc_lo, s27, v3, vcc_lo
	s_cselect_b32 s46, s48, s42
	v_add_co_u32 v9, vcc_lo, v1, s34
	s_ashr_i32 s47, s46, 31
	s_add_i32 s4, s43, 0xfffff880
	s_lshl_b64 s[46:47], s[46:47], 1
	v_add_co_ci_u32_e32 v10, vcc_lo, s35, v3, vcc_lo
	s_cmp_lt_i32 s4, s41
	v_add_co_u32 v11, vcc_lo, v1, s30
	s_cselect_b32 s4, s4, s42
	v_add_co_ci_u32_e32 v12, vcc_lo, s31, v3, vcc_lo
	v_add_co_u32 v13, vcc_lo, v1, s38
	s_ashr_i32 s5, s4, 31
	s_add_i32 s6, s43, 0xfffff900
	v_add_co_ci_u32_e32 v14, vcc_lo, s39, v3, vcc_lo
	global_load_u16 v18, v[19:20], off
	s_lshl_b64 s[8:9], s[4:5], 1
	s_cmp_lt_i32 s6, s41
	global_load_u16 v30, v[13:14], off
	s_cselect_b32 s4, s6, s42
	global_load_u16 v19, v[21:22], off
	s_ashr_i32 s5, s4, 31
	s_add_i32 s6, s43, 0xfffff980
	s_lshl_b64 s[10:11], s[4:5], 1
	s_cmp_lt_i32 s6, s41
	s_clause 0x3
	global_load_u16 v20, v[5:6], off
	global_load_u16 v21, v[7:8], off
	;; [unrolled: 1-line block ×4, first 2 shown]
	s_cselect_b32 s4, s6, s42
	s_add_i32 s6, s43, 0xfffffa00
	s_ashr_i32 s5, s4, 31
	v_add_co_u32 v15, vcc_lo, v1, s46
	s_lshl_b64 s[4:5], s[4:5], 1
	s_cmp_lt_i32 s6, s41
	v_add_co_ci_u32_e32 v16, vcc_lo, s47, v3, vcc_lo
	s_cselect_b32 s6, s6, s42
	s_add_i32 s18, s43, 0xfffffa80
	s_ashr_i32 s7, s6, 31
	v_add_co_u32 v5, vcc_lo, v1, s8
	s_lshl_b64 s[6:7], s[6:7], 1
	s_cmp_lt_i32 s18, s41
	v_add_co_ci_u32_e32 v6, vcc_lo, s9, v3, vcc_lo
	s_cselect_b32 s18, s18, s42
	v_add_co_u32 v7, vcc_lo, v1, s10
	s_ashr_i32 s19, s18, 31
	s_add_i32 s20, s43, 0xfffffb00
	s_lshl_b64 s[18:19], s[18:19], 1
	v_add_co_ci_u32_e32 v8, vcc_lo, s11, v3, vcc_lo
	s_cmp_lt_i32 s20, s41
	v_add_co_u32 v9, vcc_lo, v1, s4
	s_cselect_b32 s20, s20, s42
	v_add_co_ci_u32_e32 v10, vcc_lo, s5, v3, vcc_lo
	v_add_co_u32 v11, vcc_lo, v1, s6
	s_ashr_i32 s21, s20, 31
	s_add_i32 s22, s43, 0xfffffb80
	v_add_co_ci_u32_e32 v12, vcc_lo, s7, v3, vcc_lo
	global_load_u16 v15, v[15:16], off
	s_lshl_b64 s[20:21], s[20:21], 1
	s_cmp_lt_i32 s22, s41
	global_load_u16 v33, v[11:12], off
	s_cselect_b32 s22, s22, s42
	s_clause 0x2
	global_load_u16 v16, v[5:6], off
	global_load_u16 v31, v[7:8], off
	;; [unrolled: 1-line block ×3, first 2 shown]
	s_ashr_i32 s23, s22, 31
	s_add_i32 s24, s43, 0xfffffc00
	s_lshl_b64 s[22:23], s[22:23], 1
	s_cmp_lt_i32 s24, s41
	v_add_co_u32 v13, vcc_lo, v1, s18
	s_cselect_b32 s24, s24, s42
	s_add_i32 s26, s43, 0xfffffc80
	s_ashr_i32 s25, s24, 31
	v_add_co_ci_u32_e32 v14, vcc_lo, s19, v3, vcc_lo
	s_lshl_b64 s[24:25], s[24:25], 1
	s_cmp_lt_i32 s26, s41
	v_add_co_u32 v5, vcc_lo, v1, s20
	s_cselect_b32 s8, s26, s42
	v_add_co_ci_u32_e32 v6, vcc_lo, s21, v3, vcc_lo
	s_ashr_i32 s9, s8, 31
	v_add_co_u32 v7, vcc_lo, v1, s22
	s_add_i32 s10, s43, 0xfffffd00
	s_lshl_b64 s[8:9], s[8:9], 1
	v_add_co_ci_u32_e32 v8, vcc_lo, s23, v3, vcc_lo
	s_cmp_lt_i32 s10, s41
	v_add_co_u32 v9, vcc_lo, v1, s24
	s_cselect_b32 s4, s10, s42
	global_load_u16 v13, v[13:14], off
	v_add_co_ci_u32_e32 v10, vcc_lo, s25, v3, vcc_lo
	s_ashr_i32 s5, s4, 31
	s_add_i32 s6, s43, 0xfffffd80
	s_lshl_b64 s[4:5], s[4:5], 1
	global_load_u16 v35, v[9:10], off
	s_cmp_lt_i32 s6, s41
	s_clause 0x1
	global_load_u16 v14, v[5:6], off
	global_load_u16 v34, v[7:8], off
	s_cselect_b32 s6, s6, s42
	s_add_i32 s10, s43, 0xfffffe00
	s_ashr_i32 s7, s6, 31
	v_add_co_u32 v5, vcc_lo, v1, s8
	s_lshl_b64 s[6:7], s[6:7], 1
	s_cmp_lt_i32 s10, s41
	v_add_co_ci_u32_e32 v6, vcc_lo, s9, v3, vcc_lo
	s_cselect_b32 s10, s10, s42
	v_add_co_u32 v7, vcc_lo, v1, s4
	s_ashr_i32 s11, s10, 31
	v_add_co_ci_u32_e32 v8, vcc_lo, s5, v3, vcc_lo
	s_add_i32 s18, s43, 0xfffffe80
	s_lshl_b64 s[10:11], s[10:11], 1
	s_cmp_lt_i32 s18, s41
	s_clause 0x1
	global_load_u16 v36, v[5:6], off
	global_load_u16 v37, v[7:8], off
	s_cselect_b32 s18, s18, s42
	v_add_co_u32 v5, vcc_lo, v1, s6
	s_ashr_i32 s19, s18, 31
	v_add_co_ci_u32_e32 v6, vcc_lo, s7, v3, vcc_lo
	s_add_i32 s20, s43, 0xffffff00
	v_add_co_u32 v7, vcc_lo, v1, s10
	s_lshl_b64 s[8:9], s[18:19], 1
	s_cmp_lt_i32 s20, s41
	v_add_co_ci_u32_e32 v8, vcc_lo, s11, v3, vcc_lo
	s_cselect_b32 s4, s20, s42
	global_load_u16 v38, v[5:6], off
	s_ashr_i32 s5, s4, 31
	global_load_u16 v39, v[7:8], off
	s_add_i32 s18, s43, 0xffffff80
	v_add_co_u32 v5, vcc_lo, v1, s8
	s_lshl_b64 s[4:5], s[4:5], 1
	s_cmp_lt_i32 s18, s41
	v_add_co_ci_u32_e32 v6, vcc_lo, s9, v3, vcc_lo
	v_add_co_u32 v7, vcc_lo, v1, s4
	s_cselect_b32 s6, s18, s42
	v_add_co_ci_u32_e32 v8, vcc_lo, s5, v3, vcc_lo
	s_ashr_i32 s7, s6, 31
	global_load_u16 v40, v[5:6], off
	s_lshl_b64 s[6:7], s[6:7], 1
	global_load_u16 v41, v[7:8], off
	s_cmp_lt_i32 s43, s41
	v_add_co_u32 v5, vcc_lo, v1, s6
	s_cselect_b32 s4, s43, s42
	v_add_co_ci_u32_e32 v6, vcc_lo, s7, v3, vcc_lo
	s_ashr_i32 s5, s4, 31
	s_delay_alu instid0(SALU_CYCLE_1)
	s_lshl_b64 s[4:5], s[4:5], 1
	global_load_u16 v42, v[5:6], off
	v_add_co_u32 v5, vcc_lo, v1, s4
	v_add_co_ci_u32_e32 v6, vcc_lo, s5, v3, vcc_lo
	global_load_u16 v43, v[5:6], off
	ds_load_b128 v[5:8], v44
	ds_load_b128 v[9:12], v44 offset:16
	s_waitcnt vmcnt(31)
	v_lshlrev_b32_e32 v2, 16, v2
	s_waitcnt lgkmcnt(1)
	s_delay_alu instid0(VALU_DEP_1) | instskip(SKIP_2) | instid1(VALU_DEP_1)
	v_fmac_f32_e32 v4, v5, v2
	s_waitcnt vmcnt(30)
	v_lshlrev_b32_e32 v2, 16, v23
	v_fmac_f32_e32 v4, v6, v2
	s_waitcnt vmcnt(29)
	v_lshlrev_b32_e32 v2, 16, v24
	s_delay_alu instid0(VALU_DEP_1) | instskip(SKIP_2) | instid1(VALU_DEP_1)
	v_fmac_f32_e32 v4, v7, v2
	s_waitcnt vmcnt(28)
	v_lshlrev_b32_e32 v2, 16, v25
	v_fmac_f32_e32 v4, v8, v2
	ds_load_b128 v[5:8], v44 offset:32
	s_waitcnt vmcnt(27)
	v_lshlrev_b32_e32 v2, 16, v26
	s_waitcnt lgkmcnt(1)
	s_delay_alu instid0(VALU_DEP_1) | instskip(SKIP_2) | instid1(VALU_DEP_1)
	v_fmac_f32_e32 v4, v9, v2
	s_waitcnt vmcnt(26)
	v_lshlrev_b32_e32 v2, 16, v27
	v_fmac_f32_e32 v4, v10, v2
	s_waitcnt vmcnt(24)
	v_lshlrev_b32_e32 v2, 16, v28
	s_delay_alu instid0(VALU_DEP_1) | instskip(SKIP_1) | instid1(VALU_DEP_1)
	v_fmac_f32_e32 v4, v11, v2
	v_lshlrev_b32_e32 v2, 16, v17
	v_fmac_f32_e32 v4, v12, v2
	ds_load_b128 v[9:12], v44 offset:48
	s_waitcnt vmcnt(23)
	v_lshlrev_b32_e32 v2, 16, v18
	s_waitcnt lgkmcnt(1)
	s_delay_alu instid0(VALU_DEP_1) | instskip(SKIP_2) | instid1(VALU_DEP_1)
	v_fmac_f32_e32 v4, v5, v2
	s_waitcnt vmcnt(21)
	v_lshlrev_b32_e32 v2, 16, v19
	v_fmac_f32_e32 v4, v6, v2
	s_waitcnt vmcnt(20)
	v_lshlrev_b32_e32 v2, 16, v20
	s_delay_alu instid0(VALU_DEP_1) | instskip(SKIP_2) | instid1(VALU_DEP_1)
	v_fmac_f32_e32 v4, v7, v2
	s_waitcnt vmcnt(19)
	v_lshlrev_b32_e32 v2, 16, v21
	v_fmac_f32_e32 v4, v8, v2
	s_waitcnt vmcnt(18)
	v_lshlrev_b32_e32 v2, 16, v22
	ds_load_b128 v[5:8], v44 offset:64
	s_waitcnt lgkmcnt(1)
	v_fmac_f32_e32 v4, v9, v2
	s_waitcnt vmcnt(17)
	v_lshlrev_b32_e32 v2, 16, v29
	s_delay_alu instid0(VALU_DEP_1) | instskip(SKIP_1) | instid1(VALU_DEP_1)
	v_fmac_f32_e32 v4, v10, v2
	v_lshlrev_b32_e32 v2, 16, v30
	v_fmac_f32_e32 v4, v11, v2
	s_waitcnt vmcnt(16)
	v_lshlrev_b32_e32 v2, 16, v15
	s_delay_alu instid0(VALU_DEP_1) | instskip(SKIP_4) | instid1(VALU_DEP_1)
	v_fmac_f32_e32 v4, v12, v2
	ds_load_b128 v[9:12], v44 offset:80
	s_waitcnt vmcnt(14)
	v_lshlrev_b32_e32 v2, 16, v16
	s_waitcnt lgkmcnt(1)
	v_fmac_f32_e32 v4, v5, v2
	s_waitcnt vmcnt(13)
	v_lshlrev_b32_e32 v2, 16, v31
	s_delay_alu instid0(VALU_DEP_1) | instskip(SKIP_2) | instid1(VALU_DEP_1)
	v_fmac_f32_e32 v4, v6, v2
	s_waitcnt vmcnt(12)
	v_lshlrev_b32_e32 v2, 16, v32
	v_fmac_f32_e32 v4, v7, v2
	v_lshlrev_b32_e32 v2, 16, v33
	s_delay_alu instid0(VALU_DEP_1) | instskip(SKIP_4) | instid1(VALU_DEP_1)
	v_fmac_f32_e32 v4, v8, v2
	ds_load_b128 v[5:8], v44 offset:96
	s_waitcnt vmcnt(11)
	v_lshlrev_b32_e32 v2, 16, v13
	s_waitcnt lgkmcnt(1)
	v_fmac_f32_e32 v4, v9, v2
	s_waitcnt vmcnt(9)
	v_lshlrev_b32_e32 v2, 16, v14
	s_delay_alu instid0(VALU_DEP_1) | instskip(SKIP_2) | instid1(VALU_DEP_1)
	v_fmac_f32_e32 v4, v10, v2
	s_waitcnt vmcnt(8)
	v_lshlrev_b32_e32 v2, 16, v34
	v_fmac_f32_e32 v4, v11, v2
	v_lshlrev_b32_e32 v2, 16, v35
	s_delay_alu instid0(VALU_DEP_1) | instskip(SKIP_4) | instid1(VALU_DEP_1)
	v_fmac_f32_e32 v4, v12, v2
	ds_load_b128 v[9:12], v44 offset:112
	s_waitcnt vmcnt(7)
	v_lshlrev_b32_e32 v2, 16, v36
	s_waitcnt lgkmcnt(1)
	v_fmac_f32_e32 v4, v5, v2
	s_waitcnt vmcnt(6)
	v_lshlrev_b32_e32 v2, 16, v37
	s_delay_alu instid0(VALU_DEP_1) | instskip(SKIP_2) | instid1(VALU_DEP_1)
	v_fmac_f32_e32 v4, v6, v2
	s_waitcnt vmcnt(5)
	v_lshlrev_b32_e32 v2, 16, v38
	v_fmac_f32_e32 v4, v7, v2
	s_waitcnt vmcnt(4)
	v_lshlrev_b32_e32 v2, 16, v39
	s_delay_alu instid0(VALU_DEP_1) | instskip(SKIP_3) | instid1(VALU_DEP_1)
	v_fmac_f32_e32 v4, v8, v2
	s_waitcnt vmcnt(3)
	v_lshlrev_b32_e32 v2, 16, v40
	s_waitcnt lgkmcnt(0)
	v_fmac_f32_e32 v4, v9, v2
	s_waitcnt vmcnt(2)
	v_lshlrev_b32_e32 v2, 16, v41
	s_delay_alu instid0(VALU_DEP_1) | instskip(SKIP_2) | instid1(VALU_DEP_1)
	v_fmac_f32_e32 v4, v10, v2
	s_waitcnt vmcnt(1)
	v_lshlrev_b32_e32 v2, 16, v42
	v_fmac_f32_e32 v4, v11, v2
	s_waitcnt vmcnt(0)
	v_lshlrev_b32_e32 v2, 16, v43
	s_delay_alu instid0(VALU_DEP_1)
	v_fmac_f32_e32 v4, v12, v2
	s_branch .LBB669_14
.LBB669_17:
	v_mov_b32_e32 v1, 0
	s_and_b32 vcc_lo, exec_lo, s15
	ds_load_b32 v1, v1 offset:2048
	s_cbranch_vccz .LBB669_19
; %bb.18:
	s_add_u32 s2, s12, s16
	s_addc_u32 s3, s13, s17
	s_load_b32 s2, s[2:3], 0x0
	s_mov_b32 s3, 0
.LBB669_19:
	s_waitcnt lgkmcnt(0)
	v_add_f32_e32 v1, 0x358637bd, v1
	s_delay_alu instid0(VALU_DEP_1) | instskip(NEXT) | instid1(VALU_DEP_1)
	v_div_scale_f32 v2, null, v1, v1, 1.0
	v_rcp_f32_e32 v3, v2
	s_waitcnt_depctr 0xfff
	v_fma_f32 v5, -v2, v3, 1.0
	s_delay_alu instid0(VALU_DEP_1) | instskip(SKIP_1) | instid1(VALU_DEP_1)
	v_fmac_f32_e32 v3, v5, v3
	v_div_scale_f32 v5, vcc_lo, 1.0, v1, 1.0
	v_mul_f32_e32 v6, v5, v3
	s_delay_alu instid0(VALU_DEP_1) | instskip(NEXT) | instid1(VALU_DEP_1)
	v_fma_f32 v7, -v2, v6, v5
	v_fmac_f32_e32 v6, v7, v3
	s_delay_alu instid0(VALU_DEP_1) | instskip(NEXT) | instid1(VALU_DEP_1)
	v_fma_f32 v2, -v2, v6, v5
	v_div_fmas_f32 v2, v2, v3, v6
	s_delay_alu instid0(VALU_DEP_1) | instskip(NEXT) | instid1(VALU_DEP_1)
	v_div_fixup_f32 v1, v2, v1, 1.0
	v_mul_f32_e32 v2, v4, v1
	s_delay_alu instid0(VALU_DEP_1) | instskip(NEXT) | instid1(VALU_DEP_1)
	v_and_b32_e32 v1, 0x7f800000, v2
	v_cmp_ne_u32_e32 vcc_lo, 0x7f800000, v1
                                        ; implicit-def: $vgpr1
	s_and_saveexec_b32 s4, vcc_lo
	s_delay_alu instid0(SALU_CYCLE_1)
	s_xor_b32 s4, exec_lo, s4
; %bb.20:
	v_bfe_u32 v1, v2, 16, 1
	s_delay_alu instid0(VALU_DEP_1)
	v_add3_u32 v1, v2, v1, 0x7fff
                                        ; implicit-def: $vgpr2
; %bb.21:
	s_and_not1_saveexec_b32 s4, s4
; %bb.22:
	v_and_b32_e32 v1, 0xffff, v2
	v_or_b32_e32 v3, 0x10000, v2
	s_delay_alu instid0(VALU_DEP_2) | instskip(NEXT) | instid1(VALU_DEP_2)
	v_cmp_eq_u32_e32 vcc_lo, 0, v1
	v_cndmask_b32_e32 v1, v3, v2, vcc_lo
; %bb.23:
	s_or_b32 exec_lo, exec_lo, s4
	s_mul_i32 s3, s33, s3
	s_mul_hi_u32 s4, s33, s2
	s_mul_i32 s2, s33, s2
	s_add_i32 s3, s4, s3
	s_mov_b32 s15, 0
	s_lshl_b64 s[2:3], s[2:3], 8
	s_delay_alu instid0(SALU_CYCLE_1) | instskip(SKIP_2) | instid1(SALU_CYCLE_1)
	s_add_u32 s2, s0, s2
	s_addc_u32 s3, s1, s3
	s_lshl_b64 s[0:1], s[14:15], 8
	s_add_u32 s0, s2, s0
	s_addc_u32 s1, s3, s1
	global_store_d16_hi_b16 v0, v1, s[0:1]
	s_nop 0
	s_sendmsg sendmsg(MSG_DEALLOC_VGPRS)
	s_endpgm
.LBB669_24:
	s_mov_b32 s4, 0
	s_branch .LBB669_2
	.section	.rodata,"a",@progbits
	.p2align	6, 0x0
	.amdhsa_kernel _Z35paged_attention_ll4mi_reduce_kernelI14__hip_bfloat16S0_Li128ELi128ELi256ELi16EEvPT0_PKfS4_PKT_PKiS9_iS4_
		.amdhsa_group_segment_fixed_size 2052
		.amdhsa_private_segment_fixed_size 0
		.amdhsa_kernarg_size 320
		.amdhsa_user_sgpr_count 14
		.amdhsa_user_sgpr_dispatch_ptr 0
		.amdhsa_user_sgpr_queue_ptr 0
		.amdhsa_user_sgpr_kernarg_segment_ptr 1
		.amdhsa_user_sgpr_dispatch_id 0
		.amdhsa_user_sgpr_private_segment_size 0
		.amdhsa_wavefront_size32 1
		.amdhsa_uses_dynamic_stack 0
		.amdhsa_enable_private_segment 0
		.amdhsa_system_sgpr_workgroup_id_x 1
		.amdhsa_system_sgpr_workgroup_id_y 1
		.amdhsa_system_sgpr_workgroup_id_z 0
		.amdhsa_system_sgpr_workgroup_info 0
		.amdhsa_system_vgpr_workitem_id 0
		.amdhsa_next_free_vgpr 87
		.amdhsa_next_free_sgpr 49
		.amdhsa_reserve_vcc 1
		.amdhsa_float_round_mode_32 0
		.amdhsa_float_round_mode_16_64 0
		.amdhsa_float_denorm_mode_32 3
		.amdhsa_float_denorm_mode_16_64 3
		.amdhsa_dx10_clamp 1
		.amdhsa_ieee_mode 1
		.amdhsa_fp16_overflow 0
		.amdhsa_workgroup_processor_mode 1
		.amdhsa_memory_ordered 1
		.amdhsa_forward_progress 0
		.amdhsa_shared_vgpr_count 0
		.amdhsa_exception_fp_ieee_invalid_op 0
		.amdhsa_exception_fp_denorm_src 0
		.amdhsa_exception_fp_ieee_div_zero 0
		.amdhsa_exception_fp_ieee_overflow 0
		.amdhsa_exception_fp_ieee_underflow 0
		.amdhsa_exception_fp_ieee_inexact 0
		.amdhsa_exception_int_div_zero 0
	.end_amdhsa_kernel
	.section	.text._Z35paged_attention_ll4mi_reduce_kernelI14__hip_bfloat16S0_Li128ELi128ELi256ELi16EEvPT0_PKfS4_PKT_PKiS9_iS4_,"axG",@progbits,_Z35paged_attention_ll4mi_reduce_kernelI14__hip_bfloat16S0_Li128ELi128ELi256ELi16EEvPT0_PKfS4_PKT_PKiS9_iS4_,comdat
.Lfunc_end669:
	.size	_Z35paged_attention_ll4mi_reduce_kernelI14__hip_bfloat16S0_Li128ELi128ELi256ELi16EEvPT0_PKfS4_PKT_PKiS9_iS4_, .Lfunc_end669-_Z35paged_attention_ll4mi_reduce_kernelI14__hip_bfloat16S0_Li128ELi128ELi256ELi16EEvPT0_PKfS4_PKT_PKiS9_iS4_
                                        ; -- End function
	.section	.AMDGPU.csdata,"",@progbits
; Kernel info:
; codeLenInByte = 8384
; NumSgprs: 51
; NumVgprs: 87
; ScratchSize: 0
; MemoryBound: 0
; FloatMode: 240
; IeeeMode: 1
; LDSByteSize: 2052 bytes/workgroup (compile time only)
; SGPRBlocks: 6
; VGPRBlocks: 10
; NumSGPRsForWavesPerEU: 51
; NumVGPRsForWavesPerEU: 87
; Occupancy: 16
; WaveLimiterHint : 0
; COMPUTE_PGM_RSRC2:SCRATCH_EN: 0
; COMPUTE_PGM_RSRC2:USER_SGPR: 14
; COMPUTE_PGM_RSRC2:TRAP_HANDLER: 0
; COMPUTE_PGM_RSRC2:TGID_X_EN: 1
; COMPUTE_PGM_RSRC2:TGID_Y_EN: 1
; COMPUTE_PGM_RSRC2:TGID_Z_EN: 0
; COMPUTE_PGM_RSRC2:TIDIG_COMP_CNT: 0
	.section	.text._Z38paged_attention_ll4mi_QKV_mfma4_kernelI14__hip_bfloat16S0_LN4vllm18Fp8KVCacheDataTypeE0ES0_Li16ELi128ELi256ELb0ELi1EEvPKT_PKT0_S8_ifPKiSA_SA_iPKfiiiPfSD_PS3_PT2_iSC_SC_,"axG",@progbits,_Z38paged_attention_ll4mi_QKV_mfma4_kernelI14__hip_bfloat16S0_LN4vllm18Fp8KVCacheDataTypeE0ES0_Li16ELi128ELi256ELb0ELi1EEvPKT_PKT0_S8_ifPKiSA_SA_iPKfiiiPfSD_PS3_PT2_iSC_SC_,comdat
	.protected	_Z38paged_attention_ll4mi_QKV_mfma4_kernelI14__hip_bfloat16S0_LN4vllm18Fp8KVCacheDataTypeE0ES0_Li16ELi128ELi256ELb0ELi1EEvPKT_PKT0_S8_ifPKiSA_SA_iPKfiiiPfSD_PS3_PT2_iSC_SC_ ; -- Begin function _Z38paged_attention_ll4mi_QKV_mfma4_kernelI14__hip_bfloat16S0_LN4vllm18Fp8KVCacheDataTypeE0ES0_Li16ELi128ELi256ELb0ELi1EEvPKT_PKT0_S8_ifPKiSA_SA_iPKfiiiPfSD_PS3_PT2_iSC_SC_
	.globl	_Z38paged_attention_ll4mi_QKV_mfma4_kernelI14__hip_bfloat16S0_LN4vllm18Fp8KVCacheDataTypeE0ES0_Li16ELi128ELi256ELb0ELi1EEvPKT_PKT0_S8_ifPKiSA_SA_iPKfiiiPfSD_PS3_PT2_iSC_SC_
	.p2align	8
	.type	_Z38paged_attention_ll4mi_QKV_mfma4_kernelI14__hip_bfloat16S0_LN4vllm18Fp8KVCacheDataTypeE0ES0_Li16ELi128ELi256ELb0ELi1EEvPKT_PKT0_S8_ifPKiSA_SA_iPKfiiiPfSD_PS3_PT2_iSC_SC_,@function
_Z38paged_attention_ll4mi_QKV_mfma4_kernelI14__hip_bfloat16S0_LN4vllm18Fp8KVCacheDataTypeE0ES0_Li16ELi128ELi256ELb0ELi1EEvPKT_PKT0_S8_ifPKiSA_SA_iPKfiiiPfSD_PS3_PT2_iSC_SC_: ; @_Z38paged_attention_ll4mi_QKV_mfma4_kernelI14__hip_bfloat16S0_LN4vllm18Fp8KVCacheDataTypeE0ES0_Li16ELi128ELi256ELb0ELi1EEvPKT_PKT0_S8_ifPKiSA_SA_iPKfiiiPfSD_PS3_PT2_iSC_SC_
; %bb.0:
	s_add_u32 s8, s0, 0x90
	s_addc_u32 s9, s1, 0
	s_getpc_b64 s[0:1]
	s_add_u32 s0, s0, __PRETTY_FUNCTION__._Z38paged_attention_ll4mi_QKV_mfma4_kernelI14__hip_bfloat16S0_LN4vllm18Fp8KVCacheDataTypeE0ES0_Li16ELi128ELi256ELb0ELi1EEvPKT_PKT0_S8_ifPKiSA_SA_iPKfiiiPfSD_PS3_PT2_iSC_SC_@rel32@lo+4
	s_addc_u32 s1, s1, __PRETTY_FUNCTION__._Z38paged_attention_ll4mi_QKV_mfma4_kernelI14__hip_bfloat16S0_LN4vllm18Fp8KVCacheDataTypeE0ES0_Li16ELi128ELi256ELb0ELi1EEvPKT_PKT0_S8_ifPKiSA_SA_iPKfiiiPfSD_PS3_PT2_iSC_SC_@rel32@hi+12
	s_delay_alu instid0(SALU_CYCLE_1) | instskip(SKIP_4) | instid1(SALU_CYCLE_1)
	v_dual_mov_b32 v0, s0 :: v_dual_mov_b32 v1, s1
	s_mov_b32 s32, 0
	s_getpc_b64 s[2:3]
	s_add_u32 s2, s2, __assert_fail@rel32@lo+4
	s_addc_u32 s3, s3, __assert_fail@rel32@hi+12
	s_swappc_b64 s[30:31], s[2:3]
	.section	.rodata,"a",@progbits
	.p2align	6, 0x0
	.amdhsa_kernel _Z38paged_attention_ll4mi_QKV_mfma4_kernelI14__hip_bfloat16S0_LN4vllm18Fp8KVCacheDataTypeE0ES0_Li16ELi128ELi256ELb0ELi1EEvPKT_PKT0_S8_ifPKiSA_SA_iPKfiiiPfSD_PS3_PT2_iSC_SC_
		.amdhsa_group_segment_fixed_size 0
		.amdhsa_private_segment_fixed_size 64
		.amdhsa_kernarg_size 400
		.amdhsa_user_sgpr_count 15
		.amdhsa_user_sgpr_dispatch_ptr 0
		.amdhsa_user_sgpr_queue_ptr 0
		.amdhsa_user_sgpr_kernarg_segment_ptr 1
		.amdhsa_user_sgpr_dispatch_id 0
		.amdhsa_user_sgpr_private_segment_size 0
		.amdhsa_wavefront_size32 1
		.amdhsa_uses_dynamic_stack 0
		.amdhsa_enable_private_segment 1
		.amdhsa_system_sgpr_workgroup_id_x 1
		.amdhsa_system_sgpr_workgroup_id_y 0
		.amdhsa_system_sgpr_workgroup_id_z 0
		.amdhsa_system_sgpr_workgroup_info 0
		.amdhsa_system_vgpr_workitem_id 0
		.amdhsa_next_free_vgpr 41
		.amdhsa_next_free_sgpr 34
		.amdhsa_reserve_vcc 1
		.amdhsa_float_round_mode_32 0
		.amdhsa_float_round_mode_16_64 0
		.amdhsa_float_denorm_mode_32 3
		.amdhsa_float_denorm_mode_16_64 3
		.amdhsa_dx10_clamp 1
		.amdhsa_ieee_mode 1
		.amdhsa_fp16_overflow 0
		.amdhsa_workgroup_processor_mode 1
		.amdhsa_memory_ordered 1
		.amdhsa_forward_progress 0
		.amdhsa_shared_vgpr_count 0
		.amdhsa_exception_fp_ieee_invalid_op 0
		.amdhsa_exception_fp_denorm_src 0
		.amdhsa_exception_fp_ieee_div_zero 0
		.amdhsa_exception_fp_ieee_overflow 0
		.amdhsa_exception_fp_ieee_underflow 0
		.amdhsa_exception_fp_ieee_inexact 0
		.amdhsa_exception_int_div_zero 0
	.end_amdhsa_kernel
	.section	.text._Z38paged_attention_ll4mi_QKV_mfma4_kernelI14__hip_bfloat16S0_LN4vllm18Fp8KVCacheDataTypeE0ES0_Li16ELi128ELi256ELb0ELi1EEvPKT_PKT0_S8_ifPKiSA_SA_iPKfiiiPfSD_PS3_PT2_iSC_SC_,"axG",@progbits,_Z38paged_attention_ll4mi_QKV_mfma4_kernelI14__hip_bfloat16S0_LN4vllm18Fp8KVCacheDataTypeE0ES0_Li16ELi128ELi256ELb0ELi1EEvPKT_PKT0_S8_ifPKiSA_SA_iPKfiiiPfSD_PS3_PT2_iSC_SC_,comdat
.Lfunc_end670:
	.size	_Z38paged_attention_ll4mi_QKV_mfma4_kernelI14__hip_bfloat16S0_LN4vllm18Fp8KVCacheDataTypeE0ES0_Li16ELi128ELi256ELb0ELi1EEvPKT_PKT0_S8_ifPKiSA_SA_iPKfiiiPfSD_PS3_PT2_iSC_SC_, .Lfunc_end670-_Z38paged_attention_ll4mi_QKV_mfma4_kernelI14__hip_bfloat16S0_LN4vllm18Fp8KVCacheDataTypeE0ES0_Li16ELi128ELi256ELb0ELi1EEvPKT_PKT0_S8_ifPKiSA_SA_iPKfiiiPfSD_PS3_PT2_iSC_SC_
                                        ; -- End function
	.section	.AMDGPU.csdata,"",@progbits
; Kernel info:
; codeLenInByte = 72
; NumSgprs: 36
; NumVgprs: 41
; ScratchSize: 64
; MemoryBound: 0
; FloatMode: 240
; IeeeMode: 1
; LDSByteSize: 0 bytes/workgroup (compile time only)
; SGPRBlocks: 4
; VGPRBlocks: 5
; NumSGPRsForWavesPerEU: 36
; NumVGPRsForWavesPerEU: 41
; Occupancy: 16
; WaveLimiterHint : 1
; COMPUTE_PGM_RSRC2:SCRATCH_EN: 1
; COMPUTE_PGM_RSRC2:USER_SGPR: 15
; COMPUTE_PGM_RSRC2:TRAP_HANDLER: 0
; COMPUTE_PGM_RSRC2:TGID_X_EN: 1
; COMPUTE_PGM_RSRC2:TGID_Y_EN: 0
; COMPUTE_PGM_RSRC2:TGID_Z_EN: 0
; COMPUTE_PGM_RSRC2:TIDIG_COMP_CNT: 0
	.section	.text._Z38paged_attention_ll4mi_QKV_mfma4_kernelI14__hip_bfloat16S0_LN4vllm18Fp8KVCacheDataTypeE0ES0_Li16ELi128ELi256ELb0ELi2EEvPKT_PKT0_S8_ifPKiSA_SA_iPKfiiiPfSD_PS3_PT2_iSC_SC_,"axG",@progbits,_Z38paged_attention_ll4mi_QKV_mfma4_kernelI14__hip_bfloat16S0_LN4vllm18Fp8KVCacheDataTypeE0ES0_Li16ELi128ELi256ELb0ELi2EEvPKT_PKT0_S8_ifPKiSA_SA_iPKfiiiPfSD_PS3_PT2_iSC_SC_,comdat
	.protected	_Z38paged_attention_ll4mi_QKV_mfma4_kernelI14__hip_bfloat16S0_LN4vllm18Fp8KVCacheDataTypeE0ES0_Li16ELi128ELi256ELb0ELi2EEvPKT_PKT0_S8_ifPKiSA_SA_iPKfiiiPfSD_PS3_PT2_iSC_SC_ ; -- Begin function _Z38paged_attention_ll4mi_QKV_mfma4_kernelI14__hip_bfloat16S0_LN4vllm18Fp8KVCacheDataTypeE0ES0_Li16ELi128ELi256ELb0ELi2EEvPKT_PKT0_S8_ifPKiSA_SA_iPKfiiiPfSD_PS3_PT2_iSC_SC_
	.globl	_Z38paged_attention_ll4mi_QKV_mfma4_kernelI14__hip_bfloat16S0_LN4vllm18Fp8KVCacheDataTypeE0ES0_Li16ELi128ELi256ELb0ELi2EEvPKT_PKT0_S8_ifPKiSA_SA_iPKfiiiPfSD_PS3_PT2_iSC_SC_
	.p2align	8
	.type	_Z38paged_attention_ll4mi_QKV_mfma4_kernelI14__hip_bfloat16S0_LN4vllm18Fp8KVCacheDataTypeE0ES0_Li16ELi128ELi256ELb0ELi2EEvPKT_PKT0_S8_ifPKiSA_SA_iPKfiiiPfSD_PS3_PT2_iSC_SC_,@function
_Z38paged_attention_ll4mi_QKV_mfma4_kernelI14__hip_bfloat16S0_LN4vllm18Fp8KVCacheDataTypeE0ES0_Li16ELi128ELi256ELb0ELi2EEvPKT_PKT0_S8_ifPKiSA_SA_iPKfiiiPfSD_PS3_PT2_iSC_SC_: ; @_Z38paged_attention_ll4mi_QKV_mfma4_kernelI14__hip_bfloat16S0_LN4vllm18Fp8KVCacheDataTypeE0ES0_Li16ELi128ELi256ELb0ELi2EEvPKT_PKT0_S8_ifPKiSA_SA_iPKfiiiPfSD_PS3_PT2_iSC_SC_
; %bb.0:
	s_add_u32 s8, s0, 0x90
	s_addc_u32 s9, s1, 0
	s_getpc_b64 s[0:1]
	s_add_u32 s0, s0, __PRETTY_FUNCTION__._Z38paged_attention_ll4mi_QKV_mfma4_kernelI14__hip_bfloat16S0_LN4vllm18Fp8KVCacheDataTypeE0ES0_Li16ELi128ELi256ELb0ELi2EEvPKT_PKT0_S8_ifPKiSA_SA_iPKfiiiPfSD_PS3_PT2_iSC_SC_@rel32@lo+4
	s_addc_u32 s1, s1, __PRETTY_FUNCTION__._Z38paged_attention_ll4mi_QKV_mfma4_kernelI14__hip_bfloat16S0_LN4vllm18Fp8KVCacheDataTypeE0ES0_Li16ELi128ELi256ELb0ELi2EEvPKT_PKT0_S8_ifPKiSA_SA_iPKfiiiPfSD_PS3_PT2_iSC_SC_@rel32@hi+12
	s_delay_alu instid0(SALU_CYCLE_1) | instskip(SKIP_4) | instid1(SALU_CYCLE_1)
	v_dual_mov_b32 v0, s0 :: v_dual_mov_b32 v1, s1
	s_mov_b32 s32, 0
	s_getpc_b64 s[2:3]
	s_add_u32 s2, s2, __assert_fail@rel32@lo+4
	s_addc_u32 s3, s3, __assert_fail@rel32@hi+12
	s_swappc_b64 s[30:31], s[2:3]
	.section	.rodata,"a",@progbits
	.p2align	6, 0x0
	.amdhsa_kernel _Z38paged_attention_ll4mi_QKV_mfma4_kernelI14__hip_bfloat16S0_LN4vllm18Fp8KVCacheDataTypeE0ES0_Li16ELi128ELi256ELb0ELi2EEvPKT_PKT0_S8_ifPKiSA_SA_iPKfiiiPfSD_PS3_PT2_iSC_SC_
		.amdhsa_group_segment_fixed_size 0
		.amdhsa_private_segment_fixed_size 64
		.amdhsa_kernarg_size 400
		.amdhsa_user_sgpr_count 15
		.amdhsa_user_sgpr_dispatch_ptr 0
		.amdhsa_user_sgpr_queue_ptr 0
		.amdhsa_user_sgpr_kernarg_segment_ptr 1
		.amdhsa_user_sgpr_dispatch_id 0
		.amdhsa_user_sgpr_private_segment_size 0
		.amdhsa_wavefront_size32 1
		.amdhsa_uses_dynamic_stack 0
		.amdhsa_enable_private_segment 1
		.amdhsa_system_sgpr_workgroup_id_x 1
		.amdhsa_system_sgpr_workgroup_id_y 0
		.amdhsa_system_sgpr_workgroup_id_z 0
		.amdhsa_system_sgpr_workgroup_info 0
		.amdhsa_system_vgpr_workitem_id 0
		.amdhsa_next_free_vgpr 41
		.amdhsa_next_free_sgpr 34
		.amdhsa_reserve_vcc 1
		.amdhsa_float_round_mode_32 0
		.amdhsa_float_round_mode_16_64 0
		.amdhsa_float_denorm_mode_32 3
		.amdhsa_float_denorm_mode_16_64 3
		.amdhsa_dx10_clamp 1
		.amdhsa_ieee_mode 1
		.amdhsa_fp16_overflow 0
		.amdhsa_workgroup_processor_mode 1
		.amdhsa_memory_ordered 1
		.amdhsa_forward_progress 0
		.amdhsa_shared_vgpr_count 0
		.amdhsa_exception_fp_ieee_invalid_op 0
		.amdhsa_exception_fp_denorm_src 0
		.amdhsa_exception_fp_ieee_div_zero 0
		.amdhsa_exception_fp_ieee_overflow 0
		.amdhsa_exception_fp_ieee_underflow 0
		.amdhsa_exception_fp_ieee_inexact 0
		.amdhsa_exception_int_div_zero 0
	.end_amdhsa_kernel
	.section	.text._Z38paged_attention_ll4mi_QKV_mfma4_kernelI14__hip_bfloat16S0_LN4vllm18Fp8KVCacheDataTypeE0ES0_Li16ELi128ELi256ELb0ELi2EEvPKT_PKT0_S8_ifPKiSA_SA_iPKfiiiPfSD_PS3_PT2_iSC_SC_,"axG",@progbits,_Z38paged_attention_ll4mi_QKV_mfma4_kernelI14__hip_bfloat16S0_LN4vllm18Fp8KVCacheDataTypeE0ES0_Li16ELi128ELi256ELb0ELi2EEvPKT_PKT0_S8_ifPKiSA_SA_iPKfiiiPfSD_PS3_PT2_iSC_SC_,comdat
.Lfunc_end671:
	.size	_Z38paged_attention_ll4mi_QKV_mfma4_kernelI14__hip_bfloat16S0_LN4vllm18Fp8KVCacheDataTypeE0ES0_Li16ELi128ELi256ELb0ELi2EEvPKT_PKT0_S8_ifPKiSA_SA_iPKfiiiPfSD_PS3_PT2_iSC_SC_, .Lfunc_end671-_Z38paged_attention_ll4mi_QKV_mfma4_kernelI14__hip_bfloat16S0_LN4vllm18Fp8KVCacheDataTypeE0ES0_Li16ELi128ELi256ELb0ELi2EEvPKT_PKT0_S8_ifPKiSA_SA_iPKfiiiPfSD_PS3_PT2_iSC_SC_
                                        ; -- End function
	.section	.AMDGPU.csdata,"",@progbits
; Kernel info:
; codeLenInByte = 72
; NumSgprs: 36
; NumVgprs: 41
; ScratchSize: 64
; MemoryBound: 0
; FloatMode: 240
; IeeeMode: 1
; LDSByteSize: 0 bytes/workgroup (compile time only)
; SGPRBlocks: 4
; VGPRBlocks: 5
; NumSGPRsForWavesPerEU: 36
; NumVGPRsForWavesPerEU: 41
; Occupancy: 16
; WaveLimiterHint : 1
; COMPUTE_PGM_RSRC2:SCRATCH_EN: 1
; COMPUTE_PGM_RSRC2:USER_SGPR: 15
; COMPUTE_PGM_RSRC2:TRAP_HANDLER: 0
; COMPUTE_PGM_RSRC2:TGID_X_EN: 1
; COMPUTE_PGM_RSRC2:TGID_Y_EN: 0
; COMPUTE_PGM_RSRC2:TGID_Z_EN: 0
; COMPUTE_PGM_RSRC2:TIDIG_COMP_CNT: 0
	.section	.text._Z38paged_attention_ll4mi_QKV_mfma4_kernelI14__hip_bfloat16S0_LN4vllm18Fp8KVCacheDataTypeE0ES0_Li16ELi128ELi256ELb0ELi3EEvPKT_PKT0_S8_ifPKiSA_SA_iPKfiiiPfSD_PS3_PT2_iSC_SC_,"axG",@progbits,_Z38paged_attention_ll4mi_QKV_mfma4_kernelI14__hip_bfloat16S0_LN4vllm18Fp8KVCacheDataTypeE0ES0_Li16ELi128ELi256ELb0ELi3EEvPKT_PKT0_S8_ifPKiSA_SA_iPKfiiiPfSD_PS3_PT2_iSC_SC_,comdat
	.protected	_Z38paged_attention_ll4mi_QKV_mfma4_kernelI14__hip_bfloat16S0_LN4vllm18Fp8KVCacheDataTypeE0ES0_Li16ELi128ELi256ELb0ELi3EEvPKT_PKT0_S8_ifPKiSA_SA_iPKfiiiPfSD_PS3_PT2_iSC_SC_ ; -- Begin function _Z38paged_attention_ll4mi_QKV_mfma4_kernelI14__hip_bfloat16S0_LN4vllm18Fp8KVCacheDataTypeE0ES0_Li16ELi128ELi256ELb0ELi3EEvPKT_PKT0_S8_ifPKiSA_SA_iPKfiiiPfSD_PS3_PT2_iSC_SC_
	.globl	_Z38paged_attention_ll4mi_QKV_mfma4_kernelI14__hip_bfloat16S0_LN4vllm18Fp8KVCacheDataTypeE0ES0_Li16ELi128ELi256ELb0ELi3EEvPKT_PKT0_S8_ifPKiSA_SA_iPKfiiiPfSD_PS3_PT2_iSC_SC_
	.p2align	8
	.type	_Z38paged_attention_ll4mi_QKV_mfma4_kernelI14__hip_bfloat16S0_LN4vllm18Fp8KVCacheDataTypeE0ES0_Li16ELi128ELi256ELb0ELi3EEvPKT_PKT0_S8_ifPKiSA_SA_iPKfiiiPfSD_PS3_PT2_iSC_SC_,@function
_Z38paged_attention_ll4mi_QKV_mfma4_kernelI14__hip_bfloat16S0_LN4vllm18Fp8KVCacheDataTypeE0ES0_Li16ELi128ELi256ELb0ELi3EEvPKT_PKT0_S8_ifPKiSA_SA_iPKfiiiPfSD_PS3_PT2_iSC_SC_: ; @_Z38paged_attention_ll4mi_QKV_mfma4_kernelI14__hip_bfloat16S0_LN4vllm18Fp8KVCacheDataTypeE0ES0_Li16ELi128ELi256ELb0ELi3EEvPKT_PKT0_S8_ifPKiSA_SA_iPKfiiiPfSD_PS3_PT2_iSC_SC_
; %bb.0:
	s_add_u32 s8, s0, 0x90
	s_addc_u32 s9, s1, 0
	s_getpc_b64 s[0:1]
	s_add_u32 s0, s0, __PRETTY_FUNCTION__._Z38paged_attention_ll4mi_QKV_mfma4_kernelI14__hip_bfloat16S0_LN4vllm18Fp8KVCacheDataTypeE0ES0_Li16ELi128ELi256ELb0ELi3EEvPKT_PKT0_S8_ifPKiSA_SA_iPKfiiiPfSD_PS3_PT2_iSC_SC_@rel32@lo+4
	s_addc_u32 s1, s1, __PRETTY_FUNCTION__._Z38paged_attention_ll4mi_QKV_mfma4_kernelI14__hip_bfloat16S0_LN4vllm18Fp8KVCacheDataTypeE0ES0_Li16ELi128ELi256ELb0ELi3EEvPKT_PKT0_S8_ifPKiSA_SA_iPKfiiiPfSD_PS3_PT2_iSC_SC_@rel32@hi+12
	s_delay_alu instid0(SALU_CYCLE_1) | instskip(SKIP_4) | instid1(SALU_CYCLE_1)
	v_dual_mov_b32 v0, s0 :: v_dual_mov_b32 v1, s1
	s_mov_b32 s32, 0
	s_getpc_b64 s[2:3]
	s_add_u32 s2, s2, __assert_fail@rel32@lo+4
	s_addc_u32 s3, s3, __assert_fail@rel32@hi+12
	s_swappc_b64 s[30:31], s[2:3]
	.section	.rodata,"a",@progbits
	.p2align	6, 0x0
	.amdhsa_kernel _Z38paged_attention_ll4mi_QKV_mfma4_kernelI14__hip_bfloat16S0_LN4vllm18Fp8KVCacheDataTypeE0ES0_Li16ELi128ELi256ELb0ELi3EEvPKT_PKT0_S8_ifPKiSA_SA_iPKfiiiPfSD_PS3_PT2_iSC_SC_
		.amdhsa_group_segment_fixed_size 0
		.amdhsa_private_segment_fixed_size 64
		.amdhsa_kernarg_size 400
		.amdhsa_user_sgpr_count 15
		.amdhsa_user_sgpr_dispatch_ptr 0
		.amdhsa_user_sgpr_queue_ptr 0
		.amdhsa_user_sgpr_kernarg_segment_ptr 1
		.amdhsa_user_sgpr_dispatch_id 0
		.amdhsa_user_sgpr_private_segment_size 0
		.amdhsa_wavefront_size32 1
		.amdhsa_uses_dynamic_stack 0
		.amdhsa_enable_private_segment 1
		.amdhsa_system_sgpr_workgroup_id_x 1
		.amdhsa_system_sgpr_workgroup_id_y 0
		.amdhsa_system_sgpr_workgroup_id_z 0
		.amdhsa_system_sgpr_workgroup_info 0
		.amdhsa_system_vgpr_workitem_id 0
		.amdhsa_next_free_vgpr 41
		.amdhsa_next_free_sgpr 34
		.amdhsa_reserve_vcc 1
		.amdhsa_float_round_mode_32 0
		.amdhsa_float_round_mode_16_64 0
		.amdhsa_float_denorm_mode_32 3
		.amdhsa_float_denorm_mode_16_64 3
		.amdhsa_dx10_clamp 1
		.amdhsa_ieee_mode 1
		.amdhsa_fp16_overflow 0
		.amdhsa_workgroup_processor_mode 1
		.amdhsa_memory_ordered 1
		.amdhsa_forward_progress 0
		.amdhsa_shared_vgpr_count 0
		.amdhsa_exception_fp_ieee_invalid_op 0
		.amdhsa_exception_fp_denorm_src 0
		.amdhsa_exception_fp_ieee_div_zero 0
		.amdhsa_exception_fp_ieee_overflow 0
		.amdhsa_exception_fp_ieee_underflow 0
		.amdhsa_exception_fp_ieee_inexact 0
		.amdhsa_exception_int_div_zero 0
	.end_amdhsa_kernel
	.section	.text._Z38paged_attention_ll4mi_QKV_mfma4_kernelI14__hip_bfloat16S0_LN4vllm18Fp8KVCacheDataTypeE0ES0_Li16ELi128ELi256ELb0ELi3EEvPKT_PKT0_S8_ifPKiSA_SA_iPKfiiiPfSD_PS3_PT2_iSC_SC_,"axG",@progbits,_Z38paged_attention_ll4mi_QKV_mfma4_kernelI14__hip_bfloat16S0_LN4vllm18Fp8KVCacheDataTypeE0ES0_Li16ELi128ELi256ELb0ELi3EEvPKT_PKT0_S8_ifPKiSA_SA_iPKfiiiPfSD_PS3_PT2_iSC_SC_,comdat
.Lfunc_end672:
	.size	_Z38paged_attention_ll4mi_QKV_mfma4_kernelI14__hip_bfloat16S0_LN4vllm18Fp8KVCacheDataTypeE0ES0_Li16ELi128ELi256ELb0ELi3EEvPKT_PKT0_S8_ifPKiSA_SA_iPKfiiiPfSD_PS3_PT2_iSC_SC_, .Lfunc_end672-_Z38paged_attention_ll4mi_QKV_mfma4_kernelI14__hip_bfloat16S0_LN4vllm18Fp8KVCacheDataTypeE0ES0_Li16ELi128ELi256ELb0ELi3EEvPKT_PKT0_S8_ifPKiSA_SA_iPKfiiiPfSD_PS3_PT2_iSC_SC_
                                        ; -- End function
	.section	.AMDGPU.csdata,"",@progbits
; Kernel info:
; codeLenInByte = 72
; NumSgprs: 36
; NumVgprs: 41
; ScratchSize: 64
; MemoryBound: 0
; FloatMode: 240
; IeeeMode: 1
; LDSByteSize: 0 bytes/workgroup (compile time only)
; SGPRBlocks: 4
; VGPRBlocks: 5
; NumSGPRsForWavesPerEU: 36
; NumVGPRsForWavesPerEU: 41
; Occupancy: 16
; WaveLimiterHint : 1
; COMPUTE_PGM_RSRC2:SCRATCH_EN: 1
; COMPUTE_PGM_RSRC2:USER_SGPR: 15
; COMPUTE_PGM_RSRC2:TRAP_HANDLER: 0
; COMPUTE_PGM_RSRC2:TGID_X_EN: 1
; COMPUTE_PGM_RSRC2:TGID_Y_EN: 0
; COMPUTE_PGM_RSRC2:TGID_Z_EN: 0
; COMPUTE_PGM_RSRC2:TIDIG_COMP_CNT: 0
	.section	.text._Z38paged_attention_ll4mi_QKV_mfma4_kernelI14__hip_bfloat16S0_LN4vllm18Fp8KVCacheDataTypeE0ES0_Li16ELi128ELi256ELb0ELi4EEvPKT_PKT0_S8_ifPKiSA_SA_iPKfiiiPfSD_PS3_PT2_iSC_SC_,"axG",@progbits,_Z38paged_attention_ll4mi_QKV_mfma4_kernelI14__hip_bfloat16S0_LN4vllm18Fp8KVCacheDataTypeE0ES0_Li16ELi128ELi256ELb0ELi4EEvPKT_PKT0_S8_ifPKiSA_SA_iPKfiiiPfSD_PS3_PT2_iSC_SC_,comdat
	.protected	_Z38paged_attention_ll4mi_QKV_mfma4_kernelI14__hip_bfloat16S0_LN4vllm18Fp8KVCacheDataTypeE0ES0_Li16ELi128ELi256ELb0ELi4EEvPKT_PKT0_S8_ifPKiSA_SA_iPKfiiiPfSD_PS3_PT2_iSC_SC_ ; -- Begin function _Z38paged_attention_ll4mi_QKV_mfma4_kernelI14__hip_bfloat16S0_LN4vllm18Fp8KVCacheDataTypeE0ES0_Li16ELi128ELi256ELb0ELi4EEvPKT_PKT0_S8_ifPKiSA_SA_iPKfiiiPfSD_PS3_PT2_iSC_SC_
	.globl	_Z38paged_attention_ll4mi_QKV_mfma4_kernelI14__hip_bfloat16S0_LN4vllm18Fp8KVCacheDataTypeE0ES0_Li16ELi128ELi256ELb0ELi4EEvPKT_PKT0_S8_ifPKiSA_SA_iPKfiiiPfSD_PS3_PT2_iSC_SC_
	.p2align	8
	.type	_Z38paged_attention_ll4mi_QKV_mfma4_kernelI14__hip_bfloat16S0_LN4vllm18Fp8KVCacheDataTypeE0ES0_Li16ELi128ELi256ELb0ELi4EEvPKT_PKT0_S8_ifPKiSA_SA_iPKfiiiPfSD_PS3_PT2_iSC_SC_,@function
_Z38paged_attention_ll4mi_QKV_mfma4_kernelI14__hip_bfloat16S0_LN4vllm18Fp8KVCacheDataTypeE0ES0_Li16ELi128ELi256ELb0ELi4EEvPKT_PKT0_S8_ifPKiSA_SA_iPKfiiiPfSD_PS3_PT2_iSC_SC_: ; @_Z38paged_attention_ll4mi_QKV_mfma4_kernelI14__hip_bfloat16S0_LN4vllm18Fp8KVCacheDataTypeE0ES0_Li16ELi128ELi256ELb0ELi4EEvPKT_PKT0_S8_ifPKiSA_SA_iPKfiiiPfSD_PS3_PT2_iSC_SC_
; %bb.0:
	s_add_u32 s8, s0, 0x90
	s_addc_u32 s9, s1, 0
	s_getpc_b64 s[0:1]
	s_add_u32 s0, s0, __PRETTY_FUNCTION__._Z38paged_attention_ll4mi_QKV_mfma4_kernelI14__hip_bfloat16S0_LN4vllm18Fp8KVCacheDataTypeE0ES0_Li16ELi128ELi256ELb0ELi4EEvPKT_PKT0_S8_ifPKiSA_SA_iPKfiiiPfSD_PS3_PT2_iSC_SC_@rel32@lo+4
	s_addc_u32 s1, s1, __PRETTY_FUNCTION__._Z38paged_attention_ll4mi_QKV_mfma4_kernelI14__hip_bfloat16S0_LN4vllm18Fp8KVCacheDataTypeE0ES0_Li16ELi128ELi256ELb0ELi4EEvPKT_PKT0_S8_ifPKiSA_SA_iPKfiiiPfSD_PS3_PT2_iSC_SC_@rel32@hi+12
	s_delay_alu instid0(SALU_CYCLE_1) | instskip(SKIP_4) | instid1(SALU_CYCLE_1)
	v_dual_mov_b32 v0, s0 :: v_dual_mov_b32 v1, s1
	s_mov_b32 s32, 0
	s_getpc_b64 s[2:3]
	s_add_u32 s2, s2, __assert_fail@rel32@lo+4
	s_addc_u32 s3, s3, __assert_fail@rel32@hi+12
	s_swappc_b64 s[30:31], s[2:3]
	.section	.rodata,"a",@progbits
	.p2align	6, 0x0
	.amdhsa_kernel _Z38paged_attention_ll4mi_QKV_mfma4_kernelI14__hip_bfloat16S0_LN4vllm18Fp8KVCacheDataTypeE0ES0_Li16ELi128ELi256ELb0ELi4EEvPKT_PKT0_S8_ifPKiSA_SA_iPKfiiiPfSD_PS3_PT2_iSC_SC_
		.amdhsa_group_segment_fixed_size 0
		.amdhsa_private_segment_fixed_size 64
		.amdhsa_kernarg_size 400
		.amdhsa_user_sgpr_count 15
		.amdhsa_user_sgpr_dispatch_ptr 0
		.amdhsa_user_sgpr_queue_ptr 0
		.amdhsa_user_sgpr_kernarg_segment_ptr 1
		.amdhsa_user_sgpr_dispatch_id 0
		.amdhsa_user_sgpr_private_segment_size 0
		.amdhsa_wavefront_size32 1
		.amdhsa_uses_dynamic_stack 0
		.amdhsa_enable_private_segment 1
		.amdhsa_system_sgpr_workgroup_id_x 1
		.amdhsa_system_sgpr_workgroup_id_y 0
		.amdhsa_system_sgpr_workgroup_id_z 0
		.amdhsa_system_sgpr_workgroup_info 0
		.amdhsa_system_vgpr_workitem_id 0
		.amdhsa_next_free_vgpr 41
		.amdhsa_next_free_sgpr 34
		.amdhsa_reserve_vcc 1
		.amdhsa_float_round_mode_32 0
		.amdhsa_float_round_mode_16_64 0
		.amdhsa_float_denorm_mode_32 3
		.amdhsa_float_denorm_mode_16_64 3
		.amdhsa_dx10_clamp 1
		.amdhsa_ieee_mode 1
		.amdhsa_fp16_overflow 0
		.amdhsa_workgroup_processor_mode 1
		.amdhsa_memory_ordered 1
		.amdhsa_forward_progress 0
		.amdhsa_shared_vgpr_count 0
		.amdhsa_exception_fp_ieee_invalid_op 0
		.amdhsa_exception_fp_denorm_src 0
		.amdhsa_exception_fp_ieee_div_zero 0
		.amdhsa_exception_fp_ieee_overflow 0
		.amdhsa_exception_fp_ieee_underflow 0
		.amdhsa_exception_fp_ieee_inexact 0
		.amdhsa_exception_int_div_zero 0
	.end_amdhsa_kernel
	.section	.text._Z38paged_attention_ll4mi_QKV_mfma4_kernelI14__hip_bfloat16S0_LN4vllm18Fp8KVCacheDataTypeE0ES0_Li16ELi128ELi256ELb0ELi4EEvPKT_PKT0_S8_ifPKiSA_SA_iPKfiiiPfSD_PS3_PT2_iSC_SC_,"axG",@progbits,_Z38paged_attention_ll4mi_QKV_mfma4_kernelI14__hip_bfloat16S0_LN4vllm18Fp8KVCacheDataTypeE0ES0_Li16ELi128ELi256ELb0ELi4EEvPKT_PKT0_S8_ifPKiSA_SA_iPKfiiiPfSD_PS3_PT2_iSC_SC_,comdat
.Lfunc_end673:
	.size	_Z38paged_attention_ll4mi_QKV_mfma4_kernelI14__hip_bfloat16S0_LN4vllm18Fp8KVCacheDataTypeE0ES0_Li16ELi128ELi256ELb0ELi4EEvPKT_PKT0_S8_ifPKiSA_SA_iPKfiiiPfSD_PS3_PT2_iSC_SC_, .Lfunc_end673-_Z38paged_attention_ll4mi_QKV_mfma4_kernelI14__hip_bfloat16S0_LN4vllm18Fp8KVCacheDataTypeE0ES0_Li16ELi128ELi256ELb0ELi4EEvPKT_PKT0_S8_ifPKiSA_SA_iPKfiiiPfSD_PS3_PT2_iSC_SC_
                                        ; -- End function
	.section	.AMDGPU.csdata,"",@progbits
; Kernel info:
; codeLenInByte = 72
; NumSgprs: 36
; NumVgprs: 41
; ScratchSize: 64
; MemoryBound: 0
; FloatMode: 240
; IeeeMode: 1
; LDSByteSize: 0 bytes/workgroup (compile time only)
; SGPRBlocks: 4
; VGPRBlocks: 5
; NumSGPRsForWavesPerEU: 36
; NumVGPRsForWavesPerEU: 41
; Occupancy: 16
; WaveLimiterHint : 1
; COMPUTE_PGM_RSRC2:SCRATCH_EN: 1
; COMPUTE_PGM_RSRC2:USER_SGPR: 15
; COMPUTE_PGM_RSRC2:TRAP_HANDLER: 0
; COMPUTE_PGM_RSRC2:TGID_X_EN: 1
; COMPUTE_PGM_RSRC2:TGID_Y_EN: 0
; COMPUTE_PGM_RSRC2:TGID_Z_EN: 0
; COMPUTE_PGM_RSRC2:TIDIG_COMP_CNT: 0
	.section	.text._Z39paged_attention_ll4mi_QKV_mfma16_kernelI14__hip_bfloat16S0_LN4vllm18Fp8KVCacheDataTypeE0ES0_Li16ELi128ELi256ELb0ELi5EL8MFMAType0EEvPKT_PKT0_S9_ifPKiSB_SB_iPKfiiiPfSE_PS4_PT2_iSD_SD_,"axG",@progbits,_Z39paged_attention_ll4mi_QKV_mfma16_kernelI14__hip_bfloat16S0_LN4vllm18Fp8KVCacheDataTypeE0ES0_Li16ELi128ELi256ELb0ELi5EL8MFMAType0EEvPKT_PKT0_S9_ifPKiSB_SB_iPKfiiiPfSE_PS4_PT2_iSD_SD_,comdat
	.protected	_Z39paged_attention_ll4mi_QKV_mfma16_kernelI14__hip_bfloat16S0_LN4vllm18Fp8KVCacheDataTypeE0ES0_Li16ELi128ELi256ELb0ELi5EL8MFMAType0EEvPKT_PKT0_S9_ifPKiSB_SB_iPKfiiiPfSE_PS4_PT2_iSD_SD_ ; -- Begin function _Z39paged_attention_ll4mi_QKV_mfma16_kernelI14__hip_bfloat16S0_LN4vllm18Fp8KVCacheDataTypeE0ES0_Li16ELi128ELi256ELb0ELi5EL8MFMAType0EEvPKT_PKT0_S9_ifPKiSB_SB_iPKfiiiPfSE_PS4_PT2_iSD_SD_
	.globl	_Z39paged_attention_ll4mi_QKV_mfma16_kernelI14__hip_bfloat16S0_LN4vllm18Fp8KVCacheDataTypeE0ES0_Li16ELi128ELi256ELb0ELi5EL8MFMAType0EEvPKT_PKT0_S9_ifPKiSB_SB_iPKfiiiPfSE_PS4_PT2_iSD_SD_
	.p2align	8
	.type	_Z39paged_attention_ll4mi_QKV_mfma16_kernelI14__hip_bfloat16S0_LN4vllm18Fp8KVCacheDataTypeE0ES0_Li16ELi128ELi256ELb0ELi5EL8MFMAType0EEvPKT_PKT0_S9_ifPKiSB_SB_iPKfiiiPfSE_PS4_PT2_iSD_SD_,@function
_Z39paged_attention_ll4mi_QKV_mfma16_kernelI14__hip_bfloat16S0_LN4vllm18Fp8KVCacheDataTypeE0ES0_Li16ELi128ELi256ELb0ELi5EL8MFMAType0EEvPKT_PKT0_S9_ifPKiSB_SB_iPKfiiiPfSE_PS4_PT2_iSD_SD_: ; @_Z39paged_attention_ll4mi_QKV_mfma16_kernelI14__hip_bfloat16S0_LN4vllm18Fp8KVCacheDataTypeE0ES0_Li16ELi128ELi256ELb0ELi5EL8MFMAType0EEvPKT_PKT0_S9_ifPKiSB_SB_iPKfiiiPfSE_PS4_PT2_iSD_SD_
; %bb.0:
	s_load_b64 s[4:5], s[0:1], 0x30
	s_mov_b32 s30, s13
	s_waitcnt lgkmcnt(0)
	s_cmp_lg_u64 s[4:5], 0
	s_cselect_b32 s8, -1, 0
	s_ashr_i32 s31, s13, 31
	s_cmp_eq_u64 s[4:5], 0
	s_cbranch_scc1 .LBB674_3
; %bb.1:
	s_lshl_b64 s[2:3], s[30:31], 2
	s_delay_alu instid0(SALU_CYCLE_1) | instskip(SKIP_4) | instid1(SALU_CYCLE_1)
	s_add_u32 s2, s4, s2
	s_addc_u32 s3, s5, s3
	s_load_b64 s[2:3], s[2:3], 0x0
	s_waitcnt lgkmcnt(0)
	s_sub_i32 s2, s3, s2
	s_cmp_eq_u32 s2, 1
	s_cselect_b32 s2, -1, 0
	s_delay_alu instid0(SALU_CYCLE_1)
	s_and_not1_b32 vcc_lo, exec_lo, s2
	s_cbranch_vccz .LBB674_4
.LBB674_2:
	s_nop 0
	s_sendmsg sendmsg(MSG_DEALLOC_VGPRS)
	s_endpgm
.LBB674_3:
.LBB674_4:
	s_load_b64 s[2:3], s[0:1], 0x28
	s_lshl_b64 s[6:7], s[30:31], 2
	s_waitcnt lgkmcnt(0)
	s_add_u32 s2, s2, s6
	s_addc_u32 s3, s3, s7
	s_lshl_b32 s29, s14, 8
	s_load_b32 s28, s[2:3], 0x0
	s_waitcnt lgkmcnt(0)
	s_cmp_ge_i32 s29, s28
	s_cbranch_scc1 .LBB674_2
; %bb.5:
	s_clause 0x1
	s_load_b128 s[20:23], s[0:1], 0x8
	s_load_b64 s[2:3], s[0:1], 0x20
	s_and_not1_b32 vcc_lo, exec_lo, s8
	s_cbranch_vccnz .LBB674_7
; %bb.6:
	s_add_u32 s4, s4, s6
	s_addc_u32 s5, s5, s7
	s_load_b32 s5, s[4:5], 0x0
	s_branch .LBB674_8
.LBB674_7:
	s_mov_b32 s5, s30
.LBB674_8:
	s_load_b128 s[16:19], s[0:1], 0x48
	v_and_b32_e32 v140, 15, v0
	v_lshrrev_b32_e32 v141, 5, v0
	v_bfe_u32 v138, v0, 4, 1
	v_and_b32_e32 v142, 31, v0
	v_and_b32_e32 v139, 1, v0
	v_lshlrev_b32_e32 v2, 3, v140
	s_mul_i32 s31, s15, 5
	v_lshl_or_b32 v1, v141, 1, v138
	s_mov_b32 s4, exec_lo
	s_delay_alu instid0(VALU_DEP_2) | instskip(NEXT) | instid1(VALU_DEP_2)
	v_lshlrev_b32_e32 v137, 1, v2
	v_cmpx_gt_u32_e32 5, v1
	s_cbranch_execz .LBB674_10
; %bb.9:
	s_load_b64 s[6:7], s[0:1], 0x0
	v_add_lshl_u32 v2, v1, s31, 7
	s_waitcnt lgkmcnt(0)
	s_mul_hi_i32 s9, s5, s16
	s_mul_i32 s8, s5, s16
	v_lshlrev_b32_e32 v6, 10, v140
	s_lshl_b64 s[8:9], s[8:9], 1
	v_ashrrev_i32_e32 v3, 31, v2
	v_lshlrev_b32_e32 v1, 6, v1
	v_lshlrev_b32_e32 v7, 10, v139
	v_and_b32_e32 v6, 0x3800, v6
	s_delay_alu instid0(VALU_DEP_4) | instskip(NEXT) | instid1(VALU_DEP_2)
	v_lshlrev_b64 v[2:3], 1, v[2:3]
	v_or3_b32 v1, v6, v7, v1
	s_add_u32 s5, s6, s8
	s_addc_u32 s6, s7, s9
	s_delay_alu instid0(VALU_DEP_2) | instskip(NEXT) | instid1(VALU_DEP_3)
	v_add_co_u32 v2, vcc_lo, s5, v2
	v_add_co_ci_u32_e32 v3, vcc_lo, s6, v3, vcc_lo
	s_delay_alu instid0(VALU_DEP_2) | instskip(NEXT) | instid1(VALU_DEP_2)
	v_add_co_u32 v2, vcc_lo, v2, v137
	v_add_co_ci_u32_e32 v3, vcc_lo, 0, v3, vcc_lo
	global_load_b128 v[2:5], v[2:3], off
	s_waitcnt vmcnt(0)
	ds_store_b128 v1, v[2:5]
.LBB674_10:
	s_or_b32 exec_lo, exec_lo, s4
	v_and_b32_e32 v1, 0xef, v0
	s_waitcnt lgkmcnt(0)
	s_add_i32 s5, s28, 15
	s_clause 0x1
	s_load_b32 s4, s[0:1], 0x38
	s_load_b32 s33, s[0:1], 0x1c
	s_ashr_i32 s6, s5, 31
	v_add_nc_u32_e32 v1, s29, v1
	s_lshr_b32 s6, s6, 28
	s_waitcnt lgkmcnt(0)
	s_add_i32 s5, s5, s6
	s_barrier
	v_ashrrev_i32_e32 v2, 31, v1
	v_cmp_gt_i32_e32 vcc_lo, s28, v1
	s_ashr_i32 s16, s5, 4
	buffer_gl0_inv
	s_add_i32 s16, s16, -1
	v_lshrrev_b32_e32 v3, 28, v2
	v_or_b32_e32 v2, 16, v1
	v_mul_lo_u16 v105, v140, 52
	v_lshlrev_b32_e32 v106, 5, v140
	s_delay_alu instid0(VALU_DEP_4) | instskip(NEXT) | instid1(VALU_DEP_4)
	v_add_nc_u32_e32 v4, v1, v3
	v_add_nc_u32_e32 v3, v2, v3
	s_mul_i32 s4, s30, s4
	v_lshrrev_b16 v105, 8, v105
	s_ashr_i32 s5, s4, 31
	v_ashrrev_i32_e32 v4, 4, v4
	v_ashrrev_i32_e32 v3, 4, v3
	s_lshl_b64 s[4:5], s[4:5], 2
	v_mul_lo_u16 v105, v105, 5
	s_add_u32 s34, s2, s4
	v_cndmask_b32_e32 v1, s16, v4, vcc_lo
	v_cmp_gt_i32_e32 vcc_lo, s28, v2
	s_addc_u32 s35, s3, s5
	s_mul_i32 s2, s15, s18
	v_sub_nc_u16 v105, v140, v105
	v_ashrrev_i32_e32 v2, 31, v1
	v_cndmask_b32_e32 v3, s16, v3, vcc_lo
	s_ashr_i32 s3, s2, 31
	v_lshl_or_b32 v125, v141, 9, v106
	s_lshl_b64 s[2:3], s[2:3], 1
	v_lshlrev_b64 v[1:2], 2, v[1:2]
	v_ashrrev_i32_e32 v4, 31, v3
	s_add_u32 s24, s20, s2
	s_addc_u32 s25, s21, s3
	s_lshl_b32 s4, s14, 4
	v_and_b32_e32 v105, 0xff, v105
	v_lshlrev_b64 v[3:4], 2, v[3:4]
	v_add_co_u32 v1, vcc_lo, s34, v1
	v_add_co_ci_u32_e32 v2, vcc_lo, s35, v2, vcc_lo
	s_ashr_i32 s5, s4, 31
	s_delay_alu instid0(VALU_DEP_3) | instskip(NEXT) | instid1(VALU_DEP_4)
	v_add_co_u32 v3, vcc_lo, s34, v3
	v_add_co_ci_u32_e32 v4, vcc_lo, s35, v4, vcc_lo
	s_lshl_b64 s[4:5], s[4:5], 2
	s_clause 0x1
	global_load_b32 v5, v[1:2], off
	global_load_b32 v6, v[3:4], off
	s_add_u32 s4, s34, s4
	s_addc_u32 s5, s35, s5
	s_or_b32 s6, s29, 16
	v_lshlrev_b32_e32 v3, 4, v0
	s_ashr_i32 s7, s6, 4
	s_cmp_lt_i32 s6, s28
	v_lshlrev_b32_e32 v215, 6, v105
	s_cselect_b32 s6, s7, s16
	s_delay_alu instid0(SALU_CYCLE_1) | instskip(NEXT) | instid1(SALU_CYCLE_1)
	s_ashr_i32 s7, s6, 31
	s_lshl_b64 s[6:7], s[6:7], 2
	s_delay_alu instid0(SALU_CYCLE_1) | instskip(SKIP_2) | instid1(SALU_CYCLE_1)
	s_add_u32 s6, s34, s6
	s_addc_u32 s7, s35, s7
	s_or_b32 s8, s29, 32
	s_ashr_i32 s9, s8, 4
	s_cmp_lt_i32 s8, s28
	s_cselect_b32 s8, s9, s16
	s_delay_alu instid0(SALU_CYCLE_1) | instskip(NEXT) | instid1(SALU_CYCLE_1)
	s_ashr_i32 s9, s8, 31
	s_lshl_b64 s[8:9], s[8:9], 2
	s_delay_alu instid0(SALU_CYCLE_1) | instskip(SKIP_2) | instid1(SALU_CYCLE_1)
	s_add_u32 s8, s34, s8
	s_addc_u32 s9, s35, s9
	s_or_b32 s10, s29, 48
	s_ashr_i32 s11, s10, 4
	s_cmp_lt_i32 s10, s28
	;; [unrolled: 10-line block ×4, first 2 shown]
	s_cselect_b32 s12, s13, s16
	s_delay_alu instid0(SALU_CYCLE_1) | instskip(NEXT) | instid1(SALU_CYCLE_1)
	s_ashr_i32 s13, s12, 31
	s_lshl_b64 s[12:13], s[12:13], 2
	s_delay_alu instid0(SALU_CYCLE_1)
	s_add_u32 s20, s34, s12
	s_addc_u32 s21, s35, s13
	s_clause 0x5
	s_load_b32 s38, s[4:5], 0x0
	s_load_b32 s37, s[6:7], 0x0
	s_load_b32 s36, s[8:9], 0x0
	s_load_b32 s13, s[10:11], 0x0
	s_load_b32 s12, s[18:19], 0x0
	s_load_b32 s15, s[20:21], 0x0
	s_waitcnt vmcnt(1)
	v_mad_i64_i32 v[1:2], null, v5, s17, 0
	v_and_b32_e32 v5, 0xf0, v3
	s_waitcnt vmcnt(0)
	v_mad_i64_i32 v[3:4], null, v6, s17, 0
	s_delay_alu instid0(VALU_DEP_2) | instskip(NEXT) | instid1(VALU_DEP_4)
	v_add_co_u32 v5, s4, s24, v5
	v_lshlrev_b64 v[1:2], 1, v[1:2]
	v_add_co_ci_u32_e64 v6, null, s25, 0, s4
	s_delay_alu instid0(VALU_DEP_4) | instskip(SKIP_1) | instid1(VALU_DEP_3)
	v_lshlrev_b64 v[3:4], 1, v[3:4]
	s_or_b32 s4, s29, 0x60
	v_add_co_u32 v121, vcc_lo, v5, v1
	s_delay_alu instid0(VALU_DEP_3) | instskip(NEXT) | instid1(VALU_DEP_3)
	v_add_co_ci_u32_e32 v122, vcc_lo, v6, v2, vcc_lo
	v_add_co_u32 v123, vcc_lo, v5, v3
	s_delay_alu instid0(VALU_DEP_4)
	v_add_co_ci_u32_e32 v124, vcc_lo, v6, v4, vcc_lo
	s_clause 0x19
	global_load_b128 v[89:92], v[121:122], off
	global_load_b128 v[93:96], v[121:122], off offset:256
	global_load_b128 v[97:100], v[123:124], off
	global_load_b128 v[101:104], v[123:124], off offset:256
	global_load_b128 v[81:84], v[121:122], off offset:512
	;; [unrolled: 1-line block ×23, first 2 shown]
	s_ashr_i32 s5, s4, 4
	s_cmp_lt_i32 s4, s28
	ds_load_b128 v[105:108], v215
	ds_load_b128 v[109:112], v215 offset:1024
	s_cselect_b32 s4, s5, s16
	ds_load_b128 v[113:116], v215 offset:2048
	ds_load_b128 v[117:120], v215 offset:3072
	s_ashr_i32 s5, s4, 31
	ds_load_b128 v[143:146], v215 offset:4096
	ds_load_b128 v[147:150], v215 offset:5120
	s_lshl_b64 s[6:7], s[4:5], 2
	ds_load_b128 v[151:154], v215 offset:6144
	ds_load_b128 v[155:158], v215 offset:7168
	s_add_u32 s18, s34, s6
	s_addc_u32 s19, s35, s7
	s_or_b32 s5, s29, 0x70
	ds_load_b128 v[159:162], v215 offset:8192
	ds_load_b128 v[163:166], v215 offset:9216
	s_ashr_i32 s6, s5, 4
	s_cmp_lt_i32 s5, s28
	s_clause 0x1
	global_load_b128 v[167:170], v[123:124], off offset:3072
	global_load_b128 v[171:174], v[123:124], off offset:3328
	s_cselect_b32 s8, s6, s16
	s_mov_b32 s4, 0
	s_ashr_i32 s9, s8, 31
	s_mov_b32 s5, s4
	s_lshl_b64 s[8:9], s[8:9], 2
	s_mov_b32 s6, s4
	s_add_u32 s20, s34, s8
	s_addc_u32 s21, s35, s9
	s_clause 0x1
	s_load_b32 s44, s[18:19], 0x0
	s_load_b32 s45, s[20:21], 0x0
	s_clause 0x3
	global_load_b128 v[175:178], v[121:122], off offset:3584
	global_load_b128 v[179:182], v[121:122], off offset:3840
	;; [unrolled: 1-line block ×4, first 2 shown]
	s_or_b32 s8, s29, 0x80
	s_mov_b32 s7, s4
	s_ashr_i32 s9, s8, 4
	s_cmp_lt_i32 s8, s28
	s_mov_b32 s8, s4
	s_cselect_b32 s10, s9, s16
	s_mov_b32 s9, s4
	s_ashr_i32 s11, s10, 31
	s_delay_alu instid0(SALU_CYCLE_1)
	s_lshl_b64 s[24:25], s[10:11], 2
	s_mov_b32 s10, s4
	s_add_u32 s24, s34, s24
	s_addc_u32 s25, s35, s25
	s_or_b32 s11, s29, 0x90
	s_load_b32 s46, s[24:25], 0x0
	s_ashr_i32 s26, s11, 4
	s_cmp_lt_i32 s11, s28
	s_mov_b32 s11, s4
	s_cselect_b32 s26, s26, s16
	v_mov_b32_e32 v136, s11
	s_ashr_i32 s27, s26, 31
	v_dual_mov_b32 v135, s10 :: v_dual_mov_b32 v134, s9
	v_dual_mov_b32 v133, s8 :: v_dual_mov_b32 v132, s7
	;; [unrolled: 1-line block ×3, first 2 shown]
	v_mov_b32_e32 v129, s4
	s_lshl_b64 s[4:5], s[26:27], 2
	s_waitcnt lgkmcnt(0)
	s_mul_hi_i32 s7, s37, s17
	s_add_u32 s26, s34, s4
	s_addc_u32 s27, s35, s5
	s_or_b32 s4, s29, 0xa0
	s_load_b32 s39, s[26:27], 0x0
	s_ashr_i32 s5, s4, 4
	s_cmp_lt_i32 s4, s28
	s_cselect_b32 s4, s5, s16
	s_delay_alu instid0(SALU_CYCLE_1) | instskip(NEXT) | instid1(SALU_CYCLE_1)
	s_ashr_i32 s5, s4, 31
	s_lshl_b64 s[4:5], s[4:5], 2
	s_delay_alu instid0(SALU_CYCLE_1)
	s_add_u32 s40, s34, s4
	s_addc_u32 s41, s35, s5
	s_or_b32 s4, s29, 0xb0
	s_mul_hi_i32 s5, s38, s17
	s_ashr_i32 s6, s4, 4
	s_cmp_lt_i32 s4, s28
	s_mul_i32 s4, s38, s17
	s_load_b32 s38, s[40:41], 0x0
	s_cselect_b32 s8, s6, s16
	s_mul_i32 s6, s37, s17
	s_ashr_i32 s9, s8, 31
	s_mul_hi_i32 s27, s46, s17
	s_lshl_b64 s[10:11], s[8:9], 2
	s_mul_hi_i32 s9, s36, s17
	s_add_u32 s42, s34, s10
	s_addc_u32 s43, s35, s11
	s_or_b32 s10, s29, 0xc0
	s_mul_i32 s8, s36, s17
	s_ashr_i32 s36, s10, 4
	s_cmp_lt_i32 s10, s28
	s_mul_i32 s26, s46, s17
	s_cselect_b32 s36, s36, s16
	s_mul_hi_i32 s11, s13, s17
	s_ashr_i32 s37, s36, 31
	s_mul_i32 s10, s13, s17
	s_lshl_b64 s[36:37], s[36:37], 2
	s_mul_hi_i32 s13, s12, s17
	s_add_u32 s20, s34, s36
	s_addc_u32 s21, s35, s37
	s_or_b32 s18, s29, 0xd0
	s_mul_i32 s12, s12, s17
	s_ashr_i32 s19, s18, 4
	s_cmp_lt_i32 s18, s28
	s_mul_i32 s18, s15, s17
	s_cselect_b32 s24, s19, s16
	s_mul_hi_i32 s19, s15, s17
	s_ashr_i32 s25, s24, 31
	s_waitcnt lgkmcnt(0)
	s_mul_hi_i32 s41, s39, s17
	s_lshl_b64 s[24:25], s[24:25], 2
	s_delay_alu instid0(SALU_CYCLE_1)
	s_add_u32 s24, s34, s24
	s_addc_u32 s25, s35, s25
	s_or_b32 s40, s29, 0xe0
	s_clause 0x2
	s_load_b32 s37, s[42:43], 0x0
	s_load_b32 s36, s[20:21], 0x0
	;; [unrolled: 1-line block ×3, first 2 shown]
	s_ashr_i32 s47, s40, 4
	s_cmp_lt_i32 s40, s28
	s_mul_hi_i32 s21, s44, s17
	s_cselect_b32 s42, s47, s16
	s_mul_i32 s20, s44, s17
	s_ashr_i32 s43, s42, 31
	s_mul_hi_i32 s25, s45, s17
	s_lshl_b64 s[42:43], s[42:43], 2
	s_mul_i32 s24, s45, s17
	s_add_u32 s42, s34, s42
	s_addc_u32 s43, s35, s43
	s_or_b32 s44, s29, 0xf0
	s_mul_i32 s40, s39, s17
	s_ashr_i32 s46, s44, 4
	s_cmp_lt_i32 s44, s28
	s_mul_hi_i32 s39, s38, s17
	s_cselect_b32 s46, s46, s16
	s_mul_i32 s38, s38, s17
	s_ashr_i32 s47, s46, 31
	s_waitcnt lgkmcnt(0)
	s_mul_hi_i32 s49, s15, s17
	s_lshl_b64 s[46:47], s[46:47], 2
	s_mul_i32 s48, s15, s17
	s_add_u32 s34, s34, s46
	s_addc_u32 s35, s35, s47
	s_add_u32 s15, s22, s2
	s_addc_u32 s16, s23, s3
	v_add_co_u32 v216, s15, s15, v125
	s_delay_alu instid0(VALU_DEP_1) | instskip(SKIP_2) | instid1(VALU_DEP_2)
	v_add_co_ci_u32_e64 v217, null, s16, 0, s15
	s_lshl_b64 s[2:3], s[4:5], 1
	s_lshl_b64 s[4:5], s[6:7], 1
	v_add_co_u32 v125, vcc_lo, v216, s2
	s_delay_alu instid0(VALU_DEP_2)
	v_add_co_ci_u32_e32 v126, vcc_lo, s3, v217, vcc_lo
	v_add_co_u32 v199, vcc_lo, v216, s4
	s_lshl_b64 s[6:7], s[8:9], 1
	v_add_co_ci_u32_e32 v200, vcc_lo, s5, v217, vcc_lo
	s_lshl_b64 s[8:9], s[10:11], 1
	s_lshl_b64 s[10:11], s[12:13], 1
	;; [unrolled: 1-line block ×8, first 2 shown]
	s_mul_hi_i32 s45, s37, s17
	s_mul_i32 s44, s37, s17
	s_mul_hi_i32 s37, s36, s17
	s_lshl_b64 s[38:39], s[44:45], 1
	s_mul_i32 s36, s36, s17
	s_clause 0x1
	s_load_b32 s15, s[42:43], 0x0
	s_load_b32 s16, s[34:35], 0x0
	s_lshl_b64 s[36:37], s[36:37], 1
	s_lshl_b64 s[40:41], s[48:49], 1
	s_waitcnt lgkmcnt(0)
	s_mul_hi_i32 s3, s15, s17
	s_mul_i32 s2, s15, s17
	s_mul_hi_i32 s5, s16, s17
	s_lshl_b64 s[2:3], s[2:3], 1
	s_mul_i32 s4, s16, s17
	s_waitcnt vmcnt(30)
	v_wmma_f32_16x16x16_bf16 v[191:198], v[89:96], v[105:112], v[129:136]
	v_add_co_u32 v89, vcc_lo, v216, s6
	v_add_co_ci_u32_e32 v90, vcc_lo, s7, v217, vcc_lo
	v_add_co_u32 v91, vcc_lo, v216, s8
	v_add_co_ci_u32_e32 v92, vcc_lo, s9, v217, vcc_lo
	;; [unrolled: 2-line block ×5, first 2 shown]
	v_add_co_u32 v205, vcc_lo, v216, s20
	s_waitcnt vmcnt(28)
	v_wmma_f32_16x16x16_bf16 v[129:136], v[97:104], v[105:112], v[129:136]
	v_add_co_ci_u32_e32 v206, vcc_lo, s21, v217, vcc_lo
	v_add_co_u32 v207, vcc_lo, v216, s22
	v_add_co_ci_u32_e32 v208, vcc_lo, s23, v217, vcc_lo
	v_add_co_u32 v209, vcc_lo, v216, s24
	s_waitcnt vmcnt(26)
	v_wmma_f32_16x16x16_bf16 v[191:198], v[81:88], v[113:120], v[191:198]
	s_waitcnt vmcnt(24)
	v_wmma_f32_16x16x16_bf16 v[129:136], v[73:80], v[113:120], v[129:136]
	v_add_co_ci_u32_e32 v210, vcc_lo, s25, v217, vcc_lo
	v_add_co_u32 v211, vcc_lo, v216, s26
	v_add_co_ci_u32_e32 v212, vcc_lo, s27, v217, vcc_lo
	v_add_co_u32 v213, vcc_lo, v216, s38
	s_waitcnt vmcnt(22)
	v_wmma_f32_16x16x16_bf16 v[191:198], v[65:72], v[143:150], v[191:198]
	s_waitcnt vmcnt(20)
	v_wmma_f32_16x16x16_bf16 v[129:136], v[57:64], v[143:150], v[129:136]
	v_add_co_ci_u32_e32 v214, vcc_lo, s39, v217, vcc_lo
	v_add_co_u32 v143, vcc_lo, v216, s36
	s_waitcnt vmcnt(18)
	v_wmma_f32_16x16x16_bf16 v[191:198], v[49:56], v[151:158], v[191:198]
	s_waitcnt vmcnt(16)
	v_wmma_f32_16x16x16_bf16 v[129:136], v[41:48], v[151:158], v[129:136]
	v_add_co_ci_u32_e32 v144, vcc_lo, s37, v217, vcc_lo
	s_clause 0x15
	global_load_b128 v[121:124], v[125:126], off
	global_load_b128 v[125:128], v[125:126], off offset:16
	global_load_b128 v[113:116], v[199:200], off
	global_load_b128 v[117:120], v[199:200], off offset:16
	;; [unrolled: 2-line block ×11, first 2 shown]
	s_waitcnt vmcnt(36)
	v_wmma_f32_16x16x16_bf16 v[191:198], v[17:24], v[159:166], v[191:198]
	s_clause 0x1
	global_load_b128 v[17:20], v[213:214], off
	global_load_b128 v[21:24], v[213:214], off offset:16
	s_waitcnt vmcnt(36)
	v_wmma_f32_16x16x16_bf16 v[129:136], v[1:8], v[159:166], v[129:136]
	s_clause 0x1
	global_load_b128 v[1:4], v[143:144], off
	global_load_b128 v[5:8], v[143:144], off offset:16
	ds_load_b128 v[143:146], v215 offset:10240
	ds_load_b128 v[147:150], v215 offset:11264
	;; [unrolled: 1-line block ×4, first 2 shown]
	v_add_co_u32 v199, vcc_lo, v216, s40
	v_add_co_ci_u32_e32 v200, vcc_lo, s41, v217, vcc_lo
	v_add_co_u32 v159, vcc_lo, v216, s2
	v_add_co_ci_u32_e32 v160, vcc_lo, s3, v217, vcc_lo
	s_lshl_b64 s[2:3], s[4:5], 1
	s_delay_alu instid0(SALU_CYCLE_1)
	v_add_co_u32 v161, vcc_lo, v216, s2
	v_add_co_ci_u32_e32 v162, vcc_lo, s3, v217, vcc_lo
	s_waitcnt vmcnt(36) lgkmcnt(2)
	v_wmma_f32_16x16x16_bf16 v[191:198], v[33:40], v[143:150], v[191:198]
	s_waitcnt vmcnt(34)
	v_wmma_f32_16x16x16_bf16 v[129:136], v[25:32], v[143:150], v[129:136]
	s_clause 0x3
	global_load_b128 v[25:28], v[199:200], off
	global_load_b128 v[29:32], v[199:200], off offset:16
	global_load_b128 v[33:36], v[159:160], off
	global_load_b128 v[37:40], v[159:160], off offset:16
	v_and_b32_e32 v143, 0xe0, v0
	v_mbcnt_lo_u32_b32 v159, -1, 0
	s_waitcnt vmcnt(36) lgkmcnt(0)
	v_wmma_f32_16x16x16_bf16 v[191:198], v[9:16], v[151:158], v[191:198]
	s_clause 0x1
	global_load_b128 v[9:12], v[161:162], off
	global_load_b128 v[13:16], v[161:162], off offset:16
	s_waitcnt vmcnt(36)
	v_wmma_f32_16x16x16_bf16 v[129:136], v[167:174], v[151:158], v[129:136]
	v_add_nc_u32_e32 v160, s29, v143
	ds_load_b128 v[143:146], v215 offset:14336
	ds_load_b128 v[147:150], v215 offset:15360
	v_xor_b32_e32 v151, 16, v159
	s_waitcnt vmcnt(0) lgkmcnt(0)
	s_barrier
	v_or_b32_e32 v152, v160, v138
	buffer_gl0_inv
	v_cmp_gt_i32_e32 vcc_lo, 32, v151
	v_or_b32_e32 v153, 2, v152
	v_or_b32_e32 v154, 4, v152
	;; [unrolled: 1-line block ×5, first 2 shown]
	v_cmp_gt_i32_e64 s2, s28, v153
	v_cmp_gt_i32_e64 s3, s28, v154
	;; [unrolled: 1-line block ×3, first 2 shown]
	v_or_b32_e32 v158, 12, v152
	v_cmp_gt_i32_e64 s5, s28, v156
	v_cmp_gt_i32_e64 s6, s28, v157
	v_wmma_f32_16x16x16_bf16 v[191:198], v[175:182], v[143:150], v[191:198]
	v_wmma_f32_16x16x16_bf16 v[129:136], v[183:190], v[143:150], v[129:136]
	v_cndmask_b32_e32 v151, v159, v151, vcc_lo
	v_cmp_gt_i32_e32 vcc_lo, s28, v152
	v_or_b32_e32 v159, 14, v152
	v_dual_mul_f32 v149, s33, v192 :: v_dual_mul_f32 v150, s33, v191
	v_dual_mul_f32 v147, s33, v194 :: v_dual_mul_f32 v148, s33, v193
	;; [unrolled: 1-line block ×3, first 2 shown]
	s_delay_alu instid0(VALU_DEP_3) | instskip(NEXT) | instid1(VALU_DEP_4)
	v_cndmask_b32_e32 v150, 0xff7fffff, v150, vcc_lo
	v_cndmask_b32_e64 v149, 0xff7fffff, v149, s2
	v_mul_f32_e32 v146, s33, v195
	v_cndmask_b32_e64 v148, 0xff7fffff, v148, s3
	v_cndmask_b32_e64 v147, 0xff7fffff, v147, s4
	v_or_b32_e32 v160, 16, v152
	v_max3_f32 v149, v150, 0xff7fffff, v149
	v_or_b32_e32 v161, 18, v152
	v_dual_mul_f32 v143, s33, v198 :: v_dual_mul_f32 v144, s33, v197
	v_cndmask_b32_e64 v146, 0xff7fffff, v146, s5
	v_cndmask_b32_e64 v145, 0xff7fffff, v145, s6
	v_max3_f32 v147, v149, v148, v147
	v_cmp_gt_i32_e64 s7, s28, v158
	v_cmp_gt_i32_e64 s8, s28, v159
	v_or_b32_e32 v162, 20, v152
	v_or_b32_e32 v163, 22, v152
	v_mul_f32_e32 v175, s33, v129
	v_cndmask_b32_e64 v144, 0xff7fffff, v144, s7
	v_cndmask_b32_e64 v143, 0xff7fffff, v143, s8
	v_max3_f32 v145, v147, v146, v145
	v_cmp_gt_i32_e64 s9, s28, v160
	v_cmp_gt_i32_e64 s10, s28, v161
	v_or_b32_e32 v164, 24, v152
	v_or_b32_e32 v165, 26, v152
	v_dual_mul_f32 v172, s33, v132 :: v_dual_mul_f32 v173, s33, v131
	v_cndmask_b32_e64 v146, 0xff7fffff, v175, s9
	v_cndmask_b32_e64 v147, 0xff7fffff, v174, s10
	v_max3_f32 v143, v145, v144, v143
	v_cmp_gt_i32_e64 s11, s28, v162
	v_cmp_gt_i32_e64 s12, s28, v163
	v_or_b32_e32 v166, 28, v152
	v_or_b32_e32 v167, 30, v152
	v_dual_mul_f32 v170, s33, v134 :: v_dual_mul_f32 v171, s33, v133
	v_cndmask_b32_e64 v144, 0xff7fffff, v173, s11
	v_cndmask_b32_e64 v145, 0xff7fffff, v172, s12
	v_max3_f32 v143, v143, v146, v147
	v_cmp_gt_i32_e64 s13, s28, v164
	v_cmp_gt_i32_e64 s15, s28, v165
	v_dual_mul_f32 v168, s33, v136 :: v_dual_mul_f32 v169, s33, v135
	s_delay_alu instid0(VALU_DEP_4) | instskip(NEXT) | instid1(VALU_DEP_4)
	v_max3_f32 v143, v143, v144, v145
	v_cndmask_b32_e64 v146, 0xff7fffff, v171, s13
	s_delay_alu instid0(VALU_DEP_4) | instskip(SKIP_3) | instid1(VALU_DEP_4)
	v_cndmask_b32_e64 v147, 0xff7fffff, v170, s15
	v_cmp_gt_i32_e64 s16, s28, v166
	v_cmp_gt_i32_e64 s17, s28, v167
	v_lshlrev_b32_e32 v154, 2, v151
	v_max3_f32 v143, v143, v146, v147
	s_delay_alu instid0(VALU_DEP_4) | instskip(NEXT) | instid1(VALU_DEP_4)
	v_cndmask_b32_e64 v144, 0xff7fffff, v169, s16
	v_cndmask_b32_e64 v145, 0xff7fffff, v168, s17
	s_delay_alu instid0(VALU_DEP_1) | instskip(SKIP_3) | instid1(VALU_DEP_1)
	v_max3_f32 v143, v143, v144, v145
	ds_bpermute_b32 v144, v154, v143
	s_waitcnt lgkmcnt(0)
	v_max_f32_e32 v144, v144, v144
	v_max_f32_e32 v153, v143, v144
	s_delay_alu instid0(VALU_DEP_1) | instskip(SKIP_4) | instid1(VALU_DEP_4)
	v_fma_f32 v143, s33, v191, -v153
	v_fma_f32 v144, s33, v192, -v153
	;; [unrolled: 1-line block ×5, first 2 shown]
	v_dual_mul_f32 v143, 0x3fb8aa3b, v143 :: v_dual_mul_f32 v144, 0x3fb8aa3b, v144
	s_delay_alu instid0(VALU_DEP_4) | instskip(SKIP_2) | instid1(VALU_DEP_4)
	v_mul_f32_e32 v130, 0x3fb8aa3b, v130
	v_fma_f32 v132, s33, v132, -v153
	v_mul_f32_e32 v145, 0x3fb8aa3b, v145
	v_exp_f32_e32 v143, v143
	v_exp_f32_e32 v147, v144
	v_fma_f32 v148, s33, v195, -v153
	v_mul_f32_e32 v132, 0x3fb8aa3b, v132
	v_mul_f32_e32 v146, 0x3fb8aa3b, v146
	v_exp_f32_e32 v145, v145
	v_fma_f32 v151, s33, v197, -v153
	v_mul_f32_e32 v148, 0x3fb8aa3b, v148
	v_fma_f32 v134, s33, v134, -v153
	v_exp_f32_e32 v149, v146
	v_cndmask_b32_e32 v144, 0, v143, vcc_lo
	v_fma_f32 v143, s33, v196, -v153
	v_cndmask_b32_e64 v146, 0, v147, s2
	v_exp_f32_e32 v148, v148
	s_delay_alu instid0(VALU_DEP_3) | instskip(NEXT) | instid1(VALU_DEP_3)
	v_dual_mul_f32 v151, 0x3fb8aa3b, v151 :: v_dual_add_f32 v150, 0, v144
	v_dual_mul_f32 v143, 0x3fb8aa3b, v143 :: v_dual_mul_f32 v134, 0x3fb8aa3b, v134
	v_cndmask_b32_e64 v147, 0, v145, s3
	s_delay_alu instid0(TRANS32_DEP_2) | instskip(NEXT) | instid1(VALU_DEP_4)
	v_cndmask_b32_e64 v149, 0, v149, s4
	v_add_f32_e32 v145, v150, v146
	v_fma_f32 v150, s33, v198, -v153
	v_exp_f32_e32 v143, v143
	v_fma_f32 v129, s33, v129, -v153
	v_exp_f32_e32 v155, v151
	s_delay_alu instid0(VALU_DEP_2) | instskip(SKIP_1) | instid1(VALU_DEP_3)
	v_dual_add_f32 v145, v145, v147 :: v_dual_mul_f32 v152, 0x3fb8aa3b, v150
	v_cndmask_b32_e64 v150, 0, v148, s5
	v_mul_f32_e32 v129, 0x3fb8aa3b, v129
	v_fma_f32 v131, s33, v131, -v153
	s_delay_alu instid0(VALU_DEP_4) | instskip(SKIP_1) | instid1(TRANS32_DEP_3)
	v_add_f32_e32 v145, v145, v149
	v_exp_f32_e32 v152, v152
	v_cndmask_b32_e64 v151, 0, v143, s6
	v_exp_f32_e32 v129, v129
	s_delay_alu instid0(TRANS32_DEP_3)
	v_cndmask_b32_e64 v148, 0, v155, s7
	v_add_f32_e32 v143, v145, v150
	v_mul_f32_e32 v131, 0x3fb8aa3b, v131
	v_exp_f32_e32 v130, v130
	v_fma_f32 v133, s33, v133, -v153
	v_fma_f32 v136, s33, v136, -v153
	v_add_f32_e32 v143, v143, v151
	v_cndmask_b32_e64 v152, 0, v152, s8
	v_exp_f32_e32 v145, v131
	v_cndmask_b32_e64 v131, 0, v129, s9
	v_mul_f32_e32 v133, 0x3fb8aa3b, v133
	v_add_f32_e32 v143, v143, v148
	v_cmp_gt_u32_e64 s2, 16, v142
	s_delay_alu instid0(VALU_DEP_2)
	v_add_f32_e32 v129, v143, v152
	v_exp_f32_e32 v143, v132
	v_cndmask_b32_e64 v132, 0, v130, s10
	v_fma_f32 v130, s33, v135, -v153
	v_exp_f32_e32 v135, v133
	v_add_f32_e32 v129, v129, v131
	v_cndmask_b32_e64 v133, 0, v145, s11
	v_exp_f32_e32 v145, v134
	s_delay_alu instid0(VALU_DEP_2) | instskip(NEXT) | instid1(TRANS32_DEP_3)
	v_dual_mul_f32 v130, 0x3fb8aa3b, v130 :: v_dual_add_f32 v129, v129, v132
	v_cndmask_b32_e64 v134, 0, v143, s12
	v_mul_f32_e32 v143, 0x3fb8aa3b, v136
	s_delay_alu instid0(VALU_DEP_3) | instskip(NEXT) | instid1(TRANS32_DEP_3)
	v_exp_f32_e32 v130, v130
	v_cndmask_b32_e64 v135, 0, v135, s13
	v_add_f32_e32 v129, v129, v133
	s_delay_alu instid0(TRANS32_DEP_2) | instskip(SKIP_1) | instid1(VALU_DEP_2)
	v_cndmask_b32_e64 v136, 0, v145, s15
	v_exp_f32_e32 v145, v143
	v_add_f32_e32 v129, v129, v134
	s_waitcnt_depctr 0xfff
	v_cndmask_b32_e64 v143, 0, v130, s16
	v_add_f32_e32 v129, v129, v135
	v_cndmask_b32_e64 v145, 0, v145, s17
	s_delay_alu instid0(VALU_DEP_2) | instskip(NEXT) | instid1(VALU_DEP_1)
	v_add_f32_e32 v129, v129, v136
	v_add_f32_e32 v129, v129, v143
	s_delay_alu instid0(VALU_DEP_1)
	v_add_f32_e32 v129, v129, v145
	ds_bpermute_b32 v130, v154, v129
	s_and_saveexec_b32 s3, s2
	s_cbranch_execz .LBB674_12
; %bb.11:
	v_mul_u32_u24_e32 v142, 0x44, v141
	s_waitcnt lgkmcnt(0)
	v_add_f32_e32 v129, v129, v130
	s_delay_alu instid0(VALU_DEP_2) | instskip(NEXT) | instid1(VALU_DEP_1)
	v_lshl_add_u32 v142, v140, 2, v142
	v_add_nc_u32_e32 v130, 0x4000, v142
	ds_store_2addr_b32 v130, v153, v129 offset1:136
.LBB674_12:
	s_or_b32 exec_lo, exec_lo, s3
	v_lshlrev_b32_e32 v129, 2, v140
	s_waitcnt lgkmcnt(0)
	s_barrier
	buffer_gl0_inv
	v_cmp_eq_u32_e64 s3, 1, v141
	v_add_nc_u32_e32 v142, 0x4000, v129
	ds_load_2addr_b32 v[153:154], v142 offset1:17
	ds_load_2addr_b32 v[155:156], v142 offset0:34 offset1:51
	ds_load_2addr_b32 v[157:158], v142 offset0:68 offset1:85
	;; [unrolled: 1-line block ×4, first 2 shown]
	s_waitcnt lgkmcnt(4)
	v_max3_f32 v129, v153, 0xff7fffff, v154
	s_waitcnt lgkmcnt(3)
	s_delay_alu instid0(VALU_DEP_1) | instskip(SKIP_1) | instid1(VALU_DEP_1)
	v_max3_f32 v129, v129, v155, v156
	s_waitcnt lgkmcnt(2)
	v_max3_f32 v129, v129, v157, v158
	s_waitcnt lgkmcnt(1)
	s_delay_alu instid0(VALU_DEP_1) | instskip(NEXT) | instid1(VALU_DEP_1)
	v_max3_f32 v129, v129, v159, v160
	v_sub_f32_e32 v163, v154, v129
	v_sub_f32_e32 v130, v153, v129
	ds_load_2addr_b32 v[153:154], v142 offset0:170 offset1:187
	v_sub_f32_e32 v155, v155, v129
	v_dual_mul_f32 v163, 0x3fb8aa3b, v163 :: v_dual_mul_f32 v130, 0x3fb8aa3b, v130
	s_delay_alu instid0(VALU_DEP_2) | instskip(NEXT) | instid1(VALU_DEP_2)
	v_mul_f32_e32 v165, 0x3fb8aa3b, v155
	v_exp_f32_e32 v163, v163
	s_delay_alu instid0(VALU_DEP_2)
	v_exp_f32_e32 v164, v130
	v_sub_f32_e32 v130, v156, v129
	ds_load_2addr_b32 v[155:156], v142 offset0:204 offset1:221
	v_exp_f32_e32 v165, v165
	v_mul_f32_e32 v166, 0x3fb8aa3b, v130
	s_waitcnt lgkmcnt(2)
	v_fma_f32 v130, v164, v161, 0
	v_sub_f32_e32 v157, v157, v129
	s_delay_alu instid0(VALU_DEP_3) | instskip(NEXT) | instid1(VALU_DEP_2)
	v_exp_f32_e32 v166, v166
	v_dual_sub_f32 v161, v158, v129 :: v_dual_fmac_f32 v130, v163, v162
	s_waitcnt lgkmcnt(1)
	s_waitcnt_depctr 0xfff
	v_fmac_f32_e32 v130, v165, v153
	v_mul_f32_e32 v167, 0x3fb8aa3b, v157
	ds_load_2addr_b32 v[157:158], v142 offset0:238 offset1:255
	v_sub_f32_e32 v142, v159, v129
	v_dual_sub_f32 v153, v160, v129 :: v_dual_fmac_f32 v130, v166, v154
	v_mul_f32_e32 v159, 0x3fb8aa3b, v161
	v_exp_f32_e32 v161, v167
	s_delay_alu instid0(VALU_DEP_2)
	v_dual_mul_f32 v142, 0x3fb8aa3b, v142 :: v_dual_mul_f32 v153, 0x3fb8aa3b, v153
	s_waitcnt lgkmcnt(0)
	s_barrier
	buffer_gl0_inv
	v_exp_f32_e32 v142, v142
	v_exp_f32_e32 v153, v153
	v_fmac_f32_e32 v130, v161, v155
	v_exp_f32_e32 v159, v159
	s_waitcnt_depctr 0xfff
	v_fmac_f32_e32 v130, v159, v156
	s_delay_alu instid0(VALU_DEP_1) | instskip(NEXT) | instid1(VALU_DEP_1)
	v_fmac_f32_e32 v130, v142, v157
	v_fmac_f32_e32 v130, v153, v158
	s_delay_alu instid0(VALU_DEP_1) | instskip(NEXT) | instid1(VALU_DEP_1)
	v_add_f32_e32 v154, 0x358637bd, v130
	v_div_scale_f32 v155, null, v154, v154, 1.0
	v_div_scale_f32 v158, vcc_lo, 1.0, v154, 1.0
	s_delay_alu instid0(VALU_DEP_2) | instskip(SKIP_2) | instid1(VALU_DEP_1)
	v_rcp_f32_e32 v156, v155
	s_waitcnt_depctr 0xfff
	v_fma_f32 v157, -v155, v156, 1.0
	v_fmac_f32_e32 v156, v157, v156
	v_cndmask_b32_e64 v157, v164, v163, s3
	v_cmp_eq_u32_e64 s3, 2, v141
	s_delay_alu instid0(VALU_DEP_3) | instskip(NEXT) | instid1(VALU_DEP_2)
	v_mul_f32_e32 v160, v158, v156
	v_cndmask_b32_e64 v157, v157, v165, s3
	v_cmp_eq_u32_e64 s3, 3, v141
	s_delay_alu instid0(VALU_DEP_3) | instskip(NEXT) | instid1(VALU_DEP_2)
	v_fma_f32 v162, -v155, v160, v158
	v_cndmask_b32_e64 v157, v157, v166, s3
	v_cmp_eq_u32_e64 s3, 4, v141
	s_delay_alu instid0(VALU_DEP_3) | instskip(NEXT) | instid1(VALU_DEP_2)
	v_fmac_f32_e32 v160, v162, v156
	v_cndmask_b32_e64 v157, v157, v161, s3
	s_delay_alu instid0(VALU_DEP_2) | instskip(SKIP_1) | instid1(VALU_DEP_2)
	v_fma_f32 v155, -v155, v160, v158
	v_cmp_eq_u32_e64 s3, 5, v141
	v_div_fmas_f32 v155, v155, v156, v160
	s_delay_alu instid0(VALU_DEP_2) | instskip(SKIP_2) | instid1(VALU_DEP_3)
	v_cndmask_b32_e64 v157, v157, v159, s3
	v_cmp_eq_u32_e32 vcc_lo, 6, v141
	s_mov_b32 s3, exec_lo
	v_div_fixup_f32 v154, v155, v154, 1.0
	s_delay_alu instid0(VALU_DEP_3) | instskip(SKIP_1) | instid1(VALU_DEP_2)
	v_cndmask_b32_e32 v142, v157, v142, vcc_lo
	v_cmp_eq_u32_e32 vcc_lo, 7, v141
	v_cndmask_b32_e32 v142, v142, v153, vcc_lo
	s_delay_alu instid0(VALU_DEP_1) | instskip(NEXT) | instid1(VALU_DEP_1)
	v_mul_f32_e32 v142, v142, v154
	v_mul_f32_e32 v153, v142, v149
	;; [unrolled: 1-line block ×7, first 2 shown]
	v_dual_mul_f32 v150, v142, v147 :: v_dual_and_b32 v155, 0x7f800000, v154
	v_mul_f32_e32 v149, v142, v146
                                        ; implicit-def: $vgpr146
	s_delay_alu instid0(VALU_DEP_2)
	v_cmpx_ne_u32_e32 0x7f800000, v155
	s_xor_b32 s3, exec_lo, s3
; %bb.13:
	v_bfe_u32 v146, v154, 16, 1
	s_delay_alu instid0(VALU_DEP_1)
	v_add3_u32 v146, v154, v146, 0x7fff
                                        ; implicit-def: $vgpr154
; %bb.14:
	s_and_not1_saveexec_b32 s3, s3
; %bb.15:
	v_and_b32_e32 v146, 0xffff, v154
	v_or_b32_e32 v147, 0x10000, v154
	s_delay_alu instid0(VALU_DEP_2) | instskip(NEXT) | instid1(VALU_DEP_2)
	v_cmp_eq_u32_e32 vcc_lo, 0, v146
	v_cndmask_b32_e32 v146, v147, v154, vcc_lo
; %bb.16:
	s_or_b32 exec_lo, exec_lo, s3
	v_and_b32_e32 v147, 0x7f800000, v149
	s_delay_alu instid0(VALU_DEP_1) | instskip(SKIP_1) | instid1(SALU_CYCLE_1)
	v_cmp_ne_u32_e32 vcc_lo, 0x7f800000, v147
                                        ; implicit-def: $vgpr147
	s_and_saveexec_b32 s3, vcc_lo
	s_xor_b32 s3, exec_lo, s3
; %bb.17:
	v_bfe_u32 v147, v149, 16, 1
	s_delay_alu instid0(VALU_DEP_1)
	v_add3_u32 v147, v149, v147, 0x7fff
                                        ; implicit-def: $vgpr149
; %bb.18:
	s_and_not1_saveexec_b32 s3, s3
; %bb.19:
	v_and_b32_e32 v147, 0xffff, v149
	v_or_b32_e32 v154, 0x10000, v149
	s_delay_alu instid0(VALU_DEP_2) | instskip(NEXT) | instid1(VALU_DEP_2)
	v_cmp_eq_u32_e32 vcc_lo, 0, v147
	v_cndmask_b32_e32 v147, v154, v149, vcc_lo
; %bb.20:
	s_or_b32 exec_lo, exec_lo, s3
	v_and_b32_e32 v149, 0x7f800000, v150
	s_delay_alu instid0(VALU_DEP_1) | instskip(SKIP_1) | instid1(SALU_CYCLE_1)
	v_cmp_ne_u32_e32 vcc_lo, 0x7f800000, v149
                                        ; implicit-def: $vgpr149
	s_and_saveexec_b32 s3, vcc_lo
	s_xor_b32 s3, exec_lo, s3
; %bb.21:
	v_bfe_u32 v149, v150, 16, 1
	s_delay_alu instid0(VALU_DEP_1)
	v_add3_u32 v149, v150, v149, 0x7fff
                                        ; implicit-def: $vgpr150
; %bb.22:
	s_and_not1_saveexec_b32 s3, s3
; %bb.23:
	v_and_b32_e32 v149, 0xffff, v150
	v_or_b32_e32 v154, 0x10000, v150
	s_delay_alu instid0(VALU_DEP_2) | instskip(NEXT) | instid1(VALU_DEP_2)
	v_cmp_eq_u32_e32 vcc_lo, 0, v149
	v_cndmask_b32_e32 v149, v154, v150, vcc_lo
; %bb.24:
	s_or_b32 exec_lo, exec_lo, s3
	v_and_b32_e32 v150, 0x7f800000, v153
	s_delay_alu instid0(VALU_DEP_1) | instskip(SKIP_1) | instid1(SALU_CYCLE_1)
	v_cmp_ne_u32_e32 vcc_lo, 0x7f800000, v150
                                        ; implicit-def: $vgpr150
	s_and_saveexec_b32 s3, vcc_lo
	s_xor_b32 s3, exec_lo, s3
; %bb.25:
	v_bfe_u32 v150, v153, 16, 1
	s_delay_alu instid0(VALU_DEP_1)
	v_add3_u32 v150, v153, v150, 0x7fff
                                        ; implicit-def: $vgpr153
; %bb.26:
	s_and_not1_saveexec_b32 s3, s3
; %bb.27:
	v_and_b32_e32 v150, 0xffff, v153
	v_or_b32_e32 v154, 0x10000, v153
	s_delay_alu instid0(VALU_DEP_2) | instskip(NEXT) | instid1(VALU_DEP_2)
	v_cmp_eq_u32_e32 vcc_lo, 0, v150
	v_cndmask_b32_e32 v150, v154, v153, vcc_lo
; %bb.28:
	s_or_b32 exec_lo, exec_lo, s3
	v_and_b32_e32 v153, 0x7f800000, v152
	s_delay_alu instid0(VALU_DEP_1) | instskip(SKIP_1) | instid1(SALU_CYCLE_1)
	v_cmp_ne_u32_e32 vcc_lo, 0x7f800000, v153
                                        ; implicit-def: $vgpr153
	s_and_saveexec_b32 s3, vcc_lo
	s_xor_b32 s3, exec_lo, s3
; %bb.29:
	v_bfe_u32 v153, v152, 16, 1
	s_delay_alu instid0(VALU_DEP_1)
	v_add3_u32 v153, v152, v153, 0x7fff
                                        ; implicit-def: $vgpr152
; %bb.30:
	s_and_not1_saveexec_b32 s3, s3
; %bb.31:
	v_and_b32_e32 v153, 0xffff, v152
	v_or_b32_e32 v154, 0x10000, v152
	s_delay_alu instid0(VALU_DEP_2) | instskip(NEXT) | instid1(VALU_DEP_2)
	v_cmp_eq_u32_e32 vcc_lo, 0, v153
	v_cndmask_b32_e32 v153, v154, v152, vcc_lo
; %bb.32:
	s_or_b32 exec_lo, exec_lo, s3
	v_and_b32_e32 v152, 0x7f800000, v151
	s_delay_alu instid0(VALU_DEP_1) | instskip(SKIP_1) | instid1(SALU_CYCLE_1)
	v_cmp_ne_u32_e32 vcc_lo, 0x7f800000, v152
                                        ; implicit-def: $vgpr152
	s_and_saveexec_b32 s3, vcc_lo
	s_xor_b32 s3, exec_lo, s3
; %bb.33:
	v_bfe_u32 v152, v151, 16, 1
	s_delay_alu instid0(VALU_DEP_1)
	v_add3_u32 v152, v151, v152, 0x7fff
                                        ; implicit-def: $vgpr151
; %bb.34:
	s_and_not1_saveexec_b32 s3, s3
; %bb.35:
	v_and_b32_e32 v152, 0xffff, v151
	v_or_b32_e32 v154, 0x10000, v151
	s_delay_alu instid0(VALU_DEP_2) | instskip(NEXT) | instid1(VALU_DEP_2)
	v_cmp_eq_u32_e32 vcc_lo, 0, v152
	v_cndmask_b32_e32 v152, v154, v151, vcc_lo
; %bb.36:
	s_or_b32 exec_lo, exec_lo, s3
	v_and_b32_e32 v151, 0x7f800000, v148
	s_delay_alu instid0(VALU_DEP_1) | instskip(SKIP_1) | instid1(SALU_CYCLE_1)
	v_cmp_ne_u32_e32 vcc_lo, 0x7f800000, v151
                                        ; implicit-def: $vgpr151
	s_and_saveexec_b32 s3, vcc_lo
	s_xor_b32 s3, exec_lo, s3
; %bb.37:
	v_bfe_u32 v151, v148, 16, 1
	s_delay_alu instid0(VALU_DEP_1)
	v_add3_u32 v151, v148, v151, 0x7fff
                                        ; implicit-def: $vgpr148
; %bb.38:
	s_and_not1_saveexec_b32 s3, s3
; %bb.39:
	v_and_b32_e32 v151, 0xffff, v148
	v_or_b32_e32 v154, 0x10000, v148
	s_delay_alu instid0(VALU_DEP_2) | instskip(NEXT) | instid1(VALU_DEP_2)
	v_cmp_eq_u32_e32 vcc_lo, 0, v151
	v_cndmask_b32_e32 v151, v154, v148, vcc_lo
; %bb.40:
	s_or_b32 exec_lo, exec_lo, s3
	v_and_b32_e32 v148, 0x7f800000, v144
	s_delay_alu instid0(VALU_DEP_1) | instskip(SKIP_1) | instid1(SALU_CYCLE_1)
	v_cmp_ne_u32_e32 vcc_lo, 0x7f800000, v148
                                        ; implicit-def: $vgpr148
	s_and_saveexec_b32 s3, vcc_lo
	s_xor_b32 s3, exec_lo, s3
; %bb.41:
	v_bfe_u32 v148, v144, 16, 1
	s_delay_alu instid0(VALU_DEP_1)
	v_add3_u32 v148, v144, v148, 0x7fff
                                        ; implicit-def: $vgpr144
; %bb.42:
	s_and_not1_saveexec_b32 s3, s3
; %bb.43:
	v_and_b32_e32 v148, 0xffff, v144
	v_or_b32_e32 v154, 0x10000, v144
	s_delay_alu instid0(VALU_DEP_2) | instskip(NEXT) | instid1(VALU_DEP_2)
	v_cmp_eq_u32_e32 vcc_lo, 0, v148
	v_cndmask_b32_e32 v148, v154, v144, vcc_lo
; %bb.44:
	s_or_b32 exec_lo, exec_lo, s3
	s_load_b64 s[34:35], s[0:1], 0x94
	v_lshlrev_b32_e32 v155, 4, v138
	s_delay_alu instid0(VALU_DEP_2)
	v_perm_b32 v154, v148, v151, 0x7060302
	v_mul_f32_e32 v148, v142, v131
	v_dual_mul_f32 v145, v142, v145 :: v_dual_lshlrev_b32 v144, 6, v140
	v_dual_mul_f32 v143, v142, v143 :: v_dual_lshlrev_b32 v156, 11, v141
	v_perm_b32 v153, v152, v153, 0x7060302
	v_perm_b32 v152, v150, v149, 0x7060302
	;; [unrolled: 1-line block ×3, first 2 shown]
	s_delay_alu instid0(VALU_DEP_4)
	v_or3_b32 v131, v155, v156, v144
	v_mul_f32_e32 v136, v142, v136
	v_dual_mul_f32 v146, v142, v134 :: v_dual_and_b32 v149, 0x7f800000, v148
	v_mul_f32_e32 v135, v142, v135
	v_mul_f32_e32 v147, v142, v133
	;; [unrolled: 1-line block ×3, first 2 shown]
	s_mov_b32 s3, exec_lo
	ds_store_b128 v131, v[151:154]
                                        ; implicit-def: $vgpr132
	v_cmpx_ne_u32_e32 0x7f800000, v149
	s_xor_b32 s3, exec_lo, s3
; %bb.45:
	v_bfe_u32 v132, v148, 16, 1
	s_delay_alu instid0(VALU_DEP_1)
	v_add3_u32 v132, v148, v132, 0x7fff
                                        ; implicit-def: $vgpr148
; %bb.46:
	s_and_not1_saveexec_b32 s3, s3
; %bb.47:
	v_and_b32_e32 v132, 0xffff, v148
	v_or_b32_e32 v133, 0x10000, v148
	s_delay_alu instid0(VALU_DEP_2) | instskip(NEXT) | instid1(VALU_DEP_2)
	v_cmp_eq_u32_e32 vcc_lo, 0, v132
	v_cndmask_b32_e32 v132, v133, v148, vcc_lo
; %bb.48:
	s_or_b32 exec_lo, exec_lo, s3
	v_and_b32_e32 v133, 0x7f800000, v134
	s_delay_alu instid0(VALU_DEP_1) | instskip(SKIP_1) | instid1(SALU_CYCLE_1)
	v_cmp_ne_u32_e32 vcc_lo, 0x7f800000, v133
                                        ; implicit-def: $vgpr133
	s_and_saveexec_b32 s3, vcc_lo
	s_xor_b32 s3, exec_lo, s3
; %bb.49:
	v_bfe_u32 v133, v134, 16, 1
	s_delay_alu instid0(VALU_DEP_1)
	v_add3_u32 v133, v134, v133, 0x7fff
                                        ; implicit-def: $vgpr134
; %bb.50:
	s_and_not1_saveexec_b32 s3, s3
; %bb.51:
	v_and_b32_e32 v133, 0xffff, v134
	v_or_b32_e32 v142, 0x10000, v134
	s_delay_alu instid0(VALU_DEP_2) | instskip(NEXT) | instid1(VALU_DEP_2)
	v_cmp_eq_u32_e32 vcc_lo, 0, v133
	v_cndmask_b32_e32 v133, v142, v134, vcc_lo
; %bb.52:
	s_or_b32 exec_lo, exec_lo, s3
	v_and_b32_e32 v134, 0x7f800000, v147
	s_delay_alu instid0(VALU_DEP_1) | instskip(SKIP_1) | instid1(SALU_CYCLE_1)
	v_cmp_ne_u32_e32 vcc_lo, 0x7f800000, v134
                                        ; implicit-def: $vgpr134
	s_and_saveexec_b32 s3, vcc_lo
	s_xor_b32 s3, exec_lo, s3
; %bb.53:
	v_bfe_u32 v134, v147, 16, 1
	s_delay_alu instid0(VALU_DEP_1)
	v_add3_u32 v134, v147, v134, 0x7fff
                                        ; implicit-def: $vgpr147
; %bb.54:
	s_and_not1_saveexec_b32 s3, s3
; %bb.55:
	v_and_b32_e32 v134, 0xffff, v147
	v_or_b32_e32 v142, 0x10000, v147
	s_delay_alu instid0(VALU_DEP_2) | instskip(NEXT) | instid1(VALU_DEP_2)
	v_cmp_eq_u32_e32 vcc_lo, 0, v134
	v_cndmask_b32_e32 v134, v142, v147, vcc_lo
; %bb.56:
	s_or_b32 exec_lo, exec_lo, s3
	v_and_b32_e32 v142, 0x7f800000, v146
	s_delay_alu instid0(VALU_DEP_1) | instskip(SKIP_1) | instid1(SALU_CYCLE_1)
	v_cmp_ne_u32_e32 vcc_lo, 0x7f800000, v142
                                        ; implicit-def: $vgpr142
	s_and_saveexec_b32 s3, vcc_lo
	s_xor_b32 s3, exec_lo, s3
; %bb.57:
	v_bfe_u32 v142, v146, 16, 1
	s_delay_alu instid0(VALU_DEP_1)
	v_add3_u32 v142, v146, v142, 0x7fff
                                        ; implicit-def: $vgpr146
; %bb.58:
	s_and_not1_saveexec_b32 s3, s3
; %bb.59:
	v_and_b32_e32 v142, 0xffff, v146
	v_or_b32_e32 v147, 0x10000, v146
	s_delay_alu instid0(VALU_DEP_2) | instskip(NEXT) | instid1(VALU_DEP_2)
	v_cmp_eq_u32_e32 vcc_lo, 0, v142
	v_cndmask_b32_e32 v142, v147, v146, vcc_lo
; %bb.60:
	s_or_b32 exec_lo, exec_lo, s3
	v_and_b32_e32 v146, 0x7f800000, v135
	s_delay_alu instid0(VALU_DEP_1) | instskip(SKIP_1) | instid1(SALU_CYCLE_1)
	v_cmp_ne_u32_e32 vcc_lo, 0x7f800000, v146
                                        ; implicit-def: $vgpr146
	s_and_saveexec_b32 s3, vcc_lo
	s_xor_b32 s3, exec_lo, s3
; %bb.61:
	v_bfe_u32 v146, v135, 16, 1
	s_delay_alu instid0(VALU_DEP_1)
	v_add3_u32 v146, v135, v146, 0x7fff
                                        ; implicit-def: $vgpr135
; %bb.62:
	s_and_not1_saveexec_b32 s3, s3
; %bb.63:
	v_and_b32_e32 v146, 0xffff, v135
	v_or_b32_e32 v147, 0x10000, v135
	s_delay_alu instid0(VALU_DEP_2) | instskip(NEXT) | instid1(VALU_DEP_2)
	v_cmp_eq_u32_e32 vcc_lo, 0, v146
	v_cndmask_b32_e32 v146, v147, v135, vcc_lo
; %bb.64:
	s_or_b32 exec_lo, exec_lo, s3
	v_and_b32_e32 v135, 0x7f800000, v136
	s_delay_alu instid0(VALU_DEP_1) | instskip(SKIP_1) | instid1(SALU_CYCLE_1)
	v_cmp_ne_u32_e32 vcc_lo, 0x7f800000, v135
                                        ; implicit-def: $vgpr135
	s_and_saveexec_b32 s3, vcc_lo
	s_xor_b32 s3, exec_lo, s3
; %bb.65:
	v_bfe_u32 v135, v136, 16, 1
	s_delay_alu instid0(VALU_DEP_1)
	v_add3_u32 v135, v136, v135, 0x7fff
                                        ; implicit-def: $vgpr136
; %bb.66:
	s_and_not1_saveexec_b32 s3, s3
; %bb.67:
	v_and_b32_e32 v135, 0xffff, v136
	v_or_b32_e32 v147, 0x10000, v136
	s_delay_alu instid0(VALU_DEP_2) | instskip(NEXT) | instid1(VALU_DEP_2)
	v_cmp_eq_u32_e32 vcc_lo, 0, v135
	v_cndmask_b32_e32 v135, v147, v136, vcc_lo
; %bb.68:
	s_or_b32 exec_lo, exec_lo, s3
	v_and_b32_e32 v136, 0x7f800000, v143
	s_delay_alu instid0(VALU_DEP_1) | instskip(SKIP_1) | instid1(SALU_CYCLE_1)
	v_cmp_ne_u32_e32 vcc_lo, 0x7f800000, v136
                                        ; implicit-def: $vgpr136
	s_and_saveexec_b32 s3, vcc_lo
	s_xor_b32 s3, exec_lo, s3
; %bb.69:
	v_bfe_u32 v136, v143, 16, 1
	s_delay_alu instid0(VALU_DEP_1)
	v_add3_u32 v136, v143, v136, 0x7fff
                                        ; implicit-def: $vgpr143
; %bb.70:
	s_and_not1_saveexec_b32 s3, s3
; %bb.71:
	v_and_b32_e32 v136, 0xffff, v143
	v_or_b32_e32 v147, 0x10000, v143
	s_delay_alu instid0(VALU_DEP_2) | instskip(NEXT) | instid1(VALU_DEP_2)
	v_cmp_eq_u32_e32 vcc_lo, 0, v136
	v_cndmask_b32_e32 v136, v147, v143, vcc_lo
; %bb.72:
	s_or_b32 exec_lo, exec_lo, s3
	v_and_b32_e32 v143, 0x7f800000, v145
	s_delay_alu instid0(VALU_DEP_1) | instskip(SKIP_1) | instid1(SALU_CYCLE_1)
	v_cmp_ne_u32_e32 vcc_lo, 0x7f800000, v143
                                        ; implicit-def: $vgpr143
	s_and_saveexec_b32 s3, vcc_lo
	s_xor_b32 s3, exec_lo, s3
; %bb.73:
	v_bfe_u32 v143, v145, 16, 1
	s_delay_alu instid0(VALU_DEP_1)
	v_add3_u32 v143, v145, v143, 0x7fff
                                        ; implicit-def: $vgpr145
; %bb.74:
	s_and_not1_saveexec_b32 s3, s3
; %bb.75:
	v_and_b32_e32 v143, 0xffff, v145
	v_or_b32_e32 v147, 0x10000, v145
	s_delay_alu instid0(VALU_DEP_2) | instskip(NEXT) | instid1(VALU_DEP_2)
	v_cmp_eq_u32_e32 vcc_lo, 0, v143
	v_cndmask_b32_e32 v143, v147, v145, vcc_lo
; %bb.76:
	s_or_b32 exec_lo, exec_lo, s3
	s_delay_alu instid0(VALU_DEP_1)
	v_perm_b32 v136, v143, v136, 0x7060302
	v_perm_b32 v135, v135, v146, 0x7060302
	;; [unrolled: 1-line block ×4, first 2 shown]
	v_lshl_or_b32 v145, v141, 11, v144
	v_lshlrev_b32_e32 v142, 2, v138
	ds_store_b128 v131, v[133:136] offset:1024
	s_waitcnt lgkmcnt(0)
	s_barrier
	buffer_gl0_inv
	ds_load_b128 v[132:135], v145
	ds_load_b128 v[147:150], v145 offset:16
	v_or_b32_e32 v143, 1, v142
	v_cmp_eq_u32_e64 s12, 1, v142
	v_cmp_eq_u32_e64 s11, 2, v142
	;; [unrolled: 1-line block ×3, first 2 shown]
	v_or_b32_e32 v141, 2, v142
	v_cmp_eq_u32_e64 s7, 1, v143
	v_cmp_eq_u32_e64 s6, 2, v143
	v_cmp_eq_u32_e64 s17, 4, v142
	v_cmp_eq_u32_e64 s5, 3, v143
	v_cmp_eq_u32_e64 s13, 5, v142
	v_cmp_eq_u32_e64 s8, 1, v141
	v_cmp_eq_u32_e64 s3, 4, v143
	v_cmp_eq_u32_e64 s15, 6, v142
	v_cmp_eq_u32_e32 vcc_lo, 5, v143
	v_cmp_eq_u32_e64 s10, 2, v141
	v_cmp_eq_u32_e64 s4, 6, v143
	;; [unrolled: 1-line block ×4, first 2 shown]
	s_waitcnt lgkmcnt(1)
	v_lshrrev_b32_e32 v136, 16, v132
	s_waitcnt lgkmcnt(0)
	v_lshrrev_b32_e32 v155, 16, v147
	v_lshrrev_b32_e32 v161, 16, v148
	;; [unrolled: 1-line block ×4, first 2 shown]
	v_cndmask_b32_e64 v146, v132, v136, s12
	v_cndmask_b32_e64 v151, v147, v155, s12
	;; [unrolled: 1-line block ×4, first 2 shown]
	v_lshrrev_b32_e32 v160, 16, v134
	v_cndmask_b32_e64 v146, v146, v133, s11
	v_cndmask_b32_e64 v151, v151, v148, s11
	;; [unrolled: 1-line block ×8, first 2 shown]
	v_lshrrev_b32_e32 v164, 16, v150
	v_cndmask_b32_e64 v153, v153, v161, s5
	v_cndmask_b32_e64 v146, v146, v134, s17
	;; [unrolled: 1-line block ×5, first 2 shown]
	v_lshrrev_b32_e32 v162, 16, v135
	v_cndmask_b32_e64 v146, v146, v160, s13
	v_cndmask_b32_e64 v151, v151, v163, s13
	v_cndmask_b32_e32 v152, v152, v160, vcc_lo
	v_cndmask_b32_e64 v153, v153, v149, s3
	v_cmp_eq_u32_e64 s19, 7, v143
	v_cndmask_b32_e64 v146, v146, v135, s15
	v_cndmask_b32_e64 v151, v151, v150, s15
	;; [unrolled: 1-line block ×4, first 2 shown]
	v_cmp_eq_u32_e64 s20, 4, v141
	v_cndmask_b32_e64 v165, v146, v162, s9
	v_cndmask_b32_e64 v166, v151, v164, s9
	;; [unrolled: 1-line block ×3, first 2 shown]
	v_or_b32_e32 v146, 3, v142
	v_cndmask_b32_e64 v167, v152, v162, s19
	v_cndmask_b32_e32 v156, v153, v163, vcc_lo
	v_cndmask_b32_e64 v158, v154, v134, s20
	v_cndmask_b32_e64 v157, v151, v148, s10
	ds_load_b128 v[151:154], v145 offset:1024
	v_cmp_eq_u32_e64 s21, 1, v146
	v_cmp_eq_u32_e64 s22, 5, v141
	;; [unrolled: 1-line block ×3, first 2 shown]
	v_cndmask_b32_e64 v157, v157, v161, s18
	v_cmp_eq_u32_e64 s24, 3, v146
	v_cndmask_b32_e64 v132, v132, v136, s21
	v_cndmask_b32_e64 v136, v156, v150, s4
	;; [unrolled: 1-line block ×5, first 2 shown]
	ds_load_b128 v[155:158], v145 offset:1040
	v_cndmask_b32_e64 v132, v132, v133, s23
	v_cmp_eq_u32_e64 s26, 4, v146
	v_cmp_eq_u32_e64 s28, 5, v146
	v_cndmask_b32_e64 v147, v147, v148, s23
	v_cmp_eq_u32_e64 s25, 6, v141
	v_cndmask_b32_e64 v132, v132, v159, s24
	;; [unrolled: 2-line block ×3, first 2 shown]
	v_cndmask_b32_e64 v147, v147, v161, s24
	s_waitcnt lgkmcnt(1)
	v_lshrrev_b32_e32 v159, 16, v151
	v_cndmask_b32_e64 v132, v132, v134, s26
	v_cndmask_b32_e64 v148, v168, v135, s25
	;; [unrolled: 1-line block ×6, first 2 shown]
	v_lshrrev_b32_e32 v160, 16, v152
	v_cndmask_b32_e64 v161, v151, v159, s7
	v_cndmask_b32_e64 v134, v134, v163, s28
	s_waitcnt lgkmcnt(0)
	v_lshrrev_b32_e32 v149, 16, v155
	v_cndmask_b32_e64 v147, v147, v152, s11
	v_cndmask_b32_e64 v132, v132, v135, s29
	v_cmp_eq_u32_e64 s27, 7, v141
	v_cndmask_b32_e64 v134, v134, v150, s29
	v_cndmask_b32_e64 v163, v155, v149, s12
	;; [unrolled: 1-line block ×4, first 2 shown]
	v_lshrrev_b32_e32 v161, 16, v156
	v_cndmask_b32_e64 v136, v136, v164, s19
	v_cndmask_b32_e64 v150, v163, v156, s11
	v_cmp_eq_u32_e64 s11, 7, v146
	v_cndmask_b32_e64 v147, v147, v160, s5
	v_cndmask_b32_e64 v135, v135, v153, s17
	v_lshrrev_b32_e32 v163, 16, v153
	v_cndmask_b32_e64 v150, v150, v161, s16
	v_cndmask_b32_e64 v132, v132, v162, s11
	;; [unrolled: 1-line block ×8, first 2 shown]
	v_lshrrev_b32_e32 v164, 16, v157
	v_perm_b32 v135, v134, v132, 0x5040100
	v_cndmask_b32_e32 v132, v147, v163, vcc_lo
	v_cndmask_b32_e64 v147, v162, v154, s15
	v_lshrrev_b32_e32 v162, 16, v154
	v_cndmask_b32_e64 v150, v150, v164, s13
	v_perm_b32 v134, v133, v148, 0x5040100
	v_cndmask_b32_e64 v132, v132, v154, s4
	v_perm_b32 v133, v136, v167, 0x5040100
	v_cndmask_b32_e64 v136, v147, v162, s9
	v_cndmask_b32_e64 v147, v150, v158, s15
	;; [unrolled: 1-line block ×27, first 2 shown]
	v_cndmask_b32_e32 v149, v149, v164, vcc_lo
	v_lshrrev_b32_e32 v148, 16, v158
	v_cndmask_b32_e64 v132, v132, v154, s25
	v_cndmask_b32_e64 v150, v150, v154, s29
	;; [unrolled: 1-line block ×11, first 2 shown]
	v_perm_b32 v132, v166, v165, 0x5040100
	v_perm_b32 v150, v151, v150, 0x5040100
	;; [unrolled: 1-line block ×5, first 2 shown]
	s_mul_i32 s8, s35, 5
	s_mov_b32 s3, exec_lo
	ds_store_b128 v131, v[132:135]
	ds_store_b128 v131, v[147:150] offset:1024
	v_cmpx_gt_u32_e32 5, v0
	s_cbranch_execz .LBB674_78
; %bb.77:
	s_mul_i32 s4, s8, s30
	s_delay_alu instid0(SALU_CYCLE_1) | instskip(SKIP_1) | instid1(VALU_DEP_1)
	v_add3_u32 v133, s4, s31, v140
	s_load_b128 s[4:7], s[0:1], 0x58
	v_mad_u64_u32 v[131:132], null, v133, s34, s[14:15]
	s_delay_alu instid0(VALU_DEP_1) | instskip(NEXT) | instid1(VALU_DEP_1)
	v_ashrrev_i32_e32 v132, 31, v131
	v_lshlrev_b64 v[131:132], 2, v[131:132]
	s_waitcnt lgkmcnt(0)
	s_delay_alu instid0(VALU_DEP_1) | instskip(NEXT) | instid1(VALU_DEP_2)
	v_add_co_u32 v133, vcc_lo, s6, v131
	v_add_co_ci_u32_e32 v134, vcc_lo, s7, v132, vcc_lo
	v_add_co_u32 v131, vcc_lo, s4, v131
	v_add_co_ci_u32_e32 v132, vcc_lo, s5, v132, vcc_lo
	global_store_b32 v[133:134], v129, off
	global_store_b32 v[131:132], v130, off
.LBB674_78:
	s_or_b32 exec_lo, exec_lo, s3
	s_waitcnt lgkmcnt(0)
	s_waitcnt_vscnt null, 0x0
	s_barrier
	buffer_gl0_inv
	ds_load_b128 v[147:150], v144
	ds_load_b128 v[151:154], v144 offset:16
	ds_load_b128 v[159:162], v144 offset:1040
	;; [unrolled: 1-line block ×3, first 2 shown]
	v_mov_b32_e32 v129, 0
	ds_load_b128 v[167:170], v144 offset:2064
	ds_load_b128 v[163:166], v144 offset:2048
	;; [unrolled: 1-line block ×6, first 2 shown]
	v_mov_b32_e32 v130, v129
	v_mov_b32_e32 v131, v129
	;; [unrolled: 1-line block ×7, first 2 shown]
	s_waitcnt lgkmcnt(8)
	s_delay_alu instid0(VALU_DEP_1)
	v_wmma_f32_16x16x16_bf16 v[129:136], v[121:128], v[147:154], v[129:136]
	ds_load_b128 v[125:128], v144 offset:5136
	ds_load_b128 v[121:124], v144 offset:5120
	s_waitcnt lgkmcnt(8)
	v_wmma_f32_16x16x16_bf16 v[129:136], v[113:120], v[155:162], v[129:136]
	ds_load_b128 v[117:120], v144 offset:6160
	ds_load_b128 v[113:116], v144 offset:6144
	s_waitcnt lgkmcnt(8)
	;; [unrolled: 4-line block ×8, first 2 shown]
	v_wmma_f32_16x16x16_bf16 v[129:136], v[65:72], v[97:104], v[129:136]
	s_waitcnt lgkmcnt(6)
	s_delay_alu instid0(VALU_DEP_1)
	v_wmma_f32_16x16x16_bf16 v[129:136], v[49:56], v[89:96], v[129:136]
	ds_load_b128 v[53:56], v144 offset:13328
	ds_load_b128 v[49:52], v144 offset:13312
	s_waitcnt lgkmcnt(6)
	v_wmma_f32_16x16x16_bf16 v[129:136], v[41:48], v[81:88], v[129:136]
	ds_load_b128 v[45:48], v144 offset:14352
	ds_load_b128 v[41:44], v144 offset:14336
	s_waitcnt lgkmcnt(6)
	;; [unrolled: 4-line block ×3, first 2 shown]
	v_wmma_f32_16x16x16_bf16 v[129:136], v[1:8], v[57:64], v[129:136]
	s_waitcnt lgkmcnt(4)
	s_delay_alu instid0(VALU_DEP_1) | instskip(SKIP_1) | instid1(VALU_DEP_1)
	v_wmma_f32_16x16x16_bf16 v[129:136], v[25:32], v[49:56], v[129:136]
	s_waitcnt lgkmcnt(2)
	v_wmma_f32_16x16x16_bf16 v[129:136], v[33:40], v[41:48], v[129:136]
	s_waitcnt lgkmcnt(0)
	s_delay_alu instid0(VALU_DEP_1) | instskip(NEXT) | instid1(VALU_DEP_1)
	v_wmma_f32_16x16x16_bf16 v[129:136], v[9:16], v[17:24], v[129:136]
	v_and_b32_e32 v1, 0x7f800000, v129
	s_delay_alu instid0(VALU_DEP_1) | instskip(SKIP_1) | instid1(SALU_CYCLE_1)
	v_cmp_ne_u32_e32 vcc_lo, 0x7f800000, v1
                                        ; implicit-def: $vgpr1
	s_and_saveexec_b32 s3, vcc_lo
	s_xor_b32 s3, exec_lo, s3
; %bb.79:
	v_bfe_u32 v1, v129, 16, 1
	s_delay_alu instid0(VALU_DEP_1)
	v_add3_u32 v1, v129, v1, 0x7fff
; %bb.80:
	s_and_not1_saveexec_b32 s3, s3
; %bb.81:
	v_and_b32_e32 v1, 0xffff, v129
	v_or_b32_e32 v2, 0x10000, v129
	s_delay_alu instid0(VALU_DEP_2) | instskip(NEXT) | instid1(VALU_DEP_2)
	v_cmp_eq_u32_e32 vcc_lo, 0, v1
	v_cndmask_b32_e32 v1, v2, v129, vcc_lo
; %bb.82:
	s_or_b32 exec_lo, exec_lo, s3
	v_and_b32_e32 v2, 0x7f800000, v130
	s_delay_alu instid0(VALU_DEP_1) | instskip(SKIP_1) | instid1(SALU_CYCLE_1)
	v_cmp_ne_u32_e32 vcc_lo, 0x7f800000, v2
                                        ; implicit-def: $vgpr2
	s_and_saveexec_b32 s3, vcc_lo
	s_xor_b32 s3, exec_lo, s3
; %bb.83:
	v_bfe_u32 v2, v130, 16, 1
	s_delay_alu instid0(VALU_DEP_1)
	v_add3_u32 v2, v130, v2, 0x7fff
; %bb.84:
	s_and_not1_saveexec_b32 s3, s3
; %bb.85:
	v_and_b32_e32 v2, 0xffff, v130
	v_or_b32_e32 v3, 0x10000, v130
	s_delay_alu instid0(VALU_DEP_2) | instskip(NEXT) | instid1(VALU_DEP_2)
	v_cmp_eq_u32_e32 vcc_lo, 0, v2
	v_cndmask_b32_e32 v2, v3, v130, vcc_lo
; %bb.86:
	s_or_b32 exec_lo, exec_lo, s3
	v_and_b32_e32 v3, 0x7f800000, v131
	s_delay_alu instid0(VALU_DEP_1) | instskip(SKIP_1) | instid1(SALU_CYCLE_1)
	v_cmp_ne_u32_e32 vcc_lo, 0x7f800000, v3
                                        ; implicit-def: $vgpr3
	s_and_saveexec_b32 s3, vcc_lo
	s_xor_b32 s3, exec_lo, s3
; %bb.87:
	v_bfe_u32 v3, v131, 16, 1
	s_delay_alu instid0(VALU_DEP_1)
	v_add3_u32 v3, v131, v3, 0x7fff
; %bb.88:
	s_and_not1_saveexec_b32 s3, s3
; %bb.89:
	v_and_b32_e32 v3, 0xffff, v131
	v_or_b32_e32 v4, 0x10000, v131
	s_delay_alu instid0(VALU_DEP_2) | instskip(NEXT) | instid1(VALU_DEP_2)
	v_cmp_eq_u32_e32 vcc_lo, 0, v3
	v_cndmask_b32_e32 v3, v4, v131, vcc_lo
; %bb.90:
	s_or_b32 exec_lo, exec_lo, s3
	v_and_b32_e32 v4, 0x7f800000, v132
	s_delay_alu instid0(VALU_DEP_1) | instskip(SKIP_1) | instid1(SALU_CYCLE_1)
	v_cmp_ne_u32_e32 vcc_lo, 0x7f800000, v4
                                        ; implicit-def: $vgpr4
	s_and_saveexec_b32 s3, vcc_lo
	s_xor_b32 s3, exec_lo, s3
; %bb.91:
	v_bfe_u32 v4, v132, 16, 1
	s_delay_alu instid0(VALU_DEP_1)
	v_add3_u32 v4, v132, v4, 0x7fff
; %bb.92:
	s_and_not1_saveexec_b32 s3, s3
; %bb.93:
	v_and_b32_e32 v4, 0xffff, v132
	v_or_b32_e32 v5, 0x10000, v132
	s_delay_alu instid0(VALU_DEP_2) | instskip(NEXT) | instid1(VALU_DEP_2)
	v_cmp_eq_u32_e32 vcc_lo, 0, v4
	v_cndmask_b32_e32 v4, v5, v132, vcc_lo
; %bb.94:
	s_or_b32 exec_lo, exec_lo, s3
	v_and_b32_e32 v5, 0x7f800000, v133
	s_delay_alu instid0(VALU_DEP_1) | instskip(SKIP_1) | instid1(SALU_CYCLE_1)
	v_cmp_ne_u32_e32 vcc_lo, 0x7f800000, v5
                                        ; implicit-def: $vgpr5
	s_and_saveexec_b32 s3, vcc_lo
	s_xor_b32 s3, exec_lo, s3
; %bb.95:
	v_bfe_u32 v5, v133, 16, 1
	s_delay_alu instid0(VALU_DEP_1)
	v_add3_u32 v5, v133, v5, 0x7fff
; %bb.96:
	s_and_not1_saveexec_b32 s3, s3
; %bb.97:
	v_and_b32_e32 v5, 0xffff, v133
	v_or_b32_e32 v6, 0x10000, v133
	s_delay_alu instid0(VALU_DEP_2) | instskip(NEXT) | instid1(VALU_DEP_2)
	v_cmp_eq_u32_e32 vcc_lo, 0, v5
	v_cndmask_b32_e32 v5, v6, v133, vcc_lo
; %bb.98:
	s_or_b32 exec_lo, exec_lo, s3
	v_and_b32_e32 v6, 0x7f800000, v134
	s_delay_alu instid0(VALU_DEP_1) | instskip(SKIP_1) | instid1(SALU_CYCLE_1)
	v_cmp_ne_u32_e32 vcc_lo, 0x7f800000, v6
                                        ; implicit-def: $vgpr6
	s_and_saveexec_b32 s3, vcc_lo
	s_xor_b32 s3, exec_lo, s3
; %bb.99:
	v_bfe_u32 v6, v134, 16, 1
	s_delay_alu instid0(VALU_DEP_1)
	v_add3_u32 v6, v134, v6, 0x7fff
; %bb.100:
	s_and_not1_saveexec_b32 s3, s3
; %bb.101:
	v_and_b32_e32 v6, 0xffff, v134
	v_or_b32_e32 v7, 0x10000, v134
	s_delay_alu instid0(VALU_DEP_2) | instskip(NEXT) | instid1(VALU_DEP_2)
	v_cmp_eq_u32_e32 vcc_lo, 0, v6
	v_cndmask_b32_e32 v6, v7, v134, vcc_lo
; %bb.102:
	s_or_b32 exec_lo, exec_lo, s3
	v_and_b32_e32 v7, 0x7f800000, v135
	s_delay_alu instid0(VALU_DEP_1) | instskip(SKIP_1) | instid1(SALU_CYCLE_1)
	v_cmp_ne_u32_e32 vcc_lo, 0x7f800000, v7
                                        ; implicit-def: $vgpr7
	s_and_saveexec_b32 s3, vcc_lo
	s_xor_b32 s3, exec_lo, s3
; %bb.103:
	v_bfe_u32 v7, v135, 16, 1
	s_delay_alu instid0(VALU_DEP_1)
	v_add3_u32 v7, v135, v7, 0x7fff
; %bb.104:
	s_and_not1_saveexec_b32 s3, s3
; %bb.105:
	v_and_b32_e32 v7, 0xffff, v135
	v_or_b32_e32 v8, 0x10000, v135
	s_delay_alu instid0(VALU_DEP_2) | instskip(NEXT) | instid1(VALU_DEP_2)
	v_cmp_eq_u32_e32 vcc_lo, 0, v7
	v_cndmask_b32_e32 v7, v8, v135, vcc_lo
; %bb.106:
	s_or_b32 exec_lo, exec_lo, s3
	v_and_b32_e32 v8, 0x7f800000, v136
	s_delay_alu instid0(VALU_DEP_1) | instskip(SKIP_1) | instid1(SALU_CYCLE_1)
	v_cmp_ne_u32_e32 vcc_lo, 0x7f800000, v8
                                        ; implicit-def: $vgpr8
	s_and_saveexec_b32 s3, vcc_lo
	s_xor_b32 s3, exec_lo, s3
; %bb.107:
	v_bfe_u32 v8, v136, 16, 1
	s_delay_alu instid0(VALU_DEP_1)
	v_add3_u32 v8, v136, v8, 0x7fff
                                        ; implicit-def: $vgpr129_vgpr130_vgpr131_vgpr132_vgpr133_vgpr134_vgpr135_vgpr136
; %bb.108:
	s_and_not1_saveexec_b32 s3, s3
; %bb.109:
	v_and_b32_e32 v8, 0xffff, v136
	v_or_b32_e32 v9, 0x10000, v136
	s_delay_alu instid0(VALU_DEP_2) | instskip(NEXT) | instid1(VALU_DEP_2)
	v_cmp_eq_u32_e32 vcc_lo, 0, v8
	v_cndmask_b32_e32 v8, v9, v136, vcc_lo
; %bb.110:
	s_or_b32 exec_lo, exec_lo, s3
	s_delay_alu instid0(VALU_DEP_1)
	v_perm_b32 v7, v8, v7, 0x7060302
	v_perm_b32 v6, v6, v5, 0x7060302
	;; [unrolled: 1-line block ×4, first 2 shown]
	v_lshl_or_b32 v9, v138, 4, v145
	s_barrier
	buffer_gl0_inv
	v_cmp_eq_u32_e32 vcc_lo, 1, v142
	ds_store_b128 v9, v[4:7]
	s_waitcnt lgkmcnt(0)
	s_barrier
	buffer_gl0_inv
	ds_load_b128 v[1:4], v145
	ds_load_b128 v[5:8], v145 offset:16
	v_cmp_eq_u32_e64 s4, 2, v142
	v_cmp_eq_u32_e64 s3, 1, v143
	;; [unrolled: 1-line block ×5, first 2 shown]
	s_waitcnt lgkmcnt(1)
	v_lshrrev_b32_e32 v10, 16, v1
	s_waitcnt lgkmcnt(0)
	v_lshrrev_b32_e32 v14, 16, v5
	v_lshrrev_b32_e32 v15, 16, v6
	;; [unrolled: 1-line block ×4, first 2 shown]
	v_cndmask_b32_e64 v20, v1, v10, s3
	v_cndmask_b32_e32 v19, v5, v14, vcc_lo
	v_cndmask_b32_e64 v21, v5, v14, s3
	v_lshrrev_b32_e32 v16, 16, v7
	v_cmp_eq_u32_e64 s3, 1, v141
	v_lshrrev_b32_e32 v13, 16, v4
	v_cndmask_b32_e64 v19, v19, v6, s4
	v_lshrrev_b32_e32 v17, 16, v8
	s_delay_alu instid0(VALU_DEP_4) | instskip(SKIP_1) | instid1(VALU_DEP_4)
	v_cndmask_b32_e64 v22, v1, v10, s3
	v_cndmask_b32_e64 v23, v5, v14, s3
	;; [unrolled: 1-line block ×3, first 2 shown]
	v_cndmask_b32_e32 v18, v1, v10, vcc_lo
	v_cmp_eq_u32_e32 vcc_lo, 2, v143
	v_cmp_eq_u32_e64 s3, 2, v146
	v_cndmask_b32_e64 v22, v22, v2, s7
	v_cndmask_b32_e32 v20, v20, v2, vcc_lo
	v_cndmask_b32_e32 v21, v21, v6, vcc_lo
	v_cmp_eq_u32_e32 vcc_lo, 4, v142
	v_cndmask_b32_e32 v19, v19, v7, vcc_lo
	v_cndmask_b32_e64 v18, v18, v2, s4
	v_cmp_eq_u32_e64 s4, 3, v143
	s_delay_alu instid0(VALU_DEP_2) | instskip(NEXT) | instid1(VALU_DEP_2)
	v_cndmask_b32_e64 v18, v18, v11, s5
	v_cndmask_b32_e64 v21, v21, v15, s4
	v_cmp_eq_u32_e64 s5, 5, v142
	s_delay_alu instid0(VALU_DEP_3) | instskip(SKIP_1) | instid1(VALU_DEP_3)
	v_cndmask_b32_e32 v18, v18, v3, vcc_lo
	v_cmp_eq_u32_e32 vcc_lo, 4, v143
	v_cndmask_b32_e64 v19, v19, v16, s5
	s_delay_alu instid0(VALU_DEP_3) | instskip(SKIP_4) | instid1(VALU_DEP_3)
	v_cndmask_b32_e64 v18, v18, v12, s5
	v_cndmask_b32_e32 v21, v21, v7, vcc_lo
	v_cndmask_b32_e64 v20, v20, v11, s4
	v_cmp_eq_u32_e64 s4, 5, v143
	v_cmp_eq_u32_e64 s5, 6, v142
	v_cndmask_b32_e32 v20, v20, v3, vcc_lo
	s_delay_alu instid0(VALU_DEP_3) | instskip(SKIP_1) | instid1(VALU_DEP_4)
	v_cndmask_b32_e64 v21, v21, v16, s4
	v_cmp_eq_u32_e32 vcc_lo, 6, v143
	v_cndmask_b32_e64 v18, v18, v4, s5
	v_cndmask_b32_e64 v19, v19, v8, s5
	;; [unrolled: 1-line block ×3, first 2 shown]
	v_cmp_eq_u32_e64 s4, 1, v146
	v_cmp_eq_u32_e64 s5, 7, v142
	s_delay_alu instid0(VALU_DEP_3) | instskip(NEXT) | instid1(VALU_DEP_3)
	v_cndmask_b32_e32 v20, v20, v4, vcc_lo
	v_cndmask_b32_e64 v1, v1, v10, s4
	v_cndmask_b32_e64 v5, v5, v14, s4
	v_cmp_eq_u32_e64 s4, 3, v141
	v_cndmask_b32_e64 v14, v23, v6, s7
	v_cmp_eq_u32_e64 s7, 3, v146
	v_cndmask_b32_e64 v1, v1, v2, s3
	v_cndmask_b32_e64 v2, v5, v6, s3
	;; [unrolled: 1-line block ×3, first 2 shown]
	v_cmp_eq_u32_e64 s3, 4, v141
	v_cndmask_b32_e64 v6, v14, v15, s4
	v_cndmask_b32_e64 v1, v1, v11, s7
	v_cmp_eq_u32_e64 s4, 4, v146
	v_cndmask_b32_e64 v2, v2, v15, s7
	v_cndmask_b32_e64 v5, v10, v3, s3
	;; [unrolled: 3-line block ×3, first 2 shown]
	v_cndmask_b32_e64 v2, v2, v7, s4
	v_cmp_eq_u32_e64 s3, 5, v146
	v_cndmask_b32_e64 v5, v5, v12, s7
	v_cmp_eq_u32_e64 s4, 6, v141
	;; [unrolled: 2-line block ×3, first 2 shown]
	v_cndmask_b32_e64 v1, v1, v12, s3
	v_cndmask_b32_e64 v2, v2, v16, s3
	;; [unrolled: 1-line block ×4, first 2 shown]
	v_cmp_eq_u32_e64 s3, 7, v146
	v_cndmask_b32_e64 v1, v1, v4, s7
	v_cndmask_b32_e64 v2, v2, v8, s7
	v_cmp_eq_u32_e64 s4, 7, v141
	v_cndmask_b32_e32 v4, v21, v8, vcc_lo
	v_cndmask_b32_e64 v18, v18, v13, s5
	v_cndmask_b32_e64 v20, v20, v13, s6
	;; [unrolled: 1-line block ×8, first 2 shown]
	s_mov_b32 s3, exec_lo
	v_perm_b32 v4, v2, v1, 0x5040100
	v_perm_b32 v3, v3, v5, 0x5040100
	;; [unrolled: 1-line block ×4, first 2 shown]
	ds_store_b128 v9, v[1:4]
	s_waitcnt lgkmcnt(0)
	s_barrier
	buffer_gl0_inv
	v_cmpx_gt_u32_e32 32, v0
	s_cbranch_execz .LBB674_2
; %bb.111:
	s_load_b64 s[4:5], s[0:1], 0x68
	v_lshlrev_b32_e32 v0, 10, v0
	v_add_nc_u32_e32 v2, s31, v138
	v_lshlrev_b32_e32 v3, 4, v139
	s_lshl_b32 s0, s34, 7
	s_delay_alu instid0(SALU_CYCLE_1) | instskip(NEXT) | instid1(VALU_DEP_2)
	s_mul_i32 s1, s0, s30
	v_mul_lo_u32 v1, v2, s0
	s_delay_alu instid0(VALU_DEP_2) | instskip(SKIP_2) | instid1(SALU_CYCLE_1)
	v_and_or_b32 v0, 0x3800, v0, v3
	v_add_nc_u32_e32 v2, 2, v2
	s_mul_i32 s6, s1, s8
	s_ashr_i32 s7, s6, 31
	s_delay_alu instid0(VALU_DEP_2)
	v_lshl_or_b32 v7, v138, 6, v0
	s_lshl_b64 s[6:7], s[6:7], 1
	v_mul_lo_u32 v11, v2, s0
	v_ashrrev_i32_e32 v2, 31, v1
	ds_load_b128 v[3:6], v7
	ds_load_b128 v[7:10], v7 offset:128
	s_waitcnt lgkmcnt(0)
	s_add_u32 s1, s4, s6
	s_addc_u32 s3, s5, s7
	s_lshl_b32 s4, s14, 7
	v_ashrrev_i32_e32 v12, 31, v11
	s_ashr_i32 s5, s4, 31
	v_lshlrev_b64 v[13:14], 1, v[1:2]
	s_lshl_b64 s[4:5], s[4:5], 1
	s_delay_alu instid0(SALU_CYCLE_1) | instskip(SKIP_2) | instid1(VALU_DEP_1)
	s_add_u32 s1, s1, s4
	s_addc_u32 s3, s3, s5
	v_add_co_u32 v1, s1, s1, v137
	v_add_co_ci_u32_e64 v2, null, s3, 0, s1
	v_lshlrev_b64 v[11:12], 1, v[11:12]
	s_delay_alu instid0(VALU_DEP_3) | instskip(NEXT) | instid1(VALU_DEP_3)
	v_add_co_u32 v13, vcc_lo, v1, v13
	v_add_co_ci_u32_e32 v14, vcc_lo, v2, v14, vcc_lo
	s_delay_alu instid0(VALU_DEP_3) | instskip(NEXT) | instid1(VALU_DEP_4)
	v_add_co_u32 v11, vcc_lo, v1, v11
	v_add_co_ci_u32_e32 v12, vcc_lo, v2, v12, vcc_lo
	s_clause 0x1
	global_store_b128 v[13:14], v[3:6], off
	global_store_b128 v[11:12], v[7:10], off
	s_and_b32 exec_lo, exec_lo, s2
	s_cbranch_execz .LBB674_2
; %bb.112:
	ds_load_b128 v[3:6], v0 offset:256
	s_add_i32 s1, s31, 4
	s_delay_alu instid0(SALU_CYCLE_1) | instskip(NEXT) | instid1(SALU_CYCLE_1)
	s_mul_i32 s0, s1, s0
	s_ashr_i32 s1, s0, 31
	s_delay_alu instid0(SALU_CYCLE_1) | instskip(NEXT) | instid1(SALU_CYCLE_1)
	s_lshl_b64 s[0:1], s[0:1], 1
	v_add_co_u32 v0, vcc_lo, v1, s0
	v_add_co_ci_u32_e32 v1, vcc_lo, s1, v2, vcc_lo
	s_waitcnt lgkmcnt(0)
	global_store_b128 v[0:1], v[3:6], off
	s_nop 0
	s_sendmsg sendmsg(MSG_DEALLOC_VGPRS)
	s_endpgm
	.section	.rodata,"a",@progbits
	.p2align	6, 0x0
	.amdhsa_kernel _Z39paged_attention_ll4mi_QKV_mfma16_kernelI14__hip_bfloat16S0_LN4vllm18Fp8KVCacheDataTypeE0ES0_Li16ELi128ELi256ELb0ELi5EL8MFMAType0EEvPKT_PKT0_S9_ifPKiSB_SB_iPKfiiiPfSE_PS4_PT2_iSD_SD_
		.amdhsa_group_segment_fixed_size 17472
		.amdhsa_private_segment_fixed_size 0
		.amdhsa_kernarg_size 400
		.amdhsa_user_sgpr_count 13
		.amdhsa_user_sgpr_dispatch_ptr 0
		.amdhsa_user_sgpr_queue_ptr 0
		.amdhsa_user_sgpr_kernarg_segment_ptr 1
		.amdhsa_user_sgpr_dispatch_id 0
		.amdhsa_user_sgpr_private_segment_size 0
		.amdhsa_wavefront_size32 1
		.amdhsa_uses_dynamic_stack 0
		.amdhsa_enable_private_segment 0
		.amdhsa_system_sgpr_workgroup_id_x 1
		.amdhsa_system_sgpr_workgroup_id_y 1
		.amdhsa_system_sgpr_workgroup_id_z 1
		.amdhsa_system_sgpr_workgroup_info 0
		.amdhsa_system_vgpr_workitem_id 0
		.amdhsa_next_free_vgpr 218
		.amdhsa_next_free_sgpr 50
		.amdhsa_reserve_vcc 1
		.amdhsa_float_round_mode_32 0
		.amdhsa_float_round_mode_16_64 0
		.amdhsa_float_denorm_mode_32 3
		.amdhsa_float_denorm_mode_16_64 3
		.amdhsa_dx10_clamp 1
		.amdhsa_ieee_mode 1
		.amdhsa_fp16_overflow 0
		.amdhsa_workgroup_processor_mode 1
		.amdhsa_memory_ordered 1
		.amdhsa_forward_progress 0
		.amdhsa_shared_vgpr_count 0
		.amdhsa_exception_fp_ieee_invalid_op 0
		.amdhsa_exception_fp_denorm_src 0
		.amdhsa_exception_fp_ieee_div_zero 0
		.amdhsa_exception_fp_ieee_overflow 0
		.amdhsa_exception_fp_ieee_underflow 0
		.amdhsa_exception_fp_ieee_inexact 0
		.amdhsa_exception_int_div_zero 0
	.end_amdhsa_kernel
	.section	.text._Z39paged_attention_ll4mi_QKV_mfma16_kernelI14__hip_bfloat16S0_LN4vllm18Fp8KVCacheDataTypeE0ES0_Li16ELi128ELi256ELb0ELi5EL8MFMAType0EEvPKT_PKT0_S9_ifPKiSB_SB_iPKfiiiPfSE_PS4_PT2_iSD_SD_,"axG",@progbits,_Z39paged_attention_ll4mi_QKV_mfma16_kernelI14__hip_bfloat16S0_LN4vllm18Fp8KVCacheDataTypeE0ES0_Li16ELi128ELi256ELb0ELi5EL8MFMAType0EEvPKT_PKT0_S9_ifPKiSB_SB_iPKfiiiPfSE_PS4_PT2_iSD_SD_,comdat
.Lfunc_end674:
	.size	_Z39paged_attention_ll4mi_QKV_mfma16_kernelI14__hip_bfloat16S0_LN4vllm18Fp8KVCacheDataTypeE0ES0_Li16ELi128ELi256ELb0ELi5EL8MFMAType0EEvPKT_PKT0_S9_ifPKiSB_SB_iPKfiiiPfSE_PS4_PT2_iSD_SD_, .Lfunc_end674-_Z39paged_attention_ll4mi_QKV_mfma16_kernelI14__hip_bfloat16S0_LN4vllm18Fp8KVCacheDataTypeE0ES0_Li16ELi128ELi256ELb0ELi5EL8MFMAType0EEvPKT_PKT0_S9_ifPKiSB_SB_iPKfiiiPfSE_PS4_PT2_iSD_SD_
                                        ; -- End function
	.section	.AMDGPU.csdata,"",@progbits
; Kernel info:
; codeLenInByte = 10220
; NumSgprs: 52
; NumVgprs: 218
; ScratchSize: 0
; MemoryBound: 0
; FloatMode: 240
; IeeeMode: 1
; LDSByteSize: 17472 bytes/workgroup (compile time only)
; SGPRBlocks: 6
; VGPRBlocks: 27
; NumSGPRsForWavesPerEU: 52
; NumVGPRsForWavesPerEU: 218
; Occupancy: 6
; WaveLimiterHint : 1
; COMPUTE_PGM_RSRC2:SCRATCH_EN: 0
; COMPUTE_PGM_RSRC2:USER_SGPR: 13
; COMPUTE_PGM_RSRC2:TRAP_HANDLER: 0
; COMPUTE_PGM_RSRC2:TGID_X_EN: 1
; COMPUTE_PGM_RSRC2:TGID_Y_EN: 1
; COMPUTE_PGM_RSRC2:TGID_Z_EN: 1
; COMPUTE_PGM_RSRC2:TIDIG_COMP_CNT: 0
	.section	.text._Z39paged_attention_ll4mi_QKV_mfma16_kernelI14__hip_bfloat16S0_LN4vllm18Fp8KVCacheDataTypeE0ES0_Li16ELi128ELi256ELb0ELi6EL8MFMAType0EEvPKT_PKT0_S9_ifPKiSB_SB_iPKfiiiPfSE_PS4_PT2_iSD_SD_,"axG",@progbits,_Z39paged_attention_ll4mi_QKV_mfma16_kernelI14__hip_bfloat16S0_LN4vllm18Fp8KVCacheDataTypeE0ES0_Li16ELi128ELi256ELb0ELi6EL8MFMAType0EEvPKT_PKT0_S9_ifPKiSB_SB_iPKfiiiPfSE_PS4_PT2_iSD_SD_,comdat
	.protected	_Z39paged_attention_ll4mi_QKV_mfma16_kernelI14__hip_bfloat16S0_LN4vllm18Fp8KVCacheDataTypeE0ES0_Li16ELi128ELi256ELb0ELi6EL8MFMAType0EEvPKT_PKT0_S9_ifPKiSB_SB_iPKfiiiPfSE_PS4_PT2_iSD_SD_ ; -- Begin function _Z39paged_attention_ll4mi_QKV_mfma16_kernelI14__hip_bfloat16S0_LN4vllm18Fp8KVCacheDataTypeE0ES0_Li16ELi128ELi256ELb0ELi6EL8MFMAType0EEvPKT_PKT0_S9_ifPKiSB_SB_iPKfiiiPfSE_PS4_PT2_iSD_SD_
	.globl	_Z39paged_attention_ll4mi_QKV_mfma16_kernelI14__hip_bfloat16S0_LN4vllm18Fp8KVCacheDataTypeE0ES0_Li16ELi128ELi256ELb0ELi6EL8MFMAType0EEvPKT_PKT0_S9_ifPKiSB_SB_iPKfiiiPfSE_PS4_PT2_iSD_SD_
	.p2align	8
	.type	_Z39paged_attention_ll4mi_QKV_mfma16_kernelI14__hip_bfloat16S0_LN4vllm18Fp8KVCacheDataTypeE0ES0_Li16ELi128ELi256ELb0ELi6EL8MFMAType0EEvPKT_PKT0_S9_ifPKiSB_SB_iPKfiiiPfSE_PS4_PT2_iSD_SD_,@function
_Z39paged_attention_ll4mi_QKV_mfma16_kernelI14__hip_bfloat16S0_LN4vllm18Fp8KVCacheDataTypeE0ES0_Li16ELi128ELi256ELb0ELi6EL8MFMAType0EEvPKT_PKT0_S9_ifPKiSB_SB_iPKfiiiPfSE_PS4_PT2_iSD_SD_: ; @_Z39paged_attention_ll4mi_QKV_mfma16_kernelI14__hip_bfloat16S0_LN4vllm18Fp8KVCacheDataTypeE0ES0_Li16ELi128ELi256ELb0ELi6EL8MFMAType0EEvPKT_PKT0_S9_ifPKiSB_SB_iPKfiiiPfSE_PS4_PT2_iSD_SD_
; %bb.0:
	s_load_b64 s[4:5], s[0:1], 0x30
	s_mov_b32 s30, s13
	s_waitcnt lgkmcnt(0)
	s_cmp_lg_u64 s[4:5], 0
	s_cselect_b32 s8, -1, 0
	s_ashr_i32 s31, s13, 31
	s_cmp_eq_u64 s[4:5], 0
	s_cbranch_scc1 .LBB675_3
; %bb.1:
	s_lshl_b64 s[2:3], s[30:31], 2
	s_delay_alu instid0(SALU_CYCLE_1) | instskip(SKIP_4) | instid1(SALU_CYCLE_1)
	s_add_u32 s2, s4, s2
	s_addc_u32 s3, s5, s3
	s_load_b64 s[2:3], s[2:3], 0x0
	s_waitcnt lgkmcnt(0)
	s_sub_i32 s2, s3, s2
	s_cmp_eq_u32 s2, 1
	s_cselect_b32 s2, -1, 0
	s_delay_alu instid0(SALU_CYCLE_1)
	s_and_not1_b32 vcc_lo, exec_lo, s2
	s_cbranch_vccz .LBB675_4
.LBB675_2:
	s_endpgm
.LBB675_3:
.LBB675_4:
	s_load_b64 s[2:3], s[0:1], 0x28
	s_lshl_b64 s[6:7], s[30:31], 2
	s_waitcnt lgkmcnt(0)
	s_add_u32 s2, s2, s6
	s_addc_u32 s3, s3, s7
	s_lshl_b32 s31, s14, 8
	s_load_b32 s28, s[2:3], 0x0
	s_waitcnt lgkmcnt(0)
	s_cmp_ge_i32 s31, s28
	s_cbranch_scc1 .LBB675_2
; %bb.5:
	s_clause 0x1
	s_load_b128 s[20:23], s[0:1], 0x8
	s_load_b64 s[2:3], s[0:1], 0x20
	s_and_not1_b32 vcc_lo, exec_lo, s8
	s_cbranch_vccnz .LBB675_7
; %bb.6:
	s_add_u32 s4, s4, s6
	s_addc_u32 s5, s5, s7
	s_load_b32 s5, s[4:5], 0x0
	s_branch .LBB675_8
.LBB675_7:
	s_mov_b32 s5, s30
.LBB675_8:
	s_load_b128 s[16:19], s[0:1], 0x48
	v_and_b32_e32 v140, 15, v0
	v_lshrrev_b32_e32 v141, 5, v0
	v_and_b32_e32 v142, 31, v0
	v_and_b32_e32 v139, 1, v0
	v_bfe_u32 v138, v0, 4, 1
	v_lshlrev_b32_e32 v1, 3, v140
	s_mul_i32 s29, s15, 6
	s_mov_b32 s4, exec_lo
	s_delay_alu instid0(VALU_DEP_1)
	v_lshlrev_b32_e32 v137, 1, v1
	v_cmpx_gt_u32_e32 0x60, v0
	s_cbranch_execz .LBB675_10
; %bb.9:
	s_load_b64 s[6:7], s[0:1], 0x0
	v_lshl_or_b32 v5, v141, 1, v138
	s_waitcnt lgkmcnt(0)
	s_mul_hi_i32 s9, s5, s16
	s_mul_i32 s8, s5, s16
	v_lshlrev_b32_e32 v6, 10, v140
	s_lshl_b64 s[8:9], s[8:9], 1
	v_add_lshl_u32 v1, v5, s29, 7
	v_lshlrev_b32_e32 v5, 6, v5
	v_lshlrev_b32_e32 v7, 10, v139
	v_and_b32_e32 v6, 0x3800, v6
	s_delay_alu instid0(VALU_DEP_4) | instskip(NEXT) | instid1(VALU_DEP_2)
	v_ashrrev_i32_e32 v2, 31, v1
	v_or3_b32 v5, v6, v7, v5
	s_delay_alu instid0(VALU_DEP_2) | instskip(SKIP_2) | instid1(VALU_DEP_1)
	v_lshlrev_b64 v[1:2], 1, v[1:2]
	s_add_u32 s5, s6, s8
	s_addc_u32 s6, s7, s9
	v_add_co_u32 v1, vcc_lo, s5, v1
	s_delay_alu instid0(VALU_DEP_2) | instskip(NEXT) | instid1(VALU_DEP_2)
	v_add_co_ci_u32_e32 v2, vcc_lo, s6, v2, vcc_lo
	v_add_co_u32 v1, vcc_lo, v1, v137
	s_delay_alu instid0(VALU_DEP_2)
	v_add_co_ci_u32_e32 v2, vcc_lo, 0, v2, vcc_lo
	global_load_b128 v[1:4], v[1:2], off
	s_waitcnt vmcnt(0)
	ds_store_b128 v5, v[1:4]
.LBB675_10:
	s_or_b32 exec_lo, exec_lo, s4
	v_and_b32_e32 v1, 0xef, v0
	s_waitcnt lgkmcnt(0)
	s_add_i32 s5, s28, 15
	s_clause 0x1
	s_load_b32 s4, s[0:1], 0x38
	s_load_b32 s33, s[0:1], 0x1c
	s_ashr_i32 s6, s5, 31
	v_add_nc_u32_e32 v1, s31, v1
	s_lshr_b32 s6, s6, 28
	s_waitcnt lgkmcnt(0)
	s_add_i32 s5, s5, s6
	s_barrier
	v_ashrrev_i32_e32 v2, 31, v1
	v_cmp_gt_i32_e32 vcc_lo, s28, v1
	s_ashr_i32 s16, s5, 4
	buffer_gl0_inv
	s_add_i32 s16, s16, -1
	v_lshrrev_b32_e32 v3, 28, v2
	v_or_b32_e32 v2, 16, v1
	v_mul_lo_u16 v105, v140, 43
	v_lshlrev_b32_e32 v106, 5, v140
	s_delay_alu instid0(VALU_DEP_4) | instskip(NEXT) | instid1(VALU_DEP_4)
	v_add_nc_u32_e32 v4, v1, v3
	v_add_nc_u32_e32 v3, v2, v3
	s_mul_i32 s4, s30, s4
	v_lshrrev_b16 v105, 8, v105
	s_ashr_i32 s5, s4, 31
	v_ashrrev_i32_e32 v4, 4, v4
	v_ashrrev_i32_e32 v3, 4, v3
	s_lshl_b64 s[4:5], s[4:5], 2
	v_mul_lo_u16 v105, v105, 6
	s_add_u32 s34, s2, s4
	v_cndmask_b32_e32 v1, s16, v4, vcc_lo
	v_cmp_gt_i32_e32 vcc_lo, s28, v2
	s_addc_u32 s35, s3, s5
	s_mul_i32 s2, s15, s18
	v_sub_nc_u16 v105, v140, v105
	v_ashrrev_i32_e32 v2, 31, v1
	v_cndmask_b32_e32 v3, s16, v3, vcc_lo
	s_ashr_i32 s3, s2, 31
	v_lshl_or_b32 v125, v141, 9, v106
	s_lshl_b64 s[2:3], s[2:3], 1
	v_lshlrev_b64 v[1:2], 2, v[1:2]
	v_ashrrev_i32_e32 v4, 31, v3
	s_add_u32 s24, s20, s2
	s_addc_u32 s25, s21, s3
	s_lshl_b32 s4, s14, 4
	v_and_b32_e32 v105, 0xff, v105
	v_lshlrev_b64 v[3:4], 2, v[3:4]
	v_add_co_u32 v1, vcc_lo, s34, v1
	v_add_co_ci_u32_e32 v2, vcc_lo, s35, v2, vcc_lo
	s_ashr_i32 s5, s4, 31
	s_delay_alu instid0(VALU_DEP_3) | instskip(NEXT) | instid1(VALU_DEP_4)
	v_add_co_u32 v3, vcc_lo, s34, v3
	v_add_co_ci_u32_e32 v4, vcc_lo, s35, v4, vcc_lo
	s_lshl_b64 s[4:5], s[4:5], 2
	s_clause 0x1
	global_load_b32 v5, v[1:2], off
	global_load_b32 v6, v[3:4], off
	s_add_u32 s4, s34, s4
	s_addc_u32 s5, s35, s5
	s_or_b32 s6, s31, 16
	v_lshlrev_b32_e32 v3, 4, v0
	s_ashr_i32 s7, s6, 4
	s_cmp_lt_i32 s6, s28
	v_lshlrev_b32_e32 v215, 6, v105
	s_cselect_b32 s6, s7, s16
	s_delay_alu instid0(SALU_CYCLE_1) | instskip(NEXT) | instid1(SALU_CYCLE_1)
	s_ashr_i32 s7, s6, 31
	s_lshl_b64 s[6:7], s[6:7], 2
	s_delay_alu instid0(SALU_CYCLE_1) | instskip(SKIP_2) | instid1(SALU_CYCLE_1)
	s_add_u32 s6, s34, s6
	s_addc_u32 s7, s35, s7
	s_or_b32 s8, s31, 32
	s_ashr_i32 s9, s8, 4
	s_cmp_lt_i32 s8, s28
	s_cselect_b32 s8, s9, s16
	s_delay_alu instid0(SALU_CYCLE_1) | instskip(NEXT) | instid1(SALU_CYCLE_1)
	s_ashr_i32 s9, s8, 31
	s_lshl_b64 s[8:9], s[8:9], 2
	s_delay_alu instid0(SALU_CYCLE_1) | instskip(SKIP_2) | instid1(SALU_CYCLE_1)
	s_add_u32 s8, s34, s8
	s_addc_u32 s9, s35, s9
	s_or_b32 s10, s31, 48
	s_ashr_i32 s11, s10, 4
	s_cmp_lt_i32 s10, s28
	;; [unrolled: 10-line block ×4, first 2 shown]
	s_cselect_b32 s12, s13, s16
	s_delay_alu instid0(SALU_CYCLE_1) | instskip(NEXT) | instid1(SALU_CYCLE_1)
	s_ashr_i32 s13, s12, 31
	s_lshl_b64 s[12:13], s[12:13], 2
	s_delay_alu instid0(SALU_CYCLE_1)
	s_add_u32 s20, s34, s12
	s_addc_u32 s21, s35, s13
	s_clause 0x5
	s_load_b32 s38, s[4:5], 0x0
	s_load_b32 s37, s[6:7], 0x0
	;; [unrolled: 1-line block ×6, first 2 shown]
	s_waitcnt vmcnt(1)
	v_mad_i64_i32 v[1:2], null, v5, s17, 0
	v_and_b32_e32 v5, 0xf0, v3
	s_waitcnt vmcnt(0)
	v_mad_i64_i32 v[3:4], null, v6, s17, 0
	s_delay_alu instid0(VALU_DEP_2) | instskip(NEXT) | instid1(VALU_DEP_4)
	v_add_co_u32 v5, s4, s24, v5
	v_lshlrev_b64 v[1:2], 1, v[1:2]
	v_add_co_ci_u32_e64 v6, null, s25, 0, s4
	s_delay_alu instid0(VALU_DEP_4) | instskip(SKIP_1) | instid1(VALU_DEP_3)
	v_lshlrev_b64 v[3:4], 1, v[3:4]
	s_or_b32 s4, s31, 0x60
	v_add_co_u32 v121, vcc_lo, v5, v1
	s_delay_alu instid0(VALU_DEP_3) | instskip(NEXT) | instid1(VALU_DEP_3)
	v_add_co_ci_u32_e32 v122, vcc_lo, v6, v2, vcc_lo
	v_add_co_u32 v123, vcc_lo, v5, v3
	s_delay_alu instid0(VALU_DEP_4)
	v_add_co_ci_u32_e32 v124, vcc_lo, v6, v4, vcc_lo
	s_clause 0x19
	global_load_b128 v[89:92], v[121:122], off
	global_load_b128 v[93:96], v[121:122], off offset:256
	global_load_b128 v[97:100], v[123:124], off
	global_load_b128 v[101:104], v[123:124], off offset:256
	global_load_b128 v[81:84], v[121:122], off offset:512
	;; [unrolled: 1-line block ×23, first 2 shown]
	s_ashr_i32 s5, s4, 4
	s_cmp_lt_i32 s4, s28
	ds_load_b128 v[105:108], v215
	ds_load_b128 v[109:112], v215 offset:1024
	s_cselect_b32 s4, s5, s16
	ds_load_b128 v[113:116], v215 offset:2048
	ds_load_b128 v[117:120], v215 offset:3072
	s_ashr_i32 s5, s4, 31
	ds_load_b128 v[143:146], v215 offset:4096
	ds_load_b128 v[147:150], v215 offset:5120
	s_lshl_b64 s[6:7], s[4:5], 2
	ds_load_b128 v[151:154], v215 offset:6144
	ds_load_b128 v[155:158], v215 offset:7168
	s_add_u32 s18, s34, s6
	s_addc_u32 s19, s35, s7
	s_or_b32 s5, s31, 0x70
	ds_load_b128 v[159:162], v215 offset:8192
	ds_load_b128 v[163:166], v215 offset:9216
	s_ashr_i32 s6, s5, 4
	s_cmp_lt_i32 s5, s28
	s_clause 0x1
	global_load_b128 v[167:170], v[123:124], off offset:3072
	global_load_b128 v[171:174], v[123:124], off offset:3328
	s_cselect_b32 s8, s6, s16
	s_mov_b32 s4, 0
	s_ashr_i32 s9, s8, 31
	s_mov_b32 s5, s4
	s_lshl_b64 s[8:9], s[8:9], 2
	s_mov_b32 s6, s4
	s_add_u32 s20, s34, s8
	s_addc_u32 s21, s35, s9
	s_clause 0x1
	s_load_b32 s44, s[18:19], 0x0
	s_load_b32 s45, s[20:21], 0x0
	s_clause 0x3
	global_load_b128 v[175:178], v[121:122], off offset:3584
	global_load_b128 v[179:182], v[121:122], off offset:3840
	;; [unrolled: 1-line block ×4, first 2 shown]
	s_or_b32 s8, s31, 0x80
	s_mov_b32 s7, s4
	s_ashr_i32 s9, s8, 4
	s_cmp_lt_i32 s8, s28
	s_mov_b32 s8, s4
	s_cselect_b32 s10, s9, s16
	s_mov_b32 s9, s4
	s_ashr_i32 s11, s10, 31
	s_delay_alu instid0(SALU_CYCLE_1)
	s_lshl_b64 s[24:25], s[10:11], 2
	s_mov_b32 s10, s4
	s_add_u32 s24, s34, s24
	s_addc_u32 s25, s35, s25
	s_or_b32 s11, s31, 0x90
	s_load_b32 s46, s[24:25], 0x0
	s_ashr_i32 s26, s11, 4
	s_cmp_lt_i32 s11, s28
	s_mov_b32 s11, s4
	s_cselect_b32 s26, s26, s16
	v_mov_b32_e32 v136, s11
	s_ashr_i32 s27, s26, 31
	v_dual_mov_b32 v135, s10 :: v_dual_mov_b32 v134, s9
	v_dual_mov_b32 v133, s8 :: v_dual_mov_b32 v132, s7
	;; [unrolled: 1-line block ×3, first 2 shown]
	v_mov_b32_e32 v129, s4
	s_lshl_b64 s[4:5], s[26:27], 2
	s_waitcnt lgkmcnt(0)
	s_mul_hi_i32 s7, s37, s17
	s_add_u32 s26, s34, s4
	s_addc_u32 s27, s35, s5
	s_or_b32 s4, s31, 0xa0
	s_load_b32 s39, s[26:27], 0x0
	s_ashr_i32 s5, s4, 4
	s_cmp_lt_i32 s4, s28
	s_cselect_b32 s4, s5, s16
	s_delay_alu instid0(SALU_CYCLE_1) | instskip(NEXT) | instid1(SALU_CYCLE_1)
	s_ashr_i32 s5, s4, 31
	s_lshl_b64 s[4:5], s[4:5], 2
	s_delay_alu instid0(SALU_CYCLE_1)
	s_add_u32 s40, s34, s4
	s_addc_u32 s41, s35, s5
	s_or_b32 s4, s31, 0xb0
	s_mul_hi_i32 s5, s38, s17
	s_ashr_i32 s6, s4, 4
	s_cmp_lt_i32 s4, s28
	s_mul_i32 s4, s38, s17
	s_load_b32 s38, s[40:41], 0x0
	s_cselect_b32 s8, s6, s16
	s_mul_i32 s6, s37, s17
	s_ashr_i32 s9, s8, 31
	s_mul_hi_i32 s27, s46, s17
	s_lshl_b64 s[10:11], s[8:9], 2
	s_mul_hi_i32 s9, s36, s17
	s_add_u32 s42, s34, s10
	s_addc_u32 s43, s35, s11
	s_or_b32 s10, s31, 0xc0
	s_mul_i32 s8, s36, s17
	s_ashr_i32 s36, s10, 4
	s_cmp_lt_i32 s10, s28
	s_mul_i32 s26, s46, s17
	s_cselect_b32 s36, s36, s16
	s_mul_hi_i32 s11, s13, s17
	s_ashr_i32 s37, s36, 31
	s_mul_i32 s10, s13, s17
	s_lshl_b64 s[36:37], s[36:37], 2
	s_mul_hi_i32 s13, s12, s17
	s_add_u32 s20, s34, s36
	s_addc_u32 s21, s35, s37
	s_or_b32 s18, s31, 0xd0
	s_mul_i32 s12, s12, s17
	s_ashr_i32 s19, s18, 4
	s_cmp_lt_i32 s18, s28
	s_mul_i32 s18, s15, s17
	s_cselect_b32 s24, s19, s16
	s_mul_hi_i32 s19, s15, s17
	s_ashr_i32 s25, s24, 31
	s_waitcnt lgkmcnt(0)
	s_mul_hi_i32 s41, s39, s17
	s_lshl_b64 s[24:25], s[24:25], 2
	s_delay_alu instid0(SALU_CYCLE_1)
	s_add_u32 s24, s34, s24
	s_addc_u32 s25, s35, s25
	s_or_b32 s40, s31, 0xe0
	s_clause 0x2
	s_load_b32 s37, s[42:43], 0x0
	s_load_b32 s36, s[20:21], 0x0
	;; [unrolled: 1-line block ×3, first 2 shown]
	s_ashr_i32 s47, s40, 4
	s_cmp_lt_i32 s40, s28
	s_mul_hi_i32 s21, s44, s17
	s_cselect_b32 s42, s47, s16
	s_mul_i32 s20, s44, s17
	s_ashr_i32 s43, s42, 31
	s_mul_hi_i32 s25, s45, s17
	s_lshl_b64 s[42:43], s[42:43], 2
	s_mul_i32 s24, s45, s17
	s_add_u32 s42, s34, s42
	s_addc_u32 s43, s35, s43
	s_or_b32 s44, s31, 0xf0
	s_mul_i32 s40, s39, s17
	s_ashr_i32 s46, s44, 4
	s_cmp_lt_i32 s44, s28
	s_mul_hi_i32 s39, s38, s17
	s_cselect_b32 s46, s46, s16
	s_mul_i32 s38, s38, s17
	s_ashr_i32 s47, s46, 31
	s_waitcnt lgkmcnt(0)
	s_mul_hi_i32 s49, s15, s17
	s_lshl_b64 s[46:47], s[46:47], 2
	s_mul_i32 s48, s15, s17
	s_add_u32 s34, s34, s46
	s_addc_u32 s35, s35, s47
	s_add_u32 s15, s22, s2
	s_addc_u32 s16, s23, s3
	v_add_co_u32 v216, s15, s15, v125
	s_delay_alu instid0(VALU_DEP_1) | instskip(SKIP_2) | instid1(VALU_DEP_2)
	v_add_co_ci_u32_e64 v217, null, s16, 0, s15
	s_lshl_b64 s[2:3], s[4:5], 1
	s_lshl_b64 s[4:5], s[6:7], 1
	v_add_co_u32 v125, vcc_lo, v216, s2
	s_delay_alu instid0(VALU_DEP_2)
	v_add_co_ci_u32_e32 v126, vcc_lo, s3, v217, vcc_lo
	v_add_co_u32 v199, vcc_lo, v216, s4
	s_lshl_b64 s[6:7], s[8:9], 1
	v_add_co_ci_u32_e32 v200, vcc_lo, s5, v217, vcc_lo
	s_lshl_b64 s[8:9], s[10:11], 1
	s_lshl_b64 s[10:11], s[12:13], 1
	;; [unrolled: 1-line block ×8, first 2 shown]
	s_mul_hi_i32 s45, s37, s17
	s_mul_i32 s44, s37, s17
	s_mul_hi_i32 s37, s36, s17
	s_lshl_b64 s[38:39], s[44:45], 1
	s_mul_i32 s36, s36, s17
	s_clause 0x1
	s_load_b32 s15, s[42:43], 0x0
	s_load_b32 s16, s[34:35], 0x0
	s_lshl_b64 s[36:37], s[36:37], 1
	s_lshl_b64 s[40:41], s[48:49], 1
	s_waitcnt lgkmcnt(0)
	s_mul_hi_i32 s3, s15, s17
	s_mul_i32 s2, s15, s17
	s_mul_hi_i32 s5, s16, s17
	s_lshl_b64 s[2:3], s[2:3], 1
	s_mul_i32 s4, s16, s17
	s_waitcnt vmcnt(30)
	v_wmma_f32_16x16x16_bf16 v[191:198], v[89:96], v[105:112], v[129:136]
	v_add_co_u32 v89, vcc_lo, v216, s6
	v_add_co_ci_u32_e32 v90, vcc_lo, s7, v217, vcc_lo
	v_add_co_u32 v91, vcc_lo, v216, s8
	v_add_co_ci_u32_e32 v92, vcc_lo, s9, v217, vcc_lo
	;; [unrolled: 2-line block ×5, first 2 shown]
	v_add_co_u32 v205, vcc_lo, v216, s20
	s_waitcnt vmcnt(28)
	v_wmma_f32_16x16x16_bf16 v[129:136], v[97:104], v[105:112], v[129:136]
	v_add_co_ci_u32_e32 v206, vcc_lo, s21, v217, vcc_lo
	v_add_co_u32 v207, vcc_lo, v216, s22
	v_add_co_ci_u32_e32 v208, vcc_lo, s23, v217, vcc_lo
	v_add_co_u32 v209, vcc_lo, v216, s24
	s_waitcnt vmcnt(26)
	v_wmma_f32_16x16x16_bf16 v[191:198], v[81:88], v[113:120], v[191:198]
	s_waitcnt vmcnt(24)
	v_wmma_f32_16x16x16_bf16 v[129:136], v[73:80], v[113:120], v[129:136]
	v_add_co_ci_u32_e32 v210, vcc_lo, s25, v217, vcc_lo
	v_add_co_u32 v211, vcc_lo, v216, s26
	v_add_co_ci_u32_e32 v212, vcc_lo, s27, v217, vcc_lo
	v_add_co_u32 v213, vcc_lo, v216, s38
	s_waitcnt vmcnt(22)
	v_wmma_f32_16x16x16_bf16 v[191:198], v[65:72], v[143:150], v[191:198]
	s_waitcnt vmcnt(20)
	v_wmma_f32_16x16x16_bf16 v[129:136], v[57:64], v[143:150], v[129:136]
	v_add_co_ci_u32_e32 v214, vcc_lo, s39, v217, vcc_lo
	v_add_co_u32 v143, vcc_lo, v216, s36
	s_waitcnt vmcnt(18)
	v_wmma_f32_16x16x16_bf16 v[191:198], v[49:56], v[151:158], v[191:198]
	s_waitcnt vmcnt(16)
	v_wmma_f32_16x16x16_bf16 v[129:136], v[41:48], v[151:158], v[129:136]
	v_add_co_ci_u32_e32 v144, vcc_lo, s37, v217, vcc_lo
	s_clause 0x15
	global_load_b128 v[121:124], v[125:126], off
	global_load_b128 v[125:128], v[125:126], off offset:16
	global_load_b128 v[113:116], v[199:200], off
	global_load_b128 v[117:120], v[199:200], off offset:16
	;; [unrolled: 2-line block ×11, first 2 shown]
	s_waitcnt vmcnt(36)
	v_wmma_f32_16x16x16_bf16 v[191:198], v[17:24], v[159:166], v[191:198]
	s_clause 0x1
	global_load_b128 v[17:20], v[213:214], off
	global_load_b128 v[21:24], v[213:214], off offset:16
	s_waitcnt vmcnt(36)
	v_wmma_f32_16x16x16_bf16 v[129:136], v[1:8], v[159:166], v[129:136]
	s_clause 0x1
	global_load_b128 v[1:4], v[143:144], off
	global_load_b128 v[5:8], v[143:144], off offset:16
	ds_load_b128 v[143:146], v215 offset:10240
	ds_load_b128 v[147:150], v215 offset:11264
	;; [unrolled: 1-line block ×4, first 2 shown]
	v_add_co_u32 v199, vcc_lo, v216, s40
	v_add_co_ci_u32_e32 v200, vcc_lo, s41, v217, vcc_lo
	v_add_co_u32 v159, vcc_lo, v216, s2
	v_add_co_ci_u32_e32 v160, vcc_lo, s3, v217, vcc_lo
	s_lshl_b64 s[2:3], s[4:5], 1
	s_delay_alu instid0(SALU_CYCLE_1)
	v_add_co_u32 v161, vcc_lo, v216, s2
	v_add_co_ci_u32_e32 v162, vcc_lo, s3, v217, vcc_lo
	s_waitcnt vmcnt(36) lgkmcnt(2)
	v_wmma_f32_16x16x16_bf16 v[191:198], v[33:40], v[143:150], v[191:198]
	s_waitcnt vmcnt(34)
	v_wmma_f32_16x16x16_bf16 v[129:136], v[25:32], v[143:150], v[129:136]
	s_clause 0x3
	global_load_b128 v[25:28], v[199:200], off
	global_load_b128 v[29:32], v[199:200], off offset:16
	global_load_b128 v[33:36], v[159:160], off
	global_load_b128 v[37:40], v[159:160], off offset:16
	v_and_b32_e32 v143, 0xe0, v0
	v_mbcnt_lo_u32_b32 v159, -1, 0
	s_waitcnt vmcnt(36) lgkmcnt(0)
	v_wmma_f32_16x16x16_bf16 v[191:198], v[9:16], v[151:158], v[191:198]
	s_clause 0x1
	global_load_b128 v[9:12], v[161:162], off
	global_load_b128 v[13:16], v[161:162], off offset:16
	s_waitcnt vmcnt(36)
	v_wmma_f32_16x16x16_bf16 v[129:136], v[167:174], v[151:158], v[129:136]
	v_add_nc_u32_e32 v160, s31, v143
	ds_load_b128 v[143:146], v215 offset:14336
	ds_load_b128 v[147:150], v215 offset:15360
	v_xor_b32_e32 v151, 16, v159
	s_waitcnt vmcnt(0) lgkmcnt(0)
	s_barrier
	v_or_b32_e32 v152, v160, v138
	buffer_gl0_inv
	v_cmp_gt_i32_e32 vcc_lo, 32, v151
	v_or_b32_e32 v153, 2, v152
	v_or_b32_e32 v154, 4, v152
	;; [unrolled: 1-line block ×5, first 2 shown]
	v_cmp_gt_i32_e64 s2, s28, v153
	v_cmp_gt_i32_e64 s3, s28, v154
	;; [unrolled: 1-line block ×3, first 2 shown]
	v_or_b32_e32 v158, 12, v152
	v_cmp_gt_i32_e64 s5, s28, v156
	v_cmp_gt_i32_e64 s6, s28, v157
	v_wmma_f32_16x16x16_bf16 v[191:198], v[175:182], v[143:150], v[191:198]
	v_wmma_f32_16x16x16_bf16 v[129:136], v[183:190], v[143:150], v[129:136]
	v_cndmask_b32_e32 v151, v159, v151, vcc_lo
	v_cmp_gt_i32_e32 vcc_lo, s28, v152
	v_or_b32_e32 v159, 14, v152
	v_dual_mul_f32 v149, s33, v192 :: v_dual_mul_f32 v150, s33, v191
	v_dual_mul_f32 v147, s33, v194 :: v_dual_mul_f32 v148, s33, v193
	;; [unrolled: 1-line block ×3, first 2 shown]
	s_delay_alu instid0(VALU_DEP_3) | instskip(NEXT) | instid1(VALU_DEP_4)
	v_cndmask_b32_e32 v150, 0xff7fffff, v150, vcc_lo
	v_cndmask_b32_e64 v149, 0xff7fffff, v149, s2
	v_mul_f32_e32 v146, s33, v195
	v_cndmask_b32_e64 v148, 0xff7fffff, v148, s3
	v_cndmask_b32_e64 v147, 0xff7fffff, v147, s4
	v_or_b32_e32 v160, 16, v152
	v_max3_f32 v149, v150, 0xff7fffff, v149
	v_or_b32_e32 v161, 18, v152
	v_dual_mul_f32 v143, s33, v198 :: v_dual_mul_f32 v144, s33, v197
	v_cndmask_b32_e64 v146, 0xff7fffff, v146, s5
	v_cndmask_b32_e64 v145, 0xff7fffff, v145, s6
	v_max3_f32 v147, v149, v148, v147
	v_cmp_gt_i32_e64 s7, s28, v158
	v_cmp_gt_i32_e64 s8, s28, v159
	v_or_b32_e32 v162, 20, v152
	v_or_b32_e32 v163, 22, v152
	v_mul_f32_e32 v175, s33, v129
	v_cndmask_b32_e64 v144, 0xff7fffff, v144, s7
	v_cndmask_b32_e64 v143, 0xff7fffff, v143, s8
	v_max3_f32 v145, v147, v146, v145
	v_cmp_gt_i32_e64 s9, s28, v160
	v_cmp_gt_i32_e64 s10, s28, v161
	v_or_b32_e32 v164, 24, v152
	v_or_b32_e32 v165, 26, v152
	v_dual_mul_f32 v172, s33, v132 :: v_dual_mul_f32 v173, s33, v131
	v_cndmask_b32_e64 v146, 0xff7fffff, v175, s9
	v_cndmask_b32_e64 v147, 0xff7fffff, v174, s10
	v_max3_f32 v143, v145, v144, v143
	v_cmp_gt_i32_e64 s11, s28, v162
	v_cmp_gt_i32_e64 s12, s28, v163
	v_or_b32_e32 v166, 28, v152
	v_or_b32_e32 v167, 30, v152
	v_dual_mul_f32 v170, s33, v134 :: v_dual_mul_f32 v171, s33, v133
	v_cndmask_b32_e64 v144, 0xff7fffff, v173, s11
	v_cndmask_b32_e64 v145, 0xff7fffff, v172, s12
	v_max3_f32 v143, v143, v146, v147
	v_cmp_gt_i32_e64 s13, s28, v164
	v_cmp_gt_i32_e64 s15, s28, v165
	v_dual_mul_f32 v168, s33, v136 :: v_dual_mul_f32 v169, s33, v135
	s_delay_alu instid0(VALU_DEP_4) | instskip(NEXT) | instid1(VALU_DEP_4)
	v_max3_f32 v143, v143, v144, v145
	v_cndmask_b32_e64 v146, 0xff7fffff, v171, s13
	s_delay_alu instid0(VALU_DEP_4) | instskip(SKIP_3) | instid1(VALU_DEP_4)
	v_cndmask_b32_e64 v147, 0xff7fffff, v170, s15
	v_cmp_gt_i32_e64 s16, s28, v166
	v_cmp_gt_i32_e64 s17, s28, v167
	v_lshlrev_b32_e32 v154, 2, v151
	v_max3_f32 v143, v143, v146, v147
	s_delay_alu instid0(VALU_DEP_4) | instskip(NEXT) | instid1(VALU_DEP_4)
	v_cndmask_b32_e64 v144, 0xff7fffff, v169, s16
	v_cndmask_b32_e64 v145, 0xff7fffff, v168, s17
	s_delay_alu instid0(VALU_DEP_1) | instskip(SKIP_3) | instid1(VALU_DEP_1)
	v_max3_f32 v143, v143, v144, v145
	ds_bpermute_b32 v144, v154, v143
	s_waitcnt lgkmcnt(0)
	v_max_f32_e32 v144, v144, v144
	v_max_f32_e32 v153, v143, v144
	s_delay_alu instid0(VALU_DEP_1) | instskip(SKIP_4) | instid1(VALU_DEP_4)
	v_fma_f32 v143, s33, v191, -v153
	v_fma_f32 v144, s33, v192, -v153
	;; [unrolled: 1-line block ×5, first 2 shown]
	v_dual_mul_f32 v143, 0x3fb8aa3b, v143 :: v_dual_mul_f32 v144, 0x3fb8aa3b, v144
	s_delay_alu instid0(VALU_DEP_4) | instskip(SKIP_2) | instid1(VALU_DEP_4)
	v_mul_f32_e32 v130, 0x3fb8aa3b, v130
	v_fma_f32 v132, s33, v132, -v153
	v_mul_f32_e32 v145, 0x3fb8aa3b, v145
	v_exp_f32_e32 v143, v143
	v_exp_f32_e32 v147, v144
	v_fma_f32 v148, s33, v195, -v153
	v_mul_f32_e32 v132, 0x3fb8aa3b, v132
	v_mul_f32_e32 v146, 0x3fb8aa3b, v146
	v_exp_f32_e32 v145, v145
	v_fma_f32 v151, s33, v197, -v153
	v_mul_f32_e32 v148, 0x3fb8aa3b, v148
	v_fma_f32 v134, s33, v134, -v153
	v_exp_f32_e32 v149, v146
	v_cndmask_b32_e32 v144, 0, v143, vcc_lo
	v_fma_f32 v143, s33, v196, -v153
	v_cndmask_b32_e64 v146, 0, v147, s2
	v_exp_f32_e32 v148, v148
	s_delay_alu instid0(VALU_DEP_3) | instskip(NEXT) | instid1(VALU_DEP_3)
	v_dual_mul_f32 v151, 0x3fb8aa3b, v151 :: v_dual_add_f32 v150, 0, v144
	v_dual_mul_f32 v143, 0x3fb8aa3b, v143 :: v_dual_mul_f32 v134, 0x3fb8aa3b, v134
	v_cndmask_b32_e64 v147, 0, v145, s3
	s_delay_alu instid0(TRANS32_DEP_2) | instskip(NEXT) | instid1(VALU_DEP_4)
	v_cndmask_b32_e64 v149, 0, v149, s4
	v_add_f32_e32 v145, v150, v146
	v_fma_f32 v150, s33, v198, -v153
	v_exp_f32_e32 v143, v143
	v_fma_f32 v129, s33, v129, -v153
	v_exp_f32_e32 v155, v151
	s_delay_alu instid0(VALU_DEP_2) | instskip(SKIP_1) | instid1(VALU_DEP_3)
	v_dual_add_f32 v145, v145, v147 :: v_dual_mul_f32 v152, 0x3fb8aa3b, v150
	v_cndmask_b32_e64 v150, 0, v148, s5
	v_mul_f32_e32 v129, 0x3fb8aa3b, v129
	v_fma_f32 v131, s33, v131, -v153
	s_delay_alu instid0(VALU_DEP_4) | instskip(SKIP_1) | instid1(TRANS32_DEP_3)
	v_add_f32_e32 v145, v145, v149
	v_exp_f32_e32 v152, v152
	v_cndmask_b32_e64 v151, 0, v143, s6
	v_exp_f32_e32 v129, v129
	s_delay_alu instid0(TRANS32_DEP_3)
	v_cndmask_b32_e64 v148, 0, v155, s7
	v_add_f32_e32 v143, v145, v150
	v_mul_f32_e32 v131, 0x3fb8aa3b, v131
	v_exp_f32_e32 v130, v130
	v_fma_f32 v133, s33, v133, -v153
	v_fma_f32 v136, s33, v136, -v153
	v_add_f32_e32 v143, v143, v151
	v_cndmask_b32_e64 v152, 0, v152, s8
	v_exp_f32_e32 v145, v131
	v_cndmask_b32_e64 v131, 0, v129, s9
	v_mul_f32_e32 v133, 0x3fb8aa3b, v133
	v_add_f32_e32 v143, v143, v148
	s_mov_b32 s2, exec_lo
	s_delay_alu instid0(VALU_DEP_1)
	v_add_f32_e32 v129, v143, v152
	v_exp_f32_e32 v143, v132
	v_cndmask_b32_e64 v132, 0, v130, s10
	v_fma_f32 v130, s33, v135, -v153
	v_exp_f32_e32 v135, v133
	v_add_f32_e32 v129, v129, v131
	v_cndmask_b32_e64 v133, 0, v145, s11
	v_exp_f32_e32 v145, v134
	s_delay_alu instid0(VALU_DEP_2) | instskip(NEXT) | instid1(TRANS32_DEP_3)
	v_dual_mul_f32 v130, 0x3fb8aa3b, v130 :: v_dual_add_f32 v129, v129, v132
	v_cndmask_b32_e64 v134, 0, v143, s12
	v_mul_f32_e32 v143, 0x3fb8aa3b, v136
	s_delay_alu instid0(VALU_DEP_3) | instskip(NEXT) | instid1(TRANS32_DEP_3)
	v_exp_f32_e32 v130, v130
	v_cndmask_b32_e64 v135, 0, v135, s13
	v_add_f32_e32 v129, v129, v133
	s_delay_alu instid0(TRANS32_DEP_2) | instskip(SKIP_1) | instid1(VALU_DEP_2)
	v_cndmask_b32_e64 v136, 0, v145, s15
	v_exp_f32_e32 v145, v143
	v_add_f32_e32 v129, v129, v134
	s_waitcnt_depctr 0xfff
	v_cndmask_b32_e64 v143, 0, v130, s16
	v_add_f32_e32 v129, v129, v135
	v_cndmask_b32_e64 v145, 0, v145, s17
	s_delay_alu instid0(VALU_DEP_2) | instskip(NEXT) | instid1(VALU_DEP_1)
	v_add_f32_e32 v129, v129, v136
	v_add_f32_e32 v129, v129, v143
	s_delay_alu instid0(VALU_DEP_1)
	v_add_f32_e32 v129, v129, v145
	ds_bpermute_b32 v130, v154, v129
	v_cmpx_gt_u32_e32 16, v142
	s_cbranch_execz .LBB675_12
; %bb.11:
	v_mul_u32_u24_e32 v142, 0x44, v141
	s_waitcnt lgkmcnt(0)
	v_add_f32_e32 v129, v129, v130
	s_delay_alu instid0(VALU_DEP_2) | instskip(NEXT) | instid1(VALU_DEP_1)
	v_lshl_add_u32 v142, v140, 2, v142
	v_add_nc_u32_e32 v130, 0x4000, v142
	ds_store_2addr_b32 v130, v153, v129 offset1:136
.LBB675_12:
	s_or_b32 exec_lo, exec_lo, s2
	v_lshlrev_b32_e32 v129, 2, v140
	s_waitcnt lgkmcnt(0)
	s_barrier
	buffer_gl0_inv
	v_cmp_eq_u32_e64 s2, 1, v141
	v_add_nc_u32_e32 v142, 0x4000, v129
	ds_load_2addr_b32 v[153:154], v142 offset1:17
	ds_load_2addr_b32 v[155:156], v142 offset0:34 offset1:51
	ds_load_2addr_b32 v[157:158], v142 offset0:68 offset1:85
	;; [unrolled: 1-line block ×4, first 2 shown]
	s_waitcnt lgkmcnt(4)
	v_max3_f32 v129, v153, 0xff7fffff, v154
	s_waitcnt lgkmcnt(3)
	s_delay_alu instid0(VALU_DEP_1) | instskip(SKIP_1) | instid1(VALU_DEP_1)
	v_max3_f32 v129, v129, v155, v156
	s_waitcnt lgkmcnt(2)
	v_max3_f32 v129, v129, v157, v158
	s_waitcnt lgkmcnt(1)
	s_delay_alu instid0(VALU_DEP_1) | instskip(NEXT) | instid1(VALU_DEP_1)
	v_max3_f32 v129, v129, v159, v160
	v_sub_f32_e32 v163, v154, v129
	v_sub_f32_e32 v130, v153, v129
	ds_load_2addr_b32 v[153:154], v142 offset0:170 offset1:187
	v_sub_f32_e32 v155, v155, v129
	v_dual_mul_f32 v163, 0x3fb8aa3b, v163 :: v_dual_mul_f32 v130, 0x3fb8aa3b, v130
	s_delay_alu instid0(VALU_DEP_2) | instskip(NEXT) | instid1(VALU_DEP_2)
	v_mul_f32_e32 v165, 0x3fb8aa3b, v155
	v_exp_f32_e32 v163, v163
	s_delay_alu instid0(VALU_DEP_2)
	v_exp_f32_e32 v164, v130
	v_sub_f32_e32 v130, v156, v129
	ds_load_2addr_b32 v[155:156], v142 offset0:204 offset1:221
	v_exp_f32_e32 v165, v165
	v_mul_f32_e32 v166, 0x3fb8aa3b, v130
	s_waitcnt lgkmcnt(2)
	v_fma_f32 v130, v164, v161, 0
	v_sub_f32_e32 v157, v157, v129
	s_delay_alu instid0(VALU_DEP_3) | instskip(NEXT) | instid1(VALU_DEP_2)
	v_exp_f32_e32 v166, v166
	v_dual_sub_f32 v161, v158, v129 :: v_dual_fmac_f32 v130, v163, v162
	s_waitcnt lgkmcnt(1)
	s_waitcnt_depctr 0xfff
	v_fmac_f32_e32 v130, v165, v153
	v_mul_f32_e32 v167, 0x3fb8aa3b, v157
	ds_load_2addr_b32 v[157:158], v142 offset0:238 offset1:255
	v_sub_f32_e32 v142, v159, v129
	v_dual_sub_f32 v153, v160, v129 :: v_dual_fmac_f32 v130, v166, v154
	v_mul_f32_e32 v159, 0x3fb8aa3b, v161
	v_exp_f32_e32 v161, v167
	s_delay_alu instid0(VALU_DEP_2)
	v_dual_mul_f32 v142, 0x3fb8aa3b, v142 :: v_dual_mul_f32 v153, 0x3fb8aa3b, v153
	s_waitcnt lgkmcnt(0)
	s_barrier
	buffer_gl0_inv
	v_exp_f32_e32 v142, v142
	v_exp_f32_e32 v153, v153
	v_fmac_f32_e32 v130, v161, v155
	v_exp_f32_e32 v159, v159
	s_waitcnt_depctr 0xfff
	v_fmac_f32_e32 v130, v159, v156
	s_delay_alu instid0(VALU_DEP_1) | instskip(NEXT) | instid1(VALU_DEP_1)
	v_fmac_f32_e32 v130, v142, v157
	v_fmac_f32_e32 v130, v153, v158
	s_delay_alu instid0(VALU_DEP_1) | instskip(NEXT) | instid1(VALU_DEP_1)
	v_add_f32_e32 v154, 0x358637bd, v130
	v_div_scale_f32 v155, null, v154, v154, 1.0
	v_div_scale_f32 v158, vcc_lo, 1.0, v154, 1.0
	s_delay_alu instid0(VALU_DEP_2) | instskip(SKIP_2) | instid1(VALU_DEP_1)
	v_rcp_f32_e32 v156, v155
	s_waitcnt_depctr 0xfff
	v_fma_f32 v157, -v155, v156, 1.0
	v_fmac_f32_e32 v156, v157, v156
	v_cndmask_b32_e64 v157, v164, v163, s2
	v_cmp_eq_u32_e64 s2, 2, v141
	s_delay_alu instid0(VALU_DEP_3) | instskip(NEXT) | instid1(VALU_DEP_2)
	v_mul_f32_e32 v160, v158, v156
	v_cndmask_b32_e64 v157, v157, v165, s2
	v_cmp_eq_u32_e64 s2, 3, v141
	s_delay_alu instid0(VALU_DEP_3) | instskip(NEXT) | instid1(VALU_DEP_2)
	v_fma_f32 v162, -v155, v160, v158
	v_cndmask_b32_e64 v157, v157, v166, s2
	v_cmp_eq_u32_e64 s2, 4, v141
	s_delay_alu instid0(VALU_DEP_3) | instskip(NEXT) | instid1(VALU_DEP_2)
	v_fmac_f32_e32 v160, v162, v156
	v_cndmask_b32_e64 v157, v157, v161, s2
	s_delay_alu instid0(VALU_DEP_2) | instskip(SKIP_1) | instid1(VALU_DEP_2)
	v_fma_f32 v155, -v155, v160, v158
	v_cmp_eq_u32_e64 s2, 5, v141
	v_div_fmas_f32 v155, v155, v156, v160
	s_delay_alu instid0(VALU_DEP_2) | instskip(SKIP_2) | instid1(VALU_DEP_3)
	v_cndmask_b32_e64 v157, v157, v159, s2
	v_cmp_eq_u32_e32 vcc_lo, 6, v141
	s_mov_b32 s2, exec_lo
	v_div_fixup_f32 v154, v155, v154, 1.0
	s_delay_alu instid0(VALU_DEP_3) | instskip(SKIP_1) | instid1(VALU_DEP_2)
	v_cndmask_b32_e32 v142, v157, v142, vcc_lo
	v_cmp_eq_u32_e32 vcc_lo, 7, v141
	v_cndmask_b32_e32 v142, v142, v153, vcc_lo
	s_delay_alu instid0(VALU_DEP_1) | instskip(NEXT) | instid1(VALU_DEP_1)
	v_mul_f32_e32 v142, v142, v154
	v_mul_f32_e32 v153, v142, v149
	;; [unrolled: 1-line block ×7, first 2 shown]
	v_dual_mul_f32 v150, v142, v147 :: v_dual_and_b32 v155, 0x7f800000, v154
	v_mul_f32_e32 v149, v142, v146
                                        ; implicit-def: $vgpr146
	s_delay_alu instid0(VALU_DEP_2)
	v_cmpx_ne_u32_e32 0x7f800000, v155
	s_xor_b32 s2, exec_lo, s2
; %bb.13:
	v_bfe_u32 v146, v154, 16, 1
	s_delay_alu instid0(VALU_DEP_1)
	v_add3_u32 v146, v154, v146, 0x7fff
                                        ; implicit-def: $vgpr154
; %bb.14:
	s_and_not1_saveexec_b32 s2, s2
; %bb.15:
	v_and_b32_e32 v146, 0xffff, v154
	v_or_b32_e32 v147, 0x10000, v154
	s_delay_alu instid0(VALU_DEP_2) | instskip(NEXT) | instid1(VALU_DEP_2)
	v_cmp_eq_u32_e32 vcc_lo, 0, v146
	v_cndmask_b32_e32 v146, v147, v154, vcc_lo
; %bb.16:
	s_or_b32 exec_lo, exec_lo, s2
	v_and_b32_e32 v147, 0x7f800000, v149
	s_delay_alu instid0(VALU_DEP_1) | instskip(SKIP_1) | instid1(SALU_CYCLE_1)
	v_cmp_ne_u32_e32 vcc_lo, 0x7f800000, v147
                                        ; implicit-def: $vgpr147
	s_and_saveexec_b32 s2, vcc_lo
	s_xor_b32 s2, exec_lo, s2
; %bb.17:
	v_bfe_u32 v147, v149, 16, 1
	s_delay_alu instid0(VALU_DEP_1)
	v_add3_u32 v147, v149, v147, 0x7fff
                                        ; implicit-def: $vgpr149
; %bb.18:
	s_and_not1_saveexec_b32 s2, s2
; %bb.19:
	v_and_b32_e32 v147, 0xffff, v149
	v_or_b32_e32 v154, 0x10000, v149
	s_delay_alu instid0(VALU_DEP_2) | instskip(NEXT) | instid1(VALU_DEP_2)
	v_cmp_eq_u32_e32 vcc_lo, 0, v147
	v_cndmask_b32_e32 v147, v154, v149, vcc_lo
; %bb.20:
	s_or_b32 exec_lo, exec_lo, s2
	v_and_b32_e32 v149, 0x7f800000, v150
	s_delay_alu instid0(VALU_DEP_1) | instskip(SKIP_1) | instid1(SALU_CYCLE_1)
	v_cmp_ne_u32_e32 vcc_lo, 0x7f800000, v149
                                        ; implicit-def: $vgpr149
	s_and_saveexec_b32 s2, vcc_lo
	s_xor_b32 s2, exec_lo, s2
; %bb.21:
	v_bfe_u32 v149, v150, 16, 1
	s_delay_alu instid0(VALU_DEP_1)
	v_add3_u32 v149, v150, v149, 0x7fff
                                        ; implicit-def: $vgpr150
; %bb.22:
	s_and_not1_saveexec_b32 s2, s2
; %bb.23:
	v_and_b32_e32 v149, 0xffff, v150
	v_or_b32_e32 v154, 0x10000, v150
	s_delay_alu instid0(VALU_DEP_2) | instskip(NEXT) | instid1(VALU_DEP_2)
	v_cmp_eq_u32_e32 vcc_lo, 0, v149
	v_cndmask_b32_e32 v149, v154, v150, vcc_lo
; %bb.24:
	s_or_b32 exec_lo, exec_lo, s2
	v_and_b32_e32 v150, 0x7f800000, v153
	s_delay_alu instid0(VALU_DEP_1) | instskip(SKIP_1) | instid1(SALU_CYCLE_1)
	v_cmp_ne_u32_e32 vcc_lo, 0x7f800000, v150
                                        ; implicit-def: $vgpr150
	s_and_saveexec_b32 s2, vcc_lo
	s_xor_b32 s2, exec_lo, s2
; %bb.25:
	v_bfe_u32 v150, v153, 16, 1
	s_delay_alu instid0(VALU_DEP_1)
	v_add3_u32 v150, v153, v150, 0x7fff
                                        ; implicit-def: $vgpr153
; %bb.26:
	s_and_not1_saveexec_b32 s2, s2
; %bb.27:
	v_and_b32_e32 v150, 0xffff, v153
	v_or_b32_e32 v154, 0x10000, v153
	s_delay_alu instid0(VALU_DEP_2) | instskip(NEXT) | instid1(VALU_DEP_2)
	v_cmp_eq_u32_e32 vcc_lo, 0, v150
	v_cndmask_b32_e32 v150, v154, v153, vcc_lo
; %bb.28:
	s_or_b32 exec_lo, exec_lo, s2
	v_and_b32_e32 v153, 0x7f800000, v152
	s_delay_alu instid0(VALU_DEP_1) | instskip(SKIP_1) | instid1(SALU_CYCLE_1)
	v_cmp_ne_u32_e32 vcc_lo, 0x7f800000, v153
                                        ; implicit-def: $vgpr153
	s_and_saveexec_b32 s2, vcc_lo
	s_xor_b32 s2, exec_lo, s2
; %bb.29:
	v_bfe_u32 v153, v152, 16, 1
	s_delay_alu instid0(VALU_DEP_1)
	v_add3_u32 v153, v152, v153, 0x7fff
                                        ; implicit-def: $vgpr152
; %bb.30:
	s_and_not1_saveexec_b32 s2, s2
; %bb.31:
	v_and_b32_e32 v153, 0xffff, v152
	v_or_b32_e32 v154, 0x10000, v152
	s_delay_alu instid0(VALU_DEP_2) | instskip(NEXT) | instid1(VALU_DEP_2)
	v_cmp_eq_u32_e32 vcc_lo, 0, v153
	v_cndmask_b32_e32 v153, v154, v152, vcc_lo
; %bb.32:
	s_or_b32 exec_lo, exec_lo, s2
	v_and_b32_e32 v152, 0x7f800000, v151
	s_delay_alu instid0(VALU_DEP_1) | instskip(SKIP_1) | instid1(SALU_CYCLE_1)
	v_cmp_ne_u32_e32 vcc_lo, 0x7f800000, v152
                                        ; implicit-def: $vgpr152
	s_and_saveexec_b32 s2, vcc_lo
	s_xor_b32 s2, exec_lo, s2
; %bb.33:
	v_bfe_u32 v152, v151, 16, 1
	s_delay_alu instid0(VALU_DEP_1)
	v_add3_u32 v152, v151, v152, 0x7fff
                                        ; implicit-def: $vgpr151
; %bb.34:
	s_and_not1_saveexec_b32 s2, s2
; %bb.35:
	v_and_b32_e32 v152, 0xffff, v151
	v_or_b32_e32 v154, 0x10000, v151
	s_delay_alu instid0(VALU_DEP_2) | instskip(NEXT) | instid1(VALU_DEP_2)
	v_cmp_eq_u32_e32 vcc_lo, 0, v152
	v_cndmask_b32_e32 v152, v154, v151, vcc_lo
; %bb.36:
	s_or_b32 exec_lo, exec_lo, s2
	v_and_b32_e32 v151, 0x7f800000, v148
	s_delay_alu instid0(VALU_DEP_1) | instskip(SKIP_1) | instid1(SALU_CYCLE_1)
	v_cmp_ne_u32_e32 vcc_lo, 0x7f800000, v151
                                        ; implicit-def: $vgpr151
	s_and_saveexec_b32 s2, vcc_lo
	s_xor_b32 s2, exec_lo, s2
; %bb.37:
	v_bfe_u32 v151, v148, 16, 1
	s_delay_alu instid0(VALU_DEP_1)
	v_add3_u32 v151, v148, v151, 0x7fff
                                        ; implicit-def: $vgpr148
; %bb.38:
	s_and_not1_saveexec_b32 s2, s2
; %bb.39:
	v_and_b32_e32 v151, 0xffff, v148
	v_or_b32_e32 v154, 0x10000, v148
	s_delay_alu instid0(VALU_DEP_2) | instskip(NEXT) | instid1(VALU_DEP_2)
	v_cmp_eq_u32_e32 vcc_lo, 0, v151
	v_cndmask_b32_e32 v151, v154, v148, vcc_lo
; %bb.40:
	s_or_b32 exec_lo, exec_lo, s2
	v_and_b32_e32 v148, 0x7f800000, v144
	s_delay_alu instid0(VALU_DEP_1) | instskip(SKIP_1) | instid1(SALU_CYCLE_1)
	v_cmp_ne_u32_e32 vcc_lo, 0x7f800000, v148
                                        ; implicit-def: $vgpr148
	s_and_saveexec_b32 s2, vcc_lo
	s_xor_b32 s2, exec_lo, s2
; %bb.41:
	v_bfe_u32 v148, v144, 16, 1
	s_delay_alu instid0(VALU_DEP_1)
	v_add3_u32 v148, v144, v148, 0x7fff
                                        ; implicit-def: $vgpr144
; %bb.42:
	s_and_not1_saveexec_b32 s2, s2
; %bb.43:
	v_and_b32_e32 v148, 0xffff, v144
	v_or_b32_e32 v154, 0x10000, v144
	s_delay_alu instid0(VALU_DEP_2) | instskip(NEXT) | instid1(VALU_DEP_2)
	v_cmp_eq_u32_e32 vcc_lo, 0, v148
	v_cndmask_b32_e32 v148, v154, v144, vcc_lo
; %bb.44:
	s_or_b32 exec_lo, exec_lo, s2
	s_load_b64 s[34:35], s[0:1], 0x94
	v_lshlrev_b32_e32 v155, 4, v138
	s_delay_alu instid0(VALU_DEP_2)
	v_perm_b32 v154, v148, v151, 0x7060302
	v_mul_f32_e32 v148, v142, v131
	v_dual_mul_f32 v145, v142, v145 :: v_dual_lshlrev_b32 v144, 6, v140
	v_dual_mul_f32 v143, v142, v143 :: v_dual_lshlrev_b32 v156, 11, v141
	v_perm_b32 v153, v152, v153, 0x7060302
	v_perm_b32 v152, v150, v149, 0x7060302
	;; [unrolled: 1-line block ×3, first 2 shown]
	s_delay_alu instid0(VALU_DEP_4)
	v_or3_b32 v131, v155, v156, v144
	v_mul_f32_e32 v136, v142, v136
	v_dual_mul_f32 v146, v142, v134 :: v_dual_and_b32 v149, 0x7f800000, v148
	v_mul_f32_e32 v135, v142, v135
	v_mul_f32_e32 v147, v142, v133
	;; [unrolled: 1-line block ×3, first 2 shown]
	s_mov_b32 s2, exec_lo
	ds_store_b128 v131, v[151:154]
                                        ; implicit-def: $vgpr132
	v_cmpx_ne_u32_e32 0x7f800000, v149
	s_xor_b32 s2, exec_lo, s2
; %bb.45:
	v_bfe_u32 v132, v148, 16, 1
	s_delay_alu instid0(VALU_DEP_1)
	v_add3_u32 v132, v148, v132, 0x7fff
                                        ; implicit-def: $vgpr148
; %bb.46:
	s_and_not1_saveexec_b32 s2, s2
; %bb.47:
	v_and_b32_e32 v132, 0xffff, v148
	v_or_b32_e32 v133, 0x10000, v148
	s_delay_alu instid0(VALU_DEP_2) | instskip(NEXT) | instid1(VALU_DEP_2)
	v_cmp_eq_u32_e32 vcc_lo, 0, v132
	v_cndmask_b32_e32 v132, v133, v148, vcc_lo
; %bb.48:
	s_or_b32 exec_lo, exec_lo, s2
	v_and_b32_e32 v133, 0x7f800000, v134
	s_delay_alu instid0(VALU_DEP_1) | instskip(SKIP_1) | instid1(SALU_CYCLE_1)
	v_cmp_ne_u32_e32 vcc_lo, 0x7f800000, v133
                                        ; implicit-def: $vgpr133
	s_and_saveexec_b32 s2, vcc_lo
	s_xor_b32 s2, exec_lo, s2
; %bb.49:
	v_bfe_u32 v133, v134, 16, 1
	s_delay_alu instid0(VALU_DEP_1)
	v_add3_u32 v133, v134, v133, 0x7fff
                                        ; implicit-def: $vgpr134
; %bb.50:
	s_and_not1_saveexec_b32 s2, s2
; %bb.51:
	v_and_b32_e32 v133, 0xffff, v134
	v_or_b32_e32 v142, 0x10000, v134
	s_delay_alu instid0(VALU_DEP_2) | instskip(NEXT) | instid1(VALU_DEP_2)
	v_cmp_eq_u32_e32 vcc_lo, 0, v133
	v_cndmask_b32_e32 v133, v142, v134, vcc_lo
; %bb.52:
	s_or_b32 exec_lo, exec_lo, s2
	v_and_b32_e32 v134, 0x7f800000, v147
	s_delay_alu instid0(VALU_DEP_1) | instskip(SKIP_1) | instid1(SALU_CYCLE_1)
	v_cmp_ne_u32_e32 vcc_lo, 0x7f800000, v134
                                        ; implicit-def: $vgpr134
	s_and_saveexec_b32 s2, vcc_lo
	s_xor_b32 s2, exec_lo, s2
; %bb.53:
	v_bfe_u32 v134, v147, 16, 1
	s_delay_alu instid0(VALU_DEP_1)
	v_add3_u32 v134, v147, v134, 0x7fff
                                        ; implicit-def: $vgpr147
; %bb.54:
	s_and_not1_saveexec_b32 s2, s2
; %bb.55:
	v_and_b32_e32 v134, 0xffff, v147
	v_or_b32_e32 v142, 0x10000, v147
	s_delay_alu instid0(VALU_DEP_2) | instskip(NEXT) | instid1(VALU_DEP_2)
	v_cmp_eq_u32_e32 vcc_lo, 0, v134
	v_cndmask_b32_e32 v134, v142, v147, vcc_lo
; %bb.56:
	s_or_b32 exec_lo, exec_lo, s2
	v_and_b32_e32 v142, 0x7f800000, v146
	s_delay_alu instid0(VALU_DEP_1) | instskip(SKIP_1) | instid1(SALU_CYCLE_1)
	v_cmp_ne_u32_e32 vcc_lo, 0x7f800000, v142
                                        ; implicit-def: $vgpr142
	s_and_saveexec_b32 s2, vcc_lo
	s_xor_b32 s2, exec_lo, s2
; %bb.57:
	v_bfe_u32 v142, v146, 16, 1
	s_delay_alu instid0(VALU_DEP_1)
	v_add3_u32 v142, v146, v142, 0x7fff
                                        ; implicit-def: $vgpr146
; %bb.58:
	s_and_not1_saveexec_b32 s2, s2
; %bb.59:
	v_and_b32_e32 v142, 0xffff, v146
	v_or_b32_e32 v147, 0x10000, v146
	s_delay_alu instid0(VALU_DEP_2) | instskip(NEXT) | instid1(VALU_DEP_2)
	v_cmp_eq_u32_e32 vcc_lo, 0, v142
	v_cndmask_b32_e32 v142, v147, v146, vcc_lo
; %bb.60:
	s_or_b32 exec_lo, exec_lo, s2
	v_and_b32_e32 v146, 0x7f800000, v135
	s_delay_alu instid0(VALU_DEP_1) | instskip(SKIP_1) | instid1(SALU_CYCLE_1)
	v_cmp_ne_u32_e32 vcc_lo, 0x7f800000, v146
                                        ; implicit-def: $vgpr146
	s_and_saveexec_b32 s2, vcc_lo
	s_xor_b32 s2, exec_lo, s2
; %bb.61:
	v_bfe_u32 v146, v135, 16, 1
	s_delay_alu instid0(VALU_DEP_1)
	v_add3_u32 v146, v135, v146, 0x7fff
                                        ; implicit-def: $vgpr135
; %bb.62:
	s_and_not1_saveexec_b32 s2, s2
; %bb.63:
	v_and_b32_e32 v146, 0xffff, v135
	v_or_b32_e32 v147, 0x10000, v135
	s_delay_alu instid0(VALU_DEP_2) | instskip(NEXT) | instid1(VALU_DEP_2)
	v_cmp_eq_u32_e32 vcc_lo, 0, v146
	v_cndmask_b32_e32 v146, v147, v135, vcc_lo
; %bb.64:
	s_or_b32 exec_lo, exec_lo, s2
	v_and_b32_e32 v135, 0x7f800000, v136
	s_delay_alu instid0(VALU_DEP_1) | instskip(SKIP_1) | instid1(SALU_CYCLE_1)
	v_cmp_ne_u32_e32 vcc_lo, 0x7f800000, v135
                                        ; implicit-def: $vgpr135
	s_and_saveexec_b32 s2, vcc_lo
	s_xor_b32 s2, exec_lo, s2
; %bb.65:
	v_bfe_u32 v135, v136, 16, 1
	s_delay_alu instid0(VALU_DEP_1)
	v_add3_u32 v135, v136, v135, 0x7fff
                                        ; implicit-def: $vgpr136
; %bb.66:
	s_and_not1_saveexec_b32 s2, s2
; %bb.67:
	v_and_b32_e32 v135, 0xffff, v136
	v_or_b32_e32 v147, 0x10000, v136
	s_delay_alu instid0(VALU_DEP_2) | instskip(NEXT) | instid1(VALU_DEP_2)
	v_cmp_eq_u32_e32 vcc_lo, 0, v135
	v_cndmask_b32_e32 v135, v147, v136, vcc_lo
; %bb.68:
	s_or_b32 exec_lo, exec_lo, s2
	v_and_b32_e32 v136, 0x7f800000, v143
	s_delay_alu instid0(VALU_DEP_1) | instskip(SKIP_1) | instid1(SALU_CYCLE_1)
	v_cmp_ne_u32_e32 vcc_lo, 0x7f800000, v136
                                        ; implicit-def: $vgpr136
	s_and_saveexec_b32 s2, vcc_lo
	s_xor_b32 s2, exec_lo, s2
; %bb.69:
	v_bfe_u32 v136, v143, 16, 1
	s_delay_alu instid0(VALU_DEP_1)
	v_add3_u32 v136, v143, v136, 0x7fff
                                        ; implicit-def: $vgpr143
; %bb.70:
	s_and_not1_saveexec_b32 s2, s2
; %bb.71:
	v_and_b32_e32 v136, 0xffff, v143
	v_or_b32_e32 v147, 0x10000, v143
	s_delay_alu instid0(VALU_DEP_2) | instskip(NEXT) | instid1(VALU_DEP_2)
	v_cmp_eq_u32_e32 vcc_lo, 0, v136
	v_cndmask_b32_e32 v136, v147, v143, vcc_lo
; %bb.72:
	s_or_b32 exec_lo, exec_lo, s2
	v_and_b32_e32 v143, 0x7f800000, v145
	s_delay_alu instid0(VALU_DEP_1) | instskip(SKIP_1) | instid1(SALU_CYCLE_1)
	v_cmp_ne_u32_e32 vcc_lo, 0x7f800000, v143
                                        ; implicit-def: $vgpr143
	s_and_saveexec_b32 s2, vcc_lo
	s_xor_b32 s2, exec_lo, s2
; %bb.73:
	v_bfe_u32 v143, v145, 16, 1
	s_delay_alu instid0(VALU_DEP_1)
	v_add3_u32 v143, v145, v143, 0x7fff
                                        ; implicit-def: $vgpr145
; %bb.74:
	s_and_not1_saveexec_b32 s2, s2
; %bb.75:
	v_and_b32_e32 v143, 0xffff, v145
	v_or_b32_e32 v147, 0x10000, v145
	s_delay_alu instid0(VALU_DEP_2) | instskip(NEXT) | instid1(VALU_DEP_2)
	v_cmp_eq_u32_e32 vcc_lo, 0, v143
	v_cndmask_b32_e32 v143, v147, v145, vcc_lo
; %bb.76:
	s_or_b32 exec_lo, exec_lo, s2
	s_delay_alu instid0(VALU_DEP_1)
	v_perm_b32 v136, v143, v136, 0x7060302
	v_perm_b32 v135, v135, v146, 0x7060302
	;; [unrolled: 1-line block ×4, first 2 shown]
	v_lshl_or_b32 v145, v141, 11, v144
	v_lshlrev_b32_e32 v142, 2, v138
	ds_store_b128 v131, v[133:136] offset:1024
	s_waitcnt lgkmcnt(0)
	s_barrier
	buffer_gl0_inv
	ds_load_b128 v[132:135], v145
	ds_load_b128 v[147:150], v145 offset:16
	v_or_b32_e32 v143, 1, v142
	v_cmp_eq_u32_e64 s11, 1, v142
	v_cmp_eq_u32_e64 s10, 2, v142
	;; [unrolled: 1-line block ×3, first 2 shown]
	v_or_b32_e32 v141, 2, v142
	v_cmp_eq_u32_e64 s6, 1, v143
	v_cmp_eq_u32_e64 s5, 2, v143
	;; [unrolled: 1-line block ×8, first 2 shown]
	v_cmp_eq_u32_e32 vcc_lo, 5, v143
	v_cmp_eq_u32_e64 s9, 2, v141
	v_cmp_eq_u32_e64 s3, 6, v143
	;; [unrolled: 1-line block ×4, first 2 shown]
	s_waitcnt lgkmcnt(1)
	v_lshrrev_b32_e32 v136, 16, v132
	s_waitcnt lgkmcnt(0)
	v_lshrrev_b32_e32 v155, 16, v147
	v_lshrrev_b32_e32 v161, 16, v148
	v_lshrrev_b32_e32 v159, 16, v133
	v_lshrrev_b32_e32 v163, 16, v149
	v_cndmask_b32_e64 v146, v132, v136, s11
	v_cndmask_b32_e64 v151, v147, v155, s11
	;; [unrolled: 1-line block ×4, first 2 shown]
	v_lshrrev_b32_e32 v160, 16, v134
	v_cndmask_b32_e64 v146, v146, v133, s10
	v_cndmask_b32_e64 v151, v151, v148, s10
	;; [unrolled: 1-line block ×8, first 2 shown]
	v_lshrrev_b32_e32 v164, 16, v150
	v_cndmask_b32_e64 v153, v153, v161, s4
	v_cndmask_b32_e64 v146, v146, v134, s16
	;; [unrolled: 1-line block ×5, first 2 shown]
	v_lshrrev_b32_e32 v162, 16, v135
	v_cndmask_b32_e64 v146, v146, v160, s12
	v_cndmask_b32_e64 v151, v151, v163, s12
	v_cndmask_b32_e32 v152, v152, v160, vcc_lo
	v_cndmask_b32_e64 v153, v153, v149, s2
	v_cmp_eq_u32_e64 s18, 7, v143
	v_cndmask_b32_e64 v146, v146, v135, s13
	v_cndmask_b32_e64 v151, v151, v150, s13
	;; [unrolled: 1-line block ×4, first 2 shown]
	v_cmp_eq_u32_e64 s19, 4, v141
	v_cndmask_b32_e64 v165, v146, v162, s8
	v_cndmask_b32_e64 v166, v151, v164, s8
	;; [unrolled: 1-line block ×3, first 2 shown]
	v_or_b32_e32 v146, 3, v142
	v_cndmask_b32_e64 v167, v152, v162, s18
	v_cndmask_b32_e32 v156, v153, v163, vcc_lo
	v_cndmask_b32_e64 v158, v154, v134, s19
	v_cndmask_b32_e64 v157, v151, v148, s9
	ds_load_b128 v[151:154], v145 offset:1024
	v_cmp_eq_u32_e64 s20, 1, v146
	v_cmp_eq_u32_e64 s21, 5, v141
	;; [unrolled: 1-line block ×3, first 2 shown]
	v_cndmask_b32_e64 v157, v157, v161, s17
	v_cmp_eq_u32_e64 s23, 3, v146
	v_cndmask_b32_e64 v132, v132, v136, s20
	v_cndmask_b32_e64 v136, v156, v150, s3
	;; [unrolled: 1-line block ×5, first 2 shown]
	ds_load_b128 v[155:158], v145 offset:1040
	v_cndmask_b32_e64 v132, v132, v133, s22
	v_cmp_eq_u32_e64 s25, 4, v146
	v_cmp_eq_u32_e64 s27, 5, v146
	v_cndmask_b32_e64 v147, v147, v148, s22
	v_cmp_eq_u32_e64 s24, 6, v141
	v_cndmask_b32_e64 v132, v132, v159, s23
	;; [unrolled: 2-line block ×3, first 2 shown]
	v_cndmask_b32_e64 v147, v147, v161, s23
	s_waitcnt lgkmcnt(1)
	v_lshrrev_b32_e32 v159, 16, v151
	v_cndmask_b32_e64 v132, v132, v134, s25
	v_cndmask_b32_e64 v148, v168, v135, s24
	;; [unrolled: 1-line block ×6, first 2 shown]
	v_lshrrev_b32_e32 v160, 16, v152
	v_cndmask_b32_e64 v161, v151, v159, s6
	v_cndmask_b32_e64 v134, v134, v163, s27
	s_waitcnt lgkmcnt(0)
	v_lshrrev_b32_e32 v149, 16, v155
	v_cndmask_b32_e64 v147, v147, v152, s10
	v_cndmask_b32_e64 v132, v132, v135, s28
	v_cmp_eq_u32_e64 s26, 7, v141
	v_cndmask_b32_e64 v134, v134, v150, s28
	v_cndmask_b32_e64 v163, v155, v149, s11
	;; [unrolled: 1-line block ×4, first 2 shown]
	v_lshrrev_b32_e32 v161, 16, v156
	v_cndmask_b32_e64 v136, v136, v164, s18
	v_cndmask_b32_e64 v150, v163, v156, s10
	v_cmp_eq_u32_e64 s10, 7, v146
	v_cndmask_b32_e64 v147, v147, v160, s4
	v_cndmask_b32_e64 v135, v135, v153, s16
	v_lshrrev_b32_e32 v163, 16, v153
	v_cndmask_b32_e64 v150, v150, v161, s15
	v_cndmask_b32_e64 v132, v132, v162, s10
	;; [unrolled: 1-line block ×8, first 2 shown]
	v_lshrrev_b32_e32 v164, 16, v157
	v_perm_b32 v135, v134, v132, 0x5040100
	v_cndmask_b32_e32 v132, v147, v163, vcc_lo
	v_cndmask_b32_e64 v147, v162, v154, s13
	v_lshrrev_b32_e32 v162, 16, v154
	v_cndmask_b32_e64 v150, v150, v164, s12
	v_perm_b32 v134, v133, v148, 0x5040100
	v_cndmask_b32_e64 v132, v132, v154, s3
	v_perm_b32 v133, v136, v167, 0x5040100
	v_cndmask_b32_e64 v136, v147, v162, s8
	v_cndmask_b32_e64 v147, v150, v158, s13
	;; [unrolled: 1-line block ×27, first 2 shown]
	v_cndmask_b32_e32 v149, v149, v164, vcc_lo
	v_lshrrev_b32_e32 v148, 16, v158
	v_cndmask_b32_e64 v132, v132, v154, s24
	v_cndmask_b32_e64 v150, v150, v154, s28
	;; [unrolled: 1-line block ×11, first 2 shown]
	v_perm_b32 v132, v166, v165, 0x5040100
	v_perm_b32 v150, v151, v150, 0x5040100
	;; [unrolled: 1-line block ×5, first 2 shown]
	s_mul_i32 s7, s35, 6
	s_mov_b32 s2, exec_lo
	ds_store_b128 v131, v[132:135]
	ds_store_b128 v131, v[147:150] offset:1024
	v_cmpx_gt_u32_e32 6, v0
	s_cbranch_execz .LBB675_78
; %bb.77:
	s_mul_i32 s3, s7, s30
	s_load_b128 s[8:11], s[0:1], 0x58
	v_add3_u32 v133, s3, s29, v140
	s_delay_alu instid0(VALU_DEP_1) | instskip(NEXT) | instid1(VALU_DEP_1)
	v_mad_u64_u32 v[131:132], null, v133, s34, s[14:15]
	v_ashrrev_i32_e32 v132, 31, v131
	s_delay_alu instid0(VALU_DEP_1) | instskip(SKIP_1) | instid1(VALU_DEP_1)
	v_lshlrev_b64 v[131:132], 2, v[131:132]
	s_waitcnt lgkmcnt(0)
	v_add_co_u32 v133, vcc_lo, s10, v131
	s_delay_alu instid0(VALU_DEP_2)
	v_add_co_ci_u32_e32 v134, vcc_lo, s11, v132, vcc_lo
	v_add_co_u32 v131, vcc_lo, s8, v131
	v_add_co_ci_u32_e32 v132, vcc_lo, s9, v132, vcc_lo
	global_store_b32 v[133:134], v129, off
	global_store_b32 v[131:132], v130, off
.LBB675_78:
	s_or_b32 exec_lo, exec_lo, s2
	s_waitcnt lgkmcnt(0)
	s_waitcnt_vscnt null, 0x0
	s_barrier
	buffer_gl0_inv
	ds_load_b128 v[147:150], v144
	ds_load_b128 v[151:154], v144 offset:16
	ds_load_b128 v[159:162], v144 offset:1040
	;; [unrolled: 1-line block ×3, first 2 shown]
	v_mov_b32_e32 v129, 0
	ds_load_b128 v[167:170], v144 offset:2064
	ds_load_b128 v[163:166], v144 offset:2048
	;; [unrolled: 1-line block ×6, first 2 shown]
	v_mov_b32_e32 v130, v129
	v_mov_b32_e32 v131, v129
	;; [unrolled: 1-line block ×7, first 2 shown]
	s_waitcnt lgkmcnt(8)
	s_delay_alu instid0(VALU_DEP_1)
	v_wmma_f32_16x16x16_bf16 v[129:136], v[121:128], v[147:154], v[129:136]
	ds_load_b128 v[125:128], v144 offset:5136
	ds_load_b128 v[121:124], v144 offset:5120
	s_waitcnt lgkmcnt(8)
	v_wmma_f32_16x16x16_bf16 v[129:136], v[113:120], v[155:162], v[129:136]
	ds_load_b128 v[117:120], v144 offset:6160
	ds_load_b128 v[113:116], v144 offset:6144
	s_waitcnt lgkmcnt(8)
	;; [unrolled: 4-line block ×8, first 2 shown]
	v_wmma_f32_16x16x16_bf16 v[129:136], v[65:72], v[97:104], v[129:136]
	s_waitcnt lgkmcnt(6)
	s_delay_alu instid0(VALU_DEP_1)
	v_wmma_f32_16x16x16_bf16 v[129:136], v[49:56], v[89:96], v[129:136]
	ds_load_b128 v[53:56], v144 offset:13328
	ds_load_b128 v[49:52], v144 offset:13312
	s_waitcnt lgkmcnt(6)
	v_wmma_f32_16x16x16_bf16 v[129:136], v[41:48], v[81:88], v[129:136]
	ds_load_b128 v[45:48], v144 offset:14352
	ds_load_b128 v[41:44], v144 offset:14336
	s_waitcnt lgkmcnt(6)
	;; [unrolled: 4-line block ×3, first 2 shown]
	v_wmma_f32_16x16x16_bf16 v[129:136], v[1:8], v[57:64], v[129:136]
	s_waitcnt lgkmcnt(4)
	s_delay_alu instid0(VALU_DEP_1) | instskip(SKIP_1) | instid1(VALU_DEP_1)
	v_wmma_f32_16x16x16_bf16 v[129:136], v[25:32], v[49:56], v[129:136]
	s_waitcnt lgkmcnt(2)
	v_wmma_f32_16x16x16_bf16 v[129:136], v[33:40], v[41:48], v[129:136]
	s_waitcnt lgkmcnt(0)
	s_delay_alu instid0(VALU_DEP_1) | instskip(NEXT) | instid1(VALU_DEP_1)
	v_wmma_f32_16x16x16_bf16 v[129:136], v[9:16], v[17:24], v[129:136]
	v_and_b32_e32 v1, 0x7f800000, v129
	s_delay_alu instid0(VALU_DEP_1) | instskip(SKIP_1) | instid1(SALU_CYCLE_1)
	v_cmp_ne_u32_e32 vcc_lo, 0x7f800000, v1
                                        ; implicit-def: $vgpr1
	s_and_saveexec_b32 s2, vcc_lo
	s_xor_b32 s2, exec_lo, s2
; %bb.79:
	v_bfe_u32 v1, v129, 16, 1
	s_delay_alu instid0(VALU_DEP_1)
	v_add3_u32 v1, v129, v1, 0x7fff
; %bb.80:
	s_and_not1_saveexec_b32 s2, s2
; %bb.81:
	v_and_b32_e32 v1, 0xffff, v129
	v_or_b32_e32 v2, 0x10000, v129
	s_delay_alu instid0(VALU_DEP_2) | instskip(NEXT) | instid1(VALU_DEP_2)
	v_cmp_eq_u32_e32 vcc_lo, 0, v1
	v_cndmask_b32_e32 v1, v2, v129, vcc_lo
; %bb.82:
	s_or_b32 exec_lo, exec_lo, s2
	v_and_b32_e32 v2, 0x7f800000, v130
	s_delay_alu instid0(VALU_DEP_1) | instskip(SKIP_1) | instid1(SALU_CYCLE_1)
	v_cmp_ne_u32_e32 vcc_lo, 0x7f800000, v2
                                        ; implicit-def: $vgpr2
	s_and_saveexec_b32 s2, vcc_lo
	s_xor_b32 s2, exec_lo, s2
; %bb.83:
	v_bfe_u32 v2, v130, 16, 1
	s_delay_alu instid0(VALU_DEP_1)
	v_add3_u32 v2, v130, v2, 0x7fff
; %bb.84:
	s_and_not1_saveexec_b32 s2, s2
; %bb.85:
	v_and_b32_e32 v2, 0xffff, v130
	v_or_b32_e32 v3, 0x10000, v130
	s_delay_alu instid0(VALU_DEP_2) | instskip(NEXT) | instid1(VALU_DEP_2)
	v_cmp_eq_u32_e32 vcc_lo, 0, v2
	v_cndmask_b32_e32 v2, v3, v130, vcc_lo
; %bb.86:
	s_or_b32 exec_lo, exec_lo, s2
	v_and_b32_e32 v3, 0x7f800000, v131
	s_delay_alu instid0(VALU_DEP_1) | instskip(SKIP_1) | instid1(SALU_CYCLE_1)
	v_cmp_ne_u32_e32 vcc_lo, 0x7f800000, v3
                                        ; implicit-def: $vgpr3
	s_and_saveexec_b32 s2, vcc_lo
	s_xor_b32 s2, exec_lo, s2
; %bb.87:
	v_bfe_u32 v3, v131, 16, 1
	s_delay_alu instid0(VALU_DEP_1)
	v_add3_u32 v3, v131, v3, 0x7fff
; %bb.88:
	s_and_not1_saveexec_b32 s2, s2
; %bb.89:
	v_and_b32_e32 v3, 0xffff, v131
	v_or_b32_e32 v4, 0x10000, v131
	s_delay_alu instid0(VALU_DEP_2) | instskip(NEXT) | instid1(VALU_DEP_2)
	v_cmp_eq_u32_e32 vcc_lo, 0, v3
	v_cndmask_b32_e32 v3, v4, v131, vcc_lo
; %bb.90:
	s_or_b32 exec_lo, exec_lo, s2
	v_and_b32_e32 v4, 0x7f800000, v132
	s_delay_alu instid0(VALU_DEP_1) | instskip(SKIP_1) | instid1(SALU_CYCLE_1)
	v_cmp_ne_u32_e32 vcc_lo, 0x7f800000, v4
                                        ; implicit-def: $vgpr4
	s_and_saveexec_b32 s2, vcc_lo
	s_xor_b32 s2, exec_lo, s2
; %bb.91:
	v_bfe_u32 v4, v132, 16, 1
	s_delay_alu instid0(VALU_DEP_1)
	v_add3_u32 v4, v132, v4, 0x7fff
; %bb.92:
	s_and_not1_saveexec_b32 s2, s2
; %bb.93:
	v_and_b32_e32 v4, 0xffff, v132
	v_or_b32_e32 v5, 0x10000, v132
	s_delay_alu instid0(VALU_DEP_2) | instskip(NEXT) | instid1(VALU_DEP_2)
	v_cmp_eq_u32_e32 vcc_lo, 0, v4
	v_cndmask_b32_e32 v4, v5, v132, vcc_lo
; %bb.94:
	s_or_b32 exec_lo, exec_lo, s2
	v_and_b32_e32 v5, 0x7f800000, v133
	s_delay_alu instid0(VALU_DEP_1) | instskip(SKIP_1) | instid1(SALU_CYCLE_1)
	v_cmp_ne_u32_e32 vcc_lo, 0x7f800000, v5
                                        ; implicit-def: $vgpr5
	s_and_saveexec_b32 s2, vcc_lo
	s_xor_b32 s2, exec_lo, s2
; %bb.95:
	v_bfe_u32 v5, v133, 16, 1
	s_delay_alu instid0(VALU_DEP_1)
	v_add3_u32 v5, v133, v5, 0x7fff
; %bb.96:
	s_and_not1_saveexec_b32 s2, s2
; %bb.97:
	v_and_b32_e32 v5, 0xffff, v133
	v_or_b32_e32 v6, 0x10000, v133
	s_delay_alu instid0(VALU_DEP_2) | instskip(NEXT) | instid1(VALU_DEP_2)
	v_cmp_eq_u32_e32 vcc_lo, 0, v5
	v_cndmask_b32_e32 v5, v6, v133, vcc_lo
; %bb.98:
	s_or_b32 exec_lo, exec_lo, s2
	v_and_b32_e32 v6, 0x7f800000, v134
	s_delay_alu instid0(VALU_DEP_1) | instskip(SKIP_1) | instid1(SALU_CYCLE_1)
	v_cmp_ne_u32_e32 vcc_lo, 0x7f800000, v6
                                        ; implicit-def: $vgpr6
	s_and_saveexec_b32 s2, vcc_lo
	s_xor_b32 s2, exec_lo, s2
; %bb.99:
	v_bfe_u32 v6, v134, 16, 1
	s_delay_alu instid0(VALU_DEP_1)
	v_add3_u32 v6, v134, v6, 0x7fff
; %bb.100:
	s_and_not1_saveexec_b32 s2, s2
; %bb.101:
	v_and_b32_e32 v6, 0xffff, v134
	v_or_b32_e32 v7, 0x10000, v134
	s_delay_alu instid0(VALU_DEP_2) | instskip(NEXT) | instid1(VALU_DEP_2)
	v_cmp_eq_u32_e32 vcc_lo, 0, v6
	v_cndmask_b32_e32 v6, v7, v134, vcc_lo
; %bb.102:
	s_or_b32 exec_lo, exec_lo, s2
	v_and_b32_e32 v7, 0x7f800000, v135
	s_delay_alu instid0(VALU_DEP_1) | instskip(SKIP_1) | instid1(SALU_CYCLE_1)
	v_cmp_ne_u32_e32 vcc_lo, 0x7f800000, v7
                                        ; implicit-def: $vgpr7
	s_and_saveexec_b32 s2, vcc_lo
	s_xor_b32 s2, exec_lo, s2
; %bb.103:
	v_bfe_u32 v7, v135, 16, 1
	s_delay_alu instid0(VALU_DEP_1)
	v_add3_u32 v7, v135, v7, 0x7fff
; %bb.104:
	s_and_not1_saveexec_b32 s2, s2
; %bb.105:
	v_and_b32_e32 v7, 0xffff, v135
	v_or_b32_e32 v8, 0x10000, v135
	s_delay_alu instid0(VALU_DEP_2) | instskip(NEXT) | instid1(VALU_DEP_2)
	v_cmp_eq_u32_e32 vcc_lo, 0, v7
	v_cndmask_b32_e32 v7, v8, v135, vcc_lo
; %bb.106:
	s_or_b32 exec_lo, exec_lo, s2
	v_and_b32_e32 v8, 0x7f800000, v136
	s_delay_alu instid0(VALU_DEP_1) | instskip(SKIP_1) | instid1(SALU_CYCLE_1)
	v_cmp_ne_u32_e32 vcc_lo, 0x7f800000, v8
                                        ; implicit-def: $vgpr8
	s_and_saveexec_b32 s2, vcc_lo
	s_xor_b32 s2, exec_lo, s2
; %bb.107:
	v_bfe_u32 v8, v136, 16, 1
	s_delay_alu instid0(VALU_DEP_1)
	v_add3_u32 v8, v136, v8, 0x7fff
                                        ; implicit-def: $vgpr129_vgpr130_vgpr131_vgpr132_vgpr133_vgpr134_vgpr135_vgpr136
; %bb.108:
	s_and_not1_saveexec_b32 s2, s2
; %bb.109:
	v_and_b32_e32 v8, 0xffff, v136
	v_or_b32_e32 v9, 0x10000, v136
	s_delay_alu instid0(VALU_DEP_2) | instskip(NEXT) | instid1(VALU_DEP_2)
	v_cmp_eq_u32_e32 vcc_lo, 0, v8
	v_cndmask_b32_e32 v8, v9, v136, vcc_lo
; %bb.110:
	s_or_b32 exec_lo, exec_lo, s2
	s_delay_alu instid0(VALU_DEP_1)
	v_perm_b32 v7, v8, v7, 0x7060302
	v_perm_b32 v6, v6, v5, 0x7060302
	;; [unrolled: 1-line block ×4, first 2 shown]
	v_lshl_or_b32 v9, v138, 4, v145
	s_barrier
	buffer_gl0_inv
	v_cmp_eq_u32_e32 vcc_lo, 1, v142
	ds_store_b128 v9, v[4:7]
	s_waitcnt lgkmcnt(0)
	s_barrier
	buffer_gl0_inv
	ds_load_b128 v[1:4], v145
	ds_load_b128 v[5:8], v145 offset:16
	v_cmp_eq_u32_e64 s3, 2, v142
	v_cmp_eq_u32_e64 s2, 1, v143
	v_cmp_eq_u32_e64 s4, 3, v142
	v_cmp_eq_u32_e64 s6, 2, v141
	v_cmp_eq_u32_e64 s5, 7, v143
	s_waitcnt lgkmcnt(1)
	v_lshrrev_b32_e32 v10, 16, v1
	s_waitcnt lgkmcnt(0)
	v_lshrrev_b32_e32 v14, 16, v5
	v_lshrrev_b32_e32 v15, 16, v6
	;; [unrolled: 1-line block ×4, first 2 shown]
	v_cndmask_b32_e64 v20, v1, v10, s2
	v_cndmask_b32_e32 v19, v5, v14, vcc_lo
	v_cndmask_b32_e64 v21, v5, v14, s2
	v_lshrrev_b32_e32 v16, 16, v7
	v_cmp_eq_u32_e64 s2, 1, v141
	v_lshrrev_b32_e32 v13, 16, v4
	v_cndmask_b32_e64 v19, v19, v6, s3
	v_lshrrev_b32_e32 v17, 16, v8
	s_delay_alu instid0(VALU_DEP_4) | instskip(SKIP_1) | instid1(VALU_DEP_4)
	v_cndmask_b32_e64 v22, v1, v10, s2
	v_cndmask_b32_e64 v23, v5, v14, s2
	;; [unrolled: 1-line block ×3, first 2 shown]
	v_cndmask_b32_e32 v18, v1, v10, vcc_lo
	v_cmp_eq_u32_e32 vcc_lo, 2, v143
	v_cmp_eq_u32_e64 s2, 2, v146
	v_cndmask_b32_e64 v22, v22, v2, s6
	v_cndmask_b32_e32 v20, v20, v2, vcc_lo
	v_cndmask_b32_e32 v21, v21, v6, vcc_lo
	v_cmp_eq_u32_e32 vcc_lo, 4, v142
	v_cndmask_b32_e32 v19, v19, v7, vcc_lo
	v_cndmask_b32_e64 v18, v18, v2, s3
	v_cmp_eq_u32_e64 s3, 3, v143
	s_delay_alu instid0(VALU_DEP_2) | instskip(NEXT) | instid1(VALU_DEP_2)
	v_cndmask_b32_e64 v18, v18, v11, s4
	v_cndmask_b32_e64 v21, v21, v15, s3
	v_cmp_eq_u32_e64 s4, 5, v142
	s_delay_alu instid0(VALU_DEP_3) | instskip(SKIP_1) | instid1(VALU_DEP_3)
	v_cndmask_b32_e32 v18, v18, v3, vcc_lo
	v_cmp_eq_u32_e32 vcc_lo, 4, v143
	v_cndmask_b32_e64 v19, v19, v16, s4
	s_delay_alu instid0(VALU_DEP_3) | instskip(SKIP_4) | instid1(VALU_DEP_3)
	v_cndmask_b32_e64 v18, v18, v12, s4
	v_cndmask_b32_e32 v21, v21, v7, vcc_lo
	v_cndmask_b32_e64 v20, v20, v11, s3
	v_cmp_eq_u32_e64 s3, 5, v143
	v_cmp_eq_u32_e64 s4, 6, v142
	v_cndmask_b32_e32 v20, v20, v3, vcc_lo
	s_delay_alu instid0(VALU_DEP_3) | instskip(SKIP_1) | instid1(VALU_DEP_4)
	v_cndmask_b32_e64 v21, v21, v16, s3
	v_cmp_eq_u32_e32 vcc_lo, 6, v143
	v_cndmask_b32_e64 v18, v18, v4, s4
	v_cndmask_b32_e64 v19, v19, v8, s4
	;; [unrolled: 1-line block ×3, first 2 shown]
	v_cmp_eq_u32_e64 s3, 1, v146
	v_cmp_eq_u32_e64 s4, 7, v142
	s_delay_alu instid0(VALU_DEP_3) | instskip(NEXT) | instid1(VALU_DEP_3)
	v_cndmask_b32_e32 v20, v20, v4, vcc_lo
	v_cndmask_b32_e64 v1, v1, v10, s3
	v_cndmask_b32_e64 v5, v5, v14, s3
	v_cmp_eq_u32_e64 s3, 3, v141
	v_cndmask_b32_e64 v14, v23, v6, s6
	v_cmp_eq_u32_e64 s6, 3, v146
	v_cndmask_b32_e64 v1, v1, v2, s2
	v_cndmask_b32_e64 v2, v5, v6, s2
	;; [unrolled: 1-line block ×3, first 2 shown]
	v_cmp_eq_u32_e64 s2, 4, v141
	v_cndmask_b32_e64 v6, v14, v15, s3
	v_cndmask_b32_e64 v1, v1, v11, s6
	v_cmp_eq_u32_e64 s3, 4, v146
	v_cndmask_b32_e64 v2, v2, v15, s6
	v_cndmask_b32_e64 v5, v10, v3, s2
	;; [unrolled: 3-line block ×3, first 2 shown]
	v_cndmask_b32_e64 v2, v2, v7, s3
	v_cmp_eq_u32_e64 s2, 5, v146
	v_cndmask_b32_e64 v5, v5, v12, s6
	v_cmp_eq_u32_e64 s3, 6, v141
	;; [unrolled: 2-line block ×3, first 2 shown]
	v_cndmask_b32_e64 v1, v1, v12, s2
	v_cndmask_b32_e64 v2, v2, v16, s2
	;; [unrolled: 1-line block ×4, first 2 shown]
	v_cmp_eq_u32_e64 s2, 7, v146
	v_cndmask_b32_e64 v1, v1, v4, s6
	v_cndmask_b32_e64 v2, v2, v8, s6
	v_cmp_eq_u32_e64 s3, 7, v141
	v_cndmask_b32_e32 v4, v21, v8, vcc_lo
	v_cndmask_b32_e64 v18, v18, v13, s4
	v_cndmask_b32_e64 v20, v20, v13, s5
	;; [unrolled: 1-line block ×8, first 2 shown]
	s_mov_b32 s2, exec_lo
	v_perm_b32 v4, v2, v1, 0x5040100
	v_perm_b32 v3, v3, v5, 0x5040100
	;; [unrolled: 1-line block ×4, first 2 shown]
	ds_store_b128 v9, v[1:4]
	s_waitcnt lgkmcnt(0)
	s_barrier
	buffer_gl0_inv
	v_cmpx_gt_u32_e32 32, v0
	s_cbranch_execz .LBB675_2
; %bb.111:
	s_load_b64 s[0:1], s[0:1], 0x68
	s_lshl_b32 s4, s34, 7
	v_or_b32_e32 v3, s29, v138
	s_mul_i32 s2, s4, s30
	v_lshlrev_b32_e32 v0, 10, v0
	s_mul_i32 s2, s2, s7
	v_lshlrev_b32_e32 v1, 4, v139
	s_ashr_i32 s3, s2, 31
	v_mul_lo_u32 v12, v3, s4
	s_lshl_b64 s[2:3], s[2:3], 1
	v_lshlrev_b32_e32 v2, 6, v138
	v_and_b32_e32 v0, 0x3800, v0
	s_delay_alu instid0(VALU_DEP_1) | instskip(NEXT) | instid1(VALU_DEP_4)
	v_or3_b32 v8, v0, v1, v2
	v_ashrrev_i32_e32 v13, 31, v12
	ds_load_b128 v[0:3], v8
	ds_load_b128 v[4:7], v8 offset:128
	ds_load_b128 v[8:11], v8 offset:256
	s_waitcnt lgkmcnt(0)
	s_add_u32 s2, s0, s2
	s_addc_u32 s3, s1, s3
	s_lshl_b32 s0, s14, 7
	s_delay_alu instid0(SALU_CYCLE_1) | instskip(NEXT) | instid1(SALU_CYCLE_1)
	s_ashr_i32 s1, s0, 31
	s_lshl_b64 s[0:1], s[0:1], 1
	s_delay_alu instid0(SALU_CYCLE_1)
	s_add_u32 s0, s2, s0
	s_addc_u32 s1, s3, s1
	s_lshl_b32 s2, s34, 8
	v_add_co_u32 v18, s0, s0, v137
	v_add_nc_u32_e32 v14, s2, v12
	v_lshlrev_b64 v[12:13], 1, v[12:13]
	v_add_co_ci_u32_e64 v19, null, s1, 0, s0
	s_delay_alu instid0(VALU_DEP_3) | instskip(SKIP_1) | instid1(VALU_DEP_4)
	v_add_nc_u32_e32 v16, s2, v14
	v_ashrrev_i32_e32 v15, 31, v14
	v_add_co_u32 v12, vcc_lo, v18, v12
	s_delay_alu instid0(VALU_DEP_4) | instskip(NEXT) | instid1(VALU_DEP_4)
	v_add_co_ci_u32_e32 v13, vcc_lo, v19, v13, vcc_lo
	v_ashrrev_i32_e32 v17, 31, v16
	s_delay_alu instid0(VALU_DEP_4) | instskip(NEXT) | instid1(VALU_DEP_2)
	v_lshlrev_b64 v[14:15], 1, v[14:15]
	v_lshlrev_b64 v[16:17], 1, v[16:17]
	s_delay_alu instid0(VALU_DEP_2) | instskip(NEXT) | instid1(VALU_DEP_3)
	v_add_co_u32 v14, vcc_lo, v18, v14
	v_add_co_ci_u32_e32 v15, vcc_lo, v19, v15, vcc_lo
	s_delay_alu instid0(VALU_DEP_3) | instskip(NEXT) | instid1(VALU_DEP_4)
	v_add_co_u32 v16, vcc_lo, v18, v16
	v_add_co_ci_u32_e32 v17, vcc_lo, v19, v17, vcc_lo
	s_clause 0x2
	global_store_b128 v[12:13], v[0:3], off
	global_store_b128 v[14:15], v[4:7], off
	;; [unrolled: 1-line block ×3, first 2 shown]
	s_nop 0
	s_sendmsg sendmsg(MSG_DEALLOC_VGPRS)
	s_endpgm
	.section	.rodata,"a",@progbits
	.p2align	6, 0x0
	.amdhsa_kernel _Z39paged_attention_ll4mi_QKV_mfma16_kernelI14__hip_bfloat16S0_LN4vllm18Fp8KVCacheDataTypeE0ES0_Li16ELi128ELi256ELb0ELi6EL8MFMAType0EEvPKT_PKT0_S9_ifPKiSB_SB_iPKfiiiPfSE_PS4_PT2_iSD_SD_
		.amdhsa_group_segment_fixed_size 17472
		.amdhsa_private_segment_fixed_size 0
		.amdhsa_kernarg_size 400
		.amdhsa_user_sgpr_count 13
		.amdhsa_user_sgpr_dispatch_ptr 0
		.amdhsa_user_sgpr_queue_ptr 0
		.amdhsa_user_sgpr_kernarg_segment_ptr 1
		.amdhsa_user_sgpr_dispatch_id 0
		.amdhsa_user_sgpr_private_segment_size 0
		.amdhsa_wavefront_size32 1
		.amdhsa_uses_dynamic_stack 0
		.amdhsa_enable_private_segment 0
		.amdhsa_system_sgpr_workgroup_id_x 1
		.amdhsa_system_sgpr_workgroup_id_y 1
		.amdhsa_system_sgpr_workgroup_id_z 1
		.amdhsa_system_sgpr_workgroup_info 0
		.amdhsa_system_vgpr_workitem_id 0
		.amdhsa_next_free_vgpr 218
		.amdhsa_next_free_sgpr 50
		.amdhsa_reserve_vcc 1
		.amdhsa_float_round_mode_32 0
		.amdhsa_float_round_mode_16_64 0
		.amdhsa_float_denorm_mode_32 3
		.amdhsa_float_denorm_mode_16_64 3
		.amdhsa_dx10_clamp 1
		.amdhsa_ieee_mode 1
		.amdhsa_fp16_overflow 0
		.amdhsa_workgroup_processor_mode 1
		.amdhsa_memory_ordered 1
		.amdhsa_forward_progress 0
		.amdhsa_shared_vgpr_count 0
		.amdhsa_exception_fp_ieee_invalid_op 0
		.amdhsa_exception_fp_denorm_src 0
		.amdhsa_exception_fp_ieee_div_zero 0
		.amdhsa_exception_fp_ieee_overflow 0
		.amdhsa_exception_fp_ieee_underflow 0
		.amdhsa_exception_fp_ieee_inexact 0
		.amdhsa_exception_int_div_zero 0
	.end_amdhsa_kernel
	.section	.text._Z39paged_attention_ll4mi_QKV_mfma16_kernelI14__hip_bfloat16S0_LN4vllm18Fp8KVCacheDataTypeE0ES0_Li16ELi128ELi256ELb0ELi6EL8MFMAType0EEvPKT_PKT0_S9_ifPKiSB_SB_iPKfiiiPfSE_PS4_PT2_iSD_SD_,"axG",@progbits,_Z39paged_attention_ll4mi_QKV_mfma16_kernelI14__hip_bfloat16S0_LN4vllm18Fp8KVCacheDataTypeE0ES0_Li16ELi128ELi256ELb0ELi6EL8MFMAType0EEvPKT_PKT0_S9_ifPKiSB_SB_iPKfiiiPfSE_PS4_PT2_iSD_SD_,comdat
.Lfunc_end675:
	.size	_Z39paged_attention_ll4mi_QKV_mfma16_kernelI14__hip_bfloat16S0_LN4vllm18Fp8KVCacheDataTypeE0ES0_Li16ELi128ELi256ELb0ELi6EL8MFMAType0EEvPKT_PKT0_S9_ifPKiSB_SB_iPKfiiiPfSE_PS4_PT2_iSD_SD_, .Lfunc_end675-_Z39paged_attention_ll4mi_QKV_mfma16_kernelI14__hip_bfloat16S0_LN4vllm18Fp8KVCacheDataTypeE0ES0_Li16ELi128ELi256ELb0ELi6EL8MFMAType0EEvPKT_PKT0_S9_ifPKiSB_SB_iPKfiiiPfSE_PS4_PT2_iSD_SD_
                                        ; -- End function
	.section	.AMDGPU.csdata,"",@progbits
; Kernel info:
; codeLenInByte = 10200
; NumSgprs: 52
; NumVgprs: 218
; ScratchSize: 0
; MemoryBound: 0
; FloatMode: 240
; IeeeMode: 1
; LDSByteSize: 17472 bytes/workgroup (compile time only)
; SGPRBlocks: 6
; VGPRBlocks: 27
; NumSGPRsForWavesPerEU: 52
; NumVGPRsForWavesPerEU: 218
; Occupancy: 6
; WaveLimiterHint : 1
; COMPUTE_PGM_RSRC2:SCRATCH_EN: 0
; COMPUTE_PGM_RSRC2:USER_SGPR: 13
; COMPUTE_PGM_RSRC2:TRAP_HANDLER: 0
; COMPUTE_PGM_RSRC2:TGID_X_EN: 1
; COMPUTE_PGM_RSRC2:TGID_Y_EN: 1
; COMPUTE_PGM_RSRC2:TGID_Z_EN: 1
; COMPUTE_PGM_RSRC2:TIDIG_COMP_CNT: 0
	.section	.text._Z39paged_attention_ll4mi_QKV_mfma16_kernelI14__hip_bfloat16S0_LN4vllm18Fp8KVCacheDataTypeE0ES0_Li16ELi128ELi256ELb0ELi7EL8MFMAType0EEvPKT_PKT0_S9_ifPKiSB_SB_iPKfiiiPfSE_PS4_PT2_iSD_SD_,"axG",@progbits,_Z39paged_attention_ll4mi_QKV_mfma16_kernelI14__hip_bfloat16S0_LN4vllm18Fp8KVCacheDataTypeE0ES0_Li16ELi128ELi256ELb0ELi7EL8MFMAType0EEvPKT_PKT0_S9_ifPKiSB_SB_iPKfiiiPfSE_PS4_PT2_iSD_SD_,comdat
	.protected	_Z39paged_attention_ll4mi_QKV_mfma16_kernelI14__hip_bfloat16S0_LN4vllm18Fp8KVCacheDataTypeE0ES0_Li16ELi128ELi256ELb0ELi7EL8MFMAType0EEvPKT_PKT0_S9_ifPKiSB_SB_iPKfiiiPfSE_PS4_PT2_iSD_SD_ ; -- Begin function _Z39paged_attention_ll4mi_QKV_mfma16_kernelI14__hip_bfloat16S0_LN4vllm18Fp8KVCacheDataTypeE0ES0_Li16ELi128ELi256ELb0ELi7EL8MFMAType0EEvPKT_PKT0_S9_ifPKiSB_SB_iPKfiiiPfSE_PS4_PT2_iSD_SD_
	.globl	_Z39paged_attention_ll4mi_QKV_mfma16_kernelI14__hip_bfloat16S0_LN4vllm18Fp8KVCacheDataTypeE0ES0_Li16ELi128ELi256ELb0ELi7EL8MFMAType0EEvPKT_PKT0_S9_ifPKiSB_SB_iPKfiiiPfSE_PS4_PT2_iSD_SD_
	.p2align	8
	.type	_Z39paged_attention_ll4mi_QKV_mfma16_kernelI14__hip_bfloat16S0_LN4vllm18Fp8KVCacheDataTypeE0ES0_Li16ELi128ELi256ELb0ELi7EL8MFMAType0EEvPKT_PKT0_S9_ifPKiSB_SB_iPKfiiiPfSE_PS4_PT2_iSD_SD_,@function
_Z39paged_attention_ll4mi_QKV_mfma16_kernelI14__hip_bfloat16S0_LN4vllm18Fp8KVCacheDataTypeE0ES0_Li16ELi128ELi256ELb0ELi7EL8MFMAType0EEvPKT_PKT0_S9_ifPKiSB_SB_iPKfiiiPfSE_PS4_PT2_iSD_SD_: ; @_Z39paged_attention_ll4mi_QKV_mfma16_kernelI14__hip_bfloat16S0_LN4vllm18Fp8KVCacheDataTypeE0ES0_Li16ELi128ELi256ELb0ELi7EL8MFMAType0EEvPKT_PKT0_S9_ifPKiSB_SB_iPKfiiiPfSE_PS4_PT2_iSD_SD_
; %bb.0:
	s_load_b64 s[4:5], s[0:1], 0x30
	s_mov_b32 s30, s13
	s_waitcnt lgkmcnt(0)
	s_cmp_lg_u64 s[4:5], 0
	s_cselect_b32 s8, -1, 0
	s_ashr_i32 s31, s13, 31
	s_cmp_eq_u64 s[4:5], 0
	s_cbranch_scc1 .LBB676_3
; %bb.1:
	s_lshl_b64 s[2:3], s[30:31], 2
	s_delay_alu instid0(SALU_CYCLE_1) | instskip(SKIP_4) | instid1(SALU_CYCLE_1)
	s_add_u32 s2, s4, s2
	s_addc_u32 s3, s5, s3
	s_load_b64 s[2:3], s[2:3], 0x0
	s_waitcnt lgkmcnt(0)
	s_sub_i32 s2, s3, s2
	s_cmp_eq_u32 s2, 1
	s_cselect_b32 s2, -1, 0
	s_delay_alu instid0(SALU_CYCLE_1)
	s_and_not1_b32 vcc_lo, exec_lo, s2
	s_cbranch_vccz .LBB676_4
.LBB676_2:
	s_nop 0
	s_sendmsg sendmsg(MSG_DEALLOC_VGPRS)
	s_endpgm
.LBB676_3:
.LBB676_4:
	s_load_b64 s[2:3], s[0:1], 0x28
	s_lshl_b64 s[6:7], s[30:31], 2
	s_waitcnt lgkmcnt(0)
	s_add_u32 s2, s2, s6
	s_addc_u32 s3, s3, s7
	s_lshl_b32 s29, s14, 8
	s_load_b32 s28, s[2:3], 0x0
	s_waitcnt lgkmcnt(0)
	s_cmp_ge_i32 s29, s28
	s_cbranch_scc1 .LBB676_2
; %bb.5:
	s_clause 0x1
	s_load_b128 s[20:23], s[0:1], 0x8
	s_load_b64 s[2:3], s[0:1], 0x20
	s_and_not1_b32 vcc_lo, exec_lo, s8
	s_cbranch_vccnz .LBB676_7
; %bb.6:
	s_add_u32 s4, s4, s6
	s_addc_u32 s5, s5, s7
	s_load_b32 s5, s[4:5], 0x0
	s_branch .LBB676_8
.LBB676_7:
	s_mov_b32 s5, s30
.LBB676_8:
	s_load_b128 s[16:19], s[0:1], 0x48
	v_and_b32_e32 v140, 15, v0
	v_lshrrev_b32_e32 v141, 5, v0
	v_bfe_u32 v138, v0, 4, 1
	v_and_b32_e32 v142, 31, v0
	v_and_b32_e32 v139, 1, v0
	v_lshlrev_b32_e32 v2, 3, v140
	s_mul_i32 s31, s15, 7
	v_lshl_or_b32 v1, v141, 1, v138
	s_mov_b32 s4, exec_lo
	s_delay_alu instid0(VALU_DEP_2) | instskip(NEXT) | instid1(VALU_DEP_2)
	v_lshlrev_b32_e32 v137, 1, v2
	v_cmpx_gt_u32_e32 7, v1
	s_cbranch_execz .LBB676_10
; %bb.9:
	s_load_b64 s[6:7], s[0:1], 0x0
	v_add_lshl_u32 v2, v1, s31, 7
	s_waitcnt lgkmcnt(0)
	s_mul_hi_i32 s9, s5, s16
	s_mul_i32 s8, s5, s16
	v_lshlrev_b32_e32 v6, 10, v140
	s_lshl_b64 s[8:9], s[8:9], 1
	v_ashrrev_i32_e32 v3, 31, v2
	v_lshlrev_b32_e32 v1, 6, v1
	v_lshlrev_b32_e32 v7, 10, v139
	v_and_b32_e32 v6, 0x3800, v6
	s_delay_alu instid0(VALU_DEP_4) | instskip(NEXT) | instid1(VALU_DEP_2)
	v_lshlrev_b64 v[2:3], 1, v[2:3]
	v_or3_b32 v1, v6, v7, v1
	s_add_u32 s5, s6, s8
	s_addc_u32 s6, s7, s9
	s_delay_alu instid0(VALU_DEP_2) | instskip(NEXT) | instid1(VALU_DEP_3)
	v_add_co_u32 v2, vcc_lo, s5, v2
	v_add_co_ci_u32_e32 v3, vcc_lo, s6, v3, vcc_lo
	s_delay_alu instid0(VALU_DEP_2) | instskip(NEXT) | instid1(VALU_DEP_2)
	v_add_co_u32 v2, vcc_lo, v2, v137
	v_add_co_ci_u32_e32 v3, vcc_lo, 0, v3, vcc_lo
	global_load_b128 v[2:5], v[2:3], off
	s_waitcnt vmcnt(0)
	ds_store_b128 v1, v[2:5]
.LBB676_10:
	s_or_b32 exec_lo, exec_lo, s4
	v_and_b32_e32 v1, 0xef, v0
	s_waitcnt lgkmcnt(0)
	s_add_i32 s5, s28, 15
	s_clause 0x1
	s_load_b32 s4, s[0:1], 0x38
	s_load_b32 s33, s[0:1], 0x1c
	s_ashr_i32 s6, s5, 31
	v_add_nc_u32_e32 v1, s29, v1
	s_lshr_b32 s6, s6, 28
	s_waitcnt lgkmcnt(0)
	s_add_i32 s5, s5, s6
	s_barrier
	v_ashrrev_i32_e32 v2, 31, v1
	v_cmp_gt_i32_e32 vcc_lo, s28, v1
	s_ashr_i32 s16, s5, 4
	buffer_gl0_inv
	s_add_i32 s16, s16, -1
	v_lshrrev_b32_e32 v3, 28, v2
	v_or_b32_e32 v2, 16, v1
	v_mul_lo_u16 v105, v140, 37
	v_lshlrev_b32_e32 v106, 5, v140
	s_delay_alu instid0(VALU_DEP_4) | instskip(NEXT) | instid1(VALU_DEP_4)
	v_add_nc_u32_e32 v4, v1, v3
	v_add_nc_u32_e32 v3, v2, v3
	s_mul_i32 s4, s30, s4
	v_lshrrev_b16 v105, 8, v105
	s_ashr_i32 s5, s4, 31
	v_ashrrev_i32_e32 v4, 4, v4
	v_ashrrev_i32_e32 v3, 4, v3
	s_lshl_b64 s[4:5], s[4:5], 2
	v_mul_lo_u16 v105, v105, 7
	s_add_u32 s34, s2, s4
	v_cndmask_b32_e32 v1, s16, v4, vcc_lo
	v_cmp_gt_i32_e32 vcc_lo, s28, v2
	s_addc_u32 s35, s3, s5
	s_mul_i32 s2, s15, s18
	v_sub_nc_u16 v105, v140, v105
	v_ashrrev_i32_e32 v2, 31, v1
	v_cndmask_b32_e32 v3, s16, v3, vcc_lo
	s_ashr_i32 s3, s2, 31
	v_lshl_or_b32 v125, v141, 9, v106
	s_lshl_b64 s[2:3], s[2:3], 1
	v_lshlrev_b64 v[1:2], 2, v[1:2]
	v_ashrrev_i32_e32 v4, 31, v3
	s_add_u32 s24, s20, s2
	s_addc_u32 s25, s21, s3
	s_lshl_b32 s4, s14, 4
	v_and_b32_e32 v105, 0xff, v105
	v_lshlrev_b64 v[3:4], 2, v[3:4]
	v_add_co_u32 v1, vcc_lo, s34, v1
	v_add_co_ci_u32_e32 v2, vcc_lo, s35, v2, vcc_lo
	s_ashr_i32 s5, s4, 31
	s_delay_alu instid0(VALU_DEP_3) | instskip(NEXT) | instid1(VALU_DEP_4)
	v_add_co_u32 v3, vcc_lo, s34, v3
	v_add_co_ci_u32_e32 v4, vcc_lo, s35, v4, vcc_lo
	s_lshl_b64 s[4:5], s[4:5], 2
	s_clause 0x1
	global_load_b32 v5, v[1:2], off
	global_load_b32 v6, v[3:4], off
	s_add_u32 s4, s34, s4
	s_addc_u32 s5, s35, s5
	s_or_b32 s6, s29, 16
	v_lshlrev_b32_e32 v3, 4, v0
	s_ashr_i32 s7, s6, 4
	s_cmp_lt_i32 s6, s28
	v_lshlrev_b32_e32 v215, 6, v105
	s_cselect_b32 s6, s7, s16
	s_delay_alu instid0(SALU_CYCLE_1) | instskip(NEXT) | instid1(SALU_CYCLE_1)
	s_ashr_i32 s7, s6, 31
	s_lshl_b64 s[6:7], s[6:7], 2
	s_delay_alu instid0(SALU_CYCLE_1) | instskip(SKIP_2) | instid1(SALU_CYCLE_1)
	s_add_u32 s6, s34, s6
	s_addc_u32 s7, s35, s7
	s_or_b32 s8, s29, 32
	s_ashr_i32 s9, s8, 4
	s_cmp_lt_i32 s8, s28
	s_cselect_b32 s8, s9, s16
	s_delay_alu instid0(SALU_CYCLE_1) | instskip(NEXT) | instid1(SALU_CYCLE_1)
	s_ashr_i32 s9, s8, 31
	s_lshl_b64 s[8:9], s[8:9], 2
	s_delay_alu instid0(SALU_CYCLE_1) | instskip(SKIP_2) | instid1(SALU_CYCLE_1)
	s_add_u32 s8, s34, s8
	s_addc_u32 s9, s35, s9
	s_or_b32 s10, s29, 48
	s_ashr_i32 s11, s10, 4
	s_cmp_lt_i32 s10, s28
	;; [unrolled: 10-line block ×4, first 2 shown]
	s_cselect_b32 s12, s13, s16
	s_delay_alu instid0(SALU_CYCLE_1) | instskip(NEXT) | instid1(SALU_CYCLE_1)
	s_ashr_i32 s13, s12, 31
	s_lshl_b64 s[12:13], s[12:13], 2
	s_delay_alu instid0(SALU_CYCLE_1)
	s_add_u32 s20, s34, s12
	s_addc_u32 s21, s35, s13
	s_clause 0x5
	s_load_b32 s38, s[4:5], 0x0
	s_load_b32 s37, s[6:7], 0x0
	;; [unrolled: 1-line block ×6, first 2 shown]
	s_waitcnt vmcnt(1)
	v_mad_i64_i32 v[1:2], null, v5, s17, 0
	v_and_b32_e32 v5, 0xf0, v3
	s_waitcnt vmcnt(0)
	v_mad_i64_i32 v[3:4], null, v6, s17, 0
	s_delay_alu instid0(VALU_DEP_2) | instskip(NEXT) | instid1(VALU_DEP_4)
	v_add_co_u32 v5, s4, s24, v5
	v_lshlrev_b64 v[1:2], 1, v[1:2]
	v_add_co_ci_u32_e64 v6, null, s25, 0, s4
	s_delay_alu instid0(VALU_DEP_4) | instskip(SKIP_1) | instid1(VALU_DEP_3)
	v_lshlrev_b64 v[3:4], 1, v[3:4]
	s_or_b32 s4, s29, 0x60
	v_add_co_u32 v121, vcc_lo, v5, v1
	s_delay_alu instid0(VALU_DEP_3) | instskip(NEXT) | instid1(VALU_DEP_3)
	v_add_co_ci_u32_e32 v122, vcc_lo, v6, v2, vcc_lo
	v_add_co_u32 v123, vcc_lo, v5, v3
	s_delay_alu instid0(VALU_DEP_4)
	v_add_co_ci_u32_e32 v124, vcc_lo, v6, v4, vcc_lo
	s_clause 0x19
	global_load_b128 v[89:92], v[121:122], off
	global_load_b128 v[93:96], v[121:122], off offset:256
	global_load_b128 v[97:100], v[123:124], off
	global_load_b128 v[101:104], v[123:124], off offset:256
	global_load_b128 v[81:84], v[121:122], off offset:512
	;; [unrolled: 1-line block ×23, first 2 shown]
	s_ashr_i32 s5, s4, 4
	s_cmp_lt_i32 s4, s28
	ds_load_b128 v[105:108], v215
	ds_load_b128 v[109:112], v215 offset:1024
	s_cselect_b32 s4, s5, s16
	ds_load_b128 v[113:116], v215 offset:2048
	ds_load_b128 v[117:120], v215 offset:3072
	s_ashr_i32 s5, s4, 31
	ds_load_b128 v[143:146], v215 offset:4096
	ds_load_b128 v[147:150], v215 offset:5120
	s_lshl_b64 s[6:7], s[4:5], 2
	ds_load_b128 v[151:154], v215 offset:6144
	ds_load_b128 v[155:158], v215 offset:7168
	s_add_u32 s18, s34, s6
	s_addc_u32 s19, s35, s7
	s_or_b32 s5, s29, 0x70
	ds_load_b128 v[159:162], v215 offset:8192
	ds_load_b128 v[163:166], v215 offset:9216
	s_ashr_i32 s6, s5, 4
	s_cmp_lt_i32 s5, s28
	s_clause 0x1
	global_load_b128 v[167:170], v[123:124], off offset:3072
	global_load_b128 v[171:174], v[123:124], off offset:3328
	s_cselect_b32 s8, s6, s16
	s_mov_b32 s4, 0
	s_ashr_i32 s9, s8, 31
	s_mov_b32 s5, s4
	s_lshl_b64 s[8:9], s[8:9], 2
	s_mov_b32 s6, s4
	s_add_u32 s20, s34, s8
	s_addc_u32 s21, s35, s9
	s_clause 0x1
	s_load_b32 s44, s[18:19], 0x0
	s_load_b32 s45, s[20:21], 0x0
	s_clause 0x3
	global_load_b128 v[175:178], v[121:122], off offset:3584
	global_load_b128 v[179:182], v[121:122], off offset:3840
	;; [unrolled: 1-line block ×4, first 2 shown]
	s_or_b32 s8, s29, 0x80
	s_mov_b32 s7, s4
	s_ashr_i32 s9, s8, 4
	s_cmp_lt_i32 s8, s28
	s_mov_b32 s8, s4
	s_cselect_b32 s10, s9, s16
	s_mov_b32 s9, s4
	s_ashr_i32 s11, s10, 31
	s_delay_alu instid0(SALU_CYCLE_1)
	s_lshl_b64 s[24:25], s[10:11], 2
	s_mov_b32 s10, s4
	s_add_u32 s24, s34, s24
	s_addc_u32 s25, s35, s25
	s_or_b32 s11, s29, 0x90
	s_load_b32 s46, s[24:25], 0x0
	s_ashr_i32 s26, s11, 4
	s_cmp_lt_i32 s11, s28
	s_mov_b32 s11, s4
	s_cselect_b32 s26, s26, s16
	v_mov_b32_e32 v136, s11
	s_ashr_i32 s27, s26, 31
	v_dual_mov_b32 v135, s10 :: v_dual_mov_b32 v134, s9
	v_dual_mov_b32 v133, s8 :: v_dual_mov_b32 v132, s7
	;; [unrolled: 1-line block ×3, first 2 shown]
	v_mov_b32_e32 v129, s4
	s_lshl_b64 s[4:5], s[26:27], 2
	s_waitcnt lgkmcnt(0)
	s_mul_hi_i32 s7, s37, s17
	s_add_u32 s26, s34, s4
	s_addc_u32 s27, s35, s5
	s_or_b32 s4, s29, 0xa0
	s_load_b32 s39, s[26:27], 0x0
	s_ashr_i32 s5, s4, 4
	s_cmp_lt_i32 s4, s28
	s_cselect_b32 s4, s5, s16
	s_delay_alu instid0(SALU_CYCLE_1) | instskip(NEXT) | instid1(SALU_CYCLE_1)
	s_ashr_i32 s5, s4, 31
	s_lshl_b64 s[4:5], s[4:5], 2
	s_delay_alu instid0(SALU_CYCLE_1)
	s_add_u32 s40, s34, s4
	s_addc_u32 s41, s35, s5
	s_or_b32 s4, s29, 0xb0
	s_mul_hi_i32 s5, s38, s17
	s_ashr_i32 s6, s4, 4
	s_cmp_lt_i32 s4, s28
	s_mul_i32 s4, s38, s17
	s_load_b32 s38, s[40:41], 0x0
	s_cselect_b32 s8, s6, s16
	s_mul_i32 s6, s37, s17
	s_ashr_i32 s9, s8, 31
	s_mul_hi_i32 s27, s46, s17
	s_lshl_b64 s[10:11], s[8:9], 2
	s_mul_hi_i32 s9, s36, s17
	s_add_u32 s42, s34, s10
	s_addc_u32 s43, s35, s11
	s_or_b32 s10, s29, 0xc0
	s_mul_i32 s8, s36, s17
	s_ashr_i32 s36, s10, 4
	s_cmp_lt_i32 s10, s28
	s_mul_i32 s26, s46, s17
	s_cselect_b32 s36, s36, s16
	s_mul_hi_i32 s11, s13, s17
	s_ashr_i32 s37, s36, 31
	s_mul_i32 s10, s13, s17
	s_lshl_b64 s[36:37], s[36:37], 2
	s_mul_hi_i32 s13, s12, s17
	s_add_u32 s20, s34, s36
	s_addc_u32 s21, s35, s37
	s_or_b32 s18, s29, 0xd0
	s_mul_i32 s12, s12, s17
	s_ashr_i32 s19, s18, 4
	s_cmp_lt_i32 s18, s28
	s_mul_i32 s18, s15, s17
	s_cselect_b32 s24, s19, s16
	s_mul_hi_i32 s19, s15, s17
	s_ashr_i32 s25, s24, 31
	s_waitcnt lgkmcnt(0)
	s_mul_hi_i32 s41, s39, s17
	s_lshl_b64 s[24:25], s[24:25], 2
	s_delay_alu instid0(SALU_CYCLE_1)
	s_add_u32 s24, s34, s24
	s_addc_u32 s25, s35, s25
	s_or_b32 s40, s29, 0xe0
	s_clause 0x2
	s_load_b32 s37, s[42:43], 0x0
	s_load_b32 s36, s[20:21], 0x0
	;; [unrolled: 1-line block ×3, first 2 shown]
	s_ashr_i32 s47, s40, 4
	s_cmp_lt_i32 s40, s28
	s_mul_hi_i32 s21, s44, s17
	s_cselect_b32 s42, s47, s16
	s_mul_i32 s20, s44, s17
	s_ashr_i32 s43, s42, 31
	s_mul_hi_i32 s25, s45, s17
	s_lshl_b64 s[42:43], s[42:43], 2
	s_mul_i32 s24, s45, s17
	s_add_u32 s42, s34, s42
	s_addc_u32 s43, s35, s43
	s_or_b32 s44, s29, 0xf0
	s_mul_i32 s40, s39, s17
	s_ashr_i32 s46, s44, 4
	s_cmp_lt_i32 s44, s28
	s_mul_hi_i32 s39, s38, s17
	s_cselect_b32 s46, s46, s16
	s_mul_i32 s38, s38, s17
	s_ashr_i32 s47, s46, 31
	s_waitcnt lgkmcnt(0)
	s_mul_hi_i32 s49, s15, s17
	s_lshl_b64 s[46:47], s[46:47], 2
	s_mul_i32 s48, s15, s17
	s_add_u32 s34, s34, s46
	s_addc_u32 s35, s35, s47
	s_add_u32 s15, s22, s2
	s_addc_u32 s16, s23, s3
	v_add_co_u32 v216, s15, s15, v125
	s_delay_alu instid0(VALU_DEP_1) | instskip(SKIP_2) | instid1(VALU_DEP_2)
	v_add_co_ci_u32_e64 v217, null, s16, 0, s15
	s_lshl_b64 s[2:3], s[4:5], 1
	s_lshl_b64 s[4:5], s[6:7], 1
	v_add_co_u32 v125, vcc_lo, v216, s2
	s_delay_alu instid0(VALU_DEP_2)
	v_add_co_ci_u32_e32 v126, vcc_lo, s3, v217, vcc_lo
	v_add_co_u32 v199, vcc_lo, v216, s4
	s_lshl_b64 s[6:7], s[8:9], 1
	v_add_co_ci_u32_e32 v200, vcc_lo, s5, v217, vcc_lo
	s_lshl_b64 s[8:9], s[10:11], 1
	s_lshl_b64 s[10:11], s[12:13], 1
	;; [unrolled: 1-line block ×8, first 2 shown]
	s_mul_hi_i32 s45, s37, s17
	s_mul_i32 s44, s37, s17
	s_mul_hi_i32 s37, s36, s17
	s_lshl_b64 s[38:39], s[44:45], 1
	s_mul_i32 s36, s36, s17
	s_clause 0x1
	s_load_b32 s15, s[42:43], 0x0
	s_load_b32 s16, s[34:35], 0x0
	s_lshl_b64 s[36:37], s[36:37], 1
	s_lshl_b64 s[40:41], s[48:49], 1
	s_waitcnt lgkmcnt(0)
	s_mul_hi_i32 s3, s15, s17
	s_mul_i32 s2, s15, s17
	s_mul_hi_i32 s5, s16, s17
	s_lshl_b64 s[2:3], s[2:3], 1
	s_mul_i32 s4, s16, s17
	s_waitcnt vmcnt(30)
	v_wmma_f32_16x16x16_bf16 v[191:198], v[89:96], v[105:112], v[129:136]
	v_add_co_u32 v89, vcc_lo, v216, s6
	v_add_co_ci_u32_e32 v90, vcc_lo, s7, v217, vcc_lo
	v_add_co_u32 v91, vcc_lo, v216, s8
	v_add_co_ci_u32_e32 v92, vcc_lo, s9, v217, vcc_lo
	v_add_co_u32 v93, vcc_lo, v216, s10
	v_add_co_ci_u32_e32 v94, vcc_lo, s11, v217, vcc_lo
	v_add_co_u32 v201, vcc_lo, v216, s12
	v_add_co_ci_u32_e32 v202, vcc_lo, s13, v217, vcc_lo
	v_add_co_u32 v203, vcc_lo, v216, s18
	v_add_co_ci_u32_e32 v204, vcc_lo, s19, v217, vcc_lo
	v_add_co_u32 v205, vcc_lo, v216, s20
	s_waitcnt vmcnt(28)
	v_wmma_f32_16x16x16_bf16 v[129:136], v[97:104], v[105:112], v[129:136]
	v_add_co_ci_u32_e32 v206, vcc_lo, s21, v217, vcc_lo
	v_add_co_u32 v207, vcc_lo, v216, s22
	v_add_co_ci_u32_e32 v208, vcc_lo, s23, v217, vcc_lo
	v_add_co_u32 v209, vcc_lo, v216, s24
	s_waitcnt vmcnt(26)
	v_wmma_f32_16x16x16_bf16 v[191:198], v[81:88], v[113:120], v[191:198]
	s_waitcnt vmcnt(24)
	v_wmma_f32_16x16x16_bf16 v[129:136], v[73:80], v[113:120], v[129:136]
	v_add_co_ci_u32_e32 v210, vcc_lo, s25, v217, vcc_lo
	v_add_co_u32 v211, vcc_lo, v216, s26
	v_add_co_ci_u32_e32 v212, vcc_lo, s27, v217, vcc_lo
	v_add_co_u32 v213, vcc_lo, v216, s38
	s_waitcnt vmcnt(22)
	v_wmma_f32_16x16x16_bf16 v[191:198], v[65:72], v[143:150], v[191:198]
	s_waitcnt vmcnt(20)
	v_wmma_f32_16x16x16_bf16 v[129:136], v[57:64], v[143:150], v[129:136]
	v_add_co_ci_u32_e32 v214, vcc_lo, s39, v217, vcc_lo
	v_add_co_u32 v143, vcc_lo, v216, s36
	s_waitcnt vmcnt(18)
	v_wmma_f32_16x16x16_bf16 v[191:198], v[49:56], v[151:158], v[191:198]
	s_waitcnt vmcnt(16)
	v_wmma_f32_16x16x16_bf16 v[129:136], v[41:48], v[151:158], v[129:136]
	v_add_co_ci_u32_e32 v144, vcc_lo, s37, v217, vcc_lo
	s_clause 0x15
	global_load_b128 v[121:124], v[125:126], off
	global_load_b128 v[125:128], v[125:126], off offset:16
	global_load_b128 v[113:116], v[199:200], off
	global_load_b128 v[117:120], v[199:200], off offset:16
	;; [unrolled: 2-line block ×11, first 2 shown]
	s_waitcnt vmcnt(36)
	v_wmma_f32_16x16x16_bf16 v[191:198], v[17:24], v[159:166], v[191:198]
	s_clause 0x1
	global_load_b128 v[17:20], v[213:214], off
	global_load_b128 v[21:24], v[213:214], off offset:16
	s_waitcnt vmcnt(36)
	v_wmma_f32_16x16x16_bf16 v[129:136], v[1:8], v[159:166], v[129:136]
	s_clause 0x1
	global_load_b128 v[1:4], v[143:144], off
	global_load_b128 v[5:8], v[143:144], off offset:16
	ds_load_b128 v[143:146], v215 offset:10240
	ds_load_b128 v[147:150], v215 offset:11264
	;; [unrolled: 1-line block ×4, first 2 shown]
	v_add_co_u32 v199, vcc_lo, v216, s40
	v_add_co_ci_u32_e32 v200, vcc_lo, s41, v217, vcc_lo
	v_add_co_u32 v159, vcc_lo, v216, s2
	v_add_co_ci_u32_e32 v160, vcc_lo, s3, v217, vcc_lo
	s_lshl_b64 s[2:3], s[4:5], 1
	s_delay_alu instid0(SALU_CYCLE_1)
	v_add_co_u32 v161, vcc_lo, v216, s2
	v_add_co_ci_u32_e32 v162, vcc_lo, s3, v217, vcc_lo
	s_waitcnt vmcnt(36) lgkmcnt(2)
	v_wmma_f32_16x16x16_bf16 v[191:198], v[33:40], v[143:150], v[191:198]
	s_waitcnt vmcnt(34)
	v_wmma_f32_16x16x16_bf16 v[129:136], v[25:32], v[143:150], v[129:136]
	s_clause 0x3
	global_load_b128 v[25:28], v[199:200], off
	global_load_b128 v[29:32], v[199:200], off offset:16
	global_load_b128 v[33:36], v[159:160], off
	global_load_b128 v[37:40], v[159:160], off offset:16
	v_and_b32_e32 v143, 0xe0, v0
	v_mbcnt_lo_u32_b32 v159, -1, 0
	s_waitcnt vmcnt(36) lgkmcnt(0)
	v_wmma_f32_16x16x16_bf16 v[191:198], v[9:16], v[151:158], v[191:198]
	s_clause 0x1
	global_load_b128 v[9:12], v[161:162], off
	global_load_b128 v[13:16], v[161:162], off offset:16
	s_waitcnt vmcnt(36)
	v_wmma_f32_16x16x16_bf16 v[129:136], v[167:174], v[151:158], v[129:136]
	v_add_nc_u32_e32 v160, s29, v143
	ds_load_b128 v[143:146], v215 offset:14336
	ds_load_b128 v[147:150], v215 offset:15360
	v_xor_b32_e32 v151, 16, v159
	s_waitcnt vmcnt(0) lgkmcnt(0)
	s_barrier
	v_or_b32_e32 v152, v160, v138
	buffer_gl0_inv
	v_cmp_gt_i32_e32 vcc_lo, 32, v151
	v_or_b32_e32 v153, 2, v152
	v_or_b32_e32 v154, 4, v152
	;; [unrolled: 1-line block ×5, first 2 shown]
	v_cmp_gt_i32_e64 s2, s28, v153
	v_cmp_gt_i32_e64 s3, s28, v154
	;; [unrolled: 1-line block ×3, first 2 shown]
	v_or_b32_e32 v158, 12, v152
	v_cmp_gt_i32_e64 s5, s28, v156
	v_cmp_gt_i32_e64 s6, s28, v157
	v_wmma_f32_16x16x16_bf16 v[191:198], v[175:182], v[143:150], v[191:198]
	v_wmma_f32_16x16x16_bf16 v[129:136], v[183:190], v[143:150], v[129:136]
	v_cndmask_b32_e32 v151, v159, v151, vcc_lo
	v_cmp_gt_i32_e32 vcc_lo, s28, v152
	v_or_b32_e32 v159, 14, v152
	v_dual_mul_f32 v149, s33, v192 :: v_dual_mul_f32 v150, s33, v191
	v_dual_mul_f32 v147, s33, v194 :: v_dual_mul_f32 v148, s33, v193
	;; [unrolled: 1-line block ×3, first 2 shown]
	s_delay_alu instid0(VALU_DEP_3) | instskip(NEXT) | instid1(VALU_DEP_4)
	v_cndmask_b32_e32 v150, 0xff7fffff, v150, vcc_lo
	v_cndmask_b32_e64 v149, 0xff7fffff, v149, s2
	v_mul_f32_e32 v146, s33, v195
	v_cndmask_b32_e64 v148, 0xff7fffff, v148, s3
	v_cndmask_b32_e64 v147, 0xff7fffff, v147, s4
	v_or_b32_e32 v160, 16, v152
	v_max3_f32 v149, v150, 0xff7fffff, v149
	v_or_b32_e32 v161, 18, v152
	v_dual_mul_f32 v143, s33, v198 :: v_dual_mul_f32 v144, s33, v197
	v_cndmask_b32_e64 v146, 0xff7fffff, v146, s5
	v_cndmask_b32_e64 v145, 0xff7fffff, v145, s6
	v_max3_f32 v147, v149, v148, v147
	v_cmp_gt_i32_e64 s7, s28, v158
	v_cmp_gt_i32_e64 s8, s28, v159
	v_or_b32_e32 v162, 20, v152
	v_or_b32_e32 v163, 22, v152
	v_mul_f32_e32 v175, s33, v129
	v_cndmask_b32_e64 v144, 0xff7fffff, v144, s7
	v_cndmask_b32_e64 v143, 0xff7fffff, v143, s8
	v_max3_f32 v145, v147, v146, v145
	v_cmp_gt_i32_e64 s9, s28, v160
	v_cmp_gt_i32_e64 s10, s28, v161
	v_or_b32_e32 v164, 24, v152
	v_or_b32_e32 v165, 26, v152
	v_dual_mul_f32 v172, s33, v132 :: v_dual_mul_f32 v173, s33, v131
	v_cndmask_b32_e64 v146, 0xff7fffff, v175, s9
	v_cndmask_b32_e64 v147, 0xff7fffff, v174, s10
	v_max3_f32 v143, v145, v144, v143
	v_cmp_gt_i32_e64 s11, s28, v162
	v_cmp_gt_i32_e64 s12, s28, v163
	v_or_b32_e32 v166, 28, v152
	v_or_b32_e32 v167, 30, v152
	v_dual_mul_f32 v170, s33, v134 :: v_dual_mul_f32 v171, s33, v133
	v_cndmask_b32_e64 v144, 0xff7fffff, v173, s11
	v_cndmask_b32_e64 v145, 0xff7fffff, v172, s12
	v_max3_f32 v143, v143, v146, v147
	v_cmp_gt_i32_e64 s13, s28, v164
	v_cmp_gt_i32_e64 s15, s28, v165
	v_dual_mul_f32 v168, s33, v136 :: v_dual_mul_f32 v169, s33, v135
	s_delay_alu instid0(VALU_DEP_4) | instskip(NEXT) | instid1(VALU_DEP_4)
	v_max3_f32 v143, v143, v144, v145
	v_cndmask_b32_e64 v146, 0xff7fffff, v171, s13
	s_delay_alu instid0(VALU_DEP_4) | instskip(SKIP_3) | instid1(VALU_DEP_4)
	v_cndmask_b32_e64 v147, 0xff7fffff, v170, s15
	v_cmp_gt_i32_e64 s16, s28, v166
	v_cmp_gt_i32_e64 s17, s28, v167
	v_lshlrev_b32_e32 v154, 2, v151
	v_max3_f32 v143, v143, v146, v147
	s_delay_alu instid0(VALU_DEP_4) | instskip(NEXT) | instid1(VALU_DEP_4)
	v_cndmask_b32_e64 v144, 0xff7fffff, v169, s16
	v_cndmask_b32_e64 v145, 0xff7fffff, v168, s17
	s_delay_alu instid0(VALU_DEP_1) | instskip(SKIP_3) | instid1(VALU_DEP_1)
	v_max3_f32 v143, v143, v144, v145
	ds_bpermute_b32 v144, v154, v143
	s_waitcnt lgkmcnt(0)
	v_max_f32_e32 v144, v144, v144
	v_max_f32_e32 v153, v143, v144
	s_delay_alu instid0(VALU_DEP_1) | instskip(SKIP_4) | instid1(VALU_DEP_4)
	v_fma_f32 v143, s33, v191, -v153
	v_fma_f32 v144, s33, v192, -v153
	;; [unrolled: 1-line block ×5, first 2 shown]
	v_dual_mul_f32 v143, 0x3fb8aa3b, v143 :: v_dual_mul_f32 v144, 0x3fb8aa3b, v144
	s_delay_alu instid0(VALU_DEP_4) | instskip(SKIP_2) | instid1(VALU_DEP_4)
	v_mul_f32_e32 v130, 0x3fb8aa3b, v130
	v_fma_f32 v132, s33, v132, -v153
	v_mul_f32_e32 v145, 0x3fb8aa3b, v145
	v_exp_f32_e32 v143, v143
	v_exp_f32_e32 v147, v144
	v_fma_f32 v148, s33, v195, -v153
	v_mul_f32_e32 v132, 0x3fb8aa3b, v132
	v_mul_f32_e32 v146, 0x3fb8aa3b, v146
	v_exp_f32_e32 v145, v145
	v_fma_f32 v151, s33, v197, -v153
	v_mul_f32_e32 v148, 0x3fb8aa3b, v148
	v_fma_f32 v134, s33, v134, -v153
	v_exp_f32_e32 v149, v146
	v_cndmask_b32_e32 v144, 0, v143, vcc_lo
	v_fma_f32 v143, s33, v196, -v153
	v_cndmask_b32_e64 v146, 0, v147, s2
	v_exp_f32_e32 v148, v148
	s_delay_alu instid0(VALU_DEP_3) | instskip(NEXT) | instid1(VALU_DEP_3)
	v_dual_mul_f32 v151, 0x3fb8aa3b, v151 :: v_dual_add_f32 v150, 0, v144
	v_dual_mul_f32 v143, 0x3fb8aa3b, v143 :: v_dual_mul_f32 v134, 0x3fb8aa3b, v134
	v_cndmask_b32_e64 v147, 0, v145, s3
	s_delay_alu instid0(TRANS32_DEP_2) | instskip(NEXT) | instid1(VALU_DEP_4)
	v_cndmask_b32_e64 v149, 0, v149, s4
	v_add_f32_e32 v145, v150, v146
	v_fma_f32 v150, s33, v198, -v153
	v_exp_f32_e32 v143, v143
	v_fma_f32 v129, s33, v129, -v153
	v_exp_f32_e32 v155, v151
	s_delay_alu instid0(VALU_DEP_2) | instskip(SKIP_1) | instid1(VALU_DEP_3)
	v_dual_add_f32 v145, v145, v147 :: v_dual_mul_f32 v152, 0x3fb8aa3b, v150
	v_cndmask_b32_e64 v150, 0, v148, s5
	v_mul_f32_e32 v129, 0x3fb8aa3b, v129
	v_fma_f32 v131, s33, v131, -v153
	s_delay_alu instid0(VALU_DEP_4) | instskip(SKIP_1) | instid1(TRANS32_DEP_3)
	v_add_f32_e32 v145, v145, v149
	v_exp_f32_e32 v152, v152
	v_cndmask_b32_e64 v151, 0, v143, s6
	v_exp_f32_e32 v129, v129
	s_delay_alu instid0(TRANS32_DEP_3)
	v_cndmask_b32_e64 v148, 0, v155, s7
	v_add_f32_e32 v143, v145, v150
	v_mul_f32_e32 v131, 0x3fb8aa3b, v131
	v_exp_f32_e32 v130, v130
	v_fma_f32 v133, s33, v133, -v153
	v_fma_f32 v136, s33, v136, -v153
	v_add_f32_e32 v143, v143, v151
	v_cndmask_b32_e64 v152, 0, v152, s8
	v_exp_f32_e32 v145, v131
	v_cndmask_b32_e64 v131, 0, v129, s9
	v_mul_f32_e32 v133, 0x3fb8aa3b, v133
	v_add_f32_e32 v143, v143, v148
	v_cmp_gt_u32_e64 s2, 16, v142
	s_delay_alu instid0(VALU_DEP_2)
	v_add_f32_e32 v129, v143, v152
	v_exp_f32_e32 v143, v132
	v_cndmask_b32_e64 v132, 0, v130, s10
	v_fma_f32 v130, s33, v135, -v153
	v_exp_f32_e32 v135, v133
	v_add_f32_e32 v129, v129, v131
	v_cndmask_b32_e64 v133, 0, v145, s11
	v_exp_f32_e32 v145, v134
	s_delay_alu instid0(VALU_DEP_2) | instskip(NEXT) | instid1(TRANS32_DEP_3)
	v_dual_mul_f32 v130, 0x3fb8aa3b, v130 :: v_dual_add_f32 v129, v129, v132
	v_cndmask_b32_e64 v134, 0, v143, s12
	v_mul_f32_e32 v143, 0x3fb8aa3b, v136
	s_delay_alu instid0(VALU_DEP_3) | instskip(NEXT) | instid1(TRANS32_DEP_3)
	v_exp_f32_e32 v130, v130
	v_cndmask_b32_e64 v135, 0, v135, s13
	v_add_f32_e32 v129, v129, v133
	s_delay_alu instid0(TRANS32_DEP_2) | instskip(SKIP_1) | instid1(VALU_DEP_2)
	v_cndmask_b32_e64 v136, 0, v145, s15
	v_exp_f32_e32 v145, v143
	v_add_f32_e32 v129, v129, v134
	s_waitcnt_depctr 0xfff
	v_cndmask_b32_e64 v143, 0, v130, s16
	v_add_f32_e32 v129, v129, v135
	v_cndmask_b32_e64 v145, 0, v145, s17
	s_delay_alu instid0(VALU_DEP_2) | instskip(NEXT) | instid1(VALU_DEP_1)
	v_add_f32_e32 v129, v129, v136
	v_add_f32_e32 v129, v129, v143
	s_delay_alu instid0(VALU_DEP_1)
	v_add_f32_e32 v129, v129, v145
	ds_bpermute_b32 v130, v154, v129
	s_and_saveexec_b32 s3, s2
	s_cbranch_execz .LBB676_12
; %bb.11:
	v_mul_u32_u24_e32 v142, 0x44, v141
	s_waitcnt lgkmcnt(0)
	v_add_f32_e32 v129, v129, v130
	s_delay_alu instid0(VALU_DEP_2) | instskip(NEXT) | instid1(VALU_DEP_1)
	v_lshl_add_u32 v142, v140, 2, v142
	v_add_nc_u32_e32 v130, 0x4000, v142
	ds_store_2addr_b32 v130, v153, v129 offset1:136
.LBB676_12:
	s_or_b32 exec_lo, exec_lo, s3
	v_lshlrev_b32_e32 v129, 2, v140
	s_waitcnt lgkmcnt(0)
	s_barrier
	buffer_gl0_inv
	v_cmp_eq_u32_e64 s3, 1, v141
	v_add_nc_u32_e32 v142, 0x4000, v129
	ds_load_2addr_b32 v[153:154], v142 offset1:17
	ds_load_2addr_b32 v[155:156], v142 offset0:34 offset1:51
	ds_load_2addr_b32 v[157:158], v142 offset0:68 offset1:85
	;; [unrolled: 1-line block ×4, first 2 shown]
	s_waitcnt lgkmcnt(4)
	v_max3_f32 v129, v153, 0xff7fffff, v154
	s_waitcnt lgkmcnt(3)
	s_delay_alu instid0(VALU_DEP_1) | instskip(SKIP_1) | instid1(VALU_DEP_1)
	v_max3_f32 v129, v129, v155, v156
	s_waitcnt lgkmcnt(2)
	v_max3_f32 v129, v129, v157, v158
	s_waitcnt lgkmcnt(1)
	s_delay_alu instid0(VALU_DEP_1) | instskip(NEXT) | instid1(VALU_DEP_1)
	v_max3_f32 v129, v129, v159, v160
	v_sub_f32_e32 v163, v154, v129
	v_sub_f32_e32 v130, v153, v129
	ds_load_2addr_b32 v[153:154], v142 offset0:170 offset1:187
	v_sub_f32_e32 v155, v155, v129
	v_dual_mul_f32 v163, 0x3fb8aa3b, v163 :: v_dual_mul_f32 v130, 0x3fb8aa3b, v130
	s_delay_alu instid0(VALU_DEP_2) | instskip(NEXT) | instid1(VALU_DEP_2)
	v_mul_f32_e32 v165, 0x3fb8aa3b, v155
	v_exp_f32_e32 v163, v163
	s_delay_alu instid0(VALU_DEP_2)
	v_exp_f32_e32 v164, v130
	v_sub_f32_e32 v130, v156, v129
	ds_load_2addr_b32 v[155:156], v142 offset0:204 offset1:221
	v_exp_f32_e32 v165, v165
	v_mul_f32_e32 v166, 0x3fb8aa3b, v130
	s_waitcnt lgkmcnt(2)
	v_fma_f32 v130, v164, v161, 0
	v_sub_f32_e32 v157, v157, v129
	s_delay_alu instid0(VALU_DEP_3) | instskip(NEXT) | instid1(VALU_DEP_2)
	v_exp_f32_e32 v166, v166
	v_dual_sub_f32 v161, v158, v129 :: v_dual_fmac_f32 v130, v163, v162
	s_waitcnt lgkmcnt(1)
	s_waitcnt_depctr 0xfff
	v_fmac_f32_e32 v130, v165, v153
	v_mul_f32_e32 v167, 0x3fb8aa3b, v157
	ds_load_2addr_b32 v[157:158], v142 offset0:238 offset1:255
	v_sub_f32_e32 v142, v159, v129
	v_dual_sub_f32 v153, v160, v129 :: v_dual_fmac_f32 v130, v166, v154
	v_mul_f32_e32 v159, 0x3fb8aa3b, v161
	v_exp_f32_e32 v161, v167
	s_delay_alu instid0(VALU_DEP_2)
	v_dual_mul_f32 v142, 0x3fb8aa3b, v142 :: v_dual_mul_f32 v153, 0x3fb8aa3b, v153
	s_waitcnt lgkmcnt(0)
	s_barrier
	buffer_gl0_inv
	v_exp_f32_e32 v142, v142
	v_exp_f32_e32 v153, v153
	v_fmac_f32_e32 v130, v161, v155
	v_exp_f32_e32 v159, v159
	s_waitcnt_depctr 0xfff
	v_fmac_f32_e32 v130, v159, v156
	s_delay_alu instid0(VALU_DEP_1) | instskip(NEXT) | instid1(VALU_DEP_1)
	v_fmac_f32_e32 v130, v142, v157
	v_fmac_f32_e32 v130, v153, v158
	s_delay_alu instid0(VALU_DEP_1) | instskip(NEXT) | instid1(VALU_DEP_1)
	v_add_f32_e32 v154, 0x358637bd, v130
	v_div_scale_f32 v155, null, v154, v154, 1.0
	v_div_scale_f32 v158, vcc_lo, 1.0, v154, 1.0
	s_delay_alu instid0(VALU_DEP_2) | instskip(SKIP_2) | instid1(VALU_DEP_1)
	v_rcp_f32_e32 v156, v155
	s_waitcnt_depctr 0xfff
	v_fma_f32 v157, -v155, v156, 1.0
	v_fmac_f32_e32 v156, v157, v156
	v_cndmask_b32_e64 v157, v164, v163, s3
	v_cmp_eq_u32_e64 s3, 2, v141
	s_delay_alu instid0(VALU_DEP_3) | instskip(NEXT) | instid1(VALU_DEP_2)
	v_mul_f32_e32 v160, v158, v156
	v_cndmask_b32_e64 v157, v157, v165, s3
	v_cmp_eq_u32_e64 s3, 3, v141
	s_delay_alu instid0(VALU_DEP_3) | instskip(NEXT) | instid1(VALU_DEP_2)
	v_fma_f32 v162, -v155, v160, v158
	v_cndmask_b32_e64 v157, v157, v166, s3
	v_cmp_eq_u32_e64 s3, 4, v141
	s_delay_alu instid0(VALU_DEP_3) | instskip(NEXT) | instid1(VALU_DEP_2)
	v_fmac_f32_e32 v160, v162, v156
	v_cndmask_b32_e64 v157, v157, v161, s3
	s_delay_alu instid0(VALU_DEP_2) | instskip(SKIP_1) | instid1(VALU_DEP_2)
	v_fma_f32 v155, -v155, v160, v158
	v_cmp_eq_u32_e64 s3, 5, v141
	v_div_fmas_f32 v155, v155, v156, v160
	s_delay_alu instid0(VALU_DEP_2) | instskip(SKIP_2) | instid1(VALU_DEP_3)
	v_cndmask_b32_e64 v157, v157, v159, s3
	v_cmp_eq_u32_e32 vcc_lo, 6, v141
	s_mov_b32 s3, exec_lo
	v_div_fixup_f32 v154, v155, v154, 1.0
	s_delay_alu instid0(VALU_DEP_3) | instskip(SKIP_1) | instid1(VALU_DEP_2)
	v_cndmask_b32_e32 v142, v157, v142, vcc_lo
	v_cmp_eq_u32_e32 vcc_lo, 7, v141
	v_cndmask_b32_e32 v142, v142, v153, vcc_lo
	s_delay_alu instid0(VALU_DEP_1) | instskip(NEXT) | instid1(VALU_DEP_1)
	v_mul_f32_e32 v142, v142, v154
	v_mul_f32_e32 v153, v142, v149
	;; [unrolled: 1-line block ×7, first 2 shown]
	v_dual_mul_f32 v150, v142, v147 :: v_dual_and_b32 v155, 0x7f800000, v154
	v_mul_f32_e32 v149, v142, v146
                                        ; implicit-def: $vgpr146
	s_delay_alu instid0(VALU_DEP_2)
	v_cmpx_ne_u32_e32 0x7f800000, v155
	s_xor_b32 s3, exec_lo, s3
; %bb.13:
	v_bfe_u32 v146, v154, 16, 1
	s_delay_alu instid0(VALU_DEP_1)
	v_add3_u32 v146, v154, v146, 0x7fff
                                        ; implicit-def: $vgpr154
; %bb.14:
	s_and_not1_saveexec_b32 s3, s3
; %bb.15:
	v_and_b32_e32 v146, 0xffff, v154
	v_or_b32_e32 v147, 0x10000, v154
	s_delay_alu instid0(VALU_DEP_2) | instskip(NEXT) | instid1(VALU_DEP_2)
	v_cmp_eq_u32_e32 vcc_lo, 0, v146
	v_cndmask_b32_e32 v146, v147, v154, vcc_lo
; %bb.16:
	s_or_b32 exec_lo, exec_lo, s3
	v_and_b32_e32 v147, 0x7f800000, v149
	s_delay_alu instid0(VALU_DEP_1) | instskip(SKIP_1) | instid1(SALU_CYCLE_1)
	v_cmp_ne_u32_e32 vcc_lo, 0x7f800000, v147
                                        ; implicit-def: $vgpr147
	s_and_saveexec_b32 s3, vcc_lo
	s_xor_b32 s3, exec_lo, s3
; %bb.17:
	v_bfe_u32 v147, v149, 16, 1
	s_delay_alu instid0(VALU_DEP_1)
	v_add3_u32 v147, v149, v147, 0x7fff
                                        ; implicit-def: $vgpr149
; %bb.18:
	s_and_not1_saveexec_b32 s3, s3
; %bb.19:
	v_and_b32_e32 v147, 0xffff, v149
	v_or_b32_e32 v154, 0x10000, v149
	s_delay_alu instid0(VALU_DEP_2) | instskip(NEXT) | instid1(VALU_DEP_2)
	v_cmp_eq_u32_e32 vcc_lo, 0, v147
	v_cndmask_b32_e32 v147, v154, v149, vcc_lo
; %bb.20:
	s_or_b32 exec_lo, exec_lo, s3
	v_and_b32_e32 v149, 0x7f800000, v150
	s_delay_alu instid0(VALU_DEP_1) | instskip(SKIP_1) | instid1(SALU_CYCLE_1)
	v_cmp_ne_u32_e32 vcc_lo, 0x7f800000, v149
                                        ; implicit-def: $vgpr149
	s_and_saveexec_b32 s3, vcc_lo
	s_xor_b32 s3, exec_lo, s3
; %bb.21:
	v_bfe_u32 v149, v150, 16, 1
	s_delay_alu instid0(VALU_DEP_1)
	v_add3_u32 v149, v150, v149, 0x7fff
                                        ; implicit-def: $vgpr150
; %bb.22:
	s_and_not1_saveexec_b32 s3, s3
; %bb.23:
	v_and_b32_e32 v149, 0xffff, v150
	v_or_b32_e32 v154, 0x10000, v150
	s_delay_alu instid0(VALU_DEP_2) | instskip(NEXT) | instid1(VALU_DEP_2)
	v_cmp_eq_u32_e32 vcc_lo, 0, v149
	v_cndmask_b32_e32 v149, v154, v150, vcc_lo
; %bb.24:
	s_or_b32 exec_lo, exec_lo, s3
	v_and_b32_e32 v150, 0x7f800000, v153
	s_delay_alu instid0(VALU_DEP_1) | instskip(SKIP_1) | instid1(SALU_CYCLE_1)
	v_cmp_ne_u32_e32 vcc_lo, 0x7f800000, v150
                                        ; implicit-def: $vgpr150
	s_and_saveexec_b32 s3, vcc_lo
	s_xor_b32 s3, exec_lo, s3
; %bb.25:
	v_bfe_u32 v150, v153, 16, 1
	s_delay_alu instid0(VALU_DEP_1)
	v_add3_u32 v150, v153, v150, 0x7fff
                                        ; implicit-def: $vgpr153
; %bb.26:
	s_and_not1_saveexec_b32 s3, s3
; %bb.27:
	v_and_b32_e32 v150, 0xffff, v153
	v_or_b32_e32 v154, 0x10000, v153
	s_delay_alu instid0(VALU_DEP_2) | instskip(NEXT) | instid1(VALU_DEP_2)
	v_cmp_eq_u32_e32 vcc_lo, 0, v150
	v_cndmask_b32_e32 v150, v154, v153, vcc_lo
; %bb.28:
	s_or_b32 exec_lo, exec_lo, s3
	v_and_b32_e32 v153, 0x7f800000, v152
	s_delay_alu instid0(VALU_DEP_1) | instskip(SKIP_1) | instid1(SALU_CYCLE_1)
	v_cmp_ne_u32_e32 vcc_lo, 0x7f800000, v153
                                        ; implicit-def: $vgpr153
	s_and_saveexec_b32 s3, vcc_lo
	s_xor_b32 s3, exec_lo, s3
; %bb.29:
	v_bfe_u32 v153, v152, 16, 1
	s_delay_alu instid0(VALU_DEP_1)
	v_add3_u32 v153, v152, v153, 0x7fff
                                        ; implicit-def: $vgpr152
; %bb.30:
	s_and_not1_saveexec_b32 s3, s3
; %bb.31:
	v_and_b32_e32 v153, 0xffff, v152
	v_or_b32_e32 v154, 0x10000, v152
	s_delay_alu instid0(VALU_DEP_2) | instskip(NEXT) | instid1(VALU_DEP_2)
	v_cmp_eq_u32_e32 vcc_lo, 0, v153
	v_cndmask_b32_e32 v153, v154, v152, vcc_lo
; %bb.32:
	s_or_b32 exec_lo, exec_lo, s3
	v_and_b32_e32 v152, 0x7f800000, v151
	s_delay_alu instid0(VALU_DEP_1) | instskip(SKIP_1) | instid1(SALU_CYCLE_1)
	v_cmp_ne_u32_e32 vcc_lo, 0x7f800000, v152
                                        ; implicit-def: $vgpr152
	s_and_saveexec_b32 s3, vcc_lo
	s_xor_b32 s3, exec_lo, s3
; %bb.33:
	v_bfe_u32 v152, v151, 16, 1
	s_delay_alu instid0(VALU_DEP_1)
	v_add3_u32 v152, v151, v152, 0x7fff
                                        ; implicit-def: $vgpr151
; %bb.34:
	s_and_not1_saveexec_b32 s3, s3
; %bb.35:
	v_and_b32_e32 v152, 0xffff, v151
	v_or_b32_e32 v154, 0x10000, v151
	s_delay_alu instid0(VALU_DEP_2) | instskip(NEXT) | instid1(VALU_DEP_2)
	v_cmp_eq_u32_e32 vcc_lo, 0, v152
	v_cndmask_b32_e32 v152, v154, v151, vcc_lo
; %bb.36:
	s_or_b32 exec_lo, exec_lo, s3
	v_and_b32_e32 v151, 0x7f800000, v148
	s_delay_alu instid0(VALU_DEP_1) | instskip(SKIP_1) | instid1(SALU_CYCLE_1)
	v_cmp_ne_u32_e32 vcc_lo, 0x7f800000, v151
                                        ; implicit-def: $vgpr151
	s_and_saveexec_b32 s3, vcc_lo
	s_xor_b32 s3, exec_lo, s3
; %bb.37:
	v_bfe_u32 v151, v148, 16, 1
	s_delay_alu instid0(VALU_DEP_1)
	v_add3_u32 v151, v148, v151, 0x7fff
                                        ; implicit-def: $vgpr148
; %bb.38:
	s_and_not1_saveexec_b32 s3, s3
; %bb.39:
	v_and_b32_e32 v151, 0xffff, v148
	v_or_b32_e32 v154, 0x10000, v148
	s_delay_alu instid0(VALU_DEP_2) | instskip(NEXT) | instid1(VALU_DEP_2)
	v_cmp_eq_u32_e32 vcc_lo, 0, v151
	v_cndmask_b32_e32 v151, v154, v148, vcc_lo
; %bb.40:
	s_or_b32 exec_lo, exec_lo, s3
	v_and_b32_e32 v148, 0x7f800000, v144
	s_delay_alu instid0(VALU_DEP_1) | instskip(SKIP_1) | instid1(SALU_CYCLE_1)
	v_cmp_ne_u32_e32 vcc_lo, 0x7f800000, v148
                                        ; implicit-def: $vgpr148
	s_and_saveexec_b32 s3, vcc_lo
	s_xor_b32 s3, exec_lo, s3
; %bb.41:
	v_bfe_u32 v148, v144, 16, 1
	s_delay_alu instid0(VALU_DEP_1)
	v_add3_u32 v148, v144, v148, 0x7fff
                                        ; implicit-def: $vgpr144
; %bb.42:
	s_and_not1_saveexec_b32 s3, s3
; %bb.43:
	v_and_b32_e32 v148, 0xffff, v144
	v_or_b32_e32 v154, 0x10000, v144
	s_delay_alu instid0(VALU_DEP_2) | instskip(NEXT) | instid1(VALU_DEP_2)
	v_cmp_eq_u32_e32 vcc_lo, 0, v148
	v_cndmask_b32_e32 v148, v154, v144, vcc_lo
; %bb.44:
	s_or_b32 exec_lo, exec_lo, s3
	s_load_b64 s[34:35], s[0:1], 0x94
	v_lshlrev_b32_e32 v155, 4, v138
	s_delay_alu instid0(VALU_DEP_2)
	v_perm_b32 v154, v148, v151, 0x7060302
	v_mul_f32_e32 v148, v142, v131
	v_dual_mul_f32 v145, v142, v145 :: v_dual_lshlrev_b32 v144, 6, v140
	v_dual_mul_f32 v143, v142, v143 :: v_dual_lshlrev_b32 v156, 11, v141
	v_perm_b32 v153, v152, v153, 0x7060302
	v_perm_b32 v152, v150, v149, 0x7060302
	;; [unrolled: 1-line block ×3, first 2 shown]
	s_delay_alu instid0(VALU_DEP_4)
	v_or3_b32 v131, v155, v156, v144
	v_mul_f32_e32 v136, v142, v136
	v_dual_mul_f32 v146, v142, v134 :: v_dual_and_b32 v149, 0x7f800000, v148
	v_mul_f32_e32 v135, v142, v135
	v_mul_f32_e32 v147, v142, v133
	;; [unrolled: 1-line block ×3, first 2 shown]
	s_mov_b32 s3, exec_lo
	ds_store_b128 v131, v[151:154]
                                        ; implicit-def: $vgpr132
	v_cmpx_ne_u32_e32 0x7f800000, v149
	s_xor_b32 s3, exec_lo, s3
; %bb.45:
	v_bfe_u32 v132, v148, 16, 1
	s_delay_alu instid0(VALU_DEP_1)
	v_add3_u32 v132, v148, v132, 0x7fff
                                        ; implicit-def: $vgpr148
; %bb.46:
	s_and_not1_saveexec_b32 s3, s3
; %bb.47:
	v_and_b32_e32 v132, 0xffff, v148
	v_or_b32_e32 v133, 0x10000, v148
	s_delay_alu instid0(VALU_DEP_2) | instskip(NEXT) | instid1(VALU_DEP_2)
	v_cmp_eq_u32_e32 vcc_lo, 0, v132
	v_cndmask_b32_e32 v132, v133, v148, vcc_lo
; %bb.48:
	s_or_b32 exec_lo, exec_lo, s3
	v_and_b32_e32 v133, 0x7f800000, v134
	s_delay_alu instid0(VALU_DEP_1) | instskip(SKIP_1) | instid1(SALU_CYCLE_1)
	v_cmp_ne_u32_e32 vcc_lo, 0x7f800000, v133
                                        ; implicit-def: $vgpr133
	s_and_saveexec_b32 s3, vcc_lo
	s_xor_b32 s3, exec_lo, s3
; %bb.49:
	v_bfe_u32 v133, v134, 16, 1
	s_delay_alu instid0(VALU_DEP_1)
	v_add3_u32 v133, v134, v133, 0x7fff
                                        ; implicit-def: $vgpr134
; %bb.50:
	s_and_not1_saveexec_b32 s3, s3
; %bb.51:
	v_and_b32_e32 v133, 0xffff, v134
	v_or_b32_e32 v142, 0x10000, v134
	s_delay_alu instid0(VALU_DEP_2) | instskip(NEXT) | instid1(VALU_DEP_2)
	v_cmp_eq_u32_e32 vcc_lo, 0, v133
	v_cndmask_b32_e32 v133, v142, v134, vcc_lo
; %bb.52:
	s_or_b32 exec_lo, exec_lo, s3
	v_and_b32_e32 v134, 0x7f800000, v147
	s_delay_alu instid0(VALU_DEP_1) | instskip(SKIP_1) | instid1(SALU_CYCLE_1)
	v_cmp_ne_u32_e32 vcc_lo, 0x7f800000, v134
                                        ; implicit-def: $vgpr134
	s_and_saveexec_b32 s3, vcc_lo
	s_xor_b32 s3, exec_lo, s3
; %bb.53:
	v_bfe_u32 v134, v147, 16, 1
	s_delay_alu instid0(VALU_DEP_1)
	v_add3_u32 v134, v147, v134, 0x7fff
                                        ; implicit-def: $vgpr147
; %bb.54:
	s_and_not1_saveexec_b32 s3, s3
; %bb.55:
	v_and_b32_e32 v134, 0xffff, v147
	v_or_b32_e32 v142, 0x10000, v147
	s_delay_alu instid0(VALU_DEP_2) | instskip(NEXT) | instid1(VALU_DEP_2)
	v_cmp_eq_u32_e32 vcc_lo, 0, v134
	v_cndmask_b32_e32 v134, v142, v147, vcc_lo
; %bb.56:
	s_or_b32 exec_lo, exec_lo, s3
	v_and_b32_e32 v142, 0x7f800000, v146
	s_delay_alu instid0(VALU_DEP_1) | instskip(SKIP_1) | instid1(SALU_CYCLE_1)
	v_cmp_ne_u32_e32 vcc_lo, 0x7f800000, v142
                                        ; implicit-def: $vgpr142
	s_and_saveexec_b32 s3, vcc_lo
	s_xor_b32 s3, exec_lo, s3
; %bb.57:
	v_bfe_u32 v142, v146, 16, 1
	s_delay_alu instid0(VALU_DEP_1)
	v_add3_u32 v142, v146, v142, 0x7fff
                                        ; implicit-def: $vgpr146
; %bb.58:
	s_and_not1_saveexec_b32 s3, s3
; %bb.59:
	v_and_b32_e32 v142, 0xffff, v146
	v_or_b32_e32 v147, 0x10000, v146
	s_delay_alu instid0(VALU_DEP_2) | instskip(NEXT) | instid1(VALU_DEP_2)
	v_cmp_eq_u32_e32 vcc_lo, 0, v142
	v_cndmask_b32_e32 v142, v147, v146, vcc_lo
; %bb.60:
	s_or_b32 exec_lo, exec_lo, s3
	v_and_b32_e32 v146, 0x7f800000, v135
	s_delay_alu instid0(VALU_DEP_1) | instskip(SKIP_1) | instid1(SALU_CYCLE_1)
	v_cmp_ne_u32_e32 vcc_lo, 0x7f800000, v146
                                        ; implicit-def: $vgpr146
	s_and_saveexec_b32 s3, vcc_lo
	s_xor_b32 s3, exec_lo, s3
; %bb.61:
	v_bfe_u32 v146, v135, 16, 1
	s_delay_alu instid0(VALU_DEP_1)
	v_add3_u32 v146, v135, v146, 0x7fff
                                        ; implicit-def: $vgpr135
; %bb.62:
	s_and_not1_saveexec_b32 s3, s3
; %bb.63:
	v_and_b32_e32 v146, 0xffff, v135
	v_or_b32_e32 v147, 0x10000, v135
	s_delay_alu instid0(VALU_DEP_2) | instskip(NEXT) | instid1(VALU_DEP_2)
	v_cmp_eq_u32_e32 vcc_lo, 0, v146
	v_cndmask_b32_e32 v146, v147, v135, vcc_lo
; %bb.64:
	s_or_b32 exec_lo, exec_lo, s3
	v_and_b32_e32 v135, 0x7f800000, v136
	s_delay_alu instid0(VALU_DEP_1) | instskip(SKIP_1) | instid1(SALU_CYCLE_1)
	v_cmp_ne_u32_e32 vcc_lo, 0x7f800000, v135
                                        ; implicit-def: $vgpr135
	s_and_saveexec_b32 s3, vcc_lo
	s_xor_b32 s3, exec_lo, s3
; %bb.65:
	v_bfe_u32 v135, v136, 16, 1
	s_delay_alu instid0(VALU_DEP_1)
	v_add3_u32 v135, v136, v135, 0x7fff
                                        ; implicit-def: $vgpr136
; %bb.66:
	s_and_not1_saveexec_b32 s3, s3
; %bb.67:
	v_and_b32_e32 v135, 0xffff, v136
	v_or_b32_e32 v147, 0x10000, v136
	s_delay_alu instid0(VALU_DEP_2) | instskip(NEXT) | instid1(VALU_DEP_2)
	v_cmp_eq_u32_e32 vcc_lo, 0, v135
	v_cndmask_b32_e32 v135, v147, v136, vcc_lo
; %bb.68:
	s_or_b32 exec_lo, exec_lo, s3
	v_and_b32_e32 v136, 0x7f800000, v143
	s_delay_alu instid0(VALU_DEP_1) | instskip(SKIP_1) | instid1(SALU_CYCLE_1)
	v_cmp_ne_u32_e32 vcc_lo, 0x7f800000, v136
                                        ; implicit-def: $vgpr136
	s_and_saveexec_b32 s3, vcc_lo
	s_xor_b32 s3, exec_lo, s3
; %bb.69:
	v_bfe_u32 v136, v143, 16, 1
	s_delay_alu instid0(VALU_DEP_1)
	v_add3_u32 v136, v143, v136, 0x7fff
                                        ; implicit-def: $vgpr143
; %bb.70:
	s_and_not1_saveexec_b32 s3, s3
; %bb.71:
	v_and_b32_e32 v136, 0xffff, v143
	v_or_b32_e32 v147, 0x10000, v143
	s_delay_alu instid0(VALU_DEP_2) | instskip(NEXT) | instid1(VALU_DEP_2)
	v_cmp_eq_u32_e32 vcc_lo, 0, v136
	v_cndmask_b32_e32 v136, v147, v143, vcc_lo
; %bb.72:
	s_or_b32 exec_lo, exec_lo, s3
	v_and_b32_e32 v143, 0x7f800000, v145
	s_delay_alu instid0(VALU_DEP_1) | instskip(SKIP_1) | instid1(SALU_CYCLE_1)
	v_cmp_ne_u32_e32 vcc_lo, 0x7f800000, v143
                                        ; implicit-def: $vgpr143
	s_and_saveexec_b32 s3, vcc_lo
	s_xor_b32 s3, exec_lo, s3
; %bb.73:
	v_bfe_u32 v143, v145, 16, 1
	s_delay_alu instid0(VALU_DEP_1)
	v_add3_u32 v143, v145, v143, 0x7fff
                                        ; implicit-def: $vgpr145
; %bb.74:
	s_and_not1_saveexec_b32 s3, s3
; %bb.75:
	v_and_b32_e32 v143, 0xffff, v145
	v_or_b32_e32 v147, 0x10000, v145
	s_delay_alu instid0(VALU_DEP_2) | instskip(NEXT) | instid1(VALU_DEP_2)
	v_cmp_eq_u32_e32 vcc_lo, 0, v143
	v_cndmask_b32_e32 v143, v147, v145, vcc_lo
; %bb.76:
	s_or_b32 exec_lo, exec_lo, s3
	s_delay_alu instid0(VALU_DEP_1)
	v_perm_b32 v136, v143, v136, 0x7060302
	v_perm_b32 v135, v135, v146, 0x7060302
	;; [unrolled: 1-line block ×4, first 2 shown]
	v_lshl_or_b32 v145, v141, 11, v144
	v_lshlrev_b32_e32 v142, 2, v138
	ds_store_b128 v131, v[133:136] offset:1024
	s_waitcnt lgkmcnt(0)
	s_barrier
	buffer_gl0_inv
	ds_load_b128 v[132:135], v145
	ds_load_b128 v[147:150], v145 offset:16
	v_or_b32_e32 v143, 1, v142
	v_cmp_eq_u32_e64 s12, 1, v142
	v_cmp_eq_u32_e64 s11, 2, v142
	;; [unrolled: 1-line block ×3, first 2 shown]
	v_or_b32_e32 v141, 2, v142
	v_cmp_eq_u32_e64 s7, 1, v143
	v_cmp_eq_u32_e64 s6, 2, v143
	;; [unrolled: 1-line block ×8, first 2 shown]
	v_cmp_eq_u32_e32 vcc_lo, 5, v143
	v_cmp_eq_u32_e64 s10, 2, v141
	v_cmp_eq_u32_e64 s4, 6, v143
	;; [unrolled: 1-line block ×4, first 2 shown]
	s_waitcnt lgkmcnt(1)
	v_lshrrev_b32_e32 v136, 16, v132
	s_waitcnt lgkmcnt(0)
	v_lshrrev_b32_e32 v155, 16, v147
	v_lshrrev_b32_e32 v161, 16, v148
	;; [unrolled: 1-line block ×4, first 2 shown]
	v_cndmask_b32_e64 v146, v132, v136, s12
	v_cndmask_b32_e64 v151, v147, v155, s12
	;; [unrolled: 1-line block ×4, first 2 shown]
	v_lshrrev_b32_e32 v160, 16, v134
	v_cndmask_b32_e64 v146, v146, v133, s11
	v_cndmask_b32_e64 v151, v151, v148, s11
	;; [unrolled: 1-line block ×8, first 2 shown]
	v_lshrrev_b32_e32 v164, 16, v150
	v_cndmask_b32_e64 v153, v153, v161, s5
	v_cndmask_b32_e64 v146, v146, v134, s17
	;; [unrolled: 1-line block ×5, first 2 shown]
	v_lshrrev_b32_e32 v162, 16, v135
	v_cndmask_b32_e64 v146, v146, v160, s13
	v_cndmask_b32_e64 v151, v151, v163, s13
	v_cndmask_b32_e32 v152, v152, v160, vcc_lo
	v_cndmask_b32_e64 v153, v153, v149, s3
	v_cmp_eq_u32_e64 s19, 7, v143
	v_cndmask_b32_e64 v146, v146, v135, s15
	v_cndmask_b32_e64 v151, v151, v150, s15
	;; [unrolled: 1-line block ×4, first 2 shown]
	v_cmp_eq_u32_e64 s20, 4, v141
	v_cndmask_b32_e64 v165, v146, v162, s9
	v_cndmask_b32_e64 v166, v151, v164, s9
	;; [unrolled: 1-line block ×3, first 2 shown]
	v_or_b32_e32 v146, 3, v142
	v_cndmask_b32_e64 v167, v152, v162, s19
	v_cndmask_b32_e32 v156, v153, v163, vcc_lo
	v_cndmask_b32_e64 v158, v154, v134, s20
	v_cndmask_b32_e64 v157, v151, v148, s10
	ds_load_b128 v[151:154], v145 offset:1024
	v_cmp_eq_u32_e64 s21, 1, v146
	v_cmp_eq_u32_e64 s22, 5, v141
	;; [unrolled: 1-line block ×3, first 2 shown]
	v_cndmask_b32_e64 v157, v157, v161, s18
	v_cmp_eq_u32_e64 s24, 3, v146
	v_cndmask_b32_e64 v132, v132, v136, s21
	v_cndmask_b32_e64 v136, v156, v150, s4
	;; [unrolled: 1-line block ×5, first 2 shown]
	ds_load_b128 v[155:158], v145 offset:1040
	v_cndmask_b32_e64 v132, v132, v133, s23
	v_cmp_eq_u32_e64 s26, 4, v146
	v_cmp_eq_u32_e64 s28, 5, v146
	v_cndmask_b32_e64 v147, v147, v148, s23
	v_cmp_eq_u32_e64 s25, 6, v141
	v_cndmask_b32_e64 v132, v132, v159, s24
	;; [unrolled: 2-line block ×3, first 2 shown]
	v_cndmask_b32_e64 v147, v147, v161, s24
	s_waitcnt lgkmcnt(1)
	v_lshrrev_b32_e32 v159, 16, v151
	v_cndmask_b32_e64 v132, v132, v134, s26
	v_cndmask_b32_e64 v148, v168, v135, s25
	;; [unrolled: 1-line block ×6, first 2 shown]
	v_lshrrev_b32_e32 v160, 16, v152
	v_cndmask_b32_e64 v161, v151, v159, s7
	v_cndmask_b32_e64 v134, v134, v163, s28
	s_waitcnt lgkmcnt(0)
	v_lshrrev_b32_e32 v149, 16, v155
	v_cndmask_b32_e64 v147, v147, v152, s11
	v_cndmask_b32_e64 v132, v132, v135, s29
	v_cmp_eq_u32_e64 s27, 7, v141
	v_cndmask_b32_e64 v134, v134, v150, s29
	v_cndmask_b32_e64 v163, v155, v149, s12
	;; [unrolled: 1-line block ×4, first 2 shown]
	v_lshrrev_b32_e32 v161, 16, v156
	v_cndmask_b32_e64 v136, v136, v164, s19
	v_cndmask_b32_e64 v150, v163, v156, s11
	v_cmp_eq_u32_e64 s11, 7, v146
	v_cndmask_b32_e64 v147, v147, v160, s5
	v_cndmask_b32_e64 v135, v135, v153, s17
	v_lshrrev_b32_e32 v163, 16, v153
	v_cndmask_b32_e64 v150, v150, v161, s16
	v_cndmask_b32_e64 v132, v132, v162, s11
	v_cndmask_b32_e64 v134, v134, v164, s11
	v_cndmask_b32_e64 v147, v147, v153, s3
	v_cndmask_b32_e64 v148, v148, v162, s27
	v_cndmask_b32_e64 v133, v133, v164, s27
	v_cndmask_b32_e64 v162, v135, v163, s13
	v_cndmask_b32_e64 v150, v150, v157, s17
	v_lshrrev_b32_e32 v164, 16, v157
	v_perm_b32 v135, v134, v132, 0x5040100
	v_cndmask_b32_e32 v132, v147, v163, vcc_lo
	v_cndmask_b32_e64 v147, v162, v154, s15
	v_lshrrev_b32_e32 v162, 16, v154
	v_cndmask_b32_e64 v150, v150, v164, s13
	v_perm_b32 v134, v133, v148, 0x5040100
	v_cndmask_b32_e64 v132, v132, v154, s4
	v_perm_b32 v133, v136, v167, 0x5040100
	v_cndmask_b32_e64 v136, v147, v162, s9
	v_cndmask_b32_e64 v147, v150, v158, s15
	v_cndmask_b32_e64 v150, v151, v159, s21
	v_cndmask_b32_e64 v167, v132, v162, s19
	v_cndmask_b32_e64 v132, v151, v159, s8
	v_cndmask_b32_e64 v151, v155, v149, s21
	v_cndmask_b32_e64 v159, v155, v149, s8
	v_cndmask_b32_e64 v149, v155, v149, s7
	v_cndmask_b32_e64 v150, v150, v152, s23
	v_cndmask_b32_e64 v132, v132, v152, s10
	v_cndmask_b32_e64 v151, v151, v156, s23
	v_cndmask_b32_e64 v152, v159, v156, s10
	v_cndmask_b32_e64 v149, v149, v156, s6
	v_cndmask_b32_e64 v150, v150, v160, s24
	v_cndmask_b32_e64 v132, v132, v160, s18
	v_cndmask_b32_e64 v151, v151, v161, s24
	v_cndmask_b32_e64 v152, v152, v161, s18
	v_cndmask_b32_e64 v149, v149, v161, s5
	v_cndmask_b32_e64 v150, v150, v153, s26
	v_cndmask_b32_e64 v132, v132, v153, s20
	v_cndmask_b32_e64 v151, v151, v157, s26
	v_cndmask_b32_e64 v152, v152, v157, s20
	v_cndmask_b32_e64 v149, v149, v157, s3
	v_cndmask_b32_e64 v150, v150, v163, s28
	v_cndmask_b32_e64 v132, v132, v163, s22
	v_cndmask_b32_e64 v151, v151, v164, s28
	v_cndmask_b32_e64 v152, v152, v164, s22
	v_cndmask_b32_e32 v149, v149, v164, vcc_lo
	v_lshrrev_b32_e32 v148, 16, v158
	v_cndmask_b32_e64 v132, v132, v154, s25
	v_cndmask_b32_e64 v150, v150, v154, s29
	;; [unrolled: 1-line block ×11, first 2 shown]
	v_perm_b32 v132, v166, v165, 0x5040100
	v_perm_b32 v150, v151, v150, 0x5040100
	;; [unrolled: 1-line block ×5, first 2 shown]
	s_mul_i32 s8, s35, 7
	s_mov_b32 s3, exec_lo
	ds_store_b128 v131, v[132:135]
	ds_store_b128 v131, v[147:150] offset:1024
	v_cmpx_gt_u32_e32 7, v0
	s_cbranch_execz .LBB676_78
; %bb.77:
	s_mul_i32 s4, s8, s30
	s_delay_alu instid0(SALU_CYCLE_1) | instskip(SKIP_1) | instid1(VALU_DEP_1)
	v_add3_u32 v133, s4, s31, v140
	s_load_b128 s[4:7], s[0:1], 0x58
	v_mad_u64_u32 v[131:132], null, v133, s34, s[14:15]
	s_delay_alu instid0(VALU_DEP_1) | instskip(NEXT) | instid1(VALU_DEP_1)
	v_ashrrev_i32_e32 v132, 31, v131
	v_lshlrev_b64 v[131:132], 2, v[131:132]
	s_waitcnt lgkmcnt(0)
	s_delay_alu instid0(VALU_DEP_1) | instskip(NEXT) | instid1(VALU_DEP_2)
	v_add_co_u32 v133, vcc_lo, s6, v131
	v_add_co_ci_u32_e32 v134, vcc_lo, s7, v132, vcc_lo
	v_add_co_u32 v131, vcc_lo, s4, v131
	v_add_co_ci_u32_e32 v132, vcc_lo, s5, v132, vcc_lo
	global_store_b32 v[133:134], v129, off
	global_store_b32 v[131:132], v130, off
.LBB676_78:
	s_or_b32 exec_lo, exec_lo, s3
	s_waitcnt lgkmcnt(0)
	s_waitcnt_vscnt null, 0x0
	s_barrier
	buffer_gl0_inv
	ds_load_b128 v[147:150], v144
	ds_load_b128 v[151:154], v144 offset:16
	ds_load_b128 v[159:162], v144 offset:1040
	;; [unrolled: 1-line block ×3, first 2 shown]
	v_mov_b32_e32 v129, 0
	ds_load_b128 v[167:170], v144 offset:2064
	ds_load_b128 v[163:166], v144 offset:2048
	;; [unrolled: 1-line block ×6, first 2 shown]
	v_mov_b32_e32 v130, v129
	v_mov_b32_e32 v131, v129
	;; [unrolled: 1-line block ×7, first 2 shown]
	s_waitcnt lgkmcnt(8)
	s_delay_alu instid0(VALU_DEP_1)
	v_wmma_f32_16x16x16_bf16 v[129:136], v[121:128], v[147:154], v[129:136]
	ds_load_b128 v[125:128], v144 offset:5136
	ds_load_b128 v[121:124], v144 offset:5120
	s_waitcnt lgkmcnt(8)
	v_wmma_f32_16x16x16_bf16 v[129:136], v[113:120], v[155:162], v[129:136]
	ds_load_b128 v[117:120], v144 offset:6160
	ds_load_b128 v[113:116], v144 offset:6144
	s_waitcnt lgkmcnt(8)
	;; [unrolled: 4-line block ×8, first 2 shown]
	v_wmma_f32_16x16x16_bf16 v[129:136], v[65:72], v[97:104], v[129:136]
	s_waitcnt lgkmcnt(6)
	s_delay_alu instid0(VALU_DEP_1)
	v_wmma_f32_16x16x16_bf16 v[129:136], v[49:56], v[89:96], v[129:136]
	ds_load_b128 v[53:56], v144 offset:13328
	ds_load_b128 v[49:52], v144 offset:13312
	s_waitcnt lgkmcnt(6)
	v_wmma_f32_16x16x16_bf16 v[129:136], v[41:48], v[81:88], v[129:136]
	ds_load_b128 v[45:48], v144 offset:14352
	ds_load_b128 v[41:44], v144 offset:14336
	s_waitcnt lgkmcnt(6)
	v_wmma_f32_16x16x16_bf16 v[129:136], v[17:24], v[73:80], v[129:136]
	ds_load_b128 v[21:24], v144 offset:15376
	ds_load_b128 v[17:20], v144 offset:15360
	s_waitcnt lgkmcnt(6)
	v_wmma_f32_16x16x16_bf16 v[129:136], v[1:8], v[57:64], v[129:136]
	s_waitcnt lgkmcnt(4)
	s_delay_alu instid0(VALU_DEP_1) | instskip(SKIP_1) | instid1(VALU_DEP_1)
	v_wmma_f32_16x16x16_bf16 v[129:136], v[25:32], v[49:56], v[129:136]
	s_waitcnt lgkmcnt(2)
	v_wmma_f32_16x16x16_bf16 v[129:136], v[33:40], v[41:48], v[129:136]
	s_waitcnt lgkmcnt(0)
	s_delay_alu instid0(VALU_DEP_1) | instskip(NEXT) | instid1(VALU_DEP_1)
	v_wmma_f32_16x16x16_bf16 v[129:136], v[9:16], v[17:24], v[129:136]
	v_and_b32_e32 v1, 0x7f800000, v129
	s_delay_alu instid0(VALU_DEP_1) | instskip(SKIP_1) | instid1(SALU_CYCLE_1)
	v_cmp_ne_u32_e32 vcc_lo, 0x7f800000, v1
                                        ; implicit-def: $vgpr1
	s_and_saveexec_b32 s3, vcc_lo
	s_xor_b32 s3, exec_lo, s3
; %bb.79:
	v_bfe_u32 v1, v129, 16, 1
	s_delay_alu instid0(VALU_DEP_1)
	v_add3_u32 v1, v129, v1, 0x7fff
; %bb.80:
	s_and_not1_saveexec_b32 s3, s3
; %bb.81:
	v_and_b32_e32 v1, 0xffff, v129
	v_or_b32_e32 v2, 0x10000, v129
	s_delay_alu instid0(VALU_DEP_2) | instskip(NEXT) | instid1(VALU_DEP_2)
	v_cmp_eq_u32_e32 vcc_lo, 0, v1
	v_cndmask_b32_e32 v1, v2, v129, vcc_lo
; %bb.82:
	s_or_b32 exec_lo, exec_lo, s3
	v_and_b32_e32 v2, 0x7f800000, v130
	s_delay_alu instid0(VALU_DEP_1) | instskip(SKIP_1) | instid1(SALU_CYCLE_1)
	v_cmp_ne_u32_e32 vcc_lo, 0x7f800000, v2
                                        ; implicit-def: $vgpr2
	s_and_saveexec_b32 s3, vcc_lo
	s_xor_b32 s3, exec_lo, s3
; %bb.83:
	v_bfe_u32 v2, v130, 16, 1
	s_delay_alu instid0(VALU_DEP_1)
	v_add3_u32 v2, v130, v2, 0x7fff
; %bb.84:
	s_and_not1_saveexec_b32 s3, s3
; %bb.85:
	v_and_b32_e32 v2, 0xffff, v130
	v_or_b32_e32 v3, 0x10000, v130
	s_delay_alu instid0(VALU_DEP_2) | instskip(NEXT) | instid1(VALU_DEP_2)
	v_cmp_eq_u32_e32 vcc_lo, 0, v2
	v_cndmask_b32_e32 v2, v3, v130, vcc_lo
; %bb.86:
	s_or_b32 exec_lo, exec_lo, s3
	v_and_b32_e32 v3, 0x7f800000, v131
	s_delay_alu instid0(VALU_DEP_1) | instskip(SKIP_1) | instid1(SALU_CYCLE_1)
	v_cmp_ne_u32_e32 vcc_lo, 0x7f800000, v3
                                        ; implicit-def: $vgpr3
	s_and_saveexec_b32 s3, vcc_lo
	s_xor_b32 s3, exec_lo, s3
; %bb.87:
	v_bfe_u32 v3, v131, 16, 1
	s_delay_alu instid0(VALU_DEP_1)
	v_add3_u32 v3, v131, v3, 0x7fff
; %bb.88:
	s_and_not1_saveexec_b32 s3, s3
; %bb.89:
	v_and_b32_e32 v3, 0xffff, v131
	v_or_b32_e32 v4, 0x10000, v131
	s_delay_alu instid0(VALU_DEP_2) | instskip(NEXT) | instid1(VALU_DEP_2)
	v_cmp_eq_u32_e32 vcc_lo, 0, v3
	v_cndmask_b32_e32 v3, v4, v131, vcc_lo
; %bb.90:
	s_or_b32 exec_lo, exec_lo, s3
	v_and_b32_e32 v4, 0x7f800000, v132
	s_delay_alu instid0(VALU_DEP_1) | instskip(SKIP_1) | instid1(SALU_CYCLE_1)
	v_cmp_ne_u32_e32 vcc_lo, 0x7f800000, v4
                                        ; implicit-def: $vgpr4
	s_and_saveexec_b32 s3, vcc_lo
	s_xor_b32 s3, exec_lo, s3
; %bb.91:
	v_bfe_u32 v4, v132, 16, 1
	s_delay_alu instid0(VALU_DEP_1)
	v_add3_u32 v4, v132, v4, 0x7fff
; %bb.92:
	s_and_not1_saveexec_b32 s3, s3
; %bb.93:
	v_and_b32_e32 v4, 0xffff, v132
	v_or_b32_e32 v5, 0x10000, v132
	s_delay_alu instid0(VALU_DEP_2) | instskip(NEXT) | instid1(VALU_DEP_2)
	v_cmp_eq_u32_e32 vcc_lo, 0, v4
	v_cndmask_b32_e32 v4, v5, v132, vcc_lo
; %bb.94:
	s_or_b32 exec_lo, exec_lo, s3
	v_and_b32_e32 v5, 0x7f800000, v133
	s_delay_alu instid0(VALU_DEP_1) | instskip(SKIP_1) | instid1(SALU_CYCLE_1)
	v_cmp_ne_u32_e32 vcc_lo, 0x7f800000, v5
                                        ; implicit-def: $vgpr5
	s_and_saveexec_b32 s3, vcc_lo
	s_xor_b32 s3, exec_lo, s3
; %bb.95:
	v_bfe_u32 v5, v133, 16, 1
	s_delay_alu instid0(VALU_DEP_1)
	v_add3_u32 v5, v133, v5, 0x7fff
; %bb.96:
	s_and_not1_saveexec_b32 s3, s3
; %bb.97:
	v_and_b32_e32 v5, 0xffff, v133
	v_or_b32_e32 v6, 0x10000, v133
	s_delay_alu instid0(VALU_DEP_2) | instskip(NEXT) | instid1(VALU_DEP_2)
	v_cmp_eq_u32_e32 vcc_lo, 0, v5
	v_cndmask_b32_e32 v5, v6, v133, vcc_lo
; %bb.98:
	s_or_b32 exec_lo, exec_lo, s3
	v_and_b32_e32 v6, 0x7f800000, v134
	s_delay_alu instid0(VALU_DEP_1) | instskip(SKIP_1) | instid1(SALU_CYCLE_1)
	v_cmp_ne_u32_e32 vcc_lo, 0x7f800000, v6
                                        ; implicit-def: $vgpr6
	s_and_saveexec_b32 s3, vcc_lo
	s_xor_b32 s3, exec_lo, s3
; %bb.99:
	v_bfe_u32 v6, v134, 16, 1
	s_delay_alu instid0(VALU_DEP_1)
	v_add3_u32 v6, v134, v6, 0x7fff
; %bb.100:
	s_and_not1_saveexec_b32 s3, s3
; %bb.101:
	v_and_b32_e32 v6, 0xffff, v134
	v_or_b32_e32 v7, 0x10000, v134
	s_delay_alu instid0(VALU_DEP_2) | instskip(NEXT) | instid1(VALU_DEP_2)
	v_cmp_eq_u32_e32 vcc_lo, 0, v6
	v_cndmask_b32_e32 v6, v7, v134, vcc_lo
; %bb.102:
	s_or_b32 exec_lo, exec_lo, s3
	v_and_b32_e32 v7, 0x7f800000, v135
	s_delay_alu instid0(VALU_DEP_1) | instskip(SKIP_1) | instid1(SALU_CYCLE_1)
	v_cmp_ne_u32_e32 vcc_lo, 0x7f800000, v7
                                        ; implicit-def: $vgpr7
	s_and_saveexec_b32 s3, vcc_lo
	s_xor_b32 s3, exec_lo, s3
; %bb.103:
	v_bfe_u32 v7, v135, 16, 1
	s_delay_alu instid0(VALU_DEP_1)
	v_add3_u32 v7, v135, v7, 0x7fff
; %bb.104:
	s_and_not1_saveexec_b32 s3, s3
; %bb.105:
	v_and_b32_e32 v7, 0xffff, v135
	v_or_b32_e32 v8, 0x10000, v135
	s_delay_alu instid0(VALU_DEP_2) | instskip(NEXT) | instid1(VALU_DEP_2)
	v_cmp_eq_u32_e32 vcc_lo, 0, v7
	v_cndmask_b32_e32 v7, v8, v135, vcc_lo
; %bb.106:
	s_or_b32 exec_lo, exec_lo, s3
	v_and_b32_e32 v8, 0x7f800000, v136
	s_delay_alu instid0(VALU_DEP_1) | instskip(SKIP_1) | instid1(SALU_CYCLE_1)
	v_cmp_ne_u32_e32 vcc_lo, 0x7f800000, v8
                                        ; implicit-def: $vgpr8
	s_and_saveexec_b32 s3, vcc_lo
	s_xor_b32 s3, exec_lo, s3
; %bb.107:
	v_bfe_u32 v8, v136, 16, 1
	s_delay_alu instid0(VALU_DEP_1)
	v_add3_u32 v8, v136, v8, 0x7fff
                                        ; implicit-def: $vgpr129_vgpr130_vgpr131_vgpr132_vgpr133_vgpr134_vgpr135_vgpr136
; %bb.108:
	s_and_not1_saveexec_b32 s3, s3
; %bb.109:
	v_and_b32_e32 v8, 0xffff, v136
	v_or_b32_e32 v9, 0x10000, v136
	s_delay_alu instid0(VALU_DEP_2) | instskip(NEXT) | instid1(VALU_DEP_2)
	v_cmp_eq_u32_e32 vcc_lo, 0, v8
	v_cndmask_b32_e32 v8, v9, v136, vcc_lo
; %bb.110:
	s_or_b32 exec_lo, exec_lo, s3
	s_delay_alu instid0(VALU_DEP_1)
	v_perm_b32 v7, v8, v7, 0x7060302
	v_perm_b32 v6, v6, v5, 0x7060302
	;; [unrolled: 1-line block ×4, first 2 shown]
	v_lshl_or_b32 v9, v138, 4, v145
	s_barrier
	buffer_gl0_inv
	v_cmp_eq_u32_e32 vcc_lo, 1, v142
	ds_store_b128 v9, v[4:7]
	s_waitcnt lgkmcnt(0)
	s_barrier
	buffer_gl0_inv
	ds_load_b128 v[1:4], v145
	ds_load_b128 v[5:8], v145 offset:16
	v_cmp_eq_u32_e64 s4, 2, v142
	v_cmp_eq_u32_e64 s3, 1, v143
	;; [unrolled: 1-line block ×5, first 2 shown]
	s_waitcnt lgkmcnt(1)
	v_lshrrev_b32_e32 v10, 16, v1
	s_waitcnt lgkmcnt(0)
	v_lshrrev_b32_e32 v14, 16, v5
	v_lshrrev_b32_e32 v15, 16, v6
	;; [unrolled: 1-line block ×4, first 2 shown]
	v_cndmask_b32_e64 v20, v1, v10, s3
	v_cndmask_b32_e32 v19, v5, v14, vcc_lo
	v_cndmask_b32_e64 v21, v5, v14, s3
	v_lshrrev_b32_e32 v16, 16, v7
	v_cmp_eq_u32_e64 s3, 1, v141
	v_lshrrev_b32_e32 v13, 16, v4
	v_cndmask_b32_e64 v19, v19, v6, s4
	v_lshrrev_b32_e32 v17, 16, v8
	s_delay_alu instid0(VALU_DEP_4) | instskip(SKIP_1) | instid1(VALU_DEP_4)
	v_cndmask_b32_e64 v22, v1, v10, s3
	v_cndmask_b32_e64 v23, v5, v14, s3
	;; [unrolled: 1-line block ×3, first 2 shown]
	v_cndmask_b32_e32 v18, v1, v10, vcc_lo
	v_cmp_eq_u32_e32 vcc_lo, 2, v143
	v_cmp_eq_u32_e64 s3, 2, v146
	v_cndmask_b32_e64 v22, v22, v2, s7
	v_cndmask_b32_e32 v20, v20, v2, vcc_lo
	v_cndmask_b32_e32 v21, v21, v6, vcc_lo
	v_cmp_eq_u32_e32 vcc_lo, 4, v142
	v_cndmask_b32_e32 v19, v19, v7, vcc_lo
	v_cndmask_b32_e64 v18, v18, v2, s4
	v_cmp_eq_u32_e64 s4, 3, v143
	s_delay_alu instid0(VALU_DEP_2) | instskip(NEXT) | instid1(VALU_DEP_2)
	v_cndmask_b32_e64 v18, v18, v11, s5
	v_cndmask_b32_e64 v21, v21, v15, s4
	v_cmp_eq_u32_e64 s5, 5, v142
	s_delay_alu instid0(VALU_DEP_3) | instskip(SKIP_1) | instid1(VALU_DEP_3)
	v_cndmask_b32_e32 v18, v18, v3, vcc_lo
	v_cmp_eq_u32_e32 vcc_lo, 4, v143
	v_cndmask_b32_e64 v19, v19, v16, s5
	s_delay_alu instid0(VALU_DEP_3) | instskip(SKIP_4) | instid1(VALU_DEP_3)
	v_cndmask_b32_e64 v18, v18, v12, s5
	v_cndmask_b32_e32 v21, v21, v7, vcc_lo
	v_cndmask_b32_e64 v20, v20, v11, s4
	v_cmp_eq_u32_e64 s4, 5, v143
	v_cmp_eq_u32_e64 s5, 6, v142
	v_cndmask_b32_e32 v20, v20, v3, vcc_lo
	s_delay_alu instid0(VALU_DEP_3) | instskip(SKIP_1) | instid1(VALU_DEP_4)
	v_cndmask_b32_e64 v21, v21, v16, s4
	v_cmp_eq_u32_e32 vcc_lo, 6, v143
	v_cndmask_b32_e64 v18, v18, v4, s5
	v_cndmask_b32_e64 v19, v19, v8, s5
	;; [unrolled: 1-line block ×3, first 2 shown]
	v_cmp_eq_u32_e64 s4, 1, v146
	v_cmp_eq_u32_e64 s5, 7, v142
	s_delay_alu instid0(VALU_DEP_3) | instskip(NEXT) | instid1(VALU_DEP_3)
	v_cndmask_b32_e32 v20, v20, v4, vcc_lo
	v_cndmask_b32_e64 v1, v1, v10, s4
	v_cndmask_b32_e64 v5, v5, v14, s4
	v_cmp_eq_u32_e64 s4, 3, v141
	v_cndmask_b32_e64 v14, v23, v6, s7
	v_cmp_eq_u32_e64 s7, 3, v146
	v_cndmask_b32_e64 v1, v1, v2, s3
	v_cndmask_b32_e64 v2, v5, v6, s3
	;; [unrolled: 1-line block ×3, first 2 shown]
	v_cmp_eq_u32_e64 s3, 4, v141
	v_cndmask_b32_e64 v6, v14, v15, s4
	v_cndmask_b32_e64 v1, v1, v11, s7
	v_cmp_eq_u32_e64 s4, 4, v146
	v_cndmask_b32_e64 v2, v2, v15, s7
	v_cndmask_b32_e64 v5, v10, v3, s3
	;; [unrolled: 3-line block ×3, first 2 shown]
	v_cndmask_b32_e64 v2, v2, v7, s4
	v_cmp_eq_u32_e64 s3, 5, v146
	v_cndmask_b32_e64 v5, v5, v12, s7
	v_cmp_eq_u32_e64 s4, 6, v141
	;; [unrolled: 2-line block ×3, first 2 shown]
	v_cndmask_b32_e64 v1, v1, v12, s3
	v_cndmask_b32_e64 v2, v2, v16, s3
	;; [unrolled: 1-line block ×4, first 2 shown]
	v_cmp_eq_u32_e64 s3, 7, v146
	v_cndmask_b32_e64 v1, v1, v4, s7
	v_cndmask_b32_e64 v2, v2, v8, s7
	v_cmp_eq_u32_e64 s4, 7, v141
	v_cndmask_b32_e32 v4, v21, v8, vcc_lo
	v_cndmask_b32_e64 v18, v18, v13, s5
	v_cndmask_b32_e64 v20, v20, v13, s6
	;; [unrolled: 1-line block ×8, first 2 shown]
	s_mov_b32 s3, exec_lo
	v_perm_b32 v4, v2, v1, 0x5040100
	v_perm_b32 v3, v3, v5, 0x5040100
	;; [unrolled: 1-line block ×4, first 2 shown]
	ds_store_b128 v9, v[1:4]
	s_waitcnt lgkmcnt(0)
	s_barrier
	buffer_gl0_inv
	v_cmpx_gt_u32_e32 32, v0
	s_cbranch_execz .LBB676_2
; %bb.111:
	s_load_b64 s[4:5], s[0:1], 0x68
	v_lshlrev_b32_e32 v0, 10, v0
	v_add_nc_u32_e32 v2, s31, v138
	v_lshlrev_b32_e32 v3, 4, v139
	s_lshl_b32 s0, s34, 7
	s_delay_alu instid0(SALU_CYCLE_1) | instskip(NEXT) | instid1(VALU_DEP_2)
	s_mul_i32 s1, s0, s30
	v_mul_lo_u32 v1, v2, s0
	s_delay_alu instid0(VALU_DEP_2)
	v_and_or_b32 v0, 0x3800, v0, v3
	v_add_nc_u32_e32 v3, 2, v2
	s_mul_i32 s6, s1, s8
	v_add_nc_u32_e32 v4, 4, v2
	s_ashr_i32 s7, s6, 31
	v_lshl_or_b32 v11, v138, 6, v0
	s_lshl_b64 s[6:7], s[6:7], 1
	v_mul_lo_u32 v15, v3, s0
	v_mul_lo_u32 v17, v4, s0
	v_ashrrev_i32_e32 v2, 31, v1
	ds_load_b128 v[3:6], v11
	ds_load_b128 v[7:10], v11 offset:128
	ds_load_b128 v[11:14], v11 offset:256
	s_waitcnt lgkmcnt(0)
	s_add_u32 s1, s4, s6
	s_addc_u32 s3, s5, s7
	s_lshl_b32 s4, s14, 7
	v_ashrrev_i32_e32 v16, 31, v15
	s_ashr_i32 s5, s4, 31
	v_lshlrev_b64 v[19:20], 1, v[1:2]
	s_lshl_b64 s[4:5], s[4:5], 1
	v_ashrrev_i32_e32 v18, 31, v17
	s_add_u32 s1, s1, s4
	s_addc_u32 s3, s3, s5
	v_add_co_u32 v1, s1, s1, v137
	s_delay_alu instid0(VALU_DEP_1) | instskip(SKIP_1) | instid1(VALU_DEP_3)
	v_add_co_ci_u32_e64 v2, null, s3, 0, s1
	v_lshlrev_b64 v[15:16], 1, v[15:16]
	v_add_co_u32 v19, vcc_lo, v1, v19
	v_lshlrev_b64 v[17:18], 1, v[17:18]
	s_delay_alu instid0(VALU_DEP_4) | instskip(NEXT) | instid1(VALU_DEP_4)
	v_add_co_ci_u32_e32 v20, vcc_lo, v2, v20, vcc_lo
	v_add_co_u32 v15, vcc_lo, v1, v15
	v_add_co_ci_u32_e32 v16, vcc_lo, v2, v16, vcc_lo
	s_delay_alu instid0(VALU_DEP_4)
	v_add_co_u32 v17, vcc_lo, v1, v17
	v_add_co_ci_u32_e32 v18, vcc_lo, v2, v18, vcc_lo
	s_clause 0x2
	global_store_b128 v[19:20], v[3:6], off
	global_store_b128 v[15:16], v[7:10], off
	;; [unrolled: 1-line block ×3, first 2 shown]
	s_and_b32 exec_lo, exec_lo, s2
	s_cbranch_execz .LBB676_2
; %bb.112:
	ds_load_b128 v[3:6], v0 offset:384
	s_add_i32 s1, s31, 6
	s_delay_alu instid0(SALU_CYCLE_1) | instskip(NEXT) | instid1(SALU_CYCLE_1)
	s_mul_i32 s0, s1, s0
	s_ashr_i32 s1, s0, 31
	s_delay_alu instid0(SALU_CYCLE_1) | instskip(NEXT) | instid1(SALU_CYCLE_1)
	s_lshl_b64 s[0:1], s[0:1], 1
	v_add_co_u32 v0, vcc_lo, v1, s0
	v_add_co_ci_u32_e32 v1, vcc_lo, s1, v2, vcc_lo
	s_waitcnt lgkmcnt(0)
	global_store_b128 v[0:1], v[3:6], off
	s_nop 0
	s_sendmsg sendmsg(MSG_DEALLOC_VGPRS)
	s_endpgm
	.section	.rodata,"a",@progbits
	.p2align	6, 0x0
	.amdhsa_kernel _Z39paged_attention_ll4mi_QKV_mfma16_kernelI14__hip_bfloat16S0_LN4vllm18Fp8KVCacheDataTypeE0ES0_Li16ELi128ELi256ELb0ELi7EL8MFMAType0EEvPKT_PKT0_S9_ifPKiSB_SB_iPKfiiiPfSE_PS4_PT2_iSD_SD_
		.amdhsa_group_segment_fixed_size 17472
		.amdhsa_private_segment_fixed_size 0
		.amdhsa_kernarg_size 400
		.amdhsa_user_sgpr_count 13
		.amdhsa_user_sgpr_dispatch_ptr 0
		.amdhsa_user_sgpr_queue_ptr 0
		.amdhsa_user_sgpr_kernarg_segment_ptr 1
		.amdhsa_user_sgpr_dispatch_id 0
		.amdhsa_user_sgpr_private_segment_size 0
		.amdhsa_wavefront_size32 1
		.amdhsa_uses_dynamic_stack 0
		.amdhsa_enable_private_segment 0
		.amdhsa_system_sgpr_workgroup_id_x 1
		.amdhsa_system_sgpr_workgroup_id_y 1
		.amdhsa_system_sgpr_workgroup_id_z 1
		.amdhsa_system_sgpr_workgroup_info 0
		.amdhsa_system_vgpr_workitem_id 0
		.amdhsa_next_free_vgpr 218
		.amdhsa_next_free_sgpr 50
		.amdhsa_reserve_vcc 1
		.amdhsa_float_round_mode_32 0
		.amdhsa_float_round_mode_16_64 0
		.amdhsa_float_denorm_mode_32 3
		.amdhsa_float_denorm_mode_16_64 3
		.amdhsa_dx10_clamp 1
		.amdhsa_ieee_mode 1
		.amdhsa_fp16_overflow 0
		.amdhsa_workgroup_processor_mode 1
		.amdhsa_memory_ordered 1
		.amdhsa_forward_progress 0
		.amdhsa_shared_vgpr_count 0
		.amdhsa_exception_fp_ieee_invalid_op 0
		.amdhsa_exception_fp_denorm_src 0
		.amdhsa_exception_fp_ieee_div_zero 0
		.amdhsa_exception_fp_ieee_overflow 0
		.amdhsa_exception_fp_ieee_underflow 0
		.amdhsa_exception_fp_ieee_inexact 0
		.amdhsa_exception_int_div_zero 0
	.end_amdhsa_kernel
	.section	.text._Z39paged_attention_ll4mi_QKV_mfma16_kernelI14__hip_bfloat16S0_LN4vllm18Fp8KVCacheDataTypeE0ES0_Li16ELi128ELi256ELb0ELi7EL8MFMAType0EEvPKT_PKT0_S9_ifPKiSB_SB_iPKfiiiPfSE_PS4_PT2_iSD_SD_,"axG",@progbits,_Z39paged_attention_ll4mi_QKV_mfma16_kernelI14__hip_bfloat16S0_LN4vllm18Fp8KVCacheDataTypeE0ES0_Li16ELi128ELi256ELb0ELi7EL8MFMAType0EEvPKT_PKT0_S9_ifPKiSB_SB_iPKfiiiPfSE_PS4_PT2_iSD_SD_,comdat
.Lfunc_end676:
	.size	_Z39paged_attention_ll4mi_QKV_mfma16_kernelI14__hip_bfloat16S0_LN4vllm18Fp8KVCacheDataTypeE0ES0_Li16ELi128ELi256ELb0ELi7EL8MFMAType0EEvPKT_PKT0_S9_ifPKiSB_SB_iPKfiiiPfSE_PS4_PT2_iSD_SD_, .Lfunc_end676-_Z39paged_attention_ll4mi_QKV_mfma16_kernelI14__hip_bfloat16S0_LN4vllm18Fp8KVCacheDataTypeE0ES0_Li16ELi128ELi256ELb0ELi7EL8MFMAType0EEvPKT_PKT0_S9_ifPKiSB_SB_iPKfiiiPfSE_PS4_PT2_iSD_SD_
                                        ; -- End function
	.section	.AMDGPU.csdata,"",@progbits
; Kernel info:
; codeLenInByte = 10268
; NumSgprs: 52
; NumVgprs: 218
; ScratchSize: 0
; MemoryBound: 0
; FloatMode: 240
; IeeeMode: 1
; LDSByteSize: 17472 bytes/workgroup (compile time only)
; SGPRBlocks: 6
; VGPRBlocks: 27
; NumSGPRsForWavesPerEU: 52
; NumVGPRsForWavesPerEU: 218
; Occupancy: 6
; WaveLimiterHint : 1
; COMPUTE_PGM_RSRC2:SCRATCH_EN: 0
; COMPUTE_PGM_RSRC2:USER_SGPR: 13
; COMPUTE_PGM_RSRC2:TRAP_HANDLER: 0
; COMPUTE_PGM_RSRC2:TGID_X_EN: 1
; COMPUTE_PGM_RSRC2:TGID_Y_EN: 1
; COMPUTE_PGM_RSRC2:TGID_Z_EN: 1
; COMPUTE_PGM_RSRC2:TIDIG_COMP_CNT: 0
	.section	.text._Z39paged_attention_ll4mi_QKV_mfma16_kernelI14__hip_bfloat16S0_LN4vllm18Fp8KVCacheDataTypeE0ES0_Li16ELi128ELi256ELb0ELi8EL8MFMAType0EEvPKT_PKT0_S9_ifPKiSB_SB_iPKfiiiPfSE_PS4_PT2_iSD_SD_,"axG",@progbits,_Z39paged_attention_ll4mi_QKV_mfma16_kernelI14__hip_bfloat16S0_LN4vllm18Fp8KVCacheDataTypeE0ES0_Li16ELi128ELi256ELb0ELi8EL8MFMAType0EEvPKT_PKT0_S9_ifPKiSB_SB_iPKfiiiPfSE_PS4_PT2_iSD_SD_,comdat
	.protected	_Z39paged_attention_ll4mi_QKV_mfma16_kernelI14__hip_bfloat16S0_LN4vllm18Fp8KVCacheDataTypeE0ES0_Li16ELi128ELi256ELb0ELi8EL8MFMAType0EEvPKT_PKT0_S9_ifPKiSB_SB_iPKfiiiPfSE_PS4_PT2_iSD_SD_ ; -- Begin function _Z39paged_attention_ll4mi_QKV_mfma16_kernelI14__hip_bfloat16S0_LN4vllm18Fp8KVCacheDataTypeE0ES0_Li16ELi128ELi256ELb0ELi8EL8MFMAType0EEvPKT_PKT0_S9_ifPKiSB_SB_iPKfiiiPfSE_PS4_PT2_iSD_SD_
	.globl	_Z39paged_attention_ll4mi_QKV_mfma16_kernelI14__hip_bfloat16S0_LN4vllm18Fp8KVCacheDataTypeE0ES0_Li16ELi128ELi256ELb0ELi8EL8MFMAType0EEvPKT_PKT0_S9_ifPKiSB_SB_iPKfiiiPfSE_PS4_PT2_iSD_SD_
	.p2align	8
	.type	_Z39paged_attention_ll4mi_QKV_mfma16_kernelI14__hip_bfloat16S0_LN4vllm18Fp8KVCacheDataTypeE0ES0_Li16ELi128ELi256ELb0ELi8EL8MFMAType0EEvPKT_PKT0_S9_ifPKiSB_SB_iPKfiiiPfSE_PS4_PT2_iSD_SD_,@function
_Z39paged_attention_ll4mi_QKV_mfma16_kernelI14__hip_bfloat16S0_LN4vllm18Fp8KVCacheDataTypeE0ES0_Li16ELi128ELi256ELb0ELi8EL8MFMAType0EEvPKT_PKT0_S9_ifPKiSB_SB_iPKfiiiPfSE_PS4_PT2_iSD_SD_: ; @_Z39paged_attention_ll4mi_QKV_mfma16_kernelI14__hip_bfloat16S0_LN4vllm18Fp8KVCacheDataTypeE0ES0_Li16ELi128ELi256ELb0ELi8EL8MFMAType0EEvPKT_PKT0_S9_ifPKiSB_SB_iPKfiiiPfSE_PS4_PT2_iSD_SD_
; %bb.0:
	s_load_b64 s[4:5], s[0:1], 0x30
	s_mov_b32 s30, s13
	s_waitcnt lgkmcnt(0)
	s_cmp_lg_u64 s[4:5], 0
	s_cselect_b32 s12, -1, 0
	s_ashr_i32 s31, s13, 31
	s_cmp_eq_u64 s[4:5], 0
	s_cbranch_scc1 .LBB677_3
; %bb.1:
	s_lshl_b64 s[2:3], s[30:31], 2
	s_delay_alu instid0(SALU_CYCLE_1) | instskip(SKIP_4) | instid1(SALU_CYCLE_1)
	s_add_u32 s2, s4, s2
	s_addc_u32 s3, s5, s3
	s_load_b64 s[2:3], s[2:3], 0x0
	s_waitcnt lgkmcnt(0)
	s_sub_i32 s2, s3, s2
	s_cmp_eq_u32 s2, 1
	s_cselect_b32 s2, -1, 0
	s_delay_alu instid0(SALU_CYCLE_1)
	s_and_not1_b32 vcc_lo, exec_lo, s2
	s_cbranch_vccz .LBB677_4
.LBB677_2:
	s_endpgm
.LBB677_3:
.LBB677_4:
	s_load_b64 s[2:3], s[0:1], 0x28
	s_lshl_b64 s[6:7], s[30:31], 2
	s_waitcnt lgkmcnt(0)
	s_add_u32 s2, s2, s6
	s_addc_u32 s3, s3, s7
	s_lshl_b32 s31, s14, 8
	s_load_b32 s28, s[2:3], 0x0
	s_waitcnt lgkmcnt(0)
	s_cmp_ge_i32 s31, s28
	s_cbranch_scc1 .LBB677_2
; %bb.5:
	s_clause 0x1
	s_load_b128 s[8:11], s[0:1], 0x8
	s_load_b64 s[2:3], s[0:1], 0x20
	s_and_not1_b32 vcc_lo, exec_lo, s12
	s_cbranch_vccnz .LBB677_7
; %bb.6:
	s_add_u32 s4, s4, s6
	s_addc_u32 s5, s5, s7
	s_load_b32 s12, s[4:5], 0x0
	s_branch .LBB677_8
.LBB677_7:
	s_mov_b32 s12, s30
.LBB677_8:
	s_load_b128 s[4:7], s[0:1], 0x48
	v_and_b32_e32 v141, 15, v0
	v_lshrrev_b32_e32 v140, 5, v0
	v_and_b32_e32 v142, 31, v0
	v_and_b32_e32 v139, 1, v0
	v_bfe_u32 v138, v0, 4, 1
	v_lshlrev_b32_e32 v1, 3, v141
	s_lshl_b32 s29, s15, 3
	s_waitcnt lgkmcnt(0)
	s_mov_b32 s7, exec_lo
	s_delay_alu instid0(VALU_DEP_1)
	v_lshlrev_b32_e32 v137, 1, v1
	v_cmpx_gt_u32_e32 0x80, v0
	s_cbranch_execz .LBB677_10
; %bb.9:
	v_lshl_or_b32 v5, v140, 1, v138
	s_load_b64 s[16:17], s[0:1], 0x0
	s_mul_hi_i32 s13, s12, s4
	s_mul_i32 s12, s12, s4
	v_lshlrev_b32_e32 v6, 10, v141
	v_or_b32_e32 v1, s29, v5
	s_lshl_b64 s[12:13], s[12:13], 1
	v_lshlrev_b32_e32 v5, 6, v5
	v_lshlrev_b32_e32 v7, 10, v139
	v_and_b32_e32 v6, 0x3800, v6
	v_lshlrev_b32_e32 v1, 7, v1
	s_delay_alu instid0(VALU_DEP_2) | instskip(NEXT) | instid1(VALU_DEP_2)
	v_or3_b32 v5, v6, v7, v5
	v_ashrrev_i32_e32 v2, 31, v1
	s_delay_alu instid0(VALU_DEP_1) | instskip(SKIP_3) | instid1(VALU_DEP_1)
	v_lshlrev_b64 v[1:2], 1, v[1:2]
	s_waitcnt lgkmcnt(0)
	s_add_u32 s4, s16, s12
	s_addc_u32 s12, s17, s13
	v_add_co_u32 v1, vcc_lo, s4, v1
	s_delay_alu instid0(VALU_DEP_2) | instskip(NEXT) | instid1(VALU_DEP_2)
	v_add_co_ci_u32_e32 v2, vcc_lo, s12, v2, vcc_lo
	v_add_co_u32 v1, vcc_lo, v1, v137
	s_delay_alu instid0(VALU_DEP_2)
	v_add_co_ci_u32_e32 v2, vcc_lo, 0, v2, vcc_lo
	global_load_b128 v[1:4], v[1:2], off
	s_waitcnt vmcnt(0)
	ds_store_b128 v5, v[1:4]
.LBB677_10:
	s_or_b32 exec_lo, exec_lo, s7
	s_mov_b32 s36, 0
	s_add_i32 s4, s28, 15
	s_mov_b32 s37, s36
	s_mov_b32 s38, s36
	;; [unrolled: 1-line block ×7, first 2 shown]
	s_delay_alu instid0(SALU_CYCLE_1)
	v_dual_mov_b32 v136, s43 :: v_dual_and_b32 v1, 0xef, v0
	v_mov_b32_e32 v134, s41
	s_clause 0x1
	s_load_b32 s7, s[0:1], 0x38
	s_load_b32 s33, s[0:1], 0x1c
	v_add_nc_u32_e32 v1, s31, v1
	s_ashr_i32 s12, s4, 31
	s_waitcnt lgkmcnt(0)
	s_lshr_b32 s12, s12, 28
	s_barrier
	v_ashrrev_i32_e32 v2, 31, v1
	s_add_i32 s4, s4, s12
	v_cmp_gt_i32_e32 vcc_lo, s28, v1
	v_mov_b32_e32 v135, s42
	s_ashr_i32 s4, s4, 4
	v_lshrrev_b32_e32 v3, 28, v2
	v_or_b32_e32 v2, 16, v1
	s_add_i32 s4, s4, -1
	v_mov_b32_e32 v132, s39
	buffer_gl0_inv
	v_add_nc_u32_e32 v4, v1, v3
	v_add_nc_u32_e32 v3, v2, v3
	v_and_b32_e32 v105, 7, v0
	v_lshlrev_b32_e32 v106, 5, v141
	s_mul_i32 s12, s30, s7
	v_ashrrev_i32_e32 v4, 4, v4
	v_ashrrev_i32_e32 v3, 4, v3
	s_ashr_i32 s13, s12, 31
	v_lshlrev_b32_e32 v215, 6, v105
	s_lshl_b64 s[12:13], s[12:13], 2
	v_cndmask_b32_e32 v1, s4, v4, vcc_lo
	v_cmp_gt_i32_e32 vcc_lo, s28, v2
	s_add_u32 s34, s2, s12
	s_addc_u32 s35, s3, s13
	s_mul_i32 s2, s15, s6
	v_ashrrev_i32_e32 v2, 31, v1
	v_cndmask_b32_e32 v3, s4, v3, vcc_lo
	s_ashr_i32 s3, s2, 31
	v_lshl_or_b32 v125, v140, 9, v106
	s_lshl_b64 s[2:3], s[2:3], 1
	v_lshlrev_b64 v[1:2], 2, v[1:2]
	v_ashrrev_i32_e32 v4, 31, v3
	s_add_u32 s22, s8, s2
	s_addc_u32 s23, s9, s3
	s_lshl_b32 s6, s14, 4
	v_mov_b32_e32 v133, s40
	v_lshlrev_b64 v[3:4], 2, v[3:4]
	v_add_co_u32 v1, vcc_lo, s34, v1
	v_add_co_ci_u32_e32 v2, vcc_lo, s35, v2, vcc_lo
	s_ashr_i32 s7, s6, 31
	s_delay_alu instid0(VALU_DEP_3) | instskip(NEXT) | instid1(VALU_DEP_4)
	v_add_co_u32 v3, vcc_lo, s34, v3
	v_add_co_ci_u32_e32 v4, vcc_lo, s35, v4, vcc_lo
	s_clause 0x1
	global_load_b32 v5, v[1:2], off
	global_load_b32 v6, v[3:4], off
	s_lshl_b64 s[6:7], s[6:7], 2
	v_dual_mov_b32 v130, s37 :: v_dual_lshlrev_b32 v3, 4, v0
	s_add_u32 s6, s34, s6
	s_addc_u32 s7, s35, s7
	s_or_b32 s8, s31, 16
	v_mov_b32_e32 v131, s38
	s_ashr_i32 s9, s8, 4
	s_cmp_lt_i32 s8, s28
	v_mov_b32_e32 v129, s36
	s_cselect_b32 s8, s9, s4
	s_delay_alu instid0(SALU_CYCLE_1) | instskip(NEXT) | instid1(SALU_CYCLE_1)
	s_ashr_i32 s9, s8, 31
	s_lshl_b64 s[8:9], s[8:9], 2
	s_delay_alu instid0(SALU_CYCLE_1) | instskip(SKIP_2) | instid1(SALU_CYCLE_1)
	s_add_u32 s8, s34, s8
	s_addc_u32 s9, s35, s9
	s_or_b32 s12, s31, 32
	s_ashr_i32 s13, s12, 4
	s_cmp_lt_i32 s12, s28
	s_cselect_b32 s12, s13, s4
	s_delay_alu instid0(SALU_CYCLE_1) | instskip(NEXT) | instid1(SALU_CYCLE_1)
	s_ashr_i32 s13, s12, 31
	s_lshl_b64 s[12:13], s[12:13], 2
	s_delay_alu instid0(SALU_CYCLE_1) | instskip(SKIP_2) | instid1(SALU_CYCLE_1)
	s_add_u32 s12, s34, s12
	s_addc_u32 s13, s35, s13
	s_or_b32 s15, s31, 48
	s_ashr_i32 s16, s15, 4
	s_cmp_lt_i32 s15, s28
	;; [unrolled: 10-line block ×4, first 2 shown]
	s_cselect_b32 s20, s20, s4
	s_delay_alu instid0(SALU_CYCLE_1) | instskip(NEXT) | instid1(SALU_CYCLE_1)
	s_ashr_i32 s21, s20, 31
	s_lshl_b64 s[20:21], s[20:21], 2
	s_delay_alu instid0(SALU_CYCLE_1)
	s_add_u32 s20, s34, s20
	s_addc_u32 s21, s35, s21
	s_clause 0x5
	s_load_b32 s6, s[6:7], 0x0
	s_load_b32 s8, s[8:9], 0x0
	;; [unrolled: 1-line block ×6, first 2 shown]
	s_waitcnt vmcnt(1)
	v_mad_i64_i32 v[1:2], null, v5, s5, 0
	v_and_b32_e32 v5, 0xf0, v3
	s_waitcnt vmcnt(0)
	v_mad_i64_i32 v[3:4], null, v6, s5, 0
	s_delay_alu instid0(VALU_DEP_2) | instskip(NEXT) | instid1(VALU_DEP_4)
	v_add_co_u32 v5, s7, s22, v5
	v_lshlrev_b64 v[1:2], 1, v[1:2]
	v_add_co_ci_u32_e64 v6, null, s23, 0, s7
	s_delay_alu instid0(VALU_DEP_4) | instskip(SKIP_1) | instid1(VALU_DEP_3)
	v_lshlrev_b64 v[3:4], 1, v[3:4]
	s_or_b32 s7, s31, 0x60
	v_add_co_u32 v121, vcc_lo, v5, v1
	s_delay_alu instid0(VALU_DEP_3) | instskip(NEXT) | instid1(VALU_DEP_3)
	v_add_co_ci_u32_e32 v122, vcc_lo, v6, v2, vcc_lo
	v_add_co_u32 v123, vcc_lo, v5, v3
	s_delay_alu instid0(VALU_DEP_4)
	v_add_co_ci_u32_e32 v124, vcc_lo, v6, v4, vcc_lo
	s_clause 0x19
	global_load_b128 v[89:92], v[121:122], off
	global_load_b128 v[93:96], v[121:122], off offset:256
	global_load_b128 v[97:100], v[123:124], off
	global_load_b128 v[101:104], v[123:124], off offset:256
	global_load_b128 v[81:84], v[121:122], off offset:512
	;; [unrolled: 1-line block ×23, first 2 shown]
	s_ashr_i32 s9, s7, 4
	s_cmp_lt_i32 s7, s28
	ds_load_b128 v[105:108], v215
	ds_load_b128 v[109:112], v215 offset:1024
	s_cselect_b32 s20, s9, s4
	ds_load_b128 v[113:116], v215 offset:2048
	ds_load_b128 v[117:120], v215 offset:3072
	s_ashr_i32 s21, s20, 31
	ds_load_b128 v[143:146], v215 offset:4096
	ds_load_b128 v[147:150], v215 offset:5120
	s_lshl_b64 s[20:21], s[20:21], 2
	ds_load_b128 v[151:154], v215 offset:6144
	ds_load_b128 v[155:158], v215 offset:7168
	s_add_u32 s20, s34, s20
	s_addc_u32 s21, s35, s21
	s_or_b32 s7, s31, 0x70
	ds_load_b128 v[159:162], v215 offset:8192
	ds_load_b128 v[163:166], v215 offset:9216
	s_ashr_i32 s9, s7, 4
	s_cmp_lt_i32 s7, s28
	s_clause 0x1
	global_load_b128 v[167:170], v[123:124], off offset:3072
	global_load_b128 v[171:174], v[123:124], off offset:3328
	s_cselect_b32 s22, s9, s4
	s_delay_alu instid0(SALU_CYCLE_1) | instskip(NEXT) | instid1(SALU_CYCLE_1)
	s_ashr_i32 s23, s22, 31
	s_lshl_b64 s[22:23], s[22:23], 2
	s_delay_alu instid0(SALU_CYCLE_1)
	s_add_u32 s22, s34, s22
	s_addc_u32 s23, s35, s23
	s_clause 0x1
	s_load_b32 s42, s[20:21], 0x0
	s_load_b32 s43, s[22:23], 0x0
	s_clause 0x3
	global_load_b128 v[175:178], v[121:122], off offset:3584
	global_load_b128 v[179:182], v[121:122], off offset:3840
	;; [unrolled: 1-line block ×4, first 2 shown]
	s_or_b32 s7, s31, 0x80
	s_delay_alu instid0(SALU_CYCLE_1) | instskip(SKIP_2) | instid1(SALU_CYCLE_1)
	s_ashr_i32 s9, s7, 4
	s_cmp_lt_i32 s7, s28
	s_cselect_b32 s24, s9, s4
	s_ashr_i32 s25, s24, 31
	s_delay_alu instid0(SALU_CYCLE_1) | instskip(NEXT) | instid1(SALU_CYCLE_1)
	s_lshl_b64 s[24:25], s[24:25], 2
	s_add_u32 s24, s34, s24
	s_addc_u32 s25, s35, s25
	s_or_b32 s7, s31, 0x90
	s_load_b32 s44, s[24:25], 0x0
	s_ashr_i32 s9, s7, 4
	s_cmp_lt_i32 s7, s28
	s_cselect_b32 s26, s9, s4
	s_delay_alu instid0(SALU_CYCLE_1) | instskip(NEXT) | instid1(SALU_CYCLE_1)
	s_ashr_i32 s27, s26, 31
	s_lshl_b64 s[26:27], s[26:27], 2
	s_delay_alu instid0(SALU_CYCLE_1) | instskip(SKIP_2) | instid1(SALU_CYCLE_1)
	s_add_u32 s26, s34, s26
	s_addc_u32 s27, s35, s27
	s_or_b32 s7, s31, 0xa0
	s_ashr_i32 s9, s7, 4
	s_cmp_lt_i32 s7, s28
	s_waitcnt lgkmcnt(0)
	s_mul_hi_i32 s7, s6, s5
	s_cselect_b32 s36, s9, s4
	s_mul_i32 s6, s6, s5
	s_ashr_i32 s37, s36, 31
	s_delay_alu instid0(SALU_CYCLE_1) | instskip(NEXT) | instid1(SALU_CYCLE_1)
	s_lshl_b64 s[36:37], s[36:37], 2
	s_add_u32 s36, s34, s36
	s_addc_u32 s37, s35, s37
	s_or_b32 s9, s31, 0xb0
	s_delay_alu instid0(SALU_CYCLE_1)
	s_ashr_i32 s13, s9, 4
	s_cmp_lt_i32 s9, s28
	s_mul_hi_i32 s9, s8, s5
	s_cselect_b32 s38, s13, s4
	s_mul_i32 s8, s8, s5
	s_ashr_i32 s39, s38, 31
	s_mul_hi_i32 s13, s12, s5
	s_lshl_b64 s[38:39], s[38:39], 2
	s_mul_i32 s12, s12, s5
	s_add_u32 s40, s34, s38
	s_addc_u32 s41, s35, s39
	s_or_b32 s17, s31, 0xc0
	s_delay_alu instid0(SALU_CYCLE_1)
	s_ashr_i32 s19, s17, 4
	s_cmp_lt_i32 s17, s28
	s_mul_hi_i32 s17, s16, s5
	s_cselect_b32 s38, s19, s4
	s_mul_i32 s16, s16, s5
	s_ashr_i32 s39, s38, 31
	s_mul_hi_i32 s19, s18, s5
	s_lshl_b64 s[38:39], s[38:39], 2
	s_mul_i32 s18, s18, s5
	s_add_u32 s22, s34, s38
	s_addc_u32 s23, s35, s39
	s_clause 0x1
	s_load_b32 s39, s[26:27], 0x0
	s_load_b32 s38, s[36:37], 0x0
	s_or_b32 s20, s31, 0xd0
	s_mul_hi_i32 s27, s44, s5
	s_ashr_i32 s21, s20, 4
	s_cmp_lt_i32 s20, s28
	s_mul_i32 s20, s15, s5
	s_cselect_b32 s24, s21, s4
	s_mul_hi_i32 s21, s15, s5
	s_ashr_i32 s25, s24, 31
	s_mul_i32 s26, s44, s5
	s_lshl_b64 s[24:25], s[24:25], 2
	s_delay_alu instid0(SALU_CYCLE_1)
	s_add_u32 s24, s34, s24
	s_addc_u32 s25, s35, s25
	s_or_b32 s45, s31, 0xe0
	s_clause 0x2
	s_load_b32 s37, s[40:41], 0x0
	s_load_b32 s36, s[22:23], 0x0
	;; [unrolled: 1-line block ×3, first 2 shown]
	s_ashr_i32 s46, s45, 4
	s_cmp_lt_i32 s45, s28
	s_mul_hi_i32 s23, s42, s5
	s_mul_i32 s22, s42, s5
	s_cselect_b32 s42, s46, s4
	s_mul_hi_i32 s25, s43, s5
	s_mul_i32 s24, s43, s5
	s_ashr_i32 s43, s42, 31
	s_waitcnt lgkmcnt(0)
	s_mul_hi_i32 s41, s39, s5
	s_lshl_b64 s[42:43], s[42:43], 2
	s_mul_i32 s40, s39, s5
	s_add_u32 s42, s34, s42
	s_addc_u32 s43, s35, s43
	s_or_b32 s44, s31, 0xf0
	s_mul_hi_i32 s39, s38, s5
	s_ashr_i32 s46, s44, 4
	s_cmp_lt_i32 s44, s28
	s_mul_i32 s38, s38, s5
	s_cselect_b32 s46, s46, s4
	s_mul_hi_i32 s49, s15, s5
	s_ashr_i32 s47, s46, 31
	s_mul_i32 s48, s15, s5
	s_lshl_b64 s[46:47], s[46:47], 2
	s_mul_hi_i32 s45, s37, s5
	s_add_u32 s34, s34, s46
	s_addc_u32 s35, s35, s47
	s_add_u32 s4, s10, s2
	s_addc_u32 s15, s11, s3
	v_add_co_u32 v216, s4, s4, v125
	s_delay_alu instid0(VALU_DEP_1) | instskip(SKIP_2) | instid1(VALU_DEP_2)
	v_add_co_ci_u32_e64 v217, null, s15, 0, s4
	s_lshl_b64 s[2:3], s[6:7], 1
	s_lshl_b64 s[6:7], s[8:9], 1
	v_add_co_u32 v125, vcc_lo, v216, s2
	s_delay_alu instid0(VALU_DEP_2)
	v_add_co_ci_u32_e32 v126, vcc_lo, s3, v217, vcc_lo
	v_add_co_u32 v199, vcc_lo, v216, s6
	s_lshl_b64 s[8:9], s[12:13], 1
	v_add_co_ci_u32_e32 v200, vcc_lo, s7, v217, vcc_lo
	s_lshl_b64 s[10:11], s[16:17], 1
	s_lshl_b64 s[12:13], s[18:19], 1
	;; [unrolled: 1-line block ×8, first 2 shown]
	s_mul_i32 s44, s37, s5
	s_mul_hi_i32 s37, s36, s5
	s_lshl_b64 s[38:39], s[44:45], 1
	s_mul_i32 s36, s36, s5
	s_clause 0x1
	s_load_b32 s4, s[42:43], 0x0
	s_load_b32 s15, s[34:35], 0x0
	s_lshl_b64 s[36:37], s[36:37], 1
	s_lshl_b64 s[40:41], s[48:49], 1
	s_waitcnt lgkmcnt(0)
	s_mul_hi_i32 s3, s4, s5
	s_mul_i32 s2, s4, s5
	s_mul_hi_i32 s7, s15, s5
	s_lshl_b64 s[2:3], s[2:3], 1
	s_mul_i32 s6, s15, s5
	s_waitcnt vmcnt(30)
	v_wmma_f32_16x16x16_bf16 v[191:198], v[89:96], v[105:112], v[129:136]
	v_add_co_u32 v89, vcc_lo, v216, s8
	v_add_co_ci_u32_e32 v90, vcc_lo, s9, v217, vcc_lo
	v_add_co_u32 v91, vcc_lo, v216, s10
	v_add_co_ci_u32_e32 v92, vcc_lo, s11, v217, vcc_lo
	;; [unrolled: 2-line block ×5, first 2 shown]
	v_add_co_u32 v205, vcc_lo, v216, s20
	s_waitcnt vmcnt(28)
	v_wmma_f32_16x16x16_bf16 v[129:136], v[97:104], v[105:112], v[129:136]
	v_add_co_ci_u32_e32 v206, vcc_lo, s21, v217, vcc_lo
	v_add_co_u32 v207, vcc_lo, v216, s22
	v_add_co_ci_u32_e32 v208, vcc_lo, s23, v217, vcc_lo
	v_add_co_u32 v209, vcc_lo, v216, s24
	s_waitcnt vmcnt(26)
	v_wmma_f32_16x16x16_bf16 v[191:198], v[81:88], v[113:120], v[191:198]
	s_waitcnt vmcnt(24)
	v_wmma_f32_16x16x16_bf16 v[129:136], v[73:80], v[113:120], v[129:136]
	v_add_co_ci_u32_e32 v210, vcc_lo, s25, v217, vcc_lo
	v_add_co_u32 v211, vcc_lo, v216, s26
	v_add_co_ci_u32_e32 v212, vcc_lo, s27, v217, vcc_lo
	v_add_co_u32 v213, vcc_lo, v216, s38
	s_waitcnt vmcnt(22)
	v_wmma_f32_16x16x16_bf16 v[191:198], v[65:72], v[143:150], v[191:198]
	s_waitcnt vmcnt(20)
	v_wmma_f32_16x16x16_bf16 v[129:136], v[57:64], v[143:150], v[129:136]
	v_add_co_ci_u32_e32 v214, vcc_lo, s39, v217, vcc_lo
	v_add_co_u32 v143, vcc_lo, v216, s36
	s_waitcnt vmcnt(18)
	v_wmma_f32_16x16x16_bf16 v[191:198], v[49:56], v[151:158], v[191:198]
	s_waitcnt vmcnt(16)
	v_wmma_f32_16x16x16_bf16 v[129:136], v[41:48], v[151:158], v[129:136]
	v_add_co_ci_u32_e32 v144, vcc_lo, s37, v217, vcc_lo
	s_clause 0x15
	global_load_b128 v[121:124], v[125:126], off
	global_load_b128 v[125:128], v[125:126], off offset:16
	global_load_b128 v[113:116], v[199:200], off
	global_load_b128 v[117:120], v[199:200], off offset:16
	;; [unrolled: 2-line block ×11, first 2 shown]
	s_waitcnt vmcnt(36)
	v_wmma_f32_16x16x16_bf16 v[191:198], v[17:24], v[159:166], v[191:198]
	s_clause 0x1
	global_load_b128 v[17:20], v[213:214], off
	global_load_b128 v[21:24], v[213:214], off offset:16
	s_waitcnt vmcnt(36)
	v_wmma_f32_16x16x16_bf16 v[129:136], v[1:8], v[159:166], v[129:136]
	s_clause 0x1
	global_load_b128 v[1:4], v[143:144], off
	global_load_b128 v[5:8], v[143:144], off offset:16
	ds_load_b128 v[143:146], v215 offset:10240
	ds_load_b128 v[147:150], v215 offset:11264
	;; [unrolled: 1-line block ×4, first 2 shown]
	v_add_co_u32 v199, vcc_lo, v216, s40
	v_add_co_ci_u32_e32 v200, vcc_lo, s41, v217, vcc_lo
	v_add_co_u32 v159, vcc_lo, v216, s2
	v_add_co_ci_u32_e32 v160, vcc_lo, s3, v217, vcc_lo
	s_lshl_b64 s[2:3], s[6:7], 1
	s_delay_alu instid0(SALU_CYCLE_1)
	v_add_co_u32 v161, vcc_lo, v216, s2
	v_add_co_ci_u32_e32 v162, vcc_lo, s3, v217, vcc_lo
	s_waitcnt vmcnt(36) lgkmcnt(2)
	v_wmma_f32_16x16x16_bf16 v[191:198], v[33:40], v[143:150], v[191:198]
	s_waitcnt vmcnt(34)
	v_wmma_f32_16x16x16_bf16 v[129:136], v[25:32], v[143:150], v[129:136]
	s_clause 0x3
	global_load_b128 v[25:28], v[199:200], off
	global_load_b128 v[29:32], v[199:200], off offset:16
	global_load_b128 v[33:36], v[159:160], off
	global_load_b128 v[37:40], v[159:160], off offset:16
	v_and_b32_e32 v143, 0xe0, v0
	v_mbcnt_lo_u32_b32 v159, -1, 0
	s_waitcnt vmcnt(36) lgkmcnt(0)
	v_wmma_f32_16x16x16_bf16 v[191:198], v[9:16], v[151:158], v[191:198]
	s_clause 0x1
	global_load_b128 v[9:12], v[161:162], off
	global_load_b128 v[13:16], v[161:162], off offset:16
	s_waitcnt vmcnt(36)
	v_wmma_f32_16x16x16_bf16 v[129:136], v[167:174], v[151:158], v[129:136]
	v_add_nc_u32_e32 v160, s31, v143
	ds_load_b128 v[143:146], v215 offset:14336
	ds_load_b128 v[147:150], v215 offset:15360
	v_xor_b32_e32 v151, 16, v159
	s_waitcnt vmcnt(0) lgkmcnt(0)
	s_barrier
	v_or_b32_e32 v152, v160, v138
	buffer_gl0_inv
	v_cmp_gt_i32_e32 vcc_lo, 32, v151
	v_or_b32_e32 v153, 2, v152
	v_or_b32_e32 v154, 4, v152
	;; [unrolled: 1-line block ×5, first 2 shown]
	v_cmp_gt_i32_e64 s2, s28, v153
	v_cmp_gt_i32_e64 s3, s28, v154
	;; [unrolled: 1-line block ×3, first 2 shown]
	v_or_b32_e32 v158, 12, v152
	v_cmp_gt_i32_e64 s5, s28, v156
	v_cmp_gt_i32_e64 s6, s28, v157
	v_wmma_f32_16x16x16_bf16 v[191:198], v[175:182], v[143:150], v[191:198]
	v_wmma_f32_16x16x16_bf16 v[129:136], v[183:190], v[143:150], v[129:136]
	v_cndmask_b32_e32 v151, v159, v151, vcc_lo
	v_cmp_gt_i32_e32 vcc_lo, s28, v152
	v_or_b32_e32 v159, 14, v152
	v_dual_mul_f32 v149, s33, v192 :: v_dual_mul_f32 v150, s33, v191
	v_dual_mul_f32 v147, s33, v194 :: v_dual_mul_f32 v148, s33, v193
	v_dual_mul_f32 v145, s33, v196 :: v_dual_mul_f32 v174, s33, v130
	s_delay_alu instid0(VALU_DEP_3) | instskip(NEXT) | instid1(VALU_DEP_4)
	v_cndmask_b32_e32 v150, 0xff7fffff, v150, vcc_lo
	v_cndmask_b32_e64 v149, 0xff7fffff, v149, s2
	v_mul_f32_e32 v146, s33, v195
	v_cndmask_b32_e64 v148, 0xff7fffff, v148, s3
	v_cndmask_b32_e64 v147, 0xff7fffff, v147, s4
	v_or_b32_e32 v160, 16, v152
	v_max3_f32 v149, v150, 0xff7fffff, v149
	v_or_b32_e32 v161, 18, v152
	v_mul_f32_e32 v144, s33, v197
	v_dual_mul_f32 v172, s33, v132 :: v_dual_mul_f32 v143, s33, v198
	v_lshlrev_b32_e32 v154, 2, v151
	v_cndmask_b32_e64 v146, 0xff7fffff, v146, s5
	v_cndmask_b32_e64 v145, 0xff7fffff, v145, s6
	v_max3_f32 v147, v149, v148, v147
	v_cmp_gt_i32_e64 s7, s28, v158
	v_cmp_gt_i32_e64 s8, s28, v159
	v_or_b32_e32 v162, 20, v152
	v_or_b32_e32 v163, 22, v152
	v_mul_f32_e32 v175, s33, v129
	v_cndmask_b32_e64 v144, 0xff7fffff, v144, s7
	v_cndmask_b32_e64 v143, 0xff7fffff, v143, s8
	v_max3_f32 v145, v147, v146, v145
	v_cmp_gt_i32_e64 s9, s28, v160
	v_cmp_gt_i32_e64 s10, s28, v161
	v_or_b32_e32 v164, 24, v152
	v_or_b32_e32 v165, 26, v152
	v_mul_f32_e32 v173, s33, v131
	v_cndmask_b32_e64 v146, 0xff7fffff, v175, s9
	v_cndmask_b32_e64 v147, 0xff7fffff, v174, s10
	v_max3_f32 v143, v145, v144, v143
	v_cmp_gt_i32_e64 s11, s28, v162
	v_cmp_gt_i32_e64 s12, s28, v163
	v_or_b32_e32 v166, 28, v152
	v_or_b32_e32 v167, 30, v152
	v_dual_mul_f32 v170, s33, v134 :: v_dual_mul_f32 v171, s33, v133
	v_cndmask_b32_e64 v144, 0xff7fffff, v173, s11
	v_cndmask_b32_e64 v145, 0xff7fffff, v172, s12
	v_max3_f32 v143, v143, v146, v147
	v_cmp_gt_i32_e64 s13, s28, v164
	v_cmp_gt_i32_e64 s15, s28, v165
	v_dual_mul_f32 v168, s33, v136 :: v_dual_mul_f32 v169, s33, v135
	s_delay_alu instid0(VALU_DEP_4) | instskip(NEXT) | instid1(VALU_DEP_4)
	v_max3_f32 v143, v143, v144, v145
	v_cndmask_b32_e64 v146, 0xff7fffff, v171, s13
	s_delay_alu instid0(VALU_DEP_4) | instskip(SKIP_2) | instid1(VALU_DEP_3)
	v_cndmask_b32_e64 v147, 0xff7fffff, v170, s15
	v_cmp_gt_i32_e64 s16, s28, v166
	v_cmp_gt_i32_e64 s17, s28, v167
	v_max3_f32 v143, v143, v146, v147
	s_delay_alu instid0(VALU_DEP_3) | instskip(NEXT) | instid1(VALU_DEP_3)
	v_cndmask_b32_e64 v144, 0xff7fffff, v169, s16
	v_cndmask_b32_e64 v145, 0xff7fffff, v168, s17
	s_delay_alu instid0(VALU_DEP_1) | instskip(SKIP_3) | instid1(VALU_DEP_1)
	v_max3_f32 v143, v143, v144, v145
	ds_bpermute_b32 v144, v154, v143
	s_waitcnt lgkmcnt(0)
	v_max_f32_e32 v144, v144, v144
	v_max_f32_e32 v153, v143, v144
	s_delay_alu instid0(VALU_DEP_1)
	v_fma_f32 v146, s33, v194, -v153
	v_fma_f32 v143, s33, v191, -v153
	;; [unrolled: 1-line block ×5, first 2 shown]
	v_mul_f32_e32 v146, 0x3fb8aa3b, v146
	v_fma_f32 v150, s33, v197, -v153
	s_delay_alu instid0(VALU_DEP_4) | instskip(NEXT) | instid1(VALU_DEP_4)
	v_dual_mul_f32 v147, 0x3fb8aa3b, v147 :: v_dual_mul_f32 v144, 0x3fb8aa3b, v144
	v_mul_f32_e32 v130, 0x3fb8aa3b, v130
	s_delay_alu instid0(VALU_DEP_4) | instskip(NEXT) | instid1(VALU_DEP_3)
	v_exp_f32_e32 v149, v146
	v_mul_f32_e32 v150, 0x3fb8aa3b, v150
	s_delay_alu instid0(VALU_DEP_3)
	v_exp_f32_e32 v151, v147
	v_exp_f32_e32 v144, v144
	v_fma_f32 v145, s33, v193, -v153
	v_fma_f32 v148, s33, v196, -v153
	v_exp_f32_e32 v152, v150
	v_fma_f32 v129, s33, v129, -v153
	v_fma_f32 v131, s33, v131, -v153
	;; [unrolled: 1-line block ×3, first 2 shown]
	v_cndmask_b32_e64 v149, 0, v149, s4
	v_mul_f32_e32 v143, 0x3fb8aa3b, v143
	v_cndmask_b32_e64 v150, 0, v151, s5
	v_cndmask_b32_e64 v146, 0, v144, s2
	v_dual_mul_f32 v148, 0x3fb8aa3b, v148 :: v_dual_mul_f32 v131, 0x3fb8aa3b, v131
	v_mul_f32_e32 v132, 0x3fb8aa3b, v132
	v_exp_f32_e32 v143, v143
	v_exp_f32_e32 v130, v130
	s_delay_alu instid0(VALU_DEP_2)
	v_exp_f32_e32 v148, v148
	v_fma_f32 v133, s33, v133, -v153
	v_fma_f32 v134, s33, v134, -v153
	;; [unrolled: 1-line block ×3, first 2 shown]
	s_mov_b32 s2, exec_lo
	s_delay_alu instid0(TRANS32_DEP_3) | instid1(VALU_DEP_2)
	v_dual_mul_f32 v134, 0x3fb8aa3b, v134 :: v_dual_cndmask_b32 v143, 0, v143
	s_waitcnt_depctr 0xfff
	v_cndmask_b32_e64 v151, 0, v148, s6
	v_cndmask_b32_e64 v148, 0, v152, s7
	v_add_f32_e32 v144, 0, v143
	s_delay_alu instid0(VALU_DEP_1) | instskip(NEXT) | instid1(VALU_DEP_1)
	v_dual_add_f32 v144, v144, v146 :: v_dual_mul_f32 v145, 0x3fb8aa3b, v145
	v_exp_f32_e32 v145, v145
	s_waitcnt_depctr 0xfff
	v_cndmask_b32_e64 v147, 0, v145, s3
	v_fma_f32 v145, s33, v198, -v153
	s_delay_alu instid0(VALU_DEP_2) | instskip(NEXT) | instid1(VALU_DEP_1)
	v_add_f32_e32 v144, v144, v147
	v_add_f32_e32 v144, v144, v149
	s_delay_alu instid0(VALU_DEP_1) | instskip(NEXT) | instid1(VALU_DEP_1)
	v_dual_add_f32 v144, v144, v150 :: v_dual_mul_f32 v145, 0x3fb8aa3b, v145
	v_dual_add_f32 v144, v144, v151 :: v_dual_mul_f32 v129, 0x3fb8aa3b, v129
	s_delay_alu instid0(VALU_DEP_2) | instskip(NEXT) | instid1(VALU_DEP_1)
	v_exp_f32_e32 v145, v145
	v_add_f32_e32 v144, v144, v148
	s_delay_alu instid0(VALU_DEP_2) | instskip(SKIP_4) | instid1(VALU_DEP_2)
	v_exp_f32_e32 v129, v129
	s_waitcnt_depctr 0xfff
	v_cndmask_b32_e64 v152, 0, v145, s8
	v_exp_f32_e32 v145, v131
	v_cndmask_b32_e64 v131, 0, v129, s9
	v_add_f32_e32 v129, v144, v152
	v_exp_f32_e32 v144, v132
	v_cndmask_b32_e64 v132, 0, v130, s10
	v_fma_f32 v130, s33, v135, -v153
	v_mul_f32_e32 v133, 0x3fb8aa3b, v133
	s_delay_alu instid0(VALU_DEP_2) | instskip(NEXT) | instid1(VALU_DEP_2)
	v_dual_add_f32 v129, v129, v131 :: v_dual_mul_f32 v130, 0x3fb8aa3b, v130
	v_exp_f32_e32 v135, v133
	s_delay_alu instid0(TRANS32_DEP_3) | instskip(SKIP_1) | instid1(TRANS32_DEP_3)
	v_cndmask_b32_e64 v133, 0, v145, s11
	v_exp_f32_e32 v145, v134
	v_cndmask_b32_e64 v134, 0, v144, s12
	v_mul_f32_e32 v144, 0x3fb8aa3b, v136
	v_add_f32_e32 v129, v129, v132
	v_exp_f32_e32 v130, v130
	s_delay_alu instid0(VALU_DEP_1) | instskip(NEXT) | instid1(TRANS32_DEP_3)
	v_add_f32_e32 v129, v129, v133
	v_cndmask_b32_e64 v135, 0, v135, s13
	s_delay_alu instid0(TRANS32_DEP_2) | instskip(SKIP_1) | instid1(VALU_DEP_3)
	v_cndmask_b32_e64 v136, 0, v145, s15
	v_exp_f32_e32 v145, v144
	v_add_f32_e32 v129, v129, v134
	s_waitcnt_depctr 0xfff
	v_cndmask_b32_e64 v144, 0, v130, s16
	v_add_f32_e32 v129, v129, v135
	v_cndmask_b32_e64 v145, 0, v145, s17
	s_delay_alu instid0(VALU_DEP_2) | instskip(NEXT) | instid1(VALU_DEP_1)
	v_add_f32_e32 v129, v129, v136
	v_add_f32_e32 v129, v129, v144
	s_delay_alu instid0(VALU_DEP_1)
	v_add_f32_e32 v129, v129, v145
	ds_bpermute_b32 v130, v154, v129
	v_cmpx_gt_u32_e32 16, v142
	s_cbranch_execz .LBB677_12
; %bb.11:
	v_mul_u32_u24_e32 v142, 0x44, v140
	s_waitcnt lgkmcnt(0)
	v_add_f32_e32 v129, v129, v130
	s_delay_alu instid0(VALU_DEP_2) | instskip(NEXT) | instid1(VALU_DEP_1)
	v_lshl_add_u32 v142, v141, 2, v142
	v_add_nc_u32_e32 v130, 0x4000, v142
	ds_store_2addr_b32 v130, v153, v129 offset1:136
.LBB677_12:
	s_or_b32 exec_lo, exec_lo, s2
	v_lshlrev_b32_e32 v129, 2, v141
	s_waitcnt lgkmcnt(0)
	s_barrier
	buffer_gl0_inv
	v_cmp_eq_u32_e64 s2, 1, v140
	v_add_nc_u32_e32 v142, 0x4000, v129
	ds_load_2addr_b32 v[153:154], v142 offset1:17
	ds_load_2addr_b32 v[155:156], v142 offset0:34 offset1:51
	ds_load_2addr_b32 v[157:158], v142 offset0:68 offset1:85
	;; [unrolled: 1-line block ×4, first 2 shown]
	s_waitcnt lgkmcnt(4)
	v_max3_f32 v129, v153, 0xff7fffff, v154
	s_waitcnt lgkmcnt(3)
	s_delay_alu instid0(VALU_DEP_1) | instskip(SKIP_1) | instid1(VALU_DEP_1)
	v_max3_f32 v129, v129, v155, v156
	s_waitcnt lgkmcnt(2)
	v_max3_f32 v129, v129, v157, v158
	s_waitcnt lgkmcnt(1)
	s_delay_alu instid0(VALU_DEP_1) | instskip(NEXT) | instid1(VALU_DEP_1)
	v_max3_f32 v129, v129, v159, v160
	v_sub_f32_e32 v163, v154, v129
	v_sub_f32_e32 v130, v153, v129
	ds_load_2addr_b32 v[153:154], v142 offset0:170 offset1:187
	v_sub_f32_e32 v155, v155, v129
	v_dual_mul_f32 v163, 0x3fb8aa3b, v163 :: v_dual_mul_f32 v130, 0x3fb8aa3b, v130
	s_delay_alu instid0(VALU_DEP_2) | instskip(NEXT) | instid1(VALU_DEP_2)
	v_mul_f32_e32 v165, 0x3fb8aa3b, v155
	v_exp_f32_e32 v163, v163
	s_delay_alu instid0(VALU_DEP_2)
	v_exp_f32_e32 v164, v130
	v_sub_f32_e32 v130, v156, v129
	ds_load_2addr_b32 v[155:156], v142 offset0:204 offset1:221
	v_exp_f32_e32 v165, v165
	v_mul_f32_e32 v166, 0x3fb8aa3b, v130
	s_waitcnt lgkmcnt(2)
	v_fma_f32 v130, v164, v161, 0
	v_sub_f32_e32 v157, v157, v129
	s_delay_alu instid0(VALU_DEP_3) | instskip(NEXT) | instid1(VALU_DEP_2)
	v_exp_f32_e32 v166, v166
	v_dual_sub_f32 v161, v158, v129 :: v_dual_fmac_f32 v130, v163, v162
	s_waitcnt lgkmcnt(1)
	s_waitcnt_depctr 0xfff
	v_fmac_f32_e32 v130, v165, v153
	v_mul_f32_e32 v167, 0x3fb8aa3b, v157
	ds_load_2addr_b32 v[157:158], v142 offset0:238 offset1:255
	v_sub_f32_e32 v142, v159, v129
	v_dual_sub_f32 v153, v160, v129 :: v_dual_fmac_f32 v130, v166, v154
	v_mul_f32_e32 v159, 0x3fb8aa3b, v161
	v_exp_f32_e32 v161, v167
	s_delay_alu instid0(VALU_DEP_2)
	v_dual_mul_f32 v142, 0x3fb8aa3b, v142 :: v_dual_mul_f32 v153, 0x3fb8aa3b, v153
	s_waitcnt lgkmcnt(0)
	s_barrier
	buffer_gl0_inv
	v_exp_f32_e32 v142, v142
	v_exp_f32_e32 v153, v153
	v_fmac_f32_e32 v130, v161, v155
	v_exp_f32_e32 v159, v159
	s_waitcnt_depctr 0xfff
	v_fmac_f32_e32 v130, v159, v156
	s_delay_alu instid0(VALU_DEP_1) | instskip(NEXT) | instid1(VALU_DEP_1)
	v_fmac_f32_e32 v130, v142, v157
	v_fmac_f32_e32 v130, v153, v158
	s_delay_alu instid0(VALU_DEP_1) | instskip(NEXT) | instid1(VALU_DEP_1)
	v_add_f32_e32 v154, 0x358637bd, v130
	v_div_scale_f32 v155, null, v154, v154, 1.0
	v_div_scale_f32 v158, vcc_lo, 1.0, v154, 1.0
	s_delay_alu instid0(VALU_DEP_2) | instskip(SKIP_2) | instid1(VALU_DEP_1)
	v_rcp_f32_e32 v156, v155
	s_waitcnt_depctr 0xfff
	v_fma_f32 v157, -v155, v156, 1.0
	v_fmac_f32_e32 v156, v157, v156
	v_cndmask_b32_e64 v157, v164, v163, s2
	v_cmp_eq_u32_e64 s2, 2, v140
	s_delay_alu instid0(VALU_DEP_3) | instskip(NEXT) | instid1(VALU_DEP_2)
	v_mul_f32_e32 v160, v158, v156
	v_cndmask_b32_e64 v157, v157, v165, s2
	v_cmp_eq_u32_e64 s2, 3, v140
	s_delay_alu instid0(VALU_DEP_3) | instskip(NEXT) | instid1(VALU_DEP_2)
	v_fma_f32 v162, -v155, v160, v158
	v_cndmask_b32_e64 v157, v157, v166, s2
	v_cmp_eq_u32_e64 s2, 4, v140
	s_delay_alu instid0(VALU_DEP_3) | instskip(NEXT) | instid1(VALU_DEP_2)
	v_fmac_f32_e32 v160, v162, v156
	v_cndmask_b32_e64 v157, v157, v161, s2
	s_delay_alu instid0(VALU_DEP_2) | instskip(SKIP_1) | instid1(VALU_DEP_2)
	v_fma_f32 v155, -v155, v160, v158
	v_cmp_eq_u32_e64 s2, 5, v140
	v_div_fmas_f32 v155, v155, v156, v160
	s_delay_alu instid0(VALU_DEP_2) | instskip(SKIP_2) | instid1(VALU_DEP_3)
	v_cndmask_b32_e64 v157, v157, v159, s2
	v_cmp_eq_u32_e32 vcc_lo, 6, v140
	s_mov_b32 s2, exec_lo
	v_div_fixup_f32 v154, v155, v154, 1.0
	s_delay_alu instid0(VALU_DEP_3) | instskip(SKIP_1) | instid1(VALU_DEP_2)
	v_cndmask_b32_e32 v142, v157, v142, vcc_lo
	v_cmp_eq_u32_e32 vcc_lo, 7, v140
	v_cndmask_b32_e32 v142, v142, v153, vcc_lo
	s_delay_alu instid0(VALU_DEP_1) | instskip(NEXT) | instid1(VALU_DEP_1)
	v_mul_f32_e32 v142, v142, v154
	v_mul_f32_e32 v151, v142, v151
	;; [unrolled: 1-line block ×7, first 2 shown]
	v_dual_mul_f32 v150, v142, v147 :: v_dual_and_b32 v155, 0x7f800000, v154
	v_mul_f32_e32 v149, v142, v146
                                        ; implicit-def: $vgpr146
	s_delay_alu instid0(VALU_DEP_2)
	v_cmpx_ne_u32_e32 0x7f800000, v155
	s_xor_b32 s2, exec_lo, s2
; %bb.13:
	v_bfe_u32 v146, v154, 16, 1
	s_delay_alu instid0(VALU_DEP_1)
	v_add3_u32 v146, v154, v146, 0x7fff
                                        ; implicit-def: $vgpr154
; %bb.14:
	s_and_not1_saveexec_b32 s2, s2
; %bb.15:
	v_and_b32_e32 v146, 0xffff, v154
	v_or_b32_e32 v147, 0x10000, v154
	s_delay_alu instid0(VALU_DEP_2) | instskip(NEXT) | instid1(VALU_DEP_2)
	v_cmp_eq_u32_e32 vcc_lo, 0, v146
	v_cndmask_b32_e32 v146, v147, v154, vcc_lo
; %bb.16:
	s_or_b32 exec_lo, exec_lo, s2
	v_and_b32_e32 v147, 0x7f800000, v149
	s_delay_alu instid0(VALU_DEP_1) | instskip(SKIP_1) | instid1(SALU_CYCLE_1)
	v_cmp_ne_u32_e32 vcc_lo, 0x7f800000, v147
                                        ; implicit-def: $vgpr147
	s_and_saveexec_b32 s2, vcc_lo
	s_xor_b32 s2, exec_lo, s2
; %bb.17:
	v_bfe_u32 v147, v149, 16, 1
	s_delay_alu instid0(VALU_DEP_1)
	v_add3_u32 v147, v149, v147, 0x7fff
                                        ; implicit-def: $vgpr149
; %bb.18:
	s_and_not1_saveexec_b32 s2, s2
; %bb.19:
	v_and_b32_e32 v147, 0xffff, v149
	v_or_b32_e32 v154, 0x10000, v149
	s_delay_alu instid0(VALU_DEP_2) | instskip(NEXT) | instid1(VALU_DEP_2)
	v_cmp_eq_u32_e32 vcc_lo, 0, v147
	v_cndmask_b32_e32 v147, v154, v149, vcc_lo
; %bb.20:
	s_or_b32 exec_lo, exec_lo, s2
	v_and_b32_e32 v149, 0x7f800000, v150
	s_delay_alu instid0(VALU_DEP_1) | instskip(SKIP_1) | instid1(SALU_CYCLE_1)
	v_cmp_ne_u32_e32 vcc_lo, 0x7f800000, v149
                                        ; implicit-def: $vgpr149
	s_and_saveexec_b32 s2, vcc_lo
	s_xor_b32 s2, exec_lo, s2
; %bb.21:
	v_bfe_u32 v149, v150, 16, 1
	s_delay_alu instid0(VALU_DEP_1)
	v_add3_u32 v149, v150, v149, 0x7fff
                                        ; implicit-def: $vgpr150
; %bb.22:
	s_and_not1_saveexec_b32 s2, s2
; %bb.23:
	v_and_b32_e32 v149, 0xffff, v150
	v_or_b32_e32 v154, 0x10000, v150
	s_delay_alu instid0(VALU_DEP_2) | instskip(NEXT) | instid1(VALU_DEP_2)
	v_cmp_eq_u32_e32 vcc_lo, 0, v149
	v_cndmask_b32_e32 v149, v154, v150, vcc_lo
; %bb.24:
	s_or_b32 exec_lo, exec_lo, s2
	v_and_b32_e32 v150, 0x7f800000, v153
	s_delay_alu instid0(VALU_DEP_1) | instskip(SKIP_1) | instid1(SALU_CYCLE_1)
	v_cmp_ne_u32_e32 vcc_lo, 0x7f800000, v150
                                        ; implicit-def: $vgpr150
	s_and_saveexec_b32 s2, vcc_lo
	s_xor_b32 s2, exec_lo, s2
; %bb.25:
	v_bfe_u32 v150, v153, 16, 1
	s_delay_alu instid0(VALU_DEP_1)
	v_add3_u32 v150, v153, v150, 0x7fff
                                        ; implicit-def: $vgpr153
; %bb.26:
	s_and_not1_saveexec_b32 s2, s2
; %bb.27:
	v_and_b32_e32 v150, 0xffff, v153
	v_or_b32_e32 v154, 0x10000, v153
	s_delay_alu instid0(VALU_DEP_2) | instskip(NEXT) | instid1(VALU_DEP_2)
	v_cmp_eq_u32_e32 vcc_lo, 0, v150
	v_cndmask_b32_e32 v150, v154, v153, vcc_lo
; %bb.28:
	s_or_b32 exec_lo, exec_lo, s2
	v_and_b32_e32 v153, 0x7f800000, v152
	s_delay_alu instid0(VALU_DEP_1) | instskip(SKIP_1) | instid1(SALU_CYCLE_1)
	v_cmp_ne_u32_e32 vcc_lo, 0x7f800000, v153
                                        ; implicit-def: $vgpr153
	s_and_saveexec_b32 s2, vcc_lo
	s_xor_b32 s2, exec_lo, s2
; %bb.29:
	v_bfe_u32 v153, v152, 16, 1
	s_delay_alu instid0(VALU_DEP_1)
	v_add3_u32 v153, v152, v153, 0x7fff
                                        ; implicit-def: $vgpr152
; %bb.30:
	s_and_not1_saveexec_b32 s2, s2
; %bb.31:
	v_and_b32_e32 v153, 0xffff, v152
	v_or_b32_e32 v154, 0x10000, v152
	s_delay_alu instid0(VALU_DEP_2) | instskip(NEXT) | instid1(VALU_DEP_2)
	v_cmp_eq_u32_e32 vcc_lo, 0, v153
	v_cndmask_b32_e32 v153, v154, v152, vcc_lo
; %bb.32:
	s_or_b32 exec_lo, exec_lo, s2
	v_and_b32_e32 v152, 0x7f800000, v151
	s_delay_alu instid0(VALU_DEP_1) | instskip(SKIP_1) | instid1(SALU_CYCLE_1)
	v_cmp_ne_u32_e32 vcc_lo, 0x7f800000, v152
                                        ; implicit-def: $vgpr152
	s_and_saveexec_b32 s2, vcc_lo
	s_xor_b32 s2, exec_lo, s2
; %bb.33:
	v_bfe_u32 v152, v151, 16, 1
	s_delay_alu instid0(VALU_DEP_1)
	v_add3_u32 v152, v151, v152, 0x7fff
                                        ; implicit-def: $vgpr151
; %bb.34:
	s_and_not1_saveexec_b32 s2, s2
; %bb.35:
	v_and_b32_e32 v152, 0xffff, v151
	v_or_b32_e32 v154, 0x10000, v151
	s_delay_alu instid0(VALU_DEP_2) | instskip(NEXT) | instid1(VALU_DEP_2)
	v_cmp_eq_u32_e32 vcc_lo, 0, v152
	v_cndmask_b32_e32 v152, v154, v151, vcc_lo
; %bb.36:
	s_or_b32 exec_lo, exec_lo, s2
	v_and_b32_e32 v151, 0x7f800000, v148
	s_delay_alu instid0(VALU_DEP_1) | instskip(SKIP_1) | instid1(SALU_CYCLE_1)
	v_cmp_ne_u32_e32 vcc_lo, 0x7f800000, v151
                                        ; implicit-def: $vgpr151
	s_and_saveexec_b32 s2, vcc_lo
	s_xor_b32 s2, exec_lo, s2
; %bb.37:
	v_bfe_u32 v151, v148, 16, 1
	s_delay_alu instid0(VALU_DEP_1)
	v_add3_u32 v151, v148, v151, 0x7fff
                                        ; implicit-def: $vgpr148
; %bb.38:
	s_and_not1_saveexec_b32 s2, s2
; %bb.39:
	v_and_b32_e32 v151, 0xffff, v148
	v_or_b32_e32 v154, 0x10000, v148
	s_delay_alu instid0(VALU_DEP_2) | instskip(NEXT) | instid1(VALU_DEP_2)
	v_cmp_eq_u32_e32 vcc_lo, 0, v151
	v_cndmask_b32_e32 v151, v154, v148, vcc_lo
; %bb.40:
	s_or_b32 exec_lo, exec_lo, s2
	v_and_b32_e32 v148, 0x7f800000, v143
	s_delay_alu instid0(VALU_DEP_1) | instskip(SKIP_1) | instid1(SALU_CYCLE_1)
	v_cmp_ne_u32_e32 vcc_lo, 0x7f800000, v148
                                        ; implicit-def: $vgpr148
	s_and_saveexec_b32 s2, vcc_lo
	s_xor_b32 s2, exec_lo, s2
; %bb.41:
	v_bfe_u32 v148, v143, 16, 1
	s_delay_alu instid0(VALU_DEP_1)
	v_add3_u32 v148, v143, v148, 0x7fff
                                        ; implicit-def: $vgpr143
; %bb.42:
	s_and_not1_saveexec_b32 s2, s2
; %bb.43:
	v_and_b32_e32 v148, 0xffff, v143
	v_or_b32_e32 v154, 0x10000, v143
	s_delay_alu instid0(VALU_DEP_2) | instskip(NEXT) | instid1(VALU_DEP_2)
	v_cmp_eq_u32_e32 vcc_lo, 0, v148
	v_cndmask_b32_e32 v148, v154, v143, vcc_lo
; %bb.44:
	s_or_b32 exec_lo, exec_lo, s2
	s_load_b64 s[34:35], s[0:1], 0x94
	v_dual_mul_f32 v144, v142, v144 :: v_dual_lshlrev_b32 v155, 4, v138
	s_delay_alu instid0(VALU_DEP_2)
	v_perm_b32 v154, v148, v151, 0x7060302
	v_dual_mul_f32 v136, v142, v136 :: v_dual_lshlrev_b32 v143, 6, v141
	v_lshlrev_b32_e32 v141, 11, v140
	v_perm_b32 v151, v147, v146, 0x7060302
	v_mul_f32_e32 v146, v142, v133
	v_mul_f32_e32 v147, v142, v131
	v_perm_b32 v153, v152, v153, 0x7060302
	v_perm_b32 v152, v150, v149, 0x7060302
	v_or3_b32 v131, v155, v141, v143
	s_delay_alu instid0(VALU_DEP_4)
	v_dual_mul_f32 v141, v142, v145 :: v_dual_and_b32 v148, 0x7f800000, v147
	v_mul_f32_e32 v135, v142, v135
	v_mul_f32_e32 v145, v142, v134
	;; [unrolled: 1-line block ×3, first 2 shown]
	s_mov_b32 s2, exec_lo
	ds_store_b128 v131, v[151:154]
                                        ; implicit-def: $vgpr132
	v_cmpx_ne_u32_e32 0x7f800000, v148
	s_xor_b32 s2, exec_lo, s2
; %bb.45:
	v_bfe_u32 v132, v147, 16, 1
	s_delay_alu instid0(VALU_DEP_1)
	v_add3_u32 v132, v147, v132, 0x7fff
                                        ; implicit-def: $vgpr147
; %bb.46:
	s_and_not1_saveexec_b32 s2, s2
; %bb.47:
	v_and_b32_e32 v132, 0xffff, v147
	v_or_b32_e32 v133, 0x10000, v147
	s_delay_alu instid0(VALU_DEP_2) | instskip(NEXT) | instid1(VALU_DEP_2)
	v_cmp_eq_u32_e32 vcc_lo, 0, v132
	v_cndmask_b32_e32 v132, v133, v147, vcc_lo
; %bb.48:
	s_or_b32 exec_lo, exec_lo, s2
	v_and_b32_e32 v133, 0x7f800000, v134
	s_delay_alu instid0(VALU_DEP_1) | instskip(SKIP_1) | instid1(SALU_CYCLE_1)
	v_cmp_ne_u32_e32 vcc_lo, 0x7f800000, v133
                                        ; implicit-def: $vgpr133
	s_and_saveexec_b32 s2, vcc_lo
	s_xor_b32 s2, exec_lo, s2
; %bb.49:
	v_bfe_u32 v133, v134, 16, 1
	s_delay_alu instid0(VALU_DEP_1)
	v_add3_u32 v133, v134, v133, 0x7fff
                                        ; implicit-def: $vgpr134
; %bb.50:
	s_and_not1_saveexec_b32 s2, s2
; %bb.51:
	v_and_b32_e32 v133, 0xffff, v134
	v_or_b32_e32 v142, 0x10000, v134
	s_delay_alu instid0(VALU_DEP_2) | instskip(NEXT) | instid1(VALU_DEP_2)
	v_cmp_eq_u32_e32 vcc_lo, 0, v133
	v_cndmask_b32_e32 v133, v142, v134, vcc_lo
; %bb.52:
	s_or_b32 exec_lo, exec_lo, s2
	v_and_b32_e32 v134, 0x7f800000, v146
	s_delay_alu instid0(VALU_DEP_1) | instskip(SKIP_1) | instid1(SALU_CYCLE_1)
	v_cmp_ne_u32_e32 vcc_lo, 0x7f800000, v134
                                        ; implicit-def: $vgpr134
	s_and_saveexec_b32 s2, vcc_lo
	s_xor_b32 s2, exec_lo, s2
; %bb.53:
	v_bfe_u32 v134, v146, 16, 1
	s_delay_alu instid0(VALU_DEP_1)
	v_add3_u32 v134, v146, v134, 0x7fff
                                        ; implicit-def: $vgpr146
; %bb.54:
	s_and_not1_saveexec_b32 s2, s2
; %bb.55:
	v_and_b32_e32 v134, 0xffff, v146
	v_or_b32_e32 v142, 0x10000, v146
	s_delay_alu instid0(VALU_DEP_2) | instskip(NEXT) | instid1(VALU_DEP_2)
	v_cmp_eq_u32_e32 vcc_lo, 0, v134
	v_cndmask_b32_e32 v134, v142, v146, vcc_lo
; %bb.56:
	s_or_b32 exec_lo, exec_lo, s2
	v_and_b32_e32 v142, 0x7f800000, v145
	s_delay_alu instid0(VALU_DEP_1) | instskip(SKIP_1) | instid1(SALU_CYCLE_1)
	v_cmp_ne_u32_e32 vcc_lo, 0x7f800000, v142
                                        ; implicit-def: $vgpr142
	s_and_saveexec_b32 s2, vcc_lo
	s_xor_b32 s2, exec_lo, s2
; %bb.57:
	v_bfe_u32 v142, v145, 16, 1
	s_delay_alu instid0(VALU_DEP_1)
	v_add3_u32 v142, v145, v142, 0x7fff
                                        ; implicit-def: $vgpr145
; %bb.58:
	s_and_not1_saveexec_b32 s2, s2
; %bb.59:
	v_and_b32_e32 v142, 0xffff, v145
	v_or_b32_e32 v146, 0x10000, v145
	s_delay_alu instid0(VALU_DEP_2) | instskip(NEXT) | instid1(VALU_DEP_2)
	v_cmp_eq_u32_e32 vcc_lo, 0, v142
	v_cndmask_b32_e32 v142, v146, v145, vcc_lo
; %bb.60:
	s_or_b32 exec_lo, exec_lo, s2
	v_and_b32_e32 v145, 0x7f800000, v135
	s_delay_alu instid0(VALU_DEP_1) | instskip(SKIP_1) | instid1(SALU_CYCLE_1)
	v_cmp_ne_u32_e32 vcc_lo, 0x7f800000, v145
                                        ; implicit-def: $vgpr145
	s_and_saveexec_b32 s2, vcc_lo
	s_xor_b32 s2, exec_lo, s2
; %bb.61:
	v_bfe_u32 v145, v135, 16, 1
	s_delay_alu instid0(VALU_DEP_1)
	v_add3_u32 v145, v135, v145, 0x7fff
                                        ; implicit-def: $vgpr135
; %bb.62:
	s_and_not1_saveexec_b32 s2, s2
; %bb.63:
	v_and_b32_e32 v145, 0xffff, v135
	v_or_b32_e32 v146, 0x10000, v135
	s_delay_alu instid0(VALU_DEP_2) | instskip(NEXT) | instid1(VALU_DEP_2)
	v_cmp_eq_u32_e32 vcc_lo, 0, v145
	v_cndmask_b32_e32 v145, v146, v135, vcc_lo
; %bb.64:
	s_or_b32 exec_lo, exec_lo, s2
	v_and_b32_e32 v135, 0x7f800000, v136
	s_delay_alu instid0(VALU_DEP_1) | instskip(SKIP_1) | instid1(SALU_CYCLE_1)
	v_cmp_ne_u32_e32 vcc_lo, 0x7f800000, v135
                                        ; implicit-def: $vgpr135
	s_and_saveexec_b32 s2, vcc_lo
	s_xor_b32 s2, exec_lo, s2
; %bb.65:
	v_bfe_u32 v135, v136, 16, 1
	s_delay_alu instid0(VALU_DEP_1)
	v_add3_u32 v135, v136, v135, 0x7fff
                                        ; implicit-def: $vgpr136
; %bb.66:
	s_and_not1_saveexec_b32 s2, s2
; %bb.67:
	v_and_b32_e32 v135, 0xffff, v136
	v_or_b32_e32 v146, 0x10000, v136
	s_delay_alu instid0(VALU_DEP_2) | instskip(NEXT) | instid1(VALU_DEP_2)
	v_cmp_eq_u32_e32 vcc_lo, 0, v135
	v_cndmask_b32_e32 v135, v146, v136, vcc_lo
; %bb.68:
	s_or_b32 exec_lo, exec_lo, s2
	v_and_b32_e32 v136, 0x7f800000, v144
	s_delay_alu instid0(VALU_DEP_1) | instskip(SKIP_1) | instid1(SALU_CYCLE_1)
	v_cmp_ne_u32_e32 vcc_lo, 0x7f800000, v136
                                        ; implicit-def: $vgpr136
	s_and_saveexec_b32 s2, vcc_lo
	s_xor_b32 s2, exec_lo, s2
; %bb.69:
	v_bfe_u32 v136, v144, 16, 1
	s_delay_alu instid0(VALU_DEP_1)
	v_add3_u32 v136, v144, v136, 0x7fff
                                        ; implicit-def: $vgpr144
; %bb.70:
	s_and_not1_saveexec_b32 s2, s2
; %bb.71:
	v_and_b32_e32 v136, 0xffff, v144
	v_or_b32_e32 v146, 0x10000, v144
	s_delay_alu instid0(VALU_DEP_2) | instskip(NEXT) | instid1(VALU_DEP_2)
	v_cmp_eq_u32_e32 vcc_lo, 0, v136
	v_cndmask_b32_e32 v136, v146, v144, vcc_lo
; %bb.72:
	s_or_b32 exec_lo, exec_lo, s2
	v_and_b32_e32 v144, 0x7f800000, v141
	s_delay_alu instid0(VALU_DEP_1) | instskip(SKIP_1) | instid1(SALU_CYCLE_1)
	v_cmp_ne_u32_e32 vcc_lo, 0x7f800000, v144
                                        ; implicit-def: $vgpr144
	s_and_saveexec_b32 s2, vcc_lo
	s_xor_b32 s2, exec_lo, s2
; %bb.73:
	v_bfe_u32 v144, v141, 16, 1
	s_delay_alu instid0(VALU_DEP_1)
	v_add3_u32 v144, v141, v144, 0x7fff
                                        ; implicit-def: $vgpr141
; %bb.74:
	s_and_not1_saveexec_b32 s2, s2
; %bb.75:
	v_and_b32_e32 v144, 0xffff, v141
	v_or_b32_e32 v146, 0x10000, v141
	s_delay_alu instid0(VALU_DEP_2) | instskip(NEXT) | instid1(VALU_DEP_2)
	v_cmp_eq_u32_e32 vcc_lo, 0, v144
	v_cndmask_b32_e32 v144, v146, v141, vcc_lo
; %bb.76:
	s_or_b32 exec_lo, exec_lo, s2
	s_delay_alu instid0(VALU_DEP_1)
	v_perm_b32 v136, v144, v136, 0x7060302
	v_perm_b32 v135, v135, v145, 0x7060302
	;; [unrolled: 1-line block ×4, first 2 shown]
	v_lshl_or_b32 v144, v140, 11, v143
	v_lshlrev_b32_e32 v141, 2, v138
	ds_store_b128 v131, v[133:136] offset:1024
	s_waitcnt lgkmcnt(0)
	s_barrier
	buffer_gl0_inv
	ds_load_b128 v[132:135], v144
	ds_load_b128 v[146:149], v144 offset:16
	v_or_b32_e32 v142, 1, v141
	v_cmp_eq_u32_e64 s11, 1, v141
	v_cmp_eq_u32_e64 s10, 2, v141
	;; [unrolled: 1-line block ×3, first 2 shown]
	v_or_b32_e32 v140, 2, v141
	v_cmp_eq_u32_e64 s6, 1, v142
	v_cmp_eq_u32_e64 s5, 2, v142
	;; [unrolled: 1-line block ×8, first 2 shown]
	v_cmp_eq_u32_e32 vcc_lo, 5, v142
	v_cmp_eq_u32_e64 s9, 2, v140
	v_cmp_eq_u32_e64 s3, 6, v142
	;; [unrolled: 1-line block ×4, first 2 shown]
	s_waitcnt lgkmcnt(1)
	v_lshrrev_b32_e32 v136, 16, v132
	s_waitcnt lgkmcnt(0)
	v_lshrrev_b32_e32 v154, 16, v146
	v_lshrrev_b32_e32 v160, 16, v147
	;; [unrolled: 1-line block ×4, first 2 shown]
	v_cndmask_b32_e64 v145, v132, v136, s11
	v_cndmask_b32_e64 v150, v146, v154, s11
	;; [unrolled: 1-line block ×4, first 2 shown]
	v_lshrrev_b32_e32 v159, 16, v134
	v_cndmask_b32_e64 v145, v145, v133, s10
	v_cndmask_b32_e64 v150, v150, v147, s10
	;; [unrolled: 1-line block ×8, first 2 shown]
	v_lshrrev_b32_e32 v163, 16, v149
	v_cndmask_b32_e64 v152, v152, v160, s4
	v_cndmask_b32_e64 v145, v145, v134, s16
	v_cndmask_b32_e64 v150, v150, v148, s16
	v_cndmask_b32_e64 v151, v151, v134, s2
	v_cndmask_b32_e64 v153, v153, v133, s9
	v_lshrrev_b32_e32 v161, 16, v135
	v_cndmask_b32_e64 v145, v145, v159, s12
	v_cndmask_b32_e64 v150, v150, v162, s12
	v_cndmask_b32_e32 v151, v151, v159, vcc_lo
	v_cndmask_b32_e64 v152, v152, v148, s2
	v_cmp_eq_u32_e64 s18, 7, v142
	v_cndmask_b32_e64 v145, v145, v135, s13
	v_cndmask_b32_e64 v150, v150, v149, s13
	;; [unrolled: 1-line block ×4, first 2 shown]
	v_cmp_eq_u32_e64 s19, 4, v140
	v_cndmask_b32_e64 v164, v145, v161, s8
	v_cndmask_b32_e64 v165, v150, v163, s8
	;; [unrolled: 1-line block ×3, first 2 shown]
	v_or_b32_e32 v145, 3, v141
	v_cndmask_b32_e64 v166, v151, v161, s18
	v_cndmask_b32_e32 v155, v152, v162, vcc_lo
	v_cndmask_b32_e64 v157, v153, v134, s19
	v_cndmask_b32_e64 v156, v150, v147, s9
	ds_load_b128 v[150:153], v144 offset:1024
	v_cmp_eq_u32_e64 s20, 1, v145
	v_cmp_eq_u32_e64 s21, 5, v140
	;; [unrolled: 1-line block ×3, first 2 shown]
	v_cndmask_b32_e64 v156, v156, v160, s17
	v_cmp_eq_u32_e64 s23, 3, v145
	v_cndmask_b32_e64 v132, v132, v136, s20
	v_cndmask_b32_e64 v136, v155, v149, s3
	;; [unrolled: 1-line block ×5, first 2 shown]
	ds_load_b128 v[154:157], v144 offset:1040
	v_cndmask_b32_e64 v132, v132, v133, s22
	v_cmp_eq_u32_e64 s25, 4, v145
	v_cmp_eq_u32_e64 s27, 5, v145
	v_cndmask_b32_e64 v146, v146, v147, s22
	v_cmp_eq_u32_e64 s24, 6, v140
	v_cndmask_b32_e64 v132, v132, v158, s23
	;; [unrolled: 2-line block ×3, first 2 shown]
	v_cndmask_b32_e64 v146, v146, v160, s23
	s_waitcnt lgkmcnt(1)
	v_lshrrev_b32_e32 v158, 16, v150
	v_cndmask_b32_e64 v132, v132, v134, s25
	v_cndmask_b32_e64 v147, v167, v135, s24
	;; [unrolled: 1-line block ×6, first 2 shown]
	v_lshrrev_b32_e32 v159, 16, v151
	v_cndmask_b32_e64 v160, v150, v158, s6
	v_cndmask_b32_e64 v134, v134, v162, s27
	s_waitcnt lgkmcnt(0)
	v_lshrrev_b32_e32 v148, 16, v154
	v_cndmask_b32_e64 v146, v146, v151, s10
	v_cndmask_b32_e64 v132, v132, v135, s28
	v_cmp_eq_u32_e64 s26, 7, v140
	v_cndmask_b32_e64 v134, v134, v149, s28
	v_cndmask_b32_e64 v162, v154, v148, s11
	;; [unrolled: 1-line block ×4, first 2 shown]
	v_lshrrev_b32_e32 v160, 16, v155
	v_cndmask_b32_e64 v136, v136, v163, s18
	v_cndmask_b32_e64 v149, v162, v155, s10
	v_cmp_eq_u32_e64 s10, 7, v145
	v_cndmask_b32_e64 v146, v146, v159, s4
	v_cndmask_b32_e64 v135, v135, v152, s16
	v_lshrrev_b32_e32 v162, 16, v152
	v_cndmask_b32_e64 v149, v149, v160, s15
	v_cndmask_b32_e64 v132, v132, v161, s10
	;; [unrolled: 1-line block ×8, first 2 shown]
	v_lshrrev_b32_e32 v163, 16, v156
	v_perm_b32 v135, v134, v132, 0x5040100
	v_cndmask_b32_e32 v132, v146, v162, vcc_lo
	v_cndmask_b32_e64 v146, v161, v153, s13
	v_lshrrev_b32_e32 v161, 16, v153
	v_cndmask_b32_e64 v149, v149, v163, s12
	v_perm_b32 v134, v133, v147, 0x5040100
	v_cndmask_b32_e64 v132, v132, v153, s3
	v_perm_b32 v133, v136, v166, 0x5040100
	v_cndmask_b32_e64 v136, v146, v161, s8
	v_cndmask_b32_e64 v146, v149, v157, s13
	;; [unrolled: 1-line block ×27, first 2 shown]
	v_cndmask_b32_e32 v148, v148, v163, vcc_lo
	v_lshrrev_b32_e32 v147, 16, v157
	v_cndmask_b32_e64 v132, v132, v153, s24
	v_cndmask_b32_e64 v149, v149, v153, s28
	;; [unrolled: 1-line block ×11, first 2 shown]
	v_perm_b32 v132, v165, v164, 0x5040100
	v_perm_b32 v149, v150, v149, 0x5040100
	;; [unrolled: 1-line block ×5, first 2 shown]
	s_lshl_b32 s7, s35, 3
	s_mov_b32 s2, exec_lo
	ds_store_b128 v131, v[132:135]
	ds_store_b128 v131, v[146:149] offset:1024
	v_cmpx_gt_u32_e32 8, v0
	s_cbranch_execz .LBB677_78
; %bb.77:
	v_or_b32_e32 v131, s29, v0
	s_load_b128 s[8:11], s[0:1], 0x58
	s_delay_alu instid0(VALU_DEP_1) | instskip(NEXT) | instid1(VALU_DEP_1)
	v_mad_u64_u32 v[132:133], null, s7, s30, v[131:132]
	v_mad_u64_u32 v[133:134], null, v132, s34, s[14:15]
	s_delay_alu instid0(VALU_DEP_1) | instskip(NEXT) | instid1(VALU_DEP_1)
	v_ashrrev_i32_e32 v134, 31, v133
	v_lshlrev_b64 v[131:132], 2, v[133:134]
	s_waitcnt lgkmcnt(0)
	s_delay_alu instid0(VALU_DEP_1) | instskip(NEXT) | instid1(VALU_DEP_2)
	v_add_co_u32 v133, vcc_lo, s10, v131
	v_add_co_ci_u32_e32 v134, vcc_lo, s11, v132, vcc_lo
	v_add_co_u32 v131, vcc_lo, s8, v131
	v_add_co_ci_u32_e32 v132, vcc_lo, s9, v132, vcc_lo
	global_store_b32 v[133:134], v129, off
	global_store_b32 v[131:132], v130, off
.LBB677_78:
	s_or_b32 exec_lo, exec_lo, s2
	s_waitcnt lgkmcnt(0)
	s_waitcnt_vscnt null, 0x0
	s_barrier
	buffer_gl0_inv
	ds_load_b128 v[146:149], v143
	ds_load_b128 v[150:153], v143 offset:16
	ds_load_b128 v[158:161], v143 offset:1040
	;; [unrolled: 1-line block ×3, first 2 shown]
	v_mov_b32_e32 v129, 0
	ds_load_b128 v[166:169], v143 offset:2064
	ds_load_b128 v[162:165], v143 offset:2048
	;; [unrolled: 1-line block ×6, first 2 shown]
	v_mov_b32_e32 v130, v129
	v_mov_b32_e32 v131, v129
	;; [unrolled: 1-line block ×7, first 2 shown]
	s_waitcnt lgkmcnt(8)
	s_delay_alu instid0(VALU_DEP_1)
	v_wmma_f32_16x16x16_bf16 v[129:136], v[121:128], v[146:153], v[129:136]
	ds_load_b128 v[125:128], v143 offset:5136
	ds_load_b128 v[121:124], v143 offset:5120
	s_waitcnt lgkmcnt(8)
	v_wmma_f32_16x16x16_bf16 v[129:136], v[113:120], v[154:161], v[129:136]
	ds_load_b128 v[117:120], v143 offset:6160
	ds_load_b128 v[113:116], v143 offset:6144
	s_waitcnt lgkmcnt(8)
	;; [unrolled: 4-line block ×8, first 2 shown]
	v_wmma_f32_16x16x16_bf16 v[129:136], v[65:72], v[97:104], v[129:136]
	s_waitcnt lgkmcnt(6)
	s_delay_alu instid0(VALU_DEP_1)
	v_wmma_f32_16x16x16_bf16 v[129:136], v[49:56], v[89:96], v[129:136]
	ds_load_b128 v[53:56], v143 offset:13328
	ds_load_b128 v[49:52], v143 offset:13312
	s_waitcnt lgkmcnt(6)
	v_wmma_f32_16x16x16_bf16 v[129:136], v[41:48], v[81:88], v[129:136]
	ds_load_b128 v[45:48], v143 offset:14352
	ds_load_b128 v[41:44], v143 offset:14336
	s_waitcnt lgkmcnt(6)
	;; [unrolled: 4-line block ×3, first 2 shown]
	v_wmma_f32_16x16x16_bf16 v[129:136], v[1:8], v[57:64], v[129:136]
	s_waitcnt lgkmcnt(4)
	s_delay_alu instid0(VALU_DEP_1) | instskip(SKIP_1) | instid1(VALU_DEP_1)
	v_wmma_f32_16x16x16_bf16 v[129:136], v[25:32], v[49:56], v[129:136]
	s_waitcnt lgkmcnt(2)
	v_wmma_f32_16x16x16_bf16 v[129:136], v[33:40], v[41:48], v[129:136]
	s_waitcnt lgkmcnt(0)
	s_delay_alu instid0(VALU_DEP_1) | instskip(NEXT) | instid1(VALU_DEP_1)
	v_wmma_f32_16x16x16_bf16 v[129:136], v[9:16], v[17:24], v[129:136]
	v_and_b32_e32 v1, 0x7f800000, v129
	s_delay_alu instid0(VALU_DEP_1) | instskip(SKIP_1) | instid1(SALU_CYCLE_1)
	v_cmp_ne_u32_e32 vcc_lo, 0x7f800000, v1
                                        ; implicit-def: $vgpr1
	s_and_saveexec_b32 s2, vcc_lo
	s_xor_b32 s2, exec_lo, s2
; %bb.79:
	v_bfe_u32 v1, v129, 16, 1
	s_delay_alu instid0(VALU_DEP_1)
	v_add3_u32 v1, v129, v1, 0x7fff
; %bb.80:
	s_and_not1_saveexec_b32 s2, s2
; %bb.81:
	v_and_b32_e32 v1, 0xffff, v129
	v_or_b32_e32 v2, 0x10000, v129
	s_delay_alu instid0(VALU_DEP_2) | instskip(NEXT) | instid1(VALU_DEP_2)
	v_cmp_eq_u32_e32 vcc_lo, 0, v1
	v_cndmask_b32_e32 v1, v2, v129, vcc_lo
; %bb.82:
	s_or_b32 exec_lo, exec_lo, s2
	v_and_b32_e32 v2, 0x7f800000, v130
	s_delay_alu instid0(VALU_DEP_1) | instskip(SKIP_1) | instid1(SALU_CYCLE_1)
	v_cmp_ne_u32_e32 vcc_lo, 0x7f800000, v2
                                        ; implicit-def: $vgpr2
	s_and_saveexec_b32 s2, vcc_lo
	s_xor_b32 s2, exec_lo, s2
; %bb.83:
	v_bfe_u32 v2, v130, 16, 1
	s_delay_alu instid0(VALU_DEP_1)
	v_add3_u32 v2, v130, v2, 0x7fff
; %bb.84:
	s_and_not1_saveexec_b32 s2, s2
; %bb.85:
	v_and_b32_e32 v2, 0xffff, v130
	v_or_b32_e32 v3, 0x10000, v130
	s_delay_alu instid0(VALU_DEP_2) | instskip(NEXT) | instid1(VALU_DEP_2)
	v_cmp_eq_u32_e32 vcc_lo, 0, v2
	v_cndmask_b32_e32 v2, v3, v130, vcc_lo
; %bb.86:
	s_or_b32 exec_lo, exec_lo, s2
	v_and_b32_e32 v3, 0x7f800000, v131
	s_delay_alu instid0(VALU_DEP_1) | instskip(SKIP_1) | instid1(SALU_CYCLE_1)
	v_cmp_ne_u32_e32 vcc_lo, 0x7f800000, v3
                                        ; implicit-def: $vgpr3
	s_and_saveexec_b32 s2, vcc_lo
	s_xor_b32 s2, exec_lo, s2
; %bb.87:
	v_bfe_u32 v3, v131, 16, 1
	s_delay_alu instid0(VALU_DEP_1)
	v_add3_u32 v3, v131, v3, 0x7fff
; %bb.88:
	s_and_not1_saveexec_b32 s2, s2
; %bb.89:
	v_and_b32_e32 v3, 0xffff, v131
	v_or_b32_e32 v4, 0x10000, v131
	s_delay_alu instid0(VALU_DEP_2) | instskip(NEXT) | instid1(VALU_DEP_2)
	v_cmp_eq_u32_e32 vcc_lo, 0, v3
	v_cndmask_b32_e32 v3, v4, v131, vcc_lo
; %bb.90:
	s_or_b32 exec_lo, exec_lo, s2
	v_and_b32_e32 v4, 0x7f800000, v132
	s_delay_alu instid0(VALU_DEP_1) | instskip(SKIP_1) | instid1(SALU_CYCLE_1)
	v_cmp_ne_u32_e32 vcc_lo, 0x7f800000, v4
                                        ; implicit-def: $vgpr4
	s_and_saveexec_b32 s2, vcc_lo
	s_xor_b32 s2, exec_lo, s2
; %bb.91:
	v_bfe_u32 v4, v132, 16, 1
	s_delay_alu instid0(VALU_DEP_1)
	v_add3_u32 v4, v132, v4, 0x7fff
; %bb.92:
	s_and_not1_saveexec_b32 s2, s2
; %bb.93:
	v_and_b32_e32 v4, 0xffff, v132
	v_or_b32_e32 v5, 0x10000, v132
	s_delay_alu instid0(VALU_DEP_2) | instskip(NEXT) | instid1(VALU_DEP_2)
	v_cmp_eq_u32_e32 vcc_lo, 0, v4
	v_cndmask_b32_e32 v4, v5, v132, vcc_lo
; %bb.94:
	s_or_b32 exec_lo, exec_lo, s2
	v_and_b32_e32 v5, 0x7f800000, v133
	s_delay_alu instid0(VALU_DEP_1) | instskip(SKIP_1) | instid1(SALU_CYCLE_1)
	v_cmp_ne_u32_e32 vcc_lo, 0x7f800000, v5
                                        ; implicit-def: $vgpr5
	s_and_saveexec_b32 s2, vcc_lo
	s_xor_b32 s2, exec_lo, s2
; %bb.95:
	v_bfe_u32 v5, v133, 16, 1
	s_delay_alu instid0(VALU_DEP_1)
	v_add3_u32 v5, v133, v5, 0x7fff
; %bb.96:
	s_and_not1_saveexec_b32 s2, s2
; %bb.97:
	v_and_b32_e32 v5, 0xffff, v133
	v_or_b32_e32 v6, 0x10000, v133
	s_delay_alu instid0(VALU_DEP_2) | instskip(NEXT) | instid1(VALU_DEP_2)
	v_cmp_eq_u32_e32 vcc_lo, 0, v5
	v_cndmask_b32_e32 v5, v6, v133, vcc_lo
; %bb.98:
	s_or_b32 exec_lo, exec_lo, s2
	v_and_b32_e32 v6, 0x7f800000, v134
	s_delay_alu instid0(VALU_DEP_1) | instskip(SKIP_1) | instid1(SALU_CYCLE_1)
	v_cmp_ne_u32_e32 vcc_lo, 0x7f800000, v6
                                        ; implicit-def: $vgpr6
	s_and_saveexec_b32 s2, vcc_lo
	s_xor_b32 s2, exec_lo, s2
; %bb.99:
	v_bfe_u32 v6, v134, 16, 1
	s_delay_alu instid0(VALU_DEP_1)
	v_add3_u32 v6, v134, v6, 0x7fff
; %bb.100:
	s_and_not1_saveexec_b32 s2, s2
; %bb.101:
	v_and_b32_e32 v6, 0xffff, v134
	v_or_b32_e32 v7, 0x10000, v134
	s_delay_alu instid0(VALU_DEP_2) | instskip(NEXT) | instid1(VALU_DEP_2)
	v_cmp_eq_u32_e32 vcc_lo, 0, v6
	v_cndmask_b32_e32 v6, v7, v134, vcc_lo
; %bb.102:
	s_or_b32 exec_lo, exec_lo, s2
	v_and_b32_e32 v7, 0x7f800000, v135
	s_delay_alu instid0(VALU_DEP_1) | instskip(SKIP_1) | instid1(SALU_CYCLE_1)
	v_cmp_ne_u32_e32 vcc_lo, 0x7f800000, v7
                                        ; implicit-def: $vgpr7
	s_and_saveexec_b32 s2, vcc_lo
	s_xor_b32 s2, exec_lo, s2
; %bb.103:
	v_bfe_u32 v7, v135, 16, 1
	s_delay_alu instid0(VALU_DEP_1)
	v_add3_u32 v7, v135, v7, 0x7fff
; %bb.104:
	s_and_not1_saveexec_b32 s2, s2
; %bb.105:
	v_and_b32_e32 v7, 0xffff, v135
	v_or_b32_e32 v8, 0x10000, v135
	s_delay_alu instid0(VALU_DEP_2) | instskip(NEXT) | instid1(VALU_DEP_2)
	v_cmp_eq_u32_e32 vcc_lo, 0, v7
	v_cndmask_b32_e32 v7, v8, v135, vcc_lo
; %bb.106:
	s_or_b32 exec_lo, exec_lo, s2
	v_and_b32_e32 v8, 0x7f800000, v136
	s_delay_alu instid0(VALU_DEP_1) | instskip(SKIP_1) | instid1(SALU_CYCLE_1)
	v_cmp_ne_u32_e32 vcc_lo, 0x7f800000, v8
                                        ; implicit-def: $vgpr8
	s_and_saveexec_b32 s2, vcc_lo
	s_xor_b32 s2, exec_lo, s2
; %bb.107:
	v_bfe_u32 v8, v136, 16, 1
	s_delay_alu instid0(VALU_DEP_1)
	v_add3_u32 v8, v136, v8, 0x7fff
                                        ; implicit-def: $vgpr129_vgpr130_vgpr131_vgpr132_vgpr133_vgpr134_vgpr135_vgpr136
; %bb.108:
	s_and_not1_saveexec_b32 s2, s2
; %bb.109:
	v_and_b32_e32 v8, 0xffff, v136
	v_or_b32_e32 v9, 0x10000, v136
	s_delay_alu instid0(VALU_DEP_2) | instskip(NEXT) | instid1(VALU_DEP_2)
	v_cmp_eq_u32_e32 vcc_lo, 0, v8
	v_cndmask_b32_e32 v8, v9, v136, vcc_lo
; %bb.110:
	s_or_b32 exec_lo, exec_lo, s2
	s_delay_alu instid0(VALU_DEP_1)
	v_perm_b32 v7, v8, v7, 0x7060302
	v_perm_b32 v6, v6, v5, 0x7060302
	;; [unrolled: 1-line block ×4, first 2 shown]
	v_lshl_or_b32 v9, v138, 4, v144
	s_barrier
	buffer_gl0_inv
	v_cmp_eq_u32_e32 vcc_lo, 1, v141
	ds_store_b128 v9, v[4:7]
	s_waitcnt lgkmcnt(0)
	s_barrier
	buffer_gl0_inv
	ds_load_b128 v[1:4], v144
	ds_load_b128 v[5:8], v144 offset:16
	v_cmp_eq_u32_e64 s3, 2, v141
	v_cmp_eq_u32_e64 s2, 1, v142
	;; [unrolled: 1-line block ×5, first 2 shown]
	s_waitcnt lgkmcnt(1)
	v_lshrrev_b32_e32 v10, 16, v1
	s_waitcnt lgkmcnt(0)
	v_lshrrev_b32_e32 v14, 16, v5
	v_lshrrev_b32_e32 v15, 16, v6
	;; [unrolled: 1-line block ×4, first 2 shown]
	v_cndmask_b32_e64 v20, v1, v10, s2
	v_cndmask_b32_e32 v19, v5, v14, vcc_lo
	v_cndmask_b32_e64 v21, v5, v14, s2
	v_lshrrev_b32_e32 v16, 16, v7
	v_cmp_eq_u32_e64 s2, 1, v140
	v_lshrrev_b32_e32 v13, 16, v4
	v_cndmask_b32_e64 v19, v19, v6, s3
	v_lshrrev_b32_e32 v17, 16, v8
	s_delay_alu instid0(VALU_DEP_4) | instskip(SKIP_1) | instid1(VALU_DEP_4)
	v_cndmask_b32_e64 v22, v1, v10, s2
	v_cndmask_b32_e64 v23, v5, v14, s2
	;; [unrolled: 1-line block ×3, first 2 shown]
	v_cndmask_b32_e32 v18, v1, v10, vcc_lo
	v_cmp_eq_u32_e32 vcc_lo, 2, v142
	v_cmp_eq_u32_e64 s2, 2, v145
	v_cndmask_b32_e64 v22, v22, v2, s6
	v_cndmask_b32_e32 v20, v20, v2, vcc_lo
	v_cndmask_b32_e32 v21, v21, v6, vcc_lo
	v_cmp_eq_u32_e32 vcc_lo, 4, v141
	v_cndmask_b32_e32 v19, v19, v7, vcc_lo
	v_cndmask_b32_e64 v18, v18, v2, s3
	v_cmp_eq_u32_e64 s3, 3, v142
	s_delay_alu instid0(VALU_DEP_2) | instskip(NEXT) | instid1(VALU_DEP_2)
	v_cndmask_b32_e64 v18, v18, v11, s4
	v_cndmask_b32_e64 v21, v21, v15, s3
	v_cmp_eq_u32_e64 s4, 5, v141
	s_delay_alu instid0(VALU_DEP_3) | instskip(SKIP_1) | instid1(VALU_DEP_3)
	v_cndmask_b32_e32 v18, v18, v3, vcc_lo
	v_cmp_eq_u32_e32 vcc_lo, 4, v142
	v_cndmask_b32_e64 v19, v19, v16, s4
	s_delay_alu instid0(VALU_DEP_3) | instskip(SKIP_4) | instid1(VALU_DEP_3)
	v_cndmask_b32_e64 v18, v18, v12, s4
	v_cndmask_b32_e32 v21, v21, v7, vcc_lo
	v_cndmask_b32_e64 v20, v20, v11, s3
	v_cmp_eq_u32_e64 s3, 5, v142
	v_cmp_eq_u32_e64 s4, 6, v141
	v_cndmask_b32_e32 v20, v20, v3, vcc_lo
	s_delay_alu instid0(VALU_DEP_3) | instskip(SKIP_1) | instid1(VALU_DEP_4)
	v_cndmask_b32_e64 v21, v21, v16, s3
	v_cmp_eq_u32_e32 vcc_lo, 6, v142
	v_cndmask_b32_e64 v18, v18, v4, s4
	v_cndmask_b32_e64 v19, v19, v8, s4
	;; [unrolled: 1-line block ×3, first 2 shown]
	v_cmp_eq_u32_e64 s3, 1, v145
	v_cmp_eq_u32_e64 s4, 7, v141
	s_delay_alu instid0(VALU_DEP_3) | instskip(NEXT) | instid1(VALU_DEP_3)
	v_cndmask_b32_e32 v20, v20, v4, vcc_lo
	v_cndmask_b32_e64 v1, v1, v10, s3
	v_cndmask_b32_e64 v5, v5, v14, s3
	v_cmp_eq_u32_e64 s3, 3, v140
	v_cndmask_b32_e64 v14, v23, v6, s6
	v_cmp_eq_u32_e64 s6, 3, v145
	v_cndmask_b32_e64 v1, v1, v2, s2
	v_cndmask_b32_e64 v2, v5, v6, s2
	;; [unrolled: 1-line block ×3, first 2 shown]
	v_cmp_eq_u32_e64 s2, 4, v140
	v_cndmask_b32_e64 v6, v14, v15, s3
	v_cndmask_b32_e64 v1, v1, v11, s6
	v_cmp_eq_u32_e64 s3, 4, v145
	v_cndmask_b32_e64 v2, v2, v15, s6
	v_cndmask_b32_e64 v5, v10, v3, s2
	;; [unrolled: 3-line block ×3, first 2 shown]
	v_cndmask_b32_e64 v2, v2, v7, s3
	v_cmp_eq_u32_e64 s2, 5, v145
	v_cndmask_b32_e64 v5, v5, v12, s6
	v_cmp_eq_u32_e64 s3, 6, v140
	;; [unrolled: 2-line block ×3, first 2 shown]
	v_cndmask_b32_e64 v1, v1, v12, s2
	v_cndmask_b32_e64 v2, v2, v16, s2
	v_cndmask_b32_e64 v5, v5, v4, s3
	v_cndmask_b32_e64 v3, v3, v8, s3
	v_cmp_eq_u32_e64 s2, 7, v145
	v_cndmask_b32_e64 v1, v1, v4, s6
	v_cndmask_b32_e64 v2, v2, v8, s6
	v_cmp_eq_u32_e64 s3, 7, v140
	v_cndmask_b32_e32 v4, v21, v8, vcc_lo
	v_cndmask_b32_e64 v18, v18, v13, s4
	v_cndmask_b32_e64 v20, v20, v13, s5
	;; [unrolled: 1-line block ×8, first 2 shown]
	s_mov_b32 s2, exec_lo
	v_perm_b32 v4, v2, v1, 0x5040100
	v_perm_b32 v3, v3, v5, 0x5040100
	;; [unrolled: 1-line block ×4, first 2 shown]
	ds_store_b128 v9, v[1:4]
	s_waitcnt lgkmcnt(0)
	s_barrier
	buffer_gl0_inv
	v_cmpx_gt_u32_e32 32, v0
	s_cbranch_execz .LBB677_2
; %bb.111:
	s_load_b64 s[0:1], s[0:1], 0x68
	s_lshl_b32 s4, s34, 7
	v_or_b32_e32 v2, s29, v138
	s_mul_i32 s2, s4, s30
	v_lshlrev_b32_e32 v1, 10, v0
	s_mul_i32 s2, s2, s7
	v_lshlrev_b32_e32 v3, 4, v139
	v_mul_lo_u32 v0, v2, s4
	s_ashr_i32 s3, s2, 31
	v_lshlrev_b32_e32 v4, 6, v138
	v_and_b32_e32 v1, 0x3800, v1
	v_or_b32_e32 v5, 2, v2
	s_lshl_b64 s[2:3], s[2:3], 1
	v_or_b32_e32 v6, 4, v2
	v_or_b32_e32 v7, 6, v2
	v_or3_b32 v12, v1, v3, v4
	v_ashrrev_i32_e32 v1, 31, v0
	v_mul_lo_u32 v2, v5, s4
	v_mul_lo_u32 v16, v6, s4
	;; [unrolled: 1-line block ×3, first 2 shown]
	s_waitcnt lgkmcnt(0)
	s_add_u32 s2, s0, s2
	s_addc_u32 s3, s1, s3
	s_lshl_b32 s0, s14, 7
	v_lshlrev_b64 v[0:1], 1, v[0:1]
	s_ashr_i32 s1, s0, 31
	v_ashrrev_i32_e32 v3, 31, v2
	s_lshl_b64 s[0:1], s[0:1], 1
	v_ashrrev_i32_e32 v17, 31, v16
	s_add_u32 s0, s2, s0
	s_addc_u32 s1, s3, s1
	v_add_co_u32 v24, s0, s0, v137
	s_delay_alu instid0(VALU_DEP_1) | instskip(SKIP_1) | instid1(VALU_DEP_3)
	v_add_co_ci_u32_e64 v25, null, s1, 0, s0
	v_lshlrev_b64 v[22:23], 1, v[2:3]
	v_add_co_u32 v18, vcc_lo, v24, v0
	s_delay_alu instid0(VALU_DEP_3)
	v_add_co_ci_u32_e32 v19, vcc_lo, v25, v1, vcc_lo
	ds_load_b128 v[0:3], v12
	ds_load_b128 v[4:7], v12 offset:128
	ds_load_b128 v[8:11], v12 offset:256
	;; [unrolled: 1-line block ×3, first 2 shown]
	v_ashrrev_i32_e32 v21, 31, v20
	v_lshlrev_b64 v[16:17], 1, v[16:17]
	v_add_co_u32 v22, vcc_lo, v24, v22
	v_add_co_ci_u32_e32 v23, vcc_lo, v25, v23, vcc_lo
	s_delay_alu instid0(VALU_DEP_4) | instskip(NEXT) | instid1(VALU_DEP_4)
	v_lshlrev_b64 v[20:21], 1, v[20:21]
	v_add_co_u32 v16, vcc_lo, v24, v16
	v_add_co_ci_u32_e32 v17, vcc_lo, v25, v17, vcc_lo
	s_delay_alu instid0(VALU_DEP_3) | instskip(NEXT) | instid1(VALU_DEP_4)
	v_add_co_u32 v20, vcc_lo, v24, v20
	v_add_co_ci_u32_e32 v21, vcc_lo, v25, v21, vcc_lo
	s_waitcnt lgkmcnt(3)
	global_store_b128 v[18:19], v[0:3], off
	s_waitcnt lgkmcnt(2)
	global_store_b128 v[22:23], v[4:7], off
	;; [unrolled: 2-line block ×4, first 2 shown]
	s_nop 0
	s_sendmsg sendmsg(MSG_DEALLOC_VGPRS)
	s_endpgm
	.section	.rodata,"a",@progbits
	.p2align	6, 0x0
	.amdhsa_kernel _Z39paged_attention_ll4mi_QKV_mfma16_kernelI14__hip_bfloat16S0_LN4vllm18Fp8KVCacheDataTypeE0ES0_Li16ELi128ELi256ELb0ELi8EL8MFMAType0EEvPKT_PKT0_S9_ifPKiSB_SB_iPKfiiiPfSE_PS4_PT2_iSD_SD_
		.amdhsa_group_segment_fixed_size 17472
		.amdhsa_private_segment_fixed_size 0
		.amdhsa_kernarg_size 400
		.amdhsa_user_sgpr_count 13
		.amdhsa_user_sgpr_dispatch_ptr 0
		.amdhsa_user_sgpr_queue_ptr 0
		.amdhsa_user_sgpr_kernarg_segment_ptr 1
		.amdhsa_user_sgpr_dispatch_id 0
		.amdhsa_user_sgpr_private_segment_size 0
		.amdhsa_wavefront_size32 1
		.amdhsa_uses_dynamic_stack 0
		.amdhsa_enable_private_segment 0
		.amdhsa_system_sgpr_workgroup_id_x 1
		.amdhsa_system_sgpr_workgroup_id_y 1
		.amdhsa_system_sgpr_workgroup_id_z 1
		.amdhsa_system_sgpr_workgroup_info 0
		.amdhsa_system_vgpr_workitem_id 0
		.amdhsa_next_free_vgpr 218
		.amdhsa_next_free_sgpr 50
		.amdhsa_reserve_vcc 1
		.amdhsa_float_round_mode_32 0
		.amdhsa_float_round_mode_16_64 0
		.amdhsa_float_denorm_mode_32 3
		.amdhsa_float_denorm_mode_16_64 3
		.amdhsa_dx10_clamp 1
		.amdhsa_ieee_mode 1
		.amdhsa_fp16_overflow 0
		.amdhsa_workgroup_processor_mode 1
		.amdhsa_memory_ordered 1
		.amdhsa_forward_progress 0
		.amdhsa_shared_vgpr_count 0
		.amdhsa_exception_fp_ieee_invalid_op 0
		.amdhsa_exception_fp_denorm_src 0
		.amdhsa_exception_fp_ieee_div_zero 0
		.amdhsa_exception_fp_ieee_overflow 0
		.amdhsa_exception_fp_ieee_underflow 0
		.amdhsa_exception_fp_ieee_inexact 0
		.amdhsa_exception_int_div_zero 0
	.end_amdhsa_kernel
	.section	.text._Z39paged_attention_ll4mi_QKV_mfma16_kernelI14__hip_bfloat16S0_LN4vllm18Fp8KVCacheDataTypeE0ES0_Li16ELi128ELi256ELb0ELi8EL8MFMAType0EEvPKT_PKT0_S9_ifPKiSB_SB_iPKfiiiPfSE_PS4_PT2_iSD_SD_,"axG",@progbits,_Z39paged_attention_ll4mi_QKV_mfma16_kernelI14__hip_bfloat16S0_LN4vllm18Fp8KVCacheDataTypeE0ES0_Li16ELi128ELi256ELb0ELi8EL8MFMAType0EEvPKT_PKT0_S9_ifPKiSB_SB_iPKfiiiPfSE_PS4_PT2_iSD_SD_,comdat
.Lfunc_end677:
	.size	_Z39paged_attention_ll4mi_QKV_mfma16_kernelI14__hip_bfloat16S0_LN4vllm18Fp8KVCacheDataTypeE0ES0_Li16ELi128ELi256ELb0ELi8EL8MFMAType0EEvPKT_PKT0_S9_ifPKiSB_SB_iPKfiiiPfSE_PS4_PT2_iSD_SD_, .Lfunc_end677-_Z39paged_attention_ll4mi_QKV_mfma16_kernelI14__hip_bfloat16S0_LN4vllm18Fp8KVCacheDataTypeE0ES0_Li16ELi128ELi256ELb0ELi8EL8MFMAType0EEvPKT_PKT0_S9_ifPKiSB_SB_iPKfiiiPfSE_PS4_PT2_iSD_SD_
                                        ; -- End function
	.section	.AMDGPU.csdata,"",@progbits
; Kernel info:
; codeLenInByte = 10276
; NumSgprs: 52
; NumVgprs: 218
; ScratchSize: 0
; MemoryBound: 0
; FloatMode: 240
; IeeeMode: 1
; LDSByteSize: 17472 bytes/workgroup (compile time only)
; SGPRBlocks: 6
; VGPRBlocks: 27
; NumSGPRsForWavesPerEU: 52
; NumVGPRsForWavesPerEU: 218
; Occupancy: 6
; WaveLimiterHint : 1
; COMPUTE_PGM_RSRC2:SCRATCH_EN: 0
; COMPUTE_PGM_RSRC2:USER_SGPR: 13
; COMPUTE_PGM_RSRC2:TRAP_HANDLER: 0
; COMPUTE_PGM_RSRC2:TGID_X_EN: 1
; COMPUTE_PGM_RSRC2:TGID_Y_EN: 1
; COMPUTE_PGM_RSRC2:TGID_Z_EN: 1
; COMPUTE_PGM_RSRC2:TIDIG_COMP_CNT: 0
	.section	.text._Z39paged_attention_ll4mi_QKV_mfma16_kernelI14__hip_bfloat16S0_LN4vllm18Fp8KVCacheDataTypeE0ES0_Li16ELi128ELi256ELb0ELi9EL8MFMAType0EEvPKT_PKT0_S9_ifPKiSB_SB_iPKfiiiPfSE_PS4_PT2_iSD_SD_,"axG",@progbits,_Z39paged_attention_ll4mi_QKV_mfma16_kernelI14__hip_bfloat16S0_LN4vllm18Fp8KVCacheDataTypeE0ES0_Li16ELi128ELi256ELb0ELi9EL8MFMAType0EEvPKT_PKT0_S9_ifPKiSB_SB_iPKfiiiPfSE_PS4_PT2_iSD_SD_,comdat
	.protected	_Z39paged_attention_ll4mi_QKV_mfma16_kernelI14__hip_bfloat16S0_LN4vllm18Fp8KVCacheDataTypeE0ES0_Li16ELi128ELi256ELb0ELi9EL8MFMAType0EEvPKT_PKT0_S9_ifPKiSB_SB_iPKfiiiPfSE_PS4_PT2_iSD_SD_ ; -- Begin function _Z39paged_attention_ll4mi_QKV_mfma16_kernelI14__hip_bfloat16S0_LN4vllm18Fp8KVCacheDataTypeE0ES0_Li16ELi128ELi256ELb0ELi9EL8MFMAType0EEvPKT_PKT0_S9_ifPKiSB_SB_iPKfiiiPfSE_PS4_PT2_iSD_SD_
	.globl	_Z39paged_attention_ll4mi_QKV_mfma16_kernelI14__hip_bfloat16S0_LN4vllm18Fp8KVCacheDataTypeE0ES0_Li16ELi128ELi256ELb0ELi9EL8MFMAType0EEvPKT_PKT0_S9_ifPKiSB_SB_iPKfiiiPfSE_PS4_PT2_iSD_SD_
	.p2align	8
	.type	_Z39paged_attention_ll4mi_QKV_mfma16_kernelI14__hip_bfloat16S0_LN4vllm18Fp8KVCacheDataTypeE0ES0_Li16ELi128ELi256ELb0ELi9EL8MFMAType0EEvPKT_PKT0_S9_ifPKiSB_SB_iPKfiiiPfSE_PS4_PT2_iSD_SD_,@function
_Z39paged_attention_ll4mi_QKV_mfma16_kernelI14__hip_bfloat16S0_LN4vllm18Fp8KVCacheDataTypeE0ES0_Li16ELi128ELi256ELb0ELi9EL8MFMAType0EEvPKT_PKT0_S9_ifPKiSB_SB_iPKfiiiPfSE_PS4_PT2_iSD_SD_: ; @_Z39paged_attention_ll4mi_QKV_mfma16_kernelI14__hip_bfloat16S0_LN4vllm18Fp8KVCacheDataTypeE0ES0_Li16ELi128ELi256ELb0ELi9EL8MFMAType0EEvPKT_PKT0_S9_ifPKiSB_SB_iPKfiiiPfSE_PS4_PT2_iSD_SD_
; %bb.0:
	s_load_b64 s[4:5], s[0:1], 0x30
	s_mov_b32 s30, s13
	s_waitcnt lgkmcnt(0)
	s_cmp_lg_u64 s[4:5], 0
	s_cselect_b32 s8, -1, 0
	s_ashr_i32 s31, s13, 31
	s_cmp_eq_u64 s[4:5], 0
	s_cbranch_scc1 .LBB678_3
; %bb.1:
	s_lshl_b64 s[2:3], s[30:31], 2
	s_delay_alu instid0(SALU_CYCLE_1) | instskip(SKIP_4) | instid1(SALU_CYCLE_1)
	s_add_u32 s2, s4, s2
	s_addc_u32 s3, s5, s3
	s_load_b64 s[2:3], s[2:3], 0x0
	s_waitcnt lgkmcnt(0)
	s_sub_i32 s2, s3, s2
	s_cmp_eq_u32 s2, 1
	s_cselect_b32 s2, -1, 0
	s_delay_alu instid0(SALU_CYCLE_1)
	s_and_not1_b32 vcc_lo, exec_lo, s2
	s_cbranch_vccz .LBB678_4
.LBB678_2:
	s_nop 0
	s_sendmsg sendmsg(MSG_DEALLOC_VGPRS)
	s_endpgm
.LBB678_3:
.LBB678_4:
	s_load_b64 s[2:3], s[0:1], 0x28
	s_lshl_b64 s[6:7], s[30:31], 2
	s_waitcnt lgkmcnt(0)
	s_add_u32 s2, s2, s6
	s_addc_u32 s3, s3, s7
	s_lshl_b32 s29, s14, 8
	s_load_b32 s28, s[2:3], 0x0
	s_waitcnt lgkmcnt(0)
	s_cmp_ge_i32 s29, s28
	s_cbranch_scc1 .LBB678_2
; %bb.5:
	s_clause 0x1
	s_load_b128 s[20:23], s[0:1], 0x8
	s_load_b64 s[2:3], s[0:1], 0x20
	s_and_not1_b32 vcc_lo, exec_lo, s8
	s_cbranch_vccnz .LBB678_7
; %bb.6:
	s_add_u32 s4, s4, s6
	s_addc_u32 s5, s5, s7
	s_load_b32 s5, s[4:5], 0x0
	s_branch .LBB678_8
.LBB678_7:
	s_mov_b32 s5, s30
.LBB678_8:
	s_load_b128 s[16:19], s[0:1], 0x48
	v_and_b32_e32 v140, 15, v0
	v_lshrrev_b32_e32 v141, 5, v0
	v_bfe_u32 v138, v0, 4, 1
	v_and_b32_e32 v142, 31, v0
	v_and_b32_e32 v139, 1, v0
	v_lshlrev_b32_e32 v2, 3, v140
	s_mul_i32 s31, s15, 9
	v_lshl_or_b32 v1, v141, 1, v138
	s_mov_b32 s4, exec_lo
	s_delay_alu instid0(VALU_DEP_2) | instskip(NEXT) | instid1(VALU_DEP_2)
	v_lshlrev_b32_e32 v137, 1, v2
	v_cmpx_gt_u32_e32 9, v1
	s_cbranch_execz .LBB678_10
; %bb.9:
	s_load_b64 s[6:7], s[0:1], 0x0
	v_add_lshl_u32 v2, v1, s31, 7
	s_waitcnt lgkmcnt(0)
	s_mul_hi_i32 s9, s5, s16
	s_mul_i32 s8, s5, s16
	v_lshlrev_b32_e32 v6, 10, v140
	s_lshl_b64 s[8:9], s[8:9], 1
	v_ashrrev_i32_e32 v3, 31, v2
	v_lshlrev_b32_e32 v1, 6, v1
	v_lshlrev_b32_e32 v7, 10, v139
	v_and_b32_e32 v6, 0x3800, v6
	s_delay_alu instid0(VALU_DEP_4) | instskip(NEXT) | instid1(VALU_DEP_2)
	v_lshlrev_b64 v[2:3], 1, v[2:3]
	v_or3_b32 v1, v6, v7, v1
	s_add_u32 s5, s6, s8
	s_addc_u32 s6, s7, s9
	s_delay_alu instid0(VALU_DEP_2) | instskip(NEXT) | instid1(VALU_DEP_3)
	v_add_co_u32 v2, vcc_lo, s5, v2
	v_add_co_ci_u32_e32 v3, vcc_lo, s6, v3, vcc_lo
	s_delay_alu instid0(VALU_DEP_2) | instskip(NEXT) | instid1(VALU_DEP_2)
	v_add_co_u32 v2, vcc_lo, v2, v137
	v_add_co_ci_u32_e32 v3, vcc_lo, 0, v3, vcc_lo
	global_load_b128 v[2:5], v[2:3], off
	s_waitcnt vmcnt(0)
	ds_store_b128 v1, v[2:5]
.LBB678_10:
	s_or_b32 exec_lo, exec_lo, s4
	v_and_b32_e32 v1, 0xef, v0
	s_waitcnt lgkmcnt(0)
	s_add_i32 s5, s28, 15
	s_clause 0x1
	s_load_b32 s4, s[0:1], 0x38
	s_load_b32 s33, s[0:1], 0x1c
	s_ashr_i32 s6, s5, 31
	v_add_nc_u32_e32 v1, s29, v1
	s_lshr_b32 s6, s6, 28
	s_waitcnt lgkmcnt(0)
	s_add_i32 s5, s5, s6
	s_barrier
	v_ashrrev_i32_e32 v2, 31, v1
	v_cmp_gt_i32_e32 vcc_lo, s28, v1
	s_ashr_i32 s16, s5, 4
	buffer_gl0_inv
	s_add_i32 s16, s16, -1
	v_lshrrev_b32_e32 v3, 28, v2
	v_or_b32_e32 v2, 16, v1
	v_add_nc_u32_e32 v105, -9, v140
	v_lshlrev_b32_e32 v106, 5, v140
	s_delay_alu instid0(VALU_DEP_4) | instskip(NEXT) | instid1(VALU_DEP_4)
	v_add_nc_u32_e32 v4, v1, v3
	v_add_nc_u32_e32 v3, v2, v3
	s_mul_i32 s4, s30, s4
	s_delay_alu instid0(VALU_DEP_3) | instskip(SKIP_4) | instid1(SALU_CYCLE_1)
	v_lshl_or_b32 v125, v141, 9, v106
	s_ashr_i32 s5, s4, 31
	v_ashrrev_i32_e32 v4, 4, v4
	v_ashrrev_i32_e32 v3, 4, v3
	s_lshl_b64 s[4:5], s[4:5], 2
	s_add_u32 s34, s2, s4
	s_delay_alu instid0(VALU_DEP_2) | instskip(SKIP_3) | instid1(VALU_DEP_2)
	v_cndmask_b32_e32 v1, s16, v4, vcc_lo
	v_cmp_gt_i32_e32 vcc_lo, s28, v2
	s_addc_u32 s35, s3, s5
	s_mul_i32 s2, s15, s18
	v_ashrrev_i32_e32 v2, 31, v1
	v_cndmask_b32_e32 v3, s16, v3, vcc_lo
	s_ashr_i32 s3, s2, 31
	s_delay_alu instid0(SALU_CYCLE_1) | instskip(NEXT) | instid1(VALU_DEP_2)
	s_lshl_b64 s[2:3], s[2:3], 1
	v_lshlrev_b64 v[1:2], 2, v[1:2]
	s_delay_alu instid0(VALU_DEP_2) | instskip(SKIP_3) | instid1(VALU_DEP_1)
	v_ashrrev_i32_e32 v4, 31, v3
	s_add_u32 s24, s20, s2
	s_addc_u32 s25, s21, s3
	s_lshl_b32 s4, s14, 4
	v_lshlrev_b64 v[3:4], 2, v[3:4]
	v_add_co_u32 v1, vcc_lo, s34, v1
	v_add_co_ci_u32_e32 v2, vcc_lo, s35, v2, vcc_lo
	s_ashr_i32 s5, s4, 31
	s_delay_alu instid0(VALU_DEP_3) | instskip(NEXT) | instid1(VALU_DEP_4)
	v_add_co_u32 v3, vcc_lo, s34, v3
	v_add_co_ci_u32_e32 v4, vcc_lo, s35, v4, vcc_lo
	s_lshl_b64 s[4:5], s[4:5], 2
	s_clause 0x1
	global_load_b32 v5, v[1:2], off
	global_load_b32 v6, v[3:4], off
	s_add_u32 s4, s34, s4
	s_addc_u32 s5, s35, s5
	s_or_b32 s6, s29, 16
	v_lshlrev_b32_e32 v3, 4, v0
	s_ashr_i32 s7, s6, 4
	s_cmp_lt_i32 s6, s28
	s_cselect_b32 s6, s7, s16
	s_delay_alu instid0(SALU_CYCLE_1) | instskip(NEXT) | instid1(SALU_CYCLE_1)
	s_ashr_i32 s7, s6, 31
	s_lshl_b64 s[6:7], s[6:7], 2
	s_delay_alu instid0(SALU_CYCLE_1) | instskip(SKIP_2) | instid1(SALU_CYCLE_1)
	s_add_u32 s6, s34, s6
	s_addc_u32 s7, s35, s7
	s_or_b32 s8, s29, 32
	s_ashr_i32 s9, s8, 4
	s_cmp_lt_i32 s8, s28
	s_cselect_b32 s8, s9, s16
	s_delay_alu instid0(SALU_CYCLE_1) | instskip(NEXT) | instid1(SALU_CYCLE_1)
	s_ashr_i32 s9, s8, 31
	s_lshl_b64 s[8:9], s[8:9], 2
	s_delay_alu instid0(SALU_CYCLE_1) | instskip(SKIP_2) | instid1(SALU_CYCLE_1)
	s_add_u32 s8, s34, s8
	s_addc_u32 s9, s35, s9
	s_or_b32 s10, s29, 48
	;; [unrolled: 10-line block ×4, first 2 shown]
	s_ashr_i32 s13, s12, 4
	s_cmp_lt_i32 s12, s28
	s_cselect_b32 s12, s13, s16
	s_delay_alu instid0(SALU_CYCLE_1) | instskip(NEXT) | instid1(SALU_CYCLE_1)
	s_ashr_i32 s13, s12, 31
	s_lshl_b64 s[12:13], s[12:13], 2
	s_delay_alu instid0(SALU_CYCLE_1)
	s_add_u32 s20, s34, s12
	s_addc_u32 s21, s35, s13
	s_clause 0x5
	s_load_b32 s36, s[4:5], 0x0
	s_load_b32 s27, s[6:7], 0x0
	;; [unrolled: 1-line block ×6, first 2 shown]
	s_waitcnt vmcnt(1)
	v_mad_i64_i32 v[1:2], null, v5, s17, 0
	v_and_b32_e32 v5, 0xf0, v3
	s_waitcnt vmcnt(0)
	v_mad_i64_i32 v[3:4], null, v6, s17, 0
	s_delay_alu instid0(VALU_DEP_2) | instskip(NEXT) | instid1(VALU_DEP_4)
	v_add_co_u32 v5, s4, s24, v5
	v_lshlrev_b64 v[1:2], 1, v[1:2]
	v_add_co_ci_u32_e64 v6, null, s25, 0, s4
	s_delay_alu instid0(VALU_DEP_4) | instskip(SKIP_1) | instid1(VALU_DEP_3)
	v_lshlrev_b64 v[3:4], 1, v[3:4]
	s_or_b32 s4, s29, 0x60
	v_add_co_u32 v121, vcc_lo, v5, v1
	s_delay_alu instid0(VALU_DEP_3) | instskip(NEXT) | instid1(VALU_DEP_3)
	v_add_co_ci_u32_e32 v122, vcc_lo, v6, v2, vcc_lo
	v_add_co_u32 v123, vcc_lo, v5, v3
	s_delay_alu instid0(VALU_DEP_4)
	v_add_co_ci_u32_e32 v124, vcc_lo, v6, v4, vcc_lo
	s_clause 0x19
	global_load_b128 v[89:92], v[121:122], off
	global_load_b128 v[93:96], v[121:122], off offset:256
	global_load_b128 v[97:100], v[123:124], off
	global_load_b128 v[101:104], v[123:124], off offset:256
	global_load_b128 v[81:84], v[121:122], off offset:512
	;; [unrolled: 1-line block ×23, first 2 shown]
	s_ashr_i32 s5, s4, 4
	s_cmp_lt_i32 s4, s28
	v_cmp_gt_u32_e32 vcc_lo, 9, v140
	s_cselect_b32 s4, s5, s16
	s_delay_alu instid0(SALU_CYCLE_1) | instskip(NEXT) | instid1(SALU_CYCLE_1)
	s_ashr_i32 s5, s4, 31
	s_lshl_b64 s[4:5], s[4:5], 2
	v_cndmask_b32_e32 v105, v105, v140, vcc_lo
	s_add_u32 s18, s34, s4
	s_addc_u32 s19, s35, s5
	s_or_b32 s4, s29, 0x70
	s_delay_alu instid0(SALU_CYCLE_1)
	s_ashr_i32 s5, s4, 4
	s_cmp_lt_i32 s4, s28
	v_lshlrev_b32_e32 v215, 6, v105
	s_cselect_b32 s6, s5, s16
	ds_load_b128 v[105:108], v215
	ds_load_b128 v[109:112], v215 offset:1024
	s_ashr_i32 s7, s6, 31
	ds_load_b128 v[113:116], v215 offset:2048
	ds_load_b128 v[117:120], v215 offset:3072
	;; [unrolled: 1-line block ×8, first 2 shown]
	s_clause 0x1
	global_load_b128 v[167:170], v[123:124], off offset:3072
	global_load_b128 v[171:174], v[123:124], off offset:3328
	s_lshl_b64 s[6:7], s[6:7], 2
	s_mov_b32 s4, 0
	s_add_u32 s20, s34, s6
	s_addc_u32 s21, s35, s7
	s_clause 0x1
	s_load_b32 s42, s[18:19], 0x0
	s_load_b32 s43, s[20:21], 0x0
	s_clause 0x3
	global_load_b128 v[175:178], v[121:122], off offset:3584
	global_load_b128 v[179:182], v[121:122], off offset:3840
	;; [unrolled: 1-line block ×4, first 2 shown]
	s_or_b32 s7, s29, 0x80
	s_mov_b32 s5, s4
	s_ashr_i32 s8, s7, 4
	s_cmp_lt_i32 s7, s28
	s_mov_b32 s6, s4
	s_cselect_b32 s10, s8, s16
	s_mov_b32 s7, s4
	s_ashr_i32 s11, s10, 31
	s_mov_b32 s8, s4
	s_lshl_b64 s[24:25], s[10:11], 2
	s_mov_b32 s9, s4
	s_add_u32 s24, s34, s24
	s_addc_u32 s25, s35, s25
	s_or_b32 s11, s29, 0x90
	s_mov_b32 s10, s4
	s_ashr_i32 s37, s11, 4
	s_cmp_lt_i32 s11, s28
	s_mov_b32 s11, s4
	s_cselect_b32 s38, s37, s16
	v_mov_b32_e32 v136, s11
	s_ashr_i32 s39, s38, 31
	v_dual_mov_b32 v135, s10 :: v_dual_mov_b32 v134, s9
	v_dual_mov_b32 v133, s8 :: v_dual_mov_b32 v132, s7
	;; [unrolled: 1-line block ×3, first 2 shown]
	v_mov_b32_e32 v129, s4
	s_lshl_b64 s[4:5], s[38:39], 2
	s_waitcnt lgkmcnt(0)
	s_mul_hi_i32 s7, s27, s17
	s_add_u32 s38, s34, s4
	s_addc_u32 s39, s35, s5
	s_or_b32 s4, s29, 0xa0
	s_load_b32 s39, s[38:39], 0x0
	s_ashr_i32 s5, s4, 4
	s_cmp_lt_i32 s4, s28
	s_cselect_b32 s4, s5, s16
	s_delay_alu instid0(SALU_CYCLE_1) | instskip(NEXT) | instid1(SALU_CYCLE_1)
	s_ashr_i32 s5, s4, 31
	s_lshl_b64 s[4:5], s[4:5], 2
	s_delay_alu instid0(SALU_CYCLE_1)
	s_add_u32 s40, s34, s4
	s_addc_u32 s41, s35, s5
	s_or_b32 s4, s29, 0xb0
	s_mul_hi_i32 s5, s36, s17
	s_ashr_i32 s6, s4, 4
	s_cmp_lt_i32 s4, s28
	s_mul_i32 s4, s36, s17
	s_cselect_b32 s8, s6, s16
	s_mul_i32 s6, s27, s17
	s_ashr_i32 s9, s8, 31
	s_load_b32 s38, s[40:41], 0x0
	s_lshl_b64 s[10:11], s[8:9], 2
	s_mul_hi_i32 s9, s26, s17
	s_add_u32 s36, s34, s10
	s_addc_u32 s37, s35, s11
	s_or_b32 s10, s29, 0xc0
	s_mul_i32 s8, s26, s17
	s_ashr_i32 s26, s10, 4
	s_cmp_lt_i32 s10, s28
	s_mul_hi_i32 s11, s13, s17
	s_cselect_b32 s26, s26, s16
	s_mul_i32 s10, s13, s17
	s_ashr_i32 s27, s26, 31
	s_mul_hi_i32 s13, s12, s17
	s_lshl_b64 s[26:27], s[26:27], 2
	s_mul_i32 s12, s12, s17
	s_add_u32 s20, s34, s26
	s_addc_u32 s21, s35, s27
	s_or_b32 s18, s29, 0xd0
	s_load_b32 s26, s[24:25], 0x0
	s_ashr_i32 s19, s18, 4
	s_cmp_lt_i32 s18, s28
	s_mul_i32 s18, s15, s17
	s_cselect_b32 s24, s19, s16
	s_mul_hi_i32 s19, s15, s17
	s_ashr_i32 s25, s24, 31
	s_waitcnt lgkmcnt(0)
	s_mul_hi_i32 s41, s39, s17
	s_lshl_b64 s[24:25], s[24:25], 2
	s_delay_alu instid0(SALU_CYCLE_1)
	s_add_u32 s24, s34, s24
	s_addc_u32 s25, s35, s25
	s_or_b32 s40, s29, 0xe0
	s_clause 0x2
	s_load_b32 s37, s[36:37], 0x0
	s_load_b32 s36, s[20:21], 0x0
	;; [unrolled: 1-line block ×3, first 2 shown]
	s_ashr_i32 s44, s40, 4
	s_cmp_lt_i32 s40, s28
	s_mul_hi_i32 s21, s42, s17
	s_mul_i32 s20, s42, s17
	s_cselect_b32 s42, s44, s16
	s_mul_hi_i32 s25, s43, s17
	s_mul_i32 s24, s43, s17
	s_ashr_i32 s43, s42, 31
	s_mul_hi_i32 s27, s26, s17
	s_lshl_b64 s[42:43], s[42:43], 2
	s_mul_i32 s26, s26, s17
	s_add_u32 s42, s34, s42
	s_addc_u32 s43, s35, s43
	s_or_b32 s44, s29, 0xf0
	s_mul_i32 s40, s39, s17
	s_ashr_i32 s46, s44, 4
	s_cmp_lt_i32 s44, s28
	s_mul_hi_i32 s39, s38, s17
	s_cselect_b32 s46, s46, s16
	s_waitcnt lgkmcnt(0)
	s_mul_hi_i32 s49, s15, s17
	s_ashr_i32 s47, s46, 31
	s_mul_i32 s48, s15, s17
	s_lshl_b64 s[46:47], s[46:47], 2
	s_mul_i32 s38, s38, s17
	s_add_u32 s34, s34, s46
	s_addc_u32 s35, s35, s47
	s_add_u32 s15, s22, s2
	s_addc_u32 s16, s23, s3
	v_add_co_u32 v216, s15, s15, v125
	s_delay_alu instid0(VALU_DEP_1) | instskip(SKIP_2) | instid1(VALU_DEP_2)
	v_add_co_ci_u32_e64 v217, null, s16, 0, s15
	s_lshl_b64 s[2:3], s[4:5], 1
	s_lshl_b64 s[4:5], s[6:7], 1
	v_add_co_u32 v125, vcc_lo, v216, s2
	s_delay_alu instid0(VALU_DEP_2)
	v_add_co_ci_u32_e32 v126, vcc_lo, s3, v217, vcc_lo
	v_add_co_u32 v199, vcc_lo, v216, s4
	s_lshl_b64 s[6:7], s[8:9], 1
	v_add_co_ci_u32_e32 v200, vcc_lo, s5, v217, vcc_lo
	s_lshl_b64 s[8:9], s[10:11], 1
	s_lshl_b64 s[10:11], s[12:13], 1
	;; [unrolled: 1-line block ×8, first 2 shown]
	s_mul_hi_i32 s45, s37, s17
	s_mul_i32 s44, s37, s17
	s_mul_hi_i32 s37, s36, s17
	s_lshl_b64 s[38:39], s[44:45], 1
	s_mul_i32 s36, s36, s17
	s_clause 0x1
	s_load_b32 s15, s[42:43], 0x0
	s_load_b32 s16, s[34:35], 0x0
	s_lshl_b64 s[36:37], s[36:37], 1
	s_lshl_b64 s[40:41], s[48:49], 1
	s_waitcnt lgkmcnt(0)
	s_mul_hi_i32 s3, s15, s17
	s_mul_i32 s2, s15, s17
	s_mul_hi_i32 s5, s16, s17
	s_lshl_b64 s[2:3], s[2:3], 1
	s_mul_i32 s4, s16, s17
	s_waitcnt vmcnt(30)
	v_wmma_f32_16x16x16_bf16 v[191:198], v[89:96], v[105:112], v[129:136]
	v_add_co_u32 v89, vcc_lo, v216, s6
	v_add_co_ci_u32_e32 v90, vcc_lo, s7, v217, vcc_lo
	v_add_co_u32 v91, vcc_lo, v216, s8
	v_add_co_ci_u32_e32 v92, vcc_lo, s9, v217, vcc_lo
	v_add_co_u32 v93, vcc_lo, v216, s10
	v_add_co_ci_u32_e32 v94, vcc_lo, s11, v217, vcc_lo
	v_add_co_u32 v201, vcc_lo, v216, s12
	v_add_co_ci_u32_e32 v202, vcc_lo, s13, v217, vcc_lo
	v_add_co_u32 v203, vcc_lo, v216, s18
	v_add_co_ci_u32_e32 v204, vcc_lo, s19, v217, vcc_lo
	v_add_co_u32 v205, vcc_lo, v216, s20
	s_waitcnt vmcnt(28)
	v_wmma_f32_16x16x16_bf16 v[129:136], v[97:104], v[105:112], v[129:136]
	v_add_co_ci_u32_e32 v206, vcc_lo, s21, v217, vcc_lo
	v_add_co_u32 v207, vcc_lo, v216, s22
	v_add_co_ci_u32_e32 v208, vcc_lo, s23, v217, vcc_lo
	v_add_co_u32 v209, vcc_lo, v216, s24
	s_waitcnt vmcnt(26)
	v_wmma_f32_16x16x16_bf16 v[191:198], v[81:88], v[113:120], v[191:198]
	s_waitcnt vmcnt(24)
	v_wmma_f32_16x16x16_bf16 v[129:136], v[73:80], v[113:120], v[129:136]
	v_add_co_ci_u32_e32 v210, vcc_lo, s25, v217, vcc_lo
	v_add_co_u32 v211, vcc_lo, v216, s26
	v_add_co_ci_u32_e32 v212, vcc_lo, s27, v217, vcc_lo
	v_add_co_u32 v213, vcc_lo, v216, s38
	s_waitcnt vmcnt(22)
	v_wmma_f32_16x16x16_bf16 v[191:198], v[65:72], v[143:150], v[191:198]
	s_waitcnt vmcnt(20)
	v_wmma_f32_16x16x16_bf16 v[129:136], v[57:64], v[143:150], v[129:136]
	v_add_co_ci_u32_e32 v214, vcc_lo, s39, v217, vcc_lo
	v_add_co_u32 v143, vcc_lo, v216, s36
	s_waitcnt vmcnt(18)
	v_wmma_f32_16x16x16_bf16 v[191:198], v[49:56], v[151:158], v[191:198]
	s_waitcnt vmcnt(16)
	v_wmma_f32_16x16x16_bf16 v[129:136], v[41:48], v[151:158], v[129:136]
	v_add_co_ci_u32_e32 v144, vcc_lo, s37, v217, vcc_lo
	s_clause 0x15
	global_load_b128 v[121:124], v[125:126], off
	global_load_b128 v[125:128], v[125:126], off offset:16
	global_load_b128 v[113:116], v[199:200], off
	global_load_b128 v[117:120], v[199:200], off offset:16
	;; [unrolled: 2-line block ×11, first 2 shown]
	s_waitcnt vmcnt(36)
	v_wmma_f32_16x16x16_bf16 v[191:198], v[17:24], v[159:166], v[191:198]
	s_clause 0x1
	global_load_b128 v[17:20], v[213:214], off
	global_load_b128 v[21:24], v[213:214], off offset:16
	s_waitcnt vmcnt(36)
	v_wmma_f32_16x16x16_bf16 v[129:136], v[1:8], v[159:166], v[129:136]
	s_clause 0x1
	global_load_b128 v[1:4], v[143:144], off
	global_load_b128 v[5:8], v[143:144], off offset:16
	ds_load_b128 v[143:146], v215 offset:10240
	ds_load_b128 v[147:150], v215 offset:11264
	;; [unrolled: 1-line block ×4, first 2 shown]
	v_add_co_u32 v199, vcc_lo, v216, s40
	v_add_co_ci_u32_e32 v200, vcc_lo, s41, v217, vcc_lo
	v_add_co_u32 v159, vcc_lo, v216, s2
	v_add_co_ci_u32_e32 v160, vcc_lo, s3, v217, vcc_lo
	s_lshl_b64 s[2:3], s[4:5], 1
	s_delay_alu instid0(SALU_CYCLE_1)
	v_add_co_u32 v161, vcc_lo, v216, s2
	v_add_co_ci_u32_e32 v162, vcc_lo, s3, v217, vcc_lo
	s_waitcnt vmcnt(36) lgkmcnt(2)
	v_wmma_f32_16x16x16_bf16 v[191:198], v[25:32], v[143:150], v[191:198]
	s_waitcnt vmcnt(34)
	v_wmma_f32_16x16x16_bf16 v[129:136], v[33:40], v[143:150], v[129:136]
	s_clause 0x3
	global_load_b128 v[25:28], v[199:200], off
	global_load_b128 v[29:32], v[199:200], off offset:16
	global_load_b128 v[33:36], v[159:160], off
	global_load_b128 v[37:40], v[159:160], off offset:16
	v_and_b32_e32 v143, 0xe0, v0
	v_mbcnt_lo_u32_b32 v159, -1, 0
	s_waitcnt vmcnt(36) lgkmcnt(0)
	v_wmma_f32_16x16x16_bf16 v[191:198], v[9:16], v[151:158], v[191:198]
	s_clause 0x1
	global_load_b128 v[9:12], v[161:162], off
	global_load_b128 v[13:16], v[161:162], off offset:16
	s_waitcnt vmcnt(36)
	v_wmma_f32_16x16x16_bf16 v[129:136], v[167:174], v[151:158], v[129:136]
	v_add_nc_u32_e32 v160, s29, v143
	ds_load_b128 v[143:146], v215 offset:14336
	ds_load_b128 v[147:150], v215 offset:15360
	v_xor_b32_e32 v151, 16, v159
	s_waitcnt vmcnt(0) lgkmcnt(0)
	s_barrier
	v_or_b32_e32 v152, v160, v138
	buffer_gl0_inv
	v_cmp_gt_i32_e32 vcc_lo, 32, v151
	v_or_b32_e32 v153, 2, v152
	v_or_b32_e32 v154, 4, v152
	;; [unrolled: 1-line block ×5, first 2 shown]
	v_cmp_gt_i32_e64 s2, s28, v153
	v_cmp_gt_i32_e64 s3, s28, v154
	;; [unrolled: 1-line block ×3, first 2 shown]
	v_or_b32_e32 v158, 12, v152
	v_cmp_gt_i32_e64 s5, s28, v156
	v_cmp_gt_i32_e64 s6, s28, v157
	v_wmma_f32_16x16x16_bf16 v[191:198], v[175:182], v[143:150], v[191:198]
	v_wmma_f32_16x16x16_bf16 v[129:136], v[183:190], v[143:150], v[129:136]
	v_cndmask_b32_e32 v151, v159, v151, vcc_lo
	v_cmp_gt_i32_e32 vcc_lo, s28, v152
	v_or_b32_e32 v159, 14, v152
	v_dual_mul_f32 v149, s33, v192 :: v_dual_mul_f32 v150, s33, v191
	v_dual_mul_f32 v147, s33, v194 :: v_dual_mul_f32 v148, s33, v193
	v_mul_f32_e32 v145, s33, v196
	s_delay_alu instid0(VALU_DEP_3) | instskip(NEXT) | instid1(VALU_DEP_4)
	v_cndmask_b32_e64 v149, 0xff7fffff, v149, s2
	v_cndmask_b32_e32 v150, 0xff7fffff, v150, vcc_lo
	v_mul_f32_e32 v146, s33, v195
	v_cndmask_b32_e64 v148, 0xff7fffff, v148, s3
	v_cndmask_b32_e64 v147, 0xff7fffff, v147, s4
	v_or_b32_e32 v160, 16, v152
	v_max3_f32 v149, v150, 0xff7fffff, v149
	v_or_b32_e32 v161, 18, v152
	v_dual_mul_f32 v143, s33, v198 :: v_dual_mul_f32 v144, s33, v197
	v_cndmask_b32_e64 v146, 0xff7fffff, v146, s5
	v_cndmask_b32_e64 v145, 0xff7fffff, v145, s6
	v_max3_f32 v147, v149, v148, v147
	v_cmp_gt_i32_e64 s7, s28, v158
	v_cmp_gt_i32_e64 s8, s28, v159
	v_or_b32_e32 v162, 20, v152
	v_or_b32_e32 v163, 22, v152
	v_dual_mul_f32 v174, s33, v130 :: v_dual_mul_f32 v175, s33, v129
	v_cndmask_b32_e64 v144, 0xff7fffff, v144, s7
	v_cndmask_b32_e64 v143, 0xff7fffff, v143, s8
	v_max3_f32 v145, v147, v146, v145
	v_cmp_gt_i32_e64 s9, s28, v160
	v_cmp_gt_i32_e64 s10, s28, v161
	v_or_b32_e32 v164, 24, v152
	;; [unrolled: 8-line block ×3, first 2 shown]
	v_or_b32_e32 v167, 30, v152
	v_dual_mul_f32 v170, s33, v134 :: v_dual_mul_f32 v171, s33, v133
	v_cndmask_b32_e64 v144, 0xff7fffff, v173, s11
	v_cndmask_b32_e64 v145, 0xff7fffff, v172, s12
	v_max3_f32 v143, v143, v146, v147
	v_cmp_gt_i32_e64 s13, s28, v164
	v_cmp_gt_i32_e64 s15, s28, v165
	v_dual_mul_f32 v168, s33, v136 :: v_dual_mul_f32 v169, s33, v135
	s_delay_alu instid0(VALU_DEP_4) | instskip(NEXT) | instid1(VALU_DEP_4)
	v_max3_f32 v143, v143, v144, v145
	v_cndmask_b32_e64 v146, 0xff7fffff, v171, s13
	s_delay_alu instid0(VALU_DEP_4) | instskip(SKIP_3) | instid1(VALU_DEP_4)
	v_cndmask_b32_e64 v147, 0xff7fffff, v170, s15
	v_cmp_gt_i32_e64 s16, s28, v166
	v_cmp_gt_i32_e64 s17, s28, v167
	v_lshlrev_b32_e32 v154, 2, v151
	v_max3_f32 v143, v143, v146, v147
	s_delay_alu instid0(VALU_DEP_4) | instskip(NEXT) | instid1(VALU_DEP_4)
	v_cndmask_b32_e64 v144, 0xff7fffff, v169, s16
	v_cndmask_b32_e64 v145, 0xff7fffff, v168, s17
	s_delay_alu instid0(VALU_DEP_1) | instskip(SKIP_3) | instid1(VALU_DEP_1)
	v_max3_f32 v143, v143, v144, v145
	ds_bpermute_b32 v144, v154, v143
	s_waitcnt lgkmcnt(0)
	v_max_f32_e32 v144, v144, v144
	v_max_f32_e32 v153, v143, v144
	s_delay_alu instid0(VALU_DEP_1) | instskip(SKIP_4) | instid1(VALU_DEP_4)
	v_fma_f32 v143, s33, v191, -v153
	v_fma_f32 v144, s33, v192, -v153
	;; [unrolled: 1-line block ×5, first 2 shown]
	v_dual_mul_f32 v143, 0x3fb8aa3b, v143 :: v_dual_mul_f32 v144, 0x3fb8aa3b, v144
	s_delay_alu instid0(VALU_DEP_4) | instskip(SKIP_2) | instid1(VALU_DEP_4)
	v_mul_f32_e32 v132, 0x3fb8aa3b, v132
	v_fma_f32 v134, s33, v134, -v153
	v_mul_f32_e32 v145, 0x3fb8aa3b, v145
	v_exp_f32_e32 v143, v143
	v_exp_f32_e32 v147, v144
	v_fma_f32 v148, s33, v195, -v153
	v_mul_f32_e32 v134, 0x3fb8aa3b, v134
	v_mul_f32_e32 v146, 0x3fb8aa3b, v146
	v_exp_f32_e32 v145, v145
	v_fma_f32 v151, s33, v197, -v153
	v_mul_f32_e32 v148, 0x3fb8aa3b, v148
	v_fma_f32 v129, s33, v129, -v153
	v_exp_f32_e32 v149, v146
	v_cndmask_b32_e32 v144, 0, v143, vcc_lo
	v_fma_f32 v143, s33, v196, -v153
	v_cndmask_b32_e64 v146, 0, v147, s2
	v_exp_f32_e32 v148, v148
	s_delay_alu instid0(VALU_DEP_3) | instskip(NEXT) | instid1(VALU_DEP_3)
	v_dual_mul_f32 v151, 0x3fb8aa3b, v151 :: v_dual_add_f32 v150, 0, v144
	v_mul_f32_e32 v143, 0x3fb8aa3b, v143
	v_cndmask_b32_e64 v147, 0, v145, s3
	v_fma_f32 v130, s33, v130, -v153
	s_delay_alu instid0(TRANS32_DEP_2)
	v_cndmask_b32_e64 v149, 0, v149, s4
	v_add_f32_e32 v145, v150, v146
	v_fma_f32 v150, s33, v198, -v153
	v_exp_f32_e32 v143, v143
	v_exp_f32_e32 v155, v151
	v_mul_f32_e32 v129, 0x3fb8aa3b, v129
	s_delay_alu instid0(VALU_DEP_2) | instskip(SKIP_2) | instid1(VALU_DEP_3)
	v_dual_add_f32 v145, v145, v147 :: v_dual_mul_f32 v152, 0x3fb8aa3b, v150
	v_cndmask_b32_e64 v150, 0, v148, s5
	v_fma_f32 v131, s33, v131, -v153
	v_dual_mul_f32 v130, 0x3fb8aa3b, v130 :: v_dual_add_f32 v145, v145, v149
	s_delay_alu instid0(VALU_DEP_4) | instskip(NEXT) | instid1(TRANS32_DEP_3)
	v_exp_f32_e32 v152, v152
	v_cndmask_b32_e64 v151, 0, v143, s6
	v_exp_f32_e32 v129, v129
	s_delay_alu instid0(TRANS32_DEP_3)
	v_cndmask_b32_e64 v148, 0, v155, s7
	v_add_f32_e32 v143, v145, v150
	v_mul_f32_e32 v131, 0x3fb8aa3b, v131
	v_exp_f32_e32 v130, v130
	v_fma_f32 v133, s33, v133, -v153
	v_fma_f32 v136, s33, v136, -v153
	v_add_f32_e32 v143, v143, v151
	v_cndmask_b32_e64 v152, 0, v152, s8
	v_exp_f32_e32 v145, v131
	v_cndmask_b32_e64 v131, 0, v129, s9
	v_mul_f32_e32 v133, 0x3fb8aa3b, v133
	v_add_f32_e32 v143, v143, v148
	v_cmp_gt_u32_e64 s2, 16, v142
	s_delay_alu instid0(VALU_DEP_2)
	v_add_f32_e32 v129, v143, v152
	v_exp_f32_e32 v143, v132
	v_cndmask_b32_e64 v132, 0, v130, s10
	v_fma_f32 v130, s33, v135, -v153
	v_exp_f32_e32 v135, v133
	v_add_f32_e32 v129, v129, v131
	v_cndmask_b32_e64 v133, 0, v145, s11
	v_exp_f32_e32 v145, v134
	s_delay_alu instid0(VALU_DEP_2) | instskip(NEXT) | instid1(TRANS32_DEP_3)
	v_dual_mul_f32 v130, 0x3fb8aa3b, v130 :: v_dual_add_f32 v129, v129, v132
	v_cndmask_b32_e64 v134, 0, v143, s12
	v_mul_f32_e32 v143, 0x3fb8aa3b, v136
	s_delay_alu instid0(VALU_DEP_3) | instskip(NEXT) | instid1(TRANS32_DEP_3)
	v_exp_f32_e32 v130, v130
	v_cndmask_b32_e64 v135, 0, v135, s13
	v_add_f32_e32 v129, v129, v133
	s_delay_alu instid0(TRANS32_DEP_2) | instskip(SKIP_1) | instid1(VALU_DEP_2)
	v_cndmask_b32_e64 v136, 0, v145, s15
	v_exp_f32_e32 v145, v143
	v_add_f32_e32 v129, v129, v134
	s_waitcnt_depctr 0xfff
	v_cndmask_b32_e64 v143, 0, v130, s16
	v_add_f32_e32 v129, v129, v135
	v_cndmask_b32_e64 v145, 0, v145, s17
	s_delay_alu instid0(VALU_DEP_2) | instskip(NEXT) | instid1(VALU_DEP_1)
	v_add_f32_e32 v129, v129, v136
	v_add_f32_e32 v129, v129, v143
	s_delay_alu instid0(VALU_DEP_1)
	v_add_f32_e32 v129, v129, v145
	ds_bpermute_b32 v130, v154, v129
	s_and_saveexec_b32 s3, s2
	s_cbranch_execz .LBB678_12
; %bb.11:
	v_mul_u32_u24_e32 v142, 0x44, v141
	s_waitcnt lgkmcnt(0)
	v_add_f32_e32 v129, v129, v130
	s_delay_alu instid0(VALU_DEP_2) | instskip(NEXT) | instid1(VALU_DEP_1)
	v_lshl_add_u32 v142, v140, 2, v142
	v_add_nc_u32_e32 v130, 0x4000, v142
	ds_store_2addr_b32 v130, v153, v129 offset1:136
.LBB678_12:
	s_or_b32 exec_lo, exec_lo, s3
	v_lshlrev_b32_e32 v129, 2, v140
	s_waitcnt lgkmcnt(0)
	s_barrier
	buffer_gl0_inv
	v_cmp_eq_u32_e64 s3, 1, v141
	v_add_nc_u32_e32 v142, 0x4000, v129
	ds_load_2addr_b32 v[153:154], v142 offset1:17
	ds_load_2addr_b32 v[155:156], v142 offset0:34 offset1:51
	ds_load_2addr_b32 v[157:158], v142 offset0:68 offset1:85
	;; [unrolled: 1-line block ×4, first 2 shown]
	s_waitcnt lgkmcnt(4)
	v_max3_f32 v129, v153, 0xff7fffff, v154
	s_waitcnt lgkmcnt(3)
	s_delay_alu instid0(VALU_DEP_1) | instskip(SKIP_1) | instid1(VALU_DEP_1)
	v_max3_f32 v129, v129, v155, v156
	s_waitcnt lgkmcnt(2)
	v_max3_f32 v129, v129, v157, v158
	s_waitcnt lgkmcnt(1)
	s_delay_alu instid0(VALU_DEP_1) | instskip(NEXT) | instid1(VALU_DEP_1)
	v_max3_f32 v129, v129, v159, v160
	v_sub_f32_e32 v163, v154, v129
	v_sub_f32_e32 v130, v153, v129
	ds_load_2addr_b32 v[153:154], v142 offset0:170 offset1:187
	v_sub_f32_e32 v155, v155, v129
	v_dual_mul_f32 v163, 0x3fb8aa3b, v163 :: v_dual_mul_f32 v130, 0x3fb8aa3b, v130
	s_delay_alu instid0(VALU_DEP_2) | instskip(NEXT) | instid1(VALU_DEP_2)
	v_mul_f32_e32 v165, 0x3fb8aa3b, v155
	v_exp_f32_e32 v163, v163
	s_delay_alu instid0(VALU_DEP_2)
	v_exp_f32_e32 v164, v130
	v_sub_f32_e32 v130, v156, v129
	ds_load_2addr_b32 v[155:156], v142 offset0:204 offset1:221
	v_exp_f32_e32 v165, v165
	v_mul_f32_e32 v166, 0x3fb8aa3b, v130
	s_waitcnt lgkmcnt(2)
	v_fma_f32 v130, v164, v161, 0
	v_sub_f32_e32 v157, v157, v129
	s_delay_alu instid0(VALU_DEP_3) | instskip(NEXT) | instid1(VALU_DEP_2)
	v_exp_f32_e32 v166, v166
	v_dual_sub_f32 v161, v158, v129 :: v_dual_fmac_f32 v130, v163, v162
	s_waitcnt lgkmcnt(1)
	s_waitcnt_depctr 0xfff
	v_fmac_f32_e32 v130, v165, v153
	v_mul_f32_e32 v167, 0x3fb8aa3b, v157
	ds_load_2addr_b32 v[157:158], v142 offset0:238 offset1:255
	v_sub_f32_e32 v142, v159, v129
	v_dual_sub_f32 v153, v160, v129 :: v_dual_fmac_f32 v130, v166, v154
	v_mul_f32_e32 v159, 0x3fb8aa3b, v161
	v_exp_f32_e32 v161, v167
	s_delay_alu instid0(VALU_DEP_2)
	v_dual_mul_f32 v142, 0x3fb8aa3b, v142 :: v_dual_mul_f32 v153, 0x3fb8aa3b, v153
	s_waitcnt lgkmcnt(0)
	s_barrier
	buffer_gl0_inv
	v_exp_f32_e32 v142, v142
	v_exp_f32_e32 v153, v153
	v_fmac_f32_e32 v130, v161, v155
	v_exp_f32_e32 v159, v159
	s_waitcnt_depctr 0xfff
	v_fmac_f32_e32 v130, v159, v156
	s_delay_alu instid0(VALU_DEP_1) | instskip(NEXT) | instid1(VALU_DEP_1)
	v_fmac_f32_e32 v130, v142, v157
	v_fmac_f32_e32 v130, v153, v158
	s_delay_alu instid0(VALU_DEP_1) | instskip(NEXT) | instid1(VALU_DEP_1)
	v_add_f32_e32 v154, 0x358637bd, v130
	v_div_scale_f32 v155, null, v154, v154, 1.0
	v_div_scale_f32 v158, vcc_lo, 1.0, v154, 1.0
	s_delay_alu instid0(VALU_DEP_2) | instskip(SKIP_2) | instid1(VALU_DEP_1)
	v_rcp_f32_e32 v156, v155
	s_waitcnt_depctr 0xfff
	v_fma_f32 v157, -v155, v156, 1.0
	v_fmac_f32_e32 v156, v157, v156
	v_cndmask_b32_e64 v157, v164, v163, s3
	v_cmp_eq_u32_e64 s3, 2, v141
	s_delay_alu instid0(VALU_DEP_3) | instskip(NEXT) | instid1(VALU_DEP_2)
	v_mul_f32_e32 v160, v158, v156
	v_cndmask_b32_e64 v157, v157, v165, s3
	v_cmp_eq_u32_e64 s3, 3, v141
	s_delay_alu instid0(VALU_DEP_3) | instskip(NEXT) | instid1(VALU_DEP_2)
	v_fma_f32 v162, -v155, v160, v158
	v_cndmask_b32_e64 v157, v157, v166, s3
	v_cmp_eq_u32_e64 s3, 4, v141
	s_delay_alu instid0(VALU_DEP_3) | instskip(NEXT) | instid1(VALU_DEP_2)
	v_fmac_f32_e32 v160, v162, v156
	v_cndmask_b32_e64 v157, v157, v161, s3
	s_delay_alu instid0(VALU_DEP_2) | instskip(SKIP_1) | instid1(VALU_DEP_2)
	v_fma_f32 v155, -v155, v160, v158
	v_cmp_eq_u32_e64 s3, 5, v141
	v_div_fmas_f32 v155, v155, v156, v160
	s_delay_alu instid0(VALU_DEP_2) | instskip(SKIP_2) | instid1(VALU_DEP_3)
	v_cndmask_b32_e64 v157, v157, v159, s3
	v_cmp_eq_u32_e32 vcc_lo, 6, v141
	s_mov_b32 s3, exec_lo
	v_div_fixup_f32 v154, v155, v154, 1.0
	s_delay_alu instid0(VALU_DEP_3) | instskip(SKIP_1) | instid1(VALU_DEP_2)
	v_cndmask_b32_e32 v142, v157, v142, vcc_lo
	v_cmp_eq_u32_e32 vcc_lo, 7, v141
	v_cndmask_b32_e32 v142, v142, v153, vcc_lo
	s_delay_alu instid0(VALU_DEP_1) | instskip(NEXT) | instid1(VALU_DEP_1)
	v_mul_f32_e32 v142, v142, v154
	v_mul_f32_e32 v153, v142, v149
	v_mul_f32_e32 v154, v142, v144
	v_mul_f32_e32 v144, v142, v152
	v_mul_f32_e32 v148, v142, v148
	v_mul_f32_e32 v151, v142, v151
	v_mul_f32_e32 v152, v142, v150
	v_dual_mul_f32 v150, v142, v147 :: v_dual_and_b32 v155, 0x7f800000, v154
	v_mul_f32_e32 v149, v142, v146
                                        ; implicit-def: $vgpr146
	s_delay_alu instid0(VALU_DEP_2)
	v_cmpx_ne_u32_e32 0x7f800000, v155
	s_xor_b32 s3, exec_lo, s3
; %bb.13:
	v_bfe_u32 v146, v154, 16, 1
	s_delay_alu instid0(VALU_DEP_1)
	v_add3_u32 v146, v154, v146, 0x7fff
                                        ; implicit-def: $vgpr154
; %bb.14:
	s_and_not1_saveexec_b32 s3, s3
; %bb.15:
	v_and_b32_e32 v146, 0xffff, v154
	v_or_b32_e32 v147, 0x10000, v154
	s_delay_alu instid0(VALU_DEP_2) | instskip(NEXT) | instid1(VALU_DEP_2)
	v_cmp_eq_u32_e32 vcc_lo, 0, v146
	v_cndmask_b32_e32 v146, v147, v154, vcc_lo
; %bb.16:
	s_or_b32 exec_lo, exec_lo, s3
	v_and_b32_e32 v147, 0x7f800000, v149
	s_delay_alu instid0(VALU_DEP_1) | instskip(SKIP_1) | instid1(SALU_CYCLE_1)
	v_cmp_ne_u32_e32 vcc_lo, 0x7f800000, v147
                                        ; implicit-def: $vgpr147
	s_and_saveexec_b32 s3, vcc_lo
	s_xor_b32 s3, exec_lo, s3
; %bb.17:
	v_bfe_u32 v147, v149, 16, 1
	s_delay_alu instid0(VALU_DEP_1)
	v_add3_u32 v147, v149, v147, 0x7fff
                                        ; implicit-def: $vgpr149
; %bb.18:
	s_and_not1_saveexec_b32 s3, s3
; %bb.19:
	v_and_b32_e32 v147, 0xffff, v149
	v_or_b32_e32 v154, 0x10000, v149
	s_delay_alu instid0(VALU_DEP_2) | instskip(NEXT) | instid1(VALU_DEP_2)
	v_cmp_eq_u32_e32 vcc_lo, 0, v147
	v_cndmask_b32_e32 v147, v154, v149, vcc_lo
; %bb.20:
	s_or_b32 exec_lo, exec_lo, s3
	v_and_b32_e32 v149, 0x7f800000, v150
	s_delay_alu instid0(VALU_DEP_1) | instskip(SKIP_1) | instid1(SALU_CYCLE_1)
	v_cmp_ne_u32_e32 vcc_lo, 0x7f800000, v149
                                        ; implicit-def: $vgpr149
	s_and_saveexec_b32 s3, vcc_lo
	s_xor_b32 s3, exec_lo, s3
; %bb.21:
	v_bfe_u32 v149, v150, 16, 1
	s_delay_alu instid0(VALU_DEP_1)
	v_add3_u32 v149, v150, v149, 0x7fff
                                        ; implicit-def: $vgpr150
; %bb.22:
	s_and_not1_saveexec_b32 s3, s3
; %bb.23:
	v_and_b32_e32 v149, 0xffff, v150
	v_or_b32_e32 v154, 0x10000, v150
	s_delay_alu instid0(VALU_DEP_2) | instskip(NEXT) | instid1(VALU_DEP_2)
	v_cmp_eq_u32_e32 vcc_lo, 0, v149
	v_cndmask_b32_e32 v149, v154, v150, vcc_lo
; %bb.24:
	s_or_b32 exec_lo, exec_lo, s3
	v_and_b32_e32 v150, 0x7f800000, v153
	s_delay_alu instid0(VALU_DEP_1) | instskip(SKIP_1) | instid1(SALU_CYCLE_1)
	v_cmp_ne_u32_e32 vcc_lo, 0x7f800000, v150
                                        ; implicit-def: $vgpr150
	s_and_saveexec_b32 s3, vcc_lo
	s_xor_b32 s3, exec_lo, s3
; %bb.25:
	v_bfe_u32 v150, v153, 16, 1
	s_delay_alu instid0(VALU_DEP_1)
	v_add3_u32 v150, v153, v150, 0x7fff
                                        ; implicit-def: $vgpr153
; %bb.26:
	s_and_not1_saveexec_b32 s3, s3
; %bb.27:
	v_and_b32_e32 v150, 0xffff, v153
	v_or_b32_e32 v154, 0x10000, v153
	s_delay_alu instid0(VALU_DEP_2) | instskip(NEXT) | instid1(VALU_DEP_2)
	v_cmp_eq_u32_e32 vcc_lo, 0, v150
	v_cndmask_b32_e32 v150, v154, v153, vcc_lo
; %bb.28:
	s_or_b32 exec_lo, exec_lo, s3
	v_and_b32_e32 v153, 0x7f800000, v152
	s_delay_alu instid0(VALU_DEP_1) | instskip(SKIP_1) | instid1(SALU_CYCLE_1)
	v_cmp_ne_u32_e32 vcc_lo, 0x7f800000, v153
                                        ; implicit-def: $vgpr153
	s_and_saveexec_b32 s3, vcc_lo
	s_xor_b32 s3, exec_lo, s3
; %bb.29:
	v_bfe_u32 v153, v152, 16, 1
	s_delay_alu instid0(VALU_DEP_1)
	v_add3_u32 v153, v152, v153, 0x7fff
                                        ; implicit-def: $vgpr152
; %bb.30:
	s_and_not1_saveexec_b32 s3, s3
; %bb.31:
	v_and_b32_e32 v153, 0xffff, v152
	v_or_b32_e32 v154, 0x10000, v152
	s_delay_alu instid0(VALU_DEP_2) | instskip(NEXT) | instid1(VALU_DEP_2)
	v_cmp_eq_u32_e32 vcc_lo, 0, v153
	v_cndmask_b32_e32 v153, v154, v152, vcc_lo
; %bb.32:
	s_or_b32 exec_lo, exec_lo, s3
	v_and_b32_e32 v152, 0x7f800000, v151
	s_delay_alu instid0(VALU_DEP_1) | instskip(SKIP_1) | instid1(SALU_CYCLE_1)
	v_cmp_ne_u32_e32 vcc_lo, 0x7f800000, v152
                                        ; implicit-def: $vgpr152
	s_and_saveexec_b32 s3, vcc_lo
	s_xor_b32 s3, exec_lo, s3
; %bb.33:
	v_bfe_u32 v152, v151, 16, 1
	s_delay_alu instid0(VALU_DEP_1)
	v_add3_u32 v152, v151, v152, 0x7fff
                                        ; implicit-def: $vgpr151
; %bb.34:
	s_and_not1_saveexec_b32 s3, s3
; %bb.35:
	v_and_b32_e32 v152, 0xffff, v151
	v_or_b32_e32 v154, 0x10000, v151
	s_delay_alu instid0(VALU_DEP_2) | instskip(NEXT) | instid1(VALU_DEP_2)
	v_cmp_eq_u32_e32 vcc_lo, 0, v152
	v_cndmask_b32_e32 v152, v154, v151, vcc_lo
; %bb.36:
	s_or_b32 exec_lo, exec_lo, s3
	v_and_b32_e32 v151, 0x7f800000, v148
	s_delay_alu instid0(VALU_DEP_1) | instskip(SKIP_1) | instid1(SALU_CYCLE_1)
	v_cmp_ne_u32_e32 vcc_lo, 0x7f800000, v151
                                        ; implicit-def: $vgpr151
	s_and_saveexec_b32 s3, vcc_lo
	s_xor_b32 s3, exec_lo, s3
; %bb.37:
	v_bfe_u32 v151, v148, 16, 1
	s_delay_alu instid0(VALU_DEP_1)
	v_add3_u32 v151, v148, v151, 0x7fff
                                        ; implicit-def: $vgpr148
; %bb.38:
	s_and_not1_saveexec_b32 s3, s3
; %bb.39:
	v_and_b32_e32 v151, 0xffff, v148
	v_or_b32_e32 v154, 0x10000, v148
	s_delay_alu instid0(VALU_DEP_2) | instskip(NEXT) | instid1(VALU_DEP_2)
	v_cmp_eq_u32_e32 vcc_lo, 0, v151
	v_cndmask_b32_e32 v151, v154, v148, vcc_lo
; %bb.40:
	s_or_b32 exec_lo, exec_lo, s3
	v_and_b32_e32 v148, 0x7f800000, v144
	s_delay_alu instid0(VALU_DEP_1) | instskip(SKIP_1) | instid1(SALU_CYCLE_1)
	v_cmp_ne_u32_e32 vcc_lo, 0x7f800000, v148
                                        ; implicit-def: $vgpr148
	s_and_saveexec_b32 s3, vcc_lo
	s_xor_b32 s3, exec_lo, s3
; %bb.41:
	v_bfe_u32 v148, v144, 16, 1
	s_delay_alu instid0(VALU_DEP_1)
	v_add3_u32 v148, v144, v148, 0x7fff
                                        ; implicit-def: $vgpr144
; %bb.42:
	s_and_not1_saveexec_b32 s3, s3
; %bb.43:
	v_and_b32_e32 v148, 0xffff, v144
	v_or_b32_e32 v154, 0x10000, v144
	s_delay_alu instid0(VALU_DEP_2) | instskip(NEXT) | instid1(VALU_DEP_2)
	v_cmp_eq_u32_e32 vcc_lo, 0, v148
	v_cndmask_b32_e32 v148, v154, v144, vcc_lo
; %bb.44:
	s_or_b32 exec_lo, exec_lo, s3
	s_load_b64 s[34:35], s[0:1], 0x94
	v_lshlrev_b32_e32 v155, 4, v138
	s_delay_alu instid0(VALU_DEP_2)
	v_perm_b32 v154, v148, v151, 0x7060302
	v_mul_f32_e32 v148, v142, v131
	v_dual_mul_f32 v145, v142, v145 :: v_dual_lshlrev_b32 v144, 6, v140
	v_dual_mul_f32 v143, v142, v143 :: v_dual_lshlrev_b32 v156, 11, v141
	v_perm_b32 v153, v152, v153, 0x7060302
	v_perm_b32 v152, v150, v149, 0x7060302
	;; [unrolled: 1-line block ×3, first 2 shown]
	s_delay_alu instid0(VALU_DEP_4)
	v_or3_b32 v131, v155, v156, v144
	v_mul_f32_e32 v136, v142, v136
	v_dual_mul_f32 v146, v142, v134 :: v_dual_and_b32 v149, 0x7f800000, v148
	v_mul_f32_e32 v135, v142, v135
	v_mul_f32_e32 v147, v142, v133
	;; [unrolled: 1-line block ×3, first 2 shown]
	s_mov_b32 s3, exec_lo
	ds_store_b128 v131, v[151:154]
                                        ; implicit-def: $vgpr132
	v_cmpx_ne_u32_e32 0x7f800000, v149
	s_xor_b32 s3, exec_lo, s3
; %bb.45:
	v_bfe_u32 v132, v148, 16, 1
	s_delay_alu instid0(VALU_DEP_1)
	v_add3_u32 v132, v148, v132, 0x7fff
                                        ; implicit-def: $vgpr148
; %bb.46:
	s_and_not1_saveexec_b32 s3, s3
; %bb.47:
	v_and_b32_e32 v132, 0xffff, v148
	v_or_b32_e32 v133, 0x10000, v148
	s_delay_alu instid0(VALU_DEP_2) | instskip(NEXT) | instid1(VALU_DEP_2)
	v_cmp_eq_u32_e32 vcc_lo, 0, v132
	v_cndmask_b32_e32 v132, v133, v148, vcc_lo
; %bb.48:
	s_or_b32 exec_lo, exec_lo, s3
	v_and_b32_e32 v133, 0x7f800000, v134
	s_delay_alu instid0(VALU_DEP_1) | instskip(SKIP_1) | instid1(SALU_CYCLE_1)
	v_cmp_ne_u32_e32 vcc_lo, 0x7f800000, v133
                                        ; implicit-def: $vgpr133
	s_and_saveexec_b32 s3, vcc_lo
	s_xor_b32 s3, exec_lo, s3
; %bb.49:
	v_bfe_u32 v133, v134, 16, 1
	s_delay_alu instid0(VALU_DEP_1)
	v_add3_u32 v133, v134, v133, 0x7fff
                                        ; implicit-def: $vgpr134
; %bb.50:
	s_and_not1_saveexec_b32 s3, s3
; %bb.51:
	v_and_b32_e32 v133, 0xffff, v134
	v_or_b32_e32 v142, 0x10000, v134
	s_delay_alu instid0(VALU_DEP_2) | instskip(NEXT) | instid1(VALU_DEP_2)
	v_cmp_eq_u32_e32 vcc_lo, 0, v133
	v_cndmask_b32_e32 v133, v142, v134, vcc_lo
; %bb.52:
	s_or_b32 exec_lo, exec_lo, s3
	v_and_b32_e32 v134, 0x7f800000, v147
	s_delay_alu instid0(VALU_DEP_1) | instskip(SKIP_1) | instid1(SALU_CYCLE_1)
	v_cmp_ne_u32_e32 vcc_lo, 0x7f800000, v134
                                        ; implicit-def: $vgpr134
	s_and_saveexec_b32 s3, vcc_lo
	s_xor_b32 s3, exec_lo, s3
; %bb.53:
	v_bfe_u32 v134, v147, 16, 1
	s_delay_alu instid0(VALU_DEP_1)
	v_add3_u32 v134, v147, v134, 0x7fff
                                        ; implicit-def: $vgpr147
; %bb.54:
	s_and_not1_saveexec_b32 s3, s3
; %bb.55:
	v_and_b32_e32 v134, 0xffff, v147
	v_or_b32_e32 v142, 0x10000, v147
	s_delay_alu instid0(VALU_DEP_2) | instskip(NEXT) | instid1(VALU_DEP_2)
	v_cmp_eq_u32_e32 vcc_lo, 0, v134
	v_cndmask_b32_e32 v134, v142, v147, vcc_lo
; %bb.56:
	s_or_b32 exec_lo, exec_lo, s3
	v_and_b32_e32 v142, 0x7f800000, v146
	s_delay_alu instid0(VALU_DEP_1) | instskip(SKIP_1) | instid1(SALU_CYCLE_1)
	v_cmp_ne_u32_e32 vcc_lo, 0x7f800000, v142
                                        ; implicit-def: $vgpr142
	s_and_saveexec_b32 s3, vcc_lo
	s_xor_b32 s3, exec_lo, s3
; %bb.57:
	v_bfe_u32 v142, v146, 16, 1
	s_delay_alu instid0(VALU_DEP_1)
	v_add3_u32 v142, v146, v142, 0x7fff
                                        ; implicit-def: $vgpr146
; %bb.58:
	s_and_not1_saveexec_b32 s3, s3
; %bb.59:
	v_and_b32_e32 v142, 0xffff, v146
	v_or_b32_e32 v147, 0x10000, v146
	s_delay_alu instid0(VALU_DEP_2) | instskip(NEXT) | instid1(VALU_DEP_2)
	v_cmp_eq_u32_e32 vcc_lo, 0, v142
	v_cndmask_b32_e32 v142, v147, v146, vcc_lo
; %bb.60:
	s_or_b32 exec_lo, exec_lo, s3
	v_and_b32_e32 v146, 0x7f800000, v135
	s_delay_alu instid0(VALU_DEP_1) | instskip(SKIP_1) | instid1(SALU_CYCLE_1)
	v_cmp_ne_u32_e32 vcc_lo, 0x7f800000, v146
                                        ; implicit-def: $vgpr146
	s_and_saveexec_b32 s3, vcc_lo
	s_xor_b32 s3, exec_lo, s3
; %bb.61:
	v_bfe_u32 v146, v135, 16, 1
	s_delay_alu instid0(VALU_DEP_1)
	v_add3_u32 v146, v135, v146, 0x7fff
                                        ; implicit-def: $vgpr135
; %bb.62:
	s_and_not1_saveexec_b32 s3, s3
; %bb.63:
	v_and_b32_e32 v146, 0xffff, v135
	v_or_b32_e32 v147, 0x10000, v135
	s_delay_alu instid0(VALU_DEP_2) | instskip(NEXT) | instid1(VALU_DEP_2)
	v_cmp_eq_u32_e32 vcc_lo, 0, v146
	v_cndmask_b32_e32 v146, v147, v135, vcc_lo
; %bb.64:
	s_or_b32 exec_lo, exec_lo, s3
	v_and_b32_e32 v135, 0x7f800000, v136
	s_delay_alu instid0(VALU_DEP_1) | instskip(SKIP_1) | instid1(SALU_CYCLE_1)
	v_cmp_ne_u32_e32 vcc_lo, 0x7f800000, v135
                                        ; implicit-def: $vgpr135
	s_and_saveexec_b32 s3, vcc_lo
	s_xor_b32 s3, exec_lo, s3
; %bb.65:
	v_bfe_u32 v135, v136, 16, 1
	s_delay_alu instid0(VALU_DEP_1)
	v_add3_u32 v135, v136, v135, 0x7fff
                                        ; implicit-def: $vgpr136
; %bb.66:
	s_and_not1_saveexec_b32 s3, s3
; %bb.67:
	v_and_b32_e32 v135, 0xffff, v136
	v_or_b32_e32 v147, 0x10000, v136
	s_delay_alu instid0(VALU_DEP_2) | instskip(NEXT) | instid1(VALU_DEP_2)
	v_cmp_eq_u32_e32 vcc_lo, 0, v135
	v_cndmask_b32_e32 v135, v147, v136, vcc_lo
; %bb.68:
	s_or_b32 exec_lo, exec_lo, s3
	v_and_b32_e32 v136, 0x7f800000, v143
	s_delay_alu instid0(VALU_DEP_1) | instskip(SKIP_1) | instid1(SALU_CYCLE_1)
	v_cmp_ne_u32_e32 vcc_lo, 0x7f800000, v136
                                        ; implicit-def: $vgpr136
	s_and_saveexec_b32 s3, vcc_lo
	s_xor_b32 s3, exec_lo, s3
; %bb.69:
	v_bfe_u32 v136, v143, 16, 1
	s_delay_alu instid0(VALU_DEP_1)
	v_add3_u32 v136, v143, v136, 0x7fff
                                        ; implicit-def: $vgpr143
; %bb.70:
	s_and_not1_saveexec_b32 s3, s3
; %bb.71:
	v_and_b32_e32 v136, 0xffff, v143
	v_or_b32_e32 v147, 0x10000, v143
	s_delay_alu instid0(VALU_DEP_2) | instskip(NEXT) | instid1(VALU_DEP_2)
	v_cmp_eq_u32_e32 vcc_lo, 0, v136
	v_cndmask_b32_e32 v136, v147, v143, vcc_lo
; %bb.72:
	s_or_b32 exec_lo, exec_lo, s3
	v_and_b32_e32 v143, 0x7f800000, v145
	s_delay_alu instid0(VALU_DEP_1) | instskip(SKIP_1) | instid1(SALU_CYCLE_1)
	v_cmp_ne_u32_e32 vcc_lo, 0x7f800000, v143
                                        ; implicit-def: $vgpr143
	s_and_saveexec_b32 s3, vcc_lo
	s_xor_b32 s3, exec_lo, s3
; %bb.73:
	v_bfe_u32 v143, v145, 16, 1
	s_delay_alu instid0(VALU_DEP_1)
	v_add3_u32 v143, v145, v143, 0x7fff
                                        ; implicit-def: $vgpr145
; %bb.74:
	s_and_not1_saveexec_b32 s3, s3
; %bb.75:
	v_and_b32_e32 v143, 0xffff, v145
	v_or_b32_e32 v147, 0x10000, v145
	s_delay_alu instid0(VALU_DEP_2) | instskip(NEXT) | instid1(VALU_DEP_2)
	v_cmp_eq_u32_e32 vcc_lo, 0, v143
	v_cndmask_b32_e32 v143, v147, v145, vcc_lo
; %bb.76:
	s_or_b32 exec_lo, exec_lo, s3
	s_delay_alu instid0(VALU_DEP_1)
	v_perm_b32 v136, v143, v136, 0x7060302
	v_perm_b32 v135, v135, v146, 0x7060302
	;; [unrolled: 1-line block ×4, first 2 shown]
	v_lshl_or_b32 v145, v141, 11, v144
	v_lshlrev_b32_e32 v142, 2, v138
	ds_store_b128 v131, v[133:136] offset:1024
	s_waitcnt lgkmcnt(0)
	s_barrier
	buffer_gl0_inv
	ds_load_b128 v[132:135], v145
	ds_load_b128 v[147:150], v145 offset:16
	v_or_b32_e32 v143, 1, v142
	v_cmp_eq_u32_e64 s12, 1, v142
	v_cmp_eq_u32_e64 s11, 2, v142
	;; [unrolled: 1-line block ×3, first 2 shown]
	v_or_b32_e32 v141, 2, v142
	v_cmp_eq_u32_e64 s7, 1, v143
	v_cmp_eq_u32_e64 s6, 2, v143
	;; [unrolled: 1-line block ×8, first 2 shown]
	v_cmp_eq_u32_e32 vcc_lo, 5, v143
	v_cmp_eq_u32_e64 s10, 2, v141
	v_cmp_eq_u32_e64 s4, 6, v143
	;; [unrolled: 1-line block ×4, first 2 shown]
	s_waitcnt lgkmcnt(1)
	v_lshrrev_b32_e32 v136, 16, v132
	s_waitcnt lgkmcnt(0)
	v_lshrrev_b32_e32 v155, 16, v147
	v_lshrrev_b32_e32 v161, 16, v148
	;; [unrolled: 1-line block ×4, first 2 shown]
	v_cndmask_b32_e64 v146, v132, v136, s12
	v_cndmask_b32_e64 v151, v147, v155, s12
	;; [unrolled: 1-line block ×4, first 2 shown]
	v_lshrrev_b32_e32 v160, 16, v134
	v_cndmask_b32_e64 v146, v146, v133, s11
	v_cndmask_b32_e64 v151, v151, v148, s11
	;; [unrolled: 1-line block ×8, first 2 shown]
	v_lshrrev_b32_e32 v164, 16, v150
	v_cndmask_b32_e64 v153, v153, v161, s5
	v_cndmask_b32_e64 v146, v146, v134, s17
	;; [unrolled: 1-line block ×5, first 2 shown]
	v_lshrrev_b32_e32 v162, 16, v135
	v_cndmask_b32_e64 v146, v146, v160, s13
	v_cndmask_b32_e64 v151, v151, v163, s13
	v_cndmask_b32_e32 v152, v152, v160, vcc_lo
	v_cndmask_b32_e64 v153, v153, v149, s3
	v_cmp_eq_u32_e64 s19, 7, v143
	v_cndmask_b32_e64 v146, v146, v135, s15
	v_cndmask_b32_e64 v151, v151, v150, s15
	;; [unrolled: 1-line block ×4, first 2 shown]
	v_cmp_eq_u32_e64 s20, 4, v141
	v_cndmask_b32_e64 v165, v146, v162, s9
	v_cndmask_b32_e64 v166, v151, v164, s9
	;; [unrolled: 1-line block ×3, first 2 shown]
	v_or_b32_e32 v146, 3, v142
	v_cndmask_b32_e64 v167, v152, v162, s19
	v_cndmask_b32_e32 v156, v153, v163, vcc_lo
	v_cndmask_b32_e64 v158, v154, v134, s20
	v_cndmask_b32_e64 v157, v151, v148, s10
	ds_load_b128 v[151:154], v145 offset:1024
	v_cmp_eq_u32_e64 s21, 1, v146
	v_cmp_eq_u32_e64 s22, 5, v141
	;; [unrolled: 1-line block ×3, first 2 shown]
	v_cndmask_b32_e64 v157, v157, v161, s18
	v_cmp_eq_u32_e64 s24, 3, v146
	v_cndmask_b32_e64 v132, v132, v136, s21
	v_cndmask_b32_e64 v136, v156, v150, s4
	v_cndmask_b32_e64 v168, v158, v160, s22
	v_cndmask_b32_e64 v169, v157, v149, s20
	v_cndmask_b32_e64 v147, v147, v155, s21
	ds_load_b128 v[155:158], v145 offset:1040
	v_cndmask_b32_e64 v132, v132, v133, s23
	v_cmp_eq_u32_e64 s26, 4, v146
	v_cmp_eq_u32_e64 s28, 5, v146
	v_cndmask_b32_e64 v147, v147, v148, s23
	v_cmp_eq_u32_e64 s25, 6, v141
	v_cndmask_b32_e64 v132, v132, v159, s24
	;; [unrolled: 2-line block ×3, first 2 shown]
	v_cndmask_b32_e64 v147, v147, v161, s24
	s_waitcnt lgkmcnt(1)
	v_lshrrev_b32_e32 v159, 16, v151
	v_cndmask_b32_e64 v132, v132, v134, s26
	v_cndmask_b32_e64 v148, v168, v135, s25
	v_cndmask_b32_e64 v133, v133, v150, s25
	v_cndmask_b32_e64 v134, v147, v149, s26
	v_cndmask_b32_e64 v147, v151, v159, s12
	v_cndmask_b32_e64 v132, v132, v160, s28
	v_lshrrev_b32_e32 v160, 16, v152
	v_cndmask_b32_e64 v161, v151, v159, s7
	v_cndmask_b32_e64 v134, v134, v163, s28
	s_waitcnt lgkmcnt(0)
	v_lshrrev_b32_e32 v149, 16, v155
	v_cndmask_b32_e64 v147, v147, v152, s11
	v_cndmask_b32_e64 v132, v132, v135, s29
	v_cmp_eq_u32_e64 s27, 7, v141
	v_cndmask_b32_e64 v134, v134, v150, s29
	v_cndmask_b32_e64 v163, v155, v149, s12
	;; [unrolled: 1-line block ×4, first 2 shown]
	v_lshrrev_b32_e32 v161, 16, v156
	v_cndmask_b32_e64 v136, v136, v164, s19
	v_cndmask_b32_e64 v150, v163, v156, s11
	v_cmp_eq_u32_e64 s11, 7, v146
	v_cndmask_b32_e64 v147, v147, v160, s5
	v_cndmask_b32_e64 v135, v135, v153, s17
	v_lshrrev_b32_e32 v163, 16, v153
	v_cndmask_b32_e64 v150, v150, v161, s16
	v_cndmask_b32_e64 v132, v132, v162, s11
	;; [unrolled: 1-line block ×8, first 2 shown]
	v_lshrrev_b32_e32 v164, 16, v157
	v_perm_b32 v135, v134, v132, 0x5040100
	v_cndmask_b32_e32 v132, v147, v163, vcc_lo
	v_cndmask_b32_e64 v147, v162, v154, s15
	v_lshrrev_b32_e32 v162, 16, v154
	v_cndmask_b32_e64 v150, v150, v164, s13
	v_perm_b32 v134, v133, v148, 0x5040100
	v_cndmask_b32_e64 v132, v132, v154, s4
	v_perm_b32 v133, v136, v167, 0x5040100
	v_cndmask_b32_e64 v136, v147, v162, s9
	v_cndmask_b32_e64 v147, v150, v158, s15
	;; [unrolled: 1-line block ×27, first 2 shown]
	v_cndmask_b32_e32 v149, v149, v164, vcc_lo
	v_lshrrev_b32_e32 v148, 16, v158
	v_cndmask_b32_e64 v132, v132, v154, s25
	v_cndmask_b32_e64 v150, v150, v154, s29
	;; [unrolled: 1-line block ×11, first 2 shown]
	v_perm_b32 v132, v166, v165, 0x5040100
	v_perm_b32 v150, v151, v150, 0x5040100
	;; [unrolled: 1-line block ×5, first 2 shown]
	s_mul_i32 s8, s35, 9
	s_mov_b32 s3, exec_lo
	ds_store_b128 v131, v[132:135]
	ds_store_b128 v131, v[147:150] offset:1024
	v_cmpx_gt_u32_e32 9, v0
	s_cbranch_execz .LBB678_78
; %bb.77:
	s_mul_i32 s4, s8, s30
	s_delay_alu instid0(SALU_CYCLE_1) | instskip(SKIP_1) | instid1(VALU_DEP_1)
	v_add3_u32 v133, s4, s31, v140
	s_load_b128 s[4:7], s[0:1], 0x58
	v_mad_u64_u32 v[131:132], null, v133, s34, s[14:15]
	s_delay_alu instid0(VALU_DEP_1) | instskip(NEXT) | instid1(VALU_DEP_1)
	v_ashrrev_i32_e32 v132, 31, v131
	v_lshlrev_b64 v[131:132], 2, v[131:132]
	s_waitcnt lgkmcnt(0)
	s_delay_alu instid0(VALU_DEP_1) | instskip(NEXT) | instid1(VALU_DEP_2)
	v_add_co_u32 v133, vcc_lo, s6, v131
	v_add_co_ci_u32_e32 v134, vcc_lo, s7, v132, vcc_lo
	v_add_co_u32 v131, vcc_lo, s4, v131
	v_add_co_ci_u32_e32 v132, vcc_lo, s5, v132, vcc_lo
	global_store_b32 v[133:134], v129, off
	global_store_b32 v[131:132], v130, off
.LBB678_78:
	s_or_b32 exec_lo, exec_lo, s3
	s_waitcnt lgkmcnt(0)
	s_waitcnt_vscnt null, 0x0
	s_barrier
	buffer_gl0_inv
	ds_load_b128 v[147:150], v144
	ds_load_b128 v[151:154], v144 offset:16
	ds_load_b128 v[159:162], v144 offset:1040
	;; [unrolled: 1-line block ×3, first 2 shown]
	v_mov_b32_e32 v129, 0
	ds_load_b128 v[167:170], v144 offset:2064
	ds_load_b128 v[163:166], v144 offset:2048
	;; [unrolled: 1-line block ×6, first 2 shown]
	v_mov_b32_e32 v130, v129
	v_mov_b32_e32 v131, v129
	;; [unrolled: 1-line block ×7, first 2 shown]
	s_waitcnt lgkmcnt(8)
	s_delay_alu instid0(VALU_DEP_1)
	v_wmma_f32_16x16x16_bf16 v[129:136], v[121:128], v[147:154], v[129:136]
	ds_load_b128 v[125:128], v144 offset:5136
	ds_load_b128 v[121:124], v144 offset:5120
	s_waitcnt lgkmcnt(8)
	v_wmma_f32_16x16x16_bf16 v[129:136], v[113:120], v[155:162], v[129:136]
	ds_load_b128 v[117:120], v144 offset:6160
	ds_load_b128 v[113:116], v144 offset:6144
	s_waitcnt lgkmcnt(8)
	;; [unrolled: 4-line block ×8, first 2 shown]
	v_wmma_f32_16x16x16_bf16 v[129:136], v[65:72], v[97:104], v[129:136]
	s_waitcnt lgkmcnt(6)
	s_delay_alu instid0(VALU_DEP_1)
	v_wmma_f32_16x16x16_bf16 v[129:136], v[49:56], v[89:96], v[129:136]
	ds_load_b128 v[53:56], v144 offset:13328
	ds_load_b128 v[49:52], v144 offset:13312
	s_waitcnt lgkmcnt(6)
	v_wmma_f32_16x16x16_bf16 v[129:136], v[41:48], v[81:88], v[129:136]
	ds_load_b128 v[45:48], v144 offset:14352
	ds_load_b128 v[41:44], v144 offset:14336
	s_waitcnt lgkmcnt(6)
	;; [unrolled: 4-line block ×3, first 2 shown]
	v_wmma_f32_16x16x16_bf16 v[129:136], v[1:8], v[57:64], v[129:136]
	s_waitcnt lgkmcnt(4)
	s_delay_alu instid0(VALU_DEP_1) | instskip(SKIP_1) | instid1(VALU_DEP_1)
	v_wmma_f32_16x16x16_bf16 v[129:136], v[25:32], v[49:56], v[129:136]
	s_waitcnt lgkmcnt(2)
	v_wmma_f32_16x16x16_bf16 v[129:136], v[33:40], v[41:48], v[129:136]
	s_waitcnt lgkmcnt(0)
	s_delay_alu instid0(VALU_DEP_1) | instskip(NEXT) | instid1(VALU_DEP_1)
	v_wmma_f32_16x16x16_bf16 v[129:136], v[9:16], v[17:24], v[129:136]
	v_and_b32_e32 v1, 0x7f800000, v129
	s_delay_alu instid0(VALU_DEP_1) | instskip(SKIP_1) | instid1(SALU_CYCLE_1)
	v_cmp_ne_u32_e32 vcc_lo, 0x7f800000, v1
                                        ; implicit-def: $vgpr1
	s_and_saveexec_b32 s3, vcc_lo
	s_xor_b32 s3, exec_lo, s3
; %bb.79:
	v_bfe_u32 v1, v129, 16, 1
	s_delay_alu instid0(VALU_DEP_1)
	v_add3_u32 v1, v129, v1, 0x7fff
; %bb.80:
	s_and_not1_saveexec_b32 s3, s3
; %bb.81:
	v_and_b32_e32 v1, 0xffff, v129
	v_or_b32_e32 v2, 0x10000, v129
	s_delay_alu instid0(VALU_DEP_2) | instskip(NEXT) | instid1(VALU_DEP_2)
	v_cmp_eq_u32_e32 vcc_lo, 0, v1
	v_cndmask_b32_e32 v1, v2, v129, vcc_lo
; %bb.82:
	s_or_b32 exec_lo, exec_lo, s3
	v_and_b32_e32 v2, 0x7f800000, v130
	s_delay_alu instid0(VALU_DEP_1) | instskip(SKIP_1) | instid1(SALU_CYCLE_1)
	v_cmp_ne_u32_e32 vcc_lo, 0x7f800000, v2
                                        ; implicit-def: $vgpr2
	s_and_saveexec_b32 s3, vcc_lo
	s_xor_b32 s3, exec_lo, s3
; %bb.83:
	v_bfe_u32 v2, v130, 16, 1
	s_delay_alu instid0(VALU_DEP_1)
	v_add3_u32 v2, v130, v2, 0x7fff
; %bb.84:
	s_and_not1_saveexec_b32 s3, s3
; %bb.85:
	v_and_b32_e32 v2, 0xffff, v130
	v_or_b32_e32 v3, 0x10000, v130
	s_delay_alu instid0(VALU_DEP_2) | instskip(NEXT) | instid1(VALU_DEP_2)
	v_cmp_eq_u32_e32 vcc_lo, 0, v2
	v_cndmask_b32_e32 v2, v3, v130, vcc_lo
; %bb.86:
	s_or_b32 exec_lo, exec_lo, s3
	v_and_b32_e32 v3, 0x7f800000, v131
	s_delay_alu instid0(VALU_DEP_1) | instskip(SKIP_1) | instid1(SALU_CYCLE_1)
	v_cmp_ne_u32_e32 vcc_lo, 0x7f800000, v3
                                        ; implicit-def: $vgpr3
	s_and_saveexec_b32 s3, vcc_lo
	s_xor_b32 s3, exec_lo, s3
; %bb.87:
	v_bfe_u32 v3, v131, 16, 1
	s_delay_alu instid0(VALU_DEP_1)
	v_add3_u32 v3, v131, v3, 0x7fff
; %bb.88:
	s_and_not1_saveexec_b32 s3, s3
; %bb.89:
	v_and_b32_e32 v3, 0xffff, v131
	v_or_b32_e32 v4, 0x10000, v131
	s_delay_alu instid0(VALU_DEP_2) | instskip(NEXT) | instid1(VALU_DEP_2)
	v_cmp_eq_u32_e32 vcc_lo, 0, v3
	v_cndmask_b32_e32 v3, v4, v131, vcc_lo
; %bb.90:
	s_or_b32 exec_lo, exec_lo, s3
	v_and_b32_e32 v4, 0x7f800000, v132
	s_delay_alu instid0(VALU_DEP_1) | instskip(SKIP_1) | instid1(SALU_CYCLE_1)
	v_cmp_ne_u32_e32 vcc_lo, 0x7f800000, v4
                                        ; implicit-def: $vgpr4
	s_and_saveexec_b32 s3, vcc_lo
	s_xor_b32 s3, exec_lo, s3
; %bb.91:
	v_bfe_u32 v4, v132, 16, 1
	s_delay_alu instid0(VALU_DEP_1)
	v_add3_u32 v4, v132, v4, 0x7fff
; %bb.92:
	s_and_not1_saveexec_b32 s3, s3
; %bb.93:
	v_and_b32_e32 v4, 0xffff, v132
	v_or_b32_e32 v5, 0x10000, v132
	s_delay_alu instid0(VALU_DEP_2) | instskip(NEXT) | instid1(VALU_DEP_2)
	v_cmp_eq_u32_e32 vcc_lo, 0, v4
	v_cndmask_b32_e32 v4, v5, v132, vcc_lo
; %bb.94:
	s_or_b32 exec_lo, exec_lo, s3
	v_and_b32_e32 v5, 0x7f800000, v133
	s_delay_alu instid0(VALU_DEP_1) | instskip(SKIP_1) | instid1(SALU_CYCLE_1)
	v_cmp_ne_u32_e32 vcc_lo, 0x7f800000, v5
                                        ; implicit-def: $vgpr5
	s_and_saveexec_b32 s3, vcc_lo
	s_xor_b32 s3, exec_lo, s3
; %bb.95:
	v_bfe_u32 v5, v133, 16, 1
	s_delay_alu instid0(VALU_DEP_1)
	v_add3_u32 v5, v133, v5, 0x7fff
; %bb.96:
	s_and_not1_saveexec_b32 s3, s3
; %bb.97:
	v_and_b32_e32 v5, 0xffff, v133
	v_or_b32_e32 v6, 0x10000, v133
	s_delay_alu instid0(VALU_DEP_2) | instskip(NEXT) | instid1(VALU_DEP_2)
	v_cmp_eq_u32_e32 vcc_lo, 0, v5
	v_cndmask_b32_e32 v5, v6, v133, vcc_lo
; %bb.98:
	s_or_b32 exec_lo, exec_lo, s3
	v_and_b32_e32 v6, 0x7f800000, v134
	s_delay_alu instid0(VALU_DEP_1) | instskip(SKIP_1) | instid1(SALU_CYCLE_1)
	v_cmp_ne_u32_e32 vcc_lo, 0x7f800000, v6
                                        ; implicit-def: $vgpr6
	s_and_saveexec_b32 s3, vcc_lo
	s_xor_b32 s3, exec_lo, s3
; %bb.99:
	v_bfe_u32 v6, v134, 16, 1
	s_delay_alu instid0(VALU_DEP_1)
	v_add3_u32 v6, v134, v6, 0x7fff
; %bb.100:
	s_and_not1_saveexec_b32 s3, s3
; %bb.101:
	v_and_b32_e32 v6, 0xffff, v134
	v_or_b32_e32 v7, 0x10000, v134
	s_delay_alu instid0(VALU_DEP_2) | instskip(NEXT) | instid1(VALU_DEP_2)
	v_cmp_eq_u32_e32 vcc_lo, 0, v6
	v_cndmask_b32_e32 v6, v7, v134, vcc_lo
; %bb.102:
	s_or_b32 exec_lo, exec_lo, s3
	v_and_b32_e32 v7, 0x7f800000, v135
	s_delay_alu instid0(VALU_DEP_1) | instskip(SKIP_1) | instid1(SALU_CYCLE_1)
	v_cmp_ne_u32_e32 vcc_lo, 0x7f800000, v7
                                        ; implicit-def: $vgpr7
	s_and_saveexec_b32 s3, vcc_lo
	s_xor_b32 s3, exec_lo, s3
; %bb.103:
	v_bfe_u32 v7, v135, 16, 1
	s_delay_alu instid0(VALU_DEP_1)
	v_add3_u32 v7, v135, v7, 0x7fff
; %bb.104:
	s_and_not1_saveexec_b32 s3, s3
; %bb.105:
	v_and_b32_e32 v7, 0xffff, v135
	v_or_b32_e32 v8, 0x10000, v135
	s_delay_alu instid0(VALU_DEP_2) | instskip(NEXT) | instid1(VALU_DEP_2)
	v_cmp_eq_u32_e32 vcc_lo, 0, v7
	v_cndmask_b32_e32 v7, v8, v135, vcc_lo
; %bb.106:
	s_or_b32 exec_lo, exec_lo, s3
	v_and_b32_e32 v8, 0x7f800000, v136
	s_delay_alu instid0(VALU_DEP_1) | instskip(SKIP_1) | instid1(SALU_CYCLE_1)
	v_cmp_ne_u32_e32 vcc_lo, 0x7f800000, v8
                                        ; implicit-def: $vgpr8
	s_and_saveexec_b32 s3, vcc_lo
	s_xor_b32 s3, exec_lo, s3
; %bb.107:
	v_bfe_u32 v8, v136, 16, 1
	s_delay_alu instid0(VALU_DEP_1)
	v_add3_u32 v8, v136, v8, 0x7fff
                                        ; implicit-def: $vgpr129_vgpr130_vgpr131_vgpr132_vgpr133_vgpr134_vgpr135_vgpr136
; %bb.108:
	s_and_not1_saveexec_b32 s3, s3
; %bb.109:
	v_and_b32_e32 v8, 0xffff, v136
	v_or_b32_e32 v9, 0x10000, v136
	s_delay_alu instid0(VALU_DEP_2) | instskip(NEXT) | instid1(VALU_DEP_2)
	v_cmp_eq_u32_e32 vcc_lo, 0, v8
	v_cndmask_b32_e32 v8, v9, v136, vcc_lo
; %bb.110:
	s_or_b32 exec_lo, exec_lo, s3
	s_delay_alu instid0(VALU_DEP_1)
	v_perm_b32 v7, v8, v7, 0x7060302
	v_perm_b32 v6, v6, v5, 0x7060302
	;; [unrolled: 1-line block ×4, first 2 shown]
	v_lshl_or_b32 v9, v138, 4, v145
	s_barrier
	buffer_gl0_inv
	v_cmp_eq_u32_e32 vcc_lo, 1, v142
	ds_store_b128 v9, v[4:7]
	s_waitcnt lgkmcnt(0)
	s_barrier
	buffer_gl0_inv
	ds_load_b128 v[1:4], v145
	ds_load_b128 v[5:8], v145 offset:16
	v_cmp_eq_u32_e64 s4, 2, v142
	v_cmp_eq_u32_e64 s3, 1, v143
	;; [unrolled: 1-line block ×5, first 2 shown]
	s_waitcnt lgkmcnt(1)
	v_lshrrev_b32_e32 v10, 16, v1
	s_waitcnt lgkmcnt(0)
	v_lshrrev_b32_e32 v14, 16, v5
	v_lshrrev_b32_e32 v15, 16, v6
	;; [unrolled: 1-line block ×4, first 2 shown]
	v_cndmask_b32_e64 v20, v1, v10, s3
	v_cndmask_b32_e32 v19, v5, v14, vcc_lo
	v_cndmask_b32_e64 v21, v5, v14, s3
	v_lshrrev_b32_e32 v16, 16, v7
	v_cmp_eq_u32_e64 s3, 1, v141
	v_lshrrev_b32_e32 v13, 16, v4
	v_cndmask_b32_e64 v19, v19, v6, s4
	v_lshrrev_b32_e32 v17, 16, v8
	s_delay_alu instid0(VALU_DEP_4) | instskip(SKIP_1) | instid1(VALU_DEP_4)
	v_cndmask_b32_e64 v22, v1, v10, s3
	v_cndmask_b32_e64 v23, v5, v14, s3
	;; [unrolled: 1-line block ×3, first 2 shown]
	v_cndmask_b32_e32 v18, v1, v10, vcc_lo
	v_cmp_eq_u32_e32 vcc_lo, 2, v143
	v_cmp_eq_u32_e64 s3, 2, v146
	v_cndmask_b32_e64 v22, v22, v2, s7
	v_cndmask_b32_e32 v20, v20, v2, vcc_lo
	v_cndmask_b32_e32 v21, v21, v6, vcc_lo
	v_cmp_eq_u32_e32 vcc_lo, 4, v142
	v_cndmask_b32_e32 v19, v19, v7, vcc_lo
	v_cndmask_b32_e64 v18, v18, v2, s4
	v_cmp_eq_u32_e64 s4, 3, v143
	s_delay_alu instid0(VALU_DEP_2) | instskip(NEXT) | instid1(VALU_DEP_2)
	v_cndmask_b32_e64 v18, v18, v11, s5
	v_cndmask_b32_e64 v21, v21, v15, s4
	v_cmp_eq_u32_e64 s5, 5, v142
	s_delay_alu instid0(VALU_DEP_3) | instskip(SKIP_1) | instid1(VALU_DEP_3)
	v_cndmask_b32_e32 v18, v18, v3, vcc_lo
	v_cmp_eq_u32_e32 vcc_lo, 4, v143
	v_cndmask_b32_e64 v19, v19, v16, s5
	s_delay_alu instid0(VALU_DEP_3) | instskip(SKIP_4) | instid1(VALU_DEP_3)
	v_cndmask_b32_e64 v18, v18, v12, s5
	v_cndmask_b32_e32 v21, v21, v7, vcc_lo
	v_cndmask_b32_e64 v20, v20, v11, s4
	v_cmp_eq_u32_e64 s4, 5, v143
	v_cmp_eq_u32_e64 s5, 6, v142
	v_cndmask_b32_e32 v20, v20, v3, vcc_lo
	s_delay_alu instid0(VALU_DEP_3) | instskip(SKIP_1) | instid1(VALU_DEP_4)
	v_cndmask_b32_e64 v21, v21, v16, s4
	v_cmp_eq_u32_e32 vcc_lo, 6, v143
	v_cndmask_b32_e64 v18, v18, v4, s5
	v_cndmask_b32_e64 v19, v19, v8, s5
	;; [unrolled: 1-line block ×3, first 2 shown]
	v_cmp_eq_u32_e64 s4, 1, v146
	v_cmp_eq_u32_e64 s5, 7, v142
	s_delay_alu instid0(VALU_DEP_3) | instskip(NEXT) | instid1(VALU_DEP_3)
	v_cndmask_b32_e32 v20, v20, v4, vcc_lo
	v_cndmask_b32_e64 v1, v1, v10, s4
	v_cndmask_b32_e64 v5, v5, v14, s4
	v_cmp_eq_u32_e64 s4, 3, v141
	v_cndmask_b32_e64 v14, v23, v6, s7
	v_cmp_eq_u32_e64 s7, 3, v146
	v_cndmask_b32_e64 v1, v1, v2, s3
	v_cndmask_b32_e64 v2, v5, v6, s3
	;; [unrolled: 1-line block ×3, first 2 shown]
	v_cmp_eq_u32_e64 s3, 4, v141
	v_cndmask_b32_e64 v6, v14, v15, s4
	v_cndmask_b32_e64 v1, v1, v11, s7
	v_cmp_eq_u32_e64 s4, 4, v146
	v_cndmask_b32_e64 v2, v2, v15, s7
	v_cndmask_b32_e64 v5, v10, v3, s3
	;; [unrolled: 3-line block ×3, first 2 shown]
	v_cndmask_b32_e64 v2, v2, v7, s4
	v_cmp_eq_u32_e64 s3, 5, v146
	v_cndmask_b32_e64 v5, v5, v12, s7
	v_cmp_eq_u32_e64 s4, 6, v141
	;; [unrolled: 2-line block ×3, first 2 shown]
	v_cndmask_b32_e64 v1, v1, v12, s3
	v_cndmask_b32_e64 v2, v2, v16, s3
	;; [unrolled: 1-line block ×4, first 2 shown]
	v_cmp_eq_u32_e64 s3, 7, v146
	v_cndmask_b32_e64 v1, v1, v4, s7
	v_cndmask_b32_e64 v2, v2, v8, s7
	v_cmp_eq_u32_e64 s4, 7, v141
	v_cndmask_b32_e32 v4, v21, v8, vcc_lo
	v_cndmask_b32_e64 v18, v18, v13, s5
	v_cndmask_b32_e64 v20, v20, v13, s6
	;; [unrolled: 1-line block ×8, first 2 shown]
	s_mov_b32 s3, exec_lo
	v_perm_b32 v4, v2, v1, 0x5040100
	v_perm_b32 v3, v3, v5, 0x5040100
	;; [unrolled: 1-line block ×4, first 2 shown]
	ds_store_b128 v9, v[1:4]
	s_waitcnt lgkmcnt(0)
	s_barrier
	buffer_gl0_inv
	v_cmpx_gt_u32_e32 32, v0
	s_cbranch_execz .LBB678_2
; %bb.111:
	s_load_b64 s[4:5], s[0:1], 0x68
	v_lshlrev_b32_e32 v0, 10, v0
	v_lshlrev_b32_e32 v1, 4, v139
	s_lshl_b32 s0, s34, 7
	v_add_nc_u32_e32 v2, s31, v138
	s_mul_i32 s1, s0, s30
	s_delay_alu instid0(SALU_CYCLE_1) | instskip(SKIP_1) | instid1(VALU_DEP_2)
	s_mul_i32 s6, s1, s8
	v_and_or_b32 v0, 0x3800, v0, v1
	v_mul_lo_u32 v1, v2, s0
	s_ashr_i32 s7, s6, 31
	v_add_nc_u32_e32 v3, 2, v2
	s_lshl_b64 s[6:7], s[6:7], 1
	v_add_nc_u32_e32 v4, 4, v2
	v_add_nc_u32_e32 v5, 6, v2
	v_lshl_or_b32 v15, v138, 6, v0
	v_mul_lo_u32 v3, v3, s0
	v_ashrrev_i32_e32 v2, 31, v1
	v_mul_lo_u32 v19, v4, s0
	v_mul_lo_u32 v21, v5, s0
	s_waitcnt lgkmcnt(0)
	s_add_u32 s1, s4, s6
	s_addc_u32 s3, s5, s7
	s_lshl_b32 s4, s14, 7
	v_lshlrev_b64 v[5:6], 1, v[1:2]
	s_ashr_i32 s5, s4, 31
	v_ashrrev_i32_e32 v4, 31, v3
	s_lshl_b64 s[4:5], s[4:5], 1
	v_ashrrev_i32_e32 v20, 31, v19
	s_add_u32 s1, s1, s4
	s_addc_u32 s3, s3, s5
	v_add_co_u32 v1, s1, s1, v137
	s_delay_alu instid0(VALU_DEP_1) | instskip(SKIP_1) | instid1(VALU_DEP_3)
	v_add_co_ci_u32_e64 v2, null, s3, 0, s1
	v_lshlrev_b64 v[25:26], 1, v[3:4]
	v_add_co_u32 v23, vcc_lo, v1, v5
	s_delay_alu instid0(VALU_DEP_3)
	v_add_co_ci_u32_e32 v24, vcc_lo, v2, v6, vcc_lo
	ds_load_b128 v[3:6], v15
	ds_load_b128 v[7:10], v15 offset:128
	ds_load_b128 v[11:14], v15 offset:256
	;; [unrolled: 1-line block ×3, first 2 shown]
	v_ashrrev_i32_e32 v22, 31, v21
	v_lshlrev_b64 v[19:20], 1, v[19:20]
	v_add_co_u32 v25, vcc_lo, v1, v25
	v_add_co_ci_u32_e32 v26, vcc_lo, v2, v26, vcc_lo
	s_delay_alu instid0(VALU_DEP_4) | instskip(NEXT) | instid1(VALU_DEP_4)
	v_lshlrev_b64 v[21:22], 1, v[21:22]
	v_add_co_u32 v19, vcc_lo, v1, v19
	v_add_co_ci_u32_e32 v20, vcc_lo, v2, v20, vcc_lo
	s_delay_alu instid0(VALU_DEP_3) | instskip(NEXT) | instid1(VALU_DEP_4)
	v_add_co_u32 v21, vcc_lo, v1, v21
	v_add_co_ci_u32_e32 v22, vcc_lo, v2, v22, vcc_lo
	s_waitcnt lgkmcnt(3)
	global_store_b128 v[23:24], v[3:6], off
	s_waitcnt lgkmcnt(2)
	global_store_b128 v[25:26], v[7:10], off
	;; [unrolled: 2-line block ×4, first 2 shown]
	s_and_b32 exec_lo, exec_lo, s2
	s_cbranch_execz .LBB678_2
; %bb.112:
	ds_load_b128 v[3:6], v0 offset:512
	s_add_i32 s1, s31, 8
	s_delay_alu instid0(SALU_CYCLE_1) | instskip(NEXT) | instid1(SALU_CYCLE_1)
	s_mul_i32 s0, s1, s0
	s_ashr_i32 s1, s0, 31
	s_delay_alu instid0(SALU_CYCLE_1) | instskip(NEXT) | instid1(SALU_CYCLE_1)
	s_lshl_b64 s[0:1], s[0:1], 1
	v_add_co_u32 v0, vcc_lo, v1, s0
	v_add_co_ci_u32_e32 v1, vcc_lo, s1, v2, vcc_lo
	s_waitcnt lgkmcnt(0)
	global_store_b128 v[0:1], v[3:6], off
	s_nop 0
	s_sendmsg sendmsg(MSG_DEALLOC_VGPRS)
	s_endpgm
	.section	.rodata,"a",@progbits
	.p2align	6, 0x0
	.amdhsa_kernel _Z39paged_attention_ll4mi_QKV_mfma16_kernelI14__hip_bfloat16S0_LN4vllm18Fp8KVCacheDataTypeE0ES0_Li16ELi128ELi256ELb0ELi9EL8MFMAType0EEvPKT_PKT0_S9_ifPKiSB_SB_iPKfiiiPfSE_PS4_PT2_iSD_SD_
		.amdhsa_group_segment_fixed_size 17472
		.amdhsa_private_segment_fixed_size 0
		.amdhsa_kernarg_size 400
		.amdhsa_user_sgpr_count 13
		.amdhsa_user_sgpr_dispatch_ptr 0
		.amdhsa_user_sgpr_queue_ptr 0
		.amdhsa_user_sgpr_kernarg_segment_ptr 1
		.amdhsa_user_sgpr_dispatch_id 0
		.amdhsa_user_sgpr_private_segment_size 0
		.amdhsa_wavefront_size32 1
		.amdhsa_uses_dynamic_stack 0
		.amdhsa_enable_private_segment 0
		.amdhsa_system_sgpr_workgroup_id_x 1
		.amdhsa_system_sgpr_workgroup_id_y 1
		.amdhsa_system_sgpr_workgroup_id_z 1
		.amdhsa_system_sgpr_workgroup_info 0
		.amdhsa_system_vgpr_workitem_id 0
		.amdhsa_next_free_vgpr 218
		.amdhsa_next_free_sgpr 50
		.amdhsa_reserve_vcc 1
		.amdhsa_float_round_mode_32 0
		.amdhsa_float_round_mode_16_64 0
		.amdhsa_float_denorm_mode_32 3
		.amdhsa_float_denorm_mode_16_64 3
		.amdhsa_dx10_clamp 1
		.amdhsa_ieee_mode 1
		.amdhsa_fp16_overflow 0
		.amdhsa_workgroup_processor_mode 1
		.amdhsa_memory_ordered 1
		.amdhsa_forward_progress 0
		.amdhsa_shared_vgpr_count 0
		.amdhsa_exception_fp_ieee_invalid_op 0
		.amdhsa_exception_fp_denorm_src 0
		.amdhsa_exception_fp_ieee_div_zero 0
		.amdhsa_exception_fp_ieee_overflow 0
		.amdhsa_exception_fp_ieee_underflow 0
		.amdhsa_exception_fp_ieee_inexact 0
		.amdhsa_exception_int_div_zero 0
	.end_amdhsa_kernel
	.section	.text._Z39paged_attention_ll4mi_QKV_mfma16_kernelI14__hip_bfloat16S0_LN4vllm18Fp8KVCacheDataTypeE0ES0_Li16ELi128ELi256ELb0ELi9EL8MFMAType0EEvPKT_PKT0_S9_ifPKiSB_SB_iPKfiiiPfSE_PS4_PT2_iSD_SD_,"axG",@progbits,_Z39paged_attention_ll4mi_QKV_mfma16_kernelI14__hip_bfloat16S0_LN4vllm18Fp8KVCacheDataTypeE0ES0_Li16ELi128ELi256ELb0ELi9EL8MFMAType0EEvPKT_PKT0_S9_ifPKiSB_SB_iPKfiiiPfSE_PS4_PT2_iSD_SD_,comdat
.Lfunc_end678:
	.size	_Z39paged_attention_ll4mi_QKV_mfma16_kernelI14__hip_bfloat16S0_LN4vllm18Fp8KVCacheDataTypeE0ES0_Li16ELi128ELi256ELb0ELi9EL8MFMAType0EEvPKT_PKT0_S9_ifPKiSB_SB_iPKfiiiPfSE_PS4_PT2_iSD_SD_, .Lfunc_end678-_Z39paged_attention_ll4mi_QKV_mfma16_kernelI14__hip_bfloat16S0_LN4vllm18Fp8KVCacheDataTypeE0ES0_Li16ELi128ELi256ELb0ELi9EL8MFMAType0EEvPKT_PKT0_S9_ifPKiSB_SB_iPKfiiiPfSE_PS4_PT2_iSD_SD_
                                        ; -- End function
	.section	.AMDGPU.csdata,"",@progbits
; Kernel info:
; codeLenInByte = 10328
; NumSgprs: 52
; NumVgprs: 218
; ScratchSize: 0
; MemoryBound: 0
; FloatMode: 240
; IeeeMode: 1
; LDSByteSize: 17472 bytes/workgroup (compile time only)
; SGPRBlocks: 6
; VGPRBlocks: 27
; NumSGPRsForWavesPerEU: 52
; NumVGPRsForWavesPerEU: 218
; Occupancy: 6
; WaveLimiterHint : 1
; COMPUTE_PGM_RSRC2:SCRATCH_EN: 0
; COMPUTE_PGM_RSRC2:USER_SGPR: 13
; COMPUTE_PGM_RSRC2:TRAP_HANDLER: 0
; COMPUTE_PGM_RSRC2:TGID_X_EN: 1
; COMPUTE_PGM_RSRC2:TGID_Y_EN: 1
; COMPUTE_PGM_RSRC2:TGID_Z_EN: 1
; COMPUTE_PGM_RSRC2:TIDIG_COMP_CNT: 0
	.section	.text._Z39paged_attention_ll4mi_QKV_mfma16_kernelI14__hip_bfloat16S0_LN4vllm18Fp8KVCacheDataTypeE0ES0_Li16ELi128ELi256ELb0ELi10EL8MFMAType0EEvPKT_PKT0_S9_ifPKiSB_SB_iPKfiiiPfSE_PS4_PT2_iSD_SD_,"axG",@progbits,_Z39paged_attention_ll4mi_QKV_mfma16_kernelI14__hip_bfloat16S0_LN4vllm18Fp8KVCacheDataTypeE0ES0_Li16ELi128ELi256ELb0ELi10EL8MFMAType0EEvPKT_PKT0_S9_ifPKiSB_SB_iPKfiiiPfSE_PS4_PT2_iSD_SD_,comdat
	.protected	_Z39paged_attention_ll4mi_QKV_mfma16_kernelI14__hip_bfloat16S0_LN4vllm18Fp8KVCacheDataTypeE0ES0_Li16ELi128ELi256ELb0ELi10EL8MFMAType0EEvPKT_PKT0_S9_ifPKiSB_SB_iPKfiiiPfSE_PS4_PT2_iSD_SD_ ; -- Begin function _Z39paged_attention_ll4mi_QKV_mfma16_kernelI14__hip_bfloat16S0_LN4vllm18Fp8KVCacheDataTypeE0ES0_Li16ELi128ELi256ELb0ELi10EL8MFMAType0EEvPKT_PKT0_S9_ifPKiSB_SB_iPKfiiiPfSE_PS4_PT2_iSD_SD_
	.globl	_Z39paged_attention_ll4mi_QKV_mfma16_kernelI14__hip_bfloat16S0_LN4vllm18Fp8KVCacheDataTypeE0ES0_Li16ELi128ELi256ELb0ELi10EL8MFMAType0EEvPKT_PKT0_S9_ifPKiSB_SB_iPKfiiiPfSE_PS4_PT2_iSD_SD_
	.p2align	8
	.type	_Z39paged_attention_ll4mi_QKV_mfma16_kernelI14__hip_bfloat16S0_LN4vllm18Fp8KVCacheDataTypeE0ES0_Li16ELi128ELi256ELb0ELi10EL8MFMAType0EEvPKT_PKT0_S9_ifPKiSB_SB_iPKfiiiPfSE_PS4_PT2_iSD_SD_,@function
_Z39paged_attention_ll4mi_QKV_mfma16_kernelI14__hip_bfloat16S0_LN4vllm18Fp8KVCacheDataTypeE0ES0_Li16ELi128ELi256ELb0ELi10EL8MFMAType0EEvPKT_PKT0_S9_ifPKiSB_SB_iPKfiiiPfSE_PS4_PT2_iSD_SD_: ; @_Z39paged_attention_ll4mi_QKV_mfma16_kernelI14__hip_bfloat16S0_LN4vllm18Fp8KVCacheDataTypeE0ES0_Li16ELi128ELi256ELb0ELi10EL8MFMAType0EEvPKT_PKT0_S9_ifPKiSB_SB_iPKfiiiPfSE_PS4_PT2_iSD_SD_
; %bb.0:
	s_load_b64 s[4:5], s[0:1], 0x30
	s_mov_b32 s30, s13
	s_waitcnt lgkmcnt(0)
	s_cmp_lg_u64 s[4:5], 0
	s_cselect_b32 s8, -1, 0
	s_ashr_i32 s31, s13, 31
	s_cmp_eq_u64 s[4:5], 0
	s_cbranch_scc1 .LBB679_3
; %bb.1:
	s_lshl_b64 s[2:3], s[30:31], 2
	s_delay_alu instid0(SALU_CYCLE_1) | instskip(SKIP_4) | instid1(SALU_CYCLE_1)
	s_add_u32 s2, s4, s2
	s_addc_u32 s3, s5, s3
	s_load_b64 s[2:3], s[2:3], 0x0
	s_waitcnt lgkmcnt(0)
	s_sub_i32 s2, s3, s2
	s_cmp_eq_u32 s2, 1
	s_cselect_b32 s2, -1, 0
	s_delay_alu instid0(SALU_CYCLE_1)
	s_and_not1_b32 vcc_lo, exec_lo, s2
	s_cbranch_vccz .LBB679_4
.LBB679_2:
	s_endpgm
.LBB679_3:
.LBB679_4:
	s_load_b64 s[2:3], s[0:1], 0x28
	s_lshl_b64 s[6:7], s[30:31], 2
	s_waitcnt lgkmcnt(0)
	s_add_u32 s2, s2, s6
	s_addc_u32 s3, s3, s7
	s_lshl_b32 s31, s14, 8
	s_load_b32 s28, s[2:3], 0x0
	s_waitcnt lgkmcnt(0)
	s_cmp_ge_i32 s31, s28
	s_cbranch_scc1 .LBB679_2
; %bb.5:
	s_clause 0x1
	s_load_b128 s[20:23], s[0:1], 0x8
	s_load_b64 s[2:3], s[0:1], 0x20
	s_and_not1_b32 vcc_lo, exec_lo, s8
	s_cbranch_vccnz .LBB679_7
; %bb.6:
	s_add_u32 s4, s4, s6
	s_addc_u32 s5, s5, s7
	s_load_b32 s5, s[4:5], 0x0
	s_branch .LBB679_8
.LBB679_7:
	s_mov_b32 s5, s30
.LBB679_8:
	s_load_b128 s[16:19], s[0:1], 0x48
	v_and_b32_e32 v140, 15, v0
	v_lshrrev_b32_e32 v141, 5, v0
	v_and_b32_e32 v142, 31, v0
	v_and_b32_e32 v139, 1, v0
	v_bfe_u32 v138, v0, 4, 1
	v_lshlrev_b32_e32 v1, 3, v140
	s_mul_i32 s29, s15, 10
	s_mov_b32 s4, exec_lo
	s_delay_alu instid0(VALU_DEP_1)
	v_lshlrev_b32_e32 v137, 1, v1
	v_cmpx_gt_u32_e32 0xa0, v0
	s_cbranch_execz .LBB679_10
; %bb.9:
	s_load_b64 s[6:7], s[0:1], 0x0
	v_lshl_or_b32 v5, v141, 1, v138
	s_waitcnt lgkmcnt(0)
	s_mul_hi_i32 s9, s5, s16
	s_mul_i32 s8, s5, s16
	v_lshlrev_b32_e32 v6, 10, v140
	s_lshl_b64 s[8:9], s[8:9], 1
	v_add_lshl_u32 v1, v5, s29, 7
	v_lshlrev_b32_e32 v5, 6, v5
	v_lshlrev_b32_e32 v7, 10, v139
	v_and_b32_e32 v6, 0x3800, v6
	s_delay_alu instid0(VALU_DEP_4) | instskip(NEXT) | instid1(VALU_DEP_2)
	v_ashrrev_i32_e32 v2, 31, v1
	v_or3_b32 v5, v6, v7, v5
	s_delay_alu instid0(VALU_DEP_2) | instskip(SKIP_2) | instid1(VALU_DEP_1)
	v_lshlrev_b64 v[1:2], 1, v[1:2]
	s_add_u32 s5, s6, s8
	s_addc_u32 s6, s7, s9
	v_add_co_u32 v1, vcc_lo, s5, v1
	s_delay_alu instid0(VALU_DEP_2) | instskip(NEXT) | instid1(VALU_DEP_2)
	v_add_co_ci_u32_e32 v2, vcc_lo, s6, v2, vcc_lo
	v_add_co_u32 v1, vcc_lo, v1, v137
	s_delay_alu instid0(VALU_DEP_2)
	v_add_co_ci_u32_e32 v2, vcc_lo, 0, v2, vcc_lo
	global_load_b128 v[1:4], v[1:2], off
	s_waitcnt vmcnt(0)
	ds_store_b128 v5, v[1:4]
.LBB679_10:
	s_or_b32 exec_lo, exec_lo, s4
	v_and_b32_e32 v1, 0xef, v0
	s_waitcnt lgkmcnt(0)
	s_add_i32 s5, s28, 15
	s_clause 0x1
	s_load_b32 s4, s[0:1], 0x38
	s_load_b32 s33, s[0:1], 0x1c
	s_ashr_i32 s6, s5, 31
	v_add_nc_u32_e32 v1, s31, v1
	s_lshr_b32 s6, s6, 28
	s_waitcnt lgkmcnt(0)
	s_add_i32 s5, s5, s6
	s_barrier
	v_ashrrev_i32_e32 v2, 31, v1
	v_cmp_gt_i32_e32 vcc_lo, s28, v1
	s_ashr_i32 s16, s5, 4
	buffer_gl0_inv
	s_add_i32 s16, s16, -1
	v_lshrrev_b32_e32 v3, 28, v2
	v_or_b32_e32 v2, 16, v1
	v_add_nc_u32_e32 v105, -10, v140
	v_lshlrev_b32_e32 v106, 5, v140
	s_delay_alu instid0(VALU_DEP_4) | instskip(NEXT) | instid1(VALU_DEP_4)
	v_add_nc_u32_e32 v4, v1, v3
	v_add_nc_u32_e32 v3, v2, v3
	s_mul_i32 s4, s30, s4
	s_delay_alu instid0(VALU_DEP_3) | instskip(SKIP_4) | instid1(SALU_CYCLE_1)
	v_lshl_or_b32 v125, v141, 9, v106
	s_ashr_i32 s5, s4, 31
	v_ashrrev_i32_e32 v4, 4, v4
	v_ashrrev_i32_e32 v3, 4, v3
	s_lshl_b64 s[4:5], s[4:5], 2
	s_add_u32 s34, s2, s4
	s_delay_alu instid0(VALU_DEP_2) | instskip(SKIP_3) | instid1(VALU_DEP_2)
	v_cndmask_b32_e32 v1, s16, v4, vcc_lo
	v_cmp_gt_i32_e32 vcc_lo, s28, v2
	s_addc_u32 s35, s3, s5
	s_mul_i32 s2, s15, s18
	v_ashrrev_i32_e32 v2, 31, v1
	v_cndmask_b32_e32 v3, s16, v3, vcc_lo
	s_ashr_i32 s3, s2, 31
	s_delay_alu instid0(SALU_CYCLE_1) | instskip(NEXT) | instid1(VALU_DEP_2)
	s_lshl_b64 s[2:3], s[2:3], 1
	v_lshlrev_b64 v[1:2], 2, v[1:2]
	s_delay_alu instid0(VALU_DEP_2) | instskip(SKIP_3) | instid1(VALU_DEP_1)
	v_ashrrev_i32_e32 v4, 31, v3
	s_add_u32 s24, s20, s2
	s_addc_u32 s25, s21, s3
	s_lshl_b32 s4, s14, 4
	v_lshlrev_b64 v[3:4], 2, v[3:4]
	v_add_co_u32 v1, vcc_lo, s34, v1
	v_add_co_ci_u32_e32 v2, vcc_lo, s35, v2, vcc_lo
	s_ashr_i32 s5, s4, 31
	s_delay_alu instid0(VALU_DEP_3) | instskip(NEXT) | instid1(VALU_DEP_4)
	v_add_co_u32 v3, vcc_lo, s34, v3
	v_add_co_ci_u32_e32 v4, vcc_lo, s35, v4, vcc_lo
	s_lshl_b64 s[4:5], s[4:5], 2
	s_clause 0x1
	global_load_b32 v5, v[1:2], off
	global_load_b32 v6, v[3:4], off
	s_add_u32 s4, s34, s4
	s_addc_u32 s5, s35, s5
	s_or_b32 s6, s31, 16
	v_lshlrev_b32_e32 v3, 4, v0
	s_ashr_i32 s7, s6, 4
	s_cmp_lt_i32 s6, s28
	s_cselect_b32 s6, s7, s16
	s_delay_alu instid0(SALU_CYCLE_1) | instskip(NEXT) | instid1(SALU_CYCLE_1)
	s_ashr_i32 s7, s6, 31
	s_lshl_b64 s[6:7], s[6:7], 2
	s_delay_alu instid0(SALU_CYCLE_1) | instskip(SKIP_2) | instid1(SALU_CYCLE_1)
	s_add_u32 s6, s34, s6
	s_addc_u32 s7, s35, s7
	s_or_b32 s8, s31, 32
	s_ashr_i32 s9, s8, 4
	s_cmp_lt_i32 s8, s28
	s_cselect_b32 s8, s9, s16
	s_delay_alu instid0(SALU_CYCLE_1) | instskip(NEXT) | instid1(SALU_CYCLE_1)
	s_ashr_i32 s9, s8, 31
	s_lshl_b64 s[8:9], s[8:9], 2
	s_delay_alu instid0(SALU_CYCLE_1) | instskip(SKIP_2) | instid1(SALU_CYCLE_1)
	s_add_u32 s8, s34, s8
	s_addc_u32 s9, s35, s9
	s_or_b32 s10, s31, 48
	;; [unrolled: 10-line block ×4, first 2 shown]
	s_ashr_i32 s13, s12, 4
	s_cmp_lt_i32 s12, s28
	s_cselect_b32 s12, s13, s16
	s_delay_alu instid0(SALU_CYCLE_1) | instskip(NEXT) | instid1(SALU_CYCLE_1)
	s_ashr_i32 s13, s12, 31
	s_lshl_b64 s[12:13], s[12:13], 2
	s_delay_alu instid0(SALU_CYCLE_1)
	s_add_u32 s20, s34, s12
	s_addc_u32 s21, s35, s13
	s_clause 0x5
	s_load_b32 s36, s[4:5], 0x0
	s_load_b32 s27, s[6:7], 0x0
	;; [unrolled: 1-line block ×6, first 2 shown]
	s_waitcnt vmcnt(1)
	v_mad_i64_i32 v[1:2], null, v5, s17, 0
	v_and_b32_e32 v5, 0xf0, v3
	s_waitcnt vmcnt(0)
	v_mad_i64_i32 v[3:4], null, v6, s17, 0
	s_delay_alu instid0(VALU_DEP_2) | instskip(NEXT) | instid1(VALU_DEP_4)
	v_add_co_u32 v5, s4, s24, v5
	v_lshlrev_b64 v[1:2], 1, v[1:2]
	v_add_co_ci_u32_e64 v6, null, s25, 0, s4
	s_delay_alu instid0(VALU_DEP_4) | instskip(SKIP_1) | instid1(VALU_DEP_3)
	v_lshlrev_b64 v[3:4], 1, v[3:4]
	s_or_b32 s4, s31, 0x60
	v_add_co_u32 v121, vcc_lo, v5, v1
	s_delay_alu instid0(VALU_DEP_3) | instskip(NEXT) | instid1(VALU_DEP_3)
	v_add_co_ci_u32_e32 v122, vcc_lo, v6, v2, vcc_lo
	v_add_co_u32 v123, vcc_lo, v5, v3
	s_delay_alu instid0(VALU_DEP_4)
	v_add_co_ci_u32_e32 v124, vcc_lo, v6, v4, vcc_lo
	s_clause 0x19
	global_load_b128 v[89:92], v[121:122], off
	global_load_b128 v[93:96], v[121:122], off offset:256
	global_load_b128 v[97:100], v[123:124], off
	global_load_b128 v[101:104], v[123:124], off offset:256
	global_load_b128 v[81:84], v[121:122], off offset:512
	;; [unrolled: 1-line block ×23, first 2 shown]
	s_ashr_i32 s5, s4, 4
	s_cmp_lt_i32 s4, s28
	v_cmp_gt_u32_e32 vcc_lo, 10, v140
	s_cselect_b32 s4, s5, s16
	s_delay_alu instid0(SALU_CYCLE_1) | instskip(NEXT) | instid1(SALU_CYCLE_1)
	s_ashr_i32 s5, s4, 31
	s_lshl_b64 s[4:5], s[4:5], 2
	v_cndmask_b32_e32 v105, v105, v140, vcc_lo
	s_add_u32 s18, s34, s4
	s_addc_u32 s19, s35, s5
	s_or_b32 s4, s31, 0x70
	s_delay_alu instid0(SALU_CYCLE_1)
	s_ashr_i32 s5, s4, 4
	s_cmp_lt_i32 s4, s28
	v_lshlrev_b32_e32 v215, 6, v105
	s_cselect_b32 s6, s5, s16
	ds_load_b128 v[105:108], v215
	ds_load_b128 v[109:112], v215 offset:1024
	s_ashr_i32 s7, s6, 31
	ds_load_b128 v[113:116], v215 offset:2048
	ds_load_b128 v[117:120], v215 offset:3072
	;; [unrolled: 1-line block ×8, first 2 shown]
	s_clause 0x1
	global_load_b128 v[167:170], v[123:124], off offset:3072
	global_load_b128 v[171:174], v[123:124], off offset:3328
	s_lshl_b64 s[6:7], s[6:7], 2
	s_mov_b32 s4, 0
	s_add_u32 s20, s34, s6
	s_addc_u32 s21, s35, s7
	s_clause 0x1
	s_load_b32 s42, s[18:19], 0x0
	s_load_b32 s43, s[20:21], 0x0
	s_clause 0x3
	global_load_b128 v[175:178], v[121:122], off offset:3584
	global_load_b128 v[179:182], v[121:122], off offset:3840
	;; [unrolled: 1-line block ×4, first 2 shown]
	s_or_b32 s7, s31, 0x80
	s_mov_b32 s5, s4
	s_ashr_i32 s8, s7, 4
	s_cmp_lt_i32 s7, s28
	s_mov_b32 s6, s4
	s_cselect_b32 s10, s8, s16
	s_mov_b32 s7, s4
	s_ashr_i32 s11, s10, 31
	s_mov_b32 s8, s4
	s_lshl_b64 s[24:25], s[10:11], 2
	s_mov_b32 s9, s4
	s_add_u32 s24, s34, s24
	s_addc_u32 s25, s35, s25
	s_or_b32 s11, s31, 0x90
	s_mov_b32 s10, s4
	s_ashr_i32 s37, s11, 4
	s_cmp_lt_i32 s11, s28
	s_mov_b32 s11, s4
	s_cselect_b32 s38, s37, s16
	v_mov_b32_e32 v136, s11
	s_ashr_i32 s39, s38, 31
	v_dual_mov_b32 v135, s10 :: v_dual_mov_b32 v134, s9
	v_dual_mov_b32 v133, s8 :: v_dual_mov_b32 v132, s7
	;; [unrolled: 1-line block ×3, first 2 shown]
	v_mov_b32_e32 v129, s4
	s_lshl_b64 s[4:5], s[38:39], 2
	s_waitcnt lgkmcnt(0)
	s_mul_hi_i32 s7, s27, s17
	s_add_u32 s38, s34, s4
	s_addc_u32 s39, s35, s5
	s_or_b32 s4, s31, 0xa0
	s_load_b32 s39, s[38:39], 0x0
	s_ashr_i32 s5, s4, 4
	s_cmp_lt_i32 s4, s28
	s_cselect_b32 s4, s5, s16
	s_delay_alu instid0(SALU_CYCLE_1) | instskip(NEXT) | instid1(SALU_CYCLE_1)
	s_ashr_i32 s5, s4, 31
	s_lshl_b64 s[4:5], s[4:5], 2
	s_delay_alu instid0(SALU_CYCLE_1)
	s_add_u32 s40, s34, s4
	s_addc_u32 s41, s35, s5
	s_or_b32 s4, s31, 0xb0
	s_mul_hi_i32 s5, s36, s17
	s_ashr_i32 s6, s4, 4
	s_cmp_lt_i32 s4, s28
	s_mul_i32 s4, s36, s17
	s_cselect_b32 s8, s6, s16
	s_mul_i32 s6, s27, s17
	s_ashr_i32 s9, s8, 31
	s_load_b32 s38, s[40:41], 0x0
	s_lshl_b64 s[10:11], s[8:9], 2
	s_mul_hi_i32 s9, s26, s17
	s_add_u32 s36, s34, s10
	s_addc_u32 s37, s35, s11
	s_or_b32 s10, s31, 0xc0
	s_mul_i32 s8, s26, s17
	s_ashr_i32 s26, s10, 4
	s_cmp_lt_i32 s10, s28
	s_mul_hi_i32 s11, s13, s17
	s_cselect_b32 s26, s26, s16
	s_mul_i32 s10, s13, s17
	s_ashr_i32 s27, s26, 31
	s_mul_hi_i32 s13, s12, s17
	s_lshl_b64 s[26:27], s[26:27], 2
	s_mul_i32 s12, s12, s17
	s_add_u32 s20, s34, s26
	s_addc_u32 s21, s35, s27
	s_or_b32 s18, s31, 0xd0
	s_load_b32 s26, s[24:25], 0x0
	s_ashr_i32 s19, s18, 4
	s_cmp_lt_i32 s18, s28
	s_mul_i32 s18, s15, s17
	s_cselect_b32 s24, s19, s16
	s_mul_hi_i32 s19, s15, s17
	s_ashr_i32 s25, s24, 31
	s_waitcnt lgkmcnt(0)
	s_mul_hi_i32 s41, s39, s17
	s_lshl_b64 s[24:25], s[24:25], 2
	s_delay_alu instid0(SALU_CYCLE_1)
	s_add_u32 s24, s34, s24
	s_addc_u32 s25, s35, s25
	s_or_b32 s40, s31, 0xe0
	s_clause 0x2
	s_load_b32 s37, s[36:37], 0x0
	s_load_b32 s36, s[20:21], 0x0
	s_load_b32 s15, s[24:25], 0x0
	s_ashr_i32 s44, s40, 4
	s_cmp_lt_i32 s40, s28
	s_mul_hi_i32 s21, s42, s17
	s_mul_i32 s20, s42, s17
	s_cselect_b32 s42, s44, s16
	s_mul_hi_i32 s25, s43, s17
	s_mul_i32 s24, s43, s17
	s_ashr_i32 s43, s42, 31
	s_mul_hi_i32 s27, s26, s17
	s_lshl_b64 s[42:43], s[42:43], 2
	s_mul_i32 s26, s26, s17
	s_add_u32 s42, s34, s42
	s_addc_u32 s43, s35, s43
	s_or_b32 s44, s31, 0xf0
	s_mul_i32 s40, s39, s17
	s_ashr_i32 s46, s44, 4
	s_cmp_lt_i32 s44, s28
	s_mul_hi_i32 s39, s38, s17
	s_cselect_b32 s46, s46, s16
	s_waitcnt lgkmcnt(0)
	s_mul_hi_i32 s49, s15, s17
	s_ashr_i32 s47, s46, 31
	s_mul_i32 s48, s15, s17
	s_lshl_b64 s[46:47], s[46:47], 2
	s_mul_i32 s38, s38, s17
	s_add_u32 s34, s34, s46
	s_addc_u32 s35, s35, s47
	s_add_u32 s15, s22, s2
	s_addc_u32 s16, s23, s3
	v_add_co_u32 v216, s15, s15, v125
	s_delay_alu instid0(VALU_DEP_1) | instskip(SKIP_2) | instid1(VALU_DEP_2)
	v_add_co_ci_u32_e64 v217, null, s16, 0, s15
	s_lshl_b64 s[2:3], s[4:5], 1
	s_lshl_b64 s[4:5], s[6:7], 1
	v_add_co_u32 v125, vcc_lo, v216, s2
	s_delay_alu instid0(VALU_DEP_2)
	v_add_co_ci_u32_e32 v126, vcc_lo, s3, v217, vcc_lo
	v_add_co_u32 v199, vcc_lo, v216, s4
	s_lshl_b64 s[6:7], s[8:9], 1
	v_add_co_ci_u32_e32 v200, vcc_lo, s5, v217, vcc_lo
	s_lshl_b64 s[8:9], s[10:11], 1
	s_lshl_b64 s[10:11], s[12:13], 1
	;; [unrolled: 1-line block ×8, first 2 shown]
	s_mul_hi_i32 s45, s37, s17
	s_mul_i32 s44, s37, s17
	s_mul_hi_i32 s37, s36, s17
	s_lshl_b64 s[38:39], s[44:45], 1
	s_mul_i32 s36, s36, s17
	s_clause 0x1
	s_load_b32 s15, s[42:43], 0x0
	s_load_b32 s16, s[34:35], 0x0
	s_lshl_b64 s[36:37], s[36:37], 1
	s_lshl_b64 s[40:41], s[48:49], 1
	s_waitcnt lgkmcnt(0)
	s_mul_hi_i32 s3, s15, s17
	s_mul_i32 s2, s15, s17
	s_mul_hi_i32 s5, s16, s17
	s_lshl_b64 s[2:3], s[2:3], 1
	s_mul_i32 s4, s16, s17
	s_waitcnt vmcnt(30)
	v_wmma_f32_16x16x16_bf16 v[191:198], v[89:96], v[105:112], v[129:136]
	v_add_co_u32 v89, vcc_lo, v216, s6
	v_add_co_ci_u32_e32 v90, vcc_lo, s7, v217, vcc_lo
	v_add_co_u32 v91, vcc_lo, v216, s8
	v_add_co_ci_u32_e32 v92, vcc_lo, s9, v217, vcc_lo
	;; [unrolled: 2-line block ×5, first 2 shown]
	v_add_co_u32 v205, vcc_lo, v216, s20
	s_waitcnt vmcnt(28)
	v_wmma_f32_16x16x16_bf16 v[129:136], v[97:104], v[105:112], v[129:136]
	v_add_co_ci_u32_e32 v206, vcc_lo, s21, v217, vcc_lo
	v_add_co_u32 v207, vcc_lo, v216, s22
	v_add_co_ci_u32_e32 v208, vcc_lo, s23, v217, vcc_lo
	v_add_co_u32 v209, vcc_lo, v216, s24
	s_waitcnt vmcnt(26)
	v_wmma_f32_16x16x16_bf16 v[191:198], v[81:88], v[113:120], v[191:198]
	s_waitcnt vmcnt(24)
	v_wmma_f32_16x16x16_bf16 v[129:136], v[73:80], v[113:120], v[129:136]
	v_add_co_ci_u32_e32 v210, vcc_lo, s25, v217, vcc_lo
	v_add_co_u32 v211, vcc_lo, v216, s26
	v_add_co_ci_u32_e32 v212, vcc_lo, s27, v217, vcc_lo
	v_add_co_u32 v213, vcc_lo, v216, s38
	s_waitcnt vmcnt(22)
	v_wmma_f32_16x16x16_bf16 v[191:198], v[65:72], v[143:150], v[191:198]
	s_waitcnt vmcnt(20)
	v_wmma_f32_16x16x16_bf16 v[129:136], v[57:64], v[143:150], v[129:136]
	v_add_co_ci_u32_e32 v214, vcc_lo, s39, v217, vcc_lo
	v_add_co_u32 v143, vcc_lo, v216, s36
	s_waitcnt vmcnt(18)
	v_wmma_f32_16x16x16_bf16 v[191:198], v[49:56], v[151:158], v[191:198]
	s_waitcnt vmcnt(16)
	v_wmma_f32_16x16x16_bf16 v[129:136], v[41:48], v[151:158], v[129:136]
	v_add_co_ci_u32_e32 v144, vcc_lo, s37, v217, vcc_lo
	s_clause 0x15
	global_load_b128 v[121:124], v[125:126], off
	global_load_b128 v[125:128], v[125:126], off offset:16
	global_load_b128 v[113:116], v[199:200], off
	global_load_b128 v[117:120], v[199:200], off offset:16
	;; [unrolled: 2-line block ×11, first 2 shown]
	s_waitcnt vmcnt(36)
	v_wmma_f32_16x16x16_bf16 v[191:198], v[17:24], v[159:166], v[191:198]
	s_clause 0x1
	global_load_b128 v[17:20], v[213:214], off
	global_load_b128 v[21:24], v[213:214], off offset:16
	s_waitcnt vmcnt(36)
	v_wmma_f32_16x16x16_bf16 v[129:136], v[1:8], v[159:166], v[129:136]
	s_clause 0x1
	global_load_b128 v[1:4], v[143:144], off
	global_load_b128 v[5:8], v[143:144], off offset:16
	ds_load_b128 v[143:146], v215 offset:10240
	ds_load_b128 v[147:150], v215 offset:11264
	;; [unrolled: 1-line block ×4, first 2 shown]
	v_add_co_u32 v199, vcc_lo, v216, s40
	v_add_co_ci_u32_e32 v200, vcc_lo, s41, v217, vcc_lo
	v_add_co_u32 v159, vcc_lo, v216, s2
	v_add_co_ci_u32_e32 v160, vcc_lo, s3, v217, vcc_lo
	s_lshl_b64 s[2:3], s[4:5], 1
	s_delay_alu instid0(SALU_CYCLE_1)
	v_add_co_u32 v161, vcc_lo, v216, s2
	v_add_co_ci_u32_e32 v162, vcc_lo, s3, v217, vcc_lo
	s_waitcnt vmcnt(36) lgkmcnt(2)
	v_wmma_f32_16x16x16_bf16 v[191:198], v[25:32], v[143:150], v[191:198]
	s_waitcnt vmcnt(34)
	v_wmma_f32_16x16x16_bf16 v[129:136], v[33:40], v[143:150], v[129:136]
	s_clause 0x3
	global_load_b128 v[25:28], v[199:200], off
	global_load_b128 v[29:32], v[199:200], off offset:16
	global_load_b128 v[33:36], v[159:160], off
	global_load_b128 v[37:40], v[159:160], off offset:16
	v_and_b32_e32 v143, 0xe0, v0
	v_mbcnt_lo_u32_b32 v159, -1, 0
	s_waitcnt vmcnt(36) lgkmcnt(0)
	v_wmma_f32_16x16x16_bf16 v[191:198], v[9:16], v[151:158], v[191:198]
	s_clause 0x1
	global_load_b128 v[9:12], v[161:162], off
	global_load_b128 v[13:16], v[161:162], off offset:16
	s_waitcnt vmcnt(36)
	v_wmma_f32_16x16x16_bf16 v[129:136], v[167:174], v[151:158], v[129:136]
	v_add_nc_u32_e32 v160, s31, v143
	ds_load_b128 v[143:146], v215 offset:14336
	ds_load_b128 v[147:150], v215 offset:15360
	v_xor_b32_e32 v151, 16, v159
	s_waitcnt vmcnt(0) lgkmcnt(0)
	s_barrier
	v_or_b32_e32 v152, v160, v138
	buffer_gl0_inv
	v_cmp_gt_i32_e32 vcc_lo, 32, v151
	v_or_b32_e32 v153, 2, v152
	v_or_b32_e32 v154, 4, v152
	;; [unrolled: 1-line block ×5, first 2 shown]
	v_cmp_gt_i32_e64 s2, s28, v153
	v_cmp_gt_i32_e64 s3, s28, v154
	;; [unrolled: 1-line block ×3, first 2 shown]
	v_or_b32_e32 v158, 12, v152
	v_cmp_gt_i32_e64 s5, s28, v156
	v_cmp_gt_i32_e64 s6, s28, v157
	v_wmma_f32_16x16x16_bf16 v[191:198], v[175:182], v[143:150], v[191:198]
	v_wmma_f32_16x16x16_bf16 v[129:136], v[183:190], v[143:150], v[129:136]
	v_cndmask_b32_e32 v151, v159, v151, vcc_lo
	v_cmp_gt_i32_e32 vcc_lo, s28, v152
	v_or_b32_e32 v159, 14, v152
	v_dual_mul_f32 v149, s33, v192 :: v_dual_mul_f32 v150, s33, v191
	v_dual_mul_f32 v147, s33, v194 :: v_dual_mul_f32 v148, s33, v193
	v_mul_f32_e32 v145, s33, v196
	s_delay_alu instid0(VALU_DEP_3) | instskip(NEXT) | instid1(VALU_DEP_4)
	v_cndmask_b32_e64 v149, 0xff7fffff, v149, s2
	v_cndmask_b32_e32 v150, 0xff7fffff, v150, vcc_lo
	v_mul_f32_e32 v146, s33, v195
	v_cndmask_b32_e64 v148, 0xff7fffff, v148, s3
	v_cndmask_b32_e64 v147, 0xff7fffff, v147, s4
	v_or_b32_e32 v160, 16, v152
	v_max3_f32 v149, v150, 0xff7fffff, v149
	v_or_b32_e32 v161, 18, v152
	v_dual_mul_f32 v143, s33, v198 :: v_dual_mul_f32 v144, s33, v197
	v_cndmask_b32_e64 v146, 0xff7fffff, v146, s5
	v_cndmask_b32_e64 v145, 0xff7fffff, v145, s6
	v_max3_f32 v147, v149, v148, v147
	v_cmp_gt_i32_e64 s7, s28, v158
	v_cmp_gt_i32_e64 s8, s28, v159
	v_or_b32_e32 v162, 20, v152
	v_or_b32_e32 v163, 22, v152
	v_dual_mul_f32 v174, s33, v130 :: v_dual_mul_f32 v175, s33, v129
	v_cndmask_b32_e64 v144, 0xff7fffff, v144, s7
	v_cndmask_b32_e64 v143, 0xff7fffff, v143, s8
	v_max3_f32 v145, v147, v146, v145
	v_cmp_gt_i32_e64 s9, s28, v160
	v_cmp_gt_i32_e64 s10, s28, v161
	v_or_b32_e32 v164, 24, v152
	;; [unrolled: 8-line block ×3, first 2 shown]
	v_or_b32_e32 v167, 30, v152
	v_dual_mul_f32 v170, s33, v134 :: v_dual_mul_f32 v171, s33, v133
	v_cndmask_b32_e64 v144, 0xff7fffff, v173, s11
	v_cndmask_b32_e64 v145, 0xff7fffff, v172, s12
	v_max3_f32 v143, v143, v146, v147
	v_cmp_gt_i32_e64 s13, s28, v164
	v_cmp_gt_i32_e64 s15, s28, v165
	v_dual_mul_f32 v168, s33, v136 :: v_dual_mul_f32 v169, s33, v135
	s_delay_alu instid0(VALU_DEP_4) | instskip(NEXT) | instid1(VALU_DEP_4)
	v_max3_f32 v143, v143, v144, v145
	v_cndmask_b32_e64 v146, 0xff7fffff, v171, s13
	s_delay_alu instid0(VALU_DEP_4) | instskip(SKIP_3) | instid1(VALU_DEP_4)
	v_cndmask_b32_e64 v147, 0xff7fffff, v170, s15
	v_cmp_gt_i32_e64 s16, s28, v166
	v_cmp_gt_i32_e64 s17, s28, v167
	v_lshlrev_b32_e32 v154, 2, v151
	v_max3_f32 v143, v143, v146, v147
	s_delay_alu instid0(VALU_DEP_4) | instskip(NEXT) | instid1(VALU_DEP_4)
	v_cndmask_b32_e64 v144, 0xff7fffff, v169, s16
	v_cndmask_b32_e64 v145, 0xff7fffff, v168, s17
	s_delay_alu instid0(VALU_DEP_1) | instskip(SKIP_3) | instid1(VALU_DEP_1)
	v_max3_f32 v143, v143, v144, v145
	ds_bpermute_b32 v144, v154, v143
	s_waitcnt lgkmcnt(0)
	v_max_f32_e32 v144, v144, v144
	v_max_f32_e32 v153, v143, v144
	s_delay_alu instid0(VALU_DEP_1) | instskip(SKIP_4) | instid1(VALU_DEP_4)
	v_fma_f32 v143, s33, v191, -v153
	v_fma_f32 v144, s33, v192, -v153
	;; [unrolled: 1-line block ×5, first 2 shown]
	v_dual_mul_f32 v143, 0x3fb8aa3b, v143 :: v_dual_mul_f32 v144, 0x3fb8aa3b, v144
	s_delay_alu instid0(VALU_DEP_4) | instskip(SKIP_2) | instid1(VALU_DEP_4)
	v_mul_f32_e32 v132, 0x3fb8aa3b, v132
	v_fma_f32 v134, s33, v134, -v153
	v_mul_f32_e32 v145, 0x3fb8aa3b, v145
	v_exp_f32_e32 v143, v143
	v_exp_f32_e32 v147, v144
	v_fma_f32 v148, s33, v195, -v153
	v_mul_f32_e32 v134, 0x3fb8aa3b, v134
	v_mul_f32_e32 v146, 0x3fb8aa3b, v146
	v_exp_f32_e32 v145, v145
	v_fma_f32 v151, s33, v197, -v153
	v_mul_f32_e32 v148, 0x3fb8aa3b, v148
	v_fma_f32 v129, s33, v129, -v153
	v_exp_f32_e32 v149, v146
	v_cndmask_b32_e32 v144, 0, v143, vcc_lo
	v_fma_f32 v143, s33, v196, -v153
	v_cndmask_b32_e64 v146, 0, v147, s2
	v_exp_f32_e32 v148, v148
	s_delay_alu instid0(VALU_DEP_3) | instskip(NEXT) | instid1(VALU_DEP_3)
	v_dual_mul_f32 v151, 0x3fb8aa3b, v151 :: v_dual_add_f32 v150, 0, v144
	v_mul_f32_e32 v143, 0x3fb8aa3b, v143
	v_cndmask_b32_e64 v147, 0, v145, s3
	v_fma_f32 v130, s33, v130, -v153
	s_delay_alu instid0(TRANS32_DEP_2)
	v_cndmask_b32_e64 v149, 0, v149, s4
	v_add_f32_e32 v145, v150, v146
	v_fma_f32 v150, s33, v198, -v153
	v_exp_f32_e32 v143, v143
	v_exp_f32_e32 v155, v151
	v_mul_f32_e32 v129, 0x3fb8aa3b, v129
	s_delay_alu instid0(VALU_DEP_2) | instskip(SKIP_2) | instid1(VALU_DEP_3)
	v_dual_add_f32 v145, v145, v147 :: v_dual_mul_f32 v152, 0x3fb8aa3b, v150
	v_cndmask_b32_e64 v150, 0, v148, s5
	v_fma_f32 v131, s33, v131, -v153
	v_dual_mul_f32 v130, 0x3fb8aa3b, v130 :: v_dual_add_f32 v145, v145, v149
	s_delay_alu instid0(VALU_DEP_4) | instskip(NEXT) | instid1(TRANS32_DEP_3)
	v_exp_f32_e32 v152, v152
	v_cndmask_b32_e64 v151, 0, v143, s6
	v_exp_f32_e32 v129, v129
	s_delay_alu instid0(TRANS32_DEP_3)
	v_cndmask_b32_e64 v148, 0, v155, s7
	v_add_f32_e32 v143, v145, v150
	v_mul_f32_e32 v131, 0x3fb8aa3b, v131
	v_exp_f32_e32 v130, v130
	v_fma_f32 v133, s33, v133, -v153
	v_fma_f32 v136, s33, v136, -v153
	v_add_f32_e32 v143, v143, v151
	v_cndmask_b32_e64 v152, 0, v152, s8
	v_exp_f32_e32 v145, v131
	v_cndmask_b32_e64 v131, 0, v129, s9
	v_mul_f32_e32 v133, 0x3fb8aa3b, v133
	v_add_f32_e32 v143, v143, v148
	s_mov_b32 s2, exec_lo
	s_delay_alu instid0(VALU_DEP_1)
	v_add_f32_e32 v129, v143, v152
	v_exp_f32_e32 v143, v132
	v_cndmask_b32_e64 v132, 0, v130, s10
	v_fma_f32 v130, s33, v135, -v153
	v_exp_f32_e32 v135, v133
	v_add_f32_e32 v129, v129, v131
	v_cndmask_b32_e64 v133, 0, v145, s11
	v_exp_f32_e32 v145, v134
	s_delay_alu instid0(VALU_DEP_2) | instskip(NEXT) | instid1(TRANS32_DEP_3)
	v_dual_mul_f32 v130, 0x3fb8aa3b, v130 :: v_dual_add_f32 v129, v129, v132
	v_cndmask_b32_e64 v134, 0, v143, s12
	v_mul_f32_e32 v143, 0x3fb8aa3b, v136
	s_delay_alu instid0(VALU_DEP_3) | instskip(NEXT) | instid1(TRANS32_DEP_3)
	v_exp_f32_e32 v130, v130
	v_cndmask_b32_e64 v135, 0, v135, s13
	v_add_f32_e32 v129, v129, v133
	s_delay_alu instid0(TRANS32_DEP_2) | instskip(SKIP_1) | instid1(VALU_DEP_2)
	v_cndmask_b32_e64 v136, 0, v145, s15
	v_exp_f32_e32 v145, v143
	v_add_f32_e32 v129, v129, v134
	s_waitcnt_depctr 0xfff
	v_cndmask_b32_e64 v143, 0, v130, s16
	v_add_f32_e32 v129, v129, v135
	v_cndmask_b32_e64 v145, 0, v145, s17
	s_delay_alu instid0(VALU_DEP_2) | instskip(NEXT) | instid1(VALU_DEP_1)
	v_add_f32_e32 v129, v129, v136
	v_add_f32_e32 v129, v129, v143
	s_delay_alu instid0(VALU_DEP_1)
	v_add_f32_e32 v129, v129, v145
	ds_bpermute_b32 v130, v154, v129
	v_cmpx_gt_u32_e32 16, v142
	s_cbranch_execz .LBB679_12
; %bb.11:
	v_mul_u32_u24_e32 v142, 0x44, v141
	s_waitcnt lgkmcnt(0)
	v_add_f32_e32 v129, v129, v130
	s_delay_alu instid0(VALU_DEP_2) | instskip(NEXT) | instid1(VALU_DEP_1)
	v_lshl_add_u32 v142, v140, 2, v142
	v_add_nc_u32_e32 v130, 0x4000, v142
	ds_store_2addr_b32 v130, v153, v129 offset1:136
.LBB679_12:
	s_or_b32 exec_lo, exec_lo, s2
	v_lshlrev_b32_e32 v129, 2, v140
	s_waitcnt lgkmcnt(0)
	s_barrier
	buffer_gl0_inv
	v_cmp_eq_u32_e64 s2, 1, v141
	v_add_nc_u32_e32 v142, 0x4000, v129
	ds_load_2addr_b32 v[153:154], v142 offset1:17
	ds_load_2addr_b32 v[155:156], v142 offset0:34 offset1:51
	ds_load_2addr_b32 v[157:158], v142 offset0:68 offset1:85
	;; [unrolled: 1-line block ×4, first 2 shown]
	s_waitcnt lgkmcnt(4)
	v_max3_f32 v129, v153, 0xff7fffff, v154
	s_waitcnt lgkmcnt(3)
	s_delay_alu instid0(VALU_DEP_1) | instskip(SKIP_1) | instid1(VALU_DEP_1)
	v_max3_f32 v129, v129, v155, v156
	s_waitcnt lgkmcnt(2)
	v_max3_f32 v129, v129, v157, v158
	s_waitcnt lgkmcnt(1)
	s_delay_alu instid0(VALU_DEP_1) | instskip(NEXT) | instid1(VALU_DEP_1)
	v_max3_f32 v129, v129, v159, v160
	v_sub_f32_e32 v163, v154, v129
	v_sub_f32_e32 v130, v153, v129
	ds_load_2addr_b32 v[153:154], v142 offset0:170 offset1:187
	v_sub_f32_e32 v155, v155, v129
	v_dual_mul_f32 v163, 0x3fb8aa3b, v163 :: v_dual_mul_f32 v130, 0x3fb8aa3b, v130
	s_delay_alu instid0(VALU_DEP_2) | instskip(NEXT) | instid1(VALU_DEP_2)
	v_mul_f32_e32 v165, 0x3fb8aa3b, v155
	v_exp_f32_e32 v163, v163
	s_delay_alu instid0(VALU_DEP_2)
	v_exp_f32_e32 v164, v130
	v_sub_f32_e32 v130, v156, v129
	ds_load_2addr_b32 v[155:156], v142 offset0:204 offset1:221
	v_exp_f32_e32 v165, v165
	v_mul_f32_e32 v166, 0x3fb8aa3b, v130
	s_waitcnt lgkmcnt(2)
	v_fma_f32 v130, v164, v161, 0
	v_sub_f32_e32 v157, v157, v129
	s_delay_alu instid0(VALU_DEP_3) | instskip(NEXT) | instid1(VALU_DEP_2)
	v_exp_f32_e32 v166, v166
	v_dual_sub_f32 v161, v158, v129 :: v_dual_fmac_f32 v130, v163, v162
	s_waitcnt lgkmcnt(1)
	s_waitcnt_depctr 0xfff
	v_fmac_f32_e32 v130, v165, v153
	v_mul_f32_e32 v167, 0x3fb8aa3b, v157
	ds_load_2addr_b32 v[157:158], v142 offset0:238 offset1:255
	v_sub_f32_e32 v142, v159, v129
	v_dual_sub_f32 v153, v160, v129 :: v_dual_fmac_f32 v130, v166, v154
	v_mul_f32_e32 v159, 0x3fb8aa3b, v161
	v_exp_f32_e32 v161, v167
	s_delay_alu instid0(VALU_DEP_2)
	v_dual_mul_f32 v142, 0x3fb8aa3b, v142 :: v_dual_mul_f32 v153, 0x3fb8aa3b, v153
	s_waitcnt lgkmcnt(0)
	s_barrier
	buffer_gl0_inv
	v_exp_f32_e32 v142, v142
	v_exp_f32_e32 v153, v153
	v_fmac_f32_e32 v130, v161, v155
	v_exp_f32_e32 v159, v159
	s_waitcnt_depctr 0xfff
	v_fmac_f32_e32 v130, v159, v156
	s_delay_alu instid0(VALU_DEP_1) | instskip(NEXT) | instid1(VALU_DEP_1)
	v_fmac_f32_e32 v130, v142, v157
	v_fmac_f32_e32 v130, v153, v158
	s_delay_alu instid0(VALU_DEP_1) | instskip(NEXT) | instid1(VALU_DEP_1)
	v_add_f32_e32 v154, 0x358637bd, v130
	v_div_scale_f32 v155, null, v154, v154, 1.0
	v_div_scale_f32 v158, vcc_lo, 1.0, v154, 1.0
	s_delay_alu instid0(VALU_DEP_2) | instskip(SKIP_2) | instid1(VALU_DEP_1)
	v_rcp_f32_e32 v156, v155
	s_waitcnt_depctr 0xfff
	v_fma_f32 v157, -v155, v156, 1.0
	v_fmac_f32_e32 v156, v157, v156
	v_cndmask_b32_e64 v157, v164, v163, s2
	v_cmp_eq_u32_e64 s2, 2, v141
	s_delay_alu instid0(VALU_DEP_3) | instskip(NEXT) | instid1(VALU_DEP_2)
	v_mul_f32_e32 v160, v158, v156
	v_cndmask_b32_e64 v157, v157, v165, s2
	v_cmp_eq_u32_e64 s2, 3, v141
	s_delay_alu instid0(VALU_DEP_3) | instskip(NEXT) | instid1(VALU_DEP_2)
	v_fma_f32 v162, -v155, v160, v158
	v_cndmask_b32_e64 v157, v157, v166, s2
	v_cmp_eq_u32_e64 s2, 4, v141
	s_delay_alu instid0(VALU_DEP_3) | instskip(NEXT) | instid1(VALU_DEP_2)
	v_fmac_f32_e32 v160, v162, v156
	v_cndmask_b32_e64 v157, v157, v161, s2
	s_delay_alu instid0(VALU_DEP_2) | instskip(SKIP_1) | instid1(VALU_DEP_2)
	v_fma_f32 v155, -v155, v160, v158
	v_cmp_eq_u32_e64 s2, 5, v141
	v_div_fmas_f32 v155, v155, v156, v160
	s_delay_alu instid0(VALU_DEP_2) | instskip(SKIP_2) | instid1(VALU_DEP_3)
	v_cndmask_b32_e64 v157, v157, v159, s2
	v_cmp_eq_u32_e32 vcc_lo, 6, v141
	s_mov_b32 s2, exec_lo
	v_div_fixup_f32 v154, v155, v154, 1.0
	s_delay_alu instid0(VALU_DEP_3) | instskip(SKIP_1) | instid1(VALU_DEP_2)
	v_cndmask_b32_e32 v142, v157, v142, vcc_lo
	v_cmp_eq_u32_e32 vcc_lo, 7, v141
	v_cndmask_b32_e32 v142, v142, v153, vcc_lo
	s_delay_alu instid0(VALU_DEP_1) | instskip(NEXT) | instid1(VALU_DEP_1)
	v_mul_f32_e32 v142, v142, v154
	v_mul_f32_e32 v153, v142, v149
	v_mul_f32_e32 v154, v142, v144
	v_mul_f32_e32 v144, v142, v152
	v_mul_f32_e32 v148, v142, v148
	v_mul_f32_e32 v151, v142, v151
	v_mul_f32_e32 v152, v142, v150
	v_dual_mul_f32 v150, v142, v147 :: v_dual_and_b32 v155, 0x7f800000, v154
	v_mul_f32_e32 v149, v142, v146
                                        ; implicit-def: $vgpr146
	s_delay_alu instid0(VALU_DEP_2)
	v_cmpx_ne_u32_e32 0x7f800000, v155
	s_xor_b32 s2, exec_lo, s2
; %bb.13:
	v_bfe_u32 v146, v154, 16, 1
	s_delay_alu instid0(VALU_DEP_1)
	v_add3_u32 v146, v154, v146, 0x7fff
                                        ; implicit-def: $vgpr154
; %bb.14:
	s_and_not1_saveexec_b32 s2, s2
; %bb.15:
	v_and_b32_e32 v146, 0xffff, v154
	v_or_b32_e32 v147, 0x10000, v154
	s_delay_alu instid0(VALU_DEP_2) | instskip(NEXT) | instid1(VALU_DEP_2)
	v_cmp_eq_u32_e32 vcc_lo, 0, v146
	v_cndmask_b32_e32 v146, v147, v154, vcc_lo
; %bb.16:
	s_or_b32 exec_lo, exec_lo, s2
	v_and_b32_e32 v147, 0x7f800000, v149
	s_delay_alu instid0(VALU_DEP_1) | instskip(SKIP_1) | instid1(SALU_CYCLE_1)
	v_cmp_ne_u32_e32 vcc_lo, 0x7f800000, v147
                                        ; implicit-def: $vgpr147
	s_and_saveexec_b32 s2, vcc_lo
	s_xor_b32 s2, exec_lo, s2
; %bb.17:
	v_bfe_u32 v147, v149, 16, 1
	s_delay_alu instid0(VALU_DEP_1)
	v_add3_u32 v147, v149, v147, 0x7fff
                                        ; implicit-def: $vgpr149
; %bb.18:
	s_and_not1_saveexec_b32 s2, s2
; %bb.19:
	v_and_b32_e32 v147, 0xffff, v149
	v_or_b32_e32 v154, 0x10000, v149
	s_delay_alu instid0(VALU_DEP_2) | instskip(NEXT) | instid1(VALU_DEP_2)
	v_cmp_eq_u32_e32 vcc_lo, 0, v147
	v_cndmask_b32_e32 v147, v154, v149, vcc_lo
; %bb.20:
	s_or_b32 exec_lo, exec_lo, s2
	v_and_b32_e32 v149, 0x7f800000, v150
	s_delay_alu instid0(VALU_DEP_1) | instskip(SKIP_1) | instid1(SALU_CYCLE_1)
	v_cmp_ne_u32_e32 vcc_lo, 0x7f800000, v149
                                        ; implicit-def: $vgpr149
	s_and_saveexec_b32 s2, vcc_lo
	s_xor_b32 s2, exec_lo, s2
; %bb.21:
	v_bfe_u32 v149, v150, 16, 1
	s_delay_alu instid0(VALU_DEP_1)
	v_add3_u32 v149, v150, v149, 0x7fff
                                        ; implicit-def: $vgpr150
; %bb.22:
	s_and_not1_saveexec_b32 s2, s2
; %bb.23:
	v_and_b32_e32 v149, 0xffff, v150
	v_or_b32_e32 v154, 0x10000, v150
	s_delay_alu instid0(VALU_DEP_2) | instskip(NEXT) | instid1(VALU_DEP_2)
	v_cmp_eq_u32_e32 vcc_lo, 0, v149
	v_cndmask_b32_e32 v149, v154, v150, vcc_lo
; %bb.24:
	s_or_b32 exec_lo, exec_lo, s2
	v_and_b32_e32 v150, 0x7f800000, v153
	s_delay_alu instid0(VALU_DEP_1) | instskip(SKIP_1) | instid1(SALU_CYCLE_1)
	v_cmp_ne_u32_e32 vcc_lo, 0x7f800000, v150
                                        ; implicit-def: $vgpr150
	s_and_saveexec_b32 s2, vcc_lo
	s_xor_b32 s2, exec_lo, s2
; %bb.25:
	v_bfe_u32 v150, v153, 16, 1
	s_delay_alu instid0(VALU_DEP_1)
	v_add3_u32 v150, v153, v150, 0x7fff
                                        ; implicit-def: $vgpr153
; %bb.26:
	s_and_not1_saveexec_b32 s2, s2
; %bb.27:
	v_and_b32_e32 v150, 0xffff, v153
	v_or_b32_e32 v154, 0x10000, v153
	s_delay_alu instid0(VALU_DEP_2) | instskip(NEXT) | instid1(VALU_DEP_2)
	v_cmp_eq_u32_e32 vcc_lo, 0, v150
	v_cndmask_b32_e32 v150, v154, v153, vcc_lo
; %bb.28:
	s_or_b32 exec_lo, exec_lo, s2
	v_and_b32_e32 v153, 0x7f800000, v152
	s_delay_alu instid0(VALU_DEP_1) | instskip(SKIP_1) | instid1(SALU_CYCLE_1)
	v_cmp_ne_u32_e32 vcc_lo, 0x7f800000, v153
                                        ; implicit-def: $vgpr153
	s_and_saveexec_b32 s2, vcc_lo
	s_xor_b32 s2, exec_lo, s2
; %bb.29:
	v_bfe_u32 v153, v152, 16, 1
	s_delay_alu instid0(VALU_DEP_1)
	v_add3_u32 v153, v152, v153, 0x7fff
                                        ; implicit-def: $vgpr152
; %bb.30:
	s_and_not1_saveexec_b32 s2, s2
; %bb.31:
	v_and_b32_e32 v153, 0xffff, v152
	v_or_b32_e32 v154, 0x10000, v152
	s_delay_alu instid0(VALU_DEP_2) | instskip(NEXT) | instid1(VALU_DEP_2)
	v_cmp_eq_u32_e32 vcc_lo, 0, v153
	v_cndmask_b32_e32 v153, v154, v152, vcc_lo
; %bb.32:
	s_or_b32 exec_lo, exec_lo, s2
	v_and_b32_e32 v152, 0x7f800000, v151
	s_delay_alu instid0(VALU_DEP_1) | instskip(SKIP_1) | instid1(SALU_CYCLE_1)
	v_cmp_ne_u32_e32 vcc_lo, 0x7f800000, v152
                                        ; implicit-def: $vgpr152
	s_and_saveexec_b32 s2, vcc_lo
	s_xor_b32 s2, exec_lo, s2
; %bb.33:
	v_bfe_u32 v152, v151, 16, 1
	s_delay_alu instid0(VALU_DEP_1)
	v_add3_u32 v152, v151, v152, 0x7fff
                                        ; implicit-def: $vgpr151
; %bb.34:
	s_and_not1_saveexec_b32 s2, s2
; %bb.35:
	v_and_b32_e32 v152, 0xffff, v151
	v_or_b32_e32 v154, 0x10000, v151
	s_delay_alu instid0(VALU_DEP_2) | instskip(NEXT) | instid1(VALU_DEP_2)
	v_cmp_eq_u32_e32 vcc_lo, 0, v152
	v_cndmask_b32_e32 v152, v154, v151, vcc_lo
; %bb.36:
	s_or_b32 exec_lo, exec_lo, s2
	v_and_b32_e32 v151, 0x7f800000, v148
	s_delay_alu instid0(VALU_DEP_1) | instskip(SKIP_1) | instid1(SALU_CYCLE_1)
	v_cmp_ne_u32_e32 vcc_lo, 0x7f800000, v151
                                        ; implicit-def: $vgpr151
	s_and_saveexec_b32 s2, vcc_lo
	s_xor_b32 s2, exec_lo, s2
; %bb.37:
	v_bfe_u32 v151, v148, 16, 1
	s_delay_alu instid0(VALU_DEP_1)
	v_add3_u32 v151, v148, v151, 0x7fff
                                        ; implicit-def: $vgpr148
; %bb.38:
	s_and_not1_saveexec_b32 s2, s2
; %bb.39:
	v_and_b32_e32 v151, 0xffff, v148
	v_or_b32_e32 v154, 0x10000, v148
	s_delay_alu instid0(VALU_DEP_2) | instskip(NEXT) | instid1(VALU_DEP_2)
	v_cmp_eq_u32_e32 vcc_lo, 0, v151
	v_cndmask_b32_e32 v151, v154, v148, vcc_lo
; %bb.40:
	s_or_b32 exec_lo, exec_lo, s2
	v_and_b32_e32 v148, 0x7f800000, v144
	s_delay_alu instid0(VALU_DEP_1) | instskip(SKIP_1) | instid1(SALU_CYCLE_1)
	v_cmp_ne_u32_e32 vcc_lo, 0x7f800000, v148
                                        ; implicit-def: $vgpr148
	s_and_saveexec_b32 s2, vcc_lo
	s_xor_b32 s2, exec_lo, s2
; %bb.41:
	v_bfe_u32 v148, v144, 16, 1
	s_delay_alu instid0(VALU_DEP_1)
	v_add3_u32 v148, v144, v148, 0x7fff
                                        ; implicit-def: $vgpr144
; %bb.42:
	s_and_not1_saveexec_b32 s2, s2
; %bb.43:
	v_and_b32_e32 v148, 0xffff, v144
	v_or_b32_e32 v154, 0x10000, v144
	s_delay_alu instid0(VALU_DEP_2) | instskip(NEXT) | instid1(VALU_DEP_2)
	v_cmp_eq_u32_e32 vcc_lo, 0, v148
	v_cndmask_b32_e32 v148, v154, v144, vcc_lo
; %bb.44:
	s_or_b32 exec_lo, exec_lo, s2
	s_load_b64 s[34:35], s[0:1], 0x94
	v_lshlrev_b32_e32 v155, 4, v138
	s_delay_alu instid0(VALU_DEP_2)
	v_perm_b32 v154, v148, v151, 0x7060302
	v_mul_f32_e32 v148, v142, v131
	v_dual_mul_f32 v145, v142, v145 :: v_dual_lshlrev_b32 v144, 6, v140
	v_dual_mul_f32 v143, v142, v143 :: v_dual_lshlrev_b32 v156, 11, v141
	v_perm_b32 v153, v152, v153, 0x7060302
	v_perm_b32 v152, v150, v149, 0x7060302
	;; [unrolled: 1-line block ×3, first 2 shown]
	s_delay_alu instid0(VALU_DEP_4)
	v_or3_b32 v131, v155, v156, v144
	v_mul_f32_e32 v136, v142, v136
	v_dual_mul_f32 v146, v142, v134 :: v_dual_and_b32 v149, 0x7f800000, v148
	v_mul_f32_e32 v135, v142, v135
	v_mul_f32_e32 v147, v142, v133
	v_mul_f32_e32 v134, v142, v132
	s_mov_b32 s2, exec_lo
	ds_store_b128 v131, v[151:154]
                                        ; implicit-def: $vgpr132
	v_cmpx_ne_u32_e32 0x7f800000, v149
	s_xor_b32 s2, exec_lo, s2
; %bb.45:
	v_bfe_u32 v132, v148, 16, 1
	s_delay_alu instid0(VALU_DEP_1)
	v_add3_u32 v132, v148, v132, 0x7fff
                                        ; implicit-def: $vgpr148
; %bb.46:
	s_and_not1_saveexec_b32 s2, s2
; %bb.47:
	v_and_b32_e32 v132, 0xffff, v148
	v_or_b32_e32 v133, 0x10000, v148
	s_delay_alu instid0(VALU_DEP_2) | instskip(NEXT) | instid1(VALU_DEP_2)
	v_cmp_eq_u32_e32 vcc_lo, 0, v132
	v_cndmask_b32_e32 v132, v133, v148, vcc_lo
; %bb.48:
	s_or_b32 exec_lo, exec_lo, s2
	v_and_b32_e32 v133, 0x7f800000, v134
	s_delay_alu instid0(VALU_DEP_1) | instskip(SKIP_1) | instid1(SALU_CYCLE_1)
	v_cmp_ne_u32_e32 vcc_lo, 0x7f800000, v133
                                        ; implicit-def: $vgpr133
	s_and_saveexec_b32 s2, vcc_lo
	s_xor_b32 s2, exec_lo, s2
; %bb.49:
	v_bfe_u32 v133, v134, 16, 1
	s_delay_alu instid0(VALU_DEP_1)
	v_add3_u32 v133, v134, v133, 0x7fff
                                        ; implicit-def: $vgpr134
; %bb.50:
	s_and_not1_saveexec_b32 s2, s2
; %bb.51:
	v_and_b32_e32 v133, 0xffff, v134
	v_or_b32_e32 v142, 0x10000, v134
	s_delay_alu instid0(VALU_DEP_2) | instskip(NEXT) | instid1(VALU_DEP_2)
	v_cmp_eq_u32_e32 vcc_lo, 0, v133
	v_cndmask_b32_e32 v133, v142, v134, vcc_lo
; %bb.52:
	s_or_b32 exec_lo, exec_lo, s2
	v_and_b32_e32 v134, 0x7f800000, v147
	s_delay_alu instid0(VALU_DEP_1) | instskip(SKIP_1) | instid1(SALU_CYCLE_1)
	v_cmp_ne_u32_e32 vcc_lo, 0x7f800000, v134
                                        ; implicit-def: $vgpr134
	s_and_saveexec_b32 s2, vcc_lo
	s_xor_b32 s2, exec_lo, s2
; %bb.53:
	v_bfe_u32 v134, v147, 16, 1
	s_delay_alu instid0(VALU_DEP_1)
	v_add3_u32 v134, v147, v134, 0x7fff
                                        ; implicit-def: $vgpr147
; %bb.54:
	s_and_not1_saveexec_b32 s2, s2
; %bb.55:
	v_and_b32_e32 v134, 0xffff, v147
	v_or_b32_e32 v142, 0x10000, v147
	s_delay_alu instid0(VALU_DEP_2) | instskip(NEXT) | instid1(VALU_DEP_2)
	v_cmp_eq_u32_e32 vcc_lo, 0, v134
	v_cndmask_b32_e32 v134, v142, v147, vcc_lo
; %bb.56:
	s_or_b32 exec_lo, exec_lo, s2
	v_and_b32_e32 v142, 0x7f800000, v146
	s_delay_alu instid0(VALU_DEP_1) | instskip(SKIP_1) | instid1(SALU_CYCLE_1)
	v_cmp_ne_u32_e32 vcc_lo, 0x7f800000, v142
                                        ; implicit-def: $vgpr142
	s_and_saveexec_b32 s2, vcc_lo
	s_xor_b32 s2, exec_lo, s2
; %bb.57:
	v_bfe_u32 v142, v146, 16, 1
	s_delay_alu instid0(VALU_DEP_1)
	v_add3_u32 v142, v146, v142, 0x7fff
                                        ; implicit-def: $vgpr146
; %bb.58:
	s_and_not1_saveexec_b32 s2, s2
; %bb.59:
	v_and_b32_e32 v142, 0xffff, v146
	v_or_b32_e32 v147, 0x10000, v146
	s_delay_alu instid0(VALU_DEP_2) | instskip(NEXT) | instid1(VALU_DEP_2)
	v_cmp_eq_u32_e32 vcc_lo, 0, v142
	v_cndmask_b32_e32 v142, v147, v146, vcc_lo
; %bb.60:
	s_or_b32 exec_lo, exec_lo, s2
	v_and_b32_e32 v146, 0x7f800000, v135
	s_delay_alu instid0(VALU_DEP_1) | instskip(SKIP_1) | instid1(SALU_CYCLE_1)
	v_cmp_ne_u32_e32 vcc_lo, 0x7f800000, v146
                                        ; implicit-def: $vgpr146
	s_and_saveexec_b32 s2, vcc_lo
	s_xor_b32 s2, exec_lo, s2
; %bb.61:
	v_bfe_u32 v146, v135, 16, 1
	s_delay_alu instid0(VALU_DEP_1)
	v_add3_u32 v146, v135, v146, 0x7fff
                                        ; implicit-def: $vgpr135
; %bb.62:
	s_and_not1_saveexec_b32 s2, s2
; %bb.63:
	v_and_b32_e32 v146, 0xffff, v135
	v_or_b32_e32 v147, 0x10000, v135
	s_delay_alu instid0(VALU_DEP_2) | instskip(NEXT) | instid1(VALU_DEP_2)
	v_cmp_eq_u32_e32 vcc_lo, 0, v146
	v_cndmask_b32_e32 v146, v147, v135, vcc_lo
; %bb.64:
	s_or_b32 exec_lo, exec_lo, s2
	v_and_b32_e32 v135, 0x7f800000, v136
	s_delay_alu instid0(VALU_DEP_1) | instskip(SKIP_1) | instid1(SALU_CYCLE_1)
	v_cmp_ne_u32_e32 vcc_lo, 0x7f800000, v135
                                        ; implicit-def: $vgpr135
	s_and_saveexec_b32 s2, vcc_lo
	s_xor_b32 s2, exec_lo, s2
; %bb.65:
	v_bfe_u32 v135, v136, 16, 1
	s_delay_alu instid0(VALU_DEP_1)
	v_add3_u32 v135, v136, v135, 0x7fff
                                        ; implicit-def: $vgpr136
; %bb.66:
	s_and_not1_saveexec_b32 s2, s2
; %bb.67:
	v_and_b32_e32 v135, 0xffff, v136
	v_or_b32_e32 v147, 0x10000, v136
	s_delay_alu instid0(VALU_DEP_2) | instskip(NEXT) | instid1(VALU_DEP_2)
	v_cmp_eq_u32_e32 vcc_lo, 0, v135
	v_cndmask_b32_e32 v135, v147, v136, vcc_lo
; %bb.68:
	s_or_b32 exec_lo, exec_lo, s2
	v_and_b32_e32 v136, 0x7f800000, v143
	s_delay_alu instid0(VALU_DEP_1) | instskip(SKIP_1) | instid1(SALU_CYCLE_1)
	v_cmp_ne_u32_e32 vcc_lo, 0x7f800000, v136
                                        ; implicit-def: $vgpr136
	s_and_saveexec_b32 s2, vcc_lo
	s_xor_b32 s2, exec_lo, s2
; %bb.69:
	v_bfe_u32 v136, v143, 16, 1
	s_delay_alu instid0(VALU_DEP_1)
	v_add3_u32 v136, v143, v136, 0x7fff
                                        ; implicit-def: $vgpr143
; %bb.70:
	s_and_not1_saveexec_b32 s2, s2
; %bb.71:
	v_and_b32_e32 v136, 0xffff, v143
	v_or_b32_e32 v147, 0x10000, v143
	s_delay_alu instid0(VALU_DEP_2) | instskip(NEXT) | instid1(VALU_DEP_2)
	v_cmp_eq_u32_e32 vcc_lo, 0, v136
	v_cndmask_b32_e32 v136, v147, v143, vcc_lo
; %bb.72:
	s_or_b32 exec_lo, exec_lo, s2
	v_and_b32_e32 v143, 0x7f800000, v145
	s_delay_alu instid0(VALU_DEP_1) | instskip(SKIP_1) | instid1(SALU_CYCLE_1)
	v_cmp_ne_u32_e32 vcc_lo, 0x7f800000, v143
                                        ; implicit-def: $vgpr143
	s_and_saveexec_b32 s2, vcc_lo
	s_xor_b32 s2, exec_lo, s2
; %bb.73:
	v_bfe_u32 v143, v145, 16, 1
	s_delay_alu instid0(VALU_DEP_1)
	v_add3_u32 v143, v145, v143, 0x7fff
                                        ; implicit-def: $vgpr145
; %bb.74:
	s_and_not1_saveexec_b32 s2, s2
; %bb.75:
	v_and_b32_e32 v143, 0xffff, v145
	v_or_b32_e32 v147, 0x10000, v145
	s_delay_alu instid0(VALU_DEP_2) | instskip(NEXT) | instid1(VALU_DEP_2)
	v_cmp_eq_u32_e32 vcc_lo, 0, v143
	v_cndmask_b32_e32 v143, v147, v145, vcc_lo
; %bb.76:
	s_or_b32 exec_lo, exec_lo, s2
	s_delay_alu instid0(VALU_DEP_1)
	v_perm_b32 v136, v143, v136, 0x7060302
	v_perm_b32 v135, v135, v146, 0x7060302
	v_perm_b32 v134, v142, v134, 0x7060302
	v_perm_b32 v133, v133, v132, 0x7060302
	v_lshl_or_b32 v145, v141, 11, v144
	v_lshlrev_b32_e32 v142, 2, v138
	ds_store_b128 v131, v[133:136] offset:1024
	s_waitcnt lgkmcnt(0)
	s_barrier
	buffer_gl0_inv
	ds_load_b128 v[132:135], v145
	ds_load_b128 v[147:150], v145 offset:16
	v_or_b32_e32 v143, 1, v142
	v_cmp_eq_u32_e64 s11, 1, v142
	v_cmp_eq_u32_e64 s10, 2, v142
	;; [unrolled: 1-line block ×3, first 2 shown]
	v_or_b32_e32 v141, 2, v142
	v_cmp_eq_u32_e64 s6, 1, v143
	v_cmp_eq_u32_e64 s5, 2, v143
	;; [unrolled: 1-line block ×8, first 2 shown]
	v_cmp_eq_u32_e32 vcc_lo, 5, v143
	v_cmp_eq_u32_e64 s9, 2, v141
	v_cmp_eq_u32_e64 s3, 6, v143
	;; [unrolled: 1-line block ×4, first 2 shown]
	s_waitcnt lgkmcnt(1)
	v_lshrrev_b32_e32 v136, 16, v132
	s_waitcnt lgkmcnt(0)
	v_lshrrev_b32_e32 v155, 16, v147
	v_lshrrev_b32_e32 v161, 16, v148
	;; [unrolled: 1-line block ×4, first 2 shown]
	v_cndmask_b32_e64 v146, v132, v136, s11
	v_cndmask_b32_e64 v151, v147, v155, s11
	;; [unrolled: 1-line block ×4, first 2 shown]
	v_lshrrev_b32_e32 v160, 16, v134
	v_cndmask_b32_e64 v146, v146, v133, s10
	v_cndmask_b32_e64 v151, v151, v148, s10
	;; [unrolled: 1-line block ×8, first 2 shown]
	v_lshrrev_b32_e32 v164, 16, v150
	v_cndmask_b32_e64 v153, v153, v161, s4
	v_cndmask_b32_e64 v146, v146, v134, s16
	;; [unrolled: 1-line block ×5, first 2 shown]
	v_lshrrev_b32_e32 v162, 16, v135
	v_cndmask_b32_e64 v146, v146, v160, s12
	v_cndmask_b32_e64 v151, v151, v163, s12
	v_cndmask_b32_e32 v152, v152, v160, vcc_lo
	v_cndmask_b32_e64 v153, v153, v149, s2
	v_cmp_eq_u32_e64 s18, 7, v143
	v_cndmask_b32_e64 v146, v146, v135, s13
	v_cndmask_b32_e64 v151, v151, v150, s13
	;; [unrolled: 1-line block ×4, first 2 shown]
	v_cmp_eq_u32_e64 s19, 4, v141
	v_cndmask_b32_e64 v165, v146, v162, s8
	v_cndmask_b32_e64 v166, v151, v164, s8
	v_cndmask_b32_e64 v151, v147, v155, s7
	v_or_b32_e32 v146, 3, v142
	v_cndmask_b32_e64 v167, v152, v162, s18
	v_cndmask_b32_e32 v156, v153, v163, vcc_lo
	v_cndmask_b32_e64 v158, v154, v134, s19
	v_cndmask_b32_e64 v157, v151, v148, s9
	ds_load_b128 v[151:154], v145 offset:1024
	v_cmp_eq_u32_e64 s20, 1, v146
	v_cmp_eq_u32_e64 s21, 5, v141
	;; [unrolled: 1-line block ×3, first 2 shown]
	v_cndmask_b32_e64 v157, v157, v161, s17
	v_cmp_eq_u32_e64 s23, 3, v146
	v_cndmask_b32_e64 v132, v132, v136, s20
	v_cndmask_b32_e64 v136, v156, v150, s3
	;; [unrolled: 1-line block ×5, first 2 shown]
	ds_load_b128 v[155:158], v145 offset:1040
	v_cndmask_b32_e64 v132, v132, v133, s22
	v_cmp_eq_u32_e64 s25, 4, v146
	v_cmp_eq_u32_e64 s27, 5, v146
	v_cndmask_b32_e64 v147, v147, v148, s22
	v_cmp_eq_u32_e64 s24, 6, v141
	v_cndmask_b32_e64 v132, v132, v159, s23
	;; [unrolled: 2-line block ×3, first 2 shown]
	v_cndmask_b32_e64 v147, v147, v161, s23
	s_waitcnt lgkmcnt(1)
	v_lshrrev_b32_e32 v159, 16, v151
	v_cndmask_b32_e64 v132, v132, v134, s25
	v_cndmask_b32_e64 v148, v168, v135, s24
	;; [unrolled: 1-line block ×6, first 2 shown]
	v_lshrrev_b32_e32 v160, 16, v152
	v_cndmask_b32_e64 v161, v151, v159, s6
	v_cndmask_b32_e64 v134, v134, v163, s27
	s_waitcnt lgkmcnt(0)
	v_lshrrev_b32_e32 v149, 16, v155
	v_cndmask_b32_e64 v147, v147, v152, s10
	v_cndmask_b32_e64 v132, v132, v135, s28
	v_cmp_eq_u32_e64 s26, 7, v141
	v_cndmask_b32_e64 v134, v134, v150, s28
	v_cndmask_b32_e64 v163, v155, v149, s11
	;; [unrolled: 1-line block ×4, first 2 shown]
	v_lshrrev_b32_e32 v161, 16, v156
	v_cndmask_b32_e64 v136, v136, v164, s18
	v_cndmask_b32_e64 v150, v163, v156, s10
	v_cmp_eq_u32_e64 s10, 7, v146
	v_cndmask_b32_e64 v147, v147, v160, s4
	v_cndmask_b32_e64 v135, v135, v153, s16
	v_lshrrev_b32_e32 v163, 16, v153
	v_cndmask_b32_e64 v150, v150, v161, s15
	v_cndmask_b32_e64 v132, v132, v162, s10
	;; [unrolled: 1-line block ×8, first 2 shown]
	v_lshrrev_b32_e32 v164, 16, v157
	v_perm_b32 v135, v134, v132, 0x5040100
	v_cndmask_b32_e32 v132, v147, v163, vcc_lo
	v_cndmask_b32_e64 v147, v162, v154, s13
	v_lshrrev_b32_e32 v162, 16, v154
	v_cndmask_b32_e64 v150, v150, v164, s12
	v_perm_b32 v134, v133, v148, 0x5040100
	v_cndmask_b32_e64 v132, v132, v154, s3
	v_perm_b32 v133, v136, v167, 0x5040100
	v_cndmask_b32_e64 v136, v147, v162, s8
	v_cndmask_b32_e64 v147, v150, v158, s13
	;; [unrolled: 1-line block ×27, first 2 shown]
	v_cndmask_b32_e32 v149, v149, v164, vcc_lo
	v_lshrrev_b32_e32 v148, 16, v158
	v_cndmask_b32_e64 v132, v132, v154, s24
	v_cndmask_b32_e64 v150, v150, v154, s28
	;; [unrolled: 1-line block ×11, first 2 shown]
	v_perm_b32 v132, v166, v165, 0x5040100
	v_perm_b32 v150, v151, v150, 0x5040100
	;; [unrolled: 1-line block ×5, first 2 shown]
	s_mul_i32 s7, s35, 10
	s_mov_b32 s2, exec_lo
	ds_store_b128 v131, v[132:135]
	ds_store_b128 v131, v[147:150] offset:1024
	v_cmpx_gt_u32_e32 10, v0
	s_cbranch_execz .LBB679_78
; %bb.77:
	s_mul_i32 s3, s7, s30
	s_load_b128 s[8:11], s[0:1], 0x58
	v_add3_u32 v133, s3, s29, v140
	s_delay_alu instid0(VALU_DEP_1) | instskip(NEXT) | instid1(VALU_DEP_1)
	v_mad_u64_u32 v[131:132], null, v133, s34, s[14:15]
	v_ashrrev_i32_e32 v132, 31, v131
	s_delay_alu instid0(VALU_DEP_1) | instskip(SKIP_1) | instid1(VALU_DEP_1)
	v_lshlrev_b64 v[131:132], 2, v[131:132]
	s_waitcnt lgkmcnt(0)
	v_add_co_u32 v133, vcc_lo, s10, v131
	s_delay_alu instid0(VALU_DEP_2)
	v_add_co_ci_u32_e32 v134, vcc_lo, s11, v132, vcc_lo
	v_add_co_u32 v131, vcc_lo, s8, v131
	v_add_co_ci_u32_e32 v132, vcc_lo, s9, v132, vcc_lo
	global_store_b32 v[133:134], v129, off
	global_store_b32 v[131:132], v130, off
.LBB679_78:
	s_or_b32 exec_lo, exec_lo, s2
	s_waitcnt lgkmcnt(0)
	s_waitcnt_vscnt null, 0x0
	s_barrier
	buffer_gl0_inv
	ds_load_b128 v[147:150], v144
	ds_load_b128 v[151:154], v144 offset:16
	ds_load_b128 v[159:162], v144 offset:1040
	;; [unrolled: 1-line block ×3, first 2 shown]
	v_mov_b32_e32 v129, 0
	ds_load_b128 v[167:170], v144 offset:2064
	ds_load_b128 v[163:166], v144 offset:2048
	;; [unrolled: 1-line block ×6, first 2 shown]
	v_mov_b32_e32 v130, v129
	v_mov_b32_e32 v131, v129
	;; [unrolled: 1-line block ×7, first 2 shown]
	s_waitcnt lgkmcnt(8)
	s_delay_alu instid0(VALU_DEP_1)
	v_wmma_f32_16x16x16_bf16 v[129:136], v[121:128], v[147:154], v[129:136]
	ds_load_b128 v[125:128], v144 offset:5136
	ds_load_b128 v[121:124], v144 offset:5120
	s_waitcnt lgkmcnt(8)
	v_wmma_f32_16x16x16_bf16 v[129:136], v[113:120], v[155:162], v[129:136]
	ds_load_b128 v[117:120], v144 offset:6160
	ds_load_b128 v[113:116], v144 offset:6144
	s_waitcnt lgkmcnt(8)
	;; [unrolled: 4-line block ×8, first 2 shown]
	v_wmma_f32_16x16x16_bf16 v[129:136], v[65:72], v[97:104], v[129:136]
	s_waitcnt lgkmcnt(6)
	s_delay_alu instid0(VALU_DEP_1)
	v_wmma_f32_16x16x16_bf16 v[129:136], v[49:56], v[89:96], v[129:136]
	ds_load_b128 v[53:56], v144 offset:13328
	ds_load_b128 v[49:52], v144 offset:13312
	s_waitcnt lgkmcnt(6)
	v_wmma_f32_16x16x16_bf16 v[129:136], v[41:48], v[81:88], v[129:136]
	ds_load_b128 v[45:48], v144 offset:14352
	ds_load_b128 v[41:44], v144 offset:14336
	s_waitcnt lgkmcnt(6)
	;; [unrolled: 4-line block ×3, first 2 shown]
	v_wmma_f32_16x16x16_bf16 v[129:136], v[1:8], v[57:64], v[129:136]
	s_waitcnt lgkmcnt(4)
	s_delay_alu instid0(VALU_DEP_1) | instskip(SKIP_1) | instid1(VALU_DEP_1)
	v_wmma_f32_16x16x16_bf16 v[129:136], v[25:32], v[49:56], v[129:136]
	s_waitcnt lgkmcnt(2)
	v_wmma_f32_16x16x16_bf16 v[129:136], v[33:40], v[41:48], v[129:136]
	s_waitcnt lgkmcnt(0)
	s_delay_alu instid0(VALU_DEP_1) | instskip(NEXT) | instid1(VALU_DEP_1)
	v_wmma_f32_16x16x16_bf16 v[129:136], v[9:16], v[17:24], v[129:136]
	v_and_b32_e32 v1, 0x7f800000, v129
	s_delay_alu instid0(VALU_DEP_1) | instskip(SKIP_1) | instid1(SALU_CYCLE_1)
	v_cmp_ne_u32_e32 vcc_lo, 0x7f800000, v1
                                        ; implicit-def: $vgpr1
	s_and_saveexec_b32 s2, vcc_lo
	s_xor_b32 s2, exec_lo, s2
; %bb.79:
	v_bfe_u32 v1, v129, 16, 1
	s_delay_alu instid0(VALU_DEP_1)
	v_add3_u32 v1, v129, v1, 0x7fff
; %bb.80:
	s_and_not1_saveexec_b32 s2, s2
; %bb.81:
	v_and_b32_e32 v1, 0xffff, v129
	v_or_b32_e32 v2, 0x10000, v129
	s_delay_alu instid0(VALU_DEP_2) | instskip(NEXT) | instid1(VALU_DEP_2)
	v_cmp_eq_u32_e32 vcc_lo, 0, v1
	v_cndmask_b32_e32 v1, v2, v129, vcc_lo
; %bb.82:
	s_or_b32 exec_lo, exec_lo, s2
	v_and_b32_e32 v2, 0x7f800000, v130
	s_delay_alu instid0(VALU_DEP_1) | instskip(SKIP_1) | instid1(SALU_CYCLE_1)
	v_cmp_ne_u32_e32 vcc_lo, 0x7f800000, v2
                                        ; implicit-def: $vgpr2
	s_and_saveexec_b32 s2, vcc_lo
	s_xor_b32 s2, exec_lo, s2
; %bb.83:
	v_bfe_u32 v2, v130, 16, 1
	s_delay_alu instid0(VALU_DEP_1)
	v_add3_u32 v2, v130, v2, 0x7fff
; %bb.84:
	s_and_not1_saveexec_b32 s2, s2
; %bb.85:
	v_and_b32_e32 v2, 0xffff, v130
	v_or_b32_e32 v3, 0x10000, v130
	s_delay_alu instid0(VALU_DEP_2) | instskip(NEXT) | instid1(VALU_DEP_2)
	v_cmp_eq_u32_e32 vcc_lo, 0, v2
	v_cndmask_b32_e32 v2, v3, v130, vcc_lo
; %bb.86:
	s_or_b32 exec_lo, exec_lo, s2
	v_and_b32_e32 v3, 0x7f800000, v131
	s_delay_alu instid0(VALU_DEP_1) | instskip(SKIP_1) | instid1(SALU_CYCLE_1)
	v_cmp_ne_u32_e32 vcc_lo, 0x7f800000, v3
                                        ; implicit-def: $vgpr3
	s_and_saveexec_b32 s2, vcc_lo
	s_xor_b32 s2, exec_lo, s2
; %bb.87:
	v_bfe_u32 v3, v131, 16, 1
	s_delay_alu instid0(VALU_DEP_1)
	v_add3_u32 v3, v131, v3, 0x7fff
; %bb.88:
	s_and_not1_saveexec_b32 s2, s2
; %bb.89:
	v_and_b32_e32 v3, 0xffff, v131
	v_or_b32_e32 v4, 0x10000, v131
	s_delay_alu instid0(VALU_DEP_2) | instskip(NEXT) | instid1(VALU_DEP_2)
	v_cmp_eq_u32_e32 vcc_lo, 0, v3
	v_cndmask_b32_e32 v3, v4, v131, vcc_lo
; %bb.90:
	s_or_b32 exec_lo, exec_lo, s2
	v_and_b32_e32 v4, 0x7f800000, v132
	s_delay_alu instid0(VALU_DEP_1) | instskip(SKIP_1) | instid1(SALU_CYCLE_1)
	v_cmp_ne_u32_e32 vcc_lo, 0x7f800000, v4
                                        ; implicit-def: $vgpr4
	s_and_saveexec_b32 s2, vcc_lo
	s_xor_b32 s2, exec_lo, s2
; %bb.91:
	v_bfe_u32 v4, v132, 16, 1
	s_delay_alu instid0(VALU_DEP_1)
	v_add3_u32 v4, v132, v4, 0x7fff
; %bb.92:
	s_and_not1_saveexec_b32 s2, s2
; %bb.93:
	v_and_b32_e32 v4, 0xffff, v132
	v_or_b32_e32 v5, 0x10000, v132
	s_delay_alu instid0(VALU_DEP_2) | instskip(NEXT) | instid1(VALU_DEP_2)
	v_cmp_eq_u32_e32 vcc_lo, 0, v4
	v_cndmask_b32_e32 v4, v5, v132, vcc_lo
; %bb.94:
	s_or_b32 exec_lo, exec_lo, s2
	v_and_b32_e32 v5, 0x7f800000, v133
	s_delay_alu instid0(VALU_DEP_1) | instskip(SKIP_1) | instid1(SALU_CYCLE_1)
	v_cmp_ne_u32_e32 vcc_lo, 0x7f800000, v5
                                        ; implicit-def: $vgpr5
	s_and_saveexec_b32 s2, vcc_lo
	s_xor_b32 s2, exec_lo, s2
; %bb.95:
	v_bfe_u32 v5, v133, 16, 1
	s_delay_alu instid0(VALU_DEP_1)
	v_add3_u32 v5, v133, v5, 0x7fff
; %bb.96:
	s_and_not1_saveexec_b32 s2, s2
; %bb.97:
	v_and_b32_e32 v5, 0xffff, v133
	v_or_b32_e32 v6, 0x10000, v133
	s_delay_alu instid0(VALU_DEP_2) | instskip(NEXT) | instid1(VALU_DEP_2)
	v_cmp_eq_u32_e32 vcc_lo, 0, v5
	v_cndmask_b32_e32 v5, v6, v133, vcc_lo
; %bb.98:
	s_or_b32 exec_lo, exec_lo, s2
	v_and_b32_e32 v6, 0x7f800000, v134
	s_delay_alu instid0(VALU_DEP_1) | instskip(SKIP_1) | instid1(SALU_CYCLE_1)
	v_cmp_ne_u32_e32 vcc_lo, 0x7f800000, v6
                                        ; implicit-def: $vgpr6
	s_and_saveexec_b32 s2, vcc_lo
	s_xor_b32 s2, exec_lo, s2
; %bb.99:
	v_bfe_u32 v6, v134, 16, 1
	s_delay_alu instid0(VALU_DEP_1)
	v_add3_u32 v6, v134, v6, 0x7fff
; %bb.100:
	s_and_not1_saveexec_b32 s2, s2
; %bb.101:
	v_and_b32_e32 v6, 0xffff, v134
	v_or_b32_e32 v7, 0x10000, v134
	s_delay_alu instid0(VALU_DEP_2) | instskip(NEXT) | instid1(VALU_DEP_2)
	v_cmp_eq_u32_e32 vcc_lo, 0, v6
	v_cndmask_b32_e32 v6, v7, v134, vcc_lo
; %bb.102:
	s_or_b32 exec_lo, exec_lo, s2
	v_and_b32_e32 v7, 0x7f800000, v135
	s_delay_alu instid0(VALU_DEP_1) | instskip(SKIP_1) | instid1(SALU_CYCLE_1)
	v_cmp_ne_u32_e32 vcc_lo, 0x7f800000, v7
                                        ; implicit-def: $vgpr7
	s_and_saveexec_b32 s2, vcc_lo
	s_xor_b32 s2, exec_lo, s2
; %bb.103:
	v_bfe_u32 v7, v135, 16, 1
	s_delay_alu instid0(VALU_DEP_1)
	v_add3_u32 v7, v135, v7, 0x7fff
; %bb.104:
	s_and_not1_saveexec_b32 s2, s2
; %bb.105:
	v_and_b32_e32 v7, 0xffff, v135
	v_or_b32_e32 v8, 0x10000, v135
	s_delay_alu instid0(VALU_DEP_2) | instskip(NEXT) | instid1(VALU_DEP_2)
	v_cmp_eq_u32_e32 vcc_lo, 0, v7
	v_cndmask_b32_e32 v7, v8, v135, vcc_lo
; %bb.106:
	s_or_b32 exec_lo, exec_lo, s2
	v_and_b32_e32 v8, 0x7f800000, v136
	s_delay_alu instid0(VALU_DEP_1) | instskip(SKIP_1) | instid1(SALU_CYCLE_1)
	v_cmp_ne_u32_e32 vcc_lo, 0x7f800000, v8
                                        ; implicit-def: $vgpr8
	s_and_saveexec_b32 s2, vcc_lo
	s_xor_b32 s2, exec_lo, s2
; %bb.107:
	v_bfe_u32 v8, v136, 16, 1
	s_delay_alu instid0(VALU_DEP_1)
	v_add3_u32 v8, v136, v8, 0x7fff
                                        ; implicit-def: $vgpr129_vgpr130_vgpr131_vgpr132_vgpr133_vgpr134_vgpr135_vgpr136
; %bb.108:
	s_and_not1_saveexec_b32 s2, s2
; %bb.109:
	v_and_b32_e32 v8, 0xffff, v136
	v_or_b32_e32 v9, 0x10000, v136
	s_delay_alu instid0(VALU_DEP_2) | instskip(NEXT) | instid1(VALU_DEP_2)
	v_cmp_eq_u32_e32 vcc_lo, 0, v8
	v_cndmask_b32_e32 v8, v9, v136, vcc_lo
; %bb.110:
	s_or_b32 exec_lo, exec_lo, s2
	s_delay_alu instid0(VALU_DEP_1)
	v_perm_b32 v7, v8, v7, 0x7060302
	v_perm_b32 v6, v6, v5, 0x7060302
	;; [unrolled: 1-line block ×4, first 2 shown]
	v_lshl_or_b32 v9, v138, 4, v145
	s_barrier
	buffer_gl0_inv
	v_cmp_eq_u32_e32 vcc_lo, 1, v142
	ds_store_b128 v9, v[4:7]
	s_waitcnt lgkmcnt(0)
	s_barrier
	buffer_gl0_inv
	ds_load_b128 v[1:4], v145
	ds_load_b128 v[5:8], v145 offset:16
	v_cmp_eq_u32_e64 s3, 2, v142
	v_cmp_eq_u32_e64 s2, 1, v143
	;; [unrolled: 1-line block ×5, first 2 shown]
	s_waitcnt lgkmcnt(1)
	v_lshrrev_b32_e32 v10, 16, v1
	s_waitcnt lgkmcnt(0)
	v_lshrrev_b32_e32 v14, 16, v5
	v_lshrrev_b32_e32 v15, 16, v6
	;; [unrolled: 1-line block ×4, first 2 shown]
	v_cndmask_b32_e64 v20, v1, v10, s2
	v_cndmask_b32_e32 v19, v5, v14, vcc_lo
	v_cndmask_b32_e64 v21, v5, v14, s2
	v_lshrrev_b32_e32 v16, 16, v7
	v_cmp_eq_u32_e64 s2, 1, v141
	v_lshrrev_b32_e32 v13, 16, v4
	v_cndmask_b32_e64 v19, v19, v6, s3
	v_lshrrev_b32_e32 v17, 16, v8
	s_delay_alu instid0(VALU_DEP_4) | instskip(SKIP_1) | instid1(VALU_DEP_4)
	v_cndmask_b32_e64 v22, v1, v10, s2
	v_cndmask_b32_e64 v23, v5, v14, s2
	;; [unrolled: 1-line block ×3, first 2 shown]
	v_cndmask_b32_e32 v18, v1, v10, vcc_lo
	v_cmp_eq_u32_e32 vcc_lo, 2, v143
	v_cmp_eq_u32_e64 s2, 2, v146
	v_cndmask_b32_e64 v22, v22, v2, s6
	v_cndmask_b32_e32 v20, v20, v2, vcc_lo
	v_cndmask_b32_e32 v21, v21, v6, vcc_lo
	v_cmp_eq_u32_e32 vcc_lo, 4, v142
	v_cndmask_b32_e32 v19, v19, v7, vcc_lo
	v_cndmask_b32_e64 v18, v18, v2, s3
	v_cmp_eq_u32_e64 s3, 3, v143
	s_delay_alu instid0(VALU_DEP_2) | instskip(NEXT) | instid1(VALU_DEP_2)
	v_cndmask_b32_e64 v18, v18, v11, s4
	v_cndmask_b32_e64 v21, v21, v15, s3
	v_cmp_eq_u32_e64 s4, 5, v142
	s_delay_alu instid0(VALU_DEP_3) | instskip(SKIP_1) | instid1(VALU_DEP_3)
	v_cndmask_b32_e32 v18, v18, v3, vcc_lo
	v_cmp_eq_u32_e32 vcc_lo, 4, v143
	v_cndmask_b32_e64 v19, v19, v16, s4
	s_delay_alu instid0(VALU_DEP_3) | instskip(SKIP_4) | instid1(VALU_DEP_3)
	v_cndmask_b32_e64 v18, v18, v12, s4
	v_cndmask_b32_e32 v21, v21, v7, vcc_lo
	v_cndmask_b32_e64 v20, v20, v11, s3
	v_cmp_eq_u32_e64 s3, 5, v143
	v_cmp_eq_u32_e64 s4, 6, v142
	v_cndmask_b32_e32 v20, v20, v3, vcc_lo
	s_delay_alu instid0(VALU_DEP_3) | instskip(SKIP_1) | instid1(VALU_DEP_4)
	v_cndmask_b32_e64 v21, v21, v16, s3
	v_cmp_eq_u32_e32 vcc_lo, 6, v143
	v_cndmask_b32_e64 v18, v18, v4, s4
	v_cndmask_b32_e64 v19, v19, v8, s4
	;; [unrolled: 1-line block ×3, first 2 shown]
	v_cmp_eq_u32_e64 s3, 1, v146
	v_cmp_eq_u32_e64 s4, 7, v142
	s_delay_alu instid0(VALU_DEP_3) | instskip(NEXT) | instid1(VALU_DEP_3)
	v_cndmask_b32_e32 v20, v20, v4, vcc_lo
	v_cndmask_b32_e64 v1, v1, v10, s3
	v_cndmask_b32_e64 v5, v5, v14, s3
	v_cmp_eq_u32_e64 s3, 3, v141
	v_cndmask_b32_e64 v14, v23, v6, s6
	v_cmp_eq_u32_e64 s6, 3, v146
	v_cndmask_b32_e64 v1, v1, v2, s2
	v_cndmask_b32_e64 v2, v5, v6, s2
	;; [unrolled: 1-line block ×3, first 2 shown]
	v_cmp_eq_u32_e64 s2, 4, v141
	v_cndmask_b32_e64 v6, v14, v15, s3
	v_cndmask_b32_e64 v1, v1, v11, s6
	v_cmp_eq_u32_e64 s3, 4, v146
	v_cndmask_b32_e64 v2, v2, v15, s6
	v_cndmask_b32_e64 v5, v10, v3, s2
	;; [unrolled: 3-line block ×3, first 2 shown]
	v_cndmask_b32_e64 v2, v2, v7, s3
	v_cmp_eq_u32_e64 s2, 5, v146
	v_cndmask_b32_e64 v5, v5, v12, s6
	v_cmp_eq_u32_e64 s3, 6, v141
	;; [unrolled: 2-line block ×3, first 2 shown]
	v_cndmask_b32_e64 v1, v1, v12, s2
	v_cndmask_b32_e64 v2, v2, v16, s2
	v_cndmask_b32_e64 v5, v5, v4, s3
	v_cndmask_b32_e64 v3, v3, v8, s3
	v_cmp_eq_u32_e64 s2, 7, v146
	v_cndmask_b32_e64 v1, v1, v4, s6
	v_cndmask_b32_e64 v2, v2, v8, s6
	v_cmp_eq_u32_e64 s3, 7, v141
	v_cndmask_b32_e32 v4, v21, v8, vcc_lo
	v_cndmask_b32_e64 v18, v18, v13, s4
	v_cndmask_b32_e64 v20, v20, v13, s5
	;; [unrolled: 1-line block ×8, first 2 shown]
	s_mov_b32 s2, exec_lo
	v_perm_b32 v4, v2, v1, 0x5040100
	v_perm_b32 v3, v3, v5, 0x5040100
	;; [unrolled: 1-line block ×4, first 2 shown]
	ds_store_b128 v9, v[1:4]
	s_waitcnt lgkmcnt(0)
	s_barrier
	buffer_gl0_inv
	v_cmpx_gt_u32_e32 32, v0
	s_cbranch_execz .LBB679_2
; %bb.111:
	s_load_b64 s[0:1], s[0:1], 0x68
	s_lshl_b32 s4, s34, 7
	v_or_b32_e32 v2, s29, v138
	s_mul_i32 s2, s4, s30
	v_lshlrev_b32_e32 v0, 10, v0
	s_mul_i32 s2, s2, s7
	v_lshlrev_b32_e32 v1, 4, v139
	s_ashr_i32 s3, s2, 31
	v_mul_lo_u32 v20, v2, s4
	s_lshl_b64 s[2:3], s[2:3], 1
	v_lshlrev_b32_e32 v3, 6, v138
	v_and_b32_e32 v0, 0x3800, v0
	s_delay_alu instid0(VALU_DEP_1) | instskip(NEXT) | instid1(VALU_DEP_4)
	v_or3_b32 v16, v0, v1, v3
	v_ashrrev_i32_e32 v21, 31, v20
	ds_load_b128 v[0:3], v16
	ds_load_b128 v[4:7], v16 offset:128
	s_waitcnt lgkmcnt(0)
	s_add_u32 s2, s0, s2
	s_addc_u32 s3, s1, s3
	s_lshl_b32 s0, s14, 7
	ds_load_b128 v[8:11], v16 offset:256
	ds_load_b128 v[12:15], v16 offset:384
	ds_load_b128 v[16:19], v16 offset:512
	s_ashr_i32 s1, s0, 31
	s_delay_alu instid0(SALU_CYCLE_1) | instskip(NEXT) | instid1(SALU_CYCLE_1)
	s_lshl_b64 s[0:1], s[0:1], 1
	s_add_u32 s0, s2, s0
	s_addc_u32 s1, s3, s1
	s_lshl_b32 s2, s34, 8
	v_add_co_u32 v30, s0, s0, v137
	v_add_nc_u32_e32 v22, s2, v20
	v_lshlrev_b64 v[20:21], 1, v[20:21]
	v_add_co_ci_u32_e64 v31, null, s1, 0, s0
	s_delay_alu instid0(VALU_DEP_3) | instskip(SKIP_1) | instid1(VALU_DEP_4)
	v_add_nc_u32_e32 v24, s2, v22
	v_ashrrev_i32_e32 v23, 31, v22
	v_add_co_u32 v20, vcc_lo, v30, v20
	s_delay_alu instid0(VALU_DEP_4) | instskip(NEXT) | instid1(VALU_DEP_4)
	v_add_co_ci_u32_e32 v21, vcc_lo, v31, v21, vcc_lo
	v_add_nc_u32_e32 v26, s2, v24
	v_ashrrev_i32_e32 v25, 31, v24
	v_lshlrev_b64 v[22:23], 1, v[22:23]
	s_delay_alu instid0(VALU_DEP_3) | instskip(SKIP_1) | instid1(VALU_DEP_4)
	v_add_nc_u32_e32 v28, s2, v26
	v_ashrrev_i32_e32 v27, 31, v26
	v_lshlrev_b64 v[24:25], 1, v[24:25]
	s_delay_alu instid0(VALU_DEP_4) | instskip(NEXT) | instid1(VALU_DEP_4)
	v_add_co_u32 v22, vcc_lo, v30, v22
	v_ashrrev_i32_e32 v29, 31, v28
	s_delay_alu instid0(VALU_DEP_4) | instskip(SKIP_2) | instid1(VALU_DEP_4)
	v_lshlrev_b64 v[26:27], 1, v[26:27]
	v_add_co_ci_u32_e32 v23, vcc_lo, v31, v23, vcc_lo
	v_add_co_u32 v24, vcc_lo, v30, v24
	v_lshlrev_b64 v[28:29], 1, v[28:29]
	v_add_co_ci_u32_e32 v25, vcc_lo, v31, v25, vcc_lo
	v_add_co_u32 v26, vcc_lo, v30, v26
	v_add_co_ci_u32_e32 v27, vcc_lo, v31, v27, vcc_lo
	s_delay_alu instid0(VALU_DEP_4)
	v_add_co_u32 v28, vcc_lo, v30, v28
	v_add_co_ci_u32_e32 v29, vcc_lo, v31, v29, vcc_lo
	s_clause 0x1
	global_store_b128 v[20:21], v[0:3], off
	global_store_b128 v[22:23], v[4:7], off
	s_waitcnt lgkmcnt(2)
	global_store_b128 v[24:25], v[8:11], off
	s_waitcnt lgkmcnt(1)
	;; [unrolled: 2-line block ×3, first 2 shown]
	global_store_b128 v[28:29], v[16:19], off
	s_nop 0
	s_sendmsg sendmsg(MSG_DEALLOC_VGPRS)
	s_endpgm
	.section	.rodata,"a",@progbits
	.p2align	6, 0x0
	.amdhsa_kernel _Z39paged_attention_ll4mi_QKV_mfma16_kernelI14__hip_bfloat16S0_LN4vllm18Fp8KVCacheDataTypeE0ES0_Li16ELi128ELi256ELb0ELi10EL8MFMAType0EEvPKT_PKT0_S9_ifPKiSB_SB_iPKfiiiPfSE_PS4_PT2_iSD_SD_
		.amdhsa_group_segment_fixed_size 17472
		.amdhsa_private_segment_fixed_size 0
		.amdhsa_kernarg_size 400
		.amdhsa_user_sgpr_count 13
		.amdhsa_user_sgpr_dispatch_ptr 0
		.amdhsa_user_sgpr_queue_ptr 0
		.amdhsa_user_sgpr_kernarg_segment_ptr 1
		.amdhsa_user_sgpr_dispatch_id 0
		.amdhsa_user_sgpr_private_segment_size 0
		.amdhsa_wavefront_size32 1
		.amdhsa_uses_dynamic_stack 0
		.amdhsa_enable_private_segment 0
		.amdhsa_system_sgpr_workgroup_id_x 1
		.amdhsa_system_sgpr_workgroup_id_y 1
		.amdhsa_system_sgpr_workgroup_id_z 1
		.amdhsa_system_sgpr_workgroup_info 0
		.amdhsa_system_vgpr_workitem_id 0
		.amdhsa_next_free_vgpr 218
		.amdhsa_next_free_sgpr 50
		.amdhsa_reserve_vcc 1
		.amdhsa_float_round_mode_32 0
		.amdhsa_float_round_mode_16_64 0
		.amdhsa_float_denorm_mode_32 3
		.amdhsa_float_denorm_mode_16_64 3
		.amdhsa_dx10_clamp 1
		.amdhsa_ieee_mode 1
		.amdhsa_fp16_overflow 0
		.amdhsa_workgroup_processor_mode 1
		.amdhsa_memory_ordered 1
		.amdhsa_forward_progress 0
		.amdhsa_shared_vgpr_count 0
		.amdhsa_exception_fp_ieee_invalid_op 0
		.amdhsa_exception_fp_denorm_src 0
		.amdhsa_exception_fp_ieee_div_zero 0
		.amdhsa_exception_fp_ieee_overflow 0
		.amdhsa_exception_fp_ieee_underflow 0
		.amdhsa_exception_fp_ieee_inexact 0
		.amdhsa_exception_int_div_zero 0
	.end_amdhsa_kernel
	.section	.text._Z39paged_attention_ll4mi_QKV_mfma16_kernelI14__hip_bfloat16S0_LN4vllm18Fp8KVCacheDataTypeE0ES0_Li16ELi128ELi256ELb0ELi10EL8MFMAType0EEvPKT_PKT0_S9_ifPKiSB_SB_iPKfiiiPfSE_PS4_PT2_iSD_SD_,"axG",@progbits,_Z39paged_attention_ll4mi_QKV_mfma16_kernelI14__hip_bfloat16S0_LN4vllm18Fp8KVCacheDataTypeE0ES0_Li16ELi128ELi256ELb0ELi10EL8MFMAType0EEvPKT_PKT0_S9_ifPKiSB_SB_iPKfiiiPfSE_PS4_PT2_iSD_SD_,comdat
.Lfunc_end679:
	.size	_Z39paged_attention_ll4mi_QKV_mfma16_kernelI14__hip_bfloat16S0_LN4vllm18Fp8KVCacheDataTypeE0ES0_Li16ELi128ELi256ELb0ELi10EL8MFMAType0EEvPKT_PKT0_S9_ifPKiSB_SB_iPKfiiiPfSE_PS4_PT2_iSD_SD_, .Lfunc_end679-_Z39paged_attention_ll4mi_QKV_mfma16_kernelI14__hip_bfloat16S0_LN4vllm18Fp8KVCacheDataTypeE0ES0_Li16ELi128ELi256ELb0ELi10EL8MFMAType0EEvPKT_PKT0_S9_ifPKiSB_SB_iPKfiiiPfSE_PS4_PT2_iSD_SD_
                                        ; -- End function
	.section	.AMDGPU.csdata,"",@progbits
; Kernel info:
; codeLenInByte = 10296
; NumSgprs: 52
; NumVgprs: 218
; ScratchSize: 0
; MemoryBound: 0
; FloatMode: 240
; IeeeMode: 1
; LDSByteSize: 17472 bytes/workgroup (compile time only)
; SGPRBlocks: 6
; VGPRBlocks: 27
; NumSGPRsForWavesPerEU: 52
; NumVGPRsForWavesPerEU: 218
; Occupancy: 6
; WaveLimiterHint : 1
; COMPUTE_PGM_RSRC2:SCRATCH_EN: 0
; COMPUTE_PGM_RSRC2:USER_SGPR: 13
; COMPUTE_PGM_RSRC2:TRAP_HANDLER: 0
; COMPUTE_PGM_RSRC2:TGID_X_EN: 1
; COMPUTE_PGM_RSRC2:TGID_Y_EN: 1
; COMPUTE_PGM_RSRC2:TGID_Z_EN: 1
; COMPUTE_PGM_RSRC2:TIDIG_COMP_CNT: 0
	.section	.text._Z39paged_attention_ll4mi_QKV_mfma16_kernelI14__hip_bfloat16S0_LN4vllm18Fp8KVCacheDataTypeE0ES0_Li16ELi128ELi256ELb0ELi11EL8MFMAType0EEvPKT_PKT0_S9_ifPKiSB_SB_iPKfiiiPfSE_PS4_PT2_iSD_SD_,"axG",@progbits,_Z39paged_attention_ll4mi_QKV_mfma16_kernelI14__hip_bfloat16S0_LN4vllm18Fp8KVCacheDataTypeE0ES0_Li16ELi128ELi256ELb0ELi11EL8MFMAType0EEvPKT_PKT0_S9_ifPKiSB_SB_iPKfiiiPfSE_PS4_PT2_iSD_SD_,comdat
	.protected	_Z39paged_attention_ll4mi_QKV_mfma16_kernelI14__hip_bfloat16S0_LN4vllm18Fp8KVCacheDataTypeE0ES0_Li16ELi128ELi256ELb0ELi11EL8MFMAType0EEvPKT_PKT0_S9_ifPKiSB_SB_iPKfiiiPfSE_PS4_PT2_iSD_SD_ ; -- Begin function _Z39paged_attention_ll4mi_QKV_mfma16_kernelI14__hip_bfloat16S0_LN4vllm18Fp8KVCacheDataTypeE0ES0_Li16ELi128ELi256ELb0ELi11EL8MFMAType0EEvPKT_PKT0_S9_ifPKiSB_SB_iPKfiiiPfSE_PS4_PT2_iSD_SD_
	.globl	_Z39paged_attention_ll4mi_QKV_mfma16_kernelI14__hip_bfloat16S0_LN4vllm18Fp8KVCacheDataTypeE0ES0_Li16ELi128ELi256ELb0ELi11EL8MFMAType0EEvPKT_PKT0_S9_ifPKiSB_SB_iPKfiiiPfSE_PS4_PT2_iSD_SD_
	.p2align	8
	.type	_Z39paged_attention_ll4mi_QKV_mfma16_kernelI14__hip_bfloat16S0_LN4vllm18Fp8KVCacheDataTypeE0ES0_Li16ELi128ELi256ELb0ELi11EL8MFMAType0EEvPKT_PKT0_S9_ifPKiSB_SB_iPKfiiiPfSE_PS4_PT2_iSD_SD_,@function
_Z39paged_attention_ll4mi_QKV_mfma16_kernelI14__hip_bfloat16S0_LN4vllm18Fp8KVCacheDataTypeE0ES0_Li16ELi128ELi256ELb0ELi11EL8MFMAType0EEvPKT_PKT0_S9_ifPKiSB_SB_iPKfiiiPfSE_PS4_PT2_iSD_SD_: ; @_Z39paged_attention_ll4mi_QKV_mfma16_kernelI14__hip_bfloat16S0_LN4vllm18Fp8KVCacheDataTypeE0ES0_Li16ELi128ELi256ELb0ELi11EL8MFMAType0EEvPKT_PKT0_S9_ifPKiSB_SB_iPKfiiiPfSE_PS4_PT2_iSD_SD_
; %bb.0:
	s_load_b64 s[4:5], s[0:1], 0x30
	s_mov_b32 s30, s13
	s_waitcnt lgkmcnt(0)
	s_cmp_lg_u64 s[4:5], 0
	s_cselect_b32 s8, -1, 0
	s_ashr_i32 s31, s13, 31
	s_cmp_eq_u64 s[4:5], 0
	s_cbranch_scc1 .LBB680_3
; %bb.1:
	s_lshl_b64 s[2:3], s[30:31], 2
	s_delay_alu instid0(SALU_CYCLE_1) | instskip(SKIP_4) | instid1(SALU_CYCLE_1)
	s_add_u32 s2, s4, s2
	s_addc_u32 s3, s5, s3
	s_load_b64 s[2:3], s[2:3], 0x0
	s_waitcnt lgkmcnt(0)
	s_sub_i32 s2, s3, s2
	s_cmp_eq_u32 s2, 1
	s_cselect_b32 s2, -1, 0
	s_delay_alu instid0(SALU_CYCLE_1)
	s_and_not1_b32 vcc_lo, exec_lo, s2
	s_cbranch_vccz .LBB680_4
.LBB680_2:
	s_nop 0
	s_sendmsg sendmsg(MSG_DEALLOC_VGPRS)
	s_endpgm
.LBB680_3:
.LBB680_4:
	s_load_b64 s[2:3], s[0:1], 0x28
	s_lshl_b64 s[6:7], s[30:31], 2
	s_waitcnt lgkmcnt(0)
	s_add_u32 s2, s2, s6
	s_addc_u32 s3, s3, s7
	s_lshl_b32 s29, s14, 8
	s_load_b32 s28, s[2:3], 0x0
	s_waitcnt lgkmcnt(0)
	s_cmp_ge_i32 s29, s28
	s_cbranch_scc1 .LBB680_2
; %bb.5:
	s_clause 0x1
	s_load_b128 s[20:23], s[0:1], 0x8
	s_load_b64 s[2:3], s[0:1], 0x20
	s_and_not1_b32 vcc_lo, exec_lo, s8
	s_cbranch_vccnz .LBB680_7
; %bb.6:
	s_add_u32 s4, s4, s6
	s_addc_u32 s5, s5, s7
	s_load_b32 s5, s[4:5], 0x0
	s_branch .LBB680_8
.LBB680_7:
	s_mov_b32 s5, s30
.LBB680_8:
	s_load_b128 s[16:19], s[0:1], 0x48
	v_and_b32_e32 v140, 15, v0
	v_lshrrev_b32_e32 v141, 5, v0
	v_bfe_u32 v138, v0, 4, 1
	v_and_b32_e32 v142, 31, v0
	v_and_b32_e32 v139, 1, v0
	v_lshlrev_b32_e32 v2, 3, v140
	s_mul_i32 s31, s15, 11
	v_lshl_or_b32 v1, v141, 1, v138
	s_mov_b32 s4, exec_lo
	s_delay_alu instid0(VALU_DEP_2) | instskip(NEXT) | instid1(VALU_DEP_2)
	v_lshlrev_b32_e32 v137, 1, v2
	v_cmpx_gt_u32_e32 11, v1
	s_cbranch_execz .LBB680_10
; %bb.9:
	s_load_b64 s[6:7], s[0:1], 0x0
	v_add_lshl_u32 v2, v1, s31, 7
	s_waitcnt lgkmcnt(0)
	s_mul_hi_i32 s9, s5, s16
	s_mul_i32 s8, s5, s16
	v_lshlrev_b32_e32 v6, 10, v140
	s_lshl_b64 s[8:9], s[8:9], 1
	v_ashrrev_i32_e32 v3, 31, v2
	v_lshlrev_b32_e32 v1, 6, v1
	v_lshlrev_b32_e32 v7, 10, v139
	v_and_b32_e32 v6, 0x3800, v6
	s_delay_alu instid0(VALU_DEP_4) | instskip(NEXT) | instid1(VALU_DEP_2)
	v_lshlrev_b64 v[2:3], 1, v[2:3]
	v_or3_b32 v1, v6, v7, v1
	s_add_u32 s5, s6, s8
	s_addc_u32 s6, s7, s9
	s_delay_alu instid0(VALU_DEP_2) | instskip(NEXT) | instid1(VALU_DEP_3)
	v_add_co_u32 v2, vcc_lo, s5, v2
	v_add_co_ci_u32_e32 v3, vcc_lo, s6, v3, vcc_lo
	s_delay_alu instid0(VALU_DEP_2) | instskip(NEXT) | instid1(VALU_DEP_2)
	v_add_co_u32 v2, vcc_lo, v2, v137
	v_add_co_ci_u32_e32 v3, vcc_lo, 0, v3, vcc_lo
	global_load_b128 v[2:5], v[2:3], off
	s_waitcnt vmcnt(0)
	ds_store_b128 v1, v[2:5]
.LBB680_10:
	s_or_b32 exec_lo, exec_lo, s4
	v_and_b32_e32 v1, 0xef, v0
	s_waitcnt lgkmcnt(0)
	s_add_i32 s5, s28, 15
	s_clause 0x1
	s_load_b32 s4, s[0:1], 0x38
	s_load_b32 s33, s[0:1], 0x1c
	s_ashr_i32 s6, s5, 31
	v_add_nc_u32_e32 v1, s29, v1
	s_lshr_b32 s6, s6, 28
	s_waitcnt lgkmcnt(0)
	s_add_i32 s5, s5, s6
	s_barrier
	v_ashrrev_i32_e32 v2, 31, v1
	v_cmp_gt_i32_e32 vcc_lo, s28, v1
	s_ashr_i32 s16, s5, 4
	buffer_gl0_inv
	s_add_i32 s16, s16, -1
	v_lshrrev_b32_e32 v3, 28, v2
	v_or_b32_e32 v2, 16, v1
	v_add_nc_u32_e32 v105, -11, v140
	v_lshlrev_b32_e32 v106, 5, v140
	s_delay_alu instid0(VALU_DEP_4) | instskip(NEXT) | instid1(VALU_DEP_4)
	v_add_nc_u32_e32 v4, v1, v3
	v_add_nc_u32_e32 v3, v2, v3
	s_mul_i32 s4, s30, s4
	s_delay_alu instid0(VALU_DEP_3) | instskip(SKIP_4) | instid1(SALU_CYCLE_1)
	v_lshl_or_b32 v125, v141, 9, v106
	s_ashr_i32 s5, s4, 31
	v_ashrrev_i32_e32 v4, 4, v4
	v_ashrrev_i32_e32 v3, 4, v3
	s_lshl_b64 s[4:5], s[4:5], 2
	s_add_u32 s34, s2, s4
	s_delay_alu instid0(VALU_DEP_2) | instskip(SKIP_3) | instid1(VALU_DEP_2)
	v_cndmask_b32_e32 v1, s16, v4, vcc_lo
	v_cmp_gt_i32_e32 vcc_lo, s28, v2
	s_addc_u32 s35, s3, s5
	s_mul_i32 s2, s15, s18
	v_ashrrev_i32_e32 v2, 31, v1
	v_cndmask_b32_e32 v3, s16, v3, vcc_lo
	s_ashr_i32 s3, s2, 31
	s_delay_alu instid0(SALU_CYCLE_1) | instskip(NEXT) | instid1(VALU_DEP_2)
	s_lshl_b64 s[2:3], s[2:3], 1
	v_lshlrev_b64 v[1:2], 2, v[1:2]
	s_delay_alu instid0(VALU_DEP_2) | instskip(SKIP_3) | instid1(VALU_DEP_1)
	v_ashrrev_i32_e32 v4, 31, v3
	s_add_u32 s24, s20, s2
	s_addc_u32 s25, s21, s3
	s_lshl_b32 s4, s14, 4
	v_lshlrev_b64 v[3:4], 2, v[3:4]
	v_add_co_u32 v1, vcc_lo, s34, v1
	v_add_co_ci_u32_e32 v2, vcc_lo, s35, v2, vcc_lo
	s_ashr_i32 s5, s4, 31
	s_delay_alu instid0(VALU_DEP_3) | instskip(NEXT) | instid1(VALU_DEP_4)
	v_add_co_u32 v3, vcc_lo, s34, v3
	v_add_co_ci_u32_e32 v4, vcc_lo, s35, v4, vcc_lo
	s_lshl_b64 s[4:5], s[4:5], 2
	s_clause 0x1
	global_load_b32 v5, v[1:2], off
	global_load_b32 v6, v[3:4], off
	s_add_u32 s4, s34, s4
	s_addc_u32 s5, s35, s5
	s_or_b32 s6, s29, 16
	v_lshlrev_b32_e32 v3, 4, v0
	s_ashr_i32 s7, s6, 4
	s_cmp_lt_i32 s6, s28
	s_cselect_b32 s6, s7, s16
	s_delay_alu instid0(SALU_CYCLE_1) | instskip(NEXT) | instid1(SALU_CYCLE_1)
	s_ashr_i32 s7, s6, 31
	s_lshl_b64 s[6:7], s[6:7], 2
	s_delay_alu instid0(SALU_CYCLE_1) | instskip(SKIP_2) | instid1(SALU_CYCLE_1)
	s_add_u32 s6, s34, s6
	s_addc_u32 s7, s35, s7
	s_or_b32 s8, s29, 32
	s_ashr_i32 s9, s8, 4
	s_cmp_lt_i32 s8, s28
	s_cselect_b32 s8, s9, s16
	s_delay_alu instid0(SALU_CYCLE_1) | instskip(NEXT) | instid1(SALU_CYCLE_1)
	s_ashr_i32 s9, s8, 31
	s_lshl_b64 s[8:9], s[8:9], 2
	s_delay_alu instid0(SALU_CYCLE_1) | instskip(SKIP_2) | instid1(SALU_CYCLE_1)
	s_add_u32 s8, s34, s8
	s_addc_u32 s9, s35, s9
	s_or_b32 s10, s29, 48
	;; [unrolled: 10-line block ×4, first 2 shown]
	s_ashr_i32 s13, s12, 4
	s_cmp_lt_i32 s12, s28
	s_cselect_b32 s12, s13, s16
	s_delay_alu instid0(SALU_CYCLE_1) | instskip(NEXT) | instid1(SALU_CYCLE_1)
	s_ashr_i32 s13, s12, 31
	s_lshl_b64 s[12:13], s[12:13], 2
	s_delay_alu instid0(SALU_CYCLE_1)
	s_add_u32 s20, s34, s12
	s_addc_u32 s21, s35, s13
	s_clause 0x5
	s_load_b32 s36, s[4:5], 0x0
	s_load_b32 s27, s[6:7], 0x0
	;; [unrolled: 1-line block ×6, first 2 shown]
	s_waitcnt vmcnt(1)
	v_mad_i64_i32 v[1:2], null, v5, s17, 0
	v_and_b32_e32 v5, 0xf0, v3
	s_waitcnt vmcnt(0)
	v_mad_i64_i32 v[3:4], null, v6, s17, 0
	s_delay_alu instid0(VALU_DEP_2) | instskip(NEXT) | instid1(VALU_DEP_4)
	v_add_co_u32 v5, s4, s24, v5
	v_lshlrev_b64 v[1:2], 1, v[1:2]
	v_add_co_ci_u32_e64 v6, null, s25, 0, s4
	s_delay_alu instid0(VALU_DEP_4) | instskip(SKIP_1) | instid1(VALU_DEP_3)
	v_lshlrev_b64 v[3:4], 1, v[3:4]
	s_or_b32 s4, s29, 0x60
	v_add_co_u32 v121, vcc_lo, v5, v1
	s_delay_alu instid0(VALU_DEP_3) | instskip(NEXT) | instid1(VALU_DEP_3)
	v_add_co_ci_u32_e32 v122, vcc_lo, v6, v2, vcc_lo
	v_add_co_u32 v123, vcc_lo, v5, v3
	s_delay_alu instid0(VALU_DEP_4)
	v_add_co_ci_u32_e32 v124, vcc_lo, v6, v4, vcc_lo
	s_clause 0x19
	global_load_b128 v[89:92], v[121:122], off
	global_load_b128 v[93:96], v[121:122], off offset:256
	global_load_b128 v[97:100], v[123:124], off
	global_load_b128 v[101:104], v[123:124], off offset:256
	global_load_b128 v[81:84], v[121:122], off offset:512
	;; [unrolled: 1-line block ×23, first 2 shown]
	s_ashr_i32 s5, s4, 4
	s_cmp_lt_i32 s4, s28
	v_cmp_gt_u32_e32 vcc_lo, 11, v140
	s_cselect_b32 s4, s5, s16
	s_delay_alu instid0(SALU_CYCLE_1) | instskip(NEXT) | instid1(SALU_CYCLE_1)
	s_ashr_i32 s5, s4, 31
	s_lshl_b64 s[4:5], s[4:5], 2
	v_cndmask_b32_e32 v105, v105, v140, vcc_lo
	s_add_u32 s18, s34, s4
	s_addc_u32 s19, s35, s5
	s_or_b32 s4, s29, 0x70
	s_delay_alu instid0(SALU_CYCLE_1)
	s_ashr_i32 s5, s4, 4
	s_cmp_lt_i32 s4, s28
	v_lshlrev_b32_e32 v215, 6, v105
	s_cselect_b32 s6, s5, s16
	ds_load_b128 v[105:108], v215
	ds_load_b128 v[109:112], v215 offset:1024
	s_ashr_i32 s7, s6, 31
	ds_load_b128 v[113:116], v215 offset:2048
	ds_load_b128 v[117:120], v215 offset:3072
	;; [unrolled: 1-line block ×8, first 2 shown]
	s_clause 0x1
	global_load_b128 v[167:170], v[123:124], off offset:3072
	global_load_b128 v[171:174], v[123:124], off offset:3328
	s_lshl_b64 s[6:7], s[6:7], 2
	s_mov_b32 s4, 0
	s_add_u32 s20, s34, s6
	s_addc_u32 s21, s35, s7
	s_clause 0x1
	s_load_b32 s42, s[18:19], 0x0
	s_load_b32 s43, s[20:21], 0x0
	s_clause 0x3
	global_load_b128 v[175:178], v[121:122], off offset:3584
	global_load_b128 v[179:182], v[121:122], off offset:3840
	;; [unrolled: 1-line block ×4, first 2 shown]
	s_or_b32 s7, s29, 0x80
	s_mov_b32 s5, s4
	s_ashr_i32 s8, s7, 4
	s_cmp_lt_i32 s7, s28
	s_mov_b32 s6, s4
	s_cselect_b32 s10, s8, s16
	s_mov_b32 s7, s4
	s_ashr_i32 s11, s10, 31
	s_mov_b32 s8, s4
	s_lshl_b64 s[24:25], s[10:11], 2
	s_mov_b32 s9, s4
	s_add_u32 s24, s34, s24
	s_addc_u32 s25, s35, s25
	s_or_b32 s11, s29, 0x90
	s_mov_b32 s10, s4
	s_ashr_i32 s37, s11, 4
	s_cmp_lt_i32 s11, s28
	s_mov_b32 s11, s4
	s_cselect_b32 s38, s37, s16
	v_mov_b32_e32 v136, s11
	s_ashr_i32 s39, s38, 31
	v_dual_mov_b32 v135, s10 :: v_dual_mov_b32 v134, s9
	v_dual_mov_b32 v133, s8 :: v_dual_mov_b32 v132, s7
	;; [unrolled: 1-line block ×3, first 2 shown]
	v_mov_b32_e32 v129, s4
	s_lshl_b64 s[4:5], s[38:39], 2
	s_waitcnt lgkmcnt(0)
	s_mul_hi_i32 s7, s27, s17
	s_add_u32 s38, s34, s4
	s_addc_u32 s39, s35, s5
	s_or_b32 s4, s29, 0xa0
	s_load_b32 s39, s[38:39], 0x0
	s_ashr_i32 s5, s4, 4
	s_cmp_lt_i32 s4, s28
	s_cselect_b32 s4, s5, s16
	s_delay_alu instid0(SALU_CYCLE_1) | instskip(NEXT) | instid1(SALU_CYCLE_1)
	s_ashr_i32 s5, s4, 31
	s_lshl_b64 s[4:5], s[4:5], 2
	s_delay_alu instid0(SALU_CYCLE_1)
	s_add_u32 s40, s34, s4
	s_addc_u32 s41, s35, s5
	s_or_b32 s4, s29, 0xb0
	s_mul_hi_i32 s5, s36, s17
	s_ashr_i32 s6, s4, 4
	s_cmp_lt_i32 s4, s28
	s_mul_i32 s4, s36, s17
	s_cselect_b32 s8, s6, s16
	s_mul_i32 s6, s27, s17
	s_ashr_i32 s9, s8, 31
	s_load_b32 s38, s[40:41], 0x0
	s_lshl_b64 s[10:11], s[8:9], 2
	s_mul_hi_i32 s9, s26, s17
	s_add_u32 s36, s34, s10
	s_addc_u32 s37, s35, s11
	s_or_b32 s10, s29, 0xc0
	s_mul_i32 s8, s26, s17
	s_ashr_i32 s26, s10, 4
	s_cmp_lt_i32 s10, s28
	s_mul_hi_i32 s11, s13, s17
	s_cselect_b32 s26, s26, s16
	s_mul_i32 s10, s13, s17
	s_ashr_i32 s27, s26, 31
	s_mul_hi_i32 s13, s12, s17
	s_lshl_b64 s[26:27], s[26:27], 2
	s_mul_i32 s12, s12, s17
	s_add_u32 s20, s34, s26
	s_addc_u32 s21, s35, s27
	s_or_b32 s18, s29, 0xd0
	s_load_b32 s26, s[24:25], 0x0
	s_ashr_i32 s19, s18, 4
	s_cmp_lt_i32 s18, s28
	s_mul_i32 s18, s15, s17
	s_cselect_b32 s24, s19, s16
	s_mul_hi_i32 s19, s15, s17
	s_ashr_i32 s25, s24, 31
	s_waitcnt lgkmcnt(0)
	s_mul_hi_i32 s41, s39, s17
	s_lshl_b64 s[24:25], s[24:25], 2
	s_delay_alu instid0(SALU_CYCLE_1)
	s_add_u32 s24, s34, s24
	s_addc_u32 s25, s35, s25
	s_or_b32 s40, s29, 0xe0
	s_clause 0x2
	s_load_b32 s37, s[36:37], 0x0
	s_load_b32 s36, s[20:21], 0x0
	s_load_b32 s15, s[24:25], 0x0
	s_ashr_i32 s44, s40, 4
	s_cmp_lt_i32 s40, s28
	s_mul_hi_i32 s21, s42, s17
	s_mul_i32 s20, s42, s17
	s_cselect_b32 s42, s44, s16
	s_mul_hi_i32 s25, s43, s17
	s_mul_i32 s24, s43, s17
	s_ashr_i32 s43, s42, 31
	s_mul_hi_i32 s27, s26, s17
	s_lshl_b64 s[42:43], s[42:43], 2
	s_mul_i32 s26, s26, s17
	s_add_u32 s42, s34, s42
	s_addc_u32 s43, s35, s43
	s_or_b32 s44, s29, 0xf0
	s_mul_i32 s40, s39, s17
	s_ashr_i32 s46, s44, 4
	s_cmp_lt_i32 s44, s28
	s_mul_hi_i32 s39, s38, s17
	s_cselect_b32 s46, s46, s16
	s_waitcnt lgkmcnt(0)
	s_mul_hi_i32 s49, s15, s17
	s_ashr_i32 s47, s46, 31
	s_mul_i32 s48, s15, s17
	s_lshl_b64 s[46:47], s[46:47], 2
	s_mul_i32 s38, s38, s17
	s_add_u32 s34, s34, s46
	s_addc_u32 s35, s35, s47
	s_add_u32 s15, s22, s2
	s_addc_u32 s16, s23, s3
	v_add_co_u32 v216, s15, s15, v125
	s_delay_alu instid0(VALU_DEP_1) | instskip(SKIP_2) | instid1(VALU_DEP_2)
	v_add_co_ci_u32_e64 v217, null, s16, 0, s15
	s_lshl_b64 s[2:3], s[4:5], 1
	s_lshl_b64 s[4:5], s[6:7], 1
	v_add_co_u32 v125, vcc_lo, v216, s2
	s_delay_alu instid0(VALU_DEP_2)
	v_add_co_ci_u32_e32 v126, vcc_lo, s3, v217, vcc_lo
	v_add_co_u32 v199, vcc_lo, v216, s4
	s_lshl_b64 s[6:7], s[8:9], 1
	v_add_co_ci_u32_e32 v200, vcc_lo, s5, v217, vcc_lo
	s_lshl_b64 s[8:9], s[10:11], 1
	s_lshl_b64 s[10:11], s[12:13], 1
	;; [unrolled: 1-line block ×8, first 2 shown]
	s_mul_hi_i32 s45, s37, s17
	s_mul_i32 s44, s37, s17
	s_mul_hi_i32 s37, s36, s17
	s_lshl_b64 s[38:39], s[44:45], 1
	s_mul_i32 s36, s36, s17
	s_clause 0x1
	s_load_b32 s15, s[42:43], 0x0
	s_load_b32 s16, s[34:35], 0x0
	s_lshl_b64 s[36:37], s[36:37], 1
	s_lshl_b64 s[40:41], s[48:49], 1
	s_waitcnt lgkmcnt(0)
	s_mul_hi_i32 s3, s15, s17
	s_mul_i32 s2, s15, s17
	s_mul_hi_i32 s5, s16, s17
	s_lshl_b64 s[2:3], s[2:3], 1
	s_mul_i32 s4, s16, s17
	s_waitcnt vmcnt(30)
	v_wmma_f32_16x16x16_bf16 v[191:198], v[89:96], v[105:112], v[129:136]
	v_add_co_u32 v89, vcc_lo, v216, s6
	v_add_co_ci_u32_e32 v90, vcc_lo, s7, v217, vcc_lo
	v_add_co_u32 v91, vcc_lo, v216, s8
	v_add_co_ci_u32_e32 v92, vcc_lo, s9, v217, vcc_lo
	;; [unrolled: 2-line block ×5, first 2 shown]
	v_add_co_u32 v205, vcc_lo, v216, s20
	s_waitcnt vmcnt(28)
	v_wmma_f32_16x16x16_bf16 v[129:136], v[97:104], v[105:112], v[129:136]
	v_add_co_ci_u32_e32 v206, vcc_lo, s21, v217, vcc_lo
	v_add_co_u32 v207, vcc_lo, v216, s22
	v_add_co_ci_u32_e32 v208, vcc_lo, s23, v217, vcc_lo
	v_add_co_u32 v209, vcc_lo, v216, s24
	s_waitcnt vmcnt(26)
	v_wmma_f32_16x16x16_bf16 v[191:198], v[81:88], v[113:120], v[191:198]
	s_waitcnt vmcnt(24)
	v_wmma_f32_16x16x16_bf16 v[129:136], v[73:80], v[113:120], v[129:136]
	v_add_co_ci_u32_e32 v210, vcc_lo, s25, v217, vcc_lo
	v_add_co_u32 v211, vcc_lo, v216, s26
	v_add_co_ci_u32_e32 v212, vcc_lo, s27, v217, vcc_lo
	v_add_co_u32 v213, vcc_lo, v216, s38
	s_waitcnt vmcnt(22)
	v_wmma_f32_16x16x16_bf16 v[191:198], v[65:72], v[143:150], v[191:198]
	s_waitcnt vmcnt(20)
	v_wmma_f32_16x16x16_bf16 v[129:136], v[57:64], v[143:150], v[129:136]
	v_add_co_ci_u32_e32 v214, vcc_lo, s39, v217, vcc_lo
	v_add_co_u32 v143, vcc_lo, v216, s36
	s_waitcnt vmcnt(18)
	v_wmma_f32_16x16x16_bf16 v[191:198], v[49:56], v[151:158], v[191:198]
	s_waitcnt vmcnt(16)
	v_wmma_f32_16x16x16_bf16 v[129:136], v[41:48], v[151:158], v[129:136]
	v_add_co_ci_u32_e32 v144, vcc_lo, s37, v217, vcc_lo
	s_clause 0x15
	global_load_b128 v[121:124], v[125:126], off
	global_load_b128 v[125:128], v[125:126], off offset:16
	global_load_b128 v[113:116], v[199:200], off
	global_load_b128 v[117:120], v[199:200], off offset:16
	;; [unrolled: 2-line block ×11, first 2 shown]
	s_waitcnt vmcnt(36)
	v_wmma_f32_16x16x16_bf16 v[191:198], v[17:24], v[159:166], v[191:198]
	s_clause 0x1
	global_load_b128 v[17:20], v[213:214], off
	global_load_b128 v[21:24], v[213:214], off offset:16
	s_waitcnt vmcnt(36)
	v_wmma_f32_16x16x16_bf16 v[129:136], v[1:8], v[159:166], v[129:136]
	s_clause 0x1
	global_load_b128 v[1:4], v[143:144], off
	global_load_b128 v[5:8], v[143:144], off offset:16
	ds_load_b128 v[143:146], v215 offset:10240
	ds_load_b128 v[147:150], v215 offset:11264
	;; [unrolled: 1-line block ×4, first 2 shown]
	v_add_co_u32 v199, vcc_lo, v216, s40
	v_add_co_ci_u32_e32 v200, vcc_lo, s41, v217, vcc_lo
	v_add_co_u32 v159, vcc_lo, v216, s2
	v_add_co_ci_u32_e32 v160, vcc_lo, s3, v217, vcc_lo
	s_lshl_b64 s[2:3], s[4:5], 1
	s_delay_alu instid0(SALU_CYCLE_1)
	v_add_co_u32 v161, vcc_lo, v216, s2
	v_add_co_ci_u32_e32 v162, vcc_lo, s3, v217, vcc_lo
	s_waitcnt vmcnt(36) lgkmcnt(2)
	v_wmma_f32_16x16x16_bf16 v[191:198], v[25:32], v[143:150], v[191:198]
	s_waitcnt vmcnt(34)
	v_wmma_f32_16x16x16_bf16 v[129:136], v[33:40], v[143:150], v[129:136]
	s_clause 0x3
	global_load_b128 v[25:28], v[199:200], off
	global_load_b128 v[29:32], v[199:200], off offset:16
	global_load_b128 v[33:36], v[159:160], off
	global_load_b128 v[37:40], v[159:160], off offset:16
	v_and_b32_e32 v143, 0xe0, v0
	v_mbcnt_lo_u32_b32 v159, -1, 0
	s_waitcnt vmcnt(36) lgkmcnt(0)
	v_wmma_f32_16x16x16_bf16 v[191:198], v[9:16], v[151:158], v[191:198]
	s_clause 0x1
	global_load_b128 v[9:12], v[161:162], off
	global_load_b128 v[13:16], v[161:162], off offset:16
	s_waitcnt vmcnt(36)
	v_wmma_f32_16x16x16_bf16 v[129:136], v[167:174], v[151:158], v[129:136]
	v_add_nc_u32_e32 v160, s29, v143
	ds_load_b128 v[143:146], v215 offset:14336
	ds_load_b128 v[147:150], v215 offset:15360
	v_xor_b32_e32 v151, 16, v159
	s_waitcnt vmcnt(0) lgkmcnt(0)
	s_barrier
	v_or_b32_e32 v152, v160, v138
	buffer_gl0_inv
	v_cmp_gt_i32_e32 vcc_lo, 32, v151
	v_or_b32_e32 v153, 2, v152
	v_or_b32_e32 v154, 4, v152
	;; [unrolled: 1-line block ×5, first 2 shown]
	v_cmp_gt_i32_e64 s2, s28, v153
	v_cmp_gt_i32_e64 s3, s28, v154
	;; [unrolled: 1-line block ×3, first 2 shown]
	v_or_b32_e32 v158, 12, v152
	v_cmp_gt_i32_e64 s5, s28, v156
	v_cmp_gt_i32_e64 s6, s28, v157
	v_wmma_f32_16x16x16_bf16 v[191:198], v[175:182], v[143:150], v[191:198]
	v_wmma_f32_16x16x16_bf16 v[129:136], v[183:190], v[143:150], v[129:136]
	v_cndmask_b32_e32 v151, v159, v151, vcc_lo
	v_cmp_gt_i32_e32 vcc_lo, s28, v152
	v_or_b32_e32 v159, 14, v152
	v_dual_mul_f32 v149, s33, v192 :: v_dual_mul_f32 v150, s33, v191
	v_dual_mul_f32 v147, s33, v194 :: v_dual_mul_f32 v148, s33, v193
	v_mul_f32_e32 v145, s33, v196
	s_delay_alu instid0(VALU_DEP_3) | instskip(NEXT) | instid1(VALU_DEP_4)
	v_cndmask_b32_e64 v149, 0xff7fffff, v149, s2
	v_cndmask_b32_e32 v150, 0xff7fffff, v150, vcc_lo
	v_mul_f32_e32 v146, s33, v195
	v_cndmask_b32_e64 v148, 0xff7fffff, v148, s3
	v_cndmask_b32_e64 v147, 0xff7fffff, v147, s4
	v_or_b32_e32 v160, 16, v152
	v_max3_f32 v149, v150, 0xff7fffff, v149
	v_or_b32_e32 v161, 18, v152
	v_dual_mul_f32 v143, s33, v198 :: v_dual_mul_f32 v144, s33, v197
	v_cndmask_b32_e64 v146, 0xff7fffff, v146, s5
	v_cndmask_b32_e64 v145, 0xff7fffff, v145, s6
	v_max3_f32 v147, v149, v148, v147
	v_cmp_gt_i32_e64 s7, s28, v158
	v_cmp_gt_i32_e64 s8, s28, v159
	v_or_b32_e32 v162, 20, v152
	v_or_b32_e32 v163, 22, v152
	v_dual_mul_f32 v174, s33, v130 :: v_dual_mul_f32 v175, s33, v129
	v_cndmask_b32_e64 v144, 0xff7fffff, v144, s7
	v_cndmask_b32_e64 v143, 0xff7fffff, v143, s8
	v_max3_f32 v145, v147, v146, v145
	v_cmp_gt_i32_e64 s9, s28, v160
	v_cmp_gt_i32_e64 s10, s28, v161
	v_or_b32_e32 v164, 24, v152
	;; [unrolled: 8-line block ×3, first 2 shown]
	v_or_b32_e32 v167, 30, v152
	v_dual_mul_f32 v170, s33, v134 :: v_dual_mul_f32 v171, s33, v133
	v_cndmask_b32_e64 v144, 0xff7fffff, v173, s11
	v_cndmask_b32_e64 v145, 0xff7fffff, v172, s12
	v_max3_f32 v143, v143, v146, v147
	v_cmp_gt_i32_e64 s13, s28, v164
	v_cmp_gt_i32_e64 s15, s28, v165
	v_dual_mul_f32 v168, s33, v136 :: v_dual_mul_f32 v169, s33, v135
	s_delay_alu instid0(VALU_DEP_4) | instskip(NEXT) | instid1(VALU_DEP_4)
	v_max3_f32 v143, v143, v144, v145
	v_cndmask_b32_e64 v146, 0xff7fffff, v171, s13
	s_delay_alu instid0(VALU_DEP_4) | instskip(SKIP_3) | instid1(VALU_DEP_4)
	v_cndmask_b32_e64 v147, 0xff7fffff, v170, s15
	v_cmp_gt_i32_e64 s16, s28, v166
	v_cmp_gt_i32_e64 s17, s28, v167
	v_lshlrev_b32_e32 v154, 2, v151
	v_max3_f32 v143, v143, v146, v147
	s_delay_alu instid0(VALU_DEP_4) | instskip(NEXT) | instid1(VALU_DEP_4)
	v_cndmask_b32_e64 v144, 0xff7fffff, v169, s16
	v_cndmask_b32_e64 v145, 0xff7fffff, v168, s17
	s_delay_alu instid0(VALU_DEP_1) | instskip(SKIP_3) | instid1(VALU_DEP_1)
	v_max3_f32 v143, v143, v144, v145
	ds_bpermute_b32 v144, v154, v143
	s_waitcnt lgkmcnt(0)
	v_max_f32_e32 v144, v144, v144
	v_max_f32_e32 v153, v143, v144
	s_delay_alu instid0(VALU_DEP_1) | instskip(SKIP_4) | instid1(VALU_DEP_4)
	v_fma_f32 v143, s33, v191, -v153
	v_fma_f32 v144, s33, v192, -v153
	;; [unrolled: 1-line block ×5, first 2 shown]
	v_dual_mul_f32 v143, 0x3fb8aa3b, v143 :: v_dual_mul_f32 v144, 0x3fb8aa3b, v144
	s_delay_alu instid0(VALU_DEP_4) | instskip(SKIP_2) | instid1(VALU_DEP_4)
	v_mul_f32_e32 v132, 0x3fb8aa3b, v132
	v_fma_f32 v134, s33, v134, -v153
	v_mul_f32_e32 v145, 0x3fb8aa3b, v145
	v_exp_f32_e32 v143, v143
	v_exp_f32_e32 v147, v144
	v_fma_f32 v148, s33, v195, -v153
	v_mul_f32_e32 v134, 0x3fb8aa3b, v134
	v_mul_f32_e32 v146, 0x3fb8aa3b, v146
	v_exp_f32_e32 v145, v145
	v_fma_f32 v151, s33, v197, -v153
	v_mul_f32_e32 v148, 0x3fb8aa3b, v148
	v_fma_f32 v129, s33, v129, -v153
	v_exp_f32_e32 v149, v146
	v_cndmask_b32_e32 v144, 0, v143, vcc_lo
	v_fma_f32 v143, s33, v196, -v153
	v_cndmask_b32_e64 v146, 0, v147, s2
	v_exp_f32_e32 v148, v148
	s_delay_alu instid0(VALU_DEP_3) | instskip(NEXT) | instid1(VALU_DEP_3)
	v_dual_mul_f32 v151, 0x3fb8aa3b, v151 :: v_dual_add_f32 v150, 0, v144
	v_mul_f32_e32 v143, 0x3fb8aa3b, v143
	v_cndmask_b32_e64 v147, 0, v145, s3
	v_fma_f32 v130, s33, v130, -v153
	s_delay_alu instid0(TRANS32_DEP_2)
	v_cndmask_b32_e64 v149, 0, v149, s4
	v_add_f32_e32 v145, v150, v146
	v_fma_f32 v150, s33, v198, -v153
	v_exp_f32_e32 v143, v143
	v_exp_f32_e32 v155, v151
	v_mul_f32_e32 v129, 0x3fb8aa3b, v129
	s_delay_alu instid0(VALU_DEP_2) | instskip(SKIP_2) | instid1(VALU_DEP_3)
	v_dual_add_f32 v145, v145, v147 :: v_dual_mul_f32 v152, 0x3fb8aa3b, v150
	v_cndmask_b32_e64 v150, 0, v148, s5
	v_fma_f32 v131, s33, v131, -v153
	v_dual_mul_f32 v130, 0x3fb8aa3b, v130 :: v_dual_add_f32 v145, v145, v149
	s_delay_alu instid0(VALU_DEP_4) | instskip(NEXT) | instid1(TRANS32_DEP_3)
	v_exp_f32_e32 v152, v152
	v_cndmask_b32_e64 v151, 0, v143, s6
	v_exp_f32_e32 v129, v129
	s_delay_alu instid0(TRANS32_DEP_3)
	v_cndmask_b32_e64 v148, 0, v155, s7
	v_add_f32_e32 v143, v145, v150
	v_mul_f32_e32 v131, 0x3fb8aa3b, v131
	v_exp_f32_e32 v130, v130
	v_fma_f32 v133, s33, v133, -v153
	v_fma_f32 v136, s33, v136, -v153
	v_add_f32_e32 v143, v143, v151
	v_cndmask_b32_e64 v152, 0, v152, s8
	v_exp_f32_e32 v145, v131
	v_cndmask_b32_e64 v131, 0, v129, s9
	v_mul_f32_e32 v133, 0x3fb8aa3b, v133
	v_add_f32_e32 v143, v143, v148
	v_cmp_gt_u32_e64 s2, 16, v142
	s_delay_alu instid0(VALU_DEP_2)
	v_add_f32_e32 v129, v143, v152
	v_exp_f32_e32 v143, v132
	v_cndmask_b32_e64 v132, 0, v130, s10
	v_fma_f32 v130, s33, v135, -v153
	v_exp_f32_e32 v135, v133
	v_add_f32_e32 v129, v129, v131
	v_cndmask_b32_e64 v133, 0, v145, s11
	v_exp_f32_e32 v145, v134
	s_delay_alu instid0(VALU_DEP_2) | instskip(NEXT) | instid1(TRANS32_DEP_3)
	v_dual_mul_f32 v130, 0x3fb8aa3b, v130 :: v_dual_add_f32 v129, v129, v132
	v_cndmask_b32_e64 v134, 0, v143, s12
	v_mul_f32_e32 v143, 0x3fb8aa3b, v136
	s_delay_alu instid0(VALU_DEP_3) | instskip(NEXT) | instid1(TRANS32_DEP_3)
	v_exp_f32_e32 v130, v130
	v_cndmask_b32_e64 v135, 0, v135, s13
	v_add_f32_e32 v129, v129, v133
	s_delay_alu instid0(TRANS32_DEP_2) | instskip(SKIP_1) | instid1(VALU_DEP_2)
	v_cndmask_b32_e64 v136, 0, v145, s15
	v_exp_f32_e32 v145, v143
	v_add_f32_e32 v129, v129, v134
	s_waitcnt_depctr 0xfff
	v_cndmask_b32_e64 v143, 0, v130, s16
	v_add_f32_e32 v129, v129, v135
	v_cndmask_b32_e64 v145, 0, v145, s17
	s_delay_alu instid0(VALU_DEP_2) | instskip(NEXT) | instid1(VALU_DEP_1)
	v_add_f32_e32 v129, v129, v136
	v_add_f32_e32 v129, v129, v143
	s_delay_alu instid0(VALU_DEP_1)
	v_add_f32_e32 v129, v129, v145
	ds_bpermute_b32 v130, v154, v129
	s_and_saveexec_b32 s3, s2
	s_cbranch_execz .LBB680_12
; %bb.11:
	v_mul_u32_u24_e32 v142, 0x44, v141
	s_waitcnt lgkmcnt(0)
	v_add_f32_e32 v129, v129, v130
	s_delay_alu instid0(VALU_DEP_2) | instskip(NEXT) | instid1(VALU_DEP_1)
	v_lshl_add_u32 v142, v140, 2, v142
	v_add_nc_u32_e32 v130, 0x4000, v142
	ds_store_2addr_b32 v130, v153, v129 offset1:136
.LBB680_12:
	s_or_b32 exec_lo, exec_lo, s3
	v_lshlrev_b32_e32 v129, 2, v140
	s_waitcnt lgkmcnt(0)
	s_barrier
	buffer_gl0_inv
	v_cmp_eq_u32_e64 s3, 1, v141
	v_add_nc_u32_e32 v142, 0x4000, v129
	ds_load_2addr_b32 v[153:154], v142 offset1:17
	ds_load_2addr_b32 v[155:156], v142 offset0:34 offset1:51
	ds_load_2addr_b32 v[157:158], v142 offset0:68 offset1:85
	;; [unrolled: 1-line block ×4, first 2 shown]
	s_waitcnt lgkmcnt(4)
	v_max3_f32 v129, v153, 0xff7fffff, v154
	s_waitcnt lgkmcnt(3)
	s_delay_alu instid0(VALU_DEP_1) | instskip(SKIP_1) | instid1(VALU_DEP_1)
	v_max3_f32 v129, v129, v155, v156
	s_waitcnt lgkmcnt(2)
	v_max3_f32 v129, v129, v157, v158
	s_waitcnt lgkmcnt(1)
	s_delay_alu instid0(VALU_DEP_1) | instskip(NEXT) | instid1(VALU_DEP_1)
	v_max3_f32 v129, v129, v159, v160
	v_sub_f32_e32 v163, v154, v129
	v_sub_f32_e32 v130, v153, v129
	ds_load_2addr_b32 v[153:154], v142 offset0:170 offset1:187
	v_sub_f32_e32 v155, v155, v129
	v_dual_mul_f32 v163, 0x3fb8aa3b, v163 :: v_dual_mul_f32 v130, 0x3fb8aa3b, v130
	s_delay_alu instid0(VALU_DEP_2) | instskip(NEXT) | instid1(VALU_DEP_2)
	v_mul_f32_e32 v165, 0x3fb8aa3b, v155
	v_exp_f32_e32 v163, v163
	s_delay_alu instid0(VALU_DEP_2)
	v_exp_f32_e32 v164, v130
	v_sub_f32_e32 v130, v156, v129
	ds_load_2addr_b32 v[155:156], v142 offset0:204 offset1:221
	v_exp_f32_e32 v165, v165
	v_mul_f32_e32 v166, 0x3fb8aa3b, v130
	s_waitcnt lgkmcnt(2)
	v_fma_f32 v130, v164, v161, 0
	v_sub_f32_e32 v157, v157, v129
	s_delay_alu instid0(VALU_DEP_3) | instskip(NEXT) | instid1(VALU_DEP_2)
	v_exp_f32_e32 v166, v166
	v_dual_sub_f32 v161, v158, v129 :: v_dual_fmac_f32 v130, v163, v162
	s_waitcnt lgkmcnt(1)
	s_waitcnt_depctr 0xfff
	v_fmac_f32_e32 v130, v165, v153
	v_mul_f32_e32 v167, 0x3fb8aa3b, v157
	ds_load_2addr_b32 v[157:158], v142 offset0:238 offset1:255
	v_sub_f32_e32 v142, v159, v129
	v_dual_sub_f32 v153, v160, v129 :: v_dual_fmac_f32 v130, v166, v154
	v_mul_f32_e32 v159, 0x3fb8aa3b, v161
	v_exp_f32_e32 v161, v167
	s_delay_alu instid0(VALU_DEP_2)
	v_dual_mul_f32 v142, 0x3fb8aa3b, v142 :: v_dual_mul_f32 v153, 0x3fb8aa3b, v153
	s_waitcnt lgkmcnt(0)
	s_barrier
	buffer_gl0_inv
	v_exp_f32_e32 v142, v142
	v_exp_f32_e32 v153, v153
	v_fmac_f32_e32 v130, v161, v155
	v_exp_f32_e32 v159, v159
	s_waitcnt_depctr 0xfff
	v_fmac_f32_e32 v130, v159, v156
	s_delay_alu instid0(VALU_DEP_1) | instskip(NEXT) | instid1(VALU_DEP_1)
	v_fmac_f32_e32 v130, v142, v157
	v_fmac_f32_e32 v130, v153, v158
	s_delay_alu instid0(VALU_DEP_1) | instskip(NEXT) | instid1(VALU_DEP_1)
	v_add_f32_e32 v154, 0x358637bd, v130
	v_div_scale_f32 v155, null, v154, v154, 1.0
	v_div_scale_f32 v158, vcc_lo, 1.0, v154, 1.0
	s_delay_alu instid0(VALU_DEP_2) | instskip(SKIP_2) | instid1(VALU_DEP_1)
	v_rcp_f32_e32 v156, v155
	s_waitcnt_depctr 0xfff
	v_fma_f32 v157, -v155, v156, 1.0
	v_fmac_f32_e32 v156, v157, v156
	v_cndmask_b32_e64 v157, v164, v163, s3
	v_cmp_eq_u32_e64 s3, 2, v141
	s_delay_alu instid0(VALU_DEP_3) | instskip(NEXT) | instid1(VALU_DEP_2)
	v_mul_f32_e32 v160, v158, v156
	v_cndmask_b32_e64 v157, v157, v165, s3
	v_cmp_eq_u32_e64 s3, 3, v141
	s_delay_alu instid0(VALU_DEP_3) | instskip(NEXT) | instid1(VALU_DEP_2)
	v_fma_f32 v162, -v155, v160, v158
	v_cndmask_b32_e64 v157, v157, v166, s3
	v_cmp_eq_u32_e64 s3, 4, v141
	s_delay_alu instid0(VALU_DEP_3) | instskip(NEXT) | instid1(VALU_DEP_2)
	v_fmac_f32_e32 v160, v162, v156
	v_cndmask_b32_e64 v157, v157, v161, s3
	s_delay_alu instid0(VALU_DEP_2) | instskip(SKIP_1) | instid1(VALU_DEP_2)
	v_fma_f32 v155, -v155, v160, v158
	v_cmp_eq_u32_e64 s3, 5, v141
	v_div_fmas_f32 v155, v155, v156, v160
	s_delay_alu instid0(VALU_DEP_2) | instskip(SKIP_2) | instid1(VALU_DEP_3)
	v_cndmask_b32_e64 v157, v157, v159, s3
	v_cmp_eq_u32_e32 vcc_lo, 6, v141
	s_mov_b32 s3, exec_lo
	v_div_fixup_f32 v154, v155, v154, 1.0
	s_delay_alu instid0(VALU_DEP_3) | instskip(SKIP_1) | instid1(VALU_DEP_2)
	v_cndmask_b32_e32 v142, v157, v142, vcc_lo
	v_cmp_eq_u32_e32 vcc_lo, 7, v141
	v_cndmask_b32_e32 v142, v142, v153, vcc_lo
	s_delay_alu instid0(VALU_DEP_1) | instskip(NEXT) | instid1(VALU_DEP_1)
	v_mul_f32_e32 v142, v142, v154
	v_mul_f32_e32 v153, v142, v149
	;; [unrolled: 1-line block ×7, first 2 shown]
	v_dual_mul_f32 v150, v142, v147 :: v_dual_and_b32 v155, 0x7f800000, v154
	v_mul_f32_e32 v149, v142, v146
                                        ; implicit-def: $vgpr146
	s_delay_alu instid0(VALU_DEP_2)
	v_cmpx_ne_u32_e32 0x7f800000, v155
	s_xor_b32 s3, exec_lo, s3
; %bb.13:
	v_bfe_u32 v146, v154, 16, 1
	s_delay_alu instid0(VALU_DEP_1)
	v_add3_u32 v146, v154, v146, 0x7fff
                                        ; implicit-def: $vgpr154
; %bb.14:
	s_and_not1_saveexec_b32 s3, s3
; %bb.15:
	v_and_b32_e32 v146, 0xffff, v154
	v_or_b32_e32 v147, 0x10000, v154
	s_delay_alu instid0(VALU_DEP_2) | instskip(NEXT) | instid1(VALU_DEP_2)
	v_cmp_eq_u32_e32 vcc_lo, 0, v146
	v_cndmask_b32_e32 v146, v147, v154, vcc_lo
; %bb.16:
	s_or_b32 exec_lo, exec_lo, s3
	v_and_b32_e32 v147, 0x7f800000, v149
	s_delay_alu instid0(VALU_DEP_1) | instskip(SKIP_1) | instid1(SALU_CYCLE_1)
	v_cmp_ne_u32_e32 vcc_lo, 0x7f800000, v147
                                        ; implicit-def: $vgpr147
	s_and_saveexec_b32 s3, vcc_lo
	s_xor_b32 s3, exec_lo, s3
; %bb.17:
	v_bfe_u32 v147, v149, 16, 1
	s_delay_alu instid0(VALU_DEP_1)
	v_add3_u32 v147, v149, v147, 0x7fff
                                        ; implicit-def: $vgpr149
; %bb.18:
	s_and_not1_saveexec_b32 s3, s3
; %bb.19:
	v_and_b32_e32 v147, 0xffff, v149
	v_or_b32_e32 v154, 0x10000, v149
	s_delay_alu instid0(VALU_DEP_2) | instskip(NEXT) | instid1(VALU_DEP_2)
	v_cmp_eq_u32_e32 vcc_lo, 0, v147
	v_cndmask_b32_e32 v147, v154, v149, vcc_lo
; %bb.20:
	s_or_b32 exec_lo, exec_lo, s3
	v_and_b32_e32 v149, 0x7f800000, v150
	s_delay_alu instid0(VALU_DEP_1) | instskip(SKIP_1) | instid1(SALU_CYCLE_1)
	v_cmp_ne_u32_e32 vcc_lo, 0x7f800000, v149
                                        ; implicit-def: $vgpr149
	s_and_saveexec_b32 s3, vcc_lo
	s_xor_b32 s3, exec_lo, s3
; %bb.21:
	v_bfe_u32 v149, v150, 16, 1
	s_delay_alu instid0(VALU_DEP_1)
	v_add3_u32 v149, v150, v149, 0x7fff
                                        ; implicit-def: $vgpr150
; %bb.22:
	s_and_not1_saveexec_b32 s3, s3
; %bb.23:
	v_and_b32_e32 v149, 0xffff, v150
	v_or_b32_e32 v154, 0x10000, v150
	s_delay_alu instid0(VALU_DEP_2) | instskip(NEXT) | instid1(VALU_DEP_2)
	v_cmp_eq_u32_e32 vcc_lo, 0, v149
	v_cndmask_b32_e32 v149, v154, v150, vcc_lo
; %bb.24:
	s_or_b32 exec_lo, exec_lo, s3
	v_and_b32_e32 v150, 0x7f800000, v153
	s_delay_alu instid0(VALU_DEP_1) | instskip(SKIP_1) | instid1(SALU_CYCLE_1)
	v_cmp_ne_u32_e32 vcc_lo, 0x7f800000, v150
                                        ; implicit-def: $vgpr150
	s_and_saveexec_b32 s3, vcc_lo
	s_xor_b32 s3, exec_lo, s3
; %bb.25:
	v_bfe_u32 v150, v153, 16, 1
	s_delay_alu instid0(VALU_DEP_1)
	v_add3_u32 v150, v153, v150, 0x7fff
                                        ; implicit-def: $vgpr153
; %bb.26:
	s_and_not1_saveexec_b32 s3, s3
; %bb.27:
	v_and_b32_e32 v150, 0xffff, v153
	v_or_b32_e32 v154, 0x10000, v153
	s_delay_alu instid0(VALU_DEP_2) | instskip(NEXT) | instid1(VALU_DEP_2)
	v_cmp_eq_u32_e32 vcc_lo, 0, v150
	v_cndmask_b32_e32 v150, v154, v153, vcc_lo
; %bb.28:
	s_or_b32 exec_lo, exec_lo, s3
	v_and_b32_e32 v153, 0x7f800000, v152
	s_delay_alu instid0(VALU_DEP_1) | instskip(SKIP_1) | instid1(SALU_CYCLE_1)
	v_cmp_ne_u32_e32 vcc_lo, 0x7f800000, v153
                                        ; implicit-def: $vgpr153
	s_and_saveexec_b32 s3, vcc_lo
	s_xor_b32 s3, exec_lo, s3
; %bb.29:
	v_bfe_u32 v153, v152, 16, 1
	s_delay_alu instid0(VALU_DEP_1)
	v_add3_u32 v153, v152, v153, 0x7fff
                                        ; implicit-def: $vgpr152
; %bb.30:
	s_and_not1_saveexec_b32 s3, s3
; %bb.31:
	v_and_b32_e32 v153, 0xffff, v152
	v_or_b32_e32 v154, 0x10000, v152
	s_delay_alu instid0(VALU_DEP_2) | instskip(NEXT) | instid1(VALU_DEP_2)
	v_cmp_eq_u32_e32 vcc_lo, 0, v153
	v_cndmask_b32_e32 v153, v154, v152, vcc_lo
; %bb.32:
	s_or_b32 exec_lo, exec_lo, s3
	v_and_b32_e32 v152, 0x7f800000, v151
	s_delay_alu instid0(VALU_DEP_1) | instskip(SKIP_1) | instid1(SALU_CYCLE_1)
	v_cmp_ne_u32_e32 vcc_lo, 0x7f800000, v152
                                        ; implicit-def: $vgpr152
	s_and_saveexec_b32 s3, vcc_lo
	s_xor_b32 s3, exec_lo, s3
; %bb.33:
	v_bfe_u32 v152, v151, 16, 1
	s_delay_alu instid0(VALU_DEP_1)
	v_add3_u32 v152, v151, v152, 0x7fff
                                        ; implicit-def: $vgpr151
; %bb.34:
	s_and_not1_saveexec_b32 s3, s3
; %bb.35:
	v_and_b32_e32 v152, 0xffff, v151
	v_or_b32_e32 v154, 0x10000, v151
	s_delay_alu instid0(VALU_DEP_2) | instskip(NEXT) | instid1(VALU_DEP_2)
	v_cmp_eq_u32_e32 vcc_lo, 0, v152
	v_cndmask_b32_e32 v152, v154, v151, vcc_lo
; %bb.36:
	s_or_b32 exec_lo, exec_lo, s3
	v_and_b32_e32 v151, 0x7f800000, v148
	s_delay_alu instid0(VALU_DEP_1) | instskip(SKIP_1) | instid1(SALU_CYCLE_1)
	v_cmp_ne_u32_e32 vcc_lo, 0x7f800000, v151
                                        ; implicit-def: $vgpr151
	s_and_saveexec_b32 s3, vcc_lo
	s_xor_b32 s3, exec_lo, s3
; %bb.37:
	v_bfe_u32 v151, v148, 16, 1
	s_delay_alu instid0(VALU_DEP_1)
	v_add3_u32 v151, v148, v151, 0x7fff
                                        ; implicit-def: $vgpr148
; %bb.38:
	s_and_not1_saveexec_b32 s3, s3
; %bb.39:
	v_and_b32_e32 v151, 0xffff, v148
	v_or_b32_e32 v154, 0x10000, v148
	s_delay_alu instid0(VALU_DEP_2) | instskip(NEXT) | instid1(VALU_DEP_2)
	v_cmp_eq_u32_e32 vcc_lo, 0, v151
	v_cndmask_b32_e32 v151, v154, v148, vcc_lo
; %bb.40:
	s_or_b32 exec_lo, exec_lo, s3
	v_and_b32_e32 v148, 0x7f800000, v144
	s_delay_alu instid0(VALU_DEP_1) | instskip(SKIP_1) | instid1(SALU_CYCLE_1)
	v_cmp_ne_u32_e32 vcc_lo, 0x7f800000, v148
                                        ; implicit-def: $vgpr148
	s_and_saveexec_b32 s3, vcc_lo
	s_xor_b32 s3, exec_lo, s3
; %bb.41:
	v_bfe_u32 v148, v144, 16, 1
	s_delay_alu instid0(VALU_DEP_1)
	v_add3_u32 v148, v144, v148, 0x7fff
                                        ; implicit-def: $vgpr144
; %bb.42:
	s_and_not1_saveexec_b32 s3, s3
; %bb.43:
	v_and_b32_e32 v148, 0xffff, v144
	v_or_b32_e32 v154, 0x10000, v144
	s_delay_alu instid0(VALU_DEP_2) | instskip(NEXT) | instid1(VALU_DEP_2)
	v_cmp_eq_u32_e32 vcc_lo, 0, v148
	v_cndmask_b32_e32 v148, v154, v144, vcc_lo
; %bb.44:
	s_or_b32 exec_lo, exec_lo, s3
	s_load_b64 s[34:35], s[0:1], 0x94
	v_lshlrev_b32_e32 v155, 4, v138
	s_delay_alu instid0(VALU_DEP_2)
	v_perm_b32 v154, v148, v151, 0x7060302
	v_mul_f32_e32 v148, v142, v131
	v_dual_mul_f32 v145, v142, v145 :: v_dual_lshlrev_b32 v144, 6, v140
	v_dual_mul_f32 v143, v142, v143 :: v_dual_lshlrev_b32 v156, 11, v141
	v_perm_b32 v153, v152, v153, 0x7060302
	v_perm_b32 v152, v150, v149, 0x7060302
	;; [unrolled: 1-line block ×3, first 2 shown]
	s_delay_alu instid0(VALU_DEP_4)
	v_or3_b32 v131, v155, v156, v144
	v_mul_f32_e32 v136, v142, v136
	v_dual_mul_f32 v146, v142, v134 :: v_dual_and_b32 v149, 0x7f800000, v148
	v_mul_f32_e32 v135, v142, v135
	v_mul_f32_e32 v147, v142, v133
	;; [unrolled: 1-line block ×3, first 2 shown]
	s_mov_b32 s3, exec_lo
	ds_store_b128 v131, v[151:154]
                                        ; implicit-def: $vgpr132
	v_cmpx_ne_u32_e32 0x7f800000, v149
	s_xor_b32 s3, exec_lo, s3
; %bb.45:
	v_bfe_u32 v132, v148, 16, 1
	s_delay_alu instid0(VALU_DEP_1)
	v_add3_u32 v132, v148, v132, 0x7fff
                                        ; implicit-def: $vgpr148
; %bb.46:
	s_and_not1_saveexec_b32 s3, s3
; %bb.47:
	v_and_b32_e32 v132, 0xffff, v148
	v_or_b32_e32 v133, 0x10000, v148
	s_delay_alu instid0(VALU_DEP_2) | instskip(NEXT) | instid1(VALU_DEP_2)
	v_cmp_eq_u32_e32 vcc_lo, 0, v132
	v_cndmask_b32_e32 v132, v133, v148, vcc_lo
; %bb.48:
	s_or_b32 exec_lo, exec_lo, s3
	v_and_b32_e32 v133, 0x7f800000, v134
	s_delay_alu instid0(VALU_DEP_1) | instskip(SKIP_1) | instid1(SALU_CYCLE_1)
	v_cmp_ne_u32_e32 vcc_lo, 0x7f800000, v133
                                        ; implicit-def: $vgpr133
	s_and_saveexec_b32 s3, vcc_lo
	s_xor_b32 s3, exec_lo, s3
; %bb.49:
	v_bfe_u32 v133, v134, 16, 1
	s_delay_alu instid0(VALU_DEP_1)
	v_add3_u32 v133, v134, v133, 0x7fff
                                        ; implicit-def: $vgpr134
; %bb.50:
	s_and_not1_saveexec_b32 s3, s3
; %bb.51:
	v_and_b32_e32 v133, 0xffff, v134
	v_or_b32_e32 v142, 0x10000, v134
	s_delay_alu instid0(VALU_DEP_2) | instskip(NEXT) | instid1(VALU_DEP_2)
	v_cmp_eq_u32_e32 vcc_lo, 0, v133
	v_cndmask_b32_e32 v133, v142, v134, vcc_lo
; %bb.52:
	s_or_b32 exec_lo, exec_lo, s3
	v_and_b32_e32 v134, 0x7f800000, v147
	s_delay_alu instid0(VALU_DEP_1) | instskip(SKIP_1) | instid1(SALU_CYCLE_1)
	v_cmp_ne_u32_e32 vcc_lo, 0x7f800000, v134
                                        ; implicit-def: $vgpr134
	s_and_saveexec_b32 s3, vcc_lo
	s_xor_b32 s3, exec_lo, s3
; %bb.53:
	v_bfe_u32 v134, v147, 16, 1
	s_delay_alu instid0(VALU_DEP_1)
	v_add3_u32 v134, v147, v134, 0x7fff
                                        ; implicit-def: $vgpr147
; %bb.54:
	s_and_not1_saveexec_b32 s3, s3
; %bb.55:
	v_and_b32_e32 v134, 0xffff, v147
	v_or_b32_e32 v142, 0x10000, v147
	s_delay_alu instid0(VALU_DEP_2) | instskip(NEXT) | instid1(VALU_DEP_2)
	v_cmp_eq_u32_e32 vcc_lo, 0, v134
	v_cndmask_b32_e32 v134, v142, v147, vcc_lo
; %bb.56:
	s_or_b32 exec_lo, exec_lo, s3
	v_and_b32_e32 v142, 0x7f800000, v146
	s_delay_alu instid0(VALU_DEP_1) | instskip(SKIP_1) | instid1(SALU_CYCLE_1)
	v_cmp_ne_u32_e32 vcc_lo, 0x7f800000, v142
                                        ; implicit-def: $vgpr142
	s_and_saveexec_b32 s3, vcc_lo
	s_xor_b32 s3, exec_lo, s3
; %bb.57:
	v_bfe_u32 v142, v146, 16, 1
	s_delay_alu instid0(VALU_DEP_1)
	v_add3_u32 v142, v146, v142, 0x7fff
                                        ; implicit-def: $vgpr146
; %bb.58:
	s_and_not1_saveexec_b32 s3, s3
; %bb.59:
	v_and_b32_e32 v142, 0xffff, v146
	v_or_b32_e32 v147, 0x10000, v146
	s_delay_alu instid0(VALU_DEP_2) | instskip(NEXT) | instid1(VALU_DEP_2)
	v_cmp_eq_u32_e32 vcc_lo, 0, v142
	v_cndmask_b32_e32 v142, v147, v146, vcc_lo
; %bb.60:
	s_or_b32 exec_lo, exec_lo, s3
	v_and_b32_e32 v146, 0x7f800000, v135
	s_delay_alu instid0(VALU_DEP_1) | instskip(SKIP_1) | instid1(SALU_CYCLE_1)
	v_cmp_ne_u32_e32 vcc_lo, 0x7f800000, v146
                                        ; implicit-def: $vgpr146
	s_and_saveexec_b32 s3, vcc_lo
	s_xor_b32 s3, exec_lo, s3
; %bb.61:
	v_bfe_u32 v146, v135, 16, 1
	s_delay_alu instid0(VALU_DEP_1)
	v_add3_u32 v146, v135, v146, 0x7fff
                                        ; implicit-def: $vgpr135
; %bb.62:
	s_and_not1_saveexec_b32 s3, s3
; %bb.63:
	v_and_b32_e32 v146, 0xffff, v135
	v_or_b32_e32 v147, 0x10000, v135
	s_delay_alu instid0(VALU_DEP_2) | instskip(NEXT) | instid1(VALU_DEP_2)
	v_cmp_eq_u32_e32 vcc_lo, 0, v146
	v_cndmask_b32_e32 v146, v147, v135, vcc_lo
; %bb.64:
	s_or_b32 exec_lo, exec_lo, s3
	v_and_b32_e32 v135, 0x7f800000, v136
	s_delay_alu instid0(VALU_DEP_1) | instskip(SKIP_1) | instid1(SALU_CYCLE_1)
	v_cmp_ne_u32_e32 vcc_lo, 0x7f800000, v135
                                        ; implicit-def: $vgpr135
	s_and_saveexec_b32 s3, vcc_lo
	s_xor_b32 s3, exec_lo, s3
; %bb.65:
	v_bfe_u32 v135, v136, 16, 1
	s_delay_alu instid0(VALU_DEP_1)
	v_add3_u32 v135, v136, v135, 0x7fff
                                        ; implicit-def: $vgpr136
; %bb.66:
	s_and_not1_saveexec_b32 s3, s3
; %bb.67:
	v_and_b32_e32 v135, 0xffff, v136
	v_or_b32_e32 v147, 0x10000, v136
	s_delay_alu instid0(VALU_DEP_2) | instskip(NEXT) | instid1(VALU_DEP_2)
	v_cmp_eq_u32_e32 vcc_lo, 0, v135
	v_cndmask_b32_e32 v135, v147, v136, vcc_lo
; %bb.68:
	s_or_b32 exec_lo, exec_lo, s3
	v_and_b32_e32 v136, 0x7f800000, v143
	s_delay_alu instid0(VALU_DEP_1) | instskip(SKIP_1) | instid1(SALU_CYCLE_1)
	v_cmp_ne_u32_e32 vcc_lo, 0x7f800000, v136
                                        ; implicit-def: $vgpr136
	s_and_saveexec_b32 s3, vcc_lo
	s_xor_b32 s3, exec_lo, s3
; %bb.69:
	v_bfe_u32 v136, v143, 16, 1
	s_delay_alu instid0(VALU_DEP_1)
	v_add3_u32 v136, v143, v136, 0x7fff
                                        ; implicit-def: $vgpr143
; %bb.70:
	s_and_not1_saveexec_b32 s3, s3
; %bb.71:
	v_and_b32_e32 v136, 0xffff, v143
	v_or_b32_e32 v147, 0x10000, v143
	s_delay_alu instid0(VALU_DEP_2) | instskip(NEXT) | instid1(VALU_DEP_2)
	v_cmp_eq_u32_e32 vcc_lo, 0, v136
	v_cndmask_b32_e32 v136, v147, v143, vcc_lo
; %bb.72:
	s_or_b32 exec_lo, exec_lo, s3
	v_and_b32_e32 v143, 0x7f800000, v145
	s_delay_alu instid0(VALU_DEP_1) | instskip(SKIP_1) | instid1(SALU_CYCLE_1)
	v_cmp_ne_u32_e32 vcc_lo, 0x7f800000, v143
                                        ; implicit-def: $vgpr143
	s_and_saveexec_b32 s3, vcc_lo
	s_xor_b32 s3, exec_lo, s3
; %bb.73:
	v_bfe_u32 v143, v145, 16, 1
	s_delay_alu instid0(VALU_DEP_1)
	v_add3_u32 v143, v145, v143, 0x7fff
                                        ; implicit-def: $vgpr145
; %bb.74:
	s_and_not1_saveexec_b32 s3, s3
; %bb.75:
	v_and_b32_e32 v143, 0xffff, v145
	v_or_b32_e32 v147, 0x10000, v145
	s_delay_alu instid0(VALU_DEP_2) | instskip(NEXT) | instid1(VALU_DEP_2)
	v_cmp_eq_u32_e32 vcc_lo, 0, v143
	v_cndmask_b32_e32 v143, v147, v145, vcc_lo
; %bb.76:
	s_or_b32 exec_lo, exec_lo, s3
	s_delay_alu instid0(VALU_DEP_1)
	v_perm_b32 v136, v143, v136, 0x7060302
	v_perm_b32 v135, v135, v146, 0x7060302
	;; [unrolled: 1-line block ×4, first 2 shown]
	v_lshl_or_b32 v145, v141, 11, v144
	v_lshlrev_b32_e32 v142, 2, v138
	ds_store_b128 v131, v[133:136] offset:1024
	s_waitcnt lgkmcnt(0)
	s_barrier
	buffer_gl0_inv
	ds_load_b128 v[132:135], v145
	ds_load_b128 v[147:150], v145 offset:16
	v_or_b32_e32 v143, 1, v142
	v_cmp_eq_u32_e64 s12, 1, v142
	v_cmp_eq_u32_e64 s11, 2, v142
	;; [unrolled: 1-line block ×3, first 2 shown]
	v_or_b32_e32 v141, 2, v142
	v_cmp_eq_u32_e64 s7, 1, v143
	v_cmp_eq_u32_e64 s6, 2, v143
	;; [unrolled: 1-line block ×8, first 2 shown]
	v_cmp_eq_u32_e32 vcc_lo, 5, v143
	v_cmp_eq_u32_e64 s10, 2, v141
	v_cmp_eq_u32_e64 s4, 6, v143
	;; [unrolled: 1-line block ×4, first 2 shown]
	s_waitcnt lgkmcnt(1)
	v_lshrrev_b32_e32 v136, 16, v132
	s_waitcnt lgkmcnt(0)
	v_lshrrev_b32_e32 v155, 16, v147
	v_lshrrev_b32_e32 v161, 16, v148
	;; [unrolled: 1-line block ×4, first 2 shown]
	v_cndmask_b32_e64 v146, v132, v136, s12
	v_cndmask_b32_e64 v151, v147, v155, s12
	v_cndmask_b32_e64 v152, v132, v136, s7
	v_cndmask_b32_e64 v153, v147, v155, s7
	v_lshrrev_b32_e32 v160, 16, v134
	v_cndmask_b32_e64 v146, v146, v133, s11
	v_cndmask_b32_e64 v151, v151, v148, s11
	;; [unrolled: 1-line block ×8, first 2 shown]
	v_lshrrev_b32_e32 v164, 16, v150
	v_cndmask_b32_e64 v153, v153, v161, s5
	v_cndmask_b32_e64 v146, v146, v134, s17
	;; [unrolled: 1-line block ×5, first 2 shown]
	v_lshrrev_b32_e32 v162, 16, v135
	v_cndmask_b32_e64 v146, v146, v160, s13
	v_cndmask_b32_e64 v151, v151, v163, s13
	v_cndmask_b32_e32 v152, v152, v160, vcc_lo
	v_cndmask_b32_e64 v153, v153, v149, s3
	v_cmp_eq_u32_e64 s19, 7, v143
	v_cndmask_b32_e64 v146, v146, v135, s15
	v_cndmask_b32_e64 v151, v151, v150, s15
	;; [unrolled: 1-line block ×4, first 2 shown]
	v_cmp_eq_u32_e64 s20, 4, v141
	v_cndmask_b32_e64 v165, v146, v162, s9
	v_cndmask_b32_e64 v166, v151, v164, s9
	;; [unrolled: 1-line block ×3, first 2 shown]
	v_or_b32_e32 v146, 3, v142
	v_cndmask_b32_e64 v167, v152, v162, s19
	v_cndmask_b32_e32 v156, v153, v163, vcc_lo
	v_cndmask_b32_e64 v158, v154, v134, s20
	v_cndmask_b32_e64 v157, v151, v148, s10
	ds_load_b128 v[151:154], v145 offset:1024
	v_cmp_eq_u32_e64 s21, 1, v146
	v_cmp_eq_u32_e64 s22, 5, v141
	;; [unrolled: 1-line block ×3, first 2 shown]
	v_cndmask_b32_e64 v157, v157, v161, s18
	v_cmp_eq_u32_e64 s24, 3, v146
	v_cndmask_b32_e64 v132, v132, v136, s21
	v_cndmask_b32_e64 v136, v156, v150, s4
	;; [unrolled: 1-line block ×5, first 2 shown]
	ds_load_b128 v[155:158], v145 offset:1040
	v_cndmask_b32_e64 v132, v132, v133, s23
	v_cmp_eq_u32_e64 s26, 4, v146
	v_cmp_eq_u32_e64 s28, 5, v146
	v_cndmask_b32_e64 v147, v147, v148, s23
	v_cmp_eq_u32_e64 s25, 6, v141
	v_cndmask_b32_e64 v132, v132, v159, s24
	;; [unrolled: 2-line block ×3, first 2 shown]
	v_cndmask_b32_e64 v147, v147, v161, s24
	s_waitcnt lgkmcnt(1)
	v_lshrrev_b32_e32 v159, 16, v151
	v_cndmask_b32_e64 v132, v132, v134, s26
	v_cndmask_b32_e64 v148, v168, v135, s25
	;; [unrolled: 1-line block ×6, first 2 shown]
	v_lshrrev_b32_e32 v160, 16, v152
	v_cndmask_b32_e64 v161, v151, v159, s7
	v_cndmask_b32_e64 v134, v134, v163, s28
	s_waitcnt lgkmcnt(0)
	v_lshrrev_b32_e32 v149, 16, v155
	v_cndmask_b32_e64 v147, v147, v152, s11
	v_cndmask_b32_e64 v132, v132, v135, s29
	v_cmp_eq_u32_e64 s27, 7, v141
	v_cndmask_b32_e64 v134, v134, v150, s29
	v_cndmask_b32_e64 v163, v155, v149, s12
	;; [unrolled: 1-line block ×4, first 2 shown]
	v_lshrrev_b32_e32 v161, 16, v156
	v_cndmask_b32_e64 v136, v136, v164, s19
	v_cndmask_b32_e64 v150, v163, v156, s11
	v_cmp_eq_u32_e64 s11, 7, v146
	v_cndmask_b32_e64 v147, v147, v160, s5
	v_cndmask_b32_e64 v135, v135, v153, s17
	v_lshrrev_b32_e32 v163, 16, v153
	v_cndmask_b32_e64 v150, v150, v161, s16
	v_cndmask_b32_e64 v132, v132, v162, s11
	;; [unrolled: 1-line block ×8, first 2 shown]
	v_lshrrev_b32_e32 v164, 16, v157
	v_perm_b32 v135, v134, v132, 0x5040100
	v_cndmask_b32_e32 v132, v147, v163, vcc_lo
	v_cndmask_b32_e64 v147, v162, v154, s15
	v_lshrrev_b32_e32 v162, 16, v154
	v_cndmask_b32_e64 v150, v150, v164, s13
	v_perm_b32 v134, v133, v148, 0x5040100
	v_cndmask_b32_e64 v132, v132, v154, s4
	v_perm_b32 v133, v136, v167, 0x5040100
	v_cndmask_b32_e64 v136, v147, v162, s9
	v_cndmask_b32_e64 v147, v150, v158, s15
	v_cndmask_b32_e64 v150, v151, v159, s21
	v_cndmask_b32_e64 v167, v132, v162, s19
	v_cndmask_b32_e64 v132, v151, v159, s8
	v_cndmask_b32_e64 v151, v155, v149, s21
	v_cndmask_b32_e64 v159, v155, v149, s8
	v_cndmask_b32_e64 v149, v155, v149, s7
	v_cndmask_b32_e64 v150, v150, v152, s23
	v_cndmask_b32_e64 v132, v132, v152, s10
	v_cndmask_b32_e64 v151, v151, v156, s23
	v_cndmask_b32_e64 v152, v159, v156, s10
	v_cndmask_b32_e64 v149, v149, v156, s6
	v_cndmask_b32_e64 v150, v150, v160, s24
	v_cndmask_b32_e64 v132, v132, v160, s18
	v_cndmask_b32_e64 v151, v151, v161, s24
	v_cndmask_b32_e64 v152, v152, v161, s18
	v_cndmask_b32_e64 v149, v149, v161, s5
	v_cndmask_b32_e64 v150, v150, v153, s26
	v_cndmask_b32_e64 v132, v132, v153, s20
	v_cndmask_b32_e64 v151, v151, v157, s26
	v_cndmask_b32_e64 v152, v152, v157, s20
	v_cndmask_b32_e64 v149, v149, v157, s3
	v_cndmask_b32_e64 v150, v150, v163, s28
	v_cndmask_b32_e64 v132, v132, v163, s22
	v_cndmask_b32_e64 v151, v151, v164, s28
	v_cndmask_b32_e64 v152, v152, v164, s22
	v_cndmask_b32_e32 v149, v149, v164, vcc_lo
	v_lshrrev_b32_e32 v148, 16, v158
	v_cndmask_b32_e64 v132, v132, v154, s25
	v_cndmask_b32_e64 v150, v150, v154, s29
	;; [unrolled: 1-line block ×11, first 2 shown]
	v_perm_b32 v132, v166, v165, 0x5040100
	v_perm_b32 v150, v151, v150, 0x5040100
	;; [unrolled: 1-line block ×5, first 2 shown]
	s_mul_i32 s8, s35, 11
	s_mov_b32 s3, exec_lo
	ds_store_b128 v131, v[132:135]
	ds_store_b128 v131, v[147:150] offset:1024
	v_cmpx_gt_u32_e32 11, v0
	s_cbranch_execz .LBB680_78
; %bb.77:
	s_mul_i32 s4, s8, s30
	s_delay_alu instid0(SALU_CYCLE_1) | instskip(SKIP_1) | instid1(VALU_DEP_1)
	v_add3_u32 v133, s4, s31, v140
	s_load_b128 s[4:7], s[0:1], 0x58
	v_mad_u64_u32 v[131:132], null, v133, s34, s[14:15]
	s_delay_alu instid0(VALU_DEP_1) | instskip(NEXT) | instid1(VALU_DEP_1)
	v_ashrrev_i32_e32 v132, 31, v131
	v_lshlrev_b64 v[131:132], 2, v[131:132]
	s_waitcnt lgkmcnt(0)
	s_delay_alu instid0(VALU_DEP_1) | instskip(NEXT) | instid1(VALU_DEP_2)
	v_add_co_u32 v133, vcc_lo, s6, v131
	v_add_co_ci_u32_e32 v134, vcc_lo, s7, v132, vcc_lo
	v_add_co_u32 v131, vcc_lo, s4, v131
	v_add_co_ci_u32_e32 v132, vcc_lo, s5, v132, vcc_lo
	global_store_b32 v[133:134], v129, off
	global_store_b32 v[131:132], v130, off
.LBB680_78:
	s_or_b32 exec_lo, exec_lo, s3
	s_waitcnt lgkmcnt(0)
	s_waitcnt_vscnt null, 0x0
	s_barrier
	buffer_gl0_inv
	ds_load_b128 v[147:150], v144
	ds_load_b128 v[151:154], v144 offset:16
	ds_load_b128 v[159:162], v144 offset:1040
	;; [unrolled: 1-line block ×3, first 2 shown]
	v_mov_b32_e32 v129, 0
	ds_load_b128 v[167:170], v144 offset:2064
	ds_load_b128 v[163:166], v144 offset:2048
	;; [unrolled: 1-line block ×6, first 2 shown]
	v_mov_b32_e32 v130, v129
	v_mov_b32_e32 v131, v129
	;; [unrolled: 1-line block ×7, first 2 shown]
	s_waitcnt lgkmcnt(8)
	s_delay_alu instid0(VALU_DEP_1)
	v_wmma_f32_16x16x16_bf16 v[129:136], v[121:128], v[147:154], v[129:136]
	ds_load_b128 v[125:128], v144 offset:5136
	ds_load_b128 v[121:124], v144 offset:5120
	s_waitcnt lgkmcnt(8)
	v_wmma_f32_16x16x16_bf16 v[129:136], v[113:120], v[155:162], v[129:136]
	ds_load_b128 v[117:120], v144 offset:6160
	ds_load_b128 v[113:116], v144 offset:6144
	s_waitcnt lgkmcnt(8)
	;; [unrolled: 4-line block ×8, first 2 shown]
	v_wmma_f32_16x16x16_bf16 v[129:136], v[65:72], v[97:104], v[129:136]
	s_waitcnt lgkmcnt(6)
	s_delay_alu instid0(VALU_DEP_1)
	v_wmma_f32_16x16x16_bf16 v[129:136], v[49:56], v[89:96], v[129:136]
	ds_load_b128 v[53:56], v144 offset:13328
	ds_load_b128 v[49:52], v144 offset:13312
	s_waitcnt lgkmcnt(6)
	v_wmma_f32_16x16x16_bf16 v[129:136], v[41:48], v[81:88], v[129:136]
	ds_load_b128 v[45:48], v144 offset:14352
	ds_load_b128 v[41:44], v144 offset:14336
	s_waitcnt lgkmcnt(6)
	;; [unrolled: 4-line block ×3, first 2 shown]
	v_wmma_f32_16x16x16_bf16 v[129:136], v[1:8], v[57:64], v[129:136]
	s_waitcnt lgkmcnt(4)
	s_delay_alu instid0(VALU_DEP_1) | instskip(SKIP_1) | instid1(VALU_DEP_1)
	v_wmma_f32_16x16x16_bf16 v[129:136], v[25:32], v[49:56], v[129:136]
	s_waitcnt lgkmcnt(2)
	v_wmma_f32_16x16x16_bf16 v[129:136], v[33:40], v[41:48], v[129:136]
	s_waitcnt lgkmcnt(0)
	s_delay_alu instid0(VALU_DEP_1) | instskip(NEXT) | instid1(VALU_DEP_1)
	v_wmma_f32_16x16x16_bf16 v[129:136], v[9:16], v[17:24], v[129:136]
	v_and_b32_e32 v1, 0x7f800000, v129
	s_delay_alu instid0(VALU_DEP_1) | instskip(SKIP_1) | instid1(SALU_CYCLE_1)
	v_cmp_ne_u32_e32 vcc_lo, 0x7f800000, v1
                                        ; implicit-def: $vgpr1
	s_and_saveexec_b32 s3, vcc_lo
	s_xor_b32 s3, exec_lo, s3
; %bb.79:
	v_bfe_u32 v1, v129, 16, 1
	s_delay_alu instid0(VALU_DEP_1)
	v_add3_u32 v1, v129, v1, 0x7fff
; %bb.80:
	s_and_not1_saveexec_b32 s3, s3
; %bb.81:
	v_and_b32_e32 v1, 0xffff, v129
	v_or_b32_e32 v2, 0x10000, v129
	s_delay_alu instid0(VALU_DEP_2) | instskip(NEXT) | instid1(VALU_DEP_2)
	v_cmp_eq_u32_e32 vcc_lo, 0, v1
	v_cndmask_b32_e32 v1, v2, v129, vcc_lo
; %bb.82:
	s_or_b32 exec_lo, exec_lo, s3
	v_and_b32_e32 v2, 0x7f800000, v130
	s_delay_alu instid0(VALU_DEP_1) | instskip(SKIP_1) | instid1(SALU_CYCLE_1)
	v_cmp_ne_u32_e32 vcc_lo, 0x7f800000, v2
                                        ; implicit-def: $vgpr2
	s_and_saveexec_b32 s3, vcc_lo
	s_xor_b32 s3, exec_lo, s3
; %bb.83:
	v_bfe_u32 v2, v130, 16, 1
	s_delay_alu instid0(VALU_DEP_1)
	v_add3_u32 v2, v130, v2, 0x7fff
; %bb.84:
	s_and_not1_saveexec_b32 s3, s3
; %bb.85:
	v_and_b32_e32 v2, 0xffff, v130
	v_or_b32_e32 v3, 0x10000, v130
	s_delay_alu instid0(VALU_DEP_2) | instskip(NEXT) | instid1(VALU_DEP_2)
	v_cmp_eq_u32_e32 vcc_lo, 0, v2
	v_cndmask_b32_e32 v2, v3, v130, vcc_lo
; %bb.86:
	s_or_b32 exec_lo, exec_lo, s3
	v_and_b32_e32 v3, 0x7f800000, v131
	s_delay_alu instid0(VALU_DEP_1) | instskip(SKIP_1) | instid1(SALU_CYCLE_1)
	v_cmp_ne_u32_e32 vcc_lo, 0x7f800000, v3
                                        ; implicit-def: $vgpr3
	s_and_saveexec_b32 s3, vcc_lo
	s_xor_b32 s3, exec_lo, s3
; %bb.87:
	v_bfe_u32 v3, v131, 16, 1
	s_delay_alu instid0(VALU_DEP_1)
	v_add3_u32 v3, v131, v3, 0x7fff
; %bb.88:
	s_and_not1_saveexec_b32 s3, s3
; %bb.89:
	v_and_b32_e32 v3, 0xffff, v131
	v_or_b32_e32 v4, 0x10000, v131
	s_delay_alu instid0(VALU_DEP_2) | instskip(NEXT) | instid1(VALU_DEP_2)
	v_cmp_eq_u32_e32 vcc_lo, 0, v3
	v_cndmask_b32_e32 v3, v4, v131, vcc_lo
; %bb.90:
	s_or_b32 exec_lo, exec_lo, s3
	v_and_b32_e32 v4, 0x7f800000, v132
	s_delay_alu instid0(VALU_DEP_1) | instskip(SKIP_1) | instid1(SALU_CYCLE_1)
	v_cmp_ne_u32_e32 vcc_lo, 0x7f800000, v4
                                        ; implicit-def: $vgpr4
	s_and_saveexec_b32 s3, vcc_lo
	s_xor_b32 s3, exec_lo, s3
; %bb.91:
	v_bfe_u32 v4, v132, 16, 1
	s_delay_alu instid0(VALU_DEP_1)
	v_add3_u32 v4, v132, v4, 0x7fff
; %bb.92:
	s_and_not1_saveexec_b32 s3, s3
; %bb.93:
	v_and_b32_e32 v4, 0xffff, v132
	v_or_b32_e32 v5, 0x10000, v132
	s_delay_alu instid0(VALU_DEP_2) | instskip(NEXT) | instid1(VALU_DEP_2)
	v_cmp_eq_u32_e32 vcc_lo, 0, v4
	v_cndmask_b32_e32 v4, v5, v132, vcc_lo
; %bb.94:
	s_or_b32 exec_lo, exec_lo, s3
	v_and_b32_e32 v5, 0x7f800000, v133
	s_delay_alu instid0(VALU_DEP_1) | instskip(SKIP_1) | instid1(SALU_CYCLE_1)
	v_cmp_ne_u32_e32 vcc_lo, 0x7f800000, v5
                                        ; implicit-def: $vgpr5
	s_and_saveexec_b32 s3, vcc_lo
	s_xor_b32 s3, exec_lo, s3
; %bb.95:
	v_bfe_u32 v5, v133, 16, 1
	s_delay_alu instid0(VALU_DEP_1)
	v_add3_u32 v5, v133, v5, 0x7fff
; %bb.96:
	s_and_not1_saveexec_b32 s3, s3
; %bb.97:
	v_and_b32_e32 v5, 0xffff, v133
	v_or_b32_e32 v6, 0x10000, v133
	s_delay_alu instid0(VALU_DEP_2) | instskip(NEXT) | instid1(VALU_DEP_2)
	v_cmp_eq_u32_e32 vcc_lo, 0, v5
	v_cndmask_b32_e32 v5, v6, v133, vcc_lo
; %bb.98:
	s_or_b32 exec_lo, exec_lo, s3
	v_and_b32_e32 v6, 0x7f800000, v134
	s_delay_alu instid0(VALU_DEP_1) | instskip(SKIP_1) | instid1(SALU_CYCLE_1)
	v_cmp_ne_u32_e32 vcc_lo, 0x7f800000, v6
                                        ; implicit-def: $vgpr6
	s_and_saveexec_b32 s3, vcc_lo
	s_xor_b32 s3, exec_lo, s3
; %bb.99:
	v_bfe_u32 v6, v134, 16, 1
	s_delay_alu instid0(VALU_DEP_1)
	v_add3_u32 v6, v134, v6, 0x7fff
; %bb.100:
	s_and_not1_saveexec_b32 s3, s3
; %bb.101:
	v_and_b32_e32 v6, 0xffff, v134
	v_or_b32_e32 v7, 0x10000, v134
	s_delay_alu instid0(VALU_DEP_2) | instskip(NEXT) | instid1(VALU_DEP_2)
	v_cmp_eq_u32_e32 vcc_lo, 0, v6
	v_cndmask_b32_e32 v6, v7, v134, vcc_lo
; %bb.102:
	s_or_b32 exec_lo, exec_lo, s3
	v_and_b32_e32 v7, 0x7f800000, v135
	s_delay_alu instid0(VALU_DEP_1) | instskip(SKIP_1) | instid1(SALU_CYCLE_1)
	v_cmp_ne_u32_e32 vcc_lo, 0x7f800000, v7
                                        ; implicit-def: $vgpr7
	s_and_saveexec_b32 s3, vcc_lo
	s_xor_b32 s3, exec_lo, s3
; %bb.103:
	v_bfe_u32 v7, v135, 16, 1
	s_delay_alu instid0(VALU_DEP_1)
	v_add3_u32 v7, v135, v7, 0x7fff
; %bb.104:
	s_and_not1_saveexec_b32 s3, s3
; %bb.105:
	v_and_b32_e32 v7, 0xffff, v135
	v_or_b32_e32 v8, 0x10000, v135
	s_delay_alu instid0(VALU_DEP_2) | instskip(NEXT) | instid1(VALU_DEP_2)
	v_cmp_eq_u32_e32 vcc_lo, 0, v7
	v_cndmask_b32_e32 v7, v8, v135, vcc_lo
; %bb.106:
	s_or_b32 exec_lo, exec_lo, s3
	v_and_b32_e32 v8, 0x7f800000, v136
	s_delay_alu instid0(VALU_DEP_1) | instskip(SKIP_1) | instid1(SALU_CYCLE_1)
	v_cmp_ne_u32_e32 vcc_lo, 0x7f800000, v8
                                        ; implicit-def: $vgpr8
	s_and_saveexec_b32 s3, vcc_lo
	s_xor_b32 s3, exec_lo, s3
; %bb.107:
	v_bfe_u32 v8, v136, 16, 1
	s_delay_alu instid0(VALU_DEP_1)
	v_add3_u32 v8, v136, v8, 0x7fff
                                        ; implicit-def: $vgpr129_vgpr130_vgpr131_vgpr132_vgpr133_vgpr134_vgpr135_vgpr136
; %bb.108:
	s_and_not1_saveexec_b32 s3, s3
; %bb.109:
	v_and_b32_e32 v8, 0xffff, v136
	v_or_b32_e32 v9, 0x10000, v136
	s_delay_alu instid0(VALU_DEP_2) | instskip(NEXT) | instid1(VALU_DEP_2)
	v_cmp_eq_u32_e32 vcc_lo, 0, v8
	v_cndmask_b32_e32 v8, v9, v136, vcc_lo
; %bb.110:
	s_or_b32 exec_lo, exec_lo, s3
	s_delay_alu instid0(VALU_DEP_1)
	v_perm_b32 v7, v8, v7, 0x7060302
	v_perm_b32 v6, v6, v5, 0x7060302
	;; [unrolled: 1-line block ×4, first 2 shown]
	v_lshl_or_b32 v9, v138, 4, v145
	s_barrier
	buffer_gl0_inv
	v_cmp_eq_u32_e32 vcc_lo, 1, v142
	ds_store_b128 v9, v[4:7]
	s_waitcnt lgkmcnt(0)
	s_barrier
	buffer_gl0_inv
	ds_load_b128 v[1:4], v145
	ds_load_b128 v[5:8], v145 offset:16
	v_cmp_eq_u32_e64 s4, 2, v142
	v_cmp_eq_u32_e64 s3, 1, v143
	v_cmp_eq_u32_e64 s5, 3, v142
	v_cmp_eq_u32_e64 s7, 2, v141
	v_cmp_eq_u32_e64 s6, 7, v143
	s_waitcnt lgkmcnt(1)
	v_lshrrev_b32_e32 v10, 16, v1
	s_waitcnt lgkmcnt(0)
	v_lshrrev_b32_e32 v14, 16, v5
	v_lshrrev_b32_e32 v15, 16, v6
	;; [unrolled: 1-line block ×4, first 2 shown]
	v_cndmask_b32_e64 v20, v1, v10, s3
	v_cndmask_b32_e32 v19, v5, v14, vcc_lo
	v_cndmask_b32_e64 v21, v5, v14, s3
	v_lshrrev_b32_e32 v16, 16, v7
	v_cmp_eq_u32_e64 s3, 1, v141
	v_lshrrev_b32_e32 v13, 16, v4
	v_cndmask_b32_e64 v19, v19, v6, s4
	v_lshrrev_b32_e32 v17, 16, v8
	s_delay_alu instid0(VALU_DEP_4) | instskip(SKIP_1) | instid1(VALU_DEP_4)
	v_cndmask_b32_e64 v22, v1, v10, s3
	v_cndmask_b32_e64 v23, v5, v14, s3
	;; [unrolled: 1-line block ×3, first 2 shown]
	v_cndmask_b32_e32 v18, v1, v10, vcc_lo
	v_cmp_eq_u32_e32 vcc_lo, 2, v143
	v_cmp_eq_u32_e64 s3, 2, v146
	v_cndmask_b32_e64 v22, v22, v2, s7
	v_cndmask_b32_e32 v20, v20, v2, vcc_lo
	v_cndmask_b32_e32 v21, v21, v6, vcc_lo
	v_cmp_eq_u32_e32 vcc_lo, 4, v142
	v_cndmask_b32_e32 v19, v19, v7, vcc_lo
	v_cndmask_b32_e64 v18, v18, v2, s4
	v_cmp_eq_u32_e64 s4, 3, v143
	s_delay_alu instid0(VALU_DEP_2) | instskip(NEXT) | instid1(VALU_DEP_2)
	v_cndmask_b32_e64 v18, v18, v11, s5
	v_cndmask_b32_e64 v21, v21, v15, s4
	v_cmp_eq_u32_e64 s5, 5, v142
	s_delay_alu instid0(VALU_DEP_3) | instskip(SKIP_1) | instid1(VALU_DEP_3)
	v_cndmask_b32_e32 v18, v18, v3, vcc_lo
	v_cmp_eq_u32_e32 vcc_lo, 4, v143
	v_cndmask_b32_e64 v19, v19, v16, s5
	s_delay_alu instid0(VALU_DEP_3) | instskip(SKIP_4) | instid1(VALU_DEP_3)
	v_cndmask_b32_e64 v18, v18, v12, s5
	v_cndmask_b32_e32 v21, v21, v7, vcc_lo
	v_cndmask_b32_e64 v20, v20, v11, s4
	v_cmp_eq_u32_e64 s4, 5, v143
	v_cmp_eq_u32_e64 s5, 6, v142
	v_cndmask_b32_e32 v20, v20, v3, vcc_lo
	s_delay_alu instid0(VALU_DEP_3) | instskip(SKIP_1) | instid1(VALU_DEP_4)
	v_cndmask_b32_e64 v21, v21, v16, s4
	v_cmp_eq_u32_e32 vcc_lo, 6, v143
	v_cndmask_b32_e64 v18, v18, v4, s5
	v_cndmask_b32_e64 v19, v19, v8, s5
	;; [unrolled: 1-line block ×3, first 2 shown]
	v_cmp_eq_u32_e64 s4, 1, v146
	v_cmp_eq_u32_e64 s5, 7, v142
	s_delay_alu instid0(VALU_DEP_3) | instskip(NEXT) | instid1(VALU_DEP_3)
	v_cndmask_b32_e32 v20, v20, v4, vcc_lo
	v_cndmask_b32_e64 v1, v1, v10, s4
	v_cndmask_b32_e64 v5, v5, v14, s4
	v_cmp_eq_u32_e64 s4, 3, v141
	v_cndmask_b32_e64 v14, v23, v6, s7
	v_cmp_eq_u32_e64 s7, 3, v146
	v_cndmask_b32_e64 v1, v1, v2, s3
	v_cndmask_b32_e64 v2, v5, v6, s3
	;; [unrolled: 1-line block ×3, first 2 shown]
	v_cmp_eq_u32_e64 s3, 4, v141
	v_cndmask_b32_e64 v6, v14, v15, s4
	v_cndmask_b32_e64 v1, v1, v11, s7
	v_cmp_eq_u32_e64 s4, 4, v146
	v_cndmask_b32_e64 v2, v2, v15, s7
	v_cndmask_b32_e64 v5, v10, v3, s3
	;; [unrolled: 3-line block ×3, first 2 shown]
	v_cndmask_b32_e64 v2, v2, v7, s4
	v_cmp_eq_u32_e64 s3, 5, v146
	v_cndmask_b32_e64 v5, v5, v12, s7
	v_cmp_eq_u32_e64 s4, 6, v141
	;; [unrolled: 2-line block ×3, first 2 shown]
	v_cndmask_b32_e64 v1, v1, v12, s3
	v_cndmask_b32_e64 v2, v2, v16, s3
	;; [unrolled: 1-line block ×4, first 2 shown]
	v_cmp_eq_u32_e64 s3, 7, v146
	v_cndmask_b32_e64 v1, v1, v4, s7
	v_cndmask_b32_e64 v2, v2, v8, s7
	v_cmp_eq_u32_e64 s4, 7, v141
	v_cndmask_b32_e32 v4, v21, v8, vcc_lo
	v_cndmask_b32_e64 v18, v18, v13, s5
	v_cndmask_b32_e64 v20, v20, v13, s6
	;; [unrolled: 1-line block ×8, first 2 shown]
	s_mov_b32 s3, exec_lo
	v_perm_b32 v4, v2, v1, 0x5040100
	v_perm_b32 v3, v3, v5, 0x5040100
	;; [unrolled: 1-line block ×4, first 2 shown]
	ds_store_b128 v9, v[1:4]
	s_waitcnt lgkmcnt(0)
	s_barrier
	buffer_gl0_inv
	v_cmpx_gt_u32_e32 32, v0
	s_cbranch_execz .LBB680_2
; %bb.111:
	s_load_b64 s[4:5], s[0:1], 0x68
	v_lshlrev_b32_e32 v0, 10, v0
	v_lshlrev_b32_e32 v1, 4, v139
	s_lshl_b32 s0, s34, 7
	v_add_nc_u32_e32 v7, s31, v138
	s_mul_i32 s1, s0, s30
	s_delay_alu instid0(SALU_CYCLE_1) | instskip(SKIP_1) | instid1(VALU_DEP_2)
	s_mul_i32 s6, s1, s8
	v_and_or_b32 v0, 0x3800, v0, v1
	v_mul_lo_u32 v1, v7, s0
	v_add_nc_u32_e32 v2, 2, v7
	s_ashr_i32 s7, s6, 31
	v_add_nc_u32_e32 v4, 4, v7
	s_lshl_b64 s[6:7], s[6:7], 1
	v_add_nc_u32_e32 v8, 6, v7
	v_mul_lo_u32 v3, v2, s0
	v_lshl_or_b32 v19, v138, 6, v0
	v_ashrrev_i32_e32 v2, 31, v1
	v_mul_lo_u32 v11, v4, s0
	v_mul_lo_u32 v25, v8, s0
	s_waitcnt lgkmcnt(0)
	s_add_u32 s1, s4, s6
	s_addc_u32 s3, s5, s7
	s_lshl_b32 s4, s14, 7
	v_lshlrev_b64 v[5:6], 1, v[1:2]
	s_ashr_i32 s5, s4, 31
	v_ashrrev_i32_e32 v4, 31, v3
	s_lshl_b64 s[4:5], s[4:5], 1
	v_ashrrev_i32_e32 v12, 31, v11
	s_add_u32 s1, s1, s4
	s_addc_u32 s3, s3, s5
	v_add_co_u32 v1, s1, s1, v137
	s_delay_alu instid0(VALU_DEP_1) | instskip(SKIP_1) | instid1(VALU_DEP_3)
	v_add_co_ci_u32_e64 v2, null, s3, 0, s1
	v_lshlrev_b64 v[3:4], 1, v[3:4]
	v_add_co_u32 v23, vcc_lo, v1, v5
	v_add_nc_u32_e32 v5, 8, v7
	s_delay_alu instid0(VALU_DEP_4) | instskip(NEXT) | instid1(VALU_DEP_4)
	v_add_co_ci_u32_e32 v24, vcc_lo, v2, v6, vcc_lo
	v_add_co_u32 v27, vcc_lo, v1, v3
	s_delay_alu instid0(VALU_DEP_3)
	v_mul_lo_u32 v29, v5, s0
	v_add_co_ci_u32_e32 v28, vcc_lo, v2, v4, vcc_lo
	ds_load_b128 v[3:6], v19
	ds_load_b128 v[7:10], v19 offset:128
	v_lshlrev_b64 v[31:32], 1, v[11:12]
	ds_load_b128 v[11:14], v19 offset:256
	ds_load_b128 v[15:18], v19 offset:384
	;; [unrolled: 1-line block ×3, first 2 shown]
	v_ashrrev_i32_e32 v26, 31, v25
	v_ashrrev_i32_e32 v30, 31, v29
	v_add_co_u32 v31, vcc_lo, v1, v31
	s_delay_alu instid0(VALU_DEP_3) | instskip(NEXT) | instid1(VALU_DEP_3)
	v_lshlrev_b64 v[25:26], 1, v[25:26]
	v_lshlrev_b64 v[29:30], 1, v[29:30]
	v_add_co_ci_u32_e32 v32, vcc_lo, v2, v32, vcc_lo
	s_delay_alu instid0(VALU_DEP_3) | instskip(NEXT) | instid1(VALU_DEP_4)
	v_add_co_u32 v25, vcc_lo, v1, v25
	v_add_co_ci_u32_e32 v26, vcc_lo, v2, v26, vcc_lo
	s_delay_alu instid0(VALU_DEP_4)
	v_add_co_u32 v29, vcc_lo, v1, v29
	v_add_co_ci_u32_e32 v30, vcc_lo, v2, v30, vcc_lo
	s_waitcnt lgkmcnt(4)
	global_store_b128 v[23:24], v[3:6], off
	s_waitcnt lgkmcnt(3)
	global_store_b128 v[27:28], v[7:10], off
	;; [unrolled: 2-line block ×5, first 2 shown]
	s_and_b32 exec_lo, exec_lo, s2
	s_cbranch_execz .LBB680_2
; %bb.112:
	ds_load_b128 v[3:6], v0 offset:640
	s_add_i32 s1, s31, 10
	s_delay_alu instid0(SALU_CYCLE_1) | instskip(NEXT) | instid1(SALU_CYCLE_1)
	s_mul_i32 s0, s1, s0
	s_ashr_i32 s1, s0, 31
	s_delay_alu instid0(SALU_CYCLE_1) | instskip(NEXT) | instid1(SALU_CYCLE_1)
	s_lshl_b64 s[0:1], s[0:1], 1
	v_add_co_u32 v0, vcc_lo, v1, s0
	v_add_co_ci_u32_e32 v1, vcc_lo, s1, v2, vcc_lo
	s_waitcnt lgkmcnt(0)
	global_store_b128 v[0:1], v[3:6], off
	s_nop 0
	s_sendmsg sendmsg(MSG_DEALLOC_VGPRS)
	s_endpgm
	.section	.rodata,"a",@progbits
	.p2align	6, 0x0
	.amdhsa_kernel _Z39paged_attention_ll4mi_QKV_mfma16_kernelI14__hip_bfloat16S0_LN4vllm18Fp8KVCacheDataTypeE0ES0_Li16ELi128ELi256ELb0ELi11EL8MFMAType0EEvPKT_PKT0_S9_ifPKiSB_SB_iPKfiiiPfSE_PS4_PT2_iSD_SD_
		.amdhsa_group_segment_fixed_size 17472
		.amdhsa_private_segment_fixed_size 0
		.amdhsa_kernarg_size 400
		.amdhsa_user_sgpr_count 13
		.amdhsa_user_sgpr_dispatch_ptr 0
		.amdhsa_user_sgpr_queue_ptr 0
		.amdhsa_user_sgpr_kernarg_segment_ptr 1
		.amdhsa_user_sgpr_dispatch_id 0
		.amdhsa_user_sgpr_private_segment_size 0
		.amdhsa_wavefront_size32 1
		.amdhsa_uses_dynamic_stack 0
		.amdhsa_enable_private_segment 0
		.amdhsa_system_sgpr_workgroup_id_x 1
		.amdhsa_system_sgpr_workgroup_id_y 1
		.amdhsa_system_sgpr_workgroup_id_z 1
		.amdhsa_system_sgpr_workgroup_info 0
		.amdhsa_system_vgpr_workitem_id 0
		.amdhsa_next_free_vgpr 218
		.amdhsa_next_free_sgpr 50
		.amdhsa_reserve_vcc 1
		.amdhsa_float_round_mode_32 0
		.amdhsa_float_round_mode_16_64 0
		.amdhsa_float_denorm_mode_32 3
		.amdhsa_float_denorm_mode_16_64 3
		.amdhsa_dx10_clamp 1
		.amdhsa_ieee_mode 1
		.amdhsa_fp16_overflow 0
		.amdhsa_workgroup_processor_mode 1
		.amdhsa_memory_ordered 1
		.amdhsa_forward_progress 0
		.amdhsa_shared_vgpr_count 0
		.amdhsa_exception_fp_ieee_invalid_op 0
		.amdhsa_exception_fp_denorm_src 0
		.amdhsa_exception_fp_ieee_div_zero 0
		.amdhsa_exception_fp_ieee_overflow 0
		.amdhsa_exception_fp_ieee_underflow 0
		.amdhsa_exception_fp_ieee_inexact 0
		.amdhsa_exception_int_div_zero 0
	.end_amdhsa_kernel
	.section	.text._Z39paged_attention_ll4mi_QKV_mfma16_kernelI14__hip_bfloat16S0_LN4vllm18Fp8KVCacheDataTypeE0ES0_Li16ELi128ELi256ELb0ELi11EL8MFMAType0EEvPKT_PKT0_S9_ifPKiSB_SB_iPKfiiiPfSE_PS4_PT2_iSD_SD_,"axG",@progbits,_Z39paged_attention_ll4mi_QKV_mfma16_kernelI14__hip_bfloat16S0_LN4vllm18Fp8KVCacheDataTypeE0ES0_Li16ELi128ELi256ELb0ELi11EL8MFMAType0EEvPKT_PKT0_S9_ifPKiSB_SB_iPKfiiiPfSE_PS4_PT2_iSD_SD_,comdat
.Lfunc_end680:
	.size	_Z39paged_attention_ll4mi_QKV_mfma16_kernelI14__hip_bfloat16S0_LN4vllm18Fp8KVCacheDataTypeE0ES0_Li16ELi128ELi256ELb0ELi11EL8MFMAType0EEvPKT_PKT0_S9_ifPKiSB_SB_iPKfiiiPfSE_PS4_PT2_iSD_SD_, .Lfunc_end680-_Z39paged_attention_ll4mi_QKV_mfma16_kernelI14__hip_bfloat16S0_LN4vllm18Fp8KVCacheDataTypeE0ES0_Li16ELi128ELi256ELb0ELi11EL8MFMAType0EEvPKT_PKT0_S9_ifPKiSB_SB_iPKfiiiPfSE_PS4_PT2_iSD_SD_
                                        ; -- End function
	.section	.AMDGPU.csdata,"",@progbits
; Kernel info:
; codeLenInByte = 10392
; NumSgprs: 52
; NumVgprs: 218
; ScratchSize: 0
; MemoryBound: 0
; FloatMode: 240
; IeeeMode: 1
; LDSByteSize: 17472 bytes/workgroup (compile time only)
; SGPRBlocks: 6
; VGPRBlocks: 27
; NumSGPRsForWavesPerEU: 52
; NumVGPRsForWavesPerEU: 218
; Occupancy: 6
; WaveLimiterHint : 1
; COMPUTE_PGM_RSRC2:SCRATCH_EN: 0
; COMPUTE_PGM_RSRC2:USER_SGPR: 13
; COMPUTE_PGM_RSRC2:TRAP_HANDLER: 0
; COMPUTE_PGM_RSRC2:TGID_X_EN: 1
; COMPUTE_PGM_RSRC2:TGID_Y_EN: 1
; COMPUTE_PGM_RSRC2:TGID_Z_EN: 1
; COMPUTE_PGM_RSRC2:TIDIG_COMP_CNT: 0
	.section	.text._Z39paged_attention_ll4mi_QKV_mfma16_kernelI14__hip_bfloat16S0_LN4vllm18Fp8KVCacheDataTypeE0ES0_Li16ELi128ELi256ELb0ELi12EL8MFMAType0EEvPKT_PKT0_S9_ifPKiSB_SB_iPKfiiiPfSE_PS4_PT2_iSD_SD_,"axG",@progbits,_Z39paged_attention_ll4mi_QKV_mfma16_kernelI14__hip_bfloat16S0_LN4vllm18Fp8KVCacheDataTypeE0ES0_Li16ELi128ELi256ELb0ELi12EL8MFMAType0EEvPKT_PKT0_S9_ifPKiSB_SB_iPKfiiiPfSE_PS4_PT2_iSD_SD_,comdat
	.protected	_Z39paged_attention_ll4mi_QKV_mfma16_kernelI14__hip_bfloat16S0_LN4vllm18Fp8KVCacheDataTypeE0ES0_Li16ELi128ELi256ELb0ELi12EL8MFMAType0EEvPKT_PKT0_S9_ifPKiSB_SB_iPKfiiiPfSE_PS4_PT2_iSD_SD_ ; -- Begin function _Z39paged_attention_ll4mi_QKV_mfma16_kernelI14__hip_bfloat16S0_LN4vllm18Fp8KVCacheDataTypeE0ES0_Li16ELi128ELi256ELb0ELi12EL8MFMAType0EEvPKT_PKT0_S9_ifPKiSB_SB_iPKfiiiPfSE_PS4_PT2_iSD_SD_
	.globl	_Z39paged_attention_ll4mi_QKV_mfma16_kernelI14__hip_bfloat16S0_LN4vllm18Fp8KVCacheDataTypeE0ES0_Li16ELi128ELi256ELb0ELi12EL8MFMAType0EEvPKT_PKT0_S9_ifPKiSB_SB_iPKfiiiPfSE_PS4_PT2_iSD_SD_
	.p2align	8
	.type	_Z39paged_attention_ll4mi_QKV_mfma16_kernelI14__hip_bfloat16S0_LN4vllm18Fp8KVCacheDataTypeE0ES0_Li16ELi128ELi256ELb0ELi12EL8MFMAType0EEvPKT_PKT0_S9_ifPKiSB_SB_iPKfiiiPfSE_PS4_PT2_iSD_SD_,@function
_Z39paged_attention_ll4mi_QKV_mfma16_kernelI14__hip_bfloat16S0_LN4vllm18Fp8KVCacheDataTypeE0ES0_Li16ELi128ELi256ELb0ELi12EL8MFMAType0EEvPKT_PKT0_S9_ifPKiSB_SB_iPKfiiiPfSE_PS4_PT2_iSD_SD_: ; @_Z39paged_attention_ll4mi_QKV_mfma16_kernelI14__hip_bfloat16S0_LN4vllm18Fp8KVCacheDataTypeE0ES0_Li16ELi128ELi256ELb0ELi12EL8MFMAType0EEvPKT_PKT0_S9_ifPKiSB_SB_iPKfiiiPfSE_PS4_PT2_iSD_SD_
; %bb.0:
	s_load_b64 s[4:5], s[0:1], 0x30
	s_mov_b32 s30, s13
	s_waitcnt lgkmcnt(0)
	s_cmp_lg_u64 s[4:5], 0
	s_cselect_b32 s8, -1, 0
	s_ashr_i32 s31, s13, 31
	s_cmp_eq_u64 s[4:5], 0
	s_cbranch_scc1 .LBB681_3
; %bb.1:
	s_lshl_b64 s[2:3], s[30:31], 2
	s_delay_alu instid0(SALU_CYCLE_1) | instskip(SKIP_4) | instid1(SALU_CYCLE_1)
	s_add_u32 s2, s4, s2
	s_addc_u32 s3, s5, s3
	s_load_b64 s[2:3], s[2:3], 0x0
	s_waitcnt lgkmcnt(0)
	s_sub_i32 s2, s3, s2
	s_cmp_eq_u32 s2, 1
	s_cselect_b32 s2, -1, 0
	s_delay_alu instid0(SALU_CYCLE_1)
	s_and_not1_b32 vcc_lo, exec_lo, s2
	s_cbranch_vccz .LBB681_4
.LBB681_2:
	s_endpgm
.LBB681_3:
.LBB681_4:
	s_load_b64 s[2:3], s[0:1], 0x28
	s_lshl_b64 s[6:7], s[30:31], 2
	s_waitcnt lgkmcnt(0)
	s_add_u32 s2, s2, s6
	s_addc_u32 s3, s3, s7
	s_lshl_b32 s31, s14, 8
	s_load_b32 s28, s[2:3], 0x0
	s_waitcnt lgkmcnt(0)
	s_cmp_ge_i32 s31, s28
	s_cbranch_scc1 .LBB681_2
; %bb.5:
	s_clause 0x1
	s_load_b128 s[20:23], s[0:1], 0x8
	s_load_b64 s[2:3], s[0:1], 0x20
	s_and_not1_b32 vcc_lo, exec_lo, s8
	s_cbranch_vccnz .LBB681_7
; %bb.6:
	s_add_u32 s4, s4, s6
	s_addc_u32 s5, s5, s7
	s_load_b32 s5, s[4:5], 0x0
	s_branch .LBB681_8
.LBB681_7:
	s_mov_b32 s5, s30
.LBB681_8:
	s_load_b128 s[16:19], s[0:1], 0x48
	v_and_b32_e32 v140, 15, v0
	v_lshrrev_b32_e32 v141, 5, v0
	v_and_b32_e32 v142, 31, v0
	v_and_b32_e32 v139, 1, v0
	v_bfe_u32 v138, v0, 4, 1
	v_lshlrev_b32_e32 v1, 3, v140
	s_mul_i32 s29, s15, 12
	s_mov_b32 s4, exec_lo
	s_delay_alu instid0(VALU_DEP_1)
	v_lshlrev_b32_e32 v137, 1, v1
	v_cmpx_gt_u32_e32 0xc0, v0
	s_cbranch_execz .LBB681_10
; %bb.9:
	s_load_b64 s[6:7], s[0:1], 0x0
	v_lshl_or_b32 v5, v141, 1, v138
	s_waitcnt lgkmcnt(0)
	s_mul_hi_i32 s9, s5, s16
	s_mul_i32 s8, s5, s16
	v_lshlrev_b32_e32 v6, 10, v140
	s_lshl_b64 s[8:9], s[8:9], 1
	v_add_lshl_u32 v1, v5, s29, 7
	v_lshlrev_b32_e32 v5, 6, v5
	v_lshlrev_b32_e32 v7, 10, v139
	v_and_b32_e32 v6, 0x3800, v6
	s_delay_alu instid0(VALU_DEP_4) | instskip(NEXT) | instid1(VALU_DEP_2)
	v_ashrrev_i32_e32 v2, 31, v1
	v_or3_b32 v5, v6, v7, v5
	s_delay_alu instid0(VALU_DEP_2) | instskip(SKIP_2) | instid1(VALU_DEP_1)
	v_lshlrev_b64 v[1:2], 1, v[1:2]
	s_add_u32 s5, s6, s8
	s_addc_u32 s6, s7, s9
	v_add_co_u32 v1, vcc_lo, s5, v1
	s_delay_alu instid0(VALU_DEP_2) | instskip(NEXT) | instid1(VALU_DEP_2)
	v_add_co_ci_u32_e32 v2, vcc_lo, s6, v2, vcc_lo
	v_add_co_u32 v1, vcc_lo, v1, v137
	s_delay_alu instid0(VALU_DEP_2)
	v_add_co_ci_u32_e32 v2, vcc_lo, 0, v2, vcc_lo
	global_load_b128 v[1:4], v[1:2], off
	s_waitcnt vmcnt(0)
	ds_store_b128 v5, v[1:4]
.LBB681_10:
	s_or_b32 exec_lo, exec_lo, s4
	v_and_b32_e32 v1, 0xef, v0
	s_waitcnt lgkmcnt(0)
	s_add_i32 s5, s28, 15
	s_clause 0x1
	s_load_b32 s4, s[0:1], 0x38
	s_load_b32 s33, s[0:1], 0x1c
	s_ashr_i32 s6, s5, 31
	v_add_nc_u32_e32 v1, s31, v1
	s_lshr_b32 s6, s6, 28
	s_waitcnt lgkmcnt(0)
	s_add_i32 s5, s5, s6
	s_barrier
	v_ashrrev_i32_e32 v2, 31, v1
	v_cmp_gt_i32_e32 vcc_lo, s28, v1
	s_ashr_i32 s16, s5, 4
	buffer_gl0_inv
	s_add_i32 s16, s16, -1
	v_lshrrev_b32_e32 v3, 28, v2
	v_or_b32_e32 v2, 16, v1
	v_add_nc_u32_e32 v105, -12, v140
	v_lshlrev_b32_e32 v106, 5, v140
	s_delay_alu instid0(VALU_DEP_4) | instskip(NEXT) | instid1(VALU_DEP_4)
	v_add_nc_u32_e32 v4, v1, v3
	v_add_nc_u32_e32 v3, v2, v3
	s_mul_i32 s4, s30, s4
	s_delay_alu instid0(VALU_DEP_3) | instskip(SKIP_4) | instid1(SALU_CYCLE_1)
	v_lshl_or_b32 v125, v141, 9, v106
	s_ashr_i32 s5, s4, 31
	v_ashrrev_i32_e32 v4, 4, v4
	v_ashrrev_i32_e32 v3, 4, v3
	s_lshl_b64 s[4:5], s[4:5], 2
	s_add_u32 s34, s2, s4
	s_delay_alu instid0(VALU_DEP_2) | instskip(SKIP_3) | instid1(VALU_DEP_2)
	v_cndmask_b32_e32 v1, s16, v4, vcc_lo
	v_cmp_gt_i32_e32 vcc_lo, s28, v2
	s_addc_u32 s35, s3, s5
	s_mul_i32 s2, s15, s18
	v_ashrrev_i32_e32 v2, 31, v1
	v_cndmask_b32_e32 v3, s16, v3, vcc_lo
	s_ashr_i32 s3, s2, 31
	s_delay_alu instid0(SALU_CYCLE_1) | instskip(NEXT) | instid1(VALU_DEP_2)
	s_lshl_b64 s[2:3], s[2:3], 1
	v_lshlrev_b64 v[1:2], 2, v[1:2]
	s_delay_alu instid0(VALU_DEP_2) | instskip(SKIP_3) | instid1(VALU_DEP_1)
	v_ashrrev_i32_e32 v4, 31, v3
	s_add_u32 s24, s20, s2
	s_addc_u32 s25, s21, s3
	s_lshl_b32 s4, s14, 4
	v_lshlrev_b64 v[3:4], 2, v[3:4]
	v_add_co_u32 v1, vcc_lo, s34, v1
	v_add_co_ci_u32_e32 v2, vcc_lo, s35, v2, vcc_lo
	s_ashr_i32 s5, s4, 31
	s_delay_alu instid0(VALU_DEP_3) | instskip(NEXT) | instid1(VALU_DEP_4)
	v_add_co_u32 v3, vcc_lo, s34, v3
	v_add_co_ci_u32_e32 v4, vcc_lo, s35, v4, vcc_lo
	s_lshl_b64 s[4:5], s[4:5], 2
	s_clause 0x1
	global_load_b32 v5, v[1:2], off
	global_load_b32 v6, v[3:4], off
	s_add_u32 s4, s34, s4
	s_addc_u32 s5, s35, s5
	s_or_b32 s6, s31, 16
	v_lshlrev_b32_e32 v3, 4, v0
	s_ashr_i32 s7, s6, 4
	s_cmp_lt_i32 s6, s28
	s_cselect_b32 s6, s7, s16
	s_delay_alu instid0(SALU_CYCLE_1) | instskip(NEXT) | instid1(SALU_CYCLE_1)
	s_ashr_i32 s7, s6, 31
	s_lshl_b64 s[6:7], s[6:7], 2
	s_delay_alu instid0(SALU_CYCLE_1) | instskip(SKIP_2) | instid1(SALU_CYCLE_1)
	s_add_u32 s6, s34, s6
	s_addc_u32 s7, s35, s7
	s_or_b32 s8, s31, 32
	s_ashr_i32 s9, s8, 4
	s_cmp_lt_i32 s8, s28
	s_cselect_b32 s8, s9, s16
	s_delay_alu instid0(SALU_CYCLE_1) | instskip(NEXT) | instid1(SALU_CYCLE_1)
	s_ashr_i32 s9, s8, 31
	s_lshl_b64 s[8:9], s[8:9], 2
	s_delay_alu instid0(SALU_CYCLE_1) | instskip(SKIP_2) | instid1(SALU_CYCLE_1)
	s_add_u32 s8, s34, s8
	s_addc_u32 s9, s35, s9
	s_or_b32 s10, s31, 48
	;; [unrolled: 10-line block ×4, first 2 shown]
	s_ashr_i32 s13, s12, 4
	s_cmp_lt_i32 s12, s28
	s_cselect_b32 s12, s13, s16
	s_delay_alu instid0(SALU_CYCLE_1) | instskip(NEXT) | instid1(SALU_CYCLE_1)
	s_ashr_i32 s13, s12, 31
	s_lshl_b64 s[12:13], s[12:13], 2
	s_delay_alu instid0(SALU_CYCLE_1)
	s_add_u32 s20, s34, s12
	s_addc_u32 s21, s35, s13
	s_clause 0x5
	s_load_b32 s36, s[4:5], 0x0
	s_load_b32 s27, s[6:7], 0x0
	;; [unrolled: 1-line block ×6, first 2 shown]
	s_waitcnt vmcnt(1)
	v_mad_i64_i32 v[1:2], null, v5, s17, 0
	v_and_b32_e32 v5, 0xf0, v3
	s_waitcnt vmcnt(0)
	v_mad_i64_i32 v[3:4], null, v6, s17, 0
	s_delay_alu instid0(VALU_DEP_2) | instskip(NEXT) | instid1(VALU_DEP_4)
	v_add_co_u32 v5, s4, s24, v5
	v_lshlrev_b64 v[1:2], 1, v[1:2]
	v_add_co_ci_u32_e64 v6, null, s25, 0, s4
	s_delay_alu instid0(VALU_DEP_4) | instskip(SKIP_1) | instid1(VALU_DEP_3)
	v_lshlrev_b64 v[3:4], 1, v[3:4]
	s_or_b32 s4, s31, 0x60
	v_add_co_u32 v121, vcc_lo, v5, v1
	s_delay_alu instid0(VALU_DEP_3) | instskip(NEXT) | instid1(VALU_DEP_3)
	v_add_co_ci_u32_e32 v122, vcc_lo, v6, v2, vcc_lo
	v_add_co_u32 v123, vcc_lo, v5, v3
	s_delay_alu instid0(VALU_DEP_4)
	v_add_co_ci_u32_e32 v124, vcc_lo, v6, v4, vcc_lo
	s_clause 0x19
	global_load_b128 v[89:92], v[121:122], off
	global_load_b128 v[93:96], v[121:122], off offset:256
	global_load_b128 v[97:100], v[123:124], off
	global_load_b128 v[101:104], v[123:124], off offset:256
	global_load_b128 v[81:84], v[121:122], off offset:512
	;; [unrolled: 1-line block ×23, first 2 shown]
	s_ashr_i32 s5, s4, 4
	s_cmp_lt_i32 s4, s28
	v_cmp_gt_u32_e32 vcc_lo, 12, v140
	s_cselect_b32 s4, s5, s16
	s_delay_alu instid0(SALU_CYCLE_1) | instskip(NEXT) | instid1(SALU_CYCLE_1)
	s_ashr_i32 s5, s4, 31
	s_lshl_b64 s[4:5], s[4:5], 2
	v_cndmask_b32_e32 v105, v105, v140, vcc_lo
	s_add_u32 s18, s34, s4
	s_addc_u32 s19, s35, s5
	s_or_b32 s4, s31, 0x70
	s_delay_alu instid0(SALU_CYCLE_1)
	s_ashr_i32 s5, s4, 4
	s_cmp_lt_i32 s4, s28
	v_lshlrev_b32_e32 v215, 6, v105
	s_cselect_b32 s6, s5, s16
	ds_load_b128 v[105:108], v215
	ds_load_b128 v[109:112], v215 offset:1024
	s_ashr_i32 s7, s6, 31
	ds_load_b128 v[113:116], v215 offset:2048
	ds_load_b128 v[117:120], v215 offset:3072
	;; [unrolled: 1-line block ×8, first 2 shown]
	s_clause 0x1
	global_load_b128 v[167:170], v[123:124], off offset:3072
	global_load_b128 v[171:174], v[123:124], off offset:3328
	s_lshl_b64 s[6:7], s[6:7], 2
	s_mov_b32 s4, 0
	s_add_u32 s20, s34, s6
	s_addc_u32 s21, s35, s7
	s_clause 0x1
	s_load_b32 s42, s[18:19], 0x0
	s_load_b32 s43, s[20:21], 0x0
	s_clause 0x3
	global_load_b128 v[175:178], v[121:122], off offset:3584
	global_load_b128 v[179:182], v[121:122], off offset:3840
	;; [unrolled: 1-line block ×4, first 2 shown]
	s_or_b32 s7, s31, 0x80
	s_mov_b32 s5, s4
	s_ashr_i32 s8, s7, 4
	s_cmp_lt_i32 s7, s28
	s_mov_b32 s6, s4
	s_cselect_b32 s10, s8, s16
	s_mov_b32 s7, s4
	s_ashr_i32 s11, s10, 31
	s_mov_b32 s8, s4
	s_lshl_b64 s[24:25], s[10:11], 2
	s_mov_b32 s9, s4
	s_add_u32 s24, s34, s24
	s_addc_u32 s25, s35, s25
	s_or_b32 s11, s31, 0x90
	s_mov_b32 s10, s4
	s_ashr_i32 s37, s11, 4
	s_cmp_lt_i32 s11, s28
	s_mov_b32 s11, s4
	s_cselect_b32 s38, s37, s16
	v_mov_b32_e32 v136, s11
	s_ashr_i32 s39, s38, 31
	v_dual_mov_b32 v135, s10 :: v_dual_mov_b32 v134, s9
	v_dual_mov_b32 v133, s8 :: v_dual_mov_b32 v132, s7
	;; [unrolled: 1-line block ×3, first 2 shown]
	v_mov_b32_e32 v129, s4
	s_lshl_b64 s[4:5], s[38:39], 2
	s_waitcnt lgkmcnt(0)
	s_mul_hi_i32 s7, s27, s17
	s_add_u32 s38, s34, s4
	s_addc_u32 s39, s35, s5
	s_or_b32 s4, s31, 0xa0
	s_load_b32 s39, s[38:39], 0x0
	s_ashr_i32 s5, s4, 4
	s_cmp_lt_i32 s4, s28
	s_cselect_b32 s4, s5, s16
	s_delay_alu instid0(SALU_CYCLE_1) | instskip(NEXT) | instid1(SALU_CYCLE_1)
	s_ashr_i32 s5, s4, 31
	s_lshl_b64 s[4:5], s[4:5], 2
	s_delay_alu instid0(SALU_CYCLE_1)
	s_add_u32 s40, s34, s4
	s_addc_u32 s41, s35, s5
	s_or_b32 s4, s31, 0xb0
	s_mul_hi_i32 s5, s36, s17
	s_ashr_i32 s6, s4, 4
	s_cmp_lt_i32 s4, s28
	s_mul_i32 s4, s36, s17
	s_cselect_b32 s8, s6, s16
	s_mul_i32 s6, s27, s17
	s_ashr_i32 s9, s8, 31
	s_load_b32 s38, s[40:41], 0x0
	s_lshl_b64 s[10:11], s[8:9], 2
	s_mul_hi_i32 s9, s26, s17
	s_add_u32 s36, s34, s10
	s_addc_u32 s37, s35, s11
	s_or_b32 s10, s31, 0xc0
	s_mul_i32 s8, s26, s17
	s_ashr_i32 s26, s10, 4
	s_cmp_lt_i32 s10, s28
	s_mul_hi_i32 s11, s13, s17
	s_cselect_b32 s26, s26, s16
	s_mul_i32 s10, s13, s17
	s_ashr_i32 s27, s26, 31
	s_mul_hi_i32 s13, s12, s17
	s_lshl_b64 s[26:27], s[26:27], 2
	s_mul_i32 s12, s12, s17
	s_add_u32 s20, s34, s26
	s_addc_u32 s21, s35, s27
	s_or_b32 s18, s31, 0xd0
	s_load_b32 s26, s[24:25], 0x0
	s_ashr_i32 s19, s18, 4
	s_cmp_lt_i32 s18, s28
	s_mul_i32 s18, s15, s17
	s_cselect_b32 s24, s19, s16
	s_mul_hi_i32 s19, s15, s17
	s_ashr_i32 s25, s24, 31
	s_waitcnt lgkmcnt(0)
	s_mul_hi_i32 s41, s39, s17
	s_lshl_b64 s[24:25], s[24:25], 2
	s_delay_alu instid0(SALU_CYCLE_1)
	s_add_u32 s24, s34, s24
	s_addc_u32 s25, s35, s25
	s_or_b32 s40, s31, 0xe0
	s_clause 0x2
	s_load_b32 s37, s[36:37], 0x0
	s_load_b32 s36, s[20:21], 0x0
	;; [unrolled: 1-line block ×3, first 2 shown]
	s_ashr_i32 s44, s40, 4
	s_cmp_lt_i32 s40, s28
	s_mul_hi_i32 s21, s42, s17
	s_mul_i32 s20, s42, s17
	s_cselect_b32 s42, s44, s16
	s_mul_hi_i32 s25, s43, s17
	s_mul_i32 s24, s43, s17
	s_ashr_i32 s43, s42, 31
	s_mul_hi_i32 s27, s26, s17
	s_lshl_b64 s[42:43], s[42:43], 2
	s_mul_i32 s26, s26, s17
	s_add_u32 s42, s34, s42
	s_addc_u32 s43, s35, s43
	s_or_b32 s44, s31, 0xf0
	s_mul_i32 s40, s39, s17
	s_ashr_i32 s46, s44, 4
	s_cmp_lt_i32 s44, s28
	s_mul_hi_i32 s39, s38, s17
	s_cselect_b32 s46, s46, s16
	s_waitcnt lgkmcnt(0)
	s_mul_hi_i32 s49, s15, s17
	s_ashr_i32 s47, s46, 31
	s_mul_i32 s48, s15, s17
	s_lshl_b64 s[46:47], s[46:47], 2
	s_mul_i32 s38, s38, s17
	s_add_u32 s34, s34, s46
	s_addc_u32 s35, s35, s47
	s_add_u32 s15, s22, s2
	s_addc_u32 s16, s23, s3
	v_add_co_u32 v216, s15, s15, v125
	s_delay_alu instid0(VALU_DEP_1) | instskip(SKIP_2) | instid1(VALU_DEP_2)
	v_add_co_ci_u32_e64 v217, null, s16, 0, s15
	s_lshl_b64 s[2:3], s[4:5], 1
	s_lshl_b64 s[4:5], s[6:7], 1
	v_add_co_u32 v125, vcc_lo, v216, s2
	s_delay_alu instid0(VALU_DEP_2)
	v_add_co_ci_u32_e32 v126, vcc_lo, s3, v217, vcc_lo
	v_add_co_u32 v199, vcc_lo, v216, s4
	s_lshl_b64 s[6:7], s[8:9], 1
	v_add_co_ci_u32_e32 v200, vcc_lo, s5, v217, vcc_lo
	s_lshl_b64 s[8:9], s[10:11], 1
	s_lshl_b64 s[10:11], s[12:13], 1
	;; [unrolled: 1-line block ×8, first 2 shown]
	s_mul_hi_i32 s45, s37, s17
	s_mul_i32 s44, s37, s17
	s_mul_hi_i32 s37, s36, s17
	s_lshl_b64 s[38:39], s[44:45], 1
	s_mul_i32 s36, s36, s17
	s_clause 0x1
	s_load_b32 s15, s[42:43], 0x0
	s_load_b32 s16, s[34:35], 0x0
	s_lshl_b64 s[36:37], s[36:37], 1
	s_lshl_b64 s[40:41], s[48:49], 1
	s_waitcnt lgkmcnt(0)
	s_mul_hi_i32 s3, s15, s17
	s_mul_i32 s2, s15, s17
	s_mul_hi_i32 s5, s16, s17
	s_lshl_b64 s[2:3], s[2:3], 1
	s_mul_i32 s4, s16, s17
	s_waitcnt vmcnt(30)
	v_wmma_f32_16x16x16_bf16 v[191:198], v[89:96], v[105:112], v[129:136]
	v_add_co_u32 v89, vcc_lo, v216, s6
	v_add_co_ci_u32_e32 v90, vcc_lo, s7, v217, vcc_lo
	v_add_co_u32 v91, vcc_lo, v216, s8
	v_add_co_ci_u32_e32 v92, vcc_lo, s9, v217, vcc_lo
	;; [unrolled: 2-line block ×5, first 2 shown]
	v_add_co_u32 v205, vcc_lo, v216, s20
	s_waitcnt vmcnt(28)
	v_wmma_f32_16x16x16_bf16 v[129:136], v[97:104], v[105:112], v[129:136]
	v_add_co_ci_u32_e32 v206, vcc_lo, s21, v217, vcc_lo
	v_add_co_u32 v207, vcc_lo, v216, s22
	v_add_co_ci_u32_e32 v208, vcc_lo, s23, v217, vcc_lo
	v_add_co_u32 v209, vcc_lo, v216, s24
	s_waitcnt vmcnt(26)
	v_wmma_f32_16x16x16_bf16 v[191:198], v[81:88], v[113:120], v[191:198]
	s_waitcnt vmcnt(24)
	v_wmma_f32_16x16x16_bf16 v[129:136], v[73:80], v[113:120], v[129:136]
	v_add_co_ci_u32_e32 v210, vcc_lo, s25, v217, vcc_lo
	v_add_co_u32 v211, vcc_lo, v216, s26
	v_add_co_ci_u32_e32 v212, vcc_lo, s27, v217, vcc_lo
	v_add_co_u32 v213, vcc_lo, v216, s38
	s_waitcnt vmcnt(22)
	v_wmma_f32_16x16x16_bf16 v[191:198], v[65:72], v[143:150], v[191:198]
	s_waitcnt vmcnt(20)
	v_wmma_f32_16x16x16_bf16 v[129:136], v[57:64], v[143:150], v[129:136]
	v_add_co_ci_u32_e32 v214, vcc_lo, s39, v217, vcc_lo
	v_add_co_u32 v143, vcc_lo, v216, s36
	s_waitcnt vmcnt(18)
	v_wmma_f32_16x16x16_bf16 v[191:198], v[49:56], v[151:158], v[191:198]
	s_waitcnt vmcnt(16)
	v_wmma_f32_16x16x16_bf16 v[129:136], v[41:48], v[151:158], v[129:136]
	v_add_co_ci_u32_e32 v144, vcc_lo, s37, v217, vcc_lo
	s_clause 0x15
	global_load_b128 v[121:124], v[125:126], off
	global_load_b128 v[125:128], v[125:126], off offset:16
	global_load_b128 v[113:116], v[199:200], off
	global_load_b128 v[117:120], v[199:200], off offset:16
	;; [unrolled: 2-line block ×11, first 2 shown]
	s_waitcnt vmcnt(36)
	v_wmma_f32_16x16x16_bf16 v[191:198], v[17:24], v[159:166], v[191:198]
	s_clause 0x1
	global_load_b128 v[17:20], v[213:214], off
	global_load_b128 v[21:24], v[213:214], off offset:16
	s_waitcnt vmcnt(36)
	v_wmma_f32_16x16x16_bf16 v[129:136], v[1:8], v[159:166], v[129:136]
	s_clause 0x1
	global_load_b128 v[1:4], v[143:144], off
	global_load_b128 v[5:8], v[143:144], off offset:16
	ds_load_b128 v[143:146], v215 offset:10240
	ds_load_b128 v[147:150], v215 offset:11264
	;; [unrolled: 1-line block ×4, first 2 shown]
	v_add_co_u32 v199, vcc_lo, v216, s40
	v_add_co_ci_u32_e32 v200, vcc_lo, s41, v217, vcc_lo
	v_add_co_u32 v159, vcc_lo, v216, s2
	v_add_co_ci_u32_e32 v160, vcc_lo, s3, v217, vcc_lo
	s_lshl_b64 s[2:3], s[4:5], 1
	s_delay_alu instid0(SALU_CYCLE_1)
	v_add_co_u32 v161, vcc_lo, v216, s2
	v_add_co_ci_u32_e32 v162, vcc_lo, s3, v217, vcc_lo
	s_waitcnt vmcnt(36) lgkmcnt(2)
	v_wmma_f32_16x16x16_bf16 v[191:198], v[25:32], v[143:150], v[191:198]
	s_waitcnt vmcnt(34)
	v_wmma_f32_16x16x16_bf16 v[129:136], v[33:40], v[143:150], v[129:136]
	s_clause 0x3
	global_load_b128 v[25:28], v[199:200], off
	global_load_b128 v[29:32], v[199:200], off offset:16
	global_load_b128 v[33:36], v[159:160], off
	global_load_b128 v[37:40], v[159:160], off offset:16
	v_and_b32_e32 v143, 0xe0, v0
	v_mbcnt_lo_u32_b32 v159, -1, 0
	s_waitcnt vmcnt(36) lgkmcnt(0)
	v_wmma_f32_16x16x16_bf16 v[191:198], v[9:16], v[151:158], v[191:198]
	s_clause 0x1
	global_load_b128 v[9:12], v[161:162], off
	global_load_b128 v[13:16], v[161:162], off offset:16
	s_waitcnt vmcnt(36)
	v_wmma_f32_16x16x16_bf16 v[129:136], v[167:174], v[151:158], v[129:136]
	v_add_nc_u32_e32 v160, s31, v143
	ds_load_b128 v[143:146], v215 offset:14336
	ds_load_b128 v[147:150], v215 offset:15360
	v_xor_b32_e32 v151, 16, v159
	s_waitcnt vmcnt(0) lgkmcnt(0)
	s_barrier
	v_or_b32_e32 v152, v160, v138
	buffer_gl0_inv
	v_cmp_gt_i32_e32 vcc_lo, 32, v151
	v_or_b32_e32 v153, 2, v152
	v_or_b32_e32 v154, 4, v152
	;; [unrolled: 1-line block ×5, first 2 shown]
	v_cmp_gt_i32_e64 s2, s28, v153
	v_cmp_gt_i32_e64 s3, s28, v154
	;; [unrolled: 1-line block ×3, first 2 shown]
	v_or_b32_e32 v158, 12, v152
	v_cmp_gt_i32_e64 s5, s28, v156
	v_cmp_gt_i32_e64 s6, s28, v157
	v_wmma_f32_16x16x16_bf16 v[191:198], v[175:182], v[143:150], v[191:198]
	v_wmma_f32_16x16x16_bf16 v[129:136], v[183:190], v[143:150], v[129:136]
	v_cndmask_b32_e32 v151, v159, v151, vcc_lo
	v_cmp_gt_i32_e32 vcc_lo, s28, v152
	v_or_b32_e32 v159, 14, v152
	v_dual_mul_f32 v149, s33, v192 :: v_dual_mul_f32 v150, s33, v191
	v_dual_mul_f32 v147, s33, v194 :: v_dual_mul_f32 v148, s33, v193
	v_mul_f32_e32 v145, s33, v196
	s_delay_alu instid0(VALU_DEP_3) | instskip(NEXT) | instid1(VALU_DEP_4)
	v_cndmask_b32_e64 v149, 0xff7fffff, v149, s2
	v_cndmask_b32_e32 v150, 0xff7fffff, v150, vcc_lo
	v_mul_f32_e32 v146, s33, v195
	v_cndmask_b32_e64 v148, 0xff7fffff, v148, s3
	v_cndmask_b32_e64 v147, 0xff7fffff, v147, s4
	v_or_b32_e32 v160, 16, v152
	v_max3_f32 v149, v150, 0xff7fffff, v149
	v_or_b32_e32 v161, 18, v152
	v_dual_mul_f32 v143, s33, v198 :: v_dual_mul_f32 v144, s33, v197
	v_cndmask_b32_e64 v146, 0xff7fffff, v146, s5
	v_cndmask_b32_e64 v145, 0xff7fffff, v145, s6
	v_max3_f32 v147, v149, v148, v147
	v_cmp_gt_i32_e64 s7, s28, v158
	v_cmp_gt_i32_e64 s8, s28, v159
	v_or_b32_e32 v162, 20, v152
	v_or_b32_e32 v163, 22, v152
	v_dual_mul_f32 v174, s33, v130 :: v_dual_mul_f32 v175, s33, v129
	v_cndmask_b32_e64 v144, 0xff7fffff, v144, s7
	v_cndmask_b32_e64 v143, 0xff7fffff, v143, s8
	v_max3_f32 v145, v147, v146, v145
	v_cmp_gt_i32_e64 s9, s28, v160
	v_cmp_gt_i32_e64 s10, s28, v161
	v_or_b32_e32 v164, 24, v152
	;; [unrolled: 8-line block ×3, first 2 shown]
	v_or_b32_e32 v167, 30, v152
	v_dual_mul_f32 v170, s33, v134 :: v_dual_mul_f32 v171, s33, v133
	v_cndmask_b32_e64 v144, 0xff7fffff, v173, s11
	v_cndmask_b32_e64 v145, 0xff7fffff, v172, s12
	v_max3_f32 v143, v143, v146, v147
	v_cmp_gt_i32_e64 s13, s28, v164
	v_cmp_gt_i32_e64 s15, s28, v165
	v_dual_mul_f32 v168, s33, v136 :: v_dual_mul_f32 v169, s33, v135
	s_delay_alu instid0(VALU_DEP_4) | instskip(NEXT) | instid1(VALU_DEP_4)
	v_max3_f32 v143, v143, v144, v145
	v_cndmask_b32_e64 v146, 0xff7fffff, v171, s13
	s_delay_alu instid0(VALU_DEP_4) | instskip(SKIP_3) | instid1(VALU_DEP_4)
	v_cndmask_b32_e64 v147, 0xff7fffff, v170, s15
	v_cmp_gt_i32_e64 s16, s28, v166
	v_cmp_gt_i32_e64 s17, s28, v167
	v_lshlrev_b32_e32 v154, 2, v151
	v_max3_f32 v143, v143, v146, v147
	s_delay_alu instid0(VALU_DEP_4) | instskip(NEXT) | instid1(VALU_DEP_4)
	v_cndmask_b32_e64 v144, 0xff7fffff, v169, s16
	v_cndmask_b32_e64 v145, 0xff7fffff, v168, s17
	s_delay_alu instid0(VALU_DEP_1) | instskip(SKIP_3) | instid1(VALU_DEP_1)
	v_max3_f32 v143, v143, v144, v145
	ds_bpermute_b32 v144, v154, v143
	s_waitcnt lgkmcnt(0)
	v_max_f32_e32 v144, v144, v144
	v_max_f32_e32 v153, v143, v144
	s_delay_alu instid0(VALU_DEP_1) | instskip(SKIP_4) | instid1(VALU_DEP_4)
	v_fma_f32 v143, s33, v191, -v153
	v_fma_f32 v144, s33, v192, -v153
	;; [unrolled: 1-line block ×5, first 2 shown]
	v_dual_mul_f32 v143, 0x3fb8aa3b, v143 :: v_dual_mul_f32 v144, 0x3fb8aa3b, v144
	s_delay_alu instid0(VALU_DEP_4) | instskip(SKIP_2) | instid1(VALU_DEP_4)
	v_mul_f32_e32 v132, 0x3fb8aa3b, v132
	v_fma_f32 v134, s33, v134, -v153
	v_mul_f32_e32 v145, 0x3fb8aa3b, v145
	v_exp_f32_e32 v143, v143
	v_exp_f32_e32 v147, v144
	v_fma_f32 v148, s33, v195, -v153
	v_mul_f32_e32 v134, 0x3fb8aa3b, v134
	v_mul_f32_e32 v146, 0x3fb8aa3b, v146
	v_exp_f32_e32 v145, v145
	v_fma_f32 v151, s33, v197, -v153
	v_mul_f32_e32 v148, 0x3fb8aa3b, v148
	v_fma_f32 v129, s33, v129, -v153
	v_exp_f32_e32 v149, v146
	v_cndmask_b32_e32 v144, 0, v143, vcc_lo
	v_fma_f32 v143, s33, v196, -v153
	v_cndmask_b32_e64 v146, 0, v147, s2
	v_exp_f32_e32 v148, v148
	s_delay_alu instid0(VALU_DEP_3) | instskip(NEXT) | instid1(VALU_DEP_3)
	v_dual_mul_f32 v151, 0x3fb8aa3b, v151 :: v_dual_add_f32 v150, 0, v144
	v_mul_f32_e32 v143, 0x3fb8aa3b, v143
	v_cndmask_b32_e64 v147, 0, v145, s3
	v_fma_f32 v130, s33, v130, -v153
	s_delay_alu instid0(TRANS32_DEP_2)
	v_cndmask_b32_e64 v149, 0, v149, s4
	v_add_f32_e32 v145, v150, v146
	v_fma_f32 v150, s33, v198, -v153
	v_exp_f32_e32 v143, v143
	v_exp_f32_e32 v155, v151
	v_mul_f32_e32 v129, 0x3fb8aa3b, v129
	s_delay_alu instid0(VALU_DEP_2) | instskip(SKIP_2) | instid1(VALU_DEP_3)
	v_dual_add_f32 v145, v145, v147 :: v_dual_mul_f32 v152, 0x3fb8aa3b, v150
	v_cndmask_b32_e64 v150, 0, v148, s5
	v_fma_f32 v131, s33, v131, -v153
	v_dual_mul_f32 v130, 0x3fb8aa3b, v130 :: v_dual_add_f32 v145, v145, v149
	s_delay_alu instid0(VALU_DEP_4) | instskip(NEXT) | instid1(TRANS32_DEP_3)
	v_exp_f32_e32 v152, v152
	v_cndmask_b32_e64 v151, 0, v143, s6
	v_exp_f32_e32 v129, v129
	s_delay_alu instid0(TRANS32_DEP_3)
	v_cndmask_b32_e64 v148, 0, v155, s7
	v_add_f32_e32 v143, v145, v150
	v_mul_f32_e32 v131, 0x3fb8aa3b, v131
	v_exp_f32_e32 v130, v130
	v_fma_f32 v133, s33, v133, -v153
	v_fma_f32 v136, s33, v136, -v153
	v_add_f32_e32 v143, v143, v151
	v_cndmask_b32_e64 v152, 0, v152, s8
	v_exp_f32_e32 v145, v131
	v_cndmask_b32_e64 v131, 0, v129, s9
	v_mul_f32_e32 v133, 0x3fb8aa3b, v133
	v_add_f32_e32 v143, v143, v148
	s_mov_b32 s2, exec_lo
	s_delay_alu instid0(VALU_DEP_1)
	v_add_f32_e32 v129, v143, v152
	v_exp_f32_e32 v143, v132
	v_cndmask_b32_e64 v132, 0, v130, s10
	v_fma_f32 v130, s33, v135, -v153
	v_exp_f32_e32 v135, v133
	v_add_f32_e32 v129, v129, v131
	v_cndmask_b32_e64 v133, 0, v145, s11
	v_exp_f32_e32 v145, v134
	s_delay_alu instid0(VALU_DEP_2) | instskip(NEXT) | instid1(TRANS32_DEP_3)
	v_dual_mul_f32 v130, 0x3fb8aa3b, v130 :: v_dual_add_f32 v129, v129, v132
	v_cndmask_b32_e64 v134, 0, v143, s12
	v_mul_f32_e32 v143, 0x3fb8aa3b, v136
	s_delay_alu instid0(VALU_DEP_3) | instskip(NEXT) | instid1(TRANS32_DEP_3)
	v_exp_f32_e32 v130, v130
	v_cndmask_b32_e64 v135, 0, v135, s13
	v_add_f32_e32 v129, v129, v133
	s_delay_alu instid0(TRANS32_DEP_2) | instskip(SKIP_1) | instid1(VALU_DEP_2)
	v_cndmask_b32_e64 v136, 0, v145, s15
	v_exp_f32_e32 v145, v143
	v_add_f32_e32 v129, v129, v134
	s_waitcnt_depctr 0xfff
	v_cndmask_b32_e64 v143, 0, v130, s16
	v_add_f32_e32 v129, v129, v135
	v_cndmask_b32_e64 v145, 0, v145, s17
	s_delay_alu instid0(VALU_DEP_2) | instskip(NEXT) | instid1(VALU_DEP_1)
	v_add_f32_e32 v129, v129, v136
	v_add_f32_e32 v129, v129, v143
	s_delay_alu instid0(VALU_DEP_1)
	v_add_f32_e32 v129, v129, v145
	ds_bpermute_b32 v130, v154, v129
	v_cmpx_gt_u32_e32 16, v142
	s_cbranch_execz .LBB681_12
; %bb.11:
	v_mul_u32_u24_e32 v142, 0x44, v141
	s_waitcnt lgkmcnt(0)
	v_add_f32_e32 v129, v129, v130
	s_delay_alu instid0(VALU_DEP_2) | instskip(NEXT) | instid1(VALU_DEP_1)
	v_lshl_add_u32 v142, v140, 2, v142
	v_add_nc_u32_e32 v130, 0x4000, v142
	ds_store_2addr_b32 v130, v153, v129 offset1:136
.LBB681_12:
	s_or_b32 exec_lo, exec_lo, s2
	v_lshlrev_b32_e32 v129, 2, v140
	s_waitcnt lgkmcnt(0)
	s_barrier
	buffer_gl0_inv
	v_cmp_eq_u32_e64 s2, 1, v141
	v_add_nc_u32_e32 v142, 0x4000, v129
	ds_load_2addr_b32 v[153:154], v142 offset1:17
	ds_load_2addr_b32 v[155:156], v142 offset0:34 offset1:51
	ds_load_2addr_b32 v[157:158], v142 offset0:68 offset1:85
	;; [unrolled: 1-line block ×4, first 2 shown]
	s_waitcnt lgkmcnt(4)
	v_max3_f32 v129, v153, 0xff7fffff, v154
	s_waitcnt lgkmcnt(3)
	s_delay_alu instid0(VALU_DEP_1) | instskip(SKIP_1) | instid1(VALU_DEP_1)
	v_max3_f32 v129, v129, v155, v156
	s_waitcnt lgkmcnt(2)
	v_max3_f32 v129, v129, v157, v158
	s_waitcnt lgkmcnt(1)
	s_delay_alu instid0(VALU_DEP_1) | instskip(NEXT) | instid1(VALU_DEP_1)
	v_max3_f32 v129, v129, v159, v160
	v_sub_f32_e32 v163, v154, v129
	v_sub_f32_e32 v130, v153, v129
	ds_load_2addr_b32 v[153:154], v142 offset0:170 offset1:187
	v_sub_f32_e32 v155, v155, v129
	v_dual_mul_f32 v163, 0x3fb8aa3b, v163 :: v_dual_mul_f32 v130, 0x3fb8aa3b, v130
	s_delay_alu instid0(VALU_DEP_2) | instskip(NEXT) | instid1(VALU_DEP_2)
	v_mul_f32_e32 v165, 0x3fb8aa3b, v155
	v_exp_f32_e32 v163, v163
	s_delay_alu instid0(VALU_DEP_2)
	v_exp_f32_e32 v164, v130
	v_sub_f32_e32 v130, v156, v129
	ds_load_2addr_b32 v[155:156], v142 offset0:204 offset1:221
	v_exp_f32_e32 v165, v165
	v_mul_f32_e32 v166, 0x3fb8aa3b, v130
	s_waitcnt lgkmcnt(2)
	v_fma_f32 v130, v164, v161, 0
	v_sub_f32_e32 v157, v157, v129
	s_delay_alu instid0(VALU_DEP_3) | instskip(NEXT) | instid1(VALU_DEP_2)
	v_exp_f32_e32 v166, v166
	v_dual_sub_f32 v161, v158, v129 :: v_dual_fmac_f32 v130, v163, v162
	s_waitcnt lgkmcnt(1)
	s_waitcnt_depctr 0xfff
	v_fmac_f32_e32 v130, v165, v153
	v_mul_f32_e32 v167, 0x3fb8aa3b, v157
	ds_load_2addr_b32 v[157:158], v142 offset0:238 offset1:255
	v_sub_f32_e32 v142, v159, v129
	v_dual_sub_f32 v153, v160, v129 :: v_dual_fmac_f32 v130, v166, v154
	v_mul_f32_e32 v159, 0x3fb8aa3b, v161
	v_exp_f32_e32 v161, v167
	s_delay_alu instid0(VALU_DEP_2)
	v_dual_mul_f32 v142, 0x3fb8aa3b, v142 :: v_dual_mul_f32 v153, 0x3fb8aa3b, v153
	s_waitcnt lgkmcnt(0)
	s_barrier
	buffer_gl0_inv
	v_exp_f32_e32 v142, v142
	v_exp_f32_e32 v153, v153
	v_fmac_f32_e32 v130, v161, v155
	v_exp_f32_e32 v159, v159
	s_waitcnt_depctr 0xfff
	v_fmac_f32_e32 v130, v159, v156
	s_delay_alu instid0(VALU_DEP_1) | instskip(NEXT) | instid1(VALU_DEP_1)
	v_fmac_f32_e32 v130, v142, v157
	v_fmac_f32_e32 v130, v153, v158
	s_delay_alu instid0(VALU_DEP_1) | instskip(NEXT) | instid1(VALU_DEP_1)
	v_add_f32_e32 v154, 0x358637bd, v130
	v_div_scale_f32 v155, null, v154, v154, 1.0
	v_div_scale_f32 v158, vcc_lo, 1.0, v154, 1.0
	s_delay_alu instid0(VALU_DEP_2) | instskip(SKIP_2) | instid1(VALU_DEP_1)
	v_rcp_f32_e32 v156, v155
	s_waitcnt_depctr 0xfff
	v_fma_f32 v157, -v155, v156, 1.0
	v_fmac_f32_e32 v156, v157, v156
	v_cndmask_b32_e64 v157, v164, v163, s2
	v_cmp_eq_u32_e64 s2, 2, v141
	s_delay_alu instid0(VALU_DEP_3) | instskip(NEXT) | instid1(VALU_DEP_2)
	v_mul_f32_e32 v160, v158, v156
	v_cndmask_b32_e64 v157, v157, v165, s2
	v_cmp_eq_u32_e64 s2, 3, v141
	s_delay_alu instid0(VALU_DEP_3) | instskip(NEXT) | instid1(VALU_DEP_2)
	v_fma_f32 v162, -v155, v160, v158
	v_cndmask_b32_e64 v157, v157, v166, s2
	v_cmp_eq_u32_e64 s2, 4, v141
	s_delay_alu instid0(VALU_DEP_3) | instskip(NEXT) | instid1(VALU_DEP_2)
	v_fmac_f32_e32 v160, v162, v156
	v_cndmask_b32_e64 v157, v157, v161, s2
	s_delay_alu instid0(VALU_DEP_2) | instskip(SKIP_1) | instid1(VALU_DEP_2)
	v_fma_f32 v155, -v155, v160, v158
	v_cmp_eq_u32_e64 s2, 5, v141
	v_div_fmas_f32 v155, v155, v156, v160
	s_delay_alu instid0(VALU_DEP_2) | instskip(SKIP_2) | instid1(VALU_DEP_3)
	v_cndmask_b32_e64 v157, v157, v159, s2
	v_cmp_eq_u32_e32 vcc_lo, 6, v141
	s_mov_b32 s2, exec_lo
	v_div_fixup_f32 v154, v155, v154, 1.0
	s_delay_alu instid0(VALU_DEP_3) | instskip(SKIP_1) | instid1(VALU_DEP_2)
	v_cndmask_b32_e32 v142, v157, v142, vcc_lo
	v_cmp_eq_u32_e32 vcc_lo, 7, v141
	v_cndmask_b32_e32 v142, v142, v153, vcc_lo
	s_delay_alu instid0(VALU_DEP_1) | instskip(NEXT) | instid1(VALU_DEP_1)
	v_mul_f32_e32 v142, v142, v154
	v_mul_f32_e32 v153, v142, v149
	;; [unrolled: 1-line block ×7, first 2 shown]
	v_dual_mul_f32 v150, v142, v147 :: v_dual_and_b32 v155, 0x7f800000, v154
	v_mul_f32_e32 v149, v142, v146
                                        ; implicit-def: $vgpr146
	s_delay_alu instid0(VALU_DEP_2)
	v_cmpx_ne_u32_e32 0x7f800000, v155
	s_xor_b32 s2, exec_lo, s2
; %bb.13:
	v_bfe_u32 v146, v154, 16, 1
	s_delay_alu instid0(VALU_DEP_1)
	v_add3_u32 v146, v154, v146, 0x7fff
                                        ; implicit-def: $vgpr154
; %bb.14:
	s_and_not1_saveexec_b32 s2, s2
; %bb.15:
	v_and_b32_e32 v146, 0xffff, v154
	v_or_b32_e32 v147, 0x10000, v154
	s_delay_alu instid0(VALU_DEP_2) | instskip(NEXT) | instid1(VALU_DEP_2)
	v_cmp_eq_u32_e32 vcc_lo, 0, v146
	v_cndmask_b32_e32 v146, v147, v154, vcc_lo
; %bb.16:
	s_or_b32 exec_lo, exec_lo, s2
	v_and_b32_e32 v147, 0x7f800000, v149
	s_delay_alu instid0(VALU_DEP_1) | instskip(SKIP_1) | instid1(SALU_CYCLE_1)
	v_cmp_ne_u32_e32 vcc_lo, 0x7f800000, v147
                                        ; implicit-def: $vgpr147
	s_and_saveexec_b32 s2, vcc_lo
	s_xor_b32 s2, exec_lo, s2
; %bb.17:
	v_bfe_u32 v147, v149, 16, 1
	s_delay_alu instid0(VALU_DEP_1)
	v_add3_u32 v147, v149, v147, 0x7fff
                                        ; implicit-def: $vgpr149
; %bb.18:
	s_and_not1_saveexec_b32 s2, s2
; %bb.19:
	v_and_b32_e32 v147, 0xffff, v149
	v_or_b32_e32 v154, 0x10000, v149
	s_delay_alu instid0(VALU_DEP_2) | instskip(NEXT) | instid1(VALU_DEP_2)
	v_cmp_eq_u32_e32 vcc_lo, 0, v147
	v_cndmask_b32_e32 v147, v154, v149, vcc_lo
; %bb.20:
	s_or_b32 exec_lo, exec_lo, s2
	v_and_b32_e32 v149, 0x7f800000, v150
	s_delay_alu instid0(VALU_DEP_1) | instskip(SKIP_1) | instid1(SALU_CYCLE_1)
	v_cmp_ne_u32_e32 vcc_lo, 0x7f800000, v149
                                        ; implicit-def: $vgpr149
	s_and_saveexec_b32 s2, vcc_lo
	s_xor_b32 s2, exec_lo, s2
; %bb.21:
	v_bfe_u32 v149, v150, 16, 1
	s_delay_alu instid0(VALU_DEP_1)
	v_add3_u32 v149, v150, v149, 0x7fff
                                        ; implicit-def: $vgpr150
; %bb.22:
	s_and_not1_saveexec_b32 s2, s2
; %bb.23:
	v_and_b32_e32 v149, 0xffff, v150
	v_or_b32_e32 v154, 0x10000, v150
	s_delay_alu instid0(VALU_DEP_2) | instskip(NEXT) | instid1(VALU_DEP_2)
	v_cmp_eq_u32_e32 vcc_lo, 0, v149
	v_cndmask_b32_e32 v149, v154, v150, vcc_lo
; %bb.24:
	s_or_b32 exec_lo, exec_lo, s2
	v_and_b32_e32 v150, 0x7f800000, v153
	s_delay_alu instid0(VALU_DEP_1) | instskip(SKIP_1) | instid1(SALU_CYCLE_1)
	v_cmp_ne_u32_e32 vcc_lo, 0x7f800000, v150
                                        ; implicit-def: $vgpr150
	s_and_saveexec_b32 s2, vcc_lo
	s_xor_b32 s2, exec_lo, s2
; %bb.25:
	v_bfe_u32 v150, v153, 16, 1
	s_delay_alu instid0(VALU_DEP_1)
	v_add3_u32 v150, v153, v150, 0x7fff
                                        ; implicit-def: $vgpr153
; %bb.26:
	s_and_not1_saveexec_b32 s2, s2
; %bb.27:
	v_and_b32_e32 v150, 0xffff, v153
	v_or_b32_e32 v154, 0x10000, v153
	s_delay_alu instid0(VALU_DEP_2) | instskip(NEXT) | instid1(VALU_DEP_2)
	v_cmp_eq_u32_e32 vcc_lo, 0, v150
	v_cndmask_b32_e32 v150, v154, v153, vcc_lo
; %bb.28:
	s_or_b32 exec_lo, exec_lo, s2
	v_and_b32_e32 v153, 0x7f800000, v152
	s_delay_alu instid0(VALU_DEP_1) | instskip(SKIP_1) | instid1(SALU_CYCLE_1)
	v_cmp_ne_u32_e32 vcc_lo, 0x7f800000, v153
                                        ; implicit-def: $vgpr153
	s_and_saveexec_b32 s2, vcc_lo
	s_xor_b32 s2, exec_lo, s2
; %bb.29:
	v_bfe_u32 v153, v152, 16, 1
	s_delay_alu instid0(VALU_DEP_1)
	v_add3_u32 v153, v152, v153, 0x7fff
                                        ; implicit-def: $vgpr152
; %bb.30:
	s_and_not1_saveexec_b32 s2, s2
; %bb.31:
	v_and_b32_e32 v153, 0xffff, v152
	v_or_b32_e32 v154, 0x10000, v152
	s_delay_alu instid0(VALU_DEP_2) | instskip(NEXT) | instid1(VALU_DEP_2)
	v_cmp_eq_u32_e32 vcc_lo, 0, v153
	v_cndmask_b32_e32 v153, v154, v152, vcc_lo
; %bb.32:
	s_or_b32 exec_lo, exec_lo, s2
	v_and_b32_e32 v152, 0x7f800000, v151
	s_delay_alu instid0(VALU_DEP_1) | instskip(SKIP_1) | instid1(SALU_CYCLE_1)
	v_cmp_ne_u32_e32 vcc_lo, 0x7f800000, v152
                                        ; implicit-def: $vgpr152
	s_and_saveexec_b32 s2, vcc_lo
	s_xor_b32 s2, exec_lo, s2
; %bb.33:
	v_bfe_u32 v152, v151, 16, 1
	s_delay_alu instid0(VALU_DEP_1)
	v_add3_u32 v152, v151, v152, 0x7fff
                                        ; implicit-def: $vgpr151
; %bb.34:
	s_and_not1_saveexec_b32 s2, s2
; %bb.35:
	v_and_b32_e32 v152, 0xffff, v151
	v_or_b32_e32 v154, 0x10000, v151
	s_delay_alu instid0(VALU_DEP_2) | instskip(NEXT) | instid1(VALU_DEP_2)
	v_cmp_eq_u32_e32 vcc_lo, 0, v152
	v_cndmask_b32_e32 v152, v154, v151, vcc_lo
; %bb.36:
	s_or_b32 exec_lo, exec_lo, s2
	v_and_b32_e32 v151, 0x7f800000, v148
	s_delay_alu instid0(VALU_DEP_1) | instskip(SKIP_1) | instid1(SALU_CYCLE_1)
	v_cmp_ne_u32_e32 vcc_lo, 0x7f800000, v151
                                        ; implicit-def: $vgpr151
	s_and_saveexec_b32 s2, vcc_lo
	s_xor_b32 s2, exec_lo, s2
; %bb.37:
	v_bfe_u32 v151, v148, 16, 1
	s_delay_alu instid0(VALU_DEP_1)
	v_add3_u32 v151, v148, v151, 0x7fff
                                        ; implicit-def: $vgpr148
; %bb.38:
	s_and_not1_saveexec_b32 s2, s2
; %bb.39:
	v_and_b32_e32 v151, 0xffff, v148
	v_or_b32_e32 v154, 0x10000, v148
	s_delay_alu instid0(VALU_DEP_2) | instskip(NEXT) | instid1(VALU_DEP_2)
	v_cmp_eq_u32_e32 vcc_lo, 0, v151
	v_cndmask_b32_e32 v151, v154, v148, vcc_lo
; %bb.40:
	s_or_b32 exec_lo, exec_lo, s2
	v_and_b32_e32 v148, 0x7f800000, v144
	s_delay_alu instid0(VALU_DEP_1) | instskip(SKIP_1) | instid1(SALU_CYCLE_1)
	v_cmp_ne_u32_e32 vcc_lo, 0x7f800000, v148
                                        ; implicit-def: $vgpr148
	s_and_saveexec_b32 s2, vcc_lo
	s_xor_b32 s2, exec_lo, s2
; %bb.41:
	v_bfe_u32 v148, v144, 16, 1
	s_delay_alu instid0(VALU_DEP_1)
	v_add3_u32 v148, v144, v148, 0x7fff
                                        ; implicit-def: $vgpr144
; %bb.42:
	s_and_not1_saveexec_b32 s2, s2
; %bb.43:
	v_and_b32_e32 v148, 0xffff, v144
	v_or_b32_e32 v154, 0x10000, v144
	s_delay_alu instid0(VALU_DEP_2) | instskip(NEXT) | instid1(VALU_DEP_2)
	v_cmp_eq_u32_e32 vcc_lo, 0, v148
	v_cndmask_b32_e32 v148, v154, v144, vcc_lo
; %bb.44:
	s_or_b32 exec_lo, exec_lo, s2
	s_load_b64 s[34:35], s[0:1], 0x94
	v_lshlrev_b32_e32 v155, 4, v138
	s_delay_alu instid0(VALU_DEP_2)
	v_perm_b32 v154, v148, v151, 0x7060302
	v_mul_f32_e32 v148, v142, v131
	v_dual_mul_f32 v145, v142, v145 :: v_dual_lshlrev_b32 v144, 6, v140
	v_dual_mul_f32 v143, v142, v143 :: v_dual_lshlrev_b32 v156, 11, v141
	v_perm_b32 v153, v152, v153, 0x7060302
	v_perm_b32 v152, v150, v149, 0x7060302
	;; [unrolled: 1-line block ×3, first 2 shown]
	s_delay_alu instid0(VALU_DEP_4)
	v_or3_b32 v131, v155, v156, v144
	v_mul_f32_e32 v136, v142, v136
	v_dual_mul_f32 v146, v142, v134 :: v_dual_and_b32 v149, 0x7f800000, v148
	v_mul_f32_e32 v135, v142, v135
	v_mul_f32_e32 v147, v142, v133
	;; [unrolled: 1-line block ×3, first 2 shown]
	s_mov_b32 s2, exec_lo
	ds_store_b128 v131, v[151:154]
                                        ; implicit-def: $vgpr132
	v_cmpx_ne_u32_e32 0x7f800000, v149
	s_xor_b32 s2, exec_lo, s2
; %bb.45:
	v_bfe_u32 v132, v148, 16, 1
	s_delay_alu instid0(VALU_DEP_1)
	v_add3_u32 v132, v148, v132, 0x7fff
                                        ; implicit-def: $vgpr148
; %bb.46:
	s_and_not1_saveexec_b32 s2, s2
; %bb.47:
	v_and_b32_e32 v132, 0xffff, v148
	v_or_b32_e32 v133, 0x10000, v148
	s_delay_alu instid0(VALU_DEP_2) | instskip(NEXT) | instid1(VALU_DEP_2)
	v_cmp_eq_u32_e32 vcc_lo, 0, v132
	v_cndmask_b32_e32 v132, v133, v148, vcc_lo
; %bb.48:
	s_or_b32 exec_lo, exec_lo, s2
	v_and_b32_e32 v133, 0x7f800000, v134
	s_delay_alu instid0(VALU_DEP_1) | instskip(SKIP_1) | instid1(SALU_CYCLE_1)
	v_cmp_ne_u32_e32 vcc_lo, 0x7f800000, v133
                                        ; implicit-def: $vgpr133
	s_and_saveexec_b32 s2, vcc_lo
	s_xor_b32 s2, exec_lo, s2
; %bb.49:
	v_bfe_u32 v133, v134, 16, 1
	s_delay_alu instid0(VALU_DEP_1)
	v_add3_u32 v133, v134, v133, 0x7fff
                                        ; implicit-def: $vgpr134
; %bb.50:
	s_and_not1_saveexec_b32 s2, s2
; %bb.51:
	v_and_b32_e32 v133, 0xffff, v134
	v_or_b32_e32 v142, 0x10000, v134
	s_delay_alu instid0(VALU_DEP_2) | instskip(NEXT) | instid1(VALU_DEP_2)
	v_cmp_eq_u32_e32 vcc_lo, 0, v133
	v_cndmask_b32_e32 v133, v142, v134, vcc_lo
; %bb.52:
	s_or_b32 exec_lo, exec_lo, s2
	v_and_b32_e32 v134, 0x7f800000, v147
	s_delay_alu instid0(VALU_DEP_1) | instskip(SKIP_1) | instid1(SALU_CYCLE_1)
	v_cmp_ne_u32_e32 vcc_lo, 0x7f800000, v134
                                        ; implicit-def: $vgpr134
	s_and_saveexec_b32 s2, vcc_lo
	s_xor_b32 s2, exec_lo, s2
; %bb.53:
	v_bfe_u32 v134, v147, 16, 1
	s_delay_alu instid0(VALU_DEP_1)
	v_add3_u32 v134, v147, v134, 0x7fff
                                        ; implicit-def: $vgpr147
; %bb.54:
	s_and_not1_saveexec_b32 s2, s2
; %bb.55:
	v_and_b32_e32 v134, 0xffff, v147
	v_or_b32_e32 v142, 0x10000, v147
	s_delay_alu instid0(VALU_DEP_2) | instskip(NEXT) | instid1(VALU_DEP_2)
	v_cmp_eq_u32_e32 vcc_lo, 0, v134
	v_cndmask_b32_e32 v134, v142, v147, vcc_lo
; %bb.56:
	s_or_b32 exec_lo, exec_lo, s2
	v_and_b32_e32 v142, 0x7f800000, v146
	s_delay_alu instid0(VALU_DEP_1) | instskip(SKIP_1) | instid1(SALU_CYCLE_1)
	v_cmp_ne_u32_e32 vcc_lo, 0x7f800000, v142
                                        ; implicit-def: $vgpr142
	s_and_saveexec_b32 s2, vcc_lo
	s_xor_b32 s2, exec_lo, s2
; %bb.57:
	v_bfe_u32 v142, v146, 16, 1
	s_delay_alu instid0(VALU_DEP_1)
	v_add3_u32 v142, v146, v142, 0x7fff
                                        ; implicit-def: $vgpr146
; %bb.58:
	s_and_not1_saveexec_b32 s2, s2
; %bb.59:
	v_and_b32_e32 v142, 0xffff, v146
	v_or_b32_e32 v147, 0x10000, v146
	s_delay_alu instid0(VALU_DEP_2) | instskip(NEXT) | instid1(VALU_DEP_2)
	v_cmp_eq_u32_e32 vcc_lo, 0, v142
	v_cndmask_b32_e32 v142, v147, v146, vcc_lo
; %bb.60:
	s_or_b32 exec_lo, exec_lo, s2
	v_and_b32_e32 v146, 0x7f800000, v135
	s_delay_alu instid0(VALU_DEP_1) | instskip(SKIP_1) | instid1(SALU_CYCLE_1)
	v_cmp_ne_u32_e32 vcc_lo, 0x7f800000, v146
                                        ; implicit-def: $vgpr146
	s_and_saveexec_b32 s2, vcc_lo
	s_xor_b32 s2, exec_lo, s2
; %bb.61:
	v_bfe_u32 v146, v135, 16, 1
	s_delay_alu instid0(VALU_DEP_1)
	v_add3_u32 v146, v135, v146, 0x7fff
                                        ; implicit-def: $vgpr135
; %bb.62:
	s_and_not1_saveexec_b32 s2, s2
; %bb.63:
	v_and_b32_e32 v146, 0xffff, v135
	v_or_b32_e32 v147, 0x10000, v135
	s_delay_alu instid0(VALU_DEP_2) | instskip(NEXT) | instid1(VALU_DEP_2)
	v_cmp_eq_u32_e32 vcc_lo, 0, v146
	v_cndmask_b32_e32 v146, v147, v135, vcc_lo
; %bb.64:
	s_or_b32 exec_lo, exec_lo, s2
	v_and_b32_e32 v135, 0x7f800000, v136
	s_delay_alu instid0(VALU_DEP_1) | instskip(SKIP_1) | instid1(SALU_CYCLE_1)
	v_cmp_ne_u32_e32 vcc_lo, 0x7f800000, v135
                                        ; implicit-def: $vgpr135
	s_and_saveexec_b32 s2, vcc_lo
	s_xor_b32 s2, exec_lo, s2
; %bb.65:
	v_bfe_u32 v135, v136, 16, 1
	s_delay_alu instid0(VALU_DEP_1)
	v_add3_u32 v135, v136, v135, 0x7fff
                                        ; implicit-def: $vgpr136
; %bb.66:
	s_and_not1_saveexec_b32 s2, s2
; %bb.67:
	v_and_b32_e32 v135, 0xffff, v136
	v_or_b32_e32 v147, 0x10000, v136
	s_delay_alu instid0(VALU_DEP_2) | instskip(NEXT) | instid1(VALU_DEP_2)
	v_cmp_eq_u32_e32 vcc_lo, 0, v135
	v_cndmask_b32_e32 v135, v147, v136, vcc_lo
; %bb.68:
	s_or_b32 exec_lo, exec_lo, s2
	v_and_b32_e32 v136, 0x7f800000, v143
	s_delay_alu instid0(VALU_DEP_1) | instskip(SKIP_1) | instid1(SALU_CYCLE_1)
	v_cmp_ne_u32_e32 vcc_lo, 0x7f800000, v136
                                        ; implicit-def: $vgpr136
	s_and_saveexec_b32 s2, vcc_lo
	s_xor_b32 s2, exec_lo, s2
; %bb.69:
	v_bfe_u32 v136, v143, 16, 1
	s_delay_alu instid0(VALU_DEP_1)
	v_add3_u32 v136, v143, v136, 0x7fff
                                        ; implicit-def: $vgpr143
; %bb.70:
	s_and_not1_saveexec_b32 s2, s2
; %bb.71:
	v_and_b32_e32 v136, 0xffff, v143
	v_or_b32_e32 v147, 0x10000, v143
	s_delay_alu instid0(VALU_DEP_2) | instskip(NEXT) | instid1(VALU_DEP_2)
	v_cmp_eq_u32_e32 vcc_lo, 0, v136
	v_cndmask_b32_e32 v136, v147, v143, vcc_lo
; %bb.72:
	s_or_b32 exec_lo, exec_lo, s2
	v_and_b32_e32 v143, 0x7f800000, v145
	s_delay_alu instid0(VALU_DEP_1) | instskip(SKIP_1) | instid1(SALU_CYCLE_1)
	v_cmp_ne_u32_e32 vcc_lo, 0x7f800000, v143
                                        ; implicit-def: $vgpr143
	s_and_saveexec_b32 s2, vcc_lo
	s_xor_b32 s2, exec_lo, s2
; %bb.73:
	v_bfe_u32 v143, v145, 16, 1
	s_delay_alu instid0(VALU_DEP_1)
	v_add3_u32 v143, v145, v143, 0x7fff
                                        ; implicit-def: $vgpr145
; %bb.74:
	s_and_not1_saveexec_b32 s2, s2
; %bb.75:
	v_and_b32_e32 v143, 0xffff, v145
	v_or_b32_e32 v147, 0x10000, v145
	s_delay_alu instid0(VALU_DEP_2) | instskip(NEXT) | instid1(VALU_DEP_2)
	v_cmp_eq_u32_e32 vcc_lo, 0, v143
	v_cndmask_b32_e32 v143, v147, v145, vcc_lo
; %bb.76:
	s_or_b32 exec_lo, exec_lo, s2
	s_delay_alu instid0(VALU_DEP_1)
	v_perm_b32 v136, v143, v136, 0x7060302
	v_perm_b32 v135, v135, v146, 0x7060302
	;; [unrolled: 1-line block ×4, first 2 shown]
	v_lshl_or_b32 v145, v141, 11, v144
	v_lshlrev_b32_e32 v142, 2, v138
	ds_store_b128 v131, v[133:136] offset:1024
	s_waitcnt lgkmcnt(0)
	s_barrier
	buffer_gl0_inv
	ds_load_b128 v[132:135], v145
	ds_load_b128 v[147:150], v145 offset:16
	v_or_b32_e32 v143, 1, v142
	v_cmp_eq_u32_e64 s11, 1, v142
	v_cmp_eq_u32_e64 s10, 2, v142
	;; [unrolled: 1-line block ×3, first 2 shown]
	v_or_b32_e32 v141, 2, v142
	v_cmp_eq_u32_e64 s6, 1, v143
	v_cmp_eq_u32_e64 s5, 2, v143
	;; [unrolled: 1-line block ×8, first 2 shown]
	v_cmp_eq_u32_e32 vcc_lo, 5, v143
	v_cmp_eq_u32_e64 s9, 2, v141
	v_cmp_eq_u32_e64 s3, 6, v143
	;; [unrolled: 1-line block ×4, first 2 shown]
	s_waitcnt lgkmcnt(1)
	v_lshrrev_b32_e32 v136, 16, v132
	s_waitcnt lgkmcnt(0)
	v_lshrrev_b32_e32 v155, 16, v147
	v_lshrrev_b32_e32 v161, 16, v148
	v_lshrrev_b32_e32 v159, 16, v133
	v_lshrrev_b32_e32 v163, 16, v149
	v_cndmask_b32_e64 v146, v132, v136, s11
	v_cndmask_b32_e64 v151, v147, v155, s11
	;; [unrolled: 1-line block ×4, first 2 shown]
	v_lshrrev_b32_e32 v160, 16, v134
	v_cndmask_b32_e64 v146, v146, v133, s10
	v_cndmask_b32_e64 v151, v151, v148, s10
	;; [unrolled: 1-line block ×8, first 2 shown]
	v_lshrrev_b32_e32 v164, 16, v150
	v_cndmask_b32_e64 v153, v153, v161, s4
	v_cndmask_b32_e64 v146, v146, v134, s16
	;; [unrolled: 1-line block ×5, first 2 shown]
	v_lshrrev_b32_e32 v162, 16, v135
	v_cndmask_b32_e64 v146, v146, v160, s12
	v_cndmask_b32_e64 v151, v151, v163, s12
	v_cndmask_b32_e32 v152, v152, v160, vcc_lo
	v_cndmask_b32_e64 v153, v153, v149, s2
	v_cmp_eq_u32_e64 s18, 7, v143
	v_cndmask_b32_e64 v146, v146, v135, s13
	v_cndmask_b32_e64 v151, v151, v150, s13
	v_cndmask_b32_e64 v152, v152, v135, s3
	v_cndmask_b32_e64 v154, v154, v159, s17
	v_cmp_eq_u32_e64 s19, 4, v141
	v_cndmask_b32_e64 v165, v146, v162, s8
	v_cndmask_b32_e64 v166, v151, v164, s8
	;; [unrolled: 1-line block ×3, first 2 shown]
	v_or_b32_e32 v146, 3, v142
	v_cndmask_b32_e64 v167, v152, v162, s18
	v_cndmask_b32_e32 v156, v153, v163, vcc_lo
	v_cndmask_b32_e64 v158, v154, v134, s19
	v_cndmask_b32_e64 v157, v151, v148, s9
	ds_load_b128 v[151:154], v145 offset:1024
	v_cmp_eq_u32_e64 s20, 1, v146
	v_cmp_eq_u32_e64 s21, 5, v141
	;; [unrolled: 1-line block ×3, first 2 shown]
	v_cndmask_b32_e64 v157, v157, v161, s17
	v_cmp_eq_u32_e64 s23, 3, v146
	v_cndmask_b32_e64 v132, v132, v136, s20
	v_cndmask_b32_e64 v136, v156, v150, s3
	;; [unrolled: 1-line block ×5, first 2 shown]
	ds_load_b128 v[155:158], v145 offset:1040
	v_cndmask_b32_e64 v132, v132, v133, s22
	v_cmp_eq_u32_e64 s25, 4, v146
	v_cmp_eq_u32_e64 s27, 5, v146
	v_cndmask_b32_e64 v147, v147, v148, s22
	v_cmp_eq_u32_e64 s24, 6, v141
	v_cndmask_b32_e64 v132, v132, v159, s23
	;; [unrolled: 2-line block ×3, first 2 shown]
	v_cndmask_b32_e64 v147, v147, v161, s23
	s_waitcnt lgkmcnt(1)
	v_lshrrev_b32_e32 v159, 16, v151
	v_cndmask_b32_e64 v132, v132, v134, s25
	v_cndmask_b32_e64 v148, v168, v135, s24
	;; [unrolled: 1-line block ×6, first 2 shown]
	v_lshrrev_b32_e32 v160, 16, v152
	v_cndmask_b32_e64 v161, v151, v159, s6
	v_cndmask_b32_e64 v134, v134, v163, s27
	s_waitcnt lgkmcnt(0)
	v_lshrrev_b32_e32 v149, 16, v155
	v_cndmask_b32_e64 v147, v147, v152, s10
	v_cndmask_b32_e64 v132, v132, v135, s28
	v_cmp_eq_u32_e64 s26, 7, v141
	v_cndmask_b32_e64 v134, v134, v150, s28
	v_cndmask_b32_e64 v163, v155, v149, s11
	;; [unrolled: 1-line block ×4, first 2 shown]
	v_lshrrev_b32_e32 v161, 16, v156
	v_cndmask_b32_e64 v136, v136, v164, s18
	v_cndmask_b32_e64 v150, v163, v156, s10
	v_cmp_eq_u32_e64 s10, 7, v146
	v_cndmask_b32_e64 v147, v147, v160, s4
	v_cndmask_b32_e64 v135, v135, v153, s16
	v_lshrrev_b32_e32 v163, 16, v153
	v_cndmask_b32_e64 v150, v150, v161, s15
	v_cndmask_b32_e64 v132, v132, v162, s10
	;; [unrolled: 1-line block ×8, first 2 shown]
	v_lshrrev_b32_e32 v164, 16, v157
	v_perm_b32 v135, v134, v132, 0x5040100
	v_cndmask_b32_e32 v132, v147, v163, vcc_lo
	v_cndmask_b32_e64 v147, v162, v154, s13
	v_lshrrev_b32_e32 v162, 16, v154
	v_cndmask_b32_e64 v150, v150, v164, s12
	v_perm_b32 v134, v133, v148, 0x5040100
	v_cndmask_b32_e64 v132, v132, v154, s3
	v_perm_b32 v133, v136, v167, 0x5040100
	v_cndmask_b32_e64 v136, v147, v162, s8
	v_cndmask_b32_e64 v147, v150, v158, s13
	;; [unrolled: 1-line block ×27, first 2 shown]
	v_cndmask_b32_e32 v149, v149, v164, vcc_lo
	v_lshrrev_b32_e32 v148, 16, v158
	v_cndmask_b32_e64 v132, v132, v154, s24
	v_cndmask_b32_e64 v150, v150, v154, s28
	;; [unrolled: 1-line block ×11, first 2 shown]
	v_perm_b32 v132, v166, v165, 0x5040100
	v_perm_b32 v150, v151, v150, 0x5040100
	;; [unrolled: 1-line block ×5, first 2 shown]
	s_mul_i32 s7, s35, 12
	s_mov_b32 s2, exec_lo
	ds_store_b128 v131, v[132:135]
	ds_store_b128 v131, v[147:150] offset:1024
	v_cmpx_gt_u32_e32 12, v0
	s_cbranch_execz .LBB681_78
; %bb.77:
	s_mul_i32 s3, s7, s30
	s_load_b128 s[8:11], s[0:1], 0x58
	v_add3_u32 v133, s3, s29, v140
	s_delay_alu instid0(VALU_DEP_1) | instskip(NEXT) | instid1(VALU_DEP_1)
	v_mad_u64_u32 v[131:132], null, v133, s34, s[14:15]
	v_ashrrev_i32_e32 v132, 31, v131
	s_delay_alu instid0(VALU_DEP_1) | instskip(SKIP_1) | instid1(VALU_DEP_1)
	v_lshlrev_b64 v[131:132], 2, v[131:132]
	s_waitcnt lgkmcnt(0)
	v_add_co_u32 v133, vcc_lo, s10, v131
	s_delay_alu instid0(VALU_DEP_2)
	v_add_co_ci_u32_e32 v134, vcc_lo, s11, v132, vcc_lo
	v_add_co_u32 v131, vcc_lo, s8, v131
	v_add_co_ci_u32_e32 v132, vcc_lo, s9, v132, vcc_lo
	global_store_b32 v[133:134], v129, off
	global_store_b32 v[131:132], v130, off
.LBB681_78:
	s_or_b32 exec_lo, exec_lo, s2
	s_waitcnt lgkmcnt(0)
	s_waitcnt_vscnt null, 0x0
	s_barrier
	buffer_gl0_inv
	ds_load_b128 v[147:150], v144
	ds_load_b128 v[151:154], v144 offset:16
	ds_load_b128 v[159:162], v144 offset:1040
	;; [unrolled: 1-line block ×3, first 2 shown]
	v_mov_b32_e32 v129, 0
	ds_load_b128 v[167:170], v144 offset:2064
	ds_load_b128 v[163:166], v144 offset:2048
	ds_load_b128 v[175:178], v144 offset:3088
	ds_load_b128 v[171:174], v144 offset:3072
	ds_load_b128 v[183:186], v144 offset:4112
	ds_load_b128 v[179:182], v144 offset:4096
	v_mov_b32_e32 v130, v129
	v_mov_b32_e32 v131, v129
	;; [unrolled: 1-line block ×7, first 2 shown]
	s_waitcnt lgkmcnt(8)
	s_delay_alu instid0(VALU_DEP_1)
	v_wmma_f32_16x16x16_bf16 v[129:136], v[121:128], v[147:154], v[129:136]
	ds_load_b128 v[125:128], v144 offset:5136
	ds_load_b128 v[121:124], v144 offset:5120
	s_waitcnt lgkmcnt(8)
	v_wmma_f32_16x16x16_bf16 v[129:136], v[113:120], v[155:162], v[129:136]
	ds_load_b128 v[117:120], v144 offset:6160
	ds_load_b128 v[113:116], v144 offset:6144
	s_waitcnt lgkmcnt(8)
	;; [unrolled: 4-line block ×8, first 2 shown]
	v_wmma_f32_16x16x16_bf16 v[129:136], v[65:72], v[97:104], v[129:136]
	s_waitcnt lgkmcnt(6)
	s_delay_alu instid0(VALU_DEP_1)
	v_wmma_f32_16x16x16_bf16 v[129:136], v[49:56], v[89:96], v[129:136]
	ds_load_b128 v[53:56], v144 offset:13328
	ds_load_b128 v[49:52], v144 offset:13312
	s_waitcnt lgkmcnt(6)
	v_wmma_f32_16x16x16_bf16 v[129:136], v[41:48], v[81:88], v[129:136]
	ds_load_b128 v[45:48], v144 offset:14352
	ds_load_b128 v[41:44], v144 offset:14336
	s_waitcnt lgkmcnt(6)
	;; [unrolled: 4-line block ×3, first 2 shown]
	v_wmma_f32_16x16x16_bf16 v[129:136], v[1:8], v[57:64], v[129:136]
	s_waitcnt lgkmcnt(4)
	s_delay_alu instid0(VALU_DEP_1) | instskip(SKIP_1) | instid1(VALU_DEP_1)
	v_wmma_f32_16x16x16_bf16 v[129:136], v[25:32], v[49:56], v[129:136]
	s_waitcnt lgkmcnt(2)
	v_wmma_f32_16x16x16_bf16 v[129:136], v[33:40], v[41:48], v[129:136]
	s_waitcnt lgkmcnt(0)
	s_delay_alu instid0(VALU_DEP_1) | instskip(NEXT) | instid1(VALU_DEP_1)
	v_wmma_f32_16x16x16_bf16 v[129:136], v[9:16], v[17:24], v[129:136]
	v_and_b32_e32 v1, 0x7f800000, v129
	s_delay_alu instid0(VALU_DEP_1) | instskip(SKIP_1) | instid1(SALU_CYCLE_1)
	v_cmp_ne_u32_e32 vcc_lo, 0x7f800000, v1
                                        ; implicit-def: $vgpr1
	s_and_saveexec_b32 s2, vcc_lo
	s_xor_b32 s2, exec_lo, s2
; %bb.79:
	v_bfe_u32 v1, v129, 16, 1
	s_delay_alu instid0(VALU_DEP_1)
	v_add3_u32 v1, v129, v1, 0x7fff
; %bb.80:
	s_and_not1_saveexec_b32 s2, s2
; %bb.81:
	v_and_b32_e32 v1, 0xffff, v129
	v_or_b32_e32 v2, 0x10000, v129
	s_delay_alu instid0(VALU_DEP_2) | instskip(NEXT) | instid1(VALU_DEP_2)
	v_cmp_eq_u32_e32 vcc_lo, 0, v1
	v_cndmask_b32_e32 v1, v2, v129, vcc_lo
; %bb.82:
	s_or_b32 exec_lo, exec_lo, s2
	v_and_b32_e32 v2, 0x7f800000, v130
	s_delay_alu instid0(VALU_DEP_1) | instskip(SKIP_1) | instid1(SALU_CYCLE_1)
	v_cmp_ne_u32_e32 vcc_lo, 0x7f800000, v2
                                        ; implicit-def: $vgpr2
	s_and_saveexec_b32 s2, vcc_lo
	s_xor_b32 s2, exec_lo, s2
; %bb.83:
	v_bfe_u32 v2, v130, 16, 1
	s_delay_alu instid0(VALU_DEP_1)
	v_add3_u32 v2, v130, v2, 0x7fff
; %bb.84:
	s_and_not1_saveexec_b32 s2, s2
; %bb.85:
	v_and_b32_e32 v2, 0xffff, v130
	v_or_b32_e32 v3, 0x10000, v130
	s_delay_alu instid0(VALU_DEP_2) | instskip(NEXT) | instid1(VALU_DEP_2)
	v_cmp_eq_u32_e32 vcc_lo, 0, v2
	v_cndmask_b32_e32 v2, v3, v130, vcc_lo
; %bb.86:
	s_or_b32 exec_lo, exec_lo, s2
	v_and_b32_e32 v3, 0x7f800000, v131
	s_delay_alu instid0(VALU_DEP_1) | instskip(SKIP_1) | instid1(SALU_CYCLE_1)
	v_cmp_ne_u32_e32 vcc_lo, 0x7f800000, v3
                                        ; implicit-def: $vgpr3
	s_and_saveexec_b32 s2, vcc_lo
	s_xor_b32 s2, exec_lo, s2
; %bb.87:
	v_bfe_u32 v3, v131, 16, 1
	s_delay_alu instid0(VALU_DEP_1)
	v_add3_u32 v3, v131, v3, 0x7fff
; %bb.88:
	s_and_not1_saveexec_b32 s2, s2
; %bb.89:
	v_and_b32_e32 v3, 0xffff, v131
	v_or_b32_e32 v4, 0x10000, v131
	s_delay_alu instid0(VALU_DEP_2) | instskip(NEXT) | instid1(VALU_DEP_2)
	v_cmp_eq_u32_e32 vcc_lo, 0, v3
	v_cndmask_b32_e32 v3, v4, v131, vcc_lo
; %bb.90:
	s_or_b32 exec_lo, exec_lo, s2
	v_and_b32_e32 v4, 0x7f800000, v132
	s_delay_alu instid0(VALU_DEP_1) | instskip(SKIP_1) | instid1(SALU_CYCLE_1)
	v_cmp_ne_u32_e32 vcc_lo, 0x7f800000, v4
                                        ; implicit-def: $vgpr4
	s_and_saveexec_b32 s2, vcc_lo
	s_xor_b32 s2, exec_lo, s2
; %bb.91:
	v_bfe_u32 v4, v132, 16, 1
	s_delay_alu instid0(VALU_DEP_1)
	v_add3_u32 v4, v132, v4, 0x7fff
; %bb.92:
	s_and_not1_saveexec_b32 s2, s2
; %bb.93:
	v_and_b32_e32 v4, 0xffff, v132
	v_or_b32_e32 v5, 0x10000, v132
	s_delay_alu instid0(VALU_DEP_2) | instskip(NEXT) | instid1(VALU_DEP_2)
	v_cmp_eq_u32_e32 vcc_lo, 0, v4
	v_cndmask_b32_e32 v4, v5, v132, vcc_lo
; %bb.94:
	s_or_b32 exec_lo, exec_lo, s2
	v_and_b32_e32 v5, 0x7f800000, v133
	s_delay_alu instid0(VALU_DEP_1) | instskip(SKIP_1) | instid1(SALU_CYCLE_1)
	v_cmp_ne_u32_e32 vcc_lo, 0x7f800000, v5
                                        ; implicit-def: $vgpr5
	s_and_saveexec_b32 s2, vcc_lo
	s_xor_b32 s2, exec_lo, s2
; %bb.95:
	v_bfe_u32 v5, v133, 16, 1
	s_delay_alu instid0(VALU_DEP_1)
	v_add3_u32 v5, v133, v5, 0x7fff
; %bb.96:
	s_and_not1_saveexec_b32 s2, s2
; %bb.97:
	v_and_b32_e32 v5, 0xffff, v133
	v_or_b32_e32 v6, 0x10000, v133
	s_delay_alu instid0(VALU_DEP_2) | instskip(NEXT) | instid1(VALU_DEP_2)
	v_cmp_eq_u32_e32 vcc_lo, 0, v5
	v_cndmask_b32_e32 v5, v6, v133, vcc_lo
; %bb.98:
	s_or_b32 exec_lo, exec_lo, s2
	v_and_b32_e32 v6, 0x7f800000, v134
	s_delay_alu instid0(VALU_DEP_1) | instskip(SKIP_1) | instid1(SALU_CYCLE_1)
	v_cmp_ne_u32_e32 vcc_lo, 0x7f800000, v6
                                        ; implicit-def: $vgpr6
	s_and_saveexec_b32 s2, vcc_lo
	s_xor_b32 s2, exec_lo, s2
; %bb.99:
	v_bfe_u32 v6, v134, 16, 1
	s_delay_alu instid0(VALU_DEP_1)
	v_add3_u32 v6, v134, v6, 0x7fff
; %bb.100:
	s_and_not1_saveexec_b32 s2, s2
; %bb.101:
	v_and_b32_e32 v6, 0xffff, v134
	v_or_b32_e32 v7, 0x10000, v134
	s_delay_alu instid0(VALU_DEP_2) | instskip(NEXT) | instid1(VALU_DEP_2)
	v_cmp_eq_u32_e32 vcc_lo, 0, v6
	v_cndmask_b32_e32 v6, v7, v134, vcc_lo
; %bb.102:
	s_or_b32 exec_lo, exec_lo, s2
	v_and_b32_e32 v7, 0x7f800000, v135
	s_delay_alu instid0(VALU_DEP_1) | instskip(SKIP_1) | instid1(SALU_CYCLE_1)
	v_cmp_ne_u32_e32 vcc_lo, 0x7f800000, v7
                                        ; implicit-def: $vgpr7
	s_and_saveexec_b32 s2, vcc_lo
	s_xor_b32 s2, exec_lo, s2
; %bb.103:
	v_bfe_u32 v7, v135, 16, 1
	s_delay_alu instid0(VALU_DEP_1)
	v_add3_u32 v7, v135, v7, 0x7fff
; %bb.104:
	s_and_not1_saveexec_b32 s2, s2
; %bb.105:
	v_and_b32_e32 v7, 0xffff, v135
	v_or_b32_e32 v8, 0x10000, v135
	s_delay_alu instid0(VALU_DEP_2) | instskip(NEXT) | instid1(VALU_DEP_2)
	v_cmp_eq_u32_e32 vcc_lo, 0, v7
	v_cndmask_b32_e32 v7, v8, v135, vcc_lo
; %bb.106:
	s_or_b32 exec_lo, exec_lo, s2
	v_and_b32_e32 v8, 0x7f800000, v136
	s_delay_alu instid0(VALU_DEP_1) | instskip(SKIP_1) | instid1(SALU_CYCLE_1)
	v_cmp_ne_u32_e32 vcc_lo, 0x7f800000, v8
                                        ; implicit-def: $vgpr8
	s_and_saveexec_b32 s2, vcc_lo
	s_xor_b32 s2, exec_lo, s2
; %bb.107:
	v_bfe_u32 v8, v136, 16, 1
	s_delay_alu instid0(VALU_DEP_1)
	v_add3_u32 v8, v136, v8, 0x7fff
                                        ; implicit-def: $vgpr129_vgpr130_vgpr131_vgpr132_vgpr133_vgpr134_vgpr135_vgpr136
; %bb.108:
	s_and_not1_saveexec_b32 s2, s2
; %bb.109:
	v_and_b32_e32 v8, 0xffff, v136
	v_or_b32_e32 v9, 0x10000, v136
	s_delay_alu instid0(VALU_DEP_2) | instskip(NEXT) | instid1(VALU_DEP_2)
	v_cmp_eq_u32_e32 vcc_lo, 0, v8
	v_cndmask_b32_e32 v8, v9, v136, vcc_lo
; %bb.110:
	s_or_b32 exec_lo, exec_lo, s2
	s_delay_alu instid0(VALU_DEP_1)
	v_perm_b32 v7, v8, v7, 0x7060302
	v_perm_b32 v6, v6, v5, 0x7060302
	;; [unrolled: 1-line block ×4, first 2 shown]
	v_lshl_or_b32 v9, v138, 4, v145
	s_barrier
	buffer_gl0_inv
	v_cmp_eq_u32_e32 vcc_lo, 1, v142
	ds_store_b128 v9, v[4:7]
	s_waitcnt lgkmcnt(0)
	s_barrier
	buffer_gl0_inv
	ds_load_b128 v[1:4], v145
	ds_load_b128 v[5:8], v145 offset:16
	v_cmp_eq_u32_e64 s3, 2, v142
	v_cmp_eq_u32_e64 s2, 1, v143
	;; [unrolled: 1-line block ×5, first 2 shown]
	s_waitcnt lgkmcnt(1)
	v_lshrrev_b32_e32 v10, 16, v1
	s_waitcnt lgkmcnt(0)
	v_lshrrev_b32_e32 v14, 16, v5
	v_lshrrev_b32_e32 v15, 16, v6
	;; [unrolled: 1-line block ×4, first 2 shown]
	v_cndmask_b32_e64 v20, v1, v10, s2
	v_cndmask_b32_e32 v19, v5, v14, vcc_lo
	v_cndmask_b32_e64 v21, v5, v14, s2
	v_lshrrev_b32_e32 v16, 16, v7
	v_cmp_eq_u32_e64 s2, 1, v141
	v_lshrrev_b32_e32 v13, 16, v4
	v_cndmask_b32_e64 v19, v19, v6, s3
	v_lshrrev_b32_e32 v17, 16, v8
	s_delay_alu instid0(VALU_DEP_4) | instskip(SKIP_1) | instid1(VALU_DEP_4)
	v_cndmask_b32_e64 v22, v1, v10, s2
	v_cndmask_b32_e64 v23, v5, v14, s2
	;; [unrolled: 1-line block ×3, first 2 shown]
	v_cndmask_b32_e32 v18, v1, v10, vcc_lo
	v_cmp_eq_u32_e32 vcc_lo, 2, v143
	v_cmp_eq_u32_e64 s2, 2, v146
	v_cndmask_b32_e64 v22, v22, v2, s6
	v_cndmask_b32_e32 v20, v20, v2, vcc_lo
	v_cndmask_b32_e32 v21, v21, v6, vcc_lo
	v_cmp_eq_u32_e32 vcc_lo, 4, v142
	v_cndmask_b32_e32 v19, v19, v7, vcc_lo
	v_cndmask_b32_e64 v18, v18, v2, s3
	v_cmp_eq_u32_e64 s3, 3, v143
	s_delay_alu instid0(VALU_DEP_2) | instskip(NEXT) | instid1(VALU_DEP_2)
	v_cndmask_b32_e64 v18, v18, v11, s4
	v_cndmask_b32_e64 v21, v21, v15, s3
	v_cmp_eq_u32_e64 s4, 5, v142
	s_delay_alu instid0(VALU_DEP_3) | instskip(SKIP_1) | instid1(VALU_DEP_3)
	v_cndmask_b32_e32 v18, v18, v3, vcc_lo
	v_cmp_eq_u32_e32 vcc_lo, 4, v143
	v_cndmask_b32_e64 v19, v19, v16, s4
	s_delay_alu instid0(VALU_DEP_3) | instskip(SKIP_4) | instid1(VALU_DEP_3)
	v_cndmask_b32_e64 v18, v18, v12, s4
	v_cndmask_b32_e32 v21, v21, v7, vcc_lo
	v_cndmask_b32_e64 v20, v20, v11, s3
	v_cmp_eq_u32_e64 s3, 5, v143
	v_cmp_eq_u32_e64 s4, 6, v142
	v_cndmask_b32_e32 v20, v20, v3, vcc_lo
	s_delay_alu instid0(VALU_DEP_3) | instskip(SKIP_1) | instid1(VALU_DEP_4)
	v_cndmask_b32_e64 v21, v21, v16, s3
	v_cmp_eq_u32_e32 vcc_lo, 6, v143
	v_cndmask_b32_e64 v18, v18, v4, s4
	v_cndmask_b32_e64 v19, v19, v8, s4
	;; [unrolled: 1-line block ×3, first 2 shown]
	v_cmp_eq_u32_e64 s3, 1, v146
	v_cmp_eq_u32_e64 s4, 7, v142
	s_delay_alu instid0(VALU_DEP_3) | instskip(NEXT) | instid1(VALU_DEP_3)
	v_cndmask_b32_e32 v20, v20, v4, vcc_lo
	v_cndmask_b32_e64 v1, v1, v10, s3
	v_cndmask_b32_e64 v5, v5, v14, s3
	v_cmp_eq_u32_e64 s3, 3, v141
	v_cndmask_b32_e64 v14, v23, v6, s6
	v_cmp_eq_u32_e64 s6, 3, v146
	v_cndmask_b32_e64 v1, v1, v2, s2
	v_cndmask_b32_e64 v2, v5, v6, s2
	;; [unrolled: 1-line block ×3, first 2 shown]
	v_cmp_eq_u32_e64 s2, 4, v141
	v_cndmask_b32_e64 v6, v14, v15, s3
	v_cndmask_b32_e64 v1, v1, v11, s6
	v_cmp_eq_u32_e64 s3, 4, v146
	v_cndmask_b32_e64 v2, v2, v15, s6
	v_cndmask_b32_e64 v5, v10, v3, s2
	;; [unrolled: 3-line block ×3, first 2 shown]
	v_cndmask_b32_e64 v2, v2, v7, s3
	v_cmp_eq_u32_e64 s2, 5, v146
	v_cndmask_b32_e64 v5, v5, v12, s6
	v_cmp_eq_u32_e64 s3, 6, v141
	;; [unrolled: 2-line block ×3, first 2 shown]
	v_cndmask_b32_e64 v1, v1, v12, s2
	v_cndmask_b32_e64 v2, v2, v16, s2
	;; [unrolled: 1-line block ×4, first 2 shown]
	v_cmp_eq_u32_e64 s2, 7, v146
	v_cndmask_b32_e64 v1, v1, v4, s6
	v_cndmask_b32_e64 v2, v2, v8, s6
	v_cmp_eq_u32_e64 s3, 7, v141
	v_cndmask_b32_e32 v4, v21, v8, vcc_lo
	v_cndmask_b32_e64 v18, v18, v13, s4
	v_cndmask_b32_e64 v20, v20, v13, s5
	;; [unrolled: 1-line block ×8, first 2 shown]
	s_mov_b32 s2, exec_lo
	v_perm_b32 v4, v2, v1, 0x5040100
	v_perm_b32 v3, v3, v5, 0x5040100
	;; [unrolled: 1-line block ×4, first 2 shown]
	ds_store_b128 v9, v[1:4]
	s_waitcnt lgkmcnt(0)
	s_barrier
	buffer_gl0_inv
	v_cmpx_gt_u32_e32 32, v0
	s_cbranch_execz .LBB681_2
; %bb.111:
	s_load_b64 s[0:1], s[0:1], 0x68
	v_lshlrev_b32_e32 v0, 10, v0
	s_lshl_b32 s4, s34, 7
	v_or_b32_e32 v3, s29, v138
	s_mul_i32 s2, s4, s30
	v_lshlrev_b32_e32 v1, 4, v139
	s_mul_i32 s2, s2, s7
	v_lshlrev_b32_e32 v2, 6, v138
	v_and_b32_e32 v0, 0x3800, v0
	s_ashr_i32 s3, s2, 31
	v_mul_lo_u32 v4, v3, s4
	s_lshl_b64 s[2:3], s[2:3], 1
	s_delay_alu instid0(VALU_DEP_2) | instskip(NEXT) | instid1(VALU_DEP_2)
	v_or3_b32 v16, v0, v1, v2
	v_ashrrev_i32_e32 v5, 31, v4
	ds_load_b128 v[0:3], v16
	s_waitcnt lgkmcnt(0)
	s_add_u32 s2, s0, s2
	s_addc_u32 s3, s1, s3
	s_lshl_b32 s0, s14, 7
	v_lshlrev_b64 v[5:6], 1, v[4:5]
	s_ashr_i32 s1, s0, 31
	s_delay_alu instid0(SALU_CYCLE_1) | instskip(NEXT) | instid1(SALU_CYCLE_1)
	s_lshl_b64 s[0:1], s[0:1], 1
	s_add_u32 s0, s2, s0
	s_addc_u32 s1, s3, s1
	s_lshl_b32 s2, s34, 8
	v_add_co_u32 v30, s0, s0, v137
	v_add_nc_u32_e32 v8, s2, v4
	v_add_co_ci_u32_e64 v31, null, s1, 0, s0
	s_delay_alu instid0(VALU_DEP_3) | instskip(NEXT) | instid1(VALU_DEP_3)
	v_add_co_u32 v12, vcc_lo, v30, v5
	v_add_nc_u32_e32 v10, s2, v8
	v_ashrrev_i32_e32 v9, 31, v8
	s_delay_alu instid0(VALU_DEP_4)
	v_add_co_ci_u32_e32 v13, vcc_lo, v31, v6, vcc_lo
	ds_load_b128 v[4:7], v16 offset:128
	v_ashrrev_i32_e32 v11, 31, v10
	v_lshlrev_b64 v[8:9], 1, v[8:9]
	v_add_nc_u32_e32 v14, s2, v10
	global_store_b128 v[12:13], v[0:3], off
	v_lshlrev_b64 v[0:1], 1, v[10:11]
	v_ashrrev_i32_e32 v15, 31, v14
	v_add_co_u32 v22, vcc_lo, v30, v8
	v_add_nc_u32_e32 v20, s2, v14
	v_add_co_ci_u32_e32 v23, vcc_lo, v31, v9, vcc_lo
	v_add_co_u32 v26, vcc_lo, v30, v0
	v_lshlrev_b64 v[24:25], 1, v[14:15]
	v_add_co_ci_u32_e32 v27, vcc_lo, v31, v1, vcc_lo
	ds_load_b128 v[0:3], v16 offset:256
	ds_load_b128 v[8:11], v16 offset:384
	;; [unrolled: 1-line block ×4, first 2 shown]
	v_add_nc_u32_e32 v28, s2, v20
	v_ashrrev_i32_e32 v21, 31, v20
	v_add_co_u32 v24, vcc_lo, v30, v24
	v_add_co_ci_u32_e32 v25, vcc_lo, v31, v25, vcc_lo
	s_delay_alu instid0(VALU_DEP_4) | instskip(NEXT) | instid1(VALU_DEP_4)
	v_ashrrev_i32_e32 v29, 31, v28
	v_lshlrev_b64 v[20:21], 1, v[20:21]
	s_delay_alu instid0(VALU_DEP_2) | instskip(NEXT) | instid1(VALU_DEP_2)
	v_lshlrev_b64 v[28:29], 1, v[28:29]
	v_add_co_u32 v20, vcc_lo, v30, v20
	s_delay_alu instid0(VALU_DEP_3) | instskip(NEXT) | instid1(VALU_DEP_3)
	v_add_co_ci_u32_e32 v21, vcc_lo, v31, v21, vcc_lo
	v_add_co_u32 v28, vcc_lo, v30, v28
	s_delay_alu instid0(VALU_DEP_4)
	v_add_co_ci_u32_e32 v29, vcc_lo, v31, v29, vcc_lo
	s_waitcnt lgkmcnt(4)
	global_store_b128 v[22:23], v[4:7], off
	s_waitcnt lgkmcnt(3)
	global_store_b128 v[26:27], v[0:3], off
	;; [unrolled: 2-line block ×5, first 2 shown]
	s_nop 0
	s_sendmsg sendmsg(MSG_DEALLOC_VGPRS)
	s_endpgm
	.section	.rodata,"a",@progbits
	.p2align	6, 0x0
	.amdhsa_kernel _Z39paged_attention_ll4mi_QKV_mfma16_kernelI14__hip_bfloat16S0_LN4vllm18Fp8KVCacheDataTypeE0ES0_Li16ELi128ELi256ELb0ELi12EL8MFMAType0EEvPKT_PKT0_S9_ifPKiSB_SB_iPKfiiiPfSE_PS4_PT2_iSD_SD_
		.amdhsa_group_segment_fixed_size 17472
		.amdhsa_private_segment_fixed_size 0
		.amdhsa_kernarg_size 400
		.amdhsa_user_sgpr_count 13
		.amdhsa_user_sgpr_dispatch_ptr 0
		.amdhsa_user_sgpr_queue_ptr 0
		.amdhsa_user_sgpr_kernarg_segment_ptr 1
		.amdhsa_user_sgpr_dispatch_id 0
		.amdhsa_user_sgpr_private_segment_size 0
		.amdhsa_wavefront_size32 1
		.amdhsa_uses_dynamic_stack 0
		.amdhsa_enable_private_segment 0
		.amdhsa_system_sgpr_workgroup_id_x 1
		.amdhsa_system_sgpr_workgroup_id_y 1
		.amdhsa_system_sgpr_workgroup_id_z 1
		.amdhsa_system_sgpr_workgroup_info 0
		.amdhsa_system_vgpr_workitem_id 0
		.amdhsa_next_free_vgpr 218
		.amdhsa_next_free_sgpr 50
		.amdhsa_reserve_vcc 1
		.amdhsa_float_round_mode_32 0
		.amdhsa_float_round_mode_16_64 0
		.amdhsa_float_denorm_mode_32 3
		.amdhsa_float_denorm_mode_16_64 3
		.amdhsa_dx10_clamp 1
		.amdhsa_ieee_mode 1
		.amdhsa_fp16_overflow 0
		.amdhsa_workgroup_processor_mode 1
		.amdhsa_memory_ordered 1
		.amdhsa_forward_progress 0
		.amdhsa_shared_vgpr_count 0
		.amdhsa_exception_fp_ieee_invalid_op 0
		.amdhsa_exception_fp_denorm_src 0
		.amdhsa_exception_fp_ieee_div_zero 0
		.amdhsa_exception_fp_ieee_overflow 0
		.amdhsa_exception_fp_ieee_underflow 0
		.amdhsa_exception_fp_ieee_inexact 0
		.amdhsa_exception_int_div_zero 0
	.end_amdhsa_kernel
	.section	.text._Z39paged_attention_ll4mi_QKV_mfma16_kernelI14__hip_bfloat16S0_LN4vllm18Fp8KVCacheDataTypeE0ES0_Li16ELi128ELi256ELb0ELi12EL8MFMAType0EEvPKT_PKT0_S9_ifPKiSB_SB_iPKfiiiPfSE_PS4_PT2_iSD_SD_,"axG",@progbits,_Z39paged_attention_ll4mi_QKV_mfma16_kernelI14__hip_bfloat16S0_LN4vllm18Fp8KVCacheDataTypeE0ES0_Li16ELi128ELi256ELb0ELi12EL8MFMAType0EEvPKT_PKT0_S9_ifPKiSB_SB_iPKfiiiPfSE_PS4_PT2_iSD_SD_,comdat
.Lfunc_end681:
	.size	_Z39paged_attention_ll4mi_QKV_mfma16_kernelI14__hip_bfloat16S0_LN4vllm18Fp8KVCacheDataTypeE0ES0_Li16ELi128ELi256ELb0ELi12EL8MFMAType0EEvPKT_PKT0_S9_ifPKiSB_SB_iPKfiiiPfSE_PS4_PT2_iSD_SD_, .Lfunc_end681-_Z39paged_attention_ll4mi_QKV_mfma16_kernelI14__hip_bfloat16S0_LN4vllm18Fp8KVCacheDataTypeE0ES0_Li16ELi128ELi256ELb0ELi12EL8MFMAType0EEvPKT_PKT0_S9_ifPKiSB_SB_iPKfiiiPfSE_PS4_PT2_iSD_SD_
                                        ; -- End function
	.section	.AMDGPU.csdata,"",@progbits
; Kernel info:
; codeLenInByte = 10344
; NumSgprs: 52
; NumVgprs: 218
; ScratchSize: 0
; MemoryBound: 0
; FloatMode: 240
; IeeeMode: 1
; LDSByteSize: 17472 bytes/workgroup (compile time only)
; SGPRBlocks: 6
; VGPRBlocks: 27
; NumSGPRsForWavesPerEU: 52
; NumVGPRsForWavesPerEU: 218
; Occupancy: 6
; WaveLimiterHint : 1
; COMPUTE_PGM_RSRC2:SCRATCH_EN: 0
; COMPUTE_PGM_RSRC2:USER_SGPR: 13
; COMPUTE_PGM_RSRC2:TRAP_HANDLER: 0
; COMPUTE_PGM_RSRC2:TGID_X_EN: 1
; COMPUTE_PGM_RSRC2:TGID_Y_EN: 1
; COMPUTE_PGM_RSRC2:TGID_Z_EN: 1
; COMPUTE_PGM_RSRC2:TIDIG_COMP_CNT: 0
	.section	.text._Z39paged_attention_ll4mi_QKV_mfma16_kernelI14__hip_bfloat16S0_LN4vllm18Fp8KVCacheDataTypeE0ES0_Li16ELi128ELi256ELb0ELi13EL8MFMAType0EEvPKT_PKT0_S9_ifPKiSB_SB_iPKfiiiPfSE_PS4_PT2_iSD_SD_,"axG",@progbits,_Z39paged_attention_ll4mi_QKV_mfma16_kernelI14__hip_bfloat16S0_LN4vllm18Fp8KVCacheDataTypeE0ES0_Li16ELi128ELi256ELb0ELi13EL8MFMAType0EEvPKT_PKT0_S9_ifPKiSB_SB_iPKfiiiPfSE_PS4_PT2_iSD_SD_,comdat
	.protected	_Z39paged_attention_ll4mi_QKV_mfma16_kernelI14__hip_bfloat16S0_LN4vllm18Fp8KVCacheDataTypeE0ES0_Li16ELi128ELi256ELb0ELi13EL8MFMAType0EEvPKT_PKT0_S9_ifPKiSB_SB_iPKfiiiPfSE_PS4_PT2_iSD_SD_ ; -- Begin function _Z39paged_attention_ll4mi_QKV_mfma16_kernelI14__hip_bfloat16S0_LN4vllm18Fp8KVCacheDataTypeE0ES0_Li16ELi128ELi256ELb0ELi13EL8MFMAType0EEvPKT_PKT0_S9_ifPKiSB_SB_iPKfiiiPfSE_PS4_PT2_iSD_SD_
	.globl	_Z39paged_attention_ll4mi_QKV_mfma16_kernelI14__hip_bfloat16S0_LN4vllm18Fp8KVCacheDataTypeE0ES0_Li16ELi128ELi256ELb0ELi13EL8MFMAType0EEvPKT_PKT0_S9_ifPKiSB_SB_iPKfiiiPfSE_PS4_PT2_iSD_SD_
	.p2align	8
	.type	_Z39paged_attention_ll4mi_QKV_mfma16_kernelI14__hip_bfloat16S0_LN4vllm18Fp8KVCacheDataTypeE0ES0_Li16ELi128ELi256ELb0ELi13EL8MFMAType0EEvPKT_PKT0_S9_ifPKiSB_SB_iPKfiiiPfSE_PS4_PT2_iSD_SD_,@function
_Z39paged_attention_ll4mi_QKV_mfma16_kernelI14__hip_bfloat16S0_LN4vllm18Fp8KVCacheDataTypeE0ES0_Li16ELi128ELi256ELb0ELi13EL8MFMAType0EEvPKT_PKT0_S9_ifPKiSB_SB_iPKfiiiPfSE_PS4_PT2_iSD_SD_: ; @_Z39paged_attention_ll4mi_QKV_mfma16_kernelI14__hip_bfloat16S0_LN4vllm18Fp8KVCacheDataTypeE0ES0_Li16ELi128ELi256ELb0ELi13EL8MFMAType0EEvPKT_PKT0_S9_ifPKiSB_SB_iPKfiiiPfSE_PS4_PT2_iSD_SD_
; %bb.0:
	s_load_b64 s[4:5], s[0:1], 0x30
	s_mov_b32 s30, s13
	s_waitcnt lgkmcnt(0)
	s_cmp_lg_u64 s[4:5], 0
	s_cselect_b32 s8, -1, 0
	s_ashr_i32 s31, s13, 31
	s_cmp_eq_u64 s[4:5], 0
	s_cbranch_scc1 .LBB682_3
; %bb.1:
	s_lshl_b64 s[2:3], s[30:31], 2
	s_delay_alu instid0(SALU_CYCLE_1) | instskip(SKIP_4) | instid1(SALU_CYCLE_1)
	s_add_u32 s2, s4, s2
	s_addc_u32 s3, s5, s3
	s_load_b64 s[2:3], s[2:3], 0x0
	s_waitcnt lgkmcnt(0)
	s_sub_i32 s2, s3, s2
	s_cmp_eq_u32 s2, 1
	s_cselect_b32 s2, -1, 0
	s_delay_alu instid0(SALU_CYCLE_1)
	s_and_not1_b32 vcc_lo, exec_lo, s2
	s_cbranch_vccz .LBB682_4
.LBB682_2:
	s_nop 0
	s_sendmsg sendmsg(MSG_DEALLOC_VGPRS)
	s_endpgm
.LBB682_3:
.LBB682_4:
	s_load_b64 s[2:3], s[0:1], 0x28
	s_lshl_b64 s[6:7], s[30:31], 2
	s_waitcnt lgkmcnt(0)
	s_add_u32 s2, s2, s6
	s_addc_u32 s3, s3, s7
	s_lshl_b32 s29, s14, 8
	s_load_b32 s28, s[2:3], 0x0
	s_waitcnt lgkmcnt(0)
	s_cmp_ge_i32 s29, s28
	s_cbranch_scc1 .LBB682_2
; %bb.5:
	s_clause 0x1
	s_load_b128 s[20:23], s[0:1], 0x8
	s_load_b64 s[2:3], s[0:1], 0x20
	s_and_not1_b32 vcc_lo, exec_lo, s8
	s_cbranch_vccnz .LBB682_7
; %bb.6:
	s_add_u32 s4, s4, s6
	s_addc_u32 s5, s5, s7
	s_load_b32 s5, s[4:5], 0x0
	s_branch .LBB682_8
.LBB682_7:
	s_mov_b32 s5, s30
.LBB682_8:
	s_load_b128 s[16:19], s[0:1], 0x48
	v_and_b32_e32 v140, 15, v0
	v_lshrrev_b32_e32 v141, 5, v0
	v_bfe_u32 v138, v0, 4, 1
	v_and_b32_e32 v142, 31, v0
	v_and_b32_e32 v139, 1, v0
	v_lshlrev_b32_e32 v2, 3, v140
	s_mul_i32 s31, s15, 13
	v_lshl_or_b32 v1, v141, 1, v138
	s_mov_b32 s4, exec_lo
	s_delay_alu instid0(VALU_DEP_2) | instskip(NEXT) | instid1(VALU_DEP_2)
	v_lshlrev_b32_e32 v137, 1, v2
	v_cmpx_gt_u32_e32 13, v1
	s_cbranch_execz .LBB682_10
; %bb.9:
	s_load_b64 s[6:7], s[0:1], 0x0
	v_add_lshl_u32 v2, v1, s31, 7
	s_waitcnt lgkmcnt(0)
	s_mul_hi_i32 s9, s5, s16
	s_mul_i32 s8, s5, s16
	v_lshlrev_b32_e32 v6, 10, v140
	s_lshl_b64 s[8:9], s[8:9], 1
	v_ashrrev_i32_e32 v3, 31, v2
	v_lshlrev_b32_e32 v1, 6, v1
	v_lshlrev_b32_e32 v7, 10, v139
	v_and_b32_e32 v6, 0x3800, v6
	s_delay_alu instid0(VALU_DEP_4) | instskip(NEXT) | instid1(VALU_DEP_2)
	v_lshlrev_b64 v[2:3], 1, v[2:3]
	v_or3_b32 v1, v6, v7, v1
	s_add_u32 s5, s6, s8
	s_addc_u32 s6, s7, s9
	s_delay_alu instid0(VALU_DEP_2) | instskip(NEXT) | instid1(VALU_DEP_3)
	v_add_co_u32 v2, vcc_lo, s5, v2
	v_add_co_ci_u32_e32 v3, vcc_lo, s6, v3, vcc_lo
	s_delay_alu instid0(VALU_DEP_2) | instskip(NEXT) | instid1(VALU_DEP_2)
	v_add_co_u32 v2, vcc_lo, v2, v137
	v_add_co_ci_u32_e32 v3, vcc_lo, 0, v3, vcc_lo
	global_load_b128 v[2:5], v[2:3], off
	s_waitcnt vmcnt(0)
	ds_store_b128 v1, v[2:5]
.LBB682_10:
	s_or_b32 exec_lo, exec_lo, s4
	v_and_b32_e32 v1, 0xef, v0
	s_waitcnt lgkmcnt(0)
	s_add_i32 s5, s28, 15
	s_clause 0x1
	s_load_b32 s4, s[0:1], 0x38
	s_load_b32 s33, s[0:1], 0x1c
	s_ashr_i32 s6, s5, 31
	v_add_nc_u32_e32 v1, s29, v1
	s_lshr_b32 s6, s6, 28
	s_waitcnt lgkmcnt(0)
	s_add_i32 s5, s5, s6
	s_barrier
	v_ashrrev_i32_e32 v2, 31, v1
	v_cmp_gt_i32_e32 vcc_lo, s28, v1
	s_ashr_i32 s16, s5, 4
	buffer_gl0_inv
	s_add_i32 s16, s16, -1
	v_lshrrev_b32_e32 v3, 28, v2
	v_or_b32_e32 v2, 16, v1
	v_add_nc_u32_e32 v105, -13, v140
	v_lshlrev_b32_e32 v106, 5, v140
	s_delay_alu instid0(VALU_DEP_4) | instskip(NEXT) | instid1(VALU_DEP_4)
	v_add_nc_u32_e32 v4, v1, v3
	v_add_nc_u32_e32 v3, v2, v3
	s_mul_i32 s4, s30, s4
	s_delay_alu instid0(VALU_DEP_3) | instskip(SKIP_4) | instid1(SALU_CYCLE_1)
	v_lshl_or_b32 v125, v141, 9, v106
	s_ashr_i32 s5, s4, 31
	v_ashrrev_i32_e32 v4, 4, v4
	v_ashrrev_i32_e32 v3, 4, v3
	s_lshl_b64 s[4:5], s[4:5], 2
	s_add_u32 s34, s2, s4
	s_delay_alu instid0(VALU_DEP_2) | instskip(SKIP_3) | instid1(VALU_DEP_2)
	v_cndmask_b32_e32 v1, s16, v4, vcc_lo
	v_cmp_gt_i32_e32 vcc_lo, s28, v2
	s_addc_u32 s35, s3, s5
	s_mul_i32 s2, s15, s18
	v_ashrrev_i32_e32 v2, 31, v1
	v_cndmask_b32_e32 v3, s16, v3, vcc_lo
	s_ashr_i32 s3, s2, 31
	s_delay_alu instid0(SALU_CYCLE_1) | instskip(NEXT) | instid1(VALU_DEP_2)
	s_lshl_b64 s[2:3], s[2:3], 1
	v_lshlrev_b64 v[1:2], 2, v[1:2]
	s_delay_alu instid0(VALU_DEP_2) | instskip(SKIP_3) | instid1(VALU_DEP_1)
	v_ashrrev_i32_e32 v4, 31, v3
	s_add_u32 s24, s20, s2
	s_addc_u32 s25, s21, s3
	s_lshl_b32 s4, s14, 4
	v_lshlrev_b64 v[3:4], 2, v[3:4]
	v_add_co_u32 v1, vcc_lo, s34, v1
	v_add_co_ci_u32_e32 v2, vcc_lo, s35, v2, vcc_lo
	s_ashr_i32 s5, s4, 31
	s_delay_alu instid0(VALU_DEP_3) | instskip(NEXT) | instid1(VALU_DEP_4)
	v_add_co_u32 v3, vcc_lo, s34, v3
	v_add_co_ci_u32_e32 v4, vcc_lo, s35, v4, vcc_lo
	s_lshl_b64 s[4:5], s[4:5], 2
	s_clause 0x1
	global_load_b32 v5, v[1:2], off
	global_load_b32 v6, v[3:4], off
	s_add_u32 s4, s34, s4
	s_addc_u32 s5, s35, s5
	s_or_b32 s6, s29, 16
	v_lshlrev_b32_e32 v3, 4, v0
	s_ashr_i32 s7, s6, 4
	s_cmp_lt_i32 s6, s28
	s_cselect_b32 s6, s7, s16
	s_delay_alu instid0(SALU_CYCLE_1) | instskip(NEXT) | instid1(SALU_CYCLE_1)
	s_ashr_i32 s7, s6, 31
	s_lshl_b64 s[6:7], s[6:7], 2
	s_delay_alu instid0(SALU_CYCLE_1) | instskip(SKIP_2) | instid1(SALU_CYCLE_1)
	s_add_u32 s6, s34, s6
	s_addc_u32 s7, s35, s7
	s_or_b32 s8, s29, 32
	s_ashr_i32 s9, s8, 4
	s_cmp_lt_i32 s8, s28
	s_cselect_b32 s8, s9, s16
	s_delay_alu instid0(SALU_CYCLE_1) | instskip(NEXT) | instid1(SALU_CYCLE_1)
	s_ashr_i32 s9, s8, 31
	s_lshl_b64 s[8:9], s[8:9], 2
	s_delay_alu instid0(SALU_CYCLE_1) | instskip(SKIP_2) | instid1(SALU_CYCLE_1)
	s_add_u32 s8, s34, s8
	s_addc_u32 s9, s35, s9
	s_or_b32 s10, s29, 48
	;; [unrolled: 10-line block ×4, first 2 shown]
	s_ashr_i32 s13, s12, 4
	s_cmp_lt_i32 s12, s28
	s_cselect_b32 s12, s13, s16
	s_delay_alu instid0(SALU_CYCLE_1) | instskip(NEXT) | instid1(SALU_CYCLE_1)
	s_ashr_i32 s13, s12, 31
	s_lshl_b64 s[12:13], s[12:13], 2
	s_delay_alu instid0(SALU_CYCLE_1)
	s_add_u32 s20, s34, s12
	s_addc_u32 s21, s35, s13
	s_clause 0x5
	s_load_b32 s36, s[4:5], 0x0
	s_load_b32 s27, s[6:7], 0x0
	;; [unrolled: 1-line block ×6, first 2 shown]
	s_waitcnt vmcnt(1)
	v_mad_i64_i32 v[1:2], null, v5, s17, 0
	v_and_b32_e32 v5, 0xf0, v3
	s_waitcnt vmcnt(0)
	v_mad_i64_i32 v[3:4], null, v6, s17, 0
	s_delay_alu instid0(VALU_DEP_2) | instskip(NEXT) | instid1(VALU_DEP_4)
	v_add_co_u32 v5, s4, s24, v5
	v_lshlrev_b64 v[1:2], 1, v[1:2]
	v_add_co_ci_u32_e64 v6, null, s25, 0, s4
	s_delay_alu instid0(VALU_DEP_4) | instskip(SKIP_1) | instid1(VALU_DEP_3)
	v_lshlrev_b64 v[3:4], 1, v[3:4]
	s_or_b32 s4, s29, 0x60
	v_add_co_u32 v121, vcc_lo, v5, v1
	s_delay_alu instid0(VALU_DEP_3) | instskip(NEXT) | instid1(VALU_DEP_3)
	v_add_co_ci_u32_e32 v122, vcc_lo, v6, v2, vcc_lo
	v_add_co_u32 v123, vcc_lo, v5, v3
	s_delay_alu instid0(VALU_DEP_4)
	v_add_co_ci_u32_e32 v124, vcc_lo, v6, v4, vcc_lo
	s_clause 0x19
	global_load_b128 v[89:92], v[121:122], off
	global_load_b128 v[93:96], v[121:122], off offset:256
	global_load_b128 v[97:100], v[123:124], off
	global_load_b128 v[101:104], v[123:124], off offset:256
	global_load_b128 v[81:84], v[121:122], off offset:512
	;; [unrolled: 1-line block ×23, first 2 shown]
	s_ashr_i32 s5, s4, 4
	s_cmp_lt_i32 s4, s28
	v_cmp_gt_u32_e32 vcc_lo, 13, v140
	s_cselect_b32 s4, s5, s16
	s_delay_alu instid0(SALU_CYCLE_1) | instskip(NEXT) | instid1(SALU_CYCLE_1)
	s_ashr_i32 s5, s4, 31
	s_lshl_b64 s[4:5], s[4:5], 2
	v_cndmask_b32_e32 v105, v105, v140, vcc_lo
	s_add_u32 s18, s34, s4
	s_addc_u32 s19, s35, s5
	s_or_b32 s4, s29, 0x70
	s_delay_alu instid0(SALU_CYCLE_1)
	s_ashr_i32 s5, s4, 4
	s_cmp_lt_i32 s4, s28
	v_lshlrev_b32_e32 v215, 6, v105
	s_cselect_b32 s6, s5, s16
	ds_load_b128 v[105:108], v215
	ds_load_b128 v[109:112], v215 offset:1024
	s_ashr_i32 s7, s6, 31
	ds_load_b128 v[113:116], v215 offset:2048
	ds_load_b128 v[117:120], v215 offset:3072
	;; [unrolled: 1-line block ×8, first 2 shown]
	s_clause 0x1
	global_load_b128 v[167:170], v[123:124], off offset:3072
	global_load_b128 v[171:174], v[123:124], off offset:3328
	s_lshl_b64 s[6:7], s[6:7], 2
	s_mov_b32 s4, 0
	s_add_u32 s20, s34, s6
	s_addc_u32 s21, s35, s7
	s_clause 0x1
	s_load_b32 s42, s[18:19], 0x0
	s_load_b32 s43, s[20:21], 0x0
	s_clause 0x3
	global_load_b128 v[175:178], v[121:122], off offset:3584
	global_load_b128 v[179:182], v[121:122], off offset:3840
	;; [unrolled: 1-line block ×4, first 2 shown]
	s_or_b32 s7, s29, 0x80
	s_mov_b32 s5, s4
	s_ashr_i32 s8, s7, 4
	s_cmp_lt_i32 s7, s28
	s_mov_b32 s6, s4
	s_cselect_b32 s10, s8, s16
	s_mov_b32 s7, s4
	s_ashr_i32 s11, s10, 31
	s_mov_b32 s8, s4
	s_lshl_b64 s[24:25], s[10:11], 2
	s_mov_b32 s9, s4
	s_add_u32 s24, s34, s24
	s_addc_u32 s25, s35, s25
	s_or_b32 s11, s29, 0x90
	s_mov_b32 s10, s4
	s_ashr_i32 s37, s11, 4
	s_cmp_lt_i32 s11, s28
	s_mov_b32 s11, s4
	s_cselect_b32 s38, s37, s16
	v_mov_b32_e32 v136, s11
	s_ashr_i32 s39, s38, 31
	v_dual_mov_b32 v135, s10 :: v_dual_mov_b32 v134, s9
	v_dual_mov_b32 v133, s8 :: v_dual_mov_b32 v132, s7
	;; [unrolled: 1-line block ×3, first 2 shown]
	v_mov_b32_e32 v129, s4
	s_lshl_b64 s[4:5], s[38:39], 2
	s_waitcnt lgkmcnt(0)
	s_mul_hi_i32 s7, s27, s17
	s_add_u32 s38, s34, s4
	s_addc_u32 s39, s35, s5
	s_or_b32 s4, s29, 0xa0
	s_load_b32 s39, s[38:39], 0x0
	s_ashr_i32 s5, s4, 4
	s_cmp_lt_i32 s4, s28
	s_cselect_b32 s4, s5, s16
	s_delay_alu instid0(SALU_CYCLE_1) | instskip(NEXT) | instid1(SALU_CYCLE_1)
	s_ashr_i32 s5, s4, 31
	s_lshl_b64 s[4:5], s[4:5], 2
	s_delay_alu instid0(SALU_CYCLE_1)
	s_add_u32 s40, s34, s4
	s_addc_u32 s41, s35, s5
	s_or_b32 s4, s29, 0xb0
	s_mul_hi_i32 s5, s36, s17
	s_ashr_i32 s6, s4, 4
	s_cmp_lt_i32 s4, s28
	s_mul_i32 s4, s36, s17
	s_cselect_b32 s8, s6, s16
	s_mul_i32 s6, s27, s17
	s_ashr_i32 s9, s8, 31
	s_load_b32 s38, s[40:41], 0x0
	s_lshl_b64 s[10:11], s[8:9], 2
	s_mul_hi_i32 s9, s26, s17
	s_add_u32 s36, s34, s10
	s_addc_u32 s37, s35, s11
	s_or_b32 s10, s29, 0xc0
	s_mul_i32 s8, s26, s17
	s_ashr_i32 s26, s10, 4
	s_cmp_lt_i32 s10, s28
	s_mul_hi_i32 s11, s13, s17
	s_cselect_b32 s26, s26, s16
	s_mul_i32 s10, s13, s17
	s_ashr_i32 s27, s26, 31
	s_mul_hi_i32 s13, s12, s17
	s_lshl_b64 s[26:27], s[26:27], 2
	s_mul_i32 s12, s12, s17
	s_add_u32 s20, s34, s26
	s_addc_u32 s21, s35, s27
	s_or_b32 s18, s29, 0xd0
	s_load_b32 s26, s[24:25], 0x0
	s_ashr_i32 s19, s18, 4
	s_cmp_lt_i32 s18, s28
	s_mul_i32 s18, s15, s17
	s_cselect_b32 s24, s19, s16
	s_mul_hi_i32 s19, s15, s17
	s_ashr_i32 s25, s24, 31
	s_waitcnt lgkmcnt(0)
	s_mul_hi_i32 s41, s39, s17
	s_lshl_b64 s[24:25], s[24:25], 2
	s_delay_alu instid0(SALU_CYCLE_1)
	s_add_u32 s24, s34, s24
	s_addc_u32 s25, s35, s25
	s_or_b32 s40, s29, 0xe0
	s_clause 0x2
	s_load_b32 s37, s[36:37], 0x0
	s_load_b32 s36, s[20:21], 0x0
	;; [unrolled: 1-line block ×3, first 2 shown]
	s_ashr_i32 s44, s40, 4
	s_cmp_lt_i32 s40, s28
	s_mul_hi_i32 s21, s42, s17
	s_mul_i32 s20, s42, s17
	s_cselect_b32 s42, s44, s16
	s_mul_hi_i32 s25, s43, s17
	s_mul_i32 s24, s43, s17
	s_ashr_i32 s43, s42, 31
	s_mul_hi_i32 s27, s26, s17
	s_lshl_b64 s[42:43], s[42:43], 2
	s_mul_i32 s26, s26, s17
	s_add_u32 s42, s34, s42
	s_addc_u32 s43, s35, s43
	s_or_b32 s44, s29, 0xf0
	s_mul_i32 s40, s39, s17
	s_ashr_i32 s46, s44, 4
	s_cmp_lt_i32 s44, s28
	s_mul_hi_i32 s39, s38, s17
	s_cselect_b32 s46, s46, s16
	s_waitcnt lgkmcnt(0)
	s_mul_hi_i32 s49, s15, s17
	s_ashr_i32 s47, s46, 31
	s_mul_i32 s48, s15, s17
	s_lshl_b64 s[46:47], s[46:47], 2
	s_mul_i32 s38, s38, s17
	s_add_u32 s34, s34, s46
	s_addc_u32 s35, s35, s47
	s_add_u32 s15, s22, s2
	s_addc_u32 s16, s23, s3
	v_add_co_u32 v216, s15, s15, v125
	s_delay_alu instid0(VALU_DEP_1) | instskip(SKIP_2) | instid1(VALU_DEP_2)
	v_add_co_ci_u32_e64 v217, null, s16, 0, s15
	s_lshl_b64 s[2:3], s[4:5], 1
	s_lshl_b64 s[4:5], s[6:7], 1
	v_add_co_u32 v125, vcc_lo, v216, s2
	s_delay_alu instid0(VALU_DEP_2)
	v_add_co_ci_u32_e32 v126, vcc_lo, s3, v217, vcc_lo
	v_add_co_u32 v199, vcc_lo, v216, s4
	s_lshl_b64 s[6:7], s[8:9], 1
	v_add_co_ci_u32_e32 v200, vcc_lo, s5, v217, vcc_lo
	s_lshl_b64 s[8:9], s[10:11], 1
	s_lshl_b64 s[10:11], s[12:13], 1
	;; [unrolled: 1-line block ×8, first 2 shown]
	s_mul_hi_i32 s45, s37, s17
	s_mul_i32 s44, s37, s17
	s_mul_hi_i32 s37, s36, s17
	s_lshl_b64 s[38:39], s[44:45], 1
	s_mul_i32 s36, s36, s17
	s_clause 0x1
	s_load_b32 s15, s[42:43], 0x0
	s_load_b32 s16, s[34:35], 0x0
	s_lshl_b64 s[36:37], s[36:37], 1
	s_lshl_b64 s[40:41], s[48:49], 1
	s_waitcnt lgkmcnt(0)
	s_mul_hi_i32 s3, s15, s17
	s_mul_i32 s2, s15, s17
	s_mul_hi_i32 s5, s16, s17
	s_lshl_b64 s[2:3], s[2:3], 1
	s_mul_i32 s4, s16, s17
	s_waitcnt vmcnt(30)
	v_wmma_f32_16x16x16_bf16 v[191:198], v[89:96], v[105:112], v[129:136]
	v_add_co_u32 v89, vcc_lo, v216, s6
	v_add_co_ci_u32_e32 v90, vcc_lo, s7, v217, vcc_lo
	v_add_co_u32 v91, vcc_lo, v216, s8
	v_add_co_ci_u32_e32 v92, vcc_lo, s9, v217, vcc_lo
	;; [unrolled: 2-line block ×5, first 2 shown]
	v_add_co_u32 v205, vcc_lo, v216, s20
	s_waitcnt vmcnt(28)
	v_wmma_f32_16x16x16_bf16 v[129:136], v[97:104], v[105:112], v[129:136]
	v_add_co_ci_u32_e32 v206, vcc_lo, s21, v217, vcc_lo
	v_add_co_u32 v207, vcc_lo, v216, s22
	v_add_co_ci_u32_e32 v208, vcc_lo, s23, v217, vcc_lo
	v_add_co_u32 v209, vcc_lo, v216, s24
	s_waitcnt vmcnt(26)
	v_wmma_f32_16x16x16_bf16 v[191:198], v[81:88], v[113:120], v[191:198]
	s_waitcnt vmcnt(24)
	v_wmma_f32_16x16x16_bf16 v[129:136], v[73:80], v[113:120], v[129:136]
	v_add_co_ci_u32_e32 v210, vcc_lo, s25, v217, vcc_lo
	v_add_co_u32 v211, vcc_lo, v216, s26
	v_add_co_ci_u32_e32 v212, vcc_lo, s27, v217, vcc_lo
	v_add_co_u32 v213, vcc_lo, v216, s38
	s_waitcnt vmcnt(22)
	v_wmma_f32_16x16x16_bf16 v[191:198], v[65:72], v[143:150], v[191:198]
	s_waitcnt vmcnt(20)
	v_wmma_f32_16x16x16_bf16 v[129:136], v[57:64], v[143:150], v[129:136]
	v_add_co_ci_u32_e32 v214, vcc_lo, s39, v217, vcc_lo
	v_add_co_u32 v143, vcc_lo, v216, s36
	s_waitcnt vmcnt(18)
	v_wmma_f32_16x16x16_bf16 v[191:198], v[49:56], v[151:158], v[191:198]
	s_waitcnt vmcnt(16)
	v_wmma_f32_16x16x16_bf16 v[129:136], v[41:48], v[151:158], v[129:136]
	v_add_co_ci_u32_e32 v144, vcc_lo, s37, v217, vcc_lo
	s_clause 0x15
	global_load_b128 v[121:124], v[125:126], off
	global_load_b128 v[125:128], v[125:126], off offset:16
	global_load_b128 v[113:116], v[199:200], off
	global_load_b128 v[117:120], v[199:200], off offset:16
	;; [unrolled: 2-line block ×11, first 2 shown]
	s_waitcnt vmcnt(36)
	v_wmma_f32_16x16x16_bf16 v[191:198], v[17:24], v[159:166], v[191:198]
	s_clause 0x1
	global_load_b128 v[17:20], v[213:214], off
	global_load_b128 v[21:24], v[213:214], off offset:16
	s_waitcnt vmcnt(36)
	v_wmma_f32_16x16x16_bf16 v[129:136], v[1:8], v[159:166], v[129:136]
	s_clause 0x1
	global_load_b128 v[1:4], v[143:144], off
	global_load_b128 v[5:8], v[143:144], off offset:16
	ds_load_b128 v[143:146], v215 offset:10240
	ds_load_b128 v[147:150], v215 offset:11264
	;; [unrolled: 1-line block ×4, first 2 shown]
	v_add_co_u32 v199, vcc_lo, v216, s40
	v_add_co_ci_u32_e32 v200, vcc_lo, s41, v217, vcc_lo
	v_add_co_u32 v159, vcc_lo, v216, s2
	v_add_co_ci_u32_e32 v160, vcc_lo, s3, v217, vcc_lo
	s_lshl_b64 s[2:3], s[4:5], 1
	s_delay_alu instid0(SALU_CYCLE_1)
	v_add_co_u32 v161, vcc_lo, v216, s2
	v_add_co_ci_u32_e32 v162, vcc_lo, s3, v217, vcc_lo
	s_waitcnt vmcnt(36) lgkmcnt(2)
	v_wmma_f32_16x16x16_bf16 v[191:198], v[25:32], v[143:150], v[191:198]
	s_waitcnt vmcnt(34)
	v_wmma_f32_16x16x16_bf16 v[129:136], v[33:40], v[143:150], v[129:136]
	s_clause 0x3
	global_load_b128 v[25:28], v[199:200], off
	global_load_b128 v[29:32], v[199:200], off offset:16
	global_load_b128 v[33:36], v[159:160], off
	global_load_b128 v[37:40], v[159:160], off offset:16
	v_and_b32_e32 v143, 0xe0, v0
	v_mbcnt_lo_u32_b32 v159, -1, 0
	s_waitcnt vmcnt(36) lgkmcnt(0)
	v_wmma_f32_16x16x16_bf16 v[191:198], v[9:16], v[151:158], v[191:198]
	s_clause 0x1
	global_load_b128 v[9:12], v[161:162], off
	global_load_b128 v[13:16], v[161:162], off offset:16
	s_waitcnt vmcnt(36)
	v_wmma_f32_16x16x16_bf16 v[129:136], v[167:174], v[151:158], v[129:136]
	v_add_nc_u32_e32 v160, s29, v143
	ds_load_b128 v[143:146], v215 offset:14336
	ds_load_b128 v[147:150], v215 offset:15360
	v_xor_b32_e32 v151, 16, v159
	s_waitcnt vmcnt(0) lgkmcnt(0)
	s_barrier
	v_or_b32_e32 v152, v160, v138
	buffer_gl0_inv
	v_cmp_gt_i32_e32 vcc_lo, 32, v151
	v_or_b32_e32 v153, 2, v152
	v_or_b32_e32 v154, 4, v152
	;; [unrolled: 1-line block ×5, first 2 shown]
	v_cmp_gt_i32_e64 s2, s28, v153
	v_cmp_gt_i32_e64 s3, s28, v154
	v_cmp_gt_i32_e64 s4, s28, v155
	v_or_b32_e32 v158, 12, v152
	v_cmp_gt_i32_e64 s5, s28, v156
	v_cmp_gt_i32_e64 s6, s28, v157
	v_wmma_f32_16x16x16_bf16 v[191:198], v[175:182], v[143:150], v[191:198]
	v_wmma_f32_16x16x16_bf16 v[129:136], v[183:190], v[143:150], v[129:136]
	v_cndmask_b32_e32 v151, v159, v151, vcc_lo
	v_cmp_gt_i32_e32 vcc_lo, s28, v152
	v_or_b32_e32 v159, 14, v152
	v_dual_mul_f32 v149, s33, v192 :: v_dual_mul_f32 v150, s33, v191
	v_dual_mul_f32 v147, s33, v194 :: v_dual_mul_f32 v148, s33, v193
	v_mul_f32_e32 v145, s33, v196
	s_delay_alu instid0(VALU_DEP_3) | instskip(NEXT) | instid1(VALU_DEP_4)
	v_cndmask_b32_e64 v149, 0xff7fffff, v149, s2
	v_cndmask_b32_e32 v150, 0xff7fffff, v150, vcc_lo
	v_mul_f32_e32 v146, s33, v195
	v_cndmask_b32_e64 v148, 0xff7fffff, v148, s3
	v_cndmask_b32_e64 v147, 0xff7fffff, v147, s4
	v_or_b32_e32 v160, 16, v152
	v_max3_f32 v149, v150, 0xff7fffff, v149
	v_or_b32_e32 v161, 18, v152
	v_dual_mul_f32 v143, s33, v198 :: v_dual_mul_f32 v144, s33, v197
	v_cndmask_b32_e64 v146, 0xff7fffff, v146, s5
	v_cndmask_b32_e64 v145, 0xff7fffff, v145, s6
	v_max3_f32 v147, v149, v148, v147
	v_cmp_gt_i32_e64 s7, s28, v158
	v_cmp_gt_i32_e64 s8, s28, v159
	v_or_b32_e32 v162, 20, v152
	v_or_b32_e32 v163, 22, v152
	v_dual_mul_f32 v174, s33, v130 :: v_dual_mul_f32 v175, s33, v129
	v_cndmask_b32_e64 v144, 0xff7fffff, v144, s7
	v_cndmask_b32_e64 v143, 0xff7fffff, v143, s8
	v_max3_f32 v145, v147, v146, v145
	v_cmp_gt_i32_e64 s9, s28, v160
	v_cmp_gt_i32_e64 s10, s28, v161
	v_or_b32_e32 v164, 24, v152
	;; [unrolled: 8-line block ×3, first 2 shown]
	v_or_b32_e32 v167, 30, v152
	v_dual_mul_f32 v170, s33, v134 :: v_dual_mul_f32 v171, s33, v133
	v_cndmask_b32_e64 v144, 0xff7fffff, v173, s11
	v_cndmask_b32_e64 v145, 0xff7fffff, v172, s12
	v_max3_f32 v143, v143, v146, v147
	v_cmp_gt_i32_e64 s13, s28, v164
	v_cmp_gt_i32_e64 s15, s28, v165
	v_dual_mul_f32 v168, s33, v136 :: v_dual_mul_f32 v169, s33, v135
	s_delay_alu instid0(VALU_DEP_4) | instskip(NEXT) | instid1(VALU_DEP_4)
	v_max3_f32 v143, v143, v144, v145
	v_cndmask_b32_e64 v146, 0xff7fffff, v171, s13
	s_delay_alu instid0(VALU_DEP_4) | instskip(SKIP_3) | instid1(VALU_DEP_4)
	v_cndmask_b32_e64 v147, 0xff7fffff, v170, s15
	v_cmp_gt_i32_e64 s16, s28, v166
	v_cmp_gt_i32_e64 s17, s28, v167
	v_lshlrev_b32_e32 v154, 2, v151
	v_max3_f32 v143, v143, v146, v147
	s_delay_alu instid0(VALU_DEP_4) | instskip(NEXT) | instid1(VALU_DEP_4)
	v_cndmask_b32_e64 v144, 0xff7fffff, v169, s16
	v_cndmask_b32_e64 v145, 0xff7fffff, v168, s17
	s_delay_alu instid0(VALU_DEP_1) | instskip(SKIP_3) | instid1(VALU_DEP_1)
	v_max3_f32 v143, v143, v144, v145
	ds_bpermute_b32 v144, v154, v143
	s_waitcnt lgkmcnt(0)
	v_max_f32_e32 v144, v144, v144
	v_max_f32_e32 v153, v143, v144
	s_delay_alu instid0(VALU_DEP_1) | instskip(SKIP_4) | instid1(VALU_DEP_4)
	v_fma_f32 v143, s33, v191, -v153
	v_fma_f32 v144, s33, v192, -v153
	;; [unrolled: 1-line block ×5, first 2 shown]
	v_dual_mul_f32 v143, 0x3fb8aa3b, v143 :: v_dual_mul_f32 v144, 0x3fb8aa3b, v144
	s_delay_alu instid0(VALU_DEP_4) | instskip(SKIP_2) | instid1(VALU_DEP_4)
	v_mul_f32_e32 v132, 0x3fb8aa3b, v132
	v_fma_f32 v134, s33, v134, -v153
	v_mul_f32_e32 v145, 0x3fb8aa3b, v145
	v_exp_f32_e32 v143, v143
	v_exp_f32_e32 v147, v144
	v_fma_f32 v148, s33, v195, -v153
	v_mul_f32_e32 v134, 0x3fb8aa3b, v134
	v_mul_f32_e32 v146, 0x3fb8aa3b, v146
	v_exp_f32_e32 v145, v145
	v_fma_f32 v151, s33, v197, -v153
	v_mul_f32_e32 v148, 0x3fb8aa3b, v148
	v_fma_f32 v129, s33, v129, -v153
	v_exp_f32_e32 v149, v146
	v_cndmask_b32_e32 v144, 0, v143, vcc_lo
	v_fma_f32 v143, s33, v196, -v153
	v_cndmask_b32_e64 v146, 0, v147, s2
	v_exp_f32_e32 v148, v148
	s_delay_alu instid0(VALU_DEP_3) | instskip(NEXT) | instid1(VALU_DEP_3)
	v_dual_mul_f32 v151, 0x3fb8aa3b, v151 :: v_dual_add_f32 v150, 0, v144
	v_mul_f32_e32 v143, 0x3fb8aa3b, v143
	v_cndmask_b32_e64 v147, 0, v145, s3
	v_fma_f32 v130, s33, v130, -v153
	s_delay_alu instid0(TRANS32_DEP_2)
	v_cndmask_b32_e64 v149, 0, v149, s4
	v_add_f32_e32 v145, v150, v146
	v_fma_f32 v150, s33, v198, -v153
	v_exp_f32_e32 v143, v143
	v_exp_f32_e32 v155, v151
	v_mul_f32_e32 v129, 0x3fb8aa3b, v129
	s_delay_alu instid0(VALU_DEP_2) | instskip(SKIP_2) | instid1(VALU_DEP_3)
	v_dual_add_f32 v145, v145, v147 :: v_dual_mul_f32 v152, 0x3fb8aa3b, v150
	v_cndmask_b32_e64 v150, 0, v148, s5
	v_fma_f32 v131, s33, v131, -v153
	v_dual_mul_f32 v130, 0x3fb8aa3b, v130 :: v_dual_add_f32 v145, v145, v149
	s_delay_alu instid0(VALU_DEP_4) | instskip(NEXT) | instid1(TRANS32_DEP_3)
	v_exp_f32_e32 v152, v152
	v_cndmask_b32_e64 v151, 0, v143, s6
	v_exp_f32_e32 v129, v129
	s_delay_alu instid0(TRANS32_DEP_3)
	v_cndmask_b32_e64 v148, 0, v155, s7
	v_add_f32_e32 v143, v145, v150
	v_mul_f32_e32 v131, 0x3fb8aa3b, v131
	v_exp_f32_e32 v130, v130
	v_fma_f32 v133, s33, v133, -v153
	v_fma_f32 v136, s33, v136, -v153
	v_add_f32_e32 v143, v143, v151
	v_cndmask_b32_e64 v152, 0, v152, s8
	v_exp_f32_e32 v145, v131
	v_cndmask_b32_e64 v131, 0, v129, s9
	v_mul_f32_e32 v133, 0x3fb8aa3b, v133
	v_add_f32_e32 v143, v143, v148
	v_cmp_gt_u32_e64 s2, 16, v142
	s_delay_alu instid0(VALU_DEP_2)
	v_add_f32_e32 v129, v143, v152
	v_exp_f32_e32 v143, v132
	v_cndmask_b32_e64 v132, 0, v130, s10
	v_fma_f32 v130, s33, v135, -v153
	v_exp_f32_e32 v135, v133
	v_add_f32_e32 v129, v129, v131
	v_cndmask_b32_e64 v133, 0, v145, s11
	v_exp_f32_e32 v145, v134
	s_delay_alu instid0(VALU_DEP_2) | instskip(NEXT) | instid1(TRANS32_DEP_3)
	v_dual_mul_f32 v130, 0x3fb8aa3b, v130 :: v_dual_add_f32 v129, v129, v132
	v_cndmask_b32_e64 v134, 0, v143, s12
	v_mul_f32_e32 v143, 0x3fb8aa3b, v136
	s_delay_alu instid0(VALU_DEP_3) | instskip(NEXT) | instid1(TRANS32_DEP_3)
	v_exp_f32_e32 v130, v130
	v_cndmask_b32_e64 v135, 0, v135, s13
	v_add_f32_e32 v129, v129, v133
	s_delay_alu instid0(TRANS32_DEP_2) | instskip(SKIP_1) | instid1(VALU_DEP_2)
	v_cndmask_b32_e64 v136, 0, v145, s15
	v_exp_f32_e32 v145, v143
	v_add_f32_e32 v129, v129, v134
	s_waitcnt_depctr 0xfff
	v_cndmask_b32_e64 v143, 0, v130, s16
	v_add_f32_e32 v129, v129, v135
	v_cndmask_b32_e64 v145, 0, v145, s17
	s_delay_alu instid0(VALU_DEP_2) | instskip(NEXT) | instid1(VALU_DEP_1)
	v_add_f32_e32 v129, v129, v136
	v_add_f32_e32 v129, v129, v143
	s_delay_alu instid0(VALU_DEP_1)
	v_add_f32_e32 v129, v129, v145
	ds_bpermute_b32 v130, v154, v129
	s_and_saveexec_b32 s3, s2
	s_cbranch_execz .LBB682_12
; %bb.11:
	v_mul_u32_u24_e32 v142, 0x44, v141
	s_waitcnt lgkmcnt(0)
	v_add_f32_e32 v129, v129, v130
	s_delay_alu instid0(VALU_DEP_2) | instskip(NEXT) | instid1(VALU_DEP_1)
	v_lshl_add_u32 v142, v140, 2, v142
	v_add_nc_u32_e32 v130, 0x4000, v142
	ds_store_2addr_b32 v130, v153, v129 offset1:136
.LBB682_12:
	s_or_b32 exec_lo, exec_lo, s3
	v_lshlrev_b32_e32 v129, 2, v140
	s_waitcnt lgkmcnt(0)
	s_barrier
	buffer_gl0_inv
	v_cmp_eq_u32_e64 s3, 1, v141
	v_add_nc_u32_e32 v142, 0x4000, v129
	ds_load_2addr_b32 v[153:154], v142 offset1:17
	ds_load_2addr_b32 v[155:156], v142 offset0:34 offset1:51
	ds_load_2addr_b32 v[157:158], v142 offset0:68 offset1:85
	;; [unrolled: 1-line block ×4, first 2 shown]
	s_waitcnt lgkmcnt(4)
	v_max3_f32 v129, v153, 0xff7fffff, v154
	s_waitcnt lgkmcnt(3)
	s_delay_alu instid0(VALU_DEP_1) | instskip(SKIP_1) | instid1(VALU_DEP_1)
	v_max3_f32 v129, v129, v155, v156
	s_waitcnt lgkmcnt(2)
	v_max3_f32 v129, v129, v157, v158
	s_waitcnt lgkmcnt(1)
	s_delay_alu instid0(VALU_DEP_1) | instskip(NEXT) | instid1(VALU_DEP_1)
	v_max3_f32 v129, v129, v159, v160
	v_sub_f32_e32 v163, v154, v129
	v_sub_f32_e32 v130, v153, v129
	ds_load_2addr_b32 v[153:154], v142 offset0:170 offset1:187
	v_sub_f32_e32 v155, v155, v129
	v_dual_mul_f32 v163, 0x3fb8aa3b, v163 :: v_dual_mul_f32 v130, 0x3fb8aa3b, v130
	s_delay_alu instid0(VALU_DEP_2) | instskip(NEXT) | instid1(VALU_DEP_2)
	v_mul_f32_e32 v165, 0x3fb8aa3b, v155
	v_exp_f32_e32 v163, v163
	s_delay_alu instid0(VALU_DEP_2)
	v_exp_f32_e32 v164, v130
	v_sub_f32_e32 v130, v156, v129
	ds_load_2addr_b32 v[155:156], v142 offset0:204 offset1:221
	v_exp_f32_e32 v165, v165
	v_mul_f32_e32 v166, 0x3fb8aa3b, v130
	s_waitcnt lgkmcnt(2)
	v_fma_f32 v130, v164, v161, 0
	v_sub_f32_e32 v157, v157, v129
	s_delay_alu instid0(VALU_DEP_3) | instskip(NEXT) | instid1(VALU_DEP_2)
	v_exp_f32_e32 v166, v166
	v_dual_sub_f32 v161, v158, v129 :: v_dual_fmac_f32 v130, v163, v162
	s_waitcnt lgkmcnt(1)
	s_waitcnt_depctr 0xfff
	v_fmac_f32_e32 v130, v165, v153
	v_mul_f32_e32 v167, 0x3fb8aa3b, v157
	ds_load_2addr_b32 v[157:158], v142 offset0:238 offset1:255
	v_sub_f32_e32 v142, v159, v129
	v_dual_sub_f32 v153, v160, v129 :: v_dual_fmac_f32 v130, v166, v154
	v_mul_f32_e32 v159, 0x3fb8aa3b, v161
	v_exp_f32_e32 v161, v167
	s_delay_alu instid0(VALU_DEP_2)
	v_dual_mul_f32 v142, 0x3fb8aa3b, v142 :: v_dual_mul_f32 v153, 0x3fb8aa3b, v153
	s_waitcnt lgkmcnt(0)
	s_barrier
	buffer_gl0_inv
	v_exp_f32_e32 v142, v142
	v_exp_f32_e32 v153, v153
	v_fmac_f32_e32 v130, v161, v155
	v_exp_f32_e32 v159, v159
	s_waitcnt_depctr 0xfff
	v_fmac_f32_e32 v130, v159, v156
	s_delay_alu instid0(VALU_DEP_1) | instskip(NEXT) | instid1(VALU_DEP_1)
	v_fmac_f32_e32 v130, v142, v157
	v_fmac_f32_e32 v130, v153, v158
	s_delay_alu instid0(VALU_DEP_1) | instskip(NEXT) | instid1(VALU_DEP_1)
	v_add_f32_e32 v154, 0x358637bd, v130
	v_div_scale_f32 v155, null, v154, v154, 1.0
	v_div_scale_f32 v158, vcc_lo, 1.0, v154, 1.0
	s_delay_alu instid0(VALU_DEP_2) | instskip(SKIP_2) | instid1(VALU_DEP_1)
	v_rcp_f32_e32 v156, v155
	s_waitcnt_depctr 0xfff
	v_fma_f32 v157, -v155, v156, 1.0
	v_fmac_f32_e32 v156, v157, v156
	v_cndmask_b32_e64 v157, v164, v163, s3
	v_cmp_eq_u32_e64 s3, 2, v141
	s_delay_alu instid0(VALU_DEP_3) | instskip(NEXT) | instid1(VALU_DEP_2)
	v_mul_f32_e32 v160, v158, v156
	v_cndmask_b32_e64 v157, v157, v165, s3
	v_cmp_eq_u32_e64 s3, 3, v141
	s_delay_alu instid0(VALU_DEP_3) | instskip(NEXT) | instid1(VALU_DEP_2)
	v_fma_f32 v162, -v155, v160, v158
	v_cndmask_b32_e64 v157, v157, v166, s3
	v_cmp_eq_u32_e64 s3, 4, v141
	s_delay_alu instid0(VALU_DEP_3) | instskip(NEXT) | instid1(VALU_DEP_2)
	v_fmac_f32_e32 v160, v162, v156
	v_cndmask_b32_e64 v157, v157, v161, s3
	s_delay_alu instid0(VALU_DEP_2) | instskip(SKIP_1) | instid1(VALU_DEP_2)
	v_fma_f32 v155, -v155, v160, v158
	v_cmp_eq_u32_e64 s3, 5, v141
	v_div_fmas_f32 v155, v155, v156, v160
	s_delay_alu instid0(VALU_DEP_2) | instskip(SKIP_2) | instid1(VALU_DEP_3)
	v_cndmask_b32_e64 v157, v157, v159, s3
	v_cmp_eq_u32_e32 vcc_lo, 6, v141
	s_mov_b32 s3, exec_lo
	v_div_fixup_f32 v154, v155, v154, 1.0
	s_delay_alu instid0(VALU_DEP_3) | instskip(SKIP_1) | instid1(VALU_DEP_2)
	v_cndmask_b32_e32 v142, v157, v142, vcc_lo
	v_cmp_eq_u32_e32 vcc_lo, 7, v141
	v_cndmask_b32_e32 v142, v142, v153, vcc_lo
	s_delay_alu instid0(VALU_DEP_1) | instskip(NEXT) | instid1(VALU_DEP_1)
	v_mul_f32_e32 v142, v142, v154
	v_mul_f32_e32 v153, v142, v149
	;; [unrolled: 1-line block ×7, first 2 shown]
	v_dual_mul_f32 v150, v142, v147 :: v_dual_and_b32 v155, 0x7f800000, v154
	v_mul_f32_e32 v149, v142, v146
                                        ; implicit-def: $vgpr146
	s_delay_alu instid0(VALU_DEP_2)
	v_cmpx_ne_u32_e32 0x7f800000, v155
	s_xor_b32 s3, exec_lo, s3
; %bb.13:
	v_bfe_u32 v146, v154, 16, 1
	s_delay_alu instid0(VALU_DEP_1)
	v_add3_u32 v146, v154, v146, 0x7fff
                                        ; implicit-def: $vgpr154
; %bb.14:
	s_and_not1_saveexec_b32 s3, s3
; %bb.15:
	v_and_b32_e32 v146, 0xffff, v154
	v_or_b32_e32 v147, 0x10000, v154
	s_delay_alu instid0(VALU_DEP_2) | instskip(NEXT) | instid1(VALU_DEP_2)
	v_cmp_eq_u32_e32 vcc_lo, 0, v146
	v_cndmask_b32_e32 v146, v147, v154, vcc_lo
; %bb.16:
	s_or_b32 exec_lo, exec_lo, s3
	v_and_b32_e32 v147, 0x7f800000, v149
	s_delay_alu instid0(VALU_DEP_1) | instskip(SKIP_1) | instid1(SALU_CYCLE_1)
	v_cmp_ne_u32_e32 vcc_lo, 0x7f800000, v147
                                        ; implicit-def: $vgpr147
	s_and_saveexec_b32 s3, vcc_lo
	s_xor_b32 s3, exec_lo, s3
; %bb.17:
	v_bfe_u32 v147, v149, 16, 1
	s_delay_alu instid0(VALU_DEP_1)
	v_add3_u32 v147, v149, v147, 0x7fff
                                        ; implicit-def: $vgpr149
; %bb.18:
	s_and_not1_saveexec_b32 s3, s3
; %bb.19:
	v_and_b32_e32 v147, 0xffff, v149
	v_or_b32_e32 v154, 0x10000, v149
	s_delay_alu instid0(VALU_DEP_2) | instskip(NEXT) | instid1(VALU_DEP_2)
	v_cmp_eq_u32_e32 vcc_lo, 0, v147
	v_cndmask_b32_e32 v147, v154, v149, vcc_lo
; %bb.20:
	s_or_b32 exec_lo, exec_lo, s3
	v_and_b32_e32 v149, 0x7f800000, v150
	s_delay_alu instid0(VALU_DEP_1) | instskip(SKIP_1) | instid1(SALU_CYCLE_1)
	v_cmp_ne_u32_e32 vcc_lo, 0x7f800000, v149
                                        ; implicit-def: $vgpr149
	s_and_saveexec_b32 s3, vcc_lo
	s_xor_b32 s3, exec_lo, s3
; %bb.21:
	v_bfe_u32 v149, v150, 16, 1
	s_delay_alu instid0(VALU_DEP_1)
	v_add3_u32 v149, v150, v149, 0x7fff
                                        ; implicit-def: $vgpr150
; %bb.22:
	s_and_not1_saveexec_b32 s3, s3
; %bb.23:
	v_and_b32_e32 v149, 0xffff, v150
	v_or_b32_e32 v154, 0x10000, v150
	s_delay_alu instid0(VALU_DEP_2) | instskip(NEXT) | instid1(VALU_DEP_2)
	v_cmp_eq_u32_e32 vcc_lo, 0, v149
	v_cndmask_b32_e32 v149, v154, v150, vcc_lo
; %bb.24:
	s_or_b32 exec_lo, exec_lo, s3
	v_and_b32_e32 v150, 0x7f800000, v153
	s_delay_alu instid0(VALU_DEP_1) | instskip(SKIP_1) | instid1(SALU_CYCLE_1)
	v_cmp_ne_u32_e32 vcc_lo, 0x7f800000, v150
                                        ; implicit-def: $vgpr150
	s_and_saveexec_b32 s3, vcc_lo
	s_xor_b32 s3, exec_lo, s3
; %bb.25:
	v_bfe_u32 v150, v153, 16, 1
	s_delay_alu instid0(VALU_DEP_1)
	v_add3_u32 v150, v153, v150, 0x7fff
                                        ; implicit-def: $vgpr153
; %bb.26:
	s_and_not1_saveexec_b32 s3, s3
; %bb.27:
	v_and_b32_e32 v150, 0xffff, v153
	v_or_b32_e32 v154, 0x10000, v153
	s_delay_alu instid0(VALU_DEP_2) | instskip(NEXT) | instid1(VALU_DEP_2)
	v_cmp_eq_u32_e32 vcc_lo, 0, v150
	v_cndmask_b32_e32 v150, v154, v153, vcc_lo
; %bb.28:
	s_or_b32 exec_lo, exec_lo, s3
	v_and_b32_e32 v153, 0x7f800000, v152
	s_delay_alu instid0(VALU_DEP_1) | instskip(SKIP_1) | instid1(SALU_CYCLE_1)
	v_cmp_ne_u32_e32 vcc_lo, 0x7f800000, v153
                                        ; implicit-def: $vgpr153
	s_and_saveexec_b32 s3, vcc_lo
	s_xor_b32 s3, exec_lo, s3
; %bb.29:
	v_bfe_u32 v153, v152, 16, 1
	s_delay_alu instid0(VALU_DEP_1)
	v_add3_u32 v153, v152, v153, 0x7fff
                                        ; implicit-def: $vgpr152
; %bb.30:
	s_and_not1_saveexec_b32 s3, s3
; %bb.31:
	v_and_b32_e32 v153, 0xffff, v152
	v_or_b32_e32 v154, 0x10000, v152
	s_delay_alu instid0(VALU_DEP_2) | instskip(NEXT) | instid1(VALU_DEP_2)
	v_cmp_eq_u32_e32 vcc_lo, 0, v153
	v_cndmask_b32_e32 v153, v154, v152, vcc_lo
; %bb.32:
	s_or_b32 exec_lo, exec_lo, s3
	v_and_b32_e32 v152, 0x7f800000, v151
	s_delay_alu instid0(VALU_DEP_1) | instskip(SKIP_1) | instid1(SALU_CYCLE_1)
	v_cmp_ne_u32_e32 vcc_lo, 0x7f800000, v152
                                        ; implicit-def: $vgpr152
	s_and_saveexec_b32 s3, vcc_lo
	s_xor_b32 s3, exec_lo, s3
; %bb.33:
	v_bfe_u32 v152, v151, 16, 1
	s_delay_alu instid0(VALU_DEP_1)
	v_add3_u32 v152, v151, v152, 0x7fff
                                        ; implicit-def: $vgpr151
; %bb.34:
	s_and_not1_saveexec_b32 s3, s3
; %bb.35:
	v_and_b32_e32 v152, 0xffff, v151
	v_or_b32_e32 v154, 0x10000, v151
	s_delay_alu instid0(VALU_DEP_2) | instskip(NEXT) | instid1(VALU_DEP_2)
	v_cmp_eq_u32_e32 vcc_lo, 0, v152
	v_cndmask_b32_e32 v152, v154, v151, vcc_lo
; %bb.36:
	s_or_b32 exec_lo, exec_lo, s3
	v_and_b32_e32 v151, 0x7f800000, v148
	s_delay_alu instid0(VALU_DEP_1) | instskip(SKIP_1) | instid1(SALU_CYCLE_1)
	v_cmp_ne_u32_e32 vcc_lo, 0x7f800000, v151
                                        ; implicit-def: $vgpr151
	s_and_saveexec_b32 s3, vcc_lo
	s_xor_b32 s3, exec_lo, s3
; %bb.37:
	v_bfe_u32 v151, v148, 16, 1
	s_delay_alu instid0(VALU_DEP_1)
	v_add3_u32 v151, v148, v151, 0x7fff
                                        ; implicit-def: $vgpr148
; %bb.38:
	s_and_not1_saveexec_b32 s3, s3
; %bb.39:
	v_and_b32_e32 v151, 0xffff, v148
	v_or_b32_e32 v154, 0x10000, v148
	s_delay_alu instid0(VALU_DEP_2) | instskip(NEXT) | instid1(VALU_DEP_2)
	v_cmp_eq_u32_e32 vcc_lo, 0, v151
	v_cndmask_b32_e32 v151, v154, v148, vcc_lo
; %bb.40:
	s_or_b32 exec_lo, exec_lo, s3
	v_and_b32_e32 v148, 0x7f800000, v144
	s_delay_alu instid0(VALU_DEP_1) | instskip(SKIP_1) | instid1(SALU_CYCLE_1)
	v_cmp_ne_u32_e32 vcc_lo, 0x7f800000, v148
                                        ; implicit-def: $vgpr148
	s_and_saveexec_b32 s3, vcc_lo
	s_xor_b32 s3, exec_lo, s3
; %bb.41:
	v_bfe_u32 v148, v144, 16, 1
	s_delay_alu instid0(VALU_DEP_1)
	v_add3_u32 v148, v144, v148, 0x7fff
                                        ; implicit-def: $vgpr144
; %bb.42:
	s_and_not1_saveexec_b32 s3, s3
; %bb.43:
	v_and_b32_e32 v148, 0xffff, v144
	v_or_b32_e32 v154, 0x10000, v144
	s_delay_alu instid0(VALU_DEP_2) | instskip(NEXT) | instid1(VALU_DEP_2)
	v_cmp_eq_u32_e32 vcc_lo, 0, v148
	v_cndmask_b32_e32 v148, v154, v144, vcc_lo
; %bb.44:
	s_or_b32 exec_lo, exec_lo, s3
	s_load_b64 s[34:35], s[0:1], 0x94
	v_lshlrev_b32_e32 v155, 4, v138
	s_delay_alu instid0(VALU_DEP_2)
	v_perm_b32 v154, v148, v151, 0x7060302
	v_mul_f32_e32 v148, v142, v131
	v_dual_mul_f32 v145, v142, v145 :: v_dual_lshlrev_b32 v144, 6, v140
	v_dual_mul_f32 v143, v142, v143 :: v_dual_lshlrev_b32 v156, 11, v141
	v_perm_b32 v153, v152, v153, 0x7060302
	v_perm_b32 v152, v150, v149, 0x7060302
	;; [unrolled: 1-line block ×3, first 2 shown]
	s_delay_alu instid0(VALU_DEP_4)
	v_or3_b32 v131, v155, v156, v144
	v_mul_f32_e32 v136, v142, v136
	v_dual_mul_f32 v146, v142, v134 :: v_dual_and_b32 v149, 0x7f800000, v148
	v_mul_f32_e32 v135, v142, v135
	v_mul_f32_e32 v147, v142, v133
	;; [unrolled: 1-line block ×3, first 2 shown]
	s_mov_b32 s3, exec_lo
	ds_store_b128 v131, v[151:154]
                                        ; implicit-def: $vgpr132
	v_cmpx_ne_u32_e32 0x7f800000, v149
	s_xor_b32 s3, exec_lo, s3
; %bb.45:
	v_bfe_u32 v132, v148, 16, 1
	s_delay_alu instid0(VALU_DEP_1)
	v_add3_u32 v132, v148, v132, 0x7fff
                                        ; implicit-def: $vgpr148
; %bb.46:
	s_and_not1_saveexec_b32 s3, s3
; %bb.47:
	v_and_b32_e32 v132, 0xffff, v148
	v_or_b32_e32 v133, 0x10000, v148
	s_delay_alu instid0(VALU_DEP_2) | instskip(NEXT) | instid1(VALU_DEP_2)
	v_cmp_eq_u32_e32 vcc_lo, 0, v132
	v_cndmask_b32_e32 v132, v133, v148, vcc_lo
; %bb.48:
	s_or_b32 exec_lo, exec_lo, s3
	v_and_b32_e32 v133, 0x7f800000, v134
	s_delay_alu instid0(VALU_DEP_1) | instskip(SKIP_1) | instid1(SALU_CYCLE_1)
	v_cmp_ne_u32_e32 vcc_lo, 0x7f800000, v133
                                        ; implicit-def: $vgpr133
	s_and_saveexec_b32 s3, vcc_lo
	s_xor_b32 s3, exec_lo, s3
; %bb.49:
	v_bfe_u32 v133, v134, 16, 1
	s_delay_alu instid0(VALU_DEP_1)
	v_add3_u32 v133, v134, v133, 0x7fff
                                        ; implicit-def: $vgpr134
; %bb.50:
	s_and_not1_saveexec_b32 s3, s3
; %bb.51:
	v_and_b32_e32 v133, 0xffff, v134
	v_or_b32_e32 v142, 0x10000, v134
	s_delay_alu instid0(VALU_DEP_2) | instskip(NEXT) | instid1(VALU_DEP_2)
	v_cmp_eq_u32_e32 vcc_lo, 0, v133
	v_cndmask_b32_e32 v133, v142, v134, vcc_lo
; %bb.52:
	s_or_b32 exec_lo, exec_lo, s3
	v_and_b32_e32 v134, 0x7f800000, v147
	s_delay_alu instid0(VALU_DEP_1) | instskip(SKIP_1) | instid1(SALU_CYCLE_1)
	v_cmp_ne_u32_e32 vcc_lo, 0x7f800000, v134
                                        ; implicit-def: $vgpr134
	s_and_saveexec_b32 s3, vcc_lo
	s_xor_b32 s3, exec_lo, s3
; %bb.53:
	v_bfe_u32 v134, v147, 16, 1
	s_delay_alu instid0(VALU_DEP_1)
	v_add3_u32 v134, v147, v134, 0x7fff
                                        ; implicit-def: $vgpr147
; %bb.54:
	s_and_not1_saveexec_b32 s3, s3
; %bb.55:
	v_and_b32_e32 v134, 0xffff, v147
	v_or_b32_e32 v142, 0x10000, v147
	s_delay_alu instid0(VALU_DEP_2) | instskip(NEXT) | instid1(VALU_DEP_2)
	v_cmp_eq_u32_e32 vcc_lo, 0, v134
	v_cndmask_b32_e32 v134, v142, v147, vcc_lo
; %bb.56:
	s_or_b32 exec_lo, exec_lo, s3
	v_and_b32_e32 v142, 0x7f800000, v146
	s_delay_alu instid0(VALU_DEP_1) | instskip(SKIP_1) | instid1(SALU_CYCLE_1)
	v_cmp_ne_u32_e32 vcc_lo, 0x7f800000, v142
                                        ; implicit-def: $vgpr142
	s_and_saveexec_b32 s3, vcc_lo
	s_xor_b32 s3, exec_lo, s3
; %bb.57:
	v_bfe_u32 v142, v146, 16, 1
	s_delay_alu instid0(VALU_DEP_1)
	v_add3_u32 v142, v146, v142, 0x7fff
                                        ; implicit-def: $vgpr146
; %bb.58:
	s_and_not1_saveexec_b32 s3, s3
; %bb.59:
	v_and_b32_e32 v142, 0xffff, v146
	v_or_b32_e32 v147, 0x10000, v146
	s_delay_alu instid0(VALU_DEP_2) | instskip(NEXT) | instid1(VALU_DEP_2)
	v_cmp_eq_u32_e32 vcc_lo, 0, v142
	v_cndmask_b32_e32 v142, v147, v146, vcc_lo
; %bb.60:
	s_or_b32 exec_lo, exec_lo, s3
	v_and_b32_e32 v146, 0x7f800000, v135
	s_delay_alu instid0(VALU_DEP_1) | instskip(SKIP_1) | instid1(SALU_CYCLE_1)
	v_cmp_ne_u32_e32 vcc_lo, 0x7f800000, v146
                                        ; implicit-def: $vgpr146
	s_and_saveexec_b32 s3, vcc_lo
	s_xor_b32 s3, exec_lo, s3
; %bb.61:
	v_bfe_u32 v146, v135, 16, 1
	s_delay_alu instid0(VALU_DEP_1)
	v_add3_u32 v146, v135, v146, 0x7fff
                                        ; implicit-def: $vgpr135
; %bb.62:
	s_and_not1_saveexec_b32 s3, s3
; %bb.63:
	v_and_b32_e32 v146, 0xffff, v135
	v_or_b32_e32 v147, 0x10000, v135
	s_delay_alu instid0(VALU_DEP_2) | instskip(NEXT) | instid1(VALU_DEP_2)
	v_cmp_eq_u32_e32 vcc_lo, 0, v146
	v_cndmask_b32_e32 v146, v147, v135, vcc_lo
; %bb.64:
	s_or_b32 exec_lo, exec_lo, s3
	v_and_b32_e32 v135, 0x7f800000, v136
	s_delay_alu instid0(VALU_DEP_1) | instskip(SKIP_1) | instid1(SALU_CYCLE_1)
	v_cmp_ne_u32_e32 vcc_lo, 0x7f800000, v135
                                        ; implicit-def: $vgpr135
	s_and_saveexec_b32 s3, vcc_lo
	s_xor_b32 s3, exec_lo, s3
; %bb.65:
	v_bfe_u32 v135, v136, 16, 1
	s_delay_alu instid0(VALU_DEP_1)
	v_add3_u32 v135, v136, v135, 0x7fff
                                        ; implicit-def: $vgpr136
; %bb.66:
	s_and_not1_saveexec_b32 s3, s3
; %bb.67:
	v_and_b32_e32 v135, 0xffff, v136
	v_or_b32_e32 v147, 0x10000, v136
	s_delay_alu instid0(VALU_DEP_2) | instskip(NEXT) | instid1(VALU_DEP_2)
	v_cmp_eq_u32_e32 vcc_lo, 0, v135
	v_cndmask_b32_e32 v135, v147, v136, vcc_lo
; %bb.68:
	s_or_b32 exec_lo, exec_lo, s3
	v_and_b32_e32 v136, 0x7f800000, v143
	s_delay_alu instid0(VALU_DEP_1) | instskip(SKIP_1) | instid1(SALU_CYCLE_1)
	v_cmp_ne_u32_e32 vcc_lo, 0x7f800000, v136
                                        ; implicit-def: $vgpr136
	s_and_saveexec_b32 s3, vcc_lo
	s_xor_b32 s3, exec_lo, s3
; %bb.69:
	v_bfe_u32 v136, v143, 16, 1
	s_delay_alu instid0(VALU_DEP_1)
	v_add3_u32 v136, v143, v136, 0x7fff
                                        ; implicit-def: $vgpr143
; %bb.70:
	s_and_not1_saveexec_b32 s3, s3
; %bb.71:
	v_and_b32_e32 v136, 0xffff, v143
	v_or_b32_e32 v147, 0x10000, v143
	s_delay_alu instid0(VALU_DEP_2) | instskip(NEXT) | instid1(VALU_DEP_2)
	v_cmp_eq_u32_e32 vcc_lo, 0, v136
	v_cndmask_b32_e32 v136, v147, v143, vcc_lo
; %bb.72:
	s_or_b32 exec_lo, exec_lo, s3
	v_and_b32_e32 v143, 0x7f800000, v145
	s_delay_alu instid0(VALU_DEP_1) | instskip(SKIP_1) | instid1(SALU_CYCLE_1)
	v_cmp_ne_u32_e32 vcc_lo, 0x7f800000, v143
                                        ; implicit-def: $vgpr143
	s_and_saveexec_b32 s3, vcc_lo
	s_xor_b32 s3, exec_lo, s3
; %bb.73:
	v_bfe_u32 v143, v145, 16, 1
	s_delay_alu instid0(VALU_DEP_1)
	v_add3_u32 v143, v145, v143, 0x7fff
                                        ; implicit-def: $vgpr145
; %bb.74:
	s_and_not1_saveexec_b32 s3, s3
; %bb.75:
	v_and_b32_e32 v143, 0xffff, v145
	v_or_b32_e32 v147, 0x10000, v145
	s_delay_alu instid0(VALU_DEP_2) | instskip(NEXT) | instid1(VALU_DEP_2)
	v_cmp_eq_u32_e32 vcc_lo, 0, v143
	v_cndmask_b32_e32 v143, v147, v145, vcc_lo
; %bb.76:
	s_or_b32 exec_lo, exec_lo, s3
	s_delay_alu instid0(VALU_DEP_1)
	v_perm_b32 v136, v143, v136, 0x7060302
	v_perm_b32 v135, v135, v146, 0x7060302
	;; [unrolled: 1-line block ×4, first 2 shown]
	v_lshl_or_b32 v145, v141, 11, v144
	v_lshlrev_b32_e32 v142, 2, v138
	ds_store_b128 v131, v[133:136] offset:1024
	s_waitcnt lgkmcnt(0)
	s_barrier
	buffer_gl0_inv
	ds_load_b128 v[132:135], v145
	ds_load_b128 v[147:150], v145 offset:16
	v_or_b32_e32 v143, 1, v142
	v_cmp_eq_u32_e64 s12, 1, v142
	v_cmp_eq_u32_e64 s11, 2, v142
	;; [unrolled: 1-line block ×3, first 2 shown]
	v_or_b32_e32 v141, 2, v142
	v_cmp_eq_u32_e64 s7, 1, v143
	v_cmp_eq_u32_e64 s6, 2, v143
	;; [unrolled: 1-line block ×8, first 2 shown]
	v_cmp_eq_u32_e32 vcc_lo, 5, v143
	v_cmp_eq_u32_e64 s10, 2, v141
	v_cmp_eq_u32_e64 s4, 6, v143
	;; [unrolled: 1-line block ×4, first 2 shown]
	s_waitcnt lgkmcnt(1)
	v_lshrrev_b32_e32 v136, 16, v132
	s_waitcnt lgkmcnt(0)
	v_lshrrev_b32_e32 v155, 16, v147
	v_lshrrev_b32_e32 v161, 16, v148
	v_lshrrev_b32_e32 v159, 16, v133
	v_lshrrev_b32_e32 v163, 16, v149
	v_cndmask_b32_e64 v146, v132, v136, s12
	v_cndmask_b32_e64 v151, v147, v155, s12
	;; [unrolled: 1-line block ×4, first 2 shown]
	v_lshrrev_b32_e32 v160, 16, v134
	v_cndmask_b32_e64 v146, v146, v133, s11
	v_cndmask_b32_e64 v151, v151, v148, s11
	;; [unrolled: 1-line block ×8, first 2 shown]
	v_lshrrev_b32_e32 v164, 16, v150
	v_cndmask_b32_e64 v153, v153, v161, s5
	v_cndmask_b32_e64 v146, v146, v134, s17
	v_cndmask_b32_e64 v151, v151, v149, s17
	v_cndmask_b32_e64 v152, v152, v134, s3
	v_cndmask_b32_e64 v154, v154, v133, s10
	v_lshrrev_b32_e32 v162, 16, v135
	v_cndmask_b32_e64 v146, v146, v160, s13
	v_cndmask_b32_e64 v151, v151, v163, s13
	v_cndmask_b32_e32 v152, v152, v160, vcc_lo
	v_cndmask_b32_e64 v153, v153, v149, s3
	v_cmp_eq_u32_e64 s19, 7, v143
	v_cndmask_b32_e64 v146, v146, v135, s15
	v_cndmask_b32_e64 v151, v151, v150, s15
	;; [unrolled: 1-line block ×4, first 2 shown]
	v_cmp_eq_u32_e64 s20, 4, v141
	v_cndmask_b32_e64 v165, v146, v162, s9
	v_cndmask_b32_e64 v166, v151, v164, s9
	v_cndmask_b32_e64 v151, v147, v155, s8
	v_or_b32_e32 v146, 3, v142
	v_cndmask_b32_e64 v167, v152, v162, s19
	v_cndmask_b32_e32 v156, v153, v163, vcc_lo
	v_cndmask_b32_e64 v158, v154, v134, s20
	v_cndmask_b32_e64 v157, v151, v148, s10
	ds_load_b128 v[151:154], v145 offset:1024
	v_cmp_eq_u32_e64 s21, 1, v146
	v_cmp_eq_u32_e64 s22, 5, v141
	;; [unrolled: 1-line block ×3, first 2 shown]
	v_cndmask_b32_e64 v157, v157, v161, s18
	v_cmp_eq_u32_e64 s24, 3, v146
	v_cndmask_b32_e64 v132, v132, v136, s21
	v_cndmask_b32_e64 v136, v156, v150, s4
	;; [unrolled: 1-line block ×5, first 2 shown]
	ds_load_b128 v[155:158], v145 offset:1040
	v_cndmask_b32_e64 v132, v132, v133, s23
	v_cmp_eq_u32_e64 s26, 4, v146
	v_cmp_eq_u32_e64 s28, 5, v146
	v_cndmask_b32_e64 v147, v147, v148, s23
	v_cmp_eq_u32_e64 s25, 6, v141
	v_cndmask_b32_e64 v132, v132, v159, s24
	;; [unrolled: 2-line block ×3, first 2 shown]
	v_cndmask_b32_e64 v147, v147, v161, s24
	s_waitcnt lgkmcnt(1)
	v_lshrrev_b32_e32 v159, 16, v151
	v_cndmask_b32_e64 v132, v132, v134, s26
	v_cndmask_b32_e64 v148, v168, v135, s25
	;; [unrolled: 1-line block ×6, first 2 shown]
	v_lshrrev_b32_e32 v160, 16, v152
	v_cndmask_b32_e64 v161, v151, v159, s7
	v_cndmask_b32_e64 v134, v134, v163, s28
	s_waitcnt lgkmcnt(0)
	v_lshrrev_b32_e32 v149, 16, v155
	v_cndmask_b32_e64 v147, v147, v152, s11
	v_cndmask_b32_e64 v132, v132, v135, s29
	v_cmp_eq_u32_e64 s27, 7, v141
	v_cndmask_b32_e64 v134, v134, v150, s29
	v_cndmask_b32_e64 v163, v155, v149, s12
	v_cndmask_b32_e64 v135, v147, v160, s16
	v_cndmask_b32_e64 v147, v161, v152, s6
	v_lshrrev_b32_e32 v161, 16, v156
	v_cndmask_b32_e64 v136, v136, v164, s19
	v_cndmask_b32_e64 v150, v163, v156, s11
	v_cmp_eq_u32_e64 s11, 7, v146
	v_cndmask_b32_e64 v147, v147, v160, s5
	v_cndmask_b32_e64 v135, v135, v153, s17
	v_lshrrev_b32_e32 v163, 16, v153
	v_cndmask_b32_e64 v150, v150, v161, s16
	v_cndmask_b32_e64 v132, v132, v162, s11
	;; [unrolled: 1-line block ×8, first 2 shown]
	v_lshrrev_b32_e32 v164, 16, v157
	v_perm_b32 v135, v134, v132, 0x5040100
	v_cndmask_b32_e32 v132, v147, v163, vcc_lo
	v_cndmask_b32_e64 v147, v162, v154, s15
	v_lshrrev_b32_e32 v162, 16, v154
	v_cndmask_b32_e64 v150, v150, v164, s13
	v_perm_b32 v134, v133, v148, 0x5040100
	v_cndmask_b32_e64 v132, v132, v154, s4
	v_perm_b32 v133, v136, v167, 0x5040100
	v_cndmask_b32_e64 v136, v147, v162, s9
	v_cndmask_b32_e64 v147, v150, v158, s15
	;; [unrolled: 1-line block ×27, first 2 shown]
	v_cndmask_b32_e32 v149, v149, v164, vcc_lo
	v_lshrrev_b32_e32 v148, 16, v158
	v_cndmask_b32_e64 v132, v132, v154, s25
	v_cndmask_b32_e64 v150, v150, v154, s29
	;; [unrolled: 1-line block ×11, first 2 shown]
	v_perm_b32 v132, v166, v165, 0x5040100
	v_perm_b32 v150, v151, v150, 0x5040100
	;; [unrolled: 1-line block ×5, first 2 shown]
	s_mul_i32 s8, s35, 13
	s_mov_b32 s3, exec_lo
	ds_store_b128 v131, v[132:135]
	ds_store_b128 v131, v[147:150] offset:1024
	v_cmpx_gt_u32_e32 13, v0
	s_cbranch_execz .LBB682_78
; %bb.77:
	s_mul_i32 s4, s8, s30
	s_delay_alu instid0(SALU_CYCLE_1) | instskip(SKIP_1) | instid1(VALU_DEP_1)
	v_add3_u32 v133, s4, s31, v140
	s_load_b128 s[4:7], s[0:1], 0x58
	v_mad_u64_u32 v[131:132], null, v133, s34, s[14:15]
	s_delay_alu instid0(VALU_DEP_1) | instskip(NEXT) | instid1(VALU_DEP_1)
	v_ashrrev_i32_e32 v132, 31, v131
	v_lshlrev_b64 v[131:132], 2, v[131:132]
	s_waitcnt lgkmcnt(0)
	s_delay_alu instid0(VALU_DEP_1) | instskip(NEXT) | instid1(VALU_DEP_2)
	v_add_co_u32 v133, vcc_lo, s6, v131
	v_add_co_ci_u32_e32 v134, vcc_lo, s7, v132, vcc_lo
	v_add_co_u32 v131, vcc_lo, s4, v131
	v_add_co_ci_u32_e32 v132, vcc_lo, s5, v132, vcc_lo
	global_store_b32 v[133:134], v129, off
	global_store_b32 v[131:132], v130, off
.LBB682_78:
	s_or_b32 exec_lo, exec_lo, s3
	s_waitcnt lgkmcnt(0)
	s_waitcnt_vscnt null, 0x0
	s_barrier
	buffer_gl0_inv
	ds_load_b128 v[147:150], v144
	ds_load_b128 v[151:154], v144 offset:16
	ds_load_b128 v[159:162], v144 offset:1040
	;; [unrolled: 1-line block ×3, first 2 shown]
	v_mov_b32_e32 v129, 0
	ds_load_b128 v[167:170], v144 offset:2064
	ds_load_b128 v[163:166], v144 offset:2048
	;; [unrolled: 1-line block ×6, first 2 shown]
	v_mov_b32_e32 v130, v129
	v_mov_b32_e32 v131, v129
	;; [unrolled: 1-line block ×7, first 2 shown]
	s_waitcnt lgkmcnt(8)
	s_delay_alu instid0(VALU_DEP_1)
	v_wmma_f32_16x16x16_bf16 v[129:136], v[121:128], v[147:154], v[129:136]
	ds_load_b128 v[125:128], v144 offset:5136
	ds_load_b128 v[121:124], v144 offset:5120
	s_waitcnt lgkmcnt(8)
	v_wmma_f32_16x16x16_bf16 v[129:136], v[113:120], v[155:162], v[129:136]
	ds_load_b128 v[117:120], v144 offset:6160
	ds_load_b128 v[113:116], v144 offset:6144
	s_waitcnt lgkmcnt(8)
	;; [unrolled: 4-line block ×8, first 2 shown]
	v_wmma_f32_16x16x16_bf16 v[129:136], v[65:72], v[97:104], v[129:136]
	s_waitcnt lgkmcnt(6)
	s_delay_alu instid0(VALU_DEP_1)
	v_wmma_f32_16x16x16_bf16 v[129:136], v[49:56], v[89:96], v[129:136]
	ds_load_b128 v[53:56], v144 offset:13328
	ds_load_b128 v[49:52], v144 offset:13312
	s_waitcnt lgkmcnt(6)
	v_wmma_f32_16x16x16_bf16 v[129:136], v[41:48], v[81:88], v[129:136]
	ds_load_b128 v[45:48], v144 offset:14352
	ds_load_b128 v[41:44], v144 offset:14336
	s_waitcnt lgkmcnt(6)
	;; [unrolled: 4-line block ×3, first 2 shown]
	v_wmma_f32_16x16x16_bf16 v[129:136], v[1:8], v[57:64], v[129:136]
	s_waitcnt lgkmcnt(4)
	s_delay_alu instid0(VALU_DEP_1) | instskip(SKIP_1) | instid1(VALU_DEP_1)
	v_wmma_f32_16x16x16_bf16 v[129:136], v[25:32], v[49:56], v[129:136]
	s_waitcnt lgkmcnt(2)
	v_wmma_f32_16x16x16_bf16 v[129:136], v[33:40], v[41:48], v[129:136]
	s_waitcnt lgkmcnt(0)
	s_delay_alu instid0(VALU_DEP_1) | instskip(NEXT) | instid1(VALU_DEP_1)
	v_wmma_f32_16x16x16_bf16 v[129:136], v[9:16], v[17:24], v[129:136]
	v_and_b32_e32 v1, 0x7f800000, v129
	s_delay_alu instid0(VALU_DEP_1) | instskip(SKIP_1) | instid1(SALU_CYCLE_1)
	v_cmp_ne_u32_e32 vcc_lo, 0x7f800000, v1
                                        ; implicit-def: $vgpr1
	s_and_saveexec_b32 s3, vcc_lo
	s_xor_b32 s3, exec_lo, s3
; %bb.79:
	v_bfe_u32 v1, v129, 16, 1
	s_delay_alu instid0(VALU_DEP_1)
	v_add3_u32 v1, v129, v1, 0x7fff
; %bb.80:
	s_and_not1_saveexec_b32 s3, s3
; %bb.81:
	v_and_b32_e32 v1, 0xffff, v129
	v_or_b32_e32 v2, 0x10000, v129
	s_delay_alu instid0(VALU_DEP_2) | instskip(NEXT) | instid1(VALU_DEP_2)
	v_cmp_eq_u32_e32 vcc_lo, 0, v1
	v_cndmask_b32_e32 v1, v2, v129, vcc_lo
; %bb.82:
	s_or_b32 exec_lo, exec_lo, s3
	v_and_b32_e32 v2, 0x7f800000, v130
	s_delay_alu instid0(VALU_DEP_1) | instskip(SKIP_1) | instid1(SALU_CYCLE_1)
	v_cmp_ne_u32_e32 vcc_lo, 0x7f800000, v2
                                        ; implicit-def: $vgpr2
	s_and_saveexec_b32 s3, vcc_lo
	s_xor_b32 s3, exec_lo, s3
; %bb.83:
	v_bfe_u32 v2, v130, 16, 1
	s_delay_alu instid0(VALU_DEP_1)
	v_add3_u32 v2, v130, v2, 0x7fff
; %bb.84:
	s_and_not1_saveexec_b32 s3, s3
; %bb.85:
	v_and_b32_e32 v2, 0xffff, v130
	v_or_b32_e32 v3, 0x10000, v130
	s_delay_alu instid0(VALU_DEP_2) | instskip(NEXT) | instid1(VALU_DEP_2)
	v_cmp_eq_u32_e32 vcc_lo, 0, v2
	v_cndmask_b32_e32 v2, v3, v130, vcc_lo
; %bb.86:
	s_or_b32 exec_lo, exec_lo, s3
	v_and_b32_e32 v3, 0x7f800000, v131
	s_delay_alu instid0(VALU_DEP_1) | instskip(SKIP_1) | instid1(SALU_CYCLE_1)
	v_cmp_ne_u32_e32 vcc_lo, 0x7f800000, v3
                                        ; implicit-def: $vgpr3
	s_and_saveexec_b32 s3, vcc_lo
	s_xor_b32 s3, exec_lo, s3
; %bb.87:
	v_bfe_u32 v3, v131, 16, 1
	s_delay_alu instid0(VALU_DEP_1)
	v_add3_u32 v3, v131, v3, 0x7fff
; %bb.88:
	s_and_not1_saveexec_b32 s3, s3
; %bb.89:
	v_and_b32_e32 v3, 0xffff, v131
	v_or_b32_e32 v4, 0x10000, v131
	s_delay_alu instid0(VALU_DEP_2) | instskip(NEXT) | instid1(VALU_DEP_2)
	v_cmp_eq_u32_e32 vcc_lo, 0, v3
	v_cndmask_b32_e32 v3, v4, v131, vcc_lo
; %bb.90:
	s_or_b32 exec_lo, exec_lo, s3
	v_and_b32_e32 v4, 0x7f800000, v132
	s_delay_alu instid0(VALU_DEP_1) | instskip(SKIP_1) | instid1(SALU_CYCLE_1)
	v_cmp_ne_u32_e32 vcc_lo, 0x7f800000, v4
                                        ; implicit-def: $vgpr4
	s_and_saveexec_b32 s3, vcc_lo
	s_xor_b32 s3, exec_lo, s3
; %bb.91:
	v_bfe_u32 v4, v132, 16, 1
	s_delay_alu instid0(VALU_DEP_1)
	v_add3_u32 v4, v132, v4, 0x7fff
; %bb.92:
	s_and_not1_saveexec_b32 s3, s3
; %bb.93:
	v_and_b32_e32 v4, 0xffff, v132
	v_or_b32_e32 v5, 0x10000, v132
	s_delay_alu instid0(VALU_DEP_2) | instskip(NEXT) | instid1(VALU_DEP_2)
	v_cmp_eq_u32_e32 vcc_lo, 0, v4
	v_cndmask_b32_e32 v4, v5, v132, vcc_lo
; %bb.94:
	s_or_b32 exec_lo, exec_lo, s3
	v_and_b32_e32 v5, 0x7f800000, v133
	s_delay_alu instid0(VALU_DEP_1) | instskip(SKIP_1) | instid1(SALU_CYCLE_1)
	v_cmp_ne_u32_e32 vcc_lo, 0x7f800000, v5
                                        ; implicit-def: $vgpr5
	s_and_saveexec_b32 s3, vcc_lo
	s_xor_b32 s3, exec_lo, s3
; %bb.95:
	v_bfe_u32 v5, v133, 16, 1
	s_delay_alu instid0(VALU_DEP_1)
	v_add3_u32 v5, v133, v5, 0x7fff
; %bb.96:
	s_and_not1_saveexec_b32 s3, s3
; %bb.97:
	v_and_b32_e32 v5, 0xffff, v133
	v_or_b32_e32 v6, 0x10000, v133
	s_delay_alu instid0(VALU_DEP_2) | instskip(NEXT) | instid1(VALU_DEP_2)
	v_cmp_eq_u32_e32 vcc_lo, 0, v5
	v_cndmask_b32_e32 v5, v6, v133, vcc_lo
; %bb.98:
	s_or_b32 exec_lo, exec_lo, s3
	v_and_b32_e32 v6, 0x7f800000, v134
	s_delay_alu instid0(VALU_DEP_1) | instskip(SKIP_1) | instid1(SALU_CYCLE_1)
	v_cmp_ne_u32_e32 vcc_lo, 0x7f800000, v6
                                        ; implicit-def: $vgpr6
	s_and_saveexec_b32 s3, vcc_lo
	s_xor_b32 s3, exec_lo, s3
; %bb.99:
	v_bfe_u32 v6, v134, 16, 1
	s_delay_alu instid0(VALU_DEP_1)
	v_add3_u32 v6, v134, v6, 0x7fff
; %bb.100:
	s_and_not1_saveexec_b32 s3, s3
; %bb.101:
	v_and_b32_e32 v6, 0xffff, v134
	v_or_b32_e32 v7, 0x10000, v134
	s_delay_alu instid0(VALU_DEP_2) | instskip(NEXT) | instid1(VALU_DEP_2)
	v_cmp_eq_u32_e32 vcc_lo, 0, v6
	v_cndmask_b32_e32 v6, v7, v134, vcc_lo
; %bb.102:
	s_or_b32 exec_lo, exec_lo, s3
	v_and_b32_e32 v7, 0x7f800000, v135
	s_delay_alu instid0(VALU_DEP_1) | instskip(SKIP_1) | instid1(SALU_CYCLE_1)
	v_cmp_ne_u32_e32 vcc_lo, 0x7f800000, v7
                                        ; implicit-def: $vgpr7
	s_and_saveexec_b32 s3, vcc_lo
	s_xor_b32 s3, exec_lo, s3
; %bb.103:
	v_bfe_u32 v7, v135, 16, 1
	s_delay_alu instid0(VALU_DEP_1)
	v_add3_u32 v7, v135, v7, 0x7fff
; %bb.104:
	s_and_not1_saveexec_b32 s3, s3
; %bb.105:
	v_and_b32_e32 v7, 0xffff, v135
	v_or_b32_e32 v8, 0x10000, v135
	s_delay_alu instid0(VALU_DEP_2) | instskip(NEXT) | instid1(VALU_DEP_2)
	v_cmp_eq_u32_e32 vcc_lo, 0, v7
	v_cndmask_b32_e32 v7, v8, v135, vcc_lo
; %bb.106:
	s_or_b32 exec_lo, exec_lo, s3
	v_and_b32_e32 v8, 0x7f800000, v136
	s_delay_alu instid0(VALU_DEP_1) | instskip(SKIP_1) | instid1(SALU_CYCLE_1)
	v_cmp_ne_u32_e32 vcc_lo, 0x7f800000, v8
                                        ; implicit-def: $vgpr8
	s_and_saveexec_b32 s3, vcc_lo
	s_xor_b32 s3, exec_lo, s3
; %bb.107:
	v_bfe_u32 v8, v136, 16, 1
	s_delay_alu instid0(VALU_DEP_1)
	v_add3_u32 v8, v136, v8, 0x7fff
                                        ; implicit-def: $vgpr129_vgpr130_vgpr131_vgpr132_vgpr133_vgpr134_vgpr135_vgpr136
; %bb.108:
	s_and_not1_saveexec_b32 s3, s3
; %bb.109:
	v_and_b32_e32 v8, 0xffff, v136
	v_or_b32_e32 v9, 0x10000, v136
	s_delay_alu instid0(VALU_DEP_2) | instskip(NEXT) | instid1(VALU_DEP_2)
	v_cmp_eq_u32_e32 vcc_lo, 0, v8
	v_cndmask_b32_e32 v8, v9, v136, vcc_lo
; %bb.110:
	s_or_b32 exec_lo, exec_lo, s3
	s_delay_alu instid0(VALU_DEP_1)
	v_perm_b32 v7, v8, v7, 0x7060302
	v_perm_b32 v6, v6, v5, 0x7060302
	;; [unrolled: 1-line block ×4, first 2 shown]
	v_lshl_or_b32 v9, v138, 4, v145
	s_barrier
	buffer_gl0_inv
	v_cmp_eq_u32_e32 vcc_lo, 1, v142
	ds_store_b128 v9, v[4:7]
	s_waitcnt lgkmcnt(0)
	s_barrier
	buffer_gl0_inv
	ds_load_b128 v[1:4], v145
	ds_load_b128 v[5:8], v145 offset:16
	v_cmp_eq_u32_e64 s4, 2, v142
	v_cmp_eq_u32_e64 s3, 1, v143
	;; [unrolled: 1-line block ×5, first 2 shown]
	s_waitcnt lgkmcnt(1)
	v_lshrrev_b32_e32 v10, 16, v1
	s_waitcnt lgkmcnt(0)
	v_lshrrev_b32_e32 v14, 16, v5
	v_lshrrev_b32_e32 v15, 16, v6
	;; [unrolled: 1-line block ×4, first 2 shown]
	v_cndmask_b32_e64 v20, v1, v10, s3
	v_cndmask_b32_e32 v19, v5, v14, vcc_lo
	v_cndmask_b32_e64 v21, v5, v14, s3
	v_lshrrev_b32_e32 v16, 16, v7
	v_cmp_eq_u32_e64 s3, 1, v141
	v_lshrrev_b32_e32 v13, 16, v4
	v_cndmask_b32_e64 v19, v19, v6, s4
	v_lshrrev_b32_e32 v17, 16, v8
	s_delay_alu instid0(VALU_DEP_4) | instskip(SKIP_1) | instid1(VALU_DEP_4)
	v_cndmask_b32_e64 v22, v1, v10, s3
	v_cndmask_b32_e64 v23, v5, v14, s3
	;; [unrolled: 1-line block ×3, first 2 shown]
	v_cndmask_b32_e32 v18, v1, v10, vcc_lo
	v_cmp_eq_u32_e32 vcc_lo, 2, v143
	v_cmp_eq_u32_e64 s3, 2, v146
	v_cndmask_b32_e64 v22, v22, v2, s7
	v_cndmask_b32_e32 v20, v20, v2, vcc_lo
	v_cndmask_b32_e32 v21, v21, v6, vcc_lo
	v_cmp_eq_u32_e32 vcc_lo, 4, v142
	v_cndmask_b32_e32 v19, v19, v7, vcc_lo
	v_cndmask_b32_e64 v18, v18, v2, s4
	v_cmp_eq_u32_e64 s4, 3, v143
	s_delay_alu instid0(VALU_DEP_2) | instskip(NEXT) | instid1(VALU_DEP_2)
	v_cndmask_b32_e64 v18, v18, v11, s5
	v_cndmask_b32_e64 v21, v21, v15, s4
	v_cmp_eq_u32_e64 s5, 5, v142
	s_delay_alu instid0(VALU_DEP_3) | instskip(SKIP_1) | instid1(VALU_DEP_3)
	v_cndmask_b32_e32 v18, v18, v3, vcc_lo
	v_cmp_eq_u32_e32 vcc_lo, 4, v143
	v_cndmask_b32_e64 v19, v19, v16, s5
	s_delay_alu instid0(VALU_DEP_3) | instskip(SKIP_4) | instid1(VALU_DEP_3)
	v_cndmask_b32_e64 v18, v18, v12, s5
	v_cndmask_b32_e32 v21, v21, v7, vcc_lo
	v_cndmask_b32_e64 v20, v20, v11, s4
	v_cmp_eq_u32_e64 s4, 5, v143
	v_cmp_eq_u32_e64 s5, 6, v142
	v_cndmask_b32_e32 v20, v20, v3, vcc_lo
	s_delay_alu instid0(VALU_DEP_3) | instskip(SKIP_1) | instid1(VALU_DEP_4)
	v_cndmask_b32_e64 v21, v21, v16, s4
	v_cmp_eq_u32_e32 vcc_lo, 6, v143
	v_cndmask_b32_e64 v18, v18, v4, s5
	v_cndmask_b32_e64 v19, v19, v8, s5
	;; [unrolled: 1-line block ×3, first 2 shown]
	v_cmp_eq_u32_e64 s4, 1, v146
	v_cmp_eq_u32_e64 s5, 7, v142
	s_delay_alu instid0(VALU_DEP_3) | instskip(NEXT) | instid1(VALU_DEP_3)
	v_cndmask_b32_e32 v20, v20, v4, vcc_lo
	v_cndmask_b32_e64 v1, v1, v10, s4
	v_cndmask_b32_e64 v5, v5, v14, s4
	v_cmp_eq_u32_e64 s4, 3, v141
	v_cndmask_b32_e64 v14, v23, v6, s7
	v_cmp_eq_u32_e64 s7, 3, v146
	v_cndmask_b32_e64 v1, v1, v2, s3
	v_cndmask_b32_e64 v2, v5, v6, s3
	v_cndmask_b32_e64 v10, v22, v11, s4
	v_cmp_eq_u32_e64 s3, 4, v141
	v_cndmask_b32_e64 v6, v14, v15, s4
	v_cndmask_b32_e64 v1, v1, v11, s7
	v_cmp_eq_u32_e64 s4, 4, v146
	v_cndmask_b32_e64 v2, v2, v15, s7
	v_cndmask_b32_e64 v5, v10, v3, s3
	;; [unrolled: 3-line block ×3, first 2 shown]
	v_cndmask_b32_e64 v2, v2, v7, s4
	v_cmp_eq_u32_e64 s3, 5, v146
	v_cndmask_b32_e64 v5, v5, v12, s7
	v_cmp_eq_u32_e64 s4, 6, v141
	;; [unrolled: 2-line block ×3, first 2 shown]
	v_cndmask_b32_e64 v1, v1, v12, s3
	v_cndmask_b32_e64 v2, v2, v16, s3
	;; [unrolled: 1-line block ×4, first 2 shown]
	v_cmp_eq_u32_e64 s3, 7, v146
	v_cndmask_b32_e64 v1, v1, v4, s7
	v_cndmask_b32_e64 v2, v2, v8, s7
	v_cmp_eq_u32_e64 s4, 7, v141
	v_cndmask_b32_e32 v4, v21, v8, vcc_lo
	v_cndmask_b32_e64 v18, v18, v13, s5
	v_cndmask_b32_e64 v20, v20, v13, s6
	;; [unrolled: 1-line block ×8, first 2 shown]
	s_mov_b32 s3, exec_lo
	v_perm_b32 v4, v2, v1, 0x5040100
	v_perm_b32 v3, v3, v5, 0x5040100
	;; [unrolled: 1-line block ×4, first 2 shown]
	ds_store_b128 v9, v[1:4]
	s_waitcnt lgkmcnt(0)
	s_barrier
	buffer_gl0_inv
	v_cmpx_gt_u32_e32 32, v0
	s_cbranch_execz .LBB682_2
; %bb.111:
	s_load_b64 s[4:5], s[0:1], 0x68
	v_lshlrev_b32_e32 v0, 10, v0
	v_lshlrev_b32_e32 v1, 4, v139
	s_lshl_b32 s0, s34, 7
	v_add_nc_u32_e32 v18, s31, v138
	s_mul_i32 s1, s0, s30
	s_delay_alu instid0(VALU_DEP_2) | instskip(SKIP_1) | instid1(VALU_DEP_2)
	v_and_or_b32 v0, 0x3800, v0, v1
	s_mul_i32 s6, s1, s8
	v_mul_lo_u32 v1, v18, s0
	s_ashr_i32 s7, s6, 31
	v_add_nc_u32_e32 v2, 2, v18
	v_lshl_or_b32 v19, v138, 6, v0
	s_lshl_b64 s[6:7], s[6:7], 1
	v_add_nc_u32_e32 v8, 4, v18
	v_add_nc_u32_e32 v15, 6, v18
	v_mul_lo_u32 v7, v2, s0
	ds_load_b128 v[3:6], v19
	v_ashrrev_i32_e32 v2, 31, v1
	v_mul_lo_u32 v11, v8, s0
	s_waitcnt lgkmcnt(0)
	s_add_u32 s1, s4, s6
	s_addc_u32 s3, s5, s7
	s_lshl_b32 s4, s14, 7
	v_lshlrev_b64 v[9:10], 1, v[1:2]
	s_ashr_i32 s5, s4, 31
	v_ashrrev_i32_e32 v8, 31, v7
	s_lshl_b64 s[4:5], s[4:5], 1
	v_ashrrev_i32_e32 v12, 31, v11
	s_add_u32 s1, s1, s4
	s_addc_u32 s3, s3, s5
	v_add_co_u32 v1, s1, s1, v137
	s_delay_alu instid0(VALU_DEP_1) | instskip(SKIP_1) | instid1(VALU_DEP_3)
	v_add_co_ci_u32_e64 v2, null, s3, 0, s1
	v_mul_lo_u32 v15, v15, s0
	v_add_co_u32 v13, vcc_lo, v1, v9
	s_delay_alu instid0(VALU_DEP_3)
	v_add_co_ci_u32_e32 v14, vcc_lo, v2, v10, vcc_lo
	v_lshlrev_b64 v[16:17], 1, v[7:8]
	ds_load_b128 v[7:10], v19 offset:128
	global_store_b128 v[13:14], v[3:6], off
	v_add_nc_u32_e32 v5, 8, v18
	v_lshlrev_b64 v[3:4], 1, v[11:12]
	v_add_co_u32 v23, vcc_lo, v1, v16
	v_ashrrev_i32_e32 v16, 31, v15
	s_delay_alu instid0(VALU_DEP_4) | instskip(SKIP_3) | instid1(VALU_DEP_3)
	v_mul_lo_u32 v25, v5, s0
	v_add_nc_u32_e32 v5, 10, v18
	v_add_co_ci_u32_e32 v24, vcc_lo, v2, v17, vcc_lo
	v_add_co_u32 v27, vcc_lo, v1, v3
	v_mul_lo_u32 v29, v5, s0
	v_add_co_ci_u32_e32 v28, vcc_lo, v2, v4, vcc_lo
	v_lshlrev_b64 v[31:32], 1, v[15:16]
	ds_load_b128 v[3:6], v19 offset:256
	ds_load_b128 v[11:14], v19 offset:384
	;; [unrolled: 1-line block ×4, first 2 shown]
	v_ashrrev_i32_e32 v26, 31, v25
	v_ashrrev_i32_e32 v30, 31, v29
	v_add_co_u32 v31, vcc_lo, v1, v31
	s_delay_alu instid0(VALU_DEP_3) | instskip(SKIP_1) | instid1(VALU_DEP_4)
	v_lshlrev_b64 v[25:26], 1, v[25:26]
	v_add_co_ci_u32_e32 v32, vcc_lo, v2, v32, vcc_lo
	v_lshlrev_b64 v[29:30], 1, v[29:30]
	s_delay_alu instid0(VALU_DEP_3) | instskip(NEXT) | instid1(VALU_DEP_4)
	v_add_co_u32 v25, vcc_lo, v1, v25
	v_add_co_ci_u32_e32 v26, vcc_lo, v2, v26, vcc_lo
	s_delay_alu instid0(VALU_DEP_3) | instskip(NEXT) | instid1(VALU_DEP_4)
	v_add_co_u32 v29, vcc_lo, v1, v29
	v_add_co_ci_u32_e32 v30, vcc_lo, v2, v30, vcc_lo
	s_waitcnt lgkmcnt(4)
	global_store_b128 v[23:24], v[7:10], off
	s_waitcnt lgkmcnt(3)
	global_store_b128 v[27:28], v[3:6], off
	;; [unrolled: 2-line block ×5, first 2 shown]
	s_and_b32 exec_lo, exec_lo, s2
	s_cbranch_execz .LBB682_2
; %bb.112:
	ds_load_b128 v[3:6], v0 offset:768
	s_add_i32 s1, s31, 12
	s_delay_alu instid0(SALU_CYCLE_1) | instskip(NEXT) | instid1(SALU_CYCLE_1)
	s_mul_i32 s0, s1, s0
	s_ashr_i32 s1, s0, 31
	s_delay_alu instid0(SALU_CYCLE_1) | instskip(NEXT) | instid1(SALU_CYCLE_1)
	s_lshl_b64 s[0:1], s[0:1], 1
	v_add_co_u32 v0, vcc_lo, v1, s0
	v_add_co_ci_u32_e32 v1, vcc_lo, s1, v2, vcc_lo
	s_waitcnt lgkmcnt(0)
	global_store_b128 v[0:1], v[3:6], off
	s_nop 0
	s_sendmsg sendmsg(MSG_DEALLOC_VGPRS)
	s_endpgm
	.section	.rodata,"a",@progbits
	.p2align	6, 0x0
	.amdhsa_kernel _Z39paged_attention_ll4mi_QKV_mfma16_kernelI14__hip_bfloat16S0_LN4vllm18Fp8KVCacheDataTypeE0ES0_Li16ELi128ELi256ELb0ELi13EL8MFMAType0EEvPKT_PKT0_S9_ifPKiSB_SB_iPKfiiiPfSE_PS4_PT2_iSD_SD_
		.amdhsa_group_segment_fixed_size 17472
		.amdhsa_private_segment_fixed_size 0
		.amdhsa_kernarg_size 400
		.amdhsa_user_sgpr_count 13
		.amdhsa_user_sgpr_dispatch_ptr 0
		.amdhsa_user_sgpr_queue_ptr 0
		.amdhsa_user_sgpr_kernarg_segment_ptr 1
		.amdhsa_user_sgpr_dispatch_id 0
		.amdhsa_user_sgpr_private_segment_size 0
		.amdhsa_wavefront_size32 1
		.amdhsa_uses_dynamic_stack 0
		.amdhsa_enable_private_segment 0
		.amdhsa_system_sgpr_workgroup_id_x 1
		.amdhsa_system_sgpr_workgroup_id_y 1
		.amdhsa_system_sgpr_workgroup_id_z 1
		.amdhsa_system_sgpr_workgroup_info 0
		.amdhsa_system_vgpr_workitem_id 0
		.amdhsa_next_free_vgpr 218
		.amdhsa_next_free_sgpr 50
		.amdhsa_reserve_vcc 1
		.amdhsa_float_round_mode_32 0
		.amdhsa_float_round_mode_16_64 0
		.amdhsa_float_denorm_mode_32 3
		.amdhsa_float_denorm_mode_16_64 3
		.amdhsa_dx10_clamp 1
		.amdhsa_ieee_mode 1
		.amdhsa_fp16_overflow 0
		.amdhsa_workgroup_processor_mode 1
		.amdhsa_memory_ordered 1
		.amdhsa_forward_progress 0
		.amdhsa_shared_vgpr_count 0
		.amdhsa_exception_fp_ieee_invalid_op 0
		.amdhsa_exception_fp_denorm_src 0
		.amdhsa_exception_fp_ieee_div_zero 0
		.amdhsa_exception_fp_ieee_overflow 0
		.amdhsa_exception_fp_ieee_underflow 0
		.amdhsa_exception_fp_ieee_inexact 0
		.amdhsa_exception_int_div_zero 0
	.end_amdhsa_kernel
	.section	.text._Z39paged_attention_ll4mi_QKV_mfma16_kernelI14__hip_bfloat16S0_LN4vllm18Fp8KVCacheDataTypeE0ES0_Li16ELi128ELi256ELb0ELi13EL8MFMAType0EEvPKT_PKT0_S9_ifPKiSB_SB_iPKfiiiPfSE_PS4_PT2_iSD_SD_,"axG",@progbits,_Z39paged_attention_ll4mi_QKV_mfma16_kernelI14__hip_bfloat16S0_LN4vllm18Fp8KVCacheDataTypeE0ES0_Li16ELi128ELi256ELb0ELi13EL8MFMAType0EEvPKT_PKT0_S9_ifPKiSB_SB_iPKfiiiPfSE_PS4_PT2_iSD_SD_,comdat
.Lfunc_end682:
	.size	_Z39paged_attention_ll4mi_QKV_mfma16_kernelI14__hip_bfloat16S0_LN4vllm18Fp8KVCacheDataTypeE0ES0_Li16ELi128ELi256ELb0ELi13EL8MFMAType0EEvPKT_PKT0_S9_ifPKiSB_SB_iPKfiiiPfSE_PS4_PT2_iSD_SD_, .Lfunc_end682-_Z39paged_attention_ll4mi_QKV_mfma16_kernelI14__hip_bfloat16S0_LN4vllm18Fp8KVCacheDataTypeE0ES0_Li16ELi128ELi256ELb0ELi13EL8MFMAType0EEvPKT_PKT0_S9_ifPKiSB_SB_iPKfiiiPfSE_PS4_PT2_iSD_SD_
                                        ; -- End function
	.section	.AMDGPU.csdata,"",@progbits
; Kernel info:
; codeLenInByte = 10444
; NumSgprs: 52
; NumVgprs: 218
; ScratchSize: 0
; MemoryBound: 0
; FloatMode: 240
; IeeeMode: 1
; LDSByteSize: 17472 bytes/workgroup (compile time only)
; SGPRBlocks: 6
; VGPRBlocks: 27
; NumSGPRsForWavesPerEU: 52
; NumVGPRsForWavesPerEU: 218
; Occupancy: 6
; WaveLimiterHint : 1
; COMPUTE_PGM_RSRC2:SCRATCH_EN: 0
; COMPUTE_PGM_RSRC2:USER_SGPR: 13
; COMPUTE_PGM_RSRC2:TRAP_HANDLER: 0
; COMPUTE_PGM_RSRC2:TGID_X_EN: 1
; COMPUTE_PGM_RSRC2:TGID_Y_EN: 1
; COMPUTE_PGM_RSRC2:TGID_Z_EN: 1
; COMPUTE_PGM_RSRC2:TIDIG_COMP_CNT: 0
	.section	.text._Z39paged_attention_ll4mi_QKV_mfma16_kernelI14__hip_bfloat16S0_LN4vllm18Fp8KVCacheDataTypeE0ES0_Li16ELi128ELi256ELb0ELi14EL8MFMAType0EEvPKT_PKT0_S9_ifPKiSB_SB_iPKfiiiPfSE_PS4_PT2_iSD_SD_,"axG",@progbits,_Z39paged_attention_ll4mi_QKV_mfma16_kernelI14__hip_bfloat16S0_LN4vllm18Fp8KVCacheDataTypeE0ES0_Li16ELi128ELi256ELb0ELi14EL8MFMAType0EEvPKT_PKT0_S9_ifPKiSB_SB_iPKfiiiPfSE_PS4_PT2_iSD_SD_,comdat
	.protected	_Z39paged_attention_ll4mi_QKV_mfma16_kernelI14__hip_bfloat16S0_LN4vllm18Fp8KVCacheDataTypeE0ES0_Li16ELi128ELi256ELb0ELi14EL8MFMAType0EEvPKT_PKT0_S9_ifPKiSB_SB_iPKfiiiPfSE_PS4_PT2_iSD_SD_ ; -- Begin function _Z39paged_attention_ll4mi_QKV_mfma16_kernelI14__hip_bfloat16S0_LN4vllm18Fp8KVCacheDataTypeE0ES0_Li16ELi128ELi256ELb0ELi14EL8MFMAType0EEvPKT_PKT0_S9_ifPKiSB_SB_iPKfiiiPfSE_PS4_PT2_iSD_SD_
	.globl	_Z39paged_attention_ll4mi_QKV_mfma16_kernelI14__hip_bfloat16S0_LN4vllm18Fp8KVCacheDataTypeE0ES0_Li16ELi128ELi256ELb0ELi14EL8MFMAType0EEvPKT_PKT0_S9_ifPKiSB_SB_iPKfiiiPfSE_PS4_PT2_iSD_SD_
	.p2align	8
	.type	_Z39paged_attention_ll4mi_QKV_mfma16_kernelI14__hip_bfloat16S0_LN4vllm18Fp8KVCacheDataTypeE0ES0_Li16ELi128ELi256ELb0ELi14EL8MFMAType0EEvPKT_PKT0_S9_ifPKiSB_SB_iPKfiiiPfSE_PS4_PT2_iSD_SD_,@function
_Z39paged_attention_ll4mi_QKV_mfma16_kernelI14__hip_bfloat16S0_LN4vllm18Fp8KVCacheDataTypeE0ES0_Li16ELi128ELi256ELb0ELi14EL8MFMAType0EEvPKT_PKT0_S9_ifPKiSB_SB_iPKfiiiPfSE_PS4_PT2_iSD_SD_: ; @_Z39paged_attention_ll4mi_QKV_mfma16_kernelI14__hip_bfloat16S0_LN4vllm18Fp8KVCacheDataTypeE0ES0_Li16ELi128ELi256ELb0ELi14EL8MFMAType0EEvPKT_PKT0_S9_ifPKiSB_SB_iPKfiiiPfSE_PS4_PT2_iSD_SD_
; %bb.0:
	s_load_b64 s[4:5], s[0:1], 0x30
	s_mov_b32 s30, s13
	s_waitcnt lgkmcnt(0)
	s_cmp_lg_u64 s[4:5], 0
	s_cselect_b32 s8, -1, 0
	s_ashr_i32 s31, s13, 31
	s_cmp_eq_u64 s[4:5], 0
	s_cbranch_scc1 .LBB683_3
; %bb.1:
	s_lshl_b64 s[2:3], s[30:31], 2
	s_delay_alu instid0(SALU_CYCLE_1) | instskip(SKIP_4) | instid1(SALU_CYCLE_1)
	s_add_u32 s2, s4, s2
	s_addc_u32 s3, s5, s3
	s_load_b64 s[2:3], s[2:3], 0x0
	s_waitcnt lgkmcnt(0)
	s_sub_i32 s2, s3, s2
	s_cmp_eq_u32 s2, 1
	s_cselect_b32 s2, -1, 0
	s_delay_alu instid0(SALU_CYCLE_1)
	s_and_not1_b32 vcc_lo, exec_lo, s2
	s_cbranch_vccz .LBB683_4
.LBB683_2:
	s_endpgm
.LBB683_3:
.LBB683_4:
	s_load_b64 s[2:3], s[0:1], 0x28
	s_lshl_b64 s[6:7], s[30:31], 2
	s_waitcnt lgkmcnt(0)
	s_add_u32 s2, s2, s6
	s_addc_u32 s3, s3, s7
	s_lshl_b32 s31, s14, 8
	s_load_b32 s28, s[2:3], 0x0
	s_waitcnt lgkmcnt(0)
	s_cmp_ge_i32 s31, s28
	s_cbranch_scc1 .LBB683_2
; %bb.5:
	s_clause 0x1
	s_load_b128 s[20:23], s[0:1], 0x8
	s_load_b64 s[2:3], s[0:1], 0x20
	s_and_not1_b32 vcc_lo, exec_lo, s8
	s_cbranch_vccnz .LBB683_7
; %bb.6:
	s_add_u32 s4, s4, s6
	s_addc_u32 s5, s5, s7
	s_load_b32 s5, s[4:5], 0x0
	s_branch .LBB683_8
.LBB683_7:
	s_mov_b32 s5, s30
.LBB683_8:
	s_load_b128 s[16:19], s[0:1], 0x48
	v_and_b32_e32 v140, 15, v0
	v_lshrrev_b32_e32 v141, 5, v0
	v_and_b32_e32 v142, 31, v0
	v_and_b32_e32 v139, 1, v0
	v_bfe_u32 v138, v0, 4, 1
	v_lshlrev_b32_e32 v1, 3, v140
	s_mul_i32 s29, s15, 14
	s_mov_b32 s4, exec_lo
	s_delay_alu instid0(VALU_DEP_1)
	v_lshlrev_b32_e32 v137, 1, v1
	v_cmpx_gt_u32_e32 0xe0, v0
	s_cbranch_execz .LBB683_10
; %bb.9:
	s_load_b64 s[6:7], s[0:1], 0x0
	v_lshl_or_b32 v5, v141, 1, v138
	s_waitcnt lgkmcnt(0)
	s_mul_hi_i32 s9, s5, s16
	s_mul_i32 s8, s5, s16
	v_lshlrev_b32_e32 v6, 10, v140
	s_lshl_b64 s[8:9], s[8:9], 1
	v_add_lshl_u32 v1, v5, s29, 7
	v_lshlrev_b32_e32 v5, 6, v5
	v_lshlrev_b32_e32 v7, 10, v139
	v_and_b32_e32 v6, 0x3800, v6
	s_delay_alu instid0(VALU_DEP_4) | instskip(NEXT) | instid1(VALU_DEP_2)
	v_ashrrev_i32_e32 v2, 31, v1
	v_or3_b32 v5, v6, v7, v5
	s_delay_alu instid0(VALU_DEP_2) | instskip(SKIP_2) | instid1(VALU_DEP_1)
	v_lshlrev_b64 v[1:2], 1, v[1:2]
	s_add_u32 s5, s6, s8
	s_addc_u32 s6, s7, s9
	v_add_co_u32 v1, vcc_lo, s5, v1
	s_delay_alu instid0(VALU_DEP_2) | instskip(NEXT) | instid1(VALU_DEP_2)
	v_add_co_ci_u32_e32 v2, vcc_lo, s6, v2, vcc_lo
	v_add_co_u32 v1, vcc_lo, v1, v137
	s_delay_alu instid0(VALU_DEP_2)
	v_add_co_ci_u32_e32 v2, vcc_lo, 0, v2, vcc_lo
	global_load_b128 v[1:4], v[1:2], off
	s_waitcnt vmcnt(0)
	ds_store_b128 v5, v[1:4]
.LBB683_10:
	s_or_b32 exec_lo, exec_lo, s4
	v_and_b32_e32 v1, 0xef, v0
	s_waitcnt lgkmcnt(0)
	s_add_i32 s5, s28, 15
	s_clause 0x1
	s_load_b32 s4, s[0:1], 0x38
	s_load_b32 s33, s[0:1], 0x1c
	s_ashr_i32 s6, s5, 31
	v_add_nc_u32_e32 v1, s31, v1
	s_lshr_b32 s6, s6, 28
	s_waitcnt lgkmcnt(0)
	s_add_i32 s5, s5, s6
	s_barrier
	v_ashrrev_i32_e32 v2, 31, v1
	v_cmp_gt_i32_e32 vcc_lo, s28, v1
	s_ashr_i32 s16, s5, 4
	buffer_gl0_inv
	s_add_i32 s16, s16, -1
	v_lshrrev_b32_e32 v3, 28, v2
	v_or_b32_e32 v2, 16, v1
	v_add_nc_u32_e32 v105, -14, v140
	v_lshlrev_b32_e32 v106, 5, v140
	s_delay_alu instid0(VALU_DEP_4) | instskip(NEXT) | instid1(VALU_DEP_4)
	v_add_nc_u32_e32 v4, v1, v3
	v_add_nc_u32_e32 v3, v2, v3
	s_mul_i32 s4, s30, s4
	s_delay_alu instid0(VALU_DEP_3) | instskip(SKIP_4) | instid1(SALU_CYCLE_1)
	v_lshl_or_b32 v125, v141, 9, v106
	s_ashr_i32 s5, s4, 31
	v_ashrrev_i32_e32 v4, 4, v4
	v_ashrrev_i32_e32 v3, 4, v3
	s_lshl_b64 s[4:5], s[4:5], 2
	s_add_u32 s34, s2, s4
	s_delay_alu instid0(VALU_DEP_2) | instskip(SKIP_3) | instid1(VALU_DEP_2)
	v_cndmask_b32_e32 v1, s16, v4, vcc_lo
	v_cmp_gt_i32_e32 vcc_lo, s28, v2
	s_addc_u32 s35, s3, s5
	s_mul_i32 s2, s15, s18
	v_ashrrev_i32_e32 v2, 31, v1
	v_cndmask_b32_e32 v3, s16, v3, vcc_lo
	s_ashr_i32 s3, s2, 31
	s_delay_alu instid0(SALU_CYCLE_1) | instskip(NEXT) | instid1(VALU_DEP_2)
	s_lshl_b64 s[2:3], s[2:3], 1
	v_lshlrev_b64 v[1:2], 2, v[1:2]
	s_delay_alu instid0(VALU_DEP_2) | instskip(SKIP_3) | instid1(VALU_DEP_1)
	v_ashrrev_i32_e32 v4, 31, v3
	s_add_u32 s24, s20, s2
	s_addc_u32 s25, s21, s3
	s_lshl_b32 s4, s14, 4
	v_lshlrev_b64 v[3:4], 2, v[3:4]
	v_add_co_u32 v1, vcc_lo, s34, v1
	v_add_co_ci_u32_e32 v2, vcc_lo, s35, v2, vcc_lo
	s_ashr_i32 s5, s4, 31
	s_delay_alu instid0(VALU_DEP_3) | instskip(NEXT) | instid1(VALU_DEP_4)
	v_add_co_u32 v3, vcc_lo, s34, v3
	v_add_co_ci_u32_e32 v4, vcc_lo, s35, v4, vcc_lo
	s_lshl_b64 s[4:5], s[4:5], 2
	s_clause 0x1
	global_load_b32 v5, v[1:2], off
	global_load_b32 v6, v[3:4], off
	s_add_u32 s4, s34, s4
	s_addc_u32 s5, s35, s5
	s_or_b32 s6, s31, 16
	v_lshlrev_b32_e32 v3, 4, v0
	s_ashr_i32 s7, s6, 4
	s_cmp_lt_i32 s6, s28
	s_cselect_b32 s6, s7, s16
	s_delay_alu instid0(SALU_CYCLE_1) | instskip(NEXT) | instid1(SALU_CYCLE_1)
	s_ashr_i32 s7, s6, 31
	s_lshl_b64 s[6:7], s[6:7], 2
	s_delay_alu instid0(SALU_CYCLE_1) | instskip(SKIP_2) | instid1(SALU_CYCLE_1)
	s_add_u32 s6, s34, s6
	s_addc_u32 s7, s35, s7
	s_or_b32 s8, s31, 32
	s_ashr_i32 s9, s8, 4
	s_cmp_lt_i32 s8, s28
	s_cselect_b32 s8, s9, s16
	s_delay_alu instid0(SALU_CYCLE_1) | instskip(NEXT) | instid1(SALU_CYCLE_1)
	s_ashr_i32 s9, s8, 31
	s_lshl_b64 s[8:9], s[8:9], 2
	s_delay_alu instid0(SALU_CYCLE_1) | instskip(SKIP_2) | instid1(SALU_CYCLE_1)
	s_add_u32 s8, s34, s8
	s_addc_u32 s9, s35, s9
	s_or_b32 s10, s31, 48
	s_ashr_i32 s11, s10, 4
	s_cmp_lt_i32 s10, s28
	s_cselect_b32 s10, s11, s16
	s_delay_alu instid0(SALU_CYCLE_1) | instskip(NEXT) | instid1(SALU_CYCLE_1)
	s_ashr_i32 s11, s10, 31
	s_lshl_b64 s[10:11], s[10:11], 2
	s_delay_alu instid0(SALU_CYCLE_1) | instskip(SKIP_2) | instid1(SALU_CYCLE_1)
	s_add_u32 s10, s34, s10
	s_addc_u32 s11, s35, s11
	s_or_b32 s12, s31, 64
	s_ashr_i32 s13, s12, 4
	s_cmp_lt_i32 s12, s28
	s_cselect_b32 s12, s13, s16
	s_delay_alu instid0(SALU_CYCLE_1) | instskip(NEXT) | instid1(SALU_CYCLE_1)
	s_ashr_i32 s13, s12, 31
	s_lshl_b64 s[12:13], s[12:13], 2
	s_delay_alu instid0(SALU_CYCLE_1) | instskip(SKIP_2) | instid1(SALU_CYCLE_1)
	s_add_u32 s18, s34, s12
	s_addc_u32 s19, s35, s13
	s_or_b32 s12, s31, 0x50
	s_ashr_i32 s13, s12, 4
	s_cmp_lt_i32 s12, s28
	s_cselect_b32 s12, s13, s16
	s_delay_alu instid0(SALU_CYCLE_1) | instskip(NEXT) | instid1(SALU_CYCLE_1)
	s_ashr_i32 s13, s12, 31
	s_lshl_b64 s[12:13], s[12:13], 2
	s_delay_alu instid0(SALU_CYCLE_1)
	s_add_u32 s20, s34, s12
	s_addc_u32 s21, s35, s13
	s_clause 0x5
	s_load_b32 s36, s[4:5], 0x0
	s_load_b32 s27, s[6:7], 0x0
	;; [unrolled: 1-line block ×6, first 2 shown]
	s_waitcnt vmcnt(1)
	v_mad_i64_i32 v[1:2], null, v5, s17, 0
	v_and_b32_e32 v5, 0xf0, v3
	s_waitcnt vmcnt(0)
	v_mad_i64_i32 v[3:4], null, v6, s17, 0
	s_delay_alu instid0(VALU_DEP_2) | instskip(NEXT) | instid1(VALU_DEP_4)
	v_add_co_u32 v5, s4, s24, v5
	v_lshlrev_b64 v[1:2], 1, v[1:2]
	v_add_co_ci_u32_e64 v6, null, s25, 0, s4
	s_delay_alu instid0(VALU_DEP_4) | instskip(SKIP_1) | instid1(VALU_DEP_3)
	v_lshlrev_b64 v[3:4], 1, v[3:4]
	s_or_b32 s4, s31, 0x60
	v_add_co_u32 v121, vcc_lo, v5, v1
	s_delay_alu instid0(VALU_DEP_3) | instskip(NEXT) | instid1(VALU_DEP_3)
	v_add_co_ci_u32_e32 v122, vcc_lo, v6, v2, vcc_lo
	v_add_co_u32 v123, vcc_lo, v5, v3
	s_delay_alu instid0(VALU_DEP_4)
	v_add_co_ci_u32_e32 v124, vcc_lo, v6, v4, vcc_lo
	s_clause 0x19
	global_load_b128 v[89:92], v[121:122], off
	global_load_b128 v[93:96], v[121:122], off offset:256
	global_load_b128 v[97:100], v[123:124], off
	global_load_b128 v[101:104], v[123:124], off offset:256
	global_load_b128 v[81:84], v[121:122], off offset:512
	;; [unrolled: 1-line block ×23, first 2 shown]
	s_ashr_i32 s5, s4, 4
	s_cmp_lt_i32 s4, s28
	v_cmp_gt_u32_e32 vcc_lo, 14, v140
	s_cselect_b32 s4, s5, s16
	s_delay_alu instid0(SALU_CYCLE_1) | instskip(NEXT) | instid1(SALU_CYCLE_1)
	s_ashr_i32 s5, s4, 31
	s_lshl_b64 s[4:5], s[4:5], 2
	v_cndmask_b32_e32 v105, v105, v140, vcc_lo
	s_add_u32 s18, s34, s4
	s_addc_u32 s19, s35, s5
	s_or_b32 s4, s31, 0x70
	s_delay_alu instid0(SALU_CYCLE_1)
	s_ashr_i32 s5, s4, 4
	s_cmp_lt_i32 s4, s28
	v_lshlrev_b32_e32 v215, 6, v105
	s_cselect_b32 s6, s5, s16
	ds_load_b128 v[105:108], v215
	ds_load_b128 v[109:112], v215 offset:1024
	s_ashr_i32 s7, s6, 31
	ds_load_b128 v[113:116], v215 offset:2048
	ds_load_b128 v[117:120], v215 offset:3072
	;; [unrolled: 1-line block ×8, first 2 shown]
	s_clause 0x1
	global_load_b128 v[167:170], v[123:124], off offset:3072
	global_load_b128 v[171:174], v[123:124], off offset:3328
	s_lshl_b64 s[6:7], s[6:7], 2
	s_mov_b32 s4, 0
	s_add_u32 s20, s34, s6
	s_addc_u32 s21, s35, s7
	s_clause 0x1
	s_load_b32 s42, s[18:19], 0x0
	s_load_b32 s43, s[20:21], 0x0
	s_clause 0x3
	global_load_b128 v[175:178], v[121:122], off offset:3584
	global_load_b128 v[179:182], v[121:122], off offset:3840
	;; [unrolled: 1-line block ×4, first 2 shown]
	s_or_b32 s7, s31, 0x80
	s_mov_b32 s5, s4
	s_ashr_i32 s8, s7, 4
	s_cmp_lt_i32 s7, s28
	s_mov_b32 s6, s4
	s_cselect_b32 s10, s8, s16
	s_mov_b32 s7, s4
	s_ashr_i32 s11, s10, 31
	s_mov_b32 s8, s4
	s_lshl_b64 s[24:25], s[10:11], 2
	s_mov_b32 s9, s4
	s_add_u32 s24, s34, s24
	s_addc_u32 s25, s35, s25
	s_or_b32 s11, s31, 0x90
	s_mov_b32 s10, s4
	s_ashr_i32 s37, s11, 4
	s_cmp_lt_i32 s11, s28
	s_mov_b32 s11, s4
	s_cselect_b32 s38, s37, s16
	v_mov_b32_e32 v136, s11
	s_ashr_i32 s39, s38, 31
	v_dual_mov_b32 v135, s10 :: v_dual_mov_b32 v134, s9
	v_dual_mov_b32 v133, s8 :: v_dual_mov_b32 v132, s7
	;; [unrolled: 1-line block ×3, first 2 shown]
	v_mov_b32_e32 v129, s4
	s_lshl_b64 s[4:5], s[38:39], 2
	s_waitcnt lgkmcnt(0)
	s_mul_hi_i32 s7, s27, s17
	s_add_u32 s38, s34, s4
	s_addc_u32 s39, s35, s5
	s_or_b32 s4, s31, 0xa0
	s_load_b32 s39, s[38:39], 0x0
	s_ashr_i32 s5, s4, 4
	s_cmp_lt_i32 s4, s28
	s_cselect_b32 s4, s5, s16
	s_delay_alu instid0(SALU_CYCLE_1) | instskip(NEXT) | instid1(SALU_CYCLE_1)
	s_ashr_i32 s5, s4, 31
	s_lshl_b64 s[4:5], s[4:5], 2
	s_delay_alu instid0(SALU_CYCLE_1)
	s_add_u32 s40, s34, s4
	s_addc_u32 s41, s35, s5
	s_or_b32 s4, s31, 0xb0
	s_mul_hi_i32 s5, s36, s17
	s_ashr_i32 s6, s4, 4
	s_cmp_lt_i32 s4, s28
	s_mul_i32 s4, s36, s17
	s_cselect_b32 s8, s6, s16
	s_mul_i32 s6, s27, s17
	s_ashr_i32 s9, s8, 31
	s_load_b32 s38, s[40:41], 0x0
	s_lshl_b64 s[10:11], s[8:9], 2
	s_mul_hi_i32 s9, s26, s17
	s_add_u32 s36, s34, s10
	s_addc_u32 s37, s35, s11
	s_or_b32 s10, s31, 0xc0
	s_mul_i32 s8, s26, s17
	s_ashr_i32 s26, s10, 4
	s_cmp_lt_i32 s10, s28
	s_mul_hi_i32 s11, s13, s17
	s_cselect_b32 s26, s26, s16
	s_mul_i32 s10, s13, s17
	s_ashr_i32 s27, s26, 31
	s_mul_hi_i32 s13, s12, s17
	s_lshl_b64 s[26:27], s[26:27], 2
	s_mul_i32 s12, s12, s17
	s_add_u32 s20, s34, s26
	s_addc_u32 s21, s35, s27
	s_or_b32 s18, s31, 0xd0
	s_load_b32 s26, s[24:25], 0x0
	s_ashr_i32 s19, s18, 4
	s_cmp_lt_i32 s18, s28
	s_mul_i32 s18, s15, s17
	s_cselect_b32 s24, s19, s16
	s_mul_hi_i32 s19, s15, s17
	s_ashr_i32 s25, s24, 31
	s_waitcnt lgkmcnt(0)
	s_mul_hi_i32 s41, s39, s17
	s_lshl_b64 s[24:25], s[24:25], 2
	s_delay_alu instid0(SALU_CYCLE_1)
	s_add_u32 s24, s34, s24
	s_addc_u32 s25, s35, s25
	s_or_b32 s40, s31, 0xe0
	s_clause 0x2
	s_load_b32 s37, s[36:37], 0x0
	s_load_b32 s36, s[20:21], 0x0
	;; [unrolled: 1-line block ×3, first 2 shown]
	s_ashr_i32 s44, s40, 4
	s_cmp_lt_i32 s40, s28
	s_mul_hi_i32 s21, s42, s17
	s_mul_i32 s20, s42, s17
	s_cselect_b32 s42, s44, s16
	s_mul_hi_i32 s25, s43, s17
	s_mul_i32 s24, s43, s17
	s_ashr_i32 s43, s42, 31
	s_mul_hi_i32 s27, s26, s17
	s_lshl_b64 s[42:43], s[42:43], 2
	s_mul_i32 s26, s26, s17
	s_add_u32 s42, s34, s42
	s_addc_u32 s43, s35, s43
	s_or_b32 s44, s31, 0xf0
	s_mul_i32 s40, s39, s17
	s_ashr_i32 s46, s44, 4
	s_cmp_lt_i32 s44, s28
	s_mul_hi_i32 s39, s38, s17
	s_cselect_b32 s46, s46, s16
	s_waitcnt lgkmcnt(0)
	s_mul_hi_i32 s49, s15, s17
	s_ashr_i32 s47, s46, 31
	s_mul_i32 s48, s15, s17
	s_lshl_b64 s[46:47], s[46:47], 2
	s_mul_i32 s38, s38, s17
	s_add_u32 s34, s34, s46
	s_addc_u32 s35, s35, s47
	s_add_u32 s15, s22, s2
	s_addc_u32 s16, s23, s3
	v_add_co_u32 v216, s15, s15, v125
	s_delay_alu instid0(VALU_DEP_1) | instskip(SKIP_2) | instid1(VALU_DEP_2)
	v_add_co_ci_u32_e64 v217, null, s16, 0, s15
	s_lshl_b64 s[2:3], s[4:5], 1
	s_lshl_b64 s[4:5], s[6:7], 1
	v_add_co_u32 v125, vcc_lo, v216, s2
	s_delay_alu instid0(VALU_DEP_2)
	v_add_co_ci_u32_e32 v126, vcc_lo, s3, v217, vcc_lo
	v_add_co_u32 v199, vcc_lo, v216, s4
	s_lshl_b64 s[6:7], s[8:9], 1
	v_add_co_ci_u32_e32 v200, vcc_lo, s5, v217, vcc_lo
	s_lshl_b64 s[8:9], s[10:11], 1
	s_lshl_b64 s[10:11], s[12:13], 1
	;; [unrolled: 1-line block ×8, first 2 shown]
	s_mul_hi_i32 s45, s37, s17
	s_mul_i32 s44, s37, s17
	s_mul_hi_i32 s37, s36, s17
	s_lshl_b64 s[38:39], s[44:45], 1
	s_mul_i32 s36, s36, s17
	s_clause 0x1
	s_load_b32 s15, s[42:43], 0x0
	s_load_b32 s16, s[34:35], 0x0
	s_lshl_b64 s[36:37], s[36:37], 1
	s_lshl_b64 s[40:41], s[48:49], 1
	s_waitcnt lgkmcnt(0)
	s_mul_hi_i32 s3, s15, s17
	s_mul_i32 s2, s15, s17
	s_mul_hi_i32 s5, s16, s17
	s_lshl_b64 s[2:3], s[2:3], 1
	s_mul_i32 s4, s16, s17
	s_waitcnt vmcnt(30)
	v_wmma_f32_16x16x16_bf16 v[191:198], v[89:96], v[105:112], v[129:136]
	v_add_co_u32 v89, vcc_lo, v216, s6
	v_add_co_ci_u32_e32 v90, vcc_lo, s7, v217, vcc_lo
	v_add_co_u32 v91, vcc_lo, v216, s8
	v_add_co_ci_u32_e32 v92, vcc_lo, s9, v217, vcc_lo
	;; [unrolled: 2-line block ×5, first 2 shown]
	v_add_co_u32 v205, vcc_lo, v216, s20
	s_waitcnt vmcnt(28)
	v_wmma_f32_16x16x16_bf16 v[129:136], v[97:104], v[105:112], v[129:136]
	v_add_co_ci_u32_e32 v206, vcc_lo, s21, v217, vcc_lo
	v_add_co_u32 v207, vcc_lo, v216, s22
	v_add_co_ci_u32_e32 v208, vcc_lo, s23, v217, vcc_lo
	v_add_co_u32 v209, vcc_lo, v216, s24
	s_waitcnt vmcnt(26)
	v_wmma_f32_16x16x16_bf16 v[191:198], v[81:88], v[113:120], v[191:198]
	s_waitcnt vmcnt(24)
	v_wmma_f32_16x16x16_bf16 v[129:136], v[73:80], v[113:120], v[129:136]
	v_add_co_ci_u32_e32 v210, vcc_lo, s25, v217, vcc_lo
	v_add_co_u32 v211, vcc_lo, v216, s26
	v_add_co_ci_u32_e32 v212, vcc_lo, s27, v217, vcc_lo
	v_add_co_u32 v213, vcc_lo, v216, s38
	s_waitcnt vmcnt(22)
	v_wmma_f32_16x16x16_bf16 v[191:198], v[65:72], v[143:150], v[191:198]
	s_waitcnt vmcnt(20)
	v_wmma_f32_16x16x16_bf16 v[129:136], v[57:64], v[143:150], v[129:136]
	v_add_co_ci_u32_e32 v214, vcc_lo, s39, v217, vcc_lo
	v_add_co_u32 v143, vcc_lo, v216, s36
	s_waitcnt vmcnt(18)
	v_wmma_f32_16x16x16_bf16 v[191:198], v[49:56], v[151:158], v[191:198]
	s_waitcnt vmcnt(16)
	v_wmma_f32_16x16x16_bf16 v[129:136], v[41:48], v[151:158], v[129:136]
	v_add_co_ci_u32_e32 v144, vcc_lo, s37, v217, vcc_lo
	s_clause 0x15
	global_load_b128 v[121:124], v[125:126], off
	global_load_b128 v[125:128], v[125:126], off offset:16
	global_load_b128 v[113:116], v[199:200], off
	global_load_b128 v[117:120], v[199:200], off offset:16
	;; [unrolled: 2-line block ×11, first 2 shown]
	s_waitcnt vmcnt(36)
	v_wmma_f32_16x16x16_bf16 v[191:198], v[17:24], v[159:166], v[191:198]
	s_clause 0x1
	global_load_b128 v[17:20], v[213:214], off
	global_load_b128 v[21:24], v[213:214], off offset:16
	s_waitcnt vmcnt(36)
	v_wmma_f32_16x16x16_bf16 v[129:136], v[1:8], v[159:166], v[129:136]
	s_clause 0x1
	global_load_b128 v[1:4], v[143:144], off
	global_load_b128 v[5:8], v[143:144], off offset:16
	ds_load_b128 v[143:146], v215 offset:10240
	ds_load_b128 v[147:150], v215 offset:11264
	;; [unrolled: 1-line block ×4, first 2 shown]
	v_add_co_u32 v199, vcc_lo, v216, s40
	v_add_co_ci_u32_e32 v200, vcc_lo, s41, v217, vcc_lo
	v_add_co_u32 v159, vcc_lo, v216, s2
	v_add_co_ci_u32_e32 v160, vcc_lo, s3, v217, vcc_lo
	s_lshl_b64 s[2:3], s[4:5], 1
	s_delay_alu instid0(SALU_CYCLE_1)
	v_add_co_u32 v161, vcc_lo, v216, s2
	v_add_co_ci_u32_e32 v162, vcc_lo, s3, v217, vcc_lo
	s_waitcnt vmcnt(36) lgkmcnt(2)
	v_wmma_f32_16x16x16_bf16 v[191:198], v[25:32], v[143:150], v[191:198]
	s_waitcnt vmcnt(34)
	v_wmma_f32_16x16x16_bf16 v[129:136], v[33:40], v[143:150], v[129:136]
	s_clause 0x3
	global_load_b128 v[25:28], v[199:200], off
	global_load_b128 v[29:32], v[199:200], off offset:16
	global_load_b128 v[33:36], v[159:160], off
	global_load_b128 v[37:40], v[159:160], off offset:16
	v_and_b32_e32 v143, 0xe0, v0
	v_mbcnt_lo_u32_b32 v159, -1, 0
	s_waitcnt vmcnt(36) lgkmcnt(0)
	v_wmma_f32_16x16x16_bf16 v[191:198], v[9:16], v[151:158], v[191:198]
	s_clause 0x1
	global_load_b128 v[9:12], v[161:162], off
	global_load_b128 v[13:16], v[161:162], off offset:16
	s_waitcnt vmcnt(36)
	v_wmma_f32_16x16x16_bf16 v[129:136], v[167:174], v[151:158], v[129:136]
	v_add_nc_u32_e32 v160, s31, v143
	ds_load_b128 v[143:146], v215 offset:14336
	ds_load_b128 v[147:150], v215 offset:15360
	v_xor_b32_e32 v151, 16, v159
	s_waitcnt vmcnt(0) lgkmcnt(0)
	s_barrier
	v_or_b32_e32 v152, v160, v138
	buffer_gl0_inv
	v_cmp_gt_i32_e32 vcc_lo, 32, v151
	v_or_b32_e32 v153, 2, v152
	v_or_b32_e32 v154, 4, v152
	;; [unrolled: 1-line block ×5, first 2 shown]
	v_cmp_gt_i32_e64 s2, s28, v153
	v_cmp_gt_i32_e64 s3, s28, v154
	;; [unrolled: 1-line block ×3, first 2 shown]
	v_or_b32_e32 v158, 12, v152
	v_cmp_gt_i32_e64 s5, s28, v156
	v_cmp_gt_i32_e64 s6, s28, v157
	v_wmma_f32_16x16x16_bf16 v[191:198], v[175:182], v[143:150], v[191:198]
	v_wmma_f32_16x16x16_bf16 v[129:136], v[183:190], v[143:150], v[129:136]
	v_cndmask_b32_e32 v151, v159, v151, vcc_lo
	v_cmp_gt_i32_e32 vcc_lo, s28, v152
	v_or_b32_e32 v159, 14, v152
	v_dual_mul_f32 v149, s33, v192 :: v_dual_mul_f32 v150, s33, v191
	v_dual_mul_f32 v147, s33, v194 :: v_dual_mul_f32 v148, s33, v193
	v_mul_f32_e32 v145, s33, v196
	s_delay_alu instid0(VALU_DEP_3) | instskip(NEXT) | instid1(VALU_DEP_4)
	v_cndmask_b32_e64 v149, 0xff7fffff, v149, s2
	v_cndmask_b32_e32 v150, 0xff7fffff, v150, vcc_lo
	v_mul_f32_e32 v146, s33, v195
	v_cndmask_b32_e64 v148, 0xff7fffff, v148, s3
	v_cndmask_b32_e64 v147, 0xff7fffff, v147, s4
	v_or_b32_e32 v160, 16, v152
	v_max3_f32 v149, v150, 0xff7fffff, v149
	v_or_b32_e32 v161, 18, v152
	v_dual_mul_f32 v143, s33, v198 :: v_dual_mul_f32 v144, s33, v197
	v_cndmask_b32_e64 v146, 0xff7fffff, v146, s5
	v_cndmask_b32_e64 v145, 0xff7fffff, v145, s6
	v_max3_f32 v147, v149, v148, v147
	v_cmp_gt_i32_e64 s7, s28, v158
	v_cmp_gt_i32_e64 s8, s28, v159
	v_or_b32_e32 v162, 20, v152
	v_or_b32_e32 v163, 22, v152
	v_dual_mul_f32 v174, s33, v130 :: v_dual_mul_f32 v175, s33, v129
	v_cndmask_b32_e64 v144, 0xff7fffff, v144, s7
	v_cndmask_b32_e64 v143, 0xff7fffff, v143, s8
	v_max3_f32 v145, v147, v146, v145
	v_cmp_gt_i32_e64 s9, s28, v160
	v_cmp_gt_i32_e64 s10, s28, v161
	v_or_b32_e32 v164, 24, v152
	v_or_b32_e32 v165, 26, v152
	v_dual_mul_f32 v172, s33, v132 :: v_dual_mul_f32 v173, s33, v131
	v_cndmask_b32_e64 v146, 0xff7fffff, v175, s9
	v_cndmask_b32_e64 v147, 0xff7fffff, v174, s10
	v_max3_f32 v143, v145, v144, v143
	v_cmp_gt_i32_e64 s11, s28, v162
	v_cmp_gt_i32_e64 s12, s28, v163
	v_or_b32_e32 v166, 28, v152
	v_or_b32_e32 v167, 30, v152
	v_dual_mul_f32 v170, s33, v134 :: v_dual_mul_f32 v171, s33, v133
	v_cndmask_b32_e64 v144, 0xff7fffff, v173, s11
	v_cndmask_b32_e64 v145, 0xff7fffff, v172, s12
	v_max3_f32 v143, v143, v146, v147
	v_cmp_gt_i32_e64 s13, s28, v164
	v_cmp_gt_i32_e64 s15, s28, v165
	v_dual_mul_f32 v168, s33, v136 :: v_dual_mul_f32 v169, s33, v135
	s_delay_alu instid0(VALU_DEP_4) | instskip(NEXT) | instid1(VALU_DEP_4)
	v_max3_f32 v143, v143, v144, v145
	v_cndmask_b32_e64 v146, 0xff7fffff, v171, s13
	s_delay_alu instid0(VALU_DEP_4) | instskip(SKIP_3) | instid1(VALU_DEP_4)
	v_cndmask_b32_e64 v147, 0xff7fffff, v170, s15
	v_cmp_gt_i32_e64 s16, s28, v166
	v_cmp_gt_i32_e64 s17, s28, v167
	v_lshlrev_b32_e32 v154, 2, v151
	v_max3_f32 v143, v143, v146, v147
	s_delay_alu instid0(VALU_DEP_4) | instskip(NEXT) | instid1(VALU_DEP_4)
	v_cndmask_b32_e64 v144, 0xff7fffff, v169, s16
	v_cndmask_b32_e64 v145, 0xff7fffff, v168, s17
	s_delay_alu instid0(VALU_DEP_1) | instskip(SKIP_3) | instid1(VALU_DEP_1)
	v_max3_f32 v143, v143, v144, v145
	ds_bpermute_b32 v144, v154, v143
	s_waitcnt lgkmcnt(0)
	v_max_f32_e32 v144, v144, v144
	v_max_f32_e32 v153, v143, v144
	s_delay_alu instid0(VALU_DEP_1) | instskip(SKIP_4) | instid1(VALU_DEP_4)
	v_fma_f32 v143, s33, v191, -v153
	v_fma_f32 v144, s33, v192, -v153
	;; [unrolled: 1-line block ×5, first 2 shown]
	v_dual_mul_f32 v143, 0x3fb8aa3b, v143 :: v_dual_mul_f32 v144, 0x3fb8aa3b, v144
	s_delay_alu instid0(VALU_DEP_4) | instskip(SKIP_2) | instid1(VALU_DEP_4)
	v_mul_f32_e32 v132, 0x3fb8aa3b, v132
	v_fma_f32 v134, s33, v134, -v153
	v_mul_f32_e32 v145, 0x3fb8aa3b, v145
	v_exp_f32_e32 v143, v143
	v_exp_f32_e32 v147, v144
	v_fma_f32 v148, s33, v195, -v153
	v_mul_f32_e32 v134, 0x3fb8aa3b, v134
	v_mul_f32_e32 v146, 0x3fb8aa3b, v146
	v_exp_f32_e32 v145, v145
	v_fma_f32 v151, s33, v197, -v153
	v_mul_f32_e32 v148, 0x3fb8aa3b, v148
	v_fma_f32 v129, s33, v129, -v153
	v_exp_f32_e32 v149, v146
	v_cndmask_b32_e32 v144, 0, v143, vcc_lo
	v_fma_f32 v143, s33, v196, -v153
	v_cndmask_b32_e64 v146, 0, v147, s2
	v_exp_f32_e32 v148, v148
	s_delay_alu instid0(VALU_DEP_3) | instskip(NEXT) | instid1(VALU_DEP_3)
	v_dual_mul_f32 v151, 0x3fb8aa3b, v151 :: v_dual_add_f32 v150, 0, v144
	v_mul_f32_e32 v143, 0x3fb8aa3b, v143
	v_cndmask_b32_e64 v147, 0, v145, s3
	v_fma_f32 v130, s33, v130, -v153
	s_delay_alu instid0(TRANS32_DEP_2)
	v_cndmask_b32_e64 v149, 0, v149, s4
	v_add_f32_e32 v145, v150, v146
	v_fma_f32 v150, s33, v198, -v153
	v_exp_f32_e32 v143, v143
	v_exp_f32_e32 v155, v151
	v_mul_f32_e32 v129, 0x3fb8aa3b, v129
	s_delay_alu instid0(VALU_DEP_2) | instskip(SKIP_2) | instid1(VALU_DEP_3)
	v_dual_add_f32 v145, v145, v147 :: v_dual_mul_f32 v152, 0x3fb8aa3b, v150
	v_cndmask_b32_e64 v150, 0, v148, s5
	v_fma_f32 v131, s33, v131, -v153
	v_dual_mul_f32 v130, 0x3fb8aa3b, v130 :: v_dual_add_f32 v145, v145, v149
	s_delay_alu instid0(VALU_DEP_4) | instskip(NEXT) | instid1(TRANS32_DEP_3)
	v_exp_f32_e32 v152, v152
	v_cndmask_b32_e64 v151, 0, v143, s6
	v_exp_f32_e32 v129, v129
	s_delay_alu instid0(TRANS32_DEP_3)
	v_cndmask_b32_e64 v148, 0, v155, s7
	v_add_f32_e32 v143, v145, v150
	v_mul_f32_e32 v131, 0x3fb8aa3b, v131
	v_exp_f32_e32 v130, v130
	v_fma_f32 v133, s33, v133, -v153
	v_fma_f32 v136, s33, v136, -v153
	v_add_f32_e32 v143, v143, v151
	v_cndmask_b32_e64 v152, 0, v152, s8
	v_exp_f32_e32 v145, v131
	v_cndmask_b32_e64 v131, 0, v129, s9
	v_mul_f32_e32 v133, 0x3fb8aa3b, v133
	v_add_f32_e32 v143, v143, v148
	s_mov_b32 s2, exec_lo
	s_delay_alu instid0(VALU_DEP_1)
	v_add_f32_e32 v129, v143, v152
	v_exp_f32_e32 v143, v132
	v_cndmask_b32_e64 v132, 0, v130, s10
	v_fma_f32 v130, s33, v135, -v153
	v_exp_f32_e32 v135, v133
	v_add_f32_e32 v129, v129, v131
	v_cndmask_b32_e64 v133, 0, v145, s11
	v_exp_f32_e32 v145, v134
	s_delay_alu instid0(VALU_DEP_2) | instskip(NEXT) | instid1(TRANS32_DEP_3)
	v_dual_mul_f32 v130, 0x3fb8aa3b, v130 :: v_dual_add_f32 v129, v129, v132
	v_cndmask_b32_e64 v134, 0, v143, s12
	v_mul_f32_e32 v143, 0x3fb8aa3b, v136
	s_delay_alu instid0(VALU_DEP_3) | instskip(NEXT) | instid1(TRANS32_DEP_3)
	v_exp_f32_e32 v130, v130
	v_cndmask_b32_e64 v135, 0, v135, s13
	v_add_f32_e32 v129, v129, v133
	s_delay_alu instid0(TRANS32_DEP_2) | instskip(SKIP_1) | instid1(VALU_DEP_2)
	v_cndmask_b32_e64 v136, 0, v145, s15
	v_exp_f32_e32 v145, v143
	v_add_f32_e32 v129, v129, v134
	s_waitcnt_depctr 0xfff
	v_cndmask_b32_e64 v143, 0, v130, s16
	v_add_f32_e32 v129, v129, v135
	v_cndmask_b32_e64 v145, 0, v145, s17
	s_delay_alu instid0(VALU_DEP_2) | instskip(NEXT) | instid1(VALU_DEP_1)
	v_add_f32_e32 v129, v129, v136
	v_add_f32_e32 v129, v129, v143
	s_delay_alu instid0(VALU_DEP_1)
	v_add_f32_e32 v129, v129, v145
	ds_bpermute_b32 v130, v154, v129
	v_cmpx_gt_u32_e32 16, v142
	s_cbranch_execz .LBB683_12
; %bb.11:
	v_mul_u32_u24_e32 v142, 0x44, v141
	s_waitcnt lgkmcnt(0)
	v_add_f32_e32 v129, v129, v130
	s_delay_alu instid0(VALU_DEP_2) | instskip(NEXT) | instid1(VALU_DEP_1)
	v_lshl_add_u32 v142, v140, 2, v142
	v_add_nc_u32_e32 v130, 0x4000, v142
	ds_store_2addr_b32 v130, v153, v129 offset1:136
.LBB683_12:
	s_or_b32 exec_lo, exec_lo, s2
	v_lshlrev_b32_e32 v129, 2, v140
	s_waitcnt lgkmcnt(0)
	s_barrier
	buffer_gl0_inv
	v_cmp_eq_u32_e64 s2, 1, v141
	v_add_nc_u32_e32 v142, 0x4000, v129
	ds_load_2addr_b32 v[153:154], v142 offset1:17
	ds_load_2addr_b32 v[155:156], v142 offset0:34 offset1:51
	ds_load_2addr_b32 v[157:158], v142 offset0:68 offset1:85
	;; [unrolled: 1-line block ×4, first 2 shown]
	s_waitcnt lgkmcnt(4)
	v_max3_f32 v129, v153, 0xff7fffff, v154
	s_waitcnt lgkmcnt(3)
	s_delay_alu instid0(VALU_DEP_1) | instskip(SKIP_1) | instid1(VALU_DEP_1)
	v_max3_f32 v129, v129, v155, v156
	s_waitcnt lgkmcnt(2)
	v_max3_f32 v129, v129, v157, v158
	s_waitcnt lgkmcnt(1)
	s_delay_alu instid0(VALU_DEP_1) | instskip(NEXT) | instid1(VALU_DEP_1)
	v_max3_f32 v129, v129, v159, v160
	v_sub_f32_e32 v163, v154, v129
	v_sub_f32_e32 v130, v153, v129
	ds_load_2addr_b32 v[153:154], v142 offset0:170 offset1:187
	v_sub_f32_e32 v155, v155, v129
	v_dual_mul_f32 v163, 0x3fb8aa3b, v163 :: v_dual_mul_f32 v130, 0x3fb8aa3b, v130
	s_delay_alu instid0(VALU_DEP_2) | instskip(NEXT) | instid1(VALU_DEP_2)
	v_mul_f32_e32 v165, 0x3fb8aa3b, v155
	v_exp_f32_e32 v163, v163
	s_delay_alu instid0(VALU_DEP_2)
	v_exp_f32_e32 v164, v130
	v_sub_f32_e32 v130, v156, v129
	ds_load_2addr_b32 v[155:156], v142 offset0:204 offset1:221
	v_exp_f32_e32 v165, v165
	v_mul_f32_e32 v166, 0x3fb8aa3b, v130
	s_waitcnt lgkmcnt(2)
	v_fma_f32 v130, v164, v161, 0
	v_sub_f32_e32 v157, v157, v129
	s_delay_alu instid0(VALU_DEP_3) | instskip(NEXT) | instid1(VALU_DEP_2)
	v_exp_f32_e32 v166, v166
	v_dual_sub_f32 v161, v158, v129 :: v_dual_fmac_f32 v130, v163, v162
	s_waitcnt lgkmcnt(1)
	s_waitcnt_depctr 0xfff
	v_fmac_f32_e32 v130, v165, v153
	v_mul_f32_e32 v167, 0x3fb8aa3b, v157
	ds_load_2addr_b32 v[157:158], v142 offset0:238 offset1:255
	v_sub_f32_e32 v142, v159, v129
	v_dual_sub_f32 v153, v160, v129 :: v_dual_fmac_f32 v130, v166, v154
	v_mul_f32_e32 v159, 0x3fb8aa3b, v161
	v_exp_f32_e32 v161, v167
	s_delay_alu instid0(VALU_DEP_2)
	v_dual_mul_f32 v142, 0x3fb8aa3b, v142 :: v_dual_mul_f32 v153, 0x3fb8aa3b, v153
	s_waitcnt lgkmcnt(0)
	s_barrier
	buffer_gl0_inv
	v_exp_f32_e32 v142, v142
	v_exp_f32_e32 v153, v153
	v_fmac_f32_e32 v130, v161, v155
	v_exp_f32_e32 v159, v159
	s_waitcnt_depctr 0xfff
	v_fmac_f32_e32 v130, v159, v156
	s_delay_alu instid0(VALU_DEP_1) | instskip(NEXT) | instid1(VALU_DEP_1)
	v_fmac_f32_e32 v130, v142, v157
	v_fmac_f32_e32 v130, v153, v158
	s_delay_alu instid0(VALU_DEP_1) | instskip(NEXT) | instid1(VALU_DEP_1)
	v_add_f32_e32 v154, 0x358637bd, v130
	v_div_scale_f32 v155, null, v154, v154, 1.0
	v_div_scale_f32 v158, vcc_lo, 1.0, v154, 1.0
	s_delay_alu instid0(VALU_DEP_2) | instskip(SKIP_2) | instid1(VALU_DEP_1)
	v_rcp_f32_e32 v156, v155
	s_waitcnt_depctr 0xfff
	v_fma_f32 v157, -v155, v156, 1.0
	v_fmac_f32_e32 v156, v157, v156
	v_cndmask_b32_e64 v157, v164, v163, s2
	v_cmp_eq_u32_e64 s2, 2, v141
	s_delay_alu instid0(VALU_DEP_3) | instskip(NEXT) | instid1(VALU_DEP_2)
	v_mul_f32_e32 v160, v158, v156
	v_cndmask_b32_e64 v157, v157, v165, s2
	v_cmp_eq_u32_e64 s2, 3, v141
	s_delay_alu instid0(VALU_DEP_3) | instskip(NEXT) | instid1(VALU_DEP_2)
	v_fma_f32 v162, -v155, v160, v158
	v_cndmask_b32_e64 v157, v157, v166, s2
	v_cmp_eq_u32_e64 s2, 4, v141
	s_delay_alu instid0(VALU_DEP_3) | instskip(NEXT) | instid1(VALU_DEP_2)
	v_fmac_f32_e32 v160, v162, v156
	v_cndmask_b32_e64 v157, v157, v161, s2
	s_delay_alu instid0(VALU_DEP_2) | instskip(SKIP_1) | instid1(VALU_DEP_2)
	v_fma_f32 v155, -v155, v160, v158
	v_cmp_eq_u32_e64 s2, 5, v141
	v_div_fmas_f32 v155, v155, v156, v160
	s_delay_alu instid0(VALU_DEP_2) | instskip(SKIP_2) | instid1(VALU_DEP_3)
	v_cndmask_b32_e64 v157, v157, v159, s2
	v_cmp_eq_u32_e32 vcc_lo, 6, v141
	s_mov_b32 s2, exec_lo
	v_div_fixup_f32 v154, v155, v154, 1.0
	s_delay_alu instid0(VALU_DEP_3) | instskip(SKIP_1) | instid1(VALU_DEP_2)
	v_cndmask_b32_e32 v142, v157, v142, vcc_lo
	v_cmp_eq_u32_e32 vcc_lo, 7, v141
	v_cndmask_b32_e32 v142, v142, v153, vcc_lo
	s_delay_alu instid0(VALU_DEP_1) | instskip(NEXT) | instid1(VALU_DEP_1)
	v_mul_f32_e32 v142, v142, v154
	v_mul_f32_e32 v153, v142, v149
	;; [unrolled: 1-line block ×7, first 2 shown]
	v_dual_mul_f32 v150, v142, v147 :: v_dual_and_b32 v155, 0x7f800000, v154
	v_mul_f32_e32 v149, v142, v146
                                        ; implicit-def: $vgpr146
	s_delay_alu instid0(VALU_DEP_2)
	v_cmpx_ne_u32_e32 0x7f800000, v155
	s_xor_b32 s2, exec_lo, s2
; %bb.13:
	v_bfe_u32 v146, v154, 16, 1
	s_delay_alu instid0(VALU_DEP_1)
	v_add3_u32 v146, v154, v146, 0x7fff
                                        ; implicit-def: $vgpr154
; %bb.14:
	s_and_not1_saveexec_b32 s2, s2
; %bb.15:
	v_and_b32_e32 v146, 0xffff, v154
	v_or_b32_e32 v147, 0x10000, v154
	s_delay_alu instid0(VALU_DEP_2) | instskip(NEXT) | instid1(VALU_DEP_2)
	v_cmp_eq_u32_e32 vcc_lo, 0, v146
	v_cndmask_b32_e32 v146, v147, v154, vcc_lo
; %bb.16:
	s_or_b32 exec_lo, exec_lo, s2
	v_and_b32_e32 v147, 0x7f800000, v149
	s_delay_alu instid0(VALU_DEP_1) | instskip(SKIP_1) | instid1(SALU_CYCLE_1)
	v_cmp_ne_u32_e32 vcc_lo, 0x7f800000, v147
                                        ; implicit-def: $vgpr147
	s_and_saveexec_b32 s2, vcc_lo
	s_xor_b32 s2, exec_lo, s2
; %bb.17:
	v_bfe_u32 v147, v149, 16, 1
	s_delay_alu instid0(VALU_DEP_1)
	v_add3_u32 v147, v149, v147, 0x7fff
                                        ; implicit-def: $vgpr149
; %bb.18:
	s_and_not1_saveexec_b32 s2, s2
; %bb.19:
	v_and_b32_e32 v147, 0xffff, v149
	v_or_b32_e32 v154, 0x10000, v149
	s_delay_alu instid0(VALU_DEP_2) | instskip(NEXT) | instid1(VALU_DEP_2)
	v_cmp_eq_u32_e32 vcc_lo, 0, v147
	v_cndmask_b32_e32 v147, v154, v149, vcc_lo
; %bb.20:
	s_or_b32 exec_lo, exec_lo, s2
	v_and_b32_e32 v149, 0x7f800000, v150
	s_delay_alu instid0(VALU_DEP_1) | instskip(SKIP_1) | instid1(SALU_CYCLE_1)
	v_cmp_ne_u32_e32 vcc_lo, 0x7f800000, v149
                                        ; implicit-def: $vgpr149
	s_and_saveexec_b32 s2, vcc_lo
	s_xor_b32 s2, exec_lo, s2
; %bb.21:
	v_bfe_u32 v149, v150, 16, 1
	s_delay_alu instid0(VALU_DEP_1)
	v_add3_u32 v149, v150, v149, 0x7fff
                                        ; implicit-def: $vgpr150
; %bb.22:
	s_and_not1_saveexec_b32 s2, s2
; %bb.23:
	v_and_b32_e32 v149, 0xffff, v150
	v_or_b32_e32 v154, 0x10000, v150
	s_delay_alu instid0(VALU_DEP_2) | instskip(NEXT) | instid1(VALU_DEP_2)
	v_cmp_eq_u32_e32 vcc_lo, 0, v149
	v_cndmask_b32_e32 v149, v154, v150, vcc_lo
; %bb.24:
	s_or_b32 exec_lo, exec_lo, s2
	v_and_b32_e32 v150, 0x7f800000, v153
	s_delay_alu instid0(VALU_DEP_1) | instskip(SKIP_1) | instid1(SALU_CYCLE_1)
	v_cmp_ne_u32_e32 vcc_lo, 0x7f800000, v150
                                        ; implicit-def: $vgpr150
	s_and_saveexec_b32 s2, vcc_lo
	s_xor_b32 s2, exec_lo, s2
; %bb.25:
	v_bfe_u32 v150, v153, 16, 1
	s_delay_alu instid0(VALU_DEP_1)
	v_add3_u32 v150, v153, v150, 0x7fff
                                        ; implicit-def: $vgpr153
; %bb.26:
	s_and_not1_saveexec_b32 s2, s2
; %bb.27:
	v_and_b32_e32 v150, 0xffff, v153
	v_or_b32_e32 v154, 0x10000, v153
	s_delay_alu instid0(VALU_DEP_2) | instskip(NEXT) | instid1(VALU_DEP_2)
	v_cmp_eq_u32_e32 vcc_lo, 0, v150
	v_cndmask_b32_e32 v150, v154, v153, vcc_lo
; %bb.28:
	s_or_b32 exec_lo, exec_lo, s2
	v_and_b32_e32 v153, 0x7f800000, v152
	s_delay_alu instid0(VALU_DEP_1) | instskip(SKIP_1) | instid1(SALU_CYCLE_1)
	v_cmp_ne_u32_e32 vcc_lo, 0x7f800000, v153
                                        ; implicit-def: $vgpr153
	s_and_saveexec_b32 s2, vcc_lo
	s_xor_b32 s2, exec_lo, s2
; %bb.29:
	v_bfe_u32 v153, v152, 16, 1
	s_delay_alu instid0(VALU_DEP_1)
	v_add3_u32 v153, v152, v153, 0x7fff
                                        ; implicit-def: $vgpr152
; %bb.30:
	s_and_not1_saveexec_b32 s2, s2
; %bb.31:
	v_and_b32_e32 v153, 0xffff, v152
	v_or_b32_e32 v154, 0x10000, v152
	s_delay_alu instid0(VALU_DEP_2) | instskip(NEXT) | instid1(VALU_DEP_2)
	v_cmp_eq_u32_e32 vcc_lo, 0, v153
	v_cndmask_b32_e32 v153, v154, v152, vcc_lo
; %bb.32:
	s_or_b32 exec_lo, exec_lo, s2
	v_and_b32_e32 v152, 0x7f800000, v151
	s_delay_alu instid0(VALU_DEP_1) | instskip(SKIP_1) | instid1(SALU_CYCLE_1)
	v_cmp_ne_u32_e32 vcc_lo, 0x7f800000, v152
                                        ; implicit-def: $vgpr152
	s_and_saveexec_b32 s2, vcc_lo
	s_xor_b32 s2, exec_lo, s2
; %bb.33:
	v_bfe_u32 v152, v151, 16, 1
	s_delay_alu instid0(VALU_DEP_1)
	v_add3_u32 v152, v151, v152, 0x7fff
                                        ; implicit-def: $vgpr151
; %bb.34:
	s_and_not1_saveexec_b32 s2, s2
; %bb.35:
	v_and_b32_e32 v152, 0xffff, v151
	v_or_b32_e32 v154, 0x10000, v151
	s_delay_alu instid0(VALU_DEP_2) | instskip(NEXT) | instid1(VALU_DEP_2)
	v_cmp_eq_u32_e32 vcc_lo, 0, v152
	v_cndmask_b32_e32 v152, v154, v151, vcc_lo
; %bb.36:
	s_or_b32 exec_lo, exec_lo, s2
	v_and_b32_e32 v151, 0x7f800000, v148
	s_delay_alu instid0(VALU_DEP_1) | instskip(SKIP_1) | instid1(SALU_CYCLE_1)
	v_cmp_ne_u32_e32 vcc_lo, 0x7f800000, v151
                                        ; implicit-def: $vgpr151
	s_and_saveexec_b32 s2, vcc_lo
	s_xor_b32 s2, exec_lo, s2
; %bb.37:
	v_bfe_u32 v151, v148, 16, 1
	s_delay_alu instid0(VALU_DEP_1)
	v_add3_u32 v151, v148, v151, 0x7fff
                                        ; implicit-def: $vgpr148
; %bb.38:
	s_and_not1_saveexec_b32 s2, s2
; %bb.39:
	v_and_b32_e32 v151, 0xffff, v148
	v_or_b32_e32 v154, 0x10000, v148
	s_delay_alu instid0(VALU_DEP_2) | instskip(NEXT) | instid1(VALU_DEP_2)
	v_cmp_eq_u32_e32 vcc_lo, 0, v151
	v_cndmask_b32_e32 v151, v154, v148, vcc_lo
; %bb.40:
	s_or_b32 exec_lo, exec_lo, s2
	v_and_b32_e32 v148, 0x7f800000, v144
	s_delay_alu instid0(VALU_DEP_1) | instskip(SKIP_1) | instid1(SALU_CYCLE_1)
	v_cmp_ne_u32_e32 vcc_lo, 0x7f800000, v148
                                        ; implicit-def: $vgpr148
	s_and_saveexec_b32 s2, vcc_lo
	s_xor_b32 s2, exec_lo, s2
; %bb.41:
	v_bfe_u32 v148, v144, 16, 1
	s_delay_alu instid0(VALU_DEP_1)
	v_add3_u32 v148, v144, v148, 0x7fff
                                        ; implicit-def: $vgpr144
; %bb.42:
	s_and_not1_saveexec_b32 s2, s2
; %bb.43:
	v_and_b32_e32 v148, 0xffff, v144
	v_or_b32_e32 v154, 0x10000, v144
	s_delay_alu instid0(VALU_DEP_2) | instskip(NEXT) | instid1(VALU_DEP_2)
	v_cmp_eq_u32_e32 vcc_lo, 0, v148
	v_cndmask_b32_e32 v148, v154, v144, vcc_lo
; %bb.44:
	s_or_b32 exec_lo, exec_lo, s2
	s_load_b64 s[34:35], s[0:1], 0x94
	v_lshlrev_b32_e32 v155, 4, v138
	s_delay_alu instid0(VALU_DEP_2)
	v_perm_b32 v154, v148, v151, 0x7060302
	v_mul_f32_e32 v148, v142, v131
	v_dual_mul_f32 v145, v142, v145 :: v_dual_lshlrev_b32 v144, 6, v140
	v_dual_mul_f32 v143, v142, v143 :: v_dual_lshlrev_b32 v156, 11, v141
	v_perm_b32 v153, v152, v153, 0x7060302
	v_perm_b32 v152, v150, v149, 0x7060302
	;; [unrolled: 1-line block ×3, first 2 shown]
	s_delay_alu instid0(VALU_DEP_4)
	v_or3_b32 v131, v155, v156, v144
	v_mul_f32_e32 v136, v142, v136
	v_dual_mul_f32 v146, v142, v134 :: v_dual_and_b32 v149, 0x7f800000, v148
	v_mul_f32_e32 v135, v142, v135
	v_mul_f32_e32 v147, v142, v133
	;; [unrolled: 1-line block ×3, first 2 shown]
	s_mov_b32 s2, exec_lo
	ds_store_b128 v131, v[151:154]
                                        ; implicit-def: $vgpr132
	v_cmpx_ne_u32_e32 0x7f800000, v149
	s_xor_b32 s2, exec_lo, s2
; %bb.45:
	v_bfe_u32 v132, v148, 16, 1
	s_delay_alu instid0(VALU_DEP_1)
	v_add3_u32 v132, v148, v132, 0x7fff
                                        ; implicit-def: $vgpr148
; %bb.46:
	s_and_not1_saveexec_b32 s2, s2
; %bb.47:
	v_and_b32_e32 v132, 0xffff, v148
	v_or_b32_e32 v133, 0x10000, v148
	s_delay_alu instid0(VALU_DEP_2) | instskip(NEXT) | instid1(VALU_DEP_2)
	v_cmp_eq_u32_e32 vcc_lo, 0, v132
	v_cndmask_b32_e32 v132, v133, v148, vcc_lo
; %bb.48:
	s_or_b32 exec_lo, exec_lo, s2
	v_and_b32_e32 v133, 0x7f800000, v134
	s_delay_alu instid0(VALU_DEP_1) | instskip(SKIP_1) | instid1(SALU_CYCLE_1)
	v_cmp_ne_u32_e32 vcc_lo, 0x7f800000, v133
                                        ; implicit-def: $vgpr133
	s_and_saveexec_b32 s2, vcc_lo
	s_xor_b32 s2, exec_lo, s2
; %bb.49:
	v_bfe_u32 v133, v134, 16, 1
	s_delay_alu instid0(VALU_DEP_1)
	v_add3_u32 v133, v134, v133, 0x7fff
                                        ; implicit-def: $vgpr134
; %bb.50:
	s_and_not1_saveexec_b32 s2, s2
; %bb.51:
	v_and_b32_e32 v133, 0xffff, v134
	v_or_b32_e32 v142, 0x10000, v134
	s_delay_alu instid0(VALU_DEP_2) | instskip(NEXT) | instid1(VALU_DEP_2)
	v_cmp_eq_u32_e32 vcc_lo, 0, v133
	v_cndmask_b32_e32 v133, v142, v134, vcc_lo
; %bb.52:
	s_or_b32 exec_lo, exec_lo, s2
	v_and_b32_e32 v134, 0x7f800000, v147
	s_delay_alu instid0(VALU_DEP_1) | instskip(SKIP_1) | instid1(SALU_CYCLE_1)
	v_cmp_ne_u32_e32 vcc_lo, 0x7f800000, v134
                                        ; implicit-def: $vgpr134
	s_and_saveexec_b32 s2, vcc_lo
	s_xor_b32 s2, exec_lo, s2
; %bb.53:
	v_bfe_u32 v134, v147, 16, 1
	s_delay_alu instid0(VALU_DEP_1)
	v_add3_u32 v134, v147, v134, 0x7fff
                                        ; implicit-def: $vgpr147
; %bb.54:
	s_and_not1_saveexec_b32 s2, s2
; %bb.55:
	v_and_b32_e32 v134, 0xffff, v147
	v_or_b32_e32 v142, 0x10000, v147
	s_delay_alu instid0(VALU_DEP_2) | instskip(NEXT) | instid1(VALU_DEP_2)
	v_cmp_eq_u32_e32 vcc_lo, 0, v134
	v_cndmask_b32_e32 v134, v142, v147, vcc_lo
; %bb.56:
	s_or_b32 exec_lo, exec_lo, s2
	v_and_b32_e32 v142, 0x7f800000, v146
	s_delay_alu instid0(VALU_DEP_1) | instskip(SKIP_1) | instid1(SALU_CYCLE_1)
	v_cmp_ne_u32_e32 vcc_lo, 0x7f800000, v142
                                        ; implicit-def: $vgpr142
	s_and_saveexec_b32 s2, vcc_lo
	s_xor_b32 s2, exec_lo, s2
; %bb.57:
	v_bfe_u32 v142, v146, 16, 1
	s_delay_alu instid0(VALU_DEP_1)
	v_add3_u32 v142, v146, v142, 0x7fff
                                        ; implicit-def: $vgpr146
; %bb.58:
	s_and_not1_saveexec_b32 s2, s2
; %bb.59:
	v_and_b32_e32 v142, 0xffff, v146
	v_or_b32_e32 v147, 0x10000, v146
	s_delay_alu instid0(VALU_DEP_2) | instskip(NEXT) | instid1(VALU_DEP_2)
	v_cmp_eq_u32_e32 vcc_lo, 0, v142
	v_cndmask_b32_e32 v142, v147, v146, vcc_lo
; %bb.60:
	s_or_b32 exec_lo, exec_lo, s2
	v_and_b32_e32 v146, 0x7f800000, v135
	s_delay_alu instid0(VALU_DEP_1) | instskip(SKIP_1) | instid1(SALU_CYCLE_1)
	v_cmp_ne_u32_e32 vcc_lo, 0x7f800000, v146
                                        ; implicit-def: $vgpr146
	s_and_saveexec_b32 s2, vcc_lo
	s_xor_b32 s2, exec_lo, s2
; %bb.61:
	v_bfe_u32 v146, v135, 16, 1
	s_delay_alu instid0(VALU_DEP_1)
	v_add3_u32 v146, v135, v146, 0x7fff
                                        ; implicit-def: $vgpr135
; %bb.62:
	s_and_not1_saveexec_b32 s2, s2
; %bb.63:
	v_and_b32_e32 v146, 0xffff, v135
	v_or_b32_e32 v147, 0x10000, v135
	s_delay_alu instid0(VALU_DEP_2) | instskip(NEXT) | instid1(VALU_DEP_2)
	v_cmp_eq_u32_e32 vcc_lo, 0, v146
	v_cndmask_b32_e32 v146, v147, v135, vcc_lo
; %bb.64:
	s_or_b32 exec_lo, exec_lo, s2
	v_and_b32_e32 v135, 0x7f800000, v136
	s_delay_alu instid0(VALU_DEP_1) | instskip(SKIP_1) | instid1(SALU_CYCLE_1)
	v_cmp_ne_u32_e32 vcc_lo, 0x7f800000, v135
                                        ; implicit-def: $vgpr135
	s_and_saveexec_b32 s2, vcc_lo
	s_xor_b32 s2, exec_lo, s2
; %bb.65:
	v_bfe_u32 v135, v136, 16, 1
	s_delay_alu instid0(VALU_DEP_1)
	v_add3_u32 v135, v136, v135, 0x7fff
                                        ; implicit-def: $vgpr136
; %bb.66:
	s_and_not1_saveexec_b32 s2, s2
; %bb.67:
	v_and_b32_e32 v135, 0xffff, v136
	v_or_b32_e32 v147, 0x10000, v136
	s_delay_alu instid0(VALU_DEP_2) | instskip(NEXT) | instid1(VALU_DEP_2)
	v_cmp_eq_u32_e32 vcc_lo, 0, v135
	v_cndmask_b32_e32 v135, v147, v136, vcc_lo
; %bb.68:
	s_or_b32 exec_lo, exec_lo, s2
	v_and_b32_e32 v136, 0x7f800000, v143
	s_delay_alu instid0(VALU_DEP_1) | instskip(SKIP_1) | instid1(SALU_CYCLE_1)
	v_cmp_ne_u32_e32 vcc_lo, 0x7f800000, v136
                                        ; implicit-def: $vgpr136
	s_and_saveexec_b32 s2, vcc_lo
	s_xor_b32 s2, exec_lo, s2
; %bb.69:
	v_bfe_u32 v136, v143, 16, 1
	s_delay_alu instid0(VALU_DEP_1)
	v_add3_u32 v136, v143, v136, 0x7fff
                                        ; implicit-def: $vgpr143
; %bb.70:
	s_and_not1_saveexec_b32 s2, s2
; %bb.71:
	v_and_b32_e32 v136, 0xffff, v143
	v_or_b32_e32 v147, 0x10000, v143
	s_delay_alu instid0(VALU_DEP_2) | instskip(NEXT) | instid1(VALU_DEP_2)
	v_cmp_eq_u32_e32 vcc_lo, 0, v136
	v_cndmask_b32_e32 v136, v147, v143, vcc_lo
; %bb.72:
	s_or_b32 exec_lo, exec_lo, s2
	v_and_b32_e32 v143, 0x7f800000, v145
	s_delay_alu instid0(VALU_DEP_1) | instskip(SKIP_1) | instid1(SALU_CYCLE_1)
	v_cmp_ne_u32_e32 vcc_lo, 0x7f800000, v143
                                        ; implicit-def: $vgpr143
	s_and_saveexec_b32 s2, vcc_lo
	s_xor_b32 s2, exec_lo, s2
; %bb.73:
	v_bfe_u32 v143, v145, 16, 1
	s_delay_alu instid0(VALU_DEP_1)
	v_add3_u32 v143, v145, v143, 0x7fff
                                        ; implicit-def: $vgpr145
; %bb.74:
	s_and_not1_saveexec_b32 s2, s2
; %bb.75:
	v_and_b32_e32 v143, 0xffff, v145
	v_or_b32_e32 v147, 0x10000, v145
	s_delay_alu instid0(VALU_DEP_2) | instskip(NEXT) | instid1(VALU_DEP_2)
	v_cmp_eq_u32_e32 vcc_lo, 0, v143
	v_cndmask_b32_e32 v143, v147, v145, vcc_lo
; %bb.76:
	s_or_b32 exec_lo, exec_lo, s2
	s_delay_alu instid0(VALU_DEP_1)
	v_perm_b32 v136, v143, v136, 0x7060302
	v_perm_b32 v135, v135, v146, 0x7060302
	;; [unrolled: 1-line block ×4, first 2 shown]
	v_lshl_or_b32 v145, v141, 11, v144
	v_lshlrev_b32_e32 v142, 2, v138
	ds_store_b128 v131, v[133:136] offset:1024
	s_waitcnt lgkmcnt(0)
	s_barrier
	buffer_gl0_inv
	ds_load_b128 v[132:135], v145
	ds_load_b128 v[147:150], v145 offset:16
	v_or_b32_e32 v143, 1, v142
	v_cmp_eq_u32_e64 s11, 1, v142
	v_cmp_eq_u32_e64 s10, 2, v142
	;; [unrolled: 1-line block ×3, first 2 shown]
	v_or_b32_e32 v141, 2, v142
	v_cmp_eq_u32_e64 s6, 1, v143
	v_cmp_eq_u32_e64 s5, 2, v143
	;; [unrolled: 1-line block ×8, first 2 shown]
	v_cmp_eq_u32_e32 vcc_lo, 5, v143
	v_cmp_eq_u32_e64 s9, 2, v141
	v_cmp_eq_u32_e64 s3, 6, v143
	;; [unrolled: 1-line block ×4, first 2 shown]
	s_waitcnt lgkmcnt(1)
	v_lshrrev_b32_e32 v136, 16, v132
	s_waitcnt lgkmcnt(0)
	v_lshrrev_b32_e32 v155, 16, v147
	v_lshrrev_b32_e32 v161, 16, v148
	;; [unrolled: 1-line block ×4, first 2 shown]
	v_cndmask_b32_e64 v146, v132, v136, s11
	v_cndmask_b32_e64 v151, v147, v155, s11
	;; [unrolled: 1-line block ×4, first 2 shown]
	v_lshrrev_b32_e32 v160, 16, v134
	v_cndmask_b32_e64 v146, v146, v133, s10
	v_cndmask_b32_e64 v151, v151, v148, s10
	;; [unrolled: 1-line block ×8, first 2 shown]
	v_lshrrev_b32_e32 v164, 16, v150
	v_cndmask_b32_e64 v153, v153, v161, s4
	v_cndmask_b32_e64 v146, v146, v134, s16
	;; [unrolled: 1-line block ×5, first 2 shown]
	v_lshrrev_b32_e32 v162, 16, v135
	v_cndmask_b32_e64 v146, v146, v160, s12
	v_cndmask_b32_e64 v151, v151, v163, s12
	v_cndmask_b32_e32 v152, v152, v160, vcc_lo
	v_cndmask_b32_e64 v153, v153, v149, s2
	v_cmp_eq_u32_e64 s18, 7, v143
	v_cndmask_b32_e64 v146, v146, v135, s13
	v_cndmask_b32_e64 v151, v151, v150, s13
	;; [unrolled: 1-line block ×4, first 2 shown]
	v_cmp_eq_u32_e64 s19, 4, v141
	v_cndmask_b32_e64 v165, v146, v162, s8
	v_cndmask_b32_e64 v166, v151, v164, s8
	;; [unrolled: 1-line block ×3, first 2 shown]
	v_or_b32_e32 v146, 3, v142
	v_cndmask_b32_e64 v167, v152, v162, s18
	v_cndmask_b32_e32 v156, v153, v163, vcc_lo
	v_cndmask_b32_e64 v158, v154, v134, s19
	v_cndmask_b32_e64 v157, v151, v148, s9
	ds_load_b128 v[151:154], v145 offset:1024
	v_cmp_eq_u32_e64 s20, 1, v146
	v_cmp_eq_u32_e64 s21, 5, v141
	;; [unrolled: 1-line block ×3, first 2 shown]
	v_cndmask_b32_e64 v157, v157, v161, s17
	v_cmp_eq_u32_e64 s23, 3, v146
	v_cndmask_b32_e64 v132, v132, v136, s20
	v_cndmask_b32_e64 v136, v156, v150, s3
	v_cndmask_b32_e64 v168, v158, v160, s21
	v_cndmask_b32_e64 v169, v157, v149, s19
	v_cndmask_b32_e64 v147, v147, v155, s20
	ds_load_b128 v[155:158], v145 offset:1040
	v_cndmask_b32_e64 v132, v132, v133, s22
	v_cmp_eq_u32_e64 s25, 4, v146
	v_cmp_eq_u32_e64 s27, 5, v146
	v_cndmask_b32_e64 v147, v147, v148, s22
	v_cmp_eq_u32_e64 s24, 6, v141
	v_cndmask_b32_e64 v132, v132, v159, s23
	;; [unrolled: 2-line block ×3, first 2 shown]
	v_cndmask_b32_e64 v147, v147, v161, s23
	s_waitcnt lgkmcnt(1)
	v_lshrrev_b32_e32 v159, 16, v151
	v_cndmask_b32_e64 v132, v132, v134, s25
	v_cndmask_b32_e64 v148, v168, v135, s24
	;; [unrolled: 1-line block ×6, first 2 shown]
	v_lshrrev_b32_e32 v160, 16, v152
	v_cndmask_b32_e64 v161, v151, v159, s6
	v_cndmask_b32_e64 v134, v134, v163, s27
	s_waitcnt lgkmcnt(0)
	v_lshrrev_b32_e32 v149, 16, v155
	v_cndmask_b32_e64 v147, v147, v152, s10
	v_cndmask_b32_e64 v132, v132, v135, s28
	v_cmp_eq_u32_e64 s26, 7, v141
	v_cndmask_b32_e64 v134, v134, v150, s28
	v_cndmask_b32_e64 v163, v155, v149, s11
	;; [unrolled: 1-line block ×4, first 2 shown]
	v_lshrrev_b32_e32 v161, 16, v156
	v_cndmask_b32_e64 v136, v136, v164, s18
	v_cndmask_b32_e64 v150, v163, v156, s10
	v_cmp_eq_u32_e64 s10, 7, v146
	v_cndmask_b32_e64 v147, v147, v160, s4
	v_cndmask_b32_e64 v135, v135, v153, s16
	v_lshrrev_b32_e32 v163, 16, v153
	v_cndmask_b32_e64 v150, v150, v161, s15
	v_cndmask_b32_e64 v132, v132, v162, s10
	;; [unrolled: 1-line block ×8, first 2 shown]
	v_lshrrev_b32_e32 v164, 16, v157
	v_perm_b32 v135, v134, v132, 0x5040100
	v_cndmask_b32_e32 v132, v147, v163, vcc_lo
	v_cndmask_b32_e64 v147, v162, v154, s13
	v_lshrrev_b32_e32 v162, 16, v154
	v_cndmask_b32_e64 v150, v150, v164, s12
	v_perm_b32 v134, v133, v148, 0x5040100
	v_cndmask_b32_e64 v132, v132, v154, s3
	v_perm_b32 v133, v136, v167, 0x5040100
	v_cndmask_b32_e64 v136, v147, v162, s8
	v_cndmask_b32_e64 v147, v150, v158, s13
	;; [unrolled: 1-line block ×27, first 2 shown]
	v_cndmask_b32_e32 v149, v149, v164, vcc_lo
	v_lshrrev_b32_e32 v148, 16, v158
	v_cndmask_b32_e64 v132, v132, v154, s24
	v_cndmask_b32_e64 v150, v150, v154, s28
	;; [unrolled: 1-line block ×11, first 2 shown]
	v_perm_b32 v132, v166, v165, 0x5040100
	v_perm_b32 v150, v151, v150, 0x5040100
	;; [unrolled: 1-line block ×5, first 2 shown]
	s_mul_i32 s7, s35, 14
	s_mov_b32 s2, exec_lo
	ds_store_b128 v131, v[132:135]
	ds_store_b128 v131, v[147:150] offset:1024
	v_cmpx_gt_u32_e32 14, v0
	s_cbranch_execz .LBB683_78
; %bb.77:
	s_mul_i32 s3, s7, s30
	s_load_b128 s[8:11], s[0:1], 0x58
	v_add3_u32 v133, s3, s29, v140
	s_delay_alu instid0(VALU_DEP_1) | instskip(NEXT) | instid1(VALU_DEP_1)
	v_mad_u64_u32 v[131:132], null, v133, s34, s[14:15]
	v_ashrrev_i32_e32 v132, 31, v131
	s_delay_alu instid0(VALU_DEP_1) | instskip(SKIP_1) | instid1(VALU_DEP_1)
	v_lshlrev_b64 v[131:132], 2, v[131:132]
	s_waitcnt lgkmcnt(0)
	v_add_co_u32 v133, vcc_lo, s10, v131
	s_delay_alu instid0(VALU_DEP_2)
	v_add_co_ci_u32_e32 v134, vcc_lo, s11, v132, vcc_lo
	v_add_co_u32 v131, vcc_lo, s8, v131
	v_add_co_ci_u32_e32 v132, vcc_lo, s9, v132, vcc_lo
	global_store_b32 v[133:134], v129, off
	global_store_b32 v[131:132], v130, off
.LBB683_78:
	s_or_b32 exec_lo, exec_lo, s2
	s_waitcnt lgkmcnt(0)
	s_waitcnt_vscnt null, 0x0
	s_barrier
	buffer_gl0_inv
	ds_load_b128 v[147:150], v144
	ds_load_b128 v[151:154], v144 offset:16
	ds_load_b128 v[159:162], v144 offset:1040
	;; [unrolled: 1-line block ×3, first 2 shown]
	v_mov_b32_e32 v129, 0
	ds_load_b128 v[167:170], v144 offset:2064
	ds_load_b128 v[163:166], v144 offset:2048
	;; [unrolled: 1-line block ×6, first 2 shown]
	v_mov_b32_e32 v130, v129
	v_mov_b32_e32 v131, v129
	;; [unrolled: 1-line block ×7, first 2 shown]
	s_waitcnt lgkmcnt(8)
	s_delay_alu instid0(VALU_DEP_1)
	v_wmma_f32_16x16x16_bf16 v[129:136], v[121:128], v[147:154], v[129:136]
	ds_load_b128 v[125:128], v144 offset:5136
	ds_load_b128 v[121:124], v144 offset:5120
	s_waitcnt lgkmcnt(8)
	v_wmma_f32_16x16x16_bf16 v[129:136], v[113:120], v[155:162], v[129:136]
	ds_load_b128 v[117:120], v144 offset:6160
	ds_load_b128 v[113:116], v144 offset:6144
	s_waitcnt lgkmcnt(8)
	v_wmma_f32_16x16x16_bf16 v[129:136], v[105:112], v[163:170], v[129:136]
	ds_load_b128 v[109:112], v144 offset:7184
	ds_load_b128 v[105:108], v144 offset:7168
	s_waitcnt lgkmcnt(8)
	v_wmma_f32_16x16x16_bf16 v[129:136], v[97:104], v[171:178], v[129:136]
	ds_load_b128 v[101:104], v144 offset:8208
	ds_load_b128 v[97:100], v144 offset:8192
	s_waitcnt lgkmcnt(8)
	v_wmma_f32_16x16x16_bf16 v[129:136], v[89:96], v[179:186], v[129:136]
	ds_load_b128 v[93:96], v144 offset:9232
	ds_load_b128 v[89:92], v144 offset:9216
	s_waitcnt lgkmcnt(8)
	v_wmma_f32_16x16x16_bf16 v[129:136], v[81:88], v[121:128], v[129:136]
	ds_load_b128 v[85:88], v144 offset:10256
	ds_load_b128 v[81:84], v144 offset:10240
	s_waitcnt lgkmcnt(8)
	v_wmma_f32_16x16x16_bf16 v[129:136], v[73:80], v[113:120], v[129:136]
	ds_load_b128 v[77:80], v144 offset:11280
	ds_load_b128 v[73:76], v144 offset:11264
	s_waitcnt lgkmcnt(8)
	v_wmma_f32_16x16x16_bf16 v[129:136], v[57:64], v[105:112], v[129:136]
	ds_load_b128 v[61:64], v144 offset:12304
	ds_load_b128 v[57:60], v144 offset:12288
	s_waitcnt lgkmcnt(8)
	v_wmma_f32_16x16x16_bf16 v[129:136], v[65:72], v[97:104], v[129:136]
	s_waitcnt lgkmcnt(6)
	s_delay_alu instid0(VALU_DEP_1)
	v_wmma_f32_16x16x16_bf16 v[129:136], v[49:56], v[89:96], v[129:136]
	ds_load_b128 v[53:56], v144 offset:13328
	ds_load_b128 v[49:52], v144 offset:13312
	s_waitcnt lgkmcnt(6)
	v_wmma_f32_16x16x16_bf16 v[129:136], v[41:48], v[81:88], v[129:136]
	ds_load_b128 v[45:48], v144 offset:14352
	ds_load_b128 v[41:44], v144 offset:14336
	s_waitcnt lgkmcnt(6)
	;; [unrolled: 4-line block ×3, first 2 shown]
	v_wmma_f32_16x16x16_bf16 v[129:136], v[1:8], v[57:64], v[129:136]
	s_waitcnt lgkmcnt(4)
	s_delay_alu instid0(VALU_DEP_1) | instskip(SKIP_1) | instid1(VALU_DEP_1)
	v_wmma_f32_16x16x16_bf16 v[129:136], v[25:32], v[49:56], v[129:136]
	s_waitcnt lgkmcnt(2)
	v_wmma_f32_16x16x16_bf16 v[129:136], v[33:40], v[41:48], v[129:136]
	s_waitcnt lgkmcnt(0)
	s_delay_alu instid0(VALU_DEP_1) | instskip(NEXT) | instid1(VALU_DEP_1)
	v_wmma_f32_16x16x16_bf16 v[129:136], v[9:16], v[17:24], v[129:136]
	v_and_b32_e32 v1, 0x7f800000, v129
	s_delay_alu instid0(VALU_DEP_1) | instskip(SKIP_1) | instid1(SALU_CYCLE_1)
	v_cmp_ne_u32_e32 vcc_lo, 0x7f800000, v1
                                        ; implicit-def: $vgpr1
	s_and_saveexec_b32 s2, vcc_lo
	s_xor_b32 s2, exec_lo, s2
; %bb.79:
	v_bfe_u32 v1, v129, 16, 1
	s_delay_alu instid0(VALU_DEP_1)
	v_add3_u32 v1, v129, v1, 0x7fff
; %bb.80:
	s_and_not1_saveexec_b32 s2, s2
; %bb.81:
	v_and_b32_e32 v1, 0xffff, v129
	v_or_b32_e32 v2, 0x10000, v129
	s_delay_alu instid0(VALU_DEP_2) | instskip(NEXT) | instid1(VALU_DEP_2)
	v_cmp_eq_u32_e32 vcc_lo, 0, v1
	v_cndmask_b32_e32 v1, v2, v129, vcc_lo
; %bb.82:
	s_or_b32 exec_lo, exec_lo, s2
	v_and_b32_e32 v2, 0x7f800000, v130
	s_delay_alu instid0(VALU_DEP_1) | instskip(SKIP_1) | instid1(SALU_CYCLE_1)
	v_cmp_ne_u32_e32 vcc_lo, 0x7f800000, v2
                                        ; implicit-def: $vgpr2
	s_and_saveexec_b32 s2, vcc_lo
	s_xor_b32 s2, exec_lo, s2
; %bb.83:
	v_bfe_u32 v2, v130, 16, 1
	s_delay_alu instid0(VALU_DEP_1)
	v_add3_u32 v2, v130, v2, 0x7fff
; %bb.84:
	s_and_not1_saveexec_b32 s2, s2
; %bb.85:
	v_and_b32_e32 v2, 0xffff, v130
	v_or_b32_e32 v3, 0x10000, v130
	s_delay_alu instid0(VALU_DEP_2) | instskip(NEXT) | instid1(VALU_DEP_2)
	v_cmp_eq_u32_e32 vcc_lo, 0, v2
	v_cndmask_b32_e32 v2, v3, v130, vcc_lo
; %bb.86:
	s_or_b32 exec_lo, exec_lo, s2
	v_and_b32_e32 v3, 0x7f800000, v131
	s_delay_alu instid0(VALU_DEP_1) | instskip(SKIP_1) | instid1(SALU_CYCLE_1)
	v_cmp_ne_u32_e32 vcc_lo, 0x7f800000, v3
                                        ; implicit-def: $vgpr3
	s_and_saveexec_b32 s2, vcc_lo
	s_xor_b32 s2, exec_lo, s2
; %bb.87:
	v_bfe_u32 v3, v131, 16, 1
	s_delay_alu instid0(VALU_DEP_1)
	v_add3_u32 v3, v131, v3, 0x7fff
; %bb.88:
	s_and_not1_saveexec_b32 s2, s2
; %bb.89:
	v_and_b32_e32 v3, 0xffff, v131
	v_or_b32_e32 v4, 0x10000, v131
	s_delay_alu instid0(VALU_DEP_2) | instskip(NEXT) | instid1(VALU_DEP_2)
	v_cmp_eq_u32_e32 vcc_lo, 0, v3
	v_cndmask_b32_e32 v3, v4, v131, vcc_lo
; %bb.90:
	s_or_b32 exec_lo, exec_lo, s2
	v_and_b32_e32 v4, 0x7f800000, v132
	s_delay_alu instid0(VALU_DEP_1) | instskip(SKIP_1) | instid1(SALU_CYCLE_1)
	v_cmp_ne_u32_e32 vcc_lo, 0x7f800000, v4
                                        ; implicit-def: $vgpr4
	s_and_saveexec_b32 s2, vcc_lo
	s_xor_b32 s2, exec_lo, s2
; %bb.91:
	v_bfe_u32 v4, v132, 16, 1
	s_delay_alu instid0(VALU_DEP_1)
	v_add3_u32 v4, v132, v4, 0x7fff
; %bb.92:
	s_and_not1_saveexec_b32 s2, s2
; %bb.93:
	v_and_b32_e32 v4, 0xffff, v132
	v_or_b32_e32 v5, 0x10000, v132
	s_delay_alu instid0(VALU_DEP_2) | instskip(NEXT) | instid1(VALU_DEP_2)
	v_cmp_eq_u32_e32 vcc_lo, 0, v4
	v_cndmask_b32_e32 v4, v5, v132, vcc_lo
; %bb.94:
	s_or_b32 exec_lo, exec_lo, s2
	v_and_b32_e32 v5, 0x7f800000, v133
	s_delay_alu instid0(VALU_DEP_1) | instskip(SKIP_1) | instid1(SALU_CYCLE_1)
	v_cmp_ne_u32_e32 vcc_lo, 0x7f800000, v5
                                        ; implicit-def: $vgpr5
	s_and_saveexec_b32 s2, vcc_lo
	s_xor_b32 s2, exec_lo, s2
; %bb.95:
	v_bfe_u32 v5, v133, 16, 1
	s_delay_alu instid0(VALU_DEP_1)
	v_add3_u32 v5, v133, v5, 0x7fff
; %bb.96:
	s_and_not1_saveexec_b32 s2, s2
; %bb.97:
	v_and_b32_e32 v5, 0xffff, v133
	v_or_b32_e32 v6, 0x10000, v133
	s_delay_alu instid0(VALU_DEP_2) | instskip(NEXT) | instid1(VALU_DEP_2)
	v_cmp_eq_u32_e32 vcc_lo, 0, v5
	v_cndmask_b32_e32 v5, v6, v133, vcc_lo
; %bb.98:
	s_or_b32 exec_lo, exec_lo, s2
	v_and_b32_e32 v6, 0x7f800000, v134
	s_delay_alu instid0(VALU_DEP_1) | instskip(SKIP_1) | instid1(SALU_CYCLE_1)
	v_cmp_ne_u32_e32 vcc_lo, 0x7f800000, v6
                                        ; implicit-def: $vgpr6
	s_and_saveexec_b32 s2, vcc_lo
	s_xor_b32 s2, exec_lo, s2
; %bb.99:
	v_bfe_u32 v6, v134, 16, 1
	s_delay_alu instid0(VALU_DEP_1)
	v_add3_u32 v6, v134, v6, 0x7fff
; %bb.100:
	s_and_not1_saveexec_b32 s2, s2
; %bb.101:
	v_and_b32_e32 v6, 0xffff, v134
	v_or_b32_e32 v7, 0x10000, v134
	s_delay_alu instid0(VALU_DEP_2) | instskip(NEXT) | instid1(VALU_DEP_2)
	v_cmp_eq_u32_e32 vcc_lo, 0, v6
	v_cndmask_b32_e32 v6, v7, v134, vcc_lo
; %bb.102:
	s_or_b32 exec_lo, exec_lo, s2
	v_and_b32_e32 v7, 0x7f800000, v135
	s_delay_alu instid0(VALU_DEP_1) | instskip(SKIP_1) | instid1(SALU_CYCLE_1)
	v_cmp_ne_u32_e32 vcc_lo, 0x7f800000, v7
                                        ; implicit-def: $vgpr7
	s_and_saveexec_b32 s2, vcc_lo
	s_xor_b32 s2, exec_lo, s2
; %bb.103:
	v_bfe_u32 v7, v135, 16, 1
	s_delay_alu instid0(VALU_DEP_1)
	v_add3_u32 v7, v135, v7, 0x7fff
; %bb.104:
	s_and_not1_saveexec_b32 s2, s2
; %bb.105:
	v_and_b32_e32 v7, 0xffff, v135
	v_or_b32_e32 v8, 0x10000, v135
	s_delay_alu instid0(VALU_DEP_2) | instskip(NEXT) | instid1(VALU_DEP_2)
	v_cmp_eq_u32_e32 vcc_lo, 0, v7
	v_cndmask_b32_e32 v7, v8, v135, vcc_lo
; %bb.106:
	s_or_b32 exec_lo, exec_lo, s2
	v_and_b32_e32 v8, 0x7f800000, v136
	s_delay_alu instid0(VALU_DEP_1) | instskip(SKIP_1) | instid1(SALU_CYCLE_1)
	v_cmp_ne_u32_e32 vcc_lo, 0x7f800000, v8
                                        ; implicit-def: $vgpr8
	s_and_saveexec_b32 s2, vcc_lo
	s_xor_b32 s2, exec_lo, s2
; %bb.107:
	v_bfe_u32 v8, v136, 16, 1
	s_delay_alu instid0(VALU_DEP_1)
	v_add3_u32 v8, v136, v8, 0x7fff
                                        ; implicit-def: $vgpr129_vgpr130_vgpr131_vgpr132_vgpr133_vgpr134_vgpr135_vgpr136
; %bb.108:
	s_and_not1_saveexec_b32 s2, s2
; %bb.109:
	v_and_b32_e32 v8, 0xffff, v136
	v_or_b32_e32 v9, 0x10000, v136
	s_delay_alu instid0(VALU_DEP_2) | instskip(NEXT) | instid1(VALU_DEP_2)
	v_cmp_eq_u32_e32 vcc_lo, 0, v8
	v_cndmask_b32_e32 v8, v9, v136, vcc_lo
; %bb.110:
	s_or_b32 exec_lo, exec_lo, s2
	s_delay_alu instid0(VALU_DEP_1)
	v_perm_b32 v7, v8, v7, 0x7060302
	v_perm_b32 v6, v6, v5, 0x7060302
	;; [unrolled: 1-line block ×4, first 2 shown]
	v_lshl_or_b32 v9, v138, 4, v145
	s_barrier
	buffer_gl0_inv
	v_cmp_eq_u32_e32 vcc_lo, 1, v142
	ds_store_b128 v9, v[4:7]
	s_waitcnt lgkmcnt(0)
	s_barrier
	buffer_gl0_inv
	ds_load_b128 v[1:4], v145
	ds_load_b128 v[5:8], v145 offset:16
	v_cmp_eq_u32_e64 s3, 2, v142
	v_cmp_eq_u32_e64 s2, 1, v143
	v_cmp_eq_u32_e64 s4, 3, v142
	v_cmp_eq_u32_e64 s6, 2, v141
	v_cmp_eq_u32_e64 s5, 7, v143
	s_waitcnt lgkmcnt(1)
	v_lshrrev_b32_e32 v10, 16, v1
	s_waitcnt lgkmcnt(0)
	v_lshrrev_b32_e32 v14, 16, v5
	v_lshrrev_b32_e32 v15, 16, v6
	;; [unrolled: 1-line block ×4, first 2 shown]
	v_cndmask_b32_e64 v20, v1, v10, s2
	v_cndmask_b32_e32 v19, v5, v14, vcc_lo
	v_cndmask_b32_e64 v21, v5, v14, s2
	v_lshrrev_b32_e32 v16, 16, v7
	v_cmp_eq_u32_e64 s2, 1, v141
	v_lshrrev_b32_e32 v13, 16, v4
	v_cndmask_b32_e64 v19, v19, v6, s3
	v_lshrrev_b32_e32 v17, 16, v8
	s_delay_alu instid0(VALU_DEP_4) | instskip(SKIP_1) | instid1(VALU_DEP_4)
	v_cndmask_b32_e64 v22, v1, v10, s2
	v_cndmask_b32_e64 v23, v5, v14, s2
	;; [unrolled: 1-line block ×3, first 2 shown]
	v_cndmask_b32_e32 v18, v1, v10, vcc_lo
	v_cmp_eq_u32_e32 vcc_lo, 2, v143
	v_cmp_eq_u32_e64 s2, 2, v146
	v_cndmask_b32_e64 v22, v22, v2, s6
	v_cndmask_b32_e32 v20, v20, v2, vcc_lo
	v_cndmask_b32_e32 v21, v21, v6, vcc_lo
	v_cmp_eq_u32_e32 vcc_lo, 4, v142
	v_cndmask_b32_e32 v19, v19, v7, vcc_lo
	v_cndmask_b32_e64 v18, v18, v2, s3
	v_cmp_eq_u32_e64 s3, 3, v143
	s_delay_alu instid0(VALU_DEP_2) | instskip(NEXT) | instid1(VALU_DEP_2)
	v_cndmask_b32_e64 v18, v18, v11, s4
	v_cndmask_b32_e64 v21, v21, v15, s3
	v_cmp_eq_u32_e64 s4, 5, v142
	s_delay_alu instid0(VALU_DEP_3) | instskip(SKIP_1) | instid1(VALU_DEP_3)
	v_cndmask_b32_e32 v18, v18, v3, vcc_lo
	v_cmp_eq_u32_e32 vcc_lo, 4, v143
	v_cndmask_b32_e64 v19, v19, v16, s4
	s_delay_alu instid0(VALU_DEP_3) | instskip(SKIP_4) | instid1(VALU_DEP_3)
	v_cndmask_b32_e64 v18, v18, v12, s4
	v_cndmask_b32_e32 v21, v21, v7, vcc_lo
	v_cndmask_b32_e64 v20, v20, v11, s3
	v_cmp_eq_u32_e64 s3, 5, v143
	v_cmp_eq_u32_e64 s4, 6, v142
	v_cndmask_b32_e32 v20, v20, v3, vcc_lo
	s_delay_alu instid0(VALU_DEP_3) | instskip(SKIP_1) | instid1(VALU_DEP_4)
	v_cndmask_b32_e64 v21, v21, v16, s3
	v_cmp_eq_u32_e32 vcc_lo, 6, v143
	v_cndmask_b32_e64 v18, v18, v4, s4
	v_cndmask_b32_e64 v19, v19, v8, s4
	;; [unrolled: 1-line block ×3, first 2 shown]
	v_cmp_eq_u32_e64 s3, 1, v146
	v_cmp_eq_u32_e64 s4, 7, v142
	s_delay_alu instid0(VALU_DEP_3) | instskip(NEXT) | instid1(VALU_DEP_3)
	v_cndmask_b32_e32 v20, v20, v4, vcc_lo
	v_cndmask_b32_e64 v1, v1, v10, s3
	v_cndmask_b32_e64 v5, v5, v14, s3
	v_cmp_eq_u32_e64 s3, 3, v141
	v_cndmask_b32_e64 v14, v23, v6, s6
	v_cmp_eq_u32_e64 s6, 3, v146
	v_cndmask_b32_e64 v1, v1, v2, s2
	v_cndmask_b32_e64 v2, v5, v6, s2
	;; [unrolled: 1-line block ×3, first 2 shown]
	v_cmp_eq_u32_e64 s2, 4, v141
	v_cndmask_b32_e64 v6, v14, v15, s3
	v_cndmask_b32_e64 v1, v1, v11, s6
	v_cmp_eq_u32_e64 s3, 4, v146
	v_cndmask_b32_e64 v2, v2, v15, s6
	v_cndmask_b32_e64 v5, v10, v3, s2
	;; [unrolled: 3-line block ×3, first 2 shown]
	v_cndmask_b32_e64 v2, v2, v7, s3
	v_cmp_eq_u32_e64 s2, 5, v146
	v_cndmask_b32_e64 v5, v5, v12, s6
	v_cmp_eq_u32_e64 s3, 6, v141
	;; [unrolled: 2-line block ×3, first 2 shown]
	v_cndmask_b32_e64 v1, v1, v12, s2
	v_cndmask_b32_e64 v2, v2, v16, s2
	;; [unrolled: 1-line block ×4, first 2 shown]
	v_cmp_eq_u32_e64 s2, 7, v146
	v_cndmask_b32_e64 v1, v1, v4, s6
	v_cndmask_b32_e64 v2, v2, v8, s6
	v_cmp_eq_u32_e64 s3, 7, v141
	v_cndmask_b32_e32 v4, v21, v8, vcc_lo
	v_cndmask_b32_e64 v18, v18, v13, s4
	v_cndmask_b32_e64 v20, v20, v13, s5
	;; [unrolled: 1-line block ×8, first 2 shown]
	s_mov_b32 s2, exec_lo
	v_perm_b32 v4, v2, v1, 0x5040100
	v_perm_b32 v3, v3, v5, 0x5040100
	;; [unrolled: 1-line block ×4, first 2 shown]
	ds_store_b128 v9, v[1:4]
	s_waitcnt lgkmcnt(0)
	s_barrier
	buffer_gl0_inv
	v_cmpx_gt_u32_e32 32, v0
	s_cbranch_execz .LBB683_2
; %bb.111:
	s_load_b64 s[0:1], s[0:1], 0x68
	v_lshlrev_b32_e32 v0, 10, v0
	s_lshl_b32 s4, s34, 7
	v_or_b32_e32 v3, s29, v138
	s_mul_i32 s2, s4, s30
	v_lshlrev_b32_e32 v1, 4, v139
	v_lshlrev_b32_e32 v2, 6, v138
	v_and_b32_e32 v0, 0x3800, v0
	s_mul_i32 s2, s2, s7
	v_mul_lo_u32 v8, v3, s4
	s_ashr_i32 s3, s2, 31
	s_delay_alu instid0(SALU_CYCLE_1)
	s_lshl_b64 s[2:3], s[2:3], 1
	v_or3_b32 v16, v0, v1, v2
	ds_load_b128 v[0:3], v16
	ds_load_b128 v[4:7], v16 offset:128
	v_ashrrev_i32_e32 v9, 31, v8
	s_waitcnt lgkmcnt(0)
	s_add_u32 s2, s0, s2
	s_addc_u32 s3, s1, s3
	s_lshl_b32 s0, s14, 7
	s_delay_alu instid0(SALU_CYCLE_1) | instskip(SKIP_2) | instid1(SALU_CYCLE_1)
	s_ashr_i32 s1, s0, 31
	v_lshlrev_b64 v[9:10], 1, v[8:9]
	s_lshl_b64 s[0:1], s[0:1], 1
	s_add_u32 s0, s2, s0
	s_addc_u32 s1, s3, s1
	s_lshl_b32 s2, s34, 8
	v_add_co_u32 v30, s0, s0, v137
	v_add_nc_u32_e32 v11, s2, v8
	v_add_co_ci_u32_e64 v31, null, s1, 0, s0
	s_delay_alu instid0(VALU_DEP_3) | instskip(NEXT) | instid1(VALU_DEP_3)
	v_add_co_u32 v9, vcc_lo, v30, v9
	v_add_nc_u32_e32 v8, s2, v11
	s_delay_alu instid0(VALU_DEP_3) | instskip(SKIP_1) | instid1(VALU_DEP_3)
	v_add_co_ci_u32_e32 v10, vcc_lo, v31, v10, vcc_lo
	v_ashrrev_i32_e32 v12, 31, v11
	v_add_nc_u32_e32 v13, s2, v8
	global_store_b128 v[9:10], v[0:3], off
	v_ashrrev_i32_e32 v9, 31, v8
	v_lshlrev_b64 v[11:12], 1, v[11:12]
	v_ashrrev_i32_e32 v14, 31, v13
	v_add_nc_u32_e32 v10, s2, v13
	s_delay_alu instid0(VALU_DEP_4) | instskip(NEXT) | instid1(VALU_DEP_4)
	v_lshlrev_b64 v[2:3], 1, v[8:9]
	v_add_co_u32 v0, vcc_lo, v30, v11
	s_delay_alu instid0(VALU_DEP_4)
	v_lshlrev_b64 v[8:9], 1, v[13:14]
	v_add_co_ci_u32_e32 v1, vcc_lo, v31, v12, vcc_lo
	v_ashrrev_i32_e32 v11, 31, v10
	v_add_co_u32 v22, vcc_lo, v30, v2
	v_add_nc_u32_e32 v20, s2, v10
	v_add_co_ci_u32_e32 v23, vcc_lo, v31, v3, vcc_lo
	v_add_co_u32 v24, vcc_lo, v30, v8
	global_store_b128 v[0:1], v[4:7], off
	v_add_co_ci_u32_e32 v25, vcc_lo, v31, v9, vcc_lo
	ds_load_b128 v[0:3], v16 offset:256
	ds_load_b128 v[4:7], v16 offset:384
	v_lshlrev_b64 v[26:27], 1, v[10:11]
	ds_load_b128 v[8:11], v16 offset:512
	ds_load_b128 v[12:15], v16 offset:640
	;; [unrolled: 1-line block ×3, first 2 shown]
	v_add_nc_u32_e32 v28, s2, v20
	v_ashrrev_i32_e32 v21, 31, v20
	v_add_co_u32 v26, vcc_lo, v30, v26
	s_delay_alu instid0(VALU_DEP_3) | instskip(NEXT) | instid1(VALU_DEP_3)
	v_ashrrev_i32_e32 v29, 31, v28
	v_lshlrev_b64 v[20:21], 1, v[20:21]
	v_add_co_ci_u32_e32 v27, vcc_lo, v31, v27, vcc_lo
	s_delay_alu instid0(VALU_DEP_3) | instskip(NEXT) | instid1(VALU_DEP_3)
	v_lshlrev_b64 v[28:29], 1, v[28:29]
	v_add_co_u32 v20, vcc_lo, v30, v20
	s_delay_alu instid0(VALU_DEP_4) | instskip(NEXT) | instid1(VALU_DEP_3)
	v_add_co_ci_u32_e32 v21, vcc_lo, v31, v21, vcc_lo
	v_add_co_u32 v28, vcc_lo, v30, v28
	s_delay_alu instid0(VALU_DEP_4)
	v_add_co_ci_u32_e32 v29, vcc_lo, v31, v29, vcc_lo
	s_waitcnt lgkmcnt(4)
	global_store_b128 v[22:23], v[0:3], off
	s_waitcnt lgkmcnt(3)
	global_store_b128 v[24:25], v[4:7], off
	;; [unrolled: 2-line block ×5, first 2 shown]
	s_nop 0
	s_sendmsg sendmsg(MSG_DEALLOC_VGPRS)
	s_endpgm
	.section	.rodata,"a",@progbits
	.p2align	6, 0x0
	.amdhsa_kernel _Z39paged_attention_ll4mi_QKV_mfma16_kernelI14__hip_bfloat16S0_LN4vllm18Fp8KVCacheDataTypeE0ES0_Li16ELi128ELi256ELb0ELi14EL8MFMAType0EEvPKT_PKT0_S9_ifPKiSB_SB_iPKfiiiPfSE_PS4_PT2_iSD_SD_
		.amdhsa_group_segment_fixed_size 17472
		.amdhsa_private_segment_fixed_size 0
		.amdhsa_kernarg_size 400
		.amdhsa_user_sgpr_count 13
		.amdhsa_user_sgpr_dispatch_ptr 0
		.amdhsa_user_sgpr_queue_ptr 0
		.amdhsa_user_sgpr_kernarg_segment_ptr 1
		.amdhsa_user_sgpr_dispatch_id 0
		.amdhsa_user_sgpr_private_segment_size 0
		.amdhsa_wavefront_size32 1
		.amdhsa_uses_dynamic_stack 0
		.amdhsa_enable_private_segment 0
		.amdhsa_system_sgpr_workgroup_id_x 1
		.amdhsa_system_sgpr_workgroup_id_y 1
		.amdhsa_system_sgpr_workgroup_id_z 1
		.amdhsa_system_sgpr_workgroup_info 0
		.amdhsa_system_vgpr_workitem_id 0
		.amdhsa_next_free_vgpr 218
		.amdhsa_next_free_sgpr 50
		.amdhsa_reserve_vcc 1
		.amdhsa_float_round_mode_32 0
		.amdhsa_float_round_mode_16_64 0
		.amdhsa_float_denorm_mode_32 3
		.amdhsa_float_denorm_mode_16_64 3
		.amdhsa_dx10_clamp 1
		.amdhsa_ieee_mode 1
		.amdhsa_fp16_overflow 0
		.amdhsa_workgroup_processor_mode 1
		.amdhsa_memory_ordered 1
		.amdhsa_forward_progress 0
		.amdhsa_shared_vgpr_count 0
		.amdhsa_exception_fp_ieee_invalid_op 0
		.amdhsa_exception_fp_denorm_src 0
		.amdhsa_exception_fp_ieee_div_zero 0
		.amdhsa_exception_fp_ieee_overflow 0
		.amdhsa_exception_fp_ieee_underflow 0
		.amdhsa_exception_fp_ieee_inexact 0
		.amdhsa_exception_int_div_zero 0
	.end_amdhsa_kernel
	.section	.text._Z39paged_attention_ll4mi_QKV_mfma16_kernelI14__hip_bfloat16S0_LN4vllm18Fp8KVCacheDataTypeE0ES0_Li16ELi128ELi256ELb0ELi14EL8MFMAType0EEvPKT_PKT0_S9_ifPKiSB_SB_iPKfiiiPfSE_PS4_PT2_iSD_SD_,"axG",@progbits,_Z39paged_attention_ll4mi_QKV_mfma16_kernelI14__hip_bfloat16S0_LN4vllm18Fp8KVCacheDataTypeE0ES0_Li16ELi128ELi256ELb0ELi14EL8MFMAType0EEvPKT_PKT0_S9_ifPKiSB_SB_iPKfiiiPfSE_PS4_PT2_iSD_SD_,comdat
.Lfunc_end683:
	.size	_Z39paged_attention_ll4mi_QKV_mfma16_kernelI14__hip_bfloat16S0_LN4vllm18Fp8KVCacheDataTypeE0ES0_Li16ELi128ELi256ELb0ELi14EL8MFMAType0EEvPKT_PKT0_S9_ifPKiSB_SB_iPKfiiiPfSE_PS4_PT2_iSD_SD_, .Lfunc_end683-_Z39paged_attention_ll4mi_QKV_mfma16_kernelI14__hip_bfloat16S0_LN4vllm18Fp8KVCacheDataTypeE0ES0_Li16ELi128ELi256ELb0ELi14EL8MFMAType0EEvPKT_PKT0_S9_ifPKiSB_SB_iPKfiiiPfSE_PS4_PT2_iSD_SD_
                                        ; -- End function
	.section	.AMDGPU.csdata,"",@progbits
; Kernel info:
; codeLenInByte = 10396
; NumSgprs: 52
; NumVgprs: 218
; ScratchSize: 0
; MemoryBound: 0
; FloatMode: 240
; IeeeMode: 1
; LDSByteSize: 17472 bytes/workgroup (compile time only)
; SGPRBlocks: 6
; VGPRBlocks: 27
; NumSGPRsForWavesPerEU: 52
; NumVGPRsForWavesPerEU: 218
; Occupancy: 6
; WaveLimiterHint : 1
; COMPUTE_PGM_RSRC2:SCRATCH_EN: 0
; COMPUTE_PGM_RSRC2:USER_SGPR: 13
; COMPUTE_PGM_RSRC2:TRAP_HANDLER: 0
; COMPUTE_PGM_RSRC2:TGID_X_EN: 1
; COMPUTE_PGM_RSRC2:TGID_Y_EN: 1
; COMPUTE_PGM_RSRC2:TGID_Z_EN: 1
; COMPUTE_PGM_RSRC2:TIDIG_COMP_CNT: 0
	.section	.text._Z39paged_attention_ll4mi_QKV_mfma16_kernelI14__hip_bfloat16S0_LN4vllm18Fp8KVCacheDataTypeE0ES0_Li16ELi128ELi256ELb0ELi15EL8MFMAType0EEvPKT_PKT0_S9_ifPKiSB_SB_iPKfiiiPfSE_PS4_PT2_iSD_SD_,"axG",@progbits,_Z39paged_attention_ll4mi_QKV_mfma16_kernelI14__hip_bfloat16S0_LN4vllm18Fp8KVCacheDataTypeE0ES0_Li16ELi128ELi256ELb0ELi15EL8MFMAType0EEvPKT_PKT0_S9_ifPKiSB_SB_iPKfiiiPfSE_PS4_PT2_iSD_SD_,comdat
	.protected	_Z39paged_attention_ll4mi_QKV_mfma16_kernelI14__hip_bfloat16S0_LN4vllm18Fp8KVCacheDataTypeE0ES0_Li16ELi128ELi256ELb0ELi15EL8MFMAType0EEvPKT_PKT0_S9_ifPKiSB_SB_iPKfiiiPfSE_PS4_PT2_iSD_SD_ ; -- Begin function _Z39paged_attention_ll4mi_QKV_mfma16_kernelI14__hip_bfloat16S0_LN4vllm18Fp8KVCacheDataTypeE0ES0_Li16ELi128ELi256ELb0ELi15EL8MFMAType0EEvPKT_PKT0_S9_ifPKiSB_SB_iPKfiiiPfSE_PS4_PT2_iSD_SD_
	.globl	_Z39paged_attention_ll4mi_QKV_mfma16_kernelI14__hip_bfloat16S0_LN4vllm18Fp8KVCacheDataTypeE0ES0_Li16ELi128ELi256ELb0ELi15EL8MFMAType0EEvPKT_PKT0_S9_ifPKiSB_SB_iPKfiiiPfSE_PS4_PT2_iSD_SD_
	.p2align	8
	.type	_Z39paged_attention_ll4mi_QKV_mfma16_kernelI14__hip_bfloat16S0_LN4vllm18Fp8KVCacheDataTypeE0ES0_Li16ELi128ELi256ELb0ELi15EL8MFMAType0EEvPKT_PKT0_S9_ifPKiSB_SB_iPKfiiiPfSE_PS4_PT2_iSD_SD_,@function
_Z39paged_attention_ll4mi_QKV_mfma16_kernelI14__hip_bfloat16S0_LN4vllm18Fp8KVCacheDataTypeE0ES0_Li16ELi128ELi256ELb0ELi15EL8MFMAType0EEvPKT_PKT0_S9_ifPKiSB_SB_iPKfiiiPfSE_PS4_PT2_iSD_SD_: ; @_Z39paged_attention_ll4mi_QKV_mfma16_kernelI14__hip_bfloat16S0_LN4vllm18Fp8KVCacheDataTypeE0ES0_Li16ELi128ELi256ELb0ELi15EL8MFMAType0EEvPKT_PKT0_S9_ifPKiSB_SB_iPKfiiiPfSE_PS4_PT2_iSD_SD_
; %bb.0:
	s_load_b64 s[4:5], s[0:1], 0x30
	s_mov_b32 s30, s13
	s_waitcnt lgkmcnt(0)
	s_cmp_lg_u64 s[4:5], 0
	s_cselect_b32 s12, -1, 0
	s_ashr_i32 s31, s13, 31
	s_cmp_eq_u64 s[4:5], 0
	s_cbranch_scc1 .LBB684_3
; %bb.1:
	s_lshl_b64 s[2:3], s[30:31], 2
	s_delay_alu instid0(SALU_CYCLE_1) | instskip(SKIP_4) | instid1(SALU_CYCLE_1)
	s_add_u32 s2, s4, s2
	s_addc_u32 s3, s5, s3
	s_load_b64 s[2:3], s[2:3], 0x0
	s_waitcnt lgkmcnt(0)
	s_sub_i32 s2, s3, s2
	s_cmp_eq_u32 s2, 1
	s_cselect_b32 s2, -1, 0
	s_delay_alu instid0(SALU_CYCLE_1)
	s_and_not1_b32 vcc_lo, exec_lo, s2
	s_cbranch_vccz .LBB684_4
.LBB684_2:
	s_nop 0
	s_sendmsg sendmsg(MSG_DEALLOC_VGPRS)
	s_endpgm
.LBB684_3:
.LBB684_4:
	s_load_b64 s[2:3], s[0:1], 0x28
	s_lshl_b64 s[6:7], s[30:31], 2
	s_waitcnt lgkmcnt(0)
	s_add_u32 s2, s2, s6
	s_addc_u32 s3, s3, s7
	s_lshl_b32 s29, s14, 8
	s_load_b32 s28, s[2:3], 0x0
	s_waitcnt lgkmcnt(0)
	s_cmp_ge_i32 s29, s28
	s_cbranch_scc1 .LBB684_2
; %bb.5:
	s_clause 0x1
	s_load_b128 s[8:11], s[0:1], 0x8
	s_load_b64 s[2:3], s[0:1], 0x20
	s_and_not1_b32 vcc_lo, exec_lo, s12
	s_cbranch_vccnz .LBB684_7
; %bb.6:
	s_add_u32 s4, s4, s6
	s_addc_u32 s5, s5, s7
	s_load_b32 s12, s[4:5], 0x0
	s_branch .LBB684_8
.LBB684_7:
	s_mov_b32 s12, s30
.LBB684_8:
	s_load_b128 s[4:7], s[0:1], 0x48
	v_and_b32_e32 v140, 15, v0
	v_lshrrev_b32_e32 v141, 5, v0
	v_bfe_u32 v138, v0, 4, 1
	v_and_b32_e32 v142, 31, v0
	v_and_b32_e32 v139, 1, v0
	v_lshlrev_b32_e32 v2, 3, v140
	s_mul_i32 s31, s15, 15
	v_lshl_or_b32 v1, v141, 1, v138
	s_waitcnt lgkmcnt(0)
	s_mov_b32 s7, exec_lo
	v_lshlrev_b32_e32 v137, 1, v2
	s_delay_alu instid0(VALU_DEP_2)
	v_cmpx_gt_u32_e32 15, v1
	s_cbranch_execz .LBB684_10
; %bb.9:
	s_load_b64 s[16:17], s[0:1], 0x0
	v_add_lshl_u32 v2, v1, s31, 7
	s_mul_hi_i32 s13, s12, s4
	s_mul_i32 s12, s12, s4
	v_lshlrev_b32_e32 v6, 10, v140
	s_lshl_b64 s[12:13], s[12:13], 1
	v_ashrrev_i32_e32 v3, 31, v2
	v_lshlrev_b32_e32 v1, 6, v1
	v_lshlrev_b32_e32 v7, 10, v139
	v_and_b32_e32 v6, 0x3800, v6
	s_delay_alu instid0(VALU_DEP_4) | instskip(NEXT) | instid1(VALU_DEP_2)
	v_lshlrev_b64 v[2:3], 1, v[2:3]
	v_or3_b32 v1, v6, v7, v1
	s_waitcnt lgkmcnt(0)
	s_add_u32 s4, s16, s12
	s_addc_u32 s12, s17, s13
	s_delay_alu instid0(VALU_DEP_2) | instskip(SKIP_1) | instid1(VALU_DEP_2)
	v_add_co_u32 v2, vcc_lo, s4, v2
	v_add_co_ci_u32_e32 v3, vcc_lo, s12, v3, vcc_lo
	v_add_co_u32 v2, vcc_lo, v2, v137
	s_delay_alu instid0(VALU_DEP_2)
	v_add_co_ci_u32_e32 v3, vcc_lo, 0, v3, vcc_lo
	global_load_b128 v[2:5], v[2:3], off
	s_waitcnt vmcnt(0)
	ds_store_b128 v1, v[2:5]
.LBB684_10:
	s_or_b32 exec_lo, exec_lo, s7
	s_mov_b32 s36, 0
	s_add_i32 s4, s28, 15
	s_mov_b32 s37, s36
	s_mov_b32 s38, s36
	;; [unrolled: 1-line block ×7, first 2 shown]
	s_delay_alu instid0(SALU_CYCLE_1)
	v_dual_mov_b32 v136, s43 :: v_dual_and_b32 v1, 0xef, v0
	v_mov_b32_e32 v134, s41
	s_clause 0x1
	s_load_b32 s7, s[0:1], 0x38
	s_load_b32 s33, s[0:1], 0x1c
	v_add_nc_u32_e32 v1, s29, v1
	s_ashr_i32 s12, s4, 31
	s_waitcnt lgkmcnt(0)
	s_lshr_b32 s12, s12, 28
	s_barrier
	v_ashrrev_i32_e32 v2, 31, v1
	s_add_i32 s4, s4, s12
	v_cmp_gt_i32_e32 vcc_lo, s28, v1
	s_ashr_i32 s4, s4, 4
	v_mov_b32_e32 v132, s39
	v_lshrrev_b32_e32 v3, 28, v2
	v_or_b32_e32 v2, 16, v1
	s_add_i32 s4, s4, -1
	buffer_gl0_inv
	v_dual_mov_b32 v135, s42 :: v_dual_add_nc_u32 v4, v1, v3
	v_add_nc_u32_e32 v3, v2, v3
	v_mov_b32_e32 v133, s40
	s_mul_i32 s12, s30, s7
	v_mov_b32_e32 v131, s38
	v_ashrrev_i32_e32 v4, 4, v4
	v_ashrrev_i32_e32 v3, 4, v3
	s_ashr_i32 s13, s12, 31
	v_lshlrev_b32_e32 v106, 5, v140
	s_lshl_b64 s[12:13], s[12:13], 2
	v_cndmask_b32_e32 v1, s4, v4, vcc_lo
	v_cmp_gt_i32_e32 vcc_lo, s28, v2
	s_add_u32 s34, s2, s12
	s_addc_u32 s35, s3, s13
	s_mul_i32 s2, s15, s6
	v_ashrrev_i32_e32 v2, 31, v1
	v_cndmask_b32_e32 v3, s4, v3, vcc_lo
	s_ashr_i32 s3, s2, 31
	v_lshl_or_b32 v125, v141, 9, v106
	s_lshl_b64 s[2:3], s[2:3], 1
	v_lshlrev_b64 v[1:2], 2, v[1:2]
	v_ashrrev_i32_e32 v4, 31, v3
	s_add_u32 s22, s8, s2
	s_addc_u32 s23, s9, s3
	s_lshl_b32 s6, s14, 4
	v_mov_b32_e32 v129, s36
	v_lshlrev_b64 v[3:4], 2, v[3:4]
	v_add_co_u32 v1, vcc_lo, s34, v1
	v_add_co_ci_u32_e32 v2, vcc_lo, s35, v2, vcc_lo
	s_ashr_i32 s7, s6, 31
	s_delay_alu instid0(VALU_DEP_3) | instskip(NEXT) | instid1(VALU_DEP_4)
	v_add_co_u32 v3, vcc_lo, s34, v3
	v_add_co_ci_u32_e32 v4, vcc_lo, s35, v4, vcc_lo
	s_clause 0x1
	global_load_b32 v5, v[1:2], off
	global_load_b32 v6, v[3:4], off
	s_lshl_b64 s[6:7], s[6:7], 2
	v_dual_mov_b32 v130, s37 :: v_dual_lshlrev_b32 v3, 4, v0
	s_add_u32 s6, s34, s6
	s_addc_u32 s7, s35, s7
	s_or_b32 s8, s29, 16
	s_delay_alu instid0(SALU_CYCLE_1) | instskip(SKIP_2) | instid1(SALU_CYCLE_1)
	s_ashr_i32 s9, s8, 4
	s_cmp_lt_i32 s8, s28
	s_cselect_b32 s8, s9, s4
	s_ashr_i32 s9, s8, 31
	s_delay_alu instid0(SALU_CYCLE_1) | instskip(NEXT) | instid1(SALU_CYCLE_1)
	s_lshl_b64 s[8:9], s[8:9], 2
	s_add_u32 s8, s34, s8
	s_addc_u32 s9, s35, s9
	s_or_b32 s12, s29, 32
	s_delay_alu instid0(SALU_CYCLE_1) | instskip(SKIP_2) | instid1(SALU_CYCLE_1)
	s_ashr_i32 s13, s12, 4
	s_cmp_lt_i32 s12, s28
	s_cselect_b32 s12, s13, s4
	s_ashr_i32 s13, s12, 31
	s_delay_alu instid0(SALU_CYCLE_1) | instskip(NEXT) | instid1(SALU_CYCLE_1)
	s_lshl_b64 s[12:13], s[12:13], 2
	;; [unrolled: 10-line block ×5, first 2 shown]
	s_add_u32 s20, s34, s20
	s_addc_u32 s21, s35, s21
	s_clause 0x5
	s_load_b32 s6, s[6:7], 0x0
	s_load_b32 s8, s[8:9], 0x0
	;; [unrolled: 1-line block ×6, first 2 shown]
	s_waitcnt vmcnt(1)
	v_mad_i64_i32 v[1:2], null, v5, s5, 0
	v_and_b32_e32 v5, 0xf0, v3
	s_waitcnt vmcnt(0)
	v_mad_i64_i32 v[3:4], null, v6, s5, 0
	s_delay_alu instid0(VALU_DEP_2) | instskip(NEXT) | instid1(VALU_DEP_4)
	v_add_co_u32 v5, s7, s22, v5
	v_lshlrev_b64 v[1:2], 1, v[1:2]
	v_add_co_ci_u32_e64 v6, null, s23, 0, s7
	s_delay_alu instid0(VALU_DEP_4) | instskip(SKIP_1) | instid1(VALU_DEP_3)
	v_lshlrev_b64 v[3:4], 1, v[3:4]
	s_or_b32 s7, s29, 0x60
	v_add_co_u32 v121, vcc_lo, v5, v1
	s_delay_alu instid0(VALU_DEP_3) | instskip(NEXT) | instid1(VALU_DEP_3)
	v_add_co_ci_u32_e32 v122, vcc_lo, v6, v2, vcc_lo
	v_add_co_u32 v123, vcc_lo, v5, v3
	s_delay_alu instid0(VALU_DEP_4)
	v_add_co_ci_u32_e32 v124, vcc_lo, v6, v4, vcc_lo
	s_clause 0x19
	global_load_b128 v[89:92], v[121:122], off
	global_load_b128 v[93:96], v[121:122], off offset:256
	global_load_b128 v[97:100], v[123:124], off
	global_load_b128 v[101:104], v[123:124], off offset:256
	global_load_b128 v[81:84], v[121:122], off offset:512
	;; [unrolled: 1-line block ×23, first 2 shown]
	s_ashr_i32 s9, s7, 4
	s_cmp_lt_i32 s7, s28
	v_cmp_ne_u32_e32 vcc_lo, 15, v140
	s_cselect_b32 s20, s9, s4
	s_delay_alu instid0(SALU_CYCLE_1) | instskip(NEXT) | instid1(SALU_CYCLE_1)
	s_ashr_i32 s21, s20, 31
	s_lshl_b64 s[20:21], s[20:21], 2
	v_cndmask_b32_e32 v105, 0, v140, vcc_lo
	s_add_u32 s20, s34, s20
	s_addc_u32 s21, s35, s21
	s_or_b32 s7, s29, 0x70
	s_delay_alu instid0(SALU_CYCLE_1)
	s_ashr_i32 s9, s7, 4
	s_cmp_lt_i32 s7, s28
	v_lshlrev_b32_e32 v215, 6, v105
	s_cselect_b32 s22, s9, s4
	ds_load_b128 v[105:108], v215
	ds_load_b128 v[109:112], v215 offset:1024
	s_ashr_i32 s23, s22, 31
	ds_load_b128 v[113:116], v215 offset:2048
	ds_load_b128 v[117:120], v215 offset:3072
	;; [unrolled: 1-line block ×8, first 2 shown]
	s_clause 0x1
	global_load_b128 v[167:170], v[123:124], off offset:3072
	global_load_b128 v[171:174], v[123:124], off offset:3328
	s_lshl_b64 s[22:23], s[22:23], 2
	s_delay_alu instid0(SALU_CYCLE_1)
	s_add_u32 s22, s34, s22
	s_addc_u32 s23, s35, s23
	s_clause 0x1
	s_load_b32 s42, s[20:21], 0x0
	s_load_b32 s43, s[22:23], 0x0
	s_clause 0x3
	global_load_b128 v[175:178], v[121:122], off offset:3584
	global_load_b128 v[179:182], v[121:122], off offset:3840
	;; [unrolled: 1-line block ×4, first 2 shown]
	s_or_b32 s7, s29, 0x80
	s_delay_alu instid0(SALU_CYCLE_1) | instskip(SKIP_2) | instid1(SALU_CYCLE_1)
	s_ashr_i32 s9, s7, 4
	s_cmp_lt_i32 s7, s28
	s_cselect_b32 s24, s9, s4
	s_ashr_i32 s25, s24, 31
	s_delay_alu instid0(SALU_CYCLE_1) | instskip(NEXT) | instid1(SALU_CYCLE_1)
	s_lshl_b64 s[24:25], s[24:25], 2
	s_add_u32 s24, s34, s24
	s_addc_u32 s25, s35, s25
	s_or_b32 s7, s29, 0x90
	s_load_b32 s44, s[24:25], 0x0
	s_ashr_i32 s9, s7, 4
	s_cmp_lt_i32 s7, s28
	s_cselect_b32 s26, s9, s4
	s_delay_alu instid0(SALU_CYCLE_1) | instskip(NEXT) | instid1(SALU_CYCLE_1)
	s_ashr_i32 s27, s26, 31
	s_lshl_b64 s[26:27], s[26:27], 2
	s_delay_alu instid0(SALU_CYCLE_1) | instskip(SKIP_2) | instid1(SALU_CYCLE_1)
	s_add_u32 s26, s34, s26
	s_addc_u32 s27, s35, s27
	s_or_b32 s7, s29, 0xa0
	s_ashr_i32 s9, s7, 4
	s_cmp_lt_i32 s7, s28
	s_waitcnt lgkmcnt(0)
	s_mul_hi_i32 s7, s6, s5
	s_cselect_b32 s36, s9, s4
	s_mul_i32 s6, s6, s5
	s_ashr_i32 s37, s36, 31
	s_delay_alu instid0(SALU_CYCLE_1) | instskip(NEXT) | instid1(SALU_CYCLE_1)
	s_lshl_b64 s[36:37], s[36:37], 2
	s_add_u32 s36, s34, s36
	s_addc_u32 s37, s35, s37
	s_or_b32 s9, s29, 0xb0
	s_delay_alu instid0(SALU_CYCLE_1)
	s_ashr_i32 s13, s9, 4
	s_cmp_lt_i32 s9, s28
	s_mul_hi_i32 s9, s8, s5
	s_cselect_b32 s38, s13, s4
	s_mul_i32 s8, s8, s5
	s_ashr_i32 s39, s38, 31
	s_mul_hi_i32 s13, s12, s5
	s_lshl_b64 s[38:39], s[38:39], 2
	s_mul_i32 s12, s12, s5
	s_add_u32 s40, s34, s38
	s_addc_u32 s41, s35, s39
	s_or_b32 s17, s29, 0xc0
	s_delay_alu instid0(SALU_CYCLE_1)
	s_ashr_i32 s19, s17, 4
	s_cmp_lt_i32 s17, s28
	s_mul_hi_i32 s17, s16, s5
	s_cselect_b32 s38, s19, s4
	s_mul_i32 s16, s16, s5
	s_ashr_i32 s39, s38, 31
	s_mul_hi_i32 s19, s18, s5
	s_lshl_b64 s[38:39], s[38:39], 2
	s_mul_i32 s18, s18, s5
	s_add_u32 s22, s34, s38
	s_addc_u32 s23, s35, s39
	s_clause 0x1
	s_load_b32 s39, s[26:27], 0x0
	s_load_b32 s38, s[36:37], 0x0
	s_or_b32 s20, s29, 0xd0
	s_mul_hi_i32 s27, s44, s5
	s_ashr_i32 s21, s20, 4
	s_cmp_lt_i32 s20, s28
	s_mul_i32 s20, s15, s5
	s_cselect_b32 s24, s21, s4
	s_mul_hi_i32 s21, s15, s5
	s_ashr_i32 s25, s24, 31
	s_mul_i32 s26, s44, s5
	s_lshl_b64 s[24:25], s[24:25], 2
	s_delay_alu instid0(SALU_CYCLE_1)
	s_add_u32 s24, s34, s24
	s_addc_u32 s25, s35, s25
	s_or_b32 s45, s29, 0xe0
	s_clause 0x2
	s_load_b32 s37, s[40:41], 0x0
	s_load_b32 s36, s[22:23], 0x0
	;; [unrolled: 1-line block ×3, first 2 shown]
	s_ashr_i32 s46, s45, 4
	s_cmp_lt_i32 s45, s28
	s_mul_hi_i32 s23, s42, s5
	s_mul_i32 s22, s42, s5
	s_cselect_b32 s42, s46, s4
	s_mul_hi_i32 s25, s43, s5
	s_mul_i32 s24, s43, s5
	s_ashr_i32 s43, s42, 31
	s_waitcnt lgkmcnt(0)
	s_mul_hi_i32 s41, s39, s5
	s_lshl_b64 s[42:43], s[42:43], 2
	s_mul_i32 s40, s39, s5
	s_add_u32 s42, s34, s42
	s_addc_u32 s43, s35, s43
	s_or_b32 s44, s29, 0xf0
	s_mul_hi_i32 s39, s38, s5
	s_ashr_i32 s46, s44, 4
	s_cmp_lt_i32 s44, s28
	s_mul_i32 s38, s38, s5
	s_cselect_b32 s46, s46, s4
	s_mul_hi_i32 s49, s15, s5
	s_ashr_i32 s47, s46, 31
	s_mul_i32 s48, s15, s5
	s_lshl_b64 s[46:47], s[46:47], 2
	s_mul_hi_i32 s45, s37, s5
	s_add_u32 s34, s34, s46
	s_addc_u32 s35, s35, s47
	s_add_u32 s4, s10, s2
	s_addc_u32 s15, s11, s3
	v_add_co_u32 v216, s4, s4, v125
	s_delay_alu instid0(VALU_DEP_1) | instskip(SKIP_2) | instid1(VALU_DEP_2)
	v_add_co_ci_u32_e64 v217, null, s15, 0, s4
	s_lshl_b64 s[2:3], s[6:7], 1
	s_lshl_b64 s[6:7], s[8:9], 1
	v_add_co_u32 v125, vcc_lo, v216, s2
	s_delay_alu instid0(VALU_DEP_2)
	v_add_co_ci_u32_e32 v126, vcc_lo, s3, v217, vcc_lo
	v_add_co_u32 v199, vcc_lo, v216, s6
	s_lshl_b64 s[8:9], s[12:13], 1
	v_add_co_ci_u32_e32 v200, vcc_lo, s7, v217, vcc_lo
	s_lshl_b64 s[10:11], s[16:17], 1
	s_lshl_b64 s[12:13], s[18:19], 1
	;; [unrolled: 1-line block ×8, first 2 shown]
	s_mul_i32 s44, s37, s5
	s_mul_hi_i32 s37, s36, s5
	s_lshl_b64 s[38:39], s[44:45], 1
	s_mul_i32 s36, s36, s5
	s_clause 0x1
	s_load_b32 s4, s[42:43], 0x0
	s_load_b32 s15, s[34:35], 0x0
	s_lshl_b64 s[36:37], s[36:37], 1
	s_lshl_b64 s[40:41], s[48:49], 1
	s_waitcnt lgkmcnt(0)
	s_mul_hi_i32 s3, s4, s5
	s_mul_i32 s2, s4, s5
	s_mul_hi_i32 s7, s15, s5
	s_lshl_b64 s[2:3], s[2:3], 1
	s_mul_i32 s6, s15, s5
	s_waitcnt vmcnt(30)
	v_wmma_f32_16x16x16_bf16 v[191:198], v[89:96], v[105:112], v[129:136]
	v_add_co_u32 v89, vcc_lo, v216, s8
	v_add_co_ci_u32_e32 v90, vcc_lo, s9, v217, vcc_lo
	v_add_co_u32 v91, vcc_lo, v216, s10
	v_add_co_ci_u32_e32 v92, vcc_lo, s11, v217, vcc_lo
	;; [unrolled: 2-line block ×5, first 2 shown]
	v_add_co_u32 v205, vcc_lo, v216, s20
	s_waitcnt vmcnt(28)
	v_wmma_f32_16x16x16_bf16 v[129:136], v[97:104], v[105:112], v[129:136]
	v_add_co_ci_u32_e32 v206, vcc_lo, s21, v217, vcc_lo
	v_add_co_u32 v207, vcc_lo, v216, s22
	v_add_co_ci_u32_e32 v208, vcc_lo, s23, v217, vcc_lo
	v_add_co_u32 v209, vcc_lo, v216, s24
	s_waitcnt vmcnt(26)
	v_wmma_f32_16x16x16_bf16 v[191:198], v[81:88], v[113:120], v[191:198]
	s_waitcnt vmcnt(24)
	v_wmma_f32_16x16x16_bf16 v[129:136], v[73:80], v[113:120], v[129:136]
	v_add_co_ci_u32_e32 v210, vcc_lo, s25, v217, vcc_lo
	v_add_co_u32 v211, vcc_lo, v216, s26
	v_add_co_ci_u32_e32 v212, vcc_lo, s27, v217, vcc_lo
	v_add_co_u32 v213, vcc_lo, v216, s38
	s_waitcnt vmcnt(22)
	v_wmma_f32_16x16x16_bf16 v[191:198], v[65:72], v[143:150], v[191:198]
	s_waitcnt vmcnt(20)
	v_wmma_f32_16x16x16_bf16 v[129:136], v[57:64], v[143:150], v[129:136]
	v_add_co_ci_u32_e32 v214, vcc_lo, s39, v217, vcc_lo
	v_add_co_u32 v143, vcc_lo, v216, s36
	s_waitcnt vmcnt(18)
	v_wmma_f32_16x16x16_bf16 v[191:198], v[49:56], v[151:158], v[191:198]
	s_waitcnt vmcnt(16)
	v_wmma_f32_16x16x16_bf16 v[129:136], v[41:48], v[151:158], v[129:136]
	v_add_co_ci_u32_e32 v144, vcc_lo, s37, v217, vcc_lo
	s_clause 0x15
	global_load_b128 v[121:124], v[125:126], off
	global_load_b128 v[125:128], v[125:126], off offset:16
	global_load_b128 v[113:116], v[199:200], off
	global_load_b128 v[117:120], v[199:200], off offset:16
	;; [unrolled: 2-line block ×11, first 2 shown]
	s_waitcnt vmcnt(36)
	v_wmma_f32_16x16x16_bf16 v[191:198], v[17:24], v[159:166], v[191:198]
	s_clause 0x1
	global_load_b128 v[17:20], v[213:214], off
	global_load_b128 v[21:24], v[213:214], off offset:16
	s_waitcnt vmcnt(36)
	v_wmma_f32_16x16x16_bf16 v[129:136], v[1:8], v[159:166], v[129:136]
	s_clause 0x1
	global_load_b128 v[1:4], v[143:144], off
	global_load_b128 v[5:8], v[143:144], off offset:16
	ds_load_b128 v[143:146], v215 offset:10240
	ds_load_b128 v[147:150], v215 offset:11264
	;; [unrolled: 1-line block ×4, first 2 shown]
	v_add_co_u32 v199, vcc_lo, v216, s40
	v_add_co_ci_u32_e32 v200, vcc_lo, s41, v217, vcc_lo
	v_add_co_u32 v159, vcc_lo, v216, s2
	v_add_co_ci_u32_e32 v160, vcc_lo, s3, v217, vcc_lo
	s_lshl_b64 s[2:3], s[6:7], 1
	s_delay_alu instid0(SALU_CYCLE_1)
	v_add_co_u32 v161, vcc_lo, v216, s2
	v_add_co_ci_u32_e32 v162, vcc_lo, s3, v217, vcc_lo
	s_waitcnt vmcnt(36) lgkmcnt(2)
	v_wmma_f32_16x16x16_bf16 v[191:198], v[25:32], v[143:150], v[191:198]
	s_waitcnt vmcnt(34)
	v_wmma_f32_16x16x16_bf16 v[129:136], v[33:40], v[143:150], v[129:136]
	s_clause 0x3
	global_load_b128 v[25:28], v[199:200], off
	global_load_b128 v[29:32], v[199:200], off offset:16
	global_load_b128 v[33:36], v[159:160], off
	global_load_b128 v[37:40], v[159:160], off offset:16
	v_and_b32_e32 v143, 0xe0, v0
	v_mbcnt_lo_u32_b32 v159, -1, 0
	s_waitcnt vmcnt(36) lgkmcnt(0)
	v_wmma_f32_16x16x16_bf16 v[191:198], v[9:16], v[151:158], v[191:198]
	s_clause 0x1
	global_load_b128 v[9:12], v[161:162], off
	global_load_b128 v[13:16], v[161:162], off offset:16
	s_waitcnt vmcnt(36)
	v_wmma_f32_16x16x16_bf16 v[129:136], v[167:174], v[151:158], v[129:136]
	v_add_nc_u32_e32 v160, s29, v143
	ds_load_b128 v[143:146], v215 offset:14336
	ds_load_b128 v[147:150], v215 offset:15360
	v_xor_b32_e32 v151, 16, v159
	s_waitcnt vmcnt(0) lgkmcnt(0)
	s_barrier
	v_or_b32_e32 v152, v160, v138
	buffer_gl0_inv
	v_cmp_gt_i32_e32 vcc_lo, 32, v151
	v_or_b32_e32 v153, 2, v152
	v_or_b32_e32 v154, 4, v152
	;; [unrolled: 1-line block ×5, first 2 shown]
	v_cmp_gt_i32_e64 s2, s28, v153
	v_cmp_gt_i32_e64 s3, s28, v154
	v_cmp_gt_i32_e64 s4, s28, v155
	v_or_b32_e32 v158, 12, v152
	v_cmp_gt_i32_e64 s5, s28, v156
	v_cmp_gt_i32_e64 s6, s28, v157
	v_wmma_f32_16x16x16_bf16 v[191:198], v[175:182], v[143:150], v[191:198]
	v_wmma_f32_16x16x16_bf16 v[129:136], v[183:190], v[143:150], v[129:136]
	v_cndmask_b32_e32 v151, v159, v151, vcc_lo
	v_cmp_gt_i32_e32 vcc_lo, s28, v152
	v_or_b32_e32 v159, 14, v152
	v_dual_mul_f32 v149, s33, v192 :: v_dual_mul_f32 v150, s33, v191
	v_dual_mul_f32 v147, s33, v194 :: v_dual_mul_f32 v148, s33, v193
	;; [unrolled: 1-line block ×3, first 2 shown]
	s_delay_alu instid0(VALU_DEP_3) | instskip(NEXT) | instid1(VALU_DEP_4)
	v_cndmask_b32_e32 v150, 0xff7fffff, v150, vcc_lo
	v_cndmask_b32_e64 v149, 0xff7fffff, v149, s2
	v_mul_f32_e32 v146, s33, v195
	v_cndmask_b32_e64 v148, 0xff7fffff, v148, s3
	v_cndmask_b32_e64 v147, 0xff7fffff, v147, s4
	v_or_b32_e32 v160, 16, v152
	v_max3_f32 v149, v150, 0xff7fffff, v149
	v_or_b32_e32 v161, 18, v152
	v_dual_mul_f32 v143, s33, v198 :: v_dual_mul_f32 v144, s33, v197
	v_cndmask_b32_e64 v146, 0xff7fffff, v146, s5
	v_cndmask_b32_e64 v145, 0xff7fffff, v145, s6
	v_max3_f32 v147, v149, v148, v147
	v_cmp_gt_i32_e64 s7, s28, v158
	v_cmp_gt_i32_e64 s8, s28, v159
	v_or_b32_e32 v162, 20, v152
	v_or_b32_e32 v163, 22, v152
	v_mul_f32_e32 v175, s33, v129
	v_cndmask_b32_e64 v144, 0xff7fffff, v144, s7
	v_cndmask_b32_e64 v143, 0xff7fffff, v143, s8
	v_max3_f32 v145, v147, v146, v145
	v_cmp_gt_i32_e64 s9, s28, v160
	v_cmp_gt_i32_e64 s10, s28, v161
	v_or_b32_e32 v164, 24, v152
	v_or_b32_e32 v165, 26, v152
	v_dual_mul_f32 v172, s33, v132 :: v_dual_mul_f32 v173, s33, v131
	v_cndmask_b32_e64 v146, 0xff7fffff, v175, s9
	v_cndmask_b32_e64 v147, 0xff7fffff, v174, s10
	v_max3_f32 v143, v145, v144, v143
	v_cmp_gt_i32_e64 s11, s28, v162
	v_cmp_gt_i32_e64 s12, s28, v163
	v_or_b32_e32 v166, 28, v152
	v_or_b32_e32 v167, 30, v152
	v_dual_mul_f32 v170, s33, v134 :: v_dual_mul_f32 v171, s33, v133
	v_cndmask_b32_e64 v144, 0xff7fffff, v173, s11
	v_cndmask_b32_e64 v145, 0xff7fffff, v172, s12
	v_max3_f32 v143, v143, v146, v147
	v_cmp_gt_i32_e64 s13, s28, v164
	v_cmp_gt_i32_e64 s15, s28, v165
	v_dual_mul_f32 v168, s33, v136 :: v_dual_mul_f32 v169, s33, v135
	s_delay_alu instid0(VALU_DEP_4) | instskip(NEXT) | instid1(VALU_DEP_4)
	v_max3_f32 v143, v143, v144, v145
	v_cndmask_b32_e64 v146, 0xff7fffff, v171, s13
	s_delay_alu instid0(VALU_DEP_4) | instskip(SKIP_3) | instid1(VALU_DEP_4)
	v_cndmask_b32_e64 v147, 0xff7fffff, v170, s15
	v_cmp_gt_i32_e64 s16, s28, v166
	v_cmp_gt_i32_e64 s17, s28, v167
	v_lshlrev_b32_e32 v154, 2, v151
	v_max3_f32 v143, v143, v146, v147
	s_delay_alu instid0(VALU_DEP_4) | instskip(NEXT) | instid1(VALU_DEP_4)
	v_cndmask_b32_e64 v144, 0xff7fffff, v169, s16
	v_cndmask_b32_e64 v145, 0xff7fffff, v168, s17
	s_delay_alu instid0(VALU_DEP_1) | instskip(SKIP_3) | instid1(VALU_DEP_1)
	v_max3_f32 v143, v143, v144, v145
	ds_bpermute_b32 v144, v154, v143
	s_waitcnt lgkmcnt(0)
	v_max_f32_e32 v144, v144, v144
	v_max_f32_e32 v153, v143, v144
	s_delay_alu instid0(VALU_DEP_1) | instskip(SKIP_4) | instid1(VALU_DEP_4)
	v_fma_f32 v143, s33, v191, -v153
	v_fma_f32 v144, s33, v192, -v153
	;; [unrolled: 1-line block ×5, first 2 shown]
	v_dual_mul_f32 v143, 0x3fb8aa3b, v143 :: v_dual_mul_f32 v144, 0x3fb8aa3b, v144
	s_delay_alu instid0(VALU_DEP_4) | instskip(SKIP_2) | instid1(VALU_DEP_4)
	v_mul_f32_e32 v130, 0x3fb8aa3b, v130
	v_fma_f32 v132, s33, v132, -v153
	v_mul_f32_e32 v145, 0x3fb8aa3b, v145
	v_exp_f32_e32 v143, v143
	v_exp_f32_e32 v147, v144
	v_fma_f32 v148, s33, v195, -v153
	v_mul_f32_e32 v132, 0x3fb8aa3b, v132
	v_mul_f32_e32 v146, 0x3fb8aa3b, v146
	v_exp_f32_e32 v145, v145
	v_fma_f32 v151, s33, v197, -v153
	v_mul_f32_e32 v148, 0x3fb8aa3b, v148
	v_fma_f32 v134, s33, v134, -v153
	v_exp_f32_e32 v149, v146
	v_cndmask_b32_e32 v144, 0, v143, vcc_lo
	v_fma_f32 v143, s33, v196, -v153
	v_cndmask_b32_e64 v146, 0, v147, s2
	v_exp_f32_e32 v148, v148
	s_delay_alu instid0(VALU_DEP_3) | instskip(NEXT) | instid1(VALU_DEP_3)
	v_dual_mul_f32 v151, 0x3fb8aa3b, v151 :: v_dual_add_f32 v150, 0, v144
	v_dual_mul_f32 v143, 0x3fb8aa3b, v143 :: v_dual_mul_f32 v134, 0x3fb8aa3b, v134
	v_cndmask_b32_e64 v147, 0, v145, s3
	s_delay_alu instid0(TRANS32_DEP_2) | instskip(NEXT) | instid1(VALU_DEP_4)
	v_cndmask_b32_e64 v149, 0, v149, s4
	v_add_f32_e32 v145, v150, v146
	v_fma_f32 v150, s33, v198, -v153
	v_exp_f32_e32 v143, v143
	v_fma_f32 v129, s33, v129, -v153
	v_exp_f32_e32 v155, v151
	s_delay_alu instid0(VALU_DEP_2) | instskip(SKIP_1) | instid1(VALU_DEP_3)
	v_dual_add_f32 v145, v145, v147 :: v_dual_mul_f32 v152, 0x3fb8aa3b, v150
	v_cndmask_b32_e64 v150, 0, v148, s5
	v_mul_f32_e32 v129, 0x3fb8aa3b, v129
	v_fma_f32 v131, s33, v131, -v153
	s_delay_alu instid0(VALU_DEP_4) | instskip(SKIP_1) | instid1(TRANS32_DEP_3)
	v_add_f32_e32 v145, v145, v149
	v_exp_f32_e32 v152, v152
	v_cndmask_b32_e64 v151, 0, v143, s6
	v_exp_f32_e32 v129, v129
	s_delay_alu instid0(TRANS32_DEP_3)
	v_cndmask_b32_e64 v148, 0, v155, s7
	v_add_f32_e32 v143, v145, v150
	v_mul_f32_e32 v131, 0x3fb8aa3b, v131
	v_exp_f32_e32 v130, v130
	v_fma_f32 v133, s33, v133, -v153
	v_fma_f32 v136, s33, v136, -v153
	v_add_f32_e32 v143, v143, v151
	v_cndmask_b32_e64 v152, 0, v152, s8
	v_exp_f32_e32 v145, v131
	v_cndmask_b32_e64 v131, 0, v129, s9
	v_mul_f32_e32 v133, 0x3fb8aa3b, v133
	v_add_f32_e32 v143, v143, v148
	v_cmp_gt_u32_e64 s2, 16, v142
	s_delay_alu instid0(VALU_DEP_2)
	v_add_f32_e32 v129, v143, v152
	v_exp_f32_e32 v143, v132
	v_cndmask_b32_e64 v132, 0, v130, s10
	v_fma_f32 v130, s33, v135, -v153
	v_exp_f32_e32 v135, v133
	v_add_f32_e32 v129, v129, v131
	v_cndmask_b32_e64 v133, 0, v145, s11
	v_exp_f32_e32 v145, v134
	s_delay_alu instid0(VALU_DEP_2) | instskip(NEXT) | instid1(TRANS32_DEP_3)
	v_dual_mul_f32 v130, 0x3fb8aa3b, v130 :: v_dual_add_f32 v129, v129, v132
	v_cndmask_b32_e64 v134, 0, v143, s12
	v_mul_f32_e32 v143, 0x3fb8aa3b, v136
	s_delay_alu instid0(VALU_DEP_3) | instskip(NEXT) | instid1(TRANS32_DEP_3)
	v_exp_f32_e32 v130, v130
	v_cndmask_b32_e64 v135, 0, v135, s13
	v_add_f32_e32 v129, v129, v133
	s_delay_alu instid0(TRANS32_DEP_2) | instskip(SKIP_1) | instid1(VALU_DEP_2)
	v_cndmask_b32_e64 v136, 0, v145, s15
	v_exp_f32_e32 v145, v143
	v_add_f32_e32 v129, v129, v134
	s_waitcnt_depctr 0xfff
	v_cndmask_b32_e64 v143, 0, v130, s16
	v_add_f32_e32 v129, v129, v135
	v_cndmask_b32_e64 v145, 0, v145, s17
	s_delay_alu instid0(VALU_DEP_2) | instskip(NEXT) | instid1(VALU_DEP_1)
	v_add_f32_e32 v129, v129, v136
	v_add_f32_e32 v129, v129, v143
	s_delay_alu instid0(VALU_DEP_1)
	v_add_f32_e32 v129, v129, v145
	ds_bpermute_b32 v130, v154, v129
	s_and_saveexec_b32 s3, s2
	s_cbranch_execz .LBB684_12
; %bb.11:
	v_mul_u32_u24_e32 v142, 0x44, v141
	s_waitcnt lgkmcnt(0)
	v_add_f32_e32 v129, v129, v130
	s_delay_alu instid0(VALU_DEP_2) | instskip(NEXT) | instid1(VALU_DEP_1)
	v_lshl_add_u32 v142, v140, 2, v142
	v_add_nc_u32_e32 v130, 0x4000, v142
	ds_store_2addr_b32 v130, v153, v129 offset1:136
.LBB684_12:
	s_or_b32 exec_lo, exec_lo, s3
	v_lshlrev_b32_e32 v129, 2, v140
	s_waitcnt lgkmcnt(0)
	s_barrier
	buffer_gl0_inv
	v_cmp_eq_u32_e64 s3, 1, v141
	v_add_nc_u32_e32 v142, 0x4000, v129
	ds_load_2addr_b32 v[153:154], v142 offset1:17
	ds_load_2addr_b32 v[155:156], v142 offset0:34 offset1:51
	ds_load_2addr_b32 v[157:158], v142 offset0:68 offset1:85
	;; [unrolled: 1-line block ×4, first 2 shown]
	s_waitcnt lgkmcnt(4)
	v_max3_f32 v129, v153, 0xff7fffff, v154
	s_waitcnt lgkmcnt(3)
	s_delay_alu instid0(VALU_DEP_1) | instskip(SKIP_1) | instid1(VALU_DEP_1)
	v_max3_f32 v129, v129, v155, v156
	s_waitcnt lgkmcnt(2)
	v_max3_f32 v129, v129, v157, v158
	s_waitcnt lgkmcnt(1)
	s_delay_alu instid0(VALU_DEP_1) | instskip(NEXT) | instid1(VALU_DEP_1)
	v_max3_f32 v129, v129, v159, v160
	v_sub_f32_e32 v163, v154, v129
	v_sub_f32_e32 v130, v153, v129
	ds_load_2addr_b32 v[153:154], v142 offset0:170 offset1:187
	v_sub_f32_e32 v155, v155, v129
	v_dual_mul_f32 v163, 0x3fb8aa3b, v163 :: v_dual_mul_f32 v130, 0x3fb8aa3b, v130
	s_delay_alu instid0(VALU_DEP_2) | instskip(NEXT) | instid1(VALU_DEP_2)
	v_mul_f32_e32 v165, 0x3fb8aa3b, v155
	v_exp_f32_e32 v163, v163
	s_delay_alu instid0(VALU_DEP_2)
	v_exp_f32_e32 v164, v130
	v_sub_f32_e32 v130, v156, v129
	ds_load_2addr_b32 v[155:156], v142 offset0:204 offset1:221
	v_exp_f32_e32 v165, v165
	v_mul_f32_e32 v166, 0x3fb8aa3b, v130
	s_waitcnt lgkmcnt(2)
	v_fma_f32 v130, v164, v161, 0
	v_sub_f32_e32 v157, v157, v129
	s_delay_alu instid0(VALU_DEP_3) | instskip(NEXT) | instid1(VALU_DEP_2)
	v_exp_f32_e32 v166, v166
	v_dual_sub_f32 v161, v158, v129 :: v_dual_fmac_f32 v130, v163, v162
	s_waitcnt lgkmcnt(1)
	s_waitcnt_depctr 0xfff
	v_fmac_f32_e32 v130, v165, v153
	v_mul_f32_e32 v167, 0x3fb8aa3b, v157
	ds_load_2addr_b32 v[157:158], v142 offset0:238 offset1:255
	v_sub_f32_e32 v142, v159, v129
	v_dual_sub_f32 v153, v160, v129 :: v_dual_fmac_f32 v130, v166, v154
	v_mul_f32_e32 v159, 0x3fb8aa3b, v161
	v_exp_f32_e32 v161, v167
	s_delay_alu instid0(VALU_DEP_2)
	v_dual_mul_f32 v142, 0x3fb8aa3b, v142 :: v_dual_mul_f32 v153, 0x3fb8aa3b, v153
	s_waitcnt lgkmcnt(0)
	s_barrier
	buffer_gl0_inv
	v_exp_f32_e32 v142, v142
	v_exp_f32_e32 v153, v153
	v_fmac_f32_e32 v130, v161, v155
	v_exp_f32_e32 v159, v159
	s_waitcnt_depctr 0xfff
	v_fmac_f32_e32 v130, v159, v156
	s_delay_alu instid0(VALU_DEP_1) | instskip(NEXT) | instid1(VALU_DEP_1)
	v_fmac_f32_e32 v130, v142, v157
	v_fmac_f32_e32 v130, v153, v158
	s_delay_alu instid0(VALU_DEP_1) | instskip(NEXT) | instid1(VALU_DEP_1)
	v_add_f32_e32 v154, 0x358637bd, v130
	v_div_scale_f32 v155, null, v154, v154, 1.0
	v_div_scale_f32 v158, vcc_lo, 1.0, v154, 1.0
	s_delay_alu instid0(VALU_DEP_2) | instskip(SKIP_2) | instid1(VALU_DEP_1)
	v_rcp_f32_e32 v156, v155
	s_waitcnt_depctr 0xfff
	v_fma_f32 v157, -v155, v156, 1.0
	v_fmac_f32_e32 v156, v157, v156
	v_cndmask_b32_e64 v157, v164, v163, s3
	v_cmp_eq_u32_e64 s3, 2, v141
	s_delay_alu instid0(VALU_DEP_3) | instskip(NEXT) | instid1(VALU_DEP_2)
	v_mul_f32_e32 v160, v158, v156
	v_cndmask_b32_e64 v157, v157, v165, s3
	v_cmp_eq_u32_e64 s3, 3, v141
	s_delay_alu instid0(VALU_DEP_3) | instskip(NEXT) | instid1(VALU_DEP_2)
	v_fma_f32 v162, -v155, v160, v158
	v_cndmask_b32_e64 v157, v157, v166, s3
	v_cmp_eq_u32_e64 s3, 4, v141
	s_delay_alu instid0(VALU_DEP_3) | instskip(NEXT) | instid1(VALU_DEP_2)
	v_fmac_f32_e32 v160, v162, v156
	v_cndmask_b32_e64 v157, v157, v161, s3
	s_delay_alu instid0(VALU_DEP_2) | instskip(SKIP_1) | instid1(VALU_DEP_2)
	v_fma_f32 v155, -v155, v160, v158
	v_cmp_eq_u32_e64 s3, 5, v141
	v_div_fmas_f32 v155, v155, v156, v160
	s_delay_alu instid0(VALU_DEP_2) | instskip(SKIP_2) | instid1(VALU_DEP_3)
	v_cndmask_b32_e64 v157, v157, v159, s3
	v_cmp_eq_u32_e32 vcc_lo, 6, v141
	s_mov_b32 s3, exec_lo
	v_div_fixup_f32 v154, v155, v154, 1.0
	s_delay_alu instid0(VALU_DEP_3) | instskip(SKIP_1) | instid1(VALU_DEP_2)
	v_cndmask_b32_e32 v142, v157, v142, vcc_lo
	v_cmp_eq_u32_e32 vcc_lo, 7, v141
	v_cndmask_b32_e32 v142, v142, v153, vcc_lo
	s_delay_alu instid0(VALU_DEP_1) | instskip(NEXT) | instid1(VALU_DEP_1)
	v_mul_f32_e32 v142, v142, v154
	v_mul_f32_e32 v153, v142, v149
	;; [unrolled: 1-line block ×7, first 2 shown]
	v_dual_mul_f32 v150, v142, v147 :: v_dual_and_b32 v155, 0x7f800000, v154
	v_mul_f32_e32 v149, v142, v146
                                        ; implicit-def: $vgpr146
	s_delay_alu instid0(VALU_DEP_2)
	v_cmpx_ne_u32_e32 0x7f800000, v155
	s_xor_b32 s3, exec_lo, s3
; %bb.13:
	v_bfe_u32 v146, v154, 16, 1
	s_delay_alu instid0(VALU_DEP_1)
	v_add3_u32 v146, v154, v146, 0x7fff
                                        ; implicit-def: $vgpr154
; %bb.14:
	s_and_not1_saveexec_b32 s3, s3
; %bb.15:
	v_and_b32_e32 v146, 0xffff, v154
	v_or_b32_e32 v147, 0x10000, v154
	s_delay_alu instid0(VALU_DEP_2) | instskip(NEXT) | instid1(VALU_DEP_2)
	v_cmp_eq_u32_e32 vcc_lo, 0, v146
	v_cndmask_b32_e32 v146, v147, v154, vcc_lo
; %bb.16:
	s_or_b32 exec_lo, exec_lo, s3
	v_and_b32_e32 v147, 0x7f800000, v149
	s_delay_alu instid0(VALU_DEP_1) | instskip(SKIP_1) | instid1(SALU_CYCLE_1)
	v_cmp_ne_u32_e32 vcc_lo, 0x7f800000, v147
                                        ; implicit-def: $vgpr147
	s_and_saveexec_b32 s3, vcc_lo
	s_xor_b32 s3, exec_lo, s3
; %bb.17:
	v_bfe_u32 v147, v149, 16, 1
	s_delay_alu instid0(VALU_DEP_1)
	v_add3_u32 v147, v149, v147, 0x7fff
                                        ; implicit-def: $vgpr149
; %bb.18:
	s_and_not1_saveexec_b32 s3, s3
; %bb.19:
	v_and_b32_e32 v147, 0xffff, v149
	v_or_b32_e32 v154, 0x10000, v149
	s_delay_alu instid0(VALU_DEP_2) | instskip(NEXT) | instid1(VALU_DEP_2)
	v_cmp_eq_u32_e32 vcc_lo, 0, v147
	v_cndmask_b32_e32 v147, v154, v149, vcc_lo
; %bb.20:
	s_or_b32 exec_lo, exec_lo, s3
	v_and_b32_e32 v149, 0x7f800000, v150
	s_delay_alu instid0(VALU_DEP_1) | instskip(SKIP_1) | instid1(SALU_CYCLE_1)
	v_cmp_ne_u32_e32 vcc_lo, 0x7f800000, v149
                                        ; implicit-def: $vgpr149
	s_and_saveexec_b32 s3, vcc_lo
	s_xor_b32 s3, exec_lo, s3
; %bb.21:
	v_bfe_u32 v149, v150, 16, 1
	s_delay_alu instid0(VALU_DEP_1)
	v_add3_u32 v149, v150, v149, 0x7fff
                                        ; implicit-def: $vgpr150
; %bb.22:
	s_and_not1_saveexec_b32 s3, s3
; %bb.23:
	v_and_b32_e32 v149, 0xffff, v150
	v_or_b32_e32 v154, 0x10000, v150
	s_delay_alu instid0(VALU_DEP_2) | instskip(NEXT) | instid1(VALU_DEP_2)
	v_cmp_eq_u32_e32 vcc_lo, 0, v149
	v_cndmask_b32_e32 v149, v154, v150, vcc_lo
; %bb.24:
	s_or_b32 exec_lo, exec_lo, s3
	v_and_b32_e32 v150, 0x7f800000, v153
	s_delay_alu instid0(VALU_DEP_1) | instskip(SKIP_1) | instid1(SALU_CYCLE_1)
	v_cmp_ne_u32_e32 vcc_lo, 0x7f800000, v150
                                        ; implicit-def: $vgpr150
	s_and_saveexec_b32 s3, vcc_lo
	s_xor_b32 s3, exec_lo, s3
; %bb.25:
	v_bfe_u32 v150, v153, 16, 1
	s_delay_alu instid0(VALU_DEP_1)
	v_add3_u32 v150, v153, v150, 0x7fff
                                        ; implicit-def: $vgpr153
; %bb.26:
	s_and_not1_saveexec_b32 s3, s3
; %bb.27:
	v_and_b32_e32 v150, 0xffff, v153
	v_or_b32_e32 v154, 0x10000, v153
	s_delay_alu instid0(VALU_DEP_2) | instskip(NEXT) | instid1(VALU_DEP_2)
	v_cmp_eq_u32_e32 vcc_lo, 0, v150
	v_cndmask_b32_e32 v150, v154, v153, vcc_lo
; %bb.28:
	s_or_b32 exec_lo, exec_lo, s3
	v_and_b32_e32 v153, 0x7f800000, v152
	s_delay_alu instid0(VALU_DEP_1) | instskip(SKIP_1) | instid1(SALU_CYCLE_1)
	v_cmp_ne_u32_e32 vcc_lo, 0x7f800000, v153
                                        ; implicit-def: $vgpr153
	s_and_saveexec_b32 s3, vcc_lo
	s_xor_b32 s3, exec_lo, s3
; %bb.29:
	v_bfe_u32 v153, v152, 16, 1
	s_delay_alu instid0(VALU_DEP_1)
	v_add3_u32 v153, v152, v153, 0x7fff
                                        ; implicit-def: $vgpr152
; %bb.30:
	s_and_not1_saveexec_b32 s3, s3
; %bb.31:
	v_and_b32_e32 v153, 0xffff, v152
	v_or_b32_e32 v154, 0x10000, v152
	s_delay_alu instid0(VALU_DEP_2) | instskip(NEXT) | instid1(VALU_DEP_2)
	v_cmp_eq_u32_e32 vcc_lo, 0, v153
	v_cndmask_b32_e32 v153, v154, v152, vcc_lo
; %bb.32:
	s_or_b32 exec_lo, exec_lo, s3
	v_and_b32_e32 v152, 0x7f800000, v151
	s_delay_alu instid0(VALU_DEP_1) | instskip(SKIP_1) | instid1(SALU_CYCLE_1)
	v_cmp_ne_u32_e32 vcc_lo, 0x7f800000, v152
                                        ; implicit-def: $vgpr152
	s_and_saveexec_b32 s3, vcc_lo
	s_xor_b32 s3, exec_lo, s3
; %bb.33:
	v_bfe_u32 v152, v151, 16, 1
	s_delay_alu instid0(VALU_DEP_1)
	v_add3_u32 v152, v151, v152, 0x7fff
                                        ; implicit-def: $vgpr151
; %bb.34:
	s_and_not1_saveexec_b32 s3, s3
; %bb.35:
	v_and_b32_e32 v152, 0xffff, v151
	v_or_b32_e32 v154, 0x10000, v151
	s_delay_alu instid0(VALU_DEP_2) | instskip(NEXT) | instid1(VALU_DEP_2)
	v_cmp_eq_u32_e32 vcc_lo, 0, v152
	v_cndmask_b32_e32 v152, v154, v151, vcc_lo
; %bb.36:
	s_or_b32 exec_lo, exec_lo, s3
	v_and_b32_e32 v151, 0x7f800000, v148
	s_delay_alu instid0(VALU_DEP_1) | instskip(SKIP_1) | instid1(SALU_CYCLE_1)
	v_cmp_ne_u32_e32 vcc_lo, 0x7f800000, v151
                                        ; implicit-def: $vgpr151
	s_and_saveexec_b32 s3, vcc_lo
	s_xor_b32 s3, exec_lo, s3
; %bb.37:
	v_bfe_u32 v151, v148, 16, 1
	s_delay_alu instid0(VALU_DEP_1)
	v_add3_u32 v151, v148, v151, 0x7fff
                                        ; implicit-def: $vgpr148
; %bb.38:
	s_and_not1_saveexec_b32 s3, s3
; %bb.39:
	v_and_b32_e32 v151, 0xffff, v148
	v_or_b32_e32 v154, 0x10000, v148
	s_delay_alu instid0(VALU_DEP_2) | instskip(NEXT) | instid1(VALU_DEP_2)
	v_cmp_eq_u32_e32 vcc_lo, 0, v151
	v_cndmask_b32_e32 v151, v154, v148, vcc_lo
; %bb.40:
	s_or_b32 exec_lo, exec_lo, s3
	v_and_b32_e32 v148, 0x7f800000, v144
	s_delay_alu instid0(VALU_DEP_1) | instskip(SKIP_1) | instid1(SALU_CYCLE_1)
	v_cmp_ne_u32_e32 vcc_lo, 0x7f800000, v148
                                        ; implicit-def: $vgpr148
	s_and_saveexec_b32 s3, vcc_lo
	s_xor_b32 s3, exec_lo, s3
; %bb.41:
	v_bfe_u32 v148, v144, 16, 1
	s_delay_alu instid0(VALU_DEP_1)
	v_add3_u32 v148, v144, v148, 0x7fff
                                        ; implicit-def: $vgpr144
; %bb.42:
	s_and_not1_saveexec_b32 s3, s3
; %bb.43:
	v_and_b32_e32 v148, 0xffff, v144
	v_or_b32_e32 v154, 0x10000, v144
	s_delay_alu instid0(VALU_DEP_2) | instskip(NEXT) | instid1(VALU_DEP_2)
	v_cmp_eq_u32_e32 vcc_lo, 0, v148
	v_cndmask_b32_e32 v148, v154, v144, vcc_lo
; %bb.44:
	s_or_b32 exec_lo, exec_lo, s3
	s_load_b64 s[34:35], s[0:1], 0x94
	v_lshlrev_b32_e32 v155, 4, v138
	s_delay_alu instid0(VALU_DEP_2)
	v_perm_b32 v154, v148, v151, 0x7060302
	v_mul_f32_e32 v148, v142, v131
	v_dual_mul_f32 v145, v142, v145 :: v_dual_lshlrev_b32 v144, 6, v140
	v_dual_mul_f32 v143, v142, v143 :: v_dual_lshlrev_b32 v156, 11, v141
	v_perm_b32 v153, v152, v153, 0x7060302
	v_perm_b32 v152, v150, v149, 0x7060302
	;; [unrolled: 1-line block ×3, first 2 shown]
	s_delay_alu instid0(VALU_DEP_4)
	v_or3_b32 v131, v155, v156, v144
	v_mul_f32_e32 v136, v142, v136
	v_dual_mul_f32 v146, v142, v134 :: v_dual_and_b32 v149, 0x7f800000, v148
	v_mul_f32_e32 v135, v142, v135
	v_mul_f32_e32 v147, v142, v133
	;; [unrolled: 1-line block ×3, first 2 shown]
	s_mov_b32 s3, exec_lo
	ds_store_b128 v131, v[151:154]
                                        ; implicit-def: $vgpr132
	v_cmpx_ne_u32_e32 0x7f800000, v149
	s_xor_b32 s3, exec_lo, s3
; %bb.45:
	v_bfe_u32 v132, v148, 16, 1
	s_delay_alu instid0(VALU_DEP_1)
	v_add3_u32 v132, v148, v132, 0x7fff
                                        ; implicit-def: $vgpr148
; %bb.46:
	s_and_not1_saveexec_b32 s3, s3
; %bb.47:
	v_and_b32_e32 v132, 0xffff, v148
	v_or_b32_e32 v133, 0x10000, v148
	s_delay_alu instid0(VALU_DEP_2) | instskip(NEXT) | instid1(VALU_DEP_2)
	v_cmp_eq_u32_e32 vcc_lo, 0, v132
	v_cndmask_b32_e32 v132, v133, v148, vcc_lo
; %bb.48:
	s_or_b32 exec_lo, exec_lo, s3
	v_and_b32_e32 v133, 0x7f800000, v134
	s_delay_alu instid0(VALU_DEP_1) | instskip(SKIP_1) | instid1(SALU_CYCLE_1)
	v_cmp_ne_u32_e32 vcc_lo, 0x7f800000, v133
                                        ; implicit-def: $vgpr133
	s_and_saveexec_b32 s3, vcc_lo
	s_xor_b32 s3, exec_lo, s3
; %bb.49:
	v_bfe_u32 v133, v134, 16, 1
	s_delay_alu instid0(VALU_DEP_1)
	v_add3_u32 v133, v134, v133, 0x7fff
                                        ; implicit-def: $vgpr134
; %bb.50:
	s_and_not1_saveexec_b32 s3, s3
; %bb.51:
	v_and_b32_e32 v133, 0xffff, v134
	v_or_b32_e32 v142, 0x10000, v134
	s_delay_alu instid0(VALU_DEP_2) | instskip(NEXT) | instid1(VALU_DEP_2)
	v_cmp_eq_u32_e32 vcc_lo, 0, v133
	v_cndmask_b32_e32 v133, v142, v134, vcc_lo
; %bb.52:
	s_or_b32 exec_lo, exec_lo, s3
	v_and_b32_e32 v134, 0x7f800000, v147
	s_delay_alu instid0(VALU_DEP_1) | instskip(SKIP_1) | instid1(SALU_CYCLE_1)
	v_cmp_ne_u32_e32 vcc_lo, 0x7f800000, v134
                                        ; implicit-def: $vgpr134
	s_and_saveexec_b32 s3, vcc_lo
	s_xor_b32 s3, exec_lo, s3
; %bb.53:
	v_bfe_u32 v134, v147, 16, 1
	s_delay_alu instid0(VALU_DEP_1)
	v_add3_u32 v134, v147, v134, 0x7fff
                                        ; implicit-def: $vgpr147
; %bb.54:
	s_and_not1_saveexec_b32 s3, s3
; %bb.55:
	v_and_b32_e32 v134, 0xffff, v147
	v_or_b32_e32 v142, 0x10000, v147
	s_delay_alu instid0(VALU_DEP_2) | instskip(NEXT) | instid1(VALU_DEP_2)
	v_cmp_eq_u32_e32 vcc_lo, 0, v134
	v_cndmask_b32_e32 v134, v142, v147, vcc_lo
; %bb.56:
	s_or_b32 exec_lo, exec_lo, s3
	v_and_b32_e32 v142, 0x7f800000, v146
	s_delay_alu instid0(VALU_DEP_1) | instskip(SKIP_1) | instid1(SALU_CYCLE_1)
	v_cmp_ne_u32_e32 vcc_lo, 0x7f800000, v142
                                        ; implicit-def: $vgpr142
	s_and_saveexec_b32 s3, vcc_lo
	s_xor_b32 s3, exec_lo, s3
; %bb.57:
	v_bfe_u32 v142, v146, 16, 1
	s_delay_alu instid0(VALU_DEP_1)
	v_add3_u32 v142, v146, v142, 0x7fff
                                        ; implicit-def: $vgpr146
; %bb.58:
	s_and_not1_saveexec_b32 s3, s3
; %bb.59:
	v_and_b32_e32 v142, 0xffff, v146
	v_or_b32_e32 v147, 0x10000, v146
	s_delay_alu instid0(VALU_DEP_2) | instskip(NEXT) | instid1(VALU_DEP_2)
	v_cmp_eq_u32_e32 vcc_lo, 0, v142
	v_cndmask_b32_e32 v142, v147, v146, vcc_lo
; %bb.60:
	s_or_b32 exec_lo, exec_lo, s3
	v_and_b32_e32 v146, 0x7f800000, v135
	s_delay_alu instid0(VALU_DEP_1) | instskip(SKIP_1) | instid1(SALU_CYCLE_1)
	v_cmp_ne_u32_e32 vcc_lo, 0x7f800000, v146
                                        ; implicit-def: $vgpr146
	s_and_saveexec_b32 s3, vcc_lo
	s_xor_b32 s3, exec_lo, s3
; %bb.61:
	v_bfe_u32 v146, v135, 16, 1
	s_delay_alu instid0(VALU_DEP_1)
	v_add3_u32 v146, v135, v146, 0x7fff
                                        ; implicit-def: $vgpr135
; %bb.62:
	s_and_not1_saveexec_b32 s3, s3
; %bb.63:
	v_and_b32_e32 v146, 0xffff, v135
	v_or_b32_e32 v147, 0x10000, v135
	s_delay_alu instid0(VALU_DEP_2) | instskip(NEXT) | instid1(VALU_DEP_2)
	v_cmp_eq_u32_e32 vcc_lo, 0, v146
	v_cndmask_b32_e32 v146, v147, v135, vcc_lo
; %bb.64:
	s_or_b32 exec_lo, exec_lo, s3
	v_and_b32_e32 v135, 0x7f800000, v136
	s_delay_alu instid0(VALU_DEP_1) | instskip(SKIP_1) | instid1(SALU_CYCLE_1)
	v_cmp_ne_u32_e32 vcc_lo, 0x7f800000, v135
                                        ; implicit-def: $vgpr135
	s_and_saveexec_b32 s3, vcc_lo
	s_xor_b32 s3, exec_lo, s3
; %bb.65:
	v_bfe_u32 v135, v136, 16, 1
	s_delay_alu instid0(VALU_DEP_1)
	v_add3_u32 v135, v136, v135, 0x7fff
                                        ; implicit-def: $vgpr136
; %bb.66:
	s_and_not1_saveexec_b32 s3, s3
; %bb.67:
	v_and_b32_e32 v135, 0xffff, v136
	v_or_b32_e32 v147, 0x10000, v136
	s_delay_alu instid0(VALU_DEP_2) | instskip(NEXT) | instid1(VALU_DEP_2)
	v_cmp_eq_u32_e32 vcc_lo, 0, v135
	v_cndmask_b32_e32 v135, v147, v136, vcc_lo
; %bb.68:
	s_or_b32 exec_lo, exec_lo, s3
	v_and_b32_e32 v136, 0x7f800000, v143
	s_delay_alu instid0(VALU_DEP_1) | instskip(SKIP_1) | instid1(SALU_CYCLE_1)
	v_cmp_ne_u32_e32 vcc_lo, 0x7f800000, v136
                                        ; implicit-def: $vgpr136
	s_and_saveexec_b32 s3, vcc_lo
	s_xor_b32 s3, exec_lo, s3
; %bb.69:
	v_bfe_u32 v136, v143, 16, 1
	s_delay_alu instid0(VALU_DEP_1)
	v_add3_u32 v136, v143, v136, 0x7fff
                                        ; implicit-def: $vgpr143
; %bb.70:
	s_and_not1_saveexec_b32 s3, s3
; %bb.71:
	v_and_b32_e32 v136, 0xffff, v143
	v_or_b32_e32 v147, 0x10000, v143
	s_delay_alu instid0(VALU_DEP_2) | instskip(NEXT) | instid1(VALU_DEP_2)
	v_cmp_eq_u32_e32 vcc_lo, 0, v136
	v_cndmask_b32_e32 v136, v147, v143, vcc_lo
; %bb.72:
	s_or_b32 exec_lo, exec_lo, s3
	v_and_b32_e32 v143, 0x7f800000, v145
	s_delay_alu instid0(VALU_DEP_1) | instskip(SKIP_1) | instid1(SALU_CYCLE_1)
	v_cmp_ne_u32_e32 vcc_lo, 0x7f800000, v143
                                        ; implicit-def: $vgpr143
	s_and_saveexec_b32 s3, vcc_lo
	s_xor_b32 s3, exec_lo, s3
; %bb.73:
	v_bfe_u32 v143, v145, 16, 1
	s_delay_alu instid0(VALU_DEP_1)
	v_add3_u32 v143, v145, v143, 0x7fff
                                        ; implicit-def: $vgpr145
; %bb.74:
	s_and_not1_saveexec_b32 s3, s3
; %bb.75:
	v_and_b32_e32 v143, 0xffff, v145
	v_or_b32_e32 v147, 0x10000, v145
	s_delay_alu instid0(VALU_DEP_2) | instskip(NEXT) | instid1(VALU_DEP_2)
	v_cmp_eq_u32_e32 vcc_lo, 0, v143
	v_cndmask_b32_e32 v143, v147, v145, vcc_lo
; %bb.76:
	s_or_b32 exec_lo, exec_lo, s3
	s_delay_alu instid0(VALU_DEP_1)
	v_perm_b32 v136, v143, v136, 0x7060302
	v_perm_b32 v135, v135, v146, 0x7060302
	;; [unrolled: 1-line block ×4, first 2 shown]
	v_lshl_or_b32 v145, v141, 11, v144
	v_lshlrev_b32_e32 v142, 2, v138
	ds_store_b128 v131, v[133:136] offset:1024
	s_waitcnt lgkmcnt(0)
	s_barrier
	buffer_gl0_inv
	ds_load_b128 v[132:135], v145
	ds_load_b128 v[147:150], v145 offset:16
	v_or_b32_e32 v143, 1, v142
	v_cmp_eq_u32_e64 s12, 1, v142
	v_cmp_eq_u32_e64 s11, 2, v142
	;; [unrolled: 1-line block ×3, first 2 shown]
	v_or_b32_e32 v141, 2, v142
	v_cmp_eq_u32_e64 s7, 1, v143
	v_cmp_eq_u32_e64 s6, 2, v143
	;; [unrolled: 1-line block ×8, first 2 shown]
	v_cmp_eq_u32_e32 vcc_lo, 5, v143
	v_cmp_eq_u32_e64 s10, 2, v141
	v_cmp_eq_u32_e64 s4, 6, v143
	;; [unrolled: 1-line block ×4, first 2 shown]
	s_waitcnt lgkmcnt(1)
	v_lshrrev_b32_e32 v136, 16, v132
	s_waitcnt lgkmcnt(0)
	v_lshrrev_b32_e32 v155, 16, v147
	v_lshrrev_b32_e32 v161, 16, v148
	;; [unrolled: 1-line block ×4, first 2 shown]
	v_cndmask_b32_e64 v146, v132, v136, s12
	v_cndmask_b32_e64 v151, v147, v155, s12
	;; [unrolled: 1-line block ×4, first 2 shown]
	v_lshrrev_b32_e32 v160, 16, v134
	v_cndmask_b32_e64 v146, v146, v133, s11
	v_cndmask_b32_e64 v151, v151, v148, s11
	v_cndmask_b32_e64 v152, v152, v133, s6
	v_cndmask_b32_e64 v153, v153, v148, s6
	v_cndmask_b32_e64 v154, v132, v136, s8
	v_cndmask_b32_e64 v146, v146, v159, s16
	v_cndmask_b32_e64 v151, v151, v161, s16
	v_cndmask_b32_e64 v152, v152, v159, s5
	v_lshrrev_b32_e32 v164, 16, v150
	v_cndmask_b32_e64 v153, v153, v161, s5
	v_cndmask_b32_e64 v146, v146, v134, s17
	;; [unrolled: 1-line block ×5, first 2 shown]
	v_lshrrev_b32_e32 v162, 16, v135
	v_cndmask_b32_e64 v146, v146, v160, s13
	v_cndmask_b32_e64 v151, v151, v163, s13
	v_cndmask_b32_e32 v152, v152, v160, vcc_lo
	v_cndmask_b32_e64 v153, v153, v149, s3
	v_cmp_eq_u32_e64 s19, 7, v143
	v_cndmask_b32_e64 v146, v146, v135, s15
	v_cndmask_b32_e64 v151, v151, v150, s15
	;; [unrolled: 1-line block ×4, first 2 shown]
	v_cmp_eq_u32_e64 s20, 4, v141
	v_cndmask_b32_e64 v165, v146, v162, s9
	v_cndmask_b32_e64 v166, v151, v164, s9
	;; [unrolled: 1-line block ×3, first 2 shown]
	v_or_b32_e32 v146, 3, v142
	v_cndmask_b32_e64 v167, v152, v162, s19
	v_cndmask_b32_e32 v156, v153, v163, vcc_lo
	v_cndmask_b32_e64 v158, v154, v134, s20
	v_cndmask_b32_e64 v157, v151, v148, s10
	ds_load_b128 v[151:154], v145 offset:1024
	v_cmp_eq_u32_e64 s21, 1, v146
	v_cmp_eq_u32_e64 s22, 5, v141
	;; [unrolled: 1-line block ×3, first 2 shown]
	v_cndmask_b32_e64 v157, v157, v161, s18
	v_cmp_eq_u32_e64 s24, 3, v146
	v_cndmask_b32_e64 v132, v132, v136, s21
	v_cndmask_b32_e64 v136, v156, v150, s4
	;; [unrolled: 1-line block ×5, first 2 shown]
	ds_load_b128 v[155:158], v145 offset:1040
	v_cndmask_b32_e64 v132, v132, v133, s23
	v_cmp_eq_u32_e64 s26, 4, v146
	v_cmp_eq_u32_e64 s28, 5, v146
	v_cndmask_b32_e64 v147, v147, v148, s23
	v_cmp_eq_u32_e64 s25, 6, v141
	v_cndmask_b32_e64 v132, v132, v159, s24
	;; [unrolled: 2-line block ×3, first 2 shown]
	v_cndmask_b32_e64 v147, v147, v161, s24
	s_waitcnt lgkmcnt(1)
	v_lshrrev_b32_e32 v159, 16, v151
	v_cndmask_b32_e64 v132, v132, v134, s26
	v_cndmask_b32_e64 v148, v168, v135, s25
	;; [unrolled: 1-line block ×6, first 2 shown]
	v_lshrrev_b32_e32 v160, 16, v152
	v_cndmask_b32_e64 v161, v151, v159, s7
	v_cndmask_b32_e64 v134, v134, v163, s28
	s_waitcnt lgkmcnt(0)
	v_lshrrev_b32_e32 v149, 16, v155
	v_cndmask_b32_e64 v147, v147, v152, s11
	v_cndmask_b32_e64 v132, v132, v135, s29
	v_cmp_eq_u32_e64 s27, 7, v141
	v_cndmask_b32_e64 v134, v134, v150, s29
	v_cndmask_b32_e64 v163, v155, v149, s12
	;; [unrolled: 1-line block ×4, first 2 shown]
	v_lshrrev_b32_e32 v161, 16, v156
	v_cndmask_b32_e64 v136, v136, v164, s19
	v_cndmask_b32_e64 v150, v163, v156, s11
	v_cmp_eq_u32_e64 s11, 7, v146
	v_cndmask_b32_e64 v147, v147, v160, s5
	v_cndmask_b32_e64 v135, v135, v153, s17
	v_lshrrev_b32_e32 v163, 16, v153
	v_cndmask_b32_e64 v150, v150, v161, s16
	v_cndmask_b32_e64 v132, v132, v162, s11
	;; [unrolled: 1-line block ×8, first 2 shown]
	v_lshrrev_b32_e32 v164, 16, v157
	v_perm_b32 v135, v134, v132, 0x5040100
	v_cndmask_b32_e32 v132, v147, v163, vcc_lo
	v_cndmask_b32_e64 v147, v162, v154, s15
	v_lshrrev_b32_e32 v162, 16, v154
	v_cndmask_b32_e64 v150, v150, v164, s13
	v_perm_b32 v134, v133, v148, 0x5040100
	v_cndmask_b32_e64 v132, v132, v154, s4
	v_perm_b32 v133, v136, v167, 0x5040100
	v_cndmask_b32_e64 v136, v147, v162, s9
	v_cndmask_b32_e64 v147, v150, v158, s15
	;; [unrolled: 1-line block ×27, first 2 shown]
	v_cndmask_b32_e32 v149, v149, v164, vcc_lo
	v_lshrrev_b32_e32 v148, 16, v158
	v_cndmask_b32_e64 v132, v132, v154, s25
	v_cndmask_b32_e64 v150, v150, v154, s29
	;; [unrolled: 1-line block ×11, first 2 shown]
	v_perm_b32 v132, v166, v165, 0x5040100
	v_perm_b32 v150, v151, v150, 0x5040100
	;; [unrolled: 1-line block ×5, first 2 shown]
	s_mul_i32 s8, s35, 15
	s_mov_b32 s3, exec_lo
	ds_store_b128 v131, v[132:135]
	ds_store_b128 v131, v[147:150] offset:1024
	v_cmpx_gt_u32_e32 15, v0
	s_cbranch_execz .LBB684_78
; %bb.77:
	s_mul_i32 s4, s8, s30
	s_delay_alu instid0(SALU_CYCLE_1) | instskip(SKIP_1) | instid1(VALU_DEP_1)
	v_add3_u32 v133, s4, s31, v140
	s_load_b128 s[4:7], s[0:1], 0x58
	v_mad_u64_u32 v[131:132], null, v133, s34, s[14:15]
	s_delay_alu instid0(VALU_DEP_1) | instskip(NEXT) | instid1(VALU_DEP_1)
	v_ashrrev_i32_e32 v132, 31, v131
	v_lshlrev_b64 v[131:132], 2, v[131:132]
	s_waitcnt lgkmcnt(0)
	s_delay_alu instid0(VALU_DEP_1) | instskip(NEXT) | instid1(VALU_DEP_2)
	v_add_co_u32 v133, vcc_lo, s6, v131
	v_add_co_ci_u32_e32 v134, vcc_lo, s7, v132, vcc_lo
	v_add_co_u32 v131, vcc_lo, s4, v131
	v_add_co_ci_u32_e32 v132, vcc_lo, s5, v132, vcc_lo
	global_store_b32 v[133:134], v129, off
	global_store_b32 v[131:132], v130, off
.LBB684_78:
	s_or_b32 exec_lo, exec_lo, s3
	s_waitcnt lgkmcnt(0)
	s_waitcnt_vscnt null, 0x0
	s_barrier
	buffer_gl0_inv
	ds_load_b128 v[147:150], v144
	ds_load_b128 v[151:154], v144 offset:16
	ds_load_b128 v[159:162], v144 offset:1040
	;; [unrolled: 1-line block ×3, first 2 shown]
	v_mov_b32_e32 v129, 0
	ds_load_b128 v[167:170], v144 offset:2064
	ds_load_b128 v[163:166], v144 offset:2048
	;; [unrolled: 1-line block ×6, first 2 shown]
	v_mov_b32_e32 v130, v129
	v_mov_b32_e32 v131, v129
	;; [unrolled: 1-line block ×7, first 2 shown]
	s_waitcnt lgkmcnt(8)
	s_delay_alu instid0(VALU_DEP_1)
	v_wmma_f32_16x16x16_bf16 v[129:136], v[121:128], v[147:154], v[129:136]
	ds_load_b128 v[125:128], v144 offset:5136
	ds_load_b128 v[121:124], v144 offset:5120
	s_waitcnt lgkmcnt(8)
	v_wmma_f32_16x16x16_bf16 v[129:136], v[113:120], v[155:162], v[129:136]
	ds_load_b128 v[117:120], v144 offset:6160
	ds_load_b128 v[113:116], v144 offset:6144
	s_waitcnt lgkmcnt(8)
	;; [unrolled: 4-line block ×8, first 2 shown]
	v_wmma_f32_16x16x16_bf16 v[129:136], v[65:72], v[97:104], v[129:136]
	s_waitcnt lgkmcnt(6)
	s_delay_alu instid0(VALU_DEP_1)
	v_wmma_f32_16x16x16_bf16 v[129:136], v[49:56], v[89:96], v[129:136]
	ds_load_b128 v[53:56], v144 offset:13328
	ds_load_b128 v[49:52], v144 offset:13312
	s_waitcnt lgkmcnt(6)
	v_wmma_f32_16x16x16_bf16 v[129:136], v[41:48], v[81:88], v[129:136]
	ds_load_b128 v[45:48], v144 offset:14352
	ds_load_b128 v[41:44], v144 offset:14336
	s_waitcnt lgkmcnt(6)
	;; [unrolled: 4-line block ×3, first 2 shown]
	v_wmma_f32_16x16x16_bf16 v[129:136], v[1:8], v[57:64], v[129:136]
	s_waitcnt lgkmcnt(4)
	s_delay_alu instid0(VALU_DEP_1) | instskip(SKIP_1) | instid1(VALU_DEP_1)
	v_wmma_f32_16x16x16_bf16 v[129:136], v[25:32], v[49:56], v[129:136]
	s_waitcnt lgkmcnt(2)
	v_wmma_f32_16x16x16_bf16 v[129:136], v[33:40], v[41:48], v[129:136]
	s_waitcnt lgkmcnt(0)
	s_delay_alu instid0(VALU_DEP_1) | instskip(NEXT) | instid1(VALU_DEP_1)
	v_wmma_f32_16x16x16_bf16 v[129:136], v[9:16], v[17:24], v[129:136]
	v_and_b32_e32 v1, 0x7f800000, v129
	s_delay_alu instid0(VALU_DEP_1) | instskip(SKIP_1) | instid1(SALU_CYCLE_1)
	v_cmp_ne_u32_e32 vcc_lo, 0x7f800000, v1
                                        ; implicit-def: $vgpr1
	s_and_saveexec_b32 s3, vcc_lo
	s_xor_b32 s3, exec_lo, s3
; %bb.79:
	v_bfe_u32 v1, v129, 16, 1
	s_delay_alu instid0(VALU_DEP_1)
	v_add3_u32 v1, v129, v1, 0x7fff
; %bb.80:
	s_and_not1_saveexec_b32 s3, s3
; %bb.81:
	v_and_b32_e32 v1, 0xffff, v129
	v_or_b32_e32 v2, 0x10000, v129
	s_delay_alu instid0(VALU_DEP_2) | instskip(NEXT) | instid1(VALU_DEP_2)
	v_cmp_eq_u32_e32 vcc_lo, 0, v1
	v_cndmask_b32_e32 v1, v2, v129, vcc_lo
; %bb.82:
	s_or_b32 exec_lo, exec_lo, s3
	v_and_b32_e32 v2, 0x7f800000, v130
	s_delay_alu instid0(VALU_DEP_1) | instskip(SKIP_1) | instid1(SALU_CYCLE_1)
	v_cmp_ne_u32_e32 vcc_lo, 0x7f800000, v2
                                        ; implicit-def: $vgpr2
	s_and_saveexec_b32 s3, vcc_lo
	s_xor_b32 s3, exec_lo, s3
; %bb.83:
	v_bfe_u32 v2, v130, 16, 1
	s_delay_alu instid0(VALU_DEP_1)
	v_add3_u32 v2, v130, v2, 0x7fff
; %bb.84:
	s_and_not1_saveexec_b32 s3, s3
; %bb.85:
	v_and_b32_e32 v2, 0xffff, v130
	v_or_b32_e32 v3, 0x10000, v130
	s_delay_alu instid0(VALU_DEP_2) | instskip(NEXT) | instid1(VALU_DEP_2)
	v_cmp_eq_u32_e32 vcc_lo, 0, v2
	v_cndmask_b32_e32 v2, v3, v130, vcc_lo
; %bb.86:
	s_or_b32 exec_lo, exec_lo, s3
	v_and_b32_e32 v3, 0x7f800000, v131
	s_delay_alu instid0(VALU_DEP_1) | instskip(SKIP_1) | instid1(SALU_CYCLE_1)
	v_cmp_ne_u32_e32 vcc_lo, 0x7f800000, v3
                                        ; implicit-def: $vgpr3
	s_and_saveexec_b32 s3, vcc_lo
	s_xor_b32 s3, exec_lo, s3
; %bb.87:
	v_bfe_u32 v3, v131, 16, 1
	s_delay_alu instid0(VALU_DEP_1)
	v_add3_u32 v3, v131, v3, 0x7fff
; %bb.88:
	s_and_not1_saveexec_b32 s3, s3
; %bb.89:
	v_and_b32_e32 v3, 0xffff, v131
	v_or_b32_e32 v4, 0x10000, v131
	s_delay_alu instid0(VALU_DEP_2) | instskip(NEXT) | instid1(VALU_DEP_2)
	v_cmp_eq_u32_e32 vcc_lo, 0, v3
	v_cndmask_b32_e32 v3, v4, v131, vcc_lo
; %bb.90:
	s_or_b32 exec_lo, exec_lo, s3
	v_and_b32_e32 v4, 0x7f800000, v132
	s_delay_alu instid0(VALU_DEP_1) | instskip(SKIP_1) | instid1(SALU_CYCLE_1)
	v_cmp_ne_u32_e32 vcc_lo, 0x7f800000, v4
                                        ; implicit-def: $vgpr4
	s_and_saveexec_b32 s3, vcc_lo
	s_xor_b32 s3, exec_lo, s3
; %bb.91:
	v_bfe_u32 v4, v132, 16, 1
	s_delay_alu instid0(VALU_DEP_1)
	v_add3_u32 v4, v132, v4, 0x7fff
; %bb.92:
	s_and_not1_saveexec_b32 s3, s3
; %bb.93:
	v_and_b32_e32 v4, 0xffff, v132
	v_or_b32_e32 v5, 0x10000, v132
	s_delay_alu instid0(VALU_DEP_2) | instskip(NEXT) | instid1(VALU_DEP_2)
	v_cmp_eq_u32_e32 vcc_lo, 0, v4
	v_cndmask_b32_e32 v4, v5, v132, vcc_lo
; %bb.94:
	s_or_b32 exec_lo, exec_lo, s3
	v_and_b32_e32 v5, 0x7f800000, v133
	s_delay_alu instid0(VALU_DEP_1) | instskip(SKIP_1) | instid1(SALU_CYCLE_1)
	v_cmp_ne_u32_e32 vcc_lo, 0x7f800000, v5
                                        ; implicit-def: $vgpr5
	s_and_saveexec_b32 s3, vcc_lo
	s_xor_b32 s3, exec_lo, s3
; %bb.95:
	v_bfe_u32 v5, v133, 16, 1
	s_delay_alu instid0(VALU_DEP_1)
	v_add3_u32 v5, v133, v5, 0x7fff
; %bb.96:
	s_and_not1_saveexec_b32 s3, s3
; %bb.97:
	v_and_b32_e32 v5, 0xffff, v133
	v_or_b32_e32 v6, 0x10000, v133
	s_delay_alu instid0(VALU_DEP_2) | instskip(NEXT) | instid1(VALU_DEP_2)
	v_cmp_eq_u32_e32 vcc_lo, 0, v5
	v_cndmask_b32_e32 v5, v6, v133, vcc_lo
; %bb.98:
	s_or_b32 exec_lo, exec_lo, s3
	v_and_b32_e32 v6, 0x7f800000, v134
	s_delay_alu instid0(VALU_DEP_1) | instskip(SKIP_1) | instid1(SALU_CYCLE_1)
	v_cmp_ne_u32_e32 vcc_lo, 0x7f800000, v6
                                        ; implicit-def: $vgpr6
	s_and_saveexec_b32 s3, vcc_lo
	s_xor_b32 s3, exec_lo, s3
; %bb.99:
	v_bfe_u32 v6, v134, 16, 1
	s_delay_alu instid0(VALU_DEP_1)
	v_add3_u32 v6, v134, v6, 0x7fff
; %bb.100:
	s_and_not1_saveexec_b32 s3, s3
; %bb.101:
	v_and_b32_e32 v6, 0xffff, v134
	v_or_b32_e32 v7, 0x10000, v134
	s_delay_alu instid0(VALU_DEP_2) | instskip(NEXT) | instid1(VALU_DEP_2)
	v_cmp_eq_u32_e32 vcc_lo, 0, v6
	v_cndmask_b32_e32 v6, v7, v134, vcc_lo
; %bb.102:
	s_or_b32 exec_lo, exec_lo, s3
	v_and_b32_e32 v7, 0x7f800000, v135
	s_delay_alu instid0(VALU_DEP_1) | instskip(SKIP_1) | instid1(SALU_CYCLE_1)
	v_cmp_ne_u32_e32 vcc_lo, 0x7f800000, v7
                                        ; implicit-def: $vgpr7
	s_and_saveexec_b32 s3, vcc_lo
	s_xor_b32 s3, exec_lo, s3
; %bb.103:
	v_bfe_u32 v7, v135, 16, 1
	s_delay_alu instid0(VALU_DEP_1)
	v_add3_u32 v7, v135, v7, 0x7fff
; %bb.104:
	s_and_not1_saveexec_b32 s3, s3
; %bb.105:
	v_and_b32_e32 v7, 0xffff, v135
	v_or_b32_e32 v8, 0x10000, v135
	s_delay_alu instid0(VALU_DEP_2) | instskip(NEXT) | instid1(VALU_DEP_2)
	v_cmp_eq_u32_e32 vcc_lo, 0, v7
	v_cndmask_b32_e32 v7, v8, v135, vcc_lo
; %bb.106:
	s_or_b32 exec_lo, exec_lo, s3
	v_and_b32_e32 v8, 0x7f800000, v136
	s_delay_alu instid0(VALU_DEP_1) | instskip(SKIP_1) | instid1(SALU_CYCLE_1)
	v_cmp_ne_u32_e32 vcc_lo, 0x7f800000, v8
                                        ; implicit-def: $vgpr8
	s_and_saveexec_b32 s3, vcc_lo
	s_xor_b32 s3, exec_lo, s3
; %bb.107:
	v_bfe_u32 v8, v136, 16, 1
	s_delay_alu instid0(VALU_DEP_1)
	v_add3_u32 v8, v136, v8, 0x7fff
                                        ; implicit-def: $vgpr129_vgpr130_vgpr131_vgpr132_vgpr133_vgpr134_vgpr135_vgpr136
; %bb.108:
	s_and_not1_saveexec_b32 s3, s3
; %bb.109:
	v_and_b32_e32 v8, 0xffff, v136
	v_or_b32_e32 v9, 0x10000, v136
	s_delay_alu instid0(VALU_DEP_2) | instskip(NEXT) | instid1(VALU_DEP_2)
	v_cmp_eq_u32_e32 vcc_lo, 0, v8
	v_cndmask_b32_e32 v8, v9, v136, vcc_lo
; %bb.110:
	s_or_b32 exec_lo, exec_lo, s3
	s_delay_alu instid0(VALU_DEP_1)
	v_perm_b32 v7, v8, v7, 0x7060302
	v_perm_b32 v6, v6, v5, 0x7060302
	;; [unrolled: 1-line block ×4, first 2 shown]
	v_lshl_or_b32 v9, v138, 4, v145
	s_barrier
	buffer_gl0_inv
	v_cmp_eq_u32_e32 vcc_lo, 1, v142
	ds_store_b128 v9, v[4:7]
	s_waitcnt lgkmcnt(0)
	s_barrier
	buffer_gl0_inv
	ds_load_b128 v[1:4], v145
	ds_load_b128 v[5:8], v145 offset:16
	v_cmp_eq_u32_e64 s4, 2, v142
	v_cmp_eq_u32_e64 s3, 1, v143
	;; [unrolled: 1-line block ×5, first 2 shown]
	s_waitcnt lgkmcnt(1)
	v_lshrrev_b32_e32 v10, 16, v1
	s_waitcnt lgkmcnt(0)
	v_lshrrev_b32_e32 v14, 16, v5
	v_lshrrev_b32_e32 v15, 16, v6
	;; [unrolled: 1-line block ×4, first 2 shown]
	v_cndmask_b32_e64 v20, v1, v10, s3
	v_cndmask_b32_e32 v19, v5, v14, vcc_lo
	v_cndmask_b32_e64 v21, v5, v14, s3
	v_lshrrev_b32_e32 v16, 16, v7
	v_cmp_eq_u32_e64 s3, 1, v141
	v_lshrrev_b32_e32 v13, 16, v4
	v_cndmask_b32_e64 v19, v19, v6, s4
	v_lshrrev_b32_e32 v17, 16, v8
	s_delay_alu instid0(VALU_DEP_4) | instskip(SKIP_1) | instid1(VALU_DEP_4)
	v_cndmask_b32_e64 v22, v1, v10, s3
	v_cndmask_b32_e64 v23, v5, v14, s3
	;; [unrolled: 1-line block ×3, first 2 shown]
	v_cndmask_b32_e32 v18, v1, v10, vcc_lo
	v_cmp_eq_u32_e32 vcc_lo, 2, v143
	v_cmp_eq_u32_e64 s3, 2, v146
	v_cndmask_b32_e64 v22, v22, v2, s7
	v_cndmask_b32_e32 v20, v20, v2, vcc_lo
	v_cndmask_b32_e32 v21, v21, v6, vcc_lo
	v_cmp_eq_u32_e32 vcc_lo, 4, v142
	v_cndmask_b32_e32 v19, v19, v7, vcc_lo
	v_cndmask_b32_e64 v18, v18, v2, s4
	v_cmp_eq_u32_e64 s4, 3, v143
	s_delay_alu instid0(VALU_DEP_2) | instskip(NEXT) | instid1(VALU_DEP_2)
	v_cndmask_b32_e64 v18, v18, v11, s5
	v_cndmask_b32_e64 v21, v21, v15, s4
	v_cmp_eq_u32_e64 s5, 5, v142
	s_delay_alu instid0(VALU_DEP_3) | instskip(SKIP_1) | instid1(VALU_DEP_3)
	v_cndmask_b32_e32 v18, v18, v3, vcc_lo
	v_cmp_eq_u32_e32 vcc_lo, 4, v143
	v_cndmask_b32_e64 v19, v19, v16, s5
	s_delay_alu instid0(VALU_DEP_3) | instskip(SKIP_4) | instid1(VALU_DEP_3)
	v_cndmask_b32_e64 v18, v18, v12, s5
	v_cndmask_b32_e32 v21, v21, v7, vcc_lo
	v_cndmask_b32_e64 v20, v20, v11, s4
	v_cmp_eq_u32_e64 s4, 5, v143
	v_cmp_eq_u32_e64 s5, 6, v142
	v_cndmask_b32_e32 v20, v20, v3, vcc_lo
	s_delay_alu instid0(VALU_DEP_3) | instskip(SKIP_1) | instid1(VALU_DEP_4)
	v_cndmask_b32_e64 v21, v21, v16, s4
	v_cmp_eq_u32_e32 vcc_lo, 6, v143
	v_cndmask_b32_e64 v18, v18, v4, s5
	v_cndmask_b32_e64 v19, v19, v8, s5
	;; [unrolled: 1-line block ×3, first 2 shown]
	v_cmp_eq_u32_e64 s4, 1, v146
	v_cmp_eq_u32_e64 s5, 7, v142
	s_delay_alu instid0(VALU_DEP_3) | instskip(NEXT) | instid1(VALU_DEP_3)
	v_cndmask_b32_e32 v20, v20, v4, vcc_lo
	v_cndmask_b32_e64 v1, v1, v10, s4
	v_cndmask_b32_e64 v5, v5, v14, s4
	v_cmp_eq_u32_e64 s4, 3, v141
	v_cndmask_b32_e64 v14, v23, v6, s7
	v_cmp_eq_u32_e64 s7, 3, v146
	v_cndmask_b32_e64 v1, v1, v2, s3
	v_cndmask_b32_e64 v2, v5, v6, s3
	;; [unrolled: 1-line block ×3, first 2 shown]
	v_cmp_eq_u32_e64 s3, 4, v141
	v_cndmask_b32_e64 v6, v14, v15, s4
	v_cndmask_b32_e64 v1, v1, v11, s7
	v_cmp_eq_u32_e64 s4, 4, v146
	v_cndmask_b32_e64 v2, v2, v15, s7
	v_cndmask_b32_e64 v5, v10, v3, s3
	;; [unrolled: 3-line block ×3, first 2 shown]
	v_cndmask_b32_e64 v2, v2, v7, s4
	v_cmp_eq_u32_e64 s3, 5, v146
	v_cndmask_b32_e64 v5, v5, v12, s7
	v_cmp_eq_u32_e64 s4, 6, v141
	;; [unrolled: 2-line block ×3, first 2 shown]
	v_cndmask_b32_e64 v1, v1, v12, s3
	v_cndmask_b32_e64 v2, v2, v16, s3
	v_cndmask_b32_e64 v5, v5, v4, s4
	v_cndmask_b32_e64 v3, v3, v8, s4
	v_cmp_eq_u32_e64 s3, 7, v146
	v_cndmask_b32_e64 v1, v1, v4, s7
	v_cndmask_b32_e64 v2, v2, v8, s7
	v_cmp_eq_u32_e64 s4, 7, v141
	v_cndmask_b32_e32 v4, v21, v8, vcc_lo
	v_cndmask_b32_e64 v18, v18, v13, s5
	v_cndmask_b32_e64 v20, v20, v13, s6
	;; [unrolled: 1-line block ×8, first 2 shown]
	s_mov_b32 s3, exec_lo
	v_perm_b32 v4, v2, v1, 0x5040100
	v_perm_b32 v3, v3, v5, 0x5040100
	;; [unrolled: 1-line block ×4, first 2 shown]
	ds_store_b128 v9, v[1:4]
	s_waitcnt lgkmcnt(0)
	s_barrier
	buffer_gl0_inv
	v_cmpx_gt_u32_e32 32, v0
	s_cbranch_execz .LBB684_2
; %bb.111:
	s_load_b64 s[4:5], s[0:1], 0x68
	v_add_nc_u32_e32 v20, s31, v138
	v_lshlrev_b32_e32 v0, 10, v0
	v_lshlrev_b32_e32 v1, 4, v139
	s_lshl_b32 s0, s34, 7
	s_delay_alu instid0(SALU_CYCLE_1)
	s_mul_i32 s1, s0, s30
	v_add_nc_u32_e32 v2, 2, v20
	s_mul_i32 s6, s1, s8
	v_and_or_b32 v0, 0x3800, v0, v1
	v_mul_lo_u32 v1, v20, s0
	s_ashr_i32 s7, s6, 31
	v_mul_lo_u32 v11, v2, s0
	s_lshl_b64 s[6:7], s[6:7], 1
	v_add_nc_u32_e32 v3, 4, v20
	v_lshl_or_b32 v21, v138, 6, v0
	v_add_nc_u32_e32 v16, 6, v20
	v_ashrrev_i32_e32 v2, 31, v1
	s_delay_alu instid0(VALU_DEP_4)
	v_mul_lo_u32 v13, v3, s0
	s_waitcnt lgkmcnt(0)
	s_add_u32 s1, s4, s6
	s_addc_u32 s3, s5, s7
	s_lshl_b32 s4, s14, 7
	ds_load_b128 v[3:6], v21
	ds_load_b128 v[7:10], v21 offset:128
	s_ashr_i32 s5, s4, 31
	v_ashrrev_i32_e32 v12, 31, v11
	s_lshl_b64 s[4:5], s[4:5], 1
	v_lshlrev_b64 v[14:15], 1, v[1:2]
	s_add_u32 s1, s1, s4
	s_addc_u32 s3, s3, s5
	v_add_co_u32 v1, s1, s1, v137
	s_delay_alu instid0(VALU_DEP_1) | instskip(SKIP_1) | instid1(VALU_DEP_3)
	v_add_co_ci_u32_e64 v2, null, s3, 0, s1
	v_lshlrev_b64 v[11:12], 1, v[11:12]
	v_add_co_u32 v18, vcc_lo, v1, v14
	v_mul_lo_u32 v16, v16, s0
	s_delay_alu instid0(VALU_DEP_4) | instskip(NEXT) | instid1(VALU_DEP_4)
	v_add_co_ci_u32_e32 v19, vcc_lo, v2, v15, vcc_lo
	v_add_co_u32 v11, vcc_lo, v1, v11
	v_ashrrev_i32_e32 v14, 31, v13
	v_add_co_ci_u32_e32 v12, vcc_lo, v2, v12, vcc_lo
	v_add_nc_u32_e32 v15, 8, v20
	v_ashrrev_i32_e32 v17, 31, v16
	s_waitcnt lgkmcnt(1)
	global_store_b128 v[18:19], v[3:6], off
	v_lshlrev_b64 v[3:4], 1, v[13:14]
	s_waitcnt lgkmcnt(0)
	global_store_b128 v[11:12], v[7:10], off
	v_mul_lo_u32 v11, v15, s0
	v_add_nc_u32_e32 v7, 10, v20
	v_lshlrev_b64 v[5:6], 1, v[16:17]
	v_add_co_u32 v23, vcc_lo, v1, v3
	v_add_nc_u32_e32 v3, 12, v20
	s_delay_alu instid0(VALU_DEP_4)
	v_mul_lo_u32 v25, v7, s0
	v_ashrrev_i32_e32 v12, 31, v11
	v_add_co_ci_u32_e32 v24, vcc_lo, v2, v4, vcc_lo
	v_add_co_u32 v27, vcc_lo, v1, v5
	v_mul_lo_u32 v29, v3, s0
	v_add_co_ci_u32_e32 v28, vcc_lo, v2, v6, vcc_lo
	ds_load_b128 v[3:6], v21 offset:256
	ds_load_b128 v[7:10], v21 offset:384
	v_lshlrev_b64 v[31:32], 1, v[11:12]
	ds_load_b128 v[11:14], v21 offset:512
	ds_load_b128 v[15:18], v21 offset:640
	;; [unrolled: 1-line block ×3, first 2 shown]
	v_ashrrev_i32_e32 v26, 31, v25
	v_ashrrev_i32_e32 v30, 31, v29
	v_add_co_u32 v31, vcc_lo, v1, v31
	s_delay_alu instid0(VALU_DEP_3) | instskip(NEXT) | instid1(VALU_DEP_3)
	v_lshlrev_b64 v[25:26], 1, v[25:26]
	v_lshlrev_b64 v[29:30], 1, v[29:30]
	v_add_co_ci_u32_e32 v32, vcc_lo, v2, v32, vcc_lo
	s_delay_alu instid0(VALU_DEP_3) | instskip(NEXT) | instid1(VALU_DEP_4)
	v_add_co_u32 v25, vcc_lo, v1, v25
	v_add_co_ci_u32_e32 v26, vcc_lo, v2, v26, vcc_lo
	s_delay_alu instid0(VALU_DEP_4)
	v_add_co_u32 v29, vcc_lo, v1, v29
	v_add_co_ci_u32_e32 v30, vcc_lo, v2, v30, vcc_lo
	s_waitcnt lgkmcnt(4)
	global_store_b128 v[23:24], v[3:6], off
	s_waitcnt lgkmcnt(3)
	global_store_b128 v[27:28], v[7:10], off
	;; [unrolled: 2-line block ×5, first 2 shown]
	s_and_b32 exec_lo, exec_lo, s2
	s_cbranch_execz .LBB684_2
; %bb.112:
	ds_load_b128 v[3:6], v0 offset:896
	s_add_i32 s1, s31, 14
	s_delay_alu instid0(SALU_CYCLE_1) | instskip(NEXT) | instid1(SALU_CYCLE_1)
	s_mul_i32 s0, s1, s0
	s_ashr_i32 s1, s0, 31
	s_delay_alu instid0(SALU_CYCLE_1) | instskip(NEXT) | instid1(SALU_CYCLE_1)
	s_lshl_b64 s[0:1], s[0:1], 1
	v_add_co_u32 v0, vcc_lo, v1, s0
	v_add_co_ci_u32_e32 v1, vcc_lo, s1, v2, vcc_lo
	s_waitcnt lgkmcnt(0)
	global_store_b128 v[0:1], v[3:6], off
	s_nop 0
	s_sendmsg sendmsg(MSG_DEALLOC_VGPRS)
	s_endpgm
	.section	.rodata,"a",@progbits
	.p2align	6, 0x0
	.amdhsa_kernel _Z39paged_attention_ll4mi_QKV_mfma16_kernelI14__hip_bfloat16S0_LN4vllm18Fp8KVCacheDataTypeE0ES0_Li16ELi128ELi256ELb0ELi15EL8MFMAType0EEvPKT_PKT0_S9_ifPKiSB_SB_iPKfiiiPfSE_PS4_PT2_iSD_SD_
		.amdhsa_group_segment_fixed_size 17472
		.amdhsa_private_segment_fixed_size 0
		.amdhsa_kernarg_size 400
		.amdhsa_user_sgpr_count 13
		.amdhsa_user_sgpr_dispatch_ptr 0
		.amdhsa_user_sgpr_queue_ptr 0
		.amdhsa_user_sgpr_kernarg_segment_ptr 1
		.amdhsa_user_sgpr_dispatch_id 0
		.amdhsa_user_sgpr_private_segment_size 0
		.amdhsa_wavefront_size32 1
		.amdhsa_uses_dynamic_stack 0
		.amdhsa_enable_private_segment 0
		.amdhsa_system_sgpr_workgroup_id_x 1
		.amdhsa_system_sgpr_workgroup_id_y 1
		.amdhsa_system_sgpr_workgroup_id_z 1
		.amdhsa_system_sgpr_workgroup_info 0
		.amdhsa_system_vgpr_workitem_id 0
		.amdhsa_next_free_vgpr 218
		.amdhsa_next_free_sgpr 50
		.amdhsa_reserve_vcc 1
		.amdhsa_float_round_mode_32 0
		.amdhsa_float_round_mode_16_64 0
		.amdhsa_float_denorm_mode_32 3
		.amdhsa_float_denorm_mode_16_64 3
		.amdhsa_dx10_clamp 1
		.amdhsa_ieee_mode 1
		.amdhsa_fp16_overflow 0
		.amdhsa_workgroup_processor_mode 1
		.amdhsa_memory_ordered 1
		.amdhsa_forward_progress 0
		.amdhsa_shared_vgpr_count 0
		.amdhsa_exception_fp_ieee_invalid_op 0
		.amdhsa_exception_fp_denorm_src 0
		.amdhsa_exception_fp_ieee_div_zero 0
		.amdhsa_exception_fp_ieee_overflow 0
		.amdhsa_exception_fp_ieee_underflow 0
		.amdhsa_exception_fp_ieee_inexact 0
		.amdhsa_exception_int_div_zero 0
	.end_amdhsa_kernel
	.section	.text._Z39paged_attention_ll4mi_QKV_mfma16_kernelI14__hip_bfloat16S0_LN4vllm18Fp8KVCacheDataTypeE0ES0_Li16ELi128ELi256ELb0ELi15EL8MFMAType0EEvPKT_PKT0_S9_ifPKiSB_SB_iPKfiiiPfSE_PS4_PT2_iSD_SD_,"axG",@progbits,_Z39paged_attention_ll4mi_QKV_mfma16_kernelI14__hip_bfloat16S0_LN4vllm18Fp8KVCacheDataTypeE0ES0_Li16ELi128ELi256ELb0ELi15EL8MFMAType0EEvPKT_PKT0_S9_ifPKiSB_SB_iPKfiiiPfSE_PS4_PT2_iSD_SD_,comdat
.Lfunc_end684:
	.size	_Z39paged_attention_ll4mi_QKV_mfma16_kernelI14__hip_bfloat16S0_LN4vllm18Fp8KVCacheDataTypeE0ES0_Li16ELi128ELi256ELb0ELi15EL8MFMAType0EEvPKT_PKT0_S9_ifPKiSB_SB_iPKfiiiPfSE_PS4_PT2_iSD_SD_, .Lfunc_end684-_Z39paged_attention_ll4mi_QKV_mfma16_kernelI14__hip_bfloat16S0_LN4vllm18Fp8KVCacheDataTypeE0ES0_Li16ELi128ELi256ELb0ELi15EL8MFMAType0EEvPKT_PKT0_S9_ifPKiSB_SB_iPKfiiiPfSE_PS4_PT2_iSD_SD_
                                        ; -- End function
	.section	.AMDGPU.csdata,"",@progbits
; Kernel info:
; codeLenInByte = 10508
; NumSgprs: 52
; NumVgprs: 218
; ScratchSize: 0
; MemoryBound: 0
; FloatMode: 240
; IeeeMode: 1
; LDSByteSize: 17472 bytes/workgroup (compile time only)
; SGPRBlocks: 6
; VGPRBlocks: 27
; NumSGPRsForWavesPerEU: 52
; NumVGPRsForWavesPerEU: 218
; Occupancy: 6
; WaveLimiterHint : 1
; COMPUTE_PGM_RSRC2:SCRATCH_EN: 0
; COMPUTE_PGM_RSRC2:USER_SGPR: 13
; COMPUTE_PGM_RSRC2:TRAP_HANDLER: 0
; COMPUTE_PGM_RSRC2:TGID_X_EN: 1
; COMPUTE_PGM_RSRC2:TGID_Y_EN: 1
; COMPUTE_PGM_RSRC2:TGID_Z_EN: 1
; COMPUTE_PGM_RSRC2:TIDIG_COMP_CNT: 0
	.section	.text._Z39paged_attention_ll4mi_QKV_mfma16_kernelI14__hip_bfloat16S0_LN4vllm18Fp8KVCacheDataTypeE0ES0_Li16ELi128ELi256ELb0ELi16EL8MFMAType0EEvPKT_PKT0_S9_ifPKiSB_SB_iPKfiiiPfSE_PS4_PT2_iSD_SD_,"axG",@progbits,_Z39paged_attention_ll4mi_QKV_mfma16_kernelI14__hip_bfloat16S0_LN4vllm18Fp8KVCacheDataTypeE0ES0_Li16ELi128ELi256ELb0ELi16EL8MFMAType0EEvPKT_PKT0_S9_ifPKiSB_SB_iPKfiiiPfSE_PS4_PT2_iSD_SD_,comdat
	.protected	_Z39paged_attention_ll4mi_QKV_mfma16_kernelI14__hip_bfloat16S0_LN4vllm18Fp8KVCacheDataTypeE0ES0_Li16ELi128ELi256ELb0ELi16EL8MFMAType0EEvPKT_PKT0_S9_ifPKiSB_SB_iPKfiiiPfSE_PS4_PT2_iSD_SD_ ; -- Begin function _Z39paged_attention_ll4mi_QKV_mfma16_kernelI14__hip_bfloat16S0_LN4vllm18Fp8KVCacheDataTypeE0ES0_Li16ELi128ELi256ELb0ELi16EL8MFMAType0EEvPKT_PKT0_S9_ifPKiSB_SB_iPKfiiiPfSE_PS4_PT2_iSD_SD_
	.globl	_Z39paged_attention_ll4mi_QKV_mfma16_kernelI14__hip_bfloat16S0_LN4vllm18Fp8KVCacheDataTypeE0ES0_Li16ELi128ELi256ELb0ELi16EL8MFMAType0EEvPKT_PKT0_S9_ifPKiSB_SB_iPKfiiiPfSE_PS4_PT2_iSD_SD_
	.p2align	8
	.type	_Z39paged_attention_ll4mi_QKV_mfma16_kernelI14__hip_bfloat16S0_LN4vllm18Fp8KVCacheDataTypeE0ES0_Li16ELi128ELi256ELb0ELi16EL8MFMAType0EEvPKT_PKT0_S9_ifPKiSB_SB_iPKfiiiPfSE_PS4_PT2_iSD_SD_,@function
_Z39paged_attention_ll4mi_QKV_mfma16_kernelI14__hip_bfloat16S0_LN4vllm18Fp8KVCacheDataTypeE0ES0_Li16ELi128ELi256ELb0ELi16EL8MFMAType0EEvPKT_PKT0_S9_ifPKiSB_SB_iPKfiiiPfSE_PS4_PT2_iSD_SD_: ; @_Z39paged_attention_ll4mi_QKV_mfma16_kernelI14__hip_bfloat16S0_LN4vllm18Fp8KVCacheDataTypeE0ES0_Li16ELi128ELi256ELb0ELi16EL8MFMAType0EEvPKT_PKT0_S9_ifPKiSB_SB_iPKfiiiPfSE_PS4_PT2_iSD_SD_
; %bb.0:
	s_load_b64 s[4:5], s[0:1], 0x30
	s_mov_b32 s30, s13
	s_waitcnt lgkmcnt(0)
	s_cmp_lg_u64 s[4:5], 0
	s_cselect_b32 s12, -1, 0
	s_ashr_i32 s31, s13, 31
	s_cmp_eq_u64 s[4:5], 0
	s_cbranch_scc1 .LBB685_3
; %bb.1:
	s_lshl_b64 s[2:3], s[30:31], 2
	s_delay_alu instid0(SALU_CYCLE_1) | instskip(SKIP_4) | instid1(SALU_CYCLE_1)
	s_add_u32 s2, s4, s2
	s_addc_u32 s3, s5, s3
	s_load_b64 s[2:3], s[2:3], 0x0
	s_waitcnt lgkmcnt(0)
	s_sub_i32 s2, s3, s2
	s_cmp_eq_u32 s2, 1
	s_cselect_b32 s2, -1, 0
	s_delay_alu instid0(SALU_CYCLE_1)
	s_and_not1_b32 vcc_lo, exec_lo, s2
	s_cbranch_vccz .LBB685_4
.LBB685_2:
	s_endpgm
.LBB685_3:
.LBB685_4:
	s_load_b64 s[2:3], s[0:1], 0x28
	s_lshl_b64 s[6:7], s[30:31], 2
	s_waitcnt lgkmcnt(0)
	s_add_u32 s2, s2, s6
	s_addc_u32 s3, s3, s7
	s_lshl_b32 s31, s14, 8
	s_load_b32 s28, s[2:3], 0x0
	s_waitcnt lgkmcnt(0)
	s_cmp_ge_i32 s31, s28
	s_cbranch_scc1 .LBB685_2
; %bb.5:
	s_clause 0x1
	s_load_b128 s[8:11], s[0:1], 0x8
	s_load_b64 s[2:3], s[0:1], 0x20
	s_and_not1_b32 vcc_lo, exec_lo, s12
	s_cbranch_vccnz .LBB685_7
; %bb.6:
	s_add_u32 s4, s4, s6
	s_addc_u32 s5, s5, s7
	s_load_b32 s12, s[4:5], 0x0
	s_branch .LBB685_8
.LBB685_7:
	s_mov_b32 s12, s30
.LBB685_8:
	s_load_b128 s[4:7], s[0:1], 0x48
	v_and_b32_e32 v142, 15, v0
	v_lshrrev_b32_e32 v140, 5, v0
	v_and_b32_e32 v143, 31, v0
	v_and_b32_e32 v139, 1, v0
	v_bfe_u32 v138, v0, 4, 1
	v_lshlrev_b32_e32 v1, 3, v142
	s_lshl_b32 s29, s15, 4
	s_waitcnt lgkmcnt(0)
	s_mov_b32 s7, exec_lo
	s_delay_alu instid0(VALU_DEP_1)
	v_lshlrev_b32_e32 v137, 1, v1
	v_cmpx_gt_u32_e32 0x100, v0
	s_cbranch_execz .LBB685_10
; %bb.9:
	v_lshl_or_b32 v5, v140, 1, v138
	s_load_b64 s[16:17], s[0:1], 0x0
	s_mul_hi_i32 s13, s12, s4
	s_mul_i32 s12, s12, s4
	v_lshlrev_b32_e32 v6, 10, v142
	v_or_b32_e32 v1, s29, v5
	s_lshl_b64 s[12:13], s[12:13], 1
	v_lshlrev_b32_e32 v5, 6, v5
	v_lshlrev_b32_e32 v7, 10, v139
	v_and_b32_e32 v6, 0x3800, v6
	v_lshlrev_b32_e32 v1, 7, v1
	s_delay_alu instid0(VALU_DEP_2) | instskip(NEXT) | instid1(VALU_DEP_2)
	v_or3_b32 v5, v6, v7, v5
	v_ashrrev_i32_e32 v2, 31, v1
	s_delay_alu instid0(VALU_DEP_1) | instskip(SKIP_3) | instid1(VALU_DEP_1)
	v_lshlrev_b64 v[1:2], 1, v[1:2]
	s_waitcnt lgkmcnt(0)
	s_add_u32 s4, s16, s12
	s_addc_u32 s12, s17, s13
	v_add_co_u32 v1, vcc_lo, s4, v1
	s_delay_alu instid0(VALU_DEP_2) | instskip(NEXT) | instid1(VALU_DEP_2)
	v_add_co_ci_u32_e32 v2, vcc_lo, s12, v2, vcc_lo
	v_add_co_u32 v1, vcc_lo, v1, v137
	s_delay_alu instid0(VALU_DEP_2)
	v_add_co_ci_u32_e32 v2, vcc_lo, 0, v2, vcc_lo
	global_load_b128 v[1:4], v[1:2], off
	s_waitcnt vmcnt(0)
	ds_store_b128 v5, v[1:4]
.LBB685_10:
	s_or_b32 exec_lo, exec_lo, s7
	s_mov_b32 s36, 0
	s_add_i32 s4, s28, 15
	s_mov_b32 s37, s36
	s_mov_b32 s38, s36
	;; [unrolled: 1-line block ×7, first 2 shown]
	s_delay_alu instid0(SALU_CYCLE_1)
	v_dual_mov_b32 v136, s43 :: v_dual_and_b32 v1, 0xef, v0
	v_mov_b32_e32 v134, s41
	s_clause 0x1
	s_load_b32 s7, s[0:1], 0x38
	s_load_b32 s33, s[0:1], 0x1c
	v_add_nc_u32_e32 v1, s31, v1
	s_ashr_i32 s12, s4, 31
	s_waitcnt lgkmcnt(0)
	s_lshr_b32 s12, s12, 28
	s_barrier
	v_ashrrev_i32_e32 v2, 31, v1
	s_add_i32 s4, s4, s12
	v_cmp_gt_i32_e32 vcc_lo, s28, v1
	v_mov_b32_e32 v135, s42
	s_ashr_i32 s4, s4, 4
	v_lshrrev_b32_e32 v3, 28, v2
	v_or_b32_e32 v2, 16, v1
	s_add_i32 s4, s4, -1
	v_mov_b32_e32 v132, s39
	buffer_gl0_inv
	v_add_nc_u32_e32 v4, v1, v3
	v_add_nc_u32_e32 v3, v2, v3
	v_lshlrev_b32_e32 v141, 6, v142
	s_mul_i32 s12, s30, s7
	v_mov_b32_e32 v133, s40
	v_ashrrev_i32_e32 v4, 4, v4
	v_ashrrev_i32_e32 v3, 4, v3
	s_ashr_i32 s13, s12, 31
	v_mov_b32_e32 v131, s38
	s_lshl_b64 s[12:13], s[12:13], 2
	v_cndmask_b32_e32 v1, s4, v4, vcc_lo
	v_cmp_gt_i32_e32 vcc_lo, s28, v2
	s_add_u32 s34, s2, s12
	s_addc_u32 s35, s3, s13
	s_mul_i32 s2, s15, s6
	v_ashrrev_i32_e32 v2, 31, v1
	v_cndmask_b32_e32 v3, s4, v3, vcc_lo
	s_ashr_i32 s3, s2, 31
	v_mov_b32_e32 v129, s36
	s_lshl_b64 s[2:3], s[2:3], 1
	v_lshlrev_b64 v[1:2], 2, v[1:2]
	v_ashrrev_i32_e32 v4, 31, v3
	s_add_u32 s22, s8, s2
	s_addc_u32 s23, s9, s3
	s_lshl_b32 s6, s14, 4
	v_lshlrev_b32_e32 v125, 5, v142
	v_lshlrev_b64 v[3:4], 2, v[3:4]
	v_add_co_u32 v1, vcc_lo, s34, v1
	v_add_co_ci_u32_e32 v2, vcc_lo, s35, v2, vcc_lo
	s_ashr_i32 s7, s6, 31
	s_delay_alu instid0(VALU_DEP_3) | instskip(NEXT) | instid1(VALU_DEP_4)
	v_add_co_u32 v3, vcc_lo, s34, v3
	v_add_co_ci_u32_e32 v4, vcc_lo, s35, v4, vcc_lo
	s_clause 0x1
	global_load_b32 v5, v[1:2], off
	global_load_b32 v6, v[3:4], off
	s_lshl_b64 s[6:7], s[6:7], 2
	v_dual_mov_b32 v130, s37 :: v_dual_lshlrev_b32 v3, 4, v0
	s_add_u32 s6, s34, s6
	s_addc_u32 s7, s35, s7
	s_or_b32 s8, s31, 16
	v_lshl_or_b32 v125, v140, 9, v125
	s_ashr_i32 s9, s8, 4
	s_cmp_lt_i32 s8, s28
	s_cselect_b32 s8, s9, s4
	s_delay_alu instid0(SALU_CYCLE_1) | instskip(NEXT) | instid1(SALU_CYCLE_1)
	s_ashr_i32 s9, s8, 31
	s_lshl_b64 s[8:9], s[8:9], 2
	s_delay_alu instid0(SALU_CYCLE_1) | instskip(SKIP_2) | instid1(SALU_CYCLE_1)
	s_add_u32 s8, s34, s8
	s_addc_u32 s9, s35, s9
	s_or_b32 s12, s31, 32
	s_ashr_i32 s13, s12, 4
	s_cmp_lt_i32 s12, s28
	s_cselect_b32 s12, s13, s4
	s_delay_alu instid0(SALU_CYCLE_1) | instskip(NEXT) | instid1(SALU_CYCLE_1)
	s_ashr_i32 s13, s12, 31
	s_lshl_b64 s[12:13], s[12:13], 2
	s_delay_alu instid0(SALU_CYCLE_1) | instskip(SKIP_2) | instid1(SALU_CYCLE_1)
	s_add_u32 s12, s34, s12
	s_addc_u32 s13, s35, s13
	s_or_b32 s15, s31, 48
	;; [unrolled: 10-line block ×4, first 2 shown]
	s_ashr_i32 s20, s15, 4
	s_cmp_lt_i32 s15, s28
	s_cselect_b32 s20, s20, s4
	s_delay_alu instid0(SALU_CYCLE_1) | instskip(NEXT) | instid1(SALU_CYCLE_1)
	s_ashr_i32 s21, s20, 31
	s_lshl_b64 s[20:21], s[20:21], 2
	s_delay_alu instid0(SALU_CYCLE_1)
	s_add_u32 s20, s34, s20
	s_addc_u32 s21, s35, s21
	s_clause 0x5
	s_load_b32 s6, s[6:7], 0x0
	s_load_b32 s8, s[8:9], 0x0
	;; [unrolled: 1-line block ×6, first 2 shown]
	s_waitcnt vmcnt(1)
	v_mad_i64_i32 v[1:2], null, v5, s5, 0
	v_and_b32_e32 v5, 0xf0, v3
	s_waitcnt vmcnt(0)
	v_mad_i64_i32 v[3:4], null, v6, s5, 0
	s_delay_alu instid0(VALU_DEP_2) | instskip(NEXT) | instid1(VALU_DEP_4)
	v_add_co_u32 v5, s7, s22, v5
	v_lshlrev_b64 v[1:2], 1, v[1:2]
	v_add_co_ci_u32_e64 v6, null, s23, 0, s7
	s_delay_alu instid0(VALU_DEP_4) | instskip(SKIP_1) | instid1(VALU_DEP_3)
	v_lshlrev_b64 v[3:4], 1, v[3:4]
	s_or_b32 s7, s31, 0x60
	v_add_co_u32 v121, vcc_lo, v5, v1
	s_delay_alu instid0(VALU_DEP_3) | instskip(NEXT) | instid1(VALU_DEP_3)
	v_add_co_ci_u32_e32 v122, vcc_lo, v6, v2, vcc_lo
	v_add_co_u32 v123, vcc_lo, v5, v3
	s_delay_alu instid0(VALU_DEP_4)
	v_add_co_ci_u32_e32 v124, vcc_lo, v6, v4, vcc_lo
	s_clause 0x19
	global_load_b128 v[89:92], v[121:122], off
	global_load_b128 v[93:96], v[121:122], off offset:256
	global_load_b128 v[97:100], v[123:124], off
	global_load_b128 v[101:104], v[123:124], off offset:256
	global_load_b128 v[81:84], v[121:122], off offset:512
	;; [unrolled: 1-line block ×23, first 2 shown]
	s_ashr_i32 s9, s7, 4
	s_cmp_lt_i32 s7, s28
	ds_load_b128 v[105:108], v141
	ds_load_b128 v[109:112], v141 offset:1024
	s_cselect_b32 s20, s9, s4
	ds_load_b128 v[113:116], v141 offset:2048
	ds_load_b128 v[117:120], v141 offset:3072
	s_ashr_i32 s21, s20, 31
	ds_load_b128 v[144:147], v141 offset:4096
	ds_load_b128 v[148:151], v141 offset:5120
	s_lshl_b64 s[20:21], s[20:21], 2
	ds_load_b128 v[152:155], v141 offset:6144
	ds_load_b128 v[156:159], v141 offset:7168
	s_add_u32 s20, s34, s20
	s_addc_u32 s21, s35, s21
	s_or_b32 s7, s31, 0x70
	ds_load_b128 v[160:163], v141 offset:8192
	ds_load_b128 v[164:167], v141 offset:9216
	s_ashr_i32 s9, s7, 4
	s_cmp_lt_i32 s7, s28
	s_clause 0x1
	global_load_b128 v[168:171], v[123:124], off offset:3072
	global_load_b128 v[172:175], v[123:124], off offset:3328
	s_cselect_b32 s22, s9, s4
	s_delay_alu instid0(SALU_CYCLE_1) | instskip(NEXT) | instid1(SALU_CYCLE_1)
	s_ashr_i32 s23, s22, 31
	s_lshl_b64 s[22:23], s[22:23], 2
	s_delay_alu instid0(SALU_CYCLE_1)
	s_add_u32 s22, s34, s22
	s_addc_u32 s23, s35, s23
	s_clause 0x1
	s_load_b32 s42, s[20:21], 0x0
	s_load_b32 s43, s[22:23], 0x0
	s_clause 0x3
	global_load_b128 v[176:179], v[121:122], off offset:3584
	global_load_b128 v[180:183], v[121:122], off offset:3840
	;; [unrolled: 1-line block ×4, first 2 shown]
	s_or_b32 s7, s31, 0x80
	s_delay_alu instid0(SALU_CYCLE_1) | instskip(SKIP_2) | instid1(SALU_CYCLE_1)
	s_ashr_i32 s9, s7, 4
	s_cmp_lt_i32 s7, s28
	s_cselect_b32 s24, s9, s4
	s_ashr_i32 s25, s24, 31
	s_delay_alu instid0(SALU_CYCLE_1) | instskip(NEXT) | instid1(SALU_CYCLE_1)
	s_lshl_b64 s[24:25], s[24:25], 2
	s_add_u32 s24, s34, s24
	s_addc_u32 s25, s35, s25
	s_or_b32 s7, s31, 0x90
	s_load_b32 s44, s[24:25], 0x0
	s_ashr_i32 s9, s7, 4
	s_cmp_lt_i32 s7, s28
	s_cselect_b32 s26, s9, s4
	s_delay_alu instid0(SALU_CYCLE_1) | instskip(NEXT) | instid1(SALU_CYCLE_1)
	s_ashr_i32 s27, s26, 31
	s_lshl_b64 s[26:27], s[26:27], 2
	s_delay_alu instid0(SALU_CYCLE_1) | instskip(SKIP_2) | instid1(SALU_CYCLE_1)
	s_add_u32 s26, s34, s26
	s_addc_u32 s27, s35, s27
	s_or_b32 s7, s31, 0xa0
	s_ashr_i32 s9, s7, 4
	s_cmp_lt_i32 s7, s28
	s_waitcnt lgkmcnt(0)
	s_mul_hi_i32 s7, s6, s5
	s_cselect_b32 s36, s9, s4
	s_mul_i32 s6, s6, s5
	s_ashr_i32 s37, s36, 31
	s_delay_alu instid0(SALU_CYCLE_1) | instskip(NEXT) | instid1(SALU_CYCLE_1)
	s_lshl_b64 s[36:37], s[36:37], 2
	s_add_u32 s36, s34, s36
	s_addc_u32 s37, s35, s37
	s_or_b32 s9, s31, 0xb0
	s_delay_alu instid0(SALU_CYCLE_1)
	s_ashr_i32 s13, s9, 4
	s_cmp_lt_i32 s9, s28
	s_mul_hi_i32 s9, s8, s5
	s_cselect_b32 s38, s13, s4
	s_mul_i32 s8, s8, s5
	s_ashr_i32 s39, s38, 31
	s_mul_hi_i32 s13, s12, s5
	s_lshl_b64 s[38:39], s[38:39], 2
	s_mul_i32 s12, s12, s5
	s_add_u32 s40, s34, s38
	s_addc_u32 s41, s35, s39
	s_or_b32 s17, s31, 0xc0
	s_delay_alu instid0(SALU_CYCLE_1)
	s_ashr_i32 s19, s17, 4
	s_cmp_lt_i32 s17, s28
	s_mul_hi_i32 s17, s16, s5
	s_cselect_b32 s38, s19, s4
	s_mul_i32 s16, s16, s5
	s_ashr_i32 s39, s38, 31
	s_mul_hi_i32 s19, s18, s5
	s_lshl_b64 s[38:39], s[38:39], 2
	s_mul_i32 s18, s18, s5
	s_add_u32 s22, s34, s38
	s_addc_u32 s23, s35, s39
	s_clause 0x1
	s_load_b32 s39, s[26:27], 0x0
	s_load_b32 s38, s[36:37], 0x0
	s_or_b32 s20, s31, 0xd0
	s_mul_hi_i32 s27, s44, s5
	s_ashr_i32 s21, s20, 4
	s_cmp_lt_i32 s20, s28
	s_mul_i32 s20, s15, s5
	s_cselect_b32 s24, s21, s4
	s_mul_hi_i32 s21, s15, s5
	s_ashr_i32 s25, s24, 31
	s_mul_i32 s26, s44, s5
	s_lshl_b64 s[24:25], s[24:25], 2
	s_delay_alu instid0(SALU_CYCLE_1)
	s_add_u32 s24, s34, s24
	s_addc_u32 s25, s35, s25
	s_or_b32 s45, s31, 0xe0
	s_clause 0x2
	s_load_b32 s37, s[40:41], 0x0
	s_load_b32 s36, s[22:23], 0x0
	;; [unrolled: 1-line block ×3, first 2 shown]
	s_ashr_i32 s46, s45, 4
	s_cmp_lt_i32 s45, s28
	s_mul_hi_i32 s23, s42, s5
	s_mul_i32 s22, s42, s5
	s_cselect_b32 s42, s46, s4
	s_mul_hi_i32 s25, s43, s5
	s_mul_i32 s24, s43, s5
	s_ashr_i32 s43, s42, 31
	s_waitcnt lgkmcnt(0)
	s_mul_hi_i32 s41, s39, s5
	s_lshl_b64 s[42:43], s[42:43], 2
	s_mul_i32 s40, s39, s5
	s_add_u32 s42, s34, s42
	s_addc_u32 s43, s35, s43
	s_or_b32 s44, s31, 0xf0
	s_mul_hi_i32 s39, s38, s5
	s_ashr_i32 s46, s44, 4
	s_cmp_lt_i32 s44, s28
	s_mul_i32 s38, s38, s5
	s_cselect_b32 s46, s46, s4
	s_mul_hi_i32 s49, s15, s5
	s_ashr_i32 s47, s46, 31
	s_mul_i32 s48, s15, s5
	s_lshl_b64 s[46:47], s[46:47], 2
	s_mul_hi_i32 s45, s37, s5
	s_add_u32 s34, s34, s46
	s_addc_u32 s35, s35, s47
	s_add_u32 s4, s10, s2
	s_addc_u32 s15, s11, s3
	v_add_co_u32 v216, s4, s4, v125
	s_delay_alu instid0(VALU_DEP_1) | instskip(SKIP_2) | instid1(VALU_DEP_2)
	v_add_co_ci_u32_e64 v217, null, s15, 0, s4
	s_lshl_b64 s[2:3], s[6:7], 1
	s_lshl_b64 s[6:7], s[8:9], 1
	v_add_co_u32 v125, vcc_lo, v216, s2
	s_delay_alu instid0(VALU_DEP_2)
	v_add_co_ci_u32_e32 v126, vcc_lo, s3, v217, vcc_lo
	v_add_co_u32 v200, vcc_lo, v216, s6
	s_lshl_b64 s[8:9], s[12:13], 1
	v_add_co_ci_u32_e32 v201, vcc_lo, s7, v217, vcc_lo
	s_lshl_b64 s[10:11], s[16:17], 1
	s_lshl_b64 s[12:13], s[18:19], 1
	;; [unrolled: 1-line block ×8, first 2 shown]
	s_mul_i32 s44, s37, s5
	s_mul_hi_i32 s37, s36, s5
	s_lshl_b64 s[38:39], s[44:45], 1
	s_mul_i32 s36, s36, s5
	s_clause 0x1
	s_load_b32 s4, s[42:43], 0x0
	s_load_b32 s15, s[34:35], 0x0
	s_lshl_b64 s[36:37], s[36:37], 1
	s_lshl_b64 s[40:41], s[48:49], 1
	s_waitcnt lgkmcnt(0)
	s_mul_hi_i32 s3, s4, s5
	s_mul_i32 s2, s4, s5
	s_mul_hi_i32 s7, s15, s5
	s_lshl_b64 s[2:3], s[2:3], 1
	s_mul_i32 s6, s15, s5
	s_waitcnt vmcnt(30)
	v_wmma_f32_16x16x16_bf16 v[192:199], v[89:96], v[105:112], v[129:136]
	v_add_co_u32 v89, vcc_lo, v216, s8
	v_add_co_ci_u32_e32 v90, vcc_lo, s9, v217, vcc_lo
	v_add_co_u32 v91, vcc_lo, v216, s10
	v_add_co_ci_u32_e32 v92, vcc_lo, s11, v217, vcc_lo
	;; [unrolled: 2-line block ×5, first 2 shown]
	v_add_co_u32 v206, vcc_lo, v216, s20
	s_waitcnt vmcnt(28)
	v_wmma_f32_16x16x16_bf16 v[129:136], v[97:104], v[105:112], v[129:136]
	v_add_co_ci_u32_e32 v207, vcc_lo, s21, v217, vcc_lo
	v_add_co_u32 v208, vcc_lo, v216, s22
	v_add_co_ci_u32_e32 v209, vcc_lo, s23, v217, vcc_lo
	v_add_co_u32 v210, vcc_lo, v216, s24
	s_waitcnt vmcnt(26)
	v_wmma_f32_16x16x16_bf16 v[192:199], v[81:88], v[113:120], v[192:199]
	s_waitcnt vmcnt(24)
	v_wmma_f32_16x16x16_bf16 v[129:136], v[73:80], v[113:120], v[129:136]
	v_add_co_ci_u32_e32 v211, vcc_lo, s25, v217, vcc_lo
	v_add_co_u32 v212, vcc_lo, v216, s26
	v_add_co_ci_u32_e32 v213, vcc_lo, s27, v217, vcc_lo
	v_add_co_u32 v214, vcc_lo, v216, s38
	s_waitcnt vmcnt(22)
	v_wmma_f32_16x16x16_bf16 v[192:199], v[65:72], v[144:151], v[192:199]
	s_waitcnt vmcnt(20)
	v_wmma_f32_16x16x16_bf16 v[129:136], v[57:64], v[144:151], v[129:136]
	v_add_co_ci_u32_e32 v215, vcc_lo, s39, v217, vcc_lo
	v_add_co_u32 v144, vcc_lo, v216, s36
	s_waitcnt vmcnt(18)
	v_wmma_f32_16x16x16_bf16 v[192:199], v[49:56], v[152:159], v[192:199]
	s_waitcnt vmcnt(16)
	v_wmma_f32_16x16x16_bf16 v[129:136], v[41:48], v[152:159], v[129:136]
	v_add_co_ci_u32_e32 v145, vcc_lo, s37, v217, vcc_lo
	s_clause 0x15
	global_load_b128 v[121:124], v[125:126], off
	global_load_b128 v[125:128], v[125:126], off offset:16
	global_load_b128 v[113:116], v[200:201], off
	global_load_b128 v[117:120], v[200:201], off offset:16
	;; [unrolled: 2-line block ×11, first 2 shown]
	s_waitcnt vmcnt(36)
	v_wmma_f32_16x16x16_bf16 v[192:199], v[17:24], v[160:167], v[192:199]
	s_clause 0x1
	global_load_b128 v[17:20], v[214:215], off
	global_load_b128 v[21:24], v[214:215], off offset:16
	s_waitcnt vmcnt(36)
	v_wmma_f32_16x16x16_bf16 v[129:136], v[1:8], v[160:167], v[129:136]
	s_clause 0x1
	global_load_b128 v[1:4], v[144:145], off
	global_load_b128 v[5:8], v[144:145], off offset:16
	ds_load_b128 v[144:147], v141 offset:10240
	ds_load_b128 v[148:151], v141 offset:11264
	;; [unrolled: 1-line block ×4, first 2 shown]
	v_add_co_u32 v200, vcc_lo, v216, s40
	v_add_co_ci_u32_e32 v201, vcc_lo, s41, v217, vcc_lo
	v_add_co_u32 v160, vcc_lo, v216, s2
	v_add_co_ci_u32_e32 v161, vcc_lo, s3, v217, vcc_lo
	s_lshl_b64 s[2:3], s[6:7], 1
	s_delay_alu instid0(SALU_CYCLE_1)
	v_add_co_u32 v162, vcc_lo, v216, s2
	v_add_co_ci_u32_e32 v163, vcc_lo, s3, v217, vcc_lo
	s_waitcnt vmcnt(36) lgkmcnt(2)
	v_wmma_f32_16x16x16_bf16 v[192:199], v[33:40], v[144:151], v[192:199]
	s_waitcnt vmcnt(34)
	v_wmma_f32_16x16x16_bf16 v[129:136], v[25:32], v[144:151], v[129:136]
	s_clause 0x3
	global_load_b128 v[25:28], v[200:201], off
	global_load_b128 v[29:32], v[200:201], off offset:16
	global_load_b128 v[33:36], v[160:161], off
	global_load_b128 v[37:40], v[160:161], off offset:16
	v_and_b32_e32 v144, 0xe0, v0
	v_mbcnt_lo_u32_b32 v160, -1, 0
	s_waitcnt vmcnt(36) lgkmcnt(0)
	v_wmma_f32_16x16x16_bf16 v[192:199], v[9:16], v[152:159], v[192:199]
	s_clause 0x1
	global_load_b128 v[9:12], v[162:163], off
	global_load_b128 v[13:16], v[162:163], off offset:16
	s_waitcnt vmcnt(36)
	v_wmma_f32_16x16x16_bf16 v[129:136], v[168:175], v[152:159], v[129:136]
	v_add_nc_u32_e32 v161, s31, v144
	ds_load_b128 v[144:147], v141 offset:14336
	ds_load_b128 v[148:151], v141 offset:15360
	v_xor_b32_e32 v152, 16, v160
	s_waitcnt vmcnt(0) lgkmcnt(0)
	s_barrier
	buffer_gl0_inv
	v_cmp_gt_i32_e32 vcc_lo, 32, v152
	v_cndmask_b32_e32 v152, v160, v152, vcc_lo
	v_wmma_f32_16x16x16_bf16 v[129:136], v[184:191], v[144:151], v[129:136]
	v_wmma_f32_16x16x16_bf16 v[192:199], v[176:183], v[144:151], v[192:199]
	s_delay_alu instid0(VALU_DEP_2) | instskip(SKIP_1) | instid1(VALU_DEP_3)
	v_mul_f32_e32 v170, s33, v135
	v_or_b32_e32 v153, v161, v138
	v_dual_mul_f32 v150, s33, v193 :: v_dual_mul_f32 v151, s33, v192
	s_delay_alu instid0(VALU_DEP_4) | instskip(SKIP_1) | instid1(VALU_DEP_4)
	v_dual_mul_f32 v148, s33, v195 :: v_dual_mul_f32 v149, s33, v194
	v_mul_f32_e32 v176, s33, v129
	v_or_b32_e32 v154, 2, v153
	v_or_b32_e32 v155, 4, v153
	v_or_b32_e32 v156, 6, v153
	v_cmp_gt_i32_e32 vcc_lo, s28, v153
	v_or_b32_e32 v157, 8, v153
	v_cmp_gt_i32_e64 s2, s28, v154
	v_or_b32_e32 v158, 10, v153
	v_cmp_gt_i32_e64 s3, s28, v155
	v_cndmask_b32_e32 v151, 0xff7fffff, v151, vcc_lo
	v_cmp_gt_i32_e64 s4, s28, v156
	v_cndmask_b32_e64 v150, 0xff7fffff, v150, s2
	v_or_b32_e32 v159, 12, v153
	v_or_b32_e32 v160, 14, v153
	v_dual_mul_f32 v146, s33, v197 :: v_dual_mul_f32 v147, s33, v196
	v_mul_f32_e32 v174, s33, v131
	v_cndmask_b32_e64 v149, 0xff7fffff, v149, s3
	v_cndmask_b32_e64 v148, 0xff7fffff, v148, s4
	v_max3_f32 v150, v151, 0xff7fffff, v150
	v_cmp_gt_i32_e64 s5, s28, v157
	v_cmp_gt_i32_e64 s6, s28, v158
	v_or_b32_e32 v161, 16, v153
	v_or_b32_e32 v162, 18, v153
	v_dual_mul_f32 v144, s33, v199 :: v_dual_mul_f32 v145, s33, v198
	v_mul_f32_e32 v172, s33, v133
	v_cndmask_b32_e64 v147, 0xff7fffff, v147, s5
	v_cndmask_b32_e64 v146, 0xff7fffff, v146, s6
	v_max3_f32 v148, v150, v149, v148
	v_cmp_gt_i32_e64 s7, s28, v159
	v_cmp_gt_i32_e64 s8, s28, v160
	v_or_b32_e32 v163, 20, v153
	v_or_b32_e32 v164, 22, v153
	v_mul_f32_e32 v175, s33, v130
	v_cndmask_b32_e64 v145, 0xff7fffff, v145, s7
	v_cndmask_b32_e64 v144, 0xff7fffff, v144, s8
	v_max3_f32 v146, v148, v147, v146
	v_cmp_gt_i32_e64 s9, s28, v161
	v_cmp_gt_i32_e64 s10, s28, v162
	v_or_b32_e32 v165, 24, v153
	v_or_b32_e32 v166, 26, v153
	;; [unrolled: 8-line block ×3, first 2 shown]
	v_mul_f32_e32 v171, s33, v134
	v_cndmask_b32_e64 v145, 0xff7fffff, v174, s11
	v_cndmask_b32_e64 v146, 0xff7fffff, v173, s12
	v_max3_f32 v144, v144, v147, v148
	v_cmp_gt_i32_e64 s13, s28, v165
	v_cmp_gt_i32_e64 s15, s28, v166
	v_mul_f32_e32 v169, s33, v136
	v_cmp_gt_i32_e64 s16, s28, v167
	v_max3_f32 v144, v144, v145, v146
	v_cndmask_b32_e64 v147, 0xff7fffff, v172, s13
	v_cndmask_b32_e64 v148, 0xff7fffff, v171, s15
	v_cmp_gt_i32_e64 s17, s28, v168
	v_cndmask_b32_e64 v145, 0xff7fffff, v170, s16
	v_lshlrev_b32_e32 v155, 2, v152
	s_delay_alu instid0(VALU_DEP_4) | instskip(NEXT) | instid1(VALU_DEP_4)
	v_max3_f32 v144, v144, v147, v148
	v_cndmask_b32_e64 v146, 0xff7fffff, v169, s17
	s_delay_alu instid0(VALU_DEP_1) | instskip(SKIP_3) | instid1(VALU_DEP_1)
	v_max3_f32 v144, v144, v145, v146
	ds_bpermute_b32 v145, v155, v144
	s_waitcnt lgkmcnt(0)
	v_max_f32_e32 v145, v145, v145
	v_max_f32_e32 v154, v144, v145
	s_delay_alu instid0(VALU_DEP_1)
	v_fma_f32 v144, s33, v192, -v154
	v_fma_f32 v146, s33, v194, -v154
	;; [unrolled: 1-line block ×5, first 2 shown]
	v_mul_f32_e32 v144, 0x3fb8aa3b, v144
	v_mul_f32_e32 v146, 0x3fb8aa3b, v146
	v_fma_f32 v152, s33, v199, -v154
	s_delay_alu instid0(VALU_DEP_4) | instskip(NEXT) | instid1(VALU_DEP_4)
	v_dual_mul_f32 v147, 0x3fb8aa3b, v147 :: v_dual_mul_f32 v148, 0x3fb8aa3b, v148
	v_exp_f32_e32 v144, v144
	s_delay_alu instid0(VALU_DEP_3) | instskip(NEXT) | instid1(VALU_DEP_2)
	v_exp_f32_e32 v149, v146
	v_mul_f32_e32 v152, 0x3fb8aa3b, v152
	s_delay_alu instid0(VALU_DEP_2)
	v_exp_f32_e32 v150, v147
	v_fma_f32 v132, s33, v132, -v154
	v_fma_f32 v151, s33, v198, -v154
	v_exp_f32_e32 v148, v148
	v_fma_f32 v136, s33, v136, -v154
	v_fma_f32 v129, s33, v129, -v154
	v_mul_f32_e32 v132, 0x3fb8aa3b, v132
	v_cndmask_b32_e32 v146, 0, v144, vcc_lo
	v_fma_f32 v144, s33, v197, -v154
	v_mul_f32_e32 v145, 0x3fb8aa3b, v145
	v_cndmask_b32_e64 v149, 0, v149, s3
	v_mul_f32_e32 v151, 0x3fb8aa3b, v151
	v_cndmask_b32_e64 v150, 0, v150, s4
	v_mul_f32_e32 v144, 0x3fb8aa3b, v144
	v_exp_f32_e32 v145, v145
	v_fma_f32 v130, s33, v130, -v154
	v_exp_f32_e32 v153, v151
	v_cndmask_b32_e64 v151, 0, v148, s5
	v_exp_f32_e32 v144, v144
	v_mul_f32_e32 v129, 0x3fb8aa3b, v129
	v_exp_f32_e32 v156, v152
	v_fma_f32 v131, s33, v131, -v154
	v_mul_f32_e32 v130, 0x3fb8aa3b, v130
	v_fma_f32 v133, s33, v133, -v154
	v_cndmask_b32_e64 v147, 0, v145, s2
	v_add_f32_e32 v145, 0, v146
	v_exp_f32_e32 v129, v129
	v_cndmask_b32_e64 v148, 0, v153, s7
	v_cndmask_b32_e64 v152, 0, v144, s6
	v_mul_f32_e32 v131, 0x3fb8aa3b, v131
	v_add_f32_e32 v145, v145, v147
	v_exp_f32_e32 v130, v130
	v_cndmask_b32_e64 v153, 0, v156, s8
	v_fma_f32 v134, s33, v134, -v154
	v_mul_f32_e32 v133, 0x3fb8aa3b, v133
	v_add_f32_e32 v145, v145, v149
	s_mov_b32 s2, exec_lo
	s_delay_alu instid0(VALU_DEP_3) | instskip(NEXT) | instid1(VALU_DEP_2)
	v_mul_f32_e32 v134, 0x3fb8aa3b, v134
	v_add_f32_e32 v145, v145, v150
	s_delay_alu instid0(VALU_DEP_1) | instskip(SKIP_2) | instid1(VALU_DEP_2)
	v_add_f32_e32 v144, v145, v151
	v_exp_f32_e32 v145, v131
	v_cndmask_b32_e64 v131, 0, v129, s9
	v_add_f32_e32 v144, v144, v152
	s_delay_alu instid0(VALU_DEP_1) | instskip(NEXT) | instid1(VALU_DEP_1)
	v_add_f32_e32 v144, v144, v148
	v_add_f32_e32 v129, v144, v153
	v_exp_f32_e32 v144, v132
	v_cndmask_b32_e64 v132, 0, v130, s10
	v_fma_f32 v130, s33, v135, -v154
	v_exp_f32_e32 v135, v133
	v_add_f32_e32 v129, v129, v131
	v_cndmask_b32_e64 v133, 0, v145, s11
	v_exp_f32_e32 v145, v134
	s_delay_alu instid0(VALU_DEP_2) | instskip(NEXT) | instid1(TRANS32_DEP_3)
	v_dual_mul_f32 v130, 0x3fb8aa3b, v130 :: v_dual_add_f32 v129, v129, v132
	v_cndmask_b32_e64 v134, 0, v144, s12
	v_mul_f32_e32 v144, 0x3fb8aa3b, v136
	s_delay_alu instid0(VALU_DEP_3) | instskip(NEXT) | instid1(TRANS32_DEP_3)
	v_exp_f32_e32 v130, v130
	v_cndmask_b32_e64 v135, 0, v135, s13
	v_add_f32_e32 v129, v129, v133
	s_delay_alu instid0(TRANS32_DEP_2) | instskip(SKIP_1) | instid1(VALU_DEP_2)
	v_cndmask_b32_e64 v136, 0, v145, s15
	v_exp_f32_e32 v145, v144
	v_add_f32_e32 v129, v129, v134
	s_waitcnt_depctr 0xfff
	v_cndmask_b32_e64 v144, 0, v130, s16
	v_add_f32_e32 v129, v129, v135
	v_cndmask_b32_e64 v145, 0, v145, s17
	s_delay_alu instid0(VALU_DEP_2) | instskip(NEXT) | instid1(VALU_DEP_1)
	v_add_f32_e32 v129, v129, v136
	v_add_f32_e32 v129, v129, v144
	s_delay_alu instid0(VALU_DEP_1)
	v_add_f32_e32 v129, v129, v145
	ds_bpermute_b32 v130, v155, v129
	v_cmpx_gt_u32_e32 16, v143
	s_cbranch_execz .LBB685_12
; %bb.11:
	v_mul_u32_u24_e32 v143, 0x44, v140
	s_delay_alu instid0(VALU_DEP_1) | instskip(SKIP_1) | instid1(VALU_DEP_1)
	v_lshl_add_u32 v143, v142, 2, v143
	s_waitcnt lgkmcnt(0)
	v_dual_add_f32 v129, v129, v130 :: v_dual_add_nc_u32 v130, 0x4000, v143
	ds_store_2addr_b32 v130, v154, v129 offset1:136
.LBB685_12:
	s_or_b32 exec_lo, exec_lo, s2
	v_lshlrev_b32_e32 v129, 2, v142
	s_waitcnt lgkmcnt(0)
	s_barrier
	buffer_gl0_inv
	v_cmp_eq_u32_e64 s2, 1, v140
	v_add_nc_u32_e32 v162, 0x4000, v129
	ds_load_2addr_b32 v[142:143], v162 offset1:17
	ds_load_2addr_b32 v[154:155], v162 offset0:34 offset1:51
	ds_load_2addr_b32 v[156:157], v162 offset0:68 offset1:85
	;; [unrolled: 1-line block ×4, first 2 shown]
	s_waitcnt lgkmcnt(4)
	v_max3_f32 v129, v142, 0xff7fffff, v143
	s_waitcnt lgkmcnt(3)
	s_delay_alu instid0(VALU_DEP_1) | instskip(SKIP_1) | instid1(VALU_DEP_1)
	v_max3_f32 v129, v129, v154, v155
	s_waitcnt lgkmcnt(2)
	v_max3_f32 v129, v129, v156, v157
	s_waitcnt lgkmcnt(1)
	s_delay_alu instid0(VALU_DEP_1) | instskip(NEXT) | instid1(VALU_DEP_1)
	v_max3_f32 v129, v129, v158, v159
	v_sub_f32_e32 v163, v143, v129
	v_sub_f32_e32 v130, v142, v129
	ds_load_2addr_b32 v[142:143], v162 offset0:170 offset1:187
	v_sub_f32_e32 v156, v156, v129
	v_dual_sub_f32 v154, v154, v129 :: v_dual_mul_f32 v163, 0x3fb8aa3b, v163
	v_mul_f32_e32 v130, 0x3fb8aa3b, v130
	s_delay_alu instid0(VALU_DEP_3) | instskip(NEXT) | instid1(VALU_DEP_3)
	v_dual_sub_f32 v158, v158, v129 :: v_dual_mul_f32 v167, 0x3fb8aa3b, v156
	v_mul_f32_e32 v165, 0x3fb8aa3b, v154
	s_delay_alu instid0(VALU_DEP_4) | instskip(NEXT) | instid1(VALU_DEP_3)
	v_exp_f32_e32 v163, v163
	v_exp_f32_e32 v164, v130
	v_sub_f32_e32 v130, v155, v129
	ds_load_2addr_b32 v[154:155], v162 offset0:204 offset1:221
	v_mul_f32_e32 v158, 0x3fb8aa3b, v158
	v_exp_f32_e32 v165, v165
	v_mul_f32_e32 v166, 0x3fb8aa3b, v130
	s_waitcnt lgkmcnt(2)
	v_fma_f32 v130, v164, v160, 0
	v_sub_f32_e32 v160, v157, v129
	s_delay_alu instid0(VALU_DEP_3)
	v_exp_f32_e32 v166, v166
	ds_load_2addr_b32 v[156:157], v162 offset0:238 offset1:255
	s_waitcnt lgkmcnt(0)
	v_fmac_f32_e32 v130, v163, v161
	v_mul_f32_e32 v160, 0x3fb8aa3b, v160
	v_exp_f32_e32 v161, v167
	s_barrier
	buffer_gl0_inv
	v_fmac_f32_e32 v130, v165, v142
	v_sub_f32_e32 v142, v159, v129
	v_exp_f32_e32 v159, v160
	s_delay_alu instid0(VALU_DEP_2) | instskip(NEXT) | instid1(VALU_DEP_2)
	v_fmac_f32_e32 v130, v166, v143
	v_mul_f32_e32 v142, 0x3fb8aa3b, v142
	v_exp_f32_e32 v143, v158
	s_delay_alu instid0(VALU_DEP_2) | instskip(NEXT) | instid1(VALU_DEP_2)
	v_fmac_f32_e32 v130, v161, v154
	v_exp_f32_e32 v142, v142
	s_delay_alu instid0(TRANS32_DEP_3) | instid1(VALU_DEP_1)
	v_fmac_f32_e32 v130, v159, v155
	s_waitcnt_depctr 0xfff
	v_fmac_f32_e32 v130, v143, v156
	s_delay_alu instid0(VALU_DEP_1) | instskip(NEXT) | instid1(VALU_DEP_1)
	v_fmac_f32_e32 v130, v142, v157
	v_add_f32_e32 v154, 0x358637bd, v130
	s_delay_alu instid0(VALU_DEP_1) | instskip(SKIP_1) | instid1(VALU_DEP_2)
	v_div_scale_f32 v155, null, v154, v154, 1.0
	v_div_scale_f32 v158, vcc_lo, 1.0, v154, 1.0
	v_rcp_f32_e32 v156, v155
	s_waitcnt_depctr 0xfff
	v_fma_f32 v157, -v155, v156, 1.0
	s_delay_alu instid0(VALU_DEP_1) | instskip(SKIP_2) | instid1(VALU_DEP_3)
	v_fmac_f32_e32 v156, v157, v156
	v_cndmask_b32_e64 v157, v164, v163, s2
	v_cmp_eq_u32_e64 s2, 2, v140
	v_mul_f32_e32 v160, v158, v156
	s_delay_alu instid0(VALU_DEP_2) | instskip(SKIP_1) | instid1(VALU_DEP_3)
	v_cndmask_b32_e64 v157, v157, v165, s2
	v_cmp_eq_u32_e64 s2, 3, v140
	v_fma_f32 v162, -v155, v160, v158
	s_delay_alu instid0(VALU_DEP_2) | instskip(SKIP_1) | instid1(VALU_DEP_3)
	v_cndmask_b32_e64 v157, v157, v166, s2
	v_cmp_eq_u32_e64 s2, 4, v140
	v_fmac_f32_e32 v160, v162, v156
	s_delay_alu instid0(VALU_DEP_2) | instskip(NEXT) | instid1(VALU_DEP_2)
	v_cndmask_b32_e64 v157, v157, v161, s2
	v_fma_f32 v155, -v155, v160, v158
	v_cmp_eq_u32_e64 s2, 5, v140
	s_delay_alu instid0(VALU_DEP_2) | instskip(NEXT) | instid1(VALU_DEP_2)
	v_div_fmas_f32 v155, v155, v156, v160
	v_cndmask_b32_e64 v157, v157, v159, s2
	v_cmp_eq_u32_e32 vcc_lo, 6, v140
	s_delay_alu instid0(VALU_DEP_3) | instskip(NEXT) | instid1(VALU_DEP_3)
	v_div_fixup_f32 v154, v155, v154, 1.0
	v_cndmask_b32_e32 v143, v157, v143, vcc_lo
	v_cmp_eq_u32_e32 vcc_lo, 7, v140
	s_delay_alu instid0(VALU_DEP_2) | instskip(NEXT) | instid1(VALU_DEP_1)
	v_cndmask_b32_e32 v142, v143, v142, vcc_lo
	v_mul_f32_e32 v142, v142, v154
	s_delay_alu instid0(VALU_DEP_1)
	v_mul_f32_e32 v154, v142, v146
	v_mul_f32_e32 v146, v142, v153
	v_mul_f32_e32 v148, v142, v148
	v_mul_f32_e32 v152, v142, v152
	v_mul_f32_e32 v151, v142, v151
	v_and_b32_e32 v143, 0x7f800000, v154
	v_mul_f32_e32 v153, v142, v150
	v_mul_f32_e32 v150, v142, v149
	;; [unrolled: 1-line block ×3, first 2 shown]
	s_delay_alu instid0(VALU_DEP_4) | instskip(SKIP_1) | instid1(SALU_CYCLE_1)
	v_cmp_ne_u32_e32 vcc_lo, 0x7f800000, v143
                                        ; implicit-def: $vgpr143
	s_and_saveexec_b32 s2, vcc_lo
	s_xor_b32 s2, exec_lo, s2
; %bb.13:
	v_bfe_u32 v143, v154, 16, 1
	s_delay_alu instid0(VALU_DEP_1)
	v_add3_u32 v143, v154, v143, 0x7fff
                                        ; implicit-def: $vgpr154
; %bb.14:
	s_and_not1_saveexec_b32 s2, s2
; %bb.15:
	v_and_b32_e32 v143, 0xffff, v154
	v_or_b32_e32 v147, 0x10000, v154
	s_delay_alu instid0(VALU_DEP_2) | instskip(NEXT) | instid1(VALU_DEP_2)
	v_cmp_eq_u32_e32 vcc_lo, 0, v143
	v_cndmask_b32_e32 v143, v147, v154, vcc_lo
; %bb.16:
	s_or_b32 exec_lo, exec_lo, s2
	v_and_b32_e32 v147, 0x7f800000, v149
	s_delay_alu instid0(VALU_DEP_1) | instskip(SKIP_1) | instid1(SALU_CYCLE_1)
	v_cmp_ne_u32_e32 vcc_lo, 0x7f800000, v147
                                        ; implicit-def: $vgpr147
	s_and_saveexec_b32 s2, vcc_lo
	s_xor_b32 s2, exec_lo, s2
; %bb.17:
	v_bfe_u32 v147, v149, 16, 1
	s_delay_alu instid0(VALU_DEP_1)
	v_add3_u32 v147, v149, v147, 0x7fff
                                        ; implicit-def: $vgpr149
; %bb.18:
	s_and_not1_saveexec_b32 s2, s2
; %bb.19:
	v_and_b32_e32 v147, 0xffff, v149
	v_or_b32_e32 v154, 0x10000, v149
	s_delay_alu instid0(VALU_DEP_2) | instskip(NEXT) | instid1(VALU_DEP_2)
	v_cmp_eq_u32_e32 vcc_lo, 0, v147
	v_cndmask_b32_e32 v147, v154, v149, vcc_lo
; %bb.20:
	s_or_b32 exec_lo, exec_lo, s2
	v_and_b32_e32 v149, 0x7f800000, v150
	s_delay_alu instid0(VALU_DEP_1) | instskip(SKIP_1) | instid1(SALU_CYCLE_1)
	v_cmp_ne_u32_e32 vcc_lo, 0x7f800000, v149
                                        ; implicit-def: $vgpr149
	s_and_saveexec_b32 s2, vcc_lo
	s_xor_b32 s2, exec_lo, s2
; %bb.21:
	v_bfe_u32 v149, v150, 16, 1
	s_delay_alu instid0(VALU_DEP_1)
	v_add3_u32 v149, v150, v149, 0x7fff
                                        ; implicit-def: $vgpr150
; %bb.22:
	s_and_not1_saveexec_b32 s2, s2
; %bb.23:
	v_and_b32_e32 v149, 0xffff, v150
	v_or_b32_e32 v154, 0x10000, v150
	s_delay_alu instid0(VALU_DEP_2) | instskip(NEXT) | instid1(VALU_DEP_2)
	v_cmp_eq_u32_e32 vcc_lo, 0, v149
	v_cndmask_b32_e32 v149, v154, v150, vcc_lo
; %bb.24:
	s_or_b32 exec_lo, exec_lo, s2
	v_and_b32_e32 v150, 0x7f800000, v153
	s_delay_alu instid0(VALU_DEP_1) | instskip(SKIP_1) | instid1(SALU_CYCLE_1)
	v_cmp_ne_u32_e32 vcc_lo, 0x7f800000, v150
                                        ; implicit-def: $vgpr150
	s_and_saveexec_b32 s2, vcc_lo
	s_xor_b32 s2, exec_lo, s2
; %bb.25:
	v_bfe_u32 v150, v153, 16, 1
	s_delay_alu instid0(VALU_DEP_1)
	v_add3_u32 v150, v153, v150, 0x7fff
                                        ; implicit-def: $vgpr153
; %bb.26:
	s_and_not1_saveexec_b32 s2, s2
; %bb.27:
	v_and_b32_e32 v150, 0xffff, v153
	v_or_b32_e32 v154, 0x10000, v153
	s_delay_alu instid0(VALU_DEP_2) | instskip(NEXT) | instid1(VALU_DEP_2)
	v_cmp_eq_u32_e32 vcc_lo, 0, v150
	v_cndmask_b32_e32 v150, v154, v153, vcc_lo
; %bb.28:
	s_or_b32 exec_lo, exec_lo, s2
	v_and_b32_e32 v153, 0x7f800000, v151
	s_delay_alu instid0(VALU_DEP_1) | instskip(SKIP_1) | instid1(SALU_CYCLE_1)
	v_cmp_ne_u32_e32 vcc_lo, 0x7f800000, v153
                                        ; implicit-def: $vgpr153
	s_and_saveexec_b32 s2, vcc_lo
	s_xor_b32 s2, exec_lo, s2
; %bb.29:
	v_bfe_u32 v153, v151, 16, 1
	s_delay_alu instid0(VALU_DEP_1)
	v_add3_u32 v153, v151, v153, 0x7fff
                                        ; implicit-def: $vgpr151
; %bb.30:
	s_and_not1_saveexec_b32 s2, s2
; %bb.31:
	v_and_b32_e32 v153, 0xffff, v151
	v_or_b32_e32 v154, 0x10000, v151
	s_delay_alu instid0(VALU_DEP_2) | instskip(NEXT) | instid1(VALU_DEP_2)
	v_cmp_eq_u32_e32 vcc_lo, 0, v153
	v_cndmask_b32_e32 v153, v154, v151, vcc_lo
; %bb.32:
	s_or_b32 exec_lo, exec_lo, s2
	v_and_b32_e32 v151, 0x7f800000, v152
	s_delay_alu instid0(VALU_DEP_1) | instskip(SKIP_1) | instid1(SALU_CYCLE_1)
	v_cmp_ne_u32_e32 vcc_lo, 0x7f800000, v151
                                        ; implicit-def: $vgpr151
	s_and_saveexec_b32 s2, vcc_lo
	s_xor_b32 s2, exec_lo, s2
; %bb.33:
	v_bfe_u32 v151, v152, 16, 1
	s_delay_alu instid0(VALU_DEP_1)
	v_add3_u32 v151, v152, v151, 0x7fff
                                        ; implicit-def: $vgpr152
; %bb.34:
	s_and_not1_saveexec_b32 s2, s2
; %bb.35:
	v_and_b32_e32 v151, 0xffff, v152
	v_or_b32_e32 v154, 0x10000, v152
	s_delay_alu instid0(VALU_DEP_2) | instskip(NEXT) | instid1(VALU_DEP_2)
	v_cmp_eq_u32_e32 vcc_lo, 0, v151
	v_cndmask_b32_e32 v151, v154, v152, vcc_lo
; %bb.36:
	s_or_b32 exec_lo, exec_lo, s2
	v_and_b32_e32 v152, 0x7f800000, v148
	s_delay_alu instid0(VALU_DEP_1) | instskip(SKIP_1) | instid1(SALU_CYCLE_1)
	v_cmp_ne_u32_e32 vcc_lo, 0x7f800000, v152
                                        ; implicit-def: $vgpr152
	s_and_saveexec_b32 s2, vcc_lo
	s_xor_b32 s2, exec_lo, s2
; %bb.37:
	v_bfe_u32 v152, v148, 16, 1
	s_delay_alu instid0(VALU_DEP_1)
	v_add3_u32 v152, v148, v152, 0x7fff
                                        ; implicit-def: $vgpr148
; %bb.38:
	s_and_not1_saveexec_b32 s2, s2
; %bb.39:
	v_and_b32_e32 v152, 0xffff, v148
	v_or_b32_e32 v154, 0x10000, v148
	s_delay_alu instid0(VALU_DEP_2) | instskip(NEXT) | instid1(VALU_DEP_2)
	v_cmp_eq_u32_e32 vcc_lo, 0, v152
	v_cndmask_b32_e32 v152, v154, v148, vcc_lo
; %bb.40:
	s_or_b32 exec_lo, exec_lo, s2
	v_and_b32_e32 v148, 0x7f800000, v146
	s_delay_alu instid0(VALU_DEP_1) | instskip(SKIP_1) | instid1(SALU_CYCLE_1)
	v_cmp_ne_u32_e32 vcc_lo, 0x7f800000, v148
                                        ; implicit-def: $vgpr148
	s_and_saveexec_b32 s2, vcc_lo
	s_xor_b32 s2, exec_lo, s2
; %bb.41:
	v_bfe_u32 v148, v146, 16, 1
	s_delay_alu instid0(VALU_DEP_1)
	v_add3_u32 v148, v146, v148, 0x7fff
                                        ; implicit-def: $vgpr146
; %bb.42:
	s_and_not1_saveexec_b32 s2, s2
; %bb.43:
	v_and_b32_e32 v148, 0xffff, v146
	v_or_b32_e32 v154, 0x10000, v146
	s_delay_alu instid0(VALU_DEP_2) | instskip(NEXT) | instid1(VALU_DEP_2)
	v_cmp_eq_u32_e32 vcc_lo, 0, v148
	v_cndmask_b32_e32 v148, v154, v146, vcc_lo
; %bb.44:
	s_or_b32 exec_lo, exec_lo, s2
	s_load_b64 s[34:35], s[0:1], 0x94
	v_lshlrev_b32_e32 v146, 4, v138
	s_delay_alu instid0(VALU_DEP_2)
	v_perm_b32 v152, v148, v152, 0x7060302
	v_lshlrev_b32_e32 v148, 11, v140
	v_perm_b32 v150, v150, v149, 0x7060302
	v_perm_b32 v149, v147, v143, 0x7060302
	v_mul_f32_e32 v143, v142, v145
	v_mul_f32_e32 v147, v142, v131
	v_perm_b32 v151, v151, v153, 0x7060302
	v_or3_b32 v131, v146, v148, v141
	v_mul_f32_e32 v144, v142, v144
	v_mul_f32_e32 v136, v142, v136
	v_dual_mul_f32 v145, v142, v134 :: v_dual_and_b32 v148, 0x7f800000, v147
	v_mul_f32_e32 v135, v142, v135
	v_mul_f32_e32 v146, v142, v133
	;; [unrolled: 1-line block ×3, first 2 shown]
	s_mov_b32 s2, exec_lo
	ds_store_b128 v131, v[149:152]
                                        ; implicit-def: $vgpr132
	v_cmpx_ne_u32_e32 0x7f800000, v148
	s_xor_b32 s2, exec_lo, s2
; %bb.45:
	v_bfe_u32 v132, v147, 16, 1
	s_delay_alu instid0(VALU_DEP_1)
	v_add3_u32 v132, v147, v132, 0x7fff
                                        ; implicit-def: $vgpr147
; %bb.46:
	s_and_not1_saveexec_b32 s2, s2
; %bb.47:
	v_and_b32_e32 v132, 0xffff, v147
	v_or_b32_e32 v133, 0x10000, v147
	s_delay_alu instid0(VALU_DEP_2) | instskip(NEXT) | instid1(VALU_DEP_2)
	v_cmp_eq_u32_e32 vcc_lo, 0, v132
	v_cndmask_b32_e32 v132, v133, v147, vcc_lo
; %bb.48:
	s_or_b32 exec_lo, exec_lo, s2
	v_and_b32_e32 v133, 0x7f800000, v134
	s_delay_alu instid0(VALU_DEP_1) | instskip(SKIP_1) | instid1(SALU_CYCLE_1)
	v_cmp_ne_u32_e32 vcc_lo, 0x7f800000, v133
                                        ; implicit-def: $vgpr133
	s_and_saveexec_b32 s2, vcc_lo
	s_xor_b32 s2, exec_lo, s2
; %bb.49:
	v_bfe_u32 v133, v134, 16, 1
	s_delay_alu instid0(VALU_DEP_1)
	v_add3_u32 v133, v134, v133, 0x7fff
                                        ; implicit-def: $vgpr134
; %bb.50:
	s_and_not1_saveexec_b32 s2, s2
; %bb.51:
	v_and_b32_e32 v133, 0xffff, v134
	v_or_b32_e32 v142, 0x10000, v134
	s_delay_alu instid0(VALU_DEP_2) | instskip(NEXT) | instid1(VALU_DEP_2)
	v_cmp_eq_u32_e32 vcc_lo, 0, v133
	v_cndmask_b32_e32 v133, v142, v134, vcc_lo
; %bb.52:
	s_or_b32 exec_lo, exec_lo, s2
	v_and_b32_e32 v134, 0x7f800000, v146
	s_delay_alu instid0(VALU_DEP_1) | instskip(SKIP_1) | instid1(SALU_CYCLE_1)
	v_cmp_ne_u32_e32 vcc_lo, 0x7f800000, v134
                                        ; implicit-def: $vgpr134
	s_and_saveexec_b32 s2, vcc_lo
	s_xor_b32 s2, exec_lo, s2
; %bb.53:
	v_bfe_u32 v134, v146, 16, 1
	s_delay_alu instid0(VALU_DEP_1)
	v_add3_u32 v134, v146, v134, 0x7fff
                                        ; implicit-def: $vgpr146
; %bb.54:
	s_and_not1_saveexec_b32 s2, s2
; %bb.55:
	v_and_b32_e32 v134, 0xffff, v146
	v_or_b32_e32 v142, 0x10000, v146
	s_delay_alu instid0(VALU_DEP_2) | instskip(NEXT) | instid1(VALU_DEP_2)
	v_cmp_eq_u32_e32 vcc_lo, 0, v134
	v_cndmask_b32_e32 v134, v142, v146, vcc_lo
; %bb.56:
	s_or_b32 exec_lo, exec_lo, s2
	v_and_b32_e32 v142, 0x7f800000, v145
	s_delay_alu instid0(VALU_DEP_1) | instskip(SKIP_1) | instid1(SALU_CYCLE_1)
	v_cmp_ne_u32_e32 vcc_lo, 0x7f800000, v142
                                        ; implicit-def: $vgpr142
	s_and_saveexec_b32 s2, vcc_lo
	s_xor_b32 s2, exec_lo, s2
; %bb.57:
	v_bfe_u32 v142, v145, 16, 1
	s_delay_alu instid0(VALU_DEP_1)
	v_add3_u32 v142, v145, v142, 0x7fff
                                        ; implicit-def: $vgpr145
; %bb.58:
	s_and_not1_saveexec_b32 s2, s2
; %bb.59:
	v_and_b32_e32 v142, 0xffff, v145
	v_or_b32_e32 v146, 0x10000, v145
	s_delay_alu instid0(VALU_DEP_2) | instskip(NEXT) | instid1(VALU_DEP_2)
	v_cmp_eq_u32_e32 vcc_lo, 0, v142
	v_cndmask_b32_e32 v142, v146, v145, vcc_lo
; %bb.60:
	s_or_b32 exec_lo, exec_lo, s2
	v_and_b32_e32 v145, 0x7f800000, v135
	s_delay_alu instid0(VALU_DEP_1) | instskip(SKIP_1) | instid1(SALU_CYCLE_1)
	v_cmp_ne_u32_e32 vcc_lo, 0x7f800000, v145
                                        ; implicit-def: $vgpr145
	s_and_saveexec_b32 s2, vcc_lo
	s_xor_b32 s2, exec_lo, s2
; %bb.61:
	v_bfe_u32 v145, v135, 16, 1
	s_delay_alu instid0(VALU_DEP_1)
	v_add3_u32 v145, v135, v145, 0x7fff
                                        ; implicit-def: $vgpr135
; %bb.62:
	s_and_not1_saveexec_b32 s2, s2
; %bb.63:
	v_and_b32_e32 v145, 0xffff, v135
	v_or_b32_e32 v146, 0x10000, v135
	s_delay_alu instid0(VALU_DEP_2) | instskip(NEXT) | instid1(VALU_DEP_2)
	v_cmp_eq_u32_e32 vcc_lo, 0, v145
	v_cndmask_b32_e32 v145, v146, v135, vcc_lo
; %bb.64:
	s_or_b32 exec_lo, exec_lo, s2
	v_and_b32_e32 v135, 0x7f800000, v136
	s_delay_alu instid0(VALU_DEP_1) | instskip(SKIP_1) | instid1(SALU_CYCLE_1)
	v_cmp_ne_u32_e32 vcc_lo, 0x7f800000, v135
                                        ; implicit-def: $vgpr135
	s_and_saveexec_b32 s2, vcc_lo
	s_xor_b32 s2, exec_lo, s2
; %bb.65:
	v_bfe_u32 v135, v136, 16, 1
	s_delay_alu instid0(VALU_DEP_1)
	v_add3_u32 v135, v136, v135, 0x7fff
                                        ; implicit-def: $vgpr136
; %bb.66:
	s_and_not1_saveexec_b32 s2, s2
; %bb.67:
	v_and_b32_e32 v135, 0xffff, v136
	v_or_b32_e32 v146, 0x10000, v136
	s_delay_alu instid0(VALU_DEP_2) | instskip(NEXT) | instid1(VALU_DEP_2)
	v_cmp_eq_u32_e32 vcc_lo, 0, v135
	v_cndmask_b32_e32 v135, v146, v136, vcc_lo
; %bb.68:
	s_or_b32 exec_lo, exec_lo, s2
	v_and_b32_e32 v136, 0x7f800000, v144
	s_delay_alu instid0(VALU_DEP_1) | instskip(SKIP_1) | instid1(SALU_CYCLE_1)
	v_cmp_ne_u32_e32 vcc_lo, 0x7f800000, v136
                                        ; implicit-def: $vgpr136
	s_and_saveexec_b32 s2, vcc_lo
	s_xor_b32 s2, exec_lo, s2
; %bb.69:
	v_bfe_u32 v136, v144, 16, 1
	s_delay_alu instid0(VALU_DEP_1)
	v_add3_u32 v136, v144, v136, 0x7fff
                                        ; implicit-def: $vgpr144
; %bb.70:
	s_and_not1_saveexec_b32 s2, s2
; %bb.71:
	v_and_b32_e32 v136, 0xffff, v144
	v_or_b32_e32 v146, 0x10000, v144
	s_delay_alu instid0(VALU_DEP_2) | instskip(NEXT) | instid1(VALU_DEP_2)
	v_cmp_eq_u32_e32 vcc_lo, 0, v136
	v_cndmask_b32_e32 v136, v146, v144, vcc_lo
; %bb.72:
	s_or_b32 exec_lo, exec_lo, s2
	v_and_b32_e32 v144, 0x7f800000, v143
	s_delay_alu instid0(VALU_DEP_1) | instskip(SKIP_1) | instid1(SALU_CYCLE_1)
	v_cmp_ne_u32_e32 vcc_lo, 0x7f800000, v144
                                        ; implicit-def: $vgpr144
	s_and_saveexec_b32 s2, vcc_lo
	s_xor_b32 s2, exec_lo, s2
; %bb.73:
	v_bfe_u32 v144, v143, 16, 1
	s_delay_alu instid0(VALU_DEP_1)
	v_add3_u32 v144, v143, v144, 0x7fff
                                        ; implicit-def: $vgpr143
; %bb.74:
	s_and_not1_saveexec_b32 s2, s2
; %bb.75:
	v_and_b32_e32 v144, 0xffff, v143
	v_or_b32_e32 v146, 0x10000, v143
	s_delay_alu instid0(VALU_DEP_2) | instskip(NEXT) | instid1(VALU_DEP_2)
	v_cmp_eq_u32_e32 vcc_lo, 0, v144
	v_cndmask_b32_e32 v144, v146, v143, vcc_lo
; %bb.76:
	s_or_b32 exec_lo, exec_lo, s2
	s_delay_alu instid0(VALU_DEP_1)
	v_perm_b32 v136, v144, v136, 0x7060302
	v_perm_b32 v135, v135, v145, 0x7060302
	;; [unrolled: 1-line block ×4, first 2 shown]
	v_lshl_or_b32 v144, v140, 11, v141
	ds_store_b128 v131, v[133:136] offset:1024
	s_waitcnt lgkmcnt(0)
	s_barrier
	buffer_gl0_inv
	ds_load_b128 v[132:135], v144
	ds_load_b128 v[146:149], v144 offset:16
	s_waitcnt lgkmcnt(1)
	v_lshrrev_b32_e32 v159, 16, v134
	v_lshlrev_b32_e32 v142, 2, v138
	v_lshrrev_b32_e32 v136, 16, v132
	v_lshrrev_b32_e32 v158, 16, v133
	s_waitcnt lgkmcnt(0)
	v_lshrrev_b32_e32 v154, 16, v146
	v_lshrrev_b32_e32 v160, 16, v147
	v_or_b32_e32 v143, 1, v142
	v_lshrrev_b32_e32 v162, 16, v148
	v_lshrrev_b32_e32 v163, 16, v149
	;; [unrolled: 1-line block ×3, first 2 shown]
	s_delay_alu instid0(VALU_DEP_4)
	v_cmp_eq_u32_e64 s6, 1, v143
	v_cmp_eq_u32_e64 s5, 2, v143
	;; [unrolled: 1-line block ×4, first 2 shown]
	v_cmp_eq_u32_e32 vcc_lo, 5, v143
	v_cndmask_b32_e64 v151, v132, v136, s6
	v_cndmask_b32_e64 v152, v146, v154, s6
	v_cmp_eq_u32_e64 s3, 6, v143
	v_cmp_eq_u32_e64 s18, 7, v143
	s_delay_alu instid0(VALU_DEP_4) | instskip(NEXT) | instid1(VALU_DEP_4)
	v_cndmask_b32_e64 v151, v151, v133, s5
	v_cndmask_b32_e64 v152, v152, v147, s5
	s_delay_alu instid0(VALU_DEP_2) | instskip(NEXT) | instid1(VALU_DEP_2)
	v_cndmask_b32_e64 v151, v151, v158, s4
	v_cndmask_b32_e64 v152, v152, v160, s4
	s_delay_alu instid0(VALU_DEP_2) | instskip(NEXT) | instid1(VALU_DEP_2)
	v_cndmask_b32_e64 v151, v151, v134, s2
	v_cndmask_b32_e64 v152, v152, v148, s2
	s_delay_alu instid0(VALU_DEP_2)
	v_cndmask_b32_e32 v151, v151, v159, vcc_lo
	v_cmp_eq_u32_e64 s11, 1, v142
	v_cmp_eq_u32_e64 s10, 2, v142
	v_cmp_eq_u32_e64 s15, 3, v142
	v_or_b32_e32 v140, 2, v142
	v_cmp_eq_u32_e64 s16, 4, v142
	v_cndmask_b32_e64 v150, v146, v154, s11
	v_cndmask_b32_e64 v145, v132, v136, s11
	v_cmp_eq_u32_e64 s12, 5, v142
	v_cmp_eq_u32_e64 s7, 1, v140
	;; [unrolled: 1-line block ×3, first 2 shown]
	v_cndmask_b32_e64 v150, v150, v147, s10
	v_cndmask_b32_e64 v145, v145, v133, s10
	v_cmp_eq_u32_e64 s9, 2, v140
	v_cndmask_b32_e64 v153, v132, v136, s7
	v_cmp_eq_u32_e64 s8, 7, v142
	v_cndmask_b32_e64 v150, v150, v160, s15
	v_cndmask_b32_e64 v145, v145, v158, s15
	v_cmp_eq_u32_e64 s17, 3, v140
	v_cndmask_b32_e64 v153, v153, v133, s9
	v_cndmask_b32_e64 v151, v151, v135, s3
	;; [unrolled: 1-line block ×4, first 2 shown]
	v_cmp_eq_u32_e64 s19, 4, v140
	v_cndmask_b32_e64 v153, v153, v158, s17
	v_cndmask_b32_e64 v166, v151, v161, s18
	;; [unrolled: 1-line block ×4, first 2 shown]
	v_cndmask_b32_e32 v155, v152, v162, vcc_lo
	v_cndmask_b32_e64 v157, v153, v134, s19
	v_cmp_eq_u32_e64 s21, 5, v140
	v_cndmask_b32_e64 v150, v150, v149, s13
	v_cndmask_b32_e64 v145, v145, v135, s13
	v_cmp_eq_u32_e64 s24, 6, v140
	v_cmp_eq_u32_e64 s26, 7, v140
	v_cndmask_b32_e64 v167, v157, v159, s21
	v_cndmask_b32_e64 v165, v150, v163, s8
	;; [unrolled: 1-line block ×4, first 2 shown]
	v_or_b32_e32 v145, 3, v142
	s_delay_alu instid0(VALU_DEP_3)
	v_cndmask_b32_e64 v156, v150, v147, s9
	ds_load_b128 v[150:153], v144 offset:1024
	v_cmp_eq_u32_e64 s20, 1, v145
	v_cmp_eq_u32_e64 s22, 2, v145
	;; [unrolled: 1-line block ×3, first 2 shown]
	v_cndmask_b32_e64 v156, v156, v160, s17
	v_cmp_eq_u32_e64 s25, 4, v145
	v_cndmask_b32_e64 v132, v132, v136, s20
	v_cndmask_b32_e64 v136, v155, v149, s3
	;; [unrolled: 1-line block ×4, first 2 shown]
	ds_load_b128 v[154:157], v144 offset:1040
	v_cndmask_b32_e64 v132, v132, v133, s22
	v_cmp_eq_u32_e64 s27, 5, v145
	v_cndmask_b32_e64 v146, v146, v147, s22
	v_cmp_eq_u32_e64 s28, 6, v145
	v_cndmask_b32_e64 v133, v168, v162, s21
	v_cndmask_b32_e64 v132, v132, v158, s23
	;; [unrolled: 1-line block ×5, first 2 shown]
	s_waitcnt lgkmcnt(1)
	v_lshrrev_b32_e32 v158, 16, v150
	v_cndmask_b32_e64 v132, v132, v134, s25
	v_cndmask_b32_e64 v133, v133, v149, s24
	;; [unrolled: 1-line block ×6, first 2 shown]
	v_lshrrev_b32_e32 v159, 16, v151
	v_cndmask_b32_e64 v160, v150, v158, s6
	v_cndmask_b32_e64 v134, v134, v162, s27
	s_waitcnt lgkmcnt(0)
	v_lshrrev_b32_e32 v148, 16, v154
	v_cndmask_b32_e64 v146, v146, v151, s10
	v_cndmask_b32_e64 v132, v132, v135, s28
	;; [unrolled: 1-line block ×7, first 2 shown]
	v_lshrrev_b32_e32 v160, 16, v155
	s_delay_alu instid0(VALU_DEP_4) | instskip(SKIP_1) | instid1(VALU_DEP_4)
	v_cndmask_b32_e64 v149, v162, v155, s10
	v_cmp_eq_u32_e64 s10, 7, v145
	v_cndmask_b32_e64 v146, v146, v159, s4
	v_cndmask_b32_e64 v135, v135, v152, s16
	v_lshrrev_b32_e32 v162, 16, v152
	v_cndmask_b32_e64 v149, v149, v160, s15
	v_cndmask_b32_e64 v132, v132, v161, s10
	;; [unrolled: 1-line block ×6, first 2 shown]
	v_lshrrev_b32_e32 v163, 16, v156
	v_perm_b32 v135, v134, v132, 0x5040100
	v_cndmask_b32_e32 v132, v146, v162, vcc_lo
	v_cndmask_b32_e64 v146, v161, v153, s13
	v_lshrrev_b32_e32 v161, 16, v153
	v_cndmask_b32_e64 v149, v149, v163, s12
	v_perm_b32 v134, v133, v147, 0x5040100
	v_cndmask_b32_e64 v132, v132, v153, s3
	v_perm_b32 v133, v136, v166, 0x5040100
	v_cndmask_b32_e64 v136, v146, v161, s8
	v_cndmask_b32_e64 v146, v149, v157, s13
	;; [unrolled: 1-line block ×27, first 2 shown]
	v_cndmask_b32_e32 v148, v148, v163, vcc_lo
	v_lshrrev_b32_e32 v147, 16, v157
	v_cndmask_b32_e64 v132, v132, v153, s24
	v_cndmask_b32_e64 v149, v149, v153, s28
	;; [unrolled: 1-line block ×11, first 2 shown]
	v_perm_b32 v132, v165, v164, 0x5040100
	v_perm_b32 v149, v150, v149, 0x5040100
	;; [unrolled: 1-line block ×5, first 2 shown]
	s_lshl_b32 s7, s35, 4
	s_mov_b32 s2, exec_lo
	ds_store_b128 v131, v[132:135]
	ds_store_b128 v131, v[146:149] offset:1024
	v_cmpx_gt_u32_e32 16, v0
	s_cbranch_execz .LBB685_78
; %bb.77:
	v_or_b32_e32 v131, s29, v0
	s_load_b128 s[8:11], s[0:1], 0x58
	s_delay_alu instid0(VALU_DEP_1) | instskip(NEXT) | instid1(VALU_DEP_1)
	v_mad_u64_u32 v[132:133], null, s7, s30, v[131:132]
	v_mad_u64_u32 v[133:134], null, v132, s34, s[14:15]
	s_delay_alu instid0(VALU_DEP_1) | instskip(NEXT) | instid1(VALU_DEP_1)
	v_ashrrev_i32_e32 v134, 31, v133
	v_lshlrev_b64 v[131:132], 2, v[133:134]
	s_waitcnt lgkmcnt(0)
	s_delay_alu instid0(VALU_DEP_1) | instskip(NEXT) | instid1(VALU_DEP_2)
	v_add_co_u32 v133, vcc_lo, s10, v131
	v_add_co_ci_u32_e32 v134, vcc_lo, s11, v132, vcc_lo
	v_add_co_u32 v131, vcc_lo, s8, v131
	v_add_co_ci_u32_e32 v132, vcc_lo, s9, v132, vcc_lo
	global_store_b32 v[133:134], v129, off
	global_store_b32 v[131:132], v130, off
.LBB685_78:
	s_or_b32 exec_lo, exec_lo, s2
	s_waitcnt lgkmcnt(0)
	s_waitcnt_vscnt null, 0x0
	s_barrier
	buffer_gl0_inv
	ds_load_b128 v[146:149], v141
	ds_load_b128 v[150:153], v141 offset:16
	ds_load_b128 v[158:161], v141 offset:1040
	ds_load_b128 v[154:157], v141 offset:1024
	v_mov_b32_e32 v129, 0
	ds_load_b128 v[166:169], v141 offset:2064
	ds_load_b128 v[162:165], v141 offset:2048
	ds_load_b128 v[174:177], v141 offset:3088
	ds_load_b128 v[170:173], v141 offset:3072
	ds_load_b128 v[182:185], v141 offset:4112
	ds_load_b128 v[178:181], v141 offset:4096
	v_mov_b32_e32 v130, v129
	v_mov_b32_e32 v131, v129
	;; [unrolled: 1-line block ×7, first 2 shown]
	s_waitcnt lgkmcnt(8)
	s_delay_alu instid0(VALU_DEP_1)
	v_wmma_f32_16x16x16_bf16 v[129:136], v[121:128], v[146:153], v[129:136]
	ds_load_b128 v[125:128], v141 offset:5136
	ds_load_b128 v[121:124], v141 offset:5120
	s_waitcnt lgkmcnt(8)
	v_wmma_f32_16x16x16_bf16 v[129:136], v[113:120], v[154:161], v[129:136]
	ds_load_b128 v[117:120], v141 offset:6160
	ds_load_b128 v[113:116], v141 offset:6144
	s_waitcnt lgkmcnt(8)
	;; [unrolled: 4-line block ×8, first 2 shown]
	v_wmma_f32_16x16x16_bf16 v[129:136], v[65:72], v[97:104], v[129:136]
	s_waitcnt lgkmcnt(6)
	s_delay_alu instid0(VALU_DEP_1)
	v_wmma_f32_16x16x16_bf16 v[129:136], v[49:56], v[89:96], v[129:136]
	ds_load_b128 v[53:56], v141 offset:13328
	ds_load_b128 v[49:52], v141 offset:13312
	s_waitcnt lgkmcnt(6)
	v_wmma_f32_16x16x16_bf16 v[129:136], v[41:48], v[81:88], v[129:136]
	ds_load_b128 v[45:48], v141 offset:14352
	ds_load_b128 v[41:44], v141 offset:14336
	s_waitcnt lgkmcnt(6)
	v_wmma_f32_16x16x16_bf16 v[129:136], v[17:24], v[73:80], v[129:136]
	ds_load_b128 v[21:24], v141 offset:15376
	ds_load_b128 v[17:20], v141 offset:15360
	s_waitcnt lgkmcnt(6)
	v_wmma_f32_16x16x16_bf16 v[129:136], v[1:8], v[57:64], v[129:136]
	s_waitcnt lgkmcnt(4)
	s_delay_alu instid0(VALU_DEP_1) | instskip(SKIP_1) | instid1(VALU_DEP_1)
	v_wmma_f32_16x16x16_bf16 v[129:136], v[25:32], v[49:56], v[129:136]
	s_waitcnt lgkmcnt(2)
	v_wmma_f32_16x16x16_bf16 v[129:136], v[33:40], v[41:48], v[129:136]
	s_waitcnt lgkmcnt(0)
	s_delay_alu instid0(VALU_DEP_1) | instskip(NEXT) | instid1(VALU_DEP_1)
	v_wmma_f32_16x16x16_bf16 v[129:136], v[9:16], v[17:24], v[129:136]
	v_and_b32_e32 v1, 0x7f800000, v129
	s_delay_alu instid0(VALU_DEP_1) | instskip(SKIP_1) | instid1(SALU_CYCLE_1)
	v_cmp_ne_u32_e32 vcc_lo, 0x7f800000, v1
                                        ; implicit-def: $vgpr1
	s_and_saveexec_b32 s2, vcc_lo
	s_xor_b32 s2, exec_lo, s2
; %bb.79:
	v_bfe_u32 v1, v129, 16, 1
	s_delay_alu instid0(VALU_DEP_1)
	v_add3_u32 v1, v129, v1, 0x7fff
; %bb.80:
	s_and_not1_saveexec_b32 s2, s2
; %bb.81:
	v_and_b32_e32 v1, 0xffff, v129
	v_or_b32_e32 v2, 0x10000, v129
	s_delay_alu instid0(VALU_DEP_2) | instskip(NEXT) | instid1(VALU_DEP_2)
	v_cmp_eq_u32_e32 vcc_lo, 0, v1
	v_cndmask_b32_e32 v1, v2, v129, vcc_lo
; %bb.82:
	s_or_b32 exec_lo, exec_lo, s2
	v_and_b32_e32 v2, 0x7f800000, v130
	s_delay_alu instid0(VALU_DEP_1) | instskip(SKIP_1) | instid1(SALU_CYCLE_1)
	v_cmp_ne_u32_e32 vcc_lo, 0x7f800000, v2
                                        ; implicit-def: $vgpr2
	s_and_saveexec_b32 s2, vcc_lo
	s_xor_b32 s2, exec_lo, s2
; %bb.83:
	v_bfe_u32 v2, v130, 16, 1
	s_delay_alu instid0(VALU_DEP_1)
	v_add3_u32 v2, v130, v2, 0x7fff
; %bb.84:
	s_and_not1_saveexec_b32 s2, s2
; %bb.85:
	v_and_b32_e32 v2, 0xffff, v130
	v_or_b32_e32 v3, 0x10000, v130
	s_delay_alu instid0(VALU_DEP_2) | instskip(NEXT) | instid1(VALU_DEP_2)
	v_cmp_eq_u32_e32 vcc_lo, 0, v2
	v_cndmask_b32_e32 v2, v3, v130, vcc_lo
; %bb.86:
	s_or_b32 exec_lo, exec_lo, s2
	v_and_b32_e32 v3, 0x7f800000, v131
	s_delay_alu instid0(VALU_DEP_1) | instskip(SKIP_1) | instid1(SALU_CYCLE_1)
	v_cmp_ne_u32_e32 vcc_lo, 0x7f800000, v3
                                        ; implicit-def: $vgpr3
	s_and_saveexec_b32 s2, vcc_lo
	s_xor_b32 s2, exec_lo, s2
; %bb.87:
	v_bfe_u32 v3, v131, 16, 1
	s_delay_alu instid0(VALU_DEP_1)
	v_add3_u32 v3, v131, v3, 0x7fff
; %bb.88:
	s_and_not1_saveexec_b32 s2, s2
; %bb.89:
	v_and_b32_e32 v3, 0xffff, v131
	v_or_b32_e32 v4, 0x10000, v131
	s_delay_alu instid0(VALU_DEP_2) | instskip(NEXT) | instid1(VALU_DEP_2)
	v_cmp_eq_u32_e32 vcc_lo, 0, v3
	v_cndmask_b32_e32 v3, v4, v131, vcc_lo
; %bb.90:
	s_or_b32 exec_lo, exec_lo, s2
	v_and_b32_e32 v4, 0x7f800000, v132
	s_delay_alu instid0(VALU_DEP_1) | instskip(SKIP_1) | instid1(SALU_CYCLE_1)
	v_cmp_ne_u32_e32 vcc_lo, 0x7f800000, v4
                                        ; implicit-def: $vgpr4
	s_and_saveexec_b32 s2, vcc_lo
	s_xor_b32 s2, exec_lo, s2
; %bb.91:
	v_bfe_u32 v4, v132, 16, 1
	s_delay_alu instid0(VALU_DEP_1)
	v_add3_u32 v4, v132, v4, 0x7fff
; %bb.92:
	s_and_not1_saveexec_b32 s2, s2
; %bb.93:
	v_and_b32_e32 v4, 0xffff, v132
	v_or_b32_e32 v5, 0x10000, v132
	s_delay_alu instid0(VALU_DEP_2) | instskip(NEXT) | instid1(VALU_DEP_2)
	v_cmp_eq_u32_e32 vcc_lo, 0, v4
	v_cndmask_b32_e32 v4, v5, v132, vcc_lo
; %bb.94:
	s_or_b32 exec_lo, exec_lo, s2
	v_and_b32_e32 v5, 0x7f800000, v133
	s_delay_alu instid0(VALU_DEP_1) | instskip(SKIP_1) | instid1(SALU_CYCLE_1)
	v_cmp_ne_u32_e32 vcc_lo, 0x7f800000, v5
                                        ; implicit-def: $vgpr5
	s_and_saveexec_b32 s2, vcc_lo
	s_xor_b32 s2, exec_lo, s2
; %bb.95:
	v_bfe_u32 v5, v133, 16, 1
	s_delay_alu instid0(VALU_DEP_1)
	v_add3_u32 v5, v133, v5, 0x7fff
; %bb.96:
	s_and_not1_saveexec_b32 s2, s2
; %bb.97:
	v_and_b32_e32 v5, 0xffff, v133
	v_or_b32_e32 v6, 0x10000, v133
	s_delay_alu instid0(VALU_DEP_2) | instskip(NEXT) | instid1(VALU_DEP_2)
	v_cmp_eq_u32_e32 vcc_lo, 0, v5
	v_cndmask_b32_e32 v5, v6, v133, vcc_lo
; %bb.98:
	s_or_b32 exec_lo, exec_lo, s2
	v_and_b32_e32 v6, 0x7f800000, v134
	s_delay_alu instid0(VALU_DEP_1) | instskip(SKIP_1) | instid1(SALU_CYCLE_1)
	v_cmp_ne_u32_e32 vcc_lo, 0x7f800000, v6
                                        ; implicit-def: $vgpr6
	s_and_saveexec_b32 s2, vcc_lo
	s_xor_b32 s2, exec_lo, s2
; %bb.99:
	v_bfe_u32 v6, v134, 16, 1
	s_delay_alu instid0(VALU_DEP_1)
	v_add3_u32 v6, v134, v6, 0x7fff
; %bb.100:
	s_and_not1_saveexec_b32 s2, s2
; %bb.101:
	v_and_b32_e32 v6, 0xffff, v134
	v_or_b32_e32 v7, 0x10000, v134
	s_delay_alu instid0(VALU_DEP_2) | instskip(NEXT) | instid1(VALU_DEP_2)
	v_cmp_eq_u32_e32 vcc_lo, 0, v6
	v_cndmask_b32_e32 v6, v7, v134, vcc_lo
; %bb.102:
	s_or_b32 exec_lo, exec_lo, s2
	v_and_b32_e32 v7, 0x7f800000, v135
	s_delay_alu instid0(VALU_DEP_1) | instskip(SKIP_1) | instid1(SALU_CYCLE_1)
	v_cmp_ne_u32_e32 vcc_lo, 0x7f800000, v7
                                        ; implicit-def: $vgpr7
	s_and_saveexec_b32 s2, vcc_lo
	s_xor_b32 s2, exec_lo, s2
; %bb.103:
	v_bfe_u32 v7, v135, 16, 1
	s_delay_alu instid0(VALU_DEP_1)
	v_add3_u32 v7, v135, v7, 0x7fff
; %bb.104:
	s_and_not1_saveexec_b32 s2, s2
; %bb.105:
	v_and_b32_e32 v7, 0xffff, v135
	v_or_b32_e32 v8, 0x10000, v135
	s_delay_alu instid0(VALU_DEP_2) | instskip(NEXT) | instid1(VALU_DEP_2)
	v_cmp_eq_u32_e32 vcc_lo, 0, v7
	v_cndmask_b32_e32 v7, v8, v135, vcc_lo
; %bb.106:
	s_or_b32 exec_lo, exec_lo, s2
	v_and_b32_e32 v8, 0x7f800000, v136
	s_delay_alu instid0(VALU_DEP_1) | instskip(SKIP_1) | instid1(SALU_CYCLE_1)
	v_cmp_ne_u32_e32 vcc_lo, 0x7f800000, v8
                                        ; implicit-def: $vgpr8
	s_and_saveexec_b32 s2, vcc_lo
	s_xor_b32 s2, exec_lo, s2
; %bb.107:
	v_bfe_u32 v8, v136, 16, 1
	s_delay_alu instid0(VALU_DEP_1)
	v_add3_u32 v8, v136, v8, 0x7fff
                                        ; implicit-def: $vgpr129_vgpr130_vgpr131_vgpr132_vgpr133_vgpr134_vgpr135_vgpr136
; %bb.108:
	s_and_not1_saveexec_b32 s2, s2
; %bb.109:
	v_and_b32_e32 v8, 0xffff, v136
	v_or_b32_e32 v9, 0x10000, v136
	s_delay_alu instid0(VALU_DEP_2) | instskip(NEXT) | instid1(VALU_DEP_2)
	v_cmp_eq_u32_e32 vcc_lo, 0, v8
	v_cndmask_b32_e32 v8, v9, v136, vcc_lo
; %bb.110:
	s_or_b32 exec_lo, exec_lo, s2
	s_delay_alu instid0(VALU_DEP_1)
	v_perm_b32 v7, v8, v7, 0x7060302
	v_perm_b32 v6, v6, v5, 0x7060302
	;; [unrolled: 1-line block ×4, first 2 shown]
	v_lshl_or_b32 v9, v138, 4, v144
	s_barrier
	buffer_gl0_inv
	v_cmp_eq_u32_e32 vcc_lo, 1, v142
	ds_store_b128 v9, v[4:7]
	s_waitcnt lgkmcnt(0)
	s_barrier
	buffer_gl0_inv
	ds_load_b128 v[1:4], v144
	ds_load_b128 v[5:8], v144 offset:16
	v_cmp_eq_u32_e64 s3, 2, v142
	v_cmp_eq_u32_e64 s2, 1, v143
	;; [unrolled: 1-line block ×5, first 2 shown]
	s_waitcnt lgkmcnt(1)
	v_lshrrev_b32_e32 v10, 16, v1
	s_waitcnt lgkmcnt(0)
	v_lshrrev_b32_e32 v14, 16, v5
	v_lshrrev_b32_e32 v15, 16, v6
	;; [unrolled: 1-line block ×4, first 2 shown]
	v_cndmask_b32_e64 v20, v1, v10, s2
	v_cndmask_b32_e32 v19, v5, v14, vcc_lo
	v_cndmask_b32_e64 v21, v5, v14, s2
	v_lshrrev_b32_e32 v16, 16, v7
	v_cmp_eq_u32_e64 s2, 1, v140
	v_lshrrev_b32_e32 v13, 16, v4
	v_cndmask_b32_e64 v19, v19, v6, s3
	v_lshrrev_b32_e32 v17, 16, v8
	s_delay_alu instid0(VALU_DEP_4) | instskip(SKIP_1) | instid1(VALU_DEP_4)
	v_cndmask_b32_e64 v22, v1, v10, s2
	v_cndmask_b32_e64 v23, v5, v14, s2
	;; [unrolled: 1-line block ×3, first 2 shown]
	v_cndmask_b32_e32 v18, v1, v10, vcc_lo
	v_cmp_eq_u32_e32 vcc_lo, 2, v143
	v_cmp_eq_u32_e64 s2, 2, v145
	v_cndmask_b32_e64 v22, v22, v2, s6
	v_cndmask_b32_e32 v20, v20, v2, vcc_lo
	v_cndmask_b32_e32 v21, v21, v6, vcc_lo
	v_cmp_eq_u32_e32 vcc_lo, 4, v142
	v_cndmask_b32_e32 v19, v19, v7, vcc_lo
	v_cndmask_b32_e64 v18, v18, v2, s3
	v_cmp_eq_u32_e64 s3, 3, v143
	s_delay_alu instid0(VALU_DEP_2) | instskip(NEXT) | instid1(VALU_DEP_2)
	v_cndmask_b32_e64 v18, v18, v11, s4
	v_cndmask_b32_e64 v21, v21, v15, s3
	v_cmp_eq_u32_e64 s4, 5, v142
	s_delay_alu instid0(VALU_DEP_3) | instskip(SKIP_1) | instid1(VALU_DEP_3)
	v_cndmask_b32_e32 v18, v18, v3, vcc_lo
	v_cmp_eq_u32_e32 vcc_lo, 4, v143
	v_cndmask_b32_e64 v19, v19, v16, s4
	s_delay_alu instid0(VALU_DEP_3) | instskip(SKIP_4) | instid1(VALU_DEP_3)
	v_cndmask_b32_e64 v18, v18, v12, s4
	v_cndmask_b32_e32 v21, v21, v7, vcc_lo
	v_cndmask_b32_e64 v20, v20, v11, s3
	v_cmp_eq_u32_e64 s3, 5, v143
	v_cmp_eq_u32_e64 s4, 6, v142
	v_cndmask_b32_e32 v20, v20, v3, vcc_lo
	s_delay_alu instid0(VALU_DEP_3) | instskip(SKIP_1) | instid1(VALU_DEP_4)
	v_cndmask_b32_e64 v21, v21, v16, s3
	v_cmp_eq_u32_e32 vcc_lo, 6, v143
	v_cndmask_b32_e64 v18, v18, v4, s4
	v_cndmask_b32_e64 v19, v19, v8, s4
	;; [unrolled: 1-line block ×3, first 2 shown]
	v_cmp_eq_u32_e64 s3, 1, v145
	v_cmp_eq_u32_e64 s4, 7, v142
	s_delay_alu instid0(VALU_DEP_3) | instskip(NEXT) | instid1(VALU_DEP_3)
	v_cndmask_b32_e32 v20, v20, v4, vcc_lo
	v_cndmask_b32_e64 v1, v1, v10, s3
	v_cndmask_b32_e64 v5, v5, v14, s3
	v_cmp_eq_u32_e64 s3, 3, v140
	v_cndmask_b32_e64 v14, v23, v6, s6
	v_cmp_eq_u32_e64 s6, 3, v145
	v_cndmask_b32_e64 v1, v1, v2, s2
	v_cndmask_b32_e64 v2, v5, v6, s2
	;; [unrolled: 1-line block ×3, first 2 shown]
	v_cmp_eq_u32_e64 s2, 4, v140
	v_cndmask_b32_e64 v6, v14, v15, s3
	v_cndmask_b32_e64 v1, v1, v11, s6
	v_cmp_eq_u32_e64 s3, 4, v145
	v_cndmask_b32_e64 v2, v2, v15, s6
	v_cndmask_b32_e64 v5, v10, v3, s2
	;; [unrolled: 3-line block ×3, first 2 shown]
	v_cndmask_b32_e64 v2, v2, v7, s3
	v_cmp_eq_u32_e64 s2, 5, v145
	v_cndmask_b32_e64 v5, v5, v12, s6
	v_cmp_eq_u32_e64 s3, 6, v140
	;; [unrolled: 2-line block ×3, first 2 shown]
	v_cndmask_b32_e64 v1, v1, v12, s2
	v_cndmask_b32_e64 v2, v2, v16, s2
	;; [unrolled: 1-line block ×4, first 2 shown]
	v_cmp_eq_u32_e64 s2, 7, v145
	v_cndmask_b32_e64 v1, v1, v4, s6
	v_cndmask_b32_e64 v2, v2, v8, s6
	v_cmp_eq_u32_e64 s3, 7, v140
	v_cndmask_b32_e32 v4, v21, v8, vcc_lo
	v_cndmask_b32_e64 v18, v18, v13, s4
	v_cndmask_b32_e64 v20, v20, v13, s5
	;; [unrolled: 1-line block ×8, first 2 shown]
	s_mov_b32 s2, exec_lo
	v_perm_b32 v4, v2, v1, 0x5040100
	v_perm_b32 v3, v3, v5, 0x5040100
	;; [unrolled: 1-line block ×4, first 2 shown]
	ds_store_b128 v9, v[1:4]
	s_waitcnt lgkmcnt(0)
	s_barrier
	buffer_gl0_inv
	v_cmpx_gt_u32_e32 32, v0
	s_cbranch_execz .LBB685_2
; %bb.111:
	s_load_b64 s[0:1], s[0:1], 0x68
	v_lshlrev_b32_e32 v0, 10, v0
	s_lshl_b32 s4, s34, 7
	v_or_b32_e32 v23, s29, v138
	s_mul_i32 s2, s4, s30
	v_lshlrev_b32_e32 v1, 4, v139
	v_lshlrev_b32_e32 v2, 6, v138
	s_mul_i32 s2, s2, s7
	v_and_b32_e32 v0, 0x3800, v0
	v_mul_lo_u32 v8, v23, s4
	s_ashr_i32 s3, s2, 31
	v_or_b32_e32 v3, 2, v23
	s_lshl_b64 s[2:3], s[2:3], 1
	v_or3_b32 v27, v0, v1, v2
	v_or_b32_e32 v11, 4, v23
	v_or_b32_e32 v18, 6, v23
	v_mul_lo_u32 v10, v3, s4
	v_ashrrev_i32_e32 v9, 31, v8
	ds_load_b128 v[0:3], v27
	ds_load_b128 v[4:7], v27 offset:128
	v_mul_lo_u32 v12, v11, s4
	s_waitcnt lgkmcnt(0)
	s_add_u32 s2, s0, s2
	s_addc_u32 s3, s1, s3
	s_lshl_b32 s0, s14, 7
	v_lshlrev_b64 v[8:9], 1, v[8:9]
	s_ashr_i32 s1, s0, 31
	v_ashrrev_i32_e32 v11, 31, v10
	s_lshl_b64 s[0:1], s[0:1], 1
	v_ashrrev_i32_e32 v13, 31, v12
	s_add_u32 s0, s2, s0
	s_addc_u32 s1, s3, s1
	v_add_co_u32 v30, s0, s0, v137
	s_delay_alu instid0(VALU_DEP_1) | instskip(SKIP_1) | instid1(VALU_DEP_3)
	v_add_co_ci_u32_e64 v31, null, s1, 0, s0
	v_lshlrev_b64 v[16:17], 1, v[10:11]
	v_add_co_u32 v14, vcc_lo, v30, v8
	s_delay_alu instid0(VALU_DEP_3)
	v_add_co_ci_u32_e32 v15, vcc_lo, v31, v9, vcc_lo
	ds_load_b128 v[8:11], v27 offset:256
	v_mul_lo_u32 v18, v18, s4
	v_or_b32_e32 v19, 8, v23
	v_add_co_u32 v16, vcc_lo, v30, v16
	global_store_b128 v[14:15], v[0:3], off
	v_lshlrev_b64 v[0:1], 1, v[12:13]
	v_add_co_ci_u32_e32 v17, vcc_lo, v31, v17, vcc_lo
	v_mul_lo_u32 v12, v19, s4
	v_ashrrev_i32_e32 v19, 31, v18
	v_or_b32_e32 v14, 10, v23
	global_store_b128 v[16:17], v[4:7], off
	v_add_co_u32 v4, vcc_lo, v30, v0
	v_add_co_ci_u32_e32 v5, vcc_lo, v31, v1, vcc_lo
	ds_load_b128 v[0:3], v27 offset:384
	v_ashrrev_i32_e32 v13, 31, v12
	v_lshlrev_b64 v[6:7], 1, v[18:19]
	v_mul_lo_u32 v14, v14, s4
	s_waitcnt lgkmcnt(1)
	global_store_b128 v[4:5], v[8:11], off
	v_or_b32_e32 v8, 12, v23
	v_lshlrev_b64 v[4:5], 1, v[12:13]
	v_add_co_u32 v20, vcc_lo, v30, v6
	v_or_b32_e32 v6, 14, v23
	v_ashrrev_i32_e32 v15, 31, v14
	v_mul_lo_u32 v22, v8, s4
	v_add_co_ci_u32_e32 v21, vcc_lo, v31, v7, vcc_lo
	v_add_co_u32 v24, vcc_lo, v30, v4
	v_mul_lo_u32 v26, v6, s4
	v_add_co_ci_u32_e32 v25, vcc_lo, v31, v5, vcc_lo
	v_lshlrev_b64 v[28:29], 1, v[14:15]
	ds_load_b128 v[4:7], v27 offset:512
	ds_load_b128 v[8:11], v27 offset:640
	;; [unrolled: 1-line block ×4, first 2 shown]
	v_ashrrev_i32_e32 v23, 31, v22
	v_ashrrev_i32_e32 v27, 31, v26
	v_add_co_u32 v28, vcc_lo, v30, v28
	s_delay_alu instid0(VALU_DEP_3) | instskip(SKIP_1) | instid1(VALU_DEP_4)
	v_lshlrev_b64 v[22:23], 1, v[22:23]
	v_add_co_ci_u32_e32 v29, vcc_lo, v31, v29, vcc_lo
	v_lshlrev_b64 v[26:27], 1, v[26:27]
	s_delay_alu instid0(VALU_DEP_3) | instskip(NEXT) | instid1(VALU_DEP_4)
	v_add_co_u32 v22, vcc_lo, v30, v22
	v_add_co_ci_u32_e32 v23, vcc_lo, v31, v23, vcc_lo
	s_delay_alu instid0(VALU_DEP_3) | instskip(NEXT) | instid1(VALU_DEP_4)
	v_add_co_u32 v26, vcc_lo, v30, v26
	v_add_co_ci_u32_e32 v27, vcc_lo, v31, v27, vcc_lo
	s_waitcnt lgkmcnt(4)
	global_store_b128 v[20:21], v[0:3], off
	s_waitcnt lgkmcnt(3)
	global_store_b128 v[24:25], v[4:7], off
	s_waitcnt lgkmcnt(2)
	global_store_b128 v[28:29], v[8:11], off
	s_waitcnt lgkmcnt(1)
	global_store_b128 v[22:23], v[12:15], off
	s_waitcnt lgkmcnt(0)
	global_store_b128 v[26:27], v[16:19], off
	s_nop 0
	s_sendmsg sendmsg(MSG_DEALLOC_VGPRS)
	s_endpgm
	.section	.rodata,"a",@progbits
	.p2align	6, 0x0
	.amdhsa_kernel _Z39paged_attention_ll4mi_QKV_mfma16_kernelI14__hip_bfloat16S0_LN4vllm18Fp8KVCacheDataTypeE0ES0_Li16ELi128ELi256ELb0ELi16EL8MFMAType0EEvPKT_PKT0_S9_ifPKiSB_SB_iPKfiiiPfSE_PS4_PT2_iSD_SD_
		.amdhsa_group_segment_fixed_size 17472
		.amdhsa_private_segment_fixed_size 0
		.amdhsa_kernarg_size 400
		.amdhsa_user_sgpr_count 13
		.amdhsa_user_sgpr_dispatch_ptr 0
		.amdhsa_user_sgpr_queue_ptr 0
		.amdhsa_user_sgpr_kernarg_segment_ptr 1
		.amdhsa_user_sgpr_dispatch_id 0
		.amdhsa_user_sgpr_private_segment_size 0
		.amdhsa_wavefront_size32 1
		.amdhsa_uses_dynamic_stack 0
		.amdhsa_enable_private_segment 0
		.amdhsa_system_sgpr_workgroup_id_x 1
		.amdhsa_system_sgpr_workgroup_id_y 1
		.amdhsa_system_sgpr_workgroup_id_z 1
		.amdhsa_system_sgpr_workgroup_info 0
		.amdhsa_system_vgpr_workitem_id 0
		.amdhsa_next_free_vgpr 218
		.amdhsa_next_free_sgpr 50
		.amdhsa_reserve_vcc 1
		.amdhsa_float_round_mode_32 0
		.amdhsa_float_round_mode_16_64 0
		.amdhsa_float_denorm_mode_32 3
		.amdhsa_float_denorm_mode_16_64 3
		.amdhsa_dx10_clamp 1
		.amdhsa_ieee_mode 1
		.amdhsa_fp16_overflow 0
		.amdhsa_workgroup_processor_mode 1
		.amdhsa_memory_ordered 1
		.amdhsa_forward_progress 0
		.amdhsa_shared_vgpr_count 0
		.amdhsa_exception_fp_ieee_invalid_op 0
		.amdhsa_exception_fp_denorm_src 0
		.amdhsa_exception_fp_ieee_div_zero 0
		.amdhsa_exception_fp_ieee_overflow 0
		.amdhsa_exception_fp_ieee_underflow 0
		.amdhsa_exception_fp_ieee_inexact 0
		.amdhsa_exception_int_div_zero 0
	.end_amdhsa_kernel
	.section	.text._Z39paged_attention_ll4mi_QKV_mfma16_kernelI14__hip_bfloat16S0_LN4vllm18Fp8KVCacheDataTypeE0ES0_Li16ELi128ELi256ELb0ELi16EL8MFMAType0EEvPKT_PKT0_S9_ifPKiSB_SB_iPKfiiiPfSE_PS4_PT2_iSD_SD_,"axG",@progbits,_Z39paged_attention_ll4mi_QKV_mfma16_kernelI14__hip_bfloat16S0_LN4vllm18Fp8KVCacheDataTypeE0ES0_Li16ELi128ELi256ELb0ELi16EL8MFMAType0EEvPKT_PKT0_S9_ifPKiSB_SB_iPKfiiiPfSE_PS4_PT2_iSD_SD_,comdat
.Lfunc_end685:
	.size	_Z39paged_attention_ll4mi_QKV_mfma16_kernelI14__hip_bfloat16S0_LN4vllm18Fp8KVCacheDataTypeE0ES0_Li16ELi128ELi256ELb0ELi16EL8MFMAType0EEvPKT_PKT0_S9_ifPKiSB_SB_iPKfiiiPfSE_PS4_PT2_iSD_SD_, .Lfunc_end685-_Z39paged_attention_ll4mi_QKV_mfma16_kernelI14__hip_bfloat16S0_LN4vllm18Fp8KVCacheDataTypeE0ES0_Li16ELi128ELi256ELb0ELi16EL8MFMAType0EEvPKT_PKT0_S9_ifPKiSB_SB_iPKfiiiPfSE_PS4_PT2_iSD_SD_
                                        ; -- End function
	.section	.AMDGPU.csdata,"",@progbits
; Kernel info:
; codeLenInByte = 10488
; NumSgprs: 52
; NumVgprs: 218
; ScratchSize: 0
; MemoryBound: 0
; FloatMode: 240
; IeeeMode: 1
; LDSByteSize: 17472 bytes/workgroup (compile time only)
; SGPRBlocks: 6
; VGPRBlocks: 27
; NumSGPRsForWavesPerEU: 52
; NumVGPRsForWavesPerEU: 218
; Occupancy: 6
; WaveLimiterHint : 1
; COMPUTE_PGM_RSRC2:SCRATCH_EN: 0
; COMPUTE_PGM_RSRC2:USER_SGPR: 13
; COMPUTE_PGM_RSRC2:TRAP_HANDLER: 0
; COMPUTE_PGM_RSRC2:TGID_X_EN: 1
; COMPUTE_PGM_RSRC2:TGID_Y_EN: 1
; COMPUTE_PGM_RSRC2:TGID_Z_EN: 1
; COMPUTE_PGM_RSRC2:TIDIG_COMP_CNT: 0
	.section	.text._Z39paged_attention_ll4mi_QKV_mfma16_kernelI14__hip_bfloat16S0_LN4vllm18Fp8KVCacheDataTypeE0ES0_Li16ELi128ELi256ELb0ELi1EL8MFMAType0EEvPKT_PKT0_S9_ifPKiSB_SB_iPKfiiiPfSE_PS4_PT2_iSD_SD_,"axG",@progbits,_Z39paged_attention_ll4mi_QKV_mfma16_kernelI14__hip_bfloat16S0_LN4vllm18Fp8KVCacheDataTypeE0ES0_Li16ELi128ELi256ELb0ELi1EL8MFMAType0EEvPKT_PKT0_S9_ifPKiSB_SB_iPKfiiiPfSE_PS4_PT2_iSD_SD_,comdat
	.protected	_Z39paged_attention_ll4mi_QKV_mfma16_kernelI14__hip_bfloat16S0_LN4vllm18Fp8KVCacheDataTypeE0ES0_Li16ELi128ELi256ELb0ELi1EL8MFMAType0EEvPKT_PKT0_S9_ifPKiSB_SB_iPKfiiiPfSE_PS4_PT2_iSD_SD_ ; -- Begin function _Z39paged_attention_ll4mi_QKV_mfma16_kernelI14__hip_bfloat16S0_LN4vllm18Fp8KVCacheDataTypeE0ES0_Li16ELi128ELi256ELb0ELi1EL8MFMAType0EEvPKT_PKT0_S9_ifPKiSB_SB_iPKfiiiPfSE_PS4_PT2_iSD_SD_
	.globl	_Z39paged_attention_ll4mi_QKV_mfma16_kernelI14__hip_bfloat16S0_LN4vllm18Fp8KVCacheDataTypeE0ES0_Li16ELi128ELi256ELb0ELi1EL8MFMAType0EEvPKT_PKT0_S9_ifPKiSB_SB_iPKfiiiPfSE_PS4_PT2_iSD_SD_
	.p2align	8
	.type	_Z39paged_attention_ll4mi_QKV_mfma16_kernelI14__hip_bfloat16S0_LN4vllm18Fp8KVCacheDataTypeE0ES0_Li16ELi128ELi256ELb0ELi1EL8MFMAType0EEvPKT_PKT0_S9_ifPKiSB_SB_iPKfiiiPfSE_PS4_PT2_iSD_SD_,@function
_Z39paged_attention_ll4mi_QKV_mfma16_kernelI14__hip_bfloat16S0_LN4vllm18Fp8KVCacheDataTypeE0ES0_Li16ELi128ELi256ELb0ELi1EL8MFMAType0EEvPKT_PKT0_S9_ifPKiSB_SB_iPKfiiiPfSE_PS4_PT2_iSD_SD_: ; @_Z39paged_attention_ll4mi_QKV_mfma16_kernelI14__hip_bfloat16S0_LN4vllm18Fp8KVCacheDataTypeE0ES0_Li16ELi128ELi256ELb0ELi1EL8MFMAType0EEvPKT_PKT0_S9_ifPKiSB_SB_iPKfiiiPfSE_PS4_PT2_iSD_SD_
; %bb.0:
	s_load_b64 s[4:5], s[0:1], 0x30
	s_mov_b32 s34, s13
	s_waitcnt lgkmcnt(0)
	s_cmp_lg_u64 s[4:5], 0
	s_cselect_b32 s6, -1, 0
	s_ashr_i32 s35, s13, 31
	s_cmp_eq_u64 s[4:5], 0
	s_cbranch_scc1 .LBB686_3
; %bb.1:
	s_lshl_b64 s[2:3], s[34:35], 2
	s_delay_alu instid0(SALU_CYCLE_1) | instskip(SKIP_4) | instid1(SALU_CYCLE_1)
	s_add_u32 s2, s4, s2
	s_addc_u32 s3, s5, s3
	s_load_b64 s[2:3], s[2:3], 0x0
	s_waitcnt lgkmcnt(0)
	s_sub_i32 s2, s3, s2
	s_cmp_eq_u32 s2, 1
	s_cselect_b32 s2, -1, 0
	s_delay_alu instid0(SALU_CYCLE_1)
	s_and_not1_b32 vcc_lo, exec_lo, s2
	s_cbranch_vccz .LBB686_4
.LBB686_2:
	s_endpgm
.LBB686_3:
.LBB686_4:
	s_load_b64 s[2:3], s[0:1], 0x28
	s_lshl_b64 s[8:9], s[34:35], 2
	s_waitcnt lgkmcnt(0)
	s_add_u32 s2, s2, s8
	s_addc_u32 s3, s3, s9
	s_lshl_b32 s84, s14, 8
	s_load_b32 s33, s[2:3], 0x0
	s_waitcnt lgkmcnt(0)
	s_cmp_ge_i32 s84, s33
	s_cbranch_scc1 .LBB686_2
; %bb.5:
	s_clause 0x1
	s_load_b128 s[80:83], s[0:1], 0x8
	s_load_b64 s[2:3], s[0:1], 0x20
	s_and_not1_b32 vcc_lo, exec_lo, s6
	s_mov_b64 s[6:7], s[34:35]
	s_cbranch_vccnz .LBB686_7
; %bb.6:
	s_add_u32 s4, s4, s8
	s_addc_u32 s5, s5, s9
	s_load_b32 s6, s[4:5], 0x0
.LBB686_7:
	s_load_b128 s[76:79], s[0:1], 0x48
	v_and_b32_e32 v145, 15, v0
	s_mov_b32 s12, exec_lo
                                        ; implicit-def: $sgpr60
                                        ; implicit-def: $sgpr68
                                        ; implicit-def: $sgpr4
                                        ; implicit-def: $sgpr16
                                        ; implicit-def: $sgpr44
                                        ; implicit-def: $sgpr24
                                        ; implicit-def: $sgpr36
                                        ; implicit-def: $sgpr52
	s_delay_alu instid0(VALU_DEP_1)
	v_cmpx_eq_u32_e32 0, v145
	s_cbranch_execz .LBB686_9
; %bb.8:
	s_load_b64 s[4:5], s[0:1], 0x0
	s_waitcnt lgkmcnt(0)
	s_mul_hi_i32 s7, s6, s76
	s_mul_i32 s6, s6, s76
	s_delay_alu instid0(SALU_CYCLE_1) | instskip(NEXT) | instid1(SALU_CYCLE_1)
	s_lshl_b64 s[6:7], s[6:7], 1
	s_add_u32 s6, s4, s6
	s_addc_u32 s7, s5, s7
	s_lshl_b32 s4, s15, 7
	s_delay_alu instid0(SALU_CYCLE_1) | instskip(NEXT) | instid1(SALU_CYCLE_1)
	s_ashr_i32 s5, s4, 31
	s_lshl_b64 s[4:5], s[4:5], 1
	s_delay_alu instid0(SALU_CYCLE_1)
	s_add_u32 s52, s6, s4
	s_addc_u32 s53, s7, s5
	s_clause 0x7
	s_load_b256 s[60:67], s[52:53], 0x0
	s_load_b256 s[68:75], s[52:53], 0x20
	;; [unrolled: 1-line block ×8, first 2 shown]
.LBB686_9:
	s_or_b32 exec_lo, exec_lo, s12
	s_waitcnt lgkmcnt(0)
	v_dual_mov_b32 v128, s67 :: v_dual_and_b32 v1, 0xef, v0
	s_add_i32 s76, s33, 15
	s_clause 0x1
	s_load_b32 s13, s[0:1], 0x38
	s_load_b32 s35, s[0:1], 0x1c
	v_dual_mov_b32 v127, s66 :: v_dual_add_nc_u32 v2, s84, v1
	s_mul_i32 s12, s15, s78
	s_ashr_i32 s78, s76, 31
	v_mov_b32_e32 v125, s64
	s_delay_alu instid0(VALU_DEP_2)
	v_ashrrev_i32_e32 v1, 31, v2
	v_cmp_gt_i32_e32 vcc_lo, s33, v2
	s_lshr_b32 s79, s78, 28
	v_mov_b32_e32 v123, s62
	s_add_i32 s76, s76, s79
	v_lshrrev_b32_e32 v3, 28, v1
	s_ashr_i32 s86, s76, 4
	v_mov_b32_e32 v121, s60
	s_add_i32 s86, s86, -1
	v_mov_b32_e32 v171, s11
	v_dual_mov_b32 v126, s65 :: v_dual_add_nc_u32 v1, v2, v3
	v_or_b32_e32 v2, 16, v2
	s_waitcnt lgkmcnt(0)
	s_mul_i32 s78, s34, s13
	v_mov_b32_e32 v169, s9
	v_ashrrev_i32_e32 v1, 4, v1
	v_dual_mov_b32 v124, s63 :: v_dual_add_nc_u32 v3, v2, v3
	s_ashr_i32 s79, s78, 31
	v_mov_b32_e32 v167, s7
	s_delay_alu instid0(VALU_DEP_3)
	v_cndmask_b32_e32 v1, s86, v1, vcc_lo
	v_cmp_gt_i32_e32 vcc_lo, s33, v2
	v_ashrrev_i32_e32 v3, 4, v3
	s_lshl_b64 s[78:79], s[78:79], 2
	v_mov_b32_e32 v165, s5
	v_ashrrev_i32_e32 v2, 31, v1
	s_add_u32 s76, s2, s78
	v_cndmask_b32_e32 v3, s86, v3, vcc_lo
	s_addc_u32 s85, s3, s79
	s_ashr_i32 s13, s12, 31
	v_lshlrev_b64 v[1:2], 2, v[1:2]
	s_lshl_b64 s[2:3], s[12:13], 1
	v_ashrrev_i32_e32 v4, 31, v3
	s_add_u32 s96, s80, s2
	s_addc_u32 s97, s81, s3
	s_lshl_b32 s12, s14, 4
	v_add_co_u32 v1, vcc_lo, s76, v1
	v_lshlrev_b64 v[3:4], 2, v[3:4]
	v_add_co_ci_u32_e32 v2, vcc_lo, s85, v2, vcc_lo
	s_ashr_i32 s13, s12, 31
	v_mov_b32_e32 v179, s51
	s_lshl_b64 s[12:13], s[12:13], 2
	s_delay_alu instid0(VALU_DEP_3)
	v_add_co_u32 v3, vcc_lo, s76, v3
	v_add_co_ci_u32_e32 v4, vcc_lo, s85, v4, vcc_lo
	s_clause 0x1
	global_load_b32 v5, v[1:2], off
	global_load_b32 v6, v[3:4], off
	s_add_u32 s12, s76, s12
	s_addc_u32 s13, s85, s13
	s_or_b32 s78, s84, 16
	v_dual_mov_b32 v122, s61 :: v_dual_lshlrev_b32 v3, 4, v0
	s_ashr_i32 s79, s78, 4
	s_cmp_lt_i32 s78, s33
	s_mov_b32 s60, 0
	s_cselect_b32 s78, s79, s86
	s_mov_b32 s61, s60
	s_ashr_i32 s79, s78, 31
	s_mov_b32 s65, s60
	s_lshl_b64 s[78:79], s[78:79], 2
	v_mov_b32_e32 v155, s75
	s_add_u32 s78, s76, s78
	s_addc_u32 s79, s85, s79
	s_or_b32 s80, s84, 32
	v_mov_b32_e32 v153, s73
	s_ashr_i32 s81, s80, 4
	s_cmp_lt_i32 s80, s33
	v_mov_b32_e32 v152, s72
	s_cselect_b32 s80, s81, s86
	v_mov_b32_e32 v151, s71
	s_ashr_i32 s81, s80, 31
	v_mov_b32_e32 v150, s70
	s_lshl_b64 s[80:81], s[80:81], 2
	v_mov_b32_e32 v149, s69
	s_add_u32 s80, s76, s80
	s_addc_u32 s81, s85, s81
	s_or_b32 s87, s84, 48
	v_mov_b32_e32 v148, s68
	s_ashr_i32 s88, s87, 4
	s_cmp_lt_i32 s87, s33
	v_mov_b32_e32 v187, s31
	s_cselect_b32 s88, s88, s86
	v_dual_mov_b32 v177, s49 :: v_dual_mov_b32 v184, s28
	s_ashr_i32 s89, s88, 31
	v_dual_mov_b32 v175, s47 :: v_dual_mov_b32 v182, s26
	s_lshl_b64 s[88:89], s[88:89], 2
	v_dual_mov_b32 v173, s45 :: v_dual_mov_b32 v180, s24
	s_add_u32 s90, s76, s88
	s_addc_u32 s91, s85, s89
	s_or_b32 s87, s84, 64
	v_mov_b32_e32 v186, s30
	s_ashr_i32 s88, s87, 4
	s_cmp_lt_i32 s87, s33
	v_mov_b32_e32 v185, s29
	s_cselect_b32 s88, s88, s86
	v_mov_b32_e32 v183, s27
	s_ashr_i32 s89, s88, 31
	v_mov_b32_e32 v181, s25
	s_lshl_b64 s[88:89], s[88:89], 2
	v_lshrrev_b32_e32 v147, 5, v0
	s_add_u32 s92, s76, s88
	s_addc_u32 s93, s85, s89
	s_or_b32 s87, s84, 0x50
	v_mov_b32_e32 v195, s59
	s_ashr_i32 s88, s87, 4
	s_cmp_lt_i32 s87, s33
	v_mov_b32_e32 v194, s58
	s_cselect_b32 s88, s88, s86
	v_mov_b32_e32 v193, s57
	s_ashr_i32 s89, s88, 31
	v_mov_b32_e32 v191, s55
	s_lshl_b64 s[88:89], s[88:89], 2
	v_mov_b32_e32 v189, s53
	s_add_u32 s94, s76, s88
	s_addc_u32 s95, s85, s89
	s_clause 0x5
	s_load_b32 s88, s[12:13], 0x0
	s_load_b32 s87, s[78:79], 0x0
	;; [unrolled: 1-line block ×6, first 2 shown]
	v_mov_b32_e32 v154, s74
	v_mov_b32_e32 v170, s10
	;; [unrolled: 1-line block ×12, first 2 shown]
	s_waitcnt lgkmcnt(0)
	s_mul_hi_i32 s7, s87, s77
	s_mul_hi_i32 s11, s13, s77
	s_waitcnt vmcnt(1)
	v_mad_i64_i32 v[1:2], null, v5, s77, 0
	v_and_b32_e32 v5, 0xf0, v3
	s_waitcnt vmcnt(0)
	v_mad_i64_i32 v[3:4], null, v6, s77, 0
	s_delay_alu instid0(VALU_DEP_2) | instskip(NEXT) | instid1(VALU_DEP_4)
	v_add_co_u32 v5, s78, s96, v5
	v_lshlrev_b64 v[1:2], 1, v[1:2]
	v_add_co_ci_u32_e64 v6, null, s97, 0, s78
	s_delay_alu instid0(VALU_DEP_4) | instskip(SKIP_1) | instid1(VALU_DEP_3)
	v_lshlrev_b64 v[3:4], 1, v[3:4]
	s_or_b32 s78, s84, 0x60
	v_add_co_u32 v13, vcc_lo, v5, v1
	s_delay_alu instid0(VALU_DEP_3) | instskip(NEXT) | instid1(VALU_DEP_3)
	v_add_co_ci_u32_e32 v14, vcc_lo, v6, v2, vcc_lo
	v_add_co_u32 v129, vcc_lo, v5, v3
	s_delay_alu instid0(VALU_DEP_4)
	v_add_co_ci_u32_e32 v130, vcc_lo, v6, v4, vcc_lo
	s_clause 0x1f
	global_load_b128 v[89:92], v[13:14], off
	global_load_b128 v[93:96], v[13:14], off offset:256
	global_load_b128 v[97:100], v[129:130], off
	global_load_b128 v[101:104], v[129:130], off offset:256
	global_load_b128 v[105:108], v[13:14], off offset:512
	;; [unrolled: 1-line block ×29, first 2 shown]
	s_ashr_i32 s79, s78, 4
	s_cmp_lt_i32 s78, s33
	s_cselect_b32 s78, s79, s86
	s_delay_alu instid0(SALU_CYCLE_1) | instskip(NEXT) | instid1(SALU_CYCLE_1)
	s_ashr_i32 s79, s78, 31
	s_lshl_b64 s[78:79], s[78:79], 2
	s_delay_alu instid0(SALU_CYCLE_1)
	s_add_u32 s78, s76, s78
	s_addc_u32 s79, s85, s79
	s_or_b32 s89, s84, 0x70
	s_load_b32 s29, s[78:79], 0x0
	s_ashr_i32 s90, s89, 4
	s_cmp_lt_i32 s89, s33
	s_cselect_b32 s62, s90, s86
	s_delay_alu instid0(SALU_CYCLE_1) | instskip(NEXT) | instid1(SALU_CYCLE_1)
	s_ashr_i32 s63, s62, 31
	s_lshl_b64 s[62:63], s[62:63], 2
	s_delay_alu instid0(SALU_CYCLE_1)
	s_add_u32 s68, s76, s62
	s_addc_u32 s69, s85, s63
	s_or_b32 s63, s84, 0x80
	s_mov_b32 s62, s60
	s_ashr_i32 s64, s63, 4
	s_cmp_lt_i32 s63, s33
	s_mov_b32 s63, s60
	s_cselect_b32 s66, s64, s86
	s_mov_b32 s64, s60
	s_ashr_i32 s67, s66, 31
	s_load_b32 s30, s[68:69], 0x0
	s_lshl_b64 s[70:71], s[66:67], 2
	s_mov_b32 s67, s60
	s_add_u32 s70, s76, s70
	s_addc_u32 s71, s85, s71
	s_or_b32 s72, s84, 0x90
	s_load_b32 s31, s[70:71], 0x0
	s_ashr_i32 s73, s72, 4
	s_mov_b32 s66, s60
	s_cmp_lt_i32 s72, s33
	v_dual_mov_b32 v136, s67 :: v_dual_mov_b32 v135, s66
	v_dual_mov_b32 v134, s65 :: v_dual_mov_b32 v133, s64
	;; [unrolled: 1-line block ×4, first 2 shown]
	s_cselect_b32 s60, s73, s86
	s_delay_alu instid0(SALU_CYCLE_1) | instskip(NEXT) | instid1(SALU_CYCLE_1)
	s_ashr_i32 s61, s60, 31
	s_lshl_b64 s[4:5], s[60:61], 2
	s_waitcnt vmcnt(30)
	v_wmma_f32_16x16x16_bf16 v[137:144], v[89:96], v[121:128], v[129:136]
	v_dual_mov_b32 v96, s23 :: v_dual_mov_b32 v95, s22
	v_dual_mov_b32 v94, s21 :: v_dual_mov_b32 v93, s20
	;; [unrolled: 1-line block ×4, first 2 shown]
	s_add_u32 s16, s76, s4
	s_addc_u32 s17, s85, s5
	s_or_b32 s4, s84, 0xa0
	s_waitcnt vmcnt(28)
	v_wmma_f32_16x16x16_bf16 v[129:136], v[97:104], v[121:128], v[129:136]
	s_ashr_i32 s5, s4, 4
	s_cmp_lt_i32 s4, s33
	s_waitcnt vmcnt(26)
	v_wmma_f32_16x16x16_bf16 v[137:144], v[105:112], v[148:155], v[137:144]
	s_cselect_b32 s4, s5, s86
	s_waitcnt vmcnt(24)
	v_wmma_f32_16x16x16_bf16 v[129:136], v[113:120], v[148:155], v[129:136]
	s_ashr_i32 s5, s4, 31
	v_mov_b32_e32 v155, s43
	s_lshl_b64 s[4:5], s[4:5], 2
	s_load_b32 s28, s[16:17], 0x0
	s_add_u32 s18, s76, s4
	s_addc_u32 s19, s85, s5
	s_or_b32 s4, s84, 0xb0
	s_load_b32 s27, s[18:19], 0x0
	s_ashr_i32 s6, s4, 4
	s_cmp_lt_i32 s4, s33
	v_dual_mov_b32 v154, s42 :: v_dual_lshlrev_b32 v97, 5, v145
	s_cselect_b32 s8, s6, s86
	v_mov_b32_e32 v153, s41
	s_ashr_i32 s9, s8, 31
	v_mov_b32_e32 v152, s40
	s_lshl_b64 s[8:9], s[8:9], 2
	v_mov_b32_e32 v151, s39
	s_add_u32 s20, s76, s8
	s_addc_u32 s21, s85, s9
	s_or_b32 s8, s84, 0xc0
	v_mov_b32_e32 v150, s38
	s_ashr_i32 s10, s8, 4
	s_cmp_lt_i32 s8, s33
	v_mov_b32_e32 v149, s37
	s_cselect_b32 s22, s10, s86
	v_mov_b32_e32 v148, s36
	s_ashr_i32 s23, s22, 31
	v_lshl_or_b32 v97, v147, 9, v97
	s_lshl_b64 s[22:23], s[22:23], 2
	s_mul_hi_i32 s5, s88, s77
	s_add_u32 s22, s76, s22
	s_addc_u32 s23, s85, s23
	s_or_b32 s24, s84, 0xd0
	s_mul_i32 s4, s88, s77
	s_ashr_i32 s25, s24, 4
	s_cmp_lt_i32 s24, s33
	s_mul_i32 s6, s87, s77
	s_cselect_b32 s24, s25, s86
	s_mul_hi_i32 s9, s81, s77
	s_ashr_i32 s25, s24, 31
	s_mul_i32 s8, s81, s77
	s_lshl_b64 s[24:25], s[24:25], 2
	s_mul_i32 s10, s13, s77
	s_add_u32 s18, s76, s24
	s_addc_u32 s19, s85, s25
	s_or_b32 s36, s84, 0xe0
	s_clause 0x2
	s_load_b32 s26, s[20:21], 0x0
	s_load_b32 s25, s[22:23], 0x0
	;; [unrolled: 1-line block ×3, first 2 shown]
	s_ashr_i32 s37, s36, 4
	s_cmp_lt_i32 s36, s33
	s_waitcnt lgkmcnt(0)
	s_mul_hi_i32 s21, s30, s77
	s_mul_i32 s20, s30, s77
	s_cselect_b32 s30, s37, s86
	s_mul_hi_i32 s23, s31, s77
	s_mul_i32 s22, s31, s77
	s_ashr_i32 s31, s30, 31
	s_mul_hi_i32 s13, s12, s77
	s_lshl_b64 s[30:31], s[30:31], 2
	s_mul_i32 s12, s12, s77
	s_add_u32 s30, s76, s30
	s_addc_u32 s31, s85, s31
	s_or_b32 s38, s84, 0xf0
	s_mul_hi_i32 s17, s80, s77
	s_ashr_i32 s39, s38, 4
	s_cmp_lt_i32 s38, s33
	s_mul_i32 s16, s80, s77
	s_cselect_b32 s38, s39, s86
	s_mul_hi_i32 s19, s29, s77
	s_ashr_i32 s39, s38, 31
	s_mul_i32 s18, s29, s77
	s_lshl_b64 s[38:39], s[38:39], 2
	s_mul_hi_i32 s29, s28, s77
	s_add_u32 s38, s76, s38
	s_addc_u32 s39, s85, s39
	s_mul_i32 s28, s28, s77
	s_mul_hi_i32 s37, s27, s77
	s_mul_i32 s36, s27, s77
	s_mul_hi_i32 s41, s25, s77
	s_mul_i32 s40, s25, s77
	s_add_u32 s42, s82, s2
	s_addc_u32 s43, s83, s3
	s_lshl_b64 s[2:3], s[4:5], 1
	s_lshl_b64 s[4:5], s[6:7], 1
	;; [unrolled: 1-line block ×12, first 2 shown]
	v_add_co_u32 v146, s40, s42, v97
	s_delay_alu instid0(VALU_DEP_1) | instskip(SKIP_2) | instid1(VALU_DEP_3)
	v_add_co_ci_u32_e64 v200, null, s43, 0, s40
	s_waitcnt vmcnt(22)
	v_wmma_f32_16x16x16_bf16 v[137:144], v[81:88], v[164:171], v[137:144]
	v_add_co_u32 v81, vcc_lo, v146, s2
	s_delay_alu instid0(VALU_DEP_3)
	v_add_co_ci_u32_e32 v82, vcc_lo, s3, v200, vcc_lo
	v_add_co_u32 v83, vcc_lo, v146, s4
	v_add_co_ci_u32_e32 v84, vcc_lo, s5, v200, vcc_lo
	v_add_co_u32 v85, vcc_lo, v146, s6
	v_add_co_ci_u32_e32 v86, vcc_lo, s7, v200, vcc_lo
	s_waitcnt vmcnt(20)
	v_wmma_f32_16x16x16_bf16 v[129:136], v[73:80], v[164:171], v[129:136]
	v_add_co_u32 v73, vcc_lo, v146, s8
	v_add_co_ci_u32_e32 v74, vcc_lo, s9, v200, vcc_lo
	v_add_co_u32 v75, vcc_lo, v146, s10
	v_add_co_ci_u32_e32 v76, vcc_lo, s11, v200, vcc_lo
	;; [unrolled: 2-line block ×3, first 2 shown]
	v_add_co_u32 v79, vcc_lo, v146, s16
	s_clause 0x1
	s_load_b32 s30, s[30:31], 0x0
	s_load_b32 s31, s[38:39], 0x0
	v_add_co_ci_u32_e32 v80, vcc_lo, s17, v200, vcc_lo
	v_add_co_u32 v164, vcc_lo, v146, s18
	v_add_co_ci_u32_e32 v165, vcc_lo, s19, v200, vcc_lo
	v_add_co_u32 v166, vcc_lo, v146, s20
	;; [unrolled: 2-line block ×3, first 2 shown]
	s_mul_hi_i32 s27, s26, s77
	s_mul_i32 s26, s26, s77
	v_add_co_ci_u32_e32 v169, vcc_lo, s23, v200, vcc_lo
	s_waitcnt vmcnt(16)
	v_wmma_f32_16x16x16_bf16 v[129:136], v[57:64], v[89:96], v[129:136]
	v_add_co_u32 v170, vcc_lo, v146, s28
	s_lshl_b64 s[26:27], s[26:27], 1
	v_wmma_f32_16x16x16_bf16 v[137:144], v[65:72], v[89:96], v[137:144]
	v_add_co_ci_u32_e32 v171, vcc_lo, s29, v200, vcc_lo
	v_add_co_u32 v196, vcc_lo, v146, s26
	s_waitcnt vmcnt(12)
	v_wmma_f32_16x16x16_bf16 v[129:136], v[41:48], v[172:179], v[129:136]
	s_mul_hi_i32 s25, s24, s77
	s_mul_i32 s24, s24, s77
	v_add_co_ci_u32_e32 v197, vcc_lo, s27, v200, vcc_lo
	v_add_co_u32 v198, vcc_lo, v146, s36
	v_wmma_f32_16x16x16_bf16 v[137:144], v[49:56], v[172:179], v[137:144]
	s_lshl_b64 s[24:25], s[24:25], 1
	v_add_co_ci_u32_e32 v199, vcc_lo, s37, v200, vcc_lo
	s_waitcnt lgkmcnt(0)
	s_mul_hi_i32 s3, s30, s77
	s_mul_i32 s2, s30, s77
	s_waitcnt vmcnt(8)
	v_wmma_f32_16x16x16_bf16 v[129:136], v[25:32], v[180:187], v[129:136]
	v_add_co_u32 v29, vcc_lo, v146, s24
	s_lshl_b64 s[2:3], s[2:3], 1
	v_wmma_f32_16x16x16_bf16 v[137:144], v[33:40], v[180:187], v[137:144]
	v_add_co_ci_u32_e32 v30, vcc_lo, s25, v200, vcc_lo
	s_mul_hi_i32 s5, s31, s77
	s_mul_i32 s4, s31, s77
	v_add_co_u32 v37, vcc_lo, v146, s2
	v_add_co_ci_u32_e32 v38, vcc_lo, s3, v200, vcc_lo
	s_lshl_b64 s[2:3], s[4:5], 1
	s_waitcnt vmcnt(6)
	v_wmma_f32_16x16x16_bf16 v[137:144], v[17:24], v[148:155], v[137:144]
	s_waitcnt vmcnt(4)
	v_wmma_f32_16x16x16_bf16 v[129:136], v[1:8], v[148:155], v[129:136]
	v_add_co_u32 v148, vcc_lo, v146, s2
	v_add_co_ci_u32_e32 v149, vcc_lo, s3, v200, vcc_lo
	s_clause 0x1b
	global_load_b128 v[121:124], v[81:82], off
	global_load_b128 v[125:128], v[81:82], off offset:16
	global_load_b128 v[113:116], v[83:84], off
	global_load_b128 v[117:120], v[83:84], off offset:16
	;; [unrolled: 2-line block ×14, first 2 shown]
	s_waitcnt vmcnt(30)
	v_wmma_f32_16x16x16_bf16 v[137:144], v[9:16], v[188:195], v[137:144]
	s_clause 0x3
	global_load_b128 v[33:36], v[37:38], off
	global_load_b128 v[37:40], v[37:38], off offset:16
	global_load_b128 v[9:12], v[148:149], off
	global_load_b128 v[13:16], v[148:149], off offset:16
	v_and_b32_e32 v148, 0xe0, v0
	v_mbcnt_lo_u32_b32 v149, -1, 0
	v_bfe_u32 v146, v0, 4, 1
	s_waitcnt vmcnt(0)
	s_barrier
	v_add_nc_u32_e32 v148, s84, v148
	v_xor_b32_e32 v150, 16, v149
	buffer_gl0_inv
	v_or_b32_e32 v148, v148, v146
	v_cmp_gt_i32_e32 vcc_lo, 32, v150
	s_delay_alu instid0(VALU_DEP_2)
	v_or_b32_e32 v151, 4, v148
	v_cndmask_b32_e32 v149, v149, v150, vcc_lo
	v_or_b32_e32 v150, 2, v148
	v_or_b32_e32 v152, 6, v148
	v_cmp_gt_i32_e64 s2, s33, v148
	v_cmp_gt_i32_e64 s3, s33, v151
	v_or_b32_e32 v153, 8, v148
	v_cmp_gt_i32_e32 vcc_lo, s33, v150
	v_mul_f32_e32 v150, s35, v139
	v_wmma_f32_16x16x16_bf16 v[129:136], v[156:163], v[188:195], v[129:136]
	v_or_b32_e32 v156, 14, v148
	v_dual_mul_f32 v162, s35, v137 :: v_dual_mul_f32 v163, s35, v138
	v_mul_f32_e32 v161, s35, v140
	v_cmp_gt_i32_e64 s4, s33, v152
	s_delay_alu instid0(VALU_DEP_4) | instskip(NEXT) | instid1(VALU_DEP_4)
	v_cmp_gt_i32_e64 s8, s33, v156
	v_cndmask_b32_e64 v162, 0xff7fffff, v162, s2
	v_mul_f32_e32 v156, s35, v133
	v_cndmask_b32_e32 v163, 0xff7fffff, v163, vcc_lo
	v_or_b32_e32 v154, 10, v148
	v_cndmask_b32_e64 v150, 0xff7fffff, v150, s3
	v_cndmask_b32_e64 v151, 0xff7fffff, v161, s4
	v_or_b32_e32 v155, 12, v148
	v_max3_f32 v152, v162, 0xff7fffff, v163
	v_cmp_gt_i32_e64 s5, s33, v154
	v_cmp_gt_i32_e64 s6, s33, v153
	v_or_b32_e32 v158, 18, v148
	v_mul_f32_e32 v154, s35, v143
	v_max3_f32 v150, v152, v150, v151
	v_dual_mul_f32 v151, s35, v142 :: v_dual_mul_f32 v152, s35, v141
	v_mul_f32_e32 v153, s35, v144
	v_cmp_gt_i32_e64 s7, s33, v155
	v_or_b32_e32 v157, 16, v148
	s_delay_alu instid0(VALU_DEP_4)
	v_cndmask_b32_e64 v151, 0xff7fffff, v151, s5
	v_cndmask_b32_e64 v152, 0xff7fffff, v152, s6
	v_cmp_gt_i32_e64 s9, s33, v158
	v_mul_f32_e32 v158, s35, v131
	v_cndmask_b32_e64 v154, 0xff7fffff, v154, s7
	v_cndmask_b32_e64 v153, 0xff7fffff, v153, s8
	v_max3_f32 v150, v150, v152, v151
	v_or_b32_e32 v159, 20, v148
	v_or_b32_e32 v160, 22, v148
	v_cmp_gt_i32_e64 s10, s33, v157
	v_or_b32_e32 v161, 24, v148
	v_max3_f32 v150, v150, v154, v153
	v_dual_mul_f32 v153, s35, v130 :: v_dual_mul_f32 v154, s35, v129
	v_or_b32_e32 v162, 26, v148
	v_mul_f32_e32 v157, s35, v132
	v_cmp_gt_i32_e64 s11, s33, v159
	s_delay_alu instid0(VALU_DEP_4)
	v_cndmask_b32_e64 v153, 0xff7fffff, v153, s9
	v_cndmask_b32_e64 v154, 0xff7fffff, v154, s10
	v_cmp_gt_i32_e64 s12, s33, v160
	v_or_b32_e32 v163, 28, v148
	v_or_b32_e32 v148, 30, v148
	v_mul_f32_e32 v155, s35, v134
	v_cndmask_b32_e64 v158, 0xff7fffff, v158, s11
	v_cndmask_b32_e64 v157, 0xff7fffff, v157, s12
	v_max3_f32 v150, v150, v154, v153
	v_cmp_gt_i32_e64 s13, s33, v161
	v_cmp_gt_i32_e64 s16, s33, v162
	v_dual_mul_f32 v151, s35, v136 :: v_dual_mul_f32 v152, s35, v135
	s_delay_alu instid0(VALU_DEP_4) | instskip(NEXT) | instid1(VALU_DEP_4)
	v_max3_f32 v150, v150, v158, v157
	v_cndmask_b32_e64 v153, 0xff7fffff, v156, s13
	s_delay_alu instid0(VALU_DEP_4) | instskip(SKIP_2) | instid1(VALU_DEP_3)
	v_cndmask_b32_e64 v154, 0xff7fffff, v155, s16
	v_cmp_gt_i32_e64 s17, s33, v163
	v_cmp_gt_i32_e64 s18, s33, v148
	v_max3_f32 v150, v150, v153, v154
	s_delay_alu instid0(VALU_DEP_3) | instskip(NEXT) | instid1(VALU_DEP_3)
	v_cndmask_b32_e64 v152, 0xff7fffff, v152, s17
	v_cndmask_b32_e64 v148, 0xff7fffff, v151, s18
	v_lshlrev_b32_e32 v153, 2, v149
	s_delay_alu instid0(VALU_DEP_2) | instskip(SKIP_3) | instid1(VALU_DEP_1)
	v_max3_f32 v148, v150, v152, v148
	ds_bpermute_b32 v149, v153, v148
	s_waitcnt lgkmcnt(0)
	v_max_f32_e32 v149, v149, v149
	v_max_f32_e32 v151, v148, v149
	s_delay_alu instid0(VALU_DEP_1) | instskip(NEXT) | instid1(VALU_DEP_1)
	v_fma_f32 v132, s35, v132, -v151
	v_mul_f32_e32 v132, 0x3fb8aa3b, v132
	v_fma_f32 v137, s35, v137, -v151
	v_fma_f32 v138, s35, v138, -v151
	;; [unrolled: 1-line block ×5, first 2 shown]
	s_delay_alu instid0(VALU_DEP_4) | instskip(NEXT) | instid1(VALU_DEP_3)
	v_dual_mul_f32 v137, 0x3fb8aa3b, v137 :: v_dual_mul_f32 v138, 0x3fb8aa3b, v138
	v_dual_mul_f32 v134, 0x3fb8aa3b, v134 :: v_dual_mul_f32 v139, 0x3fb8aa3b, v139
	v_fma_f32 v148, s35, v141, -v151
	s_delay_alu instid0(VALU_DEP_3) | instskip(NEXT) | instid1(VALU_DEP_3)
	v_exp_f32_e32 v137, v137
	v_exp_f32_e32 v138, v138
	v_mul_f32_e32 v140, 0x3fb8aa3b, v140
	v_exp_f32_e32 v139, v139
	v_fma_f32 v143, s35, v143, -v151
	v_fma_f32 v129, s35, v129, -v151
	;; [unrolled: 1-line block ×5, first 2 shown]
	v_mul_f32_e32 v143, 0x3fb8aa3b, v143
	v_cndmask_b32_e64 v141, 0, v137, s2
	v_fma_f32 v137, s35, v142, -v151
	v_mul_f32_e32 v142, 0x3fb8aa3b, v148
	v_exp_f32_e32 v148, v140
	v_cndmask_b32_e32 v140, 0, v138, vcc_lo
	v_add_f32_e32 v138, 0, v141
	v_mul_f32_e32 v137, 0x3fb8aa3b, v137
	v_exp_f32_e32 v149, v142
	v_cndmask_b32_e64 v142, 0, v139, s3
	v_fma_f32 v139, s35, v144, -v151
	v_add_f32_e32 v138, v138, v140
	v_exp_f32_e32 v137, v137
	v_exp_f32_e32 v143, v143
	v_cndmask_b32_e64 v144, 0, v148, s4
	s_delay_alu instid0(VALU_DEP_2) | instskip(SKIP_1) | instid1(TRANS32_DEP_3)
	v_dual_mul_f32 v139, 0x3fb8aa3b, v139 :: v_dual_add_f32 v138, v138, v142
	v_mul_f32_e32 v129, 0x3fb8aa3b, v129
	v_cndmask_b32_e64 v148, 0, v149, s6
	v_mul_f32_e32 v130, 0x3fb8aa3b, v130
	s_delay_alu instid0(VALU_DEP_4) | instskip(SKIP_1) | instid1(TRANS32_DEP_3)
	v_exp_f32_e32 v139, v139
	v_add_f32_e32 v138, v138, v144
	v_cndmask_b32_e64 v149, 0, v137, s5
	v_exp_f32_e32 v129, v129
	v_cndmask_b32_e64 v143, 0, v143, s7
	v_mul_f32_e32 v131, 0x3fb8aa3b, v131
	v_add_f32_e32 v137, v138, v148
	v_exp_f32_e32 v130, v130
	v_mul_f32_e32 v133, 0x3fb8aa3b, v133
	v_fma_f32 v136, s35, v136, -v151
	v_cndmask_b32_e64 v150, 0, v139, s8
	v_add_f32_e32 v137, v137, v149
	v_exp_f32_e32 v138, v131
	v_cndmask_b32_e64 v131, 0, v129, s10
	v_and_b32_e32 v139, 31, v0
	s_mov_b32 s3, exec_lo
	v_add_f32_e32 v137, v137, v143
	s_delay_alu instid0(VALU_DEP_2) | instskip(NEXT) | instid1(VALU_DEP_2)
	v_cmp_lt_u32_e64 s2, 15, v139
	v_add_f32_e32 v129, v137, v150
	v_exp_f32_e32 v137, v132
	v_cndmask_b32_e64 v132, 0, v130, s9
	v_fma_f32 v130, s35, v135, -v151
	v_exp_f32_e32 v135, v133
	v_add_f32_e32 v129, v129, v131
	v_cndmask_b32_e64 v133, 0, v138, s11
	v_exp_f32_e32 v138, v134
	s_delay_alu instid0(VALU_DEP_2) | instskip(NEXT) | instid1(TRANS32_DEP_3)
	v_dual_mul_f32 v130, 0x3fb8aa3b, v130 :: v_dual_add_f32 v129, v129, v132
	v_cndmask_b32_e64 v134, 0, v137, s12
	v_mul_f32_e32 v137, 0x3fb8aa3b, v136
	s_delay_alu instid0(VALU_DEP_3) | instskip(NEXT) | instid1(TRANS32_DEP_3)
	v_exp_f32_e32 v130, v130
	v_cndmask_b32_e64 v135, 0, v135, s13
	v_add_f32_e32 v129, v129, v133
	s_delay_alu instid0(TRANS32_DEP_2) | instskip(SKIP_1) | instid1(VALU_DEP_2)
	v_cndmask_b32_e64 v136, 0, v138, s16
	v_exp_f32_e32 v138, v137
	v_add_f32_e32 v129, v129, v134
	s_waitcnt_depctr 0xfff
	v_cndmask_b32_e64 v137, 0, v130, s17
	v_add_f32_e32 v129, v129, v135
	v_cndmask_b32_e64 v138, 0, v138, s18
	s_delay_alu instid0(VALU_DEP_2) | instskip(NEXT) | instid1(VALU_DEP_1)
	v_add_f32_e32 v129, v129, v136
	v_add_f32_e32 v129, v129, v137
	s_delay_alu instid0(VALU_DEP_1)
	v_add_f32_e32 v129, v129, v138
	ds_bpermute_b32 v130, v153, v129
	v_cmpx_gt_u32_e32 16, v139
	s_cbranch_execz .LBB686_11
; %bb.10:
	v_mul_u32_u24_e32 v139, 0x44, v147
	s_delay_alu instid0(VALU_DEP_1) | instskip(SKIP_1) | instid1(VALU_DEP_1)
	v_lshl_add_u32 v139, v145, 2, v139
	s_waitcnt lgkmcnt(0)
	v_dual_add_f32 v129, v129, v130 :: v_dual_add_nc_u32 v130, 0x4000, v139
	ds_store_2addr_b32 v130, v151, v129 offset1:136
.LBB686_11:
	s_or_b32 exec_lo, exec_lo, s3
	v_lshlrev_b32_e32 v129, 2, v145
	s_waitcnt lgkmcnt(0)
	s_barrier
	buffer_gl0_inv
	v_cmp_eq_u32_e64 s3, 1, v147
	v_add_nc_u32_e32 v139, 0x4000, v129
	ds_load_2addr_b32 v[151:152], v139 offset1:17
	ds_load_2addr_b32 v[153:154], v139 offset0:34 offset1:51
	ds_load_2addr_b32 v[155:156], v139 offset0:68 offset1:85
	;; [unrolled: 1-line block ×4, first 2 shown]
	s_waitcnt lgkmcnt(4)
	v_max3_f32 v129, v151, 0xff7fffff, v152
	s_waitcnt lgkmcnt(3)
	s_delay_alu instid0(VALU_DEP_1) | instskip(SKIP_1) | instid1(VALU_DEP_1)
	v_max3_f32 v129, v129, v153, v154
	s_waitcnt lgkmcnt(2)
	v_max3_f32 v129, v129, v155, v156
	s_waitcnt lgkmcnt(1)
	s_delay_alu instid0(VALU_DEP_1) | instskip(NEXT) | instid1(VALU_DEP_1)
	v_max3_f32 v129, v129, v157, v158
	v_sub_f32_e32 v155, v155, v129
	s_delay_alu instid0(VALU_DEP_1) | instskip(NEXT) | instid1(VALU_DEP_1)
	v_dual_sub_f32 v130, v151, v129 :: v_dual_mul_f32 v165, 0x3fb8aa3b, v155
	v_mul_f32_e32 v130, 0x3fb8aa3b, v130
	s_delay_alu instid0(VALU_DEP_1) | instskip(SKIP_1) | instid1(VALU_DEP_1)
	v_exp_f32_e32 v162, v130
	v_sub_f32_e32 v130, v154, v129
	v_dual_sub_f32 v161, v152, v129 :: v_dual_mul_f32 v164, 0x3fb8aa3b, v130
	s_waitcnt lgkmcnt(0)
	s_waitcnt_depctr 0xfff
	v_fma_f32 v130, v162, v159, 0
	v_exp_f32_e32 v164, v164
	v_mul_f32_e32 v161, 0x3fb8aa3b, v161
	v_sub_f32_e32 v159, v156, v129
	s_delay_alu instid0(VALU_DEP_2)
	v_exp_f32_e32 v161, v161
	s_waitcnt_depctr 0xfff
	v_fmac_f32_e32 v130, v161, v160
	ds_load_2addr_b32 v[151:152], v139 offset0:170 offset1:187
	v_sub_f32_e32 v153, v153, v129
	ds_load_2addr_b32 v[155:156], v139 offset0:238 offset1:255
	v_mul_f32_e32 v163, 0x3fb8aa3b, v153
	ds_load_2addr_b32 v[153:154], v139 offset0:204 offset1:221
	s_waitcnt lgkmcnt(0)
	s_barrier
	buffer_gl0_inv
	v_exp_f32_e32 v163, v163
	s_waitcnt_depctr 0xfff
	v_dual_fmac_f32 v130, v163, v151 :: v_dual_sub_f32 v151, v158, v129
	s_delay_alu instid0(VALU_DEP_1) | instskip(NEXT) | instid1(VALU_DEP_1)
	v_dual_fmac_f32 v130, v164, v152 :: v_dual_mul_f32 v151, 0x3fb8aa3b, v151
	v_exp_f32_e32 v151, v151
	v_sub_f32_e32 v139, v157, v129
	v_mul_f32_e32 v157, 0x3fb8aa3b, v159
	v_exp_f32_e32 v159, v165
	s_delay_alu instid0(VALU_DEP_2) | instskip(NEXT) | instid1(VALU_DEP_2)
	v_mul_f32_e32 v139, 0x3fb8aa3b, v139
	v_exp_f32_e32 v157, v157
	s_waitcnt_depctr 0xfff
	v_fmac_f32_e32 v130, v159, v153
	v_exp_f32_e32 v139, v139
	s_delay_alu instid0(VALU_DEP_1) | instskip(SKIP_2) | instid1(VALU_DEP_1)
	v_fmac_f32_e32 v130, v157, v154
	s_waitcnt_depctr 0xfff
	v_fmac_f32_e32 v130, v139, v155
	v_fmac_f32_e32 v130, v151, v156
	s_delay_alu instid0(VALU_DEP_1) | instskip(NEXT) | instid1(VALU_DEP_1)
	v_add_f32_e32 v152, 0x358637bd, v130
	v_div_scale_f32 v153, null, v152, v152, 1.0
	v_div_scale_f32 v156, vcc_lo, 1.0, v152, 1.0
	s_delay_alu instid0(VALU_DEP_2) | instskip(SKIP_2) | instid1(VALU_DEP_1)
	v_rcp_f32_e32 v154, v153
	s_waitcnt_depctr 0xfff
	v_fma_f32 v155, -v153, v154, 1.0
	v_fmac_f32_e32 v154, v155, v154
	v_cndmask_b32_e64 v155, v162, v161, s3
	v_cmp_eq_u32_e64 s3, 2, v147
	s_delay_alu instid0(VALU_DEP_3) | instskip(NEXT) | instid1(VALU_DEP_2)
	v_mul_f32_e32 v158, v156, v154
	v_cndmask_b32_e64 v155, v155, v163, s3
	v_cmp_eq_u32_e64 s3, 3, v147
	s_delay_alu instid0(VALU_DEP_3) | instskip(NEXT) | instid1(VALU_DEP_2)
	v_fma_f32 v160, -v153, v158, v156
	v_cndmask_b32_e64 v155, v155, v164, s3
	v_cmp_eq_u32_e64 s3, 4, v147
	s_delay_alu instid0(VALU_DEP_1) | instskip(SKIP_1) | instid1(VALU_DEP_1)
	v_cndmask_b32_e64 v155, v155, v159, s3
	v_cmp_eq_u32_e64 s3, 5, v147
	v_cndmask_b32_e64 v155, v155, v157, s3
	v_fmac_f32_e32 v158, v160, v154
	s_mov_b32 s3, exec_lo
	s_delay_alu instid0(VALU_DEP_1) | instskip(NEXT) | instid1(VALU_DEP_1)
	v_fma_f32 v153, -v153, v158, v156
	v_div_fmas_f32 v153, v153, v154, v158
	v_cmp_eq_u32_e32 vcc_lo, 6, v147
	s_delay_alu instid0(VALU_DEP_2) | instskip(SKIP_2) | instid1(VALU_DEP_2)
	v_div_fixup_f32 v152, v153, v152, 1.0
	v_cndmask_b32_e32 v139, v155, v139, vcc_lo
	v_cmp_eq_u32_e32 vcc_lo, 7, v147
	v_cndmask_b32_e32 v139, v139, v151, vcc_lo
	s_delay_alu instid0(VALU_DEP_1) | instskip(NEXT) | instid1(VALU_DEP_1)
	v_mul_f32_e32 v139, v139, v152
	v_mul_f32_e32 v152, v139, v141
	;; [unrolled: 1-line block ×6, first 2 shown]
	v_dual_mul_f32 v148, v139, v142 :: v_dual_and_b32 v153, 0x7f800000, v152
	v_mul_f32_e32 v151, v139, v144
	v_mul_f32_e32 v144, v139, v140
                                        ; implicit-def: $vgpr140
	s_delay_alu instid0(VALU_DEP_3)
	v_cmpx_ne_u32_e32 0x7f800000, v153
	s_xor_b32 s3, exec_lo, s3
; %bb.12:
	v_bfe_u32 v140, v152, 16, 1
	s_delay_alu instid0(VALU_DEP_1)
	v_add3_u32 v140, v152, v140, 0x7fff
                                        ; implicit-def: $vgpr152
; %bb.13:
	s_and_not1_saveexec_b32 s3, s3
; %bb.14:
	v_and_b32_e32 v140, 0xffff, v152
	v_or_b32_e32 v142, 0x10000, v152
	s_delay_alu instid0(VALU_DEP_2) | instskip(NEXT) | instid1(VALU_DEP_2)
	v_cmp_eq_u32_e32 vcc_lo, 0, v140
	v_cndmask_b32_e32 v140, v142, v152, vcc_lo
; %bb.15:
	s_or_b32 exec_lo, exec_lo, s3
	v_and_b32_e32 v142, 0x7f800000, v144
	s_delay_alu instid0(VALU_DEP_1) | instskip(SKIP_1) | instid1(SALU_CYCLE_1)
	v_cmp_ne_u32_e32 vcc_lo, 0x7f800000, v142
                                        ; implicit-def: $vgpr142
	s_and_saveexec_b32 s3, vcc_lo
	s_xor_b32 s3, exec_lo, s3
; %bb.16:
	v_bfe_u32 v142, v144, 16, 1
	s_delay_alu instid0(VALU_DEP_1)
	v_add3_u32 v142, v144, v142, 0x7fff
                                        ; implicit-def: $vgpr144
; %bb.17:
	s_and_not1_saveexec_b32 s3, s3
; %bb.18:
	v_and_b32_e32 v142, 0xffff, v144
	v_or_b32_e32 v152, 0x10000, v144
	s_delay_alu instid0(VALU_DEP_2) | instskip(NEXT) | instid1(VALU_DEP_2)
	v_cmp_eq_u32_e32 vcc_lo, 0, v142
	v_cndmask_b32_e32 v142, v152, v144, vcc_lo
; %bb.19:
	s_or_b32 exec_lo, exec_lo, s3
	v_and_b32_e32 v144, 0x7f800000, v148
	s_delay_alu instid0(VALU_DEP_1) | instskip(SKIP_1) | instid1(SALU_CYCLE_1)
	v_cmp_ne_u32_e32 vcc_lo, 0x7f800000, v144
                                        ; implicit-def: $vgpr144
	s_and_saveexec_b32 s3, vcc_lo
	s_xor_b32 s3, exec_lo, s3
; %bb.20:
	v_bfe_u32 v144, v148, 16, 1
	s_delay_alu instid0(VALU_DEP_1)
	v_add3_u32 v144, v148, v144, 0x7fff
                                        ; implicit-def: $vgpr148
; %bb.21:
	s_and_not1_saveexec_b32 s3, s3
; %bb.22:
	v_and_b32_e32 v144, 0xffff, v148
	v_or_b32_e32 v152, 0x10000, v148
	s_delay_alu instid0(VALU_DEP_2) | instskip(NEXT) | instid1(VALU_DEP_2)
	v_cmp_eq_u32_e32 vcc_lo, 0, v144
	v_cndmask_b32_e32 v144, v152, v148, vcc_lo
; %bb.23:
	s_or_b32 exec_lo, exec_lo, s3
	v_and_b32_e32 v148, 0x7f800000, v151
	s_delay_alu instid0(VALU_DEP_1) | instskip(SKIP_1) | instid1(SALU_CYCLE_1)
	v_cmp_ne_u32_e32 vcc_lo, 0x7f800000, v148
                                        ; implicit-def: $vgpr148
	s_and_saveexec_b32 s3, vcc_lo
	s_xor_b32 s3, exec_lo, s3
; %bb.24:
	v_bfe_u32 v148, v151, 16, 1
	s_delay_alu instid0(VALU_DEP_1)
	v_add3_u32 v148, v151, v148, 0x7fff
                                        ; implicit-def: $vgpr151
; %bb.25:
	s_and_not1_saveexec_b32 s3, s3
; %bb.26:
	v_and_b32_e32 v148, 0xffff, v151
	v_or_b32_e32 v152, 0x10000, v151
	s_delay_alu instid0(VALU_DEP_2) | instskip(NEXT) | instid1(VALU_DEP_2)
	v_cmp_eq_u32_e32 vcc_lo, 0, v148
	v_cndmask_b32_e32 v148, v152, v151, vcc_lo
; %bb.27:
	s_or_b32 exec_lo, exec_lo, s3
	v_and_b32_e32 v151, 0x7f800000, v150
	s_delay_alu instid0(VALU_DEP_1) | instskip(SKIP_1) | instid1(SALU_CYCLE_1)
	v_cmp_ne_u32_e32 vcc_lo, 0x7f800000, v151
                                        ; implicit-def: $vgpr151
	s_and_saveexec_b32 s3, vcc_lo
	s_xor_b32 s3, exec_lo, s3
; %bb.28:
	v_bfe_u32 v151, v150, 16, 1
	s_delay_alu instid0(VALU_DEP_1)
	v_add3_u32 v151, v150, v151, 0x7fff
                                        ; implicit-def: $vgpr150
; %bb.29:
	s_and_not1_saveexec_b32 s3, s3
; %bb.30:
	v_and_b32_e32 v151, 0xffff, v150
	v_or_b32_e32 v152, 0x10000, v150
	s_delay_alu instid0(VALU_DEP_2) | instskip(NEXT) | instid1(VALU_DEP_2)
	v_cmp_eq_u32_e32 vcc_lo, 0, v151
	v_cndmask_b32_e32 v151, v152, v150, vcc_lo
; %bb.31:
	s_or_b32 exec_lo, exec_lo, s3
	v_and_b32_e32 v150, 0x7f800000, v149
	s_delay_alu instid0(VALU_DEP_1) | instskip(SKIP_1) | instid1(SALU_CYCLE_1)
	v_cmp_ne_u32_e32 vcc_lo, 0x7f800000, v150
                                        ; implicit-def: $vgpr150
	s_and_saveexec_b32 s3, vcc_lo
	s_xor_b32 s3, exec_lo, s3
; %bb.32:
	v_bfe_u32 v150, v149, 16, 1
	s_delay_alu instid0(VALU_DEP_1)
	v_add3_u32 v150, v149, v150, 0x7fff
                                        ; implicit-def: $vgpr149
; %bb.33:
	s_and_not1_saveexec_b32 s3, s3
; %bb.34:
	v_and_b32_e32 v150, 0xffff, v149
	v_or_b32_e32 v152, 0x10000, v149
	s_delay_alu instid0(VALU_DEP_2) | instskip(NEXT) | instid1(VALU_DEP_2)
	v_cmp_eq_u32_e32 vcc_lo, 0, v150
	v_cndmask_b32_e32 v150, v152, v149, vcc_lo
; %bb.35:
	s_or_b32 exec_lo, exec_lo, s3
	v_and_b32_e32 v149, 0x7f800000, v143
	s_delay_alu instid0(VALU_DEP_1) | instskip(SKIP_1) | instid1(SALU_CYCLE_1)
	v_cmp_ne_u32_e32 vcc_lo, 0x7f800000, v149
                                        ; implicit-def: $vgpr149
	s_and_saveexec_b32 s3, vcc_lo
	s_xor_b32 s3, exec_lo, s3
; %bb.36:
	v_bfe_u32 v149, v143, 16, 1
	s_delay_alu instid0(VALU_DEP_1)
	v_add3_u32 v149, v143, v149, 0x7fff
                                        ; implicit-def: $vgpr143
; %bb.37:
	s_and_not1_saveexec_b32 s3, s3
; %bb.38:
	v_and_b32_e32 v149, 0xffff, v143
	v_or_b32_e32 v152, 0x10000, v143
	s_delay_alu instid0(VALU_DEP_2) | instskip(NEXT) | instid1(VALU_DEP_2)
	v_cmp_eq_u32_e32 vcc_lo, 0, v149
	v_cndmask_b32_e32 v149, v152, v143, vcc_lo
; %bb.39:
	s_or_b32 exec_lo, exec_lo, s3
	v_and_b32_e32 v143, 0x7f800000, v141
	s_delay_alu instid0(VALU_DEP_1) | instskip(SKIP_1) | instid1(SALU_CYCLE_1)
	v_cmp_ne_u32_e32 vcc_lo, 0x7f800000, v143
                                        ; implicit-def: $vgpr143
	s_and_saveexec_b32 s3, vcc_lo
	s_xor_b32 s3, exec_lo, s3
; %bb.40:
	v_bfe_u32 v143, v141, 16, 1
	s_delay_alu instid0(VALU_DEP_1)
	v_add3_u32 v143, v141, v143, 0x7fff
                                        ; implicit-def: $vgpr141
; %bb.41:
	s_and_not1_saveexec_b32 s3, s3
; %bb.42:
	v_and_b32_e32 v143, 0xffff, v141
	v_or_b32_e32 v152, 0x10000, v141
	s_delay_alu instid0(VALU_DEP_2) | instskip(NEXT) | instid1(VALU_DEP_2)
	v_cmp_eq_u32_e32 vcc_lo, 0, v143
	v_cndmask_b32_e32 v143, v152, v141, vcc_lo
; %bb.43:
	s_or_b32 exec_lo, exec_lo, s3
	s_load_b64 s[36:37], s[0:1], 0x94
	v_dual_mul_f32 v136, v139, v136 :: v_dual_lshlrev_b32 v153, 4, v146
	s_delay_alu instid0(VALU_DEP_2)
	v_perm_b32 v152, v143, v149, 0x7060302
	v_dual_mul_f32 v138, v139, v138 :: v_dual_lshlrev_b32 v141, 6, v145
	v_dual_mul_f32 v137, v139, v137 :: v_dual_lshlrev_b32 v154, 11, v147
	v_mul_f32_e32 v143, v139, v131
	v_perm_b32 v151, v150, v151, 0x7060302
	v_perm_b32 v150, v148, v144, 0x7060302
	;; [unrolled: 1-line block ×3, first 2 shown]
	v_or3_b32 v131, v153, v154, v141
	v_and_b32_e32 v144, 0x7f800000, v143
	v_mul_f32_e32 v135, v139, v135
	v_mul_f32_e32 v140, v139, v134
	;; [unrolled: 1-line block ×4, first 2 shown]
	s_mov_b32 s3, exec_lo
	ds_store_b128 v131, v[149:152]
                                        ; implicit-def: $vgpr132
	v_cmpx_ne_u32_e32 0x7f800000, v144
	s_xor_b32 s3, exec_lo, s3
; %bb.44:
	v_bfe_u32 v132, v143, 16, 1
	s_delay_alu instid0(VALU_DEP_1)
	v_add3_u32 v132, v143, v132, 0x7fff
                                        ; implicit-def: $vgpr143
; %bb.45:
	s_and_not1_saveexec_b32 s3, s3
; %bb.46:
	v_and_b32_e32 v132, 0xffff, v143
	v_or_b32_e32 v133, 0x10000, v143
	s_delay_alu instid0(VALU_DEP_2) | instskip(NEXT) | instid1(VALU_DEP_2)
	v_cmp_eq_u32_e32 vcc_lo, 0, v132
	v_cndmask_b32_e32 v132, v133, v143, vcc_lo
; %bb.47:
	s_or_b32 exec_lo, exec_lo, s3
	v_and_b32_e32 v133, 0x7f800000, v134
	s_delay_alu instid0(VALU_DEP_1) | instskip(SKIP_1) | instid1(SALU_CYCLE_1)
	v_cmp_ne_u32_e32 vcc_lo, 0x7f800000, v133
                                        ; implicit-def: $vgpr133
	s_and_saveexec_b32 s3, vcc_lo
	s_xor_b32 s3, exec_lo, s3
; %bb.48:
	v_bfe_u32 v133, v134, 16, 1
	s_delay_alu instid0(VALU_DEP_1)
	v_add3_u32 v133, v134, v133, 0x7fff
                                        ; implicit-def: $vgpr134
; %bb.49:
	s_and_not1_saveexec_b32 s3, s3
; %bb.50:
	v_and_b32_e32 v133, 0xffff, v134
	v_or_b32_e32 v139, 0x10000, v134
	s_delay_alu instid0(VALU_DEP_2) | instskip(NEXT) | instid1(VALU_DEP_2)
	v_cmp_eq_u32_e32 vcc_lo, 0, v133
	v_cndmask_b32_e32 v133, v139, v134, vcc_lo
; %bb.51:
	s_or_b32 exec_lo, exec_lo, s3
	v_and_b32_e32 v134, 0x7f800000, v142
	s_delay_alu instid0(VALU_DEP_1) | instskip(SKIP_1) | instid1(SALU_CYCLE_1)
	v_cmp_ne_u32_e32 vcc_lo, 0x7f800000, v134
                                        ; implicit-def: $vgpr134
	s_and_saveexec_b32 s3, vcc_lo
	s_xor_b32 s3, exec_lo, s3
; %bb.52:
	v_bfe_u32 v134, v142, 16, 1
	s_delay_alu instid0(VALU_DEP_1)
	v_add3_u32 v134, v142, v134, 0x7fff
                                        ; implicit-def: $vgpr142
; %bb.53:
	s_and_not1_saveexec_b32 s3, s3
; %bb.54:
	v_and_b32_e32 v134, 0xffff, v142
	v_or_b32_e32 v139, 0x10000, v142
	s_delay_alu instid0(VALU_DEP_2) | instskip(NEXT) | instid1(VALU_DEP_2)
	v_cmp_eq_u32_e32 vcc_lo, 0, v134
	v_cndmask_b32_e32 v134, v139, v142, vcc_lo
; %bb.55:
	s_or_b32 exec_lo, exec_lo, s3
	v_and_b32_e32 v139, 0x7f800000, v140
	s_delay_alu instid0(VALU_DEP_1) | instskip(SKIP_1) | instid1(SALU_CYCLE_1)
	v_cmp_ne_u32_e32 vcc_lo, 0x7f800000, v139
                                        ; implicit-def: $vgpr139
	s_and_saveexec_b32 s3, vcc_lo
	s_xor_b32 s3, exec_lo, s3
; %bb.56:
	v_bfe_u32 v139, v140, 16, 1
	s_delay_alu instid0(VALU_DEP_1)
	v_add3_u32 v139, v140, v139, 0x7fff
                                        ; implicit-def: $vgpr140
; %bb.57:
	s_and_not1_saveexec_b32 s3, s3
; %bb.58:
	v_and_b32_e32 v139, 0xffff, v140
	v_or_b32_e32 v142, 0x10000, v140
	s_delay_alu instid0(VALU_DEP_2) | instskip(NEXT) | instid1(VALU_DEP_2)
	v_cmp_eq_u32_e32 vcc_lo, 0, v139
	v_cndmask_b32_e32 v139, v142, v140, vcc_lo
; %bb.59:
	s_or_b32 exec_lo, exec_lo, s3
	v_and_b32_e32 v140, 0x7f800000, v135
	s_delay_alu instid0(VALU_DEP_1) | instskip(SKIP_1) | instid1(SALU_CYCLE_1)
	v_cmp_ne_u32_e32 vcc_lo, 0x7f800000, v140
                                        ; implicit-def: $vgpr140
	s_and_saveexec_b32 s3, vcc_lo
	s_xor_b32 s3, exec_lo, s3
; %bb.60:
	v_bfe_u32 v140, v135, 16, 1
	s_delay_alu instid0(VALU_DEP_1)
	v_add3_u32 v140, v135, v140, 0x7fff
                                        ; implicit-def: $vgpr135
; %bb.61:
	s_and_not1_saveexec_b32 s3, s3
; %bb.62:
	v_and_b32_e32 v140, 0xffff, v135
	v_or_b32_e32 v142, 0x10000, v135
	s_delay_alu instid0(VALU_DEP_2) | instskip(NEXT) | instid1(VALU_DEP_2)
	v_cmp_eq_u32_e32 vcc_lo, 0, v140
	v_cndmask_b32_e32 v140, v142, v135, vcc_lo
; %bb.63:
	s_or_b32 exec_lo, exec_lo, s3
	v_and_b32_e32 v135, 0x7f800000, v136
	s_delay_alu instid0(VALU_DEP_1) | instskip(SKIP_1) | instid1(SALU_CYCLE_1)
	v_cmp_ne_u32_e32 vcc_lo, 0x7f800000, v135
                                        ; implicit-def: $vgpr135
	s_and_saveexec_b32 s3, vcc_lo
	s_xor_b32 s3, exec_lo, s3
; %bb.64:
	v_bfe_u32 v135, v136, 16, 1
	s_delay_alu instid0(VALU_DEP_1)
	v_add3_u32 v135, v136, v135, 0x7fff
                                        ; implicit-def: $vgpr136
; %bb.65:
	s_and_not1_saveexec_b32 s3, s3
; %bb.66:
	v_and_b32_e32 v135, 0xffff, v136
	v_or_b32_e32 v142, 0x10000, v136
	s_delay_alu instid0(VALU_DEP_2) | instskip(NEXT) | instid1(VALU_DEP_2)
	v_cmp_eq_u32_e32 vcc_lo, 0, v135
	v_cndmask_b32_e32 v135, v142, v136, vcc_lo
; %bb.67:
	s_or_b32 exec_lo, exec_lo, s3
	v_and_b32_e32 v136, 0x7f800000, v137
	s_delay_alu instid0(VALU_DEP_1) | instskip(SKIP_1) | instid1(SALU_CYCLE_1)
	v_cmp_ne_u32_e32 vcc_lo, 0x7f800000, v136
                                        ; implicit-def: $vgpr136
	s_and_saveexec_b32 s3, vcc_lo
	s_xor_b32 s3, exec_lo, s3
; %bb.68:
	v_bfe_u32 v136, v137, 16, 1
	s_delay_alu instid0(VALU_DEP_1)
	v_add3_u32 v136, v137, v136, 0x7fff
                                        ; implicit-def: $vgpr137
; %bb.69:
	s_and_not1_saveexec_b32 s3, s3
; %bb.70:
	v_and_b32_e32 v136, 0xffff, v137
	v_or_b32_e32 v142, 0x10000, v137
	s_delay_alu instid0(VALU_DEP_2) | instskip(NEXT) | instid1(VALU_DEP_2)
	v_cmp_eq_u32_e32 vcc_lo, 0, v136
	v_cndmask_b32_e32 v136, v142, v137, vcc_lo
; %bb.71:
	s_or_b32 exec_lo, exec_lo, s3
	v_and_b32_e32 v137, 0x7f800000, v138
	s_delay_alu instid0(VALU_DEP_1) | instskip(SKIP_1) | instid1(SALU_CYCLE_1)
	v_cmp_ne_u32_e32 vcc_lo, 0x7f800000, v137
                                        ; implicit-def: $vgpr137
	s_and_saveexec_b32 s3, vcc_lo
	s_xor_b32 s3, exec_lo, s3
; %bb.72:
	v_bfe_u32 v137, v138, 16, 1
	s_delay_alu instid0(VALU_DEP_1)
	v_add3_u32 v137, v138, v137, 0x7fff
                                        ; implicit-def: $vgpr138
; %bb.73:
	s_and_not1_saveexec_b32 s3, s3
; %bb.74:
	v_and_b32_e32 v137, 0xffff, v138
	v_or_b32_e32 v142, 0x10000, v138
	s_delay_alu instid0(VALU_DEP_2) | instskip(NEXT) | instid1(VALU_DEP_2)
	v_cmp_eq_u32_e32 vcc_lo, 0, v137
	v_cndmask_b32_e32 v137, v142, v138, vcc_lo
; %bb.75:
	s_or_b32 exec_lo, exec_lo, s3
	s_delay_alu instid0(VALU_DEP_1)
	v_perm_b32 v136, v137, v136, 0x7060302
	v_perm_b32 v135, v135, v140, 0x7060302
	;; [unrolled: 1-line block ×4, first 2 shown]
	v_lshl_or_b32 v142, v147, 11, v141
	ds_store_b128 v131, v[133:136] offset:1024
	s_waitcnt lgkmcnt(0)
	s_barrier
	buffer_gl0_inv
	ds_load_b128 v[132:135], v142
	ds_load_b128 v[147:150], v142 offset:16
	s_waitcnt lgkmcnt(1)
	v_lshrrev_b32_e32 v136, 16, v132
	s_waitcnt lgkmcnt(0)
	v_lshrrev_b32_e32 v155, 16, v147
	v_lshlrev_b32_e32 v138, 2, v146
	v_lshrrev_b32_e32 v143, 16, v133
	v_lshrrev_b32_e32 v160, 16, v148
	;; [unrolled: 1-line block ×4, first 2 shown]
	v_cmp_eq_u32_e32 vcc_lo, 1, v138
	v_lshrrev_b32_e32 v159, 16, v135
	v_lshrrev_b32_e32 v162, 16, v150
	v_cndmask_b32_e32 v151, v147, v155, vcc_lo
	v_or_b32_e32 v139, 1, v138
	v_cndmask_b32_e32 v140, v132, v136, vcc_lo
	v_cmp_eq_u32_e64 s4, 2, v138
	v_cmp_eq_u32_e64 s7, 3, v138
	;; [unrolled: 1-line block ×5, first 2 shown]
	v_cndmask_b32_e64 v140, v140, v133, s4
	v_cndmask_b32_e64 v151, v151, v148, s4
	v_cmp_eq_u32_e64 s8, 3, v139
	v_cndmask_b32_e64 v152, v132, v136, s3
	v_or_b32_e32 v137, 2, v138
	v_cndmask_b32_e64 v140, v140, v143, s7
	v_cndmask_b32_e64 v151, v151, v160, s7
	;; [unrolled: 1-line block ×4, first 2 shown]
	v_cmp_eq_u32_e64 s10, 5, v138
	v_cndmask_b32_e64 v140, v140, v134, s9
	v_cndmask_b32_e64 v151, v151, v149, s9
	v_cmp_eq_u32_e64 s11, 4, v139
	v_cndmask_b32_e64 v152, v152, v143, s8
	v_cmp_eq_u32_e64 s5, 1, v137
	v_cndmask_b32_e64 v153, v153, v148, s6
	v_cndmask_b32_e64 v140, v140, v144, s10
	v_cmp_eq_u32_e64 s12, 6, v138
	v_cndmask_b32_e64 v152, v152, v134, s11
	;; [unrolled: 3-line block ×3, first 2 shown]
	v_cndmask_b32_e64 v153, v153, v160, s8
	v_cndmask_b32_e64 v140, v140, v135, s12
	v_cmp_eq_u32_e64 s16, 7, v138
	v_cndmask_b32_e64 v152, v152, v144, s13
	v_cndmask_b32_e64 v151, v151, v150, s12
	v_cmp_eq_u32_e64 s17, 6, v139
	v_cmp_eq_u32_e64 s18, 2, v137
	v_cndmask_b32_e64 v153, v153, v149, s11
	v_cndmask_b32_e64 v163, v140, v159, s16
	;; [unrolled: 1-line block ×6, first 2 shown]
	v_cmp_eq_u32_e64 s19, 7, v139
	v_cmp_eq_u32_e64 s20, 3, v137
	;; [unrolled: 1-line block ×4, first 2 shown]
	v_cndmask_b32_e64 v151, v151, v148, s18
	v_cndmask_b32_e64 v165, v152, v159, s19
	;; [unrolled: 1-line block ×4, first 2 shown]
	v_or_b32_e32 v140, 3, v138
	v_cndmask_b32_e64 v157, v151, v160, s20
	v_cmp_eq_u32_e64 s25, 6, v137
	v_cndmask_b32_e64 v166, v152, v150, s17
	v_cndmask_b32_e64 v156, v153, v134, s21
	v_cmp_eq_u32_e64 s22, 1, v140
	ds_load_b128 v[151:154], v142 offset:1024
	v_cmp_eq_u32_e64 s24, 2, v140
	v_cmp_eq_u32_e64 s26, 3, v140
	v_cndmask_b32_e64 v167, v156, v144, s23
	v_cndmask_b32_e64 v132, v132, v136, s22
	;; [unrolled: 1-line block ×4, first 2 shown]
	ds_load_b128 v[155:158], v142 offset:1040
	v_cmp_eq_u32_e64 s27, 4, v140
	v_cndmask_b32_e64 v132, v132, v133, s24
	v_cndmask_b32_e64 v133, v136, v161, s23
	;; [unrolled: 1-line block ×3, first 2 shown]
	v_cmp_eq_u32_e64 s29, 5, v140
	v_cmp_eq_u32_e64 s28, 7, v137
	v_cndmask_b32_e64 v132, v132, v143, s26
	v_cndmask_b32_e64 v143, v167, v135, s25
	;; [unrolled: 1-line block ×3, first 2 shown]
	v_cmp_eq_u32_e64 s30, 6, v140
	v_cndmask_b32_e64 v133, v133, v150, s25
	v_cndmask_b32_e64 v132, v132, v134, s27
	s_waitcnt lgkmcnt(1)
	v_lshrrev_b32_e32 v148, 16, v151
	v_cndmask_b32_e64 v134, v136, v149, s27
	v_cndmask_b32_e64 v136, v143, v159, s28
	v_lshrrev_b32_e32 v149, 16, v152
	v_cndmask_b32_e64 v132, v132, v144, s29
	v_cndmask_b32_e64 v160, v151, v148, s3
	;; [unrolled: 1-line block ×3, first 2 shown]
	s_waitcnt lgkmcnt(0)
	v_lshrrev_b32_e32 v144, 16, v155
	v_cndmask_b32_e64 v147, v166, v162, s19
	v_cndmask_b32_e64 v132, v132, v135, s30
	v_cndmask_b32_e32 v143, v151, v148, vcc_lo
	v_cndmask_b32_e64 v134, v134, v150, s30
	v_cndmask_b32_e32 v161, v155, v144, vcc_lo
	v_cmp_eq_u32_e32 vcc_lo, 7, v140
	v_cndmask_b32_e64 v133, v133, v162, s28
	s_delay_alu instid0(VALU_DEP_4)
	v_cndmask_b32_e32 v134, v134, v162, vcc_lo
	v_cndmask_b32_e32 v132, v132, v159, vcc_lo
	v_cndmask_b32_e64 v143, v143, v152, s4
	v_cndmask_b32_e64 v150, v161, v156, s4
	v_lshrrev_b32_e32 v161, 16, v153
	v_lshrrev_b32_e32 v162, 16, v157
	s_delay_alu instid0(VALU_DEP_4) | instskip(SKIP_2) | instid1(VALU_DEP_3)
	v_cndmask_b32_e64 v135, v143, v149, s7
	v_cndmask_b32_e64 v143, v160, v152, s6
	v_lshrrev_b32_e32 v160, 16, v156
	v_cndmask_b32_e64 v135, v135, v153, s9
	s_delay_alu instid0(VALU_DEP_3) | instskip(NEXT) | instid1(VALU_DEP_3)
	v_cndmask_b32_e64 v143, v143, v149, s8
	v_cndmask_b32_e64 v150, v150, v160, s7
	s_delay_alu instid0(VALU_DEP_3) | instskip(NEXT) | instid1(VALU_DEP_3)
	v_cndmask_b32_e64 v159, v135, v161, s10
	v_cndmask_b32_e64 v143, v143, v153, s11
	s_delay_alu instid0(VALU_DEP_3)
	v_cndmask_b32_e64 v150, v150, v157, s9
	v_perm_b32 v135, v134, v132, 0x5040100
	v_perm_b32 v134, v133, v136, 0x5040100
	;; [unrolled: 1-line block ×3, first 2 shown]
	v_cndmask_b32_e64 v132, v143, v161, s13
	v_cndmask_b32_e64 v143, v159, v154, s12
	v_lshrrev_b32_e32 v159, 16, v154
	v_cndmask_b32_e64 v150, v150, v162, s10
	v_lshrrev_b32_e32 v147, 16, v158
	v_cndmask_b32_e64 v132, v132, v154, s17
	s_delay_alu instid0(VALU_DEP_4) | instskip(NEXT) | instid1(VALU_DEP_4)
	v_cndmask_b32_e64 v136, v143, v159, s16
	v_cndmask_b32_e64 v143, v150, v158, s12
	;; [unrolled: 1-line block ×3, first 2 shown]
	s_delay_alu instid0(VALU_DEP_4)
	v_cndmask_b32_e64 v165, v132, v159, s19
	v_cndmask_b32_e64 v132, v151, v148, s5
	v_cndmask_b32_e64 v148, v151, v148, s22
	v_cndmask_b32_e64 v151, v155, v144, s5
	v_cndmask_b32_e64 v144, v155, v144, s3
	v_cndmask_b32_e64 v150, v150, v156, s24
	v_cndmask_b32_e64 v132, v132, v152, s18
	v_cndmask_b32_e64 v148, v148, v152, s24
	v_cndmask_b32_e64 v151, v151, v156, s18
	v_cndmask_b32_e64 v144, v144, v156, s6
	v_cndmask_b32_e64 v143, v143, v147, s16
	v_cndmask_b32_e64 v132, v132, v149, s20
	v_cndmask_b32_e64 v148, v148, v149, s26
	v_cndmask_b32_e64 v149, v150, v160, s26
	v_cndmask_b32_e64 v150, v151, v160, s20
	v_cndmask_b32_e64 v144, v144, v160, s8
	v_cndmask_b32_e64 v132, v132, v153, s21
	v_cndmask_b32_e64 v148, v148, v153, s27
	v_cndmask_b32_e64 v149, v149, v157, s27
	v_cndmask_b32_e64 v150, v150, v157, s21
	v_cndmask_b32_e64 v144, v144, v157, s11
	v_cndmask_b32_e64 v132, v132, v161, s23
	v_cndmask_b32_e64 v148, v148, v161, s29
	v_cndmask_b32_e64 v149, v149, v162, s29
	v_cndmask_b32_e64 v150, v150, v162, s23
	v_cndmask_b32_e64 v144, v144, v162, s13
	v_cndmask_b32_e64 v132, v132, v154, s25
	v_cndmask_b32_e64 v148, v148, v154, s30
	v_cndmask_b32_e64 v149, v149, v158, s30
	v_cndmask_b32_e64 v150, v150, v158, s25
	v_cndmask_b32_e64 v144, v144, v158, s17
	v_cndmask_b32_e64 v151, v132, v159, s28
	v_cndmask_b32_e32 v148, v148, v159, vcc_lo
	v_cndmask_b32_e32 v149, v149, v147, vcc_lo
	v_cndmask_b32_e64 v152, v150, v147, s28
	v_cndmask_b32_e64 v144, v144, v147, s19
	v_perm_b32 v132, v164, v163, 0x5040100
	v_perm_b32 v147, v143, v136, 0x5040100
	;; [unrolled: 1-line block ×5, first 2 shown]
	s_mov_b32 s3, exec_lo
	ds_store_b128 v131, v[132:135]
	ds_store_b128 v131, v[147:150] offset:1024
	v_cmpx_eq_u32_e32 0, v0
	s_cbranch_execz .LBB686_77
; %bb.76:
	s_load_b128 s[4:7], s[0:1], 0x58
	s_mul_i32 s8, s37, s34
	v_mov_b32_e32 v131, 0
	s_add_i32 s8, s8, s15
	s_delay_alu instid0(SALU_CYCLE_1) | instskip(NEXT) | instid1(SALU_CYCLE_1)
	s_mul_i32 s8, s8, s36
	s_add_i32 s8, s8, s14
	s_delay_alu instid0(SALU_CYCLE_1) | instskip(NEXT) | instid1(SALU_CYCLE_1)
	s_ashr_i32 s9, s8, 31
	s_lshl_b64 s[8:9], s[8:9], 2
	s_waitcnt lgkmcnt(0)
	s_add_u32 s6, s6, s8
	s_addc_u32 s7, s7, s9
	s_add_u32 s4, s4, s8
	s_addc_u32 s5, s5, s9
	s_clause 0x1
	global_store_b32 v131, v129, s[6:7]
	global_store_b32 v131, v130, s[4:5]
.LBB686_77:
	s_or_b32 exec_lo, exec_lo, s3
	s_waitcnt lgkmcnt(0)
	s_waitcnt_vscnt null, 0x0
	s_barrier
	buffer_gl0_inv
	ds_load_b128 v[147:150], v141
	ds_load_b128 v[151:154], v141 offset:16
	ds_load_b128 v[159:162], v141 offset:1040
	;; [unrolled: 1-line block ×3, first 2 shown]
	v_mov_b32_e32 v129, 0
	ds_load_b128 v[167:170], v141 offset:2064
	ds_load_b128 v[163:166], v141 offset:2048
	;; [unrolled: 1-line block ×6, first 2 shown]
	v_mov_b32_e32 v130, v129
	v_mov_b32_e32 v131, v129
	;; [unrolled: 1-line block ×7, first 2 shown]
	s_waitcnt lgkmcnt(8)
	s_delay_alu instid0(VALU_DEP_1)
	v_wmma_f32_16x16x16_bf16 v[129:136], v[121:128], v[147:154], v[129:136]
	ds_load_b128 v[125:128], v141 offset:5136
	ds_load_b128 v[121:124], v141 offset:5120
	s_waitcnt lgkmcnt(8)
	v_wmma_f32_16x16x16_bf16 v[129:136], v[113:120], v[155:162], v[129:136]
	ds_load_b128 v[117:120], v141 offset:6160
	ds_load_b128 v[113:116], v141 offset:6144
	s_waitcnt lgkmcnt(8)
	;; [unrolled: 4-line block ×7, first 2 shown]
	v_wmma_f32_16x16x16_bf16 v[129:136], v[65:72], v[105:112], v[129:136]
	s_waitcnt lgkmcnt(6)
	s_delay_alu instid0(VALU_DEP_1)
	v_wmma_f32_16x16x16_bf16 v[129:136], v[57:64], v[97:104], v[129:136]
	ds_load_b128 v[61:64], v141 offset:12304
	ds_load_b128 v[57:60], v141 offset:12288
	s_waitcnt lgkmcnt(6)
	v_wmma_f32_16x16x16_bf16 v[129:136], v[49:56], v[89:96], v[129:136]
	ds_load_b128 v[53:56], v141 offset:13328
	ds_load_b128 v[49:52], v141 offset:13312
	s_waitcnt lgkmcnt(6)
	;; [unrolled: 4-line block ×4, first 2 shown]
	v_wmma_f32_16x16x16_bf16 v[129:136], v[1:8], v[57:64], v[129:136]
	s_waitcnt lgkmcnt(4)
	s_delay_alu instid0(VALU_DEP_1) | instskip(SKIP_1) | instid1(VALU_DEP_1)
	v_wmma_f32_16x16x16_bf16 v[129:136], v[25:32], v[49:56], v[129:136]
	s_waitcnt lgkmcnt(2)
	v_wmma_f32_16x16x16_bf16 v[129:136], v[33:40], v[41:48], v[129:136]
	s_waitcnt lgkmcnt(0)
	s_delay_alu instid0(VALU_DEP_1) | instskip(NEXT) | instid1(VALU_DEP_1)
	v_wmma_f32_16x16x16_bf16 v[129:136], v[9:16], v[17:24], v[129:136]
	v_and_b32_e32 v1, 0x7f800000, v129
	s_delay_alu instid0(VALU_DEP_1) | instskip(SKIP_1) | instid1(SALU_CYCLE_1)
	v_cmp_ne_u32_e32 vcc_lo, 0x7f800000, v1
                                        ; implicit-def: $vgpr1
	s_and_saveexec_b32 s3, vcc_lo
	s_xor_b32 s3, exec_lo, s3
; %bb.78:
	v_bfe_u32 v1, v129, 16, 1
	s_delay_alu instid0(VALU_DEP_1)
	v_add3_u32 v1, v129, v1, 0x7fff
; %bb.79:
	s_and_not1_saveexec_b32 s3, s3
; %bb.80:
	v_and_b32_e32 v1, 0xffff, v129
	v_or_b32_e32 v2, 0x10000, v129
	s_delay_alu instid0(VALU_DEP_2) | instskip(NEXT) | instid1(VALU_DEP_2)
	v_cmp_eq_u32_e32 vcc_lo, 0, v1
	v_cndmask_b32_e32 v1, v2, v129, vcc_lo
; %bb.81:
	s_or_b32 exec_lo, exec_lo, s3
	v_and_b32_e32 v2, 0x7f800000, v130
	s_delay_alu instid0(VALU_DEP_1) | instskip(SKIP_1) | instid1(SALU_CYCLE_1)
	v_cmp_ne_u32_e32 vcc_lo, 0x7f800000, v2
                                        ; implicit-def: $vgpr2
	s_and_saveexec_b32 s3, vcc_lo
	s_xor_b32 s3, exec_lo, s3
; %bb.82:
	v_bfe_u32 v2, v130, 16, 1
	s_delay_alu instid0(VALU_DEP_1)
	v_add3_u32 v2, v130, v2, 0x7fff
; %bb.83:
	s_and_not1_saveexec_b32 s3, s3
; %bb.84:
	v_and_b32_e32 v2, 0xffff, v130
	v_or_b32_e32 v3, 0x10000, v130
	s_delay_alu instid0(VALU_DEP_2) | instskip(NEXT) | instid1(VALU_DEP_2)
	v_cmp_eq_u32_e32 vcc_lo, 0, v2
	v_cndmask_b32_e32 v2, v3, v130, vcc_lo
; %bb.85:
	s_or_b32 exec_lo, exec_lo, s3
	v_and_b32_e32 v3, 0x7f800000, v131
	s_delay_alu instid0(VALU_DEP_1) | instskip(SKIP_1) | instid1(SALU_CYCLE_1)
	v_cmp_ne_u32_e32 vcc_lo, 0x7f800000, v3
                                        ; implicit-def: $vgpr3
	s_and_saveexec_b32 s3, vcc_lo
	s_xor_b32 s3, exec_lo, s3
; %bb.86:
	v_bfe_u32 v3, v131, 16, 1
	s_delay_alu instid0(VALU_DEP_1)
	v_add3_u32 v3, v131, v3, 0x7fff
; %bb.87:
	s_and_not1_saveexec_b32 s3, s3
; %bb.88:
	v_and_b32_e32 v3, 0xffff, v131
	v_or_b32_e32 v4, 0x10000, v131
	s_delay_alu instid0(VALU_DEP_2) | instskip(NEXT) | instid1(VALU_DEP_2)
	v_cmp_eq_u32_e32 vcc_lo, 0, v3
	v_cndmask_b32_e32 v3, v4, v131, vcc_lo
; %bb.89:
	s_or_b32 exec_lo, exec_lo, s3
	v_and_b32_e32 v4, 0x7f800000, v132
	s_delay_alu instid0(VALU_DEP_1) | instskip(SKIP_1) | instid1(SALU_CYCLE_1)
	v_cmp_ne_u32_e32 vcc_lo, 0x7f800000, v4
                                        ; implicit-def: $vgpr4
	s_and_saveexec_b32 s3, vcc_lo
	s_xor_b32 s3, exec_lo, s3
; %bb.90:
	v_bfe_u32 v4, v132, 16, 1
	s_delay_alu instid0(VALU_DEP_1)
	v_add3_u32 v4, v132, v4, 0x7fff
; %bb.91:
	s_and_not1_saveexec_b32 s3, s3
; %bb.92:
	v_and_b32_e32 v4, 0xffff, v132
	v_or_b32_e32 v5, 0x10000, v132
	s_delay_alu instid0(VALU_DEP_2) | instskip(NEXT) | instid1(VALU_DEP_2)
	v_cmp_eq_u32_e32 vcc_lo, 0, v4
	v_cndmask_b32_e32 v4, v5, v132, vcc_lo
; %bb.93:
	s_or_b32 exec_lo, exec_lo, s3
	v_and_b32_e32 v5, 0x7f800000, v133
	s_delay_alu instid0(VALU_DEP_1) | instskip(SKIP_1) | instid1(SALU_CYCLE_1)
	v_cmp_ne_u32_e32 vcc_lo, 0x7f800000, v5
                                        ; implicit-def: $vgpr5
	s_and_saveexec_b32 s3, vcc_lo
	s_xor_b32 s3, exec_lo, s3
; %bb.94:
	v_bfe_u32 v5, v133, 16, 1
	s_delay_alu instid0(VALU_DEP_1)
	v_add3_u32 v5, v133, v5, 0x7fff
; %bb.95:
	s_and_not1_saveexec_b32 s3, s3
; %bb.96:
	v_and_b32_e32 v5, 0xffff, v133
	v_or_b32_e32 v6, 0x10000, v133
	s_delay_alu instid0(VALU_DEP_2) | instskip(NEXT) | instid1(VALU_DEP_2)
	v_cmp_eq_u32_e32 vcc_lo, 0, v5
	v_cndmask_b32_e32 v5, v6, v133, vcc_lo
; %bb.97:
	s_or_b32 exec_lo, exec_lo, s3
	v_and_b32_e32 v6, 0x7f800000, v134
	s_delay_alu instid0(VALU_DEP_1) | instskip(SKIP_1) | instid1(SALU_CYCLE_1)
	v_cmp_ne_u32_e32 vcc_lo, 0x7f800000, v6
                                        ; implicit-def: $vgpr6
	s_and_saveexec_b32 s3, vcc_lo
	s_xor_b32 s3, exec_lo, s3
; %bb.98:
	v_bfe_u32 v6, v134, 16, 1
	s_delay_alu instid0(VALU_DEP_1)
	v_add3_u32 v6, v134, v6, 0x7fff
; %bb.99:
	s_and_not1_saveexec_b32 s3, s3
; %bb.100:
	v_and_b32_e32 v6, 0xffff, v134
	v_or_b32_e32 v7, 0x10000, v134
	s_delay_alu instid0(VALU_DEP_2) | instskip(NEXT) | instid1(VALU_DEP_2)
	v_cmp_eq_u32_e32 vcc_lo, 0, v6
	v_cndmask_b32_e32 v6, v7, v134, vcc_lo
; %bb.101:
	s_or_b32 exec_lo, exec_lo, s3
	v_and_b32_e32 v7, 0x7f800000, v135
	s_delay_alu instid0(VALU_DEP_1) | instskip(SKIP_1) | instid1(SALU_CYCLE_1)
	v_cmp_ne_u32_e32 vcc_lo, 0x7f800000, v7
                                        ; implicit-def: $vgpr7
	s_and_saveexec_b32 s3, vcc_lo
	s_xor_b32 s3, exec_lo, s3
; %bb.102:
	v_bfe_u32 v7, v135, 16, 1
	s_delay_alu instid0(VALU_DEP_1)
	v_add3_u32 v7, v135, v7, 0x7fff
; %bb.103:
	s_and_not1_saveexec_b32 s3, s3
; %bb.104:
	v_and_b32_e32 v7, 0xffff, v135
	v_or_b32_e32 v8, 0x10000, v135
	s_delay_alu instid0(VALU_DEP_2) | instskip(NEXT) | instid1(VALU_DEP_2)
	v_cmp_eq_u32_e32 vcc_lo, 0, v7
	v_cndmask_b32_e32 v7, v8, v135, vcc_lo
; %bb.105:
	s_or_b32 exec_lo, exec_lo, s3
	v_and_b32_e32 v8, 0x7f800000, v136
	s_delay_alu instid0(VALU_DEP_1) | instskip(SKIP_1) | instid1(SALU_CYCLE_1)
	v_cmp_ne_u32_e32 vcc_lo, 0x7f800000, v8
                                        ; implicit-def: $vgpr8
	s_and_saveexec_b32 s3, vcc_lo
	s_xor_b32 s3, exec_lo, s3
; %bb.106:
	v_bfe_u32 v8, v136, 16, 1
	s_delay_alu instid0(VALU_DEP_1)
	v_add3_u32 v8, v136, v8, 0x7fff
                                        ; implicit-def: $vgpr129_vgpr130_vgpr131_vgpr132_vgpr133_vgpr134_vgpr135_vgpr136
; %bb.107:
	s_and_not1_saveexec_b32 s3, s3
; %bb.108:
	v_and_b32_e32 v8, 0xffff, v136
	v_or_b32_e32 v9, 0x10000, v136
	s_delay_alu instid0(VALU_DEP_2) | instskip(NEXT) | instid1(VALU_DEP_2)
	v_cmp_eq_u32_e32 vcc_lo, 0, v8
	v_cndmask_b32_e32 v8, v9, v136, vcc_lo
; %bb.109:
	s_or_b32 exec_lo, exec_lo, s3
	s_delay_alu instid0(VALU_DEP_1)
	v_perm_b32 v7, v8, v7, 0x7060302
	v_perm_b32 v6, v6, v5, 0x7060302
	;; [unrolled: 1-line block ×4, first 2 shown]
	v_lshl_or_b32 v9, v146, 4, v142
	s_barrier
	buffer_gl0_inv
	v_cmp_eq_u32_e32 vcc_lo, 1, v138
	ds_store_b128 v9, v[4:7]
	s_waitcnt lgkmcnt(0)
	s_barrier
	buffer_gl0_inv
	ds_load_b128 v[1:4], v142
	ds_load_b128 v[5:8], v142 offset:16
	v_cmp_eq_u32_e64 s4, 2, v138
	v_cmp_eq_u32_e64 s3, 1, v139
	;; [unrolled: 1-line block ×5, first 2 shown]
	s_xor_b32 s2, s2, -1
	s_waitcnt lgkmcnt(1)
	v_lshrrev_b32_e32 v10, 16, v1
	s_waitcnt lgkmcnt(0)
	v_lshrrev_b32_e32 v14, 16, v5
	v_lshrrev_b32_e32 v15, 16, v6
	;; [unrolled: 1-line block ×4, first 2 shown]
	v_cndmask_b32_e64 v20, v1, v10, s3
	v_cndmask_b32_e32 v19, v5, v14, vcc_lo
	v_cndmask_b32_e64 v21, v5, v14, s3
	v_lshrrev_b32_e32 v16, 16, v7
	v_cmp_eq_u32_e64 s3, 1, v137
	v_lshrrev_b32_e32 v13, 16, v4
	v_cndmask_b32_e64 v19, v19, v6, s4
	v_lshrrev_b32_e32 v17, 16, v8
	s_delay_alu instid0(VALU_DEP_4) | instskip(SKIP_1) | instid1(VALU_DEP_4)
	v_cndmask_b32_e64 v22, v1, v10, s3
	v_cndmask_b32_e64 v23, v5, v14, s3
	;; [unrolled: 1-line block ×3, first 2 shown]
	v_cndmask_b32_e32 v18, v1, v10, vcc_lo
	v_cmp_eq_u32_e32 vcc_lo, 2, v139
	v_cmp_eq_u32_e64 s3, 2, v140
	v_cndmask_b32_e64 v22, v22, v2, s7
	v_cndmask_b32_e32 v20, v20, v2, vcc_lo
	v_cndmask_b32_e32 v21, v21, v6, vcc_lo
	v_cmp_eq_u32_e32 vcc_lo, 4, v138
	v_cndmask_b32_e32 v19, v19, v7, vcc_lo
	v_cndmask_b32_e64 v18, v18, v2, s4
	v_cmp_eq_u32_e64 s4, 3, v139
	s_delay_alu instid0(VALU_DEP_2) | instskip(NEXT) | instid1(VALU_DEP_2)
	v_cndmask_b32_e64 v18, v18, v11, s5
	v_cndmask_b32_e64 v21, v21, v15, s4
	v_cmp_eq_u32_e64 s5, 5, v138
	s_delay_alu instid0(VALU_DEP_3) | instskip(SKIP_1) | instid1(VALU_DEP_3)
	v_cndmask_b32_e32 v18, v18, v3, vcc_lo
	v_cmp_eq_u32_e32 vcc_lo, 4, v139
	v_cndmask_b32_e64 v19, v19, v16, s5
	s_delay_alu instid0(VALU_DEP_3) | instskip(SKIP_4) | instid1(VALU_DEP_3)
	v_cndmask_b32_e64 v18, v18, v12, s5
	v_cndmask_b32_e32 v21, v21, v7, vcc_lo
	v_cndmask_b32_e64 v20, v20, v11, s4
	v_cmp_eq_u32_e64 s4, 5, v139
	v_cmp_eq_u32_e64 s5, 6, v138
	v_cndmask_b32_e32 v20, v20, v3, vcc_lo
	s_delay_alu instid0(VALU_DEP_3) | instskip(SKIP_1) | instid1(VALU_DEP_4)
	v_cndmask_b32_e64 v21, v21, v16, s4
	v_cmp_eq_u32_e32 vcc_lo, 6, v139
	v_cndmask_b32_e64 v18, v18, v4, s5
	v_cndmask_b32_e64 v19, v19, v8, s5
	;; [unrolled: 1-line block ×3, first 2 shown]
	v_cmp_eq_u32_e64 s4, 1, v140
	v_cmp_eq_u32_e64 s5, 7, v138
	s_delay_alu instid0(VALU_DEP_3) | instskip(NEXT) | instid1(VALU_DEP_3)
	v_cndmask_b32_e32 v20, v20, v4, vcc_lo
	v_cndmask_b32_e64 v1, v1, v10, s4
	v_cndmask_b32_e64 v5, v5, v14, s4
	v_cmp_eq_u32_e64 s4, 3, v137
	v_cndmask_b32_e64 v14, v23, v6, s7
	v_cmp_eq_u32_e64 s7, 3, v140
	v_cndmask_b32_e64 v1, v1, v2, s3
	v_cndmask_b32_e64 v2, v5, v6, s3
	;; [unrolled: 1-line block ×3, first 2 shown]
	v_cmp_eq_u32_e64 s3, 4, v137
	v_cndmask_b32_e64 v6, v14, v15, s4
	v_cndmask_b32_e64 v1, v1, v11, s7
	v_cmp_eq_u32_e64 s4, 4, v140
	v_cndmask_b32_e64 v2, v2, v15, s7
	v_cndmask_b32_e64 v5, v10, v3, s3
	;; [unrolled: 3-line block ×3, first 2 shown]
	v_cndmask_b32_e64 v2, v2, v7, s4
	v_cmp_eq_u32_e64 s3, 5, v140
	v_cndmask_b32_e64 v5, v5, v12, s7
	v_cmp_eq_u32_e64 s4, 6, v137
	;; [unrolled: 2-line block ×3, first 2 shown]
	v_cndmask_b32_e64 v1, v1, v12, s3
	v_cndmask_b32_e64 v2, v2, v16, s3
	;; [unrolled: 1-line block ×4, first 2 shown]
	v_cmp_eq_u32_e64 s3, 7, v140
	v_cndmask_b32_e64 v1, v1, v4, s7
	v_cndmask_b32_e64 v2, v2, v8, s7
	v_cmp_eq_u32_e64 s4, 7, v137
	v_cndmask_b32_e32 v4, v21, v8, vcc_lo
	v_cndmask_b32_e64 v18, v18, v13, s5
	v_cndmask_b32_e64 v20, v20, v13, s6
	v_cndmask_b32_e64 v1, v1, v13, s3
	v_cndmask_b32_e64 v5, v5, v13, s4
	v_cndmask_b32_e64 v2, v2, v17, s3
	v_cndmask_b32_e64 v3, v3, v17, s4
	v_cndmask_b32_e64 v6, v4, v17, s6
	v_cndmask_b32_e64 v7, v19, v17, s5
	v_cmp_gt_u32_e32 vcc_lo, 32, v0
	v_perm_b32 v4, v2, v1, 0x5040100
	v_perm_b32 v3, v3, v5, 0x5040100
	;; [unrolled: 1-line block ×4, first 2 shown]
	s_and_b32 s2, vcc_lo, s2
	ds_store_b128 v9, v[1:4]
	s_waitcnt lgkmcnt(0)
	s_barrier
	buffer_gl0_inv
	s_and_saveexec_b32 s3, s2
	s_cbranch_execz .LBB686_2
; %bb.110:
	s_load_b64 s[0:1], s[0:1], 0x68
	v_lshlrev_b32_e32 v1, 10, v0
	v_and_b32_e32 v0, 1, v0
	v_lshlrev_b32_e32 v2, 6, v146
	s_lshl_b32 s4, s36, 7
	v_lshlrev_b32_e32 v4, 4, v145
	v_and_b32_e32 v1, 0x3800, v1
	v_lshlrev_b32_e32 v0, 4, v0
	s_mul_i32 s2, s4, s34
	s_delay_alu instid0(SALU_CYCLE_1) | instskip(NEXT) | instid1(VALU_DEP_1)
	s_mul_i32 s2, s2, s37
	v_or3_b32 v0, v1, v2, v0
	s_ashr_i32 s3, s2, 31
	s_delay_alu instid0(SALU_CYCLE_1)
	s_lshl_b64 s[2:3], s[2:3], 1
	ds_load_b128 v[0:3], v0
	s_waitcnt lgkmcnt(0)
	s_add_u32 s5, s0, s2
	s_addc_u32 s3, s1, s3
	s_lshl_b32 s0, s14, 7
	s_mul_i32 s2, s4, s15
	s_ashr_i32 s1, s0, 31
	s_delay_alu instid0(SALU_CYCLE_1) | instskip(NEXT) | instid1(SALU_CYCLE_1)
	s_lshl_b64 s[0:1], s[0:1], 1
	s_add_u32 s4, s5, s0
	s_addc_u32 s5, s3, s1
	s_ashr_i32 s3, s2, 31
	s_delay_alu instid0(SALU_CYCLE_1) | instskip(NEXT) | instid1(SALU_CYCLE_1)
	s_lshl_b64 s[0:1], s[2:3], 1
	s_add_u32 s0, s4, s0
	s_addc_u32 s1, s5, s1
	global_store_b128 v4, v[0:3], s[0:1]
	s_nop 0
	s_sendmsg sendmsg(MSG_DEALLOC_VGPRS)
	s_endpgm
	.section	.rodata,"a",@progbits
	.p2align	6, 0x0
	.amdhsa_kernel _Z39paged_attention_ll4mi_QKV_mfma16_kernelI14__hip_bfloat16S0_LN4vllm18Fp8KVCacheDataTypeE0ES0_Li16ELi128ELi256ELb0ELi1EL8MFMAType0EEvPKT_PKT0_S9_ifPKiSB_SB_iPKfiiiPfSE_PS4_PT2_iSD_SD_
		.amdhsa_group_segment_fixed_size 17472
		.amdhsa_private_segment_fixed_size 0
		.amdhsa_kernarg_size 400
		.amdhsa_user_sgpr_count 13
		.amdhsa_user_sgpr_dispatch_ptr 0
		.amdhsa_user_sgpr_queue_ptr 0
		.amdhsa_user_sgpr_kernarg_segment_ptr 1
		.amdhsa_user_sgpr_dispatch_id 0
		.amdhsa_user_sgpr_private_segment_size 0
		.amdhsa_wavefront_size32 1
		.amdhsa_uses_dynamic_stack 0
		.amdhsa_enable_private_segment 0
		.amdhsa_system_sgpr_workgroup_id_x 1
		.amdhsa_system_sgpr_workgroup_id_y 1
		.amdhsa_system_sgpr_workgroup_id_z 1
		.amdhsa_system_sgpr_workgroup_info 0
		.amdhsa_system_vgpr_workitem_id 0
		.amdhsa_next_free_vgpr 201
		.amdhsa_next_free_sgpr 98
		.amdhsa_reserve_vcc 1
		.amdhsa_float_round_mode_32 0
		.amdhsa_float_round_mode_16_64 0
		.amdhsa_float_denorm_mode_32 3
		.amdhsa_float_denorm_mode_16_64 3
		.amdhsa_dx10_clamp 1
		.amdhsa_ieee_mode 1
		.amdhsa_fp16_overflow 0
		.amdhsa_workgroup_processor_mode 1
		.amdhsa_memory_ordered 1
		.amdhsa_forward_progress 0
		.amdhsa_shared_vgpr_count 0
		.amdhsa_exception_fp_ieee_invalid_op 0
		.amdhsa_exception_fp_denorm_src 0
		.amdhsa_exception_fp_ieee_div_zero 0
		.amdhsa_exception_fp_ieee_overflow 0
		.amdhsa_exception_fp_ieee_underflow 0
		.amdhsa_exception_fp_ieee_inexact 0
		.amdhsa_exception_int_div_zero 0
	.end_amdhsa_kernel
	.section	.text._Z39paged_attention_ll4mi_QKV_mfma16_kernelI14__hip_bfloat16S0_LN4vllm18Fp8KVCacheDataTypeE0ES0_Li16ELi128ELi256ELb0ELi1EL8MFMAType0EEvPKT_PKT0_S9_ifPKiSB_SB_iPKfiiiPfSE_PS4_PT2_iSD_SD_,"axG",@progbits,_Z39paged_attention_ll4mi_QKV_mfma16_kernelI14__hip_bfloat16S0_LN4vllm18Fp8KVCacheDataTypeE0ES0_Li16ELi128ELi256ELb0ELi1EL8MFMAType0EEvPKT_PKT0_S9_ifPKiSB_SB_iPKfiiiPfSE_PS4_PT2_iSD_SD_,comdat
.Lfunc_end686:
	.size	_Z39paged_attention_ll4mi_QKV_mfma16_kernelI14__hip_bfloat16S0_LN4vllm18Fp8KVCacheDataTypeE0ES0_Li16ELi128ELi256ELb0ELi1EL8MFMAType0EEvPKT_PKT0_S9_ifPKiSB_SB_iPKfiiiPfSE_PS4_PT2_iSD_SD_, .Lfunc_end686-_Z39paged_attention_ll4mi_QKV_mfma16_kernelI14__hip_bfloat16S0_LN4vllm18Fp8KVCacheDataTypeE0ES0_Li16ELi128ELi256ELb0ELi1EL8MFMAType0EEvPKT_PKT0_S9_ifPKiSB_SB_iPKfiiiPfSE_PS4_PT2_iSD_SD_
                                        ; -- End function
	.section	.AMDGPU.csdata,"",@progbits
; Kernel info:
; codeLenInByte = 10048
; NumSgprs: 100
; NumVgprs: 201
; ScratchSize: 0
; MemoryBound: 1
; FloatMode: 240
; IeeeMode: 1
; LDSByteSize: 17472 bytes/workgroup (compile time only)
; SGPRBlocks: 12
; VGPRBlocks: 25
; NumSGPRsForWavesPerEU: 100
; NumVGPRsForWavesPerEU: 201
; Occupancy: 7
; WaveLimiterHint : 1
; COMPUTE_PGM_RSRC2:SCRATCH_EN: 0
; COMPUTE_PGM_RSRC2:USER_SGPR: 13
; COMPUTE_PGM_RSRC2:TRAP_HANDLER: 0
; COMPUTE_PGM_RSRC2:TGID_X_EN: 1
; COMPUTE_PGM_RSRC2:TGID_Y_EN: 1
; COMPUTE_PGM_RSRC2:TGID_Z_EN: 1
; COMPUTE_PGM_RSRC2:TIDIG_COMP_CNT: 0
	.section	.text._Z39paged_attention_ll4mi_QKV_mfma16_kernelI14__hip_bfloat16S0_LN4vllm18Fp8KVCacheDataTypeE0ES0_Li16ELi128ELi256ELb0ELi2EL8MFMAType0EEvPKT_PKT0_S9_ifPKiSB_SB_iPKfiiiPfSE_PS4_PT2_iSD_SD_,"axG",@progbits,_Z39paged_attention_ll4mi_QKV_mfma16_kernelI14__hip_bfloat16S0_LN4vllm18Fp8KVCacheDataTypeE0ES0_Li16ELi128ELi256ELb0ELi2EL8MFMAType0EEvPKT_PKT0_S9_ifPKiSB_SB_iPKfiiiPfSE_PS4_PT2_iSD_SD_,comdat
	.protected	_Z39paged_attention_ll4mi_QKV_mfma16_kernelI14__hip_bfloat16S0_LN4vllm18Fp8KVCacheDataTypeE0ES0_Li16ELi128ELi256ELb0ELi2EL8MFMAType0EEvPKT_PKT0_S9_ifPKiSB_SB_iPKfiiiPfSE_PS4_PT2_iSD_SD_ ; -- Begin function _Z39paged_attention_ll4mi_QKV_mfma16_kernelI14__hip_bfloat16S0_LN4vllm18Fp8KVCacheDataTypeE0ES0_Li16ELi128ELi256ELb0ELi2EL8MFMAType0EEvPKT_PKT0_S9_ifPKiSB_SB_iPKfiiiPfSE_PS4_PT2_iSD_SD_
	.globl	_Z39paged_attention_ll4mi_QKV_mfma16_kernelI14__hip_bfloat16S0_LN4vllm18Fp8KVCacheDataTypeE0ES0_Li16ELi128ELi256ELb0ELi2EL8MFMAType0EEvPKT_PKT0_S9_ifPKiSB_SB_iPKfiiiPfSE_PS4_PT2_iSD_SD_
	.p2align	8
	.type	_Z39paged_attention_ll4mi_QKV_mfma16_kernelI14__hip_bfloat16S0_LN4vllm18Fp8KVCacheDataTypeE0ES0_Li16ELi128ELi256ELb0ELi2EL8MFMAType0EEvPKT_PKT0_S9_ifPKiSB_SB_iPKfiiiPfSE_PS4_PT2_iSD_SD_,@function
_Z39paged_attention_ll4mi_QKV_mfma16_kernelI14__hip_bfloat16S0_LN4vllm18Fp8KVCacheDataTypeE0ES0_Li16ELi128ELi256ELb0ELi2EL8MFMAType0EEvPKT_PKT0_S9_ifPKiSB_SB_iPKfiiiPfSE_PS4_PT2_iSD_SD_: ; @_Z39paged_attention_ll4mi_QKV_mfma16_kernelI14__hip_bfloat16S0_LN4vllm18Fp8KVCacheDataTypeE0ES0_Li16ELi128ELi256ELb0ELi2EL8MFMAType0EEvPKT_PKT0_S9_ifPKiSB_SB_iPKfiiiPfSE_PS4_PT2_iSD_SD_
; %bb.0:
	s_load_b64 s[2:3], s[0:1], 0x30
	s_mov_b32 s30, s13
	s_waitcnt lgkmcnt(0)
	s_cmp_lg_u64 s[2:3], 0
	s_cselect_b32 s8, -1, 0
	s_ashr_i32 s31, s13, 31
	s_cmp_eq_u64 s[2:3], 0
	s_cbranch_scc1 .LBB687_3
; %bb.1:
	s_lshl_b64 s[4:5], s[30:31], 2
	s_delay_alu instid0(SALU_CYCLE_1) | instskip(SKIP_4) | instid1(SALU_CYCLE_1)
	s_add_u32 s4, s2, s4
	s_addc_u32 s5, s3, s5
	s_load_b64 s[4:5], s[4:5], 0x0
	s_waitcnt lgkmcnt(0)
	s_sub_i32 s4, s5, s4
	s_cmp_eq_u32 s4, 1
	s_cselect_b32 s4, -1, 0
	s_delay_alu instid0(SALU_CYCLE_1)
	s_and_not1_b32 vcc_lo, exec_lo, s4
	s_cbranch_vccz .LBB687_4
.LBB687_2:
	s_endpgm
.LBB687_3:
.LBB687_4:
	s_load_b64 s[4:5], s[0:1], 0x28
	s_lshl_b64 s[6:7], s[30:31], 2
	s_waitcnt lgkmcnt(0)
	s_add_u32 s4, s4, s6
	s_addc_u32 s5, s5, s7
	s_lshl_b32 s34, s14, 8
	s_load_b32 s33, s[4:5], 0x0
	s_waitcnt lgkmcnt(0)
	s_cmp_ge_i32 s34, s33
	s_cbranch_scc1 .LBB687_2
; %bb.5:
	s_clause 0x1
	s_load_b128 s[20:23], s[0:1], 0x8
	s_load_b64 s[4:5], s[0:1], 0x20
	s_and_not1_b32 vcc_lo, exec_lo, s8
	s_cbranch_vccnz .LBB687_7
; %bb.6:
	s_add_u32 s2, s2, s6
	s_addc_u32 s3, s3, s7
	s_load_b32 s3, s[2:3], 0x0
	s_branch .LBB687_8
.LBB687_7:
	s_mov_b32 s3, s30
.LBB687_8:
	s_load_b128 s[16:19], s[0:1], 0x48
	v_and_b32_e32 v150, 15, v0
	v_bfe_u32 v149, v0, 4, 1
	s_lshl_b32 s31, s15, 1
	v_and_b32_e32 v151, 31, v0
	v_and_b32_e32 v148, 1, v0
	v_lshlrev_b32_e32 v1, 3, v150
	v_cmp_gt_u32_e64 s2, 32, v0
	v_or_b32_e32 v147, s31, v149
	v_lshlrev_b32_e32 v146, 6, v149
	s_delay_alu instid0(VALU_DEP_4) | instskip(NEXT) | instid1(VALU_DEP_4)
	v_lshlrev_b32_e32 v145, 1, v1
	s_and_saveexec_b32 s6, s2
	s_cbranch_execz .LBB687_10
; %bb.9:
	s_load_b64 s[8:9], s[0:1], 0x0
	v_lshlrev_b32_e32 v1, 7, v147
	s_waitcnt lgkmcnt(0)
	s_mul_hi_i32 s11, s3, s16
	s_mul_i32 s10, s3, s16
	v_lshlrev_b32_e32 v5, 10, v150
	s_lshl_b64 s[10:11], s[10:11], 1
	v_ashrrev_i32_e32 v2, 31, v1
	v_lshlrev_b32_e32 v6, 10, v148
	s_delay_alu instid0(VALU_DEP_3) | instskip(NEXT) | instid1(VALU_DEP_3)
	v_and_b32_e32 v5, 0x3800, v5
	v_lshlrev_b64 v[1:2], 1, v[1:2]
	s_delay_alu instid0(VALU_DEP_2) | instskip(SKIP_2) | instid1(VALU_DEP_2)
	v_or3_b32 v5, v5, v6, v146
	s_add_u32 s3, s8, s10
	s_addc_u32 s7, s9, s11
	v_add_co_u32 v1, vcc_lo, s3, v1
	s_delay_alu instid0(VALU_DEP_3) | instskip(NEXT) | instid1(VALU_DEP_2)
	v_add_co_ci_u32_e32 v2, vcc_lo, s7, v2, vcc_lo
	v_add_co_u32 v1, vcc_lo, v1, v145
	s_delay_alu instid0(VALU_DEP_2)
	v_add_co_ci_u32_e32 v2, vcc_lo, 0, v2, vcc_lo
	global_load_b128 v[1:4], v[1:2], off
	s_waitcnt vmcnt(0)
	ds_store_b128 v5, v[1:4]
.LBB687_10:
	s_or_b32 exec_lo, exec_lo, s6
	v_and_b32_e32 v1, 0xef, v0
	s_waitcnt lgkmcnt(0)
	s_add_i32 s3, s33, 15
	s_clause 0x1
	s_load_b32 s6, s[0:1], 0x38
	s_load_b32 s35, s[0:1], 0x1c
	s_ashr_i32 s7, s3, 31
	v_add_nc_u32_e32 v1, s34, v1
	s_lshr_b32 s7, s7, 28
	s_waitcnt lgkmcnt(0)
	s_add_i32 s3, s3, s7
	s_barrier
	v_ashrrev_i32_e32 v2, 31, v1
	v_cmp_gt_i32_e32 vcc_lo, s33, v1
	s_ashr_i32 s3, s3, 4
	buffer_gl0_inv
	s_add_i32 s3, s3, -1
	v_lshrrev_b32_e32 v3, 28, v2
	v_or_b32_e32 v2, 16, v1
	v_lshlrev_b32_e32 v153, 6, v148
	v_lshrrev_b32_e32 v152, 5, v0
	v_lshlrev_b32_e32 v125, 5, v150
	v_add_nc_u32_e32 v4, v1, v3
	v_add_nc_u32_e32 v3, v2, v3
	s_mul_i32 s6, s30, s6
	s_delay_alu instid0(SALU_CYCLE_1) | instskip(NEXT) | instid1(VALU_DEP_2)
	s_ashr_i32 s7, s6, 31
	v_ashrrev_i32_e32 v4, 4, v4
	s_delay_alu instid0(VALU_DEP_2) | instskip(SKIP_1) | instid1(SALU_CYCLE_1)
	v_ashrrev_i32_e32 v3, 4, v3
	s_lshl_b64 s[6:7], s[6:7], 2
	s_add_u32 s16, s4, s6
	s_delay_alu instid0(VALU_DEP_2) | instskip(SKIP_3) | instid1(SALU_CYCLE_1)
	v_cndmask_b32_e32 v1, s3, v4, vcc_lo
	v_cmp_gt_i32_e32 vcc_lo, s33, v2
	s_addc_u32 s36, s5, s7
	s_mul_i32 s4, s15, s18
	s_ashr_i32 s5, s4, 31
	v_cndmask_b32_e32 v3, s3, v3, vcc_lo
	v_ashrrev_i32_e32 v2, 31, v1
	s_lshl_b64 s[12:13], s[4:5], 1
	s_delay_alu instid0(SALU_CYCLE_1) | instskip(NEXT) | instid1(VALU_DEP_2)
	s_add_u32 s26, s20, s12
	v_ashrrev_i32_e32 v4, 31, v3
	s_delay_alu instid0(VALU_DEP_2) | instskip(SKIP_2) | instid1(VALU_DEP_2)
	v_lshlrev_b64 v[1:2], 2, v[1:2]
	s_addc_u32 s27, s21, s13
	s_lshl_b32 s4, s14, 4
	v_lshlrev_b64 v[3:4], 2, v[3:4]
	s_ashr_i32 s5, s4, 31
	s_delay_alu instid0(VALU_DEP_2) | instskip(SKIP_1) | instid1(VALU_DEP_3)
	v_add_co_u32 v1, vcc_lo, s16, v1
	v_add_co_ci_u32_e32 v2, vcc_lo, s36, v2, vcc_lo
	v_add_co_u32 v3, vcc_lo, s16, v3
	s_delay_alu instid0(VALU_DEP_4)
	v_add_co_ci_u32_e32 v4, vcc_lo, s36, v4, vcc_lo
	s_lshl_b64 s[4:5], s[4:5], 2
	s_clause 0x1
	global_load_b32 v5, v[1:2], off
	global_load_b32 v6, v[3:4], off
	s_add_u32 s4, s16, s4
	s_addc_u32 s5, s36, s5
	s_or_b32 s6, s34, 16
	v_lshlrev_b32_e32 v3, 4, v0
	s_ashr_i32 s7, s6, 4
	s_cmp_lt_i32 s6, s33
	s_cselect_b32 s6, s7, s3
	s_delay_alu instid0(SALU_CYCLE_1) | instskip(NEXT) | instid1(SALU_CYCLE_1)
	s_ashr_i32 s7, s6, 31
	s_lshl_b64 s[6:7], s[6:7], 2
	s_delay_alu instid0(SALU_CYCLE_1) | instskip(SKIP_2) | instid1(SALU_CYCLE_1)
	s_add_u32 s6, s16, s6
	s_addc_u32 s7, s36, s7
	s_or_b32 s8, s34, 32
	s_ashr_i32 s9, s8, 4
	s_cmp_lt_i32 s8, s33
	s_cselect_b32 s8, s9, s3
	s_delay_alu instid0(SALU_CYCLE_1) | instskip(NEXT) | instid1(SALU_CYCLE_1)
	s_ashr_i32 s9, s8, 31
	s_lshl_b64 s[8:9], s[8:9], 2
	s_delay_alu instid0(SALU_CYCLE_1) | instskip(SKIP_2) | instid1(SALU_CYCLE_1)
	s_add_u32 s8, s16, s8
	s_addc_u32 s9, s36, s9
	s_or_b32 s10, s34, 48
	;; [unrolled: 10-line block ×4, first 2 shown]
	s_ashr_i32 s18, s15, 4
	s_cmp_lt_i32 s15, s33
	s_cselect_b32 s18, s18, s3
	s_delay_alu instid0(SALU_CYCLE_1) | instskip(NEXT) | instid1(SALU_CYCLE_1)
	s_ashr_i32 s19, s18, 31
	s_lshl_b64 s[18:19], s[18:19], 2
	s_delay_alu instid0(SALU_CYCLE_1)
	s_add_u32 s24, s16, s18
	s_addc_u32 s25, s36, s19
	s_clause 0x5
	s_load_b32 s37, s[4:5], 0x0
	s_load_b32 s29, s[6:7], 0x0
	;; [unrolled: 1-line block ×6, first 2 shown]
	s_waitcnt vmcnt(1)
	v_mad_i64_i32 v[1:2], null, v5, s17, 0
	v_and_b32_e32 v5, 0xf0, v3
	s_waitcnt vmcnt(0)
	v_mad_i64_i32 v[3:4], null, v6, s17, 0
	s_delay_alu instid0(VALU_DEP_2) | instskip(NEXT) | instid1(VALU_DEP_4)
	v_add_co_u32 v5, s4, s26, v5
	v_lshlrev_b64 v[1:2], 1, v[1:2]
	v_add_co_ci_u32_e64 v6, null, s27, 0, s4
	s_delay_alu instid0(VALU_DEP_4) | instskip(SKIP_1) | instid1(VALU_DEP_3)
	v_lshlrev_b64 v[3:4], 1, v[3:4]
	s_or_b32 s4, s34, 0x60
	v_add_co_u32 v121, vcc_lo, v5, v1
	s_delay_alu instid0(VALU_DEP_3) | instskip(NEXT) | instid1(VALU_DEP_3)
	v_add_co_ci_u32_e32 v122, vcc_lo, v6, v2, vcc_lo
	v_add_co_u32 v123, vcc_lo, v5, v3
	s_delay_alu instid0(VALU_DEP_4)
	v_add_co_ci_u32_e32 v124, vcc_lo, v6, v4, vcc_lo
	s_clause 0x1b
	global_load_b128 v[89:92], v[121:122], off
	global_load_b128 v[93:96], v[121:122], off offset:256
	global_load_b128 v[97:100], v[123:124], off
	global_load_b128 v[101:104], v[123:124], off offset:256
	global_load_b128 v[81:84], v[121:122], off offset:512
	;; [unrolled: 1-line block ×25, first 2 shown]
	ds_load_b128 v[105:108], v153
	ds_load_b128 v[109:112], v153 offset:1024
	ds_load_b128 v[113:116], v153 offset:2048
	;; [unrolled: 1-line block ×9, first 2 shown]
	s_clause 0x3
	global_load_b128 v[186:189], v[121:122], off offset:3584
	global_load_b128 v[190:193], v[121:122], off offset:3840
	;; [unrolled: 1-line block ×4, first 2 shown]
	s_ashr_i32 s5, s4, 4
	s_cmp_lt_i32 s4, s33
	ds_load_b128 v[202:205], v153 offset:10240
	ds_load_b128 v[206:209], v153 offset:11264
	s_cselect_b32 s4, s5, s3
	ds_load_b128 v[210:213], v153 offset:12288
	ds_load_b128 v[214:217], v153 offset:13312
	s_ashr_i32 s5, s4, 31
	s_delay_alu instid0(SALU_CYCLE_1) | instskip(NEXT) | instid1(SALU_CYCLE_1)
	s_lshl_b64 s[4:5], s[4:5], 2
	s_add_u32 s20, s16, s4
	s_addc_u32 s21, s36, s5
	s_or_b32 s4, s34, 0x70
	s_load_b32 s41, s[20:21], 0x0
	s_ashr_i32 s5, s4, 4
	s_cmp_lt_i32 s4, s33
	s_mov_b32 s4, 0
	s_cselect_b32 s6, s5, s3
	s_mov_b32 s5, s4
	s_ashr_i32 s7, s6, 31
	s_mov_b32 s9, s4
	s_lshl_b64 s[6:7], s[6:7], 2
	s_delay_alu instid0(SALU_CYCLE_1)
	s_add_u32 s24, s16, s6
	s_addc_u32 s25, s36, s7
	s_or_b32 s7, s34, 0x80
	s_load_b32 s46, s[24:25], 0x0
	s_ashr_i32 s8, s7, 4
	s_cmp_lt_i32 s7, s33
	s_mov_b32 s6, s4
	s_cselect_b32 s10, s8, s3
	s_mov_b32 s7, s4
	s_ashr_i32 s11, s10, 31
	s_mov_b32 s8, s4
	s_lshl_b64 s[26:27], s[10:11], 2
	s_mov_b32 s11, s4
	s_add_u32 s26, s16, s26
	s_addc_u32 s27, s36, s27
	s_or_b32 s38, s34, 0x90
	s_load_b32 s47, s[26:27], 0x0
	s_ashr_i32 s39, s38, 4
	s_mov_b32 s10, s4
	s_cmp_lt_i32 s38, s33
	v_dual_mov_b32 v136, s11 :: v_dual_mov_b32 v135, s10
	v_dual_mov_b32 v134, s9 :: v_dual_mov_b32 v133, s8
	;; [unrolled: 1-line block ×4, first 2 shown]
	s_cselect_b32 s4, s39, s3
	s_waitcnt lgkmcnt(0)
	s_mul_hi_i32 s7, s29, s17
	s_ashr_i32 s5, s4, 31
	s_mul_hi_i32 s11, s19, s17
	s_lshl_b64 s[4:5], s[4:5], 2
	s_delay_alu instid0(SALU_CYCLE_1)
	s_add_u32 s38, s16, s4
	s_addc_u32 s39, s36, s5
	s_or_b32 s4, s34, 0xa0
	s_load_b32 s40, s[38:39], 0x0
	s_ashr_i32 s5, s4, 4
	s_cmp_lt_i32 s4, s33
	s_mul_hi_i32 s21, s15, s17
	s_cselect_b32 s4, s5, s3
	s_mul_hi_i32 s27, s46, s17
	s_ashr_i32 s5, s4, 31
	s_mul_i32 s26, s46, s17
	s_lshl_b64 s[4:5], s[4:5], 2
	s_delay_alu instid0(SALU_CYCLE_1)
	s_add_u32 s42, s16, s4
	s_addc_u32 s43, s36, s5
	s_or_b32 s4, s34, 0xb0
	s_mul_hi_i32 s5, s37, s17
	s_ashr_i32 s6, s4, 4
	s_cmp_lt_i32 s4, s33
	s_mul_i32 s4, s37, s17
	s_cselect_b32 s8, s6, s3
	s_mul_i32 s6, s29, s17
	s_ashr_i32 s9, s8, 31
	s_load_b32 s39, s[42:43], 0x0
	s_lshl_b64 s[8:9], s[8:9], 2
	s_delay_alu instid0(SALU_CYCLE_1)
	s_add_u32 s44, s16, s8
	s_addc_u32 s45, s36, s9
	s_or_b32 s8, s34, 0xc0
	s_mul_hi_i32 s9, s28, s17
	s_ashr_i32 s10, s8, 4
	s_cmp_lt_i32 s8, s33
	s_mul_i32 s8, s28, s17
	s_cselect_b32 s28, s10, s3
	s_mul_i32 s10, s19, s17
	s_ashr_i32 s29, s28, 31
	s_mul_hi_i32 s19, s18, s17
	s_lshl_b64 s[28:29], s[28:29], 2
	s_mul_i32 s18, s18, s17
	s_add_u32 s28, s16, s28
	s_addc_u32 s29, s36, s29
	s_or_b32 s37, s34, 0xd0
	s_delay_alu instid0(SALU_CYCLE_1) | instskip(SKIP_4) | instid1(SALU_CYCLE_1)
	s_ashr_i32 s20, s37, 4
	s_cmp_lt_i32 s37, s33
	s_cselect_b32 s24, s20, s3
	s_mul_i32 s20, s15, s17
	s_ashr_i32 s25, s24, 31
	s_lshl_b64 s[24:25], s[24:25], 2
	s_delay_alu instid0(SALU_CYCLE_1)
	s_add_u32 s24, s16, s24
	s_addc_u32 s25, s36, s25
	s_or_b32 s42, s34, 0xe0
	s_clause 0x2
	s_load_b32 s38, s[44:45], 0x0
	s_load_b32 s37, s[28:29], 0x0
	;; [unrolled: 1-line block ×3, first 2 shown]
	s_ashr_i32 s43, s42, 4
	s_cmp_lt_i32 s42, s33
	s_mul_hi_i32 s29, s47, s17
	s_cselect_b32 s42, s43, s3
	s_mul_i32 s28, s47, s17
	s_ashr_i32 s43, s42, 31
	s_mul_hi_i32 s25, s41, s17
	s_lshl_b64 s[42:43], s[42:43], 2
	s_mul_i32 s24, s41, s17
	s_add_u32 s42, s16, s42
	s_addc_u32 s43, s36, s43
	s_or_b32 s46, s34, 0xf0
	s_waitcnt lgkmcnt(0)
	s_mul_hi_i32 s41, s40, s17
	s_ashr_i32 s47, s46, 4
	s_cmp_lt_i32 s46, s33
	s_mul_i32 s40, s40, s17
	s_cselect_b32 s46, s47, s3
	s_mul_hi_i32 s45, s39, s17
	s_ashr_i32 s47, s46, 31
	s_mul_hi_i32 s51, s15, s17
	s_lshl_b64 s[46:47], s[46:47], 2
	s_mul_i32 s50, s15, s17
	s_add_u32 s46, s16, s46
	s_addc_u32 s47, s36, s47
	s_add_u32 s3, s22, s12
	s_addc_u32 s15, s23, s13
	s_lshl_b64 s[4:5], s[4:5], 1
	s_lshl_b64 s[6:7], s[6:7], 1
	;; [unrolled: 1-line block ×10, first 2 shown]
	s_mul_i32 s44, s39, s17
	s_mul_hi_i32 s39, s38, s17
	s_lshl_b64 s[28:29], s[44:45], 1
	s_mul_i32 s38, s38, s17
	s_mul_hi_i32 s49, s37, s17
	s_mul_i32 s48, s37, s17
	s_lshl_b64 s[36:37], s[38:39], 1
	s_lshl_b64 s[38:39], s[48:49], 1
	s_waitcnt vmcnt(30)
	v_wmma_f32_16x16x16_bf16 v[137:144], v[89:96], v[105:112], v[129:136]
	v_lshl_or_b32 v89, v152, 9, v125
	s_waitcnt vmcnt(28)
	v_wmma_f32_16x16x16_bf16 v[129:136], v[97:104], v[105:112], v[129:136]
	s_waitcnt vmcnt(26)
	v_wmma_f32_16x16x16_bf16 v[137:144], v[81:88], v[113:120], v[137:144]
	v_add_co_u32 v228, s3, s3, v89
	s_delay_alu instid0(VALU_DEP_1) | instskip(SKIP_2) | instid1(VALU_DEP_3)
	v_add_co_ci_u32_e64 v229, null, s15, 0, s3
	s_waitcnt vmcnt(24)
	v_wmma_f32_16x16x16_bf16 v[129:136], v[73:80], v[113:120], v[129:136]
	v_add_co_u32 v89, vcc_lo, v228, s4
	s_delay_alu instid0(VALU_DEP_3)
	v_add_co_ci_u32_e32 v90, vcc_lo, s5, v229, vcc_lo
	v_add_co_u32 v81, vcc_lo, v228, s6
	v_add_co_ci_u32_e32 v82, vcc_lo, s7, v229, vcc_lo
	v_add_co_u32 v83, vcc_lo, v228, s8
	v_add_co_ci_u32_e32 v84, vcc_lo, s9, v229, vcc_lo
	v_add_co_u32 v85, vcc_lo, v228, s10
	v_add_co_ci_u32_e32 v86, vcc_lo, s11, v229, vcc_lo
	v_add_co_u32 v87, vcc_lo, v228, s12
	v_add_co_ci_u32_e32 v88, vcc_lo, s13, v229, vcc_lo
	v_add_co_u32 v73, vcc_lo, v228, s18
	v_add_co_ci_u32_e32 v74, vcc_lo, s19, v229, vcc_lo
	v_add_co_u32 v77, vcc_lo, v228, s20
	v_add_co_ci_u32_e32 v78, vcc_lo, s21, v229, vcc_lo
	v_add_co_u32 v218, vcc_lo, v228, s22
	v_add_co_ci_u32_e32 v219, vcc_lo, s23, v229, vcc_lo
	s_clause 0x1
	s_load_b32 s3, s[42:43], 0x0
	s_load_b32 s15, s[46:47], 0x0
	v_add_co_u32 v220, vcc_lo, v228, s24
	v_add_co_ci_u32_e32 v221, vcc_lo, s25, v229, vcc_lo
	s_waitcnt vmcnt(22)
	v_wmma_f32_16x16x16_bf16 v[137:144], v[65:72], v[162:169], v[137:144]
	v_add_co_u32 v222, vcc_lo, v228, s26
	v_add_co_ci_u32_e32 v223, vcc_lo, s27, v229, vcc_lo
	v_add_co_u32 v224, vcc_lo, v228, s28
	s_waitcnt vmcnt(18)
	v_wmma_f32_16x16x16_bf16 v[137:144], v[49:56], v[170:177], v[137:144]
	v_add_co_ci_u32_e32 v225, vcc_lo, s29, v229, vcc_lo
	v_add_co_u32 v226, vcc_lo, v228, s36
	v_wmma_f32_16x16x16_bf16 v[129:136], v[57:64], v[162:169], v[129:136]
	v_add_co_ci_u32_e32 v227, vcc_lo, s37, v229, vcc_lo
	s_waitcnt vmcnt(14)
	v_wmma_f32_16x16x16_bf16 v[137:144], v[33:40], v[178:185], v[137:144]
	v_add_co_u32 v33, vcc_lo, v228, s38
	v_wmma_f32_16x16x16_bf16 v[129:136], v[41:48], v[170:177], v[129:136]
	v_add_co_ci_u32_e32 v34, vcc_lo, s39, v229, vcc_lo
	s_lshl_b64 s[4:5], s[50:51], 1
	s_clause 0x11
	global_load_b128 v[121:124], v[89:90], off
	global_load_b128 v[125:128], v[89:90], off offset:16
	global_load_b128 v[113:116], v[81:82], off
	global_load_b128 v[117:120], v[81:82], off offset:16
	;; [unrolled: 2-line block ×9, first 2 shown]
	s_waitcnt vmcnt(30)
	v_wmma_f32_16x16x16_bf16 v[129:136], v[17:24], v[178:185], v[129:136]
	s_clause 0x5
	global_load_b128 v[49:52], v[222:223], off
	global_load_b128 v[53:56], v[222:223], off offset:16
	global_load_b128 v[41:44], v[224:225], off
	global_load_b128 v[45:48], v[224:225], off offset:16
	;; [unrolled: 2-line block ×3, first 2 shown]
	s_waitcnt lgkmcnt(0)
	s_mul_hi_i32 s7, s3, s17
	s_mul_i32 s6, s3, s17
	s_waitcnt vmcnt(34)
	v_wmma_f32_16x16x16_bf16 v[137:144], v[1:8], v[202:209], v[137:144]
	s_clause 0x1
	global_load_b128 v[1:4], v[33:34], off
	global_load_b128 v[5:8], v[33:34], off offset:16
	v_add_co_u32 v33, vcc_lo, v228, s4
	v_add_co_ci_u32_e32 v34, vcc_lo, s5, v229, vcc_lo
	s_lshl_b64 s[4:5], s[6:7], 1
	s_mul_hi_i32 s7, s15, s17
	s_mul_i32 s6, s15, s17
	v_add_co_u32 v37, vcc_lo, v228, s4
	v_add_co_ci_u32_e32 v38, vcc_lo, s5, v229, vcc_lo
	s_lshl_b64 s[4:5], s[6:7], 1
	s_waitcnt vmcnt(34)
	v_wmma_f32_16x16x16_bf16 v[129:136], v[25:32], v[202:209], v[129:136]
	v_add_co_u32 v162, vcc_lo, v228, s4
	v_add_co_ci_u32_e32 v163, vcc_lo, s5, v229, vcc_lo
	s_clause 0x3
	global_load_b128 v[25:28], v[33:34], off
	global_load_b128 v[29:32], v[33:34], off offset:16
	global_load_b128 v[33:36], v[37:38], off
	global_load_b128 v[37:40], v[37:38], off offset:16
	s_waitcnt vmcnt(36)
	v_wmma_f32_16x16x16_bf16 v[137:144], v[9:16], v[210:217], v[137:144]
	s_clause 0x1
	global_load_b128 v[9:12], v[162:163], off
	global_load_b128 v[13:16], v[162:163], off offset:16
	s_waitcnt vmcnt(36)
	v_wmma_f32_16x16x16_bf16 v[129:136], v[154:161], v[210:217], v[129:136]
	ds_load_b128 v[154:157], v153 offset:14336
	ds_load_b128 v[158:161], v153 offset:15360
	v_and_b32_e32 v162, 0xe0, v0
	v_mbcnt_lo_u32_b32 v163, -1, 0
	s_waitcnt vmcnt(0) lgkmcnt(0)
	s_barrier
	buffer_gl0_inv
	v_add_nc_u32_e32 v162, s34, v162
	v_xor_b32_e32 v153, 16, v163
	s_delay_alu instid0(VALU_DEP_2) | instskip(NEXT) | instid1(VALU_DEP_2)
	v_or_b32_e32 v162, v162, v149
	v_cmp_gt_i32_e32 vcc_lo, 32, v153
	s_delay_alu instid0(VALU_DEP_2)
	v_or_b32_e32 v164, 4, v162
	v_or_b32_e32 v165, 6, v162
	;; [unrolled: 1-line block ×4, first 2 shown]
	v_wmma_f32_16x16x16_bf16 v[137:144], v[186:193], v[154:161], v[137:144]
	v_wmma_f32_16x16x16_bf16 v[129:136], v[194:201], v[154:161], v[129:136]
	v_cndmask_b32_e32 v153, v163, v153, vcc_lo
	v_or_b32_e32 v163, 2, v162
	v_cmp_gt_i32_e32 vcc_lo, s33, v162
	v_mul_f32_e32 v160, s35, v138
	v_dual_mul_f32 v178, s35, v136 :: v_dual_mul_f32 v161, s35, v137
	s_delay_alu instid0(VALU_DEP_4) | instskip(SKIP_2) | instid1(VALU_DEP_4)
	v_cmp_gt_i32_e64 s3, s33, v163
	v_dual_mul_f32 v158, s35, v140 :: v_dual_mul_f32 v159, s35, v139
	v_mul_f32_e32 v184, s35, v130
	v_cndmask_b32_e32 v161, 0xff7fffff, v161, vcc_lo
	s_delay_alu instid0(VALU_DEP_4)
	v_cndmask_b32_e64 v160, 0xff7fffff, v160, s3
	v_cmp_gt_i32_e64 s4, s33, v164
	v_cmp_gt_i32_e64 s5, s33, v165
	v_or_b32_e32 v168, 12, v162
	v_or_b32_e32 v169, 14, v162
	v_dual_mul_f32 v156, s35, v142 :: v_dual_mul_f32 v157, s35, v141
	v_mul_f32_e32 v182, s35, v132
	v_cndmask_b32_e64 v159, 0xff7fffff, v159, s4
	v_cndmask_b32_e64 v158, 0xff7fffff, v158, s5
	v_max3_f32 v160, v161, 0xff7fffff, v160
	v_cmp_gt_i32_e64 s6, s33, v166
	v_cmp_gt_i32_e64 s7, s33, v167
	v_or_b32_e32 v170, 16, v162
	v_or_b32_e32 v171, 18, v162
	v_dual_mul_f32 v154, s35, v144 :: v_dual_mul_f32 v155, s35, v143
	v_mul_f32_e32 v180, s35, v134
	v_cndmask_b32_e64 v157, 0xff7fffff, v157, s6
	v_cndmask_b32_e64 v156, 0xff7fffff, v156, s7
	v_max3_f32 v158, v160, v159, v158
	v_cmp_gt_i32_e64 s8, s33, v168
	v_cmp_gt_i32_e64 s9, s33, v169
	v_or_b32_e32 v172, 20, v162
	v_or_b32_e32 v173, 22, v162
	v_mul_f32_e32 v185, s35, v129
	v_cndmask_b32_e64 v155, 0xff7fffff, v155, s8
	v_cndmask_b32_e64 v154, 0xff7fffff, v154, s9
	v_max3_f32 v156, v158, v157, v156
	v_cmp_gt_i32_e64 s10, s33, v170
	v_cmp_gt_i32_e64 s11, s33, v171
	v_or_b32_e32 v174, 24, v162
	v_or_b32_e32 v175, 26, v162
	v_mul_f32_e32 v183, s35, v131
	v_cndmask_b32_e64 v157, 0xff7fffff, v185, s10
	v_cndmask_b32_e64 v158, 0xff7fffff, v184, s11
	v_max3_f32 v154, v156, v155, v154
	v_cmp_gt_i32_e64 s12, s33, v172
	v_cmp_gt_i32_e64 s13, s33, v173
	v_or_b32_e32 v176, 28, v162
	v_or_b32_e32 v177, 30, v162
	v_mul_f32_e32 v181, s35, v133
	v_cndmask_b32_e64 v155, 0xff7fffff, v183, s12
	v_cndmask_b32_e64 v156, 0xff7fffff, v182, s13
	v_max3_f32 v154, v154, v157, v158
	v_cmp_gt_i32_e64 s15, s33, v174
	v_cmp_gt_i32_e64 s16, s33, v175
	v_mul_f32_e32 v179, s35, v135
	v_cmp_gt_i32_e64 s17, s33, v176
	v_max3_f32 v154, v154, v155, v156
	v_cndmask_b32_e64 v157, 0xff7fffff, v181, s15
	v_cndmask_b32_e64 v158, 0xff7fffff, v180, s16
	v_cmp_gt_i32_e64 s18, s33, v177
	v_cndmask_b32_e64 v155, 0xff7fffff, v179, s17
	s_delay_alu instid0(VALU_DEP_3) | instskip(NEXT) | instid1(VALU_DEP_3)
	v_max3_f32 v154, v154, v157, v158
	v_cndmask_b32_e64 v156, 0xff7fffff, v178, s18
	v_lshlrev_b32_e32 v157, 2, v153
	s_delay_alu instid0(VALU_DEP_2) | instskip(SKIP_3) | instid1(VALU_DEP_1)
	v_max3_f32 v153, v154, v155, v156
	ds_bpermute_b32 v154, v157, v153
	s_waitcnt lgkmcnt(0)
	v_max_f32_e32 v154, v154, v154
	v_max_f32_e32 v156, v153, v154
	s_delay_alu instid0(VALU_DEP_1) | instskip(SKIP_4) | instid1(VALU_DEP_4)
	v_fma_f32 v137, s35, v137, -v156
	v_fma_f32 v138, s35, v138, -v156
	;; [unrolled: 1-line block ×5, first 2 shown]
	v_dual_mul_f32 v137, 0x3fb8aa3b, v137 :: v_dual_mul_f32 v138, 0x3fb8aa3b, v138
	s_delay_alu instid0(VALU_DEP_4) | instskip(SKIP_2) | instid1(VALU_DEP_4)
	v_mul_f32_e32 v132, 0x3fb8aa3b, v132
	v_fma_f32 v141, s35, v141, -v156
	v_fma_f32 v134, s35, v134, -v156
	v_exp_f32_e32 v137, v137
	v_exp_f32_e32 v138, v138
	v_mul_f32_e32 v153, 0x3fb8aa3b, v140
	v_fma_f32 v143, s35, v143, -v156
	v_mul_f32_e32 v134, 0x3fb8aa3b, v134
	v_fma_f32 v129, s35, v129, -v156
	v_fma_f32 v130, s35, v130, -v156
	v_exp_f32_e32 v153, v153
	v_mul_f32_e32 v143, 0x3fb8aa3b, v143
	v_fma_f32 v131, s35, v131, -v156
	v_cndmask_b32_e32 v140, 0, v137, vcc_lo
	v_fma_f32 v137, s35, v142, -v156
	v_mul_f32_e32 v142, 0x3fb8aa3b, v141
	v_cndmask_b32_e64 v141, 0, v138, s3
	v_exp_f32_e32 v143, v143
	v_dual_add_f32 v138, 0, v140 :: v_dual_mul_f32 v139, 0x3fb8aa3b, v139
	v_mul_f32_e32 v137, 0x3fb8aa3b, v137
	v_exp_f32_e32 v154, v142
	v_mul_f32_e32 v129, 0x3fb8aa3b, v129
	s_delay_alu instid0(VALU_DEP_3)
	v_add_f32_e32 v138, v138, v141
	v_exp_f32_e32 v139, v139
	v_exp_f32_e32 v137, v137
	v_mul_f32_e32 v130, 0x3fb8aa3b, v130
	v_exp_f32_e32 v129, v129
	v_cndmask_b32_e64 v143, 0, v143, s8
	v_mul_f32_e32 v131, 0x3fb8aa3b, v131
	v_fma_f32 v133, s35, v133, -v156
	v_exp_f32_e32 v130, v130
	v_fma_f32 v136, s35, v136, -v156
	s_mov_b32 s3, exec_lo
	v_cndmask_b32_e64 v142, 0, v139, s4
	v_fma_f32 v139, s35, v144, -v156
	v_cndmask_b32_e64 v144, 0, v153, s5
	v_cndmask_b32_e64 v153, 0, v154, s6
	v_cndmask_b32_e64 v154, 0, v137, s7
	s_delay_alu instid0(VALU_DEP_4) | instskip(NEXT) | instid1(VALU_DEP_1)
	v_dual_add_f32 v138, v138, v142 :: v_dual_mul_f32 v139, 0x3fb8aa3b, v139
	v_dual_mul_f32 v133, 0x3fb8aa3b, v133 :: v_dual_add_f32 v138, v138, v144
	s_delay_alu instid0(VALU_DEP_2) | instskip(NEXT) | instid1(VALU_DEP_1)
	v_exp_f32_e32 v139, v139
	v_add_f32_e32 v137, v138, v153
	v_exp_f32_e32 v138, v131
	v_cndmask_b32_e64 v131, 0, v129, s10
	s_delay_alu instid0(VALU_DEP_2) | instskip(SKIP_3) | instid1(VALU_DEP_1)
	v_add_f32_e32 v137, v137, v154
	s_waitcnt_depctr 0xfff
	v_cndmask_b32_e64 v155, 0, v139, s9
	v_add_f32_e32 v137, v137, v143
	v_add_f32_e32 v129, v137, v155
	v_exp_f32_e32 v137, v132
	v_cndmask_b32_e64 v132, 0, v130, s11
	v_fma_f32 v130, s35, v135, -v156
	v_exp_f32_e32 v135, v133
	v_add_f32_e32 v129, v129, v131
	v_cndmask_b32_e64 v133, 0, v138, s12
	v_exp_f32_e32 v138, v134
	s_delay_alu instid0(VALU_DEP_2) | instskip(NEXT) | instid1(TRANS32_DEP_3)
	v_dual_mul_f32 v130, 0x3fb8aa3b, v130 :: v_dual_add_f32 v129, v129, v132
	v_cndmask_b32_e64 v134, 0, v137, s13
	v_mul_f32_e32 v137, 0x3fb8aa3b, v136
	s_delay_alu instid0(VALU_DEP_3) | instskip(NEXT) | instid1(TRANS32_DEP_3)
	v_exp_f32_e32 v130, v130
	v_cndmask_b32_e64 v135, 0, v135, s15
	v_add_f32_e32 v129, v129, v133
	s_delay_alu instid0(TRANS32_DEP_2) | instskip(SKIP_1) | instid1(VALU_DEP_2)
	v_cndmask_b32_e64 v136, 0, v138, s16
	v_exp_f32_e32 v138, v137
	v_add_f32_e32 v129, v129, v134
	s_waitcnt_depctr 0xfff
	v_cndmask_b32_e64 v137, 0, v130, s17
	v_add_f32_e32 v129, v129, v135
	v_cndmask_b32_e64 v138, 0, v138, s18
	s_delay_alu instid0(VALU_DEP_2) | instskip(NEXT) | instid1(VALU_DEP_1)
	v_add_f32_e32 v129, v129, v136
	v_add_f32_e32 v129, v129, v137
	s_delay_alu instid0(VALU_DEP_1)
	v_add_f32_e32 v129, v129, v138
	ds_bpermute_b32 v130, v157, v129
	v_cmpx_gt_u32_e32 16, v151
	s_cbranch_execz .LBB687_12
; %bb.11:
	v_mul_u32_u24_e32 v139, 0x44, v152
	s_delay_alu instid0(VALU_DEP_1) | instskip(SKIP_1) | instid1(VALU_DEP_1)
	v_lshl_add_u32 v139, v150, 2, v139
	s_waitcnt lgkmcnt(0)
	v_dual_add_f32 v129, v129, v130 :: v_dual_add_nc_u32 v130, 0x4000, v139
	ds_store_2addr_b32 v130, v156, v129 offset1:136
.LBB687_12:
	s_or_b32 exec_lo, exec_lo, s3
	v_lshlrev_b32_e32 v129, 2, v150
	s_waitcnt lgkmcnt(0)
	s_barrier
	buffer_gl0_inv
	v_cmp_eq_u32_e32 vcc_lo, 1, v152
	v_add_nc_u32_e32 v139, 0x4000, v129
	v_cmp_eq_u32_e64 s3, 2, v152
	v_cmp_eq_u32_e64 s5, 7, v152
	ds_load_2addr_b32 v[156:157], v139 offset1:17
	ds_load_2addr_b32 v[158:159], v139 offset0:34 offset1:51
	ds_load_2addr_b32 v[160:161], v139 offset0:68 offset1:85
	;; [unrolled: 1-line block ×4, first 2 shown]
	s_waitcnt lgkmcnt(4)
	v_max3_f32 v129, v156, 0xff7fffff, v157
	s_waitcnt lgkmcnt(3)
	s_delay_alu instid0(VALU_DEP_1) | instskip(SKIP_1) | instid1(VALU_DEP_1)
	v_max3_f32 v129, v129, v158, v159
	s_waitcnt lgkmcnt(2)
	v_max3_f32 v129, v129, v160, v161
	s_waitcnt lgkmcnt(1)
	s_delay_alu instid0(VALU_DEP_1) | instskip(NEXT) | instid1(VALU_DEP_1)
	v_max3_f32 v129, v129, v162, v163
	v_sub_f32_e32 v151, v157, v129
	v_sub_f32_e32 v130, v156, v129
	ds_load_2addr_b32 v[156:157], v139 offset0:170 offset1:187
	v_sub_f32_e32 v160, v160, v129
	v_dual_sub_f32 v158, v158, v129 :: v_dual_mul_f32 v151, 0x3fb8aa3b, v151
	s_delay_alu instid0(VALU_DEP_2) | instskip(NEXT) | instid1(VALU_DEP_2)
	v_dual_mul_f32 v130, 0x3fb8aa3b, v130 :: v_dual_mul_f32 v169, 0x3fb8aa3b, v160
	v_mul_f32_e32 v167, 0x3fb8aa3b, v158
	s_delay_alu instid0(VALU_DEP_3) | instskip(NEXT) | instid1(VALU_DEP_2)
	v_exp_f32_e32 v151, v151
	v_exp_f32_e32 v166, v130
	v_sub_f32_e32 v130, v159, v129
	s_delay_alu instid0(VALU_DEP_2) | instskip(NEXT) | instid1(VALU_DEP_1)
	v_exp_f32_e32 v167, v167
	v_mul_f32_e32 v168, 0x3fb8aa3b, v130
	s_waitcnt lgkmcnt(1)
	s_waitcnt_depctr 0xfff
	v_fma_f32 v130, v166, v164, 0
	v_sub_f32_e32 v164, v161, v129
	s_delay_alu instid0(VALU_DEP_2) | instskip(SKIP_2) | instid1(VALU_DEP_2)
	v_dual_fmac_f32 v130, v151, v165 :: v_dual_cndmask_b32 v151, v166, v151
	v_cmp_eq_u32_e32 vcc_lo, 3, v152
	s_waitcnt lgkmcnt(0)
	v_fmac_f32_e32 v130, v167, v156
	ds_load_2addr_b32 v[158:159], v139 offset0:204 offset1:221
	ds_load_2addr_b32 v[160:161], v139 offset0:238 offset1:255
	v_sub_f32_e32 v139, v162, v129
	v_exp_f32_e32 v168, v168
	v_sub_f32_e32 v156, v163, v129
	v_mul_f32_e32 v162, 0x3fb8aa3b, v164
	v_exp_f32_e32 v164, v169
	v_cndmask_b32_e64 v151, v151, v167, s3
	v_mul_f32_e32 v139, 0x3fb8aa3b, v139
	v_cmp_eq_u32_e64 s3, 4, v152
	v_exp_f32_e32 v162, v162
	s_waitcnt lgkmcnt(0)
	s_barrier
	v_dual_fmac_f32 v130, v168, v157 :: v_dual_cndmask_b32 v151, v151, v168
	v_exp_f32_e32 v139, v139
	v_cmp_eq_u32_e32 vcc_lo, 5, v152
	buffer_gl0_inv
	v_cndmask_b32_e64 v151, v151, v164, s3
	v_mul_f32_e32 v156, 0x3fb8aa3b, v156
	v_fmac_f32_e32 v130, v164, v158
	v_cmp_eq_u32_e64 s3, 6, v152
	s_delay_alu instid0(VALU_DEP_4) | instskip(NEXT) | instid1(VALU_DEP_4)
	v_cndmask_b32_e32 v151, v151, v162, vcc_lo
	v_exp_f32_e32 v156, v156
	s_delay_alu instid0(VALU_DEP_3) | instskip(NEXT) | instid1(VALU_DEP_1)
	v_fmac_f32_e32 v130, v162, v159
	v_fmac_f32_e32 v130, v139, v160
	s_delay_alu instid0(VALU_DEP_3) | instskip(SKIP_4) | instid1(VALU_DEP_2)
	v_cndmask_b32_e64 v139, v151, v139, s3
	s_mov_b32 s3, exec_lo
	s_waitcnt_depctr 0xfff
	v_fmac_f32_e32 v130, v156, v161
	v_cndmask_b32_e64 v139, v139, v156, s5
	v_add_f32_e32 v157, 0x358637bd, v130
	s_delay_alu instid0(VALU_DEP_1) | instskip(SKIP_1) | instid1(VALU_DEP_1)
	v_div_scale_f32 v158, null, v157, v157, 1.0
	v_div_scale_f32 v161, s4, 1.0, v157, 1.0
	s_mov_b32 vcc_lo, s4
	s_delay_alu instid0(VALU_DEP_2) | instskip(SKIP_2) | instid1(VALU_DEP_1)
	v_rcp_f32_e32 v159, v158
	s_waitcnt_depctr 0xfff
	v_fma_f32 v160, -v158, v159, 1.0
	v_fmac_f32_e32 v159, v160, v159
	s_delay_alu instid0(VALU_DEP_1) | instskip(NEXT) | instid1(VALU_DEP_1)
	v_mul_f32_e32 v160, v161, v159
	v_fma_f32 v163, -v158, v160, v161
	s_delay_alu instid0(VALU_DEP_1) | instskip(NEXT) | instid1(VALU_DEP_1)
	v_fmac_f32_e32 v160, v163, v159
	v_fma_f32 v158, -v158, v160, v161
	s_delay_alu instid0(VALU_DEP_1) | instskip(NEXT) | instid1(VALU_DEP_1)
	v_div_fmas_f32 v158, v158, v159, v160
	v_div_fixup_f32 v151, v158, v157, 1.0
	s_delay_alu instid0(VALU_DEP_1) | instskip(NEXT) | instid1(VALU_DEP_1)
	v_mul_f32_e32 v139, v139, v151
	v_mul_f32_e32 v156, v139, v140
	;; [unrolled: 1-line block ×5, first 2 shown]
	s_delay_alu instid0(VALU_DEP_4) | instskip(SKIP_3) | instid1(VALU_DEP_4)
	v_dual_mul_f32 v154, v139, v153 :: v_dual_and_b32 v157, 0x7f800000, v156
	v_mul_f32_e32 v155, v139, v144
	v_mul_f32_e32 v153, v139, v142
	;; [unrolled: 1-line block ×3, first 2 shown]
                                        ; implicit-def: $vgpr141
	v_cmpx_ne_u32_e32 0x7f800000, v157
	s_xor_b32 s3, exec_lo, s3
; %bb.13:
	v_bfe_u32 v141, v156, 16, 1
	s_delay_alu instid0(VALU_DEP_1)
	v_add3_u32 v141, v156, v141, 0x7fff
                                        ; implicit-def: $vgpr156
; %bb.14:
	s_and_not1_saveexec_b32 s3, s3
; %bb.15:
	v_and_b32_e32 v141, 0xffff, v156
	v_or_b32_e32 v142, 0x10000, v156
	s_delay_alu instid0(VALU_DEP_2) | instskip(NEXT) | instid1(VALU_DEP_2)
	v_cmp_eq_u32_e32 vcc_lo, 0, v141
	v_cndmask_b32_e32 v141, v142, v156, vcc_lo
; %bb.16:
	s_or_b32 exec_lo, exec_lo, s3
	v_and_b32_e32 v142, 0x7f800000, v144
	s_delay_alu instid0(VALU_DEP_1) | instskip(SKIP_1) | instid1(SALU_CYCLE_1)
	v_cmp_ne_u32_e32 vcc_lo, 0x7f800000, v142
                                        ; implicit-def: $vgpr142
	s_and_saveexec_b32 s3, vcc_lo
	s_xor_b32 s3, exec_lo, s3
; %bb.17:
	v_bfe_u32 v142, v144, 16, 1
	s_delay_alu instid0(VALU_DEP_1)
	v_add3_u32 v142, v144, v142, 0x7fff
                                        ; implicit-def: $vgpr144
; %bb.18:
	s_and_not1_saveexec_b32 s3, s3
; %bb.19:
	v_and_b32_e32 v142, 0xffff, v144
	v_or_b32_e32 v156, 0x10000, v144
	s_delay_alu instid0(VALU_DEP_2) | instskip(NEXT) | instid1(VALU_DEP_2)
	v_cmp_eq_u32_e32 vcc_lo, 0, v142
	v_cndmask_b32_e32 v142, v156, v144, vcc_lo
; %bb.20:
	s_or_b32 exec_lo, exec_lo, s3
	v_and_b32_e32 v144, 0x7f800000, v153
	s_delay_alu instid0(VALU_DEP_1) | instskip(SKIP_1) | instid1(SALU_CYCLE_1)
	v_cmp_ne_u32_e32 vcc_lo, 0x7f800000, v144
                                        ; implicit-def: $vgpr144
	s_and_saveexec_b32 s3, vcc_lo
	s_xor_b32 s3, exec_lo, s3
; %bb.21:
	v_bfe_u32 v144, v153, 16, 1
	s_delay_alu instid0(VALU_DEP_1)
	v_add3_u32 v144, v153, v144, 0x7fff
                                        ; implicit-def: $vgpr153
; %bb.22:
	s_and_not1_saveexec_b32 s3, s3
; %bb.23:
	v_and_b32_e32 v144, 0xffff, v153
	v_or_b32_e32 v156, 0x10000, v153
	s_delay_alu instid0(VALU_DEP_2) | instskip(NEXT) | instid1(VALU_DEP_2)
	v_cmp_eq_u32_e32 vcc_lo, 0, v144
	v_cndmask_b32_e32 v144, v156, v153, vcc_lo
; %bb.24:
	s_or_b32 exec_lo, exec_lo, s3
	v_and_b32_e32 v153, 0x7f800000, v155
	s_delay_alu instid0(VALU_DEP_1) | instskip(SKIP_1) | instid1(SALU_CYCLE_1)
	v_cmp_ne_u32_e32 vcc_lo, 0x7f800000, v153
                                        ; implicit-def: $vgpr153
	s_and_saveexec_b32 s3, vcc_lo
	s_xor_b32 s3, exec_lo, s3
; %bb.25:
	v_bfe_u32 v153, v155, 16, 1
	s_delay_alu instid0(VALU_DEP_1)
	v_add3_u32 v153, v155, v153, 0x7fff
                                        ; implicit-def: $vgpr155
; %bb.26:
	s_and_not1_saveexec_b32 s3, s3
; %bb.27:
	v_and_b32_e32 v153, 0xffff, v155
	v_or_b32_e32 v156, 0x10000, v155
	s_delay_alu instid0(VALU_DEP_2) | instskip(NEXT) | instid1(VALU_DEP_2)
	v_cmp_eq_u32_e32 vcc_lo, 0, v153
	v_cndmask_b32_e32 v153, v156, v155, vcc_lo
; %bb.28:
	s_or_b32 exec_lo, exec_lo, s3
	v_and_b32_e32 v155, 0x7f800000, v154
	s_delay_alu instid0(VALU_DEP_1) | instskip(SKIP_1) | instid1(SALU_CYCLE_1)
	v_cmp_ne_u32_e32 vcc_lo, 0x7f800000, v155
                                        ; implicit-def: $vgpr155
	s_and_saveexec_b32 s3, vcc_lo
	s_xor_b32 s3, exec_lo, s3
; %bb.29:
	v_bfe_u32 v155, v154, 16, 1
	s_delay_alu instid0(VALU_DEP_1)
	v_add3_u32 v155, v154, v155, 0x7fff
                                        ; implicit-def: $vgpr154
; %bb.30:
	s_and_not1_saveexec_b32 s3, s3
; %bb.31:
	v_and_b32_e32 v155, 0xffff, v154
	v_or_b32_e32 v156, 0x10000, v154
	s_delay_alu instid0(VALU_DEP_2) | instskip(NEXT) | instid1(VALU_DEP_2)
	v_cmp_eq_u32_e32 vcc_lo, 0, v155
	v_cndmask_b32_e32 v155, v156, v154, vcc_lo
; %bb.32:
	s_or_b32 exec_lo, exec_lo, s3
	v_and_b32_e32 v154, 0x7f800000, v151
	s_delay_alu instid0(VALU_DEP_1) | instskip(SKIP_1) | instid1(SALU_CYCLE_1)
	v_cmp_ne_u32_e32 vcc_lo, 0x7f800000, v154
                                        ; implicit-def: $vgpr154
	s_and_saveexec_b32 s3, vcc_lo
	s_xor_b32 s3, exec_lo, s3
; %bb.33:
	v_bfe_u32 v154, v151, 16, 1
	s_delay_alu instid0(VALU_DEP_1)
	v_add3_u32 v154, v151, v154, 0x7fff
                                        ; implicit-def: $vgpr151
; %bb.34:
	s_and_not1_saveexec_b32 s3, s3
; %bb.35:
	v_and_b32_e32 v154, 0xffff, v151
	v_or_b32_e32 v156, 0x10000, v151
	s_delay_alu instid0(VALU_DEP_2) | instskip(NEXT) | instid1(VALU_DEP_2)
	v_cmp_eq_u32_e32 vcc_lo, 0, v154
	v_cndmask_b32_e32 v154, v156, v151, vcc_lo
; %bb.36:
	s_or_b32 exec_lo, exec_lo, s3
	v_and_b32_e32 v151, 0x7f800000, v143
	s_delay_alu instid0(VALU_DEP_1) | instskip(SKIP_1) | instid1(SALU_CYCLE_1)
	v_cmp_ne_u32_e32 vcc_lo, 0x7f800000, v151
                                        ; implicit-def: $vgpr151
	s_and_saveexec_b32 s3, vcc_lo
	s_xor_b32 s3, exec_lo, s3
; %bb.37:
	v_bfe_u32 v151, v143, 16, 1
	s_delay_alu instid0(VALU_DEP_1)
	v_add3_u32 v151, v143, v151, 0x7fff
                                        ; implicit-def: $vgpr143
; %bb.38:
	s_and_not1_saveexec_b32 s3, s3
; %bb.39:
	v_and_b32_e32 v151, 0xffff, v143
	v_or_b32_e32 v156, 0x10000, v143
	s_delay_alu instid0(VALU_DEP_2) | instskip(NEXT) | instid1(VALU_DEP_2)
	v_cmp_eq_u32_e32 vcc_lo, 0, v151
	v_cndmask_b32_e32 v151, v156, v143, vcc_lo
; %bb.40:
	s_or_b32 exec_lo, exec_lo, s3
	v_and_b32_e32 v143, 0x7f800000, v140
	s_delay_alu instid0(VALU_DEP_1) | instskip(SKIP_1) | instid1(SALU_CYCLE_1)
	v_cmp_ne_u32_e32 vcc_lo, 0x7f800000, v143
                                        ; implicit-def: $vgpr143
	s_and_saveexec_b32 s3, vcc_lo
	s_xor_b32 s3, exec_lo, s3
; %bb.41:
	v_bfe_u32 v143, v140, 16, 1
	s_delay_alu instid0(VALU_DEP_1)
	v_add3_u32 v143, v140, v143, 0x7fff
                                        ; implicit-def: $vgpr140
; %bb.42:
	s_and_not1_saveexec_b32 s3, s3
; %bb.43:
	v_and_b32_e32 v143, 0xffff, v140
	v_or_b32_e32 v156, 0x10000, v140
	s_delay_alu instid0(VALU_DEP_2) | instskip(NEXT) | instid1(VALU_DEP_2)
	v_cmp_eq_u32_e32 vcc_lo, 0, v143
	v_cndmask_b32_e32 v143, v156, v140, vcc_lo
; %bb.44:
	s_or_b32 exec_lo, exec_lo, s3
	s_load_b64 s[34:35], s[0:1], 0x94
	v_dual_mul_f32 v138, v139, v138 :: v_dual_lshlrev_b32 v157, 4, v149
	s_delay_alu instid0(VALU_DEP_2)
	v_perm_b32 v156, v143, v151, 0x7060302
	v_dual_mul_f32 v143, v139, v131 :: v_dual_lshlrev_b32 v140, 6, v150
	v_dual_mul_f32 v137, v139, v137 :: v_dual_lshlrev_b32 v150, 11, v152
	v_perm_b32 v155, v154, v155, 0x7060302
	v_perm_b32 v154, v153, v144, 0x7060302
	;; [unrolled: 1-line block ×3, first 2 shown]
	s_delay_alu instid0(VALU_DEP_4)
	v_or3_b32 v131, v157, v150, v140
	v_mul_f32_e32 v136, v139, v136
	v_dual_mul_f32 v141, v139, v134 :: v_dual_and_b32 v144, 0x7f800000, v143
	v_mul_f32_e32 v135, v139, v135
	v_mul_f32_e32 v142, v139, v133
	;; [unrolled: 1-line block ×3, first 2 shown]
	s_mov_b32 s3, exec_lo
	ds_store_b128 v131, v[153:156]
                                        ; implicit-def: $vgpr132
	v_cmpx_ne_u32_e32 0x7f800000, v144
	s_xor_b32 s3, exec_lo, s3
; %bb.45:
	v_bfe_u32 v132, v143, 16, 1
	s_delay_alu instid0(VALU_DEP_1)
	v_add3_u32 v132, v143, v132, 0x7fff
                                        ; implicit-def: $vgpr143
; %bb.46:
	s_and_not1_saveexec_b32 s3, s3
; %bb.47:
	v_and_b32_e32 v132, 0xffff, v143
	v_or_b32_e32 v133, 0x10000, v143
	s_delay_alu instid0(VALU_DEP_2) | instskip(NEXT) | instid1(VALU_DEP_2)
	v_cmp_eq_u32_e32 vcc_lo, 0, v132
	v_cndmask_b32_e32 v132, v133, v143, vcc_lo
; %bb.48:
	s_or_b32 exec_lo, exec_lo, s3
	v_and_b32_e32 v133, 0x7f800000, v134
	s_delay_alu instid0(VALU_DEP_1) | instskip(SKIP_1) | instid1(SALU_CYCLE_1)
	v_cmp_ne_u32_e32 vcc_lo, 0x7f800000, v133
                                        ; implicit-def: $vgpr133
	s_and_saveexec_b32 s3, vcc_lo
	s_xor_b32 s3, exec_lo, s3
; %bb.49:
	v_bfe_u32 v133, v134, 16, 1
	s_delay_alu instid0(VALU_DEP_1)
	v_add3_u32 v133, v134, v133, 0x7fff
                                        ; implicit-def: $vgpr134
; %bb.50:
	s_and_not1_saveexec_b32 s3, s3
; %bb.51:
	v_and_b32_e32 v133, 0xffff, v134
	v_or_b32_e32 v139, 0x10000, v134
	s_delay_alu instid0(VALU_DEP_2) | instskip(NEXT) | instid1(VALU_DEP_2)
	v_cmp_eq_u32_e32 vcc_lo, 0, v133
	v_cndmask_b32_e32 v133, v139, v134, vcc_lo
; %bb.52:
	s_or_b32 exec_lo, exec_lo, s3
	v_and_b32_e32 v134, 0x7f800000, v142
	s_delay_alu instid0(VALU_DEP_1) | instskip(SKIP_1) | instid1(SALU_CYCLE_1)
	v_cmp_ne_u32_e32 vcc_lo, 0x7f800000, v134
                                        ; implicit-def: $vgpr134
	s_and_saveexec_b32 s3, vcc_lo
	s_xor_b32 s3, exec_lo, s3
; %bb.53:
	v_bfe_u32 v134, v142, 16, 1
	s_delay_alu instid0(VALU_DEP_1)
	v_add3_u32 v134, v142, v134, 0x7fff
                                        ; implicit-def: $vgpr142
; %bb.54:
	s_and_not1_saveexec_b32 s3, s3
; %bb.55:
	v_and_b32_e32 v134, 0xffff, v142
	v_or_b32_e32 v139, 0x10000, v142
	s_delay_alu instid0(VALU_DEP_2) | instskip(NEXT) | instid1(VALU_DEP_2)
	v_cmp_eq_u32_e32 vcc_lo, 0, v134
	v_cndmask_b32_e32 v134, v139, v142, vcc_lo
; %bb.56:
	s_or_b32 exec_lo, exec_lo, s3
	v_and_b32_e32 v139, 0x7f800000, v141
	s_delay_alu instid0(VALU_DEP_1) | instskip(SKIP_1) | instid1(SALU_CYCLE_1)
	v_cmp_ne_u32_e32 vcc_lo, 0x7f800000, v139
                                        ; implicit-def: $vgpr139
	s_and_saveexec_b32 s3, vcc_lo
	s_xor_b32 s3, exec_lo, s3
; %bb.57:
	v_bfe_u32 v139, v141, 16, 1
	s_delay_alu instid0(VALU_DEP_1)
	v_add3_u32 v139, v141, v139, 0x7fff
                                        ; implicit-def: $vgpr141
; %bb.58:
	s_and_not1_saveexec_b32 s3, s3
; %bb.59:
	v_and_b32_e32 v139, 0xffff, v141
	v_or_b32_e32 v142, 0x10000, v141
	s_delay_alu instid0(VALU_DEP_2) | instskip(NEXT) | instid1(VALU_DEP_2)
	v_cmp_eq_u32_e32 vcc_lo, 0, v139
	v_cndmask_b32_e32 v139, v142, v141, vcc_lo
; %bb.60:
	s_or_b32 exec_lo, exec_lo, s3
	v_and_b32_e32 v141, 0x7f800000, v135
	s_delay_alu instid0(VALU_DEP_1) | instskip(SKIP_1) | instid1(SALU_CYCLE_1)
	v_cmp_ne_u32_e32 vcc_lo, 0x7f800000, v141
                                        ; implicit-def: $vgpr141
	s_and_saveexec_b32 s3, vcc_lo
	s_xor_b32 s3, exec_lo, s3
; %bb.61:
	v_bfe_u32 v141, v135, 16, 1
	s_delay_alu instid0(VALU_DEP_1)
	v_add3_u32 v141, v135, v141, 0x7fff
                                        ; implicit-def: $vgpr135
; %bb.62:
	s_and_not1_saveexec_b32 s3, s3
; %bb.63:
	v_and_b32_e32 v141, 0xffff, v135
	v_or_b32_e32 v142, 0x10000, v135
	s_delay_alu instid0(VALU_DEP_2) | instskip(NEXT) | instid1(VALU_DEP_2)
	v_cmp_eq_u32_e32 vcc_lo, 0, v141
	v_cndmask_b32_e32 v141, v142, v135, vcc_lo
; %bb.64:
	s_or_b32 exec_lo, exec_lo, s3
	v_and_b32_e32 v135, 0x7f800000, v136
	s_delay_alu instid0(VALU_DEP_1) | instskip(SKIP_1) | instid1(SALU_CYCLE_1)
	v_cmp_ne_u32_e32 vcc_lo, 0x7f800000, v135
                                        ; implicit-def: $vgpr135
	s_and_saveexec_b32 s3, vcc_lo
	s_xor_b32 s3, exec_lo, s3
; %bb.65:
	v_bfe_u32 v135, v136, 16, 1
	s_delay_alu instid0(VALU_DEP_1)
	v_add3_u32 v135, v136, v135, 0x7fff
                                        ; implicit-def: $vgpr136
; %bb.66:
	s_and_not1_saveexec_b32 s3, s3
; %bb.67:
	v_and_b32_e32 v135, 0xffff, v136
	v_or_b32_e32 v142, 0x10000, v136
	s_delay_alu instid0(VALU_DEP_2) | instskip(NEXT) | instid1(VALU_DEP_2)
	v_cmp_eq_u32_e32 vcc_lo, 0, v135
	v_cndmask_b32_e32 v135, v142, v136, vcc_lo
; %bb.68:
	s_or_b32 exec_lo, exec_lo, s3
	v_and_b32_e32 v136, 0x7f800000, v137
	s_delay_alu instid0(VALU_DEP_1) | instskip(SKIP_1) | instid1(SALU_CYCLE_1)
	v_cmp_ne_u32_e32 vcc_lo, 0x7f800000, v136
                                        ; implicit-def: $vgpr136
	s_and_saveexec_b32 s3, vcc_lo
	s_xor_b32 s3, exec_lo, s3
; %bb.69:
	v_bfe_u32 v136, v137, 16, 1
	s_delay_alu instid0(VALU_DEP_1)
	v_add3_u32 v136, v137, v136, 0x7fff
                                        ; implicit-def: $vgpr137
; %bb.70:
	s_and_not1_saveexec_b32 s3, s3
; %bb.71:
	v_and_b32_e32 v136, 0xffff, v137
	v_or_b32_e32 v142, 0x10000, v137
	s_delay_alu instid0(VALU_DEP_2) | instskip(NEXT) | instid1(VALU_DEP_2)
	v_cmp_eq_u32_e32 vcc_lo, 0, v136
	v_cndmask_b32_e32 v136, v142, v137, vcc_lo
; %bb.72:
	s_or_b32 exec_lo, exec_lo, s3
	v_and_b32_e32 v137, 0x7f800000, v138
	s_delay_alu instid0(VALU_DEP_1) | instskip(SKIP_1) | instid1(SALU_CYCLE_1)
	v_cmp_ne_u32_e32 vcc_lo, 0x7f800000, v137
                                        ; implicit-def: $vgpr137
	s_and_saveexec_b32 s3, vcc_lo
	s_xor_b32 s3, exec_lo, s3
; %bb.73:
	v_bfe_u32 v137, v138, 16, 1
	s_delay_alu instid0(VALU_DEP_1)
	v_add3_u32 v137, v138, v137, 0x7fff
                                        ; implicit-def: $vgpr138
; %bb.74:
	s_and_not1_saveexec_b32 s3, s3
; %bb.75:
	v_and_b32_e32 v137, 0xffff, v138
	v_or_b32_e32 v142, 0x10000, v138
	s_delay_alu instid0(VALU_DEP_2) | instskip(NEXT) | instid1(VALU_DEP_2)
	v_cmp_eq_u32_e32 vcc_lo, 0, v137
	v_cndmask_b32_e32 v137, v142, v138, vcc_lo
; %bb.76:
	s_or_b32 exec_lo, exec_lo, s3
	s_delay_alu instid0(VALU_DEP_1)
	v_perm_b32 v136, v137, v136, 0x7060302
	v_perm_b32 v135, v135, v141, 0x7060302
	;; [unrolled: 1-line block ×4, first 2 shown]
	v_lshl_or_b32 v142, v152, 11, v140
	ds_store_b128 v131, v[133:136] offset:1024
	s_waitcnt lgkmcnt(0)
	s_barrier
	buffer_gl0_inv
	ds_load_b128 v[132:135], v142
	ds_load_b128 v[150:153], v142 offset:16
	s_waitcnt lgkmcnt(1)
	v_lshrrev_b32_e32 v136, 16, v132
	v_lshlrev_b32_e32 v138, 2, v149
	s_waitcnt lgkmcnt(0)
	v_lshrrev_b32_e32 v158, 16, v150
	v_lshrrev_b32_e32 v143, 16, v133
	v_lshrrev_b32_e32 v163, 16, v151
	v_lshrrev_b32_e32 v144, 16, v134
	v_cmp_eq_u32_e32 vcc_lo, 1, v138
	v_lshrrev_b32_e32 v164, 16, v152
	v_lshrrev_b32_e32 v162, 16, v135
	;; [unrolled: 1-line block ×3, first 2 shown]
	v_cndmask_b32_e32 v141, v132, v136, vcc_lo
	v_or_b32_e32 v139, 1, v138
	v_cmp_eq_u32_e64 s4, 2, v138
	v_cndmask_b32_e32 v154, v150, v158, vcc_lo
	v_cmp_eq_u32_e64 s7, 3, v138
	v_cmp_eq_u32_e64 s9, 4, v138
	;; [unrolled: 1-line block ×3, first 2 shown]
	v_cndmask_b32_e64 v141, v141, v133, s4
	v_cmp_eq_u32_e64 s6, 2, v139
	v_cndmask_b32_e64 v154, v154, v151, s4
	v_cmp_eq_u32_e64 s8, 3, v139
	v_cndmask_b32_e64 v155, v132, v136, s3
	v_cndmask_b32_e64 v141, v141, v143, s7
	v_or_b32_e32 v137, 2, v138
	v_cndmask_b32_e64 v154, v154, v163, s7
	v_cndmask_b32_e64 v156, v150, v158, s3
	;; [unrolled: 1-line block ×4, first 2 shown]
	v_cmp_eq_u32_e64 s10, 5, v138
	v_cndmask_b32_e64 v154, v154, v152, s9
	v_cmp_eq_u32_e64 s11, 4, v139
	v_cndmask_b32_e64 v155, v155, v143, s8
	;; [unrolled: 2-line block ×3, first 2 shown]
	v_cndmask_b32_e64 v141, v141, v144, s10
	v_cmp_eq_u32_e64 s12, 6, v138
	v_cndmask_b32_e64 v155, v155, v134, s11
	v_cndmask_b32_e64 v154, v154, v164, s10
	v_cmp_eq_u32_e64 s13, 5, v139
	v_cndmask_b32_e64 v157, v132, v136, s5
	v_cndmask_b32_e64 v156, v156, v163, s8
	;; [unrolled: 1-line block ×3, first 2 shown]
	v_cmp_eq_u32_e64 s15, 7, v138
	v_cndmask_b32_e64 v155, v155, v144, s13
	v_cndmask_b32_e64 v154, v154, v153, s12
	v_cmp_eq_u32_e64 s16, 6, v139
	v_cmp_eq_u32_e64 s17, 2, v137
	v_cndmask_b32_e64 v156, v156, v152, s11
	v_cndmask_b32_e64 v166, v141, v162, s15
	;; [unrolled: 1-line block ×6, first 2 shown]
	v_cmp_eq_u32_e64 s18, 7, v139
	v_cmp_eq_u32_e64 s19, 3, v137
	;; [unrolled: 1-line block ×4, first 2 shown]
	v_cndmask_b32_e64 v154, v154, v151, s17
	v_cndmask_b32_e64 v168, v155, v162, s18
	v_cndmask_b32_e64 v155, v156, v164, s13
	v_cndmask_b32_e64 v156, v141, v143, s19
	v_or_b32_e32 v141, 3, v138
	v_cndmask_b32_e64 v160, v154, v163, s19
	v_cmp_eq_u32_e64 s24, 6, v137
	v_cndmask_b32_e64 v169, v155, v153, s16
	v_cndmask_b32_e64 v159, v156, v134, s20
	v_cmp_eq_u32_e64 s21, 1, v141
	ds_load_b128 v[154:157], v142 offset:1024
	v_cmp_eq_u32_e64 s23, 2, v141
	v_cmp_eq_u32_e64 s25, 3, v141
	v_cndmask_b32_e64 v170, v159, v144, s22
	v_cndmask_b32_e64 v132, v132, v136, s21
	;; [unrolled: 1-line block ×4, first 2 shown]
	ds_load_b128 v[158:161], v142 offset:1040
	v_cmp_eq_u32_e64 s26, 4, v141
	v_cndmask_b32_e64 v132, v132, v133, s23
	v_cndmask_b32_e64 v133, v136, v164, s22
	;; [unrolled: 1-line block ×3, first 2 shown]
	v_cmp_eq_u32_e64 s28, 5, v141
	v_cmp_eq_u32_e64 s27, 7, v137
	v_cndmask_b32_e64 v132, v132, v143, s25
	v_cndmask_b32_e64 v143, v170, v135, s24
	;; [unrolled: 1-line block ×3, first 2 shown]
	v_cmp_eq_u32_e64 s29, 6, v141
	v_cndmask_b32_e64 v133, v133, v153, s24
	v_cndmask_b32_e64 v132, v132, v134, s26
	s_waitcnt lgkmcnt(1)
	v_lshrrev_b32_e32 v151, 16, v154
	v_cndmask_b32_e64 v134, v136, v152, s26
	v_cndmask_b32_e64 v136, v143, v162, s27
	v_lshrrev_b32_e32 v152, 16, v155
	v_cndmask_b32_e64 v132, v132, v144, s28
	v_cndmask_b32_e64 v163, v154, v151, s3
	;; [unrolled: 1-line block ×3, first 2 shown]
	s_waitcnt lgkmcnt(0)
	v_lshrrev_b32_e32 v144, 16, v158
	v_cndmask_b32_e64 v150, v169, v165, s18
	v_cndmask_b32_e64 v132, v132, v135, s29
	v_cndmask_b32_e32 v143, v154, v151, vcc_lo
	v_cndmask_b32_e64 v134, v134, v153, s29
	v_cndmask_b32_e32 v164, v158, v144, vcc_lo
	v_cmp_eq_u32_e32 vcc_lo, 7, v141
	v_cndmask_b32_e64 v133, v133, v165, s27
	s_delay_alu instid0(VALU_DEP_3)
	v_cndmask_b32_e64 v153, v164, v159, s4
	v_cndmask_b32_e32 v132, v132, v162, vcc_lo
	v_cndmask_b32_e64 v143, v143, v155, s4
	v_lshrrev_b32_e32 v164, 16, v156
	v_cndmask_b32_e32 v134, v134, v165, vcc_lo
	v_lshrrev_b32_e32 v165, 16, v160
	s_delay_alu instid0(VALU_DEP_4) | instskip(SKIP_2) | instid1(VALU_DEP_3)
	v_cndmask_b32_e64 v135, v143, v152, s7
	v_cndmask_b32_e64 v143, v163, v155, s6
	v_lshrrev_b32_e32 v163, 16, v159
	v_cndmask_b32_e64 v135, v135, v156, s9
	s_delay_alu instid0(VALU_DEP_3) | instskip(NEXT) | instid1(VALU_DEP_3)
	v_cndmask_b32_e64 v143, v143, v152, s8
	v_cndmask_b32_e64 v153, v153, v163, s7
	s_delay_alu instid0(VALU_DEP_3) | instskip(NEXT) | instid1(VALU_DEP_3)
	v_cndmask_b32_e64 v162, v135, v164, s10
	v_cndmask_b32_e64 v143, v143, v156, s11
	s_delay_alu instid0(VALU_DEP_3)
	v_cndmask_b32_e64 v153, v153, v160, s9
	v_perm_b32 v135, v134, v132, 0x5040100
	v_perm_b32 v134, v133, v136, 0x5040100
	;; [unrolled: 1-line block ×3, first 2 shown]
	v_cndmask_b32_e64 v132, v143, v164, s13
	v_cndmask_b32_e64 v143, v162, v157, s12
	v_lshrrev_b32_e32 v162, 16, v157
	v_cndmask_b32_e64 v153, v153, v165, s10
	v_lshrrev_b32_e32 v150, 16, v161
	v_cndmask_b32_e64 v132, v132, v157, s16
	s_delay_alu instid0(VALU_DEP_4) | instskip(NEXT) | instid1(VALU_DEP_4)
	v_cndmask_b32_e64 v136, v143, v162, s15
	v_cndmask_b32_e64 v143, v153, v161, s12
	;; [unrolled: 1-line block ×3, first 2 shown]
	s_delay_alu instid0(VALU_DEP_4)
	v_cndmask_b32_e64 v168, v132, v162, s18
	v_cndmask_b32_e64 v132, v154, v151, s5
	v_cndmask_b32_e64 v151, v154, v151, s21
	v_cndmask_b32_e64 v154, v158, v144, s5
	v_cndmask_b32_e64 v144, v158, v144, s3
	v_cndmask_b32_e64 v153, v153, v159, s23
	v_cndmask_b32_e64 v132, v132, v155, s17
	v_cndmask_b32_e64 v151, v151, v155, s23
	v_cndmask_b32_e64 v154, v154, v159, s17
	v_cndmask_b32_e64 v144, v144, v159, s6
	v_cndmask_b32_e64 v143, v143, v150, s15
	v_cndmask_b32_e64 v132, v132, v152, s19
	v_cndmask_b32_e64 v151, v151, v152, s25
	v_cndmask_b32_e64 v152, v153, v163, s25
	v_cndmask_b32_e64 v153, v154, v163, s19
	v_cndmask_b32_e64 v144, v144, v163, s8
	v_cndmask_b32_e64 v132, v132, v156, s20
	v_cndmask_b32_e64 v151, v151, v156, s26
	v_cndmask_b32_e64 v152, v152, v160, s26
	v_cndmask_b32_e64 v153, v153, v160, s20
	v_cndmask_b32_e64 v144, v144, v160, s11
	v_cndmask_b32_e64 v132, v132, v164, s22
	v_cndmask_b32_e64 v151, v151, v164, s28
	v_cndmask_b32_e64 v152, v152, v165, s28
	v_cndmask_b32_e64 v153, v153, v165, s22
	v_cndmask_b32_e64 v144, v144, v165, s13
	v_cndmask_b32_e64 v132, v132, v157, s24
	v_cndmask_b32_e64 v151, v151, v157, s29
	v_cndmask_b32_e64 v152, v152, v161, s29
	v_cndmask_b32_e64 v153, v153, v161, s24
	v_cndmask_b32_e64 v144, v144, v161, s16
	v_cndmask_b32_e64 v154, v132, v162, s27
	v_cndmask_b32_e32 v151, v151, v162, vcc_lo
	v_cndmask_b32_e32 v152, v152, v150, vcc_lo
	v_cndmask_b32_e64 v155, v153, v150, s27
	v_cndmask_b32_e64 v144, v144, v150, s18
	v_perm_b32 v132, v167, v166, 0x5040100
	v_perm_b32 v150, v143, v136, 0x5040100
	;; [unrolled: 1-line block ×5, first 2 shown]
	s_lshl_b32 s8, s35, 1
	s_mov_b32 s3, exec_lo
	ds_store_b128 v131, v[132:135]
	ds_store_b128 v131, v[150:153] offset:1024
	v_cmpx_gt_u32_e32 2, v0
	s_cbranch_execz .LBB687_78
; %bb.77:
	v_or_b32_e32 v131, s31, v0
	s_load_b128 s[4:7], s[0:1], 0x58
	s_delay_alu instid0(VALU_DEP_1) | instskip(NEXT) | instid1(VALU_DEP_1)
	v_mad_u64_u32 v[132:133], null, s8, s30, v[131:132]
	v_mad_u64_u32 v[133:134], null, v132, s34, s[14:15]
	s_delay_alu instid0(VALU_DEP_1) | instskip(NEXT) | instid1(VALU_DEP_1)
	v_ashrrev_i32_e32 v134, 31, v133
	v_lshlrev_b64 v[131:132], 2, v[133:134]
	s_waitcnt lgkmcnt(0)
	s_delay_alu instid0(VALU_DEP_1) | instskip(NEXT) | instid1(VALU_DEP_2)
	v_add_co_u32 v133, vcc_lo, s6, v131
	v_add_co_ci_u32_e32 v134, vcc_lo, s7, v132, vcc_lo
	v_add_co_u32 v131, vcc_lo, s4, v131
	v_add_co_ci_u32_e32 v132, vcc_lo, s5, v132, vcc_lo
	global_store_b32 v[133:134], v129, off
	global_store_b32 v[131:132], v130, off
.LBB687_78:
	s_or_b32 exec_lo, exec_lo, s3
	s_waitcnt lgkmcnt(0)
	s_waitcnt_vscnt null, 0x0
	s_barrier
	buffer_gl0_inv
	ds_load_b128 v[150:153], v140
	ds_load_b128 v[154:157], v140 offset:16
	ds_load_b128 v[162:165], v140 offset:1040
	;; [unrolled: 1-line block ×3, first 2 shown]
	v_mov_b32_e32 v129, 0
	ds_load_b128 v[170:173], v140 offset:2064
	ds_load_b128 v[166:169], v140 offset:2048
	;; [unrolled: 1-line block ×6, first 2 shown]
	v_mov_b32_e32 v130, v129
	v_mov_b32_e32 v131, v129
	;; [unrolled: 1-line block ×7, first 2 shown]
	s_waitcnt lgkmcnt(8)
	s_delay_alu instid0(VALU_DEP_1)
	v_wmma_f32_16x16x16_bf16 v[129:136], v[121:128], v[150:157], v[129:136]
	ds_load_b128 v[125:128], v140 offset:5136
	ds_load_b128 v[121:124], v140 offset:5120
	s_waitcnt lgkmcnt(8)
	v_wmma_f32_16x16x16_bf16 v[129:136], v[113:120], v[158:165], v[129:136]
	ds_load_b128 v[117:120], v140 offset:6160
	ds_load_b128 v[113:116], v140 offset:6144
	s_waitcnt lgkmcnt(8)
	;; [unrolled: 4-line block ×8, first 2 shown]
	v_wmma_f32_16x16x16_bf16 v[129:136], v[65:72], v[97:104], v[129:136]
	s_waitcnt lgkmcnt(6)
	s_delay_alu instid0(VALU_DEP_1)
	v_wmma_f32_16x16x16_bf16 v[129:136], v[49:56], v[89:96], v[129:136]
	ds_load_b128 v[53:56], v140 offset:13328
	ds_load_b128 v[49:52], v140 offset:13312
	s_waitcnt lgkmcnt(6)
	v_wmma_f32_16x16x16_bf16 v[129:136], v[41:48], v[81:88], v[129:136]
	ds_load_b128 v[45:48], v140 offset:14352
	ds_load_b128 v[41:44], v140 offset:14336
	s_waitcnt lgkmcnt(6)
	;; [unrolled: 4-line block ×3, first 2 shown]
	v_wmma_f32_16x16x16_bf16 v[129:136], v[1:8], v[57:64], v[129:136]
	s_waitcnt lgkmcnt(4)
	s_delay_alu instid0(VALU_DEP_1) | instskip(SKIP_1) | instid1(VALU_DEP_1)
	v_wmma_f32_16x16x16_bf16 v[129:136], v[25:32], v[49:56], v[129:136]
	s_waitcnt lgkmcnt(2)
	v_wmma_f32_16x16x16_bf16 v[129:136], v[33:40], v[41:48], v[129:136]
	s_waitcnt lgkmcnt(0)
	s_delay_alu instid0(VALU_DEP_1) | instskip(NEXT) | instid1(VALU_DEP_1)
	v_wmma_f32_16x16x16_bf16 v[129:136], v[9:16], v[17:24], v[129:136]
	v_and_b32_e32 v1, 0x7f800000, v129
	s_delay_alu instid0(VALU_DEP_1) | instskip(SKIP_1) | instid1(SALU_CYCLE_1)
	v_cmp_ne_u32_e32 vcc_lo, 0x7f800000, v1
                                        ; implicit-def: $vgpr1
	s_and_saveexec_b32 s3, vcc_lo
	s_xor_b32 s3, exec_lo, s3
; %bb.79:
	v_bfe_u32 v1, v129, 16, 1
	s_delay_alu instid0(VALU_DEP_1)
	v_add3_u32 v1, v129, v1, 0x7fff
; %bb.80:
	s_and_not1_saveexec_b32 s3, s3
; %bb.81:
	v_and_b32_e32 v1, 0xffff, v129
	v_or_b32_e32 v2, 0x10000, v129
	s_delay_alu instid0(VALU_DEP_2) | instskip(NEXT) | instid1(VALU_DEP_2)
	v_cmp_eq_u32_e32 vcc_lo, 0, v1
	v_cndmask_b32_e32 v1, v2, v129, vcc_lo
; %bb.82:
	s_or_b32 exec_lo, exec_lo, s3
	v_and_b32_e32 v2, 0x7f800000, v130
	s_delay_alu instid0(VALU_DEP_1) | instskip(SKIP_1) | instid1(SALU_CYCLE_1)
	v_cmp_ne_u32_e32 vcc_lo, 0x7f800000, v2
                                        ; implicit-def: $vgpr2
	s_and_saveexec_b32 s3, vcc_lo
	s_xor_b32 s3, exec_lo, s3
; %bb.83:
	v_bfe_u32 v2, v130, 16, 1
	s_delay_alu instid0(VALU_DEP_1)
	v_add3_u32 v2, v130, v2, 0x7fff
; %bb.84:
	s_and_not1_saveexec_b32 s3, s3
; %bb.85:
	v_and_b32_e32 v2, 0xffff, v130
	v_or_b32_e32 v3, 0x10000, v130
	s_delay_alu instid0(VALU_DEP_2) | instskip(NEXT) | instid1(VALU_DEP_2)
	v_cmp_eq_u32_e32 vcc_lo, 0, v2
	v_cndmask_b32_e32 v2, v3, v130, vcc_lo
; %bb.86:
	s_or_b32 exec_lo, exec_lo, s3
	v_and_b32_e32 v3, 0x7f800000, v131
	s_delay_alu instid0(VALU_DEP_1) | instskip(SKIP_1) | instid1(SALU_CYCLE_1)
	v_cmp_ne_u32_e32 vcc_lo, 0x7f800000, v3
                                        ; implicit-def: $vgpr3
	s_and_saveexec_b32 s3, vcc_lo
	s_xor_b32 s3, exec_lo, s3
; %bb.87:
	v_bfe_u32 v3, v131, 16, 1
	s_delay_alu instid0(VALU_DEP_1)
	v_add3_u32 v3, v131, v3, 0x7fff
; %bb.88:
	s_and_not1_saveexec_b32 s3, s3
; %bb.89:
	v_and_b32_e32 v3, 0xffff, v131
	v_or_b32_e32 v4, 0x10000, v131
	s_delay_alu instid0(VALU_DEP_2) | instskip(NEXT) | instid1(VALU_DEP_2)
	v_cmp_eq_u32_e32 vcc_lo, 0, v3
	v_cndmask_b32_e32 v3, v4, v131, vcc_lo
; %bb.90:
	s_or_b32 exec_lo, exec_lo, s3
	v_and_b32_e32 v4, 0x7f800000, v132
	s_delay_alu instid0(VALU_DEP_1) | instskip(SKIP_1) | instid1(SALU_CYCLE_1)
	v_cmp_ne_u32_e32 vcc_lo, 0x7f800000, v4
                                        ; implicit-def: $vgpr4
	s_and_saveexec_b32 s3, vcc_lo
	s_xor_b32 s3, exec_lo, s3
; %bb.91:
	v_bfe_u32 v4, v132, 16, 1
	s_delay_alu instid0(VALU_DEP_1)
	v_add3_u32 v4, v132, v4, 0x7fff
; %bb.92:
	s_and_not1_saveexec_b32 s3, s3
; %bb.93:
	v_and_b32_e32 v4, 0xffff, v132
	v_or_b32_e32 v5, 0x10000, v132
	s_delay_alu instid0(VALU_DEP_2) | instskip(NEXT) | instid1(VALU_DEP_2)
	v_cmp_eq_u32_e32 vcc_lo, 0, v4
	v_cndmask_b32_e32 v4, v5, v132, vcc_lo
; %bb.94:
	s_or_b32 exec_lo, exec_lo, s3
	v_and_b32_e32 v5, 0x7f800000, v133
	s_delay_alu instid0(VALU_DEP_1) | instskip(SKIP_1) | instid1(SALU_CYCLE_1)
	v_cmp_ne_u32_e32 vcc_lo, 0x7f800000, v5
                                        ; implicit-def: $vgpr5
	s_and_saveexec_b32 s3, vcc_lo
	s_xor_b32 s3, exec_lo, s3
; %bb.95:
	v_bfe_u32 v5, v133, 16, 1
	s_delay_alu instid0(VALU_DEP_1)
	v_add3_u32 v5, v133, v5, 0x7fff
; %bb.96:
	s_and_not1_saveexec_b32 s3, s3
; %bb.97:
	v_and_b32_e32 v5, 0xffff, v133
	v_or_b32_e32 v6, 0x10000, v133
	s_delay_alu instid0(VALU_DEP_2) | instskip(NEXT) | instid1(VALU_DEP_2)
	v_cmp_eq_u32_e32 vcc_lo, 0, v5
	v_cndmask_b32_e32 v5, v6, v133, vcc_lo
; %bb.98:
	s_or_b32 exec_lo, exec_lo, s3
	v_and_b32_e32 v6, 0x7f800000, v134
	s_delay_alu instid0(VALU_DEP_1) | instskip(SKIP_1) | instid1(SALU_CYCLE_1)
	v_cmp_ne_u32_e32 vcc_lo, 0x7f800000, v6
                                        ; implicit-def: $vgpr6
	s_and_saveexec_b32 s3, vcc_lo
	s_xor_b32 s3, exec_lo, s3
; %bb.99:
	v_bfe_u32 v6, v134, 16, 1
	s_delay_alu instid0(VALU_DEP_1)
	v_add3_u32 v6, v134, v6, 0x7fff
; %bb.100:
	s_and_not1_saveexec_b32 s3, s3
; %bb.101:
	v_and_b32_e32 v6, 0xffff, v134
	v_or_b32_e32 v7, 0x10000, v134
	s_delay_alu instid0(VALU_DEP_2) | instskip(NEXT) | instid1(VALU_DEP_2)
	v_cmp_eq_u32_e32 vcc_lo, 0, v6
	v_cndmask_b32_e32 v6, v7, v134, vcc_lo
; %bb.102:
	s_or_b32 exec_lo, exec_lo, s3
	v_and_b32_e32 v7, 0x7f800000, v135
	s_delay_alu instid0(VALU_DEP_1) | instskip(SKIP_1) | instid1(SALU_CYCLE_1)
	v_cmp_ne_u32_e32 vcc_lo, 0x7f800000, v7
                                        ; implicit-def: $vgpr7
	s_and_saveexec_b32 s3, vcc_lo
	s_xor_b32 s3, exec_lo, s3
; %bb.103:
	v_bfe_u32 v7, v135, 16, 1
	s_delay_alu instid0(VALU_DEP_1)
	v_add3_u32 v7, v135, v7, 0x7fff
; %bb.104:
	s_and_not1_saveexec_b32 s3, s3
; %bb.105:
	v_and_b32_e32 v7, 0xffff, v135
	v_or_b32_e32 v8, 0x10000, v135
	s_delay_alu instid0(VALU_DEP_2) | instskip(NEXT) | instid1(VALU_DEP_2)
	v_cmp_eq_u32_e32 vcc_lo, 0, v7
	v_cndmask_b32_e32 v7, v8, v135, vcc_lo
; %bb.106:
	s_or_b32 exec_lo, exec_lo, s3
	v_and_b32_e32 v8, 0x7f800000, v136
	s_delay_alu instid0(VALU_DEP_1) | instskip(SKIP_1) | instid1(SALU_CYCLE_1)
	v_cmp_ne_u32_e32 vcc_lo, 0x7f800000, v8
                                        ; implicit-def: $vgpr8
	s_and_saveexec_b32 s3, vcc_lo
	s_xor_b32 s3, exec_lo, s3
; %bb.107:
	v_bfe_u32 v8, v136, 16, 1
	s_delay_alu instid0(VALU_DEP_1)
	v_add3_u32 v8, v136, v8, 0x7fff
                                        ; implicit-def: $vgpr129_vgpr130_vgpr131_vgpr132_vgpr133_vgpr134_vgpr135_vgpr136
; %bb.108:
	s_and_not1_saveexec_b32 s3, s3
; %bb.109:
	v_and_b32_e32 v8, 0xffff, v136
	v_or_b32_e32 v9, 0x10000, v136
	s_delay_alu instid0(VALU_DEP_2) | instskip(NEXT) | instid1(VALU_DEP_2)
	v_cmp_eq_u32_e32 vcc_lo, 0, v8
	v_cndmask_b32_e32 v8, v9, v136, vcc_lo
; %bb.110:
	s_or_b32 exec_lo, exec_lo, s3
	s_delay_alu instid0(VALU_DEP_1)
	v_perm_b32 v7, v8, v7, 0x7060302
	v_perm_b32 v6, v6, v5, 0x7060302
	;; [unrolled: 1-line block ×4, first 2 shown]
	v_lshl_or_b32 v9, v149, 4, v142
	s_barrier
	buffer_gl0_inv
	v_cmp_eq_u32_e32 vcc_lo, 1, v138
	ds_store_b128 v9, v[4:7]
	s_waitcnt lgkmcnt(0)
	s_barrier
	buffer_gl0_inv
	ds_load_b128 v[1:4], v142
	ds_load_b128 v[5:8], v142 offset:16
	v_cmp_eq_u32_e64 s4, 2, v138
	v_cmp_eq_u32_e64 s3, 1, v139
	;; [unrolled: 1-line block ×5, first 2 shown]
	s_waitcnt lgkmcnt(1)
	v_lshrrev_b32_e32 v10, 16, v1
	s_waitcnt lgkmcnt(0)
	v_lshrrev_b32_e32 v14, 16, v5
	v_lshrrev_b32_e32 v15, 16, v6
	;; [unrolled: 1-line block ×4, first 2 shown]
	v_cndmask_b32_e64 v20, v1, v10, s3
	v_cndmask_b32_e32 v19, v5, v14, vcc_lo
	v_cndmask_b32_e64 v21, v5, v14, s3
	v_lshrrev_b32_e32 v16, 16, v7
	v_cmp_eq_u32_e64 s3, 1, v137
	v_lshrrev_b32_e32 v13, 16, v4
	v_cndmask_b32_e64 v19, v19, v6, s4
	v_lshrrev_b32_e32 v17, 16, v8
	s_delay_alu instid0(VALU_DEP_4) | instskip(SKIP_1) | instid1(VALU_DEP_4)
	v_cndmask_b32_e64 v22, v1, v10, s3
	v_cndmask_b32_e64 v23, v5, v14, s3
	;; [unrolled: 1-line block ×3, first 2 shown]
	v_cndmask_b32_e32 v18, v1, v10, vcc_lo
	v_cmp_eq_u32_e32 vcc_lo, 2, v139
	v_cmp_eq_u32_e64 s3, 2, v141
	v_cndmask_b32_e64 v22, v22, v2, s7
	v_cndmask_b32_e32 v20, v20, v2, vcc_lo
	v_cndmask_b32_e32 v21, v21, v6, vcc_lo
	v_cmp_eq_u32_e32 vcc_lo, 4, v138
	v_cndmask_b32_e32 v19, v19, v7, vcc_lo
	v_cndmask_b32_e64 v18, v18, v2, s4
	v_cmp_eq_u32_e64 s4, 3, v139
	s_delay_alu instid0(VALU_DEP_2) | instskip(NEXT) | instid1(VALU_DEP_2)
	v_cndmask_b32_e64 v18, v18, v11, s5
	v_cndmask_b32_e64 v21, v21, v15, s4
	v_cmp_eq_u32_e64 s5, 5, v138
	s_delay_alu instid0(VALU_DEP_3) | instskip(SKIP_1) | instid1(VALU_DEP_3)
	v_cndmask_b32_e32 v18, v18, v3, vcc_lo
	v_cmp_eq_u32_e32 vcc_lo, 4, v139
	v_cndmask_b32_e64 v19, v19, v16, s5
	s_delay_alu instid0(VALU_DEP_3) | instskip(SKIP_4) | instid1(VALU_DEP_3)
	v_cndmask_b32_e64 v18, v18, v12, s5
	v_cndmask_b32_e32 v21, v21, v7, vcc_lo
	v_cndmask_b32_e64 v20, v20, v11, s4
	v_cmp_eq_u32_e64 s4, 5, v139
	v_cmp_eq_u32_e64 s5, 6, v138
	v_cndmask_b32_e32 v20, v20, v3, vcc_lo
	s_delay_alu instid0(VALU_DEP_3) | instskip(SKIP_1) | instid1(VALU_DEP_4)
	v_cndmask_b32_e64 v21, v21, v16, s4
	v_cmp_eq_u32_e32 vcc_lo, 6, v139
	v_cndmask_b32_e64 v18, v18, v4, s5
	v_cndmask_b32_e64 v19, v19, v8, s5
	;; [unrolled: 1-line block ×3, first 2 shown]
	v_cmp_eq_u32_e64 s4, 1, v141
	v_cmp_eq_u32_e64 s5, 7, v138
	s_delay_alu instid0(VALU_DEP_3) | instskip(NEXT) | instid1(VALU_DEP_3)
	v_cndmask_b32_e32 v20, v20, v4, vcc_lo
	v_cndmask_b32_e64 v1, v1, v10, s4
	v_cndmask_b32_e64 v5, v5, v14, s4
	v_cmp_eq_u32_e64 s4, 3, v137
	v_cndmask_b32_e64 v14, v23, v6, s7
	v_cmp_eq_u32_e64 s7, 3, v141
	v_cndmask_b32_e64 v1, v1, v2, s3
	v_cndmask_b32_e64 v2, v5, v6, s3
	;; [unrolled: 1-line block ×3, first 2 shown]
	v_cmp_eq_u32_e64 s3, 4, v137
	v_cndmask_b32_e64 v6, v14, v15, s4
	v_cndmask_b32_e64 v1, v1, v11, s7
	v_cmp_eq_u32_e64 s4, 4, v141
	v_cndmask_b32_e64 v2, v2, v15, s7
	v_cndmask_b32_e64 v5, v10, v3, s3
	;; [unrolled: 3-line block ×3, first 2 shown]
	v_cndmask_b32_e64 v2, v2, v7, s4
	v_cmp_eq_u32_e64 s3, 5, v141
	v_cndmask_b32_e64 v5, v5, v12, s7
	v_cmp_eq_u32_e64 s4, 6, v137
	;; [unrolled: 2-line block ×3, first 2 shown]
	v_cndmask_b32_e64 v1, v1, v12, s3
	v_cndmask_b32_e64 v2, v2, v16, s3
	;; [unrolled: 1-line block ×4, first 2 shown]
	v_cmp_eq_u32_e64 s3, 7, v141
	v_cndmask_b32_e64 v1, v1, v4, s7
	v_cndmask_b32_e64 v2, v2, v8, s7
	v_cmp_eq_u32_e64 s4, 7, v137
	v_cndmask_b32_e32 v4, v21, v8, vcc_lo
	v_cndmask_b32_e64 v18, v18, v13, s5
	v_cndmask_b32_e64 v20, v20, v13, s6
	;; [unrolled: 1-line block ×8, first 2 shown]
	s_delay_alu instid0(VALU_DEP_4) | instskip(NEXT) | instid1(VALU_DEP_4)
	v_perm_b32 v4, v2, v1, 0x5040100
	v_perm_b32 v3, v3, v5, 0x5040100
	s_delay_alu instid0(VALU_DEP_4) | instskip(NEXT) | instid1(VALU_DEP_4)
	v_perm_b32 v2, v6, v20, 0x5040100
	v_perm_b32 v1, v7, v18, 0x5040100
	ds_store_b128 v9, v[1:4]
	s_waitcnt lgkmcnt(0)
	s_barrier
	buffer_gl0_inv
	s_and_saveexec_b32 s3, s2
	s_cbranch_execz .LBB687_2
; %bb.111:
	s_load_b64 s[0:1], s[0:1], 0x68
	v_lshlrev_b32_e32 v0, 10, v0
	s_lshl_b32 s2, s34, 7
	v_lshlrev_b32_e32 v1, 4, v148
	v_mul_lo_u32 v4, s2, v147
	s_mul_i32 s3, s2, s30
	v_and_b32_e32 v0, 0x3800, v0
	s_mul_i32 s2, s3, s8
	s_delay_alu instid0(SALU_CYCLE_1) | instskip(NEXT) | instid1(VALU_DEP_1)
	s_ashr_i32 s3, s2, 31
	v_or3_b32 v0, v0, v146, v1
	s_lshl_b64 s[2:3], s[2:3], 1
	s_delay_alu instid0(VALU_DEP_3)
	v_ashrrev_i32_e32 v5, 31, v4
	ds_load_b128 v[0:3], v0
	v_lshlrev_b64 v[4:5], 1, v[4:5]
	s_waitcnt lgkmcnt(0)
	s_add_u32 s2, s0, s2
	s_addc_u32 s3, s1, s3
	s_lshl_b32 s0, s14, 7
	s_delay_alu instid0(SALU_CYCLE_1) | instskip(NEXT) | instid1(SALU_CYCLE_1)
	s_ashr_i32 s1, s0, 31
	s_lshl_b64 s[0:1], s[0:1], 1
	s_delay_alu instid0(SALU_CYCLE_1) | instskip(SKIP_3) | instid1(VALU_DEP_2)
	s_add_u32 s0, s2, s0
	s_addc_u32 s1, s3, s1
	v_add_co_u32 v4, vcc_lo, s0, v4
	v_add_co_ci_u32_e32 v5, vcc_lo, s1, v5, vcc_lo
	v_add_co_u32 v4, vcc_lo, v4, v145
	s_delay_alu instid0(VALU_DEP_2)
	v_add_co_ci_u32_e32 v5, vcc_lo, 0, v5, vcc_lo
	global_store_b128 v[4:5], v[0:3], off
	s_nop 0
	s_sendmsg sendmsg(MSG_DEALLOC_VGPRS)
	s_endpgm
	.section	.rodata,"a",@progbits
	.p2align	6, 0x0
	.amdhsa_kernel _Z39paged_attention_ll4mi_QKV_mfma16_kernelI14__hip_bfloat16S0_LN4vllm18Fp8KVCacheDataTypeE0ES0_Li16ELi128ELi256ELb0ELi2EL8MFMAType0EEvPKT_PKT0_S9_ifPKiSB_SB_iPKfiiiPfSE_PS4_PT2_iSD_SD_
		.amdhsa_group_segment_fixed_size 17472
		.amdhsa_private_segment_fixed_size 0
		.amdhsa_kernarg_size 400
		.amdhsa_user_sgpr_count 13
		.amdhsa_user_sgpr_dispatch_ptr 0
		.amdhsa_user_sgpr_queue_ptr 0
		.amdhsa_user_sgpr_kernarg_segment_ptr 1
		.amdhsa_user_sgpr_dispatch_id 0
		.amdhsa_user_sgpr_private_segment_size 0
		.amdhsa_wavefront_size32 1
		.amdhsa_uses_dynamic_stack 0
		.amdhsa_enable_private_segment 0
		.amdhsa_system_sgpr_workgroup_id_x 1
		.amdhsa_system_sgpr_workgroup_id_y 1
		.amdhsa_system_sgpr_workgroup_id_z 1
		.amdhsa_system_sgpr_workgroup_info 0
		.amdhsa_system_vgpr_workitem_id 0
		.amdhsa_next_free_vgpr 230
		.amdhsa_next_free_sgpr 52
		.amdhsa_reserve_vcc 1
		.amdhsa_float_round_mode_32 0
		.amdhsa_float_round_mode_16_64 0
		.amdhsa_float_denorm_mode_32 3
		.amdhsa_float_denorm_mode_16_64 3
		.amdhsa_dx10_clamp 1
		.amdhsa_ieee_mode 1
		.amdhsa_fp16_overflow 0
		.amdhsa_workgroup_processor_mode 1
		.amdhsa_memory_ordered 1
		.amdhsa_forward_progress 0
		.amdhsa_shared_vgpr_count 0
		.amdhsa_exception_fp_ieee_invalid_op 0
		.amdhsa_exception_fp_denorm_src 0
		.amdhsa_exception_fp_ieee_div_zero 0
		.amdhsa_exception_fp_ieee_overflow 0
		.amdhsa_exception_fp_ieee_underflow 0
		.amdhsa_exception_fp_ieee_inexact 0
		.amdhsa_exception_int_div_zero 0
	.end_amdhsa_kernel
	.section	.text._Z39paged_attention_ll4mi_QKV_mfma16_kernelI14__hip_bfloat16S0_LN4vllm18Fp8KVCacheDataTypeE0ES0_Li16ELi128ELi256ELb0ELi2EL8MFMAType0EEvPKT_PKT0_S9_ifPKiSB_SB_iPKfiiiPfSE_PS4_PT2_iSD_SD_,"axG",@progbits,_Z39paged_attention_ll4mi_QKV_mfma16_kernelI14__hip_bfloat16S0_LN4vllm18Fp8KVCacheDataTypeE0ES0_Li16ELi128ELi256ELb0ELi2EL8MFMAType0EEvPKT_PKT0_S9_ifPKiSB_SB_iPKfiiiPfSE_PS4_PT2_iSD_SD_,comdat
.Lfunc_end687:
	.size	_Z39paged_attention_ll4mi_QKV_mfma16_kernelI14__hip_bfloat16S0_LN4vllm18Fp8KVCacheDataTypeE0ES0_Li16ELi128ELi256ELb0ELi2EL8MFMAType0EEvPKT_PKT0_S9_ifPKiSB_SB_iPKfiiiPfSE_PS4_PT2_iSD_SD_, .Lfunc_end687-_Z39paged_attention_ll4mi_QKV_mfma16_kernelI14__hip_bfloat16S0_LN4vllm18Fp8KVCacheDataTypeE0ES0_Li16ELi128ELi256ELb0ELi2EL8MFMAType0EEvPKT_PKT0_S9_ifPKiSB_SB_iPKfiiiPfSE_PS4_PT2_iSD_SD_
                                        ; -- End function
	.section	.AMDGPU.csdata,"",@progbits
; Kernel info:
; codeLenInByte = 10052
; NumSgprs: 54
; NumVgprs: 230
; ScratchSize: 0
; MemoryBound: 0
; FloatMode: 240
; IeeeMode: 1
; LDSByteSize: 17472 bytes/workgroup (compile time only)
; SGPRBlocks: 6
; VGPRBlocks: 28
; NumSGPRsForWavesPerEU: 54
; NumVGPRsForWavesPerEU: 230
; Occupancy: 6
; WaveLimiterHint : 1
; COMPUTE_PGM_RSRC2:SCRATCH_EN: 0
; COMPUTE_PGM_RSRC2:USER_SGPR: 13
; COMPUTE_PGM_RSRC2:TRAP_HANDLER: 0
; COMPUTE_PGM_RSRC2:TGID_X_EN: 1
; COMPUTE_PGM_RSRC2:TGID_Y_EN: 1
; COMPUTE_PGM_RSRC2:TGID_Z_EN: 1
; COMPUTE_PGM_RSRC2:TIDIG_COMP_CNT: 0
	.section	.text._Z39paged_attention_ll4mi_QKV_mfma16_kernelI14__hip_bfloat16S0_LN4vllm18Fp8KVCacheDataTypeE0ES0_Li16ELi128ELi256ELb0ELi3EL8MFMAType0EEvPKT_PKT0_S9_ifPKiSB_SB_iPKfiiiPfSE_PS4_PT2_iSD_SD_,"axG",@progbits,_Z39paged_attention_ll4mi_QKV_mfma16_kernelI14__hip_bfloat16S0_LN4vllm18Fp8KVCacheDataTypeE0ES0_Li16ELi128ELi256ELb0ELi3EL8MFMAType0EEvPKT_PKT0_S9_ifPKiSB_SB_iPKfiiiPfSE_PS4_PT2_iSD_SD_,comdat
	.protected	_Z39paged_attention_ll4mi_QKV_mfma16_kernelI14__hip_bfloat16S0_LN4vllm18Fp8KVCacheDataTypeE0ES0_Li16ELi128ELi256ELb0ELi3EL8MFMAType0EEvPKT_PKT0_S9_ifPKiSB_SB_iPKfiiiPfSE_PS4_PT2_iSD_SD_ ; -- Begin function _Z39paged_attention_ll4mi_QKV_mfma16_kernelI14__hip_bfloat16S0_LN4vllm18Fp8KVCacheDataTypeE0ES0_Li16ELi128ELi256ELb0ELi3EL8MFMAType0EEvPKT_PKT0_S9_ifPKiSB_SB_iPKfiiiPfSE_PS4_PT2_iSD_SD_
	.globl	_Z39paged_attention_ll4mi_QKV_mfma16_kernelI14__hip_bfloat16S0_LN4vllm18Fp8KVCacheDataTypeE0ES0_Li16ELi128ELi256ELb0ELi3EL8MFMAType0EEvPKT_PKT0_S9_ifPKiSB_SB_iPKfiiiPfSE_PS4_PT2_iSD_SD_
	.p2align	8
	.type	_Z39paged_attention_ll4mi_QKV_mfma16_kernelI14__hip_bfloat16S0_LN4vllm18Fp8KVCacheDataTypeE0ES0_Li16ELi128ELi256ELb0ELi3EL8MFMAType0EEvPKT_PKT0_S9_ifPKiSB_SB_iPKfiiiPfSE_PS4_PT2_iSD_SD_,@function
_Z39paged_attention_ll4mi_QKV_mfma16_kernelI14__hip_bfloat16S0_LN4vllm18Fp8KVCacheDataTypeE0ES0_Li16ELi128ELi256ELb0ELi3EL8MFMAType0EEvPKT_PKT0_S9_ifPKiSB_SB_iPKfiiiPfSE_PS4_PT2_iSD_SD_: ; @_Z39paged_attention_ll4mi_QKV_mfma16_kernelI14__hip_bfloat16S0_LN4vllm18Fp8KVCacheDataTypeE0ES0_Li16ELi128ELi256ELb0ELi3EL8MFMAType0EEvPKT_PKT0_S9_ifPKiSB_SB_iPKfiiiPfSE_PS4_PT2_iSD_SD_
; %bb.0:
	s_load_b64 s[4:5], s[0:1], 0x30
	s_mov_b32 s30, s13
	s_waitcnt lgkmcnt(0)
	s_cmp_lg_u64 s[4:5], 0
	s_cselect_b32 s8, -1, 0
	s_ashr_i32 s31, s13, 31
	s_cmp_eq_u64 s[4:5], 0
	s_cbranch_scc1 .LBB688_3
; %bb.1:
	s_lshl_b64 s[2:3], s[30:31], 2
	s_delay_alu instid0(SALU_CYCLE_1) | instskip(SKIP_4) | instid1(SALU_CYCLE_1)
	s_add_u32 s2, s4, s2
	s_addc_u32 s3, s5, s3
	s_load_b64 s[2:3], s[2:3], 0x0
	s_waitcnt lgkmcnt(0)
	s_sub_i32 s2, s3, s2
	s_cmp_eq_u32 s2, 1
	s_cselect_b32 s2, -1, 0
	s_delay_alu instid0(SALU_CYCLE_1)
	s_and_not1_b32 vcc_lo, exec_lo, s2
	s_cbranch_vccz .LBB688_4
.LBB688_2:
	s_nop 0
	s_sendmsg sendmsg(MSG_DEALLOC_VGPRS)
	s_endpgm
.LBB688_3:
.LBB688_4:
	s_load_b64 s[2:3], s[0:1], 0x28
	s_lshl_b64 s[6:7], s[30:31], 2
	s_waitcnt lgkmcnt(0)
	s_add_u32 s2, s2, s6
	s_addc_u32 s3, s3, s7
	s_lshl_b32 s29, s14, 8
	s_load_b32 s28, s[2:3], 0x0
	s_waitcnt lgkmcnt(0)
	s_cmp_ge_i32 s29, s28
	s_cbranch_scc1 .LBB688_2
; %bb.5:
	s_clause 0x1
	s_load_b128 s[20:23], s[0:1], 0x8
	s_load_b64 s[2:3], s[0:1], 0x20
	s_and_not1_b32 vcc_lo, exec_lo, s8
	s_cbranch_vccnz .LBB688_7
; %bb.6:
	s_add_u32 s4, s4, s6
	s_addc_u32 s5, s5, s7
	s_load_b32 s5, s[4:5], 0x0
	s_branch .LBB688_8
.LBB688_7:
	s_mov_b32 s5, s30
.LBB688_8:
	s_load_b128 s[16:19], s[0:1], 0x48
	v_and_b32_e32 v140, 15, v0
	v_lshrrev_b32_e32 v141, 5, v0
	v_bfe_u32 v138, v0, 4, 1
	v_and_b32_e32 v142, 31, v0
	v_and_b32_e32 v139, 1, v0
	v_lshlrev_b32_e32 v2, 3, v140
	s_mul_i32 s31, s15, 3
	v_lshl_or_b32 v1, v141, 1, v138
	s_mov_b32 s4, exec_lo
	s_delay_alu instid0(VALU_DEP_2) | instskip(NEXT) | instid1(VALU_DEP_2)
	v_lshlrev_b32_e32 v137, 1, v2
	v_cmpx_gt_u32_e32 3, v1
	s_cbranch_execz .LBB688_10
; %bb.9:
	s_load_b64 s[6:7], s[0:1], 0x0
	v_add_lshl_u32 v2, v1, s31, 7
	s_waitcnt lgkmcnt(0)
	s_mul_hi_i32 s9, s5, s16
	s_mul_i32 s8, s5, s16
	v_lshlrev_b32_e32 v6, 10, v140
	s_lshl_b64 s[8:9], s[8:9], 1
	v_ashrrev_i32_e32 v3, 31, v2
	v_lshlrev_b32_e32 v1, 6, v1
	v_lshlrev_b32_e32 v7, 10, v139
	v_and_b32_e32 v6, 0x3800, v6
	s_delay_alu instid0(VALU_DEP_4) | instskip(NEXT) | instid1(VALU_DEP_2)
	v_lshlrev_b64 v[2:3], 1, v[2:3]
	v_or3_b32 v1, v6, v7, v1
	s_add_u32 s5, s6, s8
	s_addc_u32 s6, s7, s9
	s_delay_alu instid0(VALU_DEP_2) | instskip(NEXT) | instid1(VALU_DEP_3)
	v_add_co_u32 v2, vcc_lo, s5, v2
	v_add_co_ci_u32_e32 v3, vcc_lo, s6, v3, vcc_lo
	s_delay_alu instid0(VALU_DEP_2) | instskip(NEXT) | instid1(VALU_DEP_2)
	v_add_co_u32 v2, vcc_lo, v2, v137
	v_add_co_ci_u32_e32 v3, vcc_lo, 0, v3, vcc_lo
	global_load_b128 v[2:5], v[2:3], off
	s_waitcnt vmcnt(0)
	ds_store_b128 v1, v[2:5]
.LBB688_10:
	s_or_b32 exec_lo, exec_lo, s4
	v_and_b32_e32 v1, 0xef, v0
	s_waitcnt lgkmcnt(0)
	s_add_i32 s5, s28, 15
	s_clause 0x1
	s_load_b32 s4, s[0:1], 0x38
	s_load_b32 s33, s[0:1], 0x1c
	s_ashr_i32 s6, s5, 31
	v_add_nc_u32_e32 v1, s29, v1
	s_lshr_b32 s6, s6, 28
	s_waitcnt lgkmcnt(0)
	s_add_i32 s5, s5, s6
	s_barrier
	v_ashrrev_i32_e32 v2, 31, v1
	v_cmp_gt_i32_e32 vcc_lo, s28, v1
	s_ashr_i32 s16, s5, 4
	buffer_gl0_inv
	s_add_i32 s16, s16, -1
	v_lshrrev_b32_e32 v3, 28, v2
	v_or_b32_e32 v2, 16, v1
	v_mul_lo_u16 v105, 0x56, v140
	v_lshlrev_b32_e32 v106, 5, v140
	s_delay_alu instid0(VALU_DEP_4) | instskip(NEXT) | instid1(VALU_DEP_4)
	v_add_nc_u32_e32 v4, v1, v3
	v_add_nc_u32_e32 v3, v2, v3
	s_mul_i32 s4, s30, s4
	v_lshrrev_b16 v105, 8, v105
	s_ashr_i32 s5, s4, 31
	v_ashrrev_i32_e32 v4, 4, v4
	v_ashrrev_i32_e32 v3, 4, v3
	s_lshl_b64 s[4:5], s[4:5], 2
	v_mul_lo_u16 v105, v105, 3
	s_add_u32 s34, s2, s4
	v_cndmask_b32_e32 v1, s16, v4, vcc_lo
	v_cmp_gt_i32_e32 vcc_lo, s28, v2
	s_addc_u32 s35, s3, s5
	s_mul_i32 s2, s15, s18
	v_sub_nc_u16 v105, v140, v105
	v_ashrrev_i32_e32 v2, 31, v1
	v_cndmask_b32_e32 v3, s16, v3, vcc_lo
	s_ashr_i32 s3, s2, 31
	v_lshl_or_b32 v125, v141, 9, v106
	s_lshl_b64 s[2:3], s[2:3], 1
	v_lshlrev_b64 v[1:2], 2, v[1:2]
	v_ashrrev_i32_e32 v4, 31, v3
	s_add_u32 s24, s20, s2
	s_addc_u32 s25, s21, s3
	s_lshl_b32 s4, s14, 4
	v_and_b32_e32 v105, 0xff, v105
	v_lshlrev_b64 v[3:4], 2, v[3:4]
	v_add_co_u32 v1, vcc_lo, s34, v1
	v_add_co_ci_u32_e32 v2, vcc_lo, s35, v2, vcc_lo
	s_ashr_i32 s5, s4, 31
	s_delay_alu instid0(VALU_DEP_3) | instskip(NEXT) | instid1(VALU_DEP_4)
	v_add_co_u32 v3, vcc_lo, s34, v3
	v_add_co_ci_u32_e32 v4, vcc_lo, s35, v4, vcc_lo
	s_lshl_b64 s[4:5], s[4:5], 2
	s_clause 0x1
	global_load_b32 v5, v[1:2], off
	global_load_b32 v6, v[3:4], off
	s_add_u32 s4, s34, s4
	s_addc_u32 s5, s35, s5
	s_or_b32 s6, s29, 16
	v_lshlrev_b32_e32 v3, 4, v0
	s_ashr_i32 s7, s6, 4
	s_cmp_lt_i32 s6, s28
	v_lshlrev_b32_e32 v215, 6, v105
	s_cselect_b32 s6, s7, s16
	s_delay_alu instid0(SALU_CYCLE_1) | instskip(NEXT) | instid1(SALU_CYCLE_1)
	s_ashr_i32 s7, s6, 31
	s_lshl_b64 s[6:7], s[6:7], 2
	s_delay_alu instid0(SALU_CYCLE_1) | instskip(SKIP_2) | instid1(SALU_CYCLE_1)
	s_add_u32 s6, s34, s6
	s_addc_u32 s7, s35, s7
	s_or_b32 s8, s29, 32
	s_ashr_i32 s9, s8, 4
	s_cmp_lt_i32 s8, s28
	s_cselect_b32 s8, s9, s16
	s_delay_alu instid0(SALU_CYCLE_1) | instskip(NEXT) | instid1(SALU_CYCLE_1)
	s_ashr_i32 s9, s8, 31
	s_lshl_b64 s[8:9], s[8:9], 2
	s_delay_alu instid0(SALU_CYCLE_1) | instskip(SKIP_2) | instid1(SALU_CYCLE_1)
	s_add_u32 s8, s34, s8
	s_addc_u32 s9, s35, s9
	s_or_b32 s10, s29, 48
	s_ashr_i32 s11, s10, 4
	s_cmp_lt_i32 s10, s28
	;; [unrolled: 10-line block ×4, first 2 shown]
	s_cselect_b32 s12, s13, s16
	s_delay_alu instid0(SALU_CYCLE_1) | instskip(NEXT) | instid1(SALU_CYCLE_1)
	s_ashr_i32 s13, s12, 31
	s_lshl_b64 s[12:13], s[12:13], 2
	s_delay_alu instid0(SALU_CYCLE_1)
	s_add_u32 s20, s34, s12
	s_addc_u32 s21, s35, s13
	s_clause 0x5
	s_load_b32 s38, s[4:5], 0x0
	s_load_b32 s37, s[6:7], 0x0
	;; [unrolled: 1-line block ×6, first 2 shown]
	s_waitcnt vmcnt(1)
	v_mad_i64_i32 v[1:2], null, v5, s17, 0
	v_and_b32_e32 v5, 0xf0, v3
	s_waitcnt vmcnt(0)
	v_mad_i64_i32 v[3:4], null, v6, s17, 0
	s_delay_alu instid0(VALU_DEP_2) | instskip(NEXT) | instid1(VALU_DEP_4)
	v_add_co_u32 v5, s4, s24, v5
	v_lshlrev_b64 v[1:2], 1, v[1:2]
	v_add_co_ci_u32_e64 v6, null, s25, 0, s4
	s_delay_alu instid0(VALU_DEP_4) | instskip(SKIP_1) | instid1(VALU_DEP_3)
	v_lshlrev_b64 v[3:4], 1, v[3:4]
	s_or_b32 s4, s29, 0x60
	v_add_co_u32 v121, vcc_lo, v5, v1
	s_delay_alu instid0(VALU_DEP_3) | instskip(NEXT) | instid1(VALU_DEP_3)
	v_add_co_ci_u32_e32 v122, vcc_lo, v6, v2, vcc_lo
	v_add_co_u32 v123, vcc_lo, v5, v3
	s_delay_alu instid0(VALU_DEP_4)
	v_add_co_ci_u32_e32 v124, vcc_lo, v6, v4, vcc_lo
	s_clause 0x19
	global_load_b128 v[89:92], v[121:122], off
	global_load_b128 v[93:96], v[121:122], off offset:256
	global_load_b128 v[97:100], v[123:124], off
	global_load_b128 v[101:104], v[123:124], off offset:256
	global_load_b128 v[81:84], v[121:122], off offset:512
	;; [unrolled: 1-line block ×23, first 2 shown]
	s_ashr_i32 s5, s4, 4
	s_cmp_lt_i32 s4, s28
	ds_load_b128 v[105:108], v215
	ds_load_b128 v[109:112], v215 offset:1024
	s_cselect_b32 s4, s5, s16
	ds_load_b128 v[113:116], v215 offset:2048
	ds_load_b128 v[117:120], v215 offset:3072
	s_ashr_i32 s5, s4, 31
	ds_load_b128 v[143:146], v215 offset:4096
	ds_load_b128 v[147:150], v215 offset:5120
	s_lshl_b64 s[6:7], s[4:5], 2
	ds_load_b128 v[151:154], v215 offset:6144
	ds_load_b128 v[155:158], v215 offset:7168
	s_add_u32 s18, s34, s6
	s_addc_u32 s19, s35, s7
	s_or_b32 s5, s29, 0x70
	ds_load_b128 v[159:162], v215 offset:8192
	ds_load_b128 v[163:166], v215 offset:9216
	s_ashr_i32 s6, s5, 4
	s_cmp_lt_i32 s5, s28
	s_clause 0x1
	global_load_b128 v[167:170], v[123:124], off offset:3072
	global_load_b128 v[171:174], v[123:124], off offset:3328
	s_cselect_b32 s8, s6, s16
	s_mov_b32 s4, 0
	s_ashr_i32 s9, s8, 31
	s_mov_b32 s5, s4
	s_lshl_b64 s[8:9], s[8:9], 2
	s_mov_b32 s6, s4
	s_add_u32 s20, s34, s8
	s_addc_u32 s21, s35, s9
	s_clause 0x1
	s_load_b32 s44, s[18:19], 0x0
	s_load_b32 s45, s[20:21], 0x0
	s_clause 0x3
	global_load_b128 v[175:178], v[121:122], off offset:3584
	global_load_b128 v[179:182], v[121:122], off offset:3840
	;; [unrolled: 1-line block ×4, first 2 shown]
	s_or_b32 s8, s29, 0x80
	s_mov_b32 s7, s4
	s_ashr_i32 s9, s8, 4
	s_cmp_lt_i32 s8, s28
	s_mov_b32 s8, s4
	s_cselect_b32 s10, s9, s16
	s_mov_b32 s9, s4
	s_ashr_i32 s11, s10, 31
	s_delay_alu instid0(SALU_CYCLE_1)
	s_lshl_b64 s[24:25], s[10:11], 2
	s_mov_b32 s10, s4
	s_add_u32 s24, s34, s24
	s_addc_u32 s25, s35, s25
	s_or_b32 s11, s29, 0x90
	s_load_b32 s46, s[24:25], 0x0
	s_ashr_i32 s26, s11, 4
	s_cmp_lt_i32 s11, s28
	s_mov_b32 s11, s4
	s_cselect_b32 s26, s26, s16
	v_mov_b32_e32 v136, s11
	s_ashr_i32 s27, s26, 31
	v_dual_mov_b32 v135, s10 :: v_dual_mov_b32 v134, s9
	v_dual_mov_b32 v133, s8 :: v_dual_mov_b32 v132, s7
	;; [unrolled: 1-line block ×3, first 2 shown]
	v_mov_b32_e32 v129, s4
	s_lshl_b64 s[4:5], s[26:27], 2
	s_waitcnt lgkmcnt(0)
	s_mul_hi_i32 s7, s37, s17
	s_add_u32 s26, s34, s4
	s_addc_u32 s27, s35, s5
	s_or_b32 s4, s29, 0xa0
	s_load_b32 s39, s[26:27], 0x0
	s_ashr_i32 s5, s4, 4
	s_cmp_lt_i32 s4, s28
	s_cselect_b32 s4, s5, s16
	s_delay_alu instid0(SALU_CYCLE_1) | instskip(NEXT) | instid1(SALU_CYCLE_1)
	s_ashr_i32 s5, s4, 31
	s_lshl_b64 s[4:5], s[4:5], 2
	s_delay_alu instid0(SALU_CYCLE_1)
	s_add_u32 s40, s34, s4
	s_addc_u32 s41, s35, s5
	s_or_b32 s4, s29, 0xb0
	s_mul_hi_i32 s5, s38, s17
	s_ashr_i32 s6, s4, 4
	s_cmp_lt_i32 s4, s28
	s_mul_i32 s4, s38, s17
	s_load_b32 s38, s[40:41], 0x0
	s_cselect_b32 s8, s6, s16
	s_mul_i32 s6, s37, s17
	s_ashr_i32 s9, s8, 31
	s_mul_hi_i32 s27, s46, s17
	s_lshl_b64 s[10:11], s[8:9], 2
	s_mul_hi_i32 s9, s36, s17
	s_add_u32 s42, s34, s10
	s_addc_u32 s43, s35, s11
	s_or_b32 s10, s29, 0xc0
	s_mul_i32 s8, s36, s17
	s_ashr_i32 s36, s10, 4
	s_cmp_lt_i32 s10, s28
	s_mul_i32 s26, s46, s17
	s_cselect_b32 s36, s36, s16
	s_mul_hi_i32 s11, s13, s17
	s_ashr_i32 s37, s36, 31
	s_mul_i32 s10, s13, s17
	s_lshl_b64 s[36:37], s[36:37], 2
	s_mul_hi_i32 s13, s12, s17
	s_add_u32 s20, s34, s36
	s_addc_u32 s21, s35, s37
	s_or_b32 s18, s29, 0xd0
	s_mul_i32 s12, s12, s17
	s_ashr_i32 s19, s18, 4
	s_cmp_lt_i32 s18, s28
	s_mul_i32 s18, s15, s17
	s_cselect_b32 s24, s19, s16
	s_mul_hi_i32 s19, s15, s17
	s_ashr_i32 s25, s24, 31
	s_waitcnt lgkmcnt(0)
	s_mul_hi_i32 s41, s39, s17
	s_lshl_b64 s[24:25], s[24:25], 2
	s_delay_alu instid0(SALU_CYCLE_1)
	s_add_u32 s24, s34, s24
	s_addc_u32 s25, s35, s25
	s_or_b32 s40, s29, 0xe0
	s_clause 0x2
	s_load_b32 s37, s[42:43], 0x0
	s_load_b32 s36, s[20:21], 0x0
	;; [unrolled: 1-line block ×3, first 2 shown]
	s_ashr_i32 s47, s40, 4
	s_cmp_lt_i32 s40, s28
	s_mul_hi_i32 s21, s44, s17
	s_cselect_b32 s42, s47, s16
	s_mul_i32 s20, s44, s17
	s_ashr_i32 s43, s42, 31
	s_mul_hi_i32 s25, s45, s17
	s_lshl_b64 s[42:43], s[42:43], 2
	s_mul_i32 s24, s45, s17
	s_add_u32 s42, s34, s42
	s_addc_u32 s43, s35, s43
	s_or_b32 s44, s29, 0xf0
	s_mul_i32 s40, s39, s17
	s_ashr_i32 s46, s44, 4
	s_cmp_lt_i32 s44, s28
	s_mul_hi_i32 s39, s38, s17
	s_cselect_b32 s46, s46, s16
	s_mul_i32 s38, s38, s17
	s_ashr_i32 s47, s46, 31
	s_waitcnt lgkmcnt(0)
	s_mul_hi_i32 s49, s15, s17
	s_lshl_b64 s[46:47], s[46:47], 2
	s_mul_i32 s48, s15, s17
	s_add_u32 s34, s34, s46
	s_addc_u32 s35, s35, s47
	s_add_u32 s15, s22, s2
	s_addc_u32 s16, s23, s3
	v_add_co_u32 v216, s15, s15, v125
	s_delay_alu instid0(VALU_DEP_1) | instskip(SKIP_2) | instid1(VALU_DEP_2)
	v_add_co_ci_u32_e64 v217, null, s16, 0, s15
	s_lshl_b64 s[2:3], s[4:5], 1
	s_lshl_b64 s[4:5], s[6:7], 1
	v_add_co_u32 v125, vcc_lo, v216, s2
	s_delay_alu instid0(VALU_DEP_2)
	v_add_co_ci_u32_e32 v126, vcc_lo, s3, v217, vcc_lo
	v_add_co_u32 v199, vcc_lo, v216, s4
	s_lshl_b64 s[6:7], s[8:9], 1
	v_add_co_ci_u32_e32 v200, vcc_lo, s5, v217, vcc_lo
	s_lshl_b64 s[8:9], s[10:11], 1
	s_lshl_b64 s[10:11], s[12:13], 1
	;; [unrolled: 1-line block ×8, first 2 shown]
	s_mul_hi_i32 s45, s37, s17
	s_mul_i32 s44, s37, s17
	s_mul_hi_i32 s37, s36, s17
	s_lshl_b64 s[38:39], s[44:45], 1
	s_mul_i32 s36, s36, s17
	s_clause 0x1
	s_load_b32 s15, s[42:43], 0x0
	s_load_b32 s16, s[34:35], 0x0
	s_lshl_b64 s[36:37], s[36:37], 1
	s_lshl_b64 s[40:41], s[48:49], 1
	s_waitcnt lgkmcnt(0)
	s_mul_hi_i32 s3, s15, s17
	s_mul_i32 s2, s15, s17
	s_mul_hi_i32 s5, s16, s17
	s_lshl_b64 s[2:3], s[2:3], 1
	s_mul_i32 s4, s16, s17
	s_waitcnt vmcnt(30)
	v_wmma_f32_16x16x16_bf16 v[191:198], v[89:96], v[105:112], v[129:136]
	v_add_co_u32 v89, vcc_lo, v216, s6
	v_add_co_ci_u32_e32 v90, vcc_lo, s7, v217, vcc_lo
	v_add_co_u32 v91, vcc_lo, v216, s8
	v_add_co_ci_u32_e32 v92, vcc_lo, s9, v217, vcc_lo
	;; [unrolled: 2-line block ×5, first 2 shown]
	v_add_co_u32 v205, vcc_lo, v216, s20
	s_waitcnt vmcnt(28)
	v_wmma_f32_16x16x16_bf16 v[129:136], v[97:104], v[105:112], v[129:136]
	v_add_co_ci_u32_e32 v206, vcc_lo, s21, v217, vcc_lo
	v_add_co_u32 v207, vcc_lo, v216, s22
	v_add_co_ci_u32_e32 v208, vcc_lo, s23, v217, vcc_lo
	v_add_co_u32 v209, vcc_lo, v216, s24
	s_waitcnt vmcnt(26)
	v_wmma_f32_16x16x16_bf16 v[191:198], v[81:88], v[113:120], v[191:198]
	s_waitcnt vmcnt(24)
	v_wmma_f32_16x16x16_bf16 v[129:136], v[73:80], v[113:120], v[129:136]
	v_add_co_ci_u32_e32 v210, vcc_lo, s25, v217, vcc_lo
	v_add_co_u32 v211, vcc_lo, v216, s26
	v_add_co_ci_u32_e32 v212, vcc_lo, s27, v217, vcc_lo
	v_add_co_u32 v213, vcc_lo, v216, s38
	s_waitcnt vmcnt(22)
	v_wmma_f32_16x16x16_bf16 v[191:198], v[65:72], v[143:150], v[191:198]
	s_waitcnt vmcnt(20)
	v_wmma_f32_16x16x16_bf16 v[129:136], v[57:64], v[143:150], v[129:136]
	v_add_co_ci_u32_e32 v214, vcc_lo, s39, v217, vcc_lo
	v_add_co_u32 v143, vcc_lo, v216, s36
	s_waitcnt vmcnt(18)
	v_wmma_f32_16x16x16_bf16 v[191:198], v[49:56], v[151:158], v[191:198]
	s_waitcnt vmcnt(16)
	v_wmma_f32_16x16x16_bf16 v[129:136], v[41:48], v[151:158], v[129:136]
	v_add_co_ci_u32_e32 v144, vcc_lo, s37, v217, vcc_lo
	s_clause 0x15
	global_load_b128 v[121:124], v[125:126], off
	global_load_b128 v[125:128], v[125:126], off offset:16
	global_load_b128 v[113:116], v[199:200], off
	global_load_b128 v[117:120], v[199:200], off offset:16
	;; [unrolled: 2-line block ×11, first 2 shown]
	s_waitcnt vmcnt(36)
	v_wmma_f32_16x16x16_bf16 v[191:198], v[17:24], v[159:166], v[191:198]
	s_clause 0x1
	global_load_b128 v[17:20], v[213:214], off
	global_load_b128 v[21:24], v[213:214], off offset:16
	s_waitcnt vmcnt(36)
	v_wmma_f32_16x16x16_bf16 v[129:136], v[1:8], v[159:166], v[129:136]
	s_clause 0x1
	global_load_b128 v[1:4], v[143:144], off
	global_load_b128 v[5:8], v[143:144], off offset:16
	ds_load_b128 v[143:146], v215 offset:10240
	ds_load_b128 v[147:150], v215 offset:11264
	;; [unrolled: 1-line block ×4, first 2 shown]
	v_add_co_u32 v199, vcc_lo, v216, s40
	v_add_co_ci_u32_e32 v200, vcc_lo, s41, v217, vcc_lo
	v_add_co_u32 v159, vcc_lo, v216, s2
	v_add_co_ci_u32_e32 v160, vcc_lo, s3, v217, vcc_lo
	s_lshl_b64 s[2:3], s[4:5], 1
	s_delay_alu instid0(SALU_CYCLE_1)
	v_add_co_u32 v161, vcc_lo, v216, s2
	v_add_co_ci_u32_e32 v162, vcc_lo, s3, v217, vcc_lo
	s_waitcnt vmcnt(36) lgkmcnt(2)
	v_wmma_f32_16x16x16_bf16 v[191:198], v[33:40], v[143:150], v[191:198]
	s_waitcnt vmcnt(34)
	v_wmma_f32_16x16x16_bf16 v[129:136], v[25:32], v[143:150], v[129:136]
	s_clause 0x3
	global_load_b128 v[25:28], v[199:200], off
	global_load_b128 v[29:32], v[199:200], off offset:16
	global_load_b128 v[33:36], v[159:160], off
	global_load_b128 v[37:40], v[159:160], off offset:16
	v_and_b32_e32 v143, 0xe0, v0
	v_mbcnt_lo_u32_b32 v159, -1, 0
	s_waitcnt vmcnt(36) lgkmcnt(0)
	v_wmma_f32_16x16x16_bf16 v[191:198], v[9:16], v[151:158], v[191:198]
	s_clause 0x1
	global_load_b128 v[9:12], v[161:162], off
	global_load_b128 v[13:16], v[161:162], off offset:16
	s_waitcnt vmcnt(36)
	v_wmma_f32_16x16x16_bf16 v[129:136], v[167:174], v[151:158], v[129:136]
	v_add_nc_u32_e32 v160, s29, v143
	ds_load_b128 v[143:146], v215 offset:14336
	ds_load_b128 v[147:150], v215 offset:15360
	v_xor_b32_e32 v151, 16, v159
	s_waitcnt vmcnt(0) lgkmcnt(0)
	s_barrier
	v_or_b32_e32 v152, v160, v138
	buffer_gl0_inv
	v_cmp_gt_i32_e32 vcc_lo, 32, v151
	v_or_b32_e32 v153, 2, v152
	v_or_b32_e32 v154, 4, v152
	;; [unrolled: 1-line block ×5, first 2 shown]
	v_cmp_gt_i32_e64 s2, s28, v153
	v_cmp_gt_i32_e64 s3, s28, v154
	;; [unrolled: 1-line block ×3, first 2 shown]
	v_or_b32_e32 v158, 12, v152
	v_cmp_gt_i32_e64 s5, s28, v156
	v_cmp_gt_i32_e64 s6, s28, v157
	v_wmma_f32_16x16x16_bf16 v[191:198], v[175:182], v[143:150], v[191:198]
	v_wmma_f32_16x16x16_bf16 v[129:136], v[183:190], v[143:150], v[129:136]
	v_cndmask_b32_e32 v151, v159, v151, vcc_lo
	v_cmp_gt_i32_e32 vcc_lo, s28, v152
	v_or_b32_e32 v159, 14, v152
	v_dual_mul_f32 v149, s33, v192 :: v_dual_mul_f32 v150, s33, v191
	v_dual_mul_f32 v147, s33, v194 :: v_dual_mul_f32 v148, s33, v193
	v_dual_mul_f32 v145, s33, v196 :: v_dual_mul_f32 v174, s33, v130
	s_delay_alu instid0(VALU_DEP_3) | instskip(NEXT) | instid1(VALU_DEP_4)
	v_cndmask_b32_e32 v150, 0xff7fffff, v150, vcc_lo
	v_cndmask_b32_e64 v149, 0xff7fffff, v149, s2
	v_mul_f32_e32 v146, s33, v195
	v_cndmask_b32_e64 v148, 0xff7fffff, v148, s3
	v_cndmask_b32_e64 v147, 0xff7fffff, v147, s4
	v_or_b32_e32 v160, 16, v152
	v_max3_f32 v149, v150, 0xff7fffff, v149
	v_or_b32_e32 v161, 18, v152
	v_dual_mul_f32 v143, s33, v198 :: v_dual_mul_f32 v144, s33, v197
	v_cndmask_b32_e64 v146, 0xff7fffff, v146, s5
	v_cndmask_b32_e64 v145, 0xff7fffff, v145, s6
	v_max3_f32 v147, v149, v148, v147
	v_cmp_gt_i32_e64 s7, s28, v158
	v_cmp_gt_i32_e64 s8, s28, v159
	v_or_b32_e32 v162, 20, v152
	v_or_b32_e32 v163, 22, v152
	v_mul_f32_e32 v175, s33, v129
	v_cndmask_b32_e64 v144, 0xff7fffff, v144, s7
	v_cndmask_b32_e64 v143, 0xff7fffff, v143, s8
	v_max3_f32 v145, v147, v146, v145
	v_cmp_gt_i32_e64 s9, s28, v160
	v_cmp_gt_i32_e64 s10, s28, v161
	v_or_b32_e32 v164, 24, v152
	v_or_b32_e32 v165, 26, v152
	v_dual_mul_f32 v172, s33, v132 :: v_dual_mul_f32 v173, s33, v131
	v_cndmask_b32_e64 v146, 0xff7fffff, v175, s9
	v_cndmask_b32_e64 v147, 0xff7fffff, v174, s10
	v_max3_f32 v143, v145, v144, v143
	v_cmp_gt_i32_e64 s11, s28, v162
	v_cmp_gt_i32_e64 s12, s28, v163
	v_or_b32_e32 v166, 28, v152
	v_or_b32_e32 v167, 30, v152
	v_dual_mul_f32 v170, s33, v134 :: v_dual_mul_f32 v171, s33, v133
	v_cndmask_b32_e64 v144, 0xff7fffff, v173, s11
	v_cndmask_b32_e64 v145, 0xff7fffff, v172, s12
	v_max3_f32 v143, v143, v146, v147
	v_cmp_gt_i32_e64 s13, s28, v164
	v_cmp_gt_i32_e64 s15, s28, v165
	v_dual_mul_f32 v168, s33, v136 :: v_dual_mul_f32 v169, s33, v135
	s_delay_alu instid0(VALU_DEP_4) | instskip(NEXT) | instid1(VALU_DEP_4)
	v_max3_f32 v143, v143, v144, v145
	v_cndmask_b32_e64 v146, 0xff7fffff, v171, s13
	s_delay_alu instid0(VALU_DEP_4) | instskip(SKIP_3) | instid1(VALU_DEP_4)
	v_cndmask_b32_e64 v147, 0xff7fffff, v170, s15
	v_cmp_gt_i32_e64 s16, s28, v166
	v_cmp_gt_i32_e64 s17, s28, v167
	v_lshlrev_b32_e32 v154, 2, v151
	v_max3_f32 v143, v143, v146, v147
	s_delay_alu instid0(VALU_DEP_4) | instskip(NEXT) | instid1(VALU_DEP_4)
	v_cndmask_b32_e64 v144, 0xff7fffff, v169, s16
	v_cndmask_b32_e64 v145, 0xff7fffff, v168, s17
	s_delay_alu instid0(VALU_DEP_1) | instskip(SKIP_3) | instid1(VALU_DEP_1)
	v_max3_f32 v143, v143, v144, v145
	ds_bpermute_b32 v144, v154, v143
	s_waitcnt lgkmcnt(0)
	v_max_f32_e32 v144, v144, v144
	v_max_f32_e32 v153, v143, v144
	s_delay_alu instid0(VALU_DEP_1) | instskip(SKIP_4) | instid1(VALU_DEP_4)
	v_fma_f32 v143, s33, v191, -v153
	v_fma_f32 v144, s33, v192, -v153
	;; [unrolled: 1-line block ×5, first 2 shown]
	v_dual_mul_f32 v143, 0x3fb8aa3b, v143 :: v_dual_mul_f32 v144, 0x3fb8aa3b, v144
	s_delay_alu instid0(VALU_DEP_4) | instskip(SKIP_2) | instid1(VALU_DEP_4)
	v_mul_f32_e32 v130, 0x3fb8aa3b, v130
	v_fma_f32 v132, s33, v132, -v153
	v_mul_f32_e32 v145, 0x3fb8aa3b, v145
	v_exp_f32_e32 v143, v143
	v_exp_f32_e32 v147, v144
	v_fma_f32 v148, s33, v195, -v153
	v_mul_f32_e32 v132, 0x3fb8aa3b, v132
	v_mul_f32_e32 v146, 0x3fb8aa3b, v146
	v_exp_f32_e32 v145, v145
	v_fma_f32 v151, s33, v197, -v153
	v_mul_f32_e32 v148, 0x3fb8aa3b, v148
	v_fma_f32 v134, s33, v134, -v153
	v_exp_f32_e32 v149, v146
	v_cndmask_b32_e32 v144, 0, v143, vcc_lo
	v_fma_f32 v143, s33, v196, -v153
	v_cndmask_b32_e64 v146, 0, v147, s2
	v_exp_f32_e32 v148, v148
	s_delay_alu instid0(VALU_DEP_3) | instskip(NEXT) | instid1(VALU_DEP_3)
	v_dual_mul_f32 v151, 0x3fb8aa3b, v151 :: v_dual_add_f32 v150, 0, v144
	v_dual_mul_f32 v143, 0x3fb8aa3b, v143 :: v_dual_mul_f32 v134, 0x3fb8aa3b, v134
	v_cndmask_b32_e64 v147, 0, v145, s3
	s_delay_alu instid0(TRANS32_DEP_2) | instskip(NEXT) | instid1(VALU_DEP_4)
	v_cndmask_b32_e64 v149, 0, v149, s4
	v_add_f32_e32 v145, v150, v146
	v_fma_f32 v150, s33, v198, -v153
	v_exp_f32_e32 v143, v143
	v_fma_f32 v129, s33, v129, -v153
	v_exp_f32_e32 v155, v151
	s_delay_alu instid0(VALU_DEP_2) | instskip(SKIP_1) | instid1(VALU_DEP_3)
	v_dual_add_f32 v145, v145, v147 :: v_dual_mul_f32 v152, 0x3fb8aa3b, v150
	v_cndmask_b32_e64 v150, 0, v148, s5
	v_mul_f32_e32 v129, 0x3fb8aa3b, v129
	v_fma_f32 v131, s33, v131, -v153
	s_delay_alu instid0(VALU_DEP_4) | instskip(SKIP_1) | instid1(TRANS32_DEP_3)
	v_add_f32_e32 v145, v145, v149
	v_exp_f32_e32 v152, v152
	v_cndmask_b32_e64 v151, 0, v143, s6
	v_exp_f32_e32 v129, v129
	s_delay_alu instid0(TRANS32_DEP_3)
	v_cndmask_b32_e64 v148, 0, v155, s7
	v_add_f32_e32 v143, v145, v150
	v_mul_f32_e32 v131, 0x3fb8aa3b, v131
	v_exp_f32_e32 v130, v130
	v_fma_f32 v133, s33, v133, -v153
	v_fma_f32 v136, s33, v136, -v153
	v_add_f32_e32 v143, v143, v151
	v_cndmask_b32_e64 v152, 0, v152, s8
	v_exp_f32_e32 v145, v131
	v_cndmask_b32_e64 v131, 0, v129, s9
	v_mul_f32_e32 v133, 0x3fb8aa3b, v133
	v_add_f32_e32 v143, v143, v148
	v_cmp_gt_u32_e64 s2, 16, v142
	s_delay_alu instid0(VALU_DEP_2)
	v_add_f32_e32 v129, v143, v152
	v_exp_f32_e32 v143, v132
	v_cndmask_b32_e64 v132, 0, v130, s10
	v_fma_f32 v130, s33, v135, -v153
	v_exp_f32_e32 v135, v133
	v_add_f32_e32 v129, v129, v131
	v_cndmask_b32_e64 v133, 0, v145, s11
	v_exp_f32_e32 v145, v134
	s_delay_alu instid0(VALU_DEP_2) | instskip(NEXT) | instid1(TRANS32_DEP_3)
	v_dual_mul_f32 v130, 0x3fb8aa3b, v130 :: v_dual_add_f32 v129, v129, v132
	v_cndmask_b32_e64 v134, 0, v143, s12
	v_mul_f32_e32 v143, 0x3fb8aa3b, v136
	s_delay_alu instid0(VALU_DEP_3) | instskip(NEXT) | instid1(TRANS32_DEP_3)
	v_exp_f32_e32 v130, v130
	v_cndmask_b32_e64 v135, 0, v135, s13
	v_add_f32_e32 v129, v129, v133
	s_delay_alu instid0(TRANS32_DEP_2) | instskip(SKIP_1) | instid1(VALU_DEP_2)
	v_cndmask_b32_e64 v136, 0, v145, s15
	v_exp_f32_e32 v145, v143
	v_add_f32_e32 v129, v129, v134
	s_waitcnt_depctr 0xfff
	v_cndmask_b32_e64 v143, 0, v130, s16
	v_add_f32_e32 v129, v129, v135
	v_cndmask_b32_e64 v145, 0, v145, s17
	s_delay_alu instid0(VALU_DEP_2) | instskip(NEXT) | instid1(VALU_DEP_1)
	v_add_f32_e32 v129, v129, v136
	v_add_f32_e32 v129, v129, v143
	s_delay_alu instid0(VALU_DEP_1)
	v_add_f32_e32 v129, v129, v145
	ds_bpermute_b32 v130, v154, v129
	s_and_saveexec_b32 s3, s2
	s_cbranch_execz .LBB688_12
; %bb.11:
	v_mul_u32_u24_e32 v142, 0x44, v141
	s_waitcnt lgkmcnt(0)
	v_add_f32_e32 v129, v129, v130
	s_delay_alu instid0(VALU_DEP_2) | instskip(NEXT) | instid1(VALU_DEP_1)
	v_lshl_add_u32 v142, v140, 2, v142
	v_add_nc_u32_e32 v130, 0x4000, v142
	ds_store_2addr_b32 v130, v153, v129 offset1:136
.LBB688_12:
	s_or_b32 exec_lo, exec_lo, s3
	v_lshlrev_b32_e32 v129, 2, v140
	s_waitcnt lgkmcnt(0)
	s_barrier
	buffer_gl0_inv
	v_cmp_eq_u32_e64 s3, 1, v141
	v_add_nc_u32_e32 v142, 0x4000, v129
	ds_load_2addr_b32 v[153:154], v142 offset1:17
	ds_load_2addr_b32 v[155:156], v142 offset0:34 offset1:51
	ds_load_2addr_b32 v[157:158], v142 offset0:68 offset1:85
	;; [unrolled: 1-line block ×4, first 2 shown]
	s_waitcnt lgkmcnt(4)
	v_max3_f32 v129, v153, 0xff7fffff, v154
	s_waitcnt lgkmcnt(3)
	s_delay_alu instid0(VALU_DEP_1) | instskip(SKIP_1) | instid1(VALU_DEP_1)
	v_max3_f32 v129, v129, v155, v156
	s_waitcnt lgkmcnt(2)
	v_max3_f32 v129, v129, v157, v158
	s_waitcnt lgkmcnt(1)
	s_delay_alu instid0(VALU_DEP_1) | instskip(NEXT) | instid1(VALU_DEP_1)
	v_max3_f32 v129, v129, v159, v160
	v_sub_f32_e32 v163, v154, v129
	v_sub_f32_e32 v130, v153, v129
	ds_load_2addr_b32 v[153:154], v142 offset0:170 offset1:187
	v_sub_f32_e32 v155, v155, v129
	v_dual_mul_f32 v163, 0x3fb8aa3b, v163 :: v_dual_mul_f32 v130, 0x3fb8aa3b, v130
	s_delay_alu instid0(VALU_DEP_2) | instskip(NEXT) | instid1(VALU_DEP_2)
	v_mul_f32_e32 v165, 0x3fb8aa3b, v155
	v_exp_f32_e32 v163, v163
	s_delay_alu instid0(VALU_DEP_2)
	v_exp_f32_e32 v164, v130
	v_sub_f32_e32 v130, v156, v129
	ds_load_2addr_b32 v[155:156], v142 offset0:204 offset1:221
	v_exp_f32_e32 v165, v165
	v_mul_f32_e32 v166, 0x3fb8aa3b, v130
	s_waitcnt lgkmcnt(2)
	v_fma_f32 v130, v164, v161, 0
	v_sub_f32_e32 v157, v157, v129
	s_delay_alu instid0(VALU_DEP_3) | instskip(NEXT) | instid1(VALU_DEP_2)
	v_exp_f32_e32 v166, v166
	v_dual_sub_f32 v161, v158, v129 :: v_dual_fmac_f32 v130, v163, v162
	s_waitcnt lgkmcnt(1)
	s_waitcnt_depctr 0xfff
	v_fmac_f32_e32 v130, v165, v153
	v_mul_f32_e32 v167, 0x3fb8aa3b, v157
	ds_load_2addr_b32 v[157:158], v142 offset0:238 offset1:255
	v_sub_f32_e32 v142, v159, v129
	v_dual_sub_f32 v153, v160, v129 :: v_dual_fmac_f32 v130, v166, v154
	v_mul_f32_e32 v159, 0x3fb8aa3b, v161
	v_exp_f32_e32 v161, v167
	s_delay_alu instid0(VALU_DEP_2)
	v_dual_mul_f32 v142, 0x3fb8aa3b, v142 :: v_dual_mul_f32 v153, 0x3fb8aa3b, v153
	s_waitcnt lgkmcnt(0)
	s_barrier
	buffer_gl0_inv
	v_exp_f32_e32 v142, v142
	v_exp_f32_e32 v153, v153
	v_fmac_f32_e32 v130, v161, v155
	v_exp_f32_e32 v159, v159
	s_waitcnt_depctr 0xfff
	v_fmac_f32_e32 v130, v159, v156
	s_delay_alu instid0(VALU_DEP_1) | instskip(NEXT) | instid1(VALU_DEP_1)
	v_fmac_f32_e32 v130, v142, v157
	v_fmac_f32_e32 v130, v153, v158
	s_delay_alu instid0(VALU_DEP_1) | instskip(NEXT) | instid1(VALU_DEP_1)
	v_add_f32_e32 v154, 0x358637bd, v130
	v_div_scale_f32 v155, null, v154, v154, 1.0
	v_div_scale_f32 v158, vcc_lo, 1.0, v154, 1.0
	s_delay_alu instid0(VALU_DEP_2) | instskip(SKIP_2) | instid1(VALU_DEP_1)
	v_rcp_f32_e32 v156, v155
	s_waitcnt_depctr 0xfff
	v_fma_f32 v157, -v155, v156, 1.0
	v_fmac_f32_e32 v156, v157, v156
	v_cndmask_b32_e64 v157, v164, v163, s3
	v_cmp_eq_u32_e64 s3, 2, v141
	s_delay_alu instid0(VALU_DEP_3) | instskip(NEXT) | instid1(VALU_DEP_2)
	v_mul_f32_e32 v160, v158, v156
	v_cndmask_b32_e64 v157, v157, v165, s3
	v_cmp_eq_u32_e64 s3, 3, v141
	s_delay_alu instid0(VALU_DEP_3) | instskip(NEXT) | instid1(VALU_DEP_2)
	v_fma_f32 v162, -v155, v160, v158
	v_cndmask_b32_e64 v157, v157, v166, s3
	v_cmp_eq_u32_e64 s3, 4, v141
	s_delay_alu instid0(VALU_DEP_3) | instskip(NEXT) | instid1(VALU_DEP_2)
	v_fmac_f32_e32 v160, v162, v156
	v_cndmask_b32_e64 v157, v157, v161, s3
	s_delay_alu instid0(VALU_DEP_2) | instskip(SKIP_1) | instid1(VALU_DEP_2)
	v_fma_f32 v155, -v155, v160, v158
	v_cmp_eq_u32_e64 s3, 5, v141
	v_div_fmas_f32 v155, v155, v156, v160
	s_delay_alu instid0(VALU_DEP_2) | instskip(SKIP_2) | instid1(VALU_DEP_3)
	v_cndmask_b32_e64 v157, v157, v159, s3
	v_cmp_eq_u32_e32 vcc_lo, 6, v141
	s_mov_b32 s3, exec_lo
	v_div_fixup_f32 v154, v155, v154, 1.0
	s_delay_alu instid0(VALU_DEP_3) | instskip(SKIP_1) | instid1(VALU_DEP_2)
	v_cndmask_b32_e32 v142, v157, v142, vcc_lo
	v_cmp_eq_u32_e32 vcc_lo, 7, v141
	v_cndmask_b32_e32 v142, v142, v153, vcc_lo
	s_delay_alu instid0(VALU_DEP_1) | instskip(NEXT) | instid1(VALU_DEP_1)
	v_mul_f32_e32 v142, v142, v154
	v_mul_f32_e32 v153, v142, v149
	;; [unrolled: 1-line block ×7, first 2 shown]
	v_dual_mul_f32 v150, v142, v147 :: v_dual_and_b32 v155, 0x7f800000, v154
	v_mul_f32_e32 v149, v142, v146
                                        ; implicit-def: $vgpr146
	s_delay_alu instid0(VALU_DEP_2)
	v_cmpx_ne_u32_e32 0x7f800000, v155
	s_xor_b32 s3, exec_lo, s3
; %bb.13:
	v_bfe_u32 v146, v154, 16, 1
	s_delay_alu instid0(VALU_DEP_1)
	v_add3_u32 v146, v154, v146, 0x7fff
                                        ; implicit-def: $vgpr154
; %bb.14:
	s_and_not1_saveexec_b32 s3, s3
; %bb.15:
	v_and_b32_e32 v146, 0xffff, v154
	v_or_b32_e32 v147, 0x10000, v154
	s_delay_alu instid0(VALU_DEP_2) | instskip(NEXT) | instid1(VALU_DEP_2)
	v_cmp_eq_u32_e32 vcc_lo, 0, v146
	v_cndmask_b32_e32 v146, v147, v154, vcc_lo
; %bb.16:
	s_or_b32 exec_lo, exec_lo, s3
	v_and_b32_e32 v147, 0x7f800000, v149
	s_delay_alu instid0(VALU_DEP_1) | instskip(SKIP_1) | instid1(SALU_CYCLE_1)
	v_cmp_ne_u32_e32 vcc_lo, 0x7f800000, v147
                                        ; implicit-def: $vgpr147
	s_and_saveexec_b32 s3, vcc_lo
	s_xor_b32 s3, exec_lo, s3
; %bb.17:
	v_bfe_u32 v147, v149, 16, 1
	s_delay_alu instid0(VALU_DEP_1)
	v_add3_u32 v147, v149, v147, 0x7fff
                                        ; implicit-def: $vgpr149
; %bb.18:
	s_and_not1_saveexec_b32 s3, s3
; %bb.19:
	v_and_b32_e32 v147, 0xffff, v149
	v_or_b32_e32 v154, 0x10000, v149
	s_delay_alu instid0(VALU_DEP_2) | instskip(NEXT) | instid1(VALU_DEP_2)
	v_cmp_eq_u32_e32 vcc_lo, 0, v147
	v_cndmask_b32_e32 v147, v154, v149, vcc_lo
; %bb.20:
	s_or_b32 exec_lo, exec_lo, s3
	v_and_b32_e32 v149, 0x7f800000, v150
	s_delay_alu instid0(VALU_DEP_1) | instskip(SKIP_1) | instid1(SALU_CYCLE_1)
	v_cmp_ne_u32_e32 vcc_lo, 0x7f800000, v149
                                        ; implicit-def: $vgpr149
	s_and_saveexec_b32 s3, vcc_lo
	s_xor_b32 s3, exec_lo, s3
; %bb.21:
	v_bfe_u32 v149, v150, 16, 1
	s_delay_alu instid0(VALU_DEP_1)
	v_add3_u32 v149, v150, v149, 0x7fff
                                        ; implicit-def: $vgpr150
; %bb.22:
	s_and_not1_saveexec_b32 s3, s3
; %bb.23:
	v_and_b32_e32 v149, 0xffff, v150
	v_or_b32_e32 v154, 0x10000, v150
	s_delay_alu instid0(VALU_DEP_2) | instskip(NEXT) | instid1(VALU_DEP_2)
	v_cmp_eq_u32_e32 vcc_lo, 0, v149
	v_cndmask_b32_e32 v149, v154, v150, vcc_lo
; %bb.24:
	s_or_b32 exec_lo, exec_lo, s3
	v_and_b32_e32 v150, 0x7f800000, v153
	s_delay_alu instid0(VALU_DEP_1) | instskip(SKIP_1) | instid1(SALU_CYCLE_1)
	v_cmp_ne_u32_e32 vcc_lo, 0x7f800000, v150
                                        ; implicit-def: $vgpr150
	s_and_saveexec_b32 s3, vcc_lo
	s_xor_b32 s3, exec_lo, s3
; %bb.25:
	v_bfe_u32 v150, v153, 16, 1
	s_delay_alu instid0(VALU_DEP_1)
	v_add3_u32 v150, v153, v150, 0x7fff
                                        ; implicit-def: $vgpr153
; %bb.26:
	s_and_not1_saveexec_b32 s3, s3
; %bb.27:
	v_and_b32_e32 v150, 0xffff, v153
	v_or_b32_e32 v154, 0x10000, v153
	s_delay_alu instid0(VALU_DEP_2) | instskip(NEXT) | instid1(VALU_DEP_2)
	v_cmp_eq_u32_e32 vcc_lo, 0, v150
	v_cndmask_b32_e32 v150, v154, v153, vcc_lo
; %bb.28:
	s_or_b32 exec_lo, exec_lo, s3
	v_and_b32_e32 v153, 0x7f800000, v152
	s_delay_alu instid0(VALU_DEP_1) | instskip(SKIP_1) | instid1(SALU_CYCLE_1)
	v_cmp_ne_u32_e32 vcc_lo, 0x7f800000, v153
                                        ; implicit-def: $vgpr153
	s_and_saveexec_b32 s3, vcc_lo
	s_xor_b32 s3, exec_lo, s3
; %bb.29:
	v_bfe_u32 v153, v152, 16, 1
	s_delay_alu instid0(VALU_DEP_1)
	v_add3_u32 v153, v152, v153, 0x7fff
                                        ; implicit-def: $vgpr152
; %bb.30:
	s_and_not1_saveexec_b32 s3, s3
; %bb.31:
	v_and_b32_e32 v153, 0xffff, v152
	v_or_b32_e32 v154, 0x10000, v152
	s_delay_alu instid0(VALU_DEP_2) | instskip(NEXT) | instid1(VALU_DEP_2)
	v_cmp_eq_u32_e32 vcc_lo, 0, v153
	v_cndmask_b32_e32 v153, v154, v152, vcc_lo
; %bb.32:
	s_or_b32 exec_lo, exec_lo, s3
	v_and_b32_e32 v152, 0x7f800000, v151
	s_delay_alu instid0(VALU_DEP_1) | instskip(SKIP_1) | instid1(SALU_CYCLE_1)
	v_cmp_ne_u32_e32 vcc_lo, 0x7f800000, v152
                                        ; implicit-def: $vgpr152
	s_and_saveexec_b32 s3, vcc_lo
	s_xor_b32 s3, exec_lo, s3
; %bb.33:
	v_bfe_u32 v152, v151, 16, 1
	s_delay_alu instid0(VALU_DEP_1)
	v_add3_u32 v152, v151, v152, 0x7fff
                                        ; implicit-def: $vgpr151
; %bb.34:
	s_and_not1_saveexec_b32 s3, s3
; %bb.35:
	v_and_b32_e32 v152, 0xffff, v151
	v_or_b32_e32 v154, 0x10000, v151
	s_delay_alu instid0(VALU_DEP_2) | instskip(NEXT) | instid1(VALU_DEP_2)
	v_cmp_eq_u32_e32 vcc_lo, 0, v152
	v_cndmask_b32_e32 v152, v154, v151, vcc_lo
; %bb.36:
	s_or_b32 exec_lo, exec_lo, s3
	v_and_b32_e32 v151, 0x7f800000, v148
	s_delay_alu instid0(VALU_DEP_1) | instskip(SKIP_1) | instid1(SALU_CYCLE_1)
	v_cmp_ne_u32_e32 vcc_lo, 0x7f800000, v151
                                        ; implicit-def: $vgpr151
	s_and_saveexec_b32 s3, vcc_lo
	s_xor_b32 s3, exec_lo, s3
; %bb.37:
	v_bfe_u32 v151, v148, 16, 1
	s_delay_alu instid0(VALU_DEP_1)
	v_add3_u32 v151, v148, v151, 0x7fff
                                        ; implicit-def: $vgpr148
; %bb.38:
	s_and_not1_saveexec_b32 s3, s3
; %bb.39:
	v_and_b32_e32 v151, 0xffff, v148
	v_or_b32_e32 v154, 0x10000, v148
	s_delay_alu instid0(VALU_DEP_2) | instskip(NEXT) | instid1(VALU_DEP_2)
	v_cmp_eq_u32_e32 vcc_lo, 0, v151
	v_cndmask_b32_e32 v151, v154, v148, vcc_lo
; %bb.40:
	s_or_b32 exec_lo, exec_lo, s3
	v_and_b32_e32 v148, 0x7f800000, v144
	s_delay_alu instid0(VALU_DEP_1) | instskip(SKIP_1) | instid1(SALU_CYCLE_1)
	v_cmp_ne_u32_e32 vcc_lo, 0x7f800000, v148
                                        ; implicit-def: $vgpr148
	s_and_saveexec_b32 s3, vcc_lo
	s_xor_b32 s3, exec_lo, s3
; %bb.41:
	v_bfe_u32 v148, v144, 16, 1
	s_delay_alu instid0(VALU_DEP_1)
	v_add3_u32 v148, v144, v148, 0x7fff
                                        ; implicit-def: $vgpr144
; %bb.42:
	s_and_not1_saveexec_b32 s3, s3
; %bb.43:
	v_and_b32_e32 v148, 0xffff, v144
	v_or_b32_e32 v154, 0x10000, v144
	s_delay_alu instid0(VALU_DEP_2) | instskip(NEXT) | instid1(VALU_DEP_2)
	v_cmp_eq_u32_e32 vcc_lo, 0, v148
	v_cndmask_b32_e32 v148, v154, v144, vcc_lo
; %bb.44:
	s_or_b32 exec_lo, exec_lo, s3
	s_load_b64 s[34:35], s[0:1], 0x94
	v_lshlrev_b32_e32 v155, 4, v138
	s_delay_alu instid0(VALU_DEP_2)
	v_perm_b32 v154, v148, v151, 0x7060302
	v_mul_f32_e32 v148, v142, v131
	v_dual_mul_f32 v145, v142, v145 :: v_dual_lshlrev_b32 v144, 6, v140
	v_dual_mul_f32 v143, v142, v143 :: v_dual_lshlrev_b32 v156, 11, v141
	v_perm_b32 v153, v152, v153, 0x7060302
	v_perm_b32 v152, v150, v149, 0x7060302
	v_perm_b32 v151, v147, v146, 0x7060302
	s_delay_alu instid0(VALU_DEP_4)
	v_or3_b32 v131, v155, v156, v144
	v_mul_f32_e32 v136, v142, v136
	v_dual_mul_f32 v146, v142, v134 :: v_dual_and_b32 v149, 0x7f800000, v148
	v_mul_f32_e32 v135, v142, v135
	v_mul_f32_e32 v147, v142, v133
	;; [unrolled: 1-line block ×3, first 2 shown]
	s_mov_b32 s3, exec_lo
	ds_store_b128 v131, v[151:154]
                                        ; implicit-def: $vgpr132
	v_cmpx_ne_u32_e32 0x7f800000, v149
	s_xor_b32 s3, exec_lo, s3
; %bb.45:
	v_bfe_u32 v132, v148, 16, 1
	s_delay_alu instid0(VALU_DEP_1)
	v_add3_u32 v132, v148, v132, 0x7fff
                                        ; implicit-def: $vgpr148
; %bb.46:
	s_and_not1_saveexec_b32 s3, s3
; %bb.47:
	v_and_b32_e32 v132, 0xffff, v148
	v_or_b32_e32 v133, 0x10000, v148
	s_delay_alu instid0(VALU_DEP_2) | instskip(NEXT) | instid1(VALU_DEP_2)
	v_cmp_eq_u32_e32 vcc_lo, 0, v132
	v_cndmask_b32_e32 v132, v133, v148, vcc_lo
; %bb.48:
	s_or_b32 exec_lo, exec_lo, s3
	v_and_b32_e32 v133, 0x7f800000, v134
	s_delay_alu instid0(VALU_DEP_1) | instskip(SKIP_1) | instid1(SALU_CYCLE_1)
	v_cmp_ne_u32_e32 vcc_lo, 0x7f800000, v133
                                        ; implicit-def: $vgpr133
	s_and_saveexec_b32 s3, vcc_lo
	s_xor_b32 s3, exec_lo, s3
; %bb.49:
	v_bfe_u32 v133, v134, 16, 1
	s_delay_alu instid0(VALU_DEP_1)
	v_add3_u32 v133, v134, v133, 0x7fff
                                        ; implicit-def: $vgpr134
; %bb.50:
	s_and_not1_saveexec_b32 s3, s3
; %bb.51:
	v_and_b32_e32 v133, 0xffff, v134
	v_or_b32_e32 v142, 0x10000, v134
	s_delay_alu instid0(VALU_DEP_2) | instskip(NEXT) | instid1(VALU_DEP_2)
	v_cmp_eq_u32_e32 vcc_lo, 0, v133
	v_cndmask_b32_e32 v133, v142, v134, vcc_lo
; %bb.52:
	s_or_b32 exec_lo, exec_lo, s3
	v_and_b32_e32 v134, 0x7f800000, v147
	s_delay_alu instid0(VALU_DEP_1) | instskip(SKIP_1) | instid1(SALU_CYCLE_1)
	v_cmp_ne_u32_e32 vcc_lo, 0x7f800000, v134
                                        ; implicit-def: $vgpr134
	s_and_saveexec_b32 s3, vcc_lo
	s_xor_b32 s3, exec_lo, s3
; %bb.53:
	v_bfe_u32 v134, v147, 16, 1
	s_delay_alu instid0(VALU_DEP_1)
	v_add3_u32 v134, v147, v134, 0x7fff
                                        ; implicit-def: $vgpr147
; %bb.54:
	s_and_not1_saveexec_b32 s3, s3
; %bb.55:
	v_and_b32_e32 v134, 0xffff, v147
	v_or_b32_e32 v142, 0x10000, v147
	s_delay_alu instid0(VALU_DEP_2) | instskip(NEXT) | instid1(VALU_DEP_2)
	v_cmp_eq_u32_e32 vcc_lo, 0, v134
	v_cndmask_b32_e32 v134, v142, v147, vcc_lo
; %bb.56:
	s_or_b32 exec_lo, exec_lo, s3
	v_and_b32_e32 v142, 0x7f800000, v146
	s_delay_alu instid0(VALU_DEP_1) | instskip(SKIP_1) | instid1(SALU_CYCLE_1)
	v_cmp_ne_u32_e32 vcc_lo, 0x7f800000, v142
                                        ; implicit-def: $vgpr142
	s_and_saveexec_b32 s3, vcc_lo
	s_xor_b32 s3, exec_lo, s3
; %bb.57:
	v_bfe_u32 v142, v146, 16, 1
	s_delay_alu instid0(VALU_DEP_1)
	v_add3_u32 v142, v146, v142, 0x7fff
                                        ; implicit-def: $vgpr146
; %bb.58:
	s_and_not1_saveexec_b32 s3, s3
; %bb.59:
	v_and_b32_e32 v142, 0xffff, v146
	v_or_b32_e32 v147, 0x10000, v146
	s_delay_alu instid0(VALU_DEP_2) | instskip(NEXT) | instid1(VALU_DEP_2)
	v_cmp_eq_u32_e32 vcc_lo, 0, v142
	v_cndmask_b32_e32 v142, v147, v146, vcc_lo
; %bb.60:
	s_or_b32 exec_lo, exec_lo, s3
	v_and_b32_e32 v146, 0x7f800000, v135
	s_delay_alu instid0(VALU_DEP_1) | instskip(SKIP_1) | instid1(SALU_CYCLE_1)
	v_cmp_ne_u32_e32 vcc_lo, 0x7f800000, v146
                                        ; implicit-def: $vgpr146
	s_and_saveexec_b32 s3, vcc_lo
	s_xor_b32 s3, exec_lo, s3
; %bb.61:
	v_bfe_u32 v146, v135, 16, 1
	s_delay_alu instid0(VALU_DEP_1)
	v_add3_u32 v146, v135, v146, 0x7fff
                                        ; implicit-def: $vgpr135
; %bb.62:
	s_and_not1_saveexec_b32 s3, s3
; %bb.63:
	v_and_b32_e32 v146, 0xffff, v135
	v_or_b32_e32 v147, 0x10000, v135
	s_delay_alu instid0(VALU_DEP_2) | instskip(NEXT) | instid1(VALU_DEP_2)
	v_cmp_eq_u32_e32 vcc_lo, 0, v146
	v_cndmask_b32_e32 v146, v147, v135, vcc_lo
; %bb.64:
	s_or_b32 exec_lo, exec_lo, s3
	v_and_b32_e32 v135, 0x7f800000, v136
	s_delay_alu instid0(VALU_DEP_1) | instskip(SKIP_1) | instid1(SALU_CYCLE_1)
	v_cmp_ne_u32_e32 vcc_lo, 0x7f800000, v135
                                        ; implicit-def: $vgpr135
	s_and_saveexec_b32 s3, vcc_lo
	s_xor_b32 s3, exec_lo, s3
; %bb.65:
	v_bfe_u32 v135, v136, 16, 1
	s_delay_alu instid0(VALU_DEP_1)
	v_add3_u32 v135, v136, v135, 0x7fff
                                        ; implicit-def: $vgpr136
; %bb.66:
	s_and_not1_saveexec_b32 s3, s3
; %bb.67:
	v_and_b32_e32 v135, 0xffff, v136
	v_or_b32_e32 v147, 0x10000, v136
	s_delay_alu instid0(VALU_DEP_2) | instskip(NEXT) | instid1(VALU_DEP_2)
	v_cmp_eq_u32_e32 vcc_lo, 0, v135
	v_cndmask_b32_e32 v135, v147, v136, vcc_lo
; %bb.68:
	s_or_b32 exec_lo, exec_lo, s3
	v_and_b32_e32 v136, 0x7f800000, v143
	s_delay_alu instid0(VALU_DEP_1) | instskip(SKIP_1) | instid1(SALU_CYCLE_1)
	v_cmp_ne_u32_e32 vcc_lo, 0x7f800000, v136
                                        ; implicit-def: $vgpr136
	s_and_saveexec_b32 s3, vcc_lo
	s_xor_b32 s3, exec_lo, s3
; %bb.69:
	v_bfe_u32 v136, v143, 16, 1
	s_delay_alu instid0(VALU_DEP_1)
	v_add3_u32 v136, v143, v136, 0x7fff
                                        ; implicit-def: $vgpr143
; %bb.70:
	s_and_not1_saveexec_b32 s3, s3
; %bb.71:
	v_and_b32_e32 v136, 0xffff, v143
	v_or_b32_e32 v147, 0x10000, v143
	s_delay_alu instid0(VALU_DEP_2) | instskip(NEXT) | instid1(VALU_DEP_2)
	v_cmp_eq_u32_e32 vcc_lo, 0, v136
	v_cndmask_b32_e32 v136, v147, v143, vcc_lo
; %bb.72:
	s_or_b32 exec_lo, exec_lo, s3
	v_and_b32_e32 v143, 0x7f800000, v145
	s_delay_alu instid0(VALU_DEP_1) | instskip(SKIP_1) | instid1(SALU_CYCLE_1)
	v_cmp_ne_u32_e32 vcc_lo, 0x7f800000, v143
                                        ; implicit-def: $vgpr143
	s_and_saveexec_b32 s3, vcc_lo
	s_xor_b32 s3, exec_lo, s3
; %bb.73:
	v_bfe_u32 v143, v145, 16, 1
	s_delay_alu instid0(VALU_DEP_1)
	v_add3_u32 v143, v145, v143, 0x7fff
                                        ; implicit-def: $vgpr145
; %bb.74:
	s_and_not1_saveexec_b32 s3, s3
; %bb.75:
	v_and_b32_e32 v143, 0xffff, v145
	v_or_b32_e32 v147, 0x10000, v145
	s_delay_alu instid0(VALU_DEP_2) | instskip(NEXT) | instid1(VALU_DEP_2)
	v_cmp_eq_u32_e32 vcc_lo, 0, v143
	v_cndmask_b32_e32 v143, v147, v145, vcc_lo
; %bb.76:
	s_or_b32 exec_lo, exec_lo, s3
	s_delay_alu instid0(VALU_DEP_1)
	v_perm_b32 v136, v143, v136, 0x7060302
	v_perm_b32 v135, v135, v146, 0x7060302
	;; [unrolled: 1-line block ×4, first 2 shown]
	v_lshl_or_b32 v145, v141, 11, v144
	v_lshlrev_b32_e32 v142, 2, v138
	ds_store_b128 v131, v[133:136] offset:1024
	s_waitcnt lgkmcnt(0)
	s_barrier
	buffer_gl0_inv
	ds_load_b128 v[132:135], v145
	ds_load_b128 v[147:150], v145 offset:16
	v_or_b32_e32 v143, 1, v142
	v_cmp_eq_u32_e64 s12, 1, v142
	v_cmp_eq_u32_e64 s11, 2, v142
	;; [unrolled: 1-line block ×3, first 2 shown]
	v_or_b32_e32 v141, 2, v142
	v_cmp_eq_u32_e64 s7, 1, v143
	v_cmp_eq_u32_e64 s6, 2, v143
	;; [unrolled: 1-line block ×8, first 2 shown]
	v_cmp_eq_u32_e32 vcc_lo, 5, v143
	v_cmp_eq_u32_e64 s10, 2, v141
	v_cmp_eq_u32_e64 s4, 6, v143
	;; [unrolled: 1-line block ×4, first 2 shown]
	s_waitcnt lgkmcnt(1)
	v_lshrrev_b32_e32 v136, 16, v132
	s_waitcnt lgkmcnt(0)
	v_lshrrev_b32_e32 v155, 16, v147
	v_lshrrev_b32_e32 v161, 16, v148
	;; [unrolled: 1-line block ×4, first 2 shown]
	v_cndmask_b32_e64 v146, v132, v136, s12
	v_cndmask_b32_e64 v151, v147, v155, s12
	;; [unrolled: 1-line block ×4, first 2 shown]
	v_lshrrev_b32_e32 v160, 16, v134
	v_cndmask_b32_e64 v146, v146, v133, s11
	v_cndmask_b32_e64 v151, v151, v148, s11
	;; [unrolled: 1-line block ×8, first 2 shown]
	v_lshrrev_b32_e32 v164, 16, v150
	v_cndmask_b32_e64 v153, v153, v161, s5
	v_cndmask_b32_e64 v146, v146, v134, s17
	;; [unrolled: 1-line block ×5, first 2 shown]
	v_lshrrev_b32_e32 v162, 16, v135
	v_cndmask_b32_e64 v146, v146, v160, s13
	v_cndmask_b32_e64 v151, v151, v163, s13
	v_cndmask_b32_e32 v152, v152, v160, vcc_lo
	v_cndmask_b32_e64 v153, v153, v149, s3
	v_cmp_eq_u32_e64 s19, 7, v143
	v_cndmask_b32_e64 v146, v146, v135, s15
	v_cndmask_b32_e64 v151, v151, v150, s15
	;; [unrolled: 1-line block ×4, first 2 shown]
	v_cmp_eq_u32_e64 s20, 4, v141
	v_cndmask_b32_e64 v165, v146, v162, s9
	v_cndmask_b32_e64 v166, v151, v164, s9
	;; [unrolled: 1-line block ×3, first 2 shown]
	v_or_b32_e32 v146, 3, v142
	v_cndmask_b32_e64 v167, v152, v162, s19
	v_cndmask_b32_e32 v156, v153, v163, vcc_lo
	v_cndmask_b32_e64 v158, v154, v134, s20
	v_cndmask_b32_e64 v157, v151, v148, s10
	ds_load_b128 v[151:154], v145 offset:1024
	v_cmp_eq_u32_e64 s21, 1, v146
	v_cmp_eq_u32_e64 s22, 5, v141
	;; [unrolled: 1-line block ×3, first 2 shown]
	v_cndmask_b32_e64 v157, v157, v161, s18
	v_cmp_eq_u32_e64 s24, 3, v146
	v_cndmask_b32_e64 v132, v132, v136, s21
	v_cndmask_b32_e64 v136, v156, v150, s4
	v_cndmask_b32_e64 v168, v158, v160, s22
	v_cndmask_b32_e64 v169, v157, v149, s20
	v_cndmask_b32_e64 v147, v147, v155, s21
	ds_load_b128 v[155:158], v145 offset:1040
	v_cndmask_b32_e64 v132, v132, v133, s23
	v_cmp_eq_u32_e64 s26, 4, v146
	v_cmp_eq_u32_e64 s28, 5, v146
	v_cndmask_b32_e64 v147, v147, v148, s23
	v_cmp_eq_u32_e64 s25, 6, v141
	v_cndmask_b32_e64 v132, v132, v159, s24
	;; [unrolled: 2-line block ×3, first 2 shown]
	v_cndmask_b32_e64 v147, v147, v161, s24
	s_waitcnt lgkmcnt(1)
	v_lshrrev_b32_e32 v159, 16, v151
	v_cndmask_b32_e64 v132, v132, v134, s26
	v_cndmask_b32_e64 v148, v168, v135, s25
	;; [unrolled: 1-line block ×6, first 2 shown]
	v_lshrrev_b32_e32 v160, 16, v152
	v_cndmask_b32_e64 v161, v151, v159, s7
	v_cndmask_b32_e64 v134, v134, v163, s28
	s_waitcnt lgkmcnt(0)
	v_lshrrev_b32_e32 v149, 16, v155
	v_cndmask_b32_e64 v147, v147, v152, s11
	v_cndmask_b32_e64 v132, v132, v135, s29
	v_cmp_eq_u32_e64 s27, 7, v141
	v_cndmask_b32_e64 v134, v134, v150, s29
	v_cndmask_b32_e64 v163, v155, v149, s12
	;; [unrolled: 1-line block ×4, first 2 shown]
	v_lshrrev_b32_e32 v161, 16, v156
	v_cndmask_b32_e64 v136, v136, v164, s19
	v_cndmask_b32_e64 v150, v163, v156, s11
	v_cmp_eq_u32_e64 s11, 7, v146
	v_cndmask_b32_e64 v147, v147, v160, s5
	v_cndmask_b32_e64 v135, v135, v153, s17
	v_lshrrev_b32_e32 v163, 16, v153
	v_cndmask_b32_e64 v150, v150, v161, s16
	v_cndmask_b32_e64 v132, v132, v162, s11
	;; [unrolled: 1-line block ×8, first 2 shown]
	v_lshrrev_b32_e32 v164, 16, v157
	v_perm_b32 v135, v134, v132, 0x5040100
	v_cndmask_b32_e32 v132, v147, v163, vcc_lo
	v_cndmask_b32_e64 v147, v162, v154, s15
	v_lshrrev_b32_e32 v162, 16, v154
	v_cndmask_b32_e64 v150, v150, v164, s13
	v_perm_b32 v134, v133, v148, 0x5040100
	v_cndmask_b32_e64 v132, v132, v154, s4
	v_perm_b32 v133, v136, v167, 0x5040100
	v_cndmask_b32_e64 v136, v147, v162, s9
	v_cndmask_b32_e64 v147, v150, v158, s15
	;; [unrolled: 1-line block ×27, first 2 shown]
	v_cndmask_b32_e32 v149, v149, v164, vcc_lo
	v_lshrrev_b32_e32 v148, 16, v158
	v_cndmask_b32_e64 v132, v132, v154, s25
	v_cndmask_b32_e64 v150, v150, v154, s29
	;; [unrolled: 1-line block ×11, first 2 shown]
	v_perm_b32 v132, v166, v165, 0x5040100
	v_perm_b32 v150, v151, v150, 0x5040100
	;; [unrolled: 1-line block ×5, first 2 shown]
	s_mul_i32 s8, s35, 3
	s_mov_b32 s3, exec_lo
	ds_store_b128 v131, v[132:135]
	ds_store_b128 v131, v[147:150] offset:1024
	v_cmpx_gt_u32_e32 3, v0
	s_cbranch_execz .LBB688_78
; %bb.77:
	s_mul_i32 s4, s8, s30
	s_delay_alu instid0(SALU_CYCLE_1) | instskip(SKIP_1) | instid1(VALU_DEP_1)
	v_add3_u32 v133, s4, s31, v140
	s_load_b128 s[4:7], s[0:1], 0x58
	v_mad_u64_u32 v[131:132], null, v133, s34, s[14:15]
	s_delay_alu instid0(VALU_DEP_1) | instskip(NEXT) | instid1(VALU_DEP_1)
	v_ashrrev_i32_e32 v132, 31, v131
	v_lshlrev_b64 v[131:132], 2, v[131:132]
	s_waitcnt lgkmcnt(0)
	s_delay_alu instid0(VALU_DEP_1) | instskip(NEXT) | instid1(VALU_DEP_2)
	v_add_co_u32 v133, vcc_lo, s6, v131
	v_add_co_ci_u32_e32 v134, vcc_lo, s7, v132, vcc_lo
	v_add_co_u32 v131, vcc_lo, s4, v131
	v_add_co_ci_u32_e32 v132, vcc_lo, s5, v132, vcc_lo
	global_store_b32 v[133:134], v129, off
	global_store_b32 v[131:132], v130, off
.LBB688_78:
	s_or_b32 exec_lo, exec_lo, s3
	s_waitcnt lgkmcnt(0)
	s_waitcnt_vscnt null, 0x0
	s_barrier
	buffer_gl0_inv
	ds_load_b128 v[147:150], v144
	ds_load_b128 v[151:154], v144 offset:16
	ds_load_b128 v[159:162], v144 offset:1040
	;; [unrolled: 1-line block ×3, first 2 shown]
	v_mov_b32_e32 v129, 0
	ds_load_b128 v[167:170], v144 offset:2064
	ds_load_b128 v[163:166], v144 offset:2048
	;; [unrolled: 1-line block ×6, first 2 shown]
	v_mov_b32_e32 v130, v129
	v_mov_b32_e32 v131, v129
	;; [unrolled: 1-line block ×7, first 2 shown]
	s_waitcnt lgkmcnt(8)
	s_delay_alu instid0(VALU_DEP_1)
	v_wmma_f32_16x16x16_bf16 v[129:136], v[121:128], v[147:154], v[129:136]
	ds_load_b128 v[125:128], v144 offset:5136
	ds_load_b128 v[121:124], v144 offset:5120
	s_waitcnt lgkmcnt(8)
	v_wmma_f32_16x16x16_bf16 v[129:136], v[113:120], v[155:162], v[129:136]
	ds_load_b128 v[117:120], v144 offset:6160
	ds_load_b128 v[113:116], v144 offset:6144
	s_waitcnt lgkmcnt(8)
	v_wmma_f32_16x16x16_bf16 v[129:136], v[105:112], v[163:170], v[129:136]
	ds_load_b128 v[109:112], v144 offset:7184
	ds_load_b128 v[105:108], v144 offset:7168
	s_waitcnt lgkmcnt(8)
	v_wmma_f32_16x16x16_bf16 v[129:136], v[97:104], v[171:178], v[129:136]
	ds_load_b128 v[101:104], v144 offset:8208
	ds_load_b128 v[97:100], v144 offset:8192
	s_waitcnt lgkmcnt(8)
	v_wmma_f32_16x16x16_bf16 v[129:136], v[89:96], v[179:186], v[129:136]
	ds_load_b128 v[93:96], v144 offset:9232
	ds_load_b128 v[89:92], v144 offset:9216
	s_waitcnt lgkmcnt(8)
	v_wmma_f32_16x16x16_bf16 v[129:136], v[81:88], v[121:128], v[129:136]
	ds_load_b128 v[85:88], v144 offset:10256
	ds_load_b128 v[81:84], v144 offset:10240
	s_waitcnt lgkmcnt(8)
	v_wmma_f32_16x16x16_bf16 v[129:136], v[73:80], v[113:120], v[129:136]
	ds_load_b128 v[77:80], v144 offset:11280
	ds_load_b128 v[73:76], v144 offset:11264
	s_waitcnt lgkmcnt(8)
	v_wmma_f32_16x16x16_bf16 v[129:136], v[57:64], v[105:112], v[129:136]
	ds_load_b128 v[61:64], v144 offset:12304
	ds_load_b128 v[57:60], v144 offset:12288
	s_waitcnt lgkmcnt(8)
	v_wmma_f32_16x16x16_bf16 v[129:136], v[65:72], v[97:104], v[129:136]
	s_waitcnt lgkmcnt(6)
	s_delay_alu instid0(VALU_DEP_1)
	v_wmma_f32_16x16x16_bf16 v[129:136], v[49:56], v[89:96], v[129:136]
	ds_load_b128 v[53:56], v144 offset:13328
	ds_load_b128 v[49:52], v144 offset:13312
	s_waitcnt lgkmcnt(6)
	v_wmma_f32_16x16x16_bf16 v[129:136], v[41:48], v[81:88], v[129:136]
	ds_load_b128 v[45:48], v144 offset:14352
	ds_load_b128 v[41:44], v144 offset:14336
	s_waitcnt lgkmcnt(6)
	;; [unrolled: 4-line block ×3, first 2 shown]
	v_wmma_f32_16x16x16_bf16 v[129:136], v[1:8], v[57:64], v[129:136]
	s_waitcnt lgkmcnt(4)
	s_delay_alu instid0(VALU_DEP_1) | instskip(SKIP_1) | instid1(VALU_DEP_1)
	v_wmma_f32_16x16x16_bf16 v[129:136], v[25:32], v[49:56], v[129:136]
	s_waitcnt lgkmcnt(2)
	v_wmma_f32_16x16x16_bf16 v[129:136], v[33:40], v[41:48], v[129:136]
	s_waitcnt lgkmcnt(0)
	s_delay_alu instid0(VALU_DEP_1) | instskip(NEXT) | instid1(VALU_DEP_1)
	v_wmma_f32_16x16x16_bf16 v[129:136], v[9:16], v[17:24], v[129:136]
	v_and_b32_e32 v1, 0x7f800000, v129
	s_delay_alu instid0(VALU_DEP_1) | instskip(SKIP_1) | instid1(SALU_CYCLE_1)
	v_cmp_ne_u32_e32 vcc_lo, 0x7f800000, v1
                                        ; implicit-def: $vgpr1
	s_and_saveexec_b32 s3, vcc_lo
	s_xor_b32 s3, exec_lo, s3
; %bb.79:
	v_bfe_u32 v1, v129, 16, 1
	s_delay_alu instid0(VALU_DEP_1)
	v_add3_u32 v1, v129, v1, 0x7fff
; %bb.80:
	s_and_not1_saveexec_b32 s3, s3
; %bb.81:
	v_and_b32_e32 v1, 0xffff, v129
	v_or_b32_e32 v2, 0x10000, v129
	s_delay_alu instid0(VALU_DEP_2) | instskip(NEXT) | instid1(VALU_DEP_2)
	v_cmp_eq_u32_e32 vcc_lo, 0, v1
	v_cndmask_b32_e32 v1, v2, v129, vcc_lo
; %bb.82:
	s_or_b32 exec_lo, exec_lo, s3
	v_and_b32_e32 v2, 0x7f800000, v130
	s_delay_alu instid0(VALU_DEP_1) | instskip(SKIP_1) | instid1(SALU_CYCLE_1)
	v_cmp_ne_u32_e32 vcc_lo, 0x7f800000, v2
                                        ; implicit-def: $vgpr2
	s_and_saveexec_b32 s3, vcc_lo
	s_xor_b32 s3, exec_lo, s3
; %bb.83:
	v_bfe_u32 v2, v130, 16, 1
	s_delay_alu instid0(VALU_DEP_1)
	v_add3_u32 v2, v130, v2, 0x7fff
; %bb.84:
	s_and_not1_saveexec_b32 s3, s3
; %bb.85:
	v_and_b32_e32 v2, 0xffff, v130
	v_or_b32_e32 v3, 0x10000, v130
	s_delay_alu instid0(VALU_DEP_2) | instskip(NEXT) | instid1(VALU_DEP_2)
	v_cmp_eq_u32_e32 vcc_lo, 0, v2
	v_cndmask_b32_e32 v2, v3, v130, vcc_lo
; %bb.86:
	s_or_b32 exec_lo, exec_lo, s3
	v_and_b32_e32 v3, 0x7f800000, v131
	s_delay_alu instid0(VALU_DEP_1) | instskip(SKIP_1) | instid1(SALU_CYCLE_1)
	v_cmp_ne_u32_e32 vcc_lo, 0x7f800000, v3
                                        ; implicit-def: $vgpr3
	s_and_saveexec_b32 s3, vcc_lo
	s_xor_b32 s3, exec_lo, s3
; %bb.87:
	v_bfe_u32 v3, v131, 16, 1
	s_delay_alu instid0(VALU_DEP_1)
	v_add3_u32 v3, v131, v3, 0x7fff
; %bb.88:
	s_and_not1_saveexec_b32 s3, s3
; %bb.89:
	v_and_b32_e32 v3, 0xffff, v131
	v_or_b32_e32 v4, 0x10000, v131
	s_delay_alu instid0(VALU_DEP_2) | instskip(NEXT) | instid1(VALU_DEP_2)
	v_cmp_eq_u32_e32 vcc_lo, 0, v3
	v_cndmask_b32_e32 v3, v4, v131, vcc_lo
; %bb.90:
	s_or_b32 exec_lo, exec_lo, s3
	v_and_b32_e32 v4, 0x7f800000, v132
	s_delay_alu instid0(VALU_DEP_1) | instskip(SKIP_1) | instid1(SALU_CYCLE_1)
	v_cmp_ne_u32_e32 vcc_lo, 0x7f800000, v4
                                        ; implicit-def: $vgpr4
	s_and_saveexec_b32 s3, vcc_lo
	s_xor_b32 s3, exec_lo, s3
; %bb.91:
	v_bfe_u32 v4, v132, 16, 1
	s_delay_alu instid0(VALU_DEP_1)
	v_add3_u32 v4, v132, v4, 0x7fff
; %bb.92:
	s_and_not1_saveexec_b32 s3, s3
; %bb.93:
	v_and_b32_e32 v4, 0xffff, v132
	v_or_b32_e32 v5, 0x10000, v132
	s_delay_alu instid0(VALU_DEP_2) | instskip(NEXT) | instid1(VALU_DEP_2)
	v_cmp_eq_u32_e32 vcc_lo, 0, v4
	v_cndmask_b32_e32 v4, v5, v132, vcc_lo
; %bb.94:
	s_or_b32 exec_lo, exec_lo, s3
	v_and_b32_e32 v5, 0x7f800000, v133
	s_delay_alu instid0(VALU_DEP_1) | instskip(SKIP_1) | instid1(SALU_CYCLE_1)
	v_cmp_ne_u32_e32 vcc_lo, 0x7f800000, v5
                                        ; implicit-def: $vgpr5
	s_and_saveexec_b32 s3, vcc_lo
	s_xor_b32 s3, exec_lo, s3
; %bb.95:
	v_bfe_u32 v5, v133, 16, 1
	s_delay_alu instid0(VALU_DEP_1)
	v_add3_u32 v5, v133, v5, 0x7fff
; %bb.96:
	s_and_not1_saveexec_b32 s3, s3
; %bb.97:
	v_and_b32_e32 v5, 0xffff, v133
	v_or_b32_e32 v6, 0x10000, v133
	s_delay_alu instid0(VALU_DEP_2) | instskip(NEXT) | instid1(VALU_DEP_2)
	v_cmp_eq_u32_e32 vcc_lo, 0, v5
	v_cndmask_b32_e32 v5, v6, v133, vcc_lo
; %bb.98:
	s_or_b32 exec_lo, exec_lo, s3
	v_and_b32_e32 v6, 0x7f800000, v134
	s_delay_alu instid0(VALU_DEP_1) | instskip(SKIP_1) | instid1(SALU_CYCLE_1)
	v_cmp_ne_u32_e32 vcc_lo, 0x7f800000, v6
                                        ; implicit-def: $vgpr6
	s_and_saveexec_b32 s3, vcc_lo
	s_xor_b32 s3, exec_lo, s3
; %bb.99:
	v_bfe_u32 v6, v134, 16, 1
	s_delay_alu instid0(VALU_DEP_1)
	v_add3_u32 v6, v134, v6, 0x7fff
; %bb.100:
	s_and_not1_saveexec_b32 s3, s3
; %bb.101:
	v_and_b32_e32 v6, 0xffff, v134
	v_or_b32_e32 v7, 0x10000, v134
	s_delay_alu instid0(VALU_DEP_2) | instskip(NEXT) | instid1(VALU_DEP_2)
	v_cmp_eq_u32_e32 vcc_lo, 0, v6
	v_cndmask_b32_e32 v6, v7, v134, vcc_lo
; %bb.102:
	s_or_b32 exec_lo, exec_lo, s3
	v_and_b32_e32 v7, 0x7f800000, v135
	s_delay_alu instid0(VALU_DEP_1) | instskip(SKIP_1) | instid1(SALU_CYCLE_1)
	v_cmp_ne_u32_e32 vcc_lo, 0x7f800000, v7
                                        ; implicit-def: $vgpr7
	s_and_saveexec_b32 s3, vcc_lo
	s_xor_b32 s3, exec_lo, s3
; %bb.103:
	v_bfe_u32 v7, v135, 16, 1
	s_delay_alu instid0(VALU_DEP_1)
	v_add3_u32 v7, v135, v7, 0x7fff
; %bb.104:
	s_and_not1_saveexec_b32 s3, s3
; %bb.105:
	v_and_b32_e32 v7, 0xffff, v135
	v_or_b32_e32 v8, 0x10000, v135
	s_delay_alu instid0(VALU_DEP_2) | instskip(NEXT) | instid1(VALU_DEP_2)
	v_cmp_eq_u32_e32 vcc_lo, 0, v7
	v_cndmask_b32_e32 v7, v8, v135, vcc_lo
; %bb.106:
	s_or_b32 exec_lo, exec_lo, s3
	v_and_b32_e32 v8, 0x7f800000, v136
	s_delay_alu instid0(VALU_DEP_1) | instskip(SKIP_1) | instid1(SALU_CYCLE_1)
	v_cmp_ne_u32_e32 vcc_lo, 0x7f800000, v8
                                        ; implicit-def: $vgpr8
	s_and_saveexec_b32 s3, vcc_lo
	s_xor_b32 s3, exec_lo, s3
; %bb.107:
	v_bfe_u32 v8, v136, 16, 1
	s_delay_alu instid0(VALU_DEP_1)
	v_add3_u32 v8, v136, v8, 0x7fff
                                        ; implicit-def: $vgpr129_vgpr130_vgpr131_vgpr132_vgpr133_vgpr134_vgpr135_vgpr136
; %bb.108:
	s_and_not1_saveexec_b32 s3, s3
; %bb.109:
	v_and_b32_e32 v8, 0xffff, v136
	v_or_b32_e32 v9, 0x10000, v136
	s_delay_alu instid0(VALU_DEP_2) | instskip(NEXT) | instid1(VALU_DEP_2)
	v_cmp_eq_u32_e32 vcc_lo, 0, v8
	v_cndmask_b32_e32 v8, v9, v136, vcc_lo
; %bb.110:
	s_or_b32 exec_lo, exec_lo, s3
	s_delay_alu instid0(VALU_DEP_1)
	v_perm_b32 v7, v8, v7, 0x7060302
	v_perm_b32 v6, v6, v5, 0x7060302
	;; [unrolled: 1-line block ×4, first 2 shown]
	v_lshl_or_b32 v9, v138, 4, v145
	s_barrier
	buffer_gl0_inv
	v_cmp_eq_u32_e32 vcc_lo, 1, v142
	ds_store_b128 v9, v[4:7]
	s_waitcnt lgkmcnt(0)
	s_barrier
	buffer_gl0_inv
	ds_load_b128 v[1:4], v145
	ds_load_b128 v[5:8], v145 offset:16
	v_cmp_eq_u32_e64 s4, 2, v142
	v_cmp_eq_u32_e64 s3, 1, v143
	;; [unrolled: 1-line block ×5, first 2 shown]
	s_waitcnt lgkmcnt(1)
	v_lshrrev_b32_e32 v10, 16, v1
	s_waitcnt lgkmcnt(0)
	v_lshrrev_b32_e32 v14, 16, v5
	v_lshrrev_b32_e32 v15, 16, v6
	;; [unrolled: 1-line block ×4, first 2 shown]
	v_cndmask_b32_e64 v20, v1, v10, s3
	v_cndmask_b32_e32 v19, v5, v14, vcc_lo
	v_cndmask_b32_e64 v21, v5, v14, s3
	v_lshrrev_b32_e32 v16, 16, v7
	v_cmp_eq_u32_e64 s3, 1, v141
	v_lshrrev_b32_e32 v13, 16, v4
	v_cndmask_b32_e64 v19, v19, v6, s4
	v_lshrrev_b32_e32 v17, 16, v8
	s_delay_alu instid0(VALU_DEP_4) | instskip(SKIP_1) | instid1(VALU_DEP_4)
	v_cndmask_b32_e64 v22, v1, v10, s3
	v_cndmask_b32_e64 v23, v5, v14, s3
	;; [unrolled: 1-line block ×3, first 2 shown]
	v_cndmask_b32_e32 v18, v1, v10, vcc_lo
	v_cmp_eq_u32_e32 vcc_lo, 2, v143
	v_cmp_eq_u32_e64 s3, 2, v146
	v_cndmask_b32_e64 v22, v22, v2, s7
	v_cndmask_b32_e32 v20, v20, v2, vcc_lo
	v_cndmask_b32_e32 v21, v21, v6, vcc_lo
	v_cmp_eq_u32_e32 vcc_lo, 4, v142
	v_cndmask_b32_e32 v19, v19, v7, vcc_lo
	v_cndmask_b32_e64 v18, v18, v2, s4
	v_cmp_eq_u32_e64 s4, 3, v143
	s_delay_alu instid0(VALU_DEP_2) | instskip(NEXT) | instid1(VALU_DEP_2)
	v_cndmask_b32_e64 v18, v18, v11, s5
	v_cndmask_b32_e64 v21, v21, v15, s4
	v_cmp_eq_u32_e64 s5, 5, v142
	s_delay_alu instid0(VALU_DEP_3) | instskip(SKIP_1) | instid1(VALU_DEP_3)
	v_cndmask_b32_e32 v18, v18, v3, vcc_lo
	v_cmp_eq_u32_e32 vcc_lo, 4, v143
	v_cndmask_b32_e64 v19, v19, v16, s5
	s_delay_alu instid0(VALU_DEP_3) | instskip(SKIP_4) | instid1(VALU_DEP_3)
	v_cndmask_b32_e64 v18, v18, v12, s5
	v_cndmask_b32_e32 v21, v21, v7, vcc_lo
	v_cndmask_b32_e64 v20, v20, v11, s4
	v_cmp_eq_u32_e64 s4, 5, v143
	v_cmp_eq_u32_e64 s5, 6, v142
	v_cndmask_b32_e32 v20, v20, v3, vcc_lo
	s_delay_alu instid0(VALU_DEP_3) | instskip(SKIP_1) | instid1(VALU_DEP_4)
	v_cndmask_b32_e64 v21, v21, v16, s4
	v_cmp_eq_u32_e32 vcc_lo, 6, v143
	v_cndmask_b32_e64 v18, v18, v4, s5
	v_cndmask_b32_e64 v19, v19, v8, s5
	;; [unrolled: 1-line block ×3, first 2 shown]
	v_cmp_eq_u32_e64 s4, 1, v146
	v_cmp_eq_u32_e64 s5, 7, v142
	s_delay_alu instid0(VALU_DEP_3) | instskip(NEXT) | instid1(VALU_DEP_3)
	v_cndmask_b32_e32 v20, v20, v4, vcc_lo
	v_cndmask_b32_e64 v1, v1, v10, s4
	v_cndmask_b32_e64 v5, v5, v14, s4
	v_cmp_eq_u32_e64 s4, 3, v141
	v_cndmask_b32_e64 v14, v23, v6, s7
	v_cmp_eq_u32_e64 s7, 3, v146
	v_cndmask_b32_e64 v1, v1, v2, s3
	v_cndmask_b32_e64 v2, v5, v6, s3
	;; [unrolled: 1-line block ×3, first 2 shown]
	v_cmp_eq_u32_e64 s3, 4, v141
	v_cndmask_b32_e64 v6, v14, v15, s4
	v_cndmask_b32_e64 v1, v1, v11, s7
	v_cmp_eq_u32_e64 s4, 4, v146
	v_cndmask_b32_e64 v2, v2, v15, s7
	v_cndmask_b32_e64 v5, v10, v3, s3
	;; [unrolled: 3-line block ×3, first 2 shown]
	v_cndmask_b32_e64 v2, v2, v7, s4
	v_cmp_eq_u32_e64 s3, 5, v146
	v_cndmask_b32_e64 v5, v5, v12, s7
	v_cmp_eq_u32_e64 s4, 6, v141
	;; [unrolled: 2-line block ×3, first 2 shown]
	v_cndmask_b32_e64 v1, v1, v12, s3
	v_cndmask_b32_e64 v2, v2, v16, s3
	;; [unrolled: 1-line block ×4, first 2 shown]
	v_cmp_eq_u32_e64 s3, 7, v146
	v_cndmask_b32_e64 v1, v1, v4, s7
	v_cndmask_b32_e64 v2, v2, v8, s7
	v_cmp_eq_u32_e64 s4, 7, v141
	v_cndmask_b32_e32 v4, v21, v8, vcc_lo
	v_cndmask_b32_e64 v18, v18, v13, s5
	v_cndmask_b32_e64 v20, v20, v13, s6
	;; [unrolled: 1-line block ×8, first 2 shown]
	s_mov_b32 s3, exec_lo
	v_perm_b32 v4, v2, v1, 0x5040100
	v_perm_b32 v3, v3, v5, 0x5040100
	v_perm_b32 v2, v6, v20, 0x5040100
	v_perm_b32 v1, v7, v18, 0x5040100
	ds_store_b128 v9, v[1:4]
	s_waitcnt lgkmcnt(0)
	s_barrier
	buffer_gl0_inv
	v_cmpx_gt_u32_e32 32, v0
	s_cbranch_execz .LBB688_2
; %bb.111:
	s_load_b64 s[4:5], s[0:1], 0x68
	v_lshlrev_b32_e32 v0, 10, v0
	v_lshlrev_b32_e32 v2, 4, v139
	v_add_nc_u32_e32 v1, s31, v138
	s_lshl_b32 s0, s34, 7
	s_delay_alu instid0(SALU_CYCLE_1) | instskip(NEXT) | instid1(VALU_DEP_2)
	s_mul_i32 s1, s0, s30
	v_and_or_b32 v0, 0x3800, v0, v2
	s_mul_i32 s6, s1, s8
	v_mul_lo_u32 v1, v1, s0
	s_ashr_i32 s7, s6, 31
	s_delay_alu instid0(VALU_DEP_2) | instskip(SKIP_1) | instid1(VALU_DEP_2)
	v_lshl_or_b32 v3, v138, 6, v0
	s_lshl_b64 s[6:7], s[6:7], 1
	v_ashrrev_i32_e32 v2, 31, v1
	ds_load_b128 v[3:6], v3
	s_waitcnt lgkmcnt(0)
	s_add_u32 s1, s4, s6
	s_addc_u32 s3, s5, s7
	s_lshl_b32 s4, s14, 7
	v_lshlrev_b64 v[7:8], 1, v[1:2]
	s_ashr_i32 s5, s4, 31
	s_delay_alu instid0(SALU_CYCLE_1) | instskip(NEXT) | instid1(SALU_CYCLE_1)
	s_lshl_b64 s[4:5], s[4:5], 1
	s_add_u32 s1, s1, s4
	s_addc_u32 s3, s3, s5
	v_add_co_u32 v1, s1, s1, v137
	s_delay_alu instid0(VALU_DEP_1) | instskip(NEXT) | instid1(VALU_DEP_2)
	v_add_co_ci_u32_e64 v2, null, s3, 0, s1
	v_add_co_u32 v7, vcc_lo, v1, v7
	s_delay_alu instid0(VALU_DEP_2)
	v_add_co_ci_u32_e32 v8, vcc_lo, v2, v8, vcc_lo
	global_store_b128 v[7:8], v[3:6], off
	s_and_b32 exec_lo, exec_lo, s2
	s_cbranch_execz .LBB688_2
; %bb.112:
	ds_load_b128 v[3:6], v0 offset:128
	s_add_i32 s1, s31, 2
	s_delay_alu instid0(SALU_CYCLE_1) | instskip(NEXT) | instid1(SALU_CYCLE_1)
	s_mul_i32 s0, s1, s0
	s_ashr_i32 s1, s0, 31
	s_delay_alu instid0(SALU_CYCLE_1) | instskip(NEXT) | instid1(SALU_CYCLE_1)
	s_lshl_b64 s[0:1], s[0:1], 1
	v_add_co_u32 v0, vcc_lo, v1, s0
	v_add_co_ci_u32_e32 v1, vcc_lo, s1, v2, vcc_lo
	s_waitcnt lgkmcnt(0)
	global_store_b128 v[0:1], v[3:6], off
	s_nop 0
	s_sendmsg sendmsg(MSG_DEALLOC_VGPRS)
	s_endpgm
	.section	.rodata,"a",@progbits
	.p2align	6, 0x0
	.amdhsa_kernel _Z39paged_attention_ll4mi_QKV_mfma16_kernelI14__hip_bfloat16S0_LN4vllm18Fp8KVCacheDataTypeE0ES0_Li16ELi128ELi256ELb0ELi3EL8MFMAType0EEvPKT_PKT0_S9_ifPKiSB_SB_iPKfiiiPfSE_PS4_PT2_iSD_SD_
		.amdhsa_group_segment_fixed_size 17472
		.amdhsa_private_segment_fixed_size 0
		.amdhsa_kernarg_size 400
		.amdhsa_user_sgpr_count 13
		.amdhsa_user_sgpr_dispatch_ptr 0
		.amdhsa_user_sgpr_queue_ptr 0
		.amdhsa_user_sgpr_kernarg_segment_ptr 1
		.amdhsa_user_sgpr_dispatch_id 0
		.amdhsa_user_sgpr_private_segment_size 0
		.amdhsa_wavefront_size32 1
		.amdhsa_uses_dynamic_stack 0
		.amdhsa_enable_private_segment 0
		.amdhsa_system_sgpr_workgroup_id_x 1
		.amdhsa_system_sgpr_workgroup_id_y 1
		.amdhsa_system_sgpr_workgroup_id_z 1
		.amdhsa_system_sgpr_workgroup_info 0
		.amdhsa_system_vgpr_workitem_id 0
		.amdhsa_next_free_vgpr 218
		.amdhsa_next_free_sgpr 50
		.amdhsa_reserve_vcc 1
		.amdhsa_float_round_mode_32 0
		.amdhsa_float_round_mode_16_64 0
		.amdhsa_float_denorm_mode_32 3
		.amdhsa_float_denorm_mode_16_64 3
		.amdhsa_dx10_clamp 1
		.amdhsa_ieee_mode 1
		.amdhsa_fp16_overflow 0
		.amdhsa_workgroup_processor_mode 1
		.amdhsa_memory_ordered 1
		.amdhsa_forward_progress 0
		.amdhsa_shared_vgpr_count 0
		.amdhsa_exception_fp_ieee_invalid_op 0
		.amdhsa_exception_fp_denorm_src 0
		.amdhsa_exception_fp_ieee_div_zero 0
		.amdhsa_exception_fp_ieee_overflow 0
		.amdhsa_exception_fp_ieee_underflow 0
		.amdhsa_exception_fp_ieee_inexact 0
		.amdhsa_exception_int_div_zero 0
	.end_amdhsa_kernel
	.section	.text._Z39paged_attention_ll4mi_QKV_mfma16_kernelI14__hip_bfloat16S0_LN4vllm18Fp8KVCacheDataTypeE0ES0_Li16ELi128ELi256ELb0ELi3EL8MFMAType0EEvPKT_PKT0_S9_ifPKiSB_SB_iPKfiiiPfSE_PS4_PT2_iSD_SD_,"axG",@progbits,_Z39paged_attention_ll4mi_QKV_mfma16_kernelI14__hip_bfloat16S0_LN4vllm18Fp8KVCacheDataTypeE0ES0_Li16ELi128ELi256ELb0ELi3EL8MFMAType0EEvPKT_PKT0_S9_ifPKiSB_SB_iPKfiiiPfSE_PS4_PT2_iSD_SD_,comdat
.Lfunc_end688:
	.size	_Z39paged_attention_ll4mi_QKV_mfma16_kernelI14__hip_bfloat16S0_LN4vllm18Fp8KVCacheDataTypeE0ES0_Li16ELi128ELi256ELb0ELi3EL8MFMAType0EEvPKT_PKT0_S9_ifPKiSB_SB_iPKfiiiPfSE_PS4_PT2_iSD_SD_, .Lfunc_end688-_Z39paged_attention_ll4mi_QKV_mfma16_kernelI14__hip_bfloat16S0_LN4vllm18Fp8KVCacheDataTypeE0ES0_Li16ELi128ELi256ELb0ELi3EL8MFMAType0EEvPKT_PKT0_S9_ifPKiSB_SB_iPKfiiiPfSE_PS4_PT2_iSD_SD_
                                        ; -- End function
	.section	.AMDGPU.csdata,"",@progbits
; Kernel info:
; codeLenInByte = 10164
; NumSgprs: 52
; NumVgprs: 218
; ScratchSize: 0
; MemoryBound: 0
; FloatMode: 240
; IeeeMode: 1
; LDSByteSize: 17472 bytes/workgroup (compile time only)
; SGPRBlocks: 6
; VGPRBlocks: 27
; NumSGPRsForWavesPerEU: 52
; NumVGPRsForWavesPerEU: 218
; Occupancy: 6
; WaveLimiterHint : 1
; COMPUTE_PGM_RSRC2:SCRATCH_EN: 0
; COMPUTE_PGM_RSRC2:USER_SGPR: 13
; COMPUTE_PGM_RSRC2:TRAP_HANDLER: 0
; COMPUTE_PGM_RSRC2:TGID_X_EN: 1
; COMPUTE_PGM_RSRC2:TGID_Y_EN: 1
; COMPUTE_PGM_RSRC2:TGID_Z_EN: 1
; COMPUTE_PGM_RSRC2:TIDIG_COMP_CNT: 0
	.section	.text._Z39paged_attention_ll4mi_QKV_mfma16_kernelI14__hip_bfloat16S0_LN4vllm18Fp8KVCacheDataTypeE0ES0_Li16ELi128ELi256ELb0ELi4EL8MFMAType0EEvPKT_PKT0_S9_ifPKiSB_SB_iPKfiiiPfSE_PS4_PT2_iSD_SD_,"axG",@progbits,_Z39paged_attention_ll4mi_QKV_mfma16_kernelI14__hip_bfloat16S0_LN4vllm18Fp8KVCacheDataTypeE0ES0_Li16ELi128ELi256ELb0ELi4EL8MFMAType0EEvPKT_PKT0_S9_ifPKiSB_SB_iPKfiiiPfSE_PS4_PT2_iSD_SD_,comdat
	.protected	_Z39paged_attention_ll4mi_QKV_mfma16_kernelI14__hip_bfloat16S0_LN4vllm18Fp8KVCacheDataTypeE0ES0_Li16ELi128ELi256ELb0ELi4EL8MFMAType0EEvPKT_PKT0_S9_ifPKiSB_SB_iPKfiiiPfSE_PS4_PT2_iSD_SD_ ; -- Begin function _Z39paged_attention_ll4mi_QKV_mfma16_kernelI14__hip_bfloat16S0_LN4vllm18Fp8KVCacheDataTypeE0ES0_Li16ELi128ELi256ELb0ELi4EL8MFMAType0EEvPKT_PKT0_S9_ifPKiSB_SB_iPKfiiiPfSE_PS4_PT2_iSD_SD_
	.globl	_Z39paged_attention_ll4mi_QKV_mfma16_kernelI14__hip_bfloat16S0_LN4vllm18Fp8KVCacheDataTypeE0ES0_Li16ELi128ELi256ELb0ELi4EL8MFMAType0EEvPKT_PKT0_S9_ifPKiSB_SB_iPKfiiiPfSE_PS4_PT2_iSD_SD_
	.p2align	8
	.type	_Z39paged_attention_ll4mi_QKV_mfma16_kernelI14__hip_bfloat16S0_LN4vllm18Fp8KVCacheDataTypeE0ES0_Li16ELi128ELi256ELb0ELi4EL8MFMAType0EEvPKT_PKT0_S9_ifPKiSB_SB_iPKfiiiPfSE_PS4_PT2_iSD_SD_,@function
_Z39paged_attention_ll4mi_QKV_mfma16_kernelI14__hip_bfloat16S0_LN4vllm18Fp8KVCacheDataTypeE0ES0_Li16ELi128ELi256ELb0ELi4EL8MFMAType0EEvPKT_PKT0_S9_ifPKiSB_SB_iPKfiiiPfSE_PS4_PT2_iSD_SD_: ; @_Z39paged_attention_ll4mi_QKV_mfma16_kernelI14__hip_bfloat16S0_LN4vllm18Fp8KVCacheDataTypeE0ES0_Li16ELi128ELi256ELb0ELi4EL8MFMAType0EEvPKT_PKT0_S9_ifPKiSB_SB_iPKfiiiPfSE_PS4_PT2_iSD_SD_
; %bb.0:
	s_load_b64 s[4:5], s[0:1], 0x30
	s_mov_b32 s30, s13
	s_waitcnt lgkmcnt(0)
	s_cmp_lg_u64 s[4:5], 0
	s_cselect_b32 s12, -1, 0
	s_ashr_i32 s31, s13, 31
	s_cmp_eq_u64 s[4:5], 0
	s_cbranch_scc1 .LBB689_3
; %bb.1:
	s_lshl_b64 s[2:3], s[30:31], 2
	s_delay_alu instid0(SALU_CYCLE_1) | instskip(SKIP_4) | instid1(SALU_CYCLE_1)
	s_add_u32 s2, s4, s2
	s_addc_u32 s3, s5, s3
	s_load_b64 s[2:3], s[2:3], 0x0
	s_waitcnt lgkmcnt(0)
	s_sub_i32 s2, s3, s2
	s_cmp_eq_u32 s2, 1
	s_cselect_b32 s2, -1, 0
	s_delay_alu instid0(SALU_CYCLE_1)
	s_and_not1_b32 vcc_lo, exec_lo, s2
	s_cbranch_vccz .LBB689_4
.LBB689_2:
	s_endpgm
.LBB689_3:
.LBB689_4:
	s_load_b64 s[2:3], s[0:1], 0x28
	s_lshl_b64 s[6:7], s[30:31], 2
	s_waitcnt lgkmcnt(0)
	s_add_u32 s2, s2, s6
	s_addc_u32 s3, s3, s7
	s_lshl_b32 s31, s14, 8
	s_load_b32 s28, s[2:3], 0x0
	s_waitcnt lgkmcnt(0)
	s_cmp_ge_i32 s31, s28
	s_cbranch_scc1 .LBB689_2
; %bb.5:
	s_clause 0x1
	s_load_b128 s[8:11], s[0:1], 0x8
	s_load_b64 s[2:3], s[0:1], 0x20
	s_and_not1_b32 vcc_lo, exec_lo, s12
	s_cbranch_vccnz .LBB689_7
; %bb.6:
	s_add_u32 s4, s4, s6
	s_addc_u32 s5, s5, s7
	s_load_b32 s12, s[4:5], 0x0
	s_branch .LBB689_8
.LBB689_7:
	s_mov_b32 s12, s30
.LBB689_8:
	s_load_b128 s[4:7], s[0:1], 0x48
	v_and_b32_e32 v141, 15, v0
	v_lshrrev_b32_e32 v140, 5, v0
	v_and_b32_e32 v142, 31, v0
	v_and_b32_e32 v139, 1, v0
	v_bfe_u32 v138, v0, 4, 1
	v_lshlrev_b32_e32 v1, 3, v141
	s_lshl_b32 s29, s15, 2
	s_waitcnt lgkmcnt(0)
	s_mov_b32 s7, exec_lo
	s_delay_alu instid0(VALU_DEP_1)
	v_lshlrev_b32_e32 v137, 1, v1
	v_cmpx_gt_u32_e32 64, v0
	s_cbranch_execz .LBB689_10
; %bb.9:
	v_lshl_or_b32 v5, v140, 1, v138
	s_load_b64 s[16:17], s[0:1], 0x0
	s_mul_hi_i32 s13, s12, s4
	s_mul_i32 s12, s12, s4
	v_lshlrev_b32_e32 v6, 10, v141
	v_or_b32_e32 v1, s29, v5
	s_lshl_b64 s[12:13], s[12:13], 1
	v_lshlrev_b32_e32 v5, 6, v5
	v_lshlrev_b32_e32 v7, 10, v139
	v_and_b32_e32 v6, 0x3800, v6
	v_lshlrev_b32_e32 v1, 7, v1
	s_delay_alu instid0(VALU_DEP_2) | instskip(NEXT) | instid1(VALU_DEP_2)
	v_or3_b32 v5, v6, v7, v5
	v_ashrrev_i32_e32 v2, 31, v1
	s_delay_alu instid0(VALU_DEP_1) | instskip(SKIP_3) | instid1(VALU_DEP_1)
	v_lshlrev_b64 v[1:2], 1, v[1:2]
	s_waitcnt lgkmcnt(0)
	s_add_u32 s4, s16, s12
	s_addc_u32 s12, s17, s13
	v_add_co_u32 v1, vcc_lo, s4, v1
	s_delay_alu instid0(VALU_DEP_2) | instskip(NEXT) | instid1(VALU_DEP_2)
	v_add_co_ci_u32_e32 v2, vcc_lo, s12, v2, vcc_lo
	v_add_co_u32 v1, vcc_lo, v1, v137
	s_delay_alu instid0(VALU_DEP_2)
	v_add_co_ci_u32_e32 v2, vcc_lo, 0, v2, vcc_lo
	global_load_b128 v[1:4], v[1:2], off
	s_waitcnt vmcnt(0)
	ds_store_b128 v5, v[1:4]
.LBB689_10:
	s_or_b32 exec_lo, exec_lo, s7
	s_mov_b32 s36, 0
	s_add_i32 s4, s28, 15
	s_mov_b32 s37, s36
	s_mov_b32 s38, s36
	;; [unrolled: 1-line block ×7, first 2 shown]
	s_delay_alu instid0(SALU_CYCLE_1)
	v_dual_mov_b32 v136, s43 :: v_dual_and_b32 v1, 0xef, v0
	v_mov_b32_e32 v134, s41
	s_clause 0x1
	s_load_b32 s7, s[0:1], 0x38
	s_load_b32 s33, s[0:1], 0x1c
	v_add_nc_u32_e32 v1, s31, v1
	s_ashr_i32 s12, s4, 31
	s_waitcnt lgkmcnt(0)
	s_lshr_b32 s12, s12, 28
	s_barrier
	v_ashrrev_i32_e32 v2, 31, v1
	s_add_i32 s4, s4, s12
	v_cmp_gt_i32_e32 vcc_lo, s28, v1
	v_mov_b32_e32 v135, s42
	s_ashr_i32 s4, s4, 4
	v_lshrrev_b32_e32 v3, 28, v2
	v_or_b32_e32 v2, 16, v1
	s_add_i32 s4, s4, -1
	v_mov_b32_e32 v132, s39
	buffer_gl0_inv
	v_add_nc_u32_e32 v4, v1, v3
	v_add_nc_u32_e32 v3, v2, v3
	v_and_b32_e32 v105, 3, v0
	v_lshlrev_b32_e32 v106, 5, v141
	s_mul_i32 s12, s30, s7
	v_ashrrev_i32_e32 v4, 4, v4
	v_ashrrev_i32_e32 v3, 4, v3
	s_ashr_i32 s13, s12, 31
	v_lshlrev_b32_e32 v215, 6, v105
	s_lshl_b64 s[12:13], s[12:13], 2
	v_cndmask_b32_e32 v1, s4, v4, vcc_lo
	v_cmp_gt_i32_e32 vcc_lo, s28, v2
	s_add_u32 s34, s2, s12
	s_addc_u32 s35, s3, s13
	s_mul_i32 s2, s15, s6
	v_ashrrev_i32_e32 v2, 31, v1
	v_cndmask_b32_e32 v3, s4, v3, vcc_lo
	s_ashr_i32 s3, s2, 31
	v_lshl_or_b32 v125, v140, 9, v106
	s_lshl_b64 s[2:3], s[2:3], 1
	v_lshlrev_b64 v[1:2], 2, v[1:2]
	v_ashrrev_i32_e32 v4, 31, v3
	s_add_u32 s22, s8, s2
	s_addc_u32 s23, s9, s3
	s_lshl_b32 s6, s14, 4
	v_mov_b32_e32 v133, s40
	v_lshlrev_b64 v[3:4], 2, v[3:4]
	v_add_co_u32 v1, vcc_lo, s34, v1
	v_add_co_ci_u32_e32 v2, vcc_lo, s35, v2, vcc_lo
	s_ashr_i32 s7, s6, 31
	s_delay_alu instid0(VALU_DEP_3) | instskip(NEXT) | instid1(VALU_DEP_4)
	v_add_co_u32 v3, vcc_lo, s34, v3
	v_add_co_ci_u32_e32 v4, vcc_lo, s35, v4, vcc_lo
	s_clause 0x1
	global_load_b32 v5, v[1:2], off
	global_load_b32 v6, v[3:4], off
	s_lshl_b64 s[6:7], s[6:7], 2
	v_dual_mov_b32 v130, s37 :: v_dual_lshlrev_b32 v3, 4, v0
	s_add_u32 s6, s34, s6
	s_addc_u32 s7, s35, s7
	s_or_b32 s8, s31, 16
	v_mov_b32_e32 v131, s38
	s_ashr_i32 s9, s8, 4
	s_cmp_lt_i32 s8, s28
	v_mov_b32_e32 v129, s36
	s_cselect_b32 s8, s9, s4
	s_delay_alu instid0(SALU_CYCLE_1) | instskip(NEXT) | instid1(SALU_CYCLE_1)
	s_ashr_i32 s9, s8, 31
	s_lshl_b64 s[8:9], s[8:9], 2
	s_delay_alu instid0(SALU_CYCLE_1) | instskip(SKIP_2) | instid1(SALU_CYCLE_1)
	s_add_u32 s8, s34, s8
	s_addc_u32 s9, s35, s9
	s_or_b32 s12, s31, 32
	s_ashr_i32 s13, s12, 4
	s_cmp_lt_i32 s12, s28
	s_cselect_b32 s12, s13, s4
	s_delay_alu instid0(SALU_CYCLE_1) | instskip(NEXT) | instid1(SALU_CYCLE_1)
	s_ashr_i32 s13, s12, 31
	s_lshl_b64 s[12:13], s[12:13], 2
	s_delay_alu instid0(SALU_CYCLE_1) | instskip(SKIP_2) | instid1(SALU_CYCLE_1)
	s_add_u32 s12, s34, s12
	s_addc_u32 s13, s35, s13
	s_or_b32 s15, s31, 48
	s_ashr_i32 s16, s15, 4
	s_cmp_lt_i32 s15, s28
	;; [unrolled: 10-line block ×4, first 2 shown]
	s_cselect_b32 s20, s20, s4
	s_delay_alu instid0(SALU_CYCLE_1) | instskip(NEXT) | instid1(SALU_CYCLE_1)
	s_ashr_i32 s21, s20, 31
	s_lshl_b64 s[20:21], s[20:21], 2
	s_delay_alu instid0(SALU_CYCLE_1)
	s_add_u32 s20, s34, s20
	s_addc_u32 s21, s35, s21
	s_clause 0x5
	s_load_b32 s6, s[6:7], 0x0
	s_load_b32 s8, s[8:9], 0x0
	;; [unrolled: 1-line block ×6, first 2 shown]
	s_waitcnt vmcnt(1)
	v_mad_i64_i32 v[1:2], null, v5, s5, 0
	v_and_b32_e32 v5, 0xf0, v3
	s_waitcnt vmcnt(0)
	v_mad_i64_i32 v[3:4], null, v6, s5, 0
	s_delay_alu instid0(VALU_DEP_2) | instskip(NEXT) | instid1(VALU_DEP_4)
	v_add_co_u32 v5, s7, s22, v5
	v_lshlrev_b64 v[1:2], 1, v[1:2]
	v_add_co_ci_u32_e64 v6, null, s23, 0, s7
	s_delay_alu instid0(VALU_DEP_4) | instskip(SKIP_1) | instid1(VALU_DEP_3)
	v_lshlrev_b64 v[3:4], 1, v[3:4]
	s_or_b32 s7, s31, 0x60
	v_add_co_u32 v121, vcc_lo, v5, v1
	s_delay_alu instid0(VALU_DEP_3) | instskip(NEXT) | instid1(VALU_DEP_3)
	v_add_co_ci_u32_e32 v122, vcc_lo, v6, v2, vcc_lo
	v_add_co_u32 v123, vcc_lo, v5, v3
	s_delay_alu instid0(VALU_DEP_4)
	v_add_co_ci_u32_e32 v124, vcc_lo, v6, v4, vcc_lo
	s_clause 0x19
	global_load_b128 v[89:92], v[121:122], off
	global_load_b128 v[93:96], v[121:122], off offset:256
	global_load_b128 v[97:100], v[123:124], off
	global_load_b128 v[101:104], v[123:124], off offset:256
	global_load_b128 v[81:84], v[121:122], off offset:512
	;; [unrolled: 1-line block ×23, first 2 shown]
	s_ashr_i32 s9, s7, 4
	s_cmp_lt_i32 s7, s28
	ds_load_b128 v[105:108], v215
	ds_load_b128 v[109:112], v215 offset:1024
	s_cselect_b32 s20, s9, s4
	ds_load_b128 v[113:116], v215 offset:2048
	ds_load_b128 v[117:120], v215 offset:3072
	s_ashr_i32 s21, s20, 31
	ds_load_b128 v[143:146], v215 offset:4096
	ds_load_b128 v[147:150], v215 offset:5120
	s_lshl_b64 s[20:21], s[20:21], 2
	ds_load_b128 v[151:154], v215 offset:6144
	ds_load_b128 v[155:158], v215 offset:7168
	s_add_u32 s20, s34, s20
	s_addc_u32 s21, s35, s21
	s_or_b32 s7, s31, 0x70
	ds_load_b128 v[159:162], v215 offset:8192
	ds_load_b128 v[163:166], v215 offset:9216
	s_ashr_i32 s9, s7, 4
	s_cmp_lt_i32 s7, s28
	s_clause 0x1
	global_load_b128 v[167:170], v[123:124], off offset:3072
	global_load_b128 v[171:174], v[123:124], off offset:3328
	s_cselect_b32 s22, s9, s4
	s_delay_alu instid0(SALU_CYCLE_1) | instskip(NEXT) | instid1(SALU_CYCLE_1)
	s_ashr_i32 s23, s22, 31
	s_lshl_b64 s[22:23], s[22:23], 2
	s_delay_alu instid0(SALU_CYCLE_1)
	s_add_u32 s22, s34, s22
	s_addc_u32 s23, s35, s23
	s_clause 0x1
	s_load_b32 s42, s[20:21], 0x0
	s_load_b32 s43, s[22:23], 0x0
	s_clause 0x3
	global_load_b128 v[175:178], v[121:122], off offset:3584
	global_load_b128 v[179:182], v[121:122], off offset:3840
	;; [unrolled: 1-line block ×4, first 2 shown]
	s_or_b32 s7, s31, 0x80
	s_delay_alu instid0(SALU_CYCLE_1) | instskip(SKIP_2) | instid1(SALU_CYCLE_1)
	s_ashr_i32 s9, s7, 4
	s_cmp_lt_i32 s7, s28
	s_cselect_b32 s24, s9, s4
	s_ashr_i32 s25, s24, 31
	s_delay_alu instid0(SALU_CYCLE_1) | instskip(NEXT) | instid1(SALU_CYCLE_1)
	s_lshl_b64 s[24:25], s[24:25], 2
	s_add_u32 s24, s34, s24
	s_addc_u32 s25, s35, s25
	s_or_b32 s7, s31, 0x90
	s_load_b32 s44, s[24:25], 0x0
	s_ashr_i32 s9, s7, 4
	s_cmp_lt_i32 s7, s28
	s_cselect_b32 s26, s9, s4
	s_delay_alu instid0(SALU_CYCLE_1) | instskip(NEXT) | instid1(SALU_CYCLE_1)
	s_ashr_i32 s27, s26, 31
	s_lshl_b64 s[26:27], s[26:27], 2
	s_delay_alu instid0(SALU_CYCLE_1) | instskip(SKIP_2) | instid1(SALU_CYCLE_1)
	s_add_u32 s26, s34, s26
	s_addc_u32 s27, s35, s27
	s_or_b32 s7, s31, 0xa0
	s_ashr_i32 s9, s7, 4
	s_cmp_lt_i32 s7, s28
	s_waitcnt lgkmcnt(0)
	s_mul_hi_i32 s7, s6, s5
	s_cselect_b32 s36, s9, s4
	s_mul_i32 s6, s6, s5
	s_ashr_i32 s37, s36, 31
	s_delay_alu instid0(SALU_CYCLE_1) | instskip(NEXT) | instid1(SALU_CYCLE_1)
	s_lshl_b64 s[36:37], s[36:37], 2
	s_add_u32 s36, s34, s36
	s_addc_u32 s37, s35, s37
	s_or_b32 s9, s31, 0xb0
	s_delay_alu instid0(SALU_CYCLE_1)
	s_ashr_i32 s13, s9, 4
	s_cmp_lt_i32 s9, s28
	s_mul_hi_i32 s9, s8, s5
	s_cselect_b32 s38, s13, s4
	s_mul_i32 s8, s8, s5
	s_ashr_i32 s39, s38, 31
	s_mul_hi_i32 s13, s12, s5
	s_lshl_b64 s[38:39], s[38:39], 2
	s_mul_i32 s12, s12, s5
	s_add_u32 s40, s34, s38
	s_addc_u32 s41, s35, s39
	s_or_b32 s17, s31, 0xc0
	s_delay_alu instid0(SALU_CYCLE_1)
	s_ashr_i32 s19, s17, 4
	s_cmp_lt_i32 s17, s28
	s_mul_hi_i32 s17, s16, s5
	s_cselect_b32 s38, s19, s4
	s_mul_i32 s16, s16, s5
	s_ashr_i32 s39, s38, 31
	s_mul_hi_i32 s19, s18, s5
	s_lshl_b64 s[38:39], s[38:39], 2
	s_mul_i32 s18, s18, s5
	s_add_u32 s22, s34, s38
	s_addc_u32 s23, s35, s39
	s_clause 0x1
	s_load_b32 s39, s[26:27], 0x0
	s_load_b32 s38, s[36:37], 0x0
	s_or_b32 s20, s31, 0xd0
	s_mul_hi_i32 s27, s44, s5
	s_ashr_i32 s21, s20, 4
	s_cmp_lt_i32 s20, s28
	s_mul_i32 s20, s15, s5
	s_cselect_b32 s24, s21, s4
	s_mul_hi_i32 s21, s15, s5
	s_ashr_i32 s25, s24, 31
	s_mul_i32 s26, s44, s5
	s_lshl_b64 s[24:25], s[24:25], 2
	s_delay_alu instid0(SALU_CYCLE_1)
	s_add_u32 s24, s34, s24
	s_addc_u32 s25, s35, s25
	s_or_b32 s45, s31, 0xe0
	s_clause 0x2
	s_load_b32 s37, s[40:41], 0x0
	s_load_b32 s36, s[22:23], 0x0
	;; [unrolled: 1-line block ×3, first 2 shown]
	s_ashr_i32 s46, s45, 4
	s_cmp_lt_i32 s45, s28
	s_mul_hi_i32 s23, s42, s5
	s_mul_i32 s22, s42, s5
	s_cselect_b32 s42, s46, s4
	s_mul_hi_i32 s25, s43, s5
	s_mul_i32 s24, s43, s5
	s_ashr_i32 s43, s42, 31
	s_waitcnt lgkmcnt(0)
	s_mul_hi_i32 s41, s39, s5
	s_lshl_b64 s[42:43], s[42:43], 2
	s_mul_i32 s40, s39, s5
	s_add_u32 s42, s34, s42
	s_addc_u32 s43, s35, s43
	s_or_b32 s44, s31, 0xf0
	s_mul_hi_i32 s39, s38, s5
	s_ashr_i32 s46, s44, 4
	s_cmp_lt_i32 s44, s28
	s_mul_i32 s38, s38, s5
	s_cselect_b32 s46, s46, s4
	s_mul_hi_i32 s49, s15, s5
	s_ashr_i32 s47, s46, 31
	s_mul_i32 s48, s15, s5
	s_lshl_b64 s[46:47], s[46:47], 2
	s_mul_hi_i32 s45, s37, s5
	s_add_u32 s34, s34, s46
	s_addc_u32 s35, s35, s47
	s_add_u32 s4, s10, s2
	s_addc_u32 s15, s11, s3
	v_add_co_u32 v216, s4, s4, v125
	s_delay_alu instid0(VALU_DEP_1) | instskip(SKIP_2) | instid1(VALU_DEP_2)
	v_add_co_ci_u32_e64 v217, null, s15, 0, s4
	s_lshl_b64 s[2:3], s[6:7], 1
	s_lshl_b64 s[6:7], s[8:9], 1
	v_add_co_u32 v125, vcc_lo, v216, s2
	s_delay_alu instid0(VALU_DEP_2)
	v_add_co_ci_u32_e32 v126, vcc_lo, s3, v217, vcc_lo
	v_add_co_u32 v199, vcc_lo, v216, s6
	s_lshl_b64 s[8:9], s[12:13], 1
	v_add_co_ci_u32_e32 v200, vcc_lo, s7, v217, vcc_lo
	s_lshl_b64 s[10:11], s[16:17], 1
	s_lshl_b64 s[12:13], s[18:19], 1
	;; [unrolled: 1-line block ×8, first 2 shown]
	s_mul_i32 s44, s37, s5
	s_mul_hi_i32 s37, s36, s5
	s_lshl_b64 s[38:39], s[44:45], 1
	s_mul_i32 s36, s36, s5
	s_clause 0x1
	s_load_b32 s4, s[42:43], 0x0
	s_load_b32 s15, s[34:35], 0x0
	s_lshl_b64 s[36:37], s[36:37], 1
	s_lshl_b64 s[40:41], s[48:49], 1
	s_waitcnt lgkmcnt(0)
	s_mul_hi_i32 s3, s4, s5
	s_mul_i32 s2, s4, s5
	s_mul_hi_i32 s7, s15, s5
	s_lshl_b64 s[2:3], s[2:3], 1
	s_mul_i32 s6, s15, s5
	s_waitcnt vmcnt(30)
	v_wmma_f32_16x16x16_bf16 v[191:198], v[89:96], v[105:112], v[129:136]
	v_add_co_u32 v89, vcc_lo, v216, s8
	v_add_co_ci_u32_e32 v90, vcc_lo, s9, v217, vcc_lo
	v_add_co_u32 v91, vcc_lo, v216, s10
	v_add_co_ci_u32_e32 v92, vcc_lo, s11, v217, vcc_lo
	;; [unrolled: 2-line block ×5, first 2 shown]
	v_add_co_u32 v205, vcc_lo, v216, s20
	s_waitcnt vmcnt(28)
	v_wmma_f32_16x16x16_bf16 v[129:136], v[97:104], v[105:112], v[129:136]
	v_add_co_ci_u32_e32 v206, vcc_lo, s21, v217, vcc_lo
	v_add_co_u32 v207, vcc_lo, v216, s22
	v_add_co_ci_u32_e32 v208, vcc_lo, s23, v217, vcc_lo
	v_add_co_u32 v209, vcc_lo, v216, s24
	s_waitcnt vmcnt(26)
	v_wmma_f32_16x16x16_bf16 v[191:198], v[81:88], v[113:120], v[191:198]
	s_waitcnt vmcnt(24)
	v_wmma_f32_16x16x16_bf16 v[129:136], v[73:80], v[113:120], v[129:136]
	v_add_co_ci_u32_e32 v210, vcc_lo, s25, v217, vcc_lo
	v_add_co_u32 v211, vcc_lo, v216, s26
	v_add_co_ci_u32_e32 v212, vcc_lo, s27, v217, vcc_lo
	v_add_co_u32 v213, vcc_lo, v216, s38
	s_waitcnt vmcnt(22)
	v_wmma_f32_16x16x16_bf16 v[191:198], v[65:72], v[143:150], v[191:198]
	s_waitcnt vmcnt(20)
	v_wmma_f32_16x16x16_bf16 v[129:136], v[57:64], v[143:150], v[129:136]
	v_add_co_ci_u32_e32 v214, vcc_lo, s39, v217, vcc_lo
	v_add_co_u32 v143, vcc_lo, v216, s36
	s_waitcnt vmcnt(18)
	v_wmma_f32_16x16x16_bf16 v[191:198], v[49:56], v[151:158], v[191:198]
	s_waitcnt vmcnt(16)
	v_wmma_f32_16x16x16_bf16 v[129:136], v[41:48], v[151:158], v[129:136]
	v_add_co_ci_u32_e32 v144, vcc_lo, s37, v217, vcc_lo
	s_clause 0x15
	global_load_b128 v[121:124], v[125:126], off
	global_load_b128 v[125:128], v[125:126], off offset:16
	global_load_b128 v[113:116], v[199:200], off
	global_load_b128 v[117:120], v[199:200], off offset:16
	;; [unrolled: 2-line block ×11, first 2 shown]
	s_waitcnt vmcnt(36)
	v_wmma_f32_16x16x16_bf16 v[191:198], v[17:24], v[159:166], v[191:198]
	s_clause 0x1
	global_load_b128 v[17:20], v[213:214], off
	global_load_b128 v[21:24], v[213:214], off offset:16
	s_waitcnt vmcnt(36)
	v_wmma_f32_16x16x16_bf16 v[129:136], v[1:8], v[159:166], v[129:136]
	s_clause 0x1
	global_load_b128 v[1:4], v[143:144], off
	global_load_b128 v[5:8], v[143:144], off offset:16
	ds_load_b128 v[143:146], v215 offset:10240
	ds_load_b128 v[147:150], v215 offset:11264
	;; [unrolled: 1-line block ×4, first 2 shown]
	v_add_co_u32 v199, vcc_lo, v216, s40
	v_add_co_ci_u32_e32 v200, vcc_lo, s41, v217, vcc_lo
	v_add_co_u32 v159, vcc_lo, v216, s2
	v_add_co_ci_u32_e32 v160, vcc_lo, s3, v217, vcc_lo
	s_lshl_b64 s[2:3], s[6:7], 1
	s_delay_alu instid0(SALU_CYCLE_1)
	v_add_co_u32 v161, vcc_lo, v216, s2
	v_add_co_ci_u32_e32 v162, vcc_lo, s3, v217, vcc_lo
	s_waitcnt vmcnt(36) lgkmcnt(2)
	v_wmma_f32_16x16x16_bf16 v[191:198], v[33:40], v[143:150], v[191:198]
	s_waitcnt vmcnt(34)
	v_wmma_f32_16x16x16_bf16 v[129:136], v[25:32], v[143:150], v[129:136]
	s_clause 0x3
	global_load_b128 v[25:28], v[199:200], off
	global_load_b128 v[29:32], v[199:200], off offset:16
	global_load_b128 v[33:36], v[159:160], off
	global_load_b128 v[37:40], v[159:160], off offset:16
	v_and_b32_e32 v143, 0xe0, v0
	v_mbcnt_lo_u32_b32 v159, -1, 0
	s_waitcnt vmcnt(36) lgkmcnt(0)
	v_wmma_f32_16x16x16_bf16 v[191:198], v[9:16], v[151:158], v[191:198]
	s_clause 0x1
	global_load_b128 v[9:12], v[161:162], off
	global_load_b128 v[13:16], v[161:162], off offset:16
	s_waitcnt vmcnt(36)
	v_wmma_f32_16x16x16_bf16 v[129:136], v[167:174], v[151:158], v[129:136]
	v_add_nc_u32_e32 v160, s31, v143
	ds_load_b128 v[143:146], v215 offset:14336
	ds_load_b128 v[147:150], v215 offset:15360
	v_xor_b32_e32 v151, 16, v159
	s_waitcnt vmcnt(0) lgkmcnt(0)
	s_barrier
	v_or_b32_e32 v152, v160, v138
	buffer_gl0_inv
	v_cmp_gt_i32_e32 vcc_lo, 32, v151
	v_or_b32_e32 v153, 2, v152
	v_or_b32_e32 v154, 4, v152
	;; [unrolled: 1-line block ×5, first 2 shown]
	v_cmp_gt_i32_e64 s2, s28, v153
	v_cmp_gt_i32_e64 s3, s28, v154
	;; [unrolled: 1-line block ×3, first 2 shown]
	v_or_b32_e32 v158, 12, v152
	v_cmp_gt_i32_e64 s5, s28, v156
	v_cmp_gt_i32_e64 s6, s28, v157
	v_wmma_f32_16x16x16_bf16 v[191:198], v[175:182], v[143:150], v[191:198]
	v_wmma_f32_16x16x16_bf16 v[129:136], v[183:190], v[143:150], v[129:136]
	v_cndmask_b32_e32 v151, v159, v151, vcc_lo
	v_cmp_gt_i32_e32 vcc_lo, s28, v152
	v_or_b32_e32 v159, 14, v152
	v_dual_mul_f32 v149, s33, v192 :: v_dual_mul_f32 v150, s33, v191
	v_dual_mul_f32 v147, s33, v194 :: v_dual_mul_f32 v148, s33, v193
	v_dual_mul_f32 v145, s33, v196 :: v_dual_mul_f32 v174, s33, v130
	s_delay_alu instid0(VALU_DEP_3) | instskip(NEXT) | instid1(VALU_DEP_4)
	v_cndmask_b32_e32 v150, 0xff7fffff, v150, vcc_lo
	v_cndmask_b32_e64 v149, 0xff7fffff, v149, s2
	v_mul_f32_e32 v146, s33, v195
	v_cndmask_b32_e64 v148, 0xff7fffff, v148, s3
	v_cndmask_b32_e64 v147, 0xff7fffff, v147, s4
	v_or_b32_e32 v160, 16, v152
	v_max3_f32 v149, v150, 0xff7fffff, v149
	v_or_b32_e32 v161, 18, v152
	v_mul_f32_e32 v144, s33, v197
	v_dual_mul_f32 v172, s33, v132 :: v_dual_mul_f32 v143, s33, v198
	v_lshlrev_b32_e32 v154, 2, v151
	v_cndmask_b32_e64 v146, 0xff7fffff, v146, s5
	v_cndmask_b32_e64 v145, 0xff7fffff, v145, s6
	v_max3_f32 v147, v149, v148, v147
	v_cmp_gt_i32_e64 s7, s28, v158
	v_cmp_gt_i32_e64 s8, s28, v159
	v_or_b32_e32 v162, 20, v152
	v_or_b32_e32 v163, 22, v152
	v_mul_f32_e32 v175, s33, v129
	v_cndmask_b32_e64 v144, 0xff7fffff, v144, s7
	v_cndmask_b32_e64 v143, 0xff7fffff, v143, s8
	v_max3_f32 v145, v147, v146, v145
	v_cmp_gt_i32_e64 s9, s28, v160
	v_cmp_gt_i32_e64 s10, s28, v161
	v_or_b32_e32 v164, 24, v152
	v_or_b32_e32 v165, 26, v152
	v_mul_f32_e32 v173, s33, v131
	v_cndmask_b32_e64 v146, 0xff7fffff, v175, s9
	v_cndmask_b32_e64 v147, 0xff7fffff, v174, s10
	v_max3_f32 v143, v145, v144, v143
	v_cmp_gt_i32_e64 s11, s28, v162
	v_cmp_gt_i32_e64 s12, s28, v163
	v_or_b32_e32 v166, 28, v152
	v_or_b32_e32 v167, 30, v152
	v_dual_mul_f32 v170, s33, v134 :: v_dual_mul_f32 v171, s33, v133
	v_cndmask_b32_e64 v144, 0xff7fffff, v173, s11
	v_cndmask_b32_e64 v145, 0xff7fffff, v172, s12
	v_max3_f32 v143, v143, v146, v147
	v_cmp_gt_i32_e64 s13, s28, v164
	v_cmp_gt_i32_e64 s15, s28, v165
	v_dual_mul_f32 v168, s33, v136 :: v_dual_mul_f32 v169, s33, v135
	s_delay_alu instid0(VALU_DEP_4) | instskip(NEXT) | instid1(VALU_DEP_4)
	v_max3_f32 v143, v143, v144, v145
	v_cndmask_b32_e64 v146, 0xff7fffff, v171, s13
	s_delay_alu instid0(VALU_DEP_4) | instskip(SKIP_2) | instid1(VALU_DEP_3)
	v_cndmask_b32_e64 v147, 0xff7fffff, v170, s15
	v_cmp_gt_i32_e64 s16, s28, v166
	v_cmp_gt_i32_e64 s17, s28, v167
	v_max3_f32 v143, v143, v146, v147
	s_delay_alu instid0(VALU_DEP_3) | instskip(NEXT) | instid1(VALU_DEP_3)
	v_cndmask_b32_e64 v144, 0xff7fffff, v169, s16
	v_cndmask_b32_e64 v145, 0xff7fffff, v168, s17
	s_delay_alu instid0(VALU_DEP_1) | instskip(SKIP_3) | instid1(VALU_DEP_1)
	v_max3_f32 v143, v143, v144, v145
	ds_bpermute_b32 v144, v154, v143
	s_waitcnt lgkmcnt(0)
	v_max_f32_e32 v144, v144, v144
	v_max_f32_e32 v153, v143, v144
	s_delay_alu instid0(VALU_DEP_1)
	v_fma_f32 v146, s33, v194, -v153
	v_fma_f32 v143, s33, v191, -v153
	;; [unrolled: 1-line block ×5, first 2 shown]
	v_mul_f32_e32 v146, 0x3fb8aa3b, v146
	v_fma_f32 v150, s33, v197, -v153
	s_delay_alu instid0(VALU_DEP_4) | instskip(NEXT) | instid1(VALU_DEP_4)
	v_dual_mul_f32 v147, 0x3fb8aa3b, v147 :: v_dual_mul_f32 v144, 0x3fb8aa3b, v144
	v_mul_f32_e32 v130, 0x3fb8aa3b, v130
	s_delay_alu instid0(VALU_DEP_4) | instskip(NEXT) | instid1(VALU_DEP_3)
	v_exp_f32_e32 v149, v146
	v_mul_f32_e32 v150, 0x3fb8aa3b, v150
	s_delay_alu instid0(VALU_DEP_3)
	v_exp_f32_e32 v151, v147
	v_exp_f32_e32 v144, v144
	v_fma_f32 v145, s33, v193, -v153
	v_fma_f32 v148, s33, v196, -v153
	v_exp_f32_e32 v152, v150
	v_fma_f32 v129, s33, v129, -v153
	v_fma_f32 v131, s33, v131, -v153
	;; [unrolled: 1-line block ×3, first 2 shown]
	v_cndmask_b32_e64 v149, 0, v149, s4
	v_mul_f32_e32 v143, 0x3fb8aa3b, v143
	v_cndmask_b32_e64 v150, 0, v151, s5
	v_cndmask_b32_e64 v146, 0, v144, s2
	v_dual_mul_f32 v148, 0x3fb8aa3b, v148 :: v_dual_mul_f32 v131, 0x3fb8aa3b, v131
	v_mul_f32_e32 v132, 0x3fb8aa3b, v132
	v_exp_f32_e32 v143, v143
	v_exp_f32_e32 v130, v130
	s_delay_alu instid0(VALU_DEP_2)
	v_exp_f32_e32 v148, v148
	v_fma_f32 v133, s33, v133, -v153
	v_fma_f32 v134, s33, v134, -v153
	;; [unrolled: 1-line block ×3, first 2 shown]
	s_mov_b32 s2, exec_lo
	s_delay_alu instid0(TRANS32_DEP_3) | instid1(VALU_DEP_2)
	v_dual_mul_f32 v134, 0x3fb8aa3b, v134 :: v_dual_cndmask_b32 v143, 0, v143
	s_waitcnt_depctr 0xfff
	v_cndmask_b32_e64 v151, 0, v148, s6
	v_cndmask_b32_e64 v148, 0, v152, s7
	v_add_f32_e32 v144, 0, v143
	s_delay_alu instid0(VALU_DEP_1) | instskip(NEXT) | instid1(VALU_DEP_1)
	v_dual_add_f32 v144, v144, v146 :: v_dual_mul_f32 v145, 0x3fb8aa3b, v145
	v_exp_f32_e32 v145, v145
	s_waitcnt_depctr 0xfff
	v_cndmask_b32_e64 v147, 0, v145, s3
	v_fma_f32 v145, s33, v198, -v153
	s_delay_alu instid0(VALU_DEP_2) | instskip(NEXT) | instid1(VALU_DEP_1)
	v_add_f32_e32 v144, v144, v147
	v_add_f32_e32 v144, v144, v149
	s_delay_alu instid0(VALU_DEP_1) | instskip(NEXT) | instid1(VALU_DEP_1)
	v_dual_add_f32 v144, v144, v150 :: v_dual_mul_f32 v145, 0x3fb8aa3b, v145
	v_dual_add_f32 v144, v144, v151 :: v_dual_mul_f32 v129, 0x3fb8aa3b, v129
	s_delay_alu instid0(VALU_DEP_2) | instskip(NEXT) | instid1(VALU_DEP_1)
	v_exp_f32_e32 v145, v145
	v_add_f32_e32 v144, v144, v148
	s_delay_alu instid0(VALU_DEP_2) | instskip(SKIP_4) | instid1(VALU_DEP_2)
	v_exp_f32_e32 v129, v129
	s_waitcnt_depctr 0xfff
	v_cndmask_b32_e64 v152, 0, v145, s8
	v_exp_f32_e32 v145, v131
	v_cndmask_b32_e64 v131, 0, v129, s9
	v_add_f32_e32 v129, v144, v152
	v_exp_f32_e32 v144, v132
	v_cndmask_b32_e64 v132, 0, v130, s10
	v_fma_f32 v130, s33, v135, -v153
	v_mul_f32_e32 v133, 0x3fb8aa3b, v133
	s_delay_alu instid0(VALU_DEP_2) | instskip(NEXT) | instid1(VALU_DEP_2)
	v_dual_add_f32 v129, v129, v131 :: v_dual_mul_f32 v130, 0x3fb8aa3b, v130
	v_exp_f32_e32 v135, v133
	s_delay_alu instid0(TRANS32_DEP_3) | instskip(SKIP_1) | instid1(TRANS32_DEP_3)
	v_cndmask_b32_e64 v133, 0, v145, s11
	v_exp_f32_e32 v145, v134
	v_cndmask_b32_e64 v134, 0, v144, s12
	v_mul_f32_e32 v144, 0x3fb8aa3b, v136
	v_add_f32_e32 v129, v129, v132
	v_exp_f32_e32 v130, v130
	s_delay_alu instid0(VALU_DEP_1) | instskip(NEXT) | instid1(TRANS32_DEP_3)
	v_add_f32_e32 v129, v129, v133
	v_cndmask_b32_e64 v135, 0, v135, s13
	s_delay_alu instid0(TRANS32_DEP_2) | instskip(SKIP_1) | instid1(VALU_DEP_3)
	v_cndmask_b32_e64 v136, 0, v145, s15
	v_exp_f32_e32 v145, v144
	v_add_f32_e32 v129, v129, v134
	s_waitcnt_depctr 0xfff
	v_cndmask_b32_e64 v144, 0, v130, s16
	v_add_f32_e32 v129, v129, v135
	v_cndmask_b32_e64 v145, 0, v145, s17
	s_delay_alu instid0(VALU_DEP_2) | instskip(NEXT) | instid1(VALU_DEP_1)
	v_add_f32_e32 v129, v129, v136
	v_add_f32_e32 v129, v129, v144
	s_delay_alu instid0(VALU_DEP_1)
	v_add_f32_e32 v129, v129, v145
	ds_bpermute_b32 v130, v154, v129
	v_cmpx_gt_u32_e32 16, v142
	s_cbranch_execz .LBB689_12
; %bb.11:
	v_mul_u32_u24_e32 v142, 0x44, v140
	s_waitcnt lgkmcnt(0)
	v_add_f32_e32 v129, v129, v130
	s_delay_alu instid0(VALU_DEP_2) | instskip(NEXT) | instid1(VALU_DEP_1)
	v_lshl_add_u32 v142, v141, 2, v142
	v_add_nc_u32_e32 v130, 0x4000, v142
	ds_store_2addr_b32 v130, v153, v129 offset1:136
.LBB689_12:
	s_or_b32 exec_lo, exec_lo, s2
	v_lshlrev_b32_e32 v129, 2, v141
	s_waitcnt lgkmcnt(0)
	s_barrier
	buffer_gl0_inv
	v_cmp_eq_u32_e64 s2, 1, v140
	v_add_nc_u32_e32 v142, 0x4000, v129
	ds_load_2addr_b32 v[153:154], v142 offset1:17
	ds_load_2addr_b32 v[155:156], v142 offset0:34 offset1:51
	ds_load_2addr_b32 v[157:158], v142 offset0:68 offset1:85
	ds_load_2addr_b32 v[159:160], v142 offset0:102 offset1:119
	ds_load_2addr_b32 v[161:162], v142 offset0:136 offset1:153
	s_waitcnt lgkmcnt(4)
	v_max3_f32 v129, v153, 0xff7fffff, v154
	s_waitcnt lgkmcnt(3)
	s_delay_alu instid0(VALU_DEP_1) | instskip(SKIP_1) | instid1(VALU_DEP_1)
	v_max3_f32 v129, v129, v155, v156
	s_waitcnt lgkmcnt(2)
	v_max3_f32 v129, v129, v157, v158
	s_waitcnt lgkmcnt(1)
	s_delay_alu instid0(VALU_DEP_1) | instskip(NEXT) | instid1(VALU_DEP_1)
	v_max3_f32 v129, v129, v159, v160
	v_sub_f32_e32 v163, v154, v129
	v_sub_f32_e32 v130, v153, v129
	ds_load_2addr_b32 v[153:154], v142 offset0:170 offset1:187
	v_sub_f32_e32 v155, v155, v129
	v_dual_mul_f32 v163, 0x3fb8aa3b, v163 :: v_dual_mul_f32 v130, 0x3fb8aa3b, v130
	s_delay_alu instid0(VALU_DEP_2) | instskip(NEXT) | instid1(VALU_DEP_2)
	v_mul_f32_e32 v165, 0x3fb8aa3b, v155
	v_exp_f32_e32 v163, v163
	s_delay_alu instid0(VALU_DEP_2)
	v_exp_f32_e32 v164, v130
	v_sub_f32_e32 v130, v156, v129
	ds_load_2addr_b32 v[155:156], v142 offset0:204 offset1:221
	v_exp_f32_e32 v165, v165
	v_mul_f32_e32 v166, 0x3fb8aa3b, v130
	s_waitcnt lgkmcnt(2)
	v_fma_f32 v130, v164, v161, 0
	v_sub_f32_e32 v157, v157, v129
	s_delay_alu instid0(VALU_DEP_3) | instskip(NEXT) | instid1(VALU_DEP_2)
	v_exp_f32_e32 v166, v166
	v_dual_sub_f32 v161, v158, v129 :: v_dual_fmac_f32 v130, v163, v162
	s_waitcnt lgkmcnt(1)
	s_waitcnt_depctr 0xfff
	v_fmac_f32_e32 v130, v165, v153
	v_mul_f32_e32 v167, 0x3fb8aa3b, v157
	ds_load_2addr_b32 v[157:158], v142 offset0:238 offset1:255
	v_sub_f32_e32 v142, v159, v129
	v_dual_sub_f32 v153, v160, v129 :: v_dual_fmac_f32 v130, v166, v154
	v_mul_f32_e32 v159, 0x3fb8aa3b, v161
	v_exp_f32_e32 v161, v167
	s_delay_alu instid0(VALU_DEP_2)
	v_dual_mul_f32 v142, 0x3fb8aa3b, v142 :: v_dual_mul_f32 v153, 0x3fb8aa3b, v153
	s_waitcnt lgkmcnt(0)
	s_barrier
	buffer_gl0_inv
	v_exp_f32_e32 v142, v142
	v_exp_f32_e32 v153, v153
	v_fmac_f32_e32 v130, v161, v155
	v_exp_f32_e32 v159, v159
	s_waitcnt_depctr 0xfff
	v_fmac_f32_e32 v130, v159, v156
	s_delay_alu instid0(VALU_DEP_1) | instskip(NEXT) | instid1(VALU_DEP_1)
	v_fmac_f32_e32 v130, v142, v157
	v_fmac_f32_e32 v130, v153, v158
	s_delay_alu instid0(VALU_DEP_1) | instskip(NEXT) | instid1(VALU_DEP_1)
	v_add_f32_e32 v154, 0x358637bd, v130
	v_div_scale_f32 v155, null, v154, v154, 1.0
	v_div_scale_f32 v158, vcc_lo, 1.0, v154, 1.0
	s_delay_alu instid0(VALU_DEP_2) | instskip(SKIP_2) | instid1(VALU_DEP_1)
	v_rcp_f32_e32 v156, v155
	s_waitcnt_depctr 0xfff
	v_fma_f32 v157, -v155, v156, 1.0
	v_fmac_f32_e32 v156, v157, v156
	v_cndmask_b32_e64 v157, v164, v163, s2
	v_cmp_eq_u32_e64 s2, 2, v140
	s_delay_alu instid0(VALU_DEP_3) | instskip(NEXT) | instid1(VALU_DEP_2)
	v_mul_f32_e32 v160, v158, v156
	v_cndmask_b32_e64 v157, v157, v165, s2
	v_cmp_eq_u32_e64 s2, 3, v140
	s_delay_alu instid0(VALU_DEP_3) | instskip(NEXT) | instid1(VALU_DEP_2)
	v_fma_f32 v162, -v155, v160, v158
	v_cndmask_b32_e64 v157, v157, v166, s2
	v_cmp_eq_u32_e64 s2, 4, v140
	s_delay_alu instid0(VALU_DEP_3) | instskip(NEXT) | instid1(VALU_DEP_2)
	v_fmac_f32_e32 v160, v162, v156
	v_cndmask_b32_e64 v157, v157, v161, s2
	s_delay_alu instid0(VALU_DEP_2) | instskip(SKIP_1) | instid1(VALU_DEP_2)
	v_fma_f32 v155, -v155, v160, v158
	v_cmp_eq_u32_e64 s2, 5, v140
	v_div_fmas_f32 v155, v155, v156, v160
	s_delay_alu instid0(VALU_DEP_2) | instskip(SKIP_2) | instid1(VALU_DEP_3)
	v_cndmask_b32_e64 v157, v157, v159, s2
	v_cmp_eq_u32_e32 vcc_lo, 6, v140
	s_mov_b32 s2, exec_lo
	v_div_fixup_f32 v154, v155, v154, 1.0
	s_delay_alu instid0(VALU_DEP_3) | instskip(SKIP_1) | instid1(VALU_DEP_2)
	v_cndmask_b32_e32 v142, v157, v142, vcc_lo
	v_cmp_eq_u32_e32 vcc_lo, 7, v140
	v_cndmask_b32_e32 v142, v142, v153, vcc_lo
	s_delay_alu instid0(VALU_DEP_1) | instskip(NEXT) | instid1(VALU_DEP_1)
	v_mul_f32_e32 v142, v142, v154
	v_mul_f32_e32 v151, v142, v151
	;; [unrolled: 1-line block ×7, first 2 shown]
	v_dual_mul_f32 v150, v142, v147 :: v_dual_and_b32 v155, 0x7f800000, v154
	v_mul_f32_e32 v149, v142, v146
                                        ; implicit-def: $vgpr146
	s_delay_alu instid0(VALU_DEP_2)
	v_cmpx_ne_u32_e32 0x7f800000, v155
	s_xor_b32 s2, exec_lo, s2
; %bb.13:
	v_bfe_u32 v146, v154, 16, 1
	s_delay_alu instid0(VALU_DEP_1)
	v_add3_u32 v146, v154, v146, 0x7fff
                                        ; implicit-def: $vgpr154
; %bb.14:
	s_and_not1_saveexec_b32 s2, s2
; %bb.15:
	v_and_b32_e32 v146, 0xffff, v154
	v_or_b32_e32 v147, 0x10000, v154
	s_delay_alu instid0(VALU_DEP_2) | instskip(NEXT) | instid1(VALU_DEP_2)
	v_cmp_eq_u32_e32 vcc_lo, 0, v146
	v_cndmask_b32_e32 v146, v147, v154, vcc_lo
; %bb.16:
	s_or_b32 exec_lo, exec_lo, s2
	v_and_b32_e32 v147, 0x7f800000, v149
	s_delay_alu instid0(VALU_DEP_1) | instskip(SKIP_1) | instid1(SALU_CYCLE_1)
	v_cmp_ne_u32_e32 vcc_lo, 0x7f800000, v147
                                        ; implicit-def: $vgpr147
	s_and_saveexec_b32 s2, vcc_lo
	s_xor_b32 s2, exec_lo, s2
; %bb.17:
	v_bfe_u32 v147, v149, 16, 1
	s_delay_alu instid0(VALU_DEP_1)
	v_add3_u32 v147, v149, v147, 0x7fff
                                        ; implicit-def: $vgpr149
; %bb.18:
	s_and_not1_saveexec_b32 s2, s2
; %bb.19:
	v_and_b32_e32 v147, 0xffff, v149
	v_or_b32_e32 v154, 0x10000, v149
	s_delay_alu instid0(VALU_DEP_2) | instskip(NEXT) | instid1(VALU_DEP_2)
	v_cmp_eq_u32_e32 vcc_lo, 0, v147
	v_cndmask_b32_e32 v147, v154, v149, vcc_lo
; %bb.20:
	s_or_b32 exec_lo, exec_lo, s2
	v_and_b32_e32 v149, 0x7f800000, v150
	s_delay_alu instid0(VALU_DEP_1) | instskip(SKIP_1) | instid1(SALU_CYCLE_1)
	v_cmp_ne_u32_e32 vcc_lo, 0x7f800000, v149
                                        ; implicit-def: $vgpr149
	s_and_saveexec_b32 s2, vcc_lo
	s_xor_b32 s2, exec_lo, s2
; %bb.21:
	v_bfe_u32 v149, v150, 16, 1
	s_delay_alu instid0(VALU_DEP_1)
	v_add3_u32 v149, v150, v149, 0x7fff
                                        ; implicit-def: $vgpr150
; %bb.22:
	s_and_not1_saveexec_b32 s2, s2
; %bb.23:
	v_and_b32_e32 v149, 0xffff, v150
	v_or_b32_e32 v154, 0x10000, v150
	s_delay_alu instid0(VALU_DEP_2) | instskip(NEXT) | instid1(VALU_DEP_2)
	v_cmp_eq_u32_e32 vcc_lo, 0, v149
	v_cndmask_b32_e32 v149, v154, v150, vcc_lo
; %bb.24:
	s_or_b32 exec_lo, exec_lo, s2
	v_and_b32_e32 v150, 0x7f800000, v153
	s_delay_alu instid0(VALU_DEP_1) | instskip(SKIP_1) | instid1(SALU_CYCLE_1)
	v_cmp_ne_u32_e32 vcc_lo, 0x7f800000, v150
                                        ; implicit-def: $vgpr150
	s_and_saveexec_b32 s2, vcc_lo
	s_xor_b32 s2, exec_lo, s2
; %bb.25:
	v_bfe_u32 v150, v153, 16, 1
	s_delay_alu instid0(VALU_DEP_1)
	v_add3_u32 v150, v153, v150, 0x7fff
                                        ; implicit-def: $vgpr153
; %bb.26:
	s_and_not1_saveexec_b32 s2, s2
; %bb.27:
	v_and_b32_e32 v150, 0xffff, v153
	v_or_b32_e32 v154, 0x10000, v153
	s_delay_alu instid0(VALU_DEP_2) | instskip(NEXT) | instid1(VALU_DEP_2)
	v_cmp_eq_u32_e32 vcc_lo, 0, v150
	v_cndmask_b32_e32 v150, v154, v153, vcc_lo
; %bb.28:
	s_or_b32 exec_lo, exec_lo, s2
	v_and_b32_e32 v153, 0x7f800000, v152
	s_delay_alu instid0(VALU_DEP_1) | instskip(SKIP_1) | instid1(SALU_CYCLE_1)
	v_cmp_ne_u32_e32 vcc_lo, 0x7f800000, v153
                                        ; implicit-def: $vgpr153
	s_and_saveexec_b32 s2, vcc_lo
	s_xor_b32 s2, exec_lo, s2
; %bb.29:
	v_bfe_u32 v153, v152, 16, 1
	s_delay_alu instid0(VALU_DEP_1)
	v_add3_u32 v153, v152, v153, 0x7fff
                                        ; implicit-def: $vgpr152
; %bb.30:
	s_and_not1_saveexec_b32 s2, s2
; %bb.31:
	v_and_b32_e32 v153, 0xffff, v152
	v_or_b32_e32 v154, 0x10000, v152
	s_delay_alu instid0(VALU_DEP_2) | instskip(NEXT) | instid1(VALU_DEP_2)
	v_cmp_eq_u32_e32 vcc_lo, 0, v153
	v_cndmask_b32_e32 v153, v154, v152, vcc_lo
; %bb.32:
	s_or_b32 exec_lo, exec_lo, s2
	v_and_b32_e32 v152, 0x7f800000, v151
	s_delay_alu instid0(VALU_DEP_1) | instskip(SKIP_1) | instid1(SALU_CYCLE_1)
	v_cmp_ne_u32_e32 vcc_lo, 0x7f800000, v152
                                        ; implicit-def: $vgpr152
	s_and_saveexec_b32 s2, vcc_lo
	s_xor_b32 s2, exec_lo, s2
; %bb.33:
	v_bfe_u32 v152, v151, 16, 1
	s_delay_alu instid0(VALU_DEP_1)
	v_add3_u32 v152, v151, v152, 0x7fff
                                        ; implicit-def: $vgpr151
; %bb.34:
	s_and_not1_saveexec_b32 s2, s2
; %bb.35:
	v_and_b32_e32 v152, 0xffff, v151
	v_or_b32_e32 v154, 0x10000, v151
	s_delay_alu instid0(VALU_DEP_2) | instskip(NEXT) | instid1(VALU_DEP_2)
	v_cmp_eq_u32_e32 vcc_lo, 0, v152
	v_cndmask_b32_e32 v152, v154, v151, vcc_lo
; %bb.36:
	s_or_b32 exec_lo, exec_lo, s2
	v_and_b32_e32 v151, 0x7f800000, v148
	s_delay_alu instid0(VALU_DEP_1) | instskip(SKIP_1) | instid1(SALU_CYCLE_1)
	v_cmp_ne_u32_e32 vcc_lo, 0x7f800000, v151
                                        ; implicit-def: $vgpr151
	s_and_saveexec_b32 s2, vcc_lo
	s_xor_b32 s2, exec_lo, s2
; %bb.37:
	v_bfe_u32 v151, v148, 16, 1
	s_delay_alu instid0(VALU_DEP_1)
	v_add3_u32 v151, v148, v151, 0x7fff
                                        ; implicit-def: $vgpr148
; %bb.38:
	s_and_not1_saveexec_b32 s2, s2
; %bb.39:
	v_and_b32_e32 v151, 0xffff, v148
	v_or_b32_e32 v154, 0x10000, v148
	s_delay_alu instid0(VALU_DEP_2) | instskip(NEXT) | instid1(VALU_DEP_2)
	v_cmp_eq_u32_e32 vcc_lo, 0, v151
	v_cndmask_b32_e32 v151, v154, v148, vcc_lo
; %bb.40:
	s_or_b32 exec_lo, exec_lo, s2
	v_and_b32_e32 v148, 0x7f800000, v143
	s_delay_alu instid0(VALU_DEP_1) | instskip(SKIP_1) | instid1(SALU_CYCLE_1)
	v_cmp_ne_u32_e32 vcc_lo, 0x7f800000, v148
                                        ; implicit-def: $vgpr148
	s_and_saveexec_b32 s2, vcc_lo
	s_xor_b32 s2, exec_lo, s2
; %bb.41:
	v_bfe_u32 v148, v143, 16, 1
	s_delay_alu instid0(VALU_DEP_1)
	v_add3_u32 v148, v143, v148, 0x7fff
                                        ; implicit-def: $vgpr143
; %bb.42:
	s_and_not1_saveexec_b32 s2, s2
; %bb.43:
	v_and_b32_e32 v148, 0xffff, v143
	v_or_b32_e32 v154, 0x10000, v143
	s_delay_alu instid0(VALU_DEP_2) | instskip(NEXT) | instid1(VALU_DEP_2)
	v_cmp_eq_u32_e32 vcc_lo, 0, v148
	v_cndmask_b32_e32 v148, v154, v143, vcc_lo
; %bb.44:
	s_or_b32 exec_lo, exec_lo, s2
	s_load_b64 s[34:35], s[0:1], 0x94
	v_dual_mul_f32 v144, v142, v144 :: v_dual_lshlrev_b32 v155, 4, v138
	s_delay_alu instid0(VALU_DEP_2)
	v_perm_b32 v154, v148, v151, 0x7060302
	v_dual_mul_f32 v136, v142, v136 :: v_dual_lshlrev_b32 v143, 6, v141
	v_lshlrev_b32_e32 v141, 11, v140
	v_perm_b32 v151, v147, v146, 0x7060302
	v_mul_f32_e32 v146, v142, v133
	v_mul_f32_e32 v147, v142, v131
	v_perm_b32 v153, v152, v153, 0x7060302
	v_perm_b32 v152, v150, v149, 0x7060302
	v_or3_b32 v131, v155, v141, v143
	s_delay_alu instid0(VALU_DEP_4)
	v_dual_mul_f32 v141, v142, v145 :: v_dual_and_b32 v148, 0x7f800000, v147
	v_mul_f32_e32 v135, v142, v135
	v_mul_f32_e32 v145, v142, v134
	;; [unrolled: 1-line block ×3, first 2 shown]
	s_mov_b32 s2, exec_lo
	ds_store_b128 v131, v[151:154]
                                        ; implicit-def: $vgpr132
	v_cmpx_ne_u32_e32 0x7f800000, v148
	s_xor_b32 s2, exec_lo, s2
; %bb.45:
	v_bfe_u32 v132, v147, 16, 1
	s_delay_alu instid0(VALU_DEP_1)
	v_add3_u32 v132, v147, v132, 0x7fff
                                        ; implicit-def: $vgpr147
; %bb.46:
	s_and_not1_saveexec_b32 s2, s2
; %bb.47:
	v_and_b32_e32 v132, 0xffff, v147
	v_or_b32_e32 v133, 0x10000, v147
	s_delay_alu instid0(VALU_DEP_2) | instskip(NEXT) | instid1(VALU_DEP_2)
	v_cmp_eq_u32_e32 vcc_lo, 0, v132
	v_cndmask_b32_e32 v132, v133, v147, vcc_lo
; %bb.48:
	s_or_b32 exec_lo, exec_lo, s2
	v_and_b32_e32 v133, 0x7f800000, v134
	s_delay_alu instid0(VALU_DEP_1) | instskip(SKIP_1) | instid1(SALU_CYCLE_1)
	v_cmp_ne_u32_e32 vcc_lo, 0x7f800000, v133
                                        ; implicit-def: $vgpr133
	s_and_saveexec_b32 s2, vcc_lo
	s_xor_b32 s2, exec_lo, s2
; %bb.49:
	v_bfe_u32 v133, v134, 16, 1
	s_delay_alu instid0(VALU_DEP_1)
	v_add3_u32 v133, v134, v133, 0x7fff
                                        ; implicit-def: $vgpr134
; %bb.50:
	s_and_not1_saveexec_b32 s2, s2
; %bb.51:
	v_and_b32_e32 v133, 0xffff, v134
	v_or_b32_e32 v142, 0x10000, v134
	s_delay_alu instid0(VALU_DEP_2) | instskip(NEXT) | instid1(VALU_DEP_2)
	v_cmp_eq_u32_e32 vcc_lo, 0, v133
	v_cndmask_b32_e32 v133, v142, v134, vcc_lo
; %bb.52:
	s_or_b32 exec_lo, exec_lo, s2
	v_and_b32_e32 v134, 0x7f800000, v146
	s_delay_alu instid0(VALU_DEP_1) | instskip(SKIP_1) | instid1(SALU_CYCLE_1)
	v_cmp_ne_u32_e32 vcc_lo, 0x7f800000, v134
                                        ; implicit-def: $vgpr134
	s_and_saveexec_b32 s2, vcc_lo
	s_xor_b32 s2, exec_lo, s2
; %bb.53:
	v_bfe_u32 v134, v146, 16, 1
	s_delay_alu instid0(VALU_DEP_1)
	v_add3_u32 v134, v146, v134, 0x7fff
                                        ; implicit-def: $vgpr146
; %bb.54:
	s_and_not1_saveexec_b32 s2, s2
; %bb.55:
	v_and_b32_e32 v134, 0xffff, v146
	v_or_b32_e32 v142, 0x10000, v146
	s_delay_alu instid0(VALU_DEP_2) | instskip(NEXT) | instid1(VALU_DEP_2)
	v_cmp_eq_u32_e32 vcc_lo, 0, v134
	v_cndmask_b32_e32 v134, v142, v146, vcc_lo
; %bb.56:
	s_or_b32 exec_lo, exec_lo, s2
	v_and_b32_e32 v142, 0x7f800000, v145
	s_delay_alu instid0(VALU_DEP_1) | instskip(SKIP_1) | instid1(SALU_CYCLE_1)
	v_cmp_ne_u32_e32 vcc_lo, 0x7f800000, v142
                                        ; implicit-def: $vgpr142
	s_and_saveexec_b32 s2, vcc_lo
	s_xor_b32 s2, exec_lo, s2
; %bb.57:
	v_bfe_u32 v142, v145, 16, 1
	s_delay_alu instid0(VALU_DEP_1)
	v_add3_u32 v142, v145, v142, 0x7fff
                                        ; implicit-def: $vgpr145
; %bb.58:
	s_and_not1_saveexec_b32 s2, s2
; %bb.59:
	v_and_b32_e32 v142, 0xffff, v145
	v_or_b32_e32 v146, 0x10000, v145
	s_delay_alu instid0(VALU_DEP_2) | instskip(NEXT) | instid1(VALU_DEP_2)
	v_cmp_eq_u32_e32 vcc_lo, 0, v142
	v_cndmask_b32_e32 v142, v146, v145, vcc_lo
; %bb.60:
	s_or_b32 exec_lo, exec_lo, s2
	v_and_b32_e32 v145, 0x7f800000, v135
	s_delay_alu instid0(VALU_DEP_1) | instskip(SKIP_1) | instid1(SALU_CYCLE_1)
	v_cmp_ne_u32_e32 vcc_lo, 0x7f800000, v145
                                        ; implicit-def: $vgpr145
	s_and_saveexec_b32 s2, vcc_lo
	s_xor_b32 s2, exec_lo, s2
; %bb.61:
	v_bfe_u32 v145, v135, 16, 1
	s_delay_alu instid0(VALU_DEP_1)
	v_add3_u32 v145, v135, v145, 0x7fff
                                        ; implicit-def: $vgpr135
; %bb.62:
	s_and_not1_saveexec_b32 s2, s2
; %bb.63:
	v_and_b32_e32 v145, 0xffff, v135
	v_or_b32_e32 v146, 0x10000, v135
	s_delay_alu instid0(VALU_DEP_2) | instskip(NEXT) | instid1(VALU_DEP_2)
	v_cmp_eq_u32_e32 vcc_lo, 0, v145
	v_cndmask_b32_e32 v145, v146, v135, vcc_lo
; %bb.64:
	s_or_b32 exec_lo, exec_lo, s2
	v_and_b32_e32 v135, 0x7f800000, v136
	s_delay_alu instid0(VALU_DEP_1) | instskip(SKIP_1) | instid1(SALU_CYCLE_1)
	v_cmp_ne_u32_e32 vcc_lo, 0x7f800000, v135
                                        ; implicit-def: $vgpr135
	s_and_saveexec_b32 s2, vcc_lo
	s_xor_b32 s2, exec_lo, s2
; %bb.65:
	v_bfe_u32 v135, v136, 16, 1
	s_delay_alu instid0(VALU_DEP_1)
	v_add3_u32 v135, v136, v135, 0x7fff
                                        ; implicit-def: $vgpr136
; %bb.66:
	s_and_not1_saveexec_b32 s2, s2
; %bb.67:
	v_and_b32_e32 v135, 0xffff, v136
	v_or_b32_e32 v146, 0x10000, v136
	s_delay_alu instid0(VALU_DEP_2) | instskip(NEXT) | instid1(VALU_DEP_2)
	v_cmp_eq_u32_e32 vcc_lo, 0, v135
	v_cndmask_b32_e32 v135, v146, v136, vcc_lo
; %bb.68:
	s_or_b32 exec_lo, exec_lo, s2
	v_and_b32_e32 v136, 0x7f800000, v144
	s_delay_alu instid0(VALU_DEP_1) | instskip(SKIP_1) | instid1(SALU_CYCLE_1)
	v_cmp_ne_u32_e32 vcc_lo, 0x7f800000, v136
                                        ; implicit-def: $vgpr136
	s_and_saveexec_b32 s2, vcc_lo
	s_xor_b32 s2, exec_lo, s2
; %bb.69:
	v_bfe_u32 v136, v144, 16, 1
	s_delay_alu instid0(VALU_DEP_1)
	v_add3_u32 v136, v144, v136, 0x7fff
                                        ; implicit-def: $vgpr144
; %bb.70:
	s_and_not1_saveexec_b32 s2, s2
; %bb.71:
	v_and_b32_e32 v136, 0xffff, v144
	v_or_b32_e32 v146, 0x10000, v144
	s_delay_alu instid0(VALU_DEP_2) | instskip(NEXT) | instid1(VALU_DEP_2)
	v_cmp_eq_u32_e32 vcc_lo, 0, v136
	v_cndmask_b32_e32 v136, v146, v144, vcc_lo
; %bb.72:
	s_or_b32 exec_lo, exec_lo, s2
	v_and_b32_e32 v144, 0x7f800000, v141
	s_delay_alu instid0(VALU_DEP_1) | instskip(SKIP_1) | instid1(SALU_CYCLE_1)
	v_cmp_ne_u32_e32 vcc_lo, 0x7f800000, v144
                                        ; implicit-def: $vgpr144
	s_and_saveexec_b32 s2, vcc_lo
	s_xor_b32 s2, exec_lo, s2
; %bb.73:
	v_bfe_u32 v144, v141, 16, 1
	s_delay_alu instid0(VALU_DEP_1)
	v_add3_u32 v144, v141, v144, 0x7fff
                                        ; implicit-def: $vgpr141
; %bb.74:
	s_and_not1_saveexec_b32 s2, s2
; %bb.75:
	v_and_b32_e32 v144, 0xffff, v141
	v_or_b32_e32 v146, 0x10000, v141
	s_delay_alu instid0(VALU_DEP_2) | instskip(NEXT) | instid1(VALU_DEP_2)
	v_cmp_eq_u32_e32 vcc_lo, 0, v144
	v_cndmask_b32_e32 v144, v146, v141, vcc_lo
; %bb.76:
	s_or_b32 exec_lo, exec_lo, s2
	s_delay_alu instid0(VALU_DEP_1)
	v_perm_b32 v136, v144, v136, 0x7060302
	v_perm_b32 v135, v135, v145, 0x7060302
	;; [unrolled: 1-line block ×4, first 2 shown]
	v_lshl_or_b32 v144, v140, 11, v143
	v_lshlrev_b32_e32 v141, 2, v138
	ds_store_b128 v131, v[133:136] offset:1024
	s_waitcnt lgkmcnt(0)
	s_barrier
	buffer_gl0_inv
	ds_load_b128 v[132:135], v144
	ds_load_b128 v[146:149], v144 offset:16
	v_or_b32_e32 v142, 1, v141
	v_cmp_eq_u32_e64 s11, 1, v141
	v_cmp_eq_u32_e64 s10, 2, v141
	;; [unrolled: 1-line block ×3, first 2 shown]
	v_or_b32_e32 v140, 2, v141
	v_cmp_eq_u32_e64 s6, 1, v142
	v_cmp_eq_u32_e64 s5, 2, v142
	;; [unrolled: 1-line block ×8, first 2 shown]
	v_cmp_eq_u32_e32 vcc_lo, 5, v142
	v_cmp_eq_u32_e64 s9, 2, v140
	v_cmp_eq_u32_e64 s3, 6, v142
	;; [unrolled: 1-line block ×4, first 2 shown]
	s_waitcnt lgkmcnt(1)
	v_lshrrev_b32_e32 v136, 16, v132
	s_waitcnt lgkmcnt(0)
	v_lshrrev_b32_e32 v154, 16, v146
	v_lshrrev_b32_e32 v160, 16, v147
	;; [unrolled: 1-line block ×4, first 2 shown]
	v_cndmask_b32_e64 v145, v132, v136, s11
	v_cndmask_b32_e64 v150, v146, v154, s11
	;; [unrolled: 1-line block ×4, first 2 shown]
	v_lshrrev_b32_e32 v159, 16, v134
	v_cndmask_b32_e64 v145, v145, v133, s10
	v_cndmask_b32_e64 v150, v150, v147, s10
	;; [unrolled: 1-line block ×8, first 2 shown]
	v_lshrrev_b32_e32 v163, 16, v149
	v_cndmask_b32_e64 v152, v152, v160, s4
	v_cndmask_b32_e64 v145, v145, v134, s16
	;; [unrolled: 1-line block ×5, first 2 shown]
	v_lshrrev_b32_e32 v161, 16, v135
	v_cndmask_b32_e64 v145, v145, v159, s12
	v_cndmask_b32_e64 v150, v150, v162, s12
	v_cndmask_b32_e32 v151, v151, v159, vcc_lo
	v_cndmask_b32_e64 v152, v152, v148, s2
	v_cmp_eq_u32_e64 s18, 7, v142
	v_cndmask_b32_e64 v145, v145, v135, s13
	v_cndmask_b32_e64 v150, v150, v149, s13
	;; [unrolled: 1-line block ×4, first 2 shown]
	v_cmp_eq_u32_e64 s19, 4, v140
	v_cndmask_b32_e64 v164, v145, v161, s8
	v_cndmask_b32_e64 v165, v150, v163, s8
	;; [unrolled: 1-line block ×3, first 2 shown]
	v_or_b32_e32 v145, 3, v141
	v_cndmask_b32_e64 v166, v151, v161, s18
	v_cndmask_b32_e32 v155, v152, v162, vcc_lo
	v_cndmask_b32_e64 v157, v153, v134, s19
	v_cndmask_b32_e64 v156, v150, v147, s9
	ds_load_b128 v[150:153], v144 offset:1024
	v_cmp_eq_u32_e64 s20, 1, v145
	v_cmp_eq_u32_e64 s21, 5, v140
	;; [unrolled: 1-line block ×3, first 2 shown]
	v_cndmask_b32_e64 v156, v156, v160, s17
	v_cmp_eq_u32_e64 s23, 3, v145
	v_cndmask_b32_e64 v132, v132, v136, s20
	v_cndmask_b32_e64 v136, v155, v149, s3
	;; [unrolled: 1-line block ×5, first 2 shown]
	ds_load_b128 v[154:157], v144 offset:1040
	v_cndmask_b32_e64 v132, v132, v133, s22
	v_cmp_eq_u32_e64 s25, 4, v145
	v_cmp_eq_u32_e64 s27, 5, v145
	v_cndmask_b32_e64 v146, v146, v147, s22
	v_cmp_eq_u32_e64 s24, 6, v140
	v_cndmask_b32_e64 v132, v132, v158, s23
	;; [unrolled: 2-line block ×3, first 2 shown]
	v_cndmask_b32_e64 v146, v146, v160, s23
	s_waitcnt lgkmcnt(1)
	v_lshrrev_b32_e32 v158, 16, v150
	v_cndmask_b32_e64 v132, v132, v134, s25
	v_cndmask_b32_e64 v147, v167, v135, s24
	;; [unrolled: 1-line block ×6, first 2 shown]
	v_lshrrev_b32_e32 v159, 16, v151
	v_cndmask_b32_e64 v160, v150, v158, s6
	v_cndmask_b32_e64 v134, v134, v162, s27
	s_waitcnt lgkmcnt(0)
	v_lshrrev_b32_e32 v148, 16, v154
	v_cndmask_b32_e64 v146, v146, v151, s10
	v_cndmask_b32_e64 v132, v132, v135, s28
	v_cmp_eq_u32_e64 s26, 7, v140
	v_cndmask_b32_e64 v134, v134, v149, s28
	v_cndmask_b32_e64 v162, v154, v148, s11
	;; [unrolled: 1-line block ×4, first 2 shown]
	v_lshrrev_b32_e32 v160, 16, v155
	v_cndmask_b32_e64 v136, v136, v163, s18
	v_cndmask_b32_e64 v149, v162, v155, s10
	v_cmp_eq_u32_e64 s10, 7, v145
	v_cndmask_b32_e64 v146, v146, v159, s4
	v_cndmask_b32_e64 v135, v135, v152, s16
	v_lshrrev_b32_e32 v162, 16, v152
	v_cndmask_b32_e64 v149, v149, v160, s15
	v_cndmask_b32_e64 v132, v132, v161, s10
	v_cndmask_b32_e64 v134, v134, v163, s10
	v_cndmask_b32_e64 v146, v146, v152, s2
	v_cndmask_b32_e64 v147, v147, v161, s26
	v_cndmask_b32_e64 v133, v133, v163, s26
	v_cndmask_b32_e64 v161, v135, v162, s12
	v_cndmask_b32_e64 v149, v149, v156, s16
	v_lshrrev_b32_e32 v163, 16, v156
	v_perm_b32 v135, v134, v132, 0x5040100
	v_cndmask_b32_e32 v132, v146, v162, vcc_lo
	v_cndmask_b32_e64 v146, v161, v153, s13
	v_lshrrev_b32_e32 v161, 16, v153
	v_cndmask_b32_e64 v149, v149, v163, s12
	v_perm_b32 v134, v133, v147, 0x5040100
	v_cndmask_b32_e64 v132, v132, v153, s3
	v_perm_b32 v133, v136, v166, 0x5040100
	v_cndmask_b32_e64 v136, v146, v161, s8
	v_cndmask_b32_e64 v146, v149, v157, s13
	;; [unrolled: 1-line block ×27, first 2 shown]
	v_cndmask_b32_e32 v148, v148, v163, vcc_lo
	v_lshrrev_b32_e32 v147, 16, v157
	v_cndmask_b32_e64 v132, v132, v153, s24
	v_cndmask_b32_e64 v149, v149, v153, s28
	;; [unrolled: 1-line block ×11, first 2 shown]
	v_perm_b32 v132, v165, v164, 0x5040100
	v_perm_b32 v149, v150, v149, 0x5040100
	;; [unrolled: 1-line block ×5, first 2 shown]
	s_lshl_b32 s7, s35, 2
	s_mov_b32 s2, exec_lo
	ds_store_b128 v131, v[132:135]
	ds_store_b128 v131, v[146:149] offset:1024
	v_cmpx_gt_u32_e32 4, v0
	s_cbranch_execz .LBB689_78
; %bb.77:
	v_or_b32_e32 v131, s29, v0
	s_load_b128 s[8:11], s[0:1], 0x58
	s_delay_alu instid0(VALU_DEP_1) | instskip(NEXT) | instid1(VALU_DEP_1)
	v_mad_u64_u32 v[132:133], null, s7, s30, v[131:132]
	v_mad_u64_u32 v[133:134], null, v132, s34, s[14:15]
	s_delay_alu instid0(VALU_DEP_1) | instskip(NEXT) | instid1(VALU_DEP_1)
	v_ashrrev_i32_e32 v134, 31, v133
	v_lshlrev_b64 v[131:132], 2, v[133:134]
	s_waitcnt lgkmcnt(0)
	s_delay_alu instid0(VALU_DEP_1) | instskip(NEXT) | instid1(VALU_DEP_2)
	v_add_co_u32 v133, vcc_lo, s10, v131
	v_add_co_ci_u32_e32 v134, vcc_lo, s11, v132, vcc_lo
	v_add_co_u32 v131, vcc_lo, s8, v131
	v_add_co_ci_u32_e32 v132, vcc_lo, s9, v132, vcc_lo
	global_store_b32 v[133:134], v129, off
	global_store_b32 v[131:132], v130, off
.LBB689_78:
	s_or_b32 exec_lo, exec_lo, s2
	s_waitcnt lgkmcnt(0)
	s_waitcnt_vscnt null, 0x0
	s_barrier
	buffer_gl0_inv
	ds_load_b128 v[146:149], v143
	ds_load_b128 v[150:153], v143 offset:16
	ds_load_b128 v[158:161], v143 offset:1040
	;; [unrolled: 1-line block ×3, first 2 shown]
	v_mov_b32_e32 v129, 0
	ds_load_b128 v[166:169], v143 offset:2064
	ds_load_b128 v[162:165], v143 offset:2048
	;; [unrolled: 1-line block ×6, first 2 shown]
	v_mov_b32_e32 v130, v129
	v_mov_b32_e32 v131, v129
	;; [unrolled: 1-line block ×7, first 2 shown]
	s_waitcnt lgkmcnt(8)
	s_delay_alu instid0(VALU_DEP_1)
	v_wmma_f32_16x16x16_bf16 v[129:136], v[121:128], v[146:153], v[129:136]
	ds_load_b128 v[125:128], v143 offset:5136
	ds_load_b128 v[121:124], v143 offset:5120
	s_waitcnt lgkmcnt(8)
	v_wmma_f32_16x16x16_bf16 v[129:136], v[113:120], v[154:161], v[129:136]
	ds_load_b128 v[117:120], v143 offset:6160
	ds_load_b128 v[113:116], v143 offset:6144
	s_waitcnt lgkmcnt(8)
	;; [unrolled: 4-line block ×8, first 2 shown]
	v_wmma_f32_16x16x16_bf16 v[129:136], v[65:72], v[97:104], v[129:136]
	s_waitcnt lgkmcnt(6)
	s_delay_alu instid0(VALU_DEP_1)
	v_wmma_f32_16x16x16_bf16 v[129:136], v[49:56], v[89:96], v[129:136]
	ds_load_b128 v[53:56], v143 offset:13328
	ds_load_b128 v[49:52], v143 offset:13312
	s_waitcnt lgkmcnt(6)
	v_wmma_f32_16x16x16_bf16 v[129:136], v[41:48], v[81:88], v[129:136]
	ds_load_b128 v[45:48], v143 offset:14352
	ds_load_b128 v[41:44], v143 offset:14336
	s_waitcnt lgkmcnt(6)
	;; [unrolled: 4-line block ×3, first 2 shown]
	v_wmma_f32_16x16x16_bf16 v[129:136], v[1:8], v[57:64], v[129:136]
	s_waitcnt lgkmcnt(4)
	s_delay_alu instid0(VALU_DEP_1) | instskip(SKIP_1) | instid1(VALU_DEP_1)
	v_wmma_f32_16x16x16_bf16 v[129:136], v[25:32], v[49:56], v[129:136]
	s_waitcnt lgkmcnt(2)
	v_wmma_f32_16x16x16_bf16 v[129:136], v[33:40], v[41:48], v[129:136]
	s_waitcnt lgkmcnt(0)
	s_delay_alu instid0(VALU_DEP_1) | instskip(NEXT) | instid1(VALU_DEP_1)
	v_wmma_f32_16x16x16_bf16 v[129:136], v[9:16], v[17:24], v[129:136]
	v_and_b32_e32 v1, 0x7f800000, v129
	s_delay_alu instid0(VALU_DEP_1) | instskip(SKIP_1) | instid1(SALU_CYCLE_1)
	v_cmp_ne_u32_e32 vcc_lo, 0x7f800000, v1
                                        ; implicit-def: $vgpr1
	s_and_saveexec_b32 s2, vcc_lo
	s_xor_b32 s2, exec_lo, s2
; %bb.79:
	v_bfe_u32 v1, v129, 16, 1
	s_delay_alu instid0(VALU_DEP_1)
	v_add3_u32 v1, v129, v1, 0x7fff
; %bb.80:
	s_and_not1_saveexec_b32 s2, s2
; %bb.81:
	v_and_b32_e32 v1, 0xffff, v129
	v_or_b32_e32 v2, 0x10000, v129
	s_delay_alu instid0(VALU_DEP_2) | instskip(NEXT) | instid1(VALU_DEP_2)
	v_cmp_eq_u32_e32 vcc_lo, 0, v1
	v_cndmask_b32_e32 v1, v2, v129, vcc_lo
; %bb.82:
	s_or_b32 exec_lo, exec_lo, s2
	v_and_b32_e32 v2, 0x7f800000, v130
	s_delay_alu instid0(VALU_DEP_1) | instskip(SKIP_1) | instid1(SALU_CYCLE_1)
	v_cmp_ne_u32_e32 vcc_lo, 0x7f800000, v2
                                        ; implicit-def: $vgpr2
	s_and_saveexec_b32 s2, vcc_lo
	s_xor_b32 s2, exec_lo, s2
; %bb.83:
	v_bfe_u32 v2, v130, 16, 1
	s_delay_alu instid0(VALU_DEP_1)
	v_add3_u32 v2, v130, v2, 0x7fff
; %bb.84:
	s_and_not1_saveexec_b32 s2, s2
; %bb.85:
	v_and_b32_e32 v2, 0xffff, v130
	v_or_b32_e32 v3, 0x10000, v130
	s_delay_alu instid0(VALU_DEP_2) | instskip(NEXT) | instid1(VALU_DEP_2)
	v_cmp_eq_u32_e32 vcc_lo, 0, v2
	v_cndmask_b32_e32 v2, v3, v130, vcc_lo
; %bb.86:
	s_or_b32 exec_lo, exec_lo, s2
	v_and_b32_e32 v3, 0x7f800000, v131
	s_delay_alu instid0(VALU_DEP_1) | instskip(SKIP_1) | instid1(SALU_CYCLE_1)
	v_cmp_ne_u32_e32 vcc_lo, 0x7f800000, v3
                                        ; implicit-def: $vgpr3
	s_and_saveexec_b32 s2, vcc_lo
	s_xor_b32 s2, exec_lo, s2
; %bb.87:
	v_bfe_u32 v3, v131, 16, 1
	s_delay_alu instid0(VALU_DEP_1)
	v_add3_u32 v3, v131, v3, 0x7fff
; %bb.88:
	s_and_not1_saveexec_b32 s2, s2
; %bb.89:
	v_and_b32_e32 v3, 0xffff, v131
	v_or_b32_e32 v4, 0x10000, v131
	s_delay_alu instid0(VALU_DEP_2) | instskip(NEXT) | instid1(VALU_DEP_2)
	v_cmp_eq_u32_e32 vcc_lo, 0, v3
	v_cndmask_b32_e32 v3, v4, v131, vcc_lo
; %bb.90:
	s_or_b32 exec_lo, exec_lo, s2
	v_and_b32_e32 v4, 0x7f800000, v132
	s_delay_alu instid0(VALU_DEP_1) | instskip(SKIP_1) | instid1(SALU_CYCLE_1)
	v_cmp_ne_u32_e32 vcc_lo, 0x7f800000, v4
                                        ; implicit-def: $vgpr4
	s_and_saveexec_b32 s2, vcc_lo
	s_xor_b32 s2, exec_lo, s2
; %bb.91:
	v_bfe_u32 v4, v132, 16, 1
	s_delay_alu instid0(VALU_DEP_1)
	v_add3_u32 v4, v132, v4, 0x7fff
; %bb.92:
	s_and_not1_saveexec_b32 s2, s2
; %bb.93:
	v_and_b32_e32 v4, 0xffff, v132
	v_or_b32_e32 v5, 0x10000, v132
	s_delay_alu instid0(VALU_DEP_2) | instskip(NEXT) | instid1(VALU_DEP_2)
	v_cmp_eq_u32_e32 vcc_lo, 0, v4
	v_cndmask_b32_e32 v4, v5, v132, vcc_lo
; %bb.94:
	s_or_b32 exec_lo, exec_lo, s2
	v_and_b32_e32 v5, 0x7f800000, v133
	s_delay_alu instid0(VALU_DEP_1) | instskip(SKIP_1) | instid1(SALU_CYCLE_1)
	v_cmp_ne_u32_e32 vcc_lo, 0x7f800000, v5
                                        ; implicit-def: $vgpr5
	s_and_saveexec_b32 s2, vcc_lo
	s_xor_b32 s2, exec_lo, s2
; %bb.95:
	v_bfe_u32 v5, v133, 16, 1
	s_delay_alu instid0(VALU_DEP_1)
	v_add3_u32 v5, v133, v5, 0x7fff
; %bb.96:
	s_and_not1_saveexec_b32 s2, s2
; %bb.97:
	v_and_b32_e32 v5, 0xffff, v133
	v_or_b32_e32 v6, 0x10000, v133
	s_delay_alu instid0(VALU_DEP_2) | instskip(NEXT) | instid1(VALU_DEP_2)
	v_cmp_eq_u32_e32 vcc_lo, 0, v5
	v_cndmask_b32_e32 v5, v6, v133, vcc_lo
; %bb.98:
	s_or_b32 exec_lo, exec_lo, s2
	v_and_b32_e32 v6, 0x7f800000, v134
	s_delay_alu instid0(VALU_DEP_1) | instskip(SKIP_1) | instid1(SALU_CYCLE_1)
	v_cmp_ne_u32_e32 vcc_lo, 0x7f800000, v6
                                        ; implicit-def: $vgpr6
	s_and_saveexec_b32 s2, vcc_lo
	s_xor_b32 s2, exec_lo, s2
; %bb.99:
	v_bfe_u32 v6, v134, 16, 1
	s_delay_alu instid0(VALU_DEP_1)
	v_add3_u32 v6, v134, v6, 0x7fff
; %bb.100:
	s_and_not1_saveexec_b32 s2, s2
; %bb.101:
	v_and_b32_e32 v6, 0xffff, v134
	v_or_b32_e32 v7, 0x10000, v134
	s_delay_alu instid0(VALU_DEP_2) | instskip(NEXT) | instid1(VALU_DEP_2)
	v_cmp_eq_u32_e32 vcc_lo, 0, v6
	v_cndmask_b32_e32 v6, v7, v134, vcc_lo
; %bb.102:
	s_or_b32 exec_lo, exec_lo, s2
	v_and_b32_e32 v7, 0x7f800000, v135
	s_delay_alu instid0(VALU_DEP_1) | instskip(SKIP_1) | instid1(SALU_CYCLE_1)
	v_cmp_ne_u32_e32 vcc_lo, 0x7f800000, v7
                                        ; implicit-def: $vgpr7
	s_and_saveexec_b32 s2, vcc_lo
	s_xor_b32 s2, exec_lo, s2
; %bb.103:
	v_bfe_u32 v7, v135, 16, 1
	s_delay_alu instid0(VALU_DEP_1)
	v_add3_u32 v7, v135, v7, 0x7fff
; %bb.104:
	s_and_not1_saveexec_b32 s2, s2
; %bb.105:
	v_and_b32_e32 v7, 0xffff, v135
	v_or_b32_e32 v8, 0x10000, v135
	s_delay_alu instid0(VALU_DEP_2) | instskip(NEXT) | instid1(VALU_DEP_2)
	v_cmp_eq_u32_e32 vcc_lo, 0, v7
	v_cndmask_b32_e32 v7, v8, v135, vcc_lo
; %bb.106:
	s_or_b32 exec_lo, exec_lo, s2
	v_and_b32_e32 v8, 0x7f800000, v136
	s_delay_alu instid0(VALU_DEP_1) | instskip(SKIP_1) | instid1(SALU_CYCLE_1)
	v_cmp_ne_u32_e32 vcc_lo, 0x7f800000, v8
                                        ; implicit-def: $vgpr8
	s_and_saveexec_b32 s2, vcc_lo
	s_xor_b32 s2, exec_lo, s2
; %bb.107:
	v_bfe_u32 v8, v136, 16, 1
	s_delay_alu instid0(VALU_DEP_1)
	v_add3_u32 v8, v136, v8, 0x7fff
                                        ; implicit-def: $vgpr129_vgpr130_vgpr131_vgpr132_vgpr133_vgpr134_vgpr135_vgpr136
; %bb.108:
	s_and_not1_saveexec_b32 s2, s2
; %bb.109:
	v_and_b32_e32 v8, 0xffff, v136
	v_or_b32_e32 v9, 0x10000, v136
	s_delay_alu instid0(VALU_DEP_2) | instskip(NEXT) | instid1(VALU_DEP_2)
	v_cmp_eq_u32_e32 vcc_lo, 0, v8
	v_cndmask_b32_e32 v8, v9, v136, vcc_lo
; %bb.110:
	s_or_b32 exec_lo, exec_lo, s2
	s_delay_alu instid0(VALU_DEP_1)
	v_perm_b32 v7, v8, v7, 0x7060302
	v_perm_b32 v6, v6, v5, 0x7060302
	;; [unrolled: 1-line block ×4, first 2 shown]
	v_lshl_or_b32 v9, v138, 4, v144
	s_barrier
	buffer_gl0_inv
	v_cmp_eq_u32_e32 vcc_lo, 1, v141
	ds_store_b128 v9, v[4:7]
	s_waitcnt lgkmcnt(0)
	s_barrier
	buffer_gl0_inv
	ds_load_b128 v[1:4], v144
	ds_load_b128 v[5:8], v144 offset:16
	v_cmp_eq_u32_e64 s3, 2, v141
	v_cmp_eq_u32_e64 s2, 1, v142
	;; [unrolled: 1-line block ×5, first 2 shown]
	s_waitcnt lgkmcnt(1)
	v_lshrrev_b32_e32 v10, 16, v1
	s_waitcnt lgkmcnt(0)
	v_lshrrev_b32_e32 v14, 16, v5
	v_lshrrev_b32_e32 v15, 16, v6
	;; [unrolled: 1-line block ×4, first 2 shown]
	v_cndmask_b32_e64 v20, v1, v10, s2
	v_cndmask_b32_e32 v19, v5, v14, vcc_lo
	v_cndmask_b32_e64 v21, v5, v14, s2
	v_lshrrev_b32_e32 v16, 16, v7
	v_cmp_eq_u32_e64 s2, 1, v140
	v_lshrrev_b32_e32 v13, 16, v4
	v_cndmask_b32_e64 v19, v19, v6, s3
	v_lshrrev_b32_e32 v17, 16, v8
	s_delay_alu instid0(VALU_DEP_4) | instskip(SKIP_1) | instid1(VALU_DEP_4)
	v_cndmask_b32_e64 v22, v1, v10, s2
	v_cndmask_b32_e64 v23, v5, v14, s2
	;; [unrolled: 1-line block ×3, first 2 shown]
	v_cndmask_b32_e32 v18, v1, v10, vcc_lo
	v_cmp_eq_u32_e32 vcc_lo, 2, v142
	v_cmp_eq_u32_e64 s2, 2, v145
	v_cndmask_b32_e64 v22, v22, v2, s6
	v_cndmask_b32_e32 v20, v20, v2, vcc_lo
	v_cndmask_b32_e32 v21, v21, v6, vcc_lo
	v_cmp_eq_u32_e32 vcc_lo, 4, v141
	v_cndmask_b32_e32 v19, v19, v7, vcc_lo
	v_cndmask_b32_e64 v18, v18, v2, s3
	v_cmp_eq_u32_e64 s3, 3, v142
	s_delay_alu instid0(VALU_DEP_2) | instskip(NEXT) | instid1(VALU_DEP_2)
	v_cndmask_b32_e64 v18, v18, v11, s4
	v_cndmask_b32_e64 v21, v21, v15, s3
	v_cmp_eq_u32_e64 s4, 5, v141
	s_delay_alu instid0(VALU_DEP_3) | instskip(SKIP_1) | instid1(VALU_DEP_3)
	v_cndmask_b32_e32 v18, v18, v3, vcc_lo
	v_cmp_eq_u32_e32 vcc_lo, 4, v142
	v_cndmask_b32_e64 v19, v19, v16, s4
	s_delay_alu instid0(VALU_DEP_3) | instskip(SKIP_4) | instid1(VALU_DEP_3)
	v_cndmask_b32_e64 v18, v18, v12, s4
	v_cndmask_b32_e32 v21, v21, v7, vcc_lo
	v_cndmask_b32_e64 v20, v20, v11, s3
	v_cmp_eq_u32_e64 s3, 5, v142
	v_cmp_eq_u32_e64 s4, 6, v141
	v_cndmask_b32_e32 v20, v20, v3, vcc_lo
	s_delay_alu instid0(VALU_DEP_3) | instskip(SKIP_1) | instid1(VALU_DEP_4)
	v_cndmask_b32_e64 v21, v21, v16, s3
	v_cmp_eq_u32_e32 vcc_lo, 6, v142
	v_cndmask_b32_e64 v18, v18, v4, s4
	v_cndmask_b32_e64 v19, v19, v8, s4
	;; [unrolled: 1-line block ×3, first 2 shown]
	v_cmp_eq_u32_e64 s3, 1, v145
	v_cmp_eq_u32_e64 s4, 7, v141
	s_delay_alu instid0(VALU_DEP_3) | instskip(NEXT) | instid1(VALU_DEP_3)
	v_cndmask_b32_e32 v20, v20, v4, vcc_lo
	v_cndmask_b32_e64 v1, v1, v10, s3
	v_cndmask_b32_e64 v5, v5, v14, s3
	v_cmp_eq_u32_e64 s3, 3, v140
	v_cndmask_b32_e64 v14, v23, v6, s6
	v_cmp_eq_u32_e64 s6, 3, v145
	v_cndmask_b32_e64 v1, v1, v2, s2
	v_cndmask_b32_e64 v2, v5, v6, s2
	;; [unrolled: 1-line block ×3, first 2 shown]
	v_cmp_eq_u32_e64 s2, 4, v140
	v_cndmask_b32_e64 v6, v14, v15, s3
	v_cndmask_b32_e64 v1, v1, v11, s6
	v_cmp_eq_u32_e64 s3, 4, v145
	v_cndmask_b32_e64 v2, v2, v15, s6
	v_cndmask_b32_e64 v5, v10, v3, s2
	;; [unrolled: 3-line block ×3, first 2 shown]
	v_cndmask_b32_e64 v2, v2, v7, s3
	v_cmp_eq_u32_e64 s2, 5, v145
	v_cndmask_b32_e64 v5, v5, v12, s6
	v_cmp_eq_u32_e64 s3, 6, v140
	;; [unrolled: 2-line block ×3, first 2 shown]
	v_cndmask_b32_e64 v1, v1, v12, s2
	v_cndmask_b32_e64 v2, v2, v16, s2
	;; [unrolled: 1-line block ×4, first 2 shown]
	v_cmp_eq_u32_e64 s2, 7, v145
	v_cndmask_b32_e64 v1, v1, v4, s6
	v_cndmask_b32_e64 v2, v2, v8, s6
	v_cmp_eq_u32_e64 s3, 7, v140
	v_cndmask_b32_e32 v4, v21, v8, vcc_lo
	v_cndmask_b32_e64 v18, v18, v13, s4
	v_cndmask_b32_e64 v20, v20, v13, s5
	v_cndmask_b32_e64 v1, v1, v13, s2
	v_cndmask_b32_e64 v5, v5, v13, s3
	v_cndmask_b32_e64 v2, v2, v17, s2
	v_cndmask_b32_e64 v3, v3, v17, s3
	v_cndmask_b32_e64 v6, v4, v17, s5
	v_cndmask_b32_e64 v7, v19, v17, s4
	s_mov_b32 s2, exec_lo
	v_perm_b32 v4, v2, v1, 0x5040100
	v_perm_b32 v3, v3, v5, 0x5040100
	;; [unrolled: 1-line block ×4, first 2 shown]
	ds_store_b128 v9, v[1:4]
	s_waitcnt lgkmcnt(0)
	s_barrier
	buffer_gl0_inv
	v_cmpx_gt_u32_e32 32, v0
	s_cbranch_execz .LBB689_2
; %bb.111:
	s_load_b64 s[0:1], s[0:1], 0x68
	v_lshlrev_b32_e32 v0, 10, v0
	v_or_b32_e32 v1, s29, v138
	s_lshl_b32 s4, s34, 7
	v_lshlrev_b32_e32 v2, 4, v139
	s_mul_i32 s2, s4, s30
	v_lshlrev_b32_e32 v3, 6, v138
	v_mul_lo_u32 v8, v1, s4
	v_and_b32_e32 v0, 0x3800, v0
	v_or_b32_e32 v1, 2, v1
	s_mul_i32 s2, s2, s7
	s_delay_alu instid0(SALU_CYCLE_1) | instskip(NEXT) | instid1(VALU_DEP_2)
	s_ashr_i32 s3, s2, 31
	v_or3_b32 v4, v0, v2, v3
	s_lshl_b64 s[2:3], s[2:3], 1
	v_mul_lo_u32 v10, v1, s4
	v_ashrrev_i32_e32 v9, 31, v8
	ds_load_b128 v[0:3], v4
	ds_load_b128 v[4:7], v4 offset:128
	s_waitcnt lgkmcnt(0)
	s_add_u32 s2, s0, s2
	s_addc_u32 s3, s1, s3
	s_lshl_b32 s0, s14, 7
	v_ashrrev_i32_e32 v11, 31, v10
	s_ashr_i32 s1, s0, 31
	v_lshlrev_b64 v[8:9], 1, v[8:9]
	s_lshl_b64 s[0:1], s[0:1], 1
	s_delay_alu instid0(SALU_CYCLE_1) | instskip(SKIP_2) | instid1(VALU_DEP_1)
	s_add_u32 s0, s2, s0
	s_addc_u32 s1, s3, s1
	v_add_co_u32 v12, s0, s0, v137
	v_add_co_ci_u32_e64 v13, null, s1, 0, s0
	v_lshlrev_b64 v[10:11], 1, v[10:11]
	s_delay_alu instid0(VALU_DEP_3) | instskip(NEXT) | instid1(VALU_DEP_3)
	v_add_co_u32 v8, vcc_lo, v12, v8
	v_add_co_ci_u32_e32 v9, vcc_lo, v13, v9, vcc_lo
	s_delay_alu instid0(VALU_DEP_3) | instskip(NEXT) | instid1(VALU_DEP_4)
	v_add_co_u32 v10, vcc_lo, v12, v10
	v_add_co_ci_u32_e32 v11, vcc_lo, v13, v11, vcc_lo
	s_clause 0x1
	global_store_b128 v[8:9], v[0:3], off
	global_store_b128 v[10:11], v[4:7], off
	s_nop 0
	s_sendmsg sendmsg(MSG_DEALLOC_VGPRS)
	s_endpgm
	.section	.rodata,"a",@progbits
	.p2align	6, 0x0
	.amdhsa_kernel _Z39paged_attention_ll4mi_QKV_mfma16_kernelI14__hip_bfloat16S0_LN4vllm18Fp8KVCacheDataTypeE0ES0_Li16ELi128ELi256ELb0ELi4EL8MFMAType0EEvPKT_PKT0_S9_ifPKiSB_SB_iPKfiiiPfSE_PS4_PT2_iSD_SD_
		.amdhsa_group_segment_fixed_size 17472
		.amdhsa_private_segment_fixed_size 0
		.amdhsa_kernarg_size 400
		.amdhsa_user_sgpr_count 13
		.amdhsa_user_sgpr_dispatch_ptr 0
		.amdhsa_user_sgpr_queue_ptr 0
		.amdhsa_user_sgpr_kernarg_segment_ptr 1
		.amdhsa_user_sgpr_dispatch_id 0
		.amdhsa_user_sgpr_private_segment_size 0
		.amdhsa_wavefront_size32 1
		.amdhsa_uses_dynamic_stack 0
		.amdhsa_enable_private_segment 0
		.amdhsa_system_sgpr_workgroup_id_x 1
		.amdhsa_system_sgpr_workgroup_id_y 1
		.amdhsa_system_sgpr_workgroup_id_z 1
		.amdhsa_system_sgpr_workgroup_info 0
		.amdhsa_system_vgpr_workitem_id 0
		.amdhsa_next_free_vgpr 218
		.amdhsa_next_free_sgpr 50
		.amdhsa_reserve_vcc 1
		.amdhsa_float_round_mode_32 0
		.amdhsa_float_round_mode_16_64 0
		.amdhsa_float_denorm_mode_32 3
		.amdhsa_float_denorm_mode_16_64 3
		.amdhsa_dx10_clamp 1
		.amdhsa_ieee_mode 1
		.amdhsa_fp16_overflow 0
		.amdhsa_workgroup_processor_mode 1
		.amdhsa_memory_ordered 1
		.amdhsa_forward_progress 0
		.amdhsa_shared_vgpr_count 0
		.amdhsa_exception_fp_ieee_invalid_op 0
		.amdhsa_exception_fp_denorm_src 0
		.amdhsa_exception_fp_ieee_div_zero 0
		.amdhsa_exception_fp_ieee_overflow 0
		.amdhsa_exception_fp_ieee_underflow 0
		.amdhsa_exception_fp_ieee_inexact 0
		.amdhsa_exception_int_div_zero 0
	.end_amdhsa_kernel
	.section	.text._Z39paged_attention_ll4mi_QKV_mfma16_kernelI14__hip_bfloat16S0_LN4vllm18Fp8KVCacheDataTypeE0ES0_Li16ELi128ELi256ELb0ELi4EL8MFMAType0EEvPKT_PKT0_S9_ifPKiSB_SB_iPKfiiiPfSE_PS4_PT2_iSD_SD_,"axG",@progbits,_Z39paged_attention_ll4mi_QKV_mfma16_kernelI14__hip_bfloat16S0_LN4vllm18Fp8KVCacheDataTypeE0ES0_Li16ELi128ELi256ELb0ELi4EL8MFMAType0EEvPKT_PKT0_S9_ifPKiSB_SB_iPKfiiiPfSE_PS4_PT2_iSD_SD_,comdat
.Lfunc_end689:
	.size	_Z39paged_attention_ll4mi_QKV_mfma16_kernelI14__hip_bfloat16S0_LN4vllm18Fp8KVCacheDataTypeE0ES0_Li16ELi128ELi256ELb0ELi4EL8MFMAType0EEvPKT_PKT0_S9_ifPKiSB_SB_iPKfiiiPfSE_PS4_PT2_iSD_SD_, .Lfunc_end689-_Z39paged_attention_ll4mi_QKV_mfma16_kernelI14__hip_bfloat16S0_LN4vllm18Fp8KVCacheDataTypeE0ES0_Li16ELi128ELi256ELb0ELi4EL8MFMAType0EEvPKT_PKT0_S9_ifPKiSB_SB_iPKfiiiPfSE_PS4_PT2_iSD_SD_
                                        ; -- End function
	.section	.AMDGPU.csdata,"",@progbits
; Kernel info:
; codeLenInByte = 10156
; NumSgprs: 52
; NumVgprs: 218
; ScratchSize: 0
; MemoryBound: 0
; FloatMode: 240
; IeeeMode: 1
; LDSByteSize: 17472 bytes/workgroup (compile time only)
; SGPRBlocks: 6
; VGPRBlocks: 27
; NumSGPRsForWavesPerEU: 52
; NumVGPRsForWavesPerEU: 218
; Occupancy: 6
; WaveLimiterHint : 1
; COMPUTE_PGM_RSRC2:SCRATCH_EN: 0
; COMPUTE_PGM_RSRC2:USER_SGPR: 13
; COMPUTE_PGM_RSRC2:TRAP_HANDLER: 0
; COMPUTE_PGM_RSRC2:TGID_X_EN: 1
; COMPUTE_PGM_RSRC2:TGID_Y_EN: 1
; COMPUTE_PGM_RSRC2:TGID_Z_EN: 1
; COMPUTE_PGM_RSRC2:TIDIG_COMP_CNT: 0
	.section	.text._Z38paged_attention_ll4mi_QKV_mfma4_kernelI14__hip_bfloat16S0_LN4vllm18Fp8KVCacheDataTypeE0EhLi32ELi128ELi256ELb1ELi1EEvPKT_PKT0_S8_ifPKiSA_SA_iPKfiiiPfSD_PS3_PT2_iSC_SC_,"axG",@progbits,_Z38paged_attention_ll4mi_QKV_mfma4_kernelI14__hip_bfloat16S0_LN4vllm18Fp8KVCacheDataTypeE0EhLi32ELi128ELi256ELb1ELi1EEvPKT_PKT0_S8_ifPKiSA_SA_iPKfiiiPfSD_PS3_PT2_iSC_SC_,comdat
	.protected	_Z38paged_attention_ll4mi_QKV_mfma4_kernelI14__hip_bfloat16S0_LN4vllm18Fp8KVCacheDataTypeE0EhLi32ELi128ELi256ELb1ELi1EEvPKT_PKT0_S8_ifPKiSA_SA_iPKfiiiPfSD_PS3_PT2_iSC_SC_ ; -- Begin function _Z38paged_attention_ll4mi_QKV_mfma4_kernelI14__hip_bfloat16S0_LN4vllm18Fp8KVCacheDataTypeE0EhLi32ELi128ELi256ELb1ELi1EEvPKT_PKT0_S8_ifPKiSA_SA_iPKfiiiPfSD_PS3_PT2_iSC_SC_
	.globl	_Z38paged_attention_ll4mi_QKV_mfma4_kernelI14__hip_bfloat16S0_LN4vllm18Fp8KVCacheDataTypeE0EhLi32ELi128ELi256ELb1ELi1EEvPKT_PKT0_S8_ifPKiSA_SA_iPKfiiiPfSD_PS3_PT2_iSC_SC_
	.p2align	8
	.type	_Z38paged_attention_ll4mi_QKV_mfma4_kernelI14__hip_bfloat16S0_LN4vllm18Fp8KVCacheDataTypeE0EhLi32ELi128ELi256ELb1ELi1EEvPKT_PKT0_S8_ifPKiSA_SA_iPKfiiiPfSD_PS3_PT2_iSC_SC_,@function
_Z38paged_attention_ll4mi_QKV_mfma4_kernelI14__hip_bfloat16S0_LN4vllm18Fp8KVCacheDataTypeE0EhLi32ELi128ELi256ELb1ELi1EEvPKT_PKT0_S8_ifPKiSA_SA_iPKfiiiPfSD_PS3_PT2_iSC_SC_: ; @_Z38paged_attention_ll4mi_QKV_mfma4_kernelI14__hip_bfloat16S0_LN4vllm18Fp8KVCacheDataTypeE0EhLi32ELi128ELi256ELb1ELi1EEvPKT_PKT0_S8_ifPKiSA_SA_iPKfiiiPfSD_PS3_PT2_iSC_SC_
; %bb.0:
	s_add_u32 s8, s0, 0x90
	s_addc_u32 s9, s1, 0
	s_getpc_b64 s[0:1]
	s_add_u32 s0, s0, __PRETTY_FUNCTION__._Z38paged_attention_ll4mi_QKV_mfma4_kernelI14__hip_bfloat16S0_LN4vllm18Fp8KVCacheDataTypeE0EhLi32ELi128ELi256ELb1ELi1EEvPKT_PKT0_S8_ifPKiSA_SA_iPKfiiiPfSD_PS3_PT2_iSC_SC_@rel32@lo+4
	s_addc_u32 s1, s1, __PRETTY_FUNCTION__._Z38paged_attention_ll4mi_QKV_mfma4_kernelI14__hip_bfloat16S0_LN4vllm18Fp8KVCacheDataTypeE0EhLi32ELi128ELi256ELb1ELi1EEvPKT_PKT0_S8_ifPKiSA_SA_iPKfiiiPfSD_PS3_PT2_iSC_SC_@rel32@hi+12
	s_delay_alu instid0(SALU_CYCLE_1) | instskip(SKIP_4) | instid1(SALU_CYCLE_1)
	v_dual_mov_b32 v0, s0 :: v_dual_mov_b32 v1, s1
	s_mov_b32 s32, 0
	s_getpc_b64 s[2:3]
	s_add_u32 s2, s2, __assert_fail@rel32@lo+4
	s_addc_u32 s3, s3, __assert_fail@rel32@hi+12
	s_swappc_b64 s[30:31], s[2:3]
	.section	.rodata,"a",@progbits
	.p2align	6, 0x0
	.amdhsa_kernel _Z38paged_attention_ll4mi_QKV_mfma4_kernelI14__hip_bfloat16S0_LN4vllm18Fp8KVCacheDataTypeE0EhLi32ELi128ELi256ELb1ELi1EEvPKT_PKT0_S8_ifPKiSA_SA_iPKfiiiPfSD_PS3_PT2_iSC_SC_
		.amdhsa_group_segment_fixed_size 0
		.amdhsa_private_segment_fixed_size 64
		.amdhsa_kernarg_size 400
		.amdhsa_user_sgpr_count 15
		.amdhsa_user_sgpr_dispatch_ptr 0
		.amdhsa_user_sgpr_queue_ptr 0
		.amdhsa_user_sgpr_kernarg_segment_ptr 1
		.amdhsa_user_sgpr_dispatch_id 0
		.amdhsa_user_sgpr_private_segment_size 0
		.amdhsa_wavefront_size32 1
		.amdhsa_uses_dynamic_stack 0
		.amdhsa_enable_private_segment 1
		.amdhsa_system_sgpr_workgroup_id_x 1
		.amdhsa_system_sgpr_workgroup_id_y 0
		.amdhsa_system_sgpr_workgroup_id_z 0
		.amdhsa_system_sgpr_workgroup_info 0
		.amdhsa_system_vgpr_workitem_id 0
		.amdhsa_next_free_vgpr 41
		.amdhsa_next_free_sgpr 34
		.amdhsa_reserve_vcc 1
		.amdhsa_float_round_mode_32 0
		.amdhsa_float_round_mode_16_64 0
		.amdhsa_float_denorm_mode_32 3
		.amdhsa_float_denorm_mode_16_64 3
		.amdhsa_dx10_clamp 1
		.amdhsa_ieee_mode 1
		.amdhsa_fp16_overflow 0
		.amdhsa_workgroup_processor_mode 1
		.amdhsa_memory_ordered 1
		.amdhsa_forward_progress 0
		.amdhsa_shared_vgpr_count 0
		.amdhsa_exception_fp_ieee_invalid_op 0
		.amdhsa_exception_fp_denorm_src 0
		.amdhsa_exception_fp_ieee_div_zero 0
		.amdhsa_exception_fp_ieee_overflow 0
		.amdhsa_exception_fp_ieee_underflow 0
		.amdhsa_exception_fp_ieee_inexact 0
		.amdhsa_exception_int_div_zero 0
	.end_amdhsa_kernel
	.section	.text._Z38paged_attention_ll4mi_QKV_mfma4_kernelI14__hip_bfloat16S0_LN4vllm18Fp8KVCacheDataTypeE0EhLi32ELi128ELi256ELb1ELi1EEvPKT_PKT0_S8_ifPKiSA_SA_iPKfiiiPfSD_PS3_PT2_iSC_SC_,"axG",@progbits,_Z38paged_attention_ll4mi_QKV_mfma4_kernelI14__hip_bfloat16S0_LN4vllm18Fp8KVCacheDataTypeE0EhLi32ELi128ELi256ELb1ELi1EEvPKT_PKT0_S8_ifPKiSA_SA_iPKfiiiPfSD_PS3_PT2_iSC_SC_,comdat
.Lfunc_end690:
	.size	_Z38paged_attention_ll4mi_QKV_mfma4_kernelI14__hip_bfloat16S0_LN4vllm18Fp8KVCacheDataTypeE0EhLi32ELi128ELi256ELb1ELi1EEvPKT_PKT0_S8_ifPKiSA_SA_iPKfiiiPfSD_PS3_PT2_iSC_SC_, .Lfunc_end690-_Z38paged_attention_ll4mi_QKV_mfma4_kernelI14__hip_bfloat16S0_LN4vllm18Fp8KVCacheDataTypeE0EhLi32ELi128ELi256ELb1ELi1EEvPKT_PKT0_S8_ifPKiSA_SA_iPKfiiiPfSD_PS3_PT2_iSC_SC_
                                        ; -- End function
	.section	.AMDGPU.csdata,"",@progbits
; Kernel info:
; codeLenInByte = 72
; NumSgprs: 36
; NumVgprs: 41
; ScratchSize: 64
; MemoryBound: 0
; FloatMode: 240
; IeeeMode: 1
; LDSByteSize: 0 bytes/workgroup (compile time only)
; SGPRBlocks: 4
; VGPRBlocks: 5
; NumSGPRsForWavesPerEU: 36
; NumVGPRsForWavesPerEU: 41
; Occupancy: 16
; WaveLimiterHint : 1
; COMPUTE_PGM_RSRC2:SCRATCH_EN: 1
; COMPUTE_PGM_RSRC2:USER_SGPR: 15
; COMPUTE_PGM_RSRC2:TRAP_HANDLER: 0
; COMPUTE_PGM_RSRC2:TGID_X_EN: 1
; COMPUTE_PGM_RSRC2:TGID_Y_EN: 0
; COMPUTE_PGM_RSRC2:TGID_Z_EN: 0
; COMPUTE_PGM_RSRC2:TIDIG_COMP_CNT: 0
	.section	.text._Z38paged_attention_ll4mi_QKV_mfma4_kernelI14__hip_bfloat16S0_LN4vllm18Fp8KVCacheDataTypeE0EhLi32ELi128ELi256ELb1ELi2EEvPKT_PKT0_S8_ifPKiSA_SA_iPKfiiiPfSD_PS3_PT2_iSC_SC_,"axG",@progbits,_Z38paged_attention_ll4mi_QKV_mfma4_kernelI14__hip_bfloat16S0_LN4vllm18Fp8KVCacheDataTypeE0EhLi32ELi128ELi256ELb1ELi2EEvPKT_PKT0_S8_ifPKiSA_SA_iPKfiiiPfSD_PS3_PT2_iSC_SC_,comdat
	.protected	_Z38paged_attention_ll4mi_QKV_mfma4_kernelI14__hip_bfloat16S0_LN4vllm18Fp8KVCacheDataTypeE0EhLi32ELi128ELi256ELb1ELi2EEvPKT_PKT0_S8_ifPKiSA_SA_iPKfiiiPfSD_PS3_PT2_iSC_SC_ ; -- Begin function _Z38paged_attention_ll4mi_QKV_mfma4_kernelI14__hip_bfloat16S0_LN4vllm18Fp8KVCacheDataTypeE0EhLi32ELi128ELi256ELb1ELi2EEvPKT_PKT0_S8_ifPKiSA_SA_iPKfiiiPfSD_PS3_PT2_iSC_SC_
	.globl	_Z38paged_attention_ll4mi_QKV_mfma4_kernelI14__hip_bfloat16S0_LN4vllm18Fp8KVCacheDataTypeE0EhLi32ELi128ELi256ELb1ELi2EEvPKT_PKT0_S8_ifPKiSA_SA_iPKfiiiPfSD_PS3_PT2_iSC_SC_
	.p2align	8
	.type	_Z38paged_attention_ll4mi_QKV_mfma4_kernelI14__hip_bfloat16S0_LN4vllm18Fp8KVCacheDataTypeE0EhLi32ELi128ELi256ELb1ELi2EEvPKT_PKT0_S8_ifPKiSA_SA_iPKfiiiPfSD_PS3_PT2_iSC_SC_,@function
_Z38paged_attention_ll4mi_QKV_mfma4_kernelI14__hip_bfloat16S0_LN4vllm18Fp8KVCacheDataTypeE0EhLi32ELi128ELi256ELb1ELi2EEvPKT_PKT0_S8_ifPKiSA_SA_iPKfiiiPfSD_PS3_PT2_iSC_SC_: ; @_Z38paged_attention_ll4mi_QKV_mfma4_kernelI14__hip_bfloat16S0_LN4vllm18Fp8KVCacheDataTypeE0EhLi32ELi128ELi256ELb1ELi2EEvPKT_PKT0_S8_ifPKiSA_SA_iPKfiiiPfSD_PS3_PT2_iSC_SC_
; %bb.0:
	s_add_u32 s8, s0, 0x90
	s_addc_u32 s9, s1, 0
	s_getpc_b64 s[0:1]
	s_add_u32 s0, s0, __PRETTY_FUNCTION__._Z38paged_attention_ll4mi_QKV_mfma4_kernelI14__hip_bfloat16S0_LN4vllm18Fp8KVCacheDataTypeE0EhLi32ELi128ELi256ELb1ELi2EEvPKT_PKT0_S8_ifPKiSA_SA_iPKfiiiPfSD_PS3_PT2_iSC_SC_@rel32@lo+4
	s_addc_u32 s1, s1, __PRETTY_FUNCTION__._Z38paged_attention_ll4mi_QKV_mfma4_kernelI14__hip_bfloat16S0_LN4vllm18Fp8KVCacheDataTypeE0EhLi32ELi128ELi256ELb1ELi2EEvPKT_PKT0_S8_ifPKiSA_SA_iPKfiiiPfSD_PS3_PT2_iSC_SC_@rel32@hi+12
	s_delay_alu instid0(SALU_CYCLE_1) | instskip(SKIP_4) | instid1(SALU_CYCLE_1)
	v_dual_mov_b32 v0, s0 :: v_dual_mov_b32 v1, s1
	s_mov_b32 s32, 0
	s_getpc_b64 s[2:3]
	s_add_u32 s2, s2, __assert_fail@rel32@lo+4
	s_addc_u32 s3, s3, __assert_fail@rel32@hi+12
	s_swappc_b64 s[30:31], s[2:3]
	.section	.rodata,"a",@progbits
	.p2align	6, 0x0
	.amdhsa_kernel _Z38paged_attention_ll4mi_QKV_mfma4_kernelI14__hip_bfloat16S0_LN4vllm18Fp8KVCacheDataTypeE0EhLi32ELi128ELi256ELb1ELi2EEvPKT_PKT0_S8_ifPKiSA_SA_iPKfiiiPfSD_PS3_PT2_iSC_SC_
		.amdhsa_group_segment_fixed_size 0
		.amdhsa_private_segment_fixed_size 64
		.amdhsa_kernarg_size 400
		.amdhsa_user_sgpr_count 15
		.amdhsa_user_sgpr_dispatch_ptr 0
		.amdhsa_user_sgpr_queue_ptr 0
		.amdhsa_user_sgpr_kernarg_segment_ptr 1
		.amdhsa_user_sgpr_dispatch_id 0
		.amdhsa_user_sgpr_private_segment_size 0
		.amdhsa_wavefront_size32 1
		.amdhsa_uses_dynamic_stack 0
		.amdhsa_enable_private_segment 1
		.amdhsa_system_sgpr_workgroup_id_x 1
		.amdhsa_system_sgpr_workgroup_id_y 0
		.amdhsa_system_sgpr_workgroup_id_z 0
		.amdhsa_system_sgpr_workgroup_info 0
		.amdhsa_system_vgpr_workitem_id 0
		.amdhsa_next_free_vgpr 41
		.amdhsa_next_free_sgpr 34
		.amdhsa_reserve_vcc 1
		.amdhsa_float_round_mode_32 0
		.amdhsa_float_round_mode_16_64 0
		.amdhsa_float_denorm_mode_32 3
		.amdhsa_float_denorm_mode_16_64 3
		.amdhsa_dx10_clamp 1
		.amdhsa_ieee_mode 1
		.amdhsa_fp16_overflow 0
		.amdhsa_workgroup_processor_mode 1
		.amdhsa_memory_ordered 1
		.amdhsa_forward_progress 0
		.amdhsa_shared_vgpr_count 0
		.amdhsa_exception_fp_ieee_invalid_op 0
		.amdhsa_exception_fp_denorm_src 0
		.amdhsa_exception_fp_ieee_div_zero 0
		.amdhsa_exception_fp_ieee_overflow 0
		.amdhsa_exception_fp_ieee_underflow 0
		.amdhsa_exception_fp_ieee_inexact 0
		.amdhsa_exception_int_div_zero 0
	.end_amdhsa_kernel
	.section	.text._Z38paged_attention_ll4mi_QKV_mfma4_kernelI14__hip_bfloat16S0_LN4vllm18Fp8KVCacheDataTypeE0EhLi32ELi128ELi256ELb1ELi2EEvPKT_PKT0_S8_ifPKiSA_SA_iPKfiiiPfSD_PS3_PT2_iSC_SC_,"axG",@progbits,_Z38paged_attention_ll4mi_QKV_mfma4_kernelI14__hip_bfloat16S0_LN4vllm18Fp8KVCacheDataTypeE0EhLi32ELi128ELi256ELb1ELi2EEvPKT_PKT0_S8_ifPKiSA_SA_iPKfiiiPfSD_PS3_PT2_iSC_SC_,comdat
.Lfunc_end691:
	.size	_Z38paged_attention_ll4mi_QKV_mfma4_kernelI14__hip_bfloat16S0_LN4vllm18Fp8KVCacheDataTypeE0EhLi32ELi128ELi256ELb1ELi2EEvPKT_PKT0_S8_ifPKiSA_SA_iPKfiiiPfSD_PS3_PT2_iSC_SC_, .Lfunc_end691-_Z38paged_attention_ll4mi_QKV_mfma4_kernelI14__hip_bfloat16S0_LN4vllm18Fp8KVCacheDataTypeE0EhLi32ELi128ELi256ELb1ELi2EEvPKT_PKT0_S8_ifPKiSA_SA_iPKfiiiPfSD_PS3_PT2_iSC_SC_
                                        ; -- End function
	.section	.AMDGPU.csdata,"",@progbits
; Kernel info:
; codeLenInByte = 72
; NumSgprs: 36
; NumVgprs: 41
; ScratchSize: 64
; MemoryBound: 0
; FloatMode: 240
; IeeeMode: 1
; LDSByteSize: 0 bytes/workgroup (compile time only)
; SGPRBlocks: 4
; VGPRBlocks: 5
; NumSGPRsForWavesPerEU: 36
; NumVGPRsForWavesPerEU: 41
; Occupancy: 16
; WaveLimiterHint : 1
; COMPUTE_PGM_RSRC2:SCRATCH_EN: 1
; COMPUTE_PGM_RSRC2:USER_SGPR: 15
; COMPUTE_PGM_RSRC2:TRAP_HANDLER: 0
; COMPUTE_PGM_RSRC2:TGID_X_EN: 1
; COMPUTE_PGM_RSRC2:TGID_Y_EN: 0
; COMPUTE_PGM_RSRC2:TGID_Z_EN: 0
; COMPUTE_PGM_RSRC2:TIDIG_COMP_CNT: 0
	.section	.text._Z38paged_attention_ll4mi_QKV_mfma4_kernelI14__hip_bfloat16S0_LN4vllm18Fp8KVCacheDataTypeE0EhLi32ELi128ELi256ELb1ELi3EEvPKT_PKT0_S8_ifPKiSA_SA_iPKfiiiPfSD_PS3_PT2_iSC_SC_,"axG",@progbits,_Z38paged_attention_ll4mi_QKV_mfma4_kernelI14__hip_bfloat16S0_LN4vllm18Fp8KVCacheDataTypeE0EhLi32ELi128ELi256ELb1ELi3EEvPKT_PKT0_S8_ifPKiSA_SA_iPKfiiiPfSD_PS3_PT2_iSC_SC_,comdat
	.protected	_Z38paged_attention_ll4mi_QKV_mfma4_kernelI14__hip_bfloat16S0_LN4vllm18Fp8KVCacheDataTypeE0EhLi32ELi128ELi256ELb1ELi3EEvPKT_PKT0_S8_ifPKiSA_SA_iPKfiiiPfSD_PS3_PT2_iSC_SC_ ; -- Begin function _Z38paged_attention_ll4mi_QKV_mfma4_kernelI14__hip_bfloat16S0_LN4vllm18Fp8KVCacheDataTypeE0EhLi32ELi128ELi256ELb1ELi3EEvPKT_PKT0_S8_ifPKiSA_SA_iPKfiiiPfSD_PS3_PT2_iSC_SC_
	.globl	_Z38paged_attention_ll4mi_QKV_mfma4_kernelI14__hip_bfloat16S0_LN4vllm18Fp8KVCacheDataTypeE0EhLi32ELi128ELi256ELb1ELi3EEvPKT_PKT0_S8_ifPKiSA_SA_iPKfiiiPfSD_PS3_PT2_iSC_SC_
	.p2align	8
	.type	_Z38paged_attention_ll4mi_QKV_mfma4_kernelI14__hip_bfloat16S0_LN4vllm18Fp8KVCacheDataTypeE0EhLi32ELi128ELi256ELb1ELi3EEvPKT_PKT0_S8_ifPKiSA_SA_iPKfiiiPfSD_PS3_PT2_iSC_SC_,@function
_Z38paged_attention_ll4mi_QKV_mfma4_kernelI14__hip_bfloat16S0_LN4vllm18Fp8KVCacheDataTypeE0EhLi32ELi128ELi256ELb1ELi3EEvPKT_PKT0_S8_ifPKiSA_SA_iPKfiiiPfSD_PS3_PT2_iSC_SC_: ; @_Z38paged_attention_ll4mi_QKV_mfma4_kernelI14__hip_bfloat16S0_LN4vllm18Fp8KVCacheDataTypeE0EhLi32ELi128ELi256ELb1ELi3EEvPKT_PKT0_S8_ifPKiSA_SA_iPKfiiiPfSD_PS3_PT2_iSC_SC_
; %bb.0:
	s_add_u32 s8, s0, 0x90
	s_addc_u32 s9, s1, 0
	s_getpc_b64 s[0:1]
	s_add_u32 s0, s0, __PRETTY_FUNCTION__._Z38paged_attention_ll4mi_QKV_mfma4_kernelI14__hip_bfloat16S0_LN4vllm18Fp8KVCacheDataTypeE0EhLi32ELi128ELi256ELb1ELi3EEvPKT_PKT0_S8_ifPKiSA_SA_iPKfiiiPfSD_PS3_PT2_iSC_SC_@rel32@lo+4
	s_addc_u32 s1, s1, __PRETTY_FUNCTION__._Z38paged_attention_ll4mi_QKV_mfma4_kernelI14__hip_bfloat16S0_LN4vllm18Fp8KVCacheDataTypeE0EhLi32ELi128ELi256ELb1ELi3EEvPKT_PKT0_S8_ifPKiSA_SA_iPKfiiiPfSD_PS3_PT2_iSC_SC_@rel32@hi+12
	s_delay_alu instid0(SALU_CYCLE_1) | instskip(SKIP_4) | instid1(SALU_CYCLE_1)
	v_dual_mov_b32 v0, s0 :: v_dual_mov_b32 v1, s1
	s_mov_b32 s32, 0
	s_getpc_b64 s[2:3]
	s_add_u32 s2, s2, __assert_fail@rel32@lo+4
	s_addc_u32 s3, s3, __assert_fail@rel32@hi+12
	s_swappc_b64 s[30:31], s[2:3]
	.section	.rodata,"a",@progbits
	.p2align	6, 0x0
	.amdhsa_kernel _Z38paged_attention_ll4mi_QKV_mfma4_kernelI14__hip_bfloat16S0_LN4vllm18Fp8KVCacheDataTypeE0EhLi32ELi128ELi256ELb1ELi3EEvPKT_PKT0_S8_ifPKiSA_SA_iPKfiiiPfSD_PS3_PT2_iSC_SC_
		.amdhsa_group_segment_fixed_size 0
		.amdhsa_private_segment_fixed_size 64
		.amdhsa_kernarg_size 400
		.amdhsa_user_sgpr_count 15
		.amdhsa_user_sgpr_dispatch_ptr 0
		.amdhsa_user_sgpr_queue_ptr 0
		.amdhsa_user_sgpr_kernarg_segment_ptr 1
		.amdhsa_user_sgpr_dispatch_id 0
		.amdhsa_user_sgpr_private_segment_size 0
		.amdhsa_wavefront_size32 1
		.amdhsa_uses_dynamic_stack 0
		.amdhsa_enable_private_segment 1
		.amdhsa_system_sgpr_workgroup_id_x 1
		.amdhsa_system_sgpr_workgroup_id_y 0
		.amdhsa_system_sgpr_workgroup_id_z 0
		.amdhsa_system_sgpr_workgroup_info 0
		.amdhsa_system_vgpr_workitem_id 0
		.amdhsa_next_free_vgpr 41
		.amdhsa_next_free_sgpr 34
		.amdhsa_reserve_vcc 1
		.amdhsa_float_round_mode_32 0
		.amdhsa_float_round_mode_16_64 0
		.amdhsa_float_denorm_mode_32 3
		.amdhsa_float_denorm_mode_16_64 3
		.amdhsa_dx10_clamp 1
		.amdhsa_ieee_mode 1
		.amdhsa_fp16_overflow 0
		.amdhsa_workgroup_processor_mode 1
		.amdhsa_memory_ordered 1
		.amdhsa_forward_progress 0
		.amdhsa_shared_vgpr_count 0
		.amdhsa_exception_fp_ieee_invalid_op 0
		.amdhsa_exception_fp_denorm_src 0
		.amdhsa_exception_fp_ieee_div_zero 0
		.amdhsa_exception_fp_ieee_overflow 0
		.amdhsa_exception_fp_ieee_underflow 0
		.amdhsa_exception_fp_ieee_inexact 0
		.amdhsa_exception_int_div_zero 0
	.end_amdhsa_kernel
	.section	.text._Z38paged_attention_ll4mi_QKV_mfma4_kernelI14__hip_bfloat16S0_LN4vllm18Fp8KVCacheDataTypeE0EhLi32ELi128ELi256ELb1ELi3EEvPKT_PKT0_S8_ifPKiSA_SA_iPKfiiiPfSD_PS3_PT2_iSC_SC_,"axG",@progbits,_Z38paged_attention_ll4mi_QKV_mfma4_kernelI14__hip_bfloat16S0_LN4vllm18Fp8KVCacheDataTypeE0EhLi32ELi128ELi256ELb1ELi3EEvPKT_PKT0_S8_ifPKiSA_SA_iPKfiiiPfSD_PS3_PT2_iSC_SC_,comdat
.Lfunc_end692:
	.size	_Z38paged_attention_ll4mi_QKV_mfma4_kernelI14__hip_bfloat16S0_LN4vllm18Fp8KVCacheDataTypeE0EhLi32ELi128ELi256ELb1ELi3EEvPKT_PKT0_S8_ifPKiSA_SA_iPKfiiiPfSD_PS3_PT2_iSC_SC_, .Lfunc_end692-_Z38paged_attention_ll4mi_QKV_mfma4_kernelI14__hip_bfloat16S0_LN4vllm18Fp8KVCacheDataTypeE0EhLi32ELi128ELi256ELb1ELi3EEvPKT_PKT0_S8_ifPKiSA_SA_iPKfiiiPfSD_PS3_PT2_iSC_SC_
                                        ; -- End function
	.section	.AMDGPU.csdata,"",@progbits
; Kernel info:
; codeLenInByte = 72
; NumSgprs: 36
; NumVgprs: 41
; ScratchSize: 64
; MemoryBound: 0
; FloatMode: 240
; IeeeMode: 1
; LDSByteSize: 0 bytes/workgroup (compile time only)
; SGPRBlocks: 4
; VGPRBlocks: 5
; NumSGPRsForWavesPerEU: 36
; NumVGPRsForWavesPerEU: 41
; Occupancy: 16
; WaveLimiterHint : 1
; COMPUTE_PGM_RSRC2:SCRATCH_EN: 1
; COMPUTE_PGM_RSRC2:USER_SGPR: 15
; COMPUTE_PGM_RSRC2:TRAP_HANDLER: 0
; COMPUTE_PGM_RSRC2:TGID_X_EN: 1
; COMPUTE_PGM_RSRC2:TGID_Y_EN: 0
; COMPUTE_PGM_RSRC2:TGID_Z_EN: 0
; COMPUTE_PGM_RSRC2:TIDIG_COMP_CNT: 0
	.section	.text._Z38paged_attention_ll4mi_QKV_mfma4_kernelI14__hip_bfloat16S0_LN4vllm18Fp8KVCacheDataTypeE0EhLi32ELi128ELi256ELb1ELi4EEvPKT_PKT0_S8_ifPKiSA_SA_iPKfiiiPfSD_PS3_PT2_iSC_SC_,"axG",@progbits,_Z38paged_attention_ll4mi_QKV_mfma4_kernelI14__hip_bfloat16S0_LN4vllm18Fp8KVCacheDataTypeE0EhLi32ELi128ELi256ELb1ELi4EEvPKT_PKT0_S8_ifPKiSA_SA_iPKfiiiPfSD_PS3_PT2_iSC_SC_,comdat
	.protected	_Z38paged_attention_ll4mi_QKV_mfma4_kernelI14__hip_bfloat16S0_LN4vllm18Fp8KVCacheDataTypeE0EhLi32ELi128ELi256ELb1ELi4EEvPKT_PKT0_S8_ifPKiSA_SA_iPKfiiiPfSD_PS3_PT2_iSC_SC_ ; -- Begin function _Z38paged_attention_ll4mi_QKV_mfma4_kernelI14__hip_bfloat16S0_LN4vllm18Fp8KVCacheDataTypeE0EhLi32ELi128ELi256ELb1ELi4EEvPKT_PKT0_S8_ifPKiSA_SA_iPKfiiiPfSD_PS3_PT2_iSC_SC_
	.globl	_Z38paged_attention_ll4mi_QKV_mfma4_kernelI14__hip_bfloat16S0_LN4vllm18Fp8KVCacheDataTypeE0EhLi32ELi128ELi256ELb1ELi4EEvPKT_PKT0_S8_ifPKiSA_SA_iPKfiiiPfSD_PS3_PT2_iSC_SC_
	.p2align	8
	.type	_Z38paged_attention_ll4mi_QKV_mfma4_kernelI14__hip_bfloat16S0_LN4vllm18Fp8KVCacheDataTypeE0EhLi32ELi128ELi256ELb1ELi4EEvPKT_PKT0_S8_ifPKiSA_SA_iPKfiiiPfSD_PS3_PT2_iSC_SC_,@function
_Z38paged_attention_ll4mi_QKV_mfma4_kernelI14__hip_bfloat16S0_LN4vllm18Fp8KVCacheDataTypeE0EhLi32ELi128ELi256ELb1ELi4EEvPKT_PKT0_S8_ifPKiSA_SA_iPKfiiiPfSD_PS3_PT2_iSC_SC_: ; @_Z38paged_attention_ll4mi_QKV_mfma4_kernelI14__hip_bfloat16S0_LN4vllm18Fp8KVCacheDataTypeE0EhLi32ELi128ELi256ELb1ELi4EEvPKT_PKT0_S8_ifPKiSA_SA_iPKfiiiPfSD_PS3_PT2_iSC_SC_
; %bb.0:
	s_add_u32 s8, s0, 0x90
	s_addc_u32 s9, s1, 0
	s_getpc_b64 s[0:1]
	s_add_u32 s0, s0, __PRETTY_FUNCTION__._Z38paged_attention_ll4mi_QKV_mfma4_kernelI14__hip_bfloat16S0_LN4vllm18Fp8KVCacheDataTypeE0EhLi32ELi128ELi256ELb1ELi4EEvPKT_PKT0_S8_ifPKiSA_SA_iPKfiiiPfSD_PS3_PT2_iSC_SC_@rel32@lo+4
	s_addc_u32 s1, s1, __PRETTY_FUNCTION__._Z38paged_attention_ll4mi_QKV_mfma4_kernelI14__hip_bfloat16S0_LN4vllm18Fp8KVCacheDataTypeE0EhLi32ELi128ELi256ELb1ELi4EEvPKT_PKT0_S8_ifPKiSA_SA_iPKfiiiPfSD_PS3_PT2_iSC_SC_@rel32@hi+12
	s_delay_alu instid0(SALU_CYCLE_1) | instskip(SKIP_4) | instid1(SALU_CYCLE_1)
	v_dual_mov_b32 v0, s0 :: v_dual_mov_b32 v1, s1
	s_mov_b32 s32, 0
	s_getpc_b64 s[2:3]
	s_add_u32 s2, s2, __assert_fail@rel32@lo+4
	s_addc_u32 s3, s3, __assert_fail@rel32@hi+12
	s_swappc_b64 s[30:31], s[2:3]
	.section	.rodata,"a",@progbits
	.p2align	6, 0x0
	.amdhsa_kernel _Z38paged_attention_ll4mi_QKV_mfma4_kernelI14__hip_bfloat16S0_LN4vllm18Fp8KVCacheDataTypeE0EhLi32ELi128ELi256ELb1ELi4EEvPKT_PKT0_S8_ifPKiSA_SA_iPKfiiiPfSD_PS3_PT2_iSC_SC_
		.amdhsa_group_segment_fixed_size 0
		.amdhsa_private_segment_fixed_size 64
		.amdhsa_kernarg_size 400
		.amdhsa_user_sgpr_count 15
		.amdhsa_user_sgpr_dispatch_ptr 0
		.amdhsa_user_sgpr_queue_ptr 0
		.amdhsa_user_sgpr_kernarg_segment_ptr 1
		.amdhsa_user_sgpr_dispatch_id 0
		.amdhsa_user_sgpr_private_segment_size 0
		.amdhsa_wavefront_size32 1
		.amdhsa_uses_dynamic_stack 0
		.amdhsa_enable_private_segment 1
		.amdhsa_system_sgpr_workgroup_id_x 1
		.amdhsa_system_sgpr_workgroup_id_y 0
		.amdhsa_system_sgpr_workgroup_id_z 0
		.amdhsa_system_sgpr_workgroup_info 0
		.amdhsa_system_vgpr_workitem_id 0
		.amdhsa_next_free_vgpr 41
		.amdhsa_next_free_sgpr 34
		.amdhsa_reserve_vcc 1
		.amdhsa_float_round_mode_32 0
		.amdhsa_float_round_mode_16_64 0
		.amdhsa_float_denorm_mode_32 3
		.amdhsa_float_denorm_mode_16_64 3
		.amdhsa_dx10_clamp 1
		.amdhsa_ieee_mode 1
		.amdhsa_fp16_overflow 0
		.amdhsa_workgroup_processor_mode 1
		.amdhsa_memory_ordered 1
		.amdhsa_forward_progress 0
		.amdhsa_shared_vgpr_count 0
		.amdhsa_exception_fp_ieee_invalid_op 0
		.amdhsa_exception_fp_denorm_src 0
		.amdhsa_exception_fp_ieee_div_zero 0
		.amdhsa_exception_fp_ieee_overflow 0
		.amdhsa_exception_fp_ieee_underflow 0
		.amdhsa_exception_fp_ieee_inexact 0
		.amdhsa_exception_int_div_zero 0
	.end_amdhsa_kernel
	.section	.text._Z38paged_attention_ll4mi_QKV_mfma4_kernelI14__hip_bfloat16S0_LN4vllm18Fp8KVCacheDataTypeE0EhLi32ELi128ELi256ELb1ELi4EEvPKT_PKT0_S8_ifPKiSA_SA_iPKfiiiPfSD_PS3_PT2_iSC_SC_,"axG",@progbits,_Z38paged_attention_ll4mi_QKV_mfma4_kernelI14__hip_bfloat16S0_LN4vllm18Fp8KVCacheDataTypeE0EhLi32ELi128ELi256ELb1ELi4EEvPKT_PKT0_S8_ifPKiSA_SA_iPKfiiiPfSD_PS3_PT2_iSC_SC_,comdat
.Lfunc_end693:
	.size	_Z38paged_attention_ll4mi_QKV_mfma4_kernelI14__hip_bfloat16S0_LN4vllm18Fp8KVCacheDataTypeE0EhLi32ELi128ELi256ELb1ELi4EEvPKT_PKT0_S8_ifPKiSA_SA_iPKfiiiPfSD_PS3_PT2_iSC_SC_, .Lfunc_end693-_Z38paged_attention_ll4mi_QKV_mfma4_kernelI14__hip_bfloat16S0_LN4vllm18Fp8KVCacheDataTypeE0EhLi32ELi128ELi256ELb1ELi4EEvPKT_PKT0_S8_ifPKiSA_SA_iPKfiiiPfSD_PS3_PT2_iSC_SC_
                                        ; -- End function
	.section	.AMDGPU.csdata,"",@progbits
; Kernel info:
; codeLenInByte = 72
; NumSgprs: 36
; NumVgprs: 41
; ScratchSize: 64
; MemoryBound: 0
; FloatMode: 240
; IeeeMode: 1
; LDSByteSize: 0 bytes/workgroup (compile time only)
; SGPRBlocks: 4
; VGPRBlocks: 5
; NumSGPRsForWavesPerEU: 36
; NumVGPRsForWavesPerEU: 41
; Occupancy: 16
; WaveLimiterHint : 1
; COMPUTE_PGM_RSRC2:SCRATCH_EN: 1
; COMPUTE_PGM_RSRC2:USER_SGPR: 15
; COMPUTE_PGM_RSRC2:TRAP_HANDLER: 0
; COMPUTE_PGM_RSRC2:TGID_X_EN: 1
; COMPUTE_PGM_RSRC2:TGID_Y_EN: 0
; COMPUTE_PGM_RSRC2:TGID_Z_EN: 0
; COMPUTE_PGM_RSRC2:TIDIG_COMP_CNT: 0
	.section	.text._Z39paged_attention_ll4mi_QKV_mfma16_kernelI14__hip_bfloat16S0_LN4vllm18Fp8KVCacheDataTypeE0EhLi32ELi128ELi256ELb1ELi5EL8MFMAType0EEvPKT_PKT0_S9_ifPKiSB_SB_iPKfiiiPfSE_PS4_PT2_iSD_SD_,"axG",@progbits,_Z39paged_attention_ll4mi_QKV_mfma16_kernelI14__hip_bfloat16S0_LN4vllm18Fp8KVCacheDataTypeE0EhLi32ELi128ELi256ELb1ELi5EL8MFMAType0EEvPKT_PKT0_S9_ifPKiSB_SB_iPKfiiiPfSE_PS4_PT2_iSD_SD_,comdat
	.protected	_Z39paged_attention_ll4mi_QKV_mfma16_kernelI14__hip_bfloat16S0_LN4vllm18Fp8KVCacheDataTypeE0EhLi32ELi128ELi256ELb1ELi5EL8MFMAType0EEvPKT_PKT0_S9_ifPKiSB_SB_iPKfiiiPfSE_PS4_PT2_iSD_SD_ ; -- Begin function _Z39paged_attention_ll4mi_QKV_mfma16_kernelI14__hip_bfloat16S0_LN4vllm18Fp8KVCacheDataTypeE0EhLi32ELi128ELi256ELb1ELi5EL8MFMAType0EEvPKT_PKT0_S9_ifPKiSB_SB_iPKfiiiPfSE_PS4_PT2_iSD_SD_
	.globl	_Z39paged_attention_ll4mi_QKV_mfma16_kernelI14__hip_bfloat16S0_LN4vllm18Fp8KVCacheDataTypeE0EhLi32ELi128ELi256ELb1ELi5EL8MFMAType0EEvPKT_PKT0_S9_ifPKiSB_SB_iPKfiiiPfSE_PS4_PT2_iSD_SD_
	.p2align	8
	.type	_Z39paged_attention_ll4mi_QKV_mfma16_kernelI14__hip_bfloat16S0_LN4vllm18Fp8KVCacheDataTypeE0EhLi32ELi128ELi256ELb1ELi5EL8MFMAType0EEvPKT_PKT0_S9_ifPKiSB_SB_iPKfiiiPfSE_PS4_PT2_iSD_SD_,@function
_Z39paged_attention_ll4mi_QKV_mfma16_kernelI14__hip_bfloat16S0_LN4vllm18Fp8KVCacheDataTypeE0EhLi32ELi128ELi256ELb1ELi5EL8MFMAType0EEvPKT_PKT0_S9_ifPKiSB_SB_iPKfiiiPfSE_PS4_PT2_iSD_SD_: ; @_Z39paged_attention_ll4mi_QKV_mfma16_kernelI14__hip_bfloat16S0_LN4vllm18Fp8KVCacheDataTypeE0EhLi32ELi128ELi256ELb1ELi5EL8MFMAType0EEvPKT_PKT0_S9_ifPKiSB_SB_iPKfiiiPfSE_PS4_PT2_iSD_SD_
; %bb.0:
	s_load_b64 s[2:3], s[0:1], 0x30
	s_mov_b32 s30, s13
	s_waitcnt lgkmcnt(0)
	s_cmp_lg_u64 s[2:3], 0
	s_cselect_b32 s6, -1, 0
	s_ashr_i32 s31, s13, 31
	s_cmp_eq_u64 s[2:3], 0
	s_cbranch_scc1 .LBB694_3
; %bb.1:
	s_lshl_b64 s[4:5], s[30:31], 2
	s_delay_alu instid0(SALU_CYCLE_1) | instskip(SKIP_4) | instid1(SALU_CYCLE_1)
	s_add_u32 s4, s2, s4
	s_addc_u32 s5, s3, s5
	s_load_b64 s[4:5], s[4:5], 0x0
	s_waitcnt lgkmcnt(0)
	s_sub_i32 s4, s5, s4
	s_cmp_eq_u32 s4, 1
	s_cselect_b32 s4, -1, 0
	s_delay_alu instid0(SALU_CYCLE_1)
	s_and_not1_b32 vcc_lo, exec_lo, s4
	s_cbranch_vccz .LBB694_4
.LBB694_2:
	s_nop 0
	s_sendmsg sendmsg(MSG_DEALLOC_VGPRS)
	s_endpgm
.LBB694_3:
.LBB694_4:
	s_load_b64 s[8:9], s[0:1], 0x28
	s_lshl_b64 s[4:5], s[30:31], 2
	s_waitcnt lgkmcnt(0)
	s_add_u32 s8, s8, s4
	s_addc_u32 s9, s9, s5
	s_lshl_b32 s12, s14, 8
	s_load_b32 s17, s[8:9], 0x0
	s_waitcnt lgkmcnt(0)
	s_cmp_ge_i32 s12, s17
	s_cbranch_scc1 .LBB694_2
; %bb.5:
	s_and_not1_b32 vcc_lo, exec_lo, s6
	s_cbranch_vccnz .LBB694_7
; %bb.6:
	s_add_u32 s2, s2, s4
	s_addc_u32 s3, s3, s5
	s_load_b32 s13, s[2:3], 0x0
	s_branch .LBB694_8
.LBB694_7:
	s_mov_b32 s13, s30
.LBB694_8:
	s_clause 0x2
	s_load_b128 s[8:11], s[0:1], 0x8
	s_load_b64 s[2:3], s[0:1], 0x20
	s_load_b128 s[4:7], s[0:1], 0x48
	v_lshrrev_b32_e32 v74, 5, v0
	v_bfe_u32 v83, v0, 4, 1
	v_and_b32_e32 v73, 15, v0
	s_waitcnt lgkmcnt(0)
	s_mov_b32 s7, exec_lo
	s_delay_alu instid0(VALU_DEP_2) | instskip(NEXT) | instid1(VALU_DEP_2)
	v_lshl_or_b32 v3, v74, 1, v83
	v_lshlrev_b32_e32 v1, 3, v73
	s_delay_alu instid0(VALU_DEP_2)
	v_cmpx_lt_u32_e32 4, v3
	s_xor_b32 s7, exec_lo, s7
; %bb.9:
	v_mov_b32_e32 v2, 0
                                        ; implicit-def: $vgpr3
; %bb.10:
	s_or_saveexec_b32 s7, s7
	v_and_b32_e32 v75, 31, v0
	v_and_b32_e32 v84, 1, v0
	s_mul_i32 s31, s15, 5
	s_xor_b32 exec_lo, exec_lo, s7
	s_cbranch_execz .LBB694_12
; %bb.11:
	s_load_b64 s[18:19], s[0:1], 0x0
	v_add_lshl_u32 v4, v3, s31, 7
	s_mul_hi_i32 s21, s13, s4
	s_mul_i32 s20, s13, s4
	v_lshlrev_b32_e32 v2, 1, v1
	s_lshl_b64 s[20:21], s[20:21], 1
	v_ashrrev_i32_e32 v5, 31, v4
	v_lshlrev_b32_e32 v3, 6, v3
	v_lshlrev_b32_e32 v8, 10, v84
	s_delay_alu instid0(VALU_DEP_3) | instskip(SKIP_3) | instid1(VALU_DEP_1)
	v_lshlrev_b64 v[4:5], 1, v[4:5]
	s_waitcnt lgkmcnt(0)
	s_add_u32 s4, s18, s20
	s_addc_u32 s13, s19, s21
	v_add_co_u32 v4, vcc_lo, s4, v4
	s_delay_alu instid0(VALU_DEP_2) | instskip(NEXT) | instid1(VALU_DEP_2)
	v_add_co_ci_u32_e32 v5, vcc_lo, s13, v5, vcc_lo
	v_add_co_u32 v4, vcc_lo, v4, v2
	s_delay_alu instid0(VALU_DEP_2) | instskip(SKIP_3) | instid1(VALU_DEP_1)
	v_add_co_ci_u32_e32 v5, vcc_lo, 0, v5, vcc_lo
	v_lshlrev_b32_e32 v2, 10, v73
	global_load_b128 v[4:7], v[4:5], off
	v_and_b32_e32 v2, 0x3800, v2
	v_or3_b32 v3, v2, v8, v3
	v_mov_b32_e32 v2, 0
	s_waitcnt vmcnt(0)
	ds_store_b128 v3, v[4:7]
.LBB694_12:
	s_or_b32 exec_lo, exec_lo, s7
	v_and_b32_e32 v3, 0xef, v0
	v_mul_lo_u16 v80, v73, 52
	s_add_i32 s4, s17, 31
	s_clause 0x1
	s_load_b32 s7, s[0:1], 0x38
	s_load_b32 s18, s[0:1], 0x1c
	v_add_nc_u32_e32 v3, s12, v3
	v_lshrrev_b16 v80, 8, v80
	s_ashr_i32 s13, s4, 31
	s_waitcnt lgkmcnt(0)
	s_lshr_b32 s13, s13, 27
	v_ashrrev_i32_e32 v4, 31, v3
	v_mul_lo_u16 v80, v80, 5
	s_add_i32 s4, s4, s13
	v_cmp_gt_i32_e32 vcc_lo, s17, v3
	s_ashr_i32 s4, s4, 5
	v_lshrrev_b32_e32 v5, 27, v4
	v_or_b32_e32 v4, 16, v3
	v_sub_nc_u16 v80, v73, v80
	s_add_i32 s4, s4, -1
	s_barrier
	v_add_nc_u32_e32 v6, v3, v5
	v_add_nc_u32_e32 v5, v4, v5
	v_and_b32_e32 v80, 0xff, v80
	s_mul_i32 s20, s30, s7
	buffer_gl0_inv
	v_ashrrev_i32_e32 v6, 5, v6
	v_ashrrev_i32_e32 v5, 5, v5
	s_ashr_i32 s21, s20, 31
	v_lshlrev_b64 v[81:82], 1, v[1:2]
	s_lshl_b64 s[20:21], s[20:21], 2
	v_dual_cndmask_b32 v3, s4, v6 :: v_dual_lshlrev_b32 v80, 6, v80
	v_cmp_gt_i32_e32 vcc_lo, s17, v4
	s_add_u32 s13, s2, s20
	s_addc_u32 s16, s3, s21
	s_delay_alu instid0(VALU_DEP_2) | instskip(SKIP_3) | instid1(SALU_CYCLE_1)
	v_ashrrev_i32_e32 v4, 31, v3
	s_mul_i32 s2, s15, s6
	v_cndmask_b32_e32 v5, s4, v5, vcc_lo
	s_ashr_i32 s3, s2, 31
	s_lshl_b64 s[2:3], s[2:3], 1
	v_lshlrev_b64 v[3:4], 2, v[3:4]
	s_delay_alu instid0(VALU_DEP_2) | instskip(SKIP_3) | instid1(VALU_DEP_1)
	v_ashrrev_i32_e32 v6, 31, v5
	s_add_u32 s15, s8, s2
	s_addc_u32 s19, s9, s3
	s_lshl_b32 s6, s14, 3
	v_lshlrev_b64 v[5:6], 2, v[5:6]
	v_add_co_u32 v3, vcc_lo, s13, v3
	v_add_co_ci_u32_e32 v4, vcc_lo, s16, v4, vcc_lo
	s_ashr_i32 s7, s6, 31
	s_delay_alu instid0(VALU_DEP_3) | instskip(NEXT) | instid1(VALU_DEP_4)
	v_add_co_u32 v5, vcc_lo, s13, v5
	v_add_co_ci_u32_e32 v6, vcc_lo, s16, v6, vcc_lo
	s_clause 0x1
	global_load_b32 v7, v[3:4], off
	global_load_b32 v8, v[5:6], off
	s_lshl_b64 s[6:7], s[6:7], 2
	s_delay_alu instid0(SALU_CYCLE_1) | instskip(SKIP_2) | instid1(SALU_CYCLE_1)
	s_add_u32 s6, s13, s6
	s_addc_u32 s7, s16, s7
	s_or_b32 s8, s12, 32
	s_ashr_i32 s9, s8, 5
	s_cmp_lt_i32 s8, s17
	s_cselect_b32 s8, s9, s4
	s_delay_alu instid0(SALU_CYCLE_1) | instskip(NEXT) | instid1(SALU_CYCLE_1)
	s_ashr_i32 s9, s8, 31
	s_lshl_b64 s[8:9], s[8:9], 2
	s_delay_alu instid0(SALU_CYCLE_1) | instskip(SKIP_2) | instid1(SALU_CYCLE_1)
	s_add_u32 s8, s13, s8
	s_addc_u32 s9, s16, s9
	s_or_b32 s20, s12, 64
	s_ashr_i32 s21, s20, 5
	s_cmp_lt_i32 s20, s17
	s_cselect_b32 s20, s21, s4
	s_delay_alu instid0(SALU_CYCLE_1) | instskip(NEXT) | instid1(SALU_CYCLE_1)
	s_ashr_i32 s21, s20, 31
	;; [unrolled: 10-line block ×5, first 2 shown]
	s_lshl_b64 s[26:27], s[26:27], 2
	s_delay_alu instid0(SALU_CYCLE_1)
	s_add_u32 s26, s13, s26
	s_addc_u32 s27, s16, s27
	s_clause 0x5
	s_load_b32 s28, s[6:7], 0x0
	s_load_b32 s29, s[8:9], 0x0
	;; [unrolled: 1-line block ×6, first 2 shown]
	s_mov_b32 s20, 0
	s_or_b32 s6, s12, 0xc0
	s_mov_b32 s27, s20
	s_mov_b32 s21, s20
	;; [unrolled: 1-line block ×7, first 2 shown]
	s_delay_alu instid0(SALU_CYCLE_1)
	v_dual_mov_b32 v108, s27 :: v_dual_mov_b32 v107, s26
	v_dual_mov_b32 v106, s25 :: v_dual_mov_b32 v105, s24
	;; [unrolled: 1-line block ×4, first 2 shown]
	s_ashr_i32 s7, s6, 5
	s_cmp_lt_i32 s6, s17
	s_waitcnt lgkmcnt(0)
	s_mul_hi_i32 s9, s28, s5
	s_cselect_b32 s6, s7, s4
	s_mul_i32 s8, s28, s5
	s_ashr_i32 s7, s6, 31
	s_mul_hi_i32 s21, s29, s5
	s_lshl_b64 s[6:7], s[6:7], 2
	s_mul_i32 s20, s29, s5
	s_add_u32 s6, s13, s6
	s_addc_u32 s7, s16, s7
	s_mul_hi_i32 s25, s33, s5
	s_mul_i32 s24, s33, s5
	s_mul_hi_i32 s27, s34, s5
	s_mul_i32 s26, s34, s5
	s_mul_i32 s34, s36, s5
	s_waitcnt vmcnt(1)
	v_mad_i64_i32 v[3:4], null, v7, s5, 0
	s_waitcnt vmcnt(0)
	v_mad_i64_i32 v[5:6], null, v8, s5, 0
	s_delay_alu instid0(VALU_DEP_2) | instskip(NEXT) | instid1(VALU_DEP_2)
	v_lshlrev_b64 v[3:4], 1, v[3:4]
	v_lshlrev_b64 v[1:2], 1, v[5:6]
	s_delay_alu instid0(VALU_DEP_2) | instskip(NEXT) | instid1(VALU_DEP_3)
	v_add_co_u32 v3, vcc_lo, s15, v3
	v_add_co_ci_u32_e32 v4, vcc_lo, s19, v4, vcc_lo
	s_delay_alu instid0(VALU_DEP_3) | instskip(NEXT) | instid1(VALU_DEP_4)
	v_add_co_u32 v1, vcc_lo, s15, v1
	v_add_co_ci_u32_e32 v2, vcc_lo, s19, v2, vcc_lo
	s_delay_alu instid0(VALU_DEP_4) | instskip(NEXT) | instid1(VALU_DEP_4)
	v_add_co_u32 v65, vcc_lo, v3, v81
	v_add_co_ci_u32_e32 v66, vcc_lo, v4, v82, vcc_lo
	s_delay_alu instid0(VALU_DEP_4) | instskip(NEXT) | instid1(VALU_DEP_4)
	v_add_co_u32 v76, vcc_lo, v1, v81
	v_add_co_ci_u32_e32 v77, vcc_lo, v2, v82, vcc_lo
	s_clause 0xf
	global_load_b128 v[1:4], v[65:66], off
	global_load_b128 v[5:8], v[65:66], off offset:512
	global_load_b128 v[9:12], v[76:77], off offset:256
	;; [unrolled: 1-line block ×15, first 2 shown]
	v_add_co_u32 v78, vcc_lo, 0x1000, v65
	v_add_co_ci_u32_e32 v79, vcc_lo, 0, v66, vcc_lo
	v_add_co_u32 v76, vcc_lo, 0x1000, v76
	s_clause 0x1
	global_load_b128 v[65:68], v[78:79], off
	global_load_b128 v[69:72], v[78:79], off offset:512
	v_add_co_ci_u32_e32 v77, vcc_lo, 0, v77, vcc_lo
	ds_load_b128 v[85:88], v80
	ds_load_b128 v[89:92], v80 offset:1024
	s_clause 0x1
	global_load_b128 v[93:96], v[76:77], off offset:256
	global_load_b128 v[97:100], v[76:77], off offset:768
	ds_load_b128 v[109:112], v80 offset:2048
	ds_load_b128 v[113:116], v80 offset:3072
	s_or_b32 s15, s12, 0xe0
	s_delay_alu instid0(SALU_CYCLE_1) | instskip(SKIP_2) | instid1(SALU_CYCLE_1)
	s_ashr_i32 s19, s15, 5
	s_cmp_lt_i32 s15, s17
	s_cselect_b32 s22, s19, s4
	s_ashr_i32 s23, s22, 31
	s_delay_alu instid0(SALU_CYCLE_1) | instskip(NEXT) | instid1(SALU_CYCLE_1)
	s_lshl_b64 s[22:23], s[22:23], 2
	s_add_u32 s22, s13, s22
	s_addc_u32 s23, s16, s23
	s_add_i32 s15, s12, 0x100
	s_delay_alu instid0(SALU_CYCLE_1) | instskip(SKIP_2) | instid1(SALU_CYCLE_1)
	s_ashr_i32 s19, s15, 5
	s_cmp_lt_i32 s15, s17
	s_cselect_b32 s28, s19, s4
	s_ashr_i32 s29, s28, 31
	s_delay_alu instid0(SALU_CYCLE_1) | instskip(NEXT) | instid1(SALU_CYCLE_1)
	s_lshl_b64 s[28:29], s[28:29], 2
	s_add_u32 s28, s13, s28
	s_addc_u32 s29, s16, s29
	s_add_u32 s4, s10, s2
	s_addc_u32 s19, s11, s3
	s_lshl_b64 s[2:3], s[8:9], 1
	s_lshl_b64 s[8:9], s[20:21], 1
	;; [unrolled: 1-line block ×4, first 2 shown]
	s_waitcnt vmcnt(18) lgkmcnt(2)
	v_wmma_f32_16x16x16_bf16 v[117:124], v[1:8], v[85:92], v[101:108]
	s_waitcnt vmcnt(16)
	v_wmma_f32_16x16x16_bf16 v[101:108], v[9:16], v[85:92], v[101:108]
	s_clause 0x3
	global_load_b128 v[1:4], v[78:79], off offset:1024
	global_load_b128 v[5:8], v[78:79], off offset:1536
	;; [unrolled: 1-line block ×4, first 2 shown]
	s_waitcnt vmcnt(18) lgkmcnt(0)
	v_wmma_f32_16x16x16_bf16 v[117:124], v[17:24], v[109:116], v[117:124]
	s_clause 0x1
	global_load_b128 v[17:20], v[78:79], off offset:2048
	global_load_b128 v[21:24], v[78:79], off offset:2560
	s_waitcnt vmcnt(18)
	v_wmma_f32_16x16x16_bf16 v[101:108], v[25:32], v[109:116], v[101:108]
	ds_load_b128 v[25:28], v80 offset:4096
	ds_load_b128 v[29:32], v80 offset:5120
	s_clause 0x5
	global_load_b128 v[109:112], v[76:77], off offset:2304
	global_load_b128 v[113:116], v[76:77], off offset:2816
	;; [unrolled: 1-line block ×6, first 2 shown]
	s_waitcnt vmcnt(22) lgkmcnt(0)
	v_wmma_f32_16x16x16_bf16 v[117:124], v[33:40], v[25:32], v[117:124]
	s_waitcnt vmcnt(20)
	v_wmma_f32_16x16x16_bf16 v[101:108], v[41:48], v[25:32], v[101:108]
	ds_load_b128 v[25:28], v80 offset:6144
	ds_load_b128 v[29:32], v80 offset:7168
	;; [unrolled: 1-line block ×4, first 2 shown]
	s_waitcnt vmcnt(18) lgkmcnt(2)
	v_wmma_f32_16x16x16_bf16 v[117:124], v[49:56], v[25:32], v[117:124]
	s_waitcnt vmcnt(16)
	v_wmma_f32_16x16x16_bf16 v[101:108], v[57:64], v[25:32], v[101:108]
	ds_load_b128 v[25:28], v80 offset:10240
	ds_load_b128 v[29:32], v80 offset:11264
	;; [unrolled: 1-line block ×6, first 2 shown]
	s_waitcnt vmcnt(14) lgkmcnt(6)
	v_wmma_f32_16x16x16_bf16 v[117:124], v[65:72], v[33:40], v[117:124]
	s_waitcnt vmcnt(12)
	v_wmma_f32_16x16x16_bf16 v[101:108], v[93:100], v[33:40], v[101:108]
	s_clause 0x2
	s_load_b32 s15, s[6:7], 0x0
	s_load_b32 s13, s[22:23], 0x0
	;; [unrolled: 1-line block ×3, first 2 shown]
	s_mul_hi_i32 s7, s35, s5
	s_mul_i32 s6, s35, s5
	s_mul_hi_i32 s35, s36, s5
	s_lshl_b64 s[6:7], s[6:7], 1
	s_lshl_b64 s[22:23], s[34:35], 1
	s_waitcnt lgkmcnt(0)
	s_mul_hi_i32 s25, s15, s5
	s_mul_i32 s24, s15, s5
	s_waitcnt vmcnt(10)
	v_wmma_f32_16x16x16_bf16 v[117:124], v[1:8], v[25:32], v[117:124]
	s_waitcnt vmcnt(8)
	v_wmma_f32_16x16x16_bf16 v[101:108], v[9:16], v[25:32], v[101:108]
	s_waitcnt vmcnt(6)
	s_delay_alu instid0(VALU_DEP_2) | instskip(SKIP_1) | instid1(VALU_DEP_2)
	v_wmma_f32_16x16x16_bf16 v[117:124], v[17:24], v[141:148], v[117:124]
	s_waitcnt vmcnt(4)
	v_wmma_f32_16x16x16_bf16 v[101:108], v[109:116], v[141:148], v[101:108]
	s_waitcnt vmcnt(2)
	s_delay_alu instid0(VALU_DEP_2) | instskip(SKIP_3) | instid1(VALU_DEP_3)
	v_wmma_f32_16x16x16_bf16 v[117:124], v[125:132], v[149:156], v[117:124]
	v_lshlrev_b32_e32 v85, 6, v73
	s_waitcnt vmcnt(0)
	v_wmma_f32_16x16x16_bf16 v[101:108], v[133:140], v[149:156], v[101:108]
	v_mul_f32_e32 v100, s18, v124
	s_delay_alu instid0(VALU_DEP_3) | instskip(SKIP_2) | instid1(VALU_DEP_3)
	v_lshl_or_b32 v41, v74, 10, v85
	v_mul_f32_e32 v97, s18, v117
	v_mul_f32_e32 v99, s18, v118
	v_add_co_u32 v76, s4, s4, v41
	s_delay_alu instid0(VALU_DEP_1) | instskip(NEXT) | instid1(VALU_DEP_2)
	v_add_co_ci_u32_e64 v77, null, s19, 0, s4
	v_add_co_u32 v41, vcc_lo, v76, s2
	s_delay_alu instid0(VALU_DEP_2)
	v_add_co_ci_u32_e32 v42, vcc_lo, s3, v77, vcc_lo
	v_add_co_u32 v33, vcc_lo, v76, s8
	v_add_co_ci_u32_e32 v34, vcc_lo, s9, v77, vcc_lo
	v_add_co_u32 v35, vcc_lo, v76, s10
	;; [unrolled: 2-line block ×5, first 2 shown]
	s_lshl_b64 s[2:3], s[24:25], 1
	v_add_co_ci_u32_e32 v6, vcc_lo, s23, v77, vcc_lo
	s_mul_hi_i32 s7, s13, s5
	s_mul_i32 s6, s13, s5
	v_add_co_u32 v17, vcc_lo, v76, s2
	v_add_co_ci_u32_e32 v18, vcc_lo, s3, v77, vcc_lo
	s_lshl_b64 s[2:3], s[6:7], 1
	s_mul_hi_i32 s7, s16, s5
	s_mul_i32 s6, s16, s5
	v_add_co_u32 v19, vcc_lo, v76, s2
	v_add_co_ci_u32_e32 v20, vcc_lo, s3, v77, vcc_lo
	s_lshl_b64 s[2:3], s[6:7], 1
	s_clause 0x1
	global_load_b128 v[65:68], v[41:42], off
	global_load_b128 v[69:72], v[41:42], off offset:16
	v_add_co_u32 v21, vcc_lo, v76, s2
	v_add_co_ci_u32_e32 v22, vcc_lo, s3, v77, vcc_lo
	s_clause 0xf
	global_load_b128 v[57:60], v[33:34], off
	global_load_b128 v[61:64], v[33:34], off offset:16
	global_load_b128 v[49:52], v[35:36], off
	global_load_b128 v[53:56], v[35:36], off offset:16
	;; [unrolled: 2-line block ×8, first 2 shown]
	v_mbcnt_lo_u32_b32 v77, -1, 0
	v_and_b32_e32 v76, 0xe0, v0
	s_waitcnt vmcnt(0)
	s_barrier
	buffer_gl0_inv
	v_xor_b32_e32 v78, 16, v77
	s_delay_alu instid0(VALU_DEP_1) | instskip(SKIP_1) | instid1(VALU_DEP_1)
	v_cmp_gt_i32_e32 vcc_lo, 32, v78
	v_dual_cndmask_b32 v77, v77, v78 :: v_dual_add_nc_u32 v76, s12, v76
	v_or_b32_e32 v76, v76, v83
	s_delay_alu instid0(VALU_DEP_1)
	v_or_b32_e32 v78, 2, v76
	v_or_b32_e32 v79, 4, v76
	;; [unrolled: 1-line block ×3, first 2 shown]
	v_cmp_gt_i32_e32 vcc_lo, s17, v76
	v_or_b32_e32 v86, 8, v76
	v_cmp_gt_i32_e64 s2, s17, v78
	v_or_b32_e32 v87, 10, v76
	v_or_b32_e32 v88, 12, v76
	;; [unrolled: 1-line block ×11, first 2 shown]
	v_cndmask_b32_e64 v78, 0xff7fffff, v99, s2
	v_mul_f32_e32 v99, s18, v120
	v_cmp_gt_i32_e64 s3, s17, v80
	v_mul_f32_e32 v80, s18, v119
	v_cndmask_b32_e32 v76, 0xff7fffff, v97, vcc_lo
	v_cmp_gt_i32_e64 s4, s17, v79
	v_mul_f32_e32 v79, s18, v122
	v_cmp_gt_i32_e64 s5, s17, v86
	v_cmp_gt_i32_e64 s6, s17, v87
	v_max3_f32 v76, v76, 0xff7fffff, v78
	v_mul_f32_e32 v78, s18, v121
	v_cndmask_b32_e64 v80, 0xff7fffff, v80, s4
	v_mul_f32_e32 v86, s18, v107
	v_cndmask_b32_e64 v99, 0xff7fffff, v99, s3
	v_mul_f32_e32 v97, s18, v123
	v_cndmask_b32_e64 v78, 0xff7fffff, v78, s5
	v_cndmask_b32_e64 v79, 0xff7fffff, v79, s6
	v_cmp_gt_i32_e64 s7, s17, v89
	v_max3_f32 v76, v76, v80, v99
	v_mul_f32_e32 v80, s18, v108
	v_cmp_gt_i32_e64 s8, s17, v88
	v_dual_mul_f32 v99, s18, v105 :: v_dual_mul_f32 v88, s18, v102
	s_delay_alu instid0(VALU_DEP_4) | instskip(SKIP_1) | instid1(VALU_DEP_4)
	v_max3_f32 v76, v76, v78, v79
	v_mul_f32_e32 v89, s18, v101
	v_cndmask_b32_e64 v97, 0xff7fffff, v97, s8
	v_cndmask_b32_e64 v100, 0xff7fffff, v100, s7
	v_cmp_gt_i32_e64 s9, s17, v90
	v_cmp_gt_i32_e64 s10, s17, v91
	v_dual_mul_f32 v78, s18, v104 :: v_dual_mul_f32 v79, s18, v103
	s_delay_alu instid0(VALU_DEP_4) | instskip(NEXT) | instid1(VALU_DEP_4)
	v_max3_f32 v76, v76, v97, v100
	v_cndmask_b32_e64 v89, 0xff7fffff, v89, s9
	s_delay_alu instid0(VALU_DEP_4)
	v_cndmask_b32_e64 v88, 0xff7fffff, v88, s10
	v_cmp_gt_i32_e64 s11, s17, v92
	v_cmp_gt_i32_e64 s12, s17, v93
	v_mul_f32_e32 v87, s18, v106
	v_cmp_gt_i32_e64 s13, s17, v94
	v_max3_f32 v76, v76, v89, v88
	v_cndmask_b32_e64 v79, 0xff7fffff, v79, s11
	v_cndmask_b32_e64 v78, 0xff7fffff, v78, s12
	v_cmp_gt_i32_e64 s15, s17, v95
	v_cndmask_b32_e64 v88, 0xff7fffff, v99, s13
	v_cmp_gt_i32_e64 s16, s17, v96
	v_cmp_gt_i32_e64 s17, s17, v98
	v_max3_f32 v76, v76, v79, v78
	v_cndmask_b32_e64 v87, 0xff7fffff, v87, s15
	v_lshlrev_b32_e32 v99, 2, v77
	v_cndmask_b32_e64 v78, 0xff7fffff, v86, s16
	v_cndmask_b32_e64 v79, 0xff7fffff, v80, s17
	s_delay_alu instid0(VALU_DEP_4) | instskip(NEXT) | instid1(VALU_DEP_1)
	v_max3_f32 v76, v76, v88, v87
	v_max3_f32 v76, v76, v78, v79
	ds_bpermute_b32 v77, v99, v76
	s_waitcnt lgkmcnt(0)
	v_max_f32_e32 v77, v77, v77
	s_delay_alu instid0(VALU_DEP_1) | instskip(NEXT) | instid1(VALU_DEP_1)
	v_max_f32_e32 v76, v76, v77
	v_fma_f32 v80, s18, v120, -v76
	v_fma_f32 v77, s18, v117, -v76
	v_fma_f32 v78, s18, v118, -v76
	v_fma_f32 v79, s18, v119, -v76
	v_fma_f32 v86, s18, v121, -v76
	v_mul_f32_e32 v80, 0x3fb8aa3b, v80
	v_fma_f32 v87, s18, v123, -v76
	v_mul_f32_e32 v78, 0x3fb8aa3b, v78
	v_fma_f32 v88, s18, v105, -v76
	v_mul_f32_e32 v86, 0x3fb8aa3b, v86
	v_exp_f32_e32 v80, v80
	v_fma_f32 v90, s18, v107, -v76
	v_exp_f32_e32 v78, v78
	v_fma_f32 v100, s18, v108, -v76
	v_exp_f32_e32 v86, v86
	v_mul_f32_e32 v88, 0x3fb8aa3b, v88
	s_delay_alu instid0(VALU_DEP_2) | instskip(NEXT) | instid1(TRANS32_DEP_3)
	v_mul_f32_e32 v100, 0x3fb8aa3b, v100
	v_cndmask_b32_e64 v95, 0, v80, s3
	v_mul_f32_e32 v77, 0x3fb8aa3b, v77
	s_delay_alu instid0(TRANS32_DEP_2) | instskip(SKIP_1) | instid1(TRANS32_DEP_1)
	v_cndmask_b32_e64 v91, 0, v78, s2
	v_fma_f32 v80, s18, v101, -v76
	v_cndmask_b32_e64 v96, 0, v86, s5
	v_fma_f32 v86, s18, v102, -v76
	v_exp_f32_e32 v77, v77
	s_delay_alu instid0(VALU_DEP_3) | instskip(SKIP_1) | instid1(VALU_DEP_2)
	v_dual_mul_f32 v79, 0x3fb8aa3b, v79 :: v_dual_mul_f32 v80, 0x3fb8aa3b, v80
	v_exp_f32_e32 v88, v88
	v_mul_f32_e32 v86, 0x3fb8aa3b, v86
	v_cmp_gt_u32_e64 s2, 16, v75
	v_exp_f32_e32 v100, v100
	v_exp_f32_e32 v80, v80
	s_delay_alu instid0(VALU_DEP_2) | instskip(SKIP_3) | instid1(VALU_DEP_1)
	v_exp_f32_e32 v86, v86
	v_cndmask_b32_e32 v92, 0, v77, vcc_lo
	v_exp_f32_e32 v79, v79
	v_fma_f32 v77, s18, v122, -v76
	v_dual_add_f32 v78, 0, v92 :: v_dual_mul_f32 v77, 0x3fb8aa3b, v77
	s_delay_alu instid0(VALU_DEP_1)
	v_add_f32_e32 v78, v78, v91
	s_waitcnt_depctr 0xfff
	v_cndmask_b32_e64 v93, 0, v79, s4
	v_fma_f32 v79, s18, v124, -v76
	v_mul_f32_e32 v87, 0x3fb8aa3b, v87
	v_exp_f32_e32 v77, v77
	s_delay_alu instid0(VALU_DEP_2) | instskip(NEXT) | instid1(VALU_DEP_2)
	v_dual_add_f32 v78, v78, v93 :: v_dual_mul_f32 v79, 0x3fb8aa3b, v79
	v_exp_f32_e32 v87, v87
	s_delay_alu instid0(VALU_DEP_1) | instskip(NEXT) | instid1(VALU_DEP_2)
	v_add_f32_e32 v78, v78, v95
	v_exp_f32_e32 v79, v79
	s_delay_alu instid0(TRANS32_DEP_3) | instskip(NEXT) | instid1(VALU_DEP_2)
	v_cndmask_b32_e64 v97, 0, v77, s6
	v_add_f32_e32 v77, v78, v96
	v_fma_f32 v78, s18, v103, -v76
	s_waitcnt_depctr 0xfff
	v_cndmask_b32_e64 v94, 0, v87, s8
	v_fma_f32 v87, s18, v104, -v76
	v_dual_add_f32 v77, v77, v97 :: v_dual_mul_f32 v78, 0x3fb8aa3b, v78
	v_cndmask_b32_e64 v98, 0, v79, s7
	s_delay_alu instid0(VALU_DEP_2) | instskip(SKIP_4) | instid1(VALU_DEP_2)
	v_add_f32_e32 v79, v77, v94
	v_cndmask_b32_e64 v77, 0, v80, s9
	v_fma_f32 v80, s18, v106, -v76
	v_exp_f32_e32 v89, v78
	v_cndmask_b32_e64 v78, 0, v86, s10
	v_dual_add_f32 v79, v79, v98 :: v_dual_mul_f32 v80, 0x3fb8aa3b, v80
	s_delay_alu instid0(VALU_DEP_1) | instskip(NEXT) | instid1(VALU_DEP_1)
	v_dual_mul_f32 v87, 0x3fb8aa3b, v87 :: v_dual_add_f32 v86, v79, v77
	v_exp_f32_e32 v87, v87
	s_waitcnt_depctr 0xfff
	v_cndmask_b32_e64 v79, 0, v89, s11
	v_add_f32_e32 v86, v86, v78
	v_mul_f32_e32 v89, 0x3fb8aa3b, v90
	v_exp_f32_e32 v90, v80
	v_cndmask_b32_e64 v80, 0, v87, s12
	s_delay_alu instid0(VALU_DEP_3) | instskip(SKIP_1) | instid1(VALU_DEP_2)
	v_add_f32_e32 v87, v86, v79
	v_cndmask_b32_e64 v86, 0, v88, s13
	v_add_f32_e32 v88, v87, v80
	v_exp_f32_e32 v89, v89
	s_waitcnt_depctr 0xfff
	v_cndmask_b32_e64 v87, 0, v90, s15
	v_add_f32_e32 v90, v88, v86
	v_cndmask_b32_e64 v88, 0, v89, s16
	s_delay_alu instid0(VALU_DEP_2) | instskip(NEXT) | instid1(VALU_DEP_1)
	v_add_f32_e32 v89, v90, v87
	v_add_f32_e32 v90, v89, v88
	v_cndmask_b32_e64 v89, 0, v100, s17
	s_delay_alu instid0(VALU_DEP_1)
	v_add_f32_e32 v90, v90, v89
	ds_bpermute_b32 v99, v99, v90
	s_and_saveexec_b32 s3, s2
	s_cbranch_execz .LBB694_14
; %bb.13:
	v_mul_u32_u24_e32 v75, 0x44, v74
	s_waitcnt lgkmcnt(0)
	v_add_f32_e32 v90, v90, v99
	s_delay_alu instid0(VALU_DEP_2) | instskip(NEXT) | instid1(VALU_DEP_1)
	v_lshl_add_u32 v75, v73, 2, v75
	v_add_nc_u32_e32 v75, 0x4000, v75
	ds_store_2addr_b32 v75, v76, v90 offset1:136
.LBB694_14:
	s_or_b32 exec_lo, exec_lo, s3
	v_lshlrev_b32_e32 v75, 2, v73
	s_waitcnt lgkmcnt(0)
	s_barrier
	buffer_gl0_inv
	v_cmp_eq_u32_e64 s3, 1, v74
	v_add_nc_u32_e32 v90, 0x4000, v75
	ds_load_2addr_b32 v[99:100], v90 offset1:17
	ds_load_2addr_b32 v[101:102], v90 offset0:34 offset1:51
	ds_load_2addr_b32 v[103:104], v90 offset0:68 offset1:85
	;; [unrolled: 1-line block ×4, first 2 shown]
	s_waitcnt lgkmcnt(4)
	v_max3_f32 v75, v99, 0xff7fffff, v100
	s_waitcnt lgkmcnt(3)
	s_delay_alu instid0(VALU_DEP_1) | instskip(SKIP_1) | instid1(VALU_DEP_1)
	v_max3_f32 v75, v75, v101, v102
	s_waitcnt lgkmcnt(2)
	v_max3_f32 v75, v75, v103, v104
	s_waitcnt lgkmcnt(1)
	s_delay_alu instid0(VALU_DEP_1) | instskip(NEXT) | instid1(VALU_DEP_1)
	v_max3_f32 v75, v75, v105, v106
	v_sub_f32_e32 v109, v100, v75
	v_sub_f32_e32 v76, v99, v75
	ds_load_2addr_b32 v[99:100], v90 offset0:170 offset1:187
	v_sub_f32_e32 v101, v101, v75
	v_dual_mul_f32 v109, 0x3fb8aa3b, v109 :: v_dual_mul_f32 v76, 0x3fb8aa3b, v76
	s_delay_alu instid0(VALU_DEP_2) | instskip(NEXT) | instid1(VALU_DEP_2)
	v_mul_f32_e32 v111, 0x3fb8aa3b, v101
	v_exp_f32_e32 v109, v109
	s_delay_alu instid0(VALU_DEP_2)
	v_exp_f32_e32 v110, v76
	v_sub_f32_e32 v76, v102, v75
	ds_load_2addr_b32 v[101:102], v90 offset0:204 offset1:221
	v_exp_f32_e32 v111, v111
	v_mul_f32_e32 v112, 0x3fb8aa3b, v76
	s_waitcnt lgkmcnt(2)
	v_fma_f32 v76, v110, v107, 0
	v_sub_f32_e32 v103, v103, v75
	s_delay_alu instid0(VALU_DEP_3) | instskip(NEXT) | instid1(VALU_DEP_2)
	v_exp_f32_e32 v112, v112
	v_dual_sub_f32 v107, v104, v75 :: v_dual_fmac_f32 v76, v109, v108
	s_waitcnt lgkmcnt(1)
	s_waitcnt_depctr 0xfff
	v_fmac_f32_e32 v76, v111, v99
	v_mul_f32_e32 v113, 0x3fb8aa3b, v103
	ds_load_2addr_b32 v[103:104], v90 offset0:238 offset1:255
	v_sub_f32_e32 v90, v105, v75
	v_dual_sub_f32 v99, v106, v75 :: v_dual_fmac_f32 v76, v112, v100
	v_mul_f32_e32 v105, 0x3fb8aa3b, v107
	v_exp_f32_e32 v107, v113
	s_delay_alu instid0(VALU_DEP_2)
	v_dual_mul_f32 v90, 0x3fb8aa3b, v90 :: v_dual_mul_f32 v99, 0x3fb8aa3b, v99
	s_waitcnt lgkmcnt(0)
	s_barrier
	buffer_gl0_inv
	v_exp_f32_e32 v90, v90
	v_exp_f32_e32 v99, v99
	v_fmac_f32_e32 v76, v107, v101
	v_exp_f32_e32 v105, v105
	s_waitcnt_depctr 0xfff
	v_fmac_f32_e32 v76, v105, v102
	s_delay_alu instid0(VALU_DEP_1) | instskip(NEXT) | instid1(VALU_DEP_1)
	v_fmac_f32_e32 v76, v90, v103
	v_fmac_f32_e32 v76, v99, v104
	s_delay_alu instid0(VALU_DEP_1) | instskip(NEXT) | instid1(VALU_DEP_1)
	v_add_f32_e32 v100, 0x358637bd, v76
	v_div_scale_f32 v101, null, v100, v100, 1.0
	v_div_scale_f32 v104, vcc_lo, 1.0, v100, 1.0
	s_delay_alu instid0(VALU_DEP_2) | instskip(SKIP_2) | instid1(VALU_DEP_1)
	v_rcp_f32_e32 v102, v101
	s_waitcnt_depctr 0xfff
	v_fma_f32 v103, -v101, v102, 1.0
	v_fmac_f32_e32 v102, v103, v102
	v_cndmask_b32_e64 v103, v110, v109, s3
	v_cmp_eq_u32_e64 s3, 2, v74
	s_delay_alu instid0(VALU_DEP_3) | instskip(NEXT) | instid1(VALU_DEP_2)
	v_mul_f32_e32 v106, v104, v102
	v_cndmask_b32_e64 v103, v103, v111, s3
	v_cmp_eq_u32_e64 s3, 3, v74
	s_delay_alu instid0(VALU_DEP_3) | instskip(NEXT) | instid1(VALU_DEP_2)
	v_fma_f32 v108, -v101, v106, v104
	v_cndmask_b32_e64 v103, v103, v112, s3
	v_cmp_eq_u32_e64 s3, 4, v74
	s_delay_alu instid0(VALU_DEP_3) | instskip(NEXT) | instid1(VALU_DEP_2)
	v_fmac_f32_e32 v106, v108, v102
	v_cndmask_b32_e64 v103, v103, v107, s3
	s_delay_alu instid0(VALU_DEP_2) | instskip(SKIP_1) | instid1(VALU_DEP_2)
	v_fma_f32 v101, -v101, v106, v104
	v_cmp_eq_u32_e64 s3, 5, v74
	v_div_fmas_f32 v101, v101, v102, v106
	s_delay_alu instid0(VALU_DEP_2) | instskip(SKIP_2) | instid1(VALU_DEP_3)
	v_cndmask_b32_e64 v103, v103, v105, s3
	v_cmp_eq_u32_e32 vcc_lo, 6, v74
	s_mov_b32 s3, exec_lo
	v_div_fixup_f32 v100, v101, v100, 1.0
	s_delay_alu instid0(VALU_DEP_3) | instskip(SKIP_1) | instid1(VALU_DEP_2)
	v_cndmask_b32_e32 v90, v103, v90, vcc_lo
	v_cmp_eq_u32_e32 vcc_lo, 7, v74
	v_cndmask_b32_e32 v90, v90, v99, vcc_lo
	s_delay_alu instid0(VALU_DEP_1) | instskip(NEXT) | instid1(VALU_DEP_1)
	v_mul_f32_e32 v90, v90, v100
	v_mul_f32_e32 v100, v90, v92
	;; [unrolled: 1-line block ×6, first 2 shown]
	v_and_b32_e32 v101, 0x7f800000, v100
	v_mul_f32_e32 v99, v90, v95
	v_mul_f32_e32 v95, v90, v91
	;; [unrolled: 1-line block ×3, first 2 shown]
                                        ; implicit-def: $vgpr91
	s_delay_alu instid0(VALU_DEP_4)
	v_cmpx_ne_u32_e32 0x7f800000, v101
	s_xor_b32 s3, exec_lo, s3
; %bb.15:
	v_bfe_u32 v91, v100, 16, 1
	s_delay_alu instid0(VALU_DEP_1)
	v_add3_u32 v91, v100, v91, 0x7fff
                                        ; implicit-def: $vgpr100
; %bb.16:
	s_and_not1_saveexec_b32 s3, s3
; %bb.17:
	v_and_b32_e32 v91, 0xffff, v100
	v_or_b32_e32 v93, 0x10000, v100
	s_delay_alu instid0(VALU_DEP_2) | instskip(NEXT) | instid1(VALU_DEP_2)
	v_cmp_eq_u32_e32 vcc_lo, 0, v91
	v_cndmask_b32_e32 v91, v93, v100, vcc_lo
; %bb.18:
	s_or_b32 exec_lo, exec_lo, s3
	v_and_b32_e32 v93, 0x7f800000, v95
	s_delay_alu instid0(VALU_DEP_1) | instskip(SKIP_1) | instid1(SALU_CYCLE_1)
	v_cmp_ne_u32_e32 vcc_lo, 0x7f800000, v93
                                        ; implicit-def: $vgpr93
	s_and_saveexec_b32 s3, vcc_lo
	s_xor_b32 s3, exec_lo, s3
; %bb.19:
	v_bfe_u32 v93, v95, 16, 1
	s_delay_alu instid0(VALU_DEP_1)
	v_add3_u32 v93, v95, v93, 0x7fff
                                        ; implicit-def: $vgpr95
; %bb.20:
	s_and_not1_saveexec_b32 s3, s3
; %bb.21:
	v_and_b32_e32 v93, 0xffff, v95
	v_or_b32_e32 v100, 0x10000, v95
	s_delay_alu instid0(VALU_DEP_2) | instskip(NEXT) | instid1(VALU_DEP_2)
	v_cmp_eq_u32_e32 vcc_lo, 0, v93
	v_cndmask_b32_e32 v93, v100, v95, vcc_lo
; %bb.22:
	s_or_b32 exec_lo, exec_lo, s3
	v_and_b32_e32 v95, 0x7f800000, v96
	s_delay_alu instid0(VALU_DEP_1) | instskip(SKIP_1) | instid1(SALU_CYCLE_1)
	v_cmp_ne_u32_e32 vcc_lo, 0x7f800000, v95
                                        ; implicit-def: $vgpr95
	s_and_saveexec_b32 s3, vcc_lo
	s_xor_b32 s3, exec_lo, s3
; %bb.23:
	v_bfe_u32 v95, v96, 16, 1
	s_delay_alu instid0(VALU_DEP_1)
	v_add3_u32 v95, v96, v95, 0x7fff
                                        ; implicit-def: $vgpr96
; %bb.24:
	s_and_not1_saveexec_b32 s3, s3
; %bb.25:
	v_and_b32_e32 v95, 0xffff, v96
	v_or_b32_e32 v100, 0x10000, v96
	s_delay_alu instid0(VALU_DEP_2) | instskip(NEXT) | instid1(VALU_DEP_2)
	v_cmp_eq_u32_e32 vcc_lo, 0, v95
	v_cndmask_b32_e32 v95, v100, v96, vcc_lo
; %bb.26:
	s_or_b32 exec_lo, exec_lo, s3
	v_and_b32_e32 v96, 0x7f800000, v99
	s_delay_alu instid0(VALU_DEP_1) | instskip(SKIP_1) | instid1(SALU_CYCLE_1)
	v_cmp_ne_u32_e32 vcc_lo, 0x7f800000, v96
                                        ; implicit-def: $vgpr96
	s_and_saveexec_b32 s3, vcc_lo
	s_xor_b32 s3, exec_lo, s3
; %bb.27:
	v_bfe_u32 v96, v99, 16, 1
	s_delay_alu instid0(VALU_DEP_1)
	v_add3_u32 v96, v99, v96, 0x7fff
                                        ; implicit-def: $vgpr99
; %bb.28:
	s_and_not1_saveexec_b32 s3, s3
; %bb.29:
	v_and_b32_e32 v96, 0xffff, v99
	v_or_b32_e32 v100, 0x10000, v99
	s_delay_alu instid0(VALU_DEP_2) | instskip(NEXT) | instid1(VALU_DEP_2)
	v_cmp_eq_u32_e32 vcc_lo, 0, v96
	v_cndmask_b32_e32 v96, v100, v99, vcc_lo
; %bb.30:
	s_or_b32 exec_lo, exec_lo, s3
	v_and_b32_e32 v99, 0x7f800000, v98
	s_delay_alu instid0(VALU_DEP_1) | instskip(SKIP_1) | instid1(SALU_CYCLE_1)
	v_cmp_ne_u32_e32 vcc_lo, 0x7f800000, v99
                                        ; implicit-def: $vgpr99
	s_and_saveexec_b32 s3, vcc_lo
	s_xor_b32 s3, exec_lo, s3
; %bb.31:
	v_bfe_u32 v99, v98, 16, 1
	s_delay_alu instid0(VALU_DEP_1)
	v_add3_u32 v99, v98, v99, 0x7fff
                                        ; implicit-def: $vgpr98
; %bb.32:
	s_and_not1_saveexec_b32 s3, s3
; %bb.33:
	v_and_b32_e32 v99, 0xffff, v98
	v_or_b32_e32 v100, 0x10000, v98
	s_delay_alu instid0(VALU_DEP_2) | instskip(NEXT) | instid1(VALU_DEP_2)
	v_cmp_eq_u32_e32 vcc_lo, 0, v99
	v_cndmask_b32_e32 v99, v100, v98, vcc_lo
; %bb.34:
	s_or_b32 exec_lo, exec_lo, s3
	v_and_b32_e32 v98, 0x7f800000, v97
	s_delay_alu instid0(VALU_DEP_1) | instskip(SKIP_1) | instid1(SALU_CYCLE_1)
	v_cmp_ne_u32_e32 vcc_lo, 0x7f800000, v98
                                        ; implicit-def: $vgpr98
	s_and_saveexec_b32 s3, vcc_lo
	s_xor_b32 s3, exec_lo, s3
; %bb.35:
	v_bfe_u32 v98, v97, 16, 1
	s_delay_alu instid0(VALU_DEP_1)
	v_add3_u32 v98, v97, v98, 0x7fff
                                        ; implicit-def: $vgpr97
; %bb.36:
	s_and_not1_saveexec_b32 s3, s3
; %bb.37:
	v_and_b32_e32 v98, 0xffff, v97
	v_or_b32_e32 v100, 0x10000, v97
	s_delay_alu instid0(VALU_DEP_2) | instskip(NEXT) | instid1(VALU_DEP_2)
	v_cmp_eq_u32_e32 vcc_lo, 0, v98
	v_cndmask_b32_e32 v98, v100, v97, vcc_lo
; %bb.38:
	s_or_b32 exec_lo, exec_lo, s3
	v_and_b32_e32 v97, 0x7f800000, v94
	s_delay_alu instid0(VALU_DEP_1) | instskip(SKIP_1) | instid1(SALU_CYCLE_1)
	v_cmp_ne_u32_e32 vcc_lo, 0x7f800000, v97
                                        ; implicit-def: $vgpr97
	s_and_saveexec_b32 s3, vcc_lo
	s_xor_b32 s3, exec_lo, s3
; %bb.39:
	v_bfe_u32 v97, v94, 16, 1
	s_delay_alu instid0(VALU_DEP_1)
	v_add3_u32 v97, v94, v97, 0x7fff
                                        ; implicit-def: $vgpr94
; %bb.40:
	s_and_not1_saveexec_b32 s3, s3
; %bb.41:
	v_and_b32_e32 v97, 0xffff, v94
	v_or_b32_e32 v100, 0x10000, v94
	s_delay_alu instid0(VALU_DEP_2) | instskip(NEXT) | instid1(VALU_DEP_2)
	v_cmp_eq_u32_e32 vcc_lo, 0, v97
	v_cndmask_b32_e32 v97, v100, v94, vcc_lo
; %bb.42:
	s_or_b32 exec_lo, exec_lo, s3
	v_and_b32_e32 v94, 0x7f800000, v92
	s_delay_alu instid0(VALU_DEP_1) | instskip(SKIP_1) | instid1(SALU_CYCLE_1)
	v_cmp_ne_u32_e32 vcc_lo, 0x7f800000, v94
                                        ; implicit-def: $vgpr94
	s_and_saveexec_b32 s3, vcc_lo
	s_xor_b32 s3, exec_lo, s3
; %bb.43:
	v_bfe_u32 v94, v92, 16, 1
	s_delay_alu instid0(VALU_DEP_1)
	v_add3_u32 v94, v92, v94, 0x7fff
                                        ; implicit-def: $vgpr92
; %bb.44:
	s_and_not1_saveexec_b32 s3, s3
; %bb.45:
	v_and_b32_e32 v94, 0xffff, v92
	v_or_b32_e32 v100, 0x10000, v92
	s_delay_alu instid0(VALU_DEP_2) | instskip(NEXT) | instid1(VALU_DEP_2)
	v_cmp_eq_u32_e32 vcc_lo, 0, v94
	v_cndmask_b32_e32 v94, v100, v92, vcc_lo
; %bb.46:
	s_or_b32 exec_lo, exec_lo, s3
	s_load_b64 s[34:35], s[0:1], 0x94
	v_lshlrev_b32_e32 v92, 4, v83
	s_delay_alu instid0(VALU_DEP_2)
	v_perm_b32 v100, v94, v97, 0x7060302
	v_dual_mul_f32 v89, v90, v89 :: v_dual_lshlrev_b32 v94, 11, v74
	v_perm_b32 v97, v93, v91, 0x7060302
	v_mul_f32_e32 v93, v90, v77
	v_perm_b32 v99, v98, v99, 0x7060302
	v_perm_b32 v98, v96, v95, 0x7060302
	v_or3_b32 v77, v92, v94, v85
	v_mul_f32_e32 v88, v90, v88
	v_dual_mul_f32 v87, v90, v87 :: v_dual_and_b32 v94, 0x7f800000, v93
	v_mul_f32_e32 v86, v90, v86
	v_mul_f32_e32 v91, v90, v80
	;; [unrolled: 1-line block ×4, first 2 shown]
	s_mov_b32 s3, exec_lo
	ds_store_b128 v77, v[97:100]
                                        ; implicit-def: $vgpr78
	v_cmpx_ne_u32_e32 0x7f800000, v94
	s_xor_b32 s3, exec_lo, s3
; %bb.47:
	v_bfe_u32 v78, v93, 16, 1
	s_delay_alu instid0(VALU_DEP_1)
	v_add3_u32 v78, v93, v78, 0x7fff
                                        ; implicit-def: $vgpr93
; %bb.48:
	s_and_not1_saveexec_b32 s3, s3
; %bb.49:
	v_and_b32_e32 v78, 0xffff, v93
	v_or_b32_e32 v79, 0x10000, v93
	s_delay_alu instid0(VALU_DEP_2) | instskip(NEXT) | instid1(VALU_DEP_2)
	v_cmp_eq_u32_e32 vcc_lo, 0, v78
	v_cndmask_b32_e32 v78, v79, v93, vcc_lo
; %bb.50:
	s_or_b32 exec_lo, exec_lo, s3
	v_and_b32_e32 v79, 0x7f800000, v80
	s_delay_alu instid0(VALU_DEP_1) | instskip(SKIP_1) | instid1(SALU_CYCLE_1)
	v_cmp_ne_u32_e32 vcc_lo, 0x7f800000, v79
                                        ; implicit-def: $vgpr79
	s_and_saveexec_b32 s3, vcc_lo
	s_xor_b32 s3, exec_lo, s3
; %bb.51:
	v_bfe_u32 v79, v80, 16, 1
	s_delay_alu instid0(VALU_DEP_1)
	v_add3_u32 v79, v80, v79, 0x7fff
                                        ; implicit-def: $vgpr80
; %bb.52:
	s_and_not1_saveexec_b32 s3, s3
; %bb.53:
	v_and_b32_e32 v79, 0xffff, v80
	v_or_b32_e32 v90, 0x10000, v80
	s_delay_alu instid0(VALU_DEP_2) | instskip(NEXT) | instid1(VALU_DEP_2)
	v_cmp_eq_u32_e32 vcc_lo, 0, v79
	v_cndmask_b32_e32 v79, v90, v80, vcc_lo
; %bb.54:
	s_or_b32 exec_lo, exec_lo, s3
	v_and_b32_e32 v80, 0x7f800000, v92
	s_delay_alu instid0(VALU_DEP_1) | instskip(SKIP_1) | instid1(SALU_CYCLE_1)
	v_cmp_ne_u32_e32 vcc_lo, 0x7f800000, v80
                                        ; implicit-def: $vgpr80
	s_and_saveexec_b32 s3, vcc_lo
	s_xor_b32 s3, exec_lo, s3
; %bb.55:
	v_bfe_u32 v80, v92, 16, 1
	s_delay_alu instid0(VALU_DEP_1)
	v_add3_u32 v80, v92, v80, 0x7fff
                                        ; implicit-def: $vgpr92
; %bb.56:
	s_and_not1_saveexec_b32 s3, s3
; %bb.57:
	v_and_b32_e32 v80, 0xffff, v92
	v_or_b32_e32 v90, 0x10000, v92
	s_delay_alu instid0(VALU_DEP_2) | instskip(NEXT) | instid1(VALU_DEP_2)
	v_cmp_eq_u32_e32 vcc_lo, 0, v80
	v_cndmask_b32_e32 v80, v90, v92, vcc_lo
; %bb.58:
	s_or_b32 exec_lo, exec_lo, s3
	v_and_b32_e32 v90, 0x7f800000, v91
	s_delay_alu instid0(VALU_DEP_1) | instskip(SKIP_1) | instid1(SALU_CYCLE_1)
	v_cmp_ne_u32_e32 vcc_lo, 0x7f800000, v90
                                        ; implicit-def: $vgpr90
	s_and_saveexec_b32 s3, vcc_lo
	s_xor_b32 s3, exec_lo, s3
; %bb.59:
	v_bfe_u32 v90, v91, 16, 1
	s_delay_alu instid0(VALU_DEP_1)
	v_add3_u32 v90, v91, v90, 0x7fff
                                        ; implicit-def: $vgpr91
; %bb.60:
	s_and_not1_saveexec_b32 s3, s3
; %bb.61:
	v_and_b32_e32 v90, 0xffff, v91
	v_or_b32_e32 v92, 0x10000, v91
	s_delay_alu instid0(VALU_DEP_2) | instskip(NEXT) | instid1(VALU_DEP_2)
	v_cmp_eq_u32_e32 vcc_lo, 0, v90
	v_cndmask_b32_e32 v90, v92, v91, vcc_lo
; %bb.62:
	s_or_b32 exec_lo, exec_lo, s3
	v_and_b32_e32 v91, 0x7f800000, v86
	s_delay_alu instid0(VALU_DEP_1) | instskip(SKIP_1) | instid1(SALU_CYCLE_1)
	v_cmp_ne_u32_e32 vcc_lo, 0x7f800000, v91
                                        ; implicit-def: $vgpr91
	s_and_saveexec_b32 s3, vcc_lo
	s_xor_b32 s3, exec_lo, s3
; %bb.63:
	v_bfe_u32 v91, v86, 16, 1
	s_delay_alu instid0(VALU_DEP_1)
	v_add3_u32 v91, v86, v91, 0x7fff
                                        ; implicit-def: $vgpr86
; %bb.64:
	s_and_not1_saveexec_b32 s3, s3
; %bb.65:
	v_and_b32_e32 v91, 0xffff, v86
	v_or_b32_e32 v92, 0x10000, v86
	s_delay_alu instid0(VALU_DEP_2) | instskip(NEXT) | instid1(VALU_DEP_2)
	v_cmp_eq_u32_e32 vcc_lo, 0, v91
	v_cndmask_b32_e32 v91, v92, v86, vcc_lo
; %bb.66:
	s_or_b32 exec_lo, exec_lo, s3
	v_and_b32_e32 v86, 0x7f800000, v87
	s_delay_alu instid0(VALU_DEP_1) | instskip(SKIP_1) | instid1(SALU_CYCLE_1)
	v_cmp_ne_u32_e32 vcc_lo, 0x7f800000, v86
                                        ; implicit-def: $vgpr86
	s_and_saveexec_b32 s3, vcc_lo
	s_xor_b32 s3, exec_lo, s3
; %bb.67:
	v_bfe_u32 v86, v87, 16, 1
	s_delay_alu instid0(VALU_DEP_1)
	v_add3_u32 v86, v87, v86, 0x7fff
                                        ; implicit-def: $vgpr87
; %bb.68:
	s_and_not1_saveexec_b32 s3, s3
; %bb.69:
	v_and_b32_e32 v86, 0xffff, v87
	v_or_b32_e32 v92, 0x10000, v87
	s_delay_alu instid0(VALU_DEP_2) | instskip(NEXT) | instid1(VALU_DEP_2)
	v_cmp_eq_u32_e32 vcc_lo, 0, v86
	v_cndmask_b32_e32 v86, v92, v87, vcc_lo
; %bb.70:
	s_or_b32 exec_lo, exec_lo, s3
	v_and_b32_e32 v87, 0x7f800000, v88
	s_delay_alu instid0(VALU_DEP_1) | instskip(SKIP_1) | instid1(SALU_CYCLE_1)
	v_cmp_ne_u32_e32 vcc_lo, 0x7f800000, v87
                                        ; implicit-def: $vgpr87
	s_and_saveexec_b32 s3, vcc_lo
	s_xor_b32 s3, exec_lo, s3
; %bb.71:
	v_bfe_u32 v87, v88, 16, 1
	s_delay_alu instid0(VALU_DEP_1)
	v_add3_u32 v87, v88, v87, 0x7fff
                                        ; implicit-def: $vgpr88
; %bb.72:
	s_and_not1_saveexec_b32 s3, s3
; %bb.73:
	v_and_b32_e32 v87, 0xffff, v88
	v_or_b32_e32 v92, 0x10000, v88
	s_delay_alu instid0(VALU_DEP_2) | instskip(NEXT) | instid1(VALU_DEP_2)
	v_cmp_eq_u32_e32 vcc_lo, 0, v87
	v_cndmask_b32_e32 v87, v92, v88, vcc_lo
; %bb.74:
	s_or_b32 exec_lo, exec_lo, s3
	v_and_b32_e32 v88, 0x7f800000, v89
	s_delay_alu instid0(VALU_DEP_1) | instskip(SKIP_1) | instid1(SALU_CYCLE_1)
	v_cmp_ne_u32_e32 vcc_lo, 0x7f800000, v88
                                        ; implicit-def: $vgpr88
	s_and_saveexec_b32 s3, vcc_lo
	s_xor_b32 s3, exec_lo, s3
; %bb.75:
	v_bfe_u32 v88, v89, 16, 1
	s_delay_alu instid0(VALU_DEP_1)
	v_add3_u32 v88, v89, v88, 0x7fff
                                        ; implicit-def: $vgpr89
; %bb.76:
	s_and_not1_saveexec_b32 s3, s3
; %bb.77:
	v_and_b32_e32 v88, 0xffff, v89
	v_or_b32_e32 v92, 0x10000, v89
	s_delay_alu instid0(VALU_DEP_2) | instskip(NEXT) | instid1(VALU_DEP_2)
	v_cmp_eq_u32_e32 vcc_lo, 0, v88
	v_cndmask_b32_e32 v88, v92, v89, vcc_lo
; %bb.78:
	s_or_b32 exec_lo, exec_lo, s3
	s_delay_alu instid0(VALU_DEP_1)
	v_perm_b32 v89, v88, v87, 0x7060302
	v_perm_b32 v88, v86, v91, 0x7060302
	;; [unrolled: 1-line block ×4, first 2 shown]
	v_lshl_or_b32 v90, v74, 11, v85
	ds_store_b128 v77, v[86:89] offset:1024
	s_waitcnt lgkmcnt(0)
	s_barrier
	buffer_gl0_inv
	ds_load_b128 v[91:94], v90
	ds_load_b128 v[95:98], v90 offset:16
	v_lshlrev_b32_e32 v87, 2, v83
	s_delay_alu instid0(VALU_DEP_1)
	v_or_b32_e32 v88, 1, v87
	v_cmp_eq_u32_e32 vcc_lo, 1, v87
	v_cmp_eq_u32_e64 s4, 2, v87
	v_cmp_eq_u32_e64 s7, 3, v87
	;; [unrolled: 1-line block ×6, first 2 shown]
	v_or_b32_e32 v86, 2, v87
	v_cmp_eq_u32_e64 s10, 5, v87
	v_cmp_eq_u32_e64 s11, 4, v88
	;; [unrolled: 1-line block ×4, first 2 shown]
	s_waitcnt lgkmcnt(1)
	v_lshrrev_b32_e32 v74, 16, v91
	s_waitcnt lgkmcnt(0)
	v_lshrrev_b32_e32 v103, 16, v95
	v_lshrrev_b32_e32 v80, 16, v94
	;; [unrolled: 1-line block ×4, first 2 shown]
	v_cndmask_b32_e32 v89, v91, v74, vcc_lo
	v_cndmask_b32_e32 v99, v95, v103, vcc_lo
	v_cndmask_b32_e64 v100, v91, v74, s3
	v_lshrrev_b32_e32 v79, 16, v93
	v_lshrrev_b32_e32 v108, 16, v97
	v_cndmask_b32_e64 v89, v89, v92, s4
	v_cndmask_b32_e64 v99, v99, v96, s4
	;; [unrolled: 1-line block ×4, first 2 shown]
	v_cmp_eq_u32_e64 s5, 1, v86
	v_cndmask_b32_e64 v89, v89, v78, s7
	v_cndmask_b32_e64 v99, v99, v107, s7
	;; [unrolled: 1-line block ×4, first 2 shown]
	v_lshrrev_b32_e32 v109, 16, v98
	v_cndmask_b32_e64 v89, v89, v93, s9
	v_cndmask_b32_e64 v99, v99, v97, s9
	;; [unrolled: 1-line block ×8, first 2 shown]
	v_cmp_eq_u32_e64 s15, 7, v87
	v_cmp_eq_u32_e64 s16, 6, v88
	v_cndmask_b32_e64 v89, v89, v94, s12
	v_cndmask_b32_e64 v99, v99, v98, s12
	v_cmp_eq_u32_e64 s17, 2, v86
	v_cndmask_b32_e64 v101, v101, v97, s11
	v_cndmask_b32_e64 v100, v100, v94, s16
	;; [unrolled: 1-line block ×6, first 2 shown]
	v_cmp_eq_u32_e64 s18, 7, v88
	v_cmp_eq_u32_e64 s19, 3, v86
	;; [unrolled: 1-line block ×4, first 2 shown]
	v_cndmask_b32_e64 v99, v99, v96, s17
	v_cndmask_b32_e64 v112, v100, v80, s18
	v_cndmask_b32_e64 v100, v101, v108, s13
	v_cndmask_b32_e64 v101, v89, v78, s19
	v_or_b32_e32 v89, 3, v87
	v_cndmask_b32_e64 v105, v99, v107, s19
	v_cmp_eq_u32_e64 s24, 6, v86
	v_cndmask_b32_e64 v113, v100, v98, s16
	v_cndmask_b32_e64 v104, v101, v93, s20
	ds_load_b128 v[99:102], v90 offset:1024
	v_cmp_eq_u32_e64 s21, 1, v89
	v_cmp_eq_u32_e64 s23, 2, v89
	;; [unrolled: 1-line block ×3, first 2 shown]
	v_cndmask_b32_e64 v114, v104, v79, s22
	v_cmp_eq_u32_e64 s26, 4, v89
	v_cndmask_b32_e64 v74, v91, v74, s21
	v_cndmask_b32_e64 v91, v105, v97, s20
	;; [unrolled: 1-line block ×3, first 2 shown]
	ds_load_b128 v[103:106], v90 offset:1040
	v_cmp_eq_u32_e64 s28, 5, v89
	v_cndmask_b32_e64 v74, v74, v92, s23
	v_cndmask_b32_e64 v91, v91, v108, s22
	v_cndmask_b32_e64 v92, v95, v96, s23
	v_cmp_eq_u32_e64 s29, 6, v89
	v_cndmask_b32_e64 v95, v113, v109, s18
	v_cndmask_b32_e64 v74, v74, v78, s25
	;; [unrolled: 1-line block ×5, first 2 shown]
	s_waitcnt lgkmcnt(1)
	v_lshrrev_b32_e32 v96, 16, v99
	v_cndmask_b32_e64 v74, v74, v93, s26
	v_lshrrev_b32_e32 v107, 16, v100
	v_cndmask_b32_e64 v92, v92, v97, s26
	v_cmp_eq_u32_e64 s27, 7, v86
	v_cndmask_b32_e32 v93, v99, v96, vcc_lo
	v_cndmask_b32_e64 v74, v74, v79, s28
	s_delay_alu instid0(VALU_DEP_4)
	v_cndmask_b32_e64 v79, v92, v108, s28
	s_waitcnt lgkmcnt(0)
	v_lshrrev_b32_e32 v97, 16, v103
	v_cndmask_b32_e64 v92, v93, v100, s4
	v_cndmask_b32_e64 v93, v99, v96, s3
	;; [unrolled: 1-line block ×4, first 2 shown]
	v_cndmask_b32_e32 v108, v103, v97, vcc_lo
	v_cndmask_b32_e64 v92, v92, v107, s7
	v_cndmask_b32_e64 v93, v93, v100, s6
	v_lshrrev_b32_e32 v98, 16, v104
	v_cmp_eq_u32_e32 vcc_lo, 7, v89
	v_cndmask_b32_e64 v94, v108, v104, s4
	v_cndmask_b32_e64 v92, v92, v101, s9
	v_lshrrev_b32_e32 v108, 16, v101
	v_cndmask_b32_e64 v93, v93, v107, s8
	v_cndmask_b32_e32 v74, v74, v80, vcc_lo
	v_cndmask_b32_e64 v94, v94, v98, s7
	v_cndmask_b32_e32 v79, v79, v109, vcc_lo
	v_cndmask_b32_e64 v92, v92, v108, s10
	v_cndmask_b32_e64 v78, v78, v80, s27
	;; [unrolled: 1-line block ×4, first 2 shown]
	v_perm_b32 v94, v79, v74, 0x5040100
	v_cndmask_b32_e64 v79, v92, v102, s12
	v_perm_b32 v92, v95, v112, 0x5040100
	v_cndmask_b32_e64 v95, v99, v96, s5
	v_cndmask_b32_e64 v96, v99, v96, s21
	;; [unrolled: 1-line block ×16, first 2 shown]
	v_lshrrev_b32_e32 v109, 16, v105
	v_cndmask_b32_e64 v95, v95, v101, s20
	v_cndmask_b32_e64 v96, v96, v101, s26
	;; [unrolled: 1-line block ×6, first 2 shown]
	v_lshrrev_b32_e32 v80, 16, v102
	v_cndmask_b32_e64 v113, v93, v109, s10
	v_cndmask_b32_e64 v95, v95, v108, s22
	;; [unrolled: 1-line block ×6, first 2 shown]
	v_perm_b32 v93, v91, v78, 0x5040100
	v_cndmask_b32_e64 v74, v74, v102, s16
	v_cndmask_b32_e64 v78, v79, v80, s15
	;; [unrolled: 1-line block ×3, first 2 shown]
	v_lshrrev_b32_e32 v91, 16, v106
	v_cndmask_b32_e64 v95, v95, v102, s24
	v_cndmask_b32_e64 v96, v96, v102, s29
	;; [unrolled: 1-line block ×7, first 2 shown]
	v_cndmask_b32_e32 v80, v96, v80, vcc_lo
	v_cndmask_b32_e32 v96, v98, v91, vcc_lo
	v_cndmask_b32_e64 v99, v99, v91, s27
	v_cndmask_b32_e64 v100, v97, v91, s18
	;; [unrolled: 1-line block ×3, first 2 shown]
	v_perm_b32 v91, v111, v110, 0x5040100
	v_perm_b32 v98, v96, v80, 0x5040100
	;; [unrolled: 1-line block ×5, first 2 shown]
	s_mul_i32 s8, s35, 5
	s_mov_b32 s3, exec_lo
	ds_store_b128 v77, v[91:94]
	ds_store_b128 v77, v[95:98] offset:1024
	v_cmpx_gt_u32_e32 5, v0
	s_cbranch_execz .LBB694_80
; %bb.79:
	s_mul_i32 s4, s8, s30
	s_delay_alu instid0(SALU_CYCLE_1) | instskip(SKIP_1) | instid1(VALU_DEP_1)
	v_add3_u32 v77, s4, s31, v73
	s_load_b128 s[4:7], s[0:1], 0x58
	v_mad_u64_u32 v[73:74], null, v77, s34, s[14:15]
	s_delay_alu instid0(VALU_DEP_1) | instskip(NEXT) | instid1(VALU_DEP_1)
	v_ashrrev_i32_e32 v74, 31, v73
	v_lshlrev_b64 v[73:74], 2, v[73:74]
	s_waitcnt lgkmcnt(0)
	s_delay_alu instid0(VALU_DEP_1) | instskip(NEXT) | instid1(VALU_DEP_2)
	v_add_co_u32 v77, vcc_lo, s6, v73
	v_add_co_ci_u32_e32 v78, vcc_lo, s7, v74, vcc_lo
	v_add_co_u32 v73, vcc_lo, s4, v73
	v_add_co_ci_u32_e32 v74, vcc_lo, s5, v74, vcc_lo
	global_store_b32 v[77:78], v75, off
	global_store_b32 v[73:74], v76, off
.LBB694_80:
	s_or_b32 exec_lo, exec_lo, s3
	s_waitcnt lgkmcnt(0)
	s_waitcnt_vscnt null, 0x0
	s_barrier
	buffer_gl0_inv
	ds_load_b128 v[91:94], v85
	ds_load_b128 v[95:98], v85 offset:16
	ds_load_b128 v[103:106], v85 offset:1040
	;; [unrolled: 1-line block ×3, first 2 shown]
	v_mov_b32_e32 v73, 0
	ds_load_b128 v[111:114], v85 offset:2064
	ds_load_b128 v[107:110], v85 offset:2048
	;; [unrolled: 1-line block ×6, first 2 shown]
	v_mov_b32_e32 v74, v73
	v_mov_b32_e32 v75, v73
	;; [unrolled: 1-line block ×7, first 2 shown]
	s_waitcnt lgkmcnt(8)
	s_delay_alu instid0(VALU_DEP_1)
	v_wmma_f32_16x16x16_bf16 v[73:80], v[65:72], v[91:98], v[73:80]
	ds_load_b128 v[69:72], v85 offset:5136
	ds_load_b128 v[65:68], v85 offset:5120
	;; [unrolled: 1-line block ×4, first 2 shown]
	s_waitcnt lgkmcnt(10)
	v_wmma_f32_16x16x16_bf16 v[73:80], v[57:64], v[99:106], v[73:80]
	s_waitcnt lgkmcnt(8)
	s_delay_alu instid0(VALU_DEP_1)
	v_wmma_f32_16x16x16_bf16 v[73:80], v[57:64], v[107:114], v[73:80]
	ds_load_b128 v[61:64], v85 offset:7184
	ds_load_b128 v[57:60], v85 offset:7168
	;; [unrolled: 1-line block ×4, first 2 shown]
	s_waitcnt lgkmcnt(10)
	v_wmma_f32_16x16x16_bf16 v[73:80], v[49:56], v[115:122], v[73:80]
	s_waitcnt lgkmcnt(8)
	s_delay_alu instid0(VALU_DEP_1)
	v_wmma_f32_16x16x16_bf16 v[73:80], v[49:56], v[123:130], v[73:80]
	ds_load_b128 v[53:56], v85 offset:9232
	ds_load_b128 v[49:52], v85 offset:9216
	s_waitcnt lgkmcnt(8)
	v_wmma_f32_16x16x16_bf16 v[73:80], v[41:48], v[65:72], v[73:80]
	ds_load_b128 v[69:72], v85 offset:10256
	ds_load_b128 v[65:68], v85 offset:10240
	s_waitcnt lgkmcnt(8)
	;; [unrolled: 4-line block ×3, first 2 shown]
	v_wmma_f32_16x16x16_bf16 v[73:80], v[9:16], v[57:64], v[73:80]
	s_waitcnt lgkmcnt(6)
	s_delay_alu instid0(VALU_DEP_1)
	v_wmma_f32_16x16x16_bf16 v[73:80], v[9:16], v[99:106], v[73:80]
	ds_load_b128 v[13:16], v85 offset:12304
	ds_load_b128 v[9:12], v85 offset:12288
	s_waitcnt lgkmcnt(6)
	v_wmma_f32_16x16x16_bf16 v[73:80], v[1:8], v[49:56], v[73:80]
	ds_load_b128 v[53:56], v85 offset:13328
	ds_load_b128 v[49:52], v85 offset:13312
	s_waitcnt lgkmcnt(6)
	;; [unrolled: 4-line block ×4, first 2 shown]
	v_wmma_f32_16x16x16_bf16 v[73:80], v[33:40], v[9:16], v[73:80]
	s_waitcnt lgkmcnt(4)
	s_delay_alu instid0(VALU_DEP_1) | instskip(SKIP_1) | instid1(VALU_DEP_1)
	v_wmma_f32_16x16x16_bf16 v[73:80], v[25:32], v[49:56], v[73:80]
	s_waitcnt lgkmcnt(2)
	v_wmma_f32_16x16x16_bf16 v[73:80], v[25:32], v[1:8], v[73:80]
	s_waitcnt lgkmcnt(0)
	s_delay_alu instid0(VALU_DEP_1) | instskip(NEXT) | instid1(VALU_DEP_1)
	v_wmma_f32_16x16x16_bf16 v[73:80], v[17:24], v[41:48], v[73:80]
	v_and_b32_e32 v1, 0x7f800000, v73
	s_delay_alu instid0(VALU_DEP_1) | instskip(SKIP_1) | instid1(SALU_CYCLE_1)
	v_cmp_ne_u32_e32 vcc_lo, 0x7f800000, v1
                                        ; implicit-def: $vgpr1
	s_and_saveexec_b32 s3, vcc_lo
	s_xor_b32 s3, exec_lo, s3
; %bb.81:
	v_bfe_u32 v1, v73, 16, 1
	s_delay_alu instid0(VALU_DEP_1)
	v_add3_u32 v1, v73, v1, 0x7fff
; %bb.82:
	s_and_not1_saveexec_b32 s3, s3
; %bb.83:
	v_and_b32_e32 v1, 0xffff, v73
	v_or_b32_e32 v2, 0x10000, v73
	s_delay_alu instid0(VALU_DEP_2) | instskip(NEXT) | instid1(VALU_DEP_2)
	v_cmp_eq_u32_e32 vcc_lo, 0, v1
	v_cndmask_b32_e32 v1, v2, v73, vcc_lo
; %bb.84:
	s_or_b32 exec_lo, exec_lo, s3
	v_and_b32_e32 v2, 0x7f800000, v74
	s_delay_alu instid0(VALU_DEP_1) | instskip(SKIP_1) | instid1(SALU_CYCLE_1)
	v_cmp_ne_u32_e32 vcc_lo, 0x7f800000, v2
                                        ; implicit-def: $vgpr2
	s_and_saveexec_b32 s3, vcc_lo
	s_xor_b32 s3, exec_lo, s3
; %bb.85:
	v_bfe_u32 v2, v74, 16, 1
	s_delay_alu instid0(VALU_DEP_1)
	v_add3_u32 v2, v74, v2, 0x7fff
; %bb.86:
	s_and_not1_saveexec_b32 s3, s3
; %bb.87:
	v_and_b32_e32 v2, 0xffff, v74
	v_or_b32_e32 v3, 0x10000, v74
	s_delay_alu instid0(VALU_DEP_2) | instskip(NEXT) | instid1(VALU_DEP_2)
	v_cmp_eq_u32_e32 vcc_lo, 0, v2
	v_cndmask_b32_e32 v2, v3, v74, vcc_lo
; %bb.88:
	s_or_b32 exec_lo, exec_lo, s3
	v_and_b32_e32 v3, 0x7f800000, v75
	s_delay_alu instid0(VALU_DEP_1) | instskip(SKIP_1) | instid1(SALU_CYCLE_1)
	v_cmp_ne_u32_e32 vcc_lo, 0x7f800000, v3
                                        ; implicit-def: $vgpr3
	s_and_saveexec_b32 s3, vcc_lo
	s_xor_b32 s3, exec_lo, s3
; %bb.89:
	v_bfe_u32 v3, v75, 16, 1
	s_delay_alu instid0(VALU_DEP_1)
	v_add3_u32 v3, v75, v3, 0x7fff
; %bb.90:
	s_and_not1_saveexec_b32 s3, s3
; %bb.91:
	v_and_b32_e32 v3, 0xffff, v75
	v_or_b32_e32 v4, 0x10000, v75
	s_delay_alu instid0(VALU_DEP_2) | instskip(NEXT) | instid1(VALU_DEP_2)
	v_cmp_eq_u32_e32 vcc_lo, 0, v3
	v_cndmask_b32_e32 v3, v4, v75, vcc_lo
; %bb.92:
	s_or_b32 exec_lo, exec_lo, s3
	v_and_b32_e32 v4, 0x7f800000, v76
	s_delay_alu instid0(VALU_DEP_1) | instskip(SKIP_1) | instid1(SALU_CYCLE_1)
	v_cmp_ne_u32_e32 vcc_lo, 0x7f800000, v4
                                        ; implicit-def: $vgpr4
	s_and_saveexec_b32 s3, vcc_lo
	s_xor_b32 s3, exec_lo, s3
; %bb.93:
	v_bfe_u32 v4, v76, 16, 1
	s_delay_alu instid0(VALU_DEP_1)
	v_add3_u32 v4, v76, v4, 0x7fff
; %bb.94:
	s_and_not1_saveexec_b32 s3, s3
; %bb.95:
	v_and_b32_e32 v4, 0xffff, v76
	v_or_b32_e32 v5, 0x10000, v76
	s_delay_alu instid0(VALU_DEP_2) | instskip(NEXT) | instid1(VALU_DEP_2)
	v_cmp_eq_u32_e32 vcc_lo, 0, v4
	v_cndmask_b32_e32 v4, v5, v76, vcc_lo
; %bb.96:
	s_or_b32 exec_lo, exec_lo, s3
	v_and_b32_e32 v5, 0x7f800000, v77
	s_delay_alu instid0(VALU_DEP_1) | instskip(SKIP_1) | instid1(SALU_CYCLE_1)
	v_cmp_ne_u32_e32 vcc_lo, 0x7f800000, v5
                                        ; implicit-def: $vgpr5
	s_and_saveexec_b32 s3, vcc_lo
	s_xor_b32 s3, exec_lo, s3
; %bb.97:
	v_bfe_u32 v5, v77, 16, 1
	s_delay_alu instid0(VALU_DEP_1)
	v_add3_u32 v5, v77, v5, 0x7fff
; %bb.98:
	s_and_not1_saveexec_b32 s3, s3
; %bb.99:
	v_and_b32_e32 v5, 0xffff, v77
	v_or_b32_e32 v6, 0x10000, v77
	s_delay_alu instid0(VALU_DEP_2) | instskip(NEXT) | instid1(VALU_DEP_2)
	v_cmp_eq_u32_e32 vcc_lo, 0, v5
	v_cndmask_b32_e32 v5, v6, v77, vcc_lo
; %bb.100:
	s_or_b32 exec_lo, exec_lo, s3
	v_and_b32_e32 v6, 0x7f800000, v78
	s_delay_alu instid0(VALU_DEP_1) | instskip(SKIP_1) | instid1(SALU_CYCLE_1)
	v_cmp_ne_u32_e32 vcc_lo, 0x7f800000, v6
                                        ; implicit-def: $vgpr6
	s_and_saveexec_b32 s3, vcc_lo
	s_xor_b32 s3, exec_lo, s3
; %bb.101:
	v_bfe_u32 v6, v78, 16, 1
	s_delay_alu instid0(VALU_DEP_1)
	v_add3_u32 v6, v78, v6, 0x7fff
; %bb.102:
	s_and_not1_saveexec_b32 s3, s3
; %bb.103:
	v_and_b32_e32 v6, 0xffff, v78
	v_or_b32_e32 v7, 0x10000, v78
	s_delay_alu instid0(VALU_DEP_2) | instskip(NEXT) | instid1(VALU_DEP_2)
	v_cmp_eq_u32_e32 vcc_lo, 0, v6
	v_cndmask_b32_e32 v6, v7, v78, vcc_lo
; %bb.104:
	s_or_b32 exec_lo, exec_lo, s3
	v_and_b32_e32 v7, 0x7f800000, v79
	s_delay_alu instid0(VALU_DEP_1) | instskip(SKIP_1) | instid1(SALU_CYCLE_1)
	v_cmp_ne_u32_e32 vcc_lo, 0x7f800000, v7
                                        ; implicit-def: $vgpr7
	s_and_saveexec_b32 s3, vcc_lo
	s_xor_b32 s3, exec_lo, s3
; %bb.105:
	v_bfe_u32 v7, v79, 16, 1
	s_delay_alu instid0(VALU_DEP_1)
	v_add3_u32 v7, v79, v7, 0x7fff
; %bb.106:
	s_and_not1_saveexec_b32 s3, s3
; %bb.107:
	v_and_b32_e32 v7, 0xffff, v79
	v_or_b32_e32 v8, 0x10000, v79
	s_delay_alu instid0(VALU_DEP_2) | instskip(NEXT) | instid1(VALU_DEP_2)
	v_cmp_eq_u32_e32 vcc_lo, 0, v7
	v_cndmask_b32_e32 v7, v8, v79, vcc_lo
; %bb.108:
	s_or_b32 exec_lo, exec_lo, s3
	v_and_b32_e32 v8, 0x7f800000, v80
	s_delay_alu instid0(VALU_DEP_1) | instskip(SKIP_1) | instid1(SALU_CYCLE_1)
	v_cmp_ne_u32_e32 vcc_lo, 0x7f800000, v8
                                        ; implicit-def: $vgpr8
	s_and_saveexec_b32 s3, vcc_lo
	s_xor_b32 s3, exec_lo, s3
; %bb.109:
	v_bfe_u32 v8, v80, 16, 1
	s_delay_alu instid0(VALU_DEP_1)
	v_add3_u32 v8, v80, v8, 0x7fff
                                        ; implicit-def: $vgpr73_vgpr74_vgpr75_vgpr76_vgpr77_vgpr78_vgpr79_vgpr80
; %bb.110:
	s_and_not1_saveexec_b32 s3, s3
; %bb.111:
	v_and_b32_e32 v8, 0xffff, v80
	v_or_b32_e32 v9, 0x10000, v80
	s_delay_alu instid0(VALU_DEP_2) | instskip(NEXT) | instid1(VALU_DEP_2)
	v_cmp_eq_u32_e32 vcc_lo, 0, v8
	v_cndmask_b32_e32 v8, v9, v80, vcc_lo
; %bb.112:
	s_or_b32 exec_lo, exec_lo, s3
	s_delay_alu instid0(VALU_DEP_1)
	v_perm_b32 v7, v8, v7, 0x7060302
	v_perm_b32 v6, v6, v5, 0x7060302
	;; [unrolled: 1-line block ×4, first 2 shown]
	v_lshl_or_b32 v9, v83, 4, v90
	s_barrier
	buffer_gl0_inv
	v_cmp_eq_u32_e32 vcc_lo, 1, v87
	ds_store_b128 v9, v[4:7]
	s_waitcnt lgkmcnt(0)
	s_barrier
	buffer_gl0_inv
	ds_load_b128 v[1:4], v90
	ds_load_b128 v[5:8], v90 offset:16
	v_cmp_eq_u32_e64 s4, 2, v87
	v_cmp_eq_u32_e64 s3, 1, v88
	;; [unrolled: 1-line block ×5, first 2 shown]
	s_waitcnt lgkmcnt(1)
	v_lshrrev_b32_e32 v10, 16, v1
	s_waitcnt lgkmcnt(0)
	v_lshrrev_b32_e32 v14, 16, v5
	v_lshrrev_b32_e32 v15, 16, v6
	;; [unrolled: 1-line block ×4, first 2 shown]
	v_cndmask_b32_e64 v20, v1, v10, s3
	v_cndmask_b32_e32 v19, v5, v14, vcc_lo
	v_cndmask_b32_e64 v21, v5, v14, s3
	v_lshrrev_b32_e32 v16, 16, v7
	v_cmp_eq_u32_e64 s3, 1, v86
	v_lshrrev_b32_e32 v13, 16, v4
	v_cndmask_b32_e64 v19, v19, v6, s4
	v_lshrrev_b32_e32 v17, 16, v8
	s_delay_alu instid0(VALU_DEP_4) | instskip(SKIP_1) | instid1(VALU_DEP_4)
	v_cndmask_b32_e64 v22, v1, v10, s3
	v_cndmask_b32_e64 v23, v5, v14, s3
	;; [unrolled: 1-line block ×3, first 2 shown]
	v_cndmask_b32_e32 v18, v1, v10, vcc_lo
	v_cmp_eq_u32_e32 vcc_lo, 2, v88
	v_cmp_eq_u32_e64 s3, 2, v89
	v_cndmask_b32_e64 v22, v22, v2, s7
	v_cndmask_b32_e32 v20, v20, v2, vcc_lo
	v_cndmask_b32_e32 v21, v21, v6, vcc_lo
	v_cmp_eq_u32_e32 vcc_lo, 4, v87
	v_cndmask_b32_e32 v19, v19, v7, vcc_lo
	v_cndmask_b32_e64 v18, v18, v2, s4
	v_cmp_eq_u32_e64 s4, 3, v88
	s_delay_alu instid0(VALU_DEP_2) | instskip(NEXT) | instid1(VALU_DEP_2)
	v_cndmask_b32_e64 v18, v18, v11, s5
	v_cndmask_b32_e64 v21, v21, v15, s4
	v_cmp_eq_u32_e64 s5, 5, v87
	s_delay_alu instid0(VALU_DEP_3) | instskip(SKIP_1) | instid1(VALU_DEP_3)
	v_cndmask_b32_e32 v18, v18, v3, vcc_lo
	v_cmp_eq_u32_e32 vcc_lo, 4, v88
	v_cndmask_b32_e64 v19, v19, v16, s5
	s_delay_alu instid0(VALU_DEP_3) | instskip(SKIP_4) | instid1(VALU_DEP_3)
	v_cndmask_b32_e64 v18, v18, v12, s5
	v_cndmask_b32_e32 v21, v21, v7, vcc_lo
	v_cndmask_b32_e64 v20, v20, v11, s4
	v_cmp_eq_u32_e64 s4, 5, v88
	v_cmp_eq_u32_e64 s5, 6, v87
	v_cndmask_b32_e32 v20, v20, v3, vcc_lo
	s_delay_alu instid0(VALU_DEP_3) | instskip(SKIP_1) | instid1(VALU_DEP_4)
	v_cndmask_b32_e64 v21, v21, v16, s4
	v_cmp_eq_u32_e32 vcc_lo, 6, v88
	v_cndmask_b32_e64 v18, v18, v4, s5
	v_cndmask_b32_e64 v19, v19, v8, s5
	;; [unrolled: 1-line block ×3, first 2 shown]
	v_cmp_eq_u32_e64 s4, 1, v89
	v_cmp_eq_u32_e64 s5, 7, v87
	s_delay_alu instid0(VALU_DEP_3) | instskip(NEXT) | instid1(VALU_DEP_3)
	v_cndmask_b32_e32 v20, v20, v4, vcc_lo
	v_cndmask_b32_e64 v1, v1, v10, s4
	v_cndmask_b32_e64 v5, v5, v14, s4
	v_cmp_eq_u32_e64 s4, 3, v86
	v_cndmask_b32_e64 v14, v23, v6, s7
	v_cmp_eq_u32_e64 s7, 3, v89
	v_cndmask_b32_e64 v1, v1, v2, s3
	v_cndmask_b32_e64 v2, v5, v6, s3
	v_cndmask_b32_e64 v10, v22, v11, s4
	v_cmp_eq_u32_e64 s3, 4, v86
	v_cndmask_b32_e64 v6, v14, v15, s4
	v_cndmask_b32_e64 v1, v1, v11, s7
	v_cmp_eq_u32_e64 s4, 4, v89
	v_cndmask_b32_e64 v2, v2, v15, s7
	v_cndmask_b32_e64 v5, v10, v3, s3
	;; [unrolled: 3-line block ×3, first 2 shown]
	v_cndmask_b32_e64 v2, v2, v7, s4
	v_cmp_eq_u32_e64 s3, 5, v89
	v_cndmask_b32_e64 v5, v5, v12, s7
	v_cmp_eq_u32_e64 s4, 6, v86
	v_cndmask_b32_e64 v3, v6, v16, s7
	v_cmp_eq_u32_e64 s7, 6, v89
	v_cndmask_b32_e64 v1, v1, v12, s3
	v_cndmask_b32_e64 v2, v2, v16, s3
	;; [unrolled: 1-line block ×4, first 2 shown]
	v_cmp_eq_u32_e64 s3, 7, v89
	v_cndmask_b32_e64 v1, v1, v4, s7
	v_cndmask_b32_e64 v2, v2, v8, s7
	v_cmp_eq_u32_e64 s4, 7, v86
	v_cndmask_b32_e32 v4, v21, v8, vcc_lo
	v_cndmask_b32_e64 v18, v18, v13, s5
	v_cndmask_b32_e64 v20, v20, v13, s6
	;; [unrolled: 1-line block ×8, first 2 shown]
	s_mov_b32 s3, exec_lo
	v_perm_b32 v4, v2, v1, 0x5040100
	v_perm_b32 v3, v3, v5, 0x5040100
	;; [unrolled: 1-line block ×4, first 2 shown]
	ds_store_b128 v9, v[1:4]
	s_waitcnt lgkmcnt(0)
	s_barrier
	buffer_gl0_inv
	v_cmpx_gt_u32_e32 32, v0
	s_cbranch_execz .LBB694_2
; %bb.113:
	s_load_b64 s[4:5], s[0:1], 0x68
	v_lshlrev_b32_e32 v0, 10, v0
	v_add_nc_u32_e32 v2, s31, v83
	v_lshlrev_b32_e32 v3, 4, v84
	s_lshl_b32 s0, s34, 7
	s_delay_alu instid0(SALU_CYCLE_1) | instskip(NEXT) | instid1(VALU_DEP_2)
	s_mul_i32 s1, s0, s30
	v_mul_lo_u32 v1, v2, s0
	s_delay_alu instid0(VALU_DEP_2) | instskip(SKIP_2) | instid1(SALU_CYCLE_1)
	v_and_or_b32 v0, 0x3800, v0, v3
	v_add_nc_u32_e32 v2, 2, v2
	s_mul_i32 s6, s1, s8
	s_ashr_i32 s7, s6, 31
	s_delay_alu instid0(VALU_DEP_2)
	v_lshl_or_b32 v7, v83, 6, v0
	s_lshl_b64 s[6:7], s[6:7], 1
	v_mul_lo_u32 v11, v2, s0
	v_ashrrev_i32_e32 v2, 31, v1
	ds_load_b128 v[3:6], v7
	ds_load_b128 v[7:10], v7 offset:128
	s_waitcnt lgkmcnt(0)
	s_add_u32 s1, s4, s6
	s_addc_u32 s3, s5, s7
	s_lshl_b32 s4, s14, 7
	v_ashrrev_i32_e32 v12, 31, v11
	s_ashr_i32 s5, s4, 31
	v_lshlrev_b64 v[13:14], 1, v[1:2]
	s_lshl_b64 s[4:5], s[4:5], 1
	s_delay_alu instid0(SALU_CYCLE_1) | instskip(SKIP_4) | instid1(VALU_DEP_3)
	s_add_u32 s1, s1, s4
	s_addc_u32 s3, s3, s5
	v_add_co_u32 v1, vcc_lo, s1, v81
	v_add_co_ci_u32_e32 v2, vcc_lo, s3, v82, vcc_lo
	v_lshlrev_b64 v[11:12], 1, v[11:12]
	v_add_co_u32 v13, vcc_lo, v1, v13
	s_delay_alu instid0(VALU_DEP_3) | instskip(NEXT) | instid1(VALU_DEP_3)
	v_add_co_ci_u32_e32 v14, vcc_lo, v2, v14, vcc_lo
	v_add_co_u32 v11, vcc_lo, v1, v11
	s_delay_alu instid0(VALU_DEP_4)
	v_add_co_ci_u32_e32 v12, vcc_lo, v2, v12, vcc_lo
	s_clause 0x1
	global_store_b128 v[13:14], v[3:6], off
	global_store_b128 v[11:12], v[7:10], off
	s_and_b32 exec_lo, exec_lo, s2
	s_cbranch_execz .LBB694_2
; %bb.114:
	ds_load_b128 v[3:6], v0 offset:256
	s_add_i32 s1, s31, 4
	s_delay_alu instid0(SALU_CYCLE_1) | instskip(NEXT) | instid1(SALU_CYCLE_1)
	s_mul_i32 s0, s1, s0
	s_ashr_i32 s1, s0, 31
	s_delay_alu instid0(SALU_CYCLE_1) | instskip(NEXT) | instid1(SALU_CYCLE_1)
	s_lshl_b64 s[0:1], s[0:1], 1
	v_add_co_u32 v0, vcc_lo, v1, s0
	v_add_co_ci_u32_e32 v1, vcc_lo, s1, v2, vcc_lo
	s_waitcnt lgkmcnt(0)
	global_store_b128 v[0:1], v[3:6], off
	s_nop 0
	s_sendmsg sendmsg(MSG_DEALLOC_VGPRS)
	s_endpgm
	.section	.rodata,"a",@progbits
	.p2align	6, 0x0
	.amdhsa_kernel _Z39paged_attention_ll4mi_QKV_mfma16_kernelI14__hip_bfloat16S0_LN4vllm18Fp8KVCacheDataTypeE0EhLi32ELi128ELi256ELb1ELi5EL8MFMAType0EEvPKT_PKT0_S9_ifPKiSB_SB_iPKfiiiPfSE_PS4_PT2_iSD_SD_
		.amdhsa_group_segment_fixed_size 17472
		.amdhsa_private_segment_fixed_size 0
		.amdhsa_kernarg_size 400
		.amdhsa_user_sgpr_count 13
		.amdhsa_user_sgpr_dispatch_ptr 0
		.amdhsa_user_sgpr_queue_ptr 0
		.amdhsa_user_sgpr_kernarg_segment_ptr 1
		.amdhsa_user_sgpr_dispatch_id 0
		.amdhsa_user_sgpr_private_segment_size 0
		.amdhsa_wavefront_size32 1
		.amdhsa_uses_dynamic_stack 0
		.amdhsa_enable_private_segment 0
		.amdhsa_system_sgpr_workgroup_id_x 1
		.amdhsa_system_sgpr_workgroup_id_y 1
		.amdhsa_system_sgpr_workgroup_id_z 1
		.amdhsa_system_sgpr_workgroup_info 0
		.amdhsa_system_vgpr_workitem_id 0
		.amdhsa_next_free_vgpr 157
		.amdhsa_next_free_sgpr 37
		.amdhsa_reserve_vcc 1
		.amdhsa_float_round_mode_32 0
		.amdhsa_float_round_mode_16_64 0
		.amdhsa_float_denorm_mode_32 3
		.amdhsa_float_denorm_mode_16_64 3
		.amdhsa_dx10_clamp 1
		.amdhsa_ieee_mode 1
		.amdhsa_fp16_overflow 0
		.amdhsa_workgroup_processor_mode 1
		.amdhsa_memory_ordered 1
		.amdhsa_forward_progress 0
		.amdhsa_shared_vgpr_count 0
		.amdhsa_exception_fp_ieee_invalid_op 0
		.amdhsa_exception_fp_denorm_src 0
		.amdhsa_exception_fp_ieee_div_zero 0
		.amdhsa_exception_fp_ieee_overflow 0
		.amdhsa_exception_fp_ieee_underflow 0
		.amdhsa_exception_fp_ieee_inexact 0
		.amdhsa_exception_int_div_zero 0
	.end_amdhsa_kernel
	.section	.text._Z39paged_attention_ll4mi_QKV_mfma16_kernelI14__hip_bfloat16S0_LN4vllm18Fp8KVCacheDataTypeE0EhLi32ELi128ELi256ELb1ELi5EL8MFMAType0EEvPKT_PKT0_S9_ifPKiSB_SB_iPKfiiiPfSE_PS4_PT2_iSD_SD_,"axG",@progbits,_Z39paged_attention_ll4mi_QKV_mfma16_kernelI14__hip_bfloat16S0_LN4vllm18Fp8KVCacheDataTypeE0EhLi32ELi128ELi256ELb1ELi5EL8MFMAType0EEvPKT_PKT0_S9_ifPKiSB_SB_iPKfiiiPfSE_PS4_PT2_iSD_SD_,comdat
.Lfunc_end694:
	.size	_Z39paged_attention_ll4mi_QKV_mfma16_kernelI14__hip_bfloat16S0_LN4vllm18Fp8KVCacheDataTypeE0EhLi32ELi128ELi256ELb1ELi5EL8MFMAType0EEvPKT_PKT0_S9_ifPKiSB_SB_iPKfiiiPfSE_PS4_PT2_iSD_SD_, .Lfunc_end694-_Z39paged_attention_ll4mi_QKV_mfma16_kernelI14__hip_bfloat16S0_LN4vllm18Fp8KVCacheDataTypeE0EhLi32ELi128ELi256ELb1ELi5EL8MFMAType0EEvPKT_PKT0_S9_ifPKiSB_SB_iPKfiiiPfSE_PS4_PT2_iSD_SD_
                                        ; -- End function
	.section	.AMDGPU.csdata,"",@progbits
; Kernel info:
; codeLenInByte = 9724
; NumSgprs: 39
; NumVgprs: 157
; ScratchSize: 0
; MemoryBound: 0
; FloatMode: 240
; IeeeMode: 1
; LDSByteSize: 17472 bytes/workgroup (compile time only)
; SGPRBlocks: 4
; VGPRBlocks: 19
; NumSGPRsForWavesPerEU: 39
; NumVGPRsForWavesPerEU: 157
; Occupancy: 9
; WaveLimiterHint : 1
; COMPUTE_PGM_RSRC2:SCRATCH_EN: 0
; COMPUTE_PGM_RSRC2:USER_SGPR: 13
; COMPUTE_PGM_RSRC2:TRAP_HANDLER: 0
; COMPUTE_PGM_RSRC2:TGID_X_EN: 1
; COMPUTE_PGM_RSRC2:TGID_Y_EN: 1
; COMPUTE_PGM_RSRC2:TGID_Z_EN: 1
; COMPUTE_PGM_RSRC2:TIDIG_COMP_CNT: 0
	.section	.text._Z39paged_attention_ll4mi_QKV_mfma16_kernelI14__hip_bfloat16S0_LN4vllm18Fp8KVCacheDataTypeE0EhLi32ELi128ELi256ELb1ELi6EL8MFMAType0EEvPKT_PKT0_S9_ifPKiSB_SB_iPKfiiiPfSE_PS4_PT2_iSD_SD_,"axG",@progbits,_Z39paged_attention_ll4mi_QKV_mfma16_kernelI14__hip_bfloat16S0_LN4vllm18Fp8KVCacheDataTypeE0EhLi32ELi128ELi256ELb1ELi6EL8MFMAType0EEvPKT_PKT0_S9_ifPKiSB_SB_iPKfiiiPfSE_PS4_PT2_iSD_SD_,comdat
	.protected	_Z39paged_attention_ll4mi_QKV_mfma16_kernelI14__hip_bfloat16S0_LN4vllm18Fp8KVCacheDataTypeE0EhLi32ELi128ELi256ELb1ELi6EL8MFMAType0EEvPKT_PKT0_S9_ifPKiSB_SB_iPKfiiiPfSE_PS4_PT2_iSD_SD_ ; -- Begin function _Z39paged_attention_ll4mi_QKV_mfma16_kernelI14__hip_bfloat16S0_LN4vllm18Fp8KVCacheDataTypeE0EhLi32ELi128ELi256ELb1ELi6EL8MFMAType0EEvPKT_PKT0_S9_ifPKiSB_SB_iPKfiiiPfSE_PS4_PT2_iSD_SD_
	.globl	_Z39paged_attention_ll4mi_QKV_mfma16_kernelI14__hip_bfloat16S0_LN4vllm18Fp8KVCacheDataTypeE0EhLi32ELi128ELi256ELb1ELi6EL8MFMAType0EEvPKT_PKT0_S9_ifPKiSB_SB_iPKfiiiPfSE_PS4_PT2_iSD_SD_
	.p2align	8
	.type	_Z39paged_attention_ll4mi_QKV_mfma16_kernelI14__hip_bfloat16S0_LN4vllm18Fp8KVCacheDataTypeE0EhLi32ELi128ELi256ELb1ELi6EL8MFMAType0EEvPKT_PKT0_S9_ifPKiSB_SB_iPKfiiiPfSE_PS4_PT2_iSD_SD_,@function
_Z39paged_attention_ll4mi_QKV_mfma16_kernelI14__hip_bfloat16S0_LN4vllm18Fp8KVCacheDataTypeE0EhLi32ELi128ELi256ELb1ELi6EL8MFMAType0EEvPKT_PKT0_S9_ifPKiSB_SB_iPKfiiiPfSE_PS4_PT2_iSD_SD_: ; @_Z39paged_attention_ll4mi_QKV_mfma16_kernelI14__hip_bfloat16S0_LN4vllm18Fp8KVCacheDataTypeE0EhLi32ELi128ELi256ELb1ELi6EL8MFMAType0EEvPKT_PKT0_S9_ifPKiSB_SB_iPKfiiiPfSE_PS4_PT2_iSD_SD_
; %bb.0:
	s_load_b64 s[2:3], s[0:1], 0x30
	s_mov_b32 s30, s13
	s_waitcnt lgkmcnt(0)
	s_cmp_lg_u64 s[2:3], 0
	s_cselect_b32 s6, -1, 0
	s_ashr_i32 s31, s13, 31
	s_cmp_eq_u64 s[2:3], 0
	s_cbranch_scc1 .LBB695_3
; %bb.1:
	s_lshl_b64 s[4:5], s[30:31], 2
	s_delay_alu instid0(SALU_CYCLE_1) | instskip(SKIP_4) | instid1(SALU_CYCLE_1)
	s_add_u32 s4, s2, s4
	s_addc_u32 s5, s3, s5
	s_load_b64 s[4:5], s[4:5], 0x0
	s_waitcnt lgkmcnt(0)
	s_sub_i32 s4, s5, s4
	s_cmp_eq_u32 s4, 1
	s_cselect_b32 s4, -1, 0
	s_delay_alu instid0(SALU_CYCLE_1)
	s_and_not1_b32 vcc_lo, exec_lo, s4
	s_cbranch_vccz .LBB695_4
.LBB695_2:
	s_endpgm
.LBB695_3:
.LBB695_4:
	s_load_b64 s[8:9], s[0:1], 0x28
	s_lshl_b64 s[4:5], s[30:31], 2
	s_waitcnt lgkmcnt(0)
	s_add_u32 s8, s8, s4
	s_addc_u32 s9, s9, s5
	s_lshl_b32 s12, s14, 8
	s_load_b32 s17, s[8:9], 0x0
	s_waitcnt lgkmcnt(0)
	s_cmp_ge_i32 s12, s17
	s_cbranch_scc1 .LBB695_2
; %bb.5:
	s_and_not1_b32 vcc_lo, exec_lo, s6
	s_cbranch_vccnz .LBB695_7
; %bb.6:
	s_add_u32 s2, s2, s4
	s_addc_u32 s3, s3, s5
	s_load_b32 s13, s[2:3], 0x0
	s_branch .LBB695_8
.LBB695_7:
	s_mov_b32 s13, s30
.LBB695_8:
	s_clause 0x2
	s_load_b128 s[8:11], s[0:1], 0x8
	s_load_b64 s[2:3], s[0:1], 0x20
	s_load_b128 s[4:7], s[0:1], 0x48
	v_and_b32_e32 v73, 15, v0
	s_waitcnt lgkmcnt(0)
	s_mov_b32 s7, exec_lo
	s_delay_alu instid0(VALU_DEP_1)
	v_lshlrev_b32_e32 v1, 3, v73
	v_cmpx_lt_u32_e32 0x5f, v0
	s_xor_b32 s7, exec_lo, s7
; %bb.9:
	v_mov_b32_e32 v2, 0
; %bb.10:
	s_or_saveexec_b32 s7, s7
	v_lshrrev_b32_e32 v74, 5, v0
	v_and_b32_e32 v75, 31, v0
	v_and_b32_e32 v84, 1, v0
	v_bfe_u32 v83, v0, 4, 1
	s_mul_i32 s29, s15, 6
	s_xor_b32 exec_lo, exec_lo, s7
	s_cbranch_execz .LBB695_12
; %bb.11:
	s_load_b64 s[18:19], s[0:1], 0x0
	v_lshl_or_b32 v7, v74, 1, v83
	s_mul_hi_i32 s21, s13, s4
	s_mul_i32 s20, s13, s4
	v_lshlrev_b32_e32 v4, 1, v1
	s_lshl_b64 s[20:21], s[20:21], 1
	v_add_lshl_u32 v2, v7, s29, 7
	v_lshlrev_b32_e32 v7, 6, v7
	v_lshlrev_b32_e32 v8, 10, v84
	s_delay_alu instid0(VALU_DEP_3) | instskip(NEXT) | instid1(VALU_DEP_1)
	v_ashrrev_i32_e32 v3, 31, v2
	v_lshlrev_b64 v[2:3], 1, v[2:3]
	s_waitcnt lgkmcnt(0)
	s_add_u32 s4, s18, s20
	s_addc_u32 s13, s19, s21
	s_delay_alu instid0(VALU_DEP_1) | instskip(NEXT) | instid1(VALU_DEP_2)
	v_add_co_u32 v2, vcc_lo, s4, v2
	v_add_co_ci_u32_e32 v3, vcc_lo, s13, v3, vcc_lo
	s_delay_alu instid0(VALU_DEP_2) | instskip(NEXT) | instid1(VALU_DEP_2)
	v_add_co_u32 v2, vcc_lo, v2, v4
	v_add_co_ci_u32_e32 v3, vcc_lo, 0, v3, vcc_lo
	global_load_b128 v[3:6], v[2:3], off
	v_lshlrev_b32_e32 v2, 10, v73
	s_delay_alu instid0(VALU_DEP_1) | instskip(NEXT) | instid1(VALU_DEP_1)
	v_and_b32_e32 v2, 0x3800, v2
	v_or3_b32 v7, v2, v8, v7
	v_mov_b32_e32 v2, 0
	s_waitcnt vmcnt(0)
	ds_store_b128 v7, v[3:6]
.LBB695_12:
	s_or_b32 exec_lo, exec_lo, s7
	v_and_b32_e32 v3, 0xef, v0
	v_mul_lo_u16 v80, v73, 43
	s_add_i32 s4, s17, 31
	s_clause 0x1
	s_load_b32 s7, s[0:1], 0x38
	s_load_b32 s18, s[0:1], 0x1c
	v_add_nc_u32_e32 v3, s12, v3
	v_lshrrev_b16 v80, 8, v80
	s_ashr_i32 s13, s4, 31
	s_waitcnt lgkmcnt(0)
	s_lshr_b32 s13, s13, 27
	v_ashrrev_i32_e32 v4, 31, v3
	v_mul_lo_u16 v80, v80, 6
	s_add_i32 s4, s4, s13
	v_cmp_gt_i32_e32 vcc_lo, s17, v3
	s_ashr_i32 s4, s4, 5
	v_lshrrev_b32_e32 v5, 27, v4
	v_or_b32_e32 v4, 16, v3
	v_sub_nc_u16 v80, v73, v80
	s_add_i32 s4, s4, -1
	s_barrier
	v_add_nc_u32_e32 v6, v3, v5
	v_add_nc_u32_e32 v5, v4, v5
	v_and_b32_e32 v80, 0xff, v80
	s_mul_i32 s20, s30, s7
	buffer_gl0_inv
	v_ashrrev_i32_e32 v6, 5, v6
	v_ashrrev_i32_e32 v5, 5, v5
	s_ashr_i32 s21, s20, 31
	v_lshlrev_b64 v[81:82], 1, v[1:2]
	s_lshl_b64 s[20:21], s[20:21], 2
	v_dual_cndmask_b32 v3, s4, v6 :: v_dual_lshlrev_b32 v80, 6, v80
	v_cmp_gt_i32_e32 vcc_lo, s17, v4
	s_add_u32 s13, s2, s20
	s_addc_u32 s16, s3, s21
	s_delay_alu instid0(VALU_DEP_2) | instskip(SKIP_3) | instid1(SALU_CYCLE_1)
	v_ashrrev_i32_e32 v4, 31, v3
	s_mul_i32 s2, s15, s6
	v_cndmask_b32_e32 v5, s4, v5, vcc_lo
	s_ashr_i32 s3, s2, 31
	s_lshl_b64 s[2:3], s[2:3], 1
	v_lshlrev_b64 v[3:4], 2, v[3:4]
	s_delay_alu instid0(VALU_DEP_2) | instskip(SKIP_3) | instid1(VALU_DEP_1)
	v_ashrrev_i32_e32 v6, 31, v5
	s_add_u32 s15, s8, s2
	s_addc_u32 s19, s9, s3
	s_lshl_b32 s6, s14, 3
	v_lshlrev_b64 v[5:6], 2, v[5:6]
	v_add_co_u32 v3, vcc_lo, s13, v3
	v_add_co_ci_u32_e32 v4, vcc_lo, s16, v4, vcc_lo
	s_ashr_i32 s7, s6, 31
	s_delay_alu instid0(VALU_DEP_3) | instskip(NEXT) | instid1(VALU_DEP_4)
	v_add_co_u32 v5, vcc_lo, s13, v5
	v_add_co_ci_u32_e32 v6, vcc_lo, s16, v6, vcc_lo
	s_clause 0x1
	global_load_b32 v7, v[3:4], off
	global_load_b32 v8, v[5:6], off
	s_lshl_b64 s[6:7], s[6:7], 2
	s_delay_alu instid0(SALU_CYCLE_1) | instskip(SKIP_2) | instid1(SALU_CYCLE_1)
	s_add_u32 s6, s13, s6
	s_addc_u32 s7, s16, s7
	s_or_b32 s8, s12, 32
	s_ashr_i32 s9, s8, 5
	s_cmp_lt_i32 s8, s17
	s_cselect_b32 s8, s9, s4
	s_delay_alu instid0(SALU_CYCLE_1) | instskip(NEXT) | instid1(SALU_CYCLE_1)
	s_ashr_i32 s9, s8, 31
	s_lshl_b64 s[8:9], s[8:9], 2
	s_delay_alu instid0(SALU_CYCLE_1) | instskip(SKIP_2) | instid1(SALU_CYCLE_1)
	s_add_u32 s8, s13, s8
	s_addc_u32 s9, s16, s9
	s_or_b32 s20, s12, 64
	s_ashr_i32 s21, s20, 5
	s_cmp_lt_i32 s20, s17
	s_cselect_b32 s20, s21, s4
	s_delay_alu instid0(SALU_CYCLE_1) | instskip(NEXT) | instid1(SALU_CYCLE_1)
	s_ashr_i32 s21, s20, 31
	;; [unrolled: 10-line block ×5, first 2 shown]
	s_lshl_b64 s[26:27], s[26:27], 2
	s_delay_alu instid0(SALU_CYCLE_1)
	s_add_u32 s26, s13, s26
	s_addc_u32 s27, s16, s27
	s_clause 0x5
	s_load_b32 s28, s[6:7], 0x0
	s_load_b32 s31, s[8:9], 0x0
	;; [unrolled: 1-line block ×6, first 2 shown]
	s_mov_b32 s20, 0
	s_or_b32 s6, s12, 0xc0
	s_mov_b32 s27, s20
	s_mov_b32 s21, s20
	s_mov_b32 s22, s20
	s_mov_b32 s23, s20
	s_mov_b32 s24, s20
	s_mov_b32 s25, s20
	s_mov_b32 s26, s20
	s_delay_alu instid0(SALU_CYCLE_1)
	v_dual_mov_b32 v108, s27 :: v_dual_mov_b32 v107, s26
	v_dual_mov_b32 v106, s25 :: v_dual_mov_b32 v105, s24
	;; [unrolled: 1-line block ×4, first 2 shown]
	s_ashr_i32 s7, s6, 5
	s_cmp_lt_i32 s6, s17
	s_waitcnt lgkmcnt(0)
	s_mul_hi_i32 s27, s34, s5
	s_cselect_b32 s6, s7, s4
	s_mul_i32 s26, s34, s5
	s_ashr_i32 s7, s6, 31
	s_mul_hi_i32 s9, s28, s5
	s_lshl_b64 s[6:7], s[6:7], 2
	s_mul_i32 s8, s28, s5
	s_add_u32 s6, s13, s6
	s_addc_u32 s7, s16, s7
	s_mul_hi_i32 s21, s31, s5
	s_mul_i32 s20, s31, s5
	s_mul_hi_i32 s25, s33, s5
	s_mul_i32 s24, s33, s5
	;; [unrolled: 2-line block ×3, first 2 shown]
	s_waitcnt vmcnt(1)
	v_mad_i64_i32 v[3:4], null, v7, s5, 0
	s_waitcnt vmcnt(0)
	v_mad_i64_i32 v[5:6], null, v8, s5, 0
	s_delay_alu instid0(VALU_DEP_2) | instskip(NEXT) | instid1(VALU_DEP_2)
	v_lshlrev_b64 v[3:4], 1, v[3:4]
	v_lshlrev_b64 v[1:2], 1, v[5:6]
	s_delay_alu instid0(VALU_DEP_2) | instskip(NEXT) | instid1(VALU_DEP_3)
	v_add_co_u32 v3, vcc_lo, s15, v3
	v_add_co_ci_u32_e32 v4, vcc_lo, s19, v4, vcc_lo
	s_delay_alu instid0(VALU_DEP_3) | instskip(NEXT) | instid1(VALU_DEP_4)
	v_add_co_u32 v1, vcc_lo, s15, v1
	v_add_co_ci_u32_e32 v2, vcc_lo, s19, v2, vcc_lo
	s_delay_alu instid0(VALU_DEP_4) | instskip(NEXT) | instid1(VALU_DEP_4)
	v_add_co_u32 v65, vcc_lo, v3, v81
	v_add_co_ci_u32_e32 v66, vcc_lo, v4, v82, vcc_lo
	s_delay_alu instid0(VALU_DEP_4) | instskip(NEXT) | instid1(VALU_DEP_4)
	v_add_co_u32 v76, vcc_lo, v1, v81
	v_add_co_ci_u32_e32 v77, vcc_lo, v2, v82, vcc_lo
	s_clause 0xf
	global_load_b128 v[1:4], v[65:66], off
	global_load_b128 v[5:8], v[65:66], off offset:512
	global_load_b128 v[9:12], v[76:77], off offset:256
	;; [unrolled: 1-line block ×15, first 2 shown]
	v_add_co_u32 v78, vcc_lo, 0x1000, v65
	v_add_co_ci_u32_e32 v79, vcc_lo, 0, v66, vcc_lo
	v_add_co_u32 v76, vcc_lo, 0x1000, v76
	s_clause 0x1
	global_load_b128 v[65:68], v[78:79], off
	global_load_b128 v[69:72], v[78:79], off offset:512
	v_add_co_ci_u32_e32 v77, vcc_lo, 0, v77, vcc_lo
	ds_load_b128 v[85:88], v80
	ds_load_b128 v[89:92], v80 offset:1024
	s_clause 0x1
	global_load_b128 v[93:96], v[76:77], off offset:256
	global_load_b128 v[97:100], v[76:77], off offset:768
	ds_load_b128 v[109:112], v80 offset:2048
	ds_load_b128 v[113:116], v80 offset:3072
	s_or_b32 s15, s12, 0xe0
	s_delay_alu instid0(SALU_CYCLE_1) | instskip(SKIP_2) | instid1(SALU_CYCLE_1)
	s_ashr_i32 s19, s15, 5
	s_cmp_lt_i32 s15, s17
	s_cselect_b32 s22, s19, s4
	s_ashr_i32 s23, s22, 31
	s_delay_alu instid0(SALU_CYCLE_1) | instskip(NEXT) | instid1(SALU_CYCLE_1)
	s_lshl_b64 s[22:23], s[22:23], 2
	s_add_u32 s22, s13, s22
	s_addc_u32 s23, s16, s23
	s_add_i32 s15, s12, 0x100
	s_delay_alu instid0(SALU_CYCLE_1)
	s_ashr_i32 s19, s15, 5
	s_cmp_lt_i32 s15, s17
	s_cselect_b32 s34, s19, s4
	s_waitcnt vmcnt(18) lgkmcnt(2)
	v_wmma_f32_16x16x16_bf16 v[117:124], v[1:8], v[85:92], v[101:108]
	s_waitcnt vmcnt(16)
	v_wmma_f32_16x16x16_bf16 v[101:108], v[9:16], v[85:92], v[101:108]
	s_clause 0x3
	global_load_b128 v[1:4], v[78:79], off offset:1024
	global_load_b128 v[5:8], v[78:79], off offset:1536
	;; [unrolled: 1-line block ×4, first 2 shown]
	s_waitcnt vmcnt(18) lgkmcnt(0)
	v_wmma_f32_16x16x16_bf16 v[117:124], v[17:24], v[109:116], v[117:124]
	s_clause 0x1
	global_load_b128 v[17:20], v[78:79], off offset:2048
	global_load_b128 v[21:24], v[78:79], off offset:2560
	s_waitcnt vmcnt(18)
	v_wmma_f32_16x16x16_bf16 v[101:108], v[25:32], v[109:116], v[101:108]
	ds_load_b128 v[25:28], v80 offset:4096
	ds_load_b128 v[29:32], v80 offset:5120
	s_clause 0x5
	global_load_b128 v[109:112], v[76:77], off offset:2304
	global_load_b128 v[113:116], v[76:77], off offset:2816
	global_load_b128 v[125:128], v[78:79], off offset:3072
	global_load_b128 v[129:132], v[78:79], off offset:3584
	global_load_b128 v[133:136], v[76:77], off offset:3328
	global_load_b128 v[137:140], v[76:77], off offset:3840
	s_waitcnt vmcnt(22) lgkmcnt(0)
	v_wmma_f32_16x16x16_bf16 v[117:124], v[33:40], v[25:32], v[117:124]
	s_waitcnt vmcnt(20)
	v_wmma_f32_16x16x16_bf16 v[101:108], v[41:48], v[25:32], v[101:108]
	ds_load_b128 v[25:28], v80 offset:6144
	ds_load_b128 v[29:32], v80 offset:7168
	;; [unrolled: 1-line block ×4, first 2 shown]
	s_waitcnt vmcnt(18) lgkmcnt(2)
	v_wmma_f32_16x16x16_bf16 v[117:124], v[49:56], v[25:32], v[117:124]
	s_waitcnt vmcnt(16)
	v_wmma_f32_16x16x16_bf16 v[101:108], v[57:64], v[25:32], v[101:108]
	ds_load_b128 v[25:28], v80 offset:10240
	ds_load_b128 v[29:32], v80 offset:11264
	;; [unrolled: 1-line block ×6, first 2 shown]
	s_waitcnt vmcnt(14) lgkmcnt(6)
	v_wmma_f32_16x16x16_bf16 v[117:124], v[65:72], v[33:40], v[117:124]
	s_load_b32 s15, s[6:7], 0x0
	s_mul_hi_i32 s7, s35, s5
	s_mul_i32 s6, s35, s5
	s_ashr_i32 s35, s34, 31
	s_waitcnt vmcnt(12)
	v_wmma_f32_16x16x16_bf16 v[101:108], v[93:100], v[33:40], v[101:108]
	s_lshl_b64 s[34:35], s[34:35], 2
	s_delay_alu instid0(SALU_CYCLE_1)
	s_add_u32 s34, s13, s34
	s_addc_u32 s35, s16, s35
	s_add_u32 s4, s10, s2
	s_addc_u32 s19, s11, s3
	s_lshl_b64 s[2:3], s[8:9], 1
	s_clause 0x1
	s_load_b32 s13, s[22:23], 0x0
	s_load_b32 s16, s[34:35], 0x0
	s_lshl_b64 s[8:9], s[20:21], 1
	s_lshl_b64 s[10:11], s[24:25], 1
	;; [unrolled: 1-line block ×5, first 2 shown]
	s_waitcnt lgkmcnt(0)
	s_mul_hi_i32 s25, s15, s5
	s_mul_i32 s24, s15, s5
	s_waitcnt vmcnt(10)
	v_wmma_f32_16x16x16_bf16 v[117:124], v[1:8], v[25:32], v[117:124]
	s_waitcnt vmcnt(8)
	v_wmma_f32_16x16x16_bf16 v[101:108], v[9:16], v[25:32], v[101:108]
	s_waitcnt vmcnt(6)
	s_delay_alu instid0(VALU_DEP_2) | instskip(SKIP_1) | instid1(VALU_DEP_2)
	v_wmma_f32_16x16x16_bf16 v[117:124], v[17:24], v[141:148], v[117:124]
	s_waitcnt vmcnt(4)
	v_wmma_f32_16x16x16_bf16 v[101:108], v[109:116], v[141:148], v[101:108]
	s_waitcnt vmcnt(2)
	s_delay_alu instid0(VALU_DEP_2) | instskip(SKIP_3) | instid1(VALU_DEP_3)
	v_wmma_f32_16x16x16_bf16 v[117:124], v[125:132], v[149:156], v[117:124]
	v_lshlrev_b32_e32 v85, 6, v73
	s_waitcnt vmcnt(0)
	v_wmma_f32_16x16x16_bf16 v[101:108], v[133:140], v[149:156], v[101:108]
	v_mul_f32_e32 v100, s18, v124
	s_delay_alu instid0(VALU_DEP_3) | instskip(SKIP_2) | instid1(VALU_DEP_3)
	v_lshl_or_b32 v41, v74, 10, v85
	v_mul_f32_e32 v97, s18, v117
	v_mul_f32_e32 v99, s18, v118
	v_add_co_u32 v76, s4, s4, v41
	s_delay_alu instid0(VALU_DEP_1) | instskip(NEXT) | instid1(VALU_DEP_2)
	v_add_co_ci_u32_e64 v77, null, s19, 0, s4
	v_add_co_u32 v41, vcc_lo, v76, s2
	s_delay_alu instid0(VALU_DEP_2)
	v_add_co_ci_u32_e32 v42, vcc_lo, s3, v77, vcc_lo
	v_add_co_u32 v33, vcc_lo, v76, s8
	v_add_co_ci_u32_e32 v34, vcc_lo, s9, v77, vcc_lo
	v_add_co_u32 v35, vcc_lo, v76, s10
	;; [unrolled: 2-line block ×5, first 2 shown]
	s_lshl_b64 s[2:3], s[24:25], 1
	v_add_co_ci_u32_e32 v6, vcc_lo, s23, v77, vcc_lo
	s_mul_hi_i32 s7, s13, s5
	s_mul_i32 s6, s13, s5
	v_add_co_u32 v17, vcc_lo, v76, s2
	v_add_co_ci_u32_e32 v18, vcc_lo, s3, v77, vcc_lo
	s_lshl_b64 s[2:3], s[6:7], 1
	s_mul_hi_i32 s7, s16, s5
	s_mul_i32 s6, s16, s5
	v_add_co_u32 v19, vcc_lo, v76, s2
	v_add_co_ci_u32_e32 v20, vcc_lo, s3, v77, vcc_lo
	s_lshl_b64 s[2:3], s[6:7], 1
	s_clause 0x1
	global_load_b128 v[65:68], v[41:42], off
	global_load_b128 v[69:72], v[41:42], off offset:16
	v_add_co_u32 v21, vcc_lo, v76, s2
	v_add_co_ci_u32_e32 v22, vcc_lo, s3, v77, vcc_lo
	s_clause 0xf
	global_load_b128 v[57:60], v[33:34], off
	global_load_b128 v[61:64], v[33:34], off offset:16
	global_load_b128 v[49:52], v[35:36], off
	global_load_b128 v[53:56], v[35:36], off offset:16
	;; [unrolled: 2-line block ×8, first 2 shown]
	v_mbcnt_lo_u32_b32 v77, -1, 0
	v_and_b32_e32 v76, 0xe0, v0
	s_waitcnt vmcnt(0)
	s_barrier
	buffer_gl0_inv
	v_xor_b32_e32 v78, 16, v77
	s_delay_alu instid0(VALU_DEP_1) | instskip(SKIP_1) | instid1(VALU_DEP_1)
	v_cmp_gt_i32_e32 vcc_lo, 32, v78
	v_dual_cndmask_b32 v77, v77, v78 :: v_dual_add_nc_u32 v76, s12, v76
	v_or_b32_e32 v76, v76, v83
	s_delay_alu instid0(VALU_DEP_1)
	v_or_b32_e32 v78, 2, v76
	v_or_b32_e32 v79, 4, v76
	v_or_b32_e32 v80, 6, v76
	v_cmp_gt_i32_e32 vcc_lo, s17, v76
	v_or_b32_e32 v86, 8, v76
	v_cmp_gt_i32_e64 s2, s17, v78
	v_or_b32_e32 v87, 10, v76
	v_or_b32_e32 v88, 12, v76
	;; [unrolled: 1-line block ×11, first 2 shown]
	v_cndmask_b32_e64 v78, 0xff7fffff, v99, s2
	v_mul_f32_e32 v99, s18, v120
	v_cmp_gt_i32_e64 s3, s17, v80
	v_mul_f32_e32 v80, s18, v119
	v_cndmask_b32_e32 v76, 0xff7fffff, v97, vcc_lo
	v_cmp_gt_i32_e64 s4, s17, v79
	v_mul_f32_e32 v79, s18, v122
	v_cmp_gt_i32_e64 s5, s17, v86
	v_cmp_gt_i32_e64 s6, s17, v87
	v_max3_f32 v76, v76, 0xff7fffff, v78
	v_mul_f32_e32 v78, s18, v121
	v_cndmask_b32_e64 v80, 0xff7fffff, v80, s4
	v_mul_f32_e32 v86, s18, v107
	v_cndmask_b32_e64 v99, 0xff7fffff, v99, s3
	;; [unrolled: 2-line block ×3, first 2 shown]
	v_cndmask_b32_e64 v79, 0xff7fffff, v79, s6
	v_cmp_gt_i32_e64 s7, s17, v89
	v_max3_f32 v76, v76, v80, v99
	v_mul_f32_e32 v80, s18, v108
	v_cmp_gt_i32_e64 s8, s17, v88
	v_dual_mul_f32 v99, s18, v105 :: v_dual_mul_f32 v88, s18, v102
	s_delay_alu instid0(VALU_DEP_4) | instskip(SKIP_1) | instid1(VALU_DEP_4)
	v_max3_f32 v76, v76, v78, v79
	v_mul_f32_e32 v89, s18, v101
	v_cndmask_b32_e64 v97, 0xff7fffff, v97, s8
	v_cndmask_b32_e64 v100, 0xff7fffff, v100, s7
	v_cmp_gt_i32_e64 s9, s17, v90
	v_cmp_gt_i32_e64 s10, s17, v91
	v_dual_mul_f32 v78, s18, v104 :: v_dual_mul_f32 v79, s18, v103
	s_delay_alu instid0(VALU_DEP_4) | instskip(NEXT) | instid1(VALU_DEP_4)
	v_max3_f32 v76, v76, v97, v100
	v_cndmask_b32_e64 v89, 0xff7fffff, v89, s9
	s_delay_alu instid0(VALU_DEP_4)
	v_cndmask_b32_e64 v88, 0xff7fffff, v88, s10
	v_cmp_gt_i32_e64 s11, s17, v92
	v_cmp_gt_i32_e64 s12, s17, v93
	v_mul_f32_e32 v87, s18, v106
	v_cmp_gt_i32_e64 s13, s17, v94
	v_max3_f32 v76, v76, v89, v88
	v_cndmask_b32_e64 v79, 0xff7fffff, v79, s11
	v_cndmask_b32_e64 v78, 0xff7fffff, v78, s12
	v_cmp_gt_i32_e64 s15, s17, v95
	v_cndmask_b32_e64 v88, 0xff7fffff, v99, s13
	v_cmp_gt_i32_e64 s16, s17, v96
	v_cmp_gt_i32_e64 s17, s17, v98
	v_max3_f32 v76, v76, v79, v78
	v_cndmask_b32_e64 v87, 0xff7fffff, v87, s15
	v_lshlrev_b32_e32 v99, 2, v77
	v_cndmask_b32_e64 v78, 0xff7fffff, v86, s16
	v_cndmask_b32_e64 v79, 0xff7fffff, v80, s17
	s_delay_alu instid0(VALU_DEP_4) | instskip(NEXT) | instid1(VALU_DEP_1)
	v_max3_f32 v76, v76, v88, v87
	v_max3_f32 v76, v76, v78, v79
	ds_bpermute_b32 v77, v99, v76
	s_waitcnt lgkmcnt(0)
	v_max_f32_e32 v77, v77, v77
	s_delay_alu instid0(VALU_DEP_1) | instskip(NEXT) | instid1(VALU_DEP_1)
	v_max_f32_e32 v76, v76, v77
	v_fma_f32 v80, s18, v120, -v76
	v_fma_f32 v77, s18, v117, -v76
	;; [unrolled: 1-line block ×5, first 2 shown]
	v_mul_f32_e32 v80, 0x3fb8aa3b, v80
	v_fma_f32 v87, s18, v123, -v76
	v_mul_f32_e32 v78, 0x3fb8aa3b, v78
	v_fma_f32 v88, s18, v105, -v76
	v_mul_f32_e32 v86, 0x3fb8aa3b, v86
	v_exp_f32_e32 v80, v80
	v_fma_f32 v90, s18, v107, -v76
	v_exp_f32_e32 v78, v78
	v_fma_f32 v100, s18, v108, -v76
	v_exp_f32_e32 v86, v86
	v_mul_f32_e32 v88, 0x3fb8aa3b, v88
	s_delay_alu instid0(VALU_DEP_2) | instskip(NEXT) | instid1(TRANS32_DEP_3)
	v_mul_f32_e32 v100, 0x3fb8aa3b, v100
	v_cndmask_b32_e64 v95, 0, v80, s3
	v_mul_f32_e32 v77, 0x3fb8aa3b, v77
	s_delay_alu instid0(TRANS32_DEP_2) | instskip(SKIP_1) | instid1(TRANS32_DEP_1)
	v_cndmask_b32_e64 v91, 0, v78, s2
	v_fma_f32 v80, s18, v101, -v76
	v_cndmask_b32_e64 v96, 0, v86, s5
	v_fma_f32 v86, s18, v102, -v76
	v_exp_f32_e32 v77, v77
	s_delay_alu instid0(VALU_DEP_3) | instskip(SKIP_1) | instid1(VALU_DEP_2)
	v_dual_mul_f32 v79, 0x3fb8aa3b, v79 :: v_dual_mul_f32 v80, 0x3fb8aa3b, v80
	v_exp_f32_e32 v88, v88
	v_mul_f32_e32 v86, 0x3fb8aa3b, v86
	s_mov_b32 s2, exec_lo
	v_exp_f32_e32 v100, v100
	v_exp_f32_e32 v80, v80
	s_delay_alu instid0(VALU_DEP_1) | instskip(SKIP_3) | instid1(VALU_DEP_1)
	v_exp_f32_e32 v86, v86
	v_cndmask_b32_e32 v92, 0, v77, vcc_lo
	v_exp_f32_e32 v79, v79
	v_fma_f32 v77, s18, v122, -v76
	v_dual_add_f32 v78, 0, v92 :: v_dual_mul_f32 v77, 0x3fb8aa3b, v77
	s_delay_alu instid0(VALU_DEP_1)
	v_add_f32_e32 v78, v78, v91
	s_waitcnt_depctr 0xfff
	v_cndmask_b32_e64 v93, 0, v79, s4
	v_fma_f32 v79, s18, v124, -v76
	v_mul_f32_e32 v87, 0x3fb8aa3b, v87
	v_exp_f32_e32 v77, v77
	s_delay_alu instid0(VALU_DEP_2) | instskip(NEXT) | instid1(VALU_DEP_2)
	v_dual_add_f32 v78, v78, v93 :: v_dual_mul_f32 v79, 0x3fb8aa3b, v79
	v_exp_f32_e32 v87, v87
	s_delay_alu instid0(VALU_DEP_1) | instskip(NEXT) | instid1(VALU_DEP_2)
	v_add_f32_e32 v78, v78, v95
	v_exp_f32_e32 v79, v79
	s_delay_alu instid0(TRANS32_DEP_3) | instskip(NEXT) | instid1(VALU_DEP_2)
	v_cndmask_b32_e64 v97, 0, v77, s6
	v_add_f32_e32 v77, v78, v96
	v_fma_f32 v78, s18, v103, -v76
	s_waitcnt_depctr 0xfff
	v_cndmask_b32_e64 v94, 0, v87, s8
	v_fma_f32 v87, s18, v104, -v76
	v_dual_add_f32 v77, v77, v97 :: v_dual_mul_f32 v78, 0x3fb8aa3b, v78
	v_cndmask_b32_e64 v98, 0, v79, s7
	s_delay_alu instid0(VALU_DEP_2) | instskip(SKIP_4) | instid1(VALU_DEP_2)
	v_add_f32_e32 v79, v77, v94
	v_cndmask_b32_e64 v77, 0, v80, s9
	v_fma_f32 v80, s18, v106, -v76
	v_exp_f32_e32 v89, v78
	v_cndmask_b32_e64 v78, 0, v86, s10
	v_dual_add_f32 v79, v79, v98 :: v_dual_mul_f32 v80, 0x3fb8aa3b, v80
	s_delay_alu instid0(VALU_DEP_1) | instskip(NEXT) | instid1(VALU_DEP_1)
	v_dual_mul_f32 v87, 0x3fb8aa3b, v87 :: v_dual_add_f32 v86, v79, v77
	v_exp_f32_e32 v87, v87
	s_waitcnt_depctr 0xfff
	v_cndmask_b32_e64 v79, 0, v89, s11
	v_add_f32_e32 v86, v86, v78
	v_mul_f32_e32 v89, 0x3fb8aa3b, v90
	v_exp_f32_e32 v90, v80
	v_cndmask_b32_e64 v80, 0, v87, s12
	s_delay_alu instid0(VALU_DEP_3) | instskip(SKIP_1) | instid1(VALU_DEP_2)
	v_add_f32_e32 v87, v86, v79
	v_cndmask_b32_e64 v86, 0, v88, s13
	v_add_f32_e32 v88, v87, v80
	v_exp_f32_e32 v89, v89
	s_waitcnt_depctr 0xfff
	v_cndmask_b32_e64 v87, 0, v90, s15
	v_add_f32_e32 v90, v88, v86
	v_cndmask_b32_e64 v88, 0, v89, s16
	s_delay_alu instid0(VALU_DEP_2) | instskip(NEXT) | instid1(VALU_DEP_1)
	v_add_f32_e32 v89, v90, v87
	v_add_f32_e32 v90, v89, v88
	v_cndmask_b32_e64 v89, 0, v100, s17
	s_delay_alu instid0(VALU_DEP_1)
	v_add_f32_e32 v90, v90, v89
	ds_bpermute_b32 v99, v99, v90
	v_cmpx_gt_u32_e32 16, v75
	s_cbranch_execz .LBB695_14
; %bb.13:
	v_mul_u32_u24_e32 v75, 0x44, v74
	s_waitcnt lgkmcnt(0)
	v_add_f32_e32 v90, v90, v99
	s_delay_alu instid0(VALU_DEP_2) | instskip(NEXT) | instid1(VALU_DEP_1)
	v_lshl_add_u32 v75, v73, 2, v75
	v_add_nc_u32_e32 v75, 0x4000, v75
	ds_store_2addr_b32 v75, v76, v90 offset1:136
.LBB695_14:
	s_or_b32 exec_lo, exec_lo, s2
	v_lshlrev_b32_e32 v75, 2, v73
	s_waitcnt lgkmcnt(0)
	s_barrier
	buffer_gl0_inv
	v_cmp_eq_u32_e64 s2, 1, v74
	v_add_nc_u32_e32 v90, 0x4000, v75
	ds_load_2addr_b32 v[99:100], v90 offset1:17
	ds_load_2addr_b32 v[101:102], v90 offset0:34 offset1:51
	ds_load_2addr_b32 v[103:104], v90 offset0:68 offset1:85
	;; [unrolled: 1-line block ×4, first 2 shown]
	s_waitcnt lgkmcnt(4)
	v_max3_f32 v75, v99, 0xff7fffff, v100
	s_waitcnt lgkmcnt(3)
	s_delay_alu instid0(VALU_DEP_1) | instskip(SKIP_1) | instid1(VALU_DEP_1)
	v_max3_f32 v75, v75, v101, v102
	s_waitcnt lgkmcnt(2)
	v_max3_f32 v75, v75, v103, v104
	s_waitcnt lgkmcnt(1)
	s_delay_alu instid0(VALU_DEP_1) | instskip(NEXT) | instid1(VALU_DEP_1)
	v_max3_f32 v75, v75, v105, v106
	v_sub_f32_e32 v109, v100, v75
	v_sub_f32_e32 v76, v99, v75
	ds_load_2addr_b32 v[99:100], v90 offset0:170 offset1:187
	v_sub_f32_e32 v101, v101, v75
	v_dual_mul_f32 v109, 0x3fb8aa3b, v109 :: v_dual_mul_f32 v76, 0x3fb8aa3b, v76
	s_delay_alu instid0(VALU_DEP_2) | instskip(NEXT) | instid1(VALU_DEP_2)
	v_mul_f32_e32 v111, 0x3fb8aa3b, v101
	v_exp_f32_e32 v109, v109
	s_delay_alu instid0(VALU_DEP_2)
	v_exp_f32_e32 v110, v76
	v_sub_f32_e32 v76, v102, v75
	ds_load_2addr_b32 v[101:102], v90 offset0:204 offset1:221
	v_exp_f32_e32 v111, v111
	v_mul_f32_e32 v112, 0x3fb8aa3b, v76
	s_waitcnt lgkmcnt(2)
	v_fma_f32 v76, v110, v107, 0
	v_sub_f32_e32 v103, v103, v75
	s_delay_alu instid0(VALU_DEP_3) | instskip(NEXT) | instid1(VALU_DEP_2)
	v_exp_f32_e32 v112, v112
	v_dual_sub_f32 v107, v104, v75 :: v_dual_fmac_f32 v76, v109, v108
	s_waitcnt lgkmcnt(1)
	s_waitcnt_depctr 0xfff
	v_fmac_f32_e32 v76, v111, v99
	v_mul_f32_e32 v113, 0x3fb8aa3b, v103
	ds_load_2addr_b32 v[103:104], v90 offset0:238 offset1:255
	v_sub_f32_e32 v90, v105, v75
	v_dual_sub_f32 v99, v106, v75 :: v_dual_fmac_f32 v76, v112, v100
	v_mul_f32_e32 v105, 0x3fb8aa3b, v107
	v_exp_f32_e32 v107, v113
	s_delay_alu instid0(VALU_DEP_2)
	v_dual_mul_f32 v90, 0x3fb8aa3b, v90 :: v_dual_mul_f32 v99, 0x3fb8aa3b, v99
	s_waitcnt lgkmcnt(0)
	s_barrier
	buffer_gl0_inv
	v_exp_f32_e32 v90, v90
	v_exp_f32_e32 v99, v99
	v_fmac_f32_e32 v76, v107, v101
	v_exp_f32_e32 v105, v105
	s_waitcnt_depctr 0xfff
	v_fmac_f32_e32 v76, v105, v102
	s_delay_alu instid0(VALU_DEP_1) | instskip(NEXT) | instid1(VALU_DEP_1)
	v_fmac_f32_e32 v76, v90, v103
	v_fmac_f32_e32 v76, v99, v104
	s_delay_alu instid0(VALU_DEP_1) | instskip(NEXT) | instid1(VALU_DEP_1)
	v_add_f32_e32 v100, 0x358637bd, v76
	v_div_scale_f32 v101, null, v100, v100, 1.0
	v_div_scale_f32 v104, vcc_lo, 1.0, v100, 1.0
	s_delay_alu instid0(VALU_DEP_2) | instskip(SKIP_2) | instid1(VALU_DEP_1)
	v_rcp_f32_e32 v102, v101
	s_waitcnt_depctr 0xfff
	v_fma_f32 v103, -v101, v102, 1.0
	v_fmac_f32_e32 v102, v103, v102
	v_cndmask_b32_e64 v103, v110, v109, s2
	v_cmp_eq_u32_e64 s2, 2, v74
	s_delay_alu instid0(VALU_DEP_3) | instskip(NEXT) | instid1(VALU_DEP_2)
	v_mul_f32_e32 v106, v104, v102
	v_cndmask_b32_e64 v103, v103, v111, s2
	v_cmp_eq_u32_e64 s2, 3, v74
	s_delay_alu instid0(VALU_DEP_3) | instskip(NEXT) | instid1(VALU_DEP_2)
	v_fma_f32 v108, -v101, v106, v104
	v_cndmask_b32_e64 v103, v103, v112, s2
	v_cmp_eq_u32_e64 s2, 4, v74
	s_delay_alu instid0(VALU_DEP_3) | instskip(NEXT) | instid1(VALU_DEP_2)
	v_fmac_f32_e32 v106, v108, v102
	v_cndmask_b32_e64 v103, v103, v107, s2
	s_delay_alu instid0(VALU_DEP_2) | instskip(SKIP_1) | instid1(VALU_DEP_2)
	v_fma_f32 v101, -v101, v106, v104
	v_cmp_eq_u32_e64 s2, 5, v74
	v_div_fmas_f32 v101, v101, v102, v106
	s_delay_alu instid0(VALU_DEP_2) | instskip(SKIP_2) | instid1(VALU_DEP_3)
	v_cndmask_b32_e64 v103, v103, v105, s2
	v_cmp_eq_u32_e32 vcc_lo, 6, v74
	s_mov_b32 s2, exec_lo
	v_div_fixup_f32 v100, v101, v100, 1.0
	s_delay_alu instid0(VALU_DEP_3) | instskip(SKIP_1) | instid1(VALU_DEP_2)
	v_cndmask_b32_e32 v90, v103, v90, vcc_lo
	v_cmp_eq_u32_e32 vcc_lo, 7, v74
	v_cndmask_b32_e32 v90, v90, v99, vcc_lo
	s_delay_alu instid0(VALU_DEP_1) | instskip(NEXT) | instid1(VALU_DEP_1)
	v_mul_f32_e32 v90, v90, v100
	v_mul_f32_e32 v100, v90, v92
	;; [unrolled: 1-line block ×6, first 2 shown]
	v_and_b32_e32 v101, 0x7f800000, v100
	v_mul_f32_e32 v99, v90, v95
	v_mul_f32_e32 v95, v90, v91
	;; [unrolled: 1-line block ×3, first 2 shown]
                                        ; implicit-def: $vgpr91
	s_delay_alu instid0(VALU_DEP_4)
	v_cmpx_ne_u32_e32 0x7f800000, v101
	s_xor_b32 s2, exec_lo, s2
; %bb.15:
	v_bfe_u32 v91, v100, 16, 1
	s_delay_alu instid0(VALU_DEP_1)
	v_add3_u32 v91, v100, v91, 0x7fff
                                        ; implicit-def: $vgpr100
; %bb.16:
	s_and_not1_saveexec_b32 s2, s2
; %bb.17:
	v_and_b32_e32 v91, 0xffff, v100
	v_or_b32_e32 v93, 0x10000, v100
	s_delay_alu instid0(VALU_DEP_2) | instskip(NEXT) | instid1(VALU_DEP_2)
	v_cmp_eq_u32_e32 vcc_lo, 0, v91
	v_cndmask_b32_e32 v91, v93, v100, vcc_lo
; %bb.18:
	s_or_b32 exec_lo, exec_lo, s2
	v_and_b32_e32 v93, 0x7f800000, v95
	s_delay_alu instid0(VALU_DEP_1) | instskip(SKIP_1) | instid1(SALU_CYCLE_1)
	v_cmp_ne_u32_e32 vcc_lo, 0x7f800000, v93
                                        ; implicit-def: $vgpr93
	s_and_saveexec_b32 s2, vcc_lo
	s_xor_b32 s2, exec_lo, s2
; %bb.19:
	v_bfe_u32 v93, v95, 16, 1
	s_delay_alu instid0(VALU_DEP_1)
	v_add3_u32 v93, v95, v93, 0x7fff
                                        ; implicit-def: $vgpr95
; %bb.20:
	s_and_not1_saveexec_b32 s2, s2
; %bb.21:
	v_and_b32_e32 v93, 0xffff, v95
	v_or_b32_e32 v100, 0x10000, v95
	s_delay_alu instid0(VALU_DEP_2) | instskip(NEXT) | instid1(VALU_DEP_2)
	v_cmp_eq_u32_e32 vcc_lo, 0, v93
	v_cndmask_b32_e32 v93, v100, v95, vcc_lo
; %bb.22:
	s_or_b32 exec_lo, exec_lo, s2
	v_and_b32_e32 v95, 0x7f800000, v96
	s_delay_alu instid0(VALU_DEP_1) | instskip(SKIP_1) | instid1(SALU_CYCLE_1)
	v_cmp_ne_u32_e32 vcc_lo, 0x7f800000, v95
                                        ; implicit-def: $vgpr95
	s_and_saveexec_b32 s2, vcc_lo
	s_xor_b32 s2, exec_lo, s2
; %bb.23:
	v_bfe_u32 v95, v96, 16, 1
	s_delay_alu instid0(VALU_DEP_1)
	v_add3_u32 v95, v96, v95, 0x7fff
                                        ; implicit-def: $vgpr96
; %bb.24:
	s_and_not1_saveexec_b32 s2, s2
; %bb.25:
	v_and_b32_e32 v95, 0xffff, v96
	v_or_b32_e32 v100, 0x10000, v96
	s_delay_alu instid0(VALU_DEP_2) | instskip(NEXT) | instid1(VALU_DEP_2)
	v_cmp_eq_u32_e32 vcc_lo, 0, v95
	v_cndmask_b32_e32 v95, v100, v96, vcc_lo
; %bb.26:
	s_or_b32 exec_lo, exec_lo, s2
	v_and_b32_e32 v96, 0x7f800000, v99
	s_delay_alu instid0(VALU_DEP_1) | instskip(SKIP_1) | instid1(SALU_CYCLE_1)
	v_cmp_ne_u32_e32 vcc_lo, 0x7f800000, v96
                                        ; implicit-def: $vgpr96
	s_and_saveexec_b32 s2, vcc_lo
	s_xor_b32 s2, exec_lo, s2
; %bb.27:
	v_bfe_u32 v96, v99, 16, 1
	s_delay_alu instid0(VALU_DEP_1)
	v_add3_u32 v96, v99, v96, 0x7fff
                                        ; implicit-def: $vgpr99
; %bb.28:
	s_and_not1_saveexec_b32 s2, s2
; %bb.29:
	v_and_b32_e32 v96, 0xffff, v99
	v_or_b32_e32 v100, 0x10000, v99
	s_delay_alu instid0(VALU_DEP_2) | instskip(NEXT) | instid1(VALU_DEP_2)
	v_cmp_eq_u32_e32 vcc_lo, 0, v96
	v_cndmask_b32_e32 v96, v100, v99, vcc_lo
; %bb.30:
	s_or_b32 exec_lo, exec_lo, s2
	v_and_b32_e32 v99, 0x7f800000, v98
	s_delay_alu instid0(VALU_DEP_1) | instskip(SKIP_1) | instid1(SALU_CYCLE_1)
	v_cmp_ne_u32_e32 vcc_lo, 0x7f800000, v99
                                        ; implicit-def: $vgpr99
	s_and_saveexec_b32 s2, vcc_lo
	s_xor_b32 s2, exec_lo, s2
; %bb.31:
	v_bfe_u32 v99, v98, 16, 1
	s_delay_alu instid0(VALU_DEP_1)
	v_add3_u32 v99, v98, v99, 0x7fff
                                        ; implicit-def: $vgpr98
; %bb.32:
	s_and_not1_saveexec_b32 s2, s2
; %bb.33:
	v_and_b32_e32 v99, 0xffff, v98
	v_or_b32_e32 v100, 0x10000, v98
	s_delay_alu instid0(VALU_DEP_2) | instskip(NEXT) | instid1(VALU_DEP_2)
	v_cmp_eq_u32_e32 vcc_lo, 0, v99
	v_cndmask_b32_e32 v99, v100, v98, vcc_lo
; %bb.34:
	s_or_b32 exec_lo, exec_lo, s2
	v_and_b32_e32 v98, 0x7f800000, v97
	s_delay_alu instid0(VALU_DEP_1) | instskip(SKIP_1) | instid1(SALU_CYCLE_1)
	v_cmp_ne_u32_e32 vcc_lo, 0x7f800000, v98
                                        ; implicit-def: $vgpr98
	s_and_saveexec_b32 s2, vcc_lo
	s_xor_b32 s2, exec_lo, s2
; %bb.35:
	v_bfe_u32 v98, v97, 16, 1
	s_delay_alu instid0(VALU_DEP_1)
	v_add3_u32 v98, v97, v98, 0x7fff
                                        ; implicit-def: $vgpr97
; %bb.36:
	s_and_not1_saveexec_b32 s2, s2
; %bb.37:
	v_and_b32_e32 v98, 0xffff, v97
	v_or_b32_e32 v100, 0x10000, v97
	s_delay_alu instid0(VALU_DEP_2) | instskip(NEXT) | instid1(VALU_DEP_2)
	v_cmp_eq_u32_e32 vcc_lo, 0, v98
	v_cndmask_b32_e32 v98, v100, v97, vcc_lo
; %bb.38:
	s_or_b32 exec_lo, exec_lo, s2
	v_and_b32_e32 v97, 0x7f800000, v94
	s_delay_alu instid0(VALU_DEP_1) | instskip(SKIP_1) | instid1(SALU_CYCLE_1)
	v_cmp_ne_u32_e32 vcc_lo, 0x7f800000, v97
                                        ; implicit-def: $vgpr97
	s_and_saveexec_b32 s2, vcc_lo
	s_xor_b32 s2, exec_lo, s2
; %bb.39:
	v_bfe_u32 v97, v94, 16, 1
	s_delay_alu instid0(VALU_DEP_1)
	v_add3_u32 v97, v94, v97, 0x7fff
                                        ; implicit-def: $vgpr94
; %bb.40:
	s_and_not1_saveexec_b32 s2, s2
; %bb.41:
	v_and_b32_e32 v97, 0xffff, v94
	v_or_b32_e32 v100, 0x10000, v94
	s_delay_alu instid0(VALU_DEP_2) | instskip(NEXT) | instid1(VALU_DEP_2)
	v_cmp_eq_u32_e32 vcc_lo, 0, v97
	v_cndmask_b32_e32 v97, v100, v94, vcc_lo
; %bb.42:
	s_or_b32 exec_lo, exec_lo, s2
	v_and_b32_e32 v94, 0x7f800000, v92
	s_delay_alu instid0(VALU_DEP_1) | instskip(SKIP_1) | instid1(SALU_CYCLE_1)
	v_cmp_ne_u32_e32 vcc_lo, 0x7f800000, v94
                                        ; implicit-def: $vgpr94
	s_and_saveexec_b32 s2, vcc_lo
	s_xor_b32 s2, exec_lo, s2
; %bb.43:
	v_bfe_u32 v94, v92, 16, 1
	s_delay_alu instid0(VALU_DEP_1)
	v_add3_u32 v94, v92, v94, 0x7fff
                                        ; implicit-def: $vgpr92
; %bb.44:
	s_and_not1_saveexec_b32 s2, s2
; %bb.45:
	v_and_b32_e32 v94, 0xffff, v92
	v_or_b32_e32 v100, 0x10000, v92
	s_delay_alu instid0(VALU_DEP_2) | instskip(NEXT) | instid1(VALU_DEP_2)
	v_cmp_eq_u32_e32 vcc_lo, 0, v94
	v_cndmask_b32_e32 v94, v100, v92, vcc_lo
; %bb.46:
	s_or_b32 exec_lo, exec_lo, s2
	s_load_b64 s[34:35], s[0:1], 0x94
	v_lshlrev_b32_e32 v92, 4, v83
	s_delay_alu instid0(VALU_DEP_2)
	v_perm_b32 v100, v94, v97, 0x7060302
	v_dual_mul_f32 v89, v90, v89 :: v_dual_lshlrev_b32 v94, 11, v74
	v_perm_b32 v97, v93, v91, 0x7060302
	v_mul_f32_e32 v93, v90, v77
	v_perm_b32 v99, v98, v99, 0x7060302
	v_perm_b32 v98, v96, v95, 0x7060302
	v_or3_b32 v77, v92, v94, v85
	v_mul_f32_e32 v88, v90, v88
	v_dual_mul_f32 v87, v90, v87 :: v_dual_and_b32 v94, 0x7f800000, v93
	v_mul_f32_e32 v86, v90, v86
	v_mul_f32_e32 v91, v90, v80
	;; [unrolled: 1-line block ×4, first 2 shown]
	s_mov_b32 s2, exec_lo
	ds_store_b128 v77, v[97:100]
                                        ; implicit-def: $vgpr78
	v_cmpx_ne_u32_e32 0x7f800000, v94
	s_xor_b32 s2, exec_lo, s2
; %bb.47:
	v_bfe_u32 v78, v93, 16, 1
	s_delay_alu instid0(VALU_DEP_1)
	v_add3_u32 v78, v93, v78, 0x7fff
                                        ; implicit-def: $vgpr93
; %bb.48:
	s_and_not1_saveexec_b32 s2, s2
; %bb.49:
	v_and_b32_e32 v78, 0xffff, v93
	v_or_b32_e32 v79, 0x10000, v93
	s_delay_alu instid0(VALU_DEP_2) | instskip(NEXT) | instid1(VALU_DEP_2)
	v_cmp_eq_u32_e32 vcc_lo, 0, v78
	v_cndmask_b32_e32 v78, v79, v93, vcc_lo
; %bb.50:
	s_or_b32 exec_lo, exec_lo, s2
	v_and_b32_e32 v79, 0x7f800000, v80
	s_delay_alu instid0(VALU_DEP_1) | instskip(SKIP_1) | instid1(SALU_CYCLE_1)
	v_cmp_ne_u32_e32 vcc_lo, 0x7f800000, v79
                                        ; implicit-def: $vgpr79
	s_and_saveexec_b32 s2, vcc_lo
	s_xor_b32 s2, exec_lo, s2
; %bb.51:
	v_bfe_u32 v79, v80, 16, 1
	s_delay_alu instid0(VALU_DEP_1)
	v_add3_u32 v79, v80, v79, 0x7fff
                                        ; implicit-def: $vgpr80
; %bb.52:
	s_and_not1_saveexec_b32 s2, s2
; %bb.53:
	v_and_b32_e32 v79, 0xffff, v80
	v_or_b32_e32 v90, 0x10000, v80
	s_delay_alu instid0(VALU_DEP_2) | instskip(NEXT) | instid1(VALU_DEP_2)
	v_cmp_eq_u32_e32 vcc_lo, 0, v79
	v_cndmask_b32_e32 v79, v90, v80, vcc_lo
; %bb.54:
	s_or_b32 exec_lo, exec_lo, s2
	v_and_b32_e32 v80, 0x7f800000, v92
	s_delay_alu instid0(VALU_DEP_1) | instskip(SKIP_1) | instid1(SALU_CYCLE_1)
	v_cmp_ne_u32_e32 vcc_lo, 0x7f800000, v80
                                        ; implicit-def: $vgpr80
	s_and_saveexec_b32 s2, vcc_lo
	s_xor_b32 s2, exec_lo, s2
; %bb.55:
	v_bfe_u32 v80, v92, 16, 1
	s_delay_alu instid0(VALU_DEP_1)
	v_add3_u32 v80, v92, v80, 0x7fff
                                        ; implicit-def: $vgpr92
; %bb.56:
	s_and_not1_saveexec_b32 s2, s2
; %bb.57:
	v_and_b32_e32 v80, 0xffff, v92
	v_or_b32_e32 v90, 0x10000, v92
	s_delay_alu instid0(VALU_DEP_2) | instskip(NEXT) | instid1(VALU_DEP_2)
	v_cmp_eq_u32_e32 vcc_lo, 0, v80
	v_cndmask_b32_e32 v80, v90, v92, vcc_lo
; %bb.58:
	s_or_b32 exec_lo, exec_lo, s2
	v_and_b32_e32 v90, 0x7f800000, v91
	s_delay_alu instid0(VALU_DEP_1) | instskip(SKIP_1) | instid1(SALU_CYCLE_1)
	v_cmp_ne_u32_e32 vcc_lo, 0x7f800000, v90
                                        ; implicit-def: $vgpr90
	s_and_saveexec_b32 s2, vcc_lo
	s_xor_b32 s2, exec_lo, s2
; %bb.59:
	v_bfe_u32 v90, v91, 16, 1
	s_delay_alu instid0(VALU_DEP_1)
	v_add3_u32 v90, v91, v90, 0x7fff
                                        ; implicit-def: $vgpr91
; %bb.60:
	s_and_not1_saveexec_b32 s2, s2
; %bb.61:
	v_and_b32_e32 v90, 0xffff, v91
	v_or_b32_e32 v92, 0x10000, v91
	s_delay_alu instid0(VALU_DEP_2) | instskip(NEXT) | instid1(VALU_DEP_2)
	v_cmp_eq_u32_e32 vcc_lo, 0, v90
	v_cndmask_b32_e32 v90, v92, v91, vcc_lo
; %bb.62:
	s_or_b32 exec_lo, exec_lo, s2
	v_and_b32_e32 v91, 0x7f800000, v86
	s_delay_alu instid0(VALU_DEP_1) | instskip(SKIP_1) | instid1(SALU_CYCLE_1)
	v_cmp_ne_u32_e32 vcc_lo, 0x7f800000, v91
                                        ; implicit-def: $vgpr91
	s_and_saveexec_b32 s2, vcc_lo
	s_xor_b32 s2, exec_lo, s2
; %bb.63:
	v_bfe_u32 v91, v86, 16, 1
	s_delay_alu instid0(VALU_DEP_1)
	v_add3_u32 v91, v86, v91, 0x7fff
                                        ; implicit-def: $vgpr86
; %bb.64:
	s_and_not1_saveexec_b32 s2, s2
; %bb.65:
	v_and_b32_e32 v91, 0xffff, v86
	v_or_b32_e32 v92, 0x10000, v86
	s_delay_alu instid0(VALU_DEP_2) | instskip(NEXT) | instid1(VALU_DEP_2)
	v_cmp_eq_u32_e32 vcc_lo, 0, v91
	v_cndmask_b32_e32 v91, v92, v86, vcc_lo
; %bb.66:
	s_or_b32 exec_lo, exec_lo, s2
	v_and_b32_e32 v86, 0x7f800000, v87
	s_delay_alu instid0(VALU_DEP_1) | instskip(SKIP_1) | instid1(SALU_CYCLE_1)
	v_cmp_ne_u32_e32 vcc_lo, 0x7f800000, v86
                                        ; implicit-def: $vgpr86
	s_and_saveexec_b32 s2, vcc_lo
	s_xor_b32 s2, exec_lo, s2
; %bb.67:
	v_bfe_u32 v86, v87, 16, 1
	s_delay_alu instid0(VALU_DEP_1)
	v_add3_u32 v86, v87, v86, 0x7fff
                                        ; implicit-def: $vgpr87
; %bb.68:
	s_and_not1_saveexec_b32 s2, s2
; %bb.69:
	v_and_b32_e32 v86, 0xffff, v87
	v_or_b32_e32 v92, 0x10000, v87
	s_delay_alu instid0(VALU_DEP_2) | instskip(NEXT) | instid1(VALU_DEP_2)
	v_cmp_eq_u32_e32 vcc_lo, 0, v86
	v_cndmask_b32_e32 v86, v92, v87, vcc_lo
; %bb.70:
	s_or_b32 exec_lo, exec_lo, s2
	v_and_b32_e32 v87, 0x7f800000, v88
	s_delay_alu instid0(VALU_DEP_1) | instskip(SKIP_1) | instid1(SALU_CYCLE_1)
	v_cmp_ne_u32_e32 vcc_lo, 0x7f800000, v87
                                        ; implicit-def: $vgpr87
	s_and_saveexec_b32 s2, vcc_lo
	s_xor_b32 s2, exec_lo, s2
; %bb.71:
	v_bfe_u32 v87, v88, 16, 1
	s_delay_alu instid0(VALU_DEP_1)
	v_add3_u32 v87, v88, v87, 0x7fff
                                        ; implicit-def: $vgpr88
; %bb.72:
	s_and_not1_saveexec_b32 s2, s2
; %bb.73:
	v_and_b32_e32 v87, 0xffff, v88
	v_or_b32_e32 v92, 0x10000, v88
	s_delay_alu instid0(VALU_DEP_2) | instskip(NEXT) | instid1(VALU_DEP_2)
	v_cmp_eq_u32_e32 vcc_lo, 0, v87
	v_cndmask_b32_e32 v87, v92, v88, vcc_lo
; %bb.74:
	s_or_b32 exec_lo, exec_lo, s2
	v_and_b32_e32 v88, 0x7f800000, v89
	s_delay_alu instid0(VALU_DEP_1) | instskip(SKIP_1) | instid1(SALU_CYCLE_1)
	v_cmp_ne_u32_e32 vcc_lo, 0x7f800000, v88
                                        ; implicit-def: $vgpr88
	s_and_saveexec_b32 s2, vcc_lo
	s_xor_b32 s2, exec_lo, s2
; %bb.75:
	v_bfe_u32 v88, v89, 16, 1
	s_delay_alu instid0(VALU_DEP_1)
	v_add3_u32 v88, v89, v88, 0x7fff
                                        ; implicit-def: $vgpr89
; %bb.76:
	s_and_not1_saveexec_b32 s2, s2
; %bb.77:
	v_and_b32_e32 v88, 0xffff, v89
	v_or_b32_e32 v92, 0x10000, v89
	s_delay_alu instid0(VALU_DEP_2) | instskip(NEXT) | instid1(VALU_DEP_2)
	v_cmp_eq_u32_e32 vcc_lo, 0, v88
	v_cndmask_b32_e32 v88, v92, v89, vcc_lo
; %bb.78:
	s_or_b32 exec_lo, exec_lo, s2
	s_delay_alu instid0(VALU_DEP_1)
	v_perm_b32 v89, v88, v87, 0x7060302
	v_perm_b32 v88, v86, v91, 0x7060302
	;; [unrolled: 1-line block ×4, first 2 shown]
	v_lshl_or_b32 v90, v74, 11, v85
	ds_store_b128 v77, v[86:89] offset:1024
	s_waitcnt lgkmcnt(0)
	s_barrier
	buffer_gl0_inv
	ds_load_b128 v[91:94], v90
	ds_load_b128 v[95:98], v90 offset:16
	v_lshlrev_b32_e32 v87, 2, v83
	s_delay_alu instid0(VALU_DEP_1)
	v_or_b32_e32 v88, 1, v87
	v_cmp_eq_u32_e32 vcc_lo, 1, v87
	v_cmp_eq_u32_e64 s3, 2, v87
	v_cmp_eq_u32_e64 s6, 3, v87
	;; [unrolled: 1-line block ×6, first 2 shown]
	v_or_b32_e32 v86, 2, v87
	v_cmp_eq_u32_e64 s9, 5, v87
	v_cmp_eq_u32_e64 s10, 4, v88
	;; [unrolled: 1-line block ×4, first 2 shown]
	s_waitcnt lgkmcnt(1)
	v_lshrrev_b32_e32 v74, 16, v91
	s_waitcnt lgkmcnt(0)
	v_lshrrev_b32_e32 v103, 16, v95
	v_lshrrev_b32_e32 v80, 16, v94
	;; [unrolled: 1-line block ×4, first 2 shown]
	v_cndmask_b32_e32 v89, v91, v74, vcc_lo
	v_cndmask_b32_e32 v99, v95, v103, vcc_lo
	v_cndmask_b32_e64 v100, v91, v74, s2
	v_lshrrev_b32_e32 v79, 16, v93
	v_lshrrev_b32_e32 v108, 16, v97
	v_cndmask_b32_e64 v89, v89, v92, s3
	v_cndmask_b32_e64 v99, v99, v96, s3
	;; [unrolled: 1-line block ×4, first 2 shown]
	v_cmp_eq_u32_e64 s4, 1, v86
	v_cndmask_b32_e64 v89, v89, v78, s6
	v_cndmask_b32_e64 v99, v99, v107, s6
	;; [unrolled: 1-line block ×4, first 2 shown]
	v_lshrrev_b32_e32 v109, 16, v98
	v_cndmask_b32_e64 v89, v89, v93, s8
	v_cndmask_b32_e64 v99, v99, v97, s8
	;; [unrolled: 1-line block ×8, first 2 shown]
	v_cmp_eq_u32_e64 s13, 7, v87
	v_cmp_eq_u32_e64 s15, 6, v88
	v_cndmask_b32_e64 v89, v89, v94, s11
	v_cndmask_b32_e64 v99, v99, v98, s11
	v_cmp_eq_u32_e64 s16, 2, v86
	v_cndmask_b32_e64 v101, v101, v97, s10
	v_cndmask_b32_e64 v100, v100, v94, s15
	;; [unrolled: 1-line block ×6, first 2 shown]
	v_cmp_eq_u32_e64 s17, 7, v88
	v_cmp_eq_u32_e64 s18, 3, v86
	;; [unrolled: 1-line block ×4, first 2 shown]
	v_cndmask_b32_e64 v99, v99, v96, s16
	v_cndmask_b32_e64 v112, v100, v80, s17
	;; [unrolled: 1-line block ×4, first 2 shown]
	v_or_b32_e32 v89, 3, v87
	v_cndmask_b32_e64 v105, v99, v107, s18
	v_cmp_eq_u32_e64 s23, 6, v86
	v_cndmask_b32_e64 v113, v100, v98, s15
	v_cndmask_b32_e64 v104, v101, v93, s19
	ds_load_b128 v[99:102], v90 offset:1024
	v_cmp_eq_u32_e64 s20, 1, v89
	v_cmp_eq_u32_e64 s22, 2, v89
	;; [unrolled: 1-line block ×3, first 2 shown]
	v_cndmask_b32_e64 v114, v104, v79, s21
	v_cmp_eq_u32_e64 s25, 4, v89
	v_cndmask_b32_e64 v74, v91, v74, s20
	v_cndmask_b32_e64 v91, v105, v97, s19
	;; [unrolled: 1-line block ×3, first 2 shown]
	ds_load_b128 v[103:106], v90 offset:1040
	v_cmp_eq_u32_e64 s27, 5, v89
	v_cndmask_b32_e64 v74, v74, v92, s22
	v_cndmask_b32_e64 v91, v91, v108, s21
	;; [unrolled: 1-line block ×3, first 2 shown]
	v_cmp_eq_u32_e64 s28, 6, v89
	v_cndmask_b32_e64 v95, v113, v109, s17
	v_cndmask_b32_e64 v74, v74, v78, s24
	;; [unrolled: 1-line block ×5, first 2 shown]
	s_waitcnt lgkmcnt(1)
	v_lshrrev_b32_e32 v96, 16, v99
	v_cndmask_b32_e64 v74, v74, v93, s25
	v_lshrrev_b32_e32 v107, 16, v100
	v_cndmask_b32_e64 v92, v92, v97, s25
	v_cmp_eq_u32_e64 s26, 7, v86
	v_cndmask_b32_e32 v93, v99, v96, vcc_lo
	v_cndmask_b32_e64 v74, v74, v79, s27
	s_delay_alu instid0(VALU_DEP_4)
	v_cndmask_b32_e64 v79, v92, v108, s27
	s_waitcnt lgkmcnt(0)
	v_lshrrev_b32_e32 v97, 16, v103
	v_cndmask_b32_e64 v92, v93, v100, s3
	v_cndmask_b32_e64 v93, v99, v96, s2
	v_cndmask_b32_e64 v74, v74, v94, s28
	v_cndmask_b32_e64 v79, v79, v98, s28
	v_cndmask_b32_e32 v108, v103, v97, vcc_lo
	v_cndmask_b32_e64 v92, v92, v107, s6
	v_cndmask_b32_e64 v93, v93, v100, s5
	v_lshrrev_b32_e32 v98, 16, v104
	v_cmp_eq_u32_e32 vcc_lo, 7, v89
	v_cndmask_b32_e64 v94, v108, v104, s3
	v_cndmask_b32_e64 v92, v92, v101, s8
	v_lshrrev_b32_e32 v108, 16, v101
	v_cndmask_b32_e64 v93, v93, v107, s7
	v_cndmask_b32_e32 v74, v74, v80, vcc_lo
	v_cndmask_b32_e64 v94, v94, v98, s6
	v_cndmask_b32_e32 v79, v79, v109, vcc_lo
	v_cndmask_b32_e64 v92, v92, v108, s9
	v_cndmask_b32_e64 v78, v78, v80, s26
	;; [unrolled: 1-line block ×4, first 2 shown]
	v_perm_b32 v94, v79, v74, 0x5040100
	v_cndmask_b32_e64 v79, v92, v102, s11
	v_perm_b32 v92, v95, v112, 0x5040100
	v_cndmask_b32_e64 v95, v99, v96, s4
	v_cndmask_b32_e64 v96, v99, v96, s20
	;; [unrolled: 1-line block ×16, first 2 shown]
	v_lshrrev_b32_e32 v109, 16, v105
	v_cndmask_b32_e64 v95, v95, v101, s19
	v_cndmask_b32_e64 v96, v96, v101, s25
	;; [unrolled: 1-line block ×6, first 2 shown]
	v_lshrrev_b32_e32 v80, 16, v102
	v_cndmask_b32_e64 v113, v93, v109, s9
	v_cndmask_b32_e64 v95, v95, v108, s21
	;; [unrolled: 1-line block ×6, first 2 shown]
	v_perm_b32 v93, v91, v78, 0x5040100
	v_cndmask_b32_e64 v74, v74, v102, s15
	v_cndmask_b32_e64 v78, v79, v80, s13
	;; [unrolled: 1-line block ×3, first 2 shown]
	v_lshrrev_b32_e32 v91, 16, v106
	v_cndmask_b32_e64 v95, v95, v102, s23
	v_cndmask_b32_e64 v96, v96, v102, s28
	v_cndmask_b32_e64 v98, v98, v106, s28
	v_cndmask_b32_e64 v99, v99, v106, s23
	v_cndmask_b32_e64 v97, v97, v106, s15
	v_cndmask_b32_e64 v74, v74, v80, s17
	v_cndmask_b32_e64 v95, v95, v80, s26
	v_cndmask_b32_e32 v80, v96, v80, vcc_lo
	v_cndmask_b32_e32 v96, v98, v91, vcc_lo
	v_cndmask_b32_e64 v99, v99, v91, s26
	v_cndmask_b32_e64 v100, v97, v91, s17
	;; [unrolled: 1-line block ×3, first 2 shown]
	v_perm_b32 v91, v111, v110, 0x5040100
	v_perm_b32 v98, v96, v80, 0x5040100
	;; [unrolled: 1-line block ×5, first 2 shown]
	s_mul_i32 s7, s35, 6
	s_mov_b32 s2, exec_lo
	ds_store_b128 v77, v[91:94]
	ds_store_b128 v77, v[95:98] offset:1024
	v_cmpx_gt_u32_e32 6, v0
	s_cbranch_execz .LBB695_80
; %bb.79:
	s_mul_i32 s3, s7, s30
	s_load_b128 s[8:11], s[0:1], 0x58
	v_add3_u32 v77, s3, s29, v73
	s_delay_alu instid0(VALU_DEP_1) | instskip(NEXT) | instid1(VALU_DEP_1)
	v_mad_u64_u32 v[73:74], null, v77, s34, s[14:15]
	v_ashrrev_i32_e32 v74, 31, v73
	s_delay_alu instid0(VALU_DEP_1) | instskip(SKIP_1) | instid1(VALU_DEP_1)
	v_lshlrev_b64 v[73:74], 2, v[73:74]
	s_waitcnt lgkmcnt(0)
	v_add_co_u32 v77, vcc_lo, s10, v73
	s_delay_alu instid0(VALU_DEP_2)
	v_add_co_ci_u32_e32 v78, vcc_lo, s11, v74, vcc_lo
	v_add_co_u32 v73, vcc_lo, s8, v73
	v_add_co_ci_u32_e32 v74, vcc_lo, s9, v74, vcc_lo
	global_store_b32 v[77:78], v75, off
	global_store_b32 v[73:74], v76, off
.LBB695_80:
	s_or_b32 exec_lo, exec_lo, s2
	s_waitcnt lgkmcnt(0)
	s_waitcnt_vscnt null, 0x0
	s_barrier
	buffer_gl0_inv
	ds_load_b128 v[91:94], v85
	ds_load_b128 v[95:98], v85 offset:16
	ds_load_b128 v[103:106], v85 offset:1040
	;; [unrolled: 1-line block ×3, first 2 shown]
	v_mov_b32_e32 v73, 0
	ds_load_b128 v[111:114], v85 offset:2064
	ds_load_b128 v[107:110], v85 offset:2048
	;; [unrolled: 1-line block ×6, first 2 shown]
	v_mov_b32_e32 v74, v73
	v_mov_b32_e32 v75, v73
	;; [unrolled: 1-line block ×7, first 2 shown]
	s_waitcnt lgkmcnt(8)
	s_delay_alu instid0(VALU_DEP_1)
	v_wmma_f32_16x16x16_bf16 v[73:80], v[65:72], v[91:98], v[73:80]
	ds_load_b128 v[69:72], v85 offset:5136
	ds_load_b128 v[65:68], v85 offset:5120
	ds_load_b128 v[95:98], v85 offset:6160
	ds_load_b128 v[91:94], v85 offset:6144
	s_waitcnt lgkmcnt(10)
	v_wmma_f32_16x16x16_bf16 v[73:80], v[57:64], v[99:106], v[73:80]
	s_waitcnt lgkmcnt(8)
	s_delay_alu instid0(VALU_DEP_1)
	v_wmma_f32_16x16x16_bf16 v[73:80], v[57:64], v[107:114], v[73:80]
	ds_load_b128 v[61:64], v85 offset:7184
	ds_load_b128 v[57:60], v85 offset:7168
	ds_load_b128 v[103:106], v85 offset:8208
	ds_load_b128 v[99:102], v85 offset:8192
	s_waitcnt lgkmcnt(10)
	v_wmma_f32_16x16x16_bf16 v[73:80], v[49:56], v[115:122], v[73:80]
	s_waitcnt lgkmcnt(8)
	s_delay_alu instid0(VALU_DEP_1)
	v_wmma_f32_16x16x16_bf16 v[73:80], v[49:56], v[123:130], v[73:80]
	ds_load_b128 v[53:56], v85 offset:9232
	ds_load_b128 v[49:52], v85 offset:9216
	s_waitcnt lgkmcnt(8)
	v_wmma_f32_16x16x16_bf16 v[73:80], v[41:48], v[65:72], v[73:80]
	ds_load_b128 v[69:72], v85 offset:10256
	ds_load_b128 v[65:68], v85 offset:10240
	s_waitcnt lgkmcnt(8)
	v_wmma_f32_16x16x16_bf16 v[73:80], v[41:48], v[91:98], v[73:80]
	ds_load_b128 v[45:48], v85 offset:11280
	ds_load_b128 v[41:44], v85 offset:11264
	s_waitcnt lgkmcnt(8)
	v_wmma_f32_16x16x16_bf16 v[73:80], v[9:16], v[57:64], v[73:80]
	s_waitcnt lgkmcnt(6)
	s_delay_alu instid0(VALU_DEP_1)
	v_wmma_f32_16x16x16_bf16 v[73:80], v[9:16], v[99:106], v[73:80]
	ds_load_b128 v[13:16], v85 offset:12304
	ds_load_b128 v[9:12], v85 offset:12288
	s_waitcnt lgkmcnt(6)
	v_wmma_f32_16x16x16_bf16 v[73:80], v[1:8], v[49:56], v[73:80]
	ds_load_b128 v[53:56], v85 offset:13328
	ds_load_b128 v[49:52], v85 offset:13312
	s_waitcnt lgkmcnt(6)
	;; [unrolled: 4-line block ×4, first 2 shown]
	v_wmma_f32_16x16x16_bf16 v[73:80], v[33:40], v[9:16], v[73:80]
	s_waitcnt lgkmcnt(4)
	s_delay_alu instid0(VALU_DEP_1) | instskip(SKIP_1) | instid1(VALU_DEP_1)
	v_wmma_f32_16x16x16_bf16 v[73:80], v[25:32], v[49:56], v[73:80]
	s_waitcnt lgkmcnt(2)
	v_wmma_f32_16x16x16_bf16 v[73:80], v[25:32], v[1:8], v[73:80]
	s_waitcnt lgkmcnt(0)
	s_delay_alu instid0(VALU_DEP_1) | instskip(NEXT) | instid1(VALU_DEP_1)
	v_wmma_f32_16x16x16_bf16 v[73:80], v[17:24], v[41:48], v[73:80]
	v_and_b32_e32 v1, 0x7f800000, v73
	s_delay_alu instid0(VALU_DEP_1) | instskip(SKIP_1) | instid1(SALU_CYCLE_1)
	v_cmp_ne_u32_e32 vcc_lo, 0x7f800000, v1
                                        ; implicit-def: $vgpr1
	s_and_saveexec_b32 s2, vcc_lo
	s_xor_b32 s2, exec_lo, s2
; %bb.81:
	v_bfe_u32 v1, v73, 16, 1
	s_delay_alu instid0(VALU_DEP_1)
	v_add3_u32 v1, v73, v1, 0x7fff
; %bb.82:
	s_and_not1_saveexec_b32 s2, s2
; %bb.83:
	v_and_b32_e32 v1, 0xffff, v73
	v_or_b32_e32 v2, 0x10000, v73
	s_delay_alu instid0(VALU_DEP_2) | instskip(NEXT) | instid1(VALU_DEP_2)
	v_cmp_eq_u32_e32 vcc_lo, 0, v1
	v_cndmask_b32_e32 v1, v2, v73, vcc_lo
; %bb.84:
	s_or_b32 exec_lo, exec_lo, s2
	v_and_b32_e32 v2, 0x7f800000, v74
	s_delay_alu instid0(VALU_DEP_1) | instskip(SKIP_1) | instid1(SALU_CYCLE_1)
	v_cmp_ne_u32_e32 vcc_lo, 0x7f800000, v2
                                        ; implicit-def: $vgpr2
	s_and_saveexec_b32 s2, vcc_lo
	s_xor_b32 s2, exec_lo, s2
; %bb.85:
	v_bfe_u32 v2, v74, 16, 1
	s_delay_alu instid0(VALU_DEP_1)
	v_add3_u32 v2, v74, v2, 0x7fff
; %bb.86:
	s_and_not1_saveexec_b32 s2, s2
; %bb.87:
	v_and_b32_e32 v2, 0xffff, v74
	v_or_b32_e32 v3, 0x10000, v74
	s_delay_alu instid0(VALU_DEP_2) | instskip(NEXT) | instid1(VALU_DEP_2)
	v_cmp_eq_u32_e32 vcc_lo, 0, v2
	v_cndmask_b32_e32 v2, v3, v74, vcc_lo
; %bb.88:
	s_or_b32 exec_lo, exec_lo, s2
	v_and_b32_e32 v3, 0x7f800000, v75
	s_delay_alu instid0(VALU_DEP_1) | instskip(SKIP_1) | instid1(SALU_CYCLE_1)
	v_cmp_ne_u32_e32 vcc_lo, 0x7f800000, v3
                                        ; implicit-def: $vgpr3
	s_and_saveexec_b32 s2, vcc_lo
	s_xor_b32 s2, exec_lo, s2
; %bb.89:
	v_bfe_u32 v3, v75, 16, 1
	s_delay_alu instid0(VALU_DEP_1)
	v_add3_u32 v3, v75, v3, 0x7fff
; %bb.90:
	s_and_not1_saveexec_b32 s2, s2
; %bb.91:
	v_and_b32_e32 v3, 0xffff, v75
	v_or_b32_e32 v4, 0x10000, v75
	s_delay_alu instid0(VALU_DEP_2) | instskip(NEXT) | instid1(VALU_DEP_2)
	v_cmp_eq_u32_e32 vcc_lo, 0, v3
	v_cndmask_b32_e32 v3, v4, v75, vcc_lo
; %bb.92:
	s_or_b32 exec_lo, exec_lo, s2
	v_and_b32_e32 v4, 0x7f800000, v76
	s_delay_alu instid0(VALU_DEP_1) | instskip(SKIP_1) | instid1(SALU_CYCLE_1)
	v_cmp_ne_u32_e32 vcc_lo, 0x7f800000, v4
                                        ; implicit-def: $vgpr4
	s_and_saveexec_b32 s2, vcc_lo
	s_xor_b32 s2, exec_lo, s2
; %bb.93:
	v_bfe_u32 v4, v76, 16, 1
	s_delay_alu instid0(VALU_DEP_1)
	v_add3_u32 v4, v76, v4, 0x7fff
; %bb.94:
	s_and_not1_saveexec_b32 s2, s2
; %bb.95:
	v_and_b32_e32 v4, 0xffff, v76
	v_or_b32_e32 v5, 0x10000, v76
	s_delay_alu instid0(VALU_DEP_2) | instskip(NEXT) | instid1(VALU_DEP_2)
	v_cmp_eq_u32_e32 vcc_lo, 0, v4
	v_cndmask_b32_e32 v4, v5, v76, vcc_lo
; %bb.96:
	s_or_b32 exec_lo, exec_lo, s2
	v_and_b32_e32 v5, 0x7f800000, v77
	s_delay_alu instid0(VALU_DEP_1) | instskip(SKIP_1) | instid1(SALU_CYCLE_1)
	v_cmp_ne_u32_e32 vcc_lo, 0x7f800000, v5
                                        ; implicit-def: $vgpr5
	s_and_saveexec_b32 s2, vcc_lo
	s_xor_b32 s2, exec_lo, s2
; %bb.97:
	v_bfe_u32 v5, v77, 16, 1
	s_delay_alu instid0(VALU_DEP_1)
	v_add3_u32 v5, v77, v5, 0x7fff
; %bb.98:
	s_and_not1_saveexec_b32 s2, s2
; %bb.99:
	v_and_b32_e32 v5, 0xffff, v77
	v_or_b32_e32 v6, 0x10000, v77
	s_delay_alu instid0(VALU_DEP_2) | instskip(NEXT) | instid1(VALU_DEP_2)
	v_cmp_eq_u32_e32 vcc_lo, 0, v5
	v_cndmask_b32_e32 v5, v6, v77, vcc_lo
; %bb.100:
	s_or_b32 exec_lo, exec_lo, s2
	v_and_b32_e32 v6, 0x7f800000, v78
	s_delay_alu instid0(VALU_DEP_1) | instskip(SKIP_1) | instid1(SALU_CYCLE_1)
	v_cmp_ne_u32_e32 vcc_lo, 0x7f800000, v6
                                        ; implicit-def: $vgpr6
	s_and_saveexec_b32 s2, vcc_lo
	s_xor_b32 s2, exec_lo, s2
; %bb.101:
	v_bfe_u32 v6, v78, 16, 1
	s_delay_alu instid0(VALU_DEP_1)
	v_add3_u32 v6, v78, v6, 0x7fff
; %bb.102:
	s_and_not1_saveexec_b32 s2, s2
; %bb.103:
	v_and_b32_e32 v6, 0xffff, v78
	v_or_b32_e32 v7, 0x10000, v78
	s_delay_alu instid0(VALU_DEP_2) | instskip(NEXT) | instid1(VALU_DEP_2)
	v_cmp_eq_u32_e32 vcc_lo, 0, v6
	v_cndmask_b32_e32 v6, v7, v78, vcc_lo
; %bb.104:
	s_or_b32 exec_lo, exec_lo, s2
	v_and_b32_e32 v7, 0x7f800000, v79
	s_delay_alu instid0(VALU_DEP_1) | instskip(SKIP_1) | instid1(SALU_CYCLE_1)
	v_cmp_ne_u32_e32 vcc_lo, 0x7f800000, v7
                                        ; implicit-def: $vgpr7
	s_and_saveexec_b32 s2, vcc_lo
	s_xor_b32 s2, exec_lo, s2
; %bb.105:
	v_bfe_u32 v7, v79, 16, 1
	s_delay_alu instid0(VALU_DEP_1)
	v_add3_u32 v7, v79, v7, 0x7fff
; %bb.106:
	s_and_not1_saveexec_b32 s2, s2
; %bb.107:
	v_and_b32_e32 v7, 0xffff, v79
	v_or_b32_e32 v8, 0x10000, v79
	s_delay_alu instid0(VALU_DEP_2) | instskip(NEXT) | instid1(VALU_DEP_2)
	v_cmp_eq_u32_e32 vcc_lo, 0, v7
	v_cndmask_b32_e32 v7, v8, v79, vcc_lo
; %bb.108:
	s_or_b32 exec_lo, exec_lo, s2
	v_and_b32_e32 v8, 0x7f800000, v80
	s_delay_alu instid0(VALU_DEP_1) | instskip(SKIP_1) | instid1(SALU_CYCLE_1)
	v_cmp_ne_u32_e32 vcc_lo, 0x7f800000, v8
                                        ; implicit-def: $vgpr8
	s_and_saveexec_b32 s2, vcc_lo
	s_xor_b32 s2, exec_lo, s2
; %bb.109:
	v_bfe_u32 v8, v80, 16, 1
	s_delay_alu instid0(VALU_DEP_1)
	v_add3_u32 v8, v80, v8, 0x7fff
                                        ; implicit-def: $vgpr73_vgpr74_vgpr75_vgpr76_vgpr77_vgpr78_vgpr79_vgpr80
; %bb.110:
	s_and_not1_saveexec_b32 s2, s2
; %bb.111:
	v_and_b32_e32 v8, 0xffff, v80
	v_or_b32_e32 v9, 0x10000, v80
	s_delay_alu instid0(VALU_DEP_2) | instskip(NEXT) | instid1(VALU_DEP_2)
	v_cmp_eq_u32_e32 vcc_lo, 0, v8
	v_cndmask_b32_e32 v8, v9, v80, vcc_lo
; %bb.112:
	s_or_b32 exec_lo, exec_lo, s2
	s_delay_alu instid0(VALU_DEP_1)
	v_perm_b32 v7, v8, v7, 0x7060302
	v_perm_b32 v6, v6, v5, 0x7060302
	;; [unrolled: 1-line block ×4, first 2 shown]
	v_lshl_or_b32 v9, v83, 4, v90
	s_barrier
	buffer_gl0_inv
	v_cmp_eq_u32_e32 vcc_lo, 1, v87
	ds_store_b128 v9, v[4:7]
	s_waitcnt lgkmcnt(0)
	s_barrier
	buffer_gl0_inv
	ds_load_b128 v[1:4], v90
	ds_load_b128 v[5:8], v90 offset:16
	v_cmp_eq_u32_e64 s3, 2, v87
	v_cmp_eq_u32_e64 s2, 1, v88
	v_cmp_eq_u32_e64 s4, 3, v87
	v_cmp_eq_u32_e64 s6, 2, v86
	v_cmp_eq_u32_e64 s5, 7, v88
	s_waitcnt lgkmcnt(1)
	v_lshrrev_b32_e32 v10, 16, v1
	s_waitcnt lgkmcnt(0)
	v_lshrrev_b32_e32 v14, 16, v5
	v_lshrrev_b32_e32 v15, 16, v6
	v_lshrrev_b32_e32 v11, 16, v2
	v_lshrrev_b32_e32 v12, 16, v3
	v_cndmask_b32_e64 v20, v1, v10, s2
	v_cndmask_b32_e32 v19, v5, v14, vcc_lo
	v_cndmask_b32_e64 v21, v5, v14, s2
	v_lshrrev_b32_e32 v16, 16, v7
	v_cmp_eq_u32_e64 s2, 1, v86
	v_lshrrev_b32_e32 v13, 16, v4
	v_cndmask_b32_e64 v19, v19, v6, s3
	v_lshrrev_b32_e32 v17, 16, v8
	s_delay_alu instid0(VALU_DEP_4) | instskip(SKIP_1) | instid1(VALU_DEP_4)
	v_cndmask_b32_e64 v22, v1, v10, s2
	v_cndmask_b32_e64 v23, v5, v14, s2
	;; [unrolled: 1-line block ×3, first 2 shown]
	v_cndmask_b32_e32 v18, v1, v10, vcc_lo
	v_cmp_eq_u32_e32 vcc_lo, 2, v88
	v_cmp_eq_u32_e64 s2, 2, v89
	v_cndmask_b32_e64 v22, v22, v2, s6
	v_cndmask_b32_e32 v20, v20, v2, vcc_lo
	v_cndmask_b32_e32 v21, v21, v6, vcc_lo
	v_cmp_eq_u32_e32 vcc_lo, 4, v87
	v_cndmask_b32_e32 v19, v19, v7, vcc_lo
	v_cndmask_b32_e64 v18, v18, v2, s3
	v_cmp_eq_u32_e64 s3, 3, v88
	s_delay_alu instid0(VALU_DEP_2) | instskip(NEXT) | instid1(VALU_DEP_2)
	v_cndmask_b32_e64 v18, v18, v11, s4
	v_cndmask_b32_e64 v21, v21, v15, s3
	v_cmp_eq_u32_e64 s4, 5, v87
	s_delay_alu instid0(VALU_DEP_3) | instskip(SKIP_1) | instid1(VALU_DEP_3)
	v_cndmask_b32_e32 v18, v18, v3, vcc_lo
	v_cmp_eq_u32_e32 vcc_lo, 4, v88
	v_cndmask_b32_e64 v19, v19, v16, s4
	s_delay_alu instid0(VALU_DEP_3) | instskip(SKIP_4) | instid1(VALU_DEP_3)
	v_cndmask_b32_e64 v18, v18, v12, s4
	v_cndmask_b32_e32 v21, v21, v7, vcc_lo
	v_cndmask_b32_e64 v20, v20, v11, s3
	v_cmp_eq_u32_e64 s3, 5, v88
	v_cmp_eq_u32_e64 s4, 6, v87
	v_cndmask_b32_e32 v20, v20, v3, vcc_lo
	s_delay_alu instid0(VALU_DEP_3) | instskip(SKIP_1) | instid1(VALU_DEP_4)
	v_cndmask_b32_e64 v21, v21, v16, s3
	v_cmp_eq_u32_e32 vcc_lo, 6, v88
	v_cndmask_b32_e64 v18, v18, v4, s4
	v_cndmask_b32_e64 v19, v19, v8, s4
	;; [unrolled: 1-line block ×3, first 2 shown]
	v_cmp_eq_u32_e64 s3, 1, v89
	v_cmp_eq_u32_e64 s4, 7, v87
	s_delay_alu instid0(VALU_DEP_3) | instskip(NEXT) | instid1(VALU_DEP_3)
	v_cndmask_b32_e32 v20, v20, v4, vcc_lo
	v_cndmask_b32_e64 v1, v1, v10, s3
	v_cndmask_b32_e64 v5, v5, v14, s3
	v_cmp_eq_u32_e64 s3, 3, v86
	v_cndmask_b32_e64 v14, v23, v6, s6
	v_cmp_eq_u32_e64 s6, 3, v89
	v_cndmask_b32_e64 v1, v1, v2, s2
	v_cndmask_b32_e64 v2, v5, v6, s2
	;; [unrolled: 1-line block ×3, first 2 shown]
	v_cmp_eq_u32_e64 s2, 4, v86
	v_cndmask_b32_e64 v6, v14, v15, s3
	v_cndmask_b32_e64 v1, v1, v11, s6
	v_cmp_eq_u32_e64 s3, 4, v89
	v_cndmask_b32_e64 v2, v2, v15, s6
	v_cndmask_b32_e64 v5, v10, v3, s2
	;; [unrolled: 3-line block ×3, first 2 shown]
	v_cndmask_b32_e64 v2, v2, v7, s3
	v_cmp_eq_u32_e64 s2, 5, v89
	v_cndmask_b32_e64 v5, v5, v12, s6
	v_cmp_eq_u32_e64 s3, 6, v86
	;; [unrolled: 2-line block ×3, first 2 shown]
	v_cndmask_b32_e64 v1, v1, v12, s2
	v_cndmask_b32_e64 v2, v2, v16, s2
	;; [unrolled: 1-line block ×4, first 2 shown]
	v_cmp_eq_u32_e64 s2, 7, v89
	v_cndmask_b32_e64 v1, v1, v4, s6
	v_cndmask_b32_e64 v2, v2, v8, s6
	v_cmp_eq_u32_e64 s3, 7, v86
	v_cndmask_b32_e32 v4, v21, v8, vcc_lo
	v_cndmask_b32_e64 v18, v18, v13, s4
	v_cndmask_b32_e64 v20, v20, v13, s5
	;; [unrolled: 1-line block ×8, first 2 shown]
	s_mov_b32 s2, exec_lo
	v_perm_b32 v4, v2, v1, 0x5040100
	v_perm_b32 v3, v3, v5, 0x5040100
	;; [unrolled: 1-line block ×4, first 2 shown]
	ds_store_b128 v9, v[1:4]
	s_waitcnt lgkmcnt(0)
	s_barrier
	buffer_gl0_inv
	v_cmpx_gt_u32_e32 32, v0
	s_cbranch_execz .LBB695_2
; %bb.113:
	s_load_b64 s[0:1], s[0:1], 0x68
	s_lshl_b32 s4, s34, 7
	v_or_b32_e32 v3, s29, v83
	s_mul_i32 s2, s4, s30
	v_lshlrev_b32_e32 v0, 10, v0
	s_mul_i32 s2, s2, s7
	v_lshlrev_b32_e32 v1, 4, v84
	s_ashr_i32 s3, s2, 31
	v_mul_lo_u32 v12, v3, s4
	s_lshl_b64 s[2:3], s[2:3], 1
	v_lshlrev_b32_e32 v2, 6, v83
	v_and_b32_e32 v0, 0x3800, v0
	s_delay_alu instid0(VALU_DEP_1) | instskip(NEXT) | instid1(VALU_DEP_4)
	v_or3_b32 v8, v0, v1, v2
	v_ashrrev_i32_e32 v13, 31, v12
	ds_load_b128 v[0:3], v8
	ds_load_b128 v[4:7], v8 offset:128
	ds_load_b128 v[8:11], v8 offset:256
	s_waitcnt lgkmcnt(0)
	s_add_u32 s2, s0, s2
	s_addc_u32 s3, s1, s3
	s_lshl_b32 s0, s14, 7
	s_delay_alu instid0(SALU_CYCLE_1) | instskip(NEXT) | instid1(SALU_CYCLE_1)
	s_ashr_i32 s1, s0, 31
	s_lshl_b64 s[0:1], s[0:1], 1
	s_delay_alu instid0(SALU_CYCLE_1)
	s_add_u32 s0, s2, s0
	s_addc_u32 s1, s3, s1
	s_lshl_b32 s2, s34, 8
	v_add_co_u32 v18, vcc_lo, s0, v81
	v_add_nc_u32_e32 v14, s2, v12
	v_lshlrev_b64 v[12:13], 1, v[12:13]
	v_add_co_ci_u32_e32 v19, vcc_lo, s1, v82, vcc_lo
	s_delay_alu instid0(VALU_DEP_3) | instskip(SKIP_1) | instid1(VALU_DEP_4)
	v_add_nc_u32_e32 v16, s2, v14
	v_ashrrev_i32_e32 v15, 31, v14
	v_add_co_u32 v12, vcc_lo, v18, v12
	s_delay_alu instid0(VALU_DEP_4) | instskip(NEXT) | instid1(VALU_DEP_4)
	v_add_co_ci_u32_e32 v13, vcc_lo, v19, v13, vcc_lo
	v_ashrrev_i32_e32 v17, 31, v16
	s_delay_alu instid0(VALU_DEP_4) | instskip(NEXT) | instid1(VALU_DEP_2)
	v_lshlrev_b64 v[14:15], 1, v[14:15]
	v_lshlrev_b64 v[16:17], 1, v[16:17]
	s_delay_alu instid0(VALU_DEP_2) | instskip(NEXT) | instid1(VALU_DEP_3)
	v_add_co_u32 v14, vcc_lo, v18, v14
	v_add_co_ci_u32_e32 v15, vcc_lo, v19, v15, vcc_lo
	s_delay_alu instid0(VALU_DEP_3) | instskip(NEXT) | instid1(VALU_DEP_4)
	v_add_co_u32 v16, vcc_lo, v18, v16
	v_add_co_ci_u32_e32 v17, vcc_lo, v19, v17, vcc_lo
	s_clause 0x2
	global_store_b128 v[12:13], v[0:3], off
	global_store_b128 v[14:15], v[4:7], off
	;; [unrolled: 1-line block ×3, first 2 shown]
	s_nop 0
	s_sendmsg sendmsg(MSG_DEALLOC_VGPRS)
	s_endpgm
	.section	.rodata,"a",@progbits
	.p2align	6, 0x0
	.amdhsa_kernel _Z39paged_attention_ll4mi_QKV_mfma16_kernelI14__hip_bfloat16S0_LN4vllm18Fp8KVCacheDataTypeE0EhLi32ELi128ELi256ELb1ELi6EL8MFMAType0EEvPKT_PKT0_S9_ifPKiSB_SB_iPKfiiiPfSE_PS4_PT2_iSD_SD_
		.amdhsa_group_segment_fixed_size 17472
		.amdhsa_private_segment_fixed_size 0
		.amdhsa_kernarg_size 400
		.amdhsa_user_sgpr_count 13
		.amdhsa_user_sgpr_dispatch_ptr 0
		.amdhsa_user_sgpr_queue_ptr 0
		.amdhsa_user_sgpr_kernarg_segment_ptr 1
		.amdhsa_user_sgpr_dispatch_id 0
		.amdhsa_user_sgpr_private_segment_size 0
		.amdhsa_wavefront_size32 1
		.amdhsa_uses_dynamic_stack 0
		.amdhsa_enable_private_segment 0
		.amdhsa_system_sgpr_workgroup_id_x 1
		.amdhsa_system_sgpr_workgroup_id_y 1
		.amdhsa_system_sgpr_workgroup_id_z 1
		.amdhsa_system_sgpr_workgroup_info 0
		.amdhsa_system_vgpr_workitem_id 0
		.amdhsa_next_free_vgpr 157
		.amdhsa_next_free_sgpr 38
		.amdhsa_reserve_vcc 1
		.amdhsa_float_round_mode_32 0
		.amdhsa_float_round_mode_16_64 0
		.amdhsa_float_denorm_mode_32 3
		.amdhsa_float_denorm_mode_16_64 3
		.amdhsa_dx10_clamp 1
		.amdhsa_ieee_mode 1
		.amdhsa_fp16_overflow 0
		.amdhsa_workgroup_processor_mode 1
		.amdhsa_memory_ordered 1
		.amdhsa_forward_progress 0
		.amdhsa_shared_vgpr_count 0
		.amdhsa_exception_fp_ieee_invalid_op 0
		.amdhsa_exception_fp_denorm_src 0
		.amdhsa_exception_fp_ieee_div_zero 0
		.amdhsa_exception_fp_ieee_overflow 0
		.amdhsa_exception_fp_ieee_underflow 0
		.amdhsa_exception_fp_ieee_inexact 0
		.amdhsa_exception_int_div_zero 0
	.end_amdhsa_kernel
	.section	.text._Z39paged_attention_ll4mi_QKV_mfma16_kernelI14__hip_bfloat16S0_LN4vllm18Fp8KVCacheDataTypeE0EhLi32ELi128ELi256ELb1ELi6EL8MFMAType0EEvPKT_PKT0_S9_ifPKiSB_SB_iPKfiiiPfSE_PS4_PT2_iSD_SD_,"axG",@progbits,_Z39paged_attention_ll4mi_QKV_mfma16_kernelI14__hip_bfloat16S0_LN4vllm18Fp8KVCacheDataTypeE0EhLi32ELi128ELi256ELb1ELi6EL8MFMAType0EEvPKT_PKT0_S9_ifPKiSB_SB_iPKfiiiPfSE_PS4_PT2_iSD_SD_,comdat
.Lfunc_end695:
	.size	_Z39paged_attention_ll4mi_QKV_mfma16_kernelI14__hip_bfloat16S0_LN4vllm18Fp8KVCacheDataTypeE0EhLi32ELi128ELi256ELb1ELi6EL8MFMAType0EEvPKT_PKT0_S9_ifPKiSB_SB_iPKfiiiPfSE_PS4_PT2_iSD_SD_, .Lfunc_end695-_Z39paged_attention_ll4mi_QKV_mfma16_kernelI14__hip_bfloat16S0_LN4vllm18Fp8KVCacheDataTypeE0EhLi32ELi128ELi256ELb1ELi6EL8MFMAType0EEvPKT_PKT0_S9_ifPKiSB_SB_iPKfiiiPfSE_PS4_PT2_iSD_SD_
                                        ; -- End function
	.section	.AMDGPU.csdata,"",@progbits
; Kernel info:
; codeLenInByte = 9700
; NumSgprs: 40
; NumVgprs: 157
; ScratchSize: 0
; MemoryBound: 0
; FloatMode: 240
; IeeeMode: 1
; LDSByteSize: 17472 bytes/workgroup (compile time only)
; SGPRBlocks: 4
; VGPRBlocks: 19
; NumSGPRsForWavesPerEU: 40
; NumVGPRsForWavesPerEU: 157
; Occupancy: 9
; WaveLimiterHint : 1
; COMPUTE_PGM_RSRC2:SCRATCH_EN: 0
; COMPUTE_PGM_RSRC2:USER_SGPR: 13
; COMPUTE_PGM_RSRC2:TRAP_HANDLER: 0
; COMPUTE_PGM_RSRC2:TGID_X_EN: 1
; COMPUTE_PGM_RSRC2:TGID_Y_EN: 1
; COMPUTE_PGM_RSRC2:TGID_Z_EN: 1
; COMPUTE_PGM_RSRC2:TIDIG_COMP_CNT: 0
	.section	.text._Z39paged_attention_ll4mi_QKV_mfma16_kernelI14__hip_bfloat16S0_LN4vllm18Fp8KVCacheDataTypeE0EhLi32ELi128ELi256ELb1ELi7EL8MFMAType0EEvPKT_PKT0_S9_ifPKiSB_SB_iPKfiiiPfSE_PS4_PT2_iSD_SD_,"axG",@progbits,_Z39paged_attention_ll4mi_QKV_mfma16_kernelI14__hip_bfloat16S0_LN4vllm18Fp8KVCacheDataTypeE0EhLi32ELi128ELi256ELb1ELi7EL8MFMAType0EEvPKT_PKT0_S9_ifPKiSB_SB_iPKfiiiPfSE_PS4_PT2_iSD_SD_,comdat
	.protected	_Z39paged_attention_ll4mi_QKV_mfma16_kernelI14__hip_bfloat16S0_LN4vllm18Fp8KVCacheDataTypeE0EhLi32ELi128ELi256ELb1ELi7EL8MFMAType0EEvPKT_PKT0_S9_ifPKiSB_SB_iPKfiiiPfSE_PS4_PT2_iSD_SD_ ; -- Begin function _Z39paged_attention_ll4mi_QKV_mfma16_kernelI14__hip_bfloat16S0_LN4vllm18Fp8KVCacheDataTypeE0EhLi32ELi128ELi256ELb1ELi7EL8MFMAType0EEvPKT_PKT0_S9_ifPKiSB_SB_iPKfiiiPfSE_PS4_PT2_iSD_SD_
	.globl	_Z39paged_attention_ll4mi_QKV_mfma16_kernelI14__hip_bfloat16S0_LN4vllm18Fp8KVCacheDataTypeE0EhLi32ELi128ELi256ELb1ELi7EL8MFMAType0EEvPKT_PKT0_S9_ifPKiSB_SB_iPKfiiiPfSE_PS4_PT2_iSD_SD_
	.p2align	8
	.type	_Z39paged_attention_ll4mi_QKV_mfma16_kernelI14__hip_bfloat16S0_LN4vllm18Fp8KVCacheDataTypeE0EhLi32ELi128ELi256ELb1ELi7EL8MFMAType0EEvPKT_PKT0_S9_ifPKiSB_SB_iPKfiiiPfSE_PS4_PT2_iSD_SD_,@function
_Z39paged_attention_ll4mi_QKV_mfma16_kernelI14__hip_bfloat16S0_LN4vllm18Fp8KVCacheDataTypeE0EhLi32ELi128ELi256ELb1ELi7EL8MFMAType0EEvPKT_PKT0_S9_ifPKiSB_SB_iPKfiiiPfSE_PS4_PT2_iSD_SD_: ; @_Z39paged_attention_ll4mi_QKV_mfma16_kernelI14__hip_bfloat16S0_LN4vllm18Fp8KVCacheDataTypeE0EhLi32ELi128ELi256ELb1ELi7EL8MFMAType0EEvPKT_PKT0_S9_ifPKiSB_SB_iPKfiiiPfSE_PS4_PT2_iSD_SD_
; %bb.0:
	s_load_b64 s[2:3], s[0:1], 0x30
	s_mov_b32 s30, s13
	s_waitcnt lgkmcnt(0)
	s_cmp_lg_u64 s[2:3], 0
	s_cselect_b32 s6, -1, 0
	s_ashr_i32 s31, s13, 31
	s_cmp_eq_u64 s[2:3], 0
	s_cbranch_scc1 .LBB696_3
; %bb.1:
	s_lshl_b64 s[4:5], s[30:31], 2
	s_delay_alu instid0(SALU_CYCLE_1) | instskip(SKIP_4) | instid1(SALU_CYCLE_1)
	s_add_u32 s4, s2, s4
	s_addc_u32 s5, s3, s5
	s_load_b64 s[4:5], s[4:5], 0x0
	s_waitcnt lgkmcnt(0)
	s_sub_i32 s4, s5, s4
	s_cmp_eq_u32 s4, 1
	s_cselect_b32 s4, -1, 0
	s_delay_alu instid0(SALU_CYCLE_1)
	s_and_not1_b32 vcc_lo, exec_lo, s4
	s_cbranch_vccz .LBB696_4
.LBB696_2:
	s_nop 0
	s_sendmsg sendmsg(MSG_DEALLOC_VGPRS)
	s_endpgm
.LBB696_3:
.LBB696_4:
	s_load_b64 s[8:9], s[0:1], 0x28
	s_lshl_b64 s[4:5], s[30:31], 2
	s_waitcnt lgkmcnt(0)
	s_add_u32 s8, s8, s4
	s_addc_u32 s9, s9, s5
	s_lshl_b32 s12, s14, 8
	s_load_b32 s17, s[8:9], 0x0
	s_waitcnt lgkmcnt(0)
	s_cmp_ge_i32 s12, s17
	s_cbranch_scc1 .LBB696_2
; %bb.5:
	s_and_not1_b32 vcc_lo, exec_lo, s6
	s_cbranch_vccnz .LBB696_7
; %bb.6:
	s_add_u32 s2, s2, s4
	s_addc_u32 s3, s3, s5
	s_load_b32 s13, s[2:3], 0x0
	s_branch .LBB696_8
.LBB696_7:
	s_mov_b32 s13, s30
.LBB696_8:
	s_clause 0x2
	s_load_b128 s[8:11], s[0:1], 0x8
	s_load_b64 s[2:3], s[0:1], 0x20
	s_load_b128 s[4:7], s[0:1], 0x48
	v_lshrrev_b32_e32 v74, 5, v0
	v_bfe_u32 v83, v0, 4, 1
	v_and_b32_e32 v73, 15, v0
	s_waitcnt lgkmcnt(0)
	s_mov_b32 s7, exec_lo
	s_delay_alu instid0(VALU_DEP_2) | instskip(NEXT) | instid1(VALU_DEP_2)
	v_lshl_or_b32 v3, v74, 1, v83
	v_lshlrev_b32_e32 v1, 3, v73
	s_delay_alu instid0(VALU_DEP_2)
	v_cmpx_lt_u32_e32 6, v3
	s_xor_b32 s7, exec_lo, s7
; %bb.9:
	v_mov_b32_e32 v2, 0
                                        ; implicit-def: $vgpr3
; %bb.10:
	s_or_saveexec_b32 s7, s7
	v_and_b32_e32 v75, 31, v0
	v_and_b32_e32 v84, 1, v0
	s_mul_i32 s31, s15, 7
	s_xor_b32 exec_lo, exec_lo, s7
	s_cbranch_execz .LBB696_12
; %bb.11:
	s_load_b64 s[18:19], s[0:1], 0x0
	v_add_lshl_u32 v4, v3, s31, 7
	s_mul_hi_i32 s21, s13, s4
	s_mul_i32 s20, s13, s4
	v_lshlrev_b32_e32 v2, 1, v1
	s_lshl_b64 s[20:21], s[20:21], 1
	v_ashrrev_i32_e32 v5, 31, v4
	v_lshlrev_b32_e32 v3, 6, v3
	v_lshlrev_b32_e32 v8, 10, v84
	s_delay_alu instid0(VALU_DEP_3) | instskip(SKIP_3) | instid1(VALU_DEP_1)
	v_lshlrev_b64 v[4:5], 1, v[4:5]
	s_waitcnt lgkmcnt(0)
	s_add_u32 s4, s18, s20
	s_addc_u32 s13, s19, s21
	v_add_co_u32 v4, vcc_lo, s4, v4
	s_delay_alu instid0(VALU_DEP_2) | instskip(NEXT) | instid1(VALU_DEP_2)
	v_add_co_ci_u32_e32 v5, vcc_lo, s13, v5, vcc_lo
	v_add_co_u32 v4, vcc_lo, v4, v2
	s_delay_alu instid0(VALU_DEP_2) | instskip(SKIP_3) | instid1(VALU_DEP_1)
	v_add_co_ci_u32_e32 v5, vcc_lo, 0, v5, vcc_lo
	v_lshlrev_b32_e32 v2, 10, v73
	global_load_b128 v[4:7], v[4:5], off
	v_and_b32_e32 v2, 0x3800, v2
	v_or3_b32 v3, v2, v8, v3
	v_mov_b32_e32 v2, 0
	s_waitcnt vmcnt(0)
	ds_store_b128 v3, v[4:7]
.LBB696_12:
	s_or_b32 exec_lo, exec_lo, s7
	v_and_b32_e32 v3, 0xef, v0
	v_mul_lo_u16 v80, v73, 37
	s_add_i32 s4, s17, 31
	s_clause 0x1
	s_load_b32 s7, s[0:1], 0x38
	s_load_b32 s18, s[0:1], 0x1c
	v_add_nc_u32_e32 v3, s12, v3
	v_lshrrev_b16 v80, 8, v80
	s_ashr_i32 s13, s4, 31
	s_waitcnt lgkmcnt(0)
	s_lshr_b32 s13, s13, 27
	v_ashrrev_i32_e32 v4, 31, v3
	v_mul_lo_u16 v80, v80, 7
	s_add_i32 s4, s4, s13
	v_cmp_gt_i32_e32 vcc_lo, s17, v3
	s_ashr_i32 s4, s4, 5
	v_lshrrev_b32_e32 v5, 27, v4
	v_or_b32_e32 v4, 16, v3
	v_sub_nc_u16 v80, v73, v80
	s_add_i32 s4, s4, -1
	s_barrier
	v_add_nc_u32_e32 v6, v3, v5
	v_add_nc_u32_e32 v5, v4, v5
	v_and_b32_e32 v80, 0xff, v80
	s_mul_i32 s20, s30, s7
	buffer_gl0_inv
	v_ashrrev_i32_e32 v6, 5, v6
	v_ashrrev_i32_e32 v5, 5, v5
	s_ashr_i32 s21, s20, 31
	v_lshlrev_b64 v[81:82], 1, v[1:2]
	s_lshl_b64 s[20:21], s[20:21], 2
	v_dual_cndmask_b32 v3, s4, v6 :: v_dual_lshlrev_b32 v80, 6, v80
	v_cmp_gt_i32_e32 vcc_lo, s17, v4
	s_add_u32 s13, s2, s20
	s_addc_u32 s16, s3, s21
	s_delay_alu instid0(VALU_DEP_2) | instskip(SKIP_3) | instid1(SALU_CYCLE_1)
	v_ashrrev_i32_e32 v4, 31, v3
	s_mul_i32 s2, s15, s6
	v_cndmask_b32_e32 v5, s4, v5, vcc_lo
	s_ashr_i32 s3, s2, 31
	s_lshl_b64 s[2:3], s[2:3], 1
	v_lshlrev_b64 v[3:4], 2, v[3:4]
	s_delay_alu instid0(VALU_DEP_2) | instskip(SKIP_3) | instid1(VALU_DEP_1)
	v_ashrrev_i32_e32 v6, 31, v5
	s_add_u32 s15, s8, s2
	s_addc_u32 s19, s9, s3
	s_lshl_b32 s6, s14, 3
	v_lshlrev_b64 v[5:6], 2, v[5:6]
	v_add_co_u32 v3, vcc_lo, s13, v3
	v_add_co_ci_u32_e32 v4, vcc_lo, s16, v4, vcc_lo
	s_ashr_i32 s7, s6, 31
	s_delay_alu instid0(VALU_DEP_3) | instskip(NEXT) | instid1(VALU_DEP_4)
	v_add_co_u32 v5, vcc_lo, s13, v5
	v_add_co_ci_u32_e32 v6, vcc_lo, s16, v6, vcc_lo
	s_clause 0x1
	global_load_b32 v7, v[3:4], off
	global_load_b32 v8, v[5:6], off
	s_lshl_b64 s[6:7], s[6:7], 2
	s_delay_alu instid0(SALU_CYCLE_1) | instskip(SKIP_2) | instid1(SALU_CYCLE_1)
	s_add_u32 s6, s13, s6
	s_addc_u32 s7, s16, s7
	s_or_b32 s8, s12, 32
	s_ashr_i32 s9, s8, 5
	s_cmp_lt_i32 s8, s17
	s_cselect_b32 s8, s9, s4
	s_delay_alu instid0(SALU_CYCLE_1) | instskip(NEXT) | instid1(SALU_CYCLE_1)
	s_ashr_i32 s9, s8, 31
	s_lshl_b64 s[8:9], s[8:9], 2
	s_delay_alu instid0(SALU_CYCLE_1) | instskip(SKIP_2) | instid1(SALU_CYCLE_1)
	s_add_u32 s8, s13, s8
	s_addc_u32 s9, s16, s9
	s_or_b32 s20, s12, 64
	s_ashr_i32 s21, s20, 5
	s_cmp_lt_i32 s20, s17
	s_cselect_b32 s20, s21, s4
	s_delay_alu instid0(SALU_CYCLE_1) | instskip(NEXT) | instid1(SALU_CYCLE_1)
	s_ashr_i32 s21, s20, 31
	;; [unrolled: 10-line block ×5, first 2 shown]
	s_lshl_b64 s[26:27], s[26:27], 2
	s_delay_alu instid0(SALU_CYCLE_1)
	s_add_u32 s26, s13, s26
	s_addc_u32 s27, s16, s27
	s_clause 0x5
	s_load_b32 s28, s[6:7], 0x0
	s_load_b32 s29, s[8:9], 0x0
	s_load_b32 s33, s[20:21], 0x0
	s_load_b32 s34, s[22:23], 0x0
	s_load_b32 s35, s[24:25], 0x0
	s_load_b32 s36, s[26:27], 0x0
	s_mov_b32 s20, 0
	s_or_b32 s6, s12, 0xc0
	s_mov_b32 s27, s20
	s_mov_b32 s21, s20
	;; [unrolled: 1-line block ×7, first 2 shown]
	s_delay_alu instid0(SALU_CYCLE_1)
	v_dual_mov_b32 v108, s27 :: v_dual_mov_b32 v107, s26
	v_dual_mov_b32 v106, s25 :: v_dual_mov_b32 v105, s24
	;; [unrolled: 1-line block ×4, first 2 shown]
	s_ashr_i32 s7, s6, 5
	s_cmp_lt_i32 s6, s17
	s_waitcnt lgkmcnt(0)
	s_mul_hi_i32 s9, s28, s5
	s_cselect_b32 s6, s7, s4
	s_mul_i32 s8, s28, s5
	s_ashr_i32 s7, s6, 31
	s_mul_hi_i32 s21, s29, s5
	s_lshl_b64 s[6:7], s[6:7], 2
	s_mul_i32 s20, s29, s5
	s_add_u32 s6, s13, s6
	s_addc_u32 s7, s16, s7
	s_mul_hi_i32 s25, s33, s5
	s_mul_i32 s24, s33, s5
	s_mul_hi_i32 s27, s34, s5
	s_mul_i32 s26, s34, s5
	s_mul_i32 s34, s36, s5
	s_waitcnt vmcnt(1)
	v_mad_i64_i32 v[3:4], null, v7, s5, 0
	s_waitcnt vmcnt(0)
	v_mad_i64_i32 v[5:6], null, v8, s5, 0
	s_delay_alu instid0(VALU_DEP_2) | instskip(NEXT) | instid1(VALU_DEP_2)
	v_lshlrev_b64 v[3:4], 1, v[3:4]
	v_lshlrev_b64 v[1:2], 1, v[5:6]
	s_delay_alu instid0(VALU_DEP_2) | instskip(NEXT) | instid1(VALU_DEP_3)
	v_add_co_u32 v3, vcc_lo, s15, v3
	v_add_co_ci_u32_e32 v4, vcc_lo, s19, v4, vcc_lo
	s_delay_alu instid0(VALU_DEP_3) | instskip(NEXT) | instid1(VALU_DEP_4)
	v_add_co_u32 v1, vcc_lo, s15, v1
	v_add_co_ci_u32_e32 v2, vcc_lo, s19, v2, vcc_lo
	s_delay_alu instid0(VALU_DEP_4) | instskip(NEXT) | instid1(VALU_DEP_4)
	v_add_co_u32 v65, vcc_lo, v3, v81
	v_add_co_ci_u32_e32 v66, vcc_lo, v4, v82, vcc_lo
	s_delay_alu instid0(VALU_DEP_4) | instskip(NEXT) | instid1(VALU_DEP_4)
	v_add_co_u32 v76, vcc_lo, v1, v81
	v_add_co_ci_u32_e32 v77, vcc_lo, v2, v82, vcc_lo
	s_clause 0xf
	global_load_b128 v[1:4], v[65:66], off
	global_load_b128 v[5:8], v[65:66], off offset:512
	global_load_b128 v[9:12], v[76:77], off offset:256
	;; [unrolled: 1-line block ×15, first 2 shown]
	v_add_co_u32 v78, vcc_lo, 0x1000, v65
	v_add_co_ci_u32_e32 v79, vcc_lo, 0, v66, vcc_lo
	v_add_co_u32 v76, vcc_lo, 0x1000, v76
	s_clause 0x1
	global_load_b128 v[65:68], v[78:79], off
	global_load_b128 v[69:72], v[78:79], off offset:512
	v_add_co_ci_u32_e32 v77, vcc_lo, 0, v77, vcc_lo
	ds_load_b128 v[85:88], v80
	ds_load_b128 v[89:92], v80 offset:1024
	s_clause 0x1
	global_load_b128 v[93:96], v[76:77], off offset:256
	global_load_b128 v[97:100], v[76:77], off offset:768
	ds_load_b128 v[109:112], v80 offset:2048
	ds_load_b128 v[113:116], v80 offset:3072
	s_or_b32 s15, s12, 0xe0
	s_delay_alu instid0(SALU_CYCLE_1) | instskip(SKIP_2) | instid1(SALU_CYCLE_1)
	s_ashr_i32 s19, s15, 5
	s_cmp_lt_i32 s15, s17
	s_cselect_b32 s22, s19, s4
	s_ashr_i32 s23, s22, 31
	s_delay_alu instid0(SALU_CYCLE_1) | instskip(NEXT) | instid1(SALU_CYCLE_1)
	s_lshl_b64 s[22:23], s[22:23], 2
	s_add_u32 s22, s13, s22
	s_addc_u32 s23, s16, s23
	s_add_i32 s15, s12, 0x100
	s_delay_alu instid0(SALU_CYCLE_1) | instskip(SKIP_2) | instid1(SALU_CYCLE_1)
	s_ashr_i32 s19, s15, 5
	s_cmp_lt_i32 s15, s17
	s_cselect_b32 s28, s19, s4
	s_ashr_i32 s29, s28, 31
	s_delay_alu instid0(SALU_CYCLE_1) | instskip(NEXT) | instid1(SALU_CYCLE_1)
	s_lshl_b64 s[28:29], s[28:29], 2
	s_add_u32 s28, s13, s28
	s_addc_u32 s29, s16, s29
	s_add_u32 s4, s10, s2
	s_addc_u32 s19, s11, s3
	s_lshl_b64 s[2:3], s[8:9], 1
	s_lshl_b64 s[8:9], s[20:21], 1
	;; [unrolled: 1-line block ×4, first 2 shown]
	s_waitcnt vmcnt(18) lgkmcnt(2)
	v_wmma_f32_16x16x16_bf16 v[117:124], v[1:8], v[85:92], v[101:108]
	s_waitcnt vmcnt(16)
	v_wmma_f32_16x16x16_bf16 v[101:108], v[9:16], v[85:92], v[101:108]
	s_clause 0x3
	global_load_b128 v[1:4], v[78:79], off offset:1024
	global_load_b128 v[5:8], v[78:79], off offset:1536
	;; [unrolled: 1-line block ×4, first 2 shown]
	s_waitcnt vmcnt(18) lgkmcnt(0)
	v_wmma_f32_16x16x16_bf16 v[117:124], v[17:24], v[109:116], v[117:124]
	s_clause 0x1
	global_load_b128 v[17:20], v[78:79], off offset:2048
	global_load_b128 v[21:24], v[78:79], off offset:2560
	s_waitcnt vmcnt(18)
	v_wmma_f32_16x16x16_bf16 v[101:108], v[25:32], v[109:116], v[101:108]
	ds_load_b128 v[25:28], v80 offset:4096
	ds_load_b128 v[29:32], v80 offset:5120
	s_clause 0x5
	global_load_b128 v[109:112], v[76:77], off offset:2304
	global_load_b128 v[113:116], v[76:77], off offset:2816
	;; [unrolled: 1-line block ×6, first 2 shown]
	s_waitcnt vmcnt(22) lgkmcnt(0)
	v_wmma_f32_16x16x16_bf16 v[117:124], v[33:40], v[25:32], v[117:124]
	s_waitcnt vmcnt(20)
	v_wmma_f32_16x16x16_bf16 v[101:108], v[41:48], v[25:32], v[101:108]
	ds_load_b128 v[25:28], v80 offset:6144
	ds_load_b128 v[29:32], v80 offset:7168
	;; [unrolled: 1-line block ×4, first 2 shown]
	s_waitcnt vmcnt(18) lgkmcnt(2)
	v_wmma_f32_16x16x16_bf16 v[117:124], v[49:56], v[25:32], v[117:124]
	s_waitcnt vmcnt(16)
	v_wmma_f32_16x16x16_bf16 v[101:108], v[57:64], v[25:32], v[101:108]
	ds_load_b128 v[25:28], v80 offset:10240
	ds_load_b128 v[29:32], v80 offset:11264
	;; [unrolled: 1-line block ×6, first 2 shown]
	s_waitcnt vmcnt(14) lgkmcnt(6)
	v_wmma_f32_16x16x16_bf16 v[117:124], v[65:72], v[33:40], v[117:124]
	s_waitcnt vmcnt(12)
	v_wmma_f32_16x16x16_bf16 v[101:108], v[93:100], v[33:40], v[101:108]
	s_clause 0x2
	s_load_b32 s15, s[6:7], 0x0
	s_load_b32 s13, s[22:23], 0x0
	;; [unrolled: 1-line block ×3, first 2 shown]
	s_mul_hi_i32 s7, s35, s5
	s_mul_i32 s6, s35, s5
	s_mul_hi_i32 s35, s36, s5
	s_lshl_b64 s[6:7], s[6:7], 1
	s_lshl_b64 s[22:23], s[34:35], 1
	s_waitcnt lgkmcnt(0)
	s_mul_hi_i32 s25, s15, s5
	s_mul_i32 s24, s15, s5
	s_waitcnt vmcnt(10)
	v_wmma_f32_16x16x16_bf16 v[117:124], v[1:8], v[25:32], v[117:124]
	s_waitcnt vmcnt(8)
	v_wmma_f32_16x16x16_bf16 v[101:108], v[9:16], v[25:32], v[101:108]
	s_waitcnt vmcnt(6)
	s_delay_alu instid0(VALU_DEP_2) | instskip(SKIP_1) | instid1(VALU_DEP_2)
	v_wmma_f32_16x16x16_bf16 v[117:124], v[17:24], v[141:148], v[117:124]
	s_waitcnt vmcnt(4)
	v_wmma_f32_16x16x16_bf16 v[101:108], v[109:116], v[141:148], v[101:108]
	s_waitcnt vmcnt(2)
	s_delay_alu instid0(VALU_DEP_2) | instskip(SKIP_3) | instid1(VALU_DEP_3)
	v_wmma_f32_16x16x16_bf16 v[117:124], v[125:132], v[149:156], v[117:124]
	v_lshlrev_b32_e32 v85, 6, v73
	s_waitcnt vmcnt(0)
	v_wmma_f32_16x16x16_bf16 v[101:108], v[133:140], v[149:156], v[101:108]
	v_mul_f32_e32 v100, s18, v124
	s_delay_alu instid0(VALU_DEP_3) | instskip(SKIP_2) | instid1(VALU_DEP_3)
	v_lshl_or_b32 v41, v74, 10, v85
	v_mul_f32_e32 v97, s18, v117
	v_mul_f32_e32 v99, s18, v118
	v_add_co_u32 v76, s4, s4, v41
	s_delay_alu instid0(VALU_DEP_1) | instskip(NEXT) | instid1(VALU_DEP_2)
	v_add_co_ci_u32_e64 v77, null, s19, 0, s4
	v_add_co_u32 v41, vcc_lo, v76, s2
	s_delay_alu instid0(VALU_DEP_2)
	v_add_co_ci_u32_e32 v42, vcc_lo, s3, v77, vcc_lo
	v_add_co_u32 v33, vcc_lo, v76, s8
	v_add_co_ci_u32_e32 v34, vcc_lo, s9, v77, vcc_lo
	v_add_co_u32 v35, vcc_lo, v76, s10
	;; [unrolled: 2-line block ×5, first 2 shown]
	s_lshl_b64 s[2:3], s[24:25], 1
	v_add_co_ci_u32_e32 v6, vcc_lo, s23, v77, vcc_lo
	s_mul_hi_i32 s7, s13, s5
	s_mul_i32 s6, s13, s5
	v_add_co_u32 v17, vcc_lo, v76, s2
	v_add_co_ci_u32_e32 v18, vcc_lo, s3, v77, vcc_lo
	s_lshl_b64 s[2:3], s[6:7], 1
	s_mul_hi_i32 s7, s16, s5
	s_mul_i32 s6, s16, s5
	v_add_co_u32 v19, vcc_lo, v76, s2
	v_add_co_ci_u32_e32 v20, vcc_lo, s3, v77, vcc_lo
	s_lshl_b64 s[2:3], s[6:7], 1
	s_clause 0x1
	global_load_b128 v[65:68], v[41:42], off
	global_load_b128 v[69:72], v[41:42], off offset:16
	v_add_co_u32 v21, vcc_lo, v76, s2
	v_add_co_ci_u32_e32 v22, vcc_lo, s3, v77, vcc_lo
	s_clause 0xf
	global_load_b128 v[57:60], v[33:34], off
	global_load_b128 v[61:64], v[33:34], off offset:16
	global_load_b128 v[49:52], v[35:36], off
	global_load_b128 v[53:56], v[35:36], off offset:16
	;; [unrolled: 2-line block ×8, first 2 shown]
	v_mbcnt_lo_u32_b32 v77, -1, 0
	v_and_b32_e32 v76, 0xe0, v0
	s_waitcnt vmcnt(0)
	s_barrier
	buffer_gl0_inv
	v_xor_b32_e32 v78, 16, v77
	s_delay_alu instid0(VALU_DEP_1) | instskip(SKIP_1) | instid1(VALU_DEP_1)
	v_cmp_gt_i32_e32 vcc_lo, 32, v78
	v_dual_cndmask_b32 v77, v77, v78 :: v_dual_add_nc_u32 v76, s12, v76
	v_or_b32_e32 v76, v76, v83
	s_delay_alu instid0(VALU_DEP_1)
	v_or_b32_e32 v78, 2, v76
	v_or_b32_e32 v79, 4, v76
	;; [unrolled: 1-line block ×3, first 2 shown]
	v_cmp_gt_i32_e32 vcc_lo, s17, v76
	v_or_b32_e32 v86, 8, v76
	v_cmp_gt_i32_e64 s2, s17, v78
	v_or_b32_e32 v87, 10, v76
	v_or_b32_e32 v88, 12, v76
	;; [unrolled: 1-line block ×11, first 2 shown]
	v_cndmask_b32_e64 v78, 0xff7fffff, v99, s2
	v_mul_f32_e32 v99, s18, v120
	v_cmp_gt_i32_e64 s3, s17, v80
	v_mul_f32_e32 v80, s18, v119
	v_cndmask_b32_e32 v76, 0xff7fffff, v97, vcc_lo
	v_cmp_gt_i32_e64 s4, s17, v79
	v_mul_f32_e32 v79, s18, v122
	v_cmp_gt_i32_e64 s5, s17, v86
	v_cmp_gt_i32_e64 s6, s17, v87
	v_max3_f32 v76, v76, 0xff7fffff, v78
	v_mul_f32_e32 v78, s18, v121
	v_cndmask_b32_e64 v80, 0xff7fffff, v80, s4
	v_mul_f32_e32 v86, s18, v107
	v_cndmask_b32_e64 v99, 0xff7fffff, v99, s3
	;; [unrolled: 2-line block ×3, first 2 shown]
	v_cndmask_b32_e64 v79, 0xff7fffff, v79, s6
	v_cmp_gt_i32_e64 s7, s17, v89
	v_max3_f32 v76, v76, v80, v99
	v_mul_f32_e32 v80, s18, v108
	v_cmp_gt_i32_e64 s8, s17, v88
	v_dual_mul_f32 v99, s18, v105 :: v_dual_mul_f32 v88, s18, v102
	s_delay_alu instid0(VALU_DEP_4) | instskip(SKIP_1) | instid1(VALU_DEP_4)
	v_max3_f32 v76, v76, v78, v79
	v_mul_f32_e32 v89, s18, v101
	v_cndmask_b32_e64 v97, 0xff7fffff, v97, s8
	v_cndmask_b32_e64 v100, 0xff7fffff, v100, s7
	v_cmp_gt_i32_e64 s9, s17, v90
	v_cmp_gt_i32_e64 s10, s17, v91
	v_dual_mul_f32 v78, s18, v104 :: v_dual_mul_f32 v79, s18, v103
	s_delay_alu instid0(VALU_DEP_4) | instskip(NEXT) | instid1(VALU_DEP_4)
	v_max3_f32 v76, v76, v97, v100
	v_cndmask_b32_e64 v89, 0xff7fffff, v89, s9
	s_delay_alu instid0(VALU_DEP_4)
	v_cndmask_b32_e64 v88, 0xff7fffff, v88, s10
	v_cmp_gt_i32_e64 s11, s17, v92
	v_cmp_gt_i32_e64 s12, s17, v93
	v_mul_f32_e32 v87, s18, v106
	v_cmp_gt_i32_e64 s13, s17, v94
	v_max3_f32 v76, v76, v89, v88
	v_cndmask_b32_e64 v79, 0xff7fffff, v79, s11
	v_cndmask_b32_e64 v78, 0xff7fffff, v78, s12
	v_cmp_gt_i32_e64 s15, s17, v95
	v_cndmask_b32_e64 v88, 0xff7fffff, v99, s13
	v_cmp_gt_i32_e64 s16, s17, v96
	v_cmp_gt_i32_e64 s17, s17, v98
	v_max3_f32 v76, v76, v79, v78
	v_cndmask_b32_e64 v87, 0xff7fffff, v87, s15
	v_lshlrev_b32_e32 v99, 2, v77
	v_cndmask_b32_e64 v78, 0xff7fffff, v86, s16
	v_cndmask_b32_e64 v79, 0xff7fffff, v80, s17
	s_delay_alu instid0(VALU_DEP_4) | instskip(NEXT) | instid1(VALU_DEP_1)
	v_max3_f32 v76, v76, v88, v87
	v_max3_f32 v76, v76, v78, v79
	ds_bpermute_b32 v77, v99, v76
	s_waitcnt lgkmcnt(0)
	v_max_f32_e32 v77, v77, v77
	s_delay_alu instid0(VALU_DEP_1) | instskip(NEXT) | instid1(VALU_DEP_1)
	v_max_f32_e32 v76, v76, v77
	v_fma_f32 v80, s18, v120, -v76
	v_fma_f32 v77, s18, v117, -v76
	v_fma_f32 v78, s18, v118, -v76
	v_fma_f32 v79, s18, v119, -v76
	v_fma_f32 v86, s18, v121, -v76
	v_mul_f32_e32 v80, 0x3fb8aa3b, v80
	v_fma_f32 v87, s18, v123, -v76
	v_mul_f32_e32 v78, 0x3fb8aa3b, v78
	v_fma_f32 v88, s18, v105, -v76
	v_mul_f32_e32 v86, 0x3fb8aa3b, v86
	v_exp_f32_e32 v80, v80
	v_fma_f32 v90, s18, v107, -v76
	v_exp_f32_e32 v78, v78
	v_fma_f32 v100, s18, v108, -v76
	v_exp_f32_e32 v86, v86
	v_mul_f32_e32 v88, 0x3fb8aa3b, v88
	s_delay_alu instid0(VALU_DEP_2) | instskip(NEXT) | instid1(TRANS32_DEP_3)
	v_mul_f32_e32 v100, 0x3fb8aa3b, v100
	v_cndmask_b32_e64 v95, 0, v80, s3
	v_mul_f32_e32 v77, 0x3fb8aa3b, v77
	s_delay_alu instid0(TRANS32_DEP_2) | instskip(SKIP_1) | instid1(TRANS32_DEP_1)
	v_cndmask_b32_e64 v91, 0, v78, s2
	v_fma_f32 v80, s18, v101, -v76
	v_cndmask_b32_e64 v96, 0, v86, s5
	v_fma_f32 v86, s18, v102, -v76
	v_exp_f32_e32 v77, v77
	s_delay_alu instid0(VALU_DEP_3) | instskip(SKIP_1) | instid1(VALU_DEP_2)
	v_dual_mul_f32 v79, 0x3fb8aa3b, v79 :: v_dual_mul_f32 v80, 0x3fb8aa3b, v80
	v_exp_f32_e32 v88, v88
	v_mul_f32_e32 v86, 0x3fb8aa3b, v86
	v_cmp_gt_u32_e64 s2, 16, v75
	v_exp_f32_e32 v100, v100
	v_exp_f32_e32 v80, v80
	s_delay_alu instid0(VALU_DEP_2) | instskip(SKIP_3) | instid1(VALU_DEP_1)
	v_exp_f32_e32 v86, v86
	v_cndmask_b32_e32 v92, 0, v77, vcc_lo
	v_exp_f32_e32 v79, v79
	v_fma_f32 v77, s18, v122, -v76
	v_dual_add_f32 v78, 0, v92 :: v_dual_mul_f32 v77, 0x3fb8aa3b, v77
	s_delay_alu instid0(VALU_DEP_1)
	v_add_f32_e32 v78, v78, v91
	s_waitcnt_depctr 0xfff
	v_cndmask_b32_e64 v93, 0, v79, s4
	v_fma_f32 v79, s18, v124, -v76
	v_mul_f32_e32 v87, 0x3fb8aa3b, v87
	v_exp_f32_e32 v77, v77
	s_delay_alu instid0(VALU_DEP_2) | instskip(NEXT) | instid1(VALU_DEP_2)
	v_dual_add_f32 v78, v78, v93 :: v_dual_mul_f32 v79, 0x3fb8aa3b, v79
	v_exp_f32_e32 v87, v87
	s_delay_alu instid0(VALU_DEP_1) | instskip(NEXT) | instid1(VALU_DEP_2)
	v_add_f32_e32 v78, v78, v95
	v_exp_f32_e32 v79, v79
	s_delay_alu instid0(TRANS32_DEP_3) | instskip(NEXT) | instid1(VALU_DEP_2)
	v_cndmask_b32_e64 v97, 0, v77, s6
	v_add_f32_e32 v77, v78, v96
	v_fma_f32 v78, s18, v103, -v76
	s_waitcnt_depctr 0xfff
	v_cndmask_b32_e64 v94, 0, v87, s8
	v_fma_f32 v87, s18, v104, -v76
	v_dual_add_f32 v77, v77, v97 :: v_dual_mul_f32 v78, 0x3fb8aa3b, v78
	v_cndmask_b32_e64 v98, 0, v79, s7
	s_delay_alu instid0(VALU_DEP_2) | instskip(SKIP_4) | instid1(VALU_DEP_2)
	v_add_f32_e32 v79, v77, v94
	v_cndmask_b32_e64 v77, 0, v80, s9
	v_fma_f32 v80, s18, v106, -v76
	v_exp_f32_e32 v89, v78
	v_cndmask_b32_e64 v78, 0, v86, s10
	v_dual_add_f32 v79, v79, v98 :: v_dual_mul_f32 v80, 0x3fb8aa3b, v80
	s_delay_alu instid0(VALU_DEP_1) | instskip(NEXT) | instid1(VALU_DEP_1)
	v_dual_mul_f32 v87, 0x3fb8aa3b, v87 :: v_dual_add_f32 v86, v79, v77
	v_exp_f32_e32 v87, v87
	s_waitcnt_depctr 0xfff
	v_cndmask_b32_e64 v79, 0, v89, s11
	v_add_f32_e32 v86, v86, v78
	v_mul_f32_e32 v89, 0x3fb8aa3b, v90
	v_exp_f32_e32 v90, v80
	v_cndmask_b32_e64 v80, 0, v87, s12
	s_delay_alu instid0(VALU_DEP_3) | instskip(SKIP_1) | instid1(VALU_DEP_2)
	v_add_f32_e32 v87, v86, v79
	v_cndmask_b32_e64 v86, 0, v88, s13
	v_add_f32_e32 v88, v87, v80
	v_exp_f32_e32 v89, v89
	s_waitcnt_depctr 0xfff
	v_cndmask_b32_e64 v87, 0, v90, s15
	v_add_f32_e32 v90, v88, v86
	v_cndmask_b32_e64 v88, 0, v89, s16
	s_delay_alu instid0(VALU_DEP_2) | instskip(NEXT) | instid1(VALU_DEP_1)
	v_add_f32_e32 v89, v90, v87
	v_add_f32_e32 v90, v89, v88
	v_cndmask_b32_e64 v89, 0, v100, s17
	s_delay_alu instid0(VALU_DEP_1)
	v_add_f32_e32 v90, v90, v89
	ds_bpermute_b32 v99, v99, v90
	s_and_saveexec_b32 s3, s2
	s_cbranch_execz .LBB696_14
; %bb.13:
	v_mul_u32_u24_e32 v75, 0x44, v74
	s_waitcnt lgkmcnt(0)
	v_add_f32_e32 v90, v90, v99
	s_delay_alu instid0(VALU_DEP_2) | instskip(NEXT) | instid1(VALU_DEP_1)
	v_lshl_add_u32 v75, v73, 2, v75
	v_add_nc_u32_e32 v75, 0x4000, v75
	ds_store_2addr_b32 v75, v76, v90 offset1:136
.LBB696_14:
	s_or_b32 exec_lo, exec_lo, s3
	v_lshlrev_b32_e32 v75, 2, v73
	s_waitcnt lgkmcnt(0)
	s_barrier
	buffer_gl0_inv
	v_cmp_eq_u32_e64 s3, 1, v74
	v_add_nc_u32_e32 v90, 0x4000, v75
	ds_load_2addr_b32 v[99:100], v90 offset1:17
	ds_load_2addr_b32 v[101:102], v90 offset0:34 offset1:51
	ds_load_2addr_b32 v[103:104], v90 offset0:68 offset1:85
	;; [unrolled: 1-line block ×4, first 2 shown]
	s_waitcnt lgkmcnt(4)
	v_max3_f32 v75, v99, 0xff7fffff, v100
	s_waitcnt lgkmcnt(3)
	s_delay_alu instid0(VALU_DEP_1) | instskip(SKIP_1) | instid1(VALU_DEP_1)
	v_max3_f32 v75, v75, v101, v102
	s_waitcnt lgkmcnt(2)
	v_max3_f32 v75, v75, v103, v104
	s_waitcnt lgkmcnt(1)
	s_delay_alu instid0(VALU_DEP_1) | instskip(NEXT) | instid1(VALU_DEP_1)
	v_max3_f32 v75, v75, v105, v106
	v_sub_f32_e32 v109, v100, v75
	v_sub_f32_e32 v76, v99, v75
	ds_load_2addr_b32 v[99:100], v90 offset0:170 offset1:187
	v_sub_f32_e32 v101, v101, v75
	v_dual_mul_f32 v109, 0x3fb8aa3b, v109 :: v_dual_mul_f32 v76, 0x3fb8aa3b, v76
	s_delay_alu instid0(VALU_DEP_2) | instskip(NEXT) | instid1(VALU_DEP_2)
	v_mul_f32_e32 v111, 0x3fb8aa3b, v101
	v_exp_f32_e32 v109, v109
	s_delay_alu instid0(VALU_DEP_2)
	v_exp_f32_e32 v110, v76
	v_sub_f32_e32 v76, v102, v75
	ds_load_2addr_b32 v[101:102], v90 offset0:204 offset1:221
	v_exp_f32_e32 v111, v111
	v_mul_f32_e32 v112, 0x3fb8aa3b, v76
	s_waitcnt lgkmcnt(2)
	v_fma_f32 v76, v110, v107, 0
	v_sub_f32_e32 v103, v103, v75
	s_delay_alu instid0(VALU_DEP_3) | instskip(NEXT) | instid1(VALU_DEP_2)
	v_exp_f32_e32 v112, v112
	v_dual_sub_f32 v107, v104, v75 :: v_dual_fmac_f32 v76, v109, v108
	s_waitcnt lgkmcnt(1)
	s_waitcnt_depctr 0xfff
	v_fmac_f32_e32 v76, v111, v99
	v_mul_f32_e32 v113, 0x3fb8aa3b, v103
	ds_load_2addr_b32 v[103:104], v90 offset0:238 offset1:255
	v_sub_f32_e32 v90, v105, v75
	v_dual_sub_f32 v99, v106, v75 :: v_dual_fmac_f32 v76, v112, v100
	v_mul_f32_e32 v105, 0x3fb8aa3b, v107
	v_exp_f32_e32 v107, v113
	s_delay_alu instid0(VALU_DEP_2)
	v_dual_mul_f32 v90, 0x3fb8aa3b, v90 :: v_dual_mul_f32 v99, 0x3fb8aa3b, v99
	s_waitcnt lgkmcnt(0)
	s_barrier
	buffer_gl0_inv
	v_exp_f32_e32 v90, v90
	v_exp_f32_e32 v99, v99
	v_fmac_f32_e32 v76, v107, v101
	v_exp_f32_e32 v105, v105
	s_waitcnt_depctr 0xfff
	v_fmac_f32_e32 v76, v105, v102
	s_delay_alu instid0(VALU_DEP_1) | instskip(NEXT) | instid1(VALU_DEP_1)
	v_fmac_f32_e32 v76, v90, v103
	v_fmac_f32_e32 v76, v99, v104
	s_delay_alu instid0(VALU_DEP_1) | instskip(NEXT) | instid1(VALU_DEP_1)
	v_add_f32_e32 v100, 0x358637bd, v76
	v_div_scale_f32 v101, null, v100, v100, 1.0
	v_div_scale_f32 v104, vcc_lo, 1.0, v100, 1.0
	s_delay_alu instid0(VALU_DEP_2) | instskip(SKIP_2) | instid1(VALU_DEP_1)
	v_rcp_f32_e32 v102, v101
	s_waitcnt_depctr 0xfff
	v_fma_f32 v103, -v101, v102, 1.0
	v_fmac_f32_e32 v102, v103, v102
	v_cndmask_b32_e64 v103, v110, v109, s3
	v_cmp_eq_u32_e64 s3, 2, v74
	s_delay_alu instid0(VALU_DEP_3) | instskip(NEXT) | instid1(VALU_DEP_2)
	v_mul_f32_e32 v106, v104, v102
	v_cndmask_b32_e64 v103, v103, v111, s3
	v_cmp_eq_u32_e64 s3, 3, v74
	s_delay_alu instid0(VALU_DEP_3) | instskip(NEXT) | instid1(VALU_DEP_2)
	v_fma_f32 v108, -v101, v106, v104
	v_cndmask_b32_e64 v103, v103, v112, s3
	v_cmp_eq_u32_e64 s3, 4, v74
	s_delay_alu instid0(VALU_DEP_3) | instskip(NEXT) | instid1(VALU_DEP_2)
	v_fmac_f32_e32 v106, v108, v102
	v_cndmask_b32_e64 v103, v103, v107, s3
	s_delay_alu instid0(VALU_DEP_2) | instskip(SKIP_1) | instid1(VALU_DEP_2)
	v_fma_f32 v101, -v101, v106, v104
	v_cmp_eq_u32_e64 s3, 5, v74
	v_div_fmas_f32 v101, v101, v102, v106
	s_delay_alu instid0(VALU_DEP_2) | instskip(SKIP_2) | instid1(VALU_DEP_3)
	v_cndmask_b32_e64 v103, v103, v105, s3
	v_cmp_eq_u32_e32 vcc_lo, 6, v74
	s_mov_b32 s3, exec_lo
	v_div_fixup_f32 v100, v101, v100, 1.0
	s_delay_alu instid0(VALU_DEP_3) | instskip(SKIP_1) | instid1(VALU_DEP_2)
	v_cndmask_b32_e32 v90, v103, v90, vcc_lo
	v_cmp_eq_u32_e32 vcc_lo, 7, v74
	v_cndmask_b32_e32 v90, v90, v99, vcc_lo
	s_delay_alu instid0(VALU_DEP_1) | instskip(NEXT) | instid1(VALU_DEP_1)
	v_mul_f32_e32 v90, v90, v100
	v_mul_f32_e32 v100, v90, v92
	;; [unrolled: 1-line block ×6, first 2 shown]
	v_and_b32_e32 v101, 0x7f800000, v100
	v_mul_f32_e32 v99, v90, v95
	v_mul_f32_e32 v95, v90, v91
	;; [unrolled: 1-line block ×3, first 2 shown]
                                        ; implicit-def: $vgpr91
	s_delay_alu instid0(VALU_DEP_4)
	v_cmpx_ne_u32_e32 0x7f800000, v101
	s_xor_b32 s3, exec_lo, s3
; %bb.15:
	v_bfe_u32 v91, v100, 16, 1
	s_delay_alu instid0(VALU_DEP_1)
	v_add3_u32 v91, v100, v91, 0x7fff
                                        ; implicit-def: $vgpr100
; %bb.16:
	s_and_not1_saveexec_b32 s3, s3
; %bb.17:
	v_and_b32_e32 v91, 0xffff, v100
	v_or_b32_e32 v93, 0x10000, v100
	s_delay_alu instid0(VALU_DEP_2) | instskip(NEXT) | instid1(VALU_DEP_2)
	v_cmp_eq_u32_e32 vcc_lo, 0, v91
	v_cndmask_b32_e32 v91, v93, v100, vcc_lo
; %bb.18:
	s_or_b32 exec_lo, exec_lo, s3
	v_and_b32_e32 v93, 0x7f800000, v95
	s_delay_alu instid0(VALU_DEP_1) | instskip(SKIP_1) | instid1(SALU_CYCLE_1)
	v_cmp_ne_u32_e32 vcc_lo, 0x7f800000, v93
                                        ; implicit-def: $vgpr93
	s_and_saveexec_b32 s3, vcc_lo
	s_xor_b32 s3, exec_lo, s3
; %bb.19:
	v_bfe_u32 v93, v95, 16, 1
	s_delay_alu instid0(VALU_DEP_1)
	v_add3_u32 v93, v95, v93, 0x7fff
                                        ; implicit-def: $vgpr95
; %bb.20:
	s_and_not1_saveexec_b32 s3, s3
; %bb.21:
	v_and_b32_e32 v93, 0xffff, v95
	v_or_b32_e32 v100, 0x10000, v95
	s_delay_alu instid0(VALU_DEP_2) | instskip(NEXT) | instid1(VALU_DEP_2)
	v_cmp_eq_u32_e32 vcc_lo, 0, v93
	v_cndmask_b32_e32 v93, v100, v95, vcc_lo
; %bb.22:
	s_or_b32 exec_lo, exec_lo, s3
	v_and_b32_e32 v95, 0x7f800000, v96
	s_delay_alu instid0(VALU_DEP_1) | instskip(SKIP_1) | instid1(SALU_CYCLE_1)
	v_cmp_ne_u32_e32 vcc_lo, 0x7f800000, v95
                                        ; implicit-def: $vgpr95
	s_and_saveexec_b32 s3, vcc_lo
	s_xor_b32 s3, exec_lo, s3
; %bb.23:
	v_bfe_u32 v95, v96, 16, 1
	s_delay_alu instid0(VALU_DEP_1)
	v_add3_u32 v95, v96, v95, 0x7fff
                                        ; implicit-def: $vgpr96
; %bb.24:
	s_and_not1_saveexec_b32 s3, s3
; %bb.25:
	v_and_b32_e32 v95, 0xffff, v96
	v_or_b32_e32 v100, 0x10000, v96
	s_delay_alu instid0(VALU_DEP_2) | instskip(NEXT) | instid1(VALU_DEP_2)
	v_cmp_eq_u32_e32 vcc_lo, 0, v95
	v_cndmask_b32_e32 v95, v100, v96, vcc_lo
; %bb.26:
	s_or_b32 exec_lo, exec_lo, s3
	v_and_b32_e32 v96, 0x7f800000, v99
	s_delay_alu instid0(VALU_DEP_1) | instskip(SKIP_1) | instid1(SALU_CYCLE_1)
	v_cmp_ne_u32_e32 vcc_lo, 0x7f800000, v96
                                        ; implicit-def: $vgpr96
	s_and_saveexec_b32 s3, vcc_lo
	s_xor_b32 s3, exec_lo, s3
; %bb.27:
	v_bfe_u32 v96, v99, 16, 1
	s_delay_alu instid0(VALU_DEP_1)
	v_add3_u32 v96, v99, v96, 0x7fff
                                        ; implicit-def: $vgpr99
; %bb.28:
	s_and_not1_saveexec_b32 s3, s3
; %bb.29:
	v_and_b32_e32 v96, 0xffff, v99
	v_or_b32_e32 v100, 0x10000, v99
	s_delay_alu instid0(VALU_DEP_2) | instskip(NEXT) | instid1(VALU_DEP_2)
	v_cmp_eq_u32_e32 vcc_lo, 0, v96
	v_cndmask_b32_e32 v96, v100, v99, vcc_lo
; %bb.30:
	s_or_b32 exec_lo, exec_lo, s3
	v_and_b32_e32 v99, 0x7f800000, v98
	s_delay_alu instid0(VALU_DEP_1) | instskip(SKIP_1) | instid1(SALU_CYCLE_1)
	v_cmp_ne_u32_e32 vcc_lo, 0x7f800000, v99
                                        ; implicit-def: $vgpr99
	s_and_saveexec_b32 s3, vcc_lo
	s_xor_b32 s3, exec_lo, s3
; %bb.31:
	v_bfe_u32 v99, v98, 16, 1
	s_delay_alu instid0(VALU_DEP_1)
	v_add3_u32 v99, v98, v99, 0x7fff
                                        ; implicit-def: $vgpr98
; %bb.32:
	s_and_not1_saveexec_b32 s3, s3
; %bb.33:
	v_and_b32_e32 v99, 0xffff, v98
	v_or_b32_e32 v100, 0x10000, v98
	s_delay_alu instid0(VALU_DEP_2) | instskip(NEXT) | instid1(VALU_DEP_2)
	v_cmp_eq_u32_e32 vcc_lo, 0, v99
	v_cndmask_b32_e32 v99, v100, v98, vcc_lo
; %bb.34:
	s_or_b32 exec_lo, exec_lo, s3
	v_and_b32_e32 v98, 0x7f800000, v97
	s_delay_alu instid0(VALU_DEP_1) | instskip(SKIP_1) | instid1(SALU_CYCLE_1)
	v_cmp_ne_u32_e32 vcc_lo, 0x7f800000, v98
                                        ; implicit-def: $vgpr98
	s_and_saveexec_b32 s3, vcc_lo
	s_xor_b32 s3, exec_lo, s3
; %bb.35:
	v_bfe_u32 v98, v97, 16, 1
	s_delay_alu instid0(VALU_DEP_1)
	v_add3_u32 v98, v97, v98, 0x7fff
                                        ; implicit-def: $vgpr97
; %bb.36:
	s_and_not1_saveexec_b32 s3, s3
; %bb.37:
	v_and_b32_e32 v98, 0xffff, v97
	v_or_b32_e32 v100, 0x10000, v97
	s_delay_alu instid0(VALU_DEP_2) | instskip(NEXT) | instid1(VALU_DEP_2)
	v_cmp_eq_u32_e32 vcc_lo, 0, v98
	v_cndmask_b32_e32 v98, v100, v97, vcc_lo
; %bb.38:
	s_or_b32 exec_lo, exec_lo, s3
	v_and_b32_e32 v97, 0x7f800000, v94
	s_delay_alu instid0(VALU_DEP_1) | instskip(SKIP_1) | instid1(SALU_CYCLE_1)
	v_cmp_ne_u32_e32 vcc_lo, 0x7f800000, v97
                                        ; implicit-def: $vgpr97
	s_and_saveexec_b32 s3, vcc_lo
	s_xor_b32 s3, exec_lo, s3
; %bb.39:
	v_bfe_u32 v97, v94, 16, 1
	s_delay_alu instid0(VALU_DEP_1)
	v_add3_u32 v97, v94, v97, 0x7fff
                                        ; implicit-def: $vgpr94
; %bb.40:
	s_and_not1_saveexec_b32 s3, s3
; %bb.41:
	v_and_b32_e32 v97, 0xffff, v94
	v_or_b32_e32 v100, 0x10000, v94
	s_delay_alu instid0(VALU_DEP_2) | instskip(NEXT) | instid1(VALU_DEP_2)
	v_cmp_eq_u32_e32 vcc_lo, 0, v97
	v_cndmask_b32_e32 v97, v100, v94, vcc_lo
; %bb.42:
	s_or_b32 exec_lo, exec_lo, s3
	v_and_b32_e32 v94, 0x7f800000, v92
	s_delay_alu instid0(VALU_DEP_1) | instskip(SKIP_1) | instid1(SALU_CYCLE_1)
	v_cmp_ne_u32_e32 vcc_lo, 0x7f800000, v94
                                        ; implicit-def: $vgpr94
	s_and_saveexec_b32 s3, vcc_lo
	s_xor_b32 s3, exec_lo, s3
; %bb.43:
	v_bfe_u32 v94, v92, 16, 1
	s_delay_alu instid0(VALU_DEP_1)
	v_add3_u32 v94, v92, v94, 0x7fff
                                        ; implicit-def: $vgpr92
; %bb.44:
	s_and_not1_saveexec_b32 s3, s3
; %bb.45:
	v_and_b32_e32 v94, 0xffff, v92
	v_or_b32_e32 v100, 0x10000, v92
	s_delay_alu instid0(VALU_DEP_2) | instskip(NEXT) | instid1(VALU_DEP_2)
	v_cmp_eq_u32_e32 vcc_lo, 0, v94
	v_cndmask_b32_e32 v94, v100, v92, vcc_lo
; %bb.46:
	s_or_b32 exec_lo, exec_lo, s3
	s_load_b64 s[34:35], s[0:1], 0x94
	v_lshlrev_b32_e32 v92, 4, v83
	s_delay_alu instid0(VALU_DEP_2)
	v_perm_b32 v100, v94, v97, 0x7060302
	v_dual_mul_f32 v89, v90, v89 :: v_dual_lshlrev_b32 v94, 11, v74
	v_perm_b32 v97, v93, v91, 0x7060302
	v_mul_f32_e32 v93, v90, v77
	v_perm_b32 v99, v98, v99, 0x7060302
	v_perm_b32 v98, v96, v95, 0x7060302
	v_or3_b32 v77, v92, v94, v85
	v_mul_f32_e32 v88, v90, v88
	v_dual_mul_f32 v87, v90, v87 :: v_dual_and_b32 v94, 0x7f800000, v93
	v_mul_f32_e32 v86, v90, v86
	v_mul_f32_e32 v91, v90, v80
	;; [unrolled: 1-line block ×4, first 2 shown]
	s_mov_b32 s3, exec_lo
	ds_store_b128 v77, v[97:100]
                                        ; implicit-def: $vgpr78
	v_cmpx_ne_u32_e32 0x7f800000, v94
	s_xor_b32 s3, exec_lo, s3
; %bb.47:
	v_bfe_u32 v78, v93, 16, 1
	s_delay_alu instid0(VALU_DEP_1)
	v_add3_u32 v78, v93, v78, 0x7fff
                                        ; implicit-def: $vgpr93
; %bb.48:
	s_and_not1_saveexec_b32 s3, s3
; %bb.49:
	v_and_b32_e32 v78, 0xffff, v93
	v_or_b32_e32 v79, 0x10000, v93
	s_delay_alu instid0(VALU_DEP_2) | instskip(NEXT) | instid1(VALU_DEP_2)
	v_cmp_eq_u32_e32 vcc_lo, 0, v78
	v_cndmask_b32_e32 v78, v79, v93, vcc_lo
; %bb.50:
	s_or_b32 exec_lo, exec_lo, s3
	v_and_b32_e32 v79, 0x7f800000, v80
	s_delay_alu instid0(VALU_DEP_1) | instskip(SKIP_1) | instid1(SALU_CYCLE_1)
	v_cmp_ne_u32_e32 vcc_lo, 0x7f800000, v79
                                        ; implicit-def: $vgpr79
	s_and_saveexec_b32 s3, vcc_lo
	s_xor_b32 s3, exec_lo, s3
; %bb.51:
	v_bfe_u32 v79, v80, 16, 1
	s_delay_alu instid0(VALU_DEP_1)
	v_add3_u32 v79, v80, v79, 0x7fff
                                        ; implicit-def: $vgpr80
; %bb.52:
	s_and_not1_saveexec_b32 s3, s3
; %bb.53:
	v_and_b32_e32 v79, 0xffff, v80
	v_or_b32_e32 v90, 0x10000, v80
	s_delay_alu instid0(VALU_DEP_2) | instskip(NEXT) | instid1(VALU_DEP_2)
	v_cmp_eq_u32_e32 vcc_lo, 0, v79
	v_cndmask_b32_e32 v79, v90, v80, vcc_lo
; %bb.54:
	s_or_b32 exec_lo, exec_lo, s3
	v_and_b32_e32 v80, 0x7f800000, v92
	s_delay_alu instid0(VALU_DEP_1) | instskip(SKIP_1) | instid1(SALU_CYCLE_1)
	v_cmp_ne_u32_e32 vcc_lo, 0x7f800000, v80
                                        ; implicit-def: $vgpr80
	s_and_saveexec_b32 s3, vcc_lo
	s_xor_b32 s3, exec_lo, s3
; %bb.55:
	v_bfe_u32 v80, v92, 16, 1
	s_delay_alu instid0(VALU_DEP_1)
	v_add3_u32 v80, v92, v80, 0x7fff
                                        ; implicit-def: $vgpr92
; %bb.56:
	s_and_not1_saveexec_b32 s3, s3
; %bb.57:
	v_and_b32_e32 v80, 0xffff, v92
	v_or_b32_e32 v90, 0x10000, v92
	s_delay_alu instid0(VALU_DEP_2) | instskip(NEXT) | instid1(VALU_DEP_2)
	v_cmp_eq_u32_e32 vcc_lo, 0, v80
	v_cndmask_b32_e32 v80, v90, v92, vcc_lo
; %bb.58:
	s_or_b32 exec_lo, exec_lo, s3
	v_and_b32_e32 v90, 0x7f800000, v91
	s_delay_alu instid0(VALU_DEP_1) | instskip(SKIP_1) | instid1(SALU_CYCLE_1)
	v_cmp_ne_u32_e32 vcc_lo, 0x7f800000, v90
                                        ; implicit-def: $vgpr90
	s_and_saveexec_b32 s3, vcc_lo
	s_xor_b32 s3, exec_lo, s3
; %bb.59:
	v_bfe_u32 v90, v91, 16, 1
	s_delay_alu instid0(VALU_DEP_1)
	v_add3_u32 v90, v91, v90, 0x7fff
                                        ; implicit-def: $vgpr91
; %bb.60:
	s_and_not1_saveexec_b32 s3, s3
; %bb.61:
	v_and_b32_e32 v90, 0xffff, v91
	v_or_b32_e32 v92, 0x10000, v91
	s_delay_alu instid0(VALU_DEP_2) | instskip(NEXT) | instid1(VALU_DEP_2)
	v_cmp_eq_u32_e32 vcc_lo, 0, v90
	v_cndmask_b32_e32 v90, v92, v91, vcc_lo
; %bb.62:
	s_or_b32 exec_lo, exec_lo, s3
	v_and_b32_e32 v91, 0x7f800000, v86
	s_delay_alu instid0(VALU_DEP_1) | instskip(SKIP_1) | instid1(SALU_CYCLE_1)
	v_cmp_ne_u32_e32 vcc_lo, 0x7f800000, v91
                                        ; implicit-def: $vgpr91
	s_and_saveexec_b32 s3, vcc_lo
	s_xor_b32 s3, exec_lo, s3
; %bb.63:
	v_bfe_u32 v91, v86, 16, 1
	s_delay_alu instid0(VALU_DEP_1)
	v_add3_u32 v91, v86, v91, 0x7fff
                                        ; implicit-def: $vgpr86
; %bb.64:
	s_and_not1_saveexec_b32 s3, s3
; %bb.65:
	v_and_b32_e32 v91, 0xffff, v86
	v_or_b32_e32 v92, 0x10000, v86
	s_delay_alu instid0(VALU_DEP_2) | instskip(NEXT) | instid1(VALU_DEP_2)
	v_cmp_eq_u32_e32 vcc_lo, 0, v91
	v_cndmask_b32_e32 v91, v92, v86, vcc_lo
; %bb.66:
	s_or_b32 exec_lo, exec_lo, s3
	v_and_b32_e32 v86, 0x7f800000, v87
	s_delay_alu instid0(VALU_DEP_1) | instskip(SKIP_1) | instid1(SALU_CYCLE_1)
	v_cmp_ne_u32_e32 vcc_lo, 0x7f800000, v86
                                        ; implicit-def: $vgpr86
	s_and_saveexec_b32 s3, vcc_lo
	s_xor_b32 s3, exec_lo, s3
; %bb.67:
	v_bfe_u32 v86, v87, 16, 1
	s_delay_alu instid0(VALU_DEP_1)
	v_add3_u32 v86, v87, v86, 0x7fff
                                        ; implicit-def: $vgpr87
; %bb.68:
	s_and_not1_saveexec_b32 s3, s3
; %bb.69:
	v_and_b32_e32 v86, 0xffff, v87
	v_or_b32_e32 v92, 0x10000, v87
	s_delay_alu instid0(VALU_DEP_2) | instskip(NEXT) | instid1(VALU_DEP_2)
	v_cmp_eq_u32_e32 vcc_lo, 0, v86
	v_cndmask_b32_e32 v86, v92, v87, vcc_lo
; %bb.70:
	s_or_b32 exec_lo, exec_lo, s3
	v_and_b32_e32 v87, 0x7f800000, v88
	s_delay_alu instid0(VALU_DEP_1) | instskip(SKIP_1) | instid1(SALU_CYCLE_1)
	v_cmp_ne_u32_e32 vcc_lo, 0x7f800000, v87
                                        ; implicit-def: $vgpr87
	s_and_saveexec_b32 s3, vcc_lo
	s_xor_b32 s3, exec_lo, s3
; %bb.71:
	v_bfe_u32 v87, v88, 16, 1
	s_delay_alu instid0(VALU_DEP_1)
	v_add3_u32 v87, v88, v87, 0x7fff
                                        ; implicit-def: $vgpr88
; %bb.72:
	s_and_not1_saveexec_b32 s3, s3
; %bb.73:
	v_and_b32_e32 v87, 0xffff, v88
	v_or_b32_e32 v92, 0x10000, v88
	s_delay_alu instid0(VALU_DEP_2) | instskip(NEXT) | instid1(VALU_DEP_2)
	v_cmp_eq_u32_e32 vcc_lo, 0, v87
	v_cndmask_b32_e32 v87, v92, v88, vcc_lo
; %bb.74:
	s_or_b32 exec_lo, exec_lo, s3
	v_and_b32_e32 v88, 0x7f800000, v89
	s_delay_alu instid0(VALU_DEP_1) | instskip(SKIP_1) | instid1(SALU_CYCLE_1)
	v_cmp_ne_u32_e32 vcc_lo, 0x7f800000, v88
                                        ; implicit-def: $vgpr88
	s_and_saveexec_b32 s3, vcc_lo
	s_xor_b32 s3, exec_lo, s3
; %bb.75:
	v_bfe_u32 v88, v89, 16, 1
	s_delay_alu instid0(VALU_DEP_1)
	v_add3_u32 v88, v89, v88, 0x7fff
                                        ; implicit-def: $vgpr89
; %bb.76:
	s_and_not1_saveexec_b32 s3, s3
; %bb.77:
	v_and_b32_e32 v88, 0xffff, v89
	v_or_b32_e32 v92, 0x10000, v89
	s_delay_alu instid0(VALU_DEP_2) | instskip(NEXT) | instid1(VALU_DEP_2)
	v_cmp_eq_u32_e32 vcc_lo, 0, v88
	v_cndmask_b32_e32 v88, v92, v89, vcc_lo
; %bb.78:
	s_or_b32 exec_lo, exec_lo, s3
	s_delay_alu instid0(VALU_DEP_1)
	v_perm_b32 v89, v88, v87, 0x7060302
	v_perm_b32 v88, v86, v91, 0x7060302
	;; [unrolled: 1-line block ×4, first 2 shown]
	v_lshl_or_b32 v90, v74, 11, v85
	ds_store_b128 v77, v[86:89] offset:1024
	s_waitcnt lgkmcnt(0)
	s_barrier
	buffer_gl0_inv
	ds_load_b128 v[91:94], v90
	ds_load_b128 v[95:98], v90 offset:16
	v_lshlrev_b32_e32 v87, 2, v83
	s_delay_alu instid0(VALU_DEP_1)
	v_or_b32_e32 v88, 1, v87
	v_cmp_eq_u32_e32 vcc_lo, 1, v87
	v_cmp_eq_u32_e64 s4, 2, v87
	v_cmp_eq_u32_e64 s7, 3, v87
	;; [unrolled: 1-line block ×6, first 2 shown]
	v_or_b32_e32 v86, 2, v87
	v_cmp_eq_u32_e64 s10, 5, v87
	v_cmp_eq_u32_e64 s11, 4, v88
	v_cmp_eq_u32_e64 s12, 6, v87
	v_cmp_eq_u32_e64 s13, 5, v88
	s_waitcnt lgkmcnt(1)
	v_lshrrev_b32_e32 v74, 16, v91
	s_waitcnt lgkmcnt(0)
	v_lshrrev_b32_e32 v103, 16, v95
	v_lshrrev_b32_e32 v80, 16, v94
	;; [unrolled: 1-line block ×4, first 2 shown]
	v_cndmask_b32_e32 v89, v91, v74, vcc_lo
	v_cndmask_b32_e32 v99, v95, v103, vcc_lo
	v_cndmask_b32_e64 v100, v91, v74, s3
	v_lshrrev_b32_e32 v79, 16, v93
	v_lshrrev_b32_e32 v108, 16, v97
	v_cndmask_b32_e64 v89, v89, v92, s4
	v_cndmask_b32_e64 v99, v99, v96, s4
	;; [unrolled: 1-line block ×4, first 2 shown]
	v_cmp_eq_u32_e64 s5, 1, v86
	v_cndmask_b32_e64 v89, v89, v78, s7
	v_cndmask_b32_e64 v99, v99, v107, s7
	;; [unrolled: 1-line block ×4, first 2 shown]
	v_lshrrev_b32_e32 v109, 16, v98
	v_cndmask_b32_e64 v89, v89, v93, s9
	v_cndmask_b32_e64 v99, v99, v97, s9
	;; [unrolled: 1-line block ×8, first 2 shown]
	v_cmp_eq_u32_e64 s15, 7, v87
	v_cmp_eq_u32_e64 s16, 6, v88
	v_cndmask_b32_e64 v89, v89, v94, s12
	v_cndmask_b32_e64 v99, v99, v98, s12
	v_cmp_eq_u32_e64 s17, 2, v86
	v_cndmask_b32_e64 v101, v101, v97, s11
	v_cndmask_b32_e64 v100, v100, v94, s16
	;; [unrolled: 1-line block ×6, first 2 shown]
	v_cmp_eq_u32_e64 s18, 7, v88
	v_cmp_eq_u32_e64 s19, 3, v86
	;; [unrolled: 1-line block ×4, first 2 shown]
	v_cndmask_b32_e64 v99, v99, v96, s17
	v_cndmask_b32_e64 v112, v100, v80, s18
	;; [unrolled: 1-line block ×4, first 2 shown]
	v_or_b32_e32 v89, 3, v87
	v_cndmask_b32_e64 v105, v99, v107, s19
	v_cmp_eq_u32_e64 s24, 6, v86
	v_cndmask_b32_e64 v113, v100, v98, s16
	v_cndmask_b32_e64 v104, v101, v93, s20
	ds_load_b128 v[99:102], v90 offset:1024
	v_cmp_eq_u32_e64 s21, 1, v89
	v_cmp_eq_u32_e64 s23, 2, v89
	;; [unrolled: 1-line block ×3, first 2 shown]
	v_cndmask_b32_e64 v114, v104, v79, s22
	v_cmp_eq_u32_e64 s26, 4, v89
	v_cndmask_b32_e64 v74, v91, v74, s21
	v_cndmask_b32_e64 v91, v105, v97, s20
	;; [unrolled: 1-line block ×3, first 2 shown]
	ds_load_b128 v[103:106], v90 offset:1040
	v_cmp_eq_u32_e64 s28, 5, v89
	v_cndmask_b32_e64 v74, v74, v92, s23
	v_cndmask_b32_e64 v91, v91, v108, s22
	;; [unrolled: 1-line block ×3, first 2 shown]
	v_cmp_eq_u32_e64 s29, 6, v89
	v_cndmask_b32_e64 v95, v113, v109, s18
	v_cndmask_b32_e64 v74, v74, v78, s25
	;; [unrolled: 1-line block ×5, first 2 shown]
	s_waitcnt lgkmcnt(1)
	v_lshrrev_b32_e32 v96, 16, v99
	v_cndmask_b32_e64 v74, v74, v93, s26
	v_lshrrev_b32_e32 v107, 16, v100
	v_cndmask_b32_e64 v92, v92, v97, s26
	v_cmp_eq_u32_e64 s27, 7, v86
	v_cndmask_b32_e32 v93, v99, v96, vcc_lo
	v_cndmask_b32_e64 v74, v74, v79, s28
	s_delay_alu instid0(VALU_DEP_4)
	v_cndmask_b32_e64 v79, v92, v108, s28
	s_waitcnt lgkmcnt(0)
	v_lshrrev_b32_e32 v97, 16, v103
	v_cndmask_b32_e64 v92, v93, v100, s4
	v_cndmask_b32_e64 v93, v99, v96, s3
	v_cndmask_b32_e64 v74, v74, v94, s29
	v_cndmask_b32_e64 v79, v79, v98, s29
	v_cndmask_b32_e32 v108, v103, v97, vcc_lo
	v_cndmask_b32_e64 v92, v92, v107, s7
	v_cndmask_b32_e64 v93, v93, v100, s6
	v_lshrrev_b32_e32 v98, 16, v104
	v_cmp_eq_u32_e32 vcc_lo, 7, v89
	v_cndmask_b32_e64 v94, v108, v104, s4
	v_cndmask_b32_e64 v92, v92, v101, s9
	v_lshrrev_b32_e32 v108, 16, v101
	v_cndmask_b32_e64 v93, v93, v107, s8
	v_cndmask_b32_e32 v74, v74, v80, vcc_lo
	v_cndmask_b32_e64 v94, v94, v98, s7
	v_cndmask_b32_e32 v79, v79, v109, vcc_lo
	v_cndmask_b32_e64 v92, v92, v108, s10
	v_cndmask_b32_e64 v78, v78, v80, s27
	;; [unrolled: 1-line block ×4, first 2 shown]
	v_perm_b32 v94, v79, v74, 0x5040100
	v_cndmask_b32_e64 v79, v92, v102, s12
	v_perm_b32 v92, v95, v112, 0x5040100
	v_cndmask_b32_e64 v95, v99, v96, s5
	v_cndmask_b32_e64 v96, v99, v96, s21
	v_cndmask_b32_e64 v99, v103, v97, s21
	v_cndmask_b32_e64 v112, v103, v97, s5
	v_cndmask_b32_e64 v97, v103, v97, s3
	v_cndmask_b32_e64 v95, v95, v100, s17
	v_cndmask_b32_e64 v96, v96, v100, s23
	v_cndmask_b32_e64 v99, v99, v104, s23
	v_cndmask_b32_e64 v100, v112, v104, s17
	v_cndmask_b32_e64 v97, v97, v104, s6
	v_cndmask_b32_e64 v95, v95, v107, s19
	v_cndmask_b32_e64 v96, v96, v107, s25
	v_cndmask_b32_e64 v99, v99, v98, s25
	v_cndmask_b32_e64 v100, v100, v98, s19
	v_cndmask_b32_e64 v97, v97, v98, s8
	v_cndmask_b32_e64 v91, v91, v109, s27
	v_lshrrev_b32_e32 v109, 16, v105
	v_cndmask_b32_e64 v95, v95, v101, s20
	v_cndmask_b32_e64 v96, v96, v101, s26
	;; [unrolled: 1-line block ×6, first 2 shown]
	v_lshrrev_b32_e32 v80, 16, v102
	v_cndmask_b32_e64 v113, v93, v109, s10
	v_cndmask_b32_e64 v95, v95, v108, s22
	;; [unrolled: 1-line block ×6, first 2 shown]
	v_perm_b32 v93, v91, v78, 0x5040100
	v_cndmask_b32_e64 v74, v74, v102, s16
	v_cndmask_b32_e64 v78, v79, v80, s15
	;; [unrolled: 1-line block ×3, first 2 shown]
	v_lshrrev_b32_e32 v91, 16, v106
	v_cndmask_b32_e64 v95, v95, v102, s24
	v_cndmask_b32_e64 v96, v96, v102, s29
	;; [unrolled: 1-line block ×7, first 2 shown]
	v_cndmask_b32_e32 v80, v96, v80, vcc_lo
	v_cndmask_b32_e32 v96, v98, v91, vcc_lo
	v_cndmask_b32_e64 v99, v99, v91, s27
	v_cndmask_b32_e64 v100, v97, v91, s18
	;; [unrolled: 1-line block ×3, first 2 shown]
	v_perm_b32 v91, v111, v110, 0x5040100
	v_perm_b32 v98, v96, v80, 0x5040100
	;; [unrolled: 1-line block ×5, first 2 shown]
	s_mul_i32 s8, s35, 7
	s_mov_b32 s3, exec_lo
	ds_store_b128 v77, v[91:94]
	ds_store_b128 v77, v[95:98] offset:1024
	v_cmpx_gt_u32_e32 7, v0
	s_cbranch_execz .LBB696_80
; %bb.79:
	s_mul_i32 s4, s8, s30
	s_delay_alu instid0(SALU_CYCLE_1) | instskip(SKIP_1) | instid1(VALU_DEP_1)
	v_add3_u32 v77, s4, s31, v73
	s_load_b128 s[4:7], s[0:1], 0x58
	v_mad_u64_u32 v[73:74], null, v77, s34, s[14:15]
	s_delay_alu instid0(VALU_DEP_1) | instskip(NEXT) | instid1(VALU_DEP_1)
	v_ashrrev_i32_e32 v74, 31, v73
	v_lshlrev_b64 v[73:74], 2, v[73:74]
	s_waitcnt lgkmcnt(0)
	s_delay_alu instid0(VALU_DEP_1) | instskip(NEXT) | instid1(VALU_DEP_2)
	v_add_co_u32 v77, vcc_lo, s6, v73
	v_add_co_ci_u32_e32 v78, vcc_lo, s7, v74, vcc_lo
	v_add_co_u32 v73, vcc_lo, s4, v73
	v_add_co_ci_u32_e32 v74, vcc_lo, s5, v74, vcc_lo
	global_store_b32 v[77:78], v75, off
	global_store_b32 v[73:74], v76, off
.LBB696_80:
	s_or_b32 exec_lo, exec_lo, s3
	s_waitcnt lgkmcnt(0)
	s_waitcnt_vscnt null, 0x0
	s_barrier
	buffer_gl0_inv
	ds_load_b128 v[91:94], v85
	ds_load_b128 v[95:98], v85 offset:16
	ds_load_b128 v[103:106], v85 offset:1040
	;; [unrolled: 1-line block ×3, first 2 shown]
	v_mov_b32_e32 v73, 0
	ds_load_b128 v[111:114], v85 offset:2064
	ds_load_b128 v[107:110], v85 offset:2048
	;; [unrolled: 1-line block ×6, first 2 shown]
	v_mov_b32_e32 v74, v73
	v_mov_b32_e32 v75, v73
	;; [unrolled: 1-line block ×7, first 2 shown]
	s_waitcnt lgkmcnt(8)
	s_delay_alu instid0(VALU_DEP_1)
	v_wmma_f32_16x16x16_bf16 v[73:80], v[65:72], v[91:98], v[73:80]
	ds_load_b128 v[69:72], v85 offset:5136
	ds_load_b128 v[65:68], v85 offset:5120
	;; [unrolled: 1-line block ×4, first 2 shown]
	s_waitcnt lgkmcnt(10)
	v_wmma_f32_16x16x16_bf16 v[73:80], v[57:64], v[99:106], v[73:80]
	s_waitcnt lgkmcnt(8)
	s_delay_alu instid0(VALU_DEP_1)
	v_wmma_f32_16x16x16_bf16 v[73:80], v[57:64], v[107:114], v[73:80]
	ds_load_b128 v[61:64], v85 offset:7184
	ds_load_b128 v[57:60], v85 offset:7168
	;; [unrolled: 1-line block ×4, first 2 shown]
	s_waitcnt lgkmcnt(10)
	v_wmma_f32_16x16x16_bf16 v[73:80], v[49:56], v[115:122], v[73:80]
	s_waitcnt lgkmcnt(8)
	s_delay_alu instid0(VALU_DEP_1)
	v_wmma_f32_16x16x16_bf16 v[73:80], v[49:56], v[123:130], v[73:80]
	ds_load_b128 v[53:56], v85 offset:9232
	ds_load_b128 v[49:52], v85 offset:9216
	s_waitcnt lgkmcnt(8)
	v_wmma_f32_16x16x16_bf16 v[73:80], v[41:48], v[65:72], v[73:80]
	ds_load_b128 v[69:72], v85 offset:10256
	ds_load_b128 v[65:68], v85 offset:10240
	s_waitcnt lgkmcnt(8)
	;; [unrolled: 4-line block ×3, first 2 shown]
	v_wmma_f32_16x16x16_bf16 v[73:80], v[9:16], v[57:64], v[73:80]
	s_waitcnt lgkmcnt(6)
	s_delay_alu instid0(VALU_DEP_1)
	v_wmma_f32_16x16x16_bf16 v[73:80], v[9:16], v[99:106], v[73:80]
	ds_load_b128 v[13:16], v85 offset:12304
	ds_load_b128 v[9:12], v85 offset:12288
	s_waitcnt lgkmcnt(6)
	v_wmma_f32_16x16x16_bf16 v[73:80], v[1:8], v[49:56], v[73:80]
	ds_load_b128 v[53:56], v85 offset:13328
	ds_load_b128 v[49:52], v85 offset:13312
	s_waitcnt lgkmcnt(6)
	;; [unrolled: 4-line block ×4, first 2 shown]
	v_wmma_f32_16x16x16_bf16 v[73:80], v[33:40], v[9:16], v[73:80]
	s_waitcnt lgkmcnt(4)
	s_delay_alu instid0(VALU_DEP_1) | instskip(SKIP_1) | instid1(VALU_DEP_1)
	v_wmma_f32_16x16x16_bf16 v[73:80], v[25:32], v[49:56], v[73:80]
	s_waitcnt lgkmcnt(2)
	v_wmma_f32_16x16x16_bf16 v[73:80], v[25:32], v[1:8], v[73:80]
	s_waitcnt lgkmcnt(0)
	s_delay_alu instid0(VALU_DEP_1) | instskip(NEXT) | instid1(VALU_DEP_1)
	v_wmma_f32_16x16x16_bf16 v[73:80], v[17:24], v[41:48], v[73:80]
	v_and_b32_e32 v1, 0x7f800000, v73
	s_delay_alu instid0(VALU_DEP_1) | instskip(SKIP_1) | instid1(SALU_CYCLE_1)
	v_cmp_ne_u32_e32 vcc_lo, 0x7f800000, v1
                                        ; implicit-def: $vgpr1
	s_and_saveexec_b32 s3, vcc_lo
	s_xor_b32 s3, exec_lo, s3
; %bb.81:
	v_bfe_u32 v1, v73, 16, 1
	s_delay_alu instid0(VALU_DEP_1)
	v_add3_u32 v1, v73, v1, 0x7fff
; %bb.82:
	s_and_not1_saveexec_b32 s3, s3
; %bb.83:
	v_and_b32_e32 v1, 0xffff, v73
	v_or_b32_e32 v2, 0x10000, v73
	s_delay_alu instid0(VALU_DEP_2) | instskip(NEXT) | instid1(VALU_DEP_2)
	v_cmp_eq_u32_e32 vcc_lo, 0, v1
	v_cndmask_b32_e32 v1, v2, v73, vcc_lo
; %bb.84:
	s_or_b32 exec_lo, exec_lo, s3
	v_and_b32_e32 v2, 0x7f800000, v74
	s_delay_alu instid0(VALU_DEP_1) | instskip(SKIP_1) | instid1(SALU_CYCLE_1)
	v_cmp_ne_u32_e32 vcc_lo, 0x7f800000, v2
                                        ; implicit-def: $vgpr2
	s_and_saveexec_b32 s3, vcc_lo
	s_xor_b32 s3, exec_lo, s3
; %bb.85:
	v_bfe_u32 v2, v74, 16, 1
	s_delay_alu instid0(VALU_DEP_1)
	v_add3_u32 v2, v74, v2, 0x7fff
; %bb.86:
	s_and_not1_saveexec_b32 s3, s3
; %bb.87:
	v_and_b32_e32 v2, 0xffff, v74
	v_or_b32_e32 v3, 0x10000, v74
	s_delay_alu instid0(VALU_DEP_2) | instskip(NEXT) | instid1(VALU_DEP_2)
	v_cmp_eq_u32_e32 vcc_lo, 0, v2
	v_cndmask_b32_e32 v2, v3, v74, vcc_lo
; %bb.88:
	s_or_b32 exec_lo, exec_lo, s3
	v_and_b32_e32 v3, 0x7f800000, v75
	s_delay_alu instid0(VALU_DEP_1) | instskip(SKIP_1) | instid1(SALU_CYCLE_1)
	v_cmp_ne_u32_e32 vcc_lo, 0x7f800000, v3
                                        ; implicit-def: $vgpr3
	s_and_saveexec_b32 s3, vcc_lo
	s_xor_b32 s3, exec_lo, s3
; %bb.89:
	v_bfe_u32 v3, v75, 16, 1
	s_delay_alu instid0(VALU_DEP_1)
	v_add3_u32 v3, v75, v3, 0x7fff
; %bb.90:
	s_and_not1_saveexec_b32 s3, s3
; %bb.91:
	v_and_b32_e32 v3, 0xffff, v75
	v_or_b32_e32 v4, 0x10000, v75
	s_delay_alu instid0(VALU_DEP_2) | instskip(NEXT) | instid1(VALU_DEP_2)
	v_cmp_eq_u32_e32 vcc_lo, 0, v3
	v_cndmask_b32_e32 v3, v4, v75, vcc_lo
; %bb.92:
	s_or_b32 exec_lo, exec_lo, s3
	v_and_b32_e32 v4, 0x7f800000, v76
	s_delay_alu instid0(VALU_DEP_1) | instskip(SKIP_1) | instid1(SALU_CYCLE_1)
	v_cmp_ne_u32_e32 vcc_lo, 0x7f800000, v4
                                        ; implicit-def: $vgpr4
	s_and_saveexec_b32 s3, vcc_lo
	s_xor_b32 s3, exec_lo, s3
; %bb.93:
	v_bfe_u32 v4, v76, 16, 1
	s_delay_alu instid0(VALU_DEP_1)
	v_add3_u32 v4, v76, v4, 0x7fff
; %bb.94:
	s_and_not1_saveexec_b32 s3, s3
; %bb.95:
	v_and_b32_e32 v4, 0xffff, v76
	v_or_b32_e32 v5, 0x10000, v76
	s_delay_alu instid0(VALU_DEP_2) | instskip(NEXT) | instid1(VALU_DEP_2)
	v_cmp_eq_u32_e32 vcc_lo, 0, v4
	v_cndmask_b32_e32 v4, v5, v76, vcc_lo
; %bb.96:
	s_or_b32 exec_lo, exec_lo, s3
	v_and_b32_e32 v5, 0x7f800000, v77
	s_delay_alu instid0(VALU_DEP_1) | instskip(SKIP_1) | instid1(SALU_CYCLE_1)
	v_cmp_ne_u32_e32 vcc_lo, 0x7f800000, v5
                                        ; implicit-def: $vgpr5
	s_and_saveexec_b32 s3, vcc_lo
	s_xor_b32 s3, exec_lo, s3
; %bb.97:
	v_bfe_u32 v5, v77, 16, 1
	s_delay_alu instid0(VALU_DEP_1)
	v_add3_u32 v5, v77, v5, 0x7fff
; %bb.98:
	s_and_not1_saveexec_b32 s3, s3
; %bb.99:
	v_and_b32_e32 v5, 0xffff, v77
	v_or_b32_e32 v6, 0x10000, v77
	s_delay_alu instid0(VALU_DEP_2) | instskip(NEXT) | instid1(VALU_DEP_2)
	v_cmp_eq_u32_e32 vcc_lo, 0, v5
	v_cndmask_b32_e32 v5, v6, v77, vcc_lo
; %bb.100:
	s_or_b32 exec_lo, exec_lo, s3
	v_and_b32_e32 v6, 0x7f800000, v78
	s_delay_alu instid0(VALU_DEP_1) | instskip(SKIP_1) | instid1(SALU_CYCLE_1)
	v_cmp_ne_u32_e32 vcc_lo, 0x7f800000, v6
                                        ; implicit-def: $vgpr6
	s_and_saveexec_b32 s3, vcc_lo
	s_xor_b32 s3, exec_lo, s3
; %bb.101:
	v_bfe_u32 v6, v78, 16, 1
	s_delay_alu instid0(VALU_DEP_1)
	v_add3_u32 v6, v78, v6, 0x7fff
; %bb.102:
	s_and_not1_saveexec_b32 s3, s3
; %bb.103:
	v_and_b32_e32 v6, 0xffff, v78
	v_or_b32_e32 v7, 0x10000, v78
	s_delay_alu instid0(VALU_DEP_2) | instskip(NEXT) | instid1(VALU_DEP_2)
	v_cmp_eq_u32_e32 vcc_lo, 0, v6
	v_cndmask_b32_e32 v6, v7, v78, vcc_lo
; %bb.104:
	s_or_b32 exec_lo, exec_lo, s3
	v_and_b32_e32 v7, 0x7f800000, v79
	s_delay_alu instid0(VALU_DEP_1) | instskip(SKIP_1) | instid1(SALU_CYCLE_1)
	v_cmp_ne_u32_e32 vcc_lo, 0x7f800000, v7
                                        ; implicit-def: $vgpr7
	s_and_saveexec_b32 s3, vcc_lo
	s_xor_b32 s3, exec_lo, s3
; %bb.105:
	v_bfe_u32 v7, v79, 16, 1
	s_delay_alu instid0(VALU_DEP_1)
	v_add3_u32 v7, v79, v7, 0x7fff
; %bb.106:
	s_and_not1_saveexec_b32 s3, s3
; %bb.107:
	v_and_b32_e32 v7, 0xffff, v79
	v_or_b32_e32 v8, 0x10000, v79
	s_delay_alu instid0(VALU_DEP_2) | instskip(NEXT) | instid1(VALU_DEP_2)
	v_cmp_eq_u32_e32 vcc_lo, 0, v7
	v_cndmask_b32_e32 v7, v8, v79, vcc_lo
; %bb.108:
	s_or_b32 exec_lo, exec_lo, s3
	v_and_b32_e32 v8, 0x7f800000, v80
	s_delay_alu instid0(VALU_DEP_1) | instskip(SKIP_1) | instid1(SALU_CYCLE_1)
	v_cmp_ne_u32_e32 vcc_lo, 0x7f800000, v8
                                        ; implicit-def: $vgpr8
	s_and_saveexec_b32 s3, vcc_lo
	s_xor_b32 s3, exec_lo, s3
; %bb.109:
	v_bfe_u32 v8, v80, 16, 1
	s_delay_alu instid0(VALU_DEP_1)
	v_add3_u32 v8, v80, v8, 0x7fff
                                        ; implicit-def: $vgpr73_vgpr74_vgpr75_vgpr76_vgpr77_vgpr78_vgpr79_vgpr80
; %bb.110:
	s_and_not1_saveexec_b32 s3, s3
; %bb.111:
	v_and_b32_e32 v8, 0xffff, v80
	v_or_b32_e32 v9, 0x10000, v80
	s_delay_alu instid0(VALU_DEP_2) | instskip(NEXT) | instid1(VALU_DEP_2)
	v_cmp_eq_u32_e32 vcc_lo, 0, v8
	v_cndmask_b32_e32 v8, v9, v80, vcc_lo
; %bb.112:
	s_or_b32 exec_lo, exec_lo, s3
	s_delay_alu instid0(VALU_DEP_1)
	v_perm_b32 v7, v8, v7, 0x7060302
	v_perm_b32 v6, v6, v5, 0x7060302
	v_perm_b32 v5, v4, v3, 0x7060302
	v_perm_b32 v4, v2, v1, 0x7060302
	v_lshl_or_b32 v9, v83, 4, v90
	s_barrier
	buffer_gl0_inv
	v_cmp_eq_u32_e32 vcc_lo, 1, v87
	ds_store_b128 v9, v[4:7]
	s_waitcnt lgkmcnt(0)
	s_barrier
	buffer_gl0_inv
	ds_load_b128 v[1:4], v90
	ds_load_b128 v[5:8], v90 offset:16
	v_cmp_eq_u32_e64 s4, 2, v87
	v_cmp_eq_u32_e64 s3, 1, v88
	;; [unrolled: 1-line block ×5, first 2 shown]
	s_waitcnt lgkmcnt(1)
	v_lshrrev_b32_e32 v10, 16, v1
	s_waitcnt lgkmcnt(0)
	v_lshrrev_b32_e32 v14, 16, v5
	v_lshrrev_b32_e32 v15, 16, v6
	;; [unrolled: 1-line block ×4, first 2 shown]
	v_cndmask_b32_e64 v20, v1, v10, s3
	v_cndmask_b32_e32 v19, v5, v14, vcc_lo
	v_cndmask_b32_e64 v21, v5, v14, s3
	v_lshrrev_b32_e32 v16, 16, v7
	v_cmp_eq_u32_e64 s3, 1, v86
	v_lshrrev_b32_e32 v13, 16, v4
	v_cndmask_b32_e64 v19, v19, v6, s4
	v_lshrrev_b32_e32 v17, 16, v8
	s_delay_alu instid0(VALU_DEP_4) | instskip(SKIP_1) | instid1(VALU_DEP_4)
	v_cndmask_b32_e64 v22, v1, v10, s3
	v_cndmask_b32_e64 v23, v5, v14, s3
	;; [unrolled: 1-line block ×3, first 2 shown]
	v_cndmask_b32_e32 v18, v1, v10, vcc_lo
	v_cmp_eq_u32_e32 vcc_lo, 2, v88
	v_cmp_eq_u32_e64 s3, 2, v89
	v_cndmask_b32_e64 v22, v22, v2, s7
	v_cndmask_b32_e32 v20, v20, v2, vcc_lo
	v_cndmask_b32_e32 v21, v21, v6, vcc_lo
	v_cmp_eq_u32_e32 vcc_lo, 4, v87
	v_cndmask_b32_e32 v19, v19, v7, vcc_lo
	v_cndmask_b32_e64 v18, v18, v2, s4
	v_cmp_eq_u32_e64 s4, 3, v88
	s_delay_alu instid0(VALU_DEP_2) | instskip(NEXT) | instid1(VALU_DEP_2)
	v_cndmask_b32_e64 v18, v18, v11, s5
	v_cndmask_b32_e64 v21, v21, v15, s4
	v_cmp_eq_u32_e64 s5, 5, v87
	s_delay_alu instid0(VALU_DEP_3) | instskip(SKIP_1) | instid1(VALU_DEP_3)
	v_cndmask_b32_e32 v18, v18, v3, vcc_lo
	v_cmp_eq_u32_e32 vcc_lo, 4, v88
	v_cndmask_b32_e64 v19, v19, v16, s5
	s_delay_alu instid0(VALU_DEP_3) | instskip(SKIP_4) | instid1(VALU_DEP_3)
	v_cndmask_b32_e64 v18, v18, v12, s5
	v_cndmask_b32_e32 v21, v21, v7, vcc_lo
	v_cndmask_b32_e64 v20, v20, v11, s4
	v_cmp_eq_u32_e64 s4, 5, v88
	v_cmp_eq_u32_e64 s5, 6, v87
	v_cndmask_b32_e32 v20, v20, v3, vcc_lo
	s_delay_alu instid0(VALU_DEP_3) | instskip(SKIP_1) | instid1(VALU_DEP_4)
	v_cndmask_b32_e64 v21, v21, v16, s4
	v_cmp_eq_u32_e32 vcc_lo, 6, v88
	v_cndmask_b32_e64 v18, v18, v4, s5
	v_cndmask_b32_e64 v19, v19, v8, s5
	;; [unrolled: 1-line block ×3, first 2 shown]
	v_cmp_eq_u32_e64 s4, 1, v89
	v_cmp_eq_u32_e64 s5, 7, v87
	s_delay_alu instid0(VALU_DEP_3) | instskip(NEXT) | instid1(VALU_DEP_3)
	v_cndmask_b32_e32 v20, v20, v4, vcc_lo
	v_cndmask_b32_e64 v1, v1, v10, s4
	v_cndmask_b32_e64 v5, v5, v14, s4
	v_cmp_eq_u32_e64 s4, 3, v86
	v_cndmask_b32_e64 v14, v23, v6, s7
	v_cmp_eq_u32_e64 s7, 3, v89
	v_cndmask_b32_e64 v1, v1, v2, s3
	v_cndmask_b32_e64 v2, v5, v6, s3
	;; [unrolled: 1-line block ×3, first 2 shown]
	v_cmp_eq_u32_e64 s3, 4, v86
	v_cndmask_b32_e64 v6, v14, v15, s4
	v_cndmask_b32_e64 v1, v1, v11, s7
	v_cmp_eq_u32_e64 s4, 4, v89
	v_cndmask_b32_e64 v2, v2, v15, s7
	v_cndmask_b32_e64 v5, v10, v3, s3
	v_cmp_eq_u32_e64 s7, 5, v86
	v_cndmask_b32_e64 v6, v6, v7, s3
	v_cndmask_b32_e64 v1, v1, v3, s4
	v_cndmask_b32_e64 v2, v2, v7, s4
	v_cmp_eq_u32_e64 s3, 5, v89
	v_cndmask_b32_e64 v5, v5, v12, s7
	v_cmp_eq_u32_e64 s4, 6, v86
	;; [unrolled: 2-line block ×3, first 2 shown]
	v_cndmask_b32_e64 v1, v1, v12, s3
	v_cndmask_b32_e64 v2, v2, v16, s3
	;; [unrolled: 1-line block ×4, first 2 shown]
	v_cmp_eq_u32_e64 s3, 7, v89
	v_cndmask_b32_e64 v1, v1, v4, s7
	v_cndmask_b32_e64 v2, v2, v8, s7
	v_cmp_eq_u32_e64 s4, 7, v86
	v_cndmask_b32_e32 v4, v21, v8, vcc_lo
	v_cndmask_b32_e64 v18, v18, v13, s5
	v_cndmask_b32_e64 v20, v20, v13, s6
	;; [unrolled: 1-line block ×8, first 2 shown]
	s_mov_b32 s3, exec_lo
	v_perm_b32 v4, v2, v1, 0x5040100
	v_perm_b32 v3, v3, v5, 0x5040100
	;; [unrolled: 1-line block ×4, first 2 shown]
	ds_store_b128 v9, v[1:4]
	s_waitcnt lgkmcnt(0)
	s_barrier
	buffer_gl0_inv
	v_cmpx_gt_u32_e32 32, v0
	s_cbranch_execz .LBB696_2
; %bb.113:
	s_load_b64 s[4:5], s[0:1], 0x68
	v_lshlrev_b32_e32 v0, 10, v0
	v_add_nc_u32_e32 v2, s31, v83
	v_lshlrev_b32_e32 v3, 4, v84
	s_lshl_b32 s0, s34, 7
	s_delay_alu instid0(SALU_CYCLE_1) | instskip(NEXT) | instid1(VALU_DEP_2)
	s_mul_i32 s1, s0, s30
	v_mul_lo_u32 v1, v2, s0
	s_delay_alu instid0(VALU_DEP_2)
	v_and_or_b32 v0, 0x3800, v0, v3
	v_add_nc_u32_e32 v3, 2, v2
	s_mul_i32 s6, s1, s8
	v_add_nc_u32_e32 v4, 4, v2
	s_ashr_i32 s7, s6, 31
	v_lshl_or_b32 v11, v83, 6, v0
	s_lshl_b64 s[6:7], s[6:7], 1
	v_mul_lo_u32 v15, v3, s0
	v_mul_lo_u32 v17, v4, s0
	v_ashrrev_i32_e32 v2, 31, v1
	ds_load_b128 v[3:6], v11
	ds_load_b128 v[7:10], v11 offset:128
	ds_load_b128 v[11:14], v11 offset:256
	s_waitcnt lgkmcnt(0)
	s_add_u32 s1, s4, s6
	s_addc_u32 s3, s5, s7
	s_lshl_b32 s4, s14, 7
	v_ashrrev_i32_e32 v16, 31, v15
	s_ashr_i32 s5, s4, 31
	v_lshlrev_b64 v[19:20], 1, v[1:2]
	s_lshl_b64 s[4:5], s[4:5], 1
	v_ashrrev_i32_e32 v18, 31, v17
	s_add_u32 s1, s1, s4
	s_addc_u32 s3, s3, s5
	v_add_co_u32 v1, vcc_lo, s1, v81
	v_add_co_ci_u32_e32 v2, vcc_lo, s3, v82, vcc_lo
	v_lshlrev_b64 v[15:16], 1, v[15:16]
	s_delay_alu instid0(VALU_DEP_3) | instskip(SKIP_1) | instid1(VALU_DEP_4)
	v_add_co_u32 v19, vcc_lo, v1, v19
	v_lshlrev_b64 v[17:18], 1, v[17:18]
	v_add_co_ci_u32_e32 v20, vcc_lo, v2, v20, vcc_lo
	s_delay_alu instid0(VALU_DEP_4) | instskip(SKIP_1) | instid1(VALU_DEP_4)
	v_add_co_u32 v15, vcc_lo, v1, v15
	v_add_co_ci_u32_e32 v16, vcc_lo, v2, v16, vcc_lo
	v_add_co_u32 v17, vcc_lo, v1, v17
	v_add_co_ci_u32_e32 v18, vcc_lo, v2, v18, vcc_lo
	s_clause 0x2
	global_store_b128 v[19:20], v[3:6], off
	global_store_b128 v[15:16], v[7:10], off
	;; [unrolled: 1-line block ×3, first 2 shown]
	s_and_b32 exec_lo, exec_lo, s2
	s_cbranch_execz .LBB696_2
; %bb.114:
	ds_load_b128 v[3:6], v0 offset:384
	s_add_i32 s1, s31, 6
	s_delay_alu instid0(SALU_CYCLE_1) | instskip(NEXT) | instid1(SALU_CYCLE_1)
	s_mul_i32 s0, s1, s0
	s_ashr_i32 s1, s0, 31
	s_delay_alu instid0(SALU_CYCLE_1) | instskip(NEXT) | instid1(SALU_CYCLE_1)
	s_lshl_b64 s[0:1], s[0:1], 1
	v_add_co_u32 v0, vcc_lo, v1, s0
	v_add_co_ci_u32_e32 v1, vcc_lo, s1, v2, vcc_lo
	s_waitcnt lgkmcnt(0)
	global_store_b128 v[0:1], v[3:6], off
	s_nop 0
	s_sendmsg sendmsg(MSG_DEALLOC_VGPRS)
	s_endpgm
	.section	.rodata,"a",@progbits
	.p2align	6, 0x0
	.amdhsa_kernel _Z39paged_attention_ll4mi_QKV_mfma16_kernelI14__hip_bfloat16S0_LN4vllm18Fp8KVCacheDataTypeE0EhLi32ELi128ELi256ELb1ELi7EL8MFMAType0EEvPKT_PKT0_S9_ifPKiSB_SB_iPKfiiiPfSE_PS4_PT2_iSD_SD_
		.amdhsa_group_segment_fixed_size 17472
		.amdhsa_private_segment_fixed_size 0
		.amdhsa_kernarg_size 400
		.amdhsa_user_sgpr_count 13
		.amdhsa_user_sgpr_dispatch_ptr 0
		.amdhsa_user_sgpr_queue_ptr 0
		.amdhsa_user_sgpr_kernarg_segment_ptr 1
		.amdhsa_user_sgpr_dispatch_id 0
		.amdhsa_user_sgpr_private_segment_size 0
		.amdhsa_wavefront_size32 1
		.amdhsa_uses_dynamic_stack 0
		.amdhsa_enable_private_segment 0
		.amdhsa_system_sgpr_workgroup_id_x 1
		.amdhsa_system_sgpr_workgroup_id_y 1
		.amdhsa_system_sgpr_workgroup_id_z 1
		.amdhsa_system_sgpr_workgroup_info 0
		.amdhsa_system_vgpr_workitem_id 0
		.amdhsa_next_free_vgpr 157
		.amdhsa_next_free_sgpr 37
		.amdhsa_reserve_vcc 1
		.amdhsa_float_round_mode_32 0
		.amdhsa_float_round_mode_16_64 0
		.amdhsa_float_denorm_mode_32 3
		.amdhsa_float_denorm_mode_16_64 3
		.amdhsa_dx10_clamp 1
		.amdhsa_ieee_mode 1
		.amdhsa_fp16_overflow 0
		.amdhsa_workgroup_processor_mode 1
		.amdhsa_memory_ordered 1
		.amdhsa_forward_progress 0
		.amdhsa_shared_vgpr_count 0
		.amdhsa_exception_fp_ieee_invalid_op 0
		.amdhsa_exception_fp_denorm_src 0
		.amdhsa_exception_fp_ieee_div_zero 0
		.amdhsa_exception_fp_ieee_overflow 0
		.amdhsa_exception_fp_ieee_underflow 0
		.amdhsa_exception_fp_ieee_inexact 0
		.amdhsa_exception_int_div_zero 0
	.end_amdhsa_kernel
	.section	.text._Z39paged_attention_ll4mi_QKV_mfma16_kernelI14__hip_bfloat16S0_LN4vllm18Fp8KVCacheDataTypeE0EhLi32ELi128ELi256ELb1ELi7EL8MFMAType0EEvPKT_PKT0_S9_ifPKiSB_SB_iPKfiiiPfSE_PS4_PT2_iSD_SD_,"axG",@progbits,_Z39paged_attention_ll4mi_QKV_mfma16_kernelI14__hip_bfloat16S0_LN4vllm18Fp8KVCacheDataTypeE0EhLi32ELi128ELi256ELb1ELi7EL8MFMAType0EEvPKT_PKT0_S9_ifPKiSB_SB_iPKfiiiPfSE_PS4_PT2_iSD_SD_,comdat
.Lfunc_end696:
	.size	_Z39paged_attention_ll4mi_QKV_mfma16_kernelI14__hip_bfloat16S0_LN4vllm18Fp8KVCacheDataTypeE0EhLi32ELi128ELi256ELb1ELi7EL8MFMAType0EEvPKT_PKT0_S9_ifPKiSB_SB_iPKfiiiPfSE_PS4_PT2_iSD_SD_, .Lfunc_end696-_Z39paged_attention_ll4mi_QKV_mfma16_kernelI14__hip_bfloat16S0_LN4vllm18Fp8KVCacheDataTypeE0EhLi32ELi128ELi256ELb1ELi7EL8MFMAType0EEvPKT_PKT0_S9_ifPKiSB_SB_iPKfiiiPfSE_PS4_PT2_iSD_SD_
                                        ; -- End function
	.section	.AMDGPU.csdata,"",@progbits
; Kernel info:
; codeLenInByte = 9768
; NumSgprs: 39
; NumVgprs: 157
; ScratchSize: 0
; MemoryBound: 0
; FloatMode: 240
; IeeeMode: 1
; LDSByteSize: 17472 bytes/workgroup (compile time only)
; SGPRBlocks: 4
; VGPRBlocks: 19
; NumSGPRsForWavesPerEU: 39
; NumVGPRsForWavesPerEU: 157
; Occupancy: 9
; WaveLimiterHint : 1
; COMPUTE_PGM_RSRC2:SCRATCH_EN: 0
; COMPUTE_PGM_RSRC2:USER_SGPR: 13
; COMPUTE_PGM_RSRC2:TRAP_HANDLER: 0
; COMPUTE_PGM_RSRC2:TGID_X_EN: 1
; COMPUTE_PGM_RSRC2:TGID_Y_EN: 1
; COMPUTE_PGM_RSRC2:TGID_Z_EN: 1
; COMPUTE_PGM_RSRC2:TIDIG_COMP_CNT: 0
	.section	.text._Z39paged_attention_ll4mi_QKV_mfma16_kernelI14__hip_bfloat16S0_LN4vllm18Fp8KVCacheDataTypeE0EhLi32ELi128ELi256ELb1ELi8EL8MFMAType0EEvPKT_PKT0_S9_ifPKiSB_SB_iPKfiiiPfSE_PS4_PT2_iSD_SD_,"axG",@progbits,_Z39paged_attention_ll4mi_QKV_mfma16_kernelI14__hip_bfloat16S0_LN4vllm18Fp8KVCacheDataTypeE0EhLi32ELi128ELi256ELb1ELi8EL8MFMAType0EEvPKT_PKT0_S9_ifPKiSB_SB_iPKfiiiPfSE_PS4_PT2_iSD_SD_,comdat
	.protected	_Z39paged_attention_ll4mi_QKV_mfma16_kernelI14__hip_bfloat16S0_LN4vllm18Fp8KVCacheDataTypeE0EhLi32ELi128ELi256ELb1ELi8EL8MFMAType0EEvPKT_PKT0_S9_ifPKiSB_SB_iPKfiiiPfSE_PS4_PT2_iSD_SD_ ; -- Begin function _Z39paged_attention_ll4mi_QKV_mfma16_kernelI14__hip_bfloat16S0_LN4vllm18Fp8KVCacheDataTypeE0EhLi32ELi128ELi256ELb1ELi8EL8MFMAType0EEvPKT_PKT0_S9_ifPKiSB_SB_iPKfiiiPfSE_PS4_PT2_iSD_SD_
	.globl	_Z39paged_attention_ll4mi_QKV_mfma16_kernelI14__hip_bfloat16S0_LN4vllm18Fp8KVCacheDataTypeE0EhLi32ELi128ELi256ELb1ELi8EL8MFMAType0EEvPKT_PKT0_S9_ifPKiSB_SB_iPKfiiiPfSE_PS4_PT2_iSD_SD_
	.p2align	8
	.type	_Z39paged_attention_ll4mi_QKV_mfma16_kernelI14__hip_bfloat16S0_LN4vllm18Fp8KVCacheDataTypeE0EhLi32ELi128ELi256ELb1ELi8EL8MFMAType0EEvPKT_PKT0_S9_ifPKiSB_SB_iPKfiiiPfSE_PS4_PT2_iSD_SD_,@function
_Z39paged_attention_ll4mi_QKV_mfma16_kernelI14__hip_bfloat16S0_LN4vllm18Fp8KVCacheDataTypeE0EhLi32ELi128ELi256ELb1ELi8EL8MFMAType0EEvPKT_PKT0_S9_ifPKiSB_SB_iPKfiiiPfSE_PS4_PT2_iSD_SD_: ; @_Z39paged_attention_ll4mi_QKV_mfma16_kernelI14__hip_bfloat16S0_LN4vllm18Fp8KVCacheDataTypeE0EhLi32ELi128ELi256ELb1ELi8EL8MFMAType0EEvPKT_PKT0_S9_ifPKiSB_SB_iPKfiiiPfSE_PS4_PT2_iSD_SD_
; %bb.0:
	s_load_b64 s[2:3], s[0:1], 0x30
	s_mov_b32 s30, s13
	s_waitcnt lgkmcnt(0)
	s_cmp_lg_u64 s[2:3], 0
	s_cselect_b32 s6, -1, 0
	s_ashr_i32 s31, s13, 31
	s_cmp_eq_u64 s[2:3], 0
	s_cbranch_scc1 .LBB697_3
; %bb.1:
	s_lshl_b64 s[4:5], s[30:31], 2
	s_delay_alu instid0(SALU_CYCLE_1) | instskip(SKIP_4) | instid1(SALU_CYCLE_1)
	s_add_u32 s4, s2, s4
	s_addc_u32 s5, s3, s5
	s_load_b64 s[4:5], s[4:5], 0x0
	s_waitcnt lgkmcnt(0)
	s_sub_i32 s4, s5, s4
	s_cmp_eq_u32 s4, 1
	s_cselect_b32 s4, -1, 0
	s_delay_alu instid0(SALU_CYCLE_1)
	s_and_not1_b32 vcc_lo, exec_lo, s4
	s_cbranch_vccz .LBB697_4
.LBB697_2:
	s_endpgm
.LBB697_3:
.LBB697_4:
	s_load_b64 s[8:9], s[0:1], 0x28
	s_lshl_b64 s[4:5], s[30:31], 2
	s_waitcnt lgkmcnt(0)
	s_add_u32 s8, s8, s4
	s_addc_u32 s9, s9, s5
	s_lshl_b32 s12, s14, 8
	s_load_b32 s17, s[8:9], 0x0
	s_waitcnt lgkmcnt(0)
	s_cmp_ge_i32 s12, s17
	s_cbranch_scc1 .LBB697_2
; %bb.5:
	s_and_not1_b32 vcc_lo, exec_lo, s6
	s_cbranch_vccnz .LBB697_7
; %bb.6:
	s_add_u32 s2, s2, s4
	s_addc_u32 s3, s3, s5
	s_load_b32 s13, s[2:3], 0x0
	s_branch .LBB697_8
.LBB697_7:
	s_mov_b32 s13, s30
.LBB697_8:
	s_clause 0x2
	s_load_b128 s[8:11], s[0:1], 0x8
	s_load_b64 s[2:3], s[0:1], 0x20
	s_load_b128 s[4:7], s[0:1], 0x48
	v_and_b32_e32 v74, 15, v0
	s_waitcnt lgkmcnt(0)
	s_mov_b32 s7, exec_lo
	s_delay_alu instid0(VALU_DEP_1)
	v_lshlrev_b32_e32 v1, 3, v74
	v_cmpx_lt_u32_e32 0x7f, v0
	s_xor_b32 s7, exec_lo, s7
; %bb.9:
	v_mov_b32_e32 v2, 0
; %bb.10:
	s_or_saveexec_b32 s7, s7
	v_lshrrev_b32_e32 v73, 5, v0
	v_and_b32_e32 v75, 31, v0
	v_and_b32_e32 v84, 1, v0
	v_bfe_u32 v83, v0, 4, 1
	s_lshl_b32 s29, s15, 3
	s_xor_b32 exec_lo, exec_lo, s7
	s_cbranch_execz .LBB697_12
; %bb.11:
	s_delay_alu instid0(VALU_DEP_1)
	v_lshl_or_b32 v7, v73, 1, v83
	s_load_b64 s[18:19], s[0:1], 0x0
	s_mul_hi_i32 s21, s13, s4
	s_mul_i32 s20, s13, s4
	v_lshlrev_b32_e32 v4, 1, v1
	v_or_b32_e32 v2, s29, v7
	s_lshl_b64 s[20:21], s[20:21], 1
	v_lshlrev_b32_e32 v7, 6, v7
	v_lshlrev_b32_e32 v8, 10, v84
	s_delay_alu instid0(VALU_DEP_3) | instskip(NEXT) | instid1(VALU_DEP_1)
	v_lshlrev_b32_e32 v2, 7, v2
	v_ashrrev_i32_e32 v3, 31, v2
	s_delay_alu instid0(VALU_DEP_1) | instskip(SKIP_3) | instid1(VALU_DEP_1)
	v_lshlrev_b64 v[2:3], 1, v[2:3]
	s_waitcnt lgkmcnt(0)
	s_add_u32 s4, s18, s20
	s_addc_u32 s13, s19, s21
	v_add_co_u32 v2, vcc_lo, s4, v2
	s_delay_alu instid0(VALU_DEP_2) | instskip(NEXT) | instid1(VALU_DEP_2)
	v_add_co_ci_u32_e32 v3, vcc_lo, s13, v3, vcc_lo
	v_add_co_u32 v2, vcc_lo, v2, v4
	s_delay_alu instid0(VALU_DEP_2) | instskip(SKIP_2) | instid1(VALU_DEP_1)
	v_add_co_ci_u32_e32 v3, vcc_lo, 0, v3, vcc_lo
	global_load_b128 v[3:6], v[2:3], off
	v_lshlrev_b32_e32 v2, 10, v74
	v_and_b32_e32 v2, 0x3800, v2
	s_delay_alu instid0(VALU_DEP_1)
	v_or3_b32 v7, v2, v8, v7
	v_mov_b32_e32 v2, 0
	s_waitcnt vmcnt(0)
	ds_store_b128 v7, v[3:6]
.LBB697_12:
	s_or_b32 exec_lo, exec_lo, s7
	v_and_b32_e32 v3, 0xef, v0
	s_add_i32 s4, s17, 31
	s_clause 0x1
	s_load_b32 s7, s[0:1], 0x38
	s_load_b32 s18, s[0:1], 0x1c
	s_ashr_i32 s13, s4, 31
	v_add_nc_u32_e32 v3, s12, v3
	s_lshr_b32 s13, s13, 27
	s_waitcnt lgkmcnt(0)
	s_add_i32 s4, s4, s13
	s_barrier
	v_ashrrev_i32_e32 v4, 31, v3
	v_cmp_gt_i32_e32 vcc_lo, s17, v3
	s_ashr_i32 s4, s4, 5
	buffer_gl0_inv
	s_add_i32 s4, s4, -1
	v_lshrrev_b32_e32 v5, 27, v4
	v_or_b32_e32 v4, 16, v3
	v_lshlrev_b64 v[81:82], 1, v[1:2]
	v_and_b32_e32 v80, 7, v0
	s_delay_alu instid0(VALU_DEP_4) | instskip(NEXT) | instid1(VALU_DEP_4)
	v_add_nc_u32_e32 v6, v3, v5
	v_add_nc_u32_e32 v5, v4, v5
	s_mul_i32 s20, s30, s7
	s_delay_alu instid0(VALU_DEP_3) | instskip(SKIP_4) | instid1(SALU_CYCLE_1)
	v_lshlrev_b32_e32 v80, 6, v80
	s_ashr_i32 s21, s20, 31
	v_ashrrev_i32_e32 v6, 5, v6
	v_ashrrev_i32_e32 v5, 5, v5
	s_lshl_b64 s[20:21], s[20:21], 2
	s_add_u32 s7, s2, s20
	s_delay_alu instid0(VALU_DEP_2) | instskip(SKIP_3) | instid1(VALU_DEP_2)
	v_cndmask_b32_e32 v3, s4, v6, vcc_lo
	v_cmp_gt_i32_e32 vcc_lo, s17, v4
	s_addc_u32 s13, s3, s21
	s_mul_i32 s2, s15, s6
	v_ashrrev_i32_e32 v4, 31, v3
	v_cndmask_b32_e32 v5, s4, v5, vcc_lo
	s_ashr_i32 s3, s2, 31
	s_delay_alu instid0(SALU_CYCLE_1) | instskip(NEXT) | instid1(VALU_DEP_2)
	s_lshl_b64 s[2:3], s[2:3], 1
	v_lshlrev_b64 v[3:4], 2, v[3:4]
	s_delay_alu instid0(VALU_DEP_2) | instskip(SKIP_3) | instid1(VALU_DEP_1)
	v_ashrrev_i32_e32 v6, 31, v5
	s_add_u32 s6, s8, s2
	s_addc_u32 s15, s9, s3
	s_lshl_b32 s8, s14, 3
	v_lshlrev_b64 v[5:6], 2, v[5:6]
	v_add_co_u32 v3, vcc_lo, s7, v3
	v_add_co_ci_u32_e32 v4, vcc_lo, s13, v4, vcc_lo
	s_ashr_i32 s9, s8, 31
	s_delay_alu instid0(VALU_DEP_3) | instskip(NEXT) | instid1(VALU_DEP_4)
	v_add_co_u32 v5, vcc_lo, s7, v5
	v_add_co_ci_u32_e32 v6, vcc_lo, s13, v6, vcc_lo
	s_lshl_b64 s[8:9], s[8:9], 2
	s_clause 0x1
	global_load_b32 v7, v[3:4], off
	global_load_b32 v8, v[5:6], off
	s_add_u32 s8, s7, s8
	s_addc_u32 s9, s13, s9
	s_or_b32 s16, s12, 32
	s_delay_alu instid0(SALU_CYCLE_1) | instskip(SKIP_2) | instid1(SALU_CYCLE_1)
	s_ashr_i32 s19, s16, 5
	s_cmp_lt_i32 s16, s17
	s_cselect_b32 s20, s19, s4
	s_ashr_i32 s21, s20, 31
	s_delay_alu instid0(SALU_CYCLE_1) | instskip(NEXT) | instid1(SALU_CYCLE_1)
	s_lshl_b64 s[20:21], s[20:21], 2
	s_add_u32 s20, s7, s20
	s_addc_u32 s21, s13, s21
	s_or_b32 s16, s12, 64
	s_delay_alu instid0(SALU_CYCLE_1) | instskip(SKIP_2) | instid1(SALU_CYCLE_1)
	s_ashr_i32 s19, s16, 5
	s_cmp_lt_i32 s16, s17
	s_cselect_b32 s22, s19, s4
	s_ashr_i32 s23, s22, 31
	s_delay_alu instid0(SALU_CYCLE_1) | instskip(NEXT) | instid1(SALU_CYCLE_1)
	s_lshl_b64 s[22:23], s[22:23], 2
	;; [unrolled: 10-line block ×5, first 2 shown]
	s_add_u32 s34, s7, s34
	s_addc_u32 s35, s13, s35
	s_clause 0x5
	s_load_b32 s16, s[8:9], 0x0
	s_load_b32 s19, s[20:21], 0x0
	;; [unrolled: 1-line block ×6, first 2 shown]
	s_mov_b32 s20, 0
	s_delay_alu instid0(SALU_CYCLE_1)
	s_mov_b32 s27, s20
	s_mov_b32 s21, s20
	;; [unrolled: 1-line block ×7, first 2 shown]
	s_delay_alu instid0(SALU_CYCLE_1)
	v_dual_mov_b32 v108, s27 :: v_dual_mov_b32 v107, s26
	v_dual_mov_b32 v106, s25 :: v_dual_mov_b32 v105, s24
	v_mov_b32_e32 v102, s21
	v_dual_mov_b32 v104, s23 :: v_dual_mov_b32 v103, s22
	v_mov_b32_e32 v101, s20
	s_waitcnt lgkmcnt(0)
	s_mul_hi_i32 s21, s16, s5
	s_mul_i32 s20, s16, s5
	s_mul_hi_i32 s23, s19, s5
	s_mul_i32 s22, s19, s5
	;; [unrolled: 2-line block ×5, first 2 shown]
	s_waitcnt vmcnt(1)
	v_mad_i64_i32 v[3:4], null, v7, s5, 0
	s_waitcnt vmcnt(0)
	v_mad_i64_i32 v[5:6], null, v8, s5, 0
	s_delay_alu instid0(VALU_DEP_2) | instskip(NEXT) | instid1(VALU_DEP_2)
	v_lshlrev_b64 v[3:4], 1, v[3:4]
	v_lshlrev_b64 v[1:2], 1, v[5:6]
	s_delay_alu instid0(VALU_DEP_2) | instskip(NEXT) | instid1(VALU_DEP_3)
	v_add_co_u32 v3, vcc_lo, s6, v3
	v_add_co_ci_u32_e32 v4, vcc_lo, s15, v4, vcc_lo
	s_delay_alu instid0(VALU_DEP_3) | instskip(NEXT) | instid1(VALU_DEP_4)
	v_add_co_u32 v1, vcc_lo, s6, v1
	v_add_co_ci_u32_e32 v2, vcc_lo, s15, v2, vcc_lo
	s_delay_alu instid0(VALU_DEP_4) | instskip(NEXT) | instid1(VALU_DEP_4)
	v_add_co_u32 v65, vcc_lo, v3, v81
	v_add_co_ci_u32_e32 v66, vcc_lo, v4, v82, vcc_lo
	s_delay_alu instid0(VALU_DEP_4) | instskip(NEXT) | instid1(VALU_DEP_4)
	v_add_co_u32 v76, vcc_lo, v1, v81
	v_add_co_ci_u32_e32 v77, vcc_lo, v2, v82, vcc_lo
	s_clause 0xf
	global_load_b128 v[1:4], v[65:66], off
	global_load_b128 v[5:8], v[65:66], off offset:512
	global_load_b128 v[9:12], v[76:77], off offset:256
	;; [unrolled: 1-line block ×15, first 2 shown]
	v_add_co_u32 v78, vcc_lo, 0x1000, v65
	v_add_co_ci_u32_e32 v79, vcc_lo, 0, v66, vcc_lo
	v_add_co_u32 v76, vcc_lo, 0x1000, v76
	s_clause 0x1
	global_load_b128 v[65:68], v[78:79], off
	global_load_b128 v[69:72], v[78:79], off offset:512
	v_add_co_ci_u32_e32 v77, vcc_lo, 0, v77, vcc_lo
	ds_load_b128 v[85:88], v80
	ds_load_b128 v[89:92], v80 offset:1024
	s_clause 0x1
	global_load_b128 v[93:96], v[76:77], off offset:256
	global_load_b128 v[97:100], v[76:77], off offset:768
	ds_load_b128 v[109:112], v80 offset:2048
	ds_load_b128 v[113:116], v80 offset:3072
	s_or_b32 s6, s12, 0xc0
	s_delay_alu instid0(SALU_CYCLE_1) | instskip(SKIP_2) | instid1(SALU_CYCLE_1)
	s_ashr_i32 s8, s6, 5
	s_cmp_lt_i32 s6, s17
	s_cselect_b32 s8, s8, s4
	s_ashr_i32 s9, s8, 31
	s_delay_alu instid0(SALU_CYCLE_1) | instskip(NEXT) | instid1(SALU_CYCLE_1)
	s_lshl_b64 s[8:9], s[8:9], 2
	s_add_u32 s8, s7, s8
	s_addc_u32 s9, s13, s9
	s_or_b32 s6, s12, 0xe0
	s_delay_alu instid0(SALU_CYCLE_1) | instskip(SKIP_2) | instid1(SALU_CYCLE_1)
	s_ashr_i32 s15, s6, 5
	s_cmp_lt_i32 s6, s17
	s_cselect_b32 s24, s15, s4
	s_ashr_i32 s25, s24, 31
	s_delay_alu instid0(SALU_CYCLE_1) | instskip(NEXT) | instid1(SALU_CYCLE_1)
	s_lshl_b64 s[24:25], s[24:25], 2
	s_add_u32 s24, s7, s24
	s_addc_u32 s25, s13, s25
	s_add_i32 s6, s12, 0x100
	s_delay_alu instid0(SALU_CYCLE_1) | instskip(SKIP_2) | instid1(SALU_CYCLE_1)
	s_ashr_i32 s15, s6, 5
	s_cmp_lt_i32 s6, s17
	s_cselect_b32 s36, s15, s4
	s_ashr_i32 s37, s36, 31
	s_delay_alu instid0(SALU_CYCLE_1) | instskip(NEXT) | instid1(SALU_CYCLE_1)
	s_lshl_b64 s[36:37], s[36:37], 2
	s_add_u32 s6, s7, s36
	s_addc_u32 s7, s13, s37
	s_add_u32 s4, s10, s2
	s_addc_u32 s19, s11, s3
	s_lshl_b64 s[2:3], s[20:21], 1
	s_lshl_b64 s[10:11], s[26:27], 1
	;; [unrolled: 1-line block ×3, first 2 shown]
	s_waitcnt vmcnt(18) lgkmcnt(2)
	v_wmma_f32_16x16x16_bf16 v[117:124], v[1:8], v[85:92], v[101:108]
	s_waitcnt vmcnt(16)
	v_wmma_f32_16x16x16_bf16 v[101:108], v[9:16], v[85:92], v[101:108]
	s_clause 0x3
	global_load_b128 v[1:4], v[78:79], off offset:1024
	global_load_b128 v[5:8], v[78:79], off offset:1536
	;; [unrolled: 1-line block ×4, first 2 shown]
	s_waitcnt vmcnt(18) lgkmcnt(0)
	v_wmma_f32_16x16x16_bf16 v[117:124], v[17:24], v[109:116], v[117:124]
	s_clause 0x1
	global_load_b128 v[17:20], v[78:79], off offset:2048
	global_load_b128 v[21:24], v[78:79], off offset:2560
	s_waitcnt vmcnt(18)
	v_wmma_f32_16x16x16_bf16 v[101:108], v[25:32], v[109:116], v[101:108]
	ds_load_b128 v[25:28], v80 offset:4096
	ds_load_b128 v[29:32], v80 offset:5120
	s_clause 0x5
	global_load_b128 v[109:112], v[76:77], off offset:2304
	global_load_b128 v[113:116], v[76:77], off offset:2816
	;; [unrolled: 1-line block ×6, first 2 shown]
	s_waitcnt vmcnt(22) lgkmcnt(0)
	v_wmma_f32_16x16x16_bf16 v[117:124], v[33:40], v[25:32], v[117:124]
	s_waitcnt vmcnt(20)
	v_wmma_f32_16x16x16_bf16 v[101:108], v[41:48], v[25:32], v[101:108]
	ds_load_b128 v[25:28], v80 offset:6144
	ds_load_b128 v[29:32], v80 offset:7168
	;; [unrolled: 1-line block ×4, first 2 shown]
	s_waitcnt vmcnt(18) lgkmcnt(2)
	v_wmma_f32_16x16x16_bf16 v[117:124], v[49:56], v[25:32], v[117:124]
	s_waitcnt vmcnt(16)
	v_wmma_f32_16x16x16_bf16 v[101:108], v[57:64], v[25:32], v[101:108]
	ds_load_b128 v[25:28], v80 offset:10240
	ds_load_b128 v[29:32], v80 offset:11264
	;; [unrolled: 1-line block ×6, first 2 shown]
	s_waitcnt vmcnt(14) lgkmcnt(6)
	v_wmma_f32_16x16x16_bf16 v[117:124], v[65:72], v[33:40], v[117:124]
	s_waitcnt vmcnt(12)
	v_wmma_f32_16x16x16_bf16 v[101:108], v[93:100], v[33:40], v[101:108]
	s_clause 0x2
	s_load_b32 s16, s[8:9], 0x0
	s_load_b32 s13, s[24:25], 0x0
	;; [unrolled: 1-line block ×3, first 2 shown]
	s_lshl_b64 s[6:7], s[22:23], 1
	s_mul_hi_i32 s9, s33, s5
	s_mul_i32 s8, s33, s5
	s_lshl_b64 s[22:23], s[38:39], 1
	s_lshl_b64 s[8:9], s[8:9], 1
	s_waitcnt lgkmcnt(0)
	s_mul_hi_i32 s25, s16, s5
	s_mul_i32 s24, s16, s5
	s_waitcnt vmcnt(10)
	v_wmma_f32_16x16x16_bf16 v[117:124], v[1:8], v[25:32], v[117:124]
	s_waitcnt vmcnt(8)
	v_wmma_f32_16x16x16_bf16 v[101:108], v[9:16], v[25:32], v[101:108]
	s_waitcnt vmcnt(6)
	s_delay_alu instid0(VALU_DEP_2) | instskip(SKIP_1) | instid1(VALU_DEP_2)
	v_wmma_f32_16x16x16_bf16 v[117:124], v[17:24], v[141:148], v[117:124]
	s_waitcnt vmcnt(4)
	v_wmma_f32_16x16x16_bf16 v[101:108], v[109:116], v[141:148], v[101:108]
	s_waitcnt vmcnt(2)
	s_delay_alu instid0(VALU_DEP_2) | instskip(SKIP_3) | instid1(VALU_DEP_3)
	v_wmma_f32_16x16x16_bf16 v[117:124], v[125:132], v[149:156], v[117:124]
	v_lshlrev_b32_e32 v85, 6, v74
	s_waitcnt vmcnt(0)
	v_wmma_f32_16x16x16_bf16 v[101:108], v[133:140], v[149:156], v[101:108]
	v_mul_f32_e32 v100, s18, v124
	s_delay_alu instid0(VALU_DEP_3) | instskip(SKIP_2) | instid1(VALU_DEP_3)
	v_lshl_or_b32 v41, v73, 10, v85
	v_mul_f32_e32 v97, s18, v117
	v_mul_f32_e32 v99, s18, v118
	v_add_co_u32 v76, s4, s4, v41
	s_delay_alu instid0(VALU_DEP_1) | instskip(NEXT) | instid1(VALU_DEP_2)
	v_add_co_ci_u32_e64 v77, null, s19, 0, s4
	v_add_co_u32 v41, vcc_lo, v76, s2
	s_delay_alu instid0(VALU_DEP_2)
	v_add_co_ci_u32_e32 v42, vcc_lo, s3, v77, vcc_lo
	v_add_co_u32 v33, vcc_lo, v76, s6
	v_add_co_ci_u32_e32 v34, vcc_lo, s7, v77, vcc_lo
	v_add_co_u32 v35, vcc_lo, v76, s10
	;; [unrolled: 2-line block ×5, first 2 shown]
	s_lshl_b64 s[2:3], s[24:25], 1
	v_add_co_ci_u32_e32 v6, vcc_lo, s23, v77, vcc_lo
	s_mul_hi_i32 s7, s13, s5
	s_mul_i32 s6, s13, s5
	v_add_co_u32 v17, vcc_lo, v76, s2
	v_add_co_ci_u32_e32 v18, vcc_lo, s3, v77, vcc_lo
	s_lshl_b64 s[2:3], s[6:7], 1
	s_mul_hi_i32 s7, s15, s5
	s_mul_i32 s6, s15, s5
	v_add_co_u32 v19, vcc_lo, v76, s2
	v_add_co_ci_u32_e32 v20, vcc_lo, s3, v77, vcc_lo
	s_lshl_b64 s[2:3], s[6:7], 1
	s_clause 0x1
	global_load_b128 v[65:68], v[41:42], off
	global_load_b128 v[69:72], v[41:42], off offset:16
	v_add_co_u32 v21, vcc_lo, v76, s2
	v_add_co_ci_u32_e32 v22, vcc_lo, s3, v77, vcc_lo
	s_clause 0xf
	global_load_b128 v[57:60], v[33:34], off
	global_load_b128 v[61:64], v[33:34], off offset:16
	global_load_b128 v[49:52], v[35:36], off
	global_load_b128 v[53:56], v[35:36], off offset:16
	;; [unrolled: 2-line block ×8, first 2 shown]
	v_and_b32_e32 v76, 0xe0, v0
	v_mbcnt_lo_u32_b32 v77, -1, 0
	s_waitcnt vmcnt(0)
	s_barrier
	buffer_gl0_inv
	v_add_nc_u32_e32 v76, s12, v76
	v_xor_b32_e32 v78, 16, v77
	s_delay_alu instid0(VALU_DEP_2) | instskip(NEXT) | instid1(VALU_DEP_2)
	v_or_b32_e32 v76, v76, v83
	v_cmp_gt_i32_e32 vcc_lo, 32, v78
	s_delay_alu instid0(VALU_DEP_2)
	v_or_b32_e32 v79, 4, v76
	v_cndmask_b32_e32 v77, v77, v78, vcc_lo
	v_or_b32_e32 v78, 2, v76
	v_or_b32_e32 v80, 6, v76
	v_cmp_gt_i32_e32 vcc_lo, s17, v76
	v_or_b32_e32 v86, 8, v76
	v_or_b32_e32 v87, 10, v76
	v_cmp_gt_i32_e64 s2, s17, v78
	v_or_b32_e32 v88, 12, v76
	v_or_b32_e32 v89, 14, v76
	;; [unrolled: 1-line block ×10, first 2 shown]
	v_cndmask_b32_e32 v76, 0xff7fffff, v97, vcc_lo
	v_cndmask_b32_e64 v78, 0xff7fffff, v99, s2
	v_mul_f32_e32 v99, s18, v120
	v_cmp_gt_i32_e64 s3, s17, v80
	v_mul_f32_e32 v80, s18, v119
	v_cmp_gt_i32_e64 s4, s17, v79
	v_max3_f32 v76, v76, 0xff7fffff, v78
	v_dual_mul_f32 v78, s18, v121 :: v_dual_mul_f32 v79, s18, v122
	v_cmp_gt_i32_e64 s5, s17, v86
	s_delay_alu instid0(VALU_DEP_4)
	v_cndmask_b32_e64 v80, 0xff7fffff, v80, s4
	v_cmp_gt_i32_e64 s6, s17, v87
	v_mul_f32_e32 v86, s18, v107
	v_cndmask_b32_e64 v99, 0xff7fffff, v99, s3
	v_mul_f32_e32 v97, s18, v123
	v_cndmask_b32_e64 v78, 0xff7fffff, v78, s5
	v_cndmask_b32_e64 v79, 0xff7fffff, v79, s6
	v_cmp_gt_i32_e64 s7, s17, v89
	v_max3_f32 v76, v76, v80, v99
	v_cmp_gt_i32_e64 s8, s17, v88
	v_dual_mul_f32 v99, s18, v105 :: v_dual_mul_f32 v88, s18, v102
	v_mul_f32_e32 v89, s18, v101
	s_delay_alu instid0(VALU_DEP_4)
	v_max3_f32 v76, v76, v78, v79
	v_mul_f32_e32 v78, s18, v104
	v_cndmask_b32_e64 v97, 0xff7fffff, v97, s8
	v_cndmask_b32_e64 v100, 0xff7fffff, v100, s7
	v_cmp_gt_i32_e64 s9, s17, v90
	v_cmp_gt_i32_e64 s10, s17, v91
	v_mul_f32_e32 v79, s18, v103
	v_cmp_gt_i32_e64 s11, s17, v92
	v_max3_f32 v76, v76, v97, v100
	v_cndmask_b32_e64 v89, 0xff7fffff, v89, s9
	v_cndmask_b32_e64 v88, 0xff7fffff, v88, s10
	v_cmp_gt_i32_e64 s12, s17, v93
	v_mul_f32_e32 v87, s18, v106
	v_cndmask_b32_e64 v79, 0xff7fffff, v79, s11
	v_cmp_gt_i32_e64 s13, s17, v94
	v_max3_f32 v76, v76, v89, v88
	v_cndmask_b32_e64 v78, 0xff7fffff, v78, s12
	v_cmp_gt_i32_e64 s15, s17, v95
	v_mul_f32_e32 v80, s18, v108
	v_cndmask_b32_e64 v88, 0xff7fffff, v99, s13
	v_cmp_gt_i32_e64 s16, s17, v96
	v_max3_f32 v76, v76, v79, v78
	v_cndmask_b32_e64 v87, 0xff7fffff, v87, s15
	v_cmp_gt_i32_e64 s17, s17, v98
	v_lshlrev_b32_e32 v99, 2, v77
	v_cndmask_b32_e64 v78, 0xff7fffff, v86, s16
	s_delay_alu instid0(VALU_DEP_4) | instskip(NEXT) | instid1(VALU_DEP_4)
	v_max3_f32 v76, v76, v88, v87
	v_cndmask_b32_e64 v79, 0xff7fffff, v80, s17
	s_delay_alu instid0(VALU_DEP_1) | instskip(SKIP_3) | instid1(VALU_DEP_1)
	v_max3_f32 v76, v76, v78, v79
	ds_bpermute_b32 v77, v99, v76
	s_waitcnt lgkmcnt(0)
	v_max_f32_e32 v77, v77, v77
	v_max_f32_e32 v89, v76, v77
	s_delay_alu instid0(VALU_DEP_1) | instskip(SKIP_4) | instid1(VALU_DEP_4)
	v_fma_f32 v76, s18, v117, -v89
	v_fma_f32 v77, s18, v118, -v89
	;; [unrolled: 1-line block ×5, first 2 shown]
	v_dual_mul_f32 v76, 0x3fb8aa3b, v76 :: v_dual_mul_f32 v77, 0x3fb8aa3b, v77
	s_delay_alu instid0(VALU_DEP_4) | instskip(NEXT) | instid1(VALU_DEP_3)
	v_mul_f32_e32 v78, 0x3fb8aa3b, v78
	v_mul_f32_e32 v80, 0x3fb8aa3b, v80
	s_delay_alu instid0(VALU_DEP_3) | instskip(NEXT) | instid1(VALU_DEP_3)
	v_exp_f32_e32 v76, v76
	v_exp_f32_e32 v77, v77
	s_delay_alu instid0(VALU_DEP_2) | instskip(NEXT) | instid1(VALU_DEP_1)
	v_exp_f32_e32 v78, v78
	v_exp_f32_e32 v80, v80
	v_cndmask_b32_e32 v91, 0, v76, vcc_lo
	v_fma_f32 v76, s18, v122, -v89
	s_delay_alu instid0(TRANS32_DEP_3)
	v_cndmask_b32_e64 v90, 0, v77, s2
	s_waitcnt_depctr 0xfff
	v_cndmask_b32_e64 v92, 0, v78, s4
	v_cndmask_b32_e64 v95, 0, v80, s5
	v_dual_add_f32 v77, 0, v91 :: v_dual_mul_f32 v76, 0x3fb8aa3b, v76
	s_mov_b32 s2, exec_lo
	s_delay_alu instid0(VALU_DEP_1) | instskip(NEXT) | instid1(VALU_DEP_2)
	v_add_f32_e32 v77, v77, v90
	v_exp_f32_e32 v76, v76
	s_delay_alu instid0(VALU_DEP_1) | instskip(SKIP_3) | instid1(VALU_DEP_1)
	v_add_f32_e32 v77, v77, v92
	s_waitcnt_depctr 0xfff
	v_cndmask_b32_e64 v96, 0, v76, s6
	v_mul_f32_e32 v79, 0x3fb8aa3b, v79
	v_exp_f32_e32 v79, v79
	s_waitcnt_depctr 0xfff
	v_cndmask_b32_e64 v94, 0, v79, s3
	s_delay_alu instid0(VALU_DEP_1) | instskip(NEXT) | instid1(VALU_DEP_1)
	v_add_f32_e32 v77, v77, v94
	v_add_f32_e32 v76, v77, v95
	v_fma_f32 v80, s18, v102, -v89
	v_fma_f32 v86, s18, v123, -v89
	;; [unrolled: 1-line block ×5, first 2 shown]
	v_mul_f32_e32 v80, 0x3fb8aa3b, v80
	v_mul_f32_e32 v86, 0x3fb8aa3b, v86
	;; [unrolled: 1-line block ×3, first 2 shown]
	v_fma_f32 v98, s18, v107, -v89
	v_mul_f32_e32 v77, 0x3fb8aa3b, v77
	v_exp_f32_e32 v80, v80
	v_exp_f32_e32 v86, v86
	;; [unrolled: 1-line block ×3, first 2 shown]
	v_add_f32_e32 v76, v76, v96
	v_exp_f32_e32 v88, v77
	v_fma_f32 v87, s18, v105, -v89
	v_fma_f32 v100, s18, v108, -v89
	v_cndmask_b32_e64 v77, 0, v80, s10
	v_mul_f32_e32 v79, 0x3fb8aa3b, v79
	s_delay_alu instid0(TRANS32_DEP_3) | instskip(SKIP_1) | instid1(TRANS32_DEP_2)
	v_cndmask_b32_e64 v93, 0, v86, s8
	v_fma_f32 v86, s18, v104, -v89
	v_cndmask_b32_e64 v97, 0, v78, s7
	v_mul_f32_e32 v100, 0x3fb8aa3b, v100
	v_exp_f32_e32 v79, v79
	v_add_f32_e32 v78, v76, v93
	v_mul_f32_e32 v86, 0x3fb8aa3b, v86
	s_delay_alu instid0(VALU_DEP_3) | instskip(NEXT) | instid1(VALU_DEP_2)
	v_exp_f32_e32 v100, v100
	v_add_f32_e32 v78, v78, v97
	s_delay_alu instid0(VALU_DEP_2) | instskip(NEXT) | instid1(TRANS32_DEP_3)
	v_exp_f32_e32 v86, v86
	v_cndmask_b32_e64 v76, 0, v79, s9
	v_fma_f32 v79, s18, v106, -v89
	s_delay_alu instid0(VALU_DEP_1) | instskip(SKIP_2) | instid1(VALU_DEP_3)
	v_dual_add_f32 v80, v78, v76 :: v_dual_mul_f32 v79, 0x3fb8aa3b, v79
	v_cndmask_b32_e64 v78, 0, v88, s11
	v_mul_f32_e32 v88, 0x3fb8aa3b, v98
	v_dual_add_f32 v80, v80, v77 :: v_dual_mul_f32 v87, 0x3fb8aa3b, v87
	s_delay_alu instid0(VALU_DEP_4) | instskip(NEXT) | instid1(TRANS32_DEP_2)
	v_exp_f32_e32 v98, v79
	v_cndmask_b32_e64 v79, 0, v86, s12
	s_delay_alu instid0(VALU_DEP_3) | instskip(NEXT) | instid1(VALU_DEP_2)
	v_exp_f32_e32 v88, v88
	v_add_f32_e32 v86, v80, v78
	v_exp_f32_e32 v87, v87
	s_waitcnt_depctr 0xfff
	v_cndmask_b32_e64 v80, 0, v87, s13
	v_add_f32_e32 v87, v86, v79
	v_cndmask_b32_e64 v86, 0, v98, s15
	s_delay_alu instid0(VALU_DEP_2) | instskip(SKIP_1) | instid1(VALU_DEP_2)
	v_add_f32_e32 v98, v87, v80
	v_cndmask_b32_e64 v87, 0, v88, s16
	v_add_f32_e32 v88, v98, v86
	s_delay_alu instid0(VALU_DEP_1) | instskip(SKIP_1) | instid1(VALU_DEP_1)
	v_add_f32_e32 v98, v88, v87
	v_cndmask_b32_e64 v88, 0, v100, s17
	v_add_f32_e32 v98, v98, v88
	ds_bpermute_b32 v99, v99, v98
	v_cmpx_gt_u32_e32 16, v75
	s_cbranch_execz .LBB697_14
; %bb.13:
	v_mul_u32_u24_e32 v75, 0x44, v73
	s_waitcnt lgkmcnt(0)
	v_add_f32_e32 v98, v98, v99
	s_delay_alu instid0(VALU_DEP_2) | instskip(NEXT) | instid1(VALU_DEP_1)
	v_lshl_add_u32 v75, v74, 2, v75
	v_add_nc_u32_e32 v75, 0x4000, v75
	ds_store_2addr_b32 v75, v89, v98 offset1:136
.LBB697_14:
	s_or_b32 exec_lo, exec_lo, s2
	v_lshlrev_b32_e32 v74, 2, v74
	s_waitcnt lgkmcnt(0)
	s_barrier
	buffer_gl0_inv
	v_cmp_eq_u32_e64 s2, 1, v73
	v_add_nc_u32_e32 v89, 0x4000, v74
	ds_load_2addr_b32 v[98:99], v89 offset1:17
	ds_load_2addr_b32 v[100:101], v89 offset0:34 offset1:51
	ds_load_2addr_b32 v[102:103], v89 offset0:68 offset1:85
	;; [unrolled: 1-line block ×4, first 2 shown]
	s_waitcnt lgkmcnt(4)
	v_max3_f32 v74, v98, 0xff7fffff, v99
	s_waitcnt lgkmcnt(3)
	s_delay_alu instid0(VALU_DEP_1) | instskip(SKIP_1) | instid1(VALU_DEP_1)
	v_max3_f32 v74, v74, v100, v101
	s_waitcnt lgkmcnt(2)
	v_max3_f32 v74, v74, v102, v103
	s_waitcnt lgkmcnt(1)
	s_delay_alu instid0(VALU_DEP_1) | instskip(NEXT) | instid1(VALU_DEP_1)
	v_max3_f32 v74, v74, v104, v105
	v_sub_f32_e32 v108, v99, v74
	v_sub_f32_e32 v75, v98, v74
	ds_load_2addr_b32 v[98:99], v89 offset0:170 offset1:187
	v_sub_f32_e32 v100, v100, v74
	v_dual_mul_f32 v108, 0x3fb8aa3b, v108 :: v_dual_mul_f32 v75, 0x3fb8aa3b, v75
	s_delay_alu instid0(VALU_DEP_2) | instskip(NEXT) | instid1(VALU_DEP_2)
	v_mul_f32_e32 v110, 0x3fb8aa3b, v100
	v_exp_f32_e32 v108, v108
	s_delay_alu instid0(VALU_DEP_2)
	v_exp_f32_e32 v109, v75
	v_sub_f32_e32 v75, v101, v74
	ds_load_2addr_b32 v[100:101], v89 offset0:204 offset1:221
	v_exp_f32_e32 v110, v110
	v_mul_f32_e32 v111, 0x3fb8aa3b, v75
	s_waitcnt lgkmcnt(2)
	v_fma_f32 v75, v109, v106, 0
	v_sub_f32_e32 v102, v102, v74
	s_delay_alu instid0(VALU_DEP_3) | instskip(NEXT) | instid1(VALU_DEP_2)
	v_exp_f32_e32 v111, v111
	v_dual_sub_f32 v106, v103, v74 :: v_dual_fmac_f32 v75, v108, v107
	s_waitcnt lgkmcnt(1)
	s_waitcnt_depctr 0xfff
	v_fmac_f32_e32 v75, v110, v98
	v_mul_f32_e32 v112, 0x3fb8aa3b, v102
	ds_load_2addr_b32 v[102:103], v89 offset0:238 offset1:255
	v_sub_f32_e32 v89, v104, v74
	v_dual_sub_f32 v98, v105, v74 :: v_dual_fmac_f32 v75, v111, v99
	v_mul_f32_e32 v104, 0x3fb8aa3b, v106
	v_exp_f32_e32 v106, v112
	s_delay_alu instid0(VALU_DEP_2)
	v_dual_mul_f32 v89, 0x3fb8aa3b, v89 :: v_dual_mul_f32 v98, 0x3fb8aa3b, v98
	s_waitcnt lgkmcnt(0)
	s_barrier
	buffer_gl0_inv
	v_exp_f32_e32 v89, v89
	v_exp_f32_e32 v98, v98
	v_fmac_f32_e32 v75, v106, v100
	v_exp_f32_e32 v104, v104
	s_waitcnt_depctr 0xfff
	v_fmac_f32_e32 v75, v104, v101
	s_delay_alu instid0(VALU_DEP_1) | instskip(NEXT) | instid1(VALU_DEP_1)
	v_fmac_f32_e32 v75, v89, v102
	v_fmac_f32_e32 v75, v98, v103
	s_delay_alu instid0(VALU_DEP_1) | instskip(NEXT) | instid1(VALU_DEP_1)
	v_add_f32_e32 v99, 0x358637bd, v75
	v_div_scale_f32 v100, null, v99, v99, 1.0
	v_div_scale_f32 v103, vcc_lo, 1.0, v99, 1.0
	s_delay_alu instid0(VALU_DEP_2) | instskip(SKIP_2) | instid1(VALU_DEP_1)
	v_rcp_f32_e32 v101, v100
	s_waitcnt_depctr 0xfff
	v_fma_f32 v102, -v100, v101, 1.0
	v_fmac_f32_e32 v101, v102, v101
	v_cndmask_b32_e64 v102, v109, v108, s2
	v_cmp_eq_u32_e64 s2, 2, v73
	s_delay_alu instid0(VALU_DEP_3) | instskip(NEXT) | instid1(VALU_DEP_2)
	v_mul_f32_e32 v105, v103, v101
	v_cndmask_b32_e64 v102, v102, v110, s2
	v_cmp_eq_u32_e64 s2, 3, v73
	s_delay_alu instid0(VALU_DEP_3) | instskip(NEXT) | instid1(VALU_DEP_2)
	v_fma_f32 v107, -v100, v105, v103
	v_cndmask_b32_e64 v102, v102, v111, s2
	v_cmp_eq_u32_e64 s2, 4, v73
	s_delay_alu instid0(VALU_DEP_3) | instskip(NEXT) | instid1(VALU_DEP_2)
	v_fmac_f32_e32 v105, v107, v101
	v_cndmask_b32_e64 v102, v102, v106, s2
	s_delay_alu instid0(VALU_DEP_2) | instskip(SKIP_1) | instid1(VALU_DEP_2)
	v_fma_f32 v100, -v100, v105, v103
	v_cmp_eq_u32_e64 s2, 5, v73
	v_div_fmas_f32 v100, v100, v101, v105
	s_delay_alu instid0(VALU_DEP_2) | instskip(SKIP_2) | instid1(VALU_DEP_3)
	v_cndmask_b32_e64 v102, v102, v104, s2
	v_cmp_eq_u32_e32 vcc_lo, 6, v73
	s_mov_b32 s2, exec_lo
	v_div_fixup_f32 v99, v100, v99, 1.0
	s_delay_alu instid0(VALU_DEP_3) | instskip(SKIP_1) | instid1(VALU_DEP_2)
	v_cndmask_b32_e32 v89, v102, v89, vcc_lo
	v_cmp_eq_u32_e32 vcc_lo, 7, v73
	v_cndmask_b32_e32 v89, v89, v98, vcc_lo
	s_delay_alu instid0(VALU_DEP_1) | instskip(NEXT) | instid1(VALU_DEP_1)
	v_mul_f32_e32 v89, v89, v99
	v_mul_f32_e32 v99, v89, v91
	;; [unrolled: 1-line block ×6, first 2 shown]
	v_and_b32_e32 v100, 0x7f800000, v99
	v_mul_f32_e32 v98, v89, v94
	v_mul_f32_e32 v94, v89, v90
	;; [unrolled: 1-line block ×3, first 2 shown]
                                        ; implicit-def: $vgpr90
	s_delay_alu instid0(VALU_DEP_4)
	v_cmpx_ne_u32_e32 0x7f800000, v100
	s_xor_b32 s2, exec_lo, s2
; %bb.15:
	v_bfe_u32 v90, v99, 16, 1
	s_delay_alu instid0(VALU_DEP_1)
	v_add3_u32 v90, v99, v90, 0x7fff
                                        ; implicit-def: $vgpr99
; %bb.16:
	s_and_not1_saveexec_b32 s2, s2
; %bb.17:
	v_and_b32_e32 v90, 0xffff, v99
	v_or_b32_e32 v92, 0x10000, v99
	s_delay_alu instid0(VALU_DEP_2) | instskip(NEXT) | instid1(VALU_DEP_2)
	v_cmp_eq_u32_e32 vcc_lo, 0, v90
	v_cndmask_b32_e32 v90, v92, v99, vcc_lo
; %bb.18:
	s_or_b32 exec_lo, exec_lo, s2
	v_and_b32_e32 v92, 0x7f800000, v94
	s_delay_alu instid0(VALU_DEP_1) | instskip(SKIP_1) | instid1(SALU_CYCLE_1)
	v_cmp_ne_u32_e32 vcc_lo, 0x7f800000, v92
                                        ; implicit-def: $vgpr92
	s_and_saveexec_b32 s2, vcc_lo
	s_xor_b32 s2, exec_lo, s2
; %bb.19:
	v_bfe_u32 v92, v94, 16, 1
	s_delay_alu instid0(VALU_DEP_1)
	v_add3_u32 v92, v94, v92, 0x7fff
                                        ; implicit-def: $vgpr94
; %bb.20:
	s_and_not1_saveexec_b32 s2, s2
; %bb.21:
	v_and_b32_e32 v92, 0xffff, v94
	v_or_b32_e32 v99, 0x10000, v94
	s_delay_alu instid0(VALU_DEP_2) | instskip(NEXT) | instid1(VALU_DEP_2)
	v_cmp_eq_u32_e32 vcc_lo, 0, v92
	v_cndmask_b32_e32 v92, v99, v94, vcc_lo
; %bb.22:
	s_or_b32 exec_lo, exec_lo, s2
	v_and_b32_e32 v94, 0x7f800000, v95
	s_delay_alu instid0(VALU_DEP_1) | instskip(SKIP_1) | instid1(SALU_CYCLE_1)
	v_cmp_ne_u32_e32 vcc_lo, 0x7f800000, v94
                                        ; implicit-def: $vgpr94
	s_and_saveexec_b32 s2, vcc_lo
	s_xor_b32 s2, exec_lo, s2
; %bb.23:
	v_bfe_u32 v94, v95, 16, 1
	s_delay_alu instid0(VALU_DEP_1)
	v_add3_u32 v94, v95, v94, 0x7fff
                                        ; implicit-def: $vgpr95
; %bb.24:
	s_and_not1_saveexec_b32 s2, s2
; %bb.25:
	v_and_b32_e32 v94, 0xffff, v95
	v_or_b32_e32 v99, 0x10000, v95
	s_delay_alu instid0(VALU_DEP_2) | instskip(NEXT) | instid1(VALU_DEP_2)
	v_cmp_eq_u32_e32 vcc_lo, 0, v94
	v_cndmask_b32_e32 v94, v99, v95, vcc_lo
; %bb.26:
	s_or_b32 exec_lo, exec_lo, s2
	v_and_b32_e32 v95, 0x7f800000, v98
	s_delay_alu instid0(VALU_DEP_1) | instskip(SKIP_1) | instid1(SALU_CYCLE_1)
	v_cmp_ne_u32_e32 vcc_lo, 0x7f800000, v95
                                        ; implicit-def: $vgpr95
	s_and_saveexec_b32 s2, vcc_lo
	s_xor_b32 s2, exec_lo, s2
; %bb.27:
	v_bfe_u32 v95, v98, 16, 1
	s_delay_alu instid0(VALU_DEP_1)
	v_add3_u32 v95, v98, v95, 0x7fff
                                        ; implicit-def: $vgpr98
; %bb.28:
	s_and_not1_saveexec_b32 s2, s2
; %bb.29:
	v_and_b32_e32 v95, 0xffff, v98
	v_or_b32_e32 v99, 0x10000, v98
	s_delay_alu instid0(VALU_DEP_2) | instskip(NEXT) | instid1(VALU_DEP_2)
	v_cmp_eq_u32_e32 vcc_lo, 0, v95
	v_cndmask_b32_e32 v95, v99, v98, vcc_lo
; %bb.30:
	s_or_b32 exec_lo, exec_lo, s2
	v_and_b32_e32 v98, 0x7f800000, v97
	s_delay_alu instid0(VALU_DEP_1) | instskip(SKIP_1) | instid1(SALU_CYCLE_1)
	v_cmp_ne_u32_e32 vcc_lo, 0x7f800000, v98
                                        ; implicit-def: $vgpr98
	s_and_saveexec_b32 s2, vcc_lo
	s_xor_b32 s2, exec_lo, s2
; %bb.31:
	v_bfe_u32 v98, v97, 16, 1
	s_delay_alu instid0(VALU_DEP_1)
	v_add3_u32 v98, v97, v98, 0x7fff
                                        ; implicit-def: $vgpr97
; %bb.32:
	s_and_not1_saveexec_b32 s2, s2
; %bb.33:
	v_and_b32_e32 v98, 0xffff, v97
	v_or_b32_e32 v99, 0x10000, v97
	s_delay_alu instid0(VALU_DEP_2) | instskip(NEXT) | instid1(VALU_DEP_2)
	v_cmp_eq_u32_e32 vcc_lo, 0, v98
	v_cndmask_b32_e32 v98, v99, v97, vcc_lo
; %bb.34:
	s_or_b32 exec_lo, exec_lo, s2
	v_and_b32_e32 v97, 0x7f800000, v96
	s_delay_alu instid0(VALU_DEP_1) | instskip(SKIP_1) | instid1(SALU_CYCLE_1)
	v_cmp_ne_u32_e32 vcc_lo, 0x7f800000, v97
                                        ; implicit-def: $vgpr97
	s_and_saveexec_b32 s2, vcc_lo
	s_xor_b32 s2, exec_lo, s2
; %bb.35:
	v_bfe_u32 v97, v96, 16, 1
	s_delay_alu instid0(VALU_DEP_1)
	v_add3_u32 v97, v96, v97, 0x7fff
                                        ; implicit-def: $vgpr96
; %bb.36:
	s_and_not1_saveexec_b32 s2, s2
; %bb.37:
	v_and_b32_e32 v97, 0xffff, v96
	v_or_b32_e32 v99, 0x10000, v96
	s_delay_alu instid0(VALU_DEP_2) | instskip(NEXT) | instid1(VALU_DEP_2)
	v_cmp_eq_u32_e32 vcc_lo, 0, v97
	v_cndmask_b32_e32 v97, v99, v96, vcc_lo
; %bb.38:
	s_or_b32 exec_lo, exec_lo, s2
	v_and_b32_e32 v96, 0x7f800000, v93
	s_delay_alu instid0(VALU_DEP_1) | instskip(SKIP_1) | instid1(SALU_CYCLE_1)
	v_cmp_ne_u32_e32 vcc_lo, 0x7f800000, v96
                                        ; implicit-def: $vgpr96
	s_and_saveexec_b32 s2, vcc_lo
	s_xor_b32 s2, exec_lo, s2
; %bb.39:
	v_bfe_u32 v96, v93, 16, 1
	s_delay_alu instid0(VALU_DEP_1)
	v_add3_u32 v96, v93, v96, 0x7fff
                                        ; implicit-def: $vgpr93
; %bb.40:
	s_and_not1_saveexec_b32 s2, s2
; %bb.41:
	v_and_b32_e32 v96, 0xffff, v93
	v_or_b32_e32 v99, 0x10000, v93
	s_delay_alu instid0(VALU_DEP_2) | instskip(NEXT) | instid1(VALU_DEP_2)
	v_cmp_eq_u32_e32 vcc_lo, 0, v96
	v_cndmask_b32_e32 v96, v99, v93, vcc_lo
; %bb.42:
	s_or_b32 exec_lo, exec_lo, s2
	v_and_b32_e32 v93, 0x7f800000, v91
	s_delay_alu instid0(VALU_DEP_1) | instskip(SKIP_1) | instid1(SALU_CYCLE_1)
	v_cmp_ne_u32_e32 vcc_lo, 0x7f800000, v93
                                        ; implicit-def: $vgpr93
	s_and_saveexec_b32 s2, vcc_lo
	s_xor_b32 s2, exec_lo, s2
; %bb.43:
	v_bfe_u32 v93, v91, 16, 1
	s_delay_alu instid0(VALU_DEP_1)
	v_add3_u32 v93, v91, v93, 0x7fff
                                        ; implicit-def: $vgpr91
; %bb.44:
	s_and_not1_saveexec_b32 s2, s2
; %bb.45:
	v_and_b32_e32 v93, 0xffff, v91
	v_or_b32_e32 v99, 0x10000, v91
	s_delay_alu instid0(VALU_DEP_2) | instskip(NEXT) | instid1(VALU_DEP_2)
	v_cmp_eq_u32_e32 vcc_lo, 0, v93
	v_cndmask_b32_e32 v93, v99, v91, vcc_lo
; %bb.46:
	s_or_b32 exec_lo, exec_lo, s2
	s_load_b64 s[34:35], s[0:1], 0x94
	v_lshlrev_b32_e32 v91, 4, v83
	s_delay_alu instid0(VALU_DEP_2)
	v_perm_b32 v99, v93, v96, 0x7060302
	v_dual_mul_f32 v88, v89, v88 :: v_dual_lshlrev_b32 v93, 11, v73
	v_perm_b32 v96, v92, v90, 0x7060302
	v_mul_f32_e32 v92, v89, v76
	v_perm_b32 v98, v97, v98, 0x7060302
	v_perm_b32 v97, v95, v94, 0x7060302
	v_or3_b32 v76, v91, v93, v85
	v_mul_f32_e32 v87, v89, v87
	v_dual_mul_f32 v86, v89, v86 :: v_dual_and_b32 v93, 0x7f800000, v92
	v_mul_f32_e32 v80, v89, v80
	v_mul_f32_e32 v90, v89, v79
	;; [unrolled: 1-line block ×4, first 2 shown]
	s_mov_b32 s2, exec_lo
	ds_store_b128 v76, v[96:99]
                                        ; implicit-def: $vgpr77
	v_cmpx_ne_u32_e32 0x7f800000, v93
	s_xor_b32 s2, exec_lo, s2
; %bb.47:
	v_bfe_u32 v77, v92, 16, 1
	s_delay_alu instid0(VALU_DEP_1)
	v_add3_u32 v77, v92, v77, 0x7fff
                                        ; implicit-def: $vgpr92
; %bb.48:
	s_and_not1_saveexec_b32 s2, s2
; %bb.49:
	v_and_b32_e32 v77, 0xffff, v92
	v_or_b32_e32 v78, 0x10000, v92
	s_delay_alu instid0(VALU_DEP_2) | instskip(NEXT) | instid1(VALU_DEP_2)
	v_cmp_eq_u32_e32 vcc_lo, 0, v77
	v_cndmask_b32_e32 v77, v78, v92, vcc_lo
; %bb.50:
	s_or_b32 exec_lo, exec_lo, s2
	v_and_b32_e32 v78, 0x7f800000, v79
	s_delay_alu instid0(VALU_DEP_1) | instskip(SKIP_1) | instid1(SALU_CYCLE_1)
	v_cmp_ne_u32_e32 vcc_lo, 0x7f800000, v78
                                        ; implicit-def: $vgpr78
	s_and_saveexec_b32 s2, vcc_lo
	s_xor_b32 s2, exec_lo, s2
; %bb.51:
	v_bfe_u32 v78, v79, 16, 1
	s_delay_alu instid0(VALU_DEP_1)
	v_add3_u32 v78, v79, v78, 0x7fff
                                        ; implicit-def: $vgpr79
; %bb.52:
	s_and_not1_saveexec_b32 s2, s2
; %bb.53:
	v_and_b32_e32 v78, 0xffff, v79
	v_or_b32_e32 v89, 0x10000, v79
	s_delay_alu instid0(VALU_DEP_2) | instskip(NEXT) | instid1(VALU_DEP_2)
	v_cmp_eq_u32_e32 vcc_lo, 0, v78
	v_cndmask_b32_e32 v78, v89, v79, vcc_lo
; %bb.54:
	s_or_b32 exec_lo, exec_lo, s2
	v_and_b32_e32 v79, 0x7f800000, v91
	s_delay_alu instid0(VALU_DEP_1) | instskip(SKIP_1) | instid1(SALU_CYCLE_1)
	v_cmp_ne_u32_e32 vcc_lo, 0x7f800000, v79
                                        ; implicit-def: $vgpr79
	s_and_saveexec_b32 s2, vcc_lo
	s_xor_b32 s2, exec_lo, s2
; %bb.55:
	v_bfe_u32 v79, v91, 16, 1
	s_delay_alu instid0(VALU_DEP_1)
	v_add3_u32 v79, v91, v79, 0x7fff
                                        ; implicit-def: $vgpr91
; %bb.56:
	s_and_not1_saveexec_b32 s2, s2
; %bb.57:
	v_and_b32_e32 v79, 0xffff, v91
	v_or_b32_e32 v89, 0x10000, v91
	s_delay_alu instid0(VALU_DEP_2) | instskip(NEXT) | instid1(VALU_DEP_2)
	v_cmp_eq_u32_e32 vcc_lo, 0, v79
	v_cndmask_b32_e32 v79, v89, v91, vcc_lo
; %bb.58:
	s_or_b32 exec_lo, exec_lo, s2
	v_and_b32_e32 v89, 0x7f800000, v90
	s_delay_alu instid0(VALU_DEP_1) | instskip(SKIP_1) | instid1(SALU_CYCLE_1)
	v_cmp_ne_u32_e32 vcc_lo, 0x7f800000, v89
                                        ; implicit-def: $vgpr89
	s_and_saveexec_b32 s2, vcc_lo
	s_xor_b32 s2, exec_lo, s2
; %bb.59:
	v_bfe_u32 v89, v90, 16, 1
	s_delay_alu instid0(VALU_DEP_1)
	v_add3_u32 v89, v90, v89, 0x7fff
                                        ; implicit-def: $vgpr90
; %bb.60:
	s_and_not1_saveexec_b32 s2, s2
; %bb.61:
	v_and_b32_e32 v89, 0xffff, v90
	v_or_b32_e32 v91, 0x10000, v90
	s_delay_alu instid0(VALU_DEP_2) | instskip(NEXT) | instid1(VALU_DEP_2)
	v_cmp_eq_u32_e32 vcc_lo, 0, v89
	v_cndmask_b32_e32 v89, v91, v90, vcc_lo
; %bb.62:
	s_or_b32 exec_lo, exec_lo, s2
	v_and_b32_e32 v90, 0x7f800000, v80
	s_delay_alu instid0(VALU_DEP_1) | instskip(SKIP_1) | instid1(SALU_CYCLE_1)
	v_cmp_ne_u32_e32 vcc_lo, 0x7f800000, v90
                                        ; implicit-def: $vgpr90
	s_and_saveexec_b32 s2, vcc_lo
	s_xor_b32 s2, exec_lo, s2
; %bb.63:
	v_bfe_u32 v90, v80, 16, 1
	s_delay_alu instid0(VALU_DEP_1)
	v_add3_u32 v90, v80, v90, 0x7fff
                                        ; implicit-def: $vgpr80
; %bb.64:
	s_and_not1_saveexec_b32 s2, s2
; %bb.65:
	v_and_b32_e32 v90, 0xffff, v80
	v_or_b32_e32 v91, 0x10000, v80
	s_delay_alu instid0(VALU_DEP_2) | instskip(NEXT) | instid1(VALU_DEP_2)
	v_cmp_eq_u32_e32 vcc_lo, 0, v90
	v_cndmask_b32_e32 v90, v91, v80, vcc_lo
; %bb.66:
	s_or_b32 exec_lo, exec_lo, s2
	v_and_b32_e32 v80, 0x7f800000, v86
	s_delay_alu instid0(VALU_DEP_1) | instskip(SKIP_1) | instid1(SALU_CYCLE_1)
	v_cmp_ne_u32_e32 vcc_lo, 0x7f800000, v80
                                        ; implicit-def: $vgpr80
	s_and_saveexec_b32 s2, vcc_lo
	s_xor_b32 s2, exec_lo, s2
; %bb.67:
	v_bfe_u32 v80, v86, 16, 1
	s_delay_alu instid0(VALU_DEP_1)
	v_add3_u32 v80, v86, v80, 0x7fff
                                        ; implicit-def: $vgpr86
; %bb.68:
	s_and_not1_saveexec_b32 s2, s2
; %bb.69:
	v_and_b32_e32 v80, 0xffff, v86
	v_or_b32_e32 v91, 0x10000, v86
	s_delay_alu instid0(VALU_DEP_2) | instskip(NEXT) | instid1(VALU_DEP_2)
	v_cmp_eq_u32_e32 vcc_lo, 0, v80
	v_cndmask_b32_e32 v80, v91, v86, vcc_lo
; %bb.70:
	s_or_b32 exec_lo, exec_lo, s2
	v_and_b32_e32 v86, 0x7f800000, v87
	s_delay_alu instid0(VALU_DEP_1) | instskip(SKIP_1) | instid1(SALU_CYCLE_1)
	v_cmp_ne_u32_e32 vcc_lo, 0x7f800000, v86
                                        ; implicit-def: $vgpr86
	s_and_saveexec_b32 s2, vcc_lo
	s_xor_b32 s2, exec_lo, s2
; %bb.71:
	v_bfe_u32 v86, v87, 16, 1
	s_delay_alu instid0(VALU_DEP_1)
	v_add3_u32 v86, v87, v86, 0x7fff
                                        ; implicit-def: $vgpr87
; %bb.72:
	s_and_not1_saveexec_b32 s2, s2
; %bb.73:
	v_and_b32_e32 v86, 0xffff, v87
	v_or_b32_e32 v91, 0x10000, v87
	s_delay_alu instid0(VALU_DEP_2) | instskip(NEXT) | instid1(VALU_DEP_2)
	v_cmp_eq_u32_e32 vcc_lo, 0, v86
	v_cndmask_b32_e32 v86, v91, v87, vcc_lo
; %bb.74:
	s_or_b32 exec_lo, exec_lo, s2
	v_and_b32_e32 v87, 0x7f800000, v88
	s_delay_alu instid0(VALU_DEP_1) | instskip(SKIP_1) | instid1(SALU_CYCLE_1)
	v_cmp_ne_u32_e32 vcc_lo, 0x7f800000, v87
                                        ; implicit-def: $vgpr87
	s_and_saveexec_b32 s2, vcc_lo
	s_xor_b32 s2, exec_lo, s2
; %bb.75:
	v_bfe_u32 v87, v88, 16, 1
	s_delay_alu instid0(VALU_DEP_1)
	v_add3_u32 v87, v88, v87, 0x7fff
                                        ; implicit-def: $vgpr88
; %bb.76:
	s_and_not1_saveexec_b32 s2, s2
; %bb.77:
	v_and_b32_e32 v87, 0xffff, v88
	v_or_b32_e32 v91, 0x10000, v88
	s_delay_alu instid0(VALU_DEP_2) | instskip(NEXT) | instid1(VALU_DEP_2)
	v_cmp_eq_u32_e32 vcc_lo, 0, v87
	v_cndmask_b32_e32 v87, v91, v88, vcc_lo
; %bb.78:
	s_or_b32 exec_lo, exec_lo, s2
	s_delay_alu instid0(VALU_DEP_1)
	v_perm_b32 v94, v87, v86, 0x7060302
	v_perm_b32 v93, v80, v90, 0x7060302
	;; [unrolled: 1-line block ×4, first 2 shown]
	v_lshl_or_b32 v90, v73, 11, v85
	ds_store_b128 v76, v[91:94] offset:1024
	s_waitcnt lgkmcnt(0)
	s_barrier
	buffer_gl0_inv
	ds_load_b128 v[77:80], v90
	ds_load_b128 v[91:94], v90 offset:16
	s_waitcnt lgkmcnt(1)
	v_lshrrev_b32_e32 v73, 16, v77
	s_waitcnt lgkmcnt(0)
	v_lshrrev_b32_e32 v108, 16, v94
	v_lshlrev_b32_e32 v87, 2, v83
	v_lshrrev_b32_e32 v99, 16, v91
	v_lshrrev_b32_e32 v103, 16, v78
	;; [unrolled: 1-line block ×4, first 2 shown]
	v_or_b32_e32 v88, 1, v87
	v_cmp_eq_u32_e32 vcc_lo, 1, v87
	v_cmp_eq_u32_e64 s3, 2, v87
	v_cmp_eq_u32_e64 s6, 3, v87
	;; [unrolled: 1-line block ×4, first 2 shown]
	v_cndmask_b32_e32 v89, v77, v73, vcc_lo
	v_cndmask_b32_e32 v95, v91, v99, vcc_lo
	v_cmp_eq_u32_e64 s5, 2, v88
	v_cmp_eq_u32_e64 s7, 3, v88
	v_cndmask_b32_e64 v96, v77, v73, s2
	v_cndmask_b32_e64 v89, v89, v78, s3
	;; [unrolled: 1-line block ×3, first 2 shown]
	v_or_b32_e32 v86, 2, v87
	v_lshrrev_b32_e32 v107, 16, v93
	v_cndmask_b32_e64 v96, v96, v78, s5
	v_cndmask_b32_e64 v89, v89, v103, s6
	;; [unrolled: 1-line block ×4, first 2 shown]
	v_cmp_eq_u32_e64 s9, 5, v87
	v_cndmask_b32_e64 v96, v96, v103, s7
	v_cndmask_b32_e64 v89, v89, v79, s8
	;; [unrolled: 1-line block ×3, first 2 shown]
	v_cmp_eq_u32_e64 s10, 4, v88
	v_cmp_eq_u32_e64 s4, 1, v86
	v_cndmask_b32_e64 v97, v97, v92, s5
	v_cndmask_b32_e64 v89, v89, v104, s9
	v_cmp_eq_u32_e64 s11, 6, v87
	v_cndmask_b32_e64 v96, v96, v79, s10
	v_cndmask_b32_e64 v95, v95, v107, s9
	v_cmp_eq_u32_e64 s12, 5, v88
	v_lshrrev_b32_e32 v105, 16, v80
	v_cndmask_b32_e64 v98, v77, v73, s4
	v_cndmask_b32_e64 v97, v97, v106, s7
	;; [unrolled: 1-line block ×4, first 2 shown]
	v_cmp_eq_u32_e64 s13, 7, v87
	v_cndmask_b32_e64 v95, v95, v94, s11
	v_cmp_eq_u32_e64 s15, 6, v88
	v_cmp_eq_u32_e64 s16, 2, v86
	v_cndmask_b32_e64 v97, v97, v93, s10
	v_cndmask_b32_e64 v109, v89, v105, s13
	;; [unrolled: 1-line block ×6, first 2 shown]
	v_cmp_eq_u32_e64 s17, 7, v88
	v_cmp_eq_u32_e64 s18, 3, v86
	;; [unrolled: 1-line block ×4, first 2 shown]
	v_cndmask_b32_e64 v95, v95, v92, s16
	v_cndmask_b32_e64 v111, v96, v105, s17
	;; [unrolled: 1-line block ×4, first 2 shown]
	v_or_b32_e32 v89, 3, v87
	v_cndmask_b32_e64 v101, v95, v106, s18
	v_cmp_eq_u32_e64 s23, 6, v86
	v_cndmask_b32_e64 v112, v96, v94, s15
	v_cndmask_b32_e64 v100, v97, v79, s19
	v_cmp_eq_u32_e64 s20, 1, v89
	ds_load_b128 v[95:98], v90 offset:1024
	v_cmp_eq_u32_e64 s22, 2, v89
	v_cmp_eq_u32_e64 s24, 3, v89
	v_cndmask_b32_e64 v113, v100, v104, s21
	v_cndmask_b32_e64 v73, v77, v73, s20
	;; [unrolled: 1-line block ×4, first 2 shown]
	ds_load_b128 v[99:102], v90 offset:1040
	v_cmp_eq_u32_e64 s25, 4, v89
	v_cndmask_b32_e64 v73, v73, v78, s22
	v_cmp_eq_u32_e64 s26, 7, v86
	v_cndmask_b32_e64 v78, v91, v92, s22
	v_cndmask_b32_e64 v92, v113, v80, s23
	v_cmp_eq_u32_e64 s27, 5, v89
	v_cndmask_b32_e64 v73, v73, v103, s24
	v_cndmask_b32_e64 v77, v77, v107, s21
	;; [unrolled: 1-line block ×3, first 2 shown]
	v_cmp_eq_u32_e64 s28, 6, v89
	v_cndmask_b32_e64 v91, v112, v108, s17
	v_cndmask_b32_e64 v73, v73, v79, s25
	s_waitcnt lgkmcnt(1)
	v_lshrrev_b32_e32 v103, 16, v95
	v_cndmask_b32_e64 v78, v78, v93, s25
	v_cndmask_b32_e64 v79, v92, v105, s26
	;; [unrolled: 1-line block ×4, first 2 shown]
	v_cndmask_b32_e32 v92, v95, v103, vcc_lo
	v_cndmask_b32_e64 v78, v78, v107, s27
	s_waitcnt lgkmcnt(0)
	v_lshrrev_b32_e32 v93, 16, v99
	v_lshrrev_b32_e32 v104, 16, v96
	v_cndmask_b32_e64 v106, v95, v103, s2
	v_cndmask_b32_e64 v92, v92, v96, s3
	;; [unrolled: 1-line block ×3, first 2 shown]
	v_cndmask_b32_e32 v107, v99, v93, vcc_lo
	v_cndmask_b32_e64 v78, v78, v94, s28
	v_cmp_eq_u32_e32 vcc_lo, 7, v89
	v_cndmask_b32_e64 v80, v92, v104, s6
	v_cndmask_b32_e64 v92, v106, v96, s5
	v_cndmask_b32_e64 v94, v107, v100, s3
	v_lshrrev_b32_e32 v106, 16, v100
	v_cndmask_b32_e64 v77, v77, v108, s26
	v_cndmask_b32_e32 v78, v78, v108, vcc_lo
	v_lshrrev_b32_e32 v108, 16, v101
	v_cndmask_b32_e64 v80, v80, v97, s8
	v_cndmask_b32_e64 v94, v94, v106, s6
	v_lshrrev_b32_e32 v107, 16, v97
	v_cndmask_b32_e32 v73, v73, v105, vcc_lo
	v_perm_b32 v79, v77, v79, 0x5040100
	v_cndmask_b32_e64 v92, v92, v104, s7
	v_cndmask_b32_e64 v94, v94, v101, s8
	;; [unrolled: 1-line block ×3, first 2 shown]
	v_perm_b32 v80, v78, v73, 0x5040100
	v_perm_b32 v78, v91, v111, 0x5040100
	v_cndmask_b32_e64 v111, v99, v93, s4
	v_cndmask_b32_e64 v94, v94, v108, s9
	;; [unrolled: 1-line block ×3, first 2 shown]
	s_delay_alu instid0(VALU_DEP_2)
	v_cndmask_b32_e64 v77, v94, v102, s11
	v_cndmask_b32_e64 v94, v95, v103, s4
	;; [unrolled: 1-line block ×22, first 2 shown]
	v_lshrrev_b32_e32 v105, 16, v98
	v_cndmask_b32_e64 v94, v94, v107, s21
	v_cndmask_b32_e64 v95, v95, v107, s27
	;; [unrolled: 1-line block ×7, first 2 shown]
	v_lshrrev_b32_e32 v92, 16, v102
	v_cndmask_b32_e64 v94, v94, v98, s23
	v_cndmask_b32_e64 v95, v95, v98, s28
	;; [unrolled: 1-line block ×7, first 2 shown]
	v_dual_cndmask_b32 v94, v95, v105 :: v_dual_cndmask_b32 v95, v96, v92
	v_cndmask_b32_e64 v96, v97, v92, s26
	v_cndmask_b32_e64 v97, v93, v92, s17
	;; [unrolled: 1-line block ×3, first 2 shown]
	v_perm_b32 v77, v110, v109, 0x5040100
	v_perm_b32 v94, v95, v94, 0x5040100
	;; [unrolled: 1-line block ×5, first 2 shown]
	s_lshl_b32 s7, s35, 3
	s_mov_b32 s2, exec_lo
	ds_store_b128 v76, v[77:80]
	ds_store_b128 v76, v[91:94] offset:1024
	v_cmpx_gt_u32_e32 8, v0
	s_cbranch_execz .LBB697_80
; %bb.79:
	v_or_b32_e32 v73, s29, v0
	s_load_b128 s[8:11], s[0:1], 0x58
	s_delay_alu instid0(VALU_DEP_1) | instskip(NEXT) | instid1(VALU_DEP_1)
	v_mad_u64_u32 v[76:77], null, s7, s30, v[73:74]
	v_mad_u64_u32 v[77:78], null, v76, s34, s[14:15]
	s_delay_alu instid0(VALU_DEP_1) | instskip(NEXT) | instid1(VALU_DEP_1)
	v_ashrrev_i32_e32 v78, 31, v77
	v_lshlrev_b64 v[76:77], 2, v[77:78]
	s_waitcnt lgkmcnt(0)
	s_delay_alu instid0(VALU_DEP_1) | instskip(NEXT) | instid1(VALU_DEP_2)
	v_add_co_u32 v78, vcc_lo, s10, v76
	v_add_co_ci_u32_e32 v79, vcc_lo, s11, v77, vcc_lo
	v_add_co_u32 v76, vcc_lo, s8, v76
	v_add_co_ci_u32_e32 v77, vcc_lo, s9, v77, vcc_lo
	global_store_b32 v[78:79], v74, off
	global_store_b32 v[76:77], v75, off
.LBB697_80:
	s_or_b32 exec_lo, exec_lo, s2
	s_waitcnt lgkmcnt(0)
	s_waitcnt_vscnt null, 0x0
	s_barrier
	buffer_gl0_inv
	ds_load_b128 v[91:94], v85
	ds_load_b128 v[95:98], v85 offset:16
	ds_load_b128 v[103:106], v85 offset:1040
	;; [unrolled: 1-line block ×3, first 2 shown]
	v_mov_b32_e32 v73, 0
	ds_load_b128 v[111:114], v85 offset:2064
	ds_load_b128 v[107:110], v85 offset:2048
	;; [unrolled: 1-line block ×6, first 2 shown]
	v_mov_b32_e32 v74, v73
	v_mov_b32_e32 v75, v73
	;; [unrolled: 1-line block ×7, first 2 shown]
	s_waitcnt lgkmcnt(8)
	s_delay_alu instid0(VALU_DEP_1)
	v_wmma_f32_16x16x16_bf16 v[73:80], v[65:72], v[91:98], v[73:80]
	ds_load_b128 v[69:72], v85 offset:5136
	ds_load_b128 v[65:68], v85 offset:5120
	;; [unrolled: 1-line block ×4, first 2 shown]
	s_waitcnt lgkmcnt(10)
	v_wmma_f32_16x16x16_bf16 v[73:80], v[57:64], v[99:106], v[73:80]
	s_waitcnt lgkmcnt(8)
	s_delay_alu instid0(VALU_DEP_1)
	v_wmma_f32_16x16x16_bf16 v[73:80], v[57:64], v[107:114], v[73:80]
	ds_load_b128 v[61:64], v85 offset:7184
	ds_load_b128 v[57:60], v85 offset:7168
	;; [unrolled: 1-line block ×4, first 2 shown]
	s_waitcnt lgkmcnt(10)
	v_wmma_f32_16x16x16_bf16 v[73:80], v[49:56], v[115:122], v[73:80]
	s_waitcnt lgkmcnt(8)
	s_delay_alu instid0(VALU_DEP_1)
	v_wmma_f32_16x16x16_bf16 v[73:80], v[49:56], v[123:130], v[73:80]
	ds_load_b128 v[53:56], v85 offset:9232
	ds_load_b128 v[49:52], v85 offset:9216
	s_waitcnt lgkmcnt(8)
	v_wmma_f32_16x16x16_bf16 v[73:80], v[41:48], v[65:72], v[73:80]
	ds_load_b128 v[69:72], v85 offset:10256
	ds_load_b128 v[65:68], v85 offset:10240
	s_waitcnt lgkmcnt(8)
	;; [unrolled: 4-line block ×3, first 2 shown]
	v_wmma_f32_16x16x16_bf16 v[73:80], v[9:16], v[57:64], v[73:80]
	s_waitcnt lgkmcnt(6)
	s_delay_alu instid0(VALU_DEP_1)
	v_wmma_f32_16x16x16_bf16 v[73:80], v[9:16], v[99:106], v[73:80]
	ds_load_b128 v[13:16], v85 offset:12304
	ds_load_b128 v[9:12], v85 offset:12288
	s_waitcnt lgkmcnt(6)
	v_wmma_f32_16x16x16_bf16 v[73:80], v[1:8], v[49:56], v[73:80]
	ds_load_b128 v[53:56], v85 offset:13328
	ds_load_b128 v[49:52], v85 offset:13312
	s_waitcnt lgkmcnt(6)
	;; [unrolled: 4-line block ×4, first 2 shown]
	v_wmma_f32_16x16x16_bf16 v[73:80], v[33:40], v[9:16], v[73:80]
	s_waitcnt lgkmcnt(4)
	s_delay_alu instid0(VALU_DEP_1) | instskip(SKIP_1) | instid1(VALU_DEP_1)
	v_wmma_f32_16x16x16_bf16 v[73:80], v[25:32], v[49:56], v[73:80]
	s_waitcnt lgkmcnt(2)
	v_wmma_f32_16x16x16_bf16 v[73:80], v[25:32], v[1:8], v[73:80]
	s_waitcnt lgkmcnt(0)
	s_delay_alu instid0(VALU_DEP_1) | instskip(NEXT) | instid1(VALU_DEP_1)
	v_wmma_f32_16x16x16_bf16 v[73:80], v[17:24], v[41:48], v[73:80]
	v_and_b32_e32 v1, 0x7f800000, v73
	s_delay_alu instid0(VALU_DEP_1) | instskip(SKIP_1) | instid1(SALU_CYCLE_1)
	v_cmp_ne_u32_e32 vcc_lo, 0x7f800000, v1
                                        ; implicit-def: $vgpr1
	s_and_saveexec_b32 s2, vcc_lo
	s_xor_b32 s2, exec_lo, s2
; %bb.81:
	v_bfe_u32 v1, v73, 16, 1
	s_delay_alu instid0(VALU_DEP_1)
	v_add3_u32 v1, v73, v1, 0x7fff
; %bb.82:
	s_and_not1_saveexec_b32 s2, s2
; %bb.83:
	v_and_b32_e32 v1, 0xffff, v73
	v_or_b32_e32 v2, 0x10000, v73
	s_delay_alu instid0(VALU_DEP_2) | instskip(NEXT) | instid1(VALU_DEP_2)
	v_cmp_eq_u32_e32 vcc_lo, 0, v1
	v_cndmask_b32_e32 v1, v2, v73, vcc_lo
; %bb.84:
	s_or_b32 exec_lo, exec_lo, s2
	v_and_b32_e32 v2, 0x7f800000, v74
	s_delay_alu instid0(VALU_DEP_1) | instskip(SKIP_1) | instid1(SALU_CYCLE_1)
	v_cmp_ne_u32_e32 vcc_lo, 0x7f800000, v2
                                        ; implicit-def: $vgpr2
	s_and_saveexec_b32 s2, vcc_lo
	s_xor_b32 s2, exec_lo, s2
; %bb.85:
	v_bfe_u32 v2, v74, 16, 1
	s_delay_alu instid0(VALU_DEP_1)
	v_add3_u32 v2, v74, v2, 0x7fff
; %bb.86:
	s_and_not1_saveexec_b32 s2, s2
; %bb.87:
	v_and_b32_e32 v2, 0xffff, v74
	v_or_b32_e32 v3, 0x10000, v74
	s_delay_alu instid0(VALU_DEP_2) | instskip(NEXT) | instid1(VALU_DEP_2)
	v_cmp_eq_u32_e32 vcc_lo, 0, v2
	v_cndmask_b32_e32 v2, v3, v74, vcc_lo
; %bb.88:
	s_or_b32 exec_lo, exec_lo, s2
	v_and_b32_e32 v3, 0x7f800000, v75
	s_delay_alu instid0(VALU_DEP_1) | instskip(SKIP_1) | instid1(SALU_CYCLE_1)
	v_cmp_ne_u32_e32 vcc_lo, 0x7f800000, v3
                                        ; implicit-def: $vgpr3
	s_and_saveexec_b32 s2, vcc_lo
	s_xor_b32 s2, exec_lo, s2
; %bb.89:
	v_bfe_u32 v3, v75, 16, 1
	s_delay_alu instid0(VALU_DEP_1)
	v_add3_u32 v3, v75, v3, 0x7fff
; %bb.90:
	s_and_not1_saveexec_b32 s2, s2
; %bb.91:
	v_and_b32_e32 v3, 0xffff, v75
	v_or_b32_e32 v4, 0x10000, v75
	s_delay_alu instid0(VALU_DEP_2) | instskip(NEXT) | instid1(VALU_DEP_2)
	v_cmp_eq_u32_e32 vcc_lo, 0, v3
	v_cndmask_b32_e32 v3, v4, v75, vcc_lo
; %bb.92:
	s_or_b32 exec_lo, exec_lo, s2
	v_and_b32_e32 v4, 0x7f800000, v76
	s_delay_alu instid0(VALU_DEP_1) | instskip(SKIP_1) | instid1(SALU_CYCLE_1)
	v_cmp_ne_u32_e32 vcc_lo, 0x7f800000, v4
                                        ; implicit-def: $vgpr4
	s_and_saveexec_b32 s2, vcc_lo
	s_xor_b32 s2, exec_lo, s2
; %bb.93:
	v_bfe_u32 v4, v76, 16, 1
	s_delay_alu instid0(VALU_DEP_1)
	v_add3_u32 v4, v76, v4, 0x7fff
; %bb.94:
	s_and_not1_saveexec_b32 s2, s2
; %bb.95:
	v_and_b32_e32 v4, 0xffff, v76
	v_or_b32_e32 v5, 0x10000, v76
	s_delay_alu instid0(VALU_DEP_2) | instskip(NEXT) | instid1(VALU_DEP_2)
	v_cmp_eq_u32_e32 vcc_lo, 0, v4
	v_cndmask_b32_e32 v4, v5, v76, vcc_lo
; %bb.96:
	s_or_b32 exec_lo, exec_lo, s2
	v_and_b32_e32 v5, 0x7f800000, v77
	s_delay_alu instid0(VALU_DEP_1) | instskip(SKIP_1) | instid1(SALU_CYCLE_1)
	v_cmp_ne_u32_e32 vcc_lo, 0x7f800000, v5
                                        ; implicit-def: $vgpr5
	s_and_saveexec_b32 s2, vcc_lo
	s_xor_b32 s2, exec_lo, s2
; %bb.97:
	v_bfe_u32 v5, v77, 16, 1
	s_delay_alu instid0(VALU_DEP_1)
	v_add3_u32 v5, v77, v5, 0x7fff
; %bb.98:
	s_and_not1_saveexec_b32 s2, s2
; %bb.99:
	v_and_b32_e32 v5, 0xffff, v77
	v_or_b32_e32 v6, 0x10000, v77
	s_delay_alu instid0(VALU_DEP_2) | instskip(NEXT) | instid1(VALU_DEP_2)
	v_cmp_eq_u32_e32 vcc_lo, 0, v5
	v_cndmask_b32_e32 v5, v6, v77, vcc_lo
; %bb.100:
	s_or_b32 exec_lo, exec_lo, s2
	v_and_b32_e32 v6, 0x7f800000, v78
	s_delay_alu instid0(VALU_DEP_1) | instskip(SKIP_1) | instid1(SALU_CYCLE_1)
	v_cmp_ne_u32_e32 vcc_lo, 0x7f800000, v6
                                        ; implicit-def: $vgpr6
	s_and_saveexec_b32 s2, vcc_lo
	s_xor_b32 s2, exec_lo, s2
; %bb.101:
	v_bfe_u32 v6, v78, 16, 1
	s_delay_alu instid0(VALU_DEP_1)
	v_add3_u32 v6, v78, v6, 0x7fff
; %bb.102:
	s_and_not1_saveexec_b32 s2, s2
; %bb.103:
	v_and_b32_e32 v6, 0xffff, v78
	v_or_b32_e32 v7, 0x10000, v78
	s_delay_alu instid0(VALU_DEP_2) | instskip(NEXT) | instid1(VALU_DEP_2)
	v_cmp_eq_u32_e32 vcc_lo, 0, v6
	v_cndmask_b32_e32 v6, v7, v78, vcc_lo
; %bb.104:
	s_or_b32 exec_lo, exec_lo, s2
	v_and_b32_e32 v7, 0x7f800000, v79
	s_delay_alu instid0(VALU_DEP_1) | instskip(SKIP_1) | instid1(SALU_CYCLE_1)
	v_cmp_ne_u32_e32 vcc_lo, 0x7f800000, v7
                                        ; implicit-def: $vgpr7
	s_and_saveexec_b32 s2, vcc_lo
	s_xor_b32 s2, exec_lo, s2
; %bb.105:
	v_bfe_u32 v7, v79, 16, 1
	s_delay_alu instid0(VALU_DEP_1)
	v_add3_u32 v7, v79, v7, 0x7fff
; %bb.106:
	s_and_not1_saveexec_b32 s2, s2
; %bb.107:
	v_and_b32_e32 v7, 0xffff, v79
	v_or_b32_e32 v8, 0x10000, v79
	s_delay_alu instid0(VALU_DEP_2) | instskip(NEXT) | instid1(VALU_DEP_2)
	v_cmp_eq_u32_e32 vcc_lo, 0, v7
	v_cndmask_b32_e32 v7, v8, v79, vcc_lo
; %bb.108:
	s_or_b32 exec_lo, exec_lo, s2
	v_and_b32_e32 v8, 0x7f800000, v80
	s_delay_alu instid0(VALU_DEP_1) | instskip(SKIP_1) | instid1(SALU_CYCLE_1)
	v_cmp_ne_u32_e32 vcc_lo, 0x7f800000, v8
                                        ; implicit-def: $vgpr8
	s_and_saveexec_b32 s2, vcc_lo
	s_xor_b32 s2, exec_lo, s2
; %bb.109:
	v_bfe_u32 v8, v80, 16, 1
	s_delay_alu instid0(VALU_DEP_1)
	v_add3_u32 v8, v80, v8, 0x7fff
                                        ; implicit-def: $vgpr73_vgpr74_vgpr75_vgpr76_vgpr77_vgpr78_vgpr79_vgpr80
; %bb.110:
	s_and_not1_saveexec_b32 s2, s2
; %bb.111:
	v_and_b32_e32 v8, 0xffff, v80
	v_or_b32_e32 v9, 0x10000, v80
	s_delay_alu instid0(VALU_DEP_2) | instskip(NEXT) | instid1(VALU_DEP_2)
	v_cmp_eq_u32_e32 vcc_lo, 0, v8
	v_cndmask_b32_e32 v8, v9, v80, vcc_lo
; %bb.112:
	s_or_b32 exec_lo, exec_lo, s2
	s_delay_alu instid0(VALU_DEP_1)
	v_perm_b32 v7, v8, v7, 0x7060302
	v_perm_b32 v6, v6, v5, 0x7060302
	;; [unrolled: 1-line block ×4, first 2 shown]
	v_lshl_or_b32 v9, v83, 4, v90
	s_barrier
	buffer_gl0_inv
	v_cmp_eq_u32_e32 vcc_lo, 1, v87
	ds_store_b128 v9, v[4:7]
	s_waitcnt lgkmcnt(0)
	s_barrier
	buffer_gl0_inv
	ds_load_b128 v[1:4], v90
	ds_load_b128 v[5:8], v90 offset:16
	v_cmp_eq_u32_e64 s3, 2, v87
	v_cmp_eq_u32_e64 s2, 1, v88
	;; [unrolled: 1-line block ×5, first 2 shown]
	s_waitcnt lgkmcnt(1)
	v_lshrrev_b32_e32 v10, 16, v1
	s_waitcnt lgkmcnt(0)
	v_lshrrev_b32_e32 v14, 16, v5
	v_lshrrev_b32_e32 v15, 16, v6
	;; [unrolled: 1-line block ×4, first 2 shown]
	v_cndmask_b32_e64 v20, v1, v10, s2
	v_cndmask_b32_e32 v19, v5, v14, vcc_lo
	v_cndmask_b32_e64 v21, v5, v14, s2
	v_lshrrev_b32_e32 v16, 16, v7
	v_cmp_eq_u32_e64 s2, 1, v86
	v_lshrrev_b32_e32 v13, 16, v4
	v_cndmask_b32_e64 v19, v19, v6, s3
	v_lshrrev_b32_e32 v17, 16, v8
	s_delay_alu instid0(VALU_DEP_4) | instskip(SKIP_1) | instid1(VALU_DEP_4)
	v_cndmask_b32_e64 v22, v1, v10, s2
	v_cndmask_b32_e64 v23, v5, v14, s2
	;; [unrolled: 1-line block ×3, first 2 shown]
	v_cndmask_b32_e32 v18, v1, v10, vcc_lo
	v_cmp_eq_u32_e32 vcc_lo, 2, v88
	v_cmp_eq_u32_e64 s2, 2, v89
	v_cndmask_b32_e64 v22, v22, v2, s6
	v_cndmask_b32_e32 v20, v20, v2, vcc_lo
	v_cndmask_b32_e32 v21, v21, v6, vcc_lo
	v_cmp_eq_u32_e32 vcc_lo, 4, v87
	v_cndmask_b32_e32 v19, v19, v7, vcc_lo
	v_cndmask_b32_e64 v18, v18, v2, s3
	v_cmp_eq_u32_e64 s3, 3, v88
	s_delay_alu instid0(VALU_DEP_2) | instskip(NEXT) | instid1(VALU_DEP_2)
	v_cndmask_b32_e64 v18, v18, v11, s4
	v_cndmask_b32_e64 v21, v21, v15, s3
	v_cmp_eq_u32_e64 s4, 5, v87
	s_delay_alu instid0(VALU_DEP_3) | instskip(SKIP_1) | instid1(VALU_DEP_3)
	v_cndmask_b32_e32 v18, v18, v3, vcc_lo
	v_cmp_eq_u32_e32 vcc_lo, 4, v88
	v_cndmask_b32_e64 v19, v19, v16, s4
	s_delay_alu instid0(VALU_DEP_3) | instskip(SKIP_4) | instid1(VALU_DEP_3)
	v_cndmask_b32_e64 v18, v18, v12, s4
	v_cndmask_b32_e32 v21, v21, v7, vcc_lo
	v_cndmask_b32_e64 v20, v20, v11, s3
	v_cmp_eq_u32_e64 s3, 5, v88
	v_cmp_eq_u32_e64 s4, 6, v87
	v_cndmask_b32_e32 v20, v20, v3, vcc_lo
	s_delay_alu instid0(VALU_DEP_3) | instskip(SKIP_1) | instid1(VALU_DEP_4)
	v_cndmask_b32_e64 v21, v21, v16, s3
	v_cmp_eq_u32_e32 vcc_lo, 6, v88
	v_cndmask_b32_e64 v18, v18, v4, s4
	v_cndmask_b32_e64 v19, v19, v8, s4
	;; [unrolled: 1-line block ×3, first 2 shown]
	v_cmp_eq_u32_e64 s3, 1, v89
	v_cmp_eq_u32_e64 s4, 7, v87
	s_delay_alu instid0(VALU_DEP_3) | instskip(NEXT) | instid1(VALU_DEP_3)
	v_cndmask_b32_e32 v20, v20, v4, vcc_lo
	v_cndmask_b32_e64 v1, v1, v10, s3
	v_cndmask_b32_e64 v5, v5, v14, s3
	v_cmp_eq_u32_e64 s3, 3, v86
	v_cndmask_b32_e64 v14, v23, v6, s6
	v_cmp_eq_u32_e64 s6, 3, v89
	v_cndmask_b32_e64 v1, v1, v2, s2
	v_cndmask_b32_e64 v2, v5, v6, s2
	v_cndmask_b32_e64 v10, v22, v11, s3
	v_cmp_eq_u32_e64 s2, 4, v86
	v_cndmask_b32_e64 v6, v14, v15, s3
	v_cndmask_b32_e64 v1, v1, v11, s6
	v_cmp_eq_u32_e64 s3, 4, v89
	v_cndmask_b32_e64 v2, v2, v15, s6
	v_cndmask_b32_e64 v5, v10, v3, s2
	;; [unrolled: 3-line block ×3, first 2 shown]
	v_cndmask_b32_e64 v2, v2, v7, s3
	v_cmp_eq_u32_e64 s2, 5, v89
	v_cndmask_b32_e64 v5, v5, v12, s6
	v_cmp_eq_u32_e64 s3, 6, v86
	;; [unrolled: 2-line block ×3, first 2 shown]
	v_cndmask_b32_e64 v1, v1, v12, s2
	v_cndmask_b32_e64 v2, v2, v16, s2
	;; [unrolled: 1-line block ×4, first 2 shown]
	v_cmp_eq_u32_e64 s2, 7, v89
	v_cndmask_b32_e64 v1, v1, v4, s6
	v_cndmask_b32_e64 v2, v2, v8, s6
	v_cmp_eq_u32_e64 s3, 7, v86
	v_cndmask_b32_e32 v4, v21, v8, vcc_lo
	v_cndmask_b32_e64 v18, v18, v13, s4
	v_cndmask_b32_e64 v20, v20, v13, s5
	;; [unrolled: 1-line block ×8, first 2 shown]
	s_mov_b32 s2, exec_lo
	v_perm_b32 v4, v2, v1, 0x5040100
	v_perm_b32 v3, v3, v5, 0x5040100
	;; [unrolled: 1-line block ×4, first 2 shown]
	ds_store_b128 v9, v[1:4]
	s_waitcnt lgkmcnt(0)
	s_barrier
	buffer_gl0_inv
	v_cmpx_gt_u32_e32 32, v0
	s_cbranch_execz .LBB697_2
; %bb.113:
	s_load_b64 s[0:1], s[0:1], 0x68
	s_lshl_b32 s4, s34, 7
	v_or_b32_e32 v2, s29, v83
	s_mul_i32 s2, s4, s30
	v_lshlrev_b32_e32 v1, 10, v0
	s_mul_i32 s2, s2, s7
	v_lshlrev_b32_e32 v3, 4, v84
	v_mul_lo_u32 v0, v2, s4
	s_ashr_i32 s3, s2, 31
	v_lshlrev_b32_e32 v4, 6, v83
	v_and_b32_e32 v1, 0x3800, v1
	v_or_b32_e32 v5, 2, v2
	s_lshl_b64 s[2:3], s[2:3], 1
	v_or_b32_e32 v6, 4, v2
	v_or_b32_e32 v7, 6, v2
	v_or3_b32 v12, v1, v3, v4
	v_ashrrev_i32_e32 v1, 31, v0
	v_mul_lo_u32 v2, v5, s4
	v_mul_lo_u32 v16, v6, s4
	;; [unrolled: 1-line block ×3, first 2 shown]
	s_waitcnt lgkmcnt(0)
	s_add_u32 s2, s0, s2
	s_addc_u32 s3, s1, s3
	s_lshl_b32 s0, s14, 7
	v_lshlrev_b64 v[0:1], 1, v[0:1]
	s_ashr_i32 s1, s0, 31
	v_ashrrev_i32_e32 v3, 31, v2
	s_lshl_b64 s[0:1], s[0:1], 1
	v_ashrrev_i32_e32 v17, 31, v16
	s_add_u32 s0, s2, s0
	s_addc_u32 s1, s3, s1
	v_add_co_u32 v24, vcc_lo, s0, v81
	v_add_co_ci_u32_e32 v25, vcc_lo, s1, v82, vcc_lo
	v_lshlrev_b64 v[22:23], 1, v[2:3]
	s_delay_alu instid0(VALU_DEP_3) | instskip(NEXT) | instid1(VALU_DEP_3)
	v_add_co_u32 v18, vcc_lo, v24, v0
	v_add_co_ci_u32_e32 v19, vcc_lo, v25, v1, vcc_lo
	ds_load_b128 v[0:3], v12
	ds_load_b128 v[4:7], v12 offset:128
	ds_load_b128 v[8:11], v12 offset:256
	;; [unrolled: 1-line block ×3, first 2 shown]
	v_ashrrev_i32_e32 v21, 31, v20
	v_lshlrev_b64 v[16:17], 1, v[16:17]
	v_add_co_u32 v22, vcc_lo, v24, v22
	v_add_co_ci_u32_e32 v23, vcc_lo, v25, v23, vcc_lo
	s_delay_alu instid0(VALU_DEP_4) | instskip(NEXT) | instid1(VALU_DEP_4)
	v_lshlrev_b64 v[20:21], 1, v[20:21]
	v_add_co_u32 v16, vcc_lo, v24, v16
	v_add_co_ci_u32_e32 v17, vcc_lo, v25, v17, vcc_lo
	s_delay_alu instid0(VALU_DEP_3) | instskip(NEXT) | instid1(VALU_DEP_4)
	v_add_co_u32 v20, vcc_lo, v24, v20
	v_add_co_ci_u32_e32 v21, vcc_lo, v25, v21, vcc_lo
	s_waitcnt lgkmcnt(3)
	global_store_b128 v[18:19], v[0:3], off
	s_waitcnt lgkmcnt(2)
	global_store_b128 v[22:23], v[4:7], off
	;; [unrolled: 2-line block ×4, first 2 shown]
	s_nop 0
	s_sendmsg sendmsg(MSG_DEALLOC_VGPRS)
	s_endpgm
	.section	.rodata,"a",@progbits
	.p2align	6, 0x0
	.amdhsa_kernel _Z39paged_attention_ll4mi_QKV_mfma16_kernelI14__hip_bfloat16S0_LN4vllm18Fp8KVCacheDataTypeE0EhLi32ELi128ELi256ELb1ELi8EL8MFMAType0EEvPKT_PKT0_S9_ifPKiSB_SB_iPKfiiiPfSE_PS4_PT2_iSD_SD_
		.amdhsa_group_segment_fixed_size 17472
		.amdhsa_private_segment_fixed_size 0
		.amdhsa_kernarg_size 400
		.amdhsa_user_sgpr_count 13
		.amdhsa_user_sgpr_dispatch_ptr 0
		.amdhsa_user_sgpr_queue_ptr 0
		.amdhsa_user_sgpr_kernarg_segment_ptr 1
		.amdhsa_user_sgpr_dispatch_id 0
		.amdhsa_user_sgpr_private_segment_size 0
		.amdhsa_wavefront_size32 1
		.amdhsa_uses_dynamic_stack 0
		.amdhsa_enable_private_segment 0
		.amdhsa_system_sgpr_workgroup_id_x 1
		.amdhsa_system_sgpr_workgroup_id_y 1
		.amdhsa_system_sgpr_workgroup_id_z 1
		.amdhsa_system_sgpr_workgroup_info 0
		.amdhsa_system_vgpr_workitem_id 0
		.amdhsa_next_free_vgpr 157
		.amdhsa_next_free_sgpr 40
		.amdhsa_reserve_vcc 1
		.amdhsa_float_round_mode_32 0
		.amdhsa_float_round_mode_16_64 0
		.amdhsa_float_denorm_mode_32 3
		.amdhsa_float_denorm_mode_16_64 3
		.amdhsa_dx10_clamp 1
		.amdhsa_ieee_mode 1
		.amdhsa_fp16_overflow 0
		.amdhsa_workgroup_processor_mode 1
		.amdhsa_memory_ordered 1
		.amdhsa_forward_progress 0
		.amdhsa_shared_vgpr_count 0
		.amdhsa_exception_fp_ieee_invalid_op 0
		.amdhsa_exception_fp_denorm_src 0
		.amdhsa_exception_fp_ieee_div_zero 0
		.amdhsa_exception_fp_ieee_overflow 0
		.amdhsa_exception_fp_ieee_underflow 0
		.amdhsa_exception_fp_ieee_inexact 0
		.amdhsa_exception_int_div_zero 0
	.end_amdhsa_kernel
	.section	.text._Z39paged_attention_ll4mi_QKV_mfma16_kernelI14__hip_bfloat16S0_LN4vllm18Fp8KVCacheDataTypeE0EhLi32ELi128ELi256ELb1ELi8EL8MFMAType0EEvPKT_PKT0_S9_ifPKiSB_SB_iPKfiiiPfSE_PS4_PT2_iSD_SD_,"axG",@progbits,_Z39paged_attention_ll4mi_QKV_mfma16_kernelI14__hip_bfloat16S0_LN4vllm18Fp8KVCacheDataTypeE0EhLi32ELi128ELi256ELb1ELi8EL8MFMAType0EEvPKT_PKT0_S9_ifPKiSB_SB_iPKfiiiPfSE_PS4_PT2_iSD_SD_,comdat
.Lfunc_end697:
	.size	_Z39paged_attention_ll4mi_QKV_mfma16_kernelI14__hip_bfloat16S0_LN4vllm18Fp8KVCacheDataTypeE0EhLi32ELi128ELi256ELb1ELi8EL8MFMAType0EEvPKT_PKT0_S9_ifPKiSB_SB_iPKfiiiPfSE_PS4_PT2_iSD_SD_, .Lfunc_end697-_Z39paged_attention_ll4mi_QKV_mfma16_kernelI14__hip_bfloat16S0_LN4vllm18Fp8KVCacheDataTypeE0EhLi32ELi128ELi256ELb1ELi8EL8MFMAType0EEvPKT_PKT0_S9_ifPKiSB_SB_iPKfiiiPfSE_PS4_PT2_iSD_SD_
                                        ; -- End function
	.section	.AMDGPU.csdata,"",@progbits
; Kernel info:
; codeLenInByte = 9752
; NumSgprs: 42
; NumVgprs: 157
; ScratchSize: 0
; MemoryBound: 0
; FloatMode: 240
; IeeeMode: 1
; LDSByteSize: 17472 bytes/workgroup (compile time only)
; SGPRBlocks: 5
; VGPRBlocks: 19
; NumSGPRsForWavesPerEU: 42
; NumVGPRsForWavesPerEU: 157
; Occupancy: 9
; WaveLimiterHint : 1
; COMPUTE_PGM_RSRC2:SCRATCH_EN: 0
; COMPUTE_PGM_RSRC2:USER_SGPR: 13
; COMPUTE_PGM_RSRC2:TRAP_HANDLER: 0
; COMPUTE_PGM_RSRC2:TGID_X_EN: 1
; COMPUTE_PGM_RSRC2:TGID_Y_EN: 1
; COMPUTE_PGM_RSRC2:TGID_Z_EN: 1
; COMPUTE_PGM_RSRC2:TIDIG_COMP_CNT: 0
	.section	.text._Z39paged_attention_ll4mi_QKV_mfma16_kernelI14__hip_bfloat16S0_LN4vllm18Fp8KVCacheDataTypeE0EhLi32ELi128ELi256ELb1ELi9EL8MFMAType0EEvPKT_PKT0_S9_ifPKiSB_SB_iPKfiiiPfSE_PS4_PT2_iSD_SD_,"axG",@progbits,_Z39paged_attention_ll4mi_QKV_mfma16_kernelI14__hip_bfloat16S0_LN4vllm18Fp8KVCacheDataTypeE0EhLi32ELi128ELi256ELb1ELi9EL8MFMAType0EEvPKT_PKT0_S9_ifPKiSB_SB_iPKfiiiPfSE_PS4_PT2_iSD_SD_,comdat
	.protected	_Z39paged_attention_ll4mi_QKV_mfma16_kernelI14__hip_bfloat16S0_LN4vllm18Fp8KVCacheDataTypeE0EhLi32ELi128ELi256ELb1ELi9EL8MFMAType0EEvPKT_PKT0_S9_ifPKiSB_SB_iPKfiiiPfSE_PS4_PT2_iSD_SD_ ; -- Begin function _Z39paged_attention_ll4mi_QKV_mfma16_kernelI14__hip_bfloat16S0_LN4vllm18Fp8KVCacheDataTypeE0EhLi32ELi128ELi256ELb1ELi9EL8MFMAType0EEvPKT_PKT0_S9_ifPKiSB_SB_iPKfiiiPfSE_PS4_PT2_iSD_SD_
	.globl	_Z39paged_attention_ll4mi_QKV_mfma16_kernelI14__hip_bfloat16S0_LN4vllm18Fp8KVCacheDataTypeE0EhLi32ELi128ELi256ELb1ELi9EL8MFMAType0EEvPKT_PKT0_S9_ifPKiSB_SB_iPKfiiiPfSE_PS4_PT2_iSD_SD_
	.p2align	8
	.type	_Z39paged_attention_ll4mi_QKV_mfma16_kernelI14__hip_bfloat16S0_LN4vllm18Fp8KVCacheDataTypeE0EhLi32ELi128ELi256ELb1ELi9EL8MFMAType0EEvPKT_PKT0_S9_ifPKiSB_SB_iPKfiiiPfSE_PS4_PT2_iSD_SD_,@function
_Z39paged_attention_ll4mi_QKV_mfma16_kernelI14__hip_bfloat16S0_LN4vllm18Fp8KVCacheDataTypeE0EhLi32ELi128ELi256ELb1ELi9EL8MFMAType0EEvPKT_PKT0_S9_ifPKiSB_SB_iPKfiiiPfSE_PS4_PT2_iSD_SD_: ; @_Z39paged_attention_ll4mi_QKV_mfma16_kernelI14__hip_bfloat16S0_LN4vllm18Fp8KVCacheDataTypeE0EhLi32ELi128ELi256ELb1ELi9EL8MFMAType0EEvPKT_PKT0_S9_ifPKiSB_SB_iPKfiiiPfSE_PS4_PT2_iSD_SD_
; %bb.0:
	s_load_b64 s[2:3], s[0:1], 0x30
	s_mov_b32 s30, s13
	s_waitcnt lgkmcnt(0)
	s_cmp_lg_u64 s[2:3], 0
	s_cselect_b32 s6, -1, 0
	s_ashr_i32 s31, s13, 31
	s_cmp_eq_u64 s[2:3], 0
	s_cbranch_scc1 .LBB698_3
; %bb.1:
	s_lshl_b64 s[4:5], s[30:31], 2
	s_delay_alu instid0(SALU_CYCLE_1) | instskip(SKIP_4) | instid1(SALU_CYCLE_1)
	s_add_u32 s4, s2, s4
	s_addc_u32 s5, s3, s5
	s_load_b64 s[4:5], s[4:5], 0x0
	s_waitcnt lgkmcnt(0)
	s_sub_i32 s4, s5, s4
	s_cmp_eq_u32 s4, 1
	s_cselect_b32 s4, -1, 0
	s_delay_alu instid0(SALU_CYCLE_1)
	s_and_not1_b32 vcc_lo, exec_lo, s4
	s_cbranch_vccz .LBB698_4
.LBB698_2:
	s_nop 0
	s_sendmsg sendmsg(MSG_DEALLOC_VGPRS)
	s_endpgm
.LBB698_3:
.LBB698_4:
	s_load_b64 s[8:9], s[0:1], 0x28
	s_lshl_b64 s[4:5], s[30:31], 2
	s_waitcnt lgkmcnt(0)
	s_add_u32 s8, s8, s4
	s_addc_u32 s9, s9, s5
	s_lshl_b32 s12, s14, 8
	s_load_b32 s17, s[8:9], 0x0
	s_waitcnt lgkmcnt(0)
	s_cmp_ge_i32 s12, s17
	s_cbranch_scc1 .LBB698_2
; %bb.5:
	s_and_not1_b32 vcc_lo, exec_lo, s6
	s_cbranch_vccnz .LBB698_7
; %bb.6:
	s_add_u32 s2, s2, s4
	s_addc_u32 s3, s3, s5
	s_load_b32 s13, s[2:3], 0x0
	s_branch .LBB698_8
.LBB698_7:
	s_mov_b32 s13, s30
.LBB698_8:
	s_clause 0x2
	s_load_b128 s[8:11], s[0:1], 0x8
	s_load_b64 s[2:3], s[0:1], 0x20
	s_load_b128 s[4:7], s[0:1], 0x48
	v_lshrrev_b32_e32 v74, 5, v0
	v_bfe_u32 v83, v0, 4, 1
	v_and_b32_e32 v73, 15, v0
	s_waitcnt lgkmcnt(0)
	s_mov_b32 s7, exec_lo
	s_delay_alu instid0(VALU_DEP_2) | instskip(NEXT) | instid1(VALU_DEP_2)
	v_lshl_or_b32 v3, v74, 1, v83
	v_lshlrev_b32_e32 v1, 3, v73
	s_delay_alu instid0(VALU_DEP_2)
	v_cmpx_lt_u32_e32 8, v3
	s_xor_b32 s7, exec_lo, s7
; %bb.9:
	v_mov_b32_e32 v2, 0
                                        ; implicit-def: $vgpr3
; %bb.10:
	s_or_saveexec_b32 s7, s7
	v_and_b32_e32 v75, 31, v0
	v_and_b32_e32 v84, 1, v0
	s_mul_i32 s31, s15, 9
	s_xor_b32 exec_lo, exec_lo, s7
	s_cbranch_execz .LBB698_12
; %bb.11:
	s_load_b64 s[18:19], s[0:1], 0x0
	v_add_lshl_u32 v4, v3, s31, 7
	s_mul_hi_i32 s21, s13, s4
	s_mul_i32 s20, s13, s4
	v_lshlrev_b32_e32 v2, 1, v1
	s_lshl_b64 s[20:21], s[20:21], 1
	v_ashrrev_i32_e32 v5, 31, v4
	v_lshlrev_b32_e32 v3, 6, v3
	v_lshlrev_b32_e32 v8, 10, v84
	s_delay_alu instid0(VALU_DEP_3) | instskip(SKIP_3) | instid1(VALU_DEP_1)
	v_lshlrev_b64 v[4:5], 1, v[4:5]
	s_waitcnt lgkmcnt(0)
	s_add_u32 s4, s18, s20
	s_addc_u32 s13, s19, s21
	v_add_co_u32 v4, vcc_lo, s4, v4
	s_delay_alu instid0(VALU_DEP_2) | instskip(NEXT) | instid1(VALU_DEP_2)
	v_add_co_ci_u32_e32 v5, vcc_lo, s13, v5, vcc_lo
	v_add_co_u32 v4, vcc_lo, v4, v2
	s_delay_alu instid0(VALU_DEP_2) | instskip(SKIP_3) | instid1(VALU_DEP_1)
	v_add_co_ci_u32_e32 v5, vcc_lo, 0, v5, vcc_lo
	v_lshlrev_b32_e32 v2, 10, v73
	global_load_b128 v[4:7], v[4:5], off
	v_and_b32_e32 v2, 0x3800, v2
	v_or3_b32 v3, v2, v8, v3
	v_mov_b32_e32 v2, 0
	s_waitcnt vmcnt(0)
	ds_store_b128 v3, v[4:7]
.LBB698_12:
	s_or_b32 exec_lo, exec_lo, s7
	v_add_nc_u32_e32 v80, -9, v73
	v_and_b32_e32 v3, 0xef, v0
	s_add_i32 s4, s17, 31
	s_clause 0x1
	s_load_b32 s7, s[0:1], 0x38
	s_load_b32 s18, s[0:1], 0x1c
	s_ashr_i32 s13, s4, 31
	v_add_nc_u32_e32 v3, s12, v3
	s_lshr_b32 s13, s13, 27
	s_waitcnt lgkmcnt(0)
	s_add_i32 s4, s4, s13
	s_barrier
	v_ashrrev_i32_e32 v4, 31, v3
	v_cmp_gt_i32_e32 vcc_lo, s17, v3
	s_ashr_i32 s4, s4, 5
	buffer_gl0_inv
	s_add_i32 s4, s4, -1
	v_lshrrev_b32_e32 v5, 27, v4
	v_or_b32_e32 v4, 16, v3
	v_lshlrev_b64 v[81:82], 1, v[1:2]
	s_delay_alu instid0(VALU_DEP_3) | instskip(NEXT) | instid1(VALU_DEP_3)
	v_add_nc_u32_e32 v6, v3, v5
	v_add_nc_u32_e32 v5, v4, v5
	s_mul_i32 s20, s30, s7
	s_delay_alu instid0(SALU_CYCLE_1) | instskip(NEXT) | instid1(VALU_DEP_2)
	s_ashr_i32 s21, s20, 31
	v_ashrrev_i32_e32 v6, 5, v6
	s_delay_alu instid0(VALU_DEP_2) | instskip(SKIP_1) | instid1(SALU_CYCLE_1)
	v_ashrrev_i32_e32 v5, 5, v5
	s_lshl_b64 s[20:21], s[20:21], 2
	s_add_u32 s7, s2, s20
	s_delay_alu instid0(VALU_DEP_2) | instskip(SKIP_3) | instid1(VALU_DEP_2)
	v_cndmask_b32_e32 v3, s4, v6, vcc_lo
	v_cmp_gt_i32_e32 vcc_lo, s17, v4
	s_addc_u32 s13, s3, s21
	s_mul_i32 s2, s15, s6
	v_ashrrev_i32_e32 v4, 31, v3
	v_cndmask_b32_e32 v5, s4, v5, vcc_lo
	s_ashr_i32 s3, s2, 31
	s_delay_alu instid0(SALU_CYCLE_1) | instskip(NEXT) | instid1(VALU_DEP_2)
	s_lshl_b64 s[2:3], s[2:3], 1
	v_lshlrev_b64 v[3:4], 2, v[3:4]
	s_delay_alu instid0(VALU_DEP_2) | instskip(SKIP_3) | instid1(VALU_DEP_1)
	v_ashrrev_i32_e32 v6, 31, v5
	s_add_u32 s6, s8, s2
	s_addc_u32 s15, s9, s3
	s_lshl_b32 s8, s14, 3
	v_lshlrev_b64 v[5:6], 2, v[5:6]
	v_add_co_u32 v3, vcc_lo, s7, v3
	v_add_co_ci_u32_e32 v4, vcc_lo, s13, v4, vcc_lo
	s_ashr_i32 s9, s8, 31
	s_delay_alu instid0(VALU_DEP_3) | instskip(NEXT) | instid1(VALU_DEP_4)
	v_add_co_u32 v5, vcc_lo, s7, v5
	v_add_co_ci_u32_e32 v6, vcc_lo, s13, v6, vcc_lo
	s_clause 0x1
	global_load_b32 v7, v[3:4], off
	global_load_b32 v8, v[5:6], off
	s_lshl_b64 s[8:9], s[8:9], 2
	s_delay_alu instid0(SALU_CYCLE_1) | instskip(SKIP_2) | instid1(SALU_CYCLE_1)
	s_add_u32 s8, s7, s8
	s_addc_u32 s9, s13, s9
	s_or_b32 s16, s12, 32
	s_ashr_i32 s19, s16, 5
	s_cmp_lt_i32 s16, s17
	s_cselect_b32 s20, s19, s4
	s_delay_alu instid0(SALU_CYCLE_1) | instskip(NEXT) | instid1(SALU_CYCLE_1)
	s_ashr_i32 s21, s20, 31
	s_lshl_b64 s[20:21], s[20:21], 2
	s_delay_alu instid0(SALU_CYCLE_1) | instskip(SKIP_2) | instid1(SALU_CYCLE_1)
	s_add_u32 s20, s7, s20
	s_addc_u32 s21, s13, s21
	s_or_b32 s16, s12, 64
	s_ashr_i32 s19, s16, 5
	s_cmp_lt_i32 s16, s17
	s_cselect_b32 s22, s19, s4
	s_delay_alu instid0(SALU_CYCLE_1) | instskip(NEXT) | instid1(SALU_CYCLE_1)
	s_ashr_i32 s23, s22, 31
	s_lshl_b64 s[22:23], s[22:23], 2
	s_delay_alu instid0(SALU_CYCLE_1) | instskip(SKIP_2) | instid1(SALU_CYCLE_1)
	s_add_u32 s22, s7, s22
	s_addc_u32 s23, s13, s23
	s_or_b32 s16, s12, 0x60
	s_ashr_i32 s19, s16, 5
	s_cmp_lt_i32 s16, s17
	s_cselect_b32 s24, s19, s4
	s_delay_alu instid0(SALU_CYCLE_1) | instskip(NEXT) | instid1(SALU_CYCLE_1)
	s_ashr_i32 s25, s24, 31
	s_lshl_b64 s[24:25], s[24:25], 2
	s_delay_alu instid0(SALU_CYCLE_1) | instskip(SKIP_2) | instid1(SALU_CYCLE_1)
	s_add_u32 s24, s7, s24
	s_addc_u32 s25, s13, s25
	s_or_b32 s16, s12, 0x80
	s_ashr_i32 s19, s16, 5
	s_cmp_lt_i32 s16, s17
	s_cselect_b32 s26, s19, s4
	s_delay_alu instid0(SALU_CYCLE_1) | instskip(NEXT) | instid1(SALU_CYCLE_1)
	s_ashr_i32 s27, s26, 31
	s_lshl_b64 s[26:27], s[26:27], 2
	s_delay_alu instid0(SALU_CYCLE_1) | instskip(SKIP_2) | instid1(SALU_CYCLE_1)
	s_add_u32 s26, s7, s26
	s_addc_u32 s27, s13, s27
	s_or_b32 s16, s12, 0xa0
	s_ashr_i32 s19, s16, 5
	s_cmp_lt_i32 s16, s17
	s_cselect_b32 s28, s19, s4
	s_delay_alu instid0(SALU_CYCLE_1) | instskip(NEXT) | instid1(SALU_CYCLE_1)
	s_ashr_i32 s29, s28, 31
	s_lshl_b64 s[28:29], s[28:29], 2
	s_delay_alu instid0(SALU_CYCLE_1)
	s_add_u32 s28, s7, s28
	s_addc_u32 s29, s13, s29
	s_clause 0x5
	s_load_b32 s16, s[8:9], 0x0
	s_load_b32 s19, s[20:21], 0x0
	;; [unrolled: 1-line block ×6, first 2 shown]
	s_mov_b32 s20, 0
	s_delay_alu instid0(SALU_CYCLE_1)
	s_mov_b32 s27, s20
	s_mov_b32 s24, s20
	;; [unrolled: 1-line block ×7, first 2 shown]
	v_dual_mov_b32 v108, s27 :: v_dual_mov_b32 v105, s24
	v_dual_mov_b32 v107, s26 :: v_dual_mov_b32 v106, s25
	;; [unrolled: 1-line block ×4, first 2 shown]
	s_waitcnt lgkmcnt(0)
	s_mul_hi_i32 s29, s34, s5
	s_mul_i32 s28, s34, s5
	s_mul_hi_i32 s21, s16, s5
	s_mul_i32 s20, s16, s5
	s_mul_hi_i32 s23, s19, s5
	s_mul_i32 s22, s19, s5
	s_mul_hi_i32 s27, s33, s5
	s_mul_i32 s26, s33, s5
	s_mul_hi_i32 s37, s36, s5
	s_mul_i32 s36, s36, s5
	s_waitcnt vmcnt(1)
	v_mad_i64_i32 v[3:4], null, v7, s5, 0
	s_waitcnt vmcnt(0)
	v_mad_i64_i32 v[5:6], null, v8, s5, 0
	s_delay_alu instid0(VALU_DEP_2) | instskip(NEXT) | instid1(VALU_DEP_2)
	v_lshlrev_b64 v[3:4], 1, v[3:4]
	v_lshlrev_b64 v[1:2], 1, v[5:6]
	s_delay_alu instid0(VALU_DEP_2) | instskip(NEXT) | instid1(VALU_DEP_3)
	v_add_co_u32 v3, vcc_lo, s6, v3
	v_add_co_ci_u32_e32 v4, vcc_lo, s15, v4, vcc_lo
	s_delay_alu instid0(VALU_DEP_3) | instskip(NEXT) | instid1(VALU_DEP_4)
	v_add_co_u32 v1, vcc_lo, s6, v1
	v_add_co_ci_u32_e32 v2, vcc_lo, s15, v2, vcc_lo
	s_delay_alu instid0(VALU_DEP_4) | instskip(NEXT) | instid1(VALU_DEP_4)
	v_add_co_u32 v65, vcc_lo, v3, v81
	v_add_co_ci_u32_e32 v66, vcc_lo, v4, v82, vcc_lo
	s_delay_alu instid0(VALU_DEP_4) | instskip(NEXT) | instid1(VALU_DEP_4)
	v_add_co_u32 v76, vcc_lo, v1, v81
	v_add_co_ci_u32_e32 v77, vcc_lo, v2, v82, vcc_lo
	s_clause 0xf
	global_load_b128 v[1:4], v[65:66], off
	global_load_b128 v[5:8], v[65:66], off offset:512
	global_load_b128 v[9:12], v[76:77], off offset:256
	;; [unrolled: 1-line block ×15, first 2 shown]
	v_add_co_u32 v78, vcc_lo, 0x1000, v65
	v_add_co_ci_u32_e32 v79, vcc_lo, 0, v66, vcc_lo
	v_cmp_gt_u32_e32 vcc_lo, 9, v73
	s_clause 0x1
	global_load_b128 v[65:68], v[78:79], off
	global_load_b128 v[69:72], v[78:79], off offset:512
	s_or_b32 s6, s12, 0xc0
	v_cndmask_b32_e32 v80, v80, v73, vcc_lo
	v_add_co_u32 v76, vcc_lo, 0x1000, v76
	v_add_co_ci_u32_e32 v77, vcc_lo, 0, v77, vcc_lo
	s_delay_alu instid0(VALU_DEP_3)
	v_lshlrev_b32_e32 v80, 6, v80
	ds_load_b128 v[85:88], v80
	ds_load_b128 v[89:92], v80 offset:1024
	s_clause 0x1
	global_load_b128 v[93:96], v[76:77], off offset:256
	global_load_b128 v[97:100], v[76:77], off offset:768
	ds_load_b128 v[109:112], v80 offset:2048
	ds_load_b128 v[113:116], v80 offset:3072
	s_ashr_i32 s8, s6, 5
	s_cmp_lt_i32 s6, s17
	s_cselect_b32 s8, s8, s4
	s_delay_alu instid0(SALU_CYCLE_1) | instskip(NEXT) | instid1(SALU_CYCLE_1)
	s_ashr_i32 s9, s8, 31
	s_lshl_b64 s[8:9], s[8:9], 2
	s_delay_alu instid0(SALU_CYCLE_1) | instskip(SKIP_2) | instid1(SALU_CYCLE_1)
	s_add_u32 s8, s7, s8
	s_addc_u32 s9, s13, s9
	s_or_b32 s6, s12, 0xe0
	s_ashr_i32 s15, s6, 5
	s_cmp_lt_i32 s6, s17
	s_cselect_b32 s24, s15, s4
	s_delay_alu instid0(SALU_CYCLE_1) | instskip(NEXT) | instid1(SALU_CYCLE_1)
	s_ashr_i32 s25, s24, 31
	s_lshl_b64 s[24:25], s[24:25], 2
	s_delay_alu instid0(SALU_CYCLE_1) | instskip(SKIP_2) | instid1(SALU_CYCLE_1)
	s_add_u32 s24, s7, s24
	s_addc_u32 s25, s13, s25
	s_add_i32 s6, s12, 0x100
	s_ashr_i32 s15, s6, 5
	s_cmp_lt_i32 s6, s17
	s_cselect_b32 s34, s15, s4
	s_waitcnt vmcnt(18) lgkmcnt(2)
	v_wmma_f32_16x16x16_bf16 v[117:124], v[1:8], v[85:92], v[101:108]
	s_waitcnt vmcnt(16)
	v_wmma_f32_16x16x16_bf16 v[101:108], v[9:16], v[85:92], v[101:108]
	s_clause 0x3
	global_load_b128 v[1:4], v[78:79], off offset:1024
	global_load_b128 v[5:8], v[78:79], off offset:1536
	global_load_b128 v[9:12], v[76:77], off offset:1280
	global_load_b128 v[13:16], v[76:77], off offset:1792
	s_waitcnt vmcnt(18) lgkmcnt(0)
	v_wmma_f32_16x16x16_bf16 v[117:124], v[17:24], v[109:116], v[117:124]
	s_clause 0x1
	global_load_b128 v[17:20], v[78:79], off offset:2048
	global_load_b128 v[21:24], v[78:79], off offset:2560
	s_waitcnt vmcnt(18)
	v_wmma_f32_16x16x16_bf16 v[101:108], v[25:32], v[109:116], v[101:108]
	ds_load_b128 v[25:28], v80 offset:4096
	ds_load_b128 v[29:32], v80 offset:5120
	s_clause 0x5
	global_load_b128 v[109:112], v[76:77], off offset:2304
	global_load_b128 v[113:116], v[76:77], off offset:2816
	;; [unrolled: 1-line block ×6, first 2 shown]
	s_waitcnt vmcnt(22) lgkmcnt(0)
	v_wmma_f32_16x16x16_bf16 v[117:124], v[33:40], v[25:32], v[117:124]
	s_waitcnt vmcnt(20)
	v_wmma_f32_16x16x16_bf16 v[101:108], v[41:48], v[25:32], v[101:108]
	ds_load_b128 v[25:28], v80 offset:6144
	ds_load_b128 v[29:32], v80 offset:7168
	;; [unrolled: 1-line block ×4, first 2 shown]
	s_waitcnt vmcnt(18) lgkmcnt(2)
	v_wmma_f32_16x16x16_bf16 v[117:124], v[49:56], v[25:32], v[117:124]
	s_waitcnt vmcnt(16)
	v_wmma_f32_16x16x16_bf16 v[101:108], v[57:64], v[25:32], v[101:108]
	ds_load_b128 v[25:28], v80 offset:10240
	ds_load_b128 v[29:32], v80 offset:11264
	;; [unrolled: 1-line block ×6, first 2 shown]
	s_waitcnt vmcnt(14) lgkmcnt(6)
	v_wmma_f32_16x16x16_bf16 v[117:124], v[65:72], v[33:40], v[117:124]
	s_load_b32 s16, s[8:9], 0x0
	s_mul_hi_i32 s9, s35, s5
	s_mul_i32 s8, s35, s5
	s_ashr_i32 s35, s34, 31
	s_waitcnt vmcnt(12)
	v_wmma_f32_16x16x16_bf16 v[101:108], v[93:100], v[33:40], v[101:108]
	s_lshl_b64 s[34:35], s[34:35], 2
	s_delay_alu instid0(SALU_CYCLE_1)
	s_add_u32 s6, s7, s34
	s_addc_u32 s7, s13, s35
	s_add_u32 s4, s10, s2
	s_addc_u32 s19, s11, s3
	s_lshl_b64 s[2:3], s[20:21], 1
	s_clause 0x1
	s_load_b32 s13, s[24:25], 0x0
	s_load_b32 s15, s[6:7], 0x0
	s_lshl_b64 s[6:7], s[22:23], 1
	s_lshl_b64 s[10:11], s[26:27], 1
	;; [unrolled: 1-line block ×5, first 2 shown]
	s_waitcnt lgkmcnt(0)
	s_mul_hi_i32 s25, s16, s5
	s_mul_i32 s24, s16, s5
	s_waitcnt vmcnt(10)
	v_wmma_f32_16x16x16_bf16 v[117:124], v[1:8], v[25:32], v[117:124]
	s_waitcnt vmcnt(8)
	v_wmma_f32_16x16x16_bf16 v[101:108], v[9:16], v[25:32], v[101:108]
	s_waitcnt vmcnt(6)
	s_delay_alu instid0(VALU_DEP_2) | instskip(SKIP_1) | instid1(VALU_DEP_2)
	v_wmma_f32_16x16x16_bf16 v[117:124], v[17:24], v[141:148], v[117:124]
	s_waitcnt vmcnt(4)
	v_wmma_f32_16x16x16_bf16 v[101:108], v[109:116], v[141:148], v[101:108]
	s_waitcnt vmcnt(2)
	s_delay_alu instid0(VALU_DEP_2) | instskip(SKIP_3) | instid1(VALU_DEP_3)
	v_wmma_f32_16x16x16_bf16 v[117:124], v[125:132], v[149:156], v[117:124]
	v_lshlrev_b32_e32 v85, 6, v73
	s_waitcnt vmcnt(0)
	v_wmma_f32_16x16x16_bf16 v[101:108], v[133:140], v[149:156], v[101:108]
	v_mul_f32_e32 v100, s18, v124
	s_delay_alu instid0(VALU_DEP_3) | instskip(SKIP_2) | instid1(VALU_DEP_3)
	v_lshl_or_b32 v41, v74, 10, v85
	v_mul_f32_e32 v99, s18, v118
	v_mul_f32_e32 v97, s18, v117
	v_add_co_u32 v76, s4, s4, v41
	s_delay_alu instid0(VALU_DEP_1) | instskip(NEXT) | instid1(VALU_DEP_2)
	v_add_co_ci_u32_e64 v77, null, s19, 0, s4
	v_add_co_u32 v41, vcc_lo, v76, s2
	s_delay_alu instid0(VALU_DEP_2)
	v_add_co_ci_u32_e32 v42, vcc_lo, s3, v77, vcc_lo
	v_add_co_u32 v33, vcc_lo, v76, s6
	v_add_co_ci_u32_e32 v34, vcc_lo, s7, v77, vcc_lo
	v_add_co_u32 v35, vcc_lo, v76, s10
	;; [unrolled: 2-line block ×5, first 2 shown]
	s_lshl_b64 s[2:3], s[24:25], 1
	v_add_co_ci_u32_e32 v6, vcc_lo, s23, v77, vcc_lo
	s_mul_hi_i32 s7, s13, s5
	s_mul_i32 s6, s13, s5
	v_add_co_u32 v17, vcc_lo, v76, s2
	v_add_co_ci_u32_e32 v18, vcc_lo, s3, v77, vcc_lo
	s_lshl_b64 s[2:3], s[6:7], 1
	s_mul_hi_i32 s7, s15, s5
	s_mul_i32 s6, s15, s5
	v_add_co_u32 v19, vcc_lo, v76, s2
	v_add_co_ci_u32_e32 v20, vcc_lo, s3, v77, vcc_lo
	s_lshl_b64 s[2:3], s[6:7], 1
	s_clause 0x1
	global_load_b128 v[65:68], v[41:42], off
	global_load_b128 v[69:72], v[41:42], off offset:16
	v_add_co_u32 v21, vcc_lo, v76, s2
	v_add_co_ci_u32_e32 v22, vcc_lo, s3, v77, vcc_lo
	s_clause 0xf
	global_load_b128 v[57:60], v[33:34], off
	global_load_b128 v[61:64], v[33:34], off offset:16
	global_load_b128 v[49:52], v[35:36], off
	global_load_b128 v[53:56], v[35:36], off offset:16
	;; [unrolled: 2-line block ×8, first 2 shown]
	v_mbcnt_lo_u32_b32 v77, -1, 0
	s_waitcnt vmcnt(0)
	s_barrier
	buffer_gl0_inv
	v_xor_b32_e32 v78, 16, v77
	s_delay_alu instid0(VALU_DEP_1) | instskip(SKIP_1) | instid1(VALU_DEP_1)
	v_cmp_gt_i32_e32 vcc_lo, 32, v78
	v_dual_cndmask_b32 v77, v77, v78 :: v_dual_and_b32 v76, 0xe0, v0
	v_add_nc_u32_e32 v76, s12, v76
	s_delay_alu instid0(VALU_DEP_1) | instskip(NEXT) | instid1(VALU_DEP_1)
	v_or_b32_e32 v76, v76, v83
	v_or_b32_e32 v78, 2, v76
	;; [unrolled: 1-line block ×4, first 2 shown]
	v_cmp_gt_i32_e32 vcc_lo, s17, v76
	v_or_b32_e32 v86, 8, v76
	v_cmp_gt_i32_e64 s2, s17, v78
	v_or_b32_e32 v87, 10, v76
	v_or_b32_e32 v88, 12, v76
	;; [unrolled: 1-line block ×11, first 2 shown]
	v_cndmask_b32_e32 v76, 0xff7fffff, v97, vcc_lo
	v_cmp_gt_i32_e64 s3, s17, v80
	v_mul_f32_e32 v80, s18, v119
	v_cndmask_b32_e64 v78, 0xff7fffff, v99, s2
	v_mul_f32_e32 v99, s18, v120
	v_cmp_gt_i32_e64 s4, s17, v79
	v_mul_f32_e32 v97, s18, v123
	v_mul_f32_e32 v79, s18, v122
	v_max3_f32 v76, v76, 0xff7fffff, v78
	v_mul_f32_e32 v78, s18, v121
	v_cndmask_b32_e64 v80, 0xff7fffff, v80, s4
	v_cmp_gt_i32_e64 s5, s17, v86
	v_cmp_gt_i32_e64 s6, s17, v87
	v_mul_f32_e32 v86, s18, v107
	v_cndmask_b32_e64 v99, 0xff7fffff, v99, s3
	v_cmp_gt_i32_e64 s7, s17, v89
	v_cndmask_b32_e64 v78, 0xff7fffff, v78, s5
	v_cmp_gt_i32_e64 s8, s17, v88
	v_mul_f32_e32 v89, s18, v101
	v_max3_f32 v76, v76, v80, v99
	v_mul_f32_e32 v80, s18, v108
	v_cndmask_b32_e64 v79, 0xff7fffff, v79, s6
	v_dual_mul_f32 v99, s18, v105 :: v_dual_mul_f32 v88, s18, v102
	v_cndmask_b32_e64 v97, 0xff7fffff, v97, s8
	v_cndmask_b32_e64 v100, 0xff7fffff, v100, s7
	s_delay_alu instid0(VALU_DEP_4) | instskip(SKIP_4) | instid1(VALU_DEP_4)
	v_max3_f32 v76, v76, v78, v79
	v_cmp_gt_i32_e64 s9, s17, v90
	v_cmp_gt_i32_e64 s10, s17, v91
	v_dual_mul_f32 v87, s18, v106 :: v_dual_mul_f32 v78, s18, v104
	v_mul_f32_e32 v79, s18, v103
	v_cndmask_b32_e64 v89, 0xff7fffff, v89, s9
	s_delay_alu instid0(VALU_DEP_4)
	v_cndmask_b32_e64 v88, 0xff7fffff, v88, s10
	v_max3_f32 v76, v76, v97, v100
	v_cmp_gt_i32_e64 s11, s17, v92
	v_cmp_gt_i32_e64 s12, s17, v93
	;; [unrolled: 1-line block ×4, first 2 shown]
	v_max3_f32 v76, v76, v89, v88
	v_cndmask_b32_e64 v79, 0xff7fffff, v79, s11
	v_cndmask_b32_e64 v78, 0xff7fffff, v78, s12
	;; [unrolled: 1-line block ×4, first 2 shown]
	v_cmp_gt_i32_e64 s16, s17, v96
	v_cmp_gt_i32_e64 s17, s17, v98
	v_max3_f32 v76, v76, v79, v78
	v_lshlrev_b32_e32 v99, 2, v77
	s_delay_alu instid0(VALU_DEP_4) | instskip(NEXT) | instid1(VALU_DEP_4)
	v_cndmask_b32_e64 v78, 0xff7fffff, v86, s16
	v_cndmask_b32_e64 v79, 0xff7fffff, v80, s17
	s_delay_alu instid0(VALU_DEP_4) | instskip(NEXT) | instid1(VALU_DEP_1)
	v_max3_f32 v76, v76, v88, v87
	v_max3_f32 v76, v76, v78, v79
	ds_bpermute_b32 v77, v99, v76
	s_waitcnt lgkmcnt(0)
	v_max_f32_e32 v77, v77, v77
	s_delay_alu instid0(VALU_DEP_1) | instskip(NEXT) | instid1(VALU_DEP_1)
	v_max_f32_e32 v76, v76, v77
	v_fma_f32 v78, s18, v118, -v76
	v_fma_f32 v77, s18, v117, -v76
	;; [unrolled: 1-line block ×5, first 2 shown]
	v_mul_f32_e32 v78, 0x3fb8aa3b, v78
	v_fma_f32 v87, s18, v123, -v76
	v_fma_f32 v88, s18, v105, -v76
	v_mul_f32_e32 v80, 0x3fb8aa3b, v80
	v_mul_f32_e32 v86, 0x3fb8aa3b, v86
	v_exp_f32_e32 v78, v78
	v_fma_f32 v90, s18, v107, -v76
	v_fma_f32 v100, s18, v108, -v76
	v_exp_f32_e32 v80, v80
	v_exp_f32_e32 v86, v86
	v_mul_f32_e32 v88, 0x3fb8aa3b, v88
	s_delay_alu instid0(VALU_DEP_2) | instskip(NEXT) | instid1(TRANS32_DEP_3)
	v_mul_f32_e32 v100, 0x3fb8aa3b, v100
	v_cndmask_b32_e64 v91, 0, v78, s2
	v_mul_f32_e32 v77, 0x3fb8aa3b, v77
	s_delay_alu instid0(VALU_DEP_4) | instskip(NEXT) | instid1(TRANS32_DEP_3)
	v_exp_f32_e32 v88, v88
	v_cndmask_b32_e64 v95, 0, v80, s3
	v_fma_f32 v80, s18, v101, -v76
	s_delay_alu instid0(TRANS32_DEP_2)
	v_cndmask_b32_e64 v96, 0, v86, s5
	v_exp_f32_e32 v77, v77
	v_mul_f32_e32 v79, 0x3fb8aa3b, v79
	v_fma_f32 v86, s18, v102, -v76
	v_mul_f32_e32 v80, 0x3fb8aa3b, v80
	v_cmp_gt_u32_e64 s2, 16, v75
	v_exp_f32_e32 v100, v100
	s_delay_alu instid0(VALU_DEP_2) | instskip(NEXT) | instid1(TRANS32_DEP_3)
	v_exp_f32_e32 v80, v80
	v_cndmask_b32_e32 v92, 0, v77, vcc_lo
	v_exp_f32_e32 v79, v79
	v_fma_f32 v77, s18, v122, -v76
	s_delay_alu instid0(VALU_DEP_2) | instskip(NEXT) | instid1(VALU_DEP_1)
	v_add_f32_e32 v78, 0, v92
	v_add_f32_e32 v78, v78, v91
	s_waitcnt_depctr 0xfff
	v_cndmask_b32_e64 v93, 0, v79, s4
	v_mul_f32_e32 v87, 0x3fb8aa3b, v87
	v_fma_f32 v79, s18, v124, -v76
	s_delay_alu instid0(VALU_DEP_3) | instskip(SKIP_1) | instid1(VALU_DEP_3)
	v_add_f32_e32 v78, v78, v93
	v_mul_f32_e32 v77, 0x3fb8aa3b, v77
	v_mul_f32_e32 v79, 0x3fb8aa3b, v79
	v_exp_f32_e32 v87, v87
	s_delay_alu instid0(VALU_DEP_3) | instskip(NEXT) | instid1(VALU_DEP_3)
	v_add_f32_e32 v78, v78, v95
	v_exp_f32_e32 v77, v77
	s_delay_alu instid0(VALU_DEP_2) | instskip(NEXT) | instid1(TRANS32_DEP_3)
	v_exp_f32_e32 v79, v79
	v_cndmask_b32_e64 v94, 0, v87, s8
	v_fma_f32 v87, s18, v104, -v76
	s_waitcnt_depctr 0xfff
	v_cndmask_b32_e64 v97, 0, v77, s6
	v_add_f32_e32 v77, v78, v96
	v_fma_f32 v78, s18, v103, -v76
	v_mul_f32_e32 v86, 0x3fb8aa3b, v86
	v_cndmask_b32_e64 v98, 0, v79, s7
	v_mul_f32_e32 v87, 0x3fb8aa3b, v87
	s_delay_alu instid0(VALU_DEP_4) | instskip(NEXT) | instid1(VALU_DEP_4)
	v_dual_add_f32 v77, v77, v97 :: v_dual_mul_f32 v78, 0x3fb8aa3b, v78
	v_exp_f32_e32 v86, v86
	s_delay_alu instid0(VALU_DEP_2) | instskip(NEXT) | instid1(VALU_DEP_1)
	v_exp_f32_e32 v87, v87
	v_add_f32_e32 v79, v77, v94
	s_delay_alu instid0(VALU_DEP_2) | instskip(SKIP_2) | instid1(VALU_DEP_3)
	v_exp_f32_e32 v89, v78
	v_cndmask_b32_e64 v77, 0, v80, s9
	v_fma_f32 v80, s18, v106, -v76
	v_add_f32_e32 v79, v79, v98
	s_delay_alu instid0(TRANS32_DEP_3) | instskip(NEXT) | instid1(VALU_DEP_3)
	v_cndmask_b32_e64 v78, 0, v86, s10
	v_mul_f32_e32 v80, 0x3fb8aa3b, v80
	s_delay_alu instid0(VALU_DEP_3) | instskip(NEXT) | instid1(TRANS32_DEP_1)
	v_add_f32_e32 v86, v79, v77
	v_cndmask_b32_e64 v79, 0, v89, s11
	v_mul_f32_e32 v89, 0x3fb8aa3b, v90
	s_delay_alu instid0(VALU_DEP_4) | instskip(SKIP_2) | instid1(VALU_DEP_3)
	v_exp_f32_e32 v90, v80
	v_cndmask_b32_e64 v80, 0, v87, s12
	v_add_f32_e32 v86, v86, v78
	v_exp_f32_e32 v89, v89
	s_delay_alu instid0(VALU_DEP_1) | instskip(SKIP_1) | instid1(VALU_DEP_2)
	v_add_f32_e32 v87, v86, v79
	v_cndmask_b32_e64 v86, 0, v88, s13
	v_add_f32_e32 v88, v87, v80
	s_delay_alu instid0(TRANS32_DEP_2) | instskip(NEXT) | instid1(VALU_DEP_2)
	v_cndmask_b32_e64 v87, 0, v90, s15
	v_add_f32_e32 v90, v88, v86
	s_waitcnt_depctr 0xfff
	v_cndmask_b32_e64 v88, 0, v89, s16
	v_add_f32_e32 v89, v90, v87
	s_delay_alu instid0(VALU_DEP_1) | instskip(SKIP_1) | instid1(VALU_DEP_1)
	v_add_f32_e32 v90, v89, v88
	v_cndmask_b32_e64 v89, 0, v100, s17
	v_add_f32_e32 v90, v90, v89
	ds_bpermute_b32 v99, v99, v90
	s_and_saveexec_b32 s3, s2
	s_cbranch_execz .LBB698_14
; %bb.13:
	v_mul_u32_u24_e32 v75, 0x44, v74
	s_waitcnt lgkmcnt(0)
	v_add_f32_e32 v90, v90, v99
	s_delay_alu instid0(VALU_DEP_2) | instskip(NEXT) | instid1(VALU_DEP_1)
	v_lshl_add_u32 v75, v73, 2, v75
	v_add_nc_u32_e32 v75, 0x4000, v75
	ds_store_2addr_b32 v75, v76, v90 offset1:136
.LBB698_14:
	s_or_b32 exec_lo, exec_lo, s3
	v_lshlrev_b32_e32 v75, 2, v73
	s_waitcnt lgkmcnt(0)
	s_barrier
	buffer_gl0_inv
	v_cmp_eq_u32_e64 s3, 1, v74
	v_add_nc_u32_e32 v90, 0x4000, v75
	ds_load_2addr_b32 v[99:100], v90 offset1:17
	ds_load_2addr_b32 v[101:102], v90 offset0:34 offset1:51
	ds_load_2addr_b32 v[103:104], v90 offset0:68 offset1:85
	;; [unrolled: 1-line block ×4, first 2 shown]
	s_waitcnt lgkmcnt(4)
	v_max3_f32 v75, v99, 0xff7fffff, v100
	s_waitcnt lgkmcnt(3)
	s_delay_alu instid0(VALU_DEP_1) | instskip(SKIP_1) | instid1(VALU_DEP_1)
	v_max3_f32 v75, v75, v101, v102
	s_waitcnt lgkmcnt(2)
	v_max3_f32 v75, v75, v103, v104
	s_waitcnt lgkmcnt(1)
	s_delay_alu instid0(VALU_DEP_1) | instskip(NEXT) | instid1(VALU_DEP_1)
	v_max3_f32 v75, v75, v105, v106
	v_sub_f32_e32 v109, v100, v75
	v_sub_f32_e32 v76, v99, v75
	ds_load_2addr_b32 v[99:100], v90 offset0:170 offset1:187
	v_sub_f32_e32 v101, v101, v75
	v_dual_mul_f32 v109, 0x3fb8aa3b, v109 :: v_dual_mul_f32 v76, 0x3fb8aa3b, v76
	s_delay_alu instid0(VALU_DEP_2) | instskip(NEXT) | instid1(VALU_DEP_2)
	v_mul_f32_e32 v111, 0x3fb8aa3b, v101
	v_exp_f32_e32 v109, v109
	s_delay_alu instid0(VALU_DEP_2)
	v_exp_f32_e32 v110, v76
	v_sub_f32_e32 v76, v102, v75
	ds_load_2addr_b32 v[101:102], v90 offset0:204 offset1:221
	v_exp_f32_e32 v111, v111
	v_mul_f32_e32 v112, 0x3fb8aa3b, v76
	s_waitcnt lgkmcnt(2)
	v_fma_f32 v76, v110, v107, 0
	v_sub_f32_e32 v103, v103, v75
	s_delay_alu instid0(VALU_DEP_3) | instskip(NEXT) | instid1(VALU_DEP_2)
	v_exp_f32_e32 v112, v112
	v_dual_sub_f32 v107, v104, v75 :: v_dual_fmac_f32 v76, v109, v108
	s_waitcnt lgkmcnt(1)
	s_waitcnt_depctr 0xfff
	v_fmac_f32_e32 v76, v111, v99
	v_mul_f32_e32 v113, 0x3fb8aa3b, v103
	ds_load_2addr_b32 v[103:104], v90 offset0:238 offset1:255
	v_sub_f32_e32 v90, v105, v75
	v_dual_sub_f32 v99, v106, v75 :: v_dual_fmac_f32 v76, v112, v100
	v_mul_f32_e32 v105, 0x3fb8aa3b, v107
	v_exp_f32_e32 v107, v113
	s_delay_alu instid0(VALU_DEP_2)
	v_dual_mul_f32 v90, 0x3fb8aa3b, v90 :: v_dual_mul_f32 v99, 0x3fb8aa3b, v99
	s_waitcnt lgkmcnt(0)
	s_barrier
	buffer_gl0_inv
	v_exp_f32_e32 v90, v90
	v_exp_f32_e32 v99, v99
	v_fmac_f32_e32 v76, v107, v101
	v_exp_f32_e32 v105, v105
	s_waitcnt_depctr 0xfff
	v_fmac_f32_e32 v76, v105, v102
	s_delay_alu instid0(VALU_DEP_1) | instskip(NEXT) | instid1(VALU_DEP_1)
	v_fmac_f32_e32 v76, v90, v103
	v_fmac_f32_e32 v76, v99, v104
	s_delay_alu instid0(VALU_DEP_1) | instskip(NEXT) | instid1(VALU_DEP_1)
	v_add_f32_e32 v100, 0x358637bd, v76
	v_div_scale_f32 v101, null, v100, v100, 1.0
	v_div_scale_f32 v104, vcc_lo, 1.0, v100, 1.0
	s_delay_alu instid0(VALU_DEP_2) | instskip(SKIP_2) | instid1(VALU_DEP_1)
	v_rcp_f32_e32 v102, v101
	s_waitcnt_depctr 0xfff
	v_fma_f32 v103, -v101, v102, 1.0
	v_fmac_f32_e32 v102, v103, v102
	v_cndmask_b32_e64 v103, v110, v109, s3
	v_cmp_eq_u32_e64 s3, 2, v74
	s_delay_alu instid0(VALU_DEP_3) | instskip(NEXT) | instid1(VALU_DEP_2)
	v_mul_f32_e32 v106, v104, v102
	v_cndmask_b32_e64 v103, v103, v111, s3
	v_cmp_eq_u32_e64 s3, 3, v74
	s_delay_alu instid0(VALU_DEP_3) | instskip(NEXT) | instid1(VALU_DEP_2)
	v_fma_f32 v108, -v101, v106, v104
	v_cndmask_b32_e64 v103, v103, v112, s3
	v_cmp_eq_u32_e64 s3, 4, v74
	s_delay_alu instid0(VALU_DEP_3) | instskip(NEXT) | instid1(VALU_DEP_2)
	v_fmac_f32_e32 v106, v108, v102
	v_cndmask_b32_e64 v103, v103, v107, s3
	s_delay_alu instid0(VALU_DEP_2) | instskip(SKIP_1) | instid1(VALU_DEP_2)
	v_fma_f32 v101, -v101, v106, v104
	v_cmp_eq_u32_e64 s3, 5, v74
	v_div_fmas_f32 v101, v101, v102, v106
	s_delay_alu instid0(VALU_DEP_2) | instskip(SKIP_2) | instid1(VALU_DEP_3)
	v_cndmask_b32_e64 v103, v103, v105, s3
	v_cmp_eq_u32_e32 vcc_lo, 6, v74
	s_mov_b32 s3, exec_lo
	v_div_fixup_f32 v100, v101, v100, 1.0
	s_delay_alu instid0(VALU_DEP_3) | instskip(SKIP_1) | instid1(VALU_DEP_2)
	v_cndmask_b32_e32 v90, v103, v90, vcc_lo
	v_cmp_eq_u32_e32 vcc_lo, 7, v74
	v_cndmask_b32_e32 v90, v90, v99, vcc_lo
	s_delay_alu instid0(VALU_DEP_1) | instskip(NEXT) | instid1(VALU_DEP_1)
	v_mul_f32_e32 v90, v90, v100
	v_mul_f32_e32 v100, v90, v92
	;; [unrolled: 1-line block ×6, first 2 shown]
	v_and_b32_e32 v101, 0x7f800000, v100
	v_mul_f32_e32 v99, v90, v95
	v_mul_f32_e32 v95, v90, v91
	;; [unrolled: 1-line block ×3, first 2 shown]
                                        ; implicit-def: $vgpr91
	s_delay_alu instid0(VALU_DEP_4)
	v_cmpx_ne_u32_e32 0x7f800000, v101
	s_xor_b32 s3, exec_lo, s3
; %bb.15:
	v_bfe_u32 v91, v100, 16, 1
	s_delay_alu instid0(VALU_DEP_1)
	v_add3_u32 v91, v100, v91, 0x7fff
                                        ; implicit-def: $vgpr100
; %bb.16:
	s_and_not1_saveexec_b32 s3, s3
; %bb.17:
	v_and_b32_e32 v91, 0xffff, v100
	v_or_b32_e32 v93, 0x10000, v100
	s_delay_alu instid0(VALU_DEP_2) | instskip(NEXT) | instid1(VALU_DEP_2)
	v_cmp_eq_u32_e32 vcc_lo, 0, v91
	v_cndmask_b32_e32 v91, v93, v100, vcc_lo
; %bb.18:
	s_or_b32 exec_lo, exec_lo, s3
	v_and_b32_e32 v93, 0x7f800000, v95
	s_delay_alu instid0(VALU_DEP_1) | instskip(SKIP_1) | instid1(SALU_CYCLE_1)
	v_cmp_ne_u32_e32 vcc_lo, 0x7f800000, v93
                                        ; implicit-def: $vgpr93
	s_and_saveexec_b32 s3, vcc_lo
	s_xor_b32 s3, exec_lo, s3
; %bb.19:
	v_bfe_u32 v93, v95, 16, 1
	s_delay_alu instid0(VALU_DEP_1)
	v_add3_u32 v93, v95, v93, 0x7fff
                                        ; implicit-def: $vgpr95
; %bb.20:
	s_and_not1_saveexec_b32 s3, s3
; %bb.21:
	v_and_b32_e32 v93, 0xffff, v95
	v_or_b32_e32 v100, 0x10000, v95
	s_delay_alu instid0(VALU_DEP_2) | instskip(NEXT) | instid1(VALU_DEP_2)
	v_cmp_eq_u32_e32 vcc_lo, 0, v93
	v_cndmask_b32_e32 v93, v100, v95, vcc_lo
; %bb.22:
	s_or_b32 exec_lo, exec_lo, s3
	v_and_b32_e32 v95, 0x7f800000, v96
	s_delay_alu instid0(VALU_DEP_1) | instskip(SKIP_1) | instid1(SALU_CYCLE_1)
	v_cmp_ne_u32_e32 vcc_lo, 0x7f800000, v95
                                        ; implicit-def: $vgpr95
	s_and_saveexec_b32 s3, vcc_lo
	s_xor_b32 s3, exec_lo, s3
; %bb.23:
	v_bfe_u32 v95, v96, 16, 1
	s_delay_alu instid0(VALU_DEP_1)
	v_add3_u32 v95, v96, v95, 0x7fff
                                        ; implicit-def: $vgpr96
; %bb.24:
	s_and_not1_saveexec_b32 s3, s3
; %bb.25:
	v_and_b32_e32 v95, 0xffff, v96
	v_or_b32_e32 v100, 0x10000, v96
	s_delay_alu instid0(VALU_DEP_2) | instskip(NEXT) | instid1(VALU_DEP_2)
	v_cmp_eq_u32_e32 vcc_lo, 0, v95
	v_cndmask_b32_e32 v95, v100, v96, vcc_lo
; %bb.26:
	s_or_b32 exec_lo, exec_lo, s3
	v_and_b32_e32 v96, 0x7f800000, v99
	s_delay_alu instid0(VALU_DEP_1) | instskip(SKIP_1) | instid1(SALU_CYCLE_1)
	v_cmp_ne_u32_e32 vcc_lo, 0x7f800000, v96
                                        ; implicit-def: $vgpr96
	s_and_saveexec_b32 s3, vcc_lo
	s_xor_b32 s3, exec_lo, s3
; %bb.27:
	v_bfe_u32 v96, v99, 16, 1
	s_delay_alu instid0(VALU_DEP_1)
	v_add3_u32 v96, v99, v96, 0x7fff
                                        ; implicit-def: $vgpr99
; %bb.28:
	s_and_not1_saveexec_b32 s3, s3
; %bb.29:
	v_and_b32_e32 v96, 0xffff, v99
	v_or_b32_e32 v100, 0x10000, v99
	s_delay_alu instid0(VALU_DEP_2) | instskip(NEXT) | instid1(VALU_DEP_2)
	v_cmp_eq_u32_e32 vcc_lo, 0, v96
	v_cndmask_b32_e32 v96, v100, v99, vcc_lo
; %bb.30:
	s_or_b32 exec_lo, exec_lo, s3
	v_and_b32_e32 v99, 0x7f800000, v98
	s_delay_alu instid0(VALU_DEP_1) | instskip(SKIP_1) | instid1(SALU_CYCLE_1)
	v_cmp_ne_u32_e32 vcc_lo, 0x7f800000, v99
                                        ; implicit-def: $vgpr99
	s_and_saveexec_b32 s3, vcc_lo
	s_xor_b32 s3, exec_lo, s3
; %bb.31:
	v_bfe_u32 v99, v98, 16, 1
	s_delay_alu instid0(VALU_DEP_1)
	v_add3_u32 v99, v98, v99, 0x7fff
                                        ; implicit-def: $vgpr98
; %bb.32:
	s_and_not1_saveexec_b32 s3, s3
; %bb.33:
	v_and_b32_e32 v99, 0xffff, v98
	v_or_b32_e32 v100, 0x10000, v98
	s_delay_alu instid0(VALU_DEP_2) | instskip(NEXT) | instid1(VALU_DEP_2)
	v_cmp_eq_u32_e32 vcc_lo, 0, v99
	v_cndmask_b32_e32 v99, v100, v98, vcc_lo
; %bb.34:
	s_or_b32 exec_lo, exec_lo, s3
	v_and_b32_e32 v98, 0x7f800000, v97
	s_delay_alu instid0(VALU_DEP_1) | instskip(SKIP_1) | instid1(SALU_CYCLE_1)
	v_cmp_ne_u32_e32 vcc_lo, 0x7f800000, v98
                                        ; implicit-def: $vgpr98
	s_and_saveexec_b32 s3, vcc_lo
	s_xor_b32 s3, exec_lo, s3
; %bb.35:
	v_bfe_u32 v98, v97, 16, 1
	s_delay_alu instid0(VALU_DEP_1)
	v_add3_u32 v98, v97, v98, 0x7fff
                                        ; implicit-def: $vgpr97
; %bb.36:
	s_and_not1_saveexec_b32 s3, s3
; %bb.37:
	v_and_b32_e32 v98, 0xffff, v97
	v_or_b32_e32 v100, 0x10000, v97
	s_delay_alu instid0(VALU_DEP_2) | instskip(NEXT) | instid1(VALU_DEP_2)
	v_cmp_eq_u32_e32 vcc_lo, 0, v98
	v_cndmask_b32_e32 v98, v100, v97, vcc_lo
; %bb.38:
	s_or_b32 exec_lo, exec_lo, s3
	v_and_b32_e32 v97, 0x7f800000, v94
	s_delay_alu instid0(VALU_DEP_1) | instskip(SKIP_1) | instid1(SALU_CYCLE_1)
	v_cmp_ne_u32_e32 vcc_lo, 0x7f800000, v97
                                        ; implicit-def: $vgpr97
	s_and_saveexec_b32 s3, vcc_lo
	s_xor_b32 s3, exec_lo, s3
; %bb.39:
	v_bfe_u32 v97, v94, 16, 1
	s_delay_alu instid0(VALU_DEP_1)
	v_add3_u32 v97, v94, v97, 0x7fff
                                        ; implicit-def: $vgpr94
; %bb.40:
	s_and_not1_saveexec_b32 s3, s3
; %bb.41:
	v_and_b32_e32 v97, 0xffff, v94
	v_or_b32_e32 v100, 0x10000, v94
	s_delay_alu instid0(VALU_DEP_2) | instskip(NEXT) | instid1(VALU_DEP_2)
	v_cmp_eq_u32_e32 vcc_lo, 0, v97
	v_cndmask_b32_e32 v97, v100, v94, vcc_lo
; %bb.42:
	s_or_b32 exec_lo, exec_lo, s3
	v_and_b32_e32 v94, 0x7f800000, v92
	s_delay_alu instid0(VALU_DEP_1) | instskip(SKIP_1) | instid1(SALU_CYCLE_1)
	v_cmp_ne_u32_e32 vcc_lo, 0x7f800000, v94
                                        ; implicit-def: $vgpr94
	s_and_saveexec_b32 s3, vcc_lo
	s_xor_b32 s3, exec_lo, s3
; %bb.43:
	v_bfe_u32 v94, v92, 16, 1
	s_delay_alu instid0(VALU_DEP_1)
	v_add3_u32 v94, v92, v94, 0x7fff
                                        ; implicit-def: $vgpr92
; %bb.44:
	s_and_not1_saveexec_b32 s3, s3
; %bb.45:
	v_and_b32_e32 v94, 0xffff, v92
	v_or_b32_e32 v100, 0x10000, v92
	s_delay_alu instid0(VALU_DEP_2) | instskip(NEXT) | instid1(VALU_DEP_2)
	v_cmp_eq_u32_e32 vcc_lo, 0, v94
	v_cndmask_b32_e32 v94, v100, v92, vcc_lo
; %bb.46:
	s_or_b32 exec_lo, exec_lo, s3
	s_load_b64 s[34:35], s[0:1], 0x94
	v_lshlrev_b32_e32 v92, 4, v83
	s_delay_alu instid0(VALU_DEP_2)
	v_perm_b32 v100, v94, v97, 0x7060302
	v_dual_mul_f32 v89, v90, v89 :: v_dual_lshlrev_b32 v94, 11, v74
	v_perm_b32 v97, v93, v91, 0x7060302
	v_mul_f32_e32 v93, v90, v77
	v_perm_b32 v99, v98, v99, 0x7060302
	v_perm_b32 v98, v96, v95, 0x7060302
	v_or3_b32 v77, v92, v94, v85
	v_mul_f32_e32 v88, v90, v88
	v_dual_mul_f32 v87, v90, v87 :: v_dual_and_b32 v94, 0x7f800000, v93
	v_mul_f32_e32 v86, v90, v86
	v_mul_f32_e32 v91, v90, v80
	;; [unrolled: 1-line block ×4, first 2 shown]
	s_mov_b32 s3, exec_lo
	ds_store_b128 v77, v[97:100]
                                        ; implicit-def: $vgpr78
	v_cmpx_ne_u32_e32 0x7f800000, v94
	s_xor_b32 s3, exec_lo, s3
; %bb.47:
	v_bfe_u32 v78, v93, 16, 1
	s_delay_alu instid0(VALU_DEP_1)
	v_add3_u32 v78, v93, v78, 0x7fff
                                        ; implicit-def: $vgpr93
; %bb.48:
	s_and_not1_saveexec_b32 s3, s3
; %bb.49:
	v_and_b32_e32 v78, 0xffff, v93
	v_or_b32_e32 v79, 0x10000, v93
	s_delay_alu instid0(VALU_DEP_2) | instskip(NEXT) | instid1(VALU_DEP_2)
	v_cmp_eq_u32_e32 vcc_lo, 0, v78
	v_cndmask_b32_e32 v78, v79, v93, vcc_lo
; %bb.50:
	s_or_b32 exec_lo, exec_lo, s3
	v_and_b32_e32 v79, 0x7f800000, v80
	s_delay_alu instid0(VALU_DEP_1) | instskip(SKIP_1) | instid1(SALU_CYCLE_1)
	v_cmp_ne_u32_e32 vcc_lo, 0x7f800000, v79
                                        ; implicit-def: $vgpr79
	s_and_saveexec_b32 s3, vcc_lo
	s_xor_b32 s3, exec_lo, s3
; %bb.51:
	v_bfe_u32 v79, v80, 16, 1
	s_delay_alu instid0(VALU_DEP_1)
	v_add3_u32 v79, v80, v79, 0x7fff
                                        ; implicit-def: $vgpr80
; %bb.52:
	s_and_not1_saveexec_b32 s3, s3
; %bb.53:
	v_and_b32_e32 v79, 0xffff, v80
	v_or_b32_e32 v90, 0x10000, v80
	s_delay_alu instid0(VALU_DEP_2) | instskip(NEXT) | instid1(VALU_DEP_2)
	v_cmp_eq_u32_e32 vcc_lo, 0, v79
	v_cndmask_b32_e32 v79, v90, v80, vcc_lo
; %bb.54:
	s_or_b32 exec_lo, exec_lo, s3
	v_and_b32_e32 v80, 0x7f800000, v92
	s_delay_alu instid0(VALU_DEP_1) | instskip(SKIP_1) | instid1(SALU_CYCLE_1)
	v_cmp_ne_u32_e32 vcc_lo, 0x7f800000, v80
                                        ; implicit-def: $vgpr80
	s_and_saveexec_b32 s3, vcc_lo
	s_xor_b32 s3, exec_lo, s3
; %bb.55:
	v_bfe_u32 v80, v92, 16, 1
	s_delay_alu instid0(VALU_DEP_1)
	v_add3_u32 v80, v92, v80, 0x7fff
                                        ; implicit-def: $vgpr92
; %bb.56:
	s_and_not1_saveexec_b32 s3, s3
; %bb.57:
	v_and_b32_e32 v80, 0xffff, v92
	v_or_b32_e32 v90, 0x10000, v92
	s_delay_alu instid0(VALU_DEP_2) | instskip(NEXT) | instid1(VALU_DEP_2)
	v_cmp_eq_u32_e32 vcc_lo, 0, v80
	v_cndmask_b32_e32 v80, v90, v92, vcc_lo
; %bb.58:
	s_or_b32 exec_lo, exec_lo, s3
	v_and_b32_e32 v90, 0x7f800000, v91
	s_delay_alu instid0(VALU_DEP_1) | instskip(SKIP_1) | instid1(SALU_CYCLE_1)
	v_cmp_ne_u32_e32 vcc_lo, 0x7f800000, v90
                                        ; implicit-def: $vgpr90
	s_and_saveexec_b32 s3, vcc_lo
	s_xor_b32 s3, exec_lo, s3
; %bb.59:
	v_bfe_u32 v90, v91, 16, 1
	s_delay_alu instid0(VALU_DEP_1)
	v_add3_u32 v90, v91, v90, 0x7fff
                                        ; implicit-def: $vgpr91
; %bb.60:
	s_and_not1_saveexec_b32 s3, s3
; %bb.61:
	v_and_b32_e32 v90, 0xffff, v91
	v_or_b32_e32 v92, 0x10000, v91
	s_delay_alu instid0(VALU_DEP_2) | instskip(NEXT) | instid1(VALU_DEP_2)
	v_cmp_eq_u32_e32 vcc_lo, 0, v90
	v_cndmask_b32_e32 v90, v92, v91, vcc_lo
; %bb.62:
	s_or_b32 exec_lo, exec_lo, s3
	v_and_b32_e32 v91, 0x7f800000, v86
	s_delay_alu instid0(VALU_DEP_1) | instskip(SKIP_1) | instid1(SALU_CYCLE_1)
	v_cmp_ne_u32_e32 vcc_lo, 0x7f800000, v91
                                        ; implicit-def: $vgpr91
	s_and_saveexec_b32 s3, vcc_lo
	s_xor_b32 s3, exec_lo, s3
; %bb.63:
	v_bfe_u32 v91, v86, 16, 1
	s_delay_alu instid0(VALU_DEP_1)
	v_add3_u32 v91, v86, v91, 0x7fff
                                        ; implicit-def: $vgpr86
; %bb.64:
	s_and_not1_saveexec_b32 s3, s3
; %bb.65:
	v_and_b32_e32 v91, 0xffff, v86
	v_or_b32_e32 v92, 0x10000, v86
	s_delay_alu instid0(VALU_DEP_2) | instskip(NEXT) | instid1(VALU_DEP_2)
	v_cmp_eq_u32_e32 vcc_lo, 0, v91
	v_cndmask_b32_e32 v91, v92, v86, vcc_lo
; %bb.66:
	s_or_b32 exec_lo, exec_lo, s3
	v_and_b32_e32 v86, 0x7f800000, v87
	s_delay_alu instid0(VALU_DEP_1) | instskip(SKIP_1) | instid1(SALU_CYCLE_1)
	v_cmp_ne_u32_e32 vcc_lo, 0x7f800000, v86
                                        ; implicit-def: $vgpr86
	s_and_saveexec_b32 s3, vcc_lo
	s_xor_b32 s3, exec_lo, s3
; %bb.67:
	v_bfe_u32 v86, v87, 16, 1
	s_delay_alu instid0(VALU_DEP_1)
	v_add3_u32 v86, v87, v86, 0x7fff
                                        ; implicit-def: $vgpr87
; %bb.68:
	s_and_not1_saveexec_b32 s3, s3
; %bb.69:
	v_and_b32_e32 v86, 0xffff, v87
	v_or_b32_e32 v92, 0x10000, v87
	s_delay_alu instid0(VALU_DEP_2) | instskip(NEXT) | instid1(VALU_DEP_2)
	v_cmp_eq_u32_e32 vcc_lo, 0, v86
	v_cndmask_b32_e32 v86, v92, v87, vcc_lo
; %bb.70:
	s_or_b32 exec_lo, exec_lo, s3
	v_and_b32_e32 v87, 0x7f800000, v88
	s_delay_alu instid0(VALU_DEP_1) | instskip(SKIP_1) | instid1(SALU_CYCLE_1)
	v_cmp_ne_u32_e32 vcc_lo, 0x7f800000, v87
                                        ; implicit-def: $vgpr87
	s_and_saveexec_b32 s3, vcc_lo
	s_xor_b32 s3, exec_lo, s3
; %bb.71:
	v_bfe_u32 v87, v88, 16, 1
	s_delay_alu instid0(VALU_DEP_1)
	v_add3_u32 v87, v88, v87, 0x7fff
                                        ; implicit-def: $vgpr88
; %bb.72:
	s_and_not1_saveexec_b32 s3, s3
; %bb.73:
	v_and_b32_e32 v87, 0xffff, v88
	v_or_b32_e32 v92, 0x10000, v88
	s_delay_alu instid0(VALU_DEP_2) | instskip(NEXT) | instid1(VALU_DEP_2)
	v_cmp_eq_u32_e32 vcc_lo, 0, v87
	v_cndmask_b32_e32 v87, v92, v88, vcc_lo
; %bb.74:
	s_or_b32 exec_lo, exec_lo, s3
	v_and_b32_e32 v88, 0x7f800000, v89
	s_delay_alu instid0(VALU_DEP_1) | instskip(SKIP_1) | instid1(SALU_CYCLE_1)
	v_cmp_ne_u32_e32 vcc_lo, 0x7f800000, v88
                                        ; implicit-def: $vgpr88
	s_and_saveexec_b32 s3, vcc_lo
	s_xor_b32 s3, exec_lo, s3
; %bb.75:
	v_bfe_u32 v88, v89, 16, 1
	s_delay_alu instid0(VALU_DEP_1)
	v_add3_u32 v88, v89, v88, 0x7fff
                                        ; implicit-def: $vgpr89
; %bb.76:
	s_and_not1_saveexec_b32 s3, s3
; %bb.77:
	v_and_b32_e32 v88, 0xffff, v89
	v_or_b32_e32 v92, 0x10000, v89
	s_delay_alu instid0(VALU_DEP_2) | instskip(NEXT) | instid1(VALU_DEP_2)
	v_cmp_eq_u32_e32 vcc_lo, 0, v88
	v_cndmask_b32_e32 v88, v92, v89, vcc_lo
; %bb.78:
	s_or_b32 exec_lo, exec_lo, s3
	s_delay_alu instid0(VALU_DEP_1)
	v_perm_b32 v89, v88, v87, 0x7060302
	v_perm_b32 v88, v86, v91, 0x7060302
	;; [unrolled: 1-line block ×4, first 2 shown]
	v_lshl_or_b32 v90, v74, 11, v85
	ds_store_b128 v77, v[86:89] offset:1024
	s_waitcnt lgkmcnt(0)
	s_barrier
	buffer_gl0_inv
	ds_load_b128 v[91:94], v90
	ds_load_b128 v[95:98], v90 offset:16
	v_lshlrev_b32_e32 v87, 2, v83
	s_delay_alu instid0(VALU_DEP_1)
	v_or_b32_e32 v88, 1, v87
	v_cmp_eq_u32_e32 vcc_lo, 1, v87
	v_cmp_eq_u32_e64 s4, 2, v87
	v_cmp_eq_u32_e64 s7, 3, v87
	v_cmp_eq_u32_e64 s9, 4, v87
	v_cmp_eq_u32_e64 s3, 1, v88
	v_cmp_eq_u32_e64 s6, 2, v88
	v_cmp_eq_u32_e64 s8, 3, v88
	v_or_b32_e32 v86, 2, v87
	v_cmp_eq_u32_e64 s10, 5, v87
	v_cmp_eq_u32_e64 s11, 4, v88
	;; [unrolled: 1-line block ×4, first 2 shown]
	s_waitcnt lgkmcnt(1)
	v_lshrrev_b32_e32 v74, 16, v91
	s_waitcnt lgkmcnt(0)
	v_lshrrev_b32_e32 v103, 16, v95
	v_lshrrev_b32_e32 v80, 16, v94
	;; [unrolled: 1-line block ×4, first 2 shown]
	v_cndmask_b32_e32 v89, v91, v74, vcc_lo
	v_cndmask_b32_e32 v99, v95, v103, vcc_lo
	v_cndmask_b32_e64 v100, v91, v74, s3
	v_lshrrev_b32_e32 v79, 16, v93
	v_lshrrev_b32_e32 v108, 16, v97
	v_cndmask_b32_e64 v89, v89, v92, s4
	v_cndmask_b32_e64 v99, v99, v96, s4
	;; [unrolled: 1-line block ×4, first 2 shown]
	v_cmp_eq_u32_e64 s5, 1, v86
	v_cndmask_b32_e64 v89, v89, v78, s7
	v_cndmask_b32_e64 v99, v99, v107, s7
	;; [unrolled: 1-line block ×4, first 2 shown]
	v_lshrrev_b32_e32 v109, 16, v98
	v_cndmask_b32_e64 v89, v89, v93, s9
	v_cndmask_b32_e64 v99, v99, v97, s9
	v_cndmask_b32_e64 v100, v100, v93, s11
	v_cndmask_b32_e64 v102, v91, v74, s5
	v_cndmask_b32_e64 v101, v101, v107, s8
	v_cndmask_b32_e64 v89, v89, v79, s10
	v_cndmask_b32_e64 v99, v99, v108, s10
	v_cndmask_b32_e64 v100, v100, v79, s13
	v_cmp_eq_u32_e64 s15, 7, v87
	v_cmp_eq_u32_e64 s16, 6, v88
	v_cndmask_b32_e64 v89, v89, v94, s12
	v_cndmask_b32_e64 v99, v99, v98, s12
	v_cmp_eq_u32_e64 s17, 2, v86
	v_cndmask_b32_e64 v101, v101, v97, s11
	v_cndmask_b32_e64 v100, v100, v94, s16
	;; [unrolled: 1-line block ×6, first 2 shown]
	v_cmp_eq_u32_e64 s18, 7, v88
	v_cmp_eq_u32_e64 s19, 3, v86
	;; [unrolled: 1-line block ×4, first 2 shown]
	v_cndmask_b32_e64 v99, v99, v96, s17
	v_cndmask_b32_e64 v112, v100, v80, s18
	;; [unrolled: 1-line block ×4, first 2 shown]
	v_or_b32_e32 v89, 3, v87
	v_cndmask_b32_e64 v105, v99, v107, s19
	v_cmp_eq_u32_e64 s24, 6, v86
	v_cndmask_b32_e64 v113, v100, v98, s16
	v_cndmask_b32_e64 v104, v101, v93, s20
	ds_load_b128 v[99:102], v90 offset:1024
	v_cmp_eq_u32_e64 s21, 1, v89
	v_cmp_eq_u32_e64 s23, 2, v89
	;; [unrolled: 1-line block ×3, first 2 shown]
	v_cndmask_b32_e64 v114, v104, v79, s22
	v_cmp_eq_u32_e64 s26, 4, v89
	v_cndmask_b32_e64 v74, v91, v74, s21
	v_cndmask_b32_e64 v91, v105, v97, s20
	;; [unrolled: 1-line block ×3, first 2 shown]
	ds_load_b128 v[103:106], v90 offset:1040
	v_cmp_eq_u32_e64 s28, 5, v89
	v_cndmask_b32_e64 v74, v74, v92, s23
	v_cndmask_b32_e64 v91, v91, v108, s22
	;; [unrolled: 1-line block ×3, first 2 shown]
	v_cmp_eq_u32_e64 s29, 6, v89
	v_cndmask_b32_e64 v95, v113, v109, s18
	v_cndmask_b32_e64 v74, v74, v78, s25
	;; [unrolled: 1-line block ×5, first 2 shown]
	s_waitcnt lgkmcnt(1)
	v_lshrrev_b32_e32 v96, 16, v99
	v_cndmask_b32_e64 v74, v74, v93, s26
	v_lshrrev_b32_e32 v107, 16, v100
	v_cndmask_b32_e64 v92, v92, v97, s26
	v_cmp_eq_u32_e64 s27, 7, v86
	v_cndmask_b32_e32 v93, v99, v96, vcc_lo
	v_cndmask_b32_e64 v74, v74, v79, s28
	s_delay_alu instid0(VALU_DEP_4)
	v_cndmask_b32_e64 v79, v92, v108, s28
	s_waitcnt lgkmcnt(0)
	v_lshrrev_b32_e32 v97, 16, v103
	v_cndmask_b32_e64 v92, v93, v100, s4
	v_cndmask_b32_e64 v93, v99, v96, s3
	;; [unrolled: 1-line block ×4, first 2 shown]
	v_cndmask_b32_e32 v108, v103, v97, vcc_lo
	v_cndmask_b32_e64 v92, v92, v107, s7
	v_cndmask_b32_e64 v93, v93, v100, s6
	v_lshrrev_b32_e32 v98, 16, v104
	v_cmp_eq_u32_e32 vcc_lo, 7, v89
	v_cndmask_b32_e64 v94, v108, v104, s4
	v_cndmask_b32_e64 v92, v92, v101, s9
	v_lshrrev_b32_e32 v108, 16, v101
	v_cndmask_b32_e64 v93, v93, v107, s8
	v_cndmask_b32_e32 v74, v74, v80, vcc_lo
	v_cndmask_b32_e64 v94, v94, v98, s7
	v_cndmask_b32_e32 v79, v79, v109, vcc_lo
	v_cndmask_b32_e64 v92, v92, v108, s10
	v_cndmask_b32_e64 v78, v78, v80, s27
	;; [unrolled: 1-line block ×4, first 2 shown]
	v_perm_b32 v94, v79, v74, 0x5040100
	v_cndmask_b32_e64 v79, v92, v102, s12
	v_perm_b32 v92, v95, v112, 0x5040100
	v_cndmask_b32_e64 v95, v99, v96, s5
	v_cndmask_b32_e64 v96, v99, v96, s21
	;; [unrolled: 1-line block ×16, first 2 shown]
	v_lshrrev_b32_e32 v109, 16, v105
	v_cndmask_b32_e64 v95, v95, v101, s20
	v_cndmask_b32_e64 v96, v96, v101, s26
	;; [unrolled: 1-line block ×6, first 2 shown]
	v_lshrrev_b32_e32 v80, 16, v102
	v_cndmask_b32_e64 v113, v93, v109, s10
	v_cndmask_b32_e64 v95, v95, v108, s22
	;; [unrolled: 1-line block ×6, first 2 shown]
	v_perm_b32 v93, v91, v78, 0x5040100
	v_cndmask_b32_e64 v74, v74, v102, s16
	v_cndmask_b32_e64 v78, v79, v80, s15
	;; [unrolled: 1-line block ×3, first 2 shown]
	v_lshrrev_b32_e32 v91, 16, v106
	v_cndmask_b32_e64 v95, v95, v102, s24
	v_cndmask_b32_e64 v96, v96, v102, s29
	;; [unrolled: 1-line block ×7, first 2 shown]
	v_cndmask_b32_e32 v80, v96, v80, vcc_lo
	v_cndmask_b32_e32 v96, v98, v91, vcc_lo
	v_cndmask_b32_e64 v99, v99, v91, s27
	v_cndmask_b32_e64 v100, v97, v91, s18
	;; [unrolled: 1-line block ×3, first 2 shown]
	v_perm_b32 v91, v111, v110, 0x5040100
	v_perm_b32 v98, v96, v80, 0x5040100
	;; [unrolled: 1-line block ×5, first 2 shown]
	s_mul_i32 s8, s35, 9
	s_mov_b32 s3, exec_lo
	ds_store_b128 v77, v[91:94]
	ds_store_b128 v77, v[95:98] offset:1024
	v_cmpx_gt_u32_e32 9, v0
	s_cbranch_execz .LBB698_80
; %bb.79:
	s_mul_i32 s4, s8, s30
	s_delay_alu instid0(SALU_CYCLE_1) | instskip(SKIP_1) | instid1(VALU_DEP_1)
	v_add3_u32 v77, s4, s31, v73
	s_load_b128 s[4:7], s[0:1], 0x58
	v_mad_u64_u32 v[73:74], null, v77, s34, s[14:15]
	s_delay_alu instid0(VALU_DEP_1) | instskip(NEXT) | instid1(VALU_DEP_1)
	v_ashrrev_i32_e32 v74, 31, v73
	v_lshlrev_b64 v[73:74], 2, v[73:74]
	s_waitcnt lgkmcnt(0)
	s_delay_alu instid0(VALU_DEP_1) | instskip(NEXT) | instid1(VALU_DEP_2)
	v_add_co_u32 v77, vcc_lo, s6, v73
	v_add_co_ci_u32_e32 v78, vcc_lo, s7, v74, vcc_lo
	v_add_co_u32 v73, vcc_lo, s4, v73
	v_add_co_ci_u32_e32 v74, vcc_lo, s5, v74, vcc_lo
	global_store_b32 v[77:78], v75, off
	global_store_b32 v[73:74], v76, off
.LBB698_80:
	s_or_b32 exec_lo, exec_lo, s3
	s_waitcnt lgkmcnt(0)
	s_waitcnt_vscnt null, 0x0
	s_barrier
	buffer_gl0_inv
	ds_load_b128 v[91:94], v85
	ds_load_b128 v[95:98], v85 offset:16
	ds_load_b128 v[103:106], v85 offset:1040
	;; [unrolled: 1-line block ×3, first 2 shown]
	v_mov_b32_e32 v73, 0
	ds_load_b128 v[111:114], v85 offset:2064
	ds_load_b128 v[107:110], v85 offset:2048
	;; [unrolled: 1-line block ×6, first 2 shown]
	v_mov_b32_e32 v74, v73
	v_mov_b32_e32 v75, v73
	;; [unrolled: 1-line block ×7, first 2 shown]
	s_waitcnt lgkmcnt(8)
	s_delay_alu instid0(VALU_DEP_1)
	v_wmma_f32_16x16x16_bf16 v[73:80], v[65:72], v[91:98], v[73:80]
	ds_load_b128 v[69:72], v85 offset:5136
	ds_load_b128 v[65:68], v85 offset:5120
	;; [unrolled: 1-line block ×4, first 2 shown]
	s_waitcnt lgkmcnt(10)
	v_wmma_f32_16x16x16_bf16 v[73:80], v[57:64], v[99:106], v[73:80]
	s_waitcnt lgkmcnt(8)
	s_delay_alu instid0(VALU_DEP_1)
	v_wmma_f32_16x16x16_bf16 v[73:80], v[57:64], v[107:114], v[73:80]
	ds_load_b128 v[61:64], v85 offset:7184
	ds_load_b128 v[57:60], v85 offset:7168
	;; [unrolled: 1-line block ×4, first 2 shown]
	s_waitcnt lgkmcnt(10)
	v_wmma_f32_16x16x16_bf16 v[73:80], v[49:56], v[115:122], v[73:80]
	s_waitcnt lgkmcnt(8)
	s_delay_alu instid0(VALU_DEP_1)
	v_wmma_f32_16x16x16_bf16 v[73:80], v[49:56], v[123:130], v[73:80]
	ds_load_b128 v[53:56], v85 offset:9232
	ds_load_b128 v[49:52], v85 offset:9216
	s_waitcnt lgkmcnt(8)
	v_wmma_f32_16x16x16_bf16 v[73:80], v[41:48], v[65:72], v[73:80]
	ds_load_b128 v[69:72], v85 offset:10256
	ds_load_b128 v[65:68], v85 offset:10240
	s_waitcnt lgkmcnt(8)
	;; [unrolled: 4-line block ×3, first 2 shown]
	v_wmma_f32_16x16x16_bf16 v[73:80], v[9:16], v[57:64], v[73:80]
	s_waitcnt lgkmcnt(6)
	s_delay_alu instid0(VALU_DEP_1)
	v_wmma_f32_16x16x16_bf16 v[73:80], v[9:16], v[99:106], v[73:80]
	ds_load_b128 v[13:16], v85 offset:12304
	ds_load_b128 v[9:12], v85 offset:12288
	s_waitcnt lgkmcnt(6)
	v_wmma_f32_16x16x16_bf16 v[73:80], v[1:8], v[49:56], v[73:80]
	ds_load_b128 v[53:56], v85 offset:13328
	ds_load_b128 v[49:52], v85 offset:13312
	s_waitcnt lgkmcnt(6)
	;; [unrolled: 4-line block ×4, first 2 shown]
	v_wmma_f32_16x16x16_bf16 v[73:80], v[33:40], v[9:16], v[73:80]
	s_waitcnt lgkmcnt(4)
	s_delay_alu instid0(VALU_DEP_1) | instskip(SKIP_1) | instid1(VALU_DEP_1)
	v_wmma_f32_16x16x16_bf16 v[73:80], v[25:32], v[49:56], v[73:80]
	s_waitcnt lgkmcnt(2)
	v_wmma_f32_16x16x16_bf16 v[73:80], v[25:32], v[1:8], v[73:80]
	s_waitcnt lgkmcnt(0)
	s_delay_alu instid0(VALU_DEP_1) | instskip(NEXT) | instid1(VALU_DEP_1)
	v_wmma_f32_16x16x16_bf16 v[73:80], v[17:24], v[41:48], v[73:80]
	v_and_b32_e32 v1, 0x7f800000, v73
	s_delay_alu instid0(VALU_DEP_1) | instskip(SKIP_1) | instid1(SALU_CYCLE_1)
	v_cmp_ne_u32_e32 vcc_lo, 0x7f800000, v1
                                        ; implicit-def: $vgpr1
	s_and_saveexec_b32 s3, vcc_lo
	s_xor_b32 s3, exec_lo, s3
; %bb.81:
	v_bfe_u32 v1, v73, 16, 1
	s_delay_alu instid0(VALU_DEP_1)
	v_add3_u32 v1, v73, v1, 0x7fff
; %bb.82:
	s_and_not1_saveexec_b32 s3, s3
; %bb.83:
	v_and_b32_e32 v1, 0xffff, v73
	v_or_b32_e32 v2, 0x10000, v73
	s_delay_alu instid0(VALU_DEP_2) | instskip(NEXT) | instid1(VALU_DEP_2)
	v_cmp_eq_u32_e32 vcc_lo, 0, v1
	v_cndmask_b32_e32 v1, v2, v73, vcc_lo
; %bb.84:
	s_or_b32 exec_lo, exec_lo, s3
	v_and_b32_e32 v2, 0x7f800000, v74
	s_delay_alu instid0(VALU_DEP_1) | instskip(SKIP_1) | instid1(SALU_CYCLE_1)
	v_cmp_ne_u32_e32 vcc_lo, 0x7f800000, v2
                                        ; implicit-def: $vgpr2
	s_and_saveexec_b32 s3, vcc_lo
	s_xor_b32 s3, exec_lo, s3
; %bb.85:
	v_bfe_u32 v2, v74, 16, 1
	s_delay_alu instid0(VALU_DEP_1)
	v_add3_u32 v2, v74, v2, 0x7fff
; %bb.86:
	s_and_not1_saveexec_b32 s3, s3
; %bb.87:
	v_and_b32_e32 v2, 0xffff, v74
	v_or_b32_e32 v3, 0x10000, v74
	s_delay_alu instid0(VALU_DEP_2) | instskip(NEXT) | instid1(VALU_DEP_2)
	v_cmp_eq_u32_e32 vcc_lo, 0, v2
	v_cndmask_b32_e32 v2, v3, v74, vcc_lo
; %bb.88:
	s_or_b32 exec_lo, exec_lo, s3
	v_and_b32_e32 v3, 0x7f800000, v75
	s_delay_alu instid0(VALU_DEP_1) | instskip(SKIP_1) | instid1(SALU_CYCLE_1)
	v_cmp_ne_u32_e32 vcc_lo, 0x7f800000, v3
                                        ; implicit-def: $vgpr3
	s_and_saveexec_b32 s3, vcc_lo
	s_xor_b32 s3, exec_lo, s3
; %bb.89:
	v_bfe_u32 v3, v75, 16, 1
	s_delay_alu instid0(VALU_DEP_1)
	v_add3_u32 v3, v75, v3, 0x7fff
; %bb.90:
	s_and_not1_saveexec_b32 s3, s3
; %bb.91:
	v_and_b32_e32 v3, 0xffff, v75
	v_or_b32_e32 v4, 0x10000, v75
	s_delay_alu instid0(VALU_DEP_2) | instskip(NEXT) | instid1(VALU_DEP_2)
	v_cmp_eq_u32_e32 vcc_lo, 0, v3
	v_cndmask_b32_e32 v3, v4, v75, vcc_lo
; %bb.92:
	s_or_b32 exec_lo, exec_lo, s3
	v_and_b32_e32 v4, 0x7f800000, v76
	s_delay_alu instid0(VALU_DEP_1) | instskip(SKIP_1) | instid1(SALU_CYCLE_1)
	v_cmp_ne_u32_e32 vcc_lo, 0x7f800000, v4
                                        ; implicit-def: $vgpr4
	s_and_saveexec_b32 s3, vcc_lo
	s_xor_b32 s3, exec_lo, s3
; %bb.93:
	v_bfe_u32 v4, v76, 16, 1
	s_delay_alu instid0(VALU_DEP_1)
	v_add3_u32 v4, v76, v4, 0x7fff
; %bb.94:
	s_and_not1_saveexec_b32 s3, s3
; %bb.95:
	v_and_b32_e32 v4, 0xffff, v76
	v_or_b32_e32 v5, 0x10000, v76
	s_delay_alu instid0(VALU_DEP_2) | instskip(NEXT) | instid1(VALU_DEP_2)
	v_cmp_eq_u32_e32 vcc_lo, 0, v4
	v_cndmask_b32_e32 v4, v5, v76, vcc_lo
; %bb.96:
	s_or_b32 exec_lo, exec_lo, s3
	v_and_b32_e32 v5, 0x7f800000, v77
	s_delay_alu instid0(VALU_DEP_1) | instskip(SKIP_1) | instid1(SALU_CYCLE_1)
	v_cmp_ne_u32_e32 vcc_lo, 0x7f800000, v5
                                        ; implicit-def: $vgpr5
	s_and_saveexec_b32 s3, vcc_lo
	s_xor_b32 s3, exec_lo, s3
; %bb.97:
	v_bfe_u32 v5, v77, 16, 1
	s_delay_alu instid0(VALU_DEP_1)
	v_add3_u32 v5, v77, v5, 0x7fff
; %bb.98:
	s_and_not1_saveexec_b32 s3, s3
; %bb.99:
	v_and_b32_e32 v5, 0xffff, v77
	v_or_b32_e32 v6, 0x10000, v77
	s_delay_alu instid0(VALU_DEP_2) | instskip(NEXT) | instid1(VALU_DEP_2)
	v_cmp_eq_u32_e32 vcc_lo, 0, v5
	v_cndmask_b32_e32 v5, v6, v77, vcc_lo
; %bb.100:
	s_or_b32 exec_lo, exec_lo, s3
	v_and_b32_e32 v6, 0x7f800000, v78
	s_delay_alu instid0(VALU_DEP_1) | instskip(SKIP_1) | instid1(SALU_CYCLE_1)
	v_cmp_ne_u32_e32 vcc_lo, 0x7f800000, v6
                                        ; implicit-def: $vgpr6
	s_and_saveexec_b32 s3, vcc_lo
	s_xor_b32 s3, exec_lo, s3
; %bb.101:
	v_bfe_u32 v6, v78, 16, 1
	s_delay_alu instid0(VALU_DEP_1)
	v_add3_u32 v6, v78, v6, 0x7fff
; %bb.102:
	s_and_not1_saveexec_b32 s3, s3
; %bb.103:
	v_and_b32_e32 v6, 0xffff, v78
	v_or_b32_e32 v7, 0x10000, v78
	s_delay_alu instid0(VALU_DEP_2) | instskip(NEXT) | instid1(VALU_DEP_2)
	v_cmp_eq_u32_e32 vcc_lo, 0, v6
	v_cndmask_b32_e32 v6, v7, v78, vcc_lo
; %bb.104:
	s_or_b32 exec_lo, exec_lo, s3
	v_and_b32_e32 v7, 0x7f800000, v79
	s_delay_alu instid0(VALU_DEP_1) | instskip(SKIP_1) | instid1(SALU_CYCLE_1)
	v_cmp_ne_u32_e32 vcc_lo, 0x7f800000, v7
                                        ; implicit-def: $vgpr7
	s_and_saveexec_b32 s3, vcc_lo
	s_xor_b32 s3, exec_lo, s3
; %bb.105:
	v_bfe_u32 v7, v79, 16, 1
	s_delay_alu instid0(VALU_DEP_1)
	v_add3_u32 v7, v79, v7, 0x7fff
; %bb.106:
	s_and_not1_saveexec_b32 s3, s3
; %bb.107:
	v_and_b32_e32 v7, 0xffff, v79
	v_or_b32_e32 v8, 0x10000, v79
	s_delay_alu instid0(VALU_DEP_2) | instskip(NEXT) | instid1(VALU_DEP_2)
	v_cmp_eq_u32_e32 vcc_lo, 0, v7
	v_cndmask_b32_e32 v7, v8, v79, vcc_lo
; %bb.108:
	s_or_b32 exec_lo, exec_lo, s3
	v_and_b32_e32 v8, 0x7f800000, v80
	s_delay_alu instid0(VALU_DEP_1) | instskip(SKIP_1) | instid1(SALU_CYCLE_1)
	v_cmp_ne_u32_e32 vcc_lo, 0x7f800000, v8
                                        ; implicit-def: $vgpr8
	s_and_saveexec_b32 s3, vcc_lo
	s_xor_b32 s3, exec_lo, s3
; %bb.109:
	v_bfe_u32 v8, v80, 16, 1
	s_delay_alu instid0(VALU_DEP_1)
	v_add3_u32 v8, v80, v8, 0x7fff
                                        ; implicit-def: $vgpr73_vgpr74_vgpr75_vgpr76_vgpr77_vgpr78_vgpr79_vgpr80
; %bb.110:
	s_and_not1_saveexec_b32 s3, s3
; %bb.111:
	v_and_b32_e32 v8, 0xffff, v80
	v_or_b32_e32 v9, 0x10000, v80
	s_delay_alu instid0(VALU_DEP_2) | instskip(NEXT) | instid1(VALU_DEP_2)
	v_cmp_eq_u32_e32 vcc_lo, 0, v8
	v_cndmask_b32_e32 v8, v9, v80, vcc_lo
; %bb.112:
	s_or_b32 exec_lo, exec_lo, s3
	s_delay_alu instid0(VALU_DEP_1)
	v_perm_b32 v7, v8, v7, 0x7060302
	v_perm_b32 v6, v6, v5, 0x7060302
	;; [unrolled: 1-line block ×4, first 2 shown]
	v_lshl_or_b32 v9, v83, 4, v90
	s_barrier
	buffer_gl0_inv
	v_cmp_eq_u32_e32 vcc_lo, 1, v87
	ds_store_b128 v9, v[4:7]
	s_waitcnt lgkmcnt(0)
	s_barrier
	buffer_gl0_inv
	ds_load_b128 v[1:4], v90
	ds_load_b128 v[5:8], v90 offset:16
	v_cmp_eq_u32_e64 s4, 2, v87
	v_cmp_eq_u32_e64 s3, 1, v88
	;; [unrolled: 1-line block ×5, first 2 shown]
	s_waitcnt lgkmcnt(1)
	v_lshrrev_b32_e32 v10, 16, v1
	s_waitcnt lgkmcnt(0)
	v_lshrrev_b32_e32 v14, 16, v5
	v_lshrrev_b32_e32 v15, 16, v6
	;; [unrolled: 1-line block ×4, first 2 shown]
	v_cndmask_b32_e64 v20, v1, v10, s3
	v_cndmask_b32_e32 v19, v5, v14, vcc_lo
	v_cndmask_b32_e64 v21, v5, v14, s3
	v_lshrrev_b32_e32 v16, 16, v7
	v_cmp_eq_u32_e64 s3, 1, v86
	v_lshrrev_b32_e32 v13, 16, v4
	v_cndmask_b32_e64 v19, v19, v6, s4
	v_lshrrev_b32_e32 v17, 16, v8
	s_delay_alu instid0(VALU_DEP_4) | instskip(SKIP_1) | instid1(VALU_DEP_4)
	v_cndmask_b32_e64 v22, v1, v10, s3
	v_cndmask_b32_e64 v23, v5, v14, s3
	;; [unrolled: 1-line block ×3, first 2 shown]
	v_cndmask_b32_e32 v18, v1, v10, vcc_lo
	v_cmp_eq_u32_e32 vcc_lo, 2, v88
	v_cmp_eq_u32_e64 s3, 2, v89
	v_cndmask_b32_e64 v22, v22, v2, s7
	v_cndmask_b32_e32 v20, v20, v2, vcc_lo
	v_cndmask_b32_e32 v21, v21, v6, vcc_lo
	v_cmp_eq_u32_e32 vcc_lo, 4, v87
	v_cndmask_b32_e32 v19, v19, v7, vcc_lo
	v_cndmask_b32_e64 v18, v18, v2, s4
	v_cmp_eq_u32_e64 s4, 3, v88
	s_delay_alu instid0(VALU_DEP_2) | instskip(NEXT) | instid1(VALU_DEP_2)
	v_cndmask_b32_e64 v18, v18, v11, s5
	v_cndmask_b32_e64 v21, v21, v15, s4
	v_cmp_eq_u32_e64 s5, 5, v87
	s_delay_alu instid0(VALU_DEP_3) | instskip(SKIP_1) | instid1(VALU_DEP_3)
	v_cndmask_b32_e32 v18, v18, v3, vcc_lo
	v_cmp_eq_u32_e32 vcc_lo, 4, v88
	v_cndmask_b32_e64 v19, v19, v16, s5
	s_delay_alu instid0(VALU_DEP_3) | instskip(SKIP_4) | instid1(VALU_DEP_3)
	v_cndmask_b32_e64 v18, v18, v12, s5
	v_cndmask_b32_e32 v21, v21, v7, vcc_lo
	v_cndmask_b32_e64 v20, v20, v11, s4
	v_cmp_eq_u32_e64 s4, 5, v88
	v_cmp_eq_u32_e64 s5, 6, v87
	v_cndmask_b32_e32 v20, v20, v3, vcc_lo
	s_delay_alu instid0(VALU_DEP_3) | instskip(SKIP_1) | instid1(VALU_DEP_4)
	v_cndmask_b32_e64 v21, v21, v16, s4
	v_cmp_eq_u32_e32 vcc_lo, 6, v88
	v_cndmask_b32_e64 v18, v18, v4, s5
	v_cndmask_b32_e64 v19, v19, v8, s5
	;; [unrolled: 1-line block ×3, first 2 shown]
	v_cmp_eq_u32_e64 s4, 1, v89
	v_cmp_eq_u32_e64 s5, 7, v87
	s_delay_alu instid0(VALU_DEP_3) | instskip(NEXT) | instid1(VALU_DEP_3)
	v_cndmask_b32_e32 v20, v20, v4, vcc_lo
	v_cndmask_b32_e64 v1, v1, v10, s4
	v_cndmask_b32_e64 v5, v5, v14, s4
	v_cmp_eq_u32_e64 s4, 3, v86
	v_cndmask_b32_e64 v14, v23, v6, s7
	v_cmp_eq_u32_e64 s7, 3, v89
	v_cndmask_b32_e64 v1, v1, v2, s3
	v_cndmask_b32_e64 v2, v5, v6, s3
	;; [unrolled: 1-line block ×3, first 2 shown]
	v_cmp_eq_u32_e64 s3, 4, v86
	v_cndmask_b32_e64 v6, v14, v15, s4
	v_cndmask_b32_e64 v1, v1, v11, s7
	v_cmp_eq_u32_e64 s4, 4, v89
	v_cndmask_b32_e64 v2, v2, v15, s7
	v_cndmask_b32_e64 v5, v10, v3, s3
	;; [unrolled: 3-line block ×3, first 2 shown]
	v_cndmask_b32_e64 v2, v2, v7, s4
	v_cmp_eq_u32_e64 s3, 5, v89
	v_cndmask_b32_e64 v5, v5, v12, s7
	v_cmp_eq_u32_e64 s4, 6, v86
	;; [unrolled: 2-line block ×3, first 2 shown]
	v_cndmask_b32_e64 v1, v1, v12, s3
	v_cndmask_b32_e64 v2, v2, v16, s3
	;; [unrolled: 1-line block ×4, first 2 shown]
	v_cmp_eq_u32_e64 s3, 7, v89
	v_cndmask_b32_e64 v1, v1, v4, s7
	v_cndmask_b32_e64 v2, v2, v8, s7
	v_cmp_eq_u32_e64 s4, 7, v86
	v_cndmask_b32_e32 v4, v21, v8, vcc_lo
	v_cndmask_b32_e64 v18, v18, v13, s5
	v_cndmask_b32_e64 v20, v20, v13, s6
	;; [unrolled: 1-line block ×8, first 2 shown]
	s_mov_b32 s3, exec_lo
	v_perm_b32 v4, v2, v1, 0x5040100
	v_perm_b32 v3, v3, v5, 0x5040100
	;; [unrolled: 1-line block ×4, first 2 shown]
	ds_store_b128 v9, v[1:4]
	s_waitcnt lgkmcnt(0)
	s_barrier
	buffer_gl0_inv
	v_cmpx_gt_u32_e32 32, v0
	s_cbranch_execz .LBB698_2
; %bb.113:
	s_load_b64 s[4:5], s[0:1], 0x68
	v_lshlrev_b32_e32 v0, 10, v0
	v_lshlrev_b32_e32 v1, 4, v84
	s_lshl_b32 s0, s34, 7
	v_add_nc_u32_e32 v2, s31, v83
	s_mul_i32 s1, s0, s30
	s_delay_alu instid0(SALU_CYCLE_1) | instskip(SKIP_1) | instid1(VALU_DEP_2)
	s_mul_i32 s6, s1, s8
	v_and_or_b32 v0, 0x3800, v0, v1
	v_mul_lo_u32 v1, v2, s0
	s_ashr_i32 s7, s6, 31
	v_add_nc_u32_e32 v3, 2, v2
	s_lshl_b64 s[6:7], s[6:7], 1
	v_add_nc_u32_e32 v4, 4, v2
	v_add_nc_u32_e32 v5, 6, v2
	v_lshl_or_b32 v15, v83, 6, v0
	v_mul_lo_u32 v3, v3, s0
	v_ashrrev_i32_e32 v2, 31, v1
	v_mul_lo_u32 v19, v4, s0
	v_mul_lo_u32 v21, v5, s0
	s_waitcnt lgkmcnt(0)
	s_add_u32 s1, s4, s6
	s_addc_u32 s3, s5, s7
	s_lshl_b32 s4, s14, 7
	v_lshlrev_b64 v[5:6], 1, v[1:2]
	s_ashr_i32 s5, s4, 31
	v_ashrrev_i32_e32 v4, 31, v3
	s_lshl_b64 s[4:5], s[4:5], 1
	v_ashrrev_i32_e32 v20, 31, v19
	s_add_u32 s1, s1, s4
	s_addc_u32 s3, s3, s5
	v_add_co_u32 v1, vcc_lo, s1, v81
	v_add_co_ci_u32_e32 v2, vcc_lo, s3, v82, vcc_lo
	v_lshlrev_b64 v[25:26], 1, v[3:4]
	s_delay_alu instid0(VALU_DEP_3) | instskip(NEXT) | instid1(VALU_DEP_3)
	v_add_co_u32 v23, vcc_lo, v1, v5
	v_add_co_ci_u32_e32 v24, vcc_lo, v2, v6, vcc_lo
	ds_load_b128 v[3:6], v15
	ds_load_b128 v[7:10], v15 offset:128
	ds_load_b128 v[11:14], v15 offset:256
	;; [unrolled: 1-line block ×3, first 2 shown]
	v_ashrrev_i32_e32 v22, 31, v21
	v_lshlrev_b64 v[19:20], 1, v[19:20]
	v_add_co_u32 v25, vcc_lo, v1, v25
	v_add_co_ci_u32_e32 v26, vcc_lo, v2, v26, vcc_lo
	s_delay_alu instid0(VALU_DEP_4) | instskip(NEXT) | instid1(VALU_DEP_4)
	v_lshlrev_b64 v[21:22], 1, v[21:22]
	v_add_co_u32 v19, vcc_lo, v1, v19
	v_add_co_ci_u32_e32 v20, vcc_lo, v2, v20, vcc_lo
	s_delay_alu instid0(VALU_DEP_3) | instskip(NEXT) | instid1(VALU_DEP_4)
	v_add_co_u32 v21, vcc_lo, v1, v21
	v_add_co_ci_u32_e32 v22, vcc_lo, v2, v22, vcc_lo
	s_waitcnt lgkmcnt(3)
	global_store_b128 v[23:24], v[3:6], off
	s_waitcnt lgkmcnt(2)
	global_store_b128 v[25:26], v[7:10], off
	s_waitcnt lgkmcnt(1)
	global_store_b128 v[19:20], v[11:14], off
	s_waitcnt lgkmcnt(0)
	global_store_b128 v[21:22], v[15:18], off
	s_and_b32 exec_lo, exec_lo, s2
	s_cbranch_execz .LBB698_2
; %bb.114:
	ds_load_b128 v[3:6], v0 offset:512
	s_add_i32 s1, s31, 8
	s_delay_alu instid0(SALU_CYCLE_1) | instskip(NEXT) | instid1(SALU_CYCLE_1)
	s_mul_i32 s0, s1, s0
	s_ashr_i32 s1, s0, 31
	s_delay_alu instid0(SALU_CYCLE_1) | instskip(NEXT) | instid1(SALU_CYCLE_1)
	s_lshl_b64 s[0:1], s[0:1], 1
	v_add_co_u32 v0, vcc_lo, v1, s0
	v_add_co_ci_u32_e32 v1, vcc_lo, s1, v2, vcc_lo
	s_waitcnt lgkmcnt(0)
	global_store_b128 v[0:1], v[3:6], off
	s_nop 0
	s_sendmsg sendmsg(MSG_DEALLOC_VGPRS)
	s_endpgm
	.section	.rodata,"a",@progbits
	.p2align	6, 0x0
	.amdhsa_kernel _Z39paged_attention_ll4mi_QKV_mfma16_kernelI14__hip_bfloat16S0_LN4vllm18Fp8KVCacheDataTypeE0EhLi32ELi128ELi256ELb1ELi9EL8MFMAType0EEvPKT_PKT0_S9_ifPKiSB_SB_iPKfiiiPfSE_PS4_PT2_iSD_SD_
		.amdhsa_group_segment_fixed_size 17472
		.amdhsa_private_segment_fixed_size 0
		.amdhsa_kernarg_size 400
		.amdhsa_user_sgpr_count 13
		.amdhsa_user_sgpr_dispatch_ptr 0
		.amdhsa_user_sgpr_queue_ptr 0
		.amdhsa_user_sgpr_kernarg_segment_ptr 1
		.amdhsa_user_sgpr_dispatch_id 0
		.amdhsa_user_sgpr_private_segment_size 0
		.amdhsa_wavefront_size32 1
		.amdhsa_uses_dynamic_stack 0
		.amdhsa_enable_private_segment 0
		.amdhsa_system_sgpr_workgroup_id_x 1
		.amdhsa_system_sgpr_workgroup_id_y 1
		.amdhsa_system_sgpr_workgroup_id_z 1
		.amdhsa_system_sgpr_workgroup_info 0
		.amdhsa_system_vgpr_workitem_id 0
		.amdhsa_next_free_vgpr 157
		.amdhsa_next_free_sgpr 38
		.amdhsa_reserve_vcc 1
		.amdhsa_float_round_mode_32 0
		.amdhsa_float_round_mode_16_64 0
		.amdhsa_float_denorm_mode_32 3
		.amdhsa_float_denorm_mode_16_64 3
		.amdhsa_dx10_clamp 1
		.amdhsa_ieee_mode 1
		.amdhsa_fp16_overflow 0
		.amdhsa_workgroup_processor_mode 1
		.amdhsa_memory_ordered 1
		.amdhsa_forward_progress 0
		.amdhsa_shared_vgpr_count 0
		.amdhsa_exception_fp_ieee_invalid_op 0
		.amdhsa_exception_fp_denorm_src 0
		.amdhsa_exception_fp_ieee_div_zero 0
		.amdhsa_exception_fp_ieee_overflow 0
		.amdhsa_exception_fp_ieee_underflow 0
		.amdhsa_exception_fp_ieee_inexact 0
		.amdhsa_exception_int_div_zero 0
	.end_amdhsa_kernel
	.section	.text._Z39paged_attention_ll4mi_QKV_mfma16_kernelI14__hip_bfloat16S0_LN4vllm18Fp8KVCacheDataTypeE0EhLi32ELi128ELi256ELb1ELi9EL8MFMAType0EEvPKT_PKT0_S9_ifPKiSB_SB_iPKfiiiPfSE_PS4_PT2_iSD_SD_,"axG",@progbits,_Z39paged_attention_ll4mi_QKV_mfma16_kernelI14__hip_bfloat16S0_LN4vllm18Fp8KVCacheDataTypeE0EhLi32ELi128ELi256ELb1ELi9EL8MFMAType0EEvPKT_PKT0_S9_ifPKiSB_SB_iPKfiiiPfSE_PS4_PT2_iSD_SD_,comdat
.Lfunc_end698:
	.size	_Z39paged_attention_ll4mi_QKV_mfma16_kernelI14__hip_bfloat16S0_LN4vllm18Fp8KVCacheDataTypeE0EhLi32ELi128ELi256ELb1ELi9EL8MFMAType0EEvPKT_PKT0_S9_ifPKiSB_SB_iPKfiiiPfSE_PS4_PT2_iSD_SD_, .Lfunc_end698-_Z39paged_attention_ll4mi_QKV_mfma16_kernelI14__hip_bfloat16S0_LN4vllm18Fp8KVCacheDataTypeE0EhLi32ELi128ELi256ELb1ELi9EL8MFMAType0EEvPKT_PKT0_S9_ifPKiSB_SB_iPKfiiiPfSE_PS4_PT2_iSD_SD_
                                        ; -- End function
	.section	.AMDGPU.csdata,"",@progbits
; Kernel info:
; codeLenInByte = 9844
; NumSgprs: 40
; NumVgprs: 157
; ScratchSize: 0
; MemoryBound: 0
; FloatMode: 240
; IeeeMode: 1
; LDSByteSize: 17472 bytes/workgroup (compile time only)
; SGPRBlocks: 4
; VGPRBlocks: 19
; NumSGPRsForWavesPerEU: 40
; NumVGPRsForWavesPerEU: 157
; Occupancy: 9
; WaveLimiterHint : 1
; COMPUTE_PGM_RSRC2:SCRATCH_EN: 0
; COMPUTE_PGM_RSRC2:USER_SGPR: 13
; COMPUTE_PGM_RSRC2:TRAP_HANDLER: 0
; COMPUTE_PGM_RSRC2:TGID_X_EN: 1
; COMPUTE_PGM_RSRC2:TGID_Y_EN: 1
; COMPUTE_PGM_RSRC2:TGID_Z_EN: 1
; COMPUTE_PGM_RSRC2:TIDIG_COMP_CNT: 0
	.section	.text._Z39paged_attention_ll4mi_QKV_mfma16_kernelI14__hip_bfloat16S0_LN4vllm18Fp8KVCacheDataTypeE0EhLi32ELi128ELi256ELb1ELi10EL8MFMAType0EEvPKT_PKT0_S9_ifPKiSB_SB_iPKfiiiPfSE_PS4_PT2_iSD_SD_,"axG",@progbits,_Z39paged_attention_ll4mi_QKV_mfma16_kernelI14__hip_bfloat16S0_LN4vllm18Fp8KVCacheDataTypeE0EhLi32ELi128ELi256ELb1ELi10EL8MFMAType0EEvPKT_PKT0_S9_ifPKiSB_SB_iPKfiiiPfSE_PS4_PT2_iSD_SD_,comdat
	.protected	_Z39paged_attention_ll4mi_QKV_mfma16_kernelI14__hip_bfloat16S0_LN4vllm18Fp8KVCacheDataTypeE0EhLi32ELi128ELi256ELb1ELi10EL8MFMAType0EEvPKT_PKT0_S9_ifPKiSB_SB_iPKfiiiPfSE_PS4_PT2_iSD_SD_ ; -- Begin function _Z39paged_attention_ll4mi_QKV_mfma16_kernelI14__hip_bfloat16S0_LN4vllm18Fp8KVCacheDataTypeE0EhLi32ELi128ELi256ELb1ELi10EL8MFMAType0EEvPKT_PKT0_S9_ifPKiSB_SB_iPKfiiiPfSE_PS4_PT2_iSD_SD_
	.globl	_Z39paged_attention_ll4mi_QKV_mfma16_kernelI14__hip_bfloat16S0_LN4vllm18Fp8KVCacheDataTypeE0EhLi32ELi128ELi256ELb1ELi10EL8MFMAType0EEvPKT_PKT0_S9_ifPKiSB_SB_iPKfiiiPfSE_PS4_PT2_iSD_SD_
	.p2align	8
	.type	_Z39paged_attention_ll4mi_QKV_mfma16_kernelI14__hip_bfloat16S0_LN4vllm18Fp8KVCacheDataTypeE0EhLi32ELi128ELi256ELb1ELi10EL8MFMAType0EEvPKT_PKT0_S9_ifPKiSB_SB_iPKfiiiPfSE_PS4_PT2_iSD_SD_,@function
_Z39paged_attention_ll4mi_QKV_mfma16_kernelI14__hip_bfloat16S0_LN4vllm18Fp8KVCacheDataTypeE0EhLi32ELi128ELi256ELb1ELi10EL8MFMAType0EEvPKT_PKT0_S9_ifPKiSB_SB_iPKfiiiPfSE_PS4_PT2_iSD_SD_: ; @_Z39paged_attention_ll4mi_QKV_mfma16_kernelI14__hip_bfloat16S0_LN4vllm18Fp8KVCacheDataTypeE0EhLi32ELi128ELi256ELb1ELi10EL8MFMAType0EEvPKT_PKT0_S9_ifPKiSB_SB_iPKfiiiPfSE_PS4_PT2_iSD_SD_
; %bb.0:
	s_load_b64 s[2:3], s[0:1], 0x30
	s_mov_b32 s30, s13
	s_waitcnt lgkmcnt(0)
	s_cmp_lg_u64 s[2:3], 0
	s_cselect_b32 s6, -1, 0
	s_ashr_i32 s31, s13, 31
	s_cmp_eq_u64 s[2:3], 0
	s_cbranch_scc1 .LBB699_3
; %bb.1:
	s_lshl_b64 s[4:5], s[30:31], 2
	s_delay_alu instid0(SALU_CYCLE_1) | instskip(SKIP_4) | instid1(SALU_CYCLE_1)
	s_add_u32 s4, s2, s4
	s_addc_u32 s5, s3, s5
	s_load_b64 s[4:5], s[4:5], 0x0
	s_waitcnt lgkmcnt(0)
	s_sub_i32 s4, s5, s4
	s_cmp_eq_u32 s4, 1
	s_cselect_b32 s4, -1, 0
	s_delay_alu instid0(SALU_CYCLE_1)
	s_and_not1_b32 vcc_lo, exec_lo, s4
	s_cbranch_vccz .LBB699_4
.LBB699_2:
	s_endpgm
.LBB699_3:
.LBB699_4:
	s_load_b64 s[8:9], s[0:1], 0x28
	s_lshl_b64 s[4:5], s[30:31], 2
	s_waitcnt lgkmcnt(0)
	s_add_u32 s8, s8, s4
	s_addc_u32 s9, s9, s5
	s_lshl_b32 s12, s14, 8
	s_load_b32 s17, s[8:9], 0x0
	s_waitcnt lgkmcnt(0)
	s_cmp_ge_i32 s12, s17
	s_cbranch_scc1 .LBB699_2
; %bb.5:
	s_and_not1_b32 vcc_lo, exec_lo, s6
	s_cbranch_vccnz .LBB699_7
; %bb.6:
	s_add_u32 s2, s2, s4
	s_addc_u32 s3, s3, s5
	s_load_b32 s13, s[2:3], 0x0
	s_branch .LBB699_8
.LBB699_7:
	s_mov_b32 s13, s30
.LBB699_8:
	s_clause 0x2
	s_load_b128 s[8:11], s[0:1], 0x8
	s_load_b64 s[2:3], s[0:1], 0x20
	s_load_b128 s[4:7], s[0:1], 0x48
	v_and_b32_e32 v73, 15, v0
	s_waitcnt lgkmcnt(0)
	s_mov_b32 s7, exec_lo
	s_delay_alu instid0(VALU_DEP_1)
	v_lshlrev_b32_e32 v1, 3, v73
	v_cmpx_lt_u32_e32 0x9f, v0
	s_xor_b32 s7, exec_lo, s7
; %bb.9:
	v_mov_b32_e32 v2, 0
; %bb.10:
	s_or_saveexec_b32 s7, s7
	v_lshrrev_b32_e32 v74, 5, v0
	v_and_b32_e32 v75, 31, v0
	v_and_b32_e32 v84, 1, v0
	v_bfe_u32 v83, v0, 4, 1
	s_mul_i32 s29, s15, 10
	s_xor_b32 exec_lo, exec_lo, s7
	s_cbranch_execz .LBB699_12
; %bb.11:
	s_load_b64 s[18:19], s[0:1], 0x0
	v_lshl_or_b32 v7, v74, 1, v83
	s_mul_hi_i32 s21, s13, s4
	s_mul_i32 s20, s13, s4
	v_lshlrev_b32_e32 v4, 1, v1
	s_lshl_b64 s[20:21], s[20:21], 1
	v_add_lshl_u32 v2, v7, s29, 7
	v_lshlrev_b32_e32 v7, 6, v7
	v_lshlrev_b32_e32 v8, 10, v84
	s_delay_alu instid0(VALU_DEP_3) | instskip(NEXT) | instid1(VALU_DEP_1)
	v_ashrrev_i32_e32 v3, 31, v2
	v_lshlrev_b64 v[2:3], 1, v[2:3]
	s_waitcnt lgkmcnt(0)
	s_add_u32 s4, s18, s20
	s_addc_u32 s13, s19, s21
	s_delay_alu instid0(VALU_DEP_1) | instskip(NEXT) | instid1(VALU_DEP_2)
	v_add_co_u32 v2, vcc_lo, s4, v2
	v_add_co_ci_u32_e32 v3, vcc_lo, s13, v3, vcc_lo
	s_delay_alu instid0(VALU_DEP_2) | instskip(NEXT) | instid1(VALU_DEP_2)
	v_add_co_u32 v2, vcc_lo, v2, v4
	v_add_co_ci_u32_e32 v3, vcc_lo, 0, v3, vcc_lo
	global_load_b128 v[3:6], v[2:3], off
	v_lshlrev_b32_e32 v2, 10, v73
	s_delay_alu instid0(VALU_DEP_1) | instskip(NEXT) | instid1(VALU_DEP_1)
	v_and_b32_e32 v2, 0x3800, v2
	v_or3_b32 v7, v2, v8, v7
	v_mov_b32_e32 v2, 0
	s_waitcnt vmcnt(0)
	ds_store_b128 v7, v[3:6]
.LBB699_12:
	s_or_b32 exec_lo, exec_lo, s7
	v_add_nc_u32_e32 v80, -10, v73
	v_and_b32_e32 v3, 0xef, v0
	s_add_i32 s4, s17, 31
	s_clause 0x1
	s_load_b32 s7, s[0:1], 0x38
	s_load_b32 s18, s[0:1], 0x1c
	s_ashr_i32 s13, s4, 31
	v_add_nc_u32_e32 v3, s12, v3
	s_lshr_b32 s13, s13, 27
	s_waitcnt lgkmcnt(0)
	s_add_i32 s4, s4, s13
	s_barrier
	v_ashrrev_i32_e32 v4, 31, v3
	v_cmp_gt_i32_e32 vcc_lo, s17, v3
	s_ashr_i32 s4, s4, 5
	buffer_gl0_inv
	s_add_i32 s4, s4, -1
	v_lshrrev_b32_e32 v5, 27, v4
	v_or_b32_e32 v4, 16, v3
	v_lshlrev_b64 v[81:82], 1, v[1:2]
	s_delay_alu instid0(VALU_DEP_3) | instskip(NEXT) | instid1(VALU_DEP_3)
	v_add_nc_u32_e32 v6, v3, v5
	v_add_nc_u32_e32 v5, v4, v5
	s_mul_i32 s20, s30, s7
	s_delay_alu instid0(SALU_CYCLE_1) | instskip(NEXT) | instid1(VALU_DEP_2)
	s_ashr_i32 s21, s20, 31
	v_ashrrev_i32_e32 v6, 5, v6
	s_delay_alu instid0(VALU_DEP_2) | instskip(SKIP_1) | instid1(SALU_CYCLE_1)
	v_ashrrev_i32_e32 v5, 5, v5
	s_lshl_b64 s[20:21], s[20:21], 2
	s_add_u32 s7, s2, s20
	s_delay_alu instid0(VALU_DEP_2) | instskip(SKIP_3) | instid1(VALU_DEP_2)
	v_cndmask_b32_e32 v3, s4, v6, vcc_lo
	v_cmp_gt_i32_e32 vcc_lo, s17, v4
	s_addc_u32 s13, s3, s21
	s_mul_i32 s2, s15, s6
	v_ashrrev_i32_e32 v4, 31, v3
	v_cndmask_b32_e32 v5, s4, v5, vcc_lo
	s_ashr_i32 s3, s2, 31
	s_delay_alu instid0(SALU_CYCLE_1) | instskip(NEXT) | instid1(VALU_DEP_2)
	s_lshl_b64 s[2:3], s[2:3], 1
	v_lshlrev_b64 v[3:4], 2, v[3:4]
	s_delay_alu instid0(VALU_DEP_2) | instskip(SKIP_3) | instid1(VALU_DEP_1)
	v_ashrrev_i32_e32 v6, 31, v5
	s_add_u32 s6, s8, s2
	s_addc_u32 s15, s9, s3
	s_lshl_b32 s8, s14, 3
	v_lshlrev_b64 v[5:6], 2, v[5:6]
	v_add_co_u32 v3, vcc_lo, s7, v3
	v_add_co_ci_u32_e32 v4, vcc_lo, s13, v4, vcc_lo
	s_ashr_i32 s9, s8, 31
	s_delay_alu instid0(VALU_DEP_3) | instskip(NEXT) | instid1(VALU_DEP_4)
	v_add_co_u32 v5, vcc_lo, s7, v5
	v_add_co_ci_u32_e32 v6, vcc_lo, s13, v6, vcc_lo
	s_clause 0x1
	global_load_b32 v7, v[3:4], off
	global_load_b32 v8, v[5:6], off
	s_lshl_b64 s[8:9], s[8:9], 2
	s_delay_alu instid0(SALU_CYCLE_1) | instskip(SKIP_2) | instid1(SALU_CYCLE_1)
	s_add_u32 s8, s7, s8
	s_addc_u32 s9, s13, s9
	s_or_b32 s16, s12, 32
	s_ashr_i32 s19, s16, 5
	s_cmp_lt_i32 s16, s17
	s_cselect_b32 s20, s19, s4
	s_delay_alu instid0(SALU_CYCLE_1) | instskip(NEXT) | instid1(SALU_CYCLE_1)
	s_ashr_i32 s21, s20, 31
	s_lshl_b64 s[20:21], s[20:21], 2
	s_delay_alu instid0(SALU_CYCLE_1) | instskip(SKIP_2) | instid1(SALU_CYCLE_1)
	s_add_u32 s20, s7, s20
	s_addc_u32 s21, s13, s21
	s_or_b32 s16, s12, 64
	s_ashr_i32 s19, s16, 5
	s_cmp_lt_i32 s16, s17
	s_cselect_b32 s22, s19, s4
	s_delay_alu instid0(SALU_CYCLE_1) | instskip(NEXT) | instid1(SALU_CYCLE_1)
	s_ashr_i32 s23, s22, 31
	s_lshl_b64 s[22:23], s[22:23], 2
	s_delay_alu instid0(SALU_CYCLE_1) | instskip(SKIP_2) | instid1(SALU_CYCLE_1)
	s_add_u32 s22, s7, s22
	s_addc_u32 s23, s13, s23
	s_or_b32 s16, s12, 0x60
	s_ashr_i32 s19, s16, 5
	s_cmp_lt_i32 s16, s17
	s_cselect_b32 s24, s19, s4
	s_delay_alu instid0(SALU_CYCLE_1) | instskip(NEXT) | instid1(SALU_CYCLE_1)
	s_ashr_i32 s25, s24, 31
	s_lshl_b64 s[24:25], s[24:25], 2
	s_delay_alu instid0(SALU_CYCLE_1) | instskip(SKIP_2) | instid1(SALU_CYCLE_1)
	s_add_u32 s24, s7, s24
	s_addc_u32 s25, s13, s25
	s_or_b32 s16, s12, 0x80
	s_ashr_i32 s19, s16, 5
	s_cmp_lt_i32 s16, s17
	s_cselect_b32 s26, s19, s4
	s_delay_alu instid0(SALU_CYCLE_1) | instskip(NEXT) | instid1(SALU_CYCLE_1)
	s_ashr_i32 s27, s26, 31
	s_lshl_b64 s[26:27], s[26:27], 2
	s_delay_alu instid0(SALU_CYCLE_1) | instskip(SKIP_2) | instid1(SALU_CYCLE_1)
	s_add_u32 s26, s7, s26
	s_addc_u32 s27, s13, s27
	s_or_b32 s16, s12, 0xa0
	s_ashr_i32 s19, s16, 5
	s_cmp_lt_i32 s16, s17
	s_cselect_b32 s34, s19, s4
	s_delay_alu instid0(SALU_CYCLE_1) | instskip(NEXT) | instid1(SALU_CYCLE_1)
	s_ashr_i32 s35, s34, 31
	s_lshl_b64 s[34:35], s[34:35], 2
	s_delay_alu instid0(SALU_CYCLE_1)
	s_add_u32 s34, s7, s34
	s_addc_u32 s35, s13, s35
	s_clause 0x5
	s_load_b32 s16, s[8:9], 0x0
	s_load_b32 s19, s[20:21], 0x0
	;; [unrolled: 1-line block ×6, first 2 shown]
	s_mov_b32 s20, 0
	s_delay_alu instid0(SALU_CYCLE_1)
	s_mov_b32 s27, s20
	s_mov_b32 s24, s20
	;; [unrolled: 1-line block ×7, first 2 shown]
	v_dual_mov_b32 v108, s27 :: v_dual_mov_b32 v105, s24
	v_dual_mov_b32 v107, s26 :: v_dual_mov_b32 v106, s25
	;; [unrolled: 1-line block ×4, first 2 shown]
	s_waitcnt lgkmcnt(0)
	s_mul_hi_i32 s21, s16, s5
	s_mul_i32 s20, s16, s5
	s_mul_hi_i32 s23, s19, s5
	s_mul_i32 s22, s19, s5
	;; [unrolled: 2-line block ×5, first 2 shown]
	s_waitcnt vmcnt(1)
	v_mad_i64_i32 v[3:4], null, v7, s5, 0
	s_waitcnt vmcnt(0)
	v_mad_i64_i32 v[5:6], null, v8, s5, 0
	s_delay_alu instid0(VALU_DEP_2) | instskip(NEXT) | instid1(VALU_DEP_2)
	v_lshlrev_b64 v[3:4], 1, v[3:4]
	v_lshlrev_b64 v[1:2], 1, v[5:6]
	s_delay_alu instid0(VALU_DEP_2) | instskip(NEXT) | instid1(VALU_DEP_3)
	v_add_co_u32 v3, vcc_lo, s6, v3
	v_add_co_ci_u32_e32 v4, vcc_lo, s15, v4, vcc_lo
	s_delay_alu instid0(VALU_DEP_3) | instskip(NEXT) | instid1(VALU_DEP_4)
	v_add_co_u32 v1, vcc_lo, s6, v1
	v_add_co_ci_u32_e32 v2, vcc_lo, s15, v2, vcc_lo
	s_delay_alu instid0(VALU_DEP_4) | instskip(NEXT) | instid1(VALU_DEP_4)
	v_add_co_u32 v65, vcc_lo, v3, v81
	v_add_co_ci_u32_e32 v66, vcc_lo, v4, v82, vcc_lo
	s_delay_alu instid0(VALU_DEP_4) | instskip(NEXT) | instid1(VALU_DEP_4)
	v_add_co_u32 v76, vcc_lo, v1, v81
	v_add_co_ci_u32_e32 v77, vcc_lo, v2, v82, vcc_lo
	s_clause 0xf
	global_load_b128 v[1:4], v[65:66], off
	global_load_b128 v[5:8], v[65:66], off offset:512
	global_load_b128 v[9:12], v[76:77], off offset:256
	;; [unrolled: 1-line block ×15, first 2 shown]
	v_add_co_u32 v78, vcc_lo, 0x1000, v65
	v_add_co_ci_u32_e32 v79, vcc_lo, 0, v66, vcc_lo
	v_cmp_gt_u32_e32 vcc_lo, 10, v73
	s_clause 0x1
	global_load_b128 v[65:68], v[78:79], off
	global_load_b128 v[69:72], v[78:79], off offset:512
	s_or_b32 s6, s12, 0xc0
	v_cndmask_b32_e32 v80, v80, v73, vcc_lo
	v_add_co_u32 v76, vcc_lo, 0x1000, v76
	v_add_co_ci_u32_e32 v77, vcc_lo, 0, v77, vcc_lo
	s_delay_alu instid0(VALU_DEP_3)
	v_lshlrev_b32_e32 v80, 6, v80
	ds_load_b128 v[85:88], v80
	ds_load_b128 v[89:92], v80 offset:1024
	s_clause 0x1
	global_load_b128 v[93:96], v[76:77], off offset:256
	global_load_b128 v[97:100], v[76:77], off offset:768
	ds_load_b128 v[109:112], v80 offset:2048
	ds_load_b128 v[113:116], v80 offset:3072
	s_ashr_i32 s8, s6, 5
	s_cmp_lt_i32 s6, s17
	s_cselect_b32 s8, s8, s4
	s_delay_alu instid0(SALU_CYCLE_1) | instskip(NEXT) | instid1(SALU_CYCLE_1)
	s_ashr_i32 s9, s8, 31
	s_lshl_b64 s[8:9], s[8:9], 2
	s_delay_alu instid0(SALU_CYCLE_1) | instskip(SKIP_2) | instid1(SALU_CYCLE_1)
	s_add_u32 s8, s7, s8
	s_addc_u32 s9, s13, s9
	s_or_b32 s6, s12, 0xe0
	s_ashr_i32 s15, s6, 5
	s_cmp_lt_i32 s6, s17
	s_cselect_b32 s24, s15, s4
	s_delay_alu instid0(SALU_CYCLE_1) | instskip(NEXT) | instid1(SALU_CYCLE_1)
	s_ashr_i32 s25, s24, 31
	s_lshl_b64 s[24:25], s[24:25], 2
	s_delay_alu instid0(SALU_CYCLE_1) | instskip(SKIP_2) | instid1(SALU_CYCLE_1)
	s_add_u32 s24, s7, s24
	s_addc_u32 s25, s13, s25
	s_add_i32 s6, s12, 0x100
	s_ashr_i32 s15, s6, 5
	s_cmp_lt_i32 s6, s17
	s_cselect_b32 s36, s15, s4
	s_delay_alu instid0(SALU_CYCLE_1) | instskip(NEXT) | instid1(SALU_CYCLE_1)
	s_ashr_i32 s37, s36, 31
	s_lshl_b64 s[36:37], s[36:37], 2
	s_delay_alu instid0(SALU_CYCLE_1)
	s_add_u32 s6, s7, s36
	s_addc_u32 s7, s13, s37
	s_add_u32 s4, s10, s2
	s_addc_u32 s19, s11, s3
	s_lshl_b64 s[2:3], s[20:21], 1
	s_lshl_b64 s[10:11], s[26:27], 1
	;; [unrolled: 1-line block ×3, first 2 shown]
	s_waitcnt vmcnt(18) lgkmcnt(2)
	v_wmma_f32_16x16x16_bf16 v[117:124], v[1:8], v[85:92], v[101:108]
	s_waitcnt vmcnt(16)
	v_wmma_f32_16x16x16_bf16 v[101:108], v[9:16], v[85:92], v[101:108]
	s_clause 0x3
	global_load_b128 v[1:4], v[78:79], off offset:1024
	global_load_b128 v[5:8], v[78:79], off offset:1536
	;; [unrolled: 1-line block ×4, first 2 shown]
	s_waitcnt vmcnt(18) lgkmcnt(0)
	v_wmma_f32_16x16x16_bf16 v[117:124], v[17:24], v[109:116], v[117:124]
	s_clause 0x1
	global_load_b128 v[17:20], v[78:79], off offset:2048
	global_load_b128 v[21:24], v[78:79], off offset:2560
	s_waitcnt vmcnt(18)
	v_wmma_f32_16x16x16_bf16 v[101:108], v[25:32], v[109:116], v[101:108]
	ds_load_b128 v[25:28], v80 offset:4096
	ds_load_b128 v[29:32], v80 offset:5120
	s_clause 0x5
	global_load_b128 v[109:112], v[76:77], off offset:2304
	global_load_b128 v[113:116], v[76:77], off offset:2816
	;; [unrolled: 1-line block ×6, first 2 shown]
	s_waitcnt vmcnt(22) lgkmcnt(0)
	v_wmma_f32_16x16x16_bf16 v[117:124], v[33:40], v[25:32], v[117:124]
	s_waitcnt vmcnt(20)
	v_wmma_f32_16x16x16_bf16 v[101:108], v[41:48], v[25:32], v[101:108]
	ds_load_b128 v[25:28], v80 offset:6144
	ds_load_b128 v[29:32], v80 offset:7168
	ds_load_b128 v[33:36], v80 offset:8192
	ds_load_b128 v[37:40], v80 offset:9216
	s_waitcnt vmcnt(18) lgkmcnt(2)
	v_wmma_f32_16x16x16_bf16 v[117:124], v[49:56], v[25:32], v[117:124]
	s_waitcnt vmcnt(16)
	v_wmma_f32_16x16x16_bf16 v[101:108], v[57:64], v[25:32], v[101:108]
	ds_load_b128 v[25:28], v80 offset:10240
	ds_load_b128 v[29:32], v80 offset:11264
	;; [unrolled: 1-line block ×6, first 2 shown]
	s_waitcnt vmcnt(14) lgkmcnt(6)
	v_wmma_f32_16x16x16_bf16 v[117:124], v[65:72], v[33:40], v[117:124]
	s_waitcnt vmcnt(12)
	v_wmma_f32_16x16x16_bf16 v[101:108], v[93:100], v[33:40], v[101:108]
	s_clause 0x2
	s_load_b32 s16, s[8:9], 0x0
	s_load_b32 s13, s[24:25], 0x0
	;; [unrolled: 1-line block ×3, first 2 shown]
	s_lshl_b64 s[6:7], s[22:23], 1
	s_mul_hi_i32 s9, s33, s5
	s_mul_i32 s8, s33, s5
	s_lshl_b64 s[22:23], s[38:39], 1
	s_lshl_b64 s[8:9], s[8:9], 1
	s_waitcnt lgkmcnt(0)
	s_mul_hi_i32 s25, s16, s5
	s_mul_i32 s24, s16, s5
	s_waitcnt vmcnt(10)
	v_wmma_f32_16x16x16_bf16 v[117:124], v[1:8], v[25:32], v[117:124]
	s_waitcnt vmcnt(8)
	v_wmma_f32_16x16x16_bf16 v[101:108], v[9:16], v[25:32], v[101:108]
	s_waitcnt vmcnt(6)
	s_delay_alu instid0(VALU_DEP_2) | instskip(SKIP_1) | instid1(VALU_DEP_2)
	v_wmma_f32_16x16x16_bf16 v[117:124], v[17:24], v[141:148], v[117:124]
	s_waitcnt vmcnt(4)
	v_wmma_f32_16x16x16_bf16 v[101:108], v[109:116], v[141:148], v[101:108]
	s_waitcnt vmcnt(2)
	s_delay_alu instid0(VALU_DEP_2) | instskip(SKIP_3) | instid1(VALU_DEP_3)
	v_wmma_f32_16x16x16_bf16 v[117:124], v[125:132], v[149:156], v[117:124]
	v_lshlrev_b32_e32 v85, 6, v73
	s_waitcnt vmcnt(0)
	v_wmma_f32_16x16x16_bf16 v[101:108], v[133:140], v[149:156], v[101:108]
	v_mul_f32_e32 v100, s18, v124
	s_delay_alu instid0(VALU_DEP_3) | instskip(SKIP_2) | instid1(VALU_DEP_3)
	v_lshl_or_b32 v41, v74, 10, v85
	v_mul_f32_e32 v99, s18, v118
	v_mul_f32_e32 v97, s18, v117
	v_add_co_u32 v76, s4, s4, v41
	s_delay_alu instid0(VALU_DEP_1) | instskip(NEXT) | instid1(VALU_DEP_2)
	v_add_co_ci_u32_e64 v77, null, s19, 0, s4
	v_add_co_u32 v41, vcc_lo, v76, s2
	s_delay_alu instid0(VALU_DEP_2)
	v_add_co_ci_u32_e32 v42, vcc_lo, s3, v77, vcc_lo
	v_add_co_u32 v33, vcc_lo, v76, s6
	v_add_co_ci_u32_e32 v34, vcc_lo, s7, v77, vcc_lo
	v_add_co_u32 v35, vcc_lo, v76, s10
	;; [unrolled: 2-line block ×5, first 2 shown]
	s_lshl_b64 s[2:3], s[24:25], 1
	v_add_co_ci_u32_e32 v6, vcc_lo, s23, v77, vcc_lo
	s_mul_hi_i32 s7, s13, s5
	s_mul_i32 s6, s13, s5
	v_add_co_u32 v17, vcc_lo, v76, s2
	v_add_co_ci_u32_e32 v18, vcc_lo, s3, v77, vcc_lo
	s_lshl_b64 s[2:3], s[6:7], 1
	s_mul_hi_i32 s7, s15, s5
	s_mul_i32 s6, s15, s5
	v_add_co_u32 v19, vcc_lo, v76, s2
	v_add_co_ci_u32_e32 v20, vcc_lo, s3, v77, vcc_lo
	s_lshl_b64 s[2:3], s[6:7], 1
	s_clause 0x1
	global_load_b128 v[65:68], v[41:42], off
	global_load_b128 v[69:72], v[41:42], off offset:16
	v_add_co_u32 v21, vcc_lo, v76, s2
	v_add_co_ci_u32_e32 v22, vcc_lo, s3, v77, vcc_lo
	s_clause 0xf
	global_load_b128 v[57:60], v[33:34], off
	global_load_b128 v[61:64], v[33:34], off offset:16
	global_load_b128 v[49:52], v[35:36], off
	global_load_b128 v[53:56], v[35:36], off offset:16
	;; [unrolled: 2-line block ×8, first 2 shown]
	v_mbcnt_lo_u32_b32 v77, -1, 0
	s_waitcnt vmcnt(0)
	s_barrier
	buffer_gl0_inv
	v_xor_b32_e32 v78, 16, v77
	s_delay_alu instid0(VALU_DEP_1) | instskip(SKIP_1) | instid1(VALU_DEP_1)
	v_cmp_gt_i32_e32 vcc_lo, 32, v78
	v_dual_cndmask_b32 v77, v77, v78 :: v_dual_and_b32 v76, 0xe0, v0
	v_add_nc_u32_e32 v76, s12, v76
	s_delay_alu instid0(VALU_DEP_1) | instskip(NEXT) | instid1(VALU_DEP_1)
	v_or_b32_e32 v76, v76, v83
	v_or_b32_e32 v78, 2, v76
	;; [unrolled: 1-line block ×4, first 2 shown]
	v_cmp_gt_i32_e32 vcc_lo, s17, v76
	v_or_b32_e32 v86, 8, v76
	v_cmp_gt_i32_e64 s2, s17, v78
	v_or_b32_e32 v87, 10, v76
	v_or_b32_e32 v88, 12, v76
	v_or_b32_e32 v89, 14, v76
	v_or_b32_e32 v90, 16, v76
	v_or_b32_e32 v91, 18, v76
	v_or_b32_e32 v92, 20, v76
	v_or_b32_e32 v93, 22, v76
	v_or_b32_e32 v94, 24, v76
	v_or_b32_e32 v95, 26, v76
	v_or_b32_e32 v96, 28, v76
	v_or_b32_e32 v98, 30, v76
	v_cndmask_b32_e32 v76, 0xff7fffff, v97, vcc_lo
	v_cmp_gt_i32_e64 s3, s17, v80
	v_mul_f32_e32 v80, s18, v119
	v_cndmask_b32_e64 v78, 0xff7fffff, v99, s2
	v_mul_f32_e32 v99, s18, v120
	v_cmp_gt_i32_e64 s4, s17, v79
	v_mul_f32_e32 v97, s18, v123
	v_mul_f32_e32 v79, s18, v122
	v_max3_f32 v76, v76, 0xff7fffff, v78
	v_mul_f32_e32 v78, s18, v121
	v_cndmask_b32_e64 v80, 0xff7fffff, v80, s4
	v_cmp_gt_i32_e64 s5, s17, v86
	v_cmp_gt_i32_e64 s6, s17, v87
	v_mul_f32_e32 v86, s18, v107
	v_cndmask_b32_e64 v99, 0xff7fffff, v99, s3
	v_cmp_gt_i32_e64 s7, s17, v89
	v_cndmask_b32_e64 v78, 0xff7fffff, v78, s5
	v_cmp_gt_i32_e64 s8, s17, v88
	v_mul_f32_e32 v89, s18, v101
	v_max3_f32 v76, v76, v80, v99
	v_mul_f32_e32 v80, s18, v108
	v_cndmask_b32_e64 v79, 0xff7fffff, v79, s6
	v_dual_mul_f32 v99, s18, v105 :: v_dual_mul_f32 v88, s18, v102
	v_cndmask_b32_e64 v97, 0xff7fffff, v97, s8
	v_cndmask_b32_e64 v100, 0xff7fffff, v100, s7
	s_delay_alu instid0(VALU_DEP_4) | instskip(SKIP_4) | instid1(VALU_DEP_4)
	v_max3_f32 v76, v76, v78, v79
	v_cmp_gt_i32_e64 s9, s17, v90
	v_cmp_gt_i32_e64 s10, s17, v91
	v_dual_mul_f32 v87, s18, v106 :: v_dual_mul_f32 v78, s18, v104
	v_mul_f32_e32 v79, s18, v103
	v_cndmask_b32_e64 v89, 0xff7fffff, v89, s9
	s_delay_alu instid0(VALU_DEP_4)
	v_cndmask_b32_e64 v88, 0xff7fffff, v88, s10
	v_max3_f32 v76, v76, v97, v100
	v_cmp_gt_i32_e64 s11, s17, v92
	v_cmp_gt_i32_e64 s12, s17, v93
	;; [unrolled: 1-line block ×4, first 2 shown]
	v_max3_f32 v76, v76, v89, v88
	v_cndmask_b32_e64 v79, 0xff7fffff, v79, s11
	v_cndmask_b32_e64 v78, 0xff7fffff, v78, s12
	;; [unrolled: 1-line block ×4, first 2 shown]
	v_cmp_gt_i32_e64 s16, s17, v96
	v_cmp_gt_i32_e64 s17, s17, v98
	v_max3_f32 v76, v76, v79, v78
	v_lshlrev_b32_e32 v99, 2, v77
	s_delay_alu instid0(VALU_DEP_4) | instskip(NEXT) | instid1(VALU_DEP_4)
	v_cndmask_b32_e64 v78, 0xff7fffff, v86, s16
	v_cndmask_b32_e64 v79, 0xff7fffff, v80, s17
	s_delay_alu instid0(VALU_DEP_4) | instskip(NEXT) | instid1(VALU_DEP_1)
	v_max3_f32 v76, v76, v88, v87
	v_max3_f32 v76, v76, v78, v79
	ds_bpermute_b32 v77, v99, v76
	s_waitcnt lgkmcnt(0)
	v_max_f32_e32 v77, v77, v77
	s_delay_alu instid0(VALU_DEP_1) | instskip(NEXT) | instid1(VALU_DEP_1)
	v_max_f32_e32 v76, v76, v77
	v_fma_f32 v78, s18, v118, -v76
	v_fma_f32 v77, s18, v117, -v76
	;; [unrolled: 1-line block ×5, first 2 shown]
	v_mul_f32_e32 v78, 0x3fb8aa3b, v78
	v_fma_f32 v87, s18, v123, -v76
	v_fma_f32 v88, s18, v105, -v76
	v_mul_f32_e32 v80, 0x3fb8aa3b, v80
	v_mul_f32_e32 v86, 0x3fb8aa3b, v86
	v_exp_f32_e32 v78, v78
	v_fma_f32 v90, s18, v107, -v76
	v_fma_f32 v100, s18, v108, -v76
	v_exp_f32_e32 v80, v80
	v_exp_f32_e32 v86, v86
	v_mul_f32_e32 v88, 0x3fb8aa3b, v88
	s_delay_alu instid0(VALU_DEP_2) | instskip(NEXT) | instid1(TRANS32_DEP_3)
	v_mul_f32_e32 v100, 0x3fb8aa3b, v100
	v_cndmask_b32_e64 v91, 0, v78, s2
	v_mul_f32_e32 v77, 0x3fb8aa3b, v77
	s_delay_alu instid0(VALU_DEP_4) | instskip(NEXT) | instid1(TRANS32_DEP_3)
	v_exp_f32_e32 v88, v88
	v_cndmask_b32_e64 v95, 0, v80, s3
	v_fma_f32 v80, s18, v101, -v76
	s_delay_alu instid0(TRANS32_DEP_2)
	v_cndmask_b32_e64 v96, 0, v86, s5
	v_exp_f32_e32 v77, v77
	v_mul_f32_e32 v79, 0x3fb8aa3b, v79
	v_fma_f32 v86, s18, v102, -v76
	v_mul_f32_e32 v80, 0x3fb8aa3b, v80
	s_mov_b32 s2, exec_lo
	v_exp_f32_e32 v100, v100
	s_delay_alu instid0(VALU_DEP_1) | instskip(NEXT) | instid1(TRANS32_DEP_3)
	v_exp_f32_e32 v80, v80
	v_cndmask_b32_e32 v92, 0, v77, vcc_lo
	v_exp_f32_e32 v79, v79
	v_fma_f32 v77, s18, v122, -v76
	s_delay_alu instid0(VALU_DEP_2) | instskip(NEXT) | instid1(VALU_DEP_1)
	v_add_f32_e32 v78, 0, v92
	v_add_f32_e32 v78, v78, v91
	s_waitcnt_depctr 0xfff
	v_cndmask_b32_e64 v93, 0, v79, s4
	v_mul_f32_e32 v87, 0x3fb8aa3b, v87
	v_fma_f32 v79, s18, v124, -v76
	s_delay_alu instid0(VALU_DEP_3) | instskip(SKIP_1) | instid1(VALU_DEP_3)
	v_add_f32_e32 v78, v78, v93
	v_mul_f32_e32 v77, 0x3fb8aa3b, v77
	v_mul_f32_e32 v79, 0x3fb8aa3b, v79
	v_exp_f32_e32 v87, v87
	s_delay_alu instid0(VALU_DEP_3) | instskip(NEXT) | instid1(VALU_DEP_3)
	v_add_f32_e32 v78, v78, v95
	v_exp_f32_e32 v77, v77
	s_delay_alu instid0(VALU_DEP_2) | instskip(NEXT) | instid1(TRANS32_DEP_3)
	v_exp_f32_e32 v79, v79
	v_cndmask_b32_e64 v94, 0, v87, s8
	v_fma_f32 v87, s18, v104, -v76
	s_waitcnt_depctr 0xfff
	v_cndmask_b32_e64 v97, 0, v77, s6
	v_add_f32_e32 v77, v78, v96
	v_fma_f32 v78, s18, v103, -v76
	v_mul_f32_e32 v86, 0x3fb8aa3b, v86
	v_cndmask_b32_e64 v98, 0, v79, s7
	v_mul_f32_e32 v87, 0x3fb8aa3b, v87
	s_delay_alu instid0(VALU_DEP_4) | instskip(NEXT) | instid1(VALU_DEP_4)
	v_dual_add_f32 v77, v77, v97 :: v_dual_mul_f32 v78, 0x3fb8aa3b, v78
	v_exp_f32_e32 v86, v86
	s_delay_alu instid0(VALU_DEP_2) | instskip(NEXT) | instid1(VALU_DEP_1)
	v_exp_f32_e32 v87, v87
	v_add_f32_e32 v79, v77, v94
	s_delay_alu instid0(VALU_DEP_2) | instskip(SKIP_2) | instid1(VALU_DEP_3)
	v_exp_f32_e32 v89, v78
	v_cndmask_b32_e64 v77, 0, v80, s9
	v_fma_f32 v80, s18, v106, -v76
	v_add_f32_e32 v79, v79, v98
	s_delay_alu instid0(TRANS32_DEP_3) | instskip(NEXT) | instid1(VALU_DEP_3)
	v_cndmask_b32_e64 v78, 0, v86, s10
	v_mul_f32_e32 v80, 0x3fb8aa3b, v80
	s_delay_alu instid0(VALU_DEP_3) | instskip(NEXT) | instid1(TRANS32_DEP_1)
	v_add_f32_e32 v86, v79, v77
	v_cndmask_b32_e64 v79, 0, v89, s11
	v_mul_f32_e32 v89, 0x3fb8aa3b, v90
	s_delay_alu instid0(VALU_DEP_4) | instskip(SKIP_2) | instid1(VALU_DEP_3)
	v_exp_f32_e32 v90, v80
	v_cndmask_b32_e64 v80, 0, v87, s12
	v_add_f32_e32 v86, v86, v78
	v_exp_f32_e32 v89, v89
	s_delay_alu instid0(VALU_DEP_1) | instskip(SKIP_1) | instid1(VALU_DEP_2)
	v_add_f32_e32 v87, v86, v79
	v_cndmask_b32_e64 v86, 0, v88, s13
	v_add_f32_e32 v88, v87, v80
	s_delay_alu instid0(TRANS32_DEP_2) | instskip(NEXT) | instid1(VALU_DEP_2)
	v_cndmask_b32_e64 v87, 0, v90, s15
	v_add_f32_e32 v90, v88, v86
	s_waitcnt_depctr 0xfff
	v_cndmask_b32_e64 v88, 0, v89, s16
	v_add_f32_e32 v89, v90, v87
	s_delay_alu instid0(VALU_DEP_1) | instskip(SKIP_1) | instid1(VALU_DEP_1)
	v_add_f32_e32 v90, v89, v88
	v_cndmask_b32_e64 v89, 0, v100, s17
	v_add_f32_e32 v90, v90, v89
	ds_bpermute_b32 v99, v99, v90
	v_cmpx_gt_u32_e32 16, v75
	s_cbranch_execz .LBB699_14
; %bb.13:
	v_mul_u32_u24_e32 v75, 0x44, v74
	s_waitcnt lgkmcnt(0)
	v_add_f32_e32 v90, v90, v99
	s_delay_alu instid0(VALU_DEP_2) | instskip(NEXT) | instid1(VALU_DEP_1)
	v_lshl_add_u32 v75, v73, 2, v75
	v_add_nc_u32_e32 v75, 0x4000, v75
	ds_store_2addr_b32 v75, v76, v90 offset1:136
.LBB699_14:
	s_or_b32 exec_lo, exec_lo, s2
	v_lshlrev_b32_e32 v75, 2, v73
	s_waitcnt lgkmcnt(0)
	s_barrier
	buffer_gl0_inv
	v_cmp_eq_u32_e64 s2, 1, v74
	v_add_nc_u32_e32 v90, 0x4000, v75
	ds_load_2addr_b32 v[99:100], v90 offset1:17
	ds_load_2addr_b32 v[101:102], v90 offset0:34 offset1:51
	ds_load_2addr_b32 v[103:104], v90 offset0:68 offset1:85
	ds_load_2addr_b32 v[105:106], v90 offset0:102 offset1:119
	ds_load_2addr_b32 v[107:108], v90 offset0:136 offset1:153
	s_waitcnt lgkmcnt(4)
	v_max3_f32 v75, v99, 0xff7fffff, v100
	s_waitcnt lgkmcnt(3)
	s_delay_alu instid0(VALU_DEP_1) | instskip(SKIP_1) | instid1(VALU_DEP_1)
	v_max3_f32 v75, v75, v101, v102
	s_waitcnt lgkmcnt(2)
	v_max3_f32 v75, v75, v103, v104
	s_waitcnt lgkmcnt(1)
	s_delay_alu instid0(VALU_DEP_1) | instskip(NEXT) | instid1(VALU_DEP_1)
	v_max3_f32 v75, v75, v105, v106
	v_sub_f32_e32 v109, v100, v75
	v_sub_f32_e32 v76, v99, v75
	ds_load_2addr_b32 v[99:100], v90 offset0:170 offset1:187
	v_sub_f32_e32 v101, v101, v75
	v_dual_mul_f32 v109, 0x3fb8aa3b, v109 :: v_dual_mul_f32 v76, 0x3fb8aa3b, v76
	s_delay_alu instid0(VALU_DEP_2) | instskip(NEXT) | instid1(VALU_DEP_2)
	v_mul_f32_e32 v111, 0x3fb8aa3b, v101
	v_exp_f32_e32 v109, v109
	s_delay_alu instid0(VALU_DEP_2)
	v_exp_f32_e32 v110, v76
	v_sub_f32_e32 v76, v102, v75
	ds_load_2addr_b32 v[101:102], v90 offset0:204 offset1:221
	v_exp_f32_e32 v111, v111
	v_mul_f32_e32 v112, 0x3fb8aa3b, v76
	s_waitcnt lgkmcnt(2)
	v_fma_f32 v76, v110, v107, 0
	v_sub_f32_e32 v103, v103, v75
	s_delay_alu instid0(VALU_DEP_3) | instskip(NEXT) | instid1(VALU_DEP_2)
	v_exp_f32_e32 v112, v112
	v_dual_sub_f32 v107, v104, v75 :: v_dual_fmac_f32 v76, v109, v108
	s_waitcnt lgkmcnt(1)
	s_waitcnt_depctr 0xfff
	v_fmac_f32_e32 v76, v111, v99
	v_mul_f32_e32 v113, 0x3fb8aa3b, v103
	ds_load_2addr_b32 v[103:104], v90 offset0:238 offset1:255
	v_sub_f32_e32 v90, v105, v75
	v_dual_sub_f32 v99, v106, v75 :: v_dual_fmac_f32 v76, v112, v100
	v_mul_f32_e32 v105, 0x3fb8aa3b, v107
	v_exp_f32_e32 v107, v113
	s_delay_alu instid0(VALU_DEP_2)
	v_dual_mul_f32 v90, 0x3fb8aa3b, v90 :: v_dual_mul_f32 v99, 0x3fb8aa3b, v99
	s_waitcnt lgkmcnt(0)
	s_barrier
	buffer_gl0_inv
	v_exp_f32_e32 v90, v90
	v_exp_f32_e32 v99, v99
	v_fmac_f32_e32 v76, v107, v101
	v_exp_f32_e32 v105, v105
	s_waitcnt_depctr 0xfff
	v_fmac_f32_e32 v76, v105, v102
	s_delay_alu instid0(VALU_DEP_1) | instskip(NEXT) | instid1(VALU_DEP_1)
	v_fmac_f32_e32 v76, v90, v103
	v_fmac_f32_e32 v76, v99, v104
	s_delay_alu instid0(VALU_DEP_1) | instskip(NEXT) | instid1(VALU_DEP_1)
	v_add_f32_e32 v100, 0x358637bd, v76
	v_div_scale_f32 v101, null, v100, v100, 1.0
	v_div_scale_f32 v104, vcc_lo, 1.0, v100, 1.0
	s_delay_alu instid0(VALU_DEP_2) | instskip(SKIP_2) | instid1(VALU_DEP_1)
	v_rcp_f32_e32 v102, v101
	s_waitcnt_depctr 0xfff
	v_fma_f32 v103, -v101, v102, 1.0
	v_fmac_f32_e32 v102, v103, v102
	v_cndmask_b32_e64 v103, v110, v109, s2
	v_cmp_eq_u32_e64 s2, 2, v74
	s_delay_alu instid0(VALU_DEP_3) | instskip(NEXT) | instid1(VALU_DEP_2)
	v_mul_f32_e32 v106, v104, v102
	v_cndmask_b32_e64 v103, v103, v111, s2
	v_cmp_eq_u32_e64 s2, 3, v74
	s_delay_alu instid0(VALU_DEP_3) | instskip(NEXT) | instid1(VALU_DEP_2)
	v_fma_f32 v108, -v101, v106, v104
	v_cndmask_b32_e64 v103, v103, v112, s2
	v_cmp_eq_u32_e64 s2, 4, v74
	s_delay_alu instid0(VALU_DEP_3) | instskip(NEXT) | instid1(VALU_DEP_2)
	v_fmac_f32_e32 v106, v108, v102
	v_cndmask_b32_e64 v103, v103, v107, s2
	s_delay_alu instid0(VALU_DEP_2) | instskip(SKIP_1) | instid1(VALU_DEP_2)
	v_fma_f32 v101, -v101, v106, v104
	v_cmp_eq_u32_e64 s2, 5, v74
	v_div_fmas_f32 v101, v101, v102, v106
	s_delay_alu instid0(VALU_DEP_2) | instskip(SKIP_2) | instid1(VALU_DEP_3)
	v_cndmask_b32_e64 v103, v103, v105, s2
	v_cmp_eq_u32_e32 vcc_lo, 6, v74
	s_mov_b32 s2, exec_lo
	v_div_fixup_f32 v100, v101, v100, 1.0
	s_delay_alu instid0(VALU_DEP_3) | instskip(SKIP_1) | instid1(VALU_DEP_2)
	v_cndmask_b32_e32 v90, v103, v90, vcc_lo
	v_cmp_eq_u32_e32 vcc_lo, 7, v74
	v_cndmask_b32_e32 v90, v90, v99, vcc_lo
	s_delay_alu instid0(VALU_DEP_1) | instskip(NEXT) | instid1(VALU_DEP_1)
	v_mul_f32_e32 v90, v90, v100
	v_mul_f32_e32 v100, v90, v92
	;; [unrolled: 1-line block ×6, first 2 shown]
	v_and_b32_e32 v101, 0x7f800000, v100
	v_mul_f32_e32 v99, v90, v95
	v_mul_f32_e32 v95, v90, v91
	v_mul_f32_e32 v96, v90, v93
                                        ; implicit-def: $vgpr91
	s_delay_alu instid0(VALU_DEP_4)
	v_cmpx_ne_u32_e32 0x7f800000, v101
	s_xor_b32 s2, exec_lo, s2
; %bb.15:
	v_bfe_u32 v91, v100, 16, 1
	s_delay_alu instid0(VALU_DEP_1)
	v_add3_u32 v91, v100, v91, 0x7fff
                                        ; implicit-def: $vgpr100
; %bb.16:
	s_and_not1_saveexec_b32 s2, s2
; %bb.17:
	v_and_b32_e32 v91, 0xffff, v100
	v_or_b32_e32 v93, 0x10000, v100
	s_delay_alu instid0(VALU_DEP_2) | instskip(NEXT) | instid1(VALU_DEP_2)
	v_cmp_eq_u32_e32 vcc_lo, 0, v91
	v_cndmask_b32_e32 v91, v93, v100, vcc_lo
; %bb.18:
	s_or_b32 exec_lo, exec_lo, s2
	v_and_b32_e32 v93, 0x7f800000, v95
	s_delay_alu instid0(VALU_DEP_1) | instskip(SKIP_1) | instid1(SALU_CYCLE_1)
	v_cmp_ne_u32_e32 vcc_lo, 0x7f800000, v93
                                        ; implicit-def: $vgpr93
	s_and_saveexec_b32 s2, vcc_lo
	s_xor_b32 s2, exec_lo, s2
; %bb.19:
	v_bfe_u32 v93, v95, 16, 1
	s_delay_alu instid0(VALU_DEP_1)
	v_add3_u32 v93, v95, v93, 0x7fff
                                        ; implicit-def: $vgpr95
; %bb.20:
	s_and_not1_saveexec_b32 s2, s2
; %bb.21:
	v_and_b32_e32 v93, 0xffff, v95
	v_or_b32_e32 v100, 0x10000, v95
	s_delay_alu instid0(VALU_DEP_2) | instskip(NEXT) | instid1(VALU_DEP_2)
	v_cmp_eq_u32_e32 vcc_lo, 0, v93
	v_cndmask_b32_e32 v93, v100, v95, vcc_lo
; %bb.22:
	s_or_b32 exec_lo, exec_lo, s2
	v_and_b32_e32 v95, 0x7f800000, v96
	s_delay_alu instid0(VALU_DEP_1) | instskip(SKIP_1) | instid1(SALU_CYCLE_1)
	v_cmp_ne_u32_e32 vcc_lo, 0x7f800000, v95
                                        ; implicit-def: $vgpr95
	s_and_saveexec_b32 s2, vcc_lo
	s_xor_b32 s2, exec_lo, s2
; %bb.23:
	v_bfe_u32 v95, v96, 16, 1
	s_delay_alu instid0(VALU_DEP_1)
	v_add3_u32 v95, v96, v95, 0x7fff
                                        ; implicit-def: $vgpr96
; %bb.24:
	s_and_not1_saveexec_b32 s2, s2
; %bb.25:
	v_and_b32_e32 v95, 0xffff, v96
	v_or_b32_e32 v100, 0x10000, v96
	s_delay_alu instid0(VALU_DEP_2) | instskip(NEXT) | instid1(VALU_DEP_2)
	v_cmp_eq_u32_e32 vcc_lo, 0, v95
	v_cndmask_b32_e32 v95, v100, v96, vcc_lo
; %bb.26:
	s_or_b32 exec_lo, exec_lo, s2
	v_and_b32_e32 v96, 0x7f800000, v99
	s_delay_alu instid0(VALU_DEP_1) | instskip(SKIP_1) | instid1(SALU_CYCLE_1)
	v_cmp_ne_u32_e32 vcc_lo, 0x7f800000, v96
                                        ; implicit-def: $vgpr96
	s_and_saveexec_b32 s2, vcc_lo
	s_xor_b32 s2, exec_lo, s2
; %bb.27:
	v_bfe_u32 v96, v99, 16, 1
	s_delay_alu instid0(VALU_DEP_1)
	v_add3_u32 v96, v99, v96, 0x7fff
                                        ; implicit-def: $vgpr99
; %bb.28:
	s_and_not1_saveexec_b32 s2, s2
; %bb.29:
	v_and_b32_e32 v96, 0xffff, v99
	v_or_b32_e32 v100, 0x10000, v99
	s_delay_alu instid0(VALU_DEP_2) | instskip(NEXT) | instid1(VALU_DEP_2)
	v_cmp_eq_u32_e32 vcc_lo, 0, v96
	v_cndmask_b32_e32 v96, v100, v99, vcc_lo
; %bb.30:
	s_or_b32 exec_lo, exec_lo, s2
	v_and_b32_e32 v99, 0x7f800000, v98
	s_delay_alu instid0(VALU_DEP_1) | instskip(SKIP_1) | instid1(SALU_CYCLE_1)
	v_cmp_ne_u32_e32 vcc_lo, 0x7f800000, v99
                                        ; implicit-def: $vgpr99
	s_and_saveexec_b32 s2, vcc_lo
	s_xor_b32 s2, exec_lo, s2
; %bb.31:
	v_bfe_u32 v99, v98, 16, 1
	s_delay_alu instid0(VALU_DEP_1)
	v_add3_u32 v99, v98, v99, 0x7fff
                                        ; implicit-def: $vgpr98
; %bb.32:
	s_and_not1_saveexec_b32 s2, s2
; %bb.33:
	v_and_b32_e32 v99, 0xffff, v98
	v_or_b32_e32 v100, 0x10000, v98
	s_delay_alu instid0(VALU_DEP_2) | instskip(NEXT) | instid1(VALU_DEP_2)
	v_cmp_eq_u32_e32 vcc_lo, 0, v99
	v_cndmask_b32_e32 v99, v100, v98, vcc_lo
; %bb.34:
	s_or_b32 exec_lo, exec_lo, s2
	v_and_b32_e32 v98, 0x7f800000, v97
	s_delay_alu instid0(VALU_DEP_1) | instskip(SKIP_1) | instid1(SALU_CYCLE_1)
	v_cmp_ne_u32_e32 vcc_lo, 0x7f800000, v98
                                        ; implicit-def: $vgpr98
	s_and_saveexec_b32 s2, vcc_lo
	s_xor_b32 s2, exec_lo, s2
; %bb.35:
	v_bfe_u32 v98, v97, 16, 1
	s_delay_alu instid0(VALU_DEP_1)
	v_add3_u32 v98, v97, v98, 0x7fff
                                        ; implicit-def: $vgpr97
; %bb.36:
	s_and_not1_saveexec_b32 s2, s2
; %bb.37:
	v_and_b32_e32 v98, 0xffff, v97
	v_or_b32_e32 v100, 0x10000, v97
	s_delay_alu instid0(VALU_DEP_2) | instskip(NEXT) | instid1(VALU_DEP_2)
	v_cmp_eq_u32_e32 vcc_lo, 0, v98
	v_cndmask_b32_e32 v98, v100, v97, vcc_lo
; %bb.38:
	s_or_b32 exec_lo, exec_lo, s2
	v_and_b32_e32 v97, 0x7f800000, v94
	s_delay_alu instid0(VALU_DEP_1) | instskip(SKIP_1) | instid1(SALU_CYCLE_1)
	v_cmp_ne_u32_e32 vcc_lo, 0x7f800000, v97
                                        ; implicit-def: $vgpr97
	s_and_saveexec_b32 s2, vcc_lo
	s_xor_b32 s2, exec_lo, s2
; %bb.39:
	v_bfe_u32 v97, v94, 16, 1
	s_delay_alu instid0(VALU_DEP_1)
	v_add3_u32 v97, v94, v97, 0x7fff
                                        ; implicit-def: $vgpr94
; %bb.40:
	s_and_not1_saveexec_b32 s2, s2
; %bb.41:
	v_and_b32_e32 v97, 0xffff, v94
	v_or_b32_e32 v100, 0x10000, v94
	s_delay_alu instid0(VALU_DEP_2) | instskip(NEXT) | instid1(VALU_DEP_2)
	v_cmp_eq_u32_e32 vcc_lo, 0, v97
	v_cndmask_b32_e32 v97, v100, v94, vcc_lo
; %bb.42:
	s_or_b32 exec_lo, exec_lo, s2
	v_and_b32_e32 v94, 0x7f800000, v92
	s_delay_alu instid0(VALU_DEP_1) | instskip(SKIP_1) | instid1(SALU_CYCLE_1)
	v_cmp_ne_u32_e32 vcc_lo, 0x7f800000, v94
                                        ; implicit-def: $vgpr94
	s_and_saveexec_b32 s2, vcc_lo
	s_xor_b32 s2, exec_lo, s2
; %bb.43:
	v_bfe_u32 v94, v92, 16, 1
	s_delay_alu instid0(VALU_DEP_1)
	v_add3_u32 v94, v92, v94, 0x7fff
                                        ; implicit-def: $vgpr92
; %bb.44:
	s_and_not1_saveexec_b32 s2, s2
; %bb.45:
	v_and_b32_e32 v94, 0xffff, v92
	v_or_b32_e32 v100, 0x10000, v92
	s_delay_alu instid0(VALU_DEP_2) | instskip(NEXT) | instid1(VALU_DEP_2)
	v_cmp_eq_u32_e32 vcc_lo, 0, v94
	v_cndmask_b32_e32 v94, v100, v92, vcc_lo
; %bb.46:
	s_or_b32 exec_lo, exec_lo, s2
	s_load_b64 s[34:35], s[0:1], 0x94
	v_lshlrev_b32_e32 v92, 4, v83
	s_delay_alu instid0(VALU_DEP_2)
	v_perm_b32 v100, v94, v97, 0x7060302
	v_dual_mul_f32 v89, v90, v89 :: v_dual_lshlrev_b32 v94, 11, v74
	v_perm_b32 v97, v93, v91, 0x7060302
	v_mul_f32_e32 v93, v90, v77
	v_perm_b32 v99, v98, v99, 0x7060302
	v_perm_b32 v98, v96, v95, 0x7060302
	v_or3_b32 v77, v92, v94, v85
	v_mul_f32_e32 v88, v90, v88
	v_dual_mul_f32 v87, v90, v87 :: v_dual_and_b32 v94, 0x7f800000, v93
	v_mul_f32_e32 v86, v90, v86
	v_mul_f32_e32 v91, v90, v80
	;; [unrolled: 1-line block ×4, first 2 shown]
	s_mov_b32 s2, exec_lo
	ds_store_b128 v77, v[97:100]
                                        ; implicit-def: $vgpr78
	v_cmpx_ne_u32_e32 0x7f800000, v94
	s_xor_b32 s2, exec_lo, s2
; %bb.47:
	v_bfe_u32 v78, v93, 16, 1
	s_delay_alu instid0(VALU_DEP_1)
	v_add3_u32 v78, v93, v78, 0x7fff
                                        ; implicit-def: $vgpr93
; %bb.48:
	s_and_not1_saveexec_b32 s2, s2
; %bb.49:
	v_and_b32_e32 v78, 0xffff, v93
	v_or_b32_e32 v79, 0x10000, v93
	s_delay_alu instid0(VALU_DEP_2) | instskip(NEXT) | instid1(VALU_DEP_2)
	v_cmp_eq_u32_e32 vcc_lo, 0, v78
	v_cndmask_b32_e32 v78, v79, v93, vcc_lo
; %bb.50:
	s_or_b32 exec_lo, exec_lo, s2
	v_and_b32_e32 v79, 0x7f800000, v80
	s_delay_alu instid0(VALU_DEP_1) | instskip(SKIP_1) | instid1(SALU_CYCLE_1)
	v_cmp_ne_u32_e32 vcc_lo, 0x7f800000, v79
                                        ; implicit-def: $vgpr79
	s_and_saveexec_b32 s2, vcc_lo
	s_xor_b32 s2, exec_lo, s2
; %bb.51:
	v_bfe_u32 v79, v80, 16, 1
	s_delay_alu instid0(VALU_DEP_1)
	v_add3_u32 v79, v80, v79, 0x7fff
                                        ; implicit-def: $vgpr80
; %bb.52:
	s_and_not1_saveexec_b32 s2, s2
; %bb.53:
	v_and_b32_e32 v79, 0xffff, v80
	v_or_b32_e32 v90, 0x10000, v80
	s_delay_alu instid0(VALU_DEP_2) | instskip(NEXT) | instid1(VALU_DEP_2)
	v_cmp_eq_u32_e32 vcc_lo, 0, v79
	v_cndmask_b32_e32 v79, v90, v80, vcc_lo
; %bb.54:
	s_or_b32 exec_lo, exec_lo, s2
	v_and_b32_e32 v80, 0x7f800000, v92
	s_delay_alu instid0(VALU_DEP_1) | instskip(SKIP_1) | instid1(SALU_CYCLE_1)
	v_cmp_ne_u32_e32 vcc_lo, 0x7f800000, v80
                                        ; implicit-def: $vgpr80
	s_and_saveexec_b32 s2, vcc_lo
	s_xor_b32 s2, exec_lo, s2
; %bb.55:
	v_bfe_u32 v80, v92, 16, 1
	s_delay_alu instid0(VALU_DEP_1)
	v_add3_u32 v80, v92, v80, 0x7fff
                                        ; implicit-def: $vgpr92
; %bb.56:
	s_and_not1_saveexec_b32 s2, s2
; %bb.57:
	v_and_b32_e32 v80, 0xffff, v92
	v_or_b32_e32 v90, 0x10000, v92
	s_delay_alu instid0(VALU_DEP_2) | instskip(NEXT) | instid1(VALU_DEP_2)
	v_cmp_eq_u32_e32 vcc_lo, 0, v80
	v_cndmask_b32_e32 v80, v90, v92, vcc_lo
; %bb.58:
	s_or_b32 exec_lo, exec_lo, s2
	v_and_b32_e32 v90, 0x7f800000, v91
	s_delay_alu instid0(VALU_DEP_1) | instskip(SKIP_1) | instid1(SALU_CYCLE_1)
	v_cmp_ne_u32_e32 vcc_lo, 0x7f800000, v90
                                        ; implicit-def: $vgpr90
	s_and_saveexec_b32 s2, vcc_lo
	s_xor_b32 s2, exec_lo, s2
; %bb.59:
	v_bfe_u32 v90, v91, 16, 1
	s_delay_alu instid0(VALU_DEP_1)
	v_add3_u32 v90, v91, v90, 0x7fff
                                        ; implicit-def: $vgpr91
; %bb.60:
	s_and_not1_saveexec_b32 s2, s2
; %bb.61:
	v_and_b32_e32 v90, 0xffff, v91
	v_or_b32_e32 v92, 0x10000, v91
	s_delay_alu instid0(VALU_DEP_2) | instskip(NEXT) | instid1(VALU_DEP_2)
	v_cmp_eq_u32_e32 vcc_lo, 0, v90
	v_cndmask_b32_e32 v90, v92, v91, vcc_lo
; %bb.62:
	s_or_b32 exec_lo, exec_lo, s2
	v_and_b32_e32 v91, 0x7f800000, v86
	s_delay_alu instid0(VALU_DEP_1) | instskip(SKIP_1) | instid1(SALU_CYCLE_1)
	v_cmp_ne_u32_e32 vcc_lo, 0x7f800000, v91
                                        ; implicit-def: $vgpr91
	s_and_saveexec_b32 s2, vcc_lo
	s_xor_b32 s2, exec_lo, s2
; %bb.63:
	v_bfe_u32 v91, v86, 16, 1
	s_delay_alu instid0(VALU_DEP_1)
	v_add3_u32 v91, v86, v91, 0x7fff
                                        ; implicit-def: $vgpr86
; %bb.64:
	s_and_not1_saveexec_b32 s2, s2
; %bb.65:
	v_and_b32_e32 v91, 0xffff, v86
	v_or_b32_e32 v92, 0x10000, v86
	s_delay_alu instid0(VALU_DEP_2) | instskip(NEXT) | instid1(VALU_DEP_2)
	v_cmp_eq_u32_e32 vcc_lo, 0, v91
	v_cndmask_b32_e32 v91, v92, v86, vcc_lo
; %bb.66:
	s_or_b32 exec_lo, exec_lo, s2
	v_and_b32_e32 v86, 0x7f800000, v87
	s_delay_alu instid0(VALU_DEP_1) | instskip(SKIP_1) | instid1(SALU_CYCLE_1)
	v_cmp_ne_u32_e32 vcc_lo, 0x7f800000, v86
                                        ; implicit-def: $vgpr86
	s_and_saveexec_b32 s2, vcc_lo
	s_xor_b32 s2, exec_lo, s2
; %bb.67:
	v_bfe_u32 v86, v87, 16, 1
	s_delay_alu instid0(VALU_DEP_1)
	v_add3_u32 v86, v87, v86, 0x7fff
                                        ; implicit-def: $vgpr87
; %bb.68:
	s_and_not1_saveexec_b32 s2, s2
; %bb.69:
	v_and_b32_e32 v86, 0xffff, v87
	v_or_b32_e32 v92, 0x10000, v87
	s_delay_alu instid0(VALU_DEP_2) | instskip(NEXT) | instid1(VALU_DEP_2)
	v_cmp_eq_u32_e32 vcc_lo, 0, v86
	v_cndmask_b32_e32 v86, v92, v87, vcc_lo
; %bb.70:
	s_or_b32 exec_lo, exec_lo, s2
	v_and_b32_e32 v87, 0x7f800000, v88
	s_delay_alu instid0(VALU_DEP_1) | instskip(SKIP_1) | instid1(SALU_CYCLE_1)
	v_cmp_ne_u32_e32 vcc_lo, 0x7f800000, v87
                                        ; implicit-def: $vgpr87
	s_and_saveexec_b32 s2, vcc_lo
	s_xor_b32 s2, exec_lo, s2
; %bb.71:
	v_bfe_u32 v87, v88, 16, 1
	s_delay_alu instid0(VALU_DEP_1)
	v_add3_u32 v87, v88, v87, 0x7fff
                                        ; implicit-def: $vgpr88
; %bb.72:
	s_and_not1_saveexec_b32 s2, s2
; %bb.73:
	v_and_b32_e32 v87, 0xffff, v88
	v_or_b32_e32 v92, 0x10000, v88
	s_delay_alu instid0(VALU_DEP_2) | instskip(NEXT) | instid1(VALU_DEP_2)
	v_cmp_eq_u32_e32 vcc_lo, 0, v87
	v_cndmask_b32_e32 v87, v92, v88, vcc_lo
; %bb.74:
	s_or_b32 exec_lo, exec_lo, s2
	v_and_b32_e32 v88, 0x7f800000, v89
	s_delay_alu instid0(VALU_DEP_1) | instskip(SKIP_1) | instid1(SALU_CYCLE_1)
	v_cmp_ne_u32_e32 vcc_lo, 0x7f800000, v88
                                        ; implicit-def: $vgpr88
	s_and_saveexec_b32 s2, vcc_lo
	s_xor_b32 s2, exec_lo, s2
; %bb.75:
	v_bfe_u32 v88, v89, 16, 1
	s_delay_alu instid0(VALU_DEP_1)
	v_add3_u32 v88, v89, v88, 0x7fff
                                        ; implicit-def: $vgpr89
; %bb.76:
	s_and_not1_saveexec_b32 s2, s2
; %bb.77:
	v_and_b32_e32 v88, 0xffff, v89
	v_or_b32_e32 v92, 0x10000, v89
	s_delay_alu instid0(VALU_DEP_2) | instskip(NEXT) | instid1(VALU_DEP_2)
	v_cmp_eq_u32_e32 vcc_lo, 0, v88
	v_cndmask_b32_e32 v88, v92, v89, vcc_lo
; %bb.78:
	s_or_b32 exec_lo, exec_lo, s2
	s_delay_alu instid0(VALU_DEP_1)
	v_perm_b32 v89, v88, v87, 0x7060302
	v_perm_b32 v88, v86, v91, 0x7060302
	;; [unrolled: 1-line block ×4, first 2 shown]
	v_lshl_or_b32 v90, v74, 11, v85
	ds_store_b128 v77, v[86:89] offset:1024
	s_waitcnt lgkmcnt(0)
	s_barrier
	buffer_gl0_inv
	ds_load_b128 v[91:94], v90
	ds_load_b128 v[95:98], v90 offset:16
	v_lshlrev_b32_e32 v87, 2, v83
	s_delay_alu instid0(VALU_DEP_1)
	v_or_b32_e32 v88, 1, v87
	v_cmp_eq_u32_e32 vcc_lo, 1, v87
	v_cmp_eq_u32_e64 s3, 2, v87
	v_cmp_eq_u32_e64 s6, 3, v87
	;; [unrolled: 1-line block ×6, first 2 shown]
	v_or_b32_e32 v86, 2, v87
	v_cmp_eq_u32_e64 s9, 5, v87
	v_cmp_eq_u32_e64 s10, 4, v88
	;; [unrolled: 1-line block ×4, first 2 shown]
	s_waitcnt lgkmcnt(1)
	v_lshrrev_b32_e32 v74, 16, v91
	s_waitcnt lgkmcnt(0)
	v_lshrrev_b32_e32 v103, 16, v95
	v_lshrrev_b32_e32 v80, 16, v94
	;; [unrolled: 1-line block ×4, first 2 shown]
	v_cndmask_b32_e32 v89, v91, v74, vcc_lo
	v_cndmask_b32_e32 v99, v95, v103, vcc_lo
	v_cndmask_b32_e64 v100, v91, v74, s2
	v_lshrrev_b32_e32 v79, 16, v93
	v_lshrrev_b32_e32 v108, 16, v97
	v_cndmask_b32_e64 v89, v89, v92, s3
	v_cndmask_b32_e64 v99, v99, v96, s3
	;; [unrolled: 1-line block ×4, first 2 shown]
	v_cmp_eq_u32_e64 s4, 1, v86
	v_cndmask_b32_e64 v89, v89, v78, s6
	v_cndmask_b32_e64 v99, v99, v107, s6
	;; [unrolled: 1-line block ×4, first 2 shown]
	v_lshrrev_b32_e32 v109, 16, v98
	v_cndmask_b32_e64 v89, v89, v93, s8
	v_cndmask_b32_e64 v99, v99, v97, s8
	;; [unrolled: 1-line block ×8, first 2 shown]
	v_cmp_eq_u32_e64 s13, 7, v87
	v_cmp_eq_u32_e64 s15, 6, v88
	v_cndmask_b32_e64 v89, v89, v94, s11
	v_cndmask_b32_e64 v99, v99, v98, s11
	v_cmp_eq_u32_e64 s16, 2, v86
	v_cndmask_b32_e64 v101, v101, v97, s10
	v_cndmask_b32_e64 v100, v100, v94, s15
	;; [unrolled: 1-line block ×6, first 2 shown]
	v_cmp_eq_u32_e64 s17, 7, v88
	v_cmp_eq_u32_e64 s18, 3, v86
	;; [unrolled: 1-line block ×4, first 2 shown]
	v_cndmask_b32_e64 v99, v99, v96, s16
	v_cndmask_b32_e64 v112, v100, v80, s17
	;; [unrolled: 1-line block ×4, first 2 shown]
	v_or_b32_e32 v89, 3, v87
	v_cndmask_b32_e64 v105, v99, v107, s18
	v_cmp_eq_u32_e64 s23, 6, v86
	v_cndmask_b32_e64 v113, v100, v98, s15
	v_cndmask_b32_e64 v104, v101, v93, s19
	ds_load_b128 v[99:102], v90 offset:1024
	v_cmp_eq_u32_e64 s20, 1, v89
	v_cmp_eq_u32_e64 s22, 2, v89
	;; [unrolled: 1-line block ×3, first 2 shown]
	v_cndmask_b32_e64 v114, v104, v79, s21
	v_cmp_eq_u32_e64 s25, 4, v89
	v_cndmask_b32_e64 v74, v91, v74, s20
	v_cndmask_b32_e64 v91, v105, v97, s19
	;; [unrolled: 1-line block ×3, first 2 shown]
	ds_load_b128 v[103:106], v90 offset:1040
	v_cmp_eq_u32_e64 s27, 5, v89
	v_cndmask_b32_e64 v74, v74, v92, s22
	v_cndmask_b32_e64 v91, v91, v108, s21
	;; [unrolled: 1-line block ×3, first 2 shown]
	v_cmp_eq_u32_e64 s28, 6, v89
	v_cndmask_b32_e64 v95, v113, v109, s17
	v_cndmask_b32_e64 v74, v74, v78, s24
	;; [unrolled: 1-line block ×5, first 2 shown]
	s_waitcnt lgkmcnt(1)
	v_lshrrev_b32_e32 v96, 16, v99
	v_cndmask_b32_e64 v74, v74, v93, s25
	v_lshrrev_b32_e32 v107, 16, v100
	v_cndmask_b32_e64 v92, v92, v97, s25
	v_cmp_eq_u32_e64 s26, 7, v86
	v_cndmask_b32_e32 v93, v99, v96, vcc_lo
	v_cndmask_b32_e64 v74, v74, v79, s27
	s_delay_alu instid0(VALU_DEP_4)
	v_cndmask_b32_e64 v79, v92, v108, s27
	s_waitcnt lgkmcnt(0)
	v_lshrrev_b32_e32 v97, 16, v103
	v_cndmask_b32_e64 v92, v93, v100, s3
	v_cndmask_b32_e64 v93, v99, v96, s2
	;; [unrolled: 1-line block ×4, first 2 shown]
	v_cndmask_b32_e32 v108, v103, v97, vcc_lo
	v_cndmask_b32_e64 v92, v92, v107, s6
	v_cndmask_b32_e64 v93, v93, v100, s5
	v_lshrrev_b32_e32 v98, 16, v104
	v_cmp_eq_u32_e32 vcc_lo, 7, v89
	v_cndmask_b32_e64 v94, v108, v104, s3
	v_cndmask_b32_e64 v92, v92, v101, s8
	v_lshrrev_b32_e32 v108, 16, v101
	v_cndmask_b32_e64 v93, v93, v107, s7
	v_cndmask_b32_e32 v74, v74, v80, vcc_lo
	v_cndmask_b32_e64 v94, v94, v98, s6
	v_cndmask_b32_e32 v79, v79, v109, vcc_lo
	v_cndmask_b32_e64 v92, v92, v108, s9
	v_cndmask_b32_e64 v78, v78, v80, s26
	v_cndmask_b32_e64 v80, v93, v101, s10
	v_cndmask_b32_e64 v93, v94, v105, s8
	v_perm_b32 v94, v79, v74, 0x5040100
	v_cndmask_b32_e64 v79, v92, v102, s11
	v_perm_b32 v92, v95, v112, 0x5040100
	v_cndmask_b32_e64 v95, v99, v96, s4
	v_cndmask_b32_e64 v96, v99, v96, s20
	;; [unrolled: 1-line block ×16, first 2 shown]
	v_lshrrev_b32_e32 v109, 16, v105
	v_cndmask_b32_e64 v95, v95, v101, s19
	v_cndmask_b32_e64 v96, v96, v101, s25
	;; [unrolled: 1-line block ×6, first 2 shown]
	v_lshrrev_b32_e32 v80, 16, v102
	v_cndmask_b32_e64 v113, v93, v109, s9
	v_cndmask_b32_e64 v95, v95, v108, s21
	;; [unrolled: 1-line block ×6, first 2 shown]
	v_perm_b32 v93, v91, v78, 0x5040100
	v_cndmask_b32_e64 v74, v74, v102, s15
	v_cndmask_b32_e64 v78, v79, v80, s13
	;; [unrolled: 1-line block ×3, first 2 shown]
	v_lshrrev_b32_e32 v91, 16, v106
	v_cndmask_b32_e64 v95, v95, v102, s23
	v_cndmask_b32_e64 v96, v96, v102, s28
	;; [unrolled: 1-line block ×7, first 2 shown]
	v_cndmask_b32_e32 v80, v96, v80, vcc_lo
	v_cndmask_b32_e32 v96, v98, v91, vcc_lo
	v_cndmask_b32_e64 v99, v99, v91, s26
	v_cndmask_b32_e64 v100, v97, v91, s17
	;; [unrolled: 1-line block ×3, first 2 shown]
	v_perm_b32 v91, v111, v110, 0x5040100
	v_perm_b32 v98, v96, v80, 0x5040100
	;; [unrolled: 1-line block ×5, first 2 shown]
	s_mul_i32 s7, s35, 10
	s_mov_b32 s2, exec_lo
	ds_store_b128 v77, v[91:94]
	ds_store_b128 v77, v[95:98] offset:1024
	v_cmpx_gt_u32_e32 10, v0
	s_cbranch_execz .LBB699_80
; %bb.79:
	s_mul_i32 s3, s7, s30
	s_load_b128 s[8:11], s[0:1], 0x58
	v_add3_u32 v77, s3, s29, v73
	s_delay_alu instid0(VALU_DEP_1) | instskip(NEXT) | instid1(VALU_DEP_1)
	v_mad_u64_u32 v[73:74], null, v77, s34, s[14:15]
	v_ashrrev_i32_e32 v74, 31, v73
	s_delay_alu instid0(VALU_DEP_1) | instskip(SKIP_1) | instid1(VALU_DEP_1)
	v_lshlrev_b64 v[73:74], 2, v[73:74]
	s_waitcnt lgkmcnt(0)
	v_add_co_u32 v77, vcc_lo, s10, v73
	s_delay_alu instid0(VALU_DEP_2)
	v_add_co_ci_u32_e32 v78, vcc_lo, s11, v74, vcc_lo
	v_add_co_u32 v73, vcc_lo, s8, v73
	v_add_co_ci_u32_e32 v74, vcc_lo, s9, v74, vcc_lo
	global_store_b32 v[77:78], v75, off
	global_store_b32 v[73:74], v76, off
.LBB699_80:
	s_or_b32 exec_lo, exec_lo, s2
	s_waitcnt lgkmcnt(0)
	s_waitcnt_vscnt null, 0x0
	s_barrier
	buffer_gl0_inv
	ds_load_b128 v[91:94], v85
	ds_load_b128 v[95:98], v85 offset:16
	ds_load_b128 v[103:106], v85 offset:1040
	;; [unrolled: 1-line block ×3, first 2 shown]
	v_mov_b32_e32 v73, 0
	ds_load_b128 v[111:114], v85 offset:2064
	ds_load_b128 v[107:110], v85 offset:2048
	ds_load_b128 v[119:122], v85 offset:3088
	ds_load_b128 v[115:118], v85 offset:3072
	ds_load_b128 v[127:130], v85 offset:4112
	ds_load_b128 v[123:126], v85 offset:4096
	v_mov_b32_e32 v74, v73
	v_mov_b32_e32 v75, v73
	;; [unrolled: 1-line block ×7, first 2 shown]
	s_waitcnt lgkmcnt(8)
	s_delay_alu instid0(VALU_DEP_1)
	v_wmma_f32_16x16x16_bf16 v[73:80], v[65:72], v[91:98], v[73:80]
	ds_load_b128 v[69:72], v85 offset:5136
	ds_load_b128 v[65:68], v85 offset:5120
	;; [unrolled: 1-line block ×4, first 2 shown]
	s_waitcnt lgkmcnt(10)
	v_wmma_f32_16x16x16_bf16 v[73:80], v[57:64], v[99:106], v[73:80]
	s_waitcnt lgkmcnt(8)
	s_delay_alu instid0(VALU_DEP_1)
	v_wmma_f32_16x16x16_bf16 v[73:80], v[57:64], v[107:114], v[73:80]
	ds_load_b128 v[61:64], v85 offset:7184
	ds_load_b128 v[57:60], v85 offset:7168
	;; [unrolled: 1-line block ×4, first 2 shown]
	s_waitcnt lgkmcnt(10)
	v_wmma_f32_16x16x16_bf16 v[73:80], v[49:56], v[115:122], v[73:80]
	s_waitcnt lgkmcnt(8)
	s_delay_alu instid0(VALU_DEP_1)
	v_wmma_f32_16x16x16_bf16 v[73:80], v[49:56], v[123:130], v[73:80]
	ds_load_b128 v[53:56], v85 offset:9232
	ds_load_b128 v[49:52], v85 offset:9216
	s_waitcnt lgkmcnt(8)
	v_wmma_f32_16x16x16_bf16 v[73:80], v[41:48], v[65:72], v[73:80]
	ds_load_b128 v[69:72], v85 offset:10256
	ds_load_b128 v[65:68], v85 offset:10240
	s_waitcnt lgkmcnt(8)
	;; [unrolled: 4-line block ×3, first 2 shown]
	v_wmma_f32_16x16x16_bf16 v[73:80], v[9:16], v[57:64], v[73:80]
	s_waitcnt lgkmcnt(6)
	s_delay_alu instid0(VALU_DEP_1)
	v_wmma_f32_16x16x16_bf16 v[73:80], v[9:16], v[99:106], v[73:80]
	ds_load_b128 v[13:16], v85 offset:12304
	ds_load_b128 v[9:12], v85 offset:12288
	s_waitcnt lgkmcnt(6)
	v_wmma_f32_16x16x16_bf16 v[73:80], v[1:8], v[49:56], v[73:80]
	ds_load_b128 v[53:56], v85 offset:13328
	ds_load_b128 v[49:52], v85 offset:13312
	s_waitcnt lgkmcnt(6)
	;; [unrolled: 4-line block ×4, first 2 shown]
	v_wmma_f32_16x16x16_bf16 v[73:80], v[33:40], v[9:16], v[73:80]
	s_waitcnt lgkmcnt(4)
	s_delay_alu instid0(VALU_DEP_1) | instskip(SKIP_1) | instid1(VALU_DEP_1)
	v_wmma_f32_16x16x16_bf16 v[73:80], v[25:32], v[49:56], v[73:80]
	s_waitcnt lgkmcnt(2)
	v_wmma_f32_16x16x16_bf16 v[73:80], v[25:32], v[1:8], v[73:80]
	s_waitcnt lgkmcnt(0)
	s_delay_alu instid0(VALU_DEP_1) | instskip(NEXT) | instid1(VALU_DEP_1)
	v_wmma_f32_16x16x16_bf16 v[73:80], v[17:24], v[41:48], v[73:80]
	v_and_b32_e32 v1, 0x7f800000, v73
	s_delay_alu instid0(VALU_DEP_1) | instskip(SKIP_1) | instid1(SALU_CYCLE_1)
	v_cmp_ne_u32_e32 vcc_lo, 0x7f800000, v1
                                        ; implicit-def: $vgpr1
	s_and_saveexec_b32 s2, vcc_lo
	s_xor_b32 s2, exec_lo, s2
; %bb.81:
	v_bfe_u32 v1, v73, 16, 1
	s_delay_alu instid0(VALU_DEP_1)
	v_add3_u32 v1, v73, v1, 0x7fff
; %bb.82:
	s_and_not1_saveexec_b32 s2, s2
; %bb.83:
	v_and_b32_e32 v1, 0xffff, v73
	v_or_b32_e32 v2, 0x10000, v73
	s_delay_alu instid0(VALU_DEP_2) | instskip(NEXT) | instid1(VALU_DEP_2)
	v_cmp_eq_u32_e32 vcc_lo, 0, v1
	v_cndmask_b32_e32 v1, v2, v73, vcc_lo
; %bb.84:
	s_or_b32 exec_lo, exec_lo, s2
	v_and_b32_e32 v2, 0x7f800000, v74
	s_delay_alu instid0(VALU_DEP_1) | instskip(SKIP_1) | instid1(SALU_CYCLE_1)
	v_cmp_ne_u32_e32 vcc_lo, 0x7f800000, v2
                                        ; implicit-def: $vgpr2
	s_and_saveexec_b32 s2, vcc_lo
	s_xor_b32 s2, exec_lo, s2
; %bb.85:
	v_bfe_u32 v2, v74, 16, 1
	s_delay_alu instid0(VALU_DEP_1)
	v_add3_u32 v2, v74, v2, 0x7fff
; %bb.86:
	s_and_not1_saveexec_b32 s2, s2
; %bb.87:
	v_and_b32_e32 v2, 0xffff, v74
	v_or_b32_e32 v3, 0x10000, v74
	s_delay_alu instid0(VALU_DEP_2) | instskip(NEXT) | instid1(VALU_DEP_2)
	v_cmp_eq_u32_e32 vcc_lo, 0, v2
	v_cndmask_b32_e32 v2, v3, v74, vcc_lo
; %bb.88:
	s_or_b32 exec_lo, exec_lo, s2
	v_and_b32_e32 v3, 0x7f800000, v75
	s_delay_alu instid0(VALU_DEP_1) | instskip(SKIP_1) | instid1(SALU_CYCLE_1)
	v_cmp_ne_u32_e32 vcc_lo, 0x7f800000, v3
                                        ; implicit-def: $vgpr3
	s_and_saveexec_b32 s2, vcc_lo
	s_xor_b32 s2, exec_lo, s2
; %bb.89:
	v_bfe_u32 v3, v75, 16, 1
	s_delay_alu instid0(VALU_DEP_1)
	v_add3_u32 v3, v75, v3, 0x7fff
; %bb.90:
	s_and_not1_saveexec_b32 s2, s2
; %bb.91:
	v_and_b32_e32 v3, 0xffff, v75
	v_or_b32_e32 v4, 0x10000, v75
	s_delay_alu instid0(VALU_DEP_2) | instskip(NEXT) | instid1(VALU_DEP_2)
	v_cmp_eq_u32_e32 vcc_lo, 0, v3
	v_cndmask_b32_e32 v3, v4, v75, vcc_lo
; %bb.92:
	s_or_b32 exec_lo, exec_lo, s2
	v_and_b32_e32 v4, 0x7f800000, v76
	s_delay_alu instid0(VALU_DEP_1) | instskip(SKIP_1) | instid1(SALU_CYCLE_1)
	v_cmp_ne_u32_e32 vcc_lo, 0x7f800000, v4
                                        ; implicit-def: $vgpr4
	s_and_saveexec_b32 s2, vcc_lo
	s_xor_b32 s2, exec_lo, s2
; %bb.93:
	v_bfe_u32 v4, v76, 16, 1
	s_delay_alu instid0(VALU_DEP_1)
	v_add3_u32 v4, v76, v4, 0x7fff
; %bb.94:
	s_and_not1_saveexec_b32 s2, s2
; %bb.95:
	v_and_b32_e32 v4, 0xffff, v76
	v_or_b32_e32 v5, 0x10000, v76
	s_delay_alu instid0(VALU_DEP_2) | instskip(NEXT) | instid1(VALU_DEP_2)
	v_cmp_eq_u32_e32 vcc_lo, 0, v4
	v_cndmask_b32_e32 v4, v5, v76, vcc_lo
; %bb.96:
	s_or_b32 exec_lo, exec_lo, s2
	v_and_b32_e32 v5, 0x7f800000, v77
	s_delay_alu instid0(VALU_DEP_1) | instskip(SKIP_1) | instid1(SALU_CYCLE_1)
	v_cmp_ne_u32_e32 vcc_lo, 0x7f800000, v5
                                        ; implicit-def: $vgpr5
	s_and_saveexec_b32 s2, vcc_lo
	s_xor_b32 s2, exec_lo, s2
; %bb.97:
	v_bfe_u32 v5, v77, 16, 1
	s_delay_alu instid0(VALU_DEP_1)
	v_add3_u32 v5, v77, v5, 0x7fff
; %bb.98:
	s_and_not1_saveexec_b32 s2, s2
; %bb.99:
	v_and_b32_e32 v5, 0xffff, v77
	v_or_b32_e32 v6, 0x10000, v77
	s_delay_alu instid0(VALU_DEP_2) | instskip(NEXT) | instid1(VALU_DEP_2)
	v_cmp_eq_u32_e32 vcc_lo, 0, v5
	v_cndmask_b32_e32 v5, v6, v77, vcc_lo
; %bb.100:
	s_or_b32 exec_lo, exec_lo, s2
	v_and_b32_e32 v6, 0x7f800000, v78
	s_delay_alu instid0(VALU_DEP_1) | instskip(SKIP_1) | instid1(SALU_CYCLE_1)
	v_cmp_ne_u32_e32 vcc_lo, 0x7f800000, v6
                                        ; implicit-def: $vgpr6
	s_and_saveexec_b32 s2, vcc_lo
	s_xor_b32 s2, exec_lo, s2
; %bb.101:
	v_bfe_u32 v6, v78, 16, 1
	s_delay_alu instid0(VALU_DEP_1)
	v_add3_u32 v6, v78, v6, 0x7fff
; %bb.102:
	s_and_not1_saveexec_b32 s2, s2
; %bb.103:
	v_and_b32_e32 v6, 0xffff, v78
	v_or_b32_e32 v7, 0x10000, v78
	s_delay_alu instid0(VALU_DEP_2) | instskip(NEXT) | instid1(VALU_DEP_2)
	v_cmp_eq_u32_e32 vcc_lo, 0, v6
	v_cndmask_b32_e32 v6, v7, v78, vcc_lo
; %bb.104:
	s_or_b32 exec_lo, exec_lo, s2
	v_and_b32_e32 v7, 0x7f800000, v79
	s_delay_alu instid0(VALU_DEP_1) | instskip(SKIP_1) | instid1(SALU_CYCLE_1)
	v_cmp_ne_u32_e32 vcc_lo, 0x7f800000, v7
                                        ; implicit-def: $vgpr7
	s_and_saveexec_b32 s2, vcc_lo
	s_xor_b32 s2, exec_lo, s2
; %bb.105:
	v_bfe_u32 v7, v79, 16, 1
	s_delay_alu instid0(VALU_DEP_1)
	v_add3_u32 v7, v79, v7, 0x7fff
; %bb.106:
	s_and_not1_saveexec_b32 s2, s2
; %bb.107:
	v_and_b32_e32 v7, 0xffff, v79
	v_or_b32_e32 v8, 0x10000, v79
	s_delay_alu instid0(VALU_DEP_2) | instskip(NEXT) | instid1(VALU_DEP_2)
	v_cmp_eq_u32_e32 vcc_lo, 0, v7
	v_cndmask_b32_e32 v7, v8, v79, vcc_lo
; %bb.108:
	s_or_b32 exec_lo, exec_lo, s2
	v_and_b32_e32 v8, 0x7f800000, v80
	s_delay_alu instid0(VALU_DEP_1) | instskip(SKIP_1) | instid1(SALU_CYCLE_1)
	v_cmp_ne_u32_e32 vcc_lo, 0x7f800000, v8
                                        ; implicit-def: $vgpr8
	s_and_saveexec_b32 s2, vcc_lo
	s_xor_b32 s2, exec_lo, s2
; %bb.109:
	v_bfe_u32 v8, v80, 16, 1
	s_delay_alu instid0(VALU_DEP_1)
	v_add3_u32 v8, v80, v8, 0x7fff
                                        ; implicit-def: $vgpr73_vgpr74_vgpr75_vgpr76_vgpr77_vgpr78_vgpr79_vgpr80
; %bb.110:
	s_and_not1_saveexec_b32 s2, s2
; %bb.111:
	v_and_b32_e32 v8, 0xffff, v80
	v_or_b32_e32 v9, 0x10000, v80
	s_delay_alu instid0(VALU_DEP_2) | instskip(NEXT) | instid1(VALU_DEP_2)
	v_cmp_eq_u32_e32 vcc_lo, 0, v8
	v_cndmask_b32_e32 v8, v9, v80, vcc_lo
; %bb.112:
	s_or_b32 exec_lo, exec_lo, s2
	s_delay_alu instid0(VALU_DEP_1)
	v_perm_b32 v7, v8, v7, 0x7060302
	v_perm_b32 v6, v6, v5, 0x7060302
	;; [unrolled: 1-line block ×4, first 2 shown]
	v_lshl_or_b32 v9, v83, 4, v90
	s_barrier
	buffer_gl0_inv
	v_cmp_eq_u32_e32 vcc_lo, 1, v87
	ds_store_b128 v9, v[4:7]
	s_waitcnt lgkmcnt(0)
	s_barrier
	buffer_gl0_inv
	ds_load_b128 v[1:4], v90
	ds_load_b128 v[5:8], v90 offset:16
	v_cmp_eq_u32_e64 s3, 2, v87
	v_cmp_eq_u32_e64 s2, 1, v88
	;; [unrolled: 1-line block ×5, first 2 shown]
	s_waitcnt lgkmcnt(1)
	v_lshrrev_b32_e32 v10, 16, v1
	s_waitcnt lgkmcnt(0)
	v_lshrrev_b32_e32 v14, 16, v5
	v_lshrrev_b32_e32 v15, 16, v6
	;; [unrolled: 1-line block ×4, first 2 shown]
	v_cndmask_b32_e64 v20, v1, v10, s2
	v_cndmask_b32_e32 v19, v5, v14, vcc_lo
	v_cndmask_b32_e64 v21, v5, v14, s2
	v_lshrrev_b32_e32 v16, 16, v7
	v_cmp_eq_u32_e64 s2, 1, v86
	v_lshrrev_b32_e32 v13, 16, v4
	v_cndmask_b32_e64 v19, v19, v6, s3
	v_lshrrev_b32_e32 v17, 16, v8
	s_delay_alu instid0(VALU_DEP_4) | instskip(SKIP_1) | instid1(VALU_DEP_4)
	v_cndmask_b32_e64 v22, v1, v10, s2
	v_cndmask_b32_e64 v23, v5, v14, s2
	;; [unrolled: 1-line block ×3, first 2 shown]
	v_cndmask_b32_e32 v18, v1, v10, vcc_lo
	v_cmp_eq_u32_e32 vcc_lo, 2, v88
	v_cmp_eq_u32_e64 s2, 2, v89
	v_cndmask_b32_e64 v22, v22, v2, s6
	v_cndmask_b32_e32 v20, v20, v2, vcc_lo
	v_cndmask_b32_e32 v21, v21, v6, vcc_lo
	v_cmp_eq_u32_e32 vcc_lo, 4, v87
	v_cndmask_b32_e32 v19, v19, v7, vcc_lo
	v_cndmask_b32_e64 v18, v18, v2, s3
	v_cmp_eq_u32_e64 s3, 3, v88
	s_delay_alu instid0(VALU_DEP_2) | instskip(NEXT) | instid1(VALU_DEP_2)
	v_cndmask_b32_e64 v18, v18, v11, s4
	v_cndmask_b32_e64 v21, v21, v15, s3
	v_cmp_eq_u32_e64 s4, 5, v87
	s_delay_alu instid0(VALU_DEP_3) | instskip(SKIP_1) | instid1(VALU_DEP_3)
	v_cndmask_b32_e32 v18, v18, v3, vcc_lo
	v_cmp_eq_u32_e32 vcc_lo, 4, v88
	v_cndmask_b32_e64 v19, v19, v16, s4
	s_delay_alu instid0(VALU_DEP_3) | instskip(SKIP_4) | instid1(VALU_DEP_3)
	v_cndmask_b32_e64 v18, v18, v12, s4
	v_cndmask_b32_e32 v21, v21, v7, vcc_lo
	v_cndmask_b32_e64 v20, v20, v11, s3
	v_cmp_eq_u32_e64 s3, 5, v88
	v_cmp_eq_u32_e64 s4, 6, v87
	v_cndmask_b32_e32 v20, v20, v3, vcc_lo
	s_delay_alu instid0(VALU_DEP_3) | instskip(SKIP_1) | instid1(VALU_DEP_4)
	v_cndmask_b32_e64 v21, v21, v16, s3
	v_cmp_eq_u32_e32 vcc_lo, 6, v88
	v_cndmask_b32_e64 v18, v18, v4, s4
	v_cndmask_b32_e64 v19, v19, v8, s4
	;; [unrolled: 1-line block ×3, first 2 shown]
	v_cmp_eq_u32_e64 s3, 1, v89
	v_cmp_eq_u32_e64 s4, 7, v87
	s_delay_alu instid0(VALU_DEP_3) | instskip(NEXT) | instid1(VALU_DEP_3)
	v_cndmask_b32_e32 v20, v20, v4, vcc_lo
	v_cndmask_b32_e64 v1, v1, v10, s3
	v_cndmask_b32_e64 v5, v5, v14, s3
	v_cmp_eq_u32_e64 s3, 3, v86
	v_cndmask_b32_e64 v14, v23, v6, s6
	v_cmp_eq_u32_e64 s6, 3, v89
	v_cndmask_b32_e64 v1, v1, v2, s2
	v_cndmask_b32_e64 v2, v5, v6, s2
	;; [unrolled: 1-line block ×3, first 2 shown]
	v_cmp_eq_u32_e64 s2, 4, v86
	v_cndmask_b32_e64 v6, v14, v15, s3
	v_cndmask_b32_e64 v1, v1, v11, s6
	v_cmp_eq_u32_e64 s3, 4, v89
	v_cndmask_b32_e64 v2, v2, v15, s6
	v_cndmask_b32_e64 v5, v10, v3, s2
	;; [unrolled: 3-line block ×3, first 2 shown]
	v_cndmask_b32_e64 v2, v2, v7, s3
	v_cmp_eq_u32_e64 s2, 5, v89
	v_cndmask_b32_e64 v5, v5, v12, s6
	v_cmp_eq_u32_e64 s3, 6, v86
	;; [unrolled: 2-line block ×3, first 2 shown]
	v_cndmask_b32_e64 v1, v1, v12, s2
	v_cndmask_b32_e64 v2, v2, v16, s2
	;; [unrolled: 1-line block ×4, first 2 shown]
	v_cmp_eq_u32_e64 s2, 7, v89
	v_cndmask_b32_e64 v1, v1, v4, s6
	v_cndmask_b32_e64 v2, v2, v8, s6
	v_cmp_eq_u32_e64 s3, 7, v86
	v_cndmask_b32_e32 v4, v21, v8, vcc_lo
	v_cndmask_b32_e64 v18, v18, v13, s4
	v_cndmask_b32_e64 v20, v20, v13, s5
	;; [unrolled: 1-line block ×8, first 2 shown]
	s_mov_b32 s2, exec_lo
	v_perm_b32 v4, v2, v1, 0x5040100
	v_perm_b32 v3, v3, v5, 0x5040100
	;; [unrolled: 1-line block ×4, first 2 shown]
	ds_store_b128 v9, v[1:4]
	s_waitcnt lgkmcnt(0)
	s_barrier
	buffer_gl0_inv
	v_cmpx_gt_u32_e32 32, v0
	s_cbranch_execz .LBB699_2
; %bb.113:
	s_load_b64 s[0:1], s[0:1], 0x68
	s_lshl_b32 s4, s34, 7
	v_or_b32_e32 v2, s29, v83
	s_mul_i32 s2, s4, s30
	v_lshlrev_b32_e32 v0, 10, v0
	s_mul_i32 s2, s2, s7
	v_lshlrev_b32_e32 v1, 4, v84
	s_ashr_i32 s3, s2, 31
	v_mul_lo_u32 v20, v2, s4
	s_lshl_b64 s[2:3], s[2:3], 1
	v_lshlrev_b32_e32 v3, 6, v83
	v_and_b32_e32 v0, 0x3800, v0
	s_delay_alu instid0(VALU_DEP_1) | instskip(NEXT) | instid1(VALU_DEP_4)
	v_or3_b32 v16, v0, v1, v3
	v_ashrrev_i32_e32 v21, 31, v20
	ds_load_b128 v[0:3], v16
	ds_load_b128 v[4:7], v16 offset:128
	s_waitcnt lgkmcnt(0)
	s_add_u32 s2, s0, s2
	s_addc_u32 s3, s1, s3
	s_lshl_b32 s0, s14, 7
	ds_load_b128 v[8:11], v16 offset:256
	ds_load_b128 v[12:15], v16 offset:384
	;; [unrolled: 1-line block ×3, first 2 shown]
	s_ashr_i32 s1, s0, 31
	s_delay_alu instid0(SALU_CYCLE_1) | instskip(NEXT) | instid1(SALU_CYCLE_1)
	s_lshl_b64 s[0:1], s[0:1], 1
	s_add_u32 s0, s2, s0
	s_addc_u32 s1, s3, s1
	s_lshl_b32 s2, s34, 8
	v_add_co_u32 v30, vcc_lo, s0, v81
	v_add_nc_u32_e32 v22, s2, v20
	v_lshlrev_b64 v[20:21], 1, v[20:21]
	v_add_co_ci_u32_e32 v31, vcc_lo, s1, v82, vcc_lo
	s_delay_alu instid0(VALU_DEP_3) | instskip(SKIP_1) | instid1(VALU_DEP_4)
	v_add_nc_u32_e32 v24, s2, v22
	v_ashrrev_i32_e32 v23, 31, v22
	v_add_co_u32 v20, vcc_lo, v30, v20
	s_delay_alu instid0(VALU_DEP_4) | instskip(NEXT) | instid1(VALU_DEP_4)
	v_add_co_ci_u32_e32 v21, vcc_lo, v31, v21, vcc_lo
	v_add_nc_u32_e32 v26, s2, v24
	v_ashrrev_i32_e32 v25, 31, v24
	v_lshlrev_b64 v[22:23], 1, v[22:23]
	s_delay_alu instid0(VALU_DEP_3) | instskip(SKIP_1) | instid1(VALU_DEP_4)
	v_add_nc_u32_e32 v28, s2, v26
	v_ashrrev_i32_e32 v27, 31, v26
	v_lshlrev_b64 v[24:25], 1, v[24:25]
	s_delay_alu instid0(VALU_DEP_4) | instskip(NEXT) | instid1(VALU_DEP_4)
	v_add_co_u32 v22, vcc_lo, v30, v22
	v_ashrrev_i32_e32 v29, 31, v28
	s_delay_alu instid0(VALU_DEP_4) | instskip(SKIP_2) | instid1(VALU_DEP_4)
	v_lshlrev_b64 v[26:27], 1, v[26:27]
	v_add_co_ci_u32_e32 v23, vcc_lo, v31, v23, vcc_lo
	v_add_co_u32 v24, vcc_lo, v30, v24
	v_lshlrev_b64 v[28:29], 1, v[28:29]
	v_add_co_ci_u32_e32 v25, vcc_lo, v31, v25, vcc_lo
	v_add_co_u32 v26, vcc_lo, v30, v26
	v_add_co_ci_u32_e32 v27, vcc_lo, v31, v27, vcc_lo
	s_delay_alu instid0(VALU_DEP_4)
	v_add_co_u32 v28, vcc_lo, v30, v28
	v_add_co_ci_u32_e32 v29, vcc_lo, v31, v29, vcc_lo
	s_clause 0x1
	global_store_b128 v[20:21], v[0:3], off
	global_store_b128 v[22:23], v[4:7], off
	s_waitcnt lgkmcnt(2)
	global_store_b128 v[24:25], v[8:11], off
	s_waitcnt lgkmcnt(1)
	;; [unrolled: 2-line block ×3, first 2 shown]
	global_store_b128 v[28:29], v[16:19], off
	s_nop 0
	s_sendmsg sendmsg(MSG_DEALLOC_VGPRS)
	s_endpgm
	.section	.rodata,"a",@progbits
	.p2align	6, 0x0
	.amdhsa_kernel _Z39paged_attention_ll4mi_QKV_mfma16_kernelI14__hip_bfloat16S0_LN4vllm18Fp8KVCacheDataTypeE0EhLi32ELi128ELi256ELb1ELi10EL8MFMAType0EEvPKT_PKT0_S9_ifPKiSB_SB_iPKfiiiPfSE_PS4_PT2_iSD_SD_
		.amdhsa_group_segment_fixed_size 17472
		.amdhsa_private_segment_fixed_size 0
		.amdhsa_kernarg_size 400
		.amdhsa_user_sgpr_count 13
		.amdhsa_user_sgpr_dispatch_ptr 0
		.amdhsa_user_sgpr_queue_ptr 0
		.amdhsa_user_sgpr_kernarg_segment_ptr 1
		.amdhsa_user_sgpr_dispatch_id 0
		.amdhsa_user_sgpr_private_segment_size 0
		.amdhsa_wavefront_size32 1
		.amdhsa_uses_dynamic_stack 0
		.amdhsa_enable_private_segment 0
		.amdhsa_system_sgpr_workgroup_id_x 1
		.amdhsa_system_sgpr_workgroup_id_y 1
		.amdhsa_system_sgpr_workgroup_id_z 1
		.amdhsa_system_sgpr_workgroup_info 0
		.amdhsa_system_vgpr_workitem_id 0
		.amdhsa_next_free_vgpr 157
		.amdhsa_next_free_sgpr 40
		.amdhsa_reserve_vcc 1
		.amdhsa_float_round_mode_32 0
		.amdhsa_float_round_mode_16_64 0
		.amdhsa_float_denorm_mode_32 3
		.amdhsa_float_denorm_mode_16_64 3
		.amdhsa_dx10_clamp 1
		.amdhsa_ieee_mode 1
		.amdhsa_fp16_overflow 0
		.amdhsa_workgroup_processor_mode 1
		.amdhsa_memory_ordered 1
		.amdhsa_forward_progress 0
		.amdhsa_shared_vgpr_count 0
		.amdhsa_exception_fp_ieee_invalid_op 0
		.amdhsa_exception_fp_denorm_src 0
		.amdhsa_exception_fp_ieee_div_zero 0
		.amdhsa_exception_fp_ieee_overflow 0
		.amdhsa_exception_fp_ieee_underflow 0
		.amdhsa_exception_fp_ieee_inexact 0
		.amdhsa_exception_int_div_zero 0
	.end_amdhsa_kernel
	.section	.text._Z39paged_attention_ll4mi_QKV_mfma16_kernelI14__hip_bfloat16S0_LN4vllm18Fp8KVCacheDataTypeE0EhLi32ELi128ELi256ELb1ELi10EL8MFMAType0EEvPKT_PKT0_S9_ifPKiSB_SB_iPKfiiiPfSE_PS4_PT2_iSD_SD_,"axG",@progbits,_Z39paged_attention_ll4mi_QKV_mfma16_kernelI14__hip_bfloat16S0_LN4vllm18Fp8KVCacheDataTypeE0EhLi32ELi128ELi256ELb1ELi10EL8MFMAType0EEvPKT_PKT0_S9_ifPKiSB_SB_iPKfiiiPfSE_PS4_PT2_iSD_SD_,comdat
.Lfunc_end699:
	.size	_Z39paged_attention_ll4mi_QKV_mfma16_kernelI14__hip_bfloat16S0_LN4vllm18Fp8KVCacheDataTypeE0EhLi32ELi128ELi256ELb1ELi10EL8MFMAType0EEvPKT_PKT0_S9_ifPKiSB_SB_iPKfiiiPfSE_PS4_PT2_iSD_SD_, .Lfunc_end699-_Z39paged_attention_ll4mi_QKV_mfma16_kernelI14__hip_bfloat16S0_LN4vllm18Fp8KVCacheDataTypeE0EhLi32ELi128ELi256ELb1ELi10EL8MFMAType0EEvPKT_PKT0_S9_ifPKiSB_SB_iPKfiiiPfSE_PS4_PT2_iSD_SD_
                                        ; -- End function
	.section	.AMDGPU.csdata,"",@progbits
; Kernel info:
; codeLenInByte = 9816
; NumSgprs: 42
; NumVgprs: 157
; ScratchSize: 0
; MemoryBound: 0
; FloatMode: 240
; IeeeMode: 1
; LDSByteSize: 17472 bytes/workgroup (compile time only)
; SGPRBlocks: 5
; VGPRBlocks: 19
; NumSGPRsForWavesPerEU: 42
; NumVGPRsForWavesPerEU: 157
; Occupancy: 9
; WaveLimiterHint : 1
; COMPUTE_PGM_RSRC2:SCRATCH_EN: 0
; COMPUTE_PGM_RSRC2:USER_SGPR: 13
; COMPUTE_PGM_RSRC2:TRAP_HANDLER: 0
; COMPUTE_PGM_RSRC2:TGID_X_EN: 1
; COMPUTE_PGM_RSRC2:TGID_Y_EN: 1
; COMPUTE_PGM_RSRC2:TGID_Z_EN: 1
; COMPUTE_PGM_RSRC2:TIDIG_COMP_CNT: 0
	.section	.text._Z39paged_attention_ll4mi_QKV_mfma16_kernelI14__hip_bfloat16S0_LN4vllm18Fp8KVCacheDataTypeE0EhLi32ELi128ELi256ELb1ELi11EL8MFMAType0EEvPKT_PKT0_S9_ifPKiSB_SB_iPKfiiiPfSE_PS4_PT2_iSD_SD_,"axG",@progbits,_Z39paged_attention_ll4mi_QKV_mfma16_kernelI14__hip_bfloat16S0_LN4vllm18Fp8KVCacheDataTypeE0EhLi32ELi128ELi256ELb1ELi11EL8MFMAType0EEvPKT_PKT0_S9_ifPKiSB_SB_iPKfiiiPfSE_PS4_PT2_iSD_SD_,comdat
	.protected	_Z39paged_attention_ll4mi_QKV_mfma16_kernelI14__hip_bfloat16S0_LN4vllm18Fp8KVCacheDataTypeE0EhLi32ELi128ELi256ELb1ELi11EL8MFMAType0EEvPKT_PKT0_S9_ifPKiSB_SB_iPKfiiiPfSE_PS4_PT2_iSD_SD_ ; -- Begin function _Z39paged_attention_ll4mi_QKV_mfma16_kernelI14__hip_bfloat16S0_LN4vllm18Fp8KVCacheDataTypeE0EhLi32ELi128ELi256ELb1ELi11EL8MFMAType0EEvPKT_PKT0_S9_ifPKiSB_SB_iPKfiiiPfSE_PS4_PT2_iSD_SD_
	.globl	_Z39paged_attention_ll4mi_QKV_mfma16_kernelI14__hip_bfloat16S0_LN4vllm18Fp8KVCacheDataTypeE0EhLi32ELi128ELi256ELb1ELi11EL8MFMAType0EEvPKT_PKT0_S9_ifPKiSB_SB_iPKfiiiPfSE_PS4_PT2_iSD_SD_
	.p2align	8
	.type	_Z39paged_attention_ll4mi_QKV_mfma16_kernelI14__hip_bfloat16S0_LN4vllm18Fp8KVCacheDataTypeE0EhLi32ELi128ELi256ELb1ELi11EL8MFMAType0EEvPKT_PKT0_S9_ifPKiSB_SB_iPKfiiiPfSE_PS4_PT2_iSD_SD_,@function
_Z39paged_attention_ll4mi_QKV_mfma16_kernelI14__hip_bfloat16S0_LN4vllm18Fp8KVCacheDataTypeE0EhLi32ELi128ELi256ELb1ELi11EL8MFMAType0EEvPKT_PKT0_S9_ifPKiSB_SB_iPKfiiiPfSE_PS4_PT2_iSD_SD_: ; @_Z39paged_attention_ll4mi_QKV_mfma16_kernelI14__hip_bfloat16S0_LN4vllm18Fp8KVCacheDataTypeE0EhLi32ELi128ELi256ELb1ELi11EL8MFMAType0EEvPKT_PKT0_S9_ifPKiSB_SB_iPKfiiiPfSE_PS4_PT2_iSD_SD_
; %bb.0:
	s_load_b64 s[2:3], s[0:1], 0x30
	s_mov_b32 s30, s13
	s_waitcnt lgkmcnt(0)
	s_cmp_lg_u64 s[2:3], 0
	s_cselect_b32 s6, -1, 0
	s_ashr_i32 s31, s13, 31
	s_cmp_eq_u64 s[2:3], 0
	s_cbranch_scc1 .LBB700_3
; %bb.1:
	s_lshl_b64 s[4:5], s[30:31], 2
	s_delay_alu instid0(SALU_CYCLE_1) | instskip(SKIP_4) | instid1(SALU_CYCLE_1)
	s_add_u32 s4, s2, s4
	s_addc_u32 s5, s3, s5
	s_load_b64 s[4:5], s[4:5], 0x0
	s_waitcnt lgkmcnt(0)
	s_sub_i32 s4, s5, s4
	s_cmp_eq_u32 s4, 1
	s_cselect_b32 s4, -1, 0
	s_delay_alu instid0(SALU_CYCLE_1)
	s_and_not1_b32 vcc_lo, exec_lo, s4
	s_cbranch_vccz .LBB700_4
.LBB700_2:
	s_nop 0
	s_sendmsg sendmsg(MSG_DEALLOC_VGPRS)
	s_endpgm
.LBB700_3:
.LBB700_4:
	s_load_b64 s[8:9], s[0:1], 0x28
	s_lshl_b64 s[4:5], s[30:31], 2
	s_waitcnt lgkmcnt(0)
	s_add_u32 s8, s8, s4
	s_addc_u32 s9, s9, s5
	s_lshl_b32 s12, s14, 8
	s_load_b32 s17, s[8:9], 0x0
	s_waitcnt lgkmcnt(0)
	s_cmp_ge_i32 s12, s17
	s_cbranch_scc1 .LBB700_2
; %bb.5:
	s_and_not1_b32 vcc_lo, exec_lo, s6
	s_cbranch_vccnz .LBB700_7
; %bb.6:
	s_add_u32 s2, s2, s4
	s_addc_u32 s3, s3, s5
	s_load_b32 s13, s[2:3], 0x0
	s_branch .LBB700_8
.LBB700_7:
	s_mov_b32 s13, s30
.LBB700_8:
	s_clause 0x2
	s_load_b128 s[8:11], s[0:1], 0x8
	s_load_b64 s[2:3], s[0:1], 0x20
	s_load_b128 s[4:7], s[0:1], 0x48
	v_lshrrev_b32_e32 v74, 5, v0
	v_bfe_u32 v83, v0, 4, 1
	v_and_b32_e32 v73, 15, v0
	s_waitcnt lgkmcnt(0)
	s_mov_b32 s7, exec_lo
	s_delay_alu instid0(VALU_DEP_2) | instskip(NEXT) | instid1(VALU_DEP_2)
	v_lshl_or_b32 v3, v74, 1, v83
	v_lshlrev_b32_e32 v1, 3, v73
	s_delay_alu instid0(VALU_DEP_2)
	v_cmpx_lt_u32_e32 10, v3
	s_xor_b32 s7, exec_lo, s7
; %bb.9:
	v_mov_b32_e32 v2, 0
                                        ; implicit-def: $vgpr3
; %bb.10:
	s_or_saveexec_b32 s7, s7
	v_and_b32_e32 v75, 31, v0
	v_and_b32_e32 v84, 1, v0
	s_mul_i32 s31, s15, 11
	s_xor_b32 exec_lo, exec_lo, s7
	s_cbranch_execz .LBB700_12
; %bb.11:
	s_load_b64 s[18:19], s[0:1], 0x0
	v_add_lshl_u32 v4, v3, s31, 7
	s_mul_hi_i32 s21, s13, s4
	s_mul_i32 s20, s13, s4
	v_lshlrev_b32_e32 v2, 1, v1
	s_lshl_b64 s[20:21], s[20:21], 1
	v_ashrrev_i32_e32 v5, 31, v4
	v_lshlrev_b32_e32 v3, 6, v3
	v_lshlrev_b32_e32 v8, 10, v84
	s_delay_alu instid0(VALU_DEP_3) | instskip(SKIP_3) | instid1(VALU_DEP_1)
	v_lshlrev_b64 v[4:5], 1, v[4:5]
	s_waitcnt lgkmcnt(0)
	s_add_u32 s4, s18, s20
	s_addc_u32 s13, s19, s21
	v_add_co_u32 v4, vcc_lo, s4, v4
	s_delay_alu instid0(VALU_DEP_2) | instskip(NEXT) | instid1(VALU_DEP_2)
	v_add_co_ci_u32_e32 v5, vcc_lo, s13, v5, vcc_lo
	v_add_co_u32 v4, vcc_lo, v4, v2
	s_delay_alu instid0(VALU_DEP_2) | instskip(SKIP_3) | instid1(VALU_DEP_1)
	v_add_co_ci_u32_e32 v5, vcc_lo, 0, v5, vcc_lo
	v_lshlrev_b32_e32 v2, 10, v73
	global_load_b128 v[4:7], v[4:5], off
	v_and_b32_e32 v2, 0x3800, v2
	v_or3_b32 v3, v2, v8, v3
	v_mov_b32_e32 v2, 0
	s_waitcnt vmcnt(0)
	ds_store_b128 v3, v[4:7]
.LBB700_12:
	s_or_b32 exec_lo, exec_lo, s7
	v_add_nc_u32_e32 v80, -11, v73
	v_and_b32_e32 v3, 0xef, v0
	s_add_i32 s4, s17, 31
	s_clause 0x1
	s_load_b32 s7, s[0:1], 0x38
	s_load_b32 s18, s[0:1], 0x1c
	s_ashr_i32 s13, s4, 31
	v_add_nc_u32_e32 v3, s12, v3
	s_lshr_b32 s13, s13, 27
	s_waitcnt lgkmcnt(0)
	s_add_i32 s4, s4, s13
	s_barrier
	v_ashrrev_i32_e32 v4, 31, v3
	v_cmp_gt_i32_e32 vcc_lo, s17, v3
	s_ashr_i32 s4, s4, 5
	buffer_gl0_inv
	s_add_i32 s4, s4, -1
	v_lshrrev_b32_e32 v5, 27, v4
	v_or_b32_e32 v4, 16, v3
	v_lshlrev_b64 v[81:82], 1, v[1:2]
	s_delay_alu instid0(VALU_DEP_3) | instskip(NEXT) | instid1(VALU_DEP_3)
	v_add_nc_u32_e32 v6, v3, v5
	v_add_nc_u32_e32 v5, v4, v5
	s_mul_i32 s20, s30, s7
	s_delay_alu instid0(SALU_CYCLE_1) | instskip(NEXT) | instid1(VALU_DEP_2)
	s_ashr_i32 s21, s20, 31
	v_ashrrev_i32_e32 v6, 5, v6
	s_delay_alu instid0(VALU_DEP_2) | instskip(SKIP_1) | instid1(SALU_CYCLE_1)
	v_ashrrev_i32_e32 v5, 5, v5
	s_lshl_b64 s[20:21], s[20:21], 2
	s_add_u32 s7, s2, s20
	s_delay_alu instid0(VALU_DEP_2) | instskip(SKIP_3) | instid1(VALU_DEP_2)
	v_cndmask_b32_e32 v3, s4, v6, vcc_lo
	v_cmp_gt_i32_e32 vcc_lo, s17, v4
	s_addc_u32 s13, s3, s21
	s_mul_i32 s2, s15, s6
	v_ashrrev_i32_e32 v4, 31, v3
	v_cndmask_b32_e32 v5, s4, v5, vcc_lo
	s_ashr_i32 s3, s2, 31
	s_delay_alu instid0(SALU_CYCLE_1) | instskip(NEXT) | instid1(VALU_DEP_2)
	s_lshl_b64 s[2:3], s[2:3], 1
	v_lshlrev_b64 v[3:4], 2, v[3:4]
	s_delay_alu instid0(VALU_DEP_2) | instskip(SKIP_3) | instid1(VALU_DEP_1)
	v_ashrrev_i32_e32 v6, 31, v5
	s_add_u32 s6, s8, s2
	s_addc_u32 s15, s9, s3
	s_lshl_b32 s8, s14, 3
	v_lshlrev_b64 v[5:6], 2, v[5:6]
	v_add_co_u32 v3, vcc_lo, s7, v3
	v_add_co_ci_u32_e32 v4, vcc_lo, s13, v4, vcc_lo
	s_ashr_i32 s9, s8, 31
	s_delay_alu instid0(VALU_DEP_3) | instskip(NEXT) | instid1(VALU_DEP_4)
	v_add_co_u32 v5, vcc_lo, s7, v5
	v_add_co_ci_u32_e32 v6, vcc_lo, s13, v6, vcc_lo
	s_clause 0x1
	global_load_b32 v7, v[3:4], off
	global_load_b32 v8, v[5:6], off
	s_lshl_b64 s[8:9], s[8:9], 2
	s_delay_alu instid0(SALU_CYCLE_1) | instskip(SKIP_2) | instid1(SALU_CYCLE_1)
	s_add_u32 s8, s7, s8
	s_addc_u32 s9, s13, s9
	s_or_b32 s16, s12, 32
	s_ashr_i32 s19, s16, 5
	s_cmp_lt_i32 s16, s17
	s_cselect_b32 s20, s19, s4
	s_delay_alu instid0(SALU_CYCLE_1) | instskip(NEXT) | instid1(SALU_CYCLE_1)
	s_ashr_i32 s21, s20, 31
	s_lshl_b64 s[20:21], s[20:21], 2
	s_delay_alu instid0(SALU_CYCLE_1) | instskip(SKIP_2) | instid1(SALU_CYCLE_1)
	s_add_u32 s20, s7, s20
	s_addc_u32 s21, s13, s21
	s_or_b32 s16, s12, 64
	s_ashr_i32 s19, s16, 5
	s_cmp_lt_i32 s16, s17
	s_cselect_b32 s22, s19, s4
	s_delay_alu instid0(SALU_CYCLE_1) | instskip(NEXT) | instid1(SALU_CYCLE_1)
	s_ashr_i32 s23, s22, 31
	;; [unrolled: 10-line block ×5, first 2 shown]
	s_lshl_b64 s[28:29], s[28:29], 2
	s_delay_alu instid0(SALU_CYCLE_1)
	s_add_u32 s28, s7, s28
	s_addc_u32 s29, s13, s29
	s_clause 0x5
	s_load_b32 s16, s[8:9], 0x0
	s_load_b32 s19, s[20:21], 0x0
	;; [unrolled: 1-line block ×6, first 2 shown]
	s_mov_b32 s20, 0
	s_delay_alu instid0(SALU_CYCLE_1)
	s_mov_b32 s27, s20
	s_mov_b32 s24, s20
	;; [unrolled: 1-line block ×7, first 2 shown]
	v_dual_mov_b32 v108, s27 :: v_dual_mov_b32 v105, s24
	v_dual_mov_b32 v107, s26 :: v_dual_mov_b32 v106, s25
	;; [unrolled: 1-line block ×4, first 2 shown]
	s_waitcnt lgkmcnt(0)
	s_mul_hi_i32 s29, s34, s5
	s_mul_i32 s28, s34, s5
	s_mul_hi_i32 s21, s16, s5
	s_mul_i32 s20, s16, s5
	;; [unrolled: 2-line block ×5, first 2 shown]
	s_waitcnt vmcnt(1)
	v_mad_i64_i32 v[3:4], null, v7, s5, 0
	s_waitcnt vmcnt(0)
	v_mad_i64_i32 v[5:6], null, v8, s5, 0
	s_delay_alu instid0(VALU_DEP_2) | instskip(NEXT) | instid1(VALU_DEP_2)
	v_lshlrev_b64 v[3:4], 1, v[3:4]
	v_lshlrev_b64 v[1:2], 1, v[5:6]
	s_delay_alu instid0(VALU_DEP_2) | instskip(NEXT) | instid1(VALU_DEP_3)
	v_add_co_u32 v3, vcc_lo, s6, v3
	v_add_co_ci_u32_e32 v4, vcc_lo, s15, v4, vcc_lo
	s_delay_alu instid0(VALU_DEP_3) | instskip(NEXT) | instid1(VALU_DEP_4)
	v_add_co_u32 v1, vcc_lo, s6, v1
	v_add_co_ci_u32_e32 v2, vcc_lo, s15, v2, vcc_lo
	s_delay_alu instid0(VALU_DEP_4) | instskip(NEXT) | instid1(VALU_DEP_4)
	v_add_co_u32 v65, vcc_lo, v3, v81
	v_add_co_ci_u32_e32 v66, vcc_lo, v4, v82, vcc_lo
	s_delay_alu instid0(VALU_DEP_4) | instskip(NEXT) | instid1(VALU_DEP_4)
	v_add_co_u32 v76, vcc_lo, v1, v81
	v_add_co_ci_u32_e32 v77, vcc_lo, v2, v82, vcc_lo
	s_clause 0xf
	global_load_b128 v[1:4], v[65:66], off
	global_load_b128 v[5:8], v[65:66], off offset:512
	global_load_b128 v[9:12], v[76:77], off offset:256
	;; [unrolled: 1-line block ×15, first 2 shown]
	v_add_co_u32 v78, vcc_lo, 0x1000, v65
	v_add_co_ci_u32_e32 v79, vcc_lo, 0, v66, vcc_lo
	v_cmp_gt_u32_e32 vcc_lo, 11, v73
	s_clause 0x1
	global_load_b128 v[65:68], v[78:79], off
	global_load_b128 v[69:72], v[78:79], off offset:512
	s_or_b32 s6, s12, 0xc0
	v_cndmask_b32_e32 v80, v80, v73, vcc_lo
	v_add_co_u32 v76, vcc_lo, 0x1000, v76
	v_add_co_ci_u32_e32 v77, vcc_lo, 0, v77, vcc_lo
	s_delay_alu instid0(VALU_DEP_3)
	v_lshlrev_b32_e32 v80, 6, v80
	ds_load_b128 v[85:88], v80
	ds_load_b128 v[89:92], v80 offset:1024
	s_clause 0x1
	global_load_b128 v[93:96], v[76:77], off offset:256
	global_load_b128 v[97:100], v[76:77], off offset:768
	ds_load_b128 v[109:112], v80 offset:2048
	ds_load_b128 v[113:116], v80 offset:3072
	s_ashr_i32 s8, s6, 5
	s_cmp_lt_i32 s6, s17
	s_cselect_b32 s8, s8, s4
	s_delay_alu instid0(SALU_CYCLE_1) | instskip(NEXT) | instid1(SALU_CYCLE_1)
	s_ashr_i32 s9, s8, 31
	s_lshl_b64 s[8:9], s[8:9], 2
	s_delay_alu instid0(SALU_CYCLE_1) | instskip(SKIP_2) | instid1(SALU_CYCLE_1)
	s_add_u32 s8, s7, s8
	s_addc_u32 s9, s13, s9
	s_or_b32 s6, s12, 0xe0
	s_ashr_i32 s15, s6, 5
	s_cmp_lt_i32 s6, s17
	s_cselect_b32 s24, s15, s4
	s_delay_alu instid0(SALU_CYCLE_1) | instskip(NEXT) | instid1(SALU_CYCLE_1)
	s_ashr_i32 s25, s24, 31
	s_lshl_b64 s[24:25], s[24:25], 2
	s_delay_alu instid0(SALU_CYCLE_1) | instskip(SKIP_2) | instid1(SALU_CYCLE_1)
	s_add_u32 s24, s7, s24
	s_addc_u32 s25, s13, s25
	s_add_i32 s6, s12, 0x100
	s_ashr_i32 s15, s6, 5
	s_cmp_lt_i32 s6, s17
	s_cselect_b32 s34, s15, s4
	s_waitcnt vmcnt(18) lgkmcnt(2)
	v_wmma_f32_16x16x16_bf16 v[117:124], v[1:8], v[85:92], v[101:108]
	s_waitcnt vmcnt(16)
	v_wmma_f32_16x16x16_bf16 v[101:108], v[9:16], v[85:92], v[101:108]
	s_clause 0x3
	global_load_b128 v[1:4], v[78:79], off offset:1024
	global_load_b128 v[5:8], v[78:79], off offset:1536
	;; [unrolled: 1-line block ×4, first 2 shown]
	s_waitcnt vmcnt(18) lgkmcnt(0)
	v_wmma_f32_16x16x16_bf16 v[117:124], v[17:24], v[109:116], v[117:124]
	s_clause 0x1
	global_load_b128 v[17:20], v[78:79], off offset:2048
	global_load_b128 v[21:24], v[78:79], off offset:2560
	s_waitcnt vmcnt(18)
	v_wmma_f32_16x16x16_bf16 v[101:108], v[25:32], v[109:116], v[101:108]
	ds_load_b128 v[25:28], v80 offset:4096
	ds_load_b128 v[29:32], v80 offset:5120
	s_clause 0x5
	global_load_b128 v[109:112], v[76:77], off offset:2304
	global_load_b128 v[113:116], v[76:77], off offset:2816
	;; [unrolled: 1-line block ×6, first 2 shown]
	s_waitcnt vmcnt(22) lgkmcnt(0)
	v_wmma_f32_16x16x16_bf16 v[117:124], v[33:40], v[25:32], v[117:124]
	s_waitcnt vmcnt(20)
	v_wmma_f32_16x16x16_bf16 v[101:108], v[41:48], v[25:32], v[101:108]
	ds_load_b128 v[25:28], v80 offset:6144
	ds_load_b128 v[29:32], v80 offset:7168
	ds_load_b128 v[33:36], v80 offset:8192
	ds_load_b128 v[37:40], v80 offset:9216
	s_waitcnt vmcnt(18) lgkmcnt(2)
	v_wmma_f32_16x16x16_bf16 v[117:124], v[49:56], v[25:32], v[117:124]
	s_waitcnt vmcnt(16)
	v_wmma_f32_16x16x16_bf16 v[101:108], v[57:64], v[25:32], v[101:108]
	ds_load_b128 v[25:28], v80 offset:10240
	ds_load_b128 v[29:32], v80 offset:11264
	;; [unrolled: 1-line block ×6, first 2 shown]
	s_waitcnt vmcnt(14) lgkmcnt(6)
	v_wmma_f32_16x16x16_bf16 v[117:124], v[65:72], v[33:40], v[117:124]
	s_load_b32 s16, s[8:9], 0x0
	s_mul_hi_i32 s9, s35, s5
	s_mul_i32 s8, s35, s5
	s_ashr_i32 s35, s34, 31
	s_waitcnt vmcnt(12)
	v_wmma_f32_16x16x16_bf16 v[101:108], v[93:100], v[33:40], v[101:108]
	s_lshl_b64 s[34:35], s[34:35], 2
	s_delay_alu instid0(SALU_CYCLE_1)
	s_add_u32 s6, s7, s34
	s_addc_u32 s7, s13, s35
	s_add_u32 s4, s10, s2
	s_addc_u32 s19, s11, s3
	s_lshl_b64 s[2:3], s[20:21], 1
	s_clause 0x1
	s_load_b32 s13, s[24:25], 0x0
	s_load_b32 s15, s[6:7], 0x0
	s_lshl_b64 s[6:7], s[22:23], 1
	s_lshl_b64 s[10:11], s[26:27], 1
	;; [unrolled: 1-line block ×5, first 2 shown]
	s_waitcnt lgkmcnt(0)
	s_mul_hi_i32 s25, s16, s5
	s_mul_i32 s24, s16, s5
	s_waitcnt vmcnt(10)
	v_wmma_f32_16x16x16_bf16 v[117:124], v[1:8], v[25:32], v[117:124]
	s_waitcnt vmcnt(8)
	v_wmma_f32_16x16x16_bf16 v[101:108], v[9:16], v[25:32], v[101:108]
	s_waitcnt vmcnt(6)
	s_delay_alu instid0(VALU_DEP_2) | instskip(SKIP_1) | instid1(VALU_DEP_2)
	v_wmma_f32_16x16x16_bf16 v[117:124], v[17:24], v[141:148], v[117:124]
	s_waitcnt vmcnt(4)
	v_wmma_f32_16x16x16_bf16 v[101:108], v[109:116], v[141:148], v[101:108]
	s_waitcnt vmcnt(2)
	s_delay_alu instid0(VALU_DEP_2) | instskip(SKIP_3) | instid1(VALU_DEP_3)
	v_wmma_f32_16x16x16_bf16 v[117:124], v[125:132], v[149:156], v[117:124]
	v_lshlrev_b32_e32 v85, 6, v73
	s_waitcnt vmcnt(0)
	v_wmma_f32_16x16x16_bf16 v[101:108], v[133:140], v[149:156], v[101:108]
	v_mul_f32_e32 v100, s18, v124
	s_delay_alu instid0(VALU_DEP_3) | instskip(SKIP_2) | instid1(VALU_DEP_3)
	v_lshl_or_b32 v41, v74, 10, v85
	v_mul_f32_e32 v99, s18, v118
	v_mul_f32_e32 v97, s18, v117
	v_add_co_u32 v76, s4, s4, v41
	s_delay_alu instid0(VALU_DEP_1) | instskip(NEXT) | instid1(VALU_DEP_2)
	v_add_co_ci_u32_e64 v77, null, s19, 0, s4
	v_add_co_u32 v41, vcc_lo, v76, s2
	s_delay_alu instid0(VALU_DEP_2)
	v_add_co_ci_u32_e32 v42, vcc_lo, s3, v77, vcc_lo
	v_add_co_u32 v33, vcc_lo, v76, s6
	v_add_co_ci_u32_e32 v34, vcc_lo, s7, v77, vcc_lo
	v_add_co_u32 v35, vcc_lo, v76, s10
	;; [unrolled: 2-line block ×5, first 2 shown]
	s_lshl_b64 s[2:3], s[24:25], 1
	v_add_co_ci_u32_e32 v6, vcc_lo, s23, v77, vcc_lo
	s_mul_hi_i32 s7, s13, s5
	s_mul_i32 s6, s13, s5
	v_add_co_u32 v17, vcc_lo, v76, s2
	v_add_co_ci_u32_e32 v18, vcc_lo, s3, v77, vcc_lo
	s_lshl_b64 s[2:3], s[6:7], 1
	s_mul_hi_i32 s7, s15, s5
	s_mul_i32 s6, s15, s5
	v_add_co_u32 v19, vcc_lo, v76, s2
	v_add_co_ci_u32_e32 v20, vcc_lo, s3, v77, vcc_lo
	s_lshl_b64 s[2:3], s[6:7], 1
	s_clause 0x1
	global_load_b128 v[65:68], v[41:42], off
	global_load_b128 v[69:72], v[41:42], off offset:16
	v_add_co_u32 v21, vcc_lo, v76, s2
	v_add_co_ci_u32_e32 v22, vcc_lo, s3, v77, vcc_lo
	s_clause 0xf
	global_load_b128 v[57:60], v[33:34], off
	global_load_b128 v[61:64], v[33:34], off offset:16
	global_load_b128 v[49:52], v[35:36], off
	global_load_b128 v[53:56], v[35:36], off offset:16
	;; [unrolled: 2-line block ×8, first 2 shown]
	v_mbcnt_lo_u32_b32 v77, -1, 0
	s_waitcnt vmcnt(0)
	s_barrier
	buffer_gl0_inv
	v_xor_b32_e32 v78, 16, v77
	s_delay_alu instid0(VALU_DEP_1) | instskip(SKIP_1) | instid1(VALU_DEP_1)
	v_cmp_gt_i32_e32 vcc_lo, 32, v78
	v_dual_cndmask_b32 v77, v77, v78 :: v_dual_and_b32 v76, 0xe0, v0
	v_add_nc_u32_e32 v76, s12, v76
	s_delay_alu instid0(VALU_DEP_1) | instskip(NEXT) | instid1(VALU_DEP_1)
	v_or_b32_e32 v76, v76, v83
	v_or_b32_e32 v78, 2, v76
	;; [unrolled: 1-line block ×4, first 2 shown]
	v_cmp_gt_i32_e32 vcc_lo, s17, v76
	v_or_b32_e32 v86, 8, v76
	v_cmp_gt_i32_e64 s2, s17, v78
	v_or_b32_e32 v87, 10, v76
	v_or_b32_e32 v88, 12, v76
	;; [unrolled: 1-line block ×11, first 2 shown]
	v_cndmask_b32_e32 v76, 0xff7fffff, v97, vcc_lo
	v_cmp_gt_i32_e64 s3, s17, v80
	v_mul_f32_e32 v80, s18, v119
	v_cndmask_b32_e64 v78, 0xff7fffff, v99, s2
	v_mul_f32_e32 v99, s18, v120
	v_cmp_gt_i32_e64 s4, s17, v79
	v_mul_f32_e32 v97, s18, v123
	v_mul_f32_e32 v79, s18, v122
	v_max3_f32 v76, v76, 0xff7fffff, v78
	v_mul_f32_e32 v78, s18, v121
	v_cndmask_b32_e64 v80, 0xff7fffff, v80, s4
	v_cmp_gt_i32_e64 s5, s17, v86
	v_cmp_gt_i32_e64 s6, s17, v87
	v_mul_f32_e32 v86, s18, v107
	v_cndmask_b32_e64 v99, 0xff7fffff, v99, s3
	v_cmp_gt_i32_e64 s7, s17, v89
	v_cndmask_b32_e64 v78, 0xff7fffff, v78, s5
	v_cmp_gt_i32_e64 s8, s17, v88
	v_mul_f32_e32 v89, s18, v101
	v_max3_f32 v76, v76, v80, v99
	v_mul_f32_e32 v80, s18, v108
	v_cndmask_b32_e64 v79, 0xff7fffff, v79, s6
	v_dual_mul_f32 v99, s18, v105 :: v_dual_mul_f32 v88, s18, v102
	v_cndmask_b32_e64 v97, 0xff7fffff, v97, s8
	v_cndmask_b32_e64 v100, 0xff7fffff, v100, s7
	s_delay_alu instid0(VALU_DEP_4) | instskip(SKIP_4) | instid1(VALU_DEP_4)
	v_max3_f32 v76, v76, v78, v79
	v_cmp_gt_i32_e64 s9, s17, v90
	v_cmp_gt_i32_e64 s10, s17, v91
	v_dual_mul_f32 v87, s18, v106 :: v_dual_mul_f32 v78, s18, v104
	v_mul_f32_e32 v79, s18, v103
	v_cndmask_b32_e64 v89, 0xff7fffff, v89, s9
	s_delay_alu instid0(VALU_DEP_4)
	v_cndmask_b32_e64 v88, 0xff7fffff, v88, s10
	v_max3_f32 v76, v76, v97, v100
	v_cmp_gt_i32_e64 s11, s17, v92
	v_cmp_gt_i32_e64 s12, s17, v93
	;; [unrolled: 1-line block ×4, first 2 shown]
	v_max3_f32 v76, v76, v89, v88
	v_cndmask_b32_e64 v79, 0xff7fffff, v79, s11
	v_cndmask_b32_e64 v78, 0xff7fffff, v78, s12
	;; [unrolled: 1-line block ×4, first 2 shown]
	v_cmp_gt_i32_e64 s16, s17, v96
	v_cmp_gt_i32_e64 s17, s17, v98
	v_max3_f32 v76, v76, v79, v78
	v_lshlrev_b32_e32 v99, 2, v77
	s_delay_alu instid0(VALU_DEP_4) | instskip(NEXT) | instid1(VALU_DEP_4)
	v_cndmask_b32_e64 v78, 0xff7fffff, v86, s16
	v_cndmask_b32_e64 v79, 0xff7fffff, v80, s17
	s_delay_alu instid0(VALU_DEP_4) | instskip(NEXT) | instid1(VALU_DEP_1)
	v_max3_f32 v76, v76, v88, v87
	v_max3_f32 v76, v76, v78, v79
	ds_bpermute_b32 v77, v99, v76
	s_waitcnt lgkmcnt(0)
	v_max_f32_e32 v77, v77, v77
	s_delay_alu instid0(VALU_DEP_1) | instskip(NEXT) | instid1(VALU_DEP_1)
	v_max_f32_e32 v76, v76, v77
	v_fma_f32 v78, s18, v118, -v76
	v_fma_f32 v77, s18, v117, -v76
	;; [unrolled: 1-line block ×5, first 2 shown]
	v_mul_f32_e32 v78, 0x3fb8aa3b, v78
	v_fma_f32 v87, s18, v123, -v76
	v_fma_f32 v88, s18, v105, -v76
	v_mul_f32_e32 v80, 0x3fb8aa3b, v80
	v_mul_f32_e32 v86, 0x3fb8aa3b, v86
	v_exp_f32_e32 v78, v78
	v_fma_f32 v90, s18, v107, -v76
	v_fma_f32 v100, s18, v108, -v76
	v_exp_f32_e32 v80, v80
	v_exp_f32_e32 v86, v86
	v_mul_f32_e32 v88, 0x3fb8aa3b, v88
	s_delay_alu instid0(VALU_DEP_2) | instskip(NEXT) | instid1(TRANS32_DEP_3)
	v_mul_f32_e32 v100, 0x3fb8aa3b, v100
	v_cndmask_b32_e64 v91, 0, v78, s2
	v_mul_f32_e32 v77, 0x3fb8aa3b, v77
	s_delay_alu instid0(VALU_DEP_4) | instskip(NEXT) | instid1(TRANS32_DEP_3)
	v_exp_f32_e32 v88, v88
	v_cndmask_b32_e64 v95, 0, v80, s3
	v_fma_f32 v80, s18, v101, -v76
	s_delay_alu instid0(TRANS32_DEP_2)
	v_cndmask_b32_e64 v96, 0, v86, s5
	v_exp_f32_e32 v77, v77
	v_mul_f32_e32 v79, 0x3fb8aa3b, v79
	v_fma_f32 v86, s18, v102, -v76
	v_mul_f32_e32 v80, 0x3fb8aa3b, v80
	v_cmp_gt_u32_e64 s2, 16, v75
	v_exp_f32_e32 v100, v100
	s_delay_alu instid0(VALU_DEP_2) | instskip(NEXT) | instid1(TRANS32_DEP_3)
	v_exp_f32_e32 v80, v80
	v_cndmask_b32_e32 v92, 0, v77, vcc_lo
	v_exp_f32_e32 v79, v79
	v_fma_f32 v77, s18, v122, -v76
	s_delay_alu instid0(VALU_DEP_2) | instskip(NEXT) | instid1(VALU_DEP_1)
	v_add_f32_e32 v78, 0, v92
	v_add_f32_e32 v78, v78, v91
	s_waitcnt_depctr 0xfff
	v_cndmask_b32_e64 v93, 0, v79, s4
	v_mul_f32_e32 v87, 0x3fb8aa3b, v87
	v_fma_f32 v79, s18, v124, -v76
	s_delay_alu instid0(VALU_DEP_3) | instskip(SKIP_1) | instid1(VALU_DEP_3)
	v_add_f32_e32 v78, v78, v93
	v_mul_f32_e32 v77, 0x3fb8aa3b, v77
	v_mul_f32_e32 v79, 0x3fb8aa3b, v79
	v_exp_f32_e32 v87, v87
	s_delay_alu instid0(VALU_DEP_3) | instskip(NEXT) | instid1(VALU_DEP_3)
	v_add_f32_e32 v78, v78, v95
	v_exp_f32_e32 v77, v77
	s_delay_alu instid0(VALU_DEP_2) | instskip(NEXT) | instid1(TRANS32_DEP_3)
	v_exp_f32_e32 v79, v79
	v_cndmask_b32_e64 v94, 0, v87, s8
	v_fma_f32 v87, s18, v104, -v76
	s_waitcnt_depctr 0xfff
	v_cndmask_b32_e64 v97, 0, v77, s6
	v_add_f32_e32 v77, v78, v96
	v_fma_f32 v78, s18, v103, -v76
	v_mul_f32_e32 v86, 0x3fb8aa3b, v86
	v_cndmask_b32_e64 v98, 0, v79, s7
	v_mul_f32_e32 v87, 0x3fb8aa3b, v87
	s_delay_alu instid0(VALU_DEP_4) | instskip(NEXT) | instid1(VALU_DEP_4)
	v_dual_add_f32 v77, v77, v97 :: v_dual_mul_f32 v78, 0x3fb8aa3b, v78
	v_exp_f32_e32 v86, v86
	s_delay_alu instid0(VALU_DEP_2) | instskip(NEXT) | instid1(VALU_DEP_1)
	v_exp_f32_e32 v87, v87
	v_add_f32_e32 v79, v77, v94
	s_delay_alu instid0(VALU_DEP_2) | instskip(SKIP_2) | instid1(VALU_DEP_3)
	v_exp_f32_e32 v89, v78
	v_cndmask_b32_e64 v77, 0, v80, s9
	v_fma_f32 v80, s18, v106, -v76
	v_add_f32_e32 v79, v79, v98
	s_delay_alu instid0(TRANS32_DEP_3) | instskip(NEXT) | instid1(VALU_DEP_3)
	v_cndmask_b32_e64 v78, 0, v86, s10
	v_mul_f32_e32 v80, 0x3fb8aa3b, v80
	s_delay_alu instid0(VALU_DEP_3) | instskip(NEXT) | instid1(TRANS32_DEP_1)
	v_add_f32_e32 v86, v79, v77
	v_cndmask_b32_e64 v79, 0, v89, s11
	v_mul_f32_e32 v89, 0x3fb8aa3b, v90
	s_delay_alu instid0(VALU_DEP_4) | instskip(SKIP_2) | instid1(VALU_DEP_3)
	v_exp_f32_e32 v90, v80
	v_cndmask_b32_e64 v80, 0, v87, s12
	v_add_f32_e32 v86, v86, v78
	v_exp_f32_e32 v89, v89
	s_delay_alu instid0(VALU_DEP_1) | instskip(SKIP_1) | instid1(VALU_DEP_2)
	v_add_f32_e32 v87, v86, v79
	v_cndmask_b32_e64 v86, 0, v88, s13
	v_add_f32_e32 v88, v87, v80
	s_delay_alu instid0(TRANS32_DEP_2) | instskip(NEXT) | instid1(VALU_DEP_2)
	v_cndmask_b32_e64 v87, 0, v90, s15
	v_add_f32_e32 v90, v88, v86
	s_waitcnt_depctr 0xfff
	v_cndmask_b32_e64 v88, 0, v89, s16
	v_add_f32_e32 v89, v90, v87
	s_delay_alu instid0(VALU_DEP_1) | instskip(SKIP_1) | instid1(VALU_DEP_1)
	v_add_f32_e32 v90, v89, v88
	v_cndmask_b32_e64 v89, 0, v100, s17
	v_add_f32_e32 v90, v90, v89
	ds_bpermute_b32 v99, v99, v90
	s_and_saveexec_b32 s3, s2
	s_cbranch_execz .LBB700_14
; %bb.13:
	v_mul_u32_u24_e32 v75, 0x44, v74
	s_waitcnt lgkmcnt(0)
	v_add_f32_e32 v90, v90, v99
	s_delay_alu instid0(VALU_DEP_2) | instskip(NEXT) | instid1(VALU_DEP_1)
	v_lshl_add_u32 v75, v73, 2, v75
	v_add_nc_u32_e32 v75, 0x4000, v75
	ds_store_2addr_b32 v75, v76, v90 offset1:136
.LBB700_14:
	s_or_b32 exec_lo, exec_lo, s3
	v_lshlrev_b32_e32 v75, 2, v73
	s_waitcnt lgkmcnt(0)
	s_barrier
	buffer_gl0_inv
	v_cmp_eq_u32_e64 s3, 1, v74
	v_add_nc_u32_e32 v90, 0x4000, v75
	ds_load_2addr_b32 v[99:100], v90 offset1:17
	ds_load_2addr_b32 v[101:102], v90 offset0:34 offset1:51
	ds_load_2addr_b32 v[103:104], v90 offset0:68 offset1:85
	;; [unrolled: 1-line block ×4, first 2 shown]
	s_waitcnt lgkmcnt(4)
	v_max3_f32 v75, v99, 0xff7fffff, v100
	s_waitcnt lgkmcnt(3)
	s_delay_alu instid0(VALU_DEP_1) | instskip(SKIP_1) | instid1(VALU_DEP_1)
	v_max3_f32 v75, v75, v101, v102
	s_waitcnt lgkmcnt(2)
	v_max3_f32 v75, v75, v103, v104
	s_waitcnt lgkmcnt(1)
	s_delay_alu instid0(VALU_DEP_1) | instskip(NEXT) | instid1(VALU_DEP_1)
	v_max3_f32 v75, v75, v105, v106
	v_sub_f32_e32 v109, v100, v75
	v_sub_f32_e32 v76, v99, v75
	ds_load_2addr_b32 v[99:100], v90 offset0:170 offset1:187
	v_sub_f32_e32 v101, v101, v75
	v_dual_mul_f32 v109, 0x3fb8aa3b, v109 :: v_dual_mul_f32 v76, 0x3fb8aa3b, v76
	s_delay_alu instid0(VALU_DEP_2) | instskip(NEXT) | instid1(VALU_DEP_2)
	v_mul_f32_e32 v111, 0x3fb8aa3b, v101
	v_exp_f32_e32 v109, v109
	s_delay_alu instid0(VALU_DEP_2)
	v_exp_f32_e32 v110, v76
	v_sub_f32_e32 v76, v102, v75
	ds_load_2addr_b32 v[101:102], v90 offset0:204 offset1:221
	v_exp_f32_e32 v111, v111
	v_mul_f32_e32 v112, 0x3fb8aa3b, v76
	s_waitcnt lgkmcnt(2)
	v_fma_f32 v76, v110, v107, 0
	v_sub_f32_e32 v103, v103, v75
	s_delay_alu instid0(VALU_DEP_3) | instskip(NEXT) | instid1(VALU_DEP_2)
	v_exp_f32_e32 v112, v112
	v_dual_sub_f32 v107, v104, v75 :: v_dual_fmac_f32 v76, v109, v108
	s_waitcnt lgkmcnt(1)
	s_waitcnt_depctr 0xfff
	v_fmac_f32_e32 v76, v111, v99
	v_mul_f32_e32 v113, 0x3fb8aa3b, v103
	ds_load_2addr_b32 v[103:104], v90 offset0:238 offset1:255
	v_sub_f32_e32 v90, v105, v75
	v_dual_sub_f32 v99, v106, v75 :: v_dual_fmac_f32 v76, v112, v100
	v_mul_f32_e32 v105, 0x3fb8aa3b, v107
	v_exp_f32_e32 v107, v113
	s_delay_alu instid0(VALU_DEP_2)
	v_dual_mul_f32 v90, 0x3fb8aa3b, v90 :: v_dual_mul_f32 v99, 0x3fb8aa3b, v99
	s_waitcnt lgkmcnt(0)
	s_barrier
	buffer_gl0_inv
	v_exp_f32_e32 v90, v90
	v_exp_f32_e32 v99, v99
	v_fmac_f32_e32 v76, v107, v101
	v_exp_f32_e32 v105, v105
	s_waitcnt_depctr 0xfff
	v_fmac_f32_e32 v76, v105, v102
	s_delay_alu instid0(VALU_DEP_1) | instskip(NEXT) | instid1(VALU_DEP_1)
	v_fmac_f32_e32 v76, v90, v103
	v_fmac_f32_e32 v76, v99, v104
	s_delay_alu instid0(VALU_DEP_1) | instskip(NEXT) | instid1(VALU_DEP_1)
	v_add_f32_e32 v100, 0x358637bd, v76
	v_div_scale_f32 v101, null, v100, v100, 1.0
	v_div_scale_f32 v104, vcc_lo, 1.0, v100, 1.0
	s_delay_alu instid0(VALU_DEP_2) | instskip(SKIP_2) | instid1(VALU_DEP_1)
	v_rcp_f32_e32 v102, v101
	s_waitcnt_depctr 0xfff
	v_fma_f32 v103, -v101, v102, 1.0
	v_fmac_f32_e32 v102, v103, v102
	v_cndmask_b32_e64 v103, v110, v109, s3
	v_cmp_eq_u32_e64 s3, 2, v74
	s_delay_alu instid0(VALU_DEP_3) | instskip(NEXT) | instid1(VALU_DEP_2)
	v_mul_f32_e32 v106, v104, v102
	v_cndmask_b32_e64 v103, v103, v111, s3
	v_cmp_eq_u32_e64 s3, 3, v74
	s_delay_alu instid0(VALU_DEP_3) | instskip(NEXT) | instid1(VALU_DEP_2)
	v_fma_f32 v108, -v101, v106, v104
	v_cndmask_b32_e64 v103, v103, v112, s3
	v_cmp_eq_u32_e64 s3, 4, v74
	s_delay_alu instid0(VALU_DEP_3) | instskip(NEXT) | instid1(VALU_DEP_2)
	v_fmac_f32_e32 v106, v108, v102
	v_cndmask_b32_e64 v103, v103, v107, s3
	s_delay_alu instid0(VALU_DEP_2) | instskip(SKIP_1) | instid1(VALU_DEP_2)
	v_fma_f32 v101, -v101, v106, v104
	v_cmp_eq_u32_e64 s3, 5, v74
	v_div_fmas_f32 v101, v101, v102, v106
	s_delay_alu instid0(VALU_DEP_2) | instskip(SKIP_2) | instid1(VALU_DEP_3)
	v_cndmask_b32_e64 v103, v103, v105, s3
	v_cmp_eq_u32_e32 vcc_lo, 6, v74
	s_mov_b32 s3, exec_lo
	v_div_fixup_f32 v100, v101, v100, 1.0
	s_delay_alu instid0(VALU_DEP_3) | instskip(SKIP_1) | instid1(VALU_DEP_2)
	v_cndmask_b32_e32 v90, v103, v90, vcc_lo
	v_cmp_eq_u32_e32 vcc_lo, 7, v74
	v_cndmask_b32_e32 v90, v90, v99, vcc_lo
	s_delay_alu instid0(VALU_DEP_1) | instskip(NEXT) | instid1(VALU_DEP_1)
	v_mul_f32_e32 v90, v90, v100
	v_mul_f32_e32 v100, v90, v92
	;; [unrolled: 1-line block ×6, first 2 shown]
	v_and_b32_e32 v101, 0x7f800000, v100
	v_mul_f32_e32 v99, v90, v95
	v_mul_f32_e32 v95, v90, v91
	;; [unrolled: 1-line block ×3, first 2 shown]
                                        ; implicit-def: $vgpr91
	s_delay_alu instid0(VALU_DEP_4)
	v_cmpx_ne_u32_e32 0x7f800000, v101
	s_xor_b32 s3, exec_lo, s3
; %bb.15:
	v_bfe_u32 v91, v100, 16, 1
	s_delay_alu instid0(VALU_DEP_1)
	v_add3_u32 v91, v100, v91, 0x7fff
                                        ; implicit-def: $vgpr100
; %bb.16:
	s_and_not1_saveexec_b32 s3, s3
; %bb.17:
	v_and_b32_e32 v91, 0xffff, v100
	v_or_b32_e32 v93, 0x10000, v100
	s_delay_alu instid0(VALU_DEP_2) | instskip(NEXT) | instid1(VALU_DEP_2)
	v_cmp_eq_u32_e32 vcc_lo, 0, v91
	v_cndmask_b32_e32 v91, v93, v100, vcc_lo
; %bb.18:
	s_or_b32 exec_lo, exec_lo, s3
	v_and_b32_e32 v93, 0x7f800000, v95
	s_delay_alu instid0(VALU_DEP_1) | instskip(SKIP_1) | instid1(SALU_CYCLE_1)
	v_cmp_ne_u32_e32 vcc_lo, 0x7f800000, v93
                                        ; implicit-def: $vgpr93
	s_and_saveexec_b32 s3, vcc_lo
	s_xor_b32 s3, exec_lo, s3
; %bb.19:
	v_bfe_u32 v93, v95, 16, 1
	s_delay_alu instid0(VALU_DEP_1)
	v_add3_u32 v93, v95, v93, 0x7fff
                                        ; implicit-def: $vgpr95
; %bb.20:
	s_and_not1_saveexec_b32 s3, s3
; %bb.21:
	v_and_b32_e32 v93, 0xffff, v95
	v_or_b32_e32 v100, 0x10000, v95
	s_delay_alu instid0(VALU_DEP_2) | instskip(NEXT) | instid1(VALU_DEP_2)
	v_cmp_eq_u32_e32 vcc_lo, 0, v93
	v_cndmask_b32_e32 v93, v100, v95, vcc_lo
; %bb.22:
	s_or_b32 exec_lo, exec_lo, s3
	v_and_b32_e32 v95, 0x7f800000, v96
	s_delay_alu instid0(VALU_DEP_1) | instskip(SKIP_1) | instid1(SALU_CYCLE_1)
	v_cmp_ne_u32_e32 vcc_lo, 0x7f800000, v95
                                        ; implicit-def: $vgpr95
	s_and_saveexec_b32 s3, vcc_lo
	s_xor_b32 s3, exec_lo, s3
; %bb.23:
	v_bfe_u32 v95, v96, 16, 1
	s_delay_alu instid0(VALU_DEP_1)
	v_add3_u32 v95, v96, v95, 0x7fff
                                        ; implicit-def: $vgpr96
; %bb.24:
	s_and_not1_saveexec_b32 s3, s3
; %bb.25:
	v_and_b32_e32 v95, 0xffff, v96
	v_or_b32_e32 v100, 0x10000, v96
	s_delay_alu instid0(VALU_DEP_2) | instskip(NEXT) | instid1(VALU_DEP_2)
	v_cmp_eq_u32_e32 vcc_lo, 0, v95
	v_cndmask_b32_e32 v95, v100, v96, vcc_lo
; %bb.26:
	s_or_b32 exec_lo, exec_lo, s3
	v_and_b32_e32 v96, 0x7f800000, v99
	s_delay_alu instid0(VALU_DEP_1) | instskip(SKIP_1) | instid1(SALU_CYCLE_1)
	v_cmp_ne_u32_e32 vcc_lo, 0x7f800000, v96
                                        ; implicit-def: $vgpr96
	s_and_saveexec_b32 s3, vcc_lo
	s_xor_b32 s3, exec_lo, s3
; %bb.27:
	v_bfe_u32 v96, v99, 16, 1
	s_delay_alu instid0(VALU_DEP_1)
	v_add3_u32 v96, v99, v96, 0x7fff
                                        ; implicit-def: $vgpr99
; %bb.28:
	s_and_not1_saveexec_b32 s3, s3
; %bb.29:
	v_and_b32_e32 v96, 0xffff, v99
	v_or_b32_e32 v100, 0x10000, v99
	s_delay_alu instid0(VALU_DEP_2) | instskip(NEXT) | instid1(VALU_DEP_2)
	v_cmp_eq_u32_e32 vcc_lo, 0, v96
	v_cndmask_b32_e32 v96, v100, v99, vcc_lo
; %bb.30:
	s_or_b32 exec_lo, exec_lo, s3
	v_and_b32_e32 v99, 0x7f800000, v98
	s_delay_alu instid0(VALU_DEP_1) | instskip(SKIP_1) | instid1(SALU_CYCLE_1)
	v_cmp_ne_u32_e32 vcc_lo, 0x7f800000, v99
                                        ; implicit-def: $vgpr99
	s_and_saveexec_b32 s3, vcc_lo
	s_xor_b32 s3, exec_lo, s3
; %bb.31:
	v_bfe_u32 v99, v98, 16, 1
	s_delay_alu instid0(VALU_DEP_1)
	v_add3_u32 v99, v98, v99, 0x7fff
                                        ; implicit-def: $vgpr98
; %bb.32:
	s_and_not1_saveexec_b32 s3, s3
; %bb.33:
	v_and_b32_e32 v99, 0xffff, v98
	v_or_b32_e32 v100, 0x10000, v98
	s_delay_alu instid0(VALU_DEP_2) | instskip(NEXT) | instid1(VALU_DEP_2)
	v_cmp_eq_u32_e32 vcc_lo, 0, v99
	v_cndmask_b32_e32 v99, v100, v98, vcc_lo
; %bb.34:
	s_or_b32 exec_lo, exec_lo, s3
	v_and_b32_e32 v98, 0x7f800000, v97
	s_delay_alu instid0(VALU_DEP_1) | instskip(SKIP_1) | instid1(SALU_CYCLE_1)
	v_cmp_ne_u32_e32 vcc_lo, 0x7f800000, v98
                                        ; implicit-def: $vgpr98
	s_and_saveexec_b32 s3, vcc_lo
	s_xor_b32 s3, exec_lo, s3
; %bb.35:
	v_bfe_u32 v98, v97, 16, 1
	s_delay_alu instid0(VALU_DEP_1)
	v_add3_u32 v98, v97, v98, 0x7fff
                                        ; implicit-def: $vgpr97
; %bb.36:
	s_and_not1_saveexec_b32 s3, s3
; %bb.37:
	v_and_b32_e32 v98, 0xffff, v97
	v_or_b32_e32 v100, 0x10000, v97
	s_delay_alu instid0(VALU_DEP_2) | instskip(NEXT) | instid1(VALU_DEP_2)
	v_cmp_eq_u32_e32 vcc_lo, 0, v98
	v_cndmask_b32_e32 v98, v100, v97, vcc_lo
; %bb.38:
	s_or_b32 exec_lo, exec_lo, s3
	v_and_b32_e32 v97, 0x7f800000, v94
	s_delay_alu instid0(VALU_DEP_1) | instskip(SKIP_1) | instid1(SALU_CYCLE_1)
	v_cmp_ne_u32_e32 vcc_lo, 0x7f800000, v97
                                        ; implicit-def: $vgpr97
	s_and_saveexec_b32 s3, vcc_lo
	s_xor_b32 s3, exec_lo, s3
; %bb.39:
	v_bfe_u32 v97, v94, 16, 1
	s_delay_alu instid0(VALU_DEP_1)
	v_add3_u32 v97, v94, v97, 0x7fff
                                        ; implicit-def: $vgpr94
; %bb.40:
	s_and_not1_saveexec_b32 s3, s3
; %bb.41:
	v_and_b32_e32 v97, 0xffff, v94
	v_or_b32_e32 v100, 0x10000, v94
	s_delay_alu instid0(VALU_DEP_2) | instskip(NEXT) | instid1(VALU_DEP_2)
	v_cmp_eq_u32_e32 vcc_lo, 0, v97
	v_cndmask_b32_e32 v97, v100, v94, vcc_lo
; %bb.42:
	s_or_b32 exec_lo, exec_lo, s3
	v_and_b32_e32 v94, 0x7f800000, v92
	s_delay_alu instid0(VALU_DEP_1) | instskip(SKIP_1) | instid1(SALU_CYCLE_1)
	v_cmp_ne_u32_e32 vcc_lo, 0x7f800000, v94
                                        ; implicit-def: $vgpr94
	s_and_saveexec_b32 s3, vcc_lo
	s_xor_b32 s3, exec_lo, s3
; %bb.43:
	v_bfe_u32 v94, v92, 16, 1
	s_delay_alu instid0(VALU_DEP_1)
	v_add3_u32 v94, v92, v94, 0x7fff
                                        ; implicit-def: $vgpr92
; %bb.44:
	s_and_not1_saveexec_b32 s3, s3
; %bb.45:
	v_and_b32_e32 v94, 0xffff, v92
	v_or_b32_e32 v100, 0x10000, v92
	s_delay_alu instid0(VALU_DEP_2) | instskip(NEXT) | instid1(VALU_DEP_2)
	v_cmp_eq_u32_e32 vcc_lo, 0, v94
	v_cndmask_b32_e32 v94, v100, v92, vcc_lo
; %bb.46:
	s_or_b32 exec_lo, exec_lo, s3
	s_load_b64 s[34:35], s[0:1], 0x94
	v_lshlrev_b32_e32 v92, 4, v83
	s_delay_alu instid0(VALU_DEP_2)
	v_perm_b32 v100, v94, v97, 0x7060302
	v_dual_mul_f32 v89, v90, v89 :: v_dual_lshlrev_b32 v94, 11, v74
	v_perm_b32 v97, v93, v91, 0x7060302
	v_mul_f32_e32 v93, v90, v77
	v_perm_b32 v99, v98, v99, 0x7060302
	v_perm_b32 v98, v96, v95, 0x7060302
	v_or3_b32 v77, v92, v94, v85
	v_mul_f32_e32 v88, v90, v88
	v_dual_mul_f32 v87, v90, v87 :: v_dual_and_b32 v94, 0x7f800000, v93
	v_mul_f32_e32 v86, v90, v86
	v_mul_f32_e32 v91, v90, v80
	;; [unrolled: 1-line block ×4, first 2 shown]
	s_mov_b32 s3, exec_lo
	ds_store_b128 v77, v[97:100]
                                        ; implicit-def: $vgpr78
	v_cmpx_ne_u32_e32 0x7f800000, v94
	s_xor_b32 s3, exec_lo, s3
; %bb.47:
	v_bfe_u32 v78, v93, 16, 1
	s_delay_alu instid0(VALU_DEP_1)
	v_add3_u32 v78, v93, v78, 0x7fff
                                        ; implicit-def: $vgpr93
; %bb.48:
	s_and_not1_saveexec_b32 s3, s3
; %bb.49:
	v_and_b32_e32 v78, 0xffff, v93
	v_or_b32_e32 v79, 0x10000, v93
	s_delay_alu instid0(VALU_DEP_2) | instskip(NEXT) | instid1(VALU_DEP_2)
	v_cmp_eq_u32_e32 vcc_lo, 0, v78
	v_cndmask_b32_e32 v78, v79, v93, vcc_lo
; %bb.50:
	s_or_b32 exec_lo, exec_lo, s3
	v_and_b32_e32 v79, 0x7f800000, v80
	s_delay_alu instid0(VALU_DEP_1) | instskip(SKIP_1) | instid1(SALU_CYCLE_1)
	v_cmp_ne_u32_e32 vcc_lo, 0x7f800000, v79
                                        ; implicit-def: $vgpr79
	s_and_saveexec_b32 s3, vcc_lo
	s_xor_b32 s3, exec_lo, s3
; %bb.51:
	v_bfe_u32 v79, v80, 16, 1
	s_delay_alu instid0(VALU_DEP_1)
	v_add3_u32 v79, v80, v79, 0x7fff
                                        ; implicit-def: $vgpr80
; %bb.52:
	s_and_not1_saveexec_b32 s3, s3
; %bb.53:
	v_and_b32_e32 v79, 0xffff, v80
	v_or_b32_e32 v90, 0x10000, v80
	s_delay_alu instid0(VALU_DEP_2) | instskip(NEXT) | instid1(VALU_DEP_2)
	v_cmp_eq_u32_e32 vcc_lo, 0, v79
	v_cndmask_b32_e32 v79, v90, v80, vcc_lo
; %bb.54:
	s_or_b32 exec_lo, exec_lo, s3
	v_and_b32_e32 v80, 0x7f800000, v92
	s_delay_alu instid0(VALU_DEP_1) | instskip(SKIP_1) | instid1(SALU_CYCLE_1)
	v_cmp_ne_u32_e32 vcc_lo, 0x7f800000, v80
                                        ; implicit-def: $vgpr80
	s_and_saveexec_b32 s3, vcc_lo
	s_xor_b32 s3, exec_lo, s3
; %bb.55:
	v_bfe_u32 v80, v92, 16, 1
	s_delay_alu instid0(VALU_DEP_1)
	v_add3_u32 v80, v92, v80, 0x7fff
                                        ; implicit-def: $vgpr92
; %bb.56:
	s_and_not1_saveexec_b32 s3, s3
; %bb.57:
	v_and_b32_e32 v80, 0xffff, v92
	v_or_b32_e32 v90, 0x10000, v92
	s_delay_alu instid0(VALU_DEP_2) | instskip(NEXT) | instid1(VALU_DEP_2)
	v_cmp_eq_u32_e32 vcc_lo, 0, v80
	v_cndmask_b32_e32 v80, v90, v92, vcc_lo
; %bb.58:
	s_or_b32 exec_lo, exec_lo, s3
	v_and_b32_e32 v90, 0x7f800000, v91
	s_delay_alu instid0(VALU_DEP_1) | instskip(SKIP_1) | instid1(SALU_CYCLE_1)
	v_cmp_ne_u32_e32 vcc_lo, 0x7f800000, v90
                                        ; implicit-def: $vgpr90
	s_and_saveexec_b32 s3, vcc_lo
	s_xor_b32 s3, exec_lo, s3
; %bb.59:
	v_bfe_u32 v90, v91, 16, 1
	s_delay_alu instid0(VALU_DEP_1)
	v_add3_u32 v90, v91, v90, 0x7fff
                                        ; implicit-def: $vgpr91
; %bb.60:
	s_and_not1_saveexec_b32 s3, s3
; %bb.61:
	v_and_b32_e32 v90, 0xffff, v91
	v_or_b32_e32 v92, 0x10000, v91
	s_delay_alu instid0(VALU_DEP_2) | instskip(NEXT) | instid1(VALU_DEP_2)
	v_cmp_eq_u32_e32 vcc_lo, 0, v90
	v_cndmask_b32_e32 v90, v92, v91, vcc_lo
; %bb.62:
	s_or_b32 exec_lo, exec_lo, s3
	v_and_b32_e32 v91, 0x7f800000, v86
	s_delay_alu instid0(VALU_DEP_1) | instskip(SKIP_1) | instid1(SALU_CYCLE_1)
	v_cmp_ne_u32_e32 vcc_lo, 0x7f800000, v91
                                        ; implicit-def: $vgpr91
	s_and_saveexec_b32 s3, vcc_lo
	s_xor_b32 s3, exec_lo, s3
; %bb.63:
	v_bfe_u32 v91, v86, 16, 1
	s_delay_alu instid0(VALU_DEP_1)
	v_add3_u32 v91, v86, v91, 0x7fff
                                        ; implicit-def: $vgpr86
; %bb.64:
	s_and_not1_saveexec_b32 s3, s3
; %bb.65:
	v_and_b32_e32 v91, 0xffff, v86
	v_or_b32_e32 v92, 0x10000, v86
	s_delay_alu instid0(VALU_DEP_2) | instskip(NEXT) | instid1(VALU_DEP_2)
	v_cmp_eq_u32_e32 vcc_lo, 0, v91
	v_cndmask_b32_e32 v91, v92, v86, vcc_lo
; %bb.66:
	s_or_b32 exec_lo, exec_lo, s3
	v_and_b32_e32 v86, 0x7f800000, v87
	s_delay_alu instid0(VALU_DEP_1) | instskip(SKIP_1) | instid1(SALU_CYCLE_1)
	v_cmp_ne_u32_e32 vcc_lo, 0x7f800000, v86
                                        ; implicit-def: $vgpr86
	s_and_saveexec_b32 s3, vcc_lo
	s_xor_b32 s3, exec_lo, s3
; %bb.67:
	v_bfe_u32 v86, v87, 16, 1
	s_delay_alu instid0(VALU_DEP_1)
	v_add3_u32 v86, v87, v86, 0x7fff
                                        ; implicit-def: $vgpr87
; %bb.68:
	s_and_not1_saveexec_b32 s3, s3
; %bb.69:
	v_and_b32_e32 v86, 0xffff, v87
	v_or_b32_e32 v92, 0x10000, v87
	s_delay_alu instid0(VALU_DEP_2) | instskip(NEXT) | instid1(VALU_DEP_2)
	v_cmp_eq_u32_e32 vcc_lo, 0, v86
	v_cndmask_b32_e32 v86, v92, v87, vcc_lo
; %bb.70:
	s_or_b32 exec_lo, exec_lo, s3
	v_and_b32_e32 v87, 0x7f800000, v88
	s_delay_alu instid0(VALU_DEP_1) | instskip(SKIP_1) | instid1(SALU_CYCLE_1)
	v_cmp_ne_u32_e32 vcc_lo, 0x7f800000, v87
                                        ; implicit-def: $vgpr87
	s_and_saveexec_b32 s3, vcc_lo
	s_xor_b32 s3, exec_lo, s3
; %bb.71:
	v_bfe_u32 v87, v88, 16, 1
	s_delay_alu instid0(VALU_DEP_1)
	v_add3_u32 v87, v88, v87, 0x7fff
                                        ; implicit-def: $vgpr88
; %bb.72:
	s_and_not1_saveexec_b32 s3, s3
; %bb.73:
	v_and_b32_e32 v87, 0xffff, v88
	v_or_b32_e32 v92, 0x10000, v88
	s_delay_alu instid0(VALU_DEP_2) | instskip(NEXT) | instid1(VALU_DEP_2)
	v_cmp_eq_u32_e32 vcc_lo, 0, v87
	v_cndmask_b32_e32 v87, v92, v88, vcc_lo
; %bb.74:
	s_or_b32 exec_lo, exec_lo, s3
	v_and_b32_e32 v88, 0x7f800000, v89
	s_delay_alu instid0(VALU_DEP_1) | instskip(SKIP_1) | instid1(SALU_CYCLE_1)
	v_cmp_ne_u32_e32 vcc_lo, 0x7f800000, v88
                                        ; implicit-def: $vgpr88
	s_and_saveexec_b32 s3, vcc_lo
	s_xor_b32 s3, exec_lo, s3
; %bb.75:
	v_bfe_u32 v88, v89, 16, 1
	s_delay_alu instid0(VALU_DEP_1)
	v_add3_u32 v88, v89, v88, 0x7fff
                                        ; implicit-def: $vgpr89
; %bb.76:
	s_and_not1_saveexec_b32 s3, s3
; %bb.77:
	v_and_b32_e32 v88, 0xffff, v89
	v_or_b32_e32 v92, 0x10000, v89
	s_delay_alu instid0(VALU_DEP_2) | instskip(NEXT) | instid1(VALU_DEP_2)
	v_cmp_eq_u32_e32 vcc_lo, 0, v88
	v_cndmask_b32_e32 v88, v92, v89, vcc_lo
; %bb.78:
	s_or_b32 exec_lo, exec_lo, s3
	s_delay_alu instid0(VALU_DEP_1)
	v_perm_b32 v89, v88, v87, 0x7060302
	v_perm_b32 v88, v86, v91, 0x7060302
	;; [unrolled: 1-line block ×4, first 2 shown]
	v_lshl_or_b32 v90, v74, 11, v85
	ds_store_b128 v77, v[86:89] offset:1024
	s_waitcnt lgkmcnt(0)
	s_barrier
	buffer_gl0_inv
	ds_load_b128 v[91:94], v90
	ds_load_b128 v[95:98], v90 offset:16
	v_lshlrev_b32_e32 v87, 2, v83
	s_delay_alu instid0(VALU_DEP_1)
	v_or_b32_e32 v88, 1, v87
	v_cmp_eq_u32_e32 vcc_lo, 1, v87
	v_cmp_eq_u32_e64 s4, 2, v87
	v_cmp_eq_u32_e64 s7, 3, v87
	;; [unrolled: 1-line block ×6, first 2 shown]
	v_or_b32_e32 v86, 2, v87
	v_cmp_eq_u32_e64 s10, 5, v87
	v_cmp_eq_u32_e64 s11, 4, v88
	;; [unrolled: 1-line block ×4, first 2 shown]
	s_waitcnt lgkmcnt(1)
	v_lshrrev_b32_e32 v74, 16, v91
	s_waitcnt lgkmcnt(0)
	v_lshrrev_b32_e32 v103, 16, v95
	v_lshrrev_b32_e32 v80, 16, v94
	v_lshrrev_b32_e32 v78, 16, v92
	v_lshrrev_b32_e32 v107, 16, v96
	v_cndmask_b32_e32 v89, v91, v74, vcc_lo
	v_cndmask_b32_e32 v99, v95, v103, vcc_lo
	v_cndmask_b32_e64 v100, v91, v74, s3
	v_lshrrev_b32_e32 v79, 16, v93
	v_lshrrev_b32_e32 v108, 16, v97
	v_cndmask_b32_e64 v89, v89, v92, s4
	v_cndmask_b32_e64 v99, v99, v96, s4
	;; [unrolled: 1-line block ×4, first 2 shown]
	v_cmp_eq_u32_e64 s5, 1, v86
	v_cndmask_b32_e64 v89, v89, v78, s7
	v_cndmask_b32_e64 v99, v99, v107, s7
	;; [unrolled: 1-line block ×4, first 2 shown]
	v_lshrrev_b32_e32 v109, 16, v98
	v_cndmask_b32_e64 v89, v89, v93, s9
	v_cndmask_b32_e64 v99, v99, v97, s9
	;; [unrolled: 1-line block ×8, first 2 shown]
	v_cmp_eq_u32_e64 s15, 7, v87
	v_cmp_eq_u32_e64 s16, 6, v88
	v_cndmask_b32_e64 v89, v89, v94, s12
	v_cndmask_b32_e64 v99, v99, v98, s12
	v_cmp_eq_u32_e64 s17, 2, v86
	v_cndmask_b32_e64 v101, v101, v97, s11
	v_cndmask_b32_e64 v100, v100, v94, s16
	;; [unrolled: 1-line block ×6, first 2 shown]
	v_cmp_eq_u32_e64 s18, 7, v88
	v_cmp_eq_u32_e64 s19, 3, v86
	;; [unrolled: 1-line block ×4, first 2 shown]
	v_cndmask_b32_e64 v99, v99, v96, s17
	v_cndmask_b32_e64 v112, v100, v80, s18
	;; [unrolled: 1-line block ×4, first 2 shown]
	v_or_b32_e32 v89, 3, v87
	v_cndmask_b32_e64 v105, v99, v107, s19
	v_cmp_eq_u32_e64 s24, 6, v86
	v_cndmask_b32_e64 v113, v100, v98, s16
	v_cndmask_b32_e64 v104, v101, v93, s20
	ds_load_b128 v[99:102], v90 offset:1024
	v_cmp_eq_u32_e64 s21, 1, v89
	v_cmp_eq_u32_e64 s23, 2, v89
	;; [unrolled: 1-line block ×3, first 2 shown]
	v_cndmask_b32_e64 v114, v104, v79, s22
	v_cmp_eq_u32_e64 s26, 4, v89
	v_cndmask_b32_e64 v74, v91, v74, s21
	v_cndmask_b32_e64 v91, v105, v97, s20
	;; [unrolled: 1-line block ×3, first 2 shown]
	ds_load_b128 v[103:106], v90 offset:1040
	v_cmp_eq_u32_e64 s28, 5, v89
	v_cndmask_b32_e64 v74, v74, v92, s23
	v_cndmask_b32_e64 v91, v91, v108, s22
	v_cndmask_b32_e64 v92, v95, v96, s23
	v_cmp_eq_u32_e64 s29, 6, v89
	v_cndmask_b32_e64 v95, v113, v109, s18
	v_cndmask_b32_e64 v74, v74, v78, s25
	;; [unrolled: 1-line block ×5, first 2 shown]
	s_waitcnt lgkmcnt(1)
	v_lshrrev_b32_e32 v96, 16, v99
	v_cndmask_b32_e64 v74, v74, v93, s26
	v_lshrrev_b32_e32 v107, 16, v100
	v_cndmask_b32_e64 v92, v92, v97, s26
	v_cmp_eq_u32_e64 s27, 7, v86
	v_cndmask_b32_e32 v93, v99, v96, vcc_lo
	v_cndmask_b32_e64 v74, v74, v79, s28
	s_delay_alu instid0(VALU_DEP_4)
	v_cndmask_b32_e64 v79, v92, v108, s28
	s_waitcnt lgkmcnt(0)
	v_lshrrev_b32_e32 v97, 16, v103
	v_cndmask_b32_e64 v92, v93, v100, s4
	v_cndmask_b32_e64 v93, v99, v96, s3
	;; [unrolled: 1-line block ×4, first 2 shown]
	v_cndmask_b32_e32 v108, v103, v97, vcc_lo
	v_cndmask_b32_e64 v92, v92, v107, s7
	v_cndmask_b32_e64 v93, v93, v100, s6
	v_lshrrev_b32_e32 v98, 16, v104
	v_cmp_eq_u32_e32 vcc_lo, 7, v89
	v_cndmask_b32_e64 v94, v108, v104, s4
	v_cndmask_b32_e64 v92, v92, v101, s9
	v_lshrrev_b32_e32 v108, 16, v101
	v_cndmask_b32_e64 v93, v93, v107, s8
	v_cndmask_b32_e32 v74, v74, v80, vcc_lo
	v_cndmask_b32_e64 v94, v94, v98, s7
	v_cndmask_b32_e32 v79, v79, v109, vcc_lo
	v_cndmask_b32_e64 v92, v92, v108, s10
	v_cndmask_b32_e64 v78, v78, v80, s27
	;; [unrolled: 1-line block ×4, first 2 shown]
	v_perm_b32 v94, v79, v74, 0x5040100
	v_cndmask_b32_e64 v79, v92, v102, s12
	v_perm_b32 v92, v95, v112, 0x5040100
	v_cndmask_b32_e64 v95, v99, v96, s5
	v_cndmask_b32_e64 v96, v99, v96, s21
	;; [unrolled: 1-line block ×16, first 2 shown]
	v_lshrrev_b32_e32 v109, 16, v105
	v_cndmask_b32_e64 v95, v95, v101, s20
	v_cndmask_b32_e64 v96, v96, v101, s26
	;; [unrolled: 1-line block ×6, first 2 shown]
	v_lshrrev_b32_e32 v80, 16, v102
	v_cndmask_b32_e64 v113, v93, v109, s10
	v_cndmask_b32_e64 v95, v95, v108, s22
	;; [unrolled: 1-line block ×6, first 2 shown]
	v_perm_b32 v93, v91, v78, 0x5040100
	v_cndmask_b32_e64 v74, v74, v102, s16
	v_cndmask_b32_e64 v78, v79, v80, s15
	;; [unrolled: 1-line block ×3, first 2 shown]
	v_lshrrev_b32_e32 v91, 16, v106
	v_cndmask_b32_e64 v95, v95, v102, s24
	v_cndmask_b32_e64 v96, v96, v102, s29
	;; [unrolled: 1-line block ×7, first 2 shown]
	v_cndmask_b32_e32 v80, v96, v80, vcc_lo
	v_cndmask_b32_e32 v96, v98, v91, vcc_lo
	v_cndmask_b32_e64 v99, v99, v91, s27
	v_cndmask_b32_e64 v100, v97, v91, s18
	;; [unrolled: 1-line block ×3, first 2 shown]
	v_perm_b32 v91, v111, v110, 0x5040100
	v_perm_b32 v98, v96, v80, 0x5040100
	;; [unrolled: 1-line block ×5, first 2 shown]
	s_mul_i32 s8, s35, 11
	s_mov_b32 s3, exec_lo
	ds_store_b128 v77, v[91:94]
	ds_store_b128 v77, v[95:98] offset:1024
	v_cmpx_gt_u32_e32 11, v0
	s_cbranch_execz .LBB700_80
; %bb.79:
	s_mul_i32 s4, s8, s30
	s_delay_alu instid0(SALU_CYCLE_1) | instskip(SKIP_1) | instid1(VALU_DEP_1)
	v_add3_u32 v77, s4, s31, v73
	s_load_b128 s[4:7], s[0:1], 0x58
	v_mad_u64_u32 v[73:74], null, v77, s34, s[14:15]
	s_delay_alu instid0(VALU_DEP_1) | instskip(NEXT) | instid1(VALU_DEP_1)
	v_ashrrev_i32_e32 v74, 31, v73
	v_lshlrev_b64 v[73:74], 2, v[73:74]
	s_waitcnt lgkmcnt(0)
	s_delay_alu instid0(VALU_DEP_1) | instskip(NEXT) | instid1(VALU_DEP_2)
	v_add_co_u32 v77, vcc_lo, s6, v73
	v_add_co_ci_u32_e32 v78, vcc_lo, s7, v74, vcc_lo
	v_add_co_u32 v73, vcc_lo, s4, v73
	v_add_co_ci_u32_e32 v74, vcc_lo, s5, v74, vcc_lo
	global_store_b32 v[77:78], v75, off
	global_store_b32 v[73:74], v76, off
.LBB700_80:
	s_or_b32 exec_lo, exec_lo, s3
	s_waitcnt lgkmcnt(0)
	s_waitcnt_vscnt null, 0x0
	s_barrier
	buffer_gl0_inv
	ds_load_b128 v[91:94], v85
	ds_load_b128 v[95:98], v85 offset:16
	ds_load_b128 v[103:106], v85 offset:1040
	;; [unrolled: 1-line block ×3, first 2 shown]
	v_mov_b32_e32 v73, 0
	ds_load_b128 v[111:114], v85 offset:2064
	ds_load_b128 v[107:110], v85 offset:2048
	ds_load_b128 v[119:122], v85 offset:3088
	ds_load_b128 v[115:118], v85 offset:3072
	ds_load_b128 v[127:130], v85 offset:4112
	ds_load_b128 v[123:126], v85 offset:4096
	v_mov_b32_e32 v74, v73
	v_mov_b32_e32 v75, v73
	;; [unrolled: 1-line block ×7, first 2 shown]
	s_waitcnt lgkmcnt(8)
	s_delay_alu instid0(VALU_DEP_1)
	v_wmma_f32_16x16x16_bf16 v[73:80], v[65:72], v[91:98], v[73:80]
	ds_load_b128 v[69:72], v85 offset:5136
	ds_load_b128 v[65:68], v85 offset:5120
	ds_load_b128 v[95:98], v85 offset:6160
	ds_load_b128 v[91:94], v85 offset:6144
	s_waitcnt lgkmcnt(10)
	v_wmma_f32_16x16x16_bf16 v[73:80], v[57:64], v[99:106], v[73:80]
	s_waitcnt lgkmcnt(8)
	s_delay_alu instid0(VALU_DEP_1)
	v_wmma_f32_16x16x16_bf16 v[73:80], v[57:64], v[107:114], v[73:80]
	ds_load_b128 v[61:64], v85 offset:7184
	ds_load_b128 v[57:60], v85 offset:7168
	;; [unrolled: 1-line block ×4, first 2 shown]
	s_waitcnt lgkmcnt(10)
	v_wmma_f32_16x16x16_bf16 v[73:80], v[49:56], v[115:122], v[73:80]
	s_waitcnt lgkmcnt(8)
	s_delay_alu instid0(VALU_DEP_1)
	v_wmma_f32_16x16x16_bf16 v[73:80], v[49:56], v[123:130], v[73:80]
	ds_load_b128 v[53:56], v85 offset:9232
	ds_load_b128 v[49:52], v85 offset:9216
	s_waitcnt lgkmcnt(8)
	v_wmma_f32_16x16x16_bf16 v[73:80], v[41:48], v[65:72], v[73:80]
	ds_load_b128 v[69:72], v85 offset:10256
	ds_load_b128 v[65:68], v85 offset:10240
	s_waitcnt lgkmcnt(8)
	;; [unrolled: 4-line block ×3, first 2 shown]
	v_wmma_f32_16x16x16_bf16 v[73:80], v[9:16], v[57:64], v[73:80]
	s_waitcnt lgkmcnt(6)
	s_delay_alu instid0(VALU_DEP_1)
	v_wmma_f32_16x16x16_bf16 v[73:80], v[9:16], v[99:106], v[73:80]
	ds_load_b128 v[13:16], v85 offset:12304
	ds_load_b128 v[9:12], v85 offset:12288
	s_waitcnt lgkmcnt(6)
	v_wmma_f32_16x16x16_bf16 v[73:80], v[1:8], v[49:56], v[73:80]
	ds_load_b128 v[53:56], v85 offset:13328
	ds_load_b128 v[49:52], v85 offset:13312
	s_waitcnt lgkmcnt(6)
	;; [unrolled: 4-line block ×4, first 2 shown]
	v_wmma_f32_16x16x16_bf16 v[73:80], v[33:40], v[9:16], v[73:80]
	s_waitcnt lgkmcnt(4)
	s_delay_alu instid0(VALU_DEP_1) | instskip(SKIP_1) | instid1(VALU_DEP_1)
	v_wmma_f32_16x16x16_bf16 v[73:80], v[25:32], v[49:56], v[73:80]
	s_waitcnt lgkmcnt(2)
	v_wmma_f32_16x16x16_bf16 v[73:80], v[25:32], v[1:8], v[73:80]
	s_waitcnt lgkmcnt(0)
	s_delay_alu instid0(VALU_DEP_1) | instskip(NEXT) | instid1(VALU_DEP_1)
	v_wmma_f32_16x16x16_bf16 v[73:80], v[17:24], v[41:48], v[73:80]
	v_and_b32_e32 v1, 0x7f800000, v73
	s_delay_alu instid0(VALU_DEP_1) | instskip(SKIP_1) | instid1(SALU_CYCLE_1)
	v_cmp_ne_u32_e32 vcc_lo, 0x7f800000, v1
                                        ; implicit-def: $vgpr1
	s_and_saveexec_b32 s3, vcc_lo
	s_xor_b32 s3, exec_lo, s3
; %bb.81:
	v_bfe_u32 v1, v73, 16, 1
	s_delay_alu instid0(VALU_DEP_1)
	v_add3_u32 v1, v73, v1, 0x7fff
; %bb.82:
	s_and_not1_saveexec_b32 s3, s3
; %bb.83:
	v_and_b32_e32 v1, 0xffff, v73
	v_or_b32_e32 v2, 0x10000, v73
	s_delay_alu instid0(VALU_DEP_2) | instskip(NEXT) | instid1(VALU_DEP_2)
	v_cmp_eq_u32_e32 vcc_lo, 0, v1
	v_cndmask_b32_e32 v1, v2, v73, vcc_lo
; %bb.84:
	s_or_b32 exec_lo, exec_lo, s3
	v_and_b32_e32 v2, 0x7f800000, v74
	s_delay_alu instid0(VALU_DEP_1) | instskip(SKIP_1) | instid1(SALU_CYCLE_1)
	v_cmp_ne_u32_e32 vcc_lo, 0x7f800000, v2
                                        ; implicit-def: $vgpr2
	s_and_saveexec_b32 s3, vcc_lo
	s_xor_b32 s3, exec_lo, s3
; %bb.85:
	v_bfe_u32 v2, v74, 16, 1
	s_delay_alu instid0(VALU_DEP_1)
	v_add3_u32 v2, v74, v2, 0x7fff
; %bb.86:
	s_and_not1_saveexec_b32 s3, s3
; %bb.87:
	v_and_b32_e32 v2, 0xffff, v74
	v_or_b32_e32 v3, 0x10000, v74
	s_delay_alu instid0(VALU_DEP_2) | instskip(NEXT) | instid1(VALU_DEP_2)
	v_cmp_eq_u32_e32 vcc_lo, 0, v2
	v_cndmask_b32_e32 v2, v3, v74, vcc_lo
; %bb.88:
	s_or_b32 exec_lo, exec_lo, s3
	v_and_b32_e32 v3, 0x7f800000, v75
	s_delay_alu instid0(VALU_DEP_1) | instskip(SKIP_1) | instid1(SALU_CYCLE_1)
	v_cmp_ne_u32_e32 vcc_lo, 0x7f800000, v3
                                        ; implicit-def: $vgpr3
	s_and_saveexec_b32 s3, vcc_lo
	s_xor_b32 s3, exec_lo, s3
; %bb.89:
	v_bfe_u32 v3, v75, 16, 1
	s_delay_alu instid0(VALU_DEP_1)
	v_add3_u32 v3, v75, v3, 0x7fff
; %bb.90:
	s_and_not1_saveexec_b32 s3, s3
; %bb.91:
	v_and_b32_e32 v3, 0xffff, v75
	v_or_b32_e32 v4, 0x10000, v75
	s_delay_alu instid0(VALU_DEP_2) | instskip(NEXT) | instid1(VALU_DEP_2)
	v_cmp_eq_u32_e32 vcc_lo, 0, v3
	v_cndmask_b32_e32 v3, v4, v75, vcc_lo
; %bb.92:
	s_or_b32 exec_lo, exec_lo, s3
	v_and_b32_e32 v4, 0x7f800000, v76
	s_delay_alu instid0(VALU_DEP_1) | instskip(SKIP_1) | instid1(SALU_CYCLE_1)
	v_cmp_ne_u32_e32 vcc_lo, 0x7f800000, v4
                                        ; implicit-def: $vgpr4
	s_and_saveexec_b32 s3, vcc_lo
	s_xor_b32 s3, exec_lo, s3
; %bb.93:
	v_bfe_u32 v4, v76, 16, 1
	s_delay_alu instid0(VALU_DEP_1)
	v_add3_u32 v4, v76, v4, 0x7fff
; %bb.94:
	s_and_not1_saveexec_b32 s3, s3
; %bb.95:
	v_and_b32_e32 v4, 0xffff, v76
	v_or_b32_e32 v5, 0x10000, v76
	s_delay_alu instid0(VALU_DEP_2) | instskip(NEXT) | instid1(VALU_DEP_2)
	v_cmp_eq_u32_e32 vcc_lo, 0, v4
	v_cndmask_b32_e32 v4, v5, v76, vcc_lo
; %bb.96:
	s_or_b32 exec_lo, exec_lo, s3
	v_and_b32_e32 v5, 0x7f800000, v77
	s_delay_alu instid0(VALU_DEP_1) | instskip(SKIP_1) | instid1(SALU_CYCLE_1)
	v_cmp_ne_u32_e32 vcc_lo, 0x7f800000, v5
                                        ; implicit-def: $vgpr5
	s_and_saveexec_b32 s3, vcc_lo
	s_xor_b32 s3, exec_lo, s3
; %bb.97:
	v_bfe_u32 v5, v77, 16, 1
	s_delay_alu instid0(VALU_DEP_1)
	v_add3_u32 v5, v77, v5, 0x7fff
; %bb.98:
	s_and_not1_saveexec_b32 s3, s3
; %bb.99:
	v_and_b32_e32 v5, 0xffff, v77
	v_or_b32_e32 v6, 0x10000, v77
	s_delay_alu instid0(VALU_DEP_2) | instskip(NEXT) | instid1(VALU_DEP_2)
	v_cmp_eq_u32_e32 vcc_lo, 0, v5
	v_cndmask_b32_e32 v5, v6, v77, vcc_lo
; %bb.100:
	s_or_b32 exec_lo, exec_lo, s3
	v_and_b32_e32 v6, 0x7f800000, v78
	s_delay_alu instid0(VALU_DEP_1) | instskip(SKIP_1) | instid1(SALU_CYCLE_1)
	v_cmp_ne_u32_e32 vcc_lo, 0x7f800000, v6
                                        ; implicit-def: $vgpr6
	s_and_saveexec_b32 s3, vcc_lo
	s_xor_b32 s3, exec_lo, s3
; %bb.101:
	v_bfe_u32 v6, v78, 16, 1
	s_delay_alu instid0(VALU_DEP_1)
	v_add3_u32 v6, v78, v6, 0x7fff
; %bb.102:
	s_and_not1_saveexec_b32 s3, s3
; %bb.103:
	v_and_b32_e32 v6, 0xffff, v78
	v_or_b32_e32 v7, 0x10000, v78
	s_delay_alu instid0(VALU_DEP_2) | instskip(NEXT) | instid1(VALU_DEP_2)
	v_cmp_eq_u32_e32 vcc_lo, 0, v6
	v_cndmask_b32_e32 v6, v7, v78, vcc_lo
; %bb.104:
	s_or_b32 exec_lo, exec_lo, s3
	v_and_b32_e32 v7, 0x7f800000, v79
	s_delay_alu instid0(VALU_DEP_1) | instskip(SKIP_1) | instid1(SALU_CYCLE_1)
	v_cmp_ne_u32_e32 vcc_lo, 0x7f800000, v7
                                        ; implicit-def: $vgpr7
	s_and_saveexec_b32 s3, vcc_lo
	s_xor_b32 s3, exec_lo, s3
; %bb.105:
	v_bfe_u32 v7, v79, 16, 1
	s_delay_alu instid0(VALU_DEP_1)
	v_add3_u32 v7, v79, v7, 0x7fff
; %bb.106:
	s_and_not1_saveexec_b32 s3, s3
; %bb.107:
	v_and_b32_e32 v7, 0xffff, v79
	v_or_b32_e32 v8, 0x10000, v79
	s_delay_alu instid0(VALU_DEP_2) | instskip(NEXT) | instid1(VALU_DEP_2)
	v_cmp_eq_u32_e32 vcc_lo, 0, v7
	v_cndmask_b32_e32 v7, v8, v79, vcc_lo
; %bb.108:
	s_or_b32 exec_lo, exec_lo, s3
	v_and_b32_e32 v8, 0x7f800000, v80
	s_delay_alu instid0(VALU_DEP_1) | instskip(SKIP_1) | instid1(SALU_CYCLE_1)
	v_cmp_ne_u32_e32 vcc_lo, 0x7f800000, v8
                                        ; implicit-def: $vgpr8
	s_and_saveexec_b32 s3, vcc_lo
	s_xor_b32 s3, exec_lo, s3
; %bb.109:
	v_bfe_u32 v8, v80, 16, 1
	s_delay_alu instid0(VALU_DEP_1)
	v_add3_u32 v8, v80, v8, 0x7fff
                                        ; implicit-def: $vgpr73_vgpr74_vgpr75_vgpr76_vgpr77_vgpr78_vgpr79_vgpr80
; %bb.110:
	s_and_not1_saveexec_b32 s3, s3
; %bb.111:
	v_and_b32_e32 v8, 0xffff, v80
	v_or_b32_e32 v9, 0x10000, v80
	s_delay_alu instid0(VALU_DEP_2) | instskip(NEXT) | instid1(VALU_DEP_2)
	v_cmp_eq_u32_e32 vcc_lo, 0, v8
	v_cndmask_b32_e32 v8, v9, v80, vcc_lo
; %bb.112:
	s_or_b32 exec_lo, exec_lo, s3
	s_delay_alu instid0(VALU_DEP_1)
	v_perm_b32 v7, v8, v7, 0x7060302
	v_perm_b32 v6, v6, v5, 0x7060302
	v_perm_b32 v5, v4, v3, 0x7060302
	v_perm_b32 v4, v2, v1, 0x7060302
	v_lshl_or_b32 v9, v83, 4, v90
	s_barrier
	buffer_gl0_inv
	v_cmp_eq_u32_e32 vcc_lo, 1, v87
	ds_store_b128 v9, v[4:7]
	s_waitcnt lgkmcnt(0)
	s_barrier
	buffer_gl0_inv
	ds_load_b128 v[1:4], v90
	ds_load_b128 v[5:8], v90 offset:16
	v_cmp_eq_u32_e64 s4, 2, v87
	v_cmp_eq_u32_e64 s3, 1, v88
	;; [unrolled: 1-line block ×5, first 2 shown]
	s_waitcnt lgkmcnt(1)
	v_lshrrev_b32_e32 v10, 16, v1
	s_waitcnt lgkmcnt(0)
	v_lshrrev_b32_e32 v14, 16, v5
	v_lshrrev_b32_e32 v15, 16, v6
	v_lshrrev_b32_e32 v11, 16, v2
	v_lshrrev_b32_e32 v12, 16, v3
	v_cndmask_b32_e64 v20, v1, v10, s3
	v_cndmask_b32_e32 v19, v5, v14, vcc_lo
	v_cndmask_b32_e64 v21, v5, v14, s3
	v_lshrrev_b32_e32 v16, 16, v7
	v_cmp_eq_u32_e64 s3, 1, v86
	v_lshrrev_b32_e32 v13, 16, v4
	v_cndmask_b32_e64 v19, v19, v6, s4
	v_lshrrev_b32_e32 v17, 16, v8
	s_delay_alu instid0(VALU_DEP_4) | instskip(SKIP_1) | instid1(VALU_DEP_4)
	v_cndmask_b32_e64 v22, v1, v10, s3
	v_cndmask_b32_e64 v23, v5, v14, s3
	;; [unrolled: 1-line block ×3, first 2 shown]
	v_cndmask_b32_e32 v18, v1, v10, vcc_lo
	v_cmp_eq_u32_e32 vcc_lo, 2, v88
	v_cmp_eq_u32_e64 s3, 2, v89
	v_cndmask_b32_e64 v22, v22, v2, s7
	v_cndmask_b32_e32 v20, v20, v2, vcc_lo
	v_cndmask_b32_e32 v21, v21, v6, vcc_lo
	v_cmp_eq_u32_e32 vcc_lo, 4, v87
	v_cndmask_b32_e32 v19, v19, v7, vcc_lo
	v_cndmask_b32_e64 v18, v18, v2, s4
	v_cmp_eq_u32_e64 s4, 3, v88
	s_delay_alu instid0(VALU_DEP_2) | instskip(NEXT) | instid1(VALU_DEP_2)
	v_cndmask_b32_e64 v18, v18, v11, s5
	v_cndmask_b32_e64 v21, v21, v15, s4
	v_cmp_eq_u32_e64 s5, 5, v87
	s_delay_alu instid0(VALU_DEP_3) | instskip(SKIP_1) | instid1(VALU_DEP_3)
	v_cndmask_b32_e32 v18, v18, v3, vcc_lo
	v_cmp_eq_u32_e32 vcc_lo, 4, v88
	v_cndmask_b32_e64 v19, v19, v16, s5
	s_delay_alu instid0(VALU_DEP_3) | instskip(SKIP_4) | instid1(VALU_DEP_3)
	v_cndmask_b32_e64 v18, v18, v12, s5
	v_cndmask_b32_e32 v21, v21, v7, vcc_lo
	v_cndmask_b32_e64 v20, v20, v11, s4
	v_cmp_eq_u32_e64 s4, 5, v88
	v_cmp_eq_u32_e64 s5, 6, v87
	v_cndmask_b32_e32 v20, v20, v3, vcc_lo
	s_delay_alu instid0(VALU_DEP_3) | instskip(SKIP_1) | instid1(VALU_DEP_4)
	v_cndmask_b32_e64 v21, v21, v16, s4
	v_cmp_eq_u32_e32 vcc_lo, 6, v88
	v_cndmask_b32_e64 v18, v18, v4, s5
	v_cndmask_b32_e64 v19, v19, v8, s5
	v_cndmask_b32_e64 v20, v20, v12, s4
	v_cmp_eq_u32_e64 s4, 1, v89
	v_cmp_eq_u32_e64 s5, 7, v87
	s_delay_alu instid0(VALU_DEP_3) | instskip(NEXT) | instid1(VALU_DEP_3)
	v_cndmask_b32_e32 v20, v20, v4, vcc_lo
	v_cndmask_b32_e64 v1, v1, v10, s4
	v_cndmask_b32_e64 v5, v5, v14, s4
	v_cmp_eq_u32_e64 s4, 3, v86
	v_cndmask_b32_e64 v14, v23, v6, s7
	v_cmp_eq_u32_e64 s7, 3, v89
	v_cndmask_b32_e64 v1, v1, v2, s3
	v_cndmask_b32_e64 v2, v5, v6, s3
	;; [unrolled: 1-line block ×3, first 2 shown]
	v_cmp_eq_u32_e64 s3, 4, v86
	v_cndmask_b32_e64 v6, v14, v15, s4
	v_cndmask_b32_e64 v1, v1, v11, s7
	v_cmp_eq_u32_e64 s4, 4, v89
	v_cndmask_b32_e64 v2, v2, v15, s7
	v_cndmask_b32_e64 v5, v10, v3, s3
	;; [unrolled: 3-line block ×3, first 2 shown]
	v_cndmask_b32_e64 v2, v2, v7, s4
	v_cmp_eq_u32_e64 s3, 5, v89
	v_cndmask_b32_e64 v5, v5, v12, s7
	v_cmp_eq_u32_e64 s4, 6, v86
	;; [unrolled: 2-line block ×3, first 2 shown]
	v_cndmask_b32_e64 v1, v1, v12, s3
	v_cndmask_b32_e64 v2, v2, v16, s3
	v_cndmask_b32_e64 v5, v5, v4, s4
	v_cndmask_b32_e64 v3, v3, v8, s4
	v_cmp_eq_u32_e64 s3, 7, v89
	v_cndmask_b32_e64 v1, v1, v4, s7
	v_cndmask_b32_e64 v2, v2, v8, s7
	v_cmp_eq_u32_e64 s4, 7, v86
	v_cndmask_b32_e32 v4, v21, v8, vcc_lo
	v_cndmask_b32_e64 v18, v18, v13, s5
	v_cndmask_b32_e64 v20, v20, v13, s6
	;; [unrolled: 1-line block ×8, first 2 shown]
	s_mov_b32 s3, exec_lo
	v_perm_b32 v4, v2, v1, 0x5040100
	v_perm_b32 v3, v3, v5, 0x5040100
	v_perm_b32 v2, v6, v20, 0x5040100
	v_perm_b32 v1, v7, v18, 0x5040100
	ds_store_b128 v9, v[1:4]
	s_waitcnt lgkmcnt(0)
	s_barrier
	buffer_gl0_inv
	v_cmpx_gt_u32_e32 32, v0
	s_cbranch_execz .LBB700_2
; %bb.113:
	s_load_b64 s[4:5], s[0:1], 0x68
	v_lshlrev_b32_e32 v0, 10, v0
	v_lshlrev_b32_e32 v1, 4, v84
	s_lshl_b32 s0, s34, 7
	v_add_nc_u32_e32 v7, s31, v83
	s_mul_i32 s1, s0, s30
	s_delay_alu instid0(SALU_CYCLE_1) | instskip(SKIP_1) | instid1(VALU_DEP_2)
	s_mul_i32 s6, s1, s8
	v_and_or_b32 v0, 0x3800, v0, v1
	v_mul_lo_u32 v1, v7, s0
	v_add_nc_u32_e32 v2, 2, v7
	s_ashr_i32 s7, s6, 31
	v_add_nc_u32_e32 v4, 4, v7
	s_lshl_b64 s[6:7], s[6:7], 1
	v_add_nc_u32_e32 v8, 6, v7
	v_mul_lo_u32 v3, v2, s0
	v_lshl_or_b32 v19, v83, 6, v0
	v_ashrrev_i32_e32 v2, 31, v1
	v_mul_lo_u32 v11, v4, s0
	v_mul_lo_u32 v25, v8, s0
	s_waitcnt lgkmcnt(0)
	s_add_u32 s1, s4, s6
	s_addc_u32 s3, s5, s7
	s_lshl_b32 s4, s14, 7
	v_lshlrev_b64 v[5:6], 1, v[1:2]
	s_ashr_i32 s5, s4, 31
	v_ashrrev_i32_e32 v4, 31, v3
	s_lshl_b64 s[4:5], s[4:5], 1
	v_ashrrev_i32_e32 v12, 31, v11
	s_add_u32 s1, s1, s4
	s_addc_u32 s3, s3, s5
	v_add_co_u32 v1, vcc_lo, s1, v81
	v_add_co_ci_u32_e32 v2, vcc_lo, s3, v82, vcc_lo
	v_lshlrev_b64 v[3:4], 1, v[3:4]
	s_delay_alu instid0(VALU_DEP_3) | instskip(SKIP_1) | instid1(VALU_DEP_4)
	v_add_co_u32 v23, vcc_lo, v1, v5
	v_add_nc_u32_e32 v5, 8, v7
	v_add_co_ci_u32_e32 v24, vcc_lo, v2, v6, vcc_lo
	s_delay_alu instid0(VALU_DEP_4) | instskip(NEXT) | instid1(VALU_DEP_3)
	v_add_co_u32 v27, vcc_lo, v1, v3
	v_mul_lo_u32 v29, v5, s0
	v_add_co_ci_u32_e32 v28, vcc_lo, v2, v4, vcc_lo
	ds_load_b128 v[3:6], v19
	ds_load_b128 v[7:10], v19 offset:128
	v_lshlrev_b64 v[31:32], 1, v[11:12]
	ds_load_b128 v[11:14], v19 offset:256
	ds_load_b128 v[15:18], v19 offset:384
	;; [unrolled: 1-line block ×3, first 2 shown]
	v_ashrrev_i32_e32 v26, 31, v25
	v_ashrrev_i32_e32 v30, 31, v29
	v_add_co_u32 v31, vcc_lo, v1, v31
	s_delay_alu instid0(VALU_DEP_3) | instskip(NEXT) | instid1(VALU_DEP_3)
	v_lshlrev_b64 v[25:26], 1, v[25:26]
	v_lshlrev_b64 v[29:30], 1, v[29:30]
	v_add_co_ci_u32_e32 v32, vcc_lo, v2, v32, vcc_lo
	s_delay_alu instid0(VALU_DEP_3) | instskip(NEXT) | instid1(VALU_DEP_4)
	v_add_co_u32 v25, vcc_lo, v1, v25
	v_add_co_ci_u32_e32 v26, vcc_lo, v2, v26, vcc_lo
	s_delay_alu instid0(VALU_DEP_4)
	v_add_co_u32 v29, vcc_lo, v1, v29
	v_add_co_ci_u32_e32 v30, vcc_lo, v2, v30, vcc_lo
	s_waitcnt lgkmcnt(4)
	global_store_b128 v[23:24], v[3:6], off
	s_waitcnt lgkmcnt(3)
	global_store_b128 v[27:28], v[7:10], off
	;; [unrolled: 2-line block ×5, first 2 shown]
	s_and_b32 exec_lo, exec_lo, s2
	s_cbranch_execz .LBB700_2
; %bb.114:
	ds_load_b128 v[3:6], v0 offset:640
	s_add_i32 s1, s31, 10
	s_delay_alu instid0(SALU_CYCLE_1) | instskip(NEXT) | instid1(SALU_CYCLE_1)
	s_mul_i32 s0, s1, s0
	s_ashr_i32 s1, s0, 31
	s_delay_alu instid0(SALU_CYCLE_1) | instskip(NEXT) | instid1(SALU_CYCLE_1)
	s_lshl_b64 s[0:1], s[0:1], 1
	v_add_co_u32 v0, vcc_lo, v1, s0
	v_add_co_ci_u32_e32 v1, vcc_lo, s1, v2, vcc_lo
	s_waitcnt lgkmcnt(0)
	global_store_b128 v[0:1], v[3:6], off
	s_nop 0
	s_sendmsg sendmsg(MSG_DEALLOC_VGPRS)
	s_endpgm
	.section	.rodata,"a",@progbits
	.p2align	6, 0x0
	.amdhsa_kernel _Z39paged_attention_ll4mi_QKV_mfma16_kernelI14__hip_bfloat16S0_LN4vllm18Fp8KVCacheDataTypeE0EhLi32ELi128ELi256ELb1ELi11EL8MFMAType0EEvPKT_PKT0_S9_ifPKiSB_SB_iPKfiiiPfSE_PS4_PT2_iSD_SD_
		.amdhsa_group_segment_fixed_size 17472
		.amdhsa_private_segment_fixed_size 0
		.amdhsa_kernarg_size 400
		.amdhsa_user_sgpr_count 13
		.amdhsa_user_sgpr_dispatch_ptr 0
		.amdhsa_user_sgpr_queue_ptr 0
		.amdhsa_user_sgpr_kernarg_segment_ptr 1
		.amdhsa_user_sgpr_dispatch_id 0
		.amdhsa_user_sgpr_private_segment_size 0
		.amdhsa_wavefront_size32 1
		.amdhsa_uses_dynamic_stack 0
		.amdhsa_enable_private_segment 0
		.amdhsa_system_sgpr_workgroup_id_x 1
		.amdhsa_system_sgpr_workgroup_id_y 1
		.amdhsa_system_sgpr_workgroup_id_z 1
		.amdhsa_system_sgpr_workgroup_info 0
		.amdhsa_system_vgpr_workitem_id 0
		.amdhsa_next_free_vgpr 157
		.amdhsa_next_free_sgpr 38
		.amdhsa_reserve_vcc 1
		.amdhsa_float_round_mode_32 0
		.amdhsa_float_round_mode_16_64 0
		.amdhsa_float_denorm_mode_32 3
		.amdhsa_float_denorm_mode_16_64 3
		.amdhsa_dx10_clamp 1
		.amdhsa_ieee_mode 1
		.amdhsa_fp16_overflow 0
		.amdhsa_workgroup_processor_mode 1
		.amdhsa_memory_ordered 1
		.amdhsa_forward_progress 0
		.amdhsa_shared_vgpr_count 0
		.amdhsa_exception_fp_ieee_invalid_op 0
		.amdhsa_exception_fp_denorm_src 0
		.amdhsa_exception_fp_ieee_div_zero 0
		.amdhsa_exception_fp_ieee_overflow 0
		.amdhsa_exception_fp_ieee_underflow 0
		.amdhsa_exception_fp_ieee_inexact 0
		.amdhsa_exception_int_div_zero 0
	.end_amdhsa_kernel
	.section	.text._Z39paged_attention_ll4mi_QKV_mfma16_kernelI14__hip_bfloat16S0_LN4vllm18Fp8KVCacheDataTypeE0EhLi32ELi128ELi256ELb1ELi11EL8MFMAType0EEvPKT_PKT0_S9_ifPKiSB_SB_iPKfiiiPfSE_PS4_PT2_iSD_SD_,"axG",@progbits,_Z39paged_attention_ll4mi_QKV_mfma16_kernelI14__hip_bfloat16S0_LN4vllm18Fp8KVCacheDataTypeE0EhLi32ELi128ELi256ELb1ELi11EL8MFMAType0EEvPKT_PKT0_S9_ifPKiSB_SB_iPKfiiiPfSE_PS4_PT2_iSD_SD_,comdat
.Lfunc_end700:
	.size	_Z39paged_attention_ll4mi_QKV_mfma16_kernelI14__hip_bfloat16S0_LN4vllm18Fp8KVCacheDataTypeE0EhLi32ELi128ELi256ELb1ELi11EL8MFMAType0EEvPKT_PKT0_S9_ifPKiSB_SB_iPKfiiiPfSE_PS4_PT2_iSD_SD_, .Lfunc_end700-_Z39paged_attention_ll4mi_QKV_mfma16_kernelI14__hip_bfloat16S0_LN4vllm18Fp8KVCacheDataTypeE0EhLi32ELi128ELi256ELb1ELi11EL8MFMAType0EEvPKT_PKT0_S9_ifPKiSB_SB_iPKfiiiPfSE_PS4_PT2_iSD_SD_
                                        ; -- End function
	.section	.AMDGPU.csdata,"",@progbits
; Kernel info:
; codeLenInByte = 9908
; NumSgprs: 40
; NumVgprs: 157
; ScratchSize: 0
; MemoryBound: 0
; FloatMode: 240
; IeeeMode: 1
; LDSByteSize: 17472 bytes/workgroup (compile time only)
; SGPRBlocks: 4
; VGPRBlocks: 19
; NumSGPRsForWavesPerEU: 40
; NumVGPRsForWavesPerEU: 157
; Occupancy: 9
; WaveLimiterHint : 1
; COMPUTE_PGM_RSRC2:SCRATCH_EN: 0
; COMPUTE_PGM_RSRC2:USER_SGPR: 13
; COMPUTE_PGM_RSRC2:TRAP_HANDLER: 0
; COMPUTE_PGM_RSRC2:TGID_X_EN: 1
; COMPUTE_PGM_RSRC2:TGID_Y_EN: 1
; COMPUTE_PGM_RSRC2:TGID_Z_EN: 1
; COMPUTE_PGM_RSRC2:TIDIG_COMP_CNT: 0
	.section	.text._Z39paged_attention_ll4mi_QKV_mfma16_kernelI14__hip_bfloat16S0_LN4vllm18Fp8KVCacheDataTypeE0EhLi32ELi128ELi256ELb1ELi12EL8MFMAType0EEvPKT_PKT0_S9_ifPKiSB_SB_iPKfiiiPfSE_PS4_PT2_iSD_SD_,"axG",@progbits,_Z39paged_attention_ll4mi_QKV_mfma16_kernelI14__hip_bfloat16S0_LN4vllm18Fp8KVCacheDataTypeE0EhLi32ELi128ELi256ELb1ELi12EL8MFMAType0EEvPKT_PKT0_S9_ifPKiSB_SB_iPKfiiiPfSE_PS4_PT2_iSD_SD_,comdat
	.protected	_Z39paged_attention_ll4mi_QKV_mfma16_kernelI14__hip_bfloat16S0_LN4vllm18Fp8KVCacheDataTypeE0EhLi32ELi128ELi256ELb1ELi12EL8MFMAType0EEvPKT_PKT0_S9_ifPKiSB_SB_iPKfiiiPfSE_PS4_PT2_iSD_SD_ ; -- Begin function _Z39paged_attention_ll4mi_QKV_mfma16_kernelI14__hip_bfloat16S0_LN4vllm18Fp8KVCacheDataTypeE0EhLi32ELi128ELi256ELb1ELi12EL8MFMAType0EEvPKT_PKT0_S9_ifPKiSB_SB_iPKfiiiPfSE_PS4_PT2_iSD_SD_
	.globl	_Z39paged_attention_ll4mi_QKV_mfma16_kernelI14__hip_bfloat16S0_LN4vllm18Fp8KVCacheDataTypeE0EhLi32ELi128ELi256ELb1ELi12EL8MFMAType0EEvPKT_PKT0_S9_ifPKiSB_SB_iPKfiiiPfSE_PS4_PT2_iSD_SD_
	.p2align	8
	.type	_Z39paged_attention_ll4mi_QKV_mfma16_kernelI14__hip_bfloat16S0_LN4vllm18Fp8KVCacheDataTypeE0EhLi32ELi128ELi256ELb1ELi12EL8MFMAType0EEvPKT_PKT0_S9_ifPKiSB_SB_iPKfiiiPfSE_PS4_PT2_iSD_SD_,@function
_Z39paged_attention_ll4mi_QKV_mfma16_kernelI14__hip_bfloat16S0_LN4vllm18Fp8KVCacheDataTypeE0EhLi32ELi128ELi256ELb1ELi12EL8MFMAType0EEvPKT_PKT0_S9_ifPKiSB_SB_iPKfiiiPfSE_PS4_PT2_iSD_SD_: ; @_Z39paged_attention_ll4mi_QKV_mfma16_kernelI14__hip_bfloat16S0_LN4vllm18Fp8KVCacheDataTypeE0EhLi32ELi128ELi256ELb1ELi12EL8MFMAType0EEvPKT_PKT0_S9_ifPKiSB_SB_iPKfiiiPfSE_PS4_PT2_iSD_SD_
; %bb.0:
	s_load_b64 s[2:3], s[0:1], 0x30
	s_mov_b32 s30, s13
	s_waitcnt lgkmcnt(0)
	s_cmp_lg_u64 s[2:3], 0
	s_cselect_b32 s6, -1, 0
	s_ashr_i32 s31, s13, 31
	s_cmp_eq_u64 s[2:3], 0
	s_cbranch_scc1 .LBB701_3
; %bb.1:
	s_lshl_b64 s[4:5], s[30:31], 2
	s_delay_alu instid0(SALU_CYCLE_1) | instskip(SKIP_4) | instid1(SALU_CYCLE_1)
	s_add_u32 s4, s2, s4
	s_addc_u32 s5, s3, s5
	s_load_b64 s[4:5], s[4:5], 0x0
	s_waitcnt lgkmcnt(0)
	s_sub_i32 s4, s5, s4
	s_cmp_eq_u32 s4, 1
	s_cselect_b32 s4, -1, 0
	s_delay_alu instid0(SALU_CYCLE_1)
	s_and_not1_b32 vcc_lo, exec_lo, s4
	s_cbranch_vccz .LBB701_4
.LBB701_2:
	s_endpgm
.LBB701_3:
.LBB701_4:
	s_load_b64 s[8:9], s[0:1], 0x28
	s_lshl_b64 s[4:5], s[30:31], 2
	s_waitcnt lgkmcnt(0)
	s_add_u32 s8, s8, s4
	s_addc_u32 s9, s9, s5
	s_lshl_b32 s12, s14, 8
	s_load_b32 s17, s[8:9], 0x0
	s_waitcnt lgkmcnt(0)
	s_cmp_ge_i32 s12, s17
	s_cbranch_scc1 .LBB701_2
; %bb.5:
	s_and_not1_b32 vcc_lo, exec_lo, s6
	s_cbranch_vccnz .LBB701_7
; %bb.6:
	s_add_u32 s2, s2, s4
	s_addc_u32 s3, s3, s5
	s_load_b32 s13, s[2:3], 0x0
	s_branch .LBB701_8
.LBB701_7:
	s_mov_b32 s13, s30
.LBB701_8:
	s_clause 0x2
	s_load_b128 s[8:11], s[0:1], 0x8
	s_load_b64 s[2:3], s[0:1], 0x20
	s_load_b128 s[4:7], s[0:1], 0x48
	v_and_b32_e32 v73, 15, v0
	s_waitcnt lgkmcnt(0)
	s_mov_b32 s7, exec_lo
	s_delay_alu instid0(VALU_DEP_1)
	v_lshlrev_b32_e32 v1, 3, v73
	v_cmpx_lt_u32_e32 0xbf, v0
	s_xor_b32 s7, exec_lo, s7
; %bb.9:
	v_mov_b32_e32 v2, 0
; %bb.10:
	s_or_saveexec_b32 s7, s7
	v_lshrrev_b32_e32 v74, 5, v0
	v_and_b32_e32 v75, 31, v0
	v_and_b32_e32 v84, 1, v0
	v_bfe_u32 v83, v0, 4, 1
	s_mul_i32 s29, s15, 12
	s_xor_b32 exec_lo, exec_lo, s7
	s_cbranch_execz .LBB701_12
; %bb.11:
	s_load_b64 s[18:19], s[0:1], 0x0
	v_lshl_or_b32 v7, v74, 1, v83
	s_mul_hi_i32 s21, s13, s4
	s_mul_i32 s20, s13, s4
	v_lshlrev_b32_e32 v4, 1, v1
	s_lshl_b64 s[20:21], s[20:21], 1
	v_add_lshl_u32 v2, v7, s29, 7
	v_lshlrev_b32_e32 v7, 6, v7
	v_lshlrev_b32_e32 v8, 10, v84
	s_delay_alu instid0(VALU_DEP_3) | instskip(NEXT) | instid1(VALU_DEP_1)
	v_ashrrev_i32_e32 v3, 31, v2
	v_lshlrev_b64 v[2:3], 1, v[2:3]
	s_waitcnt lgkmcnt(0)
	s_add_u32 s4, s18, s20
	s_addc_u32 s13, s19, s21
	s_delay_alu instid0(VALU_DEP_1) | instskip(NEXT) | instid1(VALU_DEP_2)
	v_add_co_u32 v2, vcc_lo, s4, v2
	v_add_co_ci_u32_e32 v3, vcc_lo, s13, v3, vcc_lo
	s_delay_alu instid0(VALU_DEP_2) | instskip(NEXT) | instid1(VALU_DEP_2)
	v_add_co_u32 v2, vcc_lo, v2, v4
	v_add_co_ci_u32_e32 v3, vcc_lo, 0, v3, vcc_lo
	global_load_b128 v[3:6], v[2:3], off
	v_lshlrev_b32_e32 v2, 10, v73
	s_delay_alu instid0(VALU_DEP_1) | instskip(NEXT) | instid1(VALU_DEP_1)
	v_and_b32_e32 v2, 0x3800, v2
	v_or3_b32 v7, v2, v8, v7
	v_mov_b32_e32 v2, 0
	s_waitcnt vmcnt(0)
	ds_store_b128 v7, v[3:6]
.LBB701_12:
	s_or_b32 exec_lo, exec_lo, s7
	v_add_nc_u32_e32 v80, -12, v73
	v_and_b32_e32 v3, 0xef, v0
	s_add_i32 s4, s17, 31
	s_clause 0x1
	s_load_b32 s7, s[0:1], 0x38
	s_load_b32 s18, s[0:1], 0x1c
	s_ashr_i32 s13, s4, 31
	v_add_nc_u32_e32 v3, s12, v3
	s_lshr_b32 s13, s13, 27
	s_waitcnt lgkmcnt(0)
	s_add_i32 s4, s4, s13
	s_barrier
	v_ashrrev_i32_e32 v4, 31, v3
	v_cmp_gt_i32_e32 vcc_lo, s17, v3
	s_ashr_i32 s4, s4, 5
	buffer_gl0_inv
	s_add_i32 s4, s4, -1
	v_lshrrev_b32_e32 v5, 27, v4
	v_or_b32_e32 v4, 16, v3
	v_lshlrev_b64 v[81:82], 1, v[1:2]
	s_delay_alu instid0(VALU_DEP_3) | instskip(NEXT) | instid1(VALU_DEP_3)
	v_add_nc_u32_e32 v6, v3, v5
	v_add_nc_u32_e32 v5, v4, v5
	s_mul_i32 s20, s30, s7
	s_delay_alu instid0(SALU_CYCLE_1) | instskip(NEXT) | instid1(VALU_DEP_2)
	s_ashr_i32 s21, s20, 31
	v_ashrrev_i32_e32 v6, 5, v6
	s_delay_alu instid0(VALU_DEP_2) | instskip(SKIP_1) | instid1(SALU_CYCLE_1)
	v_ashrrev_i32_e32 v5, 5, v5
	s_lshl_b64 s[20:21], s[20:21], 2
	s_add_u32 s7, s2, s20
	s_delay_alu instid0(VALU_DEP_2) | instskip(SKIP_3) | instid1(VALU_DEP_2)
	v_cndmask_b32_e32 v3, s4, v6, vcc_lo
	v_cmp_gt_i32_e32 vcc_lo, s17, v4
	s_addc_u32 s13, s3, s21
	s_mul_i32 s2, s15, s6
	v_ashrrev_i32_e32 v4, 31, v3
	v_cndmask_b32_e32 v5, s4, v5, vcc_lo
	s_ashr_i32 s3, s2, 31
	s_delay_alu instid0(SALU_CYCLE_1) | instskip(NEXT) | instid1(VALU_DEP_2)
	s_lshl_b64 s[2:3], s[2:3], 1
	v_lshlrev_b64 v[3:4], 2, v[3:4]
	s_delay_alu instid0(VALU_DEP_2) | instskip(SKIP_3) | instid1(VALU_DEP_1)
	v_ashrrev_i32_e32 v6, 31, v5
	s_add_u32 s6, s8, s2
	s_addc_u32 s15, s9, s3
	s_lshl_b32 s8, s14, 3
	v_lshlrev_b64 v[5:6], 2, v[5:6]
	v_add_co_u32 v3, vcc_lo, s7, v3
	v_add_co_ci_u32_e32 v4, vcc_lo, s13, v4, vcc_lo
	s_ashr_i32 s9, s8, 31
	s_delay_alu instid0(VALU_DEP_3) | instskip(NEXT) | instid1(VALU_DEP_4)
	v_add_co_u32 v5, vcc_lo, s7, v5
	v_add_co_ci_u32_e32 v6, vcc_lo, s13, v6, vcc_lo
	s_clause 0x1
	global_load_b32 v7, v[3:4], off
	global_load_b32 v8, v[5:6], off
	s_lshl_b64 s[8:9], s[8:9], 2
	s_delay_alu instid0(SALU_CYCLE_1) | instskip(SKIP_2) | instid1(SALU_CYCLE_1)
	s_add_u32 s8, s7, s8
	s_addc_u32 s9, s13, s9
	s_or_b32 s16, s12, 32
	s_ashr_i32 s19, s16, 5
	s_cmp_lt_i32 s16, s17
	s_cselect_b32 s20, s19, s4
	s_delay_alu instid0(SALU_CYCLE_1) | instskip(NEXT) | instid1(SALU_CYCLE_1)
	s_ashr_i32 s21, s20, 31
	s_lshl_b64 s[20:21], s[20:21], 2
	s_delay_alu instid0(SALU_CYCLE_1) | instskip(SKIP_2) | instid1(SALU_CYCLE_1)
	s_add_u32 s20, s7, s20
	s_addc_u32 s21, s13, s21
	s_or_b32 s16, s12, 64
	s_ashr_i32 s19, s16, 5
	s_cmp_lt_i32 s16, s17
	s_cselect_b32 s22, s19, s4
	s_delay_alu instid0(SALU_CYCLE_1) | instskip(NEXT) | instid1(SALU_CYCLE_1)
	s_ashr_i32 s23, s22, 31
	;; [unrolled: 10-line block ×5, first 2 shown]
	s_lshl_b64 s[34:35], s[34:35], 2
	s_delay_alu instid0(SALU_CYCLE_1)
	s_add_u32 s34, s7, s34
	s_addc_u32 s35, s13, s35
	s_clause 0x5
	s_load_b32 s16, s[8:9], 0x0
	s_load_b32 s19, s[20:21], 0x0
	;; [unrolled: 1-line block ×6, first 2 shown]
	s_mov_b32 s20, 0
	s_delay_alu instid0(SALU_CYCLE_1)
	s_mov_b32 s27, s20
	s_mov_b32 s24, s20
	;; [unrolled: 1-line block ×7, first 2 shown]
	v_dual_mov_b32 v108, s27 :: v_dual_mov_b32 v105, s24
	v_dual_mov_b32 v107, s26 :: v_dual_mov_b32 v106, s25
	;; [unrolled: 1-line block ×4, first 2 shown]
	s_waitcnt lgkmcnt(0)
	s_mul_hi_i32 s21, s16, s5
	s_mul_i32 s20, s16, s5
	s_mul_hi_i32 s23, s19, s5
	s_mul_i32 s22, s19, s5
	;; [unrolled: 2-line block ×5, first 2 shown]
	s_waitcnt vmcnt(1)
	v_mad_i64_i32 v[3:4], null, v7, s5, 0
	s_waitcnt vmcnt(0)
	v_mad_i64_i32 v[5:6], null, v8, s5, 0
	s_delay_alu instid0(VALU_DEP_2) | instskip(NEXT) | instid1(VALU_DEP_2)
	v_lshlrev_b64 v[3:4], 1, v[3:4]
	v_lshlrev_b64 v[1:2], 1, v[5:6]
	s_delay_alu instid0(VALU_DEP_2) | instskip(NEXT) | instid1(VALU_DEP_3)
	v_add_co_u32 v3, vcc_lo, s6, v3
	v_add_co_ci_u32_e32 v4, vcc_lo, s15, v4, vcc_lo
	s_delay_alu instid0(VALU_DEP_3) | instskip(NEXT) | instid1(VALU_DEP_4)
	v_add_co_u32 v1, vcc_lo, s6, v1
	v_add_co_ci_u32_e32 v2, vcc_lo, s15, v2, vcc_lo
	s_delay_alu instid0(VALU_DEP_4) | instskip(NEXT) | instid1(VALU_DEP_4)
	v_add_co_u32 v65, vcc_lo, v3, v81
	v_add_co_ci_u32_e32 v66, vcc_lo, v4, v82, vcc_lo
	s_delay_alu instid0(VALU_DEP_4) | instskip(NEXT) | instid1(VALU_DEP_4)
	v_add_co_u32 v76, vcc_lo, v1, v81
	v_add_co_ci_u32_e32 v77, vcc_lo, v2, v82, vcc_lo
	s_clause 0xf
	global_load_b128 v[1:4], v[65:66], off
	global_load_b128 v[5:8], v[65:66], off offset:512
	global_load_b128 v[9:12], v[76:77], off offset:256
	;; [unrolled: 1-line block ×15, first 2 shown]
	v_add_co_u32 v78, vcc_lo, 0x1000, v65
	v_add_co_ci_u32_e32 v79, vcc_lo, 0, v66, vcc_lo
	v_cmp_gt_u32_e32 vcc_lo, 12, v73
	s_clause 0x1
	global_load_b128 v[65:68], v[78:79], off
	global_load_b128 v[69:72], v[78:79], off offset:512
	s_or_b32 s6, s12, 0xc0
	v_cndmask_b32_e32 v80, v80, v73, vcc_lo
	v_add_co_u32 v76, vcc_lo, 0x1000, v76
	v_add_co_ci_u32_e32 v77, vcc_lo, 0, v77, vcc_lo
	s_delay_alu instid0(VALU_DEP_3)
	v_lshlrev_b32_e32 v80, 6, v80
	ds_load_b128 v[85:88], v80
	ds_load_b128 v[89:92], v80 offset:1024
	s_clause 0x1
	global_load_b128 v[93:96], v[76:77], off offset:256
	global_load_b128 v[97:100], v[76:77], off offset:768
	ds_load_b128 v[109:112], v80 offset:2048
	ds_load_b128 v[113:116], v80 offset:3072
	s_ashr_i32 s8, s6, 5
	s_cmp_lt_i32 s6, s17
	s_cselect_b32 s8, s8, s4
	s_delay_alu instid0(SALU_CYCLE_1) | instskip(NEXT) | instid1(SALU_CYCLE_1)
	s_ashr_i32 s9, s8, 31
	s_lshl_b64 s[8:9], s[8:9], 2
	s_delay_alu instid0(SALU_CYCLE_1) | instskip(SKIP_2) | instid1(SALU_CYCLE_1)
	s_add_u32 s8, s7, s8
	s_addc_u32 s9, s13, s9
	s_or_b32 s6, s12, 0xe0
	s_ashr_i32 s15, s6, 5
	s_cmp_lt_i32 s6, s17
	s_cselect_b32 s24, s15, s4
	s_delay_alu instid0(SALU_CYCLE_1) | instskip(NEXT) | instid1(SALU_CYCLE_1)
	s_ashr_i32 s25, s24, 31
	s_lshl_b64 s[24:25], s[24:25], 2
	s_delay_alu instid0(SALU_CYCLE_1) | instskip(SKIP_2) | instid1(SALU_CYCLE_1)
	s_add_u32 s24, s7, s24
	s_addc_u32 s25, s13, s25
	s_add_i32 s6, s12, 0x100
	s_ashr_i32 s15, s6, 5
	s_cmp_lt_i32 s6, s17
	s_cselect_b32 s36, s15, s4
	s_delay_alu instid0(SALU_CYCLE_1) | instskip(NEXT) | instid1(SALU_CYCLE_1)
	s_ashr_i32 s37, s36, 31
	s_lshl_b64 s[36:37], s[36:37], 2
	s_delay_alu instid0(SALU_CYCLE_1)
	s_add_u32 s6, s7, s36
	s_addc_u32 s7, s13, s37
	s_add_u32 s4, s10, s2
	s_addc_u32 s19, s11, s3
	s_lshl_b64 s[2:3], s[20:21], 1
	s_lshl_b64 s[10:11], s[26:27], 1
	s_lshl_b64 s[20:21], s[34:35], 1
	s_waitcnt vmcnt(18) lgkmcnt(2)
	v_wmma_f32_16x16x16_bf16 v[117:124], v[1:8], v[85:92], v[101:108]
	s_waitcnt vmcnt(16)
	v_wmma_f32_16x16x16_bf16 v[101:108], v[9:16], v[85:92], v[101:108]
	s_clause 0x3
	global_load_b128 v[1:4], v[78:79], off offset:1024
	global_load_b128 v[5:8], v[78:79], off offset:1536
	;; [unrolled: 1-line block ×4, first 2 shown]
	s_waitcnt vmcnt(18) lgkmcnt(0)
	v_wmma_f32_16x16x16_bf16 v[117:124], v[17:24], v[109:116], v[117:124]
	s_clause 0x1
	global_load_b128 v[17:20], v[78:79], off offset:2048
	global_load_b128 v[21:24], v[78:79], off offset:2560
	s_waitcnt vmcnt(18)
	v_wmma_f32_16x16x16_bf16 v[101:108], v[25:32], v[109:116], v[101:108]
	ds_load_b128 v[25:28], v80 offset:4096
	ds_load_b128 v[29:32], v80 offset:5120
	s_clause 0x5
	global_load_b128 v[109:112], v[76:77], off offset:2304
	global_load_b128 v[113:116], v[76:77], off offset:2816
	;; [unrolled: 1-line block ×6, first 2 shown]
	s_waitcnt vmcnt(22) lgkmcnt(0)
	v_wmma_f32_16x16x16_bf16 v[117:124], v[33:40], v[25:32], v[117:124]
	s_waitcnt vmcnt(20)
	v_wmma_f32_16x16x16_bf16 v[101:108], v[41:48], v[25:32], v[101:108]
	ds_load_b128 v[25:28], v80 offset:6144
	ds_load_b128 v[29:32], v80 offset:7168
	;; [unrolled: 1-line block ×4, first 2 shown]
	s_waitcnt vmcnt(18) lgkmcnt(2)
	v_wmma_f32_16x16x16_bf16 v[117:124], v[49:56], v[25:32], v[117:124]
	s_waitcnt vmcnt(16)
	v_wmma_f32_16x16x16_bf16 v[101:108], v[57:64], v[25:32], v[101:108]
	ds_load_b128 v[25:28], v80 offset:10240
	ds_load_b128 v[29:32], v80 offset:11264
	;; [unrolled: 1-line block ×6, first 2 shown]
	s_waitcnt vmcnt(14) lgkmcnt(6)
	v_wmma_f32_16x16x16_bf16 v[117:124], v[65:72], v[33:40], v[117:124]
	s_waitcnt vmcnt(12)
	v_wmma_f32_16x16x16_bf16 v[101:108], v[93:100], v[33:40], v[101:108]
	s_clause 0x2
	s_load_b32 s16, s[8:9], 0x0
	s_load_b32 s13, s[24:25], 0x0
	;; [unrolled: 1-line block ×3, first 2 shown]
	s_lshl_b64 s[6:7], s[22:23], 1
	s_mul_hi_i32 s9, s33, s5
	s_mul_i32 s8, s33, s5
	s_lshl_b64 s[22:23], s[38:39], 1
	s_lshl_b64 s[8:9], s[8:9], 1
	s_waitcnt lgkmcnt(0)
	s_mul_hi_i32 s25, s16, s5
	s_mul_i32 s24, s16, s5
	s_waitcnt vmcnt(10)
	v_wmma_f32_16x16x16_bf16 v[117:124], v[1:8], v[25:32], v[117:124]
	s_waitcnt vmcnt(8)
	v_wmma_f32_16x16x16_bf16 v[101:108], v[9:16], v[25:32], v[101:108]
	s_waitcnt vmcnt(6)
	s_delay_alu instid0(VALU_DEP_2) | instskip(SKIP_1) | instid1(VALU_DEP_2)
	v_wmma_f32_16x16x16_bf16 v[117:124], v[17:24], v[141:148], v[117:124]
	s_waitcnt vmcnt(4)
	v_wmma_f32_16x16x16_bf16 v[101:108], v[109:116], v[141:148], v[101:108]
	s_waitcnt vmcnt(2)
	s_delay_alu instid0(VALU_DEP_2) | instskip(SKIP_3) | instid1(VALU_DEP_3)
	v_wmma_f32_16x16x16_bf16 v[117:124], v[125:132], v[149:156], v[117:124]
	v_lshlrev_b32_e32 v85, 6, v73
	s_waitcnt vmcnt(0)
	v_wmma_f32_16x16x16_bf16 v[101:108], v[133:140], v[149:156], v[101:108]
	v_mul_f32_e32 v100, s18, v124
	s_delay_alu instid0(VALU_DEP_3) | instskip(SKIP_2) | instid1(VALU_DEP_3)
	v_lshl_or_b32 v41, v74, 10, v85
	v_mul_f32_e32 v99, s18, v118
	v_mul_f32_e32 v97, s18, v117
	v_add_co_u32 v76, s4, s4, v41
	s_delay_alu instid0(VALU_DEP_1) | instskip(NEXT) | instid1(VALU_DEP_2)
	v_add_co_ci_u32_e64 v77, null, s19, 0, s4
	v_add_co_u32 v41, vcc_lo, v76, s2
	s_delay_alu instid0(VALU_DEP_2)
	v_add_co_ci_u32_e32 v42, vcc_lo, s3, v77, vcc_lo
	v_add_co_u32 v33, vcc_lo, v76, s6
	v_add_co_ci_u32_e32 v34, vcc_lo, s7, v77, vcc_lo
	v_add_co_u32 v35, vcc_lo, v76, s10
	;; [unrolled: 2-line block ×5, first 2 shown]
	s_lshl_b64 s[2:3], s[24:25], 1
	v_add_co_ci_u32_e32 v6, vcc_lo, s23, v77, vcc_lo
	s_mul_hi_i32 s7, s13, s5
	s_mul_i32 s6, s13, s5
	v_add_co_u32 v17, vcc_lo, v76, s2
	v_add_co_ci_u32_e32 v18, vcc_lo, s3, v77, vcc_lo
	s_lshl_b64 s[2:3], s[6:7], 1
	s_mul_hi_i32 s7, s15, s5
	s_mul_i32 s6, s15, s5
	v_add_co_u32 v19, vcc_lo, v76, s2
	v_add_co_ci_u32_e32 v20, vcc_lo, s3, v77, vcc_lo
	s_lshl_b64 s[2:3], s[6:7], 1
	s_clause 0x1
	global_load_b128 v[65:68], v[41:42], off
	global_load_b128 v[69:72], v[41:42], off offset:16
	v_add_co_u32 v21, vcc_lo, v76, s2
	v_add_co_ci_u32_e32 v22, vcc_lo, s3, v77, vcc_lo
	s_clause 0xf
	global_load_b128 v[57:60], v[33:34], off
	global_load_b128 v[61:64], v[33:34], off offset:16
	global_load_b128 v[49:52], v[35:36], off
	global_load_b128 v[53:56], v[35:36], off offset:16
	;; [unrolled: 2-line block ×8, first 2 shown]
	v_mbcnt_lo_u32_b32 v77, -1, 0
	s_waitcnt vmcnt(0)
	s_barrier
	buffer_gl0_inv
	v_xor_b32_e32 v78, 16, v77
	s_delay_alu instid0(VALU_DEP_1) | instskip(SKIP_1) | instid1(VALU_DEP_1)
	v_cmp_gt_i32_e32 vcc_lo, 32, v78
	v_dual_cndmask_b32 v77, v77, v78 :: v_dual_and_b32 v76, 0xe0, v0
	v_add_nc_u32_e32 v76, s12, v76
	s_delay_alu instid0(VALU_DEP_1) | instskip(NEXT) | instid1(VALU_DEP_1)
	v_or_b32_e32 v76, v76, v83
	v_or_b32_e32 v78, 2, v76
	;; [unrolled: 1-line block ×4, first 2 shown]
	v_cmp_gt_i32_e32 vcc_lo, s17, v76
	v_or_b32_e32 v86, 8, v76
	v_cmp_gt_i32_e64 s2, s17, v78
	v_or_b32_e32 v87, 10, v76
	v_or_b32_e32 v88, 12, v76
	;; [unrolled: 1-line block ×11, first 2 shown]
	v_cndmask_b32_e32 v76, 0xff7fffff, v97, vcc_lo
	v_cmp_gt_i32_e64 s3, s17, v80
	v_mul_f32_e32 v80, s18, v119
	v_cndmask_b32_e64 v78, 0xff7fffff, v99, s2
	v_mul_f32_e32 v99, s18, v120
	v_cmp_gt_i32_e64 s4, s17, v79
	v_mul_f32_e32 v97, s18, v123
	v_mul_f32_e32 v79, s18, v122
	v_max3_f32 v76, v76, 0xff7fffff, v78
	v_mul_f32_e32 v78, s18, v121
	v_cndmask_b32_e64 v80, 0xff7fffff, v80, s4
	v_cmp_gt_i32_e64 s5, s17, v86
	v_cmp_gt_i32_e64 s6, s17, v87
	v_mul_f32_e32 v86, s18, v107
	v_cndmask_b32_e64 v99, 0xff7fffff, v99, s3
	v_cmp_gt_i32_e64 s7, s17, v89
	v_cndmask_b32_e64 v78, 0xff7fffff, v78, s5
	v_cmp_gt_i32_e64 s8, s17, v88
	v_mul_f32_e32 v89, s18, v101
	v_max3_f32 v76, v76, v80, v99
	v_mul_f32_e32 v80, s18, v108
	v_cndmask_b32_e64 v79, 0xff7fffff, v79, s6
	v_dual_mul_f32 v99, s18, v105 :: v_dual_mul_f32 v88, s18, v102
	v_cndmask_b32_e64 v97, 0xff7fffff, v97, s8
	v_cndmask_b32_e64 v100, 0xff7fffff, v100, s7
	s_delay_alu instid0(VALU_DEP_4) | instskip(SKIP_4) | instid1(VALU_DEP_4)
	v_max3_f32 v76, v76, v78, v79
	v_cmp_gt_i32_e64 s9, s17, v90
	v_cmp_gt_i32_e64 s10, s17, v91
	v_dual_mul_f32 v87, s18, v106 :: v_dual_mul_f32 v78, s18, v104
	v_mul_f32_e32 v79, s18, v103
	v_cndmask_b32_e64 v89, 0xff7fffff, v89, s9
	s_delay_alu instid0(VALU_DEP_4)
	v_cndmask_b32_e64 v88, 0xff7fffff, v88, s10
	v_max3_f32 v76, v76, v97, v100
	v_cmp_gt_i32_e64 s11, s17, v92
	v_cmp_gt_i32_e64 s12, s17, v93
	;; [unrolled: 1-line block ×4, first 2 shown]
	v_max3_f32 v76, v76, v89, v88
	v_cndmask_b32_e64 v79, 0xff7fffff, v79, s11
	v_cndmask_b32_e64 v78, 0xff7fffff, v78, s12
	;; [unrolled: 1-line block ×4, first 2 shown]
	v_cmp_gt_i32_e64 s16, s17, v96
	v_cmp_gt_i32_e64 s17, s17, v98
	v_max3_f32 v76, v76, v79, v78
	v_lshlrev_b32_e32 v99, 2, v77
	s_delay_alu instid0(VALU_DEP_4) | instskip(NEXT) | instid1(VALU_DEP_4)
	v_cndmask_b32_e64 v78, 0xff7fffff, v86, s16
	v_cndmask_b32_e64 v79, 0xff7fffff, v80, s17
	s_delay_alu instid0(VALU_DEP_4) | instskip(NEXT) | instid1(VALU_DEP_1)
	v_max3_f32 v76, v76, v88, v87
	v_max3_f32 v76, v76, v78, v79
	ds_bpermute_b32 v77, v99, v76
	s_waitcnt lgkmcnt(0)
	v_max_f32_e32 v77, v77, v77
	s_delay_alu instid0(VALU_DEP_1) | instskip(NEXT) | instid1(VALU_DEP_1)
	v_max_f32_e32 v76, v76, v77
	v_fma_f32 v78, s18, v118, -v76
	v_fma_f32 v77, s18, v117, -v76
	;; [unrolled: 1-line block ×5, first 2 shown]
	v_mul_f32_e32 v78, 0x3fb8aa3b, v78
	v_fma_f32 v87, s18, v123, -v76
	v_fma_f32 v88, s18, v105, -v76
	v_mul_f32_e32 v80, 0x3fb8aa3b, v80
	v_mul_f32_e32 v86, 0x3fb8aa3b, v86
	v_exp_f32_e32 v78, v78
	v_fma_f32 v90, s18, v107, -v76
	v_fma_f32 v100, s18, v108, -v76
	v_exp_f32_e32 v80, v80
	v_exp_f32_e32 v86, v86
	v_mul_f32_e32 v88, 0x3fb8aa3b, v88
	s_delay_alu instid0(VALU_DEP_2) | instskip(NEXT) | instid1(TRANS32_DEP_3)
	v_mul_f32_e32 v100, 0x3fb8aa3b, v100
	v_cndmask_b32_e64 v91, 0, v78, s2
	v_mul_f32_e32 v77, 0x3fb8aa3b, v77
	s_delay_alu instid0(VALU_DEP_4) | instskip(NEXT) | instid1(TRANS32_DEP_3)
	v_exp_f32_e32 v88, v88
	v_cndmask_b32_e64 v95, 0, v80, s3
	v_fma_f32 v80, s18, v101, -v76
	s_delay_alu instid0(TRANS32_DEP_2)
	v_cndmask_b32_e64 v96, 0, v86, s5
	v_exp_f32_e32 v77, v77
	v_mul_f32_e32 v79, 0x3fb8aa3b, v79
	v_fma_f32 v86, s18, v102, -v76
	v_mul_f32_e32 v80, 0x3fb8aa3b, v80
	s_mov_b32 s2, exec_lo
	v_exp_f32_e32 v100, v100
	s_delay_alu instid0(VALU_DEP_1) | instskip(NEXT) | instid1(TRANS32_DEP_3)
	v_exp_f32_e32 v80, v80
	v_cndmask_b32_e32 v92, 0, v77, vcc_lo
	v_exp_f32_e32 v79, v79
	v_fma_f32 v77, s18, v122, -v76
	s_delay_alu instid0(VALU_DEP_2) | instskip(NEXT) | instid1(VALU_DEP_1)
	v_add_f32_e32 v78, 0, v92
	v_add_f32_e32 v78, v78, v91
	s_waitcnt_depctr 0xfff
	v_cndmask_b32_e64 v93, 0, v79, s4
	v_mul_f32_e32 v87, 0x3fb8aa3b, v87
	v_fma_f32 v79, s18, v124, -v76
	s_delay_alu instid0(VALU_DEP_3) | instskip(SKIP_1) | instid1(VALU_DEP_3)
	v_add_f32_e32 v78, v78, v93
	v_mul_f32_e32 v77, 0x3fb8aa3b, v77
	v_mul_f32_e32 v79, 0x3fb8aa3b, v79
	v_exp_f32_e32 v87, v87
	s_delay_alu instid0(VALU_DEP_3) | instskip(NEXT) | instid1(VALU_DEP_3)
	v_add_f32_e32 v78, v78, v95
	v_exp_f32_e32 v77, v77
	s_delay_alu instid0(VALU_DEP_2) | instskip(NEXT) | instid1(TRANS32_DEP_3)
	v_exp_f32_e32 v79, v79
	v_cndmask_b32_e64 v94, 0, v87, s8
	v_fma_f32 v87, s18, v104, -v76
	s_waitcnt_depctr 0xfff
	v_cndmask_b32_e64 v97, 0, v77, s6
	v_add_f32_e32 v77, v78, v96
	v_fma_f32 v78, s18, v103, -v76
	v_mul_f32_e32 v86, 0x3fb8aa3b, v86
	v_cndmask_b32_e64 v98, 0, v79, s7
	v_mul_f32_e32 v87, 0x3fb8aa3b, v87
	s_delay_alu instid0(VALU_DEP_4) | instskip(NEXT) | instid1(VALU_DEP_4)
	v_dual_add_f32 v77, v77, v97 :: v_dual_mul_f32 v78, 0x3fb8aa3b, v78
	v_exp_f32_e32 v86, v86
	s_delay_alu instid0(VALU_DEP_2) | instskip(NEXT) | instid1(VALU_DEP_1)
	v_exp_f32_e32 v87, v87
	v_add_f32_e32 v79, v77, v94
	s_delay_alu instid0(VALU_DEP_2) | instskip(SKIP_2) | instid1(VALU_DEP_3)
	v_exp_f32_e32 v89, v78
	v_cndmask_b32_e64 v77, 0, v80, s9
	v_fma_f32 v80, s18, v106, -v76
	v_add_f32_e32 v79, v79, v98
	s_delay_alu instid0(TRANS32_DEP_3) | instskip(NEXT) | instid1(VALU_DEP_3)
	v_cndmask_b32_e64 v78, 0, v86, s10
	v_mul_f32_e32 v80, 0x3fb8aa3b, v80
	s_delay_alu instid0(VALU_DEP_3) | instskip(NEXT) | instid1(TRANS32_DEP_1)
	v_add_f32_e32 v86, v79, v77
	v_cndmask_b32_e64 v79, 0, v89, s11
	v_mul_f32_e32 v89, 0x3fb8aa3b, v90
	s_delay_alu instid0(VALU_DEP_4) | instskip(SKIP_2) | instid1(VALU_DEP_3)
	v_exp_f32_e32 v90, v80
	v_cndmask_b32_e64 v80, 0, v87, s12
	v_add_f32_e32 v86, v86, v78
	v_exp_f32_e32 v89, v89
	s_delay_alu instid0(VALU_DEP_1) | instskip(SKIP_1) | instid1(VALU_DEP_2)
	v_add_f32_e32 v87, v86, v79
	v_cndmask_b32_e64 v86, 0, v88, s13
	v_add_f32_e32 v88, v87, v80
	s_delay_alu instid0(TRANS32_DEP_2) | instskip(NEXT) | instid1(VALU_DEP_2)
	v_cndmask_b32_e64 v87, 0, v90, s15
	v_add_f32_e32 v90, v88, v86
	s_waitcnt_depctr 0xfff
	v_cndmask_b32_e64 v88, 0, v89, s16
	v_add_f32_e32 v89, v90, v87
	s_delay_alu instid0(VALU_DEP_1) | instskip(SKIP_1) | instid1(VALU_DEP_1)
	v_add_f32_e32 v90, v89, v88
	v_cndmask_b32_e64 v89, 0, v100, s17
	v_add_f32_e32 v90, v90, v89
	ds_bpermute_b32 v99, v99, v90
	v_cmpx_gt_u32_e32 16, v75
	s_cbranch_execz .LBB701_14
; %bb.13:
	v_mul_u32_u24_e32 v75, 0x44, v74
	s_waitcnt lgkmcnt(0)
	v_add_f32_e32 v90, v90, v99
	s_delay_alu instid0(VALU_DEP_2) | instskip(NEXT) | instid1(VALU_DEP_1)
	v_lshl_add_u32 v75, v73, 2, v75
	v_add_nc_u32_e32 v75, 0x4000, v75
	ds_store_2addr_b32 v75, v76, v90 offset1:136
.LBB701_14:
	s_or_b32 exec_lo, exec_lo, s2
	v_lshlrev_b32_e32 v75, 2, v73
	s_waitcnt lgkmcnt(0)
	s_barrier
	buffer_gl0_inv
	v_cmp_eq_u32_e64 s2, 1, v74
	v_add_nc_u32_e32 v90, 0x4000, v75
	ds_load_2addr_b32 v[99:100], v90 offset1:17
	ds_load_2addr_b32 v[101:102], v90 offset0:34 offset1:51
	ds_load_2addr_b32 v[103:104], v90 offset0:68 offset1:85
	;; [unrolled: 1-line block ×4, first 2 shown]
	s_waitcnt lgkmcnt(4)
	v_max3_f32 v75, v99, 0xff7fffff, v100
	s_waitcnt lgkmcnt(3)
	s_delay_alu instid0(VALU_DEP_1) | instskip(SKIP_1) | instid1(VALU_DEP_1)
	v_max3_f32 v75, v75, v101, v102
	s_waitcnt lgkmcnt(2)
	v_max3_f32 v75, v75, v103, v104
	s_waitcnt lgkmcnt(1)
	s_delay_alu instid0(VALU_DEP_1) | instskip(NEXT) | instid1(VALU_DEP_1)
	v_max3_f32 v75, v75, v105, v106
	v_sub_f32_e32 v109, v100, v75
	v_sub_f32_e32 v76, v99, v75
	ds_load_2addr_b32 v[99:100], v90 offset0:170 offset1:187
	v_sub_f32_e32 v101, v101, v75
	v_dual_mul_f32 v109, 0x3fb8aa3b, v109 :: v_dual_mul_f32 v76, 0x3fb8aa3b, v76
	s_delay_alu instid0(VALU_DEP_2) | instskip(NEXT) | instid1(VALU_DEP_2)
	v_mul_f32_e32 v111, 0x3fb8aa3b, v101
	v_exp_f32_e32 v109, v109
	s_delay_alu instid0(VALU_DEP_2)
	v_exp_f32_e32 v110, v76
	v_sub_f32_e32 v76, v102, v75
	ds_load_2addr_b32 v[101:102], v90 offset0:204 offset1:221
	v_exp_f32_e32 v111, v111
	v_mul_f32_e32 v112, 0x3fb8aa3b, v76
	s_waitcnt lgkmcnt(2)
	v_fma_f32 v76, v110, v107, 0
	v_sub_f32_e32 v103, v103, v75
	s_delay_alu instid0(VALU_DEP_3) | instskip(NEXT) | instid1(VALU_DEP_2)
	v_exp_f32_e32 v112, v112
	v_dual_sub_f32 v107, v104, v75 :: v_dual_fmac_f32 v76, v109, v108
	s_waitcnt lgkmcnt(1)
	s_waitcnt_depctr 0xfff
	v_fmac_f32_e32 v76, v111, v99
	v_mul_f32_e32 v113, 0x3fb8aa3b, v103
	ds_load_2addr_b32 v[103:104], v90 offset0:238 offset1:255
	v_sub_f32_e32 v90, v105, v75
	v_dual_sub_f32 v99, v106, v75 :: v_dual_fmac_f32 v76, v112, v100
	v_mul_f32_e32 v105, 0x3fb8aa3b, v107
	v_exp_f32_e32 v107, v113
	s_delay_alu instid0(VALU_DEP_2)
	v_dual_mul_f32 v90, 0x3fb8aa3b, v90 :: v_dual_mul_f32 v99, 0x3fb8aa3b, v99
	s_waitcnt lgkmcnt(0)
	s_barrier
	buffer_gl0_inv
	v_exp_f32_e32 v90, v90
	v_exp_f32_e32 v99, v99
	v_fmac_f32_e32 v76, v107, v101
	v_exp_f32_e32 v105, v105
	s_waitcnt_depctr 0xfff
	v_fmac_f32_e32 v76, v105, v102
	s_delay_alu instid0(VALU_DEP_1) | instskip(NEXT) | instid1(VALU_DEP_1)
	v_fmac_f32_e32 v76, v90, v103
	v_fmac_f32_e32 v76, v99, v104
	s_delay_alu instid0(VALU_DEP_1) | instskip(NEXT) | instid1(VALU_DEP_1)
	v_add_f32_e32 v100, 0x358637bd, v76
	v_div_scale_f32 v101, null, v100, v100, 1.0
	v_div_scale_f32 v104, vcc_lo, 1.0, v100, 1.0
	s_delay_alu instid0(VALU_DEP_2) | instskip(SKIP_2) | instid1(VALU_DEP_1)
	v_rcp_f32_e32 v102, v101
	s_waitcnt_depctr 0xfff
	v_fma_f32 v103, -v101, v102, 1.0
	v_fmac_f32_e32 v102, v103, v102
	v_cndmask_b32_e64 v103, v110, v109, s2
	v_cmp_eq_u32_e64 s2, 2, v74
	s_delay_alu instid0(VALU_DEP_3) | instskip(NEXT) | instid1(VALU_DEP_2)
	v_mul_f32_e32 v106, v104, v102
	v_cndmask_b32_e64 v103, v103, v111, s2
	v_cmp_eq_u32_e64 s2, 3, v74
	s_delay_alu instid0(VALU_DEP_3) | instskip(NEXT) | instid1(VALU_DEP_2)
	v_fma_f32 v108, -v101, v106, v104
	v_cndmask_b32_e64 v103, v103, v112, s2
	v_cmp_eq_u32_e64 s2, 4, v74
	s_delay_alu instid0(VALU_DEP_3) | instskip(NEXT) | instid1(VALU_DEP_2)
	v_fmac_f32_e32 v106, v108, v102
	v_cndmask_b32_e64 v103, v103, v107, s2
	s_delay_alu instid0(VALU_DEP_2) | instskip(SKIP_1) | instid1(VALU_DEP_2)
	v_fma_f32 v101, -v101, v106, v104
	v_cmp_eq_u32_e64 s2, 5, v74
	v_div_fmas_f32 v101, v101, v102, v106
	s_delay_alu instid0(VALU_DEP_2) | instskip(SKIP_2) | instid1(VALU_DEP_3)
	v_cndmask_b32_e64 v103, v103, v105, s2
	v_cmp_eq_u32_e32 vcc_lo, 6, v74
	s_mov_b32 s2, exec_lo
	v_div_fixup_f32 v100, v101, v100, 1.0
	s_delay_alu instid0(VALU_DEP_3) | instskip(SKIP_1) | instid1(VALU_DEP_2)
	v_cndmask_b32_e32 v90, v103, v90, vcc_lo
	v_cmp_eq_u32_e32 vcc_lo, 7, v74
	v_cndmask_b32_e32 v90, v90, v99, vcc_lo
	s_delay_alu instid0(VALU_DEP_1) | instskip(NEXT) | instid1(VALU_DEP_1)
	v_mul_f32_e32 v90, v90, v100
	v_mul_f32_e32 v100, v90, v92
	;; [unrolled: 1-line block ×6, first 2 shown]
	v_and_b32_e32 v101, 0x7f800000, v100
	v_mul_f32_e32 v99, v90, v95
	v_mul_f32_e32 v95, v90, v91
	;; [unrolled: 1-line block ×3, first 2 shown]
                                        ; implicit-def: $vgpr91
	s_delay_alu instid0(VALU_DEP_4)
	v_cmpx_ne_u32_e32 0x7f800000, v101
	s_xor_b32 s2, exec_lo, s2
; %bb.15:
	v_bfe_u32 v91, v100, 16, 1
	s_delay_alu instid0(VALU_DEP_1)
	v_add3_u32 v91, v100, v91, 0x7fff
                                        ; implicit-def: $vgpr100
; %bb.16:
	s_and_not1_saveexec_b32 s2, s2
; %bb.17:
	v_and_b32_e32 v91, 0xffff, v100
	v_or_b32_e32 v93, 0x10000, v100
	s_delay_alu instid0(VALU_DEP_2) | instskip(NEXT) | instid1(VALU_DEP_2)
	v_cmp_eq_u32_e32 vcc_lo, 0, v91
	v_cndmask_b32_e32 v91, v93, v100, vcc_lo
; %bb.18:
	s_or_b32 exec_lo, exec_lo, s2
	v_and_b32_e32 v93, 0x7f800000, v95
	s_delay_alu instid0(VALU_DEP_1) | instskip(SKIP_1) | instid1(SALU_CYCLE_1)
	v_cmp_ne_u32_e32 vcc_lo, 0x7f800000, v93
                                        ; implicit-def: $vgpr93
	s_and_saveexec_b32 s2, vcc_lo
	s_xor_b32 s2, exec_lo, s2
; %bb.19:
	v_bfe_u32 v93, v95, 16, 1
	s_delay_alu instid0(VALU_DEP_1)
	v_add3_u32 v93, v95, v93, 0x7fff
                                        ; implicit-def: $vgpr95
; %bb.20:
	s_and_not1_saveexec_b32 s2, s2
; %bb.21:
	v_and_b32_e32 v93, 0xffff, v95
	v_or_b32_e32 v100, 0x10000, v95
	s_delay_alu instid0(VALU_DEP_2) | instskip(NEXT) | instid1(VALU_DEP_2)
	v_cmp_eq_u32_e32 vcc_lo, 0, v93
	v_cndmask_b32_e32 v93, v100, v95, vcc_lo
; %bb.22:
	s_or_b32 exec_lo, exec_lo, s2
	v_and_b32_e32 v95, 0x7f800000, v96
	s_delay_alu instid0(VALU_DEP_1) | instskip(SKIP_1) | instid1(SALU_CYCLE_1)
	v_cmp_ne_u32_e32 vcc_lo, 0x7f800000, v95
                                        ; implicit-def: $vgpr95
	s_and_saveexec_b32 s2, vcc_lo
	s_xor_b32 s2, exec_lo, s2
; %bb.23:
	v_bfe_u32 v95, v96, 16, 1
	s_delay_alu instid0(VALU_DEP_1)
	v_add3_u32 v95, v96, v95, 0x7fff
                                        ; implicit-def: $vgpr96
; %bb.24:
	s_and_not1_saveexec_b32 s2, s2
; %bb.25:
	v_and_b32_e32 v95, 0xffff, v96
	v_or_b32_e32 v100, 0x10000, v96
	s_delay_alu instid0(VALU_DEP_2) | instskip(NEXT) | instid1(VALU_DEP_2)
	v_cmp_eq_u32_e32 vcc_lo, 0, v95
	v_cndmask_b32_e32 v95, v100, v96, vcc_lo
; %bb.26:
	s_or_b32 exec_lo, exec_lo, s2
	v_and_b32_e32 v96, 0x7f800000, v99
	s_delay_alu instid0(VALU_DEP_1) | instskip(SKIP_1) | instid1(SALU_CYCLE_1)
	v_cmp_ne_u32_e32 vcc_lo, 0x7f800000, v96
                                        ; implicit-def: $vgpr96
	s_and_saveexec_b32 s2, vcc_lo
	s_xor_b32 s2, exec_lo, s2
; %bb.27:
	v_bfe_u32 v96, v99, 16, 1
	s_delay_alu instid0(VALU_DEP_1)
	v_add3_u32 v96, v99, v96, 0x7fff
                                        ; implicit-def: $vgpr99
; %bb.28:
	s_and_not1_saveexec_b32 s2, s2
; %bb.29:
	v_and_b32_e32 v96, 0xffff, v99
	v_or_b32_e32 v100, 0x10000, v99
	s_delay_alu instid0(VALU_DEP_2) | instskip(NEXT) | instid1(VALU_DEP_2)
	v_cmp_eq_u32_e32 vcc_lo, 0, v96
	v_cndmask_b32_e32 v96, v100, v99, vcc_lo
; %bb.30:
	s_or_b32 exec_lo, exec_lo, s2
	v_and_b32_e32 v99, 0x7f800000, v98
	s_delay_alu instid0(VALU_DEP_1) | instskip(SKIP_1) | instid1(SALU_CYCLE_1)
	v_cmp_ne_u32_e32 vcc_lo, 0x7f800000, v99
                                        ; implicit-def: $vgpr99
	s_and_saveexec_b32 s2, vcc_lo
	s_xor_b32 s2, exec_lo, s2
; %bb.31:
	v_bfe_u32 v99, v98, 16, 1
	s_delay_alu instid0(VALU_DEP_1)
	v_add3_u32 v99, v98, v99, 0x7fff
                                        ; implicit-def: $vgpr98
; %bb.32:
	s_and_not1_saveexec_b32 s2, s2
; %bb.33:
	v_and_b32_e32 v99, 0xffff, v98
	v_or_b32_e32 v100, 0x10000, v98
	s_delay_alu instid0(VALU_DEP_2) | instskip(NEXT) | instid1(VALU_DEP_2)
	v_cmp_eq_u32_e32 vcc_lo, 0, v99
	v_cndmask_b32_e32 v99, v100, v98, vcc_lo
; %bb.34:
	s_or_b32 exec_lo, exec_lo, s2
	v_and_b32_e32 v98, 0x7f800000, v97
	s_delay_alu instid0(VALU_DEP_1) | instskip(SKIP_1) | instid1(SALU_CYCLE_1)
	v_cmp_ne_u32_e32 vcc_lo, 0x7f800000, v98
                                        ; implicit-def: $vgpr98
	s_and_saveexec_b32 s2, vcc_lo
	s_xor_b32 s2, exec_lo, s2
; %bb.35:
	v_bfe_u32 v98, v97, 16, 1
	s_delay_alu instid0(VALU_DEP_1)
	v_add3_u32 v98, v97, v98, 0x7fff
                                        ; implicit-def: $vgpr97
; %bb.36:
	s_and_not1_saveexec_b32 s2, s2
; %bb.37:
	v_and_b32_e32 v98, 0xffff, v97
	v_or_b32_e32 v100, 0x10000, v97
	s_delay_alu instid0(VALU_DEP_2) | instskip(NEXT) | instid1(VALU_DEP_2)
	v_cmp_eq_u32_e32 vcc_lo, 0, v98
	v_cndmask_b32_e32 v98, v100, v97, vcc_lo
; %bb.38:
	s_or_b32 exec_lo, exec_lo, s2
	v_and_b32_e32 v97, 0x7f800000, v94
	s_delay_alu instid0(VALU_DEP_1) | instskip(SKIP_1) | instid1(SALU_CYCLE_1)
	v_cmp_ne_u32_e32 vcc_lo, 0x7f800000, v97
                                        ; implicit-def: $vgpr97
	s_and_saveexec_b32 s2, vcc_lo
	s_xor_b32 s2, exec_lo, s2
; %bb.39:
	v_bfe_u32 v97, v94, 16, 1
	s_delay_alu instid0(VALU_DEP_1)
	v_add3_u32 v97, v94, v97, 0x7fff
                                        ; implicit-def: $vgpr94
; %bb.40:
	s_and_not1_saveexec_b32 s2, s2
; %bb.41:
	v_and_b32_e32 v97, 0xffff, v94
	v_or_b32_e32 v100, 0x10000, v94
	s_delay_alu instid0(VALU_DEP_2) | instskip(NEXT) | instid1(VALU_DEP_2)
	v_cmp_eq_u32_e32 vcc_lo, 0, v97
	v_cndmask_b32_e32 v97, v100, v94, vcc_lo
; %bb.42:
	s_or_b32 exec_lo, exec_lo, s2
	v_and_b32_e32 v94, 0x7f800000, v92
	s_delay_alu instid0(VALU_DEP_1) | instskip(SKIP_1) | instid1(SALU_CYCLE_1)
	v_cmp_ne_u32_e32 vcc_lo, 0x7f800000, v94
                                        ; implicit-def: $vgpr94
	s_and_saveexec_b32 s2, vcc_lo
	s_xor_b32 s2, exec_lo, s2
; %bb.43:
	v_bfe_u32 v94, v92, 16, 1
	s_delay_alu instid0(VALU_DEP_1)
	v_add3_u32 v94, v92, v94, 0x7fff
                                        ; implicit-def: $vgpr92
; %bb.44:
	s_and_not1_saveexec_b32 s2, s2
; %bb.45:
	v_and_b32_e32 v94, 0xffff, v92
	v_or_b32_e32 v100, 0x10000, v92
	s_delay_alu instid0(VALU_DEP_2) | instskip(NEXT) | instid1(VALU_DEP_2)
	v_cmp_eq_u32_e32 vcc_lo, 0, v94
	v_cndmask_b32_e32 v94, v100, v92, vcc_lo
; %bb.46:
	s_or_b32 exec_lo, exec_lo, s2
	s_load_b64 s[34:35], s[0:1], 0x94
	v_lshlrev_b32_e32 v92, 4, v83
	s_delay_alu instid0(VALU_DEP_2)
	v_perm_b32 v100, v94, v97, 0x7060302
	v_dual_mul_f32 v89, v90, v89 :: v_dual_lshlrev_b32 v94, 11, v74
	v_perm_b32 v97, v93, v91, 0x7060302
	v_mul_f32_e32 v93, v90, v77
	v_perm_b32 v99, v98, v99, 0x7060302
	v_perm_b32 v98, v96, v95, 0x7060302
	v_or3_b32 v77, v92, v94, v85
	v_mul_f32_e32 v88, v90, v88
	v_dual_mul_f32 v87, v90, v87 :: v_dual_and_b32 v94, 0x7f800000, v93
	v_mul_f32_e32 v86, v90, v86
	v_mul_f32_e32 v91, v90, v80
	;; [unrolled: 1-line block ×4, first 2 shown]
	s_mov_b32 s2, exec_lo
	ds_store_b128 v77, v[97:100]
                                        ; implicit-def: $vgpr78
	v_cmpx_ne_u32_e32 0x7f800000, v94
	s_xor_b32 s2, exec_lo, s2
; %bb.47:
	v_bfe_u32 v78, v93, 16, 1
	s_delay_alu instid0(VALU_DEP_1)
	v_add3_u32 v78, v93, v78, 0x7fff
                                        ; implicit-def: $vgpr93
; %bb.48:
	s_and_not1_saveexec_b32 s2, s2
; %bb.49:
	v_and_b32_e32 v78, 0xffff, v93
	v_or_b32_e32 v79, 0x10000, v93
	s_delay_alu instid0(VALU_DEP_2) | instskip(NEXT) | instid1(VALU_DEP_2)
	v_cmp_eq_u32_e32 vcc_lo, 0, v78
	v_cndmask_b32_e32 v78, v79, v93, vcc_lo
; %bb.50:
	s_or_b32 exec_lo, exec_lo, s2
	v_and_b32_e32 v79, 0x7f800000, v80
	s_delay_alu instid0(VALU_DEP_1) | instskip(SKIP_1) | instid1(SALU_CYCLE_1)
	v_cmp_ne_u32_e32 vcc_lo, 0x7f800000, v79
                                        ; implicit-def: $vgpr79
	s_and_saveexec_b32 s2, vcc_lo
	s_xor_b32 s2, exec_lo, s2
; %bb.51:
	v_bfe_u32 v79, v80, 16, 1
	s_delay_alu instid0(VALU_DEP_1)
	v_add3_u32 v79, v80, v79, 0x7fff
                                        ; implicit-def: $vgpr80
; %bb.52:
	s_and_not1_saveexec_b32 s2, s2
; %bb.53:
	v_and_b32_e32 v79, 0xffff, v80
	v_or_b32_e32 v90, 0x10000, v80
	s_delay_alu instid0(VALU_DEP_2) | instskip(NEXT) | instid1(VALU_DEP_2)
	v_cmp_eq_u32_e32 vcc_lo, 0, v79
	v_cndmask_b32_e32 v79, v90, v80, vcc_lo
; %bb.54:
	s_or_b32 exec_lo, exec_lo, s2
	v_and_b32_e32 v80, 0x7f800000, v92
	s_delay_alu instid0(VALU_DEP_1) | instskip(SKIP_1) | instid1(SALU_CYCLE_1)
	v_cmp_ne_u32_e32 vcc_lo, 0x7f800000, v80
                                        ; implicit-def: $vgpr80
	s_and_saveexec_b32 s2, vcc_lo
	s_xor_b32 s2, exec_lo, s2
; %bb.55:
	v_bfe_u32 v80, v92, 16, 1
	s_delay_alu instid0(VALU_DEP_1)
	v_add3_u32 v80, v92, v80, 0x7fff
                                        ; implicit-def: $vgpr92
; %bb.56:
	s_and_not1_saveexec_b32 s2, s2
; %bb.57:
	v_and_b32_e32 v80, 0xffff, v92
	v_or_b32_e32 v90, 0x10000, v92
	s_delay_alu instid0(VALU_DEP_2) | instskip(NEXT) | instid1(VALU_DEP_2)
	v_cmp_eq_u32_e32 vcc_lo, 0, v80
	v_cndmask_b32_e32 v80, v90, v92, vcc_lo
; %bb.58:
	s_or_b32 exec_lo, exec_lo, s2
	v_and_b32_e32 v90, 0x7f800000, v91
	s_delay_alu instid0(VALU_DEP_1) | instskip(SKIP_1) | instid1(SALU_CYCLE_1)
	v_cmp_ne_u32_e32 vcc_lo, 0x7f800000, v90
                                        ; implicit-def: $vgpr90
	s_and_saveexec_b32 s2, vcc_lo
	s_xor_b32 s2, exec_lo, s2
; %bb.59:
	v_bfe_u32 v90, v91, 16, 1
	s_delay_alu instid0(VALU_DEP_1)
	v_add3_u32 v90, v91, v90, 0x7fff
                                        ; implicit-def: $vgpr91
; %bb.60:
	s_and_not1_saveexec_b32 s2, s2
; %bb.61:
	v_and_b32_e32 v90, 0xffff, v91
	v_or_b32_e32 v92, 0x10000, v91
	s_delay_alu instid0(VALU_DEP_2) | instskip(NEXT) | instid1(VALU_DEP_2)
	v_cmp_eq_u32_e32 vcc_lo, 0, v90
	v_cndmask_b32_e32 v90, v92, v91, vcc_lo
; %bb.62:
	s_or_b32 exec_lo, exec_lo, s2
	v_and_b32_e32 v91, 0x7f800000, v86
	s_delay_alu instid0(VALU_DEP_1) | instskip(SKIP_1) | instid1(SALU_CYCLE_1)
	v_cmp_ne_u32_e32 vcc_lo, 0x7f800000, v91
                                        ; implicit-def: $vgpr91
	s_and_saveexec_b32 s2, vcc_lo
	s_xor_b32 s2, exec_lo, s2
; %bb.63:
	v_bfe_u32 v91, v86, 16, 1
	s_delay_alu instid0(VALU_DEP_1)
	v_add3_u32 v91, v86, v91, 0x7fff
                                        ; implicit-def: $vgpr86
; %bb.64:
	s_and_not1_saveexec_b32 s2, s2
; %bb.65:
	v_and_b32_e32 v91, 0xffff, v86
	v_or_b32_e32 v92, 0x10000, v86
	s_delay_alu instid0(VALU_DEP_2) | instskip(NEXT) | instid1(VALU_DEP_2)
	v_cmp_eq_u32_e32 vcc_lo, 0, v91
	v_cndmask_b32_e32 v91, v92, v86, vcc_lo
; %bb.66:
	s_or_b32 exec_lo, exec_lo, s2
	v_and_b32_e32 v86, 0x7f800000, v87
	s_delay_alu instid0(VALU_DEP_1) | instskip(SKIP_1) | instid1(SALU_CYCLE_1)
	v_cmp_ne_u32_e32 vcc_lo, 0x7f800000, v86
                                        ; implicit-def: $vgpr86
	s_and_saveexec_b32 s2, vcc_lo
	s_xor_b32 s2, exec_lo, s2
; %bb.67:
	v_bfe_u32 v86, v87, 16, 1
	s_delay_alu instid0(VALU_DEP_1)
	v_add3_u32 v86, v87, v86, 0x7fff
                                        ; implicit-def: $vgpr87
; %bb.68:
	s_and_not1_saveexec_b32 s2, s2
; %bb.69:
	v_and_b32_e32 v86, 0xffff, v87
	v_or_b32_e32 v92, 0x10000, v87
	s_delay_alu instid0(VALU_DEP_2) | instskip(NEXT) | instid1(VALU_DEP_2)
	v_cmp_eq_u32_e32 vcc_lo, 0, v86
	v_cndmask_b32_e32 v86, v92, v87, vcc_lo
; %bb.70:
	s_or_b32 exec_lo, exec_lo, s2
	v_and_b32_e32 v87, 0x7f800000, v88
	s_delay_alu instid0(VALU_DEP_1) | instskip(SKIP_1) | instid1(SALU_CYCLE_1)
	v_cmp_ne_u32_e32 vcc_lo, 0x7f800000, v87
                                        ; implicit-def: $vgpr87
	s_and_saveexec_b32 s2, vcc_lo
	s_xor_b32 s2, exec_lo, s2
; %bb.71:
	v_bfe_u32 v87, v88, 16, 1
	s_delay_alu instid0(VALU_DEP_1)
	v_add3_u32 v87, v88, v87, 0x7fff
                                        ; implicit-def: $vgpr88
; %bb.72:
	s_and_not1_saveexec_b32 s2, s2
; %bb.73:
	v_and_b32_e32 v87, 0xffff, v88
	v_or_b32_e32 v92, 0x10000, v88
	s_delay_alu instid0(VALU_DEP_2) | instskip(NEXT) | instid1(VALU_DEP_2)
	v_cmp_eq_u32_e32 vcc_lo, 0, v87
	v_cndmask_b32_e32 v87, v92, v88, vcc_lo
; %bb.74:
	s_or_b32 exec_lo, exec_lo, s2
	v_and_b32_e32 v88, 0x7f800000, v89
	s_delay_alu instid0(VALU_DEP_1) | instskip(SKIP_1) | instid1(SALU_CYCLE_1)
	v_cmp_ne_u32_e32 vcc_lo, 0x7f800000, v88
                                        ; implicit-def: $vgpr88
	s_and_saveexec_b32 s2, vcc_lo
	s_xor_b32 s2, exec_lo, s2
; %bb.75:
	v_bfe_u32 v88, v89, 16, 1
	s_delay_alu instid0(VALU_DEP_1)
	v_add3_u32 v88, v89, v88, 0x7fff
                                        ; implicit-def: $vgpr89
; %bb.76:
	s_and_not1_saveexec_b32 s2, s2
; %bb.77:
	v_and_b32_e32 v88, 0xffff, v89
	v_or_b32_e32 v92, 0x10000, v89
	s_delay_alu instid0(VALU_DEP_2) | instskip(NEXT) | instid1(VALU_DEP_2)
	v_cmp_eq_u32_e32 vcc_lo, 0, v88
	v_cndmask_b32_e32 v88, v92, v89, vcc_lo
; %bb.78:
	s_or_b32 exec_lo, exec_lo, s2
	s_delay_alu instid0(VALU_DEP_1)
	v_perm_b32 v89, v88, v87, 0x7060302
	v_perm_b32 v88, v86, v91, 0x7060302
	;; [unrolled: 1-line block ×4, first 2 shown]
	v_lshl_or_b32 v90, v74, 11, v85
	ds_store_b128 v77, v[86:89] offset:1024
	s_waitcnt lgkmcnt(0)
	s_barrier
	buffer_gl0_inv
	ds_load_b128 v[91:94], v90
	ds_load_b128 v[95:98], v90 offset:16
	v_lshlrev_b32_e32 v87, 2, v83
	s_delay_alu instid0(VALU_DEP_1)
	v_or_b32_e32 v88, 1, v87
	v_cmp_eq_u32_e32 vcc_lo, 1, v87
	v_cmp_eq_u32_e64 s3, 2, v87
	v_cmp_eq_u32_e64 s6, 3, v87
	;; [unrolled: 1-line block ×6, first 2 shown]
	v_or_b32_e32 v86, 2, v87
	v_cmp_eq_u32_e64 s9, 5, v87
	v_cmp_eq_u32_e64 s10, 4, v88
	;; [unrolled: 1-line block ×4, first 2 shown]
	s_waitcnt lgkmcnt(1)
	v_lshrrev_b32_e32 v74, 16, v91
	s_waitcnt lgkmcnt(0)
	v_lshrrev_b32_e32 v103, 16, v95
	v_lshrrev_b32_e32 v80, 16, v94
	;; [unrolled: 1-line block ×4, first 2 shown]
	v_cndmask_b32_e32 v89, v91, v74, vcc_lo
	v_cndmask_b32_e32 v99, v95, v103, vcc_lo
	v_cndmask_b32_e64 v100, v91, v74, s2
	v_lshrrev_b32_e32 v79, 16, v93
	v_lshrrev_b32_e32 v108, 16, v97
	v_cndmask_b32_e64 v89, v89, v92, s3
	v_cndmask_b32_e64 v99, v99, v96, s3
	v_cndmask_b32_e64 v100, v100, v92, s5
	v_cndmask_b32_e64 v101, v95, v103, s2
	v_cmp_eq_u32_e64 s4, 1, v86
	v_cndmask_b32_e64 v89, v89, v78, s6
	v_cndmask_b32_e64 v99, v99, v107, s6
	;; [unrolled: 1-line block ×4, first 2 shown]
	v_lshrrev_b32_e32 v109, 16, v98
	v_cndmask_b32_e64 v89, v89, v93, s8
	v_cndmask_b32_e64 v99, v99, v97, s8
	;; [unrolled: 1-line block ×8, first 2 shown]
	v_cmp_eq_u32_e64 s13, 7, v87
	v_cmp_eq_u32_e64 s15, 6, v88
	v_cndmask_b32_e64 v89, v89, v94, s11
	v_cndmask_b32_e64 v99, v99, v98, s11
	v_cmp_eq_u32_e64 s16, 2, v86
	v_cndmask_b32_e64 v101, v101, v97, s10
	v_cndmask_b32_e64 v100, v100, v94, s15
	;; [unrolled: 1-line block ×6, first 2 shown]
	v_cmp_eq_u32_e64 s17, 7, v88
	v_cmp_eq_u32_e64 s18, 3, v86
	;; [unrolled: 1-line block ×4, first 2 shown]
	v_cndmask_b32_e64 v99, v99, v96, s16
	v_cndmask_b32_e64 v112, v100, v80, s17
	;; [unrolled: 1-line block ×4, first 2 shown]
	v_or_b32_e32 v89, 3, v87
	v_cndmask_b32_e64 v105, v99, v107, s18
	v_cmp_eq_u32_e64 s23, 6, v86
	v_cndmask_b32_e64 v113, v100, v98, s15
	v_cndmask_b32_e64 v104, v101, v93, s19
	ds_load_b128 v[99:102], v90 offset:1024
	v_cmp_eq_u32_e64 s20, 1, v89
	v_cmp_eq_u32_e64 s22, 2, v89
	;; [unrolled: 1-line block ×3, first 2 shown]
	v_cndmask_b32_e64 v114, v104, v79, s21
	v_cmp_eq_u32_e64 s25, 4, v89
	v_cndmask_b32_e64 v74, v91, v74, s20
	v_cndmask_b32_e64 v91, v105, v97, s19
	;; [unrolled: 1-line block ×3, first 2 shown]
	ds_load_b128 v[103:106], v90 offset:1040
	v_cmp_eq_u32_e64 s27, 5, v89
	v_cndmask_b32_e64 v74, v74, v92, s22
	v_cndmask_b32_e64 v91, v91, v108, s21
	v_cndmask_b32_e64 v92, v95, v96, s22
	v_cmp_eq_u32_e64 s28, 6, v89
	v_cndmask_b32_e64 v95, v113, v109, s17
	v_cndmask_b32_e64 v74, v74, v78, s24
	;; [unrolled: 1-line block ×5, first 2 shown]
	s_waitcnt lgkmcnt(1)
	v_lshrrev_b32_e32 v96, 16, v99
	v_cndmask_b32_e64 v74, v74, v93, s25
	v_lshrrev_b32_e32 v107, 16, v100
	v_cndmask_b32_e64 v92, v92, v97, s25
	v_cmp_eq_u32_e64 s26, 7, v86
	v_cndmask_b32_e32 v93, v99, v96, vcc_lo
	v_cndmask_b32_e64 v74, v74, v79, s27
	s_delay_alu instid0(VALU_DEP_4)
	v_cndmask_b32_e64 v79, v92, v108, s27
	s_waitcnt lgkmcnt(0)
	v_lshrrev_b32_e32 v97, 16, v103
	v_cndmask_b32_e64 v92, v93, v100, s3
	v_cndmask_b32_e64 v93, v99, v96, s2
	;; [unrolled: 1-line block ×4, first 2 shown]
	v_cndmask_b32_e32 v108, v103, v97, vcc_lo
	v_cndmask_b32_e64 v92, v92, v107, s6
	v_cndmask_b32_e64 v93, v93, v100, s5
	v_lshrrev_b32_e32 v98, 16, v104
	v_cmp_eq_u32_e32 vcc_lo, 7, v89
	v_cndmask_b32_e64 v94, v108, v104, s3
	v_cndmask_b32_e64 v92, v92, v101, s8
	v_lshrrev_b32_e32 v108, 16, v101
	v_cndmask_b32_e64 v93, v93, v107, s7
	v_cndmask_b32_e32 v74, v74, v80, vcc_lo
	v_cndmask_b32_e64 v94, v94, v98, s6
	v_cndmask_b32_e32 v79, v79, v109, vcc_lo
	v_cndmask_b32_e64 v92, v92, v108, s9
	v_cndmask_b32_e64 v78, v78, v80, s26
	;; [unrolled: 1-line block ×4, first 2 shown]
	v_perm_b32 v94, v79, v74, 0x5040100
	v_cndmask_b32_e64 v79, v92, v102, s11
	v_perm_b32 v92, v95, v112, 0x5040100
	v_cndmask_b32_e64 v95, v99, v96, s4
	v_cndmask_b32_e64 v96, v99, v96, s20
	;; [unrolled: 1-line block ×16, first 2 shown]
	v_lshrrev_b32_e32 v109, 16, v105
	v_cndmask_b32_e64 v95, v95, v101, s19
	v_cndmask_b32_e64 v96, v96, v101, s25
	;; [unrolled: 1-line block ×6, first 2 shown]
	v_lshrrev_b32_e32 v80, 16, v102
	v_cndmask_b32_e64 v113, v93, v109, s9
	v_cndmask_b32_e64 v95, v95, v108, s21
	;; [unrolled: 1-line block ×6, first 2 shown]
	v_perm_b32 v93, v91, v78, 0x5040100
	v_cndmask_b32_e64 v74, v74, v102, s15
	v_cndmask_b32_e64 v78, v79, v80, s13
	;; [unrolled: 1-line block ×3, first 2 shown]
	v_lshrrev_b32_e32 v91, 16, v106
	v_cndmask_b32_e64 v95, v95, v102, s23
	v_cndmask_b32_e64 v96, v96, v102, s28
	;; [unrolled: 1-line block ×7, first 2 shown]
	v_cndmask_b32_e32 v80, v96, v80, vcc_lo
	v_cndmask_b32_e32 v96, v98, v91, vcc_lo
	v_cndmask_b32_e64 v99, v99, v91, s26
	v_cndmask_b32_e64 v100, v97, v91, s17
	;; [unrolled: 1-line block ×3, first 2 shown]
	v_perm_b32 v91, v111, v110, 0x5040100
	v_perm_b32 v98, v96, v80, 0x5040100
	;; [unrolled: 1-line block ×5, first 2 shown]
	s_mul_i32 s7, s35, 12
	s_mov_b32 s2, exec_lo
	ds_store_b128 v77, v[91:94]
	ds_store_b128 v77, v[95:98] offset:1024
	v_cmpx_gt_u32_e32 12, v0
	s_cbranch_execz .LBB701_80
; %bb.79:
	s_mul_i32 s3, s7, s30
	s_load_b128 s[8:11], s[0:1], 0x58
	v_add3_u32 v77, s3, s29, v73
	s_delay_alu instid0(VALU_DEP_1) | instskip(NEXT) | instid1(VALU_DEP_1)
	v_mad_u64_u32 v[73:74], null, v77, s34, s[14:15]
	v_ashrrev_i32_e32 v74, 31, v73
	s_delay_alu instid0(VALU_DEP_1) | instskip(SKIP_1) | instid1(VALU_DEP_1)
	v_lshlrev_b64 v[73:74], 2, v[73:74]
	s_waitcnt lgkmcnt(0)
	v_add_co_u32 v77, vcc_lo, s10, v73
	s_delay_alu instid0(VALU_DEP_2)
	v_add_co_ci_u32_e32 v78, vcc_lo, s11, v74, vcc_lo
	v_add_co_u32 v73, vcc_lo, s8, v73
	v_add_co_ci_u32_e32 v74, vcc_lo, s9, v74, vcc_lo
	global_store_b32 v[77:78], v75, off
	global_store_b32 v[73:74], v76, off
.LBB701_80:
	s_or_b32 exec_lo, exec_lo, s2
	s_waitcnt lgkmcnt(0)
	s_waitcnt_vscnt null, 0x0
	s_barrier
	buffer_gl0_inv
	ds_load_b128 v[91:94], v85
	ds_load_b128 v[95:98], v85 offset:16
	ds_load_b128 v[103:106], v85 offset:1040
	;; [unrolled: 1-line block ×3, first 2 shown]
	v_mov_b32_e32 v73, 0
	ds_load_b128 v[111:114], v85 offset:2064
	ds_load_b128 v[107:110], v85 offset:2048
	;; [unrolled: 1-line block ×6, first 2 shown]
	v_mov_b32_e32 v74, v73
	v_mov_b32_e32 v75, v73
	;; [unrolled: 1-line block ×7, first 2 shown]
	s_waitcnt lgkmcnt(8)
	s_delay_alu instid0(VALU_DEP_1)
	v_wmma_f32_16x16x16_bf16 v[73:80], v[65:72], v[91:98], v[73:80]
	ds_load_b128 v[69:72], v85 offset:5136
	ds_load_b128 v[65:68], v85 offset:5120
	;; [unrolled: 1-line block ×4, first 2 shown]
	s_waitcnt lgkmcnt(10)
	v_wmma_f32_16x16x16_bf16 v[73:80], v[57:64], v[99:106], v[73:80]
	s_waitcnt lgkmcnt(8)
	s_delay_alu instid0(VALU_DEP_1)
	v_wmma_f32_16x16x16_bf16 v[73:80], v[57:64], v[107:114], v[73:80]
	ds_load_b128 v[61:64], v85 offset:7184
	ds_load_b128 v[57:60], v85 offset:7168
	;; [unrolled: 1-line block ×4, first 2 shown]
	s_waitcnt lgkmcnt(10)
	v_wmma_f32_16x16x16_bf16 v[73:80], v[49:56], v[115:122], v[73:80]
	s_waitcnt lgkmcnt(8)
	s_delay_alu instid0(VALU_DEP_1)
	v_wmma_f32_16x16x16_bf16 v[73:80], v[49:56], v[123:130], v[73:80]
	ds_load_b128 v[53:56], v85 offset:9232
	ds_load_b128 v[49:52], v85 offset:9216
	s_waitcnt lgkmcnt(8)
	v_wmma_f32_16x16x16_bf16 v[73:80], v[41:48], v[65:72], v[73:80]
	ds_load_b128 v[69:72], v85 offset:10256
	ds_load_b128 v[65:68], v85 offset:10240
	s_waitcnt lgkmcnt(8)
	;; [unrolled: 4-line block ×3, first 2 shown]
	v_wmma_f32_16x16x16_bf16 v[73:80], v[9:16], v[57:64], v[73:80]
	s_waitcnt lgkmcnt(6)
	s_delay_alu instid0(VALU_DEP_1)
	v_wmma_f32_16x16x16_bf16 v[73:80], v[9:16], v[99:106], v[73:80]
	ds_load_b128 v[13:16], v85 offset:12304
	ds_load_b128 v[9:12], v85 offset:12288
	s_waitcnt lgkmcnt(6)
	v_wmma_f32_16x16x16_bf16 v[73:80], v[1:8], v[49:56], v[73:80]
	ds_load_b128 v[53:56], v85 offset:13328
	ds_load_b128 v[49:52], v85 offset:13312
	s_waitcnt lgkmcnt(6)
	;; [unrolled: 4-line block ×4, first 2 shown]
	v_wmma_f32_16x16x16_bf16 v[73:80], v[33:40], v[9:16], v[73:80]
	s_waitcnt lgkmcnt(4)
	s_delay_alu instid0(VALU_DEP_1) | instskip(SKIP_1) | instid1(VALU_DEP_1)
	v_wmma_f32_16x16x16_bf16 v[73:80], v[25:32], v[49:56], v[73:80]
	s_waitcnt lgkmcnt(2)
	v_wmma_f32_16x16x16_bf16 v[73:80], v[25:32], v[1:8], v[73:80]
	s_waitcnt lgkmcnt(0)
	s_delay_alu instid0(VALU_DEP_1) | instskip(NEXT) | instid1(VALU_DEP_1)
	v_wmma_f32_16x16x16_bf16 v[73:80], v[17:24], v[41:48], v[73:80]
	v_and_b32_e32 v1, 0x7f800000, v73
	s_delay_alu instid0(VALU_DEP_1) | instskip(SKIP_1) | instid1(SALU_CYCLE_1)
	v_cmp_ne_u32_e32 vcc_lo, 0x7f800000, v1
                                        ; implicit-def: $vgpr1
	s_and_saveexec_b32 s2, vcc_lo
	s_xor_b32 s2, exec_lo, s2
; %bb.81:
	v_bfe_u32 v1, v73, 16, 1
	s_delay_alu instid0(VALU_DEP_1)
	v_add3_u32 v1, v73, v1, 0x7fff
; %bb.82:
	s_and_not1_saveexec_b32 s2, s2
; %bb.83:
	v_and_b32_e32 v1, 0xffff, v73
	v_or_b32_e32 v2, 0x10000, v73
	s_delay_alu instid0(VALU_DEP_2) | instskip(NEXT) | instid1(VALU_DEP_2)
	v_cmp_eq_u32_e32 vcc_lo, 0, v1
	v_cndmask_b32_e32 v1, v2, v73, vcc_lo
; %bb.84:
	s_or_b32 exec_lo, exec_lo, s2
	v_and_b32_e32 v2, 0x7f800000, v74
	s_delay_alu instid0(VALU_DEP_1) | instskip(SKIP_1) | instid1(SALU_CYCLE_1)
	v_cmp_ne_u32_e32 vcc_lo, 0x7f800000, v2
                                        ; implicit-def: $vgpr2
	s_and_saveexec_b32 s2, vcc_lo
	s_xor_b32 s2, exec_lo, s2
; %bb.85:
	v_bfe_u32 v2, v74, 16, 1
	s_delay_alu instid0(VALU_DEP_1)
	v_add3_u32 v2, v74, v2, 0x7fff
; %bb.86:
	s_and_not1_saveexec_b32 s2, s2
; %bb.87:
	v_and_b32_e32 v2, 0xffff, v74
	v_or_b32_e32 v3, 0x10000, v74
	s_delay_alu instid0(VALU_DEP_2) | instskip(NEXT) | instid1(VALU_DEP_2)
	v_cmp_eq_u32_e32 vcc_lo, 0, v2
	v_cndmask_b32_e32 v2, v3, v74, vcc_lo
; %bb.88:
	s_or_b32 exec_lo, exec_lo, s2
	v_and_b32_e32 v3, 0x7f800000, v75
	s_delay_alu instid0(VALU_DEP_1) | instskip(SKIP_1) | instid1(SALU_CYCLE_1)
	v_cmp_ne_u32_e32 vcc_lo, 0x7f800000, v3
                                        ; implicit-def: $vgpr3
	s_and_saveexec_b32 s2, vcc_lo
	s_xor_b32 s2, exec_lo, s2
; %bb.89:
	v_bfe_u32 v3, v75, 16, 1
	s_delay_alu instid0(VALU_DEP_1)
	v_add3_u32 v3, v75, v3, 0x7fff
; %bb.90:
	s_and_not1_saveexec_b32 s2, s2
; %bb.91:
	v_and_b32_e32 v3, 0xffff, v75
	v_or_b32_e32 v4, 0x10000, v75
	s_delay_alu instid0(VALU_DEP_2) | instskip(NEXT) | instid1(VALU_DEP_2)
	v_cmp_eq_u32_e32 vcc_lo, 0, v3
	v_cndmask_b32_e32 v3, v4, v75, vcc_lo
; %bb.92:
	s_or_b32 exec_lo, exec_lo, s2
	v_and_b32_e32 v4, 0x7f800000, v76
	s_delay_alu instid0(VALU_DEP_1) | instskip(SKIP_1) | instid1(SALU_CYCLE_1)
	v_cmp_ne_u32_e32 vcc_lo, 0x7f800000, v4
                                        ; implicit-def: $vgpr4
	s_and_saveexec_b32 s2, vcc_lo
	s_xor_b32 s2, exec_lo, s2
; %bb.93:
	v_bfe_u32 v4, v76, 16, 1
	s_delay_alu instid0(VALU_DEP_1)
	v_add3_u32 v4, v76, v4, 0x7fff
; %bb.94:
	s_and_not1_saveexec_b32 s2, s2
; %bb.95:
	v_and_b32_e32 v4, 0xffff, v76
	v_or_b32_e32 v5, 0x10000, v76
	s_delay_alu instid0(VALU_DEP_2) | instskip(NEXT) | instid1(VALU_DEP_2)
	v_cmp_eq_u32_e32 vcc_lo, 0, v4
	v_cndmask_b32_e32 v4, v5, v76, vcc_lo
; %bb.96:
	s_or_b32 exec_lo, exec_lo, s2
	v_and_b32_e32 v5, 0x7f800000, v77
	s_delay_alu instid0(VALU_DEP_1) | instskip(SKIP_1) | instid1(SALU_CYCLE_1)
	v_cmp_ne_u32_e32 vcc_lo, 0x7f800000, v5
                                        ; implicit-def: $vgpr5
	s_and_saveexec_b32 s2, vcc_lo
	s_xor_b32 s2, exec_lo, s2
; %bb.97:
	v_bfe_u32 v5, v77, 16, 1
	s_delay_alu instid0(VALU_DEP_1)
	v_add3_u32 v5, v77, v5, 0x7fff
; %bb.98:
	s_and_not1_saveexec_b32 s2, s2
; %bb.99:
	v_and_b32_e32 v5, 0xffff, v77
	v_or_b32_e32 v6, 0x10000, v77
	s_delay_alu instid0(VALU_DEP_2) | instskip(NEXT) | instid1(VALU_DEP_2)
	v_cmp_eq_u32_e32 vcc_lo, 0, v5
	v_cndmask_b32_e32 v5, v6, v77, vcc_lo
; %bb.100:
	s_or_b32 exec_lo, exec_lo, s2
	v_and_b32_e32 v6, 0x7f800000, v78
	s_delay_alu instid0(VALU_DEP_1) | instskip(SKIP_1) | instid1(SALU_CYCLE_1)
	v_cmp_ne_u32_e32 vcc_lo, 0x7f800000, v6
                                        ; implicit-def: $vgpr6
	s_and_saveexec_b32 s2, vcc_lo
	s_xor_b32 s2, exec_lo, s2
; %bb.101:
	v_bfe_u32 v6, v78, 16, 1
	s_delay_alu instid0(VALU_DEP_1)
	v_add3_u32 v6, v78, v6, 0x7fff
; %bb.102:
	s_and_not1_saveexec_b32 s2, s2
; %bb.103:
	v_and_b32_e32 v6, 0xffff, v78
	v_or_b32_e32 v7, 0x10000, v78
	s_delay_alu instid0(VALU_DEP_2) | instskip(NEXT) | instid1(VALU_DEP_2)
	v_cmp_eq_u32_e32 vcc_lo, 0, v6
	v_cndmask_b32_e32 v6, v7, v78, vcc_lo
; %bb.104:
	s_or_b32 exec_lo, exec_lo, s2
	v_and_b32_e32 v7, 0x7f800000, v79
	s_delay_alu instid0(VALU_DEP_1) | instskip(SKIP_1) | instid1(SALU_CYCLE_1)
	v_cmp_ne_u32_e32 vcc_lo, 0x7f800000, v7
                                        ; implicit-def: $vgpr7
	s_and_saveexec_b32 s2, vcc_lo
	s_xor_b32 s2, exec_lo, s2
; %bb.105:
	v_bfe_u32 v7, v79, 16, 1
	s_delay_alu instid0(VALU_DEP_1)
	v_add3_u32 v7, v79, v7, 0x7fff
; %bb.106:
	s_and_not1_saveexec_b32 s2, s2
; %bb.107:
	v_and_b32_e32 v7, 0xffff, v79
	v_or_b32_e32 v8, 0x10000, v79
	s_delay_alu instid0(VALU_DEP_2) | instskip(NEXT) | instid1(VALU_DEP_2)
	v_cmp_eq_u32_e32 vcc_lo, 0, v7
	v_cndmask_b32_e32 v7, v8, v79, vcc_lo
; %bb.108:
	s_or_b32 exec_lo, exec_lo, s2
	v_and_b32_e32 v8, 0x7f800000, v80
	s_delay_alu instid0(VALU_DEP_1) | instskip(SKIP_1) | instid1(SALU_CYCLE_1)
	v_cmp_ne_u32_e32 vcc_lo, 0x7f800000, v8
                                        ; implicit-def: $vgpr8
	s_and_saveexec_b32 s2, vcc_lo
	s_xor_b32 s2, exec_lo, s2
; %bb.109:
	v_bfe_u32 v8, v80, 16, 1
	s_delay_alu instid0(VALU_DEP_1)
	v_add3_u32 v8, v80, v8, 0x7fff
                                        ; implicit-def: $vgpr73_vgpr74_vgpr75_vgpr76_vgpr77_vgpr78_vgpr79_vgpr80
; %bb.110:
	s_and_not1_saveexec_b32 s2, s2
; %bb.111:
	v_and_b32_e32 v8, 0xffff, v80
	v_or_b32_e32 v9, 0x10000, v80
	s_delay_alu instid0(VALU_DEP_2) | instskip(NEXT) | instid1(VALU_DEP_2)
	v_cmp_eq_u32_e32 vcc_lo, 0, v8
	v_cndmask_b32_e32 v8, v9, v80, vcc_lo
; %bb.112:
	s_or_b32 exec_lo, exec_lo, s2
	s_delay_alu instid0(VALU_DEP_1)
	v_perm_b32 v7, v8, v7, 0x7060302
	v_perm_b32 v6, v6, v5, 0x7060302
	;; [unrolled: 1-line block ×4, first 2 shown]
	v_lshl_or_b32 v9, v83, 4, v90
	s_barrier
	buffer_gl0_inv
	v_cmp_eq_u32_e32 vcc_lo, 1, v87
	ds_store_b128 v9, v[4:7]
	s_waitcnt lgkmcnt(0)
	s_barrier
	buffer_gl0_inv
	ds_load_b128 v[1:4], v90
	ds_load_b128 v[5:8], v90 offset:16
	v_cmp_eq_u32_e64 s3, 2, v87
	v_cmp_eq_u32_e64 s2, 1, v88
	;; [unrolled: 1-line block ×5, first 2 shown]
	s_waitcnt lgkmcnt(1)
	v_lshrrev_b32_e32 v10, 16, v1
	s_waitcnt lgkmcnt(0)
	v_lshrrev_b32_e32 v14, 16, v5
	v_lshrrev_b32_e32 v15, 16, v6
	;; [unrolled: 1-line block ×4, first 2 shown]
	v_cndmask_b32_e64 v20, v1, v10, s2
	v_cndmask_b32_e32 v19, v5, v14, vcc_lo
	v_cndmask_b32_e64 v21, v5, v14, s2
	v_lshrrev_b32_e32 v16, 16, v7
	v_cmp_eq_u32_e64 s2, 1, v86
	v_lshrrev_b32_e32 v13, 16, v4
	v_cndmask_b32_e64 v19, v19, v6, s3
	v_lshrrev_b32_e32 v17, 16, v8
	s_delay_alu instid0(VALU_DEP_4) | instskip(SKIP_1) | instid1(VALU_DEP_4)
	v_cndmask_b32_e64 v22, v1, v10, s2
	v_cndmask_b32_e64 v23, v5, v14, s2
	;; [unrolled: 1-line block ×3, first 2 shown]
	v_cndmask_b32_e32 v18, v1, v10, vcc_lo
	v_cmp_eq_u32_e32 vcc_lo, 2, v88
	v_cmp_eq_u32_e64 s2, 2, v89
	v_cndmask_b32_e64 v22, v22, v2, s6
	v_cndmask_b32_e32 v20, v20, v2, vcc_lo
	v_cndmask_b32_e32 v21, v21, v6, vcc_lo
	v_cmp_eq_u32_e32 vcc_lo, 4, v87
	v_cndmask_b32_e32 v19, v19, v7, vcc_lo
	v_cndmask_b32_e64 v18, v18, v2, s3
	v_cmp_eq_u32_e64 s3, 3, v88
	s_delay_alu instid0(VALU_DEP_2) | instskip(NEXT) | instid1(VALU_DEP_2)
	v_cndmask_b32_e64 v18, v18, v11, s4
	v_cndmask_b32_e64 v21, v21, v15, s3
	v_cmp_eq_u32_e64 s4, 5, v87
	s_delay_alu instid0(VALU_DEP_3) | instskip(SKIP_1) | instid1(VALU_DEP_3)
	v_cndmask_b32_e32 v18, v18, v3, vcc_lo
	v_cmp_eq_u32_e32 vcc_lo, 4, v88
	v_cndmask_b32_e64 v19, v19, v16, s4
	s_delay_alu instid0(VALU_DEP_3) | instskip(SKIP_4) | instid1(VALU_DEP_3)
	v_cndmask_b32_e64 v18, v18, v12, s4
	v_cndmask_b32_e32 v21, v21, v7, vcc_lo
	v_cndmask_b32_e64 v20, v20, v11, s3
	v_cmp_eq_u32_e64 s3, 5, v88
	v_cmp_eq_u32_e64 s4, 6, v87
	v_cndmask_b32_e32 v20, v20, v3, vcc_lo
	s_delay_alu instid0(VALU_DEP_3) | instskip(SKIP_1) | instid1(VALU_DEP_4)
	v_cndmask_b32_e64 v21, v21, v16, s3
	v_cmp_eq_u32_e32 vcc_lo, 6, v88
	v_cndmask_b32_e64 v18, v18, v4, s4
	v_cndmask_b32_e64 v19, v19, v8, s4
	;; [unrolled: 1-line block ×3, first 2 shown]
	v_cmp_eq_u32_e64 s3, 1, v89
	v_cmp_eq_u32_e64 s4, 7, v87
	s_delay_alu instid0(VALU_DEP_3) | instskip(NEXT) | instid1(VALU_DEP_3)
	v_cndmask_b32_e32 v20, v20, v4, vcc_lo
	v_cndmask_b32_e64 v1, v1, v10, s3
	v_cndmask_b32_e64 v5, v5, v14, s3
	v_cmp_eq_u32_e64 s3, 3, v86
	v_cndmask_b32_e64 v14, v23, v6, s6
	v_cmp_eq_u32_e64 s6, 3, v89
	v_cndmask_b32_e64 v1, v1, v2, s2
	v_cndmask_b32_e64 v2, v5, v6, s2
	;; [unrolled: 1-line block ×3, first 2 shown]
	v_cmp_eq_u32_e64 s2, 4, v86
	v_cndmask_b32_e64 v6, v14, v15, s3
	v_cndmask_b32_e64 v1, v1, v11, s6
	v_cmp_eq_u32_e64 s3, 4, v89
	v_cndmask_b32_e64 v2, v2, v15, s6
	v_cndmask_b32_e64 v5, v10, v3, s2
	;; [unrolled: 3-line block ×3, first 2 shown]
	v_cndmask_b32_e64 v2, v2, v7, s3
	v_cmp_eq_u32_e64 s2, 5, v89
	v_cndmask_b32_e64 v5, v5, v12, s6
	v_cmp_eq_u32_e64 s3, 6, v86
	;; [unrolled: 2-line block ×3, first 2 shown]
	v_cndmask_b32_e64 v1, v1, v12, s2
	v_cndmask_b32_e64 v2, v2, v16, s2
	v_cndmask_b32_e64 v5, v5, v4, s3
	v_cndmask_b32_e64 v3, v3, v8, s3
	v_cmp_eq_u32_e64 s2, 7, v89
	v_cndmask_b32_e64 v1, v1, v4, s6
	v_cndmask_b32_e64 v2, v2, v8, s6
	v_cmp_eq_u32_e64 s3, 7, v86
	v_cndmask_b32_e32 v4, v21, v8, vcc_lo
	v_cndmask_b32_e64 v18, v18, v13, s4
	v_cndmask_b32_e64 v20, v20, v13, s5
	;; [unrolled: 1-line block ×8, first 2 shown]
	s_mov_b32 s2, exec_lo
	v_perm_b32 v4, v2, v1, 0x5040100
	v_perm_b32 v3, v3, v5, 0x5040100
	;; [unrolled: 1-line block ×4, first 2 shown]
	ds_store_b128 v9, v[1:4]
	s_waitcnt lgkmcnt(0)
	s_barrier
	buffer_gl0_inv
	v_cmpx_gt_u32_e32 32, v0
	s_cbranch_execz .LBB701_2
; %bb.113:
	s_load_b64 s[0:1], s[0:1], 0x68
	v_lshlrev_b32_e32 v0, 10, v0
	s_lshl_b32 s4, s34, 7
	v_or_b32_e32 v3, s29, v83
	s_mul_i32 s2, s4, s30
	v_lshlrev_b32_e32 v1, 4, v84
	s_mul_i32 s2, s2, s7
	v_lshlrev_b32_e32 v2, 6, v83
	v_and_b32_e32 v0, 0x3800, v0
	s_ashr_i32 s3, s2, 31
	v_mul_lo_u32 v4, v3, s4
	s_lshl_b64 s[2:3], s[2:3], 1
	s_delay_alu instid0(VALU_DEP_2) | instskip(NEXT) | instid1(VALU_DEP_2)
	v_or3_b32 v16, v0, v1, v2
	v_ashrrev_i32_e32 v5, 31, v4
	ds_load_b128 v[0:3], v16
	s_waitcnt lgkmcnt(0)
	s_add_u32 s2, s0, s2
	s_addc_u32 s3, s1, s3
	s_lshl_b32 s0, s14, 7
	v_lshlrev_b64 v[5:6], 1, v[4:5]
	s_ashr_i32 s1, s0, 31
	s_delay_alu instid0(SALU_CYCLE_1) | instskip(NEXT) | instid1(SALU_CYCLE_1)
	s_lshl_b64 s[0:1], s[0:1], 1
	s_add_u32 s0, s2, s0
	s_addc_u32 s1, s3, s1
	s_lshl_b32 s2, s34, 8
	v_add_co_u32 v30, vcc_lo, s0, v81
	v_add_nc_u32_e32 v8, s2, v4
	v_add_co_ci_u32_e32 v31, vcc_lo, s1, v82, vcc_lo
	s_delay_alu instid0(VALU_DEP_3) | instskip(NEXT) | instid1(VALU_DEP_3)
	v_add_co_u32 v12, vcc_lo, v30, v5
	v_add_nc_u32_e32 v10, s2, v8
	v_ashrrev_i32_e32 v9, 31, v8
	s_delay_alu instid0(VALU_DEP_4)
	v_add_co_ci_u32_e32 v13, vcc_lo, v31, v6, vcc_lo
	ds_load_b128 v[4:7], v16 offset:128
	v_ashrrev_i32_e32 v11, 31, v10
	v_lshlrev_b64 v[8:9], 1, v[8:9]
	v_add_nc_u32_e32 v14, s2, v10
	global_store_b128 v[12:13], v[0:3], off
	v_lshlrev_b64 v[0:1], 1, v[10:11]
	v_ashrrev_i32_e32 v15, 31, v14
	v_add_co_u32 v22, vcc_lo, v30, v8
	v_add_nc_u32_e32 v20, s2, v14
	v_add_co_ci_u32_e32 v23, vcc_lo, v31, v9, vcc_lo
	v_add_co_u32 v26, vcc_lo, v30, v0
	v_lshlrev_b64 v[24:25], 1, v[14:15]
	v_add_co_ci_u32_e32 v27, vcc_lo, v31, v1, vcc_lo
	ds_load_b128 v[0:3], v16 offset:256
	ds_load_b128 v[8:11], v16 offset:384
	ds_load_b128 v[12:15], v16 offset:512
	ds_load_b128 v[16:19], v16 offset:640
	v_add_nc_u32_e32 v28, s2, v20
	v_ashrrev_i32_e32 v21, 31, v20
	v_add_co_u32 v24, vcc_lo, v30, v24
	v_add_co_ci_u32_e32 v25, vcc_lo, v31, v25, vcc_lo
	s_delay_alu instid0(VALU_DEP_4) | instskip(NEXT) | instid1(VALU_DEP_4)
	v_ashrrev_i32_e32 v29, 31, v28
	v_lshlrev_b64 v[20:21], 1, v[20:21]
	s_delay_alu instid0(VALU_DEP_2) | instskip(NEXT) | instid1(VALU_DEP_2)
	v_lshlrev_b64 v[28:29], 1, v[28:29]
	v_add_co_u32 v20, vcc_lo, v30, v20
	s_delay_alu instid0(VALU_DEP_3) | instskip(NEXT) | instid1(VALU_DEP_3)
	v_add_co_ci_u32_e32 v21, vcc_lo, v31, v21, vcc_lo
	v_add_co_u32 v28, vcc_lo, v30, v28
	s_delay_alu instid0(VALU_DEP_4)
	v_add_co_ci_u32_e32 v29, vcc_lo, v31, v29, vcc_lo
	s_waitcnt lgkmcnt(4)
	global_store_b128 v[22:23], v[4:7], off
	s_waitcnt lgkmcnt(3)
	global_store_b128 v[26:27], v[0:3], off
	;; [unrolled: 2-line block ×5, first 2 shown]
	s_nop 0
	s_sendmsg sendmsg(MSG_DEALLOC_VGPRS)
	s_endpgm
	.section	.rodata,"a",@progbits
	.p2align	6, 0x0
	.amdhsa_kernel _Z39paged_attention_ll4mi_QKV_mfma16_kernelI14__hip_bfloat16S0_LN4vllm18Fp8KVCacheDataTypeE0EhLi32ELi128ELi256ELb1ELi12EL8MFMAType0EEvPKT_PKT0_S9_ifPKiSB_SB_iPKfiiiPfSE_PS4_PT2_iSD_SD_
		.amdhsa_group_segment_fixed_size 17472
		.amdhsa_private_segment_fixed_size 0
		.amdhsa_kernarg_size 400
		.amdhsa_user_sgpr_count 13
		.amdhsa_user_sgpr_dispatch_ptr 0
		.amdhsa_user_sgpr_queue_ptr 0
		.amdhsa_user_sgpr_kernarg_segment_ptr 1
		.amdhsa_user_sgpr_dispatch_id 0
		.amdhsa_user_sgpr_private_segment_size 0
		.amdhsa_wavefront_size32 1
		.amdhsa_uses_dynamic_stack 0
		.amdhsa_enable_private_segment 0
		.amdhsa_system_sgpr_workgroup_id_x 1
		.amdhsa_system_sgpr_workgroup_id_y 1
		.amdhsa_system_sgpr_workgroup_id_z 1
		.amdhsa_system_sgpr_workgroup_info 0
		.amdhsa_system_vgpr_workitem_id 0
		.amdhsa_next_free_vgpr 157
		.amdhsa_next_free_sgpr 40
		.amdhsa_reserve_vcc 1
		.amdhsa_float_round_mode_32 0
		.amdhsa_float_round_mode_16_64 0
		.amdhsa_float_denorm_mode_32 3
		.amdhsa_float_denorm_mode_16_64 3
		.amdhsa_dx10_clamp 1
		.amdhsa_ieee_mode 1
		.amdhsa_fp16_overflow 0
		.amdhsa_workgroup_processor_mode 1
		.amdhsa_memory_ordered 1
		.amdhsa_forward_progress 0
		.amdhsa_shared_vgpr_count 0
		.amdhsa_exception_fp_ieee_invalid_op 0
		.amdhsa_exception_fp_denorm_src 0
		.amdhsa_exception_fp_ieee_div_zero 0
		.amdhsa_exception_fp_ieee_overflow 0
		.amdhsa_exception_fp_ieee_underflow 0
		.amdhsa_exception_fp_ieee_inexact 0
		.amdhsa_exception_int_div_zero 0
	.end_amdhsa_kernel
	.section	.text._Z39paged_attention_ll4mi_QKV_mfma16_kernelI14__hip_bfloat16S0_LN4vllm18Fp8KVCacheDataTypeE0EhLi32ELi128ELi256ELb1ELi12EL8MFMAType0EEvPKT_PKT0_S9_ifPKiSB_SB_iPKfiiiPfSE_PS4_PT2_iSD_SD_,"axG",@progbits,_Z39paged_attention_ll4mi_QKV_mfma16_kernelI14__hip_bfloat16S0_LN4vllm18Fp8KVCacheDataTypeE0EhLi32ELi128ELi256ELb1ELi12EL8MFMAType0EEvPKT_PKT0_S9_ifPKiSB_SB_iPKfiiiPfSE_PS4_PT2_iSD_SD_,comdat
.Lfunc_end701:
	.size	_Z39paged_attention_ll4mi_QKV_mfma16_kernelI14__hip_bfloat16S0_LN4vllm18Fp8KVCacheDataTypeE0EhLi32ELi128ELi256ELb1ELi12EL8MFMAType0EEvPKT_PKT0_S9_ifPKiSB_SB_iPKfiiiPfSE_PS4_PT2_iSD_SD_, .Lfunc_end701-_Z39paged_attention_ll4mi_QKV_mfma16_kernelI14__hip_bfloat16S0_LN4vllm18Fp8KVCacheDataTypeE0EhLi32ELi128ELi256ELb1ELi12EL8MFMAType0EEvPKT_PKT0_S9_ifPKiSB_SB_iPKfiiiPfSE_PS4_PT2_iSD_SD_
                                        ; -- End function
	.section	.AMDGPU.csdata,"",@progbits
; Kernel info:
; codeLenInByte = 9864
; NumSgprs: 42
; NumVgprs: 157
; ScratchSize: 0
; MemoryBound: 0
; FloatMode: 240
; IeeeMode: 1
; LDSByteSize: 17472 bytes/workgroup (compile time only)
; SGPRBlocks: 5
; VGPRBlocks: 19
; NumSGPRsForWavesPerEU: 42
; NumVGPRsForWavesPerEU: 157
; Occupancy: 9
; WaveLimiterHint : 1
; COMPUTE_PGM_RSRC2:SCRATCH_EN: 0
; COMPUTE_PGM_RSRC2:USER_SGPR: 13
; COMPUTE_PGM_RSRC2:TRAP_HANDLER: 0
; COMPUTE_PGM_RSRC2:TGID_X_EN: 1
; COMPUTE_PGM_RSRC2:TGID_Y_EN: 1
; COMPUTE_PGM_RSRC2:TGID_Z_EN: 1
; COMPUTE_PGM_RSRC2:TIDIG_COMP_CNT: 0
	.section	.text._Z39paged_attention_ll4mi_QKV_mfma16_kernelI14__hip_bfloat16S0_LN4vllm18Fp8KVCacheDataTypeE0EhLi32ELi128ELi256ELb1ELi13EL8MFMAType0EEvPKT_PKT0_S9_ifPKiSB_SB_iPKfiiiPfSE_PS4_PT2_iSD_SD_,"axG",@progbits,_Z39paged_attention_ll4mi_QKV_mfma16_kernelI14__hip_bfloat16S0_LN4vllm18Fp8KVCacheDataTypeE0EhLi32ELi128ELi256ELb1ELi13EL8MFMAType0EEvPKT_PKT0_S9_ifPKiSB_SB_iPKfiiiPfSE_PS4_PT2_iSD_SD_,comdat
	.protected	_Z39paged_attention_ll4mi_QKV_mfma16_kernelI14__hip_bfloat16S0_LN4vllm18Fp8KVCacheDataTypeE0EhLi32ELi128ELi256ELb1ELi13EL8MFMAType0EEvPKT_PKT0_S9_ifPKiSB_SB_iPKfiiiPfSE_PS4_PT2_iSD_SD_ ; -- Begin function _Z39paged_attention_ll4mi_QKV_mfma16_kernelI14__hip_bfloat16S0_LN4vllm18Fp8KVCacheDataTypeE0EhLi32ELi128ELi256ELb1ELi13EL8MFMAType0EEvPKT_PKT0_S9_ifPKiSB_SB_iPKfiiiPfSE_PS4_PT2_iSD_SD_
	.globl	_Z39paged_attention_ll4mi_QKV_mfma16_kernelI14__hip_bfloat16S0_LN4vllm18Fp8KVCacheDataTypeE0EhLi32ELi128ELi256ELb1ELi13EL8MFMAType0EEvPKT_PKT0_S9_ifPKiSB_SB_iPKfiiiPfSE_PS4_PT2_iSD_SD_
	.p2align	8
	.type	_Z39paged_attention_ll4mi_QKV_mfma16_kernelI14__hip_bfloat16S0_LN4vllm18Fp8KVCacheDataTypeE0EhLi32ELi128ELi256ELb1ELi13EL8MFMAType0EEvPKT_PKT0_S9_ifPKiSB_SB_iPKfiiiPfSE_PS4_PT2_iSD_SD_,@function
_Z39paged_attention_ll4mi_QKV_mfma16_kernelI14__hip_bfloat16S0_LN4vllm18Fp8KVCacheDataTypeE0EhLi32ELi128ELi256ELb1ELi13EL8MFMAType0EEvPKT_PKT0_S9_ifPKiSB_SB_iPKfiiiPfSE_PS4_PT2_iSD_SD_: ; @_Z39paged_attention_ll4mi_QKV_mfma16_kernelI14__hip_bfloat16S0_LN4vllm18Fp8KVCacheDataTypeE0EhLi32ELi128ELi256ELb1ELi13EL8MFMAType0EEvPKT_PKT0_S9_ifPKiSB_SB_iPKfiiiPfSE_PS4_PT2_iSD_SD_
; %bb.0:
	s_load_b64 s[2:3], s[0:1], 0x30
	s_mov_b32 s30, s13
	s_waitcnt lgkmcnt(0)
	s_cmp_lg_u64 s[2:3], 0
	s_cselect_b32 s6, -1, 0
	s_ashr_i32 s31, s13, 31
	s_cmp_eq_u64 s[2:3], 0
	s_cbranch_scc1 .LBB702_3
; %bb.1:
	s_lshl_b64 s[4:5], s[30:31], 2
	s_delay_alu instid0(SALU_CYCLE_1) | instskip(SKIP_4) | instid1(SALU_CYCLE_1)
	s_add_u32 s4, s2, s4
	s_addc_u32 s5, s3, s5
	s_load_b64 s[4:5], s[4:5], 0x0
	s_waitcnt lgkmcnt(0)
	s_sub_i32 s4, s5, s4
	s_cmp_eq_u32 s4, 1
	s_cselect_b32 s4, -1, 0
	s_delay_alu instid0(SALU_CYCLE_1)
	s_and_not1_b32 vcc_lo, exec_lo, s4
	s_cbranch_vccz .LBB702_4
.LBB702_2:
	s_nop 0
	s_sendmsg sendmsg(MSG_DEALLOC_VGPRS)
	s_endpgm
.LBB702_3:
.LBB702_4:
	s_load_b64 s[8:9], s[0:1], 0x28
	s_lshl_b64 s[4:5], s[30:31], 2
	s_waitcnt lgkmcnt(0)
	s_add_u32 s8, s8, s4
	s_addc_u32 s9, s9, s5
	s_lshl_b32 s12, s14, 8
	s_load_b32 s17, s[8:9], 0x0
	s_waitcnt lgkmcnt(0)
	s_cmp_ge_i32 s12, s17
	s_cbranch_scc1 .LBB702_2
; %bb.5:
	s_and_not1_b32 vcc_lo, exec_lo, s6
	s_cbranch_vccnz .LBB702_7
; %bb.6:
	s_add_u32 s2, s2, s4
	s_addc_u32 s3, s3, s5
	s_load_b32 s13, s[2:3], 0x0
	s_branch .LBB702_8
.LBB702_7:
	s_mov_b32 s13, s30
.LBB702_8:
	s_clause 0x2
	s_load_b128 s[8:11], s[0:1], 0x8
	s_load_b64 s[2:3], s[0:1], 0x20
	s_load_b128 s[4:7], s[0:1], 0x48
	v_lshrrev_b32_e32 v74, 5, v0
	v_bfe_u32 v83, v0, 4, 1
	v_and_b32_e32 v73, 15, v0
	s_waitcnt lgkmcnt(0)
	s_mov_b32 s7, exec_lo
	s_delay_alu instid0(VALU_DEP_2) | instskip(NEXT) | instid1(VALU_DEP_2)
	v_lshl_or_b32 v3, v74, 1, v83
	v_lshlrev_b32_e32 v1, 3, v73
	s_delay_alu instid0(VALU_DEP_2)
	v_cmpx_lt_u32_e32 12, v3
	s_xor_b32 s7, exec_lo, s7
; %bb.9:
	v_mov_b32_e32 v2, 0
                                        ; implicit-def: $vgpr3
; %bb.10:
	s_or_saveexec_b32 s7, s7
	v_and_b32_e32 v75, 31, v0
	v_and_b32_e32 v84, 1, v0
	s_mul_i32 s31, s15, 13
	s_xor_b32 exec_lo, exec_lo, s7
	s_cbranch_execz .LBB702_12
; %bb.11:
	s_load_b64 s[18:19], s[0:1], 0x0
	v_add_lshl_u32 v4, v3, s31, 7
	s_mul_hi_i32 s21, s13, s4
	s_mul_i32 s20, s13, s4
	v_lshlrev_b32_e32 v2, 1, v1
	s_lshl_b64 s[20:21], s[20:21], 1
	v_ashrrev_i32_e32 v5, 31, v4
	v_lshlrev_b32_e32 v3, 6, v3
	v_lshlrev_b32_e32 v8, 10, v84
	s_delay_alu instid0(VALU_DEP_3) | instskip(SKIP_3) | instid1(VALU_DEP_1)
	v_lshlrev_b64 v[4:5], 1, v[4:5]
	s_waitcnt lgkmcnt(0)
	s_add_u32 s4, s18, s20
	s_addc_u32 s13, s19, s21
	v_add_co_u32 v4, vcc_lo, s4, v4
	s_delay_alu instid0(VALU_DEP_2) | instskip(NEXT) | instid1(VALU_DEP_2)
	v_add_co_ci_u32_e32 v5, vcc_lo, s13, v5, vcc_lo
	v_add_co_u32 v4, vcc_lo, v4, v2
	s_delay_alu instid0(VALU_DEP_2) | instskip(SKIP_3) | instid1(VALU_DEP_1)
	v_add_co_ci_u32_e32 v5, vcc_lo, 0, v5, vcc_lo
	v_lshlrev_b32_e32 v2, 10, v73
	global_load_b128 v[4:7], v[4:5], off
	v_and_b32_e32 v2, 0x3800, v2
	v_or3_b32 v3, v2, v8, v3
	v_mov_b32_e32 v2, 0
	s_waitcnt vmcnt(0)
	ds_store_b128 v3, v[4:7]
.LBB702_12:
	s_or_b32 exec_lo, exec_lo, s7
	v_add_nc_u32_e32 v80, -13, v73
	v_and_b32_e32 v3, 0xef, v0
	s_add_i32 s4, s17, 31
	s_clause 0x1
	s_load_b32 s7, s[0:1], 0x38
	s_load_b32 s18, s[0:1], 0x1c
	s_ashr_i32 s13, s4, 31
	v_add_nc_u32_e32 v3, s12, v3
	s_lshr_b32 s13, s13, 27
	s_waitcnt lgkmcnt(0)
	s_add_i32 s4, s4, s13
	s_barrier
	v_ashrrev_i32_e32 v4, 31, v3
	v_cmp_gt_i32_e32 vcc_lo, s17, v3
	s_ashr_i32 s4, s4, 5
	buffer_gl0_inv
	s_add_i32 s4, s4, -1
	v_lshrrev_b32_e32 v5, 27, v4
	v_or_b32_e32 v4, 16, v3
	v_lshlrev_b64 v[81:82], 1, v[1:2]
	s_delay_alu instid0(VALU_DEP_3) | instskip(NEXT) | instid1(VALU_DEP_3)
	v_add_nc_u32_e32 v6, v3, v5
	v_add_nc_u32_e32 v5, v4, v5
	s_mul_i32 s20, s30, s7
	s_delay_alu instid0(SALU_CYCLE_1) | instskip(NEXT) | instid1(VALU_DEP_2)
	s_ashr_i32 s21, s20, 31
	v_ashrrev_i32_e32 v6, 5, v6
	s_delay_alu instid0(VALU_DEP_2) | instskip(SKIP_1) | instid1(SALU_CYCLE_1)
	v_ashrrev_i32_e32 v5, 5, v5
	s_lshl_b64 s[20:21], s[20:21], 2
	s_add_u32 s7, s2, s20
	s_delay_alu instid0(VALU_DEP_2) | instskip(SKIP_3) | instid1(VALU_DEP_2)
	v_cndmask_b32_e32 v3, s4, v6, vcc_lo
	v_cmp_gt_i32_e32 vcc_lo, s17, v4
	s_addc_u32 s13, s3, s21
	s_mul_i32 s2, s15, s6
	v_ashrrev_i32_e32 v4, 31, v3
	v_cndmask_b32_e32 v5, s4, v5, vcc_lo
	s_ashr_i32 s3, s2, 31
	s_delay_alu instid0(SALU_CYCLE_1) | instskip(NEXT) | instid1(VALU_DEP_2)
	s_lshl_b64 s[2:3], s[2:3], 1
	v_lshlrev_b64 v[3:4], 2, v[3:4]
	s_delay_alu instid0(VALU_DEP_2) | instskip(SKIP_3) | instid1(VALU_DEP_1)
	v_ashrrev_i32_e32 v6, 31, v5
	s_add_u32 s6, s8, s2
	s_addc_u32 s15, s9, s3
	s_lshl_b32 s8, s14, 3
	v_lshlrev_b64 v[5:6], 2, v[5:6]
	v_add_co_u32 v3, vcc_lo, s7, v3
	v_add_co_ci_u32_e32 v4, vcc_lo, s13, v4, vcc_lo
	s_ashr_i32 s9, s8, 31
	s_delay_alu instid0(VALU_DEP_3) | instskip(NEXT) | instid1(VALU_DEP_4)
	v_add_co_u32 v5, vcc_lo, s7, v5
	v_add_co_ci_u32_e32 v6, vcc_lo, s13, v6, vcc_lo
	s_clause 0x1
	global_load_b32 v7, v[3:4], off
	global_load_b32 v8, v[5:6], off
	s_lshl_b64 s[8:9], s[8:9], 2
	s_delay_alu instid0(SALU_CYCLE_1) | instskip(SKIP_2) | instid1(SALU_CYCLE_1)
	s_add_u32 s8, s7, s8
	s_addc_u32 s9, s13, s9
	s_or_b32 s16, s12, 32
	s_ashr_i32 s19, s16, 5
	s_cmp_lt_i32 s16, s17
	s_cselect_b32 s20, s19, s4
	s_delay_alu instid0(SALU_CYCLE_1) | instskip(NEXT) | instid1(SALU_CYCLE_1)
	s_ashr_i32 s21, s20, 31
	s_lshl_b64 s[20:21], s[20:21], 2
	s_delay_alu instid0(SALU_CYCLE_1) | instskip(SKIP_2) | instid1(SALU_CYCLE_1)
	s_add_u32 s20, s7, s20
	s_addc_u32 s21, s13, s21
	s_or_b32 s16, s12, 64
	s_ashr_i32 s19, s16, 5
	s_cmp_lt_i32 s16, s17
	s_cselect_b32 s22, s19, s4
	s_delay_alu instid0(SALU_CYCLE_1) | instskip(NEXT) | instid1(SALU_CYCLE_1)
	s_ashr_i32 s23, s22, 31
	;; [unrolled: 10-line block ×5, first 2 shown]
	s_lshl_b64 s[28:29], s[28:29], 2
	s_delay_alu instid0(SALU_CYCLE_1)
	s_add_u32 s28, s7, s28
	s_addc_u32 s29, s13, s29
	s_clause 0x5
	s_load_b32 s16, s[8:9], 0x0
	s_load_b32 s19, s[20:21], 0x0
	;; [unrolled: 1-line block ×6, first 2 shown]
	s_mov_b32 s20, 0
	s_delay_alu instid0(SALU_CYCLE_1)
	s_mov_b32 s27, s20
	s_mov_b32 s24, s20
	;; [unrolled: 1-line block ×7, first 2 shown]
	v_dual_mov_b32 v108, s27 :: v_dual_mov_b32 v105, s24
	v_dual_mov_b32 v107, s26 :: v_dual_mov_b32 v106, s25
	;; [unrolled: 1-line block ×4, first 2 shown]
	s_waitcnt lgkmcnt(0)
	s_mul_hi_i32 s29, s34, s5
	s_mul_i32 s28, s34, s5
	s_mul_hi_i32 s21, s16, s5
	s_mul_i32 s20, s16, s5
	s_mul_hi_i32 s23, s19, s5
	s_mul_i32 s22, s19, s5
	s_mul_hi_i32 s27, s33, s5
	s_mul_i32 s26, s33, s5
	s_mul_hi_i32 s37, s36, s5
	s_mul_i32 s36, s36, s5
	s_waitcnt vmcnt(1)
	v_mad_i64_i32 v[3:4], null, v7, s5, 0
	s_waitcnt vmcnt(0)
	v_mad_i64_i32 v[5:6], null, v8, s5, 0
	s_delay_alu instid0(VALU_DEP_2) | instskip(NEXT) | instid1(VALU_DEP_2)
	v_lshlrev_b64 v[3:4], 1, v[3:4]
	v_lshlrev_b64 v[1:2], 1, v[5:6]
	s_delay_alu instid0(VALU_DEP_2) | instskip(NEXT) | instid1(VALU_DEP_3)
	v_add_co_u32 v3, vcc_lo, s6, v3
	v_add_co_ci_u32_e32 v4, vcc_lo, s15, v4, vcc_lo
	s_delay_alu instid0(VALU_DEP_3) | instskip(NEXT) | instid1(VALU_DEP_4)
	v_add_co_u32 v1, vcc_lo, s6, v1
	v_add_co_ci_u32_e32 v2, vcc_lo, s15, v2, vcc_lo
	s_delay_alu instid0(VALU_DEP_4) | instskip(NEXT) | instid1(VALU_DEP_4)
	v_add_co_u32 v65, vcc_lo, v3, v81
	v_add_co_ci_u32_e32 v66, vcc_lo, v4, v82, vcc_lo
	s_delay_alu instid0(VALU_DEP_4) | instskip(NEXT) | instid1(VALU_DEP_4)
	v_add_co_u32 v76, vcc_lo, v1, v81
	v_add_co_ci_u32_e32 v77, vcc_lo, v2, v82, vcc_lo
	s_clause 0xf
	global_load_b128 v[1:4], v[65:66], off
	global_load_b128 v[5:8], v[65:66], off offset:512
	global_load_b128 v[9:12], v[76:77], off offset:256
	global_load_b128 v[13:16], v[76:77], off offset:768
	global_load_b128 v[17:20], v[65:66], off offset:1024
	global_load_b128 v[21:24], v[65:66], off offset:1536
	global_load_b128 v[25:28], v[76:77], off offset:1280
	global_load_b128 v[29:32], v[76:77], off offset:1792
	global_load_b128 v[33:36], v[65:66], off offset:2048
	global_load_b128 v[37:40], v[65:66], off offset:2560
	global_load_b128 v[41:44], v[76:77], off offset:2304
	global_load_b128 v[45:48], v[76:77], off offset:2816
	global_load_b128 v[49:52], v[65:66], off offset:3072
	global_load_b128 v[53:56], v[65:66], off offset:3584
	global_load_b128 v[57:60], v[76:77], off offset:3328
	global_load_b128 v[61:64], v[76:77], off offset:3840
	v_add_co_u32 v78, vcc_lo, 0x1000, v65
	v_add_co_ci_u32_e32 v79, vcc_lo, 0, v66, vcc_lo
	v_cmp_gt_u32_e32 vcc_lo, 13, v73
	s_clause 0x1
	global_load_b128 v[65:68], v[78:79], off
	global_load_b128 v[69:72], v[78:79], off offset:512
	s_or_b32 s6, s12, 0xc0
	v_cndmask_b32_e32 v80, v80, v73, vcc_lo
	v_add_co_u32 v76, vcc_lo, 0x1000, v76
	v_add_co_ci_u32_e32 v77, vcc_lo, 0, v77, vcc_lo
	s_delay_alu instid0(VALU_DEP_3)
	v_lshlrev_b32_e32 v80, 6, v80
	ds_load_b128 v[85:88], v80
	ds_load_b128 v[89:92], v80 offset:1024
	s_clause 0x1
	global_load_b128 v[93:96], v[76:77], off offset:256
	global_load_b128 v[97:100], v[76:77], off offset:768
	ds_load_b128 v[109:112], v80 offset:2048
	ds_load_b128 v[113:116], v80 offset:3072
	s_ashr_i32 s8, s6, 5
	s_cmp_lt_i32 s6, s17
	s_cselect_b32 s8, s8, s4
	s_delay_alu instid0(SALU_CYCLE_1) | instskip(NEXT) | instid1(SALU_CYCLE_1)
	s_ashr_i32 s9, s8, 31
	s_lshl_b64 s[8:9], s[8:9], 2
	s_delay_alu instid0(SALU_CYCLE_1) | instskip(SKIP_2) | instid1(SALU_CYCLE_1)
	s_add_u32 s8, s7, s8
	s_addc_u32 s9, s13, s9
	s_or_b32 s6, s12, 0xe0
	s_ashr_i32 s15, s6, 5
	s_cmp_lt_i32 s6, s17
	s_cselect_b32 s24, s15, s4
	s_delay_alu instid0(SALU_CYCLE_1) | instskip(NEXT) | instid1(SALU_CYCLE_1)
	s_ashr_i32 s25, s24, 31
	s_lshl_b64 s[24:25], s[24:25], 2
	s_delay_alu instid0(SALU_CYCLE_1) | instskip(SKIP_2) | instid1(SALU_CYCLE_1)
	s_add_u32 s24, s7, s24
	s_addc_u32 s25, s13, s25
	s_add_i32 s6, s12, 0x100
	s_ashr_i32 s15, s6, 5
	s_cmp_lt_i32 s6, s17
	s_cselect_b32 s34, s15, s4
	s_waitcnt vmcnt(18) lgkmcnt(2)
	v_wmma_f32_16x16x16_bf16 v[117:124], v[1:8], v[85:92], v[101:108]
	s_waitcnt vmcnt(16)
	v_wmma_f32_16x16x16_bf16 v[101:108], v[9:16], v[85:92], v[101:108]
	s_clause 0x3
	global_load_b128 v[1:4], v[78:79], off offset:1024
	global_load_b128 v[5:8], v[78:79], off offset:1536
	;; [unrolled: 1-line block ×4, first 2 shown]
	s_waitcnt vmcnt(18) lgkmcnt(0)
	v_wmma_f32_16x16x16_bf16 v[117:124], v[17:24], v[109:116], v[117:124]
	s_clause 0x1
	global_load_b128 v[17:20], v[78:79], off offset:2048
	global_load_b128 v[21:24], v[78:79], off offset:2560
	s_waitcnt vmcnt(18)
	v_wmma_f32_16x16x16_bf16 v[101:108], v[25:32], v[109:116], v[101:108]
	ds_load_b128 v[25:28], v80 offset:4096
	ds_load_b128 v[29:32], v80 offset:5120
	s_clause 0x5
	global_load_b128 v[109:112], v[76:77], off offset:2304
	global_load_b128 v[113:116], v[76:77], off offset:2816
	;; [unrolled: 1-line block ×6, first 2 shown]
	s_waitcnt vmcnt(22) lgkmcnt(0)
	v_wmma_f32_16x16x16_bf16 v[117:124], v[33:40], v[25:32], v[117:124]
	s_waitcnt vmcnt(20)
	v_wmma_f32_16x16x16_bf16 v[101:108], v[41:48], v[25:32], v[101:108]
	ds_load_b128 v[25:28], v80 offset:6144
	ds_load_b128 v[29:32], v80 offset:7168
	;; [unrolled: 1-line block ×4, first 2 shown]
	s_waitcnt vmcnt(18) lgkmcnt(2)
	v_wmma_f32_16x16x16_bf16 v[117:124], v[49:56], v[25:32], v[117:124]
	s_waitcnt vmcnt(16)
	v_wmma_f32_16x16x16_bf16 v[101:108], v[57:64], v[25:32], v[101:108]
	ds_load_b128 v[25:28], v80 offset:10240
	ds_load_b128 v[29:32], v80 offset:11264
	;; [unrolled: 1-line block ×6, first 2 shown]
	s_waitcnt vmcnt(14) lgkmcnt(6)
	v_wmma_f32_16x16x16_bf16 v[117:124], v[65:72], v[33:40], v[117:124]
	s_load_b32 s16, s[8:9], 0x0
	s_mul_hi_i32 s9, s35, s5
	s_mul_i32 s8, s35, s5
	s_ashr_i32 s35, s34, 31
	s_waitcnt vmcnt(12)
	v_wmma_f32_16x16x16_bf16 v[101:108], v[93:100], v[33:40], v[101:108]
	s_lshl_b64 s[34:35], s[34:35], 2
	s_delay_alu instid0(SALU_CYCLE_1)
	s_add_u32 s6, s7, s34
	s_addc_u32 s7, s13, s35
	s_add_u32 s4, s10, s2
	s_addc_u32 s19, s11, s3
	s_lshl_b64 s[2:3], s[20:21], 1
	s_clause 0x1
	s_load_b32 s13, s[24:25], 0x0
	s_load_b32 s15, s[6:7], 0x0
	s_lshl_b64 s[6:7], s[22:23], 1
	s_lshl_b64 s[10:11], s[26:27], 1
	;; [unrolled: 1-line block ×5, first 2 shown]
	s_waitcnt lgkmcnt(0)
	s_mul_hi_i32 s25, s16, s5
	s_mul_i32 s24, s16, s5
	s_waitcnt vmcnt(10)
	v_wmma_f32_16x16x16_bf16 v[117:124], v[1:8], v[25:32], v[117:124]
	s_waitcnt vmcnt(8)
	v_wmma_f32_16x16x16_bf16 v[101:108], v[9:16], v[25:32], v[101:108]
	s_waitcnt vmcnt(6)
	s_delay_alu instid0(VALU_DEP_2) | instskip(SKIP_1) | instid1(VALU_DEP_2)
	v_wmma_f32_16x16x16_bf16 v[117:124], v[17:24], v[141:148], v[117:124]
	s_waitcnt vmcnt(4)
	v_wmma_f32_16x16x16_bf16 v[101:108], v[109:116], v[141:148], v[101:108]
	s_waitcnt vmcnt(2)
	s_delay_alu instid0(VALU_DEP_2) | instskip(SKIP_3) | instid1(VALU_DEP_3)
	v_wmma_f32_16x16x16_bf16 v[117:124], v[125:132], v[149:156], v[117:124]
	v_lshlrev_b32_e32 v85, 6, v73
	s_waitcnt vmcnt(0)
	v_wmma_f32_16x16x16_bf16 v[101:108], v[133:140], v[149:156], v[101:108]
	v_mul_f32_e32 v100, s18, v124
	s_delay_alu instid0(VALU_DEP_3) | instskip(SKIP_2) | instid1(VALU_DEP_3)
	v_lshl_or_b32 v41, v74, 10, v85
	v_mul_f32_e32 v99, s18, v118
	v_mul_f32_e32 v97, s18, v117
	v_add_co_u32 v76, s4, s4, v41
	s_delay_alu instid0(VALU_DEP_1) | instskip(NEXT) | instid1(VALU_DEP_2)
	v_add_co_ci_u32_e64 v77, null, s19, 0, s4
	v_add_co_u32 v41, vcc_lo, v76, s2
	s_delay_alu instid0(VALU_DEP_2)
	v_add_co_ci_u32_e32 v42, vcc_lo, s3, v77, vcc_lo
	v_add_co_u32 v33, vcc_lo, v76, s6
	v_add_co_ci_u32_e32 v34, vcc_lo, s7, v77, vcc_lo
	v_add_co_u32 v35, vcc_lo, v76, s10
	;; [unrolled: 2-line block ×5, first 2 shown]
	s_lshl_b64 s[2:3], s[24:25], 1
	v_add_co_ci_u32_e32 v6, vcc_lo, s23, v77, vcc_lo
	s_mul_hi_i32 s7, s13, s5
	s_mul_i32 s6, s13, s5
	v_add_co_u32 v17, vcc_lo, v76, s2
	v_add_co_ci_u32_e32 v18, vcc_lo, s3, v77, vcc_lo
	s_lshl_b64 s[2:3], s[6:7], 1
	s_mul_hi_i32 s7, s15, s5
	s_mul_i32 s6, s15, s5
	v_add_co_u32 v19, vcc_lo, v76, s2
	v_add_co_ci_u32_e32 v20, vcc_lo, s3, v77, vcc_lo
	s_lshl_b64 s[2:3], s[6:7], 1
	s_clause 0x1
	global_load_b128 v[65:68], v[41:42], off
	global_load_b128 v[69:72], v[41:42], off offset:16
	v_add_co_u32 v21, vcc_lo, v76, s2
	v_add_co_ci_u32_e32 v22, vcc_lo, s3, v77, vcc_lo
	s_clause 0xf
	global_load_b128 v[57:60], v[33:34], off
	global_load_b128 v[61:64], v[33:34], off offset:16
	global_load_b128 v[49:52], v[35:36], off
	global_load_b128 v[53:56], v[35:36], off offset:16
	;; [unrolled: 2-line block ×8, first 2 shown]
	v_mbcnt_lo_u32_b32 v77, -1, 0
	s_waitcnt vmcnt(0)
	s_barrier
	buffer_gl0_inv
	v_xor_b32_e32 v78, 16, v77
	s_delay_alu instid0(VALU_DEP_1) | instskip(SKIP_1) | instid1(VALU_DEP_1)
	v_cmp_gt_i32_e32 vcc_lo, 32, v78
	v_dual_cndmask_b32 v77, v77, v78 :: v_dual_and_b32 v76, 0xe0, v0
	v_add_nc_u32_e32 v76, s12, v76
	s_delay_alu instid0(VALU_DEP_1) | instskip(NEXT) | instid1(VALU_DEP_1)
	v_or_b32_e32 v76, v76, v83
	v_or_b32_e32 v78, 2, v76
	;; [unrolled: 1-line block ×4, first 2 shown]
	v_cmp_gt_i32_e32 vcc_lo, s17, v76
	v_or_b32_e32 v86, 8, v76
	v_cmp_gt_i32_e64 s2, s17, v78
	v_or_b32_e32 v87, 10, v76
	v_or_b32_e32 v88, 12, v76
	;; [unrolled: 1-line block ×11, first 2 shown]
	v_cndmask_b32_e32 v76, 0xff7fffff, v97, vcc_lo
	v_cmp_gt_i32_e64 s3, s17, v80
	v_mul_f32_e32 v80, s18, v119
	v_cndmask_b32_e64 v78, 0xff7fffff, v99, s2
	v_mul_f32_e32 v99, s18, v120
	v_cmp_gt_i32_e64 s4, s17, v79
	v_mul_f32_e32 v97, s18, v123
	v_mul_f32_e32 v79, s18, v122
	v_max3_f32 v76, v76, 0xff7fffff, v78
	v_mul_f32_e32 v78, s18, v121
	v_cndmask_b32_e64 v80, 0xff7fffff, v80, s4
	v_cmp_gt_i32_e64 s5, s17, v86
	v_cmp_gt_i32_e64 s6, s17, v87
	v_mul_f32_e32 v86, s18, v107
	v_cndmask_b32_e64 v99, 0xff7fffff, v99, s3
	v_cmp_gt_i32_e64 s7, s17, v89
	v_cndmask_b32_e64 v78, 0xff7fffff, v78, s5
	v_cmp_gt_i32_e64 s8, s17, v88
	v_mul_f32_e32 v89, s18, v101
	v_max3_f32 v76, v76, v80, v99
	v_mul_f32_e32 v80, s18, v108
	v_cndmask_b32_e64 v79, 0xff7fffff, v79, s6
	v_dual_mul_f32 v99, s18, v105 :: v_dual_mul_f32 v88, s18, v102
	v_cndmask_b32_e64 v97, 0xff7fffff, v97, s8
	v_cndmask_b32_e64 v100, 0xff7fffff, v100, s7
	s_delay_alu instid0(VALU_DEP_4) | instskip(SKIP_4) | instid1(VALU_DEP_4)
	v_max3_f32 v76, v76, v78, v79
	v_cmp_gt_i32_e64 s9, s17, v90
	v_cmp_gt_i32_e64 s10, s17, v91
	v_dual_mul_f32 v87, s18, v106 :: v_dual_mul_f32 v78, s18, v104
	v_mul_f32_e32 v79, s18, v103
	v_cndmask_b32_e64 v89, 0xff7fffff, v89, s9
	s_delay_alu instid0(VALU_DEP_4)
	v_cndmask_b32_e64 v88, 0xff7fffff, v88, s10
	v_max3_f32 v76, v76, v97, v100
	v_cmp_gt_i32_e64 s11, s17, v92
	v_cmp_gt_i32_e64 s12, s17, v93
	;; [unrolled: 1-line block ×4, first 2 shown]
	v_max3_f32 v76, v76, v89, v88
	v_cndmask_b32_e64 v79, 0xff7fffff, v79, s11
	v_cndmask_b32_e64 v78, 0xff7fffff, v78, s12
	;; [unrolled: 1-line block ×4, first 2 shown]
	v_cmp_gt_i32_e64 s16, s17, v96
	v_cmp_gt_i32_e64 s17, s17, v98
	v_max3_f32 v76, v76, v79, v78
	v_lshlrev_b32_e32 v99, 2, v77
	s_delay_alu instid0(VALU_DEP_4) | instskip(NEXT) | instid1(VALU_DEP_4)
	v_cndmask_b32_e64 v78, 0xff7fffff, v86, s16
	v_cndmask_b32_e64 v79, 0xff7fffff, v80, s17
	s_delay_alu instid0(VALU_DEP_4) | instskip(NEXT) | instid1(VALU_DEP_1)
	v_max3_f32 v76, v76, v88, v87
	v_max3_f32 v76, v76, v78, v79
	ds_bpermute_b32 v77, v99, v76
	s_waitcnt lgkmcnt(0)
	v_max_f32_e32 v77, v77, v77
	s_delay_alu instid0(VALU_DEP_1) | instskip(NEXT) | instid1(VALU_DEP_1)
	v_max_f32_e32 v76, v76, v77
	v_fma_f32 v78, s18, v118, -v76
	v_fma_f32 v77, s18, v117, -v76
	;; [unrolled: 1-line block ×5, first 2 shown]
	v_mul_f32_e32 v78, 0x3fb8aa3b, v78
	v_fma_f32 v87, s18, v123, -v76
	v_fma_f32 v88, s18, v105, -v76
	v_mul_f32_e32 v80, 0x3fb8aa3b, v80
	v_mul_f32_e32 v86, 0x3fb8aa3b, v86
	v_exp_f32_e32 v78, v78
	v_fma_f32 v90, s18, v107, -v76
	v_fma_f32 v100, s18, v108, -v76
	v_exp_f32_e32 v80, v80
	v_exp_f32_e32 v86, v86
	v_mul_f32_e32 v88, 0x3fb8aa3b, v88
	s_delay_alu instid0(VALU_DEP_2) | instskip(NEXT) | instid1(TRANS32_DEP_3)
	v_mul_f32_e32 v100, 0x3fb8aa3b, v100
	v_cndmask_b32_e64 v91, 0, v78, s2
	v_mul_f32_e32 v77, 0x3fb8aa3b, v77
	s_delay_alu instid0(VALU_DEP_4) | instskip(NEXT) | instid1(TRANS32_DEP_3)
	v_exp_f32_e32 v88, v88
	v_cndmask_b32_e64 v95, 0, v80, s3
	v_fma_f32 v80, s18, v101, -v76
	s_delay_alu instid0(TRANS32_DEP_2)
	v_cndmask_b32_e64 v96, 0, v86, s5
	v_exp_f32_e32 v77, v77
	v_mul_f32_e32 v79, 0x3fb8aa3b, v79
	v_fma_f32 v86, s18, v102, -v76
	v_mul_f32_e32 v80, 0x3fb8aa3b, v80
	v_cmp_gt_u32_e64 s2, 16, v75
	v_exp_f32_e32 v100, v100
	s_delay_alu instid0(VALU_DEP_2) | instskip(NEXT) | instid1(TRANS32_DEP_3)
	v_exp_f32_e32 v80, v80
	v_cndmask_b32_e32 v92, 0, v77, vcc_lo
	v_exp_f32_e32 v79, v79
	v_fma_f32 v77, s18, v122, -v76
	s_delay_alu instid0(VALU_DEP_2) | instskip(NEXT) | instid1(VALU_DEP_1)
	v_add_f32_e32 v78, 0, v92
	v_add_f32_e32 v78, v78, v91
	s_waitcnt_depctr 0xfff
	v_cndmask_b32_e64 v93, 0, v79, s4
	v_mul_f32_e32 v87, 0x3fb8aa3b, v87
	v_fma_f32 v79, s18, v124, -v76
	s_delay_alu instid0(VALU_DEP_3) | instskip(SKIP_1) | instid1(VALU_DEP_3)
	v_add_f32_e32 v78, v78, v93
	v_mul_f32_e32 v77, 0x3fb8aa3b, v77
	v_mul_f32_e32 v79, 0x3fb8aa3b, v79
	v_exp_f32_e32 v87, v87
	s_delay_alu instid0(VALU_DEP_3) | instskip(NEXT) | instid1(VALU_DEP_3)
	v_add_f32_e32 v78, v78, v95
	v_exp_f32_e32 v77, v77
	s_delay_alu instid0(VALU_DEP_2) | instskip(NEXT) | instid1(TRANS32_DEP_3)
	v_exp_f32_e32 v79, v79
	v_cndmask_b32_e64 v94, 0, v87, s8
	v_fma_f32 v87, s18, v104, -v76
	s_waitcnt_depctr 0xfff
	v_cndmask_b32_e64 v97, 0, v77, s6
	v_add_f32_e32 v77, v78, v96
	v_fma_f32 v78, s18, v103, -v76
	v_mul_f32_e32 v86, 0x3fb8aa3b, v86
	v_cndmask_b32_e64 v98, 0, v79, s7
	v_mul_f32_e32 v87, 0x3fb8aa3b, v87
	s_delay_alu instid0(VALU_DEP_4) | instskip(NEXT) | instid1(VALU_DEP_4)
	v_dual_add_f32 v77, v77, v97 :: v_dual_mul_f32 v78, 0x3fb8aa3b, v78
	v_exp_f32_e32 v86, v86
	s_delay_alu instid0(VALU_DEP_2) | instskip(NEXT) | instid1(VALU_DEP_1)
	v_exp_f32_e32 v87, v87
	v_add_f32_e32 v79, v77, v94
	s_delay_alu instid0(VALU_DEP_2) | instskip(SKIP_2) | instid1(VALU_DEP_3)
	v_exp_f32_e32 v89, v78
	v_cndmask_b32_e64 v77, 0, v80, s9
	v_fma_f32 v80, s18, v106, -v76
	v_add_f32_e32 v79, v79, v98
	s_delay_alu instid0(TRANS32_DEP_3) | instskip(NEXT) | instid1(VALU_DEP_3)
	v_cndmask_b32_e64 v78, 0, v86, s10
	v_mul_f32_e32 v80, 0x3fb8aa3b, v80
	s_delay_alu instid0(VALU_DEP_3) | instskip(NEXT) | instid1(TRANS32_DEP_1)
	v_add_f32_e32 v86, v79, v77
	v_cndmask_b32_e64 v79, 0, v89, s11
	v_mul_f32_e32 v89, 0x3fb8aa3b, v90
	s_delay_alu instid0(VALU_DEP_4) | instskip(SKIP_2) | instid1(VALU_DEP_3)
	v_exp_f32_e32 v90, v80
	v_cndmask_b32_e64 v80, 0, v87, s12
	v_add_f32_e32 v86, v86, v78
	v_exp_f32_e32 v89, v89
	s_delay_alu instid0(VALU_DEP_1) | instskip(SKIP_1) | instid1(VALU_DEP_2)
	v_add_f32_e32 v87, v86, v79
	v_cndmask_b32_e64 v86, 0, v88, s13
	v_add_f32_e32 v88, v87, v80
	s_delay_alu instid0(TRANS32_DEP_2) | instskip(NEXT) | instid1(VALU_DEP_2)
	v_cndmask_b32_e64 v87, 0, v90, s15
	v_add_f32_e32 v90, v88, v86
	s_waitcnt_depctr 0xfff
	v_cndmask_b32_e64 v88, 0, v89, s16
	v_add_f32_e32 v89, v90, v87
	s_delay_alu instid0(VALU_DEP_1) | instskip(SKIP_1) | instid1(VALU_DEP_1)
	v_add_f32_e32 v90, v89, v88
	v_cndmask_b32_e64 v89, 0, v100, s17
	v_add_f32_e32 v90, v90, v89
	ds_bpermute_b32 v99, v99, v90
	s_and_saveexec_b32 s3, s2
	s_cbranch_execz .LBB702_14
; %bb.13:
	v_mul_u32_u24_e32 v75, 0x44, v74
	s_waitcnt lgkmcnt(0)
	v_add_f32_e32 v90, v90, v99
	s_delay_alu instid0(VALU_DEP_2) | instskip(NEXT) | instid1(VALU_DEP_1)
	v_lshl_add_u32 v75, v73, 2, v75
	v_add_nc_u32_e32 v75, 0x4000, v75
	ds_store_2addr_b32 v75, v76, v90 offset1:136
.LBB702_14:
	s_or_b32 exec_lo, exec_lo, s3
	v_lshlrev_b32_e32 v75, 2, v73
	s_waitcnt lgkmcnt(0)
	s_barrier
	buffer_gl0_inv
	v_cmp_eq_u32_e64 s3, 1, v74
	v_add_nc_u32_e32 v90, 0x4000, v75
	ds_load_2addr_b32 v[99:100], v90 offset1:17
	ds_load_2addr_b32 v[101:102], v90 offset0:34 offset1:51
	ds_load_2addr_b32 v[103:104], v90 offset0:68 offset1:85
	;; [unrolled: 1-line block ×4, first 2 shown]
	s_waitcnt lgkmcnt(4)
	v_max3_f32 v75, v99, 0xff7fffff, v100
	s_waitcnt lgkmcnt(3)
	s_delay_alu instid0(VALU_DEP_1) | instskip(SKIP_1) | instid1(VALU_DEP_1)
	v_max3_f32 v75, v75, v101, v102
	s_waitcnt lgkmcnt(2)
	v_max3_f32 v75, v75, v103, v104
	s_waitcnt lgkmcnt(1)
	s_delay_alu instid0(VALU_DEP_1) | instskip(NEXT) | instid1(VALU_DEP_1)
	v_max3_f32 v75, v75, v105, v106
	v_sub_f32_e32 v109, v100, v75
	v_sub_f32_e32 v76, v99, v75
	ds_load_2addr_b32 v[99:100], v90 offset0:170 offset1:187
	v_sub_f32_e32 v101, v101, v75
	v_dual_mul_f32 v109, 0x3fb8aa3b, v109 :: v_dual_mul_f32 v76, 0x3fb8aa3b, v76
	s_delay_alu instid0(VALU_DEP_2) | instskip(NEXT) | instid1(VALU_DEP_2)
	v_mul_f32_e32 v111, 0x3fb8aa3b, v101
	v_exp_f32_e32 v109, v109
	s_delay_alu instid0(VALU_DEP_2)
	v_exp_f32_e32 v110, v76
	v_sub_f32_e32 v76, v102, v75
	ds_load_2addr_b32 v[101:102], v90 offset0:204 offset1:221
	v_exp_f32_e32 v111, v111
	v_mul_f32_e32 v112, 0x3fb8aa3b, v76
	s_waitcnt lgkmcnt(2)
	v_fma_f32 v76, v110, v107, 0
	v_sub_f32_e32 v103, v103, v75
	s_delay_alu instid0(VALU_DEP_3) | instskip(NEXT) | instid1(VALU_DEP_2)
	v_exp_f32_e32 v112, v112
	v_dual_sub_f32 v107, v104, v75 :: v_dual_fmac_f32 v76, v109, v108
	s_waitcnt lgkmcnt(1)
	s_waitcnt_depctr 0xfff
	v_fmac_f32_e32 v76, v111, v99
	v_mul_f32_e32 v113, 0x3fb8aa3b, v103
	ds_load_2addr_b32 v[103:104], v90 offset0:238 offset1:255
	v_sub_f32_e32 v90, v105, v75
	v_dual_sub_f32 v99, v106, v75 :: v_dual_fmac_f32 v76, v112, v100
	v_mul_f32_e32 v105, 0x3fb8aa3b, v107
	v_exp_f32_e32 v107, v113
	s_delay_alu instid0(VALU_DEP_2)
	v_dual_mul_f32 v90, 0x3fb8aa3b, v90 :: v_dual_mul_f32 v99, 0x3fb8aa3b, v99
	s_waitcnt lgkmcnt(0)
	s_barrier
	buffer_gl0_inv
	v_exp_f32_e32 v90, v90
	v_exp_f32_e32 v99, v99
	v_fmac_f32_e32 v76, v107, v101
	v_exp_f32_e32 v105, v105
	s_waitcnt_depctr 0xfff
	v_fmac_f32_e32 v76, v105, v102
	s_delay_alu instid0(VALU_DEP_1) | instskip(NEXT) | instid1(VALU_DEP_1)
	v_fmac_f32_e32 v76, v90, v103
	v_fmac_f32_e32 v76, v99, v104
	s_delay_alu instid0(VALU_DEP_1) | instskip(NEXT) | instid1(VALU_DEP_1)
	v_add_f32_e32 v100, 0x358637bd, v76
	v_div_scale_f32 v101, null, v100, v100, 1.0
	v_div_scale_f32 v104, vcc_lo, 1.0, v100, 1.0
	s_delay_alu instid0(VALU_DEP_2) | instskip(SKIP_2) | instid1(VALU_DEP_1)
	v_rcp_f32_e32 v102, v101
	s_waitcnt_depctr 0xfff
	v_fma_f32 v103, -v101, v102, 1.0
	v_fmac_f32_e32 v102, v103, v102
	v_cndmask_b32_e64 v103, v110, v109, s3
	v_cmp_eq_u32_e64 s3, 2, v74
	s_delay_alu instid0(VALU_DEP_3) | instskip(NEXT) | instid1(VALU_DEP_2)
	v_mul_f32_e32 v106, v104, v102
	v_cndmask_b32_e64 v103, v103, v111, s3
	v_cmp_eq_u32_e64 s3, 3, v74
	s_delay_alu instid0(VALU_DEP_3) | instskip(NEXT) | instid1(VALU_DEP_2)
	v_fma_f32 v108, -v101, v106, v104
	v_cndmask_b32_e64 v103, v103, v112, s3
	v_cmp_eq_u32_e64 s3, 4, v74
	s_delay_alu instid0(VALU_DEP_3) | instskip(NEXT) | instid1(VALU_DEP_2)
	v_fmac_f32_e32 v106, v108, v102
	v_cndmask_b32_e64 v103, v103, v107, s3
	s_delay_alu instid0(VALU_DEP_2) | instskip(SKIP_1) | instid1(VALU_DEP_2)
	v_fma_f32 v101, -v101, v106, v104
	v_cmp_eq_u32_e64 s3, 5, v74
	v_div_fmas_f32 v101, v101, v102, v106
	s_delay_alu instid0(VALU_DEP_2) | instskip(SKIP_2) | instid1(VALU_DEP_3)
	v_cndmask_b32_e64 v103, v103, v105, s3
	v_cmp_eq_u32_e32 vcc_lo, 6, v74
	s_mov_b32 s3, exec_lo
	v_div_fixup_f32 v100, v101, v100, 1.0
	s_delay_alu instid0(VALU_DEP_3) | instskip(SKIP_1) | instid1(VALU_DEP_2)
	v_cndmask_b32_e32 v90, v103, v90, vcc_lo
	v_cmp_eq_u32_e32 vcc_lo, 7, v74
	v_cndmask_b32_e32 v90, v90, v99, vcc_lo
	s_delay_alu instid0(VALU_DEP_1) | instskip(NEXT) | instid1(VALU_DEP_1)
	v_mul_f32_e32 v90, v90, v100
	v_mul_f32_e32 v100, v90, v92
	;; [unrolled: 1-line block ×6, first 2 shown]
	v_and_b32_e32 v101, 0x7f800000, v100
	v_mul_f32_e32 v99, v90, v95
	v_mul_f32_e32 v95, v90, v91
	;; [unrolled: 1-line block ×3, first 2 shown]
                                        ; implicit-def: $vgpr91
	s_delay_alu instid0(VALU_DEP_4)
	v_cmpx_ne_u32_e32 0x7f800000, v101
	s_xor_b32 s3, exec_lo, s3
; %bb.15:
	v_bfe_u32 v91, v100, 16, 1
	s_delay_alu instid0(VALU_DEP_1)
	v_add3_u32 v91, v100, v91, 0x7fff
                                        ; implicit-def: $vgpr100
; %bb.16:
	s_and_not1_saveexec_b32 s3, s3
; %bb.17:
	v_and_b32_e32 v91, 0xffff, v100
	v_or_b32_e32 v93, 0x10000, v100
	s_delay_alu instid0(VALU_DEP_2) | instskip(NEXT) | instid1(VALU_DEP_2)
	v_cmp_eq_u32_e32 vcc_lo, 0, v91
	v_cndmask_b32_e32 v91, v93, v100, vcc_lo
; %bb.18:
	s_or_b32 exec_lo, exec_lo, s3
	v_and_b32_e32 v93, 0x7f800000, v95
	s_delay_alu instid0(VALU_DEP_1) | instskip(SKIP_1) | instid1(SALU_CYCLE_1)
	v_cmp_ne_u32_e32 vcc_lo, 0x7f800000, v93
                                        ; implicit-def: $vgpr93
	s_and_saveexec_b32 s3, vcc_lo
	s_xor_b32 s3, exec_lo, s3
; %bb.19:
	v_bfe_u32 v93, v95, 16, 1
	s_delay_alu instid0(VALU_DEP_1)
	v_add3_u32 v93, v95, v93, 0x7fff
                                        ; implicit-def: $vgpr95
; %bb.20:
	s_and_not1_saveexec_b32 s3, s3
; %bb.21:
	v_and_b32_e32 v93, 0xffff, v95
	v_or_b32_e32 v100, 0x10000, v95
	s_delay_alu instid0(VALU_DEP_2) | instskip(NEXT) | instid1(VALU_DEP_2)
	v_cmp_eq_u32_e32 vcc_lo, 0, v93
	v_cndmask_b32_e32 v93, v100, v95, vcc_lo
; %bb.22:
	s_or_b32 exec_lo, exec_lo, s3
	v_and_b32_e32 v95, 0x7f800000, v96
	s_delay_alu instid0(VALU_DEP_1) | instskip(SKIP_1) | instid1(SALU_CYCLE_1)
	v_cmp_ne_u32_e32 vcc_lo, 0x7f800000, v95
                                        ; implicit-def: $vgpr95
	s_and_saveexec_b32 s3, vcc_lo
	s_xor_b32 s3, exec_lo, s3
; %bb.23:
	v_bfe_u32 v95, v96, 16, 1
	s_delay_alu instid0(VALU_DEP_1)
	v_add3_u32 v95, v96, v95, 0x7fff
                                        ; implicit-def: $vgpr96
; %bb.24:
	s_and_not1_saveexec_b32 s3, s3
; %bb.25:
	v_and_b32_e32 v95, 0xffff, v96
	v_or_b32_e32 v100, 0x10000, v96
	s_delay_alu instid0(VALU_DEP_2) | instskip(NEXT) | instid1(VALU_DEP_2)
	v_cmp_eq_u32_e32 vcc_lo, 0, v95
	v_cndmask_b32_e32 v95, v100, v96, vcc_lo
; %bb.26:
	s_or_b32 exec_lo, exec_lo, s3
	v_and_b32_e32 v96, 0x7f800000, v99
	s_delay_alu instid0(VALU_DEP_1) | instskip(SKIP_1) | instid1(SALU_CYCLE_1)
	v_cmp_ne_u32_e32 vcc_lo, 0x7f800000, v96
                                        ; implicit-def: $vgpr96
	s_and_saveexec_b32 s3, vcc_lo
	s_xor_b32 s3, exec_lo, s3
; %bb.27:
	v_bfe_u32 v96, v99, 16, 1
	s_delay_alu instid0(VALU_DEP_1)
	v_add3_u32 v96, v99, v96, 0x7fff
                                        ; implicit-def: $vgpr99
; %bb.28:
	s_and_not1_saveexec_b32 s3, s3
; %bb.29:
	v_and_b32_e32 v96, 0xffff, v99
	v_or_b32_e32 v100, 0x10000, v99
	s_delay_alu instid0(VALU_DEP_2) | instskip(NEXT) | instid1(VALU_DEP_2)
	v_cmp_eq_u32_e32 vcc_lo, 0, v96
	v_cndmask_b32_e32 v96, v100, v99, vcc_lo
; %bb.30:
	s_or_b32 exec_lo, exec_lo, s3
	v_and_b32_e32 v99, 0x7f800000, v98
	s_delay_alu instid0(VALU_DEP_1) | instskip(SKIP_1) | instid1(SALU_CYCLE_1)
	v_cmp_ne_u32_e32 vcc_lo, 0x7f800000, v99
                                        ; implicit-def: $vgpr99
	s_and_saveexec_b32 s3, vcc_lo
	s_xor_b32 s3, exec_lo, s3
; %bb.31:
	v_bfe_u32 v99, v98, 16, 1
	s_delay_alu instid0(VALU_DEP_1)
	v_add3_u32 v99, v98, v99, 0x7fff
                                        ; implicit-def: $vgpr98
; %bb.32:
	s_and_not1_saveexec_b32 s3, s3
; %bb.33:
	v_and_b32_e32 v99, 0xffff, v98
	v_or_b32_e32 v100, 0x10000, v98
	s_delay_alu instid0(VALU_DEP_2) | instskip(NEXT) | instid1(VALU_DEP_2)
	v_cmp_eq_u32_e32 vcc_lo, 0, v99
	v_cndmask_b32_e32 v99, v100, v98, vcc_lo
; %bb.34:
	s_or_b32 exec_lo, exec_lo, s3
	v_and_b32_e32 v98, 0x7f800000, v97
	s_delay_alu instid0(VALU_DEP_1) | instskip(SKIP_1) | instid1(SALU_CYCLE_1)
	v_cmp_ne_u32_e32 vcc_lo, 0x7f800000, v98
                                        ; implicit-def: $vgpr98
	s_and_saveexec_b32 s3, vcc_lo
	s_xor_b32 s3, exec_lo, s3
; %bb.35:
	v_bfe_u32 v98, v97, 16, 1
	s_delay_alu instid0(VALU_DEP_1)
	v_add3_u32 v98, v97, v98, 0x7fff
                                        ; implicit-def: $vgpr97
; %bb.36:
	s_and_not1_saveexec_b32 s3, s3
; %bb.37:
	v_and_b32_e32 v98, 0xffff, v97
	v_or_b32_e32 v100, 0x10000, v97
	s_delay_alu instid0(VALU_DEP_2) | instskip(NEXT) | instid1(VALU_DEP_2)
	v_cmp_eq_u32_e32 vcc_lo, 0, v98
	v_cndmask_b32_e32 v98, v100, v97, vcc_lo
; %bb.38:
	s_or_b32 exec_lo, exec_lo, s3
	v_and_b32_e32 v97, 0x7f800000, v94
	s_delay_alu instid0(VALU_DEP_1) | instskip(SKIP_1) | instid1(SALU_CYCLE_1)
	v_cmp_ne_u32_e32 vcc_lo, 0x7f800000, v97
                                        ; implicit-def: $vgpr97
	s_and_saveexec_b32 s3, vcc_lo
	s_xor_b32 s3, exec_lo, s3
; %bb.39:
	v_bfe_u32 v97, v94, 16, 1
	s_delay_alu instid0(VALU_DEP_1)
	v_add3_u32 v97, v94, v97, 0x7fff
                                        ; implicit-def: $vgpr94
; %bb.40:
	s_and_not1_saveexec_b32 s3, s3
; %bb.41:
	v_and_b32_e32 v97, 0xffff, v94
	v_or_b32_e32 v100, 0x10000, v94
	s_delay_alu instid0(VALU_DEP_2) | instskip(NEXT) | instid1(VALU_DEP_2)
	v_cmp_eq_u32_e32 vcc_lo, 0, v97
	v_cndmask_b32_e32 v97, v100, v94, vcc_lo
; %bb.42:
	s_or_b32 exec_lo, exec_lo, s3
	v_and_b32_e32 v94, 0x7f800000, v92
	s_delay_alu instid0(VALU_DEP_1) | instskip(SKIP_1) | instid1(SALU_CYCLE_1)
	v_cmp_ne_u32_e32 vcc_lo, 0x7f800000, v94
                                        ; implicit-def: $vgpr94
	s_and_saveexec_b32 s3, vcc_lo
	s_xor_b32 s3, exec_lo, s3
; %bb.43:
	v_bfe_u32 v94, v92, 16, 1
	s_delay_alu instid0(VALU_DEP_1)
	v_add3_u32 v94, v92, v94, 0x7fff
                                        ; implicit-def: $vgpr92
; %bb.44:
	s_and_not1_saveexec_b32 s3, s3
; %bb.45:
	v_and_b32_e32 v94, 0xffff, v92
	v_or_b32_e32 v100, 0x10000, v92
	s_delay_alu instid0(VALU_DEP_2) | instskip(NEXT) | instid1(VALU_DEP_2)
	v_cmp_eq_u32_e32 vcc_lo, 0, v94
	v_cndmask_b32_e32 v94, v100, v92, vcc_lo
; %bb.46:
	s_or_b32 exec_lo, exec_lo, s3
	s_load_b64 s[34:35], s[0:1], 0x94
	v_lshlrev_b32_e32 v92, 4, v83
	s_delay_alu instid0(VALU_DEP_2)
	v_perm_b32 v100, v94, v97, 0x7060302
	v_dual_mul_f32 v89, v90, v89 :: v_dual_lshlrev_b32 v94, 11, v74
	v_perm_b32 v97, v93, v91, 0x7060302
	v_mul_f32_e32 v93, v90, v77
	v_perm_b32 v99, v98, v99, 0x7060302
	v_perm_b32 v98, v96, v95, 0x7060302
	v_or3_b32 v77, v92, v94, v85
	v_mul_f32_e32 v88, v90, v88
	v_dual_mul_f32 v87, v90, v87 :: v_dual_and_b32 v94, 0x7f800000, v93
	v_mul_f32_e32 v86, v90, v86
	v_mul_f32_e32 v91, v90, v80
	;; [unrolled: 1-line block ×4, first 2 shown]
	s_mov_b32 s3, exec_lo
	ds_store_b128 v77, v[97:100]
                                        ; implicit-def: $vgpr78
	v_cmpx_ne_u32_e32 0x7f800000, v94
	s_xor_b32 s3, exec_lo, s3
; %bb.47:
	v_bfe_u32 v78, v93, 16, 1
	s_delay_alu instid0(VALU_DEP_1)
	v_add3_u32 v78, v93, v78, 0x7fff
                                        ; implicit-def: $vgpr93
; %bb.48:
	s_and_not1_saveexec_b32 s3, s3
; %bb.49:
	v_and_b32_e32 v78, 0xffff, v93
	v_or_b32_e32 v79, 0x10000, v93
	s_delay_alu instid0(VALU_DEP_2) | instskip(NEXT) | instid1(VALU_DEP_2)
	v_cmp_eq_u32_e32 vcc_lo, 0, v78
	v_cndmask_b32_e32 v78, v79, v93, vcc_lo
; %bb.50:
	s_or_b32 exec_lo, exec_lo, s3
	v_and_b32_e32 v79, 0x7f800000, v80
	s_delay_alu instid0(VALU_DEP_1) | instskip(SKIP_1) | instid1(SALU_CYCLE_1)
	v_cmp_ne_u32_e32 vcc_lo, 0x7f800000, v79
                                        ; implicit-def: $vgpr79
	s_and_saveexec_b32 s3, vcc_lo
	s_xor_b32 s3, exec_lo, s3
; %bb.51:
	v_bfe_u32 v79, v80, 16, 1
	s_delay_alu instid0(VALU_DEP_1)
	v_add3_u32 v79, v80, v79, 0x7fff
                                        ; implicit-def: $vgpr80
; %bb.52:
	s_and_not1_saveexec_b32 s3, s3
; %bb.53:
	v_and_b32_e32 v79, 0xffff, v80
	v_or_b32_e32 v90, 0x10000, v80
	s_delay_alu instid0(VALU_DEP_2) | instskip(NEXT) | instid1(VALU_DEP_2)
	v_cmp_eq_u32_e32 vcc_lo, 0, v79
	v_cndmask_b32_e32 v79, v90, v80, vcc_lo
; %bb.54:
	s_or_b32 exec_lo, exec_lo, s3
	v_and_b32_e32 v80, 0x7f800000, v92
	s_delay_alu instid0(VALU_DEP_1) | instskip(SKIP_1) | instid1(SALU_CYCLE_1)
	v_cmp_ne_u32_e32 vcc_lo, 0x7f800000, v80
                                        ; implicit-def: $vgpr80
	s_and_saveexec_b32 s3, vcc_lo
	s_xor_b32 s3, exec_lo, s3
; %bb.55:
	v_bfe_u32 v80, v92, 16, 1
	s_delay_alu instid0(VALU_DEP_1)
	v_add3_u32 v80, v92, v80, 0x7fff
                                        ; implicit-def: $vgpr92
; %bb.56:
	s_and_not1_saveexec_b32 s3, s3
; %bb.57:
	v_and_b32_e32 v80, 0xffff, v92
	v_or_b32_e32 v90, 0x10000, v92
	s_delay_alu instid0(VALU_DEP_2) | instskip(NEXT) | instid1(VALU_DEP_2)
	v_cmp_eq_u32_e32 vcc_lo, 0, v80
	v_cndmask_b32_e32 v80, v90, v92, vcc_lo
; %bb.58:
	s_or_b32 exec_lo, exec_lo, s3
	v_and_b32_e32 v90, 0x7f800000, v91
	s_delay_alu instid0(VALU_DEP_1) | instskip(SKIP_1) | instid1(SALU_CYCLE_1)
	v_cmp_ne_u32_e32 vcc_lo, 0x7f800000, v90
                                        ; implicit-def: $vgpr90
	s_and_saveexec_b32 s3, vcc_lo
	s_xor_b32 s3, exec_lo, s3
; %bb.59:
	v_bfe_u32 v90, v91, 16, 1
	s_delay_alu instid0(VALU_DEP_1)
	v_add3_u32 v90, v91, v90, 0x7fff
                                        ; implicit-def: $vgpr91
; %bb.60:
	s_and_not1_saveexec_b32 s3, s3
; %bb.61:
	v_and_b32_e32 v90, 0xffff, v91
	v_or_b32_e32 v92, 0x10000, v91
	s_delay_alu instid0(VALU_DEP_2) | instskip(NEXT) | instid1(VALU_DEP_2)
	v_cmp_eq_u32_e32 vcc_lo, 0, v90
	v_cndmask_b32_e32 v90, v92, v91, vcc_lo
; %bb.62:
	s_or_b32 exec_lo, exec_lo, s3
	v_and_b32_e32 v91, 0x7f800000, v86
	s_delay_alu instid0(VALU_DEP_1) | instskip(SKIP_1) | instid1(SALU_CYCLE_1)
	v_cmp_ne_u32_e32 vcc_lo, 0x7f800000, v91
                                        ; implicit-def: $vgpr91
	s_and_saveexec_b32 s3, vcc_lo
	s_xor_b32 s3, exec_lo, s3
; %bb.63:
	v_bfe_u32 v91, v86, 16, 1
	s_delay_alu instid0(VALU_DEP_1)
	v_add3_u32 v91, v86, v91, 0x7fff
                                        ; implicit-def: $vgpr86
; %bb.64:
	s_and_not1_saveexec_b32 s3, s3
; %bb.65:
	v_and_b32_e32 v91, 0xffff, v86
	v_or_b32_e32 v92, 0x10000, v86
	s_delay_alu instid0(VALU_DEP_2) | instskip(NEXT) | instid1(VALU_DEP_2)
	v_cmp_eq_u32_e32 vcc_lo, 0, v91
	v_cndmask_b32_e32 v91, v92, v86, vcc_lo
; %bb.66:
	s_or_b32 exec_lo, exec_lo, s3
	v_and_b32_e32 v86, 0x7f800000, v87
	s_delay_alu instid0(VALU_DEP_1) | instskip(SKIP_1) | instid1(SALU_CYCLE_1)
	v_cmp_ne_u32_e32 vcc_lo, 0x7f800000, v86
                                        ; implicit-def: $vgpr86
	s_and_saveexec_b32 s3, vcc_lo
	s_xor_b32 s3, exec_lo, s3
; %bb.67:
	v_bfe_u32 v86, v87, 16, 1
	s_delay_alu instid0(VALU_DEP_1)
	v_add3_u32 v86, v87, v86, 0x7fff
                                        ; implicit-def: $vgpr87
; %bb.68:
	s_and_not1_saveexec_b32 s3, s3
; %bb.69:
	v_and_b32_e32 v86, 0xffff, v87
	v_or_b32_e32 v92, 0x10000, v87
	s_delay_alu instid0(VALU_DEP_2) | instskip(NEXT) | instid1(VALU_DEP_2)
	v_cmp_eq_u32_e32 vcc_lo, 0, v86
	v_cndmask_b32_e32 v86, v92, v87, vcc_lo
; %bb.70:
	s_or_b32 exec_lo, exec_lo, s3
	v_and_b32_e32 v87, 0x7f800000, v88
	s_delay_alu instid0(VALU_DEP_1) | instskip(SKIP_1) | instid1(SALU_CYCLE_1)
	v_cmp_ne_u32_e32 vcc_lo, 0x7f800000, v87
                                        ; implicit-def: $vgpr87
	s_and_saveexec_b32 s3, vcc_lo
	s_xor_b32 s3, exec_lo, s3
; %bb.71:
	v_bfe_u32 v87, v88, 16, 1
	s_delay_alu instid0(VALU_DEP_1)
	v_add3_u32 v87, v88, v87, 0x7fff
                                        ; implicit-def: $vgpr88
; %bb.72:
	s_and_not1_saveexec_b32 s3, s3
; %bb.73:
	v_and_b32_e32 v87, 0xffff, v88
	v_or_b32_e32 v92, 0x10000, v88
	s_delay_alu instid0(VALU_DEP_2) | instskip(NEXT) | instid1(VALU_DEP_2)
	v_cmp_eq_u32_e32 vcc_lo, 0, v87
	v_cndmask_b32_e32 v87, v92, v88, vcc_lo
; %bb.74:
	s_or_b32 exec_lo, exec_lo, s3
	v_and_b32_e32 v88, 0x7f800000, v89
	s_delay_alu instid0(VALU_DEP_1) | instskip(SKIP_1) | instid1(SALU_CYCLE_1)
	v_cmp_ne_u32_e32 vcc_lo, 0x7f800000, v88
                                        ; implicit-def: $vgpr88
	s_and_saveexec_b32 s3, vcc_lo
	s_xor_b32 s3, exec_lo, s3
; %bb.75:
	v_bfe_u32 v88, v89, 16, 1
	s_delay_alu instid0(VALU_DEP_1)
	v_add3_u32 v88, v89, v88, 0x7fff
                                        ; implicit-def: $vgpr89
; %bb.76:
	s_and_not1_saveexec_b32 s3, s3
; %bb.77:
	v_and_b32_e32 v88, 0xffff, v89
	v_or_b32_e32 v92, 0x10000, v89
	s_delay_alu instid0(VALU_DEP_2) | instskip(NEXT) | instid1(VALU_DEP_2)
	v_cmp_eq_u32_e32 vcc_lo, 0, v88
	v_cndmask_b32_e32 v88, v92, v89, vcc_lo
; %bb.78:
	s_or_b32 exec_lo, exec_lo, s3
	s_delay_alu instid0(VALU_DEP_1)
	v_perm_b32 v89, v88, v87, 0x7060302
	v_perm_b32 v88, v86, v91, 0x7060302
	;; [unrolled: 1-line block ×4, first 2 shown]
	v_lshl_or_b32 v90, v74, 11, v85
	ds_store_b128 v77, v[86:89] offset:1024
	s_waitcnt lgkmcnt(0)
	s_barrier
	buffer_gl0_inv
	ds_load_b128 v[91:94], v90
	ds_load_b128 v[95:98], v90 offset:16
	v_lshlrev_b32_e32 v87, 2, v83
	s_delay_alu instid0(VALU_DEP_1)
	v_or_b32_e32 v88, 1, v87
	v_cmp_eq_u32_e32 vcc_lo, 1, v87
	v_cmp_eq_u32_e64 s4, 2, v87
	v_cmp_eq_u32_e64 s7, 3, v87
	;; [unrolled: 1-line block ×6, first 2 shown]
	v_or_b32_e32 v86, 2, v87
	v_cmp_eq_u32_e64 s10, 5, v87
	v_cmp_eq_u32_e64 s11, 4, v88
	;; [unrolled: 1-line block ×4, first 2 shown]
	s_waitcnt lgkmcnt(1)
	v_lshrrev_b32_e32 v74, 16, v91
	s_waitcnt lgkmcnt(0)
	v_lshrrev_b32_e32 v103, 16, v95
	v_lshrrev_b32_e32 v80, 16, v94
	;; [unrolled: 1-line block ×4, first 2 shown]
	v_cndmask_b32_e32 v89, v91, v74, vcc_lo
	v_cndmask_b32_e32 v99, v95, v103, vcc_lo
	v_cndmask_b32_e64 v100, v91, v74, s3
	v_lshrrev_b32_e32 v79, 16, v93
	v_lshrrev_b32_e32 v108, 16, v97
	v_cndmask_b32_e64 v89, v89, v92, s4
	v_cndmask_b32_e64 v99, v99, v96, s4
	;; [unrolled: 1-line block ×4, first 2 shown]
	v_cmp_eq_u32_e64 s5, 1, v86
	v_cndmask_b32_e64 v89, v89, v78, s7
	v_cndmask_b32_e64 v99, v99, v107, s7
	v_cndmask_b32_e64 v100, v100, v78, s8
	v_cndmask_b32_e64 v101, v101, v96, s6
	v_lshrrev_b32_e32 v109, 16, v98
	v_cndmask_b32_e64 v89, v89, v93, s9
	v_cndmask_b32_e64 v99, v99, v97, s9
	;; [unrolled: 1-line block ×8, first 2 shown]
	v_cmp_eq_u32_e64 s15, 7, v87
	v_cmp_eq_u32_e64 s16, 6, v88
	v_cndmask_b32_e64 v89, v89, v94, s12
	v_cndmask_b32_e64 v99, v99, v98, s12
	v_cmp_eq_u32_e64 s17, 2, v86
	v_cndmask_b32_e64 v101, v101, v97, s11
	v_cndmask_b32_e64 v100, v100, v94, s16
	;; [unrolled: 1-line block ×6, first 2 shown]
	v_cmp_eq_u32_e64 s18, 7, v88
	v_cmp_eq_u32_e64 s19, 3, v86
	;; [unrolled: 1-line block ×4, first 2 shown]
	v_cndmask_b32_e64 v99, v99, v96, s17
	v_cndmask_b32_e64 v112, v100, v80, s18
	;; [unrolled: 1-line block ×4, first 2 shown]
	v_or_b32_e32 v89, 3, v87
	v_cndmask_b32_e64 v105, v99, v107, s19
	v_cmp_eq_u32_e64 s24, 6, v86
	v_cndmask_b32_e64 v113, v100, v98, s16
	v_cndmask_b32_e64 v104, v101, v93, s20
	ds_load_b128 v[99:102], v90 offset:1024
	v_cmp_eq_u32_e64 s21, 1, v89
	v_cmp_eq_u32_e64 s23, 2, v89
	;; [unrolled: 1-line block ×3, first 2 shown]
	v_cndmask_b32_e64 v114, v104, v79, s22
	v_cmp_eq_u32_e64 s26, 4, v89
	v_cndmask_b32_e64 v74, v91, v74, s21
	v_cndmask_b32_e64 v91, v105, v97, s20
	;; [unrolled: 1-line block ×3, first 2 shown]
	ds_load_b128 v[103:106], v90 offset:1040
	v_cmp_eq_u32_e64 s28, 5, v89
	v_cndmask_b32_e64 v74, v74, v92, s23
	v_cndmask_b32_e64 v91, v91, v108, s22
	;; [unrolled: 1-line block ×3, first 2 shown]
	v_cmp_eq_u32_e64 s29, 6, v89
	v_cndmask_b32_e64 v95, v113, v109, s18
	v_cndmask_b32_e64 v74, v74, v78, s25
	;; [unrolled: 1-line block ×5, first 2 shown]
	s_waitcnt lgkmcnt(1)
	v_lshrrev_b32_e32 v96, 16, v99
	v_cndmask_b32_e64 v74, v74, v93, s26
	v_lshrrev_b32_e32 v107, 16, v100
	v_cndmask_b32_e64 v92, v92, v97, s26
	v_cmp_eq_u32_e64 s27, 7, v86
	v_cndmask_b32_e32 v93, v99, v96, vcc_lo
	v_cndmask_b32_e64 v74, v74, v79, s28
	s_delay_alu instid0(VALU_DEP_4)
	v_cndmask_b32_e64 v79, v92, v108, s28
	s_waitcnt lgkmcnt(0)
	v_lshrrev_b32_e32 v97, 16, v103
	v_cndmask_b32_e64 v92, v93, v100, s4
	v_cndmask_b32_e64 v93, v99, v96, s3
	v_cndmask_b32_e64 v74, v74, v94, s29
	v_cndmask_b32_e64 v79, v79, v98, s29
	v_cndmask_b32_e32 v108, v103, v97, vcc_lo
	v_cndmask_b32_e64 v92, v92, v107, s7
	v_cndmask_b32_e64 v93, v93, v100, s6
	v_lshrrev_b32_e32 v98, 16, v104
	v_cmp_eq_u32_e32 vcc_lo, 7, v89
	v_cndmask_b32_e64 v94, v108, v104, s4
	v_cndmask_b32_e64 v92, v92, v101, s9
	v_lshrrev_b32_e32 v108, 16, v101
	v_cndmask_b32_e64 v93, v93, v107, s8
	v_cndmask_b32_e32 v74, v74, v80, vcc_lo
	v_cndmask_b32_e64 v94, v94, v98, s7
	v_cndmask_b32_e32 v79, v79, v109, vcc_lo
	v_cndmask_b32_e64 v92, v92, v108, s10
	v_cndmask_b32_e64 v78, v78, v80, s27
	;; [unrolled: 1-line block ×4, first 2 shown]
	v_perm_b32 v94, v79, v74, 0x5040100
	v_cndmask_b32_e64 v79, v92, v102, s12
	v_perm_b32 v92, v95, v112, 0x5040100
	v_cndmask_b32_e64 v95, v99, v96, s5
	v_cndmask_b32_e64 v96, v99, v96, s21
	;; [unrolled: 1-line block ×16, first 2 shown]
	v_lshrrev_b32_e32 v109, 16, v105
	v_cndmask_b32_e64 v95, v95, v101, s20
	v_cndmask_b32_e64 v96, v96, v101, s26
	;; [unrolled: 1-line block ×6, first 2 shown]
	v_lshrrev_b32_e32 v80, 16, v102
	v_cndmask_b32_e64 v113, v93, v109, s10
	v_cndmask_b32_e64 v95, v95, v108, s22
	;; [unrolled: 1-line block ×6, first 2 shown]
	v_perm_b32 v93, v91, v78, 0x5040100
	v_cndmask_b32_e64 v74, v74, v102, s16
	v_cndmask_b32_e64 v78, v79, v80, s15
	v_cndmask_b32_e64 v79, v113, v106, s12
	v_lshrrev_b32_e32 v91, 16, v106
	v_cndmask_b32_e64 v95, v95, v102, s24
	v_cndmask_b32_e64 v96, v96, v102, s29
	;; [unrolled: 1-line block ×7, first 2 shown]
	v_cndmask_b32_e32 v80, v96, v80, vcc_lo
	v_cndmask_b32_e32 v96, v98, v91, vcc_lo
	v_cndmask_b32_e64 v99, v99, v91, s27
	v_cndmask_b32_e64 v100, v97, v91, s18
	;; [unrolled: 1-line block ×3, first 2 shown]
	v_perm_b32 v91, v111, v110, 0x5040100
	v_perm_b32 v98, v96, v80, 0x5040100
	;; [unrolled: 1-line block ×5, first 2 shown]
	s_mul_i32 s8, s35, 13
	s_mov_b32 s3, exec_lo
	ds_store_b128 v77, v[91:94]
	ds_store_b128 v77, v[95:98] offset:1024
	v_cmpx_gt_u32_e32 13, v0
	s_cbranch_execz .LBB702_80
; %bb.79:
	s_mul_i32 s4, s8, s30
	s_delay_alu instid0(SALU_CYCLE_1) | instskip(SKIP_1) | instid1(VALU_DEP_1)
	v_add3_u32 v77, s4, s31, v73
	s_load_b128 s[4:7], s[0:1], 0x58
	v_mad_u64_u32 v[73:74], null, v77, s34, s[14:15]
	s_delay_alu instid0(VALU_DEP_1) | instskip(NEXT) | instid1(VALU_DEP_1)
	v_ashrrev_i32_e32 v74, 31, v73
	v_lshlrev_b64 v[73:74], 2, v[73:74]
	s_waitcnt lgkmcnt(0)
	s_delay_alu instid0(VALU_DEP_1) | instskip(NEXT) | instid1(VALU_DEP_2)
	v_add_co_u32 v77, vcc_lo, s6, v73
	v_add_co_ci_u32_e32 v78, vcc_lo, s7, v74, vcc_lo
	v_add_co_u32 v73, vcc_lo, s4, v73
	v_add_co_ci_u32_e32 v74, vcc_lo, s5, v74, vcc_lo
	global_store_b32 v[77:78], v75, off
	global_store_b32 v[73:74], v76, off
.LBB702_80:
	s_or_b32 exec_lo, exec_lo, s3
	s_waitcnt lgkmcnt(0)
	s_waitcnt_vscnt null, 0x0
	s_barrier
	buffer_gl0_inv
	ds_load_b128 v[91:94], v85
	ds_load_b128 v[95:98], v85 offset:16
	ds_load_b128 v[103:106], v85 offset:1040
	;; [unrolled: 1-line block ×3, first 2 shown]
	v_mov_b32_e32 v73, 0
	ds_load_b128 v[111:114], v85 offset:2064
	ds_load_b128 v[107:110], v85 offset:2048
	;; [unrolled: 1-line block ×6, first 2 shown]
	v_mov_b32_e32 v74, v73
	v_mov_b32_e32 v75, v73
	;; [unrolled: 1-line block ×7, first 2 shown]
	s_waitcnt lgkmcnt(8)
	s_delay_alu instid0(VALU_DEP_1)
	v_wmma_f32_16x16x16_bf16 v[73:80], v[65:72], v[91:98], v[73:80]
	ds_load_b128 v[69:72], v85 offset:5136
	ds_load_b128 v[65:68], v85 offset:5120
	;; [unrolled: 1-line block ×4, first 2 shown]
	s_waitcnt lgkmcnt(10)
	v_wmma_f32_16x16x16_bf16 v[73:80], v[57:64], v[99:106], v[73:80]
	s_waitcnt lgkmcnt(8)
	s_delay_alu instid0(VALU_DEP_1)
	v_wmma_f32_16x16x16_bf16 v[73:80], v[57:64], v[107:114], v[73:80]
	ds_load_b128 v[61:64], v85 offset:7184
	ds_load_b128 v[57:60], v85 offset:7168
	;; [unrolled: 1-line block ×4, first 2 shown]
	s_waitcnt lgkmcnt(10)
	v_wmma_f32_16x16x16_bf16 v[73:80], v[49:56], v[115:122], v[73:80]
	s_waitcnt lgkmcnt(8)
	s_delay_alu instid0(VALU_DEP_1)
	v_wmma_f32_16x16x16_bf16 v[73:80], v[49:56], v[123:130], v[73:80]
	ds_load_b128 v[53:56], v85 offset:9232
	ds_load_b128 v[49:52], v85 offset:9216
	s_waitcnt lgkmcnt(8)
	v_wmma_f32_16x16x16_bf16 v[73:80], v[41:48], v[65:72], v[73:80]
	ds_load_b128 v[69:72], v85 offset:10256
	ds_load_b128 v[65:68], v85 offset:10240
	s_waitcnt lgkmcnt(8)
	;; [unrolled: 4-line block ×3, first 2 shown]
	v_wmma_f32_16x16x16_bf16 v[73:80], v[9:16], v[57:64], v[73:80]
	s_waitcnt lgkmcnt(6)
	s_delay_alu instid0(VALU_DEP_1)
	v_wmma_f32_16x16x16_bf16 v[73:80], v[9:16], v[99:106], v[73:80]
	ds_load_b128 v[13:16], v85 offset:12304
	ds_load_b128 v[9:12], v85 offset:12288
	s_waitcnt lgkmcnt(6)
	v_wmma_f32_16x16x16_bf16 v[73:80], v[1:8], v[49:56], v[73:80]
	ds_load_b128 v[53:56], v85 offset:13328
	ds_load_b128 v[49:52], v85 offset:13312
	s_waitcnt lgkmcnt(6)
	;; [unrolled: 4-line block ×4, first 2 shown]
	v_wmma_f32_16x16x16_bf16 v[73:80], v[33:40], v[9:16], v[73:80]
	s_waitcnt lgkmcnt(4)
	s_delay_alu instid0(VALU_DEP_1) | instskip(SKIP_1) | instid1(VALU_DEP_1)
	v_wmma_f32_16x16x16_bf16 v[73:80], v[25:32], v[49:56], v[73:80]
	s_waitcnt lgkmcnt(2)
	v_wmma_f32_16x16x16_bf16 v[73:80], v[25:32], v[1:8], v[73:80]
	s_waitcnt lgkmcnt(0)
	s_delay_alu instid0(VALU_DEP_1) | instskip(NEXT) | instid1(VALU_DEP_1)
	v_wmma_f32_16x16x16_bf16 v[73:80], v[17:24], v[41:48], v[73:80]
	v_and_b32_e32 v1, 0x7f800000, v73
	s_delay_alu instid0(VALU_DEP_1) | instskip(SKIP_1) | instid1(SALU_CYCLE_1)
	v_cmp_ne_u32_e32 vcc_lo, 0x7f800000, v1
                                        ; implicit-def: $vgpr1
	s_and_saveexec_b32 s3, vcc_lo
	s_xor_b32 s3, exec_lo, s3
; %bb.81:
	v_bfe_u32 v1, v73, 16, 1
	s_delay_alu instid0(VALU_DEP_1)
	v_add3_u32 v1, v73, v1, 0x7fff
; %bb.82:
	s_and_not1_saveexec_b32 s3, s3
; %bb.83:
	v_and_b32_e32 v1, 0xffff, v73
	v_or_b32_e32 v2, 0x10000, v73
	s_delay_alu instid0(VALU_DEP_2) | instskip(NEXT) | instid1(VALU_DEP_2)
	v_cmp_eq_u32_e32 vcc_lo, 0, v1
	v_cndmask_b32_e32 v1, v2, v73, vcc_lo
; %bb.84:
	s_or_b32 exec_lo, exec_lo, s3
	v_and_b32_e32 v2, 0x7f800000, v74
	s_delay_alu instid0(VALU_DEP_1) | instskip(SKIP_1) | instid1(SALU_CYCLE_1)
	v_cmp_ne_u32_e32 vcc_lo, 0x7f800000, v2
                                        ; implicit-def: $vgpr2
	s_and_saveexec_b32 s3, vcc_lo
	s_xor_b32 s3, exec_lo, s3
; %bb.85:
	v_bfe_u32 v2, v74, 16, 1
	s_delay_alu instid0(VALU_DEP_1)
	v_add3_u32 v2, v74, v2, 0x7fff
; %bb.86:
	s_and_not1_saveexec_b32 s3, s3
; %bb.87:
	v_and_b32_e32 v2, 0xffff, v74
	v_or_b32_e32 v3, 0x10000, v74
	s_delay_alu instid0(VALU_DEP_2) | instskip(NEXT) | instid1(VALU_DEP_2)
	v_cmp_eq_u32_e32 vcc_lo, 0, v2
	v_cndmask_b32_e32 v2, v3, v74, vcc_lo
; %bb.88:
	s_or_b32 exec_lo, exec_lo, s3
	v_and_b32_e32 v3, 0x7f800000, v75
	s_delay_alu instid0(VALU_DEP_1) | instskip(SKIP_1) | instid1(SALU_CYCLE_1)
	v_cmp_ne_u32_e32 vcc_lo, 0x7f800000, v3
                                        ; implicit-def: $vgpr3
	s_and_saveexec_b32 s3, vcc_lo
	s_xor_b32 s3, exec_lo, s3
; %bb.89:
	v_bfe_u32 v3, v75, 16, 1
	s_delay_alu instid0(VALU_DEP_1)
	v_add3_u32 v3, v75, v3, 0x7fff
; %bb.90:
	s_and_not1_saveexec_b32 s3, s3
; %bb.91:
	v_and_b32_e32 v3, 0xffff, v75
	v_or_b32_e32 v4, 0x10000, v75
	s_delay_alu instid0(VALU_DEP_2) | instskip(NEXT) | instid1(VALU_DEP_2)
	v_cmp_eq_u32_e32 vcc_lo, 0, v3
	v_cndmask_b32_e32 v3, v4, v75, vcc_lo
; %bb.92:
	s_or_b32 exec_lo, exec_lo, s3
	v_and_b32_e32 v4, 0x7f800000, v76
	s_delay_alu instid0(VALU_DEP_1) | instskip(SKIP_1) | instid1(SALU_CYCLE_1)
	v_cmp_ne_u32_e32 vcc_lo, 0x7f800000, v4
                                        ; implicit-def: $vgpr4
	s_and_saveexec_b32 s3, vcc_lo
	s_xor_b32 s3, exec_lo, s3
; %bb.93:
	v_bfe_u32 v4, v76, 16, 1
	s_delay_alu instid0(VALU_DEP_1)
	v_add3_u32 v4, v76, v4, 0x7fff
; %bb.94:
	s_and_not1_saveexec_b32 s3, s3
; %bb.95:
	v_and_b32_e32 v4, 0xffff, v76
	v_or_b32_e32 v5, 0x10000, v76
	s_delay_alu instid0(VALU_DEP_2) | instskip(NEXT) | instid1(VALU_DEP_2)
	v_cmp_eq_u32_e32 vcc_lo, 0, v4
	v_cndmask_b32_e32 v4, v5, v76, vcc_lo
; %bb.96:
	s_or_b32 exec_lo, exec_lo, s3
	v_and_b32_e32 v5, 0x7f800000, v77
	s_delay_alu instid0(VALU_DEP_1) | instskip(SKIP_1) | instid1(SALU_CYCLE_1)
	v_cmp_ne_u32_e32 vcc_lo, 0x7f800000, v5
                                        ; implicit-def: $vgpr5
	s_and_saveexec_b32 s3, vcc_lo
	s_xor_b32 s3, exec_lo, s3
; %bb.97:
	v_bfe_u32 v5, v77, 16, 1
	s_delay_alu instid0(VALU_DEP_1)
	v_add3_u32 v5, v77, v5, 0x7fff
; %bb.98:
	s_and_not1_saveexec_b32 s3, s3
; %bb.99:
	v_and_b32_e32 v5, 0xffff, v77
	v_or_b32_e32 v6, 0x10000, v77
	s_delay_alu instid0(VALU_DEP_2) | instskip(NEXT) | instid1(VALU_DEP_2)
	v_cmp_eq_u32_e32 vcc_lo, 0, v5
	v_cndmask_b32_e32 v5, v6, v77, vcc_lo
; %bb.100:
	s_or_b32 exec_lo, exec_lo, s3
	v_and_b32_e32 v6, 0x7f800000, v78
	s_delay_alu instid0(VALU_DEP_1) | instskip(SKIP_1) | instid1(SALU_CYCLE_1)
	v_cmp_ne_u32_e32 vcc_lo, 0x7f800000, v6
                                        ; implicit-def: $vgpr6
	s_and_saveexec_b32 s3, vcc_lo
	s_xor_b32 s3, exec_lo, s3
; %bb.101:
	v_bfe_u32 v6, v78, 16, 1
	s_delay_alu instid0(VALU_DEP_1)
	v_add3_u32 v6, v78, v6, 0x7fff
; %bb.102:
	s_and_not1_saveexec_b32 s3, s3
; %bb.103:
	v_and_b32_e32 v6, 0xffff, v78
	v_or_b32_e32 v7, 0x10000, v78
	s_delay_alu instid0(VALU_DEP_2) | instskip(NEXT) | instid1(VALU_DEP_2)
	v_cmp_eq_u32_e32 vcc_lo, 0, v6
	v_cndmask_b32_e32 v6, v7, v78, vcc_lo
; %bb.104:
	s_or_b32 exec_lo, exec_lo, s3
	v_and_b32_e32 v7, 0x7f800000, v79
	s_delay_alu instid0(VALU_DEP_1) | instskip(SKIP_1) | instid1(SALU_CYCLE_1)
	v_cmp_ne_u32_e32 vcc_lo, 0x7f800000, v7
                                        ; implicit-def: $vgpr7
	s_and_saveexec_b32 s3, vcc_lo
	s_xor_b32 s3, exec_lo, s3
; %bb.105:
	v_bfe_u32 v7, v79, 16, 1
	s_delay_alu instid0(VALU_DEP_1)
	v_add3_u32 v7, v79, v7, 0x7fff
; %bb.106:
	s_and_not1_saveexec_b32 s3, s3
; %bb.107:
	v_and_b32_e32 v7, 0xffff, v79
	v_or_b32_e32 v8, 0x10000, v79
	s_delay_alu instid0(VALU_DEP_2) | instskip(NEXT) | instid1(VALU_DEP_2)
	v_cmp_eq_u32_e32 vcc_lo, 0, v7
	v_cndmask_b32_e32 v7, v8, v79, vcc_lo
; %bb.108:
	s_or_b32 exec_lo, exec_lo, s3
	v_and_b32_e32 v8, 0x7f800000, v80
	s_delay_alu instid0(VALU_DEP_1) | instskip(SKIP_1) | instid1(SALU_CYCLE_1)
	v_cmp_ne_u32_e32 vcc_lo, 0x7f800000, v8
                                        ; implicit-def: $vgpr8
	s_and_saveexec_b32 s3, vcc_lo
	s_xor_b32 s3, exec_lo, s3
; %bb.109:
	v_bfe_u32 v8, v80, 16, 1
	s_delay_alu instid0(VALU_DEP_1)
	v_add3_u32 v8, v80, v8, 0x7fff
                                        ; implicit-def: $vgpr73_vgpr74_vgpr75_vgpr76_vgpr77_vgpr78_vgpr79_vgpr80
; %bb.110:
	s_and_not1_saveexec_b32 s3, s3
; %bb.111:
	v_and_b32_e32 v8, 0xffff, v80
	v_or_b32_e32 v9, 0x10000, v80
	s_delay_alu instid0(VALU_DEP_2) | instskip(NEXT) | instid1(VALU_DEP_2)
	v_cmp_eq_u32_e32 vcc_lo, 0, v8
	v_cndmask_b32_e32 v8, v9, v80, vcc_lo
; %bb.112:
	s_or_b32 exec_lo, exec_lo, s3
	s_delay_alu instid0(VALU_DEP_1)
	v_perm_b32 v7, v8, v7, 0x7060302
	v_perm_b32 v6, v6, v5, 0x7060302
	;; [unrolled: 1-line block ×4, first 2 shown]
	v_lshl_or_b32 v9, v83, 4, v90
	s_barrier
	buffer_gl0_inv
	v_cmp_eq_u32_e32 vcc_lo, 1, v87
	ds_store_b128 v9, v[4:7]
	s_waitcnt lgkmcnt(0)
	s_barrier
	buffer_gl0_inv
	ds_load_b128 v[1:4], v90
	ds_load_b128 v[5:8], v90 offset:16
	v_cmp_eq_u32_e64 s4, 2, v87
	v_cmp_eq_u32_e64 s3, 1, v88
	;; [unrolled: 1-line block ×5, first 2 shown]
	s_waitcnt lgkmcnt(1)
	v_lshrrev_b32_e32 v10, 16, v1
	s_waitcnt lgkmcnt(0)
	v_lshrrev_b32_e32 v14, 16, v5
	v_lshrrev_b32_e32 v15, 16, v6
	;; [unrolled: 1-line block ×4, first 2 shown]
	v_cndmask_b32_e64 v20, v1, v10, s3
	v_cndmask_b32_e32 v19, v5, v14, vcc_lo
	v_cndmask_b32_e64 v21, v5, v14, s3
	v_lshrrev_b32_e32 v16, 16, v7
	v_cmp_eq_u32_e64 s3, 1, v86
	v_lshrrev_b32_e32 v13, 16, v4
	v_cndmask_b32_e64 v19, v19, v6, s4
	v_lshrrev_b32_e32 v17, 16, v8
	s_delay_alu instid0(VALU_DEP_4) | instskip(SKIP_1) | instid1(VALU_DEP_4)
	v_cndmask_b32_e64 v22, v1, v10, s3
	v_cndmask_b32_e64 v23, v5, v14, s3
	;; [unrolled: 1-line block ×3, first 2 shown]
	v_cndmask_b32_e32 v18, v1, v10, vcc_lo
	v_cmp_eq_u32_e32 vcc_lo, 2, v88
	v_cmp_eq_u32_e64 s3, 2, v89
	v_cndmask_b32_e64 v22, v22, v2, s7
	v_cndmask_b32_e32 v20, v20, v2, vcc_lo
	v_cndmask_b32_e32 v21, v21, v6, vcc_lo
	v_cmp_eq_u32_e32 vcc_lo, 4, v87
	v_cndmask_b32_e32 v19, v19, v7, vcc_lo
	v_cndmask_b32_e64 v18, v18, v2, s4
	v_cmp_eq_u32_e64 s4, 3, v88
	s_delay_alu instid0(VALU_DEP_2) | instskip(NEXT) | instid1(VALU_DEP_2)
	v_cndmask_b32_e64 v18, v18, v11, s5
	v_cndmask_b32_e64 v21, v21, v15, s4
	v_cmp_eq_u32_e64 s5, 5, v87
	s_delay_alu instid0(VALU_DEP_3) | instskip(SKIP_1) | instid1(VALU_DEP_3)
	v_cndmask_b32_e32 v18, v18, v3, vcc_lo
	v_cmp_eq_u32_e32 vcc_lo, 4, v88
	v_cndmask_b32_e64 v19, v19, v16, s5
	s_delay_alu instid0(VALU_DEP_3) | instskip(SKIP_4) | instid1(VALU_DEP_3)
	v_cndmask_b32_e64 v18, v18, v12, s5
	v_cndmask_b32_e32 v21, v21, v7, vcc_lo
	v_cndmask_b32_e64 v20, v20, v11, s4
	v_cmp_eq_u32_e64 s4, 5, v88
	v_cmp_eq_u32_e64 s5, 6, v87
	v_cndmask_b32_e32 v20, v20, v3, vcc_lo
	s_delay_alu instid0(VALU_DEP_3) | instskip(SKIP_1) | instid1(VALU_DEP_4)
	v_cndmask_b32_e64 v21, v21, v16, s4
	v_cmp_eq_u32_e32 vcc_lo, 6, v88
	v_cndmask_b32_e64 v18, v18, v4, s5
	v_cndmask_b32_e64 v19, v19, v8, s5
	;; [unrolled: 1-line block ×3, first 2 shown]
	v_cmp_eq_u32_e64 s4, 1, v89
	v_cmp_eq_u32_e64 s5, 7, v87
	s_delay_alu instid0(VALU_DEP_3) | instskip(NEXT) | instid1(VALU_DEP_3)
	v_cndmask_b32_e32 v20, v20, v4, vcc_lo
	v_cndmask_b32_e64 v1, v1, v10, s4
	v_cndmask_b32_e64 v5, v5, v14, s4
	v_cmp_eq_u32_e64 s4, 3, v86
	v_cndmask_b32_e64 v14, v23, v6, s7
	v_cmp_eq_u32_e64 s7, 3, v89
	v_cndmask_b32_e64 v1, v1, v2, s3
	v_cndmask_b32_e64 v2, v5, v6, s3
	;; [unrolled: 1-line block ×3, first 2 shown]
	v_cmp_eq_u32_e64 s3, 4, v86
	v_cndmask_b32_e64 v6, v14, v15, s4
	v_cndmask_b32_e64 v1, v1, v11, s7
	v_cmp_eq_u32_e64 s4, 4, v89
	v_cndmask_b32_e64 v2, v2, v15, s7
	v_cndmask_b32_e64 v5, v10, v3, s3
	;; [unrolled: 3-line block ×3, first 2 shown]
	v_cndmask_b32_e64 v2, v2, v7, s4
	v_cmp_eq_u32_e64 s3, 5, v89
	v_cndmask_b32_e64 v5, v5, v12, s7
	v_cmp_eq_u32_e64 s4, 6, v86
	;; [unrolled: 2-line block ×3, first 2 shown]
	v_cndmask_b32_e64 v1, v1, v12, s3
	v_cndmask_b32_e64 v2, v2, v16, s3
	;; [unrolled: 1-line block ×4, first 2 shown]
	v_cmp_eq_u32_e64 s3, 7, v89
	v_cndmask_b32_e64 v1, v1, v4, s7
	v_cndmask_b32_e64 v2, v2, v8, s7
	v_cmp_eq_u32_e64 s4, 7, v86
	v_cndmask_b32_e32 v4, v21, v8, vcc_lo
	v_cndmask_b32_e64 v18, v18, v13, s5
	v_cndmask_b32_e64 v20, v20, v13, s6
	;; [unrolled: 1-line block ×8, first 2 shown]
	s_mov_b32 s3, exec_lo
	v_perm_b32 v4, v2, v1, 0x5040100
	v_perm_b32 v3, v3, v5, 0x5040100
	;; [unrolled: 1-line block ×4, first 2 shown]
	ds_store_b128 v9, v[1:4]
	s_waitcnt lgkmcnt(0)
	s_barrier
	buffer_gl0_inv
	v_cmpx_gt_u32_e32 32, v0
	s_cbranch_execz .LBB702_2
; %bb.113:
	s_load_b64 s[4:5], s[0:1], 0x68
	v_lshlrev_b32_e32 v0, 10, v0
	v_lshlrev_b32_e32 v1, 4, v84
	s_lshl_b32 s0, s34, 7
	v_add_nc_u32_e32 v18, s31, v83
	s_mul_i32 s1, s0, s30
	s_delay_alu instid0(VALU_DEP_2) | instskip(SKIP_1) | instid1(VALU_DEP_2)
	v_and_or_b32 v0, 0x3800, v0, v1
	s_mul_i32 s6, s1, s8
	v_mul_lo_u32 v1, v18, s0
	s_ashr_i32 s7, s6, 31
	v_add_nc_u32_e32 v2, 2, v18
	v_lshl_or_b32 v19, v83, 6, v0
	s_lshl_b64 s[6:7], s[6:7], 1
	v_add_nc_u32_e32 v8, 4, v18
	v_add_nc_u32_e32 v15, 6, v18
	v_mul_lo_u32 v7, v2, s0
	ds_load_b128 v[3:6], v19
	v_ashrrev_i32_e32 v2, 31, v1
	v_mul_lo_u32 v11, v8, s0
	s_waitcnt lgkmcnt(0)
	s_add_u32 s1, s4, s6
	s_addc_u32 s3, s5, s7
	s_lshl_b32 s4, s14, 7
	v_lshlrev_b64 v[9:10], 1, v[1:2]
	s_ashr_i32 s5, s4, 31
	v_ashrrev_i32_e32 v8, 31, v7
	s_lshl_b64 s[4:5], s[4:5], 1
	v_ashrrev_i32_e32 v12, 31, v11
	s_add_u32 s1, s1, s4
	s_addc_u32 s3, s3, s5
	v_add_co_u32 v1, vcc_lo, s1, v81
	v_add_co_ci_u32_e32 v2, vcc_lo, s3, v82, vcc_lo
	v_mul_lo_u32 v15, v15, s0
	s_delay_alu instid0(VALU_DEP_3) | instskip(NEXT) | instid1(VALU_DEP_3)
	v_add_co_u32 v13, vcc_lo, v1, v9
	v_add_co_ci_u32_e32 v14, vcc_lo, v2, v10, vcc_lo
	v_lshlrev_b64 v[16:17], 1, v[7:8]
	ds_load_b128 v[7:10], v19 offset:128
	global_store_b128 v[13:14], v[3:6], off
	v_add_nc_u32_e32 v5, 8, v18
	v_lshlrev_b64 v[3:4], 1, v[11:12]
	v_add_co_u32 v23, vcc_lo, v1, v16
	v_ashrrev_i32_e32 v16, 31, v15
	s_delay_alu instid0(VALU_DEP_4) | instskip(SKIP_3) | instid1(VALU_DEP_3)
	v_mul_lo_u32 v25, v5, s0
	v_add_nc_u32_e32 v5, 10, v18
	v_add_co_ci_u32_e32 v24, vcc_lo, v2, v17, vcc_lo
	v_add_co_u32 v27, vcc_lo, v1, v3
	v_mul_lo_u32 v29, v5, s0
	v_add_co_ci_u32_e32 v28, vcc_lo, v2, v4, vcc_lo
	v_lshlrev_b64 v[31:32], 1, v[15:16]
	ds_load_b128 v[3:6], v19 offset:256
	ds_load_b128 v[11:14], v19 offset:384
	;; [unrolled: 1-line block ×4, first 2 shown]
	v_ashrrev_i32_e32 v26, 31, v25
	v_ashrrev_i32_e32 v30, 31, v29
	v_add_co_u32 v31, vcc_lo, v1, v31
	s_delay_alu instid0(VALU_DEP_3) | instskip(SKIP_1) | instid1(VALU_DEP_4)
	v_lshlrev_b64 v[25:26], 1, v[25:26]
	v_add_co_ci_u32_e32 v32, vcc_lo, v2, v32, vcc_lo
	v_lshlrev_b64 v[29:30], 1, v[29:30]
	s_delay_alu instid0(VALU_DEP_3) | instskip(NEXT) | instid1(VALU_DEP_4)
	v_add_co_u32 v25, vcc_lo, v1, v25
	v_add_co_ci_u32_e32 v26, vcc_lo, v2, v26, vcc_lo
	s_delay_alu instid0(VALU_DEP_3) | instskip(NEXT) | instid1(VALU_DEP_4)
	v_add_co_u32 v29, vcc_lo, v1, v29
	v_add_co_ci_u32_e32 v30, vcc_lo, v2, v30, vcc_lo
	s_waitcnt lgkmcnt(4)
	global_store_b128 v[23:24], v[7:10], off
	s_waitcnt lgkmcnt(3)
	global_store_b128 v[27:28], v[3:6], off
	s_waitcnt lgkmcnt(2)
	global_store_b128 v[31:32], v[11:14], off
	s_waitcnt lgkmcnt(1)
	global_store_b128 v[25:26], v[15:18], off
	s_waitcnt lgkmcnt(0)
	global_store_b128 v[29:30], v[19:22], off
	s_and_b32 exec_lo, exec_lo, s2
	s_cbranch_execz .LBB702_2
; %bb.114:
	ds_load_b128 v[3:6], v0 offset:768
	s_add_i32 s1, s31, 12
	s_delay_alu instid0(SALU_CYCLE_1) | instskip(NEXT) | instid1(SALU_CYCLE_1)
	s_mul_i32 s0, s1, s0
	s_ashr_i32 s1, s0, 31
	s_delay_alu instid0(SALU_CYCLE_1) | instskip(NEXT) | instid1(SALU_CYCLE_1)
	s_lshl_b64 s[0:1], s[0:1], 1
	v_add_co_u32 v0, vcc_lo, v1, s0
	v_add_co_ci_u32_e32 v1, vcc_lo, s1, v2, vcc_lo
	s_waitcnt lgkmcnt(0)
	global_store_b128 v[0:1], v[3:6], off
	s_nop 0
	s_sendmsg sendmsg(MSG_DEALLOC_VGPRS)
	s_endpgm
	.section	.rodata,"a",@progbits
	.p2align	6, 0x0
	.amdhsa_kernel _Z39paged_attention_ll4mi_QKV_mfma16_kernelI14__hip_bfloat16S0_LN4vllm18Fp8KVCacheDataTypeE0EhLi32ELi128ELi256ELb1ELi13EL8MFMAType0EEvPKT_PKT0_S9_ifPKiSB_SB_iPKfiiiPfSE_PS4_PT2_iSD_SD_
		.amdhsa_group_segment_fixed_size 17472
		.amdhsa_private_segment_fixed_size 0
		.amdhsa_kernarg_size 400
		.amdhsa_user_sgpr_count 13
		.amdhsa_user_sgpr_dispatch_ptr 0
		.amdhsa_user_sgpr_queue_ptr 0
		.amdhsa_user_sgpr_kernarg_segment_ptr 1
		.amdhsa_user_sgpr_dispatch_id 0
		.amdhsa_user_sgpr_private_segment_size 0
		.amdhsa_wavefront_size32 1
		.amdhsa_uses_dynamic_stack 0
		.amdhsa_enable_private_segment 0
		.amdhsa_system_sgpr_workgroup_id_x 1
		.amdhsa_system_sgpr_workgroup_id_y 1
		.amdhsa_system_sgpr_workgroup_id_z 1
		.amdhsa_system_sgpr_workgroup_info 0
		.amdhsa_system_vgpr_workitem_id 0
		.amdhsa_next_free_vgpr 157
		.amdhsa_next_free_sgpr 38
		.amdhsa_reserve_vcc 1
		.amdhsa_float_round_mode_32 0
		.amdhsa_float_round_mode_16_64 0
		.amdhsa_float_denorm_mode_32 3
		.amdhsa_float_denorm_mode_16_64 3
		.amdhsa_dx10_clamp 1
		.amdhsa_ieee_mode 1
		.amdhsa_fp16_overflow 0
		.amdhsa_workgroup_processor_mode 1
		.amdhsa_memory_ordered 1
		.amdhsa_forward_progress 0
		.amdhsa_shared_vgpr_count 0
		.amdhsa_exception_fp_ieee_invalid_op 0
		.amdhsa_exception_fp_denorm_src 0
		.amdhsa_exception_fp_ieee_div_zero 0
		.amdhsa_exception_fp_ieee_overflow 0
		.amdhsa_exception_fp_ieee_underflow 0
		.amdhsa_exception_fp_ieee_inexact 0
		.amdhsa_exception_int_div_zero 0
	.end_amdhsa_kernel
	.section	.text._Z39paged_attention_ll4mi_QKV_mfma16_kernelI14__hip_bfloat16S0_LN4vllm18Fp8KVCacheDataTypeE0EhLi32ELi128ELi256ELb1ELi13EL8MFMAType0EEvPKT_PKT0_S9_ifPKiSB_SB_iPKfiiiPfSE_PS4_PT2_iSD_SD_,"axG",@progbits,_Z39paged_attention_ll4mi_QKV_mfma16_kernelI14__hip_bfloat16S0_LN4vllm18Fp8KVCacheDataTypeE0EhLi32ELi128ELi256ELb1ELi13EL8MFMAType0EEvPKT_PKT0_S9_ifPKiSB_SB_iPKfiiiPfSE_PS4_PT2_iSD_SD_,comdat
.Lfunc_end702:
	.size	_Z39paged_attention_ll4mi_QKV_mfma16_kernelI14__hip_bfloat16S0_LN4vllm18Fp8KVCacheDataTypeE0EhLi32ELi128ELi256ELb1ELi13EL8MFMAType0EEvPKT_PKT0_S9_ifPKiSB_SB_iPKfiiiPfSE_PS4_PT2_iSD_SD_, .Lfunc_end702-_Z39paged_attention_ll4mi_QKV_mfma16_kernelI14__hip_bfloat16S0_LN4vllm18Fp8KVCacheDataTypeE0EhLi32ELi128ELi256ELb1ELi13EL8MFMAType0EEvPKT_PKT0_S9_ifPKiSB_SB_iPKfiiiPfSE_PS4_PT2_iSD_SD_
                                        ; -- End function
	.section	.AMDGPU.csdata,"",@progbits
; Kernel info:
; codeLenInByte = 9960
; NumSgprs: 40
; NumVgprs: 157
; ScratchSize: 0
; MemoryBound: 0
; FloatMode: 240
; IeeeMode: 1
; LDSByteSize: 17472 bytes/workgroup (compile time only)
; SGPRBlocks: 4
; VGPRBlocks: 19
; NumSGPRsForWavesPerEU: 40
; NumVGPRsForWavesPerEU: 157
; Occupancy: 9
; WaveLimiterHint : 1
; COMPUTE_PGM_RSRC2:SCRATCH_EN: 0
; COMPUTE_PGM_RSRC2:USER_SGPR: 13
; COMPUTE_PGM_RSRC2:TRAP_HANDLER: 0
; COMPUTE_PGM_RSRC2:TGID_X_EN: 1
; COMPUTE_PGM_RSRC2:TGID_Y_EN: 1
; COMPUTE_PGM_RSRC2:TGID_Z_EN: 1
; COMPUTE_PGM_RSRC2:TIDIG_COMP_CNT: 0
	.section	.text._Z39paged_attention_ll4mi_QKV_mfma16_kernelI14__hip_bfloat16S0_LN4vllm18Fp8KVCacheDataTypeE0EhLi32ELi128ELi256ELb1ELi14EL8MFMAType0EEvPKT_PKT0_S9_ifPKiSB_SB_iPKfiiiPfSE_PS4_PT2_iSD_SD_,"axG",@progbits,_Z39paged_attention_ll4mi_QKV_mfma16_kernelI14__hip_bfloat16S0_LN4vllm18Fp8KVCacheDataTypeE0EhLi32ELi128ELi256ELb1ELi14EL8MFMAType0EEvPKT_PKT0_S9_ifPKiSB_SB_iPKfiiiPfSE_PS4_PT2_iSD_SD_,comdat
	.protected	_Z39paged_attention_ll4mi_QKV_mfma16_kernelI14__hip_bfloat16S0_LN4vllm18Fp8KVCacheDataTypeE0EhLi32ELi128ELi256ELb1ELi14EL8MFMAType0EEvPKT_PKT0_S9_ifPKiSB_SB_iPKfiiiPfSE_PS4_PT2_iSD_SD_ ; -- Begin function _Z39paged_attention_ll4mi_QKV_mfma16_kernelI14__hip_bfloat16S0_LN4vllm18Fp8KVCacheDataTypeE0EhLi32ELi128ELi256ELb1ELi14EL8MFMAType0EEvPKT_PKT0_S9_ifPKiSB_SB_iPKfiiiPfSE_PS4_PT2_iSD_SD_
	.globl	_Z39paged_attention_ll4mi_QKV_mfma16_kernelI14__hip_bfloat16S0_LN4vllm18Fp8KVCacheDataTypeE0EhLi32ELi128ELi256ELb1ELi14EL8MFMAType0EEvPKT_PKT0_S9_ifPKiSB_SB_iPKfiiiPfSE_PS4_PT2_iSD_SD_
	.p2align	8
	.type	_Z39paged_attention_ll4mi_QKV_mfma16_kernelI14__hip_bfloat16S0_LN4vllm18Fp8KVCacheDataTypeE0EhLi32ELi128ELi256ELb1ELi14EL8MFMAType0EEvPKT_PKT0_S9_ifPKiSB_SB_iPKfiiiPfSE_PS4_PT2_iSD_SD_,@function
_Z39paged_attention_ll4mi_QKV_mfma16_kernelI14__hip_bfloat16S0_LN4vllm18Fp8KVCacheDataTypeE0EhLi32ELi128ELi256ELb1ELi14EL8MFMAType0EEvPKT_PKT0_S9_ifPKiSB_SB_iPKfiiiPfSE_PS4_PT2_iSD_SD_: ; @_Z39paged_attention_ll4mi_QKV_mfma16_kernelI14__hip_bfloat16S0_LN4vllm18Fp8KVCacheDataTypeE0EhLi32ELi128ELi256ELb1ELi14EL8MFMAType0EEvPKT_PKT0_S9_ifPKiSB_SB_iPKfiiiPfSE_PS4_PT2_iSD_SD_
; %bb.0:
	s_load_b64 s[2:3], s[0:1], 0x30
	s_mov_b32 s30, s13
	s_waitcnt lgkmcnt(0)
	s_cmp_lg_u64 s[2:3], 0
	s_cselect_b32 s6, -1, 0
	s_ashr_i32 s31, s13, 31
	s_cmp_eq_u64 s[2:3], 0
	s_cbranch_scc1 .LBB703_3
; %bb.1:
	s_lshl_b64 s[4:5], s[30:31], 2
	s_delay_alu instid0(SALU_CYCLE_1) | instskip(SKIP_4) | instid1(SALU_CYCLE_1)
	s_add_u32 s4, s2, s4
	s_addc_u32 s5, s3, s5
	s_load_b64 s[4:5], s[4:5], 0x0
	s_waitcnt lgkmcnt(0)
	s_sub_i32 s4, s5, s4
	s_cmp_eq_u32 s4, 1
	s_cselect_b32 s4, -1, 0
	s_delay_alu instid0(SALU_CYCLE_1)
	s_and_not1_b32 vcc_lo, exec_lo, s4
	s_cbranch_vccz .LBB703_4
.LBB703_2:
	s_endpgm
.LBB703_3:
.LBB703_4:
	s_load_b64 s[8:9], s[0:1], 0x28
	s_lshl_b64 s[4:5], s[30:31], 2
	s_waitcnt lgkmcnt(0)
	s_add_u32 s8, s8, s4
	s_addc_u32 s9, s9, s5
	s_lshl_b32 s12, s14, 8
	s_load_b32 s17, s[8:9], 0x0
	s_waitcnt lgkmcnt(0)
	s_cmp_ge_i32 s12, s17
	s_cbranch_scc1 .LBB703_2
; %bb.5:
	s_and_not1_b32 vcc_lo, exec_lo, s6
	s_cbranch_vccnz .LBB703_7
; %bb.6:
	s_add_u32 s2, s2, s4
	s_addc_u32 s3, s3, s5
	s_load_b32 s13, s[2:3], 0x0
	s_branch .LBB703_8
.LBB703_7:
	s_mov_b32 s13, s30
.LBB703_8:
	s_clause 0x2
	s_load_b128 s[8:11], s[0:1], 0x8
	s_load_b64 s[2:3], s[0:1], 0x20
	s_load_b128 s[4:7], s[0:1], 0x48
	v_and_b32_e32 v73, 15, v0
	s_waitcnt lgkmcnt(0)
	s_mov_b32 s7, exec_lo
	s_delay_alu instid0(VALU_DEP_1)
	v_lshlrev_b32_e32 v1, 3, v73
	v_cmpx_lt_u32_e32 0xdf, v0
	s_xor_b32 s7, exec_lo, s7
; %bb.9:
	v_mov_b32_e32 v2, 0
; %bb.10:
	s_or_saveexec_b32 s7, s7
	v_lshrrev_b32_e32 v74, 5, v0
	v_and_b32_e32 v75, 31, v0
	v_and_b32_e32 v84, 1, v0
	v_bfe_u32 v83, v0, 4, 1
	s_mul_i32 s29, s15, 14
	s_xor_b32 exec_lo, exec_lo, s7
	s_cbranch_execz .LBB703_12
; %bb.11:
	s_load_b64 s[18:19], s[0:1], 0x0
	v_lshl_or_b32 v7, v74, 1, v83
	s_mul_hi_i32 s21, s13, s4
	s_mul_i32 s20, s13, s4
	v_lshlrev_b32_e32 v4, 1, v1
	s_lshl_b64 s[20:21], s[20:21], 1
	v_add_lshl_u32 v2, v7, s29, 7
	v_lshlrev_b32_e32 v7, 6, v7
	v_lshlrev_b32_e32 v8, 10, v84
	s_delay_alu instid0(VALU_DEP_3) | instskip(NEXT) | instid1(VALU_DEP_1)
	v_ashrrev_i32_e32 v3, 31, v2
	v_lshlrev_b64 v[2:3], 1, v[2:3]
	s_waitcnt lgkmcnt(0)
	s_add_u32 s4, s18, s20
	s_addc_u32 s13, s19, s21
	s_delay_alu instid0(VALU_DEP_1) | instskip(NEXT) | instid1(VALU_DEP_2)
	v_add_co_u32 v2, vcc_lo, s4, v2
	v_add_co_ci_u32_e32 v3, vcc_lo, s13, v3, vcc_lo
	s_delay_alu instid0(VALU_DEP_2) | instskip(NEXT) | instid1(VALU_DEP_2)
	v_add_co_u32 v2, vcc_lo, v2, v4
	v_add_co_ci_u32_e32 v3, vcc_lo, 0, v3, vcc_lo
	global_load_b128 v[3:6], v[2:3], off
	v_lshlrev_b32_e32 v2, 10, v73
	s_delay_alu instid0(VALU_DEP_1) | instskip(NEXT) | instid1(VALU_DEP_1)
	v_and_b32_e32 v2, 0x3800, v2
	v_or3_b32 v7, v2, v8, v7
	v_mov_b32_e32 v2, 0
	s_waitcnt vmcnt(0)
	ds_store_b128 v7, v[3:6]
.LBB703_12:
	s_or_b32 exec_lo, exec_lo, s7
	v_add_nc_u32_e32 v80, -14, v73
	v_and_b32_e32 v3, 0xef, v0
	s_add_i32 s4, s17, 31
	s_clause 0x1
	s_load_b32 s7, s[0:1], 0x38
	s_load_b32 s18, s[0:1], 0x1c
	s_ashr_i32 s13, s4, 31
	v_add_nc_u32_e32 v3, s12, v3
	s_lshr_b32 s13, s13, 27
	s_waitcnt lgkmcnt(0)
	s_add_i32 s4, s4, s13
	s_barrier
	v_ashrrev_i32_e32 v4, 31, v3
	v_cmp_gt_i32_e32 vcc_lo, s17, v3
	s_ashr_i32 s4, s4, 5
	buffer_gl0_inv
	s_add_i32 s4, s4, -1
	v_lshrrev_b32_e32 v5, 27, v4
	v_or_b32_e32 v4, 16, v3
	v_lshlrev_b64 v[81:82], 1, v[1:2]
	s_delay_alu instid0(VALU_DEP_3) | instskip(NEXT) | instid1(VALU_DEP_3)
	v_add_nc_u32_e32 v6, v3, v5
	v_add_nc_u32_e32 v5, v4, v5
	s_mul_i32 s20, s30, s7
	s_delay_alu instid0(SALU_CYCLE_1) | instskip(NEXT) | instid1(VALU_DEP_2)
	s_ashr_i32 s21, s20, 31
	v_ashrrev_i32_e32 v6, 5, v6
	s_delay_alu instid0(VALU_DEP_2) | instskip(SKIP_1) | instid1(SALU_CYCLE_1)
	v_ashrrev_i32_e32 v5, 5, v5
	s_lshl_b64 s[20:21], s[20:21], 2
	s_add_u32 s7, s2, s20
	s_delay_alu instid0(VALU_DEP_2) | instskip(SKIP_3) | instid1(VALU_DEP_2)
	v_cndmask_b32_e32 v3, s4, v6, vcc_lo
	v_cmp_gt_i32_e32 vcc_lo, s17, v4
	s_addc_u32 s13, s3, s21
	s_mul_i32 s2, s15, s6
	v_ashrrev_i32_e32 v4, 31, v3
	v_cndmask_b32_e32 v5, s4, v5, vcc_lo
	s_ashr_i32 s3, s2, 31
	s_delay_alu instid0(SALU_CYCLE_1) | instskip(NEXT) | instid1(VALU_DEP_2)
	s_lshl_b64 s[2:3], s[2:3], 1
	v_lshlrev_b64 v[3:4], 2, v[3:4]
	s_delay_alu instid0(VALU_DEP_2) | instskip(SKIP_3) | instid1(VALU_DEP_1)
	v_ashrrev_i32_e32 v6, 31, v5
	s_add_u32 s6, s8, s2
	s_addc_u32 s15, s9, s3
	s_lshl_b32 s8, s14, 3
	v_lshlrev_b64 v[5:6], 2, v[5:6]
	v_add_co_u32 v3, vcc_lo, s7, v3
	v_add_co_ci_u32_e32 v4, vcc_lo, s13, v4, vcc_lo
	s_ashr_i32 s9, s8, 31
	s_delay_alu instid0(VALU_DEP_3) | instskip(NEXT) | instid1(VALU_DEP_4)
	v_add_co_u32 v5, vcc_lo, s7, v5
	v_add_co_ci_u32_e32 v6, vcc_lo, s13, v6, vcc_lo
	s_clause 0x1
	global_load_b32 v7, v[3:4], off
	global_load_b32 v8, v[5:6], off
	s_lshl_b64 s[8:9], s[8:9], 2
	s_delay_alu instid0(SALU_CYCLE_1) | instskip(SKIP_2) | instid1(SALU_CYCLE_1)
	s_add_u32 s8, s7, s8
	s_addc_u32 s9, s13, s9
	s_or_b32 s16, s12, 32
	s_ashr_i32 s19, s16, 5
	s_cmp_lt_i32 s16, s17
	s_cselect_b32 s20, s19, s4
	s_delay_alu instid0(SALU_CYCLE_1) | instskip(NEXT) | instid1(SALU_CYCLE_1)
	s_ashr_i32 s21, s20, 31
	s_lshl_b64 s[20:21], s[20:21], 2
	s_delay_alu instid0(SALU_CYCLE_1) | instskip(SKIP_2) | instid1(SALU_CYCLE_1)
	s_add_u32 s20, s7, s20
	s_addc_u32 s21, s13, s21
	s_or_b32 s16, s12, 64
	s_ashr_i32 s19, s16, 5
	s_cmp_lt_i32 s16, s17
	s_cselect_b32 s22, s19, s4
	s_delay_alu instid0(SALU_CYCLE_1) | instskip(NEXT) | instid1(SALU_CYCLE_1)
	s_ashr_i32 s23, s22, 31
	;; [unrolled: 10-line block ×5, first 2 shown]
	s_lshl_b64 s[34:35], s[34:35], 2
	s_delay_alu instid0(SALU_CYCLE_1)
	s_add_u32 s34, s7, s34
	s_addc_u32 s35, s13, s35
	s_clause 0x5
	s_load_b32 s16, s[8:9], 0x0
	s_load_b32 s19, s[20:21], 0x0
	;; [unrolled: 1-line block ×6, first 2 shown]
	s_mov_b32 s20, 0
	s_delay_alu instid0(SALU_CYCLE_1)
	s_mov_b32 s27, s20
	s_mov_b32 s24, s20
	;; [unrolled: 1-line block ×7, first 2 shown]
	v_dual_mov_b32 v108, s27 :: v_dual_mov_b32 v105, s24
	v_dual_mov_b32 v107, s26 :: v_dual_mov_b32 v106, s25
	v_dual_mov_b32 v104, s23 :: v_dual_mov_b32 v103, s22
	v_dual_mov_b32 v102, s21 :: v_dual_mov_b32 v101, s20
	s_waitcnt lgkmcnt(0)
	s_mul_hi_i32 s21, s16, s5
	s_mul_i32 s20, s16, s5
	s_mul_hi_i32 s23, s19, s5
	s_mul_i32 s22, s19, s5
	;; [unrolled: 2-line block ×5, first 2 shown]
	s_waitcnt vmcnt(1)
	v_mad_i64_i32 v[3:4], null, v7, s5, 0
	s_waitcnt vmcnt(0)
	v_mad_i64_i32 v[5:6], null, v8, s5, 0
	s_delay_alu instid0(VALU_DEP_2) | instskip(NEXT) | instid1(VALU_DEP_2)
	v_lshlrev_b64 v[3:4], 1, v[3:4]
	v_lshlrev_b64 v[1:2], 1, v[5:6]
	s_delay_alu instid0(VALU_DEP_2) | instskip(NEXT) | instid1(VALU_DEP_3)
	v_add_co_u32 v3, vcc_lo, s6, v3
	v_add_co_ci_u32_e32 v4, vcc_lo, s15, v4, vcc_lo
	s_delay_alu instid0(VALU_DEP_3) | instskip(NEXT) | instid1(VALU_DEP_4)
	v_add_co_u32 v1, vcc_lo, s6, v1
	v_add_co_ci_u32_e32 v2, vcc_lo, s15, v2, vcc_lo
	s_delay_alu instid0(VALU_DEP_4) | instskip(NEXT) | instid1(VALU_DEP_4)
	v_add_co_u32 v65, vcc_lo, v3, v81
	v_add_co_ci_u32_e32 v66, vcc_lo, v4, v82, vcc_lo
	s_delay_alu instid0(VALU_DEP_4) | instskip(NEXT) | instid1(VALU_DEP_4)
	v_add_co_u32 v76, vcc_lo, v1, v81
	v_add_co_ci_u32_e32 v77, vcc_lo, v2, v82, vcc_lo
	s_clause 0xf
	global_load_b128 v[1:4], v[65:66], off
	global_load_b128 v[5:8], v[65:66], off offset:512
	global_load_b128 v[9:12], v[76:77], off offset:256
	;; [unrolled: 1-line block ×15, first 2 shown]
	v_add_co_u32 v78, vcc_lo, 0x1000, v65
	v_add_co_ci_u32_e32 v79, vcc_lo, 0, v66, vcc_lo
	v_cmp_gt_u32_e32 vcc_lo, 14, v73
	s_clause 0x1
	global_load_b128 v[65:68], v[78:79], off
	global_load_b128 v[69:72], v[78:79], off offset:512
	s_or_b32 s6, s12, 0xc0
	v_cndmask_b32_e32 v80, v80, v73, vcc_lo
	v_add_co_u32 v76, vcc_lo, 0x1000, v76
	v_add_co_ci_u32_e32 v77, vcc_lo, 0, v77, vcc_lo
	s_delay_alu instid0(VALU_DEP_3)
	v_lshlrev_b32_e32 v80, 6, v80
	ds_load_b128 v[85:88], v80
	ds_load_b128 v[89:92], v80 offset:1024
	s_clause 0x1
	global_load_b128 v[93:96], v[76:77], off offset:256
	global_load_b128 v[97:100], v[76:77], off offset:768
	ds_load_b128 v[109:112], v80 offset:2048
	ds_load_b128 v[113:116], v80 offset:3072
	s_ashr_i32 s8, s6, 5
	s_cmp_lt_i32 s6, s17
	s_cselect_b32 s8, s8, s4
	s_delay_alu instid0(SALU_CYCLE_1) | instskip(NEXT) | instid1(SALU_CYCLE_1)
	s_ashr_i32 s9, s8, 31
	s_lshl_b64 s[8:9], s[8:9], 2
	s_delay_alu instid0(SALU_CYCLE_1) | instskip(SKIP_2) | instid1(SALU_CYCLE_1)
	s_add_u32 s8, s7, s8
	s_addc_u32 s9, s13, s9
	s_or_b32 s6, s12, 0xe0
	s_ashr_i32 s15, s6, 5
	s_cmp_lt_i32 s6, s17
	s_cselect_b32 s24, s15, s4
	s_delay_alu instid0(SALU_CYCLE_1) | instskip(NEXT) | instid1(SALU_CYCLE_1)
	s_ashr_i32 s25, s24, 31
	s_lshl_b64 s[24:25], s[24:25], 2
	s_delay_alu instid0(SALU_CYCLE_1) | instskip(SKIP_2) | instid1(SALU_CYCLE_1)
	s_add_u32 s24, s7, s24
	s_addc_u32 s25, s13, s25
	s_add_i32 s6, s12, 0x100
	s_ashr_i32 s15, s6, 5
	s_cmp_lt_i32 s6, s17
	s_cselect_b32 s36, s15, s4
	s_delay_alu instid0(SALU_CYCLE_1) | instskip(NEXT) | instid1(SALU_CYCLE_1)
	s_ashr_i32 s37, s36, 31
	s_lshl_b64 s[36:37], s[36:37], 2
	s_delay_alu instid0(SALU_CYCLE_1)
	s_add_u32 s6, s7, s36
	s_addc_u32 s7, s13, s37
	s_add_u32 s4, s10, s2
	s_addc_u32 s19, s11, s3
	s_lshl_b64 s[2:3], s[20:21], 1
	s_lshl_b64 s[10:11], s[26:27], 1
	;; [unrolled: 1-line block ×3, first 2 shown]
	s_waitcnt vmcnt(18) lgkmcnt(2)
	v_wmma_f32_16x16x16_bf16 v[117:124], v[1:8], v[85:92], v[101:108]
	s_waitcnt vmcnt(16)
	v_wmma_f32_16x16x16_bf16 v[101:108], v[9:16], v[85:92], v[101:108]
	s_clause 0x3
	global_load_b128 v[1:4], v[78:79], off offset:1024
	global_load_b128 v[5:8], v[78:79], off offset:1536
	;; [unrolled: 1-line block ×4, first 2 shown]
	s_waitcnt vmcnt(18) lgkmcnt(0)
	v_wmma_f32_16x16x16_bf16 v[117:124], v[17:24], v[109:116], v[117:124]
	s_clause 0x1
	global_load_b128 v[17:20], v[78:79], off offset:2048
	global_load_b128 v[21:24], v[78:79], off offset:2560
	s_waitcnt vmcnt(18)
	v_wmma_f32_16x16x16_bf16 v[101:108], v[25:32], v[109:116], v[101:108]
	ds_load_b128 v[25:28], v80 offset:4096
	ds_load_b128 v[29:32], v80 offset:5120
	s_clause 0x5
	global_load_b128 v[109:112], v[76:77], off offset:2304
	global_load_b128 v[113:116], v[76:77], off offset:2816
	;; [unrolled: 1-line block ×6, first 2 shown]
	s_waitcnt vmcnt(22) lgkmcnt(0)
	v_wmma_f32_16x16x16_bf16 v[117:124], v[33:40], v[25:32], v[117:124]
	s_waitcnt vmcnt(20)
	v_wmma_f32_16x16x16_bf16 v[101:108], v[41:48], v[25:32], v[101:108]
	ds_load_b128 v[25:28], v80 offset:6144
	ds_load_b128 v[29:32], v80 offset:7168
	;; [unrolled: 1-line block ×4, first 2 shown]
	s_waitcnt vmcnt(18) lgkmcnt(2)
	v_wmma_f32_16x16x16_bf16 v[117:124], v[49:56], v[25:32], v[117:124]
	s_waitcnt vmcnt(16)
	v_wmma_f32_16x16x16_bf16 v[101:108], v[57:64], v[25:32], v[101:108]
	ds_load_b128 v[25:28], v80 offset:10240
	ds_load_b128 v[29:32], v80 offset:11264
	;; [unrolled: 1-line block ×6, first 2 shown]
	s_waitcnt vmcnt(14) lgkmcnt(6)
	v_wmma_f32_16x16x16_bf16 v[117:124], v[65:72], v[33:40], v[117:124]
	s_waitcnt vmcnt(12)
	v_wmma_f32_16x16x16_bf16 v[101:108], v[93:100], v[33:40], v[101:108]
	s_clause 0x2
	s_load_b32 s16, s[8:9], 0x0
	s_load_b32 s13, s[24:25], 0x0
	s_load_b32 s15, s[6:7], 0x0
	s_lshl_b64 s[6:7], s[22:23], 1
	s_mul_hi_i32 s9, s33, s5
	s_mul_i32 s8, s33, s5
	s_lshl_b64 s[22:23], s[38:39], 1
	s_lshl_b64 s[8:9], s[8:9], 1
	s_waitcnt lgkmcnt(0)
	s_mul_hi_i32 s25, s16, s5
	s_mul_i32 s24, s16, s5
	s_waitcnt vmcnt(10)
	v_wmma_f32_16x16x16_bf16 v[117:124], v[1:8], v[25:32], v[117:124]
	s_waitcnt vmcnt(8)
	v_wmma_f32_16x16x16_bf16 v[101:108], v[9:16], v[25:32], v[101:108]
	s_waitcnt vmcnt(6)
	s_delay_alu instid0(VALU_DEP_2) | instskip(SKIP_1) | instid1(VALU_DEP_2)
	v_wmma_f32_16x16x16_bf16 v[117:124], v[17:24], v[141:148], v[117:124]
	s_waitcnt vmcnt(4)
	v_wmma_f32_16x16x16_bf16 v[101:108], v[109:116], v[141:148], v[101:108]
	s_waitcnt vmcnt(2)
	s_delay_alu instid0(VALU_DEP_2) | instskip(SKIP_3) | instid1(VALU_DEP_3)
	v_wmma_f32_16x16x16_bf16 v[117:124], v[125:132], v[149:156], v[117:124]
	v_lshlrev_b32_e32 v85, 6, v73
	s_waitcnt vmcnt(0)
	v_wmma_f32_16x16x16_bf16 v[101:108], v[133:140], v[149:156], v[101:108]
	v_mul_f32_e32 v100, s18, v124
	s_delay_alu instid0(VALU_DEP_3) | instskip(SKIP_2) | instid1(VALU_DEP_3)
	v_lshl_or_b32 v41, v74, 10, v85
	v_mul_f32_e32 v99, s18, v118
	v_mul_f32_e32 v97, s18, v117
	v_add_co_u32 v76, s4, s4, v41
	s_delay_alu instid0(VALU_DEP_1) | instskip(NEXT) | instid1(VALU_DEP_2)
	v_add_co_ci_u32_e64 v77, null, s19, 0, s4
	v_add_co_u32 v41, vcc_lo, v76, s2
	s_delay_alu instid0(VALU_DEP_2)
	v_add_co_ci_u32_e32 v42, vcc_lo, s3, v77, vcc_lo
	v_add_co_u32 v33, vcc_lo, v76, s6
	v_add_co_ci_u32_e32 v34, vcc_lo, s7, v77, vcc_lo
	v_add_co_u32 v35, vcc_lo, v76, s10
	;; [unrolled: 2-line block ×5, first 2 shown]
	s_lshl_b64 s[2:3], s[24:25], 1
	v_add_co_ci_u32_e32 v6, vcc_lo, s23, v77, vcc_lo
	s_mul_hi_i32 s7, s13, s5
	s_mul_i32 s6, s13, s5
	v_add_co_u32 v17, vcc_lo, v76, s2
	v_add_co_ci_u32_e32 v18, vcc_lo, s3, v77, vcc_lo
	s_lshl_b64 s[2:3], s[6:7], 1
	s_mul_hi_i32 s7, s15, s5
	s_mul_i32 s6, s15, s5
	v_add_co_u32 v19, vcc_lo, v76, s2
	v_add_co_ci_u32_e32 v20, vcc_lo, s3, v77, vcc_lo
	s_lshl_b64 s[2:3], s[6:7], 1
	s_clause 0x1
	global_load_b128 v[65:68], v[41:42], off
	global_load_b128 v[69:72], v[41:42], off offset:16
	v_add_co_u32 v21, vcc_lo, v76, s2
	v_add_co_ci_u32_e32 v22, vcc_lo, s3, v77, vcc_lo
	s_clause 0xf
	global_load_b128 v[57:60], v[33:34], off
	global_load_b128 v[61:64], v[33:34], off offset:16
	global_load_b128 v[49:52], v[35:36], off
	global_load_b128 v[53:56], v[35:36], off offset:16
	;; [unrolled: 2-line block ×8, first 2 shown]
	v_mbcnt_lo_u32_b32 v77, -1, 0
	s_waitcnt vmcnt(0)
	s_barrier
	buffer_gl0_inv
	v_xor_b32_e32 v78, 16, v77
	s_delay_alu instid0(VALU_DEP_1) | instskip(SKIP_1) | instid1(VALU_DEP_1)
	v_cmp_gt_i32_e32 vcc_lo, 32, v78
	v_dual_cndmask_b32 v77, v77, v78 :: v_dual_and_b32 v76, 0xe0, v0
	v_add_nc_u32_e32 v76, s12, v76
	s_delay_alu instid0(VALU_DEP_1) | instskip(NEXT) | instid1(VALU_DEP_1)
	v_or_b32_e32 v76, v76, v83
	v_or_b32_e32 v78, 2, v76
	;; [unrolled: 1-line block ×4, first 2 shown]
	v_cmp_gt_i32_e32 vcc_lo, s17, v76
	v_or_b32_e32 v86, 8, v76
	v_cmp_gt_i32_e64 s2, s17, v78
	v_or_b32_e32 v87, 10, v76
	v_or_b32_e32 v88, 12, v76
	;; [unrolled: 1-line block ×11, first 2 shown]
	v_cndmask_b32_e32 v76, 0xff7fffff, v97, vcc_lo
	v_cmp_gt_i32_e64 s3, s17, v80
	v_mul_f32_e32 v80, s18, v119
	v_cndmask_b32_e64 v78, 0xff7fffff, v99, s2
	v_mul_f32_e32 v99, s18, v120
	v_cmp_gt_i32_e64 s4, s17, v79
	v_mul_f32_e32 v97, s18, v123
	v_mul_f32_e32 v79, s18, v122
	v_max3_f32 v76, v76, 0xff7fffff, v78
	v_mul_f32_e32 v78, s18, v121
	v_cndmask_b32_e64 v80, 0xff7fffff, v80, s4
	v_cmp_gt_i32_e64 s5, s17, v86
	v_cmp_gt_i32_e64 s6, s17, v87
	v_mul_f32_e32 v86, s18, v107
	v_cndmask_b32_e64 v99, 0xff7fffff, v99, s3
	v_cmp_gt_i32_e64 s7, s17, v89
	v_cndmask_b32_e64 v78, 0xff7fffff, v78, s5
	v_cmp_gt_i32_e64 s8, s17, v88
	v_mul_f32_e32 v89, s18, v101
	v_max3_f32 v76, v76, v80, v99
	v_mul_f32_e32 v80, s18, v108
	v_cndmask_b32_e64 v79, 0xff7fffff, v79, s6
	v_dual_mul_f32 v99, s18, v105 :: v_dual_mul_f32 v88, s18, v102
	v_cndmask_b32_e64 v97, 0xff7fffff, v97, s8
	v_cndmask_b32_e64 v100, 0xff7fffff, v100, s7
	s_delay_alu instid0(VALU_DEP_4) | instskip(SKIP_4) | instid1(VALU_DEP_4)
	v_max3_f32 v76, v76, v78, v79
	v_cmp_gt_i32_e64 s9, s17, v90
	v_cmp_gt_i32_e64 s10, s17, v91
	v_dual_mul_f32 v87, s18, v106 :: v_dual_mul_f32 v78, s18, v104
	v_mul_f32_e32 v79, s18, v103
	v_cndmask_b32_e64 v89, 0xff7fffff, v89, s9
	s_delay_alu instid0(VALU_DEP_4)
	v_cndmask_b32_e64 v88, 0xff7fffff, v88, s10
	v_max3_f32 v76, v76, v97, v100
	v_cmp_gt_i32_e64 s11, s17, v92
	v_cmp_gt_i32_e64 s12, s17, v93
	;; [unrolled: 1-line block ×4, first 2 shown]
	v_max3_f32 v76, v76, v89, v88
	v_cndmask_b32_e64 v79, 0xff7fffff, v79, s11
	v_cndmask_b32_e64 v78, 0xff7fffff, v78, s12
	;; [unrolled: 1-line block ×4, first 2 shown]
	v_cmp_gt_i32_e64 s16, s17, v96
	v_cmp_gt_i32_e64 s17, s17, v98
	v_max3_f32 v76, v76, v79, v78
	v_lshlrev_b32_e32 v99, 2, v77
	s_delay_alu instid0(VALU_DEP_4) | instskip(NEXT) | instid1(VALU_DEP_4)
	v_cndmask_b32_e64 v78, 0xff7fffff, v86, s16
	v_cndmask_b32_e64 v79, 0xff7fffff, v80, s17
	s_delay_alu instid0(VALU_DEP_4) | instskip(NEXT) | instid1(VALU_DEP_1)
	v_max3_f32 v76, v76, v88, v87
	v_max3_f32 v76, v76, v78, v79
	ds_bpermute_b32 v77, v99, v76
	s_waitcnt lgkmcnt(0)
	v_max_f32_e32 v77, v77, v77
	s_delay_alu instid0(VALU_DEP_1) | instskip(NEXT) | instid1(VALU_DEP_1)
	v_max_f32_e32 v76, v76, v77
	v_fma_f32 v78, s18, v118, -v76
	v_fma_f32 v77, s18, v117, -v76
	;; [unrolled: 1-line block ×5, first 2 shown]
	v_mul_f32_e32 v78, 0x3fb8aa3b, v78
	v_fma_f32 v87, s18, v123, -v76
	v_fma_f32 v88, s18, v105, -v76
	v_mul_f32_e32 v80, 0x3fb8aa3b, v80
	v_mul_f32_e32 v86, 0x3fb8aa3b, v86
	v_exp_f32_e32 v78, v78
	v_fma_f32 v90, s18, v107, -v76
	v_fma_f32 v100, s18, v108, -v76
	v_exp_f32_e32 v80, v80
	v_exp_f32_e32 v86, v86
	v_mul_f32_e32 v88, 0x3fb8aa3b, v88
	s_delay_alu instid0(VALU_DEP_2) | instskip(NEXT) | instid1(TRANS32_DEP_3)
	v_mul_f32_e32 v100, 0x3fb8aa3b, v100
	v_cndmask_b32_e64 v91, 0, v78, s2
	v_mul_f32_e32 v77, 0x3fb8aa3b, v77
	s_delay_alu instid0(VALU_DEP_4) | instskip(NEXT) | instid1(TRANS32_DEP_3)
	v_exp_f32_e32 v88, v88
	v_cndmask_b32_e64 v95, 0, v80, s3
	v_fma_f32 v80, s18, v101, -v76
	s_delay_alu instid0(TRANS32_DEP_2)
	v_cndmask_b32_e64 v96, 0, v86, s5
	v_exp_f32_e32 v77, v77
	v_mul_f32_e32 v79, 0x3fb8aa3b, v79
	v_fma_f32 v86, s18, v102, -v76
	v_mul_f32_e32 v80, 0x3fb8aa3b, v80
	s_mov_b32 s2, exec_lo
	v_exp_f32_e32 v100, v100
	s_delay_alu instid0(VALU_DEP_1) | instskip(NEXT) | instid1(TRANS32_DEP_3)
	v_exp_f32_e32 v80, v80
	v_cndmask_b32_e32 v92, 0, v77, vcc_lo
	v_exp_f32_e32 v79, v79
	v_fma_f32 v77, s18, v122, -v76
	s_delay_alu instid0(VALU_DEP_2) | instskip(NEXT) | instid1(VALU_DEP_1)
	v_add_f32_e32 v78, 0, v92
	v_add_f32_e32 v78, v78, v91
	s_waitcnt_depctr 0xfff
	v_cndmask_b32_e64 v93, 0, v79, s4
	v_mul_f32_e32 v87, 0x3fb8aa3b, v87
	v_fma_f32 v79, s18, v124, -v76
	s_delay_alu instid0(VALU_DEP_3) | instskip(SKIP_1) | instid1(VALU_DEP_3)
	v_add_f32_e32 v78, v78, v93
	v_mul_f32_e32 v77, 0x3fb8aa3b, v77
	v_mul_f32_e32 v79, 0x3fb8aa3b, v79
	v_exp_f32_e32 v87, v87
	s_delay_alu instid0(VALU_DEP_3) | instskip(NEXT) | instid1(VALU_DEP_3)
	v_add_f32_e32 v78, v78, v95
	v_exp_f32_e32 v77, v77
	s_delay_alu instid0(VALU_DEP_2) | instskip(NEXT) | instid1(TRANS32_DEP_3)
	v_exp_f32_e32 v79, v79
	v_cndmask_b32_e64 v94, 0, v87, s8
	v_fma_f32 v87, s18, v104, -v76
	s_waitcnt_depctr 0xfff
	v_cndmask_b32_e64 v97, 0, v77, s6
	v_add_f32_e32 v77, v78, v96
	v_fma_f32 v78, s18, v103, -v76
	v_mul_f32_e32 v86, 0x3fb8aa3b, v86
	v_cndmask_b32_e64 v98, 0, v79, s7
	v_mul_f32_e32 v87, 0x3fb8aa3b, v87
	s_delay_alu instid0(VALU_DEP_4) | instskip(NEXT) | instid1(VALU_DEP_4)
	v_dual_add_f32 v77, v77, v97 :: v_dual_mul_f32 v78, 0x3fb8aa3b, v78
	v_exp_f32_e32 v86, v86
	s_delay_alu instid0(VALU_DEP_2) | instskip(NEXT) | instid1(VALU_DEP_1)
	v_exp_f32_e32 v87, v87
	v_add_f32_e32 v79, v77, v94
	s_delay_alu instid0(VALU_DEP_2) | instskip(SKIP_2) | instid1(VALU_DEP_3)
	v_exp_f32_e32 v89, v78
	v_cndmask_b32_e64 v77, 0, v80, s9
	v_fma_f32 v80, s18, v106, -v76
	v_add_f32_e32 v79, v79, v98
	s_delay_alu instid0(TRANS32_DEP_3) | instskip(NEXT) | instid1(VALU_DEP_3)
	v_cndmask_b32_e64 v78, 0, v86, s10
	v_mul_f32_e32 v80, 0x3fb8aa3b, v80
	s_delay_alu instid0(VALU_DEP_3) | instskip(NEXT) | instid1(TRANS32_DEP_1)
	v_add_f32_e32 v86, v79, v77
	v_cndmask_b32_e64 v79, 0, v89, s11
	v_mul_f32_e32 v89, 0x3fb8aa3b, v90
	s_delay_alu instid0(VALU_DEP_4) | instskip(SKIP_2) | instid1(VALU_DEP_3)
	v_exp_f32_e32 v90, v80
	v_cndmask_b32_e64 v80, 0, v87, s12
	v_add_f32_e32 v86, v86, v78
	v_exp_f32_e32 v89, v89
	s_delay_alu instid0(VALU_DEP_1) | instskip(SKIP_1) | instid1(VALU_DEP_2)
	v_add_f32_e32 v87, v86, v79
	v_cndmask_b32_e64 v86, 0, v88, s13
	v_add_f32_e32 v88, v87, v80
	s_delay_alu instid0(TRANS32_DEP_2) | instskip(NEXT) | instid1(VALU_DEP_2)
	v_cndmask_b32_e64 v87, 0, v90, s15
	v_add_f32_e32 v90, v88, v86
	s_waitcnt_depctr 0xfff
	v_cndmask_b32_e64 v88, 0, v89, s16
	v_add_f32_e32 v89, v90, v87
	s_delay_alu instid0(VALU_DEP_1) | instskip(SKIP_1) | instid1(VALU_DEP_1)
	v_add_f32_e32 v90, v89, v88
	v_cndmask_b32_e64 v89, 0, v100, s17
	v_add_f32_e32 v90, v90, v89
	ds_bpermute_b32 v99, v99, v90
	v_cmpx_gt_u32_e32 16, v75
	s_cbranch_execz .LBB703_14
; %bb.13:
	v_mul_u32_u24_e32 v75, 0x44, v74
	s_waitcnt lgkmcnt(0)
	v_add_f32_e32 v90, v90, v99
	s_delay_alu instid0(VALU_DEP_2) | instskip(NEXT) | instid1(VALU_DEP_1)
	v_lshl_add_u32 v75, v73, 2, v75
	v_add_nc_u32_e32 v75, 0x4000, v75
	ds_store_2addr_b32 v75, v76, v90 offset1:136
.LBB703_14:
	s_or_b32 exec_lo, exec_lo, s2
	v_lshlrev_b32_e32 v75, 2, v73
	s_waitcnt lgkmcnt(0)
	s_barrier
	buffer_gl0_inv
	v_cmp_eq_u32_e64 s2, 1, v74
	v_add_nc_u32_e32 v90, 0x4000, v75
	ds_load_2addr_b32 v[99:100], v90 offset1:17
	ds_load_2addr_b32 v[101:102], v90 offset0:34 offset1:51
	ds_load_2addr_b32 v[103:104], v90 offset0:68 offset1:85
	;; [unrolled: 1-line block ×4, first 2 shown]
	s_waitcnt lgkmcnt(4)
	v_max3_f32 v75, v99, 0xff7fffff, v100
	s_waitcnt lgkmcnt(3)
	s_delay_alu instid0(VALU_DEP_1) | instskip(SKIP_1) | instid1(VALU_DEP_1)
	v_max3_f32 v75, v75, v101, v102
	s_waitcnt lgkmcnt(2)
	v_max3_f32 v75, v75, v103, v104
	s_waitcnt lgkmcnt(1)
	s_delay_alu instid0(VALU_DEP_1) | instskip(NEXT) | instid1(VALU_DEP_1)
	v_max3_f32 v75, v75, v105, v106
	v_sub_f32_e32 v109, v100, v75
	v_sub_f32_e32 v76, v99, v75
	ds_load_2addr_b32 v[99:100], v90 offset0:170 offset1:187
	v_sub_f32_e32 v101, v101, v75
	v_dual_mul_f32 v109, 0x3fb8aa3b, v109 :: v_dual_mul_f32 v76, 0x3fb8aa3b, v76
	s_delay_alu instid0(VALU_DEP_2) | instskip(NEXT) | instid1(VALU_DEP_2)
	v_mul_f32_e32 v111, 0x3fb8aa3b, v101
	v_exp_f32_e32 v109, v109
	s_delay_alu instid0(VALU_DEP_2)
	v_exp_f32_e32 v110, v76
	v_sub_f32_e32 v76, v102, v75
	ds_load_2addr_b32 v[101:102], v90 offset0:204 offset1:221
	v_exp_f32_e32 v111, v111
	v_mul_f32_e32 v112, 0x3fb8aa3b, v76
	s_waitcnt lgkmcnt(2)
	v_fma_f32 v76, v110, v107, 0
	v_sub_f32_e32 v103, v103, v75
	s_delay_alu instid0(VALU_DEP_3) | instskip(NEXT) | instid1(VALU_DEP_2)
	v_exp_f32_e32 v112, v112
	v_dual_sub_f32 v107, v104, v75 :: v_dual_fmac_f32 v76, v109, v108
	s_waitcnt lgkmcnt(1)
	s_waitcnt_depctr 0xfff
	v_fmac_f32_e32 v76, v111, v99
	v_mul_f32_e32 v113, 0x3fb8aa3b, v103
	ds_load_2addr_b32 v[103:104], v90 offset0:238 offset1:255
	v_sub_f32_e32 v90, v105, v75
	v_dual_sub_f32 v99, v106, v75 :: v_dual_fmac_f32 v76, v112, v100
	v_mul_f32_e32 v105, 0x3fb8aa3b, v107
	v_exp_f32_e32 v107, v113
	s_delay_alu instid0(VALU_DEP_2)
	v_dual_mul_f32 v90, 0x3fb8aa3b, v90 :: v_dual_mul_f32 v99, 0x3fb8aa3b, v99
	s_waitcnt lgkmcnt(0)
	s_barrier
	buffer_gl0_inv
	v_exp_f32_e32 v90, v90
	v_exp_f32_e32 v99, v99
	v_fmac_f32_e32 v76, v107, v101
	v_exp_f32_e32 v105, v105
	s_waitcnt_depctr 0xfff
	v_fmac_f32_e32 v76, v105, v102
	s_delay_alu instid0(VALU_DEP_1) | instskip(NEXT) | instid1(VALU_DEP_1)
	v_fmac_f32_e32 v76, v90, v103
	v_fmac_f32_e32 v76, v99, v104
	s_delay_alu instid0(VALU_DEP_1) | instskip(NEXT) | instid1(VALU_DEP_1)
	v_add_f32_e32 v100, 0x358637bd, v76
	v_div_scale_f32 v101, null, v100, v100, 1.0
	v_div_scale_f32 v104, vcc_lo, 1.0, v100, 1.0
	s_delay_alu instid0(VALU_DEP_2) | instskip(SKIP_2) | instid1(VALU_DEP_1)
	v_rcp_f32_e32 v102, v101
	s_waitcnt_depctr 0xfff
	v_fma_f32 v103, -v101, v102, 1.0
	v_fmac_f32_e32 v102, v103, v102
	v_cndmask_b32_e64 v103, v110, v109, s2
	v_cmp_eq_u32_e64 s2, 2, v74
	s_delay_alu instid0(VALU_DEP_3) | instskip(NEXT) | instid1(VALU_DEP_2)
	v_mul_f32_e32 v106, v104, v102
	v_cndmask_b32_e64 v103, v103, v111, s2
	v_cmp_eq_u32_e64 s2, 3, v74
	s_delay_alu instid0(VALU_DEP_3) | instskip(NEXT) | instid1(VALU_DEP_2)
	v_fma_f32 v108, -v101, v106, v104
	v_cndmask_b32_e64 v103, v103, v112, s2
	v_cmp_eq_u32_e64 s2, 4, v74
	s_delay_alu instid0(VALU_DEP_3) | instskip(NEXT) | instid1(VALU_DEP_2)
	v_fmac_f32_e32 v106, v108, v102
	v_cndmask_b32_e64 v103, v103, v107, s2
	s_delay_alu instid0(VALU_DEP_2) | instskip(SKIP_1) | instid1(VALU_DEP_2)
	v_fma_f32 v101, -v101, v106, v104
	v_cmp_eq_u32_e64 s2, 5, v74
	v_div_fmas_f32 v101, v101, v102, v106
	s_delay_alu instid0(VALU_DEP_2) | instskip(SKIP_2) | instid1(VALU_DEP_3)
	v_cndmask_b32_e64 v103, v103, v105, s2
	v_cmp_eq_u32_e32 vcc_lo, 6, v74
	s_mov_b32 s2, exec_lo
	v_div_fixup_f32 v100, v101, v100, 1.0
	s_delay_alu instid0(VALU_DEP_3) | instskip(SKIP_1) | instid1(VALU_DEP_2)
	v_cndmask_b32_e32 v90, v103, v90, vcc_lo
	v_cmp_eq_u32_e32 vcc_lo, 7, v74
	v_cndmask_b32_e32 v90, v90, v99, vcc_lo
	s_delay_alu instid0(VALU_DEP_1) | instskip(NEXT) | instid1(VALU_DEP_1)
	v_mul_f32_e32 v90, v90, v100
	v_mul_f32_e32 v100, v90, v92
	;; [unrolled: 1-line block ×6, first 2 shown]
	v_and_b32_e32 v101, 0x7f800000, v100
	v_mul_f32_e32 v99, v90, v95
	v_mul_f32_e32 v95, v90, v91
	;; [unrolled: 1-line block ×3, first 2 shown]
                                        ; implicit-def: $vgpr91
	s_delay_alu instid0(VALU_DEP_4)
	v_cmpx_ne_u32_e32 0x7f800000, v101
	s_xor_b32 s2, exec_lo, s2
; %bb.15:
	v_bfe_u32 v91, v100, 16, 1
	s_delay_alu instid0(VALU_DEP_1)
	v_add3_u32 v91, v100, v91, 0x7fff
                                        ; implicit-def: $vgpr100
; %bb.16:
	s_and_not1_saveexec_b32 s2, s2
; %bb.17:
	v_and_b32_e32 v91, 0xffff, v100
	v_or_b32_e32 v93, 0x10000, v100
	s_delay_alu instid0(VALU_DEP_2) | instskip(NEXT) | instid1(VALU_DEP_2)
	v_cmp_eq_u32_e32 vcc_lo, 0, v91
	v_cndmask_b32_e32 v91, v93, v100, vcc_lo
; %bb.18:
	s_or_b32 exec_lo, exec_lo, s2
	v_and_b32_e32 v93, 0x7f800000, v95
	s_delay_alu instid0(VALU_DEP_1) | instskip(SKIP_1) | instid1(SALU_CYCLE_1)
	v_cmp_ne_u32_e32 vcc_lo, 0x7f800000, v93
                                        ; implicit-def: $vgpr93
	s_and_saveexec_b32 s2, vcc_lo
	s_xor_b32 s2, exec_lo, s2
; %bb.19:
	v_bfe_u32 v93, v95, 16, 1
	s_delay_alu instid0(VALU_DEP_1)
	v_add3_u32 v93, v95, v93, 0x7fff
                                        ; implicit-def: $vgpr95
; %bb.20:
	s_and_not1_saveexec_b32 s2, s2
; %bb.21:
	v_and_b32_e32 v93, 0xffff, v95
	v_or_b32_e32 v100, 0x10000, v95
	s_delay_alu instid0(VALU_DEP_2) | instskip(NEXT) | instid1(VALU_DEP_2)
	v_cmp_eq_u32_e32 vcc_lo, 0, v93
	v_cndmask_b32_e32 v93, v100, v95, vcc_lo
; %bb.22:
	s_or_b32 exec_lo, exec_lo, s2
	v_and_b32_e32 v95, 0x7f800000, v96
	s_delay_alu instid0(VALU_DEP_1) | instskip(SKIP_1) | instid1(SALU_CYCLE_1)
	v_cmp_ne_u32_e32 vcc_lo, 0x7f800000, v95
                                        ; implicit-def: $vgpr95
	s_and_saveexec_b32 s2, vcc_lo
	s_xor_b32 s2, exec_lo, s2
; %bb.23:
	v_bfe_u32 v95, v96, 16, 1
	s_delay_alu instid0(VALU_DEP_1)
	v_add3_u32 v95, v96, v95, 0x7fff
                                        ; implicit-def: $vgpr96
; %bb.24:
	s_and_not1_saveexec_b32 s2, s2
; %bb.25:
	v_and_b32_e32 v95, 0xffff, v96
	v_or_b32_e32 v100, 0x10000, v96
	s_delay_alu instid0(VALU_DEP_2) | instskip(NEXT) | instid1(VALU_DEP_2)
	v_cmp_eq_u32_e32 vcc_lo, 0, v95
	v_cndmask_b32_e32 v95, v100, v96, vcc_lo
; %bb.26:
	s_or_b32 exec_lo, exec_lo, s2
	v_and_b32_e32 v96, 0x7f800000, v99
	s_delay_alu instid0(VALU_DEP_1) | instskip(SKIP_1) | instid1(SALU_CYCLE_1)
	v_cmp_ne_u32_e32 vcc_lo, 0x7f800000, v96
                                        ; implicit-def: $vgpr96
	s_and_saveexec_b32 s2, vcc_lo
	s_xor_b32 s2, exec_lo, s2
; %bb.27:
	v_bfe_u32 v96, v99, 16, 1
	s_delay_alu instid0(VALU_DEP_1)
	v_add3_u32 v96, v99, v96, 0x7fff
                                        ; implicit-def: $vgpr99
; %bb.28:
	s_and_not1_saveexec_b32 s2, s2
; %bb.29:
	v_and_b32_e32 v96, 0xffff, v99
	v_or_b32_e32 v100, 0x10000, v99
	s_delay_alu instid0(VALU_DEP_2) | instskip(NEXT) | instid1(VALU_DEP_2)
	v_cmp_eq_u32_e32 vcc_lo, 0, v96
	v_cndmask_b32_e32 v96, v100, v99, vcc_lo
; %bb.30:
	s_or_b32 exec_lo, exec_lo, s2
	v_and_b32_e32 v99, 0x7f800000, v98
	s_delay_alu instid0(VALU_DEP_1) | instskip(SKIP_1) | instid1(SALU_CYCLE_1)
	v_cmp_ne_u32_e32 vcc_lo, 0x7f800000, v99
                                        ; implicit-def: $vgpr99
	s_and_saveexec_b32 s2, vcc_lo
	s_xor_b32 s2, exec_lo, s2
; %bb.31:
	v_bfe_u32 v99, v98, 16, 1
	s_delay_alu instid0(VALU_DEP_1)
	v_add3_u32 v99, v98, v99, 0x7fff
                                        ; implicit-def: $vgpr98
; %bb.32:
	s_and_not1_saveexec_b32 s2, s2
; %bb.33:
	v_and_b32_e32 v99, 0xffff, v98
	v_or_b32_e32 v100, 0x10000, v98
	s_delay_alu instid0(VALU_DEP_2) | instskip(NEXT) | instid1(VALU_DEP_2)
	v_cmp_eq_u32_e32 vcc_lo, 0, v99
	v_cndmask_b32_e32 v99, v100, v98, vcc_lo
; %bb.34:
	s_or_b32 exec_lo, exec_lo, s2
	v_and_b32_e32 v98, 0x7f800000, v97
	s_delay_alu instid0(VALU_DEP_1) | instskip(SKIP_1) | instid1(SALU_CYCLE_1)
	v_cmp_ne_u32_e32 vcc_lo, 0x7f800000, v98
                                        ; implicit-def: $vgpr98
	s_and_saveexec_b32 s2, vcc_lo
	s_xor_b32 s2, exec_lo, s2
; %bb.35:
	v_bfe_u32 v98, v97, 16, 1
	s_delay_alu instid0(VALU_DEP_1)
	v_add3_u32 v98, v97, v98, 0x7fff
                                        ; implicit-def: $vgpr97
; %bb.36:
	s_and_not1_saveexec_b32 s2, s2
; %bb.37:
	v_and_b32_e32 v98, 0xffff, v97
	v_or_b32_e32 v100, 0x10000, v97
	s_delay_alu instid0(VALU_DEP_2) | instskip(NEXT) | instid1(VALU_DEP_2)
	v_cmp_eq_u32_e32 vcc_lo, 0, v98
	v_cndmask_b32_e32 v98, v100, v97, vcc_lo
; %bb.38:
	s_or_b32 exec_lo, exec_lo, s2
	v_and_b32_e32 v97, 0x7f800000, v94
	s_delay_alu instid0(VALU_DEP_1) | instskip(SKIP_1) | instid1(SALU_CYCLE_1)
	v_cmp_ne_u32_e32 vcc_lo, 0x7f800000, v97
                                        ; implicit-def: $vgpr97
	s_and_saveexec_b32 s2, vcc_lo
	s_xor_b32 s2, exec_lo, s2
; %bb.39:
	v_bfe_u32 v97, v94, 16, 1
	s_delay_alu instid0(VALU_DEP_1)
	v_add3_u32 v97, v94, v97, 0x7fff
                                        ; implicit-def: $vgpr94
; %bb.40:
	s_and_not1_saveexec_b32 s2, s2
; %bb.41:
	v_and_b32_e32 v97, 0xffff, v94
	v_or_b32_e32 v100, 0x10000, v94
	s_delay_alu instid0(VALU_DEP_2) | instskip(NEXT) | instid1(VALU_DEP_2)
	v_cmp_eq_u32_e32 vcc_lo, 0, v97
	v_cndmask_b32_e32 v97, v100, v94, vcc_lo
; %bb.42:
	s_or_b32 exec_lo, exec_lo, s2
	v_and_b32_e32 v94, 0x7f800000, v92
	s_delay_alu instid0(VALU_DEP_1) | instskip(SKIP_1) | instid1(SALU_CYCLE_1)
	v_cmp_ne_u32_e32 vcc_lo, 0x7f800000, v94
                                        ; implicit-def: $vgpr94
	s_and_saveexec_b32 s2, vcc_lo
	s_xor_b32 s2, exec_lo, s2
; %bb.43:
	v_bfe_u32 v94, v92, 16, 1
	s_delay_alu instid0(VALU_DEP_1)
	v_add3_u32 v94, v92, v94, 0x7fff
                                        ; implicit-def: $vgpr92
; %bb.44:
	s_and_not1_saveexec_b32 s2, s2
; %bb.45:
	v_and_b32_e32 v94, 0xffff, v92
	v_or_b32_e32 v100, 0x10000, v92
	s_delay_alu instid0(VALU_DEP_2) | instskip(NEXT) | instid1(VALU_DEP_2)
	v_cmp_eq_u32_e32 vcc_lo, 0, v94
	v_cndmask_b32_e32 v94, v100, v92, vcc_lo
; %bb.46:
	s_or_b32 exec_lo, exec_lo, s2
	s_load_b64 s[34:35], s[0:1], 0x94
	v_lshlrev_b32_e32 v92, 4, v83
	s_delay_alu instid0(VALU_DEP_2)
	v_perm_b32 v100, v94, v97, 0x7060302
	v_dual_mul_f32 v89, v90, v89 :: v_dual_lshlrev_b32 v94, 11, v74
	v_perm_b32 v97, v93, v91, 0x7060302
	v_mul_f32_e32 v93, v90, v77
	v_perm_b32 v99, v98, v99, 0x7060302
	v_perm_b32 v98, v96, v95, 0x7060302
	v_or3_b32 v77, v92, v94, v85
	v_mul_f32_e32 v88, v90, v88
	v_dual_mul_f32 v87, v90, v87 :: v_dual_and_b32 v94, 0x7f800000, v93
	v_mul_f32_e32 v86, v90, v86
	v_mul_f32_e32 v91, v90, v80
	;; [unrolled: 1-line block ×4, first 2 shown]
	s_mov_b32 s2, exec_lo
	ds_store_b128 v77, v[97:100]
                                        ; implicit-def: $vgpr78
	v_cmpx_ne_u32_e32 0x7f800000, v94
	s_xor_b32 s2, exec_lo, s2
; %bb.47:
	v_bfe_u32 v78, v93, 16, 1
	s_delay_alu instid0(VALU_DEP_1)
	v_add3_u32 v78, v93, v78, 0x7fff
                                        ; implicit-def: $vgpr93
; %bb.48:
	s_and_not1_saveexec_b32 s2, s2
; %bb.49:
	v_and_b32_e32 v78, 0xffff, v93
	v_or_b32_e32 v79, 0x10000, v93
	s_delay_alu instid0(VALU_DEP_2) | instskip(NEXT) | instid1(VALU_DEP_2)
	v_cmp_eq_u32_e32 vcc_lo, 0, v78
	v_cndmask_b32_e32 v78, v79, v93, vcc_lo
; %bb.50:
	s_or_b32 exec_lo, exec_lo, s2
	v_and_b32_e32 v79, 0x7f800000, v80
	s_delay_alu instid0(VALU_DEP_1) | instskip(SKIP_1) | instid1(SALU_CYCLE_1)
	v_cmp_ne_u32_e32 vcc_lo, 0x7f800000, v79
                                        ; implicit-def: $vgpr79
	s_and_saveexec_b32 s2, vcc_lo
	s_xor_b32 s2, exec_lo, s2
; %bb.51:
	v_bfe_u32 v79, v80, 16, 1
	s_delay_alu instid0(VALU_DEP_1)
	v_add3_u32 v79, v80, v79, 0x7fff
                                        ; implicit-def: $vgpr80
; %bb.52:
	s_and_not1_saveexec_b32 s2, s2
; %bb.53:
	v_and_b32_e32 v79, 0xffff, v80
	v_or_b32_e32 v90, 0x10000, v80
	s_delay_alu instid0(VALU_DEP_2) | instskip(NEXT) | instid1(VALU_DEP_2)
	v_cmp_eq_u32_e32 vcc_lo, 0, v79
	v_cndmask_b32_e32 v79, v90, v80, vcc_lo
; %bb.54:
	s_or_b32 exec_lo, exec_lo, s2
	v_and_b32_e32 v80, 0x7f800000, v92
	s_delay_alu instid0(VALU_DEP_1) | instskip(SKIP_1) | instid1(SALU_CYCLE_1)
	v_cmp_ne_u32_e32 vcc_lo, 0x7f800000, v80
                                        ; implicit-def: $vgpr80
	s_and_saveexec_b32 s2, vcc_lo
	s_xor_b32 s2, exec_lo, s2
; %bb.55:
	v_bfe_u32 v80, v92, 16, 1
	s_delay_alu instid0(VALU_DEP_1)
	v_add3_u32 v80, v92, v80, 0x7fff
                                        ; implicit-def: $vgpr92
; %bb.56:
	s_and_not1_saveexec_b32 s2, s2
; %bb.57:
	v_and_b32_e32 v80, 0xffff, v92
	v_or_b32_e32 v90, 0x10000, v92
	s_delay_alu instid0(VALU_DEP_2) | instskip(NEXT) | instid1(VALU_DEP_2)
	v_cmp_eq_u32_e32 vcc_lo, 0, v80
	v_cndmask_b32_e32 v80, v90, v92, vcc_lo
; %bb.58:
	s_or_b32 exec_lo, exec_lo, s2
	v_and_b32_e32 v90, 0x7f800000, v91
	s_delay_alu instid0(VALU_DEP_1) | instskip(SKIP_1) | instid1(SALU_CYCLE_1)
	v_cmp_ne_u32_e32 vcc_lo, 0x7f800000, v90
                                        ; implicit-def: $vgpr90
	s_and_saveexec_b32 s2, vcc_lo
	s_xor_b32 s2, exec_lo, s2
; %bb.59:
	v_bfe_u32 v90, v91, 16, 1
	s_delay_alu instid0(VALU_DEP_1)
	v_add3_u32 v90, v91, v90, 0x7fff
                                        ; implicit-def: $vgpr91
; %bb.60:
	s_and_not1_saveexec_b32 s2, s2
; %bb.61:
	v_and_b32_e32 v90, 0xffff, v91
	v_or_b32_e32 v92, 0x10000, v91
	s_delay_alu instid0(VALU_DEP_2) | instskip(NEXT) | instid1(VALU_DEP_2)
	v_cmp_eq_u32_e32 vcc_lo, 0, v90
	v_cndmask_b32_e32 v90, v92, v91, vcc_lo
; %bb.62:
	s_or_b32 exec_lo, exec_lo, s2
	v_and_b32_e32 v91, 0x7f800000, v86
	s_delay_alu instid0(VALU_DEP_1) | instskip(SKIP_1) | instid1(SALU_CYCLE_1)
	v_cmp_ne_u32_e32 vcc_lo, 0x7f800000, v91
                                        ; implicit-def: $vgpr91
	s_and_saveexec_b32 s2, vcc_lo
	s_xor_b32 s2, exec_lo, s2
; %bb.63:
	v_bfe_u32 v91, v86, 16, 1
	s_delay_alu instid0(VALU_DEP_1)
	v_add3_u32 v91, v86, v91, 0x7fff
                                        ; implicit-def: $vgpr86
; %bb.64:
	s_and_not1_saveexec_b32 s2, s2
; %bb.65:
	v_and_b32_e32 v91, 0xffff, v86
	v_or_b32_e32 v92, 0x10000, v86
	s_delay_alu instid0(VALU_DEP_2) | instskip(NEXT) | instid1(VALU_DEP_2)
	v_cmp_eq_u32_e32 vcc_lo, 0, v91
	v_cndmask_b32_e32 v91, v92, v86, vcc_lo
; %bb.66:
	s_or_b32 exec_lo, exec_lo, s2
	v_and_b32_e32 v86, 0x7f800000, v87
	s_delay_alu instid0(VALU_DEP_1) | instskip(SKIP_1) | instid1(SALU_CYCLE_1)
	v_cmp_ne_u32_e32 vcc_lo, 0x7f800000, v86
                                        ; implicit-def: $vgpr86
	s_and_saveexec_b32 s2, vcc_lo
	s_xor_b32 s2, exec_lo, s2
; %bb.67:
	v_bfe_u32 v86, v87, 16, 1
	s_delay_alu instid0(VALU_DEP_1)
	v_add3_u32 v86, v87, v86, 0x7fff
                                        ; implicit-def: $vgpr87
; %bb.68:
	s_and_not1_saveexec_b32 s2, s2
; %bb.69:
	v_and_b32_e32 v86, 0xffff, v87
	v_or_b32_e32 v92, 0x10000, v87
	s_delay_alu instid0(VALU_DEP_2) | instskip(NEXT) | instid1(VALU_DEP_2)
	v_cmp_eq_u32_e32 vcc_lo, 0, v86
	v_cndmask_b32_e32 v86, v92, v87, vcc_lo
; %bb.70:
	s_or_b32 exec_lo, exec_lo, s2
	v_and_b32_e32 v87, 0x7f800000, v88
	s_delay_alu instid0(VALU_DEP_1) | instskip(SKIP_1) | instid1(SALU_CYCLE_1)
	v_cmp_ne_u32_e32 vcc_lo, 0x7f800000, v87
                                        ; implicit-def: $vgpr87
	s_and_saveexec_b32 s2, vcc_lo
	s_xor_b32 s2, exec_lo, s2
; %bb.71:
	v_bfe_u32 v87, v88, 16, 1
	s_delay_alu instid0(VALU_DEP_1)
	v_add3_u32 v87, v88, v87, 0x7fff
                                        ; implicit-def: $vgpr88
; %bb.72:
	s_and_not1_saveexec_b32 s2, s2
; %bb.73:
	v_and_b32_e32 v87, 0xffff, v88
	v_or_b32_e32 v92, 0x10000, v88
	s_delay_alu instid0(VALU_DEP_2) | instskip(NEXT) | instid1(VALU_DEP_2)
	v_cmp_eq_u32_e32 vcc_lo, 0, v87
	v_cndmask_b32_e32 v87, v92, v88, vcc_lo
; %bb.74:
	s_or_b32 exec_lo, exec_lo, s2
	v_and_b32_e32 v88, 0x7f800000, v89
	s_delay_alu instid0(VALU_DEP_1) | instskip(SKIP_1) | instid1(SALU_CYCLE_1)
	v_cmp_ne_u32_e32 vcc_lo, 0x7f800000, v88
                                        ; implicit-def: $vgpr88
	s_and_saveexec_b32 s2, vcc_lo
	s_xor_b32 s2, exec_lo, s2
; %bb.75:
	v_bfe_u32 v88, v89, 16, 1
	s_delay_alu instid0(VALU_DEP_1)
	v_add3_u32 v88, v89, v88, 0x7fff
                                        ; implicit-def: $vgpr89
; %bb.76:
	s_and_not1_saveexec_b32 s2, s2
; %bb.77:
	v_and_b32_e32 v88, 0xffff, v89
	v_or_b32_e32 v92, 0x10000, v89
	s_delay_alu instid0(VALU_DEP_2) | instskip(NEXT) | instid1(VALU_DEP_2)
	v_cmp_eq_u32_e32 vcc_lo, 0, v88
	v_cndmask_b32_e32 v88, v92, v89, vcc_lo
; %bb.78:
	s_or_b32 exec_lo, exec_lo, s2
	s_delay_alu instid0(VALU_DEP_1)
	v_perm_b32 v89, v88, v87, 0x7060302
	v_perm_b32 v88, v86, v91, 0x7060302
	;; [unrolled: 1-line block ×4, first 2 shown]
	v_lshl_or_b32 v90, v74, 11, v85
	ds_store_b128 v77, v[86:89] offset:1024
	s_waitcnt lgkmcnt(0)
	s_barrier
	buffer_gl0_inv
	ds_load_b128 v[91:94], v90
	ds_load_b128 v[95:98], v90 offset:16
	v_lshlrev_b32_e32 v87, 2, v83
	s_delay_alu instid0(VALU_DEP_1)
	v_or_b32_e32 v88, 1, v87
	v_cmp_eq_u32_e32 vcc_lo, 1, v87
	v_cmp_eq_u32_e64 s3, 2, v87
	v_cmp_eq_u32_e64 s6, 3, v87
	;; [unrolled: 1-line block ×6, first 2 shown]
	v_or_b32_e32 v86, 2, v87
	v_cmp_eq_u32_e64 s9, 5, v87
	v_cmp_eq_u32_e64 s10, 4, v88
	;; [unrolled: 1-line block ×4, first 2 shown]
	s_waitcnt lgkmcnt(1)
	v_lshrrev_b32_e32 v74, 16, v91
	s_waitcnt lgkmcnt(0)
	v_lshrrev_b32_e32 v103, 16, v95
	v_lshrrev_b32_e32 v80, 16, v94
	;; [unrolled: 1-line block ×4, first 2 shown]
	v_cndmask_b32_e32 v89, v91, v74, vcc_lo
	v_cndmask_b32_e32 v99, v95, v103, vcc_lo
	v_cndmask_b32_e64 v100, v91, v74, s2
	v_lshrrev_b32_e32 v79, 16, v93
	v_lshrrev_b32_e32 v108, 16, v97
	v_cndmask_b32_e64 v89, v89, v92, s3
	v_cndmask_b32_e64 v99, v99, v96, s3
	;; [unrolled: 1-line block ×4, first 2 shown]
	v_cmp_eq_u32_e64 s4, 1, v86
	v_cndmask_b32_e64 v89, v89, v78, s6
	v_cndmask_b32_e64 v99, v99, v107, s6
	;; [unrolled: 1-line block ×4, first 2 shown]
	v_lshrrev_b32_e32 v109, 16, v98
	v_cndmask_b32_e64 v89, v89, v93, s8
	v_cndmask_b32_e64 v99, v99, v97, s8
	;; [unrolled: 1-line block ×8, first 2 shown]
	v_cmp_eq_u32_e64 s13, 7, v87
	v_cmp_eq_u32_e64 s15, 6, v88
	v_cndmask_b32_e64 v89, v89, v94, s11
	v_cndmask_b32_e64 v99, v99, v98, s11
	v_cmp_eq_u32_e64 s16, 2, v86
	v_cndmask_b32_e64 v101, v101, v97, s10
	v_cndmask_b32_e64 v100, v100, v94, s15
	;; [unrolled: 1-line block ×6, first 2 shown]
	v_cmp_eq_u32_e64 s17, 7, v88
	v_cmp_eq_u32_e64 s18, 3, v86
	v_cmp_eq_u32_e64 s19, 4, v86
	v_cmp_eq_u32_e64 s21, 5, v86
	v_cndmask_b32_e64 v99, v99, v96, s16
	v_cndmask_b32_e64 v112, v100, v80, s17
	;; [unrolled: 1-line block ×4, first 2 shown]
	v_or_b32_e32 v89, 3, v87
	v_cndmask_b32_e64 v105, v99, v107, s18
	v_cmp_eq_u32_e64 s23, 6, v86
	v_cndmask_b32_e64 v113, v100, v98, s15
	v_cndmask_b32_e64 v104, v101, v93, s19
	ds_load_b128 v[99:102], v90 offset:1024
	v_cmp_eq_u32_e64 s20, 1, v89
	v_cmp_eq_u32_e64 s22, 2, v89
	;; [unrolled: 1-line block ×3, first 2 shown]
	v_cndmask_b32_e64 v114, v104, v79, s21
	v_cmp_eq_u32_e64 s25, 4, v89
	v_cndmask_b32_e64 v74, v91, v74, s20
	v_cndmask_b32_e64 v91, v105, v97, s19
	;; [unrolled: 1-line block ×3, first 2 shown]
	ds_load_b128 v[103:106], v90 offset:1040
	v_cmp_eq_u32_e64 s27, 5, v89
	v_cndmask_b32_e64 v74, v74, v92, s22
	v_cndmask_b32_e64 v91, v91, v108, s21
	;; [unrolled: 1-line block ×3, first 2 shown]
	v_cmp_eq_u32_e64 s28, 6, v89
	v_cndmask_b32_e64 v95, v113, v109, s17
	v_cndmask_b32_e64 v74, v74, v78, s24
	;; [unrolled: 1-line block ×5, first 2 shown]
	s_waitcnt lgkmcnt(1)
	v_lshrrev_b32_e32 v96, 16, v99
	v_cndmask_b32_e64 v74, v74, v93, s25
	v_lshrrev_b32_e32 v107, 16, v100
	v_cndmask_b32_e64 v92, v92, v97, s25
	v_cmp_eq_u32_e64 s26, 7, v86
	v_cndmask_b32_e32 v93, v99, v96, vcc_lo
	v_cndmask_b32_e64 v74, v74, v79, s27
	s_delay_alu instid0(VALU_DEP_4)
	v_cndmask_b32_e64 v79, v92, v108, s27
	s_waitcnt lgkmcnt(0)
	v_lshrrev_b32_e32 v97, 16, v103
	v_cndmask_b32_e64 v92, v93, v100, s3
	v_cndmask_b32_e64 v93, v99, v96, s2
	;; [unrolled: 1-line block ×4, first 2 shown]
	v_cndmask_b32_e32 v108, v103, v97, vcc_lo
	v_cndmask_b32_e64 v92, v92, v107, s6
	v_cndmask_b32_e64 v93, v93, v100, s5
	v_lshrrev_b32_e32 v98, 16, v104
	v_cmp_eq_u32_e32 vcc_lo, 7, v89
	v_cndmask_b32_e64 v94, v108, v104, s3
	v_cndmask_b32_e64 v92, v92, v101, s8
	v_lshrrev_b32_e32 v108, 16, v101
	v_cndmask_b32_e64 v93, v93, v107, s7
	v_cndmask_b32_e32 v74, v74, v80, vcc_lo
	v_cndmask_b32_e64 v94, v94, v98, s6
	v_cndmask_b32_e32 v79, v79, v109, vcc_lo
	v_cndmask_b32_e64 v92, v92, v108, s9
	v_cndmask_b32_e64 v78, v78, v80, s26
	;; [unrolled: 1-line block ×4, first 2 shown]
	v_perm_b32 v94, v79, v74, 0x5040100
	v_cndmask_b32_e64 v79, v92, v102, s11
	v_perm_b32 v92, v95, v112, 0x5040100
	v_cndmask_b32_e64 v95, v99, v96, s4
	v_cndmask_b32_e64 v96, v99, v96, s20
	;; [unrolled: 1-line block ×16, first 2 shown]
	v_lshrrev_b32_e32 v109, 16, v105
	v_cndmask_b32_e64 v95, v95, v101, s19
	v_cndmask_b32_e64 v96, v96, v101, s25
	;; [unrolled: 1-line block ×6, first 2 shown]
	v_lshrrev_b32_e32 v80, 16, v102
	v_cndmask_b32_e64 v113, v93, v109, s9
	v_cndmask_b32_e64 v95, v95, v108, s21
	;; [unrolled: 1-line block ×6, first 2 shown]
	v_perm_b32 v93, v91, v78, 0x5040100
	v_cndmask_b32_e64 v74, v74, v102, s15
	v_cndmask_b32_e64 v78, v79, v80, s13
	;; [unrolled: 1-line block ×3, first 2 shown]
	v_lshrrev_b32_e32 v91, 16, v106
	v_cndmask_b32_e64 v95, v95, v102, s23
	v_cndmask_b32_e64 v96, v96, v102, s28
	;; [unrolled: 1-line block ×7, first 2 shown]
	v_cndmask_b32_e32 v80, v96, v80, vcc_lo
	v_cndmask_b32_e32 v96, v98, v91, vcc_lo
	v_cndmask_b32_e64 v99, v99, v91, s26
	v_cndmask_b32_e64 v100, v97, v91, s17
	;; [unrolled: 1-line block ×3, first 2 shown]
	v_perm_b32 v91, v111, v110, 0x5040100
	v_perm_b32 v98, v96, v80, 0x5040100
	;; [unrolled: 1-line block ×5, first 2 shown]
	s_mul_i32 s7, s35, 14
	s_mov_b32 s2, exec_lo
	ds_store_b128 v77, v[91:94]
	ds_store_b128 v77, v[95:98] offset:1024
	v_cmpx_gt_u32_e32 14, v0
	s_cbranch_execz .LBB703_80
; %bb.79:
	s_mul_i32 s3, s7, s30
	s_load_b128 s[8:11], s[0:1], 0x58
	v_add3_u32 v77, s3, s29, v73
	s_delay_alu instid0(VALU_DEP_1) | instskip(NEXT) | instid1(VALU_DEP_1)
	v_mad_u64_u32 v[73:74], null, v77, s34, s[14:15]
	v_ashrrev_i32_e32 v74, 31, v73
	s_delay_alu instid0(VALU_DEP_1) | instskip(SKIP_1) | instid1(VALU_DEP_1)
	v_lshlrev_b64 v[73:74], 2, v[73:74]
	s_waitcnt lgkmcnt(0)
	v_add_co_u32 v77, vcc_lo, s10, v73
	s_delay_alu instid0(VALU_DEP_2)
	v_add_co_ci_u32_e32 v78, vcc_lo, s11, v74, vcc_lo
	v_add_co_u32 v73, vcc_lo, s8, v73
	v_add_co_ci_u32_e32 v74, vcc_lo, s9, v74, vcc_lo
	global_store_b32 v[77:78], v75, off
	global_store_b32 v[73:74], v76, off
.LBB703_80:
	s_or_b32 exec_lo, exec_lo, s2
	s_waitcnt lgkmcnt(0)
	s_waitcnt_vscnt null, 0x0
	s_barrier
	buffer_gl0_inv
	ds_load_b128 v[91:94], v85
	ds_load_b128 v[95:98], v85 offset:16
	ds_load_b128 v[103:106], v85 offset:1040
	;; [unrolled: 1-line block ×3, first 2 shown]
	v_mov_b32_e32 v73, 0
	ds_load_b128 v[111:114], v85 offset:2064
	ds_load_b128 v[107:110], v85 offset:2048
	;; [unrolled: 1-line block ×6, first 2 shown]
	v_mov_b32_e32 v74, v73
	v_mov_b32_e32 v75, v73
	;; [unrolled: 1-line block ×7, first 2 shown]
	s_waitcnt lgkmcnt(8)
	s_delay_alu instid0(VALU_DEP_1)
	v_wmma_f32_16x16x16_bf16 v[73:80], v[65:72], v[91:98], v[73:80]
	ds_load_b128 v[69:72], v85 offset:5136
	ds_load_b128 v[65:68], v85 offset:5120
	;; [unrolled: 1-line block ×4, first 2 shown]
	s_waitcnt lgkmcnt(10)
	v_wmma_f32_16x16x16_bf16 v[73:80], v[57:64], v[99:106], v[73:80]
	s_waitcnt lgkmcnt(8)
	s_delay_alu instid0(VALU_DEP_1)
	v_wmma_f32_16x16x16_bf16 v[73:80], v[57:64], v[107:114], v[73:80]
	ds_load_b128 v[61:64], v85 offset:7184
	ds_load_b128 v[57:60], v85 offset:7168
	;; [unrolled: 1-line block ×4, first 2 shown]
	s_waitcnt lgkmcnt(10)
	v_wmma_f32_16x16x16_bf16 v[73:80], v[49:56], v[115:122], v[73:80]
	s_waitcnt lgkmcnt(8)
	s_delay_alu instid0(VALU_DEP_1)
	v_wmma_f32_16x16x16_bf16 v[73:80], v[49:56], v[123:130], v[73:80]
	ds_load_b128 v[53:56], v85 offset:9232
	ds_load_b128 v[49:52], v85 offset:9216
	s_waitcnt lgkmcnt(8)
	v_wmma_f32_16x16x16_bf16 v[73:80], v[41:48], v[65:72], v[73:80]
	ds_load_b128 v[69:72], v85 offset:10256
	ds_load_b128 v[65:68], v85 offset:10240
	s_waitcnt lgkmcnt(8)
	;; [unrolled: 4-line block ×3, first 2 shown]
	v_wmma_f32_16x16x16_bf16 v[73:80], v[9:16], v[57:64], v[73:80]
	s_waitcnt lgkmcnt(6)
	s_delay_alu instid0(VALU_DEP_1)
	v_wmma_f32_16x16x16_bf16 v[73:80], v[9:16], v[99:106], v[73:80]
	ds_load_b128 v[13:16], v85 offset:12304
	ds_load_b128 v[9:12], v85 offset:12288
	s_waitcnt lgkmcnt(6)
	v_wmma_f32_16x16x16_bf16 v[73:80], v[1:8], v[49:56], v[73:80]
	ds_load_b128 v[53:56], v85 offset:13328
	ds_load_b128 v[49:52], v85 offset:13312
	s_waitcnt lgkmcnt(6)
	;; [unrolled: 4-line block ×4, first 2 shown]
	v_wmma_f32_16x16x16_bf16 v[73:80], v[33:40], v[9:16], v[73:80]
	s_waitcnt lgkmcnt(4)
	s_delay_alu instid0(VALU_DEP_1) | instskip(SKIP_1) | instid1(VALU_DEP_1)
	v_wmma_f32_16x16x16_bf16 v[73:80], v[25:32], v[49:56], v[73:80]
	s_waitcnt lgkmcnt(2)
	v_wmma_f32_16x16x16_bf16 v[73:80], v[25:32], v[1:8], v[73:80]
	s_waitcnt lgkmcnt(0)
	s_delay_alu instid0(VALU_DEP_1) | instskip(NEXT) | instid1(VALU_DEP_1)
	v_wmma_f32_16x16x16_bf16 v[73:80], v[17:24], v[41:48], v[73:80]
	v_and_b32_e32 v1, 0x7f800000, v73
	s_delay_alu instid0(VALU_DEP_1) | instskip(SKIP_1) | instid1(SALU_CYCLE_1)
	v_cmp_ne_u32_e32 vcc_lo, 0x7f800000, v1
                                        ; implicit-def: $vgpr1
	s_and_saveexec_b32 s2, vcc_lo
	s_xor_b32 s2, exec_lo, s2
; %bb.81:
	v_bfe_u32 v1, v73, 16, 1
	s_delay_alu instid0(VALU_DEP_1)
	v_add3_u32 v1, v73, v1, 0x7fff
; %bb.82:
	s_and_not1_saveexec_b32 s2, s2
; %bb.83:
	v_and_b32_e32 v1, 0xffff, v73
	v_or_b32_e32 v2, 0x10000, v73
	s_delay_alu instid0(VALU_DEP_2) | instskip(NEXT) | instid1(VALU_DEP_2)
	v_cmp_eq_u32_e32 vcc_lo, 0, v1
	v_cndmask_b32_e32 v1, v2, v73, vcc_lo
; %bb.84:
	s_or_b32 exec_lo, exec_lo, s2
	v_and_b32_e32 v2, 0x7f800000, v74
	s_delay_alu instid0(VALU_DEP_1) | instskip(SKIP_1) | instid1(SALU_CYCLE_1)
	v_cmp_ne_u32_e32 vcc_lo, 0x7f800000, v2
                                        ; implicit-def: $vgpr2
	s_and_saveexec_b32 s2, vcc_lo
	s_xor_b32 s2, exec_lo, s2
; %bb.85:
	v_bfe_u32 v2, v74, 16, 1
	s_delay_alu instid0(VALU_DEP_1)
	v_add3_u32 v2, v74, v2, 0x7fff
; %bb.86:
	s_and_not1_saveexec_b32 s2, s2
; %bb.87:
	v_and_b32_e32 v2, 0xffff, v74
	v_or_b32_e32 v3, 0x10000, v74
	s_delay_alu instid0(VALU_DEP_2) | instskip(NEXT) | instid1(VALU_DEP_2)
	v_cmp_eq_u32_e32 vcc_lo, 0, v2
	v_cndmask_b32_e32 v2, v3, v74, vcc_lo
; %bb.88:
	s_or_b32 exec_lo, exec_lo, s2
	v_and_b32_e32 v3, 0x7f800000, v75
	s_delay_alu instid0(VALU_DEP_1) | instskip(SKIP_1) | instid1(SALU_CYCLE_1)
	v_cmp_ne_u32_e32 vcc_lo, 0x7f800000, v3
                                        ; implicit-def: $vgpr3
	s_and_saveexec_b32 s2, vcc_lo
	s_xor_b32 s2, exec_lo, s2
; %bb.89:
	v_bfe_u32 v3, v75, 16, 1
	s_delay_alu instid0(VALU_DEP_1)
	v_add3_u32 v3, v75, v3, 0x7fff
; %bb.90:
	s_and_not1_saveexec_b32 s2, s2
; %bb.91:
	v_and_b32_e32 v3, 0xffff, v75
	v_or_b32_e32 v4, 0x10000, v75
	s_delay_alu instid0(VALU_DEP_2) | instskip(NEXT) | instid1(VALU_DEP_2)
	v_cmp_eq_u32_e32 vcc_lo, 0, v3
	v_cndmask_b32_e32 v3, v4, v75, vcc_lo
; %bb.92:
	s_or_b32 exec_lo, exec_lo, s2
	v_and_b32_e32 v4, 0x7f800000, v76
	s_delay_alu instid0(VALU_DEP_1) | instskip(SKIP_1) | instid1(SALU_CYCLE_1)
	v_cmp_ne_u32_e32 vcc_lo, 0x7f800000, v4
                                        ; implicit-def: $vgpr4
	s_and_saveexec_b32 s2, vcc_lo
	s_xor_b32 s2, exec_lo, s2
; %bb.93:
	v_bfe_u32 v4, v76, 16, 1
	s_delay_alu instid0(VALU_DEP_1)
	v_add3_u32 v4, v76, v4, 0x7fff
; %bb.94:
	s_and_not1_saveexec_b32 s2, s2
; %bb.95:
	v_and_b32_e32 v4, 0xffff, v76
	v_or_b32_e32 v5, 0x10000, v76
	s_delay_alu instid0(VALU_DEP_2) | instskip(NEXT) | instid1(VALU_DEP_2)
	v_cmp_eq_u32_e32 vcc_lo, 0, v4
	v_cndmask_b32_e32 v4, v5, v76, vcc_lo
; %bb.96:
	s_or_b32 exec_lo, exec_lo, s2
	v_and_b32_e32 v5, 0x7f800000, v77
	s_delay_alu instid0(VALU_DEP_1) | instskip(SKIP_1) | instid1(SALU_CYCLE_1)
	v_cmp_ne_u32_e32 vcc_lo, 0x7f800000, v5
                                        ; implicit-def: $vgpr5
	s_and_saveexec_b32 s2, vcc_lo
	s_xor_b32 s2, exec_lo, s2
; %bb.97:
	v_bfe_u32 v5, v77, 16, 1
	s_delay_alu instid0(VALU_DEP_1)
	v_add3_u32 v5, v77, v5, 0x7fff
; %bb.98:
	s_and_not1_saveexec_b32 s2, s2
; %bb.99:
	v_and_b32_e32 v5, 0xffff, v77
	v_or_b32_e32 v6, 0x10000, v77
	s_delay_alu instid0(VALU_DEP_2) | instskip(NEXT) | instid1(VALU_DEP_2)
	v_cmp_eq_u32_e32 vcc_lo, 0, v5
	v_cndmask_b32_e32 v5, v6, v77, vcc_lo
; %bb.100:
	s_or_b32 exec_lo, exec_lo, s2
	v_and_b32_e32 v6, 0x7f800000, v78
	s_delay_alu instid0(VALU_DEP_1) | instskip(SKIP_1) | instid1(SALU_CYCLE_1)
	v_cmp_ne_u32_e32 vcc_lo, 0x7f800000, v6
                                        ; implicit-def: $vgpr6
	s_and_saveexec_b32 s2, vcc_lo
	s_xor_b32 s2, exec_lo, s2
; %bb.101:
	v_bfe_u32 v6, v78, 16, 1
	s_delay_alu instid0(VALU_DEP_1)
	v_add3_u32 v6, v78, v6, 0x7fff
; %bb.102:
	s_and_not1_saveexec_b32 s2, s2
; %bb.103:
	v_and_b32_e32 v6, 0xffff, v78
	v_or_b32_e32 v7, 0x10000, v78
	s_delay_alu instid0(VALU_DEP_2) | instskip(NEXT) | instid1(VALU_DEP_2)
	v_cmp_eq_u32_e32 vcc_lo, 0, v6
	v_cndmask_b32_e32 v6, v7, v78, vcc_lo
; %bb.104:
	s_or_b32 exec_lo, exec_lo, s2
	v_and_b32_e32 v7, 0x7f800000, v79
	s_delay_alu instid0(VALU_DEP_1) | instskip(SKIP_1) | instid1(SALU_CYCLE_1)
	v_cmp_ne_u32_e32 vcc_lo, 0x7f800000, v7
                                        ; implicit-def: $vgpr7
	s_and_saveexec_b32 s2, vcc_lo
	s_xor_b32 s2, exec_lo, s2
; %bb.105:
	v_bfe_u32 v7, v79, 16, 1
	s_delay_alu instid0(VALU_DEP_1)
	v_add3_u32 v7, v79, v7, 0x7fff
; %bb.106:
	s_and_not1_saveexec_b32 s2, s2
; %bb.107:
	v_and_b32_e32 v7, 0xffff, v79
	v_or_b32_e32 v8, 0x10000, v79
	s_delay_alu instid0(VALU_DEP_2) | instskip(NEXT) | instid1(VALU_DEP_2)
	v_cmp_eq_u32_e32 vcc_lo, 0, v7
	v_cndmask_b32_e32 v7, v8, v79, vcc_lo
; %bb.108:
	s_or_b32 exec_lo, exec_lo, s2
	v_and_b32_e32 v8, 0x7f800000, v80
	s_delay_alu instid0(VALU_DEP_1) | instskip(SKIP_1) | instid1(SALU_CYCLE_1)
	v_cmp_ne_u32_e32 vcc_lo, 0x7f800000, v8
                                        ; implicit-def: $vgpr8
	s_and_saveexec_b32 s2, vcc_lo
	s_xor_b32 s2, exec_lo, s2
; %bb.109:
	v_bfe_u32 v8, v80, 16, 1
	s_delay_alu instid0(VALU_DEP_1)
	v_add3_u32 v8, v80, v8, 0x7fff
                                        ; implicit-def: $vgpr73_vgpr74_vgpr75_vgpr76_vgpr77_vgpr78_vgpr79_vgpr80
; %bb.110:
	s_and_not1_saveexec_b32 s2, s2
; %bb.111:
	v_and_b32_e32 v8, 0xffff, v80
	v_or_b32_e32 v9, 0x10000, v80
	s_delay_alu instid0(VALU_DEP_2) | instskip(NEXT) | instid1(VALU_DEP_2)
	v_cmp_eq_u32_e32 vcc_lo, 0, v8
	v_cndmask_b32_e32 v8, v9, v80, vcc_lo
; %bb.112:
	s_or_b32 exec_lo, exec_lo, s2
	s_delay_alu instid0(VALU_DEP_1)
	v_perm_b32 v7, v8, v7, 0x7060302
	v_perm_b32 v6, v6, v5, 0x7060302
	;; [unrolled: 1-line block ×4, first 2 shown]
	v_lshl_or_b32 v9, v83, 4, v90
	s_barrier
	buffer_gl0_inv
	v_cmp_eq_u32_e32 vcc_lo, 1, v87
	ds_store_b128 v9, v[4:7]
	s_waitcnt lgkmcnt(0)
	s_barrier
	buffer_gl0_inv
	ds_load_b128 v[1:4], v90
	ds_load_b128 v[5:8], v90 offset:16
	v_cmp_eq_u32_e64 s3, 2, v87
	v_cmp_eq_u32_e64 s2, 1, v88
	v_cmp_eq_u32_e64 s4, 3, v87
	v_cmp_eq_u32_e64 s6, 2, v86
	v_cmp_eq_u32_e64 s5, 7, v88
	s_waitcnt lgkmcnt(1)
	v_lshrrev_b32_e32 v10, 16, v1
	s_waitcnt lgkmcnt(0)
	v_lshrrev_b32_e32 v14, 16, v5
	v_lshrrev_b32_e32 v15, 16, v6
	;; [unrolled: 1-line block ×4, first 2 shown]
	v_cndmask_b32_e64 v20, v1, v10, s2
	v_cndmask_b32_e32 v19, v5, v14, vcc_lo
	v_cndmask_b32_e64 v21, v5, v14, s2
	v_lshrrev_b32_e32 v16, 16, v7
	v_cmp_eq_u32_e64 s2, 1, v86
	v_lshrrev_b32_e32 v13, 16, v4
	v_cndmask_b32_e64 v19, v19, v6, s3
	v_lshrrev_b32_e32 v17, 16, v8
	s_delay_alu instid0(VALU_DEP_4) | instskip(SKIP_1) | instid1(VALU_DEP_4)
	v_cndmask_b32_e64 v22, v1, v10, s2
	v_cndmask_b32_e64 v23, v5, v14, s2
	;; [unrolled: 1-line block ×3, first 2 shown]
	v_cndmask_b32_e32 v18, v1, v10, vcc_lo
	v_cmp_eq_u32_e32 vcc_lo, 2, v88
	v_cmp_eq_u32_e64 s2, 2, v89
	v_cndmask_b32_e64 v22, v22, v2, s6
	v_cndmask_b32_e32 v20, v20, v2, vcc_lo
	v_cndmask_b32_e32 v21, v21, v6, vcc_lo
	v_cmp_eq_u32_e32 vcc_lo, 4, v87
	v_cndmask_b32_e32 v19, v19, v7, vcc_lo
	v_cndmask_b32_e64 v18, v18, v2, s3
	v_cmp_eq_u32_e64 s3, 3, v88
	s_delay_alu instid0(VALU_DEP_2) | instskip(NEXT) | instid1(VALU_DEP_2)
	v_cndmask_b32_e64 v18, v18, v11, s4
	v_cndmask_b32_e64 v21, v21, v15, s3
	v_cmp_eq_u32_e64 s4, 5, v87
	s_delay_alu instid0(VALU_DEP_3) | instskip(SKIP_1) | instid1(VALU_DEP_3)
	v_cndmask_b32_e32 v18, v18, v3, vcc_lo
	v_cmp_eq_u32_e32 vcc_lo, 4, v88
	v_cndmask_b32_e64 v19, v19, v16, s4
	s_delay_alu instid0(VALU_DEP_3) | instskip(SKIP_4) | instid1(VALU_DEP_3)
	v_cndmask_b32_e64 v18, v18, v12, s4
	v_cndmask_b32_e32 v21, v21, v7, vcc_lo
	v_cndmask_b32_e64 v20, v20, v11, s3
	v_cmp_eq_u32_e64 s3, 5, v88
	v_cmp_eq_u32_e64 s4, 6, v87
	v_cndmask_b32_e32 v20, v20, v3, vcc_lo
	s_delay_alu instid0(VALU_DEP_3) | instskip(SKIP_1) | instid1(VALU_DEP_4)
	v_cndmask_b32_e64 v21, v21, v16, s3
	v_cmp_eq_u32_e32 vcc_lo, 6, v88
	v_cndmask_b32_e64 v18, v18, v4, s4
	v_cndmask_b32_e64 v19, v19, v8, s4
	;; [unrolled: 1-line block ×3, first 2 shown]
	v_cmp_eq_u32_e64 s3, 1, v89
	v_cmp_eq_u32_e64 s4, 7, v87
	s_delay_alu instid0(VALU_DEP_3) | instskip(NEXT) | instid1(VALU_DEP_3)
	v_cndmask_b32_e32 v20, v20, v4, vcc_lo
	v_cndmask_b32_e64 v1, v1, v10, s3
	v_cndmask_b32_e64 v5, v5, v14, s3
	v_cmp_eq_u32_e64 s3, 3, v86
	v_cndmask_b32_e64 v14, v23, v6, s6
	v_cmp_eq_u32_e64 s6, 3, v89
	v_cndmask_b32_e64 v1, v1, v2, s2
	v_cndmask_b32_e64 v2, v5, v6, s2
	;; [unrolled: 1-line block ×3, first 2 shown]
	v_cmp_eq_u32_e64 s2, 4, v86
	v_cndmask_b32_e64 v6, v14, v15, s3
	v_cndmask_b32_e64 v1, v1, v11, s6
	v_cmp_eq_u32_e64 s3, 4, v89
	v_cndmask_b32_e64 v2, v2, v15, s6
	v_cndmask_b32_e64 v5, v10, v3, s2
	;; [unrolled: 3-line block ×3, first 2 shown]
	v_cndmask_b32_e64 v2, v2, v7, s3
	v_cmp_eq_u32_e64 s2, 5, v89
	v_cndmask_b32_e64 v5, v5, v12, s6
	v_cmp_eq_u32_e64 s3, 6, v86
	;; [unrolled: 2-line block ×3, first 2 shown]
	v_cndmask_b32_e64 v1, v1, v12, s2
	v_cndmask_b32_e64 v2, v2, v16, s2
	;; [unrolled: 1-line block ×4, first 2 shown]
	v_cmp_eq_u32_e64 s2, 7, v89
	v_cndmask_b32_e64 v1, v1, v4, s6
	v_cndmask_b32_e64 v2, v2, v8, s6
	v_cmp_eq_u32_e64 s3, 7, v86
	v_cndmask_b32_e32 v4, v21, v8, vcc_lo
	v_cndmask_b32_e64 v18, v18, v13, s4
	v_cndmask_b32_e64 v20, v20, v13, s5
	;; [unrolled: 1-line block ×8, first 2 shown]
	s_mov_b32 s2, exec_lo
	v_perm_b32 v4, v2, v1, 0x5040100
	v_perm_b32 v3, v3, v5, 0x5040100
	;; [unrolled: 1-line block ×4, first 2 shown]
	ds_store_b128 v9, v[1:4]
	s_waitcnt lgkmcnt(0)
	s_barrier
	buffer_gl0_inv
	v_cmpx_gt_u32_e32 32, v0
	s_cbranch_execz .LBB703_2
; %bb.113:
	s_load_b64 s[0:1], s[0:1], 0x68
	v_lshlrev_b32_e32 v0, 10, v0
	s_lshl_b32 s4, s34, 7
	v_or_b32_e32 v3, s29, v83
	s_mul_i32 s2, s4, s30
	v_lshlrev_b32_e32 v1, 4, v84
	v_lshlrev_b32_e32 v2, 6, v83
	v_and_b32_e32 v0, 0x3800, v0
	s_mul_i32 s2, s2, s7
	v_mul_lo_u32 v8, v3, s4
	s_ashr_i32 s3, s2, 31
	s_delay_alu instid0(SALU_CYCLE_1)
	s_lshl_b64 s[2:3], s[2:3], 1
	v_or3_b32 v16, v0, v1, v2
	ds_load_b128 v[0:3], v16
	ds_load_b128 v[4:7], v16 offset:128
	v_ashrrev_i32_e32 v9, 31, v8
	s_waitcnt lgkmcnt(0)
	s_add_u32 s2, s0, s2
	s_addc_u32 s3, s1, s3
	s_lshl_b32 s0, s14, 7
	s_delay_alu instid0(SALU_CYCLE_1) | instskip(SKIP_2) | instid1(SALU_CYCLE_1)
	s_ashr_i32 s1, s0, 31
	v_lshlrev_b64 v[9:10], 1, v[8:9]
	s_lshl_b64 s[0:1], s[0:1], 1
	s_add_u32 s0, s2, s0
	s_addc_u32 s1, s3, s1
	s_lshl_b32 s2, s34, 8
	v_add_co_u32 v30, vcc_lo, s0, v81
	v_add_nc_u32_e32 v11, s2, v8
	v_add_co_ci_u32_e32 v31, vcc_lo, s1, v82, vcc_lo
	s_delay_alu instid0(VALU_DEP_3) | instskip(NEXT) | instid1(VALU_DEP_3)
	v_add_co_u32 v9, vcc_lo, v30, v9
	v_add_nc_u32_e32 v8, s2, v11
	s_delay_alu instid0(VALU_DEP_3) | instskip(SKIP_1) | instid1(VALU_DEP_3)
	v_add_co_ci_u32_e32 v10, vcc_lo, v31, v10, vcc_lo
	v_ashrrev_i32_e32 v12, 31, v11
	v_add_nc_u32_e32 v13, s2, v8
	global_store_b128 v[9:10], v[0:3], off
	v_ashrrev_i32_e32 v9, 31, v8
	v_lshlrev_b64 v[11:12], 1, v[11:12]
	v_ashrrev_i32_e32 v14, 31, v13
	v_add_nc_u32_e32 v10, s2, v13
	s_delay_alu instid0(VALU_DEP_4) | instskip(NEXT) | instid1(VALU_DEP_4)
	v_lshlrev_b64 v[2:3], 1, v[8:9]
	v_add_co_u32 v0, vcc_lo, v30, v11
	s_delay_alu instid0(VALU_DEP_4)
	v_lshlrev_b64 v[8:9], 1, v[13:14]
	v_add_co_ci_u32_e32 v1, vcc_lo, v31, v12, vcc_lo
	v_ashrrev_i32_e32 v11, 31, v10
	v_add_co_u32 v22, vcc_lo, v30, v2
	v_add_nc_u32_e32 v20, s2, v10
	v_add_co_ci_u32_e32 v23, vcc_lo, v31, v3, vcc_lo
	v_add_co_u32 v24, vcc_lo, v30, v8
	global_store_b128 v[0:1], v[4:7], off
	v_add_co_ci_u32_e32 v25, vcc_lo, v31, v9, vcc_lo
	ds_load_b128 v[0:3], v16 offset:256
	ds_load_b128 v[4:7], v16 offset:384
	v_lshlrev_b64 v[26:27], 1, v[10:11]
	ds_load_b128 v[8:11], v16 offset:512
	ds_load_b128 v[12:15], v16 offset:640
	;; [unrolled: 1-line block ×3, first 2 shown]
	v_add_nc_u32_e32 v28, s2, v20
	v_ashrrev_i32_e32 v21, 31, v20
	v_add_co_u32 v26, vcc_lo, v30, v26
	s_delay_alu instid0(VALU_DEP_3) | instskip(NEXT) | instid1(VALU_DEP_3)
	v_ashrrev_i32_e32 v29, 31, v28
	v_lshlrev_b64 v[20:21], 1, v[20:21]
	v_add_co_ci_u32_e32 v27, vcc_lo, v31, v27, vcc_lo
	s_delay_alu instid0(VALU_DEP_3) | instskip(NEXT) | instid1(VALU_DEP_3)
	v_lshlrev_b64 v[28:29], 1, v[28:29]
	v_add_co_u32 v20, vcc_lo, v30, v20
	s_delay_alu instid0(VALU_DEP_4) | instskip(NEXT) | instid1(VALU_DEP_3)
	v_add_co_ci_u32_e32 v21, vcc_lo, v31, v21, vcc_lo
	v_add_co_u32 v28, vcc_lo, v30, v28
	s_delay_alu instid0(VALU_DEP_4)
	v_add_co_ci_u32_e32 v29, vcc_lo, v31, v29, vcc_lo
	s_waitcnt lgkmcnt(4)
	global_store_b128 v[22:23], v[0:3], off
	s_waitcnt lgkmcnt(3)
	global_store_b128 v[24:25], v[4:7], off
	;; [unrolled: 2-line block ×5, first 2 shown]
	s_nop 0
	s_sendmsg sendmsg(MSG_DEALLOC_VGPRS)
	s_endpgm
	.section	.rodata,"a",@progbits
	.p2align	6, 0x0
	.amdhsa_kernel _Z39paged_attention_ll4mi_QKV_mfma16_kernelI14__hip_bfloat16S0_LN4vllm18Fp8KVCacheDataTypeE0EhLi32ELi128ELi256ELb1ELi14EL8MFMAType0EEvPKT_PKT0_S9_ifPKiSB_SB_iPKfiiiPfSE_PS4_PT2_iSD_SD_
		.amdhsa_group_segment_fixed_size 17472
		.amdhsa_private_segment_fixed_size 0
		.amdhsa_kernarg_size 400
		.amdhsa_user_sgpr_count 13
		.amdhsa_user_sgpr_dispatch_ptr 0
		.amdhsa_user_sgpr_queue_ptr 0
		.amdhsa_user_sgpr_kernarg_segment_ptr 1
		.amdhsa_user_sgpr_dispatch_id 0
		.amdhsa_user_sgpr_private_segment_size 0
		.amdhsa_wavefront_size32 1
		.amdhsa_uses_dynamic_stack 0
		.amdhsa_enable_private_segment 0
		.amdhsa_system_sgpr_workgroup_id_x 1
		.amdhsa_system_sgpr_workgroup_id_y 1
		.amdhsa_system_sgpr_workgroup_id_z 1
		.amdhsa_system_sgpr_workgroup_info 0
		.amdhsa_system_vgpr_workitem_id 0
		.amdhsa_next_free_vgpr 157
		.amdhsa_next_free_sgpr 40
		.amdhsa_reserve_vcc 1
		.amdhsa_float_round_mode_32 0
		.amdhsa_float_round_mode_16_64 0
		.amdhsa_float_denorm_mode_32 3
		.amdhsa_float_denorm_mode_16_64 3
		.amdhsa_dx10_clamp 1
		.amdhsa_ieee_mode 1
		.amdhsa_fp16_overflow 0
		.amdhsa_workgroup_processor_mode 1
		.amdhsa_memory_ordered 1
		.amdhsa_forward_progress 0
		.amdhsa_shared_vgpr_count 0
		.amdhsa_exception_fp_ieee_invalid_op 0
		.amdhsa_exception_fp_denorm_src 0
		.amdhsa_exception_fp_ieee_div_zero 0
		.amdhsa_exception_fp_ieee_overflow 0
		.amdhsa_exception_fp_ieee_underflow 0
		.amdhsa_exception_fp_ieee_inexact 0
		.amdhsa_exception_int_div_zero 0
	.end_amdhsa_kernel
	.section	.text._Z39paged_attention_ll4mi_QKV_mfma16_kernelI14__hip_bfloat16S0_LN4vllm18Fp8KVCacheDataTypeE0EhLi32ELi128ELi256ELb1ELi14EL8MFMAType0EEvPKT_PKT0_S9_ifPKiSB_SB_iPKfiiiPfSE_PS4_PT2_iSD_SD_,"axG",@progbits,_Z39paged_attention_ll4mi_QKV_mfma16_kernelI14__hip_bfloat16S0_LN4vllm18Fp8KVCacheDataTypeE0EhLi32ELi128ELi256ELb1ELi14EL8MFMAType0EEvPKT_PKT0_S9_ifPKiSB_SB_iPKfiiiPfSE_PS4_PT2_iSD_SD_,comdat
.Lfunc_end703:
	.size	_Z39paged_attention_ll4mi_QKV_mfma16_kernelI14__hip_bfloat16S0_LN4vllm18Fp8KVCacheDataTypeE0EhLi32ELi128ELi256ELb1ELi14EL8MFMAType0EEvPKT_PKT0_S9_ifPKiSB_SB_iPKfiiiPfSE_PS4_PT2_iSD_SD_, .Lfunc_end703-_Z39paged_attention_ll4mi_QKV_mfma16_kernelI14__hip_bfloat16S0_LN4vllm18Fp8KVCacheDataTypeE0EhLi32ELi128ELi256ELb1ELi14EL8MFMAType0EEvPKT_PKT0_S9_ifPKiSB_SB_iPKfiiiPfSE_PS4_PT2_iSD_SD_
                                        ; -- End function
	.section	.AMDGPU.csdata,"",@progbits
; Kernel info:
; codeLenInByte = 9916
; NumSgprs: 42
; NumVgprs: 157
; ScratchSize: 0
; MemoryBound: 0
; FloatMode: 240
; IeeeMode: 1
; LDSByteSize: 17472 bytes/workgroup (compile time only)
; SGPRBlocks: 5
; VGPRBlocks: 19
; NumSGPRsForWavesPerEU: 42
; NumVGPRsForWavesPerEU: 157
; Occupancy: 9
; WaveLimiterHint : 1
; COMPUTE_PGM_RSRC2:SCRATCH_EN: 0
; COMPUTE_PGM_RSRC2:USER_SGPR: 13
; COMPUTE_PGM_RSRC2:TRAP_HANDLER: 0
; COMPUTE_PGM_RSRC2:TGID_X_EN: 1
; COMPUTE_PGM_RSRC2:TGID_Y_EN: 1
; COMPUTE_PGM_RSRC2:TGID_Z_EN: 1
; COMPUTE_PGM_RSRC2:TIDIG_COMP_CNT: 0
	.section	.text._Z39paged_attention_ll4mi_QKV_mfma16_kernelI14__hip_bfloat16S0_LN4vllm18Fp8KVCacheDataTypeE0EhLi32ELi128ELi256ELb1ELi15EL8MFMAType0EEvPKT_PKT0_S9_ifPKiSB_SB_iPKfiiiPfSE_PS4_PT2_iSD_SD_,"axG",@progbits,_Z39paged_attention_ll4mi_QKV_mfma16_kernelI14__hip_bfloat16S0_LN4vllm18Fp8KVCacheDataTypeE0EhLi32ELi128ELi256ELb1ELi15EL8MFMAType0EEvPKT_PKT0_S9_ifPKiSB_SB_iPKfiiiPfSE_PS4_PT2_iSD_SD_,comdat
	.protected	_Z39paged_attention_ll4mi_QKV_mfma16_kernelI14__hip_bfloat16S0_LN4vllm18Fp8KVCacheDataTypeE0EhLi32ELi128ELi256ELb1ELi15EL8MFMAType0EEvPKT_PKT0_S9_ifPKiSB_SB_iPKfiiiPfSE_PS4_PT2_iSD_SD_ ; -- Begin function _Z39paged_attention_ll4mi_QKV_mfma16_kernelI14__hip_bfloat16S0_LN4vllm18Fp8KVCacheDataTypeE0EhLi32ELi128ELi256ELb1ELi15EL8MFMAType0EEvPKT_PKT0_S9_ifPKiSB_SB_iPKfiiiPfSE_PS4_PT2_iSD_SD_
	.globl	_Z39paged_attention_ll4mi_QKV_mfma16_kernelI14__hip_bfloat16S0_LN4vllm18Fp8KVCacheDataTypeE0EhLi32ELi128ELi256ELb1ELi15EL8MFMAType0EEvPKT_PKT0_S9_ifPKiSB_SB_iPKfiiiPfSE_PS4_PT2_iSD_SD_
	.p2align	8
	.type	_Z39paged_attention_ll4mi_QKV_mfma16_kernelI14__hip_bfloat16S0_LN4vllm18Fp8KVCacheDataTypeE0EhLi32ELi128ELi256ELb1ELi15EL8MFMAType0EEvPKT_PKT0_S9_ifPKiSB_SB_iPKfiiiPfSE_PS4_PT2_iSD_SD_,@function
_Z39paged_attention_ll4mi_QKV_mfma16_kernelI14__hip_bfloat16S0_LN4vllm18Fp8KVCacheDataTypeE0EhLi32ELi128ELi256ELb1ELi15EL8MFMAType0EEvPKT_PKT0_S9_ifPKiSB_SB_iPKfiiiPfSE_PS4_PT2_iSD_SD_: ; @_Z39paged_attention_ll4mi_QKV_mfma16_kernelI14__hip_bfloat16S0_LN4vllm18Fp8KVCacheDataTypeE0EhLi32ELi128ELi256ELb1ELi15EL8MFMAType0EEvPKT_PKT0_S9_ifPKiSB_SB_iPKfiiiPfSE_PS4_PT2_iSD_SD_
; %bb.0:
	s_load_b64 s[2:3], s[0:1], 0x30
	s_mov_b32 s30, s13
	s_waitcnt lgkmcnt(0)
	s_cmp_lg_u64 s[2:3], 0
	s_cselect_b32 s6, -1, 0
	s_ashr_i32 s31, s13, 31
	s_cmp_eq_u64 s[2:3], 0
	s_cbranch_scc1 .LBB704_3
; %bb.1:
	s_lshl_b64 s[4:5], s[30:31], 2
	s_delay_alu instid0(SALU_CYCLE_1) | instskip(SKIP_4) | instid1(SALU_CYCLE_1)
	s_add_u32 s4, s2, s4
	s_addc_u32 s5, s3, s5
	s_load_b64 s[4:5], s[4:5], 0x0
	s_waitcnt lgkmcnt(0)
	s_sub_i32 s4, s5, s4
	s_cmp_eq_u32 s4, 1
	s_cselect_b32 s4, -1, 0
	s_delay_alu instid0(SALU_CYCLE_1)
	s_and_not1_b32 vcc_lo, exec_lo, s4
	s_cbranch_vccz .LBB704_4
.LBB704_2:
	s_nop 0
	s_sendmsg sendmsg(MSG_DEALLOC_VGPRS)
	s_endpgm
.LBB704_3:
.LBB704_4:
	s_load_b64 s[8:9], s[0:1], 0x28
	s_lshl_b64 s[4:5], s[30:31], 2
	s_waitcnt lgkmcnt(0)
	s_add_u32 s8, s8, s4
	s_addc_u32 s9, s9, s5
	s_lshl_b32 s12, s14, 8
	s_load_b32 s17, s[8:9], 0x0
	s_waitcnt lgkmcnt(0)
	s_cmp_ge_i32 s12, s17
	s_cbranch_scc1 .LBB704_2
; %bb.5:
	s_and_not1_b32 vcc_lo, exec_lo, s6
	s_cbranch_vccnz .LBB704_7
; %bb.6:
	s_add_u32 s2, s2, s4
	s_addc_u32 s3, s3, s5
	s_load_b32 s13, s[2:3], 0x0
	s_branch .LBB704_8
.LBB704_7:
	s_mov_b32 s13, s30
.LBB704_8:
	s_clause 0x2
	s_load_b128 s[8:11], s[0:1], 0x8
	s_load_b64 s[2:3], s[0:1], 0x20
	s_load_b128 s[4:7], s[0:1], 0x48
	v_lshrrev_b32_e32 v74, 5, v0
	v_bfe_u32 v83, v0, 4, 1
	v_and_b32_e32 v73, 15, v0
	s_waitcnt lgkmcnt(0)
	s_mov_b32 s7, exec_lo
	s_delay_alu instid0(VALU_DEP_2) | instskip(NEXT) | instid1(VALU_DEP_2)
	v_lshl_or_b32 v3, v74, 1, v83
	v_lshlrev_b32_e32 v1, 3, v73
	s_delay_alu instid0(VALU_DEP_2)
	v_cmpx_lt_u32_e32 14, v3
	s_xor_b32 s7, exec_lo, s7
; %bb.9:
	v_mov_b32_e32 v2, 0
                                        ; implicit-def: $vgpr3
; %bb.10:
	s_or_saveexec_b32 s7, s7
	v_and_b32_e32 v75, 31, v0
	v_and_b32_e32 v84, 1, v0
	s_mul_i32 s31, s15, 15
	s_xor_b32 exec_lo, exec_lo, s7
	s_cbranch_execz .LBB704_12
; %bb.11:
	s_load_b64 s[18:19], s[0:1], 0x0
	v_add_lshl_u32 v4, v3, s31, 7
	s_mul_hi_i32 s21, s13, s4
	s_mul_i32 s20, s13, s4
	v_lshlrev_b32_e32 v2, 1, v1
	s_lshl_b64 s[20:21], s[20:21], 1
	v_ashrrev_i32_e32 v5, 31, v4
	v_lshlrev_b32_e32 v3, 6, v3
	v_lshlrev_b32_e32 v8, 10, v84
	s_delay_alu instid0(VALU_DEP_3) | instskip(SKIP_3) | instid1(VALU_DEP_1)
	v_lshlrev_b64 v[4:5], 1, v[4:5]
	s_waitcnt lgkmcnt(0)
	s_add_u32 s4, s18, s20
	s_addc_u32 s13, s19, s21
	v_add_co_u32 v4, vcc_lo, s4, v4
	s_delay_alu instid0(VALU_DEP_2) | instskip(NEXT) | instid1(VALU_DEP_2)
	v_add_co_ci_u32_e32 v5, vcc_lo, s13, v5, vcc_lo
	v_add_co_u32 v4, vcc_lo, v4, v2
	s_delay_alu instid0(VALU_DEP_2) | instskip(SKIP_3) | instid1(VALU_DEP_1)
	v_add_co_ci_u32_e32 v5, vcc_lo, 0, v5, vcc_lo
	v_lshlrev_b32_e32 v2, 10, v73
	global_load_b128 v[4:7], v[4:5], off
	v_and_b32_e32 v2, 0x3800, v2
	v_or3_b32 v3, v2, v8, v3
	v_mov_b32_e32 v2, 0
	s_waitcnt vmcnt(0)
	ds_store_b128 v3, v[4:7]
.LBB704_12:
	s_or_b32 exec_lo, exec_lo, s7
	v_and_b32_e32 v3, 0xef, v0
	s_add_i32 s4, s17, 31
	s_clause 0x1
	s_load_b32 s7, s[0:1], 0x38
	s_load_b32 s18, s[0:1], 0x1c
	s_ashr_i32 s13, s4, 31
	v_add_nc_u32_e32 v3, s12, v3
	s_lshr_b32 s13, s13, 27
	s_waitcnt lgkmcnt(0)
	s_add_i32 s4, s4, s13
	s_barrier
	v_ashrrev_i32_e32 v4, 31, v3
	v_cmp_gt_i32_e32 vcc_lo, s17, v3
	s_ashr_i32 s4, s4, 5
	buffer_gl0_inv
	s_add_i32 s4, s4, -1
	v_lshrrev_b32_e32 v5, 27, v4
	v_or_b32_e32 v4, 16, v3
	v_lshlrev_b64 v[81:82], 1, v[1:2]
	s_delay_alu instid0(VALU_DEP_3) | instskip(NEXT) | instid1(VALU_DEP_3)
	v_add_nc_u32_e32 v6, v3, v5
	v_add_nc_u32_e32 v5, v4, v5
	s_mul_i32 s20, s30, s7
	s_delay_alu instid0(SALU_CYCLE_1) | instskip(NEXT) | instid1(VALU_DEP_2)
	s_ashr_i32 s21, s20, 31
	v_ashrrev_i32_e32 v6, 5, v6
	s_delay_alu instid0(VALU_DEP_2) | instskip(SKIP_1) | instid1(SALU_CYCLE_1)
	v_ashrrev_i32_e32 v5, 5, v5
	s_lshl_b64 s[20:21], s[20:21], 2
	s_add_u32 s7, s2, s20
	s_delay_alu instid0(VALU_DEP_2) | instskip(SKIP_3) | instid1(SALU_CYCLE_1)
	v_cndmask_b32_e32 v3, s4, v6, vcc_lo
	v_cmp_gt_i32_e32 vcc_lo, s17, v4
	s_addc_u32 s13, s3, s21
	s_mul_i32 s2, s15, s6
	s_ashr_i32 s3, s2, 31
	v_cndmask_b32_e32 v5, s4, v5, vcc_lo
	v_ashrrev_i32_e32 v4, 31, v3
	s_lshl_b64 s[2:3], s[2:3], 1
	s_delay_alu instid0(SALU_CYCLE_1) | instskip(NEXT) | instid1(VALU_DEP_2)
	s_add_u32 s6, s8, s2
	v_ashrrev_i32_e32 v6, 31, v5
	s_delay_alu instid0(VALU_DEP_2) | instskip(SKIP_2) | instid1(VALU_DEP_2)
	v_lshlrev_b64 v[3:4], 2, v[3:4]
	s_addc_u32 s15, s9, s3
	s_lshl_b32 s8, s14, 3
	v_lshlrev_b64 v[5:6], 2, v[5:6]
	s_ashr_i32 s9, s8, 31
	s_delay_alu instid0(VALU_DEP_2) | instskip(SKIP_1) | instid1(VALU_DEP_3)
	v_add_co_u32 v3, vcc_lo, s7, v3
	v_add_co_ci_u32_e32 v4, vcc_lo, s13, v4, vcc_lo
	v_add_co_u32 v5, vcc_lo, s7, v5
	s_delay_alu instid0(VALU_DEP_4)
	v_add_co_ci_u32_e32 v6, vcc_lo, s13, v6, vcc_lo
	s_lshl_b64 s[8:9], s[8:9], 2
	s_clause 0x1
	global_load_b32 v7, v[3:4], off
	global_load_b32 v8, v[5:6], off
	s_add_u32 s8, s7, s8
	s_addc_u32 s9, s13, s9
	s_or_b32 s16, s12, 32
	s_delay_alu instid0(SALU_CYCLE_1) | instskip(SKIP_2) | instid1(SALU_CYCLE_1)
	s_ashr_i32 s19, s16, 5
	s_cmp_lt_i32 s16, s17
	s_cselect_b32 s20, s19, s4
	s_ashr_i32 s21, s20, 31
	s_delay_alu instid0(SALU_CYCLE_1) | instskip(NEXT) | instid1(SALU_CYCLE_1)
	s_lshl_b64 s[20:21], s[20:21], 2
	s_add_u32 s20, s7, s20
	s_addc_u32 s21, s13, s21
	s_or_b32 s16, s12, 64
	s_delay_alu instid0(SALU_CYCLE_1) | instskip(SKIP_2) | instid1(SALU_CYCLE_1)
	s_ashr_i32 s19, s16, 5
	s_cmp_lt_i32 s16, s17
	s_cselect_b32 s22, s19, s4
	s_ashr_i32 s23, s22, 31
	s_delay_alu instid0(SALU_CYCLE_1) | instskip(NEXT) | instid1(SALU_CYCLE_1)
	s_lshl_b64 s[22:23], s[22:23], 2
	;; [unrolled: 10-line block ×5, first 2 shown]
	s_add_u32 s28, s7, s28
	s_addc_u32 s29, s13, s29
	s_clause 0x5
	s_load_b32 s16, s[8:9], 0x0
	s_load_b32 s19, s[20:21], 0x0
	;; [unrolled: 1-line block ×6, first 2 shown]
	s_mov_b32 s20, 0
	s_delay_alu instid0(SALU_CYCLE_1)
	s_mov_b32 s27, s20
	s_mov_b32 s21, s20
	;; [unrolled: 1-line block ×7, first 2 shown]
	s_delay_alu instid0(SALU_CYCLE_1)
	v_dual_mov_b32 v108, s27 :: v_dual_mov_b32 v107, s26
	v_dual_mov_b32 v106, s25 :: v_dual_mov_b32 v105, s24
	;; [unrolled: 1-line block ×4, first 2 shown]
	s_waitcnt lgkmcnt(0)
	s_mul_hi_i32 s29, s34, s5
	s_mul_i32 s28, s34, s5
	s_mul_hi_i32 s21, s16, s5
	s_mul_i32 s20, s16, s5
	;; [unrolled: 2-line block ×5, first 2 shown]
	s_waitcnt vmcnt(1)
	v_mad_i64_i32 v[3:4], null, v7, s5, 0
	s_waitcnt vmcnt(0)
	v_mad_i64_i32 v[5:6], null, v8, s5, 0
	s_delay_alu instid0(VALU_DEP_2) | instskip(NEXT) | instid1(VALU_DEP_2)
	v_lshlrev_b64 v[3:4], 1, v[3:4]
	v_lshlrev_b64 v[1:2], 1, v[5:6]
	s_delay_alu instid0(VALU_DEP_2) | instskip(NEXT) | instid1(VALU_DEP_3)
	v_add_co_u32 v3, vcc_lo, s6, v3
	v_add_co_ci_u32_e32 v4, vcc_lo, s15, v4, vcc_lo
	s_delay_alu instid0(VALU_DEP_3) | instskip(NEXT) | instid1(VALU_DEP_4)
	v_add_co_u32 v1, vcc_lo, s6, v1
	v_add_co_ci_u32_e32 v2, vcc_lo, s15, v2, vcc_lo
	s_delay_alu instid0(VALU_DEP_4) | instskip(NEXT) | instid1(VALU_DEP_4)
	v_add_co_u32 v65, vcc_lo, v3, v81
	v_add_co_ci_u32_e32 v66, vcc_lo, v4, v82, vcc_lo
	s_delay_alu instid0(VALU_DEP_4) | instskip(NEXT) | instid1(VALU_DEP_4)
	v_add_co_u32 v76, vcc_lo, v1, v81
	v_add_co_ci_u32_e32 v77, vcc_lo, v2, v82, vcc_lo
	s_clause 0xf
	global_load_b128 v[1:4], v[65:66], off
	global_load_b128 v[5:8], v[65:66], off offset:512
	global_load_b128 v[9:12], v[76:77], off offset:256
	;; [unrolled: 1-line block ×15, first 2 shown]
	v_add_co_u32 v78, vcc_lo, 0x1000, v65
	v_add_co_ci_u32_e32 v79, vcc_lo, 0, v66, vcc_lo
	v_cmp_ne_u32_e32 vcc_lo, 15, v73
	s_clause 0x1
	global_load_b128 v[65:68], v[78:79], off
	global_load_b128 v[69:72], v[78:79], off offset:512
	s_or_b32 s6, s12, 0xc0
	v_cndmask_b32_e32 v80, 0, v73, vcc_lo
	v_add_co_u32 v76, vcc_lo, 0x1000, v76
	v_add_co_ci_u32_e32 v77, vcc_lo, 0, v77, vcc_lo
	s_delay_alu instid0(VALU_DEP_3)
	v_lshlrev_b32_e32 v80, 6, v80
	ds_load_b128 v[85:88], v80
	ds_load_b128 v[89:92], v80 offset:1024
	s_clause 0x1
	global_load_b128 v[93:96], v[76:77], off offset:256
	global_load_b128 v[97:100], v[76:77], off offset:768
	ds_load_b128 v[109:112], v80 offset:2048
	ds_load_b128 v[113:116], v80 offset:3072
	s_ashr_i32 s8, s6, 5
	s_cmp_lt_i32 s6, s17
	s_cselect_b32 s8, s8, s4
	s_delay_alu instid0(SALU_CYCLE_1) | instskip(NEXT) | instid1(SALU_CYCLE_1)
	s_ashr_i32 s9, s8, 31
	s_lshl_b64 s[8:9], s[8:9], 2
	s_delay_alu instid0(SALU_CYCLE_1) | instskip(SKIP_2) | instid1(SALU_CYCLE_1)
	s_add_u32 s8, s7, s8
	s_addc_u32 s9, s13, s9
	s_or_b32 s6, s12, 0xe0
	s_ashr_i32 s15, s6, 5
	s_cmp_lt_i32 s6, s17
	s_cselect_b32 s24, s15, s4
	s_delay_alu instid0(SALU_CYCLE_1) | instskip(NEXT) | instid1(SALU_CYCLE_1)
	s_ashr_i32 s25, s24, 31
	s_lshl_b64 s[24:25], s[24:25], 2
	s_delay_alu instid0(SALU_CYCLE_1) | instskip(SKIP_2) | instid1(SALU_CYCLE_1)
	s_add_u32 s24, s7, s24
	s_addc_u32 s25, s13, s25
	s_add_i32 s6, s12, 0x100
	s_ashr_i32 s15, s6, 5
	s_cmp_lt_i32 s6, s17
	s_cselect_b32 s34, s15, s4
	s_waitcnt vmcnt(18) lgkmcnt(2)
	v_wmma_f32_16x16x16_bf16 v[117:124], v[1:8], v[85:92], v[101:108]
	s_waitcnt vmcnt(16)
	v_wmma_f32_16x16x16_bf16 v[101:108], v[9:16], v[85:92], v[101:108]
	s_clause 0x3
	global_load_b128 v[1:4], v[78:79], off offset:1024
	global_load_b128 v[5:8], v[78:79], off offset:1536
	;; [unrolled: 1-line block ×4, first 2 shown]
	s_waitcnt vmcnt(18) lgkmcnt(0)
	v_wmma_f32_16x16x16_bf16 v[117:124], v[17:24], v[109:116], v[117:124]
	s_clause 0x1
	global_load_b128 v[17:20], v[78:79], off offset:2048
	global_load_b128 v[21:24], v[78:79], off offset:2560
	s_waitcnt vmcnt(18)
	v_wmma_f32_16x16x16_bf16 v[101:108], v[25:32], v[109:116], v[101:108]
	ds_load_b128 v[25:28], v80 offset:4096
	ds_load_b128 v[29:32], v80 offset:5120
	s_clause 0x5
	global_load_b128 v[109:112], v[76:77], off offset:2304
	global_load_b128 v[113:116], v[76:77], off offset:2816
	;; [unrolled: 1-line block ×6, first 2 shown]
	s_waitcnt vmcnt(22) lgkmcnt(0)
	v_wmma_f32_16x16x16_bf16 v[117:124], v[33:40], v[25:32], v[117:124]
	s_waitcnt vmcnt(20)
	v_wmma_f32_16x16x16_bf16 v[101:108], v[41:48], v[25:32], v[101:108]
	ds_load_b128 v[25:28], v80 offset:6144
	ds_load_b128 v[29:32], v80 offset:7168
	;; [unrolled: 1-line block ×4, first 2 shown]
	s_waitcnt vmcnt(18) lgkmcnt(2)
	v_wmma_f32_16x16x16_bf16 v[117:124], v[49:56], v[25:32], v[117:124]
	s_waitcnt vmcnt(16)
	v_wmma_f32_16x16x16_bf16 v[101:108], v[57:64], v[25:32], v[101:108]
	ds_load_b128 v[25:28], v80 offset:10240
	ds_load_b128 v[29:32], v80 offset:11264
	;; [unrolled: 1-line block ×6, first 2 shown]
	s_waitcnt vmcnt(14) lgkmcnt(6)
	v_wmma_f32_16x16x16_bf16 v[117:124], v[65:72], v[33:40], v[117:124]
	s_load_b32 s16, s[8:9], 0x0
	s_mul_hi_i32 s9, s35, s5
	s_mul_i32 s8, s35, s5
	s_ashr_i32 s35, s34, 31
	s_waitcnt vmcnt(12)
	v_wmma_f32_16x16x16_bf16 v[101:108], v[93:100], v[33:40], v[101:108]
	s_lshl_b64 s[34:35], s[34:35], 2
	s_delay_alu instid0(SALU_CYCLE_1)
	s_add_u32 s6, s7, s34
	s_addc_u32 s7, s13, s35
	s_add_u32 s4, s10, s2
	s_addc_u32 s19, s11, s3
	s_lshl_b64 s[2:3], s[20:21], 1
	s_clause 0x1
	s_load_b32 s13, s[24:25], 0x0
	s_load_b32 s15, s[6:7], 0x0
	s_lshl_b64 s[6:7], s[22:23], 1
	s_lshl_b64 s[10:11], s[26:27], 1
	;; [unrolled: 1-line block ×5, first 2 shown]
	s_waitcnt lgkmcnt(0)
	s_mul_hi_i32 s25, s16, s5
	s_mul_i32 s24, s16, s5
	s_waitcnt vmcnt(10)
	v_wmma_f32_16x16x16_bf16 v[117:124], v[1:8], v[25:32], v[117:124]
	s_waitcnt vmcnt(8)
	v_wmma_f32_16x16x16_bf16 v[101:108], v[9:16], v[25:32], v[101:108]
	s_waitcnt vmcnt(6)
	s_delay_alu instid0(VALU_DEP_2) | instskip(SKIP_1) | instid1(VALU_DEP_2)
	v_wmma_f32_16x16x16_bf16 v[117:124], v[17:24], v[141:148], v[117:124]
	s_waitcnt vmcnt(4)
	v_wmma_f32_16x16x16_bf16 v[101:108], v[109:116], v[141:148], v[101:108]
	s_waitcnt vmcnt(2)
	s_delay_alu instid0(VALU_DEP_2) | instskip(SKIP_3) | instid1(VALU_DEP_3)
	v_wmma_f32_16x16x16_bf16 v[117:124], v[125:132], v[149:156], v[117:124]
	v_lshlrev_b32_e32 v85, 6, v73
	s_waitcnt vmcnt(0)
	v_wmma_f32_16x16x16_bf16 v[101:108], v[133:140], v[149:156], v[101:108]
	v_mul_f32_e32 v100, s18, v124
	s_delay_alu instid0(VALU_DEP_3) | instskip(SKIP_2) | instid1(VALU_DEP_3)
	v_lshl_or_b32 v41, v74, 10, v85
	v_mul_f32_e32 v97, s18, v117
	v_mul_f32_e32 v99, s18, v118
	v_add_co_u32 v76, s4, s4, v41
	s_delay_alu instid0(VALU_DEP_1) | instskip(NEXT) | instid1(VALU_DEP_2)
	v_add_co_ci_u32_e64 v77, null, s19, 0, s4
	v_add_co_u32 v41, vcc_lo, v76, s2
	s_delay_alu instid0(VALU_DEP_2)
	v_add_co_ci_u32_e32 v42, vcc_lo, s3, v77, vcc_lo
	v_add_co_u32 v33, vcc_lo, v76, s6
	v_add_co_ci_u32_e32 v34, vcc_lo, s7, v77, vcc_lo
	v_add_co_u32 v35, vcc_lo, v76, s10
	;; [unrolled: 2-line block ×5, first 2 shown]
	s_lshl_b64 s[2:3], s[24:25], 1
	v_add_co_ci_u32_e32 v6, vcc_lo, s23, v77, vcc_lo
	s_mul_hi_i32 s7, s13, s5
	s_mul_i32 s6, s13, s5
	v_add_co_u32 v17, vcc_lo, v76, s2
	v_add_co_ci_u32_e32 v18, vcc_lo, s3, v77, vcc_lo
	s_lshl_b64 s[2:3], s[6:7], 1
	s_mul_hi_i32 s7, s15, s5
	s_mul_i32 s6, s15, s5
	v_add_co_u32 v19, vcc_lo, v76, s2
	v_add_co_ci_u32_e32 v20, vcc_lo, s3, v77, vcc_lo
	s_lshl_b64 s[2:3], s[6:7], 1
	s_clause 0x1
	global_load_b128 v[65:68], v[41:42], off
	global_load_b128 v[69:72], v[41:42], off offset:16
	v_add_co_u32 v21, vcc_lo, v76, s2
	v_add_co_ci_u32_e32 v22, vcc_lo, s3, v77, vcc_lo
	s_clause 0xf
	global_load_b128 v[57:60], v[33:34], off
	global_load_b128 v[61:64], v[33:34], off offset:16
	global_load_b128 v[49:52], v[35:36], off
	global_load_b128 v[53:56], v[35:36], off offset:16
	;; [unrolled: 2-line block ×8, first 2 shown]
	v_mbcnt_lo_u32_b32 v77, -1, 0
	v_and_b32_e32 v76, 0xe0, v0
	s_waitcnt vmcnt(0)
	s_barrier
	buffer_gl0_inv
	v_xor_b32_e32 v78, 16, v77
	s_delay_alu instid0(VALU_DEP_1) | instskip(SKIP_1) | instid1(VALU_DEP_1)
	v_cmp_gt_i32_e32 vcc_lo, 32, v78
	v_dual_cndmask_b32 v77, v77, v78 :: v_dual_add_nc_u32 v76, s12, v76
	v_or_b32_e32 v76, v76, v83
	s_delay_alu instid0(VALU_DEP_1)
	v_or_b32_e32 v78, 2, v76
	v_or_b32_e32 v79, 4, v76
	;; [unrolled: 1-line block ×3, first 2 shown]
	v_cmp_gt_i32_e32 vcc_lo, s17, v76
	v_or_b32_e32 v86, 8, v76
	v_cmp_gt_i32_e64 s2, s17, v78
	v_or_b32_e32 v87, 10, v76
	v_or_b32_e32 v88, 12, v76
	;; [unrolled: 1-line block ×11, first 2 shown]
	v_cndmask_b32_e64 v78, 0xff7fffff, v99, s2
	v_mul_f32_e32 v99, s18, v120
	v_cmp_gt_i32_e64 s3, s17, v80
	v_mul_f32_e32 v80, s18, v119
	v_cndmask_b32_e32 v76, 0xff7fffff, v97, vcc_lo
	v_cmp_gt_i32_e64 s4, s17, v79
	v_mul_f32_e32 v79, s18, v122
	v_cmp_gt_i32_e64 s5, s17, v86
	v_cmp_gt_i32_e64 s6, s17, v87
	v_max3_f32 v76, v76, 0xff7fffff, v78
	v_mul_f32_e32 v78, s18, v121
	v_cndmask_b32_e64 v80, 0xff7fffff, v80, s4
	v_mul_f32_e32 v86, s18, v107
	v_cndmask_b32_e64 v99, 0xff7fffff, v99, s3
	;; [unrolled: 2-line block ×3, first 2 shown]
	v_cndmask_b32_e64 v79, 0xff7fffff, v79, s6
	v_cmp_gt_i32_e64 s7, s17, v89
	v_max3_f32 v76, v76, v80, v99
	v_mul_f32_e32 v80, s18, v108
	v_cmp_gt_i32_e64 s8, s17, v88
	v_dual_mul_f32 v99, s18, v105 :: v_dual_mul_f32 v88, s18, v102
	s_delay_alu instid0(VALU_DEP_4) | instskip(SKIP_1) | instid1(VALU_DEP_4)
	v_max3_f32 v76, v76, v78, v79
	v_mul_f32_e32 v89, s18, v101
	v_cndmask_b32_e64 v97, 0xff7fffff, v97, s8
	v_cndmask_b32_e64 v100, 0xff7fffff, v100, s7
	v_cmp_gt_i32_e64 s9, s17, v90
	v_cmp_gt_i32_e64 s10, s17, v91
	v_dual_mul_f32 v78, s18, v104 :: v_dual_mul_f32 v79, s18, v103
	s_delay_alu instid0(VALU_DEP_4) | instskip(NEXT) | instid1(VALU_DEP_4)
	v_max3_f32 v76, v76, v97, v100
	v_cndmask_b32_e64 v89, 0xff7fffff, v89, s9
	s_delay_alu instid0(VALU_DEP_4)
	v_cndmask_b32_e64 v88, 0xff7fffff, v88, s10
	v_cmp_gt_i32_e64 s11, s17, v92
	v_cmp_gt_i32_e64 s12, s17, v93
	v_mul_f32_e32 v87, s18, v106
	v_cmp_gt_i32_e64 s13, s17, v94
	v_max3_f32 v76, v76, v89, v88
	v_cndmask_b32_e64 v79, 0xff7fffff, v79, s11
	v_cndmask_b32_e64 v78, 0xff7fffff, v78, s12
	v_cmp_gt_i32_e64 s15, s17, v95
	v_cndmask_b32_e64 v88, 0xff7fffff, v99, s13
	v_cmp_gt_i32_e64 s16, s17, v96
	v_cmp_gt_i32_e64 s17, s17, v98
	v_max3_f32 v76, v76, v79, v78
	v_cndmask_b32_e64 v87, 0xff7fffff, v87, s15
	v_lshlrev_b32_e32 v99, 2, v77
	v_cndmask_b32_e64 v78, 0xff7fffff, v86, s16
	v_cndmask_b32_e64 v79, 0xff7fffff, v80, s17
	s_delay_alu instid0(VALU_DEP_4) | instskip(NEXT) | instid1(VALU_DEP_1)
	v_max3_f32 v76, v76, v88, v87
	v_max3_f32 v76, v76, v78, v79
	ds_bpermute_b32 v77, v99, v76
	s_waitcnt lgkmcnt(0)
	v_max_f32_e32 v77, v77, v77
	s_delay_alu instid0(VALU_DEP_1) | instskip(NEXT) | instid1(VALU_DEP_1)
	v_max_f32_e32 v76, v76, v77
	v_fma_f32 v80, s18, v120, -v76
	v_fma_f32 v77, s18, v117, -v76
	;; [unrolled: 1-line block ×5, first 2 shown]
	v_mul_f32_e32 v80, 0x3fb8aa3b, v80
	v_fma_f32 v87, s18, v123, -v76
	v_mul_f32_e32 v78, 0x3fb8aa3b, v78
	v_fma_f32 v88, s18, v105, -v76
	v_mul_f32_e32 v86, 0x3fb8aa3b, v86
	v_exp_f32_e32 v80, v80
	v_fma_f32 v90, s18, v107, -v76
	v_exp_f32_e32 v78, v78
	v_fma_f32 v100, s18, v108, -v76
	v_exp_f32_e32 v86, v86
	v_mul_f32_e32 v88, 0x3fb8aa3b, v88
	s_delay_alu instid0(VALU_DEP_2) | instskip(NEXT) | instid1(TRANS32_DEP_3)
	v_mul_f32_e32 v100, 0x3fb8aa3b, v100
	v_cndmask_b32_e64 v95, 0, v80, s3
	v_mul_f32_e32 v77, 0x3fb8aa3b, v77
	s_delay_alu instid0(TRANS32_DEP_2) | instskip(SKIP_1) | instid1(TRANS32_DEP_1)
	v_cndmask_b32_e64 v91, 0, v78, s2
	v_fma_f32 v80, s18, v101, -v76
	v_cndmask_b32_e64 v96, 0, v86, s5
	v_fma_f32 v86, s18, v102, -v76
	v_exp_f32_e32 v77, v77
	s_delay_alu instid0(VALU_DEP_3) | instskip(SKIP_1) | instid1(VALU_DEP_2)
	v_dual_mul_f32 v79, 0x3fb8aa3b, v79 :: v_dual_mul_f32 v80, 0x3fb8aa3b, v80
	v_exp_f32_e32 v88, v88
	v_mul_f32_e32 v86, 0x3fb8aa3b, v86
	v_cmp_gt_u32_e64 s2, 16, v75
	v_exp_f32_e32 v100, v100
	v_exp_f32_e32 v80, v80
	s_delay_alu instid0(VALU_DEP_2) | instskip(SKIP_3) | instid1(VALU_DEP_1)
	v_exp_f32_e32 v86, v86
	v_cndmask_b32_e32 v92, 0, v77, vcc_lo
	v_exp_f32_e32 v79, v79
	v_fma_f32 v77, s18, v122, -v76
	v_dual_add_f32 v78, 0, v92 :: v_dual_mul_f32 v77, 0x3fb8aa3b, v77
	s_delay_alu instid0(VALU_DEP_1)
	v_add_f32_e32 v78, v78, v91
	s_waitcnt_depctr 0xfff
	v_cndmask_b32_e64 v93, 0, v79, s4
	v_fma_f32 v79, s18, v124, -v76
	v_mul_f32_e32 v87, 0x3fb8aa3b, v87
	v_exp_f32_e32 v77, v77
	s_delay_alu instid0(VALU_DEP_2) | instskip(NEXT) | instid1(VALU_DEP_2)
	v_dual_add_f32 v78, v78, v93 :: v_dual_mul_f32 v79, 0x3fb8aa3b, v79
	v_exp_f32_e32 v87, v87
	s_delay_alu instid0(VALU_DEP_1) | instskip(NEXT) | instid1(VALU_DEP_2)
	v_add_f32_e32 v78, v78, v95
	v_exp_f32_e32 v79, v79
	s_delay_alu instid0(TRANS32_DEP_3) | instskip(NEXT) | instid1(VALU_DEP_2)
	v_cndmask_b32_e64 v97, 0, v77, s6
	v_add_f32_e32 v77, v78, v96
	v_fma_f32 v78, s18, v103, -v76
	s_waitcnt_depctr 0xfff
	v_cndmask_b32_e64 v94, 0, v87, s8
	v_fma_f32 v87, s18, v104, -v76
	v_dual_add_f32 v77, v77, v97 :: v_dual_mul_f32 v78, 0x3fb8aa3b, v78
	v_cndmask_b32_e64 v98, 0, v79, s7
	s_delay_alu instid0(VALU_DEP_2) | instskip(SKIP_4) | instid1(VALU_DEP_2)
	v_add_f32_e32 v79, v77, v94
	v_cndmask_b32_e64 v77, 0, v80, s9
	v_fma_f32 v80, s18, v106, -v76
	v_exp_f32_e32 v89, v78
	v_cndmask_b32_e64 v78, 0, v86, s10
	v_dual_add_f32 v79, v79, v98 :: v_dual_mul_f32 v80, 0x3fb8aa3b, v80
	s_delay_alu instid0(VALU_DEP_1) | instskip(NEXT) | instid1(VALU_DEP_1)
	v_dual_mul_f32 v87, 0x3fb8aa3b, v87 :: v_dual_add_f32 v86, v79, v77
	v_exp_f32_e32 v87, v87
	s_waitcnt_depctr 0xfff
	v_cndmask_b32_e64 v79, 0, v89, s11
	v_add_f32_e32 v86, v86, v78
	v_mul_f32_e32 v89, 0x3fb8aa3b, v90
	v_exp_f32_e32 v90, v80
	v_cndmask_b32_e64 v80, 0, v87, s12
	s_delay_alu instid0(VALU_DEP_3) | instskip(SKIP_1) | instid1(VALU_DEP_2)
	v_add_f32_e32 v87, v86, v79
	v_cndmask_b32_e64 v86, 0, v88, s13
	v_add_f32_e32 v88, v87, v80
	v_exp_f32_e32 v89, v89
	s_waitcnt_depctr 0xfff
	v_cndmask_b32_e64 v87, 0, v90, s15
	v_add_f32_e32 v90, v88, v86
	v_cndmask_b32_e64 v88, 0, v89, s16
	s_delay_alu instid0(VALU_DEP_2) | instskip(NEXT) | instid1(VALU_DEP_1)
	v_add_f32_e32 v89, v90, v87
	v_add_f32_e32 v90, v89, v88
	v_cndmask_b32_e64 v89, 0, v100, s17
	s_delay_alu instid0(VALU_DEP_1)
	v_add_f32_e32 v90, v90, v89
	ds_bpermute_b32 v99, v99, v90
	s_and_saveexec_b32 s3, s2
	s_cbranch_execz .LBB704_14
; %bb.13:
	v_mul_u32_u24_e32 v75, 0x44, v74
	s_waitcnt lgkmcnt(0)
	v_add_f32_e32 v90, v90, v99
	s_delay_alu instid0(VALU_DEP_2) | instskip(NEXT) | instid1(VALU_DEP_1)
	v_lshl_add_u32 v75, v73, 2, v75
	v_add_nc_u32_e32 v75, 0x4000, v75
	ds_store_2addr_b32 v75, v76, v90 offset1:136
.LBB704_14:
	s_or_b32 exec_lo, exec_lo, s3
	v_lshlrev_b32_e32 v75, 2, v73
	s_waitcnt lgkmcnt(0)
	s_barrier
	buffer_gl0_inv
	v_cmp_eq_u32_e64 s3, 1, v74
	v_add_nc_u32_e32 v90, 0x4000, v75
	ds_load_2addr_b32 v[99:100], v90 offset1:17
	ds_load_2addr_b32 v[101:102], v90 offset0:34 offset1:51
	ds_load_2addr_b32 v[103:104], v90 offset0:68 offset1:85
	;; [unrolled: 1-line block ×4, first 2 shown]
	s_waitcnt lgkmcnt(4)
	v_max3_f32 v75, v99, 0xff7fffff, v100
	s_waitcnt lgkmcnt(3)
	s_delay_alu instid0(VALU_DEP_1) | instskip(SKIP_1) | instid1(VALU_DEP_1)
	v_max3_f32 v75, v75, v101, v102
	s_waitcnt lgkmcnt(2)
	v_max3_f32 v75, v75, v103, v104
	s_waitcnt lgkmcnt(1)
	s_delay_alu instid0(VALU_DEP_1) | instskip(NEXT) | instid1(VALU_DEP_1)
	v_max3_f32 v75, v75, v105, v106
	v_sub_f32_e32 v109, v100, v75
	v_sub_f32_e32 v76, v99, v75
	ds_load_2addr_b32 v[99:100], v90 offset0:170 offset1:187
	v_sub_f32_e32 v101, v101, v75
	v_dual_mul_f32 v109, 0x3fb8aa3b, v109 :: v_dual_mul_f32 v76, 0x3fb8aa3b, v76
	s_delay_alu instid0(VALU_DEP_2) | instskip(NEXT) | instid1(VALU_DEP_2)
	v_mul_f32_e32 v111, 0x3fb8aa3b, v101
	v_exp_f32_e32 v109, v109
	s_delay_alu instid0(VALU_DEP_2)
	v_exp_f32_e32 v110, v76
	v_sub_f32_e32 v76, v102, v75
	ds_load_2addr_b32 v[101:102], v90 offset0:204 offset1:221
	v_exp_f32_e32 v111, v111
	v_mul_f32_e32 v112, 0x3fb8aa3b, v76
	s_waitcnt lgkmcnt(2)
	v_fma_f32 v76, v110, v107, 0
	v_sub_f32_e32 v103, v103, v75
	s_delay_alu instid0(VALU_DEP_3) | instskip(NEXT) | instid1(VALU_DEP_2)
	v_exp_f32_e32 v112, v112
	v_dual_sub_f32 v107, v104, v75 :: v_dual_fmac_f32 v76, v109, v108
	s_waitcnt lgkmcnt(1)
	s_waitcnt_depctr 0xfff
	v_fmac_f32_e32 v76, v111, v99
	v_mul_f32_e32 v113, 0x3fb8aa3b, v103
	ds_load_2addr_b32 v[103:104], v90 offset0:238 offset1:255
	v_sub_f32_e32 v90, v105, v75
	v_dual_sub_f32 v99, v106, v75 :: v_dual_fmac_f32 v76, v112, v100
	v_mul_f32_e32 v105, 0x3fb8aa3b, v107
	v_exp_f32_e32 v107, v113
	s_delay_alu instid0(VALU_DEP_2)
	v_dual_mul_f32 v90, 0x3fb8aa3b, v90 :: v_dual_mul_f32 v99, 0x3fb8aa3b, v99
	s_waitcnt lgkmcnt(0)
	s_barrier
	buffer_gl0_inv
	v_exp_f32_e32 v90, v90
	v_exp_f32_e32 v99, v99
	v_fmac_f32_e32 v76, v107, v101
	v_exp_f32_e32 v105, v105
	s_waitcnt_depctr 0xfff
	v_fmac_f32_e32 v76, v105, v102
	s_delay_alu instid0(VALU_DEP_1) | instskip(NEXT) | instid1(VALU_DEP_1)
	v_fmac_f32_e32 v76, v90, v103
	v_fmac_f32_e32 v76, v99, v104
	s_delay_alu instid0(VALU_DEP_1) | instskip(NEXT) | instid1(VALU_DEP_1)
	v_add_f32_e32 v100, 0x358637bd, v76
	v_div_scale_f32 v101, null, v100, v100, 1.0
	v_div_scale_f32 v104, vcc_lo, 1.0, v100, 1.0
	s_delay_alu instid0(VALU_DEP_2) | instskip(SKIP_2) | instid1(VALU_DEP_1)
	v_rcp_f32_e32 v102, v101
	s_waitcnt_depctr 0xfff
	v_fma_f32 v103, -v101, v102, 1.0
	v_fmac_f32_e32 v102, v103, v102
	v_cndmask_b32_e64 v103, v110, v109, s3
	v_cmp_eq_u32_e64 s3, 2, v74
	s_delay_alu instid0(VALU_DEP_3) | instskip(NEXT) | instid1(VALU_DEP_2)
	v_mul_f32_e32 v106, v104, v102
	v_cndmask_b32_e64 v103, v103, v111, s3
	v_cmp_eq_u32_e64 s3, 3, v74
	s_delay_alu instid0(VALU_DEP_3) | instskip(NEXT) | instid1(VALU_DEP_2)
	v_fma_f32 v108, -v101, v106, v104
	v_cndmask_b32_e64 v103, v103, v112, s3
	v_cmp_eq_u32_e64 s3, 4, v74
	s_delay_alu instid0(VALU_DEP_3) | instskip(NEXT) | instid1(VALU_DEP_2)
	v_fmac_f32_e32 v106, v108, v102
	v_cndmask_b32_e64 v103, v103, v107, s3
	s_delay_alu instid0(VALU_DEP_2) | instskip(SKIP_1) | instid1(VALU_DEP_2)
	v_fma_f32 v101, -v101, v106, v104
	v_cmp_eq_u32_e64 s3, 5, v74
	v_div_fmas_f32 v101, v101, v102, v106
	s_delay_alu instid0(VALU_DEP_2) | instskip(SKIP_2) | instid1(VALU_DEP_3)
	v_cndmask_b32_e64 v103, v103, v105, s3
	v_cmp_eq_u32_e32 vcc_lo, 6, v74
	s_mov_b32 s3, exec_lo
	v_div_fixup_f32 v100, v101, v100, 1.0
	s_delay_alu instid0(VALU_DEP_3) | instskip(SKIP_1) | instid1(VALU_DEP_2)
	v_cndmask_b32_e32 v90, v103, v90, vcc_lo
	v_cmp_eq_u32_e32 vcc_lo, 7, v74
	v_cndmask_b32_e32 v90, v90, v99, vcc_lo
	s_delay_alu instid0(VALU_DEP_1) | instskip(NEXT) | instid1(VALU_DEP_1)
	v_mul_f32_e32 v90, v90, v100
	v_mul_f32_e32 v100, v90, v92
	;; [unrolled: 1-line block ×6, first 2 shown]
	v_and_b32_e32 v101, 0x7f800000, v100
	v_mul_f32_e32 v99, v90, v95
	v_mul_f32_e32 v95, v90, v91
	v_mul_f32_e32 v96, v90, v93
                                        ; implicit-def: $vgpr91
	s_delay_alu instid0(VALU_DEP_4)
	v_cmpx_ne_u32_e32 0x7f800000, v101
	s_xor_b32 s3, exec_lo, s3
; %bb.15:
	v_bfe_u32 v91, v100, 16, 1
	s_delay_alu instid0(VALU_DEP_1)
	v_add3_u32 v91, v100, v91, 0x7fff
                                        ; implicit-def: $vgpr100
; %bb.16:
	s_and_not1_saveexec_b32 s3, s3
; %bb.17:
	v_and_b32_e32 v91, 0xffff, v100
	v_or_b32_e32 v93, 0x10000, v100
	s_delay_alu instid0(VALU_DEP_2) | instskip(NEXT) | instid1(VALU_DEP_2)
	v_cmp_eq_u32_e32 vcc_lo, 0, v91
	v_cndmask_b32_e32 v91, v93, v100, vcc_lo
; %bb.18:
	s_or_b32 exec_lo, exec_lo, s3
	v_and_b32_e32 v93, 0x7f800000, v95
	s_delay_alu instid0(VALU_DEP_1) | instskip(SKIP_1) | instid1(SALU_CYCLE_1)
	v_cmp_ne_u32_e32 vcc_lo, 0x7f800000, v93
                                        ; implicit-def: $vgpr93
	s_and_saveexec_b32 s3, vcc_lo
	s_xor_b32 s3, exec_lo, s3
; %bb.19:
	v_bfe_u32 v93, v95, 16, 1
	s_delay_alu instid0(VALU_DEP_1)
	v_add3_u32 v93, v95, v93, 0x7fff
                                        ; implicit-def: $vgpr95
; %bb.20:
	s_and_not1_saveexec_b32 s3, s3
; %bb.21:
	v_and_b32_e32 v93, 0xffff, v95
	v_or_b32_e32 v100, 0x10000, v95
	s_delay_alu instid0(VALU_DEP_2) | instskip(NEXT) | instid1(VALU_DEP_2)
	v_cmp_eq_u32_e32 vcc_lo, 0, v93
	v_cndmask_b32_e32 v93, v100, v95, vcc_lo
; %bb.22:
	s_or_b32 exec_lo, exec_lo, s3
	v_and_b32_e32 v95, 0x7f800000, v96
	s_delay_alu instid0(VALU_DEP_1) | instskip(SKIP_1) | instid1(SALU_CYCLE_1)
	v_cmp_ne_u32_e32 vcc_lo, 0x7f800000, v95
                                        ; implicit-def: $vgpr95
	s_and_saveexec_b32 s3, vcc_lo
	s_xor_b32 s3, exec_lo, s3
; %bb.23:
	v_bfe_u32 v95, v96, 16, 1
	s_delay_alu instid0(VALU_DEP_1)
	v_add3_u32 v95, v96, v95, 0x7fff
                                        ; implicit-def: $vgpr96
; %bb.24:
	s_and_not1_saveexec_b32 s3, s3
; %bb.25:
	v_and_b32_e32 v95, 0xffff, v96
	v_or_b32_e32 v100, 0x10000, v96
	s_delay_alu instid0(VALU_DEP_2) | instskip(NEXT) | instid1(VALU_DEP_2)
	v_cmp_eq_u32_e32 vcc_lo, 0, v95
	v_cndmask_b32_e32 v95, v100, v96, vcc_lo
; %bb.26:
	s_or_b32 exec_lo, exec_lo, s3
	v_and_b32_e32 v96, 0x7f800000, v99
	s_delay_alu instid0(VALU_DEP_1) | instskip(SKIP_1) | instid1(SALU_CYCLE_1)
	v_cmp_ne_u32_e32 vcc_lo, 0x7f800000, v96
                                        ; implicit-def: $vgpr96
	s_and_saveexec_b32 s3, vcc_lo
	s_xor_b32 s3, exec_lo, s3
; %bb.27:
	v_bfe_u32 v96, v99, 16, 1
	s_delay_alu instid0(VALU_DEP_1)
	v_add3_u32 v96, v99, v96, 0x7fff
                                        ; implicit-def: $vgpr99
; %bb.28:
	s_and_not1_saveexec_b32 s3, s3
; %bb.29:
	v_and_b32_e32 v96, 0xffff, v99
	v_or_b32_e32 v100, 0x10000, v99
	s_delay_alu instid0(VALU_DEP_2) | instskip(NEXT) | instid1(VALU_DEP_2)
	v_cmp_eq_u32_e32 vcc_lo, 0, v96
	v_cndmask_b32_e32 v96, v100, v99, vcc_lo
; %bb.30:
	s_or_b32 exec_lo, exec_lo, s3
	v_and_b32_e32 v99, 0x7f800000, v98
	s_delay_alu instid0(VALU_DEP_1) | instskip(SKIP_1) | instid1(SALU_CYCLE_1)
	v_cmp_ne_u32_e32 vcc_lo, 0x7f800000, v99
                                        ; implicit-def: $vgpr99
	s_and_saveexec_b32 s3, vcc_lo
	s_xor_b32 s3, exec_lo, s3
; %bb.31:
	v_bfe_u32 v99, v98, 16, 1
	s_delay_alu instid0(VALU_DEP_1)
	v_add3_u32 v99, v98, v99, 0x7fff
                                        ; implicit-def: $vgpr98
; %bb.32:
	s_and_not1_saveexec_b32 s3, s3
; %bb.33:
	v_and_b32_e32 v99, 0xffff, v98
	v_or_b32_e32 v100, 0x10000, v98
	s_delay_alu instid0(VALU_DEP_2) | instskip(NEXT) | instid1(VALU_DEP_2)
	v_cmp_eq_u32_e32 vcc_lo, 0, v99
	v_cndmask_b32_e32 v99, v100, v98, vcc_lo
; %bb.34:
	s_or_b32 exec_lo, exec_lo, s3
	v_and_b32_e32 v98, 0x7f800000, v97
	s_delay_alu instid0(VALU_DEP_1) | instskip(SKIP_1) | instid1(SALU_CYCLE_1)
	v_cmp_ne_u32_e32 vcc_lo, 0x7f800000, v98
                                        ; implicit-def: $vgpr98
	s_and_saveexec_b32 s3, vcc_lo
	s_xor_b32 s3, exec_lo, s3
; %bb.35:
	v_bfe_u32 v98, v97, 16, 1
	s_delay_alu instid0(VALU_DEP_1)
	v_add3_u32 v98, v97, v98, 0x7fff
                                        ; implicit-def: $vgpr97
; %bb.36:
	s_and_not1_saveexec_b32 s3, s3
; %bb.37:
	v_and_b32_e32 v98, 0xffff, v97
	v_or_b32_e32 v100, 0x10000, v97
	s_delay_alu instid0(VALU_DEP_2) | instskip(NEXT) | instid1(VALU_DEP_2)
	v_cmp_eq_u32_e32 vcc_lo, 0, v98
	v_cndmask_b32_e32 v98, v100, v97, vcc_lo
; %bb.38:
	s_or_b32 exec_lo, exec_lo, s3
	v_and_b32_e32 v97, 0x7f800000, v94
	s_delay_alu instid0(VALU_DEP_1) | instskip(SKIP_1) | instid1(SALU_CYCLE_1)
	v_cmp_ne_u32_e32 vcc_lo, 0x7f800000, v97
                                        ; implicit-def: $vgpr97
	s_and_saveexec_b32 s3, vcc_lo
	s_xor_b32 s3, exec_lo, s3
; %bb.39:
	v_bfe_u32 v97, v94, 16, 1
	s_delay_alu instid0(VALU_DEP_1)
	v_add3_u32 v97, v94, v97, 0x7fff
                                        ; implicit-def: $vgpr94
; %bb.40:
	s_and_not1_saveexec_b32 s3, s3
; %bb.41:
	v_and_b32_e32 v97, 0xffff, v94
	v_or_b32_e32 v100, 0x10000, v94
	s_delay_alu instid0(VALU_DEP_2) | instskip(NEXT) | instid1(VALU_DEP_2)
	v_cmp_eq_u32_e32 vcc_lo, 0, v97
	v_cndmask_b32_e32 v97, v100, v94, vcc_lo
; %bb.42:
	s_or_b32 exec_lo, exec_lo, s3
	v_and_b32_e32 v94, 0x7f800000, v92
	s_delay_alu instid0(VALU_DEP_1) | instskip(SKIP_1) | instid1(SALU_CYCLE_1)
	v_cmp_ne_u32_e32 vcc_lo, 0x7f800000, v94
                                        ; implicit-def: $vgpr94
	s_and_saveexec_b32 s3, vcc_lo
	s_xor_b32 s3, exec_lo, s3
; %bb.43:
	v_bfe_u32 v94, v92, 16, 1
	s_delay_alu instid0(VALU_DEP_1)
	v_add3_u32 v94, v92, v94, 0x7fff
                                        ; implicit-def: $vgpr92
; %bb.44:
	s_and_not1_saveexec_b32 s3, s3
; %bb.45:
	v_and_b32_e32 v94, 0xffff, v92
	v_or_b32_e32 v100, 0x10000, v92
	s_delay_alu instid0(VALU_DEP_2) | instskip(NEXT) | instid1(VALU_DEP_2)
	v_cmp_eq_u32_e32 vcc_lo, 0, v94
	v_cndmask_b32_e32 v94, v100, v92, vcc_lo
; %bb.46:
	s_or_b32 exec_lo, exec_lo, s3
	s_load_b64 s[34:35], s[0:1], 0x94
	v_lshlrev_b32_e32 v92, 4, v83
	s_delay_alu instid0(VALU_DEP_2)
	v_perm_b32 v100, v94, v97, 0x7060302
	v_dual_mul_f32 v89, v90, v89 :: v_dual_lshlrev_b32 v94, 11, v74
	v_perm_b32 v97, v93, v91, 0x7060302
	v_mul_f32_e32 v93, v90, v77
	v_perm_b32 v99, v98, v99, 0x7060302
	v_perm_b32 v98, v96, v95, 0x7060302
	v_or3_b32 v77, v92, v94, v85
	v_mul_f32_e32 v88, v90, v88
	v_dual_mul_f32 v87, v90, v87 :: v_dual_and_b32 v94, 0x7f800000, v93
	v_mul_f32_e32 v86, v90, v86
	v_mul_f32_e32 v91, v90, v80
	;; [unrolled: 1-line block ×4, first 2 shown]
	s_mov_b32 s3, exec_lo
	ds_store_b128 v77, v[97:100]
                                        ; implicit-def: $vgpr78
	v_cmpx_ne_u32_e32 0x7f800000, v94
	s_xor_b32 s3, exec_lo, s3
; %bb.47:
	v_bfe_u32 v78, v93, 16, 1
	s_delay_alu instid0(VALU_DEP_1)
	v_add3_u32 v78, v93, v78, 0x7fff
                                        ; implicit-def: $vgpr93
; %bb.48:
	s_and_not1_saveexec_b32 s3, s3
; %bb.49:
	v_and_b32_e32 v78, 0xffff, v93
	v_or_b32_e32 v79, 0x10000, v93
	s_delay_alu instid0(VALU_DEP_2) | instskip(NEXT) | instid1(VALU_DEP_2)
	v_cmp_eq_u32_e32 vcc_lo, 0, v78
	v_cndmask_b32_e32 v78, v79, v93, vcc_lo
; %bb.50:
	s_or_b32 exec_lo, exec_lo, s3
	v_and_b32_e32 v79, 0x7f800000, v80
	s_delay_alu instid0(VALU_DEP_1) | instskip(SKIP_1) | instid1(SALU_CYCLE_1)
	v_cmp_ne_u32_e32 vcc_lo, 0x7f800000, v79
                                        ; implicit-def: $vgpr79
	s_and_saveexec_b32 s3, vcc_lo
	s_xor_b32 s3, exec_lo, s3
; %bb.51:
	v_bfe_u32 v79, v80, 16, 1
	s_delay_alu instid0(VALU_DEP_1)
	v_add3_u32 v79, v80, v79, 0x7fff
                                        ; implicit-def: $vgpr80
; %bb.52:
	s_and_not1_saveexec_b32 s3, s3
; %bb.53:
	v_and_b32_e32 v79, 0xffff, v80
	v_or_b32_e32 v90, 0x10000, v80
	s_delay_alu instid0(VALU_DEP_2) | instskip(NEXT) | instid1(VALU_DEP_2)
	v_cmp_eq_u32_e32 vcc_lo, 0, v79
	v_cndmask_b32_e32 v79, v90, v80, vcc_lo
; %bb.54:
	s_or_b32 exec_lo, exec_lo, s3
	v_and_b32_e32 v80, 0x7f800000, v92
	s_delay_alu instid0(VALU_DEP_1) | instskip(SKIP_1) | instid1(SALU_CYCLE_1)
	v_cmp_ne_u32_e32 vcc_lo, 0x7f800000, v80
                                        ; implicit-def: $vgpr80
	s_and_saveexec_b32 s3, vcc_lo
	s_xor_b32 s3, exec_lo, s3
; %bb.55:
	v_bfe_u32 v80, v92, 16, 1
	s_delay_alu instid0(VALU_DEP_1)
	v_add3_u32 v80, v92, v80, 0x7fff
                                        ; implicit-def: $vgpr92
; %bb.56:
	s_and_not1_saveexec_b32 s3, s3
; %bb.57:
	v_and_b32_e32 v80, 0xffff, v92
	v_or_b32_e32 v90, 0x10000, v92
	s_delay_alu instid0(VALU_DEP_2) | instskip(NEXT) | instid1(VALU_DEP_2)
	v_cmp_eq_u32_e32 vcc_lo, 0, v80
	v_cndmask_b32_e32 v80, v90, v92, vcc_lo
; %bb.58:
	s_or_b32 exec_lo, exec_lo, s3
	v_and_b32_e32 v90, 0x7f800000, v91
	s_delay_alu instid0(VALU_DEP_1) | instskip(SKIP_1) | instid1(SALU_CYCLE_1)
	v_cmp_ne_u32_e32 vcc_lo, 0x7f800000, v90
                                        ; implicit-def: $vgpr90
	s_and_saveexec_b32 s3, vcc_lo
	s_xor_b32 s3, exec_lo, s3
; %bb.59:
	v_bfe_u32 v90, v91, 16, 1
	s_delay_alu instid0(VALU_DEP_1)
	v_add3_u32 v90, v91, v90, 0x7fff
                                        ; implicit-def: $vgpr91
; %bb.60:
	s_and_not1_saveexec_b32 s3, s3
; %bb.61:
	v_and_b32_e32 v90, 0xffff, v91
	v_or_b32_e32 v92, 0x10000, v91
	s_delay_alu instid0(VALU_DEP_2) | instskip(NEXT) | instid1(VALU_DEP_2)
	v_cmp_eq_u32_e32 vcc_lo, 0, v90
	v_cndmask_b32_e32 v90, v92, v91, vcc_lo
; %bb.62:
	s_or_b32 exec_lo, exec_lo, s3
	v_and_b32_e32 v91, 0x7f800000, v86
	s_delay_alu instid0(VALU_DEP_1) | instskip(SKIP_1) | instid1(SALU_CYCLE_1)
	v_cmp_ne_u32_e32 vcc_lo, 0x7f800000, v91
                                        ; implicit-def: $vgpr91
	s_and_saveexec_b32 s3, vcc_lo
	s_xor_b32 s3, exec_lo, s3
; %bb.63:
	v_bfe_u32 v91, v86, 16, 1
	s_delay_alu instid0(VALU_DEP_1)
	v_add3_u32 v91, v86, v91, 0x7fff
                                        ; implicit-def: $vgpr86
; %bb.64:
	s_and_not1_saveexec_b32 s3, s3
; %bb.65:
	v_and_b32_e32 v91, 0xffff, v86
	v_or_b32_e32 v92, 0x10000, v86
	s_delay_alu instid0(VALU_DEP_2) | instskip(NEXT) | instid1(VALU_DEP_2)
	v_cmp_eq_u32_e32 vcc_lo, 0, v91
	v_cndmask_b32_e32 v91, v92, v86, vcc_lo
; %bb.66:
	s_or_b32 exec_lo, exec_lo, s3
	v_and_b32_e32 v86, 0x7f800000, v87
	s_delay_alu instid0(VALU_DEP_1) | instskip(SKIP_1) | instid1(SALU_CYCLE_1)
	v_cmp_ne_u32_e32 vcc_lo, 0x7f800000, v86
                                        ; implicit-def: $vgpr86
	s_and_saveexec_b32 s3, vcc_lo
	s_xor_b32 s3, exec_lo, s3
; %bb.67:
	v_bfe_u32 v86, v87, 16, 1
	s_delay_alu instid0(VALU_DEP_1)
	v_add3_u32 v86, v87, v86, 0x7fff
                                        ; implicit-def: $vgpr87
; %bb.68:
	s_and_not1_saveexec_b32 s3, s3
; %bb.69:
	v_and_b32_e32 v86, 0xffff, v87
	v_or_b32_e32 v92, 0x10000, v87
	s_delay_alu instid0(VALU_DEP_2) | instskip(NEXT) | instid1(VALU_DEP_2)
	v_cmp_eq_u32_e32 vcc_lo, 0, v86
	v_cndmask_b32_e32 v86, v92, v87, vcc_lo
; %bb.70:
	s_or_b32 exec_lo, exec_lo, s3
	v_and_b32_e32 v87, 0x7f800000, v88
	s_delay_alu instid0(VALU_DEP_1) | instskip(SKIP_1) | instid1(SALU_CYCLE_1)
	v_cmp_ne_u32_e32 vcc_lo, 0x7f800000, v87
                                        ; implicit-def: $vgpr87
	s_and_saveexec_b32 s3, vcc_lo
	s_xor_b32 s3, exec_lo, s3
; %bb.71:
	v_bfe_u32 v87, v88, 16, 1
	s_delay_alu instid0(VALU_DEP_1)
	v_add3_u32 v87, v88, v87, 0x7fff
                                        ; implicit-def: $vgpr88
; %bb.72:
	s_and_not1_saveexec_b32 s3, s3
; %bb.73:
	v_and_b32_e32 v87, 0xffff, v88
	v_or_b32_e32 v92, 0x10000, v88
	s_delay_alu instid0(VALU_DEP_2) | instskip(NEXT) | instid1(VALU_DEP_2)
	v_cmp_eq_u32_e32 vcc_lo, 0, v87
	v_cndmask_b32_e32 v87, v92, v88, vcc_lo
; %bb.74:
	s_or_b32 exec_lo, exec_lo, s3
	v_and_b32_e32 v88, 0x7f800000, v89
	s_delay_alu instid0(VALU_DEP_1) | instskip(SKIP_1) | instid1(SALU_CYCLE_1)
	v_cmp_ne_u32_e32 vcc_lo, 0x7f800000, v88
                                        ; implicit-def: $vgpr88
	s_and_saveexec_b32 s3, vcc_lo
	s_xor_b32 s3, exec_lo, s3
; %bb.75:
	v_bfe_u32 v88, v89, 16, 1
	s_delay_alu instid0(VALU_DEP_1)
	v_add3_u32 v88, v89, v88, 0x7fff
                                        ; implicit-def: $vgpr89
; %bb.76:
	s_and_not1_saveexec_b32 s3, s3
; %bb.77:
	v_and_b32_e32 v88, 0xffff, v89
	v_or_b32_e32 v92, 0x10000, v89
	s_delay_alu instid0(VALU_DEP_2) | instskip(NEXT) | instid1(VALU_DEP_2)
	v_cmp_eq_u32_e32 vcc_lo, 0, v88
	v_cndmask_b32_e32 v88, v92, v89, vcc_lo
; %bb.78:
	s_or_b32 exec_lo, exec_lo, s3
	s_delay_alu instid0(VALU_DEP_1)
	v_perm_b32 v89, v88, v87, 0x7060302
	v_perm_b32 v88, v86, v91, 0x7060302
	;; [unrolled: 1-line block ×4, first 2 shown]
	v_lshl_or_b32 v90, v74, 11, v85
	ds_store_b128 v77, v[86:89] offset:1024
	s_waitcnt lgkmcnt(0)
	s_barrier
	buffer_gl0_inv
	ds_load_b128 v[91:94], v90
	ds_load_b128 v[95:98], v90 offset:16
	v_lshlrev_b32_e32 v87, 2, v83
	s_delay_alu instid0(VALU_DEP_1)
	v_or_b32_e32 v88, 1, v87
	v_cmp_eq_u32_e32 vcc_lo, 1, v87
	v_cmp_eq_u32_e64 s4, 2, v87
	v_cmp_eq_u32_e64 s7, 3, v87
	;; [unrolled: 1-line block ×6, first 2 shown]
	v_or_b32_e32 v86, 2, v87
	v_cmp_eq_u32_e64 s10, 5, v87
	v_cmp_eq_u32_e64 s11, 4, v88
	;; [unrolled: 1-line block ×4, first 2 shown]
	s_waitcnt lgkmcnt(1)
	v_lshrrev_b32_e32 v74, 16, v91
	s_waitcnt lgkmcnt(0)
	v_lshrrev_b32_e32 v103, 16, v95
	v_lshrrev_b32_e32 v80, 16, v94
	;; [unrolled: 1-line block ×4, first 2 shown]
	v_cndmask_b32_e32 v89, v91, v74, vcc_lo
	v_cndmask_b32_e32 v99, v95, v103, vcc_lo
	v_cndmask_b32_e64 v100, v91, v74, s3
	v_lshrrev_b32_e32 v79, 16, v93
	v_lshrrev_b32_e32 v108, 16, v97
	v_cndmask_b32_e64 v89, v89, v92, s4
	v_cndmask_b32_e64 v99, v99, v96, s4
	;; [unrolled: 1-line block ×4, first 2 shown]
	v_cmp_eq_u32_e64 s5, 1, v86
	v_cndmask_b32_e64 v89, v89, v78, s7
	v_cndmask_b32_e64 v99, v99, v107, s7
	;; [unrolled: 1-line block ×4, first 2 shown]
	v_lshrrev_b32_e32 v109, 16, v98
	v_cndmask_b32_e64 v89, v89, v93, s9
	v_cndmask_b32_e64 v99, v99, v97, s9
	;; [unrolled: 1-line block ×8, first 2 shown]
	v_cmp_eq_u32_e64 s15, 7, v87
	v_cmp_eq_u32_e64 s16, 6, v88
	v_cndmask_b32_e64 v89, v89, v94, s12
	v_cndmask_b32_e64 v99, v99, v98, s12
	v_cmp_eq_u32_e64 s17, 2, v86
	v_cndmask_b32_e64 v101, v101, v97, s11
	v_cndmask_b32_e64 v100, v100, v94, s16
	;; [unrolled: 1-line block ×6, first 2 shown]
	v_cmp_eq_u32_e64 s18, 7, v88
	v_cmp_eq_u32_e64 s19, 3, v86
	;; [unrolled: 1-line block ×4, first 2 shown]
	v_cndmask_b32_e64 v99, v99, v96, s17
	v_cndmask_b32_e64 v112, v100, v80, s18
	;; [unrolled: 1-line block ×4, first 2 shown]
	v_or_b32_e32 v89, 3, v87
	v_cndmask_b32_e64 v105, v99, v107, s19
	v_cmp_eq_u32_e64 s24, 6, v86
	v_cndmask_b32_e64 v113, v100, v98, s16
	v_cndmask_b32_e64 v104, v101, v93, s20
	ds_load_b128 v[99:102], v90 offset:1024
	v_cmp_eq_u32_e64 s21, 1, v89
	v_cmp_eq_u32_e64 s23, 2, v89
	;; [unrolled: 1-line block ×3, first 2 shown]
	v_cndmask_b32_e64 v114, v104, v79, s22
	v_cmp_eq_u32_e64 s26, 4, v89
	v_cndmask_b32_e64 v74, v91, v74, s21
	v_cndmask_b32_e64 v91, v105, v97, s20
	;; [unrolled: 1-line block ×3, first 2 shown]
	ds_load_b128 v[103:106], v90 offset:1040
	v_cmp_eq_u32_e64 s28, 5, v89
	v_cndmask_b32_e64 v74, v74, v92, s23
	v_cndmask_b32_e64 v91, v91, v108, s22
	;; [unrolled: 1-line block ×3, first 2 shown]
	v_cmp_eq_u32_e64 s29, 6, v89
	v_cndmask_b32_e64 v95, v113, v109, s18
	v_cndmask_b32_e64 v74, v74, v78, s25
	;; [unrolled: 1-line block ×5, first 2 shown]
	s_waitcnt lgkmcnt(1)
	v_lshrrev_b32_e32 v96, 16, v99
	v_cndmask_b32_e64 v74, v74, v93, s26
	v_lshrrev_b32_e32 v107, 16, v100
	v_cndmask_b32_e64 v92, v92, v97, s26
	v_cmp_eq_u32_e64 s27, 7, v86
	v_cndmask_b32_e32 v93, v99, v96, vcc_lo
	v_cndmask_b32_e64 v74, v74, v79, s28
	s_delay_alu instid0(VALU_DEP_4)
	v_cndmask_b32_e64 v79, v92, v108, s28
	s_waitcnt lgkmcnt(0)
	v_lshrrev_b32_e32 v97, 16, v103
	v_cndmask_b32_e64 v92, v93, v100, s4
	v_cndmask_b32_e64 v93, v99, v96, s3
	v_cndmask_b32_e64 v74, v74, v94, s29
	v_cndmask_b32_e64 v79, v79, v98, s29
	v_cndmask_b32_e32 v108, v103, v97, vcc_lo
	v_cndmask_b32_e64 v92, v92, v107, s7
	v_cndmask_b32_e64 v93, v93, v100, s6
	v_lshrrev_b32_e32 v98, 16, v104
	v_cmp_eq_u32_e32 vcc_lo, 7, v89
	v_cndmask_b32_e64 v94, v108, v104, s4
	v_cndmask_b32_e64 v92, v92, v101, s9
	v_lshrrev_b32_e32 v108, 16, v101
	v_cndmask_b32_e64 v93, v93, v107, s8
	v_cndmask_b32_e32 v74, v74, v80, vcc_lo
	v_cndmask_b32_e64 v94, v94, v98, s7
	v_cndmask_b32_e32 v79, v79, v109, vcc_lo
	v_cndmask_b32_e64 v92, v92, v108, s10
	v_cndmask_b32_e64 v78, v78, v80, s27
	;; [unrolled: 1-line block ×4, first 2 shown]
	v_perm_b32 v94, v79, v74, 0x5040100
	v_cndmask_b32_e64 v79, v92, v102, s12
	v_perm_b32 v92, v95, v112, 0x5040100
	v_cndmask_b32_e64 v95, v99, v96, s5
	v_cndmask_b32_e64 v96, v99, v96, s21
	;; [unrolled: 1-line block ×16, first 2 shown]
	v_lshrrev_b32_e32 v109, 16, v105
	v_cndmask_b32_e64 v95, v95, v101, s20
	v_cndmask_b32_e64 v96, v96, v101, s26
	;; [unrolled: 1-line block ×6, first 2 shown]
	v_lshrrev_b32_e32 v80, 16, v102
	v_cndmask_b32_e64 v113, v93, v109, s10
	v_cndmask_b32_e64 v95, v95, v108, s22
	;; [unrolled: 1-line block ×6, first 2 shown]
	v_perm_b32 v93, v91, v78, 0x5040100
	v_cndmask_b32_e64 v74, v74, v102, s16
	v_cndmask_b32_e64 v78, v79, v80, s15
	;; [unrolled: 1-line block ×3, first 2 shown]
	v_lshrrev_b32_e32 v91, 16, v106
	v_cndmask_b32_e64 v95, v95, v102, s24
	v_cndmask_b32_e64 v96, v96, v102, s29
	;; [unrolled: 1-line block ×7, first 2 shown]
	v_cndmask_b32_e32 v80, v96, v80, vcc_lo
	v_cndmask_b32_e32 v96, v98, v91, vcc_lo
	v_cndmask_b32_e64 v99, v99, v91, s27
	v_cndmask_b32_e64 v100, v97, v91, s18
	;; [unrolled: 1-line block ×3, first 2 shown]
	v_perm_b32 v91, v111, v110, 0x5040100
	v_perm_b32 v98, v96, v80, 0x5040100
	;; [unrolled: 1-line block ×5, first 2 shown]
	s_mul_i32 s8, s35, 15
	s_mov_b32 s3, exec_lo
	ds_store_b128 v77, v[91:94]
	ds_store_b128 v77, v[95:98] offset:1024
	v_cmpx_gt_u32_e32 15, v0
	s_cbranch_execz .LBB704_80
; %bb.79:
	s_mul_i32 s4, s8, s30
	s_delay_alu instid0(SALU_CYCLE_1) | instskip(SKIP_1) | instid1(VALU_DEP_1)
	v_add3_u32 v77, s4, s31, v73
	s_load_b128 s[4:7], s[0:1], 0x58
	v_mad_u64_u32 v[73:74], null, v77, s34, s[14:15]
	s_delay_alu instid0(VALU_DEP_1) | instskip(NEXT) | instid1(VALU_DEP_1)
	v_ashrrev_i32_e32 v74, 31, v73
	v_lshlrev_b64 v[73:74], 2, v[73:74]
	s_waitcnt lgkmcnt(0)
	s_delay_alu instid0(VALU_DEP_1) | instskip(NEXT) | instid1(VALU_DEP_2)
	v_add_co_u32 v77, vcc_lo, s6, v73
	v_add_co_ci_u32_e32 v78, vcc_lo, s7, v74, vcc_lo
	v_add_co_u32 v73, vcc_lo, s4, v73
	v_add_co_ci_u32_e32 v74, vcc_lo, s5, v74, vcc_lo
	global_store_b32 v[77:78], v75, off
	global_store_b32 v[73:74], v76, off
.LBB704_80:
	s_or_b32 exec_lo, exec_lo, s3
	s_waitcnt lgkmcnt(0)
	s_waitcnt_vscnt null, 0x0
	s_barrier
	buffer_gl0_inv
	ds_load_b128 v[91:94], v85
	ds_load_b128 v[95:98], v85 offset:16
	ds_load_b128 v[103:106], v85 offset:1040
	;; [unrolled: 1-line block ×3, first 2 shown]
	v_mov_b32_e32 v73, 0
	ds_load_b128 v[111:114], v85 offset:2064
	ds_load_b128 v[107:110], v85 offset:2048
	;; [unrolled: 1-line block ×6, first 2 shown]
	v_mov_b32_e32 v74, v73
	v_mov_b32_e32 v75, v73
	;; [unrolled: 1-line block ×7, first 2 shown]
	s_waitcnt lgkmcnt(8)
	s_delay_alu instid0(VALU_DEP_1)
	v_wmma_f32_16x16x16_bf16 v[73:80], v[65:72], v[91:98], v[73:80]
	ds_load_b128 v[69:72], v85 offset:5136
	ds_load_b128 v[65:68], v85 offset:5120
	;; [unrolled: 1-line block ×4, first 2 shown]
	s_waitcnt lgkmcnt(10)
	v_wmma_f32_16x16x16_bf16 v[73:80], v[57:64], v[99:106], v[73:80]
	s_waitcnt lgkmcnt(8)
	s_delay_alu instid0(VALU_DEP_1)
	v_wmma_f32_16x16x16_bf16 v[73:80], v[57:64], v[107:114], v[73:80]
	ds_load_b128 v[61:64], v85 offset:7184
	ds_load_b128 v[57:60], v85 offset:7168
	;; [unrolled: 1-line block ×4, first 2 shown]
	s_waitcnt lgkmcnt(10)
	v_wmma_f32_16x16x16_bf16 v[73:80], v[49:56], v[115:122], v[73:80]
	s_waitcnt lgkmcnt(8)
	s_delay_alu instid0(VALU_DEP_1)
	v_wmma_f32_16x16x16_bf16 v[73:80], v[49:56], v[123:130], v[73:80]
	ds_load_b128 v[53:56], v85 offset:9232
	ds_load_b128 v[49:52], v85 offset:9216
	s_waitcnt lgkmcnt(8)
	v_wmma_f32_16x16x16_bf16 v[73:80], v[41:48], v[65:72], v[73:80]
	ds_load_b128 v[69:72], v85 offset:10256
	ds_load_b128 v[65:68], v85 offset:10240
	s_waitcnt lgkmcnt(8)
	;; [unrolled: 4-line block ×3, first 2 shown]
	v_wmma_f32_16x16x16_bf16 v[73:80], v[9:16], v[57:64], v[73:80]
	s_waitcnt lgkmcnt(6)
	s_delay_alu instid0(VALU_DEP_1)
	v_wmma_f32_16x16x16_bf16 v[73:80], v[9:16], v[99:106], v[73:80]
	ds_load_b128 v[13:16], v85 offset:12304
	ds_load_b128 v[9:12], v85 offset:12288
	s_waitcnt lgkmcnt(6)
	v_wmma_f32_16x16x16_bf16 v[73:80], v[1:8], v[49:56], v[73:80]
	ds_load_b128 v[53:56], v85 offset:13328
	ds_load_b128 v[49:52], v85 offset:13312
	s_waitcnt lgkmcnt(6)
	;; [unrolled: 4-line block ×4, first 2 shown]
	v_wmma_f32_16x16x16_bf16 v[73:80], v[33:40], v[9:16], v[73:80]
	s_waitcnt lgkmcnt(4)
	s_delay_alu instid0(VALU_DEP_1) | instskip(SKIP_1) | instid1(VALU_DEP_1)
	v_wmma_f32_16x16x16_bf16 v[73:80], v[25:32], v[49:56], v[73:80]
	s_waitcnt lgkmcnt(2)
	v_wmma_f32_16x16x16_bf16 v[73:80], v[25:32], v[1:8], v[73:80]
	s_waitcnt lgkmcnt(0)
	s_delay_alu instid0(VALU_DEP_1) | instskip(NEXT) | instid1(VALU_DEP_1)
	v_wmma_f32_16x16x16_bf16 v[73:80], v[17:24], v[41:48], v[73:80]
	v_and_b32_e32 v1, 0x7f800000, v73
	s_delay_alu instid0(VALU_DEP_1) | instskip(SKIP_1) | instid1(SALU_CYCLE_1)
	v_cmp_ne_u32_e32 vcc_lo, 0x7f800000, v1
                                        ; implicit-def: $vgpr1
	s_and_saveexec_b32 s3, vcc_lo
	s_xor_b32 s3, exec_lo, s3
; %bb.81:
	v_bfe_u32 v1, v73, 16, 1
	s_delay_alu instid0(VALU_DEP_1)
	v_add3_u32 v1, v73, v1, 0x7fff
; %bb.82:
	s_and_not1_saveexec_b32 s3, s3
; %bb.83:
	v_and_b32_e32 v1, 0xffff, v73
	v_or_b32_e32 v2, 0x10000, v73
	s_delay_alu instid0(VALU_DEP_2) | instskip(NEXT) | instid1(VALU_DEP_2)
	v_cmp_eq_u32_e32 vcc_lo, 0, v1
	v_cndmask_b32_e32 v1, v2, v73, vcc_lo
; %bb.84:
	s_or_b32 exec_lo, exec_lo, s3
	v_and_b32_e32 v2, 0x7f800000, v74
	s_delay_alu instid0(VALU_DEP_1) | instskip(SKIP_1) | instid1(SALU_CYCLE_1)
	v_cmp_ne_u32_e32 vcc_lo, 0x7f800000, v2
                                        ; implicit-def: $vgpr2
	s_and_saveexec_b32 s3, vcc_lo
	s_xor_b32 s3, exec_lo, s3
; %bb.85:
	v_bfe_u32 v2, v74, 16, 1
	s_delay_alu instid0(VALU_DEP_1)
	v_add3_u32 v2, v74, v2, 0x7fff
; %bb.86:
	s_and_not1_saveexec_b32 s3, s3
; %bb.87:
	v_and_b32_e32 v2, 0xffff, v74
	v_or_b32_e32 v3, 0x10000, v74
	s_delay_alu instid0(VALU_DEP_2) | instskip(NEXT) | instid1(VALU_DEP_2)
	v_cmp_eq_u32_e32 vcc_lo, 0, v2
	v_cndmask_b32_e32 v2, v3, v74, vcc_lo
; %bb.88:
	s_or_b32 exec_lo, exec_lo, s3
	v_and_b32_e32 v3, 0x7f800000, v75
	s_delay_alu instid0(VALU_DEP_1) | instskip(SKIP_1) | instid1(SALU_CYCLE_1)
	v_cmp_ne_u32_e32 vcc_lo, 0x7f800000, v3
                                        ; implicit-def: $vgpr3
	s_and_saveexec_b32 s3, vcc_lo
	s_xor_b32 s3, exec_lo, s3
; %bb.89:
	v_bfe_u32 v3, v75, 16, 1
	s_delay_alu instid0(VALU_DEP_1)
	v_add3_u32 v3, v75, v3, 0x7fff
; %bb.90:
	s_and_not1_saveexec_b32 s3, s3
; %bb.91:
	v_and_b32_e32 v3, 0xffff, v75
	v_or_b32_e32 v4, 0x10000, v75
	s_delay_alu instid0(VALU_DEP_2) | instskip(NEXT) | instid1(VALU_DEP_2)
	v_cmp_eq_u32_e32 vcc_lo, 0, v3
	v_cndmask_b32_e32 v3, v4, v75, vcc_lo
; %bb.92:
	s_or_b32 exec_lo, exec_lo, s3
	v_and_b32_e32 v4, 0x7f800000, v76
	s_delay_alu instid0(VALU_DEP_1) | instskip(SKIP_1) | instid1(SALU_CYCLE_1)
	v_cmp_ne_u32_e32 vcc_lo, 0x7f800000, v4
                                        ; implicit-def: $vgpr4
	s_and_saveexec_b32 s3, vcc_lo
	s_xor_b32 s3, exec_lo, s3
; %bb.93:
	v_bfe_u32 v4, v76, 16, 1
	s_delay_alu instid0(VALU_DEP_1)
	v_add3_u32 v4, v76, v4, 0x7fff
; %bb.94:
	s_and_not1_saveexec_b32 s3, s3
; %bb.95:
	v_and_b32_e32 v4, 0xffff, v76
	v_or_b32_e32 v5, 0x10000, v76
	s_delay_alu instid0(VALU_DEP_2) | instskip(NEXT) | instid1(VALU_DEP_2)
	v_cmp_eq_u32_e32 vcc_lo, 0, v4
	v_cndmask_b32_e32 v4, v5, v76, vcc_lo
; %bb.96:
	s_or_b32 exec_lo, exec_lo, s3
	v_and_b32_e32 v5, 0x7f800000, v77
	s_delay_alu instid0(VALU_DEP_1) | instskip(SKIP_1) | instid1(SALU_CYCLE_1)
	v_cmp_ne_u32_e32 vcc_lo, 0x7f800000, v5
                                        ; implicit-def: $vgpr5
	s_and_saveexec_b32 s3, vcc_lo
	s_xor_b32 s3, exec_lo, s3
; %bb.97:
	v_bfe_u32 v5, v77, 16, 1
	s_delay_alu instid0(VALU_DEP_1)
	v_add3_u32 v5, v77, v5, 0x7fff
; %bb.98:
	s_and_not1_saveexec_b32 s3, s3
; %bb.99:
	v_and_b32_e32 v5, 0xffff, v77
	v_or_b32_e32 v6, 0x10000, v77
	s_delay_alu instid0(VALU_DEP_2) | instskip(NEXT) | instid1(VALU_DEP_2)
	v_cmp_eq_u32_e32 vcc_lo, 0, v5
	v_cndmask_b32_e32 v5, v6, v77, vcc_lo
; %bb.100:
	s_or_b32 exec_lo, exec_lo, s3
	v_and_b32_e32 v6, 0x7f800000, v78
	s_delay_alu instid0(VALU_DEP_1) | instskip(SKIP_1) | instid1(SALU_CYCLE_1)
	v_cmp_ne_u32_e32 vcc_lo, 0x7f800000, v6
                                        ; implicit-def: $vgpr6
	s_and_saveexec_b32 s3, vcc_lo
	s_xor_b32 s3, exec_lo, s3
; %bb.101:
	v_bfe_u32 v6, v78, 16, 1
	s_delay_alu instid0(VALU_DEP_1)
	v_add3_u32 v6, v78, v6, 0x7fff
; %bb.102:
	s_and_not1_saveexec_b32 s3, s3
; %bb.103:
	v_and_b32_e32 v6, 0xffff, v78
	v_or_b32_e32 v7, 0x10000, v78
	s_delay_alu instid0(VALU_DEP_2) | instskip(NEXT) | instid1(VALU_DEP_2)
	v_cmp_eq_u32_e32 vcc_lo, 0, v6
	v_cndmask_b32_e32 v6, v7, v78, vcc_lo
; %bb.104:
	s_or_b32 exec_lo, exec_lo, s3
	v_and_b32_e32 v7, 0x7f800000, v79
	s_delay_alu instid0(VALU_DEP_1) | instskip(SKIP_1) | instid1(SALU_CYCLE_1)
	v_cmp_ne_u32_e32 vcc_lo, 0x7f800000, v7
                                        ; implicit-def: $vgpr7
	s_and_saveexec_b32 s3, vcc_lo
	s_xor_b32 s3, exec_lo, s3
; %bb.105:
	v_bfe_u32 v7, v79, 16, 1
	s_delay_alu instid0(VALU_DEP_1)
	v_add3_u32 v7, v79, v7, 0x7fff
; %bb.106:
	s_and_not1_saveexec_b32 s3, s3
; %bb.107:
	v_and_b32_e32 v7, 0xffff, v79
	v_or_b32_e32 v8, 0x10000, v79
	s_delay_alu instid0(VALU_DEP_2) | instskip(NEXT) | instid1(VALU_DEP_2)
	v_cmp_eq_u32_e32 vcc_lo, 0, v7
	v_cndmask_b32_e32 v7, v8, v79, vcc_lo
; %bb.108:
	s_or_b32 exec_lo, exec_lo, s3
	v_and_b32_e32 v8, 0x7f800000, v80
	s_delay_alu instid0(VALU_DEP_1) | instskip(SKIP_1) | instid1(SALU_CYCLE_1)
	v_cmp_ne_u32_e32 vcc_lo, 0x7f800000, v8
                                        ; implicit-def: $vgpr8
	s_and_saveexec_b32 s3, vcc_lo
	s_xor_b32 s3, exec_lo, s3
; %bb.109:
	v_bfe_u32 v8, v80, 16, 1
	s_delay_alu instid0(VALU_DEP_1)
	v_add3_u32 v8, v80, v8, 0x7fff
                                        ; implicit-def: $vgpr73_vgpr74_vgpr75_vgpr76_vgpr77_vgpr78_vgpr79_vgpr80
; %bb.110:
	s_and_not1_saveexec_b32 s3, s3
; %bb.111:
	v_and_b32_e32 v8, 0xffff, v80
	v_or_b32_e32 v9, 0x10000, v80
	s_delay_alu instid0(VALU_DEP_2) | instskip(NEXT) | instid1(VALU_DEP_2)
	v_cmp_eq_u32_e32 vcc_lo, 0, v8
	v_cndmask_b32_e32 v8, v9, v80, vcc_lo
; %bb.112:
	s_or_b32 exec_lo, exec_lo, s3
	s_delay_alu instid0(VALU_DEP_1)
	v_perm_b32 v7, v8, v7, 0x7060302
	v_perm_b32 v6, v6, v5, 0x7060302
	;; [unrolled: 1-line block ×4, first 2 shown]
	v_lshl_or_b32 v9, v83, 4, v90
	s_barrier
	buffer_gl0_inv
	v_cmp_eq_u32_e32 vcc_lo, 1, v87
	ds_store_b128 v9, v[4:7]
	s_waitcnt lgkmcnt(0)
	s_barrier
	buffer_gl0_inv
	ds_load_b128 v[1:4], v90
	ds_load_b128 v[5:8], v90 offset:16
	v_cmp_eq_u32_e64 s4, 2, v87
	v_cmp_eq_u32_e64 s3, 1, v88
	;; [unrolled: 1-line block ×5, first 2 shown]
	s_waitcnt lgkmcnt(1)
	v_lshrrev_b32_e32 v10, 16, v1
	s_waitcnt lgkmcnt(0)
	v_lshrrev_b32_e32 v14, 16, v5
	v_lshrrev_b32_e32 v15, 16, v6
	;; [unrolled: 1-line block ×4, first 2 shown]
	v_cndmask_b32_e64 v20, v1, v10, s3
	v_cndmask_b32_e32 v19, v5, v14, vcc_lo
	v_cndmask_b32_e64 v21, v5, v14, s3
	v_lshrrev_b32_e32 v16, 16, v7
	v_cmp_eq_u32_e64 s3, 1, v86
	v_lshrrev_b32_e32 v13, 16, v4
	v_cndmask_b32_e64 v19, v19, v6, s4
	v_lshrrev_b32_e32 v17, 16, v8
	s_delay_alu instid0(VALU_DEP_4) | instskip(SKIP_1) | instid1(VALU_DEP_4)
	v_cndmask_b32_e64 v22, v1, v10, s3
	v_cndmask_b32_e64 v23, v5, v14, s3
	;; [unrolled: 1-line block ×3, first 2 shown]
	v_cndmask_b32_e32 v18, v1, v10, vcc_lo
	v_cmp_eq_u32_e32 vcc_lo, 2, v88
	v_cmp_eq_u32_e64 s3, 2, v89
	v_cndmask_b32_e64 v22, v22, v2, s7
	v_cndmask_b32_e32 v20, v20, v2, vcc_lo
	v_cndmask_b32_e32 v21, v21, v6, vcc_lo
	v_cmp_eq_u32_e32 vcc_lo, 4, v87
	v_cndmask_b32_e32 v19, v19, v7, vcc_lo
	v_cndmask_b32_e64 v18, v18, v2, s4
	v_cmp_eq_u32_e64 s4, 3, v88
	s_delay_alu instid0(VALU_DEP_2) | instskip(NEXT) | instid1(VALU_DEP_2)
	v_cndmask_b32_e64 v18, v18, v11, s5
	v_cndmask_b32_e64 v21, v21, v15, s4
	v_cmp_eq_u32_e64 s5, 5, v87
	s_delay_alu instid0(VALU_DEP_3) | instskip(SKIP_1) | instid1(VALU_DEP_3)
	v_cndmask_b32_e32 v18, v18, v3, vcc_lo
	v_cmp_eq_u32_e32 vcc_lo, 4, v88
	v_cndmask_b32_e64 v19, v19, v16, s5
	s_delay_alu instid0(VALU_DEP_3) | instskip(SKIP_4) | instid1(VALU_DEP_3)
	v_cndmask_b32_e64 v18, v18, v12, s5
	v_cndmask_b32_e32 v21, v21, v7, vcc_lo
	v_cndmask_b32_e64 v20, v20, v11, s4
	v_cmp_eq_u32_e64 s4, 5, v88
	v_cmp_eq_u32_e64 s5, 6, v87
	v_cndmask_b32_e32 v20, v20, v3, vcc_lo
	s_delay_alu instid0(VALU_DEP_3) | instskip(SKIP_1) | instid1(VALU_DEP_4)
	v_cndmask_b32_e64 v21, v21, v16, s4
	v_cmp_eq_u32_e32 vcc_lo, 6, v88
	v_cndmask_b32_e64 v18, v18, v4, s5
	v_cndmask_b32_e64 v19, v19, v8, s5
	v_cndmask_b32_e64 v20, v20, v12, s4
	v_cmp_eq_u32_e64 s4, 1, v89
	v_cmp_eq_u32_e64 s5, 7, v87
	s_delay_alu instid0(VALU_DEP_3) | instskip(NEXT) | instid1(VALU_DEP_3)
	v_cndmask_b32_e32 v20, v20, v4, vcc_lo
	v_cndmask_b32_e64 v1, v1, v10, s4
	v_cndmask_b32_e64 v5, v5, v14, s4
	v_cmp_eq_u32_e64 s4, 3, v86
	v_cndmask_b32_e64 v14, v23, v6, s7
	v_cmp_eq_u32_e64 s7, 3, v89
	v_cndmask_b32_e64 v1, v1, v2, s3
	v_cndmask_b32_e64 v2, v5, v6, s3
	;; [unrolled: 1-line block ×3, first 2 shown]
	v_cmp_eq_u32_e64 s3, 4, v86
	v_cndmask_b32_e64 v6, v14, v15, s4
	v_cndmask_b32_e64 v1, v1, v11, s7
	v_cmp_eq_u32_e64 s4, 4, v89
	v_cndmask_b32_e64 v2, v2, v15, s7
	v_cndmask_b32_e64 v5, v10, v3, s3
	;; [unrolled: 3-line block ×3, first 2 shown]
	v_cndmask_b32_e64 v2, v2, v7, s4
	v_cmp_eq_u32_e64 s3, 5, v89
	v_cndmask_b32_e64 v5, v5, v12, s7
	v_cmp_eq_u32_e64 s4, 6, v86
	;; [unrolled: 2-line block ×3, first 2 shown]
	v_cndmask_b32_e64 v1, v1, v12, s3
	v_cndmask_b32_e64 v2, v2, v16, s3
	;; [unrolled: 1-line block ×4, first 2 shown]
	v_cmp_eq_u32_e64 s3, 7, v89
	v_cndmask_b32_e64 v1, v1, v4, s7
	v_cndmask_b32_e64 v2, v2, v8, s7
	v_cmp_eq_u32_e64 s4, 7, v86
	v_cndmask_b32_e32 v4, v21, v8, vcc_lo
	v_cndmask_b32_e64 v18, v18, v13, s5
	v_cndmask_b32_e64 v20, v20, v13, s6
	;; [unrolled: 1-line block ×8, first 2 shown]
	s_mov_b32 s3, exec_lo
	v_perm_b32 v4, v2, v1, 0x5040100
	v_perm_b32 v3, v3, v5, 0x5040100
	;; [unrolled: 1-line block ×4, first 2 shown]
	ds_store_b128 v9, v[1:4]
	s_waitcnt lgkmcnt(0)
	s_barrier
	buffer_gl0_inv
	v_cmpx_gt_u32_e32 32, v0
	s_cbranch_execz .LBB704_2
; %bb.113:
	s_load_b64 s[4:5], s[0:1], 0x68
	v_add_nc_u32_e32 v20, s31, v83
	v_lshlrev_b32_e32 v0, 10, v0
	v_lshlrev_b32_e32 v1, 4, v84
	s_lshl_b32 s0, s34, 7
	s_delay_alu instid0(SALU_CYCLE_1)
	s_mul_i32 s1, s0, s30
	v_add_nc_u32_e32 v2, 2, v20
	s_mul_i32 s6, s1, s8
	v_and_or_b32 v0, 0x3800, v0, v1
	v_mul_lo_u32 v1, v20, s0
	s_ashr_i32 s7, s6, 31
	v_mul_lo_u32 v11, v2, s0
	s_lshl_b64 s[6:7], s[6:7], 1
	v_add_nc_u32_e32 v3, 4, v20
	v_lshl_or_b32 v21, v83, 6, v0
	v_add_nc_u32_e32 v16, 6, v20
	v_ashrrev_i32_e32 v2, 31, v1
	s_delay_alu instid0(VALU_DEP_4)
	v_mul_lo_u32 v13, v3, s0
	s_waitcnt lgkmcnt(0)
	s_add_u32 s1, s4, s6
	s_addc_u32 s3, s5, s7
	s_lshl_b32 s4, s14, 7
	ds_load_b128 v[3:6], v21
	ds_load_b128 v[7:10], v21 offset:128
	s_ashr_i32 s5, s4, 31
	v_ashrrev_i32_e32 v12, 31, v11
	s_lshl_b64 s[4:5], s[4:5], 1
	v_lshlrev_b64 v[14:15], 1, v[1:2]
	s_add_u32 s1, s1, s4
	s_addc_u32 s3, s3, s5
	v_add_co_u32 v1, vcc_lo, s1, v81
	v_add_co_ci_u32_e32 v2, vcc_lo, s3, v82, vcc_lo
	v_lshlrev_b64 v[11:12], 1, v[11:12]
	s_delay_alu instid0(VALU_DEP_3) | instskip(SKIP_1) | instid1(VALU_DEP_4)
	v_add_co_u32 v18, vcc_lo, v1, v14
	v_mul_lo_u32 v16, v16, s0
	v_add_co_ci_u32_e32 v19, vcc_lo, v2, v15, vcc_lo
	s_delay_alu instid0(VALU_DEP_4)
	v_add_co_u32 v11, vcc_lo, v1, v11
	v_ashrrev_i32_e32 v14, 31, v13
	v_add_co_ci_u32_e32 v12, vcc_lo, v2, v12, vcc_lo
	v_add_nc_u32_e32 v15, 8, v20
	v_ashrrev_i32_e32 v17, 31, v16
	s_waitcnt lgkmcnt(1)
	global_store_b128 v[18:19], v[3:6], off
	v_lshlrev_b64 v[3:4], 1, v[13:14]
	s_waitcnt lgkmcnt(0)
	global_store_b128 v[11:12], v[7:10], off
	v_mul_lo_u32 v11, v15, s0
	v_add_nc_u32_e32 v7, 10, v20
	v_lshlrev_b64 v[5:6], 1, v[16:17]
	v_add_co_u32 v23, vcc_lo, v1, v3
	v_add_nc_u32_e32 v3, 12, v20
	s_delay_alu instid0(VALU_DEP_4)
	v_mul_lo_u32 v25, v7, s0
	v_ashrrev_i32_e32 v12, 31, v11
	v_add_co_ci_u32_e32 v24, vcc_lo, v2, v4, vcc_lo
	v_add_co_u32 v27, vcc_lo, v1, v5
	v_mul_lo_u32 v29, v3, s0
	v_add_co_ci_u32_e32 v28, vcc_lo, v2, v6, vcc_lo
	ds_load_b128 v[3:6], v21 offset:256
	ds_load_b128 v[7:10], v21 offset:384
	v_lshlrev_b64 v[31:32], 1, v[11:12]
	ds_load_b128 v[11:14], v21 offset:512
	ds_load_b128 v[15:18], v21 offset:640
	;; [unrolled: 1-line block ×3, first 2 shown]
	v_ashrrev_i32_e32 v26, 31, v25
	v_ashrrev_i32_e32 v30, 31, v29
	v_add_co_u32 v31, vcc_lo, v1, v31
	s_delay_alu instid0(VALU_DEP_3) | instskip(NEXT) | instid1(VALU_DEP_3)
	v_lshlrev_b64 v[25:26], 1, v[25:26]
	v_lshlrev_b64 v[29:30], 1, v[29:30]
	v_add_co_ci_u32_e32 v32, vcc_lo, v2, v32, vcc_lo
	s_delay_alu instid0(VALU_DEP_3) | instskip(NEXT) | instid1(VALU_DEP_4)
	v_add_co_u32 v25, vcc_lo, v1, v25
	v_add_co_ci_u32_e32 v26, vcc_lo, v2, v26, vcc_lo
	s_delay_alu instid0(VALU_DEP_4)
	v_add_co_u32 v29, vcc_lo, v1, v29
	v_add_co_ci_u32_e32 v30, vcc_lo, v2, v30, vcc_lo
	s_waitcnt lgkmcnt(4)
	global_store_b128 v[23:24], v[3:6], off
	s_waitcnt lgkmcnt(3)
	global_store_b128 v[27:28], v[7:10], off
	;; [unrolled: 2-line block ×5, first 2 shown]
	s_and_b32 exec_lo, exec_lo, s2
	s_cbranch_execz .LBB704_2
; %bb.114:
	ds_load_b128 v[3:6], v0 offset:896
	s_add_i32 s1, s31, 14
	s_delay_alu instid0(SALU_CYCLE_1) | instskip(NEXT) | instid1(SALU_CYCLE_1)
	s_mul_i32 s0, s1, s0
	s_ashr_i32 s1, s0, 31
	s_delay_alu instid0(SALU_CYCLE_1) | instskip(NEXT) | instid1(SALU_CYCLE_1)
	s_lshl_b64 s[0:1], s[0:1], 1
	v_add_co_u32 v0, vcc_lo, v1, s0
	v_add_co_ci_u32_e32 v1, vcc_lo, s1, v2, vcc_lo
	s_waitcnt lgkmcnt(0)
	global_store_b128 v[0:1], v[3:6], off
	s_nop 0
	s_sendmsg sendmsg(MSG_DEALLOC_VGPRS)
	s_endpgm
	.section	.rodata,"a",@progbits
	.p2align	6, 0x0
	.amdhsa_kernel _Z39paged_attention_ll4mi_QKV_mfma16_kernelI14__hip_bfloat16S0_LN4vllm18Fp8KVCacheDataTypeE0EhLi32ELi128ELi256ELb1ELi15EL8MFMAType0EEvPKT_PKT0_S9_ifPKiSB_SB_iPKfiiiPfSE_PS4_PT2_iSD_SD_
		.amdhsa_group_segment_fixed_size 17472
		.amdhsa_private_segment_fixed_size 0
		.amdhsa_kernarg_size 400
		.amdhsa_user_sgpr_count 13
		.amdhsa_user_sgpr_dispatch_ptr 0
		.amdhsa_user_sgpr_queue_ptr 0
		.amdhsa_user_sgpr_kernarg_segment_ptr 1
		.amdhsa_user_sgpr_dispatch_id 0
		.amdhsa_user_sgpr_private_segment_size 0
		.amdhsa_wavefront_size32 1
		.amdhsa_uses_dynamic_stack 0
		.amdhsa_enable_private_segment 0
		.amdhsa_system_sgpr_workgroup_id_x 1
		.amdhsa_system_sgpr_workgroup_id_y 1
		.amdhsa_system_sgpr_workgroup_id_z 1
		.amdhsa_system_sgpr_workgroup_info 0
		.amdhsa_system_vgpr_workitem_id 0
		.amdhsa_next_free_vgpr 157
		.amdhsa_next_free_sgpr 38
		.amdhsa_reserve_vcc 1
		.amdhsa_float_round_mode_32 0
		.amdhsa_float_round_mode_16_64 0
		.amdhsa_float_denorm_mode_32 3
		.amdhsa_float_denorm_mode_16_64 3
		.amdhsa_dx10_clamp 1
		.amdhsa_ieee_mode 1
		.amdhsa_fp16_overflow 0
		.amdhsa_workgroup_processor_mode 1
		.amdhsa_memory_ordered 1
		.amdhsa_forward_progress 0
		.amdhsa_shared_vgpr_count 0
		.amdhsa_exception_fp_ieee_invalid_op 0
		.amdhsa_exception_fp_denorm_src 0
		.amdhsa_exception_fp_ieee_div_zero 0
		.amdhsa_exception_fp_ieee_overflow 0
		.amdhsa_exception_fp_ieee_underflow 0
		.amdhsa_exception_fp_ieee_inexact 0
		.amdhsa_exception_int_div_zero 0
	.end_amdhsa_kernel
	.section	.text._Z39paged_attention_ll4mi_QKV_mfma16_kernelI14__hip_bfloat16S0_LN4vllm18Fp8KVCacheDataTypeE0EhLi32ELi128ELi256ELb1ELi15EL8MFMAType0EEvPKT_PKT0_S9_ifPKiSB_SB_iPKfiiiPfSE_PS4_PT2_iSD_SD_,"axG",@progbits,_Z39paged_attention_ll4mi_QKV_mfma16_kernelI14__hip_bfloat16S0_LN4vllm18Fp8KVCacheDataTypeE0EhLi32ELi128ELi256ELb1ELi15EL8MFMAType0EEvPKT_PKT0_S9_ifPKiSB_SB_iPKfiiiPfSE_PS4_PT2_iSD_SD_,comdat
.Lfunc_end704:
	.size	_Z39paged_attention_ll4mi_QKV_mfma16_kernelI14__hip_bfloat16S0_LN4vllm18Fp8KVCacheDataTypeE0EhLi32ELi128ELi256ELb1ELi15EL8MFMAType0EEvPKT_PKT0_S9_ifPKiSB_SB_iPKfiiiPfSE_PS4_PT2_iSD_SD_, .Lfunc_end704-_Z39paged_attention_ll4mi_QKV_mfma16_kernelI14__hip_bfloat16S0_LN4vllm18Fp8KVCacheDataTypeE0EhLi32ELi128ELi256ELb1ELi15EL8MFMAType0EEvPKT_PKT0_S9_ifPKiSB_SB_iPKfiiiPfSE_PS4_PT2_iSD_SD_
                                        ; -- End function
	.section	.AMDGPU.csdata,"",@progbits
; Kernel info:
; codeLenInByte = 10012
; NumSgprs: 40
; NumVgprs: 157
; ScratchSize: 0
; MemoryBound: 0
; FloatMode: 240
; IeeeMode: 1
; LDSByteSize: 17472 bytes/workgroup (compile time only)
; SGPRBlocks: 4
; VGPRBlocks: 19
; NumSGPRsForWavesPerEU: 40
; NumVGPRsForWavesPerEU: 157
; Occupancy: 9
; WaveLimiterHint : 1
; COMPUTE_PGM_RSRC2:SCRATCH_EN: 0
; COMPUTE_PGM_RSRC2:USER_SGPR: 13
; COMPUTE_PGM_RSRC2:TRAP_HANDLER: 0
; COMPUTE_PGM_RSRC2:TGID_X_EN: 1
; COMPUTE_PGM_RSRC2:TGID_Y_EN: 1
; COMPUTE_PGM_RSRC2:TGID_Z_EN: 1
; COMPUTE_PGM_RSRC2:TIDIG_COMP_CNT: 0
	.section	.text._Z39paged_attention_ll4mi_QKV_mfma16_kernelI14__hip_bfloat16S0_LN4vllm18Fp8KVCacheDataTypeE0EhLi32ELi128ELi256ELb1ELi16EL8MFMAType0EEvPKT_PKT0_S9_ifPKiSB_SB_iPKfiiiPfSE_PS4_PT2_iSD_SD_,"axG",@progbits,_Z39paged_attention_ll4mi_QKV_mfma16_kernelI14__hip_bfloat16S0_LN4vllm18Fp8KVCacheDataTypeE0EhLi32ELi128ELi256ELb1ELi16EL8MFMAType0EEvPKT_PKT0_S9_ifPKiSB_SB_iPKfiiiPfSE_PS4_PT2_iSD_SD_,comdat
	.protected	_Z39paged_attention_ll4mi_QKV_mfma16_kernelI14__hip_bfloat16S0_LN4vllm18Fp8KVCacheDataTypeE0EhLi32ELi128ELi256ELb1ELi16EL8MFMAType0EEvPKT_PKT0_S9_ifPKiSB_SB_iPKfiiiPfSE_PS4_PT2_iSD_SD_ ; -- Begin function _Z39paged_attention_ll4mi_QKV_mfma16_kernelI14__hip_bfloat16S0_LN4vllm18Fp8KVCacheDataTypeE0EhLi32ELi128ELi256ELb1ELi16EL8MFMAType0EEvPKT_PKT0_S9_ifPKiSB_SB_iPKfiiiPfSE_PS4_PT2_iSD_SD_
	.globl	_Z39paged_attention_ll4mi_QKV_mfma16_kernelI14__hip_bfloat16S0_LN4vllm18Fp8KVCacheDataTypeE0EhLi32ELi128ELi256ELb1ELi16EL8MFMAType0EEvPKT_PKT0_S9_ifPKiSB_SB_iPKfiiiPfSE_PS4_PT2_iSD_SD_
	.p2align	8
	.type	_Z39paged_attention_ll4mi_QKV_mfma16_kernelI14__hip_bfloat16S0_LN4vllm18Fp8KVCacheDataTypeE0EhLi32ELi128ELi256ELb1ELi16EL8MFMAType0EEvPKT_PKT0_S9_ifPKiSB_SB_iPKfiiiPfSE_PS4_PT2_iSD_SD_,@function
_Z39paged_attention_ll4mi_QKV_mfma16_kernelI14__hip_bfloat16S0_LN4vllm18Fp8KVCacheDataTypeE0EhLi32ELi128ELi256ELb1ELi16EL8MFMAType0EEvPKT_PKT0_S9_ifPKiSB_SB_iPKfiiiPfSE_PS4_PT2_iSD_SD_: ; @_Z39paged_attention_ll4mi_QKV_mfma16_kernelI14__hip_bfloat16S0_LN4vllm18Fp8KVCacheDataTypeE0EhLi32ELi128ELi256ELb1ELi16EL8MFMAType0EEvPKT_PKT0_S9_ifPKiSB_SB_iPKfiiiPfSE_PS4_PT2_iSD_SD_
; %bb.0:
	s_load_b64 s[2:3], s[0:1], 0x30
	s_mov_b32 s30, s13
	s_waitcnt lgkmcnt(0)
	s_cmp_lg_u64 s[2:3], 0
	s_cselect_b32 s6, -1, 0
	s_ashr_i32 s31, s13, 31
	s_cmp_eq_u64 s[2:3], 0
	s_cbranch_scc1 .LBB705_3
; %bb.1:
	s_lshl_b64 s[4:5], s[30:31], 2
	s_delay_alu instid0(SALU_CYCLE_1) | instskip(SKIP_4) | instid1(SALU_CYCLE_1)
	s_add_u32 s4, s2, s4
	s_addc_u32 s5, s3, s5
	s_load_b64 s[4:5], s[4:5], 0x0
	s_waitcnt lgkmcnt(0)
	s_sub_i32 s4, s5, s4
	s_cmp_eq_u32 s4, 1
	s_cselect_b32 s4, -1, 0
	s_delay_alu instid0(SALU_CYCLE_1)
	s_and_not1_b32 vcc_lo, exec_lo, s4
	s_cbranch_vccz .LBB705_4
.LBB705_2:
	s_endpgm
.LBB705_3:
.LBB705_4:
	s_load_b64 s[8:9], s[0:1], 0x28
	s_lshl_b64 s[4:5], s[30:31], 2
	s_waitcnt lgkmcnt(0)
	s_add_u32 s8, s8, s4
	s_addc_u32 s9, s9, s5
	s_lshl_b32 s12, s14, 8
	s_load_b32 s17, s[8:9], 0x0
	s_waitcnt lgkmcnt(0)
	s_cmp_ge_i32 s12, s17
	s_cbranch_scc1 .LBB705_2
; %bb.5:
	s_and_not1_b32 vcc_lo, exec_lo, s6
	s_cbranch_vccnz .LBB705_7
; %bb.6:
	s_add_u32 s2, s2, s4
	s_addc_u32 s3, s3, s5
	s_load_b32 s13, s[2:3], 0x0
	s_branch .LBB705_8
.LBB705_7:
	s_mov_b32 s13, s30
.LBB705_8:
	s_clause 0x2
	s_load_b128 s[8:11], s[0:1], 0x8
	s_load_b64 s[2:3], s[0:1], 0x20
	s_load_b128 s[4:7], s[0:1], 0x48
	v_and_b32_e32 v74, 15, v0
	s_waitcnt lgkmcnt(0)
	s_mov_b32 s7, exec_lo
	s_delay_alu instid0(VALU_DEP_1)
	v_lshlrev_b32_e32 v1, 3, v74
	v_cmpx_lt_u32_e32 0xff, v0
	s_xor_b32 s7, exec_lo, s7
; %bb.9:
	v_mov_b32_e32 v2, 0
; %bb.10:
	s_or_saveexec_b32 s7, s7
	v_lshrrev_b32_e32 v73, 5, v0
	v_and_b32_e32 v75, 31, v0
	v_and_b32_e32 v84, 1, v0
	v_bfe_u32 v83, v0, 4, 1
	s_lshl_b32 s29, s15, 4
	s_xor_b32 exec_lo, exec_lo, s7
	s_cbranch_execz .LBB705_12
; %bb.11:
	s_delay_alu instid0(VALU_DEP_1)
	v_lshl_or_b32 v7, v73, 1, v83
	s_load_b64 s[18:19], s[0:1], 0x0
	s_mul_hi_i32 s21, s13, s4
	s_mul_i32 s20, s13, s4
	v_lshlrev_b32_e32 v4, 1, v1
	v_or_b32_e32 v2, s29, v7
	s_lshl_b64 s[20:21], s[20:21], 1
	v_lshlrev_b32_e32 v7, 6, v7
	v_lshlrev_b32_e32 v8, 10, v84
	s_delay_alu instid0(VALU_DEP_3) | instskip(NEXT) | instid1(VALU_DEP_1)
	v_lshlrev_b32_e32 v2, 7, v2
	v_ashrrev_i32_e32 v3, 31, v2
	s_delay_alu instid0(VALU_DEP_1) | instskip(SKIP_3) | instid1(VALU_DEP_1)
	v_lshlrev_b64 v[2:3], 1, v[2:3]
	s_waitcnt lgkmcnt(0)
	s_add_u32 s4, s18, s20
	s_addc_u32 s13, s19, s21
	v_add_co_u32 v2, vcc_lo, s4, v2
	s_delay_alu instid0(VALU_DEP_2) | instskip(NEXT) | instid1(VALU_DEP_2)
	v_add_co_ci_u32_e32 v3, vcc_lo, s13, v3, vcc_lo
	v_add_co_u32 v2, vcc_lo, v2, v4
	s_delay_alu instid0(VALU_DEP_2) | instskip(SKIP_2) | instid1(VALU_DEP_1)
	v_add_co_ci_u32_e32 v3, vcc_lo, 0, v3, vcc_lo
	global_load_b128 v[3:6], v[2:3], off
	v_lshlrev_b32_e32 v2, 10, v74
	v_and_b32_e32 v2, 0x3800, v2
	s_delay_alu instid0(VALU_DEP_1)
	v_or3_b32 v7, v2, v8, v7
	v_mov_b32_e32 v2, 0
	s_waitcnt vmcnt(0)
	ds_store_b128 v7, v[3:6]
.LBB705_12:
	s_or_b32 exec_lo, exec_lo, s7
	v_and_b32_e32 v3, 0xef, v0
	s_add_i32 s4, s17, 31
	s_clause 0x1
	s_load_b32 s7, s[0:1], 0x38
	s_load_b32 s18, s[0:1], 0x1c
	s_ashr_i32 s13, s4, 31
	v_add_nc_u32_e32 v3, s12, v3
	s_lshr_b32 s13, s13, 27
	s_waitcnt lgkmcnt(0)
	s_add_i32 s4, s4, s13
	s_barrier
	v_ashrrev_i32_e32 v4, 31, v3
	v_cmp_gt_i32_e32 vcc_lo, s17, v3
	s_ashr_i32 s4, s4, 5
	buffer_gl0_inv
	s_add_i32 s4, s4, -1
	v_lshrrev_b32_e32 v5, 27, v4
	v_or_b32_e32 v4, 16, v3
	v_lshlrev_b64 v[81:82], 1, v[1:2]
	s_delay_alu instid0(VALU_DEP_3) | instskip(NEXT) | instid1(VALU_DEP_3)
	v_add_nc_u32_e32 v6, v3, v5
	v_add_nc_u32_e32 v5, v4, v5
	s_mul_i32 s20, s30, s7
	s_delay_alu instid0(SALU_CYCLE_1) | instskip(NEXT) | instid1(VALU_DEP_2)
	s_ashr_i32 s21, s20, 31
	v_ashrrev_i32_e32 v6, 5, v6
	s_delay_alu instid0(VALU_DEP_2) | instskip(SKIP_1) | instid1(SALU_CYCLE_1)
	v_ashrrev_i32_e32 v5, 5, v5
	s_lshl_b64 s[20:21], s[20:21], 2
	s_add_u32 s13, s2, s20
	s_delay_alu instid0(VALU_DEP_2) | instskip(SKIP_3) | instid1(SALU_CYCLE_1)
	v_cndmask_b32_e32 v3, s4, v6, vcc_lo
	v_cmp_gt_i32_e32 vcc_lo, s17, v4
	s_addc_u32 s16, s3, s21
	s_mul_i32 s2, s15, s6
	s_ashr_i32 s3, s2, 31
	v_cndmask_b32_e32 v5, s4, v5, vcc_lo
	v_ashrrev_i32_e32 v4, 31, v3
	s_lshl_b64 s[2:3], s[2:3], 1
	s_delay_alu instid0(SALU_CYCLE_1) | instskip(NEXT) | instid1(VALU_DEP_2)
	s_add_u32 s15, s8, s2
	v_ashrrev_i32_e32 v6, 31, v5
	s_delay_alu instid0(VALU_DEP_2) | instskip(SKIP_2) | instid1(VALU_DEP_2)
	v_lshlrev_b64 v[3:4], 2, v[3:4]
	s_addc_u32 s19, s9, s3
	s_lshl_b32 s6, s14, 3
	v_lshlrev_b64 v[5:6], 2, v[5:6]
	s_ashr_i32 s7, s6, 31
	s_delay_alu instid0(VALU_DEP_2) | instskip(SKIP_1) | instid1(VALU_DEP_3)
	v_add_co_u32 v3, vcc_lo, s13, v3
	v_add_co_ci_u32_e32 v4, vcc_lo, s16, v4, vcc_lo
	v_add_co_u32 v5, vcc_lo, s13, v5
	s_delay_alu instid0(VALU_DEP_4)
	v_add_co_ci_u32_e32 v6, vcc_lo, s16, v6, vcc_lo
	s_lshl_b64 s[6:7], s[6:7], 2
	s_clause 0x1
	global_load_b32 v7, v[3:4], off
	global_load_b32 v8, v[5:6], off
	s_add_u32 s6, s13, s6
	s_addc_u32 s7, s16, s7
	s_or_b32 s8, s12, 32
	s_delay_alu instid0(SALU_CYCLE_1) | instskip(SKIP_2) | instid1(SALU_CYCLE_1)
	s_ashr_i32 s9, s8, 5
	s_cmp_lt_i32 s8, s17
	s_cselect_b32 s8, s9, s4
	s_ashr_i32 s9, s8, 31
	s_delay_alu instid0(SALU_CYCLE_1) | instskip(NEXT) | instid1(SALU_CYCLE_1)
	s_lshl_b64 s[8:9], s[8:9], 2
	s_add_u32 s8, s13, s8
	s_addc_u32 s9, s16, s9
	s_or_b32 s20, s12, 64
	s_delay_alu instid0(SALU_CYCLE_1) | instskip(SKIP_2) | instid1(SALU_CYCLE_1)
	s_ashr_i32 s21, s20, 5
	s_cmp_lt_i32 s20, s17
	s_cselect_b32 s20, s21, s4
	s_ashr_i32 s21, s20, 31
	s_delay_alu instid0(SALU_CYCLE_1) | instskip(NEXT) | instid1(SALU_CYCLE_1)
	s_lshl_b64 s[20:21], s[20:21], 2
	s_add_u32 s20, s13, s20
	s_addc_u32 s21, s16, s21
	s_or_b32 s22, s12, 0x60
	s_delay_alu instid0(SALU_CYCLE_1) | instskip(SKIP_2) | instid1(SALU_CYCLE_1)
	s_ashr_i32 s23, s22, 5
	s_cmp_lt_i32 s22, s17
	s_cselect_b32 s22, s23, s4
	s_ashr_i32 s23, s22, 31
	s_delay_alu instid0(SALU_CYCLE_1) | instskip(NEXT) | instid1(SALU_CYCLE_1)
	s_lshl_b64 s[22:23], s[22:23], 2
	s_add_u32 s22, s13, s22
	s_addc_u32 s23, s16, s23
	s_or_b32 s24, s12, 0x80
	s_delay_alu instid0(SALU_CYCLE_1) | instskip(SKIP_2) | instid1(SALU_CYCLE_1)
	s_ashr_i32 s25, s24, 5
	s_cmp_lt_i32 s24, s17
	s_cselect_b32 s24, s25, s4
	s_ashr_i32 s25, s24, 31
	s_delay_alu instid0(SALU_CYCLE_1) | instskip(NEXT) | instid1(SALU_CYCLE_1)
	s_lshl_b64 s[24:25], s[24:25], 2
	s_add_u32 s24, s13, s24
	s_addc_u32 s25, s16, s25
	s_or_b32 s26, s12, 0xa0
	s_delay_alu instid0(SALU_CYCLE_1) | instskip(SKIP_2) | instid1(SALU_CYCLE_1)
	s_ashr_i32 s27, s26, 5
	s_cmp_lt_i32 s26, s17
	s_cselect_b32 s26, s27, s4
	s_ashr_i32 s27, s26, 31
	s_delay_alu instid0(SALU_CYCLE_1) | instskip(NEXT) | instid1(SALU_CYCLE_1)
	s_lshl_b64 s[26:27], s[26:27], 2
	s_add_u32 s26, s13, s26
	s_addc_u32 s27, s16, s27
	s_clause 0x5
	s_load_b32 s28, s[6:7], 0x0
	s_load_b32 s31, s[8:9], 0x0
	;; [unrolled: 1-line block ×6, first 2 shown]
	s_mov_b32 s20, 0
	s_or_b32 s6, s12, 0xc0
	s_mov_b32 s21, s20
	s_mov_b32 s22, s20
	;; [unrolled: 1-line block ×7, first 2 shown]
	v_lshlrev_b32_e32 v85, 6, v74
	v_dual_mov_b32 v109, s27 :: v_dual_mov_b32 v102, s20
	v_dual_mov_b32 v108, s26 :: v_dual_mov_b32 v107, s25
	;; [unrolled: 1-line block ×4, first 2 shown]
	s_ashr_i32 s7, s6, 5
	s_cmp_lt_i32 s6, s17
	s_waitcnt lgkmcnt(0)
	s_mul_hi_i32 s27, s34, s5
	s_cselect_b32 s6, s7, s4
	s_mul_i32 s26, s34, s5
	s_ashr_i32 s7, s6, 31
	s_mul_hi_i32 s9, s28, s5
	s_lshl_b64 s[6:7], s[6:7], 2
	s_mul_i32 s8, s28, s5
	s_add_u32 s6, s13, s6
	s_addc_u32 s7, s16, s7
	s_mul_hi_i32 s21, s31, s5
	s_mul_i32 s20, s31, s5
	s_mul_hi_i32 s25, s33, s5
	s_mul_i32 s24, s33, s5
	;; [unrolled: 2-line block ×3, first 2 shown]
	s_waitcnt vmcnt(1)
	v_mad_i64_i32 v[3:4], null, v7, s5, 0
	s_waitcnt vmcnt(0)
	v_mad_i64_i32 v[5:6], null, v8, s5, 0
	s_delay_alu instid0(VALU_DEP_2) | instskip(NEXT) | instid1(VALU_DEP_2)
	v_lshlrev_b64 v[3:4], 1, v[3:4]
	v_lshlrev_b64 v[1:2], 1, v[5:6]
	s_delay_alu instid0(VALU_DEP_2) | instskip(NEXT) | instid1(VALU_DEP_3)
	v_add_co_u32 v3, vcc_lo, s15, v3
	v_add_co_ci_u32_e32 v4, vcc_lo, s19, v4, vcc_lo
	s_delay_alu instid0(VALU_DEP_3) | instskip(NEXT) | instid1(VALU_DEP_4)
	v_add_co_u32 v1, vcc_lo, s15, v1
	v_add_co_ci_u32_e32 v2, vcc_lo, s19, v2, vcc_lo
	s_delay_alu instid0(VALU_DEP_4) | instskip(NEXT) | instid1(VALU_DEP_4)
	v_add_co_u32 v65, vcc_lo, v3, v81
	v_add_co_ci_u32_e32 v66, vcc_lo, v4, v82, vcc_lo
	s_delay_alu instid0(VALU_DEP_4) | instskip(NEXT) | instid1(VALU_DEP_4)
	v_add_co_u32 v76, vcc_lo, v1, v81
	v_add_co_ci_u32_e32 v77, vcc_lo, v2, v82, vcc_lo
	s_clause 0xf
	global_load_b128 v[1:4], v[65:66], off
	global_load_b128 v[5:8], v[65:66], off offset:512
	global_load_b128 v[9:12], v[76:77], off offset:256
	;; [unrolled: 1-line block ×15, first 2 shown]
	v_add_co_u32 v78, vcc_lo, 0x1000, v65
	v_add_co_ci_u32_e32 v79, vcc_lo, 0, v66, vcc_lo
	v_add_co_u32 v76, vcc_lo, 0x1000, v76
	s_clause 0x1
	global_load_b128 v[65:68], v[78:79], off
	global_load_b128 v[69:72], v[78:79], off offset:512
	v_add_co_ci_u32_e32 v77, vcc_lo, 0, v77, vcc_lo
	ds_load_b128 v[86:89], v85
	ds_load_b128 v[90:93], v85 offset:1024
	s_clause 0x1
	global_load_b128 v[94:97], v[76:77], off offset:256
	global_load_b128 v[98:101], v[76:77], off offset:768
	ds_load_b128 v[110:113], v85 offset:2048
	ds_load_b128 v[114:117], v85 offset:3072
	s_or_b32 s15, s12, 0xe0
	s_delay_alu instid0(SALU_CYCLE_1) | instskip(SKIP_2) | instid1(SALU_CYCLE_1)
	s_ashr_i32 s19, s15, 5
	s_cmp_lt_i32 s15, s17
	s_cselect_b32 s22, s19, s4
	s_ashr_i32 s23, s22, 31
	s_delay_alu instid0(SALU_CYCLE_1) | instskip(NEXT) | instid1(SALU_CYCLE_1)
	s_lshl_b64 s[22:23], s[22:23], 2
	s_add_u32 s22, s13, s22
	s_addc_u32 s23, s16, s23
	s_add_i32 s15, s12, 0x100
	s_delay_alu instid0(SALU_CYCLE_1)
	s_ashr_i32 s19, s15, 5
	s_cmp_lt_i32 s15, s17
	s_cselect_b32 s34, s19, s4
	s_waitcnt vmcnt(18) lgkmcnt(2)
	v_wmma_f32_16x16x16_bf16 v[118:125], v[1:8], v[86:93], v[102:109]
	s_waitcnt vmcnt(16)
	v_wmma_f32_16x16x16_bf16 v[102:109], v[9:16], v[86:93], v[102:109]
	s_clause 0x3
	global_load_b128 v[1:4], v[78:79], off offset:1024
	global_load_b128 v[5:8], v[78:79], off offset:1536
	global_load_b128 v[9:12], v[76:77], off offset:1280
	global_load_b128 v[13:16], v[76:77], off offset:1792
	s_waitcnt vmcnt(18) lgkmcnt(0)
	v_wmma_f32_16x16x16_bf16 v[118:125], v[17:24], v[110:117], v[118:125]
	s_clause 0x1
	global_load_b128 v[17:20], v[78:79], off offset:2048
	global_load_b128 v[21:24], v[78:79], off offset:2560
	s_waitcnt vmcnt(18)
	v_wmma_f32_16x16x16_bf16 v[102:109], v[25:32], v[110:117], v[102:109]
	ds_load_b128 v[25:28], v85 offset:4096
	ds_load_b128 v[29:32], v85 offset:5120
	s_clause 0x5
	global_load_b128 v[86:89], v[76:77], off offset:2304
	global_load_b128 v[90:93], v[76:77], off offset:2816
	;; [unrolled: 1-line block ×6, first 2 shown]
	s_waitcnt vmcnt(22) lgkmcnt(0)
	v_wmma_f32_16x16x16_bf16 v[118:125], v[33:40], v[25:32], v[118:125]
	s_waitcnt vmcnt(20)
	v_wmma_f32_16x16x16_bf16 v[102:109], v[41:48], v[25:32], v[102:109]
	ds_load_b128 v[25:28], v85 offset:6144
	ds_load_b128 v[29:32], v85 offset:7168
	;; [unrolled: 1-line block ×4, first 2 shown]
	v_lshl_or_b32 v41, v73, 10, v85
	s_waitcnt vmcnt(18) lgkmcnt(2)
	v_wmma_f32_16x16x16_bf16 v[118:125], v[49:56], v[25:32], v[118:125]
	s_waitcnt vmcnt(16)
	v_wmma_f32_16x16x16_bf16 v[102:109], v[57:64], v[25:32], v[102:109]
	ds_load_b128 v[25:28], v85 offset:10240
	ds_load_b128 v[29:32], v85 offset:11264
	;; [unrolled: 1-line block ×6, first 2 shown]
	s_load_b32 s15, s[6:7], 0x0
	s_mul_hi_i32 s7, s35, s5
	s_mul_i32 s6, s35, s5
	s_ashr_i32 s35, s34, 31
	s_waitcnt vmcnt(14) lgkmcnt(0)
	v_wmma_f32_16x16x16_bf16 v[118:125], v[65:72], v[33:40], v[118:125]
	s_lshl_b64 s[34:35], s[34:35], 2
	s_waitcnt vmcnt(12)
	v_wmma_f32_16x16x16_bf16 v[102:109], v[94:101], v[33:40], v[102:109]
	s_add_u32 s34, s13, s34
	s_addc_u32 s35, s16, s35
	s_add_u32 s4, s10, s2
	s_addc_u32 s19, s11, s3
	v_add_co_u32 v76, s4, s4, v41
	s_delay_alu instid0(VALU_DEP_1)
	v_add_co_ci_u32_e64 v77, null, s19, 0, s4
	s_lshl_b64 s[2:3], s[8:9], 1
	s_clause 0x1
	s_load_b32 s13, s[22:23], 0x0
	s_load_b32 s16, s[34:35], 0x0
	v_add_co_u32 v41, vcc_lo, v76, s2
	s_lshl_b64 s[8:9], s[20:21], 1
	v_add_co_ci_u32_e32 v42, vcc_lo, s3, v77, vcc_lo
	v_add_co_u32 v33, vcc_lo, v76, s8
	s_lshl_b64 s[10:11], s[24:25], 1
	v_add_co_ci_u32_e32 v34, vcc_lo, s9, v77, vcc_lo
	;; [unrolled: 3-line block ×4, first 2 shown]
	v_add_co_u32 v39, vcc_lo, v76, s6
	s_lshl_b64 s[22:23], s[36:37], 1
	s_mul_hi_i32 s25, s15, s5
	s_mul_i32 s24, s15, s5
	v_add_co_ci_u32_e32 v40, vcc_lo, s7, v77, vcc_lo
	s_lshl_b64 s[2:3], s[24:25], 1
	s_waitcnt lgkmcnt(0)
	s_mul_hi_i32 s7, s13, s5
	s_mul_i32 s6, s13, s5
	s_clause 0x3
	global_load_b128 v[65:68], v[41:42], off
	global_load_b128 v[69:72], v[41:42], off offset:16
	global_load_b128 v[57:60], v[33:34], off
	global_load_b128 v[61:64], v[33:34], off offset:16
	s_waitcnt vmcnt(14)
	v_wmma_f32_16x16x16_bf16 v[118:125], v[1:8], v[25:32], v[118:125]
	v_add_co_u32 v5, vcc_lo, v76, s22
	v_add_co_ci_u32_e32 v6, vcc_lo, s23, v77, vcc_lo
	s_waitcnt vmcnt(10)
	s_delay_alu instid0(VALU_DEP_3)
	v_wmma_f32_16x16x16_bf16 v[118:125], v[17:24], v[134:141], v[118:125]
	v_add_co_u32 v17, vcc_lo, v76, s2
	v_add_co_ci_u32_e32 v18, vcc_lo, s3, v77, vcc_lo
	s_lshl_b64 s[2:3], s[6:7], 1
	s_mul_hi_i32 s7, s16, s5
	s_mul_i32 s6, s16, s5
	v_add_co_u32 v19, vcc_lo, v76, s2
	v_add_co_ci_u32_e32 v20, vcc_lo, s3, v77, vcc_lo
	s_lshl_b64 s[2:3], s[6:7], 1
	v_wmma_f32_16x16x16_bf16 v[102:109], v[9:16], v[25:32], v[102:109]
	v_add_co_u32 v21, vcc_lo, v76, s2
	v_add_co_ci_u32_e32 v22, vcc_lo, s3, v77, vcc_lo
	s_clause 0xd
	global_load_b128 v[49:52], v[35:36], off
	global_load_b128 v[53:56], v[35:36], off offset:16
	global_load_b128 v[41:44], v[37:38], off
	global_load_b128 v[45:48], v[37:38], off offset:16
	;; [unrolled: 2-line block ×7, first 2 shown]
	v_and_b32_e32 v76, 0xe0, v0
	v_mbcnt_lo_u32_b32 v77, -1, 0
	s_waitcnt vmcnt(22)
	v_wmma_f32_16x16x16_bf16 v[102:109], v[86:93], v[134:141], v[102:109]
	s_waitcnt vmcnt(20)
	v_wmma_f32_16x16x16_bf16 v[118:125], v[110:117], v[142:149], v[118:125]
	s_waitcnt vmcnt(0)
	v_add_nc_u32_e32 v76, s12, v76
	v_xor_b32_e32 v78, 16, v77
	v_wmma_f32_16x16x16_bf16 v[102:109], v[126:133], v[142:149], v[102:109]
	v_dual_mul_f32 v100, s18, v125 :: v_dual_mul_f32 v97, s18, v118
	s_delay_alu instid0(VALU_DEP_4) | instskip(NEXT) | instid1(VALU_DEP_4)
	v_or_b32_e32 v76, v76, v83
	v_cmp_gt_i32_e32 vcc_lo, 32, v78
	v_mul_f32_e32 v99, s18, v119
	s_barrier
	buffer_gl0_inv
	v_or_b32_e32 v79, 4, v76
	v_cndmask_b32_e32 v77, v77, v78, vcc_lo
	v_or_b32_e32 v78, 2, v76
	v_or_b32_e32 v80, 6, v76
	v_cmp_gt_i32_e32 vcc_lo, s17, v76
	v_or_b32_e32 v86, 8, v76
	v_or_b32_e32 v87, 10, v76
	v_cmp_gt_i32_e64 s2, s17, v78
	v_or_b32_e32 v88, 12, v76
	v_or_b32_e32 v89, 14, v76
	;; [unrolled: 1-line block ×10, first 2 shown]
	v_cndmask_b32_e32 v76, 0xff7fffff, v97, vcc_lo
	v_cndmask_b32_e64 v78, 0xff7fffff, v99, s2
	v_mul_f32_e32 v99, s18, v121
	v_cmp_gt_i32_e64 s3, s17, v80
	v_mul_f32_e32 v80, s18, v120
	v_cmp_gt_i32_e64 s4, s17, v79
	v_max3_f32 v76, v76, 0xff7fffff, v78
	v_dual_mul_f32 v78, s18, v122 :: v_dual_mul_f32 v79, s18, v123
	v_cmp_gt_i32_e64 s5, s17, v86
	s_delay_alu instid0(VALU_DEP_4)
	v_cndmask_b32_e64 v80, 0xff7fffff, v80, s4
	v_cmp_gt_i32_e64 s6, s17, v87
	v_mul_f32_e32 v86, s18, v108
	v_cndmask_b32_e64 v99, 0xff7fffff, v99, s3
	v_mul_f32_e32 v97, s18, v124
	v_cndmask_b32_e64 v78, 0xff7fffff, v78, s5
	v_cndmask_b32_e64 v79, 0xff7fffff, v79, s6
	v_cmp_gt_i32_e64 s7, s17, v89
	v_max3_f32 v76, v76, v80, v99
	v_cmp_gt_i32_e64 s8, s17, v88
	v_dual_mul_f32 v99, s18, v106 :: v_dual_mul_f32 v88, s18, v103
	v_mul_f32_e32 v89, s18, v102
	s_delay_alu instid0(VALU_DEP_4)
	v_max3_f32 v76, v76, v78, v79
	v_mul_f32_e32 v78, s18, v105
	v_cndmask_b32_e64 v97, 0xff7fffff, v97, s8
	v_cndmask_b32_e64 v100, 0xff7fffff, v100, s7
	v_cmp_gt_i32_e64 s9, s17, v90
	v_cmp_gt_i32_e64 s10, s17, v91
	v_mul_f32_e32 v79, s18, v104
	v_cmp_gt_i32_e64 s11, s17, v92
	v_max3_f32 v76, v76, v97, v100
	v_cndmask_b32_e64 v89, 0xff7fffff, v89, s9
	v_cndmask_b32_e64 v88, 0xff7fffff, v88, s10
	v_cmp_gt_i32_e64 s12, s17, v93
	v_mul_f32_e32 v87, s18, v107
	v_cndmask_b32_e64 v79, 0xff7fffff, v79, s11
	v_cmp_gt_i32_e64 s13, s17, v94
	v_max3_f32 v76, v76, v89, v88
	v_cndmask_b32_e64 v78, 0xff7fffff, v78, s12
	v_cmp_gt_i32_e64 s15, s17, v95
	v_mul_f32_e32 v80, s18, v109
	v_cndmask_b32_e64 v88, 0xff7fffff, v99, s13
	v_cmp_gt_i32_e64 s16, s17, v96
	v_max3_f32 v76, v76, v79, v78
	v_cndmask_b32_e64 v87, 0xff7fffff, v87, s15
	v_cmp_gt_i32_e64 s17, s17, v98
	v_lshlrev_b32_e32 v99, 2, v77
	v_cndmask_b32_e64 v78, 0xff7fffff, v86, s16
	s_delay_alu instid0(VALU_DEP_4) | instskip(NEXT) | instid1(VALU_DEP_4)
	v_max3_f32 v76, v76, v88, v87
	v_cndmask_b32_e64 v79, 0xff7fffff, v80, s17
	s_delay_alu instid0(VALU_DEP_1) | instskip(SKIP_3) | instid1(VALU_DEP_1)
	v_max3_f32 v76, v76, v78, v79
	ds_bpermute_b32 v77, v99, v76
	s_waitcnt lgkmcnt(0)
	v_max_f32_e32 v77, v77, v77
	v_max_f32_e32 v89, v76, v77
	s_delay_alu instid0(VALU_DEP_1) | instskip(NEXT) | instid1(VALU_DEP_1)
	v_fma_f32 v80, s18, v122, -v89
	v_mul_f32_e32 v80, 0x3fb8aa3b, v80
	s_delay_alu instid0(VALU_DEP_1) | instskip(SKIP_3) | instid1(VALU_DEP_1)
	v_exp_f32_e32 v80, v80
	s_waitcnt_depctr 0xfff
	v_cndmask_b32_e64 v95, 0, v80, s5
	v_fma_f32 v80, s18, v103, -v89
	v_mul_f32_e32 v80, 0x3fb8aa3b, v80
	v_fma_f32 v78, s18, v120, -v89
	v_fma_f32 v86, s18, v124, -v89
	;; [unrolled: 1-line block ×5, first 2 shown]
	v_mul_f32_e32 v78, 0x3fb8aa3b, v78
	v_mul_f32_e32 v86, 0x3fb8aa3b, v86
	;; [unrolled: 1-line block ×3, first 2 shown]
	v_fma_f32 v98, s18, v108, -v89
	v_fma_f32 v100, s18, v109, -v89
	v_exp_f32_e32 v78, v78
	v_exp_f32_e32 v86, v86
	;; [unrolled: 1-line block ×4, first 2 shown]
	v_fma_f32 v87, s18, v106, -v89
	s_delay_alu instid0(VALU_DEP_1) | instskip(SKIP_2) | instid1(TRANS32_DEP_3)
	v_dual_mul_f32 v100, 0x3fb8aa3b, v100 :: v_dual_mul_f32 v87, 0x3fb8aa3b, v87
	v_cndmask_b32_e64 v92, 0, v78, s4
	v_fma_f32 v78, s18, v125, -v89
	v_cndmask_b32_e64 v93, 0, v86, s8
	v_fma_f32 v86, s18, v105, -v89
	v_mul_f32_e32 v77, 0x3fb8aa3b, v77
	s_delay_alu instid0(VALU_DEP_4) | instskip(SKIP_1) | instid1(VALU_DEP_3)
	v_dual_mul_f32 v79, 0x3fb8aa3b, v79 :: v_dual_mul_f32 v78, 0x3fb8aa3b, v78
	v_exp_f32_e32 v87, v87
	v_mul_f32_e32 v86, 0x3fb8aa3b, v86
	s_delay_alu instid0(VALU_DEP_3) | instskip(NEXT) | instid1(VALU_DEP_2)
	v_exp_f32_e32 v77, v77
	v_exp_f32_e32 v79, v79
	;; [unrolled: 1-line block ×5, first 2 shown]
	v_cndmask_b32_e64 v90, 0, v77, s2
	v_cndmask_b32_e64 v94, 0, v79, s3
	s_delay_alu instid0(TRANS32_DEP_3) | instskip(SKIP_4) | instid1(VALU_DEP_2)
	v_cndmask_b32_e64 v97, 0, v78, s7
	v_cndmask_b32_e32 v91, 0, v76, vcc_lo
	v_fma_f32 v76, s18, v123, -v89
	v_fma_f32 v79, s18, v102, -v89
	s_mov_b32 s2, exec_lo
	v_dual_add_f32 v77, 0, v91 :: v_dual_mul_f32 v76, 0x3fb8aa3b, v76
	s_delay_alu instid0(VALU_DEP_1) | instskip(NEXT) | instid1(VALU_DEP_2)
	v_add_f32_e32 v77, v77, v90
	v_exp_f32_e32 v76, v76
	s_delay_alu instid0(VALU_DEP_1) | instskip(NEXT) | instid1(VALU_DEP_1)
	v_add_f32_e32 v77, v77, v92
	v_add_f32_e32 v77, v77, v94
	s_waitcnt_depctr 0xfff
	v_cndmask_b32_e64 v96, 0, v76, s6
	v_add_f32_e32 v76, v77, v95
	v_fma_f32 v77, s18, v104, -v89
	s_delay_alu instid0(VALU_DEP_1) | instskip(NEXT) | instid1(VALU_DEP_1)
	v_dual_add_f32 v76, v76, v96 :: v_dual_mul_f32 v77, 0x3fb8aa3b, v77
	v_add_f32_e32 v78, v76, v93
	s_delay_alu instid0(VALU_DEP_2) | instskip(SKIP_1) | instid1(VALU_DEP_2)
	v_exp_f32_e32 v88, v77
	v_cndmask_b32_e64 v77, 0, v80, s10
	v_dual_mul_f32 v79, 0x3fb8aa3b, v79 :: v_dual_add_f32 v78, v78, v97
	s_delay_alu instid0(VALU_DEP_1) | instskip(SKIP_3) | instid1(VALU_DEP_1)
	v_exp_f32_e32 v79, v79
	s_waitcnt_depctr 0xfff
	v_cndmask_b32_e64 v76, 0, v79, s9
	v_fma_f32 v79, s18, v107, -v89
	v_dual_add_f32 v80, v78, v76 :: v_dual_mul_f32 v79, 0x3fb8aa3b, v79
	v_cndmask_b32_e64 v78, 0, v88, s11
	v_mul_f32_e32 v88, 0x3fb8aa3b, v98
	s_delay_alu instid0(VALU_DEP_3) | instskip(NEXT) | instid1(VALU_DEP_4)
	v_add_f32_e32 v80, v80, v77
	v_exp_f32_e32 v98, v79
	v_cndmask_b32_e64 v79, 0, v86, s12
	s_delay_alu instid0(VALU_DEP_3) | instskip(NEXT) | instid1(VALU_DEP_2)
	v_exp_f32_e32 v88, v88
	v_add_f32_e32 v86, v80, v78
	v_cndmask_b32_e64 v80, 0, v87, s13
	s_delay_alu instid0(VALU_DEP_2) | instskip(SKIP_4) | instid1(VALU_DEP_2)
	v_add_f32_e32 v87, v86, v79
	s_waitcnt_depctr 0xfff
	v_cndmask_b32_e64 v86, 0, v98, s15
	v_add_f32_e32 v98, v87, v80
	v_cndmask_b32_e64 v87, 0, v88, s16
	v_add_f32_e32 v88, v98, v86
	s_delay_alu instid0(VALU_DEP_1) | instskip(SKIP_1) | instid1(VALU_DEP_1)
	v_add_f32_e32 v98, v88, v87
	v_cndmask_b32_e64 v88, 0, v100, s17
	v_add_f32_e32 v98, v98, v88
	ds_bpermute_b32 v99, v99, v98
	v_cmpx_gt_u32_e32 16, v75
	s_cbranch_execz .LBB705_14
; %bb.13:
	v_mul_u32_u24_e32 v75, 0x44, v73
	s_waitcnt lgkmcnt(0)
	v_add_f32_e32 v98, v98, v99
	s_delay_alu instid0(VALU_DEP_2) | instskip(NEXT) | instid1(VALU_DEP_1)
	v_lshl_add_u32 v75, v74, 2, v75
	v_add_nc_u32_e32 v75, 0x4000, v75
	ds_store_2addr_b32 v75, v89, v98 offset1:136
.LBB705_14:
	s_or_b32 exec_lo, exec_lo, s2
	v_lshlrev_b32_e32 v74, 2, v74
	s_waitcnt lgkmcnt(0)
	s_barrier
	buffer_gl0_inv
	v_cmp_eq_u32_e64 s2, 1, v73
	v_add_nc_u32_e32 v89, 0x4000, v74
	ds_load_2addr_b32 v[98:99], v89 offset1:17
	ds_load_2addr_b32 v[100:101], v89 offset0:34 offset1:51
	ds_load_2addr_b32 v[102:103], v89 offset0:68 offset1:85
	;; [unrolled: 1-line block ×4, first 2 shown]
	s_waitcnt lgkmcnt(4)
	v_max3_f32 v74, v98, 0xff7fffff, v99
	s_waitcnt lgkmcnt(3)
	s_delay_alu instid0(VALU_DEP_1) | instskip(SKIP_1) | instid1(VALU_DEP_1)
	v_max3_f32 v74, v74, v100, v101
	s_waitcnt lgkmcnt(2)
	v_max3_f32 v74, v74, v102, v103
	s_waitcnt lgkmcnt(1)
	s_delay_alu instid0(VALU_DEP_1) | instskip(NEXT) | instid1(VALU_DEP_1)
	v_max3_f32 v74, v74, v104, v105
	v_sub_f32_e32 v108, v99, v74
	v_sub_f32_e32 v75, v98, v74
	ds_load_2addr_b32 v[98:99], v89 offset0:170 offset1:187
	v_sub_f32_e32 v100, v100, v74
	v_dual_mul_f32 v108, 0x3fb8aa3b, v108 :: v_dual_mul_f32 v75, 0x3fb8aa3b, v75
	s_delay_alu instid0(VALU_DEP_2) | instskip(NEXT) | instid1(VALU_DEP_2)
	v_mul_f32_e32 v110, 0x3fb8aa3b, v100
	v_exp_f32_e32 v108, v108
	s_delay_alu instid0(VALU_DEP_2)
	v_exp_f32_e32 v109, v75
	v_sub_f32_e32 v75, v101, v74
	ds_load_2addr_b32 v[100:101], v89 offset0:204 offset1:221
	v_exp_f32_e32 v110, v110
	v_mul_f32_e32 v111, 0x3fb8aa3b, v75
	s_waitcnt lgkmcnt(2)
	v_fma_f32 v75, v109, v106, 0
	v_sub_f32_e32 v102, v102, v74
	s_delay_alu instid0(VALU_DEP_3) | instskip(NEXT) | instid1(VALU_DEP_2)
	v_exp_f32_e32 v111, v111
	v_dual_sub_f32 v106, v103, v74 :: v_dual_fmac_f32 v75, v108, v107
	s_waitcnt lgkmcnt(1)
	s_waitcnt_depctr 0xfff
	v_fmac_f32_e32 v75, v110, v98
	v_mul_f32_e32 v112, 0x3fb8aa3b, v102
	ds_load_2addr_b32 v[102:103], v89 offset0:238 offset1:255
	v_sub_f32_e32 v89, v104, v74
	v_dual_sub_f32 v98, v105, v74 :: v_dual_fmac_f32 v75, v111, v99
	v_mul_f32_e32 v104, 0x3fb8aa3b, v106
	v_exp_f32_e32 v106, v112
	s_delay_alu instid0(VALU_DEP_2)
	v_dual_mul_f32 v89, 0x3fb8aa3b, v89 :: v_dual_mul_f32 v98, 0x3fb8aa3b, v98
	s_waitcnt lgkmcnt(0)
	s_barrier
	buffer_gl0_inv
	v_exp_f32_e32 v89, v89
	v_exp_f32_e32 v98, v98
	v_fmac_f32_e32 v75, v106, v100
	v_exp_f32_e32 v104, v104
	s_waitcnt_depctr 0xfff
	v_fmac_f32_e32 v75, v104, v101
	s_delay_alu instid0(VALU_DEP_1) | instskip(NEXT) | instid1(VALU_DEP_1)
	v_fmac_f32_e32 v75, v89, v102
	v_fmac_f32_e32 v75, v98, v103
	s_delay_alu instid0(VALU_DEP_1) | instskip(NEXT) | instid1(VALU_DEP_1)
	v_add_f32_e32 v99, 0x358637bd, v75
	v_div_scale_f32 v100, null, v99, v99, 1.0
	v_div_scale_f32 v103, vcc_lo, 1.0, v99, 1.0
	s_delay_alu instid0(VALU_DEP_2) | instskip(SKIP_2) | instid1(VALU_DEP_1)
	v_rcp_f32_e32 v101, v100
	s_waitcnt_depctr 0xfff
	v_fma_f32 v102, -v100, v101, 1.0
	v_fmac_f32_e32 v101, v102, v101
	v_cndmask_b32_e64 v102, v109, v108, s2
	v_cmp_eq_u32_e64 s2, 2, v73
	s_delay_alu instid0(VALU_DEP_3) | instskip(NEXT) | instid1(VALU_DEP_2)
	v_mul_f32_e32 v105, v103, v101
	v_cndmask_b32_e64 v102, v102, v110, s2
	v_cmp_eq_u32_e64 s2, 3, v73
	s_delay_alu instid0(VALU_DEP_3) | instskip(NEXT) | instid1(VALU_DEP_2)
	v_fma_f32 v107, -v100, v105, v103
	v_cndmask_b32_e64 v102, v102, v111, s2
	v_cmp_eq_u32_e64 s2, 4, v73
	s_delay_alu instid0(VALU_DEP_3) | instskip(NEXT) | instid1(VALU_DEP_2)
	v_fmac_f32_e32 v105, v107, v101
	v_cndmask_b32_e64 v102, v102, v106, s2
	s_delay_alu instid0(VALU_DEP_2) | instskip(SKIP_1) | instid1(VALU_DEP_2)
	v_fma_f32 v100, -v100, v105, v103
	v_cmp_eq_u32_e64 s2, 5, v73
	v_div_fmas_f32 v100, v100, v101, v105
	s_delay_alu instid0(VALU_DEP_2) | instskip(SKIP_2) | instid1(VALU_DEP_3)
	v_cndmask_b32_e64 v102, v102, v104, s2
	v_cmp_eq_u32_e32 vcc_lo, 6, v73
	s_mov_b32 s2, exec_lo
	v_div_fixup_f32 v99, v100, v99, 1.0
	s_delay_alu instid0(VALU_DEP_3) | instskip(SKIP_1) | instid1(VALU_DEP_2)
	v_cndmask_b32_e32 v89, v102, v89, vcc_lo
	v_cmp_eq_u32_e32 vcc_lo, 7, v73
	v_cndmask_b32_e32 v89, v89, v98, vcc_lo
	s_delay_alu instid0(VALU_DEP_1) | instskip(NEXT) | instid1(VALU_DEP_1)
	v_mul_f32_e32 v89, v89, v99
	v_mul_f32_e32 v99, v89, v91
	;; [unrolled: 1-line block ×6, first 2 shown]
	v_and_b32_e32 v100, 0x7f800000, v99
	v_mul_f32_e32 v98, v89, v94
	v_mul_f32_e32 v94, v89, v90
	;; [unrolled: 1-line block ×3, first 2 shown]
                                        ; implicit-def: $vgpr90
	s_delay_alu instid0(VALU_DEP_4)
	v_cmpx_ne_u32_e32 0x7f800000, v100
	s_xor_b32 s2, exec_lo, s2
; %bb.15:
	v_bfe_u32 v90, v99, 16, 1
	s_delay_alu instid0(VALU_DEP_1)
	v_add3_u32 v90, v99, v90, 0x7fff
                                        ; implicit-def: $vgpr99
; %bb.16:
	s_and_not1_saveexec_b32 s2, s2
; %bb.17:
	v_and_b32_e32 v90, 0xffff, v99
	v_or_b32_e32 v92, 0x10000, v99
	s_delay_alu instid0(VALU_DEP_2) | instskip(NEXT) | instid1(VALU_DEP_2)
	v_cmp_eq_u32_e32 vcc_lo, 0, v90
	v_cndmask_b32_e32 v90, v92, v99, vcc_lo
; %bb.18:
	s_or_b32 exec_lo, exec_lo, s2
	v_and_b32_e32 v92, 0x7f800000, v94
	s_delay_alu instid0(VALU_DEP_1) | instskip(SKIP_1) | instid1(SALU_CYCLE_1)
	v_cmp_ne_u32_e32 vcc_lo, 0x7f800000, v92
                                        ; implicit-def: $vgpr92
	s_and_saveexec_b32 s2, vcc_lo
	s_xor_b32 s2, exec_lo, s2
; %bb.19:
	v_bfe_u32 v92, v94, 16, 1
	s_delay_alu instid0(VALU_DEP_1)
	v_add3_u32 v92, v94, v92, 0x7fff
                                        ; implicit-def: $vgpr94
; %bb.20:
	s_and_not1_saveexec_b32 s2, s2
; %bb.21:
	v_and_b32_e32 v92, 0xffff, v94
	v_or_b32_e32 v99, 0x10000, v94
	s_delay_alu instid0(VALU_DEP_2) | instskip(NEXT) | instid1(VALU_DEP_2)
	v_cmp_eq_u32_e32 vcc_lo, 0, v92
	v_cndmask_b32_e32 v92, v99, v94, vcc_lo
; %bb.22:
	s_or_b32 exec_lo, exec_lo, s2
	v_and_b32_e32 v94, 0x7f800000, v95
	s_delay_alu instid0(VALU_DEP_1) | instskip(SKIP_1) | instid1(SALU_CYCLE_1)
	v_cmp_ne_u32_e32 vcc_lo, 0x7f800000, v94
                                        ; implicit-def: $vgpr94
	s_and_saveexec_b32 s2, vcc_lo
	s_xor_b32 s2, exec_lo, s2
; %bb.23:
	v_bfe_u32 v94, v95, 16, 1
	s_delay_alu instid0(VALU_DEP_1)
	v_add3_u32 v94, v95, v94, 0x7fff
                                        ; implicit-def: $vgpr95
; %bb.24:
	s_and_not1_saveexec_b32 s2, s2
; %bb.25:
	v_and_b32_e32 v94, 0xffff, v95
	v_or_b32_e32 v99, 0x10000, v95
	s_delay_alu instid0(VALU_DEP_2) | instskip(NEXT) | instid1(VALU_DEP_2)
	v_cmp_eq_u32_e32 vcc_lo, 0, v94
	v_cndmask_b32_e32 v94, v99, v95, vcc_lo
; %bb.26:
	s_or_b32 exec_lo, exec_lo, s2
	v_and_b32_e32 v95, 0x7f800000, v98
	s_delay_alu instid0(VALU_DEP_1) | instskip(SKIP_1) | instid1(SALU_CYCLE_1)
	v_cmp_ne_u32_e32 vcc_lo, 0x7f800000, v95
                                        ; implicit-def: $vgpr95
	s_and_saveexec_b32 s2, vcc_lo
	s_xor_b32 s2, exec_lo, s2
; %bb.27:
	v_bfe_u32 v95, v98, 16, 1
	s_delay_alu instid0(VALU_DEP_1)
	v_add3_u32 v95, v98, v95, 0x7fff
                                        ; implicit-def: $vgpr98
; %bb.28:
	s_and_not1_saveexec_b32 s2, s2
; %bb.29:
	v_and_b32_e32 v95, 0xffff, v98
	v_or_b32_e32 v99, 0x10000, v98
	s_delay_alu instid0(VALU_DEP_2) | instskip(NEXT) | instid1(VALU_DEP_2)
	v_cmp_eq_u32_e32 vcc_lo, 0, v95
	v_cndmask_b32_e32 v95, v99, v98, vcc_lo
; %bb.30:
	s_or_b32 exec_lo, exec_lo, s2
	v_and_b32_e32 v98, 0x7f800000, v97
	s_delay_alu instid0(VALU_DEP_1) | instskip(SKIP_1) | instid1(SALU_CYCLE_1)
	v_cmp_ne_u32_e32 vcc_lo, 0x7f800000, v98
                                        ; implicit-def: $vgpr98
	s_and_saveexec_b32 s2, vcc_lo
	s_xor_b32 s2, exec_lo, s2
; %bb.31:
	v_bfe_u32 v98, v97, 16, 1
	s_delay_alu instid0(VALU_DEP_1)
	v_add3_u32 v98, v97, v98, 0x7fff
                                        ; implicit-def: $vgpr97
; %bb.32:
	s_and_not1_saveexec_b32 s2, s2
; %bb.33:
	v_and_b32_e32 v98, 0xffff, v97
	v_or_b32_e32 v99, 0x10000, v97
	s_delay_alu instid0(VALU_DEP_2) | instskip(NEXT) | instid1(VALU_DEP_2)
	v_cmp_eq_u32_e32 vcc_lo, 0, v98
	v_cndmask_b32_e32 v98, v99, v97, vcc_lo
; %bb.34:
	s_or_b32 exec_lo, exec_lo, s2
	v_and_b32_e32 v97, 0x7f800000, v96
	s_delay_alu instid0(VALU_DEP_1) | instskip(SKIP_1) | instid1(SALU_CYCLE_1)
	v_cmp_ne_u32_e32 vcc_lo, 0x7f800000, v97
                                        ; implicit-def: $vgpr97
	s_and_saveexec_b32 s2, vcc_lo
	s_xor_b32 s2, exec_lo, s2
; %bb.35:
	v_bfe_u32 v97, v96, 16, 1
	s_delay_alu instid0(VALU_DEP_1)
	v_add3_u32 v97, v96, v97, 0x7fff
                                        ; implicit-def: $vgpr96
; %bb.36:
	s_and_not1_saveexec_b32 s2, s2
; %bb.37:
	v_and_b32_e32 v97, 0xffff, v96
	v_or_b32_e32 v99, 0x10000, v96
	s_delay_alu instid0(VALU_DEP_2) | instskip(NEXT) | instid1(VALU_DEP_2)
	v_cmp_eq_u32_e32 vcc_lo, 0, v97
	v_cndmask_b32_e32 v97, v99, v96, vcc_lo
; %bb.38:
	s_or_b32 exec_lo, exec_lo, s2
	v_and_b32_e32 v96, 0x7f800000, v93
	s_delay_alu instid0(VALU_DEP_1) | instskip(SKIP_1) | instid1(SALU_CYCLE_1)
	v_cmp_ne_u32_e32 vcc_lo, 0x7f800000, v96
                                        ; implicit-def: $vgpr96
	s_and_saveexec_b32 s2, vcc_lo
	s_xor_b32 s2, exec_lo, s2
; %bb.39:
	v_bfe_u32 v96, v93, 16, 1
	s_delay_alu instid0(VALU_DEP_1)
	v_add3_u32 v96, v93, v96, 0x7fff
                                        ; implicit-def: $vgpr93
; %bb.40:
	s_and_not1_saveexec_b32 s2, s2
; %bb.41:
	v_and_b32_e32 v96, 0xffff, v93
	v_or_b32_e32 v99, 0x10000, v93
	s_delay_alu instid0(VALU_DEP_2) | instskip(NEXT) | instid1(VALU_DEP_2)
	v_cmp_eq_u32_e32 vcc_lo, 0, v96
	v_cndmask_b32_e32 v96, v99, v93, vcc_lo
; %bb.42:
	s_or_b32 exec_lo, exec_lo, s2
	v_and_b32_e32 v93, 0x7f800000, v91
	s_delay_alu instid0(VALU_DEP_1) | instskip(SKIP_1) | instid1(SALU_CYCLE_1)
	v_cmp_ne_u32_e32 vcc_lo, 0x7f800000, v93
                                        ; implicit-def: $vgpr93
	s_and_saveexec_b32 s2, vcc_lo
	s_xor_b32 s2, exec_lo, s2
; %bb.43:
	v_bfe_u32 v93, v91, 16, 1
	s_delay_alu instid0(VALU_DEP_1)
	v_add3_u32 v93, v91, v93, 0x7fff
                                        ; implicit-def: $vgpr91
; %bb.44:
	s_and_not1_saveexec_b32 s2, s2
; %bb.45:
	v_and_b32_e32 v93, 0xffff, v91
	v_or_b32_e32 v99, 0x10000, v91
	s_delay_alu instid0(VALU_DEP_2) | instskip(NEXT) | instid1(VALU_DEP_2)
	v_cmp_eq_u32_e32 vcc_lo, 0, v93
	v_cndmask_b32_e32 v93, v99, v91, vcc_lo
; %bb.46:
	s_or_b32 exec_lo, exec_lo, s2
	s_load_b64 s[34:35], s[0:1], 0x94
	v_lshlrev_b32_e32 v91, 4, v83
	s_delay_alu instid0(VALU_DEP_2)
	v_perm_b32 v99, v93, v96, 0x7060302
	v_dual_mul_f32 v88, v89, v88 :: v_dual_lshlrev_b32 v93, 11, v73
	v_perm_b32 v96, v92, v90, 0x7060302
	v_mul_f32_e32 v92, v89, v76
	v_perm_b32 v98, v97, v98, 0x7060302
	v_perm_b32 v97, v95, v94, 0x7060302
	v_or3_b32 v76, v91, v93, v85
	v_mul_f32_e32 v87, v89, v87
	v_dual_mul_f32 v86, v89, v86 :: v_dual_and_b32 v93, 0x7f800000, v92
	v_mul_f32_e32 v80, v89, v80
	v_mul_f32_e32 v90, v89, v79
	;; [unrolled: 1-line block ×4, first 2 shown]
	s_mov_b32 s2, exec_lo
	ds_store_b128 v76, v[96:99]
                                        ; implicit-def: $vgpr77
	v_cmpx_ne_u32_e32 0x7f800000, v93
	s_xor_b32 s2, exec_lo, s2
; %bb.47:
	v_bfe_u32 v77, v92, 16, 1
	s_delay_alu instid0(VALU_DEP_1)
	v_add3_u32 v77, v92, v77, 0x7fff
                                        ; implicit-def: $vgpr92
; %bb.48:
	s_and_not1_saveexec_b32 s2, s2
; %bb.49:
	v_and_b32_e32 v77, 0xffff, v92
	v_or_b32_e32 v78, 0x10000, v92
	s_delay_alu instid0(VALU_DEP_2) | instskip(NEXT) | instid1(VALU_DEP_2)
	v_cmp_eq_u32_e32 vcc_lo, 0, v77
	v_cndmask_b32_e32 v77, v78, v92, vcc_lo
; %bb.50:
	s_or_b32 exec_lo, exec_lo, s2
	v_and_b32_e32 v78, 0x7f800000, v79
	s_delay_alu instid0(VALU_DEP_1) | instskip(SKIP_1) | instid1(SALU_CYCLE_1)
	v_cmp_ne_u32_e32 vcc_lo, 0x7f800000, v78
                                        ; implicit-def: $vgpr78
	s_and_saveexec_b32 s2, vcc_lo
	s_xor_b32 s2, exec_lo, s2
; %bb.51:
	v_bfe_u32 v78, v79, 16, 1
	s_delay_alu instid0(VALU_DEP_1)
	v_add3_u32 v78, v79, v78, 0x7fff
                                        ; implicit-def: $vgpr79
; %bb.52:
	s_and_not1_saveexec_b32 s2, s2
; %bb.53:
	v_and_b32_e32 v78, 0xffff, v79
	v_or_b32_e32 v89, 0x10000, v79
	s_delay_alu instid0(VALU_DEP_2) | instskip(NEXT) | instid1(VALU_DEP_2)
	v_cmp_eq_u32_e32 vcc_lo, 0, v78
	v_cndmask_b32_e32 v78, v89, v79, vcc_lo
; %bb.54:
	s_or_b32 exec_lo, exec_lo, s2
	v_and_b32_e32 v79, 0x7f800000, v91
	s_delay_alu instid0(VALU_DEP_1) | instskip(SKIP_1) | instid1(SALU_CYCLE_1)
	v_cmp_ne_u32_e32 vcc_lo, 0x7f800000, v79
                                        ; implicit-def: $vgpr79
	s_and_saveexec_b32 s2, vcc_lo
	s_xor_b32 s2, exec_lo, s2
; %bb.55:
	v_bfe_u32 v79, v91, 16, 1
	s_delay_alu instid0(VALU_DEP_1)
	v_add3_u32 v79, v91, v79, 0x7fff
                                        ; implicit-def: $vgpr91
; %bb.56:
	s_and_not1_saveexec_b32 s2, s2
; %bb.57:
	v_and_b32_e32 v79, 0xffff, v91
	v_or_b32_e32 v89, 0x10000, v91
	s_delay_alu instid0(VALU_DEP_2) | instskip(NEXT) | instid1(VALU_DEP_2)
	v_cmp_eq_u32_e32 vcc_lo, 0, v79
	v_cndmask_b32_e32 v79, v89, v91, vcc_lo
; %bb.58:
	s_or_b32 exec_lo, exec_lo, s2
	v_and_b32_e32 v89, 0x7f800000, v90
	s_delay_alu instid0(VALU_DEP_1) | instskip(SKIP_1) | instid1(SALU_CYCLE_1)
	v_cmp_ne_u32_e32 vcc_lo, 0x7f800000, v89
                                        ; implicit-def: $vgpr89
	s_and_saveexec_b32 s2, vcc_lo
	s_xor_b32 s2, exec_lo, s2
; %bb.59:
	v_bfe_u32 v89, v90, 16, 1
	s_delay_alu instid0(VALU_DEP_1)
	v_add3_u32 v89, v90, v89, 0x7fff
                                        ; implicit-def: $vgpr90
; %bb.60:
	s_and_not1_saveexec_b32 s2, s2
; %bb.61:
	v_and_b32_e32 v89, 0xffff, v90
	v_or_b32_e32 v91, 0x10000, v90
	s_delay_alu instid0(VALU_DEP_2) | instskip(NEXT) | instid1(VALU_DEP_2)
	v_cmp_eq_u32_e32 vcc_lo, 0, v89
	v_cndmask_b32_e32 v89, v91, v90, vcc_lo
; %bb.62:
	s_or_b32 exec_lo, exec_lo, s2
	v_and_b32_e32 v90, 0x7f800000, v80
	s_delay_alu instid0(VALU_DEP_1) | instskip(SKIP_1) | instid1(SALU_CYCLE_1)
	v_cmp_ne_u32_e32 vcc_lo, 0x7f800000, v90
                                        ; implicit-def: $vgpr90
	s_and_saveexec_b32 s2, vcc_lo
	s_xor_b32 s2, exec_lo, s2
; %bb.63:
	v_bfe_u32 v90, v80, 16, 1
	s_delay_alu instid0(VALU_DEP_1)
	v_add3_u32 v90, v80, v90, 0x7fff
                                        ; implicit-def: $vgpr80
; %bb.64:
	s_and_not1_saveexec_b32 s2, s2
; %bb.65:
	v_and_b32_e32 v90, 0xffff, v80
	v_or_b32_e32 v91, 0x10000, v80
	s_delay_alu instid0(VALU_DEP_2) | instskip(NEXT) | instid1(VALU_DEP_2)
	v_cmp_eq_u32_e32 vcc_lo, 0, v90
	v_cndmask_b32_e32 v90, v91, v80, vcc_lo
; %bb.66:
	s_or_b32 exec_lo, exec_lo, s2
	v_and_b32_e32 v80, 0x7f800000, v86
	s_delay_alu instid0(VALU_DEP_1) | instskip(SKIP_1) | instid1(SALU_CYCLE_1)
	v_cmp_ne_u32_e32 vcc_lo, 0x7f800000, v80
                                        ; implicit-def: $vgpr80
	s_and_saveexec_b32 s2, vcc_lo
	s_xor_b32 s2, exec_lo, s2
; %bb.67:
	v_bfe_u32 v80, v86, 16, 1
	s_delay_alu instid0(VALU_DEP_1)
	v_add3_u32 v80, v86, v80, 0x7fff
                                        ; implicit-def: $vgpr86
; %bb.68:
	s_and_not1_saveexec_b32 s2, s2
; %bb.69:
	v_and_b32_e32 v80, 0xffff, v86
	v_or_b32_e32 v91, 0x10000, v86
	s_delay_alu instid0(VALU_DEP_2) | instskip(NEXT) | instid1(VALU_DEP_2)
	v_cmp_eq_u32_e32 vcc_lo, 0, v80
	v_cndmask_b32_e32 v80, v91, v86, vcc_lo
; %bb.70:
	s_or_b32 exec_lo, exec_lo, s2
	v_and_b32_e32 v86, 0x7f800000, v87
	s_delay_alu instid0(VALU_DEP_1) | instskip(SKIP_1) | instid1(SALU_CYCLE_1)
	v_cmp_ne_u32_e32 vcc_lo, 0x7f800000, v86
                                        ; implicit-def: $vgpr86
	s_and_saveexec_b32 s2, vcc_lo
	s_xor_b32 s2, exec_lo, s2
; %bb.71:
	v_bfe_u32 v86, v87, 16, 1
	s_delay_alu instid0(VALU_DEP_1)
	v_add3_u32 v86, v87, v86, 0x7fff
                                        ; implicit-def: $vgpr87
; %bb.72:
	s_and_not1_saveexec_b32 s2, s2
; %bb.73:
	v_and_b32_e32 v86, 0xffff, v87
	v_or_b32_e32 v91, 0x10000, v87
	s_delay_alu instid0(VALU_DEP_2) | instskip(NEXT) | instid1(VALU_DEP_2)
	v_cmp_eq_u32_e32 vcc_lo, 0, v86
	v_cndmask_b32_e32 v86, v91, v87, vcc_lo
; %bb.74:
	s_or_b32 exec_lo, exec_lo, s2
	v_and_b32_e32 v87, 0x7f800000, v88
	s_delay_alu instid0(VALU_DEP_1) | instskip(SKIP_1) | instid1(SALU_CYCLE_1)
	v_cmp_ne_u32_e32 vcc_lo, 0x7f800000, v87
                                        ; implicit-def: $vgpr87
	s_and_saveexec_b32 s2, vcc_lo
	s_xor_b32 s2, exec_lo, s2
; %bb.75:
	v_bfe_u32 v87, v88, 16, 1
	s_delay_alu instid0(VALU_DEP_1)
	v_add3_u32 v87, v88, v87, 0x7fff
                                        ; implicit-def: $vgpr88
; %bb.76:
	s_and_not1_saveexec_b32 s2, s2
; %bb.77:
	v_and_b32_e32 v87, 0xffff, v88
	v_or_b32_e32 v91, 0x10000, v88
	s_delay_alu instid0(VALU_DEP_2) | instskip(NEXT) | instid1(VALU_DEP_2)
	v_cmp_eq_u32_e32 vcc_lo, 0, v87
	v_cndmask_b32_e32 v87, v91, v88, vcc_lo
; %bb.78:
	s_or_b32 exec_lo, exec_lo, s2
	s_delay_alu instid0(VALU_DEP_1)
	v_perm_b32 v94, v87, v86, 0x7060302
	v_perm_b32 v93, v80, v90, 0x7060302
	;; [unrolled: 1-line block ×4, first 2 shown]
	v_lshl_or_b32 v90, v73, 11, v85
	ds_store_b128 v76, v[91:94] offset:1024
	s_waitcnt lgkmcnt(0)
	s_barrier
	buffer_gl0_inv
	ds_load_b128 v[77:80], v90
	ds_load_b128 v[91:94], v90 offset:16
	s_waitcnt lgkmcnt(1)
	v_lshrrev_b32_e32 v73, 16, v77
	s_waitcnt lgkmcnt(0)
	v_lshrrev_b32_e32 v108, 16, v94
	v_lshlrev_b32_e32 v87, 2, v83
	v_lshrrev_b32_e32 v99, 16, v91
	v_lshrrev_b32_e32 v103, 16, v78
	;; [unrolled: 1-line block ×4, first 2 shown]
	v_or_b32_e32 v88, 1, v87
	v_cmp_eq_u32_e32 vcc_lo, 1, v87
	v_cmp_eq_u32_e64 s3, 2, v87
	v_cmp_eq_u32_e64 s6, 3, v87
	;; [unrolled: 1-line block ×4, first 2 shown]
	v_cndmask_b32_e32 v89, v77, v73, vcc_lo
	v_cndmask_b32_e32 v95, v91, v99, vcc_lo
	v_cmp_eq_u32_e64 s5, 2, v88
	v_cmp_eq_u32_e64 s7, 3, v88
	v_cndmask_b32_e64 v96, v77, v73, s2
	v_cndmask_b32_e64 v89, v89, v78, s3
	;; [unrolled: 1-line block ×3, first 2 shown]
	v_or_b32_e32 v86, 2, v87
	v_lshrrev_b32_e32 v107, 16, v93
	v_cndmask_b32_e64 v96, v96, v78, s5
	v_cndmask_b32_e64 v89, v89, v103, s6
	;; [unrolled: 1-line block ×4, first 2 shown]
	v_cmp_eq_u32_e64 s9, 5, v87
	v_cndmask_b32_e64 v96, v96, v103, s7
	v_cndmask_b32_e64 v89, v89, v79, s8
	;; [unrolled: 1-line block ×3, first 2 shown]
	v_cmp_eq_u32_e64 s10, 4, v88
	v_cmp_eq_u32_e64 s4, 1, v86
	v_cndmask_b32_e64 v97, v97, v92, s5
	v_cndmask_b32_e64 v89, v89, v104, s9
	v_cmp_eq_u32_e64 s11, 6, v87
	v_cndmask_b32_e64 v96, v96, v79, s10
	v_cndmask_b32_e64 v95, v95, v107, s9
	v_cmp_eq_u32_e64 s12, 5, v88
	v_lshrrev_b32_e32 v105, 16, v80
	v_cndmask_b32_e64 v98, v77, v73, s4
	v_cndmask_b32_e64 v97, v97, v106, s7
	;; [unrolled: 1-line block ×4, first 2 shown]
	v_cmp_eq_u32_e64 s13, 7, v87
	v_cndmask_b32_e64 v95, v95, v94, s11
	v_cmp_eq_u32_e64 s15, 6, v88
	v_cmp_eq_u32_e64 s16, 2, v86
	v_cndmask_b32_e64 v97, v97, v93, s10
	v_cndmask_b32_e64 v109, v89, v105, s13
	;; [unrolled: 1-line block ×6, first 2 shown]
	v_cmp_eq_u32_e64 s17, 7, v88
	v_cmp_eq_u32_e64 s18, 3, v86
	;; [unrolled: 1-line block ×4, first 2 shown]
	v_cndmask_b32_e64 v95, v95, v92, s16
	v_cndmask_b32_e64 v111, v96, v105, s17
	;; [unrolled: 1-line block ×4, first 2 shown]
	v_or_b32_e32 v89, 3, v87
	v_cndmask_b32_e64 v101, v95, v106, s18
	v_cmp_eq_u32_e64 s23, 6, v86
	v_cndmask_b32_e64 v112, v96, v94, s15
	v_cndmask_b32_e64 v100, v97, v79, s19
	v_cmp_eq_u32_e64 s20, 1, v89
	ds_load_b128 v[95:98], v90 offset:1024
	v_cmp_eq_u32_e64 s22, 2, v89
	v_cmp_eq_u32_e64 s24, 3, v89
	v_cndmask_b32_e64 v113, v100, v104, s21
	v_cndmask_b32_e64 v73, v77, v73, s20
	;; [unrolled: 1-line block ×4, first 2 shown]
	ds_load_b128 v[99:102], v90 offset:1040
	v_cmp_eq_u32_e64 s25, 4, v89
	v_cndmask_b32_e64 v73, v73, v78, s22
	v_cmp_eq_u32_e64 s26, 7, v86
	v_cndmask_b32_e64 v78, v91, v92, s22
	v_cndmask_b32_e64 v92, v113, v80, s23
	v_cmp_eq_u32_e64 s27, 5, v89
	v_cndmask_b32_e64 v73, v73, v103, s24
	v_cndmask_b32_e64 v77, v77, v107, s21
	;; [unrolled: 1-line block ×3, first 2 shown]
	v_cmp_eq_u32_e64 s28, 6, v89
	v_cndmask_b32_e64 v91, v112, v108, s17
	v_cndmask_b32_e64 v73, v73, v79, s25
	s_waitcnt lgkmcnt(1)
	v_lshrrev_b32_e32 v103, 16, v95
	v_cndmask_b32_e64 v78, v78, v93, s25
	v_cndmask_b32_e64 v79, v92, v105, s26
	;; [unrolled: 1-line block ×4, first 2 shown]
	v_cndmask_b32_e32 v92, v95, v103, vcc_lo
	v_cndmask_b32_e64 v78, v78, v107, s27
	s_waitcnt lgkmcnt(0)
	v_lshrrev_b32_e32 v93, 16, v99
	v_lshrrev_b32_e32 v104, 16, v96
	v_cndmask_b32_e64 v106, v95, v103, s2
	v_cndmask_b32_e64 v92, v92, v96, s3
	;; [unrolled: 1-line block ×3, first 2 shown]
	v_cndmask_b32_e32 v107, v99, v93, vcc_lo
	v_cndmask_b32_e64 v78, v78, v94, s28
	v_cmp_eq_u32_e32 vcc_lo, 7, v89
	v_cndmask_b32_e64 v80, v92, v104, s6
	v_cndmask_b32_e64 v92, v106, v96, s5
	;; [unrolled: 1-line block ×3, first 2 shown]
	v_lshrrev_b32_e32 v106, 16, v100
	v_cndmask_b32_e64 v77, v77, v108, s26
	v_cndmask_b32_e32 v78, v78, v108, vcc_lo
	v_lshrrev_b32_e32 v108, 16, v101
	v_cndmask_b32_e64 v80, v80, v97, s8
	v_cndmask_b32_e64 v94, v94, v106, s6
	v_lshrrev_b32_e32 v107, 16, v97
	v_cndmask_b32_e32 v73, v73, v105, vcc_lo
	v_perm_b32 v79, v77, v79, 0x5040100
	v_cndmask_b32_e64 v92, v92, v104, s7
	v_cndmask_b32_e64 v94, v94, v101, s8
	;; [unrolled: 1-line block ×3, first 2 shown]
	v_perm_b32 v80, v78, v73, 0x5040100
	v_perm_b32 v78, v91, v111, 0x5040100
	v_cndmask_b32_e64 v111, v99, v93, s4
	v_cndmask_b32_e64 v94, v94, v108, s9
	;; [unrolled: 1-line block ×3, first 2 shown]
	s_delay_alu instid0(VALU_DEP_2)
	v_cndmask_b32_e64 v77, v94, v102, s11
	v_cndmask_b32_e64 v94, v95, v103, s4
	;; [unrolled: 1-line block ×22, first 2 shown]
	v_lshrrev_b32_e32 v105, 16, v98
	v_cndmask_b32_e64 v94, v94, v107, s21
	v_cndmask_b32_e64 v95, v95, v107, s27
	;; [unrolled: 1-line block ×7, first 2 shown]
	v_lshrrev_b32_e32 v92, 16, v102
	v_cndmask_b32_e64 v94, v94, v98, s23
	v_cndmask_b32_e64 v95, v95, v98, s28
	;; [unrolled: 1-line block ×7, first 2 shown]
	v_dual_cndmask_b32 v94, v95, v105 :: v_dual_cndmask_b32 v95, v96, v92
	v_cndmask_b32_e64 v96, v97, v92, s26
	v_cndmask_b32_e64 v97, v93, v92, s17
	;; [unrolled: 1-line block ×3, first 2 shown]
	v_perm_b32 v77, v110, v109, 0x5040100
	v_perm_b32 v94, v95, v94, 0x5040100
	;; [unrolled: 1-line block ×5, first 2 shown]
	s_lshl_b32 s7, s35, 4
	s_mov_b32 s2, exec_lo
	ds_store_b128 v76, v[77:80]
	ds_store_b128 v76, v[91:94] offset:1024
	v_cmpx_gt_u32_e32 16, v0
	s_cbranch_execz .LBB705_80
; %bb.79:
	v_or_b32_e32 v73, s29, v0
	s_load_b128 s[8:11], s[0:1], 0x58
	s_delay_alu instid0(VALU_DEP_1) | instskip(NEXT) | instid1(VALU_DEP_1)
	v_mad_u64_u32 v[76:77], null, s7, s30, v[73:74]
	v_mad_u64_u32 v[77:78], null, v76, s34, s[14:15]
	s_delay_alu instid0(VALU_DEP_1) | instskip(NEXT) | instid1(VALU_DEP_1)
	v_ashrrev_i32_e32 v78, 31, v77
	v_lshlrev_b64 v[76:77], 2, v[77:78]
	s_waitcnt lgkmcnt(0)
	s_delay_alu instid0(VALU_DEP_1) | instskip(NEXT) | instid1(VALU_DEP_2)
	v_add_co_u32 v78, vcc_lo, s10, v76
	v_add_co_ci_u32_e32 v79, vcc_lo, s11, v77, vcc_lo
	v_add_co_u32 v76, vcc_lo, s8, v76
	v_add_co_ci_u32_e32 v77, vcc_lo, s9, v77, vcc_lo
	global_store_b32 v[78:79], v74, off
	global_store_b32 v[76:77], v75, off
.LBB705_80:
	s_or_b32 exec_lo, exec_lo, s2
	s_waitcnt lgkmcnt(0)
	s_waitcnt_vscnt null, 0x0
	s_barrier
	buffer_gl0_inv
	ds_load_b128 v[91:94], v85
	ds_load_b128 v[95:98], v85 offset:16
	ds_load_b128 v[103:106], v85 offset:1040
	;; [unrolled: 1-line block ×3, first 2 shown]
	v_mov_b32_e32 v73, 0
	ds_load_b128 v[111:114], v85 offset:2064
	ds_load_b128 v[107:110], v85 offset:2048
	;; [unrolled: 1-line block ×6, first 2 shown]
	v_mov_b32_e32 v74, v73
	v_mov_b32_e32 v75, v73
	;; [unrolled: 1-line block ×7, first 2 shown]
	s_waitcnt lgkmcnt(8)
	s_delay_alu instid0(VALU_DEP_1)
	v_wmma_f32_16x16x16_bf16 v[73:80], v[65:72], v[91:98], v[73:80]
	ds_load_b128 v[69:72], v85 offset:5136
	ds_load_b128 v[65:68], v85 offset:5120
	;; [unrolled: 1-line block ×4, first 2 shown]
	s_waitcnt lgkmcnt(10)
	v_wmma_f32_16x16x16_bf16 v[73:80], v[57:64], v[99:106], v[73:80]
	s_waitcnt lgkmcnt(8)
	s_delay_alu instid0(VALU_DEP_1)
	v_wmma_f32_16x16x16_bf16 v[73:80], v[57:64], v[107:114], v[73:80]
	ds_load_b128 v[61:64], v85 offset:7184
	ds_load_b128 v[57:60], v85 offset:7168
	;; [unrolled: 1-line block ×4, first 2 shown]
	s_waitcnt lgkmcnt(10)
	v_wmma_f32_16x16x16_bf16 v[73:80], v[49:56], v[115:122], v[73:80]
	s_waitcnt lgkmcnt(8)
	s_delay_alu instid0(VALU_DEP_1)
	v_wmma_f32_16x16x16_bf16 v[73:80], v[49:56], v[123:130], v[73:80]
	ds_load_b128 v[53:56], v85 offset:9232
	ds_load_b128 v[49:52], v85 offset:9216
	s_waitcnt lgkmcnt(8)
	v_wmma_f32_16x16x16_bf16 v[73:80], v[41:48], v[65:72], v[73:80]
	ds_load_b128 v[69:72], v85 offset:10256
	ds_load_b128 v[65:68], v85 offset:10240
	s_waitcnt lgkmcnt(8)
	;; [unrolled: 4-line block ×3, first 2 shown]
	v_wmma_f32_16x16x16_bf16 v[73:80], v[9:16], v[57:64], v[73:80]
	s_waitcnt lgkmcnt(6)
	s_delay_alu instid0(VALU_DEP_1)
	v_wmma_f32_16x16x16_bf16 v[73:80], v[9:16], v[99:106], v[73:80]
	ds_load_b128 v[13:16], v85 offset:12304
	ds_load_b128 v[9:12], v85 offset:12288
	s_waitcnt lgkmcnt(6)
	v_wmma_f32_16x16x16_bf16 v[73:80], v[1:8], v[49:56], v[73:80]
	ds_load_b128 v[53:56], v85 offset:13328
	ds_load_b128 v[49:52], v85 offset:13312
	s_waitcnt lgkmcnt(6)
	;; [unrolled: 4-line block ×4, first 2 shown]
	v_wmma_f32_16x16x16_bf16 v[73:80], v[33:40], v[9:16], v[73:80]
	s_waitcnt lgkmcnt(4)
	s_delay_alu instid0(VALU_DEP_1) | instskip(SKIP_1) | instid1(VALU_DEP_1)
	v_wmma_f32_16x16x16_bf16 v[73:80], v[25:32], v[49:56], v[73:80]
	s_waitcnt lgkmcnt(2)
	v_wmma_f32_16x16x16_bf16 v[73:80], v[25:32], v[1:8], v[73:80]
	s_waitcnt lgkmcnt(0)
	s_delay_alu instid0(VALU_DEP_1) | instskip(NEXT) | instid1(VALU_DEP_1)
	v_wmma_f32_16x16x16_bf16 v[73:80], v[17:24], v[41:48], v[73:80]
	v_and_b32_e32 v1, 0x7f800000, v73
	s_delay_alu instid0(VALU_DEP_1) | instskip(SKIP_1) | instid1(SALU_CYCLE_1)
	v_cmp_ne_u32_e32 vcc_lo, 0x7f800000, v1
                                        ; implicit-def: $vgpr1
	s_and_saveexec_b32 s2, vcc_lo
	s_xor_b32 s2, exec_lo, s2
; %bb.81:
	v_bfe_u32 v1, v73, 16, 1
	s_delay_alu instid0(VALU_DEP_1)
	v_add3_u32 v1, v73, v1, 0x7fff
; %bb.82:
	s_and_not1_saveexec_b32 s2, s2
; %bb.83:
	v_and_b32_e32 v1, 0xffff, v73
	v_or_b32_e32 v2, 0x10000, v73
	s_delay_alu instid0(VALU_DEP_2) | instskip(NEXT) | instid1(VALU_DEP_2)
	v_cmp_eq_u32_e32 vcc_lo, 0, v1
	v_cndmask_b32_e32 v1, v2, v73, vcc_lo
; %bb.84:
	s_or_b32 exec_lo, exec_lo, s2
	v_and_b32_e32 v2, 0x7f800000, v74
	s_delay_alu instid0(VALU_DEP_1) | instskip(SKIP_1) | instid1(SALU_CYCLE_1)
	v_cmp_ne_u32_e32 vcc_lo, 0x7f800000, v2
                                        ; implicit-def: $vgpr2
	s_and_saveexec_b32 s2, vcc_lo
	s_xor_b32 s2, exec_lo, s2
; %bb.85:
	v_bfe_u32 v2, v74, 16, 1
	s_delay_alu instid0(VALU_DEP_1)
	v_add3_u32 v2, v74, v2, 0x7fff
; %bb.86:
	s_and_not1_saveexec_b32 s2, s2
; %bb.87:
	v_and_b32_e32 v2, 0xffff, v74
	v_or_b32_e32 v3, 0x10000, v74
	s_delay_alu instid0(VALU_DEP_2) | instskip(NEXT) | instid1(VALU_DEP_2)
	v_cmp_eq_u32_e32 vcc_lo, 0, v2
	v_cndmask_b32_e32 v2, v3, v74, vcc_lo
; %bb.88:
	s_or_b32 exec_lo, exec_lo, s2
	v_and_b32_e32 v3, 0x7f800000, v75
	s_delay_alu instid0(VALU_DEP_1) | instskip(SKIP_1) | instid1(SALU_CYCLE_1)
	v_cmp_ne_u32_e32 vcc_lo, 0x7f800000, v3
                                        ; implicit-def: $vgpr3
	s_and_saveexec_b32 s2, vcc_lo
	s_xor_b32 s2, exec_lo, s2
; %bb.89:
	v_bfe_u32 v3, v75, 16, 1
	s_delay_alu instid0(VALU_DEP_1)
	v_add3_u32 v3, v75, v3, 0x7fff
; %bb.90:
	s_and_not1_saveexec_b32 s2, s2
; %bb.91:
	v_and_b32_e32 v3, 0xffff, v75
	v_or_b32_e32 v4, 0x10000, v75
	s_delay_alu instid0(VALU_DEP_2) | instskip(NEXT) | instid1(VALU_DEP_2)
	v_cmp_eq_u32_e32 vcc_lo, 0, v3
	v_cndmask_b32_e32 v3, v4, v75, vcc_lo
; %bb.92:
	s_or_b32 exec_lo, exec_lo, s2
	v_and_b32_e32 v4, 0x7f800000, v76
	s_delay_alu instid0(VALU_DEP_1) | instskip(SKIP_1) | instid1(SALU_CYCLE_1)
	v_cmp_ne_u32_e32 vcc_lo, 0x7f800000, v4
                                        ; implicit-def: $vgpr4
	s_and_saveexec_b32 s2, vcc_lo
	s_xor_b32 s2, exec_lo, s2
; %bb.93:
	v_bfe_u32 v4, v76, 16, 1
	s_delay_alu instid0(VALU_DEP_1)
	v_add3_u32 v4, v76, v4, 0x7fff
; %bb.94:
	s_and_not1_saveexec_b32 s2, s2
; %bb.95:
	v_and_b32_e32 v4, 0xffff, v76
	v_or_b32_e32 v5, 0x10000, v76
	s_delay_alu instid0(VALU_DEP_2) | instskip(NEXT) | instid1(VALU_DEP_2)
	v_cmp_eq_u32_e32 vcc_lo, 0, v4
	v_cndmask_b32_e32 v4, v5, v76, vcc_lo
; %bb.96:
	s_or_b32 exec_lo, exec_lo, s2
	v_and_b32_e32 v5, 0x7f800000, v77
	s_delay_alu instid0(VALU_DEP_1) | instskip(SKIP_1) | instid1(SALU_CYCLE_1)
	v_cmp_ne_u32_e32 vcc_lo, 0x7f800000, v5
                                        ; implicit-def: $vgpr5
	s_and_saveexec_b32 s2, vcc_lo
	s_xor_b32 s2, exec_lo, s2
; %bb.97:
	v_bfe_u32 v5, v77, 16, 1
	s_delay_alu instid0(VALU_DEP_1)
	v_add3_u32 v5, v77, v5, 0x7fff
; %bb.98:
	s_and_not1_saveexec_b32 s2, s2
; %bb.99:
	v_and_b32_e32 v5, 0xffff, v77
	v_or_b32_e32 v6, 0x10000, v77
	s_delay_alu instid0(VALU_DEP_2) | instskip(NEXT) | instid1(VALU_DEP_2)
	v_cmp_eq_u32_e32 vcc_lo, 0, v5
	v_cndmask_b32_e32 v5, v6, v77, vcc_lo
; %bb.100:
	s_or_b32 exec_lo, exec_lo, s2
	v_and_b32_e32 v6, 0x7f800000, v78
	s_delay_alu instid0(VALU_DEP_1) | instskip(SKIP_1) | instid1(SALU_CYCLE_1)
	v_cmp_ne_u32_e32 vcc_lo, 0x7f800000, v6
                                        ; implicit-def: $vgpr6
	s_and_saveexec_b32 s2, vcc_lo
	s_xor_b32 s2, exec_lo, s2
; %bb.101:
	v_bfe_u32 v6, v78, 16, 1
	s_delay_alu instid0(VALU_DEP_1)
	v_add3_u32 v6, v78, v6, 0x7fff
; %bb.102:
	s_and_not1_saveexec_b32 s2, s2
; %bb.103:
	v_and_b32_e32 v6, 0xffff, v78
	v_or_b32_e32 v7, 0x10000, v78
	s_delay_alu instid0(VALU_DEP_2) | instskip(NEXT) | instid1(VALU_DEP_2)
	v_cmp_eq_u32_e32 vcc_lo, 0, v6
	v_cndmask_b32_e32 v6, v7, v78, vcc_lo
; %bb.104:
	s_or_b32 exec_lo, exec_lo, s2
	v_and_b32_e32 v7, 0x7f800000, v79
	s_delay_alu instid0(VALU_DEP_1) | instskip(SKIP_1) | instid1(SALU_CYCLE_1)
	v_cmp_ne_u32_e32 vcc_lo, 0x7f800000, v7
                                        ; implicit-def: $vgpr7
	s_and_saveexec_b32 s2, vcc_lo
	s_xor_b32 s2, exec_lo, s2
; %bb.105:
	v_bfe_u32 v7, v79, 16, 1
	s_delay_alu instid0(VALU_DEP_1)
	v_add3_u32 v7, v79, v7, 0x7fff
; %bb.106:
	s_and_not1_saveexec_b32 s2, s2
; %bb.107:
	v_and_b32_e32 v7, 0xffff, v79
	v_or_b32_e32 v8, 0x10000, v79
	s_delay_alu instid0(VALU_DEP_2) | instskip(NEXT) | instid1(VALU_DEP_2)
	v_cmp_eq_u32_e32 vcc_lo, 0, v7
	v_cndmask_b32_e32 v7, v8, v79, vcc_lo
; %bb.108:
	s_or_b32 exec_lo, exec_lo, s2
	v_and_b32_e32 v8, 0x7f800000, v80
	s_delay_alu instid0(VALU_DEP_1) | instskip(SKIP_1) | instid1(SALU_CYCLE_1)
	v_cmp_ne_u32_e32 vcc_lo, 0x7f800000, v8
                                        ; implicit-def: $vgpr8
	s_and_saveexec_b32 s2, vcc_lo
	s_xor_b32 s2, exec_lo, s2
; %bb.109:
	v_bfe_u32 v8, v80, 16, 1
	s_delay_alu instid0(VALU_DEP_1)
	v_add3_u32 v8, v80, v8, 0x7fff
                                        ; implicit-def: $vgpr73_vgpr74_vgpr75_vgpr76_vgpr77_vgpr78_vgpr79_vgpr80
; %bb.110:
	s_and_not1_saveexec_b32 s2, s2
; %bb.111:
	v_and_b32_e32 v8, 0xffff, v80
	v_or_b32_e32 v9, 0x10000, v80
	s_delay_alu instid0(VALU_DEP_2) | instskip(NEXT) | instid1(VALU_DEP_2)
	v_cmp_eq_u32_e32 vcc_lo, 0, v8
	v_cndmask_b32_e32 v8, v9, v80, vcc_lo
; %bb.112:
	s_or_b32 exec_lo, exec_lo, s2
	s_delay_alu instid0(VALU_DEP_1)
	v_perm_b32 v7, v8, v7, 0x7060302
	v_perm_b32 v6, v6, v5, 0x7060302
	;; [unrolled: 1-line block ×4, first 2 shown]
	v_lshl_or_b32 v9, v83, 4, v90
	s_barrier
	buffer_gl0_inv
	v_cmp_eq_u32_e32 vcc_lo, 1, v87
	ds_store_b128 v9, v[4:7]
	s_waitcnt lgkmcnt(0)
	s_barrier
	buffer_gl0_inv
	ds_load_b128 v[1:4], v90
	ds_load_b128 v[5:8], v90 offset:16
	v_cmp_eq_u32_e64 s3, 2, v87
	v_cmp_eq_u32_e64 s2, 1, v88
	;; [unrolled: 1-line block ×5, first 2 shown]
	s_waitcnt lgkmcnt(1)
	v_lshrrev_b32_e32 v10, 16, v1
	s_waitcnt lgkmcnt(0)
	v_lshrrev_b32_e32 v14, 16, v5
	v_lshrrev_b32_e32 v15, 16, v6
	;; [unrolled: 1-line block ×4, first 2 shown]
	v_cndmask_b32_e64 v20, v1, v10, s2
	v_cndmask_b32_e32 v19, v5, v14, vcc_lo
	v_cndmask_b32_e64 v21, v5, v14, s2
	v_lshrrev_b32_e32 v16, 16, v7
	v_cmp_eq_u32_e64 s2, 1, v86
	v_lshrrev_b32_e32 v13, 16, v4
	v_cndmask_b32_e64 v19, v19, v6, s3
	v_lshrrev_b32_e32 v17, 16, v8
	s_delay_alu instid0(VALU_DEP_4) | instskip(SKIP_1) | instid1(VALU_DEP_4)
	v_cndmask_b32_e64 v22, v1, v10, s2
	v_cndmask_b32_e64 v23, v5, v14, s2
	;; [unrolled: 1-line block ×3, first 2 shown]
	v_cndmask_b32_e32 v18, v1, v10, vcc_lo
	v_cmp_eq_u32_e32 vcc_lo, 2, v88
	v_cmp_eq_u32_e64 s2, 2, v89
	v_cndmask_b32_e64 v22, v22, v2, s6
	v_cndmask_b32_e32 v20, v20, v2, vcc_lo
	v_cndmask_b32_e32 v21, v21, v6, vcc_lo
	v_cmp_eq_u32_e32 vcc_lo, 4, v87
	v_cndmask_b32_e32 v19, v19, v7, vcc_lo
	v_cndmask_b32_e64 v18, v18, v2, s3
	v_cmp_eq_u32_e64 s3, 3, v88
	s_delay_alu instid0(VALU_DEP_2) | instskip(NEXT) | instid1(VALU_DEP_2)
	v_cndmask_b32_e64 v18, v18, v11, s4
	v_cndmask_b32_e64 v21, v21, v15, s3
	v_cmp_eq_u32_e64 s4, 5, v87
	s_delay_alu instid0(VALU_DEP_3) | instskip(SKIP_1) | instid1(VALU_DEP_3)
	v_cndmask_b32_e32 v18, v18, v3, vcc_lo
	v_cmp_eq_u32_e32 vcc_lo, 4, v88
	v_cndmask_b32_e64 v19, v19, v16, s4
	s_delay_alu instid0(VALU_DEP_3) | instskip(SKIP_4) | instid1(VALU_DEP_3)
	v_cndmask_b32_e64 v18, v18, v12, s4
	v_cndmask_b32_e32 v21, v21, v7, vcc_lo
	v_cndmask_b32_e64 v20, v20, v11, s3
	v_cmp_eq_u32_e64 s3, 5, v88
	v_cmp_eq_u32_e64 s4, 6, v87
	v_cndmask_b32_e32 v20, v20, v3, vcc_lo
	s_delay_alu instid0(VALU_DEP_3) | instskip(SKIP_1) | instid1(VALU_DEP_4)
	v_cndmask_b32_e64 v21, v21, v16, s3
	v_cmp_eq_u32_e32 vcc_lo, 6, v88
	v_cndmask_b32_e64 v18, v18, v4, s4
	v_cndmask_b32_e64 v19, v19, v8, s4
	;; [unrolled: 1-line block ×3, first 2 shown]
	v_cmp_eq_u32_e64 s3, 1, v89
	v_cmp_eq_u32_e64 s4, 7, v87
	s_delay_alu instid0(VALU_DEP_3) | instskip(NEXT) | instid1(VALU_DEP_3)
	v_cndmask_b32_e32 v20, v20, v4, vcc_lo
	v_cndmask_b32_e64 v1, v1, v10, s3
	v_cndmask_b32_e64 v5, v5, v14, s3
	v_cmp_eq_u32_e64 s3, 3, v86
	v_cndmask_b32_e64 v14, v23, v6, s6
	v_cmp_eq_u32_e64 s6, 3, v89
	v_cndmask_b32_e64 v1, v1, v2, s2
	v_cndmask_b32_e64 v2, v5, v6, s2
	;; [unrolled: 1-line block ×3, first 2 shown]
	v_cmp_eq_u32_e64 s2, 4, v86
	v_cndmask_b32_e64 v6, v14, v15, s3
	v_cndmask_b32_e64 v1, v1, v11, s6
	v_cmp_eq_u32_e64 s3, 4, v89
	v_cndmask_b32_e64 v2, v2, v15, s6
	v_cndmask_b32_e64 v5, v10, v3, s2
	v_cmp_eq_u32_e64 s6, 5, v86
	v_cndmask_b32_e64 v6, v6, v7, s2
	v_cndmask_b32_e64 v1, v1, v3, s3
	v_cndmask_b32_e64 v2, v2, v7, s3
	v_cmp_eq_u32_e64 s2, 5, v89
	v_cndmask_b32_e64 v5, v5, v12, s6
	v_cmp_eq_u32_e64 s3, 6, v86
	v_cndmask_b32_e64 v3, v6, v16, s6
	v_cmp_eq_u32_e64 s6, 6, v89
	v_cndmask_b32_e64 v1, v1, v12, s2
	v_cndmask_b32_e64 v2, v2, v16, s2
	;; [unrolled: 1-line block ×4, first 2 shown]
	v_cmp_eq_u32_e64 s2, 7, v89
	v_cndmask_b32_e64 v1, v1, v4, s6
	v_cndmask_b32_e64 v2, v2, v8, s6
	v_cmp_eq_u32_e64 s3, 7, v86
	v_cndmask_b32_e32 v4, v21, v8, vcc_lo
	v_cndmask_b32_e64 v18, v18, v13, s4
	v_cndmask_b32_e64 v20, v20, v13, s5
	;; [unrolled: 1-line block ×8, first 2 shown]
	s_mov_b32 s2, exec_lo
	v_perm_b32 v4, v2, v1, 0x5040100
	v_perm_b32 v3, v3, v5, 0x5040100
	;; [unrolled: 1-line block ×4, first 2 shown]
	ds_store_b128 v9, v[1:4]
	s_waitcnt lgkmcnt(0)
	s_barrier
	buffer_gl0_inv
	v_cmpx_gt_u32_e32 32, v0
	s_cbranch_execz .LBB705_2
; %bb.113:
	s_load_b64 s[0:1], s[0:1], 0x68
	v_lshlrev_b32_e32 v0, 10, v0
	s_lshl_b32 s4, s34, 7
	v_or_b32_e32 v23, s29, v83
	s_mul_i32 s2, s4, s30
	v_lshlrev_b32_e32 v1, 4, v84
	v_lshlrev_b32_e32 v2, 6, v83
	s_mul_i32 s2, s2, s7
	v_and_b32_e32 v0, 0x3800, v0
	v_mul_lo_u32 v8, v23, s4
	s_ashr_i32 s3, s2, 31
	v_or_b32_e32 v3, 2, v23
	s_lshl_b64 s[2:3], s[2:3], 1
	v_or3_b32 v27, v0, v1, v2
	v_or_b32_e32 v11, 4, v23
	v_or_b32_e32 v18, 6, v23
	v_mul_lo_u32 v10, v3, s4
	v_ashrrev_i32_e32 v9, 31, v8
	ds_load_b128 v[0:3], v27
	ds_load_b128 v[4:7], v27 offset:128
	v_mul_lo_u32 v12, v11, s4
	s_waitcnt lgkmcnt(0)
	s_add_u32 s2, s0, s2
	s_addc_u32 s3, s1, s3
	s_lshl_b32 s0, s14, 7
	v_lshlrev_b64 v[8:9], 1, v[8:9]
	s_ashr_i32 s1, s0, 31
	v_ashrrev_i32_e32 v11, 31, v10
	s_lshl_b64 s[0:1], s[0:1], 1
	v_ashrrev_i32_e32 v13, 31, v12
	s_add_u32 s0, s2, s0
	s_addc_u32 s1, s3, s1
	v_add_co_u32 v30, vcc_lo, s0, v81
	v_add_co_ci_u32_e32 v31, vcc_lo, s1, v82, vcc_lo
	v_lshlrev_b64 v[16:17], 1, v[10:11]
	s_delay_alu instid0(VALU_DEP_3) | instskip(NEXT) | instid1(VALU_DEP_3)
	v_add_co_u32 v14, vcc_lo, v30, v8
	v_add_co_ci_u32_e32 v15, vcc_lo, v31, v9, vcc_lo
	ds_load_b128 v[8:11], v27 offset:256
	v_mul_lo_u32 v18, v18, s4
	v_or_b32_e32 v19, 8, v23
	v_add_co_u32 v16, vcc_lo, v30, v16
	global_store_b128 v[14:15], v[0:3], off
	v_lshlrev_b64 v[0:1], 1, v[12:13]
	v_add_co_ci_u32_e32 v17, vcc_lo, v31, v17, vcc_lo
	v_mul_lo_u32 v12, v19, s4
	v_ashrrev_i32_e32 v19, 31, v18
	v_or_b32_e32 v14, 10, v23
	global_store_b128 v[16:17], v[4:7], off
	v_add_co_u32 v4, vcc_lo, v30, v0
	v_add_co_ci_u32_e32 v5, vcc_lo, v31, v1, vcc_lo
	ds_load_b128 v[0:3], v27 offset:384
	v_ashrrev_i32_e32 v13, 31, v12
	v_lshlrev_b64 v[6:7], 1, v[18:19]
	v_mul_lo_u32 v14, v14, s4
	s_waitcnt lgkmcnt(1)
	global_store_b128 v[4:5], v[8:11], off
	v_or_b32_e32 v8, 12, v23
	v_lshlrev_b64 v[4:5], 1, v[12:13]
	v_add_co_u32 v20, vcc_lo, v30, v6
	v_or_b32_e32 v6, 14, v23
	v_ashrrev_i32_e32 v15, 31, v14
	v_mul_lo_u32 v22, v8, s4
	v_add_co_ci_u32_e32 v21, vcc_lo, v31, v7, vcc_lo
	v_add_co_u32 v24, vcc_lo, v30, v4
	v_mul_lo_u32 v26, v6, s4
	v_add_co_ci_u32_e32 v25, vcc_lo, v31, v5, vcc_lo
	v_lshlrev_b64 v[28:29], 1, v[14:15]
	ds_load_b128 v[4:7], v27 offset:512
	ds_load_b128 v[8:11], v27 offset:640
	;; [unrolled: 1-line block ×4, first 2 shown]
	v_ashrrev_i32_e32 v23, 31, v22
	v_ashrrev_i32_e32 v27, 31, v26
	v_add_co_u32 v28, vcc_lo, v30, v28
	s_delay_alu instid0(VALU_DEP_3) | instskip(SKIP_1) | instid1(VALU_DEP_4)
	v_lshlrev_b64 v[22:23], 1, v[22:23]
	v_add_co_ci_u32_e32 v29, vcc_lo, v31, v29, vcc_lo
	v_lshlrev_b64 v[26:27], 1, v[26:27]
	s_delay_alu instid0(VALU_DEP_3) | instskip(NEXT) | instid1(VALU_DEP_4)
	v_add_co_u32 v22, vcc_lo, v30, v22
	v_add_co_ci_u32_e32 v23, vcc_lo, v31, v23, vcc_lo
	s_delay_alu instid0(VALU_DEP_3) | instskip(NEXT) | instid1(VALU_DEP_4)
	v_add_co_u32 v26, vcc_lo, v30, v26
	v_add_co_ci_u32_e32 v27, vcc_lo, v31, v27, vcc_lo
	s_waitcnt lgkmcnt(4)
	global_store_b128 v[20:21], v[0:3], off
	s_waitcnt lgkmcnt(3)
	global_store_b128 v[24:25], v[4:7], off
	;; [unrolled: 2-line block ×5, first 2 shown]
	s_nop 0
	s_sendmsg sendmsg(MSG_DEALLOC_VGPRS)
	s_endpgm
	.section	.rodata,"a",@progbits
	.p2align	6, 0x0
	.amdhsa_kernel _Z39paged_attention_ll4mi_QKV_mfma16_kernelI14__hip_bfloat16S0_LN4vllm18Fp8KVCacheDataTypeE0EhLi32ELi128ELi256ELb1ELi16EL8MFMAType0EEvPKT_PKT0_S9_ifPKiSB_SB_iPKfiiiPfSE_PS4_PT2_iSD_SD_
		.amdhsa_group_segment_fixed_size 17472
		.amdhsa_private_segment_fixed_size 0
		.amdhsa_kernarg_size 400
		.amdhsa_user_sgpr_count 13
		.amdhsa_user_sgpr_dispatch_ptr 0
		.amdhsa_user_sgpr_queue_ptr 0
		.amdhsa_user_sgpr_kernarg_segment_ptr 1
		.amdhsa_user_sgpr_dispatch_id 0
		.amdhsa_user_sgpr_private_segment_size 0
		.amdhsa_wavefront_size32 1
		.amdhsa_uses_dynamic_stack 0
		.amdhsa_enable_private_segment 0
		.amdhsa_system_sgpr_workgroup_id_x 1
		.amdhsa_system_sgpr_workgroup_id_y 1
		.amdhsa_system_sgpr_workgroup_id_z 1
		.amdhsa_system_sgpr_workgroup_info 0
		.amdhsa_system_vgpr_workitem_id 0
		.amdhsa_next_free_vgpr 150
		.amdhsa_next_free_sgpr 38
		.amdhsa_reserve_vcc 1
		.amdhsa_float_round_mode_32 0
		.amdhsa_float_round_mode_16_64 0
		.amdhsa_float_denorm_mode_32 3
		.amdhsa_float_denorm_mode_16_64 3
		.amdhsa_dx10_clamp 1
		.amdhsa_ieee_mode 1
		.amdhsa_fp16_overflow 0
		.amdhsa_workgroup_processor_mode 1
		.amdhsa_memory_ordered 1
		.amdhsa_forward_progress 0
		.amdhsa_shared_vgpr_count 0
		.amdhsa_exception_fp_ieee_invalid_op 0
		.amdhsa_exception_fp_denorm_src 0
		.amdhsa_exception_fp_ieee_div_zero 0
		.amdhsa_exception_fp_ieee_overflow 0
		.amdhsa_exception_fp_ieee_underflow 0
		.amdhsa_exception_fp_ieee_inexact 0
		.amdhsa_exception_int_div_zero 0
	.end_amdhsa_kernel
	.section	.text._Z39paged_attention_ll4mi_QKV_mfma16_kernelI14__hip_bfloat16S0_LN4vllm18Fp8KVCacheDataTypeE0EhLi32ELi128ELi256ELb1ELi16EL8MFMAType0EEvPKT_PKT0_S9_ifPKiSB_SB_iPKfiiiPfSE_PS4_PT2_iSD_SD_,"axG",@progbits,_Z39paged_attention_ll4mi_QKV_mfma16_kernelI14__hip_bfloat16S0_LN4vllm18Fp8KVCacheDataTypeE0EhLi32ELi128ELi256ELb1ELi16EL8MFMAType0EEvPKT_PKT0_S9_ifPKiSB_SB_iPKfiiiPfSE_PS4_PT2_iSD_SD_,comdat
.Lfunc_end705:
	.size	_Z39paged_attention_ll4mi_QKV_mfma16_kernelI14__hip_bfloat16S0_LN4vllm18Fp8KVCacheDataTypeE0EhLi32ELi128ELi256ELb1ELi16EL8MFMAType0EEvPKT_PKT0_S9_ifPKiSB_SB_iPKfiiiPfSE_PS4_PT2_iSD_SD_, .Lfunc_end705-_Z39paged_attention_ll4mi_QKV_mfma16_kernelI14__hip_bfloat16S0_LN4vllm18Fp8KVCacheDataTypeE0EhLi32ELi128ELi256ELb1ELi16EL8MFMAType0EEvPKT_PKT0_S9_ifPKiSB_SB_iPKfiiiPfSE_PS4_PT2_iSD_SD_
                                        ; -- End function
	.section	.AMDGPU.csdata,"",@progbits
; Kernel info:
; codeLenInByte = 9920
; NumSgprs: 40
; NumVgprs: 150
; ScratchSize: 0
; MemoryBound: 0
; FloatMode: 240
; IeeeMode: 1
; LDSByteSize: 17472 bytes/workgroup (compile time only)
; SGPRBlocks: 4
; VGPRBlocks: 18
; NumSGPRsForWavesPerEU: 40
; NumVGPRsForWavesPerEU: 150
; Occupancy: 9
; WaveLimiterHint : 1
; COMPUTE_PGM_RSRC2:SCRATCH_EN: 0
; COMPUTE_PGM_RSRC2:USER_SGPR: 13
; COMPUTE_PGM_RSRC2:TRAP_HANDLER: 0
; COMPUTE_PGM_RSRC2:TGID_X_EN: 1
; COMPUTE_PGM_RSRC2:TGID_Y_EN: 1
; COMPUTE_PGM_RSRC2:TGID_Z_EN: 1
; COMPUTE_PGM_RSRC2:TIDIG_COMP_CNT: 0
	.section	.text._Z39paged_attention_ll4mi_QKV_mfma16_kernelI14__hip_bfloat16S0_LN4vllm18Fp8KVCacheDataTypeE0EhLi32ELi128ELi256ELb1ELi1EL8MFMAType0EEvPKT_PKT0_S9_ifPKiSB_SB_iPKfiiiPfSE_PS4_PT2_iSD_SD_,"axG",@progbits,_Z39paged_attention_ll4mi_QKV_mfma16_kernelI14__hip_bfloat16S0_LN4vllm18Fp8KVCacheDataTypeE0EhLi32ELi128ELi256ELb1ELi1EL8MFMAType0EEvPKT_PKT0_S9_ifPKiSB_SB_iPKfiiiPfSE_PS4_PT2_iSD_SD_,comdat
	.protected	_Z39paged_attention_ll4mi_QKV_mfma16_kernelI14__hip_bfloat16S0_LN4vllm18Fp8KVCacheDataTypeE0EhLi32ELi128ELi256ELb1ELi1EL8MFMAType0EEvPKT_PKT0_S9_ifPKiSB_SB_iPKfiiiPfSE_PS4_PT2_iSD_SD_ ; -- Begin function _Z39paged_attention_ll4mi_QKV_mfma16_kernelI14__hip_bfloat16S0_LN4vllm18Fp8KVCacheDataTypeE0EhLi32ELi128ELi256ELb1ELi1EL8MFMAType0EEvPKT_PKT0_S9_ifPKiSB_SB_iPKfiiiPfSE_PS4_PT2_iSD_SD_
	.globl	_Z39paged_attention_ll4mi_QKV_mfma16_kernelI14__hip_bfloat16S0_LN4vllm18Fp8KVCacheDataTypeE0EhLi32ELi128ELi256ELb1ELi1EL8MFMAType0EEvPKT_PKT0_S9_ifPKiSB_SB_iPKfiiiPfSE_PS4_PT2_iSD_SD_
	.p2align	8
	.type	_Z39paged_attention_ll4mi_QKV_mfma16_kernelI14__hip_bfloat16S0_LN4vllm18Fp8KVCacheDataTypeE0EhLi32ELi128ELi256ELb1ELi1EL8MFMAType0EEvPKT_PKT0_S9_ifPKiSB_SB_iPKfiiiPfSE_PS4_PT2_iSD_SD_,@function
_Z39paged_attention_ll4mi_QKV_mfma16_kernelI14__hip_bfloat16S0_LN4vllm18Fp8KVCacheDataTypeE0EhLi32ELi128ELi256ELb1ELi1EL8MFMAType0EEvPKT_PKT0_S9_ifPKiSB_SB_iPKfiiiPfSE_PS4_PT2_iSD_SD_: ; @_Z39paged_attention_ll4mi_QKV_mfma16_kernelI14__hip_bfloat16S0_LN4vllm18Fp8KVCacheDataTypeE0EhLi32ELi128ELi256ELb1ELi1EL8MFMAType0EEvPKT_PKT0_S9_ifPKiSB_SB_iPKfiiiPfSE_PS4_PT2_iSD_SD_
; %bb.0:
	s_load_b64 s[4:5], s[0:1], 0x30
	s_mov_b32 s34, s13
	s_waitcnt lgkmcnt(0)
	s_cmp_lg_u64 s[4:5], 0
	s_cselect_b32 s6, -1, 0
	s_ashr_i32 s35, s13, 31
	s_cmp_eq_u64 s[4:5], 0
	s_cbranch_scc1 .LBB706_3
; %bb.1:
	s_lshl_b64 s[2:3], s[34:35], 2
	s_delay_alu instid0(SALU_CYCLE_1) | instskip(SKIP_4) | instid1(SALU_CYCLE_1)
	s_add_u32 s2, s4, s2
	s_addc_u32 s3, s5, s3
	s_load_b64 s[2:3], s[2:3], 0x0
	s_waitcnt lgkmcnt(0)
	s_sub_i32 s2, s3, s2
	s_cmp_eq_u32 s2, 1
	s_cselect_b32 s2, -1, 0
	s_delay_alu instid0(SALU_CYCLE_1)
	s_and_not1_b32 vcc_lo, exec_lo, s2
	s_cbranch_vccz .LBB706_4
.LBB706_2:
	s_endpgm
.LBB706_3:
.LBB706_4:
	s_load_b64 s[2:3], s[0:1], 0x28
	s_lshl_b64 s[8:9], s[34:35], 2
	s_waitcnt lgkmcnt(0)
	s_add_u32 s2, s2, s8
	s_addc_u32 s3, s3, s9
	s_lshl_b32 s84, s14, 8
	s_load_b32 s33, s[2:3], 0x0
	s_waitcnt lgkmcnt(0)
	s_cmp_ge_i32 s84, s33
	s_cbranch_scc1 .LBB706_2
; %bb.5:
	s_clause 0x1
	s_load_b128 s[80:83], s[0:1], 0x8
	s_load_b64 s[2:3], s[0:1], 0x20
	s_and_not1_b32 vcc_lo, exec_lo, s6
	s_mov_b64 s[6:7], s[34:35]
	s_cbranch_vccnz .LBB706_7
; %bb.6:
	s_add_u32 s4, s4, s8
	s_addc_u32 s5, s5, s9
	s_load_b32 s6, s[4:5], 0x0
.LBB706_7:
	s_load_b128 s[76:79], s[0:1], 0x48
	v_and_b32_e32 v89, 15, v0
	s_mov_b32 s12, exec_lo
                                        ; implicit-def: $sgpr36
                                        ; implicit-def: $sgpr52
                                        ; implicit-def: $sgpr44
                                        ; implicit-def: $sgpr60
                                        ; implicit-def: $sgpr68
                                        ; implicit-def: $sgpr24
                                        ; implicit-def: $sgpr16
                                        ; implicit-def: $sgpr4
	s_delay_alu instid0(VALU_DEP_1)
	v_cmpx_eq_u32_e32 0, v89
	s_cbranch_execz .LBB706_9
; %bb.8:
	s_load_b64 s[4:5], s[0:1], 0x0
	s_waitcnt lgkmcnt(0)
	s_mul_hi_i32 s7, s6, s76
	s_mul_i32 s6, s6, s76
	s_delay_alu instid0(SALU_CYCLE_1) | instskip(NEXT) | instid1(SALU_CYCLE_1)
	s_lshl_b64 s[6:7], s[6:7], 1
	s_add_u32 s6, s4, s6
	s_addc_u32 s7, s5, s7
	s_lshl_b32 s4, s15, 7
	s_delay_alu instid0(SALU_CYCLE_1) | instskip(NEXT) | instid1(SALU_CYCLE_1)
	s_ashr_i32 s5, s4, 31
	s_lshl_b64 s[4:5], s[4:5], 1
	s_delay_alu instid0(SALU_CYCLE_1)
	s_add_u32 s4, s6, s4
	s_addc_u32 s5, s7, s5
	s_clause 0x7
	s_load_b256 s[36:43], s[4:5], 0x0
	s_load_b256 s[52:59], s[4:5], 0x20
	;; [unrolled: 1-line block ×8, first 2 shown]
.LBB706_9:
	s_or_b32 exec_lo, exec_lo, s12
	s_waitcnt lgkmcnt(0)
	v_dual_mov_b32 v108, s43 :: v_dual_and_b32 v1, 0xef, v0
	s_clause 0x1
	s_load_b32 s13, s[0:1], 0x38
	s_load_b32 s76, s[0:1], 0x1c
	s_add_i32 s35, s33, 31
	v_dual_mov_b32 v107, s42 :: v_dual_add_nc_u32 v2, s84, v1
	s_mul_i32 s12, s15, s78
	s_ashr_i32 s78, s35, 31
	v_lshrrev_b32_e32 v92, 5, v0
	s_delay_alu instid0(VALU_DEP_2)
	v_ashrrev_i32_e32 v1, 31, v2
	v_cmp_gt_i32_e32 vcc_lo, s33, v2
	s_lshr_b32 s79, s78, 27
	v_mov_b32_e32 v106, s41
	s_add_i32 s35, s35, s79
	v_lshrrev_b32_e32 v3, 27, v1
	v_mov_b32_e32 v104, s39
	v_mov_b32_e32 v102, s37
	v_dual_mov_b32 v140, s23 :: v_dual_mov_b32 v139, s22
	s_delay_alu instid0(VALU_DEP_4)
	v_add_nc_u32_e32 v1, v2, v3
	v_or_b32_e32 v2, 16, v2
	s_waitcnt lgkmcnt(0)
	s_mul_i32 s78, s34, s13
	s_ashr_i32 s13, s35, 5
	s_ashr_i32 s79, s78, 31
	v_ashrrev_i32_e32 v1, 5, v1
	v_add_nc_u32_e32 v3, v2, v3
	s_lshl_b64 s[86:87], s[78:79], 2
	s_add_i32 s79, s13, -1
	s_add_u32 s35, s2, s86
	v_cndmask_b32_e32 v1, s79, v1, vcc_lo
	v_ashrrev_i32_e32 v3, 5, v3
	v_cmp_gt_i32_e32 vcc_lo, s33, v2
	s_addc_u32 s78, s3, s87
	s_ashr_i32 s13, s12, 31
	v_ashrrev_i32_e32 v2, 31, v1
	s_lshl_b64 s[2:3], s[12:13], 1
	v_cndmask_b32_e32 v3, s79, v3, vcc_lo
	s_add_u32 s85, s80, s2
	s_addc_u32 s94, s81, s3
	v_lshlrev_b64 v[1:2], 2, v[1:2]
	s_lshl_b32 s12, s14, 3
	v_ashrrev_i32_e32 v4, 31, v3
	s_ashr_i32 s13, s12, 31
	v_mov_b32_e32 v138, s21
	s_lshl_b64 s[12:13], s[12:13], 2
	v_add_co_u32 v1, vcc_lo, s35, v1
	v_lshlrev_b64 v[3:4], 2, v[3:4]
	v_add_co_ci_u32_e32 v2, vcc_lo, s78, v2, vcc_lo
	s_add_u32 s12, s35, s12
	s_addc_u32 s13, s78, s13
	s_or_b32 s80, s84, 32
	s_delay_alu instid0(VALU_DEP_2)
	v_add_co_u32 v3, vcc_lo, s35, v3
	v_add_co_ci_u32_e32 v4, vcc_lo, s78, v4, vcc_lo
	s_clause 0x1
	global_load_b32 v5, v[1:2], off
	global_load_b32 v6, v[3:4], off
	s_ashr_i32 s81, s80, 5
	s_cmp_lt_i32 s80, s33
	v_mov_b32_e32 v137, s20
	s_cselect_b32 s80, s81, s79
	v_mov_b32_e32 v136, s19
	s_ashr_i32 s81, s80, 31
	v_mov_b32_e32 v135, s18
	s_lshl_b64 s[80:81], s[80:81], 2
	v_mov_b32_e32 v134, s17
	s_add_u32 s80, s35, s80
	s_addc_u32 s81, s78, s81
	s_or_b32 s86, s84, 64
	v_mov_b32_e32 v133, s16
	s_ashr_i32 s87, s86, 5
	s_cmp_lt_i32 s86, s33
	s_cselect_b32 s86, s87, s79
	s_delay_alu instid0(SALU_CYCLE_1) | instskip(NEXT) | instid1(SALU_CYCLE_1)
	s_ashr_i32 s87, s86, 31
	s_lshl_b64 s[86:87], s[86:87], 2
	s_delay_alu instid0(SALU_CYCLE_1) | instskip(SKIP_2) | instid1(SALU_CYCLE_1)
	s_add_u32 s86, s35, s86
	s_addc_u32 s87, s78, s87
	s_or_b32 s88, s84, 0x60
	s_ashr_i32 s89, s88, 5
	s_cmp_lt_i32 s88, s33
	s_cselect_b32 s88, s89, s79
	s_delay_alu instid0(SALU_CYCLE_1) | instskip(NEXT) | instid1(SALU_CYCLE_1)
	s_ashr_i32 s89, s88, 31
	s_lshl_b64 s[88:89], s[88:89], 2
	s_delay_alu instid0(SALU_CYCLE_1) | instskip(SKIP_2) | instid1(SALU_CYCLE_1)
	s_add_u32 s88, s35, s88
	s_addc_u32 s89, s78, s89
	s_or_b32 s90, s84, 0x80
	;; [unrolled: 10-line block ×3, first 2 shown]
	s_ashr_i32 s93, s92, 5
	s_cmp_lt_i32 s92, s33
	s_cselect_b32 s92, s93, s79
	s_delay_alu instid0(SALU_CYCLE_1) | instskip(NEXT) | instid1(SALU_CYCLE_1)
	s_ashr_i32 s93, s92, 31
	s_lshl_b64 s[92:93], s[92:93], 2
	s_delay_alu instid0(SALU_CYCLE_1)
	s_add_u32 s92, s35, s92
	s_addc_u32 s93, s78, s93
	s_clause 0x5
	s_load_b32 s96, s[12:13], 0x0
	s_load_b32 s80, s[80:81], 0x0
	;; [unrolled: 1-line block ×6, first 2 shown]
	s_mov_b32 s88, 0
	s_delay_alu instid0(SALU_CYCLE_1)
	s_mov_b32 s89, s88
	s_mov_b32 s90, s88
	;; [unrolled: 1-line block ×6, first 2 shown]
	s_waitcnt lgkmcnt(0)
	s_mul_hi_i32 s19, s96, s77
	s_mul_i32 s18, s96, s77
	s_mul_hi_i32 s21, s80, s77
	s_waitcnt vmcnt(1)
	v_mad_i64_i32 v[1:2], null, v5, s77, 0
	s_waitcnt vmcnt(0)
	v_mad_i64_i32 v[3:4], null, v6, s77, 0
	v_lshlrev_b32_e32 v5, 4, v89
	s_delay_alu instid0(VALU_DEP_3) | instskip(NEXT) | instid1(VALU_DEP_3)
	v_lshlrev_b64 v[1:2], 1, v[1:2]
	v_lshlrev_b64 v[3:4], 1, v[3:4]
	s_delay_alu instid0(VALU_DEP_2) | instskip(NEXT) | instid1(VALU_DEP_3)
	v_add_co_u32 v1, vcc_lo, s85, v1
	v_add_co_ci_u32_e32 v2, vcc_lo, s94, v2, vcc_lo
	s_delay_alu instid0(VALU_DEP_3) | instskip(NEXT) | instid1(VALU_DEP_4)
	v_add_co_u32 v3, vcc_lo, s85, v3
	v_add_co_ci_u32_e32 v4, vcc_lo, s94, v4, vcc_lo
	s_delay_alu instid0(VALU_DEP_4) | instskip(NEXT) | instid1(VALU_DEP_4)
	v_add_co_u32 v65, vcc_lo, v1, v5
	v_add_co_ci_u32_e32 v66, vcc_lo, 0, v2, vcc_lo
	s_delay_alu instid0(VALU_DEP_4) | instskip(NEXT) | instid1(VALU_DEP_4)
	v_add_co_u32 v73, vcc_lo, v3, v5
	v_add_co_ci_u32_e32 v74, vcc_lo, 0, v4, vcc_lo
	s_clause 0xf
	global_load_b128 v[1:4], v[65:66], off
	global_load_b128 v[5:8], v[65:66], off offset:512
	global_load_b128 v[9:12], v[73:74], off offset:256
	;; [unrolled: 1-line block ×15, first 2 shown]
	v_add_co_u32 v90, vcc_lo, 0x1000, v65
	v_add_co_ci_u32_e32 v91, vcc_lo, 0, v66, vcc_lo
	v_add_co_u32 v129, vcc_lo, 0x1000, v73
	v_add_co_ci_u32_e32 v130, vcc_lo, 0, v74, vcc_lo
	s_mov_b32 s94, s88
	s_clause 0x1
	global_load_b128 v[65:68], v[90:91], off
	global_load_b128 v[69:72], v[90:91], off offset:512
	v_dual_mov_b32 v73, s88 :: v_dual_mov_b32 v80, s95
	s_clause 0x1
	global_load_b128 v[93:96], v[129:130], off offset:256
	global_load_b128 v[97:100], v[129:130], off offset:768
	v_dual_mov_b32 v105, s40 :: v_dual_mov_b32 v74, s89
	v_dual_mov_b32 v103, s38 :: v_dual_mov_b32 v76, s91
	;; [unrolled: 1-line block ×3, first 2 shown]
	v_mov_b32_e32 v75, s90
	v_mov_b32_e32 v77, s92
	;; [unrolled: 1-line block ×3, first 2 shown]
	s_clause 0x1
	global_load_b128 v[109:112], v[90:91], off offset:1024
	global_load_b128 v[113:116], v[90:91], off offset:1536
	s_waitcnt vmcnt(20)
	v_wmma_f32_16x16x16_bf16 v[81:88], v[1:8], v[101:108], v[73:80]
	s_clause 0x1
	global_load_b128 v[1:4], v[129:130], off offset:1280
	global_load_b128 v[5:8], v[129:130], off offset:1792
	s_waitcnt vmcnt(20)
	v_wmma_f32_16x16x16_bf16 v[73:80], v[9:16], v[101:108], v[73:80]
	v_dual_mov_b32 v9, s52 :: v_dual_mov_b32 v16, s59
	v_dual_mov_b32 v10, s53 :: v_dual_mov_b32 v11, s54
	;; [unrolled: 1-line block ×4, first 2 shown]
	s_clause 0x1
	global_load_b128 v[101:104], v[90:91], off offset:2048
	global_load_b128 v[105:108], v[90:91], off offset:2560
	s_waitcnt vmcnt(18)
	v_wmma_f32_16x16x16_bf16 v[73:80], v[25:32], v[9:16], v[73:80]
	s_clause 0x5
	global_load_b128 v[25:28], v[129:130], off offset:2304
	global_load_b128 v[29:32], v[129:130], off offset:2816
	;; [unrolled: 1-line block ×6, first 2 shown]
	v_wmma_f32_16x16x16_bf16 v[81:88], v[17:24], v[9:16], v[81:88]
	v_dual_mov_b32 v9, s44 :: v_dual_mov_b32 v16, s51
	v_dual_mov_b32 v10, s45 :: v_dual_mov_b32 v11, s46
	;; [unrolled: 1-line block ×5, first 2 shown]
	v_mov_b32_e32 v19, s70
	v_mov_b32_e32 v21, s72
	s_waitcnt vmcnt(22)
	v_wmma_f32_16x16x16_bf16 v[81:88], v[33:40], v[9:16], v[81:88]
	v_mov_b32_e32 v40, s31
	v_dual_mov_b32 v38, s29 :: v_dual_mov_b32 v23, s74
	v_dual_mov_b32 v36, s27 :: v_dual_mov_b32 v39, s30
	;; [unrolled: 1-line block ×3, first 2 shown]
	v_mov_b32_e32 v35, s26
	v_mov_b32_e32 v33, s24
	s_or_b32 s24, s84, 0xc0
	v_lshlrev_b32_e32 v91, 6, v89
	s_ashr_i32 s25, s24, 5
	s_cmp_lt_i32 s24, s33
	s_waitcnt vmcnt(20)
	v_wmma_f32_16x16x16_bf16 v[73:80], v[41:48], v[9:16], v[73:80]
	s_cselect_b32 s16, s25, s79
	v_dual_mov_b32 v9, s60 :: v_dual_mov_b32 v16, s67
	s_ashr_i32 s17, s16, 31
	v_mov_b32_e32 v10, s61
	s_lshl_b64 s[16:17], s[16:17], 2
	v_dual_mov_b32 v11, s62 :: v_dual_mov_b32 v18, s69
	s_add_u32 s16, s35, s16
	s_addc_u32 s17, s78, s17
	s_or_b32 s20, s84, 0xe0
	v_mov_b32_e32 v12, s63
	s_ashr_i32 s22, s20, 5
	s_cmp_lt_i32 s20, s33
	v_dual_mov_b32 v13, s64 :: v_dual_mov_b32 v20, s71
	s_cselect_b32 s22, s22, s79
	v_mov_b32_e32 v14, s65
	s_ashr_i32 s23, s22, 31
	v_dual_mov_b32 v15, s66 :: v_dual_mov_b32 v22, s73
	s_lshl_b64 s[22:23], s[22:23], 2
	s_mul_hi_i32 s27, s86, s77
	s_add_u32 s22, s35, s22
	s_addc_u32 s23, s78, s23
	s_add_i32 s28, s84, 0x100
	s_waitcnt vmcnt(18)
	v_wmma_f32_16x16x16_bf16 v[81:88], v[49:56], v[9:16], v[81:88]
	s_ashr_i32 s29, s28, 5
	s_cmp_lt_i32 s28, s33
	s_waitcnt vmcnt(16)
	v_wmma_f32_16x16x16_bf16 v[73:80], v[57:64], v[9:16], v[73:80]
	s_cselect_b32 s28, s29, s79
	v_lshl_or_b32 v9, v92, 10, v91
	s_ashr_i32 s29, s28, 31
	s_mul_i32 s26, s86, s77
	s_lshl_b64 s[28:29], s[28:29], 2
	s_load_b32 s30, s[16:17], 0x0
	s_add_u32 s28, s35, s28
	s_addc_u32 s29, s78, s29
	s_add_u32 s31, s82, s2
	s_clause 0x1
	s_load_b32 s35, s[22:23], 0x0
	s_load_b32 s28, s[28:29], 0x0
	s_addc_u32 s29, s83, s3
	s_lshl_b64 s[22:23], s[26:27], 1
	v_add_co_u32 v90, s26, s31, v9
	s_delay_alu instid0(VALU_DEP_1) | instskip(SKIP_2) | instid1(VALU_DEP_2)
	v_add_co_ci_u32_e64 v143, null, s29, 0, s26
	s_lshl_b64 s[2:3], s[18:19], 1
	s_mul_i32 s20, s80, s77
	v_add_co_u32 v9, vcc_lo, v90, s2
	s_lshl_b64 s[18:19], s[20:21], 1
	s_mul_hi_i32 s25, s81, s77
	s_mul_i32 s24, s81, s77
	v_add_co_ci_u32_e32 v10, vcc_lo, s3, v143, vcc_lo
	v_add_co_u32 v11, vcc_lo, v90, s18
	s_lshl_b64 s[20:21], s[24:25], 1
	v_add_co_ci_u32_e32 v12, vcc_lo, s19, v143, vcc_lo
	v_add_co_u32 v13, vcc_lo, v90, s20
	s_mul_hi_i32 s17, s13, s77
	s_mul_i32 s16, s13, s77
	v_add_co_ci_u32_e32 v14, vcc_lo, s21, v143, vcc_lo
	v_add_co_u32 v15, vcc_lo, v90, s22
	s_lshl_b64 s[16:17], s[16:17], 1
	s_mul_hi_i32 s13, s12, s77
	s_mul_i32 s12, s12, s77
	v_add_co_ci_u32_e32 v16, vcc_lo, s23, v143, vcc_lo
	v_add_co_u32 v141, vcc_lo, v90, s16
	s_lshl_b64 s[12:13], s[12:13], 1
	s_waitcnt lgkmcnt(0)
	s_mul_hi_i32 s25, s30, s77
	s_mul_i32 s24, s30, s77
	v_add_co_ci_u32_e32 v142, vcc_lo, s17, v143, vcc_lo
	s_waitcnt vmcnt(14)
	v_wmma_f32_16x16x16_bf16 v[81:88], v[65:72], v[17:24], v[81:88]
	s_clause 0x5
	global_load_b128 v[65:68], v[9:10], off
	global_load_b128 v[69:72], v[9:10], off offset:16
	global_load_b128 v[57:60], v[11:12], off
	global_load_b128 v[61:64], v[11:12], off offset:16
	global_load_b128 v[49:52], v[13:14], off
	global_load_b128 v[53:56], v[13:14], off offset:16
	v_add_co_u32 v13, vcc_lo, v90, s12
	s_lshl_b64 s[24:25], s[24:25], 1
	s_waitcnt vmcnt(18)
	v_wmma_f32_16x16x16_bf16 v[73:80], v[93:100], v[17:24], v[73:80]
	v_add_co_ci_u32_e32 v14, vcc_lo, s13, v143, vcc_lo
	s_mul_hi_i32 s3, s35, s77
	s_mul_i32 s2, s35, s77
	v_add_co_u32 v93, vcc_lo, v90, s24
	s_lshl_b64 s[2:3], s[2:3], 1
	v_add_co_ci_u32_e32 v94, vcc_lo, s25, v143, vcc_lo
	s_waitcnt vmcnt(16)
	v_wmma_f32_16x16x16_bf16 v[81:88], v[109:116], v[33:40], v[81:88]
	s_mul_hi_i32 s13, s28, s77
	s_mul_i32 s12, s28, s77
	s_clause 0x5
	global_load_b128 v[41:44], v[15:16], off
	global_load_b128 v[45:48], v[15:16], off offset:16
	global_load_b128 v[17:20], v[141:142], off
	global_load_b128 v[21:24], v[141:142], off offset:16
	;; [unrolled: 2-line block ×3, first 2 shown]
	s_waitcnt vmcnt(20)
	v_wmma_f32_16x16x16_bf16 v[73:80], v[1:8], v[33:40], v[73:80]
	v_add_co_u32 v37, vcc_lo, v90, s2
	v_add_co_ci_u32_e32 v38, vcc_lo, s3, v143, vcc_lo
	s_lshl_b64 s[2:3], s[12:13], 1
	s_clause 0x1
	global_load_b128 v[1:4], v[93:94], off
	global_load_b128 v[5:8], v[93:94], off offset:16
	v_add_co_u32 v95, vcc_lo, v90, s2
	v_add_co_ci_u32_e32 v96, vcc_lo, s3, v143, vcc_lo
	v_bfe_u32 v90, v0, 4, 1
	s_waitcnt vmcnt(18)
	v_wmma_f32_16x16x16_bf16 v[73:80], v[25:32], v[133:140], v[73:80]
	s_clause 0x3
	global_load_b128 v[33:36], v[37:38], off
	global_load_b128 v[37:40], v[37:38], off offset:16
	global_load_b128 v[25:28], v[95:96], off
	global_load_b128 v[29:32], v[95:96], off offset:16
	v_mov_b32_e32 v100, s11
	v_mov_b32_e32 v98, s9
	;; [unrolled: 1-line block ×4, first 2 shown]
	v_wmma_f32_16x16x16_bf16 v[81:88], v[101:108], v[133:140], v[81:88]
	v_mbcnt_lo_u32_b32 v102, -1, 0
	v_mov_b32_e32 v97, s8
	v_mov_b32_e32 v95, s6
	;; [unrolled: 1-line block ×3, first 2 shown]
	s_waitcnt vmcnt(0)
	v_xor_b32_e32 v103, 16, v102
	s_barrier
	buffer_gl0_inv
	v_cmp_gt_i32_e32 vcc_lo, 32, v103
	v_dual_mov_b32 v99, s10 :: v_dual_cndmask_b32 v102, v102, v103
	s_delay_alu instid0(VALU_DEP_1) | instskip(NEXT) | instid1(VALU_DEP_1)
	v_wmma_f32_16x16x16_bf16 v[81:88], v[117:124], v[93:100], v[81:88]
	v_mul_f32_e32 v110, s76, v88
	s_delay_alu instid0(VALU_DEP_2) | instskip(NEXT) | instid1(VALU_DEP_3)
	v_mul_f32_e32 v112, s76, v86
	v_mul_f32_e32 v114, s76, v84
	v_wmma_f32_16x16x16_bf16 v[73:80], v[125:132], v[93:100], v[73:80]
	v_and_b32_e32 v101, 0xe0, v0
	v_mul_f32_e32 v113, s76, v81
	v_mul_f32_e32 v115, s76, v82
	v_mul_f32_e32 v111, s76, v87
	s_delay_alu instid0(VALU_DEP_4) | instskip(NEXT) | instid1(VALU_DEP_1)
	v_add_nc_u32_e32 v101, s84, v101
	v_or_b32_e32 v101, v101, v90
	s_delay_alu instid0(VALU_DEP_1)
	v_or_b32_e32 v103, 2, v101
	v_or_b32_e32 v104, 4, v101
	;; [unrolled: 1-line block ×3, first 2 shown]
	v_cmp_gt_i32_e32 vcc_lo, s33, v101
	v_or_b32_e32 v106, 8, v101
	v_cmp_gt_i32_e64 s2, s33, v103
	v_or_b32_e32 v107, 10, v101
	v_or_b32_e32 v93, 12, v101
	;; [unrolled: 1-line block ×11, first 2 shown]
	v_mul_f32_e32 v101, s76, v83
	v_cndmask_b32_e32 v113, 0xff7fffff, v113, vcc_lo
	v_cndmask_b32_e64 v103, 0xff7fffff, v115, s2
	v_cmp_gt_i32_e64 s3, s33, v104
	v_cmp_gt_i32_e64 s4, s33, v105
	v_mul_f32_e32 v105, s76, v85
	v_cmp_gt_i32_e64 s5, s33, v107
	v_max3_f32 v103, v113, 0xff7fffff, v103
	v_cndmask_b32_e64 v101, 0xff7fffff, v101, s3
	v_cndmask_b32_e64 v104, 0xff7fffff, v114, s4
	v_cmp_gt_i32_e64 s6, s33, v106
	v_cndmask_b32_e64 v112, 0xff7fffff, v112, s5
	v_cmp_gt_i32_e64 s7, s33, v93
	v_cmp_gt_i32_e64 s8, s33, v94
	v_max3_f32 v101, v103, v101, v104
	v_cndmask_b32_e64 v105, 0xff7fffff, v105, s6
	v_dual_mul_f32 v106, s76, v74 :: v_dual_mul_f32 v93, s76, v73
	v_cndmask_b32_e64 v111, 0xff7fffff, v111, s7
	v_cndmask_b32_e64 v94, 0xff7fffff, v110, s8
	s_delay_alu instid0(VALU_DEP_4) | instskip(SKIP_3) | instid1(VALU_DEP_4)
	v_max3_f32 v101, v101, v105, v112
	v_cmp_gt_i32_e64 s9, s33, v95
	v_cmp_gt_i32_e64 s10, s33, v96
	v_dual_mul_f32 v104, s76, v76 :: v_dual_mul_f32 v107, s76, v75
	v_max3_f32 v94, v101, v111, v94
	s_delay_alu instid0(VALU_DEP_4) | instskip(NEXT) | instid1(VALU_DEP_4)
	v_cndmask_b32_e64 v93, 0xff7fffff, v93, s9
	v_cndmask_b32_e64 v95, 0xff7fffff, v106, s10
	v_cmp_gt_i32_e64 s11, s33, v97
	v_cmp_gt_i32_e64 s12, s33, v98
	v_mul_f32_e32 v115, s76, v78
	v_mul_f32_e32 v103, s76, v77
	v_max3_f32 v93, v94, v93, v95
	v_cndmask_b32_e64 v96, 0xff7fffff, v107, s11
	v_cndmask_b32_e64 v97, 0xff7fffff, v104, s12
	v_cmp_gt_i32_e64 s13, s33, v99
	v_cmp_gt_i32_e64 s16, s33, v100
	v_dual_mul_f32 v113, s76, v80 :: v_dual_mul_f32 v114, s76, v79
	s_delay_alu instid0(VALU_DEP_4) | instskip(NEXT) | instid1(VALU_DEP_4)
	v_max3_f32 v93, v93, v96, v97
	v_cndmask_b32_e64 v94, 0xff7fffff, v103, s13
	s_delay_alu instid0(VALU_DEP_4) | instskip(SKIP_3) | instid1(VALU_DEP_4)
	v_cndmask_b32_e64 v95, 0xff7fffff, v115, s16
	v_cmp_gt_i32_e64 s17, s33, v108
	v_cmp_gt_i32_e64 s18, s33, v109
	v_lshlrev_b32_e32 v98, 2, v102
	v_max3_f32 v93, v93, v94, v95
	s_delay_alu instid0(VALU_DEP_4) | instskip(NEXT) | instid1(VALU_DEP_4)
	v_cndmask_b32_e64 v96, 0xff7fffff, v114, s17
	v_cndmask_b32_e64 v97, 0xff7fffff, v113, s18
	s_delay_alu instid0(VALU_DEP_1) | instskip(SKIP_3) | instid1(VALU_DEP_1)
	v_max3_f32 v93, v93, v96, v97
	ds_bpermute_b32 v94, v98, v93
	s_waitcnt lgkmcnt(0)
	v_max_f32_e32 v94, v94, v94
	v_max_f32_e32 v96, v93, v94
	s_delay_alu instid0(VALU_DEP_1) | instskip(SKIP_4) | instid1(VALU_DEP_4)
	v_fma_f32 v81, s76, v81, -v96
	v_fma_f32 v82, s76, v82, -v96
	;; [unrolled: 1-line block ×5, first 2 shown]
	v_dual_mul_f32 v81, 0x3fb8aa3b, v81 :: v_dual_mul_f32 v82, 0x3fb8aa3b, v82
	s_delay_alu instid0(VALU_DEP_3) | instskip(SKIP_1) | instid1(VALU_DEP_3)
	v_dual_mul_f32 v78, 0x3fb8aa3b, v78 :: v_dual_mul_f32 v83, 0x3fb8aa3b, v83
	v_fma_f32 v93, s76, v85, -v96
	v_exp_f32_e32 v81, v81
	s_delay_alu instid0(VALU_DEP_3)
	v_exp_f32_e32 v82, v82
	v_mul_f32_e32 v84, 0x3fb8aa3b, v84
	v_exp_f32_e32 v83, v83
	v_fma_f32 v87, s76, v87, -v96
	v_fma_f32 v73, s76, v73, -v96
	;; [unrolled: 1-line block ×5, first 2 shown]
	v_mul_f32_e32 v87, 0x3fb8aa3b, v87
	v_cndmask_b32_e32 v85, 0, v81, vcc_lo
	v_fma_f32 v81, s76, v86, -v96
	v_mul_f32_e32 v86, 0x3fb8aa3b, v93
	v_exp_f32_e32 v93, v84
	v_cndmask_b32_e64 v84, 0, v82, s2
	v_add_f32_e32 v82, 0, v85
	v_mul_f32_e32 v81, 0x3fb8aa3b, v81
	v_exp_f32_e32 v94, v86
	v_cndmask_b32_e64 v86, 0, v83, s3
	v_fma_f32 v83, s76, v88, -v96
	v_add_f32_e32 v82, v82, v84
	v_exp_f32_e32 v81, v81
	v_exp_f32_e32 v87, v87
	v_cndmask_b32_e64 v88, 0, v93, s4
	s_delay_alu instid0(VALU_DEP_2) | instskip(SKIP_1) | instid1(TRANS32_DEP_3)
	v_dual_mul_f32 v83, 0x3fb8aa3b, v83 :: v_dual_add_f32 v82, v82, v86
	v_mul_f32_e32 v73, 0x3fb8aa3b, v73
	v_cndmask_b32_e64 v93, 0, v94, s6
	v_mul_f32_e32 v74, 0x3fb8aa3b, v74
	s_delay_alu instid0(VALU_DEP_4) | instskip(SKIP_1) | instid1(TRANS32_DEP_3)
	v_exp_f32_e32 v83, v83
	v_add_f32_e32 v82, v82, v88
	v_cndmask_b32_e64 v94, 0, v81, s5
	v_exp_f32_e32 v73, v73
	v_cndmask_b32_e64 v87, 0, v87, s7
	v_mul_f32_e32 v75, 0x3fb8aa3b, v75
	v_add_f32_e32 v81, v82, v93
	v_exp_f32_e32 v74, v74
	v_fma_f32 v77, s76, v77, -v96
	v_mul_f32_e32 v76, 0x3fb8aa3b, v76
	v_cndmask_b32_e64 v95, 0, v83, s8
	v_add_f32_e32 v81, v81, v94
	v_exp_f32_e32 v82, v75
	v_cndmask_b32_e64 v75, 0, v73, s9
	v_mul_f32_e32 v77, 0x3fb8aa3b, v77
	v_fma_f32 v80, s76, v80, -v96
	v_add_f32_e32 v81, v81, v87
	v_and_b32_e32 v83, 31, v0
	s_mov_b32 s3, exec_lo
	s_delay_alu instid0(VALU_DEP_2)
	v_add_f32_e32 v73, v81, v95
	v_exp_f32_e32 v81, v76
	v_cndmask_b32_e64 v76, 0, v74, s10
	v_fma_f32 v74, s76, v79, -v96
	v_exp_f32_e32 v79, v77
	v_add_f32_e32 v73, v73, v75
	v_cndmask_b32_e64 v77, 0, v82, s11
	v_exp_f32_e32 v82, v78
	v_mul_f32_e32 v74, 0x3fb8aa3b, v74
	v_cmp_lt_u32_e64 s2, 15, v83
	v_add_f32_e32 v73, v73, v76
	v_cndmask_b32_e64 v78, 0, v81, s12
	v_mul_f32_e32 v81, 0x3fb8aa3b, v80
	v_exp_f32_e32 v74, v74
	v_cndmask_b32_e64 v79, 0, v79, s13
	v_add_f32_e32 v73, v73, v77
	s_delay_alu instid0(TRANS32_DEP_2) | instskip(SKIP_1) | instid1(VALU_DEP_2)
	v_cndmask_b32_e64 v80, 0, v82, s16
	v_exp_f32_e32 v82, v81
	v_add_f32_e32 v73, v73, v78
	s_waitcnt_depctr 0xfff
	v_cndmask_b32_e64 v81, 0, v74, s17
	v_add_f32_e32 v73, v73, v79
	v_cndmask_b32_e64 v82, 0, v82, s18
	s_delay_alu instid0(VALU_DEP_2) | instskip(NEXT) | instid1(VALU_DEP_1)
	v_add_f32_e32 v73, v73, v80
	v_add_f32_e32 v73, v73, v81
	s_delay_alu instid0(VALU_DEP_1)
	v_add_f32_e32 v73, v73, v82
	ds_bpermute_b32 v74, v98, v73
	v_cmpx_gt_u32_e32 16, v83
	s_cbranch_execz .LBB706_11
; %bb.10:
	v_mul_u32_u24_e32 v83, 0x44, v92
	s_delay_alu instid0(VALU_DEP_1) | instskip(SKIP_1) | instid1(VALU_DEP_1)
	v_lshl_add_u32 v83, v89, 2, v83
	s_waitcnt lgkmcnt(0)
	v_dual_add_f32 v73, v73, v74 :: v_dual_add_nc_u32 v74, 0x4000, v83
	ds_store_2addr_b32 v74, v96, v73 offset1:136
.LBB706_11:
	s_or_b32 exec_lo, exec_lo, s3
	v_lshlrev_b32_e32 v73, 2, v89
	s_waitcnt lgkmcnt(0)
	s_barrier
	buffer_gl0_inv
	v_cmp_eq_u32_e64 s3, 1, v92
	v_add_nc_u32_e32 v83, 0x4000, v73
	ds_load_2addr_b32 v[96:97], v83 offset1:17
	ds_load_2addr_b32 v[98:99], v83 offset0:34 offset1:51
	ds_load_2addr_b32 v[100:101], v83 offset0:68 offset1:85
	;; [unrolled: 1-line block ×4, first 2 shown]
	s_waitcnt lgkmcnt(4)
	v_max3_f32 v73, v96, 0xff7fffff, v97
	s_waitcnt lgkmcnt(3)
	s_delay_alu instid0(VALU_DEP_1) | instskip(SKIP_1) | instid1(VALU_DEP_1)
	v_max3_f32 v73, v73, v98, v99
	s_waitcnt lgkmcnt(2)
	v_max3_f32 v73, v73, v100, v101
	s_waitcnt lgkmcnt(1)
	s_delay_alu instid0(VALU_DEP_1) | instskip(NEXT) | instid1(VALU_DEP_1)
	v_max3_f32 v73, v73, v102, v103
	v_sub_f32_e32 v74, v96, v73
	v_sub_f32_e32 v98, v98, v73
	;; [unrolled: 1-line block ×3, first 2 shown]
	s_delay_alu instid0(VALU_DEP_3) | instskip(NEXT) | instid1(VALU_DEP_3)
	v_mul_f32_e32 v74, 0x3fb8aa3b, v74
	v_mul_f32_e32 v108, 0x3fb8aa3b, v98
	s_delay_alu instid0(VALU_DEP_3) | instskip(NEXT) | instid1(VALU_DEP_3)
	v_mul_f32_e32 v110, 0x3fb8aa3b, v100
	v_exp_f32_e32 v107, v74
	v_sub_f32_e32 v74, v99, v73
	v_sub_f32_e32 v106, v97, v73
	ds_load_2addr_b32 v[96:97], v83 offset0:170 offset1:187
	v_exp_f32_e32 v108, v108
	v_mul_f32_e32 v109, 0x3fb8aa3b, v74
	v_mul_f32_e32 v106, 0x3fb8aa3b, v106
	s_waitcnt lgkmcnt(1)
	v_fma_f32 v74, v107, v104, 0
	v_sub_f32_e32 v104, v101, v73
	s_delay_alu instid0(VALU_DEP_3) | instskip(SKIP_4) | instid1(VALU_DEP_1)
	v_exp_f32_e32 v106, v106
	v_exp_f32_e32 v109, v109
	s_waitcnt_depctr 0xfff
	v_fmac_f32_e32 v74, v106, v105
	s_waitcnt lgkmcnt(0)
	v_fmac_f32_e32 v74, v108, v96
	ds_load_2addr_b32 v[98:99], v83 offset0:204 offset1:221
	ds_load_2addr_b32 v[100:101], v83 offset0:238 offset1:255
	v_dual_sub_f32 v83, v102, v73 :: v_dual_mul_f32 v102, 0x3fb8aa3b, v104
	v_exp_f32_e32 v104, v110
	v_sub_f32_e32 v96, v103, v73
	s_delay_alu instid0(VALU_DEP_2) | instskip(NEXT) | instid1(VALU_DEP_3)
	v_dual_fmac_f32 v74, v109, v97 :: v_dual_mul_f32 v83, 0x3fb8aa3b, v83
	v_exp_f32_e32 v102, v102
	s_waitcnt lgkmcnt(0)
	s_delay_alu instid0(VALU_DEP_2)
	v_mul_f32_e32 v96, 0x3fb8aa3b, v96
	s_barrier
	v_exp_f32_e32 v83, v83
	buffer_gl0_inv
	v_exp_f32_e32 v96, v96
	v_fmac_f32_e32 v74, v104, v98
	s_delay_alu instid0(VALU_DEP_1) | instskip(NEXT) | instid1(VALU_DEP_1)
	v_fmac_f32_e32 v74, v102, v99
	v_fmac_f32_e32 v74, v83, v100
	s_waitcnt_depctr 0xfff
	v_fmac_f32_e32 v74, v96, v101
	s_delay_alu instid0(VALU_DEP_1) | instskip(NEXT) | instid1(VALU_DEP_1)
	v_add_f32_e32 v97, 0x358637bd, v74
	v_div_scale_f32 v98, null, v97, v97, 1.0
	v_div_scale_f32 v101, vcc_lo, 1.0, v97, 1.0
	s_delay_alu instid0(VALU_DEP_2) | instskip(SKIP_2) | instid1(VALU_DEP_1)
	v_rcp_f32_e32 v99, v98
	s_waitcnt_depctr 0xfff
	v_fma_f32 v100, -v98, v99, 1.0
	v_fmac_f32_e32 v99, v100, v99
	v_cndmask_b32_e64 v100, v107, v106, s3
	v_cmp_eq_u32_e64 s3, 2, v92
	s_delay_alu instid0(VALU_DEP_3) | instskip(NEXT) | instid1(VALU_DEP_2)
	v_mul_f32_e32 v103, v101, v99
	v_cndmask_b32_e64 v100, v100, v108, s3
	v_cmp_eq_u32_e64 s3, 3, v92
	s_delay_alu instid0(VALU_DEP_3) | instskip(NEXT) | instid1(VALU_DEP_2)
	v_fma_f32 v105, -v98, v103, v101
	v_cndmask_b32_e64 v100, v100, v109, s3
	v_cmp_eq_u32_e64 s3, 4, v92
	s_delay_alu instid0(VALU_DEP_3) | instskip(NEXT) | instid1(VALU_DEP_2)
	v_fmac_f32_e32 v103, v105, v99
	v_cndmask_b32_e64 v100, v100, v104, s3
	s_delay_alu instid0(VALU_DEP_2) | instskip(SKIP_1) | instid1(VALU_DEP_2)
	v_fma_f32 v98, -v98, v103, v101
	v_cmp_eq_u32_e64 s3, 5, v92
	v_div_fmas_f32 v98, v98, v99, v103
	s_delay_alu instid0(VALU_DEP_2) | instskip(SKIP_2) | instid1(VALU_DEP_3)
	v_cndmask_b32_e64 v100, v100, v102, s3
	v_cmp_eq_u32_e32 vcc_lo, 6, v92
	s_mov_b32 s3, exec_lo
	v_div_fixup_f32 v97, v98, v97, 1.0
	s_delay_alu instid0(VALU_DEP_3) | instskip(SKIP_1) | instid1(VALU_DEP_2)
	v_cndmask_b32_e32 v83, v100, v83, vcc_lo
	v_cmp_eq_u32_e32 vcc_lo, 7, v92
	v_cndmask_b32_e32 v83, v83, v96, vcc_lo
	s_delay_alu instid0(VALU_DEP_1) | instskip(NEXT) | instid1(VALU_DEP_1)
	v_mul_f32_e32 v83, v83, v97
	v_mul_f32_e32 v97, v83, v85
	v_mul_f32_e32 v85, v83, v95
	v_mul_f32_e32 v87, v83, v87
	v_mul_f32_e32 v94, v83, v94
	v_mul_f32_e32 v95, v83, v93
	v_dual_mul_f32 v93, v83, v86 :: v_dual_and_b32 v98, 0x7f800000, v97
	v_mul_f32_e32 v96, v83, v88
	v_mul_f32_e32 v88, v83, v84
                                        ; implicit-def: $vgpr84
	s_delay_alu instid0(VALU_DEP_3)
	v_cmpx_ne_u32_e32 0x7f800000, v98
	s_xor_b32 s3, exec_lo, s3
; %bb.12:
	v_bfe_u32 v84, v97, 16, 1
	s_delay_alu instid0(VALU_DEP_1)
	v_add3_u32 v84, v97, v84, 0x7fff
                                        ; implicit-def: $vgpr97
; %bb.13:
	s_and_not1_saveexec_b32 s3, s3
; %bb.14:
	v_and_b32_e32 v84, 0xffff, v97
	v_or_b32_e32 v86, 0x10000, v97
	s_delay_alu instid0(VALU_DEP_2) | instskip(NEXT) | instid1(VALU_DEP_2)
	v_cmp_eq_u32_e32 vcc_lo, 0, v84
	v_cndmask_b32_e32 v84, v86, v97, vcc_lo
; %bb.15:
	s_or_b32 exec_lo, exec_lo, s3
	v_and_b32_e32 v86, 0x7f800000, v88
	s_delay_alu instid0(VALU_DEP_1) | instskip(SKIP_1) | instid1(SALU_CYCLE_1)
	v_cmp_ne_u32_e32 vcc_lo, 0x7f800000, v86
                                        ; implicit-def: $vgpr86
	s_and_saveexec_b32 s3, vcc_lo
	s_xor_b32 s3, exec_lo, s3
; %bb.16:
	v_bfe_u32 v86, v88, 16, 1
	s_delay_alu instid0(VALU_DEP_1)
	v_add3_u32 v86, v88, v86, 0x7fff
                                        ; implicit-def: $vgpr88
; %bb.17:
	s_and_not1_saveexec_b32 s3, s3
; %bb.18:
	v_and_b32_e32 v86, 0xffff, v88
	v_or_b32_e32 v97, 0x10000, v88
	s_delay_alu instid0(VALU_DEP_2) | instskip(NEXT) | instid1(VALU_DEP_2)
	v_cmp_eq_u32_e32 vcc_lo, 0, v86
	v_cndmask_b32_e32 v86, v97, v88, vcc_lo
; %bb.19:
	s_or_b32 exec_lo, exec_lo, s3
	v_and_b32_e32 v88, 0x7f800000, v93
	s_delay_alu instid0(VALU_DEP_1) | instskip(SKIP_1) | instid1(SALU_CYCLE_1)
	v_cmp_ne_u32_e32 vcc_lo, 0x7f800000, v88
                                        ; implicit-def: $vgpr88
	s_and_saveexec_b32 s3, vcc_lo
	s_xor_b32 s3, exec_lo, s3
; %bb.20:
	v_bfe_u32 v88, v93, 16, 1
	s_delay_alu instid0(VALU_DEP_1)
	v_add3_u32 v88, v93, v88, 0x7fff
                                        ; implicit-def: $vgpr93
; %bb.21:
	s_and_not1_saveexec_b32 s3, s3
; %bb.22:
	v_and_b32_e32 v88, 0xffff, v93
	v_or_b32_e32 v97, 0x10000, v93
	s_delay_alu instid0(VALU_DEP_2) | instskip(NEXT) | instid1(VALU_DEP_2)
	v_cmp_eq_u32_e32 vcc_lo, 0, v88
	v_cndmask_b32_e32 v88, v97, v93, vcc_lo
; %bb.23:
	s_or_b32 exec_lo, exec_lo, s3
	v_and_b32_e32 v93, 0x7f800000, v96
	s_delay_alu instid0(VALU_DEP_1) | instskip(SKIP_1) | instid1(SALU_CYCLE_1)
	v_cmp_ne_u32_e32 vcc_lo, 0x7f800000, v93
                                        ; implicit-def: $vgpr93
	s_and_saveexec_b32 s3, vcc_lo
	s_xor_b32 s3, exec_lo, s3
; %bb.24:
	v_bfe_u32 v93, v96, 16, 1
	s_delay_alu instid0(VALU_DEP_1)
	v_add3_u32 v93, v96, v93, 0x7fff
                                        ; implicit-def: $vgpr96
; %bb.25:
	s_and_not1_saveexec_b32 s3, s3
; %bb.26:
	v_and_b32_e32 v93, 0xffff, v96
	v_or_b32_e32 v97, 0x10000, v96
	s_delay_alu instid0(VALU_DEP_2) | instskip(NEXT) | instid1(VALU_DEP_2)
	v_cmp_eq_u32_e32 vcc_lo, 0, v93
	v_cndmask_b32_e32 v93, v97, v96, vcc_lo
; %bb.27:
	s_or_b32 exec_lo, exec_lo, s3
	v_and_b32_e32 v96, 0x7f800000, v95
	s_delay_alu instid0(VALU_DEP_1) | instskip(SKIP_1) | instid1(SALU_CYCLE_1)
	v_cmp_ne_u32_e32 vcc_lo, 0x7f800000, v96
                                        ; implicit-def: $vgpr96
	s_and_saveexec_b32 s3, vcc_lo
	s_xor_b32 s3, exec_lo, s3
; %bb.28:
	v_bfe_u32 v96, v95, 16, 1
	s_delay_alu instid0(VALU_DEP_1)
	v_add3_u32 v96, v95, v96, 0x7fff
                                        ; implicit-def: $vgpr95
; %bb.29:
	s_and_not1_saveexec_b32 s3, s3
; %bb.30:
	v_and_b32_e32 v96, 0xffff, v95
	v_or_b32_e32 v97, 0x10000, v95
	s_delay_alu instid0(VALU_DEP_2) | instskip(NEXT) | instid1(VALU_DEP_2)
	v_cmp_eq_u32_e32 vcc_lo, 0, v96
	v_cndmask_b32_e32 v96, v97, v95, vcc_lo
; %bb.31:
	s_or_b32 exec_lo, exec_lo, s3
	v_and_b32_e32 v95, 0x7f800000, v94
	s_delay_alu instid0(VALU_DEP_1) | instskip(SKIP_1) | instid1(SALU_CYCLE_1)
	v_cmp_ne_u32_e32 vcc_lo, 0x7f800000, v95
                                        ; implicit-def: $vgpr95
	s_and_saveexec_b32 s3, vcc_lo
	s_xor_b32 s3, exec_lo, s3
; %bb.32:
	v_bfe_u32 v95, v94, 16, 1
	s_delay_alu instid0(VALU_DEP_1)
	v_add3_u32 v95, v94, v95, 0x7fff
                                        ; implicit-def: $vgpr94
; %bb.33:
	s_and_not1_saveexec_b32 s3, s3
; %bb.34:
	v_and_b32_e32 v95, 0xffff, v94
	v_or_b32_e32 v97, 0x10000, v94
	s_delay_alu instid0(VALU_DEP_2) | instskip(NEXT) | instid1(VALU_DEP_2)
	v_cmp_eq_u32_e32 vcc_lo, 0, v95
	v_cndmask_b32_e32 v95, v97, v94, vcc_lo
; %bb.35:
	s_or_b32 exec_lo, exec_lo, s3
	v_and_b32_e32 v94, 0x7f800000, v87
	s_delay_alu instid0(VALU_DEP_1) | instskip(SKIP_1) | instid1(SALU_CYCLE_1)
	v_cmp_ne_u32_e32 vcc_lo, 0x7f800000, v94
                                        ; implicit-def: $vgpr94
	s_and_saveexec_b32 s3, vcc_lo
	s_xor_b32 s3, exec_lo, s3
; %bb.36:
	v_bfe_u32 v94, v87, 16, 1
	s_delay_alu instid0(VALU_DEP_1)
	v_add3_u32 v94, v87, v94, 0x7fff
                                        ; implicit-def: $vgpr87
; %bb.37:
	s_and_not1_saveexec_b32 s3, s3
; %bb.38:
	v_and_b32_e32 v94, 0xffff, v87
	v_or_b32_e32 v97, 0x10000, v87
	s_delay_alu instid0(VALU_DEP_2) | instskip(NEXT) | instid1(VALU_DEP_2)
	v_cmp_eq_u32_e32 vcc_lo, 0, v94
	v_cndmask_b32_e32 v94, v97, v87, vcc_lo
; %bb.39:
	s_or_b32 exec_lo, exec_lo, s3
	v_and_b32_e32 v87, 0x7f800000, v85
	s_delay_alu instid0(VALU_DEP_1) | instskip(SKIP_1) | instid1(SALU_CYCLE_1)
	v_cmp_ne_u32_e32 vcc_lo, 0x7f800000, v87
                                        ; implicit-def: $vgpr87
	s_and_saveexec_b32 s3, vcc_lo
	s_xor_b32 s3, exec_lo, s3
; %bb.40:
	v_bfe_u32 v87, v85, 16, 1
	s_delay_alu instid0(VALU_DEP_1)
	v_add3_u32 v87, v85, v87, 0x7fff
                                        ; implicit-def: $vgpr85
; %bb.41:
	s_and_not1_saveexec_b32 s3, s3
; %bb.42:
	v_and_b32_e32 v87, 0xffff, v85
	v_or_b32_e32 v97, 0x10000, v85
	s_delay_alu instid0(VALU_DEP_2) | instskip(NEXT) | instid1(VALU_DEP_2)
	v_cmp_eq_u32_e32 vcc_lo, 0, v87
	v_cndmask_b32_e32 v87, v97, v85, vcc_lo
; %bb.43:
	s_or_b32 exec_lo, exec_lo, s3
	s_load_b64 s[36:37], s[0:1], 0x94
	v_lshlrev_b32_e32 v85, 4, v90
	s_delay_alu instid0(VALU_DEP_2)
	v_perm_b32 v97, v87, v94, 0x7060302
	v_dual_mul_f32 v82, v83, v82 :: v_dual_lshlrev_b32 v87, 11, v92
	v_perm_b32 v94, v86, v84, 0x7060302
	v_mul_f32_e32 v86, v83, v75
	v_perm_b32 v96, v95, v96, 0x7060302
	v_perm_b32 v95, v93, v88, 0x7060302
	v_or3_b32 v75, v85, v87, v91
	v_mul_f32_e32 v81, v83, v81
	v_dual_mul_f32 v80, v83, v80 :: v_dual_and_b32 v87, 0x7f800000, v86
	v_mul_f32_e32 v79, v83, v79
	v_mul_f32_e32 v84, v83, v78
	;; [unrolled: 1-line block ×4, first 2 shown]
	s_mov_b32 s3, exec_lo
	ds_store_b128 v75, v[94:97]
                                        ; implicit-def: $vgpr76
	v_cmpx_ne_u32_e32 0x7f800000, v87
	s_xor_b32 s3, exec_lo, s3
; %bb.44:
	v_bfe_u32 v76, v86, 16, 1
	s_delay_alu instid0(VALU_DEP_1)
	v_add3_u32 v76, v86, v76, 0x7fff
                                        ; implicit-def: $vgpr86
; %bb.45:
	s_and_not1_saveexec_b32 s3, s3
; %bb.46:
	v_and_b32_e32 v76, 0xffff, v86
	v_or_b32_e32 v77, 0x10000, v86
	s_delay_alu instid0(VALU_DEP_2) | instskip(NEXT) | instid1(VALU_DEP_2)
	v_cmp_eq_u32_e32 vcc_lo, 0, v76
	v_cndmask_b32_e32 v76, v77, v86, vcc_lo
; %bb.47:
	s_or_b32 exec_lo, exec_lo, s3
	v_and_b32_e32 v77, 0x7f800000, v78
	s_delay_alu instid0(VALU_DEP_1) | instskip(SKIP_1) | instid1(SALU_CYCLE_1)
	v_cmp_ne_u32_e32 vcc_lo, 0x7f800000, v77
                                        ; implicit-def: $vgpr77
	s_and_saveexec_b32 s3, vcc_lo
	s_xor_b32 s3, exec_lo, s3
; %bb.48:
	v_bfe_u32 v77, v78, 16, 1
	s_delay_alu instid0(VALU_DEP_1)
	v_add3_u32 v77, v78, v77, 0x7fff
                                        ; implicit-def: $vgpr78
; %bb.49:
	s_and_not1_saveexec_b32 s3, s3
; %bb.50:
	v_and_b32_e32 v77, 0xffff, v78
	v_or_b32_e32 v83, 0x10000, v78
	s_delay_alu instid0(VALU_DEP_2) | instskip(NEXT) | instid1(VALU_DEP_2)
	v_cmp_eq_u32_e32 vcc_lo, 0, v77
	v_cndmask_b32_e32 v77, v83, v78, vcc_lo
; %bb.51:
	s_or_b32 exec_lo, exec_lo, s3
	v_and_b32_e32 v78, 0x7f800000, v85
	s_delay_alu instid0(VALU_DEP_1) | instskip(SKIP_1) | instid1(SALU_CYCLE_1)
	v_cmp_ne_u32_e32 vcc_lo, 0x7f800000, v78
                                        ; implicit-def: $vgpr78
	s_and_saveexec_b32 s3, vcc_lo
	s_xor_b32 s3, exec_lo, s3
; %bb.52:
	v_bfe_u32 v78, v85, 16, 1
	s_delay_alu instid0(VALU_DEP_1)
	v_add3_u32 v78, v85, v78, 0x7fff
                                        ; implicit-def: $vgpr85
; %bb.53:
	s_and_not1_saveexec_b32 s3, s3
; %bb.54:
	v_and_b32_e32 v78, 0xffff, v85
	v_or_b32_e32 v83, 0x10000, v85
	s_delay_alu instid0(VALU_DEP_2) | instskip(NEXT) | instid1(VALU_DEP_2)
	v_cmp_eq_u32_e32 vcc_lo, 0, v78
	v_cndmask_b32_e32 v78, v83, v85, vcc_lo
; %bb.55:
	s_or_b32 exec_lo, exec_lo, s3
	v_and_b32_e32 v83, 0x7f800000, v84
	s_delay_alu instid0(VALU_DEP_1) | instskip(SKIP_1) | instid1(SALU_CYCLE_1)
	v_cmp_ne_u32_e32 vcc_lo, 0x7f800000, v83
                                        ; implicit-def: $vgpr83
	s_and_saveexec_b32 s3, vcc_lo
	s_xor_b32 s3, exec_lo, s3
; %bb.56:
	v_bfe_u32 v83, v84, 16, 1
	s_delay_alu instid0(VALU_DEP_1)
	v_add3_u32 v83, v84, v83, 0x7fff
                                        ; implicit-def: $vgpr84
; %bb.57:
	s_and_not1_saveexec_b32 s3, s3
; %bb.58:
	v_and_b32_e32 v83, 0xffff, v84
	v_or_b32_e32 v85, 0x10000, v84
	s_delay_alu instid0(VALU_DEP_2) | instskip(NEXT) | instid1(VALU_DEP_2)
	v_cmp_eq_u32_e32 vcc_lo, 0, v83
	v_cndmask_b32_e32 v83, v85, v84, vcc_lo
; %bb.59:
	s_or_b32 exec_lo, exec_lo, s3
	v_and_b32_e32 v84, 0x7f800000, v79
	s_delay_alu instid0(VALU_DEP_1) | instskip(SKIP_1) | instid1(SALU_CYCLE_1)
	v_cmp_ne_u32_e32 vcc_lo, 0x7f800000, v84
                                        ; implicit-def: $vgpr84
	s_and_saveexec_b32 s3, vcc_lo
	s_xor_b32 s3, exec_lo, s3
; %bb.60:
	v_bfe_u32 v84, v79, 16, 1
	s_delay_alu instid0(VALU_DEP_1)
	v_add3_u32 v84, v79, v84, 0x7fff
                                        ; implicit-def: $vgpr79
; %bb.61:
	s_and_not1_saveexec_b32 s3, s3
; %bb.62:
	v_and_b32_e32 v84, 0xffff, v79
	v_or_b32_e32 v85, 0x10000, v79
	s_delay_alu instid0(VALU_DEP_2) | instskip(NEXT) | instid1(VALU_DEP_2)
	v_cmp_eq_u32_e32 vcc_lo, 0, v84
	v_cndmask_b32_e32 v84, v85, v79, vcc_lo
; %bb.63:
	s_or_b32 exec_lo, exec_lo, s3
	v_and_b32_e32 v79, 0x7f800000, v80
	s_delay_alu instid0(VALU_DEP_1) | instskip(SKIP_1) | instid1(SALU_CYCLE_1)
	v_cmp_ne_u32_e32 vcc_lo, 0x7f800000, v79
                                        ; implicit-def: $vgpr79
	s_and_saveexec_b32 s3, vcc_lo
	s_xor_b32 s3, exec_lo, s3
; %bb.64:
	v_bfe_u32 v79, v80, 16, 1
	s_delay_alu instid0(VALU_DEP_1)
	v_add3_u32 v79, v80, v79, 0x7fff
                                        ; implicit-def: $vgpr80
; %bb.65:
	s_and_not1_saveexec_b32 s3, s3
; %bb.66:
	v_and_b32_e32 v79, 0xffff, v80
	v_or_b32_e32 v85, 0x10000, v80
	s_delay_alu instid0(VALU_DEP_2) | instskip(NEXT) | instid1(VALU_DEP_2)
	v_cmp_eq_u32_e32 vcc_lo, 0, v79
	v_cndmask_b32_e32 v79, v85, v80, vcc_lo
; %bb.67:
	s_or_b32 exec_lo, exec_lo, s3
	v_and_b32_e32 v80, 0x7f800000, v81
	s_delay_alu instid0(VALU_DEP_1) | instskip(SKIP_1) | instid1(SALU_CYCLE_1)
	v_cmp_ne_u32_e32 vcc_lo, 0x7f800000, v80
                                        ; implicit-def: $vgpr80
	s_and_saveexec_b32 s3, vcc_lo
	s_xor_b32 s3, exec_lo, s3
; %bb.68:
	v_bfe_u32 v80, v81, 16, 1
	s_delay_alu instid0(VALU_DEP_1)
	v_add3_u32 v80, v81, v80, 0x7fff
                                        ; implicit-def: $vgpr81
; %bb.69:
	s_and_not1_saveexec_b32 s3, s3
; %bb.70:
	v_and_b32_e32 v80, 0xffff, v81
	v_or_b32_e32 v85, 0x10000, v81
	s_delay_alu instid0(VALU_DEP_2) | instskip(NEXT) | instid1(VALU_DEP_2)
	v_cmp_eq_u32_e32 vcc_lo, 0, v80
	v_cndmask_b32_e32 v80, v85, v81, vcc_lo
; %bb.71:
	s_or_b32 exec_lo, exec_lo, s3
	v_and_b32_e32 v81, 0x7f800000, v82
	s_delay_alu instid0(VALU_DEP_1) | instskip(SKIP_1) | instid1(SALU_CYCLE_1)
	v_cmp_ne_u32_e32 vcc_lo, 0x7f800000, v81
                                        ; implicit-def: $vgpr81
	s_and_saveexec_b32 s3, vcc_lo
	s_xor_b32 s3, exec_lo, s3
; %bb.72:
	v_bfe_u32 v81, v82, 16, 1
	s_delay_alu instid0(VALU_DEP_1)
	v_add3_u32 v81, v82, v81, 0x7fff
                                        ; implicit-def: $vgpr82
; %bb.73:
	s_and_not1_saveexec_b32 s3, s3
; %bb.74:
	v_and_b32_e32 v81, 0xffff, v82
	v_or_b32_e32 v85, 0x10000, v82
	s_delay_alu instid0(VALU_DEP_2) | instskip(NEXT) | instid1(VALU_DEP_2)
	v_cmp_eq_u32_e32 vcc_lo, 0, v81
	v_cndmask_b32_e32 v81, v85, v82, vcc_lo
; %bb.75:
	s_or_b32 exec_lo, exec_lo, s3
	s_delay_alu instid0(VALU_DEP_1)
	v_perm_b32 v80, v81, v80, 0x7060302
	v_perm_b32 v79, v79, v84, 0x7060302
	;; [unrolled: 1-line block ×4, first 2 shown]
	v_lshl_or_b32 v85, v92, 11, v91
	v_lshlrev_b32_e32 v82, 2, v90
	ds_store_b128 v75, v[77:80] offset:1024
	s_waitcnt lgkmcnt(0)
	s_barrier
	buffer_gl0_inv
	ds_load_b128 v[76:79], v85
	ds_load_b128 v[92:95], v85 offset:16
	v_or_b32_e32 v83, 1, v82
	v_cmp_eq_u32_e32 vcc_lo, 1, v82
	v_cmp_eq_u32_e64 s4, 2, v82
	v_cmp_eq_u32_e64 s7, 3, v82
	;; [unrolled: 1-line block ×6, first 2 shown]
	v_or_b32_e32 v81, 2, v82
	v_cmp_eq_u32_e64 s10, 5, v82
	v_cmp_eq_u32_e64 s11, 4, v83
	;; [unrolled: 1-line block ×9, first 2 shown]
	s_waitcnt lgkmcnt(1)
	v_lshrrev_b32_e32 v80, 16, v76
	s_waitcnt lgkmcnt(0)
	v_lshrrev_b32_e32 v100, 16, v92
	v_lshrrev_b32_e32 v86, 16, v77
	;; [unrolled: 1-line block ×4, first 2 shown]
	v_cndmask_b32_e32 v84, v76, v80, vcc_lo
	v_cndmask_b32_e32 v96, v92, v100, vcc_lo
	v_cndmask_b32_e64 v97, v76, v80, s3
	v_lshrrev_b32_e32 v105, 16, v94
	v_cndmask_b32_e64 v98, v92, v100, s3
	v_cndmask_b32_e64 v84, v84, v77, s4
	v_cndmask_b32_e64 v96, v96, v93, s4
	v_cndmask_b32_e64 v97, v97, v77, s6
	v_lshrrev_b32_e32 v88, 16, v79
	v_cndmask_b32_e64 v98, v98, v93, s6
	v_cndmask_b32_e64 v84, v84, v86, s7
	v_cndmask_b32_e64 v96, v96, v104, s7
	;; [unrolled: 5-line block ×3, first 2 shown]
	v_cndmask_b32_e64 v97, v97, v78, s11
	v_cndmask_b32_e64 v98, v98, v104, s8
	v_cmp_eq_u32_e64 s20, 3, v81
	v_cndmask_b32_e64 v84, v84, v87, s10
	v_cndmask_b32_e64 v96, v96, v105, s10
	;; [unrolled: 1-line block ×4, first 2 shown]
	v_cmp_eq_u32_e64 s21, 4, v81
	v_cndmask_b32_e64 v84, v84, v79, s12
	v_cndmask_b32_e64 v96, v96, v95, s12
	;; [unrolled: 1-line block ×3, first 2 shown]
	v_cmp_eq_u32_e64 s23, 5, v81
	v_cmp_eq_u32_e64 s25, 6, v81
	v_cndmask_b32_e64 v107, v84, v88, s16
	v_cndmask_b32_e64 v108, v96, v106, s16
	;; [unrolled: 1-line block ×6, first 2 shown]
	v_cmp_eq_u32_e64 s28, 7, v81
	v_cndmask_b32_e64 v98, v84, v86, s20
	v_cndmask_b32_e64 v96, v96, v93, s18
	v_or_b32_e32 v84, 3, v82
	v_cndmask_b32_e64 v110, v97, v95, s17
	s_delay_alu instid0(VALU_DEP_4) | instskip(NEXT) | instid1(VALU_DEP_4)
	v_cndmask_b32_e64 v101, v98, v78, s21
	v_cndmask_b32_e64 v102, v96, v104, s20
	ds_load_b128 v[96:99], v85 offset:1024
	v_cmp_eq_u32_e64 s22, 1, v84
	v_cmp_eq_u32_e64 s24, 2, v84
	v_cndmask_b32_e64 v111, v101, v87, s23
	v_cmp_eq_u32_e64 s26, 3, v84
	v_cmp_eq_u32_e64 s27, 4, v84
	v_cndmask_b32_e64 v76, v76, v80, s22
	v_cndmask_b32_e64 v80, v102, v94, s21
	;; [unrolled: 1-line block ×3, first 2 shown]
	ds_load_b128 v[100:103], v85 offset:1040
	v_cmp_eq_u32_e64 s29, 5, v84
	v_cndmask_b32_e64 v76, v76, v77, s24
	v_cndmask_b32_e64 v77, v80, v105, s23
	;; [unrolled: 1-line block ×3, first 2 shown]
	v_cmp_eq_u32_e64 s30, 6, v84
	v_cndmask_b32_e64 v92, v110, v106, s19
	v_cndmask_b32_e64 v76, v76, v86, s26
	;; [unrolled: 1-line block ×5, first 2 shown]
	s_waitcnt lgkmcnt(1)
	v_lshrrev_b32_e32 v93, 16, v96
	v_cndmask_b32_e64 v76, v76, v78, s27
	v_cndmask_b32_e64 v78, v80, v94, s27
	v_cndmask_b32_e64 v80, v86, v88, s28
	s_delay_alu instid0(VALU_DEP_4) | instskip(NEXT) | instid1(VALU_DEP_4)
	v_cndmask_b32_e32 v86, v96, v93, vcc_lo
	v_cndmask_b32_e64 v76, v76, v87, s29
	v_lshrrev_b32_e32 v94, 16, v97
	v_cndmask_b32_e64 v104, v96, v93, s3
	s_waitcnt lgkmcnt(0)
	v_lshrrev_b32_e32 v87, 16, v100
	v_cndmask_b32_e64 v86, v86, v97, s4
	v_cndmask_b32_e64 v78, v78, v105, s29
	;; [unrolled: 1-line block ×4, first 2 shown]
	v_cndmask_b32_e32 v105, v100, v87, vcc_lo
	v_cndmask_b32_e64 v79, v86, v94, s7
	v_cndmask_b32_e64 v86, v104, v97, s6
	;; [unrolled: 1-line block ×3, first 2 shown]
	v_lshrrev_b32_e32 v104, 16, v101
	v_cndmask_b32_e64 v95, v105, v101, s4
	v_cmp_eq_u32_e32 vcc_lo, 7, v84
	v_cndmask_b32_e64 v86, v86, v94, s8
	v_cndmask_b32_e64 v79, v79, v98, s9
	v_lshrrev_b32_e32 v105, 16, v98
	v_cndmask_b32_e64 v95, v95, v104, s7
	v_cndmask_b32_e32 v76, v76, v88, vcc_lo
	v_cndmask_b32_e32 v78, v78, v106, vcc_lo
	v_cndmask_b32_e64 v86, v86, v98, s11
	v_cndmask_b32_e64 v88, v79, v105, s10
	;; [unrolled: 1-line block ×3, first 2 shown]
	v_lshrrev_b32_e32 v106, 16, v102
	v_perm_b32 v79, v78, v76, 0x5040100
	v_cndmask_b32_e64 v76, v86, v105, s13
	v_cndmask_b32_e64 v86, v88, v99, s12
	v_lshrrev_b32_e32 v88, 16, v99
	v_cndmask_b32_e64 v95, v95, v106, s10
	v_perm_b32 v78, v77, v80, 0x5040100
	v_cndmask_b32_e64 v76, v76, v99, s17
	v_perm_b32 v77, v92, v109, 0x5040100
	v_cndmask_b32_e64 v80, v86, v88, s16
	v_cndmask_b32_e64 v86, v95, v103, s12
	;; [unrolled: 1-line block ×13, first 2 shown]
	v_lshrrev_b32_e32 v92, 16, v103
	v_cndmask_b32_e64 v76, v76, v94, s20
	v_cndmask_b32_e64 v93, v93, v94, s26
	;; [unrolled: 1-line block ×21, first 2 shown]
	v_cndmask_b32_e32 v88, v93, v88, vcc_lo
	v_cndmask_b32_e32 v93, v94, v92, vcc_lo
	v_cndmask_b32_e64 v94, v95, v92, s28
	v_cndmask_b32_e64 v87, v87, v92, s19
	;; [unrolled: 1-line block ×3, first 2 shown]
	v_perm_b32 v76, v108, v107, 0x5040100
	v_perm_b32 v95, v93, v88, 0x5040100
	;; [unrolled: 1-line block ×5, first 2 shown]
	s_mov_b32 s3, exec_lo
	ds_store_b128 v75, v[76:79]
	ds_store_b128 v75, v[92:95] offset:1024
	v_cmpx_eq_u32_e32 0, v0
	s_cbranch_execz .LBB706_77
; %bb.76:
	s_load_b128 s[4:7], s[0:1], 0x58
	s_mul_i32 s8, s37, s34
	v_mov_b32_e32 v75, 0
	s_add_i32 s8, s8, s15
	s_delay_alu instid0(SALU_CYCLE_1) | instskip(NEXT) | instid1(SALU_CYCLE_1)
	s_mul_i32 s8, s8, s36
	s_add_i32 s8, s8, s14
	s_delay_alu instid0(SALU_CYCLE_1) | instskip(NEXT) | instid1(SALU_CYCLE_1)
	s_ashr_i32 s9, s8, 31
	s_lshl_b64 s[8:9], s[8:9], 2
	s_waitcnt lgkmcnt(0)
	s_add_u32 s6, s6, s8
	s_addc_u32 s7, s7, s9
	s_add_u32 s4, s4, s8
	s_addc_u32 s5, s5, s9
	s_clause 0x1
	global_store_b32 v75, v73, s[6:7]
	global_store_b32 v75, v74, s[4:5]
.LBB706_77:
	s_or_b32 exec_lo, exec_lo, s3
	s_waitcnt lgkmcnt(0)
	s_waitcnt_vscnt null, 0x0
	s_barrier
	buffer_gl0_inv
	ds_load_b128 v[92:95], v91
	ds_load_b128 v[96:99], v91 offset:16
	ds_load_b128 v[104:107], v91 offset:1040
	;; [unrolled: 1-line block ×3, first 2 shown]
	v_mov_b32_e32 v73, 0
	ds_load_b128 v[112:115], v91 offset:2064
	ds_load_b128 v[108:111], v91 offset:2048
	;; [unrolled: 1-line block ×4, first 2 shown]
	v_mov_b32_e32 v74, v73
	v_mov_b32_e32 v75, v73
	;; [unrolled: 1-line block ×7, first 2 shown]
	s_waitcnt lgkmcnt(6)
	s_delay_alu instid0(VALU_DEP_1)
	v_wmma_f32_16x16x16_bf16 v[73:80], v[65:72], v[92:99], v[73:80]
	ds_load_b128 v[69:72], v91 offset:4112
	ds_load_b128 v[65:68], v91 offset:4096
	;; [unrolled: 1-line block ×4, first 2 shown]
	s_waitcnt lgkmcnt(8)
	v_wmma_f32_16x16x16_bf16 v[73:80], v[57:64], v[100:107], v[73:80]
	ds_load_b128 v[104:107], v91 offset:6160
	ds_load_b128 v[100:103], v91 offset:6144
	s_waitcnt lgkmcnt(8)
	v_wmma_f32_16x16x16_bf16 v[73:80], v[57:64], v[108:115], v[73:80]
	ds_load_b128 v[61:64], v91 offset:7184
	ds_load_b128 v[57:60], v91 offset:7168
	;; [unrolled: 1-line block ×4, first 2 shown]
	s_waitcnt lgkmcnt(10)
	v_wmma_f32_16x16x16_bf16 v[73:80], v[49:56], v[116:123], v[73:80]
	s_waitcnt lgkmcnt(8)
	s_delay_alu instid0(VALU_DEP_1)
	v_wmma_f32_16x16x16_bf16 v[73:80], v[49:56], v[65:72], v[73:80]
	ds_load_b128 v[53:56], v91 offset:9232
	ds_load_b128 v[49:52], v91 offset:9216
	;; [unrolled: 1-line block ×4, first 2 shown]
	s_waitcnt lgkmcnt(10)
	v_wmma_f32_16x16x16_bf16 v[73:80], v[41:48], v[92:99], v[73:80]
	s_waitcnt lgkmcnt(8)
	s_delay_alu instid0(VALU_DEP_1)
	v_wmma_f32_16x16x16_bf16 v[73:80], v[41:48], v[100:107], v[73:80]
	ds_load_b128 v[45:48], v91 offset:11280
	ds_load_b128 v[41:44], v91 offset:11264
	s_waitcnt lgkmcnt(8)
	v_wmma_f32_16x16x16_bf16 v[73:80], v[17:24], v[57:64], v[73:80]
	s_waitcnt lgkmcnt(6)
	s_delay_alu instid0(VALU_DEP_1)
	v_wmma_f32_16x16x16_bf16 v[73:80], v[17:24], v[108:115], v[73:80]
	ds_load_b128 v[21:24], v91 offset:12304
	ds_load_b128 v[17:20], v91 offset:12288
	s_waitcnt lgkmcnt(6)
	v_wmma_f32_16x16x16_bf16 v[73:80], v[9:16], v[49:56], v[73:80]
	ds_load_b128 v[53:56], v91 offset:13328
	ds_load_b128 v[49:52], v91 offset:13312
	s_waitcnt lgkmcnt(6)
	;; [unrolled: 4-line block ×4, first 2 shown]
	v_wmma_f32_16x16x16_bf16 v[73:80], v[1:8], v[17:24], v[73:80]
	s_waitcnt lgkmcnt(4)
	s_delay_alu instid0(VALU_DEP_1) | instskip(SKIP_1) | instid1(VALU_DEP_1)
	v_wmma_f32_16x16x16_bf16 v[73:80], v[33:40], v[49:56], v[73:80]
	s_waitcnt lgkmcnt(2)
	v_wmma_f32_16x16x16_bf16 v[73:80], v[33:40], v[9:16], v[73:80]
	s_waitcnt lgkmcnt(0)
	s_delay_alu instid0(VALU_DEP_1) | instskip(NEXT) | instid1(VALU_DEP_1)
	v_wmma_f32_16x16x16_bf16 v[73:80], v[25:32], v[41:48], v[73:80]
	v_and_b32_e32 v1, 0x7f800000, v73
	s_delay_alu instid0(VALU_DEP_1) | instskip(SKIP_1) | instid1(SALU_CYCLE_1)
	v_cmp_ne_u32_e32 vcc_lo, 0x7f800000, v1
                                        ; implicit-def: $vgpr1
	s_and_saveexec_b32 s3, vcc_lo
	s_xor_b32 s3, exec_lo, s3
; %bb.78:
	v_bfe_u32 v1, v73, 16, 1
	s_delay_alu instid0(VALU_DEP_1)
	v_add3_u32 v1, v73, v1, 0x7fff
; %bb.79:
	s_and_not1_saveexec_b32 s3, s3
; %bb.80:
	v_and_b32_e32 v1, 0xffff, v73
	v_or_b32_e32 v2, 0x10000, v73
	s_delay_alu instid0(VALU_DEP_2) | instskip(NEXT) | instid1(VALU_DEP_2)
	v_cmp_eq_u32_e32 vcc_lo, 0, v1
	v_cndmask_b32_e32 v1, v2, v73, vcc_lo
; %bb.81:
	s_or_b32 exec_lo, exec_lo, s3
	v_and_b32_e32 v2, 0x7f800000, v74
	s_delay_alu instid0(VALU_DEP_1) | instskip(SKIP_1) | instid1(SALU_CYCLE_1)
	v_cmp_ne_u32_e32 vcc_lo, 0x7f800000, v2
                                        ; implicit-def: $vgpr2
	s_and_saveexec_b32 s3, vcc_lo
	s_xor_b32 s3, exec_lo, s3
; %bb.82:
	v_bfe_u32 v2, v74, 16, 1
	s_delay_alu instid0(VALU_DEP_1)
	v_add3_u32 v2, v74, v2, 0x7fff
; %bb.83:
	s_and_not1_saveexec_b32 s3, s3
; %bb.84:
	v_and_b32_e32 v2, 0xffff, v74
	v_or_b32_e32 v3, 0x10000, v74
	s_delay_alu instid0(VALU_DEP_2) | instskip(NEXT) | instid1(VALU_DEP_2)
	v_cmp_eq_u32_e32 vcc_lo, 0, v2
	v_cndmask_b32_e32 v2, v3, v74, vcc_lo
; %bb.85:
	s_or_b32 exec_lo, exec_lo, s3
	v_and_b32_e32 v3, 0x7f800000, v75
	s_delay_alu instid0(VALU_DEP_1) | instskip(SKIP_1) | instid1(SALU_CYCLE_1)
	v_cmp_ne_u32_e32 vcc_lo, 0x7f800000, v3
                                        ; implicit-def: $vgpr3
	s_and_saveexec_b32 s3, vcc_lo
	s_xor_b32 s3, exec_lo, s3
; %bb.86:
	v_bfe_u32 v3, v75, 16, 1
	s_delay_alu instid0(VALU_DEP_1)
	v_add3_u32 v3, v75, v3, 0x7fff
; %bb.87:
	s_and_not1_saveexec_b32 s3, s3
; %bb.88:
	v_and_b32_e32 v3, 0xffff, v75
	v_or_b32_e32 v4, 0x10000, v75
	s_delay_alu instid0(VALU_DEP_2) | instskip(NEXT) | instid1(VALU_DEP_2)
	v_cmp_eq_u32_e32 vcc_lo, 0, v3
	v_cndmask_b32_e32 v3, v4, v75, vcc_lo
; %bb.89:
	s_or_b32 exec_lo, exec_lo, s3
	v_and_b32_e32 v4, 0x7f800000, v76
	s_delay_alu instid0(VALU_DEP_1) | instskip(SKIP_1) | instid1(SALU_CYCLE_1)
	v_cmp_ne_u32_e32 vcc_lo, 0x7f800000, v4
                                        ; implicit-def: $vgpr4
	s_and_saveexec_b32 s3, vcc_lo
	s_xor_b32 s3, exec_lo, s3
; %bb.90:
	v_bfe_u32 v4, v76, 16, 1
	s_delay_alu instid0(VALU_DEP_1)
	v_add3_u32 v4, v76, v4, 0x7fff
; %bb.91:
	s_and_not1_saveexec_b32 s3, s3
; %bb.92:
	v_and_b32_e32 v4, 0xffff, v76
	v_or_b32_e32 v5, 0x10000, v76
	s_delay_alu instid0(VALU_DEP_2) | instskip(NEXT) | instid1(VALU_DEP_2)
	v_cmp_eq_u32_e32 vcc_lo, 0, v4
	v_cndmask_b32_e32 v4, v5, v76, vcc_lo
; %bb.93:
	s_or_b32 exec_lo, exec_lo, s3
	v_and_b32_e32 v5, 0x7f800000, v77
	s_delay_alu instid0(VALU_DEP_1) | instskip(SKIP_1) | instid1(SALU_CYCLE_1)
	v_cmp_ne_u32_e32 vcc_lo, 0x7f800000, v5
                                        ; implicit-def: $vgpr5
	s_and_saveexec_b32 s3, vcc_lo
	s_xor_b32 s3, exec_lo, s3
; %bb.94:
	v_bfe_u32 v5, v77, 16, 1
	s_delay_alu instid0(VALU_DEP_1)
	v_add3_u32 v5, v77, v5, 0x7fff
; %bb.95:
	s_and_not1_saveexec_b32 s3, s3
; %bb.96:
	v_and_b32_e32 v5, 0xffff, v77
	v_or_b32_e32 v6, 0x10000, v77
	s_delay_alu instid0(VALU_DEP_2) | instskip(NEXT) | instid1(VALU_DEP_2)
	v_cmp_eq_u32_e32 vcc_lo, 0, v5
	v_cndmask_b32_e32 v5, v6, v77, vcc_lo
; %bb.97:
	s_or_b32 exec_lo, exec_lo, s3
	v_and_b32_e32 v6, 0x7f800000, v78
	s_delay_alu instid0(VALU_DEP_1) | instskip(SKIP_1) | instid1(SALU_CYCLE_1)
	v_cmp_ne_u32_e32 vcc_lo, 0x7f800000, v6
                                        ; implicit-def: $vgpr6
	s_and_saveexec_b32 s3, vcc_lo
	s_xor_b32 s3, exec_lo, s3
; %bb.98:
	v_bfe_u32 v6, v78, 16, 1
	s_delay_alu instid0(VALU_DEP_1)
	v_add3_u32 v6, v78, v6, 0x7fff
; %bb.99:
	s_and_not1_saveexec_b32 s3, s3
; %bb.100:
	v_and_b32_e32 v6, 0xffff, v78
	v_or_b32_e32 v7, 0x10000, v78
	s_delay_alu instid0(VALU_DEP_2) | instskip(NEXT) | instid1(VALU_DEP_2)
	v_cmp_eq_u32_e32 vcc_lo, 0, v6
	v_cndmask_b32_e32 v6, v7, v78, vcc_lo
; %bb.101:
	s_or_b32 exec_lo, exec_lo, s3
	v_and_b32_e32 v7, 0x7f800000, v79
	s_delay_alu instid0(VALU_DEP_1) | instskip(SKIP_1) | instid1(SALU_CYCLE_1)
	v_cmp_ne_u32_e32 vcc_lo, 0x7f800000, v7
                                        ; implicit-def: $vgpr7
	s_and_saveexec_b32 s3, vcc_lo
	s_xor_b32 s3, exec_lo, s3
; %bb.102:
	v_bfe_u32 v7, v79, 16, 1
	s_delay_alu instid0(VALU_DEP_1)
	v_add3_u32 v7, v79, v7, 0x7fff
; %bb.103:
	s_and_not1_saveexec_b32 s3, s3
; %bb.104:
	v_and_b32_e32 v7, 0xffff, v79
	v_or_b32_e32 v8, 0x10000, v79
	s_delay_alu instid0(VALU_DEP_2) | instskip(NEXT) | instid1(VALU_DEP_2)
	v_cmp_eq_u32_e32 vcc_lo, 0, v7
	v_cndmask_b32_e32 v7, v8, v79, vcc_lo
; %bb.105:
	s_or_b32 exec_lo, exec_lo, s3
	v_and_b32_e32 v8, 0x7f800000, v80
	s_delay_alu instid0(VALU_DEP_1) | instskip(SKIP_1) | instid1(SALU_CYCLE_1)
	v_cmp_ne_u32_e32 vcc_lo, 0x7f800000, v8
                                        ; implicit-def: $vgpr8
	s_and_saveexec_b32 s3, vcc_lo
	s_xor_b32 s3, exec_lo, s3
; %bb.106:
	v_bfe_u32 v8, v80, 16, 1
	s_delay_alu instid0(VALU_DEP_1)
	v_add3_u32 v8, v80, v8, 0x7fff
                                        ; implicit-def: $vgpr73_vgpr74_vgpr75_vgpr76_vgpr77_vgpr78_vgpr79_vgpr80
; %bb.107:
	s_and_not1_saveexec_b32 s3, s3
; %bb.108:
	v_and_b32_e32 v8, 0xffff, v80
	v_or_b32_e32 v9, 0x10000, v80
	s_delay_alu instid0(VALU_DEP_2) | instskip(NEXT) | instid1(VALU_DEP_2)
	v_cmp_eq_u32_e32 vcc_lo, 0, v8
	v_cndmask_b32_e32 v8, v9, v80, vcc_lo
; %bb.109:
	s_or_b32 exec_lo, exec_lo, s3
	s_delay_alu instid0(VALU_DEP_1)
	v_perm_b32 v7, v8, v7, 0x7060302
	v_perm_b32 v6, v6, v5, 0x7060302
	;; [unrolled: 1-line block ×4, first 2 shown]
	v_lshl_or_b32 v9, v90, 4, v85
	s_barrier
	buffer_gl0_inv
	v_cmp_eq_u32_e32 vcc_lo, 1, v82
	ds_store_b128 v9, v[4:7]
	s_waitcnt lgkmcnt(0)
	s_barrier
	buffer_gl0_inv
	ds_load_b128 v[1:4], v85
	ds_load_b128 v[5:8], v85 offset:16
	v_cmp_eq_u32_e64 s4, 2, v82
	v_cmp_eq_u32_e64 s3, 1, v83
	;; [unrolled: 1-line block ×5, first 2 shown]
	s_xor_b32 s2, s2, -1
	s_waitcnt lgkmcnt(1)
	v_lshrrev_b32_e32 v10, 16, v1
	s_waitcnt lgkmcnt(0)
	v_lshrrev_b32_e32 v14, 16, v5
	v_lshrrev_b32_e32 v15, 16, v6
	v_lshrrev_b32_e32 v11, 16, v2
	v_lshrrev_b32_e32 v12, 16, v3
	v_cndmask_b32_e64 v20, v1, v10, s3
	v_cndmask_b32_e32 v19, v5, v14, vcc_lo
	v_cndmask_b32_e64 v21, v5, v14, s3
	v_lshrrev_b32_e32 v16, 16, v7
	v_cmp_eq_u32_e64 s3, 1, v81
	v_lshrrev_b32_e32 v13, 16, v4
	v_cndmask_b32_e64 v19, v19, v6, s4
	v_lshrrev_b32_e32 v17, 16, v8
	s_delay_alu instid0(VALU_DEP_4) | instskip(SKIP_1) | instid1(VALU_DEP_4)
	v_cndmask_b32_e64 v22, v1, v10, s3
	v_cndmask_b32_e64 v23, v5, v14, s3
	;; [unrolled: 1-line block ×3, first 2 shown]
	v_cndmask_b32_e32 v18, v1, v10, vcc_lo
	v_cmp_eq_u32_e32 vcc_lo, 2, v83
	v_cmp_eq_u32_e64 s3, 2, v84
	v_cndmask_b32_e64 v22, v22, v2, s7
	v_cndmask_b32_e32 v20, v20, v2, vcc_lo
	v_cndmask_b32_e32 v21, v21, v6, vcc_lo
	v_cmp_eq_u32_e32 vcc_lo, 4, v82
	v_cndmask_b32_e32 v19, v19, v7, vcc_lo
	v_cndmask_b32_e64 v18, v18, v2, s4
	v_cmp_eq_u32_e64 s4, 3, v83
	s_delay_alu instid0(VALU_DEP_2) | instskip(NEXT) | instid1(VALU_DEP_2)
	v_cndmask_b32_e64 v18, v18, v11, s5
	v_cndmask_b32_e64 v21, v21, v15, s4
	v_cmp_eq_u32_e64 s5, 5, v82
	s_delay_alu instid0(VALU_DEP_3) | instskip(SKIP_1) | instid1(VALU_DEP_3)
	v_cndmask_b32_e32 v18, v18, v3, vcc_lo
	v_cmp_eq_u32_e32 vcc_lo, 4, v83
	v_cndmask_b32_e64 v19, v19, v16, s5
	s_delay_alu instid0(VALU_DEP_3) | instskip(SKIP_4) | instid1(VALU_DEP_3)
	v_cndmask_b32_e64 v18, v18, v12, s5
	v_cndmask_b32_e32 v21, v21, v7, vcc_lo
	v_cndmask_b32_e64 v20, v20, v11, s4
	v_cmp_eq_u32_e64 s4, 5, v83
	v_cmp_eq_u32_e64 s5, 6, v82
	v_cndmask_b32_e32 v20, v20, v3, vcc_lo
	s_delay_alu instid0(VALU_DEP_3) | instskip(SKIP_1) | instid1(VALU_DEP_4)
	v_cndmask_b32_e64 v21, v21, v16, s4
	v_cmp_eq_u32_e32 vcc_lo, 6, v83
	v_cndmask_b32_e64 v18, v18, v4, s5
	v_cndmask_b32_e64 v19, v19, v8, s5
	;; [unrolled: 1-line block ×3, first 2 shown]
	v_cmp_eq_u32_e64 s4, 1, v84
	v_cmp_eq_u32_e64 s5, 7, v82
	s_delay_alu instid0(VALU_DEP_3) | instskip(NEXT) | instid1(VALU_DEP_3)
	v_cndmask_b32_e32 v20, v20, v4, vcc_lo
	v_cndmask_b32_e64 v1, v1, v10, s4
	v_cndmask_b32_e64 v5, v5, v14, s4
	v_cmp_eq_u32_e64 s4, 3, v81
	v_cndmask_b32_e64 v14, v23, v6, s7
	v_cmp_eq_u32_e64 s7, 3, v84
	v_cndmask_b32_e64 v1, v1, v2, s3
	v_cndmask_b32_e64 v2, v5, v6, s3
	v_cndmask_b32_e64 v10, v22, v11, s4
	v_cmp_eq_u32_e64 s3, 4, v81
	v_cndmask_b32_e64 v6, v14, v15, s4
	v_cndmask_b32_e64 v1, v1, v11, s7
	v_cmp_eq_u32_e64 s4, 4, v84
	v_cndmask_b32_e64 v2, v2, v15, s7
	v_cndmask_b32_e64 v5, v10, v3, s3
	;; [unrolled: 3-line block ×3, first 2 shown]
	v_cndmask_b32_e64 v2, v2, v7, s4
	v_cmp_eq_u32_e64 s3, 5, v84
	v_cndmask_b32_e64 v5, v5, v12, s7
	v_cmp_eq_u32_e64 s4, 6, v81
	;; [unrolled: 2-line block ×3, first 2 shown]
	v_cndmask_b32_e64 v1, v1, v12, s3
	v_cndmask_b32_e64 v2, v2, v16, s3
	;; [unrolled: 1-line block ×4, first 2 shown]
	v_cmp_eq_u32_e64 s3, 7, v84
	v_cndmask_b32_e64 v1, v1, v4, s7
	v_cndmask_b32_e64 v2, v2, v8, s7
	v_cmp_eq_u32_e64 s4, 7, v81
	v_cndmask_b32_e32 v4, v21, v8, vcc_lo
	v_cndmask_b32_e64 v18, v18, v13, s5
	v_cndmask_b32_e64 v20, v20, v13, s6
	;; [unrolled: 1-line block ×8, first 2 shown]
	v_cmp_gt_u32_e32 vcc_lo, 32, v0
	v_perm_b32 v4, v2, v1, 0x5040100
	v_perm_b32 v3, v3, v5, 0x5040100
	;; [unrolled: 1-line block ×4, first 2 shown]
	s_and_b32 s2, vcc_lo, s2
	ds_store_b128 v9, v[1:4]
	s_waitcnt lgkmcnt(0)
	s_barrier
	buffer_gl0_inv
	s_and_saveexec_b32 s3, s2
	s_cbranch_execz .LBB706_2
; %bb.110:
	s_load_b64 s[0:1], s[0:1], 0x68
	v_lshlrev_b32_e32 v1, 10, v0
	v_and_b32_e32 v0, 1, v0
	v_lshlrev_b32_e32 v2, 6, v90
	s_lshl_b32 s4, s36, 7
	v_lshlrev_b32_e32 v4, 3, v89
	v_and_b32_e32 v1, 0x3800, v1
	v_lshlrev_b32_e32 v0, 4, v0
	s_mul_i32 s2, s4, s34
	s_delay_alu instid0(SALU_CYCLE_1) | instskip(SKIP_1) | instid1(VALU_DEP_2)
	s_mul_i32 s2, s2, s37
	v_lshlrev_b32_e32 v4, 1, v4
	v_or3_b32 v0, v1, v2, v0
	s_ashr_i32 s3, s2, 31
	s_delay_alu instid0(SALU_CYCLE_1)
	s_lshl_b64 s[2:3], s[2:3], 1
	ds_load_b128 v[0:3], v0
	s_waitcnt lgkmcnt(0)
	s_add_u32 s5, s0, s2
	s_addc_u32 s3, s1, s3
	s_lshl_b32 s0, s14, 7
	s_mul_i32 s2, s4, s15
	s_ashr_i32 s1, s0, 31
	s_delay_alu instid0(SALU_CYCLE_1) | instskip(NEXT) | instid1(SALU_CYCLE_1)
	s_lshl_b64 s[0:1], s[0:1], 1
	s_add_u32 s4, s5, s0
	s_addc_u32 s5, s3, s1
	s_ashr_i32 s3, s2, 31
	s_delay_alu instid0(SALU_CYCLE_1) | instskip(NEXT) | instid1(SALU_CYCLE_1)
	s_lshl_b64 s[0:1], s[2:3], 1
	s_add_u32 s0, s4, s0
	s_addc_u32 s1, s5, s1
	global_store_b128 v4, v[0:3], s[0:1]
	s_nop 0
	s_sendmsg sendmsg(MSG_DEALLOC_VGPRS)
	s_endpgm
	.section	.rodata,"a",@progbits
	.p2align	6, 0x0
	.amdhsa_kernel _Z39paged_attention_ll4mi_QKV_mfma16_kernelI14__hip_bfloat16S0_LN4vllm18Fp8KVCacheDataTypeE0EhLi32ELi128ELi256ELb1ELi1EL8MFMAType0EEvPKT_PKT0_S9_ifPKiSB_SB_iPKfiiiPfSE_PS4_PT2_iSD_SD_
		.amdhsa_group_segment_fixed_size 17472
		.amdhsa_private_segment_fixed_size 0
		.amdhsa_kernarg_size 400
		.amdhsa_user_sgpr_count 13
		.amdhsa_user_sgpr_dispatch_ptr 0
		.amdhsa_user_sgpr_queue_ptr 0
		.amdhsa_user_sgpr_kernarg_segment_ptr 1
		.amdhsa_user_sgpr_dispatch_id 0
		.amdhsa_user_sgpr_private_segment_size 0
		.amdhsa_wavefront_size32 1
		.amdhsa_uses_dynamic_stack 0
		.amdhsa_enable_private_segment 0
		.amdhsa_system_sgpr_workgroup_id_x 1
		.amdhsa_system_sgpr_workgroup_id_y 1
		.amdhsa_system_sgpr_workgroup_id_z 1
		.amdhsa_system_sgpr_workgroup_info 0
		.amdhsa_system_vgpr_workitem_id 0
		.amdhsa_next_free_vgpr 144
		.amdhsa_next_free_sgpr 97
		.amdhsa_reserve_vcc 1
		.amdhsa_float_round_mode_32 0
		.amdhsa_float_round_mode_16_64 0
		.amdhsa_float_denorm_mode_32 3
		.amdhsa_float_denorm_mode_16_64 3
		.amdhsa_dx10_clamp 1
		.amdhsa_ieee_mode 1
		.amdhsa_fp16_overflow 0
		.amdhsa_workgroup_processor_mode 1
		.amdhsa_memory_ordered 1
		.amdhsa_forward_progress 0
		.amdhsa_shared_vgpr_count 0
		.amdhsa_exception_fp_ieee_invalid_op 0
		.amdhsa_exception_fp_denorm_src 0
		.amdhsa_exception_fp_ieee_div_zero 0
		.amdhsa_exception_fp_ieee_overflow 0
		.amdhsa_exception_fp_ieee_underflow 0
		.amdhsa_exception_fp_ieee_inexact 0
		.amdhsa_exception_int_div_zero 0
	.end_amdhsa_kernel
	.section	.text._Z39paged_attention_ll4mi_QKV_mfma16_kernelI14__hip_bfloat16S0_LN4vllm18Fp8KVCacheDataTypeE0EhLi32ELi128ELi256ELb1ELi1EL8MFMAType0EEvPKT_PKT0_S9_ifPKiSB_SB_iPKfiiiPfSE_PS4_PT2_iSD_SD_,"axG",@progbits,_Z39paged_attention_ll4mi_QKV_mfma16_kernelI14__hip_bfloat16S0_LN4vllm18Fp8KVCacheDataTypeE0EhLi32ELi128ELi256ELb1ELi1EL8MFMAType0EEvPKT_PKT0_S9_ifPKiSB_SB_iPKfiiiPfSE_PS4_PT2_iSD_SD_,comdat
.Lfunc_end706:
	.size	_Z39paged_attention_ll4mi_QKV_mfma16_kernelI14__hip_bfloat16S0_LN4vllm18Fp8KVCacheDataTypeE0EhLi32ELi128ELi256ELb1ELi1EL8MFMAType0EEvPKT_PKT0_S9_ifPKiSB_SB_iPKfiiiPfSE_PS4_PT2_iSD_SD_, .Lfunc_end706-_Z39paged_attention_ll4mi_QKV_mfma16_kernelI14__hip_bfloat16S0_LN4vllm18Fp8KVCacheDataTypeE0EhLi32ELi128ELi256ELb1ELi1EL8MFMAType0EEvPKT_PKT0_S9_ifPKiSB_SB_iPKfiiiPfSE_PS4_PT2_iSD_SD_
                                        ; -- End function
	.section	.AMDGPU.csdata,"",@progbits
; Kernel info:
; codeLenInByte = 9524
; NumSgprs: 99
; NumVgprs: 144
; ScratchSize: 0
; MemoryBound: 1
; FloatMode: 240
; IeeeMode: 1
; LDSByteSize: 17472 bytes/workgroup (compile time only)
; SGPRBlocks: 12
; VGPRBlocks: 17
; NumSGPRsForWavesPerEU: 99
; NumVGPRsForWavesPerEU: 144
; Occupancy: 10
; WaveLimiterHint : 1
; COMPUTE_PGM_RSRC2:SCRATCH_EN: 0
; COMPUTE_PGM_RSRC2:USER_SGPR: 13
; COMPUTE_PGM_RSRC2:TRAP_HANDLER: 0
; COMPUTE_PGM_RSRC2:TGID_X_EN: 1
; COMPUTE_PGM_RSRC2:TGID_Y_EN: 1
; COMPUTE_PGM_RSRC2:TGID_Z_EN: 1
; COMPUTE_PGM_RSRC2:TIDIG_COMP_CNT: 0
	.section	.text._Z39paged_attention_ll4mi_QKV_mfma16_kernelI14__hip_bfloat16S0_LN4vllm18Fp8KVCacheDataTypeE0EhLi32ELi128ELi256ELb1ELi2EL8MFMAType0EEvPKT_PKT0_S9_ifPKiSB_SB_iPKfiiiPfSE_PS4_PT2_iSD_SD_,"axG",@progbits,_Z39paged_attention_ll4mi_QKV_mfma16_kernelI14__hip_bfloat16S0_LN4vllm18Fp8KVCacheDataTypeE0EhLi32ELi128ELi256ELb1ELi2EL8MFMAType0EEvPKT_PKT0_S9_ifPKiSB_SB_iPKfiiiPfSE_PS4_PT2_iSD_SD_,comdat
	.protected	_Z39paged_attention_ll4mi_QKV_mfma16_kernelI14__hip_bfloat16S0_LN4vllm18Fp8KVCacheDataTypeE0EhLi32ELi128ELi256ELb1ELi2EL8MFMAType0EEvPKT_PKT0_S9_ifPKiSB_SB_iPKfiiiPfSE_PS4_PT2_iSD_SD_ ; -- Begin function _Z39paged_attention_ll4mi_QKV_mfma16_kernelI14__hip_bfloat16S0_LN4vllm18Fp8KVCacheDataTypeE0EhLi32ELi128ELi256ELb1ELi2EL8MFMAType0EEvPKT_PKT0_S9_ifPKiSB_SB_iPKfiiiPfSE_PS4_PT2_iSD_SD_
	.globl	_Z39paged_attention_ll4mi_QKV_mfma16_kernelI14__hip_bfloat16S0_LN4vllm18Fp8KVCacheDataTypeE0EhLi32ELi128ELi256ELb1ELi2EL8MFMAType0EEvPKT_PKT0_S9_ifPKiSB_SB_iPKfiiiPfSE_PS4_PT2_iSD_SD_
	.p2align	8
	.type	_Z39paged_attention_ll4mi_QKV_mfma16_kernelI14__hip_bfloat16S0_LN4vllm18Fp8KVCacheDataTypeE0EhLi32ELi128ELi256ELb1ELi2EL8MFMAType0EEvPKT_PKT0_S9_ifPKiSB_SB_iPKfiiiPfSE_PS4_PT2_iSD_SD_,@function
_Z39paged_attention_ll4mi_QKV_mfma16_kernelI14__hip_bfloat16S0_LN4vllm18Fp8KVCacheDataTypeE0EhLi32ELi128ELi256ELb1ELi2EL8MFMAType0EEvPKT_PKT0_S9_ifPKiSB_SB_iPKfiiiPfSE_PS4_PT2_iSD_SD_: ; @_Z39paged_attention_ll4mi_QKV_mfma16_kernelI14__hip_bfloat16S0_LN4vllm18Fp8KVCacheDataTypeE0EhLi32ELi128ELi256ELb1ELi2EL8MFMAType0EEvPKT_PKT0_S9_ifPKiSB_SB_iPKfiiiPfSE_PS4_PT2_iSD_SD_
; %bb.0:
	s_load_b64 s[2:3], s[0:1], 0x30
	s_mov_b32 s30, s13
	s_waitcnt lgkmcnt(0)
	s_cmp_lg_u64 s[2:3], 0
	s_cselect_b32 s6, -1, 0
	s_ashr_i32 s31, s13, 31
	s_cmp_eq_u64 s[2:3], 0
	s_cbranch_scc1 .LBB707_3
; %bb.1:
	s_lshl_b64 s[4:5], s[30:31], 2
	s_delay_alu instid0(SALU_CYCLE_1) | instskip(SKIP_4) | instid1(SALU_CYCLE_1)
	s_add_u32 s4, s2, s4
	s_addc_u32 s5, s3, s5
	s_load_b64 s[4:5], s[4:5], 0x0
	s_waitcnt lgkmcnt(0)
	s_sub_i32 s4, s5, s4
	s_cmp_eq_u32 s4, 1
	s_cselect_b32 s4, -1, 0
	s_delay_alu instid0(SALU_CYCLE_1)
	s_and_not1_b32 vcc_lo, exec_lo, s4
	s_cbranch_vccz .LBB707_4
.LBB707_2:
	s_endpgm
.LBB707_3:
.LBB707_4:
	s_load_b64 s[8:9], s[0:1], 0x28
	s_lshl_b64 s[4:5], s[30:31], 2
	s_waitcnt lgkmcnt(0)
	s_add_u32 s8, s8, s4
	s_addc_u32 s9, s9, s5
	s_lshl_b32 s16, s14, 8
	s_load_b32 s18, s[8:9], 0x0
	s_waitcnt lgkmcnt(0)
	s_cmp_ge_i32 s16, s18
	s_cbranch_scc1 .LBB707_2
; %bb.5:
	s_and_not1_b32 vcc_lo, exec_lo, s6
	s_cbranch_vccnz .LBB707_7
; %bb.6:
	s_add_u32 s2, s2, s4
	s_addc_u32 s3, s3, s5
	s_load_b32 s3, s[2:3], 0x0
	s_branch .LBB707_8
.LBB707_7:
	s_mov_b32 s3, s30
.LBB707_8:
	s_clause 0x2
	s_load_b128 s[8:11], s[0:1], 0x8
	s_load_b64 s[12:13], s[0:1], 0x20
	s_load_b128 s[4:7], s[0:1], 0x48
	v_and_b32_e32 v73, 15, v0
	v_bfe_u32 v86, v0, 4, 1
	v_cmp_gt_u32_e64 s2, 32, v0
	s_lshl_b32 s31, s15, 1
	s_waitcnt lgkmcnt(0)
	s_mov_b32 s7, exec_lo
	v_lshlrev_b32_e32 v1, 3, v73
	v_cmpx_lt_u32_e32 31, v0
	s_xor_b32 s7, exec_lo, s7
; %bb.9:
	v_mov_b32_e32 v2, 0
; %bb.10:
	s_or_saveexec_b32 s7, s7
	v_and_b32_e32 v74, 31, v0
	v_and_b32_e32 v85, 1, v0
	v_or_b32_e32 v84, s31, v86
	v_lshlrev_b32_e32 v83, 6, v86
	s_xor_b32 exec_lo, exec_lo, s7
	s_cbranch_execz .LBB707_12
; %bb.11:
	s_load_b64 s[20:21], s[0:1], 0x0
	v_lshlrev_b32_e32 v2, 7, v84
	s_mul_hi_i32 s23, s3, s4
	s_mul_i32 s22, s3, s4
	v_lshlrev_b32_e32 v4, 1, v1
	s_lshl_b64 s[22:23], s[22:23], 1
	v_ashrrev_i32_e32 v3, 31, v2
	v_lshlrev_b32_e32 v7, 10, v85
	s_delay_alu instid0(VALU_DEP_2) | instskip(SKIP_3) | instid1(VALU_DEP_1)
	v_lshlrev_b64 v[2:3], 1, v[2:3]
	s_waitcnt lgkmcnt(0)
	s_add_u32 s3, s20, s22
	s_addc_u32 s4, s21, s23
	v_add_co_u32 v2, vcc_lo, s3, v2
	s_delay_alu instid0(VALU_DEP_2) | instskip(NEXT) | instid1(VALU_DEP_2)
	v_add_co_ci_u32_e32 v3, vcc_lo, s4, v3, vcc_lo
	v_add_co_u32 v2, vcc_lo, v2, v4
	s_delay_alu instid0(VALU_DEP_2) | instskip(SKIP_2) | instid1(VALU_DEP_1)
	v_add_co_ci_u32_e32 v3, vcc_lo, 0, v3, vcc_lo
	global_load_b128 v[3:6], v[2:3], off
	v_lshlrev_b32_e32 v2, 10, v73
	v_and_b32_e32 v2, 0x3800, v2
	s_delay_alu instid0(VALU_DEP_1)
	v_or3_b32 v7, v2, v7, v83
	v_mov_b32_e32 v2, 0
	s_waitcnt vmcnt(0)
	ds_store_b128 v7, v[3:6]
.LBB707_12:
	s_or_b32 exec_lo, exec_lo, s7
	v_and_b32_e32 v3, 0xef, v0
	s_add_i32 s3, s18, 31
	s_clause 0x1
	s_load_b32 s4, s[0:1], 0x38
	s_load_b32 s19, s[0:1], 0x1c
	s_ashr_i32 s7, s3, 31
	v_add_nc_u32_e32 v3, s16, v3
	s_lshr_b32 s7, s7, 27
	s_waitcnt lgkmcnt(0)
	s_add_i32 s3, s3, s7
	s_barrier
	v_ashrrev_i32_e32 v4, 31, v3
	v_cmp_gt_i32_e32 vcc_lo, s18, v3
	s_ashr_i32 s3, s3, 5
	buffer_gl0_inv
	s_add_i32 s3, s3, -1
	v_lshrrev_b32_e32 v5, 27, v4
	v_or_b32_e32 v4, 16, v3
	s_mul_i32 s6, s15, s6
	v_lshlrev_b64 v[81:82], 1, v[1:2]
	v_lshlrev_b32_e32 v80, 6, v85
	v_add_nc_u32_e32 v6, v3, v5
	v_add_nc_u32_e32 v5, v4, v5
	s_mul_i32 s20, s30, s4
	s_delay_alu instid0(SALU_CYCLE_1) | instskip(NEXT) | instid1(VALU_DEP_2)
	s_ashr_i32 s21, s20, 31
	v_ashrrev_i32_e32 v6, 5, v6
	s_delay_alu instid0(VALU_DEP_2) | instskip(SKIP_1) | instid1(SALU_CYCLE_1)
	v_ashrrev_i32_e32 v5, 5, v5
	s_lshl_b64 s[20:21], s[20:21], 2
	s_add_u32 s4, s12, s20
	s_delay_alu instid0(VALU_DEP_2) | instskip(SKIP_3) | instid1(SALU_CYCLE_1)
	v_cndmask_b32_e32 v3, s3, v6, vcc_lo
	v_cmp_gt_i32_e32 vcc_lo, s18, v4
	s_addc_u32 s17, s13, s21
	s_ashr_i32 s7, s6, 31
	s_lshl_b64 s[6:7], s[6:7], 1
	v_cndmask_b32_e32 v5, s3, v5, vcc_lo
	v_ashrrev_i32_e32 v4, 31, v3
	s_add_u32 s15, s8, s6
	s_addc_u32 s28, s9, s7
	s_lshl_b32 s8, s14, 3
	v_ashrrev_i32_e32 v6, 31, v5
	v_lshlrev_b64 v[3:4], 2, v[3:4]
	s_ashr_i32 s9, s8, 31
	s_delay_alu instid0(SALU_CYCLE_1) | instskip(NEXT) | instid1(VALU_DEP_2)
	s_lshl_b64 s[8:9], s[8:9], 2
	v_lshlrev_b64 v[5:6], 2, v[5:6]
	s_add_u32 s8, s4, s8
	s_delay_alu instid0(VALU_DEP_2) | instskip(SKIP_1) | instid1(VALU_DEP_3)
	v_add_co_u32 v3, vcc_lo, s4, v3
	v_add_co_ci_u32_e32 v4, vcc_lo, s17, v4, vcc_lo
	v_add_co_u32 v5, vcc_lo, s4, v5
	s_delay_alu instid0(VALU_DEP_4)
	v_add_co_ci_u32_e32 v6, vcc_lo, s17, v6, vcc_lo
	s_addc_u32 s9, s17, s9
	s_clause 0x1
	global_load_b32 v7, v[3:4], off
	global_load_b32 v8, v[5:6], off
	s_or_b32 s12, s16, 32
	s_delay_alu instid0(SALU_CYCLE_1) | instskip(SKIP_2) | instid1(SALU_CYCLE_1)
	s_ashr_i32 s13, s12, 5
	s_cmp_lt_i32 s12, s18
	s_cselect_b32 s12, s13, s3
	s_ashr_i32 s13, s12, 31
	s_delay_alu instid0(SALU_CYCLE_1) | instskip(NEXT) | instid1(SALU_CYCLE_1)
	s_lshl_b64 s[12:13], s[12:13], 2
	s_add_u32 s12, s4, s12
	s_addc_u32 s13, s17, s13
	s_or_b32 s20, s16, 64
	s_delay_alu instid0(SALU_CYCLE_1) | instskip(SKIP_2) | instid1(SALU_CYCLE_1)
	s_ashr_i32 s21, s20, 5
	s_cmp_lt_i32 s20, s18
	s_cselect_b32 s20, s21, s3
	s_ashr_i32 s21, s20, 31
	s_delay_alu instid0(SALU_CYCLE_1) | instskip(NEXT) | instid1(SALU_CYCLE_1)
	s_lshl_b64 s[20:21], s[20:21], 2
	s_add_u32 s20, s4, s20
	s_addc_u32 s21, s17, s21
	;; [unrolled: 10-line block ×5, first 2 shown]
	s_clause 0x5
	s_load_b32 s29, s[8:9], 0x0
	s_load_b32 s33, s[12:13], 0x0
	;; [unrolled: 1-line block ×6, first 2 shown]
	s_mov_b32 s20, 0
	s_or_b32 s8, s16, 0xc0
	s_mov_b32 s27, s20
	s_mov_b32 s21, s20
	;; [unrolled: 1-line block ×7, first 2 shown]
	s_delay_alu instid0(SALU_CYCLE_1)
	v_dual_mov_b32 v110, s27 :: v_dual_mov_b32 v109, s26
	v_dual_mov_b32 v108, s25 :: v_dual_mov_b32 v107, s24
	v_mov_b32_e32 v104, s21
	v_dual_mov_b32 v106, s23 :: v_dual_mov_b32 v105, s22
	v_mov_b32_e32 v103, s20
	s_ashr_i32 s9, s8, 5
	s_cmp_lt_i32 s8, s18
	s_waitcnt lgkmcnt(0)
	s_mul_hi_i32 s13, s29, s5
	s_cselect_b32 s8, s9, s3
	s_mul_i32 s12, s29, s5
	s_ashr_i32 s9, s8, 31
	s_mul_hi_i32 s21, s33, s5
	s_lshl_b64 s[8:9], s[8:9], 2
	s_mul_i32 s20, s33, s5
	s_add_u32 s8, s4, s8
	s_addc_u32 s9, s17, s9
	s_mul_hi_i32 s25, s34, s5
	s_mul_i32 s24, s34, s5
	s_mul_hi_i32 s27, s35, s5
	s_mul_i32 s26, s35, s5
	;; [unrolled: 2-line block ×3, first 2 shown]
	s_waitcnt vmcnt(1)
	v_mad_i64_i32 v[3:4], null, v7, s5, 0
	s_waitcnt vmcnt(0)
	v_mad_i64_i32 v[5:6], null, v8, s5, 0
	s_delay_alu instid0(VALU_DEP_2) | instskip(NEXT) | instid1(VALU_DEP_2)
	v_lshlrev_b64 v[3:4], 1, v[3:4]
	v_lshlrev_b64 v[1:2], 1, v[5:6]
	s_delay_alu instid0(VALU_DEP_2) | instskip(NEXT) | instid1(VALU_DEP_3)
	v_add_co_u32 v3, vcc_lo, s15, v3
	v_add_co_ci_u32_e32 v4, vcc_lo, s28, v4, vcc_lo
	s_delay_alu instid0(VALU_DEP_3) | instskip(NEXT) | instid1(VALU_DEP_4)
	v_add_co_u32 v1, vcc_lo, s15, v1
	v_add_co_ci_u32_e32 v2, vcc_lo, s28, v2, vcc_lo
	s_delay_alu instid0(VALU_DEP_4) | instskip(NEXT) | instid1(VALU_DEP_4)
	v_add_co_u32 v65, vcc_lo, v3, v81
	v_add_co_ci_u32_e32 v66, vcc_lo, v4, v82, vcc_lo
	s_delay_alu instid0(VALU_DEP_4) | instskip(NEXT) | instid1(VALU_DEP_4)
	v_add_co_u32 v75, vcc_lo, v1, v81
	v_add_co_ci_u32_e32 v76, vcc_lo, v2, v82, vcc_lo
	s_clause 0xf
	global_load_b128 v[1:4], v[65:66], off
	global_load_b128 v[5:8], v[65:66], off offset:512
	global_load_b128 v[9:12], v[75:76], off offset:256
	;; [unrolled: 1-line block ×15, first 2 shown]
	v_add_co_u32 v77, vcc_lo, 0x1000, v65
	v_add_co_ci_u32_e32 v78, vcc_lo, 0, v66, vcc_lo
	v_add_co_u32 v75, vcc_lo, 0x1000, v75
	s_clause 0x1
	global_load_b128 v[65:68], v[77:78], off
	global_load_b128 v[69:72], v[77:78], off offset:512
	ds_load_b128 v[87:90], v80
	ds_load_b128 v[91:94], v80 offset:1024
	v_add_co_ci_u32_e32 v76, vcc_lo, 0, v76, vcc_lo
	s_clause 0x1
	global_load_b128 v[95:98], v[75:76], off offset:256
	global_load_b128 v[99:102], v[75:76], off offset:768
	ds_load_b128 v[111:114], v80 offset:2048
	ds_load_b128 v[115:118], v80 offset:3072
	s_or_b32 s15, s16, 0xe0
	s_delay_alu instid0(SALU_CYCLE_1) | instskip(SKIP_2) | instid1(SALU_CYCLE_1)
	s_ashr_i32 s22, s15, 5
	s_cmp_lt_i32 s15, s18
	s_cselect_b32 s22, s22, s3
	s_ashr_i32 s23, s22, 31
	s_delay_alu instid0(SALU_CYCLE_1) | instskip(NEXT) | instid1(SALU_CYCLE_1)
	s_lshl_b64 s[22:23], s[22:23], 2
	s_add_u32 s22, s4, s22
	s_addc_u32 s23, s17, s23
	s_add_i32 s15, s16, 0x100
	s_delay_alu instid0(SALU_CYCLE_1) | instskip(SKIP_2) | instid1(SALU_CYCLE_1)
	s_ashr_i32 s28, s15, 5
	s_cmp_lt_i32 s15, s18
	s_cselect_b32 s28, s28, s3
	s_ashr_i32 s29, s28, 31
	s_delay_alu instid0(SALU_CYCLE_1) | instskip(NEXT) | instid1(SALU_CYCLE_1)
	s_lshl_b64 s[28:29], s[28:29], 2
	s_add_u32 s28, s4, s28
	s_addc_u32 s29, s17, s29
	s_add_u32 s3, s10, s6
	s_waitcnt vmcnt(18) lgkmcnt(2)
	v_wmma_f32_16x16x16_bf16 v[119:126], v[1:8], v[87:94], v[103:110]
	s_waitcnt vmcnt(16)
	v_wmma_f32_16x16x16_bf16 v[103:110], v[9:16], v[87:94], v[103:110]
	s_clause 0x3
	global_load_b128 v[1:4], v[77:78], off offset:1024
	global_load_b128 v[5:8], v[77:78], off offset:1536
	;; [unrolled: 1-line block ×4, first 2 shown]
	s_waitcnt vmcnt(18) lgkmcnt(0)
	v_wmma_f32_16x16x16_bf16 v[119:126], v[17:24], v[111:118], v[119:126]
	s_clause 0x1
	global_load_b128 v[17:20], v[77:78], off offset:2048
	global_load_b128 v[21:24], v[77:78], off offset:2560
	s_waitcnt vmcnt(18)
	v_wmma_f32_16x16x16_bf16 v[103:110], v[25:32], v[111:118], v[103:110]
	s_clause 0x1
	global_load_b128 v[25:28], v[75:76], off offset:2304
	global_load_b128 v[29:32], v[75:76], off offset:2816
	ds_load_b128 v[87:90], v80 offset:4096
	ds_load_b128 v[91:94], v80 offset:5120
	s_clause 0x3
	global_load_b128 v[111:114], v[77:78], off offset:3072
	global_load_b128 v[115:118], v[77:78], off offset:3584
	;; [unrolled: 1-line block ×4, first 2 shown]
	v_lshrrev_b32_e32 v75, 5, v0
	s_waitcnt vmcnt(22) lgkmcnt(0)
	v_wmma_f32_16x16x16_bf16 v[119:126], v[33:40], v[87:94], v[119:126]
	ds_load_b128 v[33:36], v80 offset:6144
	ds_load_b128 v[37:40], v80 offset:7168
	s_waitcnt vmcnt(20)
	v_wmma_f32_16x16x16_bf16 v[103:110], v[41:48], v[87:94], v[103:110]
	v_lshlrev_b32_e32 v87, 6, v73
	ds_load_b128 v[41:44], v80 offset:8192
	ds_load_b128 v[45:48], v80 offset:9216
	s_waitcnt vmcnt(18) lgkmcnt(2)
	v_wmma_f32_16x16x16_bf16 v[119:126], v[49:56], v[33:40], v[119:126]
	v_lshl_or_b32 v49, v75, 10, v87
	s_waitcnt vmcnt(16)
	v_wmma_f32_16x16x16_bf16 v[103:110], v[57:64], v[33:40], v[103:110]
	ds_load_b128 v[33:36], v80 offset:10240
	ds_load_b128 v[37:40], v80 offset:11264
	;; [unrolled: 1-line block ×4, first 2 shown]
	s_clause 0x2
	s_load_b32 s15, s[8:9], 0x0
	s_load_b32 s4, s[22:23], 0x0
	;; [unrolled: 1-line block ×3, first 2 shown]
	s_addc_u32 s28, s11, s7
	v_add_co_u32 v143, s3, s3, v49
	s_delay_alu instid0(VALU_DEP_1) | instskip(SKIP_2) | instid1(VALU_DEP_2)
	v_add_co_ci_u32_e64 v144, null, s28, 0, s3
	s_lshl_b64 s[6:7], s[12:13], 1
	s_lshl_b64 s[10:11], s[20:21], 1
	v_add_co_u32 v49, vcc_lo, v143, s6
	s_delay_alu instid0(VALU_DEP_2)
	v_add_co_ci_u32_e32 v50, vcc_lo, s7, v144, vcc_lo
	v_add_co_u32 v51, vcc_lo, v143, s10
	s_lshl_b64 s[12:13], s[24:25], 1
	v_add_co_ci_u32_e32 v52, vcc_lo, s11, v144, vcc_lo
	v_add_co_u32 v53, vcc_lo, v143, s12
	s_lshl_b64 s[20:21], s[26:27], 1
	s_mul_hi_i32 s9, s36, s5
	s_mul_i32 s8, s36, s5
	v_add_co_ci_u32_e32 v54, vcc_lo, s13, v144, vcc_lo
	v_add_co_u32 v76, vcc_lo, v143, s20
	s_lshl_b64 s[8:9], s[8:9], 1
	v_add_co_ci_u32_e32 v77, vcc_lo, s21, v144, vcc_lo
	v_add_co_u32 v78, vcc_lo, v143, s8
	s_lshl_b64 s[22:23], s[34:35], 1
	s_waitcnt lgkmcnt(0)
	s_mul_hi_i32 s25, s15, s5
	s_mul_i32 s24, s15, s5
	v_add_co_ci_u32_e32 v79, vcc_lo, s9, v144, vcc_lo
	v_add_co_u32 v88, vcc_lo, v143, s22
	s_lshl_b64 s[24:25], s[24:25], 1
	s_waitcnt vmcnt(12)
	v_wmma_f32_16x16x16_bf16 v[103:110], v[95:102], v[41:48], v[103:110]
	v_wmma_f32_16x16x16_bf16 v[119:126], v[65:72], v[41:48], v[119:126]
	v_add_co_ci_u32_e32 v89, vcc_lo, s23, v144, vcc_lo
	s_mul_hi_i32 s7, s4, s5
	s_mul_i32 s6, s4, s5
	v_add_co_u32 v90, vcc_lo, v143, s24
	s_lshl_b64 s[6:7], s[6:7], 1
	v_add_co_ci_u32_e32 v91, vcc_lo, s25, v144, vcc_lo
	s_clause 0x5
	global_load_b128 v[65:68], v[49:50], off
	global_load_b128 v[69:72], v[49:50], off offset:16
	global_load_b128 v[57:60], v[51:52], off
	global_load_b128 v[61:64], v[51:52], off offset:16
	;; [unrolled: 2-line block ×3, first 2 shown]
	s_waitcnt vmcnt(16)
	v_wmma_f32_16x16x16_bf16 v[119:126], v[1:8], v[33:40], v[119:126]
	s_waitcnt vmcnt(14)
	v_wmma_f32_16x16x16_bf16 v[103:110], v[9:16], v[33:40], v[103:110]
	s_clause 0x3
	global_load_b128 v[41:44], v[76:77], off
	global_load_b128 v[45:48], v[76:77], off offset:16
	global_load_b128 v[9:12], v[78:79], off
	global_load_b128 v[13:16], v[78:79], off offset:16
	v_add_co_u32 v76, vcc_lo, v143, s6
	v_add_co_ci_u32_e32 v77, vcc_lo, s7, v144, vcc_lo
	s_mul_hi_i32 s7, s17, s5
	s_mul_i32 s6, s17, s5
	s_waitcnt vmcnt(16)
	v_wmma_f32_16x16x16_bf16 v[119:126], v[17:24], v[135:142], v[119:126]
	s_lshl_b64 s[4:5], s[6:7], 1
	s_clause 0x1
	global_load_b128 v[1:4], v[88:89], off
	global_load_b128 v[5:8], v[88:89], off offset:16
	v_add_co_u32 v21, vcc_lo, v143, s4
	v_add_co_ci_u32_e32 v22, vcc_lo, s5, v144, vcc_lo
	s_waitcnt vmcnt(16)
	v_wmma_f32_16x16x16_bf16 v[103:110], v[25:32], v[135:142], v[103:110]
	s_clause 0x3
	global_load_b128 v[33:36], v[90:91], off
	global_load_b128 v[37:40], v[90:91], off offset:16
	global_load_b128 v[25:28], v[76:77], off
	global_load_b128 v[29:32], v[76:77], off offset:16
	ds_load_b128 v[88:91], v80 offset:14336
	ds_load_b128 v[92:95], v80 offset:15360
	s_clause 0x1
	global_load_b128 v[17:20], v[21:22], off
	global_load_b128 v[21:24], v[21:22], off offset:16
	v_and_b32_e32 v76, 0xe0, v0
	v_mbcnt_lo_u32_b32 v77, -1, 0
	s_waitcnt vmcnt(0) lgkmcnt(0)
	s_barrier
	buffer_gl0_inv
	v_add_nc_u32_e32 v76, s16, v76
	v_xor_b32_e32 v78, 16, v77
	s_delay_alu instid0(VALU_DEP_2) | instskip(NEXT) | instid1(VALU_DEP_2)
	v_or_b32_e32 v76, v76, v86
	v_cmp_gt_i32_e32 vcc_lo, 32, v78
	s_delay_alu instid0(VALU_DEP_2)
	v_or_b32_e32 v79, 4, v76
	v_or_b32_e32 v80, 6, v76
	;; [unrolled: 1-line block ×3, first 2 shown]
	v_wmma_f32_16x16x16_bf16 v[119:126], v[111:118], v[88:95], v[119:126]
	v_cndmask_b32_e32 v77, v77, v78, vcc_lo
	v_or_b32_e32 v78, 2, v76
	v_cmp_gt_i32_e32 vcc_lo, s18, v76
	v_wmma_f32_16x16x16_bf16 v[103:110], v[127:134], v[88:95], v[103:110]
	v_mul_f32_e32 v100, s19, v120
	v_mul_f32_e32 v98, s19, v119
	v_cmp_gt_i32_e64 s3, s18, v78
	v_or_b32_e32 v88, 8, v76
	v_or_b32_e32 v89, 10, v76
	;; [unrolled: 1-line block ×11, first 2 shown]
	v_cndmask_b32_e32 v76, 0xff7fffff, v98, vcc_lo
	v_cndmask_b32_e64 v78, 0xff7fffff, v100, s3
	v_mul_f32_e32 v100, s19, v122
	v_cmp_gt_i32_e64 s4, s18, v80
	v_mul_f32_e32 v80, s19, v121
	v_cmp_gt_i32_e64 s5, s18, v79
	v_dual_mul_f32 v98, s19, v126 :: v_dual_mul_f32 v79, s19, v124
	v_cmp_gt_i32_e64 s6, s18, v88
	v_cmp_gt_i32_e64 s7, s18, v89
	s_delay_alu instid0(VALU_DEP_4)
	v_cndmask_b32_e64 v80, 0xff7fffff, v80, s5
	v_mul_f32_e32 v89, s19, v109
	v_cndmask_b32_e64 v100, 0xff7fffff, v100, s4
	v_cmp_gt_i32_e64 s8, s18, v91
	v_cmp_gt_i32_e64 s9, s18, v90
	v_cmp_gt_i32_e64 s10, s18, v92
	v_cmp_gt_i32_e64 s11, s18, v93
	v_cmp_gt_i32_e64 s12, s18, v94
	v_cmp_gt_i32_e64 s13, s18, v95
	v_cmp_gt_i32_e64 s15, s18, v96
	v_cmp_gt_i32_e64 s16, s18, v97
	v_cmp_gt_i32_e64 s17, s18, v99
	v_cmp_gt_i32_e64 s18, s18, v101
	v_lshlrev_b32_e32 v101, 2, v77
	v_max3_f32 v76, v76, 0xff7fffff, v78
	v_dual_mul_f32 v78, s19, v123 :: v_dual_mul_f32 v91, s19, v104
	v_cndmask_b32_e64 v79, 0xff7fffff, v79, s7
	v_mul_f32_e32 v90, s19, v103
	s_delay_alu instid0(VALU_DEP_4) | instskip(NEXT) | instid1(VALU_DEP_4)
	v_max3_f32 v76, v76, v80, v100
	v_cndmask_b32_e64 v78, 0xff7fffff, v78, s6
	v_mul_f32_e32 v80, s19, v125
	v_cndmask_b32_e64 v98, 0xff7fffff, v98, s8
	v_mul_f32_e32 v92, s19, v105
	v_cndmask_b32_e64 v90, 0xff7fffff, v90, s10
	v_max3_f32 v76, v76, v78, v79
	v_cndmask_b32_e64 v80, 0xff7fffff, v80, s9
	v_mul_f32_e32 v79, s19, v106
	v_cndmask_b32_e64 v91, 0xff7fffff, v91, s11
	v_mul_f32_e32 v100, s19, v108
	v_mul_f32_e32 v78, s19, v107
	v_max3_f32 v76, v76, v80, v98
	v_cndmask_b32_e64 v80, 0xff7fffff, v92, s12
	v_cndmask_b32_e64 v79, 0xff7fffff, v79, s13
	v_mul_f32_e32 v88, s19, v110
	v_cndmask_b32_e64 v78, 0xff7fffff, v78, s15
	v_max3_f32 v76, v76, v90, v91
	v_cndmask_b32_e64 v90, 0xff7fffff, v100, s16
	s_delay_alu instid0(VALU_DEP_2) | instskip(SKIP_2) | instid1(VALU_DEP_3)
	v_max3_f32 v76, v76, v80, v79
	v_cndmask_b32_e64 v79, 0xff7fffff, v89, s17
	v_cndmask_b32_e64 v80, 0xff7fffff, v88, s18
	v_max3_f32 v76, v76, v78, v90
	s_delay_alu instid0(VALU_DEP_1) | instskip(SKIP_3) | instid1(VALU_DEP_1)
	v_max3_f32 v76, v76, v79, v80
	ds_bpermute_b32 v77, v101, v76
	s_waitcnt lgkmcnt(0)
	v_max_f32_e32 v77, v77, v77
	v_max_f32_e32 v91, v76, v77
	s_delay_alu instid0(VALU_DEP_1) | instskip(SKIP_4) | instid1(VALU_DEP_4)
	v_fma_f32 v76, s19, v119, -v91
	v_fma_f32 v77, s19, v120, -v91
	;; [unrolled: 1-line block ×5, first 2 shown]
	v_dual_mul_f32 v76, 0x3fb8aa3b, v76 :: v_dual_mul_f32 v77, 0x3fb8aa3b, v77
	s_delay_alu instid0(VALU_DEP_4) | instskip(SKIP_2) | instid1(VALU_DEP_4)
	v_mul_f32_e32 v79, 0x3fb8aa3b, v79
	v_fma_f32 v88, s19, v125, -v91
	v_fma_f32 v89, s19, v107, -v91
	v_exp_f32_e32 v76, v76
	v_exp_f32_e32 v77, v77
	;; [unrolled: 1-line block ×3, first 2 shown]
	s_delay_alu instid0(VALU_DEP_1) | instskip(SKIP_2) | instid1(VALU_DEP_3)
	v_dual_mul_f32 v88, 0x3fb8aa3b, v88 :: v_dual_mul_f32 v89, 0x3fb8aa3b, v89
	v_fma_f32 v100, s19, v109, -v91
	v_fma_f32 v102, s19, v110, -v91
	v_exp_f32_e32 v88, v88
	s_delay_alu instid0(VALU_DEP_3) | instskip(SKIP_3) | instid1(TRANS32_DEP_3)
	v_exp_f32_e32 v89, v89
	v_cndmask_b32_e32 v93, 0, v76, vcc_lo
	v_cndmask_b32_e64 v92, 0, v77, s3
	v_fma_f32 v76, s19, v124, -v91
	v_cndmask_b32_e64 v96, 0, v79, s4
	v_fma_f32 v79, s19, v103, -v91
	v_dual_add_f32 v77, 0, v93 :: v_dual_mul_f32 v78, 0x3fb8aa3b, v78
	v_mul_f32_e32 v80, 0x3fb8aa3b, v80
	s_delay_alu instid0(VALU_DEP_3) | instskip(NEXT) | instid1(VALU_DEP_3)
	v_dual_mul_f32 v76, 0x3fb8aa3b, v76 :: v_dual_mul_f32 v79, 0x3fb8aa3b, v79
	v_add_f32_e32 v77, v77, v92
	s_delay_alu instid0(VALU_DEP_4) | instskip(NEXT) | instid1(VALU_DEP_3)
	v_exp_f32_e32 v78, v78
	v_exp_f32_e32 v80, v80
	s_delay_alu instid0(VALU_DEP_2)
	v_exp_f32_e32 v76, v76
	v_exp_f32_e32 v79, v79
	v_cndmask_b32_e64 v95, 0, v88, s9
	v_fma_f32 v88, s19, v106, -v91
	v_mul_f32_e32 v102, 0x3fb8aa3b, v102
	s_mov_b32 s3, exec_lo
	v_cndmask_b32_e64 v94, 0, v78, s5
	v_fma_f32 v78, s19, v126, -v91
	s_delay_alu instid0(TRANS32_DEP_3)
	v_cndmask_b32_e64 v97, 0, v80, s6
	v_fma_f32 v80, s19, v104, -v91
	v_cndmask_b32_e64 v98, 0, v76, s7
	v_add_f32_e32 v77, v77, v94
	v_mul_f32_e32 v78, 0x3fb8aa3b, v78
	v_mul_f32_e32 v88, 0x3fb8aa3b, v88
	;; [unrolled: 1-line block ×3, first 2 shown]
	v_exp_f32_e32 v102, v102
	v_add_f32_e32 v77, v77, v96
	v_exp_f32_e32 v78, v78
	v_exp_f32_e32 v88, v88
	;; [unrolled: 1-line block ×3, first 2 shown]
	s_delay_alu instid0(VALU_DEP_1) | instskip(SKIP_1) | instid1(VALU_DEP_1)
	v_add_f32_e32 v76, v77, v97
	v_fma_f32 v77, s19, v105, -v91
	v_dual_add_f32 v76, v76, v98 :: v_dual_mul_f32 v77, 0x3fb8aa3b, v77
	s_delay_alu instid0(TRANS32_DEP_3) | instskip(NEXT) | instid1(VALU_DEP_2)
	v_cndmask_b32_e64 v99, 0, v78, s8
	v_add_f32_e32 v78, v76, v95
	s_delay_alu instid0(VALU_DEP_3) | instskip(SKIP_2) | instid1(TRANS32_DEP_2)
	v_exp_f32_e32 v90, v77
	v_cndmask_b32_e64 v76, 0, v79, s10
	v_fma_f32 v79, s19, v108, -v91
	v_cndmask_b32_e64 v77, 0, v80, s11
	v_add_f32_e32 v78, v78, v99
	s_delay_alu instid0(VALU_DEP_1)
	v_dual_mul_f32 v79, 0x3fb8aa3b, v79 :: v_dual_add_f32 v80, v78, v76
	s_waitcnt_depctr 0xfff
	v_cndmask_b32_e64 v78, 0, v90, s12
	v_mul_f32_e32 v90, 0x3fb8aa3b, v100
	v_exp_f32_e32 v100, v79
	v_cndmask_b32_e64 v79, 0, v88, s13
	v_add_f32_e32 v80, v80, v77
	s_delay_alu instid0(VALU_DEP_3) | instskip(NEXT) | instid1(VALU_DEP_1)
	v_exp_f32_e32 v90, v90
	v_add_f32_e32 v88, v80, v78
	v_cndmask_b32_e64 v80, 0, v89, s15
	s_delay_alu instid0(VALU_DEP_2) | instskip(NEXT) | instid1(TRANS32_DEP_2)
	v_add_f32_e32 v89, v88, v79
	v_cndmask_b32_e64 v88, 0, v100, s16
	s_delay_alu instid0(VALU_DEP_2) | instskip(SKIP_3) | instid1(VALU_DEP_1)
	v_add_f32_e32 v100, v89, v80
	s_waitcnt_depctr 0xfff
	v_cndmask_b32_e64 v89, 0, v90, s17
	v_add_f32_e32 v90, v100, v88
	v_add_f32_e32 v100, v90, v89
	v_cndmask_b32_e64 v90, 0, v102, s18
	s_delay_alu instid0(VALU_DEP_1)
	v_add_f32_e32 v100, v100, v90
	ds_bpermute_b32 v101, v101, v100
	v_cmpx_gt_u32_e32 16, v74
	s_cbranch_execz .LBB707_14
; %bb.13:
	v_mul_u32_u24_e32 v74, 0x44, v75
	s_waitcnt lgkmcnt(0)
	v_add_f32_e32 v100, v100, v101
	s_delay_alu instid0(VALU_DEP_2) | instskip(NEXT) | instid1(VALU_DEP_1)
	v_lshl_add_u32 v74, v73, 2, v74
	v_add_nc_u32_e32 v74, 0x4000, v74
	ds_store_2addr_b32 v74, v91, v100 offset1:136
.LBB707_14:
	s_or_b32 exec_lo, exec_lo, s3
	v_lshlrev_b32_e32 v73, 2, v73
	s_waitcnt lgkmcnt(0)
	s_barrier
	buffer_gl0_inv
	v_cmp_eq_u32_e64 s3, 1, v75
	v_add_nc_u32_e32 v91, 0x4000, v73
	ds_load_2addr_b32 v[100:101], v91 offset1:17
	ds_load_2addr_b32 v[102:103], v91 offset0:34 offset1:51
	ds_load_2addr_b32 v[104:105], v91 offset0:68 offset1:85
	;; [unrolled: 1-line block ×4, first 2 shown]
	s_waitcnt lgkmcnt(4)
	v_max3_f32 v73, v100, 0xff7fffff, v101
	s_waitcnt lgkmcnt(3)
	s_delay_alu instid0(VALU_DEP_1) | instskip(SKIP_1) | instid1(VALU_DEP_1)
	v_max3_f32 v73, v73, v102, v103
	s_waitcnt lgkmcnt(2)
	v_max3_f32 v73, v73, v104, v105
	s_waitcnt lgkmcnt(1)
	s_delay_alu instid0(VALU_DEP_1) | instskip(NEXT) | instid1(VALU_DEP_1)
	v_max3_f32 v73, v73, v106, v107
	v_sub_f32_e32 v74, v100, v73
	v_sub_f32_e32 v102, v102, v73
	;; [unrolled: 1-line block ×3, first 2 shown]
	s_delay_alu instid0(VALU_DEP_3) | instskip(NEXT) | instid1(VALU_DEP_3)
	v_mul_f32_e32 v74, 0x3fb8aa3b, v74
	v_mul_f32_e32 v112, 0x3fb8aa3b, v102
	s_delay_alu instid0(VALU_DEP_3) | instskip(NEXT) | instid1(VALU_DEP_3)
	v_mul_f32_e32 v114, 0x3fb8aa3b, v104
	v_exp_f32_e32 v111, v74
	v_sub_f32_e32 v74, v103, v73
	v_sub_f32_e32 v110, v101, v73
	ds_load_2addr_b32 v[100:101], v91 offset0:170 offset1:187
	v_exp_f32_e32 v112, v112
	v_mul_f32_e32 v113, 0x3fb8aa3b, v74
	v_mul_f32_e32 v110, 0x3fb8aa3b, v110
	s_waitcnt lgkmcnt(1)
	v_fma_f32 v74, v111, v108, 0
	v_sub_f32_e32 v108, v105, v73
	s_delay_alu instid0(VALU_DEP_3) | instskip(SKIP_4) | instid1(VALU_DEP_1)
	v_exp_f32_e32 v110, v110
	v_exp_f32_e32 v113, v113
	s_waitcnt_depctr 0xfff
	v_fmac_f32_e32 v74, v110, v109
	s_waitcnt lgkmcnt(0)
	v_fmac_f32_e32 v74, v112, v100
	ds_load_2addr_b32 v[102:103], v91 offset0:204 offset1:221
	ds_load_2addr_b32 v[104:105], v91 offset0:238 offset1:255
	v_dual_sub_f32 v91, v106, v73 :: v_dual_mul_f32 v106, 0x3fb8aa3b, v108
	v_exp_f32_e32 v108, v114
	v_sub_f32_e32 v100, v107, v73
	s_delay_alu instid0(VALU_DEP_2) | instskip(NEXT) | instid1(VALU_DEP_3)
	v_dual_fmac_f32 v74, v113, v101 :: v_dual_mul_f32 v91, 0x3fb8aa3b, v91
	v_exp_f32_e32 v106, v106
	s_waitcnt lgkmcnt(0)
	s_delay_alu instid0(VALU_DEP_2)
	v_mul_f32_e32 v100, 0x3fb8aa3b, v100
	s_barrier
	v_exp_f32_e32 v91, v91
	buffer_gl0_inv
	v_exp_f32_e32 v100, v100
	v_fmac_f32_e32 v74, v108, v102
	s_delay_alu instid0(VALU_DEP_1) | instskip(NEXT) | instid1(VALU_DEP_1)
	v_fmac_f32_e32 v74, v106, v103
	v_fmac_f32_e32 v74, v91, v104
	s_waitcnt_depctr 0xfff
	v_fmac_f32_e32 v74, v100, v105
	s_delay_alu instid0(VALU_DEP_1) | instskip(NEXT) | instid1(VALU_DEP_1)
	v_add_f32_e32 v101, 0x358637bd, v74
	v_div_scale_f32 v102, null, v101, v101, 1.0
	v_div_scale_f32 v105, vcc_lo, 1.0, v101, 1.0
	s_delay_alu instid0(VALU_DEP_2) | instskip(SKIP_2) | instid1(VALU_DEP_1)
	v_rcp_f32_e32 v103, v102
	s_waitcnt_depctr 0xfff
	v_fma_f32 v104, -v102, v103, 1.0
	v_fmac_f32_e32 v103, v104, v103
	v_cndmask_b32_e64 v104, v111, v110, s3
	v_cmp_eq_u32_e64 s3, 2, v75
	s_delay_alu instid0(VALU_DEP_3) | instskip(NEXT) | instid1(VALU_DEP_2)
	v_mul_f32_e32 v107, v105, v103
	v_cndmask_b32_e64 v104, v104, v112, s3
	v_cmp_eq_u32_e64 s3, 3, v75
	s_delay_alu instid0(VALU_DEP_3) | instskip(NEXT) | instid1(VALU_DEP_2)
	v_fma_f32 v109, -v102, v107, v105
	v_cndmask_b32_e64 v104, v104, v113, s3
	v_cmp_eq_u32_e64 s3, 4, v75
	s_delay_alu instid0(VALU_DEP_3) | instskip(NEXT) | instid1(VALU_DEP_2)
	v_fmac_f32_e32 v107, v109, v103
	v_cndmask_b32_e64 v104, v104, v108, s3
	s_delay_alu instid0(VALU_DEP_2) | instskip(SKIP_1) | instid1(VALU_DEP_2)
	v_fma_f32 v102, -v102, v107, v105
	v_cmp_eq_u32_e64 s3, 5, v75
	v_div_fmas_f32 v102, v102, v103, v107
	s_delay_alu instid0(VALU_DEP_2) | instskip(SKIP_2) | instid1(VALU_DEP_3)
	v_cndmask_b32_e64 v104, v104, v106, s3
	v_cmp_eq_u32_e32 vcc_lo, 6, v75
	s_mov_b32 s3, exec_lo
	v_div_fixup_f32 v101, v102, v101, 1.0
	s_delay_alu instid0(VALU_DEP_3) | instskip(SKIP_1) | instid1(VALU_DEP_2)
	v_cndmask_b32_e32 v91, v104, v91, vcc_lo
	v_cmp_eq_u32_e32 vcc_lo, 7, v75
	v_cndmask_b32_e32 v91, v91, v100, vcc_lo
	s_delay_alu instid0(VALU_DEP_1) | instskip(NEXT) | instid1(VALU_DEP_1)
	v_mul_f32_e32 v91, v91, v101
	v_mul_f32_e32 v101, v91, v93
	;; [unrolled: 1-line block ×6, first 2 shown]
	v_dual_mul_f32 v97, v91, v94 :: v_dual_and_b32 v102, 0x7f800000, v101
	v_mul_f32_e32 v100, v91, v96
	v_mul_f32_e32 v96, v91, v92
                                        ; implicit-def: $vgpr92
	s_delay_alu instid0(VALU_DEP_3)
	v_cmpx_ne_u32_e32 0x7f800000, v102
	s_xor_b32 s3, exec_lo, s3
; %bb.15:
	v_bfe_u32 v92, v101, 16, 1
	s_delay_alu instid0(VALU_DEP_1)
	v_add3_u32 v92, v101, v92, 0x7fff
                                        ; implicit-def: $vgpr101
; %bb.16:
	s_and_not1_saveexec_b32 s3, s3
; %bb.17:
	v_and_b32_e32 v92, 0xffff, v101
	v_or_b32_e32 v94, 0x10000, v101
	s_delay_alu instid0(VALU_DEP_2) | instskip(NEXT) | instid1(VALU_DEP_2)
	v_cmp_eq_u32_e32 vcc_lo, 0, v92
	v_cndmask_b32_e32 v92, v94, v101, vcc_lo
; %bb.18:
	s_or_b32 exec_lo, exec_lo, s3
	v_and_b32_e32 v94, 0x7f800000, v96
	s_delay_alu instid0(VALU_DEP_1) | instskip(SKIP_1) | instid1(SALU_CYCLE_1)
	v_cmp_ne_u32_e32 vcc_lo, 0x7f800000, v94
                                        ; implicit-def: $vgpr94
	s_and_saveexec_b32 s3, vcc_lo
	s_xor_b32 s3, exec_lo, s3
; %bb.19:
	v_bfe_u32 v94, v96, 16, 1
	s_delay_alu instid0(VALU_DEP_1)
	v_add3_u32 v94, v96, v94, 0x7fff
                                        ; implicit-def: $vgpr96
; %bb.20:
	s_and_not1_saveexec_b32 s3, s3
; %bb.21:
	v_and_b32_e32 v94, 0xffff, v96
	v_or_b32_e32 v101, 0x10000, v96
	s_delay_alu instid0(VALU_DEP_2) | instskip(NEXT) | instid1(VALU_DEP_2)
	v_cmp_eq_u32_e32 vcc_lo, 0, v94
	v_cndmask_b32_e32 v94, v101, v96, vcc_lo
; %bb.22:
	s_or_b32 exec_lo, exec_lo, s3
	v_and_b32_e32 v96, 0x7f800000, v97
	s_delay_alu instid0(VALU_DEP_1) | instskip(SKIP_1) | instid1(SALU_CYCLE_1)
	v_cmp_ne_u32_e32 vcc_lo, 0x7f800000, v96
                                        ; implicit-def: $vgpr96
	s_and_saveexec_b32 s3, vcc_lo
	s_xor_b32 s3, exec_lo, s3
; %bb.23:
	v_bfe_u32 v96, v97, 16, 1
	s_delay_alu instid0(VALU_DEP_1)
	v_add3_u32 v96, v97, v96, 0x7fff
                                        ; implicit-def: $vgpr97
; %bb.24:
	s_and_not1_saveexec_b32 s3, s3
; %bb.25:
	v_and_b32_e32 v96, 0xffff, v97
	v_or_b32_e32 v101, 0x10000, v97
	s_delay_alu instid0(VALU_DEP_2) | instskip(NEXT) | instid1(VALU_DEP_2)
	v_cmp_eq_u32_e32 vcc_lo, 0, v96
	v_cndmask_b32_e32 v96, v101, v97, vcc_lo
; %bb.26:
	s_or_b32 exec_lo, exec_lo, s3
	v_and_b32_e32 v97, 0x7f800000, v100
	s_delay_alu instid0(VALU_DEP_1) | instskip(SKIP_1) | instid1(SALU_CYCLE_1)
	v_cmp_ne_u32_e32 vcc_lo, 0x7f800000, v97
                                        ; implicit-def: $vgpr97
	s_and_saveexec_b32 s3, vcc_lo
	s_xor_b32 s3, exec_lo, s3
; %bb.27:
	v_bfe_u32 v97, v100, 16, 1
	s_delay_alu instid0(VALU_DEP_1)
	v_add3_u32 v97, v100, v97, 0x7fff
                                        ; implicit-def: $vgpr100
; %bb.28:
	s_and_not1_saveexec_b32 s3, s3
; %bb.29:
	v_and_b32_e32 v97, 0xffff, v100
	v_or_b32_e32 v101, 0x10000, v100
	s_delay_alu instid0(VALU_DEP_2) | instskip(NEXT) | instid1(VALU_DEP_2)
	v_cmp_eq_u32_e32 vcc_lo, 0, v97
	v_cndmask_b32_e32 v97, v101, v100, vcc_lo
; %bb.30:
	s_or_b32 exec_lo, exec_lo, s3
	v_and_b32_e32 v100, 0x7f800000, v99
	s_delay_alu instid0(VALU_DEP_1) | instskip(SKIP_1) | instid1(SALU_CYCLE_1)
	v_cmp_ne_u32_e32 vcc_lo, 0x7f800000, v100
                                        ; implicit-def: $vgpr100
	s_and_saveexec_b32 s3, vcc_lo
	s_xor_b32 s3, exec_lo, s3
; %bb.31:
	v_bfe_u32 v100, v99, 16, 1
	s_delay_alu instid0(VALU_DEP_1)
	v_add3_u32 v100, v99, v100, 0x7fff
                                        ; implicit-def: $vgpr99
; %bb.32:
	s_and_not1_saveexec_b32 s3, s3
; %bb.33:
	v_and_b32_e32 v100, 0xffff, v99
	v_or_b32_e32 v101, 0x10000, v99
	s_delay_alu instid0(VALU_DEP_2) | instskip(NEXT) | instid1(VALU_DEP_2)
	v_cmp_eq_u32_e32 vcc_lo, 0, v100
	v_cndmask_b32_e32 v100, v101, v99, vcc_lo
; %bb.34:
	s_or_b32 exec_lo, exec_lo, s3
	v_and_b32_e32 v99, 0x7f800000, v98
	s_delay_alu instid0(VALU_DEP_1) | instskip(SKIP_1) | instid1(SALU_CYCLE_1)
	v_cmp_ne_u32_e32 vcc_lo, 0x7f800000, v99
                                        ; implicit-def: $vgpr99
	s_and_saveexec_b32 s3, vcc_lo
	s_xor_b32 s3, exec_lo, s3
; %bb.35:
	v_bfe_u32 v99, v98, 16, 1
	s_delay_alu instid0(VALU_DEP_1)
	v_add3_u32 v99, v98, v99, 0x7fff
                                        ; implicit-def: $vgpr98
; %bb.36:
	s_and_not1_saveexec_b32 s3, s3
; %bb.37:
	v_and_b32_e32 v99, 0xffff, v98
	v_or_b32_e32 v101, 0x10000, v98
	s_delay_alu instid0(VALU_DEP_2) | instskip(NEXT) | instid1(VALU_DEP_2)
	v_cmp_eq_u32_e32 vcc_lo, 0, v99
	v_cndmask_b32_e32 v99, v101, v98, vcc_lo
; %bb.38:
	s_or_b32 exec_lo, exec_lo, s3
	v_and_b32_e32 v98, 0x7f800000, v95
	s_delay_alu instid0(VALU_DEP_1) | instskip(SKIP_1) | instid1(SALU_CYCLE_1)
	v_cmp_ne_u32_e32 vcc_lo, 0x7f800000, v98
                                        ; implicit-def: $vgpr98
	s_and_saveexec_b32 s3, vcc_lo
	s_xor_b32 s3, exec_lo, s3
; %bb.39:
	v_bfe_u32 v98, v95, 16, 1
	s_delay_alu instid0(VALU_DEP_1)
	v_add3_u32 v98, v95, v98, 0x7fff
                                        ; implicit-def: $vgpr95
; %bb.40:
	s_and_not1_saveexec_b32 s3, s3
; %bb.41:
	v_and_b32_e32 v98, 0xffff, v95
	v_or_b32_e32 v101, 0x10000, v95
	s_delay_alu instid0(VALU_DEP_2) | instskip(NEXT) | instid1(VALU_DEP_2)
	v_cmp_eq_u32_e32 vcc_lo, 0, v98
	v_cndmask_b32_e32 v98, v101, v95, vcc_lo
; %bb.42:
	s_or_b32 exec_lo, exec_lo, s3
	v_and_b32_e32 v95, 0x7f800000, v93
	s_delay_alu instid0(VALU_DEP_1) | instskip(SKIP_1) | instid1(SALU_CYCLE_1)
	v_cmp_ne_u32_e32 vcc_lo, 0x7f800000, v95
                                        ; implicit-def: $vgpr95
	s_and_saveexec_b32 s3, vcc_lo
	s_xor_b32 s3, exec_lo, s3
; %bb.43:
	v_bfe_u32 v95, v93, 16, 1
	s_delay_alu instid0(VALU_DEP_1)
	v_add3_u32 v95, v93, v95, 0x7fff
                                        ; implicit-def: $vgpr93
; %bb.44:
	s_and_not1_saveexec_b32 s3, s3
; %bb.45:
	v_and_b32_e32 v95, 0xffff, v93
	v_or_b32_e32 v101, 0x10000, v93
	s_delay_alu instid0(VALU_DEP_2) | instskip(NEXT) | instid1(VALU_DEP_2)
	v_cmp_eq_u32_e32 vcc_lo, 0, v95
	v_cndmask_b32_e32 v95, v101, v93, vcc_lo
; %bb.46:
	s_or_b32 exec_lo, exec_lo, s3
	s_load_b64 s[34:35], s[0:1], 0x94
	v_lshlrev_b32_e32 v93, 4, v86
	s_delay_alu instid0(VALU_DEP_2)
	v_perm_b32 v101, v95, v98, 0x7060302
	v_dual_mul_f32 v90, v91, v90 :: v_dual_lshlrev_b32 v95, 11, v75
	v_perm_b32 v98, v94, v92, 0x7060302
	v_mul_f32_e32 v94, v91, v76
	v_perm_b32 v100, v99, v100, 0x7060302
	v_perm_b32 v99, v97, v96, 0x7060302
	v_or3_b32 v76, v93, v95, v87
	v_mul_f32_e32 v89, v91, v89
	v_dual_mul_f32 v88, v91, v88 :: v_dual_and_b32 v95, 0x7f800000, v94
	v_mul_f32_e32 v80, v91, v80
	v_mul_f32_e32 v92, v91, v79
	;; [unrolled: 1-line block ×4, first 2 shown]
	s_mov_b32 s3, exec_lo
	ds_store_b128 v76, v[98:101]
                                        ; implicit-def: $vgpr77
	v_cmpx_ne_u32_e32 0x7f800000, v95
	s_xor_b32 s3, exec_lo, s3
; %bb.47:
	v_bfe_u32 v77, v94, 16, 1
	s_delay_alu instid0(VALU_DEP_1)
	v_add3_u32 v77, v94, v77, 0x7fff
                                        ; implicit-def: $vgpr94
; %bb.48:
	s_and_not1_saveexec_b32 s3, s3
; %bb.49:
	v_and_b32_e32 v77, 0xffff, v94
	v_or_b32_e32 v78, 0x10000, v94
	s_delay_alu instid0(VALU_DEP_2) | instskip(NEXT) | instid1(VALU_DEP_2)
	v_cmp_eq_u32_e32 vcc_lo, 0, v77
	v_cndmask_b32_e32 v77, v78, v94, vcc_lo
; %bb.50:
	s_or_b32 exec_lo, exec_lo, s3
	v_and_b32_e32 v78, 0x7f800000, v79
	s_delay_alu instid0(VALU_DEP_1) | instskip(SKIP_1) | instid1(SALU_CYCLE_1)
	v_cmp_ne_u32_e32 vcc_lo, 0x7f800000, v78
                                        ; implicit-def: $vgpr78
	s_and_saveexec_b32 s3, vcc_lo
	s_xor_b32 s3, exec_lo, s3
; %bb.51:
	v_bfe_u32 v78, v79, 16, 1
	s_delay_alu instid0(VALU_DEP_1)
	v_add3_u32 v78, v79, v78, 0x7fff
                                        ; implicit-def: $vgpr79
; %bb.52:
	s_and_not1_saveexec_b32 s3, s3
; %bb.53:
	v_and_b32_e32 v78, 0xffff, v79
	v_or_b32_e32 v91, 0x10000, v79
	s_delay_alu instid0(VALU_DEP_2) | instskip(NEXT) | instid1(VALU_DEP_2)
	v_cmp_eq_u32_e32 vcc_lo, 0, v78
	v_cndmask_b32_e32 v78, v91, v79, vcc_lo
; %bb.54:
	s_or_b32 exec_lo, exec_lo, s3
	v_and_b32_e32 v79, 0x7f800000, v93
	s_delay_alu instid0(VALU_DEP_1) | instskip(SKIP_1) | instid1(SALU_CYCLE_1)
	v_cmp_ne_u32_e32 vcc_lo, 0x7f800000, v79
                                        ; implicit-def: $vgpr79
	s_and_saveexec_b32 s3, vcc_lo
	s_xor_b32 s3, exec_lo, s3
; %bb.55:
	v_bfe_u32 v79, v93, 16, 1
	s_delay_alu instid0(VALU_DEP_1)
	v_add3_u32 v79, v93, v79, 0x7fff
                                        ; implicit-def: $vgpr93
; %bb.56:
	s_and_not1_saveexec_b32 s3, s3
; %bb.57:
	v_and_b32_e32 v79, 0xffff, v93
	v_or_b32_e32 v91, 0x10000, v93
	s_delay_alu instid0(VALU_DEP_2) | instskip(NEXT) | instid1(VALU_DEP_2)
	v_cmp_eq_u32_e32 vcc_lo, 0, v79
	v_cndmask_b32_e32 v79, v91, v93, vcc_lo
; %bb.58:
	s_or_b32 exec_lo, exec_lo, s3
	v_and_b32_e32 v91, 0x7f800000, v92
	s_delay_alu instid0(VALU_DEP_1) | instskip(SKIP_1) | instid1(SALU_CYCLE_1)
	v_cmp_ne_u32_e32 vcc_lo, 0x7f800000, v91
                                        ; implicit-def: $vgpr91
	s_and_saveexec_b32 s3, vcc_lo
	s_xor_b32 s3, exec_lo, s3
; %bb.59:
	v_bfe_u32 v91, v92, 16, 1
	s_delay_alu instid0(VALU_DEP_1)
	v_add3_u32 v91, v92, v91, 0x7fff
                                        ; implicit-def: $vgpr92
; %bb.60:
	s_and_not1_saveexec_b32 s3, s3
; %bb.61:
	v_and_b32_e32 v91, 0xffff, v92
	v_or_b32_e32 v93, 0x10000, v92
	s_delay_alu instid0(VALU_DEP_2) | instskip(NEXT) | instid1(VALU_DEP_2)
	v_cmp_eq_u32_e32 vcc_lo, 0, v91
	v_cndmask_b32_e32 v91, v93, v92, vcc_lo
; %bb.62:
	s_or_b32 exec_lo, exec_lo, s3
	v_and_b32_e32 v92, 0x7f800000, v80
	s_delay_alu instid0(VALU_DEP_1) | instskip(SKIP_1) | instid1(SALU_CYCLE_1)
	v_cmp_ne_u32_e32 vcc_lo, 0x7f800000, v92
                                        ; implicit-def: $vgpr92
	s_and_saveexec_b32 s3, vcc_lo
	s_xor_b32 s3, exec_lo, s3
; %bb.63:
	v_bfe_u32 v92, v80, 16, 1
	s_delay_alu instid0(VALU_DEP_1)
	v_add3_u32 v92, v80, v92, 0x7fff
                                        ; implicit-def: $vgpr80
; %bb.64:
	s_and_not1_saveexec_b32 s3, s3
; %bb.65:
	v_and_b32_e32 v92, 0xffff, v80
	v_or_b32_e32 v93, 0x10000, v80
	s_delay_alu instid0(VALU_DEP_2) | instskip(NEXT) | instid1(VALU_DEP_2)
	v_cmp_eq_u32_e32 vcc_lo, 0, v92
	v_cndmask_b32_e32 v92, v93, v80, vcc_lo
; %bb.66:
	s_or_b32 exec_lo, exec_lo, s3
	v_and_b32_e32 v80, 0x7f800000, v88
	s_delay_alu instid0(VALU_DEP_1) | instskip(SKIP_1) | instid1(SALU_CYCLE_1)
	v_cmp_ne_u32_e32 vcc_lo, 0x7f800000, v80
                                        ; implicit-def: $vgpr80
	s_and_saveexec_b32 s3, vcc_lo
	s_xor_b32 s3, exec_lo, s3
; %bb.67:
	v_bfe_u32 v80, v88, 16, 1
	s_delay_alu instid0(VALU_DEP_1)
	v_add3_u32 v80, v88, v80, 0x7fff
                                        ; implicit-def: $vgpr88
; %bb.68:
	s_and_not1_saveexec_b32 s3, s3
; %bb.69:
	v_and_b32_e32 v80, 0xffff, v88
	v_or_b32_e32 v93, 0x10000, v88
	s_delay_alu instid0(VALU_DEP_2) | instskip(NEXT) | instid1(VALU_DEP_2)
	v_cmp_eq_u32_e32 vcc_lo, 0, v80
	v_cndmask_b32_e32 v80, v93, v88, vcc_lo
; %bb.70:
	s_or_b32 exec_lo, exec_lo, s3
	v_and_b32_e32 v88, 0x7f800000, v89
	s_delay_alu instid0(VALU_DEP_1) | instskip(SKIP_1) | instid1(SALU_CYCLE_1)
	v_cmp_ne_u32_e32 vcc_lo, 0x7f800000, v88
                                        ; implicit-def: $vgpr88
	s_and_saveexec_b32 s3, vcc_lo
	s_xor_b32 s3, exec_lo, s3
; %bb.71:
	v_bfe_u32 v88, v89, 16, 1
	s_delay_alu instid0(VALU_DEP_1)
	v_add3_u32 v88, v89, v88, 0x7fff
                                        ; implicit-def: $vgpr89
; %bb.72:
	s_and_not1_saveexec_b32 s3, s3
; %bb.73:
	v_and_b32_e32 v88, 0xffff, v89
	v_or_b32_e32 v93, 0x10000, v89
	s_delay_alu instid0(VALU_DEP_2) | instskip(NEXT) | instid1(VALU_DEP_2)
	v_cmp_eq_u32_e32 vcc_lo, 0, v88
	v_cndmask_b32_e32 v88, v93, v89, vcc_lo
; %bb.74:
	s_or_b32 exec_lo, exec_lo, s3
	v_and_b32_e32 v89, 0x7f800000, v90
	s_delay_alu instid0(VALU_DEP_1) | instskip(SKIP_1) | instid1(SALU_CYCLE_1)
	v_cmp_ne_u32_e32 vcc_lo, 0x7f800000, v89
                                        ; implicit-def: $vgpr89
	s_and_saveexec_b32 s3, vcc_lo
	s_xor_b32 s3, exec_lo, s3
; %bb.75:
	v_bfe_u32 v89, v90, 16, 1
	s_delay_alu instid0(VALU_DEP_1)
	v_add3_u32 v89, v90, v89, 0x7fff
                                        ; implicit-def: $vgpr90
; %bb.76:
	s_and_not1_saveexec_b32 s3, s3
; %bb.77:
	v_and_b32_e32 v89, 0xffff, v90
	v_or_b32_e32 v93, 0x10000, v90
	s_delay_alu instid0(VALU_DEP_2) | instskip(NEXT) | instid1(VALU_DEP_2)
	v_cmp_eq_u32_e32 vcc_lo, 0, v89
	v_cndmask_b32_e32 v89, v93, v90, vcc_lo
; %bb.78:
	s_or_b32 exec_lo, exec_lo, s3
	s_delay_alu instid0(VALU_DEP_1)
	v_perm_b32 v96, v89, v88, 0x7060302
	v_perm_b32 v95, v80, v92, 0x7060302
	;; [unrolled: 1-line block ×4, first 2 shown]
	v_lshl_or_b32 v92, v75, 11, v87
	v_lshlrev_b32_e32 v89, 2, v86
	ds_store_b128 v76, v[93:96] offset:1024
	s_waitcnt lgkmcnt(0)
	s_barrier
	buffer_gl0_inv
	ds_load_b128 v[77:80], v92
	ds_load_b128 v[93:96], v92 offset:16
	v_or_b32_e32 v90, 1, v89
	v_cmp_eq_u32_e32 vcc_lo, 1, v89
	v_cmp_eq_u32_e64 s4, 2, v89
	v_cmp_eq_u32_e64 s7, 3, v89
	;; [unrolled: 1-line block ×6, first 2 shown]
	v_or_b32_e32 v88, 2, v89
	v_cmp_eq_u32_e64 s10, 5, v89
	v_cmp_eq_u32_e64 s11, 4, v90
	;; [unrolled: 1-line block ×9, first 2 shown]
	s_waitcnt lgkmcnt(1)
	v_lshrrev_b32_e32 v75, 16, v77
	s_waitcnt lgkmcnt(0)
	v_lshrrev_b32_e32 v101, 16, v93
	v_lshrrev_b32_e32 v110, 16, v96
	;; [unrolled: 1-line block ×4, first 2 shown]
	v_cndmask_b32_e32 v91, v77, v75, vcc_lo
	v_cndmask_b32_e32 v97, v93, v101, vcc_lo
	v_cndmask_b32_e64 v98, v77, v75, s3
	v_lshrrev_b32_e32 v106, 16, v79
	v_lshrrev_b32_e32 v109, 16, v95
	v_cndmask_b32_e64 v91, v91, v78, s4
	v_cndmask_b32_e64 v97, v97, v94, s4
	;; [unrolled: 1-line block ×4, first 2 shown]
	v_lshrrev_b32_e32 v107, 16, v80
	v_cndmask_b32_e64 v91, v91, v105, s7
	v_cndmask_b32_e64 v97, v97, v108, s7
	;; [unrolled: 1-line block ×9, first 2 shown]
	v_cmp_eq_u32_e64 s19, 3, v88
	v_cndmask_b32_e64 v91, v91, v106, s10
	v_cndmask_b32_e64 v97, v97, v109, s10
	;; [unrolled: 1-line block ×4, first 2 shown]
	v_cmp_eq_u32_e64 s20, 4, v88
	v_cndmask_b32_e64 v91, v91, v80, s12
	v_cndmask_b32_e64 v97, v97, v96, s12
	;; [unrolled: 1-line block ×3, first 2 shown]
	v_cmp_eq_u32_e64 s22, 5, v88
	v_cmp_eq_u32_e64 s24, 6, v88
	v_cndmask_b32_e64 v111, v91, v107, s15
	v_cndmask_b32_e64 v112, v97, v110, s15
	;; [unrolled: 1-line block ×6, first 2 shown]
	v_cmp_eq_u32_e64 s27, 7, v88
	v_cndmask_b32_e64 v99, v91, v105, s19
	v_cndmask_b32_e64 v97, v97, v94, s17
	v_or_b32_e32 v91, 3, v89
	v_cndmask_b32_e64 v114, v98, v96, s16
	s_delay_alu instid0(VALU_DEP_4) | instskip(NEXT) | instid1(VALU_DEP_4)
	v_cndmask_b32_e64 v102, v99, v79, s20
	v_cndmask_b32_e64 v103, v97, v108, s19
	s_delay_alu instid0(VALU_DEP_4)
	v_cmp_eq_u32_e64 s21, 1, v91
	ds_load_b128 v[97:100], v92 offset:1024
	v_cmp_eq_u32_e64 s23, 2, v91
	v_cndmask_b32_e64 v115, v102, v106, s22
	v_cmp_eq_u32_e64 s25, 3, v91
	v_cndmask_b32_e64 v75, v77, v75, s21
	v_cndmask_b32_e64 v77, v103, v95, s20
	;; [unrolled: 1-line block ×3, first 2 shown]
	ds_load_b128 v[101:104], v92 offset:1040
	v_cmp_eq_u32_e64 s26, 4, v91
	v_cndmask_b32_e64 v75, v75, v78, s23
	v_cmp_eq_u32_e64 s28, 5, v91
	v_cndmask_b32_e64 v78, v93, v94, s23
	v_cndmask_b32_e64 v94, v115, v80, s24
	;; [unrolled: 1-line block ×4, first 2 shown]
	v_cmp_eq_u32_e64 s29, 6, v91
	v_cndmask_b32_e64 v78, v78, v108, s25
	v_cndmask_b32_e64 v93, v114, v110, s18
	;; [unrolled: 1-line block ×4, first 2 shown]
	s_waitcnt lgkmcnt(1)
	v_lshrrev_b32_e32 v105, 16, v97
	v_cndmask_b32_e64 v78, v78, v95, s26
	v_cndmask_b32_e64 v79, v94, v107, s27
	;; [unrolled: 1-line block ×4, first 2 shown]
	v_cndmask_b32_e32 v94, v97, v105, vcc_lo
	v_cndmask_b32_e64 v78, v78, v109, s28
	s_waitcnt lgkmcnt(0)
	v_lshrrev_b32_e32 v95, 16, v101
	v_lshrrev_b32_e32 v106, 16, v98
	v_cndmask_b32_e64 v108, v97, v105, s3
	v_cndmask_b32_e64 v94, v94, v98, s4
	;; [unrolled: 1-line block ×3, first 2 shown]
	v_cndmask_b32_e32 v109, v101, v95, vcc_lo
	v_cndmask_b32_e64 v78, v78, v96, s29
	v_cmp_eq_u32_e32 vcc_lo, 7, v91
	v_cndmask_b32_e64 v80, v94, v106, s7
	v_cndmask_b32_e64 v94, v108, v98, s6
	;; [unrolled: 1-line block ×3, first 2 shown]
	v_lshrrev_b32_e32 v108, 16, v102
	v_cndmask_b32_e32 v78, v78, v110, vcc_lo
	v_lshrrev_b32_e32 v110, 16, v103
	v_cndmask_b32_e64 v80, v80, v99, s9
	v_lshrrev_b32_e32 v109, 16, v99
	v_cndmask_b32_e64 v96, v96, v108, s7
	v_cndmask_b32_e32 v75, v75, v107, vcc_lo
	v_perm_b32 v79, v77, v79, 0x5040100
	v_cndmask_b32_e64 v94, v94, v106, s8
	v_cndmask_b32_e64 v107, v80, v109, s10
	;; [unrolled: 1-line block ×3, first 2 shown]
	v_perm_b32 v80, v78, v75, 0x5040100
	v_perm_b32 v78, v93, v113, 0x5040100
	v_cndmask_b32_e64 v113, v101, v95, s5
	v_cndmask_b32_e64 v94, v94, v99, s11
	;; [unrolled: 1-line block ×3, first 2 shown]
	s_delay_alu instid0(VALU_DEP_2) | instskip(NEXT) | instid1(VALU_DEP_2)
	v_cndmask_b32_e64 v75, v94, v109, s13
	v_cndmask_b32_e64 v77, v96, v104, s12
	;; [unrolled: 1-line block ×22, first 2 shown]
	v_lshrrev_b32_e32 v107, 16, v100
	v_cndmask_b32_e64 v96, v96, v109, s22
	v_cndmask_b32_e64 v97, v97, v109, s28
	;; [unrolled: 1-line block ×7, first 2 shown]
	v_lshrrev_b32_e32 v94, 16, v104
	v_cndmask_b32_e64 v96, v96, v100, s24
	v_cndmask_b32_e64 v97, v97, v100, s29
	;; [unrolled: 1-line block ×7, first 2 shown]
	v_dual_cndmask_b32 v96, v97, v107 :: v_dual_cndmask_b32 v97, v98, v94
	v_cndmask_b32_e64 v98, v99, v94, s27
	v_cndmask_b32_e64 v99, v95, v94, s18
	;; [unrolled: 1-line block ×3, first 2 shown]
	v_perm_b32 v77, v112, v111, 0x5040100
	v_perm_b32 v96, v97, v96, 0x5040100
	;; [unrolled: 1-line block ×5, first 2 shown]
	s_lshl_b32 s8, s35, 1
	s_mov_b32 s3, exec_lo
	ds_store_b128 v76, v[77:80]
	ds_store_b128 v76, v[93:96] offset:1024
	v_cmpx_gt_u32_e32 2, v0
	s_cbranch_execz .LBB707_80
; %bb.79:
	v_or_b32_e32 v75, s31, v0
	s_load_b128 s[4:7], s[0:1], 0x58
	s_delay_alu instid0(VALU_DEP_1) | instskip(NEXT) | instid1(VALU_DEP_1)
	v_mad_u64_u32 v[76:77], null, s8, s30, v[75:76]
	v_mad_u64_u32 v[77:78], null, v76, s34, s[14:15]
	s_delay_alu instid0(VALU_DEP_1) | instskip(NEXT) | instid1(VALU_DEP_1)
	v_ashrrev_i32_e32 v78, 31, v77
	v_lshlrev_b64 v[75:76], 2, v[77:78]
	s_waitcnt lgkmcnt(0)
	s_delay_alu instid0(VALU_DEP_1) | instskip(NEXT) | instid1(VALU_DEP_2)
	v_add_co_u32 v77, vcc_lo, s6, v75
	v_add_co_ci_u32_e32 v78, vcc_lo, s7, v76, vcc_lo
	v_add_co_u32 v75, vcc_lo, s4, v75
	v_add_co_ci_u32_e32 v76, vcc_lo, s5, v76, vcc_lo
	global_store_b32 v[77:78], v73, off
	global_store_b32 v[75:76], v74, off
.LBB707_80:
	s_or_b32 exec_lo, exec_lo, s3
	s_waitcnt lgkmcnt(0)
	s_waitcnt_vscnt null, 0x0
	s_barrier
	buffer_gl0_inv
	ds_load_b128 v[93:96], v87
	ds_load_b128 v[97:100], v87 offset:16
	ds_load_b128 v[105:108], v87 offset:1040
	;; [unrolled: 1-line block ×3, first 2 shown]
	v_mov_b32_e32 v73, 0
	ds_load_b128 v[113:116], v87 offset:2064
	ds_load_b128 v[109:112], v87 offset:2048
	ds_load_b128 v[121:124], v87 offset:3088
	ds_load_b128 v[117:120], v87 offset:3072
	ds_load_b128 v[129:132], v87 offset:4112
	ds_load_b128 v[125:128], v87 offset:4096
	v_mov_b32_e32 v74, v73
	v_mov_b32_e32 v75, v73
	;; [unrolled: 1-line block ×7, first 2 shown]
	s_waitcnt lgkmcnt(8)
	s_delay_alu instid0(VALU_DEP_1)
	v_wmma_f32_16x16x16_bf16 v[73:80], v[65:72], v[93:100], v[73:80]
	ds_load_b128 v[69:72], v87 offset:5136
	ds_load_b128 v[65:68], v87 offset:5120
	;; [unrolled: 1-line block ×4, first 2 shown]
	s_waitcnt lgkmcnt(10)
	v_wmma_f32_16x16x16_bf16 v[73:80], v[57:64], v[101:108], v[73:80]
	s_waitcnt lgkmcnt(8)
	s_delay_alu instid0(VALU_DEP_1)
	v_wmma_f32_16x16x16_bf16 v[73:80], v[57:64], v[109:116], v[73:80]
	ds_load_b128 v[61:64], v87 offset:7184
	ds_load_b128 v[57:60], v87 offset:7168
	;; [unrolled: 1-line block ×4, first 2 shown]
	s_waitcnt lgkmcnt(10)
	v_wmma_f32_16x16x16_bf16 v[73:80], v[49:56], v[117:124], v[73:80]
	s_waitcnt lgkmcnt(8)
	s_delay_alu instid0(VALU_DEP_1)
	v_wmma_f32_16x16x16_bf16 v[73:80], v[49:56], v[125:132], v[73:80]
	ds_load_b128 v[53:56], v87 offset:9232
	ds_load_b128 v[49:52], v87 offset:9216
	s_waitcnt lgkmcnt(8)
	v_wmma_f32_16x16x16_bf16 v[73:80], v[41:48], v[65:72], v[73:80]
	ds_load_b128 v[69:72], v87 offset:10256
	ds_load_b128 v[65:68], v87 offset:10240
	s_waitcnt lgkmcnt(8)
	;; [unrolled: 4-line block ×3, first 2 shown]
	v_wmma_f32_16x16x16_bf16 v[73:80], v[9:16], v[57:64], v[73:80]
	s_waitcnt lgkmcnt(6)
	s_delay_alu instid0(VALU_DEP_1)
	v_wmma_f32_16x16x16_bf16 v[73:80], v[9:16], v[101:108], v[73:80]
	ds_load_b128 v[13:16], v87 offset:12304
	ds_load_b128 v[9:12], v87 offset:12288
	s_waitcnt lgkmcnt(6)
	v_wmma_f32_16x16x16_bf16 v[73:80], v[1:8], v[49:56], v[73:80]
	ds_load_b128 v[53:56], v87 offset:13328
	ds_load_b128 v[49:52], v87 offset:13312
	s_waitcnt lgkmcnt(6)
	;; [unrolled: 4-line block ×4, first 2 shown]
	v_wmma_f32_16x16x16_bf16 v[73:80], v[33:40], v[9:16], v[73:80]
	s_waitcnt lgkmcnt(4)
	s_delay_alu instid0(VALU_DEP_1) | instskip(SKIP_1) | instid1(VALU_DEP_1)
	v_wmma_f32_16x16x16_bf16 v[73:80], v[25:32], v[49:56], v[73:80]
	s_waitcnt lgkmcnt(2)
	v_wmma_f32_16x16x16_bf16 v[73:80], v[25:32], v[1:8], v[73:80]
	s_waitcnt lgkmcnt(0)
	s_delay_alu instid0(VALU_DEP_1) | instskip(NEXT) | instid1(VALU_DEP_1)
	v_wmma_f32_16x16x16_bf16 v[73:80], v[17:24], v[41:48], v[73:80]
	v_and_b32_e32 v1, 0x7f800000, v73
	s_delay_alu instid0(VALU_DEP_1) | instskip(SKIP_1) | instid1(SALU_CYCLE_1)
	v_cmp_ne_u32_e32 vcc_lo, 0x7f800000, v1
                                        ; implicit-def: $vgpr1
	s_and_saveexec_b32 s3, vcc_lo
	s_xor_b32 s3, exec_lo, s3
; %bb.81:
	v_bfe_u32 v1, v73, 16, 1
	s_delay_alu instid0(VALU_DEP_1)
	v_add3_u32 v1, v73, v1, 0x7fff
; %bb.82:
	s_and_not1_saveexec_b32 s3, s3
; %bb.83:
	v_and_b32_e32 v1, 0xffff, v73
	v_or_b32_e32 v2, 0x10000, v73
	s_delay_alu instid0(VALU_DEP_2) | instskip(NEXT) | instid1(VALU_DEP_2)
	v_cmp_eq_u32_e32 vcc_lo, 0, v1
	v_cndmask_b32_e32 v1, v2, v73, vcc_lo
; %bb.84:
	s_or_b32 exec_lo, exec_lo, s3
	v_and_b32_e32 v2, 0x7f800000, v74
	s_delay_alu instid0(VALU_DEP_1) | instskip(SKIP_1) | instid1(SALU_CYCLE_1)
	v_cmp_ne_u32_e32 vcc_lo, 0x7f800000, v2
                                        ; implicit-def: $vgpr2
	s_and_saveexec_b32 s3, vcc_lo
	s_xor_b32 s3, exec_lo, s3
; %bb.85:
	v_bfe_u32 v2, v74, 16, 1
	s_delay_alu instid0(VALU_DEP_1)
	v_add3_u32 v2, v74, v2, 0x7fff
; %bb.86:
	s_and_not1_saveexec_b32 s3, s3
; %bb.87:
	v_and_b32_e32 v2, 0xffff, v74
	v_or_b32_e32 v3, 0x10000, v74
	s_delay_alu instid0(VALU_DEP_2) | instskip(NEXT) | instid1(VALU_DEP_2)
	v_cmp_eq_u32_e32 vcc_lo, 0, v2
	v_cndmask_b32_e32 v2, v3, v74, vcc_lo
; %bb.88:
	s_or_b32 exec_lo, exec_lo, s3
	v_and_b32_e32 v3, 0x7f800000, v75
	s_delay_alu instid0(VALU_DEP_1) | instskip(SKIP_1) | instid1(SALU_CYCLE_1)
	v_cmp_ne_u32_e32 vcc_lo, 0x7f800000, v3
                                        ; implicit-def: $vgpr3
	s_and_saveexec_b32 s3, vcc_lo
	s_xor_b32 s3, exec_lo, s3
; %bb.89:
	v_bfe_u32 v3, v75, 16, 1
	s_delay_alu instid0(VALU_DEP_1)
	v_add3_u32 v3, v75, v3, 0x7fff
; %bb.90:
	s_and_not1_saveexec_b32 s3, s3
; %bb.91:
	v_and_b32_e32 v3, 0xffff, v75
	v_or_b32_e32 v4, 0x10000, v75
	s_delay_alu instid0(VALU_DEP_2) | instskip(NEXT) | instid1(VALU_DEP_2)
	v_cmp_eq_u32_e32 vcc_lo, 0, v3
	v_cndmask_b32_e32 v3, v4, v75, vcc_lo
; %bb.92:
	s_or_b32 exec_lo, exec_lo, s3
	v_and_b32_e32 v4, 0x7f800000, v76
	s_delay_alu instid0(VALU_DEP_1) | instskip(SKIP_1) | instid1(SALU_CYCLE_1)
	v_cmp_ne_u32_e32 vcc_lo, 0x7f800000, v4
                                        ; implicit-def: $vgpr4
	s_and_saveexec_b32 s3, vcc_lo
	s_xor_b32 s3, exec_lo, s3
; %bb.93:
	v_bfe_u32 v4, v76, 16, 1
	s_delay_alu instid0(VALU_DEP_1)
	v_add3_u32 v4, v76, v4, 0x7fff
; %bb.94:
	s_and_not1_saveexec_b32 s3, s3
; %bb.95:
	v_and_b32_e32 v4, 0xffff, v76
	v_or_b32_e32 v5, 0x10000, v76
	s_delay_alu instid0(VALU_DEP_2) | instskip(NEXT) | instid1(VALU_DEP_2)
	v_cmp_eq_u32_e32 vcc_lo, 0, v4
	v_cndmask_b32_e32 v4, v5, v76, vcc_lo
; %bb.96:
	s_or_b32 exec_lo, exec_lo, s3
	v_and_b32_e32 v5, 0x7f800000, v77
	s_delay_alu instid0(VALU_DEP_1) | instskip(SKIP_1) | instid1(SALU_CYCLE_1)
	v_cmp_ne_u32_e32 vcc_lo, 0x7f800000, v5
                                        ; implicit-def: $vgpr5
	s_and_saveexec_b32 s3, vcc_lo
	s_xor_b32 s3, exec_lo, s3
; %bb.97:
	v_bfe_u32 v5, v77, 16, 1
	s_delay_alu instid0(VALU_DEP_1)
	v_add3_u32 v5, v77, v5, 0x7fff
; %bb.98:
	s_and_not1_saveexec_b32 s3, s3
; %bb.99:
	v_and_b32_e32 v5, 0xffff, v77
	v_or_b32_e32 v6, 0x10000, v77
	s_delay_alu instid0(VALU_DEP_2) | instskip(NEXT) | instid1(VALU_DEP_2)
	v_cmp_eq_u32_e32 vcc_lo, 0, v5
	v_cndmask_b32_e32 v5, v6, v77, vcc_lo
; %bb.100:
	s_or_b32 exec_lo, exec_lo, s3
	v_and_b32_e32 v6, 0x7f800000, v78
	s_delay_alu instid0(VALU_DEP_1) | instskip(SKIP_1) | instid1(SALU_CYCLE_1)
	v_cmp_ne_u32_e32 vcc_lo, 0x7f800000, v6
                                        ; implicit-def: $vgpr6
	s_and_saveexec_b32 s3, vcc_lo
	s_xor_b32 s3, exec_lo, s3
; %bb.101:
	v_bfe_u32 v6, v78, 16, 1
	s_delay_alu instid0(VALU_DEP_1)
	v_add3_u32 v6, v78, v6, 0x7fff
; %bb.102:
	s_and_not1_saveexec_b32 s3, s3
; %bb.103:
	v_and_b32_e32 v6, 0xffff, v78
	v_or_b32_e32 v7, 0x10000, v78
	s_delay_alu instid0(VALU_DEP_2) | instskip(NEXT) | instid1(VALU_DEP_2)
	v_cmp_eq_u32_e32 vcc_lo, 0, v6
	v_cndmask_b32_e32 v6, v7, v78, vcc_lo
; %bb.104:
	s_or_b32 exec_lo, exec_lo, s3
	v_and_b32_e32 v7, 0x7f800000, v79
	s_delay_alu instid0(VALU_DEP_1) | instskip(SKIP_1) | instid1(SALU_CYCLE_1)
	v_cmp_ne_u32_e32 vcc_lo, 0x7f800000, v7
                                        ; implicit-def: $vgpr7
	s_and_saveexec_b32 s3, vcc_lo
	s_xor_b32 s3, exec_lo, s3
; %bb.105:
	v_bfe_u32 v7, v79, 16, 1
	s_delay_alu instid0(VALU_DEP_1)
	v_add3_u32 v7, v79, v7, 0x7fff
; %bb.106:
	s_and_not1_saveexec_b32 s3, s3
; %bb.107:
	v_and_b32_e32 v7, 0xffff, v79
	v_or_b32_e32 v8, 0x10000, v79
	s_delay_alu instid0(VALU_DEP_2) | instskip(NEXT) | instid1(VALU_DEP_2)
	v_cmp_eq_u32_e32 vcc_lo, 0, v7
	v_cndmask_b32_e32 v7, v8, v79, vcc_lo
; %bb.108:
	s_or_b32 exec_lo, exec_lo, s3
	v_and_b32_e32 v8, 0x7f800000, v80
	s_delay_alu instid0(VALU_DEP_1) | instskip(SKIP_1) | instid1(SALU_CYCLE_1)
	v_cmp_ne_u32_e32 vcc_lo, 0x7f800000, v8
                                        ; implicit-def: $vgpr8
	s_and_saveexec_b32 s3, vcc_lo
	s_xor_b32 s3, exec_lo, s3
; %bb.109:
	v_bfe_u32 v8, v80, 16, 1
	s_delay_alu instid0(VALU_DEP_1)
	v_add3_u32 v8, v80, v8, 0x7fff
                                        ; implicit-def: $vgpr73_vgpr74_vgpr75_vgpr76_vgpr77_vgpr78_vgpr79_vgpr80
; %bb.110:
	s_and_not1_saveexec_b32 s3, s3
; %bb.111:
	v_and_b32_e32 v8, 0xffff, v80
	v_or_b32_e32 v9, 0x10000, v80
	s_delay_alu instid0(VALU_DEP_2) | instskip(NEXT) | instid1(VALU_DEP_2)
	v_cmp_eq_u32_e32 vcc_lo, 0, v8
	v_cndmask_b32_e32 v8, v9, v80, vcc_lo
; %bb.112:
	s_or_b32 exec_lo, exec_lo, s3
	s_delay_alu instid0(VALU_DEP_1)
	v_perm_b32 v7, v8, v7, 0x7060302
	v_perm_b32 v6, v6, v5, 0x7060302
	;; [unrolled: 1-line block ×4, first 2 shown]
	v_lshl_or_b32 v9, v86, 4, v92
	s_barrier
	buffer_gl0_inv
	v_cmp_eq_u32_e32 vcc_lo, 1, v89
	ds_store_b128 v9, v[4:7]
	s_waitcnt lgkmcnt(0)
	s_barrier
	buffer_gl0_inv
	ds_load_b128 v[1:4], v92
	ds_load_b128 v[5:8], v92 offset:16
	v_cmp_eq_u32_e64 s4, 2, v89
	v_cmp_eq_u32_e64 s3, 1, v90
	;; [unrolled: 1-line block ×5, first 2 shown]
	s_waitcnt lgkmcnt(1)
	v_lshrrev_b32_e32 v10, 16, v1
	s_waitcnt lgkmcnt(0)
	v_lshrrev_b32_e32 v14, 16, v5
	v_lshrrev_b32_e32 v15, 16, v6
	;; [unrolled: 1-line block ×4, first 2 shown]
	v_cndmask_b32_e64 v20, v1, v10, s3
	v_cndmask_b32_e32 v19, v5, v14, vcc_lo
	v_cndmask_b32_e64 v21, v5, v14, s3
	v_lshrrev_b32_e32 v16, 16, v7
	v_cmp_eq_u32_e64 s3, 1, v88
	v_lshrrev_b32_e32 v13, 16, v4
	v_cndmask_b32_e64 v19, v19, v6, s4
	v_lshrrev_b32_e32 v17, 16, v8
	s_delay_alu instid0(VALU_DEP_4) | instskip(SKIP_1) | instid1(VALU_DEP_4)
	v_cndmask_b32_e64 v22, v1, v10, s3
	v_cndmask_b32_e64 v23, v5, v14, s3
	;; [unrolled: 1-line block ×3, first 2 shown]
	v_cndmask_b32_e32 v18, v1, v10, vcc_lo
	v_cmp_eq_u32_e32 vcc_lo, 2, v90
	v_cmp_eq_u32_e64 s3, 2, v91
	v_cndmask_b32_e64 v22, v22, v2, s7
	v_cndmask_b32_e32 v20, v20, v2, vcc_lo
	v_cndmask_b32_e32 v21, v21, v6, vcc_lo
	v_cmp_eq_u32_e32 vcc_lo, 4, v89
	v_cndmask_b32_e32 v19, v19, v7, vcc_lo
	v_cndmask_b32_e64 v18, v18, v2, s4
	v_cmp_eq_u32_e64 s4, 3, v90
	s_delay_alu instid0(VALU_DEP_2) | instskip(NEXT) | instid1(VALU_DEP_2)
	v_cndmask_b32_e64 v18, v18, v11, s5
	v_cndmask_b32_e64 v21, v21, v15, s4
	v_cmp_eq_u32_e64 s5, 5, v89
	s_delay_alu instid0(VALU_DEP_3) | instskip(SKIP_1) | instid1(VALU_DEP_3)
	v_cndmask_b32_e32 v18, v18, v3, vcc_lo
	v_cmp_eq_u32_e32 vcc_lo, 4, v90
	v_cndmask_b32_e64 v19, v19, v16, s5
	s_delay_alu instid0(VALU_DEP_3) | instskip(SKIP_4) | instid1(VALU_DEP_3)
	v_cndmask_b32_e64 v18, v18, v12, s5
	v_cndmask_b32_e32 v21, v21, v7, vcc_lo
	v_cndmask_b32_e64 v20, v20, v11, s4
	v_cmp_eq_u32_e64 s4, 5, v90
	v_cmp_eq_u32_e64 s5, 6, v89
	v_cndmask_b32_e32 v20, v20, v3, vcc_lo
	s_delay_alu instid0(VALU_DEP_3) | instskip(SKIP_1) | instid1(VALU_DEP_4)
	v_cndmask_b32_e64 v21, v21, v16, s4
	v_cmp_eq_u32_e32 vcc_lo, 6, v90
	v_cndmask_b32_e64 v18, v18, v4, s5
	v_cndmask_b32_e64 v19, v19, v8, s5
	;; [unrolled: 1-line block ×3, first 2 shown]
	v_cmp_eq_u32_e64 s4, 1, v91
	v_cmp_eq_u32_e64 s5, 7, v89
	s_delay_alu instid0(VALU_DEP_3) | instskip(NEXT) | instid1(VALU_DEP_3)
	v_cndmask_b32_e32 v20, v20, v4, vcc_lo
	v_cndmask_b32_e64 v1, v1, v10, s4
	v_cndmask_b32_e64 v5, v5, v14, s4
	v_cmp_eq_u32_e64 s4, 3, v88
	v_cndmask_b32_e64 v14, v23, v6, s7
	v_cmp_eq_u32_e64 s7, 3, v91
	v_cndmask_b32_e64 v1, v1, v2, s3
	v_cndmask_b32_e64 v2, v5, v6, s3
	;; [unrolled: 1-line block ×3, first 2 shown]
	v_cmp_eq_u32_e64 s3, 4, v88
	v_cndmask_b32_e64 v6, v14, v15, s4
	v_cndmask_b32_e64 v1, v1, v11, s7
	v_cmp_eq_u32_e64 s4, 4, v91
	v_cndmask_b32_e64 v2, v2, v15, s7
	v_cndmask_b32_e64 v5, v10, v3, s3
	;; [unrolled: 3-line block ×3, first 2 shown]
	v_cndmask_b32_e64 v2, v2, v7, s4
	v_cmp_eq_u32_e64 s3, 5, v91
	v_cndmask_b32_e64 v5, v5, v12, s7
	v_cmp_eq_u32_e64 s4, 6, v88
	;; [unrolled: 2-line block ×3, first 2 shown]
	v_cndmask_b32_e64 v1, v1, v12, s3
	v_cndmask_b32_e64 v2, v2, v16, s3
	;; [unrolled: 1-line block ×4, first 2 shown]
	v_cmp_eq_u32_e64 s3, 7, v91
	v_cndmask_b32_e64 v1, v1, v4, s7
	v_cndmask_b32_e64 v2, v2, v8, s7
	v_cmp_eq_u32_e64 s4, 7, v88
	v_cndmask_b32_e32 v4, v21, v8, vcc_lo
	v_cndmask_b32_e64 v18, v18, v13, s5
	v_cndmask_b32_e64 v20, v20, v13, s6
	;; [unrolled: 1-line block ×8, first 2 shown]
	s_delay_alu instid0(VALU_DEP_4) | instskip(NEXT) | instid1(VALU_DEP_4)
	v_perm_b32 v4, v2, v1, 0x5040100
	v_perm_b32 v3, v3, v5, 0x5040100
	s_delay_alu instid0(VALU_DEP_4) | instskip(NEXT) | instid1(VALU_DEP_4)
	v_perm_b32 v2, v6, v20, 0x5040100
	v_perm_b32 v1, v7, v18, 0x5040100
	ds_store_b128 v9, v[1:4]
	s_waitcnt lgkmcnt(0)
	s_barrier
	buffer_gl0_inv
	s_and_saveexec_b32 s3, s2
	s_cbranch_execz .LBB707_2
; %bb.113:
	s_load_b64 s[0:1], s[0:1], 0x68
	v_lshlrev_b32_e32 v0, 10, v0
	s_lshl_b32 s2, s34, 7
	v_lshlrev_b32_e32 v1, 4, v85
	v_mul_lo_u32 v4, s2, v84
	s_mul_i32 s3, s2, s30
	v_and_b32_e32 v0, 0x3800, v0
	s_mul_i32 s2, s3, s8
	s_delay_alu instid0(SALU_CYCLE_1) | instskip(NEXT) | instid1(VALU_DEP_1)
	s_ashr_i32 s3, s2, 31
	v_or3_b32 v0, v0, v83, v1
	s_lshl_b64 s[2:3], s[2:3], 1
	s_delay_alu instid0(VALU_DEP_3)
	v_ashrrev_i32_e32 v5, 31, v4
	ds_load_b128 v[0:3], v0
	v_lshlrev_b64 v[4:5], 1, v[4:5]
	s_waitcnt lgkmcnt(0)
	s_add_u32 s2, s0, s2
	s_addc_u32 s3, s1, s3
	s_lshl_b32 s0, s14, 7
	s_delay_alu instid0(SALU_CYCLE_1) | instskip(NEXT) | instid1(SALU_CYCLE_1)
	s_ashr_i32 s1, s0, 31
	s_lshl_b64 s[0:1], s[0:1], 1
	s_delay_alu instid0(SALU_CYCLE_1) | instskip(SKIP_3) | instid1(VALU_DEP_2)
	s_add_u32 s0, s2, s0
	s_addc_u32 s1, s3, s1
	v_add_co_u32 v4, vcc_lo, s0, v4
	v_add_co_ci_u32_e32 v5, vcc_lo, s1, v5, vcc_lo
	v_add_co_u32 v4, vcc_lo, v4, v81
	s_delay_alu instid0(VALU_DEP_2)
	v_add_co_ci_u32_e32 v5, vcc_lo, v5, v82, vcc_lo
	global_store_b128 v[4:5], v[0:3], off
	s_nop 0
	s_sendmsg sendmsg(MSG_DEALLOC_VGPRS)
	s_endpgm
	.section	.rodata,"a",@progbits
	.p2align	6, 0x0
	.amdhsa_kernel _Z39paged_attention_ll4mi_QKV_mfma16_kernelI14__hip_bfloat16S0_LN4vllm18Fp8KVCacheDataTypeE0EhLi32ELi128ELi256ELb1ELi2EL8MFMAType0EEvPKT_PKT0_S9_ifPKiSB_SB_iPKfiiiPfSE_PS4_PT2_iSD_SD_
		.amdhsa_group_segment_fixed_size 17472
		.amdhsa_private_segment_fixed_size 0
		.amdhsa_kernarg_size 400
		.amdhsa_user_sgpr_count 13
		.amdhsa_user_sgpr_dispatch_ptr 0
		.amdhsa_user_sgpr_queue_ptr 0
		.amdhsa_user_sgpr_kernarg_segment_ptr 1
		.amdhsa_user_sgpr_dispatch_id 0
		.amdhsa_user_sgpr_private_segment_size 0
		.amdhsa_wavefront_size32 1
		.amdhsa_uses_dynamic_stack 0
		.amdhsa_enable_private_segment 0
		.amdhsa_system_sgpr_workgroup_id_x 1
		.amdhsa_system_sgpr_workgroup_id_y 1
		.amdhsa_system_sgpr_workgroup_id_z 1
		.amdhsa_system_sgpr_workgroup_info 0
		.amdhsa_system_vgpr_workitem_id 0
		.amdhsa_next_free_vgpr 145
		.amdhsa_next_free_sgpr 38
		.amdhsa_reserve_vcc 1
		.amdhsa_float_round_mode_32 0
		.amdhsa_float_round_mode_16_64 0
		.amdhsa_float_denorm_mode_32 3
		.amdhsa_float_denorm_mode_16_64 3
		.amdhsa_dx10_clamp 1
		.amdhsa_ieee_mode 1
		.amdhsa_fp16_overflow 0
		.amdhsa_workgroup_processor_mode 1
		.amdhsa_memory_ordered 1
		.amdhsa_forward_progress 0
		.amdhsa_shared_vgpr_count 0
		.amdhsa_exception_fp_ieee_invalid_op 0
		.amdhsa_exception_fp_denorm_src 0
		.amdhsa_exception_fp_ieee_div_zero 0
		.amdhsa_exception_fp_ieee_overflow 0
		.amdhsa_exception_fp_ieee_underflow 0
		.amdhsa_exception_fp_ieee_inexact 0
		.amdhsa_exception_int_div_zero 0
	.end_amdhsa_kernel
	.section	.text._Z39paged_attention_ll4mi_QKV_mfma16_kernelI14__hip_bfloat16S0_LN4vllm18Fp8KVCacheDataTypeE0EhLi32ELi128ELi256ELb1ELi2EL8MFMAType0EEvPKT_PKT0_S9_ifPKiSB_SB_iPKfiiiPfSE_PS4_PT2_iSD_SD_,"axG",@progbits,_Z39paged_attention_ll4mi_QKV_mfma16_kernelI14__hip_bfloat16S0_LN4vllm18Fp8KVCacheDataTypeE0EhLi32ELi128ELi256ELb1ELi2EL8MFMAType0EEvPKT_PKT0_S9_ifPKiSB_SB_iPKfiiiPfSE_PS4_PT2_iSD_SD_,comdat
.Lfunc_end707:
	.size	_Z39paged_attention_ll4mi_QKV_mfma16_kernelI14__hip_bfloat16S0_LN4vllm18Fp8KVCacheDataTypeE0EhLi32ELi128ELi256ELb1ELi2EL8MFMAType0EEvPKT_PKT0_S9_ifPKiSB_SB_iPKfiiiPfSE_PS4_PT2_iSD_SD_, .Lfunc_end707-_Z39paged_attention_ll4mi_QKV_mfma16_kernelI14__hip_bfloat16S0_LN4vllm18Fp8KVCacheDataTypeE0EhLi32ELi128ELi256ELb1ELi2EL8MFMAType0EEvPKT_PKT0_S9_ifPKiSB_SB_iPKfiiiPfSE_PS4_PT2_iSD_SD_
                                        ; -- End function
	.section	.AMDGPU.csdata,"",@progbits
; Kernel info:
; codeLenInByte = 9548
; NumSgprs: 40
; NumVgprs: 145
; ScratchSize: 0
; MemoryBound: 0
; FloatMode: 240
; IeeeMode: 1
; LDSByteSize: 17472 bytes/workgroup (compile time only)
; SGPRBlocks: 4
; VGPRBlocks: 18
; NumSGPRsForWavesPerEU: 40
; NumVGPRsForWavesPerEU: 145
; Occupancy: 9
; WaveLimiterHint : 1
; COMPUTE_PGM_RSRC2:SCRATCH_EN: 0
; COMPUTE_PGM_RSRC2:USER_SGPR: 13
; COMPUTE_PGM_RSRC2:TRAP_HANDLER: 0
; COMPUTE_PGM_RSRC2:TGID_X_EN: 1
; COMPUTE_PGM_RSRC2:TGID_Y_EN: 1
; COMPUTE_PGM_RSRC2:TGID_Z_EN: 1
; COMPUTE_PGM_RSRC2:TIDIG_COMP_CNT: 0
	.section	.text._Z39paged_attention_ll4mi_QKV_mfma16_kernelI14__hip_bfloat16S0_LN4vllm18Fp8KVCacheDataTypeE0EhLi32ELi128ELi256ELb1ELi3EL8MFMAType0EEvPKT_PKT0_S9_ifPKiSB_SB_iPKfiiiPfSE_PS4_PT2_iSD_SD_,"axG",@progbits,_Z39paged_attention_ll4mi_QKV_mfma16_kernelI14__hip_bfloat16S0_LN4vllm18Fp8KVCacheDataTypeE0EhLi32ELi128ELi256ELb1ELi3EL8MFMAType0EEvPKT_PKT0_S9_ifPKiSB_SB_iPKfiiiPfSE_PS4_PT2_iSD_SD_,comdat
	.protected	_Z39paged_attention_ll4mi_QKV_mfma16_kernelI14__hip_bfloat16S0_LN4vllm18Fp8KVCacheDataTypeE0EhLi32ELi128ELi256ELb1ELi3EL8MFMAType0EEvPKT_PKT0_S9_ifPKiSB_SB_iPKfiiiPfSE_PS4_PT2_iSD_SD_ ; -- Begin function _Z39paged_attention_ll4mi_QKV_mfma16_kernelI14__hip_bfloat16S0_LN4vllm18Fp8KVCacheDataTypeE0EhLi32ELi128ELi256ELb1ELi3EL8MFMAType0EEvPKT_PKT0_S9_ifPKiSB_SB_iPKfiiiPfSE_PS4_PT2_iSD_SD_
	.globl	_Z39paged_attention_ll4mi_QKV_mfma16_kernelI14__hip_bfloat16S0_LN4vllm18Fp8KVCacheDataTypeE0EhLi32ELi128ELi256ELb1ELi3EL8MFMAType0EEvPKT_PKT0_S9_ifPKiSB_SB_iPKfiiiPfSE_PS4_PT2_iSD_SD_
	.p2align	8
	.type	_Z39paged_attention_ll4mi_QKV_mfma16_kernelI14__hip_bfloat16S0_LN4vllm18Fp8KVCacheDataTypeE0EhLi32ELi128ELi256ELb1ELi3EL8MFMAType0EEvPKT_PKT0_S9_ifPKiSB_SB_iPKfiiiPfSE_PS4_PT2_iSD_SD_,@function
_Z39paged_attention_ll4mi_QKV_mfma16_kernelI14__hip_bfloat16S0_LN4vllm18Fp8KVCacheDataTypeE0EhLi32ELi128ELi256ELb1ELi3EL8MFMAType0EEvPKT_PKT0_S9_ifPKiSB_SB_iPKfiiiPfSE_PS4_PT2_iSD_SD_: ; @_Z39paged_attention_ll4mi_QKV_mfma16_kernelI14__hip_bfloat16S0_LN4vllm18Fp8KVCacheDataTypeE0EhLi32ELi128ELi256ELb1ELi3EL8MFMAType0EEvPKT_PKT0_S9_ifPKiSB_SB_iPKfiiiPfSE_PS4_PT2_iSD_SD_
; %bb.0:
	s_load_b64 s[2:3], s[0:1], 0x30
	s_mov_b32 s30, s13
	s_waitcnt lgkmcnt(0)
	s_cmp_lg_u64 s[2:3], 0
	s_cselect_b32 s6, -1, 0
	s_ashr_i32 s31, s13, 31
	s_cmp_eq_u64 s[2:3], 0
	s_cbranch_scc1 .LBB708_3
; %bb.1:
	s_lshl_b64 s[4:5], s[30:31], 2
	s_delay_alu instid0(SALU_CYCLE_1) | instskip(SKIP_4) | instid1(SALU_CYCLE_1)
	s_add_u32 s4, s2, s4
	s_addc_u32 s5, s3, s5
	s_load_b64 s[4:5], s[4:5], 0x0
	s_waitcnt lgkmcnt(0)
	s_sub_i32 s4, s5, s4
	s_cmp_eq_u32 s4, 1
	s_cselect_b32 s4, -1, 0
	s_delay_alu instid0(SALU_CYCLE_1)
	s_and_not1_b32 vcc_lo, exec_lo, s4
	s_cbranch_vccz .LBB708_4
.LBB708_2:
	s_nop 0
	s_sendmsg sendmsg(MSG_DEALLOC_VGPRS)
	s_endpgm
.LBB708_3:
.LBB708_4:
	s_load_b64 s[8:9], s[0:1], 0x28
	s_lshl_b64 s[4:5], s[30:31], 2
	s_waitcnt lgkmcnt(0)
	s_add_u32 s8, s8, s4
	s_addc_u32 s9, s9, s5
	s_lshl_b32 s12, s14, 8
	s_load_b32 s17, s[8:9], 0x0
	s_waitcnt lgkmcnt(0)
	s_cmp_ge_i32 s12, s17
	s_cbranch_scc1 .LBB708_2
; %bb.5:
	s_and_not1_b32 vcc_lo, exec_lo, s6
	s_cbranch_vccnz .LBB708_7
; %bb.6:
	s_add_u32 s2, s2, s4
	s_addc_u32 s3, s3, s5
	s_load_b32 s13, s[2:3], 0x0
	s_branch .LBB708_8
.LBB708_7:
	s_mov_b32 s13, s30
.LBB708_8:
	s_clause 0x2
	s_load_b128 s[8:11], s[0:1], 0x8
	s_load_b64 s[2:3], s[0:1], 0x20
	s_load_b128 s[4:7], s[0:1], 0x48
	v_lshrrev_b32_e32 v74, 5, v0
	v_bfe_u32 v83, v0, 4, 1
	v_and_b32_e32 v73, 15, v0
	s_waitcnt lgkmcnt(0)
	s_mov_b32 s7, exec_lo
	s_delay_alu instid0(VALU_DEP_2) | instskip(NEXT) | instid1(VALU_DEP_2)
	v_lshl_or_b32 v3, v74, 1, v83
	v_lshlrev_b32_e32 v1, 3, v73
	s_delay_alu instid0(VALU_DEP_2)
	v_cmpx_lt_u32_e32 2, v3
	s_xor_b32 s7, exec_lo, s7
; %bb.9:
	v_mov_b32_e32 v2, 0
                                        ; implicit-def: $vgpr3
; %bb.10:
	s_or_saveexec_b32 s7, s7
	v_and_b32_e32 v75, 31, v0
	v_and_b32_e32 v84, 1, v0
	s_mul_i32 s31, s15, 3
	s_xor_b32 exec_lo, exec_lo, s7
	s_cbranch_execz .LBB708_12
; %bb.11:
	s_load_b64 s[18:19], s[0:1], 0x0
	v_add_lshl_u32 v4, v3, s31, 7
	s_mul_hi_i32 s21, s13, s4
	s_mul_i32 s20, s13, s4
	v_lshlrev_b32_e32 v2, 1, v1
	s_lshl_b64 s[20:21], s[20:21], 1
	v_ashrrev_i32_e32 v5, 31, v4
	v_lshlrev_b32_e32 v3, 6, v3
	v_lshlrev_b32_e32 v8, 10, v84
	s_delay_alu instid0(VALU_DEP_3) | instskip(SKIP_3) | instid1(VALU_DEP_1)
	v_lshlrev_b64 v[4:5], 1, v[4:5]
	s_waitcnt lgkmcnt(0)
	s_add_u32 s4, s18, s20
	s_addc_u32 s13, s19, s21
	v_add_co_u32 v4, vcc_lo, s4, v4
	s_delay_alu instid0(VALU_DEP_2) | instskip(NEXT) | instid1(VALU_DEP_2)
	v_add_co_ci_u32_e32 v5, vcc_lo, s13, v5, vcc_lo
	v_add_co_u32 v4, vcc_lo, v4, v2
	s_delay_alu instid0(VALU_DEP_2) | instskip(SKIP_3) | instid1(VALU_DEP_1)
	v_add_co_ci_u32_e32 v5, vcc_lo, 0, v5, vcc_lo
	v_lshlrev_b32_e32 v2, 10, v73
	global_load_b128 v[4:7], v[4:5], off
	v_and_b32_e32 v2, 0x3800, v2
	v_or3_b32 v3, v2, v8, v3
	v_mov_b32_e32 v2, 0
	s_waitcnt vmcnt(0)
	ds_store_b128 v3, v[4:7]
.LBB708_12:
	s_or_b32 exec_lo, exec_lo, s7
	v_and_b32_e32 v3, 0xef, v0
	v_mul_lo_u16 v80, 0x56, v73
	s_add_i32 s4, s17, 31
	s_clause 0x1
	s_load_b32 s7, s[0:1], 0x38
	s_load_b32 s18, s[0:1], 0x1c
	v_add_nc_u32_e32 v3, s12, v3
	v_lshrrev_b16 v80, 8, v80
	s_ashr_i32 s13, s4, 31
	s_waitcnt lgkmcnt(0)
	s_lshr_b32 s13, s13, 27
	v_ashrrev_i32_e32 v4, 31, v3
	v_mul_lo_u16 v80, v80, 3
	s_add_i32 s4, s4, s13
	v_cmp_gt_i32_e32 vcc_lo, s17, v3
	s_ashr_i32 s4, s4, 5
	v_lshrrev_b32_e32 v5, 27, v4
	v_or_b32_e32 v4, 16, v3
	v_sub_nc_u16 v80, v73, v80
	s_add_i32 s4, s4, -1
	s_barrier
	v_add_nc_u32_e32 v6, v3, v5
	v_add_nc_u32_e32 v5, v4, v5
	v_and_b32_e32 v80, 0xff, v80
	s_mul_i32 s20, s30, s7
	buffer_gl0_inv
	v_ashrrev_i32_e32 v6, 5, v6
	v_ashrrev_i32_e32 v5, 5, v5
	s_ashr_i32 s21, s20, 31
	v_lshlrev_b64 v[81:82], 1, v[1:2]
	s_lshl_b64 s[20:21], s[20:21], 2
	v_dual_cndmask_b32 v3, s4, v6 :: v_dual_lshlrev_b32 v80, 6, v80
	v_cmp_gt_i32_e32 vcc_lo, s17, v4
	s_add_u32 s13, s2, s20
	s_addc_u32 s16, s3, s21
	s_delay_alu instid0(VALU_DEP_2) | instskip(SKIP_3) | instid1(SALU_CYCLE_1)
	v_ashrrev_i32_e32 v4, 31, v3
	s_mul_i32 s2, s15, s6
	v_cndmask_b32_e32 v5, s4, v5, vcc_lo
	s_ashr_i32 s3, s2, 31
	s_lshl_b64 s[2:3], s[2:3], 1
	v_lshlrev_b64 v[3:4], 2, v[3:4]
	s_delay_alu instid0(VALU_DEP_2) | instskip(SKIP_3) | instid1(VALU_DEP_1)
	v_ashrrev_i32_e32 v6, 31, v5
	s_add_u32 s15, s8, s2
	s_addc_u32 s19, s9, s3
	s_lshl_b32 s6, s14, 3
	v_lshlrev_b64 v[5:6], 2, v[5:6]
	v_add_co_u32 v3, vcc_lo, s13, v3
	v_add_co_ci_u32_e32 v4, vcc_lo, s16, v4, vcc_lo
	s_ashr_i32 s7, s6, 31
	s_delay_alu instid0(VALU_DEP_3) | instskip(NEXT) | instid1(VALU_DEP_4)
	v_add_co_u32 v5, vcc_lo, s13, v5
	v_add_co_ci_u32_e32 v6, vcc_lo, s16, v6, vcc_lo
	s_clause 0x1
	global_load_b32 v7, v[3:4], off
	global_load_b32 v8, v[5:6], off
	s_lshl_b64 s[6:7], s[6:7], 2
	s_delay_alu instid0(SALU_CYCLE_1) | instskip(SKIP_2) | instid1(SALU_CYCLE_1)
	s_add_u32 s6, s13, s6
	s_addc_u32 s7, s16, s7
	s_or_b32 s8, s12, 32
	s_ashr_i32 s9, s8, 5
	s_cmp_lt_i32 s8, s17
	s_cselect_b32 s8, s9, s4
	s_delay_alu instid0(SALU_CYCLE_1) | instskip(NEXT) | instid1(SALU_CYCLE_1)
	s_ashr_i32 s9, s8, 31
	s_lshl_b64 s[8:9], s[8:9], 2
	s_delay_alu instid0(SALU_CYCLE_1) | instskip(SKIP_2) | instid1(SALU_CYCLE_1)
	s_add_u32 s8, s13, s8
	s_addc_u32 s9, s16, s9
	s_or_b32 s20, s12, 64
	s_ashr_i32 s21, s20, 5
	s_cmp_lt_i32 s20, s17
	s_cselect_b32 s20, s21, s4
	s_delay_alu instid0(SALU_CYCLE_1) | instskip(NEXT) | instid1(SALU_CYCLE_1)
	s_ashr_i32 s21, s20, 31
	;; [unrolled: 10-line block ×5, first 2 shown]
	s_lshl_b64 s[26:27], s[26:27], 2
	s_delay_alu instid0(SALU_CYCLE_1)
	s_add_u32 s26, s13, s26
	s_addc_u32 s27, s16, s27
	s_clause 0x5
	s_load_b32 s28, s[6:7], 0x0
	s_load_b32 s29, s[8:9], 0x0
	;; [unrolled: 1-line block ×6, first 2 shown]
	s_mov_b32 s20, 0
	s_or_b32 s6, s12, 0xc0
	s_mov_b32 s27, s20
	s_mov_b32 s21, s20
	;; [unrolled: 1-line block ×7, first 2 shown]
	s_delay_alu instid0(SALU_CYCLE_1)
	v_dual_mov_b32 v108, s27 :: v_dual_mov_b32 v107, s26
	v_dual_mov_b32 v106, s25 :: v_dual_mov_b32 v105, s24
	;; [unrolled: 1-line block ×4, first 2 shown]
	s_ashr_i32 s7, s6, 5
	s_cmp_lt_i32 s6, s17
	s_waitcnt lgkmcnt(0)
	s_mul_hi_i32 s9, s28, s5
	s_cselect_b32 s6, s7, s4
	s_mul_i32 s8, s28, s5
	s_ashr_i32 s7, s6, 31
	s_mul_hi_i32 s21, s29, s5
	s_lshl_b64 s[6:7], s[6:7], 2
	s_mul_i32 s20, s29, s5
	s_add_u32 s6, s13, s6
	s_addc_u32 s7, s16, s7
	s_mul_hi_i32 s25, s33, s5
	s_mul_i32 s24, s33, s5
	s_mul_hi_i32 s27, s34, s5
	s_mul_i32 s26, s34, s5
	s_mul_i32 s34, s36, s5
	s_waitcnt vmcnt(1)
	v_mad_i64_i32 v[3:4], null, v7, s5, 0
	s_waitcnt vmcnt(0)
	v_mad_i64_i32 v[5:6], null, v8, s5, 0
	s_delay_alu instid0(VALU_DEP_2) | instskip(NEXT) | instid1(VALU_DEP_2)
	v_lshlrev_b64 v[3:4], 1, v[3:4]
	v_lshlrev_b64 v[1:2], 1, v[5:6]
	s_delay_alu instid0(VALU_DEP_2) | instskip(NEXT) | instid1(VALU_DEP_3)
	v_add_co_u32 v3, vcc_lo, s15, v3
	v_add_co_ci_u32_e32 v4, vcc_lo, s19, v4, vcc_lo
	s_delay_alu instid0(VALU_DEP_3) | instskip(NEXT) | instid1(VALU_DEP_4)
	v_add_co_u32 v1, vcc_lo, s15, v1
	v_add_co_ci_u32_e32 v2, vcc_lo, s19, v2, vcc_lo
	s_delay_alu instid0(VALU_DEP_4) | instskip(NEXT) | instid1(VALU_DEP_4)
	v_add_co_u32 v65, vcc_lo, v3, v81
	v_add_co_ci_u32_e32 v66, vcc_lo, v4, v82, vcc_lo
	s_delay_alu instid0(VALU_DEP_4) | instskip(NEXT) | instid1(VALU_DEP_4)
	v_add_co_u32 v76, vcc_lo, v1, v81
	v_add_co_ci_u32_e32 v77, vcc_lo, v2, v82, vcc_lo
	s_clause 0xf
	global_load_b128 v[1:4], v[65:66], off
	global_load_b128 v[5:8], v[65:66], off offset:512
	global_load_b128 v[9:12], v[76:77], off offset:256
	;; [unrolled: 1-line block ×15, first 2 shown]
	v_add_co_u32 v78, vcc_lo, 0x1000, v65
	v_add_co_ci_u32_e32 v79, vcc_lo, 0, v66, vcc_lo
	v_add_co_u32 v76, vcc_lo, 0x1000, v76
	s_clause 0x1
	global_load_b128 v[65:68], v[78:79], off
	global_load_b128 v[69:72], v[78:79], off offset:512
	v_add_co_ci_u32_e32 v77, vcc_lo, 0, v77, vcc_lo
	ds_load_b128 v[85:88], v80
	ds_load_b128 v[89:92], v80 offset:1024
	s_clause 0x1
	global_load_b128 v[93:96], v[76:77], off offset:256
	global_load_b128 v[97:100], v[76:77], off offset:768
	ds_load_b128 v[109:112], v80 offset:2048
	ds_load_b128 v[113:116], v80 offset:3072
	s_or_b32 s15, s12, 0xe0
	s_delay_alu instid0(SALU_CYCLE_1) | instskip(SKIP_2) | instid1(SALU_CYCLE_1)
	s_ashr_i32 s19, s15, 5
	s_cmp_lt_i32 s15, s17
	s_cselect_b32 s22, s19, s4
	s_ashr_i32 s23, s22, 31
	s_delay_alu instid0(SALU_CYCLE_1) | instskip(NEXT) | instid1(SALU_CYCLE_1)
	s_lshl_b64 s[22:23], s[22:23], 2
	s_add_u32 s22, s13, s22
	s_addc_u32 s23, s16, s23
	s_add_i32 s15, s12, 0x100
	s_delay_alu instid0(SALU_CYCLE_1) | instskip(SKIP_2) | instid1(SALU_CYCLE_1)
	s_ashr_i32 s19, s15, 5
	s_cmp_lt_i32 s15, s17
	s_cselect_b32 s28, s19, s4
	s_ashr_i32 s29, s28, 31
	s_delay_alu instid0(SALU_CYCLE_1) | instskip(NEXT) | instid1(SALU_CYCLE_1)
	s_lshl_b64 s[28:29], s[28:29], 2
	s_add_u32 s28, s13, s28
	s_addc_u32 s29, s16, s29
	s_add_u32 s4, s10, s2
	s_addc_u32 s19, s11, s3
	s_lshl_b64 s[2:3], s[8:9], 1
	s_lshl_b64 s[8:9], s[20:21], 1
	;; [unrolled: 1-line block ×4, first 2 shown]
	s_waitcnt vmcnt(18) lgkmcnt(2)
	v_wmma_f32_16x16x16_bf16 v[117:124], v[1:8], v[85:92], v[101:108]
	s_waitcnt vmcnt(16)
	v_wmma_f32_16x16x16_bf16 v[101:108], v[9:16], v[85:92], v[101:108]
	s_clause 0x3
	global_load_b128 v[1:4], v[78:79], off offset:1024
	global_load_b128 v[5:8], v[78:79], off offset:1536
	;; [unrolled: 1-line block ×4, first 2 shown]
	s_waitcnt vmcnt(18) lgkmcnt(0)
	v_wmma_f32_16x16x16_bf16 v[117:124], v[17:24], v[109:116], v[117:124]
	s_clause 0x1
	global_load_b128 v[17:20], v[78:79], off offset:2048
	global_load_b128 v[21:24], v[78:79], off offset:2560
	s_waitcnt vmcnt(18)
	v_wmma_f32_16x16x16_bf16 v[101:108], v[25:32], v[109:116], v[101:108]
	ds_load_b128 v[25:28], v80 offset:4096
	ds_load_b128 v[29:32], v80 offset:5120
	s_clause 0x5
	global_load_b128 v[109:112], v[76:77], off offset:2304
	global_load_b128 v[113:116], v[76:77], off offset:2816
	;; [unrolled: 1-line block ×6, first 2 shown]
	s_waitcnt vmcnt(22) lgkmcnt(0)
	v_wmma_f32_16x16x16_bf16 v[117:124], v[33:40], v[25:32], v[117:124]
	s_waitcnt vmcnt(20)
	v_wmma_f32_16x16x16_bf16 v[101:108], v[41:48], v[25:32], v[101:108]
	ds_load_b128 v[25:28], v80 offset:6144
	ds_load_b128 v[29:32], v80 offset:7168
	;; [unrolled: 1-line block ×4, first 2 shown]
	s_waitcnt vmcnt(18) lgkmcnt(2)
	v_wmma_f32_16x16x16_bf16 v[117:124], v[49:56], v[25:32], v[117:124]
	s_waitcnt vmcnt(16)
	v_wmma_f32_16x16x16_bf16 v[101:108], v[57:64], v[25:32], v[101:108]
	ds_load_b128 v[25:28], v80 offset:10240
	ds_load_b128 v[29:32], v80 offset:11264
	;; [unrolled: 1-line block ×6, first 2 shown]
	s_waitcnt vmcnt(14) lgkmcnt(6)
	v_wmma_f32_16x16x16_bf16 v[117:124], v[65:72], v[33:40], v[117:124]
	s_waitcnt vmcnt(12)
	v_wmma_f32_16x16x16_bf16 v[101:108], v[93:100], v[33:40], v[101:108]
	s_clause 0x2
	s_load_b32 s15, s[6:7], 0x0
	s_load_b32 s13, s[22:23], 0x0
	;; [unrolled: 1-line block ×3, first 2 shown]
	s_mul_hi_i32 s7, s35, s5
	s_mul_i32 s6, s35, s5
	s_mul_hi_i32 s35, s36, s5
	s_lshl_b64 s[6:7], s[6:7], 1
	s_lshl_b64 s[22:23], s[34:35], 1
	s_waitcnt lgkmcnt(0)
	s_mul_hi_i32 s25, s15, s5
	s_mul_i32 s24, s15, s5
	s_waitcnt vmcnt(10)
	v_wmma_f32_16x16x16_bf16 v[117:124], v[1:8], v[25:32], v[117:124]
	s_waitcnt vmcnt(8)
	v_wmma_f32_16x16x16_bf16 v[101:108], v[9:16], v[25:32], v[101:108]
	s_waitcnt vmcnt(6)
	s_delay_alu instid0(VALU_DEP_2) | instskip(SKIP_1) | instid1(VALU_DEP_2)
	v_wmma_f32_16x16x16_bf16 v[117:124], v[17:24], v[141:148], v[117:124]
	s_waitcnt vmcnt(4)
	v_wmma_f32_16x16x16_bf16 v[101:108], v[109:116], v[141:148], v[101:108]
	s_waitcnt vmcnt(2)
	s_delay_alu instid0(VALU_DEP_2) | instskip(SKIP_3) | instid1(VALU_DEP_3)
	v_wmma_f32_16x16x16_bf16 v[117:124], v[125:132], v[149:156], v[117:124]
	v_lshlrev_b32_e32 v85, 6, v73
	s_waitcnt vmcnt(0)
	v_wmma_f32_16x16x16_bf16 v[101:108], v[133:140], v[149:156], v[101:108]
	v_mul_f32_e32 v100, s18, v124
	s_delay_alu instid0(VALU_DEP_3) | instskip(SKIP_2) | instid1(VALU_DEP_3)
	v_lshl_or_b32 v41, v74, 10, v85
	v_mul_f32_e32 v97, s18, v117
	v_mul_f32_e32 v99, s18, v118
	v_add_co_u32 v76, s4, s4, v41
	s_delay_alu instid0(VALU_DEP_1) | instskip(NEXT) | instid1(VALU_DEP_2)
	v_add_co_ci_u32_e64 v77, null, s19, 0, s4
	v_add_co_u32 v41, vcc_lo, v76, s2
	s_delay_alu instid0(VALU_DEP_2)
	v_add_co_ci_u32_e32 v42, vcc_lo, s3, v77, vcc_lo
	v_add_co_u32 v33, vcc_lo, v76, s8
	v_add_co_ci_u32_e32 v34, vcc_lo, s9, v77, vcc_lo
	v_add_co_u32 v35, vcc_lo, v76, s10
	;; [unrolled: 2-line block ×5, first 2 shown]
	s_lshl_b64 s[2:3], s[24:25], 1
	v_add_co_ci_u32_e32 v6, vcc_lo, s23, v77, vcc_lo
	s_mul_hi_i32 s7, s13, s5
	s_mul_i32 s6, s13, s5
	v_add_co_u32 v17, vcc_lo, v76, s2
	v_add_co_ci_u32_e32 v18, vcc_lo, s3, v77, vcc_lo
	s_lshl_b64 s[2:3], s[6:7], 1
	s_mul_hi_i32 s7, s16, s5
	s_mul_i32 s6, s16, s5
	v_add_co_u32 v19, vcc_lo, v76, s2
	v_add_co_ci_u32_e32 v20, vcc_lo, s3, v77, vcc_lo
	s_lshl_b64 s[2:3], s[6:7], 1
	s_clause 0x1
	global_load_b128 v[65:68], v[41:42], off
	global_load_b128 v[69:72], v[41:42], off offset:16
	v_add_co_u32 v21, vcc_lo, v76, s2
	v_add_co_ci_u32_e32 v22, vcc_lo, s3, v77, vcc_lo
	s_clause 0xf
	global_load_b128 v[57:60], v[33:34], off
	global_load_b128 v[61:64], v[33:34], off offset:16
	global_load_b128 v[49:52], v[35:36], off
	global_load_b128 v[53:56], v[35:36], off offset:16
	;; [unrolled: 2-line block ×8, first 2 shown]
	v_mbcnt_lo_u32_b32 v77, -1, 0
	v_and_b32_e32 v76, 0xe0, v0
	s_waitcnt vmcnt(0)
	s_barrier
	buffer_gl0_inv
	v_xor_b32_e32 v78, 16, v77
	s_delay_alu instid0(VALU_DEP_1) | instskip(SKIP_1) | instid1(VALU_DEP_1)
	v_cmp_gt_i32_e32 vcc_lo, 32, v78
	v_dual_cndmask_b32 v77, v77, v78 :: v_dual_add_nc_u32 v76, s12, v76
	v_or_b32_e32 v76, v76, v83
	s_delay_alu instid0(VALU_DEP_1)
	v_or_b32_e32 v78, 2, v76
	v_or_b32_e32 v79, 4, v76
	;; [unrolled: 1-line block ×3, first 2 shown]
	v_cmp_gt_i32_e32 vcc_lo, s17, v76
	v_or_b32_e32 v86, 8, v76
	v_cmp_gt_i32_e64 s2, s17, v78
	v_or_b32_e32 v87, 10, v76
	v_or_b32_e32 v88, 12, v76
	;; [unrolled: 1-line block ×11, first 2 shown]
	v_cndmask_b32_e64 v78, 0xff7fffff, v99, s2
	v_mul_f32_e32 v99, s18, v120
	v_cmp_gt_i32_e64 s3, s17, v80
	v_mul_f32_e32 v80, s18, v119
	v_cndmask_b32_e32 v76, 0xff7fffff, v97, vcc_lo
	v_cmp_gt_i32_e64 s4, s17, v79
	v_mul_f32_e32 v79, s18, v122
	v_cmp_gt_i32_e64 s5, s17, v86
	v_cmp_gt_i32_e64 s6, s17, v87
	v_max3_f32 v76, v76, 0xff7fffff, v78
	v_mul_f32_e32 v78, s18, v121
	v_cndmask_b32_e64 v80, 0xff7fffff, v80, s4
	v_mul_f32_e32 v86, s18, v107
	v_cndmask_b32_e64 v99, 0xff7fffff, v99, s3
	;; [unrolled: 2-line block ×3, first 2 shown]
	v_cndmask_b32_e64 v79, 0xff7fffff, v79, s6
	v_cmp_gt_i32_e64 s7, s17, v89
	v_max3_f32 v76, v76, v80, v99
	v_mul_f32_e32 v80, s18, v108
	v_cmp_gt_i32_e64 s8, s17, v88
	v_dual_mul_f32 v99, s18, v105 :: v_dual_mul_f32 v88, s18, v102
	s_delay_alu instid0(VALU_DEP_4) | instskip(SKIP_1) | instid1(VALU_DEP_4)
	v_max3_f32 v76, v76, v78, v79
	v_mul_f32_e32 v89, s18, v101
	v_cndmask_b32_e64 v97, 0xff7fffff, v97, s8
	v_cndmask_b32_e64 v100, 0xff7fffff, v100, s7
	v_cmp_gt_i32_e64 s9, s17, v90
	v_cmp_gt_i32_e64 s10, s17, v91
	v_dual_mul_f32 v78, s18, v104 :: v_dual_mul_f32 v79, s18, v103
	s_delay_alu instid0(VALU_DEP_4) | instskip(NEXT) | instid1(VALU_DEP_4)
	v_max3_f32 v76, v76, v97, v100
	v_cndmask_b32_e64 v89, 0xff7fffff, v89, s9
	s_delay_alu instid0(VALU_DEP_4)
	v_cndmask_b32_e64 v88, 0xff7fffff, v88, s10
	v_cmp_gt_i32_e64 s11, s17, v92
	v_cmp_gt_i32_e64 s12, s17, v93
	v_mul_f32_e32 v87, s18, v106
	v_cmp_gt_i32_e64 s13, s17, v94
	v_max3_f32 v76, v76, v89, v88
	v_cndmask_b32_e64 v79, 0xff7fffff, v79, s11
	v_cndmask_b32_e64 v78, 0xff7fffff, v78, s12
	v_cmp_gt_i32_e64 s15, s17, v95
	v_cndmask_b32_e64 v88, 0xff7fffff, v99, s13
	v_cmp_gt_i32_e64 s16, s17, v96
	v_cmp_gt_i32_e64 s17, s17, v98
	v_max3_f32 v76, v76, v79, v78
	v_cndmask_b32_e64 v87, 0xff7fffff, v87, s15
	v_lshlrev_b32_e32 v99, 2, v77
	v_cndmask_b32_e64 v78, 0xff7fffff, v86, s16
	v_cndmask_b32_e64 v79, 0xff7fffff, v80, s17
	s_delay_alu instid0(VALU_DEP_4) | instskip(NEXT) | instid1(VALU_DEP_1)
	v_max3_f32 v76, v76, v88, v87
	v_max3_f32 v76, v76, v78, v79
	ds_bpermute_b32 v77, v99, v76
	s_waitcnt lgkmcnt(0)
	v_max_f32_e32 v77, v77, v77
	s_delay_alu instid0(VALU_DEP_1) | instskip(NEXT) | instid1(VALU_DEP_1)
	v_max_f32_e32 v76, v76, v77
	v_fma_f32 v80, s18, v120, -v76
	v_fma_f32 v77, s18, v117, -v76
	;; [unrolled: 1-line block ×5, first 2 shown]
	v_mul_f32_e32 v80, 0x3fb8aa3b, v80
	v_fma_f32 v87, s18, v123, -v76
	v_mul_f32_e32 v78, 0x3fb8aa3b, v78
	v_fma_f32 v88, s18, v105, -v76
	v_mul_f32_e32 v86, 0x3fb8aa3b, v86
	v_exp_f32_e32 v80, v80
	v_fma_f32 v90, s18, v107, -v76
	v_exp_f32_e32 v78, v78
	v_fma_f32 v100, s18, v108, -v76
	v_exp_f32_e32 v86, v86
	v_mul_f32_e32 v88, 0x3fb8aa3b, v88
	s_delay_alu instid0(VALU_DEP_2) | instskip(NEXT) | instid1(TRANS32_DEP_3)
	v_mul_f32_e32 v100, 0x3fb8aa3b, v100
	v_cndmask_b32_e64 v95, 0, v80, s3
	v_mul_f32_e32 v77, 0x3fb8aa3b, v77
	s_delay_alu instid0(TRANS32_DEP_2) | instskip(SKIP_1) | instid1(TRANS32_DEP_1)
	v_cndmask_b32_e64 v91, 0, v78, s2
	v_fma_f32 v80, s18, v101, -v76
	v_cndmask_b32_e64 v96, 0, v86, s5
	v_fma_f32 v86, s18, v102, -v76
	v_exp_f32_e32 v77, v77
	s_delay_alu instid0(VALU_DEP_3) | instskip(SKIP_1) | instid1(VALU_DEP_2)
	v_dual_mul_f32 v79, 0x3fb8aa3b, v79 :: v_dual_mul_f32 v80, 0x3fb8aa3b, v80
	v_exp_f32_e32 v88, v88
	v_mul_f32_e32 v86, 0x3fb8aa3b, v86
	v_cmp_gt_u32_e64 s2, 16, v75
	v_exp_f32_e32 v100, v100
	v_exp_f32_e32 v80, v80
	s_delay_alu instid0(VALU_DEP_2) | instskip(SKIP_3) | instid1(VALU_DEP_1)
	v_exp_f32_e32 v86, v86
	v_cndmask_b32_e32 v92, 0, v77, vcc_lo
	v_exp_f32_e32 v79, v79
	v_fma_f32 v77, s18, v122, -v76
	v_dual_add_f32 v78, 0, v92 :: v_dual_mul_f32 v77, 0x3fb8aa3b, v77
	s_delay_alu instid0(VALU_DEP_1)
	v_add_f32_e32 v78, v78, v91
	s_waitcnt_depctr 0xfff
	v_cndmask_b32_e64 v93, 0, v79, s4
	v_fma_f32 v79, s18, v124, -v76
	v_mul_f32_e32 v87, 0x3fb8aa3b, v87
	v_exp_f32_e32 v77, v77
	s_delay_alu instid0(VALU_DEP_2) | instskip(NEXT) | instid1(VALU_DEP_2)
	v_dual_add_f32 v78, v78, v93 :: v_dual_mul_f32 v79, 0x3fb8aa3b, v79
	v_exp_f32_e32 v87, v87
	s_delay_alu instid0(VALU_DEP_1) | instskip(NEXT) | instid1(VALU_DEP_2)
	v_add_f32_e32 v78, v78, v95
	v_exp_f32_e32 v79, v79
	s_delay_alu instid0(TRANS32_DEP_3) | instskip(NEXT) | instid1(VALU_DEP_2)
	v_cndmask_b32_e64 v97, 0, v77, s6
	v_add_f32_e32 v77, v78, v96
	v_fma_f32 v78, s18, v103, -v76
	s_waitcnt_depctr 0xfff
	v_cndmask_b32_e64 v94, 0, v87, s8
	v_fma_f32 v87, s18, v104, -v76
	v_dual_add_f32 v77, v77, v97 :: v_dual_mul_f32 v78, 0x3fb8aa3b, v78
	v_cndmask_b32_e64 v98, 0, v79, s7
	s_delay_alu instid0(VALU_DEP_2) | instskip(SKIP_4) | instid1(VALU_DEP_2)
	v_add_f32_e32 v79, v77, v94
	v_cndmask_b32_e64 v77, 0, v80, s9
	v_fma_f32 v80, s18, v106, -v76
	v_exp_f32_e32 v89, v78
	v_cndmask_b32_e64 v78, 0, v86, s10
	v_dual_add_f32 v79, v79, v98 :: v_dual_mul_f32 v80, 0x3fb8aa3b, v80
	s_delay_alu instid0(VALU_DEP_1) | instskip(NEXT) | instid1(VALU_DEP_1)
	v_dual_mul_f32 v87, 0x3fb8aa3b, v87 :: v_dual_add_f32 v86, v79, v77
	v_exp_f32_e32 v87, v87
	s_waitcnt_depctr 0xfff
	v_cndmask_b32_e64 v79, 0, v89, s11
	v_add_f32_e32 v86, v86, v78
	v_mul_f32_e32 v89, 0x3fb8aa3b, v90
	v_exp_f32_e32 v90, v80
	v_cndmask_b32_e64 v80, 0, v87, s12
	s_delay_alu instid0(VALU_DEP_3) | instskip(SKIP_1) | instid1(VALU_DEP_2)
	v_add_f32_e32 v87, v86, v79
	v_cndmask_b32_e64 v86, 0, v88, s13
	v_add_f32_e32 v88, v87, v80
	v_exp_f32_e32 v89, v89
	s_waitcnt_depctr 0xfff
	v_cndmask_b32_e64 v87, 0, v90, s15
	v_add_f32_e32 v90, v88, v86
	v_cndmask_b32_e64 v88, 0, v89, s16
	s_delay_alu instid0(VALU_DEP_2) | instskip(NEXT) | instid1(VALU_DEP_1)
	v_add_f32_e32 v89, v90, v87
	v_add_f32_e32 v90, v89, v88
	v_cndmask_b32_e64 v89, 0, v100, s17
	s_delay_alu instid0(VALU_DEP_1)
	v_add_f32_e32 v90, v90, v89
	ds_bpermute_b32 v99, v99, v90
	s_and_saveexec_b32 s3, s2
	s_cbranch_execz .LBB708_14
; %bb.13:
	v_mul_u32_u24_e32 v75, 0x44, v74
	s_waitcnt lgkmcnt(0)
	v_add_f32_e32 v90, v90, v99
	s_delay_alu instid0(VALU_DEP_2) | instskip(NEXT) | instid1(VALU_DEP_1)
	v_lshl_add_u32 v75, v73, 2, v75
	v_add_nc_u32_e32 v75, 0x4000, v75
	ds_store_2addr_b32 v75, v76, v90 offset1:136
.LBB708_14:
	s_or_b32 exec_lo, exec_lo, s3
	v_lshlrev_b32_e32 v75, 2, v73
	s_waitcnt lgkmcnt(0)
	s_barrier
	buffer_gl0_inv
	v_cmp_eq_u32_e64 s3, 1, v74
	v_add_nc_u32_e32 v90, 0x4000, v75
	ds_load_2addr_b32 v[99:100], v90 offset1:17
	ds_load_2addr_b32 v[101:102], v90 offset0:34 offset1:51
	ds_load_2addr_b32 v[103:104], v90 offset0:68 offset1:85
	;; [unrolled: 1-line block ×4, first 2 shown]
	s_waitcnt lgkmcnt(4)
	v_max3_f32 v75, v99, 0xff7fffff, v100
	s_waitcnt lgkmcnt(3)
	s_delay_alu instid0(VALU_DEP_1) | instskip(SKIP_1) | instid1(VALU_DEP_1)
	v_max3_f32 v75, v75, v101, v102
	s_waitcnt lgkmcnt(2)
	v_max3_f32 v75, v75, v103, v104
	s_waitcnt lgkmcnt(1)
	s_delay_alu instid0(VALU_DEP_1) | instskip(NEXT) | instid1(VALU_DEP_1)
	v_max3_f32 v75, v75, v105, v106
	v_sub_f32_e32 v109, v100, v75
	v_sub_f32_e32 v76, v99, v75
	ds_load_2addr_b32 v[99:100], v90 offset0:170 offset1:187
	v_sub_f32_e32 v101, v101, v75
	v_dual_mul_f32 v109, 0x3fb8aa3b, v109 :: v_dual_mul_f32 v76, 0x3fb8aa3b, v76
	s_delay_alu instid0(VALU_DEP_2) | instskip(NEXT) | instid1(VALU_DEP_2)
	v_mul_f32_e32 v111, 0x3fb8aa3b, v101
	v_exp_f32_e32 v109, v109
	s_delay_alu instid0(VALU_DEP_2)
	v_exp_f32_e32 v110, v76
	v_sub_f32_e32 v76, v102, v75
	ds_load_2addr_b32 v[101:102], v90 offset0:204 offset1:221
	v_exp_f32_e32 v111, v111
	v_mul_f32_e32 v112, 0x3fb8aa3b, v76
	s_waitcnt lgkmcnt(2)
	v_fma_f32 v76, v110, v107, 0
	v_sub_f32_e32 v103, v103, v75
	s_delay_alu instid0(VALU_DEP_3) | instskip(NEXT) | instid1(VALU_DEP_2)
	v_exp_f32_e32 v112, v112
	v_dual_sub_f32 v107, v104, v75 :: v_dual_fmac_f32 v76, v109, v108
	s_waitcnt lgkmcnt(1)
	s_waitcnt_depctr 0xfff
	v_fmac_f32_e32 v76, v111, v99
	v_mul_f32_e32 v113, 0x3fb8aa3b, v103
	ds_load_2addr_b32 v[103:104], v90 offset0:238 offset1:255
	v_sub_f32_e32 v90, v105, v75
	v_dual_sub_f32 v99, v106, v75 :: v_dual_fmac_f32 v76, v112, v100
	v_mul_f32_e32 v105, 0x3fb8aa3b, v107
	v_exp_f32_e32 v107, v113
	s_delay_alu instid0(VALU_DEP_2)
	v_dual_mul_f32 v90, 0x3fb8aa3b, v90 :: v_dual_mul_f32 v99, 0x3fb8aa3b, v99
	s_waitcnt lgkmcnt(0)
	s_barrier
	buffer_gl0_inv
	v_exp_f32_e32 v90, v90
	v_exp_f32_e32 v99, v99
	v_fmac_f32_e32 v76, v107, v101
	v_exp_f32_e32 v105, v105
	s_waitcnt_depctr 0xfff
	v_fmac_f32_e32 v76, v105, v102
	s_delay_alu instid0(VALU_DEP_1) | instskip(NEXT) | instid1(VALU_DEP_1)
	v_fmac_f32_e32 v76, v90, v103
	v_fmac_f32_e32 v76, v99, v104
	s_delay_alu instid0(VALU_DEP_1) | instskip(NEXT) | instid1(VALU_DEP_1)
	v_add_f32_e32 v100, 0x358637bd, v76
	v_div_scale_f32 v101, null, v100, v100, 1.0
	v_div_scale_f32 v104, vcc_lo, 1.0, v100, 1.0
	s_delay_alu instid0(VALU_DEP_2) | instskip(SKIP_2) | instid1(VALU_DEP_1)
	v_rcp_f32_e32 v102, v101
	s_waitcnt_depctr 0xfff
	v_fma_f32 v103, -v101, v102, 1.0
	v_fmac_f32_e32 v102, v103, v102
	v_cndmask_b32_e64 v103, v110, v109, s3
	v_cmp_eq_u32_e64 s3, 2, v74
	s_delay_alu instid0(VALU_DEP_3) | instskip(NEXT) | instid1(VALU_DEP_2)
	v_mul_f32_e32 v106, v104, v102
	v_cndmask_b32_e64 v103, v103, v111, s3
	v_cmp_eq_u32_e64 s3, 3, v74
	s_delay_alu instid0(VALU_DEP_3) | instskip(NEXT) | instid1(VALU_DEP_2)
	v_fma_f32 v108, -v101, v106, v104
	v_cndmask_b32_e64 v103, v103, v112, s3
	v_cmp_eq_u32_e64 s3, 4, v74
	s_delay_alu instid0(VALU_DEP_3) | instskip(NEXT) | instid1(VALU_DEP_2)
	v_fmac_f32_e32 v106, v108, v102
	v_cndmask_b32_e64 v103, v103, v107, s3
	s_delay_alu instid0(VALU_DEP_2) | instskip(SKIP_1) | instid1(VALU_DEP_2)
	v_fma_f32 v101, -v101, v106, v104
	v_cmp_eq_u32_e64 s3, 5, v74
	v_div_fmas_f32 v101, v101, v102, v106
	s_delay_alu instid0(VALU_DEP_2) | instskip(SKIP_2) | instid1(VALU_DEP_3)
	v_cndmask_b32_e64 v103, v103, v105, s3
	v_cmp_eq_u32_e32 vcc_lo, 6, v74
	s_mov_b32 s3, exec_lo
	v_div_fixup_f32 v100, v101, v100, 1.0
	s_delay_alu instid0(VALU_DEP_3) | instskip(SKIP_1) | instid1(VALU_DEP_2)
	v_cndmask_b32_e32 v90, v103, v90, vcc_lo
	v_cmp_eq_u32_e32 vcc_lo, 7, v74
	v_cndmask_b32_e32 v90, v90, v99, vcc_lo
	s_delay_alu instid0(VALU_DEP_1) | instskip(NEXT) | instid1(VALU_DEP_1)
	v_mul_f32_e32 v90, v90, v100
	v_mul_f32_e32 v100, v90, v92
	;; [unrolled: 1-line block ×6, first 2 shown]
	v_and_b32_e32 v101, 0x7f800000, v100
	v_mul_f32_e32 v99, v90, v95
	v_mul_f32_e32 v95, v90, v91
	;; [unrolled: 1-line block ×3, first 2 shown]
                                        ; implicit-def: $vgpr91
	s_delay_alu instid0(VALU_DEP_4)
	v_cmpx_ne_u32_e32 0x7f800000, v101
	s_xor_b32 s3, exec_lo, s3
; %bb.15:
	v_bfe_u32 v91, v100, 16, 1
	s_delay_alu instid0(VALU_DEP_1)
	v_add3_u32 v91, v100, v91, 0x7fff
                                        ; implicit-def: $vgpr100
; %bb.16:
	s_and_not1_saveexec_b32 s3, s3
; %bb.17:
	v_and_b32_e32 v91, 0xffff, v100
	v_or_b32_e32 v93, 0x10000, v100
	s_delay_alu instid0(VALU_DEP_2) | instskip(NEXT) | instid1(VALU_DEP_2)
	v_cmp_eq_u32_e32 vcc_lo, 0, v91
	v_cndmask_b32_e32 v91, v93, v100, vcc_lo
; %bb.18:
	s_or_b32 exec_lo, exec_lo, s3
	v_and_b32_e32 v93, 0x7f800000, v95
	s_delay_alu instid0(VALU_DEP_1) | instskip(SKIP_1) | instid1(SALU_CYCLE_1)
	v_cmp_ne_u32_e32 vcc_lo, 0x7f800000, v93
                                        ; implicit-def: $vgpr93
	s_and_saveexec_b32 s3, vcc_lo
	s_xor_b32 s3, exec_lo, s3
; %bb.19:
	v_bfe_u32 v93, v95, 16, 1
	s_delay_alu instid0(VALU_DEP_1)
	v_add3_u32 v93, v95, v93, 0x7fff
                                        ; implicit-def: $vgpr95
; %bb.20:
	s_and_not1_saveexec_b32 s3, s3
; %bb.21:
	v_and_b32_e32 v93, 0xffff, v95
	v_or_b32_e32 v100, 0x10000, v95
	s_delay_alu instid0(VALU_DEP_2) | instskip(NEXT) | instid1(VALU_DEP_2)
	v_cmp_eq_u32_e32 vcc_lo, 0, v93
	v_cndmask_b32_e32 v93, v100, v95, vcc_lo
; %bb.22:
	s_or_b32 exec_lo, exec_lo, s3
	v_and_b32_e32 v95, 0x7f800000, v96
	s_delay_alu instid0(VALU_DEP_1) | instskip(SKIP_1) | instid1(SALU_CYCLE_1)
	v_cmp_ne_u32_e32 vcc_lo, 0x7f800000, v95
                                        ; implicit-def: $vgpr95
	s_and_saveexec_b32 s3, vcc_lo
	s_xor_b32 s3, exec_lo, s3
; %bb.23:
	v_bfe_u32 v95, v96, 16, 1
	s_delay_alu instid0(VALU_DEP_1)
	v_add3_u32 v95, v96, v95, 0x7fff
                                        ; implicit-def: $vgpr96
; %bb.24:
	s_and_not1_saveexec_b32 s3, s3
; %bb.25:
	v_and_b32_e32 v95, 0xffff, v96
	v_or_b32_e32 v100, 0x10000, v96
	s_delay_alu instid0(VALU_DEP_2) | instskip(NEXT) | instid1(VALU_DEP_2)
	v_cmp_eq_u32_e32 vcc_lo, 0, v95
	v_cndmask_b32_e32 v95, v100, v96, vcc_lo
; %bb.26:
	s_or_b32 exec_lo, exec_lo, s3
	v_and_b32_e32 v96, 0x7f800000, v99
	s_delay_alu instid0(VALU_DEP_1) | instskip(SKIP_1) | instid1(SALU_CYCLE_1)
	v_cmp_ne_u32_e32 vcc_lo, 0x7f800000, v96
                                        ; implicit-def: $vgpr96
	s_and_saveexec_b32 s3, vcc_lo
	s_xor_b32 s3, exec_lo, s3
; %bb.27:
	v_bfe_u32 v96, v99, 16, 1
	s_delay_alu instid0(VALU_DEP_1)
	v_add3_u32 v96, v99, v96, 0x7fff
                                        ; implicit-def: $vgpr99
; %bb.28:
	s_and_not1_saveexec_b32 s3, s3
; %bb.29:
	v_and_b32_e32 v96, 0xffff, v99
	v_or_b32_e32 v100, 0x10000, v99
	s_delay_alu instid0(VALU_DEP_2) | instskip(NEXT) | instid1(VALU_DEP_2)
	v_cmp_eq_u32_e32 vcc_lo, 0, v96
	v_cndmask_b32_e32 v96, v100, v99, vcc_lo
; %bb.30:
	s_or_b32 exec_lo, exec_lo, s3
	v_and_b32_e32 v99, 0x7f800000, v98
	s_delay_alu instid0(VALU_DEP_1) | instskip(SKIP_1) | instid1(SALU_CYCLE_1)
	v_cmp_ne_u32_e32 vcc_lo, 0x7f800000, v99
                                        ; implicit-def: $vgpr99
	s_and_saveexec_b32 s3, vcc_lo
	s_xor_b32 s3, exec_lo, s3
; %bb.31:
	v_bfe_u32 v99, v98, 16, 1
	s_delay_alu instid0(VALU_DEP_1)
	v_add3_u32 v99, v98, v99, 0x7fff
                                        ; implicit-def: $vgpr98
; %bb.32:
	s_and_not1_saveexec_b32 s3, s3
; %bb.33:
	v_and_b32_e32 v99, 0xffff, v98
	v_or_b32_e32 v100, 0x10000, v98
	s_delay_alu instid0(VALU_DEP_2) | instskip(NEXT) | instid1(VALU_DEP_2)
	v_cmp_eq_u32_e32 vcc_lo, 0, v99
	v_cndmask_b32_e32 v99, v100, v98, vcc_lo
; %bb.34:
	s_or_b32 exec_lo, exec_lo, s3
	v_and_b32_e32 v98, 0x7f800000, v97
	s_delay_alu instid0(VALU_DEP_1) | instskip(SKIP_1) | instid1(SALU_CYCLE_1)
	v_cmp_ne_u32_e32 vcc_lo, 0x7f800000, v98
                                        ; implicit-def: $vgpr98
	s_and_saveexec_b32 s3, vcc_lo
	s_xor_b32 s3, exec_lo, s3
; %bb.35:
	v_bfe_u32 v98, v97, 16, 1
	s_delay_alu instid0(VALU_DEP_1)
	v_add3_u32 v98, v97, v98, 0x7fff
                                        ; implicit-def: $vgpr97
; %bb.36:
	s_and_not1_saveexec_b32 s3, s3
; %bb.37:
	v_and_b32_e32 v98, 0xffff, v97
	v_or_b32_e32 v100, 0x10000, v97
	s_delay_alu instid0(VALU_DEP_2) | instskip(NEXT) | instid1(VALU_DEP_2)
	v_cmp_eq_u32_e32 vcc_lo, 0, v98
	v_cndmask_b32_e32 v98, v100, v97, vcc_lo
; %bb.38:
	s_or_b32 exec_lo, exec_lo, s3
	v_and_b32_e32 v97, 0x7f800000, v94
	s_delay_alu instid0(VALU_DEP_1) | instskip(SKIP_1) | instid1(SALU_CYCLE_1)
	v_cmp_ne_u32_e32 vcc_lo, 0x7f800000, v97
                                        ; implicit-def: $vgpr97
	s_and_saveexec_b32 s3, vcc_lo
	s_xor_b32 s3, exec_lo, s3
; %bb.39:
	v_bfe_u32 v97, v94, 16, 1
	s_delay_alu instid0(VALU_DEP_1)
	v_add3_u32 v97, v94, v97, 0x7fff
                                        ; implicit-def: $vgpr94
; %bb.40:
	s_and_not1_saveexec_b32 s3, s3
; %bb.41:
	v_and_b32_e32 v97, 0xffff, v94
	v_or_b32_e32 v100, 0x10000, v94
	s_delay_alu instid0(VALU_DEP_2) | instskip(NEXT) | instid1(VALU_DEP_2)
	v_cmp_eq_u32_e32 vcc_lo, 0, v97
	v_cndmask_b32_e32 v97, v100, v94, vcc_lo
; %bb.42:
	s_or_b32 exec_lo, exec_lo, s3
	v_and_b32_e32 v94, 0x7f800000, v92
	s_delay_alu instid0(VALU_DEP_1) | instskip(SKIP_1) | instid1(SALU_CYCLE_1)
	v_cmp_ne_u32_e32 vcc_lo, 0x7f800000, v94
                                        ; implicit-def: $vgpr94
	s_and_saveexec_b32 s3, vcc_lo
	s_xor_b32 s3, exec_lo, s3
; %bb.43:
	v_bfe_u32 v94, v92, 16, 1
	s_delay_alu instid0(VALU_DEP_1)
	v_add3_u32 v94, v92, v94, 0x7fff
                                        ; implicit-def: $vgpr92
; %bb.44:
	s_and_not1_saveexec_b32 s3, s3
; %bb.45:
	v_and_b32_e32 v94, 0xffff, v92
	v_or_b32_e32 v100, 0x10000, v92
	s_delay_alu instid0(VALU_DEP_2) | instskip(NEXT) | instid1(VALU_DEP_2)
	v_cmp_eq_u32_e32 vcc_lo, 0, v94
	v_cndmask_b32_e32 v94, v100, v92, vcc_lo
; %bb.46:
	s_or_b32 exec_lo, exec_lo, s3
	s_load_b64 s[34:35], s[0:1], 0x94
	v_lshlrev_b32_e32 v92, 4, v83
	s_delay_alu instid0(VALU_DEP_2)
	v_perm_b32 v100, v94, v97, 0x7060302
	v_dual_mul_f32 v89, v90, v89 :: v_dual_lshlrev_b32 v94, 11, v74
	v_perm_b32 v97, v93, v91, 0x7060302
	v_mul_f32_e32 v93, v90, v77
	v_perm_b32 v99, v98, v99, 0x7060302
	v_perm_b32 v98, v96, v95, 0x7060302
	v_or3_b32 v77, v92, v94, v85
	v_mul_f32_e32 v88, v90, v88
	v_dual_mul_f32 v87, v90, v87 :: v_dual_and_b32 v94, 0x7f800000, v93
	v_mul_f32_e32 v86, v90, v86
	v_mul_f32_e32 v91, v90, v80
	;; [unrolled: 1-line block ×4, first 2 shown]
	s_mov_b32 s3, exec_lo
	ds_store_b128 v77, v[97:100]
                                        ; implicit-def: $vgpr78
	v_cmpx_ne_u32_e32 0x7f800000, v94
	s_xor_b32 s3, exec_lo, s3
; %bb.47:
	v_bfe_u32 v78, v93, 16, 1
	s_delay_alu instid0(VALU_DEP_1)
	v_add3_u32 v78, v93, v78, 0x7fff
                                        ; implicit-def: $vgpr93
; %bb.48:
	s_and_not1_saveexec_b32 s3, s3
; %bb.49:
	v_and_b32_e32 v78, 0xffff, v93
	v_or_b32_e32 v79, 0x10000, v93
	s_delay_alu instid0(VALU_DEP_2) | instskip(NEXT) | instid1(VALU_DEP_2)
	v_cmp_eq_u32_e32 vcc_lo, 0, v78
	v_cndmask_b32_e32 v78, v79, v93, vcc_lo
; %bb.50:
	s_or_b32 exec_lo, exec_lo, s3
	v_and_b32_e32 v79, 0x7f800000, v80
	s_delay_alu instid0(VALU_DEP_1) | instskip(SKIP_1) | instid1(SALU_CYCLE_1)
	v_cmp_ne_u32_e32 vcc_lo, 0x7f800000, v79
                                        ; implicit-def: $vgpr79
	s_and_saveexec_b32 s3, vcc_lo
	s_xor_b32 s3, exec_lo, s3
; %bb.51:
	v_bfe_u32 v79, v80, 16, 1
	s_delay_alu instid0(VALU_DEP_1)
	v_add3_u32 v79, v80, v79, 0x7fff
                                        ; implicit-def: $vgpr80
; %bb.52:
	s_and_not1_saveexec_b32 s3, s3
; %bb.53:
	v_and_b32_e32 v79, 0xffff, v80
	v_or_b32_e32 v90, 0x10000, v80
	s_delay_alu instid0(VALU_DEP_2) | instskip(NEXT) | instid1(VALU_DEP_2)
	v_cmp_eq_u32_e32 vcc_lo, 0, v79
	v_cndmask_b32_e32 v79, v90, v80, vcc_lo
; %bb.54:
	s_or_b32 exec_lo, exec_lo, s3
	v_and_b32_e32 v80, 0x7f800000, v92
	s_delay_alu instid0(VALU_DEP_1) | instskip(SKIP_1) | instid1(SALU_CYCLE_1)
	v_cmp_ne_u32_e32 vcc_lo, 0x7f800000, v80
                                        ; implicit-def: $vgpr80
	s_and_saveexec_b32 s3, vcc_lo
	s_xor_b32 s3, exec_lo, s3
; %bb.55:
	v_bfe_u32 v80, v92, 16, 1
	s_delay_alu instid0(VALU_DEP_1)
	v_add3_u32 v80, v92, v80, 0x7fff
                                        ; implicit-def: $vgpr92
; %bb.56:
	s_and_not1_saveexec_b32 s3, s3
; %bb.57:
	v_and_b32_e32 v80, 0xffff, v92
	v_or_b32_e32 v90, 0x10000, v92
	s_delay_alu instid0(VALU_DEP_2) | instskip(NEXT) | instid1(VALU_DEP_2)
	v_cmp_eq_u32_e32 vcc_lo, 0, v80
	v_cndmask_b32_e32 v80, v90, v92, vcc_lo
; %bb.58:
	s_or_b32 exec_lo, exec_lo, s3
	v_and_b32_e32 v90, 0x7f800000, v91
	s_delay_alu instid0(VALU_DEP_1) | instskip(SKIP_1) | instid1(SALU_CYCLE_1)
	v_cmp_ne_u32_e32 vcc_lo, 0x7f800000, v90
                                        ; implicit-def: $vgpr90
	s_and_saveexec_b32 s3, vcc_lo
	s_xor_b32 s3, exec_lo, s3
; %bb.59:
	v_bfe_u32 v90, v91, 16, 1
	s_delay_alu instid0(VALU_DEP_1)
	v_add3_u32 v90, v91, v90, 0x7fff
                                        ; implicit-def: $vgpr91
; %bb.60:
	s_and_not1_saveexec_b32 s3, s3
; %bb.61:
	v_and_b32_e32 v90, 0xffff, v91
	v_or_b32_e32 v92, 0x10000, v91
	s_delay_alu instid0(VALU_DEP_2) | instskip(NEXT) | instid1(VALU_DEP_2)
	v_cmp_eq_u32_e32 vcc_lo, 0, v90
	v_cndmask_b32_e32 v90, v92, v91, vcc_lo
; %bb.62:
	s_or_b32 exec_lo, exec_lo, s3
	v_and_b32_e32 v91, 0x7f800000, v86
	s_delay_alu instid0(VALU_DEP_1) | instskip(SKIP_1) | instid1(SALU_CYCLE_1)
	v_cmp_ne_u32_e32 vcc_lo, 0x7f800000, v91
                                        ; implicit-def: $vgpr91
	s_and_saveexec_b32 s3, vcc_lo
	s_xor_b32 s3, exec_lo, s3
; %bb.63:
	v_bfe_u32 v91, v86, 16, 1
	s_delay_alu instid0(VALU_DEP_1)
	v_add3_u32 v91, v86, v91, 0x7fff
                                        ; implicit-def: $vgpr86
; %bb.64:
	s_and_not1_saveexec_b32 s3, s3
; %bb.65:
	v_and_b32_e32 v91, 0xffff, v86
	v_or_b32_e32 v92, 0x10000, v86
	s_delay_alu instid0(VALU_DEP_2) | instskip(NEXT) | instid1(VALU_DEP_2)
	v_cmp_eq_u32_e32 vcc_lo, 0, v91
	v_cndmask_b32_e32 v91, v92, v86, vcc_lo
; %bb.66:
	s_or_b32 exec_lo, exec_lo, s3
	v_and_b32_e32 v86, 0x7f800000, v87
	s_delay_alu instid0(VALU_DEP_1) | instskip(SKIP_1) | instid1(SALU_CYCLE_1)
	v_cmp_ne_u32_e32 vcc_lo, 0x7f800000, v86
                                        ; implicit-def: $vgpr86
	s_and_saveexec_b32 s3, vcc_lo
	s_xor_b32 s3, exec_lo, s3
; %bb.67:
	v_bfe_u32 v86, v87, 16, 1
	s_delay_alu instid0(VALU_DEP_1)
	v_add3_u32 v86, v87, v86, 0x7fff
                                        ; implicit-def: $vgpr87
; %bb.68:
	s_and_not1_saveexec_b32 s3, s3
; %bb.69:
	v_and_b32_e32 v86, 0xffff, v87
	v_or_b32_e32 v92, 0x10000, v87
	s_delay_alu instid0(VALU_DEP_2) | instskip(NEXT) | instid1(VALU_DEP_2)
	v_cmp_eq_u32_e32 vcc_lo, 0, v86
	v_cndmask_b32_e32 v86, v92, v87, vcc_lo
; %bb.70:
	s_or_b32 exec_lo, exec_lo, s3
	v_and_b32_e32 v87, 0x7f800000, v88
	s_delay_alu instid0(VALU_DEP_1) | instskip(SKIP_1) | instid1(SALU_CYCLE_1)
	v_cmp_ne_u32_e32 vcc_lo, 0x7f800000, v87
                                        ; implicit-def: $vgpr87
	s_and_saveexec_b32 s3, vcc_lo
	s_xor_b32 s3, exec_lo, s3
; %bb.71:
	v_bfe_u32 v87, v88, 16, 1
	s_delay_alu instid0(VALU_DEP_1)
	v_add3_u32 v87, v88, v87, 0x7fff
                                        ; implicit-def: $vgpr88
; %bb.72:
	s_and_not1_saveexec_b32 s3, s3
; %bb.73:
	v_and_b32_e32 v87, 0xffff, v88
	v_or_b32_e32 v92, 0x10000, v88
	s_delay_alu instid0(VALU_DEP_2) | instskip(NEXT) | instid1(VALU_DEP_2)
	v_cmp_eq_u32_e32 vcc_lo, 0, v87
	v_cndmask_b32_e32 v87, v92, v88, vcc_lo
; %bb.74:
	s_or_b32 exec_lo, exec_lo, s3
	v_and_b32_e32 v88, 0x7f800000, v89
	s_delay_alu instid0(VALU_DEP_1) | instskip(SKIP_1) | instid1(SALU_CYCLE_1)
	v_cmp_ne_u32_e32 vcc_lo, 0x7f800000, v88
                                        ; implicit-def: $vgpr88
	s_and_saveexec_b32 s3, vcc_lo
	s_xor_b32 s3, exec_lo, s3
; %bb.75:
	v_bfe_u32 v88, v89, 16, 1
	s_delay_alu instid0(VALU_DEP_1)
	v_add3_u32 v88, v89, v88, 0x7fff
                                        ; implicit-def: $vgpr89
; %bb.76:
	s_and_not1_saveexec_b32 s3, s3
; %bb.77:
	v_and_b32_e32 v88, 0xffff, v89
	v_or_b32_e32 v92, 0x10000, v89
	s_delay_alu instid0(VALU_DEP_2) | instskip(NEXT) | instid1(VALU_DEP_2)
	v_cmp_eq_u32_e32 vcc_lo, 0, v88
	v_cndmask_b32_e32 v88, v92, v89, vcc_lo
; %bb.78:
	s_or_b32 exec_lo, exec_lo, s3
	s_delay_alu instid0(VALU_DEP_1)
	v_perm_b32 v89, v88, v87, 0x7060302
	v_perm_b32 v88, v86, v91, 0x7060302
	;; [unrolled: 1-line block ×4, first 2 shown]
	v_lshl_or_b32 v90, v74, 11, v85
	ds_store_b128 v77, v[86:89] offset:1024
	s_waitcnt lgkmcnt(0)
	s_barrier
	buffer_gl0_inv
	ds_load_b128 v[91:94], v90
	ds_load_b128 v[95:98], v90 offset:16
	v_lshlrev_b32_e32 v87, 2, v83
	s_delay_alu instid0(VALU_DEP_1)
	v_or_b32_e32 v88, 1, v87
	v_cmp_eq_u32_e32 vcc_lo, 1, v87
	v_cmp_eq_u32_e64 s4, 2, v87
	v_cmp_eq_u32_e64 s7, 3, v87
	;; [unrolled: 1-line block ×6, first 2 shown]
	v_or_b32_e32 v86, 2, v87
	v_cmp_eq_u32_e64 s10, 5, v87
	v_cmp_eq_u32_e64 s11, 4, v88
	;; [unrolled: 1-line block ×4, first 2 shown]
	s_waitcnt lgkmcnt(1)
	v_lshrrev_b32_e32 v74, 16, v91
	s_waitcnt lgkmcnt(0)
	v_lshrrev_b32_e32 v103, 16, v95
	v_lshrrev_b32_e32 v80, 16, v94
	;; [unrolled: 1-line block ×4, first 2 shown]
	v_cndmask_b32_e32 v89, v91, v74, vcc_lo
	v_cndmask_b32_e32 v99, v95, v103, vcc_lo
	v_cndmask_b32_e64 v100, v91, v74, s3
	v_lshrrev_b32_e32 v79, 16, v93
	v_lshrrev_b32_e32 v108, 16, v97
	v_cndmask_b32_e64 v89, v89, v92, s4
	v_cndmask_b32_e64 v99, v99, v96, s4
	;; [unrolled: 1-line block ×4, first 2 shown]
	v_cmp_eq_u32_e64 s5, 1, v86
	v_cndmask_b32_e64 v89, v89, v78, s7
	v_cndmask_b32_e64 v99, v99, v107, s7
	;; [unrolled: 1-line block ×4, first 2 shown]
	v_lshrrev_b32_e32 v109, 16, v98
	v_cndmask_b32_e64 v89, v89, v93, s9
	v_cndmask_b32_e64 v99, v99, v97, s9
	;; [unrolled: 1-line block ×8, first 2 shown]
	v_cmp_eq_u32_e64 s15, 7, v87
	v_cmp_eq_u32_e64 s16, 6, v88
	v_cndmask_b32_e64 v89, v89, v94, s12
	v_cndmask_b32_e64 v99, v99, v98, s12
	v_cmp_eq_u32_e64 s17, 2, v86
	v_cndmask_b32_e64 v101, v101, v97, s11
	v_cndmask_b32_e64 v100, v100, v94, s16
	;; [unrolled: 1-line block ×6, first 2 shown]
	v_cmp_eq_u32_e64 s18, 7, v88
	v_cmp_eq_u32_e64 s19, 3, v86
	;; [unrolled: 1-line block ×4, first 2 shown]
	v_cndmask_b32_e64 v99, v99, v96, s17
	v_cndmask_b32_e64 v112, v100, v80, s18
	;; [unrolled: 1-line block ×4, first 2 shown]
	v_or_b32_e32 v89, 3, v87
	v_cndmask_b32_e64 v105, v99, v107, s19
	v_cmp_eq_u32_e64 s24, 6, v86
	v_cndmask_b32_e64 v113, v100, v98, s16
	v_cndmask_b32_e64 v104, v101, v93, s20
	ds_load_b128 v[99:102], v90 offset:1024
	v_cmp_eq_u32_e64 s21, 1, v89
	v_cmp_eq_u32_e64 s23, 2, v89
	;; [unrolled: 1-line block ×3, first 2 shown]
	v_cndmask_b32_e64 v114, v104, v79, s22
	v_cmp_eq_u32_e64 s26, 4, v89
	v_cndmask_b32_e64 v74, v91, v74, s21
	v_cndmask_b32_e64 v91, v105, v97, s20
	;; [unrolled: 1-line block ×3, first 2 shown]
	ds_load_b128 v[103:106], v90 offset:1040
	v_cmp_eq_u32_e64 s28, 5, v89
	v_cndmask_b32_e64 v74, v74, v92, s23
	v_cndmask_b32_e64 v91, v91, v108, s22
	v_cndmask_b32_e64 v92, v95, v96, s23
	v_cmp_eq_u32_e64 s29, 6, v89
	v_cndmask_b32_e64 v95, v113, v109, s18
	v_cndmask_b32_e64 v74, v74, v78, s25
	;; [unrolled: 1-line block ×5, first 2 shown]
	s_waitcnt lgkmcnt(1)
	v_lshrrev_b32_e32 v96, 16, v99
	v_cndmask_b32_e64 v74, v74, v93, s26
	v_lshrrev_b32_e32 v107, 16, v100
	v_cndmask_b32_e64 v92, v92, v97, s26
	v_cmp_eq_u32_e64 s27, 7, v86
	v_cndmask_b32_e32 v93, v99, v96, vcc_lo
	v_cndmask_b32_e64 v74, v74, v79, s28
	s_delay_alu instid0(VALU_DEP_4)
	v_cndmask_b32_e64 v79, v92, v108, s28
	s_waitcnt lgkmcnt(0)
	v_lshrrev_b32_e32 v97, 16, v103
	v_cndmask_b32_e64 v92, v93, v100, s4
	v_cndmask_b32_e64 v93, v99, v96, s3
	;; [unrolled: 1-line block ×4, first 2 shown]
	v_cndmask_b32_e32 v108, v103, v97, vcc_lo
	v_cndmask_b32_e64 v92, v92, v107, s7
	v_cndmask_b32_e64 v93, v93, v100, s6
	v_lshrrev_b32_e32 v98, 16, v104
	v_cmp_eq_u32_e32 vcc_lo, 7, v89
	v_cndmask_b32_e64 v94, v108, v104, s4
	v_cndmask_b32_e64 v92, v92, v101, s9
	v_lshrrev_b32_e32 v108, 16, v101
	v_cndmask_b32_e64 v93, v93, v107, s8
	v_cndmask_b32_e32 v74, v74, v80, vcc_lo
	v_cndmask_b32_e64 v94, v94, v98, s7
	v_cndmask_b32_e32 v79, v79, v109, vcc_lo
	v_cndmask_b32_e64 v92, v92, v108, s10
	v_cndmask_b32_e64 v78, v78, v80, s27
	;; [unrolled: 1-line block ×4, first 2 shown]
	v_perm_b32 v94, v79, v74, 0x5040100
	v_cndmask_b32_e64 v79, v92, v102, s12
	v_perm_b32 v92, v95, v112, 0x5040100
	v_cndmask_b32_e64 v95, v99, v96, s5
	v_cndmask_b32_e64 v96, v99, v96, s21
	;; [unrolled: 1-line block ×16, first 2 shown]
	v_lshrrev_b32_e32 v109, 16, v105
	v_cndmask_b32_e64 v95, v95, v101, s20
	v_cndmask_b32_e64 v96, v96, v101, s26
	;; [unrolled: 1-line block ×6, first 2 shown]
	v_lshrrev_b32_e32 v80, 16, v102
	v_cndmask_b32_e64 v113, v93, v109, s10
	v_cndmask_b32_e64 v95, v95, v108, s22
	;; [unrolled: 1-line block ×6, first 2 shown]
	v_perm_b32 v93, v91, v78, 0x5040100
	v_cndmask_b32_e64 v74, v74, v102, s16
	v_cndmask_b32_e64 v78, v79, v80, s15
	;; [unrolled: 1-line block ×3, first 2 shown]
	v_lshrrev_b32_e32 v91, 16, v106
	v_cndmask_b32_e64 v95, v95, v102, s24
	v_cndmask_b32_e64 v96, v96, v102, s29
	;; [unrolled: 1-line block ×7, first 2 shown]
	v_cndmask_b32_e32 v80, v96, v80, vcc_lo
	v_cndmask_b32_e32 v96, v98, v91, vcc_lo
	v_cndmask_b32_e64 v99, v99, v91, s27
	v_cndmask_b32_e64 v100, v97, v91, s18
	;; [unrolled: 1-line block ×3, first 2 shown]
	v_perm_b32 v91, v111, v110, 0x5040100
	v_perm_b32 v98, v96, v80, 0x5040100
	;; [unrolled: 1-line block ×5, first 2 shown]
	s_mul_i32 s8, s35, 3
	s_mov_b32 s3, exec_lo
	ds_store_b128 v77, v[91:94]
	ds_store_b128 v77, v[95:98] offset:1024
	v_cmpx_gt_u32_e32 3, v0
	s_cbranch_execz .LBB708_80
; %bb.79:
	s_mul_i32 s4, s8, s30
	s_delay_alu instid0(SALU_CYCLE_1) | instskip(SKIP_1) | instid1(VALU_DEP_1)
	v_add3_u32 v77, s4, s31, v73
	s_load_b128 s[4:7], s[0:1], 0x58
	v_mad_u64_u32 v[73:74], null, v77, s34, s[14:15]
	s_delay_alu instid0(VALU_DEP_1) | instskip(NEXT) | instid1(VALU_DEP_1)
	v_ashrrev_i32_e32 v74, 31, v73
	v_lshlrev_b64 v[73:74], 2, v[73:74]
	s_waitcnt lgkmcnt(0)
	s_delay_alu instid0(VALU_DEP_1) | instskip(NEXT) | instid1(VALU_DEP_2)
	v_add_co_u32 v77, vcc_lo, s6, v73
	v_add_co_ci_u32_e32 v78, vcc_lo, s7, v74, vcc_lo
	v_add_co_u32 v73, vcc_lo, s4, v73
	v_add_co_ci_u32_e32 v74, vcc_lo, s5, v74, vcc_lo
	global_store_b32 v[77:78], v75, off
	global_store_b32 v[73:74], v76, off
.LBB708_80:
	s_or_b32 exec_lo, exec_lo, s3
	s_waitcnt lgkmcnt(0)
	s_waitcnt_vscnt null, 0x0
	s_barrier
	buffer_gl0_inv
	ds_load_b128 v[91:94], v85
	ds_load_b128 v[95:98], v85 offset:16
	ds_load_b128 v[103:106], v85 offset:1040
	;; [unrolled: 1-line block ×3, first 2 shown]
	v_mov_b32_e32 v73, 0
	ds_load_b128 v[111:114], v85 offset:2064
	ds_load_b128 v[107:110], v85 offset:2048
	;; [unrolled: 1-line block ×6, first 2 shown]
	v_mov_b32_e32 v74, v73
	v_mov_b32_e32 v75, v73
	;; [unrolled: 1-line block ×7, first 2 shown]
	s_waitcnt lgkmcnt(8)
	s_delay_alu instid0(VALU_DEP_1)
	v_wmma_f32_16x16x16_bf16 v[73:80], v[65:72], v[91:98], v[73:80]
	ds_load_b128 v[69:72], v85 offset:5136
	ds_load_b128 v[65:68], v85 offset:5120
	;; [unrolled: 1-line block ×4, first 2 shown]
	s_waitcnt lgkmcnt(10)
	v_wmma_f32_16x16x16_bf16 v[73:80], v[57:64], v[99:106], v[73:80]
	s_waitcnt lgkmcnt(8)
	s_delay_alu instid0(VALU_DEP_1)
	v_wmma_f32_16x16x16_bf16 v[73:80], v[57:64], v[107:114], v[73:80]
	ds_load_b128 v[61:64], v85 offset:7184
	ds_load_b128 v[57:60], v85 offset:7168
	;; [unrolled: 1-line block ×4, first 2 shown]
	s_waitcnt lgkmcnt(10)
	v_wmma_f32_16x16x16_bf16 v[73:80], v[49:56], v[115:122], v[73:80]
	s_waitcnt lgkmcnt(8)
	s_delay_alu instid0(VALU_DEP_1)
	v_wmma_f32_16x16x16_bf16 v[73:80], v[49:56], v[123:130], v[73:80]
	ds_load_b128 v[53:56], v85 offset:9232
	ds_load_b128 v[49:52], v85 offset:9216
	s_waitcnt lgkmcnt(8)
	v_wmma_f32_16x16x16_bf16 v[73:80], v[41:48], v[65:72], v[73:80]
	ds_load_b128 v[69:72], v85 offset:10256
	ds_load_b128 v[65:68], v85 offset:10240
	s_waitcnt lgkmcnt(8)
	;; [unrolled: 4-line block ×3, first 2 shown]
	v_wmma_f32_16x16x16_bf16 v[73:80], v[9:16], v[57:64], v[73:80]
	s_waitcnt lgkmcnt(6)
	s_delay_alu instid0(VALU_DEP_1)
	v_wmma_f32_16x16x16_bf16 v[73:80], v[9:16], v[99:106], v[73:80]
	ds_load_b128 v[13:16], v85 offset:12304
	ds_load_b128 v[9:12], v85 offset:12288
	s_waitcnt lgkmcnt(6)
	v_wmma_f32_16x16x16_bf16 v[73:80], v[1:8], v[49:56], v[73:80]
	ds_load_b128 v[53:56], v85 offset:13328
	ds_load_b128 v[49:52], v85 offset:13312
	s_waitcnt lgkmcnt(6)
	;; [unrolled: 4-line block ×4, first 2 shown]
	v_wmma_f32_16x16x16_bf16 v[73:80], v[33:40], v[9:16], v[73:80]
	s_waitcnt lgkmcnt(4)
	s_delay_alu instid0(VALU_DEP_1) | instskip(SKIP_1) | instid1(VALU_DEP_1)
	v_wmma_f32_16x16x16_bf16 v[73:80], v[25:32], v[49:56], v[73:80]
	s_waitcnt lgkmcnt(2)
	v_wmma_f32_16x16x16_bf16 v[73:80], v[25:32], v[1:8], v[73:80]
	s_waitcnt lgkmcnt(0)
	s_delay_alu instid0(VALU_DEP_1) | instskip(NEXT) | instid1(VALU_DEP_1)
	v_wmma_f32_16x16x16_bf16 v[73:80], v[17:24], v[41:48], v[73:80]
	v_and_b32_e32 v1, 0x7f800000, v73
	s_delay_alu instid0(VALU_DEP_1) | instskip(SKIP_1) | instid1(SALU_CYCLE_1)
	v_cmp_ne_u32_e32 vcc_lo, 0x7f800000, v1
                                        ; implicit-def: $vgpr1
	s_and_saveexec_b32 s3, vcc_lo
	s_xor_b32 s3, exec_lo, s3
; %bb.81:
	v_bfe_u32 v1, v73, 16, 1
	s_delay_alu instid0(VALU_DEP_1)
	v_add3_u32 v1, v73, v1, 0x7fff
; %bb.82:
	s_and_not1_saveexec_b32 s3, s3
; %bb.83:
	v_and_b32_e32 v1, 0xffff, v73
	v_or_b32_e32 v2, 0x10000, v73
	s_delay_alu instid0(VALU_DEP_2) | instskip(NEXT) | instid1(VALU_DEP_2)
	v_cmp_eq_u32_e32 vcc_lo, 0, v1
	v_cndmask_b32_e32 v1, v2, v73, vcc_lo
; %bb.84:
	s_or_b32 exec_lo, exec_lo, s3
	v_and_b32_e32 v2, 0x7f800000, v74
	s_delay_alu instid0(VALU_DEP_1) | instskip(SKIP_1) | instid1(SALU_CYCLE_1)
	v_cmp_ne_u32_e32 vcc_lo, 0x7f800000, v2
                                        ; implicit-def: $vgpr2
	s_and_saveexec_b32 s3, vcc_lo
	s_xor_b32 s3, exec_lo, s3
; %bb.85:
	v_bfe_u32 v2, v74, 16, 1
	s_delay_alu instid0(VALU_DEP_1)
	v_add3_u32 v2, v74, v2, 0x7fff
; %bb.86:
	s_and_not1_saveexec_b32 s3, s3
; %bb.87:
	v_and_b32_e32 v2, 0xffff, v74
	v_or_b32_e32 v3, 0x10000, v74
	s_delay_alu instid0(VALU_DEP_2) | instskip(NEXT) | instid1(VALU_DEP_2)
	v_cmp_eq_u32_e32 vcc_lo, 0, v2
	v_cndmask_b32_e32 v2, v3, v74, vcc_lo
; %bb.88:
	s_or_b32 exec_lo, exec_lo, s3
	v_and_b32_e32 v3, 0x7f800000, v75
	s_delay_alu instid0(VALU_DEP_1) | instskip(SKIP_1) | instid1(SALU_CYCLE_1)
	v_cmp_ne_u32_e32 vcc_lo, 0x7f800000, v3
                                        ; implicit-def: $vgpr3
	s_and_saveexec_b32 s3, vcc_lo
	s_xor_b32 s3, exec_lo, s3
; %bb.89:
	v_bfe_u32 v3, v75, 16, 1
	s_delay_alu instid0(VALU_DEP_1)
	v_add3_u32 v3, v75, v3, 0x7fff
; %bb.90:
	s_and_not1_saveexec_b32 s3, s3
; %bb.91:
	v_and_b32_e32 v3, 0xffff, v75
	v_or_b32_e32 v4, 0x10000, v75
	s_delay_alu instid0(VALU_DEP_2) | instskip(NEXT) | instid1(VALU_DEP_2)
	v_cmp_eq_u32_e32 vcc_lo, 0, v3
	v_cndmask_b32_e32 v3, v4, v75, vcc_lo
; %bb.92:
	s_or_b32 exec_lo, exec_lo, s3
	v_and_b32_e32 v4, 0x7f800000, v76
	s_delay_alu instid0(VALU_DEP_1) | instskip(SKIP_1) | instid1(SALU_CYCLE_1)
	v_cmp_ne_u32_e32 vcc_lo, 0x7f800000, v4
                                        ; implicit-def: $vgpr4
	s_and_saveexec_b32 s3, vcc_lo
	s_xor_b32 s3, exec_lo, s3
; %bb.93:
	v_bfe_u32 v4, v76, 16, 1
	s_delay_alu instid0(VALU_DEP_1)
	v_add3_u32 v4, v76, v4, 0x7fff
; %bb.94:
	s_and_not1_saveexec_b32 s3, s3
; %bb.95:
	v_and_b32_e32 v4, 0xffff, v76
	v_or_b32_e32 v5, 0x10000, v76
	s_delay_alu instid0(VALU_DEP_2) | instskip(NEXT) | instid1(VALU_DEP_2)
	v_cmp_eq_u32_e32 vcc_lo, 0, v4
	v_cndmask_b32_e32 v4, v5, v76, vcc_lo
; %bb.96:
	s_or_b32 exec_lo, exec_lo, s3
	v_and_b32_e32 v5, 0x7f800000, v77
	s_delay_alu instid0(VALU_DEP_1) | instskip(SKIP_1) | instid1(SALU_CYCLE_1)
	v_cmp_ne_u32_e32 vcc_lo, 0x7f800000, v5
                                        ; implicit-def: $vgpr5
	s_and_saveexec_b32 s3, vcc_lo
	s_xor_b32 s3, exec_lo, s3
; %bb.97:
	v_bfe_u32 v5, v77, 16, 1
	s_delay_alu instid0(VALU_DEP_1)
	v_add3_u32 v5, v77, v5, 0x7fff
; %bb.98:
	s_and_not1_saveexec_b32 s3, s3
; %bb.99:
	v_and_b32_e32 v5, 0xffff, v77
	v_or_b32_e32 v6, 0x10000, v77
	s_delay_alu instid0(VALU_DEP_2) | instskip(NEXT) | instid1(VALU_DEP_2)
	v_cmp_eq_u32_e32 vcc_lo, 0, v5
	v_cndmask_b32_e32 v5, v6, v77, vcc_lo
; %bb.100:
	s_or_b32 exec_lo, exec_lo, s3
	v_and_b32_e32 v6, 0x7f800000, v78
	s_delay_alu instid0(VALU_DEP_1) | instskip(SKIP_1) | instid1(SALU_CYCLE_1)
	v_cmp_ne_u32_e32 vcc_lo, 0x7f800000, v6
                                        ; implicit-def: $vgpr6
	s_and_saveexec_b32 s3, vcc_lo
	s_xor_b32 s3, exec_lo, s3
; %bb.101:
	v_bfe_u32 v6, v78, 16, 1
	s_delay_alu instid0(VALU_DEP_1)
	v_add3_u32 v6, v78, v6, 0x7fff
; %bb.102:
	s_and_not1_saveexec_b32 s3, s3
; %bb.103:
	v_and_b32_e32 v6, 0xffff, v78
	v_or_b32_e32 v7, 0x10000, v78
	s_delay_alu instid0(VALU_DEP_2) | instskip(NEXT) | instid1(VALU_DEP_2)
	v_cmp_eq_u32_e32 vcc_lo, 0, v6
	v_cndmask_b32_e32 v6, v7, v78, vcc_lo
; %bb.104:
	s_or_b32 exec_lo, exec_lo, s3
	v_and_b32_e32 v7, 0x7f800000, v79
	s_delay_alu instid0(VALU_DEP_1) | instskip(SKIP_1) | instid1(SALU_CYCLE_1)
	v_cmp_ne_u32_e32 vcc_lo, 0x7f800000, v7
                                        ; implicit-def: $vgpr7
	s_and_saveexec_b32 s3, vcc_lo
	s_xor_b32 s3, exec_lo, s3
; %bb.105:
	v_bfe_u32 v7, v79, 16, 1
	s_delay_alu instid0(VALU_DEP_1)
	v_add3_u32 v7, v79, v7, 0x7fff
; %bb.106:
	s_and_not1_saveexec_b32 s3, s3
; %bb.107:
	v_and_b32_e32 v7, 0xffff, v79
	v_or_b32_e32 v8, 0x10000, v79
	s_delay_alu instid0(VALU_DEP_2) | instskip(NEXT) | instid1(VALU_DEP_2)
	v_cmp_eq_u32_e32 vcc_lo, 0, v7
	v_cndmask_b32_e32 v7, v8, v79, vcc_lo
; %bb.108:
	s_or_b32 exec_lo, exec_lo, s3
	v_and_b32_e32 v8, 0x7f800000, v80
	s_delay_alu instid0(VALU_DEP_1) | instskip(SKIP_1) | instid1(SALU_CYCLE_1)
	v_cmp_ne_u32_e32 vcc_lo, 0x7f800000, v8
                                        ; implicit-def: $vgpr8
	s_and_saveexec_b32 s3, vcc_lo
	s_xor_b32 s3, exec_lo, s3
; %bb.109:
	v_bfe_u32 v8, v80, 16, 1
	s_delay_alu instid0(VALU_DEP_1)
	v_add3_u32 v8, v80, v8, 0x7fff
                                        ; implicit-def: $vgpr73_vgpr74_vgpr75_vgpr76_vgpr77_vgpr78_vgpr79_vgpr80
; %bb.110:
	s_and_not1_saveexec_b32 s3, s3
; %bb.111:
	v_and_b32_e32 v8, 0xffff, v80
	v_or_b32_e32 v9, 0x10000, v80
	s_delay_alu instid0(VALU_DEP_2) | instskip(NEXT) | instid1(VALU_DEP_2)
	v_cmp_eq_u32_e32 vcc_lo, 0, v8
	v_cndmask_b32_e32 v8, v9, v80, vcc_lo
; %bb.112:
	s_or_b32 exec_lo, exec_lo, s3
	s_delay_alu instid0(VALU_DEP_1)
	v_perm_b32 v7, v8, v7, 0x7060302
	v_perm_b32 v6, v6, v5, 0x7060302
	;; [unrolled: 1-line block ×4, first 2 shown]
	v_lshl_or_b32 v9, v83, 4, v90
	s_barrier
	buffer_gl0_inv
	v_cmp_eq_u32_e32 vcc_lo, 1, v87
	ds_store_b128 v9, v[4:7]
	s_waitcnt lgkmcnt(0)
	s_barrier
	buffer_gl0_inv
	ds_load_b128 v[1:4], v90
	ds_load_b128 v[5:8], v90 offset:16
	v_cmp_eq_u32_e64 s4, 2, v87
	v_cmp_eq_u32_e64 s3, 1, v88
	;; [unrolled: 1-line block ×5, first 2 shown]
	s_waitcnt lgkmcnt(1)
	v_lshrrev_b32_e32 v10, 16, v1
	s_waitcnt lgkmcnt(0)
	v_lshrrev_b32_e32 v14, 16, v5
	v_lshrrev_b32_e32 v15, 16, v6
	;; [unrolled: 1-line block ×4, first 2 shown]
	v_cndmask_b32_e64 v20, v1, v10, s3
	v_cndmask_b32_e32 v19, v5, v14, vcc_lo
	v_cndmask_b32_e64 v21, v5, v14, s3
	v_lshrrev_b32_e32 v16, 16, v7
	v_cmp_eq_u32_e64 s3, 1, v86
	v_lshrrev_b32_e32 v13, 16, v4
	v_cndmask_b32_e64 v19, v19, v6, s4
	v_lshrrev_b32_e32 v17, 16, v8
	s_delay_alu instid0(VALU_DEP_4) | instskip(SKIP_1) | instid1(VALU_DEP_4)
	v_cndmask_b32_e64 v22, v1, v10, s3
	v_cndmask_b32_e64 v23, v5, v14, s3
	;; [unrolled: 1-line block ×3, first 2 shown]
	v_cndmask_b32_e32 v18, v1, v10, vcc_lo
	v_cmp_eq_u32_e32 vcc_lo, 2, v88
	v_cmp_eq_u32_e64 s3, 2, v89
	v_cndmask_b32_e64 v22, v22, v2, s7
	v_cndmask_b32_e32 v20, v20, v2, vcc_lo
	v_cndmask_b32_e32 v21, v21, v6, vcc_lo
	v_cmp_eq_u32_e32 vcc_lo, 4, v87
	v_cndmask_b32_e32 v19, v19, v7, vcc_lo
	v_cndmask_b32_e64 v18, v18, v2, s4
	v_cmp_eq_u32_e64 s4, 3, v88
	s_delay_alu instid0(VALU_DEP_2) | instskip(NEXT) | instid1(VALU_DEP_2)
	v_cndmask_b32_e64 v18, v18, v11, s5
	v_cndmask_b32_e64 v21, v21, v15, s4
	v_cmp_eq_u32_e64 s5, 5, v87
	s_delay_alu instid0(VALU_DEP_3) | instskip(SKIP_1) | instid1(VALU_DEP_3)
	v_cndmask_b32_e32 v18, v18, v3, vcc_lo
	v_cmp_eq_u32_e32 vcc_lo, 4, v88
	v_cndmask_b32_e64 v19, v19, v16, s5
	s_delay_alu instid0(VALU_DEP_3) | instskip(SKIP_4) | instid1(VALU_DEP_3)
	v_cndmask_b32_e64 v18, v18, v12, s5
	v_cndmask_b32_e32 v21, v21, v7, vcc_lo
	v_cndmask_b32_e64 v20, v20, v11, s4
	v_cmp_eq_u32_e64 s4, 5, v88
	v_cmp_eq_u32_e64 s5, 6, v87
	v_cndmask_b32_e32 v20, v20, v3, vcc_lo
	s_delay_alu instid0(VALU_DEP_3) | instskip(SKIP_1) | instid1(VALU_DEP_4)
	v_cndmask_b32_e64 v21, v21, v16, s4
	v_cmp_eq_u32_e32 vcc_lo, 6, v88
	v_cndmask_b32_e64 v18, v18, v4, s5
	v_cndmask_b32_e64 v19, v19, v8, s5
	;; [unrolled: 1-line block ×3, first 2 shown]
	v_cmp_eq_u32_e64 s4, 1, v89
	v_cmp_eq_u32_e64 s5, 7, v87
	s_delay_alu instid0(VALU_DEP_3) | instskip(NEXT) | instid1(VALU_DEP_3)
	v_cndmask_b32_e32 v20, v20, v4, vcc_lo
	v_cndmask_b32_e64 v1, v1, v10, s4
	v_cndmask_b32_e64 v5, v5, v14, s4
	v_cmp_eq_u32_e64 s4, 3, v86
	v_cndmask_b32_e64 v14, v23, v6, s7
	v_cmp_eq_u32_e64 s7, 3, v89
	v_cndmask_b32_e64 v1, v1, v2, s3
	v_cndmask_b32_e64 v2, v5, v6, s3
	;; [unrolled: 1-line block ×3, first 2 shown]
	v_cmp_eq_u32_e64 s3, 4, v86
	v_cndmask_b32_e64 v6, v14, v15, s4
	v_cndmask_b32_e64 v1, v1, v11, s7
	v_cmp_eq_u32_e64 s4, 4, v89
	v_cndmask_b32_e64 v2, v2, v15, s7
	v_cndmask_b32_e64 v5, v10, v3, s3
	;; [unrolled: 3-line block ×3, first 2 shown]
	v_cndmask_b32_e64 v2, v2, v7, s4
	v_cmp_eq_u32_e64 s3, 5, v89
	v_cndmask_b32_e64 v5, v5, v12, s7
	v_cmp_eq_u32_e64 s4, 6, v86
	v_cndmask_b32_e64 v3, v6, v16, s7
	v_cmp_eq_u32_e64 s7, 6, v89
	v_cndmask_b32_e64 v1, v1, v12, s3
	v_cndmask_b32_e64 v2, v2, v16, s3
	;; [unrolled: 1-line block ×4, first 2 shown]
	v_cmp_eq_u32_e64 s3, 7, v89
	v_cndmask_b32_e64 v1, v1, v4, s7
	v_cndmask_b32_e64 v2, v2, v8, s7
	v_cmp_eq_u32_e64 s4, 7, v86
	v_cndmask_b32_e32 v4, v21, v8, vcc_lo
	v_cndmask_b32_e64 v18, v18, v13, s5
	v_cndmask_b32_e64 v20, v20, v13, s6
	;; [unrolled: 1-line block ×8, first 2 shown]
	s_mov_b32 s3, exec_lo
	v_perm_b32 v4, v2, v1, 0x5040100
	v_perm_b32 v3, v3, v5, 0x5040100
	;; [unrolled: 1-line block ×4, first 2 shown]
	ds_store_b128 v9, v[1:4]
	s_waitcnt lgkmcnt(0)
	s_barrier
	buffer_gl0_inv
	v_cmpx_gt_u32_e32 32, v0
	s_cbranch_execz .LBB708_2
; %bb.113:
	s_load_b64 s[4:5], s[0:1], 0x68
	v_lshlrev_b32_e32 v0, 10, v0
	v_lshlrev_b32_e32 v2, 4, v84
	v_add_nc_u32_e32 v1, s31, v83
	s_lshl_b32 s0, s34, 7
	s_delay_alu instid0(SALU_CYCLE_1) | instskip(NEXT) | instid1(VALU_DEP_2)
	s_mul_i32 s1, s0, s30
	v_and_or_b32 v0, 0x3800, v0, v2
	s_mul_i32 s6, s1, s8
	v_mul_lo_u32 v1, v1, s0
	s_ashr_i32 s7, s6, 31
	s_delay_alu instid0(VALU_DEP_2) | instskip(SKIP_1) | instid1(VALU_DEP_2)
	v_lshl_or_b32 v3, v83, 6, v0
	s_lshl_b64 s[6:7], s[6:7], 1
	v_ashrrev_i32_e32 v2, 31, v1
	ds_load_b128 v[3:6], v3
	s_waitcnt lgkmcnt(0)
	s_add_u32 s1, s4, s6
	s_addc_u32 s3, s5, s7
	s_lshl_b32 s4, s14, 7
	v_lshlrev_b64 v[7:8], 1, v[1:2]
	s_ashr_i32 s5, s4, 31
	s_delay_alu instid0(SALU_CYCLE_1) | instskip(NEXT) | instid1(SALU_CYCLE_1)
	s_lshl_b64 s[4:5], s[4:5], 1
	s_add_u32 s1, s1, s4
	s_addc_u32 s3, s3, s5
	v_add_co_u32 v1, vcc_lo, s1, v81
	v_add_co_ci_u32_e32 v2, vcc_lo, s3, v82, vcc_lo
	s_delay_alu instid0(VALU_DEP_2) | instskip(NEXT) | instid1(VALU_DEP_2)
	v_add_co_u32 v7, vcc_lo, v1, v7
	v_add_co_ci_u32_e32 v8, vcc_lo, v2, v8, vcc_lo
	global_store_b128 v[7:8], v[3:6], off
	s_and_b32 exec_lo, exec_lo, s2
	s_cbranch_execz .LBB708_2
; %bb.114:
	ds_load_b128 v[3:6], v0 offset:128
	s_add_i32 s1, s31, 2
	s_delay_alu instid0(SALU_CYCLE_1) | instskip(NEXT) | instid1(SALU_CYCLE_1)
	s_mul_i32 s0, s1, s0
	s_ashr_i32 s1, s0, 31
	s_delay_alu instid0(SALU_CYCLE_1) | instskip(NEXT) | instid1(SALU_CYCLE_1)
	s_lshl_b64 s[0:1], s[0:1], 1
	v_add_co_u32 v0, vcc_lo, v1, s0
	v_add_co_ci_u32_e32 v1, vcc_lo, s1, v2, vcc_lo
	s_waitcnt lgkmcnt(0)
	global_store_b128 v[0:1], v[3:6], off
	s_nop 0
	s_sendmsg sendmsg(MSG_DEALLOC_VGPRS)
	s_endpgm
	.section	.rodata,"a",@progbits
	.p2align	6, 0x0
	.amdhsa_kernel _Z39paged_attention_ll4mi_QKV_mfma16_kernelI14__hip_bfloat16S0_LN4vllm18Fp8KVCacheDataTypeE0EhLi32ELi128ELi256ELb1ELi3EL8MFMAType0EEvPKT_PKT0_S9_ifPKiSB_SB_iPKfiiiPfSE_PS4_PT2_iSD_SD_
		.amdhsa_group_segment_fixed_size 17472
		.amdhsa_private_segment_fixed_size 0
		.amdhsa_kernarg_size 400
		.amdhsa_user_sgpr_count 13
		.amdhsa_user_sgpr_dispatch_ptr 0
		.amdhsa_user_sgpr_queue_ptr 0
		.amdhsa_user_sgpr_kernarg_segment_ptr 1
		.amdhsa_user_sgpr_dispatch_id 0
		.amdhsa_user_sgpr_private_segment_size 0
		.amdhsa_wavefront_size32 1
		.amdhsa_uses_dynamic_stack 0
		.amdhsa_enable_private_segment 0
		.amdhsa_system_sgpr_workgroup_id_x 1
		.amdhsa_system_sgpr_workgroup_id_y 1
		.amdhsa_system_sgpr_workgroup_id_z 1
		.amdhsa_system_sgpr_workgroup_info 0
		.amdhsa_system_vgpr_workitem_id 0
		.amdhsa_next_free_vgpr 157
		.amdhsa_next_free_sgpr 37
		.amdhsa_reserve_vcc 1
		.amdhsa_float_round_mode_32 0
		.amdhsa_float_round_mode_16_64 0
		.amdhsa_float_denorm_mode_32 3
		.amdhsa_float_denorm_mode_16_64 3
		.amdhsa_dx10_clamp 1
		.amdhsa_ieee_mode 1
		.amdhsa_fp16_overflow 0
		.amdhsa_workgroup_processor_mode 1
		.amdhsa_memory_ordered 1
		.amdhsa_forward_progress 0
		.amdhsa_shared_vgpr_count 0
		.amdhsa_exception_fp_ieee_invalid_op 0
		.amdhsa_exception_fp_denorm_src 0
		.amdhsa_exception_fp_ieee_div_zero 0
		.amdhsa_exception_fp_ieee_overflow 0
		.amdhsa_exception_fp_ieee_underflow 0
		.amdhsa_exception_fp_ieee_inexact 0
		.amdhsa_exception_int_div_zero 0
	.end_amdhsa_kernel
	.section	.text._Z39paged_attention_ll4mi_QKV_mfma16_kernelI14__hip_bfloat16S0_LN4vllm18Fp8KVCacheDataTypeE0EhLi32ELi128ELi256ELb1ELi3EL8MFMAType0EEvPKT_PKT0_S9_ifPKiSB_SB_iPKfiiiPfSE_PS4_PT2_iSD_SD_,"axG",@progbits,_Z39paged_attention_ll4mi_QKV_mfma16_kernelI14__hip_bfloat16S0_LN4vllm18Fp8KVCacheDataTypeE0EhLi32ELi128ELi256ELb1ELi3EL8MFMAType0EEvPKT_PKT0_S9_ifPKiSB_SB_iPKfiiiPfSE_PS4_PT2_iSD_SD_,comdat
.Lfunc_end708:
	.size	_Z39paged_attention_ll4mi_QKV_mfma16_kernelI14__hip_bfloat16S0_LN4vllm18Fp8KVCacheDataTypeE0EhLi32ELi128ELi256ELb1ELi3EL8MFMAType0EEvPKT_PKT0_S9_ifPKiSB_SB_iPKfiiiPfSE_PS4_PT2_iSD_SD_, .Lfunc_end708-_Z39paged_attention_ll4mi_QKV_mfma16_kernelI14__hip_bfloat16S0_LN4vllm18Fp8KVCacheDataTypeE0EhLi32ELi128ELi256ELb1ELi3EL8MFMAType0EEvPKT_PKT0_S9_ifPKiSB_SB_iPKfiiiPfSE_PS4_PT2_iSD_SD_
                                        ; -- End function
	.section	.AMDGPU.csdata,"",@progbits
; Kernel info:
; codeLenInByte = 9664
; NumSgprs: 39
; NumVgprs: 157
; ScratchSize: 0
; MemoryBound: 0
; FloatMode: 240
; IeeeMode: 1
; LDSByteSize: 17472 bytes/workgroup (compile time only)
; SGPRBlocks: 4
; VGPRBlocks: 19
; NumSGPRsForWavesPerEU: 39
; NumVGPRsForWavesPerEU: 157
; Occupancy: 9
; WaveLimiterHint : 1
; COMPUTE_PGM_RSRC2:SCRATCH_EN: 0
; COMPUTE_PGM_RSRC2:USER_SGPR: 13
; COMPUTE_PGM_RSRC2:TRAP_HANDLER: 0
; COMPUTE_PGM_RSRC2:TGID_X_EN: 1
; COMPUTE_PGM_RSRC2:TGID_Y_EN: 1
; COMPUTE_PGM_RSRC2:TGID_Z_EN: 1
; COMPUTE_PGM_RSRC2:TIDIG_COMP_CNT: 0
	.section	.text._Z39paged_attention_ll4mi_QKV_mfma16_kernelI14__hip_bfloat16S0_LN4vllm18Fp8KVCacheDataTypeE0EhLi32ELi128ELi256ELb1ELi4EL8MFMAType0EEvPKT_PKT0_S9_ifPKiSB_SB_iPKfiiiPfSE_PS4_PT2_iSD_SD_,"axG",@progbits,_Z39paged_attention_ll4mi_QKV_mfma16_kernelI14__hip_bfloat16S0_LN4vllm18Fp8KVCacheDataTypeE0EhLi32ELi128ELi256ELb1ELi4EL8MFMAType0EEvPKT_PKT0_S9_ifPKiSB_SB_iPKfiiiPfSE_PS4_PT2_iSD_SD_,comdat
	.protected	_Z39paged_attention_ll4mi_QKV_mfma16_kernelI14__hip_bfloat16S0_LN4vllm18Fp8KVCacheDataTypeE0EhLi32ELi128ELi256ELb1ELi4EL8MFMAType0EEvPKT_PKT0_S9_ifPKiSB_SB_iPKfiiiPfSE_PS4_PT2_iSD_SD_ ; -- Begin function _Z39paged_attention_ll4mi_QKV_mfma16_kernelI14__hip_bfloat16S0_LN4vllm18Fp8KVCacheDataTypeE0EhLi32ELi128ELi256ELb1ELi4EL8MFMAType0EEvPKT_PKT0_S9_ifPKiSB_SB_iPKfiiiPfSE_PS4_PT2_iSD_SD_
	.globl	_Z39paged_attention_ll4mi_QKV_mfma16_kernelI14__hip_bfloat16S0_LN4vllm18Fp8KVCacheDataTypeE0EhLi32ELi128ELi256ELb1ELi4EL8MFMAType0EEvPKT_PKT0_S9_ifPKiSB_SB_iPKfiiiPfSE_PS4_PT2_iSD_SD_
	.p2align	8
	.type	_Z39paged_attention_ll4mi_QKV_mfma16_kernelI14__hip_bfloat16S0_LN4vllm18Fp8KVCacheDataTypeE0EhLi32ELi128ELi256ELb1ELi4EL8MFMAType0EEvPKT_PKT0_S9_ifPKiSB_SB_iPKfiiiPfSE_PS4_PT2_iSD_SD_,@function
_Z39paged_attention_ll4mi_QKV_mfma16_kernelI14__hip_bfloat16S0_LN4vllm18Fp8KVCacheDataTypeE0EhLi32ELi128ELi256ELb1ELi4EL8MFMAType0EEvPKT_PKT0_S9_ifPKiSB_SB_iPKfiiiPfSE_PS4_PT2_iSD_SD_: ; @_Z39paged_attention_ll4mi_QKV_mfma16_kernelI14__hip_bfloat16S0_LN4vllm18Fp8KVCacheDataTypeE0EhLi32ELi128ELi256ELb1ELi4EL8MFMAType0EEvPKT_PKT0_S9_ifPKiSB_SB_iPKfiiiPfSE_PS4_PT2_iSD_SD_
; %bb.0:
	s_load_b64 s[2:3], s[0:1], 0x30
	s_mov_b32 s30, s13
	s_waitcnt lgkmcnt(0)
	s_cmp_lg_u64 s[2:3], 0
	s_cselect_b32 s6, -1, 0
	s_ashr_i32 s31, s13, 31
	s_cmp_eq_u64 s[2:3], 0
	s_cbranch_scc1 .LBB709_3
; %bb.1:
	s_lshl_b64 s[4:5], s[30:31], 2
	s_delay_alu instid0(SALU_CYCLE_1) | instskip(SKIP_4) | instid1(SALU_CYCLE_1)
	s_add_u32 s4, s2, s4
	s_addc_u32 s5, s3, s5
	s_load_b64 s[4:5], s[4:5], 0x0
	s_waitcnt lgkmcnt(0)
	s_sub_i32 s4, s5, s4
	s_cmp_eq_u32 s4, 1
	s_cselect_b32 s4, -1, 0
	s_delay_alu instid0(SALU_CYCLE_1)
	s_and_not1_b32 vcc_lo, exec_lo, s4
	s_cbranch_vccz .LBB709_4
.LBB709_2:
	s_endpgm
.LBB709_3:
.LBB709_4:
	s_load_b64 s[8:9], s[0:1], 0x28
	s_lshl_b64 s[4:5], s[30:31], 2
	s_waitcnt lgkmcnt(0)
	s_add_u32 s8, s8, s4
	s_addc_u32 s9, s9, s5
	s_lshl_b32 s12, s14, 8
	s_load_b32 s17, s[8:9], 0x0
	s_waitcnt lgkmcnt(0)
	s_cmp_ge_i32 s12, s17
	s_cbranch_scc1 .LBB709_2
; %bb.5:
	s_and_not1_b32 vcc_lo, exec_lo, s6
	s_cbranch_vccnz .LBB709_7
; %bb.6:
	s_add_u32 s2, s2, s4
	s_addc_u32 s3, s3, s5
	s_load_b32 s13, s[2:3], 0x0
	s_branch .LBB709_8
.LBB709_7:
	s_mov_b32 s13, s30
.LBB709_8:
	s_clause 0x2
	s_load_b128 s[8:11], s[0:1], 0x8
	s_load_b64 s[2:3], s[0:1], 0x20
	s_load_b128 s[4:7], s[0:1], 0x48
	v_and_b32_e32 v74, 15, v0
	s_waitcnt lgkmcnt(0)
	s_mov_b32 s7, exec_lo
	s_delay_alu instid0(VALU_DEP_1)
	v_lshlrev_b32_e32 v1, 3, v74
	v_cmpx_lt_u32_e32 63, v0
	s_xor_b32 s7, exec_lo, s7
; %bb.9:
	v_mov_b32_e32 v2, 0
; %bb.10:
	s_or_saveexec_b32 s7, s7
	v_lshrrev_b32_e32 v73, 5, v0
	v_and_b32_e32 v75, 31, v0
	v_and_b32_e32 v84, 1, v0
	v_bfe_u32 v83, v0, 4, 1
	s_lshl_b32 s29, s15, 2
	s_xor_b32 exec_lo, exec_lo, s7
	s_cbranch_execz .LBB709_12
; %bb.11:
	s_delay_alu instid0(VALU_DEP_1)
	v_lshl_or_b32 v7, v73, 1, v83
	s_load_b64 s[18:19], s[0:1], 0x0
	s_mul_hi_i32 s21, s13, s4
	s_mul_i32 s20, s13, s4
	v_lshlrev_b32_e32 v4, 1, v1
	v_or_b32_e32 v2, s29, v7
	s_lshl_b64 s[20:21], s[20:21], 1
	v_lshlrev_b32_e32 v7, 6, v7
	v_lshlrev_b32_e32 v8, 10, v84
	s_delay_alu instid0(VALU_DEP_3) | instskip(NEXT) | instid1(VALU_DEP_1)
	v_lshlrev_b32_e32 v2, 7, v2
	v_ashrrev_i32_e32 v3, 31, v2
	s_delay_alu instid0(VALU_DEP_1) | instskip(SKIP_3) | instid1(VALU_DEP_1)
	v_lshlrev_b64 v[2:3], 1, v[2:3]
	s_waitcnt lgkmcnt(0)
	s_add_u32 s4, s18, s20
	s_addc_u32 s13, s19, s21
	v_add_co_u32 v2, vcc_lo, s4, v2
	s_delay_alu instid0(VALU_DEP_2) | instskip(NEXT) | instid1(VALU_DEP_2)
	v_add_co_ci_u32_e32 v3, vcc_lo, s13, v3, vcc_lo
	v_add_co_u32 v2, vcc_lo, v2, v4
	s_delay_alu instid0(VALU_DEP_2) | instskip(SKIP_2) | instid1(VALU_DEP_1)
	v_add_co_ci_u32_e32 v3, vcc_lo, 0, v3, vcc_lo
	global_load_b128 v[3:6], v[2:3], off
	v_lshlrev_b32_e32 v2, 10, v74
	v_and_b32_e32 v2, 0x3800, v2
	s_delay_alu instid0(VALU_DEP_1)
	v_or3_b32 v7, v2, v8, v7
	v_mov_b32_e32 v2, 0
	s_waitcnt vmcnt(0)
	ds_store_b128 v7, v[3:6]
.LBB709_12:
	s_or_b32 exec_lo, exec_lo, s7
	v_and_b32_e32 v3, 0xef, v0
	s_add_i32 s4, s17, 31
	s_clause 0x1
	s_load_b32 s7, s[0:1], 0x38
	s_load_b32 s18, s[0:1], 0x1c
	s_ashr_i32 s13, s4, 31
	v_add_nc_u32_e32 v3, s12, v3
	s_lshr_b32 s13, s13, 27
	s_waitcnt lgkmcnt(0)
	s_add_i32 s4, s4, s13
	s_barrier
	v_ashrrev_i32_e32 v4, 31, v3
	v_cmp_gt_i32_e32 vcc_lo, s17, v3
	s_ashr_i32 s4, s4, 5
	buffer_gl0_inv
	s_add_i32 s4, s4, -1
	v_lshrrev_b32_e32 v5, 27, v4
	v_or_b32_e32 v4, 16, v3
	v_lshlrev_b64 v[81:82], 1, v[1:2]
	v_and_b32_e32 v80, 3, v0
	s_delay_alu instid0(VALU_DEP_4) | instskip(NEXT) | instid1(VALU_DEP_4)
	v_add_nc_u32_e32 v6, v3, v5
	v_add_nc_u32_e32 v5, v4, v5
	s_mul_i32 s20, s30, s7
	s_delay_alu instid0(VALU_DEP_3) | instskip(SKIP_4) | instid1(SALU_CYCLE_1)
	v_lshlrev_b32_e32 v80, 6, v80
	s_ashr_i32 s21, s20, 31
	v_ashrrev_i32_e32 v6, 5, v6
	v_ashrrev_i32_e32 v5, 5, v5
	s_lshl_b64 s[20:21], s[20:21], 2
	s_add_u32 s7, s2, s20
	s_delay_alu instid0(VALU_DEP_2) | instskip(SKIP_3) | instid1(VALU_DEP_2)
	v_cndmask_b32_e32 v3, s4, v6, vcc_lo
	v_cmp_gt_i32_e32 vcc_lo, s17, v4
	s_addc_u32 s13, s3, s21
	s_mul_i32 s2, s15, s6
	v_ashrrev_i32_e32 v4, 31, v3
	v_cndmask_b32_e32 v5, s4, v5, vcc_lo
	s_ashr_i32 s3, s2, 31
	s_delay_alu instid0(SALU_CYCLE_1) | instskip(NEXT) | instid1(VALU_DEP_2)
	s_lshl_b64 s[2:3], s[2:3], 1
	v_lshlrev_b64 v[3:4], 2, v[3:4]
	s_delay_alu instid0(VALU_DEP_2) | instskip(SKIP_3) | instid1(VALU_DEP_1)
	v_ashrrev_i32_e32 v6, 31, v5
	s_add_u32 s6, s8, s2
	s_addc_u32 s15, s9, s3
	s_lshl_b32 s8, s14, 3
	v_lshlrev_b64 v[5:6], 2, v[5:6]
	v_add_co_u32 v3, vcc_lo, s7, v3
	v_add_co_ci_u32_e32 v4, vcc_lo, s13, v4, vcc_lo
	s_ashr_i32 s9, s8, 31
	s_delay_alu instid0(VALU_DEP_3) | instskip(NEXT) | instid1(VALU_DEP_4)
	v_add_co_u32 v5, vcc_lo, s7, v5
	v_add_co_ci_u32_e32 v6, vcc_lo, s13, v6, vcc_lo
	s_lshl_b64 s[8:9], s[8:9], 2
	s_clause 0x1
	global_load_b32 v7, v[3:4], off
	global_load_b32 v8, v[5:6], off
	s_add_u32 s8, s7, s8
	s_addc_u32 s9, s13, s9
	s_or_b32 s16, s12, 32
	s_delay_alu instid0(SALU_CYCLE_1) | instskip(SKIP_2) | instid1(SALU_CYCLE_1)
	s_ashr_i32 s19, s16, 5
	s_cmp_lt_i32 s16, s17
	s_cselect_b32 s20, s19, s4
	s_ashr_i32 s21, s20, 31
	s_delay_alu instid0(SALU_CYCLE_1) | instskip(NEXT) | instid1(SALU_CYCLE_1)
	s_lshl_b64 s[20:21], s[20:21], 2
	s_add_u32 s20, s7, s20
	s_addc_u32 s21, s13, s21
	s_or_b32 s16, s12, 64
	s_delay_alu instid0(SALU_CYCLE_1) | instskip(SKIP_2) | instid1(SALU_CYCLE_1)
	s_ashr_i32 s19, s16, 5
	s_cmp_lt_i32 s16, s17
	s_cselect_b32 s22, s19, s4
	s_ashr_i32 s23, s22, 31
	s_delay_alu instid0(SALU_CYCLE_1) | instskip(NEXT) | instid1(SALU_CYCLE_1)
	s_lshl_b64 s[22:23], s[22:23], 2
	;; [unrolled: 10-line block ×5, first 2 shown]
	s_add_u32 s34, s7, s34
	s_addc_u32 s35, s13, s35
	s_clause 0x5
	s_load_b32 s16, s[8:9], 0x0
	s_load_b32 s19, s[20:21], 0x0
	;; [unrolled: 1-line block ×6, first 2 shown]
	s_mov_b32 s20, 0
	s_delay_alu instid0(SALU_CYCLE_1)
	s_mov_b32 s27, s20
	s_mov_b32 s21, s20
	;; [unrolled: 1-line block ×7, first 2 shown]
	s_delay_alu instid0(SALU_CYCLE_1)
	v_dual_mov_b32 v108, s27 :: v_dual_mov_b32 v107, s26
	v_dual_mov_b32 v106, s25 :: v_dual_mov_b32 v105, s24
	v_mov_b32_e32 v102, s21
	v_dual_mov_b32 v104, s23 :: v_dual_mov_b32 v103, s22
	v_mov_b32_e32 v101, s20
	s_waitcnt lgkmcnt(0)
	s_mul_hi_i32 s21, s16, s5
	s_mul_i32 s20, s16, s5
	s_mul_hi_i32 s23, s19, s5
	s_mul_i32 s22, s19, s5
	;; [unrolled: 2-line block ×5, first 2 shown]
	s_waitcnt vmcnt(1)
	v_mad_i64_i32 v[3:4], null, v7, s5, 0
	s_waitcnt vmcnt(0)
	v_mad_i64_i32 v[5:6], null, v8, s5, 0
	s_delay_alu instid0(VALU_DEP_2) | instskip(NEXT) | instid1(VALU_DEP_2)
	v_lshlrev_b64 v[3:4], 1, v[3:4]
	v_lshlrev_b64 v[1:2], 1, v[5:6]
	s_delay_alu instid0(VALU_DEP_2) | instskip(NEXT) | instid1(VALU_DEP_3)
	v_add_co_u32 v3, vcc_lo, s6, v3
	v_add_co_ci_u32_e32 v4, vcc_lo, s15, v4, vcc_lo
	s_delay_alu instid0(VALU_DEP_3) | instskip(NEXT) | instid1(VALU_DEP_4)
	v_add_co_u32 v1, vcc_lo, s6, v1
	v_add_co_ci_u32_e32 v2, vcc_lo, s15, v2, vcc_lo
	s_delay_alu instid0(VALU_DEP_4) | instskip(NEXT) | instid1(VALU_DEP_4)
	v_add_co_u32 v65, vcc_lo, v3, v81
	v_add_co_ci_u32_e32 v66, vcc_lo, v4, v82, vcc_lo
	s_delay_alu instid0(VALU_DEP_4) | instskip(NEXT) | instid1(VALU_DEP_4)
	v_add_co_u32 v76, vcc_lo, v1, v81
	v_add_co_ci_u32_e32 v77, vcc_lo, v2, v82, vcc_lo
	s_clause 0xf
	global_load_b128 v[1:4], v[65:66], off
	global_load_b128 v[5:8], v[65:66], off offset:512
	global_load_b128 v[9:12], v[76:77], off offset:256
	;; [unrolled: 1-line block ×15, first 2 shown]
	v_add_co_u32 v78, vcc_lo, 0x1000, v65
	v_add_co_ci_u32_e32 v79, vcc_lo, 0, v66, vcc_lo
	v_add_co_u32 v76, vcc_lo, 0x1000, v76
	s_clause 0x1
	global_load_b128 v[65:68], v[78:79], off
	global_load_b128 v[69:72], v[78:79], off offset:512
	v_add_co_ci_u32_e32 v77, vcc_lo, 0, v77, vcc_lo
	ds_load_b128 v[85:88], v80
	ds_load_b128 v[89:92], v80 offset:1024
	s_clause 0x1
	global_load_b128 v[93:96], v[76:77], off offset:256
	global_load_b128 v[97:100], v[76:77], off offset:768
	ds_load_b128 v[109:112], v80 offset:2048
	ds_load_b128 v[113:116], v80 offset:3072
	s_or_b32 s6, s12, 0xc0
	s_delay_alu instid0(SALU_CYCLE_1) | instskip(SKIP_2) | instid1(SALU_CYCLE_1)
	s_ashr_i32 s8, s6, 5
	s_cmp_lt_i32 s6, s17
	s_cselect_b32 s8, s8, s4
	s_ashr_i32 s9, s8, 31
	s_delay_alu instid0(SALU_CYCLE_1) | instskip(NEXT) | instid1(SALU_CYCLE_1)
	s_lshl_b64 s[8:9], s[8:9], 2
	s_add_u32 s8, s7, s8
	s_addc_u32 s9, s13, s9
	s_or_b32 s6, s12, 0xe0
	s_delay_alu instid0(SALU_CYCLE_1) | instskip(SKIP_2) | instid1(SALU_CYCLE_1)
	s_ashr_i32 s15, s6, 5
	s_cmp_lt_i32 s6, s17
	s_cselect_b32 s24, s15, s4
	s_ashr_i32 s25, s24, 31
	s_delay_alu instid0(SALU_CYCLE_1) | instskip(NEXT) | instid1(SALU_CYCLE_1)
	s_lshl_b64 s[24:25], s[24:25], 2
	s_add_u32 s24, s7, s24
	s_addc_u32 s25, s13, s25
	s_add_i32 s6, s12, 0x100
	s_delay_alu instid0(SALU_CYCLE_1) | instskip(SKIP_2) | instid1(SALU_CYCLE_1)
	s_ashr_i32 s15, s6, 5
	s_cmp_lt_i32 s6, s17
	s_cselect_b32 s36, s15, s4
	s_ashr_i32 s37, s36, 31
	s_delay_alu instid0(SALU_CYCLE_1) | instskip(NEXT) | instid1(SALU_CYCLE_1)
	s_lshl_b64 s[36:37], s[36:37], 2
	s_add_u32 s6, s7, s36
	s_addc_u32 s7, s13, s37
	s_add_u32 s4, s10, s2
	s_addc_u32 s19, s11, s3
	s_lshl_b64 s[2:3], s[20:21], 1
	s_lshl_b64 s[10:11], s[26:27], 1
	;; [unrolled: 1-line block ×3, first 2 shown]
	s_waitcnt vmcnt(18) lgkmcnt(2)
	v_wmma_f32_16x16x16_bf16 v[117:124], v[1:8], v[85:92], v[101:108]
	s_waitcnt vmcnt(16)
	v_wmma_f32_16x16x16_bf16 v[101:108], v[9:16], v[85:92], v[101:108]
	s_clause 0x3
	global_load_b128 v[1:4], v[78:79], off offset:1024
	global_load_b128 v[5:8], v[78:79], off offset:1536
	global_load_b128 v[9:12], v[76:77], off offset:1280
	global_load_b128 v[13:16], v[76:77], off offset:1792
	s_waitcnt vmcnt(18) lgkmcnt(0)
	v_wmma_f32_16x16x16_bf16 v[117:124], v[17:24], v[109:116], v[117:124]
	s_clause 0x1
	global_load_b128 v[17:20], v[78:79], off offset:2048
	global_load_b128 v[21:24], v[78:79], off offset:2560
	s_waitcnt vmcnt(18)
	v_wmma_f32_16x16x16_bf16 v[101:108], v[25:32], v[109:116], v[101:108]
	ds_load_b128 v[25:28], v80 offset:4096
	ds_load_b128 v[29:32], v80 offset:5120
	s_clause 0x5
	global_load_b128 v[109:112], v[76:77], off offset:2304
	global_load_b128 v[113:116], v[76:77], off offset:2816
	;; [unrolled: 1-line block ×6, first 2 shown]
	s_waitcnt vmcnt(22) lgkmcnt(0)
	v_wmma_f32_16x16x16_bf16 v[117:124], v[33:40], v[25:32], v[117:124]
	s_waitcnt vmcnt(20)
	v_wmma_f32_16x16x16_bf16 v[101:108], v[41:48], v[25:32], v[101:108]
	ds_load_b128 v[25:28], v80 offset:6144
	ds_load_b128 v[29:32], v80 offset:7168
	;; [unrolled: 1-line block ×4, first 2 shown]
	s_waitcnt vmcnt(18) lgkmcnt(2)
	v_wmma_f32_16x16x16_bf16 v[117:124], v[49:56], v[25:32], v[117:124]
	s_waitcnt vmcnt(16)
	v_wmma_f32_16x16x16_bf16 v[101:108], v[57:64], v[25:32], v[101:108]
	ds_load_b128 v[25:28], v80 offset:10240
	ds_load_b128 v[29:32], v80 offset:11264
	;; [unrolled: 1-line block ×6, first 2 shown]
	s_waitcnt vmcnt(14) lgkmcnt(6)
	v_wmma_f32_16x16x16_bf16 v[117:124], v[65:72], v[33:40], v[117:124]
	s_waitcnt vmcnt(12)
	v_wmma_f32_16x16x16_bf16 v[101:108], v[93:100], v[33:40], v[101:108]
	s_clause 0x2
	s_load_b32 s16, s[8:9], 0x0
	s_load_b32 s13, s[24:25], 0x0
	;; [unrolled: 1-line block ×3, first 2 shown]
	s_lshl_b64 s[6:7], s[22:23], 1
	s_mul_hi_i32 s9, s33, s5
	s_mul_i32 s8, s33, s5
	s_lshl_b64 s[22:23], s[38:39], 1
	s_lshl_b64 s[8:9], s[8:9], 1
	s_waitcnt lgkmcnt(0)
	s_mul_hi_i32 s25, s16, s5
	s_mul_i32 s24, s16, s5
	s_waitcnt vmcnt(10)
	v_wmma_f32_16x16x16_bf16 v[117:124], v[1:8], v[25:32], v[117:124]
	s_waitcnt vmcnt(8)
	v_wmma_f32_16x16x16_bf16 v[101:108], v[9:16], v[25:32], v[101:108]
	s_waitcnt vmcnt(6)
	s_delay_alu instid0(VALU_DEP_2) | instskip(SKIP_1) | instid1(VALU_DEP_2)
	v_wmma_f32_16x16x16_bf16 v[117:124], v[17:24], v[141:148], v[117:124]
	s_waitcnt vmcnt(4)
	v_wmma_f32_16x16x16_bf16 v[101:108], v[109:116], v[141:148], v[101:108]
	s_waitcnt vmcnt(2)
	s_delay_alu instid0(VALU_DEP_2) | instskip(SKIP_3) | instid1(VALU_DEP_3)
	v_wmma_f32_16x16x16_bf16 v[117:124], v[125:132], v[149:156], v[117:124]
	v_lshlrev_b32_e32 v85, 6, v74
	s_waitcnt vmcnt(0)
	v_wmma_f32_16x16x16_bf16 v[101:108], v[133:140], v[149:156], v[101:108]
	v_mul_f32_e32 v100, s18, v124
	s_delay_alu instid0(VALU_DEP_3) | instskip(SKIP_2) | instid1(VALU_DEP_3)
	v_lshl_or_b32 v41, v73, 10, v85
	v_mul_f32_e32 v97, s18, v117
	v_mul_f32_e32 v99, s18, v118
	v_add_co_u32 v76, s4, s4, v41
	s_delay_alu instid0(VALU_DEP_1) | instskip(NEXT) | instid1(VALU_DEP_2)
	v_add_co_ci_u32_e64 v77, null, s19, 0, s4
	v_add_co_u32 v41, vcc_lo, v76, s2
	s_delay_alu instid0(VALU_DEP_2)
	v_add_co_ci_u32_e32 v42, vcc_lo, s3, v77, vcc_lo
	v_add_co_u32 v33, vcc_lo, v76, s6
	v_add_co_ci_u32_e32 v34, vcc_lo, s7, v77, vcc_lo
	v_add_co_u32 v35, vcc_lo, v76, s10
	;; [unrolled: 2-line block ×5, first 2 shown]
	s_lshl_b64 s[2:3], s[24:25], 1
	v_add_co_ci_u32_e32 v6, vcc_lo, s23, v77, vcc_lo
	s_mul_hi_i32 s7, s13, s5
	s_mul_i32 s6, s13, s5
	v_add_co_u32 v17, vcc_lo, v76, s2
	v_add_co_ci_u32_e32 v18, vcc_lo, s3, v77, vcc_lo
	s_lshl_b64 s[2:3], s[6:7], 1
	s_mul_hi_i32 s7, s15, s5
	s_mul_i32 s6, s15, s5
	v_add_co_u32 v19, vcc_lo, v76, s2
	v_add_co_ci_u32_e32 v20, vcc_lo, s3, v77, vcc_lo
	s_lshl_b64 s[2:3], s[6:7], 1
	s_clause 0x1
	global_load_b128 v[65:68], v[41:42], off
	global_load_b128 v[69:72], v[41:42], off offset:16
	v_add_co_u32 v21, vcc_lo, v76, s2
	v_add_co_ci_u32_e32 v22, vcc_lo, s3, v77, vcc_lo
	s_clause 0xf
	global_load_b128 v[57:60], v[33:34], off
	global_load_b128 v[61:64], v[33:34], off offset:16
	global_load_b128 v[49:52], v[35:36], off
	global_load_b128 v[53:56], v[35:36], off offset:16
	global_load_b128 v[41:44], v[37:38], off
	global_load_b128 v[45:48], v[37:38], off offset:16
	global_load_b128 v[9:12], v[39:40], off
	global_load_b128 v[13:16], v[39:40], off offset:16
	global_load_b128 v[1:4], v[5:6], off
	global_load_b128 v[5:8], v[5:6], off offset:16
	global_load_b128 v[33:36], v[17:18], off
	global_load_b128 v[37:40], v[17:18], off offset:16
	global_load_b128 v[25:28], v[19:20], off
	global_load_b128 v[29:32], v[19:20], off offset:16
	global_load_b128 v[17:20], v[21:22], off
	global_load_b128 v[21:24], v[21:22], off offset:16
	v_and_b32_e32 v76, 0xe0, v0
	v_mbcnt_lo_u32_b32 v77, -1, 0
	s_waitcnt vmcnt(0)
	s_barrier
	buffer_gl0_inv
	v_add_nc_u32_e32 v76, s12, v76
	v_xor_b32_e32 v78, 16, v77
	s_delay_alu instid0(VALU_DEP_2) | instskip(NEXT) | instid1(VALU_DEP_2)
	v_or_b32_e32 v76, v76, v83
	v_cmp_gt_i32_e32 vcc_lo, 32, v78
	s_delay_alu instid0(VALU_DEP_2)
	v_or_b32_e32 v79, 4, v76
	v_cndmask_b32_e32 v77, v77, v78, vcc_lo
	v_or_b32_e32 v78, 2, v76
	v_or_b32_e32 v80, 6, v76
	v_cmp_gt_i32_e32 vcc_lo, s17, v76
	v_or_b32_e32 v86, 8, v76
	v_or_b32_e32 v87, 10, v76
	v_cmp_gt_i32_e64 s2, s17, v78
	v_or_b32_e32 v88, 12, v76
	v_or_b32_e32 v89, 14, v76
	;; [unrolled: 1-line block ×10, first 2 shown]
	v_cndmask_b32_e32 v76, 0xff7fffff, v97, vcc_lo
	v_cndmask_b32_e64 v78, 0xff7fffff, v99, s2
	v_mul_f32_e32 v99, s18, v120
	v_cmp_gt_i32_e64 s3, s17, v80
	v_mul_f32_e32 v80, s18, v119
	v_cmp_gt_i32_e64 s4, s17, v79
	v_max3_f32 v76, v76, 0xff7fffff, v78
	v_dual_mul_f32 v78, s18, v121 :: v_dual_mul_f32 v79, s18, v122
	v_cmp_gt_i32_e64 s5, s17, v86
	s_delay_alu instid0(VALU_DEP_4)
	v_cndmask_b32_e64 v80, 0xff7fffff, v80, s4
	v_cmp_gt_i32_e64 s6, s17, v87
	v_mul_f32_e32 v86, s18, v107
	v_cndmask_b32_e64 v99, 0xff7fffff, v99, s3
	v_mul_f32_e32 v97, s18, v123
	v_cndmask_b32_e64 v78, 0xff7fffff, v78, s5
	v_cndmask_b32_e64 v79, 0xff7fffff, v79, s6
	v_cmp_gt_i32_e64 s7, s17, v89
	v_max3_f32 v76, v76, v80, v99
	v_cmp_gt_i32_e64 s8, s17, v88
	v_dual_mul_f32 v99, s18, v105 :: v_dual_mul_f32 v88, s18, v102
	v_mul_f32_e32 v89, s18, v101
	s_delay_alu instid0(VALU_DEP_4)
	v_max3_f32 v76, v76, v78, v79
	v_mul_f32_e32 v78, s18, v104
	v_cndmask_b32_e64 v97, 0xff7fffff, v97, s8
	v_cndmask_b32_e64 v100, 0xff7fffff, v100, s7
	v_cmp_gt_i32_e64 s9, s17, v90
	v_cmp_gt_i32_e64 s10, s17, v91
	v_mul_f32_e32 v79, s18, v103
	v_cmp_gt_i32_e64 s11, s17, v92
	v_max3_f32 v76, v76, v97, v100
	v_cndmask_b32_e64 v89, 0xff7fffff, v89, s9
	v_cndmask_b32_e64 v88, 0xff7fffff, v88, s10
	v_cmp_gt_i32_e64 s12, s17, v93
	v_mul_f32_e32 v87, s18, v106
	v_cndmask_b32_e64 v79, 0xff7fffff, v79, s11
	v_cmp_gt_i32_e64 s13, s17, v94
	v_max3_f32 v76, v76, v89, v88
	v_cndmask_b32_e64 v78, 0xff7fffff, v78, s12
	v_cmp_gt_i32_e64 s15, s17, v95
	v_mul_f32_e32 v80, s18, v108
	v_cndmask_b32_e64 v88, 0xff7fffff, v99, s13
	v_cmp_gt_i32_e64 s16, s17, v96
	v_max3_f32 v76, v76, v79, v78
	v_cndmask_b32_e64 v87, 0xff7fffff, v87, s15
	v_cmp_gt_i32_e64 s17, s17, v98
	v_lshlrev_b32_e32 v99, 2, v77
	v_cndmask_b32_e64 v78, 0xff7fffff, v86, s16
	s_delay_alu instid0(VALU_DEP_4) | instskip(NEXT) | instid1(VALU_DEP_4)
	v_max3_f32 v76, v76, v88, v87
	v_cndmask_b32_e64 v79, 0xff7fffff, v80, s17
	s_delay_alu instid0(VALU_DEP_1) | instskip(SKIP_3) | instid1(VALU_DEP_1)
	v_max3_f32 v76, v76, v78, v79
	ds_bpermute_b32 v77, v99, v76
	s_waitcnt lgkmcnt(0)
	v_max_f32_e32 v77, v77, v77
	v_max_f32_e32 v89, v76, v77
	s_delay_alu instid0(VALU_DEP_1) | instskip(SKIP_4) | instid1(VALU_DEP_4)
	v_fma_f32 v76, s18, v117, -v89
	v_fma_f32 v77, s18, v118, -v89
	;; [unrolled: 1-line block ×5, first 2 shown]
	v_dual_mul_f32 v76, 0x3fb8aa3b, v76 :: v_dual_mul_f32 v77, 0x3fb8aa3b, v77
	s_delay_alu instid0(VALU_DEP_4) | instskip(NEXT) | instid1(VALU_DEP_3)
	v_mul_f32_e32 v78, 0x3fb8aa3b, v78
	v_mul_f32_e32 v80, 0x3fb8aa3b, v80
	s_delay_alu instid0(VALU_DEP_3) | instskip(NEXT) | instid1(VALU_DEP_3)
	v_exp_f32_e32 v76, v76
	v_exp_f32_e32 v77, v77
	s_delay_alu instid0(VALU_DEP_2) | instskip(NEXT) | instid1(VALU_DEP_1)
	v_exp_f32_e32 v78, v78
	v_exp_f32_e32 v80, v80
	v_cndmask_b32_e32 v91, 0, v76, vcc_lo
	v_fma_f32 v76, s18, v122, -v89
	s_delay_alu instid0(TRANS32_DEP_3)
	v_cndmask_b32_e64 v90, 0, v77, s2
	s_waitcnt_depctr 0xfff
	v_cndmask_b32_e64 v92, 0, v78, s4
	v_cndmask_b32_e64 v95, 0, v80, s5
	v_dual_add_f32 v77, 0, v91 :: v_dual_mul_f32 v76, 0x3fb8aa3b, v76
	s_mov_b32 s2, exec_lo
	s_delay_alu instid0(VALU_DEP_1) | instskip(NEXT) | instid1(VALU_DEP_2)
	v_add_f32_e32 v77, v77, v90
	v_exp_f32_e32 v76, v76
	s_delay_alu instid0(VALU_DEP_1) | instskip(SKIP_3) | instid1(VALU_DEP_1)
	v_add_f32_e32 v77, v77, v92
	s_waitcnt_depctr 0xfff
	v_cndmask_b32_e64 v96, 0, v76, s6
	v_mul_f32_e32 v79, 0x3fb8aa3b, v79
	v_exp_f32_e32 v79, v79
	s_waitcnt_depctr 0xfff
	v_cndmask_b32_e64 v94, 0, v79, s3
	s_delay_alu instid0(VALU_DEP_1) | instskip(NEXT) | instid1(VALU_DEP_1)
	v_add_f32_e32 v77, v77, v94
	v_add_f32_e32 v76, v77, v95
	v_fma_f32 v80, s18, v102, -v89
	v_fma_f32 v86, s18, v123, -v89
	;; [unrolled: 1-line block ×5, first 2 shown]
	v_mul_f32_e32 v80, 0x3fb8aa3b, v80
	v_mul_f32_e32 v86, 0x3fb8aa3b, v86
	;; [unrolled: 1-line block ×3, first 2 shown]
	v_fma_f32 v98, s18, v107, -v89
	v_mul_f32_e32 v77, 0x3fb8aa3b, v77
	v_exp_f32_e32 v80, v80
	v_exp_f32_e32 v86, v86
	v_exp_f32_e32 v78, v78
	v_add_f32_e32 v76, v76, v96
	v_exp_f32_e32 v88, v77
	v_fma_f32 v87, s18, v105, -v89
	v_fma_f32 v100, s18, v108, -v89
	v_cndmask_b32_e64 v77, 0, v80, s10
	v_mul_f32_e32 v79, 0x3fb8aa3b, v79
	s_delay_alu instid0(TRANS32_DEP_3) | instskip(SKIP_1) | instid1(TRANS32_DEP_2)
	v_cndmask_b32_e64 v93, 0, v86, s8
	v_fma_f32 v86, s18, v104, -v89
	v_cndmask_b32_e64 v97, 0, v78, s7
	v_mul_f32_e32 v100, 0x3fb8aa3b, v100
	v_exp_f32_e32 v79, v79
	v_add_f32_e32 v78, v76, v93
	v_mul_f32_e32 v86, 0x3fb8aa3b, v86
	s_delay_alu instid0(VALU_DEP_3) | instskip(NEXT) | instid1(VALU_DEP_2)
	v_exp_f32_e32 v100, v100
	v_add_f32_e32 v78, v78, v97
	s_delay_alu instid0(VALU_DEP_2) | instskip(NEXT) | instid1(TRANS32_DEP_3)
	v_exp_f32_e32 v86, v86
	v_cndmask_b32_e64 v76, 0, v79, s9
	v_fma_f32 v79, s18, v106, -v89
	s_delay_alu instid0(VALU_DEP_1) | instskip(SKIP_2) | instid1(VALU_DEP_3)
	v_dual_add_f32 v80, v78, v76 :: v_dual_mul_f32 v79, 0x3fb8aa3b, v79
	v_cndmask_b32_e64 v78, 0, v88, s11
	v_mul_f32_e32 v88, 0x3fb8aa3b, v98
	v_dual_add_f32 v80, v80, v77 :: v_dual_mul_f32 v87, 0x3fb8aa3b, v87
	s_delay_alu instid0(VALU_DEP_4) | instskip(NEXT) | instid1(TRANS32_DEP_2)
	v_exp_f32_e32 v98, v79
	v_cndmask_b32_e64 v79, 0, v86, s12
	s_delay_alu instid0(VALU_DEP_3) | instskip(NEXT) | instid1(VALU_DEP_2)
	v_exp_f32_e32 v88, v88
	v_add_f32_e32 v86, v80, v78
	v_exp_f32_e32 v87, v87
	s_waitcnt_depctr 0xfff
	v_cndmask_b32_e64 v80, 0, v87, s13
	v_add_f32_e32 v87, v86, v79
	v_cndmask_b32_e64 v86, 0, v98, s15
	s_delay_alu instid0(VALU_DEP_2) | instskip(SKIP_1) | instid1(VALU_DEP_2)
	v_add_f32_e32 v98, v87, v80
	v_cndmask_b32_e64 v87, 0, v88, s16
	v_add_f32_e32 v88, v98, v86
	s_delay_alu instid0(VALU_DEP_1) | instskip(SKIP_1) | instid1(VALU_DEP_1)
	v_add_f32_e32 v98, v88, v87
	v_cndmask_b32_e64 v88, 0, v100, s17
	v_add_f32_e32 v98, v98, v88
	ds_bpermute_b32 v99, v99, v98
	v_cmpx_gt_u32_e32 16, v75
	s_cbranch_execz .LBB709_14
; %bb.13:
	v_mul_u32_u24_e32 v75, 0x44, v73
	s_waitcnt lgkmcnt(0)
	v_add_f32_e32 v98, v98, v99
	s_delay_alu instid0(VALU_DEP_2) | instskip(NEXT) | instid1(VALU_DEP_1)
	v_lshl_add_u32 v75, v74, 2, v75
	v_add_nc_u32_e32 v75, 0x4000, v75
	ds_store_2addr_b32 v75, v89, v98 offset1:136
.LBB709_14:
	s_or_b32 exec_lo, exec_lo, s2
	v_lshlrev_b32_e32 v74, 2, v74
	s_waitcnt lgkmcnt(0)
	s_barrier
	buffer_gl0_inv
	v_cmp_eq_u32_e64 s2, 1, v73
	v_add_nc_u32_e32 v89, 0x4000, v74
	ds_load_2addr_b32 v[98:99], v89 offset1:17
	ds_load_2addr_b32 v[100:101], v89 offset0:34 offset1:51
	ds_load_2addr_b32 v[102:103], v89 offset0:68 offset1:85
	;; [unrolled: 1-line block ×4, first 2 shown]
	s_waitcnt lgkmcnt(4)
	v_max3_f32 v74, v98, 0xff7fffff, v99
	s_waitcnt lgkmcnt(3)
	s_delay_alu instid0(VALU_DEP_1) | instskip(SKIP_1) | instid1(VALU_DEP_1)
	v_max3_f32 v74, v74, v100, v101
	s_waitcnt lgkmcnt(2)
	v_max3_f32 v74, v74, v102, v103
	s_waitcnt lgkmcnt(1)
	s_delay_alu instid0(VALU_DEP_1) | instskip(NEXT) | instid1(VALU_DEP_1)
	v_max3_f32 v74, v74, v104, v105
	v_sub_f32_e32 v108, v99, v74
	v_sub_f32_e32 v75, v98, v74
	ds_load_2addr_b32 v[98:99], v89 offset0:170 offset1:187
	v_sub_f32_e32 v100, v100, v74
	v_dual_mul_f32 v108, 0x3fb8aa3b, v108 :: v_dual_mul_f32 v75, 0x3fb8aa3b, v75
	s_delay_alu instid0(VALU_DEP_2) | instskip(NEXT) | instid1(VALU_DEP_2)
	v_mul_f32_e32 v110, 0x3fb8aa3b, v100
	v_exp_f32_e32 v108, v108
	s_delay_alu instid0(VALU_DEP_2)
	v_exp_f32_e32 v109, v75
	v_sub_f32_e32 v75, v101, v74
	ds_load_2addr_b32 v[100:101], v89 offset0:204 offset1:221
	v_exp_f32_e32 v110, v110
	v_mul_f32_e32 v111, 0x3fb8aa3b, v75
	s_waitcnt lgkmcnt(2)
	v_fma_f32 v75, v109, v106, 0
	v_sub_f32_e32 v102, v102, v74
	s_delay_alu instid0(VALU_DEP_3) | instskip(NEXT) | instid1(VALU_DEP_2)
	v_exp_f32_e32 v111, v111
	v_dual_sub_f32 v106, v103, v74 :: v_dual_fmac_f32 v75, v108, v107
	s_waitcnt lgkmcnt(1)
	s_waitcnt_depctr 0xfff
	v_fmac_f32_e32 v75, v110, v98
	v_mul_f32_e32 v112, 0x3fb8aa3b, v102
	ds_load_2addr_b32 v[102:103], v89 offset0:238 offset1:255
	v_sub_f32_e32 v89, v104, v74
	v_dual_sub_f32 v98, v105, v74 :: v_dual_fmac_f32 v75, v111, v99
	v_mul_f32_e32 v104, 0x3fb8aa3b, v106
	v_exp_f32_e32 v106, v112
	s_delay_alu instid0(VALU_DEP_2)
	v_dual_mul_f32 v89, 0x3fb8aa3b, v89 :: v_dual_mul_f32 v98, 0x3fb8aa3b, v98
	s_waitcnt lgkmcnt(0)
	s_barrier
	buffer_gl0_inv
	v_exp_f32_e32 v89, v89
	v_exp_f32_e32 v98, v98
	v_fmac_f32_e32 v75, v106, v100
	v_exp_f32_e32 v104, v104
	s_waitcnt_depctr 0xfff
	v_fmac_f32_e32 v75, v104, v101
	s_delay_alu instid0(VALU_DEP_1) | instskip(NEXT) | instid1(VALU_DEP_1)
	v_fmac_f32_e32 v75, v89, v102
	v_fmac_f32_e32 v75, v98, v103
	s_delay_alu instid0(VALU_DEP_1) | instskip(NEXT) | instid1(VALU_DEP_1)
	v_add_f32_e32 v99, 0x358637bd, v75
	v_div_scale_f32 v100, null, v99, v99, 1.0
	v_div_scale_f32 v103, vcc_lo, 1.0, v99, 1.0
	s_delay_alu instid0(VALU_DEP_2) | instskip(SKIP_2) | instid1(VALU_DEP_1)
	v_rcp_f32_e32 v101, v100
	s_waitcnt_depctr 0xfff
	v_fma_f32 v102, -v100, v101, 1.0
	v_fmac_f32_e32 v101, v102, v101
	v_cndmask_b32_e64 v102, v109, v108, s2
	v_cmp_eq_u32_e64 s2, 2, v73
	s_delay_alu instid0(VALU_DEP_3) | instskip(NEXT) | instid1(VALU_DEP_2)
	v_mul_f32_e32 v105, v103, v101
	v_cndmask_b32_e64 v102, v102, v110, s2
	v_cmp_eq_u32_e64 s2, 3, v73
	s_delay_alu instid0(VALU_DEP_3) | instskip(NEXT) | instid1(VALU_DEP_2)
	v_fma_f32 v107, -v100, v105, v103
	v_cndmask_b32_e64 v102, v102, v111, s2
	v_cmp_eq_u32_e64 s2, 4, v73
	s_delay_alu instid0(VALU_DEP_3) | instskip(NEXT) | instid1(VALU_DEP_2)
	v_fmac_f32_e32 v105, v107, v101
	v_cndmask_b32_e64 v102, v102, v106, s2
	s_delay_alu instid0(VALU_DEP_2) | instskip(SKIP_1) | instid1(VALU_DEP_2)
	v_fma_f32 v100, -v100, v105, v103
	v_cmp_eq_u32_e64 s2, 5, v73
	v_div_fmas_f32 v100, v100, v101, v105
	s_delay_alu instid0(VALU_DEP_2) | instskip(SKIP_2) | instid1(VALU_DEP_3)
	v_cndmask_b32_e64 v102, v102, v104, s2
	v_cmp_eq_u32_e32 vcc_lo, 6, v73
	s_mov_b32 s2, exec_lo
	v_div_fixup_f32 v99, v100, v99, 1.0
	s_delay_alu instid0(VALU_DEP_3) | instskip(SKIP_1) | instid1(VALU_DEP_2)
	v_cndmask_b32_e32 v89, v102, v89, vcc_lo
	v_cmp_eq_u32_e32 vcc_lo, 7, v73
	v_cndmask_b32_e32 v89, v89, v98, vcc_lo
	s_delay_alu instid0(VALU_DEP_1) | instskip(NEXT) | instid1(VALU_DEP_1)
	v_mul_f32_e32 v89, v89, v99
	v_mul_f32_e32 v99, v89, v91
	;; [unrolled: 1-line block ×6, first 2 shown]
	v_and_b32_e32 v100, 0x7f800000, v99
	v_mul_f32_e32 v98, v89, v94
	v_mul_f32_e32 v94, v89, v90
	;; [unrolled: 1-line block ×3, first 2 shown]
                                        ; implicit-def: $vgpr90
	s_delay_alu instid0(VALU_DEP_4)
	v_cmpx_ne_u32_e32 0x7f800000, v100
	s_xor_b32 s2, exec_lo, s2
; %bb.15:
	v_bfe_u32 v90, v99, 16, 1
	s_delay_alu instid0(VALU_DEP_1)
	v_add3_u32 v90, v99, v90, 0x7fff
                                        ; implicit-def: $vgpr99
; %bb.16:
	s_and_not1_saveexec_b32 s2, s2
; %bb.17:
	v_and_b32_e32 v90, 0xffff, v99
	v_or_b32_e32 v92, 0x10000, v99
	s_delay_alu instid0(VALU_DEP_2) | instskip(NEXT) | instid1(VALU_DEP_2)
	v_cmp_eq_u32_e32 vcc_lo, 0, v90
	v_cndmask_b32_e32 v90, v92, v99, vcc_lo
; %bb.18:
	s_or_b32 exec_lo, exec_lo, s2
	v_and_b32_e32 v92, 0x7f800000, v94
	s_delay_alu instid0(VALU_DEP_1) | instskip(SKIP_1) | instid1(SALU_CYCLE_1)
	v_cmp_ne_u32_e32 vcc_lo, 0x7f800000, v92
                                        ; implicit-def: $vgpr92
	s_and_saveexec_b32 s2, vcc_lo
	s_xor_b32 s2, exec_lo, s2
; %bb.19:
	v_bfe_u32 v92, v94, 16, 1
	s_delay_alu instid0(VALU_DEP_1)
	v_add3_u32 v92, v94, v92, 0x7fff
                                        ; implicit-def: $vgpr94
; %bb.20:
	s_and_not1_saveexec_b32 s2, s2
; %bb.21:
	v_and_b32_e32 v92, 0xffff, v94
	v_or_b32_e32 v99, 0x10000, v94
	s_delay_alu instid0(VALU_DEP_2) | instskip(NEXT) | instid1(VALU_DEP_2)
	v_cmp_eq_u32_e32 vcc_lo, 0, v92
	v_cndmask_b32_e32 v92, v99, v94, vcc_lo
; %bb.22:
	s_or_b32 exec_lo, exec_lo, s2
	v_and_b32_e32 v94, 0x7f800000, v95
	s_delay_alu instid0(VALU_DEP_1) | instskip(SKIP_1) | instid1(SALU_CYCLE_1)
	v_cmp_ne_u32_e32 vcc_lo, 0x7f800000, v94
                                        ; implicit-def: $vgpr94
	s_and_saveexec_b32 s2, vcc_lo
	s_xor_b32 s2, exec_lo, s2
; %bb.23:
	v_bfe_u32 v94, v95, 16, 1
	s_delay_alu instid0(VALU_DEP_1)
	v_add3_u32 v94, v95, v94, 0x7fff
                                        ; implicit-def: $vgpr95
; %bb.24:
	s_and_not1_saveexec_b32 s2, s2
; %bb.25:
	v_and_b32_e32 v94, 0xffff, v95
	v_or_b32_e32 v99, 0x10000, v95
	s_delay_alu instid0(VALU_DEP_2) | instskip(NEXT) | instid1(VALU_DEP_2)
	v_cmp_eq_u32_e32 vcc_lo, 0, v94
	v_cndmask_b32_e32 v94, v99, v95, vcc_lo
; %bb.26:
	s_or_b32 exec_lo, exec_lo, s2
	v_and_b32_e32 v95, 0x7f800000, v98
	s_delay_alu instid0(VALU_DEP_1) | instskip(SKIP_1) | instid1(SALU_CYCLE_1)
	v_cmp_ne_u32_e32 vcc_lo, 0x7f800000, v95
                                        ; implicit-def: $vgpr95
	s_and_saveexec_b32 s2, vcc_lo
	s_xor_b32 s2, exec_lo, s2
; %bb.27:
	v_bfe_u32 v95, v98, 16, 1
	s_delay_alu instid0(VALU_DEP_1)
	v_add3_u32 v95, v98, v95, 0x7fff
                                        ; implicit-def: $vgpr98
; %bb.28:
	s_and_not1_saveexec_b32 s2, s2
; %bb.29:
	v_and_b32_e32 v95, 0xffff, v98
	v_or_b32_e32 v99, 0x10000, v98
	s_delay_alu instid0(VALU_DEP_2) | instskip(NEXT) | instid1(VALU_DEP_2)
	v_cmp_eq_u32_e32 vcc_lo, 0, v95
	v_cndmask_b32_e32 v95, v99, v98, vcc_lo
; %bb.30:
	s_or_b32 exec_lo, exec_lo, s2
	v_and_b32_e32 v98, 0x7f800000, v97
	s_delay_alu instid0(VALU_DEP_1) | instskip(SKIP_1) | instid1(SALU_CYCLE_1)
	v_cmp_ne_u32_e32 vcc_lo, 0x7f800000, v98
                                        ; implicit-def: $vgpr98
	s_and_saveexec_b32 s2, vcc_lo
	s_xor_b32 s2, exec_lo, s2
; %bb.31:
	v_bfe_u32 v98, v97, 16, 1
	s_delay_alu instid0(VALU_DEP_1)
	v_add3_u32 v98, v97, v98, 0x7fff
                                        ; implicit-def: $vgpr97
; %bb.32:
	s_and_not1_saveexec_b32 s2, s2
; %bb.33:
	v_and_b32_e32 v98, 0xffff, v97
	v_or_b32_e32 v99, 0x10000, v97
	s_delay_alu instid0(VALU_DEP_2) | instskip(NEXT) | instid1(VALU_DEP_2)
	v_cmp_eq_u32_e32 vcc_lo, 0, v98
	v_cndmask_b32_e32 v98, v99, v97, vcc_lo
; %bb.34:
	s_or_b32 exec_lo, exec_lo, s2
	v_and_b32_e32 v97, 0x7f800000, v96
	s_delay_alu instid0(VALU_DEP_1) | instskip(SKIP_1) | instid1(SALU_CYCLE_1)
	v_cmp_ne_u32_e32 vcc_lo, 0x7f800000, v97
                                        ; implicit-def: $vgpr97
	s_and_saveexec_b32 s2, vcc_lo
	s_xor_b32 s2, exec_lo, s2
; %bb.35:
	v_bfe_u32 v97, v96, 16, 1
	s_delay_alu instid0(VALU_DEP_1)
	v_add3_u32 v97, v96, v97, 0x7fff
                                        ; implicit-def: $vgpr96
; %bb.36:
	s_and_not1_saveexec_b32 s2, s2
; %bb.37:
	v_and_b32_e32 v97, 0xffff, v96
	v_or_b32_e32 v99, 0x10000, v96
	s_delay_alu instid0(VALU_DEP_2) | instskip(NEXT) | instid1(VALU_DEP_2)
	v_cmp_eq_u32_e32 vcc_lo, 0, v97
	v_cndmask_b32_e32 v97, v99, v96, vcc_lo
; %bb.38:
	s_or_b32 exec_lo, exec_lo, s2
	v_and_b32_e32 v96, 0x7f800000, v93
	s_delay_alu instid0(VALU_DEP_1) | instskip(SKIP_1) | instid1(SALU_CYCLE_1)
	v_cmp_ne_u32_e32 vcc_lo, 0x7f800000, v96
                                        ; implicit-def: $vgpr96
	s_and_saveexec_b32 s2, vcc_lo
	s_xor_b32 s2, exec_lo, s2
; %bb.39:
	v_bfe_u32 v96, v93, 16, 1
	s_delay_alu instid0(VALU_DEP_1)
	v_add3_u32 v96, v93, v96, 0x7fff
                                        ; implicit-def: $vgpr93
; %bb.40:
	s_and_not1_saveexec_b32 s2, s2
; %bb.41:
	v_and_b32_e32 v96, 0xffff, v93
	v_or_b32_e32 v99, 0x10000, v93
	s_delay_alu instid0(VALU_DEP_2) | instskip(NEXT) | instid1(VALU_DEP_2)
	v_cmp_eq_u32_e32 vcc_lo, 0, v96
	v_cndmask_b32_e32 v96, v99, v93, vcc_lo
; %bb.42:
	s_or_b32 exec_lo, exec_lo, s2
	v_and_b32_e32 v93, 0x7f800000, v91
	s_delay_alu instid0(VALU_DEP_1) | instskip(SKIP_1) | instid1(SALU_CYCLE_1)
	v_cmp_ne_u32_e32 vcc_lo, 0x7f800000, v93
                                        ; implicit-def: $vgpr93
	s_and_saveexec_b32 s2, vcc_lo
	s_xor_b32 s2, exec_lo, s2
; %bb.43:
	v_bfe_u32 v93, v91, 16, 1
	s_delay_alu instid0(VALU_DEP_1)
	v_add3_u32 v93, v91, v93, 0x7fff
                                        ; implicit-def: $vgpr91
; %bb.44:
	s_and_not1_saveexec_b32 s2, s2
; %bb.45:
	v_and_b32_e32 v93, 0xffff, v91
	v_or_b32_e32 v99, 0x10000, v91
	s_delay_alu instid0(VALU_DEP_2) | instskip(NEXT) | instid1(VALU_DEP_2)
	v_cmp_eq_u32_e32 vcc_lo, 0, v93
	v_cndmask_b32_e32 v93, v99, v91, vcc_lo
; %bb.46:
	s_or_b32 exec_lo, exec_lo, s2
	s_load_b64 s[34:35], s[0:1], 0x94
	v_lshlrev_b32_e32 v91, 4, v83
	s_delay_alu instid0(VALU_DEP_2)
	v_perm_b32 v99, v93, v96, 0x7060302
	v_dual_mul_f32 v88, v89, v88 :: v_dual_lshlrev_b32 v93, 11, v73
	v_perm_b32 v96, v92, v90, 0x7060302
	v_mul_f32_e32 v92, v89, v76
	v_perm_b32 v98, v97, v98, 0x7060302
	v_perm_b32 v97, v95, v94, 0x7060302
	v_or3_b32 v76, v91, v93, v85
	v_mul_f32_e32 v87, v89, v87
	v_dual_mul_f32 v86, v89, v86 :: v_dual_and_b32 v93, 0x7f800000, v92
	v_mul_f32_e32 v80, v89, v80
	v_mul_f32_e32 v90, v89, v79
	;; [unrolled: 1-line block ×4, first 2 shown]
	s_mov_b32 s2, exec_lo
	ds_store_b128 v76, v[96:99]
                                        ; implicit-def: $vgpr77
	v_cmpx_ne_u32_e32 0x7f800000, v93
	s_xor_b32 s2, exec_lo, s2
; %bb.47:
	v_bfe_u32 v77, v92, 16, 1
	s_delay_alu instid0(VALU_DEP_1)
	v_add3_u32 v77, v92, v77, 0x7fff
                                        ; implicit-def: $vgpr92
; %bb.48:
	s_and_not1_saveexec_b32 s2, s2
; %bb.49:
	v_and_b32_e32 v77, 0xffff, v92
	v_or_b32_e32 v78, 0x10000, v92
	s_delay_alu instid0(VALU_DEP_2) | instskip(NEXT) | instid1(VALU_DEP_2)
	v_cmp_eq_u32_e32 vcc_lo, 0, v77
	v_cndmask_b32_e32 v77, v78, v92, vcc_lo
; %bb.50:
	s_or_b32 exec_lo, exec_lo, s2
	v_and_b32_e32 v78, 0x7f800000, v79
	s_delay_alu instid0(VALU_DEP_1) | instskip(SKIP_1) | instid1(SALU_CYCLE_1)
	v_cmp_ne_u32_e32 vcc_lo, 0x7f800000, v78
                                        ; implicit-def: $vgpr78
	s_and_saveexec_b32 s2, vcc_lo
	s_xor_b32 s2, exec_lo, s2
; %bb.51:
	v_bfe_u32 v78, v79, 16, 1
	s_delay_alu instid0(VALU_DEP_1)
	v_add3_u32 v78, v79, v78, 0x7fff
                                        ; implicit-def: $vgpr79
; %bb.52:
	s_and_not1_saveexec_b32 s2, s2
; %bb.53:
	v_and_b32_e32 v78, 0xffff, v79
	v_or_b32_e32 v89, 0x10000, v79
	s_delay_alu instid0(VALU_DEP_2) | instskip(NEXT) | instid1(VALU_DEP_2)
	v_cmp_eq_u32_e32 vcc_lo, 0, v78
	v_cndmask_b32_e32 v78, v89, v79, vcc_lo
; %bb.54:
	s_or_b32 exec_lo, exec_lo, s2
	v_and_b32_e32 v79, 0x7f800000, v91
	s_delay_alu instid0(VALU_DEP_1) | instskip(SKIP_1) | instid1(SALU_CYCLE_1)
	v_cmp_ne_u32_e32 vcc_lo, 0x7f800000, v79
                                        ; implicit-def: $vgpr79
	s_and_saveexec_b32 s2, vcc_lo
	s_xor_b32 s2, exec_lo, s2
; %bb.55:
	v_bfe_u32 v79, v91, 16, 1
	s_delay_alu instid0(VALU_DEP_1)
	v_add3_u32 v79, v91, v79, 0x7fff
                                        ; implicit-def: $vgpr91
; %bb.56:
	s_and_not1_saveexec_b32 s2, s2
; %bb.57:
	v_and_b32_e32 v79, 0xffff, v91
	v_or_b32_e32 v89, 0x10000, v91
	s_delay_alu instid0(VALU_DEP_2) | instskip(NEXT) | instid1(VALU_DEP_2)
	v_cmp_eq_u32_e32 vcc_lo, 0, v79
	v_cndmask_b32_e32 v79, v89, v91, vcc_lo
; %bb.58:
	s_or_b32 exec_lo, exec_lo, s2
	v_and_b32_e32 v89, 0x7f800000, v90
	s_delay_alu instid0(VALU_DEP_1) | instskip(SKIP_1) | instid1(SALU_CYCLE_1)
	v_cmp_ne_u32_e32 vcc_lo, 0x7f800000, v89
                                        ; implicit-def: $vgpr89
	s_and_saveexec_b32 s2, vcc_lo
	s_xor_b32 s2, exec_lo, s2
; %bb.59:
	v_bfe_u32 v89, v90, 16, 1
	s_delay_alu instid0(VALU_DEP_1)
	v_add3_u32 v89, v90, v89, 0x7fff
                                        ; implicit-def: $vgpr90
; %bb.60:
	s_and_not1_saveexec_b32 s2, s2
; %bb.61:
	v_and_b32_e32 v89, 0xffff, v90
	v_or_b32_e32 v91, 0x10000, v90
	s_delay_alu instid0(VALU_DEP_2) | instskip(NEXT) | instid1(VALU_DEP_2)
	v_cmp_eq_u32_e32 vcc_lo, 0, v89
	v_cndmask_b32_e32 v89, v91, v90, vcc_lo
; %bb.62:
	s_or_b32 exec_lo, exec_lo, s2
	v_and_b32_e32 v90, 0x7f800000, v80
	s_delay_alu instid0(VALU_DEP_1) | instskip(SKIP_1) | instid1(SALU_CYCLE_1)
	v_cmp_ne_u32_e32 vcc_lo, 0x7f800000, v90
                                        ; implicit-def: $vgpr90
	s_and_saveexec_b32 s2, vcc_lo
	s_xor_b32 s2, exec_lo, s2
; %bb.63:
	v_bfe_u32 v90, v80, 16, 1
	s_delay_alu instid0(VALU_DEP_1)
	v_add3_u32 v90, v80, v90, 0x7fff
                                        ; implicit-def: $vgpr80
; %bb.64:
	s_and_not1_saveexec_b32 s2, s2
; %bb.65:
	v_and_b32_e32 v90, 0xffff, v80
	v_or_b32_e32 v91, 0x10000, v80
	s_delay_alu instid0(VALU_DEP_2) | instskip(NEXT) | instid1(VALU_DEP_2)
	v_cmp_eq_u32_e32 vcc_lo, 0, v90
	v_cndmask_b32_e32 v90, v91, v80, vcc_lo
; %bb.66:
	s_or_b32 exec_lo, exec_lo, s2
	v_and_b32_e32 v80, 0x7f800000, v86
	s_delay_alu instid0(VALU_DEP_1) | instskip(SKIP_1) | instid1(SALU_CYCLE_1)
	v_cmp_ne_u32_e32 vcc_lo, 0x7f800000, v80
                                        ; implicit-def: $vgpr80
	s_and_saveexec_b32 s2, vcc_lo
	s_xor_b32 s2, exec_lo, s2
; %bb.67:
	v_bfe_u32 v80, v86, 16, 1
	s_delay_alu instid0(VALU_DEP_1)
	v_add3_u32 v80, v86, v80, 0x7fff
                                        ; implicit-def: $vgpr86
; %bb.68:
	s_and_not1_saveexec_b32 s2, s2
; %bb.69:
	v_and_b32_e32 v80, 0xffff, v86
	v_or_b32_e32 v91, 0x10000, v86
	s_delay_alu instid0(VALU_DEP_2) | instskip(NEXT) | instid1(VALU_DEP_2)
	v_cmp_eq_u32_e32 vcc_lo, 0, v80
	v_cndmask_b32_e32 v80, v91, v86, vcc_lo
; %bb.70:
	s_or_b32 exec_lo, exec_lo, s2
	v_and_b32_e32 v86, 0x7f800000, v87
	s_delay_alu instid0(VALU_DEP_1) | instskip(SKIP_1) | instid1(SALU_CYCLE_1)
	v_cmp_ne_u32_e32 vcc_lo, 0x7f800000, v86
                                        ; implicit-def: $vgpr86
	s_and_saveexec_b32 s2, vcc_lo
	s_xor_b32 s2, exec_lo, s2
; %bb.71:
	v_bfe_u32 v86, v87, 16, 1
	s_delay_alu instid0(VALU_DEP_1)
	v_add3_u32 v86, v87, v86, 0x7fff
                                        ; implicit-def: $vgpr87
; %bb.72:
	s_and_not1_saveexec_b32 s2, s2
; %bb.73:
	v_and_b32_e32 v86, 0xffff, v87
	v_or_b32_e32 v91, 0x10000, v87
	s_delay_alu instid0(VALU_DEP_2) | instskip(NEXT) | instid1(VALU_DEP_2)
	v_cmp_eq_u32_e32 vcc_lo, 0, v86
	v_cndmask_b32_e32 v86, v91, v87, vcc_lo
; %bb.74:
	s_or_b32 exec_lo, exec_lo, s2
	v_and_b32_e32 v87, 0x7f800000, v88
	s_delay_alu instid0(VALU_DEP_1) | instskip(SKIP_1) | instid1(SALU_CYCLE_1)
	v_cmp_ne_u32_e32 vcc_lo, 0x7f800000, v87
                                        ; implicit-def: $vgpr87
	s_and_saveexec_b32 s2, vcc_lo
	s_xor_b32 s2, exec_lo, s2
; %bb.75:
	v_bfe_u32 v87, v88, 16, 1
	s_delay_alu instid0(VALU_DEP_1)
	v_add3_u32 v87, v88, v87, 0x7fff
                                        ; implicit-def: $vgpr88
; %bb.76:
	s_and_not1_saveexec_b32 s2, s2
; %bb.77:
	v_and_b32_e32 v87, 0xffff, v88
	v_or_b32_e32 v91, 0x10000, v88
	s_delay_alu instid0(VALU_DEP_2) | instskip(NEXT) | instid1(VALU_DEP_2)
	v_cmp_eq_u32_e32 vcc_lo, 0, v87
	v_cndmask_b32_e32 v87, v91, v88, vcc_lo
; %bb.78:
	s_or_b32 exec_lo, exec_lo, s2
	s_delay_alu instid0(VALU_DEP_1)
	v_perm_b32 v94, v87, v86, 0x7060302
	v_perm_b32 v93, v80, v90, 0x7060302
	;; [unrolled: 1-line block ×4, first 2 shown]
	v_lshl_or_b32 v90, v73, 11, v85
	ds_store_b128 v76, v[91:94] offset:1024
	s_waitcnt lgkmcnt(0)
	s_barrier
	buffer_gl0_inv
	ds_load_b128 v[77:80], v90
	ds_load_b128 v[91:94], v90 offset:16
	s_waitcnt lgkmcnt(1)
	v_lshrrev_b32_e32 v73, 16, v77
	s_waitcnt lgkmcnt(0)
	v_lshrrev_b32_e32 v108, 16, v94
	v_lshlrev_b32_e32 v87, 2, v83
	v_lshrrev_b32_e32 v99, 16, v91
	v_lshrrev_b32_e32 v103, 16, v78
	;; [unrolled: 1-line block ×4, first 2 shown]
	v_or_b32_e32 v88, 1, v87
	v_cmp_eq_u32_e32 vcc_lo, 1, v87
	v_cmp_eq_u32_e64 s3, 2, v87
	v_cmp_eq_u32_e64 s6, 3, v87
	;; [unrolled: 1-line block ×4, first 2 shown]
	v_cndmask_b32_e32 v89, v77, v73, vcc_lo
	v_cndmask_b32_e32 v95, v91, v99, vcc_lo
	v_cmp_eq_u32_e64 s5, 2, v88
	v_cmp_eq_u32_e64 s7, 3, v88
	v_cndmask_b32_e64 v96, v77, v73, s2
	v_cndmask_b32_e64 v89, v89, v78, s3
	;; [unrolled: 1-line block ×3, first 2 shown]
	v_or_b32_e32 v86, 2, v87
	v_lshrrev_b32_e32 v107, 16, v93
	v_cndmask_b32_e64 v96, v96, v78, s5
	v_cndmask_b32_e64 v89, v89, v103, s6
	;; [unrolled: 1-line block ×4, first 2 shown]
	v_cmp_eq_u32_e64 s9, 5, v87
	v_cndmask_b32_e64 v96, v96, v103, s7
	v_cndmask_b32_e64 v89, v89, v79, s8
	;; [unrolled: 1-line block ×3, first 2 shown]
	v_cmp_eq_u32_e64 s10, 4, v88
	v_cmp_eq_u32_e64 s4, 1, v86
	v_cndmask_b32_e64 v97, v97, v92, s5
	v_cndmask_b32_e64 v89, v89, v104, s9
	v_cmp_eq_u32_e64 s11, 6, v87
	v_cndmask_b32_e64 v96, v96, v79, s10
	v_cndmask_b32_e64 v95, v95, v107, s9
	v_cmp_eq_u32_e64 s12, 5, v88
	v_lshrrev_b32_e32 v105, 16, v80
	v_cndmask_b32_e64 v98, v77, v73, s4
	v_cndmask_b32_e64 v97, v97, v106, s7
	;; [unrolled: 1-line block ×4, first 2 shown]
	v_cmp_eq_u32_e64 s13, 7, v87
	v_cndmask_b32_e64 v95, v95, v94, s11
	v_cmp_eq_u32_e64 s15, 6, v88
	v_cmp_eq_u32_e64 s16, 2, v86
	v_cndmask_b32_e64 v97, v97, v93, s10
	v_cndmask_b32_e64 v109, v89, v105, s13
	;; [unrolled: 1-line block ×6, first 2 shown]
	v_cmp_eq_u32_e64 s17, 7, v88
	v_cmp_eq_u32_e64 s18, 3, v86
	;; [unrolled: 1-line block ×4, first 2 shown]
	v_cndmask_b32_e64 v95, v95, v92, s16
	v_cndmask_b32_e64 v111, v96, v105, s17
	;; [unrolled: 1-line block ×4, first 2 shown]
	v_or_b32_e32 v89, 3, v87
	v_cndmask_b32_e64 v101, v95, v106, s18
	v_cmp_eq_u32_e64 s23, 6, v86
	v_cndmask_b32_e64 v112, v96, v94, s15
	v_cndmask_b32_e64 v100, v97, v79, s19
	v_cmp_eq_u32_e64 s20, 1, v89
	ds_load_b128 v[95:98], v90 offset:1024
	v_cmp_eq_u32_e64 s22, 2, v89
	v_cmp_eq_u32_e64 s24, 3, v89
	v_cndmask_b32_e64 v113, v100, v104, s21
	v_cndmask_b32_e64 v73, v77, v73, s20
	;; [unrolled: 1-line block ×4, first 2 shown]
	ds_load_b128 v[99:102], v90 offset:1040
	v_cmp_eq_u32_e64 s25, 4, v89
	v_cndmask_b32_e64 v73, v73, v78, s22
	v_cmp_eq_u32_e64 s26, 7, v86
	v_cndmask_b32_e64 v78, v91, v92, s22
	v_cndmask_b32_e64 v92, v113, v80, s23
	v_cmp_eq_u32_e64 s27, 5, v89
	v_cndmask_b32_e64 v73, v73, v103, s24
	v_cndmask_b32_e64 v77, v77, v107, s21
	;; [unrolled: 1-line block ×3, first 2 shown]
	v_cmp_eq_u32_e64 s28, 6, v89
	v_cndmask_b32_e64 v91, v112, v108, s17
	v_cndmask_b32_e64 v73, v73, v79, s25
	s_waitcnt lgkmcnt(1)
	v_lshrrev_b32_e32 v103, 16, v95
	v_cndmask_b32_e64 v78, v78, v93, s25
	v_cndmask_b32_e64 v79, v92, v105, s26
	;; [unrolled: 1-line block ×4, first 2 shown]
	v_cndmask_b32_e32 v92, v95, v103, vcc_lo
	v_cndmask_b32_e64 v78, v78, v107, s27
	s_waitcnt lgkmcnt(0)
	v_lshrrev_b32_e32 v93, 16, v99
	v_lshrrev_b32_e32 v104, 16, v96
	v_cndmask_b32_e64 v106, v95, v103, s2
	v_cndmask_b32_e64 v92, v92, v96, s3
	;; [unrolled: 1-line block ×3, first 2 shown]
	v_cndmask_b32_e32 v107, v99, v93, vcc_lo
	v_cndmask_b32_e64 v78, v78, v94, s28
	v_cmp_eq_u32_e32 vcc_lo, 7, v89
	v_cndmask_b32_e64 v80, v92, v104, s6
	v_cndmask_b32_e64 v92, v106, v96, s5
	v_cndmask_b32_e64 v94, v107, v100, s3
	v_lshrrev_b32_e32 v106, 16, v100
	v_cndmask_b32_e64 v77, v77, v108, s26
	v_cndmask_b32_e32 v78, v78, v108, vcc_lo
	v_lshrrev_b32_e32 v108, 16, v101
	v_cndmask_b32_e64 v80, v80, v97, s8
	v_cndmask_b32_e64 v94, v94, v106, s6
	v_lshrrev_b32_e32 v107, 16, v97
	v_cndmask_b32_e32 v73, v73, v105, vcc_lo
	v_perm_b32 v79, v77, v79, 0x5040100
	v_cndmask_b32_e64 v92, v92, v104, s7
	v_cndmask_b32_e64 v94, v94, v101, s8
	;; [unrolled: 1-line block ×3, first 2 shown]
	v_perm_b32 v80, v78, v73, 0x5040100
	v_perm_b32 v78, v91, v111, 0x5040100
	v_cndmask_b32_e64 v111, v99, v93, s4
	v_cndmask_b32_e64 v94, v94, v108, s9
	;; [unrolled: 1-line block ×3, first 2 shown]
	s_delay_alu instid0(VALU_DEP_2)
	v_cndmask_b32_e64 v77, v94, v102, s11
	v_cndmask_b32_e64 v94, v95, v103, s4
	;; [unrolled: 1-line block ×22, first 2 shown]
	v_lshrrev_b32_e32 v105, 16, v98
	v_cndmask_b32_e64 v94, v94, v107, s21
	v_cndmask_b32_e64 v95, v95, v107, s27
	v_cndmask_b32_e64 v96, v96, v108, s27
	v_cndmask_b32_e64 v97, v97, v108, s21
	v_cndmask_b32_e64 v93, v93, v108, s12
	v_cndmask_b32_e64 v73, v73, v98, s15
	v_cndmask_b32_e64 v91, v92, v105, s13
	v_lshrrev_b32_e32 v92, 16, v102
	v_cndmask_b32_e64 v94, v94, v98, s23
	v_cndmask_b32_e64 v95, v95, v98, s28
	;; [unrolled: 1-line block ×7, first 2 shown]
	v_dual_cndmask_b32 v94, v95, v105 :: v_dual_cndmask_b32 v95, v96, v92
	v_cndmask_b32_e64 v96, v97, v92, s26
	v_cndmask_b32_e64 v97, v93, v92, s17
	v_cndmask_b32_e64 v99, v77, v92, s13
	v_perm_b32 v77, v110, v109, 0x5040100
	v_perm_b32 v94, v95, v94, 0x5040100
	;; [unrolled: 1-line block ×5, first 2 shown]
	s_lshl_b32 s7, s35, 2
	s_mov_b32 s2, exec_lo
	ds_store_b128 v76, v[77:80]
	ds_store_b128 v76, v[91:94] offset:1024
	v_cmpx_gt_u32_e32 4, v0
	s_cbranch_execz .LBB709_80
; %bb.79:
	v_or_b32_e32 v73, s29, v0
	s_load_b128 s[8:11], s[0:1], 0x58
	s_delay_alu instid0(VALU_DEP_1) | instskip(NEXT) | instid1(VALU_DEP_1)
	v_mad_u64_u32 v[76:77], null, s7, s30, v[73:74]
	v_mad_u64_u32 v[77:78], null, v76, s34, s[14:15]
	s_delay_alu instid0(VALU_DEP_1) | instskip(NEXT) | instid1(VALU_DEP_1)
	v_ashrrev_i32_e32 v78, 31, v77
	v_lshlrev_b64 v[76:77], 2, v[77:78]
	s_waitcnt lgkmcnt(0)
	s_delay_alu instid0(VALU_DEP_1) | instskip(NEXT) | instid1(VALU_DEP_2)
	v_add_co_u32 v78, vcc_lo, s10, v76
	v_add_co_ci_u32_e32 v79, vcc_lo, s11, v77, vcc_lo
	v_add_co_u32 v76, vcc_lo, s8, v76
	v_add_co_ci_u32_e32 v77, vcc_lo, s9, v77, vcc_lo
	global_store_b32 v[78:79], v74, off
	global_store_b32 v[76:77], v75, off
.LBB709_80:
	s_or_b32 exec_lo, exec_lo, s2
	s_waitcnt lgkmcnt(0)
	s_waitcnt_vscnt null, 0x0
	s_barrier
	buffer_gl0_inv
	ds_load_b128 v[91:94], v85
	ds_load_b128 v[95:98], v85 offset:16
	ds_load_b128 v[103:106], v85 offset:1040
	;; [unrolled: 1-line block ×3, first 2 shown]
	v_mov_b32_e32 v73, 0
	ds_load_b128 v[111:114], v85 offset:2064
	ds_load_b128 v[107:110], v85 offset:2048
	;; [unrolled: 1-line block ×6, first 2 shown]
	v_mov_b32_e32 v74, v73
	v_mov_b32_e32 v75, v73
	;; [unrolled: 1-line block ×7, first 2 shown]
	s_waitcnt lgkmcnt(8)
	s_delay_alu instid0(VALU_DEP_1)
	v_wmma_f32_16x16x16_bf16 v[73:80], v[65:72], v[91:98], v[73:80]
	ds_load_b128 v[69:72], v85 offset:5136
	ds_load_b128 v[65:68], v85 offset:5120
	;; [unrolled: 1-line block ×4, first 2 shown]
	s_waitcnt lgkmcnt(10)
	v_wmma_f32_16x16x16_bf16 v[73:80], v[57:64], v[99:106], v[73:80]
	s_waitcnt lgkmcnt(8)
	s_delay_alu instid0(VALU_DEP_1)
	v_wmma_f32_16x16x16_bf16 v[73:80], v[57:64], v[107:114], v[73:80]
	ds_load_b128 v[61:64], v85 offset:7184
	ds_load_b128 v[57:60], v85 offset:7168
	;; [unrolled: 1-line block ×4, first 2 shown]
	s_waitcnt lgkmcnt(10)
	v_wmma_f32_16x16x16_bf16 v[73:80], v[49:56], v[115:122], v[73:80]
	s_waitcnt lgkmcnt(8)
	s_delay_alu instid0(VALU_DEP_1)
	v_wmma_f32_16x16x16_bf16 v[73:80], v[49:56], v[123:130], v[73:80]
	ds_load_b128 v[53:56], v85 offset:9232
	ds_load_b128 v[49:52], v85 offset:9216
	s_waitcnt lgkmcnt(8)
	v_wmma_f32_16x16x16_bf16 v[73:80], v[41:48], v[65:72], v[73:80]
	ds_load_b128 v[69:72], v85 offset:10256
	ds_load_b128 v[65:68], v85 offset:10240
	s_waitcnt lgkmcnt(8)
	;; [unrolled: 4-line block ×3, first 2 shown]
	v_wmma_f32_16x16x16_bf16 v[73:80], v[9:16], v[57:64], v[73:80]
	s_waitcnt lgkmcnt(6)
	s_delay_alu instid0(VALU_DEP_1)
	v_wmma_f32_16x16x16_bf16 v[73:80], v[9:16], v[99:106], v[73:80]
	ds_load_b128 v[13:16], v85 offset:12304
	ds_load_b128 v[9:12], v85 offset:12288
	s_waitcnt lgkmcnt(6)
	v_wmma_f32_16x16x16_bf16 v[73:80], v[1:8], v[49:56], v[73:80]
	ds_load_b128 v[53:56], v85 offset:13328
	ds_load_b128 v[49:52], v85 offset:13312
	s_waitcnt lgkmcnt(6)
	;; [unrolled: 4-line block ×4, first 2 shown]
	v_wmma_f32_16x16x16_bf16 v[73:80], v[33:40], v[9:16], v[73:80]
	s_waitcnt lgkmcnt(4)
	s_delay_alu instid0(VALU_DEP_1) | instskip(SKIP_1) | instid1(VALU_DEP_1)
	v_wmma_f32_16x16x16_bf16 v[73:80], v[25:32], v[49:56], v[73:80]
	s_waitcnt lgkmcnt(2)
	v_wmma_f32_16x16x16_bf16 v[73:80], v[25:32], v[1:8], v[73:80]
	s_waitcnt lgkmcnt(0)
	s_delay_alu instid0(VALU_DEP_1) | instskip(NEXT) | instid1(VALU_DEP_1)
	v_wmma_f32_16x16x16_bf16 v[73:80], v[17:24], v[41:48], v[73:80]
	v_and_b32_e32 v1, 0x7f800000, v73
	s_delay_alu instid0(VALU_DEP_1) | instskip(SKIP_1) | instid1(SALU_CYCLE_1)
	v_cmp_ne_u32_e32 vcc_lo, 0x7f800000, v1
                                        ; implicit-def: $vgpr1
	s_and_saveexec_b32 s2, vcc_lo
	s_xor_b32 s2, exec_lo, s2
; %bb.81:
	v_bfe_u32 v1, v73, 16, 1
	s_delay_alu instid0(VALU_DEP_1)
	v_add3_u32 v1, v73, v1, 0x7fff
; %bb.82:
	s_and_not1_saveexec_b32 s2, s2
; %bb.83:
	v_and_b32_e32 v1, 0xffff, v73
	v_or_b32_e32 v2, 0x10000, v73
	s_delay_alu instid0(VALU_DEP_2) | instskip(NEXT) | instid1(VALU_DEP_2)
	v_cmp_eq_u32_e32 vcc_lo, 0, v1
	v_cndmask_b32_e32 v1, v2, v73, vcc_lo
; %bb.84:
	s_or_b32 exec_lo, exec_lo, s2
	v_and_b32_e32 v2, 0x7f800000, v74
	s_delay_alu instid0(VALU_DEP_1) | instskip(SKIP_1) | instid1(SALU_CYCLE_1)
	v_cmp_ne_u32_e32 vcc_lo, 0x7f800000, v2
                                        ; implicit-def: $vgpr2
	s_and_saveexec_b32 s2, vcc_lo
	s_xor_b32 s2, exec_lo, s2
; %bb.85:
	v_bfe_u32 v2, v74, 16, 1
	s_delay_alu instid0(VALU_DEP_1)
	v_add3_u32 v2, v74, v2, 0x7fff
; %bb.86:
	s_and_not1_saveexec_b32 s2, s2
; %bb.87:
	v_and_b32_e32 v2, 0xffff, v74
	v_or_b32_e32 v3, 0x10000, v74
	s_delay_alu instid0(VALU_DEP_2) | instskip(NEXT) | instid1(VALU_DEP_2)
	v_cmp_eq_u32_e32 vcc_lo, 0, v2
	v_cndmask_b32_e32 v2, v3, v74, vcc_lo
; %bb.88:
	s_or_b32 exec_lo, exec_lo, s2
	v_and_b32_e32 v3, 0x7f800000, v75
	s_delay_alu instid0(VALU_DEP_1) | instskip(SKIP_1) | instid1(SALU_CYCLE_1)
	v_cmp_ne_u32_e32 vcc_lo, 0x7f800000, v3
                                        ; implicit-def: $vgpr3
	s_and_saveexec_b32 s2, vcc_lo
	s_xor_b32 s2, exec_lo, s2
; %bb.89:
	v_bfe_u32 v3, v75, 16, 1
	s_delay_alu instid0(VALU_DEP_1)
	v_add3_u32 v3, v75, v3, 0x7fff
; %bb.90:
	s_and_not1_saveexec_b32 s2, s2
; %bb.91:
	v_and_b32_e32 v3, 0xffff, v75
	v_or_b32_e32 v4, 0x10000, v75
	s_delay_alu instid0(VALU_DEP_2) | instskip(NEXT) | instid1(VALU_DEP_2)
	v_cmp_eq_u32_e32 vcc_lo, 0, v3
	v_cndmask_b32_e32 v3, v4, v75, vcc_lo
; %bb.92:
	s_or_b32 exec_lo, exec_lo, s2
	v_and_b32_e32 v4, 0x7f800000, v76
	s_delay_alu instid0(VALU_DEP_1) | instskip(SKIP_1) | instid1(SALU_CYCLE_1)
	v_cmp_ne_u32_e32 vcc_lo, 0x7f800000, v4
                                        ; implicit-def: $vgpr4
	s_and_saveexec_b32 s2, vcc_lo
	s_xor_b32 s2, exec_lo, s2
; %bb.93:
	v_bfe_u32 v4, v76, 16, 1
	s_delay_alu instid0(VALU_DEP_1)
	v_add3_u32 v4, v76, v4, 0x7fff
; %bb.94:
	s_and_not1_saveexec_b32 s2, s2
; %bb.95:
	v_and_b32_e32 v4, 0xffff, v76
	v_or_b32_e32 v5, 0x10000, v76
	s_delay_alu instid0(VALU_DEP_2) | instskip(NEXT) | instid1(VALU_DEP_2)
	v_cmp_eq_u32_e32 vcc_lo, 0, v4
	v_cndmask_b32_e32 v4, v5, v76, vcc_lo
; %bb.96:
	s_or_b32 exec_lo, exec_lo, s2
	v_and_b32_e32 v5, 0x7f800000, v77
	s_delay_alu instid0(VALU_DEP_1) | instskip(SKIP_1) | instid1(SALU_CYCLE_1)
	v_cmp_ne_u32_e32 vcc_lo, 0x7f800000, v5
                                        ; implicit-def: $vgpr5
	s_and_saveexec_b32 s2, vcc_lo
	s_xor_b32 s2, exec_lo, s2
; %bb.97:
	v_bfe_u32 v5, v77, 16, 1
	s_delay_alu instid0(VALU_DEP_1)
	v_add3_u32 v5, v77, v5, 0x7fff
; %bb.98:
	s_and_not1_saveexec_b32 s2, s2
; %bb.99:
	v_and_b32_e32 v5, 0xffff, v77
	v_or_b32_e32 v6, 0x10000, v77
	s_delay_alu instid0(VALU_DEP_2) | instskip(NEXT) | instid1(VALU_DEP_2)
	v_cmp_eq_u32_e32 vcc_lo, 0, v5
	v_cndmask_b32_e32 v5, v6, v77, vcc_lo
; %bb.100:
	s_or_b32 exec_lo, exec_lo, s2
	v_and_b32_e32 v6, 0x7f800000, v78
	s_delay_alu instid0(VALU_DEP_1) | instskip(SKIP_1) | instid1(SALU_CYCLE_1)
	v_cmp_ne_u32_e32 vcc_lo, 0x7f800000, v6
                                        ; implicit-def: $vgpr6
	s_and_saveexec_b32 s2, vcc_lo
	s_xor_b32 s2, exec_lo, s2
; %bb.101:
	v_bfe_u32 v6, v78, 16, 1
	s_delay_alu instid0(VALU_DEP_1)
	v_add3_u32 v6, v78, v6, 0x7fff
; %bb.102:
	s_and_not1_saveexec_b32 s2, s2
; %bb.103:
	v_and_b32_e32 v6, 0xffff, v78
	v_or_b32_e32 v7, 0x10000, v78
	s_delay_alu instid0(VALU_DEP_2) | instskip(NEXT) | instid1(VALU_DEP_2)
	v_cmp_eq_u32_e32 vcc_lo, 0, v6
	v_cndmask_b32_e32 v6, v7, v78, vcc_lo
; %bb.104:
	s_or_b32 exec_lo, exec_lo, s2
	v_and_b32_e32 v7, 0x7f800000, v79
	s_delay_alu instid0(VALU_DEP_1) | instskip(SKIP_1) | instid1(SALU_CYCLE_1)
	v_cmp_ne_u32_e32 vcc_lo, 0x7f800000, v7
                                        ; implicit-def: $vgpr7
	s_and_saveexec_b32 s2, vcc_lo
	s_xor_b32 s2, exec_lo, s2
; %bb.105:
	v_bfe_u32 v7, v79, 16, 1
	s_delay_alu instid0(VALU_DEP_1)
	v_add3_u32 v7, v79, v7, 0x7fff
; %bb.106:
	s_and_not1_saveexec_b32 s2, s2
; %bb.107:
	v_and_b32_e32 v7, 0xffff, v79
	v_or_b32_e32 v8, 0x10000, v79
	s_delay_alu instid0(VALU_DEP_2) | instskip(NEXT) | instid1(VALU_DEP_2)
	v_cmp_eq_u32_e32 vcc_lo, 0, v7
	v_cndmask_b32_e32 v7, v8, v79, vcc_lo
; %bb.108:
	s_or_b32 exec_lo, exec_lo, s2
	v_and_b32_e32 v8, 0x7f800000, v80
	s_delay_alu instid0(VALU_DEP_1) | instskip(SKIP_1) | instid1(SALU_CYCLE_1)
	v_cmp_ne_u32_e32 vcc_lo, 0x7f800000, v8
                                        ; implicit-def: $vgpr8
	s_and_saveexec_b32 s2, vcc_lo
	s_xor_b32 s2, exec_lo, s2
; %bb.109:
	v_bfe_u32 v8, v80, 16, 1
	s_delay_alu instid0(VALU_DEP_1)
	v_add3_u32 v8, v80, v8, 0x7fff
                                        ; implicit-def: $vgpr73_vgpr74_vgpr75_vgpr76_vgpr77_vgpr78_vgpr79_vgpr80
; %bb.110:
	s_and_not1_saveexec_b32 s2, s2
; %bb.111:
	v_and_b32_e32 v8, 0xffff, v80
	v_or_b32_e32 v9, 0x10000, v80
	s_delay_alu instid0(VALU_DEP_2) | instskip(NEXT) | instid1(VALU_DEP_2)
	v_cmp_eq_u32_e32 vcc_lo, 0, v8
	v_cndmask_b32_e32 v8, v9, v80, vcc_lo
; %bb.112:
	s_or_b32 exec_lo, exec_lo, s2
	s_delay_alu instid0(VALU_DEP_1)
	v_perm_b32 v7, v8, v7, 0x7060302
	v_perm_b32 v6, v6, v5, 0x7060302
	;; [unrolled: 1-line block ×4, first 2 shown]
	v_lshl_or_b32 v9, v83, 4, v90
	s_barrier
	buffer_gl0_inv
	v_cmp_eq_u32_e32 vcc_lo, 1, v87
	ds_store_b128 v9, v[4:7]
	s_waitcnt lgkmcnt(0)
	s_barrier
	buffer_gl0_inv
	ds_load_b128 v[1:4], v90
	ds_load_b128 v[5:8], v90 offset:16
	v_cmp_eq_u32_e64 s3, 2, v87
	v_cmp_eq_u32_e64 s2, 1, v88
	;; [unrolled: 1-line block ×5, first 2 shown]
	s_waitcnt lgkmcnt(1)
	v_lshrrev_b32_e32 v10, 16, v1
	s_waitcnt lgkmcnt(0)
	v_lshrrev_b32_e32 v14, 16, v5
	v_lshrrev_b32_e32 v15, 16, v6
	;; [unrolled: 1-line block ×4, first 2 shown]
	v_cndmask_b32_e64 v20, v1, v10, s2
	v_cndmask_b32_e32 v19, v5, v14, vcc_lo
	v_cndmask_b32_e64 v21, v5, v14, s2
	v_lshrrev_b32_e32 v16, 16, v7
	v_cmp_eq_u32_e64 s2, 1, v86
	v_lshrrev_b32_e32 v13, 16, v4
	v_cndmask_b32_e64 v19, v19, v6, s3
	v_lshrrev_b32_e32 v17, 16, v8
	s_delay_alu instid0(VALU_DEP_4) | instskip(SKIP_1) | instid1(VALU_DEP_4)
	v_cndmask_b32_e64 v22, v1, v10, s2
	v_cndmask_b32_e64 v23, v5, v14, s2
	;; [unrolled: 1-line block ×3, first 2 shown]
	v_cndmask_b32_e32 v18, v1, v10, vcc_lo
	v_cmp_eq_u32_e32 vcc_lo, 2, v88
	v_cmp_eq_u32_e64 s2, 2, v89
	v_cndmask_b32_e64 v22, v22, v2, s6
	v_cndmask_b32_e32 v20, v20, v2, vcc_lo
	v_cndmask_b32_e32 v21, v21, v6, vcc_lo
	v_cmp_eq_u32_e32 vcc_lo, 4, v87
	v_cndmask_b32_e32 v19, v19, v7, vcc_lo
	v_cndmask_b32_e64 v18, v18, v2, s3
	v_cmp_eq_u32_e64 s3, 3, v88
	s_delay_alu instid0(VALU_DEP_2) | instskip(NEXT) | instid1(VALU_DEP_2)
	v_cndmask_b32_e64 v18, v18, v11, s4
	v_cndmask_b32_e64 v21, v21, v15, s3
	v_cmp_eq_u32_e64 s4, 5, v87
	s_delay_alu instid0(VALU_DEP_3) | instskip(SKIP_1) | instid1(VALU_DEP_3)
	v_cndmask_b32_e32 v18, v18, v3, vcc_lo
	v_cmp_eq_u32_e32 vcc_lo, 4, v88
	v_cndmask_b32_e64 v19, v19, v16, s4
	s_delay_alu instid0(VALU_DEP_3) | instskip(SKIP_4) | instid1(VALU_DEP_3)
	v_cndmask_b32_e64 v18, v18, v12, s4
	v_cndmask_b32_e32 v21, v21, v7, vcc_lo
	v_cndmask_b32_e64 v20, v20, v11, s3
	v_cmp_eq_u32_e64 s3, 5, v88
	v_cmp_eq_u32_e64 s4, 6, v87
	v_cndmask_b32_e32 v20, v20, v3, vcc_lo
	s_delay_alu instid0(VALU_DEP_3) | instskip(SKIP_1) | instid1(VALU_DEP_4)
	v_cndmask_b32_e64 v21, v21, v16, s3
	v_cmp_eq_u32_e32 vcc_lo, 6, v88
	v_cndmask_b32_e64 v18, v18, v4, s4
	v_cndmask_b32_e64 v19, v19, v8, s4
	;; [unrolled: 1-line block ×3, first 2 shown]
	v_cmp_eq_u32_e64 s3, 1, v89
	v_cmp_eq_u32_e64 s4, 7, v87
	s_delay_alu instid0(VALU_DEP_3) | instskip(NEXT) | instid1(VALU_DEP_3)
	v_cndmask_b32_e32 v20, v20, v4, vcc_lo
	v_cndmask_b32_e64 v1, v1, v10, s3
	v_cndmask_b32_e64 v5, v5, v14, s3
	v_cmp_eq_u32_e64 s3, 3, v86
	v_cndmask_b32_e64 v14, v23, v6, s6
	v_cmp_eq_u32_e64 s6, 3, v89
	v_cndmask_b32_e64 v1, v1, v2, s2
	v_cndmask_b32_e64 v2, v5, v6, s2
	;; [unrolled: 1-line block ×3, first 2 shown]
	v_cmp_eq_u32_e64 s2, 4, v86
	v_cndmask_b32_e64 v6, v14, v15, s3
	v_cndmask_b32_e64 v1, v1, v11, s6
	v_cmp_eq_u32_e64 s3, 4, v89
	v_cndmask_b32_e64 v2, v2, v15, s6
	v_cndmask_b32_e64 v5, v10, v3, s2
	;; [unrolled: 3-line block ×3, first 2 shown]
	v_cndmask_b32_e64 v2, v2, v7, s3
	v_cmp_eq_u32_e64 s2, 5, v89
	v_cndmask_b32_e64 v5, v5, v12, s6
	v_cmp_eq_u32_e64 s3, 6, v86
	;; [unrolled: 2-line block ×3, first 2 shown]
	v_cndmask_b32_e64 v1, v1, v12, s2
	v_cndmask_b32_e64 v2, v2, v16, s2
	;; [unrolled: 1-line block ×4, first 2 shown]
	v_cmp_eq_u32_e64 s2, 7, v89
	v_cndmask_b32_e64 v1, v1, v4, s6
	v_cndmask_b32_e64 v2, v2, v8, s6
	v_cmp_eq_u32_e64 s3, 7, v86
	v_cndmask_b32_e32 v4, v21, v8, vcc_lo
	v_cndmask_b32_e64 v18, v18, v13, s4
	v_cndmask_b32_e64 v20, v20, v13, s5
	v_cndmask_b32_e64 v1, v1, v13, s2
	v_cndmask_b32_e64 v5, v5, v13, s3
	v_cndmask_b32_e64 v2, v2, v17, s2
	v_cndmask_b32_e64 v3, v3, v17, s3
	v_cndmask_b32_e64 v6, v4, v17, s5
	v_cndmask_b32_e64 v7, v19, v17, s4
	s_mov_b32 s2, exec_lo
	v_perm_b32 v4, v2, v1, 0x5040100
	v_perm_b32 v3, v3, v5, 0x5040100
	;; [unrolled: 1-line block ×4, first 2 shown]
	ds_store_b128 v9, v[1:4]
	s_waitcnt lgkmcnt(0)
	s_barrier
	buffer_gl0_inv
	v_cmpx_gt_u32_e32 32, v0
	s_cbranch_execz .LBB709_2
; %bb.113:
	s_load_b64 s[0:1], s[0:1], 0x68
	v_lshlrev_b32_e32 v0, 10, v0
	v_or_b32_e32 v1, s29, v83
	s_lshl_b32 s4, s34, 7
	v_lshlrev_b32_e32 v2, 4, v84
	s_mul_i32 s2, s4, s30
	v_lshlrev_b32_e32 v3, 6, v83
	v_mul_lo_u32 v8, v1, s4
	v_and_b32_e32 v0, 0x3800, v0
	v_or_b32_e32 v1, 2, v1
	s_mul_i32 s2, s2, s7
	s_delay_alu instid0(SALU_CYCLE_1) | instskip(NEXT) | instid1(VALU_DEP_2)
	s_ashr_i32 s3, s2, 31
	v_or3_b32 v4, v0, v2, v3
	s_lshl_b64 s[2:3], s[2:3], 1
	v_mul_lo_u32 v10, v1, s4
	v_ashrrev_i32_e32 v9, 31, v8
	ds_load_b128 v[0:3], v4
	ds_load_b128 v[4:7], v4 offset:128
	s_waitcnt lgkmcnt(0)
	s_add_u32 s2, s0, s2
	s_addc_u32 s3, s1, s3
	s_lshl_b32 s0, s14, 7
	v_ashrrev_i32_e32 v11, 31, v10
	s_ashr_i32 s1, s0, 31
	v_lshlrev_b64 v[8:9], 1, v[8:9]
	s_lshl_b64 s[0:1], s[0:1], 1
	s_delay_alu instid0(SALU_CYCLE_1) | instskip(SKIP_4) | instid1(VALU_DEP_3)
	s_add_u32 s0, s2, s0
	s_addc_u32 s1, s3, s1
	v_add_co_u32 v12, vcc_lo, s0, v81
	v_add_co_ci_u32_e32 v13, vcc_lo, s1, v82, vcc_lo
	v_lshlrev_b64 v[10:11], 1, v[10:11]
	v_add_co_u32 v8, vcc_lo, v12, v8
	s_delay_alu instid0(VALU_DEP_3) | instskip(NEXT) | instid1(VALU_DEP_3)
	v_add_co_ci_u32_e32 v9, vcc_lo, v13, v9, vcc_lo
	v_add_co_u32 v10, vcc_lo, v12, v10
	s_delay_alu instid0(VALU_DEP_4)
	v_add_co_ci_u32_e32 v11, vcc_lo, v13, v11, vcc_lo
	s_clause 0x1
	global_store_b128 v[8:9], v[0:3], off
	global_store_b128 v[10:11], v[4:7], off
	s_nop 0
	s_sendmsg sendmsg(MSG_DEALLOC_VGPRS)
	s_endpgm
	.section	.rodata,"a",@progbits
	.p2align	6, 0x0
	.amdhsa_kernel _Z39paged_attention_ll4mi_QKV_mfma16_kernelI14__hip_bfloat16S0_LN4vllm18Fp8KVCacheDataTypeE0EhLi32ELi128ELi256ELb1ELi4EL8MFMAType0EEvPKT_PKT0_S9_ifPKiSB_SB_iPKfiiiPfSE_PS4_PT2_iSD_SD_
		.amdhsa_group_segment_fixed_size 17472
		.amdhsa_private_segment_fixed_size 0
		.amdhsa_kernarg_size 400
		.amdhsa_user_sgpr_count 13
		.amdhsa_user_sgpr_dispatch_ptr 0
		.amdhsa_user_sgpr_queue_ptr 0
		.amdhsa_user_sgpr_kernarg_segment_ptr 1
		.amdhsa_user_sgpr_dispatch_id 0
		.amdhsa_user_sgpr_private_segment_size 0
		.amdhsa_wavefront_size32 1
		.amdhsa_uses_dynamic_stack 0
		.amdhsa_enable_private_segment 0
		.amdhsa_system_sgpr_workgroup_id_x 1
		.amdhsa_system_sgpr_workgroup_id_y 1
		.amdhsa_system_sgpr_workgroup_id_z 1
		.amdhsa_system_sgpr_workgroup_info 0
		.amdhsa_system_vgpr_workitem_id 0
		.amdhsa_next_free_vgpr 157
		.amdhsa_next_free_sgpr 40
		.amdhsa_reserve_vcc 1
		.amdhsa_float_round_mode_32 0
		.amdhsa_float_round_mode_16_64 0
		.amdhsa_float_denorm_mode_32 3
		.amdhsa_float_denorm_mode_16_64 3
		.amdhsa_dx10_clamp 1
		.amdhsa_ieee_mode 1
		.amdhsa_fp16_overflow 0
		.amdhsa_workgroup_processor_mode 1
		.amdhsa_memory_ordered 1
		.amdhsa_forward_progress 0
		.amdhsa_shared_vgpr_count 0
		.amdhsa_exception_fp_ieee_invalid_op 0
		.amdhsa_exception_fp_denorm_src 0
		.amdhsa_exception_fp_ieee_div_zero 0
		.amdhsa_exception_fp_ieee_overflow 0
		.amdhsa_exception_fp_ieee_underflow 0
		.amdhsa_exception_fp_ieee_inexact 0
		.amdhsa_exception_int_div_zero 0
	.end_amdhsa_kernel
	.section	.text._Z39paged_attention_ll4mi_QKV_mfma16_kernelI14__hip_bfloat16S0_LN4vllm18Fp8KVCacheDataTypeE0EhLi32ELi128ELi256ELb1ELi4EL8MFMAType0EEvPKT_PKT0_S9_ifPKiSB_SB_iPKfiiiPfSE_PS4_PT2_iSD_SD_,"axG",@progbits,_Z39paged_attention_ll4mi_QKV_mfma16_kernelI14__hip_bfloat16S0_LN4vllm18Fp8KVCacheDataTypeE0EhLi32ELi128ELi256ELb1ELi4EL8MFMAType0EEvPKT_PKT0_S9_ifPKiSB_SB_iPKfiiiPfSE_PS4_PT2_iSD_SD_,comdat
.Lfunc_end709:
	.size	_Z39paged_attention_ll4mi_QKV_mfma16_kernelI14__hip_bfloat16S0_LN4vllm18Fp8KVCacheDataTypeE0EhLi32ELi128ELi256ELb1ELi4EL8MFMAType0EEvPKT_PKT0_S9_ifPKiSB_SB_iPKfiiiPfSE_PS4_PT2_iSD_SD_, .Lfunc_end709-_Z39paged_attention_ll4mi_QKV_mfma16_kernelI14__hip_bfloat16S0_LN4vllm18Fp8KVCacheDataTypeE0EhLi32ELi128ELi256ELb1ELi4EL8MFMAType0EEvPKT_PKT0_S9_ifPKiSB_SB_iPKfiiiPfSE_PS4_PT2_iSD_SD_
                                        ; -- End function
	.section	.AMDGPU.csdata,"",@progbits
; Kernel info:
; codeLenInByte = 9636
; NumSgprs: 42
; NumVgprs: 157
; ScratchSize: 0
; MemoryBound: 0
; FloatMode: 240
; IeeeMode: 1
; LDSByteSize: 17472 bytes/workgroup (compile time only)
; SGPRBlocks: 5
; VGPRBlocks: 19
; NumSGPRsForWavesPerEU: 42
; NumVGPRsForWavesPerEU: 157
; Occupancy: 9
; WaveLimiterHint : 1
; COMPUTE_PGM_RSRC2:SCRATCH_EN: 0
; COMPUTE_PGM_RSRC2:USER_SGPR: 13
; COMPUTE_PGM_RSRC2:TRAP_HANDLER: 0
; COMPUTE_PGM_RSRC2:TGID_X_EN: 1
; COMPUTE_PGM_RSRC2:TGID_Y_EN: 1
; COMPUTE_PGM_RSRC2:TGID_Z_EN: 1
; COMPUTE_PGM_RSRC2:TIDIG_COMP_CNT: 0
	.section	.text._Z38paged_attention_ll4mi_QKV_mfma4_kernelI14__hip_bfloat16S0_LN4vllm18Fp8KVCacheDataTypeE0EhLi32ELi128ELi256ELb0ELi1EEvPKT_PKT0_S8_ifPKiSA_SA_iPKfiiiPfSD_PS3_PT2_iSC_SC_,"axG",@progbits,_Z38paged_attention_ll4mi_QKV_mfma4_kernelI14__hip_bfloat16S0_LN4vllm18Fp8KVCacheDataTypeE0EhLi32ELi128ELi256ELb0ELi1EEvPKT_PKT0_S8_ifPKiSA_SA_iPKfiiiPfSD_PS3_PT2_iSC_SC_,comdat
	.protected	_Z38paged_attention_ll4mi_QKV_mfma4_kernelI14__hip_bfloat16S0_LN4vllm18Fp8KVCacheDataTypeE0EhLi32ELi128ELi256ELb0ELi1EEvPKT_PKT0_S8_ifPKiSA_SA_iPKfiiiPfSD_PS3_PT2_iSC_SC_ ; -- Begin function _Z38paged_attention_ll4mi_QKV_mfma4_kernelI14__hip_bfloat16S0_LN4vllm18Fp8KVCacheDataTypeE0EhLi32ELi128ELi256ELb0ELi1EEvPKT_PKT0_S8_ifPKiSA_SA_iPKfiiiPfSD_PS3_PT2_iSC_SC_
	.globl	_Z38paged_attention_ll4mi_QKV_mfma4_kernelI14__hip_bfloat16S0_LN4vllm18Fp8KVCacheDataTypeE0EhLi32ELi128ELi256ELb0ELi1EEvPKT_PKT0_S8_ifPKiSA_SA_iPKfiiiPfSD_PS3_PT2_iSC_SC_
	.p2align	8
	.type	_Z38paged_attention_ll4mi_QKV_mfma4_kernelI14__hip_bfloat16S0_LN4vllm18Fp8KVCacheDataTypeE0EhLi32ELi128ELi256ELb0ELi1EEvPKT_PKT0_S8_ifPKiSA_SA_iPKfiiiPfSD_PS3_PT2_iSC_SC_,@function
_Z38paged_attention_ll4mi_QKV_mfma4_kernelI14__hip_bfloat16S0_LN4vllm18Fp8KVCacheDataTypeE0EhLi32ELi128ELi256ELb0ELi1EEvPKT_PKT0_S8_ifPKiSA_SA_iPKfiiiPfSD_PS3_PT2_iSC_SC_: ; @_Z38paged_attention_ll4mi_QKV_mfma4_kernelI14__hip_bfloat16S0_LN4vllm18Fp8KVCacheDataTypeE0EhLi32ELi128ELi256ELb0ELi1EEvPKT_PKT0_S8_ifPKiSA_SA_iPKfiiiPfSD_PS3_PT2_iSC_SC_
; %bb.0:
	s_add_u32 s8, s0, 0x90
	s_addc_u32 s9, s1, 0
	s_getpc_b64 s[0:1]
	s_add_u32 s0, s0, __PRETTY_FUNCTION__._Z38paged_attention_ll4mi_QKV_mfma4_kernelI14__hip_bfloat16S0_LN4vllm18Fp8KVCacheDataTypeE0EhLi32ELi128ELi256ELb0ELi1EEvPKT_PKT0_S8_ifPKiSA_SA_iPKfiiiPfSD_PS3_PT2_iSC_SC_@rel32@lo+4
	s_addc_u32 s1, s1, __PRETTY_FUNCTION__._Z38paged_attention_ll4mi_QKV_mfma4_kernelI14__hip_bfloat16S0_LN4vllm18Fp8KVCacheDataTypeE0EhLi32ELi128ELi256ELb0ELi1EEvPKT_PKT0_S8_ifPKiSA_SA_iPKfiiiPfSD_PS3_PT2_iSC_SC_@rel32@hi+12
	s_delay_alu instid0(SALU_CYCLE_1) | instskip(SKIP_4) | instid1(SALU_CYCLE_1)
	v_dual_mov_b32 v0, s0 :: v_dual_mov_b32 v1, s1
	s_mov_b32 s32, 0
	s_getpc_b64 s[2:3]
	s_add_u32 s2, s2, __assert_fail@rel32@lo+4
	s_addc_u32 s3, s3, __assert_fail@rel32@hi+12
	s_swappc_b64 s[30:31], s[2:3]
	.section	.rodata,"a",@progbits
	.p2align	6, 0x0
	.amdhsa_kernel _Z38paged_attention_ll4mi_QKV_mfma4_kernelI14__hip_bfloat16S0_LN4vllm18Fp8KVCacheDataTypeE0EhLi32ELi128ELi256ELb0ELi1EEvPKT_PKT0_S8_ifPKiSA_SA_iPKfiiiPfSD_PS3_PT2_iSC_SC_
		.amdhsa_group_segment_fixed_size 0
		.amdhsa_private_segment_fixed_size 64
		.amdhsa_kernarg_size 400
		.amdhsa_user_sgpr_count 15
		.amdhsa_user_sgpr_dispatch_ptr 0
		.amdhsa_user_sgpr_queue_ptr 0
		.amdhsa_user_sgpr_kernarg_segment_ptr 1
		.amdhsa_user_sgpr_dispatch_id 0
		.amdhsa_user_sgpr_private_segment_size 0
		.amdhsa_wavefront_size32 1
		.amdhsa_uses_dynamic_stack 0
		.amdhsa_enable_private_segment 1
		.amdhsa_system_sgpr_workgroup_id_x 1
		.amdhsa_system_sgpr_workgroup_id_y 0
		.amdhsa_system_sgpr_workgroup_id_z 0
		.amdhsa_system_sgpr_workgroup_info 0
		.amdhsa_system_vgpr_workitem_id 0
		.amdhsa_next_free_vgpr 41
		.amdhsa_next_free_sgpr 34
		.amdhsa_reserve_vcc 1
		.amdhsa_float_round_mode_32 0
		.amdhsa_float_round_mode_16_64 0
		.amdhsa_float_denorm_mode_32 3
		.amdhsa_float_denorm_mode_16_64 3
		.amdhsa_dx10_clamp 1
		.amdhsa_ieee_mode 1
		.amdhsa_fp16_overflow 0
		.amdhsa_workgroup_processor_mode 1
		.amdhsa_memory_ordered 1
		.amdhsa_forward_progress 0
		.amdhsa_shared_vgpr_count 0
		.amdhsa_exception_fp_ieee_invalid_op 0
		.amdhsa_exception_fp_denorm_src 0
		.amdhsa_exception_fp_ieee_div_zero 0
		.amdhsa_exception_fp_ieee_overflow 0
		.amdhsa_exception_fp_ieee_underflow 0
		.amdhsa_exception_fp_ieee_inexact 0
		.amdhsa_exception_int_div_zero 0
	.end_amdhsa_kernel
	.section	.text._Z38paged_attention_ll4mi_QKV_mfma4_kernelI14__hip_bfloat16S0_LN4vllm18Fp8KVCacheDataTypeE0EhLi32ELi128ELi256ELb0ELi1EEvPKT_PKT0_S8_ifPKiSA_SA_iPKfiiiPfSD_PS3_PT2_iSC_SC_,"axG",@progbits,_Z38paged_attention_ll4mi_QKV_mfma4_kernelI14__hip_bfloat16S0_LN4vllm18Fp8KVCacheDataTypeE0EhLi32ELi128ELi256ELb0ELi1EEvPKT_PKT0_S8_ifPKiSA_SA_iPKfiiiPfSD_PS3_PT2_iSC_SC_,comdat
.Lfunc_end710:
	.size	_Z38paged_attention_ll4mi_QKV_mfma4_kernelI14__hip_bfloat16S0_LN4vllm18Fp8KVCacheDataTypeE0EhLi32ELi128ELi256ELb0ELi1EEvPKT_PKT0_S8_ifPKiSA_SA_iPKfiiiPfSD_PS3_PT2_iSC_SC_, .Lfunc_end710-_Z38paged_attention_ll4mi_QKV_mfma4_kernelI14__hip_bfloat16S0_LN4vllm18Fp8KVCacheDataTypeE0EhLi32ELi128ELi256ELb0ELi1EEvPKT_PKT0_S8_ifPKiSA_SA_iPKfiiiPfSD_PS3_PT2_iSC_SC_
                                        ; -- End function
	.section	.AMDGPU.csdata,"",@progbits
; Kernel info:
; codeLenInByte = 72
; NumSgprs: 36
; NumVgprs: 41
; ScratchSize: 64
; MemoryBound: 0
; FloatMode: 240
; IeeeMode: 1
; LDSByteSize: 0 bytes/workgroup (compile time only)
; SGPRBlocks: 4
; VGPRBlocks: 5
; NumSGPRsForWavesPerEU: 36
; NumVGPRsForWavesPerEU: 41
; Occupancy: 16
; WaveLimiterHint : 1
; COMPUTE_PGM_RSRC2:SCRATCH_EN: 1
; COMPUTE_PGM_RSRC2:USER_SGPR: 15
; COMPUTE_PGM_RSRC2:TRAP_HANDLER: 0
; COMPUTE_PGM_RSRC2:TGID_X_EN: 1
; COMPUTE_PGM_RSRC2:TGID_Y_EN: 0
; COMPUTE_PGM_RSRC2:TGID_Z_EN: 0
; COMPUTE_PGM_RSRC2:TIDIG_COMP_CNT: 0
	.section	.text._Z38paged_attention_ll4mi_QKV_mfma4_kernelI14__hip_bfloat16S0_LN4vllm18Fp8KVCacheDataTypeE0EhLi32ELi128ELi256ELb0ELi2EEvPKT_PKT0_S8_ifPKiSA_SA_iPKfiiiPfSD_PS3_PT2_iSC_SC_,"axG",@progbits,_Z38paged_attention_ll4mi_QKV_mfma4_kernelI14__hip_bfloat16S0_LN4vllm18Fp8KVCacheDataTypeE0EhLi32ELi128ELi256ELb0ELi2EEvPKT_PKT0_S8_ifPKiSA_SA_iPKfiiiPfSD_PS3_PT2_iSC_SC_,comdat
	.protected	_Z38paged_attention_ll4mi_QKV_mfma4_kernelI14__hip_bfloat16S0_LN4vllm18Fp8KVCacheDataTypeE0EhLi32ELi128ELi256ELb0ELi2EEvPKT_PKT0_S8_ifPKiSA_SA_iPKfiiiPfSD_PS3_PT2_iSC_SC_ ; -- Begin function _Z38paged_attention_ll4mi_QKV_mfma4_kernelI14__hip_bfloat16S0_LN4vllm18Fp8KVCacheDataTypeE0EhLi32ELi128ELi256ELb0ELi2EEvPKT_PKT0_S8_ifPKiSA_SA_iPKfiiiPfSD_PS3_PT2_iSC_SC_
	.globl	_Z38paged_attention_ll4mi_QKV_mfma4_kernelI14__hip_bfloat16S0_LN4vllm18Fp8KVCacheDataTypeE0EhLi32ELi128ELi256ELb0ELi2EEvPKT_PKT0_S8_ifPKiSA_SA_iPKfiiiPfSD_PS3_PT2_iSC_SC_
	.p2align	8
	.type	_Z38paged_attention_ll4mi_QKV_mfma4_kernelI14__hip_bfloat16S0_LN4vllm18Fp8KVCacheDataTypeE0EhLi32ELi128ELi256ELb0ELi2EEvPKT_PKT0_S8_ifPKiSA_SA_iPKfiiiPfSD_PS3_PT2_iSC_SC_,@function
_Z38paged_attention_ll4mi_QKV_mfma4_kernelI14__hip_bfloat16S0_LN4vllm18Fp8KVCacheDataTypeE0EhLi32ELi128ELi256ELb0ELi2EEvPKT_PKT0_S8_ifPKiSA_SA_iPKfiiiPfSD_PS3_PT2_iSC_SC_: ; @_Z38paged_attention_ll4mi_QKV_mfma4_kernelI14__hip_bfloat16S0_LN4vllm18Fp8KVCacheDataTypeE0EhLi32ELi128ELi256ELb0ELi2EEvPKT_PKT0_S8_ifPKiSA_SA_iPKfiiiPfSD_PS3_PT2_iSC_SC_
; %bb.0:
	s_add_u32 s8, s0, 0x90
	s_addc_u32 s9, s1, 0
	s_getpc_b64 s[0:1]
	s_add_u32 s0, s0, __PRETTY_FUNCTION__._Z38paged_attention_ll4mi_QKV_mfma4_kernelI14__hip_bfloat16S0_LN4vllm18Fp8KVCacheDataTypeE0EhLi32ELi128ELi256ELb0ELi2EEvPKT_PKT0_S8_ifPKiSA_SA_iPKfiiiPfSD_PS3_PT2_iSC_SC_@rel32@lo+4
	s_addc_u32 s1, s1, __PRETTY_FUNCTION__._Z38paged_attention_ll4mi_QKV_mfma4_kernelI14__hip_bfloat16S0_LN4vllm18Fp8KVCacheDataTypeE0EhLi32ELi128ELi256ELb0ELi2EEvPKT_PKT0_S8_ifPKiSA_SA_iPKfiiiPfSD_PS3_PT2_iSC_SC_@rel32@hi+12
	s_delay_alu instid0(SALU_CYCLE_1) | instskip(SKIP_4) | instid1(SALU_CYCLE_1)
	v_dual_mov_b32 v0, s0 :: v_dual_mov_b32 v1, s1
	s_mov_b32 s32, 0
	s_getpc_b64 s[2:3]
	s_add_u32 s2, s2, __assert_fail@rel32@lo+4
	s_addc_u32 s3, s3, __assert_fail@rel32@hi+12
	s_swappc_b64 s[30:31], s[2:3]
	.section	.rodata,"a",@progbits
	.p2align	6, 0x0
	.amdhsa_kernel _Z38paged_attention_ll4mi_QKV_mfma4_kernelI14__hip_bfloat16S0_LN4vllm18Fp8KVCacheDataTypeE0EhLi32ELi128ELi256ELb0ELi2EEvPKT_PKT0_S8_ifPKiSA_SA_iPKfiiiPfSD_PS3_PT2_iSC_SC_
		.amdhsa_group_segment_fixed_size 0
		.amdhsa_private_segment_fixed_size 64
		.amdhsa_kernarg_size 400
		.amdhsa_user_sgpr_count 15
		.amdhsa_user_sgpr_dispatch_ptr 0
		.amdhsa_user_sgpr_queue_ptr 0
		.amdhsa_user_sgpr_kernarg_segment_ptr 1
		.amdhsa_user_sgpr_dispatch_id 0
		.amdhsa_user_sgpr_private_segment_size 0
		.amdhsa_wavefront_size32 1
		.amdhsa_uses_dynamic_stack 0
		.amdhsa_enable_private_segment 1
		.amdhsa_system_sgpr_workgroup_id_x 1
		.amdhsa_system_sgpr_workgroup_id_y 0
		.amdhsa_system_sgpr_workgroup_id_z 0
		.amdhsa_system_sgpr_workgroup_info 0
		.amdhsa_system_vgpr_workitem_id 0
		.amdhsa_next_free_vgpr 41
		.amdhsa_next_free_sgpr 34
		.amdhsa_reserve_vcc 1
		.amdhsa_float_round_mode_32 0
		.amdhsa_float_round_mode_16_64 0
		.amdhsa_float_denorm_mode_32 3
		.amdhsa_float_denorm_mode_16_64 3
		.amdhsa_dx10_clamp 1
		.amdhsa_ieee_mode 1
		.amdhsa_fp16_overflow 0
		.amdhsa_workgroup_processor_mode 1
		.amdhsa_memory_ordered 1
		.amdhsa_forward_progress 0
		.amdhsa_shared_vgpr_count 0
		.amdhsa_exception_fp_ieee_invalid_op 0
		.amdhsa_exception_fp_denorm_src 0
		.amdhsa_exception_fp_ieee_div_zero 0
		.amdhsa_exception_fp_ieee_overflow 0
		.amdhsa_exception_fp_ieee_underflow 0
		.amdhsa_exception_fp_ieee_inexact 0
		.amdhsa_exception_int_div_zero 0
	.end_amdhsa_kernel
	.section	.text._Z38paged_attention_ll4mi_QKV_mfma4_kernelI14__hip_bfloat16S0_LN4vllm18Fp8KVCacheDataTypeE0EhLi32ELi128ELi256ELb0ELi2EEvPKT_PKT0_S8_ifPKiSA_SA_iPKfiiiPfSD_PS3_PT2_iSC_SC_,"axG",@progbits,_Z38paged_attention_ll4mi_QKV_mfma4_kernelI14__hip_bfloat16S0_LN4vllm18Fp8KVCacheDataTypeE0EhLi32ELi128ELi256ELb0ELi2EEvPKT_PKT0_S8_ifPKiSA_SA_iPKfiiiPfSD_PS3_PT2_iSC_SC_,comdat
.Lfunc_end711:
	.size	_Z38paged_attention_ll4mi_QKV_mfma4_kernelI14__hip_bfloat16S0_LN4vllm18Fp8KVCacheDataTypeE0EhLi32ELi128ELi256ELb0ELi2EEvPKT_PKT0_S8_ifPKiSA_SA_iPKfiiiPfSD_PS3_PT2_iSC_SC_, .Lfunc_end711-_Z38paged_attention_ll4mi_QKV_mfma4_kernelI14__hip_bfloat16S0_LN4vllm18Fp8KVCacheDataTypeE0EhLi32ELi128ELi256ELb0ELi2EEvPKT_PKT0_S8_ifPKiSA_SA_iPKfiiiPfSD_PS3_PT2_iSC_SC_
                                        ; -- End function
	.section	.AMDGPU.csdata,"",@progbits
; Kernel info:
; codeLenInByte = 72
; NumSgprs: 36
; NumVgprs: 41
; ScratchSize: 64
; MemoryBound: 0
; FloatMode: 240
; IeeeMode: 1
; LDSByteSize: 0 bytes/workgroup (compile time only)
; SGPRBlocks: 4
; VGPRBlocks: 5
; NumSGPRsForWavesPerEU: 36
; NumVGPRsForWavesPerEU: 41
; Occupancy: 16
; WaveLimiterHint : 1
; COMPUTE_PGM_RSRC2:SCRATCH_EN: 1
; COMPUTE_PGM_RSRC2:USER_SGPR: 15
; COMPUTE_PGM_RSRC2:TRAP_HANDLER: 0
; COMPUTE_PGM_RSRC2:TGID_X_EN: 1
; COMPUTE_PGM_RSRC2:TGID_Y_EN: 0
; COMPUTE_PGM_RSRC2:TGID_Z_EN: 0
; COMPUTE_PGM_RSRC2:TIDIG_COMP_CNT: 0
	.section	.text._Z38paged_attention_ll4mi_QKV_mfma4_kernelI14__hip_bfloat16S0_LN4vllm18Fp8KVCacheDataTypeE0EhLi32ELi128ELi256ELb0ELi3EEvPKT_PKT0_S8_ifPKiSA_SA_iPKfiiiPfSD_PS3_PT2_iSC_SC_,"axG",@progbits,_Z38paged_attention_ll4mi_QKV_mfma4_kernelI14__hip_bfloat16S0_LN4vllm18Fp8KVCacheDataTypeE0EhLi32ELi128ELi256ELb0ELi3EEvPKT_PKT0_S8_ifPKiSA_SA_iPKfiiiPfSD_PS3_PT2_iSC_SC_,comdat
	.protected	_Z38paged_attention_ll4mi_QKV_mfma4_kernelI14__hip_bfloat16S0_LN4vllm18Fp8KVCacheDataTypeE0EhLi32ELi128ELi256ELb0ELi3EEvPKT_PKT0_S8_ifPKiSA_SA_iPKfiiiPfSD_PS3_PT2_iSC_SC_ ; -- Begin function _Z38paged_attention_ll4mi_QKV_mfma4_kernelI14__hip_bfloat16S0_LN4vllm18Fp8KVCacheDataTypeE0EhLi32ELi128ELi256ELb0ELi3EEvPKT_PKT0_S8_ifPKiSA_SA_iPKfiiiPfSD_PS3_PT2_iSC_SC_
	.globl	_Z38paged_attention_ll4mi_QKV_mfma4_kernelI14__hip_bfloat16S0_LN4vllm18Fp8KVCacheDataTypeE0EhLi32ELi128ELi256ELb0ELi3EEvPKT_PKT0_S8_ifPKiSA_SA_iPKfiiiPfSD_PS3_PT2_iSC_SC_
	.p2align	8
	.type	_Z38paged_attention_ll4mi_QKV_mfma4_kernelI14__hip_bfloat16S0_LN4vllm18Fp8KVCacheDataTypeE0EhLi32ELi128ELi256ELb0ELi3EEvPKT_PKT0_S8_ifPKiSA_SA_iPKfiiiPfSD_PS3_PT2_iSC_SC_,@function
_Z38paged_attention_ll4mi_QKV_mfma4_kernelI14__hip_bfloat16S0_LN4vllm18Fp8KVCacheDataTypeE0EhLi32ELi128ELi256ELb0ELi3EEvPKT_PKT0_S8_ifPKiSA_SA_iPKfiiiPfSD_PS3_PT2_iSC_SC_: ; @_Z38paged_attention_ll4mi_QKV_mfma4_kernelI14__hip_bfloat16S0_LN4vllm18Fp8KVCacheDataTypeE0EhLi32ELi128ELi256ELb0ELi3EEvPKT_PKT0_S8_ifPKiSA_SA_iPKfiiiPfSD_PS3_PT2_iSC_SC_
; %bb.0:
	s_add_u32 s8, s0, 0x90
	s_addc_u32 s9, s1, 0
	s_getpc_b64 s[0:1]
	s_add_u32 s0, s0, __PRETTY_FUNCTION__._Z38paged_attention_ll4mi_QKV_mfma4_kernelI14__hip_bfloat16S0_LN4vllm18Fp8KVCacheDataTypeE0EhLi32ELi128ELi256ELb0ELi3EEvPKT_PKT0_S8_ifPKiSA_SA_iPKfiiiPfSD_PS3_PT2_iSC_SC_@rel32@lo+4
	s_addc_u32 s1, s1, __PRETTY_FUNCTION__._Z38paged_attention_ll4mi_QKV_mfma4_kernelI14__hip_bfloat16S0_LN4vllm18Fp8KVCacheDataTypeE0EhLi32ELi128ELi256ELb0ELi3EEvPKT_PKT0_S8_ifPKiSA_SA_iPKfiiiPfSD_PS3_PT2_iSC_SC_@rel32@hi+12
	s_delay_alu instid0(SALU_CYCLE_1) | instskip(SKIP_4) | instid1(SALU_CYCLE_1)
	v_dual_mov_b32 v0, s0 :: v_dual_mov_b32 v1, s1
	s_mov_b32 s32, 0
	s_getpc_b64 s[2:3]
	s_add_u32 s2, s2, __assert_fail@rel32@lo+4
	s_addc_u32 s3, s3, __assert_fail@rel32@hi+12
	s_swappc_b64 s[30:31], s[2:3]
	.section	.rodata,"a",@progbits
	.p2align	6, 0x0
	.amdhsa_kernel _Z38paged_attention_ll4mi_QKV_mfma4_kernelI14__hip_bfloat16S0_LN4vllm18Fp8KVCacheDataTypeE0EhLi32ELi128ELi256ELb0ELi3EEvPKT_PKT0_S8_ifPKiSA_SA_iPKfiiiPfSD_PS3_PT2_iSC_SC_
		.amdhsa_group_segment_fixed_size 0
		.amdhsa_private_segment_fixed_size 64
		.amdhsa_kernarg_size 400
		.amdhsa_user_sgpr_count 15
		.amdhsa_user_sgpr_dispatch_ptr 0
		.amdhsa_user_sgpr_queue_ptr 0
		.amdhsa_user_sgpr_kernarg_segment_ptr 1
		.amdhsa_user_sgpr_dispatch_id 0
		.amdhsa_user_sgpr_private_segment_size 0
		.amdhsa_wavefront_size32 1
		.amdhsa_uses_dynamic_stack 0
		.amdhsa_enable_private_segment 1
		.amdhsa_system_sgpr_workgroup_id_x 1
		.amdhsa_system_sgpr_workgroup_id_y 0
		.amdhsa_system_sgpr_workgroup_id_z 0
		.amdhsa_system_sgpr_workgroup_info 0
		.amdhsa_system_vgpr_workitem_id 0
		.amdhsa_next_free_vgpr 41
		.amdhsa_next_free_sgpr 34
		.amdhsa_reserve_vcc 1
		.amdhsa_float_round_mode_32 0
		.amdhsa_float_round_mode_16_64 0
		.amdhsa_float_denorm_mode_32 3
		.amdhsa_float_denorm_mode_16_64 3
		.amdhsa_dx10_clamp 1
		.amdhsa_ieee_mode 1
		.amdhsa_fp16_overflow 0
		.amdhsa_workgroup_processor_mode 1
		.amdhsa_memory_ordered 1
		.amdhsa_forward_progress 0
		.amdhsa_shared_vgpr_count 0
		.amdhsa_exception_fp_ieee_invalid_op 0
		.amdhsa_exception_fp_denorm_src 0
		.amdhsa_exception_fp_ieee_div_zero 0
		.amdhsa_exception_fp_ieee_overflow 0
		.amdhsa_exception_fp_ieee_underflow 0
		.amdhsa_exception_fp_ieee_inexact 0
		.amdhsa_exception_int_div_zero 0
	.end_amdhsa_kernel
	.section	.text._Z38paged_attention_ll4mi_QKV_mfma4_kernelI14__hip_bfloat16S0_LN4vllm18Fp8KVCacheDataTypeE0EhLi32ELi128ELi256ELb0ELi3EEvPKT_PKT0_S8_ifPKiSA_SA_iPKfiiiPfSD_PS3_PT2_iSC_SC_,"axG",@progbits,_Z38paged_attention_ll4mi_QKV_mfma4_kernelI14__hip_bfloat16S0_LN4vllm18Fp8KVCacheDataTypeE0EhLi32ELi128ELi256ELb0ELi3EEvPKT_PKT0_S8_ifPKiSA_SA_iPKfiiiPfSD_PS3_PT2_iSC_SC_,comdat
.Lfunc_end712:
	.size	_Z38paged_attention_ll4mi_QKV_mfma4_kernelI14__hip_bfloat16S0_LN4vllm18Fp8KVCacheDataTypeE0EhLi32ELi128ELi256ELb0ELi3EEvPKT_PKT0_S8_ifPKiSA_SA_iPKfiiiPfSD_PS3_PT2_iSC_SC_, .Lfunc_end712-_Z38paged_attention_ll4mi_QKV_mfma4_kernelI14__hip_bfloat16S0_LN4vllm18Fp8KVCacheDataTypeE0EhLi32ELi128ELi256ELb0ELi3EEvPKT_PKT0_S8_ifPKiSA_SA_iPKfiiiPfSD_PS3_PT2_iSC_SC_
                                        ; -- End function
	.section	.AMDGPU.csdata,"",@progbits
; Kernel info:
; codeLenInByte = 72
; NumSgprs: 36
; NumVgprs: 41
; ScratchSize: 64
; MemoryBound: 0
; FloatMode: 240
; IeeeMode: 1
; LDSByteSize: 0 bytes/workgroup (compile time only)
; SGPRBlocks: 4
; VGPRBlocks: 5
; NumSGPRsForWavesPerEU: 36
; NumVGPRsForWavesPerEU: 41
; Occupancy: 16
; WaveLimiterHint : 1
; COMPUTE_PGM_RSRC2:SCRATCH_EN: 1
; COMPUTE_PGM_RSRC2:USER_SGPR: 15
; COMPUTE_PGM_RSRC2:TRAP_HANDLER: 0
; COMPUTE_PGM_RSRC2:TGID_X_EN: 1
; COMPUTE_PGM_RSRC2:TGID_Y_EN: 0
; COMPUTE_PGM_RSRC2:TGID_Z_EN: 0
; COMPUTE_PGM_RSRC2:TIDIG_COMP_CNT: 0
	.section	.text._Z38paged_attention_ll4mi_QKV_mfma4_kernelI14__hip_bfloat16S0_LN4vllm18Fp8KVCacheDataTypeE0EhLi32ELi128ELi256ELb0ELi4EEvPKT_PKT0_S8_ifPKiSA_SA_iPKfiiiPfSD_PS3_PT2_iSC_SC_,"axG",@progbits,_Z38paged_attention_ll4mi_QKV_mfma4_kernelI14__hip_bfloat16S0_LN4vllm18Fp8KVCacheDataTypeE0EhLi32ELi128ELi256ELb0ELi4EEvPKT_PKT0_S8_ifPKiSA_SA_iPKfiiiPfSD_PS3_PT2_iSC_SC_,comdat
	.protected	_Z38paged_attention_ll4mi_QKV_mfma4_kernelI14__hip_bfloat16S0_LN4vllm18Fp8KVCacheDataTypeE0EhLi32ELi128ELi256ELb0ELi4EEvPKT_PKT0_S8_ifPKiSA_SA_iPKfiiiPfSD_PS3_PT2_iSC_SC_ ; -- Begin function _Z38paged_attention_ll4mi_QKV_mfma4_kernelI14__hip_bfloat16S0_LN4vllm18Fp8KVCacheDataTypeE0EhLi32ELi128ELi256ELb0ELi4EEvPKT_PKT0_S8_ifPKiSA_SA_iPKfiiiPfSD_PS3_PT2_iSC_SC_
	.globl	_Z38paged_attention_ll4mi_QKV_mfma4_kernelI14__hip_bfloat16S0_LN4vllm18Fp8KVCacheDataTypeE0EhLi32ELi128ELi256ELb0ELi4EEvPKT_PKT0_S8_ifPKiSA_SA_iPKfiiiPfSD_PS3_PT2_iSC_SC_
	.p2align	8
	.type	_Z38paged_attention_ll4mi_QKV_mfma4_kernelI14__hip_bfloat16S0_LN4vllm18Fp8KVCacheDataTypeE0EhLi32ELi128ELi256ELb0ELi4EEvPKT_PKT0_S8_ifPKiSA_SA_iPKfiiiPfSD_PS3_PT2_iSC_SC_,@function
_Z38paged_attention_ll4mi_QKV_mfma4_kernelI14__hip_bfloat16S0_LN4vllm18Fp8KVCacheDataTypeE0EhLi32ELi128ELi256ELb0ELi4EEvPKT_PKT0_S8_ifPKiSA_SA_iPKfiiiPfSD_PS3_PT2_iSC_SC_: ; @_Z38paged_attention_ll4mi_QKV_mfma4_kernelI14__hip_bfloat16S0_LN4vllm18Fp8KVCacheDataTypeE0EhLi32ELi128ELi256ELb0ELi4EEvPKT_PKT0_S8_ifPKiSA_SA_iPKfiiiPfSD_PS3_PT2_iSC_SC_
; %bb.0:
	s_add_u32 s8, s0, 0x90
	s_addc_u32 s9, s1, 0
	s_getpc_b64 s[0:1]
	s_add_u32 s0, s0, __PRETTY_FUNCTION__._Z38paged_attention_ll4mi_QKV_mfma4_kernelI14__hip_bfloat16S0_LN4vllm18Fp8KVCacheDataTypeE0EhLi32ELi128ELi256ELb0ELi4EEvPKT_PKT0_S8_ifPKiSA_SA_iPKfiiiPfSD_PS3_PT2_iSC_SC_@rel32@lo+4
	s_addc_u32 s1, s1, __PRETTY_FUNCTION__._Z38paged_attention_ll4mi_QKV_mfma4_kernelI14__hip_bfloat16S0_LN4vllm18Fp8KVCacheDataTypeE0EhLi32ELi128ELi256ELb0ELi4EEvPKT_PKT0_S8_ifPKiSA_SA_iPKfiiiPfSD_PS3_PT2_iSC_SC_@rel32@hi+12
	s_delay_alu instid0(SALU_CYCLE_1) | instskip(SKIP_4) | instid1(SALU_CYCLE_1)
	v_dual_mov_b32 v0, s0 :: v_dual_mov_b32 v1, s1
	s_mov_b32 s32, 0
	s_getpc_b64 s[2:3]
	s_add_u32 s2, s2, __assert_fail@rel32@lo+4
	s_addc_u32 s3, s3, __assert_fail@rel32@hi+12
	s_swappc_b64 s[30:31], s[2:3]
	.section	.rodata,"a",@progbits
	.p2align	6, 0x0
	.amdhsa_kernel _Z38paged_attention_ll4mi_QKV_mfma4_kernelI14__hip_bfloat16S0_LN4vllm18Fp8KVCacheDataTypeE0EhLi32ELi128ELi256ELb0ELi4EEvPKT_PKT0_S8_ifPKiSA_SA_iPKfiiiPfSD_PS3_PT2_iSC_SC_
		.amdhsa_group_segment_fixed_size 0
		.amdhsa_private_segment_fixed_size 64
		.amdhsa_kernarg_size 400
		.amdhsa_user_sgpr_count 15
		.amdhsa_user_sgpr_dispatch_ptr 0
		.amdhsa_user_sgpr_queue_ptr 0
		.amdhsa_user_sgpr_kernarg_segment_ptr 1
		.amdhsa_user_sgpr_dispatch_id 0
		.amdhsa_user_sgpr_private_segment_size 0
		.amdhsa_wavefront_size32 1
		.amdhsa_uses_dynamic_stack 0
		.amdhsa_enable_private_segment 1
		.amdhsa_system_sgpr_workgroup_id_x 1
		.amdhsa_system_sgpr_workgroup_id_y 0
		.amdhsa_system_sgpr_workgroup_id_z 0
		.amdhsa_system_sgpr_workgroup_info 0
		.amdhsa_system_vgpr_workitem_id 0
		.amdhsa_next_free_vgpr 41
		.amdhsa_next_free_sgpr 34
		.amdhsa_reserve_vcc 1
		.amdhsa_float_round_mode_32 0
		.amdhsa_float_round_mode_16_64 0
		.amdhsa_float_denorm_mode_32 3
		.amdhsa_float_denorm_mode_16_64 3
		.amdhsa_dx10_clamp 1
		.amdhsa_ieee_mode 1
		.amdhsa_fp16_overflow 0
		.amdhsa_workgroup_processor_mode 1
		.amdhsa_memory_ordered 1
		.amdhsa_forward_progress 0
		.amdhsa_shared_vgpr_count 0
		.amdhsa_exception_fp_ieee_invalid_op 0
		.amdhsa_exception_fp_denorm_src 0
		.amdhsa_exception_fp_ieee_div_zero 0
		.amdhsa_exception_fp_ieee_overflow 0
		.amdhsa_exception_fp_ieee_underflow 0
		.amdhsa_exception_fp_ieee_inexact 0
		.amdhsa_exception_int_div_zero 0
	.end_amdhsa_kernel
	.section	.text._Z38paged_attention_ll4mi_QKV_mfma4_kernelI14__hip_bfloat16S0_LN4vllm18Fp8KVCacheDataTypeE0EhLi32ELi128ELi256ELb0ELi4EEvPKT_PKT0_S8_ifPKiSA_SA_iPKfiiiPfSD_PS3_PT2_iSC_SC_,"axG",@progbits,_Z38paged_attention_ll4mi_QKV_mfma4_kernelI14__hip_bfloat16S0_LN4vllm18Fp8KVCacheDataTypeE0EhLi32ELi128ELi256ELb0ELi4EEvPKT_PKT0_S8_ifPKiSA_SA_iPKfiiiPfSD_PS3_PT2_iSC_SC_,comdat
.Lfunc_end713:
	.size	_Z38paged_attention_ll4mi_QKV_mfma4_kernelI14__hip_bfloat16S0_LN4vllm18Fp8KVCacheDataTypeE0EhLi32ELi128ELi256ELb0ELi4EEvPKT_PKT0_S8_ifPKiSA_SA_iPKfiiiPfSD_PS3_PT2_iSC_SC_, .Lfunc_end713-_Z38paged_attention_ll4mi_QKV_mfma4_kernelI14__hip_bfloat16S0_LN4vllm18Fp8KVCacheDataTypeE0EhLi32ELi128ELi256ELb0ELi4EEvPKT_PKT0_S8_ifPKiSA_SA_iPKfiiiPfSD_PS3_PT2_iSC_SC_
                                        ; -- End function
	.section	.AMDGPU.csdata,"",@progbits
; Kernel info:
; codeLenInByte = 72
; NumSgprs: 36
; NumVgprs: 41
; ScratchSize: 64
; MemoryBound: 0
; FloatMode: 240
; IeeeMode: 1
; LDSByteSize: 0 bytes/workgroup (compile time only)
; SGPRBlocks: 4
; VGPRBlocks: 5
; NumSGPRsForWavesPerEU: 36
; NumVGPRsForWavesPerEU: 41
; Occupancy: 16
; WaveLimiterHint : 1
; COMPUTE_PGM_RSRC2:SCRATCH_EN: 1
; COMPUTE_PGM_RSRC2:USER_SGPR: 15
; COMPUTE_PGM_RSRC2:TRAP_HANDLER: 0
; COMPUTE_PGM_RSRC2:TGID_X_EN: 1
; COMPUTE_PGM_RSRC2:TGID_Y_EN: 0
; COMPUTE_PGM_RSRC2:TGID_Z_EN: 0
; COMPUTE_PGM_RSRC2:TIDIG_COMP_CNT: 0
	.section	.text._Z39paged_attention_ll4mi_QKV_mfma16_kernelI14__hip_bfloat16S0_LN4vllm18Fp8KVCacheDataTypeE0EhLi32ELi128ELi256ELb0ELi5EL8MFMAType0EEvPKT_PKT0_S9_ifPKiSB_SB_iPKfiiiPfSE_PS4_PT2_iSD_SD_,"axG",@progbits,_Z39paged_attention_ll4mi_QKV_mfma16_kernelI14__hip_bfloat16S0_LN4vllm18Fp8KVCacheDataTypeE0EhLi32ELi128ELi256ELb0ELi5EL8MFMAType0EEvPKT_PKT0_S9_ifPKiSB_SB_iPKfiiiPfSE_PS4_PT2_iSD_SD_,comdat
	.protected	_Z39paged_attention_ll4mi_QKV_mfma16_kernelI14__hip_bfloat16S0_LN4vllm18Fp8KVCacheDataTypeE0EhLi32ELi128ELi256ELb0ELi5EL8MFMAType0EEvPKT_PKT0_S9_ifPKiSB_SB_iPKfiiiPfSE_PS4_PT2_iSD_SD_ ; -- Begin function _Z39paged_attention_ll4mi_QKV_mfma16_kernelI14__hip_bfloat16S0_LN4vllm18Fp8KVCacheDataTypeE0EhLi32ELi128ELi256ELb0ELi5EL8MFMAType0EEvPKT_PKT0_S9_ifPKiSB_SB_iPKfiiiPfSE_PS4_PT2_iSD_SD_
	.globl	_Z39paged_attention_ll4mi_QKV_mfma16_kernelI14__hip_bfloat16S0_LN4vllm18Fp8KVCacheDataTypeE0EhLi32ELi128ELi256ELb0ELi5EL8MFMAType0EEvPKT_PKT0_S9_ifPKiSB_SB_iPKfiiiPfSE_PS4_PT2_iSD_SD_
	.p2align	8
	.type	_Z39paged_attention_ll4mi_QKV_mfma16_kernelI14__hip_bfloat16S0_LN4vllm18Fp8KVCacheDataTypeE0EhLi32ELi128ELi256ELb0ELi5EL8MFMAType0EEvPKT_PKT0_S9_ifPKiSB_SB_iPKfiiiPfSE_PS4_PT2_iSD_SD_,@function
_Z39paged_attention_ll4mi_QKV_mfma16_kernelI14__hip_bfloat16S0_LN4vllm18Fp8KVCacheDataTypeE0EhLi32ELi128ELi256ELb0ELi5EL8MFMAType0EEvPKT_PKT0_S9_ifPKiSB_SB_iPKfiiiPfSE_PS4_PT2_iSD_SD_: ; @_Z39paged_attention_ll4mi_QKV_mfma16_kernelI14__hip_bfloat16S0_LN4vllm18Fp8KVCacheDataTypeE0EhLi32ELi128ELi256ELb0ELi5EL8MFMAType0EEvPKT_PKT0_S9_ifPKiSB_SB_iPKfiiiPfSE_PS4_PT2_iSD_SD_
; %bb.0:
	s_load_b64 s[2:3], s[0:1], 0x30
	s_mov_b32 s30, s13
	s_waitcnt lgkmcnt(0)
	s_cmp_lg_u64 s[2:3], 0
	s_cselect_b32 s6, -1, 0
	s_ashr_i32 s31, s13, 31
	s_cmp_eq_u64 s[2:3], 0
	s_cbranch_scc1 .LBB714_3
; %bb.1:
	s_lshl_b64 s[4:5], s[30:31], 2
	s_delay_alu instid0(SALU_CYCLE_1) | instskip(SKIP_4) | instid1(SALU_CYCLE_1)
	s_add_u32 s4, s2, s4
	s_addc_u32 s5, s3, s5
	s_load_b64 s[4:5], s[4:5], 0x0
	s_waitcnt lgkmcnt(0)
	s_sub_i32 s4, s5, s4
	s_cmp_eq_u32 s4, 1
	s_cselect_b32 s4, -1, 0
	s_delay_alu instid0(SALU_CYCLE_1)
	s_and_not1_b32 vcc_lo, exec_lo, s4
	s_cbranch_vccz .LBB714_4
.LBB714_2:
	s_nop 0
	s_sendmsg sendmsg(MSG_DEALLOC_VGPRS)
	s_endpgm
.LBB714_3:
.LBB714_4:
	s_load_b64 s[8:9], s[0:1], 0x28
	s_lshl_b64 s[4:5], s[30:31], 2
	s_waitcnt lgkmcnt(0)
	s_add_u32 s8, s8, s4
	s_addc_u32 s9, s9, s5
	s_lshl_b32 s12, s14, 8
	s_load_b32 s17, s[8:9], 0x0
	s_waitcnt lgkmcnt(0)
	s_cmp_ge_i32 s12, s17
	s_cbranch_scc1 .LBB714_2
; %bb.5:
	s_and_not1_b32 vcc_lo, exec_lo, s6
	s_cbranch_vccnz .LBB714_7
; %bb.6:
	s_add_u32 s2, s2, s4
	s_addc_u32 s3, s3, s5
	s_load_b32 s13, s[2:3], 0x0
	s_branch .LBB714_8
.LBB714_7:
	s_mov_b32 s13, s30
.LBB714_8:
	s_clause 0x2
	s_load_b128 s[8:11], s[0:1], 0x8
	s_load_b64 s[2:3], s[0:1], 0x20
	s_load_b128 s[4:7], s[0:1], 0x48
	v_lshrrev_b32_e32 v74, 5, v0
	v_bfe_u32 v83, v0, 4, 1
	v_and_b32_e32 v73, 15, v0
	s_waitcnt lgkmcnt(0)
	s_mov_b32 s7, exec_lo
	s_delay_alu instid0(VALU_DEP_2) | instskip(NEXT) | instid1(VALU_DEP_2)
	v_lshl_or_b32 v3, v74, 1, v83
	v_lshlrev_b32_e32 v1, 3, v73
	s_delay_alu instid0(VALU_DEP_2)
	v_cmpx_lt_u32_e32 4, v3
	s_xor_b32 s7, exec_lo, s7
; %bb.9:
	v_mov_b32_e32 v2, 0
                                        ; implicit-def: $vgpr3
; %bb.10:
	s_or_saveexec_b32 s7, s7
	v_and_b32_e32 v75, 31, v0
	v_and_b32_e32 v84, 1, v0
	s_mul_i32 s31, s15, 5
	s_xor_b32 exec_lo, exec_lo, s7
	s_cbranch_execz .LBB714_12
; %bb.11:
	s_load_b64 s[18:19], s[0:1], 0x0
	v_add_lshl_u32 v4, v3, s31, 7
	s_mul_hi_i32 s21, s13, s4
	s_mul_i32 s20, s13, s4
	v_lshlrev_b32_e32 v2, 1, v1
	s_lshl_b64 s[20:21], s[20:21], 1
	v_ashrrev_i32_e32 v5, 31, v4
	v_lshlrev_b32_e32 v3, 6, v3
	v_lshlrev_b32_e32 v8, 10, v84
	s_delay_alu instid0(VALU_DEP_3) | instskip(SKIP_3) | instid1(VALU_DEP_1)
	v_lshlrev_b64 v[4:5], 1, v[4:5]
	s_waitcnt lgkmcnt(0)
	s_add_u32 s4, s18, s20
	s_addc_u32 s13, s19, s21
	v_add_co_u32 v4, vcc_lo, s4, v4
	s_delay_alu instid0(VALU_DEP_2) | instskip(NEXT) | instid1(VALU_DEP_2)
	v_add_co_ci_u32_e32 v5, vcc_lo, s13, v5, vcc_lo
	v_add_co_u32 v4, vcc_lo, v4, v2
	s_delay_alu instid0(VALU_DEP_2) | instskip(SKIP_3) | instid1(VALU_DEP_1)
	v_add_co_ci_u32_e32 v5, vcc_lo, 0, v5, vcc_lo
	v_lshlrev_b32_e32 v2, 10, v73
	global_load_b128 v[4:7], v[4:5], off
	v_and_b32_e32 v2, 0x3800, v2
	v_or3_b32 v3, v2, v8, v3
	v_mov_b32_e32 v2, 0
	s_waitcnt vmcnt(0)
	ds_store_b128 v3, v[4:7]
.LBB714_12:
	s_or_b32 exec_lo, exec_lo, s7
	v_and_b32_e32 v3, 0xef, v0
	v_mul_lo_u16 v80, v73, 52
	s_add_i32 s4, s17, 31
	s_clause 0x1
	s_load_b32 s7, s[0:1], 0x38
	s_load_b32 s18, s[0:1], 0x1c
	v_add_nc_u32_e32 v3, s12, v3
	v_lshrrev_b16 v80, 8, v80
	s_ashr_i32 s13, s4, 31
	s_waitcnt lgkmcnt(0)
	s_lshr_b32 s13, s13, 27
	v_ashrrev_i32_e32 v4, 31, v3
	v_mul_lo_u16 v80, v80, 5
	s_add_i32 s4, s4, s13
	v_cmp_gt_i32_e32 vcc_lo, s17, v3
	s_ashr_i32 s4, s4, 5
	v_lshrrev_b32_e32 v5, 27, v4
	v_or_b32_e32 v4, 16, v3
	v_sub_nc_u16 v80, v73, v80
	s_add_i32 s4, s4, -1
	s_barrier
	v_add_nc_u32_e32 v6, v3, v5
	v_add_nc_u32_e32 v5, v4, v5
	v_and_b32_e32 v80, 0xff, v80
	s_mul_i32 s20, s30, s7
	buffer_gl0_inv
	v_ashrrev_i32_e32 v6, 5, v6
	v_ashrrev_i32_e32 v5, 5, v5
	s_ashr_i32 s21, s20, 31
	v_lshlrev_b64 v[81:82], 1, v[1:2]
	s_lshl_b64 s[20:21], s[20:21], 2
	v_dual_cndmask_b32 v3, s4, v6 :: v_dual_lshlrev_b32 v80, 6, v80
	v_cmp_gt_i32_e32 vcc_lo, s17, v4
	s_add_u32 s13, s2, s20
	s_addc_u32 s16, s3, s21
	s_delay_alu instid0(VALU_DEP_2) | instskip(SKIP_3) | instid1(SALU_CYCLE_1)
	v_ashrrev_i32_e32 v4, 31, v3
	s_mul_i32 s2, s15, s6
	v_cndmask_b32_e32 v5, s4, v5, vcc_lo
	s_ashr_i32 s3, s2, 31
	s_lshl_b64 s[2:3], s[2:3], 1
	v_lshlrev_b64 v[3:4], 2, v[3:4]
	s_delay_alu instid0(VALU_DEP_2) | instskip(SKIP_3) | instid1(VALU_DEP_1)
	v_ashrrev_i32_e32 v6, 31, v5
	s_add_u32 s15, s8, s2
	s_addc_u32 s19, s9, s3
	s_lshl_b32 s6, s14, 3
	v_lshlrev_b64 v[5:6], 2, v[5:6]
	v_add_co_u32 v3, vcc_lo, s13, v3
	v_add_co_ci_u32_e32 v4, vcc_lo, s16, v4, vcc_lo
	s_ashr_i32 s7, s6, 31
	s_delay_alu instid0(VALU_DEP_3) | instskip(NEXT) | instid1(VALU_DEP_4)
	v_add_co_u32 v5, vcc_lo, s13, v5
	v_add_co_ci_u32_e32 v6, vcc_lo, s16, v6, vcc_lo
	s_clause 0x1
	global_load_b32 v7, v[3:4], off
	global_load_b32 v8, v[5:6], off
	s_lshl_b64 s[6:7], s[6:7], 2
	s_delay_alu instid0(SALU_CYCLE_1) | instskip(SKIP_2) | instid1(SALU_CYCLE_1)
	s_add_u32 s6, s13, s6
	s_addc_u32 s7, s16, s7
	s_or_b32 s8, s12, 32
	s_ashr_i32 s9, s8, 5
	s_cmp_lt_i32 s8, s17
	s_cselect_b32 s8, s9, s4
	s_delay_alu instid0(SALU_CYCLE_1) | instskip(NEXT) | instid1(SALU_CYCLE_1)
	s_ashr_i32 s9, s8, 31
	s_lshl_b64 s[8:9], s[8:9], 2
	s_delay_alu instid0(SALU_CYCLE_1) | instskip(SKIP_2) | instid1(SALU_CYCLE_1)
	s_add_u32 s8, s13, s8
	s_addc_u32 s9, s16, s9
	s_or_b32 s20, s12, 64
	s_ashr_i32 s21, s20, 5
	s_cmp_lt_i32 s20, s17
	s_cselect_b32 s20, s21, s4
	s_delay_alu instid0(SALU_CYCLE_1) | instskip(NEXT) | instid1(SALU_CYCLE_1)
	s_ashr_i32 s21, s20, 31
	;; [unrolled: 10-line block ×5, first 2 shown]
	s_lshl_b64 s[26:27], s[26:27], 2
	s_delay_alu instid0(SALU_CYCLE_1)
	s_add_u32 s26, s13, s26
	s_addc_u32 s27, s16, s27
	s_clause 0x5
	s_load_b32 s28, s[6:7], 0x0
	s_load_b32 s29, s[8:9], 0x0
	;; [unrolled: 1-line block ×6, first 2 shown]
	s_mov_b32 s20, 0
	s_or_b32 s6, s12, 0xc0
	s_mov_b32 s27, s20
	s_mov_b32 s21, s20
	;; [unrolled: 1-line block ×7, first 2 shown]
	s_delay_alu instid0(SALU_CYCLE_1)
	v_dual_mov_b32 v108, s27 :: v_dual_mov_b32 v107, s26
	v_dual_mov_b32 v106, s25 :: v_dual_mov_b32 v105, s24
	;; [unrolled: 1-line block ×4, first 2 shown]
	s_ashr_i32 s7, s6, 5
	s_cmp_lt_i32 s6, s17
	s_waitcnt lgkmcnt(0)
	s_mul_hi_i32 s9, s28, s5
	s_cselect_b32 s6, s7, s4
	s_mul_i32 s8, s28, s5
	s_ashr_i32 s7, s6, 31
	s_mul_hi_i32 s21, s29, s5
	s_lshl_b64 s[6:7], s[6:7], 2
	s_mul_i32 s20, s29, s5
	s_add_u32 s6, s13, s6
	s_addc_u32 s7, s16, s7
	s_mul_hi_i32 s25, s33, s5
	s_mul_i32 s24, s33, s5
	s_mul_hi_i32 s27, s34, s5
	s_mul_i32 s26, s34, s5
	s_mul_i32 s34, s36, s5
	s_waitcnt vmcnt(1)
	v_mad_i64_i32 v[3:4], null, v7, s5, 0
	s_waitcnt vmcnt(0)
	v_mad_i64_i32 v[5:6], null, v8, s5, 0
	s_delay_alu instid0(VALU_DEP_2) | instskip(NEXT) | instid1(VALU_DEP_2)
	v_lshlrev_b64 v[3:4], 1, v[3:4]
	v_lshlrev_b64 v[1:2], 1, v[5:6]
	s_delay_alu instid0(VALU_DEP_2) | instskip(NEXT) | instid1(VALU_DEP_3)
	v_add_co_u32 v3, vcc_lo, s15, v3
	v_add_co_ci_u32_e32 v4, vcc_lo, s19, v4, vcc_lo
	s_delay_alu instid0(VALU_DEP_3) | instskip(NEXT) | instid1(VALU_DEP_4)
	v_add_co_u32 v1, vcc_lo, s15, v1
	v_add_co_ci_u32_e32 v2, vcc_lo, s19, v2, vcc_lo
	s_delay_alu instid0(VALU_DEP_4) | instskip(NEXT) | instid1(VALU_DEP_4)
	v_add_co_u32 v65, vcc_lo, v3, v81
	v_add_co_ci_u32_e32 v66, vcc_lo, v4, v82, vcc_lo
	s_delay_alu instid0(VALU_DEP_4) | instskip(NEXT) | instid1(VALU_DEP_4)
	v_add_co_u32 v76, vcc_lo, v1, v81
	v_add_co_ci_u32_e32 v77, vcc_lo, v2, v82, vcc_lo
	s_clause 0xf
	global_load_b128 v[1:4], v[65:66], off
	global_load_b128 v[5:8], v[65:66], off offset:512
	global_load_b128 v[9:12], v[76:77], off offset:256
	;; [unrolled: 1-line block ×15, first 2 shown]
	v_add_co_u32 v78, vcc_lo, 0x1000, v65
	v_add_co_ci_u32_e32 v79, vcc_lo, 0, v66, vcc_lo
	v_add_co_u32 v76, vcc_lo, 0x1000, v76
	s_clause 0x1
	global_load_b128 v[65:68], v[78:79], off
	global_load_b128 v[69:72], v[78:79], off offset:512
	v_add_co_ci_u32_e32 v77, vcc_lo, 0, v77, vcc_lo
	ds_load_b128 v[85:88], v80
	ds_load_b128 v[89:92], v80 offset:1024
	s_clause 0x1
	global_load_b128 v[93:96], v[76:77], off offset:256
	global_load_b128 v[97:100], v[76:77], off offset:768
	ds_load_b128 v[109:112], v80 offset:2048
	ds_load_b128 v[113:116], v80 offset:3072
	s_or_b32 s15, s12, 0xe0
	s_delay_alu instid0(SALU_CYCLE_1) | instskip(SKIP_2) | instid1(SALU_CYCLE_1)
	s_ashr_i32 s19, s15, 5
	s_cmp_lt_i32 s15, s17
	s_cselect_b32 s22, s19, s4
	s_ashr_i32 s23, s22, 31
	s_delay_alu instid0(SALU_CYCLE_1) | instskip(NEXT) | instid1(SALU_CYCLE_1)
	s_lshl_b64 s[22:23], s[22:23], 2
	s_add_u32 s22, s13, s22
	s_addc_u32 s23, s16, s23
	s_add_i32 s15, s12, 0x100
	s_delay_alu instid0(SALU_CYCLE_1) | instskip(SKIP_2) | instid1(SALU_CYCLE_1)
	s_ashr_i32 s19, s15, 5
	s_cmp_lt_i32 s15, s17
	s_cselect_b32 s28, s19, s4
	s_ashr_i32 s29, s28, 31
	s_delay_alu instid0(SALU_CYCLE_1) | instskip(NEXT) | instid1(SALU_CYCLE_1)
	s_lshl_b64 s[28:29], s[28:29], 2
	s_add_u32 s28, s13, s28
	s_addc_u32 s29, s16, s29
	s_add_u32 s4, s10, s2
	s_addc_u32 s19, s11, s3
	s_lshl_b64 s[2:3], s[8:9], 1
	s_lshl_b64 s[8:9], s[20:21], 1
	;; [unrolled: 1-line block ×4, first 2 shown]
	s_waitcnt vmcnt(18) lgkmcnt(2)
	v_wmma_f32_16x16x16_bf16 v[117:124], v[1:8], v[85:92], v[101:108]
	s_waitcnt vmcnt(16)
	v_wmma_f32_16x16x16_bf16 v[101:108], v[9:16], v[85:92], v[101:108]
	s_clause 0x3
	global_load_b128 v[1:4], v[78:79], off offset:1024
	global_load_b128 v[5:8], v[78:79], off offset:1536
	;; [unrolled: 1-line block ×4, first 2 shown]
	s_waitcnt vmcnt(18) lgkmcnt(0)
	v_wmma_f32_16x16x16_bf16 v[117:124], v[17:24], v[109:116], v[117:124]
	s_clause 0x1
	global_load_b128 v[17:20], v[78:79], off offset:2048
	global_load_b128 v[21:24], v[78:79], off offset:2560
	s_waitcnt vmcnt(18)
	v_wmma_f32_16x16x16_bf16 v[101:108], v[25:32], v[109:116], v[101:108]
	ds_load_b128 v[25:28], v80 offset:4096
	ds_load_b128 v[29:32], v80 offset:5120
	s_clause 0x5
	global_load_b128 v[109:112], v[76:77], off offset:2304
	global_load_b128 v[113:116], v[76:77], off offset:2816
	global_load_b128 v[125:128], v[78:79], off offset:3072
	global_load_b128 v[129:132], v[78:79], off offset:3584
	global_load_b128 v[133:136], v[76:77], off offset:3328
	global_load_b128 v[137:140], v[76:77], off offset:3840
	s_waitcnt vmcnt(22) lgkmcnt(0)
	v_wmma_f32_16x16x16_bf16 v[117:124], v[33:40], v[25:32], v[117:124]
	s_waitcnt vmcnt(20)
	v_wmma_f32_16x16x16_bf16 v[101:108], v[41:48], v[25:32], v[101:108]
	ds_load_b128 v[25:28], v80 offset:6144
	ds_load_b128 v[29:32], v80 offset:7168
	;; [unrolled: 1-line block ×4, first 2 shown]
	s_waitcnt vmcnt(18) lgkmcnt(2)
	v_wmma_f32_16x16x16_bf16 v[117:124], v[49:56], v[25:32], v[117:124]
	s_waitcnt vmcnt(16)
	v_wmma_f32_16x16x16_bf16 v[101:108], v[57:64], v[25:32], v[101:108]
	ds_load_b128 v[25:28], v80 offset:10240
	ds_load_b128 v[29:32], v80 offset:11264
	;; [unrolled: 1-line block ×6, first 2 shown]
	s_waitcnt vmcnt(14) lgkmcnt(6)
	v_wmma_f32_16x16x16_bf16 v[117:124], v[65:72], v[33:40], v[117:124]
	s_waitcnt vmcnt(12)
	v_wmma_f32_16x16x16_bf16 v[101:108], v[93:100], v[33:40], v[101:108]
	s_clause 0x2
	s_load_b32 s15, s[6:7], 0x0
	s_load_b32 s13, s[22:23], 0x0
	;; [unrolled: 1-line block ×3, first 2 shown]
	s_mul_hi_i32 s7, s35, s5
	s_mul_i32 s6, s35, s5
	s_mul_hi_i32 s35, s36, s5
	s_lshl_b64 s[6:7], s[6:7], 1
	s_lshl_b64 s[22:23], s[34:35], 1
	s_waitcnt lgkmcnt(0)
	s_mul_hi_i32 s25, s15, s5
	s_mul_i32 s24, s15, s5
	s_waitcnt vmcnt(10)
	v_wmma_f32_16x16x16_bf16 v[117:124], v[1:8], v[25:32], v[117:124]
	s_waitcnt vmcnt(8)
	v_wmma_f32_16x16x16_bf16 v[101:108], v[9:16], v[25:32], v[101:108]
	s_waitcnt vmcnt(6)
	s_delay_alu instid0(VALU_DEP_2) | instskip(SKIP_1) | instid1(VALU_DEP_2)
	v_wmma_f32_16x16x16_bf16 v[117:124], v[17:24], v[141:148], v[117:124]
	s_waitcnt vmcnt(4)
	v_wmma_f32_16x16x16_bf16 v[101:108], v[109:116], v[141:148], v[101:108]
	s_waitcnt vmcnt(2)
	s_delay_alu instid0(VALU_DEP_2) | instskip(SKIP_3) | instid1(VALU_DEP_3)
	v_wmma_f32_16x16x16_bf16 v[117:124], v[125:132], v[149:156], v[117:124]
	v_lshlrev_b32_e32 v85, 6, v73
	s_waitcnt vmcnt(0)
	v_wmma_f32_16x16x16_bf16 v[101:108], v[133:140], v[149:156], v[101:108]
	v_mul_f32_e32 v100, s18, v124
	s_delay_alu instid0(VALU_DEP_3) | instskip(SKIP_2) | instid1(VALU_DEP_3)
	v_lshl_or_b32 v41, v74, 10, v85
	v_mul_f32_e32 v97, s18, v117
	v_mul_f32_e32 v99, s18, v118
	v_add_co_u32 v76, s4, s4, v41
	s_delay_alu instid0(VALU_DEP_1) | instskip(NEXT) | instid1(VALU_DEP_2)
	v_add_co_ci_u32_e64 v77, null, s19, 0, s4
	v_add_co_u32 v41, vcc_lo, v76, s2
	s_delay_alu instid0(VALU_DEP_2)
	v_add_co_ci_u32_e32 v42, vcc_lo, s3, v77, vcc_lo
	v_add_co_u32 v33, vcc_lo, v76, s8
	v_add_co_ci_u32_e32 v34, vcc_lo, s9, v77, vcc_lo
	v_add_co_u32 v35, vcc_lo, v76, s10
	v_add_co_ci_u32_e32 v36, vcc_lo, s11, v77, vcc_lo
	v_add_co_u32 v37, vcc_lo, v76, s20
	v_add_co_ci_u32_e32 v38, vcc_lo, s21, v77, vcc_lo
	v_add_co_u32 v39, vcc_lo, v76, s6
	v_add_co_ci_u32_e32 v40, vcc_lo, s7, v77, vcc_lo
	v_add_co_u32 v5, vcc_lo, v76, s22
	s_lshl_b64 s[2:3], s[24:25], 1
	v_add_co_ci_u32_e32 v6, vcc_lo, s23, v77, vcc_lo
	s_mul_hi_i32 s7, s13, s5
	s_mul_i32 s6, s13, s5
	v_add_co_u32 v17, vcc_lo, v76, s2
	v_add_co_ci_u32_e32 v18, vcc_lo, s3, v77, vcc_lo
	s_lshl_b64 s[2:3], s[6:7], 1
	s_mul_hi_i32 s7, s16, s5
	s_mul_i32 s6, s16, s5
	v_add_co_u32 v19, vcc_lo, v76, s2
	v_add_co_ci_u32_e32 v20, vcc_lo, s3, v77, vcc_lo
	s_lshl_b64 s[2:3], s[6:7], 1
	s_clause 0x1
	global_load_b128 v[65:68], v[41:42], off
	global_load_b128 v[69:72], v[41:42], off offset:16
	v_add_co_u32 v21, vcc_lo, v76, s2
	v_add_co_ci_u32_e32 v22, vcc_lo, s3, v77, vcc_lo
	s_clause 0xf
	global_load_b128 v[57:60], v[33:34], off
	global_load_b128 v[61:64], v[33:34], off offset:16
	global_load_b128 v[49:52], v[35:36], off
	global_load_b128 v[53:56], v[35:36], off offset:16
	;; [unrolled: 2-line block ×8, first 2 shown]
	v_mbcnt_lo_u32_b32 v77, -1, 0
	v_and_b32_e32 v76, 0xe0, v0
	s_waitcnt vmcnt(0)
	s_barrier
	buffer_gl0_inv
	v_xor_b32_e32 v78, 16, v77
	s_delay_alu instid0(VALU_DEP_1) | instskip(SKIP_1) | instid1(VALU_DEP_1)
	v_cmp_gt_i32_e32 vcc_lo, 32, v78
	v_dual_cndmask_b32 v77, v77, v78 :: v_dual_add_nc_u32 v76, s12, v76
	v_or_b32_e32 v76, v76, v83
	s_delay_alu instid0(VALU_DEP_1)
	v_or_b32_e32 v78, 2, v76
	v_or_b32_e32 v79, 4, v76
	;; [unrolled: 1-line block ×3, first 2 shown]
	v_cmp_gt_i32_e32 vcc_lo, s17, v76
	v_or_b32_e32 v86, 8, v76
	v_cmp_gt_i32_e64 s2, s17, v78
	v_or_b32_e32 v87, 10, v76
	v_or_b32_e32 v88, 12, v76
	;; [unrolled: 1-line block ×11, first 2 shown]
	v_cndmask_b32_e64 v78, 0xff7fffff, v99, s2
	v_mul_f32_e32 v99, s18, v120
	v_cmp_gt_i32_e64 s3, s17, v80
	v_mul_f32_e32 v80, s18, v119
	v_cndmask_b32_e32 v76, 0xff7fffff, v97, vcc_lo
	v_cmp_gt_i32_e64 s4, s17, v79
	v_mul_f32_e32 v79, s18, v122
	v_cmp_gt_i32_e64 s5, s17, v86
	v_cmp_gt_i32_e64 s6, s17, v87
	v_max3_f32 v76, v76, 0xff7fffff, v78
	v_mul_f32_e32 v78, s18, v121
	v_cndmask_b32_e64 v80, 0xff7fffff, v80, s4
	v_mul_f32_e32 v86, s18, v107
	v_cndmask_b32_e64 v99, 0xff7fffff, v99, s3
	;; [unrolled: 2-line block ×3, first 2 shown]
	v_cndmask_b32_e64 v79, 0xff7fffff, v79, s6
	v_cmp_gt_i32_e64 s7, s17, v89
	v_max3_f32 v76, v76, v80, v99
	v_mul_f32_e32 v80, s18, v108
	v_cmp_gt_i32_e64 s8, s17, v88
	v_dual_mul_f32 v99, s18, v105 :: v_dual_mul_f32 v88, s18, v102
	s_delay_alu instid0(VALU_DEP_4) | instskip(SKIP_1) | instid1(VALU_DEP_4)
	v_max3_f32 v76, v76, v78, v79
	v_mul_f32_e32 v89, s18, v101
	v_cndmask_b32_e64 v97, 0xff7fffff, v97, s8
	v_cndmask_b32_e64 v100, 0xff7fffff, v100, s7
	v_cmp_gt_i32_e64 s9, s17, v90
	v_cmp_gt_i32_e64 s10, s17, v91
	v_dual_mul_f32 v78, s18, v104 :: v_dual_mul_f32 v79, s18, v103
	s_delay_alu instid0(VALU_DEP_4) | instskip(NEXT) | instid1(VALU_DEP_4)
	v_max3_f32 v76, v76, v97, v100
	v_cndmask_b32_e64 v89, 0xff7fffff, v89, s9
	s_delay_alu instid0(VALU_DEP_4)
	v_cndmask_b32_e64 v88, 0xff7fffff, v88, s10
	v_cmp_gt_i32_e64 s11, s17, v92
	v_cmp_gt_i32_e64 s12, s17, v93
	v_mul_f32_e32 v87, s18, v106
	v_cmp_gt_i32_e64 s13, s17, v94
	v_max3_f32 v76, v76, v89, v88
	v_cndmask_b32_e64 v79, 0xff7fffff, v79, s11
	v_cndmask_b32_e64 v78, 0xff7fffff, v78, s12
	v_cmp_gt_i32_e64 s15, s17, v95
	v_cndmask_b32_e64 v88, 0xff7fffff, v99, s13
	v_cmp_gt_i32_e64 s16, s17, v96
	v_cmp_gt_i32_e64 s17, s17, v98
	v_max3_f32 v76, v76, v79, v78
	v_cndmask_b32_e64 v87, 0xff7fffff, v87, s15
	v_lshlrev_b32_e32 v99, 2, v77
	v_cndmask_b32_e64 v78, 0xff7fffff, v86, s16
	v_cndmask_b32_e64 v79, 0xff7fffff, v80, s17
	s_delay_alu instid0(VALU_DEP_4) | instskip(NEXT) | instid1(VALU_DEP_1)
	v_max3_f32 v76, v76, v88, v87
	v_max3_f32 v76, v76, v78, v79
	ds_bpermute_b32 v77, v99, v76
	s_waitcnt lgkmcnt(0)
	v_max_f32_e32 v77, v77, v77
	s_delay_alu instid0(VALU_DEP_1) | instskip(NEXT) | instid1(VALU_DEP_1)
	v_max_f32_e32 v76, v76, v77
	v_fma_f32 v80, s18, v120, -v76
	v_fma_f32 v77, s18, v117, -v76
	;; [unrolled: 1-line block ×5, first 2 shown]
	v_mul_f32_e32 v80, 0x3fb8aa3b, v80
	v_fma_f32 v87, s18, v123, -v76
	v_mul_f32_e32 v78, 0x3fb8aa3b, v78
	v_fma_f32 v88, s18, v105, -v76
	v_mul_f32_e32 v86, 0x3fb8aa3b, v86
	v_exp_f32_e32 v80, v80
	v_fma_f32 v90, s18, v107, -v76
	v_exp_f32_e32 v78, v78
	v_fma_f32 v100, s18, v108, -v76
	v_exp_f32_e32 v86, v86
	v_mul_f32_e32 v88, 0x3fb8aa3b, v88
	s_delay_alu instid0(VALU_DEP_2) | instskip(NEXT) | instid1(TRANS32_DEP_3)
	v_mul_f32_e32 v100, 0x3fb8aa3b, v100
	v_cndmask_b32_e64 v95, 0, v80, s3
	v_mul_f32_e32 v77, 0x3fb8aa3b, v77
	s_delay_alu instid0(TRANS32_DEP_2) | instskip(SKIP_1) | instid1(TRANS32_DEP_1)
	v_cndmask_b32_e64 v91, 0, v78, s2
	v_fma_f32 v80, s18, v101, -v76
	v_cndmask_b32_e64 v96, 0, v86, s5
	v_fma_f32 v86, s18, v102, -v76
	v_exp_f32_e32 v77, v77
	s_delay_alu instid0(VALU_DEP_3) | instskip(SKIP_1) | instid1(VALU_DEP_2)
	v_dual_mul_f32 v79, 0x3fb8aa3b, v79 :: v_dual_mul_f32 v80, 0x3fb8aa3b, v80
	v_exp_f32_e32 v88, v88
	v_mul_f32_e32 v86, 0x3fb8aa3b, v86
	v_cmp_gt_u32_e64 s2, 16, v75
	v_exp_f32_e32 v100, v100
	v_exp_f32_e32 v80, v80
	s_delay_alu instid0(VALU_DEP_2) | instskip(SKIP_3) | instid1(VALU_DEP_1)
	v_exp_f32_e32 v86, v86
	v_cndmask_b32_e32 v92, 0, v77, vcc_lo
	v_exp_f32_e32 v79, v79
	v_fma_f32 v77, s18, v122, -v76
	v_dual_add_f32 v78, 0, v92 :: v_dual_mul_f32 v77, 0x3fb8aa3b, v77
	s_delay_alu instid0(VALU_DEP_1)
	v_add_f32_e32 v78, v78, v91
	s_waitcnt_depctr 0xfff
	v_cndmask_b32_e64 v93, 0, v79, s4
	v_fma_f32 v79, s18, v124, -v76
	v_mul_f32_e32 v87, 0x3fb8aa3b, v87
	v_exp_f32_e32 v77, v77
	s_delay_alu instid0(VALU_DEP_2) | instskip(NEXT) | instid1(VALU_DEP_2)
	v_dual_add_f32 v78, v78, v93 :: v_dual_mul_f32 v79, 0x3fb8aa3b, v79
	v_exp_f32_e32 v87, v87
	s_delay_alu instid0(VALU_DEP_1) | instskip(NEXT) | instid1(VALU_DEP_2)
	v_add_f32_e32 v78, v78, v95
	v_exp_f32_e32 v79, v79
	s_delay_alu instid0(TRANS32_DEP_3) | instskip(NEXT) | instid1(VALU_DEP_2)
	v_cndmask_b32_e64 v97, 0, v77, s6
	v_add_f32_e32 v77, v78, v96
	v_fma_f32 v78, s18, v103, -v76
	s_waitcnt_depctr 0xfff
	v_cndmask_b32_e64 v94, 0, v87, s8
	v_fma_f32 v87, s18, v104, -v76
	v_dual_add_f32 v77, v77, v97 :: v_dual_mul_f32 v78, 0x3fb8aa3b, v78
	v_cndmask_b32_e64 v98, 0, v79, s7
	s_delay_alu instid0(VALU_DEP_2) | instskip(SKIP_4) | instid1(VALU_DEP_2)
	v_add_f32_e32 v79, v77, v94
	v_cndmask_b32_e64 v77, 0, v80, s9
	v_fma_f32 v80, s18, v106, -v76
	v_exp_f32_e32 v89, v78
	v_cndmask_b32_e64 v78, 0, v86, s10
	v_dual_add_f32 v79, v79, v98 :: v_dual_mul_f32 v80, 0x3fb8aa3b, v80
	s_delay_alu instid0(VALU_DEP_1) | instskip(NEXT) | instid1(VALU_DEP_1)
	v_dual_mul_f32 v87, 0x3fb8aa3b, v87 :: v_dual_add_f32 v86, v79, v77
	v_exp_f32_e32 v87, v87
	s_waitcnt_depctr 0xfff
	v_cndmask_b32_e64 v79, 0, v89, s11
	v_add_f32_e32 v86, v86, v78
	v_mul_f32_e32 v89, 0x3fb8aa3b, v90
	v_exp_f32_e32 v90, v80
	v_cndmask_b32_e64 v80, 0, v87, s12
	s_delay_alu instid0(VALU_DEP_3) | instskip(SKIP_1) | instid1(VALU_DEP_2)
	v_add_f32_e32 v87, v86, v79
	v_cndmask_b32_e64 v86, 0, v88, s13
	v_add_f32_e32 v88, v87, v80
	v_exp_f32_e32 v89, v89
	s_waitcnt_depctr 0xfff
	v_cndmask_b32_e64 v87, 0, v90, s15
	v_add_f32_e32 v90, v88, v86
	v_cndmask_b32_e64 v88, 0, v89, s16
	s_delay_alu instid0(VALU_DEP_2) | instskip(NEXT) | instid1(VALU_DEP_1)
	v_add_f32_e32 v89, v90, v87
	v_add_f32_e32 v90, v89, v88
	v_cndmask_b32_e64 v89, 0, v100, s17
	s_delay_alu instid0(VALU_DEP_1)
	v_add_f32_e32 v90, v90, v89
	ds_bpermute_b32 v99, v99, v90
	s_and_saveexec_b32 s3, s2
	s_cbranch_execz .LBB714_14
; %bb.13:
	v_mul_u32_u24_e32 v75, 0x44, v74
	s_waitcnt lgkmcnt(0)
	v_add_f32_e32 v90, v90, v99
	s_delay_alu instid0(VALU_DEP_2) | instskip(NEXT) | instid1(VALU_DEP_1)
	v_lshl_add_u32 v75, v73, 2, v75
	v_add_nc_u32_e32 v75, 0x4000, v75
	ds_store_2addr_b32 v75, v76, v90 offset1:136
.LBB714_14:
	s_or_b32 exec_lo, exec_lo, s3
	v_lshlrev_b32_e32 v75, 2, v73
	s_waitcnt lgkmcnt(0)
	s_barrier
	buffer_gl0_inv
	v_cmp_eq_u32_e64 s3, 1, v74
	v_add_nc_u32_e32 v90, 0x4000, v75
	ds_load_2addr_b32 v[99:100], v90 offset1:17
	ds_load_2addr_b32 v[101:102], v90 offset0:34 offset1:51
	ds_load_2addr_b32 v[103:104], v90 offset0:68 offset1:85
	;; [unrolled: 1-line block ×4, first 2 shown]
	s_waitcnt lgkmcnt(4)
	v_max3_f32 v75, v99, 0xff7fffff, v100
	s_waitcnt lgkmcnt(3)
	s_delay_alu instid0(VALU_DEP_1) | instskip(SKIP_1) | instid1(VALU_DEP_1)
	v_max3_f32 v75, v75, v101, v102
	s_waitcnt lgkmcnt(2)
	v_max3_f32 v75, v75, v103, v104
	s_waitcnt lgkmcnt(1)
	s_delay_alu instid0(VALU_DEP_1) | instskip(NEXT) | instid1(VALU_DEP_1)
	v_max3_f32 v75, v75, v105, v106
	v_sub_f32_e32 v109, v100, v75
	v_sub_f32_e32 v76, v99, v75
	ds_load_2addr_b32 v[99:100], v90 offset0:170 offset1:187
	v_sub_f32_e32 v101, v101, v75
	v_dual_mul_f32 v109, 0x3fb8aa3b, v109 :: v_dual_mul_f32 v76, 0x3fb8aa3b, v76
	s_delay_alu instid0(VALU_DEP_2) | instskip(NEXT) | instid1(VALU_DEP_2)
	v_mul_f32_e32 v111, 0x3fb8aa3b, v101
	v_exp_f32_e32 v109, v109
	s_delay_alu instid0(VALU_DEP_2)
	v_exp_f32_e32 v110, v76
	v_sub_f32_e32 v76, v102, v75
	ds_load_2addr_b32 v[101:102], v90 offset0:204 offset1:221
	v_exp_f32_e32 v111, v111
	v_mul_f32_e32 v112, 0x3fb8aa3b, v76
	s_waitcnt lgkmcnt(2)
	v_fma_f32 v76, v110, v107, 0
	v_sub_f32_e32 v103, v103, v75
	s_delay_alu instid0(VALU_DEP_3) | instskip(NEXT) | instid1(VALU_DEP_2)
	v_exp_f32_e32 v112, v112
	v_dual_sub_f32 v107, v104, v75 :: v_dual_fmac_f32 v76, v109, v108
	s_waitcnt lgkmcnt(1)
	s_waitcnt_depctr 0xfff
	v_fmac_f32_e32 v76, v111, v99
	v_mul_f32_e32 v113, 0x3fb8aa3b, v103
	ds_load_2addr_b32 v[103:104], v90 offset0:238 offset1:255
	v_sub_f32_e32 v90, v105, v75
	v_dual_sub_f32 v99, v106, v75 :: v_dual_fmac_f32 v76, v112, v100
	v_mul_f32_e32 v105, 0x3fb8aa3b, v107
	v_exp_f32_e32 v107, v113
	s_delay_alu instid0(VALU_DEP_2)
	v_dual_mul_f32 v90, 0x3fb8aa3b, v90 :: v_dual_mul_f32 v99, 0x3fb8aa3b, v99
	s_waitcnt lgkmcnt(0)
	s_barrier
	buffer_gl0_inv
	v_exp_f32_e32 v90, v90
	v_exp_f32_e32 v99, v99
	v_fmac_f32_e32 v76, v107, v101
	v_exp_f32_e32 v105, v105
	s_waitcnt_depctr 0xfff
	v_fmac_f32_e32 v76, v105, v102
	s_delay_alu instid0(VALU_DEP_1) | instskip(NEXT) | instid1(VALU_DEP_1)
	v_fmac_f32_e32 v76, v90, v103
	v_fmac_f32_e32 v76, v99, v104
	s_delay_alu instid0(VALU_DEP_1) | instskip(NEXT) | instid1(VALU_DEP_1)
	v_add_f32_e32 v100, 0x358637bd, v76
	v_div_scale_f32 v101, null, v100, v100, 1.0
	v_div_scale_f32 v104, vcc_lo, 1.0, v100, 1.0
	s_delay_alu instid0(VALU_DEP_2) | instskip(SKIP_2) | instid1(VALU_DEP_1)
	v_rcp_f32_e32 v102, v101
	s_waitcnt_depctr 0xfff
	v_fma_f32 v103, -v101, v102, 1.0
	v_fmac_f32_e32 v102, v103, v102
	v_cndmask_b32_e64 v103, v110, v109, s3
	v_cmp_eq_u32_e64 s3, 2, v74
	s_delay_alu instid0(VALU_DEP_3) | instskip(NEXT) | instid1(VALU_DEP_2)
	v_mul_f32_e32 v106, v104, v102
	v_cndmask_b32_e64 v103, v103, v111, s3
	v_cmp_eq_u32_e64 s3, 3, v74
	s_delay_alu instid0(VALU_DEP_3) | instskip(NEXT) | instid1(VALU_DEP_2)
	v_fma_f32 v108, -v101, v106, v104
	v_cndmask_b32_e64 v103, v103, v112, s3
	v_cmp_eq_u32_e64 s3, 4, v74
	s_delay_alu instid0(VALU_DEP_3) | instskip(NEXT) | instid1(VALU_DEP_2)
	v_fmac_f32_e32 v106, v108, v102
	v_cndmask_b32_e64 v103, v103, v107, s3
	s_delay_alu instid0(VALU_DEP_2) | instskip(SKIP_1) | instid1(VALU_DEP_2)
	v_fma_f32 v101, -v101, v106, v104
	v_cmp_eq_u32_e64 s3, 5, v74
	v_div_fmas_f32 v101, v101, v102, v106
	s_delay_alu instid0(VALU_DEP_2) | instskip(SKIP_2) | instid1(VALU_DEP_3)
	v_cndmask_b32_e64 v103, v103, v105, s3
	v_cmp_eq_u32_e32 vcc_lo, 6, v74
	s_mov_b32 s3, exec_lo
	v_div_fixup_f32 v100, v101, v100, 1.0
	s_delay_alu instid0(VALU_DEP_3) | instskip(SKIP_1) | instid1(VALU_DEP_2)
	v_cndmask_b32_e32 v90, v103, v90, vcc_lo
	v_cmp_eq_u32_e32 vcc_lo, 7, v74
	v_cndmask_b32_e32 v90, v90, v99, vcc_lo
	s_delay_alu instid0(VALU_DEP_1) | instskip(NEXT) | instid1(VALU_DEP_1)
	v_mul_f32_e32 v90, v90, v100
	v_mul_f32_e32 v100, v90, v92
	;; [unrolled: 1-line block ×6, first 2 shown]
	v_and_b32_e32 v101, 0x7f800000, v100
	v_mul_f32_e32 v99, v90, v95
	v_mul_f32_e32 v95, v90, v91
	;; [unrolled: 1-line block ×3, first 2 shown]
                                        ; implicit-def: $vgpr91
	s_delay_alu instid0(VALU_DEP_4)
	v_cmpx_ne_u32_e32 0x7f800000, v101
	s_xor_b32 s3, exec_lo, s3
; %bb.15:
	v_bfe_u32 v91, v100, 16, 1
	s_delay_alu instid0(VALU_DEP_1)
	v_add3_u32 v91, v100, v91, 0x7fff
                                        ; implicit-def: $vgpr100
; %bb.16:
	s_and_not1_saveexec_b32 s3, s3
; %bb.17:
	v_and_b32_e32 v91, 0xffff, v100
	v_or_b32_e32 v93, 0x10000, v100
	s_delay_alu instid0(VALU_DEP_2) | instskip(NEXT) | instid1(VALU_DEP_2)
	v_cmp_eq_u32_e32 vcc_lo, 0, v91
	v_cndmask_b32_e32 v91, v93, v100, vcc_lo
; %bb.18:
	s_or_b32 exec_lo, exec_lo, s3
	v_and_b32_e32 v93, 0x7f800000, v95
	s_delay_alu instid0(VALU_DEP_1) | instskip(SKIP_1) | instid1(SALU_CYCLE_1)
	v_cmp_ne_u32_e32 vcc_lo, 0x7f800000, v93
                                        ; implicit-def: $vgpr93
	s_and_saveexec_b32 s3, vcc_lo
	s_xor_b32 s3, exec_lo, s3
; %bb.19:
	v_bfe_u32 v93, v95, 16, 1
	s_delay_alu instid0(VALU_DEP_1)
	v_add3_u32 v93, v95, v93, 0x7fff
                                        ; implicit-def: $vgpr95
; %bb.20:
	s_and_not1_saveexec_b32 s3, s3
; %bb.21:
	v_and_b32_e32 v93, 0xffff, v95
	v_or_b32_e32 v100, 0x10000, v95
	s_delay_alu instid0(VALU_DEP_2) | instskip(NEXT) | instid1(VALU_DEP_2)
	v_cmp_eq_u32_e32 vcc_lo, 0, v93
	v_cndmask_b32_e32 v93, v100, v95, vcc_lo
; %bb.22:
	s_or_b32 exec_lo, exec_lo, s3
	v_and_b32_e32 v95, 0x7f800000, v96
	s_delay_alu instid0(VALU_DEP_1) | instskip(SKIP_1) | instid1(SALU_CYCLE_1)
	v_cmp_ne_u32_e32 vcc_lo, 0x7f800000, v95
                                        ; implicit-def: $vgpr95
	s_and_saveexec_b32 s3, vcc_lo
	s_xor_b32 s3, exec_lo, s3
; %bb.23:
	v_bfe_u32 v95, v96, 16, 1
	s_delay_alu instid0(VALU_DEP_1)
	v_add3_u32 v95, v96, v95, 0x7fff
                                        ; implicit-def: $vgpr96
; %bb.24:
	s_and_not1_saveexec_b32 s3, s3
; %bb.25:
	v_and_b32_e32 v95, 0xffff, v96
	v_or_b32_e32 v100, 0x10000, v96
	s_delay_alu instid0(VALU_DEP_2) | instskip(NEXT) | instid1(VALU_DEP_2)
	v_cmp_eq_u32_e32 vcc_lo, 0, v95
	v_cndmask_b32_e32 v95, v100, v96, vcc_lo
; %bb.26:
	s_or_b32 exec_lo, exec_lo, s3
	v_and_b32_e32 v96, 0x7f800000, v99
	s_delay_alu instid0(VALU_DEP_1) | instskip(SKIP_1) | instid1(SALU_CYCLE_1)
	v_cmp_ne_u32_e32 vcc_lo, 0x7f800000, v96
                                        ; implicit-def: $vgpr96
	s_and_saveexec_b32 s3, vcc_lo
	s_xor_b32 s3, exec_lo, s3
; %bb.27:
	v_bfe_u32 v96, v99, 16, 1
	s_delay_alu instid0(VALU_DEP_1)
	v_add3_u32 v96, v99, v96, 0x7fff
                                        ; implicit-def: $vgpr99
; %bb.28:
	s_and_not1_saveexec_b32 s3, s3
; %bb.29:
	v_and_b32_e32 v96, 0xffff, v99
	v_or_b32_e32 v100, 0x10000, v99
	s_delay_alu instid0(VALU_DEP_2) | instskip(NEXT) | instid1(VALU_DEP_2)
	v_cmp_eq_u32_e32 vcc_lo, 0, v96
	v_cndmask_b32_e32 v96, v100, v99, vcc_lo
; %bb.30:
	s_or_b32 exec_lo, exec_lo, s3
	v_and_b32_e32 v99, 0x7f800000, v98
	s_delay_alu instid0(VALU_DEP_1) | instskip(SKIP_1) | instid1(SALU_CYCLE_1)
	v_cmp_ne_u32_e32 vcc_lo, 0x7f800000, v99
                                        ; implicit-def: $vgpr99
	s_and_saveexec_b32 s3, vcc_lo
	s_xor_b32 s3, exec_lo, s3
; %bb.31:
	v_bfe_u32 v99, v98, 16, 1
	s_delay_alu instid0(VALU_DEP_1)
	v_add3_u32 v99, v98, v99, 0x7fff
                                        ; implicit-def: $vgpr98
; %bb.32:
	s_and_not1_saveexec_b32 s3, s3
; %bb.33:
	v_and_b32_e32 v99, 0xffff, v98
	v_or_b32_e32 v100, 0x10000, v98
	s_delay_alu instid0(VALU_DEP_2) | instskip(NEXT) | instid1(VALU_DEP_2)
	v_cmp_eq_u32_e32 vcc_lo, 0, v99
	v_cndmask_b32_e32 v99, v100, v98, vcc_lo
; %bb.34:
	s_or_b32 exec_lo, exec_lo, s3
	v_and_b32_e32 v98, 0x7f800000, v97
	s_delay_alu instid0(VALU_DEP_1) | instskip(SKIP_1) | instid1(SALU_CYCLE_1)
	v_cmp_ne_u32_e32 vcc_lo, 0x7f800000, v98
                                        ; implicit-def: $vgpr98
	s_and_saveexec_b32 s3, vcc_lo
	s_xor_b32 s3, exec_lo, s3
; %bb.35:
	v_bfe_u32 v98, v97, 16, 1
	s_delay_alu instid0(VALU_DEP_1)
	v_add3_u32 v98, v97, v98, 0x7fff
                                        ; implicit-def: $vgpr97
; %bb.36:
	s_and_not1_saveexec_b32 s3, s3
; %bb.37:
	v_and_b32_e32 v98, 0xffff, v97
	v_or_b32_e32 v100, 0x10000, v97
	s_delay_alu instid0(VALU_DEP_2) | instskip(NEXT) | instid1(VALU_DEP_2)
	v_cmp_eq_u32_e32 vcc_lo, 0, v98
	v_cndmask_b32_e32 v98, v100, v97, vcc_lo
; %bb.38:
	s_or_b32 exec_lo, exec_lo, s3
	v_and_b32_e32 v97, 0x7f800000, v94
	s_delay_alu instid0(VALU_DEP_1) | instskip(SKIP_1) | instid1(SALU_CYCLE_1)
	v_cmp_ne_u32_e32 vcc_lo, 0x7f800000, v97
                                        ; implicit-def: $vgpr97
	s_and_saveexec_b32 s3, vcc_lo
	s_xor_b32 s3, exec_lo, s3
; %bb.39:
	v_bfe_u32 v97, v94, 16, 1
	s_delay_alu instid0(VALU_DEP_1)
	v_add3_u32 v97, v94, v97, 0x7fff
                                        ; implicit-def: $vgpr94
; %bb.40:
	s_and_not1_saveexec_b32 s3, s3
; %bb.41:
	v_and_b32_e32 v97, 0xffff, v94
	v_or_b32_e32 v100, 0x10000, v94
	s_delay_alu instid0(VALU_DEP_2) | instskip(NEXT) | instid1(VALU_DEP_2)
	v_cmp_eq_u32_e32 vcc_lo, 0, v97
	v_cndmask_b32_e32 v97, v100, v94, vcc_lo
; %bb.42:
	s_or_b32 exec_lo, exec_lo, s3
	v_and_b32_e32 v94, 0x7f800000, v92
	s_delay_alu instid0(VALU_DEP_1) | instskip(SKIP_1) | instid1(SALU_CYCLE_1)
	v_cmp_ne_u32_e32 vcc_lo, 0x7f800000, v94
                                        ; implicit-def: $vgpr94
	s_and_saveexec_b32 s3, vcc_lo
	s_xor_b32 s3, exec_lo, s3
; %bb.43:
	v_bfe_u32 v94, v92, 16, 1
	s_delay_alu instid0(VALU_DEP_1)
	v_add3_u32 v94, v92, v94, 0x7fff
                                        ; implicit-def: $vgpr92
; %bb.44:
	s_and_not1_saveexec_b32 s3, s3
; %bb.45:
	v_and_b32_e32 v94, 0xffff, v92
	v_or_b32_e32 v100, 0x10000, v92
	s_delay_alu instid0(VALU_DEP_2) | instskip(NEXT) | instid1(VALU_DEP_2)
	v_cmp_eq_u32_e32 vcc_lo, 0, v94
	v_cndmask_b32_e32 v94, v100, v92, vcc_lo
; %bb.46:
	s_or_b32 exec_lo, exec_lo, s3
	s_load_b64 s[34:35], s[0:1], 0x94
	v_lshlrev_b32_e32 v92, 4, v83
	s_delay_alu instid0(VALU_DEP_2)
	v_perm_b32 v100, v94, v97, 0x7060302
	v_dual_mul_f32 v89, v90, v89 :: v_dual_lshlrev_b32 v94, 11, v74
	v_perm_b32 v97, v93, v91, 0x7060302
	v_mul_f32_e32 v93, v90, v77
	v_perm_b32 v99, v98, v99, 0x7060302
	v_perm_b32 v98, v96, v95, 0x7060302
	v_or3_b32 v77, v92, v94, v85
	v_mul_f32_e32 v88, v90, v88
	v_dual_mul_f32 v87, v90, v87 :: v_dual_and_b32 v94, 0x7f800000, v93
	v_mul_f32_e32 v86, v90, v86
	v_mul_f32_e32 v91, v90, v80
	;; [unrolled: 1-line block ×4, first 2 shown]
	s_mov_b32 s3, exec_lo
	ds_store_b128 v77, v[97:100]
                                        ; implicit-def: $vgpr78
	v_cmpx_ne_u32_e32 0x7f800000, v94
	s_xor_b32 s3, exec_lo, s3
; %bb.47:
	v_bfe_u32 v78, v93, 16, 1
	s_delay_alu instid0(VALU_DEP_1)
	v_add3_u32 v78, v93, v78, 0x7fff
                                        ; implicit-def: $vgpr93
; %bb.48:
	s_and_not1_saveexec_b32 s3, s3
; %bb.49:
	v_and_b32_e32 v78, 0xffff, v93
	v_or_b32_e32 v79, 0x10000, v93
	s_delay_alu instid0(VALU_DEP_2) | instskip(NEXT) | instid1(VALU_DEP_2)
	v_cmp_eq_u32_e32 vcc_lo, 0, v78
	v_cndmask_b32_e32 v78, v79, v93, vcc_lo
; %bb.50:
	s_or_b32 exec_lo, exec_lo, s3
	v_and_b32_e32 v79, 0x7f800000, v80
	s_delay_alu instid0(VALU_DEP_1) | instskip(SKIP_1) | instid1(SALU_CYCLE_1)
	v_cmp_ne_u32_e32 vcc_lo, 0x7f800000, v79
                                        ; implicit-def: $vgpr79
	s_and_saveexec_b32 s3, vcc_lo
	s_xor_b32 s3, exec_lo, s3
; %bb.51:
	v_bfe_u32 v79, v80, 16, 1
	s_delay_alu instid0(VALU_DEP_1)
	v_add3_u32 v79, v80, v79, 0x7fff
                                        ; implicit-def: $vgpr80
; %bb.52:
	s_and_not1_saveexec_b32 s3, s3
; %bb.53:
	v_and_b32_e32 v79, 0xffff, v80
	v_or_b32_e32 v90, 0x10000, v80
	s_delay_alu instid0(VALU_DEP_2) | instskip(NEXT) | instid1(VALU_DEP_2)
	v_cmp_eq_u32_e32 vcc_lo, 0, v79
	v_cndmask_b32_e32 v79, v90, v80, vcc_lo
; %bb.54:
	s_or_b32 exec_lo, exec_lo, s3
	v_and_b32_e32 v80, 0x7f800000, v92
	s_delay_alu instid0(VALU_DEP_1) | instskip(SKIP_1) | instid1(SALU_CYCLE_1)
	v_cmp_ne_u32_e32 vcc_lo, 0x7f800000, v80
                                        ; implicit-def: $vgpr80
	s_and_saveexec_b32 s3, vcc_lo
	s_xor_b32 s3, exec_lo, s3
; %bb.55:
	v_bfe_u32 v80, v92, 16, 1
	s_delay_alu instid0(VALU_DEP_1)
	v_add3_u32 v80, v92, v80, 0x7fff
                                        ; implicit-def: $vgpr92
; %bb.56:
	s_and_not1_saveexec_b32 s3, s3
; %bb.57:
	v_and_b32_e32 v80, 0xffff, v92
	v_or_b32_e32 v90, 0x10000, v92
	s_delay_alu instid0(VALU_DEP_2) | instskip(NEXT) | instid1(VALU_DEP_2)
	v_cmp_eq_u32_e32 vcc_lo, 0, v80
	v_cndmask_b32_e32 v80, v90, v92, vcc_lo
; %bb.58:
	s_or_b32 exec_lo, exec_lo, s3
	v_and_b32_e32 v90, 0x7f800000, v91
	s_delay_alu instid0(VALU_DEP_1) | instskip(SKIP_1) | instid1(SALU_CYCLE_1)
	v_cmp_ne_u32_e32 vcc_lo, 0x7f800000, v90
                                        ; implicit-def: $vgpr90
	s_and_saveexec_b32 s3, vcc_lo
	s_xor_b32 s3, exec_lo, s3
; %bb.59:
	v_bfe_u32 v90, v91, 16, 1
	s_delay_alu instid0(VALU_DEP_1)
	v_add3_u32 v90, v91, v90, 0x7fff
                                        ; implicit-def: $vgpr91
; %bb.60:
	s_and_not1_saveexec_b32 s3, s3
; %bb.61:
	v_and_b32_e32 v90, 0xffff, v91
	v_or_b32_e32 v92, 0x10000, v91
	s_delay_alu instid0(VALU_DEP_2) | instskip(NEXT) | instid1(VALU_DEP_2)
	v_cmp_eq_u32_e32 vcc_lo, 0, v90
	v_cndmask_b32_e32 v90, v92, v91, vcc_lo
; %bb.62:
	s_or_b32 exec_lo, exec_lo, s3
	v_and_b32_e32 v91, 0x7f800000, v86
	s_delay_alu instid0(VALU_DEP_1) | instskip(SKIP_1) | instid1(SALU_CYCLE_1)
	v_cmp_ne_u32_e32 vcc_lo, 0x7f800000, v91
                                        ; implicit-def: $vgpr91
	s_and_saveexec_b32 s3, vcc_lo
	s_xor_b32 s3, exec_lo, s3
; %bb.63:
	v_bfe_u32 v91, v86, 16, 1
	s_delay_alu instid0(VALU_DEP_1)
	v_add3_u32 v91, v86, v91, 0x7fff
                                        ; implicit-def: $vgpr86
; %bb.64:
	s_and_not1_saveexec_b32 s3, s3
; %bb.65:
	v_and_b32_e32 v91, 0xffff, v86
	v_or_b32_e32 v92, 0x10000, v86
	s_delay_alu instid0(VALU_DEP_2) | instskip(NEXT) | instid1(VALU_DEP_2)
	v_cmp_eq_u32_e32 vcc_lo, 0, v91
	v_cndmask_b32_e32 v91, v92, v86, vcc_lo
; %bb.66:
	s_or_b32 exec_lo, exec_lo, s3
	v_and_b32_e32 v86, 0x7f800000, v87
	s_delay_alu instid0(VALU_DEP_1) | instskip(SKIP_1) | instid1(SALU_CYCLE_1)
	v_cmp_ne_u32_e32 vcc_lo, 0x7f800000, v86
                                        ; implicit-def: $vgpr86
	s_and_saveexec_b32 s3, vcc_lo
	s_xor_b32 s3, exec_lo, s3
; %bb.67:
	v_bfe_u32 v86, v87, 16, 1
	s_delay_alu instid0(VALU_DEP_1)
	v_add3_u32 v86, v87, v86, 0x7fff
                                        ; implicit-def: $vgpr87
; %bb.68:
	s_and_not1_saveexec_b32 s3, s3
; %bb.69:
	v_and_b32_e32 v86, 0xffff, v87
	v_or_b32_e32 v92, 0x10000, v87
	s_delay_alu instid0(VALU_DEP_2) | instskip(NEXT) | instid1(VALU_DEP_2)
	v_cmp_eq_u32_e32 vcc_lo, 0, v86
	v_cndmask_b32_e32 v86, v92, v87, vcc_lo
; %bb.70:
	s_or_b32 exec_lo, exec_lo, s3
	v_and_b32_e32 v87, 0x7f800000, v88
	s_delay_alu instid0(VALU_DEP_1) | instskip(SKIP_1) | instid1(SALU_CYCLE_1)
	v_cmp_ne_u32_e32 vcc_lo, 0x7f800000, v87
                                        ; implicit-def: $vgpr87
	s_and_saveexec_b32 s3, vcc_lo
	s_xor_b32 s3, exec_lo, s3
; %bb.71:
	v_bfe_u32 v87, v88, 16, 1
	s_delay_alu instid0(VALU_DEP_1)
	v_add3_u32 v87, v88, v87, 0x7fff
                                        ; implicit-def: $vgpr88
; %bb.72:
	s_and_not1_saveexec_b32 s3, s3
; %bb.73:
	v_and_b32_e32 v87, 0xffff, v88
	v_or_b32_e32 v92, 0x10000, v88
	s_delay_alu instid0(VALU_DEP_2) | instskip(NEXT) | instid1(VALU_DEP_2)
	v_cmp_eq_u32_e32 vcc_lo, 0, v87
	v_cndmask_b32_e32 v87, v92, v88, vcc_lo
; %bb.74:
	s_or_b32 exec_lo, exec_lo, s3
	v_and_b32_e32 v88, 0x7f800000, v89
	s_delay_alu instid0(VALU_DEP_1) | instskip(SKIP_1) | instid1(SALU_CYCLE_1)
	v_cmp_ne_u32_e32 vcc_lo, 0x7f800000, v88
                                        ; implicit-def: $vgpr88
	s_and_saveexec_b32 s3, vcc_lo
	s_xor_b32 s3, exec_lo, s3
; %bb.75:
	v_bfe_u32 v88, v89, 16, 1
	s_delay_alu instid0(VALU_DEP_1)
	v_add3_u32 v88, v89, v88, 0x7fff
                                        ; implicit-def: $vgpr89
; %bb.76:
	s_and_not1_saveexec_b32 s3, s3
; %bb.77:
	v_and_b32_e32 v88, 0xffff, v89
	v_or_b32_e32 v92, 0x10000, v89
	s_delay_alu instid0(VALU_DEP_2) | instskip(NEXT) | instid1(VALU_DEP_2)
	v_cmp_eq_u32_e32 vcc_lo, 0, v88
	v_cndmask_b32_e32 v88, v92, v89, vcc_lo
; %bb.78:
	s_or_b32 exec_lo, exec_lo, s3
	s_delay_alu instid0(VALU_DEP_1)
	v_perm_b32 v89, v88, v87, 0x7060302
	v_perm_b32 v88, v86, v91, 0x7060302
	;; [unrolled: 1-line block ×4, first 2 shown]
	v_lshl_or_b32 v90, v74, 11, v85
	ds_store_b128 v77, v[86:89] offset:1024
	s_waitcnt lgkmcnt(0)
	s_barrier
	buffer_gl0_inv
	ds_load_b128 v[91:94], v90
	ds_load_b128 v[95:98], v90 offset:16
	v_lshlrev_b32_e32 v87, 2, v83
	s_delay_alu instid0(VALU_DEP_1)
	v_or_b32_e32 v88, 1, v87
	v_cmp_eq_u32_e32 vcc_lo, 1, v87
	v_cmp_eq_u32_e64 s4, 2, v87
	v_cmp_eq_u32_e64 s7, 3, v87
	;; [unrolled: 1-line block ×6, first 2 shown]
	v_or_b32_e32 v86, 2, v87
	v_cmp_eq_u32_e64 s10, 5, v87
	v_cmp_eq_u32_e64 s11, 4, v88
	;; [unrolled: 1-line block ×4, first 2 shown]
	s_waitcnt lgkmcnt(1)
	v_lshrrev_b32_e32 v74, 16, v91
	s_waitcnt lgkmcnt(0)
	v_lshrrev_b32_e32 v103, 16, v95
	v_lshrrev_b32_e32 v80, 16, v94
	;; [unrolled: 1-line block ×4, first 2 shown]
	v_cndmask_b32_e32 v89, v91, v74, vcc_lo
	v_cndmask_b32_e32 v99, v95, v103, vcc_lo
	v_cndmask_b32_e64 v100, v91, v74, s3
	v_lshrrev_b32_e32 v79, 16, v93
	v_lshrrev_b32_e32 v108, 16, v97
	v_cndmask_b32_e64 v89, v89, v92, s4
	v_cndmask_b32_e64 v99, v99, v96, s4
	;; [unrolled: 1-line block ×4, first 2 shown]
	v_cmp_eq_u32_e64 s5, 1, v86
	v_cndmask_b32_e64 v89, v89, v78, s7
	v_cndmask_b32_e64 v99, v99, v107, s7
	;; [unrolled: 1-line block ×4, first 2 shown]
	v_lshrrev_b32_e32 v109, 16, v98
	v_cndmask_b32_e64 v89, v89, v93, s9
	v_cndmask_b32_e64 v99, v99, v97, s9
	;; [unrolled: 1-line block ×8, first 2 shown]
	v_cmp_eq_u32_e64 s15, 7, v87
	v_cmp_eq_u32_e64 s16, 6, v88
	v_cndmask_b32_e64 v89, v89, v94, s12
	v_cndmask_b32_e64 v99, v99, v98, s12
	v_cmp_eq_u32_e64 s17, 2, v86
	v_cndmask_b32_e64 v101, v101, v97, s11
	v_cndmask_b32_e64 v100, v100, v94, s16
	;; [unrolled: 1-line block ×6, first 2 shown]
	v_cmp_eq_u32_e64 s18, 7, v88
	v_cmp_eq_u32_e64 s19, 3, v86
	;; [unrolled: 1-line block ×4, first 2 shown]
	v_cndmask_b32_e64 v99, v99, v96, s17
	v_cndmask_b32_e64 v112, v100, v80, s18
	v_cndmask_b32_e64 v100, v101, v108, s13
	v_cndmask_b32_e64 v101, v89, v78, s19
	v_or_b32_e32 v89, 3, v87
	v_cndmask_b32_e64 v105, v99, v107, s19
	v_cmp_eq_u32_e64 s24, 6, v86
	v_cndmask_b32_e64 v113, v100, v98, s16
	v_cndmask_b32_e64 v104, v101, v93, s20
	ds_load_b128 v[99:102], v90 offset:1024
	v_cmp_eq_u32_e64 s21, 1, v89
	v_cmp_eq_u32_e64 s23, 2, v89
	;; [unrolled: 1-line block ×3, first 2 shown]
	v_cndmask_b32_e64 v114, v104, v79, s22
	v_cmp_eq_u32_e64 s26, 4, v89
	v_cndmask_b32_e64 v74, v91, v74, s21
	v_cndmask_b32_e64 v91, v105, v97, s20
	;; [unrolled: 1-line block ×3, first 2 shown]
	ds_load_b128 v[103:106], v90 offset:1040
	v_cmp_eq_u32_e64 s28, 5, v89
	v_cndmask_b32_e64 v74, v74, v92, s23
	v_cndmask_b32_e64 v91, v91, v108, s22
	;; [unrolled: 1-line block ×3, first 2 shown]
	v_cmp_eq_u32_e64 s29, 6, v89
	v_cndmask_b32_e64 v95, v113, v109, s18
	v_cndmask_b32_e64 v74, v74, v78, s25
	;; [unrolled: 1-line block ×5, first 2 shown]
	s_waitcnt lgkmcnt(1)
	v_lshrrev_b32_e32 v96, 16, v99
	v_cndmask_b32_e64 v74, v74, v93, s26
	v_lshrrev_b32_e32 v107, 16, v100
	v_cndmask_b32_e64 v92, v92, v97, s26
	v_cmp_eq_u32_e64 s27, 7, v86
	v_cndmask_b32_e32 v93, v99, v96, vcc_lo
	v_cndmask_b32_e64 v74, v74, v79, s28
	s_delay_alu instid0(VALU_DEP_4)
	v_cndmask_b32_e64 v79, v92, v108, s28
	s_waitcnt lgkmcnt(0)
	v_lshrrev_b32_e32 v97, 16, v103
	v_cndmask_b32_e64 v92, v93, v100, s4
	v_cndmask_b32_e64 v93, v99, v96, s3
	;; [unrolled: 1-line block ×4, first 2 shown]
	v_cndmask_b32_e32 v108, v103, v97, vcc_lo
	v_cndmask_b32_e64 v92, v92, v107, s7
	v_cndmask_b32_e64 v93, v93, v100, s6
	v_lshrrev_b32_e32 v98, 16, v104
	v_cmp_eq_u32_e32 vcc_lo, 7, v89
	v_cndmask_b32_e64 v94, v108, v104, s4
	v_cndmask_b32_e64 v92, v92, v101, s9
	v_lshrrev_b32_e32 v108, 16, v101
	v_cndmask_b32_e64 v93, v93, v107, s8
	v_cndmask_b32_e32 v74, v74, v80, vcc_lo
	v_cndmask_b32_e64 v94, v94, v98, s7
	v_cndmask_b32_e32 v79, v79, v109, vcc_lo
	v_cndmask_b32_e64 v92, v92, v108, s10
	v_cndmask_b32_e64 v78, v78, v80, s27
	;; [unrolled: 1-line block ×4, first 2 shown]
	v_perm_b32 v94, v79, v74, 0x5040100
	v_cndmask_b32_e64 v79, v92, v102, s12
	v_perm_b32 v92, v95, v112, 0x5040100
	v_cndmask_b32_e64 v95, v99, v96, s5
	v_cndmask_b32_e64 v96, v99, v96, s21
	;; [unrolled: 1-line block ×16, first 2 shown]
	v_lshrrev_b32_e32 v109, 16, v105
	v_cndmask_b32_e64 v95, v95, v101, s20
	v_cndmask_b32_e64 v96, v96, v101, s26
	v_cndmask_b32_e64 v98, v99, v105, s26
	v_cndmask_b32_e64 v99, v100, v105, s20
	v_cndmask_b32_e64 v97, v97, v105, s11
	v_cndmask_b32_e64 v74, v80, v108, s13
	v_lshrrev_b32_e32 v80, 16, v102
	v_cndmask_b32_e64 v113, v93, v109, s10
	v_cndmask_b32_e64 v95, v95, v108, s22
	v_cndmask_b32_e64 v96, v96, v108, s28
	v_cndmask_b32_e64 v98, v98, v109, s28
	v_cndmask_b32_e64 v99, v99, v109, s22
	v_cndmask_b32_e64 v97, v97, v109, s13
	v_perm_b32 v93, v91, v78, 0x5040100
	v_cndmask_b32_e64 v74, v74, v102, s16
	v_cndmask_b32_e64 v78, v79, v80, s15
	;; [unrolled: 1-line block ×3, first 2 shown]
	v_lshrrev_b32_e32 v91, 16, v106
	v_cndmask_b32_e64 v95, v95, v102, s24
	v_cndmask_b32_e64 v96, v96, v102, s29
	;; [unrolled: 1-line block ×7, first 2 shown]
	v_cndmask_b32_e32 v80, v96, v80, vcc_lo
	v_cndmask_b32_e32 v96, v98, v91, vcc_lo
	v_cndmask_b32_e64 v99, v99, v91, s27
	v_cndmask_b32_e64 v100, v97, v91, s18
	;; [unrolled: 1-line block ×3, first 2 shown]
	v_perm_b32 v91, v111, v110, 0x5040100
	v_perm_b32 v98, v96, v80, 0x5040100
	v_perm_b32 v97, v99, v95, 0x5040100
	v_perm_b32 v96, v100, v74, 0x5040100
	v_perm_b32 v95, v79, v78, 0x5040100
	s_mul_i32 s8, s35, 5
	s_mov_b32 s3, exec_lo
	ds_store_b128 v77, v[91:94]
	ds_store_b128 v77, v[95:98] offset:1024
	v_cmpx_gt_u32_e32 5, v0
	s_cbranch_execz .LBB714_80
; %bb.79:
	s_mul_i32 s4, s8, s30
	s_delay_alu instid0(SALU_CYCLE_1) | instskip(SKIP_1) | instid1(VALU_DEP_1)
	v_add3_u32 v77, s4, s31, v73
	s_load_b128 s[4:7], s[0:1], 0x58
	v_mad_u64_u32 v[73:74], null, v77, s34, s[14:15]
	s_delay_alu instid0(VALU_DEP_1) | instskip(NEXT) | instid1(VALU_DEP_1)
	v_ashrrev_i32_e32 v74, 31, v73
	v_lshlrev_b64 v[73:74], 2, v[73:74]
	s_waitcnt lgkmcnt(0)
	s_delay_alu instid0(VALU_DEP_1) | instskip(NEXT) | instid1(VALU_DEP_2)
	v_add_co_u32 v77, vcc_lo, s6, v73
	v_add_co_ci_u32_e32 v78, vcc_lo, s7, v74, vcc_lo
	v_add_co_u32 v73, vcc_lo, s4, v73
	v_add_co_ci_u32_e32 v74, vcc_lo, s5, v74, vcc_lo
	global_store_b32 v[77:78], v75, off
	global_store_b32 v[73:74], v76, off
.LBB714_80:
	s_or_b32 exec_lo, exec_lo, s3
	s_waitcnt lgkmcnt(0)
	s_waitcnt_vscnt null, 0x0
	s_barrier
	buffer_gl0_inv
	ds_load_b128 v[91:94], v85
	ds_load_b128 v[95:98], v85 offset:16
	ds_load_b128 v[103:106], v85 offset:1040
	;; [unrolled: 1-line block ×3, first 2 shown]
	v_mov_b32_e32 v73, 0
	ds_load_b128 v[111:114], v85 offset:2064
	ds_load_b128 v[107:110], v85 offset:2048
	;; [unrolled: 1-line block ×6, first 2 shown]
	v_mov_b32_e32 v74, v73
	v_mov_b32_e32 v75, v73
	;; [unrolled: 1-line block ×7, first 2 shown]
	s_waitcnt lgkmcnt(8)
	s_delay_alu instid0(VALU_DEP_1)
	v_wmma_f32_16x16x16_bf16 v[73:80], v[65:72], v[91:98], v[73:80]
	ds_load_b128 v[69:72], v85 offset:5136
	ds_load_b128 v[65:68], v85 offset:5120
	;; [unrolled: 1-line block ×4, first 2 shown]
	s_waitcnt lgkmcnt(10)
	v_wmma_f32_16x16x16_bf16 v[73:80], v[57:64], v[99:106], v[73:80]
	s_waitcnt lgkmcnt(8)
	s_delay_alu instid0(VALU_DEP_1)
	v_wmma_f32_16x16x16_bf16 v[73:80], v[57:64], v[107:114], v[73:80]
	ds_load_b128 v[61:64], v85 offset:7184
	ds_load_b128 v[57:60], v85 offset:7168
	;; [unrolled: 1-line block ×4, first 2 shown]
	s_waitcnt lgkmcnt(10)
	v_wmma_f32_16x16x16_bf16 v[73:80], v[49:56], v[115:122], v[73:80]
	s_waitcnt lgkmcnt(8)
	s_delay_alu instid0(VALU_DEP_1)
	v_wmma_f32_16x16x16_bf16 v[73:80], v[49:56], v[123:130], v[73:80]
	ds_load_b128 v[53:56], v85 offset:9232
	ds_load_b128 v[49:52], v85 offset:9216
	s_waitcnt lgkmcnt(8)
	v_wmma_f32_16x16x16_bf16 v[73:80], v[41:48], v[65:72], v[73:80]
	ds_load_b128 v[69:72], v85 offset:10256
	ds_load_b128 v[65:68], v85 offset:10240
	s_waitcnt lgkmcnt(8)
	;; [unrolled: 4-line block ×3, first 2 shown]
	v_wmma_f32_16x16x16_bf16 v[73:80], v[9:16], v[57:64], v[73:80]
	s_waitcnt lgkmcnt(6)
	s_delay_alu instid0(VALU_DEP_1)
	v_wmma_f32_16x16x16_bf16 v[73:80], v[9:16], v[99:106], v[73:80]
	ds_load_b128 v[13:16], v85 offset:12304
	ds_load_b128 v[9:12], v85 offset:12288
	s_waitcnt lgkmcnt(6)
	v_wmma_f32_16x16x16_bf16 v[73:80], v[1:8], v[49:56], v[73:80]
	ds_load_b128 v[53:56], v85 offset:13328
	ds_load_b128 v[49:52], v85 offset:13312
	s_waitcnt lgkmcnt(6)
	;; [unrolled: 4-line block ×4, first 2 shown]
	v_wmma_f32_16x16x16_bf16 v[73:80], v[33:40], v[9:16], v[73:80]
	s_waitcnt lgkmcnt(4)
	s_delay_alu instid0(VALU_DEP_1) | instskip(SKIP_1) | instid1(VALU_DEP_1)
	v_wmma_f32_16x16x16_bf16 v[73:80], v[25:32], v[49:56], v[73:80]
	s_waitcnt lgkmcnt(2)
	v_wmma_f32_16x16x16_bf16 v[73:80], v[25:32], v[1:8], v[73:80]
	s_waitcnt lgkmcnt(0)
	s_delay_alu instid0(VALU_DEP_1) | instskip(NEXT) | instid1(VALU_DEP_1)
	v_wmma_f32_16x16x16_bf16 v[73:80], v[17:24], v[41:48], v[73:80]
	v_and_b32_e32 v1, 0x7f800000, v73
	s_delay_alu instid0(VALU_DEP_1) | instskip(SKIP_1) | instid1(SALU_CYCLE_1)
	v_cmp_ne_u32_e32 vcc_lo, 0x7f800000, v1
                                        ; implicit-def: $vgpr1
	s_and_saveexec_b32 s3, vcc_lo
	s_xor_b32 s3, exec_lo, s3
; %bb.81:
	v_bfe_u32 v1, v73, 16, 1
	s_delay_alu instid0(VALU_DEP_1)
	v_add3_u32 v1, v73, v1, 0x7fff
; %bb.82:
	s_and_not1_saveexec_b32 s3, s3
; %bb.83:
	v_and_b32_e32 v1, 0xffff, v73
	v_or_b32_e32 v2, 0x10000, v73
	s_delay_alu instid0(VALU_DEP_2) | instskip(NEXT) | instid1(VALU_DEP_2)
	v_cmp_eq_u32_e32 vcc_lo, 0, v1
	v_cndmask_b32_e32 v1, v2, v73, vcc_lo
; %bb.84:
	s_or_b32 exec_lo, exec_lo, s3
	v_and_b32_e32 v2, 0x7f800000, v74
	s_delay_alu instid0(VALU_DEP_1) | instskip(SKIP_1) | instid1(SALU_CYCLE_1)
	v_cmp_ne_u32_e32 vcc_lo, 0x7f800000, v2
                                        ; implicit-def: $vgpr2
	s_and_saveexec_b32 s3, vcc_lo
	s_xor_b32 s3, exec_lo, s3
; %bb.85:
	v_bfe_u32 v2, v74, 16, 1
	s_delay_alu instid0(VALU_DEP_1)
	v_add3_u32 v2, v74, v2, 0x7fff
; %bb.86:
	s_and_not1_saveexec_b32 s3, s3
; %bb.87:
	v_and_b32_e32 v2, 0xffff, v74
	v_or_b32_e32 v3, 0x10000, v74
	s_delay_alu instid0(VALU_DEP_2) | instskip(NEXT) | instid1(VALU_DEP_2)
	v_cmp_eq_u32_e32 vcc_lo, 0, v2
	v_cndmask_b32_e32 v2, v3, v74, vcc_lo
; %bb.88:
	s_or_b32 exec_lo, exec_lo, s3
	v_and_b32_e32 v3, 0x7f800000, v75
	s_delay_alu instid0(VALU_DEP_1) | instskip(SKIP_1) | instid1(SALU_CYCLE_1)
	v_cmp_ne_u32_e32 vcc_lo, 0x7f800000, v3
                                        ; implicit-def: $vgpr3
	s_and_saveexec_b32 s3, vcc_lo
	s_xor_b32 s3, exec_lo, s3
; %bb.89:
	v_bfe_u32 v3, v75, 16, 1
	s_delay_alu instid0(VALU_DEP_1)
	v_add3_u32 v3, v75, v3, 0x7fff
; %bb.90:
	s_and_not1_saveexec_b32 s3, s3
; %bb.91:
	v_and_b32_e32 v3, 0xffff, v75
	v_or_b32_e32 v4, 0x10000, v75
	s_delay_alu instid0(VALU_DEP_2) | instskip(NEXT) | instid1(VALU_DEP_2)
	v_cmp_eq_u32_e32 vcc_lo, 0, v3
	v_cndmask_b32_e32 v3, v4, v75, vcc_lo
; %bb.92:
	s_or_b32 exec_lo, exec_lo, s3
	v_and_b32_e32 v4, 0x7f800000, v76
	s_delay_alu instid0(VALU_DEP_1) | instskip(SKIP_1) | instid1(SALU_CYCLE_1)
	v_cmp_ne_u32_e32 vcc_lo, 0x7f800000, v4
                                        ; implicit-def: $vgpr4
	s_and_saveexec_b32 s3, vcc_lo
	s_xor_b32 s3, exec_lo, s3
; %bb.93:
	v_bfe_u32 v4, v76, 16, 1
	s_delay_alu instid0(VALU_DEP_1)
	v_add3_u32 v4, v76, v4, 0x7fff
; %bb.94:
	s_and_not1_saveexec_b32 s3, s3
; %bb.95:
	v_and_b32_e32 v4, 0xffff, v76
	v_or_b32_e32 v5, 0x10000, v76
	s_delay_alu instid0(VALU_DEP_2) | instskip(NEXT) | instid1(VALU_DEP_2)
	v_cmp_eq_u32_e32 vcc_lo, 0, v4
	v_cndmask_b32_e32 v4, v5, v76, vcc_lo
; %bb.96:
	s_or_b32 exec_lo, exec_lo, s3
	v_and_b32_e32 v5, 0x7f800000, v77
	s_delay_alu instid0(VALU_DEP_1) | instskip(SKIP_1) | instid1(SALU_CYCLE_1)
	v_cmp_ne_u32_e32 vcc_lo, 0x7f800000, v5
                                        ; implicit-def: $vgpr5
	s_and_saveexec_b32 s3, vcc_lo
	s_xor_b32 s3, exec_lo, s3
; %bb.97:
	v_bfe_u32 v5, v77, 16, 1
	s_delay_alu instid0(VALU_DEP_1)
	v_add3_u32 v5, v77, v5, 0x7fff
; %bb.98:
	s_and_not1_saveexec_b32 s3, s3
; %bb.99:
	v_and_b32_e32 v5, 0xffff, v77
	v_or_b32_e32 v6, 0x10000, v77
	s_delay_alu instid0(VALU_DEP_2) | instskip(NEXT) | instid1(VALU_DEP_2)
	v_cmp_eq_u32_e32 vcc_lo, 0, v5
	v_cndmask_b32_e32 v5, v6, v77, vcc_lo
; %bb.100:
	s_or_b32 exec_lo, exec_lo, s3
	v_and_b32_e32 v6, 0x7f800000, v78
	s_delay_alu instid0(VALU_DEP_1) | instskip(SKIP_1) | instid1(SALU_CYCLE_1)
	v_cmp_ne_u32_e32 vcc_lo, 0x7f800000, v6
                                        ; implicit-def: $vgpr6
	s_and_saveexec_b32 s3, vcc_lo
	s_xor_b32 s3, exec_lo, s3
; %bb.101:
	v_bfe_u32 v6, v78, 16, 1
	s_delay_alu instid0(VALU_DEP_1)
	v_add3_u32 v6, v78, v6, 0x7fff
; %bb.102:
	s_and_not1_saveexec_b32 s3, s3
; %bb.103:
	v_and_b32_e32 v6, 0xffff, v78
	v_or_b32_e32 v7, 0x10000, v78
	s_delay_alu instid0(VALU_DEP_2) | instskip(NEXT) | instid1(VALU_DEP_2)
	v_cmp_eq_u32_e32 vcc_lo, 0, v6
	v_cndmask_b32_e32 v6, v7, v78, vcc_lo
; %bb.104:
	s_or_b32 exec_lo, exec_lo, s3
	v_and_b32_e32 v7, 0x7f800000, v79
	s_delay_alu instid0(VALU_DEP_1) | instskip(SKIP_1) | instid1(SALU_CYCLE_1)
	v_cmp_ne_u32_e32 vcc_lo, 0x7f800000, v7
                                        ; implicit-def: $vgpr7
	s_and_saveexec_b32 s3, vcc_lo
	s_xor_b32 s3, exec_lo, s3
; %bb.105:
	v_bfe_u32 v7, v79, 16, 1
	s_delay_alu instid0(VALU_DEP_1)
	v_add3_u32 v7, v79, v7, 0x7fff
; %bb.106:
	s_and_not1_saveexec_b32 s3, s3
; %bb.107:
	v_and_b32_e32 v7, 0xffff, v79
	v_or_b32_e32 v8, 0x10000, v79
	s_delay_alu instid0(VALU_DEP_2) | instskip(NEXT) | instid1(VALU_DEP_2)
	v_cmp_eq_u32_e32 vcc_lo, 0, v7
	v_cndmask_b32_e32 v7, v8, v79, vcc_lo
; %bb.108:
	s_or_b32 exec_lo, exec_lo, s3
	v_and_b32_e32 v8, 0x7f800000, v80
	s_delay_alu instid0(VALU_DEP_1) | instskip(SKIP_1) | instid1(SALU_CYCLE_1)
	v_cmp_ne_u32_e32 vcc_lo, 0x7f800000, v8
                                        ; implicit-def: $vgpr8
	s_and_saveexec_b32 s3, vcc_lo
	s_xor_b32 s3, exec_lo, s3
; %bb.109:
	v_bfe_u32 v8, v80, 16, 1
	s_delay_alu instid0(VALU_DEP_1)
	v_add3_u32 v8, v80, v8, 0x7fff
                                        ; implicit-def: $vgpr73_vgpr74_vgpr75_vgpr76_vgpr77_vgpr78_vgpr79_vgpr80
; %bb.110:
	s_and_not1_saveexec_b32 s3, s3
; %bb.111:
	v_and_b32_e32 v8, 0xffff, v80
	v_or_b32_e32 v9, 0x10000, v80
	s_delay_alu instid0(VALU_DEP_2) | instskip(NEXT) | instid1(VALU_DEP_2)
	v_cmp_eq_u32_e32 vcc_lo, 0, v8
	v_cndmask_b32_e32 v8, v9, v80, vcc_lo
; %bb.112:
	s_or_b32 exec_lo, exec_lo, s3
	s_delay_alu instid0(VALU_DEP_1)
	v_perm_b32 v7, v8, v7, 0x7060302
	v_perm_b32 v6, v6, v5, 0x7060302
	;; [unrolled: 1-line block ×4, first 2 shown]
	v_lshl_or_b32 v9, v83, 4, v90
	s_barrier
	buffer_gl0_inv
	v_cmp_eq_u32_e32 vcc_lo, 1, v87
	ds_store_b128 v9, v[4:7]
	s_waitcnt lgkmcnt(0)
	s_barrier
	buffer_gl0_inv
	ds_load_b128 v[1:4], v90
	ds_load_b128 v[5:8], v90 offset:16
	v_cmp_eq_u32_e64 s4, 2, v87
	v_cmp_eq_u32_e64 s3, 1, v88
	v_cmp_eq_u32_e64 s5, 3, v87
	v_cmp_eq_u32_e64 s7, 2, v86
	v_cmp_eq_u32_e64 s6, 7, v88
	s_waitcnt lgkmcnt(1)
	v_lshrrev_b32_e32 v10, 16, v1
	s_waitcnt lgkmcnt(0)
	v_lshrrev_b32_e32 v14, 16, v5
	v_lshrrev_b32_e32 v15, 16, v6
	;; [unrolled: 1-line block ×4, first 2 shown]
	v_cndmask_b32_e64 v20, v1, v10, s3
	v_cndmask_b32_e32 v19, v5, v14, vcc_lo
	v_cndmask_b32_e64 v21, v5, v14, s3
	v_lshrrev_b32_e32 v16, 16, v7
	v_cmp_eq_u32_e64 s3, 1, v86
	v_lshrrev_b32_e32 v13, 16, v4
	v_cndmask_b32_e64 v19, v19, v6, s4
	v_lshrrev_b32_e32 v17, 16, v8
	s_delay_alu instid0(VALU_DEP_4) | instskip(SKIP_1) | instid1(VALU_DEP_4)
	v_cndmask_b32_e64 v22, v1, v10, s3
	v_cndmask_b32_e64 v23, v5, v14, s3
	;; [unrolled: 1-line block ×3, first 2 shown]
	v_cndmask_b32_e32 v18, v1, v10, vcc_lo
	v_cmp_eq_u32_e32 vcc_lo, 2, v88
	v_cmp_eq_u32_e64 s3, 2, v89
	v_cndmask_b32_e64 v22, v22, v2, s7
	v_cndmask_b32_e32 v20, v20, v2, vcc_lo
	v_cndmask_b32_e32 v21, v21, v6, vcc_lo
	v_cmp_eq_u32_e32 vcc_lo, 4, v87
	v_cndmask_b32_e32 v19, v19, v7, vcc_lo
	v_cndmask_b32_e64 v18, v18, v2, s4
	v_cmp_eq_u32_e64 s4, 3, v88
	s_delay_alu instid0(VALU_DEP_2) | instskip(NEXT) | instid1(VALU_DEP_2)
	v_cndmask_b32_e64 v18, v18, v11, s5
	v_cndmask_b32_e64 v21, v21, v15, s4
	v_cmp_eq_u32_e64 s5, 5, v87
	s_delay_alu instid0(VALU_DEP_3) | instskip(SKIP_1) | instid1(VALU_DEP_3)
	v_cndmask_b32_e32 v18, v18, v3, vcc_lo
	v_cmp_eq_u32_e32 vcc_lo, 4, v88
	v_cndmask_b32_e64 v19, v19, v16, s5
	s_delay_alu instid0(VALU_DEP_3) | instskip(SKIP_4) | instid1(VALU_DEP_3)
	v_cndmask_b32_e64 v18, v18, v12, s5
	v_cndmask_b32_e32 v21, v21, v7, vcc_lo
	v_cndmask_b32_e64 v20, v20, v11, s4
	v_cmp_eq_u32_e64 s4, 5, v88
	v_cmp_eq_u32_e64 s5, 6, v87
	v_cndmask_b32_e32 v20, v20, v3, vcc_lo
	s_delay_alu instid0(VALU_DEP_3) | instskip(SKIP_1) | instid1(VALU_DEP_4)
	v_cndmask_b32_e64 v21, v21, v16, s4
	v_cmp_eq_u32_e32 vcc_lo, 6, v88
	v_cndmask_b32_e64 v18, v18, v4, s5
	v_cndmask_b32_e64 v19, v19, v8, s5
	;; [unrolled: 1-line block ×3, first 2 shown]
	v_cmp_eq_u32_e64 s4, 1, v89
	v_cmp_eq_u32_e64 s5, 7, v87
	s_delay_alu instid0(VALU_DEP_3) | instskip(NEXT) | instid1(VALU_DEP_3)
	v_cndmask_b32_e32 v20, v20, v4, vcc_lo
	v_cndmask_b32_e64 v1, v1, v10, s4
	v_cndmask_b32_e64 v5, v5, v14, s4
	v_cmp_eq_u32_e64 s4, 3, v86
	v_cndmask_b32_e64 v14, v23, v6, s7
	v_cmp_eq_u32_e64 s7, 3, v89
	v_cndmask_b32_e64 v1, v1, v2, s3
	v_cndmask_b32_e64 v2, v5, v6, s3
	;; [unrolled: 1-line block ×3, first 2 shown]
	v_cmp_eq_u32_e64 s3, 4, v86
	v_cndmask_b32_e64 v6, v14, v15, s4
	v_cndmask_b32_e64 v1, v1, v11, s7
	v_cmp_eq_u32_e64 s4, 4, v89
	v_cndmask_b32_e64 v2, v2, v15, s7
	v_cndmask_b32_e64 v5, v10, v3, s3
	;; [unrolled: 3-line block ×3, first 2 shown]
	v_cndmask_b32_e64 v2, v2, v7, s4
	v_cmp_eq_u32_e64 s3, 5, v89
	v_cndmask_b32_e64 v5, v5, v12, s7
	v_cmp_eq_u32_e64 s4, 6, v86
	;; [unrolled: 2-line block ×3, first 2 shown]
	v_cndmask_b32_e64 v1, v1, v12, s3
	v_cndmask_b32_e64 v2, v2, v16, s3
	;; [unrolled: 1-line block ×4, first 2 shown]
	v_cmp_eq_u32_e64 s3, 7, v89
	v_cndmask_b32_e64 v1, v1, v4, s7
	v_cndmask_b32_e64 v2, v2, v8, s7
	v_cmp_eq_u32_e64 s4, 7, v86
	v_cndmask_b32_e32 v4, v21, v8, vcc_lo
	v_cndmask_b32_e64 v18, v18, v13, s5
	v_cndmask_b32_e64 v20, v20, v13, s6
	;; [unrolled: 1-line block ×8, first 2 shown]
	s_mov_b32 s3, exec_lo
	v_perm_b32 v4, v2, v1, 0x5040100
	v_perm_b32 v3, v3, v5, 0x5040100
	;; [unrolled: 1-line block ×4, first 2 shown]
	ds_store_b128 v9, v[1:4]
	s_waitcnt lgkmcnt(0)
	s_barrier
	buffer_gl0_inv
	v_cmpx_gt_u32_e32 32, v0
	s_cbranch_execz .LBB714_2
; %bb.113:
	s_load_b64 s[4:5], s[0:1], 0x68
	v_lshlrev_b32_e32 v0, 10, v0
	v_add_nc_u32_e32 v2, s31, v83
	v_lshlrev_b32_e32 v3, 4, v84
	s_lshl_b32 s0, s34, 7
	s_delay_alu instid0(SALU_CYCLE_1) | instskip(NEXT) | instid1(VALU_DEP_2)
	s_mul_i32 s1, s0, s30
	v_mul_lo_u32 v1, v2, s0
	s_delay_alu instid0(VALU_DEP_2) | instskip(SKIP_2) | instid1(SALU_CYCLE_1)
	v_and_or_b32 v0, 0x3800, v0, v3
	v_add_nc_u32_e32 v2, 2, v2
	s_mul_i32 s6, s1, s8
	s_ashr_i32 s7, s6, 31
	s_delay_alu instid0(VALU_DEP_2)
	v_lshl_or_b32 v7, v83, 6, v0
	s_lshl_b64 s[6:7], s[6:7], 1
	v_mul_lo_u32 v11, v2, s0
	v_ashrrev_i32_e32 v2, 31, v1
	ds_load_b128 v[3:6], v7
	ds_load_b128 v[7:10], v7 offset:128
	s_waitcnt lgkmcnt(0)
	s_add_u32 s1, s4, s6
	s_addc_u32 s3, s5, s7
	s_lshl_b32 s4, s14, 7
	v_ashrrev_i32_e32 v12, 31, v11
	s_ashr_i32 s5, s4, 31
	v_lshlrev_b64 v[13:14], 1, v[1:2]
	s_lshl_b64 s[4:5], s[4:5], 1
	s_delay_alu instid0(SALU_CYCLE_1) | instskip(SKIP_4) | instid1(VALU_DEP_3)
	s_add_u32 s1, s1, s4
	s_addc_u32 s3, s3, s5
	v_add_co_u32 v1, vcc_lo, s1, v81
	v_add_co_ci_u32_e32 v2, vcc_lo, s3, v82, vcc_lo
	v_lshlrev_b64 v[11:12], 1, v[11:12]
	v_add_co_u32 v13, vcc_lo, v1, v13
	s_delay_alu instid0(VALU_DEP_3) | instskip(NEXT) | instid1(VALU_DEP_3)
	v_add_co_ci_u32_e32 v14, vcc_lo, v2, v14, vcc_lo
	v_add_co_u32 v11, vcc_lo, v1, v11
	s_delay_alu instid0(VALU_DEP_4)
	v_add_co_ci_u32_e32 v12, vcc_lo, v2, v12, vcc_lo
	s_clause 0x1
	global_store_b128 v[13:14], v[3:6], off
	global_store_b128 v[11:12], v[7:10], off
	s_and_b32 exec_lo, exec_lo, s2
	s_cbranch_execz .LBB714_2
; %bb.114:
	ds_load_b128 v[3:6], v0 offset:256
	s_add_i32 s1, s31, 4
	s_delay_alu instid0(SALU_CYCLE_1) | instskip(NEXT) | instid1(SALU_CYCLE_1)
	s_mul_i32 s0, s1, s0
	s_ashr_i32 s1, s0, 31
	s_delay_alu instid0(SALU_CYCLE_1) | instskip(NEXT) | instid1(SALU_CYCLE_1)
	s_lshl_b64 s[0:1], s[0:1], 1
	v_add_co_u32 v0, vcc_lo, v1, s0
	v_add_co_ci_u32_e32 v1, vcc_lo, s1, v2, vcc_lo
	s_waitcnt lgkmcnt(0)
	global_store_b128 v[0:1], v[3:6], off
	s_nop 0
	s_sendmsg sendmsg(MSG_DEALLOC_VGPRS)
	s_endpgm
	.section	.rodata,"a",@progbits
	.p2align	6, 0x0
	.amdhsa_kernel _Z39paged_attention_ll4mi_QKV_mfma16_kernelI14__hip_bfloat16S0_LN4vllm18Fp8KVCacheDataTypeE0EhLi32ELi128ELi256ELb0ELi5EL8MFMAType0EEvPKT_PKT0_S9_ifPKiSB_SB_iPKfiiiPfSE_PS4_PT2_iSD_SD_
		.amdhsa_group_segment_fixed_size 17472
		.amdhsa_private_segment_fixed_size 0
		.amdhsa_kernarg_size 400
		.amdhsa_user_sgpr_count 13
		.amdhsa_user_sgpr_dispatch_ptr 0
		.amdhsa_user_sgpr_queue_ptr 0
		.amdhsa_user_sgpr_kernarg_segment_ptr 1
		.amdhsa_user_sgpr_dispatch_id 0
		.amdhsa_user_sgpr_private_segment_size 0
		.amdhsa_wavefront_size32 1
		.amdhsa_uses_dynamic_stack 0
		.amdhsa_enable_private_segment 0
		.amdhsa_system_sgpr_workgroup_id_x 1
		.amdhsa_system_sgpr_workgroup_id_y 1
		.amdhsa_system_sgpr_workgroup_id_z 1
		.amdhsa_system_sgpr_workgroup_info 0
		.amdhsa_system_vgpr_workitem_id 0
		.amdhsa_next_free_vgpr 157
		.amdhsa_next_free_sgpr 37
		.amdhsa_reserve_vcc 1
		.amdhsa_float_round_mode_32 0
		.amdhsa_float_round_mode_16_64 0
		.amdhsa_float_denorm_mode_32 3
		.amdhsa_float_denorm_mode_16_64 3
		.amdhsa_dx10_clamp 1
		.amdhsa_ieee_mode 1
		.amdhsa_fp16_overflow 0
		.amdhsa_workgroup_processor_mode 1
		.amdhsa_memory_ordered 1
		.amdhsa_forward_progress 0
		.amdhsa_shared_vgpr_count 0
		.amdhsa_exception_fp_ieee_invalid_op 0
		.amdhsa_exception_fp_denorm_src 0
		.amdhsa_exception_fp_ieee_div_zero 0
		.amdhsa_exception_fp_ieee_overflow 0
		.amdhsa_exception_fp_ieee_underflow 0
		.amdhsa_exception_fp_ieee_inexact 0
		.amdhsa_exception_int_div_zero 0
	.end_amdhsa_kernel
	.section	.text._Z39paged_attention_ll4mi_QKV_mfma16_kernelI14__hip_bfloat16S0_LN4vllm18Fp8KVCacheDataTypeE0EhLi32ELi128ELi256ELb0ELi5EL8MFMAType0EEvPKT_PKT0_S9_ifPKiSB_SB_iPKfiiiPfSE_PS4_PT2_iSD_SD_,"axG",@progbits,_Z39paged_attention_ll4mi_QKV_mfma16_kernelI14__hip_bfloat16S0_LN4vllm18Fp8KVCacheDataTypeE0EhLi32ELi128ELi256ELb0ELi5EL8MFMAType0EEvPKT_PKT0_S9_ifPKiSB_SB_iPKfiiiPfSE_PS4_PT2_iSD_SD_,comdat
.Lfunc_end714:
	.size	_Z39paged_attention_ll4mi_QKV_mfma16_kernelI14__hip_bfloat16S0_LN4vllm18Fp8KVCacheDataTypeE0EhLi32ELi128ELi256ELb0ELi5EL8MFMAType0EEvPKT_PKT0_S9_ifPKiSB_SB_iPKfiiiPfSE_PS4_PT2_iSD_SD_, .Lfunc_end714-_Z39paged_attention_ll4mi_QKV_mfma16_kernelI14__hip_bfloat16S0_LN4vllm18Fp8KVCacheDataTypeE0EhLi32ELi128ELi256ELb0ELi5EL8MFMAType0EEvPKT_PKT0_S9_ifPKiSB_SB_iPKfiiiPfSE_PS4_PT2_iSD_SD_
                                        ; -- End function
	.section	.AMDGPU.csdata,"",@progbits
; Kernel info:
; codeLenInByte = 9724
; NumSgprs: 39
; NumVgprs: 157
; ScratchSize: 0
; MemoryBound: 0
; FloatMode: 240
; IeeeMode: 1
; LDSByteSize: 17472 bytes/workgroup (compile time only)
; SGPRBlocks: 4
; VGPRBlocks: 19
; NumSGPRsForWavesPerEU: 39
; NumVGPRsForWavesPerEU: 157
; Occupancy: 9
; WaveLimiterHint : 1
; COMPUTE_PGM_RSRC2:SCRATCH_EN: 0
; COMPUTE_PGM_RSRC2:USER_SGPR: 13
; COMPUTE_PGM_RSRC2:TRAP_HANDLER: 0
; COMPUTE_PGM_RSRC2:TGID_X_EN: 1
; COMPUTE_PGM_RSRC2:TGID_Y_EN: 1
; COMPUTE_PGM_RSRC2:TGID_Z_EN: 1
; COMPUTE_PGM_RSRC2:TIDIG_COMP_CNT: 0
	.section	.text._Z39paged_attention_ll4mi_QKV_mfma16_kernelI14__hip_bfloat16S0_LN4vllm18Fp8KVCacheDataTypeE0EhLi32ELi128ELi256ELb0ELi6EL8MFMAType0EEvPKT_PKT0_S9_ifPKiSB_SB_iPKfiiiPfSE_PS4_PT2_iSD_SD_,"axG",@progbits,_Z39paged_attention_ll4mi_QKV_mfma16_kernelI14__hip_bfloat16S0_LN4vllm18Fp8KVCacheDataTypeE0EhLi32ELi128ELi256ELb0ELi6EL8MFMAType0EEvPKT_PKT0_S9_ifPKiSB_SB_iPKfiiiPfSE_PS4_PT2_iSD_SD_,comdat
	.protected	_Z39paged_attention_ll4mi_QKV_mfma16_kernelI14__hip_bfloat16S0_LN4vllm18Fp8KVCacheDataTypeE0EhLi32ELi128ELi256ELb0ELi6EL8MFMAType0EEvPKT_PKT0_S9_ifPKiSB_SB_iPKfiiiPfSE_PS4_PT2_iSD_SD_ ; -- Begin function _Z39paged_attention_ll4mi_QKV_mfma16_kernelI14__hip_bfloat16S0_LN4vllm18Fp8KVCacheDataTypeE0EhLi32ELi128ELi256ELb0ELi6EL8MFMAType0EEvPKT_PKT0_S9_ifPKiSB_SB_iPKfiiiPfSE_PS4_PT2_iSD_SD_
	.globl	_Z39paged_attention_ll4mi_QKV_mfma16_kernelI14__hip_bfloat16S0_LN4vllm18Fp8KVCacheDataTypeE0EhLi32ELi128ELi256ELb0ELi6EL8MFMAType0EEvPKT_PKT0_S9_ifPKiSB_SB_iPKfiiiPfSE_PS4_PT2_iSD_SD_
	.p2align	8
	.type	_Z39paged_attention_ll4mi_QKV_mfma16_kernelI14__hip_bfloat16S0_LN4vllm18Fp8KVCacheDataTypeE0EhLi32ELi128ELi256ELb0ELi6EL8MFMAType0EEvPKT_PKT0_S9_ifPKiSB_SB_iPKfiiiPfSE_PS4_PT2_iSD_SD_,@function
_Z39paged_attention_ll4mi_QKV_mfma16_kernelI14__hip_bfloat16S0_LN4vllm18Fp8KVCacheDataTypeE0EhLi32ELi128ELi256ELb0ELi6EL8MFMAType0EEvPKT_PKT0_S9_ifPKiSB_SB_iPKfiiiPfSE_PS4_PT2_iSD_SD_: ; @_Z39paged_attention_ll4mi_QKV_mfma16_kernelI14__hip_bfloat16S0_LN4vllm18Fp8KVCacheDataTypeE0EhLi32ELi128ELi256ELb0ELi6EL8MFMAType0EEvPKT_PKT0_S9_ifPKiSB_SB_iPKfiiiPfSE_PS4_PT2_iSD_SD_
; %bb.0:
	s_load_b64 s[2:3], s[0:1], 0x30
	s_mov_b32 s30, s13
	s_waitcnt lgkmcnt(0)
	s_cmp_lg_u64 s[2:3], 0
	s_cselect_b32 s6, -1, 0
	s_ashr_i32 s31, s13, 31
	s_cmp_eq_u64 s[2:3], 0
	s_cbranch_scc1 .LBB715_3
; %bb.1:
	s_lshl_b64 s[4:5], s[30:31], 2
	s_delay_alu instid0(SALU_CYCLE_1) | instskip(SKIP_4) | instid1(SALU_CYCLE_1)
	s_add_u32 s4, s2, s4
	s_addc_u32 s5, s3, s5
	s_load_b64 s[4:5], s[4:5], 0x0
	s_waitcnt lgkmcnt(0)
	s_sub_i32 s4, s5, s4
	s_cmp_eq_u32 s4, 1
	s_cselect_b32 s4, -1, 0
	s_delay_alu instid0(SALU_CYCLE_1)
	s_and_not1_b32 vcc_lo, exec_lo, s4
	s_cbranch_vccz .LBB715_4
.LBB715_2:
	s_endpgm
.LBB715_3:
.LBB715_4:
	s_load_b64 s[8:9], s[0:1], 0x28
	s_lshl_b64 s[4:5], s[30:31], 2
	s_waitcnt lgkmcnt(0)
	s_add_u32 s8, s8, s4
	s_addc_u32 s9, s9, s5
	s_lshl_b32 s12, s14, 8
	s_load_b32 s17, s[8:9], 0x0
	s_waitcnt lgkmcnt(0)
	s_cmp_ge_i32 s12, s17
	s_cbranch_scc1 .LBB715_2
; %bb.5:
	s_and_not1_b32 vcc_lo, exec_lo, s6
	s_cbranch_vccnz .LBB715_7
; %bb.6:
	s_add_u32 s2, s2, s4
	s_addc_u32 s3, s3, s5
	s_load_b32 s13, s[2:3], 0x0
	s_branch .LBB715_8
.LBB715_7:
	s_mov_b32 s13, s30
.LBB715_8:
	s_clause 0x2
	s_load_b128 s[8:11], s[0:1], 0x8
	s_load_b64 s[2:3], s[0:1], 0x20
	s_load_b128 s[4:7], s[0:1], 0x48
	v_and_b32_e32 v73, 15, v0
	s_waitcnt lgkmcnt(0)
	s_mov_b32 s7, exec_lo
	s_delay_alu instid0(VALU_DEP_1)
	v_lshlrev_b32_e32 v1, 3, v73
	v_cmpx_lt_u32_e32 0x5f, v0
	s_xor_b32 s7, exec_lo, s7
; %bb.9:
	v_mov_b32_e32 v2, 0
; %bb.10:
	s_or_saveexec_b32 s7, s7
	v_lshrrev_b32_e32 v74, 5, v0
	v_and_b32_e32 v75, 31, v0
	v_and_b32_e32 v84, 1, v0
	v_bfe_u32 v83, v0, 4, 1
	s_mul_i32 s29, s15, 6
	s_xor_b32 exec_lo, exec_lo, s7
	s_cbranch_execz .LBB715_12
; %bb.11:
	s_load_b64 s[18:19], s[0:1], 0x0
	v_lshl_or_b32 v7, v74, 1, v83
	s_mul_hi_i32 s21, s13, s4
	s_mul_i32 s20, s13, s4
	v_lshlrev_b32_e32 v4, 1, v1
	s_lshl_b64 s[20:21], s[20:21], 1
	v_add_lshl_u32 v2, v7, s29, 7
	v_lshlrev_b32_e32 v7, 6, v7
	v_lshlrev_b32_e32 v8, 10, v84
	s_delay_alu instid0(VALU_DEP_3) | instskip(NEXT) | instid1(VALU_DEP_1)
	v_ashrrev_i32_e32 v3, 31, v2
	v_lshlrev_b64 v[2:3], 1, v[2:3]
	s_waitcnt lgkmcnt(0)
	s_add_u32 s4, s18, s20
	s_addc_u32 s13, s19, s21
	s_delay_alu instid0(VALU_DEP_1) | instskip(NEXT) | instid1(VALU_DEP_2)
	v_add_co_u32 v2, vcc_lo, s4, v2
	v_add_co_ci_u32_e32 v3, vcc_lo, s13, v3, vcc_lo
	s_delay_alu instid0(VALU_DEP_2) | instskip(NEXT) | instid1(VALU_DEP_2)
	v_add_co_u32 v2, vcc_lo, v2, v4
	v_add_co_ci_u32_e32 v3, vcc_lo, 0, v3, vcc_lo
	global_load_b128 v[3:6], v[2:3], off
	v_lshlrev_b32_e32 v2, 10, v73
	s_delay_alu instid0(VALU_DEP_1) | instskip(NEXT) | instid1(VALU_DEP_1)
	v_and_b32_e32 v2, 0x3800, v2
	v_or3_b32 v7, v2, v8, v7
	v_mov_b32_e32 v2, 0
	s_waitcnt vmcnt(0)
	ds_store_b128 v7, v[3:6]
.LBB715_12:
	s_or_b32 exec_lo, exec_lo, s7
	v_and_b32_e32 v3, 0xef, v0
	v_mul_lo_u16 v80, v73, 43
	s_add_i32 s4, s17, 31
	s_clause 0x1
	s_load_b32 s7, s[0:1], 0x38
	s_load_b32 s18, s[0:1], 0x1c
	v_add_nc_u32_e32 v3, s12, v3
	v_lshrrev_b16 v80, 8, v80
	s_ashr_i32 s13, s4, 31
	s_waitcnt lgkmcnt(0)
	s_lshr_b32 s13, s13, 27
	v_ashrrev_i32_e32 v4, 31, v3
	v_mul_lo_u16 v80, v80, 6
	s_add_i32 s4, s4, s13
	v_cmp_gt_i32_e32 vcc_lo, s17, v3
	s_ashr_i32 s4, s4, 5
	v_lshrrev_b32_e32 v5, 27, v4
	v_or_b32_e32 v4, 16, v3
	v_sub_nc_u16 v80, v73, v80
	s_add_i32 s4, s4, -1
	s_barrier
	v_add_nc_u32_e32 v6, v3, v5
	v_add_nc_u32_e32 v5, v4, v5
	v_and_b32_e32 v80, 0xff, v80
	s_mul_i32 s20, s30, s7
	buffer_gl0_inv
	v_ashrrev_i32_e32 v6, 5, v6
	v_ashrrev_i32_e32 v5, 5, v5
	s_ashr_i32 s21, s20, 31
	v_lshlrev_b64 v[81:82], 1, v[1:2]
	s_lshl_b64 s[20:21], s[20:21], 2
	v_dual_cndmask_b32 v3, s4, v6 :: v_dual_lshlrev_b32 v80, 6, v80
	v_cmp_gt_i32_e32 vcc_lo, s17, v4
	s_add_u32 s13, s2, s20
	s_addc_u32 s16, s3, s21
	s_delay_alu instid0(VALU_DEP_2) | instskip(SKIP_3) | instid1(SALU_CYCLE_1)
	v_ashrrev_i32_e32 v4, 31, v3
	s_mul_i32 s2, s15, s6
	v_cndmask_b32_e32 v5, s4, v5, vcc_lo
	s_ashr_i32 s3, s2, 31
	s_lshl_b64 s[2:3], s[2:3], 1
	v_lshlrev_b64 v[3:4], 2, v[3:4]
	s_delay_alu instid0(VALU_DEP_2) | instskip(SKIP_3) | instid1(VALU_DEP_1)
	v_ashrrev_i32_e32 v6, 31, v5
	s_add_u32 s15, s8, s2
	s_addc_u32 s19, s9, s3
	s_lshl_b32 s6, s14, 3
	v_lshlrev_b64 v[5:6], 2, v[5:6]
	v_add_co_u32 v3, vcc_lo, s13, v3
	v_add_co_ci_u32_e32 v4, vcc_lo, s16, v4, vcc_lo
	s_ashr_i32 s7, s6, 31
	s_delay_alu instid0(VALU_DEP_3) | instskip(NEXT) | instid1(VALU_DEP_4)
	v_add_co_u32 v5, vcc_lo, s13, v5
	v_add_co_ci_u32_e32 v6, vcc_lo, s16, v6, vcc_lo
	s_clause 0x1
	global_load_b32 v7, v[3:4], off
	global_load_b32 v8, v[5:6], off
	s_lshl_b64 s[6:7], s[6:7], 2
	s_delay_alu instid0(SALU_CYCLE_1) | instskip(SKIP_2) | instid1(SALU_CYCLE_1)
	s_add_u32 s6, s13, s6
	s_addc_u32 s7, s16, s7
	s_or_b32 s8, s12, 32
	s_ashr_i32 s9, s8, 5
	s_cmp_lt_i32 s8, s17
	s_cselect_b32 s8, s9, s4
	s_delay_alu instid0(SALU_CYCLE_1) | instskip(NEXT) | instid1(SALU_CYCLE_1)
	s_ashr_i32 s9, s8, 31
	s_lshl_b64 s[8:9], s[8:9], 2
	s_delay_alu instid0(SALU_CYCLE_1) | instskip(SKIP_2) | instid1(SALU_CYCLE_1)
	s_add_u32 s8, s13, s8
	s_addc_u32 s9, s16, s9
	s_or_b32 s20, s12, 64
	s_ashr_i32 s21, s20, 5
	s_cmp_lt_i32 s20, s17
	s_cselect_b32 s20, s21, s4
	s_delay_alu instid0(SALU_CYCLE_1) | instskip(NEXT) | instid1(SALU_CYCLE_1)
	s_ashr_i32 s21, s20, 31
	;; [unrolled: 10-line block ×5, first 2 shown]
	s_lshl_b64 s[26:27], s[26:27], 2
	s_delay_alu instid0(SALU_CYCLE_1)
	s_add_u32 s26, s13, s26
	s_addc_u32 s27, s16, s27
	s_clause 0x5
	s_load_b32 s28, s[6:7], 0x0
	s_load_b32 s31, s[8:9], 0x0
	;; [unrolled: 1-line block ×6, first 2 shown]
	s_mov_b32 s20, 0
	s_or_b32 s6, s12, 0xc0
	s_mov_b32 s27, s20
	s_mov_b32 s21, s20
	s_mov_b32 s22, s20
	s_mov_b32 s23, s20
	s_mov_b32 s24, s20
	s_mov_b32 s25, s20
	s_mov_b32 s26, s20
	s_delay_alu instid0(SALU_CYCLE_1)
	v_dual_mov_b32 v108, s27 :: v_dual_mov_b32 v107, s26
	v_dual_mov_b32 v106, s25 :: v_dual_mov_b32 v105, s24
	;; [unrolled: 1-line block ×4, first 2 shown]
	s_ashr_i32 s7, s6, 5
	s_cmp_lt_i32 s6, s17
	s_waitcnt lgkmcnt(0)
	s_mul_hi_i32 s27, s34, s5
	s_cselect_b32 s6, s7, s4
	s_mul_i32 s26, s34, s5
	s_ashr_i32 s7, s6, 31
	s_mul_hi_i32 s9, s28, s5
	s_lshl_b64 s[6:7], s[6:7], 2
	s_mul_i32 s8, s28, s5
	s_add_u32 s6, s13, s6
	s_addc_u32 s7, s16, s7
	s_mul_hi_i32 s21, s31, s5
	s_mul_i32 s20, s31, s5
	s_mul_hi_i32 s25, s33, s5
	s_mul_i32 s24, s33, s5
	;; [unrolled: 2-line block ×3, first 2 shown]
	s_waitcnt vmcnt(1)
	v_mad_i64_i32 v[3:4], null, v7, s5, 0
	s_waitcnt vmcnt(0)
	v_mad_i64_i32 v[5:6], null, v8, s5, 0
	s_delay_alu instid0(VALU_DEP_2) | instskip(NEXT) | instid1(VALU_DEP_2)
	v_lshlrev_b64 v[3:4], 1, v[3:4]
	v_lshlrev_b64 v[1:2], 1, v[5:6]
	s_delay_alu instid0(VALU_DEP_2) | instskip(NEXT) | instid1(VALU_DEP_3)
	v_add_co_u32 v3, vcc_lo, s15, v3
	v_add_co_ci_u32_e32 v4, vcc_lo, s19, v4, vcc_lo
	s_delay_alu instid0(VALU_DEP_3) | instskip(NEXT) | instid1(VALU_DEP_4)
	v_add_co_u32 v1, vcc_lo, s15, v1
	v_add_co_ci_u32_e32 v2, vcc_lo, s19, v2, vcc_lo
	s_delay_alu instid0(VALU_DEP_4) | instskip(NEXT) | instid1(VALU_DEP_4)
	v_add_co_u32 v65, vcc_lo, v3, v81
	v_add_co_ci_u32_e32 v66, vcc_lo, v4, v82, vcc_lo
	s_delay_alu instid0(VALU_DEP_4) | instskip(NEXT) | instid1(VALU_DEP_4)
	v_add_co_u32 v76, vcc_lo, v1, v81
	v_add_co_ci_u32_e32 v77, vcc_lo, v2, v82, vcc_lo
	s_clause 0xf
	global_load_b128 v[1:4], v[65:66], off
	global_load_b128 v[5:8], v[65:66], off offset:512
	global_load_b128 v[9:12], v[76:77], off offset:256
	;; [unrolled: 1-line block ×15, first 2 shown]
	v_add_co_u32 v78, vcc_lo, 0x1000, v65
	v_add_co_ci_u32_e32 v79, vcc_lo, 0, v66, vcc_lo
	v_add_co_u32 v76, vcc_lo, 0x1000, v76
	s_clause 0x1
	global_load_b128 v[65:68], v[78:79], off
	global_load_b128 v[69:72], v[78:79], off offset:512
	v_add_co_ci_u32_e32 v77, vcc_lo, 0, v77, vcc_lo
	ds_load_b128 v[85:88], v80
	ds_load_b128 v[89:92], v80 offset:1024
	s_clause 0x1
	global_load_b128 v[93:96], v[76:77], off offset:256
	global_load_b128 v[97:100], v[76:77], off offset:768
	ds_load_b128 v[109:112], v80 offset:2048
	ds_load_b128 v[113:116], v80 offset:3072
	s_or_b32 s15, s12, 0xe0
	s_delay_alu instid0(SALU_CYCLE_1) | instskip(SKIP_2) | instid1(SALU_CYCLE_1)
	s_ashr_i32 s19, s15, 5
	s_cmp_lt_i32 s15, s17
	s_cselect_b32 s22, s19, s4
	s_ashr_i32 s23, s22, 31
	s_delay_alu instid0(SALU_CYCLE_1) | instskip(NEXT) | instid1(SALU_CYCLE_1)
	s_lshl_b64 s[22:23], s[22:23], 2
	s_add_u32 s22, s13, s22
	s_addc_u32 s23, s16, s23
	s_add_i32 s15, s12, 0x100
	s_delay_alu instid0(SALU_CYCLE_1)
	s_ashr_i32 s19, s15, 5
	s_cmp_lt_i32 s15, s17
	s_cselect_b32 s34, s19, s4
	s_waitcnt vmcnt(18) lgkmcnt(2)
	v_wmma_f32_16x16x16_bf16 v[117:124], v[1:8], v[85:92], v[101:108]
	s_waitcnt vmcnt(16)
	v_wmma_f32_16x16x16_bf16 v[101:108], v[9:16], v[85:92], v[101:108]
	s_clause 0x3
	global_load_b128 v[1:4], v[78:79], off offset:1024
	global_load_b128 v[5:8], v[78:79], off offset:1536
	;; [unrolled: 1-line block ×4, first 2 shown]
	s_waitcnt vmcnt(18) lgkmcnt(0)
	v_wmma_f32_16x16x16_bf16 v[117:124], v[17:24], v[109:116], v[117:124]
	s_clause 0x1
	global_load_b128 v[17:20], v[78:79], off offset:2048
	global_load_b128 v[21:24], v[78:79], off offset:2560
	s_waitcnt vmcnt(18)
	v_wmma_f32_16x16x16_bf16 v[101:108], v[25:32], v[109:116], v[101:108]
	ds_load_b128 v[25:28], v80 offset:4096
	ds_load_b128 v[29:32], v80 offset:5120
	s_clause 0x5
	global_load_b128 v[109:112], v[76:77], off offset:2304
	global_load_b128 v[113:116], v[76:77], off offset:2816
	;; [unrolled: 1-line block ×6, first 2 shown]
	s_waitcnt vmcnt(22) lgkmcnt(0)
	v_wmma_f32_16x16x16_bf16 v[117:124], v[33:40], v[25:32], v[117:124]
	s_waitcnt vmcnt(20)
	v_wmma_f32_16x16x16_bf16 v[101:108], v[41:48], v[25:32], v[101:108]
	ds_load_b128 v[25:28], v80 offset:6144
	ds_load_b128 v[29:32], v80 offset:7168
	;; [unrolled: 1-line block ×4, first 2 shown]
	s_waitcnt vmcnt(18) lgkmcnt(2)
	v_wmma_f32_16x16x16_bf16 v[117:124], v[49:56], v[25:32], v[117:124]
	s_waitcnt vmcnt(16)
	v_wmma_f32_16x16x16_bf16 v[101:108], v[57:64], v[25:32], v[101:108]
	ds_load_b128 v[25:28], v80 offset:10240
	ds_load_b128 v[29:32], v80 offset:11264
	;; [unrolled: 1-line block ×6, first 2 shown]
	s_waitcnt vmcnt(14) lgkmcnt(6)
	v_wmma_f32_16x16x16_bf16 v[117:124], v[65:72], v[33:40], v[117:124]
	s_load_b32 s15, s[6:7], 0x0
	s_mul_hi_i32 s7, s35, s5
	s_mul_i32 s6, s35, s5
	s_ashr_i32 s35, s34, 31
	s_waitcnt vmcnt(12)
	v_wmma_f32_16x16x16_bf16 v[101:108], v[93:100], v[33:40], v[101:108]
	s_lshl_b64 s[34:35], s[34:35], 2
	s_delay_alu instid0(SALU_CYCLE_1)
	s_add_u32 s34, s13, s34
	s_addc_u32 s35, s16, s35
	s_add_u32 s4, s10, s2
	s_addc_u32 s19, s11, s3
	s_lshl_b64 s[2:3], s[8:9], 1
	s_clause 0x1
	s_load_b32 s13, s[22:23], 0x0
	s_load_b32 s16, s[34:35], 0x0
	s_lshl_b64 s[8:9], s[20:21], 1
	s_lshl_b64 s[10:11], s[24:25], 1
	;; [unrolled: 1-line block ×5, first 2 shown]
	s_waitcnt lgkmcnt(0)
	s_mul_hi_i32 s25, s15, s5
	s_mul_i32 s24, s15, s5
	s_waitcnt vmcnt(10)
	v_wmma_f32_16x16x16_bf16 v[117:124], v[1:8], v[25:32], v[117:124]
	s_waitcnt vmcnt(8)
	v_wmma_f32_16x16x16_bf16 v[101:108], v[9:16], v[25:32], v[101:108]
	s_waitcnt vmcnt(6)
	s_delay_alu instid0(VALU_DEP_2) | instskip(SKIP_1) | instid1(VALU_DEP_2)
	v_wmma_f32_16x16x16_bf16 v[117:124], v[17:24], v[141:148], v[117:124]
	s_waitcnt vmcnt(4)
	v_wmma_f32_16x16x16_bf16 v[101:108], v[109:116], v[141:148], v[101:108]
	s_waitcnt vmcnt(2)
	s_delay_alu instid0(VALU_DEP_2) | instskip(SKIP_3) | instid1(VALU_DEP_3)
	v_wmma_f32_16x16x16_bf16 v[117:124], v[125:132], v[149:156], v[117:124]
	v_lshlrev_b32_e32 v85, 6, v73
	s_waitcnt vmcnt(0)
	v_wmma_f32_16x16x16_bf16 v[101:108], v[133:140], v[149:156], v[101:108]
	v_mul_f32_e32 v100, s18, v124
	s_delay_alu instid0(VALU_DEP_3) | instskip(SKIP_2) | instid1(VALU_DEP_3)
	v_lshl_or_b32 v41, v74, 10, v85
	v_mul_f32_e32 v97, s18, v117
	v_mul_f32_e32 v99, s18, v118
	v_add_co_u32 v76, s4, s4, v41
	s_delay_alu instid0(VALU_DEP_1) | instskip(NEXT) | instid1(VALU_DEP_2)
	v_add_co_ci_u32_e64 v77, null, s19, 0, s4
	v_add_co_u32 v41, vcc_lo, v76, s2
	s_delay_alu instid0(VALU_DEP_2)
	v_add_co_ci_u32_e32 v42, vcc_lo, s3, v77, vcc_lo
	v_add_co_u32 v33, vcc_lo, v76, s8
	v_add_co_ci_u32_e32 v34, vcc_lo, s9, v77, vcc_lo
	v_add_co_u32 v35, vcc_lo, v76, s10
	v_add_co_ci_u32_e32 v36, vcc_lo, s11, v77, vcc_lo
	v_add_co_u32 v37, vcc_lo, v76, s20
	v_add_co_ci_u32_e32 v38, vcc_lo, s21, v77, vcc_lo
	v_add_co_u32 v39, vcc_lo, v76, s6
	v_add_co_ci_u32_e32 v40, vcc_lo, s7, v77, vcc_lo
	v_add_co_u32 v5, vcc_lo, v76, s22
	s_lshl_b64 s[2:3], s[24:25], 1
	v_add_co_ci_u32_e32 v6, vcc_lo, s23, v77, vcc_lo
	s_mul_hi_i32 s7, s13, s5
	s_mul_i32 s6, s13, s5
	v_add_co_u32 v17, vcc_lo, v76, s2
	v_add_co_ci_u32_e32 v18, vcc_lo, s3, v77, vcc_lo
	s_lshl_b64 s[2:3], s[6:7], 1
	s_mul_hi_i32 s7, s16, s5
	s_mul_i32 s6, s16, s5
	v_add_co_u32 v19, vcc_lo, v76, s2
	v_add_co_ci_u32_e32 v20, vcc_lo, s3, v77, vcc_lo
	s_lshl_b64 s[2:3], s[6:7], 1
	s_clause 0x1
	global_load_b128 v[65:68], v[41:42], off
	global_load_b128 v[69:72], v[41:42], off offset:16
	v_add_co_u32 v21, vcc_lo, v76, s2
	v_add_co_ci_u32_e32 v22, vcc_lo, s3, v77, vcc_lo
	s_clause 0xf
	global_load_b128 v[57:60], v[33:34], off
	global_load_b128 v[61:64], v[33:34], off offset:16
	global_load_b128 v[49:52], v[35:36], off
	global_load_b128 v[53:56], v[35:36], off offset:16
	;; [unrolled: 2-line block ×8, first 2 shown]
	v_mbcnt_lo_u32_b32 v77, -1, 0
	v_and_b32_e32 v76, 0xe0, v0
	s_waitcnt vmcnt(0)
	s_barrier
	buffer_gl0_inv
	v_xor_b32_e32 v78, 16, v77
	s_delay_alu instid0(VALU_DEP_1) | instskip(SKIP_1) | instid1(VALU_DEP_1)
	v_cmp_gt_i32_e32 vcc_lo, 32, v78
	v_dual_cndmask_b32 v77, v77, v78 :: v_dual_add_nc_u32 v76, s12, v76
	v_or_b32_e32 v76, v76, v83
	s_delay_alu instid0(VALU_DEP_1)
	v_or_b32_e32 v78, 2, v76
	v_or_b32_e32 v79, 4, v76
	;; [unrolled: 1-line block ×3, first 2 shown]
	v_cmp_gt_i32_e32 vcc_lo, s17, v76
	v_or_b32_e32 v86, 8, v76
	v_cmp_gt_i32_e64 s2, s17, v78
	v_or_b32_e32 v87, 10, v76
	v_or_b32_e32 v88, 12, v76
	;; [unrolled: 1-line block ×11, first 2 shown]
	v_cndmask_b32_e64 v78, 0xff7fffff, v99, s2
	v_mul_f32_e32 v99, s18, v120
	v_cmp_gt_i32_e64 s3, s17, v80
	v_mul_f32_e32 v80, s18, v119
	v_cndmask_b32_e32 v76, 0xff7fffff, v97, vcc_lo
	v_cmp_gt_i32_e64 s4, s17, v79
	v_mul_f32_e32 v79, s18, v122
	v_cmp_gt_i32_e64 s5, s17, v86
	v_cmp_gt_i32_e64 s6, s17, v87
	v_max3_f32 v76, v76, 0xff7fffff, v78
	v_mul_f32_e32 v78, s18, v121
	v_cndmask_b32_e64 v80, 0xff7fffff, v80, s4
	v_mul_f32_e32 v86, s18, v107
	v_cndmask_b32_e64 v99, 0xff7fffff, v99, s3
	;; [unrolled: 2-line block ×3, first 2 shown]
	v_cndmask_b32_e64 v79, 0xff7fffff, v79, s6
	v_cmp_gt_i32_e64 s7, s17, v89
	v_max3_f32 v76, v76, v80, v99
	v_mul_f32_e32 v80, s18, v108
	v_cmp_gt_i32_e64 s8, s17, v88
	v_dual_mul_f32 v99, s18, v105 :: v_dual_mul_f32 v88, s18, v102
	s_delay_alu instid0(VALU_DEP_4) | instskip(SKIP_1) | instid1(VALU_DEP_4)
	v_max3_f32 v76, v76, v78, v79
	v_mul_f32_e32 v89, s18, v101
	v_cndmask_b32_e64 v97, 0xff7fffff, v97, s8
	v_cndmask_b32_e64 v100, 0xff7fffff, v100, s7
	v_cmp_gt_i32_e64 s9, s17, v90
	v_cmp_gt_i32_e64 s10, s17, v91
	v_dual_mul_f32 v78, s18, v104 :: v_dual_mul_f32 v79, s18, v103
	s_delay_alu instid0(VALU_DEP_4) | instskip(NEXT) | instid1(VALU_DEP_4)
	v_max3_f32 v76, v76, v97, v100
	v_cndmask_b32_e64 v89, 0xff7fffff, v89, s9
	s_delay_alu instid0(VALU_DEP_4)
	v_cndmask_b32_e64 v88, 0xff7fffff, v88, s10
	v_cmp_gt_i32_e64 s11, s17, v92
	v_cmp_gt_i32_e64 s12, s17, v93
	v_mul_f32_e32 v87, s18, v106
	v_cmp_gt_i32_e64 s13, s17, v94
	v_max3_f32 v76, v76, v89, v88
	v_cndmask_b32_e64 v79, 0xff7fffff, v79, s11
	v_cndmask_b32_e64 v78, 0xff7fffff, v78, s12
	v_cmp_gt_i32_e64 s15, s17, v95
	v_cndmask_b32_e64 v88, 0xff7fffff, v99, s13
	v_cmp_gt_i32_e64 s16, s17, v96
	v_cmp_gt_i32_e64 s17, s17, v98
	v_max3_f32 v76, v76, v79, v78
	v_cndmask_b32_e64 v87, 0xff7fffff, v87, s15
	v_lshlrev_b32_e32 v99, 2, v77
	v_cndmask_b32_e64 v78, 0xff7fffff, v86, s16
	v_cndmask_b32_e64 v79, 0xff7fffff, v80, s17
	s_delay_alu instid0(VALU_DEP_4) | instskip(NEXT) | instid1(VALU_DEP_1)
	v_max3_f32 v76, v76, v88, v87
	v_max3_f32 v76, v76, v78, v79
	ds_bpermute_b32 v77, v99, v76
	s_waitcnt lgkmcnt(0)
	v_max_f32_e32 v77, v77, v77
	s_delay_alu instid0(VALU_DEP_1) | instskip(NEXT) | instid1(VALU_DEP_1)
	v_max_f32_e32 v76, v76, v77
	v_fma_f32 v80, s18, v120, -v76
	v_fma_f32 v77, s18, v117, -v76
	;; [unrolled: 1-line block ×5, first 2 shown]
	v_mul_f32_e32 v80, 0x3fb8aa3b, v80
	v_fma_f32 v87, s18, v123, -v76
	v_mul_f32_e32 v78, 0x3fb8aa3b, v78
	v_fma_f32 v88, s18, v105, -v76
	v_mul_f32_e32 v86, 0x3fb8aa3b, v86
	v_exp_f32_e32 v80, v80
	v_fma_f32 v90, s18, v107, -v76
	v_exp_f32_e32 v78, v78
	v_fma_f32 v100, s18, v108, -v76
	v_exp_f32_e32 v86, v86
	v_mul_f32_e32 v88, 0x3fb8aa3b, v88
	s_delay_alu instid0(VALU_DEP_2) | instskip(NEXT) | instid1(TRANS32_DEP_3)
	v_mul_f32_e32 v100, 0x3fb8aa3b, v100
	v_cndmask_b32_e64 v95, 0, v80, s3
	v_mul_f32_e32 v77, 0x3fb8aa3b, v77
	s_delay_alu instid0(TRANS32_DEP_2) | instskip(SKIP_1) | instid1(TRANS32_DEP_1)
	v_cndmask_b32_e64 v91, 0, v78, s2
	v_fma_f32 v80, s18, v101, -v76
	v_cndmask_b32_e64 v96, 0, v86, s5
	v_fma_f32 v86, s18, v102, -v76
	v_exp_f32_e32 v77, v77
	s_delay_alu instid0(VALU_DEP_3) | instskip(SKIP_1) | instid1(VALU_DEP_2)
	v_dual_mul_f32 v79, 0x3fb8aa3b, v79 :: v_dual_mul_f32 v80, 0x3fb8aa3b, v80
	v_exp_f32_e32 v88, v88
	v_mul_f32_e32 v86, 0x3fb8aa3b, v86
	s_mov_b32 s2, exec_lo
	v_exp_f32_e32 v100, v100
	v_exp_f32_e32 v80, v80
	s_delay_alu instid0(VALU_DEP_1) | instskip(SKIP_3) | instid1(VALU_DEP_1)
	v_exp_f32_e32 v86, v86
	v_cndmask_b32_e32 v92, 0, v77, vcc_lo
	v_exp_f32_e32 v79, v79
	v_fma_f32 v77, s18, v122, -v76
	v_dual_add_f32 v78, 0, v92 :: v_dual_mul_f32 v77, 0x3fb8aa3b, v77
	s_delay_alu instid0(VALU_DEP_1)
	v_add_f32_e32 v78, v78, v91
	s_waitcnt_depctr 0xfff
	v_cndmask_b32_e64 v93, 0, v79, s4
	v_fma_f32 v79, s18, v124, -v76
	v_mul_f32_e32 v87, 0x3fb8aa3b, v87
	v_exp_f32_e32 v77, v77
	s_delay_alu instid0(VALU_DEP_2) | instskip(NEXT) | instid1(VALU_DEP_2)
	v_dual_add_f32 v78, v78, v93 :: v_dual_mul_f32 v79, 0x3fb8aa3b, v79
	v_exp_f32_e32 v87, v87
	s_delay_alu instid0(VALU_DEP_1) | instskip(NEXT) | instid1(VALU_DEP_2)
	v_add_f32_e32 v78, v78, v95
	v_exp_f32_e32 v79, v79
	s_delay_alu instid0(TRANS32_DEP_3) | instskip(NEXT) | instid1(VALU_DEP_2)
	v_cndmask_b32_e64 v97, 0, v77, s6
	v_add_f32_e32 v77, v78, v96
	v_fma_f32 v78, s18, v103, -v76
	s_waitcnt_depctr 0xfff
	v_cndmask_b32_e64 v94, 0, v87, s8
	v_fma_f32 v87, s18, v104, -v76
	v_dual_add_f32 v77, v77, v97 :: v_dual_mul_f32 v78, 0x3fb8aa3b, v78
	v_cndmask_b32_e64 v98, 0, v79, s7
	s_delay_alu instid0(VALU_DEP_2) | instskip(SKIP_4) | instid1(VALU_DEP_2)
	v_add_f32_e32 v79, v77, v94
	v_cndmask_b32_e64 v77, 0, v80, s9
	v_fma_f32 v80, s18, v106, -v76
	v_exp_f32_e32 v89, v78
	v_cndmask_b32_e64 v78, 0, v86, s10
	v_dual_add_f32 v79, v79, v98 :: v_dual_mul_f32 v80, 0x3fb8aa3b, v80
	s_delay_alu instid0(VALU_DEP_1) | instskip(NEXT) | instid1(VALU_DEP_1)
	v_dual_mul_f32 v87, 0x3fb8aa3b, v87 :: v_dual_add_f32 v86, v79, v77
	v_exp_f32_e32 v87, v87
	s_waitcnt_depctr 0xfff
	v_cndmask_b32_e64 v79, 0, v89, s11
	v_add_f32_e32 v86, v86, v78
	v_mul_f32_e32 v89, 0x3fb8aa3b, v90
	v_exp_f32_e32 v90, v80
	v_cndmask_b32_e64 v80, 0, v87, s12
	s_delay_alu instid0(VALU_DEP_3) | instskip(SKIP_1) | instid1(VALU_DEP_2)
	v_add_f32_e32 v87, v86, v79
	v_cndmask_b32_e64 v86, 0, v88, s13
	v_add_f32_e32 v88, v87, v80
	v_exp_f32_e32 v89, v89
	s_waitcnt_depctr 0xfff
	v_cndmask_b32_e64 v87, 0, v90, s15
	v_add_f32_e32 v90, v88, v86
	v_cndmask_b32_e64 v88, 0, v89, s16
	s_delay_alu instid0(VALU_DEP_2) | instskip(NEXT) | instid1(VALU_DEP_1)
	v_add_f32_e32 v89, v90, v87
	v_add_f32_e32 v90, v89, v88
	v_cndmask_b32_e64 v89, 0, v100, s17
	s_delay_alu instid0(VALU_DEP_1)
	v_add_f32_e32 v90, v90, v89
	ds_bpermute_b32 v99, v99, v90
	v_cmpx_gt_u32_e32 16, v75
	s_cbranch_execz .LBB715_14
; %bb.13:
	v_mul_u32_u24_e32 v75, 0x44, v74
	s_waitcnt lgkmcnt(0)
	v_add_f32_e32 v90, v90, v99
	s_delay_alu instid0(VALU_DEP_2) | instskip(NEXT) | instid1(VALU_DEP_1)
	v_lshl_add_u32 v75, v73, 2, v75
	v_add_nc_u32_e32 v75, 0x4000, v75
	ds_store_2addr_b32 v75, v76, v90 offset1:136
.LBB715_14:
	s_or_b32 exec_lo, exec_lo, s2
	v_lshlrev_b32_e32 v75, 2, v73
	s_waitcnt lgkmcnt(0)
	s_barrier
	buffer_gl0_inv
	v_cmp_eq_u32_e64 s2, 1, v74
	v_add_nc_u32_e32 v90, 0x4000, v75
	ds_load_2addr_b32 v[99:100], v90 offset1:17
	ds_load_2addr_b32 v[101:102], v90 offset0:34 offset1:51
	ds_load_2addr_b32 v[103:104], v90 offset0:68 offset1:85
	;; [unrolled: 1-line block ×4, first 2 shown]
	s_waitcnt lgkmcnt(4)
	v_max3_f32 v75, v99, 0xff7fffff, v100
	s_waitcnt lgkmcnt(3)
	s_delay_alu instid0(VALU_DEP_1) | instskip(SKIP_1) | instid1(VALU_DEP_1)
	v_max3_f32 v75, v75, v101, v102
	s_waitcnt lgkmcnt(2)
	v_max3_f32 v75, v75, v103, v104
	s_waitcnt lgkmcnt(1)
	s_delay_alu instid0(VALU_DEP_1) | instskip(NEXT) | instid1(VALU_DEP_1)
	v_max3_f32 v75, v75, v105, v106
	v_sub_f32_e32 v109, v100, v75
	v_sub_f32_e32 v76, v99, v75
	ds_load_2addr_b32 v[99:100], v90 offset0:170 offset1:187
	v_sub_f32_e32 v101, v101, v75
	v_dual_mul_f32 v109, 0x3fb8aa3b, v109 :: v_dual_mul_f32 v76, 0x3fb8aa3b, v76
	s_delay_alu instid0(VALU_DEP_2) | instskip(NEXT) | instid1(VALU_DEP_2)
	v_mul_f32_e32 v111, 0x3fb8aa3b, v101
	v_exp_f32_e32 v109, v109
	s_delay_alu instid0(VALU_DEP_2)
	v_exp_f32_e32 v110, v76
	v_sub_f32_e32 v76, v102, v75
	ds_load_2addr_b32 v[101:102], v90 offset0:204 offset1:221
	v_exp_f32_e32 v111, v111
	v_mul_f32_e32 v112, 0x3fb8aa3b, v76
	s_waitcnt lgkmcnt(2)
	v_fma_f32 v76, v110, v107, 0
	v_sub_f32_e32 v103, v103, v75
	s_delay_alu instid0(VALU_DEP_3) | instskip(NEXT) | instid1(VALU_DEP_2)
	v_exp_f32_e32 v112, v112
	v_dual_sub_f32 v107, v104, v75 :: v_dual_fmac_f32 v76, v109, v108
	s_waitcnt lgkmcnt(1)
	s_waitcnt_depctr 0xfff
	v_fmac_f32_e32 v76, v111, v99
	v_mul_f32_e32 v113, 0x3fb8aa3b, v103
	ds_load_2addr_b32 v[103:104], v90 offset0:238 offset1:255
	v_sub_f32_e32 v90, v105, v75
	v_dual_sub_f32 v99, v106, v75 :: v_dual_fmac_f32 v76, v112, v100
	v_mul_f32_e32 v105, 0x3fb8aa3b, v107
	v_exp_f32_e32 v107, v113
	s_delay_alu instid0(VALU_DEP_2)
	v_dual_mul_f32 v90, 0x3fb8aa3b, v90 :: v_dual_mul_f32 v99, 0x3fb8aa3b, v99
	s_waitcnt lgkmcnt(0)
	s_barrier
	buffer_gl0_inv
	v_exp_f32_e32 v90, v90
	v_exp_f32_e32 v99, v99
	v_fmac_f32_e32 v76, v107, v101
	v_exp_f32_e32 v105, v105
	s_waitcnt_depctr 0xfff
	v_fmac_f32_e32 v76, v105, v102
	s_delay_alu instid0(VALU_DEP_1) | instskip(NEXT) | instid1(VALU_DEP_1)
	v_fmac_f32_e32 v76, v90, v103
	v_fmac_f32_e32 v76, v99, v104
	s_delay_alu instid0(VALU_DEP_1) | instskip(NEXT) | instid1(VALU_DEP_1)
	v_add_f32_e32 v100, 0x358637bd, v76
	v_div_scale_f32 v101, null, v100, v100, 1.0
	v_div_scale_f32 v104, vcc_lo, 1.0, v100, 1.0
	s_delay_alu instid0(VALU_DEP_2) | instskip(SKIP_2) | instid1(VALU_DEP_1)
	v_rcp_f32_e32 v102, v101
	s_waitcnt_depctr 0xfff
	v_fma_f32 v103, -v101, v102, 1.0
	v_fmac_f32_e32 v102, v103, v102
	v_cndmask_b32_e64 v103, v110, v109, s2
	v_cmp_eq_u32_e64 s2, 2, v74
	s_delay_alu instid0(VALU_DEP_3) | instskip(NEXT) | instid1(VALU_DEP_2)
	v_mul_f32_e32 v106, v104, v102
	v_cndmask_b32_e64 v103, v103, v111, s2
	v_cmp_eq_u32_e64 s2, 3, v74
	s_delay_alu instid0(VALU_DEP_3) | instskip(NEXT) | instid1(VALU_DEP_2)
	v_fma_f32 v108, -v101, v106, v104
	v_cndmask_b32_e64 v103, v103, v112, s2
	v_cmp_eq_u32_e64 s2, 4, v74
	s_delay_alu instid0(VALU_DEP_3) | instskip(NEXT) | instid1(VALU_DEP_2)
	v_fmac_f32_e32 v106, v108, v102
	v_cndmask_b32_e64 v103, v103, v107, s2
	s_delay_alu instid0(VALU_DEP_2) | instskip(SKIP_1) | instid1(VALU_DEP_2)
	v_fma_f32 v101, -v101, v106, v104
	v_cmp_eq_u32_e64 s2, 5, v74
	v_div_fmas_f32 v101, v101, v102, v106
	s_delay_alu instid0(VALU_DEP_2) | instskip(SKIP_2) | instid1(VALU_DEP_3)
	v_cndmask_b32_e64 v103, v103, v105, s2
	v_cmp_eq_u32_e32 vcc_lo, 6, v74
	s_mov_b32 s2, exec_lo
	v_div_fixup_f32 v100, v101, v100, 1.0
	s_delay_alu instid0(VALU_DEP_3) | instskip(SKIP_1) | instid1(VALU_DEP_2)
	v_cndmask_b32_e32 v90, v103, v90, vcc_lo
	v_cmp_eq_u32_e32 vcc_lo, 7, v74
	v_cndmask_b32_e32 v90, v90, v99, vcc_lo
	s_delay_alu instid0(VALU_DEP_1) | instskip(NEXT) | instid1(VALU_DEP_1)
	v_mul_f32_e32 v90, v90, v100
	v_mul_f32_e32 v100, v90, v92
	;; [unrolled: 1-line block ×6, first 2 shown]
	v_and_b32_e32 v101, 0x7f800000, v100
	v_mul_f32_e32 v99, v90, v95
	v_mul_f32_e32 v95, v90, v91
	;; [unrolled: 1-line block ×3, first 2 shown]
                                        ; implicit-def: $vgpr91
	s_delay_alu instid0(VALU_DEP_4)
	v_cmpx_ne_u32_e32 0x7f800000, v101
	s_xor_b32 s2, exec_lo, s2
; %bb.15:
	v_bfe_u32 v91, v100, 16, 1
	s_delay_alu instid0(VALU_DEP_1)
	v_add3_u32 v91, v100, v91, 0x7fff
                                        ; implicit-def: $vgpr100
; %bb.16:
	s_and_not1_saveexec_b32 s2, s2
; %bb.17:
	v_and_b32_e32 v91, 0xffff, v100
	v_or_b32_e32 v93, 0x10000, v100
	s_delay_alu instid0(VALU_DEP_2) | instskip(NEXT) | instid1(VALU_DEP_2)
	v_cmp_eq_u32_e32 vcc_lo, 0, v91
	v_cndmask_b32_e32 v91, v93, v100, vcc_lo
; %bb.18:
	s_or_b32 exec_lo, exec_lo, s2
	v_and_b32_e32 v93, 0x7f800000, v95
	s_delay_alu instid0(VALU_DEP_1) | instskip(SKIP_1) | instid1(SALU_CYCLE_1)
	v_cmp_ne_u32_e32 vcc_lo, 0x7f800000, v93
                                        ; implicit-def: $vgpr93
	s_and_saveexec_b32 s2, vcc_lo
	s_xor_b32 s2, exec_lo, s2
; %bb.19:
	v_bfe_u32 v93, v95, 16, 1
	s_delay_alu instid0(VALU_DEP_1)
	v_add3_u32 v93, v95, v93, 0x7fff
                                        ; implicit-def: $vgpr95
; %bb.20:
	s_and_not1_saveexec_b32 s2, s2
; %bb.21:
	v_and_b32_e32 v93, 0xffff, v95
	v_or_b32_e32 v100, 0x10000, v95
	s_delay_alu instid0(VALU_DEP_2) | instskip(NEXT) | instid1(VALU_DEP_2)
	v_cmp_eq_u32_e32 vcc_lo, 0, v93
	v_cndmask_b32_e32 v93, v100, v95, vcc_lo
; %bb.22:
	s_or_b32 exec_lo, exec_lo, s2
	v_and_b32_e32 v95, 0x7f800000, v96
	s_delay_alu instid0(VALU_DEP_1) | instskip(SKIP_1) | instid1(SALU_CYCLE_1)
	v_cmp_ne_u32_e32 vcc_lo, 0x7f800000, v95
                                        ; implicit-def: $vgpr95
	s_and_saveexec_b32 s2, vcc_lo
	s_xor_b32 s2, exec_lo, s2
; %bb.23:
	v_bfe_u32 v95, v96, 16, 1
	s_delay_alu instid0(VALU_DEP_1)
	v_add3_u32 v95, v96, v95, 0x7fff
                                        ; implicit-def: $vgpr96
; %bb.24:
	s_and_not1_saveexec_b32 s2, s2
; %bb.25:
	v_and_b32_e32 v95, 0xffff, v96
	v_or_b32_e32 v100, 0x10000, v96
	s_delay_alu instid0(VALU_DEP_2) | instskip(NEXT) | instid1(VALU_DEP_2)
	v_cmp_eq_u32_e32 vcc_lo, 0, v95
	v_cndmask_b32_e32 v95, v100, v96, vcc_lo
; %bb.26:
	s_or_b32 exec_lo, exec_lo, s2
	v_and_b32_e32 v96, 0x7f800000, v99
	s_delay_alu instid0(VALU_DEP_1) | instskip(SKIP_1) | instid1(SALU_CYCLE_1)
	v_cmp_ne_u32_e32 vcc_lo, 0x7f800000, v96
                                        ; implicit-def: $vgpr96
	s_and_saveexec_b32 s2, vcc_lo
	s_xor_b32 s2, exec_lo, s2
; %bb.27:
	v_bfe_u32 v96, v99, 16, 1
	s_delay_alu instid0(VALU_DEP_1)
	v_add3_u32 v96, v99, v96, 0x7fff
                                        ; implicit-def: $vgpr99
; %bb.28:
	s_and_not1_saveexec_b32 s2, s2
; %bb.29:
	v_and_b32_e32 v96, 0xffff, v99
	v_or_b32_e32 v100, 0x10000, v99
	s_delay_alu instid0(VALU_DEP_2) | instskip(NEXT) | instid1(VALU_DEP_2)
	v_cmp_eq_u32_e32 vcc_lo, 0, v96
	v_cndmask_b32_e32 v96, v100, v99, vcc_lo
; %bb.30:
	s_or_b32 exec_lo, exec_lo, s2
	v_and_b32_e32 v99, 0x7f800000, v98
	s_delay_alu instid0(VALU_DEP_1) | instskip(SKIP_1) | instid1(SALU_CYCLE_1)
	v_cmp_ne_u32_e32 vcc_lo, 0x7f800000, v99
                                        ; implicit-def: $vgpr99
	s_and_saveexec_b32 s2, vcc_lo
	s_xor_b32 s2, exec_lo, s2
; %bb.31:
	v_bfe_u32 v99, v98, 16, 1
	s_delay_alu instid0(VALU_DEP_1)
	v_add3_u32 v99, v98, v99, 0x7fff
                                        ; implicit-def: $vgpr98
; %bb.32:
	s_and_not1_saveexec_b32 s2, s2
; %bb.33:
	v_and_b32_e32 v99, 0xffff, v98
	v_or_b32_e32 v100, 0x10000, v98
	s_delay_alu instid0(VALU_DEP_2) | instskip(NEXT) | instid1(VALU_DEP_2)
	v_cmp_eq_u32_e32 vcc_lo, 0, v99
	v_cndmask_b32_e32 v99, v100, v98, vcc_lo
; %bb.34:
	s_or_b32 exec_lo, exec_lo, s2
	v_and_b32_e32 v98, 0x7f800000, v97
	s_delay_alu instid0(VALU_DEP_1) | instskip(SKIP_1) | instid1(SALU_CYCLE_1)
	v_cmp_ne_u32_e32 vcc_lo, 0x7f800000, v98
                                        ; implicit-def: $vgpr98
	s_and_saveexec_b32 s2, vcc_lo
	s_xor_b32 s2, exec_lo, s2
; %bb.35:
	v_bfe_u32 v98, v97, 16, 1
	s_delay_alu instid0(VALU_DEP_1)
	v_add3_u32 v98, v97, v98, 0x7fff
                                        ; implicit-def: $vgpr97
; %bb.36:
	s_and_not1_saveexec_b32 s2, s2
; %bb.37:
	v_and_b32_e32 v98, 0xffff, v97
	v_or_b32_e32 v100, 0x10000, v97
	s_delay_alu instid0(VALU_DEP_2) | instskip(NEXT) | instid1(VALU_DEP_2)
	v_cmp_eq_u32_e32 vcc_lo, 0, v98
	v_cndmask_b32_e32 v98, v100, v97, vcc_lo
; %bb.38:
	s_or_b32 exec_lo, exec_lo, s2
	v_and_b32_e32 v97, 0x7f800000, v94
	s_delay_alu instid0(VALU_DEP_1) | instskip(SKIP_1) | instid1(SALU_CYCLE_1)
	v_cmp_ne_u32_e32 vcc_lo, 0x7f800000, v97
                                        ; implicit-def: $vgpr97
	s_and_saveexec_b32 s2, vcc_lo
	s_xor_b32 s2, exec_lo, s2
; %bb.39:
	v_bfe_u32 v97, v94, 16, 1
	s_delay_alu instid0(VALU_DEP_1)
	v_add3_u32 v97, v94, v97, 0x7fff
                                        ; implicit-def: $vgpr94
; %bb.40:
	s_and_not1_saveexec_b32 s2, s2
; %bb.41:
	v_and_b32_e32 v97, 0xffff, v94
	v_or_b32_e32 v100, 0x10000, v94
	s_delay_alu instid0(VALU_DEP_2) | instskip(NEXT) | instid1(VALU_DEP_2)
	v_cmp_eq_u32_e32 vcc_lo, 0, v97
	v_cndmask_b32_e32 v97, v100, v94, vcc_lo
; %bb.42:
	s_or_b32 exec_lo, exec_lo, s2
	v_and_b32_e32 v94, 0x7f800000, v92
	s_delay_alu instid0(VALU_DEP_1) | instskip(SKIP_1) | instid1(SALU_CYCLE_1)
	v_cmp_ne_u32_e32 vcc_lo, 0x7f800000, v94
                                        ; implicit-def: $vgpr94
	s_and_saveexec_b32 s2, vcc_lo
	s_xor_b32 s2, exec_lo, s2
; %bb.43:
	v_bfe_u32 v94, v92, 16, 1
	s_delay_alu instid0(VALU_DEP_1)
	v_add3_u32 v94, v92, v94, 0x7fff
                                        ; implicit-def: $vgpr92
; %bb.44:
	s_and_not1_saveexec_b32 s2, s2
; %bb.45:
	v_and_b32_e32 v94, 0xffff, v92
	v_or_b32_e32 v100, 0x10000, v92
	s_delay_alu instid0(VALU_DEP_2) | instskip(NEXT) | instid1(VALU_DEP_2)
	v_cmp_eq_u32_e32 vcc_lo, 0, v94
	v_cndmask_b32_e32 v94, v100, v92, vcc_lo
; %bb.46:
	s_or_b32 exec_lo, exec_lo, s2
	s_load_b64 s[34:35], s[0:1], 0x94
	v_lshlrev_b32_e32 v92, 4, v83
	s_delay_alu instid0(VALU_DEP_2)
	v_perm_b32 v100, v94, v97, 0x7060302
	v_dual_mul_f32 v89, v90, v89 :: v_dual_lshlrev_b32 v94, 11, v74
	v_perm_b32 v97, v93, v91, 0x7060302
	v_mul_f32_e32 v93, v90, v77
	v_perm_b32 v99, v98, v99, 0x7060302
	v_perm_b32 v98, v96, v95, 0x7060302
	v_or3_b32 v77, v92, v94, v85
	v_mul_f32_e32 v88, v90, v88
	v_dual_mul_f32 v87, v90, v87 :: v_dual_and_b32 v94, 0x7f800000, v93
	v_mul_f32_e32 v86, v90, v86
	v_mul_f32_e32 v91, v90, v80
	;; [unrolled: 1-line block ×4, first 2 shown]
	s_mov_b32 s2, exec_lo
	ds_store_b128 v77, v[97:100]
                                        ; implicit-def: $vgpr78
	v_cmpx_ne_u32_e32 0x7f800000, v94
	s_xor_b32 s2, exec_lo, s2
; %bb.47:
	v_bfe_u32 v78, v93, 16, 1
	s_delay_alu instid0(VALU_DEP_1)
	v_add3_u32 v78, v93, v78, 0x7fff
                                        ; implicit-def: $vgpr93
; %bb.48:
	s_and_not1_saveexec_b32 s2, s2
; %bb.49:
	v_and_b32_e32 v78, 0xffff, v93
	v_or_b32_e32 v79, 0x10000, v93
	s_delay_alu instid0(VALU_DEP_2) | instskip(NEXT) | instid1(VALU_DEP_2)
	v_cmp_eq_u32_e32 vcc_lo, 0, v78
	v_cndmask_b32_e32 v78, v79, v93, vcc_lo
; %bb.50:
	s_or_b32 exec_lo, exec_lo, s2
	v_and_b32_e32 v79, 0x7f800000, v80
	s_delay_alu instid0(VALU_DEP_1) | instskip(SKIP_1) | instid1(SALU_CYCLE_1)
	v_cmp_ne_u32_e32 vcc_lo, 0x7f800000, v79
                                        ; implicit-def: $vgpr79
	s_and_saveexec_b32 s2, vcc_lo
	s_xor_b32 s2, exec_lo, s2
; %bb.51:
	v_bfe_u32 v79, v80, 16, 1
	s_delay_alu instid0(VALU_DEP_1)
	v_add3_u32 v79, v80, v79, 0x7fff
                                        ; implicit-def: $vgpr80
; %bb.52:
	s_and_not1_saveexec_b32 s2, s2
; %bb.53:
	v_and_b32_e32 v79, 0xffff, v80
	v_or_b32_e32 v90, 0x10000, v80
	s_delay_alu instid0(VALU_DEP_2) | instskip(NEXT) | instid1(VALU_DEP_2)
	v_cmp_eq_u32_e32 vcc_lo, 0, v79
	v_cndmask_b32_e32 v79, v90, v80, vcc_lo
; %bb.54:
	s_or_b32 exec_lo, exec_lo, s2
	v_and_b32_e32 v80, 0x7f800000, v92
	s_delay_alu instid0(VALU_DEP_1) | instskip(SKIP_1) | instid1(SALU_CYCLE_1)
	v_cmp_ne_u32_e32 vcc_lo, 0x7f800000, v80
                                        ; implicit-def: $vgpr80
	s_and_saveexec_b32 s2, vcc_lo
	s_xor_b32 s2, exec_lo, s2
; %bb.55:
	v_bfe_u32 v80, v92, 16, 1
	s_delay_alu instid0(VALU_DEP_1)
	v_add3_u32 v80, v92, v80, 0x7fff
                                        ; implicit-def: $vgpr92
; %bb.56:
	s_and_not1_saveexec_b32 s2, s2
; %bb.57:
	v_and_b32_e32 v80, 0xffff, v92
	v_or_b32_e32 v90, 0x10000, v92
	s_delay_alu instid0(VALU_DEP_2) | instskip(NEXT) | instid1(VALU_DEP_2)
	v_cmp_eq_u32_e32 vcc_lo, 0, v80
	v_cndmask_b32_e32 v80, v90, v92, vcc_lo
; %bb.58:
	s_or_b32 exec_lo, exec_lo, s2
	v_and_b32_e32 v90, 0x7f800000, v91
	s_delay_alu instid0(VALU_DEP_1) | instskip(SKIP_1) | instid1(SALU_CYCLE_1)
	v_cmp_ne_u32_e32 vcc_lo, 0x7f800000, v90
                                        ; implicit-def: $vgpr90
	s_and_saveexec_b32 s2, vcc_lo
	s_xor_b32 s2, exec_lo, s2
; %bb.59:
	v_bfe_u32 v90, v91, 16, 1
	s_delay_alu instid0(VALU_DEP_1)
	v_add3_u32 v90, v91, v90, 0x7fff
                                        ; implicit-def: $vgpr91
; %bb.60:
	s_and_not1_saveexec_b32 s2, s2
; %bb.61:
	v_and_b32_e32 v90, 0xffff, v91
	v_or_b32_e32 v92, 0x10000, v91
	s_delay_alu instid0(VALU_DEP_2) | instskip(NEXT) | instid1(VALU_DEP_2)
	v_cmp_eq_u32_e32 vcc_lo, 0, v90
	v_cndmask_b32_e32 v90, v92, v91, vcc_lo
; %bb.62:
	s_or_b32 exec_lo, exec_lo, s2
	v_and_b32_e32 v91, 0x7f800000, v86
	s_delay_alu instid0(VALU_DEP_1) | instskip(SKIP_1) | instid1(SALU_CYCLE_1)
	v_cmp_ne_u32_e32 vcc_lo, 0x7f800000, v91
                                        ; implicit-def: $vgpr91
	s_and_saveexec_b32 s2, vcc_lo
	s_xor_b32 s2, exec_lo, s2
; %bb.63:
	v_bfe_u32 v91, v86, 16, 1
	s_delay_alu instid0(VALU_DEP_1)
	v_add3_u32 v91, v86, v91, 0x7fff
                                        ; implicit-def: $vgpr86
; %bb.64:
	s_and_not1_saveexec_b32 s2, s2
; %bb.65:
	v_and_b32_e32 v91, 0xffff, v86
	v_or_b32_e32 v92, 0x10000, v86
	s_delay_alu instid0(VALU_DEP_2) | instskip(NEXT) | instid1(VALU_DEP_2)
	v_cmp_eq_u32_e32 vcc_lo, 0, v91
	v_cndmask_b32_e32 v91, v92, v86, vcc_lo
; %bb.66:
	s_or_b32 exec_lo, exec_lo, s2
	v_and_b32_e32 v86, 0x7f800000, v87
	s_delay_alu instid0(VALU_DEP_1) | instskip(SKIP_1) | instid1(SALU_CYCLE_1)
	v_cmp_ne_u32_e32 vcc_lo, 0x7f800000, v86
                                        ; implicit-def: $vgpr86
	s_and_saveexec_b32 s2, vcc_lo
	s_xor_b32 s2, exec_lo, s2
; %bb.67:
	v_bfe_u32 v86, v87, 16, 1
	s_delay_alu instid0(VALU_DEP_1)
	v_add3_u32 v86, v87, v86, 0x7fff
                                        ; implicit-def: $vgpr87
; %bb.68:
	s_and_not1_saveexec_b32 s2, s2
; %bb.69:
	v_and_b32_e32 v86, 0xffff, v87
	v_or_b32_e32 v92, 0x10000, v87
	s_delay_alu instid0(VALU_DEP_2) | instskip(NEXT) | instid1(VALU_DEP_2)
	v_cmp_eq_u32_e32 vcc_lo, 0, v86
	v_cndmask_b32_e32 v86, v92, v87, vcc_lo
; %bb.70:
	s_or_b32 exec_lo, exec_lo, s2
	v_and_b32_e32 v87, 0x7f800000, v88
	s_delay_alu instid0(VALU_DEP_1) | instskip(SKIP_1) | instid1(SALU_CYCLE_1)
	v_cmp_ne_u32_e32 vcc_lo, 0x7f800000, v87
                                        ; implicit-def: $vgpr87
	s_and_saveexec_b32 s2, vcc_lo
	s_xor_b32 s2, exec_lo, s2
; %bb.71:
	v_bfe_u32 v87, v88, 16, 1
	s_delay_alu instid0(VALU_DEP_1)
	v_add3_u32 v87, v88, v87, 0x7fff
                                        ; implicit-def: $vgpr88
; %bb.72:
	s_and_not1_saveexec_b32 s2, s2
; %bb.73:
	v_and_b32_e32 v87, 0xffff, v88
	v_or_b32_e32 v92, 0x10000, v88
	s_delay_alu instid0(VALU_DEP_2) | instskip(NEXT) | instid1(VALU_DEP_2)
	v_cmp_eq_u32_e32 vcc_lo, 0, v87
	v_cndmask_b32_e32 v87, v92, v88, vcc_lo
; %bb.74:
	s_or_b32 exec_lo, exec_lo, s2
	v_and_b32_e32 v88, 0x7f800000, v89
	s_delay_alu instid0(VALU_DEP_1) | instskip(SKIP_1) | instid1(SALU_CYCLE_1)
	v_cmp_ne_u32_e32 vcc_lo, 0x7f800000, v88
                                        ; implicit-def: $vgpr88
	s_and_saveexec_b32 s2, vcc_lo
	s_xor_b32 s2, exec_lo, s2
; %bb.75:
	v_bfe_u32 v88, v89, 16, 1
	s_delay_alu instid0(VALU_DEP_1)
	v_add3_u32 v88, v89, v88, 0x7fff
                                        ; implicit-def: $vgpr89
; %bb.76:
	s_and_not1_saveexec_b32 s2, s2
; %bb.77:
	v_and_b32_e32 v88, 0xffff, v89
	v_or_b32_e32 v92, 0x10000, v89
	s_delay_alu instid0(VALU_DEP_2) | instskip(NEXT) | instid1(VALU_DEP_2)
	v_cmp_eq_u32_e32 vcc_lo, 0, v88
	v_cndmask_b32_e32 v88, v92, v89, vcc_lo
; %bb.78:
	s_or_b32 exec_lo, exec_lo, s2
	s_delay_alu instid0(VALU_DEP_1)
	v_perm_b32 v89, v88, v87, 0x7060302
	v_perm_b32 v88, v86, v91, 0x7060302
	;; [unrolled: 1-line block ×4, first 2 shown]
	v_lshl_or_b32 v90, v74, 11, v85
	ds_store_b128 v77, v[86:89] offset:1024
	s_waitcnt lgkmcnt(0)
	s_barrier
	buffer_gl0_inv
	ds_load_b128 v[91:94], v90
	ds_load_b128 v[95:98], v90 offset:16
	v_lshlrev_b32_e32 v87, 2, v83
	s_delay_alu instid0(VALU_DEP_1)
	v_or_b32_e32 v88, 1, v87
	v_cmp_eq_u32_e32 vcc_lo, 1, v87
	v_cmp_eq_u32_e64 s3, 2, v87
	v_cmp_eq_u32_e64 s6, 3, v87
	;; [unrolled: 1-line block ×6, first 2 shown]
	v_or_b32_e32 v86, 2, v87
	v_cmp_eq_u32_e64 s9, 5, v87
	v_cmp_eq_u32_e64 s10, 4, v88
	;; [unrolled: 1-line block ×4, first 2 shown]
	s_waitcnt lgkmcnt(1)
	v_lshrrev_b32_e32 v74, 16, v91
	s_waitcnt lgkmcnt(0)
	v_lshrrev_b32_e32 v103, 16, v95
	v_lshrrev_b32_e32 v80, 16, v94
	;; [unrolled: 1-line block ×4, first 2 shown]
	v_cndmask_b32_e32 v89, v91, v74, vcc_lo
	v_cndmask_b32_e32 v99, v95, v103, vcc_lo
	v_cndmask_b32_e64 v100, v91, v74, s2
	v_lshrrev_b32_e32 v79, 16, v93
	v_lshrrev_b32_e32 v108, 16, v97
	v_cndmask_b32_e64 v89, v89, v92, s3
	v_cndmask_b32_e64 v99, v99, v96, s3
	v_cndmask_b32_e64 v100, v100, v92, s5
	v_cndmask_b32_e64 v101, v95, v103, s2
	v_cmp_eq_u32_e64 s4, 1, v86
	v_cndmask_b32_e64 v89, v89, v78, s6
	v_cndmask_b32_e64 v99, v99, v107, s6
	v_cndmask_b32_e64 v100, v100, v78, s7
	v_cndmask_b32_e64 v101, v101, v96, s5
	v_lshrrev_b32_e32 v109, 16, v98
	v_cndmask_b32_e64 v89, v89, v93, s8
	v_cndmask_b32_e64 v99, v99, v97, s8
	;; [unrolled: 1-line block ×8, first 2 shown]
	v_cmp_eq_u32_e64 s13, 7, v87
	v_cmp_eq_u32_e64 s15, 6, v88
	v_cndmask_b32_e64 v89, v89, v94, s11
	v_cndmask_b32_e64 v99, v99, v98, s11
	v_cmp_eq_u32_e64 s16, 2, v86
	v_cndmask_b32_e64 v101, v101, v97, s10
	v_cndmask_b32_e64 v100, v100, v94, s15
	;; [unrolled: 1-line block ×6, first 2 shown]
	v_cmp_eq_u32_e64 s17, 7, v88
	v_cmp_eq_u32_e64 s18, 3, v86
	;; [unrolled: 1-line block ×4, first 2 shown]
	v_cndmask_b32_e64 v99, v99, v96, s16
	v_cndmask_b32_e64 v112, v100, v80, s17
	;; [unrolled: 1-line block ×4, first 2 shown]
	v_or_b32_e32 v89, 3, v87
	v_cndmask_b32_e64 v105, v99, v107, s18
	v_cmp_eq_u32_e64 s23, 6, v86
	v_cndmask_b32_e64 v113, v100, v98, s15
	v_cndmask_b32_e64 v104, v101, v93, s19
	ds_load_b128 v[99:102], v90 offset:1024
	v_cmp_eq_u32_e64 s20, 1, v89
	v_cmp_eq_u32_e64 s22, 2, v89
	;; [unrolled: 1-line block ×3, first 2 shown]
	v_cndmask_b32_e64 v114, v104, v79, s21
	v_cmp_eq_u32_e64 s25, 4, v89
	v_cndmask_b32_e64 v74, v91, v74, s20
	v_cndmask_b32_e64 v91, v105, v97, s19
	;; [unrolled: 1-line block ×3, first 2 shown]
	ds_load_b128 v[103:106], v90 offset:1040
	v_cmp_eq_u32_e64 s27, 5, v89
	v_cndmask_b32_e64 v74, v74, v92, s22
	v_cndmask_b32_e64 v91, v91, v108, s21
	;; [unrolled: 1-line block ×3, first 2 shown]
	v_cmp_eq_u32_e64 s28, 6, v89
	v_cndmask_b32_e64 v95, v113, v109, s17
	v_cndmask_b32_e64 v74, v74, v78, s24
	;; [unrolled: 1-line block ×5, first 2 shown]
	s_waitcnt lgkmcnt(1)
	v_lshrrev_b32_e32 v96, 16, v99
	v_cndmask_b32_e64 v74, v74, v93, s25
	v_lshrrev_b32_e32 v107, 16, v100
	v_cndmask_b32_e64 v92, v92, v97, s25
	v_cmp_eq_u32_e64 s26, 7, v86
	v_cndmask_b32_e32 v93, v99, v96, vcc_lo
	v_cndmask_b32_e64 v74, v74, v79, s27
	s_delay_alu instid0(VALU_DEP_4)
	v_cndmask_b32_e64 v79, v92, v108, s27
	s_waitcnt lgkmcnt(0)
	v_lshrrev_b32_e32 v97, 16, v103
	v_cndmask_b32_e64 v92, v93, v100, s3
	v_cndmask_b32_e64 v93, v99, v96, s2
	;; [unrolled: 1-line block ×4, first 2 shown]
	v_cndmask_b32_e32 v108, v103, v97, vcc_lo
	v_cndmask_b32_e64 v92, v92, v107, s6
	v_cndmask_b32_e64 v93, v93, v100, s5
	v_lshrrev_b32_e32 v98, 16, v104
	v_cmp_eq_u32_e32 vcc_lo, 7, v89
	v_cndmask_b32_e64 v94, v108, v104, s3
	v_cndmask_b32_e64 v92, v92, v101, s8
	v_lshrrev_b32_e32 v108, 16, v101
	v_cndmask_b32_e64 v93, v93, v107, s7
	v_cndmask_b32_e32 v74, v74, v80, vcc_lo
	v_cndmask_b32_e64 v94, v94, v98, s6
	v_cndmask_b32_e32 v79, v79, v109, vcc_lo
	v_cndmask_b32_e64 v92, v92, v108, s9
	v_cndmask_b32_e64 v78, v78, v80, s26
	;; [unrolled: 1-line block ×4, first 2 shown]
	v_perm_b32 v94, v79, v74, 0x5040100
	v_cndmask_b32_e64 v79, v92, v102, s11
	v_perm_b32 v92, v95, v112, 0x5040100
	v_cndmask_b32_e64 v95, v99, v96, s4
	v_cndmask_b32_e64 v96, v99, v96, s20
	;; [unrolled: 1-line block ×16, first 2 shown]
	v_lshrrev_b32_e32 v109, 16, v105
	v_cndmask_b32_e64 v95, v95, v101, s19
	v_cndmask_b32_e64 v96, v96, v101, s25
	;; [unrolled: 1-line block ×6, first 2 shown]
	v_lshrrev_b32_e32 v80, 16, v102
	v_cndmask_b32_e64 v113, v93, v109, s9
	v_cndmask_b32_e64 v95, v95, v108, s21
	;; [unrolled: 1-line block ×6, first 2 shown]
	v_perm_b32 v93, v91, v78, 0x5040100
	v_cndmask_b32_e64 v74, v74, v102, s15
	v_cndmask_b32_e64 v78, v79, v80, s13
	;; [unrolled: 1-line block ×3, first 2 shown]
	v_lshrrev_b32_e32 v91, 16, v106
	v_cndmask_b32_e64 v95, v95, v102, s23
	v_cndmask_b32_e64 v96, v96, v102, s28
	;; [unrolled: 1-line block ×7, first 2 shown]
	v_cndmask_b32_e32 v80, v96, v80, vcc_lo
	v_cndmask_b32_e32 v96, v98, v91, vcc_lo
	v_cndmask_b32_e64 v99, v99, v91, s26
	v_cndmask_b32_e64 v100, v97, v91, s17
	;; [unrolled: 1-line block ×3, first 2 shown]
	v_perm_b32 v91, v111, v110, 0x5040100
	v_perm_b32 v98, v96, v80, 0x5040100
	;; [unrolled: 1-line block ×5, first 2 shown]
	s_mul_i32 s7, s35, 6
	s_mov_b32 s2, exec_lo
	ds_store_b128 v77, v[91:94]
	ds_store_b128 v77, v[95:98] offset:1024
	v_cmpx_gt_u32_e32 6, v0
	s_cbranch_execz .LBB715_80
; %bb.79:
	s_mul_i32 s3, s7, s30
	s_load_b128 s[8:11], s[0:1], 0x58
	v_add3_u32 v77, s3, s29, v73
	s_delay_alu instid0(VALU_DEP_1) | instskip(NEXT) | instid1(VALU_DEP_1)
	v_mad_u64_u32 v[73:74], null, v77, s34, s[14:15]
	v_ashrrev_i32_e32 v74, 31, v73
	s_delay_alu instid0(VALU_DEP_1) | instskip(SKIP_1) | instid1(VALU_DEP_1)
	v_lshlrev_b64 v[73:74], 2, v[73:74]
	s_waitcnt lgkmcnt(0)
	v_add_co_u32 v77, vcc_lo, s10, v73
	s_delay_alu instid0(VALU_DEP_2)
	v_add_co_ci_u32_e32 v78, vcc_lo, s11, v74, vcc_lo
	v_add_co_u32 v73, vcc_lo, s8, v73
	v_add_co_ci_u32_e32 v74, vcc_lo, s9, v74, vcc_lo
	global_store_b32 v[77:78], v75, off
	global_store_b32 v[73:74], v76, off
.LBB715_80:
	s_or_b32 exec_lo, exec_lo, s2
	s_waitcnt lgkmcnt(0)
	s_waitcnt_vscnt null, 0x0
	s_barrier
	buffer_gl0_inv
	ds_load_b128 v[91:94], v85
	ds_load_b128 v[95:98], v85 offset:16
	ds_load_b128 v[103:106], v85 offset:1040
	;; [unrolled: 1-line block ×3, first 2 shown]
	v_mov_b32_e32 v73, 0
	ds_load_b128 v[111:114], v85 offset:2064
	ds_load_b128 v[107:110], v85 offset:2048
	;; [unrolled: 1-line block ×6, first 2 shown]
	v_mov_b32_e32 v74, v73
	v_mov_b32_e32 v75, v73
	;; [unrolled: 1-line block ×7, first 2 shown]
	s_waitcnt lgkmcnt(8)
	s_delay_alu instid0(VALU_DEP_1)
	v_wmma_f32_16x16x16_bf16 v[73:80], v[65:72], v[91:98], v[73:80]
	ds_load_b128 v[69:72], v85 offset:5136
	ds_load_b128 v[65:68], v85 offset:5120
	;; [unrolled: 1-line block ×4, first 2 shown]
	s_waitcnt lgkmcnt(10)
	v_wmma_f32_16x16x16_bf16 v[73:80], v[57:64], v[99:106], v[73:80]
	s_waitcnt lgkmcnt(8)
	s_delay_alu instid0(VALU_DEP_1)
	v_wmma_f32_16x16x16_bf16 v[73:80], v[57:64], v[107:114], v[73:80]
	ds_load_b128 v[61:64], v85 offset:7184
	ds_load_b128 v[57:60], v85 offset:7168
	;; [unrolled: 1-line block ×4, first 2 shown]
	s_waitcnt lgkmcnt(10)
	v_wmma_f32_16x16x16_bf16 v[73:80], v[49:56], v[115:122], v[73:80]
	s_waitcnt lgkmcnt(8)
	s_delay_alu instid0(VALU_DEP_1)
	v_wmma_f32_16x16x16_bf16 v[73:80], v[49:56], v[123:130], v[73:80]
	ds_load_b128 v[53:56], v85 offset:9232
	ds_load_b128 v[49:52], v85 offset:9216
	s_waitcnt lgkmcnt(8)
	v_wmma_f32_16x16x16_bf16 v[73:80], v[41:48], v[65:72], v[73:80]
	ds_load_b128 v[69:72], v85 offset:10256
	ds_load_b128 v[65:68], v85 offset:10240
	s_waitcnt lgkmcnt(8)
	v_wmma_f32_16x16x16_bf16 v[73:80], v[41:48], v[91:98], v[73:80]
	ds_load_b128 v[45:48], v85 offset:11280
	ds_load_b128 v[41:44], v85 offset:11264
	s_waitcnt lgkmcnt(8)
	v_wmma_f32_16x16x16_bf16 v[73:80], v[9:16], v[57:64], v[73:80]
	s_waitcnt lgkmcnt(6)
	s_delay_alu instid0(VALU_DEP_1)
	v_wmma_f32_16x16x16_bf16 v[73:80], v[9:16], v[99:106], v[73:80]
	ds_load_b128 v[13:16], v85 offset:12304
	ds_load_b128 v[9:12], v85 offset:12288
	s_waitcnt lgkmcnt(6)
	v_wmma_f32_16x16x16_bf16 v[73:80], v[1:8], v[49:56], v[73:80]
	ds_load_b128 v[53:56], v85 offset:13328
	ds_load_b128 v[49:52], v85 offset:13312
	s_waitcnt lgkmcnt(6)
	;; [unrolled: 4-line block ×4, first 2 shown]
	v_wmma_f32_16x16x16_bf16 v[73:80], v[33:40], v[9:16], v[73:80]
	s_waitcnt lgkmcnt(4)
	s_delay_alu instid0(VALU_DEP_1) | instskip(SKIP_1) | instid1(VALU_DEP_1)
	v_wmma_f32_16x16x16_bf16 v[73:80], v[25:32], v[49:56], v[73:80]
	s_waitcnt lgkmcnt(2)
	v_wmma_f32_16x16x16_bf16 v[73:80], v[25:32], v[1:8], v[73:80]
	s_waitcnt lgkmcnt(0)
	s_delay_alu instid0(VALU_DEP_1) | instskip(NEXT) | instid1(VALU_DEP_1)
	v_wmma_f32_16x16x16_bf16 v[73:80], v[17:24], v[41:48], v[73:80]
	v_and_b32_e32 v1, 0x7f800000, v73
	s_delay_alu instid0(VALU_DEP_1) | instskip(SKIP_1) | instid1(SALU_CYCLE_1)
	v_cmp_ne_u32_e32 vcc_lo, 0x7f800000, v1
                                        ; implicit-def: $vgpr1
	s_and_saveexec_b32 s2, vcc_lo
	s_xor_b32 s2, exec_lo, s2
; %bb.81:
	v_bfe_u32 v1, v73, 16, 1
	s_delay_alu instid0(VALU_DEP_1)
	v_add3_u32 v1, v73, v1, 0x7fff
; %bb.82:
	s_and_not1_saveexec_b32 s2, s2
; %bb.83:
	v_and_b32_e32 v1, 0xffff, v73
	v_or_b32_e32 v2, 0x10000, v73
	s_delay_alu instid0(VALU_DEP_2) | instskip(NEXT) | instid1(VALU_DEP_2)
	v_cmp_eq_u32_e32 vcc_lo, 0, v1
	v_cndmask_b32_e32 v1, v2, v73, vcc_lo
; %bb.84:
	s_or_b32 exec_lo, exec_lo, s2
	v_and_b32_e32 v2, 0x7f800000, v74
	s_delay_alu instid0(VALU_DEP_1) | instskip(SKIP_1) | instid1(SALU_CYCLE_1)
	v_cmp_ne_u32_e32 vcc_lo, 0x7f800000, v2
                                        ; implicit-def: $vgpr2
	s_and_saveexec_b32 s2, vcc_lo
	s_xor_b32 s2, exec_lo, s2
; %bb.85:
	v_bfe_u32 v2, v74, 16, 1
	s_delay_alu instid0(VALU_DEP_1)
	v_add3_u32 v2, v74, v2, 0x7fff
; %bb.86:
	s_and_not1_saveexec_b32 s2, s2
; %bb.87:
	v_and_b32_e32 v2, 0xffff, v74
	v_or_b32_e32 v3, 0x10000, v74
	s_delay_alu instid0(VALU_DEP_2) | instskip(NEXT) | instid1(VALU_DEP_2)
	v_cmp_eq_u32_e32 vcc_lo, 0, v2
	v_cndmask_b32_e32 v2, v3, v74, vcc_lo
; %bb.88:
	s_or_b32 exec_lo, exec_lo, s2
	v_and_b32_e32 v3, 0x7f800000, v75
	s_delay_alu instid0(VALU_DEP_1) | instskip(SKIP_1) | instid1(SALU_CYCLE_1)
	v_cmp_ne_u32_e32 vcc_lo, 0x7f800000, v3
                                        ; implicit-def: $vgpr3
	s_and_saveexec_b32 s2, vcc_lo
	s_xor_b32 s2, exec_lo, s2
; %bb.89:
	v_bfe_u32 v3, v75, 16, 1
	s_delay_alu instid0(VALU_DEP_1)
	v_add3_u32 v3, v75, v3, 0x7fff
; %bb.90:
	s_and_not1_saveexec_b32 s2, s2
; %bb.91:
	v_and_b32_e32 v3, 0xffff, v75
	v_or_b32_e32 v4, 0x10000, v75
	s_delay_alu instid0(VALU_DEP_2) | instskip(NEXT) | instid1(VALU_DEP_2)
	v_cmp_eq_u32_e32 vcc_lo, 0, v3
	v_cndmask_b32_e32 v3, v4, v75, vcc_lo
; %bb.92:
	s_or_b32 exec_lo, exec_lo, s2
	v_and_b32_e32 v4, 0x7f800000, v76
	s_delay_alu instid0(VALU_DEP_1) | instskip(SKIP_1) | instid1(SALU_CYCLE_1)
	v_cmp_ne_u32_e32 vcc_lo, 0x7f800000, v4
                                        ; implicit-def: $vgpr4
	s_and_saveexec_b32 s2, vcc_lo
	s_xor_b32 s2, exec_lo, s2
; %bb.93:
	v_bfe_u32 v4, v76, 16, 1
	s_delay_alu instid0(VALU_DEP_1)
	v_add3_u32 v4, v76, v4, 0x7fff
; %bb.94:
	s_and_not1_saveexec_b32 s2, s2
; %bb.95:
	v_and_b32_e32 v4, 0xffff, v76
	v_or_b32_e32 v5, 0x10000, v76
	s_delay_alu instid0(VALU_DEP_2) | instskip(NEXT) | instid1(VALU_DEP_2)
	v_cmp_eq_u32_e32 vcc_lo, 0, v4
	v_cndmask_b32_e32 v4, v5, v76, vcc_lo
; %bb.96:
	s_or_b32 exec_lo, exec_lo, s2
	v_and_b32_e32 v5, 0x7f800000, v77
	s_delay_alu instid0(VALU_DEP_1) | instskip(SKIP_1) | instid1(SALU_CYCLE_1)
	v_cmp_ne_u32_e32 vcc_lo, 0x7f800000, v5
                                        ; implicit-def: $vgpr5
	s_and_saveexec_b32 s2, vcc_lo
	s_xor_b32 s2, exec_lo, s2
; %bb.97:
	v_bfe_u32 v5, v77, 16, 1
	s_delay_alu instid0(VALU_DEP_1)
	v_add3_u32 v5, v77, v5, 0x7fff
; %bb.98:
	s_and_not1_saveexec_b32 s2, s2
; %bb.99:
	v_and_b32_e32 v5, 0xffff, v77
	v_or_b32_e32 v6, 0x10000, v77
	s_delay_alu instid0(VALU_DEP_2) | instskip(NEXT) | instid1(VALU_DEP_2)
	v_cmp_eq_u32_e32 vcc_lo, 0, v5
	v_cndmask_b32_e32 v5, v6, v77, vcc_lo
; %bb.100:
	s_or_b32 exec_lo, exec_lo, s2
	v_and_b32_e32 v6, 0x7f800000, v78
	s_delay_alu instid0(VALU_DEP_1) | instskip(SKIP_1) | instid1(SALU_CYCLE_1)
	v_cmp_ne_u32_e32 vcc_lo, 0x7f800000, v6
                                        ; implicit-def: $vgpr6
	s_and_saveexec_b32 s2, vcc_lo
	s_xor_b32 s2, exec_lo, s2
; %bb.101:
	v_bfe_u32 v6, v78, 16, 1
	s_delay_alu instid0(VALU_DEP_1)
	v_add3_u32 v6, v78, v6, 0x7fff
; %bb.102:
	s_and_not1_saveexec_b32 s2, s2
; %bb.103:
	v_and_b32_e32 v6, 0xffff, v78
	v_or_b32_e32 v7, 0x10000, v78
	s_delay_alu instid0(VALU_DEP_2) | instskip(NEXT) | instid1(VALU_DEP_2)
	v_cmp_eq_u32_e32 vcc_lo, 0, v6
	v_cndmask_b32_e32 v6, v7, v78, vcc_lo
; %bb.104:
	s_or_b32 exec_lo, exec_lo, s2
	v_and_b32_e32 v7, 0x7f800000, v79
	s_delay_alu instid0(VALU_DEP_1) | instskip(SKIP_1) | instid1(SALU_CYCLE_1)
	v_cmp_ne_u32_e32 vcc_lo, 0x7f800000, v7
                                        ; implicit-def: $vgpr7
	s_and_saveexec_b32 s2, vcc_lo
	s_xor_b32 s2, exec_lo, s2
; %bb.105:
	v_bfe_u32 v7, v79, 16, 1
	s_delay_alu instid0(VALU_DEP_1)
	v_add3_u32 v7, v79, v7, 0x7fff
; %bb.106:
	s_and_not1_saveexec_b32 s2, s2
; %bb.107:
	v_and_b32_e32 v7, 0xffff, v79
	v_or_b32_e32 v8, 0x10000, v79
	s_delay_alu instid0(VALU_DEP_2) | instskip(NEXT) | instid1(VALU_DEP_2)
	v_cmp_eq_u32_e32 vcc_lo, 0, v7
	v_cndmask_b32_e32 v7, v8, v79, vcc_lo
; %bb.108:
	s_or_b32 exec_lo, exec_lo, s2
	v_and_b32_e32 v8, 0x7f800000, v80
	s_delay_alu instid0(VALU_DEP_1) | instskip(SKIP_1) | instid1(SALU_CYCLE_1)
	v_cmp_ne_u32_e32 vcc_lo, 0x7f800000, v8
                                        ; implicit-def: $vgpr8
	s_and_saveexec_b32 s2, vcc_lo
	s_xor_b32 s2, exec_lo, s2
; %bb.109:
	v_bfe_u32 v8, v80, 16, 1
	s_delay_alu instid0(VALU_DEP_1)
	v_add3_u32 v8, v80, v8, 0x7fff
                                        ; implicit-def: $vgpr73_vgpr74_vgpr75_vgpr76_vgpr77_vgpr78_vgpr79_vgpr80
; %bb.110:
	s_and_not1_saveexec_b32 s2, s2
; %bb.111:
	v_and_b32_e32 v8, 0xffff, v80
	v_or_b32_e32 v9, 0x10000, v80
	s_delay_alu instid0(VALU_DEP_2) | instskip(NEXT) | instid1(VALU_DEP_2)
	v_cmp_eq_u32_e32 vcc_lo, 0, v8
	v_cndmask_b32_e32 v8, v9, v80, vcc_lo
; %bb.112:
	s_or_b32 exec_lo, exec_lo, s2
	s_delay_alu instid0(VALU_DEP_1)
	v_perm_b32 v7, v8, v7, 0x7060302
	v_perm_b32 v6, v6, v5, 0x7060302
	;; [unrolled: 1-line block ×4, first 2 shown]
	v_lshl_or_b32 v9, v83, 4, v90
	s_barrier
	buffer_gl0_inv
	v_cmp_eq_u32_e32 vcc_lo, 1, v87
	ds_store_b128 v9, v[4:7]
	s_waitcnt lgkmcnt(0)
	s_barrier
	buffer_gl0_inv
	ds_load_b128 v[1:4], v90
	ds_load_b128 v[5:8], v90 offset:16
	v_cmp_eq_u32_e64 s3, 2, v87
	v_cmp_eq_u32_e64 s2, 1, v88
	;; [unrolled: 1-line block ×5, first 2 shown]
	s_waitcnt lgkmcnt(1)
	v_lshrrev_b32_e32 v10, 16, v1
	s_waitcnt lgkmcnt(0)
	v_lshrrev_b32_e32 v14, 16, v5
	v_lshrrev_b32_e32 v15, 16, v6
	;; [unrolled: 1-line block ×4, first 2 shown]
	v_cndmask_b32_e64 v20, v1, v10, s2
	v_cndmask_b32_e32 v19, v5, v14, vcc_lo
	v_cndmask_b32_e64 v21, v5, v14, s2
	v_lshrrev_b32_e32 v16, 16, v7
	v_cmp_eq_u32_e64 s2, 1, v86
	v_lshrrev_b32_e32 v13, 16, v4
	v_cndmask_b32_e64 v19, v19, v6, s3
	v_lshrrev_b32_e32 v17, 16, v8
	s_delay_alu instid0(VALU_DEP_4) | instskip(SKIP_1) | instid1(VALU_DEP_4)
	v_cndmask_b32_e64 v22, v1, v10, s2
	v_cndmask_b32_e64 v23, v5, v14, s2
	;; [unrolled: 1-line block ×3, first 2 shown]
	v_cndmask_b32_e32 v18, v1, v10, vcc_lo
	v_cmp_eq_u32_e32 vcc_lo, 2, v88
	v_cmp_eq_u32_e64 s2, 2, v89
	v_cndmask_b32_e64 v22, v22, v2, s6
	v_cndmask_b32_e32 v20, v20, v2, vcc_lo
	v_cndmask_b32_e32 v21, v21, v6, vcc_lo
	v_cmp_eq_u32_e32 vcc_lo, 4, v87
	v_cndmask_b32_e32 v19, v19, v7, vcc_lo
	v_cndmask_b32_e64 v18, v18, v2, s3
	v_cmp_eq_u32_e64 s3, 3, v88
	s_delay_alu instid0(VALU_DEP_2) | instskip(NEXT) | instid1(VALU_DEP_2)
	v_cndmask_b32_e64 v18, v18, v11, s4
	v_cndmask_b32_e64 v21, v21, v15, s3
	v_cmp_eq_u32_e64 s4, 5, v87
	s_delay_alu instid0(VALU_DEP_3) | instskip(SKIP_1) | instid1(VALU_DEP_3)
	v_cndmask_b32_e32 v18, v18, v3, vcc_lo
	v_cmp_eq_u32_e32 vcc_lo, 4, v88
	v_cndmask_b32_e64 v19, v19, v16, s4
	s_delay_alu instid0(VALU_DEP_3) | instskip(SKIP_4) | instid1(VALU_DEP_3)
	v_cndmask_b32_e64 v18, v18, v12, s4
	v_cndmask_b32_e32 v21, v21, v7, vcc_lo
	v_cndmask_b32_e64 v20, v20, v11, s3
	v_cmp_eq_u32_e64 s3, 5, v88
	v_cmp_eq_u32_e64 s4, 6, v87
	v_cndmask_b32_e32 v20, v20, v3, vcc_lo
	s_delay_alu instid0(VALU_DEP_3) | instskip(SKIP_1) | instid1(VALU_DEP_4)
	v_cndmask_b32_e64 v21, v21, v16, s3
	v_cmp_eq_u32_e32 vcc_lo, 6, v88
	v_cndmask_b32_e64 v18, v18, v4, s4
	v_cndmask_b32_e64 v19, v19, v8, s4
	;; [unrolled: 1-line block ×3, first 2 shown]
	v_cmp_eq_u32_e64 s3, 1, v89
	v_cmp_eq_u32_e64 s4, 7, v87
	s_delay_alu instid0(VALU_DEP_3) | instskip(NEXT) | instid1(VALU_DEP_3)
	v_cndmask_b32_e32 v20, v20, v4, vcc_lo
	v_cndmask_b32_e64 v1, v1, v10, s3
	v_cndmask_b32_e64 v5, v5, v14, s3
	v_cmp_eq_u32_e64 s3, 3, v86
	v_cndmask_b32_e64 v14, v23, v6, s6
	v_cmp_eq_u32_e64 s6, 3, v89
	v_cndmask_b32_e64 v1, v1, v2, s2
	v_cndmask_b32_e64 v2, v5, v6, s2
	v_cndmask_b32_e64 v10, v22, v11, s3
	v_cmp_eq_u32_e64 s2, 4, v86
	v_cndmask_b32_e64 v6, v14, v15, s3
	v_cndmask_b32_e64 v1, v1, v11, s6
	v_cmp_eq_u32_e64 s3, 4, v89
	v_cndmask_b32_e64 v2, v2, v15, s6
	v_cndmask_b32_e64 v5, v10, v3, s2
	;; [unrolled: 3-line block ×3, first 2 shown]
	v_cndmask_b32_e64 v2, v2, v7, s3
	v_cmp_eq_u32_e64 s2, 5, v89
	v_cndmask_b32_e64 v5, v5, v12, s6
	v_cmp_eq_u32_e64 s3, 6, v86
	;; [unrolled: 2-line block ×3, first 2 shown]
	v_cndmask_b32_e64 v1, v1, v12, s2
	v_cndmask_b32_e64 v2, v2, v16, s2
	;; [unrolled: 1-line block ×4, first 2 shown]
	v_cmp_eq_u32_e64 s2, 7, v89
	v_cndmask_b32_e64 v1, v1, v4, s6
	v_cndmask_b32_e64 v2, v2, v8, s6
	v_cmp_eq_u32_e64 s3, 7, v86
	v_cndmask_b32_e32 v4, v21, v8, vcc_lo
	v_cndmask_b32_e64 v18, v18, v13, s4
	v_cndmask_b32_e64 v20, v20, v13, s5
	;; [unrolled: 1-line block ×8, first 2 shown]
	s_mov_b32 s2, exec_lo
	v_perm_b32 v4, v2, v1, 0x5040100
	v_perm_b32 v3, v3, v5, 0x5040100
	;; [unrolled: 1-line block ×4, first 2 shown]
	ds_store_b128 v9, v[1:4]
	s_waitcnt lgkmcnt(0)
	s_barrier
	buffer_gl0_inv
	v_cmpx_gt_u32_e32 32, v0
	s_cbranch_execz .LBB715_2
; %bb.113:
	s_load_b64 s[0:1], s[0:1], 0x68
	s_lshl_b32 s4, s34, 7
	v_or_b32_e32 v3, s29, v83
	s_mul_i32 s2, s4, s30
	v_lshlrev_b32_e32 v0, 10, v0
	s_mul_i32 s2, s2, s7
	v_lshlrev_b32_e32 v1, 4, v84
	s_ashr_i32 s3, s2, 31
	v_mul_lo_u32 v12, v3, s4
	s_lshl_b64 s[2:3], s[2:3], 1
	v_lshlrev_b32_e32 v2, 6, v83
	v_and_b32_e32 v0, 0x3800, v0
	s_delay_alu instid0(VALU_DEP_1) | instskip(NEXT) | instid1(VALU_DEP_4)
	v_or3_b32 v8, v0, v1, v2
	v_ashrrev_i32_e32 v13, 31, v12
	ds_load_b128 v[0:3], v8
	ds_load_b128 v[4:7], v8 offset:128
	ds_load_b128 v[8:11], v8 offset:256
	s_waitcnt lgkmcnt(0)
	s_add_u32 s2, s0, s2
	s_addc_u32 s3, s1, s3
	s_lshl_b32 s0, s14, 7
	s_delay_alu instid0(SALU_CYCLE_1) | instskip(NEXT) | instid1(SALU_CYCLE_1)
	s_ashr_i32 s1, s0, 31
	s_lshl_b64 s[0:1], s[0:1], 1
	s_delay_alu instid0(SALU_CYCLE_1)
	s_add_u32 s0, s2, s0
	s_addc_u32 s1, s3, s1
	s_lshl_b32 s2, s34, 8
	v_add_co_u32 v18, vcc_lo, s0, v81
	v_add_nc_u32_e32 v14, s2, v12
	v_lshlrev_b64 v[12:13], 1, v[12:13]
	v_add_co_ci_u32_e32 v19, vcc_lo, s1, v82, vcc_lo
	s_delay_alu instid0(VALU_DEP_3) | instskip(SKIP_1) | instid1(VALU_DEP_4)
	v_add_nc_u32_e32 v16, s2, v14
	v_ashrrev_i32_e32 v15, 31, v14
	v_add_co_u32 v12, vcc_lo, v18, v12
	s_delay_alu instid0(VALU_DEP_4) | instskip(NEXT) | instid1(VALU_DEP_4)
	v_add_co_ci_u32_e32 v13, vcc_lo, v19, v13, vcc_lo
	v_ashrrev_i32_e32 v17, 31, v16
	s_delay_alu instid0(VALU_DEP_4) | instskip(NEXT) | instid1(VALU_DEP_2)
	v_lshlrev_b64 v[14:15], 1, v[14:15]
	v_lshlrev_b64 v[16:17], 1, v[16:17]
	s_delay_alu instid0(VALU_DEP_2) | instskip(NEXT) | instid1(VALU_DEP_3)
	v_add_co_u32 v14, vcc_lo, v18, v14
	v_add_co_ci_u32_e32 v15, vcc_lo, v19, v15, vcc_lo
	s_delay_alu instid0(VALU_DEP_3) | instskip(NEXT) | instid1(VALU_DEP_4)
	v_add_co_u32 v16, vcc_lo, v18, v16
	v_add_co_ci_u32_e32 v17, vcc_lo, v19, v17, vcc_lo
	s_clause 0x2
	global_store_b128 v[12:13], v[0:3], off
	global_store_b128 v[14:15], v[4:7], off
	;; [unrolled: 1-line block ×3, first 2 shown]
	s_nop 0
	s_sendmsg sendmsg(MSG_DEALLOC_VGPRS)
	s_endpgm
	.section	.rodata,"a",@progbits
	.p2align	6, 0x0
	.amdhsa_kernel _Z39paged_attention_ll4mi_QKV_mfma16_kernelI14__hip_bfloat16S0_LN4vllm18Fp8KVCacheDataTypeE0EhLi32ELi128ELi256ELb0ELi6EL8MFMAType0EEvPKT_PKT0_S9_ifPKiSB_SB_iPKfiiiPfSE_PS4_PT2_iSD_SD_
		.amdhsa_group_segment_fixed_size 17472
		.amdhsa_private_segment_fixed_size 0
		.amdhsa_kernarg_size 400
		.amdhsa_user_sgpr_count 13
		.amdhsa_user_sgpr_dispatch_ptr 0
		.amdhsa_user_sgpr_queue_ptr 0
		.amdhsa_user_sgpr_kernarg_segment_ptr 1
		.amdhsa_user_sgpr_dispatch_id 0
		.amdhsa_user_sgpr_private_segment_size 0
		.amdhsa_wavefront_size32 1
		.amdhsa_uses_dynamic_stack 0
		.amdhsa_enable_private_segment 0
		.amdhsa_system_sgpr_workgroup_id_x 1
		.amdhsa_system_sgpr_workgroup_id_y 1
		.amdhsa_system_sgpr_workgroup_id_z 1
		.amdhsa_system_sgpr_workgroup_info 0
		.amdhsa_system_vgpr_workitem_id 0
		.amdhsa_next_free_vgpr 157
		.amdhsa_next_free_sgpr 38
		.amdhsa_reserve_vcc 1
		.amdhsa_float_round_mode_32 0
		.amdhsa_float_round_mode_16_64 0
		.amdhsa_float_denorm_mode_32 3
		.amdhsa_float_denorm_mode_16_64 3
		.amdhsa_dx10_clamp 1
		.amdhsa_ieee_mode 1
		.amdhsa_fp16_overflow 0
		.amdhsa_workgroup_processor_mode 1
		.amdhsa_memory_ordered 1
		.amdhsa_forward_progress 0
		.amdhsa_shared_vgpr_count 0
		.amdhsa_exception_fp_ieee_invalid_op 0
		.amdhsa_exception_fp_denorm_src 0
		.amdhsa_exception_fp_ieee_div_zero 0
		.amdhsa_exception_fp_ieee_overflow 0
		.amdhsa_exception_fp_ieee_underflow 0
		.amdhsa_exception_fp_ieee_inexact 0
		.amdhsa_exception_int_div_zero 0
	.end_amdhsa_kernel
	.section	.text._Z39paged_attention_ll4mi_QKV_mfma16_kernelI14__hip_bfloat16S0_LN4vllm18Fp8KVCacheDataTypeE0EhLi32ELi128ELi256ELb0ELi6EL8MFMAType0EEvPKT_PKT0_S9_ifPKiSB_SB_iPKfiiiPfSE_PS4_PT2_iSD_SD_,"axG",@progbits,_Z39paged_attention_ll4mi_QKV_mfma16_kernelI14__hip_bfloat16S0_LN4vllm18Fp8KVCacheDataTypeE0EhLi32ELi128ELi256ELb0ELi6EL8MFMAType0EEvPKT_PKT0_S9_ifPKiSB_SB_iPKfiiiPfSE_PS4_PT2_iSD_SD_,comdat
.Lfunc_end715:
	.size	_Z39paged_attention_ll4mi_QKV_mfma16_kernelI14__hip_bfloat16S0_LN4vllm18Fp8KVCacheDataTypeE0EhLi32ELi128ELi256ELb0ELi6EL8MFMAType0EEvPKT_PKT0_S9_ifPKiSB_SB_iPKfiiiPfSE_PS4_PT2_iSD_SD_, .Lfunc_end715-_Z39paged_attention_ll4mi_QKV_mfma16_kernelI14__hip_bfloat16S0_LN4vllm18Fp8KVCacheDataTypeE0EhLi32ELi128ELi256ELb0ELi6EL8MFMAType0EEvPKT_PKT0_S9_ifPKiSB_SB_iPKfiiiPfSE_PS4_PT2_iSD_SD_
                                        ; -- End function
	.section	.AMDGPU.csdata,"",@progbits
; Kernel info:
; codeLenInByte = 9700
; NumSgprs: 40
; NumVgprs: 157
; ScratchSize: 0
; MemoryBound: 0
; FloatMode: 240
; IeeeMode: 1
; LDSByteSize: 17472 bytes/workgroup (compile time only)
; SGPRBlocks: 4
; VGPRBlocks: 19
; NumSGPRsForWavesPerEU: 40
; NumVGPRsForWavesPerEU: 157
; Occupancy: 9
; WaveLimiterHint : 1
; COMPUTE_PGM_RSRC2:SCRATCH_EN: 0
; COMPUTE_PGM_RSRC2:USER_SGPR: 13
; COMPUTE_PGM_RSRC2:TRAP_HANDLER: 0
; COMPUTE_PGM_RSRC2:TGID_X_EN: 1
; COMPUTE_PGM_RSRC2:TGID_Y_EN: 1
; COMPUTE_PGM_RSRC2:TGID_Z_EN: 1
; COMPUTE_PGM_RSRC2:TIDIG_COMP_CNT: 0
	.section	.text._Z39paged_attention_ll4mi_QKV_mfma16_kernelI14__hip_bfloat16S0_LN4vllm18Fp8KVCacheDataTypeE0EhLi32ELi128ELi256ELb0ELi7EL8MFMAType0EEvPKT_PKT0_S9_ifPKiSB_SB_iPKfiiiPfSE_PS4_PT2_iSD_SD_,"axG",@progbits,_Z39paged_attention_ll4mi_QKV_mfma16_kernelI14__hip_bfloat16S0_LN4vllm18Fp8KVCacheDataTypeE0EhLi32ELi128ELi256ELb0ELi7EL8MFMAType0EEvPKT_PKT0_S9_ifPKiSB_SB_iPKfiiiPfSE_PS4_PT2_iSD_SD_,comdat
	.protected	_Z39paged_attention_ll4mi_QKV_mfma16_kernelI14__hip_bfloat16S0_LN4vllm18Fp8KVCacheDataTypeE0EhLi32ELi128ELi256ELb0ELi7EL8MFMAType0EEvPKT_PKT0_S9_ifPKiSB_SB_iPKfiiiPfSE_PS4_PT2_iSD_SD_ ; -- Begin function _Z39paged_attention_ll4mi_QKV_mfma16_kernelI14__hip_bfloat16S0_LN4vllm18Fp8KVCacheDataTypeE0EhLi32ELi128ELi256ELb0ELi7EL8MFMAType0EEvPKT_PKT0_S9_ifPKiSB_SB_iPKfiiiPfSE_PS4_PT2_iSD_SD_
	.globl	_Z39paged_attention_ll4mi_QKV_mfma16_kernelI14__hip_bfloat16S0_LN4vllm18Fp8KVCacheDataTypeE0EhLi32ELi128ELi256ELb0ELi7EL8MFMAType0EEvPKT_PKT0_S9_ifPKiSB_SB_iPKfiiiPfSE_PS4_PT2_iSD_SD_
	.p2align	8
	.type	_Z39paged_attention_ll4mi_QKV_mfma16_kernelI14__hip_bfloat16S0_LN4vllm18Fp8KVCacheDataTypeE0EhLi32ELi128ELi256ELb0ELi7EL8MFMAType0EEvPKT_PKT0_S9_ifPKiSB_SB_iPKfiiiPfSE_PS4_PT2_iSD_SD_,@function
_Z39paged_attention_ll4mi_QKV_mfma16_kernelI14__hip_bfloat16S0_LN4vllm18Fp8KVCacheDataTypeE0EhLi32ELi128ELi256ELb0ELi7EL8MFMAType0EEvPKT_PKT0_S9_ifPKiSB_SB_iPKfiiiPfSE_PS4_PT2_iSD_SD_: ; @_Z39paged_attention_ll4mi_QKV_mfma16_kernelI14__hip_bfloat16S0_LN4vllm18Fp8KVCacheDataTypeE0EhLi32ELi128ELi256ELb0ELi7EL8MFMAType0EEvPKT_PKT0_S9_ifPKiSB_SB_iPKfiiiPfSE_PS4_PT2_iSD_SD_
; %bb.0:
	s_load_b64 s[2:3], s[0:1], 0x30
	s_mov_b32 s30, s13
	s_waitcnt lgkmcnt(0)
	s_cmp_lg_u64 s[2:3], 0
	s_cselect_b32 s6, -1, 0
	s_ashr_i32 s31, s13, 31
	s_cmp_eq_u64 s[2:3], 0
	s_cbranch_scc1 .LBB716_3
; %bb.1:
	s_lshl_b64 s[4:5], s[30:31], 2
	s_delay_alu instid0(SALU_CYCLE_1) | instskip(SKIP_4) | instid1(SALU_CYCLE_1)
	s_add_u32 s4, s2, s4
	s_addc_u32 s5, s3, s5
	s_load_b64 s[4:5], s[4:5], 0x0
	s_waitcnt lgkmcnt(0)
	s_sub_i32 s4, s5, s4
	s_cmp_eq_u32 s4, 1
	s_cselect_b32 s4, -1, 0
	s_delay_alu instid0(SALU_CYCLE_1)
	s_and_not1_b32 vcc_lo, exec_lo, s4
	s_cbranch_vccz .LBB716_4
.LBB716_2:
	s_nop 0
	s_sendmsg sendmsg(MSG_DEALLOC_VGPRS)
	s_endpgm
.LBB716_3:
.LBB716_4:
	s_load_b64 s[8:9], s[0:1], 0x28
	s_lshl_b64 s[4:5], s[30:31], 2
	s_waitcnt lgkmcnt(0)
	s_add_u32 s8, s8, s4
	s_addc_u32 s9, s9, s5
	s_lshl_b32 s12, s14, 8
	s_load_b32 s17, s[8:9], 0x0
	s_waitcnt lgkmcnt(0)
	s_cmp_ge_i32 s12, s17
	s_cbranch_scc1 .LBB716_2
; %bb.5:
	s_and_not1_b32 vcc_lo, exec_lo, s6
	s_cbranch_vccnz .LBB716_7
; %bb.6:
	s_add_u32 s2, s2, s4
	s_addc_u32 s3, s3, s5
	s_load_b32 s13, s[2:3], 0x0
	s_branch .LBB716_8
.LBB716_7:
	s_mov_b32 s13, s30
.LBB716_8:
	s_clause 0x2
	s_load_b128 s[8:11], s[0:1], 0x8
	s_load_b64 s[2:3], s[0:1], 0x20
	s_load_b128 s[4:7], s[0:1], 0x48
	v_lshrrev_b32_e32 v74, 5, v0
	v_bfe_u32 v83, v0, 4, 1
	v_and_b32_e32 v73, 15, v0
	s_waitcnt lgkmcnt(0)
	s_mov_b32 s7, exec_lo
	s_delay_alu instid0(VALU_DEP_2) | instskip(NEXT) | instid1(VALU_DEP_2)
	v_lshl_or_b32 v3, v74, 1, v83
	v_lshlrev_b32_e32 v1, 3, v73
	s_delay_alu instid0(VALU_DEP_2)
	v_cmpx_lt_u32_e32 6, v3
	s_xor_b32 s7, exec_lo, s7
; %bb.9:
	v_mov_b32_e32 v2, 0
                                        ; implicit-def: $vgpr3
; %bb.10:
	s_or_saveexec_b32 s7, s7
	v_and_b32_e32 v75, 31, v0
	v_and_b32_e32 v84, 1, v0
	s_mul_i32 s31, s15, 7
	s_xor_b32 exec_lo, exec_lo, s7
	s_cbranch_execz .LBB716_12
; %bb.11:
	s_load_b64 s[18:19], s[0:1], 0x0
	v_add_lshl_u32 v4, v3, s31, 7
	s_mul_hi_i32 s21, s13, s4
	s_mul_i32 s20, s13, s4
	v_lshlrev_b32_e32 v2, 1, v1
	s_lshl_b64 s[20:21], s[20:21], 1
	v_ashrrev_i32_e32 v5, 31, v4
	v_lshlrev_b32_e32 v3, 6, v3
	v_lshlrev_b32_e32 v8, 10, v84
	s_delay_alu instid0(VALU_DEP_3) | instskip(SKIP_3) | instid1(VALU_DEP_1)
	v_lshlrev_b64 v[4:5], 1, v[4:5]
	s_waitcnt lgkmcnt(0)
	s_add_u32 s4, s18, s20
	s_addc_u32 s13, s19, s21
	v_add_co_u32 v4, vcc_lo, s4, v4
	s_delay_alu instid0(VALU_DEP_2) | instskip(NEXT) | instid1(VALU_DEP_2)
	v_add_co_ci_u32_e32 v5, vcc_lo, s13, v5, vcc_lo
	v_add_co_u32 v4, vcc_lo, v4, v2
	s_delay_alu instid0(VALU_DEP_2) | instskip(SKIP_3) | instid1(VALU_DEP_1)
	v_add_co_ci_u32_e32 v5, vcc_lo, 0, v5, vcc_lo
	v_lshlrev_b32_e32 v2, 10, v73
	global_load_b128 v[4:7], v[4:5], off
	v_and_b32_e32 v2, 0x3800, v2
	v_or3_b32 v3, v2, v8, v3
	v_mov_b32_e32 v2, 0
	s_waitcnt vmcnt(0)
	ds_store_b128 v3, v[4:7]
.LBB716_12:
	s_or_b32 exec_lo, exec_lo, s7
	v_and_b32_e32 v3, 0xef, v0
	v_mul_lo_u16 v80, v73, 37
	s_add_i32 s4, s17, 31
	s_clause 0x1
	s_load_b32 s7, s[0:1], 0x38
	s_load_b32 s18, s[0:1], 0x1c
	v_add_nc_u32_e32 v3, s12, v3
	v_lshrrev_b16 v80, 8, v80
	s_ashr_i32 s13, s4, 31
	s_waitcnt lgkmcnt(0)
	s_lshr_b32 s13, s13, 27
	v_ashrrev_i32_e32 v4, 31, v3
	v_mul_lo_u16 v80, v80, 7
	s_add_i32 s4, s4, s13
	v_cmp_gt_i32_e32 vcc_lo, s17, v3
	s_ashr_i32 s4, s4, 5
	v_lshrrev_b32_e32 v5, 27, v4
	v_or_b32_e32 v4, 16, v3
	v_sub_nc_u16 v80, v73, v80
	s_add_i32 s4, s4, -1
	s_barrier
	v_add_nc_u32_e32 v6, v3, v5
	v_add_nc_u32_e32 v5, v4, v5
	v_and_b32_e32 v80, 0xff, v80
	s_mul_i32 s20, s30, s7
	buffer_gl0_inv
	v_ashrrev_i32_e32 v6, 5, v6
	v_ashrrev_i32_e32 v5, 5, v5
	s_ashr_i32 s21, s20, 31
	v_lshlrev_b64 v[81:82], 1, v[1:2]
	s_lshl_b64 s[20:21], s[20:21], 2
	v_dual_cndmask_b32 v3, s4, v6 :: v_dual_lshlrev_b32 v80, 6, v80
	v_cmp_gt_i32_e32 vcc_lo, s17, v4
	s_add_u32 s13, s2, s20
	s_addc_u32 s16, s3, s21
	s_delay_alu instid0(VALU_DEP_2) | instskip(SKIP_3) | instid1(SALU_CYCLE_1)
	v_ashrrev_i32_e32 v4, 31, v3
	s_mul_i32 s2, s15, s6
	v_cndmask_b32_e32 v5, s4, v5, vcc_lo
	s_ashr_i32 s3, s2, 31
	s_lshl_b64 s[2:3], s[2:3], 1
	v_lshlrev_b64 v[3:4], 2, v[3:4]
	s_delay_alu instid0(VALU_DEP_2) | instskip(SKIP_3) | instid1(VALU_DEP_1)
	v_ashrrev_i32_e32 v6, 31, v5
	s_add_u32 s15, s8, s2
	s_addc_u32 s19, s9, s3
	s_lshl_b32 s6, s14, 3
	v_lshlrev_b64 v[5:6], 2, v[5:6]
	v_add_co_u32 v3, vcc_lo, s13, v3
	v_add_co_ci_u32_e32 v4, vcc_lo, s16, v4, vcc_lo
	s_ashr_i32 s7, s6, 31
	s_delay_alu instid0(VALU_DEP_3) | instskip(NEXT) | instid1(VALU_DEP_4)
	v_add_co_u32 v5, vcc_lo, s13, v5
	v_add_co_ci_u32_e32 v6, vcc_lo, s16, v6, vcc_lo
	s_clause 0x1
	global_load_b32 v7, v[3:4], off
	global_load_b32 v8, v[5:6], off
	s_lshl_b64 s[6:7], s[6:7], 2
	s_delay_alu instid0(SALU_CYCLE_1) | instskip(SKIP_2) | instid1(SALU_CYCLE_1)
	s_add_u32 s6, s13, s6
	s_addc_u32 s7, s16, s7
	s_or_b32 s8, s12, 32
	s_ashr_i32 s9, s8, 5
	s_cmp_lt_i32 s8, s17
	s_cselect_b32 s8, s9, s4
	s_delay_alu instid0(SALU_CYCLE_1) | instskip(NEXT) | instid1(SALU_CYCLE_1)
	s_ashr_i32 s9, s8, 31
	s_lshl_b64 s[8:9], s[8:9], 2
	s_delay_alu instid0(SALU_CYCLE_1) | instskip(SKIP_2) | instid1(SALU_CYCLE_1)
	s_add_u32 s8, s13, s8
	s_addc_u32 s9, s16, s9
	s_or_b32 s20, s12, 64
	s_ashr_i32 s21, s20, 5
	s_cmp_lt_i32 s20, s17
	s_cselect_b32 s20, s21, s4
	s_delay_alu instid0(SALU_CYCLE_1) | instskip(NEXT) | instid1(SALU_CYCLE_1)
	s_ashr_i32 s21, s20, 31
	;; [unrolled: 10-line block ×5, first 2 shown]
	s_lshl_b64 s[26:27], s[26:27], 2
	s_delay_alu instid0(SALU_CYCLE_1)
	s_add_u32 s26, s13, s26
	s_addc_u32 s27, s16, s27
	s_clause 0x5
	s_load_b32 s28, s[6:7], 0x0
	s_load_b32 s29, s[8:9], 0x0
	;; [unrolled: 1-line block ×6, first 2 shown]
	s_mov_b32 s20, 0
	s_or_b32 s6, s12, 0xc0
	s_mov_b32 s27, s20
	s_mov_b32 s21, s20
	;; [unrolled: 1-line block ×7, first 2 shown]
	s_delay_alu instid0(SALU_CYCLE_1)
	v_dual_mov_b32 v108, s27 :: v_dual_mov_b32 v107, s26
	v_dual_mov_b32 v106, s25 :: v_dual_mov_b32 v105, s24
	;; [unrolled: 1-line block ×4, first 2 shown]
	s_ashr_i32 s7, s6, 5
	s_cmp_lt_i32 s6, s17
	s_waitcnt lgkmcnt(0)
	s_mul_hi_i32 s9, s28, s5
	s_cselect_b32 s6, s7, s4
	s_mul_i32 s8, s28, s5
	s_ashr_i32 s7, s6, 31
	s_mul_hi_i32 s21, s29, s5
	s_lshl_b64 s[6:7], s[6:7], 2
	s_mul_i32 s20, s29, s5
	s_add_u32 s6, s13, s6
	s_addc_u32 s7, s16, s7
	s_mul_hi_i32 s25, s33, s5
	s_mul_i32 s24, s33, s5
	s_mul_hi_i32 s27, s34, s5
	s_mul_i32 s26, s34, s5
	s_mul_i32 s34, s36, s5
	s_waitcnt vmcnt(1)
	v_mad_i64_i32 v[3:4], null, v7, s5, 0
	s_waitcnt vmcnt(0)
	v_mad_i64_i32 v[5:6], null, v8, s5, 0
	s_delay_alu instid0(VALU_DEP_2) | instskip(NEXT) | instid1(VALU_DEP_2)
	v_lshlrev_b64 v[3:4], 1, v[3:4]
	v_lshlrev_b64 v[1:2], 1, v[5:6]
	s_delay_alu instid0(VALU_DEP_2) | instskip(NEXT) | instid1(VALU_DEP_3)
	v_add_co_u32 v3, vcc_lo, s15, v3
	v_add_co_ci_u32_e32 v4, vcc_lo, s19, v4, vcc_lo
	s_delay_alu instid0(VALU_DEP_3) | instskip(NEXT) | instid1(VALU_DEP_4)
	v_add_co_u32 v1, vcc_lo, s15, v1
	v_add_co_ci_u32_e32 v2, vcc_lo, s19, v2, vcc_lo
	s_delay_alu instid0(VALU_DEP_4) | instskip(NEXT) | instid1(VALU_DEP_4)
	v_add_co_u32 v65, vcc_lo, v3, v81
	v_add_co_ci_u32_e32 v66, vcc_lo, v4, v82, vcc_lo
	s_delay_alu instid0(VALU_DEP_4) | instskip(NEXT) | instid1(VALU_DEP_4)
	v_add_co_u32 v76, vcc_lo, v1, v81
	v_add_co_ci_u32_e32 v77, vcc_lo, v2, v82, vcc_lo
	s_clause 0xf
	global_load_b128 v[1:4], v[65:66], off
	global_load_b128 v[5:8], v[65:66], off offset:512
	global_load_b128 v[9:12], v[76:77], off offset:256
	;; [unrolled: 1-line block ×15, first 2 shown]
	v_add_co_u32 v78, vcc_lo, 0x1000, v65
	v_add_co_ci_u32_e32 v79, vcc_lo, 0, v66, vcc_lo
	v_add_co_u32 v76, vcc_lo, 0x1000, v76
	s_clause 0x1
	global_load_b128 v[65:68], v[78:79], off
	global_load_b128 v[69:72], v[78:79], off offset:512
	v_add_co_ci_u32_e32 v77, vcc_lo, 0, v77, vcc_lo
	ds_load_b128 v[85:88], v80
	ds_load_b128 v[89:92], v80 offset:1024
	s_clause 0x1
	global_load_b128 v[93:96], v[76:77], off offset:256
	global_load_b128 v[97:100], v[76:77], off offset:768
	ds_load_b128 v[109:112], v80 offset:2048
	ds_load_b128 v[113:116], v80 offset:3072
	s_or_b32 s15, s12, 0xe0
	s_delay_alu instid0(SALU_CYCLE_1) | instskip(SKIP_2) | instid1(SALU_CYCLE_1)
	s_ashr_i32 s19, s15, 5
	s_cmp_lt_i32 s15, s17
	s_cselect_b32 s22, s19, s4
	s_ashr_i32 s23, s22, 31
	s_delay_alu instid0(SALU_CYCLE_1) | instskip(NEXT) | instid1(SALU_CYCLE_1)
	s_lshl_b64 s[22:23], s[22:23], 2
	s_add_u32 s22, s13, s22
	s_addc_u32 s23, s16, s23
	s_add_i32 s15, s12, 0x100
	s_delay_alu instid0(SALU_CYCLE_1) | instskip(SKIP_2) | instid1(SALU_CYCLE_1)
	s_ashr_i32 s19, s15, 5
	s_cmp_lt_i32 s15, s17
	s_cselect_b32 s28, s19, s4
	s_ashr_i32 s29, s28, 31
	s_delay_alu instid0(SALU_CYCLE_1) | instskip(NEXT) | instid1(SALU_CYCLE_1)
	s_lshl_b64 s[28:29], s[28:29], 2
	s_add_u32 s28, s13, s28
	s_addc_u32 s29, s16, s29
	s_add_u32 s4, s10, s2
	s_addc_u32 s19, s11, s3
	s_lshl_b64 s[2:3], s[8:9], 1
	s_lshl_b64 s[8:9], s[20:21], 1
	;; [unrolled: 1-line block ×4, first 2 shown]
	s_waitcnt vmcnt(18) lgkmcnt(2)
	v_wmma_f32_16x16x16_bf16 v[117:124], v[1:8], v[85:92], v[101:108]
	s_waitcnt vmcnt(16)
	v_wmma_f32_16x16x16_bf16 v[101:108], v[9:16], v[85:92], v[101:108]
	s_clause 0x3
	global_load_b128 v[1:4], v[78:79], off offset:1024
	global_load_b128 v[5:8], v[78:79], off offset:1536
	;; [unrolled: 1-line block ×4, first 2 shown]
	s_waitcnt vmcnt(18) lgkmcnt(0)
	v_wmma_f32_16x16x16_bf16 v[117:124], v[17:24], v[109:116], v[117:124]
	s_clause 0x1
	global_load_b128 v[17:20], v[78:79], off offset:2048
	global_load_b128 v[21:24], v[78:79], off offset:2560
	s_waitcnt vmcnt(18)
	v_wmma_f32_16x16x16_bf16 v[101:108], v[25:32], v[109:116], v[101:108]
	ds_load_b128 v[25:28], v80 offset:4096
	ds_load_b128 v[29:32], v80 offset:5120
	s_clause 0x5
	global_load_b128 v[109:112], v[76:77], off offset:2304
	global_load_b128 v[113:116], v[76:77], off offset:2816
	;; [unrolled: 1-line block ×6, first 2 shown]
	s_waitcnt vmcnt(22) lgkmcnt(0)
	v_wmma_f32_16x16x16_bf16 v[117:124], v[33:40], v[25:32], v[117:124]
	s_waitcnt vmcnt(20)
	v_wmma_f32_16x16x16_bf16 v[101:108], v[41:48], v[25:32], v[101:108]
	ds_load_b128 v[25:28], v80 offset:6144
	ds_load_b128 v[29:32], v80 offset:7168
	;; [unrolled: 1-line block ×4, first 2 shown]
	s_waitcnt vmcnt(18) lgkmcnt(2)
	v_wmma_f32_16x16x16_bf16 v[117:124], v[49:56], v[25:32], v[117:124]
	s_waitcnt vmcnt(16)
	v_wmma_f32_16x16x16_bf16 v[101:108], v[57:64], v[25:32], v[101:108]
	ds_load_b128 v[25:28], v80 offset:10240
	ds_load_b128 v[29:32], v80 offset:11264
	;; [unrolled: 1-line block ×6, first 2 shown]
	s_waitcnt vmcnt(14) lgkmcnt(6)
	v_wmma_f32_16x16x16_bf16 v[117:124], v[65:72], v[33:40], v[117:124]
	s_waitcnt vmcnt(12)
	v_wmma_f32_16x16x16_bf16 v[101:108], v[93:100], v[33:40], v[101:108]
	s_clause 0x2
	s_load_b32 s15, s[6:7], 0x0
	s_load_b32 s13, s[22:23], 0x0
	;; [unrolled: 1-line block ×3, first 2 shown]
	s_mul_hi_i32 s7, s35, s5
	s_mul_i32 s6, s35, s5
	s_mul_hi_i32 s35, s36, s5
	s_lshl_b64 s[6:7], s[6:7], 1
	s_lshl_b64 s[22:23], s[34:35], 1
	s_waitcnt lgkmcnt(0)
	s_mul_hi_i32 s25, s15, s5
	s_mul_i32 s24, s15, s5
	s_waitcnt vmcnt(10)
	v_wmma_f32_16x16x16_bf16 v[117:124], v[1:8], v[25:32], v[117:124]
	s_waitcnt vmcnt(8)
	v_wmma_f32_16x16x16_bf16 v[101:108], v[9:16], v[25:32], v[101:108]
	s_waitcnt vmcnt(6)
	s_delay_alu instid0(VALU_DEP_2) | instskip(SKIP_1) | instid1(VALU_DEP_2)
	v_wmma_f32_16x16x16_bf16 v[117:124], v[17:24], v[141:148], v[117:124]
	s_waitcnt vmcnt(4)
	v_wmma_f32_16x16x16_bf16 v[101:108], v[109:116], v[141:148], v[101:108]
	s_waitcnt vmcnt(2)
	s_delay_alu instid0(VALU_DEP_2) | instskip(SKIP_3) | instid1(VALU_DEP_3)
	v_wmma_f32_16x16x16_bf16 v[117:124], v[125:132], v[149:156], v[117:124]
	v_lshlrev_b32_e32 v85, 6, v73
	s_waitcnt vmcnt(0)
	v_wmma_f32_16x16x16_bf16 v[101:108], v[133:140], v[149:156], v[101:108]
	v_mul_f32_e32 v100, s18, v124
	s_delay_alu instid0(VALU_DEP_3) | instskip(SKIP_2) | instid1(VALU_DEP_3)
	v_lshl_or_b32 v41, v74, 10, v85
	v_mul_f32_e32 v97, s18, v117
	v_mul_f32_e32 v99, s18, v118
	v_add_co_u32 v76, s4, s4, v41
	s_delay_alu instid0(VALU_DEP_1) | instskip(NEXT) | instid1(VALU_DEP_2)
	v_add_co_ci_u32_e64 v77, null, s19, 0, s4
	v_add_co_u32 v41, vcc_lo, v76, s2
	s_delay_alu instid0(VALU_DEP_2)
	v_add_co_ci_u32_e32 v42, vcc_lo, s3, v77, vcc_lo
	v_add_co_u32 v33, vcc_lo, v76, s8
	v_add_co_ci_u32_e32 v34, vcc_lo, s9, v77, vcc_lo
	v_add_co_u32 v35, vcc_lo, v76, s10
	v_add_co_ci_u32_e32 v36, vcc_lo, s11, v77, vcc_lo
	v_add_co_u32 v37, vcc_lo, v76, s20
	v_add_co_ci_u32_e32 v38, vcc_lo, s21, v77, vcc_lo
	v_add_co_u32 v39, vcc_lo, v76, s6
	v_add_co_ci_u32_e32 v40, vcc_lo, s7, v77, vcc_lo
	v_add_co_u32 v5, vcc_lo, v76, s22
	s_lshl_b64 s[2:3], s[24:25], 1
	v_add_co_ci_u32_e32 v6, vcc_lo, s23, v77, vcc_lo
	s_mul_hi_i32 s7, s13, s5
	s_mul_i32 s6, s13, s5
	v_add_co_u32 v17, vcc_lo, v76, s2
	v_add_co_ci_u32_e32 v18, vcc_lo, s3, v77, vcc_lo
	s_lshl_b64 s[2:3], s[6:7], 1
	s_mul_hi_i32 s7, s16, s5
	s_mul_i32 s6, s16, s5
	v_add_co_u32 v19, vcc_lo, v76, s2
	v_add_co_ci_u32_e32 v20, vcc_lo, s3, v77, vcc_lo
	s_lshl_b64 s[2:3], s[6:7], 1
	s_clause 0x1
	global_load_b128 v[65:68], v[41:42], off
	global_load_b128 v[69:72], v[41:42], off offset:16
	v_add_co_u32 v21, vcc_lo, v76, s2
	v_add_co_ci_u32_e32 v22, vcc_lo, s3, v77, vcc_lo
	s_clause 0xf
	global_load_b128 v[57:60], v[33:34], off
	global_load_b128 v[61:64], v[33:34], off offset:16
	global_load_b128 v[49:52], v[35:36], off
	global_load_b128 v[53:56], v[35:36], off offset:16
	;; [unrolled: 2-line block ×8, first 2 shown]
	v_mbcnt_lo_u32_b32 v77, -1, 0
	v_and_b32_e32 v76, 0xe0, v0
	s_waitcnt vmcnt(0)
	s_barrier
	buffer_gl0_inv
	v_xor_b32_e32 v78, 16, v77
	s_delay_alu instid0(VALU_DEP_1) | instskip(SKIP_1) | instid1(VALU_DEP_1)
	v_cmp_gt_i32_e32 vcc_lo, 32, v78
	v_dual_cndmask_b32 v77, v77, v78 :: v_dual_add_nc_u32 v76, s12, v76
	v_or_b32_e32 v76, v76, v83
	s_delay_alu instid0(VALU_DEP_1)
	v_or_b32_e32 v78, 2, v76
	v_or_b32_e32 v79, 4, v76
	;; [unrolled: 1-line block ×3, first 2 shown]
	v_cmp_gt_i32_e32 vcc_lo, s17, v76
	v_or_b32_e32 v86, 8, v76
	v_cmp_gt_i32_e64 s2, s17, v78
	v_or_b32_e32 v87, 10, v76
	v_or_b32_e32 v88, 12, v76
	;; [unrolled: 1-line block ×11, first 2 shown]
	v_cndmask_b32_e64 v78, 0xff7fffff, v99, s2
	v_mul_f32_e32 v99, s18, v120
	v_cmp_gt_i32_e64 s3, s17, v80
	v_mul_f32_e32 v80, s18, v119
	v_cndmask_b32_e32 v76, 0xff7fffff, v97, vcc_lo
	v_cmp_gt_i32_e64 s4, s17, v79
	v_mul_f32_e32 v79, s18, v122
	v_cmp_gt_i32_e64 s5, s17, v86
	v_cmp_gt_i32_e64 s6, s17, v87
	v_max3_f32 v76, v76, 0xff7fffff, v78
	v_mul_f32_e32 v78, s18, v121
	v_cndmask_b32_e64 v80, 0xff7fffff, v80, s4
	v_mul_f32_e32 v86, s18, v107
	v_cndmask_b32_e64 v99, 0xff7fffff, v99, s3
	;; [unrolled: 2-line block ×3, first 2 shown]
	v_cndmask_b32_e64 v79, 0xff7fffff, v79, s6
	v_cmp_gt_i32_e64 s7, s17, v89
	v_max3_f32 v76, v76, v80, v99
	v_mul_f32_e32 v80, s18, v108
	v_cmp_gt_i32_e64 s8, s17, v88
	v_dual_mul_f32 v99, s18, v105 :: v_dual_mul_f32 v88, s18, v102
	s_delay_alu instid0(VALU_DEP_4) | instskip(SKIP_1) | instid1(VALU_DEP_4)
	v_max3_f32 v76, v76, v78, v79
	v_mul_f32_e32 v89, s18, v101
	v_cndmask_b32_e64 v97, 0xff7fffff, v97, s8
	v_cndmask_b32_e64 v100, 0xff7fffff, v100, s7
	v_cmp_gt_i32_e64 s9, s17, v90
	v_cmp_gt_i32_e64 s10, s17, v91
	v_dual_mul_f32 v78, s18, v104 :: v_dual_mul_f32 v79, s18, v103
	s_delay_alu instid0(VALU_DEP_4) | instskip(NEXT) | instid1(VALU_DEP_4)
	v_max3_f32 v76, v76, v97, v100
	v_cndmask_b32_e64 v89, 0xff7fffff, v89, s9
	s_delay_alu instid0(VALU_DEP_4)
	v_cndmask_b32_e64 v88, 0xff7fffff, v88, s10
	v_cmp_gt_i32_e64 s11, s17, v92
	v_cmp_gt_i32_e64 s12, s17, v93
	v_mul_f32_e32 v87, s18, v106
	v_cmp_gt_i32_e64 s13, s17, v94
	v_max3_f32 v76, v76, v89, v88
	v_cndmask_b32_e64 v79, 0xff7fffff, v79, s11
	v_cndmask_b32_e64 v78, 0xff7fffff, v78, s12
	v_cmp_gt_i32_e64 s15, s17, v95
	v_cndmask_b32_e64 v88, 0xff7fffff, v99, s13
	v_cmp_gt_i32_e64 s16, s17, v96
	v_cmp_gt_i32_e64 s17, s17, v98
	v_max3_f32 v76, v76, v79, v78
	v_cndmask_b32_e64 v87, 0xff7fffff, v87, s15
	v_lshlrev_b32_e32 v99, 2, v77
	v_cndmask_b32_e64 v78, 0xff7fffff, v86, s16
	v_cndmask_b32_e64 v79, 0xff7fffff, v80, s17
	s_delay_alu instid0(VALU_DEP_4) | instskip(NEXT) | instid1(VALU_DEP_1)
	v_max3_f32 v76, v76, v88, v87
	v_max3_f32 v76, v76, v78, v79
	ds_bpermute_b32 v77, v99, v76
	s_waitcnt lgkmcnt(0)
	v_max_f32_e32 v77, v77, v77
	s_delay_alu instid0(VALU_DEP_1) | instskip(NEXT) | instid1(VALU_DEP_1)
	v_max_f32_e32 v76, v76, v77
	v_fma_f32 v80, s18, v120, -v76
	v_fma_f32 v77, s18, v117, -v76
	;; [unrolled: 1-line block ×5, first 2 shown]
	v_mul_f32_e32 v80, 0x3fb8aa3b, v80
	v_fma_f32 v87, s18, v123, -v76
	v_mul_f32_e32 v78, 0x3fb8aa3b, v78
	v_fma_f32 v88, s18, v105, -v76
	v_mul_f32_e32 v86, 0x3fb8aa3b, v86
	v_exp_f32_e32 v80, v80
	v_fma_f32 v90, s18, v107, -v76
	v_exp_f32_e32 v78, v78
	v_fma_f32 v100, s18, v108, -v76
	v_exp_f32_e32 v86, v86
	v_mul_f32_e32 v88, 0x3fb8aa3b, v88
	s_delay_alu instid0(VALU_DEP_2) | instskip(NEXT) | instid1(TRANS32_DEP_3)
	v_mul_f32_e32 v100, 0x3fb8aa3b, v100
	v_cndmask_b32_e64 v95, 0, v80, s3
	v_mul_f32_e32 v77, 0x3fb8aa3b, v77
	s_delay_alu instid0(TRANS32_DEP_2) | instskip(SKIP_1) | instid1(TRANS32_DEP_1)
	v_cndmask_b32_e64 v91, 0, v78, s2
	v_fma_f32 v80, s18, v101, -v76
	v_cndmask_b32_e64 v96, 0, v86, s5
	v_fma_f32 v86, s18, v102, -v76
	v_exp_f32_e32 v77, v77
	s_delay_alu instid0(VALU_DEP_3) | instskip(SKIP_1) | instid1(VALU_DEP_2)
	v_dual_mul_f32 v79, 0x3fb8aa3b, v79 :: v_dual_mul_f32 v80, 0x3fb8aa3b, v80
	v_exp_f32_e32 v88, v88
	v_mul_f32_e32 v86, 0x3fb8aa3b, v86
	v_cmp_gt_u32_e64 s2, 16, v75
	v_exp_f32_e32 v100, v100
	v_exp_f32_e32 v80, v80
	s_delay_alu instid0(VALU_DEP_2) | instskip(SKIP_3) | instid1(VALU_DEP_1)
	v_exp_f32_e32 v86, v86
	v_cndmask_b32_e32 v92, 0, v77, vcc_lo
	v_exp_f32_e32 v79, v79
	v_fma_f32 v77, s18, v122, -v76
	v_dual_add_f32 v78, 0, v92 :: v_dual_mul_f32 v77, 0x3fb8aa3b, v77
	s_delay_alu instid0(VALU_DEP_1)
	v_add_f32_e32 v78, v78, v91
	s_waitcnt_depctr 0xfff
	v_cndmask_b32_e64 v93, 0, v79, s4
	v_fma_f32 v79, s18, v124, -v76
	v_mul_f32_e32 v87, 0x3fb8aa3b, v87
	v_exp_f32_e32 v77, v77
	s_delay_alu instid0(VALU_DEP_2) | instskip(NEXT) | instid1(VALU_DEP_2)
	v_dual_add_f32 v78, v78, v93 :: v_dual_mul_f32 v79, 0x3fb8aa3b, v79
	v_exp_f32_e32 v87, v87
	s_delay_alu instid0(VALU_DEP_1) | instskip(NEXT) | instid1(VALU_DEP_2)
	v_add_f32_e32 v78, v78, v95
	v_exp_f32_e32 v79, v79
	s_delay_alu instid0(TRANS32_DEP_3) | instskip(NEXT) | instid1(VALU_DEP_2)
	v_cndmask_b32_e64 v97, 0, v77, s6
	v_add_f32_e32 v77, v78, v96
	v_fma_f32 v78, s18, v103, -v76
	s_waitcnt_depctr 0xfff
	v_cndmask_b32_e64 v94, 0, v87, s8
	v_fma_f32 v87, s18, v104, -v76
	v_dual_add_f32 v77, v77, v97 :: v_dual_mul_f32 v78, 0x3fb8aa3b, v78
	v_cndmask_b32_e64 v98, 0, v79, s7
	s_delay_alu instid0(VALU_DEP_2) | instskip(SKIP_4) | instid1(VALU_DEP_2)
	v_add_f32_e32 v79, v77, v94
	v_cndmask_b32_e64 v77, 0, v80, s9
	v_fma_f32 v80, s18, v106, -v76
	v_exp_f32_e32 v89, v78
	v_cndmask_b32_e64 v78, 0, v86, s10
	v_dual_add_f32 v79, v79, v98 :: v_dual_mul_f32 v80, 0x3fb8aa3b, v80
	s_delay_alu instid0(VALU_DEP_1) | instskip(NEXT) | instid1(VALU_DEP_1)
	v_dual_mul_f32 v87, 0x3fb8aa3b, v87 :: v_dual_add_f32 v86, v79, v77
	v_exp_f32_e32 v87, v87
	s_waitcnt_depctr 0xfff
	v_cndmask_b32_e64 v79, 0, v89, s11
	v_add_f32_e32 v86, v86, v78
	v_mul_f32_e32 v89, 0x3fb8aa3b, v90
	v_exp_f32_e32 v90, v80
	v_cndmask_b32_e64 v80, 0, v87, s12
	s_delay_alu instid0(VALU_DEP_3) | instskip(SKIP_1) | instid1(VALU_DEP_2)
	v_add_f32_e32 v87, v86, v79
	v_cndmask_b32_e64 v86, 0, v88, s13
	v_add_f32_e32 v88, v87, v80
	v_exp_f32_e32 v89, v89
	s_waitcnt_depctr 0xfff
	v_cndmask_b32_e64 v87, 0, v90, s15
	v_add_f32_e32 v90, v88, v86
	v_cndmask_b32_e64 v88, 0, v89, s16
	s_delay_alu instid0(VALU_DEP_2) | instskip(NEXT) | instid1(VALU_DEP_1)
	v_add_f32_e32 v89, v90, v87
	v_add_f32_e32 v90, v89, v88
	v_cndmask_b32_e64 v89, 0, v100, s17
	s_delay_alu instid0(VALU_DEP_1)
	v_add_f32_e32 v90, v90, v89
	ds_bpermute_b32 v99, v99, v90
	s_and_saveexec_b32 s3, s2
	s_cbranch_execz .LBB716_14
; %bb.13:
	v_mul_u32_u24_e32 v75, 0x44, v74
	s_waitcnt lgkmcnt(0)
	v_add_f32_e32 v90, v90, v99
	s_delay_alu instid0(VALU_DEP_2) | instskip(NEXT) | instid1(VALU_DEP_1)
	v_lshl_add_u32 v75, v73, 2, v75
	v_add_nc_u32_e32 v75, 0x4000, v75
	ds_store_2addr_b32 v75, v76, v90 offset1:136
.LBB716_14:
	s_or_b32 exec_lo, exec_lo, s3
	v_lshlrev_b32_e32 v75, 2, v73
	s_waitcnt lgkmcnt(0)
	s_barrier
	buffer_gl0_inv
	v_cmp_eq_u32_e64 s3, 1, v74
	v_add_nc_u32_e32 v90, 0x4000, v75
	ds_load_2addr_b32 v[99:100], v90 offset1:17
	ds_load_2addr_b32 v[101:102], v90 offset0:34 offset1:51
	ds_load_2addr_b32 v[103:104], v90 offset0:68 offset1:85
	;; [unrolled: 1-line block ×4, first 2 shown]
	s_waitcnt lgkmcnt(4)
	v_max3_f32 v75, v99, 0xff7fffff, v100
	s_waitcnt lgkmcnt(3)
	s_delay_alu instid0(VALU_DEP_1) | instskip(SKIP_1) | instid1(VALU_DEP_1)
	v_max3_f32 v75, v75, v101, v102
	s_waitcnt lgkmcnt(2)
	v_max3_f32 v75, v75, v103, v104
	s_waitcnt lgkmcnt(1)
	s_delay_alu instid0(VALU_DEP_1) | instskip(NEXT) | instid1(VALU_DEP_1)
	v_max3_f32 v75, v75, v105, v106
	v_sub_f32_e32 v109, v100, v75
	v_sub_f32_e32 v76, v99, v75
	ds_load_2addr_b32 v[99:100], v90 offset0:170 offset1:187
	v_sub_f32_e32 v101, v101, v75
	v_dual_mul_f32 v109, 0x3fb8aa3b, v109 :: v_dual_mul_f32 v76, 0x3fb8aa3b, v76
	s_delay_alu instid0(VALU_DEP_2) | instskip(NEXT) | instid1(VALU_DEP_2)
	v_mul_f32_e32 v111, 0x3fb8aa3b, v101
	v_exp_f32_e32 v109, v109
	s_delay_alu instid0(VALU_DEP_2)
	v_exp_f32_e32 v110, v76
	v_sub_f32_e32 v76, v102, v75
	ds_load_2addr_b32 v[101:102], v90 offset0:204 offset1:221
	v_exp_f32_e32 v111, v111
	v_mul_f32_e32 v112, 0x3fb8aa3b, v76
	s_waitcnt lgkmcnt(2)
	v_fma_f32 v76, v110, v107, 0
	v_sub_f32_e32 v103, v103, v75
	s_delay_alu instid0(VALU_DEP_3) | instskip(NEXT) | instid1(VALU_DEP_2)
	v_exp_f32_e32 v112, v112
	v_dual_sub_f32 v107, v104, v75 :: v_dual_fmac_f32 v76, v109, v108
	s_waitcnt lgkmcnt(1)
	s_waitcnt_depctr 0xfff
	v_fmac_f32_e32 v76, v111, v99
	v_mul_f32_e32 v113, 0x3fb8aa3b, v103
	ds_load_2addr_b32 v[103:104], v90 offset0:238 offset1:255
	v_sub_f32_e32 v90, v105, v75
	v_dual_sub_f32 v99, v106, v75 :: v_dual_fmac_f32 v76, v112, v100
	v_mul_f32_e32 v105, 0x3fb8aa3b, v107
	v_exp_f32_e32 v107, v113
	s_delay_alu instid0(VALU_DEP_2)
	v_dual_mul_f32 v90, 0x3fb8aa3b, v90 :: v_dual_mul_f32 v99, 0x3fb8aa3b, v99
	s_waitcnt lgkmcnt(0)
	s_barrier
	buffer_gl0_inv
	v_exp_f32_e32 v90, v90
	v_exp_f32_e32 v99, v99
	v_fmac_f32_e32 v76, v107, v101
	v_exp_f32_e32 v105, v105
	s_waitcnt_depctr 0xfff
	v_fmac_f32_e32 v76, v105, v102
	s_delay_alu instid0(VALU_DEP_1) | instskip(NEXT) | instid1(VALU_DEP_1)
	v_fmac_f32_e32 v76, v90, v103
	v_fmac_f32_e32 v76, v99, v104
	s_delay_alu instid0(VALU_DEP_1) | instskip(NEXT) | instid1(VALU_DEP_1)
	v_add_f32_e32 v100, 0x358637bd, v76
	v_div_scale_f32 v101, null, v100, v100, 1.0
	v_div_scale_f32 v104, vcc_lo, 1.0, v100, 1.0
	s_delay_alu instid0(VALU_DEP_2) | instskip(SKIP_2) | instid1(VALU_DEP_1)
	v_rcp_f32_e32 v102, v101
	s_waitcnt_depctr 0xfff
	v_fma_f32 v103, -v101, v102, 1.0
	v_fmac_f32_e32 v102, v103, v102
	v_cndmask_b32_e64 v103, v110, v109, s3
	v_cmp_eq_u32_e64 s3, 2, v74
	s_delay_alu instid0(VALU_DEP_3) | instskip(NEXT) | instid1(VALU_DEP_2)
	v_mul_f32_e32 v106, v104, v102
	v_cndmask_b32_e64 v103, v103, v111, s3
	v_cmp_eq_u32_e64 s3, 3, v74
	s_delay_alu instid0(VALU_DEP_3) | instskip(NEXT) | instid1(VALU_DEP_2)
	v_fma_f32 v108, -v101, v106, v104
	v_cndmask_b32_e64 v103, v103, v112, s3
	v_cmp_eq_u32_e64 s3, 4, v74
	s_delay_alu instid0(VALU_DEP_3) | instskip(NEXT) | instid1(VALU_DEP_2)
	v_fmac_f32_e32 v106, v108, v102
	v_cndmask_b32_e64 v103, v103, v107, s3
	s_delay_alu instid0(VALU_DEP_2) | instskip(SKIP_1) | instid1(VALU_DEP_2)
	v_fma_f32 v101, -v101, v106, v104
	v_cmp_eq_u32_e64 s3, 5, v74
	v_div_fmas_f32 v101, v101, v102, v106
	s_delay_alu instid0(VALU_DEP_2) | instskip(SKIP_2) | instid1(VALU_DEP_3)
	v_cndmask_b32_e64 v103, v103, v105, s3
	v_cmp_eq_u32_e32 vcc_lo, 6, v74
	s_mov_b32 s3, exec_lo
	v_div_fixup_f32 v100, v101, v100, 1.0
	s_delay_alu instid0(VALU_DEP_3) | instskip(SKIP_1) | instid1(VALU_DEP_2)
	v_cndmask_b32_e32 v90, v103, v90, vcc_lo
	v_cmp_eq_u32_e32 vcc_lo, 7, v74
	v_cndmask_b32_e32 v90, v90, v99, vcc_lo
	s_delay_alu instid0(VALU_DEP_1) | instskip(NEXT) | instid1(VALU_DEP_1)
	v_mul_f32_e32 v90, v90, v100
	v_mul_f32_e32 v100, v90, v92
	;; [unrolled: 1-line block ×6, first 2 shown]
	v_and_b32_e32 v101, 0x7f800000, v100
	v_mul_f32_e32 v99, v90, v95
	v_mul_f32_e32 v95, v90, v91
	;; [unrolled: 1-line block ×3, first 2 shown]
                                        ; implicit-def: $vgpr91
	s_delay_alu instid0(VALU_DEP_4)
	v_cmpx_ne_u32_e32 0x7f800000, v101
	s_xor_b32 s3, exec_lo, s3
; %bb.15:
	v_bfe_u32 v91, v100, 16, 1
	s_delay_alu instid0(VALU_DEP_1)
	v_add3_u32 v91, v100, v91, 0x7fff
                                        ; implicit-def: $vgpr100
; %bb.16:
	s_and_not1_saveexec_b32 s3, s3
; %bb.17:
	v_and_b32_e32 v91, 0xffff, v100
	v_or_b32_e32 v93, 0x10000, v100
	s_delay_alu instid0(VALU_DEP_2) | instskip(NEXT) | instid1(VALU_DEP_2)
	v_cmp_eq_u32_e32 vcc_lo, 0, v91
	v_cndmask_b32_e32 v91, v93, v100, vcc_lo
; %bb.18:
	s_or_b32 exec_lo, exec_lo, s3
	v_and_b32_e32 v93, 0x7f800000, v95
	s_delay_alu instid0(VALU_DEP_1) | instskip(SKIP_1) | instid1(SALU_CYCLE_1)
	v_cmp_ne_u32_e32 vcc_lo, 0x7f800000, v93
                                        ; implicit-def: $vgpr93
	s_and_saveexec_b32 s3, vcc_lo
	s_xor_b32 s3, exec_lo, s3
; %bb.19:
	v_bfe_u32 v93, v95, 16, 1
	s_delay_alu instid0(VALU_DEP_1)
	v_add3_u32 v93, v95, v93, 0x7fff
                                        ; implicit-def: $vgpr95
; %bb.20:
	s_and_not1_saveexec_b32 s3, s3
; %bb.21:
	v_and_b32_e32 v93, 0xffff, v95
	v_or_b32_e32 v100, 0x10000, v95
	s_delay_alu instid0(VALU_DEP_2) | instskip(NEXT) | instid1(VALU_DEP_2)
	v_cmp_eq_u32_e32 vcc_lo, 0, v93
	v_cndmask_b32_e32 v93, v100, v95, vcc_lo
; %bb.22:
	s_or_b32 exec_lo, exec_lo, s3
	v_and_b32_e32 v95, 0x7f800000, v96
	s_delay_alu instid0(VALU_DEP_1) | instskip(SKIP_1) | instid1(SALU_CYCLE_1)
	v_cmp_ne_u32_e32 vcc_lo, 0x7f800000, v95
                                        ; implicit-def: $vgpr95
	s_and_saveexec_b32 s3, vcc_lo
	s_xor_b32 s3, exec_lo, s3
; %bb.23:
	v_bfe_u32 v95, v96, 16, 1
	s_delay_alu instid0(VALU_DEP_1)
	v_add3_u32 v95, v96, v95, 0x7fff
                                        ; implicit-def: $vgpr96
; %bb.24:
	s_and_not1_saveexec_b32 s3, s3
; %bb.25:
	v_and_b32_e32 v95, 0xffff, v96
	v_or_b32_e32 v100, 0x10000, v96
	s_delay_alu instid0(VALU_DEP_2) | instskip(NEXT) | instid1(VALU_DEP_2)
	v_cmp_eq_u32_e32 vcc_lo, 0, v95
	v_cndmask_b32_e32 v95, v100, v96, vcc_lo
; %bb.26:
	s_or_b32 exec_lo, exec_lo, s3
	v_and_b32_e32 v96, 0x7f800000, v99
	s_delay_alu instid0(VALU_DEP_1) | instskip(SKIP_1) | instid1(SALU_CYCLE_1)
	v_cmp_ne_u32_e32 vcc_lo, 0x7f800000, v96
                                        ; implicit-def: $vgpr96
	s_and_saveexec_b32 s3, vcc_lo
	s_xor_b32 s3, exec_lo, s3
; %bb.27:
	v_bfe_u32 v96, v99, 16, 1
	s_delay_alu instid0(VALU_DEP_1)
	v_add3_u32 v96, v99, v96, 0x7fff
                                        ; implicit-def: $vgpr99
; %bb.28:
	s_and_not1_saveexec_b32 s3, s3
; %bb.29:
	v_and_b32_e32 v96, 0xffff, v99
	v_or_b32_e32 v100, 0x10000, v99
	s_delay_alu instid0(VALU_DEP_2) | instskip(NEXT) | instid1(VALU_DEP_2)
	v_cmp_eq_u32_e32 vcc_lo, 0, v96
	v_cndmask_b32_e32 v96, v100, v99, vcc_lo
; %bb.30:
	s_or_b32 exec_lo, exec_lo, s3
	v_and_b32_e32 v99, 0x7f800000, v98
	s_delay_alu instid0(VALU_DEP_1) | instskip(SKIP_1) | instid1(SALU_CYCLE_1)
	v_cmp_ne_u32_e32 vcc_lo, 0x7f800000, v99
                                        ; implicit-def: $vgpr99
	s_and_saveexec_b32 s3, vcc_lo
	s_xor_b32 s3, exec_lo, s3
; %bb.31:
	v_bfe_u32 v99, v98, 16, 1
	s_delay_alu instid0(VALU_DEP_1)
	v_add3_u32 v99, v98, v99, 0x7fff
                                        ; implicit-def: $vgpr98
; %bb.32:
	s_and_not1_saveexec_b32 s3, s3
; %bb.33:
	v_and_b32_e32 v99, 0xffff, v98
	v_or_b32_e32 v100, 0x10000, v98
	s_delay_alu instid0(VALU_DEP_2) | instskip(NEXT) | instid1(VALU_DEP_2)
	v_cmp_eq_u32_e32 vcc_lo, 0, v99
	v_cndmask_b32_e32 v99, v100, v98, vcc_lo
; %bb.34:
	s_or_b32 exec_lo, exec_lo, s3
	v_and_b32_e32 v98, 0x7f800000, v97
	s_delay_alu instid0(VALU_DEP_1) | instskip(SKIP_1) | instid1(SALU_CYCLE_1)
	v_cmp_ne_u32_e32 vcc_lo, 0x7f800000, v98
                                        ; implicit-def: $vgpr98
	s_and_saveexec_b32 s3, vcc_lo
	s_xor_b32 s3, exec_lo, s3
; %bb.35:
	v_bfe_u32 v98, v97, 16, 1
	s_delay_alu instid0(VALU_DEP_1)
	v_add3_u32 v98, v97, v98, 0x7fff
                                        ; implicit-def: $vgpr97
; %bb.36:
	s_and_not1_saveexec_b32 s3, s3
; %bb.37:
	v_and_b32_e32 v98, 0xffff, v97
	v_or_b32_e32 v100, 0x10000, v97
	s_delay_alu instid0(VALU_DEP_2) | instskip(NEXT) | instid1(VALU_DEP_2)
	v_cmp_eq_u32_e32 vcc_lo, 0, v98
	v_cndmask_b32_e32 v98, v100, v97, vcc_lo
; %bb.38:
	s_or_b32 exec_lo, exec_lo, s3
	v_and_b32_e32 v97, 0x7f800000, v94
	s_delay_alu instid0(VALU_DEP_1) | instskip(SKIP_1) | instid1(SALU_CYCLE_1)
	v_cmp_ne_u32_e32 vcc_lo, 0x7f800000, v97
                                        ; implicit-def: $vgpr97
	s_and_saveexec_b32 s3, vcc_lo
	s_xor_b32 s3, exec_lo, s3
; %bb.39:
	v_bfe_u32 v97, v94, 16, 1
	s_delay_alu instid0(VALU_DEP_1)
	v_add3_u32 v97, v94, v97, 0x7fff
                                        ; implicit-def: $vgpr94
; %bb.40:
	s_and_not1_saveexec_b32 s3, s3
; %bb.41:
	v_and_b32_e32 v97, 0xffff, v94
	v_or_b32_e32 v100, 0x10000, v94
	s_delay_alu instid0(VALU_DEP_2) | instskip(NEXT) | instid1(VALU_DEP_2)
	v_cmp_eq_u32_e32 vcc_lo, 0, v97
	v_cndmask_b32_e32 v97, v100, v94, vcc_lo
; %bb.42:
	s_or_b32 exec_lo, exec_lo, s3
	v_and_b32_e32 v94, 0x7f800000, v92
	s_delay_alu instid0(VALU_DEP_1) | instskip(SKIP_1) | instid1(SALU_CYCLE_1)
	v_cmp_ne_u32_e32 vcc_lo, 0x7f800000, v94
                                        ; implicit-def: $vgpr94
	s_and_saveexec_b32 s3, vcc_lo
	s_xor_b32 s3, exec_lo, s3
; %bb.43:
	v_bfe_u32 v94, v92, 16, 1
	s_delay_alu instid0(VALU_DEP_1)
	v_add3_u32 v94, v92, v94, 0x7fff
                                        ; implicit-def: $vgpr92
; %bb.44:
	s_and_not1_saveexec_b32 s3, s3
; %bb.45:
	v_and_b32_e32 v94, 0xffff, v92
	v_or_b32_e32 v100, 0x10000, v92
	s_delay_alu instid0(VALU_DEP_2) | instskip(NEXT) | instid1(VALU_DEP_2)
	v_cmp_eq_u32_e32 vcc_lo, 0, v94
	v_cndmask_b32_e32 v94, v100, v92, vcc_lo
; %bb.46:
	s_or_b32 exec_lo, exec_lo, s3
	s_load_b64 s[34:35], s[0:1], 0x94
	v_lshlrev_b32_e32 v92, 4, v83
	s_delay_alu instid0(VALU_DEP_2)
	v_perm_b32 v100, v94, v97, 0x7060302
	v_dual_mul_f32 v89, v90, v89 :: v_dual_lshlrev_b32 v94, 11, v74
	v_perm_b32 v97, v93, v91, 0x7060302
	v_mul_f32_e32 v93, v90, v77
	v_perm_b32 v99, v98, v99, 0x7060302
	v_perm_b32 v98, v96, v95, 0x7060302
	v_or3_b32 v77, v92, v94, v85
	v_mul_f32_e32 v88, v90, v88
	v_dual_mul_f32 v87, v90, v87 :: v_dual_and_b32 v94, 0x7f800000, v93
	v_mul_f32_e32 v86, v90, v86
	v_mul_f32_e32 v91, v90, v80
	v_mul_f32_e32 v92, v90, v79
	v_mul_f32_e32 v80, v90, v78
	s_mov_b32 s3, exec_lo
	ds_store_b128 v77, v[97:100]
                                        ; implicit-def: $vgpr78
	v_cmpx_ne_u32_e32 0x7f800000, v94
	s_xor_b32 s3, exec_lo, s3
; %bb.47:
	v_bfe_u32 v78, v93, 16, 1
	s_delay_alu instid0(VALU_DEP_1)
	v_add3_u32 v78, v93, v78, 0x7fff
                                        ; implicit-def: $vgpr93
; %bb.48:
	s_and_not1_saveexec_b32 s3, s3
; %bb.49:
	v_and_b32_e32 v78, 0xffff, v93
	v_or_b32_e32 v79, 0x10000, v93
	s_delay_alu instid0(VALU_DEP_2) | instskip(NEXT) | instid1(VALU_DEP_2)
	v_cmp_eq_u32_e32 vcc_lo, 0, v78
	v_cndmask_b32_e32 v78, v79, v93, vcc_lo
; %bb.50:
	s_or_b32 exec_lo, exec_lo, s3
	v_and_b32_e32 v79, 0x7f800000, v80
	s_delay_alu instid0(VALU_DEP_1) | instskip(SKIP_1) | instid1(SALU_CYCLE_1)
	v_cmp_ne_u32_e32 vcc_lo, 0x7f800000, v79
                                        ; implicit-def: $vgpr79
	s_and_saveexec_b32 s3, vcc_lo
	s_xor_b32 s3, exec_lo, s3
; %bb.51:
	v_bfe_u32 v79, v80, 16, 1
	s_delay_alu instid0(VALU_DEP_1)
	v_add3_u32 v79, v80, v79, 0x7fff
                                        ; implicit-def: $vgpr80
; %bb.52:
	s_and_not1_saveexec_b32 s3, s3
; %bb.53:
	v_and_b32_e32 v79, 0xffff, v80
	v_or_b32_e32 v90, 0x10000, v80
	s_delay_alu instid0(VALU_DEP_2) | instskip(NEXT) | instid1(VALU_DEP_2)
	v_cmp_eq_u32_e32 vcc_lo, 0, v79
	v_cndmask_b32_e32 v79, v90, v80, vcc_lo
; %bb.54:
	s_or_b32 exec_lo, exec_lo, s3
	v_and_b32_e32 v80, 0x7f800000, v92
	s_delay_alu instid0(VALU_DEP_1) | instskip(SKIP_1) | instid1(SALU_CYCLE_1)
	v_cmp_ne_u32_e32 vcc_lo, 0x7f800000, v80
                                        ; implicit-def: $vgpr80
	s_and_saveexec_b32 s3, vcc_lo
	s_xor_b32 s3, exec_lo, s3
; %bb.55:
	v_bfe_u32 v80, v92, 16, 1
	s_delay_alu instid0(VALU_DEP_1)
	v_add3_u32 v80, v92, v80, 0x7fff
                                        ; implicit-def: $vgpr92
; %bb.56:
	s_and_not1_saveexec_b32 s3, s3
; %bb.57:
	v_and_b32_e32 v80, 0xffff, v92
	v_or_b32_e32 v90, 0x10000, v92
	s_delay_alu instid0(VALU_DEP_2) | instskip(NEXT) | instid1(VALU_DEP_2)
	v_cmp_eq_u32_e32 vcc_lo, 0, v80
	v_cndmask_b32_e32 v80, v90, v92, vcc_lo
; %bb.58:
	s_or_b32 exec_lo, exec_lo, s3
	v_and_b32_e32 v90, 0x7f800000, v91
	s_delay_alu instid0(VALU_DEP_1) | instskip(SKIP_1) | instid1(SALU_CYCLE_1)
	v_cmp_ne_u32_e32 vcc_lo, 0x7f800000, v90
                                        ; implicit-def: $vgpr90
	s_and_saveexec_b32 s3, vcc_lo
	s_xor_b32 s3, exec_lo, s3
; %bb.59:
	v_bfe_u32 v90, v91, 16, 1
	s_delay_alu instid0(VALU_DEP_1)
	v_add3_u32 v90, v91, v90, 0x7fff
                                        ; implicit-def: $vgpr91
; %bb.60:
	s_and_not1_saveexec_b32 s3, s3
; %bb.61:
	v_and_b32_e32 v90, 0xffff, v91
	v_or_b32_e32 v92, 0x10000, v91
	s_delay_alu instid0(VALU_DEP_2) | instskip(NEXT) | instid1(VALU_DEP_2)
	v_cmp_eq_u32_e32 vcc_lo, 0, v90
	v_cndmask_b32_e32 v90, v92, v91, vcc_lo
; %bb.62:
	s_or_b32 exec_lo, exec_lo, s3
	v_and_b32_e32 v91, 0x7f800000, v86
	s_delay_alu instid0(VALU_DEP_1) | instskip(SKIP_1) | instid1(SALU_CYCLE_1)
	v_cmp_ne_u32_e32 vcc_lo, 0x7f800000, v91
                                        ; implicit-def: $vgpr91
	s_and_saveexec_b32 s3, vcc_lo
	s_xor_b32 s3, exec_lo, s3
; %bb.63:
	v_bfe_u32 v91, v86, 16, 1
	s_delay_alu instid0(VALU_DEP_1)
	v_add3_u32 v91, v86, v91, 0x7fff
                                        ; implicit-def: $vgpr86
; %bb.64:
	s_and_not1_saveexec_b32 s3, s3
; %bb.65:
	v_and_b32_e32 v91, 0xffff, v86
	v_or_b32_e32 v92, 0x10000, v86
	s_delay_alu instid0(VALU_DEP_2) | instskip(NEXT) | instid1(VALU_DEP_2)
	v_cmp_eq_u32_e32 vcc_lo, 0, v91
	v_cndmask_b32_e32 v91, v92, v86, vcc_lo
; %bb.66:
	s_or_b32 exec_lo, exec_lo, s3
	v_and_b32_e32 v86, 0x7f800000, v87
	s_delay_alu instid0(VALU_DEP_1) | instskip(SKIP_1) | instid1(SALU_CYCLE_1)
	v_cmp_ne_u32_e32 vcc_lo, 0x7f800000, v86
                                        ; implicit-def: $vgpr86
	s_and_saveexec_b32 s3, vcc_lo
	s_xor_b32 s3, exec_lo, s3
; %bb.67:
	v_bfe_u32 v86, v87, 16, 1
	s_delay_alu instid0(VALU_DEP_1)
	v_add3_u32 v86, v87, v86, 0x7fff
                                        ; implicit-def: $vgpr87
; %bb.68:
	s_and_not1_saveexec_b32 s3, s3
; %bb.69:
	v_and_b32_e32 v86, 0xffff, v87
	v_or_b32_e32 v92, 0x10000, v87
	s_delay_alu instid0(VALU_DEP_2) | instskip(NEXT) | instid1(VALU_DEP_2)
	v_cmp_eq_u32_e32 vcc_lo, 0, v86
	v_cndmask_b32_e32 v86, v92, v87, vcc_lo
; %bb.70:
	s_or_b32 exec_lo, exec_lo, s3
	v_and_b32_e32 v87, 0x7f800000, v88
	s_delay_alu instid0(VALU_DEP_1) | instskip(SKIP_1) | instid1(SALU_CYCLE_1)
	v_cmp_ne_u32_e32 vcc_lo, 0x7f800000, v87
                                        ; implicit-def: $vgpr87
	s_and_saveexec_b32 s3, vcc_lo
	s_xor_b32 s3, exec_lo, s3
; %bb.71:
	v_bfe_u32 v87, v88, 16, 1
	s_delay_alu instid0(VALU_DEP_1)
	v_add3_u32 v87, v88, v87, 0x7fff
                                        ; implicit-def: $vgpr88
; %bb.72:
	s_and_not1_saveexec_b32 s3, s3
; %bb.73:
	v_and_b32_e32 v87, 0xffff, v88
	v_or_b32_e32 v92, 0x10000, v88
	s_delay_alu instid0(VALU_DEP_2) | instskip(NEXT) | instid1(VALU_DEP_2)
	v_cmp_eq_u32_e32 vcc_lo, 0, v87
	v_cndmask_b32_e32 v87, v92, v88, vcc_lo
; %bb.74:
	s_or_b32 exec_lo, exec_lo, s3
	v_and_b32_e32 v88, 0x7f800000, v89
	s_delay_alu instid0(VALU_DEP_1) | instskip(SKIP_1) | instid1(SALU_CYCLE_1)
	v_cmp_ne_u32_e32 vcc_lo, 0x7f800000, v88
                                        ; implicit-def: $vgpr88
	s_and_saveexec_b32 s3, vcc_lo
	s_xor_b32 s3, exec_lo, s3
; %bb.75:
	v_bfe_u32 v88, v89, 16, 1
	s_delay_alu instid0(VALU_DEP_1)
	v_add3_u32 v88, v89, v88, 0x7fff
                                        ; implicit-def: $vgpr89
; %bb.76:
	s_and_not1_saveexec_b32 s3, s3
; %bb.77:
	v_and_b32_e32 v88, 0xffff, v89
	v_or_b32_e32 v92, 0x10000, v89
	s_delay_alu instid0(VALU_DEP_2) | instskip(NEXT) | instid1(VALU_DEP_2)
	v_cmp_eq_u32_e32 vcc_lo, 0, v88
	v_cndmask_b32_e32 v88, v92, v89, vcc_lo
; %bb.78:
	s_or_b32 exec_lo, exec_lo, s3
	s_delay_alu instid0(VALU_DEP_1)
	v_perm_b32 v89, v88, v87, 0x7060302
	v_perm_b32 v88, v86, v91, 0x7060302
	v_perm_b32 v87, v90, v80, 0x7060302
	v_perm_b32 v86, v79, v78, 0x7060302
	v_lshl_or_b32 v90, v74, 11, v85
	ds_store_b128 v77, v[86:89] offset:1024
	s_waitcnt lgkmcnt(0)
	s_barrier
	buffer_gl0_inv
	ds_load_b128 v[91:94], v90
	ds_load_b128 v[95:98], v90 offset:16
	v_lshlrev_b32_e32 v87, 2, v83
	s_delay_alu instid0(VALU_DEP_1)
	v_or_b32_e32 v88, 1, v87
	v_cmp_eq_u32_e32 vcc_lo, 1, v87
	v_cmp_eq_u32_e64 s4, 2, v87
	v_cmp_eq_u32_e64 s7, 3, v87
	;; [unrolled: 1-line block ×6, first 2 shown]
	v_or_b32_e32 v86, 2, v87
	v_cmp_eq_u32_e64 s10, 5, v87
	v_cmp_eq_u32_e64 s11, 4, v88
	;; [unrolled: 1-line block ×4, first 2 shown]
	s_waitcnt lgkmcnt(1)
	v_lshrrev_b32_e32 v74, 16, v91
	s_waitcnt lgkmcnt(0)
	v_lshrrev_b32_e32 v103, 16, v95
	v_lshrrev_b32_e32 v80, 16, v94
	;; [unrolled: 1-line block ×4, first 2 shown]
	v_cndmask_b32_e32 v89, v91, v74, vcc_lo
	v_cndmask_b32_e32 v99, v95, v103, vcc_lo
	v_cndmask_b32_e64 v100, v91, v74, s3
	v_lshrrev_b32_e32 v79, 16, v93
	v_lshrrev_b32_e32 v108, 16, v97
	v_cndmask_b32_e64 v89, v89, v92, s4
	v_cndmask_b32_e64 v99, v99, v96, s4
	;; [unrolled: 1-line block ×4, first 2 shown]
	v_cmp_eq_u32_e64 s5, 1, v86
	v_cndmask_b32_e64 v89, v89, v78, s7
	v_cndmask_b32_e64 v99, v99, v107, s7
	;; [unrolled: 1-line block ×4, first 2 shown]
	v_lshrrev_b32_e32 v109, 16, v98
	v_cndmask_b32_e64 v89, v89, v93, s9
	v_cndmask_b32_e64 v99, v99, v97, s9
	;; [unrolled: 1-line block ×8, first 2 shown]
	v_cmp_eq_u32_e64 s15, 7, v87
	v_cmp_eq_u32_e64 s16, 6, v88
	v_cndmask_b32_e64 v89, v89, v94, s12
	v_cndmask_b32_e64 v99, v99, v98, s12
	v_cmp_eq_u32_e64 s17, 2, v86
	v_cndmask_b32_e64 v101, v101, v97, s11
	v_cndmask_b32_e64 v100, v100, v94, s16
	;; [unrolled: 1-line block ×6, first 2 shown]
	v_cmp_eq_u32_e64 s18, 7, v88
	v_cmp_eq_u32_e64 s19, 3, v86
	;; [unrolled: 1-line block ×4, first 2 shown]
	v_cndmask_b32_e64 v99, v99, v96, s17
	v_cndmask_b32_e64 v112, v100, v80, s18
	;; [unrolled: 1-line block ×4, first 2 shown]
	v_or_b32_e32 v89, 3, v87
	v_cndmask_b32_e64 v105, v99, v107, s19
	v_cmp_eq_u32_e64 s24, 6, v86
	v_cndmask_b32_e64 v113, v100, v98, s16
	v_cndmask_b32_e64 v104, v101, v93, s20
	ds_load_b128 v[99:102], v90 offset:1024
	v_cmp_eq_u32_e64 s21, 1, v89
	v_cmp_eq_u32_e64 s23, 2, v89
	;; [unrolled: 1-line block ×3, first 2 shown]
	v_cndmask_b32_e64 v114, v104, v79, s22
	v_cmp_eq_u32_e64 s26, 4, v89
	v_cndmask_b32_e64 v74, v91, v74, s21
	v_cndmask_b32_e64 v91, v105, v97, s20
	;; [unrolled: 1-line block ×3, first 2 shown]
	ds_load_b128 v[103:106], v90 offset:1040
	v_cmp_eq_u32_e64 s28, 5, v89
	v_cndmask_b32_e64 v74, v74, v92, s23
	v_cndmask_b32_e64 v91, v91, v108, s22
	;; [unrolled: 1-line block ×3, first 2 shown]
	v_cmp_eq_u32_e64 s29, 6, v89
	v_cndmask_b32_e64 v95, v113, v109, s18
	v_cndmask_b32_e64 v74, v74, v78, s25
	;; [unrolled: 1-line block ×5, first 2 shown]
	s_waitcnt lgkmcnt(1)
	v_lshrrev_b32_e32 v96, 16, v99
	v_cndmask_b32_e64 v74, v74, v93, s26
	v_lshrrev_b32_e32 v107, 16, v100
	v_cndmask_b32_e64 v92, v92, v97, s26
	v_cmp_eq_u32_e64 s27, 7, v86
	v_cndmask_b32_e32 v93, v99, v96, vcc_lo
	v_cndmask_b32_e64 v74, v74, v79, s28
	s_delay_alu instid0(VALU_DEP_4)
	v_cndmask_b32_e64 v79, v92, v108, s28
	s_waitcnt lgkmcnt(0)
	v_lshrrev_b32_e32 v97, 16, v103
	v_cndmask_b32_e64 v92, v93, v100, s4
	v_cndmask_b32_e64 v93, v99, v96, s3
	;; [unrolled: 1-line block ×4, first 2 shown]
	v_cndmask_b32_e32 v108, v103, v97, vcc_lo
	v_cndmask_b32_e64 v92, v92, v107, s7
	v_cndmask_b32_e64 v93, v93, v100, s6
	v_lshrrev_b32_e32 v98, 16, v104
	v_cmp_eq_u32_e32 vcc_lo, 7, v89
	v_cndmask_b32_e64 v94, v108, v104, s4
	v_cndmask_b32_e64 v92, v92, v101, s9
	v_lshrrev_b32_e32 v108, 16, v101
	v_cndmask_b32_e64 v93, v93, v107, s8
	v_cndmask_b32_e32 v74, v74, v80, vcc_lo
	v_cndmask_b32_e64 v94, v94, v98, s7
	v_cndmask_b32_e32 v79, v79, v109, vcc_lo
	v_cndmask_b32_e64 v92, v92, v108, s10
	v_cndmask_b32_e64 v78, v78, v80, s27
	v_cndmask_b32_e64 v80, v93, v101, s11
	v_cndmask_b32_e64 v93, v94, v105, s9
	v_perm_b32 v94, v79, v74, 0x5040100
	v_cndmask_b32_e64 v79, v92, v102, s12
	v_perm_b32 v92, v95, v112, 0x5040100
	v_cndmask_b32_e64 v95, v99, v96, s5
	v_cndmask_b32_e64 v96, v99, v96, s21
	;; [unrolled: 1-line block ×16, first 2 shown]
	v_lshrrev_b32_e32 v109, 16, v105
	v_cndmask_b32_e64 v95, v95, v101, s20
	v_cndmask_b32_e64 v96, v96, v101, s26
	;; [unrolled: 1-line block ×6, first 2 shown]
	v_lshrrev_b32_e32 v80, 16, v102
	v_cndmask_b32_e64 v113, v93, v109, s10
	v_cndmask_b32_e64 v95, v95, v108, s22
	;; [unrolled: 1-line block ×6, first 2 shown]
	v_perm_b32 v93, v91, v78, 0x5040100
	v_cndmask_b32_e64 v74, v74, v102, s16
	v_cndmask_b32_e64 v78, v79, v80, s15
	;; [unrolled: 1-line block ×3, first 2 shown]
	v_lshrrev_b32_e32 v91, 16, v106
	v_cndmask_b32_e64 v95, v95, v102, s24
	v_cndmask_b32_e64 v96, v96, v102, s29
	v_cndmask_b32_e64 v98, v98, v106, s29
	v_cndmask_b32_e64 v99, v99, v106, s24
	v_cndmask_b32_e64 v97, v97, v106, s16
	v_cndmask_b32_e64 v74, v74, v80, s18
	v_cndmask_b32_e64 v95, v95, v80, s27
	v_cndmask_b32_e32 v80, v96, v80, vcc_lo
	v_cndmask_b32_e32 v96, v98, v91, vcc_lo
	v_cndmask_b32_e64 v99, v99, v91, s27
	v_cndmask_b32_e64 v100, v97, v91, s18
	;; [unrolled: 1-line block ×3, first 2 shown]
	v_perm_b32 v91, v111, v110, 0x5040100
	v_perm_b32 v98, v96, v80, 0x5040100
	v_perm_b32 v97, v99, v95, 0x5040100
	v_perm_b32 v96, v100, v74, 0x5040100
	v_perm_b32 v95, v79, v78, 0x5040100
	s_mul_i32 s8, s35, 7
	s_mov_b32 s3, exec_lo
	ds_store_b128 v77, v[91:94]
	ds_store_b128 v77, v[95:98] offset:1024
	v_cmpx_gt_u32_e32 7, v0
	s_cbranch_execz .LBB716_80
; %bb.79:
	s_mul_i32 s4, s8, s30
	s_delay_alu instid0(SALU_CYCLE_1) | instskip(SKIP_1) | instid1(VALU_DEP_1)
	v_add3_u32 v77, s4, s31, v73
	s_load_b128 s[4:7], s[0:1], 0x58
	v_mad_u64_u32 v[73:74], null, v77, s34, s[14:15]
	s_delay_alu instid0(VALU_DEP_1) | instskip(NEXT) | instid1(VALU_DEP_1)
	v_ashrrev_i32_e32 v74, 31, v73
	v_lshlrev_b64 v[73:74], 2, v[73:74]
	s_waitcnt lgkmcnt(0)
	s_delay_alu instid0(VALU_DEP_1) | instskip(NEXT) | instid1(VALU_DEP_2)
	v_add_co_u32 v77, vcc_lo, s6, v73
	v_add_co_ci_u32_e32 v78, vcc_lo, s7, v74, vcc_lo
	v_add_co_u32 v73, vcc_lo, s4, v73
	v_add_co_ci_u32_e32 v74, vcc_lo, s5, v74, vcc_lo
	global_store_b32 v[77:78], v75, off
	global_store_b32 v[73:74], v76, off
.LBB716_80:
	s_or_b32 exec_lo, exec_lo, s3
	s_waitcnt lgkmcnt(0)
	s_waitcnt_vscnt null, 0x0
	s_barrier
	buffer_gl0_inv
	ds_load_b128 v[91:94], v85
	ds_load_b128 v[95:98], v85 offset:16
	ds_load_b128 v[103:106], v85 offset:1040
	;; [unrolled: 1-line block ×3, first 2 shown]
	v_mov_b32_e32 v73, 0
	ds_load_b128 v[111:114], v85 offset:2064
	ds_load_b128 v[107:110], v85 offset:2048
	;; [unrolled: 1-line block ×6, first 2 shown]
	v_mov_b32_e32 v74, v73
	v_mov_b32_e32 v75, v73
	;; [unrolled: 1-line block ×7, first 2 shown]
	s_waitcnt lgkmcnt(8)
	s_delay_alu instid0(VALU_DEP_1)
	v_wmma_f32_16x16x16_bf16 v[73:80], v[65:72], v[91:98], v[73:80]
	ds_load_b128 v[69:72], v85 offset:5136
	ds_load_b128 v[65:68], v85 offset:5120
	;; [unrolled: 1-line block ×4, first 2 shown]
	s_waitcnt lgkmcnt(10)
	v_wmma_f32_16x16x16_bf16 v[73:80], v[57:64], v[99:106], v[73:80]
	s_waitcnt lgkmcnt(8)
	s_delay_alu instid0(VALU_DEP_1)
	v_wmma_f32_16x16x16_bf16 v[73:80], v[57:64], v[107:114], v[73:80]
	ds_load_b128 v[61:64], v85 offset:7184
	ds_load_b128 v[57:60], v85 offset:7168
	;; [unrolled: 1-line block ×4, first 2 shown]
	s_waitcnt lgkmcnt(10)
	v_wmma_f32_16x16x16_bf16 v[73:80], v[49:56], v[115:122], v[73:80]
	s_waitcnt lgkmcnt(8)
	s_delay_alu instid0(VALU_DEP_1)
	v_wmma_f32_16x16x16_bf16 v[73:80], v[49:56], v[123:130], v[73:80]
	ds_load_b128 v[53:56], v85 offset:9232
	ds_load_b128 v[49:52], v85 offset:9216
	s_waitcnt lgkmcnt(8)
	v_wmma_f32_16x16x16_bf16 v[73:80], v[41:48], v[65:72], v[73:80]
	ds_load_b128 v[69:72], v85 offset:10256
	ds_load_b128 v[65:68], v85 offset:10240
	s_waitcnt lgkmcnt(8)
	;; [unrolled: 4-line block ×3, first 2 shown]
	v_wmma_f32_16x16x16_bf16 v[73:80], v[9:16], v[57:64], v[73:80]
	s_waitcnt lgkmcnt(6)
	s_delay_alu instid0(VALU_DEP_1)
	v_wmma_f32_16x16x16_bf16 v[73:80], v[9:16], v[99:106], v[73:80]
	ds_load_b128 v[13:16], v85 offset:12304
	ds_load_b128 v[9:12], v85 offset:12288
	s_waitcnt lgkmcnt(6)
	v_wmma_f32_16x16x16_bf16 v[73:80], v[1:8], v[49:56], v[73:80]
	ds_load_b128 v[53:56], v85 offset:13328
	ds_load_b128 v[49:52], v85 offset:13312
	s_waitcnt lgkmcnt(6)
	;; [unrolled: 4-line block ×4, first 2 shown]
	v_wmma_f32_16x16x16_bf16 v[73:80], v[33:40], v[9:16], v[73:80]
	s_waitcnt lgkmcnt(4)
	s_delay_alu instid0(VALU_DEP_1) | instskip(SKIP_1) | instid1(VALU_DEP_1)
	v_wmma_f32_16x16x16_bf16 v[73:80], v[25:32], v[49:56], v[73:80]
	s_waitcnt lgkmcnt(2)
	v_wmma_f32_16x16x16_bf16 v[73:80], v[25:32], v[1:8], v[73:80]
	s_waitcnt lgkmcnt(0)
	s_delay_alu instid0(VALU_DEP_1) | instskip(NEXT) | instid1(VALU_DEP_1)
	v_wmma_f32_16x16x16_bf16 v[73:80], v[17:24], v[41:48], v[73:80]
	v_and_b32_e32 v1, 0x7f800000, v73
	s_delay_alu instid0(VALU_DEP_1) | instskip(SKIP_1) | instid1(SALU_CYCLE_1)
	v_cmp_ne_u32_e32 vcc_lo, 0x7f800000, v1
                                        ; implicit-def: $vgpr1
	s_and_saveexec_b32 s3, vcc_lo
	s_xor_b32 s3, exec_lo, s3
; %bb.81:
	v_bfe_u32 v1, v73, 16, 1
	s_delay_alu instid0(VALU_DEP_1)
	v_add3_u32 v1, v73, v1, 0x7fff
; %bb.82:
	s_and_not1_saveexec_b32 s3, s3
; %bb.83:
	v_and_b32_e32 v1, 0xffff, v73
	v_or_b32_e32 v2, 0x10000, v73
	s_delay_alu instid0(VALU_DEP_2) | instskip(NEXT) | instid1(VALU_DEP_2)
	v_cmp_eq_u32_e32 vcc_lo, 0, v1
	v_cndmask_b32_e32 v1, v2, v73, vcc_lo
; %bb.84:
	s_or_b32 exec_lo, exec_lo, s3
	v_and_b32_e32 v2, 0x7f800000, v74
	s_delay_alu instid0(VALU_DEP_1) | instskip(SKIP_1) | instid1(SALU_CYCLE_1)
	v_cmp_ne_u32_e32 vcc_lo, 0x7f800000, v2
                                        ; implicit-def: $vgpr2
	s_and_saveexec_b32 s3, vcc_lo
	s_xor_b32 s3, exec_lo, s3
; %bb.85:
	v_bfe_u32 v2, v74, 16, 1
	s_delay_alu instid0(VALU_DEP_1)
	v_add3_u32 v2, v74, v2, 0x7fff
; %bb.86:
	s_and_not1_saveexec_b32 s3, s3
; %bb.87:
	v_and_b32_e32 v2, 0xffff, v74
	v_or_b32_e32 v3, 0x10000, v74
	s_delay_alu instid0(VALU_DEP_2) | instskip(NEXT) | instid1(VALU_DEP_2)
	v_cmp_eq_u32_e32 vcc_lo, 0, v2
	v_cndmask_b32_e32 v2, v3, v74, vcc_lo
; %bb.88:
	s_or_b32 exec_lo, exec_lo, s3
	v_and_b32_e32 v3, 0x7f800000, v75
	s_delay_alu instid0(VALU_DEP_1) | instskip(SKIP_1) | instid1(SALU_CYCLE_1)
	v_cmp_ne_u32_e32 vcc_lo, 0x7f800000, v3
                                        ; implicit-def: $vgpr3
	s_and_saveexec_b32 s3, vcc_lo
	s_xor_b32 s3, exec_lo, s3
; %bb.89:
	v_bfe_u32 v3, v75, 16, 1
	s_delay_alu instid0(VALU_DEP_1)
	v_add3_u32 v3, v75, v3, 0x7fff
; %bb.90:
	s_and_not1_saveexec_b32 s3, s3
; %bb.91:
	v_and_b32_e32 v3, 0xffff, v75
	v_or_b32_e32 v4, 0x10000, v75
	s_delay_alu instid0(VALU_DEP_2) | instskip(NEXT) | instid1(VALU_DEP_2)
	v_cmp_eq_u32_e32 vcc_lo, 0, v3
	v_cndmask_b32_e32 v3, v4, v75, vcc_lo
; %bb.92:
	s_or_b32 exec_lo, exec_lo, s3
	v_and_b32_e32 v4, 0x7f800000, v76
	s_delay_alu instid0(VALU_DEP_1) | instskip(SKIP_1) | instid1(SALU_CYCLE_1)
	v_cmp_ne_u32_e32 vcc_lo, 0x7f800000, v4
                                        ; implicit-def: $vgpr4
	s_and_saveexec_b32 s3, vcc_lo
	s_xor_b32 s3, exec_lo, s3
; %bb.93:
	v_bfe_u32 v4, v76, 16, 1
	s_delay_alu instid0(VALU_DEP_1)
	v_add3_u32 v4, v76, v4, 0x7fff
; %bb.94:
	s_and_not1_saveexec_b32 s3, s3
; %bb.95:
	v_and_b32_e32 v4, 0xffff, v76
	v_or_b32_e32 v5, 0x10000, v76
	s_delay_alu instid0(VALU_DEP_2) | instskip(NEXT) | instid1(VALU_DEP_2)
	v_cmp_eq_u32_e32 vcc_lo, 0, v4
	v_cndmask_b32_e32 v4, v5, v76, vcc_lo
; %bb.96:
	s_or_b32 exec_lo, exec_lo, s3
	v_and_b32_e32 v5, 0x7f800000, v77
	s_delay_alu instid0(VALU_DEP_1) | instskip(SKIP_1) | instid1(SALU_CYCLE_1)
	v_cmp_ne_u32_e32 vcc_lo, 0x7f800000, v5
                                        ; implicit-def: $vgpr5
	s_and_saveexec_b32 s3, vcc_lo
	s_xor_b32 s3, exec_lo, s3
; %bb.97:
	v_bfe_u32 v5, v77, 16, 1
	s_delay_alu instid0(VALU_DEP_1)
	v_add3_u32 v5, v77, v5, 0x7fff
; %bb.98:
	s_and_not1_saveexec_b32 s3, s3
; %bb.99:
	v_and_b32_e32 v5, 0xffff, v77
	v_or_b32_e32 v6, 0x10000, v77
	s_delay_alu instid0(VALU_DEP_2) | instskip(NEXT) | instid1(VALU_DEP_2)
	v_cmp_eq_u32_e32 vcc_lo, 0, v5
	v_cndmask_b32_e32 v5, v6, v77, vcc_lo
; %bb.100:
	s_or_b32 exec_lo, exec_lo, s3
	v_and_b32_e32 v6, 0x7f800000, v78
	s_delay_alu instid0(VALU_DEP_1) | instskip(SKIP_1) | instid1(SALU_CYCLE_1)
	v_cmp_ne_u32_e32 vcc_lo, 0x7f800000, v6
                                        ; implicit-def: $vgpr6
	s_and_saveexec_b32 s3, vcc_lo
	s_xor_b32 s3, exec_lo, s3
; %bb.101:
	v_bfe_u32 v6, v78, 16, 1
	s_delay_alu instid0(VALU_DEP_1)
	v_add3_u32 v6, v78, v6, 0x7fff
; %bb.102:
	s_and_not1_saveexec_b32 s3, s3
; %bb.103:
	v_and_b32_e32 v6, 0xffff, v78
	v_or_b32_e32 v7, 0x10000, v78
	s_delay_alu instid0(VALU_DEP_2) | instskip(NEXT) | instid1(VALU_DEP_2)
	v_cmp_eq_u32_e32 vcc_lo, 0, v6
	v_cndmask_b32_e32 v6, v7, v78, vcc_lo
; %bb.104:
	s_or_b32 exec_lo, exec_lo, s3
	v_and_b32_e32 v7, 0x7f800000, v79
	s_delay_alu instid0(VALU_DEP_1) | instskip(SKIP_1) | instid1(SALU_CYCLE_1)
	v_cmp_ne_u32_e32 vcc_lo, 0x7f800000, v7
                                        ; implicit-def: $vgpr7
	s_and_saveexec_b32 s3, vcc_lo
	s_xor_b32 s3, exec_lo, s3
; %bb.105:
	v_bfe_u32 v7, v79, 16, 1
	s_delay_alu instid0(VALU_DEP_1)
	v_add3_u32 v7, v79, v7, 0x7fff
; %bb.106:
	s_and_not1_saveexec_b32 s3, s3
; %bb.107:
	v_and_b32_e32 v7, 0xffff, v79
	v_or_b32_e32 v8, 0x10000, v79
	s_delay_alu instid0(VALU_DEP_2) | instskip(NEXT) | instid1(VALU_DEP_2)
	v_cmp_eq_u32_e32 vcc_lo, 0, v7
	v_cndmask_b32_e32 v7, v8, v79, vcc_lo
; %bb.108:
	s_or_b32 exec_lo, exec_lo, s3
	v_and_b32_e32 v8, 0x7f800000, v80
	s_delay_alu instid0(VALU_DEP_1) | instskip(SKIP_1) | instid1(SALU_CYCLE_1)
	v_cmp_ne_u32_e32 vcc_lo, 0x7f800000, v8
                                        ; implicit-def: $vgpr8
	s_and_saveexec_b32 s3, vcc_lo
	s_xor_b32 s3, exec_lo, s3
; %bb.109:
	v_bfe_u32 v8, v80, 16, 1
	s_delay_alu instid0(VALU_DEP_1)
	v_add3_u32 v8, v80, v8, 0x7fff
                                        ; implicit-def: $vgpr73_vgpr74_vgpr75_vgpr76_vgpr77_vgpr78_vgpr79_vgpr80
; %bb.110:
	s_and_not1_saveexec_b32 s3, s3
; %bb.111:
	v_and_b32_e32 v8, 0xffff, v80
	v_or_b32_e32 v9, 0x10000, v80
	s_delay_alu instid0(VALU_DEP_2) | instskip(NEXT) | instid1(VALU_DEP_2)
	v_cmp_eq_u32_e32 vcc_lo, 0, v8
	v_cndmask_b32_e32 v8, v9, v80, vcc_lo
; %bb.112:
	s_or_b32 exec_lo, exec_lo, s3
	s_delay_alu instid0(VALU_DEP_1)
	v_perm_b32 v7, v8, v7, 0x7060302
	v_perm_b32 v6, v6, v5, 0x7060302
	;; [unrolled: 1-line block ×4, first 2 shown]
	v_lshl_or_b32 v9, v83, 4, v90
	s_barrier
	buffer_gl0_inv
	v_cmp_eq_u32_e32 vcc_lo, 1, v87
	ds_store_b128 v9, v[4:7]
	s_waitcnt lgkmcnt(0)
	s_barrier
	buffer_gl0_inv
	ds_load_b128 v[1:4], v90
	ds_load_b128 v[5:8], v90 offset:16
	v_cmp_eq_u32_e64 s4, 2, v87
	v_cmp_eq_u32_e64 s3, 1, v88
	v_cmp_eq_u32_e64 s5, 3, v87
	v_cmp_eq_u32_e64 s7, 2, v86
	v_cmp_eq_u32_e64 s6, 7, v88
	s_waitcnt lgkmcnt(1)
	v_lshrrev_b32_e32 v10, 16, v1
	s_waitcnt lgkmcnt(0)
	v_lshrrev_b32_e32 v14, 16, v5
	v_lshrrev_b32_e32 v15, 16, v6
	;; [unrolled: 1-line block ×4, first 2 shown]
	v_cndmask_b32_e64 v20, v1, v10, s3
	v_cndmask_b32_e32 v19, v5, v14, vcc_lo
	v_cndmask_b32_e64 v21, v5, v14, s3
	v_lshrrev_b32_e32 v16, 16, v7
	v_cmp_eq_u32_e64 s3, 1, v86
	v_lshrrev_b32_e32 v13, 16, v4
	v_cndmask_b32_e64 v19, v19, v6, s4
	v_lshrrev_b32_e32 v17, 16, v8
	s_delay_alu instid0(VALU_DEP_4) | instskip(SKIP_1) | instid1(VALU_DEP_4)
	v_cndmask_b32_e64 v22, v1, v10, s3
	v_cndmask_b32_e64 v23, v5, v14, s3
	;; [unrolled: 1-line block ×3, first 2 shown]
	v_cndmask_b32_e32 v18, v1, v10, vcc_lo
	v_cmp_eq_u32_e32 vcc_lo, 2, v88
	v_cmp_eq_u32_e64 s3, 2, v89
	v_cndmask_b32_e64 v22, v22, v2, s7
	v_cndmask_b32_e32 v20, v20, v2, vcc_lo
	v_cndmask_b32_e32 v21, v21, v6, vcc_lo
	v_cmp_eq_u32_e32 vcc_lo, 4, v87
	v_cndmask_b32_e32 v19, v19, v7, vcc_lo
	v_cndmask_b32_e64 v18, v18, v2, s4
	v_cmp_eq_u32_e64 s4, 3, v88
	s_delay_alu instid0(VALU_DEP_2) | instskip(NEXT) | instid1(VALU_DEP_2)
	v_cndmask_b32_e64 v18, v18, v11, s5
	v_cndmask_b32_e64 v21, v21, v15, s4
	v_cmp_eq_u32_e64 s5, 5, v87
	s_delay_alu instid0(VALU_DEP_3) | instskip(SKIP_1) | instid1(VALU_DEP_3)
	v_cndmask_b32_e32 v18, v18, v3, vcc_lo
	v_cmp_eq_u32_e32 vcc_lo, 4, v88
	v_cndmask_b32_e64 v19, v19, v16, s5
	s_delay_alu instid0(VALU_DEP_3) | instskip(SKIP_4) | instid1(VALU_DEP_3)
	v_cndmask_b32_e64 v18, v18, v12, s5
	v_cndmask_b32_e32 v21, v21, v7, vcc_lo
	v_cndmask_b32_e64 v20, v20, v11, s4
	v_cmp_eq_u32_e64 s4, 5, v88
	v_cmp_eq_u32_e64 s5, 6, v87
	v_cndmask_b32_e32 v20, v20, v3, vcc_lo
	s_delay_alu instid0(VALU_DEP_3) | instskip(SKIP_1) | instid1(VALU_DEP_4)
	v_cndmask_b32_e64 v21, v21, v16, s4
	v_cmp_eq_u32_e32 vcc_lo, 6, v88
	v_cndmask_b32_e64 v18, v18, v4, s5
	v_cndmask_b32_e64 v19, v19, v8, s5
	;; [unrolled: 1-line block ×3, first 2 shown]
	v_cmp_eq_u32_e64 s4, 1, v89
	v_cmp_eq_u32_e64 s5, 7, v87
	s_delay_alu instid0(VALU_DEP_3) | instskip(NEXT) | instid1(VALU_DEP_3)
	v_cndmask_b32_e32 v20, v20, v4, vcc_lo
	v_cndmask_b32_e64 v1, v1, v10, s4
	v_cndmask_b32_e64 v5, v5, v14, s4
	v_cmp_eq_u32_e64 s4, 3, v86
	v_cndmask_b32_e64 v14, v23, v6, s7
	v_cmp_eq_u32_e64 s7, 3, v89
	v_cndmask_b32_e64 v1, v1, v2, s3
	v_cndmask_b32_e64 v2, v5, v6, s3
	;; [unrolled: 1-line block ×3, first 2 shown]
	v_cmp_eq_u32_e64 s3, 4, v86
	v_cndmask_b32_e64 v6, v14, v15, s4
	v_cndmask_b32_e64 v1, v1, v11, s7
	v_cmp_eq_u32_e64 s4, 4, v89
	v_cndmask_b32_e64 v2, v2, v15, s7
	v_cndmask_b32_e64 v5, v10, v3, s3
	;; [unrolled: 3-line block ×3, first 2 shown]
	v_cndmask_b32_e64 v2, v2, v7, s4
	v_cmp_eq_u32_e64 s3, 5, v89
	v_cndmask_b32_e64 v5, v5, v12, s7
	v_cmp_eq_u32_e64 s4, 6, v86
	;; [unrolled: 2-line block ×3, first 2 shown]
	v_cndmask_b32_e64 v1, v1, v12, s3
	v_cndmask_b32_e64 v2, v2, v16, s3
	;; [unrolled: 1-line block ×4, first 2 shown]
	v_cmp_eq_u32_e64 s3, 7, v89
	v_cndmask_b32_e64 v1, v1, v4, s7
	v_cndmask_b32_e64 v2, v2, v8, s7
	v_cmp_eq_u32_e64 s4, 7, v86
	v_cndmask_b32_e32 v4, v21, v8, vcc_lo
	v_cndmask_b32_e64 v18, v18, v13, s5
	v_cndmask_b32_e64 v20, v20, v13, s6
	;; [unrolled: 1-line block ×8, first 2 shown]
	s_mov_b32 s3, exec_lo
	v_perm_b32 v4, v2, v1, 0x5040100
	v_perm_b32 v3, v3, v5, 0x5040100
	;; [unrolled: 1-line block ×4, first 2 shown]
	ds_store_b128 v9, v[1:4]
	s_waitcnt lgkmcnt(0)
	s_barrier
	buffer_gl0_inv
	v_cmpx_gt_u32_e32 32, v0
	s_cbranch_execz .LBB716_2
; %bb.113:
	s_load_b64 s[4:5], s[0:1], 0x68
	v_lshlrev_b32_e32 v0, 10, v0
	v_add_nc_u32_e32 v2, s31, v83
	v_lshlrev_b32_e32 v3, 4, v84
	s_lshl_b32 s0, s34, 7
	s_delay_alu instid0(SALU_CYCLE_1) | instskip(NEXT) | instid1(VALU_DEP_2)
	s_mul_i32 s1, s0, s30
	v_mul_lo_u32 v1, v2, s0
	s_delay_alu instid0(VALU_DEP_2)
	v_and_or_b32 v0, 0x3800, v0, v3
	v_add_nc_u32_e32 v3, 2, v2
	s_mul_i32 s6, s1, s8
	v_add_nc_u32_e32 v4, 4, v2
	s_ashr_i32 s7, s6, 31
	v_lshl_or_b32 v11, v83, 6, v0
	s_lshl_b64 s[6:7], s[6:7], 1
	v_mul_lo_u32 v15, v3, s0
	v_mul_lo_u32 v17, v4, s0
	v_ashrrev_i32_e32 v2, 31, v1
	ds_load_b128 v[3:6], v11
	ds_load_b128 v[7:10], v11 offset:128
	ds_load_b128 v[11:14], v11 offset:256
	s_waitcnt lgkmcnt(0)
	s_add_u32 s1, s4, s6
	s_addc_u32 s3, s5, s7
	s_lshl_b32 s4, s14, 7
	v_ashrrev_i32_e32 v16, 31, v15
	s_ashr_i32 s5, s4, 31
	v_lshlrev_b64 v[19:20], 1, v[1:2]
	s_lshl_b64 s[4:5], s[4:5], 1
	v_ashrrev_i32_e32 v18, 31, v17
	s_add_u32 s1, s1, s4
	s_addc_u32 s3, s3, s5
	v_add_co_u32 v1, vcc_lo, s1, v81
	v_add_co_ci_u32_e32 v2, vcc_lo, s3, v82, vcc_lo
	v_lshlrev_b64 v[15:16], 1, v[15:16]
	s_delay_alu instid0(VALU_DEP_3) | instskip(SKIP_1) | instid1(VALU_DEP_4)
	v_add_co_u32 v19, vcc_lo, v1, v19
	v_lshlrev_b64 v[17:18], 1, v[17:18]
	v_add_co_ci_u32_e32 v20, vcc_lo, v2, v20, vcc_lo
	s_delay_alu instid0(VALU_DEP_4) | instskip(SKIP_1) | instid1(VALU_DEP_4)
	v_add_co_u32 v15, vcc_lo, v1, v15
	v_add_co_ci_u32_e32 v16, vcc_lo, v2, v16, vcc_lo
	v_add_co_u32 v17, vcc_lo, v1, v17
	v_add_co_ci_u32_e32 v18, vcc_lo, v2, v18, vcc_lo
	s_clause 0x2
	global_store_b128 v[19:20], v[3:6], off
	global_store_b128 v[15:16], v[7:10], off
	;; [unrolled: 1-line block ×3, first 2 shown]
	s_and_b32 exec_lo, exec_lo, s2
	s_cbranch_execz .LBB716_2
; %bb.114:
	ds_load_b128 v[3:6], v0 offset:384
	s_add_i32 s1, s31, 6
	s_delay_alu instid0(SALU_CYCLE_1) | instskip(NEXT) | instid1(SALU_CYCLE_1)
	s_mul_i32 s0, s1, s0
	s_ashr_i32 s1, s0, 31
	s_delay_alu instid0(SALU_CYCLE_1) | instskip(NEXT) | instid1(SALU_CYCLE_1)
	s_lshl_b64 s[0:1], s[0:1], 1
	v_add_co_u32 v0, vcc_lo, v1, s0
	v_add_co_ci_u32_e32 v1, vcc_lo, s1, v2, vcc_lo
	s_waitcnt lgkmcnt(0)
	global_store_b128 v[0:1], v[3:6], off
	s_nop 0
	s_sendmsg sendmsg(MSG_DEALLOC_VGPRS)
	s_endpgm
	.section	.rodata,"a",@progbits
	.p2align	6, 0x0
	.amdhsa_kernel _Z39paged_attention_ll4mi_QKV_mfma16_kernelI14__hip_bfloat16S0_LN4vllm18Fp8KVCacheDataTypeE0EhLi32ELi128ELi256ELb0ELi7EL8MFMAType0EEvPKT_PKT0_S9_ifPKiSB_SB_iPKfiiiPfSE_PS4_PT2_iSD_SD_
		.amdhsa_group_segment_fixed_size 17472
		.amdhsa_private_segment_fixed_size 0
		.amdhsa_kernarg_size 400
		.amdhsa_user_sgpr_count 13
		.amdhsa_user_sgpr_dispatch_ptr 0
		.amdhsa_user_sgpr_queue_ptr 0
		.amdhsa_user_sgpr_kernarg_segment_ptr 1
		.amdhsa_user_sgpr_dispatch_id 0
		.amdhsa_user_sgpr_private_segment_size 0
		.amdhsa_wavefront_size32 1
		.amdhsa_uses_dynamic_stack 0
		.amdhsa_enable_private_segment 0
		.amdhsa_system_sgpr_workgroup_id_x 1
		.amdhsa_system_sgpr_workgroup_id_y 1
		.amdhsa_system_sgpr_workgroup_id_z 1
		.amdhsa_system_sgpr_workgroup_info 0
		.amdhsa_system_vgpr_workitem_id 0
		.amdhsa_next_free_vgpr 157
		.amdhsa_next_free_sgpr 37
		.amdhsa_reserve_vcc 1
		.amdhsa_float_round_mode_32 0
		.amdhsa_float_round_mode_16_64 0
		.amdhsa_float_denorm_mode_32 3
		.amdhsa_float_denorm_mode_16_64 3
		.amdhsa_dx10_clamp 1
		.amdhsa_ieee_mode 1
		.amdhsa_fp16_overflow 0
		.amdhsa_workgroup_processor_mode 1
		.amdhsa_memory_ordered 1
		.amdhsa_forward_progress 0
		.amdhsa_shared_vgpr_count 0
		.amdhsa_exception_fp_ieee_invalid_op 0
		.amdhsa_exception_fp_denorm_src 0
		.amdhsa_exception_fp_ieee_div_zero 0
		.amdhsa_exception_fp_ieee_overflow 0
		.amdhsa_exception_fp_ieee_underflow 0
		.amdhsa_exception_fp_ieee_inexact 0
		.amdhsa_exception_int_div_zero 0
	.end_amdhsa_kernel
	.section	.text._Z39paged_attention_ll4mi_QKV_mfma16_kernelI14__hip_bfloat16S0_LN4vllm18Fp8KVCacheDataTypeE0EhLi32ELi128ELi256ELb0ELi7EL8MFMAType0EEvPKT_PKT0_S9_ifPKiSB_SB_iPKfiiiPfSE_PS4_PT2_iSD_SD_,"axG",@progbits,_Z39paged_attention_ll4mi_QKV_mfma16_kernelI14__hip_bfloat16S0_LN4vllm18Fp8KVCacheDataTypeE0EhLi32ELi128ELi256ELb0ELi7EL8MFMAType0EEvPKT_PKT0_S9_ifPKiSB_SB_iPKfiiiPfSE_PS4_PT2_iSD_SD_,comdat
.Lfunc_end716:
	.size	_Z39paged_attention_ll4mi_QKV_mfma16_kernelI14__hip_bfloat16S0_LN4vllm18Fp8KVCacheDataTypeE0EhLi32ELi128ELi256ELb0ELi7EL8MFMAType0EEvPKT_PKT0_S9_ifPKiSB_SB_iPKfiiiPfSE_PS4_PT2_iSD_SD_, .Lfunc_end716-_Z39paged_attention_ll4mi_QKV_mfma16_kernelI14__hip_bfloat16S0_LN4vllm18Fp8KVCacheDataTypeE0EhLi32ELi128ELi256ELb0ELi7EL8MFMAType0EEvPKT_PKT0_S9_ifPKiSB_SB_iPKfiiiPfSE_PS4_PT2_iSD_SD_
                                        ; -- End function
	.section	.AMDGPU.csdata,"",@progbits
; Kernel info:
; codeLenInByte = 9768
; NumSgprs: 39
; NumVgprs: 157
; ScratchSize: 0
; MemoryBound: 0
; FloatMode: 240
; IeeeMode: 1
; LDSByteSize: 17472 bytes/workgroup (compile time only)
; SGPRBlocks: 4
; VGPRBlocks: 19
; NumSGPRsForWavesPerEU: 39
; NumVGPRsForWavesPerEU: 157
; Occupancy: 9
; WaveLimiterHint : 1
; COMPUTE_PGM_RSRC2:SCRATCH_EN: 0
; COMPUTE_PGM_RSRC2:USER_SGPR: 13
; COMPUTE_PGM_RSRC2:TRAP_HANDLER: 0
; COMPUTE_PGM_RSRC2:TGID_X_EN: 1
; COMPUTE_PGM_RSRC2:TGID_Y_EN: 1
; COMPUTE_PGM_RSRC2:TGID_Z_EN: 1
; COMPUTE_PGM_RSRC2:TIDIG_COMP_CNT: 0
	.section	.text._Z39paged_attention_ll4mi_QKV_mfma16_kernelI14__hip_bfloat16S0_LN4vllm18Fp8KVCacheDataTypeE0EhLi32ELi128ELi256ELb0ELi8EL8MFMAType0EEvPKT_PKT0_S9_ifPKiSB_SB_iPKfiiiPfSE_PS4_PT2_iSD_SD_,"axG",@progbits,_Z39paged_attention_ll4mi_QKV_mfma16_kernelI14__hip_bfloat16S0_LN4vllm18Fp8KVCacheDataTypeE0EhLi32ELi128ELi256ELb0ELi8EL8MFMAType0EEvPKT_PKT0_S9_ifPKiSB_SB_iPKfiiiPfSE_PS4_PT2_iSD_SD_,comdat
	.protected	_Z39paged_attention_ll4mi_QKV_mfma16_kernelI14__hip_bfloat16S0_LN4vllm18Fp8KVCacheDataTypeE0EhLi32ELi128ELi256ELb0ELi8EL8MFMAType0EEvPKT_PKT0_S9_ifPKiSB_SB_iPKfiiiPfSE_PS4_PT2_iSD_SD_ ; -- Begin function _Z39paged_attention_ll4mi_QKV_mfma16_kernelI14__hip_bfloat16S0_LN4vllm18Fp8KVCacheDataTypeE0EhLi32ELi128ELi256ELb0ELi8EL8MFMAType0EEvPKT_PKT0_S9_ifPKiSB_SB_iPKfiiiPfSE_PS4_PT2_iSD_SD_
	.globl	_Z39paged_attention_ll4mi_QKV_mfma16_kernelI14__hip_bfloat16S0_LN4vllm18Fp8KVCacheDataTypeE0EhLi32ELi128ELi256ELb0ELi8EL8MFMAType0EEvPKT_PKT0_S9_ifPKiSB_SB_iPKfiiiPfSE_PS4_PT2_iSD_SD_
	.p2align	8
	.type	_Z39paged_attention_ll4mi_QKV_mfma16_kernelI14__hip_bfloat16S0_LN4vllm18Fp8KVCacheDataTypeE0EhLi32ELi128ELi256ELb0ELi8EL8MFMAType0EEvPKT_PKT0_S9_ifPKiSB_SB_iPKfiiiPfSE_PS4_PT2_iSD_SD_,@function
_Z39paged_attention_ll4mi_QKV_mfma16_kernelI14__hip_bfloat16S0_LN4vllm18Fp8KVCacheDataTypeE0EhLi32ELi128ELi256ELb0ELi8EL8MFMAType0EEvPKT_PKT0_S9_ifPKiSB_SB_iPKfiiiPfSE_PS4_PT2_iSD_SD_: ; @_Z39paged_attention_ll4mi_QKV_mfma16_kernelI14__hip_bfloat16S0_LN4vllm18Fp8KVCacheDataTypeE0EhLi32ELi128ELi256ELb0ELi8EL8MFMAType0EEvPKT_PKT0_S9_ifPKiSB_SB_iPKfiiiPfSE_PS4_PT2_iSD_SD_
; %bb.0:
	s_load_b64 s[2:3], s[0:1], 0x30
	s_mov_b32 s30, s13
	s_waitcnt lgkmcnt(0)
	s_cmp_lg_u64 s[2:3], 0
	s_cselect_b32 s6, -1, 0
	s_ashr_i32 s31, s13, 31
	s_cmp_eq_u64 s[2:3], 0
	s_cbranch_scc1 .LBB717_3
; %bb.1:
	s_lshl_b64 s[4:5], s[30:31], 2
	s_delay_alu instid0(SALU_CYCLE_1) | instskip(SKIP_4) | instid1(SALU_CYCLE_1)
	s_add_u32 s4, s2, s4
	s_addc_u32 s5, s3, s5
	s_load_b64 s[4:5], s[4:5], 0x0
	s_waitcnt lgkmcnt(0)
	s_sub_i32 s4, s5, s4
	s_cmp_eq_u32 s4, 1
	s_cselect_b32 s4, -1, 0
	s_delay_alu instid0(SALU_CYCLE_1)
	s_and_not1_b32 vcc_lo, exec_lo, s4
	s_cbranch_vccz .LBB717_4
.LBB717_2:
	s_endpgm
.LBB717_3:
.LBB717_4:
	s_load_b64 s[8:9], s[0:1], 0x28
	s_lshl_b64 s[4:5], s[30:31], 2
	s_waitcnt lgkmcnt(0)
	s_add_u32 s8, s8, s4
	s_addc_u32 s9, s9, s5
	s_lshl_b32 s12, s14, 8
	s_load_b32 s17, s[8:9], 0x0
	s_waitcnt lgkmcnt(0)
	s_cmp_ge_i32 s12, s17
	s_cbranch_scc1 .LBB717_2
; %bb.5:
	s_and_not1_b32 vcc_lo, exec_lo, s6
	s_cbranch_vccnz .LBB717_7
; %bb.6:
	s_add_u32 s2, s2, s4
	s_addc_u32 s3, s3, s5
	s_load_b32 s13, s[2:3], 0x0
	s_branch .LBB717_8
.LBB717_7:
	s_mov_b32 s13, s30
.LBB717_8:
	s_clause 0x2
	s_load_b128 s[8:11], s[0:1], 0x8
	s_load_b64 s[2:3], s[0:1], 0x20
	s_load_b128 s[4:7], s[0:1], 0x48
	v_and_b32_e32 v74, 15, v0
	s_waitcnt lgkmcnt(0)
	s_mov_b32 s7, exec_lo
	s_delay_alu instid0(VALU_DEP_1)
	v_lshlrev_b32_e32 v1, 3, v74
	v_cmpx_lt_u32_e32 0x7f, v0
	s_xor_b32 s7, exec_lo, s7
; %bb.9:
	v_mov_b32_e32 v2, 0
; %bb.10:
	s_or_saveexec_b32 s7, s7
	v_lshrrev_b32_e32 v73, 5, v0
	v_and_b32_e32 v75, 31, v0
	v_and_b32_e32 v84, 1, v0
	v_bfe_u32 v83, v0, 4, 1
	s_lshl_b32 s29, s15, 3
	s_xor_b32 exec_lo, exec_lo, s7
	s_cbranch_execz .LBB717_12
; %bb.11:
	s_delay_alu instid0(VALU_DEP_1)
	v_lshl_or_b32 v7, v73, 1, v83
	s_load_b64 s[18:19], s[0:1], 0x0
	s_mul_hi_i32 s21, s13, s4
	s_mul_i32 s20, s13, s4
	v_lshlrev_b32_e32 v4, 1, v1
	v_or_b32_e32 v2, s29, v7
	s_lshl_b64 s[20:21], s[20:21], 1
	v_lshlrev_b32_e32 v7, 6, v7
	v_lshlrev_b32_e32 v8, 10, v84
	s_delay_alu instid0(VALU_DEP_3) | instskip(NEXT) | instid1(VALU_DEP_1)
	v_lshlrev_b32_e32 v2, 7, v2
	v_ashrrev_i32_e32 v3, 31, v2
	s_delay_alu instid0(VALU_DEP_1) | instskip(SKIP_3) | instid1(VALU_DEP_1)
	v_lshlrev_b64 v[2:3], 1, v[2:3]
	s_waitcnt lgkmcnt(0)
	s_add_u32 s4, s18, s20
	s_addc_u32 s13, s19, s21
	v_add_co_u32 v2, vcc_lo, s4, v2
	s_delay_alu instid0(VALU_DEP_2) | instskip(NEXT) | instid1(VALU_DEP_2)
	v_add_co_ci_u32_e32 v3, vcc_lo, s13, v3, vcc_lo
	v_add_co_u32 v2, vcc_lo, v2, v4
	s_delay_alu instid0(VALU_DEP_2) | instskip(SKIP_2) | instid1(VALU_DEP_1)
	v_add_co_ci_u32_e32 v3, vcc_lo, 0, v3, vcc_lo
	global_load_b128 v[3:6], v[2:3], off
	v_lshlrev_b32_e32 v2, 10, v74
	v_and_b32_e32 v2, 0x3800, v2
	s_delay_alu instid0(VALU_DEP_1)
	v_or3_b32 v7, v2, v8, v7
	v_mov_b32_e32 v2, 0
	s_waitcnt vmcnt(0)
	ds_store_b128 v7, v[3:6]
.LBB717_12:
	s_or_b32 exec_lo, exec_lo, s7
	v_and_b32_e32 v3, 0xef, v0
	s_add_i32 s4, s17, 31
	s_clause 0x1
	s_load_b32 s7, s[0:1], 0x38
	s_load_b32 s18, s[0:1], 0x1c
	s_ashr_i32 s13, s4, 31
	v_add_nc_u32_e32 v3, s12, v3
	s_lshr_b32 s13, s13, 27
	s_waitcnt lgkmcnt(0)
	s_add_i32 s4, s4, s13
	s_barrier
	v_ashrrev_i32_e32 v4, 31, v3
	v_cmp_gt_i32_e32 vcc_lo, s17, v3
	s_ashr_i32 s4, s4, 5
	buffer_gl0_inv
	s_add_i32 s4, s4, -1
	v_lshrrev_b32_e32 v5, 27, v4
	v_or_b32_e32 v4, 16, v3
	v_lshlrev_b64 v[81:82], 1, v[1:2]
	v_and_b32_e32 v80, 7, v0
	s_delay_alu instid0(VALU_DEP_4) | instskip(NEXT) | instid1(VALU_DEP_4)
	v_add_nc_u32_e32 v6, v3, v5
	v_add_nc_u32_e32 v5, v4, v5
	s_mul_i32 s20, s30, s7
	s_delay_alu instid0(VALU_DEP_3) | instskip(SKIP_4) | instid1(SALU_CYCLE_1)
	v_lshlrev_b32_e32 v80, 6, v80
	s_ashr_i32 s21, s20, 31
	v_ashrrev_i32_e32 v6, 5, v6
	v_ashrrev_i32_e32 v5, 5, v5
	s_lshl_b64 s[20:21], s[20:21], 2
	s_add_u32 s7, s2, s20
	s_delay_alu instid0(VALU_DEP_2) | instskip(SKIP_3) | instid1(VALU_DEP_2)
	v_cndmask_b32_e32 v3, s4, v6, vcc_lo
	v_cmp_gt_i32_e32 vcc_lo, s17, v4
	s_addc_u32 s13, s3, s21
	s_mul_i32 s2, s15, s6
	v_ashrrev_i32_e32 v4, 31, v3
	v_cndmask_b32_e32 v5, s4, v5, vcc_lo
	s_ashr_i32 s3, s2, 31
	s_delay_alu instid0(SALU_CYCLE_1) | instskip(NEXT) | instid1(VALU_DEP_2)
	s_lshl_b64 s[2:3], s[2:3], 1
	v_lshlrev_b64 v[3:4], 2, v[3:4]
	s_delay_alu instid0(VALU_DEP_2) | instskip(SKIP_3) | instid1(VALU_DEP_1)
	v_ashrrev_i32_e32 v6, 31, v5
	s_add_u32 s6, s8, s2
	s_addc_u32 s15, s9, s3
	s_lshl_b32 s8, s14, 3
	v_lshlrev_b64 v[5:6], 2, v[5:6]
	v_add_co_u32 v3, vcc_lo, s7, v3
	v_add_co_ci_u32_e32 v4, vcc_lo, s13, v4, vcc_lo
	s_ashr_i32 s9, s8, 31
	s_delay_alu instid0(VALU_DEP_3) | instskip(NEXT) | instid1(VALU_DEP_4)
	v_add_co_u32 v5, vcc_lo, s7, v5
	v_add_co_ci_u32_e32 v6, vcc_lo, s13, v6, vcc_lo
	s_lshl_b64 s[8:9], s[8:9], 2
	s_clause 0x1
	global_load_b32 v7, v[3:4], off
	global_load_b32 v8, v[5:6], off
	s_add_u32 s8, s7, s8
	s_addc_u32 s9, s13, s9
	s_or_b32 s16, s12, 32
	s_delay_alu instid0(SALU_CYCLE_1) | instskip(SKIP_2) | instid1(SALU_CYCLE_1)
	s_ashr_i32 s19, s16, 5
	s_cmp_lt_i32 s16, s17
	s_cselect_b32 s20, s19, s4
	s_ashr_i32 s21, s20, 31
	s_delay_alu instid0(SALU_CYCLE_1) | instskip(NEXT) | instid1(SALU_CYCLE_1)
	s_lshl_b64 s[20:21], s[20:21], 2
	s_add_u32 s20, s7, s20
	s_addc_u32 s21, s13, s21
	s_or_b32 s16, s12, 64
	s_delay_alu instid0(SALU_CYCLE_1) | instskip(SKIP_2) | instid1(SALU_CYCLE_1)
	s_ashr_i32 s19, s16, 5
	s_cmp_lt_i32 s16, s17
	s_cselect_b32 s22, s19, s4
	s_ashr_i32 s23, s22, 31
	s_delay_alu instid0(SALU_CYCLE_1) | instskip(NEXT) | instid1(SALU_CYCLE_1)
	s_lshl_b64 s[22:23], s[22:23], 2
	;; [unrolled: 10-line block ×5, first 2 shown]
	s_add_u32 s34, s7, s34
	s_addc_u32 s35, s13, s35
	s_clause 0x5
	s_load_b32 s16, s[8:9], 0x0
	s_load_b32 s19, s[20:21], 0x0
	;; [unrolled: 1-line block ×6, first 2 shown]
	s_mov_b32 s20, 0
	s_delay_alu instid0(SALU_CYCLE_1)
	s_mov_b32 s27, s20
	s_mov_b32 s21, s20
	;; [unrolled: 1-line block ×7, first 2 shown]
	s_delay_alu instid0(SALU_CYCLE_1)
	v_dual_mov_b32 v108, s27 :: v_dual_mov_b32 v107, s26
	v_dual_mov_b32 v106, s25 :: v_dual_mov_b32 v105, s24
	v_mov_b32_e32 v102, s21
	v_dual_mov_b32 v104, s23 :: v_dual_mov_b32 v103, s22
	v_mov_b32_e32 v101, s20
	s_waitcnt lgkmcnt(0)
	s_mul_hi_i32 s21, s16, s5
	s_mul_i32 s20, s16, s5
	s_mul_hi_i32 s23, s19, s5
	s_mul_i32 s22, s19, s5
	;; [unrolled: 2-line block ×5, first 2 shown]
	s_waitcnt vmcnt(1)
	v_mad_i64_i32 v[3:4], null, v7, s5, 0
	s_waitcnt vmcnt(0)
	v_mad_i64_i32 v[5:6], null, v8, s5, 0
	s_delay_alu instid0(VALU_DEP_2) | instskip(NEXT) | instid1(VALU_DEP_2)
	v_lshlrev_b64 v[3:4], 1, v[3:4]
	v_lshlrev_b64 v[1:2], 1, v[5:6]
	s_delay_alu instid0(VALU_DEP_2) | instskip(NEXT) | instid1(VALU_DEP_3)
	v_add_co_u32 v3, vcc_lo, s6, v3
	v_add_co_ci_u32_e32 v4, vcc_lo, s15, v4, vcc_lo
	s_delay_alu instid0(VALU_DEP_3) | instskip(NEXT) | instid1(VALU_DEP_4)
	v_add_co_u32 v1, vcc_lo, s6, v1
	v_add_co_ci_u32_e32 v2, vcc_lo, s15, v2, vcc_lo
	s_delay_alu instid0(VALU_DEP_4) | instskip(NEXT) | instid1(VALU_DEP_4)
	v_add_co_u32 v65, vcc_lo, v3, v81
	v_add_co_ci_u32_e32 v66, vcc_lo, v4, v82, vcc_lo
	s_delay_alu instid0(VALU_DEP_4) | instskip(NEXT) | instid1(VALU_DEP_4)
	v_add_co_u32 v76, vcc_lo, v1, v81
	v_add_co_ci_u32_e32 v77, vcc_lo, v2, v82, vcc_lo
	s_clause 0xf
	global_load_b128 v[1:4], v[65:66], off
	global_load_b128 v[5:8], v[65:66], off offset:512
	global_load_b128 v[9:12], v[76:77], off offset:256
	;; [unrolled: 1-line block ×15, first 2 shown]
	v_add_co_u32 v78, vcc_lo, 0x1000, v65
	v_add_co_ci_u32_e32 v79, vcc_lo, 0, v66, vcc_lo
	v_add_co_u32 v76, vcc_lo, 0x1000, v76
	s_clause 0x1
	global_load_b128 v[65:68], v[78:79], off
	global_load_b128 v[69:72], v[78:79], off offset:512
	v_add_co_ci_u32_e32 v77, vcc_lo, 0, v77, vcc_lo
	ds_load_b128 v[85:88], v80
	ds_load_b128 v[89:92], v80 offset:1024
	s_clause 0x1
	global_load_b128 v[93:96], v[76:77], off offset:256
	global_load_b128 v[97:100], v[76:77], off offset:768
	ds_load_b128 v[109:112], v80 offset:2048
	ds_load_b128 v[113:116], v80 offset:3072
	s_or_b32 s6, s12, 0xc0
	s_delay_alu instid0(SALU_CYCLE_1) | instskip(SKIP_2) | instid1(SALU_CYCLE_1)
	s_ashr_i32 s8, s6, 5
	s_cmp_lt_i32 s6, s17
	s_cselect_b32 s8, s8, s4
	s_ashr_i32 s9, s8, 31
	s_delay_alu instid0(SALU_CYCLE_1) | instskip(NEXT) | instid1(SALU_CYCLE_1)
	s_lshl_b64 s[8:9], s[8:9], 2
	s_add_u32 s8, s7, s8
	s_addc_u32 s9, s13, s9
	s_or_b32 s6, s12, 0xe0
	s_delay_alu instid0(SALU_CYCLE_1) | instskip(SKIP_2) | instid1(SALU_CYCLE_1)
	s_ashr_i32 s15, s6, 5
	s_cmp_lt_i32 s6, s17
	s_cselect_b32 s24, s15, s4
	s_ashr_i32 s25, s24, 31
	s_delay_alu instid0(SALU_CYCLE_1) | instskip(NEXT) | instid1(SALU_CYCLE_1)
	s_lshl_b64 s[24:25], s[24:25], 2
	s_add_u32 s24, s7, s24
	s_addc_u32 s25, s13, s25
	s_add_i32 s6, s12, 0x100
	s_delay_alu instid0(SALU_CYCLE_1) | instskip(SKIP_2) | instid1(SALU_CYCLE_1)
	s_ashr_i32 s15, s6, 5
	s_cmp_lt_i32 s6, s17
	s_cselect_b32 s36, s15, s4
	s_ashr_i32 s37, s36, 31
	s_delay_alu instid0(SALU_CYCLE_1) | instskip(NEXT) | instid1(SALU_CYCLE_1)
	s_lshl_b64 s[36:37], s[36:37], 2
	s_add_u32 s6, s7, s36
	s_addc_u32 s7, s13, s37
	s_add_u32 s4, s10, s2
	s_addc_u32 s19, s11, s3
	s_lshl_b64 s[2:3], s[20:21], 1
	s_lshl_b64 s[10:11], s[26:27], 1
	;; [unrolled: 1-line block ×3, first 2 shown]
	s_waitcnt vmcnt(18) lgkmcnt(2)
	v_wmma_f32_16x16x16_bf16 v[117:124], v[1:8], v[85:92], v[101:108]
	s_waitcnt vmcnt(16)
	v_wmma_f32_16x16x16_bf16 v[101:108], v[9:16], v[85:92], v[101:108]
	s_clause 0x3
	global_load_b128 v[1:4], v[78:79], off offset:1024
	global_load_b128 v[5:8], v[78:79], off offset:1536
	;; [unrolled: 1-line block ×4, first 2 shown]
	s_waitcnt vmcnt(18) lgkmcnt(0)
	v_wmma_f32_16x16x16_bf16 v[117:124], v[17:24], v[109:116], v[117:124]
	s_clause 0x1
	global_load_b128 v[17:20], v[78:79], off offset:2048
	global_load_b128 v[21:24], v[78:79], off offset:2560
	s_waitcnt vmcnt(18)
	v_wmma_f32_16x16x16_bf16 v[101:108], v[25:32], v[109:116], v[101:108]
	ds_load_b128 v[25:28], v80 offset:4096
	ds_load_b128 v[29:32], v80 offset:5120
	s_clause 0x5
	global_load_b128 v[109:112], v[76:77], off offset:2304
	global_load_b128 v[113:116], v[76:77], off offset:2816
	;; [unrolled: 1-line block ×6, first 2 shown]
	s_waitcnt vmcnt(22) lgkmcnt(0)
	v_wmma_f32_16x16x16_bf16 v[117:124], v[33:40], v[25:32], v[117:124]
	s_waitcnt vmcnt(20)
	v_wmma_f32_16x16x16_bf16 v[101:108], v[41:48], v[25:32], v[101:108]
	ds_load_b128 v[25:28], v80 offset:6144
	ds_load_b128 v[29:32], v80 offset:7168
	;; [unrolled: 1-line block ×4, first 2 shown]
	s_waitcnt vmcnt(18) lgkmcnt(2)
	v_wmma_f32_16x16x16_bf16 v[117:124], v[49:56], v[25:32], v[117:124]
	s_waitcnt vmcnt(16)
	v_wmma_f32_16x16x16_bf16 v[101:108], v[57:64], v[25:32], v[101:108]
	ds_load_b128 v[25:28], v80 offset:10240
	ds_load_b128 v[29:32], v80 offset:11264
	;; [unrolled: 1-line block ×6, first 2 shown]
	s_waitcnt vmcnt(14) lgkmcnt(6)
	v_wmma_f32_16x16x16_bf16 v[117:124], v[65:72], v[33:40], v[117:124]
	s_waitcnt vmcnt(12)
	v_wmma_f32_16x16x16_bf16 v[101:108], v[93:100], v[33:40], v[101:108]
	s_clause 0x2
	s_load_b32 s16, s[8:9], 0x0
	s_load_b32 s13, s[24:25], 0x0
	;; [unrolled: 1-line block ×3, first 2 shown]
	s_lshl_b64 s[6:7], s[22:23], 1
	s_mul_hi_i32 s9, s33, s5
	s_mul_i32 s8, s33, s5
	s_lshl_b64 s[22:23], s[38:39], 1
	s_lshl_b64 s[8:9], s[8:9], 1
	s_waitcnt lgkmcnt(0)
	s_mul_hi_i32 s25, s16, s5
	s_mul_i32 s24, s16, s5
	s_waitcnt vmcnt(10)
	v_wmma_f32_16x16x16_bf16 v[117:124], v[1:8], v[25:32], v[117:124]
	s_waitcnt vmcnt(8)
	v_wmma_f32_16x16x16_bf16 v[101:108], v[9:16], v[25:32], v[101:108]
	s_waitcnt vmcnt(6)
	s_delay_alu instid0(VALU_DEP_2) | instskip(SKIP_1) | instid1(VALU_DEP_2)
	v_wmma_f32_16x16x16_bf16 v[117:124], v[17:24], v[141:148], v[117:124]
	s_waitcnt vmcnt(4)
	v_wmma_f32_16x16x16_bf16 v[101:108], v[109:116], v[141:148], v[101:108]
	s_waitcnt vmcnt(2)
	s_delay_alu instid0(VALU_DEP_2) | instskip(SKIP_3) | instid1(VALU_DEP_3)
	v_wmma_f32_16x16x16_bf16 v[117:124], v[125:132], v[149:156], v[117:124]
	v_lshlrev_b32_e32 v85, 6, v74
	s_waitcnt vmcnt(0)
	v_wmma_f32_16x16x16_bf16 v[101:108], v[133:140], v[149:156], v[101:108]
	v_mul_f32_e32 v100, s18, v124
	s_delay_alu instid0(VALU_DEP_3) | instskip(SKIP_2) | instid1(VALU_DEP_3)
	v_lshl_or_b32 v41, v73, 10, v85
	v_mul_f32_e32 v97, s18, v117
	v_mul_f32_e32 v99, s18, v118
	v_add_co_u32 v76, s4, s4, v41
	s_delay_alu instid0(VALU_DEP_1) | instskip(NEXT) | instid1(VALU_DEP_2)
	v_add_co_ci_u32_e64 v77, null, s19, 0, s4
	v_add_co_u32 v41, vcc_lo, v76, s2
	s_delay_alu instid0(VALU_DEP_2)
	v_add_co_ci_u32_e32 v42, vcc_lo, s3, v77, vcc_lo
	v_add_co_u32 v33, vcc_lo, v76, s6
	v_add_co_ci_u32_e32 v34, vcc_lo, s7, v77, vcc_lo
	v_add_co_u32 v35, vcc_lo, v76, s10
	;; [unrolled: 2-line block ×5, first 2 shown]
	s_lshl_b64 s[2:3], s[24:25], 1
	v_add_co_ci_u32_e32 v6, vcc_lo, s23, v77, vcc_lo
	s_mul_hi_i32 s7, s13, s5
	s_mul_i32 s6, s13, s5
	v_add_co_u32 v17, vcc_lo, v76, s2
	v_add_co_ci_u32_e32 v18, vcc_lo, s3, v77, vcc_lo
	s_lshl_b64 s[2:3], s[6:7], 1
	s_mul_hi_i32 s7, s15, s5
	s_mul_i32 s6, s15, s5
	v_add_co_u32 v19, vcc_lo, v76, s2
	v_add_co_ci_u32_e32 v20, vcc_lo, s3, v77, vcc_lo
	s_lshl_b64 s[2:3], s[6:7], 1
	s_clause 0x1
	global_load_b128 v[65:68], v[41:42], off
	global_load_b128 v[69:72], v[41:42], off offset:16
	v_add_co_u32 v21, vcc_lo, v76, s2
	v_add_co_ci_u32_e32 v22, vcc_lo, s3, v77, vcc_lo
	s_clause 0xf
	global_load_b128 v[57:60], v[33:34], off
	global_load_b128 v[61:64], v[33:34], off offset:16
	global_load_b128 v[49:52], v[35:36], off
	global_load_b128 v[53:56], v[35:36], off offset:16
	;; [unrolled: 2-line block ×8, first 2 shown]
	v_and_b32_e32 v76, 0xe0, v0
	v_mbcnt_lo_u32_b32 v77, -1, 0
	s_waitcnt vmcnt(0)
	s_barrier
	buffer_gl0_inv
	v_add_nc_u32_e32 v76, s12, v76
	v_xor_b32_e32 v78, 16, v77
	s_delay_alu instid0(VALU_DEP_2) | instskip(NEXT) | instid1(VALU_DEP_2)
	v_or_b32_e32 v76, v76, v83
	v_cmp_gt_i32_e32 vcc_lo, 32, v78
	s_delay_alu instid0(VALU_DEP_2)
	v_or_b32_e32 v79, 4, v76
	v_cndmask_b32_e32 v77, v77, v78, vcc_lo
	v_or_b32_e32 v78, 2, v76
	v_or_b32_e32 v80, 6, v76
	v_cmp_gt_i32_e32 vcc_lo, s17, v76
	v_or_b32_e32 v86, 8, v76
	v_or_b32_e32 v87, 10, v76
	v_cmp_gt_i32_e64 s2, s17, v78
	v_or_b32_e32 v88, 12, v76
	v_or_b32_e32 v89, 14, v76
	;; [unrolled: 1-line block ×10, first 2 shown]
	v_cndmask_b32_e32 v76, 0xff7fffff, v97, vcc_lo
	v_cndmask_b32_e64 v78, 0xff7fffff, v99, s2
	v_mul_f32_e32 v99, s18, v120
	v_cmp_gt_i32_e64 s3, s17, v80
	v_mul_f32_e32 v80, s18, v119
	v_cmp_gt_i32_e64 s4, s17, v79
	v_max3_f32 v76, v76, 0xff7fffff, v78
	v_dual_mul_f32 v78, s18, v121 :: v_dual_mul_f32 v79, s18, v122
	v_cmp_gt_i32_e64 s5, s17, v86
	s_delay_alu instid0(VALU_DEP_4)
	v_cndmask_b32_e64 v80, 0xff7fffff, v80, s4
	v_cmp_gt_i32_e64 s6, s17, v87
	v_mul_f32_e32 v86, s18, v107
	v_cndmask_b32_e64 v99, 0xff7fffff, v99, s3
	v_mul_f32_e32 v97, s18, v123
	v_cndmask_b32_e64 v78, 0xff7fffff, v78, s5
	v_cndmask_b32_e64 v79, 0xff7fffff, v79, s6
	v_cmp_gt_i32_e64 s7, s17, v89
	v_max3_f32 v76, v76, v80, v99
	v_cmp_gt_i32_e64 s8, s17, v88
	v_dual_mul_f32 v99, s18, v105 :: v_dual_mul_f32 v88, s18, v102
	v_mul_f32_e32 v89, s18, v101
	s_delay_alu instid0(VALU_DEP_4)
	v_max3_f32 v76, v76, v78, v79
	v_mul_f32_e32 v78, s18, v104
	v_cndmask_b32_e64 v97, 0xff7fffff, v97, s8
	v_cndmask_b32_e64 v100, 0xff7fffff, v100, s7
	v_cmp_gt_i32_e64 s9, s17, v90
	v_cmp_gt_i32_e64 s10, s17, v91
	v_mul_f32_e32 v79, s18, v103
	v_cmp_gt_i32_e64 s11, s17, v92
	v_max3_f32 v76, v76, v97, v100
	v_cndmask_b32_e64 v89, 0xff7fffff, v89, s9
	v_cndmask_b32_e64 v88, 0xff7fffff, v88, s10
	v_cmp_gt_i32_e64 s12, s17, v93
	v_mul_f32_e32 v87, s18, v106
	v_cndmask_b32_e64 v79, 0xff7fffff, v79, s11
	v_cmp_gt_i32_e64 s13, s17, v94
	v_max3_f32 v76, v76, v89, v88
	v_cndmask_b32_e64 v78, 0xff7fffff, v78, s12
	v_cmp_gt_i32_e64 s15, s17, v95
	v_mul_f32_e32 v80, s18, v108
	v_cndmask_b32_e64 v88, 0xff7fffff, v99, s13
	v_cmp_gt_i32_e64 s16, s17, v96
	v_max3_f32 v76, v76, v79, v78
	v_cndmask_b32_e64 v87, 0xff7fffff, v87, s15
	v_cmp_gt_i32_e64 s17, s17, v98
	v_lshlrev_b32_e32 v99, 2, v77
	v_cndmask_b32_e64 v78, 0xff7fffff, v86, s16
	s_delay_alu instid0(VALU_DEP_4) | instskip(NEXT) | instid1(VALU_DEP_4)
	v_max3_f32 v76, v76, v88, v87
	v_cndmask_b32_e64 v79, 0xff7fffff, v80, s17
	s_delay_alu instid0(VALU_DEP_1) | instskip(SKIP_3) | instid1(VALU_DEP_1)
	v_max3_f32 v76, v76, v78, v79
	ds_bpermute_b32 v77, v99, v76
	s_waitcnt lgkmcnt(0)
	v_max_f32_e32 v77, v77, v77
	v_max_f32_e32 v89, v76, v77
	s_delay_alu instid0(VALU_DEP_1) | instskip(SKIP_4) | instid1(VALU_DEP_4)
	v_fma_f32 v76, s18, v117, -v89
	v_fma_f32 v77, s18, v118, -v89
	;; [unrolled: 1-line block ×5, first 2 shown]
	v_dual_mul_f32 v76, 0x3fb8aa3b, v76 :: v_dual_mul_f32 v77, 0x3fb8aa3b, v77
	s_delay_alu instid0(VALU_DEP_4) | instskip(NEXT) | instid1(VALU_DEP_3)
	v_mul_f32_e32 v78, 0x3fb8aa3b, v78
	v_mul_f32_e32 v80, 0x3fb8aa3b, v80
	s_delay_alu instid0(VALU_DEP_3) | instskip(NEXT) | instid1(VALU_DEP_3)
	v_exp_f32_e32 v76, v76
	v_exp_f32_e32 v77, v77
	s_delay_alu instid0(VALU_DEP_2) | instskip(NEXT) | instid1(VALU_DEP_1)
	v_exp_f32_e32 v78, v78
	v_exp_f32_e32 v80, v80
	v_cndmask_b32_e32 v91, 0, v76, vcc_lo
	v_fma_f32 v76, s18, v122, -v89
	s_delay_alu instid0(TRANS32_DEP_3)
	v_cndmask_b32_e64 v90, 0, v77, s2
	s_waitcnt_depctr 0xfff
	v_cndmask_b32_e64 v92, 0, v78, s4
	v_cndmask_b32_e64 v95, 0, v80, s5
	v_dual_add_f32 v77, 0, v91 :: v_dual_mul_f32 v76, 0x3fb8aa3b, v76
	s_mov_b32 s2, exec_lo
	s_delay_alu instid0(VALU_DEP_1) | instskip(NEXT) | instid1(VALU_DEP_2)
	v_add_f32_e32 v77, v77, v90
	v_exp_f32_e32 v76, v76
	s_delay_alu instid0(VALU_DEP_1) | instskip(SKIP_3) | instid1(VALU_DEP_1)
	v_add_f32_e32 v77, v77, v92
	s_waitcnt_depctr 0xfff
	v_cndmask_b32_e64 v96, 0, v76, s6
	v_mul_f32_e32 v79, 0x3fb8aa3b, v79
	v_exp_f32_e32 v79, v79
	s_waitcnt_depctr 0xfff
	v_cndmask_b32_e64 v94, 0, v79, s3
	s_delay_alu instid0(VALU_DEP_1) | instskip(NEXT) | instid1(VALU_DEP_1)
	v_add_f32_e32 v77, v77, v94
	v_add_f32_e32 v76, v77, v95
	v_fma_f32 v80, s18, v102, -v89
	v_fma_f32 v86, s18, v123, -v89
	;; [unrolled: 1-line block ×5, first 2 shown]
	v_mul_f32_e32 v80, 0x3fb8aa3b, v80
	v_mul_f32_e32 v86, 0x3fb8aa3b, v86
	;; [unrolled: 1-line block ×3, first 2 shown]
	v_fma_f32 v98, s18, v107, -v89
	v_mul_f32_e32 v77, 0x3fb8aa3b, v77
	v_exp_f32_e32 v80, v80
	v_exp_f32_e32 v86, v86
	v_exp_f32_e32 v78, v78
	v_add_f32_e32 v76, v76, v96
	v_exp_f32_e32 v88, v77
	v_fma_f32 v87, s18, v105, -v89
	v_fma_f32 v100, s18, v108, -v89
	v_cndmask_b32_e64 v77, 0, v80, s10
	v_mul_f32_e32 v79, 0x3fb8aa3b, v79
	s_delay_alu instid0(TRANS32_DEP_3) | instskip(SKIP_1) | instid1(TRANS32_DEP_2)
	v_cndmask_b32_e64 v93, 0, v86, s8
	v_fma_f32 v86, s18, v104, -v89
	v_cndmask_b32_e64 v97, 0, v78, s7
	v_mul_f32_e32 v100, 0x3fb8aa3b, v100
	v_exp_f32_e32 v79, v79
	v_add_f32_e32 v78, v76, v93
	v_mul_f32_e32 v86, 0x3fb8aa3b, v86
	s_delay_alu instid0(VALU_DEP_3) | instskip(NEXT) | instid1(VALU_DEP_2)
	v_exp_f32_e32 v100, v100
	v_add_f32_e32 v78, v78, v97
	s_delay_alu instid0(VALU_DEP_2) | instskip(NEXT) | instid1(TRANS32_DEP_3)
	v_exp_f32_e32 v86, v86
	v_cndmask_b32_e64 v76, 0, v79, s9
	v_fma_f32 v79, s18, v106, -v89
	s_delay_alu instid0(VALU_DEP_1) | instskip(SKIP_2) | instid1(VALU_DEP_3)
	v_dual_add_f32 v80, v78, v76 :: v_dual_mul_f32 v79, 0x3fb8aa3b, v79
	v_cndmask_b32_e64 v78, 0, v88, s11
	v_mul_f32_e32 v88, 0x3fb8aa3b, v98
	v_dual_add_f32 v80, v80, v77 :: v_dual_mul_f32 v87, 0x3fb8aa3b, v87
	s_delay_alu instid0(VALU_DEP_4) | instskip(NEXT) | instid1(TRANS32_DEP_2)
	v_exp_f32_e32 v98, v79
	v_cndmask_b32_e64 v79, 0, v86, s12
	s_delay_alu instid0(VALU_DEP_3) | instskip(NEXT) | instid1(VALU_DEP_2)
	v_exp_f32_e32 v88, v88
	v_add_f32_e32 v86, v80, v78
	v_exp_f32_e32 v87, v87
	s_waitcnt_depctr 0xfff
	v_cndmask_b32_e64 v80, 0, v87, s13
	v_add_f32_e32 v87, v86, v79
	v_cndmask_b32_e64 v86, 0, v98, s15
	s_delay_alu instid0(VALU_DEP_2) | instskip(SKIP_1) | instid1(VALU_DEP_2)
	v_add_f32_e32 v98, v87, v80
	v_cndmask_b32_e64 v87, 0, v88, s16
	v_add_f32_e32 v88, v98, v86
	s_delay_alu instid0(VALU_DEP_1) | instskip(SKIP_1) | instid1(VALU_DEP_1)
	v_add_f32_e32 v98, v88, v87
	v_cndmask_b32_e64 v88, 0, v100, s17
	v_add_f32_e32 v98, v98, v88
	ds_bpermute_b32 v99, v99, v98
	v_cmpx_gt_u32_e32 16, v75
	s_cbranch_execz .LBB717_14
; %bb.13:
	v_mul_u32_u24_e32 v75, 0x44, v73
	s_waitcnt lgkmcnt(0)
	v_add_f32_e32 v98, v98, v99
	s_delay_alu instid0(VALU_DEP_2) | instskip(NEXT) | instid1(VALU_DEP_1)
	v_lshl_add_u32 v75, v74, 2, v75
	v_add_nc_u32_e32 v75, 0x4000, v75
	ds_store_2addr_b32 v75, v89, v98 offset1:136
.LBB717_14:
	s_or_b32 exec_lo, exec_lo, s2
	v_lshlrev_b32_e32 v74, 2, v74
	s_waitcnt lgkmcnt(0)
	s_barrier
	buffer_gl0_inv
	v_cmp_eq_u32_e64 s2, 1, v73
	v_add_nc_u32_e32 v89, 0x4000, v74
	ds_load_2addr_b32 v[98:99], v89 offset1:17
	ds_load_2addr_b32 v[100:101], v89 offset0:34 offset1:51
	ds_load_2addr_b32 v[102:103], v89 offset0:68 offset1:85
	ds_load_2addr_b32 v[104:105], v89 offset0:102 offset1:119
	ds_load_2addr_b32 v[106:107], v89 offset0:136 offset1:153
	s_waitcnt lgkmcnt(4)
	v_max3_f32 v74, v98, 0xff7fffff, v99
	s_waitcnt lgkmcnt(3)
	s_delay_alu instid0(VALU_DEP_1) | instskip(SKIP_1) | instid1(VALU_DEP_1)
	v_max3_f32 v74, v74, v100, v101
	s_waitcnt lgkmcnt(2)
	v_max3_f32 v74, v74, v102, v103
	s_waitcnt lgkmcnt(1)
	s_delay_alu instid0(VALU_DEP_1) | instskip(NEXT) | instid1(VALU_DEP_1)
	v_max3_f32 v74, v74, v104, v105
	v_sub_f32_e32 v108, v99, v74
	v_sub_f32_e32 v75, v98, v74
	ds_load_2addr_b32 v[98:99], v89 offset0:170 offset1:187
	v_sub_f32_e32 v100, v100, v74
	v_dual_mul_f32 v108, 0x3fb8aa3b, v108 :: v_dual_mul_f32 v75, 0x3fb8aa3b, v75
	s_delay_alu instid0(VALU_DEP_2) | instskip(NEXT) | instid1(VALU_DEP_2)
	v_mul_f32_e32 v110, 0x3fb8aa3b, v100
	v_exp_f32_e32 v108, v108
	s_delay_alu instid0(VALU_DEP_2)
	v_exp_f32_e32 v109, v75
	v_sub_f32_e32 v75, v101, v74
	ds_load_2addr_b32 v[100:101], v89 offset0:204 offset1:221
	v_exp_f32_e32 v110, v110
	v_mul_f32_e32 v111, 0x3fb8aa3b, v75
	s_waitcnt lgkmcnt(2)
	v_fma_f32 v75, v109, v106, 0
	v_sub_f32_e32 v102, v102, v74
	s_delay_alu instid0(VALU_DEP_3) | instskip(NEXT) | instid1(VALU_DEP_2)
	v_exp_f32_e32 v111, v111
	v_dual_sub_f32 v106, v103, v74 :: v_dual_fmac_f32 v75, v108, v107
	s_waitcnt lgkmcnt(1)
	s_waitcnt_depctr 0xfff
	v_fmac_f32_e32 v75, v110, v98
	v_mul_f32_e32 v112, 0x3fb8aa3b, v102
	ds_load_2addr_b32 v[102:103], v89 offset0:238 offset1:255
	v_sub_f32_e32 v89, v104, v74
	v_dual_sub_f32 v98, v105, v74 :: v_dual_fmac_f32 v75, v111, v99
	v_mul_f32_e32 v104, 0x3fb8aa3b, v106
	v_exp_f32_e32 v106, v112
	s_delay_alu instid0(VALU_DEP_2)
	v_dual_mul_f32 v89, 0x3fb8aa3b, v89 :: v_dual_mul_f32 v98, 0x3fb8aa3b, v98
	s_waitcnt lgkmcnt(0)
	s_barrier
	buffer_gl0_inv
	v_exp_f32_e32 v89, v89
	v_exp_f32_e32 v98, v98
	v_fmac_f32_e32 v75, v106, v100
	v_exp_f32_e32 v104, v104
	s_waitcnt_depctr 0xfff
	v_fmac_f32_e32 v75, v104, v101
	s_delay_alu instid0(VALU_DEP_1) | instskip(NEXT) | instid1(VALU_DEP_1)
	v_fmac_f32_e32 v75, v89, v102
	v_fmac_f32_e32 v75, v98, v103
	s_delay_alu instid0(VALU_DEP_1) | instskip(NEXT) | instid1(VALU_DEP_1)
	v_add_f32_e32 v99, 0x358637bd, v75
	v_div_scale_f32 v100, null, v99, v99, 1.0
	v_div_scale_f32 v103, vcc_lo, 1.0, v99, 1.0
	s_delay_alu instid0(VALU_DEP_2) | instskip(SKIP_2) | instid1(VALU_DEP_1)
	v_rcp_f32_e32 v101, v100
	s_waitcnt_depctr 0xfff
	v_fma_f32 v102, -v100, v101, 1.0
	v_fmac_f32_e32 v101, v102, v101
	v_cndmask_b32_e64 v102, v109, v108, s2
	v_cmp_eq_u32_e64 s2, 2, v73
	s_delay_alu instid0(VALU_DEP_3) | instskip(NEXT) | instid1(VALU_DEP_2)
	v_mul_f32_e32 v105, v103, v101
	v_cndmask_b32_e64 v102, v102, v110, s2
	v_cmp_eq_u32_e64 s2, 3, v73
	s_delay_alu instid0(VALU_DEP_3) | instskip(NEXT) | instid1(VALU_DEP_2)
	v_fma_f32 v107, -v100, v105, v103
	v_cndmask_b32_e64 v102, v102, v111, s2
	v_cmp_eq_u32_e64 s2, 4, v73
	s_delay_alu instid0(VALU_DEP_3) | instskip(NEXT) | instid1(VALU_DEP_2)
	v_fmac_f32_e32 v105, v107, v101
	v_cndmask_b32_e64 v102, v102, v106, s2
	s_delay_alu instid0(VALU_DEP_2) | instskip(SKIP_1) | instid1(VALU_DEP_2)
	v_fma_f32 v100, -v100, v105, v103
	v_cmp_eq_u32_e64 s2, 5, v73
	v_div_fmas_f32 v100, v100, v101, v105
	s_delay_alu instid0(VALU_DEP_2) | instskip(SKIP_2) | instid1(VALU_DEP_3)
	v_cndmask_b32_e64 v102, v102, v104, s2
	v_cmp_eq_u32_e32 vcc_lo, 6, v73
	s_mov_b32 s2, exec_lo
	v_div_fixup_f32 v99, v100, v99, 1.0
	s_delay_alu instid0(VALU_DEP_3) | instskip(SKIP_1) | instid1(VALU_DEP_2)
	v_cndmask_b32_e32 v89, v102, v89, vcc_lo
	v_cmp_eq_u32_e32 vcc_lo, 7, v73
	v_cndmask_b32_e32 v89, v89, v98, vcc_lo
	s_delay_alu instid0(VALU_DEP_1) | instskip(NEXT) | instid1(VALU_DEP_1)
	v_mul_f32_e32 v89, v89, v99
	v_mul_f32_e32 v99, v89, v91
	;; [unrolled: 1-line block ×6, first 2 shown]
	v_and_b32_e32 v100, 0x7f800000, v99
	v_mul_f32_e32 v98, v89, v94
	v_mul_f32_e32 v94, v89, v90
	;; [unrolled: 1-line block ×3, first 2 shown]
                                        ; implicit-def: $vgpr90
	s_delay_alu instid0(VALU_DEP_4)
	v_cmpx_ne_u32_e32 0x7f800000, v100
	s_xor_b32 s2, exec_lo, s2
; %bb.15:
	v_bfe_u32 v90, v99, 16, 1
	s_delay_alu instid0(VALU_DEP_1)
	v_add3_u32 v90, v99, v90, 0x7fff
                                        ; implicit-def: $vgpr99
; %bb.16:
	s_and_not1_saveexec_b32 s2, s2
; %bb.17:
	v_and_b32_e32 v90, 0xffff, v99
	v_or_b32_e32 v92, 0x10000, v99
	s_delay_alu instid0(VALU_DEP_2) | instskip(NEXT) | instid1(VALU_DEP_2)
	v_cmp_eq_u32_e32 vcc_lo, 0, v90
	v_cndmask_b32_e32 v90, v92, v99, vcc_lo
; %bb.18:
	s_or_b32 exec_lo, exec_lo, s2
	v_and_b32_e32 v92, 0x7f800000, v94
	s_delay_alu instid0(VALU_DEP_1) | instskip(SKIP_1) | instid1(SALU_CYCLE_1)
	v_cmp_ne_u32_e32 vcc_lo, 0x7f800000, v92
                                        ; implicit-def: $vgpr92
	s_and_saveexec_b32 s2, vcc_lo
	s_xor_b32 s2, exec_lo, s2
; %bb.19:
	v_bfe_u32 v92, v94, 16, 1
	s_delay_alu instid0(VALU_DEP_1)
	v_add3_u32 v92, v94, v92, 0x7fff
                                        ; implicit-def: $vgpr94
; %bb.20:
	s_and_not1_saveexec_b32 s2, s2
; %bb.21:
	v_and_b32_e32 v92, 0xffff, v94
	v_or_b32_e32 v99, 0x10000, v94
	s_delay_alu instid0(VALU_DEP_2) | instskip(NEXT) | instid1(VALU_DEP_2)
	v_cmp_eq_u32_e32 vcc_lo, 0, v92
	v_cndmask_b32_e32 v92, v99, v94, vcc_lo
; %bb.22:
	s_or_b32 exec_lo, exec_lo, s2
	v_and_b32_e32 v94, 0x7f800000, v95
	s_delay_alu instid0(VALU_DEP_1) | instskip(SKIP_1) | instid1(SALU_CYCLE_1)
	v_cmp_ne_u32_e32 vcc_lo, 0x7f800000, v94
                                        ; implicit-def: $vgpr94
	s_and_saveexec_b32 s2, vcc_lo
	s_xor_b32 s2, exec_lo, s2
; %bb.23:
	v_bfe_u32 v94, v95, 16, 1
	s_delay_alu instid0(VALU_DEP_1)
	v_add3_u32 v94, v95, v94, 0x7fff
                                        ; implicit-def: $vgpr95
; %bb.24:
	s_and_not1_saveexec_b32 s2, s2
; %bb.25:
	v_and_b32_e32 v94, 0xffff, v95
	v_or_b32_e32 v99, 0x10000, v95
	s_delay_alu instid0(VALU_DEP_2) | instskip(NEXT) | instid1(VALU_DEP_2)
	v_cmp_eq_u32_e32 vcc_lo, 0, v94
	v_cndmask_b32_e32 v94, v99, v95, vcc_lo
; %bb.26:
	s_or_b32 exec_lo, exec_lo, s2
	v_and_b32_e32 v95, 0x7f800000, v98
	s_delay_alu instid0(VALU_DEP_1) | instskip(SKIP_1) | instid1(SALU_CYCLE_1)
	v_cmp_ne_u32_e32 vcc_lo, 0x7f800000, v95
                                        ; implicit-def: $vgpr95
	s_and_saveexec_b32 s2, vcc_lo
	s_xor_b32 s2, exec_lo, s2
; %bb.27:
	v_bfe_u32 v95, v98, 16, 1
	s_delay_alu instid0(VALU_DEP_1)
	v_add3_u32 v95, v98, v95, 0x7fff
                                        ; implicit-def: $vgpr98
; %bb.28:
	s_and_not1_saveexec_b32 s2, s2
; %bb.29:
	v_and_b32_e32 v95, 0xffff, v98
	v_or_b32_e32 v99, 0x10000, v98
	s_delay_alu instid0(VALU_DEP_2) | instskip(NEXT) | instid1(VALU_DEP_2)
	v_cmp_eq_u32_e32 vcc_lo, 0, v95
	v_cndmask_b32_e32 v95, v99, v98, vcc_lo
; %bb.30:
	s_or_b32 exec_lo, exec_lo, s2
	v_and_b32_e32 v98, 0x7f800000, v97
	s_delay_alu instid0(VALU_DEP_1) | instskip(SKIP_1) | instid1(SALU_CYCLE_1)
	v_cmp_ne_u32_e32 vcc_lo, 0x7f800000, v98
                                        ; implicit-def: $vgpr98
	s_and_saveexec_b32 s2, vcc_lo
	s_xor_b32 s2, exec_lo, s2
; %bb.31:
	v_bfe_u32 v98, v97, 16, 1
	s_delay_alu instid0(VALU_DEP_1)
	v_add3_u32 v98, v97, v98, 0x7fff
                                        ; implicit-def: $vgpr97
; %bb.32:
	s_and_not1_saveexec_b32 s2, s2
; %bb.33:
	v_and_b32_e32 v98, 0xffff, v97
	v_or_b32_e32 v99, 0x10000, v97
	s_delay_alu instid0(VALU_DEP_2) | instskip(NEXT) | instid1(VALU_DEP_2)
	v_cmp_eq_u32_e32 vcc_lo, 0, v98
	v_cndmask_b32_e32 v98, v99, v97, vcc_lo
; %bb.34:
	s_or_b32 exec_lo, exec_lo, s2
	v_and_b32_e32 v97, 0x7f800000, v96
	s_delay_alu instid0(VALU_DEP_1) | instskip(SKIP_1) | instid1(SALU_CYCLE_1)
	v_cmp_ne_u32_e32 vcc_lo, 0x7f800000, v97
                                        ; implicit-def: $vgpr97
	s_and_saveexec_b32 s2, vcc_lo
	s_xor_b32 s2, exec_lo, s2
; %bb.35:
	v_bfe_u32 v97, v96, 16, 1
	s_delay_alu instid0(VALU_DEP_1)
	v_add3_u32 v97, v96, v97, 0x7fff
                                        ; implicit-def: $vgpr96
; %bb.36:
	s_and_not1_saveexec_b32 s2, s2
; %bb.37:
	v_and_b32_e32 v97, 0xffff, v96
	v_or_b32_e32 v99, 0x10000, v96
	s_delay_alu instid0(VALU_DEP_2) | instskip(NEXT) | instid1(VALU_DEP_2)
	v_cmp_eq_u32_e32 vcc_lo, 0, v97
	v_cndmask_b32_e32 v97, v99, v96, vcc_lo
; %bb.38:
	s_or_b32 exec_lo, exec_lo, s2
	v_and_b32_e32 v96, 0x7f800000, v93
	s_delay_alu instid0(VALU_DEP_1) | instskip(SKIP_1) | instid1(SALU_CYCLE_1)
	v_cmp_ne_u32_e32 vcc_lo, 0x7f800000, v96
                                        ; implicit-def: $vgpr96
	s_and_saveexec_b32 s2, vcc_lo
	s_xor_b32 s2, exec_lo, s2
; %bb.39:
	v_bfe_u32 v96, v93, 16, 1
	s_delay_alu instid0(VALU_DEP_1)
	v_add3_u32 v96, v93, v96, 0x7fff
                                        ; implicit-def: $vgpr93
; %bb.40:
	s_and_not1_saveexec_b32 s2, s2
; %bb.41:
	v_and_b32_e32 v96, 0xffff, v93
	v_or_b32_e32 v99, 0x10000, v93
	s_delay_alu instid0(VALU_DEP_2) | instskip(NEXT) | instid1(VALU_DEP_2)
	v_cmp_eq_u32_e32 vcc_lo, 0, v96
	v_cndmask_b32_e32 v96, v99, v93, vcc_lo
; %bb.42:
	s_or_b32 exec_lo, exec_lo, s2
	v_and_b32_e32 v93, 0x7f800000, v91
	s_delay_alu instid0(VALU_DEP_1) | instskip(SKIP_1) | instid1(SALU_CYCLE_1)
	v_cmp_ne_u32_e32 vcc_lo, 0x7f800000, v93
                                        ; implicit-def: $vgpr93
	s_and_saveexec_b32 s2, vcc_lo
	s_xor_b32 s2, exec_lo, s2
; %bb.43:
	v_bfe_u32 v93, v91, 16, 1
	s_delay_alu instid0(VALU_DEP_1)
	v_add3_u32 v93, v91, v93, 0x7fff
                                        ; implicit-def: $vgpr91
; %bb.44:
	s_and_not1_saveexec_b32 s2, s2
; %bb.45:
	v_and_b32_e32 v93, 0xffff, v91
	v_or_b32_e32 v99, 0x10000, v91
	s_delay_alu instid0(VALU_DEP_2) | instskip(NEXT) | instid1(VALU_DEP_2)
	v_cmp_eq_u32_e32 vcc_lo, 0, v93
	v_cndmask_b32_e32 v93, v99, v91, vcc_lo
; %bb.46:
	s_or_b32 exec_lo, exec_lo, s2
	s_load_b64 s[34:35], s[0:1], 0x94
	v_lshlrev_b32_e32 v91, 4, v83
	s_delay_alu instid0(VALU_DEP_2)
	v_perm_b32 v99, v93, v96, 0x7060302
	v_dual_mul_f32 v88, v89, v88 :: v_dual_lshlrev_b32 v93, 11, v73
	v_perm_b32 v96, v92, v90, 0x7060302
	v_mul_f32_e32 v92, v89, v76
	v_perm_b32 v98, v97, v98, 0x7060302
	v_perm_b32 v97, v95, v94, 0x7060302
	v_or3_b32 v76, v91, v93, v85
	v_mul_f32_e32 v87, v89, v87
	v_dual_mul_f32 v86, v89, v86 :: v_dual_and_b32 v93, 0x7f800000, v92
	v_mul_f32_e32 v80, v89, v80
	v_mul_f32_e32 v90, v89, v79
	;; [unrolled: 1-line block ×4, first 2 shown]
	s_mov_b32 s2, exec_lo
	ds_store_b128 v76, v[96:99]
                                        ; implicit-def: $vgpr77
	v_cmpx_ne_u32_e32 0x7f800000, v93
	s_xor_b32 s2, exec_lo, s2
; %bb.47:
	v_bfe_u32 v77, v92, 16, 1
	s_delay_alu instid0(VALU_DEP_1)
	v_add3_u32 v77, v92, v77, 0x7fff
                                        ; implicit-def: $vgpr92
; %bb.48:
	s_and_not1_saveexec_b32 s2, s2
; %bb.49:
	v_and_b32_e32 v77, 0xffff, v92
	v_or_b32_e32 v78, 0x10000, v92
	s_delay_alu instid0(VALU_DEP_2) | instskip(NEXT) | instid1(VALU_DEP_2)
	v_cmp_eq_u32_e32 vcc_lo, 0, v77
	v_cndmask_b32_e32 v77, v78, v92, vcc_lo
; %bb.50:
	s_or_b32 exec_lo, exec_lo, s2
	v_and_b32_e32 v78, 0x7f800000, v79
	s_delay_alu instid0(VALU_DEP_1) | instskip(SKIP_1) | instid1(SALU_CYCLE_1)
	v_cmp_ne_u32_e32 vcc_lo, 0x7f800000, v78
                                        ; implicit-def: $vgpr78
	s_and_saveexec_b32 s2, vcc_lo
	s_xor_b32 s2, exec_lo, s2
; %bb.51:
	v_bfe_u32 v78, v79, 16, 1
	s_delay_alu instid0(VALU_DEP_1)
	v_add3_u32 v78, v79, v78, 0x7fff
                                        ; implicit-def: $vgpr79
; %bb.52:
	s_and_not1_saveexec_b32 s2, s2
; %bb.53:
	v_and_b32_e32 v78, 0xffff, v79
	v_or_b32_e32 v89, 0x10000, v79
	s_delay_alu instid0(VALU_DEP_2) | instskip(NEXT) | instid1(VALU_DEP_2)
	v_cmp_eq_u32_e32 vcc_lo, 0, v78
	v_cndmask_b32_e32 v78, v89, v79, vcc_lo
; %bb.54:
	s_or_b32 exec_lo, exec_lo, s2
	v_and_b32_e32 v79, 0x7f800000, v91
	s_delay_alu instid0(VALU_DEP_1) | instskip(SKIP_1) | instid1(SALU_CYCLE_1)
	v_cmp_ne_u32_e32 vcc_lo, 0x7f800000, v79
                                        ; implicit-def: $vgpr79
	s_and_saveexec_b32 s2, vcc_lo
	s_xor_b32 s2, exec_lo, s2
; %bb.55:
	v_bfe_u32 v79, v91, 16, 1
	s_delay_alu instid0(VALU_DEP_1)
	v_add3_u32 v79, v91, v79, 0x7fff
                                        ; implicit-def: $vgpr91
; %bb.56:
	s_and_not1_saveexec_b32 s2, s2
; %bb.57:
	v_and_b32_e32 v79, 0xffff, v91
	v_or_b32_e32 v89, 0x10000, v91
	s_delay_alu instid0(VALU_DEP_2) | instskip(NEXT) | instid1(VALU_DEP_2)
	v_cmp_eq_u32_e32 vcc_lo, 0, v79
	v_cndmask_b32_e32 v79, v89, v91, vcc_lo
; %bb.58:
	s_or_b32 exec_lo, exec_lo, s2
	v_and_b32_e32 v89, 0x7f800000, v90
	s_delay_alu instid0(VALU_DEP_1) | instskip(SKIP_1) | instid1(SALU_CYCLE_1)
	v_cmp_ne_u32_e32 vcc_lo, 0x7f800000, v89
                                        ; implicit-def: $vgpr89
	s_and_saveexec_b32 s2, vcc_lo
	s_xor_b32 s2, exec_lo, s2
; %bb.59:
	v_bfe_u32 v89, v90, 16, 1
	s_delay_alu instid0(VALU_DEP_1)
	v_add3_u32 v89, v90, v89, 0x7fff
                                        ; implicit-def: $vgpr90
; %bb.60:
	s_and_not1_saveexec_b32 s2, s2
; %bb.61:
	v_and_b32_e32 v89, 0xffff, v90
	v_or_b32_e32 v91, 0x10000, v90
	s_delay_alu instid0(VALU_DEP_2) | instskip(NEXT) | instid1(VALU_DEP_2)
	v_cmp_eq_u32_e32 vcc_lo, 0, v89
	v_cndmask_b32_e32 v89, v91, v90, vcc_lo
; %bb.62:
	s_or_b32 exec_lo, exec_lo, s2
	v_and_b32_e32 v90, 0x7f800000, v80
	s_delay_alu instid0(VALU_DEP_1) | instskip(SKIP_1) | instid1(SALU_CYCLE_1)
	v_cmp_ne_u32_e32 vcc_lo, 0x7f800000, v90
                                        ; implicit-def: $vgpr90
	s_and_saveexec_b32 s2, vcc_lo
	s_xor_b32 s2, exec_lo, s2
; %bb.63:
	v_bfe_u32 v90, v80, 16, 1
	s_delay_alu instid0(VALU_DEP_1)
	v_add3_u32 v90, v80, v90, 0x7fff
                                        ; implicit-def: $vgpr80
; %bb.64:
	s_and_not1_saveexec_b32 s2, s2
; %bb.65:
	v_and_b32_e32 v90, 0xffff, v80
	v_or_b32_e32 v91, 0x10000, v80
	s_delay_alu instid0(VALU_DEP_2) | instskip(NEXT) | instid1(VALU_DEP_2)
	v_cmp_eq_u32_e32 vcc_lo, 0, v90
	v_cndmask_b32_e32 v90, v91, v80, vcc_lo
; %bb.66:
	s_or_b32 exec_lo, exec_lo, s2
	v_and_b32_e32 v80, 0x7f800000, v86
	s_delay_alu instid0(VALU_DEP_1) | instskip(SKIP_1) | instid1(SALU_CYCLE_1)
	v_cmp_ne_u32_e32 vcc_lo, 0x7f800000, v80
                                        ; implicit-def: $vgpr80
	s_and_saveexec_b32 s2, vcc_lo
	s_xor_b32 s2, exec_lo, s2
; %bb.67:
	v_bfe_u32 v80, v86, 16, 1
	s_delay_alu instid0(VALU_DEP_1)
	v_add3_u32 v80, v86, v80, 0x7fff
                                        ; implicit-def: $vgpr86
; %bb.68:
	s_and_not1_saveexec_b32 s2, s2
; %bb.69:
	v_and_b32_e32 v80, 0xffff, v86
	v_or_b32_e32 v91, 0x10000, v86
	s_delay_alu instid0(VALU_DEP_2) | instskip(NEXT) | instid1(VALU_DEP_2)
	v_cmp_eq_u32_e32 vcc_lo, 0, v80
	v_cndmask_b32_e32 v80, v91, v86, vcc_lo
; %bb.70:
	s_or_b32 exec_lo, exec_lo, s2
	v_and_b32_e32 v86, 0x7f800000, v87
	s_delay_alu instid0(VALU_DEP_1) | instskip(SKIP_1) | instid1(SALU_CYCLE_1)
	v_cmp_ne_u32_e32 vcc_lo, 0x7f800000, v86
                                        ; implicit-def: $vgpr86
	s_and_saveexec_b32 s2, vcc_lo
	s_xor_b32 s2, exec_lo, s2
; %bb.71:
	v_bfe_u32 v86, v87, 16, 1
	s_delay_alu instid0(VALU_DEP_1)
	v_add3_u32 v86, v87, v86, 0x7fff
                                        ; implicit-def: $vgpr87
; %bb.72:
	s_and_not1_saveexec_b32 s2, s2
; %bb.73:
	v_and_b32_e32 v86, 0xffff, v87
	v_or_b32_e32 v91, 0x10000, v87
	s_delay_alu instid0(VALU_DEP_2) | instskip(NEXT) | instid1(VALU_DEP_2)
	v_cmp_eq_u32_e32 vcc_lo, 0, v86
	v_cndmask_b32_e32 v86, v91, v87, vcc_lo
; %bb.74:
	s_or_b32 exec_lo, exec_lo, s2
	v_and_b32_e32 v87, 0x7f800000, v88
	s_delay_alu instid0(VALU_DEP_1) | instskip(SKIP_1) | instid1(SALU_CYCLE_1)
	v_cmp_ne_u32_e32 vcc_lo, 0x7f800000, v87
                                        ; implicit-def: $vgpr87
	s_and_saveexec_b32 s2, vcc_lo
	s_xor_b32 s2, exec_lo, s2
; %bb.75:
	v_bfe_u32 v87, v88, 16, 1
	s_delay_alu instid0(VALU_DEP_1)
	v_add3_u32 v87, v88, v87, 0x7fff
                                        ; implicit-def: $vgpr88
; %bb.76:
	s_and_not1_saveexec_b32 s2, s2
; %bb.77:
	v_and_b32_e32 v87, 0xffff, v88
	v_or_b32_e32 v91, 0x10000, v88
	s_delay_alu instid0(VALU_DEP_2) | instskip(NEXT) | instid1(VALU_DEP_2)
	v_cmp_eq_u32_e32 vcc_lo, 0, v87
	v_cndmask_b32_e32 v87, v91, v88, vcc_lo
; %bb.78:
	s_or_b32 exec_lo, exec_lo, s2
	s_delay_alu instid0(VALU_DEP_1)
	v_perm_b32 v94, v87, v86, 0x7060302
	v_perm_b32 v93, v80, v90, 0x7060302
	;; [unrolled: 1-line block ×4, first 2 shown]
	v_lshl_or_b32 v90, v73, 11, v85
	ds_store_b128 v76, v[91:94] offset:1024
	s_waitcnt lgkmcnt(0)
	s_barrier
	buffer_gl0_inv
	ds_load_b128 v[77:80], v90
	ds_load_b128 v[91:94], v90 offset:16
	s_waitcnt lgkmcnt(1)
	v_lshrrev_b32_e32 v73, 16, v77
	s_waitcnt lgkmcnt(0)
	v_lshrrev_b32_e32 v108, 16, v94
	v_lshlrev_b32_e32 v87, 2, v83
	v_lshrrev_b32_e32 v99, 16, v91
	v_lshrrev_b32_e32 v103, 16, v78
	;; [unrolled: 1-line block ×4, first 2 shown]
	v_or_b32_e32 v88, 1, v87
	v_cmp_eq_u32_e32 vcc_lo, 1, v87
	v_cmp_eq_u32_e64 s3, 2, v87
	v_cmp_eq_u32_e64 s6, 3, v87
	;; [unrolled: 1-line block ×4, first 2 shown]
	v_cndmask_b32_e32 v89, v77, v73, vcc_lo
	v_cndmask_b32_e32 v95, v91, v99, vcc_lo
	v_cmp_eq_u32_e64 s5, 2, v88
	v_cmp_eq_u32_e64 s7, 3, v88
	v_cndmask_b32_e64 v96, v77, v73, s2
	v_cndmask_b32_e64 v89, v89, v78, s3
	;; [unrolled: 1-line block ×3, first 2 shown]
	v_or_b32_e32 v86, 2, v87
	v_lshrrev_b32_e32 v107, 16, v93
	v_cndmask_b32_e64 v96, v96, v78, s5
	v_cndmask_b32_e64 v89, v89, v103, s6
	;; [unrolled: 1-line block ×4, first 2 shown]
	v_cmp_eq_u32_e64 s9, 5, v87
	v_cndmask_b32_e64 v96, v96, v103, s7
	v_cndmask_b32_e64 v89, v89, v79, s8
	;; [unrolled: 1-line block ×3, first 2 shown]
	v_cmp_eq_u32_e64 s10, 4, v88
	v_cmp_eq_u32_e64 s4, 1, v86
	v_cndmask_b32_e64 v97, v97, v92, s5
	v_cndmask_b32_e64 v89, v89, v104, s9
	v_cmp_eq_u32_e64 s11, 6, v87
	v_cndmask_b32_e64 v96, v96, v79, s10
	v_cndmask_b32_e64 v95, v95, v107, s9
	v_cmp_eq_u32_e64 s12, 5, v88
	v_lshrrev_b32_e32 v105, 16, v80
	v_cndmask_b32_e64 v98, v77, v73, s4
	v_cndmask_b32_e64 v97, v97, v106, s7
	;; [unrolled: 1-line block ×4, first 2 shown]
	v_cmp_eq_u32_e64 s13, 7, v87
	v_cndmask_b32_e64 v95, v95, v94, s11
	v_cmp_eq_u32_e64 s15, 6, v88
	v_cmp_eq_u32_e64 s16, 2, v86
	v_cndmask_b32_e64 v97, v97, v93, s10
	v_cndmask_b32_e64 v109, v89, v105, s13
	;; [unrolled: 1-line block ×6, first 2 shown]
	v_cmp_eq_u32_e64 s17, 7, v88
	v_cmp_eq_u32_e64 s18, 3, v86
	;; [unrolled: 1-line block ×4, first 2 shown]
	v_cndmask_b32_e64 v95, v95, v92, s16
	v_cndmask_b32_e64 v111, v96, v105, s17
	;; [unrolled: 1-line block ×4, first 2 shown]
	v_or_b32_e32 v89, 3, v87
	v_cndmask_b32_e64 v101, v95, v106, s18
	v_cmp_eq_u32_e64 s23, 6, v86
	v_cndmask_b32_e64 v112, v96, v94, s15
	v_cndmask_b32_e64 v100, v97, v79, s19
	v_cmp_eq_u32_e64 s20, 1, v89
	ds_load_b128 v[95:98], v90 offset:1024
	v_cmp_eq_u32_e64 s22, 2, v89
	v_cmp_eq_u32_e64 s24, 3, v89
	v_cndmask_b32_e64 v113, v100, v104, s21
	v_cndmask_b32_e64 v73, v77, v73, s20
	;; [unrolled: 1-line block ×4, first 2 shown]
	ds_load_b128 v[99:102], v90 offset:1040
	v_cmp_eq_u32_e64 s25, 4, v89
	v_cndmask_b32_e64 v73, v73, v78, s22
	v_cmp_eq_u32_e64 s26, 7, v86
	v_cndmask_b32_e64 v78, v91, v92, s22
	v_cndmask_b32_e64 v92, v113, v80, s23
	v_cmp_eq_u32_e64 s27, 5, v89
	v_cndmask_b32_e64 v73, v73, v103, s24
	v_cndmask_b32_e64 v77, v77, v107, s21
	;; [unrolled: 1-line block ×3, first 2 shown]
	v_cmp_eq_u32_e64 s28, 6, v89
	v_cndmask_b32_e64 v91, v112, v108, s17
	v_cndmask_b32_e64 v73, v73, v79, s25
	s_waitcnt lgkmcnt(1)
	v_lshrrev_b32_e32 v103, 16, v95
	v_cndmask_b32_e64 v78, v78, v93, s25
	v_cndmask_b32_e64 v79, v92, v105, s26
	;; [unrolled: 1-line block ×4, first 2 shown]
	v_cndmask_b32_e32 v92, v95, v103, vcc_lo
	v_cndmask_b32_e64 v78, v78, v107, s27
	s_waitcnt lgkmcnt(0)
	v_lshrrev_b32_e32 v93, 16, v99
	v_lshrrev_b32_e32 v104, 16, v96
	v_cndmask_b32_e64 v106, v95, v103, s2
	v_cndmask_b32_e64 v92, v92, v96, s3
	;; [unrolled: 1-line block ×3, first 2 shown]
	v_cndmask_b32_e32 v107, v99, v93, vcc_lo
	v_cndmask_b32_e64 v78, v78, v94, s28
	v_cmp_eq_u32_e32 vcc_lo, 7, v89
	v_cndmask_b32_e64 v80, v92, v104, s6
	v_cndmask_b32_e64 v92, v106, v96, s5
	;; [unrolled: 1-line block ×3, first 2 shown]
	v_lshrrev_b32_e32 v106, 16, v100
	v_cndmask_b32_e64 v77, v77, v108, s26
	v_cndmask_b32_e32 v78, v78, v108, vcc_lo
	v_lshrrev_b32_e32 v108, 16, v101
	v_cndmask_b32_e64 v80, v80, v97, s8
	v_cndmask_b32_e64 v94, v94, v106, s6
	v_lshrrev_b32_e32 v107, 16, v97
	v_cndmask_b32_e32 v73, v73, v105, vcc_lo
	v_perm_b32 v79, v77, v79, 0x5040100
	v_cndmask_b32_e64 v92, v92, v104, s7
	v_cndmask_b32_e64 v94, v94, v101, s8
	;; [unrolled: 1-line block ×3, first 2 shown]
	v_perm_b32 v80, v78, v73, 0x5040100
	v_perm_b32 v78, v91, v111, 0x5040100
	v_cndmask_b32_e64 v111, v99, v93, s4
	v_cndmask_b32_e64 v94, v94, v108, s9
	;; [unrolled: 1-line block ×3, first 2 shown]
	s_delay_alu instid0(VALU_DEP_2)
	v_cndmask_b32_e64 v77, v94, v102, s11
	v_cndmask_b32_e64 v94, v95, v103, s4
	;; [unrolled: 1-line block ×22, first 2 shown]
	v_lshrrev_b32_e32 v105, 16, v98
	v_cndmask_b32_e64 v94, v94, v107, s21
	v_cndmask_b32_e64 v95, v95, v107, s27
	;; [unrolled: 1-line block ×7, first 2 shown]
	v_lshrrev_b32_e32 v92, 16, v102
	v_cndmask_b32_e64 v94, v94, v98, s23
	v_cndmask_b32_e64 v95, v95, v98, s28
	;; [unrolled: 1-line block ×7, first 2 shown]
	v_dual_cndmask_b32 v94, v95, v105 :: v_dual_cndmask_b32 v95, v96, v92
	v_cndmask_b32_e64 v96, v97, v92, s26
	v_cndmask_b32_e64 v97, v93, v92, s17
	;; [unrolled: 1-line block ×3, first 2 shown]
	v_perm_b32 v77, v110, v109, 0x5040100
	v_perm_b32 v94, v95, v94, 0x5040100
	v_perm_b32 v93, v96, v98, 0x5040100
	v_perm_b32 v92, v97, v73, 0x5040100
	v_perm_b32 v91, v99, v91, 0x5040100
	s_lshl_b32 s7, s35, 3
	s_mov_b32 s2, exec_lo
	ds_store_b128 v76, v[77:80]
	ds_store_b128 v76, v[91:94] offset:1024
	v_cmpx_gt_u32_e32 8, v0
	s_cbranch_execz .LBB717_80
; %bb.79:
	v_or_b32_e32 v73, s29, v0
	s_load_b128 s[8:11], s[0:1], 0x58
	s_delay_alu instid0(VALU_DEP_1) | instskip(NEXT) | instid1(VALU_DEP_1)
	v_mad_u64_u32 v[76:77], null, s7, s30, v[73:74]
	v_mad_u64_u32 v[77:78], null, v76, s34, s[14:15]
	s_delay_alu instid0(VALU_DEP_1) | instskip(NEXT) | instid1(VALU_DEP_1)
	v_ashrrev_i32_e32 v78, 31, v77
	v_lshlrev_b64 v[76:77], 2, v[77:78]
	s_waitcnt lgkmcnt(0)
	s_delay_alu instid0(VALU_DEP_1) | instskip(NEXT) | instid1(VALU_DEP_2)
	v_add_co_u32 v78, vcc_lo, s10, v76
	v_add_co_ci_u32_e32 v79, vcc_lo, s11, v77, vcc_lo
	v_add_co_u32 v76, vcc_lo, s8, v76
	v_add_co_ci_u32_e32 v77, vcc_lo, s9, v77, vcc_lo
	global_store_b32 v[78:79], v74, off
	global_store_b32 v[76:77], v75, off
.LBB717_80:
	s_or_b32 exec_lo, exec_lo, s2
	s_waitcnt lgkmcnt(0)
	s_waitcnt_vscnt null, 0x0
	s_barrier
	buffer_gl0_inv
	ds_load_b128 v[91:94], v85
	ds_load_b128 v[95:98], v85 offset:16
	ds_load_b128 v[103:106], v85 offset:1040
	;; [unrolled: 1-line block ×3, first 2 shown]
	v_mov_b32_e32 v73, 0
	ds_load_b128 v[111:114], v85 offset:2064
	ds_load_b128 v[107:110], v85 offset:2048
	;; [unrolled: 1-line block ×6, first 2 shown]
	v_mov_b32_e32 v74, v73
	v_mov_b32_e32 v75, v73
	;; [unrolled: 1-line block ×7, first 2 shown]
	s_waitcnt lgkmcnt(8)
	s_delay_alu instid0(VALU_DEP_1)
	v_wmma_f32_16x16x16_bf16 v[73:80], v[65:72], v[91:98], v[73:80]
	ds_load_b128 v[69:72], v85 offset:5136
	ds_load_b128 v[65:68], v85 offset:5120
	;; [unrolled: 1-line block ×4, first 2 shown]
	s_waitcnt lgkmcnt(10)
	v_wmma_f32_16x16x16_bf16 v[73:80], v[57:64], v[99:106], v[73:80]
	s_waitcnt lgkmcnt(8)
	s_delay_alu instid0(VALU_DEP_1)
	v_wmma_f32_16x16x16_bf16 v[73:80], v[57:64], v[107:114], v[73:80]
	ds_load_b128 v[61:64], v85 offset:7184
	ds_load_b128 v[57:60], v85 offset:7168
	;; [unrolled: 1-line block ×4, first 2 shown]
	s_waitcnt lgkmcnt(10)
	v_wmma_f32_16x16x16_bf16 v[73:80], v[49:56], v[115:122], v[73:80]
	s_waitcnt lgkmcnt(8)
	s_delay_alu instid0(VALU_DEP_1)
	v_wmma_f32_16x16x16_bf16 v[73:80], v[49:56], v[123:130], v[73:80]
	ds_load_b128 v[53:56], v85 offset:9232
	ds_load_b128 v[49:52], v85 offset:9216
	s_waitcnt lgkmcnt(8)
	v_wmma_f32_16x16x16_bf16 v[73:80], v[41:48], v[65:72], v[73:80]
	ds_load_b128 v[69:72], v85 offset:10256
	ds_load_b128 v[65:68], v85 offset:10240
	s_waitcnt lgkmcnt(8)
	;; [unrolled: 4-line block ×3, first 2 shown]
	v_wmma_f32_16x16x16_bf16 v[73:80], v[9:16], v[57:64], v[73:80]
	s_waitcnt lgkmcnt(6)
	s_delay_alu instid0(VALU_DEP_1)
	v_wmma_f32_16x16x16_bf16 v[73:80], v[9:16], v[99:106], v[73:80]
	ds_load_b128 v[13:16], v85 offset:12304
	ds_load_b128 v[9:12], v85 offset:12288
	s_waitcnt lgkmcnt(6)
	v_wmma_f32_16x16x16_bf16 v[73:80], v[1:8], v[49:56], v[73:80]
	ds_load_b128 v[53:56], v85 offset:13328
	ds_load_b128 v[49:52], v85 offset:13312
	s_waitcnt lgkmcnt(6)
	v_wmma_f32_16x16x16_bf16 v[73:80], v[1:8], v[65:72], v[73:80]
	ds_load_b128 v[5:8], v85 offset:14352
	ds_load_b128 v[1:4], v85 offset:14336
	s_waitcnt lgkmcnt(6)
	v_wmma_f32_16x16x16_bf16 v[73:80], v[33:40], v[41:48], v[73:80]
	ds_load_b128 v[45:48], v85 offset:15376
	ds_load_b128 v[41:44], v85 offset:15360
	s_waitcnt lgkmcnt(6)
	v_wmma_f32_16x16x16_bf16 v[73:80], v[33:40], v[9:16], v[73:80]
	s_waitcnt lgkmcnt(4)
	s_delay_alu instid0(VALU_DEP_1) | instskip(SKIP_1) | instid1(VALU_DEP_1)
	v_wmma_f32_16x16x16_bf16 v[73:80], v[25:32], v[49:56], v[73:80]
	s_waitcnt lgkmcnt(2)
	v_wmma_f32_16x16x16_bf16 v[73:80], v[25:32], v[1:8], v[73:80]
	s_waitcnt lgkmcnt(0)
	s_delay_alu instid0(VALU_DEP_1) | instskip(NEXT) | instid1(VALU_DEP_1)
	v_wmma_f32_16x16x16_bf16 v[73:80], v[17:24], v[41:48], v[73:80]
	v_and_b32_e32 v1, 0x7f800000, v73
	s_delay_alu instid0(VALU_DEP_1) | instskip(SKIP_1) | instid1(SALU_CYCLE_1)
	v_cmp_ne_u32_e32 vcc_lo, 0x7f800000, v1
                                        ; implicit-def: $vgpr1
	s_and_saveexec_b32 s2, vcc_lo
	s_xor_b32 s2, exec_lo, s2
; %bb.81:
	v_bfe_u32 v1, v73, 16, 1
	s_delay_alu instid0(VALU_DEP_1)
	v_add3_u32 v1, v73, v1, 0x7fff
; %bb.82:
	s_and_not1_saveexec_b32 s2, s2
; %bb.83:
	v_and_b32_e32 v1, 0xffff, v73
	v_or_b32_e32 v2, 0x10000, v73
	s_delay_alu instid0(VALU_DEP_2) | instskip(NEXT) | instid1(VALU_DEP_2)
	v_cmp_eq_u32_e32 vcc_lo, 0, v1
	v_cndmask_b32_e32 v1, v2, v73, vcc_lo
; %bb.84:
	s_or_b32 exec_lo, exec_lo, s2
	v_and_b32_e32 v2, 0x7f800000, v74
	s_delay_alu instid0(VALU_DEP_1) | instskip(SKIP_1) | instid1(SALU_CYCLE_1)
	v_cmp_ne_u32_e32 vcc_lo, 0x7f800000, v2
                                        ; implicit-def: $vgpr2
	s_and_saveexec_b32 s2, vcc_lo
	s_xor_b32 s2, exec_lo, s2
; %bb.85:
	v_bfe_u32 v2, v74, 16, 1
	s_delay_alu instid0(VALU_DEP_1)
	v_add3_u32 v2, v74, v2, 0x7fff
; %bb.86:
	s_and_not1_saveexec_b32 s2, s2
; %bb.87:
	v_and_b32_e32 v2, 0xffff, v74
	v_or_b32_e32 v3, 0x10000, v74
	s_delay_alu instid0(VALU_DEP_2) | instskip(NEXT) | instid1(VALU_DEP_2)
	v_cmp_eq_u32_e32 vcc_lo, 0, v2
	v_cndmask_b32_e32 v2, v3, v74, vcc_lo
; %bb.88:
	s_or_b32 exec_lo, exec_lo, s2
	v_and_b32_e32 v3, 0x7f800000, v75
	s_delay_alu instid0(VALU_DEP_1) | instskip(SKIP_1) | instid1(SALU_CYCLE_1)
	v_cmp_ne_u32_e32 vcc_lo, 0x7f800000, v3
                                        ; implicit-def: $vgpr3
	s_and_saveexec_b32 s2, vcc_lo
	s_xor_b32 s2, exec_lo, s2
; %bb.89:
	v_bfe_u32 v3, v75, 16, 1
	s_delay_alu instid0(VALU_DEP_1)
	v_add3_u32 v3, v75, v3, 0x7fff
; %bb.90:
	s_and_not1_saveexec_b32 s2, s2
; %bb.91:
	v_and_b32_e32 v3, 0xffff, v75
	v_or_b32_e32 v4, 0x10000, v75
	s_delay_alu instid0(VALU_DEP_2) | instskip(NEXT) | instid1(VALU_DEP_2)
	v_cmp_eq_u32_e32 vcc_lo, 0, v3
	v_cndmask_b32_e32 v3, v4, v75, vcc_lo
; %bb.92:
	s_or_b32 exec_lo, exec_lo, s2
	v_and_b32_e32 v4, 0x7f800000, v76
	s_delay_alu instid0(VALU_DEP_1) | instskip(SKIP_1) | instid1(SALU_CYCLE_1)
	v_cmp_ne_u32_e32 vcc_lo, 0x7f800000, v4
                                        ; implicit-def: $vgpr4
	s_and_saveexec_b32 s2, vcc_lo
	s_xor_b32 s2, exec_lo, s2
; %bb.93:
	v_bfe_u32 v4, v76, 16, 1
	s_delay_alu instid0(VALU_DEP_1)
	v_add3_u32 v4, v76, v4, 0x7fff
; %bb.94:
	s_and_not1_saveexec_b32 s2, s2
; %bb.95:
	v_and_b32_e32 v4, 0xffff, v76
	v_or_b32_e32 v5, 0x10000, v76
	s_delay_alu instid0(VALU_DEP_2) | instskip(NEXT) | instid1(VALU_DEP_2)
	v_cmp_eq_u32_e32 vcc_lo, 0, v4
	v_cndmask_b32_e32 v4, v5, v76, vcc_lo
; %bb.96:
	s_or_b32 exec_lo, exec_lo, s2
	v_and_b32_e32 v5, 0x7f800000, v77
	s_delay_alu instid0(VALU_DEP_1) | instskip(SKIP_1) | instid1(SALU_CYCLE_1)
	v_cmp_ne_u32_e32 vcc_lo, 0x7f800000, v5
                                        ; implicit-def: $vgpr5
	s_and_saveexec_b32 s2, vcc_lo
	s_xor_b32 s2, exec_lo, s2
; %bb.97:
	v_bfe_u32 v5, v77, 16, 1
	s_delay_alu instid0(VALU_DEP_1)
	v_add3_u32 v5, v77, v5, 0x7fff
; %bb.98:
	s_and_not1_saveexec_b32 s2, s2
; %bb.99:
	v_and_b32_e32 v5, 0xffff, v77
	v_or_b32_e32 v6, 0x10000, v77
	s_delay_alu instid0(VALU_DEP_2) | instskip(NEXT) | instid1(VALU_DEP_2)
	v_cmp_eq_u32_e32 vcc_lo, 0, v5
	v_cndmask_b32_e32 v5, v6, v77, vcc_lo
; %bb.100:
	s_or_b32 exec_lo, exec_lo, s2
	v_and_b32_e32 v6, 0x7f800000, v78
	s_delay_alu instid0(VALU_DEP_1) | instskip(SKIP_1) | instid1(SALU_CYCLE_1)
	v_cmp_ne_u32_e32 vcc_lo, 0x7f800000, v6
                                        ; implicit-def: $vgpr6
	s_and_saveexec_b32 s2, vcc_lo
	s_xor_b32 s2, exec_lo, s2
; %bb.101:
	v_bfe_u32 v6, v78, 16, 1
	s_delay_alu instid0(VALU_DEP_1)
	v_add3_u32 v6, v78, v6, 0x7fff
; %bb.102:
	s_and_not1_saveexec_b32 s2, s2
; %bb.103:
	v_and_b32_e32 v6, 0xffff, v78
	v_or_b32_e32 v7, 0x10000, v78
	s_delay_alu instid0(VALU_DEP_2) | instskip(NEXT) | instid1(VALU_DEP_2)
	v_cmp_eq_u32_e32 vcc_lo, 0, v6
	v_cndmask_b32_e32 v6, v7, v78, vcc_lo
; %bb.104:
	s_or_b32 exec_lo, exec_lo, s2
	v_and_b32_e32 v7, 0x7f800000, v79
	s_delay_alu instid0(VALU_DEP_1) | instskip(SKIP_1) | instid1(SALU_CYCLE_1)
	v_cmp_ne_u32_e32 vcc_lo, 0x7f800000, v7
                                        ; implicit-def: $vgpr7
	s_and_saveexec_b32 s2, vcc_lo
	s_xor_b32 s2, exec_lo, s2
; %bb.105:
	v_bfe_u32 v7, v79, 16, 1
	s_delay_alu instid0(VALU_DEP_1)
	v_add3_u32 v7, v79, v7, 0x7fff
; %bb.106:
	s_and_not1_saveexec_b32 s2, s2
; %bb.107:
	v_and_b32_e32 v7, 0xffff, v79
	v_or_b32_e32 v8, 0x10000, v79
	s_delay_alu instid0(VALU_DEP_2) | instskip(NEXT) | instid1(VALU_DEP_2)
	v_cmp_eq_u32_e32 vcc_lo, 0, v7
	v_cndmask_b32_e32 v7, v8, v79, vcc_lo
; %bb.108:
	s_or_b32 exec_lo, exec_lo, s2
	v_and_b32_e32 v8, 0x7f800000, v80
	s_delay_alu instid0(VALU_DEP_1) | instskip(SKIP_1) | instid1(SALU_CYCLE_1)
	v_cmp_ne_u32_e32 vcc_lo, 0x7f800000, v8
                                        ; implicit-def: $vgpr8
	s_and_saveexec_b32 s2, vcc_lo
	s_xor_b32 s2, exec_lo, s2
; %bb.109:
	v_bfe_u32 v8, v80, 16, 1
	s_delay_alu instid0(VALU_DEP_1)
	v_add3_u32 v8, v80, v8, 0x7fff
                                        ; implicit-def: $vgpr73_vgpr74_vgpr75_vgpr76_vgpr77_vgpr78_vgpr79_vgpr80
; %bb.110:
	s_and_not1_saveexec_b32 s2, s2
; %bb.111:
	v_and_b32_e32 v8, 0xffff, v80
	v_or_b32_e32 v9, 0x10000, v80
	s_delay_alu instid0(VALU_DEP_2) | instskip(NEXT) | instid1(VALU_DEP_2)
	v_cmp_eq_u32_e32 vcc_lo, 0, v8
	v_cndmask_b32_e32 v8, v9, v80, vcc_lo
; %bb.112:
	s_or_b32 exec_lo, exec_lo, s2
	s_delay_alu instid0(VALU_DEP_1)
	v_perm_b32 v7, v8, v7, 0x7060302
	v_perm_b32 v6, v6, v5, 0x7060302
	;; [unrolled: 1-line block ×4, first 2 shown]
	v_lshl_or_b32 v9, v83, 4, v90
	s_barrier
	buffer_gl0_inv
	v_cmp_eq_u32_e32 vcc_lo, 1, v87
	ds_store_b128 v9, v[4:7]
	s_waitcnt lgkmcnt(0)
	s_barrier
	buffer_gl0_inv
	ds_load_b128 v[1:4], v90
	ds_load_b128 v[5:8], v90 offset:16
	v_cmp_eq_u32_e64 s3, 2, v87
	v_cmp_eq_u32_e64 s2, 1, v88
	;; [unrolled: 1-line block ×5, first 2 shown]
	s_waitcnt lgkmcnt(1)
	v_lshrrev_b32_e32 v10, 16, v1
	s_waitcnt lgkmcnt(0)
	v_lshrrev_b32_e32 v14, 16, v5
	v_lshrrev_b32_e32 v15, 16, v6
	;; [unrolled: 1-line block ×4, first 2 shown]
	v_cndmask_b32_e64 v20, v1, v10, s2
	v_cndmask_b32_e32 v19, v5, v14, vcc_lo
	v_cndmask_b32_e64 v21, v5, v14, s2
	v_lshrrev_b32_e32 v16, 16, v7
	v_cmp_eq_u32_e64 s2, 1, v86
	v_lshrrev_b32_e32 v13, 16, v4
	v_cndmask_b32_e64 v19, v19, v6, s3
	v_lshrrev_b32_e32 v17, 16, v8
	s_delay_alu instid0(VALU_DEP_4) | instskip(SKIP_1) | instid1(VALU_DEP_4)
	v_cndmask_b32_e64 v22, v1, v10, s2
	v_cndmask_b32_e64 v23, v5, v14, s2
	;; [unrolled: 1-line block ×3, first 2 shown]
	v_cndmask_b32_e32 v18, v1, v10, vcc_lo
	v_cmp_eq_u32_e32 vcc_lo, 2, v88
	v_cmp_eq_u32_e64 s2, 2, v89
	v_cndmask_b32_e64 v22, v22, v2, s6
	v_cndmask_b32_e32 v20, v20, v2, vcc_lo
	v_cndmask_b32_e32 v21, v21, v6, vcc_lo
	v_cmp_eq_u32_e32 vcc_lo, 4, v87
	v_cndmask_b32_e32 v19, v19, v7, vcc_lo
	v_cndmask_b32_e64 v18, v18, v2, s3
	v_cmp_eq_u32_e64 s3, 3, v88
	s_delay_alu instid0(VALU_DEP_2) | instskip(NEXT) | instid1(VALU_DEP_2)
	v_cndmask_b32_e64 v18, v18, v11, s4
	v_cndmask_b32_e64 v21, v21, v15, s3
	v_cmp_eq_u32_e64 s4, 5, v87
	s_delay_alu instid0(VALU_DEP_3) | instskip(SKIP_1) | instid1(VALU_DEP_3)
	v_cndmask_b32_e32 v18, v18, v3, vcc_lo
	v_cmp_eq_u32_e32 vcc_lo, 4, v88
	v_cndmask_b32_e64 v19, v19, v16, s4
	s_delay_alu instid0(VALU_DEP_3) | instskip(SKIP_4) | instid1(VALU_DEP_3)
	v_cndmask_b32_e64 v18, v18, v12, s4
	v_cndmask_b32_e32 v21, v21, v7, vcc_lo
	v_cndmask_b32_e64 v20, v20, v11, s3
	v_cmp_eq_u32_e64 s3, 5, v88
	v_cmp_eq_u32_e64 s4, 6, v87
	v_cndmask_b32_e32 v20, v20, v3, vcc_lo
	s_delay_alu instid0(VALU_DEP_3) | instskip(SKIP_1) | instid1(VALU_DEP_4)
	v_cndmask_b32_e64 v21, v21, v16, s3
	v_cmp_eq_u32_e32 vcc_lo, 6, v88
	v_cndmask_b32_e64 v18, v18, v4, s4
	v_cndmask_b32_e64 v19, v19, v8, s4
	;; [unrolled: 1-line block ×3, first 2 shown]
	v_cmp_eq_u32_e64 s3, 1, v89
	v_cmp_eq_u32_e64 s4, 7, v87
	s_delay_alu instid0(VALU_DEP_3) | instskip(NEXT) | instid1(VALU_DEP_3)
	v_cndmask_b32_e32 v20, v20, v4, vcc_lo
	v_cndmask_b32_e64 v1, v1, v10, s3
	v_cndmask_b32_e64 v5, v5, v14, s3
	v_cmp_eq_u32_e64 s3, 3, v86
	v_cndmask_b32_e64 v14, v23, v6, s6
	v_cmp_eq_u32_e64 s6, 3, v89
	v_cndmask_b32_e64 v1, v1, v2, s2
	v_cndmask_b32_e64 v2, v5, v6, s2
	;; [unrolled: 1-line block ×3, first 2 shown]
	v_cmp_eq_u32_e64 s2, 4, v86
	v_cndmask_b32_e64 v6, v14, v15, s3
	v_cndmask_b32_e64 v1, v1, v11, s6
	v_cmp_eq_u32_e64 s3, 4, v89
	v_cndmask_b32_e64 v2, v2, v15, s6
	v_cndmask_b32_e64 v5, v10, v3, s2
	v_cmp_eq_u32_e64 s6, 5, v86
	v_cndmask_b32_e64 v6, v6, v7, s2
	v_cndmask_b32_e64 v1, v1, v3, s3
	v_cndmask_b32_e64 v2, v2, v7, s3
	v_cmp_eq_u32_e64 s2, 5, v89
	v_cndmask_b32_e64 v5, v5, v12, s6
	v_cmp_eq_u32_e64 s3, 6, v86
	;; [unrolled: 2-line block ×3, first 2 shown]
	v_cndmask_b32_e64 v1, v1, v12, s2
	v_cndmask_b32_e64 v2, v2, v16, s2
	;; [unrolled: 1-line block ×4, first 2 shown]
	v_cmp_eq_u32_e64 s2, 7, v89
	v_cndmask_b32_e64 v1, v1, v4, s6
	v_cndmask_b32_e64 v2, v2, v8, s6
	v_cmp_eq_u32_e64 s3, 7, v86
	v_cndmask_b32_e32 v4, v21, v8, vcc_lo
	v_cndmask_b32_e64 v18, v18, v13, s4
	v_cndmask_b32_e64 v20, v20, v13, s5
	;; [unrolled: 1-line block ×8, first 2 shown]
	s_mov_b32 s2, exec_lo
	v_perm_b32 v4, v2, v1, 0x5040100
	v_perm_b32 v3, v3, v5, 0x5040100
	;; [unrolled: 1-line block ×4, first 2 shown]
	ds_store_b128 v9, v[1:4]
	s_waitcnt lgkmcnt(0)
	s_barrier
	buffer_gl0_inv
	v_cmpx_gt_u32_e32 32, v0
	s_cbranch_execz .LBB717_2
; %bb.113:
	s_load_b64 s[0:1], s[0:1], 0x68
	s_lshl_b32 s4, s34, 7
	v_or_b32_e32 v2, s29, v83
	s_mul_i32 s2, s4, s30
	v_lshlrev_b32_e32 v1, 10, v0
	s_mul_i32 s2, s2, s7
	v_lshlrev_b32_e32 v3, 4, v84
	v_mul_lo_u32 v0, v2, s4
	s_ashr_i32 s3, s2, 31
	v_lshlrev_b32_e32 v4, 6, v83
	v_and_b32_e32 v1, 0x3800, v1
	v_or_b32_e32 v5, 2, v2
	s_lshl_b64 s[2:3], s[2:3], 1
	v_or_b32_e32 v6, 4, v2
	v_or_b32_e32 v7, 6, v2
	v_or3_b32 v12, v1, v3, v4
	v_ashrrev_i32_e32 v1, 31, v0
	v_mul_lo_u32 v2, v5, s4
	v_mul_lo_u32 v16, v6, s4
	;; [unrolled: 1-line block ×3, first 2 shown]
	s_waitcnt lgkmcnt(0)
	s_add_u32 s2, s0, s2
	s_addc_u32 s3, s1, s3
	s_lshl_b32 s0, s14, 7
	v_lshlrev_b64 v[0:1], 1, v[0:1]
	s_ashr_i32 s1, s0, 31
	v_ashrrev_i32_e32 v3, 31, v2
	s_lshl_b64 s[0:1], s[0:1], 1
	v_ashrrev_i32_e32 v17, 31, v16
	s_add_u32 s0, s2, s0
	s_addc_u32 s1, s3, s1
	v_add_co_u32 v24, vcc_lo, s0, v81
	v_add_co_ci_u32_e32 v25, vcc_lo, s1, v82, vcc_lo
	v_lshlrev_b64 v[22:23], 1, v[2:3]
	s_delay_alu instid0(VALU_DEP_3) | instskip(NEXT) | instid1(VALU_DEP_3)
	v_add_co_u32 v18, vcc_lo, v24, v0
	v_add_co_ci_u32_e32 v19, vcc_lo, v25, v1, vcc_lo
	ds_load_b128 v[0:3], v12
	ds_load_b128 v[4:7], v12 offset:128
	ds_load_b128 v[8:11], v12 offset:256
	;; [unrolled: 1-line block ×3, first 2 shown]
	v_ashrrev_i32_e32 v21, 31, v20
	v_lshlrev_b64 v[16:17], 1, v[16:17]
	v_add_co_u32 v22, vcc_lo, v24, v22
	v_add_co_ci_u32_e32 v23, vcc_lo, v25, v23, vcc_lo
	s_delay_alu instid0(VALU_DEP_4) | instskip(NEXT) | instid1(VALU_DEP_4)
	v_lshlrev_b64 v[20:21], 1, v[20:21]
	v_add_co_u32 v16, vcc_lo, v24, v16
	v_add_co_ci_u32_e32 v17, vcc_lo, v25, v17, vcc_lo
	s_delay_alu instid0(VALU_DEP_3) | instskip(NEXT) | instid1(VALU_DEP_4)
	v_add_co_u32 v20, vcc_lo, v24, v20
	v_add_co_ci_u32_e32 v21, vcc_lo, v25, v21, vcc_lo
	s_waitcnt lgkmcnt(3)
	global_store_b128 v[18:19], v[0:3], off
	s_waitcnt lgkmcnt(2)
	global_store_b128 v[22:23], v[4:7], off
	;; [unrolled: 2-line block ×4, first 2 shown]
	s_nop 0
	s_sendmsg sendmsg(MSG_DEALLOC_VGPRS)
	s_endpgm
	.section	.rodata,"a",@progbits
	.p2align	6, 0x0
	.amdhsa_kernel _Z39paged_attention_ll4mi_QKV_mfma16_kernelI14__hip_bfloat16S0_LN4vllm18Fp8KVCacheDataTypeE0EhLi32ELi128ELi256ELb0ELi8EL8MFMAType0EEvPKT_PKT0_S9_ifPKiSB_SB_iPKfiiiPfSE_PS4_PT2_iSD_SD_
		.amdhsa_group_segment_fixed_size 17472
		.amdhsa_private_segment_fixed_size 0
		.amdhsa_kernarg_size 400
		.amdhsa_user_sgpr_count 13
		.amdhsa_user_sgpr_dispatch_ptr 0
		.amdhsa_user_sgpr_queue_ptr 0
		.amdhsa_user_sgpr_kernarg_segment_ptr 1
		.amdhsa_user_sgpr_dispatch_id 0
		.amdhsa_user_sgpr_private_segment_size 0
		.amdhsa_wavefront_size32 1
		.amdhsa_uses_dynamic_stack 0
		.amdhsa_enable_private_segment 0
		.amdhsa_system_sgpr_workgroup_id_x 1
		.amdhsa_system_sgpr_workgroup_id_y 1
		.amdhsa_system_sgpr_workgroup_id_z 1
		.amdhsa_system_sgpr_workgroup_info 0
		.amdhsa_system_vgpr_workitem_id 0
		.amdhsa_next_free_vgpr 157
		.amdhsa_next_free_sgpr 40
		.amdhsa_reserve_vcc 1
		.amdhsa_float_round_mode_32 0
		.amdhsa_float_round_mode_16_64 0
		.amdhsa_float_denorm_mode_32 3
		.amdhsa_float_denorm_mode_16_64 3
		.amdhsa_dx10_clamp 1
		.amdhsa_ieee_mode 1
		.amdhsa_fp16_overflow 0
		.amdhsa_workgroup_processor_mode 1
		.amdhsa_memory_ordered 1
		.amdhsa_forward_progress 0
		.amdhsa_shared_vgpr_count 0
		.amdhsa_exception_fp_ieee_invalid_op 0
		.amdhsa_exception_fp_denorm_src 0
		.amdhsa_exception_fp_ieee_div_zero 0
		.amdhsa_exception_fp_ieee_overflow 0
		.amdhsa_exception_fp_ieee_underflow 0
		.amdhsa_exception_fp_ieee_inexact 0
		.amdhsa_exception_int_div_zero 0
	.end_amdhsa_kernel
	.section	.text._Z39paged_attention_ll4mi_QKV_mfma16_kernelI14__hip_bfloat16S0_LN4vllm18Fp8KVCacheDataTypeE0EhLi32ELi128ELi256ELb0ELi8EL8MFMAType0EEvPKT_PKT0_S9_ifPKiSB_SB_iPKfiiiPfSE_PS4_PT2_iSD_SD_,"axG",@progbits,_Z39paged_attention_ll4mi_QKV_mfma16_kernelI14__hip_bfloat16S0_LN4vllm18Fp8KVCacheDataTypeE0EhLi32ELi128ELi256ELb0ELi8EL8MFMAType0EEvPKT_PKT0_S9_ifPKiSB_SB_iPKfiiiPfSE_PS4_PT2_iSD_SD_,comdat
.Lfunc_end717:
	.size	_Z39paged_attention_ll4mi_QKV_mfma16_kernelI14__hip_bfloat16S0_LN4vllm18Fp8KVCacheDataTypeE0EhLi32ELi128ELi256ELb0ELi8EL8MFMAType0EEvPKT_PKT0_S9_ifPKiSB_SB_iPKfiiiPfSE_PS4_PT2_iSD_SD_, .Lfunc_end717-_Z39paged_attention_ll4mi_QKV_mfma16_kernelI14__hip_bfloat16S0_LN4vllm18Fp8KVCacheDataTypeE0EhLi32ELi128ELi256ELb0ELi8EL8MFMAType0EEvPKT_PKT0_S9_ifPKiSB_SB_iPKfiiiPfSE_PS4_PT2_iSD_SD_
                                        ; -- End function
	.section	.AMDGPU.csdata,"",@progbits
; Kernel info:
; codeLenInByte = 9752
; NumSgprs: 42
; NumVgprs: 157
; ScratchSize: 0
; MemoryBound: 0
; FloatMode: 240
; IeeeMode: 1
; LDSByteSize: 17472 bytes/workgroup (compile time only)
; SGPRBlocks: 5
; VGPRBlocks: 19
; NumSGPRsForWavesPerEU: 42
; NumVGPRsForWavesPerEU: 157
; Occupancy: 9
; WaveLimiterHint : 1
; COMPUTE_PGM_RSRC2:SCRATCH_EN: 0
; COMPUTE_PGM_RSRC2:USER_SGPR: 13
; COMPUTE_PGM_RSRC2:TRAP_HANDLER: 0
; COMPUTE_PGM_RSRC2:TGID_X_EN: 1
; COMPUTE_PGM_RSRC2:TGID_Y_EN: 1
; COMPUTE_PGM_RSRC2:TGID_Z_EN: 1
; COMPUTE_PGM_RSRC2:TIDIG_COMP_CNT: 0
	.section	.text._Z39paged_attention_ll4mi_QKV_mfma16_kernelI14__hip_bfloat16S0_LN4vllm18Fp8KVCacheDataTypeE0EhLi32ELi128ELi256ELb0ELi9EL8MFMAType0EEvPKT_PKT0_S9_ifPKiSB_SB_iPKfiiiPfSE_PS4_PT2_iSD_SD_,"axG",@progbits,_Z39paged_attention_ll4mi_QKV_mfma16_kernelI14__hip_bfloat16S0_LN4vllm18Fp8KVCacheDataTypeE0EhLi32ELi128ELi256ELb0ELi9EL8MFMAType0EEvPKT_PKT0_S9_ifPKiSB_SB_iPKfiiiPfSE_PS4_PT2_iSD_SD_,comdat
	.protected	_Z39paged_attention_ll4mi_QKV_mfma16_kernelI14__hip_bfloat16S0_LN4vllm18Fp8KVCacheDataTypeE0EhLi32ELi128ELi256ELb0ELi9EL8MFMAType0EEvPKT_PKT0_S9_ifPKiSB_SB_iPKfiiiPfSE_PS4_PT2_iSD_SD_ ; -- Begin function _Z39paged_attention_ll4mi_QKV_mfma16_kernelI14__hip_bfloat16S0_LN4vllm18Fp8KVCacheDataTypeE0EhLi32ELi128ELi256ELb0ELi9EL8MFMAType0EEvPKT_PKT0_S9_ifPKiSB_SB_iPKfiiiPfSE_PS4_PT2_iSD_SD_
	.globl	_Z39paged_attention_ll4mi_QKV_mfma16_kernelI14__hip_bfloat16S0_LN4vllm18Fp8KVCacheDataTypeE0EhLi32ELi128ELi256ELb0ELi9EL8MFMAType0EEvPKT_PKT0_S9_ifPKiSB_SB_iPKfiiiPfSE_PS4_PT2_iSD_SD_
	.p2align	8
	.type	_Z39paged_attention_ll4mi_QKV_mfma16_kernelI14__hip_bfloat16S0_LN4vllm18Fp8KVCacheDataTypeE0EhLi32ELi128ELi256ELb0ELi9EL8MFMAType0EEvPKT_PKT0_S9_ifPKiSB_SB_iPKfiiiPfSE_PS4_PT2_iSD_SD_,@function
_Z39paged_attention_ll4mi_QKV_mfma16_kernelI14__hip_bfloat16S0_LN4vllm18Fp8KVCacheDataTypeE0EhLi32ELi128ELi256ELb0ELi9EL8MFMAType0EEvPKT_PKT0_S9_ifPKiSB_SB_iPKfiiiPfSE_PS4_PT2_iSD_SD_: ; @_Z39paged_attention_ll4mi_QKV_mfma16_kernelI14__hip_bfloat16S0_LN4vllm18Fp8KVCacheDataTypeE0EhLi32ELi128ELi256ELb0ELi9EL8MFMAType0EEvPKT_PKT0_S9_ifPKiSB_SB_iPKfiiiPfSE_PS4_PT2_iSD_SD_
; %bb.0:
	s_load_b64 s[2:3], s[0:1], 0x30
	s_mov_b32 s30, s13
	s_waitcnt lgkmcnt(0)
	s_cmp_lg_u64 s[2:3], 0
	s_cselect_b32 s6, -1, 0
	s_ashr_i32 s31, s13, 31
	s_cmp_eq_u64 s[2:3], 0
	s_cbranch_scc1 .LBB718_3
; %bb.1:
	s_lshl_b64 s[4:5], s[30:31], 2
	s_delay_alu instid0(SALU_CYCLE_1) | instskip(SKIP_4) | instid1(SALU_CYCLE_1)
	s_add_u32 s4, s2, s4
	s_addc_u32 s5, s3, s5
	s_load_b64 s[4:5], s[4:5], 0x0
	s_waitcnt lgkmcnt(0)
	s_sub_i32 s4, s5, s4
	s_cmp_eq_u32 s4, 1
	s_cselect_b32 s4, -1, 0
	s_delay_alu instid0(SALU_CYCLE_1)
	s_and_not1_b32 vcc_lo, exec_lo, s4
	s_cbranch_vccz .LBB718_4
.LBB718_2:
	s_nop 0
	s_sendmsg sendmsg(MSG_DEALLOC_VGPRS)
	s_endpgm
.LBB718_3:
.LBB718_4:
	s_load_b64 s[8:9], s[0:1], 0x28
	s_lshl_b64 s[4:5], s[30:31], 2
	s_waitcnt lgkmcnt(0)
	s_add_u32 s8, s8, s4
	s_addc_u32 s9, s9, s5
	s_lshl_b32 s12, s14, 8
	s_load_b32 s17, s[8:9], 0x0
	s_waitcnt lgkmcnt(0)
	s_cmp_ge_i32 s12, s17
	s_cbranch_scc1 .LBB718_2
; %bb.5:
	s_and_not1_b32 vcc_lo, exec_lo, s6
	s_cbranch_vccnz .LBB718_7
; %bb.6:
	s_add_u32 s2, s2, s4
	s_addc_u32 s3, s3, s5
	s_load_b32 s13, s[2:3], 0x0
	s_branch .LBB718_8
.LBB718_7:
	s_mov_b32 s13, s30
.LBB718_8:
	s_clause 0x2
	s_load_b128 s[8:11], s[0:1], 0x8
	s_load_b64 s[2:3], s[0:1], 0x20
	s_load_b128 s[4:7], s[0:1], 0x48
	v_lshrrev_b32_e32 v74, 5, v0
	v_bfe_u32 v83, v0, 4, 1
	v_and_b32_e32 v73, 15, v0
	s_waitcnt lgkmcnt(0)
	s_mov_b32 s7, exec_lo
	s_delay_alu instid0(VALU_DEP_2) | instskip(NEXT) | instid1(VALU_DEP_2)
	v_lshl_or_b32 v3, v74, 1, v83
	v_lshlrev_b32_e32 v1, 3, v73
	s_delay_alu instid0(VALU_DEP_2)
	v_cmpx_lt_u32_e32 8, v3
	s_xor_b32 s7, exec_lo, s7
; %bb.9:
	v_mov_b32_e32 v2, 0
                                        ; implicit-def: $vgpr3
; %bb.10:
	s_or_saveexec_b32 s7, s7
	v_and_b32_e32 v75, 31, v0
	v_and_b32_e32 v84, 1, v0
	s_mul_i32 s31, s15, 9
	s_xor_b32 exec_lo, exec_lo, s7
	s_cbranch_execz .LBB718_12
; %bb.11:
	s_load_b64 s[18:19], s[0:1], 0x0
	v_add_lshl_u32 v4, v3, s31, 7
	s_mul_hi_i32 s21, s13, s4
	s_mul_i32 s20, s13, s4
	v_lshlrev_b32_e32 v2, 1, v1
	s_lshl_b64 s[20:21], s[20:21], 1
	v_ashrrev_i32_e32 v5, 31, v4
	v_lshlrev_b32_e32 v3, 6, v3
	v_lshlrev_b32_e32 v8, 10, v84
	s_delay_alu instid0(VALU_DEP_3) | instskip(SKIP_3) | instid1(VALU_DEP_1)
	v_lshlrev_b64 v[4:5], 1, v[4:5]
	s_waitcnt lgkmcnt(0)
	s_add_u32 s4, s18, s20
	s_addc_u32 s13, s19, s21
	v_add_co_u32 v4, vcc_lo, s4, v4
	s_delay_alu instid0(VALU_DEP_2) | instskip(NEXT) | instid1(VALU_DEP_2)
	v_add_co_ci_u32_e32 v5, vcc_lo, s13, v5, vcc_lo
	v_add_co_u32 v4, vcc_lo, v4, v2
	s_delay_alu instid0(VALU_DEP_2) | instskip(SKIP_3) | instid1(VALU_DEP_1)
	v_add_co_ci_u32_e32 v5, vcc_lo, 0, v5, vcc_lo
	v_lshlrev_b32_e32 v2, 10, v73
	global_load_b128 v[4:7], v[4:5], off
	v_and_b32_e32 v2, 0x3800, v2
	v_or3_b32 v3, v2, v8, v3
	v_mov_b32_e32 v2, 0
	s_waitcnt vmcnt(0)
	ds_store_b128 v3, v[4:7]
.LBB718_12:
	s_or_b32 exec_lo, exec_lo, s7
	v_add_nc_u32_e32 v80, -9, v73
	v_and_b32_e32 v3, 0xef, v0
	s_add_i32 s4, s17, 31
	s_clause 0x1
	s_load_b32 s7, s[0:1], 0x38
	s_load_b32 s18, s[0:1], 0x1c
	s_ashr_i32 s13, s4, 31
	v_add_nc_u32_e32 v3, s12, v3
	s_lshr_b32 s13, s13, 27
	s_waitcnt lgkmcnt(0)
	s_add_i32 s4, s4, s13
	s_barrier
	v_ashrrev_i32_e32 v4, 31, v3
	v_cmp_gt_i32_e32 vcc_lo, s17, v3
	s_ashr_i32 s4, s4, 5
	buffer_gl0_inv
	s_add_i32 s4, s4, -1
	v_lshrrev_b32_e32 v5, 27, v4
	v_or_b32_e32 v4, 16, v3
	v_lshlrev_b64 v[81:82], 1, v[1:2]
	s_delay_alu instid0(VALU_DEP_3) | instskip(NEXT) | instid1(VALU_DEP_3)
	v_add_nc_u32_e32 v6, v3, v5
	v_add_nc_u32_e32 v5, v4, v5
	s_mul_i32 s20, s30, s7
	s_delay_alu instid0(SALU_CYCLE_1) | instskip(NEXT) | instid1(VALU_DEP_2)
	s_ashr_i32 s21, s20, 31
	v_ashrrev_i32_e32 v6, 5, v6
	s_delay_alu instid0(VALU_DEP_2) | instskip(SKIP_1) | instid1(SALU_CYCLE_1)
	v_ashrrev_i32_e32 v5, 5, v5
	s_lshl_b64 s[20:21], s[20:21], 2
	s_add_u32 s7, s2, s20
	s_delay_alu instid0(VALU_DEP_2) | instskip(SKIP_3) | instid1(VALU_DEP_2)
	v_cndmask_b32_e32 v3, s4, v6, vcc_lo
	v_cmp_gt_i32_e32 vcc_lo, s17, v4
	s_addc_u32 s13, s3, s21
	s_mul_i32 s2, s15, s6
	v_ashrrev_i32_e32 v4, 31, v3
	v_cndmask_b32_e32 v5, s4, v5, vcc_lo
	s_ashr_i32 s3, s2, 31
	s_delay_alu instid0(SALU_CYCLE_1) | instskip(NEXT) | instid1(VALU_DEP_2)
	s_lshl_b64 s[2:3], s[2:3], 1
	v_lshlrev_b64 v[3:4], 2, v[3:4]
	s_delay_alu instid0(VALU_DEP_2) | instskip(SKIP_3) | instid1(VALU_DEP_1)
	v_ashrrev_i32_e32 v6, 31, v5
	s_add_u32 s6, s8, s2
	s_addc_u32 s15, s9, s3
	s_lshl_b32 s8, s14, 3
	v_lshlrev_b64 v[5:6], 2, v[5:6]
	v_add_co_u32 v3, vcc_lo, s7, v3
	v_add_co_ci_u32_e32 v4, vcc_lo, s13, v4, vcc_lo
	s_ashr_i32 s9, s8, 31
	s_delay_alu instid0(VALU_DEP_3) | instskip(NEXT) | instid1(VALU_DEP_4)
	v_add_co_u32 v5, vcc_lo, s7, v5
	v_add_co_ci_u32_e32 v6, vcc_lo, s13, v6, vcc_lo
	s_clause 0x1
	global_load_b32 v7, v[3:4], off
	global_load_b32 v8, v[5:6], off
	s_lshl_b64 s[8:9], s[8:9], 2
	s_delay_alu instid0(SALU_CYCLE_1) | instskip(SKIP_2) | instid1(SALU_CYCLE_1)
	s_add_u32 s8, s7, s8
	s_addc_u32 s9, s13, s9
	s_or_b32 s16, s12, 32
	s_ashr_i32 s19, s16, 5
	s_cmp_lt_i32 s16, s17
	s_cselect_b32 s20, s19, s4
	s_delay_alu instid0(SALU_CYCLE_1) | instskip(NEXT) | instid1(SALU_CYCLE_1)
	s_ashr_i32 s21, s20, 31
	s_lshl_b64 s[20:21], s[20:21], 2
	s_delay_alu instid0(SALU_CYCLE_1) | instskip(SKIP_2) | instid1(SALU_CYCLE_1)
	s_add_u32 s20, s7, s20
	s_addc_u32 s21, s13, s21
	s_or_b32 s16, s12, 64
	s_ashr_i32 s19, s16, 5
	s_cmp_lt_i32 s16, s17
	s_cselect_b32 s22, s19, s4
	s_delay_alu instid0(SALU_CYCLE_1) | instskip(NEXT) | instid1(SALU_CYCLE_1)
	s_ashr_i32 s23, s22, 31
	;; [unrolled: 10-line block ×5, first 2 shown]
	s_lshl_b64 s[28:29], s[28:29], 2
	s_delay_alu instid0(SALU_CYCLE_1)
	s_add_u32 s28, s7, s28
	s_addc_u32 s29, s13, s29
	s_clause 0x5
	s_load_b32 s16, s[8:9], 0x0
	s_load_b32 s19, s[20:21], 0x0
	;; [unrolled: 1-line block ×6, first 2 shown]
	s_mov_b32 s20, 0
	s_delay_alu instid0(SALU_CYCLE_1)
	s_mov_b32 s27, s20
	s_mov_b32 s24, s20
	;; [unrolled: 1-line block ×7, first 2 shown]
	v_dual_mov_b32 v108, s27 :: v_dual_mov_b32 v105, s24
	v_dual_mov_b32 v107, s26 :: v_dual_mov_b32 v106, s25
	;; [unrolled: 1-line block ×4, first 2 shown]
	s_waitcnt lgkmcnt(0)
	s_mul_hi_i32 s29, s34, s5
	s_mul_i32 s28, s34, s5
	s_mul_hi_i32 s21, s16, s5
	s_mul_i32 s20, s16, s5
	;; [unrolled: 2-line block ×5, first 2 shown]
	s_waitcnt vmcnt(1)
	v_mad_i64_i32 v[3:4], null, v7, s5, 0
	s_waitcnt vmcnt(0)
	v_mad_i64_i32 v[5:6], null, v8, s5, 0
	s_delay_alu instid0(VALU_DEP_2) | instskip(NEXT) | instid1(VALU_DEP_2)
	v_lshlrev_b64 v[3:4], 1, v[3:4]
	v_lshlrev_b64 v[1:2], 1, v[5:6]
	s_delay_alu instid0(VALU_DEP_2) | instskip(NEXT) | instid1(VALU_DEP_3)
	v_add_co_u32 v3, vcc_lo, s6, v3
	v_add_co_ci_u32_e32 v4, vcc_lo, s15, v4, vcc_lo
	s_delay_alu instid0(VALU_DEP_3) | instskip(NEXT) | instid1(VALU_DEP_4)
	v_add_co_u32 v1, vcc_lo, s6, v1
	v_add_co_ci_u32_e32 v2, vcc_lo, s15, v2, vcc_lo
	s_delay_alu instid0(VALU_DEP_4) | instskip(NEXT) | instid1(VALU_DEP_4)
	v_add_co_u32 v65, vcc_lo, v3, v81
	v_add_co_ci_u32_e32 v66, vcc_lo, v4, v82, vcc_lo
	s_delay_alu instid0(VALU_DEP_4) | instskip(NEXT) | instid1(VALU_DEP_4)
	v_add_co_u32 v76, vcc_lo, v1, v81
	v_add_co_ci_u32_e32 v77, vcc_lo, v2, v82, vcc_lo
	s_clause 0xf
	global_load_b128 v[1:4], v[65:66], off
	global_load_b128 v[5:8], v[65:66], off offset:512
	global_load_b128 v[9:12], v[76:77], off offset:256
	global_load_b128 v[13:16], v[76:77], off offset:768
	global_load_b128 v[17:20], v[65:66], off offset:1024
	global_load_b128 v[21:24], v[65:66], off offset:1536
	global_load_b128 v[25:28], v[76:77], off offset:1280
	global_load_b128 v[29:32], v[76:77], off offset:1792
	global_load_b128 v[33:36], v[65:66], off offset:2048
	global_load_b128 v[37:40], v[65:66], off offset:2560
	global_load_b128 v[41:44], v[76:77], off offset:2304
	global_load_b128 v[45:48], v[76:77], off offset:2816
	global_load_b128 v[49:52], v[65:66], off offset:3072
	global_load_b128 v[53:56], v[65:66], off offset:3584
	global_load_b128 v[57:60], v[76:77], off offset:3328
	global_load_b128 v[61:64], v[76:77], off offset:3840
	v_add_co_u32 v78, vcc_lo, 0x1000, v65
	v_add_co_ci_u32_e32 v79, vcc_lo, 0, v66, vcc_lo
	v_cmp_gt_u32_e32 vcc_lo, 9, v73
	s_clause 0x1
	global_load_b128 v[65:68], v[78:79], off
	global_load_b128 v[69:72], v[78:79], off offset:512
	s_or_b32 s6, s12, 0xc0
	v_cndmask_b32_e32 v80, v80, v73, vcc_lo
	v_add_co_u32 v76, vcc_lo, 0x1000, v76
	v_add_co_ci_u32_e32 v77, vcc_lo, 0, v77, vcc_lo
	s_delay_alu instid0(VALU_DEP_3)
	v_lshlrev_b32_e32 v80, 6, v80
	ds_load_b128 v[85:88], v80
	ds_load_b128 v[89:92], v80 offset:1024
	s_clause 0x1
	global_load_b128 v[93:96], v[76:77], off offset:256
	global_load_b128 v[97:100], v[76:77], off offset:768
	ds_load_b128 v[109:112], v80 offset:2048
	ds_load_b128 v[113:116], v80 offset:3072
	s_ashr_i32 s8, s6, 5
	s_cmp_lt_i32 s6, s17
	s_cselect_b32 s8, s8, s4
	s_delay_alu instid0(SALU_CYCLE_1) | instskip(NEXT) | instid1(SALU_CYCLE_1)
	s_ashr_i32 s9, s8, 31
	s_lshl_b64 s[8:9], s[8:9], 2
	s_delay_alu instid0(SALU_CYCLE_1) | instskip(SKIP_2) | instid1(SALU_CYCLE_1)
	s_add_u32 s8, s7, s8
	s_addc_u32 s9, s13, s9
	s_or_b32 s6, s12, 0xe0
	s_ashr_i32 s15, s6, 5
	s_cmp_lt_i32 s6, s17
	s_cselect_b32 s24, s15, s4
	s_delay_alu instid0(SALU_CYCLE_1) | instskip(NEXT) | instid1(SALU_CYCLE_1)
	s_ashr_i32 s25, s24, 31
	s_lshl_b64 s[24:25], s[24:25], 2
	s_delay_alu instid0(SALU_CYCLE_1) | instskip(SKIP_2) | instid1(SALU_CYCLE_1)
	s_add_u32 s24, s7, s24
	s_addc_u32 s25, s13, s25
	s_add_i32 s6, s12, 0x100
	s_ashr_i32 s15, s6, 5
	s_cmp_lt_i32 s6, s17
	s_cselect_b32 s34, s15, s4
	s_waitcnt vmcnt(18) lgkmcnt(2)
	v_wmma_f32_16x16x16_bf16 v[117:124], v[1:8], v[85:92], v[101:108]
	s_waitcnt vmcnt(16)
	v_wmma_f32_16x16x16_bf16 v[101:108], v[9:16], v[85:92], v[101:108]
	s_clause 0x3
	global_load_b128 v[1:4], v[78:79], off offset:1024
	global_load_b128 v[5:8], v[78:79], off offset:1536
	;; [unrolled: 1-line block ×4, first 2 shown]
	s_waitcnt vmcnt(18) lgkmcnt(0)
	v_wmma_f32_16x16x16_bf16 v[117:124], v[17:24], v[109:116], v[117:124]
	s_clause 0x1
	global_load_b128 v[17:20], v[78:79], off offset:2048
	global_load_b128 v[21:24], v[78:79], off offset:2560
	s_waitcnt vmcnt(18)
	v_wmma_f32_16x16x16_bf16 v[101:108], v[25:32], v[109:116], v[101:108]
	ds_load_b128 v[25:28], v80 offset:4096
	ds_load_b128 v[29:32], v80 offset:5120
	s_clause 0x5
	global_load_b128 v[109:112], v[76:77], off offset:2304
	global_load_b128 v[113:116], v[76:77], off offset:2816
	;; [unrolled: 1-line block ×6, first 2 shown]
	s_waitcnt vmcnt(22) lgkmcnt(0)
	v_wmma_f32_16x16x16_bf16 v[117:124], v[33:40], v[25:32], v[117:124]
	s_waitcnt vmcnt(20)
	v_wmma_f32_16x16x16_bf16 v[101:108], v[41:48], v[25:32], v[101:108]
	ds_load_b128 v[25:28], v80 offset:6144
	ds_load_b128 v[29:32], v80 offset:7168
	;; [unrolled: 1-line block ×4, first 2 shown]
	s_waitcnt vmcnt(18) lgkmcnt(2)
	v_wmma_f32_16x16x16_bf16 v[117:124], v[49:56], v[25:32], v[117:124]
	s_waitcnt vmcnt(16)
	v_wmma_f32_16x16x16_bf16 v[101:108], v[57:64], v[25:32], v[101:108]
	ds_load_b128 v[25:28], v80 offset:10240
	ds_load_b128 v[29:32], v80 offset:11264
	;; [unrolled: 1-line block ×6, first 2 shown]
	s_waitcnt vmcnt(14) lgkmcnt(6)
	v_wmma_f32_16x16x16_bf16 v[117:124], v[65:72], v[33:40], v[117:124]
	s_load_b32 s16, s[8:9], 0x0
	s_mul_hi_i32 s9, s35, s5
	s_mul_i32 s8, s35, s5
	s_ashr_i32 s35, s34, 31
	s_waitcnt vmcnt(12)
	v_wmma_f32_16x16x16_bf16 v[101:108], v[93:100], v[33:40], v[101:108]
	s_lshl_b64 s[34:35], s[34:35], 2
	s_delay_alu instid0(SALU_CYCLE_1)
	s_add_u32 s6, s7, s34
	s_addc_u32 s7, s13, s35
	s_add_u32 s4, s10, s2
	s_addc_u32 s19, s11, s3
	s_lshl_b64 s[2:3], s[20:21], 1
	s_clause 0x1
	s_load_b32 s13, s[24:25], 0x0
	s_load_b32 s15, s[6:7], 0x0
	s_lshl_b64 s[6:7], s[22:23], 1
	s_lshl_b64 s[10:11], s[26:27], 1
	;; [unrolled: 1-line block ×5, first 2 shown]
	s_waitcnt lgkmcnt(0)
	s_mul_hi_i32 s25, s16, s5
	s_mul_i32 s24, s16, s5
	s_waitcnt vmcnt(10)
	v_wmma_f32_16x16x16_bf16 v[117:124], v[1:8], v[25:32], v[117:124]
	s_waitcnt vmcnt(8)
	v_wmma_f32_16x16x16_bf16 v[101:108], v[9:16], v[25:32], v[101:108]
	s_waitcnt vmcnt(6)
	s_delay_alu instid0(VALU_DEP_2) | instskip(SKIP_1) | instid1(VALU_DEP_2)
	v_wmma_f32_16x16x16_bf16 v[117:124], v[17:24], v[141:148], v[117:124]
	s_waitcnt vmcnt(4)
	v_wmma_f32_16x16x16_bf16 v[101:108], v[109:116], v[141:148], v[101:108]
	s_waitcnt vmcnt(2)
	s_delay_alu instid0(VALU_DEP_2) | instskip(SKIP_3) | instid1(VALU_DEP_3)
	v_wmma_f32_16x16x16_bf16 v[117:124], v[125:132], v[149:156], v[117:124]
	v_lshlrev_b32_e32 v85, 6, v73
	s_waitcnt vmcnt(0)
	v_wmma_f32_16x16x16_bf16 v[101:108], v[133:140], v[149:156], v[101:108]
	v_mul_f32_e32 v100, s18, v124
	s_delay_alu instid0(VALU_DEP_3) | instskip(SKIP_2) | instid1(VALU_DEP_3)
	v_lshl_or_b32 v41, v74, 10, v85
	v_mul_f32_e32 v99, s18, v118
	v_mul_f32_e32 v97, s18, v117
	v_add_co_u32 v76, s4, s4, v41
	s_delay_alu instid0(VALU_DEP_1) | instskip(NEXT) | instid1(VALU_DEP_2)
	v_add_co_ci_u32_e64 v77, null, s19, 0, s4
	v_add_co_u32 v41, vcc_lo, v76, s2
	s_delay_alu instid0(VALU_DEP_2)
	v_add_co_ci_u32_e32 v42, vcc_lo, s3, v77, vcc_lo
	v_add_co_u32 v33, vcc_lo, v76, s6
	v_add_co_ci_u32_e32 v34, vcc_lo, s7, v77, vcc_lo
	v_add_co_u32 v35, vcc_lo, v76, s10
	v_add_co_ci_u32_e32 v36, vcc_lo, s11, v77, vcc_lo
	v_add_co_u32 v37, vcc_lo, v76, s20
	v_add_co_ci_u32_e32 v38, vcc_lo, s21, v77, vcc_lo
	v_add_co_u32 v39, vcc_lo, v76, s8
	v_add_co_ci_u32_e32 v40, vcc_lo, s9, v77, vcc_lo
	v_add_co_u32 v5, vcc_lo, v76, s22
	s_lshl_b64 s[2:3], s[24:25], 1
	v_add_co_ci_u32_e32 v6, vcc_lo, s23, v77, vcc_lo
	s_mul_hi_i32 s7, s13, s5
	s_mul_i32 s6, s13, s5
	v_add_co_u32 v17, vcc_lo, v76, s2
	v_add_co_ci_u32_e32 v18, vcc_lo, s3, v77, vcc_lo
	s_lshl_b64 s[2:3], s[6:7], 1
	s_mul_hi_i32 s7, s15, s5
	s_mul_i32 s6, s15, s5
	v_add_co_u32 v19, vcc_lo, v76, s2
	v_add_co_ci_u32_e32 v20, vcc_lo, s3, v77, vcc_lo
	s_lshl_b64 s[2:3], s[6:7], 1
	s_clause 0x1
	global_load_b128 v[65:68], v[41:42], off
	global_load_b128 v[69:72], v[41:42], off offset:16
	v_add_co_u32 v21, vcc_lo, v76, s2
	v_add_co_ci_u32_e32 v22, vcc_lo, s3, v77, vcc_lo
	s_clause 0xf
	global_load_b128 v[57:60], v[33:34], off
	global_load_b128 v[61:64], v[33:34], off offset:16
	global_load_b128 v[49:52], v[35:36], off
	global_load_b128 v[53:56], v[35:36], off offset:16
	;; [unrolled: 2-line block ×8, first 2 shown]
	v_mbcnt_lo_u32_b32 v77, -1, 0
	s_waitcnt vmcnt(0)
	s_barrier
	buffer_gl0_inv
	v_xor_b32_e32 v78, 16, v77
	s_delay_alu instid0(VALU_DEP_1) | instskip(SKIP_1) | instid1(VALU_DEP_1)
	v_cmp_gt_i32_e32 vcc_lo, 32, v78
	v_dual_cndmask_b32 v77, v77, v78 :: v_dual_and_b32 v76, 0xe0, v0
	v_add_nc_u32_e32 v76, s12, v76
	s_delay_alu instid0(VALU_DEP_1) | instskip(NEXT) | instid1(VALU_DEP_1)
	v_or_b32_e32 v76, v76, v83
	v_or_b32_e32 v78, 2, v76
	;; [unrolled: 1-line block ×4, first 2 shown]
	v_cmp_gt_i32_e32 vcc_lo, s17, v76
	v_or_b32_e32 v86, 8, v76
	v_cmp_gt_i32_e64 s2, s17, v78
	v_or_b32_e32 v87, 10, v76
	v_or_b32_e32 v88, 12, v76
	;; [unrolled: 1-line block ×11, first 2 shown]
	v_cndmask_b32_e32 v76, 0xff7fffff, v97, vcc_lo
	v_cmp_gt_i32_e64 s3, s17, v80
	v_mul_f32_e32 v80, s18, v119
	v_cndmask_b32_e64 v78, 0xff7fffff, v99, s2
	v_mul_f32_e32 v99, s18, v120
	v_cmp_gt_i32_e64 s4, s17, v79
	v_mul_f32_e32 v97, s18, v123
	v_mul_f32_e32 v79, s18, v122
	v_max3_f32 v76, v76, 0xff7fffff, v78
	v_mul_f32_e32 v78, s18, v121
	v_cndmask_b32_e64 v80, 0xff7fffff, v80, s4
	v_cmp_gt_i32_e64 s5, s17, v86
	v_cmp_gt_i32_e64 s6, s17, v87
	v_mul_f32_e32 v86, s18, v107
	v_cndmask_b32_e64 v99, 0xff7fffff, v99, s3
	v_cmp_gt_i32_e64 s7, s17, v89
	v_cndmask_b32_e64 v78, 0xff7fffff, v78, s5
	v_cmp_gt_i32_e64 s8, s17, v88
	v_mul_f32_e32 v89, s18, v101
	v_max3_f32 v76, v76, v80, v99
	v_mul_f32_e32 v80, s18, v108
	v_cndmask_b32_e64 v79, 0xff7fffff, v79, s6
	v_dual_mul_f32 v99, s18, v105 :: v_dual_mul_f32 v88, s18, v102
	v_cndmask_b32_e64 v97, 0xff7fffff, v97, s8
	v_cndmask_b32_e64 v100, 0xff7fffff, v100, s7
	s_delay_alu instid0(VALU_DEP_4) | instskip(SKIP_4) | instid1(VALU_DEP_4)
	v_max3_f32 v76, v76, v78, v79
	v_cmp_gt_i32_e64 s9, s17, v90
	v_cmp_gt_i32_e64 s10, s17, v91
	v_dual_mul_f32 v87, s18, v106 :: v_dual_mul_f32 v78, s18, v104
	v_mul_f32_e32 v79, s18, v103
	v_cndmask_b32_e64 v89, 0xff7fffff, v89, s9
	s_delay_alu instid0(VALU_DEP_4)
	v_cndmask_b32_e64 v88, 0xff7fffff, v88, s10
	v_max3_f32 v76, v76, v97, v100
	v_cmp_gt_i32_e64 s11, s17, v92
	v_cmp_gt_i32_e64 s12, s17, v93
	;; [unrolled: 1-line block ×4, first 2 shown]
	v_max3_f32 v76, v76, v89, v88
	v_cndmask_b32_e64 v79, 0xff7fffff, v79, s11
	v_cndmask_b32_e64 v78, 0xff7fffff, v78, s12
	;; [unrolled: 1-line block ×4, first 2 shown]
	v_cmp_gt_i32_e64 s16, s17, v96
	v_cmp_gt_i32_e64 s17, s17, v98
	v_max3_f32 v76, v76, v79, v78
	v_lshlrev_b32_e32 v99, 2, v77
	s_delay_alu instid0(VALU_DEP_4) | instskip(NEXT) | instid1(VALU_DEP_4)
	v_cndmask_b32_e64 v78, 0xff7fffff, v86, s16
	v_cndmask_b32_e64 v79, 0xff7fffff, v80, s17
	s_delay_alu instid0(VALU_DEP_4) | instskip(NEXT) | instid1(VALU_DEP_1)
	v_max3_f32 v76, v76, v88, v87
	v_max3_f32 v76, v76, v78, v79
	ds_bpermute_b32 v77, v99, v76
	s_waitcnt lgkmcnt(0)
	v_max_f32_e32 v77, v77, v77
	s_delay_alu instid0(VALU_DEP_1) | instskip(NEXT) | instid1(VALU_DEP_1)
	v_max_f32_e32 v76, v76, v77
	v_fma_f32 v78, s18, v118, -v76
	v_fma_f32 v77, s18, v117, -v76
	;; [unrolled: 1-line block ×5, first 2 shown]
	v_mul_f32_e32 v78, 0x3fb8aa3b, v78
	v_fma_f32 v87, s18, v123, -v76
	v_fma_f32 v88, s18, v105, -v76
	v_mul_f32_e32 v80, 0x3fb8aa3b, v80
	v_mul_f32_e32 v86, 0x3fb8aa3b, v86
	v_exp_f32_e32 v78, v78
	v_fma_f32 v90, s18, v107, -v76
	v_fma_f32 v100, s18, v108, -v76
	v_exp_f32_e32 v80, v80
	v_exp_f32_e32 v86, v86
	v_mul_f32_e32 v88, 0x3fb8aa3b, v88
	s_delay_alu instid0(VALU_DEP_2) | instskip(NEXT) | instid1(TRANS32_DEP_3)
	v_mul_f32_e32 v100, 0x3fb8aa3b, v100
	v_cndmask_b32_e64 v91, 0, v78, s2
	v_mul_f32_e32 v77, 0x3fb8aa3b, v77
	s_delay_alu instid0(VALU_DEP_4) | instskip(NEXT) | instid1(TRANS32_DEP_3)
	v_exp_f32_e32 v88, v88
	v_cndmask_b32_e64 v95, 0, v80, s3
	v_fma_f32 v80, s18, v101, -v76
	s_delay_alu instid0(TRANS32_DEP_2)
	v_cndmask_b32_e64 v96, 0, v86, s5
	v_exp_f32_e32 v77, v77
	v_mul_f32_e32 v79, 0x3fb8aa3b, v79
	v_fma_f32 v86, s18, v102, -v76
	v_mul_f32_e32 v80, 0x3fb8aa3b, v80
	v_cmp_gt_u32_e64 s2, 16, v75
	v_exp_f32_e32 v100, v100
	s_delay_alu instid0(VALU_DEP_2) | instskip(NEXT) | instid1(TRANS32_DEP_3)
	v_exp_f32_e32 v80, v80
	v_cndmask_b32_e32 v92, 0, v77, vcc_lo
	v_exp_f32_e32 v79, v79
	v_fma_f32 v77, s18, v122, -v76
	s_delay_alu instid0(VALU_DEP_2) | instskip(NEXT) | instid1(VALU_DEP_1)
	v_add_f32_e32 v78, 0, v92
	v_add_f32_e32 v78, v78, v91
	s_waitcnt_depctr 0xfff
	v_cndmask_b32_e64 v93, 0, v79, s4
	v_mul_f32_e32 v87, 0x3fb8aa3b, v87
	v_fma_f32 v79, s18, v124, -v76
	s_delay_alu instid0(VALU_DEP_3) | instskip(SKIP_1) | instid1(VALU_DEP_3)
	v_add_f32_e32 v78, v78, v93
	v_mul_f32_e32 v77, 0x3fb8aa3b, v77
	v_mul_f32_e32 v79, 0x3fb8aa3b, v79
	v_exp_f32_e32 v87, v87
	s_delay_alu instid0(VALU_DEP_3) | instskip(NEXT) | instid1(VALU_DEP_3)
	v_add_f32_e32 v78, v78, v95
	v_exp_f32_e32 v77, v77
	s_delay_alu instid0(VALU_DEP_2) | instskip(NEXT) | instid1(TRANS32_DEP_3)
	v_exp_f32_e32 v79, v79
	v_cndmask_b32_e64 v94, 0, v87, s8
	v_fma_f32 v87, s18, v104, -v76
	s_waitcnt_depctr 0xfff
	v_cndmask_b32_e64 v97, 0, v77, s6
	v_add_f32_e32 v77, v78, v96
	v_fma_f32 v78, s18, v103, -v76
	v_mul_f32_e32 v86, 0x3fb8aa3b, v86
	v_cndmask_b32_e64 v98, 0, v79, s7
	v_mul_f32_e32 v87, 0x3fb8aa3b, v87
	s_delay_alu instid0(VALU_DEP_4) | instskip(NEXT) | instid1(VALU_DEP_4)
	v_dual_add_f32 v77, v77, v97 :: v_dual_mul_f32 v78, 0x3fb8aa3b, v78
	v_exp_f32_e32 v86, v86
	s_delay_alu instid0(VALU_DEP_2) | instskip(NEXT) | instid1(VALU_DEP_1)
	v_exp_f32_e32 v87, v87
	v_add_f32_e32 v79, v77, v94
	s_delay_alu instid0(VALU_DEP_2) | instskip(SKIP_2) | instid1(VALU_DEP_3)
	v_exp_f32_e32 v89, v78
	v_cndmask_b32_e64 v77, 0, v80, s9
	v_fma_f32 v80, s18, v106, -v76
	v_add_f32_e32 v79, v79, v98
	s_delay_alu instid0(TRANS32_DEP_3) | instskip(NEXT) | instid1(VALU_DEP_3)
	v_cndmask_b32_e64 v78, 0, v86, s10
	v_mul_f32_e32 v80, 0x3fb8aa3b, v80
	s_delay_alu instid0(VALU_DEP_3) | instskip(NEXT) | instid1(TRANS32_DEP_1)
	v_add_f32_e32 v86, v79, v77
	v_cndmask_b32_e64 v79, 0, v89, s11
	v_mul_f32_e32 v89, 0x3fb8aa3b, v90
	s_delay_alu instid0(VALU_DEP_4) | instskip(SKIP_2) | instid1(VALU_DEP_3)
	v_exp_f32_e32 v90, v80
	v_cndmask_b32_e64 v80, 0, v87, s12
	v_add_f32_e32 v86, v86, v78
	v_exp_f32_e32 v89, v89
	s_delay_alu instid0(VALU_DEP_1) | instskip(SKIP_1) | instid1(VALU_DEP_2)
	v_add_f32_e32 v87, v86, v79
	v_cndmask_b32_e64 v86, 0, v88, s13
	v_add_f32_e32 v88, v87, v80
	s_delay_alu instid0(TRANS32_DEP_2) | instskip(NEXT) | instid1(VALU_DEP_2)
	v_cndmask_b32_e64 v87, 0, v90, s15
	v_add_f32_e32 v90, v88, v86
	s_waitcnt_depctr 0xfff
	v_cndmask_b32_e64 v88, 0, v89, s16
	v_add_f32_e32 v89, v90, v87
	s_delay_alu instid0(VALU_DEP_1) | instskip(SKIP_1) | instid1(VALU_DEP_1)
	v_add_f32_e32 v90, v89, v88
	v_cndmask_b32_e64 v89, 0, v100, s17
	v_add_f32_e32 v90, v90, v89
	ds_bpermute_b32 v99, v99, v90
	s_and_saveexec_b32 s3, s2
	s_cbranch_execz .LBB718_14
; %bb.13:
	v_mul_u32_u24_e32 v75, 0x44, v74
	s_waitcnt lgkmcnt(0)
	v_add_f32_e32 v90, v90, v99
	s_delay_alu instid0(VALU_DEP_2) | instskip(NEXT) | instid1(VALU_DEP_1)
	v_lshl_add_u32 v75, v73, 2, v75
	v_add_nc_u32_e32 v75, 0x4000, v75
	ds_store_2addr_b32 v75, v76, v90 offset1:136
.LBB718_14:
	s_or_b32 exec_lo, exec_lo, s3
	v_lshlrev_b32_e32 v75, 2, v73
	s_waitcnt lgkmcnt(0)
	s_barrier
	buffer_gl0_inv
	v_cmp_eq_u32_e64 s3, 1, v74
	v_add_nc_u32_e32 v90, 0x4000, v75
	ds_load_2addr_b32 v[99:100], v90 offset1:17
	ds_load_2addr_b32 v[101:102], v90 offset0:34 offset1:51
	ds_load_2addr_b32 v[103:104], v90 offset0:68 offset1:85
	;; [unrolled: 1-line block ×4, first 2 shown]
	s_waitcnt lgkmcnt(4)
	v_max3_f32 v75, v99, 0xff7fffff, v100
	s_waitcnt lgkmcnt(3)
	s_delay_alu instid0(VALU_DEP_1) | instskip(SKIP_1) | instid1(VALU_DEP_1)
	v_max3_f32 v75, v75, v101, v102
	s_waitcnt lgkmcnt(2)
	v_max3_f32 v75, v75, v103, v104
	s_waitcnt lgkmcnt(1)
	s_delay_alu instid0(VALU_DEP_1) | instskip(NEXT) | instid1(VALU_DEP_1)
	v_max3_f32 v75, v75, v105, v106
	v_sub_f32_e32 v109, v100, v75
	v_sub_f32_e32 v76, v99, v75
	ds_load_2addr_b32 v[99:100], v90 offset0:170 offset1:187
	v_sub_f32_e32 v101, v101, v75
	v_dual_mul_f32 v109, 0x3fb8aa3b, v109 :: v_dual_mul_f32 v76, 0x3fb8aa3b, v76
	s_delay_alu instid0(VALU_DEP_2) | instskip(NEXT) | instid1(VALU_DEP_2)
	v_mul_f32_e32 v111, 0x3fb8aa3b, v101
	v_exp_f32_e32 v109, v109
	s_delay_alu instid0(VALU_DEP_2)
	v_exp_f32_e32 v110, v76
	v_sub_f32_e32 v76, v102, v75
	ds_load_2addr_b32 v[101:102], v90 offset0:204 offset1:221
	v_exp_f32_e32 v111, v111
	v_mul_f32_e32 v112, 0x3fb8aa3b, v76
	s_waitcnt lgkmcnt(2)
	v_fma_f32 v76, v110, v107, 0
	v_sub_f32_e32 v103, v103, v75
	s_delay_alu instid0(VALU_DEP_3) | instskip(NEXT) | instid1(VALU_DEP_2)
	v_exp_f32_e32 v112, v112
	v_dual_sub_f32 v107, v104, v75 :: v_dual_fmac_f32 v76, v109, v108
	s_waitcnt lgkmcnt(1)
	s_waitcnt_depctr 0xfff
	v_fmac_f32_e32 v76, v111, v99
	v_mul_f32_e32 v113, 0x3fb8aa3b, v103
	ds_load_2addr_b32 v[103:104], v90 offset0:238 offset1:255
	v_sub_f32_e32 v90, v105, v75
	v_dual_sub_f32 v99, v106, v75 :: v_dual_fmac_f32 v76, v112, v100
	v_mul_f32_e32 v105, 0x3fb8aa3b, v107
	v_exp_f32_e32 v107, v113
	s_delay_alu instid0(VALU_DEP_2)
	v_dual_mul_f32 v90, 0x3fb8aa3b, v90 :: v_dual_mul_f32 v99, 0x3fb8aa3b, v99
	s_waitcnt lgkmcnt(0)
	s_barrier
	buffer_gl0_inv
	v_exp_f32_e32 v90, v90
	v_exp_f32_e32 v99, v99
	v_fmac_f32_e32 v76, v107, v101
	v_exp_f32_e32 v105, v105
	s_waitcnt_depctr 0xfff
	v_fmac_f32_e32 v76, v105, v102
	s_delay_alu instid0(VALU_DEP_1) | instskip(NEXT) | instid1(VALU_DEP_1)
	v_fmac_f32_e32 v76, v90, v103
	v_fmac_f32_e32 v76, v99, v104
	s_delay_alu instid0(VALU_DEP_1) | instskip(NEXT) | instid1(VALU_DEP_1)
	v_add_f32_e32 v100, 0x358637bd, v76
	v_div_scale_f32 v101, null, v100, v100, 1.0
	v_div_scale_f32 v104, vcc_lo, 1.0, v100, 1.0
	s_delay_alu instid0(VALU_DEP_2) | instskip(SKIP_2) | instid1(VALU_DEP_1)
	v_rcp_f32_e32 v102, v101
	s_waitcnt_depctr 0xfff
	v_fma_f32 v103, -v101, v102, 1.0
	v_fmac_f32_e32 v102, v103, v102
	v_cndmask_b32_e64 v103, v110, v109, s3
	v_cmp_eq_u32_e64 s3, 2, v74
	s_delay_alu instid0(VALU_DEP_3) | instskip(NEXT) | instid1(VALU_DEP_2)
	v_mul_f32_e32 v106, v104, v102
	v_cndmask_b32_e64 v103, v103, v111, s3
	v_cmp_eq_u32_e64 s3, 3, v74
	s_delay_alu instid0(VALU_DEP_3) | instskip(NEXT) | instid1(VALU_DEP_2)
	v_fma_f32 v108, -v101, v106, v104
	v_cndmask_b32_e64 v103, v103, v112, s3
	v_cmp_eq_u32_e64 s3, 4, v74
	s_delay_alu instid0(VALU_DEP_3) | instskip(NEXT) | instid1(VALU_DEP_2)
	v_fmac_f32_e32 v106, v108, v102
	v_cndmask_b32_e64 v103, v103, v107, s3
	s_delay_alu instid0(VALU_DEP_2) | instskip(SKIP_1) | instid1(VALU_DEP_2)
	v_fma_f32 v101, -v101, v106, v104
	v_cmp_eq_u32_e64 s3, 5, v74
	v_div_fmas_f32 v101, v101, v102, v106
	s_delay_alu instid0(VALU_DEP_2) | instskip(SKIP_2) | instid1(VALU_DEP_3)
	v_cndmask_b32_e64 v103, v103, v105, s3
	v_cmp_eq_u32_e32 vcc_lo, 6, v74
	s_mov_b32 s3, exec_lo
	v_div_fixup_f32 v100, v101, v100, 1.0
	s_delay_alu instid0(VALU_DEP_3) | instskip(SKIP_1) | instid1(VALU_DEP_2)
	v_cndmask_b32_e32 v90, v103, v90, vcc_lo
	v_cmp_eq_u32_e32 vcc_lo, 7, v74
	v_cndmask_b32_e32 v90, v90, v99, vcc_lo
	s_delay_alu instid0(VALU_DEP_1) | instskip(NEXT) | instid1(VALU_DEP_1)
	v_mul_f32_e32 v90, v90, v100
	v_mul_f32_e32 v100, v90, v92
	;; [unrolled: 1-line block ×6, first 2 shown]
	v_and_b32_e32 v101, 0x7f800000, v100
	v_mul_f32_e32 v99, v90, v95
	v_mul_f32_e32 v95, v90, v91
	v_mul_f32_e32 v96, v90, v93
                                        ; implicit-def: $vgpr91
	s_delay_alu instid0(VALU_DEP_4)
	v_cmpx_ne_u32_e32 0x7f800000, v101
	s_xor_b32 s3, exec_lo, s3
; %bb.15:
	v_bfe_u32 v91, v100, 16, 1
	s_delay_alu instid0(VALU_DEP_1)
	v_add3_u32 v91, v100, v91, 0x7fff
                                        ; implicit-def: $vgpr100
; %bb.16:
	s_and_not1_saveexec_b32 s3, s3
; %bb.17:
	v_and_b32_e32 v91, 0xffff, v100
	v_or_b32_e32 v93, 0x10000, v100
	s_delay_alu instid0(VALU_DEP_2) | instskip(NEXT) | instid1(VALU_DEP_2)
	v_cmp_eq_u32_e32 vcc_lo, 0, v91
	v_cndmask_b32_e32 v91, v93, v100, vcc_lo
; %bb.18:
	s_or_b32 exec_lo, exec_lo, s3
	v_and_b32_e32 v93, 0x7f800000, v95
	s_delay_alu instid0(VALU_DEP_1) | instskip(SKIP_1) | instid1(SALU_CYCLE_1)
	v_cmp_ne_u32_e32 vcc_lo, 0x7f800000, v93
                                        ; implicit-def: $vgpr93
	s_and_saveexec_b32 s3, vcc_lo
	s_xor_b32 s3, exec_lo, s3
; %bb.19:
	v_bfe_u32 v93, v95, 16, 1
	s_delay_alu instid0(VALU_DEP_1)
	v_add3_u32 v93, v95, v93, 0x7fff
                                        ; implicit-def: $vgpr95
; %bb.20:
	s_and_not1_saveexec_b32 s3, s3
; %bb.21:
	v_and_b32_e32 v93, 0xffff, v95
	v_or_b32_e32 v100, 0x10000, v95
	s_delay_alu instid0(VALU_DEP_2) | instskip(NEXT) | instid1(VALU_DEP_2)
	v_cmp_eq_u32_e32 vcc_lo, 0, v93
	v_cndmask_b32_e32 v93, v100, v95, vcc_lo
; %bb.22:
	s_or_b32 exec_lo, exec_lo, s3
	v_and_b32_e32 v95, 0x7f800000, v96
	s_delay_alu instid0(VALU_DEP_1) | instskip(SKIP_1) | instid1(SALU_CYCLE_1)
	v_cmp_ne_u32_e32 vcc_lo, 0x7f800000, v95
                                        ; implicit-def: $vgpr95
	s_and_saveexec_b32 s3, vcc_lo
	s_xor_b32 s3, exec_lo, s3
; %bb.23:
	v_bfe_u32 v95, v96, 16, 1
	s_delay_alu instid0(VALU_DEP_1)
	v_add3_u32 v95, v96, v95, 0x7fff
                                        ; implicit-def: $vgpr96
; %bb.24:
	s_and_not1_saveexec_b32 s3, s3
; %bb.25:
	v_and_b32_e32 v95, 0xffff, v96
	v_or_b32_e32 v100, 0x10000, v96
	s_delay_alu instid0(VALU_DEP_2) | instskip(NEXT) | instid1(VALU_DEP_2)
	v_cmp_eq_u32_e32 vcc_lo, 0, v95
	v_cndmask_b32_e32 v95, v100, v96, vcc_lo
; %bb.26:
	s_or_b32 exec_lo, exec_lo, s3
	v_and_b32_e32 v96, 0x7f800000, v99
	s_delay_alu instid0(VALU_DEP_1) | instskip(SKIP_1) | instid1(SALU_CYCLE_1)
	v_cmp_ne_u32_e32 vcc_lo, 0x7f800000, v96
                                        ; implicit-def: $vgpr96
	s_and_saveexec_b32 s3, vcc_lo
	s_xor_b32 s3, exec_lo, s3
; %bb.27:
	v_bfe_u32 v96, v99, 16, 1
	s_delay_alu instid0(VALU_DEP_1)
	v_add3_u32 v96, v99, v96, 0x7fff
                                        ; implicit-def: $vgpr99
; %bb.28:
	s_and_not1_saveexec_b32 s3, s3
; %bb.29:
	v_and_b32_e32 v96, 0xffff, v99
	v_or_b32_e32 v100, 0x10000, v99
	s_delay_alu instid0(VALU_DEP_2) | instskip(NEXT) | instid1(VALU_DEP_2)
	v_cmp_eq_u32_e32 vcc_lo, 0, v96
	v_cndmask_b32_e32 v96, v100, v99, vcc_lo
; %bb.30:
	s_or_b32 exec_lo, exec_lo, s3
	v_and_b32_e32 v99, 0x7f800000, v98
	s_delay_alu instid0(VALU_DEP_1) | instskip(SKIP_1) | instid1(SALU_CYCLE_1)
	v_cmp_ne_u32_e32 vcc_lo, 0x7f800000, v99
                                        ; implicit-def: $vgpr99
	s_and_saveexec_b32 s3, vcc_lo
	s_xor_b32 s3, exec_lo, s3
; %bb.31:
	v_bfe_u32 v99, v98, 16, 1
	s_delay_alu instid0(VALU_DEP_1)
	v_add3_u32 v99, v98, v99, 0x7fff
                                        ; implicit-def: $vgpr98
; %bb.32:
	s_and_not1_saveexec_b32 s3, s3
; %bb.33:
	v_and_b32_e32 v99, 0xffff, v98
	v_or_b32_e32 v100, 0x10000, v98
	s_delay_alu instid0(VALU_DEP_2) | instskip(NEXT) | instid1(VALU_DEP_2)
	v_cmp_eq_u32_e32 vcc_lo, 0, v99
	v_cndmask_b32_e32 v99, v100, v98, vcc_lo
; %bb.34:
	s_or_b32 exec_lo, exec_lo, s3
	v_and_b32_e32 v98, 0x7f800000, v97
	s_delay_alu instid0(VALU_DEP_1) | instskip(SKIP_1) | instid1(SALU_CYCLE_1)
	v_cmp_ne_u32_e32 vcc_lo, 0x7f800000, v98
                                        ; implicit-def: $vgpr98
	s_and_saveexec_b32 s3, vcc_lo
	s_xor_b32 s3, exec_lo, s3
; %bb.35:
	v_bfe_u32 v98, v97, 16, 1
	s_delay_alu instid0(VALU_DEP_1)
	v_add3_u32 v98, v97, v98, 0x7fff
                                        ; implicit-def: $vgpr97
; %bb.36:
	s_and_not1_saveexec_b32 s3, s3
; %bb.37:
	v_and_b32_e32 v98, 0xffff, v97
	v_or_b32_e32 v100, 0x10000, v97
	s_delay_alu instid0(VALU_DEP_2) | instskip(NEXT) | instid1(VALU_DEP_2)
	v_cmp_eq_u32_e32 vcc_lo, 0, v98
	v_cndmask_b32_e32 v98, v100, v97, vcc_lo
; %bb.38:
	s_or_b32 exec_lo, exec_lo, s3
	v_and_b32_e32 v97, 0x7f800000, v94
	s_delay_alu instid0(VALU_DEP_1) | instskip(SKIP_1) | instid1(SALU_CYCLE_1)
	v_cmp_ne_u32_e32 vcc_lo, 0x7f800000, v97
                                        ; implicit-def: $vgpr97
	s_and_saveexec_b32 s3, vcc_lo
	s_xor_b32 s3, exec_lo, s3
; %bb.39:
	v_bfe_u32 v97, v94, 16, 1
	s_delay_alu instid0(VALU_DEP_1)
	v_add3_u32 v97, v94, v97, 0x7fff
                                        ; implicit-def: $vgpr94
; %bb.40:
	s_and_not1_saveexec_b32 s3, s3
; %bb.41:
	v_and_b32_e32 v97, 0xffff, v94
	v_or_b32_e32 v100, 0x10000, v94
	s_delay_alu instid0(VALU_DEP_2) | instskip(NEXT) | instid1(VALU_DEP_2)
	v_cmp_eq_u32_e32 vcc_lo, 0, v97
	v_cndmask_b32_e32 v97, v100, v94, vcc_lo
; %bb.42:
	s_or_b32 exec_lo, exec_lo, s3
	v_and_b32_e32 v94, 0x7f800000, v92
	s_delay_alu instid0(VALU_DEP_1) | instskip(SKIP_1) | instid1(SALU_CYCLE_1)
	v_cmp_ne_u32_e32 vcc_lo, 0x7f800000, v94
                                        ; implicit-def: $vgpr94
	s_and_saveexec_b32 s3, vcc_lo
	s_xor_b32 s3, exec_lo, s3
; %bb.43:
	v_bfe_u32 v94, v92, 16, 1
	s_delay_alu instid0(VALU_DEP_1)
	v_add3_u32 v94, v92, v94, 0x7fff
                                        ; implicit-def: $vgpr92
; %bb.44:
	s_and_not1_saveexec_b32 s3, s3
; %bb.45:
	v_and_b32_e32 v94, 0xffff, v92
	v_or_b32_e32 v100, 0x10000, v92
	s_delay_alu instid0(VALU_DEP_2) | instskip(NEXT) | instid1(VALU_DEP_2)
	v_cmp_eq_u32_e32 vcc_lo, 0, v94
	v_cndmask_b32_e32 v94, v100, v92, vcc_lo
; %bb.46:
	s_or_b32 exec_lo, exec_lo, s3
	s_load_b64 s[34:35], s[0:1], 0x94
	v_lshlrev_b32_e32 v92, 4, v83
	s_delay_alu instid0(VALU_DEP_2)
	v_perm_b32 v100, v94, v97, 0x7060302
	v_dual_mul_f32 v89, v90, v89 :: v_dual_lshlrev_b32 v94, 11, v74
	v_perm_b32 v97, v93, v91, 0x7060302
	v_mul_f32_e32 v93, v90, v77
	v_perm_b32 v99, v98, v99, 0x7060302
	v_perm_b32 v98, v96, v95, 0x7060302
	v_or3_b32 v77, v92, v94, v85
	v_mul_f32_e32 v88, v90, v88
	v_dual_mul_f32 v87, v90, v87 :: v_dual_and_b32 v94, 0x7f800000, v93
	v_mul_f32_e32 v86, v90, v86
	v_mul_f32_e32 v91, v90, v80
	;; [unrolled: 1-line block ×4, first 2 shown]
	s_mov_b32 s3, exec_lo
	ds_store_b128 v77, v[97:100]
                                        ; implicit-def: $vgpr78
	v_cmpx_ne_u32_e32 0x7f800000, v94
	s_xor_b32 s3, exec_lo, s3
; %bb.47:
	v_bfe_u32 v78, v93, 16, 1
	s_delay_alu instid0(VALU_DEP_1)
	v_add3_u32 v78, v93, v78, 0x7fff
                                        ; implicit-def: $vgpr93
; %bb.48:
	s_and_not1_saveexec_b32 s3, s3
; %bb.49:
	v_and_b32_e32 v78, 0xffff, v93
	v_or_b32_e32 v79, 0x10000, v93
	s_delay_alu instid0(VALU_DEP_2) | instskip(NEXT) | instid1(VALU_DEP_2)
	v_cmp_eq_u32_e32 vcc_lo, 0, v78
	v_cndmask_b32_e32 v78, v79, v93, vcc_lo
; %bb.50:
	s_or_b32 exec_lo, exec_lo, s3
	v_and_b32_e32 v79, 0x7f800000, v80
	s_delay_alu instid0(VALU_DEP_1) | instskip(SKIP_1) | instid1(SALU_CYCLE_1)
	v_cmp_ne_u32_e32 vcc_lo, 0x7f800000, v79
                                        ; implicit-def: $vgpr79
	s_and_saveexec_b32 s3, vcc_lo
	s_xor_b32 s3, exec_lo, s3
; %bb.51:
	v_bfe_u32 v79, v80, 16, 1
	s_delay_alu instid0(VALU_DEP_1)
	v_add3_u32 v79, v80, v79, 0x7fff
                                        ; implicit-def: $vgpr80
; %bb.52:
	s_and_not1_saveexec_b32 s3, s3
; %bb.53:
	v_and_b32_e32 v79, 0xffff, v80
	v_or_b32_e32 v90, 0x10000, v80
	s_delay_alu instid0(VALU_DEP_2) | instskip(NEXT) | instid1(VALU_DEP_2)
	v_cmp_eq_u32_e32 vcc_lo, 0, v79
	v_cndmask_b32_e32 v79, v90, v80, vcc_lo
; %bb.54:
	s_or_b32 exec_lo, exec_lo, s3
	v_and_b32_e32 v80, 0x7f800000, v92
	s_delay_alu instid0(VALU_DEP_1) | instskip(SKIP_1) | instid1(SALU_CYCLE_1)
	v_cmp_ne_u32_e32 vcc_lo, 0x7f800000, v80
                                        ; implicit-def: $vgpr80
	s_and_saveexec_b32 s3, vcc_lo
	s_xor_b32 s3, exec_lo, s3
; %bb.55:
	v_bfe_u32 v80, v92, 16, 1
	s_delay_alu instid0(VALU_DEP_1)
	v_add3_u32 v80, v92, v80, 0x7fff
                                        ; implicit-def: $vgpr92
; %bb.56:
	s_and_not1_saveexec_b32 s3, s3
; %bb.57:
	v_and_b32_e32 v80, 0xffff, v92
	v_or_b32_e32 v90, 0x10000, v92
	s_delay_alu instid0(VALU_DEP_2) | instskip(NEXT) | instid1(VALU_DEP_2)
	v_cmp_eq_u32_e32 vcc_lo, 0, v80
	v_cndmask_b32_e32 v80, v90, v92, vcc_lo
; %bb.58:
	s_or_b32 exec_lo, exec_lo, s3
	v_and_b32_e32 v90, 0x7f800000, v91
	s_delay_alu instid0(VALU_DEP_1) | instskip(SKIP_1) | instid1(SALU_CYCLE_1)
	v_cmp_ne_u32_e32 vcc_lo, 0x7f800000, v90
                                        ; implicit-def: $vgpr90
	s_and_saveexec_b32 s3, vcc_lo
	s_xor_b32 s3, exec_lo, s3
; %bb.59:
	v_bfe_u32 v90, v91, 16, 1
	s_delay_alu instid0(VALU_DEP_1)
	v_add3_u32 v90, v91, v90, 0x7fff
                                        ; implicit-def: $vgpr91
; %bb.60:
	s_and_not1_saveexec_b32 s3, s3
; %bb.61:
	v_and_b32_e32 v90, 0xffff, v91
	v_or_b32_e32 v92, 0x10000, v91
	s_delay_alu instid0(VALU_DEP_2) | instskip(NEXT) | instid1(VALU_DEP_2)
	v_cmp_eq_u32_e32 vcc_lo, 0, v90
	v_cndmask_b32_e32 v90, v92, v91, vcc_lo
; %bb.62:
	s_or_b32 exec_lo, exec_lo, s3
	v_and_b32_e32 v91, 0x7f800000, v86
	s_delay_alu instid0(VALU_DEP_1) | instskip(SKIP_1) | instid1(SALU_CYCLE_1)
	v_cmp_ne_u32_e32 vcc_lo, 0x7f800000, v91
                                        ; implicit-def: $vgpr91
	s_and_saveexec_b32 s3, vcc_lo
	s_xor_b32 s3, exec_lo, s3
; %bb.63:
	v_bfe_u32 v91, v86, 16, 1
	s_delay_alu instid0(VALU_DEP_1)
	v_add3_u32 v91, v86, v91, 0x7fff
                                        ; implicit-def: $vgpr86
; %bb.64:
	s_and_not1_saveexec_b32 s3, s3
; %bb.65:
	v_and_b32_e32 v91, 0xffff, v86
	v_or_b32_e32 v92, 0x10000, v86
	s_delay_alu instid0(VALU_DEP_2) | instskip(NEXT) | instid1(VALU_DEP_2)
	v_cmp_eq_u32_e32 vcc_lo, 0, v91
	v_cndmask_b32_e32 v91, v92, v86, vcc_lo
; %bb.66:
	s_or_b32 exec_lo, exec_lo, s3
	v_and_b32_e32 v86, 0x7f800000, v87
	s_delay_alu instid0(VALU_DEP_1) | instskip(SKIP_1) | instid1(SALU_CYCLE_1)
	v_cmp_ne_u32_e32 vcc_lo, 0x7f800000, v86
                                        ; implicit-def: $vgpr86
	s_and_saveexec_b32 s3, vcc_lo
	s_xor_b32 s3, exec_lo, s3
; %bb.67:
	v_bfe_u32 v86, v87, 16, 1
	s_delay_alu instid0(VALU_DEP_1)
	v_add3_u32 v86, v87, v86, 0x7fff
                                        ; implicit-def: $vgpr87
; %bb.68:
	s_and_not1_saveexec_b32 s3, s3
; %bb.69:
	v_and_b32_e32 v86, 0xffff, v87
	v_or_b32_e32 v92, 0x10000, v87
	s_delay_alu instid0(VALU_DEP_2) | instskip(NEXT) | instid1(VALU_DEP_2)
	v_cmp_eq_u32_e32 vcc_lo, 0, v86
	v_cndmask_b32_e32 v86, v92, v87, vcc_lo
; %bb.70:
	s_or_b32 exec_lo, exec_lo, s3
	v_and_b32_e32 v87, 0x7f800000, v88
	s_delay_alu instid0(VALU_DEP_1) | instskip(SKIP_1) | instid1(SALU_CYCLE_1)
	v_cmp_ne_u32_e32 vcc_lo, 0x7f800000, v87
                                        ; implicit-def: $vgpr87
	s_and_saveexec_b32 s3, vcc_lo
	s_xor_b32 s3, exec_lo, s3
; %bb.71:
	v_bfe_u32 v87, v88, 16, 1
	s_delay_alu instid0(VALU_DEP_1)
	v_add3_u32 v87, v88, v87, 0x7fff
                                        ; implicit-def: $vgpr88
; %bb.72:
	s_and_not1_saveexec_b32 s3, s3
; %bb.73:
	v_and_b32_e32 v87, 0xffff, v88
	v_or_b32_e32 v92, 0x10000, v88
	s_delay_alu instid0(VALU_DEP_2) | instskip(NEXT) | instid1(VALU_DEP_2)
	v_cmp_eq_u32_e32 vcc_lo, 0, v87
	v_cndmask_b32_e32 v87, v92, v88, vcc_lo
; %bb.74:
	s_or_b32 exec_lo, exec_lo, s3
	v_and_b32_e32 v88, 0x7f800000, v89
	s_delay_alu instid0(VALU_DEP_1) | instskip(SKIP_1) | instid1(SALU_CYCLE_1)
	v_cmp_ne_u32_e32 vcc_lo, 0x7f800000, v88
                                        ; implicit-def: $vgpr88
	s_and_saveexec_b32 s3, vcc_lo
	s_xor_b32 s3, exec_lo, s3
; %bb.75:
	v_bfe_u32 v88, v89, 16, 1
	s_delay_alu instid0(VALU_DEP_1)
	v_add3_u32 v88, v89, v88, 0x7fff
                                        ; implicit-def: $vgpr89
; %bb.76:
	s_and_not1_saveexec_b32 s3, s3
; %bb.77:
	v_and_b32_e32 v88, 0xffff, v89
	v_or_b32_e32 v92, 0x10000, v89
	s_delay_alu instid0(VALU_DEP_2) | instskip(NEXT) | instid1(VALU_DEP_2)
	v_cmp_eq_u32_e32 vcc_lo, 0, v88
	v_cndmask_b32_e32 v88, v92, v89, vcc_lo
; %bb.78:
	s_or_b32 exec_lo, exec_lo, s3
	s_delay_alu instid0(VALU_DEP_1)
	v_perm_b32 v89, v88, v87, 0x7060302
	v_perm_b32 v88, v86, v91, 0x7060302
	;; [unrolled: 1-line block ×4, first 2 shown]
	v_lshl_or_b32 v90, v74, 11, v85
	ds_store_b128 v77, v[86:89] offset:1024
	s_waitcnt lgkmcnt(0)
	s_barrier
	buffer_gl0_inv
	ds_load_b128 v[91:94], v90
	ds_load_b128 v[95:98], v90 offset:16
	v_lshlrev_b32_e32 v87, 2, v83
	s_delay_alu instid0(VALU_DEP_1)
	v_or_b32_e32 v88, 1, v87
	v_cmp_eq_u32_e32 vcc_lo, 1, v87
	v_cmp_eq_u32_e64 s4, 2, v87
	v_cmp_eq_u32_e64 s7, 3, v87
	;; [unrolled: 1-line block ×6, first 2 shown]
	v_or_b32_e32 v86, 2, v87
	v_cmp_eq_u32_e64 s10, 5, v87
	v_cmp_eq_u32_e64 s11, 4, v88
	;; [unrolled: 1-line block ×4, first 2 shown]
	s_waitcnt lgkmcnt(1)
	v_lshrrev_b32_e32 v74, 16, v91
	s_waitcnt lgkmcnt(0)
	v_lshrrev_b32_e32 v103, 16, v95
	v_lshrrev_b32_e32 v80, 16, v94
	v_lshrrev_b32_e32 v78, 16, v92
	v_lshrrev_b32_e32 v107, 16, v96
	v_cndmask_b32_e32 v89, v91, v74, vcc_lo
	v_cndmask_b32_e32 v99, v95, v103, vcc_lo
	v_cndmask_b32_e64 v100, v91, v74, s3
	v_lshrrev_b32_e32 v79, 16, v93
	v_lshrrev_b32_e32 v108, 16, v97
	v_cndmask_b32_e64 v89, v89, v92, s4
	v_cndmask_b32_e64 v99, v99, v96, s4
	;; [unrolled: 1-line block ×4, first 2 shown]
	v_cmp_eq_u32_e64 s5, 1, v86
	v_cndmask_b32_e64 v89, v89, v78, s7
	v_cndmask_b32_e64 v99, v99, v107, s7
	;; [unrolled: 1-line block ×4, first 2 shown]
	v_lshrrev_b32_e32 v109, 16, v98
	v_cndmask_b32_e64 v89, v89, v93, s9
	v_cndmask_b32_e64 v99, v99, v97, s9
	;; [unrolled: 1-line block ×8, first 2 shown]
	v_cmp_eq_u32_e64 s15, 7, v87
	v_cmp_eq_u32_e64 s16, 6, v88
	v_cndmask_b32_e64 v89, v89, v94, s12
	v_cndmask_b32_e64 v99, v99, v98, s12
	v_cmp_eq_u32_e64 s17, 2, v86
	v_cndmask_b32_e64 v101, v101, v97, s11
	v_cndmask_b32_e64 v100, v100, v94, s16
	;; [unrolled: 1-line block ×6, first 2 shown]
	v_cmp_eq_u32_e64 s18, 7, v88
	v_cmp_eq_u32_e64 s19, 3, v86
	;; [unrolled: 1-line block ×4, first 2 shown]
	v_cndmask_b32_e64 v99, v99, v96, s17
	v_cndmask_b32_e64 v112, v100, v80, s18
	v_cndmask_b32_e64 v100, v101, v108, s13
	v_cndmask_b32_e64 v101, v89, v78, s19
	v_or_b32_e32 v89, 3, v87
	v_cndmask_b32_e64 v105, v99, v107, s19
	v_cmp_eq_u32_e64 s24, 6, v86
	v_cndmask_b32_e64 v113, v100, v98, s16
	v_cndmask_b32_e64 v104, v101, v93, s20
	ds_load_b128 v[99:102], v90 offset:1024
	v_cmp_eq_u32_e64 s21, 1, v89
	v_cmp_eq_u32_e64 s23, 2, v89
	;; [unrolled: 1-line block ×3, first 2 shown]
	v_cndmask_b32_e64 v114, v104, v79, s22
	v_cmp_eq_u32_e64 s26, 4, v89
	v_cndmask_b32_e64 v74, v91, v74, s21
	v_cndmask_b32_e64 v91, v105, v97, s20
	;; [unrolled: 1-line block ×3, first 2 shown]
	ds_load_b128 v[103:106], v90 offset:1040
	v_cmp_eq_u32_e64 s28, 5, v89
	v_cndmask_b32_e64 v74, v74, v92, s23
	v_cndmask_b32_e64 v91, v91, v108, s22
	v_cndmask_b32_e64 v92, v95, v96, s23
	v_cmp_eq_u32_e64 s29, 6, v89
	v_cndmask_b32_e64 v95, v113, v109, s18
	v_cndmask_b32_e64 v74, v74, v78, s25
	v_cndmask_b32_e64 v78, v114, v94, s24
	v_cndmask_b32_e64 v92, v92, v107, s25
	v_cndmask_b32_e64 v91, v91, v98, s24
	s_waitcnt lgkmcnt(1)
	v_lshrrev_b32_e32 v96, 16, v99
	v_cndmask_b32_e64 v74, v74, v93, s26
	v_lshrrev_b32_e32 v107, 16, v100
	v_cndmask_b32_e64 v92, v92, v97, s26
	v_cmp_eq_u32_e64 s27, 7, v86
	v_cndmask_b32_e32 v93, v99, v96, vcc_lo
	v_cndmask_b32_e64 v74, v74, v79, s28
	s_delay_alu instid0(VALU_DEP_4)
	v_cndmask_b32_e64 v79, v92, v108, s28
	s_waitcnt lgkmcnt(0)
	v_lshrrev_b32_e32 v97, 16, v103
	v_cndmask_b32_e64 v92, v93, v100, s4
	v_cndmask_b32_e64 v93, v99, v96, s3
	v_cndmask_b32_e64 v74, v74, v94, s29
	v_cndmask_b32_e64 v79, v79, v98, s29
	v_cndmask_b32_e32 v108, v103, v97, vcc_lo
	v_cndmask_b32_e64 v92, v92, v107, s7
	v_cndmask_b32_e64 v93, v93, v100, s6
	v_lshrrev_b32_e32 v98, 16, v104
	v_cmp_eq_u32_e32 vcc_lo, 7, v89
	v_cndmask_b32_e64 v94, v108, v104, s4
	v_cndmask_b32_e64 v92, v92, v101, s9
	v_lshrrev_b32_e32 v108, 16, v101
	v_cndmask_b32_e64 v93, v93, v107, s8
	v_cndmask_b32_e32 v74, v74, v80, vcc_lo
	v_cndmask_b32_e64 v94, v94, v98, s7
	v_cndmask_b32_e32 v79, v79, v109, vcc_lo
	v_cndmask_b32_e64 v92, v92, v108, s10
	v_cndmask_b32_e64 v78, v78, v80, s27
	;; [unrolled: 1-line block ×4, first 2 shown]
	v_perm_b32 v94, v79, v74, 0x5040100
	v_cndmask_b32_e64 v79, v92, v102, s12
	v_perm_b32 v92, v95, v112, 0x5040100
	v_cndmask_b32_e64 v95, v99, v96, s5
	v_cndmask_b32_e64 v96, v99, v96, s21
	;; [unrolled: 1-line block ×16, first 2 shown]
	v_lshrrev_b32_e32 v109, 16, v105
	v_cndmask_b32_e64 v95, v95, v101, s20
	v_cndmask_b32_e64 v96, v96, v101, s26
	;; [unrolled: 1-line block ×6, first 2 shown]
	v_lshrrev_b32_e32 v80, 16, v102
	v_cndmask_b32_e64 v113, v93, v109, s10
	v_cndmask_b32_e64 v95, v95, v108, s22
	;; [unrolled: 1-line block ×6, first 2 shown]
	v_perm_b32 v93, v91, v78, 0x5040100
	v_cndmask_b32_e64 v74, v74, v102, s16
	v_cndmask_b32_e64 v78, v79, v80, s15
	;; [unrolled: 1-line block ×3, first 2 shown]
	v_lshrrev_b32_e32 v91, 16, v106
	v_cndmask_b32_e64 v95, v95, v102, s24
	v_cndmask_b32_e64 v96, v96, v102, s29
	;; [unrolled: 1-line block ×7, first 2 shown]
	v_cndmask_b32_e32 v80, v96, v80, vcc_lo
	v_cndmask_b32_e32 v96, v98, v91, vcc_lo
	v_cndmask_b32_e64 v99, v99, v91, s27
	v_cndmask_b32_e64 v100, v97, v91, s18
	;; [unrolled: 1-line block ×3, first 2 shown]
	v_perm_b32 v91, v111, v110, 0x5040100
	v_perm_b32 v98, v96, v80, 0x5040100
	;; [unrolled: 1-line block ×5, first 2 shown]
	s_mul_i32 s8, s35, 9
	s_mov_b32 s3, exec_lo
	ds_store_b128 v77, v[91:94]
	ds_store_b128 v77, v[95:98] offset:1024
	v_cmpx_gt_u32_e32 9, v0
	s_cbranch_execz .LBB718_80
; %bb.79:
	s_mul_i32 s4, s8, s30
	s_delay_alu instid0(SALU_CYCLE_1) | instskip(SKIP_1) | instid1(VALU_DEP_1)
	v_add3_u32 v77, s4, s31, v73
	s_load_b128 s[4:7], s[0:1], 0x58
	v_mad_u64_u32 v[73:74], null, v77, s34, s[14:15]
	s_delay_alu instid0(VALU_DEP_1) | instskip(NEXT) | instid1(VALU_DEP_1)
	v_ashrrev_i32_e32 v74, 31, v73
	v_lshlrev_b64 v[73:74], 2, v[73:74]
	s_waitcnt lgkmcnt(0)
	s_delay_alu instid0(VALU_DEP_1) | instskip(NEXT) | instid1(VALU_DEP_2)
	v_add_co_u32 v77, vcc_lo, s6, v73
	v_add_co_ci_u32_e32 v78, vcc_lo, s7, v74, vcc_lo
	v_add_co_u32 v73, vcc_lo, s4, v73
	v_add_co_ci_u32_e32 v74, vcc_lo, s5, v74, vcc_lo
	global_store_b32 v[77:78], v75, off
	global_store_b32 v[73:74], v76, off
.LBB718_80:
	s_or_b32 exec_lo, exec_lo, s3
	s_waitcnt lgkmcnt(0)
	s_waitcnt_vscnt null, 0x0
	s_barrier
	buffer_gl0_inv
	ds_load_b128 v[91:94], v85
	ds_load_b128 v[95:98], v85 offset:16
	ds_load_b128 v[103:106], v85 offset:1040
	;; [unrolled: 1-line block ×3, first 2 shown]
	v_mov_b32_e32 v73, 0
	ds_load_b128 v[111:114], v85 offset:2064
	ds_load_b128 v[107:110], v85 offset:2048
	;; [unrolled: 1-line block ×6, first 2 shown]
	v_mov_b32_e32 v74, v73
	v_mov_b32_e32 v75, v73
	;; [unrolled: 1-line block ×7, first 2 shown]
	s_waitcnt lgkmcnt(8)
	s_delay_alu instid0(VALU_DEP_1)
	v_wmma_f32_16x16x16_bf16 v[73:80], v[65:72], v[91:98], v[73:80]
	ds_load_b128 v[69:72], v85 offset:5136
	ds_load_b128 v[65:68], v85 offset:5120
	;; [unrolled: 1-line block ×4, first 2 shown]
	s_waitcnt lgkmcnt(10)
	v_wmma_f32_16x16x16_bf16 v[73:80], v[57:64], v[99:106], v[73:80]
	s_waitcnt lgkmcnt(8)
	s_delay_alu instid0(VALU_DEP_1)
	v_wmma_f32_16x16x16_bf16 v[73:80], v[57:64], v[107:114], v[73:80]
	ds_load_b128 v[61:64], v85 offset:7184
	ds_load_b128 v[57:60], v85 offset:7168
	;; [unrolled: 1-line block ×4, first 2 shown]
	s_waitcnt lgkmcnt(10)
	v_wmma_f32_16x16x16_bf16 v[73:80], v[49:56], v[115:122], v[73:80]
	s_waitcnt lgkmcnt(8)
	s_delay_alu instid0(VALU_DEP_1)
	v_wmma_f32_16x16x16_bf16 v[73:80], v[49:56], v[123:130], v[73:80]
	ds_load_b128 v[53:56], v85 offset:9232
	ds_load_b128 v[49:52], v85 offset:9216
	s_waitcnt lgkmcnt(8)
	v_wmma_f32_16x16x16_bf16 v[73:80], v[41:48], v[65:72], v[73:80]
	ds_load_b128 v[69:72], v85 offset:10256
	ds_load_b128 v[65:68], v85 offset:10240
	s_waitcnt lgkmcnt(8)
	;; [unrolled: 4-line block ×3, first 2 shown]
	v_wmma_f32_16x16x16_bf16 v[73:80], v[9:16], v[57:64], v[73:80]
	s_waitcnt lgkmcnt(6)
	s_delay_alu instid0(VALU_DEP_1)
	v_wmma_f32_16x16x16_bf16 v[73:80], v[9:16], v[99:106], v[73:80]
	ds_load_b128 v[13:16], v85 offset:12304
	ds_load_b128 v[9:12], v85 offset:12288
	s_waitcnt lgkmcnt(6)
	v_wmma_f32_16x16x16_bf16 v[73:80], v[1:8], v[49:56], v[73:80]
	ds_load_b128 v[53:56], v85 offset:13328
	ds_load_b128 v[49:52], v85 offset:13312
	s_waitcnt lgkmcnt(6)
	;; [unrolled: 4-line block ×4, first 2 shown]
	v_wmma_f32_16x16x16_bf16 v[73:80], v[33:40], v[9:16], v[73:80]
	s_waitcnt lgkmcnt(4)
	s_delay_alu instid0(VALU_DEP_1) | instskip(SKIP_1) | instid1(VALU_DEP_1)
	v_wmma_f32_16x16x16_bf16 v[73:80], v[25:32], v[49:56], v[73:80]
	s_waitcnt lgkmcnt(2)
	v_wmma_f32_16x16x16_bf16 v[73:80], v[25:32], v[1:8], v[73:80]
	s_waitcnt lgkmcnt(0)
	s_delay_alu instid0(VALU_DEP_1) | instskip(NEXT) | instid1(VALU_DEP_1)
	v_wmma_f32_16x16x16_bf16 v[73:80], v[17:24], v[41:48], v[73:80]
	v_and_b32_e32 v1, 0x7f800000, v73
	s_delay_alu instid0(VALU_DEP_1) | instskip(SKIP_1) | instid1(SALU_CYCLE_1)
	v_cmp_ne_u32_e32 vcc_lo, 0x7f800000, v1
                                        ; implicit-def: $vgpr1
	s_and_saveexec_b32 s3, vcc_lo
	s_xor_b32 s3, exec_lo, s3
; %bb.81:
	v_bfe_u32 v1, v73, 16, 1
	s_delay_alu instid0(VALU_DEP_1)
	v_add3_u32 v1, v73, v1, 0x7fff
; %bb.82:
	s_and_not1_saveexec_b32 s3, s3
; %bb.83:
	v_and_b32_e32 v1, 0xffff, v73
	v_or_b32_e32 v2, 0x10000, v73
	s_delay_alu instid0(VALU_DEP_2) | instskip(NEXT) | instid1(VALU_DEP_2)
	v_cmp_eq_u32_e32 vcc_lo, 0, v1
	v_cndmask_b32_e32 v1, v2, v73, vcc_lo
; %bb.84:
	s_or_b32 exec_lo, exec_lo, s3
	v_and_b32_e32 v2, 0x7f800000, v74
	s_delay_alu instid0(VALU_DEP_1) | instskip(SKIP_1) | instid1(SALU_CYCLE_1)
	v_cmp_ne_u32_e32 vcc_lo, 0x7f800000, v2
                                        ; implicit-def: $vgpr2
	s_and_saveexec_b32 s3, vcc_lo
	s_xor_b32 s3, exec_lo, s3
; %bb.85:
	v_bfe_u32 v2, v74, 16, 1
	s_delay_alu instid0(VALU_DEP_1)
	v_add3_u32 v2, v74, v2, 0x7fff
; %bb.86:
	s_and_not1_saveexec_b32 s3, s3
; %bb.87:
	v_and_b32_e32 v2, 0xffff, v74
	v_or_b32_e32 v3, 0x10000, v74
	s_delay_alu instid0(VALU_DEP_2) | instskip(NEXT) | instid1(VALU_DEP_2)
	v_cmp_eq_u32_e32 vcc_lo, 0, v2
	v_cndmask_b32_e32 v2, v3, v74, vcc_lo
; %bb.88:
	s_or_b32 exec_lo, exec_lo, s3
	v_and_b32_e32 v3, 0x7f800000, v75
	s_delay_alu instid0(VALU_DEP_1) | instskip(SKIP_1) | instid1(SALU_CYCLE_1)
	v_cmp_ne_u32_e32 vcc_lo, 0x7f800000, v3
                                        ; implicit-def: $vgpr3
	s_and_saveexec_b32 s3, vcc_lo
	s_xor_b32 s3, exec_lo, s3
; %bb.89:
	v_bfe_u32 v3, v75, 16, 1
	s_delay_alu instid0(VALU_DEP_1)
	v_add3_u32 v3, v75, v3, 0x7fff
; %bb.90:
	s_and_not1_saveexec_b32 s3, s3
; %bb.91:
	v_and_b32_e32 v3, 0xffff, v75
	v_or_b32_e32 v4, 0x10000, v75
	s_delay_alu instid0(VALU_DEP_2) | instskip(NEXT) | instid1(VALU_DEP_2)
	v_cmp_eq_u32_e32 vcc_lo, 0, v3
	v_cndmask_b32_e32 v3, v4, v75, vcc_lo
; %bb.92:
	s_or_b32 exec_lo, exec_lo, s3
	v_and_b32_e32 v4, 0x7f800000, v76
	s_delay_alu instid0(VALU_DEP_1) | instskip(SKIP_1) | instid1(SALU_CYCLE_1)
	v_cmp_ne_u32_e32 vcc_lo, 0x7f800000, v4
                                        ; implicit-def: $vgpr4
	s_and_saveexec_b32 s3, vcc_lo
	s_xor_b32 s3, exec_lo, s3
; %bb.93:
	v_bfe_u32 v4, v76, 16, 1
	s_delay_alu instid0(VALU_DEP_1)
	v_add3_u32 v4, v76, v4, 0x7fff
; %bb.94:
	s_and_not1_saveexec_b32 s3, s3
; %bb.95:
	v_and_b32_e32 v4, 0xffff, v76
	v_or_b32_e32 v5, 0x10000, v76
	s_delay_alu instid0(VALU_DEP_2) | instskip(NEXT) | instid1(VALU_DEP_2)
	v_cmp_eq_u32_e32 vcc_lo, 0, v4
	v_cndmask_b32_e32 v4, v5, v76, vcc_lo
; %bb.96:
	s_or_b32 exec_lo, exec_lo, s3
	v_and_b32_e32 v5, 0x7f800000, v77
	s_delay_alu instid0(VALU_DEP_1) | instskip(SKIP_1) | instid1(SALU_CYCLE_1)
	v_cmp_ne_u32_e32 vcc_lo, 0x7f800000, v5
                                        ; implicit-def: $vgpr5
	s_and_saveexec_b32 s3, vcc_lo
	s_xor_b32 s3, exec_lo, s3
; %bb.97:
	v_bfe_u32 v5, v77, 16, 1
	s_delay_alu instid0(VALU_DEP_1)
	v_add3_u32 v5, v77, v5, 0x7fff
; %bb.98:
	s_and_not1_saveexec_b32 s3, s3
; %bb.99:
	v_and_b32_e32 v5, 0xffff, v77
	v_or_b32_e32 v6, 0x10000, v77
	s_delay_alu instid0(VALU_DEP_2) | instskip(NEXT) | instid1(VALU_DEP_2)
	v_cmp_eq_u32_e32 vcc_lo, 0, v5
	v_cndmask_b32_e32 v5, v6, v77, vcc_lo
; %bb.100:
	s_or_b32 exec_lo, exec_lo, s3
	v_and_b32_e32 v6, 0x7f800000, v78
	s_delay_alu instid0(VALU_DEP_1) | instskip(SKIP_1) | instid1(SALU_CYCLE_1)
	v_cmp_ne_u32_e32 vcc_lo, 0x7f800000, v6
                                        ; implicit-def: $vgpr6
	s_and_saveexec_b32 s3, vcc_lo
	s_xor_b32 s3, exec_lo, s3
; %bb.101:
	v_bfe_u32 v6, v78, 16, 1
	s_delay_alu instid0(VALU_DEP_1)
	v_add3_u32 v6, v78, v6, 0x7fff
; %bb.102:
	s_and_not1_saveexec_b32 s3, s3
; %bb.103:
	v_and_b32_e32 v6, 0xffff, v78
	v_or_b32_e32 v7, 0x10000, v78
	s_delay_alu instid0(VALU_DEP_2) | instskip(NEXT) | instid1(VALU_DEP_2)
	v_cmp_eq_u32_e32 vcc_lo, 0, v6
	v_cndmask_b32_e32 v6, v7, v78, vcc_lo
; %bb.104:
	s_or_b32 exec_lo, exec_lo, s3
	v_and_b32_e32 v7, 0x7f800000, v79
	s_delay_alu instid0(VALU_DEP_1) | instskip(SKIP_1) | instid1(SALU_CYCLE_1)
	v_cmp_ne_u32_e32 vcc_lo, 0x7f800000, v7
                                        ; implicit-def: $vgpr7
	s_and_saveexec_b32 s3, vcc_lo
	s_xor_b32 s3, exec_lo, s3
; %bb.105:
	v_bfe_u32 v7, v79, 16, 1
	s_delay_alu instid0(VALU_DEP_1)
	v_add3_u32 v7, v79, v7, 0x7fff
; %bb.106:
	s_and_not1_saveexec_b32 s3, s3
; %bb.107:
	v_and_b32_e32 v7, 0xffff, v79
	v_or_b32_e32 v8, 0x10000, v79
	s_delay_alu instid0(VALU_DEP_2) | instskip(NEXT) | instid1(VALU_DEP_2)
	v_cmp_eq_u32_e32 vcc_lo, 0, v7
	v_cndmask_b32_e32 v7, v8, v79, vcc_lo
; %bb.108:
	s_or_b32 exec_lo, exec_lo, s3
	v_and_b32_e32 v8, 0x7f800000, v80
	s_delay_alu instid0(VALU_DEP_1) | instskip(SKIP_1) | instid1(SALU_CYCLE_1)
	v_cmp_ne_u32_e32 vcc_lo, 0x7f800000, v8
                                        ; implicit-def: $vgpr8
	s_and_saveexec_b32 s3, vcc_lo
	s_xor_b32 s3, exec_lo, s3
; %bb.109:
	v_bfe_u32 v8, v80, 16, 1
	s_delay_alu instid0(VALU_DEP_1)
	v_add3_u32 v8, v80, v8, 0x7fff
                                        ; implicit-def: $vgpr73_vgpr74_vgpr75_vgpr76_vgpr77_vgpr78_vgpr79_vgpr80
; %bb.110:
	s_and_not1_saveexec_b32 s3, s3
; %bb.111:
	v_and_b32_e32 v8, 0xffff, v80
	v_or_b32_e32 v9, 0x10000, v80
	s_delay_alu instid0(VALU_DEP_2) | instskip(NEXT) | instid1(VALU_DEP_2)
	v_cmp_eq_u32_e32 vcc_lo, 0, v8
	v_cndmask_b32_e32 v8, v9, v80, vcc_lo
; %bb.112:
	s_or_b32 exec_lo, exec_lo, s3
	s_delay_alu instid0(VALU_DEP_1)
	v_perm_b32 v7, v8, v7, 0x7060302
	v_perm_b32 v6, v6, v5, 0x7060302
	;; [unrolled: 1-line block ×4, first 2 shown]
	v_lshl_or_b32 v9, v83, 4, v90
	s_barrier
	buffer_gl0_inv
	v_cmp_eq_u32_e32 vcc_lo, 1, v87
	ds_store_b128 v9, v[4:7]
	s_waitcnt lgkmcnt(0)
	s_barrier
	buffer_gl0_inv
	ds_load_b128 v[1:4], v90
	ds_load_b128 v[5:8], v90 offset:16
	v_cmp_eq_u32_e64 s4, 2, v87
	v_cmp_eq_u32_e64 s3, 1, v88
	;; [unrolled: 1-line block ×5, first 2 shown]
	s_waitcnt lgkmcnt(1)
	v_lshrrev_b32_e32 v10, 16, v1
	s_waitcnt lgkmcnt(0)
	v_lshrrev_b32_e32 v14, 16, v5
	v_lshrrev_b32_e32 v15, 16, v6
	;; [unrolled: 1-line block ×4, first 2 shown]
	v_cndmask_b32_e64 v20, v1, v10, s3
	v_cndmask_b32_e32 v19, v5, v14, vcc_lo
	v_cndmask_b32_e64 v21, v5, v14, s3
	v_lshrrev_b32_e32 v16, 16, v7
	v_cmp_eq_u32_e64 s3, 1, v86
	v_lshrrev_b32_e32 v13, 16, v4
	v_cndmask_b32_e64 v19, v19, v6, s4
	v_lshrrev_b32_e32 v17, 16, v8
	s_delay_alu instid0(VALU_DEP_4) | instskip(SKIP_1) | instid1(VALU_DEP_4)
	v_cndmask_b32_e64 v22, v1, v10, s3
	v_cndmask_b32_e64 v23, v5, v14, s3
	;; [unrolled: 1-line block ×3, first 2 shown]
	v_cndmask_b32_e32 v18, v1, v10, vcc_lo
	v_cmp_eq_u32_e32 vcc_lo, 2, v88
	v_cmp_eq_u32_e64 s3, 2, v89
	v_cndmask_b32_e64 v22, v22, v2, s7
	v_cndmask_b32_e32 v20, v20, v2, vcc_lo
	v_cndmask_b32_e32 v21, v21, v6, vcc_lo
	v_cmp_eq_u32_e32 vcc_lo, 4, v87
	v_cndmask_b32_e32 v19, v19, v7, vcc_lo
	v_cndmask_b32_e64 v18, v18, v2, s4
	v_cmp_eq_u32_e64 s4, 3, v88
	s_delay_alu instid0(VALU_DEP_2) | instskip(NEXT) | instid1(VALU_DEP_2)
	v_cndmask_b32_e64 v18, v18, v11, s5
	v_cndmask_b32_e64 v21, v21, v15, s4
	v_cmp_eq_u32_e64 s5, 5, v87
	s_delay_alu instid0(VALU_DEP_3) | instskip(SKIP_1) | instid1(VALU_DEP_3)
	v_cndmask_b32_e32 v18, v18, v3, vcc_lo
	v_cmp_eq_u32_e32 vcc_lo, 4, v88
	v_cndmask_b32_e64 v19, v19, v16, s5
	s_delay_alu instid0(VALU_DEP_3) | instskip(SKIP_4) | instid1(VALU_DEP_3)
	v_cndmask_b32_e64 v18, v18, v12, s5
	v_cndmask_b32_e32 v21, v21, v7, vcc_lo
	v_cndmask_b32_e64 v20, v20, v11, s4
	v_cmp_eq_u32_e64 s4, 5, v88
	v_cmp_eq_u32_e64 s5, 6, v87
	v_cndmask_b32_e32 v20, v20, v3, vcc_lo
	s_delay_alu instid0(VALU_DEP_3) | instskip(SKIP_1) | instid1(VALU_DEP_4)
	v_cndmask_b32_e64 v21, v21, v16, s4
	v_cmp_eq_u32_e32 vcc_lo, 6, v88
	v_cndmask_b32_e64 v18, v18, v4, s5
	v_cndmask_b32_e64 v19, v19, v8, s5
	;; [unrolled: 1-line block ×3, first 2 shown]
	v_cmp_eq_u32_e64 s4, 1, v89
	v_cmp_eq_u32_e64 s5, 7, v87
	s_delay_alu instid0(VALU_DEP_3) | instskip(NEXT) | instid1(VALU_DEP_3)
	v_cndmask_b32_e32 v20, v20, v4, vcc_lo
	v_cndmask_b32_e64 v1, v1, v10, s4
	v_cndmask_b32_e64 v5, v5, v14, s4
	v_cmp_eq_u32_e64 s4, 3, v86
	v_cndmask_b32_e64 v14, v23, v6, s7
	v_cmp_eq_u32_e64 s7, 3, v89
	v_cndmask_b32_e64 v1, v1, v2, s3
	v_cndmask_b32_e64 v2, v5, v6, s3
	v_cndmask_b32_e64 v10, v22, v11, s4
	v_cmp_eq_u32_e64 s3, 4, v86
	v_cndmask_b32_e64 v6, v14, v15, s4
	v_cndmask_b32_e64 v1, v1, v11, s7
	v_cmp_eq_u32_e64 s4, 4, v89
	v_cndmask_b32_e64 v2, v2, v15, s7
	v_cndmask_b32_e64 v5, v10, v3, s3
	;; [unrolled: 3-line block ×3, first 2 shown]
	v_cndmask_b32_e64 v2, v2, v7, s4
	v_cmp_eq_u32_e64 s3, 5, v89
	v_cndmask_b32_e64 v5, v5, v12, s7
	v_cmp_eq_u32_e64 s4, 6, v86
	;; [unrolled: 2-line block ×3, first 2 shown]
	v_cndmask_b32_e64 v1, v1, v12, s3
	v_cndmask_b32_e64 v2, v2, v16, s3
	;; [unrolled: 1-line block ×4, first 2 shown]
	v_cmp_eq_u32_e64 s3, 7, v89
	v_cndmask_b32_e64 v1, v1, v4, s7
	v_cndmask_b32_e64 v2, v2, v8, s7
	v_cmp_eq_u32_e64 s4, 7, v86
	v_cndmask_b32_e32 v4, v21, v8, vcc_lo
	v_cndmask_b32_e64 v18, v18, v13, s5
	v_cndmask_b32_e64 v20, v20, v13, s6
	;; [unrolled: 1-line block ×8, first 2 shown]
	s_mov_b32 s3, exec_lo
	v_perm_b32 v4, v2, v1, 0x5040100
	v_perm_b32 v3, v3, v5, 0x5040100
	;; [unrolled: 1-line block ×4, first 2 shown]
	ds_store_b128 v9, v[1:4]
	s_waitcnt lgkmcnt(0)
	s_barrier
	buffer_gl0_inv
	v_cmpx_gt_u32_e32 32, v0
	s_cbranch_execz .LBB718_2
; %bb.113:
	s_load_b64 s[4:5], s[0:1], 0x68
	v_lshlrev_b32_e32 v0, 10, v0
	v_lshlrev_b32_e32 v1, 4, v84
	s_lshl_b32 s0, s34, 7
	v_add_nc_u32_e32 v2, s31, v83
	s_mul_i32 s1, s0, s30
	s_delay_alu instid0(SALU_CYCLE_1) | instskip(SKIP_1) | instid1(VALU_DEP_2)
	s_mul_i32 s6, s1, s8
	v_and_or_b32 v0, 0x3800, v0, v1
	v_mul_lo_u32 v1, v2, s0
	s_ashr_i32 s7, s6, 31
	v_add_nc_u32_e32 v3, 2, v2
	s_lshl_b64 s[6:7], s[6:7], 1
	v_add_nc_u32_e32 v4, 4, v2
	v_add_nc_u32_e32 v5, 6, v2
	v_lshl_or_b32 v15, v83, 6, v0
	v_mul_lo_u32 v3, v3, s0
	v_ashrrev_i32_e32 v2, 31, v1
	v_mul_lo_u32 v19, v4, s0
	v_mul_lo_u32 v21, v5, s0
	s_waitcnt lgkmcnt(0)
	s_add_u32 s1, s4, s6
	s_addc_u32 s3, s5, s7
	s_lshl_b32 s4, s14, 7
	v_lshlrev_b64 v[5:6], 1, v[1:2]
	s_ashr_i32 s5, s4, 31
	v_ashrrev_i32_e32 v4, 31, v3
	s_lshl_b64 s[4:5], s[4:5], 1
	v_ashrrev_i32_e32 v20, 31, v19
	s_add_u32 s1, s1, s4
	s_addc_u32 s3, s3, s5
	v_add_co_u32 v1, vcc_lo, s1, v81
	v_add_co_ci_u32_e32 v2, vcc_lo, s3, v82, vcc_lo
	v_lshlrev_b64 v[25:26], 1, v[3:4]
	s_delay_alu instid0(VALU_DEP_3) | instskip(NEXT) | instid1(VALU_DEP_3)
	v_add_co_u32 v23, vcc_lo, v1, v5
	v_add_co_ci_u32_e32 v24, vcc_lo, v2, v6, vcc_lo
	ds_load_b128 v[3:6], v15
	ds_load_b128 v[7:10], v15 offset:128
	ds_load_b128 v[11:14], v15 offset:256
	;; [unrolled: 1-line block ×3, first 2 shown]
	v_ashrrev_i32_e32 v22, 31, v21
	v_lshlrev_b64 v[19:20], 1, v[19:20]
	v_add_co_u32 v25, vcc_lo, v1, v25
	v_add_co_ci_u32_e32 v26, vcc_lo, v2, v26, vcc_lo
	s_delay_alu instid0(VALU_DEP_4) | instskip(NEXT) | instid1(VALU_DEP_4)
	v_lshlrev_b64 v[21:22], 1, v[21:22]
	v_add_co_u32 v19, vcc_lo, v1, v19
	v_add_co_ci_u32_e32 v20, vcc_lo, v2, v20, vcc_lo
	s_delay_alu instid0(VALU_DEP_3) | instskip(NEXT) | instid1(VALU_DEP_4)
	v_add_co_u32 v21, vcc_lo, v1, v21
	v_add_co_ci_u32_e32 v22, vcc_lo, v2, v22, vcc_lo
	s_waitcnt lgkmcnt(3)
	global_store_b128 v[23:24], v[3:6], off
	s_waitcnt lgkmcnt(2)
	global_store_b128 v[25:26], v[7:10], off
	;; [unrolled: 2-line block ×4, first 2 shown]
	s_and_b32 exec_lo, exec_lo, s2
	s_cbranch_execz .LBB718_2
; %bb.114:
	ds_load_b128 v[3:6], v0 offset:512
	s_add_i32 s1, s31, 8
	s_delay_alu instid0(SALU_CYCLE_1) | instskip(NEXT) | instid1(SALU_CYCLE_1)
	s_mul_i32 s0, s1, s0
	s_ashr_i32 s1, s0, 31
	s_delay_alu instid0(SALU_CYCLE_1) | instskip(NEXT) | instid1(SALU_CYCLE_1)
	s_lshl_b64 s[0:1], s[0:1], 1
	v_add_co_u32 v0, vcc_lo, v1, s0
	v_add_co_ci_u32_e32 v1, vcc_lo, s1, v2, vcc_lo
	s_waitcnt lgkmcnt(0)
	global_store_b128 v[0:1], v[3:6], off
	s_nop 0
	s_sendmsg sendmsg(MSG_DEALLOC_VGPRS)
	s_endpgm
	.section	.rodata,"a",@progbits
	.p2align	6, 0x0
	.amdhsa_kernel _Z39paged_attention_ll4mi_QKV_mfma16_kernelI14__hip_bfloat16S0_LN4vllm18Fp8KVCacheDataTypeE0EhLi32ELi128ELi256ELb0ELi9EL8MFMAType0EEvPKT_PKT0_S9_ifPKiSB_SB_iPKfiiiPfSE_PS4_PT2_iSD_SD_
		.amdhsa_group_segment_fixed_size 17472
		.amdhsa_private_segment_fixed_size 0
		.amdhsa_kernarg_size 400
		.amdhsa_user_sgpr_count 13
		.amdhsa_user_sgpr_dispatch_ptr 0
		.amdhsa_user_sgpr_queue_ptr 0
		.amdhsa_user_sgpr_kernarg_segment_ptr 1
		.amdhsa_user_sgpr_dispatch_id 0
		.amdhsa_user_sgpr_private_segment_size 0
		.amdhsa_wavefront_size32 1
		.amdhsa_uses_dynamic_stack 0
		.amdhsa_enable_private_segment 0
		.amdhsa_system_sgpr_workgroup_id_x 1
		.amdhsa_system_sgpr_workgroup_id_y 1
		.amdhsa_system_sgpr_workgroup_id_z 1
		.amdhsa_system_sgpr_workgroup_info 0
		.amdhsa_system_vgpr_workitem_id 0
		.amdhsa_next_free_vgpr 157
		.amdhsa_next_free_sgpr 38
		.amdhsa_reserve_vcc 1
		.amdhsa_float_round_mode_32 0
		.amdhsa_float_round_mode_16_64 0
		.amdhsa_float_denorm_mode_32 3
		.amdhsa_float_denorm_mode_16_64 3
		.amdhsa_dx10_clamp 1
		.amdhsa_ieee_mode 1
		.amdhsa_fp16_overflow 0
		.amdhsa_workgroup_processor_mode 1
		.amdhsa_memory_ordered 1
		.amdhsa_forward_progress 0
		.amdhsa_shared_vgpr_count 0
		.amdhsa_exception_fp_ieee_invalid_op 0
		.amdhsa_exception_fp_denorm_src 0
		.amdhsa_exception_fp_ieee_div_zero 0
		.amdhsa_exception_fp_ieee_overflow 0
		.amdhsa_exception_fp_ieee_underflow 0
		.amdhsa_exception_fp_ieee_inexact 0
		.amdhsa_exception_int_div_zero 0
	.end_amdhsa_kernel
	.section	.text._Z39paged_attention_ll4mi_QKV_mfma16_kernelI14__hip_bfloat16S0_LN4vllm18Fp8KVCacheDataTypeE0EhLi32ELi128ELi256ELb0ELi9EL8MFMAType0EEvPKT_PKT0_S9_ifPKiSB_SB_iPKfiiiPfSE_PS4_PT2_iSD_SD_,"axG",@progbits,_Z39paged_attention_ll4mi_QKV_mfma16_kernelI14__hip_bfloat16S0_LN4vllm18Fp8KVCacheDataTypeE0EhLi32ELi128ELi256ELb0ELi9EL8MFMAType0EEvPKT_PKT0_S9_ifPKiSB_SB_iPKfiiiPfSE_PS4_PT2_iSD_SD_,comdat
.Lfunc_end718:
	.size	_Z39paged_attention_ll4mi_QKV_mfma16_kernelI14__hip_bfloat16S0_LN4vllm18Fp8KVCacheDataTypeE0EhLi32ELi128ELi256ELb0ELi9EL8MFMAType0EEvPKT_PKT0_S9_ifPKiSB_SB_iPKfiiiPfSE_PS4_PT2_iSD_SD_, .Lfunc_end718-_Z39paged_attention_ll4mi_QKV_mfma16_kernelI14__hip_bfloat16S0_LN4vllm18Fp8KVCacheDataTypeE0EhLi32ELi128ELi256ELb0ELi9EL8MFMAType0EEvPKT_PKT0_S9_ifPKiSB_SB_iPKfiiiPfSE_PS4_PT2_iSD_SD_
                                        ; -- End function
	.section	.AMDGPU.csdata,"",@progbits
; Kernel info:
; codeLenInByte = 9844
; NumSgprs: 40
; NumVgprs: 157
; ScratchSize: 0
; MemoryBound: 0
; FloatMode: 240
; IeeeMode: 1
; LDSByteSize: 17472 bytes/workgroup (compile time only)
; SGPRBlocks: 4
; VGPRBlocks: 19
; NumSGPRsForWavesPerEU: 40
; NumVGPRsForWavesPerEU: 157
; Occupancy: 9
; WaveLimiterHint : 1
; COMPUTE_PGM_RSRC2:SCRATCH_EN: 0
; COMPUTE_PGM_RSRC2:USER_SGPR: 13
; COMPUTE_PGM_RSRC2:TRAP_HANDLER: 0
; COMPUTE_PGM_RSRC2:TGID_X_EN: 1
; COMPUTE_PGM_RSRC2:TGID_Y_EN: 1
; COMPUTE_PGM_RSRC2:TGID_Z_EN: 1
; COMPUTE_PGM_RSRC2:TIDIG_COMP_CNT: 0
	.section	.text._Z39paged_attention_ll4mi_QKV_mfma16_kernelI14__hip_bfloat16S0_LN4vllm18Fp8KVCacheDataTypeE0EhLi32ELi128ELi256ELb0ELi10EL8MFMAType0EEvPKT_PKT0_S9_ifPKiSB_SB_iPKfiiiPfSE_PS4_PT2_iSD_SD_,"axG",@progbits,_Z39paged_attention_ll4mi_QKV_mfma16_kernelI14__hip_bfloat16S0_LN4vllm18Fp8KVCacheDataTypeE0EhLi32ELi128ELi256ELb0ELi10EL8MFMAType0EEvPKT_PKT0_S9_ifPKiSB_SB_iPKfiiiPfSE_PS4_PT2_iSD_SD_,comdat
	.protected	_Z39paged_attention_ll4mi_QKV_mfma16_kernelI14__hip_bfloat16S0_LN4vllm18Fp8KVCacheDataTypeE0EhLi32ELi128ELi256ELb0ELi10EL8MFMAType0EEvPKT_PKT0_S9_ifPKiSB_SB_iPKfiiiPfSE_PS4_PT2_iSD_SD_ ; -- Begin function _Z39paged_attention_ll4mi_QKV_mfma16_kernelI14__hip_bfloat16S0_LN4vllm18Fp8KVCacheDataTypeE0EhLi32ELi128ELi256ELb0ELi10EL8MFMAType0EEvPKT_PKT0_S9_ifPKiSB_SB_iPKfiiiPfSE_PS4_PT2_iSD_SD_
	.globl	_Z39paged_attention_ll4mi_QKV_mfma16_kernelI14__hip_bfloat16S0_LN4vllm18Fp8KVCacheDataTypeE0EhLi32ELi128ELi256ELb0ELi10EL8MFMAType0EEvPKT_PKT0_S9_ifPKiSB_SB_iPKfiiiPfSE_PS4_PT2_iSD_SD_
	.p2align	8
	.type	_Z39paged_attention_ll4mi_QKV_mfma16_kernelI14__hip_bfloat16S0_LN4vllm18Fp8KVCacheDataTypeE0EhLi32ELi128ELi256ELb0ELi10EL8MFMAType0EEvPKT_PKT0_S9_ifPKiSB_SB_iPKfiiiPfSE_PS4_PT2_iSD_SD_,@function
_Z39paged_attention_ll4mi_QKV_mfma16_kernelI14__hip_bfloat16S0_LN4vllm18Fp8KVCacheDataTypeE0EhLi32ELi128ELi256ELb0ELi10EL8MFMAType0EEvPKT_PKT0_S9_ifPKiSB_SB_iPKfiiiPfSE_PS4_PT2_iSD_SD_: ; @_Z39paged_attention_ll4mi_QKV_mfma16_kernelI14__hip_bfloat16S0_LN4vllm18Fp8KVCacheDataTypeE0EhLi32ELi128ELi256ELb0ELi10EL8MFMAType0EEvPKT_PKT0_S9_ifPKiSB_SB_iPKfiiiPfSE_PS4_PT2_iSD_SD_
; %bb.0:
	s_load_b64 s[2:3], s[0:1], 0x30
	s_mov_b32 s30, s13
	s_waitcnt lgkmcnt(0)
	s_cmp_lg_u64 s[2:3], 0
	s_cselect_b32 s6, -1, 0
	s_ashr_i32 s31, s13, 31
	s_cmp_eq_u64 s[2:3], 0
	s_cbranch_scc1 .LBB719_3
; %bb.1:
	s_lshl_b64 s[4:5], s[30:31], 2
	s_delay_alu instid0(SALU_CYCLE_1) | instskip(SKIP_4) | instid1(SALU_CYCLE_1)
	s_add_u32 s4, s2, s4
	s_addc_u32 s5, s3, s5
	s_load_b64 s[4:5], s[4:5], 0x0
	s_waitcnt lgkmcnt(0)
	s_sub_i32 s4, s5, s4
	s_cmp_eq_u32 s4, 1
	s_cselect_b32 s4, -1, 0
	s_delay_alu instid0(SALU_CYCLE_1)
	s_and_not1_b32 vcc_lo, exec_lo, s4
	s_cbranch_vccz .LBB719_4
.LBB719_2:
	s_endpgm
.LBB719_3:
.LBB719_4:
	s_load_b64 s[8:9], s[0:1], 0x28
	s_lshl_b64 s[4:5], s[30:31], 2
	s_waitcnt lgkmcnt(0)
	s_add_u32 s8, s8, s4
	s_addc_u32 s9, s9, s5
	s_lshl_b32 s12, s14, 8
	s_load_b32 s17, s[8:9], 0x0
	s_waitcnt lgkmcnt(0)
	s_cmp_ge_i32 s12, s17
	s_cbranch_scc1 .LBB719_2
; %bb.5:
	s_and_not1_b32 vcc_lo, exec_lo, s6
	s_cbranch_vccnz .LBB719_7
; %bb.6:
	s_add_u32 s2, s2, s4
	s_addc_u32 s3, s3, s5
	s_load_b32 s13, s[2:3], 0x0
	s_branch .LBB719_8
.LBB719_7:
	s_mov_b32 s13, s30
.LBB719_8:
	s_clause 0x2
	s_load_b128 s[8:11], s[0:1], 0x8
	s_load_b64 s[2:3], s[0:1], 0x20
	s_load_b128 s[4:7], s[0:1], 0x48
	v_and_b32_e32 v73, 15, v0
	s_waitcnt lgkmcnt(0)
	s_mov_b32 s7, exec_lo
	s_delay_alu instid0(VALU_DEP_1)
	v_lshlrev_b32_e32 v1, 3, v73
	v_cmpx_lt_u32_e32 0x9f, v0
	s_xor_b32 s7, exec_lo, s7
; %bb.9:
	v_mov_b32_e32 v2, 0
; %bb.10:
	s_or_saveexec_b32 s7, s7
	v_lshrrev_b32_e32 v74, 5, v0
	v_and_b32_e32 v75, 31, v0
	v_and_b32_e32 v84, 1, v0
	v_bfe_u32 v83, v0, 4, 1
	s_mul_i32 s29, s15, 10
	s_xor_b32 exec_lo, exec_lo, s7
	s_cbranch_execz .LBB719_12
; %bb.11:
	s_load_b64 s[18:19], s[0:1], 0x0
	v_lshl_or_b32 v7, v74, 1, v83
	s_mul_hi_i32 s21, s13, s4
	s_mul_i32 s20, s13, s4
	v_lshlrev_b32_e32 v4, 1, v1
	s_lshl_b64 s[20:21], s[20:21], 1
	v_add_lshl_u32 v2, v7, s29, 7
	v_lshlrev_b32_e32 v7, 6, v7
	v_lshlrev_b32_e32 v8, 10, v84
	s_delay_alu instid0(VALU_DEP_3) | instskip(NEXT) | instid1(VALU_DEP_1)
	v_ashrrev_i32_e32 v3, 31, v2
	v_lshlrev_b64 v[2:3], 1, v[2:3]
	s_waitcnt lgkmcnt(0)
	s_add_u32 s4, s18, s20
	s_addc_u32 s13, s19, s21
	s_delay_alu instid0(VALU_DEP_1) | instskip(NEXT) | instid1(VALU_DEP_2)
	v_add_co_u32 v2, vcc_lo, s4, v2
	v_add_co_ci_u32_e32 v3, vcc_lo, s13, v3, vcc_lo
	s_delay_alu instid0(VALU_DEP_2) | instskip(NEXT) | instid1(VALU_DEP_2)
	v_add_co_u32 v2, vcc_lo, v2, v4
	v_add_co_ci_u32_e32 v3, vcc_lo, 0, v3, vcc_lo
	global_load_b128 v[3:6], v[2:3], off
	v_lshlrev_b32_e32 v2, 10, v73
	s_delay_alu instid0(VALU_DEP_1) | instskip(NEXT) | instid1(VALU_DEP_1)
	v_and_b32_e32 v2, 0x3800, v2
	v_or3_b32 v7, v2, v8, v7
	v_mov_b32_e32 v2, 0
	s_waitcnt vmcnt(0)
	ds_store_b128 v7, v[3:6]
.LBB719_12:
	s_or_b32 exec_lo, exec_lo, s7
	v_add_nc_u32_e32 v80, -10, v73
	v_and_b32_e32 v3, 0xef, v0
	s_add_i32 s4, s17, 31
	s_clause 0x1
	s_load_b32 s7, s[0:1], 0x38
	s_load_b32 s18, s[0:1], 0x1c
	s_ashr_i32 s13, s4, 31
	v_add_nc_u32_e32 v3, s12, v3
	s_lshr_b32 s13, s13, 27
	s_waitcnt lgkmcnt(0)
	s_add_i32 s4, s4, s13
	s_barrier
	v_ashrrev_i32_e32 v4, 31, v3
	v_cmp_gt_i32_e32 vcc_lo, s17, v3
	s_ashr_i32 s4, s4, 5
	buffer_gl0_inv
	s_add_i32 s4, s4, -1
	v_lshrrev_b32_e32 v5, 27, v4
	v_or_b32_e32 v4, 16, v3
	v_lshlrev_b64 v[81:82], 1, v[1:2]
	s_delay_alu instid0(VALU_DEP_3) | instskip(NEXT) | instid1(VALU_DEP_3)
	v_add_nc_u32_e32 v6, v3, v5
	v_add_nc_u32_e32 v5, v4, v5
	s_mul_i32 s20, s30, s7
	s_delay_alu instid0(SALU_CYCLE_1) | instskip(NEXT) | instid1(VALU_DEP_2)
	s_ashr_i32 s21, s20, 31
	v_ashrrev_i32_e32 v6, 5, v6
	s_delay_alu instid0(VALU_DEP_2) | instskip(SKIP_1) | instid1(SALU_CYCLE_1)
	v_ashrrev_i32_e32 v5, 5, v5
	s_lshl_b64 s[20:21], s[20:21], 2
	s_add_u32 s7, s2, s20
	s_delay_alu instid0(VALU_DEP_2) | instskip(SKIP_3) | instid1(VALU_DEP_2)
	v_cndmask_b32_e32 v3, s4, v6, vcc_lo
	v_cmp_gt_i32_e32 vcc_lo, s17, v4
	s_addc_u32 s13, s3, s21
	s_mul_i32 s2, s15, s6
	v_ashrrev_i32_e32 v4, 31, v3
	v_cndmask_b32_e32 v5, s4, v5, vcc_lo
	s_ashr_i32 s3, s2, 31
	s_delay_alu instid0(SALU_CYCLE_1) | instskip(NEXT) | instid1(VALU_DEP_2)
	s_lshl_b64 s[2:3], s[2:3], 1
	v_lshlrev_b64 v[3:4], 2, v[3:4]
	s_delay_alu instid0(VALU_DEP_2) | instskip(SKIP_3) | instid1(VALU_DEP_1)
	v_ashrrev_i32_e32 v6, 31, v5
	s_add_u32 s6, s8, s2
	s_addc_u32 s15, s9, s3
	s_lshl_b32 s8, s14, 3
	v_lshlrev_b64 v[5:6], 2, v[5:6]
	v_add_co_u32 v3, vcc_lo, s7, v3
	v_add_co_ci_u32_e32 v4, vcc_lo, s13, v4, vcc_lo
	s_ashr_i32 s9, s8, 31
	s_delay_alu instid0(VALU_DEP_3) | instskip(NEXT) | instid1(VALU_DEP_4)
	v_add_co_u32 v5, vcc_lo, s7, v5
	v_add_co_ci_u32_e32 v6, vcc_lo, s13, v6, vcc_lo
	s_clause 0x1
	global_load_b32 v7, v[3:4], off
	global_load_b32 v8, v[5:6], off
	s_lshl_b64 s[8:9], s[8:9], 2
	s_delay_alu instid0(SALU_CYCLE_1) | instskip(SKIP_2) | instid1(SALU_CYCLE_1)
	s_add_u32 s8, s7, s8
	s_addc_u32 s9, s13, s9
	s_or_b32 s16, s12, 32
	s_ashr_i32 s19, s16, 5
	s_cmp_lt_i32 s16, s17
	s_cselect_b32 s20, s19, s4
	s_delay_alu instid0(SALU_CYCLE_1) | instskip(NEXT) | instid1(SALU_CYCLE_1)
	s_ashr_i32 s21, s20, 31
	s_lshl_b64 s[20:21], s[20:21], 2
	s_delay_alu instid0(SALU_CYCLE_1) | instskip(SKIP_2) | instid1(SALU_CYCLE_1)
	s_add_u32 s20, s7, s20
	s_addc_u32 s21, s13, s21
	s_or_b32 s16, s12, 64
	s_ashr_i32 s19, s16, 5
	s_cmp_lt_i32 s16, s17
	s_cselect_b32 s22, s19, s4
	s_delay_alu instid0(SALU_CYCLE_1) | instskip(NEXT) | instid1(SALU_CYCLE_1)
	s_ashr_i32 s23, s22, 31
	;; [unrolled: 10-line block ×5, first 2 shown]
	s_lshl_b64 s[34:35], s[34:35], 2
	s_delay_alu instid0(SALU_CYCLE_1)
	s_add_u32 s34, s7, s34
	s_addc_u32 s35, s13, s35
	s_clause 0x5
	s_load_b32 s16, s[8:9], 0x0
	s_load_b32 s19, s[20:21], 0x0
	;; [unrolled: 1-line block ×6, first 2 shown]
	s_mov_b32 s20, 0
	s_delay_alu instid0(SALU_CYCLE_1)
	s_mov_b32 s27, s20
	s_mov_b32 s24, s20
	;; [unrolled: 1-line block ×7, first 2 shown]
	v_dual_mov_b32 v108, s27 :: v_dual_mov_b32 v105, s24
	v_dual_mov_b32 v107, s26 :: v_dual_mov_b32 v106, s25
	;; [unrolled: 1-line block ×4, first 2 shown]
	s_waitcnt lgkmcnt(0)
	s_mul_hi_i32 s21, s16, s5
	s_mul_i32 s20, s16, s5
	s_mul_hi_i32 s23, s19, s5
	s_mul_i32 s22, s19, s5
	;; [unrolled: 2-line block ×5, first 2 shown]
	s_waitcnt vmcnt(1)
	v_mad_i64_i32 v[3:4], null, v7, s5, 0
	s_waitcnt vmcnt(0)
	v_mad_i64_i32 v[5:6], null, v8, s5, 0
	s_delay_alu instid0(VALU_DEP_2) | instskip(NEXT) | instid1(VALU_DEP_2)
	v_lshlrev_b64 v[3:4], 1, v[3:4]
	v_lshlrev_b64 v[1:2], 1, v[5:6]
	s_delay_alu instid0(VALU_DEP_2) | instskip(NEXT) | instid1(VALU_DEP_3)
	v_add_co_u32 v3, vcc_lo, s6, v3
	v_add_co_ci_u32_e32 v4, vcc_lo, s15, v4, vcc_lo
	s_delay_alu instid0(VALU_DEP_3) | instskip(NEXT) | instid1(VALU_DEP_4)
	v_add_co_u32 v1, vcc_lo, s6, v1
	v_add_co_ci_u32_e32 v2, vcc_lo, s15, v2, vcc_lo
	s_delay_alu instid0(VALU_DEP_4) | instskip(NEXT) | instid1(VALU_DEP_4)
	v_add_co_u32 v65, vcc_lo, v3, v81
	v_add_co_ci_u32_e32 v66, vcc_lo, v4, v82, vcc_lo
	s_delay_alu instid0(VALU_DEP_4) | instskip(NEXT) | instid1(VALU_DEP_4)
	v_add_co_u32 v76, vcc_lo, v1, v81
	v_add_co_ci_u32_e32 v77, vcc_lo, v2, v82, vcc_lo
	s_clause 0xf
	global_load_b128 v[1:4], v[65:66], off
	global_load_b128 v[5:8], v[65:66], off offset:512
	global_load_b128 v[9:12], v[76:77], off offset:256
	;; [unrolled: 1-line block ×15, first 2 shown]
	v_add_co_u32 v78, vcc_lo, 0x1000, v65
	v_add_co_ci_u32_e32 v79, vcc_lo, 0, v66, vcc_lo
	v_cmp_gt_u32_e32 vcc_lo, 10, v73
	s_clause 0x1
	global_load_b128 v[65:68], v[78:79], off
	global_load_b128 v[69:72], v[78:79], off offset:512
	s_or_b32 s6, s12, 0xc0
	v_cndmask_b32_e32 v80, v80, v73, vcc_lo
	v_add_co_u32 v76, vcc_lo, 0x1000, v76
	v_add_co_ci_u32_e32 v77, vcc_lo, 0, v77, vcc_lo
	s_delay_alu instid0(VALU_DEP_3)
	v_lshlrev_b32_e32 v80, 6, v80
	ds_load_b128 v[85:88], v80
	ds_load_b128 v[89:92], v80 offset:1024
	s_clause 0x1
	global_load_b128 v[93:96], v[76:77], off offset:256
	global_load_b128 v[97:100], v[76:77], off offset:768
	ds_load_b128 v[109:112], v80 offset:2048
	ds_load_b128 v[113:116], v80 offset:3072
	s_ashr_i32 s8, s6, 5
	s_cmp_lt_i32 s6, s17
	s_cselect_b32 s8, s8, s4
	s_delay_alu instid0(SALU_CYCLE_1) | instskip(NEXT) | instid1(SALU_CYCLE_1)
	s_ashr_i32 s9, s8, 31
	s_lshl_b64 s[8:9], s[8:9], 2
	s_delay_alu instid0(SALU_CYCLE_1) | instskip(SKIP_2) | instid1(SALU_CYCLE_1)
	s_add_u32 s8, s7, s8
	s_addc_u32 s9, s13, s9
	s_or_b32 s6, s12, 0xe0
	s_ashr_i32 s15, s6, 5
	s_cmp_lt_i32 s6, s17
	s_cselect_b32 s24, s15, s4
	s_delay_alu instid0(SALU_CYCLE_1) | instskip(NEXT) | instid1(SALU_CYCLE_1)
	s_ashr_i32 s25, s24, 31
	s_lshl_b64 s[24:25], s[24:25], 2
	s_delay_alu instid0(SALU_CYCLE_1) | instskip(SKIP_2) | instid1(SALU_CYCLE_1)
	s_add_u32 s24, s7, s24
	s_addc_u32 s25, s13, s25
	s_add_i32 s6, s12, 0x100
	s_ashr_i32 s15, s6, 5
	s_cmp_lt_i32 s6, s17
	s_cselect_b32 s36, s15, s4
	s_delay_alu instid0(SALU_CYCLE_1) | instskip(NEXT) | instid1(SALU_CYCLE_1)
	s_ashr_i32 s37, s36, 31
	s_lshl_b64 s[36:37], s[36:37], 2
	s_delay_alu instid0(SALU_CYCLE_1)
	s_add_u32 s6, s7, s36
	s_addc_u32 s7, s13, s37
	s_add_u32 s4, s10, s2
	s_addc_u32 s19, s11, s3
	s_lshl_b64 s[2:3], s[20:21], 1
	s_lshl_b64 s[10:11], s[26:27], 1
	;; [unrolled: 1-line block ×3, first 2 shown]
	s_waitcnt vmcnt(18) lgkmcnt(2)
	v_wmma_f32_16x16x16_bf16 v[117:124], v[1:8], v[85:92], v[101:108]
	s_waitcnt vmcnt(16)
	v_wmma_f32_16x16x16_bf16 v[101:108], v[9:16], v[85:92], v[101:108]
	s_clause 0x3
	global_load_b128 v[1:4], v[78:79], off offset:1024
	global_load_b128 v[5:8], v[78:79], off offset:1536
	;; [unrolled: 1-line block ×4, first 2 shown]
	s_waitcnt vmcnt(18) lgkmcnt(0)
	v_wmma_f32_16x16x16_bf16 v[117:124], v[17:24], v[109:116], v[117:124]
	s_clause 0x1
	global_load_b128 v[17:20], v[78:79], off offset:2048
	global_load_b128 v[21:24], v[78:79], off offset:2560
	s_waitcnt vmcnt(18)
	v_wmma_f32_16x16x16_bf16 v[101:108], v[25:32], v[109:116], v[101:108]
	ds_load_b128 v[25:28], v80 offset:4096
	ds_load_b128 v[29:32], v80 offset:5120
	s_clause 0x5
	global_load_b128 v[109:112], v[76:77], off offset:2304
	global_load_b128 v[113:116], v[76:77], off offset:2816
	;; [unrolled: 1-line block ×6, first 2 shown]
	s_waitcnt vmcnt(22) lgkmcnt(0)
	v_wmma_f32_16x16x16_bf16 v[117:124], v[33:40], v[25:32], v[117:124]
	s_waitcnt vmcnt(20)
	v_wmma_f32_16x16x16_bf16 v[101:108], v[41:48], v[25:32], v[101:108]
	ds_load_b128 v[25:28], v80 offset:6144
	ds_load_b128 v[29:32], v80 offset:7168
	ds_load_b128 v[33:36], v80 offset:8192
	ds_load_b128 v[37:40], v80 offset:9216
	s_waitcnt vmcnt(18) lgkmcnt(2)
	v_wmma_f32_16x16x16_bf16 v[117:124], v[49:56], v[25:32], v[117:124]
	s_waitcnt vmcnt(16)
	v_wmma_f32_16x16x16_bf16 v[101:108], v[57:64], v[25:32], v[101:108]
	ds_load_b128 v[25:28], v80 offset:10240
	ds_load_b128 v[29:32], v80 offset:11264
	;; [unrolled: 1-line block ×6, first 2 shown]
	s_waitcnt vmcnt(14) lgkmcnt(6)
	v_wmma_f32_16x16x16_bf16 v[117:124], v[65:72], v[33:40], v[117:124]
	s_waitcnt vmcnt(12)
	v_wmma_f32_16x16x16_bf16 v[101:108], v[93:100], v[33:40], v[101:108]
	s_clause 0x2
	s_load_b32 s16, s[8:9], 0x0
	s_load_b32 s13, s[24:25], 0x0
	;; [unrolled: 1-line block ×3, first 2 shown]
	s_lshl_b64 s[6:7], s[22:23], 1
	s_mul_hi_i32 s9, s33, s5
	s_mul_i32 s8, s33, s5
	s_lshl_b64 s[22:23], s[38:39], 1
	s_lshl_b64 s[8:9], s[8:9], 1
	s_waitcnt lgkmcnt(0)
	s_mul_hi_i32 s25, s16, s5
	s_mul_i32 s24, s16, s5
	s_waitcnt vmcnt(10)
	v_wmma_f32_16x16x16_bf16 v[117:124], v[1:8], v[25:32], v[117:124]
	s_waitcnt vmcnt(8)
	v_wmma_f32_16x16x16_bf16 v[101:108], v[9:16], v[25:32], v[101:108]
	s_waitcnt vmcnt(6)
	s_delay_alu instid0(VALU_DEP_2) | instskip(SKIP_1) | instid1(VALU_DEP_2)
	v_wmma_f32_16x16x16_bf16 v[117:124], v[17:24], v[141:148], v[117:124]
	s_waitcnt vmcnt(4)
	v_wmma_f32_16x16x16_bf16 v[101:108], v[109:116], v[141:148], v[101:108]
	s_waitcnt vmcnt(2)
	s_delay_alu instid0(VALU_DEP_2) | instskip(SKIP_3) | instid1(VALU_DEP_3)
	v_wmma_f32_16x16x16_bf16 v[117:124], v[125:132], v[149:156], v[117:124]
	v_lshlrev_b32_e32 v85, 6, v73
	s_waitcnt vmcnt(0)
	v_wmma_f32_16x16x16_bf16 v[101:108], v[133:140], v[149:156], v[101:108]
	v_mul_f32_e32 v100, s18, v124
	s_delay_alu instid0(VALU_DEP_3) | instskip(SKIP_2) | instid1(VALU_DEP_3)
	v_lshl_or_b32 v41, v74, 10, v85
	v_mul_f32_e32 v99, s18, v118
	v_mul_f32_e32 v97, s18, v117
	v_add_co_u32 v76, s4, s4, v41
	s_delay_alu instid0(VALU_DEP_1) | instskip(NEXT) | instid1(VALU_DEP_2)
	v_add_co_ci_u32_e64 v77, null, s19, 0, s4
	v_add_co_u32 v41, vcc_lo, v76, s2
	s_delay_alu instid0(VALU_DEP_2)
	v_add_co_ci_u32_e32 v42, vcc_lo, s3, v77, vcc_lo
	v_add_co_u32 v33, vcc_lo, v76, s6
	v_add_co_ci_u32_e32 v34, vcc_lo, s7, v77, vcc_lo
	v_add_co_u32 v35, vcc_lo, v76, s10
	;; [unrolled: 2-line block ×5, first 2 shown]
	s_lshl_b64 s[2:3], s[24:25], 1
	v_add_co_ci_u32_e32 v6, vcc_lo, s23, v77, vcc_lo
	s_mul_hi_i32 s7, s13, s5
	s_mul_i32 s6, s13, s5
	v_add_co_u32 v17, vcc_lo, v76, s2
	v_add_co_ci_u32_e32 v18, vcc_lo, s3, v77, vcc_lo
	s_lshl_b64 s[2:3], s[6:7], 1
	s_mul_hi_i32 s7, s15, s5
	s_mul_i32 s6, s15, s5
	v_add_co_u32 v19, vcc_lo, v76, s2
	v_add_co_ci_u32_e32 v20, vcc_lo, s3, v77, vcc_lo
	s_lshl_b64 s[2:3], s[6:7], 1
	s_clause 0x1
	global_load_b128 v[65:68], v[41:42], off
	global_load_b128 v[69:72], v[41:42], off offset:16
	v_add_co_u32 v21, vcc_lo, v76, s2
	v_add_co_ci_u32_e32 v22, vcc_lo, s3, v77, vcc_lo
	s_clause 0xf
	global_load_b128 v[57:60], v[33:34], off
	global_load_b128 v[61:64], v[33:34], off offset:16
	global_load_b128 v[49:52], v[35:36], off
	global_load_b128 v[53:56], v[35:36], off offset:16
	;; [unrolled: 2-line block ×8, first 2 shown]
	v_mbcnt_lo_u32_b32 v77, -1, 0
	s_waitcnt vmcnt(0)
	s_barrier
	buffer_gl0_inv
	v_xor_b32_e32 v78, 16, v77
	s_delay_alu instid0(VALU_DEP_1) | instskip(SKIP_1) | instid1(VALU_DEP_1)
	v_cmp_gt_i32_e32 vcc_lo, 32, v78
	v_dual_cndmask_b32 v77, v77, v78 :: v_dual_and_b32 v76, 0xe0, v0
	v_add_nc_u32_e32 v76, s12, v76
	s_delay_alu instid0(VALU_DEP_1) | instskip(NEXT) | instid1(VALU_DEP_1)
	v_or_b32_e32 v76, v76, v83
	v_or_b32_e32 v78, 2, v76
	;; [unrolled: 1-line block ×4, first 2 shown]
	v_cmp_gt_i32_e32 vcc_lo, s17, v76
	v_or_b32_e32 v86, 8, v76
	v_cmp_gt_i32_e64 s2, s17, v78
	v_or_b32_e32 v87, 10, v76
	v_or_b32_e32 v88, 12, v76
	v_or_b32_e32 v89, 14, v76
	v_or_b32_e32 v90, 16, v76
	v_or_b32_e32 v91, 18, v76
	v_or_b32_e32 v92, 20, v76
	v_or_b32_e32 v93, 22, v76
	v_or_b32_e32 v94, 24, v76
	v_or_b32_e32 v95, 26, v76
	v_or_b32_e32 v96, 28, v76
	v_or_b32_e32 v98, 30, v76
	v_cndmask_b32_e32 v76, 0xff7fffff, v97, vcc_lo
	v_cmp_gt_i32_e64 s3, s17, v80
	v_mul_f32_e32 v80, s18, v119
	v_cndmask_b32_e64 v78, 0xff7fffff, v99, s2
	v_mul_f32_e32 v99, s18, v120
	v_cmp_gt_i32_e64 s4, s17, v79
	v_mul_f32_e32 v97, s18, v123
	v_mul_f32_e32 v79, s18, v122
	v_max3_f32 v76, v76, 0xff7fffff, v78
	v_mul_f32_e32 v78, s18, v121
	v_cndmask_b32_e64 v80, 0xff7fffff, v80, s4
	v_cmp_gt_i32_e64 s5, s17, v86
	v_cmp_gt_i32_e64 s6, s17, v87
	v_mul_f32_e32 v86, s18, v107
	v_cndmask_b32_e64 v99, 0xff7fffff, v99, s3
	v_cmp_gt_i32_e64 s7, s17, v89
	v_cndmask_b32_e64 v78, 0xff7fffff, v78, s5
	v_cmp_gt_i32_e64 s8, s17, v88
	v_mul_f32_e32 v89, s18, v101
	v_max3_f32 v76, v76, v80, v99
	v_mul_f32_e32 v80, s18, v108
	v_cndmask_b32_e64 v79, 0xff7fffff, v79, s6
	v_dual_mul_f32 v99, s18, v105 :: v_dual_mul_f32 v88, s18, v102
	v_cndmask_b32_e64 v97, 0xff7fffff, v97, s8
	v_cndmask_b32_e64 v100, 0xff7fffff, v100, s7
	s_delay_alu instid0(VALU_DEP_4) | instskip(SKIP_4) | instid1(VALU_DEP_4)
	v_max3_f32 v76, v76, v78, v79
	v_cmp_gt_i32_e64 s9, s17, v90
	v_cmp_gt_i32_e64 s10, s17, v91
	v_dual_mul_f32 v87, s18, v106 :: v_dual_mul_f32 v78, s18, v104
	v_mul_f32_e32 v79, s18, v103
	v_cndmask_b32_e64 v89, 0xff7fffff, v89, s9
	s_delay_alu instid0(VALU_DEP_4)
	v_cndmask_b32_e64 v88, 0xff7fffff, v88, s10
	v_max3_f32 v76, v76, v97, v100
	v_cmp_gt_i32_e64 s11, s17, v92
	v_cmp_gt_i32_e64 s12, s17, v93
	;; [unrolled: 1-line block ×4, first 2 shown]
	v_max3_f32 v76, v76, v89, v88
	v_cndmask_b32_e64 v79, 0xff7fffff, v79, s11
	v_cndmask_b32_e64 v78, 0xff7fffff, v78, s12
	;; [unrolled: 1-line block ×4, first 2 shown]
	v_cmp_gt_i32_e64 s16, s17, v96
	v_cmp_gt_i32_e64 s17, s17, v98
	v_max3_f32 v76, v76, v79, v78
	v_lshlrev_b32_e32 v99, 2, v77
	s_delay_alu instid0(VALU_DEP_4) | instskip(NEXT) | instid1(VALU_DEP_4)
	v_cndmask_b32_e64 v78, 0xff7fffff, v86, s16
	v_cndmask_b32_e64 v79, 0xff7fffff, v80, s17
	s_delay_alu instid0(VALU_DEP_4) | instskip(NEXT) | instid1(VALU_DEP_1)
	v_max3_f32 v76, v76, v88, v87
	v_max3_f32 v76, v76, v78, v79
	ds_bpermute_b32 v77, v99, v76
	s_waitcnt lgkmcnt(0)
	v_max_f32_e32 v77, v77, v77
	s_delay_alu instid0(VALU_DEP_1) | instskip(NEXT) | instid1(VALU_DEP_1)
	v_max_f32_e32 v76, v76, v77
	v_fma_f32 v78, s18, v118, -v76
	v_fma_f32 v77, s18, v117, -v76
	;; [unrolled: 1-line block ×5, first 2 shown]
	v_mul_f32_e32 v78, 0x3fb8aa3b, v78
	v_fma_f32 v87, s18, v123, -v76
	v_fma_f32 v88, s18, v105, -v76
	v_mul_f32_e32 v80, 0x3fb8aa3b, v80
	v_mul_f32_e32 v86, 0x3fb8aa3b, v86
	v_exp_f32_e32 v78, v78
	v_fma_f32 v90, s18, v107, -v76
	v_fma_f32 v100, s18, v108, -v76
	v_exp_f32_e32 v80, v80
	v_exp_f32_e32 v86, v86
	v_mul_f32_e32 v88, 0x3fb8aa3b, v88
	s_delay_alu instid0(VALU_DEP_2) | instskip(NEXT) | instid1(TRANS32_DEP_3)
	v_mul_f32_e32 v100, 0x3fb8aa3b, v100
	v_cndmask_b32_e64 v91, 0, v78, s2
	v_mul_f32_e32 v77, 0x3fb8aa3b, v77
	s_delay_alu instid0(VALU_DEP_4) | instskip(NEXT) | instid1(TRANS32_DEP_3)
	v_exp_f32_e32 v88, v88
	v_cndmask_b32_e64 v95, 0, v80, s3
	v_fma_f32 v80, s18, v101, -v76
	s_delay_alu instid0(TRANS32_DEP_2)
	v_cndmask_b32_e64 v96, 0, v86, s5
	v_exp_f32_e32 v77, v77
	v_mul_f32_e32 v79, 0x3fb8aa3b, v79
	v_fma_f32 v86, s18, v102, -v76
	v_mul_f32_e32 v80, 0x3fb8aa3b, v80
	s_mov_b32 s2, exec_lo
	v_exp_f32_e32 v100, v100
	s_delay_alu instid0(VALU_DEP_1) | instskip(NEXT) | instid1(TRANS32_DEP_3)
	v_exp_f32_e32 v80, v80
	v_cndmask_b32_e32 v92, 0, v77, vcc_lo
	v_exp_f32_e32 v79, v79
	v_fma_f32 v77, s18, v122, -v76
	s_delay_alu instid0(VALU_DEP_2) | instskip(NEXT) | instid1(VALU_DEP_1)
	v_add_f32_e32 v78, 0, v92
	v_add_f32_e32 v78, v78, v91
	s_waitcnt_depctr 0xfff
	v_cndmask_b32_e64 v93, 0, v79, s4
	v_mul_f32_e32 v87, 0x3fb8aa3b, v87
	v_fma_f32 v79, s18, v124, -v76
	s_delay_alu instid0(VALU_DEP_3) | instskip(SKIP_1) | instid1(VALU_DEP_3)
	v_add_f32_e32 v78, v78, v93
	v_mul_f32_e32 v77, 0x3fb8aa3b, v77
	v_mul_f32_e32 v79, 0x3fb8aa3b, v79
	v_exp_f32_e32 v87, v87
	s_delay_alu instid0(VALU_DEP_3) | instskip(NEXT) | instid1(VALU_DEP_3)
	v_add_f32_e32 v78, v78, v95
	v_exp_f32_e32 v77, v77
	s_delay_alu instid0(VALU_DEP_2) | instskip(NEXT) | instid1(TRANS32_DEP_3)
	v_exp_f32_e32 v79, v79
	v_cndmask_b32_e64 v94, 0, v87, s8
	v_fma_f32 v87, s18, v104, -v76
	s_waitcnt_depctr 0xfff
	v_cndmask_b32_e64 v97, 0, v77, s6
	v_add_f32_e32 v77, v78, v96
	v_fma_f32 v78, s18, v103, -v76
	v_mul_f32_e32 v86, 0x3fb8aa3b, v86
	v_cndmask_b32_e64 v98, 0, v79, s7
	v_mul_f32_e32 v87, 0x3fb8aa3b, v87
	s_delay_alu instid0(VALU_DEP_4) | instskip(NEXT) | instid1(VALU_DEP_4)
	v_dual_add_f32 v77, v77, v97 :: v_dual_mul_f32 v78, 0x3fb8aa3b, v78
	v_exp_f32_e32 v86, v86
	s_delay_alu instid0(VALU_DEP_2) | instskip(NEXT) | instid1(VALU_DEP_1)
	v_exp_f32_e32 v87, v87
	v_add_f32_e32 v79, v77, v94
	s_delay_alu instid0(VALU_DEP_2) | instskip(SKIP_2) | instid1(VALU_DEP_3)
	v_exp_f32_e32 v89, v78
	v_cndmask_b32_e64 v77, 0, v80, s9
	v_fma_f32 v80, s18, v106, -v76
	v_add_f32_e32 v79, v79, v98
	s_delay_alu instid0(TRANS32_DEP_3) | instskip(NEXT) | instid1(VALU_DEP_3)
	v_cndmask_b32_e64 v78, 0, v86, s10
	v_mul_f32_e32 v80, 0x3fb8aa3b, v80
	s_delay_alu instid0(VALU_DEP_3) | instskip(NEXT) | instid1(TRANS32_DEP_1)
	v_add_f32_e32 v86, v79, v77
	v_cndmask_b32_e64 v79, 0, v89, s11
	v_mul_f32_e32 v89, 0x3fb8aa3b, v90
	s_delay_alu instid0(VALU_DEP_4) | instskip(SKIP_2) | instid1(VALU_DEP_3)
	v_exp_f32_e32 v90, v80
	v_cndmask_b32_e64 v80, 0, v87, s12
	v_add_f32_e32 v86, v86, v78
	v_exp_f32_e32 v89, v89
	s_delay_alu instid0(VALU_DEP_1) | instskip(SKIP_1) | instid1(VALU_DEP_2)
	v_add_f32_e32 v87, v86, v79
	v_cndmask_b32_e64 v86, 0, v88, s13
	v_add_f32_e32 v88, v87, v80
	s_delay_alu instid0(TRANS32_DEP_2) | instskip(NEXT) | instid1(VALU_DEP_2)
	v_cndmask_b32_e64 v87, 0, v90, s15
	v_add_f32_e32 v90, v88, v86
	s_waitcnt_depctr 0xfff
	v_cndmask_b32_e64 v88, 0, v89, s16
	v_add_f32_e32 v89, v90, v87
	s_delay_alu instid0(VALU_DEP_1) | instskip(SKIP_1) | instid1(VALU_DEP_1)
	v_add_f32_e32 v90, v89, v88
	v_cndmask_b32_e64 v89, 0, v100, s17
	v_add_f32_e32 v90, v90, v89
	ds_bpermute_b32 v99, v99, v90
	v_cmpx_gt_u32_e32 16, v75
	s_cbranch_execz .LBB719_14
; %bb.13:
	v_mul_u32_u24_e32 v75, 0x44, v74
	s_waitcnt lgkmcnt(0)
	v_add_f32_e32 v90, v90, v99
	s_delay_alu instid0(VALU_DEP_2) | instskip(NEXT) | instid1(VALU_DEP_1)
	v_lshl_add_u32 v75, v73, 2, v75
	v_add_nc_u32_e32 v75, 0x4000, v75
	ds_store_2addr_b32 v75, v76, v90 offset1:136
.LBB719_14:
	s_or_b32 exec_lo, exec_lo, s2
	v_lshlrev_b32_e32 v75, 2, v73
	s_waitcnt lgkmcnt(0)
	s_barrier
	buffer_gl0_inv
	v_cmp_eq_u32_e64 s2, 1, v74
	v_add_nc_u32_e32 v90, 0x4000, v75
	ds_load_2addr_b32 v[99:100], v90 offset1:17
	ds_load_2addr_b32 v[101:102], v90 offset0:34 offset1:51
	ds_load_2addr_b32 v[103:104], v90 offset0:68 offset1:85
	;; [unrolled: 1-line block ×4, first 2 shown]
	s_waitcnt lgkmcnt(4)
	v_max3_f32 v75, v99, 0xff7fffff, v100
	s_waitcnt lgkmcnt(3)
	s_delay_alu instid0(VALU_DEP_1) | instskip(SKIP_1) | instid1(VALU_DEP_1)
	v_max3_f32 v75, v75, v101, v102
	s_waitcnt lgkmcnt(2)
	v_max3_f32 v75, v75, v103, v104
	s_waitcnt lgkmcnt(1)
	s_delay_alu instid0(VALU_DEP_1) | instskip(NEXT) | instid1(VALU_DEP_1)
	v_max3_f32 v75, v75, v105, v106
	v_sub_f32_e32 v109, v100, v75
	v_sub_f32_e32 v76, v99, v75
	ds_load_2addr_b32 v[99:100], v90 offset0:170 offset1:187
	v_sub_f32_e32 v101, v101, v75
	v_dual_mul_f32 v109, 0x3fb8aa3b, v109 :: v_dual_mul_f32 v76, 0x3fb8aa3b, v76
	s_delay_alu instid0(VALU_DEP_2) | instskip(NEXT) | instid1(VALU_DEP_2)
	v_mul_f32_e32 v111, 0x3fb8aa3b, v101
	v_exp_f32_e32 v109, v109
	s_delay_alu instid0(VALU_DEP_2)
	v_exp_f32_e32 v110, v76
	v_sub_f32_e32 v76, v102, v75
	ds_load_2addr_b32 v[101:102], v90 offset0:204 offset1:221
	v_exp_f32_e32 v111, v111
	v_mul_f32_e32 v112, 0x3fb8aa3b, v76
	s_waitcnt lgkmcnt(2)
	v_fma_f32 v76, v110, v107, 0
	v_sub_f32_e32 v103, v103, v75
	s_delay_alu instid0(VALU_DEP_3) | instskip(NEXT) | instid1(VALU_DEP_2)
	v_exp_f32_e32 v112, v112
	v_dual_sub_f32 v107, v104, v75 :: v_dual_fmac_f32 v76, v109, v108
	s_waitcnt lgkmcnt(1)
	s_waitcnt_depctr 0xfff
	v_fmac_f32_e32 v76, v111, v99
	v_mul_f32_e32 v113, 0x3fb8aa3b, v103
	ds_load_2addr_b32 v[103:104], v90 offset0:238 offset1:255
	v_sub_f32_e32 v90, v105, v75
	v_dual_sub_f32 v99, v106, v75 :: v_dual_fmac_f32 v76, v112, v100
	v_mul_f32_e32 v105, 0x3fb8aa3b, v107
	v_exp_f32_e32 v107, v113
	s_delay_alu instid0(VALU_DEP_2)
	v_dual_mul_f32 v90, 0x3fb8aa3b, v90 :: v_dual_mul_f32 v99, 0x3fb8aa3b, v99
	s_waitcnt lgkmcnt(0)
	s_barrier
	buffer_gl0_inv
	v_exp_f32_e32 v90, v90
	v_exp_f32_e32 v99, v99
	v_fmac_f32_e32 v76, v107, v101
	v_exp_f32_e32 v105, v105
	s_waitcnt_depctr 0xfff
	v_fmac_f32_e32 v76, v105, v102
	s_delay_alu instid0(VALU_DEP_1) | instskip(NEXT) | instid1(VALU_DEP_1)
	v_fmac_f32_e32 v76, v90, v103
	v_fmac_f32_e32 v76, v99, v104
	s_delay_alu instid0(VALU_DEP_1) | instskip(NEXT) | instid1(VALU_DEP_1)
	v_add_f32_e32 v100, 0x358637bd, v76
	v_div_scale_f32 v101, null, v100, v100, 1.0
	v_div_scale_f32 v104, vcc_lo, 1.0, v100, 1.0
	s_delay_alu instid0(VALU_DEP_2) | instskip(SKIP_2) | instid1(VALU_DEP_1)
	v_rcp_f32_e32 v102, v101
	s_waitcnt_depctr 0xfff
	v_fma_f32 v103, -v101, v102, 1.0
	v_fmac_f32_e32 v102, v103, v102
	v_cndmask_b32_e64 v103, v110, v109, s2
	v_cmp_eq_u32_e64 s2, 2, v74
	s_delay_alu instid0(VALU_DEP_3) | instskip(NEXT) | instid1(VALU_DEP_2)
	v_mul_f32_e32 v106, v104, v102
	v_cndmask_b32_e64 v103, v103, v111, s2
	v_cmp_eq_u32_e64 s2, 3, v74
	s_delay_alu instid0(VALU_DEP_3) | instskip(NEXT) | instid1(VALU_DEP_2)
	v_fma_f32 v108, -v101, v106, v104
	v_cndmask_b32_e64 v103, v103, v112, s2
	v_cmp_eq_u32_e64 s2, 4, v74
	s_delay_alu instid0(VALU_DEP_3) | instskip(NEXT) | instid1(VALU_DEP_2)
	v_fmac_f32_e32 v106, v108, v102
	v_cndmask_b32_e64 v103, v103, v107, s2
	s_delay_alu instid0(VALU_DEP_2) | instskip(SKIP_1) | instid1(VALU_DEP_2)
	v_fma_f32 v101, -v101, v106, v104
	v_cmp_eq_u32_e64 s2, 5, v74
	v_div_fmas_f32 v101, v101, v102, v106
	s_delay_alu instid0(VALU_DEP_2) | instskip(SKIP_2) | instid1(VALU_DEP_3)
	v_cndmask_b32_e64 v103, v103, v105, s2
	v_cmp_eq_u32_e32 vcc_lo, 6, v74
	s_mov_b32 s2, exec_lo
	v_div_fixup_f32 v100, v101, v100, 1.0
	s_delay_alu instid0(VALU_DEP_3) | instskip(SKIP_1) | instid1(VALU_DEP_2)
	v_cndmask_b32_e32 v90, v103, v90, vcc_lo
	v_cmp_eq_u32_e32 vcc_lo, 7, v74
	v_cndmask_b32_e32 v90, v90, v99, vcc_lo
	s_delay_alu instid0(VALU_DEP_1) | instskip(NEXT) | instid1(VALU_DEP_1)
	v_mul_f32_e32 v90, v90, v100
	v_mul_f32_e32 v100, v90, v92
	;; [unrolled: 1-line block ×6, first 2 shown]
	v_and_b32_e32 v101, 0x7f800000, v100
	v_mul_f32_e32 v99, v90, v95
	v_mul_f32_e32 v95, v90, v91
	;; [unrolled: 1-line block ×3, first 2 shown]
                                        ; implicit-def: $vgpr91
	s_delay_alu instid0(VALU_DEP_4)
	v_cmpx_ne_u32_e32 0x7f800000, v101
	s_xor_b32 s2, exec_lo, s2
; %bb.15:
	v_bfe_u32 v91, v100, 16, 1
	s_delay_alu instid0(VALU_DEP_1)
	v_add3_u32 v91, v100, v91, 0x7fff
                                        ; implicit-def: $vgpr100
; %bb.16:
	s_and_not1_saveexec_b32 s2, s2
; %bb.17:
	v_and_b32_e32 v91, 0xffff, v100
	v_or_b32_e32 v93, 0x10000, v100
	s_delay_alu instid0(VALU_DEP_2) | instskip(NEXT) | instid1(VALU_DEP_2)
	v_cmp_eq_u32_e32 vcc_lo, 0, v91
	v_cndmask_b32_e32 v91, v93, v100, vcc_lo
; %bb.18:
	s_or_b32 exec_lo, exec_lo, s2
	v_and_b32_e32 v93, 0x7f800000, v95
	s_delay_alu instid0(VALU_DEP_1) | instskip(SKIP_1) | instid1(SALU_CYCLE_1)
	v_cmp_ne_u32_e32 vcc_lo, 0x7f800000, v93
                                        ; implicit-def: $vgpr93
	s_and_saveexec_b32 s2, vcc_lo
	s_xor_b32 s2, exec_lo, s2
; %bb.19:
	v_bfe_u32 v93, v95, 16, 1
	s_delay_alu instid0(VALU_DEP_1)
	v_add3_u32 v93, v95, v93, 0x7fff
                                        ; implicit-def: $vgpr95
; %bb.20:
	s_and_not1_saveexec_b32 s2, s2
; %bb.21:
	v_and_b32_e32 v93, 0xffff, v95
	v_or_b32_e32 v100, 0x10000, v95
	s_delay_alu instid0(VALU_DEP_2) | instskip(NEXT) | instid1(VALU_DEP_2)
	v_cmp_eq_u32_e32 vcc_lo, 0, v93
	v_cndmask_b32_e32 v93, v100, v95, vcc_lo
; %bb.22:
	s_or_b32 exec_lo, exec_lo, s2
	v_and_b32_e32 v95, 0x7f800000, v96
	s_delay_alu instid0(VALU_DEP_1) | instskip(SKIP_1) | instid1(SALU_CYCLE_1)
	v_cmp_ne_u32_e32 vcc_lo, 0x7f800000, v95
                                        ; implicit-def: $vgpr95
	s_and_saveexec_b32 s2, vcc_lo
	s_xor_b32 s2, exec_lo, s2
; %bb.23:
	v_bfe_u32 v95, v96, 16, 1
	s_delay_alu instid0(VALU_DEP_1)
	v_add3_u32 v95, v96, v95, 0x7fff
                                        ; implicit-def: $vgpr96
; %bb.24:
	s_and_not1_saveexec_b32 s2, s2
; %bb.25:
	v_and_b32_e32 v95, 0xffff, v96
	v_or_b32_e32 v100, 0x10000, v96
	s_delay_alu instid0(VALU_DEP_2) | instskip(NEXT) | instid1(VALU_DEP_2)
	v_cmp_eq_u32_e32 vcc_lo, 0, v95
	v_cndmask_b32_e32 v95, v100, v96, vcc_lo
; %bb.26:
	s_or_b32 exec_lo, exec_lo, s2
	v_and_b32_e32 v96, 0x7f800000, v99
	s_delay_alu instid0(VALU_DEP_1) | instskip(SKIP_1) | instid1(SALU_CYCLE_1)
	v_cmp_ne_u32_e32 vcc_lo, 0x7f800000, v96
                                        ; implicit-def: $vgpr96
	s_and_saveexec_b32 s2, vcc_lo
	s_xor_b32 s2, exec_lo, s2
; %bb.27:
	v_bfe_u32 v96, v99, 16, 1
	s_delay_alu instid0(VALU_DEP_1)
	v_add3_u32 v96, v99, v96, 0x7fff
                                        ; implicit-def: $vgpr99
; %bb.28:
	s_and_not1_saveexec_b32 s2, s2
; %bb.29:
	v_and_b32_e32 v96, 0xffff, v99
	v_or_b32_e32 v100, 0x10000, v99
	s_delay_alu instid0(VALU_DEP_2) | instskip(NEXT) | instid1(VALU_DEP_2)
	v_cmp_eq_u32_e32 vcc_lo, 0, v96
	v_cndmask_b32_e32 v96, v100, v99, vcc_lo
; %bb.30:
	s_or_b32 exec_lo, exec_lo, s2
	v_and_b32_e32 v99, 0x7f800000, v98
	s_delay_alu instid0(VALU_DEP_1) | instskip(SKIP_1) | instid1(SALU_CYCLE_1)
	v_cmp_ne_u32_e32 vcc_lo, 0x7f800000, v99
                                        ; implicit-def: $vgpr99
	s_and_saveexec_b32 s2, vcc_lo
	s_xor_b32 s2, exec_lo, s2
; %bb.31:
	v_bfe_u32 v99, v98, 16, 1
	s_delay_alu instid0(VALU_DEP_1)
	v_add3_u32 v99, v98, v99, 0x7fff
                                        ; implicit-def: $vgpr98
; %bb.32:
	s_and_not1_saveexec_b32 s2, s2
; %bb.33:
	v_and_b32_e32 v99, 0xffff, v98
	v_or_b32_e32 v100, 0x10000, v98
	s_delay_alu instid0(VALU_DEP_2) | instskip(NEXT) | instid1(VALU_DEP_2)
	v_cmp_eq_u32_e32 vcc_lo, 0, v99
	v_cndmask_b32_e32 v99, v100, v98, vcc_lo
; %bb.34:
	s_or_b32 exec_lo, exec_lo, s2
	v_and_b32_e32 v98, 0x7f800000, v97
	s_delay_alu instid0(VALU_DEP_1) | instskip(SKIP_1) | instid1(SALU_CYCLE_1)
	v_cmp_ne_u32_e32 vcc_lo, 0x7f800000, v98
                                        ; implicit-def: $vgpr98
	s_and_saveexec_b32 s2, vcc_lo
	s_xor_b32 s2, exec_lo, s2
; %bb.35:
	v_bfe_u32 v98, v97, 16, 1
	s_delay_alu instid0(VALU_DEP_1)
	v_add3_u32 v98, v97, v98, 0x7fff
                                        ; implicit-def: $vgpr97
; %bb.36:
	s_and_not1_saveexec_b32 s2, s2
; %bb.37:
	v_and_b32_e32 v98, 0xffff, v97
	v_or_b32_e32 v100, 0x10000, v97
	s_delay_alu instid0(VALU_DEP_2) | instskip(NEXT) | instid1(VALU_DEP_2)
	v_cmp_eq_u32_e32 vcc_lo, 0, v98
	v_cndmask_b32_e32 v98, v100, v97, vcc_lo
; %bb.38:
	s_or_b32 exec_lo, exec_lo, s2
	v_and_b32_e32 v97, 0x7f800000, v94
	s_delay_alu instid0(VALU_DEP_1) | instskip(SKIP_1) | instid1(SALU_CYCLE_1)
	v_cmp_ne_u32_e32 vcc_lo, 0x7f800000, v97
                                        ; implicit-def: $vgpr97
	s_and_saveexec_b32 s2, vcc_lo
	s_xor_b32 s2, exec_lo, s2
; %bb.39:
	v_bfe_u32 v97, v94, 16, 1
	s_delay_alu instid0(VALU_DEP_1)
	v_add3_u32 v97, v94, v97, 0x7fff
                                        ; implicit-def: $vgpr94
; %bb.40:
	s_and_not1_saveexec_b32 s2, s2
; %bb.41:
	v_and_b32_e32 v97, 0xffff, v94
	v_or_b32_e32 v100, 0x10000, v94
	s_delay_alu instid0(VALU_DEP_2) | instskip(NEXT) | instid1(VALU_DEP_2)
	v_cmp_eq_u32_e32 vcc_lo, 0, v97
	v_cndmask_b32_e32 v97, v100, v94, vcc_lo
; %bb.42:
	s_or_b32 exec_lo, exec_lo, s2
	v_and_b32_e32 v94, 0x7f800000, v92
	s_delay_alu instid0(VALU_DEP_1) | instskip(SKIP_1) | instid1(SALU_CYCLE_1)
	v_cmp_ne_u32_e32 vcc_lo, 0x7f800000, v94
                                        ; implicit-def: $vgpr94
	s_and_saveexec_b32 s2, vcc_lo
	s_xor_b32 s2, exec_lo, s2
; %bb.43:
	v_bfe_u32 v94, v92, 16, 1
	s_delay_alu instid0(VALU_DEP_1)
	v_add3_u32 v94, v92, v94, 0x7fff
                                        ; implicit-def: $vgpr92
; %bb.44:
	s_and_not1_saveexec_b32 s2, s2
; %bb.45:
	v_and_b32_e32 v94, 0xffff, v92
	v_or_b32_e32 v100, 0x10000, v92
	s_delay_alu instid0(VALU_DEP_2) | instskip(NEXT) | instid1(VALU_DEP_2)
	v_cmp_eq_u32_e32 vcc_lo, 0, v94
	v_cndmask_b32_e32 v94, v100, v92, vcc_lo
; %bb.46:
	s_or_b32 exec_lo, exec_lo, s2
	s_load_b64 s[34:35], s[0:1], 0x94
	v_lshlrev_b32_e32 v92, 4, v83
	s_delay_alu instid0(VALU_DEP_2)
	v_perm_b32 v100, v94, v97, 0x7060302
	v_dual_mul_f32 v89, v90, v89 :: v_dual_lshlrev_b32 v94, 11, v74
	v_perm_b32 v97, v93, v91, 0x7060302
	v_mul_f32_e32 v93, v90, v77
	v_perm_b32 v99, v98, v99, 0x7060302
	v_perm_b32 v98, v96, v95, 0x7060302
	v_or3_b32 v77, v92, v94, v85
	v_mul_f32_e32 v88, v90, v88
	v_dual_mul_f32 v87, v90, v87 :: v_dual_and_b32 v94, 0x7f800000, v93
	v_mul_f32_e32 v86, v90, v86
	v_mul_f32_e32 v91, v90, v80
	;; [unrolled: 1-line block ×4, first 2 shown]
	s_mov_b32 s2, exec_lo
	ds_store_b128 v77, v[97:100]
                                        ; implicit-def: $vgpr78
	v_cmpx_ne_u32_e32 0x7f800000, v94
	s_xor_b32 s2, exec_lo, s2
; %bb.47:
	v_bfe_u32 v78, v93, 16, 1
	s_delay_alu instid0(VALU_DEP_1)
	v_add3_u32 v78, v93, v78, 0x7fff
                                        ; implicit-def: $vgpr93
; %bb.48:
	s_and_not1_saveexec_b32 s2, s2
; %bb.49:
	v_and_b32_e32 v78, 0xffff, v93
	v_or_b32_e32 v79, 0x10000, v93
	s_delay_alu instid0(VALU_DEP_2) | instskip(NEXT) | instid1(VALU_DEP_2)
	v_cmp_eq_u32_e32 vcc_lo, 0, v78
	v_cndmask_b32_e32 v78, v79, v93, vcc_lo
; %bb.50:
	s_or_b32 exec_lo, exec_lo, s2
	v_and_b32_e32 v79, 0x7f800000, v80
	s_delay_alu instid0(VALU_DEP_1) | instskip(SKIP_1) | instid1(SALU_CYCLE_1)
	v_cmp_ne_u32_e32 vcc_lo, 0x7f800000, v79
                                        ; implicit-def: $vgpr79
	s_and_saveexec_b32 s2, vcc_lo
	s_xor_b32 s2, exec_lo, s2
; %bb.51:
	v_bfe_u32 v79, v80, 16, 1
	s_delay_alu instid0(VALU_DEP_1)
	v_add3_u32 v79, v80, v79, 0x7fff
                                        ; implicit-def: $vgpr80
; %bb.52:
	s_and_not1_saveexec_b32 s2, s2
; %bb.53:
	v_and_b32_e32 v79, 0xffff, v80
	v_or_b32_e32 v90, 0x10000, v80
	s_delay_alu instid0(VALU_DEP_2) | instskip(NEXT) | instid1(VALU_DEP_2)
	v_cmp_eq_u32_e32 vcc_lo, 0, v79
	v_cndmask_b32_e32 v79, v90, v80, vcc_lo
; %bb.54:
	s_or_b32 exec_lo, exec_lo, s2
	v_and_b32_e32 v80, 0x7f800000, v92
	s_delay_alu instid0(VALU_DEP_1) | instskip(SKIP_1) | instid1(SALU_CYCLE_1)
	v_cmp_ne_u32_e32 vcc_lo, 0x7f800000, v80
                                        ; implicit-def: $vgpr80
	s_and_saveexec_b32 s2, vcc_lo
	s_xor_b32 s2, exec_lo, s2
; %bb.55:
	v_bfe_u32 v80, v92, 16, 1
	s_delay_alu instid0(VALU_DEP_1)
	v_add3_u32 v80, v92, v80, 0x7fff
                                        ; implicit-def: $vgpr92
; %bb.56:
	s_and_not1_saveexec_b32 s2, s2
; %bb.57:
	v_and_b32_e32 v80, 0xffff, v92
	v_or_b32_e32 v90, 0x10000, v92
	s_delay_alu instid0(VALU_DEP_2) | instskip(NEXT) | instid1(VALU_DEP_2)
	v_cmp_eq_u32_e32 vcc_lo, 0, v80
	v_cndmask_b32_e32 v80, v90, v92, vcc_lo
; %bb.58:
	s_or_b32 exec_lo, exec_lo, s2
	v_and_b32_e32 v90, 0x7f800000, v91
	s_delay_alu instid0(VALU_DEP_1) | instskip(SKIP_1) | instid1(SALU_CYCLE_1)
	v_cmp_ne_u32_e32 vcc_lo, 0x7f800000, v90
                                        ; implicit-def: $vgpr90
	s_and_saveexec_b32 s2, vcc_lo
	s_xor_b32 s2, exec_lo, s2
; %bb.59:
	v_bfe_u32 v90, v91, 16, 1
	s_delay_alu instid0(VALU_DEP_1)
	v_add3_u32 v90, v91, v90, 0x7fff
                                        ; implicit-def: $vgpr91
; %bb.60:
	s_and_not1_saveexec_b32 s2, s2
; %bb.61:
	v_and_b32_e32 v90, 0xffff, v91
	v_or_b32_e32 v92, 0x10000, v91
	s_delay_alu instid0(VALU_DEP_2) | instskip(NEXT) | instid1(VALU_DEP_2)
	v_cmp_eq_u32_e32 vcc_lo, 0, v90
	v_cndmask_b32_e32 v90, v92, v91, vcc_lo
; %bb.62:
	s_or_b32 exec_lo, exec_lo, s2
	v_and_b32_e32 v91, 0x7f800000, v86
	s_delay_alu instid0(VALU_DEP_1) | instskip(SKIP_1) | instid1(SALU_CYCLE_1)
	v_cmp_ne_u32_e32 vcc_lo, 0x7f800000, v91
                                        ; implicit-def: $vgpr91
	s_and_saveexec_b32 s2, vcc_lo
	s_xor_b32 s2, exec_lo, s2
; %bb.63:
	v_bfe_u32 v91, v86, 16, 1
	s_delay_alu instid0(VALU_DEP_1)
	v_add3_u32 v91, v86, v91, 0x7fff
                                        ; implicit-def: $vgpr86
; %bb.64:
	s_and_not1_saveexec_b32 s2, s2
; %bb.65:
	v_and_b32_e32 v91, 0xffff, v86
	v_or_b32_e32 v92, 0x10000, v86
	s_delay_alu instid0(VALU_DEP_2) | instskip(NEXT) | instid1(VALU_DEP_2)
	v_cmp_eq_u32_e32 vcc_lo, 0, v91
	v_cndmask_b32_e32 v91, v92, v86, vcc_lo
; %bb.66:
	s_or_b32 exec_lo, exec_lo, s2
	v_and_b32_e32 v86, 0x7f800000, v87
	s_delay_alu instid0(VALU_DEP_1) | instskip(SKIP_1) | instid1(SALU_CYCLE_1)
	v_cmp_ne_u32_e32 vcc_lo, 0x7f800000, v86
                                        ; implicit-def: $vgpr86
	s_and_saveexec_b32 s2, vcc_lo
	s_xor_b32 s2, exec_lo, s2
; %bb.67:
	v_bfe_u32 v86, v87, 16, 1
	s_delay_alu instid0(VALU_DEP_1)
	v_add3_u32 v86, v87, v86, 0x7fff
                                        ; implicit-def: $vgpr87
; %bb.68:
	s_and_not1_saveexec_b32 s2, s2
; %bb.69:
	v_and_b32_e32 v86, 0xffff, v87
	v_or_b32_e32 v92, 0x10000, v87
	s_delay_alu instid0(VALU_DEP_2) | instskip(NEXT) | instid1(VALU_DEP_2)
	v_cmp_eq_u32_e32 vcc_lo, 0, v86
	v_cndmask_b32_e32 v86, v92, v87, vcc_lo
; %bb.70:
	s_or_b32 exec_lo, exec_lo, s2
	v_and_b32_e32 v87, 0x7f800000, v88
	s_delay_alu instid0(VALU_DEP_1) | instskip(SKIP_1) | instid1(SALU_CYCLE_1)
	v_cmp_ne_u32_e32 vcc_lo, 0x7f800000, v87
                                        ; implicit-def: $vgpr87
	s_and_saveexec_b32 s2, vcc_lo
	s_xor_b32 s2, exec_lo, s2
; %bb.71:
	v_bfe_u32 v87, v88, 16, 1
	s_delay_alu instid0(VALU_DEP_1)
	v_add3_u32 v87, v88, v87, 0x7fff
                                        ; implicit-def: $vgpr88
; %bb.72:
	s_and_not1_saveexec_b32 s2, s2
; %bb.73:
	v_and_b32_e32 v87, 0xffff, v88
	v_or_b32_e32 v92, 0x10000, v88
	s_delay_alu instid0(VALU_DEP_2) | instskip(NEXT) | instid1(VALU_DEP_2)
	v_cmp_eq_u32_e32 vcc_lo, 0, v87
	v_cndmask_b32_e32 v87, v92, v88, vcc_lo
; %bb.74:
	s_or_b32 exec_lo, exec_lo, s2
	v_and_b32_e32 v88, 0x7f800000, v89
	s_delay_alu instid0(VALU_DEP_1) | instskip(SKIP_1) | instid1(SALU_CYCLE_1)
	v_cmp_ne_u32_e32 vcc_lo, 0x7f800000, v88
                                        ; implicit-def: $vgpr88
	s_and_saveexec_b32 s2, vcc_lo
	s_xor_b32 s2, exec_lo, s2
; %bb.75:
	v_bfe_u32 v88, v89, 16, 1
	s_delay_alu instid0(VALU_DEP_1)
	v_add3_u32 v88, v89, v88, 0x7fff
                                        ; implicit-def: $vgpr89
; %bb.76:
	s_and_not1_saveexec_b32 s2, s2
; %bb.77:
	v_and_b32_e32 v88, 0xffff, v89
	v_or_b32_e32 v92, 0x10000, v89
	s_delay_alu instid0(VALU_DEP_2) | instskip(NEXT) | instid1(VALU_DEP_2)
	v_cmp_eq_u32_e32 vcc_lo, 0, v88
	v_cndmask_b32_e32 v88, v92, v89, vcc_lo
; %bb.78:
	s_or_b32 exec_lo, exec_lo, s2
	s_delay_alu instid0(VALU_DEP_1)
	v_perm_b32 v89, v88, v87, 0x7060302
	v_perm_b32 v88, v86, v91, 0x7060302
	;; [unrolled: 1-line block ×4, first 2 shown]
	v_lshl_or_b32 v90, v74, 11, v85
	ds_store_b128 v77, v[86:89] offset:1024
	s_waitcnt lgkmcnt(0)
	s_barrier
	buffer_gl0_inv
	ds_load_b128 v[91:94], v90
	ds_load_b128 v[95:98], v90 offset:16
	v_lshlrev_b32_e32 v87, 2, v83
	s_delay_alu instid0(VALU_DEP_1)
	v_or_b32_e32 v88, 1, v87
	v_cmp_eq_u32_e32 vcc_lo, 1, v87
	v_cmp_eq_u32_e64 s3, 2, v87
	v_cmp_eq_u32_e64 s6, 3, v87
	;; [unrolled: 1-line block ×6, first 2 shown]
	v_or_b32_e32 v86, 2, v87
	v_cmp_eq_u32_e64 s9, 5, v87
	v_cmp_eq_u32_e64 s10, 4, v88
	;; [unrolled: 1-line block ×4, first 2 shown]
	s_waitcnt lgkmcnt(1)
	v_lshrrev_b32_e32 v74, 16, v91
	s_waitcnt lgkmcnt(0)
	v_lshrrev_b32_e32 v103, 16, v95
	v_lshrrev_b32_e32 v80, 16, v94
	;; [unrolled: 1-line block ×4, first 2 shown]
	v_cndmask_b32_e32 v89, v91, v74, vcc_lo
	v_cndmask_b32_e32 v99, v95, v103, vcc_lo
	v_cndmask_b32_e64 v100, v91, v74, s2
	v_lshrrev_b32_e32 v79, 16, v93
	v_lshrrev_b32_e32 v108, 16, v97
	v_cndmask_b32_e64 v89, v89, v92, s3
	v_cndmask_b32_e64 v99, v99, v96, s3
	;; [unrolled: 1-line block ×4, first 2 shown]
	v_cmp_eq_u32_e64 s4, 1, v86
	v_cndmask_b32_e64 v89, v89, v78, s6
	v_cndmask_b32_e64 v99, v99, v107, s6
	v_cndmask_b32_e64 v100, v100, v78, s7
	v_cndmask_b32_e64 v101, v101, v96, s5
	v_lshrrev_b32_e32 v109, 16, v98
	v_cndmask_b32_e64 v89, v89, v93, s8
	v_cndmask_b32_e64 v99, v99, v97, s8
	;; [unrolled: 1-line block ×8, first 2 shown]
	v_cmp_eq_u32_e64 s13, 7, v87
	v_cmp_eq_u32_e64 s15, 6, v88
	v_cndmask_b32_e64 v89, v89, v94, s11
	v_cndmask_b32_e64 v99, v99, v98, s11
	v_cmp_eq_u32_e64 s16, 2, v86
	v_cndmask_b32_e64 v101, v101, v97, s10
	v_cndmask_b32_e64 v100, v100, v94, s15
	;; [unrolled: 1-line block ×6, first 2 shown]
	v_cmp_eq_u32_e64 s17, 7, v88
	v_cmp_eq_u32_e64 s18, 3, v86
	;; [unrolled: 1-line block ×4, first 2 shown]
	v_cndmask_b32_e64 v99, v99, v96, s16
	v_cndmask_b32_e64 v112, v100, v80, s17
	;; [unrolled: 1-line block ×4, first 2 shown]
	v_or_b32_e32 v89, 3, v87
	v_cndmask_b32_e64 v105, v99, v107, s18
	v_cmp_eq_u32_e64 s23, 6, v86
	v_cndmask_b32_e64 v113, v100, v98, s15
	v_cndmask_b32_e64 v104, v101, v93, s19
	ds_load_b128 v[99:102], v90 offset:1024
	v_cmp_eq_u32_e64 s20, 1, v89
	v_cmp_eq_u32_e64 s22, 2, v89
	;; [unrolled: 1-line block ×3, first 2 shown]
	v_cndmask_b32_e64 v114, v104, v79, s21
	v_cmp_eq_u32_e64 s25, 4, v89
	v_cndmask_b32_e64 v74, v91, v74, s20
	v_cndmask_b32_e64 v91, v105, v97, s19
	;; [unrolled: 1-line block ×3, first 2 shown]
	ds_load_b128 v[103:106], v90 offset:1040
	v_cmp_eq_u32_e64 s27, 5, v89
	v_cndmask_b32_e64 v74, v74, v92, s22
	v_cndmask_b32_e64 v91, v91, v108, s21
	;; [unrolled: 1-line block ×3, first 2 shown]
	v_cmp_eq_u32_e64 s28, 6, v89
	v_cndmask_b32_e64 v95, v113, v109, s17
	v_cndmask_b32_e64 v74, v74, v78, s24
	;; [unrolled: 1-line block ×5, first 2 shown]
	s_waitcnt lgkmcnt(1)
	v_lshrrev_b32_e32 v96, 16, v99
	v_cndmask_b32_e64 v74, v74, v93, s25
	v_lshrrev_b32_e32 v107, 16, v100
	v_cndmask_b32_e64 v92, v92, v97, s25
	v_cmp_eq_u32_e64 s26, 7, v86
	v_cndmask_b32_e32 v93, v99, v96, vcc_lo
	v_cndmask_b32_e64 v74, v74, v79, s27
	s_delay_alu instid0(VALU_DEP_4)
	v_cndmask_b32_e64 v79, v92, v108, s27
	s_waitcnt lgkmcnt(0)
	v_lshrrev_b32_e32 v97, 16, v103
	v_cndmask_b32_e64 v92, v93, v100, s3
	v_cndmask_b32_e64 v93, v99, v96, s2
	;; [unrolled: 1-line block ×4, first 2 shown]
	v_cndmask_b32_e32 v108, v103, v97, vcc_lo
	v_cndmask_b32_e64 v92, v92, v107, s6
	v_cndmask_b32_e64 v93, v93, v100, s5
	v_lshrrev_b32_e32 v98, 16, v104
	v_cmp_eq_u32_e32 vcc_lo, 7, v89
	v_cndmask_b32_e64 v94, v108, v104, s3
	v_cndmask_b32_e64 v92, v92, v101, s8
	v_lshrrev_b32_e32 v108, 16, v101
	v_cndmask_b32_e64 v93, v93, v107, s7
	v_cndmask_b32_e32 v74, v74, v80, vcc_lo
	v_cndmask_b32_e64 v94, v94, v98, s6
	v_cndmask_b32_e32 v79, v79, v109, vcc_lo
	v_cndmask_b32_e64 v92, v92, v108, s9
	v_cndmask_b32_e64 v78, v78, v80, s26
	;; [unrolled: 1-line block ×4, first 2 shown]
	v_perm_b32 v94, v79, v74, 0x5040100
	v_cndmask_b32_e64 v79, v92, v102, s11
	v_perm_b32 v92, v95, v112, 0x5040100
	v_cndmask_b32_e64 v95, v99, v96, s4
	v_cndmask_b32_e64 v96, v99, v96, s20
	;; [unrolled: 1-line block ×16, first 2 shown]
	v_lshrrev_b32_e32 v109, 16, v105
	v_cndmask_b32_e64 v95, v95, v101, s19
	v_cndmask_b32_e64 v96, v96, v101, s25
	;; [unrolled: 1-line block ×6, first 2 shown]
	v_lshrrev_b32_e32 v80, 16, v102
	v_cndmask_b32_e64 v113, v93, v109, s9
	v_cndmask_b32_e64 v95, v95, v108, s21
	;; [unrolled: 1-line block ×6, first 2 shown]
	v_perm_b32 v93, v91, v78, 0x5040100
	v_cndmask_b32_e64 v74, v74, v102, s15
	v_cndmask_b32_e64 v78, v79, v80, s13
	;; [unrolled: 1-line block ×3, first 2 shown]
	v_lshrrev_b32_e32 v91, 16, v106
	v_cndmask_b32_e64 v95, v95, v102, s23
	v_cndmask_b32_e64 v96, v96, v102, s28
	;; [unrolled: 1-line block ×7, first 2 shown]
	v_cndmask_b32_e32 v80, v96, v80, vcc_lo
	v_cndmask_b32_e32 v96, v98, v91, vcc_lo
	v_cndmask_b32_e64 v99, v99, v91, s26
	v_cndmask_b32_e64 v100, v97, v91, s17
	;; [unrolled: 1-line block ×3, first 2 shown]
	v_perm_b32 v91, v111, v110, 0x5040100
	v_perm_b32 v98, v96, v80, 0x5040100
	;; [unrolled: 1-line block ×5, first 2 shown]
	s_mul_i32 s7, s35, 10
	s_mov_b32 s2, exec_lo
	ds_store_b128 v77, v[91:94]
	ds_store_b128 v77, v[95:98] offset:1024
	v_cmpx_gt_u32_e32 10, v0
	s_cbranch_execz .LBB719_80
; %bb.79:
	s_mul_i32 s3, s7, s30
	s_load_b128 s[8:11], s[0:1], 0x58
	v_add3_u32 v77, s3, s29, v73
	s_delay_alu instid0(VALU_DEP_1) | instskip(NEXT) | instid1(VALU_DEP_1)
	v_mad_u64_u32 v[73:74], null, v77, s34, s[14:15]
	v_ashrrev_i32_e32 v74, 31, v73
	s_delay_alu instid0(VALU_DEP_1) | instskip(SKIP_1) | instid1(VALU_DEP_1)
	v_lshlrev_b64 v[73:74], 2, v[73:74]
	s_waitcnt lgkmcnt(0)
	v_add_co_u32 v77, vcc_lo, s10, v73
	s_delay_alu instid0(VALU_DEP_2)
	v_add_co_ci_u32_e32 v78, vcc_lo, s11, v74, vcc_lo
	v_add_co_u32 v73, vcc_lo, s8, v73
	v_add_co_ci_u32_e32 v74, vcc_lo, s9, v74, vcc_lo
	global_store_b32 v[77:78], v75, off
	global_store_b32 v[73:74], v76, off
.LBB719_80:
	s_or_b32 exec_lo, exec_lo, s2
	s_waitcnt lgkmcnt(0)
	s_waitcnt_vscnt null, 0x0
	s_barrier
	buffer_gl0_inv
	ds_load_b128 v[91:94], v85
	ds_load_b128 v[95:98], v85 offset:16
	ds_load_b128 v[103:106], v85 offset:1040
	;; [unrolled: 1-line block ×3, first 2 shown]
	v_mov_b32_e32 v73, 0
	ds_load_b128 v[111:114], v85 offset:2064
	ds_load_b128 v[107:110], v85 offset:2048
	;; [unrolled: 1-line block ×6, first 2 shown]
	v_mov_b32_e32 v74, v73
	v_mov_b32_e32 v75, v73
	;; [unrolled: 1-line block ×7, first 2 shown]
	s_waitcnt lgkmcnt(8)
	s_delay_alu instid0(VALU_DEP_1)
	v_wmma_f32_16x16x16_bf16 v[73:80], v[65:72], v[91:98], v[73:80]
	ds_load_b128 v[69:72], v85 offset:5136
	ds_load_b128 v[65:68], v85 offset:5120
	;; [unrolled: 1-line block ×4, first 2 shown]
	s_waitcnt lgkmcnt(10)
	v_wmma_f32_16x16x16_bf16 v[73:80], v[57:64], v[99:106], v[73:80]
	s_waitcnt lgkmcnt(8)
	s_delay_alu instid0(VALU_DEP_1)
	v_wmma_f32_16x16x16_bf16 v[73:80], v[57:64], v[107:114], v[73:80]
	ds_load_b128 v[61:64], v85 offset:7184
	ds_load_b128 v[57:60], v85 offset:7168
	ds_load_b128 v[103:106], v85 offset:8208
	ds_load_b128 v[99:102], v85 offset:8192
	s_waitcnt lgkmcnt(10)
	v_wmma_f32_16x16x16_bf16 v[73:80], v[49:56], v[115:122], v[73:80]
	s_waitcnt lgkmcnt(8)
	s_delay_alu instid0(VALU_DEP_1)
	v_wmma_f32_16x16x16_bf16 v[73:80], v[49:56], v[123:130], v[73:80]
	ds_load_b128 v[53:56], v85 offset:9232
	ds_load_b128 v[49:52], v85 offset:9216
	s_waitcnt lgkmcnt(8)
	v_wmma_f32_16x16x16_bf16 v[73:80], v[41:48], v[65:72], v[73:80]
	ds_load_b128 v[69:72], v85 offset:10256
	ds_load_b128 v[65:68], v85 offset:10240
	s_waitcnt lgkmcnt(8)
	;; [unrolled: 4-line block ×3, first 2 shown]
	v_wmma_f32_16x16x16_bf16 v[73:80], v[9:16], v[57:64], v[73:80]
	s_waitcnt lgkmcnt(6)
	s_delay_alu instid0(VALU_DEP_1)
	v_wmma_f32_16x16x16_bf16 v[73:80], v[9:16], v[99:106], v[73:80]
	ds_load_b128 v[13:16], v85 offset:12304
	ds_load_b128 v[9:12], v85 offset:12288
	s_waitcnt lgkmcnt(6)
	v_wmma_f32_16x16x16_bf16 v[73:80], v[1:8], v[49:56], v[73:80]
	ds_load_b128 v[53:56], v85 offset:13328
	ds_load_b128 v[49:52], v85 offset:13312
	s_waitcnt lgkmcnt(6)
	v_wmma_f32_16x16x16_bf16 v[73:80], v[1:8], v[65:72], v[73:80]
	ds_load_b128 v[5:8], v85 offset:14352
	ds_load_b128 v[1:4], v85 offset:14336
	s_waitcnt lgkmcnt(6)
	v_wmma_f32_16x16x16_bf16 v[73:80], v[33:40], v[41:48], v[73:80]
	ds_load_b128 v[45:48], v85 offset:15376
	ds_load_b128 v[41:44], v85 offset:15360
	s_waitcnt lgkmcnt(6)
	v_wmma_f32_16x16x16_bf16 v[73:80], v[33:40], v[9:16], v[73:80]
	s_waitcnt lgkmcnt(4)
	s_delay_alu instid0(VALU_DEP_1) | instskip(SKIP_1) | instid1(VALU_DEP_1)
	v_wmma_f32_16x16x16_bf16 v[73:80], v[25:32], v[49:56], v[73:80]
	s_waitcnt lgkmcnt(2)
	v_wmma_f32_16x16x16_bf16 v[73:80], v[25:32], v[1:8], v[73:80]
	s_waitcnt lgkmcnt(0)
	s_delay_alu instid0(VALU_DEP_1) | instskip(NEXT) | instid1(VALU_DEP_1)
	v_wmma_f32_16x16x16_bf16 v[73:80], v[17:24], v[41:48], v[73:80]
	v_and_b32_e32 v1, 0x7f800000, v73
	s_delay_alu instid0(VALU_DEP_1) | instskip(SKIP_1) | instid1(SALU_CYCLE_1)
	v_cmp_ne_u32_e32 vcc_lo, 0x7f800000, v1
                                        ; implicit-def: $vgpr1
	s_and_saveexec_b32 s2, vcc_lo
	s_xor_b32 s2, exec_lo, s2
; %bb.81:
	v_bfe_u32 v1, v73, 16, 1
	s_delay_alu instid0(VALU_DEP_1)
	v_add3_u32 v1, v73, v1, 0x7fff
; %bb.82:
	s_and_not1_saveexec_b32 s2, s2
; %bb.83:
	v_and_b32_e32 v1, 0xffff, v73
	v_or_b32_e32 v2, 0x10000, v73
	s_delay_alu instid0(VALU_DEP_2) | instskip(NEXT) | instid1(VALU_DEP_2)
	v_cmp_eq_u32_e32 vcc_lo, 0, v1
	v_cndmask_b32_e32 v1, v2, v73, vcc_lo
; %bb.84:
	s_or_b32 exec_lo, exec_lo, s2
	v_and_b32_e32 v2, 0x7f800000, v74
	s_delay_alu instid0(VALU_DEP_1) | instskip(SKIP_1) | instid1(SALU_CYCLE_1)
	v_cmp_ne_u32_e32 vcc_lo, 0x7f800000, v2
                                        ; implicit-def: $vgpr2
	s_and_saveexec_b32 s2, vcc_lo
	s_xor_b32 s2, exec_lo, s2
; %bb.85:
	v_bfe_u32 v2, v74, 16, 1
	s_delay_alu instid0(VALU_DEP_1)
	v_add3_u32 v2, v74, v2, 0x7fff
; %bb.86:
	s_and_not1_saveexec_b32 s2, s2
; %bb.87:
	v_and_b32_e32 v2, 0xffff, v74
	v_or_b32_e32 v3, 0x10000, v74
	s_delay_alu instid0(VALU_DEP_2) | instskip(NEXT) | instid1(VALU_DEP_2)
	v_cmp_eq_u32_e32 vcc_lo, 0, v2
	v_cndmask_b32_e32 v2, v3, v74, vcc_lo
; %bb.88:
	s_or_b32 exec_lo, exec_lo, s2
	v_and_b32_e32 v3, 0x7f800000, v75
	s_delay_alu instid0(VALU_DEP_1) | instskip(SKIP_1) | instid1(SALU_CYCLE_1)
	v_cmp_ne_u32_e32 vcc_lo, 0x7f800000, v3
                                        ; implicit-def: $vgpr3
	s_and_saveexec_b32 s2, vcc_lo
	s_xor_b32 s2, exec_lo, s2
; %bb.89:
	v_bfe_u32 v3, v75, 16, 1
	s_delay_alu instid0(VALU_DEP_1)
	v_add3_u32 v3, v75, v3, 0x7fff
; %bb.90:
	s_and_not1_saveexec_b32 s2, s2
; %bb.91:
	v_and_b32_e32 v3, 0xffff, v75
	v_or_b32_e32 v4, 0x10000, v75
	s_delay_alu instid0(VALU_DEP_2) | instskip(NEXT) | instid1(VALU_DEP_2)
	v_cmp_eq_u32_e32 vcc_lo, 0, v3
	v_cndmask_b32_e32 v3, v4, v75, vcc_lo
; %bb.92:
	s_or_b32 exec_lo, exec_lo, s2
	v_and_b32_e32 v4, 0x7f800000, v76
	s_delay_alu instid0(VALU_DEP_1) | instskip(SKIP_1) | instid1(SALU_CYCLE_1)
	v_cmp_ne_u32_e32 vcc_lo, 0x7f800000, v4
                                        ; implicit-def: $vgpr4
	s_and_saveexec_b32 s2, vcc_lo
	s_xor_b32 s2, exec_lo, s2
; %bb.93:
	v_bfe_u32 v4, v76, 16, 1
	s_delay_alu instid0(VALU_DEP_1)
	v_add3_u32 v4, v76, v4, 0x7fff
; %bb.94:
	s_and_not1_saveexec_b32 s2, s2
; %bb.95:
	v_and_b32_e32 v4, 0xffff, v76
	v_or_b32_e32 v5, 0x10000, v76
	s_delay_alu instid0(VALU_DEP_2) | instskip(NEXT) | instid1(VALU_DEP_2)
	v_cmp_eq_u32_e32 vcc_lo, 0, v4
	v_cndmask_b32_e32 v4, v5, v76, vcc_lo
; %bb.96:
	s_or_b32 exec_lo, exec_lo, s2
	v_and_b32_e32 v5, 0x7f800000, v77
	s_delay_alu instid0(VALU_DEP_1) | instskip(SKIP_1) | instid1(SALU_CYCLE_1)
	v_cmp_ne_u32_e32 vcc_lo, 0x7f800000, v5
                                        ; implicit-def: $vgpr5
	s_and_saveexec_b32 s2, vcc_lo
	s_xor_b32 s2, exec_lo, s2
; %bb.97:
	v_bfe_u32 v5, v77, 16, 1
	s_delay_alu instid0(VALU_DEP_1)
	v_add3_u32 v5, v77, v5, 0x7fff
; %bb.98:
	s_and_not1_saveexec_b32 s2, s2
; %bb.99:
	v_and_b32_e32 v5, 0xffff, v77
	v_or_b32_e32 v6, 0x10000, v77
	s_delay_alu instid0(VALU_DEP_2) | instskip(NEXT) | instid1(VALU_DEP_2)
	v_cmp_eq_u32_e32 vcc_lo, 0, v5
	v_cndmask_b32_e32 v5, v6, v77, vcc_lo
; %bb.100:
	s_or_b32 exec_lo, exec_lo, s2
	v_and_b32_e32 v6, 0x7f800000, v78
	s_delay_alu instid0(VALU_DEP_1) | instskip(SKIP_1) | instid1(SALU_CYCLE_1)
	v_cmp_ne_u32_e32 vcc_lo, 0x7f800000, v6
                                        ; implicit-def: $vgpr6
	s_and_saveexec_b32 s2, vcc_lo
	s_xor_b32 s2, exec_lo, s2
; %bb.101:
	v_bfe_u32 v6, v78, 16, 1
	s_delay_alu instid0(VALU_DEP_1)
	v_add3_u32 v6, v78, v6, 0x7fff
; %bb.102:
	s_and_not1_saveexec_b32 s2, s2
; %bb.103:
	v_and_b32_e32 v6, 0xffff, v78
	v_or_b32_e32 v7, 0x10000, v78
	s_delay_alu instid0(VALU_DEP_2) | instskip(NEXT) | instid1(VALU_DEP_2)
	v_cmp_eq_u32_e32 vcc_lo, 0, v6
	v_cndmask_b32_e32 v6, v7, v78, vcc_lo
; %bb.104:
	s_or_b32 exec_lo, exec_lo, s2
	v_and_b32_e32 v7, 0x7f800000, v79
	s_delay_alu instid0(VALU_DEP_1) | instskip(SKIP_1) | instid1(SALU_CYCLE_1)
	v_cmp_ne_u32_e32 vcc_lo, 0x7f800000, v7
                                        ; implicit-def: $vgpr7
	s_and_saveexec_b32 s2, vcc_lo
	s_xor_b32 s2, exec_lo, s2
; %bb.105:
	v_bfe_u32 v7, v79, 16, 1
	s_delay_alu instid0(VALU_DEP_1)
	v_add3_u32 v7, v79, v7, 0x7fff
; %bb.106:
	s_and_not1_saveexec_b32 s2, s2
; %bb.107:
	v_and_b32_e32 v7, 0xffff, v79
	v_or_b32_e32 v8, 0x10000, v79
	s_delay_alu instid0(VALU_DEP_2) | instskip(NEXT) | instid1(VALU_DEP_2)
	v_cmp_eq_u32_e32 vcc_lo, 0, v7
	v_cndmask_b32_e32 v7, v8, v79, vcc_lo
; %bb.108:
	s_or_b32 exec_lo, exec_lo, s2
	v_and_b32_e32 v8, 0x7f800000, v80
	s_delay_alu instid0(VALU_DEP_1) | instskip(SKIP_1) | instid1(SALU_CYCLE_1)
	v_cmp_ne_u32_e32 vcc_lo, 0x7f800000, v8
                                        ; implicit-def: $vgpr8
	s_and_saveexec_b32 s2, vcc_lo
	s_xor_b32 s2, exec_lo, s2
; %bb.109:
	v_bfe_u32 v8, v80, 16, 1
	s_delay_alu instid0(VALU_DEP_1)
	v_add3_u32 v8, v80, v8, 0x7fff
                                        ; implicit-def: $vgpr73_vgpr74_vgpr75_vgpr76_vgpr77_vgpr78_vgpr79_vgpr80
; %bb.110:
	s_and_not1_saveexec_b32 s2, s2
; %bb.111:
	v_and_b32_e32 v8, 0xffff, v80
	v_or_b32_e32 v9, 0x10000, v80
	s_delay_alu instid0(VALU_DEP_2) | instskip(NEXT) | instid1(VALU_DEP_2)
	v_cmp_eq_u32_e32 vcc_lo, 0, v8
	v_cndmask_b32_e32 v8, v9, v80, vcc_lo
; %bb.112:
	s_or_b32 exec_lo, exec_lo, s2
	s_delay_alu instid0(VALU_DEP_1)
	v_perm_b32 v7, v8, v7, 0x7060302
	v_perm_b32 v6, v6, v5, 0x7060302
	;; [unrolled: 1-line block ×4, first 2 shown]
	v_lshl_or_b32 v9, v83, 4, v90
	s_barrier
	buffer_gl0_inv
	v_cmp_eq_u32_e32 vcc_lo, 1, v87
	ds_store_b128 v9, v[4:7]
	s_waitcnt lgkmcnt(0)
	s_barrier
	buffer_gl0_inv
	ds_load_b128 v[1:4], v90
	ds_load_b128 v[5:8], v90 offset:16
	v_cmp_eq_u32_e64 s3, 2, v87
	v_cmp_eq_u32_e64 s2, 1, v88
	;; [unrolled: 1-line block ×5, first 2 shown]
	s_waitcnt lgkmcnt(1)
	v_lshrrev_b32_e32 v10, 16, v1
	s_waitcnt lgkmcnt(0)
	v_lshrrev_b32_e32 v14, 16, v5
	v_lshrrev_b32_e32 v15, 16, v6
	;; [unrolled: 1-line block ×4, first 2 shown]
	v_cndmask_b32_e64 v20, v1, v10, s2
	v_cndmask_b32_e32 v19, v5, v14, vcc_lo
	v_cndmask_b32_e64 v21, v5, v14, s2
	v_lshrrev_b32_e32 v16, 16, v7
	v_cmp_eq_u32_e64 s2, 1, v86
	v_lshrrev_b32_e32 v13, 16, v4
	v_cndmask_b32_e64 v19, v19, v6, s3
	v_lshrrev_b32_e32 v17, 16, v8
	s_delay_alu instid0(VALU_DEP_4) | instskip(SKIP_1) | instid1(VALU_DEP_4)
	v_cndmask_b32_e64 v22, v1, v10, s2
	v_cndmask_b32_e64 v23, v5, v14, s2
	;; [unrolled: 1-line block ×3, first 2 shown]
	v_cndmask_b32_e32 v18, v1, v10, vcc_lo
	v_cmp_eq_u32_e32 vcc_lo, 2, v88
	v_cmp_eq_u32_e64 s2, 2, v89
	v_cndmask_b32_e64 v22, v22, v2, s6
	v_cndmask_b32_e32 v20, v20, v2, vcc_lo
	v_cndmask_b32_e32 v21, v21, v6, vcc_lo
	v_cmp_eq_u32_e32 vcc_lo, 4, v87
	v_cndmask_b32_e32 v19, v19, v7, vcc_lo
	v_cndmask_b32_e64 v18, v18, v2, s3
	v_cmp_eq_u32_e64 s3, 3, v88
	s_delay_alu instid0(VALU_DEP_2) | instskip(NEXT) | instid1(VALU_DEP_2)
	v_cndmask_b32_e64 v18, v18, v11, s4
	v_cndmask_b32_e64 v21, v21, v15, s3
	v_cmp_eq_u32_e64 s4, 5, v87
	s_delay_alu instid0(VALU_DEP_3) | instskip(SKIP_1) | instid1(VALU_DEP_3)
	v_cndmask_b32_e32 v18, v18, v3, vcc_lo
	v_cmp_eq_u32_e32 vcc_lo, 4, v88
	v_cndmask_b32_e64 v19, v19, v16, s4
	s_delay_alu instid0(VALU_DEP_3) | instskip(SKIP_4) | instid1(VALU_DEP_3)
	v_cndmask_b32_e64 v18, v18, v12, s4
	v_cndmask_b32_e32 v21, v21, v7, vcc_lo
	v_cndmask_b32_e64 v20, v20, v11, s3
	v_cmp_eq_u32_e64 s3, 5, v88
	v_cmp_eq_u32_e64 s4, 6, v87
	v_cndmask_b32_e32 v20, v20, v3, vcc_lo
	s_delay_alu instid0(VALU_DEP_3) | instskip(SKIP_1) | instid1(VALU_DEP_4)
	v_cndmask_b32_e64 v21, v21, v16, s3
	v_cmp_eq_u32_e32 vcc_lo, 6, v88
	v_cndmask_b32_e64 v18, v18, v4, s4
	v_cndmask_b32_e64 v19, v19, v8, s4
	;; [unrolled: 1-line block ×3, first 2 shown]
	v_cmp_eq_u32_e64 s3, 1, v89
	v_cmp_eq_u32_e64 s4, 7, v87
	s_delay_alu instid0(VALU_DEP_3) | instskip(NEXT) | instid1(VALU_DEP_3)
	v_cndmask_b32_e32 v20, v20, v4, vcc_lo
	v_cndmask_b32_e64 v1, v1, v10, s3
	v_cndmask_b32_e64 v5, v5, v14, s3
	v_cmp_eq_u32_e64 s3, 3, v86
	v_cndmask_b32_e64 v14, v23, v6, s6
	v_cmp_eq_u32_e64 s6, 3, v89
	v_cndmask_b32_e64 v1, v1, v2, s2
	v_cndmask_b32_e64 v2, v5, v6, s2
	;; [unrolled: 1-line block ×3, first 2 shown]
	v_cmp_eq_u32_e64 s2, 4, v86
	v_cndmask_b32_e64 v6, v14, v15, s3
	v_cndmask_b32_e64 v1, v1, v11, s6
	v_cmp_eq_u32_e64 s3, 4, v89
	v_cndmask_b32_e64 v2, v2, v15, s6
	v_cndmask_b32_e64 v5, v10, v3, s2
	;; [unrolled: 3-line block ×3, first 2 shown]
	v_cndmask_b32_e64 v2, v2, v7, s3
	v_cmp_eq_u32_e64 s2, 5, v89
	v_cndmask_b32_e64 v5, v5, v12, s6
	v_cmp_eq_u32_e64 s3, 6, v86
	;; [unrolled: 2-line block ×3, first 2 shown]
	v_cndmask_b32_e64 v1, v1, v12, s2
	v_cndmask_b32_e64 v2, v2, v16, s2
	;; [unrolled: 1-line block ×4, first 2 shown]
	v_cmp_eq_u32_e64 s2, 7, v89
	v_cndmask_b32_e64 v1, v1, v4, s6
	v_cndmask_b32_e64 v2, v2, v8, s6
	v_cmp_eq_u32_e64 s3, 7, v86
	v_cndmask_b32_e32 v4, v21, v8, vcc_lo
	v_cndmask_b32_e64 v18, v18, v13, s4
	v_cndmask_b32_e64 v20, v20, v13, s5
	;; [unrolled: 1-line block ×8, first 2 shown]
	s_mov_b32 s2, exec_lo
	v_perm_b32 v4, v2, v1, 0x5040100
	v_perm_b32 v3, v3, v5, 0x5040100
	;; [unrolled: 1-line block ×4, first 2 shown]
	ds_store_b128 v9, v[1:4]
	s_waitcnt lgkmcnt(0)
	s_barrier
	buffer_gl0_inv
	v_cmpx_gt_u32_e32 32, v0
	s_cbranch_execz .LBB719_2
; %bb.113:
	s_load_b64 s[0:1], s[0:1], 0x68
	s_lshl_b32 s4, s34, 7
	v_or_b32_e32 v2, s29, v83
	s_mul_i32 s2, s4, s30
	v_lshlrev_b32_e32 v0, 10, v0
	s_mul_i32 s2, s2, s7
	v_lshlrev_b32_e32 v1, 4, v84
	s_ashr_i32 s3, s2, 31
	v_mul_lo_u32 v20, v2, s4
	s_lshl_b64 s[2:3], s[2:3], 1
	v_lshlrev_b32_e32 v3, 6, v83
	v_and_b32_e32 v0, 0x3800, v0
	s_delay_alu instid0(VALU_DEP_1) | instskip(NEXT) | instid1(VALU_DEP_4)
	v_or3_b32 v16, v0, v1, v3
	v_ashrrev_i32_e32 v21, 31, v20
	ds_load_b128 v[0:3], v16
	ds_load_b128 v[4:7], v16 offset:128
	s_waitcnt lgkmcnt(0)
	s_add_u32 s2, s0, s2
	s_addc_u32 s3, s1, s3
	s_lshl_b32 s0, s14, 7
	ds_load_b128 v[8:11], v16 offset:256
	ds_load_b128 v[12:15], v16 offset:384
	;; [unrolled: 1-line block ×3, first 2 shown]
	s_ashr_i32 s1, s0, 31
	s_delay_alu instid0(SALU_CYCLE_1) | instskip(NEXT) | instid1(SALU_CYCLE_1)
	s_lshl_b64 s[0:1], s[0:1], 1
	s_add_u32 s0, s2, s0
	s_addc_u32 s1, s3, s1
	s_lshl_b32 s2, s34, 8
	v_add_co_u32 v30, vcc_lo, s0, v81
	v_add_nc_u32_e32 v22, s2, v20
	v_lshlrev_b64 v[20:21], 1, v[20:21]
	v_add_co_ci_u32_e32 v31, vcc_lo, s1, v82, vcc_lo
	s_delay_alu instid0(VALU_DEP_3) | instskip(SKIP_1) | instid1(VALU_DEP_4)
	v_add_nc_u32_e32 v24, s2, v22
	v_ashrrev_i32_e32 v23, 31, v22
	v_add_co_u32 v20, vcc_lo, v30, v20
	s_delay_alu instid0(VALU_DEP_4) | instskip(NEXT) | instid1(VALU_DEP_4)
	v_add_co_ci_u32_e32 v21, vcc_lo, v31, v21, vcc_lo
	v_add_nc_u32_e32 v26, s2, v24
	v_ashrrev_i32_e32 v25, 31, v24
	v_lshlrev_b64 v[22:23], 1, v[22:23]
	s_delay_alu instid0(VALU_DEP_3) | instskip(SKIP_1) | instid1(VALU_DEP_4)
	v_add_nc_u32_e32 v28, s2, v26
	v_ashrrev_i32_e32 v27, 31, v26
	v_lshlrev_b64 v[24:25], 1, v[24:25]
	s_delay_alu instid0(VALU_DEP_4) | instskip(NEXT) | instid1(VALU_DEP_4)
	v_add_co_u32 v22, vcc_lo, v30, v22
	v_ashrrev_i32_e32 v29, 31, v28
	s_delay_alu instid0(VALU_DEP_4) | instskip(SKIP_2) | instid1(VALU_DEP_4)
	v_lshlrev_b64 v[26:27], 1, v[26:27]
	v_add_co_ci_u32_e32 v23, vcc_lo, v31, v23, vcc_lo
	v_add_co_u32 v24, vcc_lo, v30, v24
	v_lshlrev_b64 v[28:29], 1, v[28:29]
	v_add_co_ci_u32_e32 v25, vcc_lo, v31, v25, vcc_lo
	v_add_co_u32 v26, vcc_lo, v30, v26
	v_add_co_ci_u32_e32 v27, vcc_lo, v31, v27, vcc_lo
	s_delay_alu instid0(VALU_DEP_4)
	v_add_co_u32 v28, vcc_lo, v30, v28
	v_add_co_ci_u32_e32 v29, vcc_lo, v31, v29, vcc_lo
	s_clause 0x1
	global_store_b128 v[20:21], v[0:3], off
	global_store_b128 v[22:23], v[4:7], off
	s_waitcnt lgkmcnt(2)
	global_store_b128 v[24:25], v[8:11], off
	s_waitcnt lgkmcnt(1)
	;; [unrolled: 2-line block ×3, first 2 shown]
	global_store_b128 v[28:29], v[16:19], off
	s_nop 0
	s_sendmsg sendmsg(MSG_DEALLOC_VGPRS)
	s_endpgm
	.section	.rodata,"a",@progbits
	.p2align	6, 0x0
	.amdhsa_kernel _Z39paged_attention_ll4mi_QKV_mfma16_kernelI14__hip_bfloat16S0_LN4vllm18Fp8KVCacheDataTypeE0EhLi32ELi128ELi256ELb0ELi10EL8MFMAType0EEvPKT_PKT0_S9_ifPKiSB_SB_iPKfiiiPfSE_PS4_PT2_iSD_SD_
		.amdhsa_group_segment_fixed_size 17472
		.amdhsa_private_segment_fixed_size 0
		.amdhsa_kernarg_size 400
		.amdhsa_user_sgpr_count 13
		.amdhsa_user_sgpr_dispatch_ptr 0
		.amdhsa_user_sgpr_queue_ptr 0
		.amdhsa_user_sgpr_kernarg_segment_ptr 1
		.amdhsa_user_sgpr_dispatch_id 0
		.amdhsa_user_sgpr_private_segment_size 0
		.amdhsa_wavefront_size32 1
		.amdhsa_uses_dynamic_stack 0
		.amdhsa_enable_private_segment 0
		.amdhsa_system_sgpr_workgroup_id_x 1
		.amdhsa_system_sgpr_workgroup_id_y 1
		.amdhsa_system_sgpr_workgroup_id_z 1
		.amdhsa_system_sgpr_workgroup_info 0
		.amdhsa_system_vgpr_workitem_id 0
		.amdhsa_next_free_vgpr 157
		.amdhsa_next_free_sgpr 40
		.amdhsa_reserve_vcc 1
		.amdhsa_float_round_mode_32 0
		.amdhsa_float_round_mode_16_64 0
		.amdhsa_float_denorm_mode_32 3
		.amdhsa_float_denorm_mode_16_64 3
		.amdhsa_dx10_clamp 1
		.amdhsa_ieee_mode 1
		.amdhsa_fp16_overflow 0
		.amdhsa_workgroup_processor_mode 1
		.amdhsa_memory_ordered 1
		.amdhsa_forward_progress 0
		.amdhsa_shared_vgpr_count 0
		.amdhsa_exception_fp_ieee_invalid_op 0
		.amdhsa_exception_fp_denorm_src 0
		.amdhsa_exception_fp_ieee_div_zero 0
		.amdhsa_exception_fp_ieee_overflow 0
		.amdhsa_exception_fp_ieee_underflow 0
		.amdhsa_exception_fp_ieee_inexact 0
		.amdhsa_exception_int_div_zero 0
	.end_amdhsa_kernel
	.section	.text._Z39paged_attention_ll4mi_QKV_mfma16_kernelI14__hip_bfloat16S0_LN4vllm18Fp8KVCacheDataTypeE0EhLi32ELi128ELi256ELb0ELi10EL8MFMAType0EEvPKT_PKT0_S9_ifPKiSB_SB_iPKfiiiPfSE_PS4_PT2_iSD_SD_,"axG",@progbits,_Z39paged_attention_ll4mi_QKV_mfma16_kernelI14__hip_bfloat16S0_LN4vllm18Fp8KVCacheDataTypeE0EhLi32ELi128ELi256ELb0ELi10EL8MFMAType0EEvPKT_PKT0_S9_ifPKiSB_SB_iPKfiiiPfSE_PS4_PT2_iSD_SD_,comdat
.Lfunc_end719:
	.size	_Z39paged_attention_ll4mi_QKV_mfma16_kernelI14__hip_bfloat16S0_LN4vllm18Fp8KVCacheDataTypeE0EhLi32ELi128ELi256ELb0ELi10EL8MFMAType0EEvPKT_PKT0_S9_ifPKiSB_SB_iPKfiiiPfSE_PS4_PT2_iSD_SD_, .Lfunc_end719-_Z39paged_attention_ll4mi_QKV_mfma16_kernelI14__hip_bfloat16S0_LN4vllm18Fp8KVCacheDataTypeE0EhLi32ELi128ELi256ELb0ELi10EL8MFMAType0EEvPKT_PKT0_S9_ifPKiSB_SB_iPKfiiiPfSE_PS4_PT2_iSD_SD_
                                        ; -- End function
	.section	.AMDGPU.csdata,"",@progbits
; Kernel info:
; codeLenInByte = 9816
; NumSgprs: 42
; NumVgprs: 157
; ScratchSize: 0
; MemoryBound: 0
; FloatMode: 240
; IeeeMode: 1
; LDSByteSize: 17472 bytes/workgroup (compile time only)
; SGPRBlocks: 5
; VGPRBlocks: 19
; NumSGPRsForWavesPerEU: 42
; NumVGPRsForWavesPerEU: 157
; Occupancy: 9
; WaveLimiterHint : 1
; COMPUTE_PGM_RSRC2:SCRATCH_EN: 0
; COMPUTE_PGM_RSRC2:USER_SGPR: 13
; COMPUTE_PGM_RSRC2:TRAP_HANDLER: 0
; COMPUTE_PGM_RSRC2:TGID_X_EN: 1
; COMPUTE_PGM_RSRC2:TGID_Y_EN: 1
; COMPUTE_PGM_RSRC2:TGID_Z_EN: 1
; COMPUTE_PGM_RSRC2:TIDIG_COMP_CNT: 0
	.section	.text._Z39paged_attention_ll4mi_QKV_mfma16_kernelI14__hip_bfloat16S0_LN4vllm18Fp8KVCacheDataTypeE0EhLi32ELi128ELi256ELb0ELi11EL8MFMAType0EEvPKT_PKT0_S9_ifPKiSB_SB_iPKfiiiPfSE_PS4_PT2_iSD_SD_,"axG",@progbits,_Z39paged_attention_ll4mi_QKV_mfma16_kernelI14__hip_bfloat16S0_LN4vllm18Fp8KVCacheDataTypeE0EhLi32ELi128ELi256ELb0ELi11EL8MFMAType0EEvPKT_PKT0_S9_ifPKiSB_SB_iPKfiiiPfSE_PS4_PT2_iSD_SD_,comdat
	.protected	_Z39paged_attention_ll4mi_QKV_mfma16_kernelI14__hip_bfloat16S0_LN4vllm18Fp8KVCacheDataTypeE0EhLi32ELi128ELi256ELb0ELi11EL8MFMAType0EEvPKT_PKT0_S9_ifPKiSB_SB_iPKfiiiPfSE_PS4_PT2_iSD_SD_ ; -- Begin function _Z39paged_attention_ll4mi_QKV_mfma16_kernelI14__hip_bfloat16S0_LN4vllm18Fp8KVCacheDataTypeE0EhLi32ELi128ELi256ELb0ELi11EL8MFMAType0EEvPKT_PKT0_S9_ifPKiSB_SB_iPKfiiiPfSE_PS4_PT2_iSD_SD_
	.globl	_Z39paged_attention_ll4mi_QKV_mfma16_kernelI14__hip_bfloat16S0_LN4vllm18Fp8KVCacheDataTypeE0EhLi32ELi128ELi256ELb0ELi11EL8MFMAType0EEvPKT_PKT0_S9_ifPKiSB_SB_iPKfiiiPfSE_PS4_PT2_iSD_SD_
	.p2align	8
	.type	_Z39paged_attention_ll4mi_QKV_mfma16_kernelI14__hip_bfloat16S0_LN4vllm18Fp8KVCacheDataTypeE0EhLi32ELi128ELi256ELb0ELi11EL8MFMAType0EEvPKT_PKT0_S9_ifPKiSB_SB_iPKfiiiPfSE_PS4_PT2_iSD_SD_,@function
_Z39paged_attention_ll4mi_QKV_mfma16_kernelI14__hip_bfloat16S0_LN4vllm18Fp8KVCacheDataTypeE0EhLi32ELi128ELi256ELb0ELi11EL8MFMAType0EEvPKT_PKT0_S9_ifPKiSB_SB_iPKfiiiPfSE_PS4_PT2_iSD_SD_: ; @_Z39paged_attention_ll4mi_QKV_mfma16_kernelI14__hip_bfloat16S0_LN4vllm18Fp8KVCacheDataTypeE0EhLi32ELi128ELi256ELb0ELi11EL8MFMAType0EEvPKT_PKT0_S9_ifPKiSB_SB_iPKfiiiPfSE_PS4_PT2_iSD_SD_
; %bb.0:
	s_load_b64 s[2:3], s[0:1], 0x30
	s_mov_b32 s30, s13
	s_waitcnt lgkmcnt(0)
	s_cmp_lg_u64 s[2:3], 0
	s_cselect_b32 s6, -1, 0
	s_ashr_i32 s31, s13, 31
	s_cmp_eq_u64 s[2:3], 0
	s_cbranch_scc1 .LBB720_3
; %bb.1:
	s_lshl_b64 s[4:5], s[30:31], 2
	s_delay_alu instid0(SALU_CYCLE_1) | instskip(SKIP_4) | instid1(SALU_CYCLE_1)
	s_add_u32 s4, s2, s4
	s_addc_u32 s5, s3, s5
	s_load_b64 s[4:5], s[4:5], 0x0
	s_waitcnt lgkmcnt(0)
	s_sub_i32 s4, s5, s4
	s_cmp_eq_u32 s4, 1
	s_cselect_b32 s4, -1, 0
	s_delay_alu instid0(SALU_CYCLE_1)
	s_and_not1_b32 vcc_lo, exec_lo, s4
	s_cbranch_vccz .LBB720_4
.LBB720_2:
	s_nop 0
	s_sendmsg sendmsg(MSG_DEALLOC_VGPRS)
	s_endpgm
.LBB720_3:
.LBB720_4:
	s_load_b64 s[8:9], s[0:1], 0x28
	s_lshl_b64 s[4:5], s[30:31], 2
	s_waitcnt lgkmcnt(0)
	s_add_u32 s8, s8, s4
	s_addc_u32 s9, s9, s5
	s_lshl_b32 s12, s14, 8
	s_load_b32 s17, s[8:9], 0x0
	s_waitcnt lgkmcnt(0)
	s_cmp_ge_i32 s12, s17
	s_cbranch_scc1 .LBB720_2
; %bb.5:
	s_and_not1_b32 vcc_lo, exec_lo, s6
	s_cbranch_vccnz .LBB720_7
; %bb.6:
	s_add_u32 s2, s2, s4
	s_addc_u32 s3, s3, s5
	s_load_b32 s13, s[2:3], 0x0
	s_branch .LBB720_8
.LBB720_7:
	s_mov_b32 s13, s30
.LBB720_8:
	s_clause 0x2
	s_load_b128 s[8:11], s[0:1], 0x8
	s_load_b64 s[2:3], s[0:1], 0x20
	s_load_b128 s[4:7], s[0:1], 0x48
	v_lshrrev_b32_e32 v74, 5, v0
	v_bfe_u32 v83, v0, 4, 1
	v_and_b32_e32 v73, 15, v0
	s_waitcnt lgkmcnt(0)
	s_mov_b32 s7, exec_lo
	s_delay_alu instid0(VALU_DEP_2) | instskip(NEXT) | instid1(VALU_DEP_2)
	v_lshl_or_b32 v3, v74, 1, v83
	v_lshlrev_b32_e32 v1, 3, v73
	s_delay_alu instid0(VALU_DEP_2)
	v_cmpx_lt_u32_e32 10, v3
	s_xor_b32 s7, exec_lo, s7
; %bb.9:
	v_mov_b32_e32 v2, 0
                                        ; implicit-def: $vgpr3
; %bb.10:
	s_or_saveexec_b32 s7, s7
	v_and_b32_e32 v75, 31, v0
	v_and_b32_e32 v84, 1, v0
	s_mul_i32 s31, s15, 11
	s_xor_b32 exec_lo, exec_lo, s7
	s_cbranch_execz .LBB720_12
; %bb.11:
	s_load_b64 s[18:19], s[0:1], 0x0
	v_add_lshl_u32 v4, v3, s31, 7
	s_mul_hi_i32 s21, s13, s4
	s_mul_i32 s20, s13, s4
	v_lshlrev_b32_e32 v2, 1, v1
	s_lshl_b64 s[20:21], s[20:21], 1
	v_ashrrev_i32_e32 v5, 31, v4
	v_lshlrev_b32_e32 v3, 6, v3
	v_lshlrev_b32_e32 v8, 10, v84
	s_delay_alu instid0(VALU_DEP_3) | instskip(SKIP_3) | instid1(VALU_DEP_1)
	v_lshlrev_b64 v[4:5], 1, v[4:5]
	s_waitcnt lgkmcnt(0)
	s_add_u32 s4, s18, s20
	s_addc_u32 s13, s19, s21
	v_add_co_u32 v4, vcc_lo, s4, v4
	s_delay_alu instid0(VALU_DEP_2) | instskip(NEXT) | instid1(VALU_DEP_2)
	v_add_co_ci_u32_e32 v5, vcc_lo, s13, v5, vcc_lo
	v_add_co_u32 v4, vcc_lo, v4, v2
	s_delay_alu instid0(VALU_DEP_2) | instskip(SKIP_3) | instid1(VALU_DEP_1)
	v_add_co_ci_u32_e32 v5, vcc_lo, 0, v5, vcc_lo
	v_lshlrev_b32_e32 v2, 10, v73
	global_load_b128 v[4:7], v[4:5], off
	v_and_b32_e32 v2, 0x3800, v2
	v_or3_b32 v3, v2, v8, v3
	v_mov_b32_e32 v2, 0
	s_waitcnt vmcnt(0)
	ds_store_b128 v3, v[4:7]
.LBB720_12:
	s_or_b32 exec_lo, exec_lo, s7
	v_add_nc_u32_e32 v80, -11, v73
	v_and_b32_e32 v3, 0xef, v0
	s_add_i32 s4, s17, 31
	s_clause 0x1
	s_load_b32 s7, s[0:1], 0x38
	s_load_b32 s18, s[0:1], 0x1c
	s_ashr_i32 s13, s4, 31
	v_add_nc_u32_e32 v3, s12, v3
	s_lshr_b32 s13, s13, 27
	s_waitcnt lgkmcnt(0)
	s_add_i32 s4, s4, s13
	s_barrier
	v_ashrrev_i32_e32 v4, 31, v3
	v_cmp_gt_i32_e32 vcc_lo, s17, v3
	s_ashr_i32 s4, s4, 5
	buffer_gl0_inv
	s_add_i32 s4, s4, -1
	v_lshrrev_b32_e32 v5, 27, v4
	v_or_b32_e32 v4, 16, v3
	v_lshlrev_b64 v[81:82], 1, v[1:2]
	s_delay_alu instid0(VALU_DEP_3) | instskip(NEXT) | instid1(VALU_DEP_3)
	v_add_nc_u32_e32 v6, v3, v5
	v_add_nc_u32_e32 v5, v4, v5
	s_mul_i32 s20, s30, s7
	s_delay_alu instid0(SALU_CYCLE_1) | instskip(NEXT) | instid1(VALU_DEP_2)
	s_ashr_i32 s21, s20, 31
	v_ashrrev_i32_e32 v6, 5, v6
	s_delay_alu instid0(VALU_DEP_2) | instskip(SKIP_1) | instid1(SALU_CYCLE_1)
	v_ashrrev_i32_e32 v5, 5, v5
	s_lshl_b64 s[20:21], s[20:21], 2
	s_add_u32 s7, s2, s20
	s_delay_alu instid0(VALU_DEP_2) | instskip(SKIP_3) | instid1(VALU_DEP_2)
	v_cndmask_b32_e32 v3, s4, v6, vcc_lo
	v_cmp_gt_i32_e32 vcc_lo, s17, v4
	s_addc_u32 s13, s3, s21
	s_mul_i32 s2, s15, s6
	v_ashrrev_i32_e32 v4, 31, v3
	v_cndmask_b32_e32 v5, s4, v5, vcc_lo
	s_ashr_i32 s3, s2, 31
	s_delay_alu instid0(SALU_CYCLE_1) | instskip(NEXT) | instid1(VALU_DEP_2)
	s_lshl_b64 s[2:3], s[2:3], 1
	v_lshlrev_b64 v[3:4], 2, v[3:4]
	s_delay_alu instid0(VALU_DEP_2) | instskip(SKIP_3) | instid1(VALU_DEP_1)
	v_ashrrev_i32_e32 v6, 31, v5
	s_add_u32 s6, s8, s2
	s_addc_u32 s15, s9, s3
	s_lshl_b32 s8, s14, 3
	v_lshlrev_b64 v[5:6], 2, v[5:6]
	v_add_co_u32 v3, vcc_lo, s7, v3
	v_add_co_ci_u32_e32 v4, vcc_lo, s13, v4, vcc_lo
	s_ashr_i32 s9, s8, 31
	s_delay_alu instid0(VALU_DEP_3) | instskip(NEXT) | instid1(VALU_DEP_4)
	v_add_co_u32 v5, vcc_lo, s7, v5
	v_add_co_ci_u32_e32 v6, vcc_lo, s13, v6, vcc_lo
	s_clause 0x1
	global_load_b32 v7, v[3:4], off
	global_load_b32 v8, v[5:6], off
	s_lshl_b64 s[8:9], s[8:9], 2
	s_delay_alu instid0(SALU_CYCLE_1) | instskip(SKIP_2) | instid1(SALU_CYCLE_1)
	s_add_u32 s8, s7, s8
	s_addc_u32 s9, s13, s9
	s_or_b32 s16, s12, 32
	s_ashr_i32 s19, s16, 5
	s_cmp_lt_i32 s16, s17
	s_cselect_b32 s20, s19, s4
	s_delay_alu instid0(SALU_CYCLE_1) | instskip(NEXT) | instid1(SALU_CYCLE_1)
	s_ashr_i32 s21, s20, 31
	s_lshl_b64 s[20:21], s[20:21], 2
	s_delay_alu instid0(SALU_CYCLE_1) | instskip(SKIP_2) | instid1(SALU_CYCLE_1)
	s_add_u32 s20, s7, s20
	s_addc_u32 s21, s13, s21
	s_or_b32 s16, s12, 64
	s_ashr_i32 s19, s16, 5
	s_cmp_lt_i32 s16, s17
	s_cselect_b32 s22, s19, s4
	s_delay_alu instid0(SALU_CYCLE_1) | instskip(NEXT) | instid1(SALU_CYCLE_1)
	s_ashr_i32 s23, s22, 31
	;; [unrolled: 10-line block ×5, first 2 shown]
	s_lshl_b64 s[28:29], s[28:29], 2
	s_delay_alu instid0(SALU_CYCLE_1)
	s_add_u32 s28, s7, s28
	s_addc_u32 s29, s13, s29
	s_clause 0x5
	s_load_b32 s16, s[8:9], 0x0
	s_load_b32 s19, s[20:21], 0x0
	;; [unrolled: 1-line block ×6, first 2 shown]
	s_mov_b32 s20, 0
	s_delay_alu instid0(SALU_CYCLE_1)
	s_mov_b32 s27, s20
	s_mov_b32 s24, s20
	;; [unrolled: 1-line block ×7, first 2 shown]
	v_dual_mov_b32 v108, s27 :: v_dual_mov_b32 v105, s24
	v_dual_mov_b32 v107, s26 :: v_dual_mov_b32 v106, s25
	;; [unrolled: 1-line block ×4, first 2 shown]
	s_waitcnt lgkmcnt(0)
	s_mul_hi_i32 s29, s34, s5
	s_mul_i32 s28, s34, s5
	s_mul_hi_i32 s21, s16, s5
	s_mul_i32 s20, s16, s5
	;; [unrolled: 2-line block ×5, first 2 shown]
	s_waitcnt vmcnt(1)
	v_mad_i64_i32 v[3:4], null, v7, s5, 0
	s_waitcnt vmcnt(0)
	v_mad_i64_i32 v[5:6], null, v8, s5, 0
	s_delay_alu instid0(VALU_DEP_2) | instskip(NEXT) | instid1(VALU_DEP_2)
	v_lshlrev_b64 v[3:4], 1, v[3:4]
	v_lshlrev_b64 v[1:2], 1, v[5:6]
	s_delay_alu instid0(VALU_DEP_2) | instskip(NEXT) | instid1(VALU_DEP_3)
	v_add_co_u32 v3, vcc_lo, s6, v3
	v_add_co_ci_u32_e32 v4, vcc_lo, s15, v4, vcc_lo
	s_delay_alu instid0(VALU_DEP_3) | instskip(NEXT) | instid1(VALU_DEP_4)
	v_add_co_u32 v1, vcc_lo, s6, v1
	v_add_co_ci_u32_e32 v2, vcc_lo, s15, v2, vcc_lo
	s_delay_alu instid0(VALU_DEP_4) | instskip(NEXT) | instid1(VALU_DEP_4)
	v_add_co_u32 v65, vcc_lo, v3, v81
	v_add_co_ci_u32_e32 v66, vcc_lo, v4, v82, vcc_lo
	s_delay_alu instid0(VALU_DEP_4) | instskip(NEXT) | instid1(VALU_DEP_4)
	v_add_co_u32 v76, vcc_lo, v1, v81
	v_add_co_ci_u32_e32 v77, vcc_lo, v2, v82, vcc_lo
	s_clause 0xf
	global_load_b128 v[1:4], v[65:66], off
	global_load_b128 v[5:8], v[65:66], off offset:512
	global_load_b128 v[9:12], v[76:77], off offset:256
	;; [unrolled: 1-line block ×15, first 2 shown]
	v_add_co_u32 v78, vcc_lo, 0x1000, v65
	v_add_co_ci_u32_e32 v79, vcc_lo, 0, v66, vcc_lo
	v_cmp_gt_u32_e32 vcc_lo, 11, v73
	s_clause 0x1
	global_load_b128 v[65:68], v[78:79], off
	global_load_b128 v[69:72], v[78:79], off offset:512
	s_or_b32 s6, s12, 0xc0
	v_cndmask_b32_e32 v80, v80, v73, vcc_lo
	v_add_co_u32 v76, vcc_lo, 0x1000, v76
	v_add_co_ci_u32_e32 v77, vcc_lo, 0, v77, vcc_lo
	s_delay_alu instid0(VALU_DEP_3)
	v_lshlrev_b32_e32 v80, 6, v80
	ds_load_b128 v[85:88], v80
	ds_load_b128 v[89:92], v80 offset:1024
	s_clause 0x1
	global_load_b128 v[93:96], v[76:77], off offset:256
	global_load_b128 v[97:100], v[76:77], off offset:768
	ds_load_b128 v[109:112], v80 offset:2048
	ds_load_b128 v[113:116], v80 offset:3072
	s_ashr_i32 s8, s6, 5
	s_cmp_lt_i32 s6, s17
	s_cselect_b32 s8, s8, s4
	s_delay_alu instid0(SALU_CYCLE_1) | instskip(NEXT) | instid1(SALU_CYCLE_1)
	s_ashr_i32 s9, s8, 31
	s_lshl_b64 s[8:9], s[8:9], 2
	s_delay_alu instid0(SALU_CYCLE_1) | instskip(SKIP_2) | instid1(SALU_CYCLE_1)
	s_add_u32 s8, s7, s8
	s_addc_u32 s9, s13, s9
	s_or_b32 s6, s12, 0xe0
	s_ashr_i32 s15, s6, 5
	s_cmp_lt_i32 s6, s17
	s_cselect_b32 s24, s15, s4
	s_delay_alu instid0(SALU_CYCLE_1) | instskip(NEXT) | instid1(SALU_CYCLE_1)
	s_ashr_i32 s25, s24, 31
	s_lshl_b64 s[24:25], s[24:25], 2
	s_delay_alu instid0(SALU_CYCLE_1) | instskip(SKIP_2) | instid1(SALU_CYCLE_1)
	s_add_u32 s24, s7, s24
	s_addc_u32 s25, s13, s25
	s_add_i32 s6, s12, 0x100
	s_ashr_i32 s15, s6, 5
	s_cmp_lt_i32 s6, s17
	s_cselect_b32 s34, s15, s4
	s_waitcnt vmcnt(18) lgkmcnt(2)
	v_wmma_f32_16x16x16_bf16 v[117:124], v[1:8], v[85:92], v[101:108]
	s_waitcnt vmcnt(16)
	v_wmma_f32_16x16x16_bf16 v[101:108], v[9:16], v[85:92], v[101:108]
	s_clause 0x3
	global_load_b128 v[1:4], v[78:79], off offset:1024
	global_load_b128 v[5:8], v[78:79], off offset:1536
	;; [unrolled: 1-line block ×4, first 2 shown]
	s_waitcnt vmcnt(18) lgkmcnt(0)
	v_wmma_f32_16x16x16_bf16 v[117:124], v[17:24], v[109:116], v[117:124]
	s_clause 0x1
	global_load_b128 v[17:20], v[78:79], off offset:2048
	global_load_b128 v[21:24], v[78:79], off offset:2560
	s_waitcnt vmcnt(18)
	v_wmma_f32_16x16x16_bf16 v[101:108], v[25:32], v[109:116], v[101:108]
	ds_load_b128 v[25:28], v80 offset:4096
	ds_load_b128 v[29:32], v80 offset:5120
	s_clause 0x5
	global_load_b128 v[109:112], v[76:77], off offset:2304
	global_load_b128 v[113:116], v[76:77], off offset:2816
	;; [unrolled: 1-line block ×6, first 2 shown]
	s_waitcnt vmcnt(22) lgkmcnt(0)
	v_wmma_f32_16x16x16_bf16 v[117:124], v[33:40], v[25:32], v[117:124]
	s_waitcnt vmcnt(20)
	v_wmma_f32_16x16x16_bf16 v[101:108], v[41:48], v[25:32], v[101:108]
	ds_load_b128 v[25:28], v80 offset:6144
	ds_load_b128 v[29:32], v80 offset:7168
	ds_load_b128 v[33:36], v80 offset:8192
	ds_load_b128 v[37:40], v80 offset:9216
	s_waitcnt vmcnt(18) lgkmcnt(2)
	v_wmma_f32_16x16x16_bf16 v[117:124], v[49:56], v[25:32], v[117:124]
	s_waitcnt vmcnt(16)
	v_wmma_f32_16x16x16_bf16 v[101:108], v[57:64], v[25:32], v[101:108]
	ds_load_b128 v[25:28], v80 offset:10240
	ds_load_b128 v[29:32], v80 offset:11264
	;; [unrolled: 1-line block ×6, first 2 shown]
	s_waitcnt vmcnt(14) lgkmcnt(6)
	v_wmma_f32_16x16x16_bf16 v[117:124], v[65:72], v[33:40], v[117:124]
	s_load_b32 s16, s[8:9], 0x0
	s_mul_hi_i32 s9, s35, s5
	s_mul_i32 s8, s35, s5
	s_ashr_i32 s35, s34, 31
	s_waitcnt vmcnt(12)
	v_wmma_f32_16x16x16_bf16 v[101:108], v[93:100], v[33:40], v[101:108]
	s_lshl_b64 s[34:35], s[34:35], 2
	s_delay_alu instid0(SALU_CYCLE_1)
	s_add_u32 s6, s7, s34
	s_addc_u32 s7, s13, s35
	s_add_u32 s4, s10, s2
	s_addc_u32 s19, s11, s3
	s_lshl_b64 s[2:3], s[20:21], 1
	s_clause 0x1
	s_load_b32 s13, s[24:25], 0x0
	s_load_b32 s15, s[6:7], 0x0
	s_lshl_b64 s[6:7], s[22:23], 1
	s_lshl_b64 s[10:11], s[26:27], 1
	;; [unrolled: 1-line block ×5, first 2 shown]
	s_waitcnt lgkmcnt(0)
	s_mul_hi_i32 s25, s16, s5
	s_mul_i32 s24, s16, s5
	s_waitcnt vmcnt(10)
	v_wmma_f32_16x16x16_bf16 v[117:124], v[1:8], v[25:32], v[117:124]
	s_waitcnt vmcnt(8)
	v_wmma_f32_16x16x16_bf16 v[101:108], v[9:16], v[25:32], v[101:108]
	s_waitcnt vmcnt(6)
	s_delay_alu instid0(VALU_DEP_2) | instskip(SKIP_1) | instid1(VALU_DEP_2)
	v_wmma_f32_16x16x16_bf16 v[117:124], v[17:24], v[141:148], v[117:124]
	s_waitcnt vmcnt(4)
	v_wmma_f32_16x16x16_bf16 v[101:108], v[109:116], v[141:148], v[101:108]
	s_waitcnt vmcnt(2)
	s_delay_alu instid0(VALU_DEP_2) | instskip(SKIP_3) | instid1(VALU_DEP_3)
	v_wmma_f32_16x16x16_bf16 v[117:124], v[125:132], v[149:156], v[117:124]
	v_lshlrev_b32_e32 v85, 6, v73
	s_waitcnt vmcnt(0)
	v_wmma_f32_16x16x16_bf16 v[101:108], v[133:140], v[149:156], v[101:108]
	v_mul_f32_e32 v100, s18, v124
	s_delay_alu instid0(VALU_DEP_3) | instskip(SKIP_2) | instid1(VALU_DEP_3)
	v_lshl_or_b32 v41, v74, 10, v85
	v_mul_f32_e32 v99, s18, v118
	v_mul_f32_e32 v97, s18, v117
	v_add_co_u32 v76, s4, s4, v41
	s_delay_alu instid0(VALU_DEP_1) | instskip(NEXT) | instid1(VALU_DEP_2)
	v_add_co_ci_u32_e64 v77, null, s19, 0, s4
	v_add_co_u32 v41, vcc_lo, v76, s2
	s_delay_alu instid0(VALU_DEP_2)
	v_add_co_ci_u32_e32 v42, vcc_lo, s3, v77, vcc_lo
	v_add_co_u32 v33, vcc_lo, v76, s6
	v_add_co_ci_u32_e32 v34, vcc_lo, s7, v77, vcc_lo
	v_add_co_u32 v35, vcc_lo, v76, s10
	;; [unrolled: 2-line block ×5, first 2 shown]
	s_lshl_b64 s[2:3], s[24:25], 1
	v_add_co_ci_u32_e32 v6, vcc_lo, s23, v77, vcc_lo
	s_mul_hi_i32 s7, s13, s5
	s_mul_i32 s6, s13, s5
	v_add_co_u32 v17, vcc_lo, v76, s2
	v_add_co_ci_u32_e32 v18, vcc_lo, s3, v77, vcc_lo
	s_lshl_b64 s[2:3], s[6:7], 1
	s_mul_hi_i32 s7, s15, s5
	s_mul_i32 s6, s15, s5
	v_add_co_u32 v19, vcc_lo, v76, s2
	v_add_co_ci_u32_e32 v20, vcc_lo, s3, v77, vcc_lo
	s_lshl_b64 s[2:3], s[6:7], 1
	s_clause 0x1
	global_load_b128 v[65:68], v[41:42], off
	global_load_b128 v[69:72], v[41:42], off offset:16
	v_add_co_u32 v21, vcc_lo, v76, s2
	v_add_co_ci_u32_e32 v22, vcc_lo, s3, v77, vcc_lo
	s_clause 0xf
	global_load_b128 v[57:60], v[33:34], off
	global_load_b128 v[61:64], v[33:34], off offset:16
	global_load_b128 v[49:52], v[35:36], off
	global_load_b128 v[53:56], v[35:36], off offset:16
	;; [unrolled: 2-line block ×8, first 2 shown]
	v_mbcnt_lo_u32_b32 v77, -1, 0
	s_waitcnt vmcnt(0)
	s_barrier
	buffer_gl0_inv
	v_xor_b32_e32 v78, 16, v77
	s_delay_alu instid0(VALU_DEP_1) | instskip(SKIP_1) | instid1(VALU_DEP_1)
	v_cmp_gt_i32_e32 vcc_lo, 32, v78
	v_dual_cndmask_b32 v77, v77, v78 :: v_dual_and_b32 v76, 0xe0, v0
	v_add_nc_u32_e32 v76, s12, v76
	s_delay_alu instid0(VALU_DEP_1) | instskip(NEXT) | instid1(VALU_DEP_1)
	v_or_b32_e32 v76, v76, v83
	v_or_b32_e32 v78, 2, v76
	v_or_b32_e32 v79, 4, v76
	v_or_b32_e32 v80, 6, v76
	v_cmp_gt_i32_e32 vcc_lo, s17, v76
	v_or_b32_e32 v86, 8, v76
	v_cmp_gt_i32_e64 s2, s17, v78
	v_or_b32_e32 v87, 10, v76
	v_or_b32_e32 v88, 12, v76
	;; [unrolled: 1-line block ×11, first 2 shown]
	v_cndmask_b32_e32 v76, 0xff7fffff, v97, vcc_lo
	v_cmp_gt_i32_e64 s3, s17, v80
	v_mul_f32_e32 v80, s18, v119
	v_cndmask_b32_e64 v78, 0xff7fffff, v99, s2
	v_mul_f32_e32 v99, s18, v120
	v_cmp_gt_i32_e64 s4, s17, v79
	v_mul_f32_e32 v97, s18, v123
	v_mul_f32_e32 v79, s18, v122
	v_max3_f32 v76, v76, 0xff7fffff, v78
	v_mul_f32_e32 v78, s18, v121
	v_cndmask_b32_e64 v80, 0xff7fffff, v80, s4
	v_cmp_gt_i32_e64 s5, s17, v86
	v_cmp_gt_i32_e64 s6, s17, v87
	v_mul_f32_e32 v86, s18, v107
	v_cndmask_b32_e64 v99, 0xff7fffff, v99, s3
	v_cmp_gt_i32_e64 s7, s17, v89
	v_cndmask_b32_e64 v78, 0xff7fffff, v78, s5
	v_cmp_gt_i32_e64 s8, s17, v88
	v_mul_f32_e32 v89, s18, v101
	v_max3_f32 v76, v76, v80, v99
	v_mul_f32_e32 v80, s18, v108
	v_cndmask_b32_e64 v79, 0xff7fffff, v79, s6
	v_dual_mul_f32 v99, s18, v105 :: v_dual_mul_f32 v88, s18, v102
	v_cndmask_b32_e64 v97, 0xff7fffff, v97, s8
	v_cndmask_b32_e64 v100, 0xff7fffff, v100, s7
	s_delay_alu instid0(VALU_DEP_4) | instskip(SKIP_4) | instid1(VALU_DEP_4)
	v_max3_f32 v76, v76, v78, v79
	v_cmp_gt_i32_e64 s9, s17, v90
	v_cmp_gt_i32_e64 s10, s17, v91
	v_dual_mul_f32 v87, s18, v106 :: v_dual_mul_f32 v78, s18, v104
	v_mul_f32_e32 v79, s18, v103
	v_cndmask_b32_e64 v89, 0xff7fffff, v89, s9
	s_delay_alu instid0(VALU_DEP_4)
	v_cndmask_b32_e64 v88, 0xff7fffff, v88, s10
	v_max3_f32 v76, v76, v97, v100
	v_cmp_gt_i32_e64 s11, s17, v92
	v_cmp_gt_i32_e64 s12, s17, v93
	;; [unrolled: 1-line block ×4, first 2 shown]
	v_max3_f32 v76, v76, v89, v88
	v_cndmask_b32_e64 v79, 0xff7fffff, v79, s11
	v_cndmask_b32_e64 v78, 0xff7fffff, v78, s12
	v_cndmask_b32_e64 v88, 0xff7fffff, v99, s13
	v_cndmask_b32_e64 v87, 0xff7fffff, v87, s15
	v_cmp_gt_i32_e64 s16, s17, v96
	v_cmp_gt_i32_e64 s17, s17, v98
	v_max3_f32 v76, v76, v79, v78
	v_lshlrev_b32_e32 v99, 2, v77
	s_delay_alu instid0(VALU_DEP_4) | instskip(NEXT) | instid1(VALU_DEP_4)
	v_cndmask_b32_e64 v78, 0xff7fffff, v86, s16
	v_cndmask_b32_e64 v79, 0xff7fffff, v80, s17
	s_delay_alu instid0(VALU_DEP_4) | instskip(NEXT) | instid1(VALU_DEP_1)
	v_max3_f32 v76, v76, v88, v87
	v_max3_f32 v76, v76, v78, v79
	ds_bpermute_b32 v77, v99, v76
	s_waitcnt lgkmcnt(0)
	v_max_f32_e32 v77, v77, v77
	s_delay_alu instid0(VALU_DEP_1) | instskip(NEXT) | instid1(VALU_DEP_1)
	v_max_f32_e32 v76, v76, v77
	v_fma_f32 v78, s18, v118, -v76
	v_fma_f32 v77, s18, v117, -v76
	;; [unrolled: 1-line block ×5, first 2 shown]
	v_mul_f32_e32 v78, 0x3fb8aa3b, v78
	v_fma_f32 v87, s18, v123, -v76
	v_fma_f32 v88, s18, v105, -v76
	v_mul_f32_e32 v80, 0x3fb8aa3b, v80
	v_mul_f32_e32 v86, 0x3fb8aa3b, v86
	v_exp_f32_e32 v78, v78
	v_fma_f32 v90, s18, v107, -v76
	v_fma_f32 v100, s18, v108, -v76
	v_exp_f32_e32 v80, v80
	v_exp_f32_e32 v86, v86
	v_mul_f32_e32 v88, 0x3fb8aa3b, v88
	s_delay_alu instid0(VALU_DEP_2) | instskip(NEXT) | instid1(TRANS32_DEP_3)
	v_mul_f32_e32 v100, 0x3fb8aa3b, v100
	v_cndmask_b32_e64 v91, 0, v78, s2
	v_mul_f32_e32 v77, 0x3fb8aa3b, v77
	s_delay_alu instid0(VALU_DEP_4) | instskip(NEXT) | instid1(TRANS32_DEP_3)
	v_exp_f32_e32 v88, v88
	v_cndmask_b32_e64 v95, 0, v80, s3
	v_fma_f32 v80, s18, v101, -v76
	s_delay_alu instid0(TRANS32_DEP_2)
	v_cndmask_b32_e64 v96, 0, v86, s5
	v_exp_f32_e32 v77, v77
	v_mul_f32_e32 v79, 0x3fb8aa3b, v79
	v_fma_f32 v86, s18, v102, -v76
	v_mul_f32_e32 v80, 0x3fb8aa3b, v80
	v_cmp_gt_u32_e64 s2, 16, v75
	v_exp_f32_e32 v100, v100
	s_delay_alu instid0(VALU_DEP_2) | instskip(NEXT) | instid1(TRANS32_DEP_3)
	v_exp_f32_e32 v80, v80
	v_cndmask_b32_e32 v92, 0, v77, vcc_lo
	v_exp_f32_e32 v79, v79
	v_fma_f32 v77, s18, v122, -v76
	s_delay_alu instid0(VALU_DEP_2) | instskip(NEXT) | instid1(VALU_DEP_1)
	v_add_f32_e32 v78, 0, v92
	v_add_f32_e32 v78, v78, v91
	s_waitcnt_depctr 0xfff
	v_cndmask_b32_e64 v93, 0, v79, s4
	v_mul_f32_e32 v87, 0x3fb8aa3b, v87
	v_fma_f32 v79, s18, v124, -v76
	s_delay_alu instid0(VALU_DEP_3) | instskip(SKIP_1) | instid1(VALU_DEP_3)
	v_add_f32_e32 v78, v78, v93
	v_mul_f32_e32 v77, 0x3fb8aa3b, v77
	v_mul_f32_e32 v79, 0x3fb8aa3b, v79
	v_exp_f32_e32 v87, v87
	s_delay_alu instid0(VALU_DEP_3) | instskip(NEXT) | instid1(VALU_DEP_3)
	v_add_f32_e32 v78, v78, v95
	v_exp_f32_e32 v77, v77
	s_delay_alu instid0(VALU_DEP_2) | instskip(NEXT) | instid1(TRANS32_DEP_3)
	v_exp_f32_e32 v79, v79
	v_cndmask_b32_e64 v94, 0, v87, s8
	v_fma_f32 v87, s18, v104, -v76
	s_waitcnt_depctr 0xfff
	v_cndmask_b32_e64 v97, 0, v77, s6
	v_add_f32_e32 v77, v78, v96
	v_fma_f32 v78, s18, v103, -v76
	v_mul_f32_e32 v86, 0x3fb8aa3b, v86
	v_cndmask_b32_e64 v98, 0, v79, s7
	v_mul_f32_e32 v87, 0x3fb8aa3b, v87
	s_delay_alu instid0(VALU_DEP_4) | instskip(NEXT) | instid1(VALU_DEP_4)
	v_dual_add_f32 v77, v77, v97 :: v_dual_mul_f32 v78, 0x3fb8aa3b, v78
	v_exp_f32_e32 v86, v86
	s_delay_alu instid0(VALU_DEP_2) | instskip(NEXT) | instid1(VALU_DEP_1)
	v_exp_f32_e32 v87, v87
	v_add_f32_e32 v79, v77, v94
	s_delay_alu instid0(VALU_DEP_2) | instskip(SKIP_2) | instid1(VALU_DEP_3)
	v_exp_f32_e32 v89, v78
	v_cndmask_b32_e64 v77, 0, v80, s9
	v_fma_f32 v80, s18, v106, -v76
	v_add_f32_e32 v79, v79, v98
	s_delay_alu instid0(TRANS32_DEP_3) | instskip(NEXT) | instid1(VALU_DEP_3)
	v_cndmask_b32_e64 v78, 0, v86, s10
	v_mul_f32_e32 v80, 0x3fb8aa3b, v80
	s_delay_alu instid0(VALU_DEP_3) | instskip(NEXT) | instid1(TRANS32_DEP_1)
	v_add_f32_e32 v86, v79, v77
	v_cndmask_b32_e64 v79, 0, v89, s11
	v_mul_f32_e32 v89, 0x3fb8aa3b, v90
	s_delay_alu instid0(VALU_DEP_4) | instskip(SKIP_2) | instid1(VALU_DEP_3)
	v_exp_f32_e32 v90, v80
	v_cndmask_b32_e64 v80, 0, v87, s12
	v_add_f32_e32 v86, v86, v78
	v_exp_f32_e32 v89, v89
	s_delay_alu instid0(VALU_DEP_1) | instskip(SKIP_1) | instid1(VALU_DEP_2)
	v_add_f32_e32 v87, v86, v79
	v_cndmask_b32_e64 v86, 0, v88, s13
	v_add_f32_e32 v88, v87, v80
	s_delay_alu instid0(TRANS32_DEP_2) | instskip(NEXT) | instid1(VALU_DEP_2)
	v_cndmask_b32_e64 v87, 0, v90, s15
	v_add_f32_e32 v90, v88, v86
	s_waitcnt_depctr 0xfff
	v_cndmask_b32_e64 v88, 0, v89, s16
	v_add_f32_e32 v89, v90, v87
	s_delay_alu instid0(VALU_DEP_1) | instskip(SKIP_1) | instid1(VALU_DEP_1)
	v_add_f32_e32 v90, v89, v88
	v_cndmask_b32_e64 v89, 0, v100, s17
	v_add_f32_e32 v90, v90, v89
	ds_bpermute_b32 v99, v99, v90
	s_and_saveexec_b32 s3, s2
	s_cbranch_execz .LBB720_14
; %bb.13:
	v_mul_u32_u24_e32 v75, 0x44, v74
	s_waitcnt lgkmcnt(0)
	v_add_f32_e32 v90, v90, v99
	s_delay_alu instid0(VALU_DEP_2) | instskip(NEXT) | instid1(VALU_DEP_1)
	v_lshl_add_u32 v75, v73, 2, v75
	v_add_nc_u32_e32 v75, 0x4000, v75
	ds_store_2addr_b32 v75, v76, v90 offset1:136
.LBB720_14:
	s_or_b32 exec_lo, exec_lo, s3
	v_lshlrev_b32_e32 v75, 2, v73
	s_waitcnt lgkmcnt(0)
	s_barrier
	buffer_gl0_inv
	v_cmp_eq_u32_e64 s3, 1, v74
	v_add_nc_u32_e32 v90, 0x4000, v75
	ds_load_2addr_b32 v[99:100], v90 offset1:17
	ds_load_2addr_b32 v[101:102], v90 offset0:34 offset1:51
	ds_load_2addr_b32 v[103:104], v90 offset0:68 offset1:85
	;; [unrolled: 1-line block ×4, first 2 shown]
	s_waitcnt lgkmcnt(4)
	v_max3_f32 v75, v99, 0xff7fffff, v100
	s_waitcnt lgkmcnt(3)
	s_delay_alu instid0(VALU_DEP_1) | instskip(SKIP_1) | instid1(VALU_DEP_1)
	v_max3_f32 v75, v75, v101, v102
	s_waitcnt lgkmcnt(2)
	v_max3_f32 v75, v75, v103, v104
	s_waitcnt lgkmcnt(1)
	s_delay_alu instid0(VALU_DEP_1) | instskip(NEXT) | instid1(VALU_DEP_1)
	v_max3_f32 v75, v75, v105, v106
	v_sub_f32_e32 v109, v100, v75
	v_sub_f32_e32 v76, v99, v75
	ds_load_2addr_b32 v[99:100], v90 offset0:170 offset1:187
	v_sub_f32_e32 v101, v101, v75
	v_dual_mul_f32 v109, 0x3fb8aa3b, v109 :: v_dual_mul_f32 v76, 0x3fb8aa3b, v76
	s_delay_alu instid0(VALU_DEP_2) | instskip(NEXT) | instid1(VALU_DEP_2)
	v_mul_f32_e32 v111, 0x3fb8aa3b, v101
	v_exp_f32_e32 v109, v109
	s_delay_alu instid0(VALU_DEP_2)
	v_exp_f32_e32 v110, v76
	v_sub_f32_e32 v76, v102, v75
	ds_load_2addr_b32 v[101:102], v90 offset0:204 offset1:221
	v_exp_f32_e32 v111, v111
	v_mul_f32_e32 v112, 0x3fb8aa3b, v76
	s_waitcnt lgkmcnt(2)
	v_fma_f32 v76, v110, v107, 0
	v_sub_f32_e32 v103, v103, v75
	s_delay_alu instid0(VALU_DEP_3) | instskip(NEXT) | instid1(VALU_DEP_2)
	v_exp_f32_e32 v112, v112
	v_dual_sub_f32 v107, v104, v75 :: v_dual_fmac_f32 v76, v109, v108
	s_waitcnt lgkmcnt(1)
	s_waitcnt_depctr 0xfff
	v_fmac_f32_e32 v76, v111, v99
	v_mul_f32_e32 v113, 0x3fb8aa3b, v103
	ds_load_2addr_b32 v[103:104], v90 offset0:238 offset1:255
	v_sub_f32_e32 v90, v105, v75
	v_dual_sub_f32 v99, v106, v75 :: v_dual_fmac_f32 v76, v112, v100
	v_mul_f32_e32 v105, 0x3fb8aa3b, v107
	v_exp_f32_e32 v107, v113
	s_delay_alu instid0(VALU_DEP_2)
	v_dual_mul_f32 v90, 0x3fb8aa3b, v90 :: v_dual_mul_f32 v99, 0x3fb8aa3b, v99
	s_waitcnt lgkmcnt(0)
	s_barrier
	buffer_gl0_inv
	v_exp_f32_e32 v90, v90
	v_exp_f32_e32 v99, v99
	v_fmac_f32_e32 v76, v107, v101
	v_exp_f32_e32 v105, v105
	s_waitcnt_depctr 0xfff
	v_fmac_f32_e32 v76, v105, v102
	s_delay_alu instid0(VALU_DEP_1) | instskip(NEXT) | instid1(VALU_DEP_1)
	v_fmac_f32_e32 v76, v90, v103
	v_fmac_f32_e32 v76, v99, v104
	s_delay_alu instid0(VALU_DEP_1) | instskip(NEXT) | instid1(VALU_DEP_1)
	v_add_f32_e32 v100, 0x358637bd, v76
	v_div_scale_f32 v101, null, v100, v100, 1.0
	v_div_scale_f32 v104, vcc_lo, 1.0, v100, 1.0
	s_delay_alu instid0(VALU_DEP_2) | instskip(SKIP_2) | instid1(VALU_DEP_1)
	v_rcp_f32_e32 v102, v101
	s_waitcnt_depctr 0xfff
	v_fma_f32 v103, -v101, v102, 1.0
	v_fmac_f32_e32 v102, v103, v102
	v_cndmask_b32_e64 v103, v110, v109, s3
	v_cmp_eq_u32_e64 s3, 2, v74
	s_delay_alu instid0(VALU_DEP_3) | instskip(NEXT) | instid1(VALU_DEP_2)
	v_mul_f32_e32 v106, v104, v102
	v_cndmask_b32_e64 v103, v103, v111, s3
	v_cmp_eq_u32_e64 s3, 3, v74
	s_delay_alu instid0(VALU_DEP_3) | instskip(NEXT) | instid1(VALU_DEP_2)
	v_fma_f32 v108, -v101, v106, v104
	v_cndmask_b32_e64 v103, v103, v112, s3
	v_cmp_eq_u32_e64 s3, 4, v74
	s_delay_alu instid0(VALU_DEP_3) | instskip(NEXT) | instid1(VALU_DEP_2)
	v_fmac_f32_e32 v106, v108, v102
	v_cndmask_b32_e64 v103, v103, v107, s3
	s_delay_alu instid0(VALU_DEP_2) | instskip(SKIP_1) | instid1(VALU_DEP_2)
	v_fma_f32 v101, -v101, v106, v104
	v_cmp_eq_u32_e64 s3, 5, v74
	v_div_fmas_f32 v101, v101, v102, v106
	s_delay_alu instid0(VALU_DEP_2) | instskip(SKIP_2) | instid1(VALU_DEP_3)
	v_cndmask_b32_e64 v103, v103, v105, s3
	v_cmp_eq_u32_e32 vcc_lo, 6, v74
	s_mov_b32 s3, exec_lo
	v_div_fixup_f32 v100, v101, v100, 1.0
	s_delay_alu instid0(VALU_DEP_3) | instskip(SKIP_1) | instid1(VALU_DEP_2)
	v_cndmask_b32_e32 v90, v103, v90, vcc_lo
	v_cmp_eq_u32_e32 vcc_lo, 7, v74
	v_cndmask_b32_e32 v90, v90, v99, vcc_lo
	s_delay_alu instid0(VALU_DEP_1) | instskip(NEXT) | instid1(VALU_DEP_1)
	v_mul_f32_e32 v90, v90, v100
	v_mul_f32_e32 v100, v90, v92
	;; [unrolled: 1-line block ×6, first 2 shown]
	v_and_b32_e32 v101, 0x7f800000, v100
	v_mul_f32_e32 v99, v90, v95
	v_mul_f32_e32 v95, v90, v91
	;; [unrolled: 1-line block ×3, first 2 shown]
                                        ; implicit-def: $vgpr91
	s_delay_alu instid0(VALU_DEP_4)
	v_cmpx_ne_u32_e32 0x7f800000, v101
	s_xor_b32 s3, exec_lo, s3
; %bb.15:
	v_bfe_u32 v91, v100, 16, 1
	s_delay_alu instid0(VALU_DEP_1)
	v_add3_u32 v91, v100, v91, 0x7fff
                                        ; implicit-def: $vgpr100
; %bb.16:
	s_and_not1_saveexec_b32 s3, s3
; %bb.17:
	v_and_b32_e32 v91, 0xffff, v100
	v_or_b32_e32 v93, 0x10000, v100
	s_delay_alu instid0(VALU_DEP_2) | instskip(NEXT) | instid1(VALU_DEP_2)
	v_cmp_eq_u32_e32 vcc_lo, 0, v91
	v_cndmask_b32_e32 v91, v93, v100, vcc_lo
; %bb.18:
	s_or_b32 exec_lo, exec_lo, s3
	v_and_b32_e32 v93, 0x7f800000, v95
	s_delay_alu instid0(VALU_DEP_1) | instskip(SKIP_1) | instid1(SALU_CYCLE_1)
	v_cmp_ne_u32_e32 vcc_lo, 0x7f800000, v93
                                        ; implicit-def: $vgpr93
	s_and_saveexec_b32 s3, vcc_lo
	s_xor_b32 s3, exec_lo, s3
; %bb.19:
	v_bfe_u32 v93, v95, 16, 1
	s_delay_alu instid0(VALU_DEP_1)
	v_add3_u32 v93, v95, v93, 0x7fff
                                        ; implicit-def: $vgpr95
; %bb.20:
	s_and_not1_saveexec_b32 s3, s3
; %bb.21:
	v_and_b32_e32 v93, 0xffff, v95
	v_or_b32_e32 v100, 0x10000, v95
	s_delay_alu instid0(VALU_DEP_2) | instskip(NEXT) | instid1(VALU_DEP_2)
	v_cmp_eq_u32_e32 vcc_lo, 0, v93
	v_cndmask_b32_e32 v93, v100, v95, vcc_lo
; %bb.22:
	s_or_b32 exec_lo, exec_lo, s3
	v_and_b32_e32 v95, 0x7f800000, v96
	s_delay_alu instid0(VALU_DEP_1) | instskip(SKIP_1) | instid1(SALU_CYCLE_1)
	v_cmp_ne_u32_e32 vcc_lo, 0x7f800000, v95
                                        ; implicit-def: $vgpr95
	s_and_saveexec_b32 s3, vcc_lo
	s_xor_b32 s3, exec_lo, s3
; %bb.23:
	v_bfe_u32 v95, v96, 16, 1
	s_delay_alu instid0(VALU_DEP_1)
	v_add3_u32 v95, v96, v95, 0x7fff
                                        ; implicit-def: $vgpr96
; %bb.24:
	s_and_not1_saveexec_b32 s3, s3
; %bb.25:
	v_and_b32_e32 v95, 0xffff, v96
	v_or_b32_e32 v100, 0x10000, v96
	s_delay_alu instid0(VALU_DEP_2) | instskip(NEXT) | instid1(VALU_DEP_2)
	v_cmp_eq_u32_e32 vcc_lo, 0, v95
	v_cndmask_b32_e32 v95, v100, v96, vcc_lo
; %bb.26:
	s_or_b32 exec_lo, exec_lo, s3
	v_and_b32_e32 v96, 0x7f800000, v99
	s_delay_alu instid0(VALU_DEP_1) | instskip(SKIP_1) | instid1(SALU_CYCLE_1)
	v_cmp_ne_u32_e32 vcc_lo, 0x7f800000, v96
                                        ; implicit-def: $vgpr96
	s_and_saveexec_b32 s3, vcc_lo
	s_xor_b32 s3, exec_lo, s3
; %bb.27:
	v_bfe_u32 v96, v99, 16, 1
	s_delay_alu instid0(VALU_DEP_1)
	v_add3_u32 v96, v99, v96, 0x7fff
                                        ; implicit-def: $vgpr99
; %bb.28:
	s_and_not1_saveexec_b32 s3, s3
; %bb.29:
	v_and_b32_e32 v96, 0xffff, v99
	v_or_b32_e32 v100, 0x10000, v99
	s_delay_alu instid0(VALU_DEP_2) | instskip(NEXT) | instid1(VALU_DEP_2)
	v_cmp_eq_u32_e32 vcc_lo, 0, v96
	v_cndmask_b32_e32 v96, v100, v99, vcc_lo
; %bb.30:
	s_or_b32 exec_lo, exec_lo, s3
	v_and_b32_e32 v99, 0x7f800000, v98
	s_delay_alu instid0(VALU_DEP_1) | instskip(SKIP_1) | instid1(SALU_CYCLE_1)
	v_cmp_ne_u32_e32 vcc_lo, 0x7f800000, v99
                                        ; implicit-def: $vgpr99
	s_and_saveexec_b32 s3, vcc_lo
	s_xor_b32 s3, exec_lo, s3
; %bb.31:
	v_bfe_u32 v99, v98, 16, 1
	s_delay_alu instid0(VALU_DEP_1)
	v_add3_u32 v99, v98, v99, 0x7fff
                                        ; implicit-def: $vgpr98
; %bb.32:
	s_and_not1_saveexec_b32 s3, s3
; %bb.33:
	v_and_b32_e32 v99, 0xffff, v98
	v_or_b32_e32 v100, 0x10000, v98
	s_delay_alu instid0(VALU_DEP_2) | instskip(NEXT) | instid1(VALU_DEP_2)
	v_cmp_eq_u32_e32 vcc_lo, 0, v99
	v_cndmask_b32_e32 v99, v100, v98, vcc_lo
; %bb.34:
	s_or_b32 exec_lo, exec_lo, s3
	v_and_b32_e32 v98, 0x7f800000, v97
	s_delay_alu instid0(VALU_DEP_1) | instskip(SKIP_1) | instid1(SALU_CYCLE_1)
	v_cmp_ne_u32_e32 vcc_lo, 0x7f800000, v98
                                        ; implicit-def: $vgpr98
	s_and_saveexec_b32 s3, vcc_lo
	s_xor_b32 s3, exec_lo, s3
; %bb.35:
	v_bfe_u32 v98, v97, 16, 1
	s_delay_alu instid0(VALU_DEP_1)
	v_add3_u32 v98, v97, v98, 0x7fff
                                        ; implicit-def: $vgpr97
; %bb.36:
	s_and_not1_saveexec_b32 s3, s3
; %bb.37:
	v_and_b32_e32 v98, 0xffff, v97
	v_or_b32_e32 v100, 0x10000, v97
	s_delay_alu instid0(VALU_DEP_2) | instskip(NEXT) | instid1(VALU_DEP_2)
	v_cmp_eq_u32_e32 vcc_lo, 0, v98
	v_cndmask_b32_e32 v98, v100, v97, vcc_lo
; %bb.38:
	s_or_b32 exec_lo, exec_lo, s3
	v_and_b32_e32 v97, 0x7f800000, v94
	s_delay_alu instid0(VALU_DEP_1) | instskip(SKIP_1) | instid1(SALU_CYCLE_1)
	v_cmp_ne_u32_e32 vcc_lo, 0x7f800000, v97
                                        ; implicit-def: $vgpr97
	s_and_saveexec_b32 s3, vcc_lo
	s_xor_b32 s3, exec_lo, s3
; %bb.39:
	v_bfe_u32 v97, v94, 16, 1
	s_delay_alu instid0(VALU_DEP_1)
	v_add3_u32 v97, v94, v97, 0x7fff
                                        ; implicit-def: $vgpr94
; %bb.40:
	s_and_not1_saveexec_b32 s3, s3
; %bb.41:
	v_and_b32_e32 v97, 0xffff, v94
	v_or_b32_e32 v100, 0x10000, v94
	s_delay_alu instid0(VALU_DEP_2) | instskip(NEXT) | instid1(VALU_DEP_2)
	v_cmp_eq_u32_e32 vcc_lo, 0, v97
	v_cndmask_b32_e32 v97, v100, v94, vcc_lo
; %bb.42:
	s_or_b32 exec_lo, exec_lo, s3
	v_and_b32_e32 v94, 0x7f800000, v92
	s_delay_alu instid0(VALU_DEP_1) | instskip(SKIP_1) | instid1(SALU_CYCLE_1)
	v_cmp_ne_u32_e32 vcc_lo, 0x7f800000, v94
                                        ; implicit-def: $vgpr94
	s_and_saveexec_b32 s3, vcc_lo
	s_xor_b32 s3, exec_lo, s3
; %bb.43:
	v_bfe_u32 v94, v92, 16, 1
	s_delay_alu instid0(VALU_DEP_1)
	v_add3_u32 v94, v92, v94, 0x7fff
                                        ; implicit-def: $vgpr92
; %bb.44:
	s_and_not1_saveexec_b32 s3, s3
; %bb.45:
	v_and_b32_e32 v94, 0xffff, v92
	v_or_b32_e32 v100, 0x10000, v92
	s_delay_alu instid0(VALU_DEP_2) | instskip(NEXT) | instid1(VALU_DEP_2)
	v_cmp_eq_u32_e32 vcc_lo, 0, v94
	v_cndmask_b32_e32 v94, v100, v92, vcc_lo
; %bb.46:
	s_or_b32 exec_lo, exec_lo, s3
	s_load_b64 s[34:35], s[0:1], 0x94
	v_lshlrev_b32_e32 v92, 4, v83
	s_delay_alu instid0(VALU_DEP_2)
	v_perm_b32 v100, v94, v97, 0x7060302
	v_dual_mul_f32 v89, v90, v89 :: v_dual_lshlrev_b32 v94, 11, v74
	v_perm_b32 v97, v93, v91, 0x7060302
	v_mul_f32_e32 v93, v90, v77
	v_perm_b32 v99, v98, v99, 0x7060302
	v_perm_b32 v98, v96, v95, 0x7060302
	v_or3_b32 v77, v92, v94, v85
	v_mul_f32_e32 v88, v90, v88
	v_dual_mul_f32 v87, v90, v87 :: v_dual_and_b32 v94, 0x7f800000, v93
	v_mul_f32_e32 v86, v90, v86
	v_mul_f32_e32 v91, v90, v80
	;; [unrolled: 1-line block ×4, first 2 shown]
	s_mov_b32 s3, exec_lo
	ds_store_b128 v77, v[97:100]
                                        ; implicit-def: $vgpr78
	v_cmpx_ne_u32_e32 0x7f800000, v94
	s_xor_b32 s3, exec_lo, s3
; %bb.47:
	v_bfe_u32 v78, v93, 16, 1
	s_delay_alu instid0(VALU_DEP_1)
	v_add3_u32 v78, v93, v78, 0x7fff
                                        ; implicit-def: $vgpr93
; %bb.48:
	s_and_not1_saveexec_b32 s3, s3
; %bb.49:
	v_and_b32_e32 v78, 0xffff, v93
	v_or_b32_e32 v79, 0x10000, v93
	s_delay_alu instid0(VALU_DEP_2) | instskip(NEXT) | instid1(VALU_DEP_2)
	v_cmp_eq_u32_e32 vcc_lo, 0, v78
	v_cndmask_b32_e32 v78, v79, v93, vcc_lo
; %bb.50:
	s_or_b32 exec_lo, exec_lo, s3
	v_and_b32_e32 v79, 0x7f800000, v80
	s_delay_alu instid0(VALU_DEP_1) | instskip(SKIP_1) | instid1(SALU_CYCLE_1)
	v_cmp_ne_u32_e32 vcc_lo, 0x7f800000, v79
                                        ; implicit-def: $vgpr79
	s_and_saveexec_b32 s3, vcc_lo
	s_xor_b32 s3, exec_lo, s3
; %bb.51:
	v_bfe_u32 v79, v80, 16, 1
	s_delay_alu instid0(VALU_DEP_1)
	v_add3_u32 v79, v80, v79, 0x7fff
                                        ; implicit-def: $vgpr80
; %bb.52:
	s_and_not1_saveexec_b32 s3, s3
; %bb.53:
	v_and_b32_e32 v79, 0xffff, v80
	v_or_b32_e32 v90, 0x10000, v80
	s_delay_alu instid0(VALU_DEP_2) | instskip(NEXT) | instid1(VALU_DEP_2)
	v_cmp_eq_u32_e32 vcc_lo, 0, v79
	v_cndmask_b32_e32 v79, v90, v80, vcc_lo
; %bb.54:
	s_or_b32 exec_lo, exec_lo, s3
	v_and_b32_e32 v80, 0x7f800000, v92
	s_delay_alu instid0(VALU_DEP_1) | instskip(SKIP_1) | instid1(SALU_CYCLE_1)
	v_cmp_ne_u32_e32 vcc_lo, 0x7f800000, v80
                                        ; implicit-def: $vgpr80
	s_and_saveexec_b32 s3, vcc_lo
	s_xor_b32 s3, exec_lo, s3
; %bb.55:
	v_bfe_u32 v80, v92, 16, 1
	s_delay_alu instid0(VALU_DEP_1)
	v_add3_u32 v80, v92, v80, 0x7fff
                                        ; implicit-def: $vgpr92
; %bb.56:
	s_and_not1_saveexec_b32 s3, s3
; %bb.57:
	v_and_b32_e32 v80, 0xffff, v92
	v_or_b32_e32 v90, 0x10000, v92
	s_delay_alu instid0(VALU_DEP_2) | instskip(NEXT) | instid1(VALU_DEP_2)
	v_cmp_eq_u32_e32 vcc_lo, 0, v80
	v_cndmask_b32_e32 v80, v90, v92, vcc_lo
; %bb.58:
	s_or_b32 exec_lo, exec_lo, s3
	v_and_b32_e32 v90, 0x7f800000, v91
	s_delay_alu instid0(VALU_DEP_1) | instskip(SKIP_1) | instid1(SALU_CYCLE_1)
	v_cmp_ne_u32_e32 vcc_lo, 0x7f800000, v90
                                        ; implicit-def: $vgpr90
	s_and_saveexec_b32 s3, vcc_lo
	s_xor_b32 s3, exec_lo, s3
; %bb.59:
	v_bfe_u32 v90, v91, 16, 1
	s_delay_alu instid0(VALU_DEP_1)
	v_add3_u32 v90, v91, v90, 0x7fff
                                        ; implicit-def: $vgpr91
; %bb.60:
	s_and_not1_saveexec_b32 s3, s3
; %bb.61:
	v_and_b32_e32 v90, 0xffff, v91
	v_or_b32_e32 v92, 0x10000, v91
	s_delay_alu instid0(VALU_DEP_2) | instskip(NEXT) | instid1(VALU_DEP_2)
	v_cmp_eq_u32_e32 vcc_lo, 0, v90
	v_cndmask_b32_e32 v90, v92, v91, vcc_lo
; %bb.62:
	s_or_b32 exec_lo, exec_lo, s3
	v_and_b32_e32 v91, 0x7f800000, v86
	s_delay_alu instid0(VALU_DEP_1) | instskip(SKIP_1) | instid1(SALU_CYCLE_1)
	v_cmp_ne_u32_e32 vcc_lo, 0x7f800000, v91
                                        ; implicit-def: $vgpr91
	s_and_saveexec_b32 s3, vcc_lo
	s_xor_b32 s3, exec_lo, s3
; %bb.63:
	v_bfe_u32 v91, v86, 16, 1
	s_delay_alu instid0(VALU_DEP_1)
	v_add3_u32 v91, v86, v91, 0x7fff
                                        ; implicit-def: $vgpr86
; %bb.64:
	s_and_not1_saveexec_b32 s3, s3
; %bb.65:
	v_and_b32_e32 v91, 0xffff, v86
	v_or_b32_e32 v92, 0x10000, v86
	s_delay_alu instid0(VALU_DEP_2) | instskip(NEXT) | instid1(VALU_DEP_2)
	v_cmp_eq_u32_e32 vcc_lo, 0, v91
	v_cndmask_b32_e32 v91, v92, v86, vcc_lo
; %bb.66:
	s_or_b32 exec_lo, exec_lo, s3
	v_and_b32_e32 v86, 0x7f800000, v87
	s_delay_alu instid0(VALU_DEP_1) | instskip(SKIP_1) | instid1(SALU_CYCLE_1)
	v_cmp_ne_u32_e32 vcc_lo, 0x7f800000, v86
                                        ; implicit-def: $vgpr86
	s_and_saveexec_b32 s3, vcc_lo
	s_xor_b32 s3, exec_lo, s3
; %bb.67:
	v_bfe_u32 v86, v87, 16, 1
	s_delay_alu instid0(VALU_DEP_1)
	v_add3_u32 v86, v87, v86, 0x7fff
                                        ; implicit-def: $vgpr87
; %bb.68:
	s_and_not1_saveexec_b32 s3, s3
; %bb.69:
	v_and_b32_e32 v86, 0xffff, v87
	v_or_b32_e32 v92, 0x10000, v87
	s_delay_alu instid0(VALU_DEP_2) | instskip(NEXT) | instid1(VALU_DEP_2)
	v_cmp_eq_u32_e32 vcc_lo, 0, v86
	v_cndmask_b32_e32 v86, v92, v87, vcc_lo
; %bb.70:
	s_or_b32 exec_lo, exec_lo, s3
	v_and_b32_e32 v87, 0x7f800000, v88
	s_delay_alu instid0(VALU_DEP_1) | instskip(SKIP_1) | instid1(SALU_CYCLE_1)
	v_cmp_ne_u32_e32 vcc_lo, 0x7f800000, v87
                                        ; implicit-def: $vgpr87
	s_and_saveexec_b32 s3, vcc_lo
	s_xor_b32 s3, exec_lo, s3
; %bb.71:
	v_bfe_u32 v87, v88, 16, 1
	s_delay_alu instid0(VALU_DEP_1)
	v_add3_u32 v87, v88, v87, 0x7fff
                                        ; implicit-def: $vgpr88
; %bb.72:
	s_and_not1_saveexec_b32 s3, s3
; %bb.73:
	v_and_b32_e32 v87, 0xffff, v88
	v_or_b32_e32 v92, 0x10000, v88
	s_delay_alu instid0(VALU_DEP_2) | instskip(NEXT) | instid1(VALU_DEP_2)
	v_cmp_eq_u32_e32 vcc_lo, 0, v87
	v_cndmask_b32_e32 v87, v92, v88, vcc_lo
; %bb.74:
	s_or_b32 exec_lo, exec_lo, s3
	v_and_b32_e32 v88, 0x7f800000, v89
	s_delay_alu instid0(VALU_DEP_1) | instskip(SKIP_1) | instid1(SALU_CYCLE_1)
	v_cmp_ne_u32_e32 vcc_lo, 0x7f800000, v88
                                        ; implicit-def: $vgpr88
	s_and_saveexec_b32 s3, vcc_lo
	s_xor_b32 s3, exec_lo, s3
; %bb.75:
	v_bfe_u32 v88, v89, 16, 1
	s_delay_alu instid0(VALU_DEP_1)
	v_add3_u32 v88, v89, v88, 0x7fff
                                        ; implicit-def: $vgpr89
; %bb.76:
	s_and_not1_saveexec_b32 s3, s3
; %bb.77:
	v_and_b32_e32 v88, 0xffff, v89
	v_or_b32_e32 v92, 0x10000, v89
	s_delay_alu instid0(VALU_DEP_2) | instskip(NEXT) | instid1(VALU_DEP_2)
	v_cmp_eq_u32_e32 vcc_lo, 0, v88
	v_cndmask_b32_e32 v88, v92, v89, vcc_lo
; %bb.78:
	s_or_b32 exec_lo, exec_lo, s3
	s_delay_alu instid0(VALU_DEP_1)
	v_perm_b32 v89, v88, v87, 0x7060302
	v_perm_b32 v88, v86, v91, 0x7060302
	;; [unrolled: 1-line block ×4, first 2 shown]
	v_lshl_or_b32 v90, v74, 11, v85
	ds_store_b128 v77, v[86:89] offset:1024
	s_waitcnt lgkmcnt(0)
	s_barrier
	buffer_gl0_inv
	ds_load_b128 v[91:94], v90
	ds_load_b128 v[95:98], v90 offset:16
	v_lshlrev_b32_e32 v87, 2, v83
	s_delay_alu instid0(VALU_DEP_1)
	v_or_b32_e32 v88, 1, v87
	v_cmp_eq_u32_e32 vcc_lo, 1, v87
	v_cmp_eq_u32_e64 s4, 2, v87
	v_cmp_eq_u32_e64 s7, 3, v87
	;; [unrolled: 1-line block ×6, first 2 shown]
	v_or_b32_e32 v86, 2, v87
	v_cmp_eq_u32_e64 s10, 5, v87
	v_cmp_eq_u32_e64 s11, 4, v88
	;; [unrolled: 1-line block ×4, first 2 shown]
	s_waitcnt lgkmcnt(1)
	v_lshrrev_b32_e32 v74, 16, v91
	s_waitcnt lgkmcnt(0)
	v_lshrrev_b32_e32 v103, 16, v95
	v_lshrrev_b32_e32 v80, 16, v94
	;; [unrolled: 1-line block ×4, first 2 shown]
	v_cndmask_b32_e32 v89, v91, v74, vcc_lo
	v_cndmask_b32_e32 v99, v95, v103, vcc_lo
	v_cndmask_b32_e64 v100, v91, v74, s3
	v_lshrrev_b32_e32 v79, 16, v93
	v_lshrrev_b32_e32 v108, 16, v97
	v_cndmask_b32_e64 v89, v89, v92, s4
	v_cndmask_b32_e64 v99, v99, v96, s4
	;; [unrolled: 1-line block ×4, first 2 shown]
	v_cmp_eq_u32_e64 s5, 1, v86
	v_cndmask_b32_e64 v89, v89, v78, s7
	v_cndmask_b32_e64 v99, v99, v107, s7
	v_cndmask_b32_e64 v100, v100, v78, s8
	v_cndmask_b32_e64 v101, v101, v96, s6
	v_lshrrev_b32_e32 v109, 16, v98
	v_cndmask_b32_e64 v89, v89, v93, s9
	v_cndmask_b32_e64 v99, v99, v97, s9
	;; [unrolled: 1-line block ×8, first 2 shown]
	v_cmp_eq_u32_e64 s15, 7, v87
	v_cmp_eq_u32_e64 s16, 6, v88
	v_cndmask_b32_e64 v89, v89, v94, s12
	v_cndmask_b32_e64 v99, v99, v98, s12
	v_cmp_eq_u32_e64 s17, 2, v86
	v_cndmask_b32_e64 v101, v101, v97, s11
	v_cndmask_b32_e64 v100, v100, v94, s16
	;; [unrolled: 1-line block ×6, first 2 shown]
	v_cmp_eq_u32_e64 s18, 7, v88
	v_cmp_eq_u32_e64 s19, 3, v86
	v_cmp_eq_u32_e64 s20, 4, v86
	v_cmp_eq_u32_e64 s22, 5, v86
	v_cndmask_b32_e64 v99, v99, v96, s17
	v_cndmask_b32_e64 v112, v100, v80, s18
	;; [unrolled: 1-line block ×4, first 2 shown]
	v_or_b32_e32 v89, 3, v87
	v_cndmask_b32_e64 v105, v99, v107, s19
	v_cmp_eq_u32_e64 s24, 6, v86
	v_cndmask_b32_e64 v113, v100, v98, s16
	v_cndmask_b32_e64 v104, v101, v93, s20
	ds_load_b128 v[99:102], v90 offset:1024
	v_cmp_eq_u32_e64 s21, 1, v89
	v_cmp_eq_u32_e64 s23, 2, v89
	;; [unrolled: 1-line block ×3, first 2 shown]
	v_cndmask_b32_e64 v114, v104, v79, s22
	v_cmp_eq_u32_e64 s26, 4, v89
	v_cndmask_b32_e64 v74, v91, v74, s21
	v_cndmask_b32_e64 v91, v105, v97, s20
	;; [unrolled: 1-line block ×3, first 2 shown]
	ds_load_b128 v[103:106], v90 offset:1040
	v_cmp_eq_u32_e64 s28, 5, v89
	v_cndmask_b32_e64 v74, v74, v92, s23
	v_cndmask_b32_e64 v91, v91, v108, s22
	v_cndmask_b32_e64 v92, v95, v96, s23
	v_cmp_eq_u32_e64 s29, 6, v89
	v_cndmask_b32_e64 v95, v113, v109, s18
	v_cndmask_b32_e64 v74, v74, v78, s25
	;; [unrolled: 1-line block ×5, first 2 shown]
	s_waitcnt lgkmcnt(1)
	v_lshrrev_b32_e32 v96, 16, v99
	v_cndmask_b32_e64 v74, v74, v93, s26
	v_lshrrev_b32_e32 v107, 16, v100
	v_cndmask_b32_e64 v92, v92, v97, s26
	v_cmp_eq_u32_e64 s27, 7, v86
	v_cndmask_b32_e32 v93, v99, v96, vcc_lo
	v_cndmask_b32_e64 v74, v74, v79, s28
	s_delay_alu instid0(VALU_DEP_4)
	v_cndmask_b32_e64 v79, v92, v108, s28
	s_waitcnt lgkmcnt(0)
	v_lshrrev_b32_e32 v97, 16, v103
	v_cndmask_b32_e64 v92, v93, v100, s4
	v_cndmask_b32_e64 v93, v99, v96, s3
	;; [unrolled: 1-line block ×4, first 2 shown]
	v_cndmask_b32_e32 v108, v103, v97, vcc_lo
	v_cndmask_b32_e64 v92, v92, v107, s7
	v_cndmask_b32_e64 v93, v93, v100, s6
	v_lshrrev_b32_e32 v98, 16, v104
	v_cmp_eq_u32_e32 vcc_lo, 7, v89
	v_cndmask_b32_e64 v94, v108, v104, s4
	v_cndmask_b32_e64 v92, v92, v101, s9
	v_lshrrev_b32_e32 v108, 16, v101
	v_cndmask_b32_e64 v93, v93, v107, s8
	v_cndmask_b32_e32 v74, v74, v80, vcc_lo
	v_cndmask_b32_e64 v94, v94, v98, s7
	v_cndmask_b32_e32 v79, v79, v109, vcc_lo
	v_cndmask_b32_e64 v92, v92, v108, s10
	v_cndmask_b32_e64 v78, v78, v80, s27
	;; [unrolled: 1-line block ×4, first 2 shown]
	v_perm_b32 v94, v79, v74, 0x5040100
	v_cndmask_b32_e64 v79, v92, v102, s12
	v_perm_b32 v92, v95, v112, 0x5040100
	v_cndmask_b32_e64 v95, v99, v96, s5
	v_cndmask_b32_e64 v96, v99, v96, s21
	;; [unrolled: 1-line block ×16, first 2 shown]
	v_lshrrev_b32_e32 v109, 16, v105
	v_cndmask_b32_e64 v95, v95, v101, s20
	v_cndmask_b32_e64 v96, v96, v101, s26
	v_cndmask_b32_e64 v98, v99, v105, s26
	v_cndmask_b32_e64 v99, v100, v105, s20
	v_cndmask_b32_e64 v97, v97, v105, s11
	v_cndmask_b32_e64 v74, v80, v108, s13
	v_lshrrev_b32_e32 v80, 16, v102
	v_cndmask_b32_e64 v113, v93, v109, s10
	v_cndmask_b32_e64 v95, v95, v108, s22
	;; [unrolled: 1-line block ×6, first 2 shown]
	v_perm_b32 v93, v91, v78, 0x5040100
	v_cndmask_b32_e64 v74, v74, v102, s16
	v_cndmask_b32_e64 v78, v79, v80, s15
	;; [unrolled: 1-line block ×3, first 2 shown]
	v_lshrrev_b32_e32 v91, 16, v106
	v_cndmask_b32_e64 v95, v95, v102, s24
	v_cndmask_b32_e64 v96, v96, v102, s29
	;; [unrolled: 1-line block ×7, first 2 shown]
	v_cndmask_b32_e32 v80, v96, v80, vcc_lo
	v_cndmask_b32_e32 v96, v98, v91, vcc_lo
	v_cndmask_b32_e64 v99, v99, v91, s27
	v_cndmask_b32_e64 v100, v97, v91, s18
	;; [unrolled: 1-line block ×3, first 2 shown]
	v_perm_b32 v91, v111, v110, 0x5040100
	v_perm_b32 v98, v96, v80, 0x5040100
	;; [unrolled: 1-line block ×5, first 2 shown]
	s_mul_i32 s8, s35, 11
	s_mov_b32 s3, exec_lo
	ds_store_b128 v77, v[91:94]
	ds_store_b128 v77, v[95:98] offset:1024
	v_cmpx_gt_u32_e32 11, v0
	s_cbranch_execz .LBB720_80
; %bb.79:
	s_mul_i32 s4, s8, s30
	s_delay_alu instid0(SALU_CYCLE_1) | instskip(SKIP_1) | instid1(VALU_DEP_1)
	v_add3_u32 v77, s4, s31, v73
	s_load_b128 s[4:7], s[0:1], 0x58
	v_mad_u64_u32 v[73:74], null, v77, s34, s[14:15]
	s_delay_alu instid0(VALU_DEP_1) | instskip(NEXT) | instid1(VALU_DEP_1)
	v_ashrrev_i32_e32 v74, 31, v73
	v_lshlrev_b64 v[73:74], 2, v[73:74]
	s_waitcnt lgkmcnt(0)
	s_delay_alu instid0(VALU_DEP_1) | instskip(NEXT) | instid1(VALU_DEP_2)
	v_add_co_u32 v77, vcc_lo, s6, v73
	v_add_co_ci_u32_e32 v78, vcc_lo, s7, v74, vcc_lo
	v_add_co_u32 v73, vcc_lo, s4, v73
	v_add_co_ci_u32_e32 v74, vcc_lo, s5, v74, vcc_lo
	global_store_b32 v[77:78], v75, off
	global_store_b32 v[73:74], v76, off
.LBB720_80:
	s_or_b32 exec_lo, exec_lo, s3
	s_waitcnt lgkmcnt(0)
	s_waitcnt_vscnt null, 0x0
	s_barrier
	buffer_gl0_inv
	ds_load_b128 v[91:94], v85
	ds_load_b128 v[95:98], v85 offset:16
	ds_load_b128 v[103:106], v85 offset:1040
	;; [unrolled: 1-line block ×3, first 2 shown]
	v_mov_b32_e32 v73, 0
	ds_load_b128 v[111:114], v85 offset:2064
	ds_load_b128 v[107:110], v85 offset:2048
	;; [unrolled: 1-line block ×6, first 2 shown]
	v_mov_b32_e32 v74, v73
	v_mov_b32_e32 v75, v73
	v_mov_b32_e32 v76, v73
	v_mov_b32_e32 v77, v73
	v_mov_b32_e32 v78, v73
	v_mov_b32_e32 v79, v73
	v_mov_b32_e32 v80, v73
	s_waitcnt lgkmcnt(8)
	s_delay_alu instid0(VALU_DEP_1)
	v_wmma_f32_16x16x16_bf16 v[73:80], v[65:72], v[91:98], v[73:80]
	ds_load_b128 v[69:72], v85 offset:5136
	ds_load_b128 v[65:68], v85 offset:5120
	;; [unrolled: 1-line block ×4, first 2 shown]
	s_waitcnt lgkmcnt(10)
	v_wmma_f32_16x16x16_bf16 v[73:80], v[57:64], v[99:106], v[73:80]
	s_waitcnt lgkmcnt(8)
	s_delay_alu instid0(VALU_DEP_1)
	v_wmma_f32_16x16x16_bf16 v[73:80], v[57:64], v[107:114], v[73:80]
	ds_load_b128 v[61:64], v85 offset:7184
	ds_load_b128 v[57:60], v85 offset:7168
	;; [unrolled: 1-line block ×4, first 2 shown]
	s_waitcnt lgkmcnt(10)
	v_wmma_f32_16x16x16_bf16 v[73:80], v[49:56], v[115:122], v[73:80]
	s_waitcnt lgkmcnt(8)
	s_delay_alu instid0(VALU_DEP_1)
	v_wmma_f32_16x16x16_bf16 v[73:80], v[49:56], v[123:130], v[73:80]
	ds_load_b128 v[53:56], v85 offset:9232
	ds_load_b128 v[49:52], v85 offset:9216
	s_waitcnt lgkmcnt(8)
	v_wmma_f32_16x16x16_bf16 v[73:80], v[41:48], v[65:72], v[73:80]
	ds_load_b128 v[69:72], v85 offset:10256
	ds_load_b128 v[65:68], v85 offset:10240
	s_waitcnt lgkmcnt(8)
	;; [unrolled: 4-line block ×3, first 2 shown]
	v_wmma_f32_16x16x16_bf16 v[73:80], v[9:16], v[57:64], v[73:80]
	s_waitcnt lgkmcnt(6)
	s_delay_alu instid0(VALU_DEP_1)
	v_wmma_f32_16x16x16_bf16 v[73:80], v[9:16], v[99:106], v[73:80]
	ds_load_b128 v[13:16], v85 offset:12304
	ds_load_b128 v[9:12], v85 offset:12288
	s_waitcnt lgkmcnt(6)
	v_wmma_f32_16x16x16_bf16 v[73:80], v[1:8], v[49:56], v[73:80]
	ds_load_b128 v[53:56], v85 offset:13328
	ds_load_b128 v[49:52], v85 offset:13312
	s_waitcnt lgkmcnt(6)
	;; [unrolled: 4-line block ×4, first 2 shown]
	v_wmma_f32_16x16x16_bf16 v[73:80], v[33:40], v[9:16], v[73:80]
	s_waitcnt lgkmcnt(4)
	s_delay_alu instid0(VALU_DEP_1) | instskip(SKIP_1) | instid1(VALU_DEP_1)
	v_wmma_f32_16x16x16_bf16 v[73:80], v[25:32], v[49:56], v[73:80]
	s_waitcnt lgkmcnt(2)
	v_wmma_f32_16x16x16_bf16 v[73:80], v[25:32], v[1:8], v[73:80]
	s_waitcnt lgkmcnt(0)
	s_delay_alu instid0(VALU_DEP_1) | instskip(NEXT) | instid1(VALU_DEP_1)
	v_wmma_f32_16x16x16_bf16 v[73:80], v[17:24], v[41:48], v[73:80]
	v_and_b32_e32 v1, 0x7f800000, v73
	s_delay_alu instid0(VALU_DEP_1) | instskip(SKIP_1) | instid1(SALU_CYCLE_1)
	v_cmp_ne_u32_e32 vcc_lo, 0x7f800000, v1
                                        ; implicit-def: $vgpr1
	s_and_saveexec_b32 s3, vcc_lo
	s_xor_b32 s3, exec_lo, s3
; %bb.81:
	v_bfe_u32 v1, v73, 16, 1
	s_delay_alu instid0(VALU_DEP_1)
	v_add3_u32 v1, v73, v1, 0x7fff
; %bb.82:
	s_and_not1_saveexec_b32 s3, s3
; %bb.83:
	v_and_b32_e32 v1, 0xffff, v73
	v_or_b32_e32 v2, 0x10000, v73
	s_delay_alu instid0(VALU_DEP_2) | instskip(NEXT) | instid1(VALU_DEP_2)
	v_cmp_eq_u32_e32 vcc_lo, 0, v1
	v_cndmask_b32_e32 v1, v2, v73, vcc_lo
; %bb.84:
	s_or_b32 exec_lo, exec_lo, s3
	v_and_b32_e32 v2, 0x7f800000, v74
	s_delay_alu instid0(VALU_DEP_1) | instskip(SKIP_1) | instid1(SALU_CYCLE_1)
	v_cmp_ne_u32_e32 vcc_lo, 0x7f800000, v2
                                        ; implicit-def: $vgpr2
	s_and_saveexec_b32 s3, vcc_lo
	s_xor_b32 s3, exec_lo, s3
; %bb.85:
	v_bfe_u32 v2, v74, 16, 1
	s_delay_alu instid0(VALU_DEP_1)
	v_add3_u32 v2, v74, v2, 0x7fff
; %bb.86:
	s_and_not1_saveexec_b32 s3, s3
; %bb.87:
	v_and_b32_e32 v2, 0xffff, v74
	v_or_b32_e32 v3, 0x10000, v74
	s_delay_alu instid0(VALU_DEP_2) | instskip(NEXT) | instid1(VALU_DEP_2)
	v_cmp_eq_u32_e32 vcc_lo, 0, v2
	v_cndmask_b32_e32 v2, v3, v74, vcc_lo
; %bb.88:
	s_or_b32 exec_lo, exec_lo, s3
	v_and_b32_e32 v3, 0x7f800000, v75
	s_delay_alu instid0(VALU_DEP_1) | instskip(SKIP_1) | instid1(SALU_CYCLE_1)
	v_cmp_ne_u32_e32 vcc_lo, 0x7f800000, v3
                                        ; implicit-def: $vgpr3
	s_and_saveexec_b32 s3, vcc_lo
	s_xor_b32 s3, exec_lo, s3
; %bb.89:
	v_bfe_u32 v3, v75, 16, 1
	s_delay_alu instid0(VALU_DEP_1)
	v_add3_u32 v3, v75, v3, 0x7fff
; %bb.90:
	s_and_not1_saveexec_b32 s3, s3
; %bb.91:
	v_and_b32_e32 v3, 0xffff, v75
	v_or_b32_e32 v4, 0x10000, v75
	s_delay_alu instid0(VALU_DEP_2) | instskip(NEXT) | instid1(VALU_DEP_2)
	v_cmp_eq_u32_e32 vcc_lo, 0, v3
	v_cndmask_b32_e32 v3, v4, v75, vcc_lo
; %bb.92:
	s_or_b32 exec_lo, exec_lo, s3
	v_and_b32_e32 v4, 0x7f800000, v76
	s_delay_alu instid0(VALU_DEP_1) | instskip(SKIP_1) | instid1(SALU_CYCLE_1)
	v_cmp_ne_u32_e32 vcc_lo, 0x7f800000, v4
                                        ; implicit-def: $vgpr4
	s_and_saveexec_b32 s3, vcc_lo
	s_xor_b32 s3, exec_lo, s3
; %bb.93:
	v_bfe_u32 v4, v76, 16, 1
	s_delay_alu instid0(VALU_DEP_1)
	v_add3_u32 v4, v76, v4, 0x7fff
; %bb.94:
	s_and_not1_saveexec_b32 s3, s3
; %bb.95:
	v_and_b32_e32 v4, 0xffff, v76
	v_or_b32_e32 v5, 0x10000, v76
	s_delay_alu instid0(VALU_DEP_2) | instskip(NEXT) | instid1(VALU_DEP_2)
	v_cmp_eq_u32_e32 vcc_lo, 0, v4
	v_cndmask_b32_e32 v4, v5, v76, vcc_lo
; %bb.96:
	s_or_b32 exec_lo, exec_lo, s3
	v_and_b32_e32 v5, 0x7f800000, v77
	s_delay_alu instid0(VALU_DEP_1) | instskip(SKIP_1) | instid1(SALU_CYCLE_1)
	v_cmp_ne_u32_e32 vcc_lo, 0x7f800000, v5
                                        ; implicit-def: $vgpr5
	s_and_saveexec_b32 s3, vcc_lo
	s_xor_b32 s3, exec_lo, s3
; %bb.97:
	v_bfe_u32 v5, v77, 16, 1
	s_delay_alu instid0(VALU_DEP_1)
	v_add3_u32 v5, v77, v5, 0x7fff
; %bb.98:
	s_and_not1_saveexec_b32 s3, s3
; %bb.99:
	v_and_b32_e32 v5, 0xffff, v77
	v_or_b32_e32 v6, 0x10000, v77
	s_delay_alu instid0(VALU_DEP_2) | instskip(NEXT) | instid1(VALU_DEP_2)
	v_cmp_eq_u32_e32 vcc_lo, 0, v5
	v_cndmask_b32_e32 v5, v6, v77, vcc_lo
; %bb.100:
	s_or_b32 exec_lo, exec_lo, s3
	v_and_b32_e32 v6, 0x7f800000, v78
	s_delay_alu instid0(VALU_DEP_1) | instskip(SKIP_1) | instid1(SALU_CYCLE_1)
	v_cmp_ne_u32_e32 vcc_lo, 0x7f800000, v6
                                        ; implicit-def: $vgpr6
	s_and_saveexec_b32 s3, vcc_lo
	s_xor_b32 s3, exec_lo, s3
; %bb.101:
	v_bfe_u32 v6, v78, 16, 1
	s_delay_alu instid0(VALU_DEP_1)
	v_add3_u32 v6, v78, v6, 0x7fff
; %bb.102:
	s_and_not1_saveexec_b32 s3, s3
; %bb.103:
	v_and_b32_e32 v6, 0xffff, v78
	v_or_b32_e32 v7, 0x10000, v78
	s_delay_alu instid0(VALU_DEP_2) | instskip(NEXT) | instid1(VALU_DEP_2)
	v_cmp_eq_u32_e32 vcc_lo, 0, v6
	v_cndmask_b32_e32 v6, v7, v78, vcc_lo
; %bb.104:
	s_or_b32 exec_lo, exec_lo, s3
	v_and_b32_e32 v7, 0x7f800000, v79
	s_delay_alu instid0(VALU_DEP_1) | instskip(SKIP_1) | instid1(SALU_CYCLE_1)
	v_cmp_ne_u32_e32 vcc_lo, 0x7f800000, v7
                                        ; implicit-def: $vgpr7
	s_and_saveexec_b32 s3, vcc_lo
	s_xor_b32 s3, exec_lo, s3
; %bb.105:
	v_bfe_u32 v7, v79, 16, 1
	s_delay_alu instid0(VALU_DEP_1)
	v_add3_u32 v7, v79, v7, 0x7fff
; %bb.106:
	s_and_not1_saveexec_b32 s3, s3
; %bb.107:
	v_and_b32_e32 v7, 0xffff, v79
	v_or_b32_e32 v8, 0x10000, v79
	s_delay_alu instid0(VALU_DEP_2) | instskip(NEXT) | instid1(VALU_DEP_2)
	v_cmp_eq_u32_e32 vcc_lo, 0, v7
	v_cndmask_b32_e32 v7, v8, v79, vcc_lo
; %bb.108:
	s_or_b32 exec_lo, exec_lo, s3
	v_and_b32_e32 v8, 0x7f800000, v80
	s_delay_alu instid0(VALU_DEP_1) | instskip(SKIP_1) | instid1(SALU_CYCLE_1)
	v_cmp_ne_u32_e32 vcc_lo, 0x7f800000, v8
                                        ; implicit-def: $vgpr8
	s_and_saveexec_b32 s3, vcc_lo
	s_xor_b32 s3, exec_lo, s3
; %bb.109:
	v_bfe_u32 v8, v80, 16, 1
	s_delay_alu instid0(VALU_DEP_1)
	v_add3_u32 v8, v80, v8, 0x7fff
                                        ; implicit-def: $vgpr73_vgpr74_vgpr75_vgpr76_vgpr77_vgpr78_vgpr79_vgpr80
; %bb.110:
	s_and_not1_saveexec_b32 s3, s3
; %bb.111:
	v_and_b32_e32 v8, 0xffff, v80
	v_or_b32_e32 v9, 0x10000, v80
	s_delay_alu instid0(VALU_DEP_2) | instskip(NEXT) | instid1(VALU_DEP_2)
	v_cmp_eq_u32_e32 vcc_lo, 0, v8
	v_cndmask_b32_e32 v8, v9, v80, vcc_lo
; %bb.112:
	s_or_b32 exec_lo, exec_lo, s3
	s_delay_alu instid0(VALU_DEP_1)
	v_perm_b32 v7, v8, v7, 0x7060302
	v_perm_b32 v6, v6, v5, 0x7060302
	;; [unrolled: 1-line block ×4, first 2 shown]
	v_lshl_or_b32 v9, v83, 4, v90
	s_barrier
	buffer_gl0_inv
	v_cmp_eq_u32_e32 vcc_lo, 1, v87
	ds_store_b128 v9, v[4:7]
	s_waitcnt lgkmcnt(0)
	s_barrier
	buffer_gl0_inv
	ds_load_b128 v[1:4], v90
	ds_load_b128 v[5:8], v90 offset:16
	v_cmp_eq_u32_e64 s4, 2, v87
	v_cmp_eq_u32_e64 s3, 1, v88
	;; [unrolled: 1-line block ×5, first 2 shown]
	s_waitcnt lgkmcnt(1)
	v_lshrrev_b32_e32 v10, 16, v1
	s_waitcnt lgkmcnt(0)
	v_lshrrev_b32_e32 v14, 16, v5
	v_lshrrev_b32_e32 v15, 16, v6
	v_lshrrev_b32_e32 v11, 16, v2
	v_lshrrev_b32_e32 v12, 16, v3
	v_cndmask_b32_e64 v20, v1, v10, s3
	v_cndmask_b32_e32 v19, v5, v14, vcc_lo
	v_cndmask_b32_e64 v21, v5, v14, s3
	v_lshrrev_b32_e32 v16, 16, v7
	v_cmp_eq_u32_e64 s3, 1, v86
	v_lshrrev_b32_e32 v13, 16, v4
	v_cndmask_b32_e64 v19, v19, v6, s4
	v_lshrrev_b32_e32 v17, 16, v8
	s_delay_alu instid0(VALU_DEP_4) | instskip(SKIP_1) | instid1(VALU_DEP_4)
	v_cndmask_b32_e64 v22, v1, v10, s3
	v_cndmask_b32_e64 v23, v5, v14, s3
	;; [unrolled: 1-line block ×3, first 2 shown]
	v_cndmask_b32_e32 v18, v1, v10, vcc_lo
	v_cmp_eq_u32_e32 vcc_lo, 2, v88
	v_cmp_eq_u32_e64 s3, 2, v89
	v_cndmask_b32_e64 v22, v22, v2, s7
	v_cndmask_b32_e32 v20, v20, v2, vcc_lo
	v_cndmask_b32_e32 v21, v21, v6, vcc_lo
	v_cmp_eq_u32_e32 vcc_lo, 4, v87
	v_cndmask_b32_e32 v19, v19, v7, vcc_lo
	v_cndmask_b32_e64 v18, v18, v2, s4
	v_cmp_eq_u32_e64 s4, 3, v88
	s_delay_alu instid0(VALU_DEP_2) | instskip(NEXT) | instid1(VALU_DEP_2)
	v_cndmask_b32_e64 v18, v18, v11, s5
	v_cndmask_b32_e64 v21, v21, v15, s4
	v_cmp_eq_u32_e64 s5, 5, v87
	s_delay_alu instid0(VALU_DEP_3) | instskip(SKIP_1) | instid1(VALU_DEP_3)
	v_cndmask_b32_e32 v18, v18, v3, vcc_lo
	v_cmp_eq_u32_e32 vcc_lo, 4, v88
	v_cndmask_b32_e64 v19, v19, v16, s5
	s_delay_alu instid0(VALU_DEP_3) | instskip(SKIP_4) | instid1(VALU_DEP_3)
	v_cndmask_b32_e64 v18, v18, v12, s5
	v_cndmask_b32_e32 v21, v21, v7, vcc_lo
	v_cndmask_b32_e64 v20, v20, v11, s4
	v_cmp_eq_u32_e64 s4, 5, v88
	v_cmp_eq_u32_e64 s5, 6, v87
	v_cndmask_b32_e32 v20, v20, v3, vcc_lo
	s_delay_alu instid0(VALU_DEP_3) | instskip(SKIP_1) | instid1(VALU_DEP_4)
	v_cndmask_b32_e64 v21, v21, v16, s4
	v_cmp_eq_u32_e32 vcc_lo, 6, v88
	v_cndmask_b32_e64 v18, v18, v4, s5
	v_cndmask_b32_e64 v19, v19, v8, s5
	;; [unrolled: 1-line block ×3, first 2 shown]
	v_cmp_eq_u32_e64 s4, 1, v89
	v_cmp_eq_u32_e64 s5, 7, v87
	s_delay_alu instid0(VALU_DEP_3) | instskip(NEXT) | instid1(VALU_DEP_3)
	v_cndmask_b32_e32 v20, v20, v4, vcc_lo
	v_cndmask_b32_e64 v1, v1, v10, s4
	v_cndmask_b32_e64 v5, v5, v14, s4
	v_cmp_eq_u32_e64 s4, 3, v86
	v_cndmask_b32_e64 v14, v23, v6, s7
	v_cmp_eq_u32_e64 s7, 3, v89
	v_cndmask_b32_e64 v1, v1, v2, s3
	v_cndmask_b32_e64 v2, v5, v6, s3
	;; [unrolled: 1-line block ×3, first 2 shown]
	v_cmp_eq_u32_e64 s3, 4, v86
	v_cndmask_b32_e64 v6, v14, v15, s4
	v_cndmask_b32_e64 v1, v1, v11, s7
	v_cmp_eq_u32_e64 s4, 4, v89
	v_cndmask_b32_e64 v2, v2, v15, s7
	v_cndmask_b32_e64 v5, v10, v3, s3
	;; [unrolled: 3-line block ×3, first 2 shown]
	v_cndmask_b32_e64 v2, v2, v7, s4
	v_cmp_eq_u32_e64 s3, 5, v89
	v_cndmask_b32_e64 v5, v5, v12, s7
	v_cmp_eq_u32_e64 s4, 6, v86
	;; [unrolled: 2-line block ×3, first 2 shown]
	v_cndmask_b32_e64 v1, v1, v12, s3
	v_cndmask_b32_e64 v2, v2, v16, s3
	v_cndmask_b32_e64 v5, v5, v4, s4
	v_cndmask_b32_e64 v3, v3, v8, s4
	v_cmp_eq_u32_e64 s3, 7, v89
	v_cndmask_b32_e64 v1, v1, v4, s7
	v_cndmask_b32_e64 v2, v2, v8, s7
	v_cmp_eq_u32_e64 s4, 7, v86
	v_cndmask_b32_e32 v4, v21, v8, vcc_lo
	v_cndmask_b32_e64 v18, v18, v13, s5
	v_cndmask_b32_e64 v20, v20, v13, s6
	;; [unrolled: 1-line block ×8, first 2 shown]
	s_mov_b32 s3, exec_lo
	v_perm_b32 v4, v2, v1, 0x5040100
	v_perm_b32 v3, v3, v5, 0x5040100
	;; [unrolled: 1-line block ×4, first 2 shown]
	ds_store_b128 v9, v[1:4]
	s_waitcnt lgkmcnt(0)
	s_barrier
	buffer_gl0_inv
	v_cmpx_gt_u32_e32 32, v0
	s_cbranch_execz .LBB720_2
; %bb.113:
	s_load_b64 s[4:5], s[0:1], 0x68
	v_lshlrev_b32_e32 v0, 10, v0
	v_lshlrev_b32_e32 v1, 4, v84
	s_lshl_b32 s0, s34, 7
	v_add_nc_u32_e32 v7, s31, v83
	s_mul_i32 s1, s0, s30
	s_delay_alu instid0(SALU_CYCLE_1) | instskip(SKIP_1) | instid1(VALU_DEP_2)
	s_mul_i32 s6, s1, s8
	v_and_or_b32 v0, 0x3800, v0, v1
	v_mul_lo_u32 v1, v7, s0
	v_add_nc_u32_e32 v2, 2, v7
	s_ashr_i32 s7, s6, 31
	v_add_nc_u32_e32 v4, 4, v7
	s_lshl_b64 s[6:7], s[6:7], 1
	v_add_nc_u32_e32 v8, 6, v7
	v_mul_lo_u32 v3, v2, s0
	v_lshl_or_b32 v19, v83, 6, v0
	v_ashrrev_i32_e32 v2, 31, v1
	v_mul_lo_u32 v11, v4, s0
	v_mul_lo_u32 v25, v8, s0
	s_waitcnt lgkmcnt(0)
	s_add_u32 s1, s4, s6
	s_addc_u32 s3, s5, s7
	s_lshl_b32 s4, s14, 7
	v_lshlrev_b64 v[5:6], 1, v[1:2]
	s_ashr_i32 s5, s4, 31
	v_ashrrev_i32_e32 v4, 31, v3
	s_lshl_b64 s[4:5], s[4:5], 1
	v_ashrrev_i32_e32 v12, 31, v11
	s_add_u32 s1, s1, s4
	s_addc_u32 s3, s3, s5
	v_add_co_u32 v1, vcc_lo, s1, v81
	v_add_co_ci_u32_e32 v2, vcc_lo, s3, v82, vcc_lo
	v_lshlrev_b64 v[3:4], 1, v[3:4]
	s_delay_alu instid0(VALU_DEP_3) | instskip(SKIP_1) | instid1(VALU_DEP_4)
	v_add_co_u32 v23, vcc_lo, v1, v5
	v_add_nc_u32_e32 v5, 8, v7
	v_add_co_ci_u32_e32 v24, vcc_lo, v2, v6, vcc_lo
	s_delay_alu instid0(VALU_DEP_4) | instskip(NEXT) | instid1(VALU_DEP_3)
	v_add_co_u32 v27, vcc_lo, v1, v3
	v_mul_lo_u32 v29, v5, s0
	v_add_co_ci_u32_e32 v28, vcc_lo, v2, v4, vcc_lo
	ds_load_b128 v[3:6], v19
	ds_load_b128 v[7:10], v19 offset:128
	v_lshlrev_b64 v[31:32], 1, v[11:12]
	ds_load_b128 v[11:14], v19 offset:256
	ds_load_b128 v[15:18], v19 offset:384
	ds_load_b128 v[19:22], v19 offset:512
	v_ashrrev_i32_e32 v26, 31, v25
	v_ashrrev_i32_e32 v30, 31, v29
	v_add_co_u32 v31, vcc_lo, v1, v31
	s_delay_alu instid0(VALU_DEP_3) | instskip(NEXT) | instid1(VALU_DEP_3)
	v_lshlrev_b64 v[25:26], 1, v[25:26]
	v_lshlrev_b64 v[29:30], 1, v[29:30]
	v_add_co_ci_u32_e32 v32, vcc_lo, v2, v32, vcc_lo
	s_delay_alu instid0(VALU_DEP_3) | instskip(NEXT) | instid1(VALU_DEP_4)
	v_add_co_u32 v25, vcc_lo, v1, v25
	v_add_co_ci_u32_e32 v26, vcc_lo, v2, v26, vcc_lo
	s_delay_alu instid0(VALU_DEP_4)
	v_add_co_u32 v29, vcc_lo, v1, v29
	v_add_co_ci_u32_e32 v30, vcc_lo, v2, v30, vcc_lo
	s_waitcnt lgkmcnt(4)
	global_store_b128 v[23:24], v[3:6], off
	s_waitcnt lgkmcnt(3)
	global_store_b128 v[27:28], v[7:10], off
	;; [unrolled: 2-line block ×5, first 2 shown]
	s_and_b32 exec_lo, exec_lo, s2
	s_cbranch_execz .LBB720_2
; %bb.114:
	ds_load_b128 v[3:6], v0 offset:640
	s_add_i32 s1, s31, 10
	s_delay_alu instid0(SALU_CYCLE_1) | instskip(NEXT) | instid1(SALU_CYCLE_1)
	s_mul_i32 s0, s1, s0
	s_ashr_i32 s1, s0, 31
	s_delay_alu instid0(SALU_CYCLE_1) | instskip(NEXT) | instid1(SALU_CYCLE_1)
	s_lshl_b64 s[0:1], s[0:1], 1
	v_add_co_u32 v0, vcc_lo, v1, s0
	v_add_co_ci_u32_e32 v1, vcc_lo, s1, v2, vcc_lo
	s_waitcnt lgkmcnt(0)
	global_store_b128 v[0:1], v[3:6], off
	s_nop 0
	s_sendmsg sendmsg(MSG_DEALLOC_VGPRS)
	s_endpgm
	.section	.rodata,"a",@progbits
	.p2align	6, 0x0
	.amdhsa_kernel _Z39paged_attention_ll4mi_QKV_mfma16_kernelI14__hip_bfloat16S0_LN4vllm18Fp8KVCacheDataTypeE0EhLi32ELi128ELi256ELb0ELi11EL8MFMAType0EEvPKT_PKT0_S9_ifPKiSB_SB_iPKfiiiPfSE_PS4_PT2_iSD_SD_
		.amdhsa_group_segment_fixed_size 17472
		.amdhsa_private_segment_fixed_size 0
		.amdhsa_kernarg_size 400
		.amdhsa_user_sgpr_count 13
		.amdhsa_user_sgpr_dispatch_ptr 0
		.amdhsa_user_sgpr_queue_ptr 0
		.amdhsa_user_sgpr_kernarg_segment_ptr 1
		.amdhsa_user_sgpr_dispatch_id 0
		.amdhsa_user_sgpr_private_segment_size 0
		.amdhsa_wavefront_size32 1
		.amdhsa_uses_dynamic_stack 0
		.amdhsa_enable_private_segment 0
		.amdhsa_system_sgpr_workgroup_id_x 1
		.amdhsa_system_sgpr_workgroup_id_y 1
		.amdhsa_system_sgpr_workgroup_id_z 1
		.amdhsa_system_sgpr_workgroup_info 0
		.amdhsa_system_vgpr_workitem_id 0
		.amdhsa_next_free_vgpr 157
		.amdhsa_next_free_sgpr 38
		.amdhsa_reserve_vcc 1
		.amdhsa_float_round_mode_32 0
		.amdhsa_float_round_mode_16_64 0
		.amdhsa_float_denorm_mode_32 3
		.amdhsa_float_denorm_mode_16_64 3
		.amdhsa_dx10_clamp 1
		.amdhsa_ieee_mode 1
		.amdhsa_fp16_overflow 0
		.amdhsa_workgroup_processor_mode 1
		.amdhsa_memory_ordered 1
		.amdhsa_forward_progress 0
		.amdhsa_shared_vgpr_count 0
		.amdhsa_exception_fp_ieee_invalid_op 0
		.amdhsa_exception_fp_denorm_src 0
		.amdhsa_exception_fp_ieee_div_zero 0
		.amdhsa_exception_fp_ieee_overflow 0
		.amdhsa_exception_fp_ieee_underflow 0
		.amdhsa_exception_fp_ieee_inexact 0
		.amdhsa_exception_int_div_zero 0
	.end_amdhsa_kernel
	.section	.text._Z39paged_attention_ll4mi_QKV_mfma16_kernelI14__hip_bfloat16S0_LN4vllm18Fp8KVCacheDataTypeE0EhLi32ELi128ELi256ELb0ELi11EL8MFMAType0EEvPKT_PKT0_S9_ifPKiSB_SB_iPKfiiiPfSE_PS4_PT2_iSD_SD_,"axG",@progbits,_Z39paged_attention_ll4mi_QKV_mfma16_kernelI14__hip_bfloat16S0_LN4vllm18Fp8KVCacheDataTypeE0EhLi32ELi128ELi256ELb0ELi11EL8MFMAType0EEvPKT_PKT0_S9_ifPKiSB_SB_iPKfiiiPfSE_PS4_PT2_iSD_SD_,comdat
.Lfunc_end720:
	.size	_Z39paged_attention_ll4mi_QKV_mfma16_kernelI14__hip_bfloat16S0_LN4vllm18Fp8KVCacheDataTypeE0EhLi32ELi128ELi256ELb0ELi11EL8MFMAType0EEvPKT_PKT0_S9_ifPKiSB_SB_iPKfiiiPfSE_PS4_PT2_iSD_SD_, .Lfunc_end720-_Z39paged_attention_ll4mi_QKV_mfma16_kernelI14__hip_bfloat16S0_LN4vllm18Fp8KVCacheDataTypeE0EhLi32ELi128ELi256ELb0ELi11EL8MFMAType0EEvPKT_PKT0_S9_ifPKiSB_SB_iPKfiiiPfSE_PS4_PT2_iSD_SD_
                                        ; -- End function
	.section	.AMDGPU.csdata,"",@progbits
; Kernel info:
; codeLenInByte = 9908
; NumSgprs: 40
; NumVgprs: 157
; ScratchSize: 0
; MemoryBound: 0
; FloatMode: 240
; IeeeMode: 1
; LDSByteSize: 17472 bytes/workgroup (compile time only)
; SGPRBlocks: 4
; VGPRBlocks: 19
; NumSGPRsForWavesPerEU: 40
; NumVGPRsForWavesPerEU: 157
; Occupancy: 9
; WaveLimiterHint : 1
; COMPUTE_PGM_RSRC2:SCRATCH_EN: 0
; COMPUTE_PGM_RSRC2:USER_SGPR: 13
; COMPUTE_PGM_RSRC2:TRAP_HANDLER: 0
; COMPUTE_PGM_RSRC2:TGID_X_EN: 1
; COMPUTE_PGM_RSRC2:TGID_Y_EN: 1
; COMPUTE_PGM_RSRC2:TGID_Z_EN: 1
; COMPUTE_PGM_RSRC2:TIDIG_COMP_CNT: 0
	.section	.text._Z39paged_attention_ll4mi_QKV_mfma16_kernelI14__hip_bfloat16S0_LN4vllm18Fp8KVCacheDataTypeE0EhLi32ELi128ELi256ELb0ELi12EL8MFMAType0EEvPKT_PKT0_S9_ifPKiSB_SB_iPKfiiiPfSE_PS4_PT2_iSD_SD_,"axG",@progbits,_Z39paged_attention_ll4mi_QKV_mfma16_kernelI14__hip_bfloat16S0_LN4vllm18Fp8KVCacheDataTypeE0EhLi32ELi128ELi256ELb0ELi12EL8MFMAType0EEvPKT_PKT0_S9_ifPKiSB_SB_iPKfiiiPfSE_PS4_PT2_iSD_SD_,comdat
	.protected	_Z39paged_attention_ll4mi_QKV_mfma16_kernelI14__hip_bfloat16S0_LN4vllm18Fp8KVCacheDataTypeE0EhLi32ELi128ELi256ELb0ELi12EL8MFMAType0EEvPKT_PKT0_S9_ifPKiSB_SB_iPKfiiiPfSE_PS4_PT2_iSD_SD_ ; -- Begin function _Z39paged_attention_ll4mi_QKV_mfma16_kernelI14__hip_bfloat16S0_LN4vllm18Fp8KVCacheDataTypeE0EhLi32ELi128ELi256ELb0ELi12EL8MFMAType0EEvPKT_PKT0_S9_ifPKiSB_SB_iPKfiiiPfSE_PS4_PT2_iSD_SD_
	.globl	_Z39paged_attention_ll4mi_QKV_mfma16_kernelI14__hip_bfloat16S0_LN4vllm18Fp8KVCacheDataTypeE0EhLi32ELi128ELi256ELb0ELi12EL8MFMAType0EEvPKT_PKT0_S9_ifPKiSB_SB_iPKfiiiPfSE_PS4_PT2_iSD_SD_
	.p2align	8
	.type	_Z39paged_attention_ll4mi_QKV_mfma16_kernelI14__hip_bfloat16S0_LN4vllm18Fp8KVCacheDataTypeE0EhLi32ELi128ELi256ELb0ELi12EL8MFMAType0EEvPKT_PKT0_S9_ifPKiSB_SB_iPKfiiiPfSE_PS4_PT2_iSD_SD_,@function
_Z39paged_attention_ll4mi_QKV_mfma16_kernelI14__hip_bfloat16S0_LN4vllm18Fp8KVCacheDataTypeE0EhLi32ELi128ELi256ELb0ELi12EL8MFMAType0EEvPKT_PKT0_S9_ifPKiSB_SB_iPKfiiiPfSE_PS4_PT2_iSD_SD_: ; @_Z39paged_attention_ll4mi_QKV_mfma16_kernelI14__hip_bfloat16S0_LN4vllm18Fp8KVCacheDataTypeE0EhLi32ELi128ELi256ELb0ELi12EL8MFMAType0EEvPKT_PKT0_S9_ifPKiSB_SB_iPKfiiiPfSE_PS4_PT2_iSD_SD_
; %bb.0:
	s_load_b64 s[2:3], s[0:1], 0x30
	s_mov_b32 s30, s13
	s_waitcnt lgkmcnt(0)
	s_cmp_lg_u64 s[2:3], 0
	s_cselect_b32 s6, -1, 0
	s_ashr_i32 s31, s13, 31
	s_cmp_eq_u64 s[2:3], 0
	s_cbranch_scc1 .LBB721_3
; %bb.1:
	s_lshl_b64 s[4:5], s[30:31], 2
	s_delay_alu instid0(SALU_CYCLE_1) | instskip(SKIP_4) | instid1(SALU_CYCLE_1)
	s_add_u32 s4, s2, s4
	s_addc_u32 s5, s3, s5
	s_load_b64 s[4:5], s[4:5], 0x0
	s_waitcnt lgkmcnt(0)
	s_sub_i32 s4, s5, s4
	s_cmp_eq_u32 s4, 1
	s_cselect_b32 s4, -1, 0
	s_delay_alu instid0(SALU_CYCLE_1)
	s_and_not1_b32 vcc_lo, exec_lo, s4
	s_cbranch_vccz .LBB721_4
.LBB721_2:
	s_endpgm
.LBB721_3:
.LBB721_4:
	s_load_b64 s[8:9], s[0:1], 0x28
	s_lshl_b64 s[4:5], s[30:31], 2
	s_waitcnt lgkmcnt(0)
	s_add_u32 s8, s8, s4
	s_addc_u32 s9, s9, s5
	s_lshl_b32 s12, s14, 8
	s_load_b32 s17, s[8:9], 0x0
	s_waitcnt lgkmcnt(0)
	s_cmp_ge_i32 s12, s17
	s_cbranch_scc1 .LBB721_2
; %bb.5:
	s_and_not1_b32 vcc_lo, exec_lo, s6
	s_cbranch_vccnz .LBB721_7
; %bb.6:
	s_add_u32 s2, s2, s4
	s_addc_u32 s3, s3, s5
	s_load_b32 s13, s[2:3], 0x0
	s_branch .LBB721_8
.LBB721_7:
	s_mov_b32 s13, s30
.LBB721_8:
	s_clause 0x2
	s_load_b128 s[8:11], s[0:1], 0x8
	s_load_b64 s[2:3], s[0:1], 0x20
	s_load_b128 s[4:7], s[0:1], 0x48
	v_and_b32_e32 v73, 15, v0
	s_waitcnt lgkmcnt(0)
	s_mov_b32 s7, exec_lo
	s_delay_alu instid0(VALU_DEP_1)
	v_lshlrev_b32_e32 v1, 3, v73
	v_cmpx_lt_u32_e32 0xbf, v0
	s_xor_b32 s7, exec_lo, s7
; %bb.9:
	v_mov_b32_e32 v2, 0
; %bb.10:
	s_or_saveexec_b32 s7, s7
	v_lshrrev_b32_e32 v74, 5, v0
	v_and_b32_e32 v75, 31, v0
	v_and_b32_e32 v84, 1, v0
	v_bfe_u32 v83, v0, 4, 1
	s_mul_i32 s29, s15, 12
	s_xor_b32 exec_lo, exec_lo, s7
	s_cbranch_execz .LBB721_12
; %bb.11:
	s_load_b64 s[18:19], s[0:1], 0x0
	v_lshl_or_b32 v7, v74, 1, v83
	s_mul_hi_i32 s21, s13, s4
	s_mul_i32 s20, s13, s4
	v_lshlrev_b32_e32 v4, 1, v1
	s_lshl_b64 s[20:21], s[20:21], 1
	v_add_lshl_u32 v2, v7, s29, 7
	v_lshlrev_b32_e32 v7, 6, v7
	v_lshlrev_b32_e32 v8, 10, v84
	s_delay_alu instid0(VALU_DEP_3) | instskip(NEXT) | instid1(VALU_DEP_1)
	v_ashrrev_i32_e32 v3, 31, v2
	v_lshlrev_b64 v[2:3], 1, v[2:3]
	s_waitcnt lgkmcnt(0)
	s_add_u32 s4, s18, s20
	s_addc_u32 s13, s19, s21
	s_delay_alu instid0(VALU_DEP_1) | instskip(NEXT) | instid1(VALU_DEP_2)
	v_add_co_u32 v2, vcc_lo, s4, v2
	v_add_co_ci_u32_e32 v3, vcc_lo, s13, v3, vcc_lo
	s_delay_alu instid0(VALU_DEP_2) | instskip(NEXT) | instid1(VALU_DEP_2)
	v_add_co_u32 v2, vcc_lo, v2, v4
	v_add_co_ci_u32_e32 v3, vcc_lo, 0, v3, vcc_lo
	global_load_b128 v[3:6], v[2:3], off
	v_lshlrev_b32_e32 v2, 10, v73
	s_delay_alu instid0(VALU_DEP_1) | instskip(NEXT) | instid1(VALU_DEP_1)
	v_and_b32_e32 v2, 0x3800, v2
	v_or3_b32 v7, v2, v8, v7
	v_mov_b32_e32 v2, 0
	s_waitcnt vmcnt(0)
	ds_store_b128 v7, v[3:6]
.LBB721_12:
	s_or_b32 exec_lo, exec_lo, s7
	v_add_nc_u32_e32 v80, -12, v73
	v_and_b32_e32 v3, 0xef, v0
	s_add_i32 s4, s17, 31
	s_clause 0x1
	s_load_b32 s7, s[0:1], 0x38
	s_load_b32 s18, s[0:1], 0x1c
	s_ashr_i32 s13, s4, 31
	v_add_nc_u32_e32 v3, s12, v3
	s_lshr_b32 s13, s13, 27
	s_waitcnt lgkmcnt(0)
	s_add_i32 s4, s4, s13
	s_barrier
	v_ashrrev_i32_e32 v4, 31, v3
	v_cmp_gt_i32_e32 vcc_lo, s17, v3
	s_ashr_i32 s4, s4, 5
	buffer_gl0_inv
	s_add_i32 s4, s4, -1
	v_lshrrev_b32_e32 v5, 27, v4
	v_or_b32_e32 v4, 16, v3
	v_lshlrev_b64 v[81:82], 1, v[1:2]
	s_delay_alu instid0(VALU_DEP_3) | instskip(NEXT) | instid1(VALU_DEP_3)
	v_add_nc_u32_e32 v6, v3, v5
	v_add_nc_u32_e32 v5, v4, v5
	s_mul_i32 s20, s30, s7
	s_delay_alu instid0(SALU_CYCLE_1) | instskip(NEXT) | instid1(VALU_DEP_2)
	s_ashr_i32 s21, s20, 31
	v_ashrrev_i32_e32 v6, 5, v6
	s_delay_alu instid0(VALU_DEP_2) | instskip(SKIP_1) | instid1(SALU_CYCLE_1)
	v_ashrrev_i32_e32 v5, 5, v5
	s_lshl_b64 s[20:21], s[20:21], 2
	s_add_u32 s7, s2, s20
	s_delay_alu instid0(VALU_DEP_2) | instskip(SKIP_3) | instid1(VALU_DEP_2)
	v_cndmask_b32_e32 v3, s4, v6, vcc_lo
	v_cmp_gt_i32_e32 vcc_lo, s17, v4
	s_addc_u32 s13, s3, s21
	s_mul_i32 s2, s15, s6
	v_ashrrev_i32_e32 v4, 31, v3
	v_cndmask_b32_e32 v5, s4, v5, vcc_lo
	s_ashr_i32 s3, s2, 31
	s_delay_alu instid0(SALU_CYCLE_1) | instskip(NEXT) | instid1(VALU_DEP_2)
	s_lshl_b64 s[2:3], s[2:3], 1
	v_lshlrev_b64 v[3:4], 2, v[3:4]
	s_delay_alu instid0(VALU_DEP_2) | instskip(SKIP_3) | instid1(VALU_DEP_1)
	v_ashrrev_i32_e32 v6, 31, v5
	s_add_u32 s6, s8, s2
	s_addc_u32 s15, s9, s3
	s_lshl_b32 s8, s14, 3
	v_lshlrev_b64 v[5:6], 2, v[5:6]
	v_add_co_u32 v3, vcc_lo, s7, v3
	v_add_co_ci_u32_e32 v4, vcc_lo, s13, v4, vcc_lo
	s_ashr_i32 s9, s8, 31
	s_delay_alu instid0(VALU_DEP_3) | instskip(NEXT) | instid1(VALU_DEP_4)
	v_add_co_u32 v5, vcc_lo, s7, v5
	v_add_co_ci_u32_e32 v6, vcc_lo, s13, v6, vcc_lo
	s_clause 0x1
	global_load_b32 v7, v[3:4], off
	global_load_b32 v8, v[5:6], off
	s_lshl_b64 s[8:9], s[8:9], 2
	s_delay_alu instid0(SALU_CYCLE_1) | instskip(SKIP_2) | instid1(SALU_CYCLE_1)
	s_add_u32 s8, s7, s8
	s_addc_u32 s9, s13, s9
	s_or_b32 s16, s12, 32
	s_ashr_i32 s19, s16, 5
	s_cmp_lt_i32 s16, s17
	s_cselect_b32 s20, s19, s4
	s_delay_alu instid0(SALU_CYCLE_1) | instskip(NEXT) | instid1(SALU_CYCLE_1)
	s_ashr_i32 s21, s20, 31
	s_lshl_b64 s[20:21], s[20:21], 2
	s_delay_alu instid0(SALU_CYCLE_1) | instskip(SKIP_2) | instid1(SALU_CYCLE_1)
	s_add_u32 s20, s7, s20
	s_addc_u32 s21, s13, s21
	s_or_b32 s16, s12, 64
	s_ashr_i32 s19, s16, 5
	s_cmp_lt_i32 s16, s17
	s_cselect_b32 s22, s19, s4
	s_delay_alu instid0(SALU_CYCLE_1) | instskip(NEXT) | instid1(SALU_CYCLE_1)
	s_ashr_i32 s23, s22, 31
	s_lshl_b64 s[22:23], s[22:23], 2
	s_delay_alu instid0(SALU_CYCLE_1) | instskip(SKIP_2) | instid1(SALU_CYCLE_1)
	s_add_u32 s22, s7, s22
	s_addc_u32 s23, s13, s23
	s_or_b32 s16, s12, 0x60
	s_ashr_i32 s19, s16, 5
	s_cmp_lt_i32 s16, s17
	s_cselect_b32 s24, s19, s4
	s_delay_alu instid0(SALU_CYCLE_1) | instskip(NEXT) | instid1(SALU_CYCLE_1)
	s_ashr_i32 s25, s24, 31
	s_lshl_b64 s[24:25], s[24:25], 2
	s_delay_alu instid0(SALU_CYCLE_1) | instskip(SKIP_2) | instid1(SALU_CYCLE_1)
	s_add_u32 s24, s7, s24
	s_addc_u32 s25, s13, s25
	s_or_b32 s16, s12, 0x80
	s_ashr_i32 s19, s16, 5
	s_cmp_lt_i32 s16, s17
	s_cselect_b32 s26, s19, s4
	s_delay_alu instid0(SALU_CYCLE_1) | instskip(NEXT) | instid1(SALU_CYCLE_1)
	s_ashr_i32 s27, s26, 31
	s_lshl_b64 s[26:27], s[26:27], 2
	s_delay_alu instid0(SALU_CYCLE_1) | instskip(SKIP_2) | instid1(SALU_CYCLE_1)
	s_add_u32 s26, s7, s26
	s_addc_u32 s27, s13, s27
	s_or_b32 s16, s12, 0xa0
	s_ashr_i32 s19, s16, 5
	s_cmp_lt_i32 s16, s17
	s_cselect_b32 s34, s19, s4
	s_delay_alu instid0(SALU_CYCLE_1) | instskip(NEXT) | instid1(SALU_CYCLE_1)
	s_ashr_i32 s35, s34, 31
	s_lshl_b64 s[34:35], s[34:35], 2
	s_delay_alu instid0(SALU_CYCLE_1)
	s_add_u32 s34, s7, s34
	s_addc_u32 s35, s13, s35
	s_clause 0x5
	s_load_b32 s16, s[8:9], 0x0
	s_load_b32 s19, s[20:21], 0x0
	;; [unrolled: 1-line block ×6, first 2 shown]
	s_mov_b32 s20, 0
	s_delay_alu instid0(SALU_CYCLE_1)
	s_mov_b32 s27, s20
	s_mov_b32 s24, s20
	s_mov_b32 s21, s20
	s_mov_b32 s22, s20
	s_mov_b32 s23, s20
	s_mov_b32 s25, s20
	s_mov_b32 s26, s20
	v_dual_mov_b32 v108, s27 :: v_dual_mov_b32 v105, s24
	v_dual_mov_b32 v107, s26 :: v_dual_mov_b32 v106, s25
	;; [unrolled: 1-line block ×4, first 2 shown]
	s_waitcnt lgkmcnt(0)
	s_mul_hi_i32 s21, s16, s5
	s_mul_i32 s20, s16, s5
	s_mul_hi_i32 s23, s19, s5
	s_mul_i32 s22, s19, s5
	;; [unrolled: 2-line block ×5, first 2 shown]
	s_waitcnt vmcnt(1)
	v_mad_i64_i32 v[3:4], null, v7, s5, 0
	s_waitcnt vmcnt(0)
	v_mad_i64_i32 v[5:6], null, v8, s5, 0
	s_delay_alu instid0(VALU_DEP_2) | instskip(NEXT) | instid1(VALU_DEP_2)
	v_lshlrev_b64 v[3:4], 1, v[3:4]
	v_lshlrev_b64 v[1:2], 1, v[5:6]
	s_delay_alu instid0(VALU_DEP_2) | instskip(NEXT) | instid1(VALU_DEP_3)
	v_add_co_u32 v3, vcc_lo, s6, v3
	v_add_co_ci_u32_e32 v4, vcc_lo, s15, v4, vcc_lo
	s_delay_alu instid0(VALU_DEP_3) | instskip(NEXT) | instid1(VALU_DEP_4)
	v_add_co_u32 v1, vcc_lo, s6, v1
	v_add_co_ci_u32_e32 v2, vcc_lo, s15, v2, vcc_lo
	s_delay_alu instid0(VALU_DEP_4) | instskip(NEXT) | instid1(VALU_DEP_4)
	v_add_co_u32 v65, vcc_lo, v3, v81
	v_add_co_ci_u32_e32 v66, vcc_lo, v4, v82, vcc_lo
	s_delay_alu instid0(VALU_DEP_4) | instskip(NEXT) | instid1(VALU_DEP_4)
	v_add_co_u32 v76, vcc_lo, v1, v81
	v_add_co_ci_u32_e32 v77, vcc_lo, v2, v82, vcc_lo
	s_clause 0xf
	global_load_b128 v[1:4], v[65:66], off
	global_load_b128 v[5:8], v[65:66], off offset:512
	global_load_b128 v[9:12], v[76:77], off offset:256
	;; [unrolled: 1-line block ×15, first 2 shown]
	v_add_co_u32 v78, vcc_lo, 0x1000, v65
	v_add_co_ci_u32_e32 v79, vcc_lo, 0, v66, vcc_lo
	v_cmp_gt_u32_e32 vcc_lo, 12, v73
	s_clause 0x1
	global_load_b128 v[65:68], v[78:79], off
	global_load_b128 v[69:72], v[78:79], off offset:512
	s_or_b32 s6, s12, 0xc0
	v_cndmask_b32_e32 v80, v80, v73, vcc_lo
	v_add_co_u32 v76, vcc_lo, 0x1000, v76
	v_add_co_ci_u32_e32 v77, vcc_lo, 0, v77, vcc_lo
	s_delay_alu instid0(VALU_DEP_3)
	v_lshlrev_b32_e32 v80, 6, v80
	ds_load_b128 v[85:88], v80
	ds_load_b128 v[89:92], v80 offset:1024
	s_clause 0x1
	global_load_b128 v[93:96], v[76:77], off offset:256
	global_load_b128 v[97:100], v[76:77], off offset:768
	ds_load_b128 v[109:112], v80 offset:2048
	ds_load_b128 v[113:116], v80 offset:3072
	s_ashr_i32 s8, s6, 5
	s_cmp_lt_i32 s6, s17
	s_cselect_b32 s8, s8, s4
	s_delay_alu instid0(SALU_CYCLE_1) | instskip(NEXT) | instid1(SALU_CYCLE_1)
	s_ashr_i32 s9, s8, 31
	s_lshl_b64 s[8:9], s[8:9], 2
	s_delay_alu instid0(SALU_CYCLE_1) | instskip(SKIP_2) | instid1(SALU_CYCLE_1)
	s_add_u32 s8, s7, s8
	s_addc_u32 s9, s13, s9
	s_or_b32 s6, s12, 0xe0
	s_ashr_i32 s15, s6, 5
	s_cmp_lt_i32 s6, s17
	s_cselect_b32 s24, s15, s4
	s_delay_alu instid0(SALU_CYCLE_1) | instskip(NEXT) | instid1(SALU_CYCLE_1)
	s_ashr_i32 s25, s24, 31
	s_lshl_b64 s[24:25], s[24:25], 2
	s_delay_alu instid0(SALU_CYCLE_1) | instskip(SKIP_2) | instid1(SALU_CYCLE_1)
	s_add_u32 s24, s7, s24
	s_addc_u32 s25, s13, s25
	s_add_i32 s6, s12, 0x100
	s_ashr_i32 s15, s6, 5
	s_cmp_lt_i32 s6, s17
	s_cselect_b32 s36, s15, s4
	s_delay_alu instid0(SALU_CYCLE_1) | instskip(NEXT) | instid1(SALU_CYCLE_1)
	s_ashr_i32 s37, s36, 31
	s_lshl_b64 s[36:37], s[36:37], 2
	s_delay_alu instid0(SALU_CYCLE_1)
	s_add_u32 s6, s7, s36
	s_addc_u32 s7, s13, s37
	s_add_u32 s4, s10, s2
	s_addc_u32 s19, s11, s3
	s_lshl_b64 s[2:3], s[20:21], 1
	s_lshl_b64 s[10:11], s[26:27], 1
	;; [unrolled: 1-line block ×3, first 2 shown]
	s_waitcnt vmcnt(18) lgkmcnt(2)
	v_wmma_f32_16x16x16_bf16 v[117:124], v[1:8], v[85:92], v[101:108]
	s_waitcnt vmcnt(16)
	v_wmma_f32_16x16x16_bf16 v[101:108], v[9:16], v[85:92], v[101:108]
	s_clause 0x3
	global_load_b128 v[1:4], v[78:79], off offset:1024
	global_load_b128 v[5:8], v[78:79], off offset:1536
	;; [unrolled: 1-line block ×4, first 2 shown]
	s_waitcnt vmcnt(18) lgkmcnt(0)
	v_wmma_f32_16x16x16_bf16 v[117:124], v[17:24], v[109:116], v[117:124]
	s_clause 0x1
	global_load_b128 v[17:20], v[78:79], off offset:2048
	global_load_b128 v[21:24], v[78:79], off offset:2560
	s_waitcnt vmcnt(18)
	v_wmma_f32_16x16x16_bf16 v[101:108], v[25:32], v[109:116], v[101:108]
	ds_load_b128 v[25:28], v80 offset:4096
	ds_load_b128 v[29:32], v80 offset:5120
	s_clause 0x5
	global_load_b128 v[109:112], v[76:77], off offset:2304
	global_load_b128 v[113:116], v[76:77], off offset:2816
	;; [unrolled: 1-line block ×6, first 2 shown]
	s_waitcnt vmcnt(22) lgkmcnt(0)
	v_wmma_f32_16x16x16_bf16 v[117:124], v[33:40], v[25:32], v[117:124]
	s_waitcnt vmcnt(20)
	v_wmma_f32_16x16x16_bf16 v[101:108], v[41:48], v[25:32], v[101:108]
	ds_load_b128 v[25:28], v80 offset:6144
	ds_load_b128 v[29:32], v80 offset:7168
	;; [unrolled: 1-line block ×4, first 2 shown]
	s_waitcnt vmcnt(18) lgkmcnt(2)
	v_wmma_f32_16x16x16_bf16 v[117:124], v[49:56], v[25:32], v[117:124]
	s_waitcnt vmcnt(16)
	v_wmma_f32_16x16x16_bf16 v[101:108], v[57:64], v[25:32], v[101:108]
	ds_load_b128 v[25:28], v80 offset:10240
	ds_load_b128 v[29:32], v80 offset:11264
	;; [unrolled: 1-line block ×6, first 2 shown]
	s_waitcnt vmcnt(14) lgkmcnt(6)
	v_wmma_f32_16x16x16_bf16 v[117:124], v[65:72], v[33:40], v[117:124]
	s_waitcnt vmcnt(12)
	v_wmma_f32_16x16x16_bf16 v[101:108], v[93:100], v[33:40], v[101:108]
	s_clause 0x2
	s_load_b32 s16, s[8:9], 0x0
	s_load_b32 s13, s[24:25], 0x0
	;; [unrolled: 1-line block ×3, first 2 shown]
	s_lshl_b64 s[6:7], s[22:23], 1
	s_mul_hi_i32 s9, s33, s5
	s_mul_i32 s8, s33, s5
	s_lshl_b64 s[22:23], s[38:39], 1
	s_lshl_b64 s[8:9], s[8:9], 1
	s_waitcnt lgkmcnt(0)
	s_mul_hi_i32 s25, s16, s5
	s_mul_i32 s24, s16, s5
	s_waitcnt vmcnt(10)
	v_wmma_f32_16x16x16_bf16 v[117:124], v[1:8], v[25:32], v[117:124]
	s_waitcnt vmcnt(8)
	v_wmma_f32_16x16x16_bf16 v[101:108], v[9:16], v[25:32], v[101:108]
	s_waitcnt vmcnt(6)
	s_delay_alu instid0(VALU_DEP_2) | instskip(SKIP_1) | instid1(VALU_DEP_2)
	v_wmma_f32_16x16x16_bf16 v[117:124], v[17:24], v[141:148], v[117:124]
	s_waitcnt vmcnt(4)
	v_wmma_f32_16x16x16_bf16 v[101:108], v[109:116], v[141:148], v[101:108]
	s_waitcnt vmcnt(2)
	s_delay_alu instid0(VALU_DEP_2) | instskip(SKIP_3) | instid1(VALU_DEP_3)
	v_wmma_f32_16x16x16_bf16 v[117:124], v[125:132], v[149:156], v[117:124]
	v_lshlrev_b32_e32 v85, 6, v73
	s_waitcnt vmcnt(0)
	v_wmma_f32_16x16x16_bf16 v[101:108], v[133:140], v[149:156], v[101:108]
	v_mul_f32_e32 v100, s18, v124
	s_delay_alu instid0(VALU_DEP_3) | instskip(SKIP_2) | instid1(VALU_DEP_3)
	v_lshl_or_b32 v41, v74, 10, v85
	v_mul_f32_e32 v99, s18, v118
	v_mul_f32_e32 v97, s18, v117
	v_add_co_u32 v76, s4, s4, v41
	s_delay_alu instid0(VALU_DEP_1) | instskip(NEXT) | instid1(VALU_DEP_2)
	v_add_co_ci_u32_e64 v77, null, s19, 0, s4
	v_add_co_u32 v41, vcc_lo, v76, s2
	s_delay_alu instid0(VALU_DEP_2)
	v_add_co_ci_u32_e32 v42, vcc_lo, s3, v77, vcc_lo
	v_add_co_u32 v33, vcc_lo, v76, s6
	v_add_co_ci_u32_e32 v34, vcc_lo, s7, v77, vcc_lo
	v_add_co_u32 v35, vcc_lo, v76, s10
	;; [unrolled: 2-line block ×5, first 2 shown]
	s_lshl_b64 s[2:3], s[24:25], 1
	v_add_co_ci_u32_e32 v6, vcc_lo, s23, v77, vcc_lo
	s_mul_hi_i32 s7, s13, s5
	s_mul_i32 s6, s13, s5
	v_add_co_u32 v17, vcc_lo, v76, s2
	v_add_co_ci_u32_e32 v18, vcc_lo, s3, v77, vcc_lo
	s_lshl_b64 s[2:3], s[6:7], 1
	s_mul_hi_i32 s7, s15, s5
	s_mul_i32 s6, s15, s5
	v_add_co_u32 v19, vcc_lo, v76, s2
	v_add_co_ci_u32_e32 v20, vcc_lo, s3, v77, vcc_lo
	s_lshl_b64 s[2:3], s[6:7], 1
	s_clause 0x1
	global_load_b128 v[65:68], v[41:42], off
	global_load_b128 v[69:72], v[41:42], off offset:16
	v_add_co_u32 v21, vcc_lo, v76, s2
	v_add_co_ci_u32_e32 v22, vcc_lo, s3, v77, vcc_lo
	s_clause 0xf
	global_load_b128 v[57:60], v[33:34], off
	global_load_b128 v[61:64], v[33:34], off offset:16
	global_load_b128 v[49:52], v[35:36], off
	global_load_b128 v[53:56], v[35:36], off offset:16
	;; [unrolled: 2-line block ×8, first 2 shown]
	v_mbcnt_lo_u32_b32 v77, -1, 0
	s_waitcnt vmcnt(0)
	s_barrier
	buffer_gl0_inv
	v_xor_b32_e32 v78, 16, v77
	s_delay_alu instid0(VALU_DEP_1) | instskip(SKIP_1) | instid1(VALU_DEP_1)
	v_cmp_gt_i32_e32 vcc_lo, 32, v78
	v_dual_cndmask_b32 v77, v77, v78 :: v_dual_and_b32 v76, 0xe0, v0
	v_add_nc_u32_e32 v76, s12, v76
	s_delay_alu instid0(VALU_DEP_1) | instskip(NEXT) | instid1(VALU_DEP_1)
	v_or_b32_e32 v76, v76, v83
	v_or_b32_e32 v78, 2, v76
	;; [unrolled: 1-line block ×4, first 2 shown]
	v_cmp_gt_i32_e32 vcc_lo, s17, v76
	v_or_b32_e32 v86, 8, v76
	v_cmp_gt_i32_e64 s2, s17, v78
	v_or_b32_e32 v87, 10, v76
	v_or_b32_e32 v88, 12, v76
	;; [unrolled: 1-line block ×11, first 2 shown]
	v_cndmask_b32_e32 v76, 0xff7fffff, v97, vcc_lo
	v_cmp_gt_i32_e64 s3, s17, v80
	v_mul_f32_e32 v80, s18, v119
	v_cndmask_b32_e64 v78, 0xff7fffff, v99, s2
	v_mul_f32_e32 v99, s18, v120
	v_cmp_gt_i32_e64 s4, s17, v79
	v_mul_f32_e32 v97, s18, v123
	v_mul_f32_e32 v79, s18, v122
	v_max3_f32 v76, v76, 0xff7fffff, v78
	v_mul_f32_e32 v78, s18, v121
	v_cndmask_b32_e64 v80, 0xff7fffff, v80, s4
	v_cmp_gt_i32_e64 s5, s17, v86
	v_cmp_gt_i32_e64 s6, s17, v87
	v_mul_f32_e32 v86, s18, v107
	v_cndmask_b32_e64 v99, 0xff7fffff, v99, s3
	v_cmp_gt_i32_e64 s7, s17, v89
	v_cndmask_b32_e64 v78, 0xff7fffff, v78, s5
	v_cmp_gt_i32_e64 s8, s17, v88
	v_mul_f32_e32 v89, s18, v101
	v_max3_f32 v76, v76, v80, v99
	v_mul_f32_e32 v80, s18, v108
	v_cndmask_b32_e64 v79, 0xff7fffff, v79, s6
	v_dual_mul_f32 v99, s18, v105 :: v_dual_mul_f32 v88, s18, v102
	v_cndmask_b32_e64 v97, 0xff7fffff, v97, s8
	v_cndmask_b32_e64 v100, 0xff7fffff, v100, s7
	s_delay_alu instid0(VALU_DEP_4) | instskip(SKIP_4) | instid1(VALU_DEP_4)
	v_max3_f32 v76, v76, v78, v79
	v_cmp_gt_i32_e64 s9, s17, v90
	v_cmp_gt_i32_e64 s10, s17, v91
	v_dual_mul_f32 v87, s18, v106 :: v_dual_mul_f32 v78, s18, v104
	v_mul_f32_e32 v79, s18, v103
	v_cndmask_b32_e64 v89, 0xff7fffff, v89, s9
	s_delay_alu instid0(VALU_DEP_4)
	v_cndmask_b32_e64 v88, 0xff7fffff, v88, s10
	v_max3_f32 v76, v76, v97, v100
	v_cmp_gt_i32_e64 s11, s17, v92
	v_cmp_gt_i32_e64 s12, s17, v93
	v_cmp_gt_i32_e64 s13, s17, v94
	v_cmp_gt_i32_e64 s15, s17, v95
	v_max3_f32 v76, v76, v89, v88
	v_cndmask_b32_e64 v79, 0xff7fffff, v79, s11
	v_cndmask_b32_e64 v78, 0xff7fffff, v78, s12
	;; [unrolled: 1-line block ×4, first 2 shown]
	v_cmp_gt_i32_e64 s16, s17, v96
	v_cmp_gt_i32_e64 s17, s17, v98
	v_max3_f32 v76, v76, v79, v78
	v_lshlrev_b32_e32 v99, 2, v77
	s_delay_alu instid0(VALU_DEP_4) | instskip(NEXT) | instid1(VALU_DEP_4)
	v_cndmask_b32_e64 v78, 0xff7fffff, v86, s16
	v_cndmask_b32_e64 v79, 0xff7fffff, v80, s17
	s_delay_alu instid0(VALU_DEP_4) | instskip(NEXT) | instid1(VALU_DEP_1)
	v_max3_f32 v76, v76, v88, v87
	v_max3_f32 v76, v76, v78, v79
	ds_bpermute_b32 v77, v99, v76
	s_waitcnt lgkmcnt(0)
	v_max_f32_e32 v77, v77, v77
	s_delay_alu instid0(VALU_DEP_1) | instskip(NEXT) | instid1(VALU_DEP_1)
	v_max_f32_e32 v76, v76, v77
	v_fma_f32 v78, s18, v118, -v76
	v_fma_f32 v77, s18, v117, -v76
	v_fma_f32 v79, s18, v119, -v76
	v_fma_f32 v80, s18, v120, -v76
	v_fma_f32 v86, s18, v121, -v76
	v_mul_f32_e32 v78, 0x3fb8aa3b, v78
	v_fma_f32 v87, s18, v123, -v76
	v_fma_f32 v88, s18, v105, -v76
	v_mul_f32_e32 v80, 0x3fb8aa3b, v80
	v_mul_f32_e32 v86, 0x3fb8aa3b, v86
	v_exp_f32_e32 v78, v78
	v_fma_f32 v90, s18, v107, -v76
	v_fma_f32 v100, s18, v108, -v76
	v_exp_f32_e32 v80, v80
	v_exp_f32_e32 v86, v86
	v_mul_f32_e32 v88, 0x3fb8aa3b, v88
	s_delay_alu instid0(VALU_DEP_2) | instskip(NEXT) | instid1(TRANS32_DEP_3)
	v_mul_f32_e32 v100, 0x3fb8aa3b, v100
	v_cndmask_b32_e64 v91, 0, v78, s2
	v_mul_f32_e32 v77, 0x3fb8aa3b, v77
	s_delay_alu instid0(VALU_DEP_4) | instskip(NEXT) | instid1(TRANS32_DEP_3)
	v_exp_f32_e32 v88, v88
	v_cndmask_b32_e64 v95, 0, v80, s3
	v_fma_f32 v80, s18, v101, -v76
	s_delay_alu instid0(TRANS32_DEP_2)
	v_cndmask_b32_e64 v96, 0, v86, s5
	v_exp_f32_e32 v77, v77
	v_mul_f32_e32 v79, 0x3fb8aa3b, v79
	v_fma_f32 v86, s18, v102, -v76
	v_mul_f32_e32 v80, 0x3fb8aa3b, v80
	s_mov_b32 s2, exec_lo
	v_exp_f32_e32 v100, v100
	s_delay_alu instid0(VALU_DEP_1) | instskip(NEXT) | instid1(TRANS32_DEP_3)
	v_exp_f32_e32 v80, v80
	v_cndmask_b32_e32 v92, 0, v77, vcc_lo
	v_exp_f32_e32 v79, v79
	v_fma_f32 v77, s18, v122, -v76
	s_delay_alu instid0(VALU_DEP_2) | instskip(NEXT) | instid1(VALU_DEP_1)
	v_add_f32_e32 v78, 0, v92
	v_add_f32_e32 v78, v78, v91
	s_waitcnt_depctr 0xfff
	v_cndmask_b32_e64 v93, 0, v79, s4
	v_mul_f32_e32 v87, 0x3fb8aa3b, v87
	v_fma_f32 v79, s18, v124, -v76
	s_delay_alu instid0(VALU_DEP_3) | instskip(SKIP_1) | instid1(VALU_DEP_3)
	v_add_f32_e32 v78, v78, v93
	v_mul_f32_e32 v77, 0x3fb8aa3b, v77
	v_mul_f32_e32 v79, 0x3fb8aa3b, v79
	v_exp_f32_e32 v87, v87
	s_delay_alu instid0(VALU_DEP_3) | instskip(NEXT) | instid1(VALU_DEP_3)
	v_add_f32_e32 v78, v78, v95
	v_exp_f32_e32 v77, v77
	s_delay_alu instid0(VALU_DEP_2) | instskip(NEXT) | instid1(TRANS32_DEP_3)
	v_exp_f32_e32 v79, v79
	v_cndmask_b32_e64 v94, 0, v87, s8
	v_fma_f32 v87, s18, v104, -v76
	s_waitcnt_depctr 0xfff
	v_cndmask_b32_e64 v97, 0, v77, s6
	v_add_f32_e32 v77, v78, v96
	v_fma_f32 v78, s18, v103, -v76
	v_mul_f32_e32 v86, 0x3fb8aa3b, v86
	v_cndmask_b32_e64 v98, 0, v79, s7
	v_mul_f32_e32 v87, 0x3fb8aa3b, v87
	s_delay_alu instid0(VALU_DEP_4) | instskip(NEXT) | instid1(VALU_DEP_4)
	v_dual_add_f32 v77, v77, v97 :: v_dual_mul_f32 v78, 0x3fb8aa3b, v78
	v_exp_f32_e32 v86, v86
	s_delay_alu instid0(VALU_DEP_2) | instskip(NEXT) | instid1(VALU_DEP_1)
	v_exp_f32_e32 v87, v87
	v_add_f32_e32 v79, v77, v94
	s_delay_alu instid0(VALU_DEP_2) | instskip(SKIP_2) | instid1(VALU_DEP_3)
	v_exp_f32_e32 v89, v78
	v_cndmask_b32_e64 v77, 0, v80, s9
	v_fma_f32 v80, s18, v106, -v76
	v_add_f32_e32 v79, v79, v98
	s_delay_alu instid0(TRANS32_DEP_3) | instskip(NEXT) | instid1(VALU_DEP_3)
	v_cndmask_b32_e64 v78, 0, v86, s10
	v_mul_f32_e32 v80, 0x3fb8aa3b, v80
	s_delay_alu instid0(VALU_DEP_3) | instskip(NEXT) | instid1(TRANS32_DEP_1)
	v_add_f32_e32 v86, v79, v77
	v_cndmask_b32_e64 v79, 0, v89, s11
	v_mul_f32_e32 v89, 0x3fb8aa3b, v90
	s_delay_alu instid0(VALU_DEP_4) | instskip(SKIP_2) | instid1(VALU_DEP_3)
	v_exp_f32_e32 v90, v80
	v_cndmask_b32_e64 v80, 0, v87, s12
	v_add_f32_e32 v86, v86, v78
	v_exp_f32_e32 v89, v89
	s_delay_alu instid0(VALU_DEP_1) | instskip(SKIP_1) | instid1(VALU_DEP_2)
	v_add_f32_e32 v87, v86, v79
	v_cndmask_b32_e64 v86, 0, v88, s13
	v_add_f32_e32 v88, v87, v80
	s_delay_alu instid0(TRANS32_DEP_2) | instskip(NEXT) | instid1(VALU_DEP_2)
	v_cndmask_b32_e64 v87, 0, v90, s15
	v_add_f32_e32 v90, v88, v86
	s_waitcnt_depctr 0xfff
	v_cndmask_b32_e64 v88, 0, v89, s16
	v_add_f32_e32 v89, v90, v87
	s_delay_alu instid0(VALU_DEP_1) | instskip(SKIP_1) | instid1(VALU_DEP_1)
	v_add_f32_e32 v90, v89, v88
	v_cndmask_b32_e64 v89, 0, v100, s17
	v_add_f32_e32 v90, v90, v89
	ds_bpermute_b32 v99, v99, v90
	v_cmpx_gt_u32_e32 16, v75
	s_cbranch_execz .LBB721_14
; %bb.13:
	v_mul_u32_u24_e32 v75, 0x44, v74
	s_waitcnt lgkmcnt(0)
	v_add_f32_e32 v90, v90, v99
	s_delay_alu instid0(VALU_DEP_2) | instskip(NEXT) | instid1(VALU_DEP_1)
	v_lshl_add_u32 v75, v73, 2, v75
	v_add_nc_u32_e32 v75, 0x4000, v75
	ds_store_2addr_b32 v75, v76, v90 offset1:136
.LBB721_14:
	s_or_b32 exec_lo, exec_lo, s2
	v_lshlrev_b32_e32 v75, 2, v73
	s_waitcnt lgkmcnt(0)
	s_barrier
	buffer_gl0_inv
	v_cmp_eq_u32_e64 s2, 1, v74
	v_add_nc_u32_e32 v90, 0x4000, v75
	ds_load_2addr_b32 v[99:100], v90 offset1:17
	ds_load_2addr_b32 v[101:102], v90 offset0:34 offset1:51
	ds_load_2addr_b32 v[103:104], v90 offset0:68 offset1:85
	;; [unrolled: 1-line block ×4, first 2 shown]
	s_waitcnt lgkmcnt(4)
	v_max3_f32 v75, v99, 0xff7fffff, v100
	s_waitcnt lgkmcnt(3)
	s_delay_alu instid0(VALU_DEP_1) | instskip(SKIP_1) | instid1(VALU_DEP_1)
	v_max3_f32 v75, v75, v101, v102
	s_waitcnt lgkmcnt(2)
	v_max3_f32 v75, v75, v103, v104
	s_waitcnt lgkmcnt(1)
	s_delay_alu instid0(VALU_DEP_1) | instskip(NEXT) | instid1(VALU_DEP_1)
	v_max3_f32 v75, v75, v105, v106
	v_sub_f32_e32 v109, v100, v75
	v_sub_f32_e32 v76, v99, v75
	ds_load_2addr_b32 v[99:100], v90 offset0:170 offset1:187
	v_sub_f32_e32 v101, v101, v75
	v_dual_mul_f32 v109, 0x3fb8aa3b, v109 :: v_dual_mul_f32 v76, 0x3fb8aa3b, v76
	s_delay_alu instid0(VALU_DEP_2) | instskip(NEXT) | instid1(VALU_DEP_2)
	v_mul_f32_e32 v111, 0x3fb8aa3b, v101
	v_exp_f32_e32 v109, v109
	s_delay_alu instid0(VALU_DEP_2)
	v_exp_f32_e32 v110, v76
	v_sub_f32_e32 v76, v102, v75
	ds_load_2addr_b32 v[101:102], v90 offset0:204 offset1:221
	v_exp_f32_e32 v111, v111
	v_mul_f32_e32 v112, 0x3fb8aa3b, v76
	s_waitcnt lgkmcnt(2)
	v_fma_f32 v76, v110, v107, 0
	v_sub_f32_e32 v103, v103, v75
	s_delay_alu instid0(VALU_DEP_3) | instskip(NEXT) | instid1(VALU_DEP_2)
	v_exp_f32_e32 v112, v112
	v_dual_sub_f32 v107, v104, v75 :: v_dual_fmac_f32 v76, v109, v108
	s_waitcnt lgkmcnt(1)
	s_waitcnt_depctr 0xfff
	v_fmac_f32_e32 v76, v111, v99
	v_mul_f32_e32 v113, 0x3fb8aa3b, v103
	ds_load_2addr_b32 v[103:104], v90 offset0:238 offset1:255
	v_sub_f32_e32 v90, v105, v75
	v_dual_sub_f32 v99, v106, v75 :: v_dual_fmac_f32 v76, v112, v100
	v_mul_f32_e32 v105, 0x3fb8aa3b, v107
	v_exp_f32_e32 v107, v113
	s_delay_alu instid0(VALU_DEP_2)
	v_dual_mul_f32 v90, 0x3fb8aa3b, v90 :: v_dual_mul_f32 v99, 0x3fb8aa3b, v99
	s_waitcnt lgkmcnt(0)
	s_barrier
	buffer_gl0_inv
	v_exp_f32_e32 v90, v90
	v_exp_f32_e32 v99, v99
	v_fmac_f32_e32 v76, v107, v101
	v_exp_f32_e32 v105, v105
	s_waitcnt_depctr 0xfff
	v_fmac_f32_e32 v76, v105, v102
	s_delay_alu instid0(VALU_DEP_1) | instskip(NEXT) | instid1(VALU_DEP_1)
	v_fmac_f32_e32 v76, v90, v103
	v_fmac_f32_e32 v76, v99, v104
	s_delay_alu instid0(VALU_DEP_1) | instskip(NEXT) | instid1(VALU_DEP_1)
	v_add_f32_e32 v100, 0x358637bd, v76
	v_div_scale_f32 v101, null, v100, v100, 1.0
	v_div_scale_f32 v104, vcc_lo, 1.0, v100, 1.0
	s_delay_alu instid0(VALU_DEP_2) | instskip(SKIP_2) | instid1(VALU_DEP_1)
	v_rcp_f32_e32 v102, v101
	s_waitcnt_depctr 0xfff
	v_fma_f32 v103, -v101, v102, 1.0
	v_fmac_f32_e32 v102, v103, v102
	v_cndmask_b32_e64 v103, v110, v109, s2
	v_cmp_eq_u32_e64 s2, 2, v74
	s_delay_alu instid0(VALU_DEP_3) | instskip(NEXT) | instid1(VALU_DEP_2)
	v_mul_f32_e32 v106, v104, v102
	v_cndmask_b32_e64 v103, v103, v111, s2
	v_cmp_eq_u32_e64 s2, 3, v74
	s_delay_alu instid0(VALU_DEP_3) | instskip(NEXT) | instid1(VALU_DEP_2)
	v_fma_f32 v108, -v101, v106, v104
	v_cndmask_b32_e64 v103, v103, v112, s2
	v_cmp_eq_u32_e64 s2, 4, v74
	s_delay_alu instid0(VALU_DEP_3) | instskip(NEXT) | instid1(VALU_DEP_2)
	v_fmac_f32_e32 v106, v108, v102
	v_cndmask_b32_e64 v103, v103, v107, s2
	s_delay_alu instid0(VALU_DEP_2) | instskip(SKIP_1) | instid1(VALU_DEP_2)
	v_fma_f32 v101, -v101, v106, v104
	v_cmp_eq_u32_e64 s2, 5, v74
	v_div_fmas_f32 v101, v101, v102, v106
	s_delay_alu instid0(VALU_DEP_2) | instskip(SKIP_2) | instid1(VALU_DEP_3)
	v_cndmask_b32_e64 v103, v103, v105, s2
	v_cmp_eq_u32_e32 vcc_lo, 6, v74
	s_mov_b32 s2, exec_lo
	v_div_fixup_f32 v100, v101, v100, 1.0
	s_delay_alu instid0(VALU_DEP_3) | instskip(SKIP_1) | instid1(VALU_DEP_2)
	v_cndmask_b32_e32 v90, v103, v90, vcc_lo
	v_cmp_eq_u32_e32 vcc_lo, 7, v74
	v_cndmask_b32_e32 v90, v90, v99, vcc_lo
	s_delay_alu instid0(VALU_DEP_1) | instskip(NEXT) | instid1(VALU_DEP_1)
	v_mul_f32_e32 v90, v90, v100
	v_mul_f32_e32 v100, v90, v92
	;; [unrolled: 1-line block ×6, first 2 shown]
	v_and_b32_e32 v101, 0x7f800000, v100
	v_mul_f32_e32 v99, v90, v95
	v_mul_f32_e32 v95, v90, v91
	;; [unrolled: 1-line block ×3, first 2 shown]
                                        ; implicit-def: $vgpr91
	s_delay_alu instid0(VALU_DEP_4)
	v_cmpx_ne_u32_e32 0x7f800000, v101
	s_xor_b32 s2, exec_lo, s2
; %bb.15:
	v_bfe_u32 v91, v100, 16, 1
	s_delay_alu instid0(VALU_DEP_1)
	v_add3_u32 v91, v100, v91, 0x7fff
                                        ; implicit-def: $vgpr100
; %bb.16:
	s_and_not1_saveexec_b32 s2, s2
; %bb.17:
	v_and_b32_e32 v91, 0xffff, v100
	v_or_b32_e32 v93, 0x10000, v100
	s_delay_alu instid0(VALU_DEP_2) | instskip(NEXT) | instid1(VALU_DEP_2)
	v_cmp_eq_u32_e32 vcc_lo, 0, v91
	v_cndmask_b32_e32 v91, v93, v100, vcc_lo
; %bb.18:
	s_or_b32 exec_lo, exec_lo, s2
	v_and_b32_e32 v93, 0x7f800000, v95
	s_delay_alu instid0(VALU_DEP_1) | instskip(SKIP_1) | instid1(SALU_CYCLE_1)
	v_cmp_ne_u32_e32 vcc_lo, 0x7f800000, v93
                                        ; implicit-def: $vgpr93
	s_and_saveexec_b32 s2, vcc_lo
	s_xor_b32 s2, exec_lo, s2
; %bb.19:
	v_bfe_u32 v93, v95, 16, 1
	s_delay_alu instid0(VALU_DEP_1)
	v_add3_u32 v93, v95, v93, 0x7fff
                                        ; implicit-def: $vgpr95
; %bb.20:
	s_and_not1_saveexec_b32 s2, s2
; %bb.21:
	v_and_b32_e32 v93, 0xffff, v95
	v_or_b32_e32 v100, 0x10000, v95
	s_delay_alu instid0(VALU_DEP_2) | instskip(NEXT) | instid1(VALU_DEP_2)
	v_cmp_eq_u32_e32 vcc_lo, 0, v93
	v_cndmask_b32_e32 v93, v100, v95, vcc_lo
; %bb.22:
	s_or_b32 exec_lo, exec_lo, s2
	v_and_b32_e32 v95, 0x7f800000, v96
	s_delay_alu instid0(VALU_DEP_1) | instskip(SKIP_1) | instid1(SALU_CYCLE_1)
	v_cmp_ne_u32_e32 vcc_lo, 0x7f800000, v95
                                        ; implicit-def: $vgpr95
	s_and_saveexec_b32 s2, vcc_lo
	s_xor_b32 s2, exec_lo, s2
; %bb.23:
	v_bfe_u32 v95, v96, 16, 1
	s_delay_alu instid0(VALU_DEP_1)
	v_add3_u32 v95, v96, v95, 0x7fff
                                        ; implicit-def: $vgpr96
; %bb.24:
	s_and_not1_saveexec_b32 s2, s2
; %bb.25:
	v_and_b32_e32 v95, 0xffff, v96
	v_or_b32_e32 v100, 0x10000, v96
	s_delay_alu instid0(VALU_DEP_2) | instskip(NEXT) | instid1(VALU_DEP_2)
	v_cmp_eq_u32_e32 vcc_lo, 0, v95
	v_cndmask_b32_e32 v95, v100, v96, vcc_lo
; %bb.26:
	s_or_b32 exec_lo, exec_lo, s2
	v_and_b32_e32 v96, 0x7f800000, v99
	s_delay_alu instid0(VALU_DEP_1) | instskip(SKIP_1) | instid1(SALU_CYCLE_1)
	v_cmp_ne_u32_e32 vcc_lo, 0x7f800000, v96
                                        ; implicit-def: $vgpr96
	s_and_saveexec_b32 s2, vcc_lo
	s_xor_b32 s2, exec_lo, s2
; %bb.27:
	v_bfe_u32 v96, v99, 16, 1
	s_delay_alu instid0(VALU_DEP_1)
	v_add3_u32 v96, v99, v96, 0x7fff
                                        ; implicit-def: $vgpr99
; %bb.28:
	s_and_not1_saveexec_b32 s2, s2
; %bb.29:
	v_and_b32_e32 v96, 0xffff, v99
	v_or_b32_e32 v100, 0x10000, v99
	s_delay_alu instid0(VALU_DEP_2) | instskip(NEXT) | instid1(VALU_DEP_2)
	v_cmp_eq_u32_e32 vcc_lo, 0, v96
	v_cndmask_b32_e32 v96, v100, v99, vcc_lo
; %bb.30:
	s_or_b32 exec_lo, exec_lo, s2
	v_and_b32_e32 v99, 0x7f800000, v98
	s_delay_alu instid0(VALU_DEP_1) | instskip(SKIP_1) | instid1(SALU_CYCLE_1)
	v_cmp_ne_u32_e32 vcc_lo, 0x7f800000, v99
                                        ; implicit-def: $vgpr99
	s_and_saveexec_b32 s2, vcc_lo
	s_xor_b32 s2, exec_lo, s2
; %bb.31:
	v_bfe_u32 v99, v98, 16, 1
	s_delay_alu instid0(VALU_DEP_1)
	v_add3_u32 v99, v98, v99, 0x7fff
                                        ; implicit-def: $vgpr98
; %bb.32:
	s_and_not1_saveexec_b32 s2, s2
; %bb.33:
	v_and_b32_e32 v99, 0xffff, v98
	v_or_b32_e32 v100, 0x10000, v98
	s_delay_alu instid0(VALU_DEP_2) | instskip(NEXT) | instid1(VALU_DEP_2)
	v_cmp_eq_u32_e32 vcc_lo, 0, v99
	v_cndmask_b32_e32 v99, v100, v98, vcc_lo
; %bb.34:
	s_or_b32 exec_lo, exec_lo, s2
	v_and_b32_e32 v98, 0x7f800000, v97
	s_delay_alu instid0(VALU_DEP_1) | instskip(SKIP_1) | instid1(SALU_CYCLE_1)
	v_cmp_ne_u32_e32 vcc_lo, 0x7f800000, v98
                                        ; implicit-def: $vgpr98
	s_and_saveexec_b32 s2, vcc_lo
	s_xor_b32 s2, exec_lo, s2
; %bb.35:
	v_bfe_u32 v98, v97, 16, 1
	s_delay_alu instid0(VALU_DEP_1)
	v_add3_u32 v98, v97, v98, 0x7fff
                                        ; implicit-def: $vgpr97
; %bb.36:
	s_and_not1_saveexec_b32 s2, s2
; %bb.37:
	v_and_b32_e32 v98, 0xffff, v97
	v_or_b32_e32 v100, 0x10000, v97
	s_delay_alu instid0(VALU_DEP_2) | instskip(NEXT) | instid1(VALU_DEP_2)
	v_cmp_eq_u32_e32 vcc_lo, 0, v98
	v_cndmask_b32_e32 v98, v100, v97, vcc_lo
; %bb.38:
	s_or_b32 exec_lo, exec_lo, s2
	v_and_b32_e32 v97, 0x7f800000, v94
	s_delay_alu instid0(VALU_DEP_1) | instskip(SKIP_1) | instid1(SALU_CYCLE_1)
	v_cmp_ne_u32_e32 vcc_lo, 0x7f800000, v97
                                        ; implicit-def: $vgpr97
	s_and_saveexec_b32 s2, vcc_lo
	s_xor_b32 s2, exec_lo, s2
; %bb.39:
	v_bfe_u32 v97, v94, 16, 1
	s_delay_alu instid0(VALU_DEP_1)
	v_add3_u32 v97, v94, v97, 0x7fff
                                        ; implicit-def: $vgpr94
; %bb.40:
	s_and_not1_saveexec_b32 s2, s2
; %bb.41:
	v_and_b32_e32 v97, 0xffff, v94
	v_or_b32_e32 v100, 0x10000, v94
	s_delay_alu instid0(VALU_DEP_2) | instskip(NEXT) | instid1(VALU_DEP_2)
	v_cmp_eq_u32_e32 vcc_lo, 0, v97
	v_cndmask_b32_e32 v97, v100, v94, vcc_lo
; %bb.42:
	s_or_b32 exec_lo, exec_lo, s2
	v_and_b32_e32 v94, 0x7f800000, v92
	s_delay_alu instid0(VALU_DEP_1) | instskip(SKIP_1) | instid1(SALU_CYCLE_1)
	v_cmp_ne_u32_e32 vcc_lo, 0x7f800000, v94
                                        ; implicit-def: $vgpr94
	s_and_saveexec_b32 s2, vcc_lo
	s_xor_b32 s2, exec_lo, s2
; %bb.43:
	v_bfe_u32 v94, v92, 16, 1
	s_delay_alu instid0(VALU_DEP_1)
	v_add3_u32 v94, v92, v94, 0x7fff
                                        ; implicit-def: $vgpr92
; %bb.44:
	s_and_not1_saveexec_b32 s2, s2
; %bb.45:
	v_and_b32_e32 v94, 0xffff, v92
	v_or_b32_e32 v100, 0x10000, v92
	s_delay_alu instid0(VALU_DEP_2) | instskip(NEXT) | instid1(VALU_DEP_2)
	v_cmp_eq_u32_e32 vcc_lo, 0, v94
	v_cndmask_b32_e32 v94, v100, v92, vcc_lo
; %bb.46:
	s_or_b32 exec_lo, exec_lo, s2
	s_load_b64 s[34:35], s[0:1], 0x94
	v_lshlrev_b32_e32 v92, 4, v83
	s_delay_alu instid0(VALU_DEP_2)
	v_perm_b32 v100, v94, v97, 0x7060302
	v_dual_mul_f32 v89, v90, v89 :: v_dual_lshlrev_b32 v94, 11, v74
	v_perm_b32 v97, v93, v91, 0x7060302
	v_mul_f32_e32 v93, v90, v77
	v_perm_b32 v99, v98, v99, 0x7060302
	v_perm_b32 v98, v96, v95, 0x7060302
	v_or3_b32 v77, v92, v94, v85
	v_mul_f32_e32 v88, v90, v88
	v_dual_mul_f32 v87, v90, v87 :: v_dual_and_b32 v94, 0x7f800000, v93
	v_mul_f32_e32 v86, v90, v86
	v_mul_f32_e32 v91, v90, v80
	;; [unrolled: 1-line block ×4, first 2 shown]
	s_mov_b32 s2, exec_lo
	ds_store_b128 v77, v[97:100]
                                        ; implicit-def: $vgpr78
	v_cmpx_ne_u32_e32 0x7f800000, v94
	s_xor_b32 s2, exec_lo, s2
; %bb.47:
	v_bfe_u32 v78, v93, 16, 1
	s_delay_alu instid0(VALU_DEP_1)
	v_add3_u32 v78, v93, v78, 0x7fff
                                        ; implicit-def: $vgpr93
; %bb.48:
	s_and_not1_saveexec_b32 s2, s2
; %bb.49:
	v_and_b32_e32 v78, 0xffff, v93
	v_or_b32_e32 v79, 0x10000, v93
	s_delay_alu instid0(VALU_DEP_2) | instskip(NEXT) | instid1(VALU_DEP_2)
	v_cmp_eq_u32_e32 vcc_lo, 0, v78
	v_cndmask_b32_e32 v78, v79, v93, vcc_lo
; %bb.50:
	s_or_b32 exec_lo, exec_lo, s2
	v_and_b32_e32 v79, 0x7f800000, v80
	s_delay_alu instid0(VALU_DEP_1) | instskip(SKIP_1) | instid1(SALU_CYCLE_1)
	v_cmp_ne_u32_e32 vcc_lo, 0x7f800000, v79
                                        ; implicit-def: $vgpr79
	s_and_saveexec_b32 s2, vcc_lo
	s_xor_b32 s2, exec_lo, s2
; %bb.51:
	v_bfe_u32 v79, v80, 16, 1
	s_delay_alu instid0(VALU_DEP_1)
	v_add3_u32 v79, v80, v79, 0x7fff
                                        ; implicit-def: $vgpr80
; %bb.52:
	s_and_not1_saveexec_b32 s2, s2
; %bb.53:
	v_and_b32_e32 v79, 0xffff, v80
	v_or_b32_e32 v90, 0x10000, v80
	s_delay_alu instid0(VALU_DEP_2) | instskip(NEXT) | instid1(VALU_DEP_2)
	v_cmp_eq_u32_e32 vcc_lo, 0, v79
	v_cndmask_b32_e32 v79, v90, v80, vcc_lo
; %bb.54:
	s_or_b32 exec_lo, exec_lo, s2
	v_and_b32_e32 v80, 0x7f800000, v92
	s_delay_alu instid0(VALU_DEP_1) | instskip(SKIP_1) | instid1(SALU_CYCLE_1)
	v_cmp_ne_u32_e32 vcc_lo, 0x7f800000, v80
                                        ; implicit-def: $vgpr80
	s_and_saveexec_b32 s2, vcc_lo
	s_xor_b32 s2, exec_lo, s2
; %bb.55:
	v_bfe_u32 v80, v92, 16, 1
	s_delay_alu instid0(VALU_DEP_1)
	v_add3_u32 v80, v92, v80, 0x7fff
                                        ; implicit-def: $vgpr92
; %bb.56:
	s_and_not1_saveexec_b32 s2, s2
; %bb.57:
	v_and_b32_e32 v80, 0xffff, v92
	v_or_b32_e32 v90, 0x10000, v92
	s_delay_alu instid0(VALU_DEP_2) | instskip(NEXT) | instid1(VALU_DEP_2)
	v_cmp_eq_u32_e32 vcc_lo, 0, v80
	v_cndmask_b32_e32 v80, v90, v92, vcc_lo
; %bb.58:
	s_or_b32 exec_lo, exec_lo, s2
	v_and_b32_e32 v90, 0x7f800000, v91
	s_delay_alu instid0(VALU_DEP_1) | instskip(SKIP_1) | instid1(SALU_CYCLE_1)
	v_cmp_ne_u32_e32 vcc_lo, 0x7f800000, v90
                                        ; implicit-def: $vgpr90
	s_and_saveexec_b32 s2, vcc_lo
	s_xor_b32 s2, exec_lo, s2
; %bb.59:
	v_bfe_u32 v90, v91, 16, 1
	s_delay_alu instid0(VALU_DEP_1)
	v_add3_u32 v90, v91, v90, 0x7fff
                                        ; implicit-def: $vgpr91
; %bb.60:
	s_and_not1_saveexec_b32 s2, s2
; %bb.61:
	v_and_b32_e32 v90, 0xffff, v91
	v_or_b32_e32 v92, 0x10000, v91
	s_delay_alu instid0(VALU_DEP_2) | instskip(NEXT) | instid1(VALU_DEP_2)
	v_cmp_eq_u32_e32 vcc_lo, 0, v90
	v_cndmask_b32_e32 v90, v92, v91, vcc_lo
; %bb.62:
	s_or_b32 exec_lo, exec_lo, s2
	v_and_b32_e32 v91, 0x7f800000, v86
	s_delay_alu instid0(VALU_DEP_1) | instskip(SKIP_1) | instid1(SALU_CYCLE_1)
	v_cmp_ne_u32_e32 vcc_lo, 0x7f800000, v91
                                        ; implicit-def: $vgpr91
	s_and_saveexec_b32 s2, vcc_lo
	s_xor_b32 s2, exec_lo, s2
; %bb.63:
	v_bfe_u32 v91, v86, 16, 1
	s_delay_alu instid0(VALU_DEP_1)
	v_add3_u32 v91, v86, v91, 0x7fff
                                        ; implicit-def: $vgpr86
; %bb.64:
	s_and_not1_saveexec_b32 s2, s2
; %bb.65:
	v_and_b32_e32 v91, 0xffff, v86
	v_or_b32_e32 v92, 0x10000, v86
	s_delay_alu instid0(VALU_DEP_2) | instskip(NEXT) | instid1(VALU_DEP_2)
	v_cmp_eq_u32_e32 vcc_lo, 0, v91
	v_cndmask_b32_e32 v91, v92, v86, vcc_lo
; %bb.66:
	s_or_b32 exec_lo, exec_lo, s2
	v_and_b32_e32 v86, 0x7f800000, v87
	s_delay_alu instid0(VALU_DEP_1) | instskip(SKIP_1) | instid1(SALU_CYCLE_1)
	v_cmp_ne_u32_e32 vcc_lo, 0x7f800000, v86
                                        ; implicit-def: $vgpr86
	s_and_saveexec_b32 s2, vcc_lo
	s_xor_b32 s2, exec_lo, s2
; %bb.67:
	v_bfe_u32 v86, v87, 16, 1
	s_delay_alu instid0(VALU_DEP_1)
	v_add3_u32 v86, v87, v86, 0x7fff
                                        ; implicit-def: $vgpr87
; %bb.68:
	s_and_not1_saveexec_b32 s2, s2
; %bb.69:
	v_and_b32_e32 v86, 0xffff, v87
	v_or_b32_e32 v92, 0x10000, v87
	s_delay_alu instid0(VALU_DEP_2) | instskip(NEXT) | instid1(VALU_DEP_2)
	v_cmp_eq_u32_e32 vcc_lo, 0, v86
	v_cndmask_b32_e32 v86, v92, v87, vcc_lo
; %bb.70:
	s_or_b32 exec_lo, exec_lo, s2
	v_and_b32_e32 v87, 0x7f800000, v88
	s_delay_alu instid0(VALU_DEP_1) | instskip(SKIP_1) | instid1(SALU_CYCLE_1)
	v_cmp_ne_u32_e32 vcc_lo, 0x7f800000, v87
                                        ; implicit-def: $vgpr87
	s_and_saveexec_b32 s2, vcc_lo
	s_xor_b32 s2, exec_lo, s2
; %bb.71:
	v_bfe_u32 v87, v88, 16, 1
	s_delay_alu instid0(VALU_DEP_1)
	v_add3_u32 v87, v88, v87, 0x7fff
                                        ; implicit-def: $vgpr88
; %bb.72:
	s_and_not1_saveexec_b32 s2, s2
; %bb.73:
	v_and_b32_e32 v87, 0xffff, v88
	v_or_b32_e32 v92, 0x10000, v88
	s_delay_alu instid0(VALU_DEP_2) | instskip(NEXT) | instid1(VALU_DEP_2)
	v_cmp_eq_u32_e32 vcc_lo, 0, v87
	v_cndmask_b32_e32 v87, v92, v88, vcc_lo
; %bb.74:
	s_or_b32 exec_lo, exec_lo, s2
	v_and_b32_e32 v88, 0x7f800000, v89
	s_delay_alu instid0(VALU_DEP_1) | instskip(SKIP_1) | instid1(SALU_CYCLE_1)
	v_cmp_ne_u32_e32 vcc_lo, 0x7f800000, v88
                                        ; implicit-def: $vgpr88
	s_and_saveexec_b32 s2, vcc_lo
	s_xor_b32 s2, exec_lo, s2
; %bb.75:
	v_bfe_u32 v88, v89, 16, 1
	s_delay_alu instid0(VALU_DEP_1)
	v_add3_u32 v88, v89, v88, 0x7fff
                                        ; implicit-def: $vgpr89
; %bb.76:
	s_and_not1_saveexec_b32 s2, s2
; %bb.77:
	v_and_b32_e32 v88, 0xffff, v89
	v_or_b32_e32 v92, 0x10000, v89
	s_delay_alu instid0(VALU_DEP_2) | instskip(NEXT) | instid1(VALU_DEP_2)
	v_cmp_eq_u32_e32 vcc_lo, 0, v88
	v_cndmask_b32_e32 v88, v92, v89, vcc_lo
; %bb.78:
	s_or_b32 exec_lo, exec_lo, s2
	s_delay_alu instid0(VALU_DEP_1)
	v_perm_b32 v89, v88, v87, 0x7060302
	v_perm_b32 v88, v86, v91, 0x7060302
	;; [unrolled: 1-line block ×4, first 2 shown]
	v_lshl_or_b32 v90, v74, 11, v85
	ds_store_b128 v77, v[86:89] offset:1024
	s_waitcnt lgkmcnt(0)
	s_barrier
	buffer_gl0_inv
	ds_load_b128 v[91:94], v90
	ds_load_b128 v[95:98], v90 offset:16
	v_lshlrev_b32_e32 v87, 2, v83
	s_delay_alu instid0(VALU_DEP_1)
	v_or_b32_e32 v88, 1, v87
	v_cmp_eq_u32_e32 vcc_lo, 1, v87
	v_cmp_eq_u32_e64 s3, 2, v87
	v_cmp_eq_u32_e64 s6, 3, v87
	;; [unrolled: 1-line block ×6, first 2 shown]
	v_or_b32_e32 v86, 2, v87
	v_cmp_eq_u32_e64 s9, 5, v87
	v_cmp_eq_u32_e64 s10, 4, v88
	;; [unrolled: 1-line block ×4, first 2 shown]
	s_waitcnt lgkmcnt(1)
	v_lshrrev_b32_e32 v74, 16, v91
	s_waitcnt lgkmcnt(0)
	v_lshrrev_b32_e32 v103, 16, v95
	v_lshrrev_b32_e32 v80, 16, v94
	;; [unrolled: 1-line block ×4, first 2 shown]
	v_cndmask_b32_e32 v89, v91, v74, vcc_lo
	v_cndmask_b32_e32 v99, v95, v103, vcc_lo
	v_cndmask_b32_e64 v100, v91, v74, s2
	v_lshrrev_b32_e32 v79, 16, v93
	v_lshrrev_b32_e32 v108, 16, v97
	v_cndmask_b32_e64 v89, v89, v92, s3
	v_cndmask_b32_e64 v99, v99, v96, s3
	;; [unrolled: 1-line block ×4, first 2 shown]
	v_cmp_eq_u32_e64 s4, 1, v86
	v_cndmask_b32_e64 v89, v89, v78, s6
	v_cndmask_b32_e64 v99, v99, v107, s6
	v_cndmask_b32_e64 v100, v100, v78, s7
	v_cndmask_b32_e64 v101, v101, v96, s5
	v_lshrrev_b32_e32 v109, 16, v98
	v_cndmask_b32_e64 v89, v89, v93, s8
	v_cndmask_b32_e64 v99, v99, v97, s8
	;; [unrolled: 1-line block ×8, first 2 shown]
	v_cmp_eq_u32_e64 s13, 7, v87
	v_cmp_eq_u32_e64 s15, 6, v88
	v_cndmask_b32_e64 v89, v89, v94, s11
	v_cndmask_b32_e64 v99, v99, v98, s11
	v_cmp_eq_u32_e64 s16, 2, v86
	v_cndmask_b32_e64 v101, v101, v97, s10
	v_cndmask_b32_e64 v100, v100, v94, s15
	;; [unrolled: 1-line block ×6, first 2 shown]
	v_cmp_eq_u32_e64 s17, 7, v88
	v_cmp_eq_u32_e64 s18, 3, v86
	;; [unrolled: 1-line block ×4, first 2 shown]
	v_cndmask_b32_e64 v99, v99, v96, s16
	v_cndmask_b32_e64 v112, v100, v80, s17
	;; [unrolled: 1-line block ×4, first 2 shown]
	v_or_b32_e32 v89, 3, v87
	v_cndmask_b32_e64 v105, v99, v107, s18
	v_cmp_eq_u32_e64 s23, 6, v86
	v_cndmask_b32_e64 v113, v100, v98, s15
	v_cndmask_b32_e64 v104, v101, v93, s19
	ds_load_b128 v[99:102], v90 offset:1024
	v_cmp_eq_u32_e64 s20, 1, v89
	v_cmp_eq_u32_e64 s22, 2, v89
	;; [unrolled: 1-line block ×3, first 2 shown]
	v_cndmask_b32_e64 v114, v104, v79, s21
	v_cmp_eq_u32_e64 s25, 4, v89
	v_cndmask_b32_e64 v74, v91, v74, s20
	v_cndmask_b32_e64 v91, v105, v97, s19
	;; [unrolled: 1-line block ×3, first 2 shown]
	ds_load_b128 v[103:106], v90 offset:1040
	v_cmp_eq_u32_e64 s27, 5, v89
	v_cndmask_b32_e64 v74, v74, v92, s22
	v_cndmask_b32_e64 v91, v91, v108, s21
	;; [unrolled: 1-line block ×3, first 2 shown]
	v_cmp_eq_u32_e64 s28, 6, v89
	v_cndmask_b32_e64 v95, v113, v109, s17
	v_cndmask_b32_e64 v74, v74, v78, s24
	;; [unrolled: 1-line block ×5, first 2 shown]
	s_waitcnt lgkmcnt(1)
	v_lshrrev_b32_e32 v96, 16, v99
	v_cndmask_b32_e64 v74, v74, v93, s25
	v_lshrrev_b32_e32 v107, 16, v100
	v_cndmask_b32_e64 v92, v92, v97, s25
	v_cmp_eq_u32_e64 s26, 7, v86
	v_cndmask_b32_e32 v93, v99, v96, vcc_lo
	v_cndmask_b32_e64 v74, v74, v79, s27
	s_delay_alu instid0(VALU_DEP_4)
	v_cndmask_b32_e64 v79, v92, v108, s27
	s_waitcnt lgkmcnt(0)
	v_lshrrev_b32_e32 v97, 16, v103
	v_cndmask_b32_e64 v92, v93, v100, s3
	v_cndmask_b32_e64 v93, v99, v96, s2
	v_cndmask_b32_e64 v74, v74, v94, s28
	v_cndmask_b32_e64 v79, v79, v98, s28
	v_cndmask_b32_e32 v108, v103, v97, vcc_lo
	v_cndmask_b32_e64 v92, v92, v107, s6
	v_cndmask_b32_e64 v93, v93, v100, s5
	v_lshrrev_b32_e32 v98, 16, v104
	v_cmp_eq_u32_e32 vcc_lo, 7, v89
	v_cndmask_b32_e64 v94, v108, v104, s3
	v_cndmask_b32_e64 v92, v92, v101, s8
	v_lshrrev_b32_e32 v108, 16, v101
	v_cndmask_b32_e64 v93, v93, v107, s7
	v_cndmask_b32_e32 v74, v74, v80, vcc_lo
	v_cndmask_b32_e64 v94, v94, v98, s6
	v_cndmask_b32_e32 v79, v79, v109, vcc_lo
	v_cndmask_b32_e64 v92, v92, v108, s9
	v_cndmask_b32_e64 v78, v78, v80, s26
	;; [unrolled: 1-line block ×4, first 2 shown]
	v_perm_b32 v94, v79, v74, 0x5040100
	v_cndmask_b32_e64 v79, v92, v102, s11
	v_perm_b32 v92, v95, v112, 0x5040100
	v_cndmask_b32_e64 v95, v99, v96, s4
	v_cndmask_b32_e64 v96, v99, v96, s20
	;; [unrolled: 1-line block ×16, first 2 shown]
	v_lshrrev_b32_e32 v109, 16, v105
	v_cndmask_b32_e64 v95, v95, v101, s19
	v_cndmask_b32_e64 v96, v96, v101, s25
	;; [unrolled: 1-line block ×6, first 2 shown]
	v_lshrrev_b32_e32 v80, 16, v102
	v_cndmask_b32_e64 v113, v93, v109, s9
	v_cndmask_b32_e64 v95, v95, v108, s21
	v_cndmask_b32_e64 v96, v96, v108, s27
	v_cndmask_b32_e64 v98, v98, v109, s27
	v_cndmask_b32_e64 v99, v99, v109, s21
	v_cndmask_b32_e64 v97, v97, v109, s12
	v_perm_b32 v93, v91, v78, 0x5040100
	v_cndmask_b32_e64 v74, v74, v102, s15
	v_cndmask_b32_e64 v78, v79, v80, s13
	;; [unrolled: 1-line block ×3, first 2 shown]
	v_lshrrev_b32_e32 v91, 16, v106
	v_cndmask_b32_e64 v95, v95, v102, s23
	v_cndmask_b32_e64 v96, v96, v102, s28
	;; [unrolled: 1-line block ×7, first 2 shown]
	v_cndmask_b32_e32 v80, v96, v80, vcc_lo
	v_cndmask_b32_e32 v96, v98, v91, vcc_lo
	v_cndmask_b32_e64 v99, v99, v91, s26
	v_cndmask_b32_e64 v100, v97, v91, s17
	;; [unrolled: 1-line block ×3, first 2 shown]
	v_perm_b32 v91, v111, v110, 0x5040100
	v_perm_b32 v98, v96, v80, 0x5040100
	;; [unrolled: 1-line block ×5, first 2 shown]
	s_mul_i32 s7, s35, 12
	s_mov_b32 s2, exec_lo
	ds_store_b128 v77, v[91:94]
	ds_store_b128 v77, v[95:98] offset:1024
	v_cmpx_gt_u32_e32 12, v0
	s_cbranch_execz .LBB721_80
; %bb.79:
	s_mul_i32 s3, s7, s30
	s_load_b128 s[8:11], s[0:1], 0x58
	v_add3_u32 v77, s3, s29, v73
	s_delay_alu instid0(VALU_DEP_1) | instskip(NEXT) | instid1(VALU_DEP_1)
	v_mad_u64_u32 v[73:74], null, v77, s34, s[14:15]
	v_ashrrev_i32_e32 v74, 31, v73
	s_delay_alu instid0(VALU_DEP_1) | instskip(SKIP_1) | instid1(VALU_DEP_1)
	v_lshlrev_b64 v[73:74], 2, v[73:74]
	s_waitcnt lgkmcnt(0)
	v_add_co_u32 v77, vcc_lo, s10, v73
	s_delay_alu instid0(VALU_DEP_2)
	v_add_co_ci_u32_e32 v78, vcc_lo, s11, v74, vcc_lo
	v_add_co_u32 v73, vcc_lo, s8, v73
	v_add_co_ci_u32_e32 v74, vcc_lo, s9, v74, vcc_lo
	global_store_b32 v[77:78], v75, off
	global_store_b32 v[73:74], v76, off
.LBB721_80:
	s_or_b32 exec_lo, exec_lo, s2
	s_waitcnt lgkmcnt(0)
	s_waitcnt_vscnt null, 0x0
	s_barrier
	buffer_gl0_inv
	ds_load_b128 v[91:94], v85
	ds_load_b128 v[95:98], v85 offset:16
	ds_load_b128 v[103:106], v85 offset:1040
	;; [unrolled: 1-line block ×3, first 2 shown]
	v_mov_b32_e32 v73, 0
	ds_load_b128 v[111:114], v85 offset:2064
	ds_load_b128 v[107:110], v85 offset:2048
	;; [unrolled: 1-line block ×6, first 2 shown]
	v_mov_b32_e32 v74, v73
	v_mov_b32_e32 v75, v73
	;; [unrolled: 1-line block ×7, first 2 shown]
	s_waitcnt lgkmcnt(8)
	s_delay_alu instid0(VALU_DEP_1)
	v_wmma_f32_16x16x16_bf16 v[73:80], v[65:72], v[91:98], v[73:80]
	ds_load_b128 v[69:72], v85 offset:5136
	ds_load_b128 v[65:68], v85 offset:5120
	;; [unrolled: 1-line block ×4, first 2 shown]
	s_waitcnt lgkmcnt(10)
	v_wmma_f32_16x16x16_bf16 v[73:80], v[57:64], v[99:106], v[73:80]
	s_waitcnt lgkmcnt(8)
	s_delay_alu instid0(VALU_DEP_1)
	v_wmma_f32_16x16x16_bf16 v[73:80], v[57:64], v[107:114], v[73:80]
	ds_load_b128 v[61:64], v85 offset:7184
	ds_load_b128 v[57:60], v85 offset:7168
	;; [unrolled: 1-line block ×4, first 2 shown]
	s_waitcnt lgkmcnt(10)
	v_wmma_f32_16x16x16_bf16 v[73:80], v[49:56], v[115:122], v[73:80]
	s_waitcnt lgkmcnt(8)
	s_delay_alu instid0(VALU_DEP_1)
	v_wmma_f32_16x16x16_bf16 v[73:80], v[49:56], v[123:130], v[73:80]
	ds_load_b128 v[53:56], v85 offset:9232
	ds_load_b128 v[49:52], v85 offset:9216
	s_waitcnt lgkmcnt(8)
	v_wmma_f32_16x16x16_bf16 v[73:80], v[41:48], v[65:72], v[73:80]
	ds_load_b128 v[69:72], v85 offset:10256
	ds_load_b128 v[65:68], v85 offset:10240
	s_waitcnt lgkmcnt(8)
	;; [unrolled: 4-line block ×3, first 2 shown]
	v_wmma_f32_16x16x16_bf16 v[73:80], v[9:16], v[57:64], v[73:80]
	s_waitcnt lgkmcnt(6)
	s_delay_alu instid0(VALU_DEP_1)
	v_wmma_f32_16x16x16_bf16 v[73:80], v[9:16], v[99:106], v[73:80]
	ds_load_b128 v[13:16], v85 offset:12304
	ds_load_b128 v[9:12], v85 offset:12288
	s_waitcnt lgkmcnt(6)
	v_wmma_f32_16x16x16_bf16 v[73:80], v[1:8], v[49:56], v[73:80]
	ds_load_b128 v[53:56], v85 offset:13328
	ds_load_b128 v[49:52], v85 offset:13312
	s_waitcnt lgkmcnt(6)
	;; [unrolled: 4-line block ×4, first 2 shown]
	v_wmma_f32_16x16x16_bf16 v[73:80], v[33:40], v[9:16], v[73:80]
	s_waitcnt lgkmcnt(4)
	s_delay_alu instid0(VALU_DEP_1) | instskip(SKIP_1) | instid1(VALU_DEP_1)
	v_wmma_f32_16x16x16_bf16 v[73:80], v[25:32], v[49:56], v[73:80]
	s_waitcnt lgkmcnt(2)
	v_wmma_f32_16x16x16_bf16 v[73:80], v[25:32], v[1:8], v[73:80]
	s_waitcnt lgkmcnt(0)
	s_delay_alu instid0(VALU_DEP_1) | instskip(NEXT) | instid1(VALU_DEP_1)
	v_wmma_f32_16x16x16_bf16 v[73:80], v[17:24], v[41:48], v[73:80]
	v_and_b32_e32 v1, 0x7f800000, v73
	s_delay_alu instid0(VALU_DEP_1) | instskip(SKIP_1) | instid1(SALU_CYCLE_1)
	v_cmp_ne_u32_e32 vcc_lo, 0x7f800000, v1
                                        ; implicit-def: $vgpr1
	s_and_saveexec_b32 s2, vcc_lo
	s_xor_b32 s2, exec_lo, s2
; %bb.81:
	v_bfe_u32 v1, v73, 16, 1
	s_delay_alu instid0(VALU_DEP_1)
	v_add3_u32 v1, v73, v1, 0x7fff
; %bb.82:
	s_and_not1_saveexec_b32 s2, s2
; %bb.83:
	v_and_b32_e32 v1, 0xffff, v73
	v_or_b32_e32 v2, 0x10000, v73
	s_delay_alu instid0(VALU_DEP_2) | instskip(NEXT) | instid1(VALU_DEP_2)
	v_cmp_eq_u32_e32 vcc_lo, 0, v1
	v_cndmask_b32_e32 v1, v2, v73, vcc_lo
; %bb.84:
	s_or_b32 exec_lo, exec_lo, s2
	v_and_b32_e32 v2, 0x7f800000, v74
	s_delay_alu instid0(VALU_DEP_1) | instskip(SKIP_1) | instid1(SALU_CYCLE_1)
	v_cmp_ne_u32_e32 vcc_lo, 0x7f800000, v2
                                        ; implicit-def: $vgpr2
	s_and_saveexec_b32 s2, vcc_lo
	s_xor_b32 s2, exec_lo, s2
; %bb.85:
	v_bfe_u32 v2, v74, 16, 1
	s_delay_alu instid0(VALU_DEP_1)
	v_add3_u32 v2, v74, v2, 0x7fff
; %bb.86:
	s_and_not1_saveexec_b32 s2, s2
; %bb.87:
	v_and_b32_e32 v2, 0xffff, v74
	v_or_b32_e32 v3, 0x10000, v74
	s_delay_alu instid0(VALU_DEP_2) | instskip(NEXT) | instid1(VALU_DEP_2)
	v_cmp_eq_u32_e32 vcc_lo, 0, v2
	v_cndmask_b32_e32 v2, v3, v74, vcc_lo
; %bb.88:
	s_or_b32 exec_lo, exec_lo, s2
	v_and_b32_e32 v3, 0x7f800000, v75
	s_delay_alu instid0(VALU_DEP_1) | instskip(SKIP_1) | instid1(SALU_CYCLE_1)
	v_cmp_ne_u32_e32 vcc_lo, 0x7f800000, v3
                                        ; implicit-def: $vgpr3
	s_and_saveexec_b32 s2, vcc_lo
	s_xor_b32 s2, exec_lo, s2
; %bb.89:
	v_bfe_u32 v3, v75, 16, 1
	s_delay_alu instid0(VALU_DEP_1)
	v_add3_u32 v3, v75, v3, 0x7fff
; %bb.90:
	s_and_not1_saveexec_b32 s2, s2
; %bb.91:
	v_and_b32_e32 v3, 0xffff, v75
	v_or_b32_e32 v4, 0x10000, v75
	s_delay_alu instid0(VALU_DEP_2) | instskip(NEXT) | instid1(VALU_DEP_2)
	v_cmp_eq_u32_e32 vcc_lo, 0, v3
	v_cndmask_b32_e32 v3, v4, v75, vcc_lo
; %bb.92:
	s_or_b32 exec_lo, exec_lo, s2
	v_and_b32_e32 v4, 0x7f800000, v76
	s_delay_alu instid0(VALU_DEP_1) | instskip(SKIP_1) | instid1(SALU_CYCLE_1)
	v_cmp_ne_u32_e32 vcc_lo, 0x7f800000, v4
                                        ; implicit-def: $vgpr4
	s_and_saveexec_b32 s2, vcc_lo
	s_xor_b32 s2, exec_lo, s2
; %bb.93:
	v_bfe_u32 v4, v76, 16, 1
	s_delay_alu instid0(VALU_DEP_1)
	v_add3_u32 v4, v76, v4, 0x7fff
; %bb.94:
	s_and_not1_saveexec_b32 s2, s2
; %bb.95:
	v_and_b32_e32 v4, 0xffff, v76
	v_or_b32_e32 v5, 0x10000, v76
	s_delay_alu instid0(VALU_DEP_2) | instskip(NEXT) | instid1(VALU_DEP_2)
	v_cmp_eq_u32_e32 vcc_lo, 0, v4
	v_cndmask_b32_e32 v4, v5, v76, vcc_lo
; %bb.96:
	s_or_b32 exec_lo, exec_lo, s2
	v_and_b32_e32 v5, 0x7f800000, v77
	s_delay_alu instid0(VALU_DEP_1) | instskip(SKIP_1) | instid1(SALU_CYCLE_1)
	v_cmp_ne_u32_e32 vcc_lo, 0x7f800000, v5
                                        ; implicit-def: $vgpr5
	s_and_saveexec_b32 s2, vcc_lo
	s_xor_b32 s2, exec_lo, s2
; %bb.97:
	v_bfe_u32 v5, v77, 16, 1
	s_delay_alu instid0(VALU_DEP_1)
	v_add3_u32 v5, v77, v5, 0x7fff
; %bb.98:
	s_and_not1_saveexec_b32 s2, s2
; %bb.99:
	v_and_b32_e32 v5, 0xffff, v77
	v_or_b32_e32 v6, 0x10000, v77
	s_delay_alu instid0(VALU_DEP_2) | instskip(NEXT) | instid1(VALU_DEP_2)
	v_cmp_eq_u32_e32 vcc_lo, 0, v5
	v_cndmask_b32_e32 v5, v6, v77, vcc_lo
; %bb.100:
	s_or_b32 exec_lo, exec_lo, s2
	v_and_b32_e32 v6, 0x7f800000, v78
	s_delay_alu instid0(VALU_DEP_1) | instskip(SKIP_1) | instid1(SALU_CYCLE_1)
	v_cmp_ne_u32_e32 vcc_lo, 0x7f800000, v6
                                        ; implicit-def: $vgpr6
	s_and_saveexec_b32 s2, vcc_lo
	s_xor_b32 s2, exec_lo, s2
; %bb.101:
	v_bfe_u32 v6, v78, 16, 1
	s_delay_alu instid0(VALU_DEP_1)
	v_add3_u32 v6, v78, v6, 0x7fff
; %bb.102:
	s_and_not1_saveexec_b32 s2, s2
; %bb.103:
	v_and_b32_e32 v6, 0xffff, v78
	v_or_b32_e32 v7, 0x10000, v78
	s_delay_alu instid0(VALU_DEP_2) | instskip(NEXT) | instid1(VALU_DEP_2)
	v_cmp_eq_u32_e32 vcc_lo, 0, v6
	v_cndmask_b32_e32 v6, v7, v78, vcc_lo
; %bb.104:
	s_or_b32 exec_lo, exec_lo, s2
	v_and_b32_e32 v7, 0x7f800000, v79
	s_delay_alu instid0(VALU_DEP_1) | instskip(SKIP_1) | instid1(SALU_CYCLE_1)
	v_cmp_ne_u32_e32 vcc_lo, 0x7f800000, v7
                                        ; implicit-def: $vgpr7
	s_and_saveexec_b32 s2, vcc_lo
	s_xor_b32 s2, exec_lo, s2
; %bb.105:
	v_bfe_u32 v7, v79, 16, 1
	s_delay_alu instid0(VALU_DEP_1)
	v_add3_u32 v7, v79, v7, 0x7fff
; %bb.106:
	s_and_not1_saveexec_b32 s2, s2
; %bb.107:
	v_and_b32_e32 v7, 0xffff, v79
	v_or_b32_e32 v8, 0x10000, v79
	s_delay_alu instid0(VALU_DEP_2) | instskip(NEXT) | instid1(VALU_DEP_2)
	v_cmp_eq_u32_e32 vcc_lo, 0, v7
	v_cndmask_b32_e32 v7, v8, v79, vcc_lo
; %bb.108:
	s_or_b32 exec_lo, exec_lo, s2
	v_and_b32_e32 v8, 0x7f800000, v80
	s_delay_alu instid0(VALU_DEP_1) | instskip(SKIP_1) | instid1(SALU_CYCLE_1)
	v_cmp_ne_u32_e32 vcc_lo, 0x7f800000, v8
                                        ; implicit-def: $vgpr8
	s_and_saveexec_b32 s2, vcc_lo
	s_xor_b32 s2, exec_lo, s2
; %bb.109:
	v_bfe_u32 v8, v80, 16, 1
	s_delay_alu instid0(VALU_DEP_1)
	v_add3_u32 v8, v80, v8, 0x7fff
                                        ; implicit-def: $vgpr73_vgpr74_vgpr75_vgpr76_vgpr77_vgpr78_vgpr79_vgpr80
; %bb.110:
	s_and_not1_saveexec_b32 s2, s2
; %bb.111:
	v_and_b32_e32 v8, 0xffff, v80
	v_or_b32_e32 v9, 0x10000, v80
	s_delay_alu instid0(VALU_DEP_2) | instskip(NEXT) | instid1(VALU_DEP_2)
	v_cmp_eq_u32_e32 vcc_lo, 0, v8
	v_cndmask_b32_e32 v8, v9, v80, vcc_lo
; %bb.112:
	s_or_b32 exec_lo, exec_lo, s2
	s_delay_alu instid0(VALU_DEP_1)
	v_perm_b32 v7, v8, v7, 0x7060302
	v_perm_b32 v6, v6, v5, 0x7060302
	;; [unrolled: 1-line block ×4, first 2 shown]
	v_lshl_or_b32 v9, v83, 4, v90
	s_barrier
	buffer_gl0_inv
	v_cmp_eq_u32_e32 vcc_lo, 1, v87
	ds_store_b128 v9, v[4:7]
	s_waitcnt lgkmcnt(0)
	s_barrier
	buffer_gl0_inv
	ds_load_b128 v[1:4], v90
	ds_load_b128 v[5:8], v90 offset:16
	v_cmp_eq_u32_e64 s3, 2, v87
	v_cmp_eq_u32_e64 s2, 1, v88
	;; [unrolled: 1-line block ×5, first 2 shown]
	s_waitcnt lgkmcnt(1)
	v_lshrrev_b32_e32 v10, 16, v1
	s_waitcnt lgkmcnt(0)
	v_lshrrev_b32_e32 v14, 16, v5
	v_lshrrev_b32_e32 v15, 16, v6
	;; [unrolled: 1-line block ×4, first 2 shown]
	v_cndmask_b32_e64 v20, v1, v10, s2
	v_cndmask_b32_e32 v19, v5, v14, vcc_lo
	v_cndmask_b32_e64 v21, v5, v14, s2
	v_lshrrev_b32_e32 v16, 16, v7
	v_cmp_eq_u32_e64 s2, 1, v86
	v_lshrrev_b32_e32 v13, 16, v4
	v_cndmask_b32_e64 v19, v19, v6, s3
	v_lshrrev_b32_e32 v17, 16, v8
	s_delay_alu instid0(VALU_DEP_4) | instskip(SKIP_1) | instid1(VALU_DEP_4)
	v_cndmask_b32_e64 v22, v1, v10, s2
	v_cndmask_b32_e64 v23, v5, v14, s2
	;; [unrolled: 1-line block ×3, first 2 shown]
	v_cndmask_b32_e32 v18, v1, v10, vcc_lo
	v_cmp_eq_u32_e32 vcc_lo, 2, v88
	v_cmp_eq_u32_e64 s2, 2, v89
	v_cndmask_b32_e64 v22, v22, v2, s6
	v_cndmask_b32_e32 v20, v20, v2, vcc_lo
	v_cndmask_b32_e32 v21, v21, v6, vcc_lo
	v_cmp_eq_u32_e32 vcc_lo, 4, v87
	v_cndmask_b32_e32 v19, v19, v7, vcc_lo
	v_cndmask_b32_e64 v18, v18, v2, s3
	v_cmp_eq_u32_e64 s3, 3, v88
	s_delay_alu instid0(VALU_DEP_2) | instskip(NEXT) | instid1(VALU_DEP_2)
	v_cndmask_b32_e64 v18, v18, v11, s4
	v_cndmask_b32_e64 v21, v21, v15, s3
	v_cmp_eq_u32_e64 s4, 5, v87
	s_delay_alu instid0(VALU_DEP_3) | instskip(SKIP_1) | instid1(VALU_DEP_3)
	v_cndmask_b32_e32 v18, v18, v3, vcc_lo
	v_cmp_eq_u32_e32 vcc_lo, 4, v88
	v_cndmask_b32_e64 v19, v19, v16, s4
	s_delay_alu instid0(VALU_DEP_3) | instskip(SKIP_4) | instid1(VALU_DEP_3)
	v_cndmask_b32_e64 v18, v18, v12, s4
	v_cndmask_b32_e32 v21, v21, v7, vcc_lo
	v_cndmask_b32_e64 v20, v20, v11, s3
	v_cmp_eq_u32_e64 s3, 5, v88
	v_cmp_eq_u32_e64 s4, 6, v87
	v_cndmask_b32_e32 v20, v20, v3, vcc_lo
	s_delay_alu instid0(VALU_DEP_3) | instskip(SKIP_1) | instid1(VALU_DEP_4)
	v_cndmask_b32_e64 v21, v21, v16, s3
	v_cmp_eq_u32_e32 vcc_lo, 6, v88
	v_cndmask_b32_e64 v18, v18, v4, s4
	v_cndmask_b32_e64 v19, v19, v8, s4
	;; [unrolled: 1-line block ×3, first 2 shown]
	v_cmp_eq_u32_e64 s3, 1, v89
	v_cmp_eq_u32_e64 s4, 7, v87
	s_delay_alu instid0(VALU_DEP_3) | instskip(NEXT) | instid1(VALU_DEP_3)
	v_cndmask_b32_e32 v20, v20, v4, vcc_lo
	v_cndmask_b32_e64 v1, v1, v10, s3
	v_cndmask_b32_e64 v5, v5, v14, s3
	v_cmp_eq_u32_e64 s3, 3, v86
	v_cndmask_b32_e64 v14, v23, v6, s6
	v_cmp_eq_u32_e64 s6, 3, v89
	v_cndmask_b32_e64 v1, v1, v2, s2
	v_cndmask_b32_e64 v2, v5, v6, s2
	;; [unrolled: 1-line block ×3, first 2 shown]
	v_cmp_eq_u32_e64 s2, 4, v86
	v_cndmask_b32_e64 v6, v14, v15, s3
	v_cndmask_b32_e64 v1, v1, v11, s6
	v_cmp_eq_u32_e64 s3, 4, v89
	v_cndmask_b32_e64 v2, v2, v15, s6
	v_cndmask_b32_e64 v5, v10, v3, s2
	;; [unrolled: 3-line block ×3, first 2 shown]
	v_cndmask_b32_e64 v2, v2, v7, s3
	v_cmp_eq_u32_e64 s2, 5, v89
	v_cndmask_b32_e64 v5, v5, v12, s6
	v_cmp_eq_u32_e64 s3, 6, v86
	;; [unrolled: 2-line block ×3, first 2 shown]
	v_cndmask_b32_e64 v1, v1, v12, s2
	v_cndmask_b32_e64 v2, v2, v16, s2
	v_cndmask_b32_e64 v5, v5, v4, s3
	v_cndmask_b32_e64 v3, v3, v8, s3
	v_cmp_eq_u32_e64 s2, 7, v89
	v_cndmask_b32_e64 v1, v1, v4, s6
	v_cndmask_b32_e64 v2, v2, v8, s6
	v_cmp_eq_u32_e64 s3, 7, v86
	v_cndmask_b32_e32 v4, v21, v8, vcc_lo
	v_cndmask_b32_e64 v18, v18, v13, s4
	v_cndmask_b32_e64 v20, v20, v13, s5
	;; [unrolled: 1-line block ×8, first 2 shown]
	s_mov_b32 s2, exec_lo
	v_perm_b32 v4, v2, v1, 0x5040100
	v_perm_b32 v3, v3, v5, 0x5040100
	;; [unrolled: 1-line block ×4, first 2 shown]
	ds_store_b128 v9, v[1:4]
	s_waitcnt lgkmcnt(0)
	s_barrier
	buffer_gl0_inv
	v_cmpx_gt_u32_e32 32, v0
	s_cbranch_execz .LBB721_2
; %bb.113:
	s_load_b64 s[0:1], s[0:1], 0x68
	v_lshlrev_b32_e32 v0, 10, v0
	s_lshl_b32 s4, s34, 7
	v_or_b32_e32 v3, s29, v83
	s_mul_i32 s2, s4, s30
	v_lshlrev_b32_e32 v1, 4, v84
	s_mul_i32 s2, s2, s7
	v_lshlrev_b32_e32 v2, 6, v83
	v_and_b32_e32 v0, 0x3800, v0
	s_ashr_i32 s3, s2, 31
	v_mul_lo_u32 v4, v3, s4
	s_lshl_b64 s[2:3], s[2:3], 1
	s_delay_alu instid0(VALU_DEP_2) | instskip(NEXT) | instid1(VALU_DEP_2)
	v_or3_b32 v16, v0, v1, v2
	v_ashrrev_i32_e32 v5, 31, v4
	ds_load_b128 v[0:3], v16
	s_waitcnt lgkmcnt(0)
	s_add_u32 s2, s0, s2
	s_addc_u32 s3, s1, s3
	s_lshl_b32 s0, s14, 7
	v_lshlrev_b64 v[5:6], 1, v[4:5]
	s_ashr_i32 s1, s0, 31
	s_delay_alu instid0(SALU_CYCLE_1) | instskip(NEXT) | instid1(SALU_CYCLE_1)
	s_lshl_b64 s[0:1], s[0:1], 1
	s_add_u32 s0, s2, s0
	s_addc_u32 s1, s3, s1
	s_lshl_b32 s2, s34, 8
	v_add_co_u32 v30, vcc_lo, s0, v81
	v_add_nc_u32_e32 v8, s2, v4
	v_add_co_ci_u32_e32 v31, vcc_lo, s1, v82, vcc_lo
	s_delay_alu instid0(VALU_DEP_3) | instskip(NEXT) | instid1(VALU_DEP_3)
	v_add_co_u32 v12, vcc_lo, v30, v5
	v_add_nc_u32_e32 v10, s2, v8
	v_ashrrev_i32_e32 v9, 31, v8
	s_delay_alu instid0(VALU_DEP_4)
	v_add_co_ci_u32_e32 v13, vcc_lo, v31, v6, vcc_lo
	ds_load_b128 v[4:7], v16 offset:128
	v_ashrrev_i32_e32 v11, 31, v10
	v_lshlrev_b64 v[8:9], 1, v[8:9]
	v_add_nc_u32_e32 v14, s2, v10
	global_store_b128 v[12:13], v[0:3], off
	v_lshlrev_b64 v[0:1], 1, v[10:11]
	v_ashrrev_i32_e32 v15, 31, v14
	v_add_co_u32 v22, vcc_lo, v30, v8
	v_add_nc_u32_e32 v20, s2, v14
	v_add_co_ci_u32_e32 v23, vcc_lo, v31, v9, vcc_lo
	v_add_co_u32 v26, vcc_lo, v30, v0
	v_lshlrev_b64 v[24:25], 1, v[14:15]
	v_add_co_ci_u32_e32 v27, vcc_lo, v31, v1, vcc_lo
	ds_load_b128 v[0:3], v16 offset:256
	ds_load_b128 v[8:11], v16 offset:384
	;; [unrolled: 1-line block ×4, first 2 shown]
	v_add_nc_u32_e32 v28, s2, v20
	v_ashrrev_i32_e32 v21, 31, v20
	v_add_co_u32 v24, vcc_lo, v30, v24
	v_add_co_ci_u32_e32 v25, vcc_lo, v31, v25, vcc_lo
	s_delay_alu instid0(VALU_DEP_4) | instskip(NEXT) | instid1(VALU_DEP_4)
	v_ashrrev_i32_e32 v29, 31, v28
	v_lshlrev_b64 v[20:21], 1, v[20:21]
	s_delay_alu instid0(VALU_DEP_2) | instskip(NEXT) | instid1(VALU_DEP_2)
	v_lshlrev_b64 v[28:29], 1, v[28:29]
	v_add_co_u32 v20, vcc_lo, v30, v20
	s_delay_alu instid0(VALU_DEP_3) | instskip(NEXT) | instid1(VALU_DEP_3)
	v_add_co_ci_u32_e32 v21, vcc_lo, v31, v21, vcc_lo
	v_add_co_u32 v28, vcc_lo, v30, v28
	s_delay_alu instid0(VALU_DEP_4)
	v_add_co_ci_u32_e32 v29, vcc_lo, v31, v29, vcc_lo
	s_waitcnt lgkmcnt(4)
	global_store_b128 v[22:23], v[4:7], off
	s_waitcnt lgkmcnt(3)
	global_store_b128 v[26:27], v[0:3], off
	s_waitcnt lgkmcnt(2)
	global_store_b128 v[24:25], v[8:11], off
	s_waitcnt lgkmcnt(1)
	global_store_b128 v[20:21], v[12:15], off
	s_waitcnt lgkmcnt(0)
	global_store_b128 v[28:29], v[16:19], off
	s_nop 0
	s_sendmsg sendmsg(MSG_DEALLOC_VGPRS)
	s_endpgm
	.section	.rodata,"a",@progbits
	.p2align	6, 0x0
	.amdhsa_kernel _Z39paged_attention_ll4mi_QKV_mfma16_kernelI14__hip_bfloat16S0_LN4vllm18Fp8KVCacheDataTypeE0EhLi32ELi128ELi256ELb0ELi12EL8MFMAType0EEvPKT_PKT0_S9_ifPKiSB_SB_iPKfiiiPfSE_PS4_PT2_iSD_SD_
		.amdhsa_group_segment_fixed_size 17472
		.amdhsa_private_segment_fixed_size 0
		.amdhsa_kernarg_size 400
		.amdhsa_user_sgpr_count 13
		.amdhsa_user_sgpr_dispatch_ptr 0
		.amdhsa_user_sgpr_queue_ptr 0
		.amdhsa_user_sgpr_kernarg_segment_ptr 1
		.amdhsa_user_sgpr_dispatch_id 0
		.amdhsa_user_sgpr_private_segment_size 0
		.amdhsa_wavefront_size32 1
		.amdhsa_uses_dynamic_stack 0
		.amdhsa_enable_private_segment 0
		.amdhsa_system_sgpr_workgroup_id_x 1
		.amdhsa_system_sgpr_workgroup_id_y 1
		.amdhsa_system_sgpr_workgroup_id_z 1
		.amdhsa_system_sgpr_workgroup_info 0
		.amdhsa_system_vgpr_workitem_id 0
		.amdhsa_next_free_vgpr 157
		.amdhsa_next_free_sgpr 40
		.amdhsa_reserve_vcc 1
		.amdhsa_float_round_mode_32 0
		.amdhsa_float_round_mode_16_64 0
		.amdhsa_float_denorm_mode_32 3
		.amdhsa_float_denorm_mode_16_64 3
		.amdhsa_dx10_clamp 1
		.amdhsa_ieee_mode 1
		.amdhsa_fp16_overflow 0
		.amdhsa_workgroup_processor_mode 1
		.amdhsa_memory_ordered 1
		.amdhsa_forward_progress 0
		.amdhsa_shared_vgpr_count 0
		.amdhsa_exception_fp_ieee_invalid_op 0
		.amdhsa_exception_fp_denorm_src 0
		.amdhsa_exception_fp_ieee_div_zero 0
		.amdhsa_exception_fp_ieee_overflow 0
		.amdhsa_exception_fp_ieee_underflow 0
		.amdhsa_exception_fp_ieee_inexact 0
		.amdhsa_exception_int_div_zero 0
	.end_amdhsa_kernel
	.section	.text._Z39paged_attention_ll4mi_QKV_mfma16_kernelI14__hip_bfloat16S0_LN4vllm18Fp8KVCacheDataTypeE0EhLi32ELi128ELi256ELb0ELi12EL8MFMAType0EEvPKT_PKT0_S9_ifPKiSB_SB_iPKfiiiPfSE_PS4_PT2_iSD_SD_,"axG",@progbits,_Z39paged_attention_ll4mi_QKV_mfma16_kernelI14__hip_bfloat16S0_LN4vllm18Fp8KVCacheDataTypeE0EhLi32ELi128ELi256ELb0ELi12EL8MFMAType0EEvPKT_PKT0_S9_ifPKiSB_SB_iPKfiiiPfSE_PS4_PT2_iSD_SD_,comdat
.Lfunc_end721:
	.size	_Z39paged_attention_ll4mi_QKV_mfma16_kernelI14__hip_bfloat16S0_LN4vllm18Fp8KVCacheDataTypeE0EhLi32ELi128ELi256ELb0ELi12EL8MFMAType0EEvPKT_PKT0_S9_ifPKiSB_SB_iPKfiiiPfSE_PS4_PT2_iSD_SD_, .Lfunc_end721-_Z39paged_attention_ll4mi_QKV_mfma16_kernelI14__hip_bfloat16S0_LN4vllm18Fp8KVCacheDataTypeE0EhLi32ELi128ELi256ELb0ELi12EL8MFMAType0EEvPKT_PKT0_S9_ifPKiSB_SB_iPKfiiiPfSE_PS4_PT2_iSD_SD_
                                        ; -- End function
	.section	.AMDGPU.csdata,"",@progbits
; Kernel info:
; codeLenInByte = 9864
; NumSgprs: 42
; NumVgprs: 157
; ScratchSize: 0
; MemoryBound: 0
; FloatMode: 240
; IeeeMode: 1
; LDSByteSize: 17472 bytes/workgroup (compile time only)
; SGPRBlocks: 5
; VGPRBlocks: 19
; NumSGPRsForWavesPerEU: 42
; NumVGPRsForWavesPerEU: 157
; Occupancy: 9
; WaveLimiterHint : 1
; COMPUTE_PGM_RSRC2:SCRATCH_EN: 0
; COMPUTE_PGM_RSRC2:USER_SGPR: 13
; COMPUTE_PGM_RSRC2:TRAP_HANDLER: 0
; COMPUTE_PGM_RSRC2:TGID_X_EN: 1
; COMPUTE_PGM_RSRC2:TGID_Y_EN: 1
; COMPUTE_PGM_RSRC2:TGID_Z_EN: 1
; COMPUTE_PGM_RSRC2:TIDIG_COMP_CNT: 0
	.section	.text._Z39paged_attention_ll4mi_QKV_mfma16_kernelI14__hip_bfloat16S0_LN4vllm18Fp8KVCacheDataTypeE0EhLi32ELi128ELi256ELb0ELi13EL8MFMAType0EEvPKT_PKT0_S9_ifPKiSB_SB_iPKfiiiPfSE_PS4_PT2_iSD_SD_,"axG",@progbits,_Z39paged_attention_ll4mi_QKV_mfma16_kernelI14__hip_bfloat16S0_LN4vllm18Fp8KVCacheDataTypeE0EhLi32ELi128ELi256ELb0ELi13EL8MFMAType0EEvPKT_PKT0_S9_ifPKiSB_SB_iPKfiiiPfSE_PS4_PT2_iSD_SD_,comdat
	.protected	_Z39paged_attention_ll4mi_QKV_mfma16_kernelI14__hip_bfloat16S0_LN4vllm18Fp8KVCacheDataTypeE0EhLi32ELi128ELi256ELb0ELi13EL8MFMAType0EEvPKT_PKT0_S9_ifPKiSB_SB_iPKfiiiPfSE_PS4_PT2_iSD_SD_ ; -- Begin function _Z39paged_attention_ll4mi_QKV_mfma16_kernelI14__hip_bfloat16S0_LN4vllm18Fp8KVCacheDataTypeE0EhLi32ELi128ELi256ELb0ELi13EL8MFMAType0EEvPKT_PKT0_S9_ifPKiSB_SB_iPKfiiiPfSE_PS4_PT2_iSD_SD_
	.globl	_Z39paged_attention_ll4mi_QKV_mfma16_kernelI14__hip_bfloat16S0_LN4vllm18Fp8KVCacheDataTypeE0EhLi32ELi128ELi256ELb0ELi13EL8MFMAType0EEvPKT_PKT0_S9_ifPKiSB_SB_iPKfiiiPfSE_PS4_PT2_iSD_SD_
	.p2align	8
	.type	_Z39paged_attention_ll4mi_QKV_mfma16_kernelI14__hip_bfloat16S0_LN4vllm18Fp8KVCacheDataTypeE0EhLi32ELi128ELi256ELb0ELi13EL8MFMAType0EEvPKT_PKT0_S9_ifPKiSB_SB_iPKfiiiPfSE_PS4_PT2_iSD_SD_,@function
_Z39paged_attention_ll4mi_QKV_mfma16_kernelI14__hip_bfloat16S0_LN4vllm18Fp8KVCacheDataTypeE0EhLi32ELi128ELi256ELb0ELi13EL8MFMAType0EEvPKT_PKT0_S9_ifPKiSB_SB_iPKfiiiPfSE_PS4_PT2_iSD_SD_: ; @_Z39paged_attention_ll4mi_QKV_mfma16_kernelI14__hip_bfloat16S0_LN4vllm18Fp8KVCacheDataTypeE0EhLi32ELi128ELi256ELb0ELi13EL8MFMAType0EEvPKT_PKT0_S9_ifPKiSB_SB_iPKfiiiPfSE_PS4_PT2_iSD_SD_
; %bb.0:
	s_load_b64 s[2:3], s[0:1], 0x30
	s_mov_b32 s30, s13
	s_waitcnt lgkmcnt(0)
	s_cmp_lg_u64 s[2:3], 0
	s_cselect_b32 s6, -1, 0
	s_ashr_i32 s31, s13, 31
	s_cmp_eq_u64 s[2:3], 0
	s_cbranch_scc1 .LBB722_3
; %bb.1:
	s_lshl_b64 s[4:5], s[30:31], 2
	s_delay_alu instid0(SALU_CYCLE_1) | instskip(SKIP_4) | instid1(SALU_CYCLE_1)
	s_add_u32 s4, s2, s4
	s_addc_u32 s5, s3, s5
	s_load_b64 s[4:5], s[4:5], 0x0
	s_waitcnt lgkmcnt(0)
	s_sub_i32 s4, s5, s4
	s_cmp_eq_u32 s4, 1
	s_cselect_b32 s4, -1, 0
	s_delay_alu instid0(SALU_CYCLE_1)
	s_and_not1_b32 vcc_lo, exec_lo, s4
	s_cbranch_vccz .LBB722_4
.LBB722_2:
	s_nop 0
	s_sendmsg sendmsg(MSG_DEALLOC_VGPRS)
	s_endpgm
.LBB722_3:
.LBB722_4:
	s_load_b64 s[8:9], s[0:1], 0x28
	s_lshl_b64 s[4:5], s[30:31], 2
	s_waitcnt lgkmcnt(0)
	s_add_u32 s8, s8, s4
	s_addc_u32 s9, s9, s5
	s_lshl_b32 s12, s14, 8
	s_load_b32 s17, s[8:9], 0x0
	s_waitcnt lgkmcnt(0)
	s_cmp_ge_i32 s12, s17
	s_cbranch_scc1 .LBB722_2
; %bb.5:
	s_and_not1_b32 vcc_lo, exec_lo, s6
	s_cbranch_vccnz .LBB722_7
; %bb.6:
	s_add_u32 s2, s2, s4
	s_addc_u32 s3, s3, s5
	s_load_b32 s13, s[2:3], 0x0
	s_branch .LBB722_8
.LBB722_7:
	s_mov_b32 s13, s30
.LBB722_8:
	s_clause 0x2
	s_load_b128 s[8:11], s[0:1], 0x8
	s_load_b64 s[2:3], s[0:1], 0x20
	s_load_b128 s[4:7], s[0:1], 0x48
	v_lshrrev_b32_e32 v74, 5, v0
	v_bfe_u32 v83, v0, 4, 1
	v_and_b32_e32 v73, 15, v0
	s_waitcnt lgkmcnt(0)
	s_mov_b32 s7, exec_lo
	s_delay_alu instid0(VALU_DEP_2) | instskip(NEXT) | instid1(VALU_DEP_2)
	v_lshl_or_b32 v3, v74, 1, v83
	v_lshlrev_b32_e32 v1, 3, v73
	s_delay_alu instid0(VALU_DEP_2)
	v_cmpx_lt_u32_e32 12, v3
	s_xor_b32 s7, exec_lo, s7
; %bb.9:
	v_mov_b32_e32 v2, 0
                                        ; implicit-def: $vgpr3
; %bb.10:
	s_or_saveexec_b32 s7, s7
	v_and_b32_e32 v75, 31, v0
	v_and_b32_e32 v84, 1, v0
	s_mul_i32 s31, s15, 13
	s_xor_b32 exec_lo, exec_lo, s7
	s_cbranch_execz .LBB722_12
; %bb.11:
	s_load_b64 s[18:19], s[0:1], 0x0
	v_add_lshl_u32 v4, v3, s31, 7
	s_mul_hi_i32 s21, s13, s4
	s_mul_i32 s20, s13, s4
	v_lshlrev_b32_e32 v2, 1, v1
	s_lshl_b64 s[20:21], s[20:21], 1
	v_ashrrev_i32_e32 v5, 31, v4
	v_lshlrev_b32_e32 v3, 6, v3
	v_lshlrev_b32_e32 v8, 10, v84
	s_delay_alu instid0(VALU_DEP_3) | instskip(SKIP_3) | instid1(VALU_DEP_1)
	v_lshlrev_b64 v[4:5], 1, v[4:5]
	s_waitcnt lgkmcnt(0)
	s_add_u32 s4, s18, s20
	s_addc_u32 s13, s19, s21
	v_add_co_u32 v4, vcc_lo, s4, v4
	s_delay_alu instid0(VALU_DEP_2) | instskip(NEXT) | instid1(VALU_DEP_2)
	v_add_co_ci_u32_e32 v5, vcc_lo, s13, v5, vcc_lo
	v_add_co_u32 v4, vcc_lo, v4, v2
	s_delay_alu instid0(VALU_DEP_2) | instskip(SKIP_3) | instid1(VALU_DEP_1)
	v_add_co_ci_u32_e32 v5, vcc_lo, 0, v5, vcc_lo
	v_lshlrev_b32_e32 v2, 10, v73
	global_load_b128 v[4:7], v[4:5], off
	v_and_b32_e32 v2, 0x3800, v2
	v_or3_b32 v3, v2, v8, v3
	v_mov_b32_e32 v2, 0
	s_waitcnt vmcnt(0)
	ds_store_b128 v3, v[4:7]
.LBB722_12:
	s_or_b32 exec_lo, exec_lo, s7
	v_add_nc_u32_e32 v80, -13, v73
	v_and_b32_e32 v3, 0xef, v0
	s_add_i32 s4, s17, 31
	s_clause 0x1
	s_load_b32 s7, s[0:1], 0x38
	s_load_b32 s18, s[0:1], 0x1c
	s_ashr_i32 s13, s4, 31
	v_add_nc_u32_e32 v3, s12, v3
	s_lshr_b32 s13, s13, 27
	s_waitcnt lgkmcnt(0)
	s_add_i32 s4, s4, s13
	s_barrier
	v_ashrrev_i32_e32 v4, 31, v3
	v_cmp_gt_i32_e32 vcc_lo, s17, v3
	s_ashr_i32 s4, s4, 5
	buffer_gl0_inv
	s_add_i32 s4, s4, -1
	v_lshrrev_b32_e32 v5, 27, v4
	v_or_b32_e32 v4, 16, v3
	v_lshlrev_b64 v[81:82], 1, v[1:2]
	s_delay_alu instid0(VALU_DEP_3) | instskip(NEXT) | instid1(VALU_DEP_3)
	v_add_nc_u32_e32 v6, v3, v5
	v_add_nc_u32_e32 v5, v4, v5
	s_mul_i32 s20, s30, s7
	s_delay_alu instid0(SALU_CYCLE_1) | instskip(NEXT) | instid1(VALU_DEP_2)
	s_ashr_i32 s21, s20, 31
	v_ashrrev_i32_e32 v6, 5, v6
	s_delay_alu instid0(VALU_DEP_2) | instskip(SKIP_1) | instid1(SALU_CYCLE_1)
	v_ashrrev_i32_e32 v5, 5, v5
	s_lshl_b64 s[20:21], s[20:21], 2
	s_add_u32 s7, s2, s20
	s_delay_alu instid0(VALU_DEP_2) | instskip(SKIP_3) | instid1(VALU_DEP_2)
	v_cndmask_b32_e32 v3, s4, v6, vcc_lo
	v_cmp_gt_i32_e32 vcc_lo, s17, v4
	s_addc_u32 s13, s3, s21
	s_mul_i32 s2, s15, s6
	v_ashrrev_i32_e32 v4, 31, v3
	v_cndmask_b32_e32 v5, s4, v5, vcc_lo
	s_ashr_i32 s3, s2, 31
	s_delay_alu instid0(SALU_CYCLE_1) | instskip(NEXT) | instid1(VALU_DEP_2)
	s_lshl_b64 s[2:3], s[2:3], 1
	v_lshlrev_b64 v[3:4], 2, v[3:4]
	s_delay_alu instid0(VALU_DEP_2) | instskip(SKIP_3) | instid1(VALU_DEP_1)
	v_ashrrev_i32_e32 v6, 31, v5
	s_add_u32 s6, s8, s2
	s_addc_u32 s15, s9, s3
	s_lshl_b32 s8, s14, 3
	v_lshlrev_b64 v[5:6], 2, v[5:6]
	v_add_co_u32 v3, vcc_lo, s7, v3
	v_add_co_ci_u32_e32 v4, vcc_lo, s13, v4, vcc_lo
	s_ashr_i32 s9, s8, 31
	s_delay_alu instid0(VALU_DEP_3) | instskip(NEXT) | instid1(VALU_DEP_4)
	v_add_co_u32 v5, vcc_lo, s7, v5
	v_add_co_ci_u32_e32 v6, vcc_lo, s13, v6, vcc_lo
	s_clause 0x1
	global_load_b32 v7, v[3:4], off
	global_load_b32 v8, v[5:6], off
	s_lshl_b64 s[8:9], s[8:9], 2
	s_delay_alu instid0(SALU_CYCLE_1) | instskip(SKIP_2) | instid1(SALU_CYCLE_1)
	s_add_u32 s8, s7, s8
	s_addc_u32 s9, s13, s9
	s_or_b32 s16, s12, 32
	s_ashr_i32 s19, s16, 5
	s_cmp_lt_i32 s16, s17
	s_cselect_b32 s20, s19, s4
	s_delay_alu instid0(SALU_CYCLE_1) | instskip(NEXT) | instid1(SALU_CYCLE_1)
	s_ashr_i32 s21, s20, 31
	s_lshl_b64 s[20:21], s[20:21], 2
	s_delay_alu instid0(SALU_CYCLE_1) | instskip(SKIP_2) | instid1(SALU_CYCLE_1)
	s_add_u32 s20, s7, s20
	s_addc_u32 s21, s13, s21
	s_or_b32 s16, s12, 64
	s_ashr_i32 s19, s16, 5
	s_cmp_lt_i32 s16, s17
	s_cselect_b32 s22, s19, s4
	s_delay_alu instid0(SALU_CYCLE_1) | instskip(NEXT) | instid1(SALU_CYCLE_1)
	s_ashr_i32 s23, s22, 31
	;; [unrolled: 10-line block ×5, first 2 shown]
	s_lshl_b64 s[28:29], s[28:29], 2
	s_delay_alu instid0(SALU_CYCLE_1)
	s_add_u32 s28, s7, s28
	s_addc_u32 s29, s13, s29
	s_clause 0x5
	s_load_b32 s16, s[8:9], 0x0
	s_load_b32 s19, s[20:21], 0x0
	;; [unrolled: 1-line block ×6, first 2 shown]
	s_mov_b32 s20, 0
	s_delay_alu instid0(SALU_CYCLE_1)
	s_mov_b32 s27, s20
	s_mov_b32 s24, s20
	s_mov_b32 s21, s20
	s_mov_b32 s22, s20
	s_mov_b32 s23, s20
	s_mov_b32 s25, s20
	s_mov_b32 s26, s20
	v_dual_mov_b32 v108, s27 :: v_dual_mov_b32 v105, s24
	v_dual_mov_b32 v107, s26 :: v_dual_mov_b32 v106, s25
	v_dual_mov_b32 v104, s23 :: v_dual_mov_b32 v103, s22
	v_dual_mov_b32 v102, s21 :: v_dual_mov_b32 v101, s20
	s_waitcnt lgkmcnt(0)
	s_mul_hi_i32 s29, s34, s5
	s_mul_i32 s28, s34, s5
	s_mul_hi_i32 s21, s16, s5
	s_mul_i32 s20, s16, s5
	;; [unrolled: 2-line block ×5, first 2 shown]
	s_waitcnt vmcnt(1)
	v_mad_i64_i32 v[3:4], null, v7, s5, 0
	s_waitcnt vmcnt(0)
	v_mad_i64_i32 v[5:6], null, v8, s5, 0
	s_delay_alu instid0(VALU_DEP_2) | instskip(NEXT) | instid1(VALU_DEP_2)
	v_lshlrev_b64 v[3:4], 1, v[3:4]
	v_lshlrev_b64 v[1:2], 1, v[5:6]
	s_delay_alu instid0(VALU_DEP_2) | instskip(NEXT) | instid1(VALU_DEP_3)
	v_add_co_u32 v3, vcc_lo, s6, v3
	v_add_co_ci_u32_e32 v4, vcc_lo, s15, v4, vcc_lo
	s_delay_alu instid0(VALU_DEP_3) | instskip(NEXT) | instid1(VALU_DEP_4)
	v_add_co_u32 v1, vcc_lo, s6, v1
	v_add_co_ci_u32_e32 v2, vcc_lo, s15, v2, vcc_lo
	s_delay_alu instid0(VALU_DEP_4) | instskip(NEXT) | instid1(VALU_DEP_4)
	v_add_co_u32 v65, vcc_lo, v3, v81
	v_add_co_ci_u32_e32 v66, vcc_lo, v4, v82, vcc_lo
	s_delay_alu instid0(VALU_DEP_4) | instskip(NEXT) | instid1(VALU_DEP_4)
	v_add_co_u32 v76, vcc_lo, v1, v81
	v_add_co_ci_u32_e32 v77, vcc_lo, v2, v82, vcc_lo
	s_clause 0xf
	global_load_b128 v[1:4], v[65:66], off
	global_load_b128 v[5:8], v[65:66], off offset:512
	global_load_b128 v[9:12], v[76:77], off offset:256
	;; [unrolled: 1-line block ×15, first 2 shown]
	v_add_co_u32 v78, vcc_lo, 0x1000, v65
	v_add_co_ci_u32_e32 v79, vcc_lo, 0, v66, vcc_lo
	v_cmp_gt_u32_e32 vcc_lo, 13, v73
	s_clause 0x1
	global_load_b128 v[65:68], v[78:79], off
	global_load_b128 v[69:72], v[78:79], off offset:512
	s_or_b32 s6, s12, 0xc0
	v_cndmask_b32_e32 v80, v80, v73, vcc_lo
	v_add_co_u32 v76, vcc_lo, 0x1000, v76
	v_add_co_ci_u32_e32 v77, vcc_lo, 0, v77, vcc_lo
	s_delay_alu instid0(VALU_DEP_3)
	v_lshlrev_b32_e32 v80, 6, v80
	ds_load_b128 v[85:88], v80
	ds_load_b128 v[89:92], v80 offset:1024
	s_clause 0x1
	global_load_b128 v[93:96], v[76:77], off offset:256
	global_load_b128 v[97:100], v[76:77], off offset:768
	ds_load_b128 v[109:112], v80 offset:2048
	ds_load_b128 v[113:116], v80 offset:3072
	s_ashr_i32 s8, s6, 5
	s_cmp_lt_i32 s6, s17
	s_cselect_b32 s8, s8, s4
	s_delay_alu instid0(SALU_CYCLE_1) | instskip(NEXT) | instid1(SALU_CYCLE_1)
	s_ashr_i32 s9, s8, 31
	s_lshl_b64 s[8:9], s[8:9], 2
	s_delay_alu instid0(SALU_CYCLE_1) | instskip(SKIP_2) | instid1(SALU_CYCLE_1)
	s_add_u32 s8, s7, s8
	s_addc_u32 s9, s13, s9
	s_or_b32 s6, s12, 0xe0
	s_ashr_i32 s15, s6, 5
	s_cmp_lt_i32 s6, s17
	s_cselect_b32 s24, s15, s4
	s_delay_alu instid0(SALU_CYCLE_1) | instskip(NEXT) | instid1(SALU_CYCLE_1)
	s_ashr_i32 s25, s24, 31
	s_lshl_b64 s[24:25], s[24:25], 2
	s_delay_alu instid0(SALU_CYCLE_1) | instskip(SKIP_2) | instid1(SALU_CYCLE_1)
	s_add_u32 s24, s7, s24
	s_addc_u32 s25, s13, s25
	s_add_i32 s6, s12, 0x100
	s_ashr_i32 s15, s6, 5
	s_cmp_lt_i32 s6, s17
	s_cselect_b32 s34, s15, s4
	s_waitcnt vmcnt(18) lgkmcnt(2)
	v_wmma_f32_16x16x16_bf16 v[117:124], v[1:8], v[85:92], v[101:108]
	s_waitcnt vmcnt(16)
	v_wmma_f32_16x16x16_bf16 v[101:108], v[9:16], v[85:92], v[101:108]
	s_clause 0x3
	global_load_b128 v[1:4], v[78:79], off offset:1024
	global_load_b128 v[5:8], v[78:79], off offset:1536
	;; [unrolled: 1-line block ×4, first 2 shown]
	s_waitcnt vmcnt(18) lgkmcnt(0)
	v_wmma_f32_16x16x16_bf16 v[117:124], v[17:24], v[109:116], v[117:124]
	s_clause 0x1
	global_load_b128 v[17:20], v[78:79], off offset:2048
	global_load_b128 v[21:24], v[78:79], off offset:2560
	s_waitcnt vmcnt(18)
	v_wmma_f32_16x16x16_bf16 v[101:108], v[25:32], v[109:116], v[101:108]
	ds_load_b128 v[25:28], v80 offset:4096
	ds_load_b128 v[29:32], v80 offset:5120
	s_clause 0x5
	global_load_b128 v[109:112], v[76:77], off offset:2304
	global_load_b128 v[113:116], v[76:77], off offset:2816
	;; [unrolled: 1-line block ×6, first 2 shown]
	s_waitcnt vmcnt(22) lgkmcnt(0)
	v_wmma_f32_16x16x16_bf16 v[117:124], v[33:40], v[25:32], v[117:124]
	s_waitcnt vmcnt(20)
	v_wmma_f32_16x16x16_bf16 v[101:108], v[41:48], v[25:32], v[101:108]
	ds_load_b128 v[25:28], v80 offset:6144
	ds_load_b128 v[29:32], v80 offset:7168
	ds_load_b128 v[33:36], v80 offset:8192
	ds_load_b128 v[37:40], v80 offset:9216
	s_waitcnt vmcnt(18) lgkmcnt(2)
	v_wmma_f32_16x16x16_bf16 v[117:124], v[49:56], v[25:32], v[117:124]
	s_waitcnt vmcnt(16)
	v_wmma_f32_16x16x16_bf16 v[101:108], v[57:64], v[25:32], v[101:108]
	ds_load_b128 v[25:28], v80 offset:10240
	ds_load_b128 v[29:32], v80 offset:11264
	;; [unrolled: 1-line block ×6, first 2 shown]
	s_waitcnt vmcnt(14) lgkmcnt(6)
	v_wmma_f32_16x16x16_bf16 v[117:124], v[65:72], v[33:40], v[117:124]
	s_load_b32 s16, s[8:9], 0x0
	s_mul_hi_i32 s9, s35, s5
	s_mul_i32 s8, s35, s5
	s_ashr_i32 s35, s34, 31
	s_waitcnt vmcnt(12)
	v_wmma_f32_16x16x16_bf16 v[101:108], v[93:100], v[33:40], v[101:108]
	s_lshl_b64 s[34:35], s[34:35], 2
	s_delay_alu instid0(SALU_CYCLE_1)
	s_add_u32 s6, s7, s34
	s_addc_u32 s7, s13, s35
	s_add_u32 s4, s10, s2
	s_addc_u32 s19, s11, s3
	s_lshl_b64 s[2:3], s[20:21], 1
	s_clause 0x1
	s_load_b32 s13, s[24:25], 0x0
	s_load_b32 s15, s[6:7], 0x0
	s_lshl_b64 s[6:7], s[22:23], 1
	s_lshl_b64 s[10:11], s[26:27], 1
	;; [unrolled: 1-line block ×5, first 2 shown]
	s_waitcnt lgkmcnt(0)
	s_mul_hi_i32 s25, s16, s5
	s_mul_i32 s24, s16, s5
	s_waitcnt vmcnt(10)
	v_wmma_f32_16x16x16_bf16 v[117:124], v[1:8], v[25:32], v[117:124]
	s_waitcnt vmcnt(8)
	v_wmma_f32_16x16x16_bf16 v[101:108], v[9:16], v[25:32], v[101:108]
	s_waitcnt vmcnt(6)
	s_delay_alu instid0(VALU_DEP_2) | instskip(SKIP_1) | instid1(VALU_DEP_2)
	v_wmma_f32_16x16x16_bf16 v[117:124], v[17:24], v[141:148], v[117:124]
	s_waitcnt vmcnt(4)
	v_wmma_f32_16x16x16_bf16 v[101:108], v[109:116], v[141:148], v[101:108]
	s_waitcnt vmcnt(2)
	s_delay_alu instid0(VALU_DEP_2) | instskip(SKIP_3) | instid1(VALU_DEP_3)
	v_wmma_f32_16x16x16_bf16 v[117:124], v[125:132], v[149:156], v[117:124]
	v_lshlrev_b32_e32 v85, 6, v73
	s_waitcnt vmcnt(0)
	v_wmma_f32_16x16x16_bf16 v[101:108], v[133:140], v[149:156], v[101:108]
	v_mul_f32_e32 v100, s18, v124
	s_delay_alu instid0(VALU_DEP_3) | instskip(SKIP_2) | instid1(VALU_DEP_3)
	v_lshl_or_b32 v41, v74, 10, v85
	v_mul_f32_e32 v99, s18, v118
	v_mul_f32_e32 v97, s18, v117
	v_add_co_u32 v76, s4, s4, v41
	s_delay_alu instid0(VALU_DEP_1) | instskip(NEXT) | instid1(VALU_DEP_2)
	v_add_co_ci_u32_e64 v77, null, s19, 0, s4
	v_add_co_u32 v41, vcc_lo, v76, s2
	s_delay_alu instid0(VALU_DEP_2)
	v_add_co_ci_u32_e32 v42, vcc_lo, s3, v77, vcc_lo
	v_add_co_u32 v33, vcc_lo, v76, s6
	v_add_co_ci_u32_e32 v34, vcc_lo, s7, v77, vcc_lo
	v_add_co_u32 v35, vcc_lo, v76, s10
	;; [unrolled: 2-line block ×5, first 2 shown]
	s_lshl_b64 s[2:3], s[24:25], 1
	v_add_co_ci_u32_e32 v6, vcc_lo, s23, v77, vcc_lo
	s_mul_hi_i32 s7, s13, s5
	s_mul_i32 s6, s13, s5
	v_add_co_u32 v17, vcc_lo, v76, s2
	v_add_co_ci_u32_e32 v18, vcc_lo, s3, v77, vcc_lo
	s_lshl_b64 s[2:3], s[6:7], 1
	s_mul_hi_i32 s7, s15, s5
	s_mul_i32 s6, s15, s5
	v_add_co_u32 v19, vcc_lo, v76, s2
	v_add_co_ci_u32_e32 v20, vcc_lo, s3, v77, vcc_lo
	s_lshl_b64 s[2:3], s[6:7], 1
	s_clause 0x1
	global_load_b128 v[65:68], v[41:42], off
	global_load_b128 v[69:72], v[41:42], off offset:16
	v_add_co_u32 v21, vcc_lo, v76, s2
	v_add_co_ci_u32_e32 v22, vcc_lo, s3, v77, vcc_lo
	s_clause 0xf
	global_load_b128 v[57:60], v[33:34], off
	global_load_b128 v[61:64], v[33:34], off offset:16
	global_load_b128 v[49:52], v[35:36], off
	global_load_b128 v[53:56], v[35:36], off offset:16
	;; [unrolled: 2-line block ×8, first 2 shown]
	v_mbcnt_lo_u32_b32 v77, -1, 0
	s_waitcnt vmcnt(0)
	s_barrier
	buffer_gl0_inv
	v_xor_b32_e32 v78, 16, v77
	s_delay_alu instid0(VALU_DEP_1) | instskip(SKIP_1) | instid1(VALU_DEP_1)
	v_cmp_gt_i32_e32 vcc_lo, 32, v78
	v_dual_cndmask_b32 v77, v77, v78 :: v_dual_and_b32 v76, 0xe0, v0
	v_add_nc_u32_e32 v76, s12, v76
	s_delay_alu instid0(VALU_DEP_1) | instskip(NEXT) | instid1(VALU_DEP_1)
	v_or_b32_e32 v76, v76, v83
	v_or_b32_e32 v78, 2, v76
	;; [unrolled: 1-line block ×4, first 2 shown]
	v_cmp_gt_i32_e32 vcc_lo, s17, v76
	v_or_b32_e32 v86, 8, v76
	v_cmp_gt_i32_e64 s2, s17, v78
	v_or_b32_e32 v87, 10, v76
	v_or_b32_e32 v88, 12, v76
	;; [unrolled: 1-line block ×11, first 2 shown]
	v_cndmask_b32_e32 v76, 0xff7fffff, v97, vcc_lo
	v_cmp_gt_i32_e64 s3, s17, v80
	v_mul_f32_e32 v80, s18, v119
	v_cndmask_b32_e64 v78, 0xff7fffff, v99, s2
	v_mul_f32_e32 v99, s18, v120
	v_cmp_gt_i32_e64 s4, s17, v79
	v_mul_f32_e32 v97, s18, v123
	v_mul_f32_e32 v79, s18, v122
	v_max3_f32 v76, v76, 0xff7fffff, v78
	v_mul_f32_e32 v78, s18, v121
	v_cndmask_b32_e64 v80, 0xff7fffff, v80, s4
	v_cmp_gt_i32_e64 s5, s17, v86
	v_cmp_gt_i32_e64 s6, s17, v87
	v_mul_f32_e32 v86, s18, v107
	v_cndmask_b32_e64 v99, 0xff7fffff, v99, s3
	v_cmp_gt_i32_e64 s7, s17, v89
	v_cndmask_b32_e64 v78, 0xff7fffff, v78, s5
	v_cmp_gt_i32_e64 s8, s17, v88
	v_mul_f32_e32 v89, s18, v101
	v_max3_f32 v76, v76, v80, v99
	v_mul_f32_e32 v80, s18, v108
	v_cndmask_b32_e64 v79, 0xff7fffff, v79, s6
	v_dual_mul_f32 v99, s18, v105 :: v_dual_mul_f32 v88, s18, v102
	v_cndmask_b32_e64 v97, 0xff7fffff, v97, s8
	v_cndmask_b32_e64 v100, 0xff7fffff, v100, s7
	s_delay_alu instid0(VALU_DEP_4) | instskip(SKIP_4) | instid1(VALU_DEP_4)
	v_max3_f32 v76, v76, v78, v79
	v_cmp_gt_i32_e64 s9, s17, v90
	v_cmp_gt_i32_e64 s10, s17, v91
	v_dual_mul_f32 v87, s18, v106 :: v_dual_mul_f32 v78, s18, v104
	v_mul_f32_e32 v79, s18, v103
	v_cndmask_b32_e64 v89, 0xff7fffff, v89, s9
	s_delay_alu instid0(VALU_DEP_4)
	v_cndmask_b32_e64 v88, 0xff7fffff, v88, s10
	v_max3_f32 v76, v76, v97, v100
	v_cmp_gt_i32_e64 s11, s17, v92
	v_cmp_gt_i32_e64 s12, s17, v93
	v_cmp_gt_i32_e64 s13, s17, v94
	v_cmp_gt_i32_e64 s15, s17, v95
	v_max3_f32 v76, v76, v89, v88
	v_cndmask_b32_e64 v79, 0xff7fffff, v79, s11
	v_cndmask_b32_e64 v78, 0xff7fffff, v78, s12
	;; [unrolled: 1-line block ×4, first 2 shown]
	v_cmp_gt_i32_e64 s16, s17, v96
	v_cmp_gt_i32_e64 s17, s17, v98
	v_max3_f32 v76, v76, v79, v78
	v_lshlrev_b32_e32 v99, 2, v77
	s_delay_alu instid0(VALU_DEP_4) | instskip(NEXT) | instid1(VALU_DEP_4)
	v_cndmask_b32_e64 v78, 0xff7fffff, v86, s16
	v_cndmask_b32_e64 v79, 0xff7fffff, v80, s17
	s_delay_alu instid0(VALU_DEP_4) | instskip(NEXT) | instid1(VALU_DEP_1)
	v_max3_f32 v76, v76, v88, v87
	v_max3_f32 v76, v76, v78, v79
	ds_bpermute_b32 v77, v99, v76
	s_waitcnt lgkmcnt(0)
	v_max_f32_e32 v77, v77, v77
	s_delay_alu instid0(VALU_DEP_1) | instskip(NEXT) | instid1(VALU_DEP_1)
	v_max_f32_e32 v76, v76, v77
	v_fma_f32 v78, s18, v118, -v76
	v_fma_f32 v77, s18, v117, -v76
	;; [unrolled: 1-line block ×5, first 2 shown]
	v_mul_f32_e32 v78, 0x3fb8aa3b, v78
	v_fma_f32 v87, s18, v123, -v76
	v_fma_f32 v88, s18, v105, -v76
	v_mul_f32_e32 v80, 0x3fb8aa3b, v80
	v_mul_f32_e32 v86, 0x3fb8aa3b, v86
	v_exp_f32_e32 v78, v78
	v_fma_f32 v90, s18, v107, -v76
	v_fma_f32 v100, s18, v108, -v76
	v_exp_f32_e32 v80, v80
	v_exp_f32_e32 v86, v86
	v_mul_f32_e32 v88, 0x3fb8aa3b, v88
	s_delay_alu instid0(VALU_DEP_2) | instskip(NEXT) | instid1(TRANS32_DEP_3)
	v_mul_f32_e32 v100, 0x3fb8aa3b, v100
	v_cndmask_b32_e64 v91, 0, v78, s2
	v_mul_f32_e32 v77, 0x3fb8aa3b, v77
	s_delay_alu instid0(VALU_DEP_4) | instskip(NEXT) | instid1(TRANS32_DEP_3)
	v_exp_f32_e32 v88, v88
	v_cndmask_b32_e64 v95, 0, v80, s3
	v_fma_f32 v80, s18, v101, -v76
	s_delay_alu instid0(TRANS32_DEP_2)
	v_cndmask_b32_e64 v96, 0, v86, s5
	v_exp_f32_e32 v77, v77
	v_mul_f32_e32 v79, 0x3fb8aa3b, v79
	v_fma_f32 v86, s18, v102, -v76
	v_mul_f32_e32 v80, 0x3fb8aa3b, v80
	v_cmp_gt_u32_e64 s2, 16, v75
	v_exp_f32_e32 v100, v100
	s_delay_alu instid0(VALU_DEP_2) | instskip(NEXT) | instid1(TRANS32_DEP_3)
	v_exp_f32_e32 v80, v80
	v_cndmask_b32_e32 v92, 0, v77, vcc_lo
	v_exp_f32_e32 v79, v79
	v_fma_f32 v77, s18, v122, -v76
	s_delay_alu instid0(VALU_DEP_2) | instskip(NEXT) | instid1(VALU_DEP_1)
	v_add_f32_e32 v78, 0, v92
	v_add_f32_e32 v78, v78, v91
	s_waitcnt_depctr 0xfff
	v_cndmask_b32_e64 v93, 0, v79, s4
	v_mul_f32_e32 v87, 0x3fb8aa3b, v87
	v_fma_f32 v79, s18, v124, -v76
	s_delay_alu instid0(VALU_DEP_3) | instskip(SKIP_1) | instid1(VALU_DEP_3)
	v_add_f32_e32 v78, v78, v93
	v_mul_f32_e32 v77, 0x3fb8aa3b, v77
	v_mul_f32_e32 v79, 0x3fb8aa3b, v79
	v_exp_f32_e32 v87, v87
	s_delay_alu instid0(VALU_DEP_3) | instskip(NEXT) | instid1(VALU_DEP_3)
	v_add_f32_e32 v78, v78, v95
	v_exp_f32_e32 v77, v77
	s_delay_alu instid0(VALU_DEP_2) | instskip(NEXT) | instid1(TRANS32_DEP_3)
	v_exp_f32_e32 v79, v79
	v_cndmask_b32_e64 v94, 0, v87, s8
	v_fma_f32 v87, s18, v104, -v76
	s_waitcnt_depctr 0xfff
	v_cndmask_b32_e64 v97, 0, v77, s6
	v_add_f32_e32 v77, v78, v96
	v_fma_f32 v78, s18, v103, -v76
	v_mul_f32_e32 v86, 0x3fb8aa3b, v86
	v_cndmask_b32_e64 v98, 0, v79, s7
	v_mul_f32_e32 v87, 0x3fb8aa3b, v87
	s_delay_alu instid0(VALU_DEP_4) | instskip(NEXT) | instid1(VALU_DEP_4)
	v_dual_add_f32 v77, v77, v97 :: v_dual_mul_f32 v78, 0x3fb8aa3b, v78
	v_exp_f32_e32 v86, v86
	s_delay_alu instid0(VALU_DEP_2) | instskip(NEXT) | instid1(VALU_DEP_1)
	v_exp_f32_e32 v87, v87
	v_add_f32_e32 v79, v77, v94
	s_delay_alu instid0(VALU_DEP_2) | instskip(SKIP_2) | instid1(VALU_DEP_3)
	v_exp_f32_e32 v89, v78
	v_cndmask_b32_e64 v77, 0, v80, s9
	v_fma_f32 v80, s18, v106, -v76
	v_add_f32_e32 v79, v79, v98
	s_delay_alu instid0(TRANS32_DEP_3) | instskip(NEXT) | instid1(VALU_DEP_3)
	v_cndmask_b32_e64 v78, 0, v86, s10
	v_mul_f32_e32 v80, 0x3fb8aa3b, v80
	s_delay_alu instid0(VALU_DEP_3) | instskip(NEXT) | instid1(TRANS32_DEP_1)
	v_add_f32_e32 v86, v79, v77
	v_cndmask_b32_e64 v79, 0, v89, s11
	v_mul_f32_e32 v89, 0x3fb8aa3b, v90
	s_delay_alu instid0(VALU_DEP_4) | instskip(SKIP_2) | instid1(VALU_DEP_3)
	v_exp_f32_e32 v90, v80
	v_cndmask_b32_e64 v80, 0, v87, s12
	v_add_f32_e32 v86, v86, v78
	v_exp_f32_e32 v89, v89
	s_delay_alu instid0(VALU_DEP_1) | instskip(SKIP_1) | instid1(VALU_DEP_2)
	v_add_f32_e32 v87, v86, v79
	v_cndmask_b32_e64 v86, 0, v88, s13
	v_add_f32_e32 v88, v87, v80
	s_delay_alu instid0(TRANS32_DEP_2) | instskip(NEXT) | instid1(VALU_DEP_2)
	v_cndmask_b32_e64 v87, 0, v90, s15
	v_add_f32_e32 v90, v88, v86
	s_waitcnt_depctr 0xfff
	v_cndmask_b32_e64 v88, 0, v89, s16
	v_add_f32_e32 v89, v90, v87
	s_delay_alu instid0(VALU_DEP_1) | instskip(SKIP_1) | instid1(VALU_DEP_1)
	v_add_f32_e32 v90, v89, v88
	v_cndmask_b32_e64 v89, 0, v100, s17
	v_add_f32_e32 v90, v90, v89
	ds_bpermute_b32 v99, v99, v90
	s_and_saveexec_b32 s3, s2
	s_cbranch_execz .LBB722_14
; %bb.13:
	v_mul_u32_u24_e32 v75, 0x44, v74
	s_waitcnt lgkmcnt(0)
	v_add_f32_e32 v90, v90, v99
	s_delay_alu instid0(VALU_DEP_2) | instskip(NEXT) | instid1(VALU_DEP_1)
	v_lshl_add_u32 v75, v73, 2, v75
	v_add_nc_u32_e32 v75, 0x4000, v75
	ds_store_2addr_b32 v75, v76, v90 offset1:136
.LBB722_14:
	s_or_b32 exec_lo, exec_lo, s3
	v_lshlrev_b32_e32 v75, 2, v73
	s_waitcnt lgkmcnt(0)
	s_barrier
	buffer_gl0_inv
	v_cmp_eq_u32_e64 s3, 1, v74
	v_add_nc_u32_e32 v90, 0x4000, v75
	ds_load_2addr_b32 v[99:100], v90 offset1:17
	ds_load_2addr_b32 v[101:102], v90 offset0:34 offset1:51
	ds_load_2addr_b32 v[103:104], v90 offset0:68 offset1:85
	;; [unrolled: 1-line block ×4, first 2 shown]
	s_waitcnt lgkmcnt(4)
	v_max3_f32 v75, v99, 0xff7fffff, v100
	s_waitcnt lgkmcnt(3)
	s_delay_alu instid0(VALU_DEP_1) | instskip(SKIP_1) | instid1(VALU_DEP_1)
	v_max3_f32 v75, v75, v101, v102
	s_waitcnt lgkmcnt(2)
	v_max3_f32 v75, v75, v103, v104
	s_waitcnt lgkmcnt(1)
	s_delay_alu instid0(VALU_DEP_1) | instskip(NEXT) | instid1(VALU_DEP_1)
	v_max3_f32 v75, v75, v105, v106
	v_sub_f32_e32 v109, v100, v75
	v_sub_f32_e32 v76, v99, v75
	ds_load_2addr_b32 v[99:100], v90 offset0:170 offset1:187
	v_sub_f32_e32 v101, v101, v75
	v_dual_mul_f32 v109, 0x3fb8aa3b, v109 :: v_dual_mul_f32 v76, 0x3fb8aa3b, v76
	s_delay_alu instid0(VALU_DEP_2) | instskip(NEXT) | instid1(VALU_DEP_2)
	v_mul_f32_e32 v111, 0x3fb8aa3b, v101
	v_exp_f32_e32 v109, v109
	s_delay_alu instid0(VALU_DEP_2)
	v_exp_f32_e32 v110, v76
	v_sub_f32_e32 v76, v102, v75
	ds_load_2addr_b32 v[101:102], v90 offset0:204 offset1:221
	v_exp_f32_e32 v111, v111
	v_mul_f32_e32 v112, 0x3fb8aa3b, v76
	s_waitcnt lgkmcnt(2)
	v_fma_f32 v76, v110, v107, 0
	v_sub_f32_e32 v103, v103, v75
	s_delay_alu instid0(VALU_DEP_3) | instskip(NEXT) | instid1(VALU_DEP_2)
	v_exp_f32_e32 v112, v112
	v_dual_sub_f32 v107, v104, v75 :: v_dual_fmac_f32 v76, v109, v108
	s_waitcnt lgkmcnt(1)
	s_waitcnt_depctr 0xfff
	v_fmac_f32_e32 v76, v111, v99
	v_mul_f32_e32 v113, 0x3fb8aa3b, v103
	ds_load_2addr_b32 v[103:104], v90 offset0:238 offset1:255
	v_sub_f32_e32 v90, v105, v75
	v_dual_sub_f32 v99, v106, v75 :: v_dual_fmac_f32 v76, v112, v100
	v_mul_f32_e32 v105, 0x3fb8aa3b, v107
	v_exp_f32_e32 v107, v113
	s_delay_alu instid0(VALU_DEP_2)
	v_dual_mul_f32 v90, 0x3fb8aa3b, v90 :: v_dual_mul_f32 v99, 0x3fb8aa3b, v99
	s_waitcnt lgkmcnt(0)
	s_barrier
	buffer_gl0_inv
	v_exp_f32_e32 v90, v90
	v_exp_f32_e32 v99, v99
	v_fmac_f32_e32 v76, v107, v101
	v_exp_f32_e32 v105, v105
	s_waitcnt_depctr 0xfff
	v_fmac_f32_e32 v76, v105, v102
	s_delay_alu instid0(VALU_DEP_1) | instskip(NEXT) | instid1(VALU_DEP_1)
	v_fmac_f32_e32 v76, v90, v103
	v_fmac_f32_e32 v76, v99, v104
	s_delay_alu instid0(VALU_DEP_1) | instskip(NEXT) | instid1(VALU_DEP_1)
	v_add_f32_e32 v100, 0x358637bd, v76
	v_div_scale_f32 v101, null, v100, v100, 1.0
	v_div_scale_f32 v104, vcc_lo, 1.0, v100, 1.0
	s_delay_alu instid0(VALU_DEP_2) | instskip(SKIP_2) | instid1(VALU_DEP_1)
	v_rcp_f32_e32 v102, v101
	s_waitcnt_depctr 0xfff
	v_fma_f32 v103, -v101, v102, 1.0
	v_fmac_f32_e32 v102, v103, v102
	v_cndmask_b32_e64 v103, v110, v109, s3
	v_cmp_eq_u32_e64 s3, 2, v74
	s_delay_alu instid0(VALU_DEP_3) | instskip(NEXT) | instid1(VALU_DEP_2)
	v_mul_f32_e32 v106, v104, v102
	v_cndmask_b32_e64 v103, v103, v111, s3
	v_cmp_eq_u32_e64 s3, 3, v74
	s_delay_alu instid0(VALU_DEP_3) | instskip(NEXT) | instid1(VALU_DEP_2)
	v_fma_f32 v108, -v101, v106, v104
	v_cndmask_b32_e64 v103, v103, v112, s3
	v_cmp_eq_u32_e64 s3, 4, v74
	s_delay_alu instid0(VALU_DEP_3) | instskip(NEXT) | instid1(VALU_DEP_2)
	v_fmac_f32_e32 v106, v108, v102
	v_cndmask_b32_e64 v103, v103, v107, s3
	s_delay_alu instid0(VALU_DEP_2) | instskip(SKIP_1) | instid1(VALU_DEP_2)
	v_fma_f32 v101, -v101, v106, v104
	v_cmp_eq_u32_e64 s3, 5, v74
	v_div_fmas_f32 v101, v101, v102, v106
	s_delay_alu instid0(VALU_DEP_2) | instskip(SKIP_2) | instid1(VALU_DEP_3)
	v_cndmask_b32_e64 v103, v103, v105, s3
	v_cmp_eq_u32_e32 vcc_lo, 6, v74
	s_mov_b32 s3, exec_lo
	v_div_fixup_f32 v100, v101, v100, 1.0
	s_delay_alu instid0(VALU_DEP_3) | instskip(SKIP_1) | instid1(VALU_DEP_2)
	v_cndmask_b32_e32 v90, v103, v90, vcc_lo
	v_cmp_eq_u32_e32 vcc_lo, 7, v74
	v_cndmask_b32_e32 v90, v90, v99, vcc_lo
	s_delay_alu instid0(VALU_DEP_1) | instskip(NEXT) | instid1(VALU_DEP_1)
	v_mul_f32_e32 v90, v90, v100
	v_mul_f32_e32 v100, v90, v92
	;; [unrolled: 1-line block ×6, first 2 shown]
	v_and_b32_e32 v101, 0x7f800000, v100
	v_mul_f32_e32 v99, v90, v95
	v_mul_f32_e32 v95, v90, v91
	;; [unrolled: 1-line block ×3, first 2 shown]
                                        ; implicit-def: $vgpr91
	s_delay_alu instid0(VALU_DEP_4)
	v_cmpx_ne_u32_e32 0x7f800000, v101
	s_xor_b32 s3, exec_lo, s3
; %bb.15:
	v_bfe_u32 v91, v100, 16, 1
	s_delay_alu instid0(VALU_DEP_1)
	v_add3_u32 v91, v100, v91, 0x7fff
                                        ; implicit-def: $vgpr100
; %bb.16:
	s_and_not1_saveexec_b32 s3, s3
; %bb.17:
	v_and_b32_e32 v91, 0xffff, v100
	v_or_b32_e32 v93, 0x10000, v100
	s_delay_alu instid0(VALU_DEP_2) | instskip(NEXT) | instid1(VALU_DEP_2)
	v_cmp_eq_u32_e32 vcc_lo, 0, v91
	v_cndmask_b32_e32 v91, v93, v100, vcc_lo
; %bb.18:
	s_or_b32 exec_lo, exec_lo, s3
	v_and_b32_e32 v93, 0x7f800000, v95
	s_delay_alu instid0(VALU_DEP_1) | instskip(SKIP_1) | instid1(SALU_CYCLE_1)
	v_cmp_ne_u32_e32 vcc_lo, 0x7f800000, v93
                                        ; implicit-def: $vgpr93
	s_and_saveexec_b32 s3, vcc_lo
	s_xor_b32 s3, exec_lo, s3
; %bb.19:
	v_bfe_u32 v93, v95, 16, 1
	s_delay_alu instid0(VALU_DEP_1)
	v_add3_u32 v93, v95, v93, 0x7fff
                                        ; implicit-def: $vgpr95
; %bb.20:
	s_and_not1_saveexec_b32 s3, s3
; %bb.21:
	v_and_b32_e32 v93, 0xffff, v95
	v_or_b32_e32 v100, 0x10000, v95
	s_delay_alu instid0(VALU_DEP_2) | instskip(NEXT) | instid1(VALU_DEP_2)
	v_cmp_eq_u32_e32 vcc_lo, 0, v93
	v_cndmask_b32_e32 v93, v100, v95, vcc_lo
; %bb.22:
	s_or_b32 exec_lo, exec_lo, s3
	v_and_b32_e32 v95, 0x7f800000, v96
	s_delay_alu instid0(VALU_DEP_1) | instskip(SKIP_1) | instid1(SALU_CYCLE_1)
	v_cmp_ne_u32_e32 vcc_lo, 0x7f800000, v95
                                        ; implicit-def: $vgpr95
	s_and_saveexec_b32 s3, vcc_lo
	s_xor_b32 s3, exec_lo, s3
; %bb.23:
	v_bfe_u32 v95, v96, 16, 1
	s_delay_alu instid0(VALU_DEP_1)
	v_add3_u32 v95, v96, v95, 0x7fff
                                        ; implicit-def: $vgpr96
; %bb.24:
	s_and_not1_saveexec_b32 s3, s3
; %bb.25:
	v_and_b32_e32 v95, 0xffff, v96
	v_or_b32_e32 v100, 0x10000, v96
	s_delay_alu instid0(VALU_DEP_2) | instskip(NEXT) | instid1(VALU_DEP_2)
	v_cmp_eq_u32_e32 vcc_lo, 0, v95
	v_cndmask_b32_e32 v95, v100, v96, vcc_lo
; %bb.26:
	s_or_b32 exec_lo, exec_lo, s3
	v_and_b32_e32 v96, 0x7f800000, v99
	s_delay_alu instid0(VALU_DEP_1) | instskip(SKIP_1) | instid1(SALU_CYCLE_1)
	v_cmp_ne_u32_e32 vcc_lo, 0x7f800000, v96
                                        ; implicit-def: $vgpr96
	s_and_saveexec_b32 s3, vcc_lo
	s_xor_b32 s3, exec_lo, s3
; %bb.27:
	v_bfe_u32 v96, v99, 16, 1
	s_delay_alu instid0(VALU_DEP_1)
	v_add3_u32 v96, v99, v96, 0x7fff
                                        ; implicit-def: $vgpr99
; %bb.28:
	s_and_not1_saveexec_b32 s3, s3
; %bb.29:
	v_and_b32_e32 v96, 0xffff, v99
	v_or_b32_e32 v100, 0x10000, v99
	s_delay_alu instid0(VALU_DEP_2) | instskip(NEXT) | instid1(VALU_DEP_2)
	v_cmp_eq_u32_e32 vcc_lo, 0, v96
	v_cndmask_b32_e32 v96, v100, v99, vcc_lo
; %bb.30:
	s_or_b32 exec_lo, exec_lo, s3
	v_and_b32_e32 v99, 0x7f800000, v98
	s_delay_alu instid0(VALU_DEP_1) | instskip(SKIP_1) | instid1(SALU_CYCLE_1)
	v_cmp_ne_u32_e32 vcc_lo, 0x7f800000, v99
                                        ; implicit-def: $vgpr99
	s_and_saveexec_b32 s3, vcc_lo
	s_xor_b32 s3, exec_lo, s3
; %bb.31:
	v_bfe_u32 v99, v98, 16, 1
	s_delay_alu instid0(VALU_DEP_1)
	v_add3_u32 v99, v98, v99, 0x7fff
                                        ; implicit-def: $vgpr98
; %bb.32:
	s_and_not1_saveexec_b32 s3, s3
; %bb.33:
	v_and_b32_e32 v99, 0xffff, v98
	v_or_b32_e32 v100, 0x10000, v98
	s_delay_alu instid0(VALU_DEP_2) | instskip(NEXT) | instid1(VALU_DEP_2)
	v_cmp_eq_u32_e32 vcc_lo, 0, v99
	v_cndmask_b32_e32 v99, v100, v98, vcc_lo
; %bb.34:
	s_or_b32 exec_lo, exec_lo, s3
	v_and_b32_e32 v98, 0x7f800000, v97
	s_delay_alu instid0(VALU_DEP_1) | instskip(SKIP_1) | instid1(SALU_CYCLE_1)
	v_cmp_ne_u32_e32 vcc_lo, 0x7f800000, v98
                                        ; implicit-def: $vgpr98
	s_and_saveexec_b32 s3, vcc_lo
	s_xor_b32 s3, exec_lo, s3
; %bb.35:
	v_bfe_u32 v98, v97, 16, 1
	s_delay_alu instid0(VALU_DEP_1)
	v_add3_u32 v98, v97, v98, 0x7fff
                                        ; implicit-def: $vgpr97
; %bb.36:
	s_and_not1_saveexec_b32 s3, s3
; %bb.37:
	v_and_b32_e32 v98, 0xffff, v97
	v_or_b32_e32 v100, 0x10000, v97
	s_delay_alu instid0(VALU_DEP_2) | instskip(NEXT) | instid1(VALU_DEP_2)
	v_cmp_eq_u32_e32 vcc_lo, 0, v98
	v_cndmask_b32_e32 v98, v100, v97, vcc_lo
; %bb.38:
	s_or_b32 exec_lo, exec_lo, s3
	v_and_b32_e32 v97, 0x7f800000, v94
	s_delay_alu instid0(VALU_DEP_1) | instskip(SKIP_1) | instid1(SALU_CYCLE_1)
	v_cmp_ne_u32_e32 vcc_lo, 0x7f800000, v97
                                        ; implicit-def: $vgpr97
	s_and_saveexec_b32 s3, vcc_lo
	s_xor_b32 s3, exec_lo, s3
; %bb.39:
	v_bfe_u32 v97, v94, 16, 1
	s_delay_alu instid0(VALU_DEP_1)
	v_add3_u32 v97, v94, v97, 0x7fff
                                        ; implicit-def: $vgpr94
; %bb.40:
	s_and_not1_saveexec_b32 s3, s3
; %bb.41:
	v_and_b32_e32 v97, 0xffff, v94
	v_or_b32_e32 v100, 0x10000, v94
	s_delay_alu instid0(VALU_DEP_2) | instskip(NEXT) | instid1(VALU_DEP_2)
	v_cmp_eq_u32_e32 vcc_lo, 0, v97
	v_cndmask_b32_e32 v97, v100, v94, vcc_lo
; %bb.42:
	s_or_b32 exec_lo, exec_lo, s3
	v_and_b32_e32 v94, 0x7f800000, v92
	s_delay_alu instid0(VALU_DEP_1) | instskip(SKIP_1) | instid1(SALU_CYCLE_1)
	v_cmp_ne_u32_e32 vcc_lo, 0x7f800000, v94
                                        ; implicit-def: $vgpr94
	s_and_saveexec_b32 s3, vcc_lo
	s_xor_b32 s3, exec_lo, s3
; %bb.43:
	v_bfe_u32 v94, v92, 16, 1
	s_delay_alu instid0(VALU_DEP_1)
	v_add3_u32 v94, v92, v94, 0x7fff
                                        ; implicit-def: $vgpr92
; %bb.44:
	s_and_not1_saveexec_b32 s3, s3
; %bb.45:
	v_and_b32_e32 v94, 0xffff, v92
	v_or_b32_e32 v100, 0x10000, v92
	s_delay_alu instid0(VALU_DEP_2) | instskip(NEXT) | instid1(VALU_DEP_2)
	v_cmp_eq_u32_e32 vcc_lo, 0, v94
	v_cndmask_b32_e32 v94, v100, v92, vcc_lo
; %bb.46:
	s_or_b32 exec_lo, exec_lo, s3
	s_load_b64 s[34:35], s[0:1], 0x94
	v_lshlrev_b32_e32 v92, 4, v83
	s_delay_alu instid0(VALU_DEP_2)
	v_perm_b32 v100, v94, v97, 0x7060302
	v_dual_mul_f32 v89, v90, v89 :: v_dual_lshlrev_b32 v94, 11, v74
	v_perm_b32 v97, v93, v91, 0x7060302
	v_mul_f32_e32 v93, v90, v77
	v_perm_b32 v99, v98, v99, 0x7060302
	v_perm_b32 v98, v96, v95, 0x7060302
	v_or3_b32 v77, v92, v94, v85
	v_mul_f32_e32 v88, v90, v88
	v_dual_mul_f32 v87, v90, v87 :: v_dual_and_b32 v94, 0x7f800000, v93
	v_mul_f32_e32 v86, v90, v86
	v_mul_f32_e32 v91, v90, v80
	v_mul_f32_e32 v92, v90, v79
	v_mul_f32_e32 v80, v90, v78
	s_mov_b32 s3, exec_lo
	ds_store_b128 v77, v[97:100]
                                        ; implicit-def: $vgpr78
	v_cmpx_ne_u32_e32 0x7f800000, v94
	s_xor_b32 s3, exec_lo, s3
; %bb.47:
	v_bfe_u32 v78, v93, 16, 1
	s_delay_alu instid0(VALU_DEP_1)
	v_add3_u32 v78, v93, v78, 0x7fff
                                        ; implicit-def: $vgpr93
; %bb.48:
	s_and_not1_saveexec_b32 s3, s3
; %bb.49:
	v_and_b32_e32 v78, 0xffff, v93
	v_or_b32_e32 v79, 0x10000, v93
	s_delay_alu instid0(VALU_DEP_2) | instskip(NEXT) | instid1(VALU_DEP_2)
	v_cmp_eq_u32_e32 vcc_lo, 0, v78
	v_cndmask_b32_e32 v78, v79, v93, vcc_lo
; %bb.50:
	s_or_b32 exec_lo, exec_lo, s3
	v_and_b32_e32 v79, 0x7f800000, v80
	s_delay_alu instid0(VALU_DEP_1) | instskip(SKIP_1) | instid1(SALU_CYCLE_1)
	v_cmp_ne_u32_e32 vcc_lo, 0x7f800000, v79
                                        ; implicit-def: $vgpr79
	s_and_saveexec_b32 s3, vcc_lo
	s_xor_b32 s3, exec_lo, s3
; %bb.51:
	v_bfe_u32 v79, v80, 16, 1
	s_delay_alu instid0(VALU_DEP_1)
	v_add3_u32 v79, v80, v79, 0x7fff
                                        ; implicit-def: $vgpr80
; %bb.52:
	s_and_not1_saveexec_b32 s3, s3
; %bb.53:
	v_and_b32_e32 v79, 0xffff, v80
	v_or_b32_e32 v90, 0x10000, v80
	s_delay_alu instid0(VALU_DEP_2) | instskip(NEXT) | instid1(VALU_DEP_2)
	v_cmp_eq_u32_e32 vcc_lo, 0, v79
	v_cndmask_b32_e32 v79, v90, v80, vcc_lo
; %bb.54:
	s_or_b32 exec_lo, exec_lo, s3
	v_and_b32_e32 v80, 0x7f800000, v92
	s_delay_alu instid0(VALU_DEP_1) | instskip(SKIP_1) | instid1(SALU_CYCLE_1)
	v_cmp_ne_u32_e32 vcc_lo, 0x7f800000, v80
                                        ; implicit-def: $vgpr80
	s_and_saveexec_b32 s3, vcc_lo
	s_xor_b32 s3, exec_lo, s3
; %bb.55:
	v_bfe_u32 v80, v92, 16, 1
	s_delay_alu instid0(VALU_DEP_1)
	v_add3_u32 v80, v92, v80, 0x7fff
                                        ; implicit-def: $vgpr92
; %bb.56:
	s_and_not1_saveexec_b32 s3, s3
; %bb.57:
	v_and_b32_e32 v80, 0xffff, v92
	v_or_b32_e32 v90, 0x10000, v92
	s_delay_alu instid0(VALU_DEP_2) | instskip(NEXT) | instid1(VALU_DEP_2)
	v_cmp_eq_u32_e32 vcc_lo, 0, v80
	v_cndmask_b32_e32 v80, v90, v92, vcc_lo
; %bb.58:
	s_or_b32 exec_lo, exec_lo, s3
	v_and_b32_e32 v90, 0x7f800000, v91
	s_delay_alu instid0(VALU_DEP_1) | instskip(SKIP_1) | instid1(SALU_CYCLE_1)
	v_cmp_ne_u32_e32 vcc_lo, 0x7f800000, v90
                                        ; implicit-def: $vgpr90
	s_and_saveexec_b32 s3, vcc_lo
	s_xor_b32 s3, exec_lo, s3
; %bb.59:
	v_bfe_u32 v90, v91, 16, 1
	s_delay_alu instid0(VALU_DEP_1)
	v_add3_u32 v90, v91, v90, 0x7fff
                                        ; implicit-def: $vgpr91
; %bb.60:
	s_and_not1_saveexec_b32 s3, s3
; %bb.61:
	v_and_b32_e32 v90, 0xffff, v91
	v_or_b32_e32 v92, 0x10000, v91
	s_delay_alu instid0(VALU_DEP_2) | instskip(NEXT) | instid1(VALU_DEP_2)
	v_cmp_eq_u32_e32 vcc_lo, 0, v90
	v_cndmask_b32_e32 v90, v92, v91, vcc_lo
; %bb.62:
	s_or_b32 exec_lo, exec_lo, s3
	v_and_b32_e32 v91, 0x7f800000, v86
	s_delay_alu instid0(VALU_DEP_1) | instskip(SKIP_1) | instid1(SALU_CYCLE_1)
	v_cmp_ne_u32_e32 vcc_lo, 0x7f800000, v91
                                        ; implicit-def: $vgpr91
	s_and_saveexec_b32 s3, vcc_lo
	s_xor_b32 s3, exec_lo, s3
; %bb.63:
	v_bfe_u32 v91, v86, 16, 1
	s_delay_alu instid0(VALU_DEP_1)
	v_add3_u32 v91, v86, v91, 0x7fff
                                        ; implicit-def: $vgpr86
; %bb.64:
	s_and_not1_saveexec_b32 s3, s3
; %bb.65:
	v_and_b32_e32 v91, 0xffff, v86
	v_or_b32_e32 v92, 0x10000, v86
	s_delay_alu instid0(VALU_DEP_2) | instskip(NEXT) | instid1(VALU_DEP_2)
	v_cmp_eq_u32_e32 vcc_lo, 0, v91
	v_cndmask_b32_e32 v91, v92, v86, vcc_lo
; %bb.66:
	s_or_b32 exec_lo, exec_lo, s3
	v_and_b32_e32 v86, 0x7f800000, v87
	s_delay_alu instid0(VALU_DEP_1) | instskip(SKIP_1) | instid1(SALU_CYCLE_1)
	v_cmp_ne_u32_e32 vcc_lo, 0x7f800000, v86
                                        ; implicit-def: $vgpr86
	s_and_saveexec_b32 s3, vcc_lo
	s_xor_b32 s3, exec_lo, s3
; %bb.67:
	v_bfe_u32 v86, v87, 16, 1
	s_delay_alu instid0(VALU_DEP_1)
	v_add3_u32 v86, v87, v86, 0x7fff
                                        ; implicit-def: $vgpr87
; %bb.68:
	s_and_not1_saveexec_b32 s3, s3
; %bb.69:
	v_and_b32_e32 v86, 0xffff, v87
	v_or_b32_e32 v92, 0x10000, v87
	s_delay_alu instid0(VALU_DEP_2) | instskip(NEXT) | instid1(VALU_DEP_2)
	v_cmp_eq_u32_e32 vcc_lo, 0, v86
	v_cndmask_b32_e32 v86, v92, v87, vcc_lo
; %bb.70:
	s_or_b32 exec_lo, exec_lo, s3
	v_and_b32_e32 v87, 0x7f800000, v88
	s_delay_alu instid0(VALU_DEP_1) | instskip(SKIP_1) | instid1(SALU_CYCLE_1)
	v_cmp_ne_u32_e32 vcc_lo, 0x7f800000, v87
                                        ; implicit-def: $vgpr87
	s_and_saveexec_b32 s3, vcc_lo
	s_xor_b32 s3, exec_lo, s3
; %bb.71:
	v_bfe_u32 v87, v88, 16, 1
	s_delay_alu instid0(VALU_DEP_1)
	v_add3_u32 v87, v88, v87, 0x7fff
                                        ; implicit-def: $vgpr88
; %bb.72:
	s_and_not1_saveexec_b32 s3, s3
; %bb.73:
	v_and_b32_e32 v87, 0xffff, v88
	v_or_b32_e32 v92, 0x10000, v88
	s_delay_alu instid0(VALU_DEP_2) | instskip(NEXT) | instid1(VALU_DEP_2)
	v_cmp_eq_u32_e32 vcc_lo, 0, v87
	v_cndmask_b32_e32 v87, v92, v88, vcc_lo
; %bb.74:
	s_or_b32 exec_lo, exec_lo, s3
	v_and_b32_e32 v88, 0x7f800000, v89
	s_delay_alu instid0(VALU_DEP_1) | instskip(SKIP_1) | instid1(SALU_CYCLE_1)
	v_cmp_ne_u32_e32 vcc_lo, 0x7f800000, v88
                                        ; implicit-def: $vgpr88
	s_and_saveexec_b32 s3, vcc_lo
	s_xor_b32 s3, exec_lo, s3
; %bb.75:
	v_bfe_u32 v88, v89, 16, 1
	s_delay_alu instid0(VALU_DEP_1)
	v_add3_u32 v88, v89, v88, 0x7fff
                                        ; implicit-def: $vgpr89
; %bb.76:
	s_and_not1_saveexec_b32 s3, s3
; %bb.77:
	v_and_b32_e32 v88, 0xffff, v89
	v_or_b32_e32 v92, 0x10000, v89
	s_delay_alu instid0(VALU_DEP_2) | instskip(NEXT) | instid1(VALU_DEP_2)
	v_cmp_eq_u32_e32 vcc_lo, 0, v88
	v_cndmask_b32_e32 v88, v92, v89, vcc_lo
; %bb.78:
	s_or_b32 exec_lo, exec_lo, s3
	s_delay_alu instid0(VALU_DEP_1)
	v_perm_b32 v89, v88, v87, 0x7060302
	v_perm_b32 v88, v86, v91, 0x7060302
	;; [unrolled: 1-line block ×4, first 2 shown]
	v_lshl_or_b32 v90, v74, 11, v85
	ds_store_b128 v77, v[86:89] offset:1024
	s_waitcnt lgkmcnt(0)
	s_barrier
	buffer_gl0_inv
	ds_load_b128 v[91:94], v90
	ds_load_b128 v[95:98], v90 offset:16
	v_lshlrev_b32_e32 v87, 2, v83
	s_delay_alu instid0(VALU_DEP_1)
	v_or_b32_e32 v88, 1, v87
	v_cmp_eq_u32_e32 vcc_lo, 1, v87
	v_cmp_eq_u32_e64 s4, 2, v87
	v_cmp_eq_u32_e64 s7, 3, v87
	;; [unrolled: 1-line block ×6, first 2 shown]
	v_or_b32_e32 v86, 2, v87
	v_cmp_eq_u32_e64 s10, 5, v87
	v_cmp_eq_u32_e64 s11, 4, v88
	;; [unrolled: 1-line block ×4, first 2 shown]
	s_waitcnt lgkmcnt(1)
	v_lshrrev_b32_e32 v74, 16, v91
	s_waitcnt lgkmcnt(0)
	v_lshrrev_b32_e32 v103, 16, v95
	v_lshrrev_b32_e32 v80, 16, v94
	;; [unrolled: 1-line block ×4, first 2 shown]
	v_cndmask_b32_e32 v89, v91, v74, vcc_lo
	v_cndmask_b32_e32 v99, v95, v103, vcc_lo
	v_cndmask_b32_e64 v100, v91, v74, s3
	v_lshrrev_b32_e32 v79, 16, v93
	v_lshrrev_b32_e32 v108, 16, v97
	v_cndmask_b32_e64 v89, v89, v92, s4
	v_cndmask_b32_e64 v99, v99, v96, s4
	;; [unrolled: 1-line block ×4, first 2 shown]
	v_cmp_eq_u32_e64 s5, 1, v86
	v_cndmask_b32_e64 v89, v89, v78, s7
	v_cndmask_b32_e64 v99, v99, v107, s7
	;; [unrolled: 1-line block ×4, first 2 shown]
	v_lshrrev_b32_e32 v109, 16, v98
	v_cndmask_b32_e64 v89, v89, v93, s9
	v_cndmask_b32_e64 v99, v99, v97, s9
	;; [unrolled: 1-line block ×8, first 2 shown]
	v_cmp_eq_u32_e64 s15, 7, v87
	v_cmp_eq_u32_e64 s16, 6, v88
	v_cndmask_b32_e64 v89, v89, v94, s12
	v_cndmask_b32_e64 v99, v99, v98, s12
	v_cmp_eq_u32_e64 s17, 2, v86
	v_cndmask_b32_e64 v101, v101, v97, s11
	v_cndmask_b32_e64 v100, v100, v94, s16
	;; [unrolled: 1-line block ×6, first 2 shown]
	v_cmp_eq_u32_e64 s18, 7, v88
	v_cmp_eq_u32_e64 s19, 3, v86
	;; [unrolled: 1-line block ×4, first 2 shown]
	v_cndmask_b32_e64 v99, v99, v96, s17
	v_cndmask_b32_e64 v112, v100, v80, s18
	v_cndmask_b32_e64 v100, v101, v108, s13
	v_cndmask_b32_e64 v101, v89, v78, s19
	v_or_b32_e32 v89, 3, v87
	v_cndmask_b32_e64 v105, v99, v107, s19
	v_cmp_eq_u32_e64 s24, 6, v86
	v_cndmask_b32_e64 v113, v100, v98, s16
	v_cndmask_b32_e64 v104, v101, v93, s20
	ds_load_b128 v[99:102], v90 offset:1024
	v_cmp_eq_u32_e64 s21, 1, v89
	v_cmp_eq_u32_e64 s23, 2, v89
	;; [unrolled: 1-line block ×3, first 2 shown]
	v_cndmask_b32_e64 v114, v104, v79, s22
	v_cmp_eq_u32_e64 s26, 4, v89
	v_cndmask_b32_e64 v74, v91, v74, s21
	v_cndmask_b32_e64 v91, v105, v97, s20
	;; [unrolled: 1-line block ×3, first 2 shown]
	ds_load_b128 v[103:106], v90 offset:1040
	v_cmp_eq_u32_e64 s28, 5, v89
	v_cndmask_b32_e64 v74, v74, v92, s23
	v_cndmask_b32_e64 v91, v91, v108, s22
	;; [unrolled: 1-line block ×3, first 2 shown]
	v_cmp_eq_u32_e64 s29, 6, v89
	v_cndmask_b32_e64 v95, v113, v109, s18
	v_cndmask_b32_e64 v74, v74, v78, s25
	;; [unrolled: 1-line block ×5, first 2 shown]
	s_waitcnt lgkmcnt(1)
	v_lshrrev_b32_e32 v96, 16, v99
	v_cndmask_b32_e64 v74, v74, v93, s26
	v_lshrrev_b32_e32 v107, 16, v100
	v_cndmask_b32_e64 v92, v92, v97, s26
	v_cmp_eq_u32_e64 s27, 7, v86
	v_cndmask_b32_e32 v93, v99, v96, vcc_lo
	v_cndmask_b32_e64 v74, v74, v79, s28
	s_delay_alu instid0(VALU_DEP_4)
	v_cndmask_b32_e64 v79, v92, v108, s28
	s_waitcnt lgkmcnt(0)
	v_lshrrev_b32_e32 v97, 16, v103
	v_cndmask_b32_e64 v92, v93, v100, s4
	v_cndmask_b32_e64 v93, v99, v96, s3
	;; [unrolled: 1-line block ×4, first 2 shown]
	v_cndmask_b32_e32 v108, v103, v97, vcc_lo
	v_cndmask_b32_e64 v92, v92, v107, s7
	v_cndmask_b32_e64 v93, v93, v100, s6
	v_lshrrev_b32_e32 v98, 16, v104
	v_cmp_eq_u32_e32 vcc_lo, 7, v89
	v_cndmask_b32_e64 v94, v108, v104, s4
	v_cndmask_b32_e64 v92, v92, v101, s9
	v_lshrrev_b32_e32 v108, 16, v101
	v_cndmask_b32_e64 v93, v93, v107, s8
	v_cndmask_b32_e32 v74, v74, v80, vcc_lo
	v_cndmask_b32_e64 v94, v94, v98, s7
	v_cndmask_b32_e32 v79, v79, v109, vcc_lo
	v_cndmask_b32_e64 v92, v92, v108, s10
	v_cndmask_b32_e64 v78, v78, v80, s27
	;; [unrolled: 1-line block ×4, first 2 shown]
	v_perm_b32 v94, v79, v74, 0x5040100
	v_cndmask_b32_e64 v79, v92, v102, s12
	v_perm_b32 v92, v95, v112, 0x5040100
	v_cndmask_b32_e64 v95, v99, v96, s5
	v_cndmask_b32_e64 v96, v99, v96, s21
	;; [unrolled: 1-line block ×16, first 2 shown]
	v_lshrrev_b32_e32 v109, 16, v105
	v_cndmask_b32_e64 v95, v95, v101, s20
	v_cndmask_b32_e64 v96, v96, v101, s26
	;; [unrolled: 1-line block ×6, first 2 shown]
	v_lshrrev_b32_e32 v80, 16, v102
	v_cndmask_b32_e64 v113, v93, v109, s10
	v_cndmask_b32_e64 v95, v95, v108, s22
	v_cndmask_b32_e64 v96, v96, v108, s28
	v_cndmask_b32_e64 v98, v98, v109, s28
	v_cndmask_b32_e64 v99, v99, v109, s22
	v_cndmask_b32_e64 v97, v97, v109, s13
	v_perm_b32 v93, v91, v78, 0x5040100
	v_cndmask_b32_e64 v74, v74, v102, s16
	v_cndmask_b32_e64 v78, v79, v80, s15
	;; [unrolled: 1-line block ×3, first 2 shown]
	v_lshrrev_b32_e32 v91, 16, v106
	v_cndmask_b32_e64 v95, v95, v102, s24
	v_cndmask_b32_e64 v96, v96, v102, s29
	;; [unrolled: 1-line block ×7, first 2 shown]
	v_cndmask_b32_e32 v80, v96, v80, vcc_lo
	v_cndmask_b32_e32 v96, v98, v91, vcc_lo
	v_cndmask_b32_e64 v99, v99, v91, s27
	v_cndmask_b32_e64 v100, v97, v91, s18
	;; [unrolled: 1-line block ×3, first 2 shown]
	v_perm_b32 v91, v111, v110, 0x5040100
	v_perm_b32 v98, v96, v80, 0x5040100
	;; [unrolled: 1-line block ×5, first 2 shown]
	s_mul_i32 s8, s35, 13
	s_mov_b32 s3, exec_lo
	ds_store_b128 v77, v[91:94]
	ds_store_b128 v77, v[95:98] offset:1024
	v_cmpx_gt_u32_e32 13, v0
	s_cbranch_execz .LBB722_80
; %bb.79:
	s_mul_i32 s4, s8, s30
	s_delay_alu instid0(SALU_CYCLE_1) | instskip(SKIP_1) | instid1(VALU_DEP_1)
	v_add3_u32 v77, s4, s31, v73
	s_load_b128 s[4:7], s[0:1], 0x58
	v_mad_u64_u32 v[73:74], null, v77, s34, s[14:15]
	s_delay_alu instid0(VALU_DEP_1) | instskip(NEXT) | instid1(VALU_DEP_1)
	v_ashrrev_i32_e32 v74, 31, v73
	v_lshlrev_b64 v[73:74], 2, v[73:74]
	s_waitcnt lgkmcnt(0)
	s_delay_alu instid0(VALU_DEP_1) | instskip(NEXT) | instid1(VALU_DEP_2)
	v_add_co_u32 v77, vcc_lo, s6, v73
	v_add_co_ci_u32_e32 v78, vcc_lo, s7, v74, vcc_lo
	v_add_co_u32 v73, vcc_lo, s4, v73
	v_add_co_ci_u32_e32 v74, vcc_lo, s5, v74, vcc_lo
	global_store_b32 v[77:78], v75, off
	global_store_b32 v[73:74], v76, off
.LBB722_80:
	s_or_b32 exec_lo, exec_lo, s3
	s_waitcnt lgkmcnt(0)
	s_waitcnt_vscnt null, 0x0
	s_barrier
	buffer_gl0_inv
	ds_load_b128 v[91:94], v85
	ds_load_b128 v[95:98], v85 offset:16
	ds_load_b128 v[103:106], v85 offset:1040
	;; [unrolled: 1-line block ×3, first 2 shown]
	v_mov_b32_e32 v73, 0
	ds_load_b128 v[111:114], v85 offset:2064
	ds_load_b128 v[107:110], v85 offset:2048
	ds_load_b128 v[119:122], v85 offset:3088
	ds_load_b128 v[115:118], v85 offset:3072
	ds_load_b128 v[127:130], v85 offset:4112
	ds_load_b128 v[123:126], v85 offset:4096
	v_mov_b32_e32 v74, v73
	v_mov_b32_e32 v75, v73
	;; [unrolled: 1-line block ×7, first 2 shown]
	s_waitcnt lgkmcnt(8)
	s_delay_alu instid0(VALU_DEP_1)
	v_wmma_f32_16x16x16_bf16 v[73:80], v[65:72], v[91:98], v[73:80]
	ds_load_b128 v[69:72], v85 offset:5136
	ds_load_b128 v[65:68], v85 offset:5120
	;; [unrolled: 1-line block ×4, first 2 shown]
	s_waitcnt lgkmcnt(10)
	v_wmma_f32_16x16x16_bf16 v[73:80], v[57:64], v[99:106], v[73:80]
	s_waitcnt lgkmcnt(8)
	s_delay_alu instid0(VALU_DEP_1)
	v_wmma_f32_16x16x16_bf16 v[73:80], v[57:64], v[107:114], v[73:80]
	ds_load_b128 v[61:64], v85 offset:7184
	ds_load_b128 v[57:60], v85 offset:7168
	;; [unrolled: 1-line block ×4, first 2 shown]
	s_waitcnt lgkmcnt(10)
	v_wmma_f32_16x16x16_bf16 v[73:80], v[49:56], v[115:122], v[73:80]
	s_waitcnt lgkmcnt(8)
	s_delay_alu instid0(VALU_DEP_1)
	v_wmma_f32_16x16x16_bf16 v[73:80], v[49:56], v[123:130], v[73:80]
	ds_load_b128 v[53:56], v85 offset:9232
	ds_load_b128 v[49:52], v85 offset:9216
	s_waitcnt lgkmcnt(8)
	v_wmma_f32_16x16x16_bf16 v[73:80], v[41:48], v[65:72], v[73:80]
	ds_load_b128 v[69:72], v85 offset:10256
	ds_load_b128 v[65:68], v85 offset:10240
	s_waitcnt lgkmcnt(8)
	;; [unrolled: 4-line block ×3, first 2 shown]
	v_wmma_f32_16x16x16_bf16 v[73:80], v[9:16], v[57:64], v[73:80]
	s_waitcnt lgkmcnt(6)
	s_delay_alu instid0(VALU_DEP_1)
	v_wmma_f32_16x16x16_bf16 v[73:80], v[9:16], v[99:106], v[73:80]
	ds_load_b128 v[13:16], v85 offset:12304
	ds_load_b128 v[9:12], v85 offset:12288
	s_waitcnt lgkmcnt(6)
	v_wmma_f32_16x16x16_bf16 v[73:80], v[1:8], v[49:56], v[73:80]
	ds_load_b128 v[53:56], v85 offset:13328
	ds_load_b128 v[49:52], v85 offset:13312
	s_waitcnt lgkmcnt(6)
	v_wmma_f32_16x16x16_bf16 v[73:80], v[1:8], v[65:72], v[73:80]
	ds_load_b128 v[5:8], v85 offset:14352
	ds_load_b128 v[1:4], v85 offset:14336
	s_waitcnt lgkmcnt(6)
	v_wmma_f32_16x16x16_bf16 v[73:80], v[33:40], v[41:48], v[73:80]
	ds_load_b128 v[45:48], v85 offset:15376
	ds_load_b128 v[41:44], v85 offset:15360
	s_waitcnt lgkmcnt(6)
	v_wmma_f32_16x16x16_bf16 v[73:80], v[33:40], v[9:16], v[73:80]
	s_waitcnt lgkmcnt(4)
	s_delay_alu instid0(VALU_DEP_1) | instskip(SKIP_1) | instid1(VALU_DEP_1)
	v_wmma_f32_16x16x16_bf16 v[73:80], v[25:32], v[49:56], v[73:80]
	s_waitcnt lgkmcnt(2)
	v_wmma_f32_16x16x16_bf16 v[73:80], v[25:32], v[1:8], v[73:80]
	s_waitcnt lgkmcnt(0)
	s_delay_alu instid0(VALU_DEP_1) | instskip(NEXT) | instid1(VALU_DEP_1)
	v_wmma_f32_16x16x16_bf16 v[73:80], v[17:24], v[41:48], v[73:80]
	v_and_b32_e32 v1, 0x7f800000, v73
	s_delay_alu instid0(VALU_DEP_1) | instskip(SKIP_1) | instid1(SALU_CYCLE_1)
	v_cmp_ne_u32_e32 vcc_lo, 0x7f800000, v1
                                        ; implicit-def: $vgpr1
	s_and_saveexec_b32 s3, vcc_lo
	s_xor_b32 s3, exec_lo, s3
; %bb.81:
	v_bfe_u32 v1, v73, 16, 1
	s_delay_alu instid0(VALU_DEP_1)
	v_add3_u32 v1, v73, v1, 0x7fff
; %bb.82:
	s_and_not1_saveexec_b32 s3, s3
; %bb.83:
	v_and_b32_e32 v1, 0xffff, v73
	v_or_b32_e32 v2, 0x10000, v73
	s_delay_alu instid0(VALU_DEP_2) | instskip(NEXT) | instid1(VALU_DEP_2)
	v_cmp_eq_u32_e32 vcc_lo, 0, v1
	v_cndmask_b32_e32 v1, v2, v73, vcc_lo
; %bb.84:
	s_or_b32 exec_lo, exec_lo, s3
	v_and_b32_e32 v2, 0x7f800000, v74
	s_delay_alu instid0(VALU_DEP_1) | instskip(SKIP_1) | instid1(SALU_CYCLE_1)
	v_cmp_ne_u32_e32 vcc_lo, 0x7f800000, v2
                                        ; implicit-def: $vgpr2
	s_and_saveexec_b32 s3, vcc_lo
	s_xor_b32 s3, exec_lo, s3
; %bb.85:
	v_bfe_u32 v2, v74, 16, 1
	s_delay_alu instid0(VALU_DEP_1)
	v_add3_u32 v2, v74, v2, 0x7fff
; %bb.86:
	s_and_not1_saveexec_b32 s3, s3
; %bb.87:
	v_and_b32_e32 v2, 0xffff, v74
	v_or_b32_e32 v3, 0x10000, v74
	s_delay_alu instid0(VALU_DEP_2) | instskip(NEXT) | instid1(VALU_DEP_2)
	v_cmp_eq_u32_e32 vcc_lo, 0, v2
	v_cndmask_b32_e32 v2, v3, v74, vcc_lo
; %bb.88:
	s_or_b32 exec_lo, exec_lo, s3
	v_and_b32_e32 v3, 0x7f800000, v75
	s_delay_alu instid0(VALU_DEP_1) | instskip(SKIP_1) | instid1(SALU_CYCLE_1)
	v_cmp_ne_u32_e32 vcc_lo, 0x7f800000, v3
                                        ; implicit-def: $vgpr3
	s_and_saveexec_b32 s3, vcc_lo
	s_xor_b32 s3, exec_lo, s3
; %bb.89:
	v_bfe_u32 v3, v75, 16, 1
	s_delay_alu instid0(VALU_DEP_1)
	v_add3_u32 v3, v75, v3, 0x7fff
; %bb.90:
	s_and_not1_saveexec_b32 s3, s3
; %bb.91:
	v_and_b32_e32 v3, 0xffff, v75
	v_or_b32_e32 v4, 0x10000, v75
	s_delay_alu instid0(VALU_DEP_2) | instskip(NEXT) | instid1(VALU_DEP_2)
	v_cmp_eq_u32_e32 vcc_lo, 0, v3
	v_cndmask_b32_e32 v3, v4, v75, vcc_lo
; %bb.92:
	s_or_b32 exec_lo, exec_lo, s3
	v_and_b32_e32 v4, 0x7f800000, v76
	s_delay_alu instid0(VALU_DEP_1) | instskip(SKIP_1) | instid1(SALU_CYCLE_1)
	v_cmp_ne_u32_e32 vcc_lo, 0x7f800000, v4
                                        ; implicit-def: $vgpr4
	s_and_saveexec_b32 s3, vcc_lo
	s_xor_b32 s3, exec_lo, s3
; %bb.93:
	v_bfe_u32 v4, v76, 16, 1
	s_delay_alu instid0(VALU_DEP_1)
	v_add3_u32 v4, v76, v4, 0x7fff
; %bb.94:
	s_and_not1_saveexec_b32 s3, s3
; %bb.95:
	v_and_b32_e32 v4, 0xffff, v76
	v_or_b32_e32 v5, 0x10000, v76
	s_delay_alu instid0(VALU_DEP_2) | instskip(NEXT) | instid1(VALU_DEP_2)
	v_cmp_eq_u32_e32 vcc_lo, 0, v4
	v_cndmask_b32_e32 v4, v5, v76, vcc_lo
; %bb.96:
	s_or_b32 exec_lo, exec_lo, s3
	v_and_b32_e32 v5, 0x7f800000, v77
	s_delay_alu instid0(VALU_DEP_1) | instskip(SKIP_1) | instid1(SALU_CYCLE_1)
	v_cmp_ne_u32_e32 vcc_lo, 0x7f800000, v5
                                        ; implicit-def: $vgpr5
	s_and_saveexec_b32 s3, vcc_lo
	s_xor_b32 s3, exec_lo, s3
; %bb.97:
	v_bfe_u32 v5, v77, 16, 1
	s_delay_alu instid0(VALU_DEP_1)
	v_add3_u32 v5, v77, v5, 0x7fff
; %bb.98:
	s_and_not1_saveexec_b32 s3, s3
; %bb.99:
	v_and_b32_e32 v5, 0xffff, v77
	v_or_b32_e32 v6, 0x10000, v77
	s_delay_alu instid0(VALU_DEP_2) | instskip(NEXT) | instid1(VALU_DEP_2)
	v_cmp_eq_u32_e32 vcc_lo, 0, v5
	v_cndmask_b32_e32 v5, v6, v77, vcc_lo
; %bb.100:
	s_or_b32 exec_lo, exec_lo, s3
	v_and_b32_e32 v6, 0x7f800000, v78
	s_delay_alu instid0(VALU_DEP_1) | instskip(SKIP_1) | instid1(SALU_CYCLE_1)
	v_cmp_ne_u32_e32 vcc_lo, 0x7f800000, v6
                                        ; implicit-def: $vgpr6
	s_and_saveexec_b32 s3, vcc_lo
	s_xor_b32 s3, exec_lo, s3
; %bb.101:
	v_bfe_u32 v6, v78, 16, 1
	s_delay_alu instid0(VALU_DEP_1)
	v_add3_u32 v6, v78, v6, 0x7fff
; %bb.102:
	s_and_not1_saveexec_b32 s3, s3
; %bb.103:
	v_and_b32_e32 v6, 0xffff, v78
	v_or_b32_e32 v7, 0x10000, v78
	s_delay_alu instid0(VALU_DEP_2) | instskip(NEXT) | instid1(VALU_DEP_2)
	v_cmp_eq_u32_e32 vcc_lo, 0, v6
	v_cndmask_b32_e32 v6, v7, v78, vcc_lo
; %bb.104:
	s_or_b32 exec_lo, exec_lo, s3
	v_and_b32_e32 v7, 0x7f800000, v79
	s_delay_alu instid0(VALU_DEP_1) | instskip(SKIP_1) | instid1(SALU_CYCLE_1)
	v_cmp_ne_u32_e32 vcc_lo, 0x7f800000, v7
                                        ; implicit-def: $vgpr7
	s_and_saveexec_b32 s3, vcc_lo
	s_xor_b32 s3, exec_lo, s3
; %bb.105:
	v_bfe_u32 v7, v79, 16, 1
	s_delay_alu instid0(VALU_DEP_1)
	v_add3_u32 v7, v79, v7, 0x7fff
; %bb.106:
	s_and_not1_saveexec_b32 s3, s3
; %bb.107:
	v_and_b32_e32 v7, 0xffff, v79
	v_or_b32_e32 v8, 0x10000, v79
	s_delay_alu instid0(VALU_DEP_2) | instskip(NEXT) | instid1(VALU_DEP_2)
	v_cmp_eq_u32_e32 vcc_lo, 0, v7
	v_cndmask_b32_e32 v7, v8, v79, vcc_lo
; %bb.108:
	s_or_b32 exec_lo, exec_lo, s3
	v_and_b32_e32 v8, 0x7f800000, v80
	s_delay_alu instid0(VALU_DEP_1) | instskip(SKIP_1) | instid1(SALU_CYCLE_1)
	v_cmp_ne_u32_e32 vcc_lo, 0x7f800000, v8
                                        ; implicit-def: $vgpr8
	s_and_saveexec_b32 s3, vcc_lo
	s_xor_b32 s3, exec_lo, s3
; %bb.109:
	v_bfe_u32 v8, v80, 16, 1
	s_delay_alu instid0(VALU_DEP_1)
	v_add3_u32 v8, v80, v8, 0x7fff
                                        ; implicit-def: $vgpr73_vgpr74_vgpr75_vgpr76_vgpr77_vgpr78_vgpr79_vgpr80
; %bb.110:
	s_and_not1_saveexec_b32 s3, s3
; %bb.111:
	v_and_b32_e32 v8, 0xffff, v80
	v_or_b32_e32 v9, 0x10000, v80
	s_delay_alu instid0(VALU_DEP_2) | instskip(NEXT) | instid1(VALU_DEP_2)
	v_cmp_eq_u32_e32 vcc_lo, 0, v8
	v_cndmask_b32_e32 v8, v9, v80, vcc_lo
; %bb.112:
	s_or_b32 exec_lo, exec_lo, s3
	s_delay_alu instid0(VALU_DEP_1)
	v_perm_b32 v7, v8, v7, 0x7060302
	v_perm_b32 v6, v6, v5, 0x7060302
	;; [unrolled: 1-line block ×4, first 2 shown]
	v_lshl_or_b32 v9, v83, 4, v90
	s_barrier
	buffer_gl0_inv
	v_cmp_eq_u32_e32 vcc_lo, 1, v87
	ds_store_b128 v9, v[4:7]
	s_waitcnt lgkmcnt(0)
	s_barrier
	buffer_gl0_inv
	ds_load_b128 v[1:4], v90
	ds_load_b128 v[5:8], v90 offset:16
	v_cmp_eq_u32_e64 s4, 2, v87
	v_cmp_eq_u32_e64 s3, 1, v88
	;; [unrolled: 1-line block ×5, first 2 shown]
	s_waitcnt lgkmcnt(1)
	v_lshrrev_b32_e32 v10, 16, v1
	s_waitcnt lgkmcnt(0)
	v_lshrrev_b32_e32 v14, 16, v5
	v_lshrrev_b32_e32 v15, 16, v6
	;; [unrolled: 1-line block ×4, first 2 shown]
	v_cndmask_b32_e64 v20, v1, v10, s3
	v_cndmask_b32_e32 v19, v5, v14, vcc_lo
	v_cndmask_b32_e64 v21, v5, v14, s3
	v_lshrrev_b32_e32 v16, 16, v7
	v_cmp_eq_u32_e64 s3, 1, v86
	v_lshrrev_b32_e32 v13, 16, v4
	v_cndmask_b32_e64 v19, v19, v6, s4
	v_lshrrev_b32_e32 v17, 16, v8
	s_delay_alu instid0(VALU_DEP_4) | instskip(SKIP_1) | instid1(VALU_DEP_4)
	v_cndmask_b32_e64 v22, v1, v10, s3
	v_cndmask_b32_e64 v23, v5, v14, s3
	;; [unrolled: 1-line block ×3, first 2 shown]
	v_cndmask_b32_e32 v18, v1, v10, vcc_lo
	v_cmp_eq_u32_e32 vcc_lo, 2, v88
	v_cmp_eq_u32_e64 s3, 2, v89
	v_cndmask_b32_e64 v22, v22, v2, s7
	v_cndmask_b32_e32 v20, v20, v2, vcc_lo
	v_cndmask_b32_e32 v21, v21, v6, vcc_lo
	v_cmp_eq_u32_e32 vcc_lo, 4, v87
	v_cndmask_b32_e32 v19, v19, v7, vcc_lo
	v_cndmask_b32_e64 v18, v18, v2, s4
	v_cmp_eq_u32_e64 s4, 3, v88
	s_delay_alu instid0(VALU_DEP_2) | instskip(NEXT) | instid1(VALU_DEP_2)
	v_cndmask_b32_e64 v18, v18, v11, s5
	v_cndmask_b32_e64 v21, v21, v15, s4
	v_cmp_eq_u32_e64 s5, 5, v87
	s_delay_alu instid0(VALU_DEP_3) | instskip(SKIP_1) | instid1(VALU_DEP_3)
	v_cndmask_b32_e32 v18, v18, v3, vcc_lo
	v_cmp_eq_u32_e32 vcc_lo, 4, v88
	v_cndmask_b32_e64 v19, v19, v16, s5
	s_delay_alu instid0(VALU_DEP_3) | instskip(SKIP_4) | instid1(VALU_DEP_3)
	v_cndmask_b32_e64 v18, v18, v12, s5
	v_cndmask_b32_e32 v21, v21, v7, vcc_lo
	v_cndmask_b32_e64 v20, v20, v11, s4
	v_cmp_eq_u32_e64 s4, 5, v88
	v_cmp_eq_u32_e64 s5, 6, v87
	v_cndmask_b32_e32 v20, v20, v3, vcc_lo
	s_delay_alu instid0(VALU_DEP_3) | instskip(SKIP_1) | instid1(VALU_DEP_4)
	v_cndmask_b32_e64 v21, v21, v16, s4
	v_cmp_eq_u32_e32 vcc_lo, 6, v88
	v_cndmask_b32_e64 v18, v18, v4, s5
	v_cndmask_b32_e64 v19, v19, v8, s5
	;; [unrolled: 1-line block ×3, first 2 shown]
	v_cmp_eq_u32_e64 s4, 1, v89
	v_cmp_eq_u32_e64 s5, 7, v87
	s_delay_alu instid0(VALU_DEP_3) | instskip(NEXT) | instid1(VALU_DEP_3)
	v_cndmask_b32_e32 v20, v20, v4, vcc_lo
	v_cndmask_b32_e64 v1, v1, v10, s4
	v_cndmask_b32_e64 v5, v5, v14, s4
	v_cmp_eq_u32_e64 s4, 3, v86
	v_cndmask_b32_e64 v14, v23, v6, s7
	v_cmp_eq_u32_e64 s7, 3, v89
	v_cndmask_b32_e64 v1, v1, v2, s3
	v_cndmask_b32_e64 v2, v5, v6, s3
	;; [unrolled: 1-line block ×3, first 2 shown]
	v_cmp_eq_u32_e64 s3, 4, v86
	v_cndmask_b32_e64 v6, v14, v15, s4
	v_cndmask_b32_e64 v1, v1, v11, s7
	v_cmp_eq_u32_e64 s4, 4, v89
	v_cndmask_b32_e64 v2, v2, v15, s7
	v_cndmask_b32_e64 v5, v10, v3, s3
	;; [unrolled: 3-line block ×3, first 2 shown]
	v_cndmask_b32_e64 v2, v2, v7, s4
	v_cmp_eq_u32_e64 s3, 5, v89
	v_cndmask_b32_e64 v5, v5, v12, s7
	v_cmp_eq_u32_e64 s4, 6, v86
	;; [unrolled: 2-line block ×3, first 2 shown]
	v_cndmask_b32_e64 v1, v1, v12, s3
	v_cndmask_b32_e64 v2, v2, v16, s3
	;; [unrolled: 1-line block ×4, first 2 shown]
	v_cmp_eq_u32_e64 s3, 7, v89
	v_cndmask_b32_e64 v1, v1, v4, s7
	v_cndmask_b32_e64 v2, v2, v8, s7
	v_cmp_eq_u32_e64 s4, 7, v86
	v_cndmask_b32_e32 v4, v21, v8, vcc_lo
	v_cndmask_b32_e64 v18, v18, v13, s5
	v_cndmask_b32_e64 v20, v20, v13, s6
	;; [unrolled: 1-line block ×8, first 2 shown]
	s_mov_b32 s3, exec_lo
	v_perm_b32 v4, v2, v1, 0x5040100
	v_perm_b32 v3, v3, v5, 0x5040100
	;; [unrolled: 1-line block ×4, first 2 shown]
	ds_store_b128 v9, v[1:4]
	s_waitcnt lgkmcnt(0)
	s_barrier
	buffer_gl0_inv
	v_cmpx_gt_u32_e32 32, v0
	s_cbranch_execz .LBB722_2
; %bb.113:
	s_load_b64 s[4:5], s[0:1], 0x68
	v_lshlrev_b32_e32 v0, 10, v0
	v_lshlrev_b32_e32 v1, 4, v84
	s_lshl_b32 s0, s34, 7
	v_add_nc_u32_e32 v18, s31, v83
	s_mul_i32 s1, s0, s30
	s_delay_alu instid0(VALU_DEP_2) | instskip(SKIP_1) | instid1(VALU_DEP_2)
	v_and_or_b32 v0, 0x3800, v0, v1
	s_mul_i32 s6, s1, s8
	v_mul_lo_u32 v1, v18, s0
	s_ashr_i32 s7, s6, 31
	v_add_nc_u32_e32 v2, 2, v18
	v_lshl_or_b32 v19, v83, 6, v0
	s_lshl_b64 s[6:7], s[6:7], 1
	v_add_nc_u32_e32 v8, 4, v18
	v_add_nc_u32_e32 v15, 6, v18
	v_mul_lo_u32 v7, v2, s0
	ds_load_b128 v[3:6], v19
	v_ashrrev_i32_e32 v2, 31, v1
	v_mul_lo_u32 v11, v8, s0
	s_waitcnt lgkmcnt(0)
	s_add_u32 s1, s4, s6
	s_addc_u32 s3, s5, s7
	s_lshl_b32 s4, s14, 7
	v_lshlrev_b64 v[9:10], 1, v[1:2]
	s_ashr_i32 s5, s4, 31
	v_ashrrev_i32_e32 v8, 31, v7
	s_lshl_b64 s[4:5], s[4:5], 1
	v_ashrrev_i32_e32 v12, 31, v11
	s_add_u32 s1, s1, s4
	s_addc_u32 s3, s3, s5
	v_add_co_u32 v1, vcc_lo, s1, v81
	v_add_co_ci_u32_e32 v2, vcc_lo, s3, v82, vcc_lo
	v_mul_lo_u32 v15, v15, s0
	s_delay_alu instid0(VALU_DEP_3) | instskip(NEXT) | instid1(VALU_DEP_3)
	v_add_co_u32 v13, vcc_lo, v1, v9
	v_add_co_ci_u32_e32 v14, vcc_lo, v2, v10, vcc_lo
	v_lshlrev_b64 v[16:17], 1, v[7:8]
	ds_load_b128 v[7:10], v19 offset:128
	global_store_b128 v[13:14], v[3:6], off
	v_add_nc_u32_e32 v5, 8, v18
	v_lshlrev_b64 v[3:4], 1, v[11:12]
	v_add_co_u32 v23, vcc_lo, v1, v16
	v_ashrrev_i32_e32 v16, 31, v15
	s_delay_alu instid0(VALU_DEP_4) | instskip(SKIP_3) | instid1(VALU_DEP_3)
	v_mul_lo_u32 v25, v5, s0
	v_add_nc_u32_e32 v5, 10, v18
	v_add_co_ci_u32_e32 v24, vcc_lo, v2, v17, vcc_lo
	v_add_co_u32 v27, vcc_lo, v1, v3
	v_mul_lo_u32 v29, v5, s0
	v_add_co_ci_u32_e32 v28, vcc_lo, v2, v4, vcc_lo
	v_lshlrev_b64 v[31:32], 1, v[15:16]
	ds_load_b128 v[3:6], v19 offset:256
	ds_load_b128 v[11:14], v19 offset:384
	;; [unrolled: 1-line block ×4, first 2 shown]
	v_ashrrev_i32_e32 v26, 31, v25
	v_ashrrev_i32_e32 v30, 31, v29
	v_add_co_u32 v31, vcc_lo, v1, v31
	s_delay_alu instid0(VALU_DEP_3) | instskip(SKIP_1) | instid1(VALU_DEP_4)
	v_lshlrev_b64 v[25:26], 1, v[25:26]
	v_add_co_ci_u32_e32 v32, vcc_lo, v2, v32, vcc_lo
	v_lshlrev_b64 v[29:30], 1, v[29:30]
	s_delay_alu instid0(VALU_DEP_3) | instskip(NEXT) | instid1(VALU_DEP_4)
	v_add_co_u32 v25, vcc_lo, v1, v25
	v_add_co_ci_u32_e32 v26, vcc_lo, v2, v26, vcc_lo
	s_delay_alu instid0(VALU_DEP_3) | instskip(NEXT) | instid1(VALU_DEP_4)
	v_add_co_u32 v29, vcc_lo, v1, v29
	v_add_co_ci_u32_e32 v30, vcc_lo, v2, v30, vcc_lo
	s_waitcnt lgkmcnt(4)
	global_store_b128 v[23:24], v[7:10], off
	s_waitcnt lgkmcnt(3)
	global_store_b128 v[27:28], v[3:6], off
	;; [unrolled: 2-line block ×5, first 2 shown]
	s_and_b32 exec_lo, exec_lo, s2
	s_cbranch_execz .LBB722_2
; %bb.114:
	ds_load_b128 v[3:6], v0 offset:768
	s_add_i32 s1, s31, 12
	s_delay_alu instid0(SALU_CYCLE_1) | instskip(NEXT) | instid1(SALU_CYCLE_1)
	s_mul_i32 s0, s1, s0
	s_ashr_i32 s1, s0, 31
	s_delay_alu instid0(SALU_CYCLE_1) | instskip(NEXT) | instid1(SALU_CYCLE_1)
	s_lshl_b64 s[0:1], s[0:1], 1
	v_add_co_u32 v0, vcc_lo, v1, s0
	v_add_co_ci_u32_e32 v1, vcc_lo, s1, v2, vcc_lo
	s_waitcnt lgkmcnt(0)
	global_store_b128 v[0:1], v[3:6], off
	s_nop 0
	s_sendmsg sendmsg(MSG_DEALLOC_VGPRS)
	s_endpgm
	.section	.rodata,"a",@progbits
	.p2align	6, 0x0
	.amdhsa_kernel _Z39paged_attention_ll4mi_QKV_mfma16_kernelI14__hip_bfloat16S0_LN4vllm18Fp8KVCacheDataTypeE0EhLi32ELi128ELi256ELb0ELi13EL8MFMAType0EEvPKT_PKT0_S9_ifPKiSB_SB_iPKfiiiPfSE_PS4_PT2_iSD_SD_
		.amdhsa_group_segment_fixed_size 17472
		.amdhsa_private_segment_fixed_size 0
		.amdhsa_kernarg_size 400
		.amdhsa_user_sgpr_count 13
		.amdhsa_user_sgpr_dispatch_ptr 0
		.amdhsa_user_sgpr_queue_ptr 0
		.amdhsa_user_sgpr_kernarg_segment_ptr 1
		.amdhsa_user_sgpr_dispatch_id 0
		.amdhsa_user_sgpr_private_segment_size 0
		.amdhsa_wavefront_size32 1
		.amdhsa_uses_dynamic_stack 0
		.amdhsa_enable_private_segment 0
		.amdhsa_system_sgpr_workgroup_id_x 1
		.amdhsa_system_sgpr_workgroup_id_y 1
		.amdhsa_system_sgpr_workgroup_id_z 1
		.amdhsa_system_sgpr_workgroup_info 0
		.amdhsa_system_vgpr_workitem_id 0
		.amdhsa_next_free_vgpr 157
		.amdhsa_next_free_sgpr 38
		.amdhsa_reserve_vcc 1
		.amdhsa_float_round_mode_32 0
		.amdhsa_float_round_mode_16_64 0
		.amdhsa_float_denorm_mode_32 3
		.amdhsa_float_denorm_mode_16_64 3
		.amdhsa_dx10_clamp 1
		.amdhsa_ieee_mode 1
		.amdhsa_fp16_overflow 0
		.amdhsa_workgroup_processor_mode 1
		.amdhsa_memory_ordered 1
		.amdhsa_forward_progress 0
		.amdhsa_shared_vgpr_count 0
		.amdhsa_exception_fp_ieee_invalid_op 0
		.amdhsa_exception_fp_denorm_src 0
		.amdhsa_exception_fp_ieee_div_zero 0
		.amdhsa_exception_fp_ieee_overflow 0
		.amdhsa_exception_fp_ieee_underflow 0
		.amdhsa_exception_fp_ieee_inexact 0
		.amdhsa_exception_int_div_zero 0
	.end_amdhsa_kernel
	.section	.text._Z39paged_attention_ll4mi_QKV_mfma16_kernelI14__hip_bfloat16S0_LN4vllm18Fp8KVCacheDataTypeE0EhLi32ELi128ELi256ELb0ELi13EL8MFMAType0EEvPKT_PKT0_S9_ifPKiSB_SB_iPKfiiiPfSE_PS4_PT2_iSD_SD_,"axG",@progbits,_Z39paged_attention_ll4mi_QKV_mfma16_kernelI14__hip_bfloat16S0_LN4vllm18Fp8KVCacheDataTypeE0EhLi32ELi128ELi256ELb0ELi13EL8MFMAType0EEvPKT_PKT0_S9_ifPKiSB_SB_iPKfiiiPfSE_PS4_PT2_iSD_SD_,comdat
.Lfunc_end722:
	.size	_Z39paged_attention_ll4mi_QKV_mfma16_kernelI14__hip_bfloat16S0_LN4vllm18Fp8KVCacheDataTypeE0EhLi32ELi128ELi256ELb0ELi13EL8MFMAType0EEvPKT_PKT0_S9_ifPKiSB_SB_iPKfiiiPfSE_PS4_PT2_iSD_SD_, .Lfunc_end722-_Z39paged_attention_ll4mi_QKV_mfma16_kernelI14__hip_bfloat16S0_LN4vllm18Fp8KVCacheDataTypeE0EhLi32ELi128ELi256ELb0ELi13EL8MFMAType0EEvPKT_PKT0_S9_ifPKiSB_SB_iPKfiiiPfSE_PS4_PT2_iSD_SD_
                                        ; -- End function
	.section	.AMDGPU.csdata,"",@progbits
; Kernel info:
; codeLenInByte = 9960
; NumSgprs: 40
; NumVgprs: 157
; ScratchSize: 0
; MemoryBound: 0
; FloatMode: 240
; IeeeMode: 1
; LDSByteSize: 17472 bytes/workgroup (compile time only)
; SGPRBlocks: 4
; VGPRBlocks: 19
; NumSGPRsForWavesPerEU: 40
; NumVGPRsForWavesPerEU: 157
; Occupancy: 9
; WaveLimiterHint : 1
; COMPUTE_PGM_RSRC2:SCRATCH_EN: 0
; COMPUTE_PGM_RSRC2:USER_SGPR: 13
; COMPUTE_PGM_RSRC2:TRAP_HANDLER: 0
; COMPUTE_PGM_RSRC2:TGID_X_EN: 1
; COMPUTE_PGM_RSRC2:TGID_Y_EN: 1
; COMPUTE_PGM_RSRC2:TGID_Z_EN: 1
; COMPUTE_PGM_RSRC2:TIDIG_COMP_CNT: 0
	.section	.text._Z39paged_attention_ll4mi_QKV_mfma16_kernelI14__hip_bfloat16S0_LN4vllm18Fp8KVCacheDataTypeE0EhLi32ELi128ELi256ELb0ELi14EL8MFMAType0EEvPKT_PKT0_S9_ifPKiSB_SB_iPKfiiiPfSE_PS4_PT2_iSD_SD_,"axG",@progbits,_Z39paged_attention_ll4mi_QKV_mfma16_kernelI14__hip_bfloat16S0_LN4vllm18Fp8KVCacheDataTypeE0EhLi32ELi128ELi256ELb0ELi14EL8MFMAType0EEvPKT_PKT0_S9_ifPKiSB_SB_iPKfiiiPfSE_PS4_PT2_iSD_SD_,comdat
	.protected	_Z39paged_attention_ll4mi_QKV_mfma16_kernelI14__hip_bfloat16S0_LN4vllm18Fp8KVCacheDataTypeE0EhLi32ELi128ELi256ELb0ELi14EL8MFMAType0EEvPKT_PKT0_S9_ifPKiSB_SB_iPKfiiiPfSE_PS4_PT2_iSD_SD_ ; -- Begin function _Z39paged_attention_ll4mi_QKV_mfma16_kernelI14__hip_bfloat16S0_LN4vllm18Fp8KVCacheDataTypeE0EhLi32ELi128ELi256ELb0ELi14EL8MFMAType0EEvPKT_PKT0_S9_ifPKiSB_SB_iPKfiiiPfSE_PS4_PT2_iSD_SD_
	.globl	_Z39paged_attention_ll4mi_QKV_mfma16_kernelI14__hip_bfloat16S0_LN4vllm18Fp8KVCacheDataTypeE0EhLi32ELi128ELi256ELb0ELi14EL8MFMAType0EEvPKT_PKT0_S9_ifPKiSB_SB_iPKfiiiPfSE_PS4_PT2_iSD_SD_
	.p2align	8
	.type	_Z39paged_attention_ll4mi_QKV_mfma16_kernelI14__hip_bfloat16S0_LN4vllm18Fp8KVCacheDataTypeE0EhLi32ELi128ELi256ELb0ELi14EL8MFMAType0EEvPKT_PKT0_S9_ifPKiSB_SB_iPKfiiiPfSE_PS4_PT2_iSD_SD_,@function
_Z39paged_attention_ll4mi_QKV_mfma16_kernelI14__hip_bfloat16S0_LN4vllm18Fp8KVCacheDataTypeE0EhLi32ELi128ELi256ELb0ELi14EL8MFMAType0EEvPKT_PKT0_S9_ifPKiSB_SB_iPKfiiiPfSE_PS4_PT2_iSD_SD_: ; @_Z39paged_attention_ll4mi_QKV_mfma16_kernelI14__hip_bfloat16S0_LN4vllm18Fp8KVCacheDataTypeE0EhLi32ELi128ELi256ELb0ELi14EL8MFMAType0EEvPKT_PKT0_S9_ifPKiSB_SB_iPKfiiiPfSE_PS4_PT2_iSD_SD_
; %bb.0:
	s_load_b64 s[2:3], s[0:1], 0x30
	s_mov_b32 s30, s13
	s_waitcnt lgkmcnt(0)
	s_cmp_lg_u64 s[2:3], 0
	s_cselect_b32 s6, -1, 0
	s_ashr_i32 s31, s13, 31
	s_cmp_eq_u64 s[2:3], 0
	s_cbranch_scc1 .LBB723_3
; %bb.1:
	s_lshl_b64 s[4:5], s[30:31], 2
	s_delay_alu instid0(SALU_CYCLE_1) | instskip(SKIP_4) | instid1(SALU_CYCLE_1)
	s_add_u32 s4, s2, s4
	s_addc_u32 s5, s3, s5
	s_load_b64 s[4:5], s[4:5], 0x0
	s_waitcnt lgkmcnt(0)
	s_sub_i32 s4, s5, s4
	s_cmp_eq_u32 s4, 1
	s_cselect_b32 s4, -1, 0
	s_delay_alu instid0(SALU_CYCLE_1)
	s_and_not1_b32 vcc_lo, exec_lo, s4
	s_cbranch_vccz .LBB723_4
.LBB723_2:
	s_endpgm
.LBB723_3:
.LBB723_4:
	s_load_b64 s[8:9], s[0:1], 0x28
	s_lshl_b64 s[4:5], s[30:31], 2
	s_waitcnt lgkmcnt(0)
	s_add_u32 s8, s8, s4
	s_addc_u32 s9, s9, s5
	s_lshl_b32 s12, s14, 8
	s_load_b32 s17, s[8:9], 0x0
	s_waitcnt lgkmcnt(0)
	s_cmp_ge_i32 s12, s17
	s_cbranch_scc1 .LBB723_2
; %bb.5:
	s_and_not1_b32 vcc_lo, exec_lo, s6
	s_cbranch_vccnz .LBB723_7
; %bb.6:
	s_add_u32 s2, s2, s4
	s_addc_u32 s3, s3, s5
	s_load_b32 s13, s[2:3], 0x0
	s_branch .LBB723_8
.LBB723_7:
	s_mov_b32 s13, s30
.LBB723_8:
	s_clause 0x2
	s_load_b128 s[8:11], s[0:1], 0x8
	s_load_b64 s[2:3], s[0:1], 0x20
	s_load_b128 s[4:7], s[0:1], 0x48
	v_and_b32_e32 v73, 15, v0
	s_waitcnt lgkmcnt(0)
	s_mov_b32 s7, exec_lo
	s_delay_alu instid0(VALU_DEP_1)
	v_lshlrev_b32_e32 v1, 3, v73
	v_cmpx_lt_u32_e32 0xdf, v0
	s_xor_b32 s7, exec_lo, s7
; %bb.9:
	v_mov_b32_e32 v2, 0
; %bb.10:
	s_or_saveexec_b32 s7, s7
	v_lshrrev_b32_e32 v74, 5, v0
	v_and_b32_e32 v75, 31, v0
	v_and_b32_e32 v84, 1, v0
	v_bfe_u32 v83, v0, 4, 1
	s_mul_i32 s29, s15, 14
	s_xor_b32 exec_lo, exec_lo, s7
	s_cbranch_execz .LBB723_12
; %bb.11:
	s_load_b64 s[18:19], s[0:1], 0x0
	v_lshl_or_b32 v7, v74, 1, v83
	s_mul_hi_i32 s21, s13, s4
	s_mul_i32 s20, s13, s4
	v_lshlrev_b32_e32 v4, 1, v1
	s_lshl_b64 s[20:21], s[20:21], 1
	v_add_lshl_u32 v2, v7, s29, 7
	v_lshlrev_b32_e32 v7, 6, v7
	v_lshlrev_b32_e32 v8, 10, v84
	s_delay_alu instid0(VALU_DEP_3) | instskip(NEXT) | instid1(VALU_DEP_1)
	v_ashrrev_i32_e32 v3, 31, v2
	v_lshlrev_b64 v[2:3], 1, v[2:3]
	s_waitcnt lgkmcnt(0)
	s_add_u32 s4, s18, s20
	s_addc_u32 s13, s19, s21
	s_delay_alu instid0(VALU_DEP_1) | instskip(NEXT) | instid1(VALU_DEP_2)
	v_add_co_u32 v2, vcc_lo, s4, v2
	v_add_co_ci_u32_e32 v3, vcc_lo, s13, v3, vcc_lo
	s_delay_alu instid0(VALU_DEP_2) | instskip(NEXT) | instid1(VALU_DEP_2)
	v_add_co_u32 v2, vcc_lo, v2, v4
	v_add_co_ci_u32_e32 v3, vcc_lo, 0, v3, vcc_lo
	global_load_b128 v[3:6], v[2:3], off
	v_lshlrev_b32_e32 v2, 10, v73
	s_delay_alu instid0(VALU_DEP_1) | instskip(NEXT) | instid1(VALU_DEP_1)
	v_and_b32_e32 v2, 0x3800, v2
	v_or3_b32 v7, v2, v8, v7
	v_mov_b32_e32 v2, 0
	s_waitcnt vmcnt(0)
	ds_store_b128 v7, v[3:6]
.LBB723_12:
	s_or_b32 exec_lo, exec_lo, s7
	v_add_nc_u32_e32 v80, -14, v73
	v_and_b32_e32 v3, 0xef, v0
	s_add_i32 s4, s17, 31
	s_clause 0x1
	s_load_b32 s7, s[0:1], 0x38
	s_load_b32 s18, s[0:1], 0x1c
	s_ashr_i32 s13, s4, 31
	v_add_nc_u32_e32 v3, s12, v3
	s_lshr_b32 s13, s13, 27
	s_waitcnt lgkmcnt(0)
	s_add_i32 s4, s4, s13
	s_barrier
	v_ashrrev_i32_e32 v4, 31, v3
	v_cmp_gt_i32_e32 vcc_lo, s17, v3
	s_ashr_i32 s4, s4, 5
	buffer_gl0_inv
	s_add_i32 s4, s4, -1
	v_lshrrev_b32_e32 v5, 27, v4
	v_or_b32_e32 v4, 16, v3
	v_lshlrev_b64 v[81:82], 1, v[1:2]
	s_delay_alu instid0(VALU_DEP_3) | instskip(NEXT) | instid1(VALU_DEP_3)
	v_add_nc_u32_e32 v6, v3, v5
	v_add_nc_u32_e32 v5, v4, v5
	s_mul_i32 s20, s30, s7
	s_delay_alu instid0(SALU_CYCLE_1) | instskip(NEXT) | instid1(VALU_DEP_2)
	s_ashr_i32 s21, s20, 31
	v_ashrrev_i32_e32 v6, 5, v6
	s_delay_alu instid0(VALU_DEP_2) | instskip(SKIP_1) | instid1(SALU_CYCLE_1)
	v_ashrrev_i32_e32 v5, 5, v5
	s_lshl_b64 s[20:21], s[20:21], 2
	s_add_u32 s7, s2, s20
	s_delay_alu instid0(VALU_DEP_2) | instskip(SKIP_3) | instid1(VALU_DEP_2)
	v_cndmask_b32_e32 v3, s4, v6, vcc_lo
	v_cmp_gt_i32_e32 vcc_lo, s17, v4
	s_addc_u32 s13, s3, s21
	s_mul_i32 s2, s15, s6
	v_ashrrev_i32_e32 v4, 31, v3
	v_cndmask_b32_e32 v5, s4, v5, vcc_lo
	s_ashr_i32 s3, s2, 31
	s_delay_alu instid0(SALU_CYCLE_1) | instskip(NEXT) | instid1(VALU_DEP_2)
	s_lshl_b64 s[2:3], s[2:3], 1
	v_lshlrev_b64 v[3:4], 2, v[3:4]
	s_delay_alu instid0(VALU_DEP_2) | instskip(SKIP_3) | instid1(VALU_DEP_1)
	v_ashrrev_i32_e32 v6, 31, v5
	s_add_u32 s6, s8, s2
	s_addc_u32 s15, s9, s3
	s_lshl_b32 s8, s14, 3
	v_lshlrev_b64 v[5:6], 2, v[5:6]
	v_add_co_u32 v3, vcc_lo, s7, v3
	v_add_co_ci_u32_e32 v4, vcc_lo, s13, v4, vcc_lo
	s_ashr_i32 s9, s8, 31
	s_delay_alu instid0(VALU_DEP_3) | instskip(NEXT) | instid1(VALU_DEP_4)
	v_add_co_u32 v5, vcc_lo, s7, v5
	v_add_co_ci_u32_e32 v6, vcc_lo, s13, v6, vcc_lo
	s_clause 0x1
	global_load_b32 v7, v[3:4], off
	global_load_b32 v8, v[5:6], off
	s_lshl_b64 s[8:9], s[8:9], 2
	s_delay_alu instid0(SALU_CYCLE_1) | instskip(SKIP_2) | instid1(SALU_CYCLE_1)
	s_add_u32 s8, s7, s8
	s_addc_u32 s9, s13, s9
	s_or_b32 s16, s12, 32
	s_ashr_i32 s19, s16, 5
	s_cmp_lt_i32 s16, s17
	s_cselect_b32 s20, s19, s4
	s_delay_alu instid0(SALU_CYCLE_1) | instskip(NEXT) | instid1(SALU_CYCLE_1)
	s_ashr_i32 s21, s20, 31
	s_lshl_b64 s[20:21], s[20:21], 2
	s_delay_alu instid0(SALU_CYCLE_1) | instskip(SKIP_2) | instid1(SALU_CYCLE_1)
	s_add_u32 s20, s7, s20
	s_addc_u32 s21, s13, s21
	s_or_b32 s16, s12, 64
	s_ashr_i32 s19, s16, 5
	s_cmp_lt_i32 s16, s17
	s_cselect_b32 s22, s19, s4
	s_delay_alu instid0(SALU_CYCLE_1) | instskip(NEXT) | instid1(SALU_CYCLE_1)
	s_ashr_i32 s23, s22, 31
	;; [unrolled: 10-line block ×5, first 2 shown]
	s_lshl_b64 s[34:35], s[34:35], 2
	s_delay_alu instid0(SALU_CYCLE_1)
	s_add_u32 s34, s7, s34
	s_addc_u32 s35, s13, s35
	s_clause 0x5
	s_load_b32 s16, s[8:9], 0x0
	s_load_b32 s19, s[20:21], 0x0
	;; [unrolled: 1-line block ×6, first 2 shown]
	s_mov_b32 s20, 0
	s_delay_alu instid0(SALU_CYCLE_1)
	s_mov_b32 s27, s20
	s_mov_b32 s24, s20
	;; [unrolled: 1-line block ×7, first 2 shown]
	v_dual_mov_b32 v108, s27 :: v_dual_mov_b32 v105, s24
	v_dual_mov_b32 v107, s26 :: v_dual_mov_b32 v106, s25
	;; [unrolled: 1-line block ×4, first 2 shown]
	s_waitcnt lgkmcnt(0)
	s_mul_hi_i32 s21, s16, s5
	s_mul_i32 s20, s16, s5
	s_mul_hi_i32 s23, s19, s5
	s_mul_i32 s22, s19, s5
	;; [unrolled: 2-line block ×5, first 2 shown]
	s_waitcnt vmcnt(1)
	v_mad_i64_i32 v[3:4], null, v7, s5, 0
	s_waitcnt vmcnt(0)
	v_mad_i64_i32 v[5:6], null, v8, s5, 0
	s_delay_alu instid0(VALU_DEP_2) | instskip(NEXT) | instid1(VALU_DEP_2)
	v_lshlrev_b64 v[3:4], 1, v[3:4]
	v_lshlrev_b64 v[1:2], 1, v[5:6]
	s_delay_alu instid0(VALU_DEP_2) | instskip(NEXT) | instid1(VALU_DEP_3)
	v_add_co_u32 v3, vcc_lo, s6, v3
	v_add_co_ci_u32_e32 v4, vcc_lo, s15, v4, vcc_lo
	s_delay_alu instid0(VALU_DEP_3) | instskip(NEXT) | instid1(VALU_DEP_4)
	v_add_co_u32 v1, vcc_lo, s6, v1
	v_add_co_ci_u32_e32 v2, vcc_lo, s15, v2, vcc_lo
	s_delay_alu instid0(VALU_DEP_4) | instskip(NEXT) | instid1(VALU_DEP_4)
	v_add_co_u32 v65, vcc_lo, v3, v81
	v_add_co_ci_u32_e32 v66, vcc_lo, v4, v82, vcc_lo
	s_delay_alu instid0(VALU_DEP_4) | instskip(NEXT) | instid1(VALU_DEP_4)
	v_add_co_u32 v76, vcc_lo, v1, v81
	v_add_co_ci_u32_e32 v77, vcc_lo, v2, v82, vcc_lo
	s_clause 0xf
	global_load_b128 v[1:4], v[65:66], off
	global_load_b128 v[5:8], v[65:66], off offset:512
	global_load_b128 v[9:12], v[76:77], off offset:256
	;; [unrolled: 1-line block ×15, first 2 shown]
	v_add_co_u32 v78, vcc_lo, 0x1000, v65
	v_add_co_ci_u32_e32 v79, vcc_lo, 0, v66, vcc_lo
	v_cmp_gt_u32_e32 vcc_lo, 14, v73
	s_clause 0x1
	global_load_b128 v[65:68], v[78:79], off
	global_load_b128 v[69:72], v[78:79], off offset:512
	s_or_b32 s6, s12, 0xc0
	v_cndmask_b32_e32 v80, v80, v73, vcc_lo
	v_add_co_u32 v76, vcc_lo, 0x1000, v76
	v_add_co_ci_u32_e32 v77, vcc_lo, 0, v77, vcc_lo
	s_delay_alu instid0(VALU_DEP_3)
	v_lshlrev_b32_e32 v80, 6, v80
	ds_load_b128 v[85:88], v80
	ds_load_b128 v[89:92], v80 offset:1024
	s_clause 0x1
	global_load_b128 v[93:96], v[76:77], off offset:256
	global_load_b128 v[97:100], v[76:77], off offset:768
	ds_load_b128 v[109:112], v80 offset:2048
	ds_load_b128 v[113:116], v80 offset:3072
	s_ashr_i32 s8, s6, 5
	s_cmp_lt_i32 s6, s17
	s_cselect_b32 s8, s8, s4
	s_delay_alu instid0(SALU_CYCLE_1) | instskip(NEXT) | instid1(SALU_CYCLE_1)
	s_ashr_i32 s9, s8, 31
	s_lshl_b64 s[8:9], s[8:9], 2
	s_delay_alu instid0(SALU_CYCLE_1) | instskip(SKIP_2) | instid1(SALU_CYCLE_1)
	s_add_u32 s8, s7, s8
	s_addc_u32 s9, s13, s9
	s_or_b32 s6, s12, 0xe0
	s_ashr_i32 s15, s6, 5
	s_cmp_lt_i32 s6, s17
	s_cselect_b32 s24, s15, s4
	s_delay_alu instid0(SALU_CYCLE_1) | instskip(NEXT) | instid1(SALU_CYCLE_1)
	s_ashr_i32 s25, s24, 31
	s_lshl_b64 s[24:25], s[24:25], 2
	s_delay_alu instid0(SALU_CYCLE_1) | instskip(SKIP_2) | instid1(SALU_CYCLE_1)
	s_add_u32 s24, s7, s24
	s_addc_u32 s25, s13, s25
	s_add_i32 s6, s12, 0x100
	s_ashr_i32 s15, s6, 5
	s_cmp_lt_i32 s6, s17
	s_cselect_b32 s36, s15, s4
	s_delay_alu instid0(SALU_CYCLE_1) | instskip(NEXT) | instid1(SALU_CYCLE_1)
	s_ashr_i32 s37, s36, 31
	s_lshl_b64 s[36:37], s[36:37], 2
	s_delay_alu instid0(SALU_CYCLE_1)
	s_add_u32 s6, s7, s36
	s_addc_u32 s7, s13, s37
	s_add_u32 s4, s10, s2
	s_addc_u32 s19, s11, s3
	s_lshl_b64 s[2:3], s[20:21], 1
	s_lshl_b64 s[10:11], s[26:27], 1
	;; [unrolled: 1-line block ×3, first 2 shown]
	s_waitcnt vmcnt(18) lgkmcnt(2)
	v_wmma_f32_16x16x16_bf16 v[117:124], v[1:8], v[85:92], v[101:108]
	s_waitcnt vmcnt(16)
	v_wmma_f32_16x16x16_bf16 v[101:108], v[9:16], v[85:92], v[101:108]
	s_clause 0x3
	global_load_b128 v[1:4], v[78:79], off offset:1024
	global_load_b128 v[5:8], v[78:79], off offset:1536
	;; [unrolled: 1-line block ×4, first 2 shown]
	s_waitcnt vmcnt(18) lgkmcnt(0)
	v_wmma_f32_16x16x16_bf16 v[117:124], v[17:24], v[109:116], v[117:124]
	s_clause 0x1
	global_load_b128 v[17:20], v[78:79], off offset:2048
	global_load_b128 v[21:24], v[78:79], off offset:2560
	s_waitcnt vmcnt(18)
	v_wmma_f32_16x16x16_bf16 v[101:108], v[25:32], v[109:116], v[101:108]
	ds_load_b128 v[25:28], v80 offset:4096
	ds_load_b128 v[29:32], v80 offset:5120
	s_clause 0x5
	global_load_b128 v[109:112], v[76:77], off offset:2304
	global_load_b128 v[113:116], v[76:77], off offset:2816
	;; [unrolled: 1-line block ×6, first 2 shown]
	s_waitcnt vmcnt(22) lgkmcnt(0)
	v_wmma_f32_16x16x16_bf16 v[117:124], v[33:40], v[25:32], v[117:124]
	s_waitcnt vmcnt(20)
	v_wmma_f32_16x16x16_bf16 v[101:108], v[41:48], v[25:32], v[101:108]
	ds_load_b128 v[25:28], v80 offset:6144
	ds_load_b128 v[29:32], v80 offset:7168
	;; [unrolled: 1-line block ×4, first 2 shown]
	s_waitcnt vmcnt(18) lgkmcnt(2)
	v_wmma_f32_16x16x16_bf16 v[117:124], v[49:56], v[25:32], v[117:124]
	s_waitcnt vmcnt(16)
	v_wmma_f32_16x16x16_bf16 v[101:108], v[57:64], v[25:32], v[101:108]
	ds_load_b128 v[25:28], v80 offset:10240
	ds_load_b128 v[29:32], v80 offset:11264
	;; [unrolled: 1-line block ×6, first 2 shown]
	s_waitcnt vmcnt(14) lgkmcnt(6)
	v_wmma_f32_16x16x16_bf16 v[117:124], v[65:72], v[33:40], v[117:124]
	s_waitcnt vmcnt(12)
	v_wmma_f32_16x16x16_bf16 v[101:108], v[93:100], v[33:40], v[101:108]
	s_clause 0x2
	s_load_b32 s16, s[8:9], 0x0
	s_load_b32 s13, s[24:25], 0x0
	;; [unrolled: 1-line block ×3, first 2 shown]
	s_lshl_b64 s[6:7], s[22:23], 1
	s_mul_hi_i32 s9, s33, s5
	s_mul_i32 s8, s33, s5
	s_lshl_b64 s[22:23], s[38:39], 1
	s_lshl_b64 s[8:9], s[8:9], 1
	s_waitcnt lgkmcnt(0)
	s_mul_hi_i32 s25, s16, s5
	s_mul_i32 s24, s16, s5
	s_waitcnt vmcnt(10)
	v_wmma_f32_16x16x16_bf16 v[117:124], v[1:8], v[25:32], v[117:124]
	s_waitcnt vmcnt(8)
	v_wmma_f32_16x16x16_bf16 v[101:108], v[9:16], v[25:32], v[101:108]
	s_waitcnt vmcnt(6)
	s_delay_alu instid0(VALU_DEP_2) | instskip(SKIP_1) | instid1(VALU_DEP_2)
	v_wmma_f32_16x16x16_bf16 v[117:124], v[17:24], v[141:148], v[117:124]
	s_waitcnt vmcnt(4)
	v_wmma_f32_16x16x16_bf16 v[101:108], v[109:116], v[141:148], v[101:108]
	s_waitcnt vmcnt(2)
	s_delay_alu instid0(VALU_DEP_2) | instskip(SKIP_3) | instid1(VALU_DEP_3)
	v_wmma_f32_16x16x16_bf16 v[117:124], v[125:132], v[149:156], v[117:124]
	v_lshlrev_b32_e32 v85, 6, v73
	s_waitcnt vmcnt(0)
	v_wmma_f32_16x16x16_bf16 v[101:108], v[133:140], v[149:156], v[101:108]
	v_mul_f32_e32 v100, s18, v124
	s_delay_alu instid0(VALU_DEP_3) | instskip(SKIP_2) | instid1(VALU_DEP_3)
	v_lshl_or_b32 v41, v74, 10, v85
	v_mul_f32_e32 v99, s18, v118
	v_mul_f32_e32 v97, s18, v117
	v_add_co_u32 v76, s4, s4, v41
	s_delay_alu instid0(VALU_DEP_1) | instskip(NEXT) | instid1(VALU_DEP_2)
	v_add_co_ci_u32_e64 v77, null, s19, 0, s4
	v_add_co_u32 v41, vcc_lo, v76, s2
	s_delay_alu instid0(VALU_DEP_2)
	v_add_co_ci_u32_e32 v42, vcc_lo, s3, v77, vcc_lo
	v_add_co_u32 v33, vcc_lo, v76, s6
	v_add_co_ci_u32_e32 v34, vcc_lo, s7, v77, vcc_lo
	v_add_co_u32 v35, vcc_lo, v76, s10
	;; [unrolled: 2-line block ×5, first 2 shown]
	s_lshl_b64 s[2:3], s[24:25], 1
	v_add_co_ci_u32_e32 v6, vcc_lo, s23, v77, vcc_lo
	s_mul_hi_i32 s7, s13, s5
	s_mul_i32 s6, s13, s5
	v_add_co_u32 v17, vcc_lo, v76, s2
	v_add_co_ci_u32_e32 v18, vcc_lo, s3, v77, vcc_lo
	s_lshl_b64 s[2:3], s[6:7], 1
	s_mul_hi_i32 s7, s15, s5
	s_mul_i32 s6, s15, s5
	v_add_co_u32 v19, vcc_lo, v76, s2
	v_add_co_ci_u32_e32 v20, vcc_lo, s3, v77, vcc_lo
	s_lshl_b64 s[2:3], s[6:7], 1
	s_clause 0x1
	global_load_b128 v[65:68], v[41:42], off
	global_load_b128 v[69:72], v[41:42], off offset:16
	v_add_co_u32 v21, vcc_lo, v76, s2
	v_add_co_ci_u32_e32 v22, vcc_lo, s3, v77, vcc_lo
	s_clause 0xf
	global_load_b128 v[57:60], v[33:34], off
	global_load_b128 v[61:64], v[33:34], off offset:16
	global_load_b128 v[49:52], v[35:36], off
	global_load_b128 v[53:56], v[35:36], off offset:16
	;; [unrolled: 2-line block ×8, first 2 shown]
	v_mbcnt_lo_u32_b32 v77, -1, 0
	s_waitcnt vmcnt(0)
	s_barrier
	buffer_gl0_inv
	v_xor_b32_e32 v78, 16, v77
	s_delay_alu instid0(VALU_DEP_1) | instskip(SKIP_1) | instid1(VALU_DEP_1)
	v_cmp_gt_i32_e32 vcc_lo, 32, v78
	v_dual_cndmask_b32 v77, v77, v78 :: v_dual_and_b32 v76, 0xe0, v0
	v_add_nc_u32_e32 v76, s12, v76
	s_delay_alu instid0(VALU_DEP_1) | instskip(NEXT) | instid1(VALU_DEP_1)
	v_or_b32_e32 v76, v76, v83
	v_or_b32_e32 v78, 2, v76
	;; [unrolled: 1-line block ×4, first 2 shown]
	v_cmp_gt_i32_e32 vcc_lo, s17, v76
	v_or_b32_e32 v86, 8, v76
	v_cmp_gt_i32_e64 s2, s17, v78
	v_or_b32_e32 v87, 10, v76
	v_or_b32_e32 v88, 12, v76
	;; [unrolled: 1-line block ×11, first 2 shown]
	v_cndmask_b32_e32 v76, 0xff7fffff, v97, vcc_lo
	v_cmp_gt_i32_e64 s3, s17, v80
	v_mul_f32_e32 v80, s18, v119
	v_cndmask_b32_e64 v78, 0xff7fffff, v99, s2
	v_mul_f32_e32 v99, s18, v120
	v_cmp_gt_i32_e64 s4, s17, v79
	v_mul_f32_e32 v97, s18, v123
	v_mul_f32_e32 v79, s18, v122
	v_max3_f32 v76, v76, 0xff7fffff, v78
	v_mul_f32_e32 v78, s18, v121
	v_cndmask_b32_e64 v80, 0xff7fffff, v80, s4
	v_cmp_gt_i32_e64 s5, s17, v86
	v_cmp_gt_i32_e64 s6, s17, v87
	v_mul_f32_e32 v86, s18, v107
	v_cndmask_b32_e64 v99, 0xff7fffff, v99, s3
	v_cmp_gt_i32_e64 s7, s17, v89
	v_cndmask_b32_e64 v78, 0xff7fffff, v78, s5
	v_cmp_gt_i32_e64 s8, s17, v88
	v_mul_f32_e32 v89, s18, v101
	v_max3_f32 v76, v76, v80, v99
	v_mul_f32_e32 v80, s18, v108
	v_cndmask_b32_e64 v79, 0xff7fffff, v79, s6
	v_dual_mul_f32 v99, s18, v105 :: v_dual_mul_f32 v88, s18, v102
	v_cndmask_b32_e64 v97, 0xff7fffff, v97, s8
	v_cndmask_b32_e64 v100, 0xff7fffff, v100, s7
	s_delay_alu instid0(VALU_DEP_4) | instskip(SKIP_4) | instid1(VALU_DEP_4)
	v_max3_f32 v76, v76, v78, v79
	v_cmp_gt_i32_e64 s9, s17, v90
	v_cmp_gt_i32_e64 s10, s17, v91
	v_dual_mul_f32 v87, s18, v106 :: v_dual_mul_f32 v78, s18, v104
	v_mul_f32_e32 v79, s18, v103
	v_cndmask_b32_e64 v89, 0xff7fffff, v89, s9
	s_delay_alu instid0(VALU_DEP_4)
	v_cndmask_b32_e64 v88, 0xff7fffff, v88, s10
	v_max3_f32 v76, v76, v97, v100
	v_cmp_gt_i32_e64 s11, s17, v92
	v_cmp_gt_i32_e64 s12, s17, v93
	;; [unrolled: 1-line block ×4, first 2 shown]
	v_max3_f32 v76, v76, v89, v88
	v_cndmask_b32_e64 v79, 0xff7fffff, v79, s11
	v_cndmask_b32_e64 v78, 0xff7fffff, v78, s12
	;; [unrolled: 1-line block ×4, first 2 shown]
	v_cmp_gt_i32_e64 s16, s17, v96
	v_cmp_gt_i32_e64 s17, s17, v98
	v_max3_f32 v76, v76, v79, v78
	v_lshlrev_b32_e32 v99, 2, v77
	s_delay_alu instid0(VALU_DEP_4) | instskip(NEXT) | instid1(VALU_DEP_4)
	v_cndmask_b32_e64 v78, 0xff7fffff, v86, s16
	v_cndmask_b32_e64 v79, 0xff7fffff, v80, s17
	s_delay_alu instid0(VALU_DEP_4) | instskip(NEXT) | instid1(VALU_DEP_1)
	v_max3_f32 v76, v76, v88, v87
	v_max3_f32 v76, v76, v78, v79
	ds_bpermute_b32 v77, v99, v76
	s_waitcnt lgkmcnt(0)
	v_max_f32_e32 v77, v77, v77
	s_delay_alu instid0(VALU_DEP_1) | instskip(NEXT) | instid1(VALU_DEP_1)
	v_max_f32_e32 v76, v76, v77
	v_fma_f32 v78, s18, v118, -v76
	v_fma_f32 v77, s18, v117, -v76
	;; [unrolled: 1-line block ×5, first 2 shown]
	v_mul_f32_e32 v78, 0x3fb8aa3b, v78
	v_fma_f32 v87, s18, v123, -v76
	v_fma_f32 v88, s18, v105, -v76
	v_mul_f32_e32 v80, 0x3fb8aa3b, v80
	v_mul_f32_e32 v86, 0x3fb8aa3b, v86
	v_exp_f32_e32 v78, v78
	v_fma_f32 v90, s18, v107, -v76
	v_fma_f32 v100, s18, v108, -v76
	v_exp_f32_e32 v80, v80
	v_exp_f32_e32 v86, v86
	v_mul_f32_e32 v88, 0x3fb8aa3b, v88
	s_delay_alu instid0(VALU_DEP_2) | instskip(NEXT) | instid1(TRANS32_DEP_3)
	v_mul_f32_e32 v100, 0x3fb8aa3b, v100
	v_cndmask_b32_e64 v91, 0, v78, s2
	v_mul_f32_e32 v77, 0x3fb8aa3b, v77
	s_delay_alu instid0(VALU_DEP_4) | instskip(NEXT) | instid1(TRANS32_DEP_3)
	v_exp_f32_e32 v88, v88
	v_cndmask_b32_e64 v95, 0, v80, s3
	v_fma_f32 v80, s18, v101, -v76
	s_delay_alu instid0(TRANS32_DEP_2)
	v_cndmask_b32_e64 v96, 0, v86, s5
	v_exp_f32_e32 v77, v77
	v_mul_f32_e32 v79, 0x3fb8aa3b, v79
	v_fma_f32 v86, s18, v102, -v76
	v_mul_f32_e32 v80, 0x3fb8aa3b, v80
	s_mov_b32 s2, exec_lo
	v_exp_f32_e32 v100, v100
	s_delay_alu instid0(VALU_DEP_1) | instskip(NEXT) | instid1(TRANS32_DEP_3)
	v_exp_f32_e32 v80, v80
	v_cndmask_b32_e32 v92, 0, v77, vcc_lo
	v_exp_f32_e32 v79, v79
	v_fma_f32 v77, s18, v122, -v76
	s_delay_alu instid0(VALU_DEP_2) | instskip(NEXT) | instid1(VALU_DEP_1)
	v_add_f32_e32 v78, 0, v92
	v_add_f32_e32 v78, v78, v91
	s_waitcnt_depctr 0xfff
	v_cndmask_b32_e64 v93, 0, v79, s4
	v_mul_f32_e32 v87, 0x3fb8aa3b, v87
	v_fma_f32 v79, s18, v124, -v76
	s_delay_alu instid0(VALU_DEP_3) | instskip(SKIP_1) | instid1(VALU_DEP_3)
	v_add_f32_e32 v78, v78, v93
	v_mul_f32_e32 v77, 0x3fb8aa3b, v77
	v_mul_f32_e32 v79, 0x3fb8aa3b, v79
	v_exp_f32_e32 v87, v87
	s_delay_alu instid0(VALU_DEP_3) | instskip(NEXT) | instid1(VALU_DEP_3)
	v_add_f32_e32 v78, v78, v95
	v_exp_f32_e32 v77, v77
	s_delay_alu instid0(VALU_DEP_2) | instskip(NEXT) | instid1(TRANS32_DEP_3)
	v_exp_f32_e32 v79, v79
	v_cndmask_b32_e64 v94, 0, v87, s8
	v_fma_f32 v87, s18, v104, -v76
	s_waitcnt_depctr 0xfff
	v_cndmask_b32_e64 v97, 0, v77, s6
	v_add_f32_e32 v77, v78, v96
	v_fma_f32 v78, s18, v103, -v76
	v_mul_f32_e32 v86, 0x3fb8aa3b, v86
	v_cndmask_b32_e64 v98, 0, v79, s7
	v_mul_f32_e32 v87, 0x3fb8aa3b, v87
	s_delay_alu instid0(VALU_DEP_4) | instskip(NEXT) | instid1(VALU_DEP_4)
	v_dual_add_f32 v77, v77, v97 :: v_dual_mul_f32 v78, 0x3fb8aa3b, v78
	v_exp_f32_e32 v86, v86
	s_delay_alu instid0(VALU_DEP_2) | instskip(NEXT) | instid1(VALU_DEP_1)
	v_exp_f32_e32 v87, v87
	v_add_f32_e32 v79, v77, v94
	s_delay_alu instid0(VALU_DEP_2) | instskip(SKIP_2) | instid1(VALU_DEP_3)
	v_exp_f32_e32 v89, v78
	v_cndmask_b32_e64 v77, 0, v80, s9
	v_fma_f32 v80, s18, v106, -v76
	v_add_f32_e32 v79, v79, v98
	s_delay_alu instid0(TRANS32_DEP_3) | instskip(NEXT) | instid1(VALU_DEP_3)
	v_cndmask_b32_e64 v78, 0, v86, s10
	v_mul_f32_e32 v80, 0x3fb8aa3b, v80
	s_delay_alu instid0(VALU_DEP_3) | instskip(NEXT) | instid1(TRANS32_DEP_1)
	v_add_f32_e32 v86, v79, v77
	v_cndmask_b32_e64 v79, 0, v89, s11
	v_mul_f32_e32 v89, 0x3fb8aa3b, v90
	s_delay_alu instid0(VALU_DEP_4) | instskip(SKIP_2) | instid1(VALU_DEP_3)
	v_exp_f32_e32 v90, v80
	v_cndmask_b32_e64 v80, 0, v87, s12
	v_add_f32_e32 v86, v86, v78
	v_exp_f32_e32 v89, v89
	s_delay_alu instid0(VALU_DEP_1) | instskip(SKIP_1) | instid1(VALU_DEP_2)
	v_add_f32_e32 v87, v86, v79
	v_cndmask_b32_e64 v86, 0, v88, s13
	v_add_f32_e32 v88, v87, v80
	s_delay_alu instid0(TRANS32_DEP_2) | instskip(NEXT) | instid1(VALU_DEP_2)
	v_cndmask_b32_e64 v87, 0, v90, s15
	v_add_f32_e32 v90, v88, v86
	s_waitcnt_depctr 0xfff
	v_cndmask_b32_e64 v88, 0, v89, s16
	v_add_f32_e32 v89, v90, v87
	s_delay_alu instid0(VALU_DEP_1) | instskip(SKIP_1) | instid1(VALU_DEP_1)
	v_add_f32_e32 v90, v89, v88
	v_cndmask_b32_e64 v89, 0, v100, s17
	v_add_f32_e32 v90, v90, v89
	ds_bpermute_b32 v99, v99, v90
	v_cmpx_gt_u32_e32 16, v75
	s_cbranch_execz .LBB723_14
; %bb.13:
	v_mul_u32_u24_e32 v75, 0x44, v74
	s_waitcnt lgkmcnt(0)
	v_add_f32_e32 v90, v90, v99
	s_delay_alu instid0(VALU_DEP_2) | instskip(NEXT) | instid1(VALU_DEP_1)
	v_lshl_add_u32 v75, v73, 2, v75
	v_add_nc_u32_e32 v75, 0x4000, v75
	ds_store_2addr_b32 v75, v76, v90 offset1:136
.LBB723_14:
	s_or_b32 exec_lo, exec_lo, s2
	v_lshlrev_b32_e32 v75, 2, v73
	s_waitcnt lgkmcnt(0)
	s_barrier
	buffer_gl0_inv
	v_cmp_eq_u32_e64 s2, 1, v74
	v_add_nc_u32_e32 v90, 0x4000, v75
	ds_load_2addr_b32 v[99:100], v90 offset1:17
	ds_load_2addr_b32 v[101:102], v90 offset0:34 offset1:51
	ds_load_2addr_b32 v[103:104], v90 offset0:68 offset1:85
	;; [unrolled: 1-line block ×4, first 2 shown]
	s_waitcnt lgkmcnt(4)
	v_max3_f32 v75, v99, 0xff7fffff, v100
	s_waitcnt lgkmcnt(3)
	s_delay_alu instid0(VALU_DEP_1) | instskip(SKIP_1) | instid1(VALU_DEP_1)
	v_max3_f32 v75, v75, v101, v102
	s_waitcnt lgkmcnt(2)
	v_max3_f32 v75, v75, v103, v104
	s_waitcnt lgkmcnt(1)
	s_delay_alu instid0(VALU_DEP_1) | instskip(NEXT) | instid1(VALU_DEP_1)
	v_max3_f32 v75, v75, v105, v106
	v_sub_f32_e32 v109, v100, v75
	v_sub_f32_e32 v76, v99, v75
	ds_load_2addr_b32 v[99:100], v90 offset0:170 offset1:187
	v_sub_f32_e32 v101, v101, v75
	v_dual_mul_f32 v109, 0x3fb8aa3b, v109 :: v_dual_mul_f32 v76, 0x3fb8aa3b, v76
	s_delay_alu instid0(VALU_DEP_2) | instskip(NEXT) | instid1(VALU_DEP_2)
	v_mul_f32_e32 v111, 0x3fb8aa3b, v101
	v_exp_f32_e32 v109, v109
	s_delay_alu instid0(VALU_DEP_2)
	v_exp_f32_e32 v110, v76
	v_sub_f32_e32 v76, v102, v75
	ds_load_2addr_b32 v[101:102], v90 offset0:204 offset1:221
	v_exp_f32_e32 v111, v111
	v_mul_f32_e32 v112, 0x3fb8aa3b, v76
	s_waitcnt lgkmcnt(2)
	v_fma_f32 v76, v110, v107, 0
	v_sub_f32_e32 v103, v103, v75
	s_delay_alu instid0(VALU_DEP_3) | instskip(NEXT) | instid1(VALU_DEP_2)
	v_exp_f32_e32 v112, v112
	v_dual_sub_f32 v107, v104, v75 :: v_dual_fmac_f32 v76, v109, v108
	s_waitcnt lgkmcnt(1)
	s_waitcnt_depctr 0xfff
	v_fmac_f32_e32 v76, v111, v99
	v_mul_f32_e32 v113, 0x3fb8aa3b, v103
	ds_load_2addr_b32 v[103:104], v90 offset0:238 offset1:255
	v_sub_f32_e32 v90, v105, v75
	v_dual_sub_f32 v99, v106, v75 :: v_dual_fmac_f32 v76, v112, v100
	v_mul_f32_e32 v105, 0x3fb8aa3b, v107
	v_exp_f32_e32 v107, v113
	s_delay_alu instid0(VALU_DEP_2)
	v_dual_mul_f32 v90, 0x3fb8aa3b, v90 :: v_dual_mul_f32 v99, 0x3fb8aa3b, v99
	s_waitcnt lgkmcnt(0)
	s_barrier
	buffer_gl0_inv
	v_exp_f32_e32 v90, v90
	v_exp_f32_e32 v99, v99
	v_fmac_f32_e32 v76, v107, v101
	v_exp_f32_e32 v105, v105
	s_waitcnt_depctr 0xfff
	v_fmac_f32_e32 v76, v105, v102
	s_delay_alu instid0(VALU_DEP_1) | instskip(NEXT) | instid1(VALU_DEP_1)
	v_fmac_f32_e32 v76, v90, v103
	v_fmac_f32_e32 v76, v99, v104
	s_delay_alu instid0(VALU_DEP_1) | instskip(NEXT) | instid1(VALU_DEP_1)
	v_add_f32_e32 v100, 0x358637bd, v76
	v_div_scale_f32 v101, null, v100, v100, 1.0
	v_div_scale_f32 v104, vcc_lo, 1.0, v100, 1.0
	s_delay_alu instid0(VALU_DEP_2) | instskip(SKIP_2) | instid1(VALU_DEP_1)
	v_rcp_f32_e32 v102, v101
	s_waitcnt_depctr 0xfff
	v_fma_f32 v103, -v101, v102, 1.0
	v_fmac_f32_e32 v102, v103, v102
	v_cndmask_b32_e64 v103, v110, v109, s2
	v_cmp_eq_u32_e64 s2, 2, v74
	s_delay_alu instid0(VALU_DEP_3) | instskip(NEXT) | instid1(VALU_DEP_2)
	v_mul_f32_e32 v106, v104, v102
	v_cndmask_b32_e64 v103, v103, v111, s2
	v_cmp_eq_u32_e64 s2, 3, v74
	s_delay_alu instid0(VALU_DEP_3) | instskip(NEXT) | instid1(VALU_DEP_2)
	v_fma_f32 v108, -v101, v106, v104
	v_cndmask_b32_e64 v103, v103, v112, s2
	v_cmp_eq_u32_e64 s2, 4, v74
	s_delay_alu instid0(VALU_DEP_3) | instskip(NEXT) | instid1(VALU_DEP_2)
	v_fmac_f32_e32 v106, v108, v102
	v_cndmask_b32_e64 v103, v103, v107, s2
	s_delay_alu instid0(VALU_DEP_2) | instskip(SKIP_1) | instid1(VALU_DEP_2)
	v_fma_f32 v101, -v101, v106, v104
	v_cmp_eq_u32_e64 s2, 5, v74
	v_div_fmas_f32 v101, v101, v102, v106
	s_delay_alu instid0(VALU_DEP_2) | instskip(SKIP_2) | instid1(VALU_DEP_3)
	v_cndmask_b32_e64 v103, v103, v105, s2
	v_cmp_eq_u32_e32 vcc_lo, 6, v74
	s_mov_b32 s2, exec_lo
	v_div_fixup_f32 v100, v101, v100, 1.0
	s_delay_alu instid0(VALU_DEP_3) | instskip(SKIP_1) | instid1(VALU_DEP_2)
	v_cndmask_b32_e32 v90, v103, v90, vcc_lo
	v_cmp_eq_u32_e32 vcc_lo, 7, v74
	v_cndmask_b32_e32 v90, v90, v99, vcc_lo
	s_delay_alu instid0(VALU_DEP_1) | instskip(NEXT) | instid1(VALU_DEP_1)
	v_mul_f32_e32 v90, v90, v100
	v_mul_f32_e32 v100, v90, v92
	;; [unrolled: 1-line block ×6, first 2 shown]
	v_and_b32_e32 v101, 0x7f800000, v100
	v_mul_f32_e32 v99, v90, v95
	v_mul_f32_e32 v95, v90, v91
	;; [unrolled: 1-line block ×3, first 2 shown]
                                        ; implicit-def: $vgpr91
	s_delay_alu instid0(VALU_DEP_4)
	v_cmpx_ne_u32_e32 0x7f800000, v101
	s_xor_b32 s2, exec_lo, s2
; %bb.15:
	v_bfe_u32 v91, v100, 16, 1
	s_delay_alu instid0(VALU_DEP_1)
	v_add3_u32 v91, v100, v91, 0x7fff
                                        ; implicit-def: $vgpr100
; %bb.16:
	s_and_not1_saveexec_b32 s2, s2
; %bb.17:
	v_and_b32_e32 v91, 0xffff, v100
	v_or_b32_e32 v93, 0x10000, v100
	s_delay_alu instid0(VALU_DEP_2) | instskip(NEXT) | instid1(VALU_DEP_2)
	v_cmp_eq_u32_e32 vcc_lo, 0, v91
	v_cndmask_b32_e32 v91, v93, v100, vcc_lo
; %bb.18:
	s_or_b32 exec_lo, exec_lo, s2
	v_and_b32_e32 v93, 0x7f800000, v95
	s_delay_alu instid0(VALU_DEP_1) | instskip(SKIP_1) | instid1(SALU_CYCLE_1)
	v_cmp_ne_u32_e32 vcc_lo, 0x7f800000, v93
                                        ; implicit-def: $vgpr93
	s_and_saveexec_b32 s2, vcc_lo
	s_xor_b32 s2, exec_lo, s2
; %bb.19:
	v_bfe_u32 v93, v95, 16, 1
	s_delay_alu instid0(VALU_DEP_1)
	v_add3_u32 v93, v95, v93, 0x7fff
                                        ; implicit-def: $vgpr95
; %bb.20:
	s_and_not1_saveexec_b32 s2, s2
; %bb.21:
	v_and_b32_e32 v93, 0xffff, v95
	v_or_b32_e32 v100, 0x10000, v95
	s_delay_alu instid0(VALU_DEP_2) | instskip(NEXT) | instid1(VALU_DEP_2)
	v_cmp_eq_u32_e32 vcc_lo, 0, v93
	v_cndmask_b32_e32 v93, v100, v95, vcc_lo
; %bb.22:
	s_or_b32 exec_lo, exec_lo, s2
	v_and_b32_e32 v95, 0x7f800000, v96
	s_delay_alu instid0(VALU_DEP_1) | instskip(SKIP_1) | instid1(SALU_CYCLE_1)
	v_cmp_ne_u32_e32 vcc_lo, 0x7f800000, v95
                                        ; implicit-def: $vgpr95
	s_and_saveexec_b32 s2, vcc_lo
	s_xor_b32 s2, exec_lo, s2
; %bb.23:
	v_bfe_u32 v95, v96, 16, 1
	s_delay_alu instid0(VALU_DEP_1)
	v_add3_u32 v95, v96, v95, 0x7fff
                                        ; implicit-def: $vgpr96
; %bb.24:
	s_and_not1_saveexec_b32 s2, s2
; %bb.25:
	v_and_b32_e32 v95, 0xffff, v96
	v_or_b32_e32 v100, 0x10000, v96
	s_delay_alu instid0(VALU_DEP_2) | instskip(NEXT) | instid1(VALU_DEP_2)
	v_cmp_eq_u32_e32 vcc_lo, 0, v95
	v_cndmask_b32_e32 v95, v100, v96, vcc_lo
; %bb.26:
	s_or_b32 exec_lo, exec_lo, s2
	v_and_b32_e32 v96, 0x7f800000, v99
	s_delay_alu instid0(VALU_DEP_1) | instskip(SKIP_1) | instid1(SALU_CYCLE_1)
	v_cmp_ne_u32_e32 vcc_lo, 0x7f800000, v96
                                        ; implicit-def: $vgpr96
	s_and_saveexec_b32 s2, vcc_lo
	s_xor_b32 s2, exec_lo, s2
; %bb.27:
	v_bfe_u32 v96, v99, 16, 1
	s_delay_alu instid0(VALU_DEP_1)
	v_add3_u32 v96, v99, v96, 0x7fff
                                        ; implicit-def: $vgpr99
; %bb.28:
	s_and_not1_saveexec_b32 s2, s2
; %bb.29:
	v_and_b32_e32 v96, 0xffff, v99
	v_or_b32_e32 v100, 0x10000, v99
	s_delay_alu instid0(VALU_DEP_2) | instskip(NEXT) | instid1(VALU_DEP_2)
	v_cmp_eq_u32_e32 vcc_lo, 0, v96
	v_cndmask_b32_e32 v96, v100, v99, vcc_lo
; %bb.30:
	s_or_b32 exec_lo, exec_lo, s2
	v_and_b32_e32 v99, 0x7f800000, v98
	s_delay_alu instid0(VALU_DEP_1) | instskip(SKIP_1) | instid1(SALU_CYCLE_1)
	v_cmp_ne_u32_e32 vcc_lo, 0x7f800000, v99
                                        ; implicit-def: $vgpr99
	s_and_saveexec_b32 s2, vcc_lo
	s_xor_b32 s2, exec_lo, s2
; %bb.31:
	v_bfe_u32 v99, v98, 16, 1
	s_delay_alu instid0(VALU_DEP_1)
	v_add3_u32 v99, v98, v99, 0x7fff
                                        ; implicit-def: $vgpr98
; %bb.32:
	s_and_not1_saveexec_b32 s2, s2
; %bb.33:
	v_and_b32_e32 v99, 0xffff, v98
	v_or_b32_e32 v100, 0x10000, v98
	s_delay_alu instid0(VALU_DEP_2) | instskip(NEXT) | instid1(VALU_DEP_2)
	v_cmp_eq_u32_e32 vcc_lo, 0, v99
	v_cndmask_b32_e32 v99, v100, v98, vcc_lo
; %bb.34:
	s_or_b32 exec_lo, exec_lo, s2
	v_and_b32_e32 v98, 0x7f800000, v97
	s_delay_alu instid0(VALU_DEP_1) | instskip(SKIP_1) | instid1(SALU_CYCLE_1)
	v_cmp_ne_u32_e32 vcc_lo, 0x7f800000, v98
                                        ; implicit-def: $vgpr98
	s_and_saveexec_b32 s2, vcc_lo
	s_xor_b32 s2, exec_lo, s2
; %bb.35:
	v_bfe_u32 v98, v97, 16, 1
	s_delay_alu instid0(VALU_DEP_1)
	v_add3_u32 v98, v97, v98, 0x7fff
                                        ; implicit-def: $vgpr97
; %bb.36:
	s_and_not1_saveexec_b32 s2, s2
; %bb.37:
	v_and_b32_e32 v98, 0xffff, v97
	v_or_b32_e32 v100, 0x10000, v97
	s_delay_alu instid0(VALU_DEP_2) | instskip(NEXT) | instid1(VALU_DEP_2)
	v_cmp_eq_u32_e32 vcc_lo, 0, v98
	v_cndmask_b32_e32 v98, v100, v97, vcc_lo
; %bb.38:
	s_or_b32 exec_lo, exec_lo, s2
	v_and_b32_e32 v97, 0x7f800000, v94
	s_delay_alu instid0(VALU_DEP_1) | instskip(SKIP_1) | instid1(SALU_CYCLE_1)
	v_cmp_ne_u32_e32 vcc_lo, 0x7f800000, v97
                                        ; implicit-def: $vgpr97
	s_and_saveexec_b32 s2, vcc_lo
	s_xor_b32 s2, exec_lo, s2
; %bb.39:
	v_bfe_u32 v97, v94, 16, 1
	s_delay_alu instid0(VALU_DEP_1)
	v_add3_u32 v97, v94, v97, 0x7fff
                                        ; implicit-def: $vgpr94
; %bb.40:
	s_and_not1_saveexec_b32 s2, s2
; %bb.41:
	v_and_b32_e32 v97, 0xffff, v94
	v_or_b32_e32 v100, 0x10000, v94
	s_delay_alu instid0(VALU_DEP_2) | instskip(NEXT) | instid1(VALU_DEP_2)
	v_cmp_eq_u32_e32 vcc_lo, 0, v97
	v_cndmask_b32_e32 v97, v100, v94, vcc_lo
; %bb.42:
	s_or_b32 exec_lo, exec_lo, s2
	v_and_b32_e32 v94, 0x7f800000, v92
	s_delay_alu instid0(VALU_DEP_1) | instskip(SKIP_1) | instid1(SALU_CYCLE_1)
	v_cmp_ne_u32_e32 vcc_lo, 0x7f800000, v94
                                        ; implicit-def: $vgpr94
	s_and_saveexec_b32 s2, vcc_lo
	s_xor_b32 s2, exec_lo, s2
; %bb.43:
	v_bfe_u32 v94, v92, 16, 1
	s_delay_alu instid0(VALU_DEP_1)
	v_add3_u32 v94, v92, v94, 0x7fff
                                        ; implicit-def: $vgpr92
; %bb.44:
	s_and_not1_saveexec_b32 s2, s2
; %bb.45:
	v_and_b32_e32 v94, 0xffff, v92
	v_or_b32_e32 v100, 0x10000, v92
	s_delay_alu instid0(VALU_DEP_2) | instskip(NEXT) | instid1(VALU_DEP_2)
	v_cmp_eq_u32_e32 vcc_lo, 0, v94
	v_cndmask_b32_e32 v94, v100, v92, vcc_lo
; %bb.46:
	s_or_b32 exec_lo, exec_lo, s2
	s_load_b64 s[34:35], s[0:1], 0x94
	v_lshlrev_b32_e32 v92, 4, v83
	s_delay_alu instid0(VALU_DEP_2)
	v_perm_b32 v100, v94, v97, 0x7060302
	v_dual_mul_f32 v89, v90, v89 :: v_dual_lshlrev_b32 v94, 11, v74
	v_perm_b32 v97, v93, v91, 0x7060302
	v_mul_f32_e32 v93, v90, v77
	v_perm_b32 v99, v98, v99, 0x7060302
	v_perm_b32 v98, v96, v95, 0x7060302
	v_or3_b32 v77, v92, v94, v85
	v_mul_f32_e32 v88, v90, v88
	v_dual_mul_f32 v87, v90, v87 :: v_dual_and_b32 v94, 0x7f800000, v93
	v_mul_f32_e32 v86, v90, v86
	v_mul_f32_e32 v91, v90, v80
	;; [unrolled: 1-line block ×4, first 2 shown]
	s_mov_b32 s2, exec_lo
	ds_store_b128 v77, v[97:100]
                                        ; implicit-def: $vgpr78
	v_cmpx_ne_u32_e32 0x7f800000, v94
	s_xor_b32 s2, exec_lo, s2
; %bb.47:
	v_bfe_u32 v78, v93, 16, 1
	s_delay_alu instid0(VALU_DEP_1)
	v_add3_u32 v78, v93, v78, 0x7fff
                                        ; implicit-def: $vgpr93
; %bb.48:
	s_and_not1_saveexec_b32 s2, s2
; %bb.49:
	v_and_b32_e32 v78, 0xffff, v93
	v_or_b32_e32 v79, 0x10000, v93
	s_delay_alu instid0(VALU_DEP_2) | instskip(NEXT) | instid1(VALU_DEP_2)
	v_cmp_eq_u32_e32 vcc_lo, 0, v78
	v_cndmask_b32_e32 v78, v79, v93, vcc_lo
; %bb.50:
	s_or_b32 exec_lo, exec_lo, s2
	v_and_b32_e32 v79, 0x7f800000, v80
	s_delay_alu instid0(VALU_DEP_1) | instskip(SKIP_1) | instid1(SALU_CYCLE_1)
	v_cmp_ne_u32_e32 vcc_lo, 0x7f800000, v79
                                        ; implicit-def: $vgpr79
	s_and_saveexec_b32 s2, vcc_lo
	s_xor_b32 s2, exec_lo, s2
; %bb.51:
	v_bfe_u32 v79, v80, 16, 1
	s_delay_alu instid0(VALU_DEP_1)
	v_add3_u32 v79, v80, v79, 0x7fff
                                        ; implicit-def: $vgpr80
; %bb.52:
	s_and_not1_saveexec_b32 s2, s2
; %bb.53:
	v_and_b32_e32 v79, 0xffff, v80
	v_or_b32_e32 v90, 0x10000, v80
	s_delay_alu instid0(VALU_DEP_2) | instskip(NEXT) | instid1(VALU_DEP_2)
	v_cmp_eq_u32_e32 vcc_lo, 0, v79
	v_cndmask_b32_e32 v79, v90, v80, vcc_lo
; %bb.54:
	s_or_b32 exec_lo, exec_lo, s2
	v_and_b32_e32 v80, 0x7f800000, v92
	s_delay_alu instid0(VALU_DEP_1) | instskip(SKIP_1) | instid1(SALU_CYCLE_1)
	v_cmp_ne_u32_e32 vcc_lo, 0x7f800000, v80
                                        ; implicit-def: $vgpr80
	s_and_saveexec_b32 s2, vcc_lo
	s_xor_b32 s2, exec_lo, s2
; %bb.55:
	v_bfe_u32 v80, v92, 16, 1
	s_delay_alu instid0(VALU_DEP_1)
	v_add3_u32 v80, v92, v80, 0x7fff
                                        ; implicit-def: $vgpr92
; %bb.56:
	s_and_not1_saveexec_b32 s2, s2
; %bb.57:
	v_and_b32_e32 v80, 0xffff, v92
	v_or_b32_e32 v90, 0x10000, v92
	s_delay_alu instid0(VALU_DEP_2) | instskip(NEXT) | instid1(VALU_DEP_2)
	v_cmp_eq_u32_e32 vcc_lo, 0, v80
	v_cndmask_b32_e32 v80, v90, v92, vcc_lo
; %bb.58:
	s_or_b32 exec_lo, exec_lo, s2
	v_and_b32_e32 v90, 0x7f800000, v91
	s_delay_alu instid0(VALU_DEP_1) | instskip(SKIP_1) | instid1(SALU_CYCLE_1)
	v_cmp_ne_u32_e32 vcc_lo, 0x7f800000, v90
                                        ; implicit-def: $vgpr90
	s_and_saveexec_b32 s2, vcc_lo
	s_xor_b32 s2, exec_lo, s2
; %bb.59:
	v_bfe_u32 v90, v91, 16, 1
	s_delay_alu instid0(VALU_DEP_1)
	v_add3_u32 v90, v91, v90, 0x7fff
                                        ; implicit-def: $vgpr91
; %bb.60:
	s_and_not1_saveexec_b32 s2, s2
; %bb.61:
	v_and_b32_e32 v90, 0xffff, v91
	v_or_b32_e32 v92, 0x10000, v91
	s_delay_alu instid0(VALU_DEP_2) | instskip(NEXT) | instid1(VALU_DEP_2)
	v_cmp_eq_u32_e32 vcc_lo, 0, v90
	v_cndmask_b32_e32 v90, v92, v91, vcc_lo
; %bb.62:
	s_or_b32 exec_lo, exec_lo, s2
	v_and_b32_e32 v91, 0x7f800000, v86
	s_delay_alu instid0(VALU_DEP_1) | instskip(SKIP_1) | instid1(SALU_CYCLE_1)
	v_cmp_ne_u32_e32 vcc_lo, 0x7f800000, v91
                                        ; implicit-def: $vgpr91
	s_and_saveexec_b32 s2, vcc_lo
	s_xor_b32 s2, exec_lo, s2
; %bb.63:
	v_bfe_u32 v91, v86, 16, 1
	s_delay_alu instid0(VALU_DEP_1)
	v_add3_u32 v91, v86, v91, 0x7fff
                                        ; implicit-def: $vgpr86
; %bb.64:
	s_and_not1_saveexec_b32 s2, s2
; %bb.65:
	v_and_b32_e32 v91, 0xffff, v86
	v_or_b32_e32 v92, 0x10000, v86
	s_delay_alu instid0(VALU_DEP_2) | instskip(NEXT) | instid1(VALU_DEP_2)
	v_cmp_eq_u32_e32 vcc_lo, 0, v91
	v_cndmask_b32_e32 v91, v92, v86, vcc_lo
; %bb.66:
	s_or_b32 exec_lo, exec_lo, s2
	v_and_b32_e32 v86, 0x7f800000, v87
	s_delay_alu instid0(VALU_DEP_1) | instskip(SKIP_1) | instid1(SALU_CYCLE_1)
	v_cmp_ne_u32_e32 vcc_lo, 0x7f800000, v86
                                        ; implicit-def: $vgpr86
	s_and_saveexec_b32 s2, vcc_lo
	s_xor_b32 s2, exec_lo, s2
; %bb.67:
	v_bfe_u32 v86, v87, 16, 1
	s_delay_alu instid0(VALU_DEP_1)
	v_add3_u32 v86, v87, v86, 0x7fff
                                        ; implicit-def: $vgpr87
; %bb.68:
	s_and_not1_saveexec_b32 s2, s2
; %bb.69:
	v_and_b32_e32 v86, 0xffff, v87
	v_or_b32_e32 v92, 0x10000, v87
	s_delay_alu instid0(VALU_DEP_2) | instskip(NEXT) | instid1(VALU_DEP_2)
	v_cmp_eq_u32_e32 vcc_lo, 0, v86
	v_cndmask_b32_e32 v86, v92, v87, vcc_lo
; %bb.70:
	s_or_b32 exec_lo, exec_lo, s2
	v_and_b32_e32 v87, 0x7f800000, v88
	s_delay_alu instid0(VALU_DEP_1) | instskip(SKIP_1) | instid1(SALU_CYCLE_1)
	v_cmp_ne_u32_e32 vcc_lo, 0x7f800000, v87
                                        ; implicit-def: $vgpr87
	s_and_saveexec_b32 s2, vcc_lo
	s_xor_b32 s2, exec_lo, s2
; %bb.71:
	v_bfe_u32 v87, v88, 16, 1
	s_delay_alu instid0(VALU_DEP_1)
	v_add3_u32 v87, v88, v87, 0x7fff
                                        ; implicit-def: $vgpr88
; %bb.72:
	s_and_not1_saveexec_b32 s2, s2
; %bb.73:
	v_and_b32_e32 v87, 0xffff, v88
	v_or_b32_e32 v92, 0x10000, v88
	s_delay_alu instid0(VALU_DEP_2) | instskip(NEXT) | instid1(VALU_DEP_2)
	v_cmp_eq_u32_e32 vcc_lo, 0, v87
	v_cndmask_b32_e32 v87, v92, v88, vcc_lo
; %bb.74:
	s_or_b32 exec_lo, exec_lo, s2
	v_and_b32_e32 v88, 0x7f800000, v89
	s_delay_alu instid0(VALU_DEP_1) | instskip(SKIP_1) | instid1(SALU_CYCLE_1)
	v_cmp_ne_u32_e32 vcc_lo, 0x7f800000, v88
                                        ; implicit-def: $vgpr88
	s_and_saveexec_b32 s2, vcc_lo
	s_xor_b32 s2, exec_lo, s2
; %bb.75:
	v_bfe_u32 v88, v89, 16, 1
	s_delay_alu instid0(VALU_DEP_1)
	v_add3_u32 v88, v89, v88, 0x7fff
                                        ; implicit-def: $vgpr89
; %bb.76:
	s_and_not1_saveexec_b32 s2, s2
; %bb.77:
	v_and_b32_e32 v88, 0xffff, v89
	v_or_b32_e32 v92, 0x10000, v89
	s_delay_alu instid0(VALU_DEP_2) | instskip(NEXT) | instid1(VALU_DEP_2)
	v_cmp_eq_u32_e32 vcc_lo, 0, v88
	v_cndmask_b32_e32 v88, v92, v89, vcc_lo
; %bb.78:
	s_or_b32 exec_lo, exec_lo, s2
	s_delay_alu instid0(VALU_DEP_1)
	v_perm_b32 v89, v88, v87, 0x7060302
	v_perm_b32 v88, v86, v91, 0x7060302
	;; [unrolled: 1-line block ×4, first 2 shown]
	v_lshl_or_b32 v90, v74, 11, v85
	ds_store_b128 v77, v[86:89] offset:1024
	s_waitcnt lgkmcnt(0)
	s_barrier
	buffer_gl0_inv
	ds_load_b128 v[91:94], v90
	ds_load_b128 v[95:98], v90 offset:16
	v_lshlrev_b32_e32 v87, 2, v83
	s_delay_alu instid0(VALU_DEP_1)
	v_or_b32_e32 v88, 1, v87
	v_cmp_eq_u32_e32 vcc_lo, 1, v87
	v_cmp_eq_u32_e64 s3, 2, v87
	v_cmp_eq_u32_e64 s6, 3, v87
	;; [unrolled: 1-line block ×6, first 2 shown]
	v_or_b32_e32 v86, 2, v87
	v_cmp_eq_u32_e64 s9, 5, v87
	v_cmp_eq_u32_e64 s10, 4, v88
	;; [unrolled: 1-line block ×4, first 2 shown]
	s_waitcnt lgkmcnt(1)
	v_lshrrev_b32_e32 v74, 16, v91
	s_waitcnt lgkmcnt(0)
	v_lshrrev_b32_e32 v103, 16, v95
	v_lshrrev_b32_e32 v80, 16, v94
	;; [unrolled: 1-line block ×4, first 2 shown]
	v_cndmask_b32_e32 v89, v91, v74, vcc_lo
	v_cndmask_b32_e32 v99, v95, v103, vcc_lo
	v_cndmask_b32_e64 v100, v91, v74, s2
	v_lshrrev_b32_e32 v79, 16, v93
	v_lshrrev_b32_e32 v108, 16, v97
	v_cndmask_b32_e64 v89, v89, v92, s3
	v_cndmask_b32_e64 v99, v99, v96, s3
	;; [unrolled: 1-line block ×4, first 2 shown]
	v_cmp_eq_u32_e64 s4, 1, v86
	v_cndmask_b32_e64 v89, v89, v78, s6
	v_cndmask_b32_e64 v99, v99, v107, s6
	;; [unrolled: 1-line block ×4, first 2 shown]
	v_lshrrev_b32_e32 v109, 16, v98
	v_cndmask_b32_e64 v89, v89, v93, s8
	v_cndmask_b32_e64 v99, v99, v97, s8
	v_cndmask_b32_e64 v100, v100, v93, s10
	v_cndmask_b32_e64 v102, v91, v74, s4
	v_cndmask_b32_e64 v101, v101, v107, s7
	v_cndmask_b32_e64 v89, v89, v79, s9
	v_cndmask_b32_e64 v99, v99, v108, s9
	v_cndmask_b32_e64 v100, v100, v79, s12
	v_cmp_eq_u32_e64 s13, 7, v87
	v_cmp_eq_u32_e64 s15, 6, v88
	v_cndmask_b32_e64 v89, v89, v94, s11
	v_cndmask_b32_e64 v99, v99, v98, s11
	v_cmp_eq_u32_e64 s16, 2, v86
	v_cndmask_b32_e64 v101, v101, v97, s10
	v_cndmask_b32_e64 v100, v100, v94, s15
	;; [unrolled: 1-line block ×6, first 2 shown]
	v_cmp_eq_u32_e64 s17, 7, v88
	v_cmp_eq_u32_e64 s18, 3, v86
	;; [unrolled: 1-line block ×4, first 2 shown]
	v_cndmask_b32_e64 v99, v99, v96, s16
	v_cndmask_b32_e64 v112, v100, v80, s17
	;; [unrolled: 1-line block ×4, first 2 shown]
	v_or_b32_e32 v89, 3, v87
	v_cndmask_b32_e64 v105, v99, v107, s18
	v_cmp_eq_u32_e64 s23, 6, v86
	v_cndmask_b32_e64 v113, v100, v98, s15
	v_cndmask_b32_e64 v104, v101, v93, s19
	ds_load_b128 v[99:102], v90 offset:1024
	v_cmp_eq_u32_e64 s20, 1, v89
	v_cmp_eq_u32_e64 s22, 2, v89
	;; [unrolled: 1-line block ×3, first 2 shown]
	v_cndmask_b32_e64 v114, v104, v79, s21
	v_cmp_eq_u32_e64 s25, 4, v89
	v_cndmask_b32_e64 v74, v91, v74, s20
	v_cndmask_b32_e64 v91, v105, v97, s19
	;; [unrolled: 1-line block ×3, first 2 shown]
	ds_load_b128 v[103:106], v90 offset:1040
	v_cmp_eq_u32_e64 s27, 5, v89
	v_cndmask_b32_e64 v74, v74, v92, s22
	v_cndmask_b32_e64 v91, v91, v108, s21
	;; [unrolled: 1-line block ×3, first 2 shown]
	v_cmp_eq_u32_e64 s28, 6, v89
	v_cndmask_b32_e64 v95, v113, v109, s17
	v_cndmask_b32_e64 v74, v74, v78, s24
	;; [unrolled: 1-line block ×5, first 2 shown]
	s_waitcnt lgkmcnt(1)
	v_lshrrev_b32_e32 v96, 16, v99
	v_cndmask_b32_e64 v74, v74, v93, s25
	v_lshrrev_b32_e32 v107, 16, v100
	v_cndmask_b32_e64 v92, v92, v97, s25
	v_cmp_eq_u32_e64 s26, 7, v86
	v_cndmask_b32_e32 v93, v99, v96, vcc_lo
	v_cndmask_b32_e64 v74, v74, v79, s27
	s_delay_alu instid0(VALU_DEP_4)
	v_cndmask_b32_e64 v79, v92, v108, s27
	s_waitcnt lgkmcnt(0)
	v_lshrrev_b32_e32 v97, 16, v103
	v_cndmask_b32_e64 v92, v93, v100, s3
	v_cndmask_b32_e64 v93, v99, v96, s2
	;; [unrolled: 1-line block ×4, first 2 shown]
	v_cndmask_b32_e32 v108, v103, v97, vcc_lo
	v_cndmask_b32_e64 v92, v92, v107, s6
	v_cndmask_b32_e64 v93, v93, v100, s5
	v_lshrrev_b32_e32 v98, 16, v104
	v_cmp_eq_u32_e32 vcc_lo, 7, v89
	v_cndmask_b32_e64 v94, v108, v104, s3
	v_cndmask_b32_e64 v92, v92, v101, s8
	v_lshrrev_b32_e32 v108, 16, v101
	v_cndmask_b32_e64 v93, v93, v107, s7
	v_cndmask_b32_e32 v74, v74, v80, vcc_lo
	v_cndmask_b32_e64 v94, v94, v98, s6
	v_cndmask_b32_e32 v79, v79, v109, vcc_lo
	v_cndmask_b32_e64 v92, v92, v108, s9
	v_cndmask_b32_e64 v78, v78, v80, s26
	;; [unrolled: 1-line block ×4, first 2 shown]
	v_perm_b32 v94, v79, v74, 0x5040100
	v_cndmask_b32_e64 v79, v92, v102, s11
	v_perm_b32 v92, v95, v112, 0x5040100
	v_cndmask_b32_e64 v95, v99, v96, s4
	v_cndmask_b32_e64 v96, v99, v96, s20
	;; [unrolled: 1-line block ×16, first 2 shown]
	v_lshrrev_b32_e32 v109, 16, v105
	v_cndmask_b32_e64 v95, v95, v101, s19
	v_cndmask_b32_e64 v96, v96, v101, s25
	;; [unrolled: 1-line block ×6, first 2 shown]
	v_lshrrev_b32_e32 v80, 16, v102
	v_cndmask_b32_e64 v113, v93, v109, s9
	v_cndmask_b32_e64 v95, v95, v108, s21
	;; [unrolled: 1-line block ×6, first 2 shown]
	v_perm_b32 v93, v91, v78, 0x5040100
	v_cndmask_b32_e64 v74, v74, v102, s15
	v_cndmask_b32_e64 v78, v79, v80, s13
	;; [unrolled: 1-line block ×3, first 2 shown]
	v_lshrrev_b32_e32 v91, 16, v106
	v_cndmask_b32_e64 v95, v95, v102, s23
	v_cndmask_b32_e64 v96, v96, v102, s28
	;; [unrolled: 1-line block ×7, first 2 shown]
	v_cndmask_b32_e32 v80, v96, v80, vcc_lo
	v_cndmask_b32_e32 v96, v98, v91, vcc_lo
	v_cndmask_b32_e64 v99, v99, v91, s26
	v_cndmask_b32_e64 v100, v97, v91, s17
	;; [unrolled: 1-line block ×3, first 2 shown]
	v_perm_b32 v91, v111, v110, 0x5040100
	v_perm_b32 v98, v96, v80, 0x5040100
	;; [unrolled: 1-line block ×5, first 2 shown]
	s_mul_i32 s7, s35, 14
	s_mov_b32 s2, exec_lo
	ds_store_b128 v77, v[91:94]
	ds_store_b128 v77, v[95:98] offset:1024
	v_cmpx_gt_u32_e32 14, v0
	s_cbranch_execz .LBB723_80
; %bb.79:
	s_mul_i32 s3, s7, s30
	s_load_b128 s[8:11], s[0:1], 0x58
	v_add3_u32 v77, s3, s29, v73
	s_delay_alu instid0(VALU_DEP_1) | instskip(NEXT) | instid1(VALU_DEP_1)
	v_mad_u64_u32 v[73:74], null, v77, s34, s[14:15]
	v_ashrrev_i32_e32 v74, 31, v73
	s_delay_alu instid0(VALU_DEP_1) | instskip(SKIP_1) | instid1(VALU_DEP_1)
	v_lshlrev_b64 v[73:74], 2, v[73:74]
	s_waitcnt lgkmcnt(0)
	v_add_co_u32 v77, vcc_lo, s10, v73
	s_delay_alu instid0(VALU_DEP_2)
	v_add_co_ci_u32_e32 v78, vcc_lo, s11, v74, vcc_lo
	v_add_co_u32 v73, vcc_lo, s8, v73
	v_add_co_ci_u32_e32 v74, vcc_lo, s9, v74, vcc_lo
	global_store_b32 v[77:78], v75, off
	global_store_b32 v[73:74], v76, off
.LBB723_80:
	s_or_b32 exec_lo, exec_lo, s2
	s_waitcnt lgkmcnt(0)
	s_waitcnt_vscnt null, 0x0
	s_barrier
	buffer_gl0_inv
	ds_load_b128 v[91:94], v85
	ds_load_b128 v[95:98], v85 offset:16
	ds_load_b128 v[103:106], v85 offset:1040
	;; [unrolled: 1-line block ×3, first 2 shown]
	v_mov_b32_e32 v73, 0
	ds_load_b128 v[111:114], v85 offset:2064
	ds_load_b128 v[107:110], v85 offset:2048
	;; [unrolled: 1-line block ×6, first 2 shown]
	v_mov_b32_e32 v74, v73
	v_mov_b32_e32 v75, v73
	;; [unrolled: 1-line block ×7, first 2 shown]
	s_waitcnt lgkmcnt(8)
	s_delay_alu instid0(VALU_DEP_1)
	v_wmma_f32_16x16x16_bf16 v[73:80], v[65:72], v[91:98], v[73:80]
	ds_load_b128 v[69:72], v85 offset:5136
	ds_load_b128 v[65:68], v85 offset:5120
	ds_load_b128 v[95:98], v85 offset:6160
	ds_load_b128 v[91:94], v85 offset:6144
	s_waitcnt lgkmcnt(10)
	v_wmma_f32_16x16x16_bf16 v[73:80], v[57:64], v[99:106], v[73:80]
	s_waitcnt lgkmcnt(8)
	s_delay_alu instid0(VALU_DEP_1)
	v_wmma_f32_16x16x16_bf16 v[73:80], v[57:64], v[107:114], v[73:80]
	ds_load_b128 v[61:64], v85 offset:7184
	ds_load_b128 v[57:60], v85 offset:7168
	;; [unrolled: 1-line block ×4, first 2 shown]
	s_waitcnt lgkmcnt(10)
	v_wmma_f32_16x16x16_bf16 v[73:80], v[49:56], v[115:122], v[73:80]
	s_waitcnt lgkmcnt(8)
	s_delay_alu instid0(VALU_DEP_1)
	v_wmma_f32_16x16x16_bf16 v[73:80], v[49:56], v[123:130], v[73:80]
	ds_load_b128 v[53:56], v85 offset:9232
	ds_load_b128 v[49:52], v85 offset:9216
	s_waitcnt lgkmcnt(8)
	v_wmma_f32_16x16x16_bf16 v[73:80], v[41:48], v[65:72], v[73:80]
	ds_load_b128 v[69:72], v85 offset:10256
	ds_load_b128 v[65:68], v85 offset:10240
	s_waitcnt lgkmcnt(8)
	;; [unrolled: 4-line block ×3, first 2 shown]
	v_wmma_f32_16x16x16_bf16 v[73:80], v[9:16], v[57:64], v[73:80]
	s_waitcnt lgkmcnt(6)
	s_delay_alu instid0(VALU_DEP_1)
	v_wmma_f32_16x16x16_bf16 v[73:80], v[9:16], v[99:106], v[73:80]
	ds_load_b128 v[13:16], v85 offset:12304
	ds_load_b128 v[9:12], v85 offset:12288
	s_waitcnt lgkmcnt(6)
	v_wmma_f32_16x16x16_bf16 v[73:80], v[1:8], v[49:56], v[73:80]
	ds_load_b128 v[53:56], v85 offset:13328
	ds_load_b128 v[49:52], v85 offset:13312
	s_waitcnt lgkmcnt(6)
	;; [unrolled: 4-line block ×4, first 2 shown]
	v_wmma_f32_16x16x16_bf16 v[73:80], v[33:40], v[9:16], v[73:80]
	s_waitcnt lgkmcnt(4)
	s_delay_alu instid0(VALU_DEP_1) | instskip(SKIP_1) | instid1(VALU_DEP_1)
	v_wmma_f32_16x16x16_bf16 v[73:80], v[25:32], v[49:56], v[73:80]
	s_waitcnt lgkmcnt(2)
	v_wmma_f32_16x16x16_bf16 v[73:80], v[25:32], v[1:8], v[73:80]
	s_waitcnt lgkmcnt(0)
	s_delay_alu instid0(VALU_DEP_1) | instskip(NEXT) | instid1(VALU_DEP_1)
	v_wmma_f32_16x16x16_bf16 v[73:80], v[17:24], v[41:48], v[73:80]
	v_and_b32_e32 v1, 0x7f800000, v73
	s_delay_alu instid0(VALU_DEP_1) | instskip(SKIP_1) | instid1(SALU_CYCLE_1)
	v_cmp_ne_u32_e32 vcc_lo, 0x7f800000, v1
                                        ; implicit-def: $vgpr1
	s_and_saveexec_b32 s2, vcc_lo
	s_xor_b32 s2, exec_lo, s2
; %bb.81:
	v_bfe_u32 v1, v73, 16, 1
	s_delay_alu instid0(VALU_DEP_1)
	v_add3_u32 v1, v73, v1, 0x7fff
; %bb.82:
	s_and_not1_saveexec_b32 s2, s2
; %bb.83:
	v_and_b32_e32 v1, 0xffff, v73
	v_or_b32_e32 v2, 0x10000, v73
	s_delay_alu instid0(VALU_DEP_2) | instskip(NEXT) | instid1(VALU_DEP_2)
	v_cmp_eq_u32_e32 vcc_lo, 0, v1
	v_cndmask_b32_e32 v1, v2, v73, vcc_lo
; %bb.84:
	s_or_b32 exec_lo, exec_lo, s2
	v_and_b32_e32 v2, 0x7f800000, v74
	s_delay_alu instid0(VALU_DEP_1) | instskip(SKIP_1) | instid1(SALU_CYCLE_1)
	v_cmp_ne_u32_e32 vcc_lo, 0x7f800000, v2
                                        ; implicit-def: $vgpr2
	s_and_saveexec_b32 s2, vcc_lo
	s_xor_b32 s2, exec_lo, s2
; %bb.85:
	v_bfe_u32 v2, v74, 16, 1
	s_delay_alu instid0(VALU_DEP_1)
	v_add3_u32 v2, v74, v2, 0x7fff
; %bb.86:
	s_and_not1_saveexec_b32 s2, s2
; %bb.87:
	v_and_b32_e32 v2, 0xffff, v74
	v_or_b32_e32 v3, 0x10000, v74
	s_delay_alu instid0(VALU_DEP_2) | instskip(NEXT) | instid1(VALU_DEP_2)
	v_cmp_eq_u32_e32 vcc_lo, 0, v2
	v_cndmask_b32_e32 v2, v3, v74, vcc_lo
; %bb.88:
	s_or_b32 exec_lo, exec_lo, s2
	v_and_b32_e32 v3, 0x7f800000, v75
	s_delay_alu instid0(VALU_DEP_1) | instskip(SKIP_1) | instid1(SALU_CYCLE_1)
	v_cmp_ne_u32_e32 vcc_lo, 0x7f800000, v3
                                        ; implicit-def: $vgpr3
	s_and_saveexec_b32 s2, vcc_lo
	s_xor_b32 s2, exec_lo, s2
; %bb.89:
	v_bfe_u32 v3, v75, 16, 1
	s_delay_alu instid0(VALU_DEP_1)
	v_add3_u32 v3, v75, v3, 0x7fff
; %bb.90:
	s_and_not1_saveexec_b32 s2, s2
; %bb.91:
	v_and_b32_e32 v3, 0xffff, v75
	v_or_b32_e32 v4, 0x10000, v75
	s_delay_alu instid0(VALU_DEP_2) | instskip(NEXT) | instid1(VALU_DEP_2)
	v_cmp_eq_u32_e32 vcc_lo, 0, v3
	v_cndmask_b32_e32 v3, v4, v75, vcc_lo
; %bb.92:
	s_or_b32 exec_lo, exec_lo, s2
	v_and_b32_e32 v4, 0x7f800000, v76
	s_delay_alu instid0(VALU_DEP_1) | instskip(SKIP_1) | instid1(SALU_CYCLE_1)
	v_cmp_ne_u32_e32 vcc_lo, 0x7f800000, v4
                                        ; implicit-def: $vgpr4
	s_and_saveexec_b32 s2, vcc_lo
	s_xor_b32 s2, exec_lo, s2
; %bb.93:
	v_bfe_u32 v4, v76, 16, 1
	s_delay_alu instid0(VALU_DEP_1)
	v_add3_u32 v4, v76, v4, 0x7fff
; %bb.94:
	s_and_not1_saveexec_b32 s2, s2
; %bb.95:
	v_and_b32_e32 v4, 0xffff, v76
	v_or_b32_e32 v5, 0x10000, v76
	s_delay_alu instid0(VALU_DEP_2) | instskip(NEXT) | instid1(VALU_DEP_2)
	v_cmp_eq_u32_e32 vcc_lo, 0, v4
	v_cndmask_b32_e32 v4, v5, v76, vcc_lo
; %bb.96:
	s_or_b32 exec_lo, exec_lo, s2
	v_and_b32_e32 v5, 0x7f800000, v77
	s_delay_alu instid0(VALU_DEP_1) | instskip(SKIP_1) | instid1(SALU_CYCLE_1)
	v_cmp_ne_u32_e32 vcc_lo, 0x7f800000, v5
                                        ; implicit-def: $vgpr5
	s_and_saveexec_b32 s2, vcc_lo
	s_xor_b32 s2, exec_lo, s2
; %bb.97:
	v_bfe_u32 v5, v77, 16, 1
	s_delay_alu instid0(VALU_DEP_1)
	v_add3_u32 v5, v77, v5, 0x7fff
; %bb.98:
	s_and_not1_saveexec_b32 s2, s2
; %bb.99:
	v_and_b32_e32 v5, 0xffff, v77
	v_or_b32_e32 v6, 0x10000, v77
	s_delay_alu instid0(VALU_DEP_2) | instskip(NEXT) | instid1(VALU_DEP_2)
	v_cmp_eq_u32_e32 vcc_lo, 0, v5
	v_cndmask_b32_e32 v5, v6, v77, vcc_lo
; %bb.100:
	s_or_b32 exec_lo, exec_lo, s2
	v_and_b32_e32 v6, 0x7f800000, v78
	s_delay_alu instid0(VALU_DEP_1) | instskip(SKIP_1) | instid1(SALU_CYCLE_1)
	v_cmp_ne_u32_e32 vcc_lo, 0x7f800000, v6
                                        ; implicit-def: $vgpr6
	s_and_saveexec_b32 s2, vcc_lo
	s_xor_b32 s2, exec_lo, s2
; %bb.101:
	v_bfe_u32 v6, v78, 16, 1
	s_delay_alu instid0(VALU_DEP_1)
	v_add3_u32 v6, v78, v6, 0x7fff
; %bb.102:
	s_and_not1_saveexec_b32 s2, s2
; %bb.103:
	v_and_b32_e32 v6, 0xffff, v78
	v_or_b32_e32 v7, 0x10000, v78
	s_delay_alu instid0(VALU_DEP_2) | instskip(NEXT) | instid1(VALU_DEP_2)
	v_cmp_eq_u32_e32 vcc_lo, 0, v6
	v_cndmask_b32_e32 v6, v7, v78, vcc_lo
; %bb.104:
	s_or_b32 exec_lo, exec_lo, s2
	v_and_b32_e32 v7, 0x7f800000, v79
	s_delay_alu instid0(VALU_DEP_1) | instskip(SKIP_1) | instid1(SALU_CYCLE_1)
	v_cmp_ne_u32_e32 vcc_lo, 0x7f800000, v7
                                        ; implicit-def: $vgpr7
	s_and_saveexec_b32 s2, vcc_lo
	s_xor_b32 s2, exec_lo, s2
; %bb.105:
	v_bfe_u32 v7, v79, 16, 1
	s_delay_alu instid0(VALU_DEP_1)
	v_add3_u32 v7, v79, v7, 0x7fff
; %bb.106:
	s_and_not1_saveexec_b32 s2, s2
; %bb.107:
	v_and_b32_e32 v7, 0xffff, v79
	v_or_b32_e32 v8, 0x10000, v79
	s_delay_alu instid0(VALU_DEP_2) | instskip(NEXT) | instid1(VALU_DEP_2)
	v_cmp_eq_u32_e32 vcc_lo, 0, v7
	v_cndmask_b32_e32 v7, v8, v79, vcc_lo
; %bb.108:
	s_or_b32 exec_lo, exec_lo, s2
	v_and_b32_e32 v8, 0x7f800000, v80
	s_delay_alu instid0(VALU_DEP_1) | instskip(SKIP_1) | instid1(SALU_CYCLE_1)
	v_cmp_ne_u32_e32 vcc_lo, 0x7f800000, v8
                                        ; implicit-def: $vgpr8
	s_and_saveexec_b32 s2, vcc_lo
	s_xor_b32 s2, exec_lo, s2
; %bb.109:
	v_bfe_u32 v8, v80, 16, 1
	s_delay_alu instid0(VALU_DEP_1)
	v_add3_u32 v8, v80, v8, 0x7fff
                                        ; implicit-def: $vgpr73_vgpr74_vgpr75_vgpr76_vgpr77_vgpr78_vgpr79_vgpr80
; %bb.110:
	s_and_not1_saveexec_b32 s2, s2
; %bb.111:
	v_and_b32_e32 v8, 0xffff, v80
	v_or_b32_e32 v9, 0x10000, v80
	s_delay_alu instid0(VALU_DEP_2) | instskip(NEXT) | instid1(VALU_DEP_2)
	v_cmp_eq_u32_e32 vcc_lo, 0, v8
	v_cndmask_b32_e32 v8, v9, v80, vcc_lo
; %bb.112:
	s_or_b32 exec_lo, exec_lo, s2
	s_delay_alu instid0(VALU_DEP_1)
	v_perm_b32 v7, v8, v7, 0x7060302
	v_perm_b32 v6, v6, v5, 0x7060302
	;; [unrolled: 1-line block ×4, first 2 shown]
	v_lshl_or_b32 v9, v83, 4, v90
	s_barrier
	buffer_gl0_inv
	v_cmp_eq_u32_e32 vcc_lo, 1, v87
	ds_store_b128 v9, v[4:7]
	s_waitcnt lgkmcnt(0)
	s_barrier
	buffer_gl0_inv
	ds_load_b128 v[1:4], v90
	ds_load_b128 v[5:8], v90 offset:16
	v_cmp_eq_u32_e64 s3, 2, v87
	v_cmp_eq_u32_e64 s2, 1, v88
	;; [unrolled: 1-line block ×5, first 2 shown]
	s_waitcnt lgkmcnt(1)
	v_lshrrev_b32_e32 v10, 16, v1
	s_waitcnt lgkmcnt(0)
	v_lshrrev_b32_e32 v14, 16, v5
	v_lshrrev_b32_e32 v15, 16, v6
	v_lshrrev_b32_e32 v11, 16, v2
	v_lshrrev_b32_e32 v12, 16, v3
	v_cndmask_b32_e64 v20, v1, v10, s2
	v_cndmask_b32_e32 v19, v5, v14, vcc_lo
	v_cndmask_b32_e64 v21, v5, v14, s2
	v_lshrrev_b32_e32 v16, 16, v7
	v_cmp_eq_u32_e64 s2, 1, v86
	v_lshrrev_b32_e32 v13, 16, v4
	v_cndmask_b32_e64 v19, v19, v6, s3
	v_lshrrev_b32_e32 v17, 16, v8
	s_delay_alu instid0(VALU_DEP_4) | instskip(SKIP_1) | instid1(VALU_DEP_4)
	v_cndmask_b32_e64 v22, v1, v10, s2
	v_cndmask_b32_e64 v23, v5, v14, s2
	;; [unrolled: 1-line block ×3, first 2 shown]
	v_cndmask_b32_e32 v18, v1, v10, vcc_lo
	v_cmp_eq_u32_e32 vcc_lo, 2, v88
	v_cmp_eq_u32_e64 s2, 2, v89
	v_cndmask_b32_e64 v22, v22, v2, s6
	v_cndmask_b32_e32 v20, v20, v2, vcc_lo
	v_cndmask_b32_e32 v21, v21, v6, vcc_lo
	v_cmp_eq_u32_e32 vcc_lo, 4, v87
	v_cndmask_b32_e32 v19, v19, v7, vcc_lo
	v_cndmask_b32_e64 v18, v18, v2, s3
	v_cmp_eq_u32_e64 s3, 3, v88
	s_delay_alu instid0(VALU_DEP_2) | instskip(NEXT) | instid1(VALU_DEP_2)
	v_cndmask_b32_e64 v18, v18, v11, s4
	v_cndmask_b32_e64 v21, v21, v15, s3
	v_cmp_eq_u32_e64 s4, 5, v87
	s_delay_alu instid0(VALU_DEP_3) | instskip(SKIP_1) | instid1(VALU_DEP_3)
	v_cndmask_b32_e32 v18, v18, v3, vcc_lo
	v_cmp_eq_u32_e32 vcc_lo, 4, v88
	v_cndmask_b32_e64 v19, v19, v16, s4
	s_delay_alu instid0(VALU_DEP_3) | instskip(SKIP_4) | instid1(VALU_DEP_3)
	v_cndmask_b32_e64 v18, v18, v12, s4
	v_cndmask_b32_e32 v21, v21, v7, vcc_lo
	v_cndmask_b32_e64 v20, v20, v11, s3
	v_cmp_eq_u32_e64 s3, 5, v88
	v_cmp_eq_u32_e64 s4, 6, v87
	v_cndmask_b32_e32 v20, v20, v3, vcc_lo
	s_delay_alu instid0(VALU_DEP_3) | instskip(SKIP_1) | instid1(VALU_DEP_4)
	v_cndmask_b32_e64 v21, v21, v16, s3
	v_cmp_eq_u32_e32 vcc_lo, 6, v88
	v_cndmask_b32_e64 v18, v18, v4, s4
	v_cndmask_b32_e64 v19, v19, v8, s4
	;; [unrolled: 1-line block ×3, first 2 shown]
	v_cmp_eq_u32_e64 s3, 1, v89
	v_cmp_eq_u32_e64 s4, 7, v87
	s_delay_alu instid0(VALU_DEP_3) | instskip(NEXT) | instid1(VALU_DEP_3)
	v_cndmask_b32_e32 v20, v20, v4, vcc_lo
	v_cndmask_b32_e64 v1, v1, v10, s3
	v_cndmask_b32_e64 v5, v5, v14, s3
	v_cmp_eq_u32_e64 s3, 3, v86
	v_cndmask_b32_e64 v14, v23, v6, s6
	v_cmp_eq_u32_e64 s6, 3, v89
	v_cndmask_b32_e64 v1, v1, v2, s2
	v_cndmask_b32_e64 v2, v5, v6, s2
	;; [unrolled: 1-line block ×3, first 2 shown]
	v_cmp_eq_u32_e64 s2, 4, v86
	v_cndmask_b32_e64 v6, v14, v15, s3
	v_cndmask_b32_e64 v1, v1, v11, s6
	v_cmp_eq_u32_e64 s3, 4, v89
	v_cndmask_b32_e64 v2, v2, v15, s6
	v_cndmask_b32_e64 v5, v10, v3, s2
	;; [unrolled: 3-line block ×3, first 2 shown]
	v_cndmask_b32_e64 v2, v2, v7, s3
	v_cmp_eq_u32_e64 s2, 5, v89
	v_cndmask_b32_e64 v5, v5, v12, s6
	v_cmp_eq_u32_e64 s3, 6, v86
	;; [unrolled: 2-line block ×3, first 2 shown]
	v_cndmask_b32_e64 v1, v1, v12, s2
	v_cndmask_b32_e64 v2, v2, v16, s2
	;; [unrolled: 1-line block ×4, first 2 shown]
	v_cmp_eq_u32_e64 s2, 7, v89
	v_cndmask_b32_e64 v1, v1, v4, s6
	v_cndmask_b32_e64 v2, v2, v8, s6
	v_cmp_eq_u32_e64 s3, 7, v86
	v_cndmask_b32_e32 v4, v21, v8, vcc_lo
	v_cndmask_b32_e64 v18, v18, v13, s4
	v_cndmask_b32_e64 v20, v20, v13, s5
	;; [unrolled: 1-line block ×8, first 2 shown]
	s_mov_b32 s2, exec_lo
	v_perm_b32 v4, v2, v1, 0x5040100
	v_perm_b32 v3, v3, v5, 0x5040100
	v_perm_b32 v2, v6, v20, 0x5040100
	v_perm_b32 v1, v7, v18, 0x5040100
	ds_store_b128 v9, v[1:4]
	s_waitcnt lgkmcnt(0)
	s_barrier
	buffer_gl0_inv
	v_cmpx_gt_u32_e32 32, v0
	s_cbranch_execz .LBB723_2
; %bb.113:
	s_load_b64 s[0:1], s[0:1], 0x68
	v_lshlrev_b32_e32 v0, 10, v0
	s_lshl_b32 s4, s34, 7
	v_or_b32_e32 v3, s29, v83
	s_mul_i32 s2, s4, s30
	v_lshlrev_b32_e32 v1, 4, v84
	v_lshlrev_b32_e32 v2, 6, v83
	v_and_b32_e32 v0, 0x3800, v0
	s_mul_i32 s2, s2, s7
	v_mul_lo_u32 v8, v3, s4
	s_ashr_i32 s3, s2, 31
	s_delay_alu instid0(SALU_CYCLE_1)
	s_lshl_b64 s[2:3], s[2:3], 1
	v_or3_b32 v16, v0, v1, v2
	ds_load_b128 v[0:3], v16
	ds_load_b128 v[4:7], v16 offset:128
	v_ashrrev_i32_e32 v9, 31, v8
	s_waitcnt lgkmcnt(0)
	s_add_u32 s2, s0, s2
	s_addc_u32 s3, s1, s3
	s_lshl_b32 s0, s14, 7
	s_delay_alu instid0(SALU_CYCLE_1) | instskip(SKIP_2) | instid1(SALU_CYCLE_1)
	s_ashr_i32 s1, s0, 31
	v_lshlrev_b64 v[9:10], 1, v[8:9]
	s_lshl_b64 s[0:1], s[0:1], 1
	s_add_u32 s0, s2, s0
	s_addc_u32 s1, s3, s1
	s_lshl_b32 s2, s34, 8
	v_add_co_u32 v30, vcc_lo, s0, v81
	v_add_nc_u32_e32 v11, s2, v8
	v_add_co_ci_u32_e32 v31, vcc_lo, s1, v82, vcc_lo
	s_delay_alu instid0(VALU_DEP_3) | instskip(NEXT) | instid1(VALU_DEP_3)
	v_add_co_u32 v9, vcc_lo, v30, v9
	v_add_nc_u32_e32 v8, s2, v11
	s_delay_alu instid0(VALU_DEP_3) | instskip(SKIP_1) | instid1(VALU_DEP_3)
	v_add_co_ci_u32_e32 v10, vcc_lo, v31, v10, vcc_lo
	v_ashrrev_i32_e32 v12, 31, v11
	v_add_nc_u32_e32 v13, s2, v8
	global_store_b128 v[9:10], v[0:3], off
	v_ashrrev_i32_e32 v9, 31, v8
	v_lshlrev_b64 v[11:12], 1, v[11:12]
	v_ashrrev_i32_e32 v14, 31, v13
	v_add_nc_u32_e32 v10, s2, v13
	s_delay_alu instid0(VALU_DEP_4) | instskip(NEXT) | instid1(VALU_DEP_4)
	v_lshlrev_b64 v[2:3], 1, v[8:9]
	v_add_co_u32 v0, vcc_lo, v30, v11
	s_delay_alu instid0(VALU_DEP_4)
	v_lshlrev_b64 v[8:9], 1, v[13:14]
	v_add_co_ci_u32_e32 v1, vcc_lo, v31, v12, vcc_lo
	v_ashrrev_i32_e32 v11, 31, v10
	v_add_co_u32 v22, vcc_lo, v30, v2
	v_add_nc_u32_e32 v20, s2, v10
	v_add_co_ci_u32_e32 v23, vcc_lo, v31, v3, vcc_lo
	v_add_co_u32 v24, vcc_lo, v30, v8
	global_store_b128 v[0:1], v[4:7], off
	v_add_co_ci_u32_e32 v25, vcc_lo, v31, v9, vcc_lo
	ds_load_b128 v[0:3], v16 offset:256
	ds_load_b128 v[4:7], v16 offset:384
	v_lshlrev_b64 v[26:27], 1, v[10:11]
	ds_load_b128 v[8:11], v16 offset:512
	ds_load_b128 v[12:15], v16 offset:640
	;; [unrolled: 1-line block ×3, first 2 shown]
	v_add_nc_u32_e32 v28, s2, v20
	v_ashrrev_i32_e32 v21, 31, v20
	v_add_co_u32 v26, vcc_lo, v30, v26
	s_delay_alu instid0(VALU_DEP_3) | instskip(NEXT) | instid1(VALU_DEP_3)
	v_ashrrev_i32_e32 v29, 31, v28
	v_lshlrev_b64 v[20:21], 1, v[20:21]
	v_add_co_ci_u32_e32 v27, vcc_lo, v31, v27, vcc_lo
	s_delay_alu instid0(VALU_DEP_3) | instskip(NEXT) | instid1(VALU_DEP_3)
	v_lshlrev_b64 v[28:29], 1, v[28:29]
	v_add_co_u32 v20, vcc_lo, v30, v20
	s_delay_alu instid0(VALU_DEP_4) | instskip(NEXT) | instid1(VALU_DEP_3)
	v_add_co_ci_u32_e32 v21, vcc_lo, v31, v21, vcc_lo
	v_add_co_u32 v28, vcc_lo, v30, v28
	s_delay_alu instid0(VALU_DEP_4)
	v_add_co_ci_u32_e32 v29, vcc_lo, v31, v29, vcc_lo
	s_waitcnt lgkmcnt(4)
	global_store_b128 v[22:23], v[0:3], off
	s_waitcnt lgkmcnt(3)
	global_store_b128 v[24:25], v[4:7], off
	s_waitcnt lgkmcnt(2)
	global_store_b128 v[26:27], v[8:11], off
	s_waitcnt lgkmcnt(1)
	global_store_b128 v[20:21], v[12:15], off
	s_waitcnt lgkmcnt(0)
	global_store_b128 v[28:29], v[16:19], off
	s_nop 0
	s_sendmsg sendmsg(MSG_DEALLOC_VGPRS)
	s_endpgm
	.section	.rodata,"a",@progbits
	.p2align	6, 0x0
	.amdhsa_kernel _Z39paged_attention_ll4mi_QKV_mfma16_kernelI14__hip_bfloat16S0_LN4vllm18Fp8KVCacheDataTypeE0EhLi32ELi128ELi256ELb0ELi14EL8MFMAType0EEvPKT_PKT0_S9_ifPKiSB_SB_iPKfiiiPfSE_PS4_PT2_iSD_SD_
		.amdhsa_group_segment_fixed_size 17472
		.amdhsa_private_segment_fixed_size 0
		.amdhsa_kernarg_size 400
		.amdhsa_user_sgpr_count 13
		.amdhsa_user_sgpr_dispatch_ptr 0
		.amdhsa_user_sgpr_queue_ptr 0
		.amdhsa_user_sgpr_kernarg_segment_ptr 1
		.amdhsa_user_sgpr_dispatch_id 0
		.amdhsa_user_sgpr_private_segment_size 0
		.amdhsa_wavefront_size32 1
		.amdhsa_uses_dynamic_stack 0
		.amdhsa_enable_private_segment 0
		.amdhsa_system_sgpr_workgroup_id_x 1
		.amdhsa_system_sgpr_workgroup_id_y 1
		.amdhsa_system_sgpr_workgroup_id_z 1
		.amdhsa_system_sgpr_workgroup_info 0
		.amdhsa_system_vgpr_workitem_id 0
		.amdhsa_next_free_vgpr 157
		.amdhsa_next_free_sgpr 40
		.amdhsa_reserve_vcc 1
		.amdhsa_float_round_mode_32 0
		.amdhsa_float_round_mode_16_64 0
		.amdhsa_float_denorm_mode_32 3
		.amdhsa_float_denorm_mode_16_64 3
		.amdhsa_dx10_clamp 1
		.amdhsa_ieee_mode 1
		.amdhsa_fp16_overflow 0
		.amdhsa_workgroup_processor_mode 1
		.amdhsa_memory_ordered 1
		.amdhsa_forward_progress 0
		.amdhsa_shared_vgpr_count 0
		.amdhsa_exception_fp_ieee_invalid_op 0
		.amdhsa_exception_fp_denorm_src 0
		.amdhsa_exception_fp_ieee_div_zero 0
		.amdhsa_exception_fp_ieee_overflow 0
		.amdhsa_exception_fp_ieee_underflow 0
		.amdhsa_exception_fp_ieee_inexact 0
		.amdhsa_exception_int_div_zero 0
	.end_amdhsa_kernel
	.section	.text._Z39paged_attention_ll4mi_QKV_mfma16_kernelI14__hip_bfloat16S0_LN4vllm18Fp8KVCacheDataTypeE0EhLi32ELi128ELi256ELb0ELi14EL8MFMAType0EEvPKT_PKT0_S9_ifPKiSB_SB_iPKfiiiPfSE_PS4_PT2_iSD_SD_,"axG",@progbits,_Z39paged_attention_ll4mi_QKV_mfma16_kernelI14__hip_bfloat16S0_LN4vllm18Fp8KVCacheDataTypeE0EhLi32ELi128ELi256ELb0ELi14EL8MFMAType0EEvPKT_PKT0_S9_ifPKiSB_SB_iPKfiiiPfSE_PS4_PT2_iSD_SD_,comdat
.Lfunc_end723:
	.size	_Z39paged_attention_ll4mi_QKV_mfma16_kernelI14__hip_bfloat16S0_LN4vllm18Fp8KVCacheDataTypeE0EhLi32ELi128ELi256ELb0ELi14EL8MFMAType0EEvPKT_PKT0_S9_ifPKiSB_SB_iPKfiiiPfSE_PS4_PT2_iSD_SD_, .Lfunc_end723-_Z39paged_attention_ll4mi_QKV_mfma16_kernelI14__hip_bfloat16S0_LN4vllm18Fp8KVCacheDataTypeE0EhLi32ELi128ELi256ELb0ELi14EL8MFMAType0EEvPKT_PKT0_S9_ifPKiSB_SB_iPKfiiiPfSE_PS4_PT2_iSD_SD_
                                        ; -- End function
	.section	.AMDGPU.csdata,"",@progbits
; Kernel info:
; codeLenInByte = 9916
; NumSgprs: 42
; NumVgprs: 157
; ScratchSize: 0
; MemoryBound: 0
; FloatMode: 240
; IeeeMode: 1
; LDSByteSize: 17472 bytes/workgroup (compile time only)
; SGPRBlocks: 5
; VGPRBlocks: 19
; NumSGPRsForWavesPerEU: 42
; NumVGPRsForWavesPerEU: 157
; Occupancy: 9
; WaveLimiterHint : 1
; COMPUTE_PGM_RSRC2:SCRATCH_EN: 0
; COMPUTE_PGM_RSRC2:USER_SGPR: 13
; COMPUTE_PGM_RSRC2:TRAP_HANDLER: 0
; COMPUTE_PGM_RSRC2:TGID_X_EN: 1
; COMPUTE_PGM_RSRC2:TGID_Y_EN: 1
; COMPUTE_PGM_RSRC2:TGID_Z_EN: 1
; COMPUTE_PGM_RSRC2:TIDIG_COMP_CNT: 0
	.section	.text._Z39paged_attention_ll4mi_QKV_mfma16_kernelI14__hip_bfloat16S0_LN4vllm18Fp8KVCacheDataTypeE0EhLi32ELi128ELi256ELb0ELi15EL8MFMAType0EEvPKT_PKT0_S9_ifPKiSB_SB_iPKfiiiPfSE_PS4_PT2_iSD_SD_,"axG",@progbits,_Z39paged_attention_ll4mi_QKV_mfma16_kernelI14__hip_bfloat16S0_LN4vllm18Fp8KVCacheDataTypeE0EhLi32ELi128ELi256ELb0ELi15EL8MFMAType0EEvPKT_PKT0_S9_ifPKiSB_SB_iPKfiiiPfSE_PS4_PT2_iSD_SD_,comdat
	.protected	_Z39paged_attention_ll4mi_QKV_mfma16_kernelI14__hip_bfloat16S0_LN4vllm18Fp8KVCacheDataTypeE0EhLi32ELi128ELi256ELb0ELi15EL8MFMAType0EEvPKT_PKT0_S9_ifPKiSB_SB_iPKfiiiPfSE_PS4_PT2_iSD_SD_ ; -- Begin function _Z39paged_attention_ll4mi_QKV_mfma16_kernelI14__hip_bfloat16S0_LN4vllm18Fp8KVCacheDataTypeE0EhLi32ELi128ELi256ELb0ELi15EL8MFMAType0EEvPKT_PKT0_S9_ifPKiSB_SB_iPKfiiiPfSE_PS4_PT2_iSD_SD_
	.globl	_Z39paged_attention_ll4mi_QKV_mfma16_kernelI14__hip_bfloat16S0_LN4vllm18Fp8KVCacheDataTypeE0EhLi32ELi128ELi256ELb0ELi15EL8MFMAType0EEvPKT_PKT0_S9_ifPKiSB_SB_iPKfiiiPfSE_PS4_PT2_iSD_SD_
	.p2align	8
	.type	_Z39paged_attention_ll4mi_QKV_mfma16_kernelI14__hip_bfloat16S0_LN4vllm18Fp8KVCacheDataTypeE0EhLi32ELi128ELi256ELb0ELi15EL8MFMAType0EEvPKT_PKT0_S9_ifPKiSB_SB_iPKfiiiPfSE_PS4_PT2_iSD_SD_,@function
_Z39paged_attention_ll4mi_QKV_mfma16_kernelI14__hip_bfloat16S0_LN4vllm18Fp8KVCacheDataTypeE0EhLi32ELi128ELi256ELb0ELi15EL8MFMAType0EEvPKT_PKT0_S9_ifPKiSB_SB_iPKfiiiPfSE_PS4_PT2_iSD_SD_: ; @_Z39paged_attention_ll4mi_QKV_mfma16_kernelI14__hip_bfloat16S0_LN4vllm18Fp8KVCacheDataTypeE0EhLi32ELi128ELi256ELb0ELi15EL8MFMAType0EEvPKT_PKT0_S9_ifPKiSB_SB_iPKfiiiPfSE_PS4_PT2_iSD_SD_
; %bb.0:
	s_load_b64 s[2:3], s[0:1], 0x30
	s_mov_b32 s30, s13
	s_waitcnt lgkmcnt(0)
	s_cmp_lg_u64 s[2:3], 0
	s_cselect_b32 s6, -1, 0
	s_ashr_i32 s31, s13, 31
	s_cmp_eq_u64 s[2:3], 0
	s_cbranch_scc1 .LBB724_3
; %bb.1:
	s_lshl_b64 s[4:5], s[30:31], 2
	s_delay_alu instid0(SALU_CYCLE_1) | instskip(SKIP_4) | instid1(SALU_CYCLE_1)
	s_add_u32 s4, s2, s4
	s_addc_u32 s5, s3, s5
	s_load_b64 s[4:5], s[4:5], 0x0
	s_waitcnt lgkmcnt(0)
	s_sub_i32 s4, s5, s4
	s_cmp_eq_u32 s4, 1
	s_cselect_b32 s4, -1, 0
	s_delay_alu instid0(SALU_CYCLE_1)
	s_and_not1_b32 vcc_lo, exec_lo, s4
	s_cbranch_vccz .LBB724_4
.LBB724_2:
	s_nop 0
	s_sendmsg sendmsg(MSG_DEALLOC_VGPRS)
	s_endpgm
.LBB724_3:
.LBB724_4:
	s_load_b64 s[8:9], s[0:1], 0x28
	s_lshl_b64 s[4:5], s[30:31], 2
	s_waitcnt lgkmcnt(0)
	s_add_u32 s8, s8, s4
	s_addc_u32 s9, s9, s5
	s_lshl_b32 s12, s14, 8
	s_load_b32 s17, s[8:9], 0x0
	s_waitcnt lgkmcnt(0)
	s_cmp_ge_i32 s12, s17
	s_cbranch_scc1 .LBB724_2
; %bb.5:
	s_and_not1_b32 vcc_lo, exec_lo, s6
	s_cbranch_vccnz .LBB724_7
; %bb.6:
	s_add_u32 s2, s2, s4
	s_addc_u32 s3, s3, s5
	s_load_b32 s13, s[2:3], 0x0
	s_branch .LBB724_8
.LBB724_7:
	s_mov_b32 s13, s30
.LBB724_8:
	s_clause 0x2
	s_load_b128 s[8:11], s[0:1], 0x8
	s_load_b64 s[2:3], s[0:1], 0x20
	s_load_b128 s[4:7], s[0:1], 0x48
	v_lshrrev_b32_e32 v74, 5, v0
	v_bfe_u32 v83, v0, 4, 1
	v_and_b32_e32 v73, 15, v0
	s_waitcnt lgkmcnt(0)
	s_mov_b32 s7, exec_lo
	s_delay_alu instid0(VALU_DEP_2) | instskip(NEXT) | instid1(VALU_DEP_2)
	v_lshl_or_b32 v3, v74, 1, v83
	v_lshlrev_b32_e32 v1, 3, v73
	s_delay_alu instid0(VALU_DEP_2)
	v_cmpx_lt_u32_e32 14, v3
	s_xor_b32 s7, exec_lo, s7
; %bb.9:
	v_mov_b32_e32 v2, 0
                                        ; implicit-def: $vgpr3
; %bb.10:
	s_or_saveexec_b32 s7, s7
	v_and_b32_e32 v75, 31, v0
	v_and_b32_e32 v84, 1, v0
	s_mul_i32 s31, s15, 15
	s_xor_b32 exec_lo, exec_lo, s7
	s_cbranch_execz .LBB724_12
; %bb.11:
	s_load_b64 s[18:19], s[0:1], 0x0
	v_add_lshl_u32 v4, v3, s31, 7
	s_mul_hi_i32 s21, s13, s4
	s_mul_i32 s20, s13, s4
	v_lshlrev_b32_e32 v2, 1, v1
	s_lshl_b64 s[20:21], s[20:21], 1
	v_ashrrev_i32_e32 v5, 31, v4
	v_lshlrev_b32_e32 v3, 6, v3
	v_lshlrev_b32_e32 v8, 10, v84
	s_delay_alu instid0(VALU_DEP_3) | instskip(SKIP_3) | instid1(VALU_DEP_1)
	v_lshlrev_b64 v[4:5], 1, v[4:5]
	s_waitcnt lgkmcnt(0)
	s_add_u32 s4, s18, s20
	s_addc_u32 s13, s19, s21
	v_add_co_u32 v4, vcc_lo, s4, v4
	s_delay_alu instid0(VALU_DEP_2) | instskip(NEXT) | instid1(VALU_DEP_2)
	v_add_co_ci_u32_e32 v5, vcc_lo, s13, v5, vcc_lo
	v_add_co_u32 v4, vcc_lo, v4, v2
	s_delay_alu instid0(VALU_DEP_2) | instskip(SKIP_3) | instid1(VALU_DEP_1)
	v_add_co_ci_u32_e32 v5, vcc_lo, 0, v5, vcc_lo
	v_lshlrev_b32_e32 v2, 10, v73
	global_load_b128 v[4:7], v[4:5], off
	v_and_b32_e32 v2, 0x3800, v2
	v_or3_b32 v3, v2, v8, v3
	v_mov_b32_e32 v2, 0
	s_waitcnt vmcnt(0)
	ds_store_b128 v3, v[4:7]
.LBB724_12:
	s_or_b32 exec_lo, exec_lo, s7
	v_and_b32_e32 v3, 0xef, v0
	s_add_i32 s4, s17, 31
	s_clause 0x1
	s_load_b32 s7, s[0:1], 0x38
	s_load_b32 s18, s[0:1], 0x1c
	s_ashr_i32 s13, s4, 31
	v_add_nc_u32_e32 v3, s12, v3
	s_lshr_b32 s13, s13, 27
	s_waitcnt lgkmcnt(0)
	s_add_i32 s4, s4, s13
	s_barrier
	v_ashrrev_i32_e32 v4, 31, v3
	v_cmp_gt_i32_e32 vcc_lo, s17, v3
	s_ashr_i32 s4, s4, 5
	buffer_gl0_inv
	s_add_i32 s4, s4, -1
	v_lshrrev_b32_e32 v5, 27, v4
	v_or_b32_e32 v4, 16, v3
	v_lshlrev_b64 v[81:82], 1, v[1:2]
	s_delay_alu instid0(VALU_DEP_3) | instskip(NEXT) | instid1(VALU_DEP_3)
	v_add_nc_u32_e32 v6, v3, v5
	v_add_nc_u32_e32 v5, v4, v5
	s_mul_i32 s20, s30, s7
	s_delay_alu instid0(SALU_CYCLE_1) | instskip(NEXT) | instid1(VALU_DEP_2)
	s_ashr_i32 s21, s20, 31
	v_ashrrev_i32_e32 v6, 5, v6
	s_delay_alu instid0(VALU_DEP_2) | instskip(SKIP_1) | instid1(SALU_CYCLE_1)
	v_ashrrev_i32_e32 v5, 5, v5
	s_lshl_b64 s[20:21], s[20:21], 2
	s_add_u32 s7, s2, s20
	s_delay_alu instid0(VALU_DEP_2) | instskip(SKIP_3) | instid1(SALU_CYCLE_1)
	v_cndmask_b32_e32 v3, s4, v6, vcc_lo
	v_cmp_gt_i32_e32 vcc_lo, s17, v4
	s_addc_u32 s13, s3, s21
	s_mul_i32 s2, s15, s6
	s_ashr_i32 s3, s2, 31
	v_cndmask_b32_e32 v5, s4, v5, vcc_lo
	v_ashrrev_i32_e32 v4, 31, v3
	s_lshl_b64 s[2:3], s[2:3], 1
	s_delay_alu instid0(SALU_CYCLE_1) | instskip(NEXT) | instid1(VALU_DEP_2)
	s_add_u32 s6, s8, s2
	v_ashrrev_i32_e32 v6, 31, v5
	s_delay_alu instid0(VALU_DEP_2) | instskip(SKIP_2) | instid1(VALU_DEP_2)
	v_lshlrev_b64 v[3:4], 2, v[3:4]
	s_addc_u32 s15, s9, s3
	s_lshl_b32 s8, s14, 3
	v_lshlrev_b64 v[5:6], 2, v[5:6]
	s_ashr_i32 s9, s8, 31
	s_delay_alu instid0(VALU_DEP_2) | instskip(SKIP_1) | instid1(VALU_DEP_3)
	v_add_co_u32 v3, vcc_lo, s7, v3
	v_add_co_ci_u32_e32 v4, vcc_lo, s13, v4, vcc_lo
	v_add_co_u32 v5, vcc_lo, s7, v5
	s_delay_alu instid0(VALU_DEP_4)
	v_add_co_ci_u32_e32 v6, vcc_lo, s13, v6, vcc_lo
	s_lshl_b64 s[8:9], s[8:9], 2
	s_clause 0x1
	global_load_b32 v7, v[3:4], off
	global_load_b32 v8, v[5:6], off
	s_add_u32 s8, s7, s8
	s_addc_u32 s9, s13, s9
	s_or_b32 s16, s12, 32
	s_delay_alu instid0(SALU_CYCLE_1) | instskip(SKIP_2) | instid1(SALU_CYCLE_1)
	s_ashr_i32 s19, s16, 5
	s_cmp_lt_i32 s16, s17
	s_cselect_b32 s20, s19, s4
	s_ashr_i32 s21, s20, 31
	s_delay_alu instid0(SALU_CYCLE_1) | instskip(NEXT) | instid1(SALU_CYCLE_1)
	s_lshl_b64 s[20:21], s[20:21], 2
	s_add_u32 s20, s7, s20
	s_addc_u32 s21, s13, s21
	s_or_b32 s16, s12, 64
	s_delay_alu instid0(SALU_CYCLE_1) | instskip(SKIP_2) | instid1(SALU_CYCLE_1)
	s_ashr_i32 s19, s16, 5
	s_cmp_lt_i32 s16, s17
	s_cselect_b32 s22, s19, s4
	s_ashr_i32 s23, s22, 31
	s_delay_alu instid0(SALU_CYCLE_1) | instskip(NEXT) | instid1(SALU_CYCLE_1)
	s_lshl_b64 s[22:23], s[22:23], 2
	;; [unrolled: 10-line block ×5, first 2 shown]
	s_add_u32 s28, s7, s28
	s_addc_u32 s29, s13, s29
	s_clause 0x5
	s_load_b32 s16, s[8:9], 0x0
	s_load_b32 s19, s[20:21], 0x0
	;; [unrolled: 1-line block ×6, first 2 shown]
	s_mov_b32 s20, 0
	s_delay_alu instid0(SALU_CYCLE_1)
	s_mov_b32 s27, s20
	s_mov_b32 s21, s20
	;; [unrolled: 1-line block ×7, first 2 shown]
	s_delay_alu instid0(SALU_CYCLE_1)
	v_dual_mov_b32 v108, s27 :: v_dual_mov_b32 v107, s26
	v_dual_mov_b32 v106, s25 :: v_dual_mov_b32 v105, s24
	;; [unrolled: 1-line block ×4, first 2 shown]
	s_waitcnt lgkmcnt(0)
	s_mul_hi_i32 s29, s34, s5
	s_mul_i32 s28, s34, s5
	s_mul_hi_i32 s21, s16, s5
	s_mul_i32 s20, s16, s5
	;; [unrolled: 2-line block ×5, first 2 shown]
	s_waitcnt vmcnt(1)
	v_mad_i64_i32 v[3:4], null, v7, s5, 0
	s_waitcnt vmcnt(0)
	v_mad_i64_i32 v[5:6], null, v8, s5, 0
	s_delay_alu instid0(VALU_DEP_2) | instskip(NEXT) | instid1(VALU_DEP_2)
	v_lshlrev_b64 v[3:4], 1, v[3:4]
	v_lshlrev_b64 v[1:2], 1, v[5:6]
	s_delay_alu instid0(VALU_DEP_2) | instskip(NEXT) | instid1(VALU_DEP_3)
	v_add_co_u32 v3, vcc_lo, s6, v3
	v_add_co_ci_u32_e32 v4, vcc_lo, s15, v4, vcc_lo
	s_delay_alu instid0(VALU_DEP_3) | instskip(NEXT) | instid1(VALU_DEP_4)
	v_add_co_u32 v1, vcc_lo, s6, v1
	v_add_co_ci_u32_e32 v2, vcc_lo, s15, v2, vcc_lo
	s_delay_alu instid0(VALU_DEP_4) | instskip(NEXT) | instid1(VALU_DEP_4)
	v_add_co_u32 v65, vcc_lo, v3, v81
	v_add_co_ci_u32_e32 v66, vcc_lo, v4, v82, vcc_lo
	s_delay_alu instid0(VALU_DEP_4) | instskip(NEXT) | instid1(VALU_DEP_4)
	v_add_co_u32 v76, vcc_lo, v1, v81
	v_add_co_ci_u32_e32 v77, vcc_lo, v2, v82, vcc_lo
	s_clause 0xf
	global_load_b128 v[1:4], v[65:66], off
	global_load_b128 v[5:8], v[65:66], off offset:512
	global_load_b128 v[9:12], v[76:77], off offset:256
	;; [unrolled: 1-line block ×15, first 2 shown]
	v_add_co_u32 v78, vcc_lo, 0x1000, v65
	v_add_co_ci_u32_e32 v79, vcc_lo, 0, v66, vcc_lo
	v_cmp_ne_u32_e32 vcc_lo, 15, v73
	s_clause 0x1
	global_load_b128 v[65:68], v[78:79], off
	global_load_b128 v[69:72], v[78:79], off offset:512
	s_or_b32 s6, s12, 0xc0
	v_cndmask_b32_e32 v80, 0, v73, vcc_lo
	v_add_co_u32 v76, vcc_lo, 0x1000, v76
	v_add_co_ci_u32_e32 v77, vcc_lo, 0, v77, vcc_lo
	s_delay_alu instid0(VALU_DEP_3)
	v_lshlrev_b32_e32 v80, 6, v80
	ds_load_b128 v[85:88], v80
	ds_load_b128 v[89:92], v80 offset:1024
	s_clause 0x1
	global_load_b128 v[93:96], v[76:77], off offset:256
	global_load_b128 v[97:100], v[76:77], off offset:768
	ds_load_b128 v[109:112], v80 offset:2048
	ds_load_b128 v[113:116], v80 offset:3072
	s_ashr_i32 s8, s6, 5
	s_cmp_lt_i32 s6, s17
	s_cselect_b32 s8, s8, s4
	s_delay_alu instid0(SALU_CYCLE_1) | instskip(NEXT) | instid1(SALU_CYCLE_1)
	s_ashr_i32 s9, s8, 31
	s_lshl_b64 s[8:9], s[8:9], 2
	s_delay_alu instid0(SALU_CYCLE_1) | instskip(SKIP_2) | instid1(SALU_CYCLE_1)
	s_add_u32 s8, s7, s8
	s_addc_u32 s9, s13, s9
	s_or_b32 s6, s12, 0xe0
	s_ashr_i32 s15, s6, 5
	s_cmp_lt_i32 s6, s17
	s_cselect_b32 s24, s15, s4
	s_delay_alu instid0(SALU_CYCLE_1) | instskip(NEXT) | instid1(SALU_CYCLE_1)
	s_ashr_i32 s25, s24, 31
	s_lshl_b64 s[24:25], s[24:25], 2
	s_delay_alu instid0(SALU_CYCLE_1) | instskip(SKIP_2) | instid1(SALU_CYCLE_1)
	s_add_u32 s24, s7, s24
	s_addc_u32 s25, s13, s25
	s_add_i32 s6, s12, 0x100
	s_ashr_i32 s15, s6, 5
	s_cmp_lt_i32 s6, s17
	s_cselect_b32 s34, s15, s4
	s_waitcnt vmcnt(18) lgkmcnt(2)
	v_wmma_f32_16x16x16_bf16 v[117:124], v[1:8], v[85:92], v[101:108]
	s_waitcnt vmcnt(16)
	v_wmma_f32_16x16x16_bf16 v[101:108], v[9:16], v[85:92], v[101:108]
	s_clause 0x3
	global_load_b128 v[1:4], v[78:79], off offset:1024
	global_load_b128 v[5:8], v[78:79], off offset:1536
	global_load_b128 v[9:12], v[76:77], off offset:1280
	global_load_b128 v[13:16], v[76:77], off offset:1792
	s_waitcnt vmcnt(18) lgkmcnt(0)
	v_wmma_f32_16x16x16_bf16 v[117:124], v[17:24], v[109:116], v[117:124]
	s_clause 0x1
	global_load_b128 v[17:20], v[78:79], off offset:2048
	global_load_b128 v[21:24], v[78:79], off offset:2560
	s_waitcnt vmcnt(18)
	v_wmma_f32_16x16x16_bf16 v[101:108], v[25:32], v[109:116], v[101:108]
	ds_load_b128 v[25:28], v80 offset:4096
	ds_load_b128 v[29:32], v80 offset:5120
	s_clause 0x5
	global_load_b128 v[109:112], v[76:77], off offset:2304
	global_load_b128 v[113:116], v[76:77], off offset:2816
	;; [unrolled: 1-line block ×6, first 2 shown]
	s_waitcnt vmcnt(22) lgkmcnt(0)
	v_wmma_f32_16x16x16_bf16 v[117:124], v[33:40], v[25:32], v[117:124]
	s_waitcnt vmcnt(20)
	v_wmma_f32_16x16x16_bf16 v[101:108], v[41:48], v[25:32], v[101:108]
	ds_load_b128 v[25:28], v80 offset:6144
	ds_load_b128 v[29:32], v80 offset:7168
	ds_load_b128 v[33:36], v80 offset:8192
	ds_load_b128 v[37:40], v80 offset:9216
	s_waitcnt vmcnt(18) lgkmcnt(2)
	v_wmma_f32_16x16x16_bf16 v[117:124], v[49:56], v[25:32], v[117:124]
	s_waitcnt vmcnt(16)
	v_wmma_f32_16x16x16_bf16 v[101:108], v[57:64], v[25:32], v[101:108]
	ds_load_b128 v[25:28], v80 offset:10240
	ds_load_b128 v[29:32], v80 offset:11264
	;; [unrolled: 1-line block ×6, first 2 shown]
	s_waitcnt vmcnt(14) lgkmcnt(6)
	v_wmma_f32_16x16x16_bf16 v[117:124], v[65:72], v[33:40], v[117:124]
	s_load_b32 s16, s[8:9], 0x0
	s_mul_hi_i32 s9, s35, s5
	s_mul_i32 s8, s35, s5
	s_ashr_i32 s35, s34, 31
	s_waitcnt vmcnt(12)
	v_wmma_f32_16x16x16_bf16 v[101:108], v[93:100], v[33:40], v[101:108]
	s_lshl_b64 s[34:35], s[34:35], 2
	s_delay_alu instid0(SALU_CYCLE_1)
	s_add_u32 s6, s7, s34
	s_addc_u32 s7, s13, s35
	s_add_u32 s4, s10, s2
	s_addc_u32 s19, s11, s3
	s_lshl_b64 s[2:3], s[20:21], 1
	s_clause 0x1
	s_load_b32 s13, s[24:25], 0x0
	s_load_b32 s15, s[6:7], 0x0
	s_lshl_b64 s[6:7], s[22:23], 1
	s_lshl_b64 s[10:11], s[26:27], 1
	s_lshl_b64 s[20:21], s[28:29], 1
	s_lshl_b64 s[8:9], s[8:9], 1
	s_lshl_b64 s[22:23], s[36:37], 1
	s_waitcnt lgkmcnt(0)
	s_mul_hi_i32 s25, s16, s5
	s_mul_i32 s24, s16, s5
	s_waitcnt vmcnt(10)
	v_wmma_f32_16x16x16_bf16 v[117:124], v[1:8], v[25:32], v[117:124]
	s_waitcnt vmcnt(8)
	v_wmma_f32_16x16x16_bf16 v[101:108], v[9:16], v[25:32], v[101:108]
	s_waitcnt vmcnt(6)
	s_delay_alu instid0(VALU_DEP_2) | instskip(SKIP_1) | instid1(VALU_DEP_2)
	v_wmma_f32_16x16x16_bf16 v[117:124], v[17:24], v[141:148], v[117:124]
	s_waitcnt vmcnt(4)
	v_wmma_f32_16x16x16_bf16 v[101:108], v[109:116], v[141:148], v[101:108]
	s_waitcnt vmcnt(2)
	s_delay_alu instid0(VALU_DEP_2) | instskip(SKIP_3) | instid1(VALU_DEP_3)
	v_wmma_f32_16x16x16_bf16 v[117:124], v[125:132], v[149:156], v[117:124]
	v_lshlrev_b32_e32 v85, 6, v73
	s_waitcnt vmcnt(0)
	v_wmma_f32_16x16x16_bf16 v[101:108], v[133:140], v[149:156], v[101:108]
	v_mul_f32_e32 v100, s18, v124
	s_delay_alu instid0(VALU_DEP_3) | instskip(SKIP_2) | instid1(VALU_DEP_3)
	v_lshl_or_b32 v41, v74, 10, v85
	v_mul_f32_e32 v97, s18, v117
	v_mul_f32_e32 v99, s18, v118
	v_add_co_u32 v76, s4, s4, v41
	s_delay_alu instid0(VALU_DEP_1) | instskip(NEXT) | instid1(VALU_DEP_2)
	v_add_co_ci_u32_e64 v77, null, s19, 0, s4
	v_add_co_u32 v41, vcc_lo, v76, s2
	s_delay_alu instid0(VALU_DEP_2)
	v_add_co_ci_u32_e32 v42, vcc_lo, s3, v77, vcc_lo
	v_add_co_u32 v33, vcc_lo, v76, s6
	v_add_co_ci_u32_e32 v34, vcc_lo, s7, v77, vcc_lo
	v_add_co_u32 v35, vcc_lo, v76, s10
	;; [unrolled: 2-line block ×5, first 2 shown]
	s_lshl_b64 s[2:3], s[24:25], 1
	v_add_co_ci_u32_e32 v6, vcc_lo, s23, v77, vcc_lo
	s_mul_hi_i32 s7, s13, s5
	s_mul_i32 s6, s13, s5
	v_add_co_u32 v17, vcc_lo, v76, s2
	v_add_co_ci_u32_e32 v18, vcc_lo, s3, v77, vcc_lo
	s_lshl_b64 s[2:3], s[6:7], 1
	s_mul_hi_i32 s7, s15, s5
	s_mul_i32 s6, s15, s5
	v_add_co_u32 v19, vcc_lo, v76, s2
	v_add_co_ci_u32_e32 v20, vcc_lo, s3, v77, vcc_lo
	s_lshl_b64 s[2:3], s[6:7], 1
	s_clause 0x1
	global_load_b128 v[65:68], v[41:42], off
	global_load_b128 v[69:72], v[41:42], off offset:16
	v_add_co_u32 v21, vcc_lo, v76, s2
	v_add_co_ci_u32_e32 v22, vcc_lo, s3, v77, vcc_lo
	s_clause 0xf
	global_load_b128 v[57:60], v[33:34], off
	global_load_b128 v[61:64], v[33:34], off offset:16
	global_load_b128 v[49:52], v[35:36], off
	global_load_b128 v[53:56], v[35:36], off offset:16
	;; [unrolled: 2-line block ×8, first 2 shown]
	v_mbcnt_lo_u32_b32 v77, -1, 0
	v_and_b32_e32 v76, 0xe0, v0
	s_waitcnt vmcnt(0)
	s_barrier
	buffer_gl0_inv
	v_xor_b32_e32 v78, 16, v77
	s_delay_alu instid0(VALU_DEP_1) | instskip(SKIP_1) | instid1(VALU_DEP_1)
	v_cmp_gt_i32_e32 vcc_lo, 32, v78
	v_dual_cndmask_b32 v77, v77, v78 :: v_dual_add_nc_u32 v76, s12, v76
	v_or_b32_e32 v76, v76, v83
	s_delay_alu instid0(VALU_DEP_1)
	v_or_b32_e32 v78, 2, v76
	v_or_b32_e32 v79, 4, v76
	;; [unrolled: 1-line block ×3, first 2 shown]
	v_cmp_gt_i32_e32 vcc_lo, s17, v76
	v_or_b32_e32 v86, 8, v76
	v_cmp_gt_i32_e64 s2, s17, v78
	v_or_b32_e32 v87, 10, v76
	v_or_b32_e32 v88, 12, v76
	;; [unrolled: 1-line block ×11, first 2 shown]
	v_cndmask_b32_e64 v78, 0xff7fffff, v99, s2
	v_mul_f32_e32 v99, s18, v120
	v_cmp_gt_i32_e64 s3, s17, v80
	v_mul_f32_e32 v80, s18, v119
	v_cndmask_b32_e32 v76, 0xff7fffff, v97, vcc_lo
	v_cmp_gt_i32_e64 s4, s17, v79
	v_mul_f32_e32 v79, s18, v122
	v_cmp_gt_i32_e64 s5, s17, v86
	v_cmp_gt_i32_e64 s6, s17, v87
	v_max3_f32 v76, v76, 0xff7fffff, v78
	v_mul_f32_e32 v78, s18, v121
	v_cndmask_b32_e64 v80, 0xff7fffff, v80, s4
	v_mul_f32_e32 v86, s18, v107
	v_cndmask_b32_e64 v99, 0xff7fffff, v99, s3
	;; [unrolled: 2-line block ×3, first 2 shown]
	v_cndmask_b32_e64 v79, 0xff7fffff, v79, s6
	v_cmp_gt_i32_e64 s7, s17, v89
	v_max3_f32 v76, v76, v80, v99
	v_mul_f32_e32 v80, s18, v108
	v_cmp_gt_i32_e64 s8, s17, v88
	v_dual_mul_f32 v99, s18, v105 :: v_dual_mul_f32 v88, s18, v102
	s_delay_alu instid0(VALU_DEP_4) | instskip(SKIP_1) | instid1(VALU_DEP_4)
	v_max3_f32 v76, v76, v78, v79
	v_mul_f32_e32 v89, s18, v101
	v_cndmask_b32_e64 v97, 0xff7fffff, v97, s8
	v_cndmask_b32_e64 v100, 0xff7fffff, v100, s7
	v_cmp_gt_i32_e64 s9, s17, v90
	v_cmp_gt_i32_e64 s10, s17, v91
	v_dual_mul_f32 v78, s18, v104 :: v_dual_mul_f32 v79, s18, v103
	s_delay_alu instid0(VALU_DEP_4) | instskip(NEXT) | instid1(VALU_DEP_4)
	v_max3_f32 v76, v76, v97, v100
	v_cndmask_b32_e64 v89, 0xff7fffff, v89, s9
	s_delay_alu instid0(VALU_DEP_4)
	v_cndmask_b32_e64 v88, 0xff7fffff, v88, s10
	v_cmp_gt_i32_e64 s11, s17, v92
	v_cmp_gt_i32_e64 s12, s17, v93
	v_mul_f32_e32 v87, s18, v106
	v_cmp_gt_i32_e64 s13, s17, v94
	v_max3_f32 v76, v76, v89, v88
	v_cndmask_b32_e64 v79, 0xff7fffff, v79, s11
	v_cndmask_b32_e64 v78, 0xff7fffff, v78, s12
	v_cmp_gt_i32_e64 s15, s17, v95
	v_cndmask_b32_e64 v88, 0xff7fffff, v99, s13
	v_cmp_gt_i32_e64 s16, s17, v96
	v_cmp_gt_i32_e64 s17, s17, v98
	v_max3_f32 v76, v76, v79, v78
	v_cndmask_b32_e64 v87, 0xff7fffff, v87, s15
	v_lshlrev_b32_e32 v99, 2, v77
	v_cndmask_b32_e64 v78, 0xff7fffff, v86, s16
	v_cndmask_b32_e64 v79, 0xff7fffff, v80, s17
	s_delay_alu instid0(VALU_DEP_4) | instskip(NEXT) | instid1(VALU_DEP_1)
	v_max3_f32 v76, v76, v88, v87
	v_max3_f32 v76, v76, v78, v79
	ds_bpermute_b32 v77, v99, v76
	s_waitcnt lgkmcnt(0)
	v_max_f32_e32 v77, v77, v77
	s_delay_alu instid0(VALU_DEP_1) | instskip(NEXT) | instid1(VALU_DEP_1)
	v_max_f32_e32 v76, v76, v77
	v_fma_f32 v80, s18, v120, -v76
	v_fma_f32 v77, s18, v117, -v76
	;; [unrolled: 1-line block ×5, first 2 shown]
	v_mul_f32_e32 v80, 0x3fb8aa3b, v80
	v_fma_f32 v87, s18, v123, -v76
	v_mul_f32_e32 v78, 0x3fb8aa3b, v78
	v_fma_f32 v88, s18, v105, -v76
	v_mul_f32_e32 v86, 0x3fb8aa3b, v86
	v_exp_f32_e32 v80, v80
	v_fma_f32 v90, s18, v107, -v76
	v_exp_f32_e32 v78, v78
	v_fma_f32 v100, s18, v108, -v76
	v_exp_f32_e32 v86, v86
	v_mul_f32_e32 v88, 0x3fb8aa3b, v88
	s_delay_alu instid0(VALU_DEP_2) | instskip(NEXT) | instid1(TRANS32_DEP_3)
	v_mul_f32_e32 v100, 0x3fb8aa3b, v100
	v_cndmask_b32_e64 v95, 0, v80, s3
	v_mul_f32_e32 v77, 0x3fb8aa3b, v77
	s_delay_alu instid0(TRANS32_DEP_2) | instskip(SKIP_1) | instid1(TRANS32_DEP_1)
	v_cndmask_b32_e64 v91, 0, v78, s2
	v_fma_f32 v80, s18, v101, -v76
	v_cndmask_b32_e64 v96, 0, v86, s5
	v_fma_f32 v86, s18, v102, -v76
	v_exp_f32_e32 v77, v77
	s_delay_alu instid0(VALU_DEP_3) | instskip(SKIP_1) | instid1(VALU_DEP_2)
	v_dual_mul_f32 v79, 0x3fb8aa3b, v79 :: v_dual_mul_f32 v80, 0x3fb8aa3b, v80
	v_exp_f32_e32 v88, v88
	v_mul_f32_e32 v86, 0x3fb8aa3b, v86
	v_cmp_gt_u32_e64 s2, 16, v75
	v_exp_f32_e32 v100, v100
	v_exp_f32_e32 v80, v80
	s_delay_alu instid0(VALU_DEP_2) | instskip(SKIP_3) | instid1(VALU_DEP_1)
	v_exp_f32_e32 v86, v86
	v_cndmask_b32_e32 v92, 0, v77, vcc_lo
	v_exp_f32_e32 v79, v79
	v_fma_f32 v77, s18, v122, -v76
	v_dual_add_f32 v78, 0, v92 :: v_dual_mul_f32 v77, 0x3fb8aa3b, v77
	s_delay_alu instid0(VALU_DEP_1)
	v_add_f32_e32 v78, v78, v91
	s_waitcnt_depctr 0xfff
	v_cndmask_b32_e64 v93, 0, v79, s4
	v_fma_f32 v79, s18, v124, -v76
	v_mul_f32_e32 v87, 0x3fb8aa3b, v87
	v_exp_f32_e32 v77, v77
	s_delay_alu instid0(VALU_DEP_2) | instskip(NEXT) | instid1(VALU_DEP_2)
	v_dual_add_f32 v78, v78, v93 :: v_dual_mul_f32 v79, 0x3fb8aa3b, v79
	v_exp_f32_e32 v87, v87
	s_delay_alu instid0(VALU_DEP_1) | instskip(NEXT) | instid1(VALU_DEP_2)
	v_add_f32_e32 v78, v78, v95
	v_exp_f32_e32 v79, v79
	s_delay_alu instid0(TRANS32_DEP_3) | instskip(NEXT) | instid1(VALU_DEP_2)
	v_cndmask_b32_e64 v97, 0, v77, s6
	v_add_f32_e32 v77, v78, v96
	v_fma_f32 v78, s18, v103, -v76
	s_waitcnt_depctr 0xfff
	v_cndmask_b32_e64 v94, 0, v87, s8
	v_fma_f32 v87, s18, v104, -v76
	v_dual_add_f32 v77, v77, v97 :: v_dual_mul_f32 v78, 0x3fb8aa3b, v78
	v_cndmask_b32_e64 v98, 0, v79, s7
	s_delay_alu instid0(VALU_DEP_2) | instskip(SKIP_4) | instid1(VALU_DEP_2)
	v_add_f32_e32 v79, v77, v94
	v_cndmask_b32_e64 v77, 0, v80, s9
	v_fma_f32 v80, s18, v106, -v76
	v_exp_f32_e32 v89, v78
	v_cndmask_b32_e64 v78, 0, v86, s10
	v_dual_add_f32 v79, v79, v98 :: v_dual_mul_f32 v80, 0x3fb8aa3b, v80
	s_delay_alu instid0(VALU_DEP_1) | instskip(NEXT) | instid1(VALU_DEP_1)
	v_dual_mul_f32 v87, 0x3fb8aa3b, v87 :: v_dual_add_f32 v86, v79, v77
	v_exp_f32_e32 v87, v87
	s_waitcnt_depctr 0xfff
	v_cndmask_b32_e64 v79, 0, v89, s11
	v_add_f32_e32 v86, v86, v78
	v_mul_f32_e32 v89, 0x3fb8aa3b, v90
	v_exp_f32_e32 v90, v80
	v_cndmask_b32_e64 v80, 0, v87, s12
	s_delay_alu instid0(VALU_DEP_3) | instskip(SKIP_1) | instid1(VALU_DEP_2)
	v_add_f32_e32 v87, v86, v79
	v_cndmask_b32_e64 v86, 0, v88, s13
	v_add_f32_e32 v88, v87, v80
	v_exp_f32_e32 v89, v89
	s_waitcnt_depctr 0xfff
	v_cndmask_b32_e64 v87, 0, v90, s15
	v_add_f32_e32 v90, v88, v86
	v_cndmask_b32_e64 v88, 0, v89, s16
	s_delay_alu instid0(VALU_DEP_2) | instskip(NEXT) | instid1(VALU_DEP_1)
	v_add_f32_e32 v89, v90, v87
	v_add_f32_e32 v90, v89, v88
	v_cndmask_b32_e64 v89, 0, v100, s17
	s_delay_alu instid0(VALU_DEP_1)
	v_add_f32_e32 v90, v90, v89
	ds_bpermute_b32 v99, v99, v90
	s_and_saveexec_b32 s3, s2
	s_cbranch_execz .LBB724_14
; %bb.13:
	v_mul_u32_u24_e32 v75, 0x44, v74
	s_waitcnt lgkmcnt(0)
	v_add_f32_e32 v90, v90, v99
	s_delay_alu instid0(VALU_DEP_2) | instskip(NEXT) | instid1(VALU_DEP_1)
	v_lshl_add_u32 v75, v73, 2, v75
	v_add_nc_u32_e32 v75, 0x4000, v75
	ds_store_2addr_b32 v75, v76, v90 offset1:136
.LBB724_14:
	s_or_b32 exec_lo, exec_lo, s3
	v_lshlrev_b32_e32 v75, 2, v73
	s_waitcnt lgkmcnt(0)
	s_barrier
	buffer_gl0_inv
	v_cmp_eq_u32_e64 s3, 1, v74
	v_add_nc_u32_e32 v90, 0x4000, v75
	ds_load_2addr_b32 v[99:100], v90 offset1:17
	ds_load_2addr_b32 v[101:102], v90 offset0:34 offset1:51
	ds_load_2addr_b32 v[103:104], v90 offset0:68 offset1:85
	;; [unrolled: 1-line block ×4, first 2 shown]
	s_waitcnt lgkmcnt(4)
	v_max3_f32 v75, v99, 0xff7fffff, v100
	s_waitcnt lgkmcnt(3)
	s_delay_alu instid0(VALU_DEP_1) | instskip(SKIP_1) | instid1(VALU_DEP_1)
	v_max3_f32 v75, v75, v101, v102
	s_waitcnt lgkmcnt(2)
	v_max3_f32 v75, v75, v103, v104
	s_waitcnt lgkmcnt(1)
	s_delay_alu instid0(VALU_DEP_1) | instskip(NEXT) | instid1(VALU_DEP_1)
	v_max3_f32 v75, v75, v105, v106
	v_sub_f32_e32 v109, v100, v75
	v_sub_f32_e32 v76, v99, v75
	ds_load_2addr_b32 v[99:100], v90 offset0:170 offset1:187
	v_sub_f32_e32 v101, v101, v75
	v_dual_mul_f32 v109, 0x3fb8aa3b, v109 :: v_dual_mul_f32 v76, 0x3fb8aa3b, v76
	s_delay_alu instid0(VALU_DEP_2) | instskip(NEXT) | instid1(VALU_DEP_2)
	v_mul_f32_e32 v111, 0x3fb8aa3b, v101
	v_exp_f32_e32 v109, v109
	s_delay_alu instid0(VALU_DEP_2)
	v_exp_f32_e32 v110, v76
	v_sub_f32_e32 v76, v102, v75
	ds_load_2addr_b32 v[101:102], v90 offset0:204 offset1:221
	v_exp_f32_e32 v111, v111
	v_mul_f32_e32 v112, 0x3fb8aa3b, v76
	s_waitcnt lgkmcnt(2)
	v_fma_f32 v76, v110, v107, 0
	v_sub_f32_e32 v103, v103, v75
	s_delay_alu instid0(VALU_DEP_3) | instskip(NEXT) | instid1(VALU_DEP_2)
	v_exp_f32_e32 v112, v112
	v_dual_sub_f32 v107, v104, v75 :: v_dual_fmac_f32 v76, v109, v108
	s_waitcnt lgkmcnt(1)
	s_waitcnt_depctr 0xfff
	v_fmac_f32_e32 v76, v111, v99
	v_mul_f32_e32 v113, 0x3fb8aa3b, v103
	ds_load_2addr_b32 v[103:104], v90 offset0:238 offset1:255
	v_sub_f32_e32 v90, v105, v75
	v_dual_sub_f32 v99, v106, v75 :: v_dual_fmac_f32 v76, v112, v100
	v_mul_f32_e32 v105, 0x3fb8aa3b, v107
	v_exp_f32_e32 v107, v113
	s_delay_alu instid0(VALU_DEP_2)
	v_dual_mul_f32 v90, 0x3fb8aa3b, v90 :: v_dual_mul_f32 v99, 0x3fb8aa3b, v99
	s_waitcnt lgkmcnt(0)
	s_barrier
	buffer_gl0_inv
	v_exp_f32_e32 v90, v90
	v_exp_f32_e32 v99, v99
	v_fmac_f32_e32 v76, v107, v101
	v_exp_f32_e32 v105, v105
	s_waitcnt_depctr 0xfff
	v_fmac_f32_e32 v76, v105, v102
	s_delay_alu instid0(VALU_DEP_1) | instskip(NEXT) | instid1(VALU_DEP_1)
	v_fmac_f32_e32 v76, v90, v103
	v_fmac_f32_e32 v76, v99, v104
	s_delay_alu instid0(VALU_DEP_1) | instskip(NEXT) | instid1(VALU_DEP_1)
	v_add_f32_e32 v100, 0x358637bd, v76
	v_div_scale_f32 v101, null, v100, v100, 1.0
	v_div_scale_f32 v104, vcc_lo, 1.0, v100, 1.0
	s_delay_alu instid0(VALU_DEP_2) | instskip(SKIP_2) | instid1(VALU_DEP_1)
	v_rcp_f32_e32 v102, v101
	s_waitcnt_depctr 0xfff
	v_fma_f32 v103, -v101, v102, 1.0
	v_fmac_f32_e32 v102, v103, v102
	v_cndmask_b32_e64 v103, v110, v109, s3
	v_cmp_eq_u32_e64 s3, 2, v74
	s_delay_alu instid0(VALU_DEP_3) | instskip(NEXT) | instid1(VALU_DEP_2)
	v_mul_f32_e32 v106, v104, v102
	v_cndmask_b32_e64 v103, v103, v111, s3
	v_cmp_eq_u32_e64 s3, 3, v74
	s_delay_alu instid0(VALU_DEP_3) | instskip(NEXT) | instid1(VALU_DEP_2)
	v_fma_f32 v108, -v101, v106, v104
	v_cndmask_b32_e64 v103, v103, v112, s3
	v_cmp_eq_u32_e64 s3, 4, v74
	s_delay_alu instid0(VALU_DEP_3) | instskip(NEXT) | instid1(VALU_DEP_2)
	v_fmac_f32_e32 v106, v108, v102
	v_cndmask_b32_e64 v103, v103, v107, s3
	s_delay_alu instid0(VALU_DEP_2) | instskip(SKIP_1) | instid1(VALU_DEP_2)
	v_fma_f32 v101, -v101, v106, v104
	v_cmp_eq_u32_e64 s3, 5, v74
	v_div_fmas_f32 v101, v101, v102, v106
	s_delay_alu instid0(VALU_DEP_2) | instskip(SKIP_2) | instid1(VALU_DEP_3)
	v_cndmask_b32_e64 v103, v103, v105, s3
	v_cmp_eq_u32_e32 vcc_lo, 6, v74
	s_mov_b32 s3, exec_lo
	v_div_fixup_f32 v100, v101, v100, 1.0
	s_delay_alu instid0(VALU_DEP_3) | instskip(SKIP_1) | instid1(VALU_DEP_2)
	v_cndmask_b32_e32 v90, v103, v90, vcc_lo
	v_cmp_eq_u32_e32 vcc_lo, 7, v74
	v_cndmask_b32_e32 v90, v90, v99, vcc_lo
	s_delay_alu instid0(VALU_DEP_1) | instskip(NEXT) | instid1(VALU_DEP_1)
	v_mul_f32_e32 v90, v90, v100
	v_mul_f32_e32 v100, v90, v92
	;; [unrolled: 1-line block ×6, first 2 shown]
	v_and_b32_e32 v101, 0x7f800000, v100
	v_mul_f32_e32 v99, v90, v95
	v_mul_f32_e32 v95, v90, v91
	;; [unrolled: 1-line block ×3, first 2 shown]
                                        ; implicit-def: $vgpr91
	s_delay_alu instid0(VALU_DEP_4)
	v_cmpx_ne_u32_e32 0x7f800000, v101
	s_xor_b32 s3, exec_lo, s3
; %bb.15:
	v_bfe_u32 v91, v100, 16, 1
	s_delay_alu instid0(VALU_DEP_1)
	v_add3_u32 v91, v100, v91, 0x7fff
                                        ; implicit-def: $vgpr100
; %bb.16:
	s_and_not1_saveexec_b32 s3, s3
; %bb.17:
	v_and_b32_e32 v91, 0xffff, v100
	v_or_b32_e32 v93, 0x10000, v100
	s_delay_alu instid0(VALU_DEP_2) | instskip(NEXT) | instid1(VALU_DEP_2)
	v_cmp_eq_u32_e32 vcc_lo, 0, v91
	v_cndmask_b32_e32 v91, v93, v100, vcc_lo
; %bb.18:
	s_or_b32 exec_lo, exec_lo, s3
	v_and_b32_e32 v93, 0x7f800000, v95
	s_delay_alu instid0(VALU_DEP_1) | instskip(SKIP_1) | instid1(SALU_CYCLE_1)
	v_cmp_ne_u32_e32 vcc_lo, 0x7f800000, v93
                                        ; implicit-def: $vgpr93
	s_and_saveexec_b32 s3, vcc_lo
	s_xor_b32 s3, exec_lo, s3
; %bb.19:
	v_bfe_u32 v93, v95, 16, 1
	s_delay_alu instid0(VALU_DEP_1)
	v_add3_u32 v93, v95, v93, 0x7fff
                                        ; implicit-def: $vgpr95
; %bb.20:
	s_and_not1_saveexec_b32 s3, s3
; %bb.21:
	v_and_b32_e32 v93, 0xffff, v95
	v_or_b32_e32 v100, 0x10000, v95
	s_delay_alu instid0(VALU_DEP_2) | instskip(NEXT) | instid1(VALU_DEP_2)
	v_cmp_eq_u32_e32 vcc_lo, 0, v93
	v_cndmask_b32_e32 v93, v100, v95, vcc_lo
; %bb.22:
	s_or_b32 exec_lo, exec_lo, s3
	v_and_b32_e32 v95, 0x7f800000, v96
	s_delay_alu instid0(VALU_DEP_1) | instskip(SKIP_1) | instid1(SALU_CYCLE_1)
	v_cmp_ne_u32_e32 vcc_lo, 0x7f800000, v95
                                        ; implicit-def: $vgpr95
	s_and_saveexec_b32 s3, vcc_lo
	s_xor_b32 s3, exec_lo, s3
; %bb.23:
	v_bfe_u32 v95, v96, 16, 1
	s_delay_alu instid0(VALU_DEP_1)
	v_add3_u32 v95, v96, v95, 0x7fff
                                        ; implicit-def: $vgpr96
; %bb.24:
	s_and_not1_saveexec_b32 s3, s3
; %bb.25:
	v_and_b32_e32 v95, 0xffff, v96
	v_or_b32_e32 v100, 0x10000, v96
	s_delay_alu instid0(VALU_DEP_2) | instskip(NEXT) | instid1(VALU_DEP_2)
	v_cmp_eq_u32_e32 vcc_lo, 0, v95
	v_cndmask_b32_e32 v95, v100, v96, vcc_lo
; %bb.26:
	s_or_b32 exec_lo, exec_lo, s3
	v_and_b32_e32 v96, 0x7f800000, v99
	s_delay_alu instid0(VALU_DEP_1) | instskip(SKIP_1) | instid1(SALU_CYCLE_1)
	v_cmp_ne_u32_e32 vcc_lo, 0x7f800000, v96
                                        ; implicit-def: $vgpr96
	s_and_saveexec_b32 s3, vcc_lo
	s_xor_b32 s3, exec_lo, s3
; %bb.27:
	v_bfe_u32 v96, v99, 16, 1
	s_delay_alu instid0(VALU_DEP_1)
	v_add3_u32 v96, v99, v96, 0x7fff
                                        ; implicit-def: $vgpr99
; %bb.28:
	s_and_not1_saveexec_b32 s3, s3
; %bb.29:
	v_and_b32_e32 v96, 0xffff, v99
	v_or_b32_e32 v100, 0x10000, v99
	s_delay_alu instid0(VALU_DEP_2) | instskip(NEXT) | instid1(VALU_DEP_2)
	v_cmp_eq_u32_e32 vcc_lo, 0, v96
	v_cndmask_b32_e32 v96, v100, v99, vcc_lo
; %bb.30:
	s_or_b32 exec_lo, exec_lo, s3
	v_and_b32_e32 v99, 0x7f800000, v98
	s_delay_alu instid0(VALU_DEP_1) | instskip(SKIP_1) | instid1(SALU_CYCLE_1)
	v_cmp_ne_u32_e32 vcc_lo, 0x7f800000, v99
                                        ; implicit-def: $vgpr99
	s_and_saveexec_b32 s3, vcc_lo
	s_xor_b32 s3, exec_lo, s3
; %bb.31:
	v_bfe_u32 v99, v98, 16, 1
	s_delay_alu instid0(VALU_DEP_1)
	v_add3_u32 v99, v98, v99, 0x7fff
                                        ; implicit-def: $vgpr98
; %bb.32:
	s_and_not1_saveexec_b32 s3, s3
; %bb.33:
	v_and_b32_e32 v99, 0xffff, v98
	v_or_b32_e32 v100, 0x10000, v98
	s_delay_alu instid0(VALU_DEP_2) | instskip(NEXT) | instid1(VALU_DEP_2)
	v_cmp_eq_u32_e32 vcc_lo, 0, v99
	v_cndmask_b32_e32 v99, v100, v98, vcc_lo
; %bb.34:
	s_or_b32 exec_lo, exec_lo, s3
	v_and_b32_e32 v98, 0x7f800000, v97
	s_delay_alu instid0(VALU_DEP_1) | instskip(SKIP_1) | instid1(SALU_CYCLE_1)
	v_cmp_ne_u32_e32 vcc_lo, 0x7f800000, v98
                                        ; implicit-def: $vgpr98
	s_and_saveexec_b32 s3, vcc_lo
	s_xor_b32 s3, exec_lo, s3
; %bb.35:
	v_bfe_u32 v98, v97, 16, 1
	s_delay_alu instid0(VALU_DEP_1)
	v_add3_u32 v98, v97, v98, 0x7fff
                                        ; implicit-def: $vgpr97
; %bb.36:
	s_and_not1_saveexec_b32 s3, s3
; %bb.37:
	v_and_b32_e32 v98, 0xffff, v97
	v_or_b32_e32 v100, 0x10000, v97
	s_delay_alu instid0(VALU_DEP_2) | instskip(NEXT) | instid1(VALU_DEP_2)
	v_cmp_eq_u32_e32 vcc_lo, 0, v98
	v_cndmask_b32_e32 v98, v100, v97, vcc_lo
; %bb.38:
	s_or_b32 exec_lo, exec_lo, s3
	v_and_b32_e32 v97, 0x7f800000, v94
	s_delay_alu instid0(VALU_DEP_1) | instskip(SKIP_1) | instid1(SALU_CYCLE_1)
	v_cmp_ne_u32_e32 vcc_lo, 0x7f800000, v97
                                        ; implicit-def: $vgpr97
	s_and_saveexec_b32 s3, vcc_lo
	s_xor_b32 s3, exec_lo, s3
; %bb.39:
	v_bfe_u32 v97, v94, 16, 1
	s_delay_alu instid0(VALU_DEP_1)
	v_add3_u32 v97, v94, v97, 0x7fff
                                        ; implicit-def: $vgpr94
; %bb.40:
	s_and_not1_saveexec_b32 s3, s3
; %bb.41:
	v_and_b32_e32 v97, 0xffff, v94
	v_or_b32_e32 v100, 0x10000, v94
	s_delay_alu instid0(VALU_DEP_2) | instskip(NEXT) | instid1(VALU_DEP_2)
	v_cmp_eq_u32_e32 vcc_lo, 0, v97
	v_cndmask_b32_e32 v97, v100, v94, vcc_lo
; %bb.42:
	s_or_b32 exec_lo, exec_lo, s3
	v_and_b32_e32 v94, 0x7f800000, v92
	s_delay_alu instid0(VALU_DEP_1) | instskip(SKIP_1) | instid1(SALU_CYCLE_1)
	v_cmp_ne_u32_e32 vcc_lo, 0x7f800000, v94
                                        ; implicit-def: $vgpr94
	s_and_saveexec_b32 s3, vcc_lo
	s_xor_b32 s3, exec_lo, s3
; %bb.43:
	v_bfe_u32 v94, v92, 16, 1
	s_delay_alu instid0(VALU_DEP_1)
	v_add3_u32 v94, v92, v94, 0x7fff
                                        ; implicit-def: $vgpr92
; %bb.44:
	s_and_not1_saveexec_b32 s3, s3
; %bb.45:
	v_and_b32_e32 v94, 0xffff, v92
	v_or_b32_e32 v100, 0x10000, v92
	s_delay_alu instid0(VALU_DEP_2) | instskip(NEXT) | instid1(VALU_DEP_2)
	v_cmp_eq_u32_e32 vcc_lo, 0, v94
	v_cndmask_b32_e32 v94, v100, v92, vcc_lo
; %bb.46:
	s_or_b32 exec_lo, exec_lo, s3
	s_load_b64 s[34:35], s[0:1], 0x94
	v_lshlrev_b32_e32 v92, 4, v83
	s_delay_alu instid0(VALU_DEP_2)
	v_perm_b32 v100, v94, v97, 0x7060302
	v_dual_mul_f32 v89, v90, v89 :: v_dual_lshlrev_b32 v94, 11, v74
	v_perm_b32 v97, v93, v91, 0x7060302
	v_mul_f32_e32 v93, v90, v77
	v_perm_b32 v99, v98, v99, 0x7060302
	v_perm_b32 v98, v96, v95, 0x7060302
	v_or3_b32 v77, v92, v94, v85
	v_mul_f32_e32 v88, v90, v88
	v_dual_mul_f32 v87, v90, v87 :: v_dual_and_b32 v94, 0x7f800000, v93
	v_mul_f32_e32 v86, v90, v86
	v_mul_f32_e32 v91, v90, v80
	;; [unrolled: 1-line block ×4, first 2 shown]
	s_mov_b32 s3, exec_lo
	ds_store_b128 v77, v[97:100]
                                        ; implicit-def: $vgpr78
	v_cmpx_ne_u32_e32 0x7f800000, v94
	s_xor_b32 s3, exec_lo, s3
; %bb.47:
	v_bfe_u32 v78, v93, 16, 1
	s_delay_alu instid0(VALU_DEP_1)
	v_add3_u32 v78, v93, v78, 0x7fff
                                        ; implicit-def: $vgpr93
; %bb.48:
	s_and_not1_saveexec_b32 s3, s3
; %bb.49:
	v_and_b32_e32 v78, 0xffff, v93
	v_or_b32_e32 v79, 0x10000, v93
	s_delay_alu instid0(VALU_DEP_2) | instskip(NEXT) | instid1(VALU_DEP_2)
	v_cmp_eq_u32_e32 vcc_lo, 0, v78
	v_cndmask_b32_e32 v78, v79, v93, vcc_lo
; %bb.50:
	s_or_b32 exec_lo, exec_lo, s3
	v_and_b32_e32 v79, 0x7f800000, v80
	s_delay_alu instid0(VALU_DEP_1) | instskip(SKIP_1) | instid1(SALU_CYCLE_1)
	v_cmp_ne_u32_e32 vcc_lo, 0x7f800000, v79
                                        ; implicit-def: $vgpr79
	s_and_saveexec_b32 s3, vcc_lo
	s_xor_b32 s3, exec_lo, s3
; %bb.51:
	v_bfe_u32 v79, v80, 16, 1
	s_delay_alu instid0(VALU_DEP_1)
	v_add3_u32 v79, v80, v79, 0x7fff
                                        ; implicit-def: $vgpr80
; %bb.52:
	s_and_not1_saveexec_b32 s3, s3
; %bb.53:
	v_and_b32_e32 v79, 0xffff, v80
	v_or_b32_e32 v90, 0x10000, v80
	s_delay_alu instid0(VALU_DEP_2) | instskip(NEXT) | instid1(VALU_DEP_2)
	v_cmp_eq_u32_e32 vcc_lo, 0, v79
	v_cndmask_b32_e32 v79, v90, v80, vcc_lo
; %bb.54:
	s_or_b32 exec_lo, exec_lo, s3
	v_and_b32_e32 v80, 0x7f800000, v92
	s_delay_alu instid0(VALU_DEP_1) | instskip(SKIP_1) | instid1(SALU_CYCLE_1)
	v_cmp_ne_u32_e32 vcc_lo, 0x7f800000, v80
                                        ; implicit-def: $vgpr80
	s_and_saveexec_b32 s3, vcc_lo
	s_xor_b32 s3, exec_lo, s3
; %bb.55:
	v_bfe_u32 v80, v92, 16, 1
	s_delay_alu instid0(VALU_DEP_1)
	v_add3_u32 v80, v92, v80, 0x7fff
                                        ; implicit-def: $vgpr92
; %bb.56:
	s_and_not1_saveexec_b32 s3, s3
; %bb.57:
	v_and_b32_e32 v80, 0xffff, v92
	v_or_b32_e32 v90, 0x10000, v92
	s_delay_alu instid0(VALU_DEP_2) | instskip(NEXT) | instid1(VALU_DEP_2)
	v_cmp_eq_u32_e32 vcc_lo, 0, v80
	v_cndmask_b32_e32 v80, v90, v92, vcc_lo
; %bb.58:
	s_or_b32 exec_lo, exec_lo, s3
	v_and_b32_e32 v90, 0x7f800000, v91
	s_delay_alu instid0(VALU_DEP_1) | instskip(SKIP_1) | instid1(SALU_CYCLE_1)
	v_cmp_ne_u32_e32 vcc_lo, 0x7f800000, v90
                                        ; implicit-def: $vgpr90
	s_and_saveexec_b32 s3, vcc_lo
	s_xor_b32 s3, exec_lo, s3
; %bb.59:
	v_bfe_u32 v90, v91, 16, 1
	s_delay_alu instid0(VALU_DEP_1)
	v_add3_u32 v90, v91, v90, 0x7fff
                                        ; implicit-def: $vgpr91
; %bb.60:
	s_and_not1_saveexec_b32 s3, s3
; %bb.61:
	v_and_b32_e32 v90, 0xffff, v91
	v_or_b32_e32 v92, 0x10000, v91
	s_delay_alu instid0(VALU_DEP_2) | instskip(NEXT) | instid1(VALU_DEP_2)
	v_cmp_eq_u32_e32 vcc_lo, 0, v90
	v_cndmask_b32_e32 v90, v92, v91, vcc_lo
; %bb.62:
	s_or_b32 exec_lo, exec_lo, s3
	v_and_b32_e32 v91, 0x7f800000, v86
	s_delay_alu instid0(VALU_DEP_1) | instskip(SKIP_1) | instid1(SALU_CYCLE_1)
	v_cmp_ne_u32_e32 vcc_lo, 0x7f800000, v91
                                        ; implicit-def: $vgpr91
	s_and_saveexec_b32 s3, vcc_lo
	s_xor_b32 s3, exec_lo, s3
; %bb.63:
	v_bfe_u32 v91, v86, 16, 1
	s_delay_alu instid0(VALU_DEP_1)
	v_add3_u32 v91, v86, v91, 0x7fff
                                        ; implicit-def: $vgpr86
; %bb.64:
	s_and_not1_saveexec_b32 s3, s3
; %bb.65:
	v_and_b32_e32 v91, 0xffff, v86
	v_or_b32_e32 v92, 0x10000, v86
	s_delay_alu instid0(VALU_DEP_2) | instskip(NEXT) | instid1(VALU_DEP_2)
	v_cmp_eq_u32_e32 vcc_lo, 0, v91
	v_cndmask_b32_e32 v91, v92, v86, vcc_lo
; %bb.66:
	s_or_b32 exec_lo, exec_lo, s3
	v_and_b32_e32 v86, 0x7f800000, v87
	s_delay_alu instid0(VALU_DEP_1) | instskip(SKIP_1) | instid1(SALU_CYCLE_1)
	v_cmp_ne_u32_e32 vcc_lo, 0x7f800000, v86
                                        ; implicit-def: $vgpr86
	s_and_saveexec_b32 s3, vcc_lo
	s_xor_b32 s3, exec_lo, s3
; %bb.67:
	v_bfe_u32 v86, v87, 16, 1
	s_delay_alu instid0(VALU_DEP_1)
	v_add3_u32 v86, v87, v86, 0x7fff
                                        ; implicit-def: $vgpr87
; %bb.68:
	s_and_not1_saveexec_b32 s3, s3
; %bb.69:
	v_and_b32_e32 v86, 0xffff, v87
	v_or_b32_e32 v92, 0x10000, v87
	s_delay_alu instid0(VALU_DEP_2) | instskip(NEXT) | instid1(VALU_DEP_2)
	v_cmp_eq_u32_e32 vcc_lo, 0, v86
	v_cndmask_b32_e32 v86, v92, v87, vcc_lo
; %bb.70:
	s_or_b32 exec_lo, exec_lo, s3
	v_and_b32_e32 v87, 0x7f800000, v88
	s_delay_alu instid0(VALU_DEP_1) | instskip(SKIP_1) | instid1(SALU_CYCLE_1)
	v_cmp_ne_u32_e32 vcc_lo, 0x7f800000, v87
                                        ; implicit-def: $vgpr87
	s_and_saveexec_b32 s3, vcc_lo
	s_xor_b32 s3, exec_lo, s3
; %bb.71:
	v_bfe_u32 v87, v88, 16, 1
	s_delay_alu instid0(VALU_DEP_1)
	v_add3_u32 v87, v88, v87, 0x7fff
                                        ; implicit-def: $vgpr88
; %bb.72:
	s_and_not1_saveexec_b32 s3, s3
; %bb.73:
	v_and_b32_e32 v87, 0xffff, v88
	v_or_b32_e32 v92, 0x10000, v88
	s_delay_alu instid0(VALU_DEP_2) | instskip(NEXT) | instid1(VALU_DEP_2)
	v_cmp_eq_u32_e32 vcc_lo, 0, v87
	v_cndmask_b32_e32 v87, v92, v88, vcc_lo
; %bb.74:
	s_or_b32 exec_lo, exec_lo, s3
	v_and_b32_e32 v88, 0x7f800000, v89
	s_delay_alu instid0(VALU_DEP_1) | instskip(SKIP_1) | instid1(SALU_CYCLE_1)
	v_cmp_ne_u32_e32 vcc_lo, 0x7f800000, v88
                                        ; implicit-def: $vgpr88
	s_and_saveexec_b32 s3, vcc_lo
	s_xor_b32 s3, exec_lo, s3
; %bb.75:
	v_bfe_u32 v88, v89, 16, 1
	s_delay_alu instid0(VALU_DEP_1)
	v_add3_u32 v88, v89, v88, 0x7fff
                                        ; implicit-def: $vgpr89
; %bb.76:
	s_and_not1_saveexec_b32 s3, s3
; %bb.77:
	v_and_b32_e32 v88, 0xffff, v89
	v_or_b32_e32 v92, 0x10000, v89
	s_delay_alu instid0(VALU_DEP_2) | instskip(NEXT) | instid1(VALU_DEP_2)
	v_cmp_eq_u32_e32 vcc_lo, 0, v88
	v_cndmask_b32_e32 v88, v92, v89, vcc_lo
; %bb.78:
	s_or_b32 exec_lo, exec_lo, s3
	s_delay_alu instid0(VALU_DEP_1)
	v_perm_b32 v89, v88, v87, 0x7060302
	v_perm_b32 v88, v86, v91, 0x7060302
	;; [unrolled: 1-line block ×4, first 2 shown]
	v_lshl_or_b32 v90, v74, 11, v85
	ds_store_b128 v77, v[86:89] offset:1024
	s_waitcnt lgkmcnt(0)
	s_barrier
	buffer_gl0_inv
	ds_load_b128 v[91:94], v90
	ds_load_b128 v[95:98], v90 offset:16
	v_lshlrev_b32_e32 v87, 2, v83
	s_delay_alu instid0(VALU_DEP_1)
	v_or_b32_e32 v88, 1, v87
	v_cmp_eq_u32_e32 vcc_lo, 1, v87
	v_cmp_eq_u32_e64 s4, 2, v87
	v_cmp_eq_u32_e64 s7, 3, v87
	v_cmp_eq_u32_e64 s9, 4, v87
	v_cmp_eq_u32_e64 s3, 1, v88
	v_cmp_eq_u32_e64 s6, 2, v88
	v_cmp_eq_u32_e64 s8, 3, v88
	v_or_b32_e32 v86, 2, v87
	v_cmp_eq_u32_e64 s10, 5, v87
	v_cmp_eq_u32_e64 s11, 4, v88
	;; [unrolled: 1-line block ×4, first 2 shown]
	s_waitcnt lgkmcnt(1)
	v_lshrrev_b32_e32 v74, 16, v91
	s_waitcnt lgkmcnt(0)
	v_lshrrev_b32_e32 v103, 16, v95
	v_lshrrev_b32_e32 v80, 16, v94
	v_lshrrev_b32_e32 v78, 16, v92
	v_lshrrev_b32_e32 v107, 16, v96
	v_cndmask_b32_e32 v89, v91, v74, vcc_lo
	v_cndmask_b32_e32 v99, v95, v103, vcc_lo
	v_cndmask_b32_e64 v100, v91, v74, s3
	v_lshrrev_b32_e32 v79, 16, v93
	v_lshrrev_b32_e32 v108, 16, v97
	v_cndmask_b32_e64 v89, v89, v92, s4
	v_cndmask_b32_e64 v99, v99, v96, s4
	;; [unrolled: 1-line block ×4, first 2 shown]
	v_cmp_eq_u32_e64 s5, 1, v86
	v_cndmask_b32_e64 v89, v89, v78, s7
	v_cndmask_b32_e64 v99, v99, v107, s7
	;; [unrolled: 1-line block ×4, first 2 shown]
	v_lshrrev_b32_e32 v109, 16, v98
	v_cndmask_b32_e64 v89, v89, v93, s9
	v_cndmask_b32_e64 v99, v99, v97, s9
	;; [unrolled: 1-line block ×8, first 2 shown]
	v_cmp_eq_u32_e64 s15, 7, v87
	v_cmp_eq_u32_e64 s16, 6, v88
	v_cndmask_b32_e64 v89, v89, v94, s12
	v_cndmask_b32_e64 v99, v99, v98, s12
	v_cmp_eq_u32_e64 s17, 2, v86
	v_cndmask_b32_e64 v101, v101, v97, s11
	v_cndmask_b32_e64 v100, v100, v94, s16
	;; [unrolled: 1-line block ×6, first 2 shown]
	v_cmp_eq_u32_e64 s18, 7, v88
	v_cmp_eq_u32_e64 s19, 3, v86
	;; [unrolled: 1-line block ×4, first 2 shown]
	v_cndmask_b32_e64 v99, v99, v96, s17
	v_cndmask_b32_e64 v112, v100, v80, s18
	;; [unrolled: 1-line block ×4, first 2 shown]
	v_or_b32_e32 v89, 3, v87
	v_cndmask_b32_e64 v105, v99, v107, s19
	v_cmp_eq_u32_e64 s24, 6, v86
	v_cndmask_b32_e64 v113, v100, v98, s16
	v_cndmask_b32_e64 v104, v101, v93, s20
	ds_load_b128 v[99:102], v90 offset:1024
	v_cmp_eq_u32_e64 s21, 1, v89
	v_cmp_eq_u32_e64 s23, 2, v89
	v_cmp_eq_u32_e64 s25, 3, v89
	v_cndmask_b32_e64 v114, v104, v79, s22
	v_cmp_eq_u32_e64 s26, 4, v89
	v_cndmask_b32_e64 v74, v91, v74, s21
	v_cndmask_b32_e64 v91, v105, v97, s20
	v_cndmask_b32_e64 v95, v95, v103, s21
	ds_load_b128 v[103:106], v90 offset:1040
	v_cmp_eq_u32_e64 s28, 5, v89
	v_cndmask_b32_e64 v74, v74, v92, s23
	v_cndmask_b32_e64 v91, v91, v108, s22
	;; [unrolled: 1-line block ×3, first 2 shown]
	v_cmp_eq_u32_e64 s29, 6, v89
	v_cndmask_b32_e64 v95, v113, v109, s18
	v_cndmask_b32_e64 v74, v74, v78, s25
	;; [unrolled: 1-line block ×5, first 2 shown]
	s_waitcnt lgkmcnt(1)
	v_lshrrev_b32_e32 v96, 16, v99
	v_cndmask_b32_e64 v74, v74, v93, s26
	v_lshrrev_b32_e32 v107, 16, v100
	v_cndmask_b32_e64 v92, v92, v97, s26
	v_cmp_eq_u32_e64 s27, 7, v86
	v_cndmask_b32_e32 v93, v99, v96, vcc_lo
	v_cndmask_b32_e64 v74, v74, v79, s28
	s_delay_alu instid0(VALU_DEP_4)
	v_cndmask_b32_e64 v79, v92, v108, s28
	s_waitcnt lgkmcnt(0)
	v_lshrrev_b32_e32 v97, 16, v103
	v_cndmask_b32_e64 v92, v93, v100, s4
	v_cndmask_b32_e64 v93, v99, v96, s3
	;; [unrolled: 1-line block ×4, first 2 shown]
	v_cndmask_b32_e32 v108, v103, v97, vcc_lo
	v_cndmask_b32_e64 v92, v92, v107, s7
	v_cndmask_b32_e64 v93, v93, v100, s6
	v_lshrrev_b32_e32 v98, 16, v104
	v_cmp_eq_u32_e32 vcc_lo, 7, v89
	v_cndmask_b32_e64 v94, v108, v104, s4
	v_cndmask_b32_e64 v92, v92, v101, s9
	v_lshrrev_b32_e32 v108, 16, v101
	v_cndmask_b32_e64 v93, v93, v107, s8
	v_cndmask_b32_e32 v74, v74, v80, vcc_lo
	v_cndmask_b32_e64 v94, v94, v98, s7
	v_cndmask_b32_e32 v79, v79, v109, vcc_lo
	v_cndmask_b32_e64 v92, v92, v108, s10
	v_cndmask_b32_e64 v78, v78, v80, s27
	;; [unrolled: 1-line block ×4, first 2 shown]
	v_perm_b32 v94, v79, v74, 0x5040100
	v_cndmask_b32_e64 v79, v92, v102, s12
	v_perm_b32 v92, v95, v112, 0x5040100
	v_cndmask_b32_e64 v95, v99, v96, s5
	v_cndmask_b32_e64 v96, v99, v96, s21
	;; [unrolled: 1-line block ×16, first 2 shown]
	v_lshrrev_b32_e32 v109, 16, v105
	v_cndmask_b32_e64 v95, v95, v101, s20
	v_cndmask_b32_e64 v96, v96, v101, s26
	;; [unrolled: 1-line block ×6, first 2 shown]
	v_lshrrev_b32_e32 v80, 16, v102
	v_cndmask_b32_e64 v113, v93, v109, s10
	v_cndmask_b32_e64 v95, v95, v108, s22
	;; [unrolled: 1-line block ×6, first 2 shown]
	v_perm_b32 v93, v91, v78, 0x5040100
	v_cndmask_b32_e64 v74, v74, v102, s16
	v_cndmask_b32_e64 v78, v79, v80, s15
	;; [unrolled: 1-line block ×3, first 2 shown]
	v_lshrrev_b32_e32 v91, 16, v106
	v_cndmask_b32_e64 v95, v95, v102, s24
	v_cndmask_b32_e64 v96, v96, v102, s29
	;; [unrolled: 1-line block ×7, first 2 shown]
	v_cndmask_b32_e32 v80, v96, v80, vcc_lo
	v_cndmask_b32_e32 v96, v98, v91, vcc_lo
	v_cndmask_b32_e64 v99, v99, v91, s27
	v_cndmask_b32_e64 v100, v97, v91, s18
	;; [unrolled: 1-line block ×3, first 2 shown]
	v_perm_b32 v91, v111, v110, 0x5040100
	v_perm_b32 v98, v96, v80, 0x5040100
	;; [unrolled: 1-line block ×5, first 2 shown]
	s_mul_i32 s8, s35, 15
	s_mov_b32 s3, exec_lo
	ds_store_b128 v77, v[91:94]
	ds_store_b128 v77, v[95:98] offset:1024
	v_cmpx_gt_u32_e32 15, v0
	s_cbranch_execz .LBB724_80
; %bb.79:
	s_mul_i32 s4, s8, s30
	s_delay_alu instid0(SALU_CYCLE_1) | instskip(SKIP_1) | instid1(VALU_DEP_1)
	v_add3_u32 v77, s4, s31, v73
	s_load_b128 s[4:7], s[0:1], 0x58
	v_mad_u64_u32 v[73:74], null, v77, s34, s[14:15]
	s_delay_alu instid0(VALU_DEP_1) | instskip(NEXT) | instid1(VALU_DEP_1)
	v_ashrrev_i32_e32 v74, 31, v73
	v_lshlrev_b64 v[73:74], 2, v[73:74]
	s_waitcnt lgkmcnt(0)
	s_delay_alu instid0(VALU_DEP_1) | instskip(NEXT) | instid1(VALU_DEP_2)
	v_add_co_u32 v77, vcc_lo, s6, v73
	v_add_co_ci_u32_e32 v78, vcc_lo, s7, v74, vcc_lo
	v_add_co_u32 v73, vcc_lo, s4, v73
	v_add_co_ci_u32_e32 v74, vcc_lo, s5, v74, vcc_lo
	global_store_b32 v[77:78], v75, off
	global_store_b32 v[73:74], v76, off
.LBB724_80:
	s_or_b32 exec_lo, exec_lo, s3
	s_waitcnt lgkmcnt(0)
	s_waitcnt_vscnt null, 0x0
	s_barrier
	buffer_gl0_inv
	ds_load_b128 v[91:94], v85
	ds_load_b128 v[95:98], v85 offset:16
	ds_load_b128 v[103:106], v85 offset:1040
	;; [unrolled: 1-line block ×3, first 2 shown]
	v_mov_b32_e32 v73, 0
	ds_load_b128 v[111:114], v85 offset:2064
	ds_load_b128 v[107:110], v85 offset:2048
	;; [unrolled: 1-line block ×6, first 2 shown]
	v_mov_b32_e32 v74, v73
	v_mov_b32_e32 v75, v73
	;; [unrolled: 1-line block ×7, first 2 shown]
	s_waitcnt lgkmcnt(8)
	s_delay_alu instid0(VALU_DEP_1)
	v_wmma_f32_16x16x16_bf16 v[73:80], v[65:72], v[91:98], v[73:80]
	ds_load_b128 v[69:72], v85 offset:5136
	ds_load_b128 v[65:68], v85 offset:5120
	;; [unrolled: 1-line block ×4, first 2 shown]
	s_waitcnt lgkmcnt(10)
	v_wmma_f32_16x16x16_bf16 v[73:80], v[57:64], v[99:106], v[73:80]
	s_waitcnt lgkmcnt(8)
	s_delay_alu instid0(VALU_DEP_1)
	v_wmma_f32_16x16x16_bf16 v[73:80], v[57:64], v[107:114], v[73:80]
	ds_load_b128 v[61:64], v85 offset:7184
	ds_load_b128 v[57:60], v85 offset:7168
	;; [unrolled: 1-line block ×4, first 2 shown]
	s_waitcnt lgkmcnt(10)
	v_wmma_f32_16x16x16_bf16 v[73:80], v[49:56], v[115:122], v[73:80]
	s_waitcnt lgkmcnt(8)
	s_delay_alu instid0(VALU_DEP_1)
	v_wmma_f32_16x16x16_bf16 v[73:80], v[49:56], v[123:130], v[73:80]
	ds_load_b128 v[53:56], v85 offset:9232
	ds_load_b128 v[49:52], v85 offset:9216
	s_waitcnt lgkmcnt(8)
	v_wmma_f32_16x16x16_bf16 v[73:80], v[41:48], v[65:72], v[73:80]
	ds_load_b128 v[69:72], v85 offset:10256
	ds_load_b128 v[65:68], v85 offset:10240
	s_waitcnt lgkmcnt(8)
	;; [unrolled: 4-line block ×3, first 2 shown]
	v_wmma_f32_16x16x16_bf16 v[73:80], v[9:16], v[57:64], v[73:80]
	s_waitcnt lgkmcnt(6)
	s_delay_alu instid0(VALU_DEP_1)
	v_wmma_f32_16x16x16_bf16 v[73:80], v[9:16], v[99:106], v[73:80]
	ds_load_b128 v[13:16], v85 offset:12304
	ds_load_b128 v[9:12], v85 offset:12288
	s_waitcnt lgkmcnt(6)
	v_wmma_f32_16x16x16_bf16 v[73:80], v[1:8], v[49:56], v[73:80]
	ds_load_b128 v[53:56], v85 offset:13328
	ds_load_b128 v[49:52], v85 offset:13312
	s_waitcnt lgkmcnt(6)
	;; [unrolled: 4-line block ×4, first 2 shown]
	v_wmma_f32_16x16x16_bf16 v[73:80], v[33:40], v[9:16], v[73:80]
	s_waitcnt lgkmcnt(4)
	s_delay_alu instid0(VALU_DEP_1) | instskip(SKIP_1) | instid1(VALU_DEP_1)
	v_wmma_f32_16x16x16_bf16 v[73:80], v[25:32], v[49:56], v[73:80]
	s_waitcnt lgkmcnt(2)
	v_wmma_f32_16x16x16_bf16 v[73:80], v[25:32], v[1:8], v[73:80]
	s_waitcnt lgkmcnt(0)
	s_delay_alu instid0(VALU_DEP_1) | instskip(NEXT) | instid1(VALU_DEP_1)
	v_wmma_f32_16x16x16_bf16 v[73:80], v[17:24], v[41:48], v[73:80]
	v_and_b32_e32 v1, 0x7f800000, v73
	s_delay_alu instid0(VALU_DEP_1) | instskip(SKIP_1) | instid1(SALU_CYCLE_1)
	v_cmp_ne_u32_e32 vcc_lo, 0x7f800000, v1
                                        ; implicit-def: $vgpr1
	s_and_saveexec_b32 s3, vcc_lo
	s_xor_b32 s3, exec_lo, s3
; %bb.81:
	v_bfe_u32 v1, v73, 16, 1
	s_delay_alu instid0(VALU_DEP_1)
	v_add3_u32 v1, v73, v1, 0x7fff
; %bb.82:
	s_and_not1_saveexec_b32 s3, s3
; %bb.83:
	v_and_b32_e32 v1, 0xffff, v73
	v_or_b32_e32 v2, 0x10000, v73
	s_delay_alu instid0(VALU_DEP_2) | instskip(NEXT) | instid1(VALU_DEP_2)
	v_cmp_eq_u32_e32 vcc_lo, 0, v1
	v_cndmask_b32_e32 v1, v2, v73, vcc_lo
; %bb.84:
	s_or_b32 exec_lo, exec_lo, s3
	v_and_b32_e32 v2, 0x7f800000, v74
	s_delay_alu instid0(VALU_DEP_1) | instskip(SKIP_1) | instid1(SALU_CYCLE_1)
	v_cmp_ne_u32_e32 vcc_lo, 0x7f800000, v2
                                        ; implicit-def: $vgpr2
	s_and_saveexec_b32 s3, vcc_lo
	s_xor_b32 s3, exec_lo, s3
; %bb.85:
	v_bfe_u32 v2, v74, 16, 1
	s_delay_alu instid0(VALU_DEP_1)
	v_add3_u32 v2, v74, v2, 0x7fff
; %bb.86:
	s_and_not1_saveexec_b32 s3, s3
; %bb.87:
	v_and_b32_e32 v2, 0xffff, v74
	v_or_b32_e32 v3, 0x10000, v74
	s_delay_alu instid0(VALU_DEP_2) | instskip(NEXT) | instid1(VALU_DEP_2)
	v_cmp_eq_u32_e32 vcc_lo, 0, v2
	v_cndmask_b32_e32 v2, v3, v74, vcc_lo
; %bb.88:
	s_or_b32 exec_lo, exec_lo, s3
	v_and_b32_e32 v3, 0x7f800000, v75
	s_delay_alu instid0(VALU_DEP_1) | instskip(SKIP_1) | instid1(SALU_CYCLE_1)
	v_cmp_ne_u32_e32 vcc_lo, 0x7f800000, v3
                                        ; implicit-def: $vgpr3
	s_and_saveexec_b32 s3, vcc_lo
	s_xor_b32 s3, exec_lo, s3
; %bb.89:
	v_bfe_u32 v3, v75, 16, 1
	s_delay_alu instid0(VALU_DEP_1)
	v_add3_u32 v3, v75, v3, 0x7fff
; %bb.90:
	s_and_not1_saveexec_b32 s3, s3
; %bb.91:
	v_and_b32_e32 v3, 0xffff, v75
	v_or_b32_e32 v4, 0x10000, v75
	s_delay_alu instid0(VALU_DEP_2) | instskip(NEXT) | instid1(VALU_DEP_2)
	v_cmp_eq_u32_e32 vcc_lo, 0, v3
	v_cndmask_b32_e32 v3, v4, v75, vcc_lo
; %bb.92:
	s_or_b32 exec_lo, exec_lo, s3
	v_and_b32_e32 v4, 0x7f800000, v76
	s_delay_alu instid0(VALU_DEP_1) | instskip(SKIP_1) | instid1(SALU_CYCLE_1)
	v_cmp_ne_u32_e32 vcc_lo, 0x7f800000, v4
                                        ; implicit-def: $vgpr4
	s_and_saveexec_b32 s3, vcc_lo
	s_xor_b32 s3, exec_lo, s3
; %bb.93:
	v_bfe_u32 v4, v76, 16, 1
	s_delay_alu instid0(VALU_DEP_1)
	v_add3_u32 v4, v76, v4, 0x7fff
; %bb.94:
	s_and_not1_saveexec_b32 s3, s3
; %bb.95:
	v_and_b32_e32 v4, 0xffff, v76
	v_or_b32_e32 v5, 0x10000, v76
	s_delay_alu instid0(VALU_DEP_2) | instskip(NEXT) | instid1(VALU_DEP_2)
	v_cmp_eq_u32_e32 vcc_lo, 0, v4
	v_cndmask_b32_e32 v4, v5, v76, vcc_lo
; %bb.96:
	s_or_b32 exec_lo, exec_lo, s3
	v_and_b32_e32 v5, 0x7f800000, v77
	s_delay_alu instid0(VALU_DEP_1) | instskip(SKIP_1) | instid1(SALU_CYCLE_1)
	v_cmp_ne_u32_e32 vcc_lo, 0x7f800000, v5
                                        ; implicit-def: $vgpr5
	s_and_saveexec_b32 s3, vcc_lo
	s_xor_b32 s3, exec_lo, s3
; %bb.97:
	v_bfe_u32 v5, v77, 16, 1
	s_delay_alu instid0(VALU_DEP_1)
	v_add3_u32 v5, v77, v5, 0x7fff
; %bb.98:
	s_and_not1_saveexec_b32 s3, s3
; %bb.99:
	v_and_b32_e32 v5, 0xffff, v77
	v_or_b32_e32 v6, 0x10000, v77
	s_delay_alu instid0(VALU_DEP_2) | instskip(NEXT) | instid1(VALU_DEP_2)
	v_cmp_eq_u32_e32 vcc_lo, 0, v5
	v_cndmask_b32_e32 v5, v6, v77, vcc_lo
; %bb.100:
	s_or_b32 exec_lo, exec_lo, s3
	v_and_b32_e32 v6, 0x7f800000, v78
	s_delay_alu instid0(VALU_DEP_1) | instskip(SKIP_1) | instid1(SALU_CYCLE_1)
	v_cmp_ne_u32_e32 vcc_lo, 0x7f800000, v6
                                        ; implicit-def: $vgpr6
	s_and_saveexec_b32 s3, vcc_lo
	s_xor_b32 s3, exec_lo, s3
; %bb.101:
	v_bfe_u32 v6, v78, 16, 1
	s_delay_alu instid0(VALU_DEP_1)
	v_add3_u32 v6, v78, v6, 0x7fff
; %bb.102:
	s_and_not1_saveexec_b32 s3, s3
; %bb.103:
	v_and_b32_e32 v6, 0xffff, v78
	v_or_b32_e32 v7, 0x10000, v78
	s_delay_alu instid0(VALU_DEP_2) | instskip(NEXT) | instid1(VALU_DEP_2)
	v_cmp_eq_u32_e32 vcc_lo, 0, v6
	v_cndmask_b32_e32 v6, v7, v78, vcc_lo
; %bb.104:
	s_or_b32 exec_lo, exec_lo, s3
	v_and_b32_e32 v7, 0x7f800000, v79
	s_delay_alu instid0(VALU_DEP_1) | instskip(SKIP_1) | instid1(SALU_CYCLE_1)
	v_cmp_ne_u32_e32 vcc_lo, 0x7f800000, v7
                                        ; implicit-def: $vgpr7
	s_and_saveexec_b32 s3, vcc_lo
	s_xor_b32 s3, exec_lo, s3
; %bb.105:
	v_bfe_u32 v7, v79, 16, 1
	s_delay_alu instid0(VALU_DEP_1)
	v_add3_u32 v7, v79, v7, 0x7fff
; %bb.106:
	s_and_not1_saveexec_b32 s3, s3
; %bb.107:
	v_and_b32_e32 v7, 0xffff, v79
	v_or_b32_e32 v8, 0x10000, v79
	s_delay_alu instid0(VALU_DEP_2) | instskip(NEXT) | instid1(VALU_DEP_2)
	v_cmp_eq_u32_e32 vcc_lo, 0, v7
	v_cndmask_b32_e32 v7, v8, v79, vcc_lo
; %bb.108:
	s_or_b32 exec_lo, exec_lo, s3
	v_and_b32_e32 v8, 0x7f800000, v80
	s_delay_alu instid0(VALU_DEP_1) | instskip(SKIP_1) | instid1(SALU_CYCLE_1)
	v_cmp_ne_u32_e32 vcc_lo, 0x7f800000, v8
                                        ; implicit-def: $vgpr8
	s_and_saveexec_b32 s3, vcc_lo
	s_xor_b32 s3, exec_lo, s3
; %bb.109:
	v_bfe_u32 v8, v80, 16, 1
	s_delay_alu instid0(VALU_DEP_1)
	v_add3_u32 v8, v80, v8, 0x7fff
                                        ; implicit-def: $vgpr73_vgpr74_vgpr75_vgpr76_vgpr77_vgpr78_vgpr79_vgpr80
; %bb.110:
	s_and_not1_saveexec_b32 s3, s3
; %bb.111:
	v_and_b32_e32 v8, 0xffff, v80
	v_or_b32_e32 v9, 0x10000, v80
	s_delay_alu instid0(VALU_DEP_2) | instskip(NEXT) | instid1(VALU_DEP_2)
	v_cmp_eq_u32_e32 vcc_lo, 0, v8
	v_cndmask_b32_e32 v8, v9, v80, vcc_lo
; %bb.112:
	s_or_b32 exec_lo, exec_lo, s3
	s_delay_alu instid0(VALU_DEP_1)
	v_perm_b32 v7, v8, v7, 0x7060302
	v_perm_b32 v6, v6, v5, 0x7060302
	;; [unrolled: 1-line block ×4, first 2 shown]
	v_lshl_or_b32 v9, v83, 4, v90
	s_barrier
	buffer_gl0_inv
	v_cmp_eq_u32_e32 vcc_lo, 1, v87
	ds_store_b128 v9, v[4:7]
	s_waitcnt lgkmcnt(0)
	s_barrier
	buffer_gl0_inv
	ds_load_b128 v[1:4], v90
	ds_load_b128 v[5:8], v90 offset:16
	v_cmp_eq_u32_e64 s4, 2, v87
	v_cmp_eq_u32_e64 s3, 1, v88
	;; [unrolled: 1-line block ×5, first 2 shown]
	s_waitcnt lgkmcnt(1)
	v_lshrrev_b32_e32 v10, 16, v1
	s_waitcnt lgkmcnt(0)
	v_lshrrev_b32_e32 v14, 16, v5
	v_lshrrev_b32_e32 v15, 16, v6
	;; [unrolled: 1-line block ×4, first 2 shown]
	v_cndmask_b32_e64 v20, v1, v10, s3
	v_cndmask_b32_e32 v19, v5, v14, vcc_lo
	v_cndmask_b32_e64 v21, v5, v14, s3
	v_lshrrev_b32_e32 v16, 16, v7
	v_cmp_eq_u32_e64 s3, 1, v86
	v_lshrrev_b32_e32 v13, 16, v4
	v_cndmask_b32_e64 v19, v19, v6, s4
	v_lshrrev_b32_e32 v17, 16, v8
	s_delay_alu instid0(VALU_DEP_4) | instskip(SKIP_1) | instid1(VALU_DEP_4)
	v_cndmask_b32_e64 v22, v1, v10, s3
	v_cndmask_b32_e64 v23, v5, v14, s3
	;; [unrolled: 1-line block ×3, first 2 shown]
	v_cndmask_b32_e32 v18, v1, v10, vcc_lo
	v_cmp_eq_u32_e32 vcc_lo, 2, v88
	v_cmp_eq_u32_e64 s3, 2, v89
	v_cndmask_b32_e64 v22, v22, v2, s7
	v_cndmask_b32_e32 v20, v20, v2, vcc_lo
	v_cndmask_b32_e32 v21, v21, v6, vcc_lo
	v_cmp_eq_u32_e32 vcc_lo, 4, v87
	v_cndmask_b32_e32 v19, v19, v7, vcc_lo
	v_cndmask_b32_e64 v18, v18, v2, s4
	v_cmp_eq_u32_e64 s4, 3, v88
	s_delay_alu instid0(VALU_DEP_2) | instskip(NEXT) | instid1(VALU_DEP_2)
	v_cndmask_b32_e64 v18, v18, v11, s5
	v_cndmask_b32_e64 v21, v21, v15, s4
	v_cmp_eq_u32_e64 s5, 5, v87
	s_delay_alu instid0(VALU_DEP_3) | instskip(SKIP_1) | instid1(VALU_DEP_3)
	v_cndmask_b32_e32 v18, v18, v3, vcc_lo
	v_cmp_eq_u32_e32 vcc_lo, 4, v88
	v_cndmask_b32_e64 v19, v19, v16, s5
	s_delay_alu instid0(VALU_DEP_3) | instskip(SKIP_4) | instid1(VALU_DEP_3)
	v_cndmask_b32_e64 v18, v18, v12, s5
	v_cndmask_b32_e32 v21, v21, v7, vcc_lo
	v_cndmask_b32_e64 v20, v20, v11, s4
	v_cmp_eq_u32_e64 s4, 5, v88
	v_cmp_eq_u32_e64 s5, 6, v87
	v_cndmask_b32_e32 v20, v20, v3, vcc_lo
	s_delay_alu instid0(VALU_DEP_3) | instskip(SKIP_1) | instid1(VALU_DEP_4)
	v_cndmask_b32_e64 v21, v21, v16, s4
	v_cmp_eq_u32_e32 vcc_lo, 6, v88
	v_cndmask_b32_e64 v18, v18, v4, s5
	v_cndmask_b32_e64 v19, v19, v8, s5
	;; [unrolled: 1-line block ×3, first 2 shown]
	v_cmp_eq_u32_e64 s4, 1, v89
	v_cmp_eq_u32_e64 s5, 7, v87
	s_delay_alu instid0(VALU_DEP_3) | instskip(NEXT) | instid1(VALU_DEP_3)
	v_cndmask_b32_e32 v20, v20, v4, vcc_lo
	v_cndmask_b32_e64 v1, v1, v10, s4
	v_cndmask_b32_e64 v5, v5, v14, s4
	v_cmp_eq_u32_e64 s4, 3, v86
	v_cndmask_b32_e64 v14, v23, v6, s7
	v_cmp_eq_u32_e64 s7, 3, v89
	v_cndmask_b32_e64 v1, v1, v2, s3
	v_cndmask_b32_e64 v2, v5, v6, s3
	;; [unrolled: 1-line block ×3, first 2 shown]
	v_cmp_eq_u32_e64 s3, 4, v86
	v_cndmask_b32_e64 v6, v14, v15, s4
	v_cndmask_b32_e64 v1, v1, v11, s7
	v_cmp_eq_u32_e64 s4, 4, v89
	v_cndmask_b32_e64 v2, v2, v15, s7
	v_cndmask_b32_e64 v5, v10, v3, s3
	;; [unrolled: 3-line block ×3, first 2 shown]
	v_cndmask_b32_e64 v2, v2, v7, s4
	v_cmp_eq_u32_e64 s3, 5, v89
	v_cndmask_b32_e64 v5, v5, v12, s7
	v_cmp_eq_u32_e64 s4, 6, v86
	v_cndmask_b32_e64 v3, v6, v16, s7
	v_cmp_eq_u32_e64 s7, 6, v89
	v_cndmask_b32_e64 v1, v1, v12, s3
	v_cndmask_b32_e64 v2, v2, v16, s3
	;; [unrolled: 1-line block ×4, first 2 shown]
	v_cmp_eq_u32_e64 s3, 7, v89
	v_cndmask_b32_e64 v1, v1, v4, s7
	v_cndmask_b32_e64 v2, v2, v8, s7
	v_cmp_eq_u32_e64 s4, 7, v86
	v_cndmask_b32_e32 v4, v21, v8, vcc_lo
	v_cndmask_b32_e64 v18, v18, v13, s5
	v_cndmask_b32_e64 v20, v20, v13, s6
	;; [unrolled: 1-line block ×8, first 2 shown]
	s_mov_b32 s3, exec_lo
	v_perm_b32 v4, v2, v1, 0x5040100
	v_perm_b32 v3, v3, v5, 0x5040100
	;; [unrolled: 1-line block ×4, first 2 shown]
	ds_store_b128 v9, v[1:4]
	s_waitcnt lgkmcnt(0)
	s_barrier
	buffer_gl0_inv
	v_cmpx_gt_u32_e32 32, v0
	s_cbranch_execz .LBB724_2
; %bb.113:
	s_load_b64 s[4:5], s[0:1], 0x68
	v_add_nc_u32_e32 v20, s31, v83
	v_lshlrev_b32_e32 v0, 10, v0
	v_lshlrev_b32_e32 v1, 4, v84
	s_lshl_b32 s0, s34, 7
	s_delay_alu instid0(SALU_CYCLE_1)
	s_mul_i32 s1, s0, s30
	v_add_nc_u32_e32 v2, 2, v20
	s_mul_i32 s6, s1, s8
	v_and_or_b32 v0, 0x3800, v0, v1
	v_mul_lo_u32 v1, v20, s0
	s_ashr_i32 s7, s6, 31
	v_mul_lo_u32 v11, v2, s0
	s_lshl_b64 s[6:7], s[6:7], 1
	v_add_nc_u32_e32 v3, 4, v20
	v_lshl_or_b32 v21, v83, 6, v0
	v_add_nc_u32_e32 v16, 6, v20
	v_ashrrev_i32_e32 v2, 31, v1
	s_delay_alu instid0(VALU_DEP_4)
	v_mul_lo_u32 v13, v3, s0
	s_waitcnt lgkmcnt(0)
	s_add_u32 s1, s4, s6
	s_addc_u32 s3, s5, s7
	s_lshl_b32 s4, s14, 7
	ds_load_b128 v[3:6], v21
	ds_load_b128 v[7:10], v21 offset:128
	s_ashr_i32 s5, s4, 31
	v_ashrrev_i32_e32 v12, 31, v11
	s_lshl_b64 s[4:5], s[4:5], 1
	v_lshlrev_b64 v[14:15], 1, v[1:2]
	s_add_u32 s1, s1, s4
	s_addc_u32 s3, s3, s5
	v_add_co_u32 v1, vcc_lo, s1, v81
	v_add_co_ci_u32_e32 v2, vcc_lo, s3, v82, vcc_lo
	v_lshlrev_b64 v[11:12], 1, v[11:12]
	s_delay_alu instid0(VALU_DEP_3) | instskip(SKIP_1) | instid1(VALU_DEP_4)
	v_add_co_u32 v18, vcc_lo, v1, v14
	v_mul_lo_u32 v16, v16, s0
	v_add_co_ci_u32_e32 v19, vcc_lo, v2, v15, vcc_lo
	s_delay_alu instid0(VALU_DEP_4)
	v_add_co_u32 v11, vcc_lo, v1, v11
	v_ashrrev_i32_e32 v14, 31, v13
	v_add_co_ci_u32_e32 v12, vcc_lo, v2, v12, vcc_lo
	v_add_nc_u32_e32 v15, 8, v20
	v_ashrrev_i32_e32 v17, 31, v16
	s_waitcnt lgkmcnt(1)
	global_store_b128 v[18:19], v[3:6], off
	v_lshlrev_b64 v[3:4], 1, v[13:14]
	s_waitcnt lgkmcnt(0)
	global_store_b128 v[11:12], v[7:10], off
	v_mul_lo_u32 v11, v15, s0
	v_add_nc_u32_e32 v7, 10, v20
	v_lshlrev_b64 v[5:6], 1, v[16:17]
	v_add_co_u32 v23, vcc_lo, v1, v3
	v_add_nc_u32_e32 v3, 12, v20
	s_delay_alu instid0(VALU_DEP_4)
	v_mul_lo_u32 v25, v7, s0
	v_ashrrev_i32_e32 v12, 31, v11
	v_add_co_ci_u32_e32 v24, vcc_lo, v2, v4, vcc_lo
	v_add_co_u32 v27, vcc_lo, v1, v5
	v_mul_lo_u32 v29, v3, s0
	v_add_co_ci_u32_e32 v28, vcc_lo, v2, v6, vcc_lo
	ds_load_b128 v[3:6], v21 offset:256
	ds_load_b128 v[7:10], v21 offset:384
	v_lshlrev_b64 v[31:32], 1, v[11:12]
	ds_load_b128 v[11:14], v21 offset:512
	ds_load_b128 v[15:18], v21 offset:640
	;; [unrolled: 1-line block ×3, first 2 shown]
	v_ashrrev_i32_e32 v26, 31, v25
	v_ashrrev_i32_e32 v30, 31, v29
	v_add_co_u32 v31, vcc_lo, v1, v31
	s_delay_alu instid0(VALU_DEP_3) | instskip(NEXT) | instid1(VALU_DEP_3)
	v_lshlrev_b64 v[25:26], 1, v[25:26]
	v_lshlrev_b64 v[29:30], 1, v[29:30]
	v_add_co_ci_u32_e32 v32, vcc_lo, v2, v32, vcc_lo
	s_delay_alu instid0(VALU_DEP_3) | instskip(NEXT) | instid1(VALU_DEP_4)
	v_add_co_u32 v25, vcc_lo, v1, v25
	v_add_co_ci_u32_e32 v26, vcc_lo, v2, v26, vcc_lo
	s_delay_alu instid0(VALU_DEP_4)
	v_add_co_u32 v29, vcc_lo, v1, v29
	v_add_co_ci_u32_e32 v30, vcc_lo, v2, v30, vcc_lo
	s_waitcnt lgkmcnt(4)
	global_store_b128 v[23:24], v[3:6], off
	s_waitcnt lgkmcnt(3)
	global_store_b128 v[27:28], v[7:10], off
	;; [unrolled: 2-line block ×5, first 2 shown]
	s_and_b32 exec_lo, exec_lo, s2
	s_cbranch_execz .LBB724_2
; %bb.114:
	ds_load_b128 v[3:6], v0 offset:896
	s_add_i32 s1, s31, 14
	s_delay_alu instid0(SALU_CYCLE_1) | instskip(NEXT) | instid1(SALU_CYCLE_1)
	s_mul_i32 s0, s1, s0
	s_ashr_i32 s1, s0, 31
	s_delay_alu instid0(SALU_CYCLE_1) | instskip(NEXT) | instid1(SALU_CYCLE_1)
	s_lshl_b64 s[0:1], s[0:1], 1
	v_add_co_u32 v0, vcc_lo, v1, s0
	v_add_co_ci_u32_e32 v1, vcc_lo, s1, v2, vcc_lo
	s_waitcnt lgkmcnt(0)
	global_store_b128 v[0:1], v[3:6], off
	s_nop 0
	s_sendmsg sendmsg(MSG_DEALLOC_VGPRS)
	s_endpgm
	.section	.rodata,"a",@progbits
	.p2align	6, 0x0
	.amdhsa_kernel _Z39paged_attention_ll4mi_QKV_mfma16_kernelI14__hip_bfloat16S0_LN4vllm18Fp8KVCacheDataTypeE0EhLi32ELi128ELi256ELb0ELi15EL8MFMAType0EEvPKT_PKT0_S9_ifPKiSB_SB_iPKfiiiPfSE_PS4_PT2_iSD_SD_
		.amdhsa_group_segment_fixed_size 17472
		.amdhsa_private_segment_fixed_size 0
		.amdhsa_kernarg_size 400
		.amdhsa_user_sgpr_count 13
		.amdhsa_user_sgpr_dispatch_ptr 0
		.amdhsa_user_sgpr_queue_ptr 0
		.amdhsa_user_sgpr_kernarg_segment_ptr 1
		.amdhsa_user_sgpr_dispatch_id 0
		.amdhsa_user_sgpr_private_segment_size 0
		.amdhsa_wavefront_size32 1
		.amdhsa_uses_dynamic_stack 0
		.amdhsa_enable_private_segment 0
		.amdhsa_system_sgpr_workgroup_id_x 1
		.amdhsa_system_sgpr_workgroup_id_y 1
		.amdhsa_system_sgpr_workgroup_id_z 1
		.amdhsa_system_sgpr_workgroup_info 0
		.amdhsa_system_vgpr_workitem_id 0
		.amdhsa_next_free_vgpr 157
		.amdhsa_next_free_sgpr 38
		.amdhsa_reserve_vcc 1
		.amdhsa_float_round_mode_32 0
		.amdhsa_float_round_mode_16_64 0
		.amdhsa_float_denorm_mode_32 3
		.amdhsa_float_denorm_mode_16_64 3
		.amdhsa_dx10_clamp 1
		.amdhsa_ieee_mode 1
		.amdhsa_fp16_overflow 0
		.amdhsa_workgroup_processor_mode 1
		.amdhsa_memory_ordered 1
		.amdhsa_forward_progress 0
		.amdhsa_shared_vgpr_count 0
		.amdhsa_exception_fp_ieee_invalid_op 0
		.amdhsa_exception_fp_denorm_src 0
		.amdhsa_exception_fp_ieee_div_zero 0
		.amdhsa_exception_fp_ieee_overflow 0
		.amdhsa_exception_fp_ieee_underflow 0
		.amdhsa_exception_fp_ieee_inexact 0
		.amdhsa_exception_int_div_zero 0
	.end_amdhsa_kernel
	.section	.text._Z39paged_attention_ll4mi_QKV_mfma16_kernelI14__hip_bfloat16S0_LN4vllm18Fp8KVCacheDataTypeE0EhLi32ELi128ELi256ELb0ELi15EL8MFMAType0EEvPKT_PKT0_S9_ifPKiSB_SB_iPKfiiiPfSE_PS4_PT2_iSD_SD_,"axG",@progbits,_Z39paged_attention_ll4mi_QKV_mfma16_kernelI14__hip_bfloat16S0_LN4vllm18Fp8KVCacheDataTypeE0EhLi32ELi128ELi256ELb0ELi15EL8MFMAType0EEvPKT_PKT0_S9_ifPKiSB_SB_iPKfiiiPfSE_PS4_PT2_iSD_SD_,comdat
.Lfunc_end724:
	.size	_Z39paged_attention_ll4mi_QKV_mfma16_kernelI14__hip_bfloat16S0_LN4vllm18Fp8KVCacheDataTypeE0EhLi32ELi128ELi256ELb0ELi15EL8MFMAType0EEvPKT_PKT0_S9_ifPKiSB_SB_iPKfiiiPfSE_PS4_PT2_iSD_SD_, .Lfunc_end724-_Z39paged_attention_ll4mi_QKV_mfma16_kernelI14__hip_bfloat16S0_LN4vllm18Fp8KVCacheDataTypeE0EhLi32ELi128ELi256ELb0ELi15EL8MFMAType0EEvPKT_PKT0_S9_ifPKiSB_SB_iPKfiiiPfSE_PS4_PT2_iSD_SD_
                                        ; -- End function
	.section	.AMDGPU.csdata,"",@progbits
; Kernel info:
; codeLenInByte = 10012
; NumSgprs: 40
; NumVgprs: 157
; ScratchSize: 0
; MemoryBound: 0
; FloatMode: 240
; IeeeMode: 1
; LDSByteSize: 17472 bytes/workgroup (compile time only)
; SGPRBlocks: 4
; VGPRBlocks: 19
; NumSGPRsForWavesPerEU: 40
; NumVGPRsForWavesPerEU: 157
; Occupancy: 9
; WaveLimiterHint : 1
; COMPUTE_PGM_RSRC2:SCRATCH_EN: 0
; COMPUTE_PGM_RSRC2:USER_SGPR: 13
; COMPUTE_PGM_RSRC2:TRAP_HANDLER: 0
; COMPUTE_PGM_RSRC2:TGID_X_EN: 1
; COMPUTE_PGM_RSRC2:TGID_Y_EN: 1
; COMPUTE_PGM_RSRC2:TGID_Z_EN: 1
; COMPUTE_PGM_RSRC2:TIDIG_COMP_CNT: 0
	.section	.text._Z39paged_attention_ll4mi_QKV_mfma16_kernelI14__hip_bfloat16S0_LN4vllm18Fp8KVCacheDataTypeE0EhLi32ELi128ELi256ELb0ELi16EL8MFMAType0EEvPKT_PKT0_S9_ifPKiSB_SB_iPKfiiiPfSE_PS4_PT2_iSD_SD_,"axG",@progbits,_Z39paged_attention_ll4mi_QKV_mfma16_kernelI14__hip_bfloat16S0_LN4vllm18Fp8KVCacheDataTypeE0EhLi32ELi128ELi256ELb0ELi16EL8MFMAType0EEvPKT_PKT0_S9_ifPKiSB_SB_iPKfiiiPfSE_PS4_PT2_iSD_SD_,comdat
	.protected	_Z39paged_attention_ll4mi_QKV_mfma16_kernelI14__hip_bfloat16S0_LN4vllm18Fp8KVCacheDataTypeE0EhLi32ELi128ELi256ELb0ELi16EL8MFMAType0EEvPKT_PKT0_S9_ifPKiSB_SB_iPKfiiiPfSE_PS4_PT2_iSD_SD_ ; -- Begin function _Z39paged_attention_ll4mi_QKV_mfma16_kernelI14__hip_bfloat16S0_LN4vllm18Fp8KVCacheDataTypeE0EhLi32ELi128ELi256ELb0ELi16EL8MFMAType0EEvPKT_PKT0_S9_ifPKiSB_SB_iPKfiiiPfSE_PS4_PT2_iSD_SD_
	.globl	_Z39paged_attention_ll4mi_QKV_mfma16_kernelI14__hip_bfloat16S0_LN4vllm18Fp8KVCacheDataTypeE0EhLi32ELi128ELi256ELb0ELi16EL8MFMAType0EEvPKT_PKT0_S9_ifPKiSB_SB_iPKfiiiPfSE_PS4_PT2_iSD_SD_
	.p2align	8
	.type	_Z39paged_attention_ll4mi_QKV_mfma16_kernelI14__hip_bfloat16S0_LN4vllm18Fp8KVCacheDataTypeE0EhLi32ELi128ELi256ELb0ELi16EL8MFMAType0EEvPKT_PKT0_S9_ifPKiSB_SB_iPKfiiiPfSE_PS4_PT2_iSD_SD_,@function
_Z39paged_attention_ll4mi_QKV_mfma16_kernelI14__hip_bfloat16S0_LN4vllm18Fp8KVCacheDataTypeE0EhLi32ELi128ELi256ELb0ELi16EL8MFMAType0EEvPKT_PKT0_S9_ifPKiSB_SB_iPKfiiiPfSE_PS4_PT2_iSD_SD_: ; @_Z39paged_attention_ll4mi_QKV_mfma16_kernelI14__hip_bfloat16S0_LN4vllm18Fp8KVCacheDataTypeE0EhLi32ELi128ELi256ELb0ELi16EL8MFMAType0EEvPKT_PKT0_S9_ifPKiSB_SB_iPKfiiiPfSE_PS4_PT2_iSD_SD_
; %bb.0:
	s_load_b64 s[2:3], s[0:1], 0x30
	s_mov_b32 s30, s13
	s_waitcnt lgkmcnt(0)
	s_cmp_lg_u64 s[2:3], 0
	s_cselect_b32 s6, -1, 0
	s_ashr_i32 s31, s13, 31
	s_cmp_eq_u64 s[2:3], 0
	s_cbranch_scc1 .LBB725_3
; %bb.1:
	s_lshl_b64 s[4:5], s[30:31], 2
	s_delay_alu instid0(SALU_CYCLE_1) | instskip(SKIP_4) | instid1(SALU_CYCLE_1)
	s_add_u32 s4, s2, s4
	s_addc_u32 s5, s3, s5
	s_load_b64 s[4:5], s[4:5], 0x0
	s_waitcnt lgkmcnt(0)
	s_sub_i32 s4, s5, s4
	s_cmp_eq_u32 s4, 1
	s_cselect_b32 s4, -1, 0
	s_delay_alu instid0(SALU_CYCLE_1)
	s_and_not1_b32 vcc_lo, exec_lo, s4
	s_cbranch_vccz .LBB725_4
.LBB725_2:
	s_endpgm
.LBB725_3:
.LBB725_4:
	s_load_b64 s[8:9], s[0:1], 0x28
	s_lshl_b64 s[4:5], s[30:31], 2
	s_waitcnt lgkmcnt(0)
	s_add_u32 s8, s8, s4
	s_addc_u32 s9, s9, s5
	s_lshl_b32 s12, s14, 8
	s_load_b32 s17, s[8:9], 0x0
	s_waitcnt lgkmcnt(0)
	s_cmp_ge_i32 s12, s17
	s_cbranch_scc1 .LBB725_2
; %bb.5:
	s_and_not1_b32 vcc_lo, exec_lo, s6
	s_cbranch_vccnz .LBB725_7
; %bb.6:
	s_add_u32 s2, s2, s4
	s_addc_u32 s3, s3, s5
	s_load_b32 s13, s[2:3], 0x0
	s_branch .LBB725_8
.LBB725_7:
	s_mov_b32 s13, s30
.LBB725_8:
	s_clause 0x2
	s_load_b128 s[8:11], s[0:1], 0x8
	s_load_b64 s[2:3], s[0:1], 0x20
	s_load_b128 s[4:7], s[0:1], 0x48
	v_and_b32_e32 v74, 15, v0
	s_waitcnt lgkmcnt(0)
	s_mov_b32 s7, exec_lo
	s_delay_alu instid0(VALU_DEP_1)
	v_lshlrev_b32_e32 v1, 3, v74
	v_cmpx_lt_u32_e32 0xff, v0
	s_xor_b32 s7, exec_lo, s7
; %bb.9:
	v_mov_b32_e32 v2, 0
; %bb.10:
	s_or_saveexec_b32 s7, s7
	v_lshrrev_b32_e32 v73, 5, v0
	v_and_b32_e32 v75, 31, v0
	v_and_b32_e32 v84, 1, v0
	v_bfe_u32 v83, v0, 4, 1
	s_lshl_b32 s29, s15, 4
	s_xor_b32 exec_lo, exec_lo, s7
	s_cbranch_execz .LBB725_12
; %bb.11:
	s_delay_alu instid0(VALU_DEP_1)
	v_lshl_or_b32 v7, v73, 1, v83
	s_load_b64 s[18:19], s[0:1], 0x0
	s_mul_hi_i32 s21, s13, s4
	s_mul_i32 s20, s13, s4
	v_lshlrev_b32_e32 v4, 1, v1
	v_or_b32_e32 v2, s29, v7
	s_lshl_b64 s[20:21], s[20:21], 1
	v_lshlrev_b32_e32 v7, 6, v7
	v_lshlrev_b32_e32 v8, 10, v84
	s_delay_alu instid0(VALU_DEP_3) | instskip(NEXT) | instid1(VALU_DEP_1)
	v_lshlrev_b32_e32 v2, 7, v2
	v_ashrrev_i32_e32 v3, 31, v2
	s_delay_alu instid0(VALU_DEP_1) | instskip(SKIP_3) | instid1(VALU_DEP_1)
	v_lshlrev_b64 v[2:3], 1, v[2:3]
	s_waitcnt lgkmcnt(0)
	s_add_u32 s4, s18, s20
	s_addc_u32 s13, s19, s21
	v_add_co_u32 v2, vcc_lo, s4, v2
	s_delay_alu instid0(VALU_DEP_2) | instskip(NEXT) | instid1(VALU_DEP_2)
	v_add_co_ci_u32_e32 v3, vcc_lo, s13, v3, vcc_lo
	v_add_co_u32 v2, vcc_lo, v2, v4
	s_delay_alu instid0(VALU_DEP_2) | instskip(SKIP_2) | instid1(VALU_DEP_1)
	v_add_co_ci_u32_e32 v3, vcc_lo, 0, v3, vcc_lo
	global_load_b128 v[3:6], v[2:3], off
	v_lshlrev_b32_e32 v2, 10, v74
	v_and_b32_e32 v2, 0x3800, v2
	s_delay_alu instid0(VALU_DEP_1)
	v_or3_b32 v7, v2, v8, v7
	v_mov_b32_e32 v2, 0
	s_waitcnt vmcnt(0)
	ds_store_b128 v7, v[3:6]
.LBB725_12:
	s_or_b32 exec_lo, exec_lo, s7
	v_and_b32_e32 v3, 0xef, v0
	s_add_i32 s4, s17, 31
	s_clause 0x1
	s_load_b32 s7, s[0:1], 0x38
	s_load_b32 s18, s[0:1], 0x1c
	s_ashr_i32 s13, s4, 31
	v_add_nc_u32_e32 v3, s12, v3
	s_lshr_b32 s13, s13, 27
	s_waitcnt lgkmcnt(0)
	s_add_i32 s4, s4, s13
	s_barrier
	v_ashrrev_i32_e32 v4, 31, v3
	v_cmp_gt_i32_e32 vcc_lo, s17, v3
	s_ashr_i32 s4, s4, 5
	buffer_gl0_inv
	s_add_i32 s4, s4, -1
	v_lshrrev_b32_e32 v5, 27, v4
	v_or_b32_e32 v4, 16, v3
	v_lshlrev_b64 v[81:82], 1, v[1:2]
	s_delay_alu instid0(VALU_DEP_3) | instskip(NEXT) | instid1(VALU_DEP_3)
	v_add_nc_u32_e32 v6, v3, v5
	v_add_nc_u32_e32 v5, v4, v5
	s_mul_i32 s20, s30, s7
	s_delay_alu instid0(SALU_CYCLE_1) | instskip(NEXT) | instid1(VALU_DEP_2)
	s_ashr_i32 s21, s20, 31
	v_ashrrev_i32_e32 v6, 5, v6
	s_delay_alu instid0(VALU_DEP_2) | instskip(SKIP_1) | instid1(SALU_CYCLE_1)
	v_ashrrev_i32_e32 v5, 5, v5
	s_lshl_b64 s[20:21], s[20:21], 2
	s_add_u32 s13, s2, s20
	s_delay_alu instid0(VALU_DEP_2) | instskip(SKIP_3) | instid1(SALU_CYCLE_1)
	v_cndmask_b32_e32 v3, s4, v6, vcc_lo
	v_cmp_gt_i32_e32 vcc_lo, s17, v4
	s_addc_u32 s16, s3, s21
	s_mul_i32 s2, s15, s6
	s_ashr_i32 s3, s2, 31
	v_cndmask_b32_e32 v5, s4, v5, vcc_lo
	v_ashrrev_i32_e32 v4, 31, v3
	s_lshl_b64 s[2:3], s[2:3], 1
	s_delay_alu instid0(SALU_CYCLE_1) | instskip(NEXT) | instid1(VALU_DEP_2)
	s_add_u32 s15, s8, s2
	v_ashrrev_i32_e32 v6, 31, v5
	s_delay_alu instid0(VALU_DEP_2) | instskip(SKIP_2) | instid1(VALU_DEP_2)
	v_lshlrev_b64 v[3:4], 2, v[3:4]
	s_addc_u32 s19, s9, s3
	s_lshl_b32 s6, s14, 3
	v_lshlrev_b64 v[5:6], 2, v[5:6]
	s_ashr_i32 s7, s6, 31
	s_delay_alu instid0(VALU_DEP_2) | instskip(SKIP_1) | instid1(VALU_DEP_3)
	v_add_co_u32 v3, vcc_lo, s13, v3
	v_add_co_ci_u32_e32 v4, vcc_lo, s16, v4, vcc_lo
	v_add_co_u32 v5, vcc_lo, s13, v5
	s_delay_alu instid0(VALU_DEP_4)
	v_add_co_ci_u32_e32 v6, vcc_lo, s16, v6, vcc_lo
	s_lshl_b64 s[6:7], s[6:7], 2
	s_clause 0x1
	global_load_b32 v7, v[3:4], off
	global_load_b32 v8, v[5:6], off
	s_add_u32 s6, s13, s6
	s_addc_u32 s7, s16, s7
	s_or_b32 s8, s12, 32
	s_delay_alu instid0(SALU_CYCLE_1) | instskip(SKIP_2) | instid1(SALU_CYCLE_1)
	s_ashr_i32 s9, s8, 5
	s_cmp_lt_i32 s8, s17
	s_cselect_b32 s8, s9, s4
	s_ashr_i32 s9, s8, 31
	s_delay_alu instid0(SALU_CYCLE_1) | instskip(NEXT) | instid1(SALU_CYCLE_1)
	s_lshl_b64 s[8:9], s[8:9], 2
	s_add_u32 s8, s13, s8
	s_addc_u32 s9, s16, s9
	s_or_b32 s20, s12, 64
	s_delay_alu instid0(SALU_CYCLE_1) | instskip(SKIP_2) | instid1(SALU_CYCLE_1)
	s_ashr_i32 s21, s20, 5
	s_cmp_lt_i32 s20, s17
	s_cselect_b32 s20, s21, s4
	s_ashr_i32 s21, s20, 31
	s_delay_alu instid0(SALU_CYCLE_1) | instskip(NEXT) | instid1(SALU_CYCLE_1)
	s_lshl_b64 s[20:21], s[20:21], 2
	s_add_u32 s20, s13, s20
	s_addc_u32 s21, s16, s21
	s_or_b32 s22, s12, 0x60
	s_delay_alu instid0(SALU_CYCLE_1) | instskip(SKIP_2) | instid1(SALU_CYCLE_1)
	s_ashr_i32 s23, s22, 5
	s_cmp_lt_i32 s22, s17
	s_cselect_b32 s22, s23, s4
	s_ashr_i32 s23, s22, 31
	s_delay_alu instid0(SALU_CYCLE_1) | instskip(NEXT) | instid1(SALU_CYCLE_1)
	s_lshl_b64 s[22:23], s[22:23], 2
	s_add_u32 s22, s13, s22
	s_addc_u32 s23, s16, s23
	s_or_b32 s24, s12, 0x80
	s_delay_alu instid0(SALU_CYCLE_1) | instskip(SKIP_2) | instid1(SALU_CYCLE_1)
	s_ashr_i32 s25, s24, 5
	s_cmp_lt_i32 s24, s17
	s_cselect_b32 s24, s25, s4
	s_ashr_i32 s25, s24, 31
	s_delay_alu instid0(SALU_CYCLE_1) | instskip(NEXT) | instid1(SALU_CYCLE_1)
	s_lshl_b64 s[24:25], s[24:25], 2
	s_add_u32 s24, s13, s24
	s_addc_u32 s25, s16, s25
	s_or_b32 s26, s12, 0xa0
	s_delay_alu instid0(SALU_CYCLE_1) | instskip(SKIP_2) | instid1(SALU_CYCLE_1)
	s_ashr_i32 s27, s26, 5
	s_cmp_lt_i32 s26, s17
	s_cselect_b32 s26, s27, s4
	s_ashr_i32 s27, s26, 31
	s_delay_alu instid0(SALU_CYCLE_1) | instskip(NEXT) | instid1(SALU_CYCLE_1)
	s_lshl_b64 s[26:27], s[26:27], 2
	s_add_u32 s26, s13, s26
	s_addc_u32 s27, s16, s27
	s_clause 0x5
	s_load_b32 s28, s[6:7], 0x0
	s_load_b32 s31, s[8:9], 0x0
	;; [unrolled: 1-line block ×6, first 2 shown]
	s_mov_b32 s20, 0
	s_or_b32 s6, s12, 0xc0
	s_mov_b32 s21, s20
	s_mov_b32 s22, s20
	;; [unrolled: 1-line block ×7, first 2 shown]
	v_lshlrev_b32_e32 v85, 6, v74
	v_dual_mov_b32 v109, s27 :: v_dual_mov_b32 v102, s20
	v_dual_mov_b32 v108, s26 :: v_dual_mov_b32 v107, s25
	;; [unrolled: 1-line block ×4, first 2 shown]
	s_ashr_i32 s7, s6, 5
	s_cmp_lt_i32 s6, s17
	s_waitcnt lgkmcnt(0)
	s_mul_hi_i32 s27, s34, s5
	s_cselect_b32 s6, s7, s4
	s_mul_i32 s26, s34, s5
	s_ashr_i32 s7, s6, 31
	s_mul_hi_i32 s9, s28, s5
	s_lshl_b64 s[6:7], s[6:7], 2
	s_mul_i32 s8, s28, s5
	s_add_u32 s6, s13, s6
	s_addc_u32 s7, s16, s7
	s_mul_hi_i32 s21, s31, s5
	s_mul_i32 s20, s31, s5
	s_mul_hi_i32 s25, s33, s5
	s_mul_i32 s24, s33, s5
	;; [unrolled: 2-line block ×3, first 2 shown]
	s_waitcnt vmcnt(1)
	v_mad_i64_i32 v[3:4], null, v7, s5, 0
	s_waitcnt vmcnt(0)
	v_mad_i64_i32 v[5:6], null, v8, s5, 0
	s_delay_alu instid0(VALU_DEP_2) | instskip(NEXT) | instid1(VALU_DEP_2)
	v_lshlrev_b64 v[3:4], 1, v[3:4]
	v_lshlrev_b64 v[1:2], 1, v[5:6]
	s_delay_alu instid0(VALU_DEP_2) | instskip(NEXT) | instid1(VALU_DEP_3)
	v_add_co_u32 v3, vcc_lo, s15, v3
	v_add_co_ci_u32_e32 v4, vcc_lo, s19, v4, vcc_lo
	s_delay_alu instid0(VALU_DEP_3) | instskip(NEXT) | instid1(VALU_DEP_4)
	v_add_co_u32 v1, vcc_lo, s15, v1
	v_add_co_ci_u32_e32 v2, vcc_lo, s19, v2, vcc_lo
	s_delay_alu instid0(VALU_DEP_4) | instskip(NEXT) | instid1(VALU_DEP_4)
	v_add_co_u32 v65, vcc_lo, v3, v81
	v_add_co_ci_u32_e32 v66, vcc_lo, v4, v82, vcc_lo
	s_delay_alu instid0(VALU_DEP_4) | instskip(NEXT) | instid1(VALU_DEP_4)
	v_add_co_u32 v76, vcc_lo, v1, v81
	v_add_co_ci_u32_e32 v77, vcc_lo, v2, v82, vcc_lo
	s_clause 0xf
	global_load_b128 v[1:4], v[65:66], off
	global_load_b128 v[5:8], v[65:66], off offset:512
	global_load_b128 v[9:12], v[76:77], off offset:256
	;; [unrolled: 1-line block ×15, first 2 shown]
	v_add_co_u32 v78, vcc_lo, 0x1000, v65
	v_add_co_ci_u32_e32 v79, vcc_lo, 0, v66, vcc_lo
	v_add_co_u32 v76, vcc_lo, 0x1000, v76
	s_clause 0x1
	global_load_b128 v[65:68], v[78:79], off
	global_load_b128 v[69:72], v[78:79], off offset:512
	v_add_co_ci_u32_e32 v77, vcc_lo, 0, v77, vcc_lo
	ds_load_b128 v[86:89], v85
	ds_load_b128 v[90:93], v85 offset:1024
	s_clause 0x1
	global_load_b128 v[94:97], v[76:77], off offset:256
	global_load_b128 v[98:101], v[76:77], off offset:768
	ds_load_b128 v[110:113], v85 offset:2048
	ds_load_b128 v[114:117], v85 offset:3072
	s_or_b32 s15, s12, 0xe0
	s_delay_alu instid0(SALU_CYCLE_1) | instskip(SKIP_2) | instid1(SALU_CYCLE_1)
	s_ashr_i32 s19, s15, 5
	s_cmp_lt_i32 s15, s17
	s_cselect_b32 s22, s19, s4
	s_ashr_i32 s23, s22, 31
	s_delay_alu instid0(SALU_CYCLE_1) | instskip(NEXT) | instid1(SALU_CYCLE_1)
	s_lshl_b64 s[22:23], s[22:23], 2
	s_add_u32 s22, s13, s22
	s_addc_u32 s23, s16, s23
	s_add_i32 s15, s12, 0x100
	s_delay_alu instid0(SALU_CYCLE_1)
	s_ashr_i32 s19, s15, 5
	s_cmp_lt_i32 s15, s17
	s_cselect_b32 s34, s19, s4
	s_waitcnt vmcnt(18) lgkmcnt(2)
	v_wmma_f32_16x16x16_bf16 v[118:125], v[1:8], v[86:93], v[102:109]
	s_waitcnt vmcnt(16)
	v_wmma_f32_16x16x16_bf16 v[102:109], v[9:16], v[86:93], v[102:109]
	s_clause 0x3
	global_load_b128 v[1:4], v[78:79], off offset:1024
	global_load_b128 v[5:8], v[78:79], off offset:1536
	;; [unrolled: 1-line block ×4, first 2 shown]
	s_waitcnt vmcnt(18) lgkmcnt(0)
	v_wmma_f32_16x16x16_bf16 v[118:125], v[17:24], v[110:117], v[118:125]
	s_clause 0x1
	global_load_b128 v[17:20], v[78:79], off offset:2048
	global_load_b128 v[21:24], v[78:79], off offset:2560
	s_waitcnt vmcnt(18)
	v_wmma_f32_16x16x16_bf16 v[102:109], v[25:32], v[110:117], v[102:109]
	ds_load_b128 v[25:28], v85 offset:4096
	ds_load_b128 v[29:32], v85 offset:5120
	s_clause 0x5
	global_load_b128 v[86:89], v[76:77], off offset:2304
	global_load_b128 v[90:93], v[76:77], off offset:2816
	;; [unrolled: 1-line block ×6, first 2 shown]
	s_waitcnt vmcnt(22) lgkmcnt(0)
	v_wmma_f32_16x16x16_bf16 v[118:125], v[33:40], v[25:32], v[118:125]
	s_waitcnt vmcnt(20)
	v_wmma_f32_16x16x16_bf16 v[102:109], v[41:48], v[25:32], v[102:109]
	ds_load_b128 v[25:28], v85 offset:6144
	ds_load_b128 v[29:32], v85 offset:7168
	;; [unrolled: 1-line block ×4, first 2 shown]
	v_lshl_or_b32 v41, v73, 10, v85
	s_waitcnt vmcnt(18) lgkmcnt(2)
	v_wmma_f32_16x16x16_bf16 v[118:125], v[49:56], v[25:32], v[118:125]
	s_waitcnt vmcnt(16)
	v_wmma_f32_16x16x16_bf16 v[102:109], v[57:64], v[25:32], v[102:109]
	ds_load_b128 v[25:28], v85 offset:10240
	ds_load_b128 v[29:32], v85 offset:11264
	ds_load_b128 v[134:137], v85 offset:12288
	ds_load_b128 v[138:141], v85 offset:13312
	ds_load_b128 v[142:145], v85 offset:14336
	ds_load_b128 v[146:149], v85 offset:15360
	s_load_b32 s15, s[6:7], 0x0
	s_mul_hi_i32 s7, s35, s5
	s_mul_i32 s6, s35, s5
	s_ashr_i32 s35, s34, 31
	s_waitcnt vmcnt(14) lgkmcnt(0)
	v_wmma_f32_16x16x16_bf16 v[118:125], v[65:72], v[33:40], v[118:125]
	s_lshl_b64 s[34:35], s[34:35], 2
	s_waitcnt vmcnt(12)
	v_wmma_f32_16x16x16_bf16 v[102:109], v[94:101], v[33:40], v[102:109]
	s_add_u32 s34, s13, s34
	s_addc_u32 s35, s16, s35
	s_add_u32 s4, s10, s2
	s_addc_u32 s19, s11, s3
	v_add_co_u32 v76, s4, s4, v41
	s_delay_alu instid0(VALU_DEP_1)
	v_add_co_ci_u32_e64 v77, null, s19, 0, s4
	s_lshl_b64 s[2:3], s[8:9], 1
	s_clause 0x1
	s_load_b32 s13, s[22:23], 0x0
	s_load_b32 s16, s[34:35], 0x0
	v_add_co_u32 v41, vcc_lo, v76, s2
	s_lshl_b64 s[8:9], s[20:21], 1
	v_add_co_ci_u32_e32 v42, vcc_lo, s3, v77, vcc_lo
	v_add_co_u32 v33, vcc_lo, v76, s8
	s_lshl_b64 s[10:11], s[24:25], 1
	v_add_co_ci_u32_e32 v34, vcc_lo, s9, v77, vcc_lo
	;; [unrolled: 3-line block ×4, first 2 shown]
	v_add_co_u32 v39, vcc_lo, v76, s6
	s_lshl_b64 s[22:23], s[36:37], 1
	s_mul_hi_i32 s25, s15, s5
	s_mul_i32 s24, s15, s5
	v_add_co_ci_u32_e32 v40, vcc_lo, s7, v77, vcc_lo
	s_lshl_b64 s[2:3], s[24:25], 1
	s_waitcnt lgkmcnt(0)
	s_mul_hi_i32 s7, s13, s5
	s_mul_i32 s6, s13, s5
	s_clause 0x3
	global_load_b128 v[65:68], v[41:42], off
	global_load_b128 v[69:72], v[41:42], off offset:16
	global_load_b128 v[57:60], v[33:34], off
	global_load_b128 v[61:64], v[33:34], off offset:16
	s_waitcnt vmcnt(14)
	v_wmma_f32_16x16x16_bf16 v[118:125], v[1:8], v[25:32], v[118:125]
	v_add_co_u32 v5, vcc_lo, v76, s22
	v_add_co_ci_u32_e32 v6, vcc_lo, s23, v77, vcc_lo
	s_waitcnt vmcnt(10)
	s_delay_alu instid0(VALU_DEP_3)
	v_wmma_f32_16x16x16_bf16 v[118:125], v[17:24], v[134:141], v[118:125]
	v_add_co_u32 v17, vcc_lo, v76, s2
	v_add_co_ci_u32_e32 v18, vcc_lo, s3, v77, vcc_lo
	s_lshl_b64 s[2:3], s[6:7], 1
	s_mul_hi_i32 s7, s16, s5
	s_mul_i32 s6, s16, s5
	v_add_co_u32 v19, vcc_lo, v76, s2
	v_add_co_ci_u32_e32 v20, vcc_lo, s3, v77, vcc_lo
	s_lshl_b64 s[2:3], s[6:7], 1
	v_wmma_f32_16x16x16_bf16 v[102:109], v[9:16], v[25:32], v[102:109]
	v_add_co_u32 v21, vcc_lo, v76, s2
	v_add_co_ci_u32_e32 v22, vcc_lo, s3, v77, vcc_lo
	s_clause 0xd
	global_load_b128 v[49:52], v[35:36], off
	global_load_b128 v[53:56], v[35:36], off offset:16
	global_load_b128 v[41:44], v[37:38], off
	global_load_b128 v[45:48], v[37:38], off offset:16
	;; [unrolled: 2-line block ×7, first 2 shown]
	v_and_b32_e32 v76, 0xe0, v0
	v_mbcnt_lo_u32_b32 v77, -1, 0
	s_waitcnt vmcnt(22)
	v_wmma_f32_16x16x16_bf16 v[102:109], v[86:93], v[134:141], v[102:109]
	s_waitcnt vmcnt(20)
	v_wmma_f32_16x16x16_bf16 v[118:125], v[110:117], v[142:149], v[118:125]
	s_waitcnt vmcnt(0)
	v_add_nc_u32_e32 v76, s12, v76
	v_xor_b32_e32 v78, 16, v77
	v_wmma_f32_16x16x16_bf16 v[102:109], v[126:133], v[142:149], v[102:109]
	v_dual_mul_f32 v100, s18, v125 :: v_dual_mul_f32 v97, s18, v118
	s_delay_alu instid0(VALU_DEP_4) | instskip(NEXT) | instid1(VALU_DEP_4)
	v_or_b32_e32 v76, v76, v83
	v_cmp_gt_i32_e32 vcc_lo, 32, v78
	v_mul_f32_e32 v99, s18, v119
	s_barrier
	buffer_gl0_inv
	v_or_b32_e32 v79, 4, v76
	v_cndmask_b32_e32 v77, v77, v78, vcc_lo
	v_or_b32_e32 v78, 2, v76
	v_or_b32_e32 v80, 6, v76
	v_cmp_gt_i32_e32 vcc_lo, s17, v76
	v_or_b32_e32 v86, 8, v76
	v_or_b32_e32 v87, 10, v76
	v_cmp_gt_i32_e64 s2, s17, v78
	v_or_b32_e32 v88, 12, v76
	v_or_b32_e32 v89, 14, v76
	;; [unrolled: 1-line block ×10, first 2 shown]
	v_cndmask_b32_e32 v76, 0xff7fffff, v97, vcc_lo
	v_cndmask_b32_e64 v78, 0xff7fffff, v99, s2
	v_mul_f32_e32 v99, s18, v121
	v_cmp_gt_i32_e64 s3, s17, v80
	v_mul_f32_e32 v80, s18, v120
	v_cmp_gt_i32_e64 s4, s17, v79
	v_max3_f32 v76, v76, 0xff7fffff, v78
	v_dual_mul_f32 v78, s18, v122 :: v_dual_mul_f32 v79, s18, v123
	v_cmp_gt_i32_e64 s5, s17, v86
	s_delay_alu instid0(VALU_DEP_4)
	v_cndmask_b32_e64 v80, 0xff7fffff, v80, s4
	v_cmp_gt_i32_e64 s6, s17, v87
	v_mul_f32_e32 v86, s18, v108
	v_cndmask_b32_e64 v99, 0xff7fffff, v99, s3
	v_mul_f32_e32 v97, s18, v124
	v_cndmask_b32_e64 v78, 0xff7fffff, v78, s5
	v_cndmask_b32_e64 v79, 0xff7fffff, v79, s6
	v_cmp_gt_i32_e64 s7, s17, v89
	v_max3_f32 v76, v76, v80, v99
	v_cmp_gt_i32_e64 s8, s17, v88
	v_dual_mul_f32 v99, s18, v106 :: v_dual_mul_f32 v88, s18, v103
	v_mul_f32_e32 v89, s18, v102
	s_delay_alu instid0(VALU_DEP_4)
	v_max3_f32 v76, v76, v78, v79
	v_mul_f32_e32 v78, s18, v105
	v_cndmask_b32_e64 v97, 0xff7fffff, v97, s8
	v_cndmask_b32_e64 v100, 0xff7fffff, v100, s7
	v_cmp_gt_i32_e64 s9, s17, v90
	v_cmp_gt_i32_e64 s10, s17, v91
	v_mul_f32_e32 v79, s18, v104
	v_cmp_gt_i32_e64 s11, s17, v92
	v_max3_f32 v76, v76, v97, v100
	v_cndmask_b32_e64 v89, 0xff7fffff, v89, s9
	v_cndmask_b32_e64 v88, 0xff7fffff, v88, s10
	v_cmp_gt_i32_e64 s12, s17, v93
	v_mul_f32_e32 v87, s18, v107
	v_cndmask_b32_e64 v79, 0xff7fffff, v79, s11
	v_cmp_gt_i32_e64 s13, s17, v94
	v_max3_f32 v76, v76, v89, v88
	v_cndmask_b32_e64 v78, 0xff7fffff, v78, s12
	v_cmp_gt_i32_e64 s15, s17, v95
	v_mul_f32_e32 v80, s18, v109
	v_cndmask_b32_e64 v88, 0xff7fffff, v99, s13
	v_cmp_gt_i32_e64 s16, s17, v96
	v_max3_f32 v76, v76, v79, v78
	v_cndmask_b32_e64 v87, 0xff7fffff, v87, s15
	v_cmp_gt_i32_e64 s17, s17, v98
	v_lshlrev_b32_e32 v99, 2, v77
	v_cndmask_b32_e64 v78, 0xff7fffff, v86, s16
	s_delay_alu instid0(VALU_DEP_4) | instskip(NEXT) | instid1(VALU_DEP_4)
	v_max3_f32 v76, v76, v88, v87
	v_cndmask_b32_e64 v79, 0xff7fffff, v80, s17
	s_delay_alu instid0(VALU_DEP_1) | instskip(SKIP_3) | instid1(VALU_DEP_1)
	v_max3_f32 v76, v76, v78, v79
	ds_bpermute_b32 v77, v99, v76
	s_waitcnt lgkmcnt(0)
	v_max_f32_e32 v77, v77, v77
	v_max_f32_e32 v89, v76, v77
	s_delay_alu instid0(VALU_DEP_1) | instskip(NEXT) | instid1(VALU_DEP_1)
	v_fma_f32 v80, s18, v122, -v89
	v_mul_f32_e32 v80, 0x3fb8aa3b, v80
	s_delay_alu instid0(VALU_DEP_1) | instskip(SKIP_3) | instid1(VALU_DEP_1)
	v_exp_f32_e32 v80, v80
	s_waitcnt_depctr 0xfff
	v_cndmask_b32_e64 v95, 0, v80, s5
	v_fma_f32 v80, s18, v103, -v89
	v_mul_f32_e32 v80, 0x3fb8aa3b, v80
	v_fma_f32 v78, s18, v120, -v89
	v_fma_f32 v86, s18, v124, -v89
	;; [unrolled: 1-line block ×5, first 2 shown]
	v_mul_f32_e32 v78, 0x3fb8aa3b, v78
	v_mul_f32_e32 v86, 0x3fb8aa3b, v86
	;; [unrolled: 1-line block ×3, first 2 shown]
	v_fma_f32 v98, s18, v108, -v89
	v_fma_f32 v100, s18, v109, -v89
	v_exp_f32_e32 v78, v78
	v_exp_f32_e32 v86, v86
	;; [unrolled: 1-line block ×4, first 2 shown]
	v_fma_f32 v87, s18, v106, -v89
	s_delay_alu instid0(VALU_DEP_1) | instskip(SKIP_2) | instid1(TRANS32_DEP_3)
	v_dual_mul_f32 v100, 0x3fb8aa3b, v100 :: v_dual_mul_f32 v87, 0x3fb8aa3b, v87
	v_cndmask_b32_e64 v92, 0, v78, s4
	v_fma_f32 v78, s18, v125, -v89
	v_cndmask_b32_e64 v93, 0, v86, s8
	v_fma_f32 v86, s18, v105, -v89
	v_mul_f32_e32 v77, 0x3fb8aa3b, v77
	s_delay_alu instid0(VALU_DEP_4) | instskip(SKIP_1) | instid1(VALU_DEP_3)
	v_dual_mul_f32 v79, 0x3fb8aa3b, v79 :: v_dual_mul_f32 v78, 0x3fb8aa3b, v78
	v_exp_f32_e32 v87, v87
	v_mul_f32_e32 v86, 0x3fb8aa3b, v86
	s_delay_alu instid0(VALU_DEP_3) | instskip(NEXT) | instid1(VALU_DEP_2)
	v_exp_f32_e32 v77, v77
	v_exp_f32_e32 v79, v79
	;; [unrolled: 1-line block ×5, first 2 shown]
	v_cndmask_b32_e64 v90, 0, v77, s2
	v_cndmask_b32_e64 v94, 0, v79, s3
	s_delay_alu instid0(TRANS32_DEP_3) | instskip(SKIP_4) | instid1(VALU_DEP_2)
	v_cndmask_b32_e64 v97, 0, v78, s7
	v_cndmask_b32_e32 v91, 0, v76, vcc_lo
	v_fma_f32 v76, s18, v123, -v89
	v_fma_f32 v79, s18, v102, -v89
	s_mov_b32 s2, exec_lo
	v_dual_add_f32 v77, 0, v91 :: v_dual_mul_f32 v76, 0x3fb8aa3b, v76
	s_delay_alu instid0(VALU_DEP_1) | instskip(NEXT) | instid1(VALU_DEP_2)
	v_add_f32_e32 v77, v77, v90
	v_exp_f32_e32 v76, v76
	s_delay_alu instid0(VALU_DEP_1) | instskip(NEXT) | instid1(VALU_DEP_1)
	v_add_f32_e32 v77, v77, v92
	v_add_f32_e32 v77, v77, v94
	s_waitcnt_depctr 0xfff
	v_cndmask_b32_e64 v96, 0, v76, s6
	v_add_f32_e32 v76, v77, v95
	v_fma_f32 v77, s18, v104, -v89
	s_delay_alu instid0(VALU_DEP_1) | instskip(NEXT) | instid1(VALU_DEP_1)
	v_dual_add_f32 v76, v76, v96 :: v_dual_mul_f32 v77, 0x3fb8aa3b, v77
	v_add_f32_e32 v78, v76, v93
	s_delay_alu instid0(VALU_DEP_2) | instskip(SKIP_1) | instid1(VALU_DEP_2)
	v_exp_f32_e32 v88, v77
	v_cndmask_b32_e64 v77, 0, v80, s10
	v_dual_mul_f32 v79, 0x3fb8aa3b, v79 :: v_dual_add_f32 v78, v78, v97
	s_delay_alu instid0(VALU_DEP_1) | instskip(SKIP_3) | instid1(VALU_DEP_1)
	v_exp_f32_e32 v79, v79
	s_waitcnt_depctr 0xfff
	v_cndmask_b32_e64 v76, 0, v79, s9
	v_fma_f32 v79, s18, v107, -v89
	v_dual_add_f32 v80, v78, v76 :: v_dual_mul_f32 v79, 0x3fb8aa3b, v79
	v_cndmask_b32_e64 v78, 0, v88, s11
	v_mul_f32_e32 v88, 0x3fb8aa3b, v98
	s_delay_alu instid0(VALU_DEP_3) | instskip(NEXT) | instid1(VALU_DEP_4)
	v_add_f32_e32 v80, v80, v77
	v_exp_f32_e32 v98, v79
	v_cndmask_b32_e64 v79, 0, v86, s12
	s_delay_alu instid0(VALU_DEP_3) | instskip(NEXT) | instid1(VALU_DEP_2)
	v_exp_f32_e32 v88, v88
	v_add_f32_e32 v86, v80, v78
	v_cndmask_b32_e64 v80, 0, v87, s13
	s_delay_alu instid0(VALU_DEP_2) | instskip(SKIP_4) | instid1(VALU_DEP_2)
	v_add_f32_e32 v87, v86, v79
	s_waitcnt_depctr 0xfff
	v_cndmask_b32_e64 v86, 0, v98, s15
	v_add_f32_e32 v98, v87, v80
	v_cndmask_b32_e64 v87, 0, v88, s16
	v_add_f32_e32 v88, v98, v86
	s_delay_alu instid0(VALU_DEP_1) | instskip(SKIP_1) | instid1(VALU_DEP_1)
	v_add_f32_e32 v98, v88, v87
	v_cndmask_b32_e64 v88, 0, v100, s17
	v_add_f32_e32 v98, v98, v88
	ds_bpermute_b32 v99, v99, v98
	v_cmpx_gt_u32_e32 16, v75
	s_cbranch_execz .LBB725_14
; %bb.13:
	v_mul_u32_u24_e32 v75, 0x44, v73
	s_waitcnt lgkmcnt(0)
	v_add_f32_e32 v98, v98, v99
	s_delay_alu instid0(VALU_DEP_2) | instskip(NEXT) | instid1(VALU_DEP_1)
	v_lshl_add_u32 v75, v74, 2, v75
	v_add_nc_u32_e32 v75, 0x4000, v75
	ds_store_2addr_b32 v75, v89, v98 offset1:136
.LBB725_14:
	s_or_b32 exec_lo, exec_lo, s2
	v_lshlrev_b32_e32 v74, 2, v74
	s_waitcnt lgkmcnt(0)
	s_barrier
	buffer_gl0_inv
	v_cmp_eq_u32_e64 s2, 1, v73
	v_add_nc_u32_e32 v89, 0x4000, v74
	ds_load_2addr_b32 v[98:99], v89 offset1:17
	ds_load_2addr_b32 v[100:101], v89 offset0:34 offset1:51
	ds_load_2addr_b32 v[102:103], v89 offset0:68 offset1:85
	;; [unrolled: 1-line block ×4, first 2 shown]
	s_waitcnt lgkmcnt(4)
	v_max3_f32 v74, v98, 0xff7fffff, v99
	s_waitcnt lgkmcnt(3)
	s_delay_alu instid0(VALU_DEP_1) | instskip(SKIP_1) | instid1(VALU_DEP_1)
	v_max3_f32 v74, v74, v100, v101
	s_waitcnt lgkmcnt(2)
	v_max3_f32 v74, v74, v102, v103
	s_waitcnt lgkmcnt(1)
	s_delay_alu instid0(VALU_DEP_1) | instskip(NEXT) | instid1(VALU_DEP_1)
	v_max3_f32 v74, v74, v104, v105
	v_sub_f32_e32 v108, v99, v74
	v_sub_f32_e32 v75, v98, v74
	ds_load_2addr_b32 v[98:99], v89 offset0:170 offset1:187
	v_sub_f32_e32 v100, v100, v74
	v_dual_mul_f32 v108, 0x3fb8aa3b, v108 :: v_dual_mul_f32 v75, 0x3fb8aa3b, v75
	s_delay_alu instid0(VALU_DEP_2) | instskip(NEXT) | instid1(VALU_DEP_2)
	v_mul_f32_e32 v110, 0x3fb8aa3b, v100
	v_exp_f32_e32 v108, v108
	s_delay_alu instid0(VALU_DEP_2)
	v_exp_f32_e32 v109, v75
	v_sub_f32_e32 v75, v101, v74
	ds_load_2addr_b32 v[100:101], v89 offset0:204 offset1:221
	v_exp_f32_e32 v110, v110
	v_mul_f32_e32 v111, 0x3fb8aa3b, v75
	s_waitcnt lgkmcnt(2)
	v_fma_f32 v75, v109, v106, 0
	v_sub_f32_e32 v102, v102, v74
	s_delay_alu instid0(VALU_DEP_3) | instskip(NEXT) | instid1(VALU_DEP_2)
	v_exp_f32_e32 v111, v111
	v_dual_sub_f32 v106, v103, v74 :: v_dual_fmac_f32 v75, v108, v107
	s_waitcnt lgkmcnt(1)
	s_waitcnt_depctr 0xfff
	v_fmac_f32_e32 v75, v110, v98
	v_mul_f32_e32 v112, 0x3fb8aa3b, v102
	ds_load_2addr_b32 v[102:103], v89 offset0:238 offset1:255
	v_sub_f32_e32 v89, v104, v74
	v_dual_sub_f32 v98, v105, v74 :: v_dual_fmac_f32 v75, v111, v99
	v_mul_f32_e32 v104, 0x3fb8aa3b, v106
	v_exp_f32_e32 v106, v112
	s_delay_alu instid0(VALU_DEP_2)
	v_dual_mul_f32 v89, 0x3fb8aa3b, v89 :: v_dual_mul_f32 v98, 0x3fb8aa3b, v98
	s_waitcnt lgkmcnt(0)
	s_barrier
	buffer_gl0_inv
	v_exp_f32_e32 v89, v89
	v_exp_f32_e32 v98, v98
	v_fmac_f32_e32 v75, v106, v100
	v_exp_f32_e32 v104, v104
	s_waitcnt_depctr 0xfff
	v_fmac_f32_e32 v75, v104, v101
	s_delay_alu instid0(VALU_DEP_1) | instskip(NEXT) | instid1(VALU_DEP_1)
	v_fmac_f32_e32 v75, v89, v102
	v_fmac_f32_e32 v75, v98, v103
	s_delay_alu instid0(VALU_DEP_1) | instskip(NEXT) | instid1(VALU_DEP_1)
	v_add_f32_e32 v99, 0x358637bd, v75
	v_div_scale_f32 v100, null, v99, v99, 1.0
	v_div_scale_f32 v103, vcc_lo, 1.0, v99, 1.0
	s_delay_alu instid0(VALU_DEP_2) | instskip(SKIP_2) | instid1(VALU_DEP_1)
	v_rcp_f32_e32 v101, v100
	s_waitcnt_depctr 0xfff
	v_fma_f32 v102, -v100, v101, 1.0
	v_fmac_f32_e32 v101, v102, v101
	v_cndmask_b32_e64 v102, v109, v108, s2
	v_cmp_eq_u32_e64 s2, 2, v73
	s_delay_alu instid0(VALU_DEP_3) | instskip(NEXT) | instid1(VALU_DEP_2)
	v_mul_f32_e32 v105, v103, v101
	v_cndmask_b32_e64 v102, v102, v110, s2
	v_cmp_eq_u32_e64 s2, 3, v73
	s_delay_alu instid0(VALU_DEP_3) | instskip(NEXT) | instid1(VALU_DEP_2)
	v_fma_f32 v107, -v100, v105, v103
	v_cndmask_b32_e64 v102, v102, v111, s2
	v_cmp_eq_u32_e64 s2, 4, v73
	s_delay_alu instid0(VALU_DEP_3) | instskip(NEXT) | instid1(VALU_DEP_2)
	v_fmac_f32_e32 v105, v107, v101
	v_cndmask_b32_e64 v102, v102, v106, s2
	s_delay_alu instid0(VALU_DEP_2) | instskip(SKIP_1) | instid1(VALU_DEP_2)
	v_fma_f32 v100, -v100, v105, v103
	v_cmp_eq_u32_e64 s2, 5, v73
	v_div_fmas_f32 v100, v100, v101, v105
	s_delay_alu instid0(VALU_DEP_2) | instskip(SKIP_2) | instid1(VALU_DEP_3)
	v_cndmask_b32_e64 v102, v102, v104, s2
	v_cmp_eq_u32_e32 vcc_lo, 6, v73
	s_mov_b32 s2, exec_lo
	v_div_fixup_f32 v99, v100, v99, 1.0
	s_delay_alu instid0(VALU_DEP_3) | instskip(SKIP_1) | instid1(VALU_DEP_2)
	v_cndmask_b32_e32 v89, v102, v89, vcc_lo
	v_cmp_eq_u32_e32 vcc_lo, 7, v73
	v_cndmask_b32_e32 v89, v89, v98, vcc_lo
	s_delay_alu instid0(VALU_DEP_1) | instskip(NEXT) | instid1(VALU_DEP_1)
	v_mul_f32_e32 v89, v89, v99
	v_mul_f32_e32 v99, v89, v91
	;; [unrolled: 1-line block ×6, first 2 shown]
	v_and_b32_e32 v100, 0x7f800000, v99
	v_mul_f32_e32 v98, v89, v94
	v_mul_f32_e32 v94, v89, v90
	;; [unrolled: 1-line block ×3, first 2 shown]
                                        ; implicit-def: $vgpr90
	s_delay_alu instid0(VALU_DEP_4)
	v_cmpx_ne_u32_e32 0x7f800000, v100
	s_xor_b32 s2, exec_lo, s2
; %bb.15:
	v_bfe_u32 v90, v99, 16, 1
	s_delay_alu instid0(VALU_DEP_1)
	v_add3_u32 v90, v99, v90, 0x7fff
                                        ; implicit-def: $vgpr99
; %bb.16:
	s_and_not1_saveexec_b32 s2, s2
; %bb.17:
	v_and_b32_e32 v90, 0xffff, v99
	v_or_b32_e32 v92, 0x10000, v99
	s_delay_alu instid0(VALU_DEP_2) | instskip(NEXT) | instid1(VALU_DEP_2)
	v_cmp_eq_u32_e32 vcc_lo, 0, v90
	v_cndmask_b32_e32 v90, v92, v99, vcc_lo
; %bb.18:
	s_or_b32 exec_lo, exec_lo, s2
	v_and_b32_e32 v92, 0x7f800000, v94
	s_delay_alu instid0(VALU_DEP_1) | instskip(SKIP_1) | instid1(SALU_CYCLE_1)
	v_cmp_ne_u32_e32 vcc_lo, 0x7f800000, v92
                                        ; implicit-def: $vgpr92
	s_and_saveexec_b32 s2, vcc_lo
	s_xor_b32 s2, exec_lo, s2
; %bb.19:
	v_bfe_u32 v92, v94, 16, 1
	s_delay_alu instid0(VALU_DEP_1)
	v_add3_u32 v92, v94, v92, 0x7fff
                                        ; implicit-def: $vgpr94
; %bb.20:
	s_and_not1_saveexec_b32 s2, s2
; %bb.21:
	v_and_b32_e32 v92, 0xffff, v94
	v_or_b32_e32 v99, 0x10000, v94
	s_delay_alu instid0(VALU_DEP_2) | instskip(NEXT) | instid1(VALU_DEP_2)
	v_cmp_eq_u32_e32 vcc_lo, 0, v92
	v_cndmask_b32_e32 v92, v99, v94, vcc_lo
; %bb.22:
	s_or_b32 exec_lo, exec_lo, s2
	v_and_b32_e32 v94, 0x7f800000, v95
	s_delay_alu instid0(VALU_DEP_1) | instskip(SKIP_1) | instid1(SALU_CYCLE_1)
	v_cmp_ne_u32_e32 vcc_lo, 0x7f800000, v94
                                        ; implicit-def: $vgpr94
	s_and_saveexec_b32 s2, vcc_lo
	s_xor_b32 s2, exec_lo, s2
; %bb.23:
	v_bfe_u32 v94, v95, 16, 1
	s_delay_alu instid0(VALU_DEP_1)
	v_add3_u32 v94, v95, v94, 0x7fff
                                        ; implicit-def: $vgpr95
; %bb.24:
	s_and_not1_saveexec_b32 s2, s2
; %bb.25:
	v_and_b32_e32 v94, 0xffff, v95
	v_or_b32_e32 v99, 0x10000, v95
	s_delay_alu instid0(VALU_DEP_2) | instskip(NEXT) | instid1(VALU_DEP_2)
	v_cmp_eq_u32_e32 vcc_lo, 0, v94
	v_cndmask_b32_e32 v94, v99, v95, vcc_lo
; %bb.26:
	s_or_b32 exec_lo, exec_lo, s2
	v_and_b32_e32 v95, 0x7f800000, v98
	s_delay_alu instid0(VALU_DEP_1) | instskip(SKIP_1) | instid1(SALU_CYCLE_1)
	v_cmp_ne_u32_e32 vcc_lo, 0x7f800000, v95
                                        ; implicit-def: $vgpr95
	s_and_saveexec_b32 s2, vcc_lo
	s_xor_b32 s2, exec_lo, s2
; %bb.27:
	v_bfe_u32 v95, v98, 16, 1
	s_delay_alu instid0(VALU_DEP_1)
	v_add3_u32 v95, v98, v95, 0x7fff
                                        ; implicit-def: $vgpr98
; %bb.28:
	s_and_not1_saveexec_b32 s2, s2
; %bb.29:
	v_and_b32_e32 v95, 0xffff, v98
	v_or_b32_e32 v99, 0x10000, v98
	s_delay_alu instid0(VALU_DEP_2) | instskip(NEXT) | instid1(VALU_DEP_2)
	v_cmp_eq_u32_e32 vcc_lo, 0, v95
	v_cndmask_b32_e32 v95, v99, v98, vcc_lo
; %bb.30:
	s_or_b32 exec_lo, exec_lo, s2
	v_and_b32_e32 v98, 0x7f800000, v97
	s_delay_alu instid0(VALU_DEP_1) | instskip(SKIP_1) | instid1(SALU_CYCLE_1)
	v_cmp_ne_u32_e32 vcc_lo, 0x7f800000, v98
                                        ; implicit-def: $vgpr98
	s_and_saveexec_b32 s2, vcc_lo
	s_xor_b32 s2, exec_lo, s2
; %bb.31:
	v_bfe_u32 v98, v97, 16, 1
	s_delay_alu instid0(VALU_DEP_1)
	v_add3_u32 v98, v97, v98, 0x7fff
                                        ; implicit-def: $vgpr97
; %bb.32:
	s_and_not1_saveexec_b32 s2, s2
; %bb.33:
	v_and_b32_e32 v98, 0xffff, v97
	v_or_b32_e32 v99, 0x10000, v97
	s_delay_alu instid0(VALU_DEP_2) | instskip(NEXT) | instid1(VALU_DEP_2)
	v_cmp_eq_u32_e32 vcc_lo, 0, v98
	v_cndmask_b32_e32 v98, v99, v97, vcc_lo
; %bb.34:
	s_or_b32 exec_lo, exec_lo, s2
	v_and_b32_e32 v97, 0x7f800000, v96
	s_delay_alu instid0(VALU_DEP_1) | instskip(SKIP_1) | instid1(SALU_CYCLE_1)
	v_cmp_ne_u32_e32 vcc_lo, 0x7f800000, v97
                                        ; implicit-def: $vgpr97
	s_and_saveexec_b32 s2, vcc_lo
	s_xor_b32 s2, exec_lo, s2
; %bb.35:
	v_bfe_u32 v97, v96, 16, 1
	s_delay_alu instid0(VALU_DEP_1)
	v_add3_u32 v97, v96, v97, 0x7fff
                                        ; implicit-def: $vgpr96
; %bb.36:
	s_and_not1_saveexec_b32 s2, s2
; %bb.37:
	v_and_b32_e32 v97, 0xffff, v96
	v_or_b32_e32 v99, 0x10000, v96
	s_delay_alu instid0(VALU_DEP_2) | instskip(NEXT) | instid1(VALU_DEP_2)
	v_cmp_eq_u32_e32 vcc_lo, 0, v97
	v_cndmask_b32_e32 v97, v99, v96, vcc_lo
; %bb.38:
	s_or_b32 exec_lo, exec_lo, s2
	v_and_b32_e32 v96, 0x7f800000, v93
	s_delay_alu instid0(VALU_DEP_1) | instskip(SKIP_1) | instid1(SALU_CYCLE_1)
	v_cmp_ne_u32_e32 vcc_lo, 0x7f800000, v96
                                        ; implicit-def: $vgpr96
	s_and_saveexec_b32 s2, vcc_lo
	s_xor_b32 s2, exec_lo, s2
; %bb.39:
	v_bfe_u32 v96, v93, 16, 1
	s_delay_alu instid0(VALU_DEP_1)
	v_add3_u32 v96, v93, v96, 0x7fff
                                        ; implicit-def: $vgpr93
; %bb.40:
	s_and_not1_saveexec_b32 s2, s2
; %bb.41:
	v_and_b32_e32 v96, 0xffff, v93
	v_or_b32_e32 v99, 0x10000, v93
	s_delay_alu instid0(VALU_DEP_2) | instskip(NEXT) | instid1(VALU_DEP_2)
	v_cmp_eq_u32_e32 vcc_lo, 0, v96
	v_cndmask_b32_e32 v96, v99, v93, vcc_lo
; %bb.42:
	s_or_b32 exec_lo, exec_lo, s2
	v_and_b32_e32 v93, 0x7f800000, v91
	s_delay_alu instid0(VALU_DEP_1) | instskip(SKIP_1) | instid1(SALU_CYCLE_1)
	v_cmp_ne_u32_e32 vcc_lo, 0x7f800000, v93
                                        ; implicit-def: $vgpr93
	s_and_saveexec_b32 s2, vcc_lo
	s_xor_b32 s2, exec_lo, s2
; %bb.43:
	v_bfe_u32 v93, v91, 16, 1
	s_delay_alu instid0(VALU_DEP_1)
	v_add3_u32 v93, v91, v93, 0x7fff
                                        ; implicit-def: $vgpr91
; %bb.44:
	s_and_not1_saveexec_b32 s2, s2
; %bb.45:
	v_and_b32_e32 v93, 0xffff, v91
	v_or_b32_e32 v99, 0x10000, v91
	s_delay_alu instid0(VALU_DEP_2) | instskip(NEXT) | instid1(VALU_DEP_2)
	v_cmp_eq_u32_e32 vcc_lo, 0, v93
	v_cndmask_b32_e32 v93, v99, v91, vcc_lo
; %bb.46:
	s_or_b32 exec_lo, exec_lo, s2
	s_load_b64 s[34:35], s[0:1], 0x94
	v_lshlrev_b32_e32 v91, 4, v83
	s_delay_alu instid0(VALU_DEP_2)
	v_perm_b32 v99, v93, v96, 0x7060302
	v_dual_mul_f32 v88, v89, v88 :: v_dual_lshlrev_b32 v93, 11, v73
	v_perm_b32 v96, v92, v90, 0x7060302
	v_mul_f32_e32 v92, v89, v76
	v_perm_b32 v98, v97, v98, 0x7060302
	v_perm_b32 v97, v95, v94, 0x7060302
	v_or3_b32 v76, v91, v93, v85
	v_mul_f32_e32 v87, v89, v87
	v_dual_mul_f32 v86, v89, v86 :: v_dual_and_b32 v93, 0x7f800000, v92
	v_mul_f32_e32 v80, v89, v80
	v_mul_f32_e32 v90, v89, v79
	;; [unrolled: 1-line block ×4, first 2 shown]
	s_mov_b32 s2, exec_lo
	ds_store_b128 v76, v[96:99]
                                        ; implicit-def: $vgpr77
	v_cmpx_ne_u32_e32 0x7f800000, v93
	s_xor_b32 s2, exec_lo, s2
; %bb.47:
	v_bfe_u32 v77, v92, 16, 1
	s_delay_alu instid0(VALU_DEP_1)
	v_add3_u32 v77, v92, v77, 0x7fff
                                        ; implicit-def: $vgpr92
; %bb.48:
	s_and_not1_saveexec_b32 s2, s2
; %bb.49:
	v_and_b32_e32 v77, 0xffff, v92
	v_or_b32_e32 v78, 0x10000, v92
	s_delay_alu instid0(VALU_DEP_2) | instskip(NEXT) | instid1(VALU_DEP_2)
	v_cmp_eq_u32_e32 vcc_lo, 0, v77
	v_cndmask_b32_e32 v77, v78, v92, vcc_lo
; %bb.50:
	s_or_b32 exec_lo, exec_lo, s2
	v_and_b32_e32 v78, 0x7f800000, v79
	s_delay_alu instid0(VALU_DEP_1) | instskip(SKIP_1) | instid1(SALU_CYCLE_1)
	v_cmp_ne_u32_e32 vcc_lo, 0x7f800000, v78
                                        ; implicit-def: $vgpr78
	s_and_saveexec_b32 s2, vcc_lo
	s_xor_b32 s2, exec_lo, s2
; %bb.51:
	v_bfe_u32 v78, v79, 16, 1
	s_delay_alu instid0(VALU_DEP_1)
	v_add3_u32 v78, v79, v78, 0x7fff
                                        ; implicit-def: $vgpr79
; %bb.52:
	s_and_not1_saveexec_b32 s2, s2
; %bb.53:
	v_and_b32_e32 v78, 0xffff, v79
	v_or_b32_e32 v89, 0x10000, v79
	s_delay_alu instid0(VALU_DEP_2) | instskip(NEXT) | instid1(VALU_DEP_2)
	v_cmp_eq_u32_e32 vcc_lo, 0, v78
	v_cndmask_b32_e32 v78, v89, v79, vcc_lo
; %bb.54:
	s_or_b32 exec_lo, exec_lo, s2
	v_and_b32_e32 v79, 0x7f800000, v91
	s_delay_alu instid0(VALU_DEP_1) | instskip(SKIP_1) | instid1(SALU_CYCLE_1)
	v_cmp_ne_u32_e32 vcc_lo, 0x7f800000, v79
                                        ; implicit-def: $vgpr79
	s_and_saveexec_b32 s2, vcc_lo
	s_xor_b32 s2, exec_lo, s2
; %bb.55:
	v_bfe_u32 v79, v91, 16, 1
	s_delay_alu instid0(VALU_DEP_1)
	v_add3_u32 v79, v91, v79, 0x7fff
                                        ; implicit-def: $vgpr91
; %bb.56:
	s_and_not1_saveexec_b32 s2, s2
; %bb.57:
	v_and_b32_e32 v79, 0xffff, v91
	v_or_b32_e32 v89, 0x10000, v91
	s_delay_alu instid0(VALU_DEP_2) | instskip(NEXT) | instid1(VALU_DEP_2)
	v_cmp_eq_u32_e32 vcc_lo, 0, v79
	v_cndmask_b32_e32 v79, v89, v91, vcc_lo
; %bb.58:
	s_or_b32 exec_lo, exec_lo, s2
	v_and_b32_e32 v89, 0x7f800000, v90
	s_delay_alu instid0(VALU_DEP_1) | instskip(SKIP_1) | instid1(SALU_CYCLE_1)
	v_cmp_ne_u32_e32 vcc_lo, 0x7f800000, v89
                                        ; implicit-def: $vgpr89
	s_and_saveexec_b32 s2, vcc_lo
	s_xor_b32 s2, exec_lo, s2
; %bb.59:
	v_bfe_u32 v89, v90, 16, 1
	s_delay_alu instid0(VALU_DEP_1)
	v_add3_u32 v89, v90, v89, 0x7fff
                                        ; implicit-def: $vgpr90
; %bb.60:
	s_and_not1_saveexec_b32 s2, s2
; %bb.61:
	v_and_b32_e32 v89, 0xffff, v90
	v_or_b32_e32 v91, 0x10000, v90
	s_delay_alu instid0(VALU_DEP_2) | instskip(NEXT) | instid1(VALU_DEP_2)
	v_cmp_eq_u32_e32 vcc_lo, 0, v89
	v_cndmask_b32_e32 v89, v91, v90, vcc_lo
; %bb.62:
	s_or_b32 exec_lo, exec_lo, s2
	v_and_b32_e32 v90, 0x7f800000, v80
	s_delay_alu instid0(VALU_DEP_1) | instskip(SKIP_1) | instid1(SALU_CYCLE_1)
	v_cmp_ne_u32_e32 vcc_lo, 0x7f800000, v90
                                        ; implicit-def: $vgpr90
	s_and_saveexec_b32 s2, vcc_lo
	s_xor_b32 s2, exec_lo, s2
; %bb.63:
	v_bfe_u32 v90, v80, 16, 1
	s_delay_alu instid0(VALU_DEP_1)
	v_add3_u32 v90, v80, v90, 0x7fff
                                        ; implicit-def: $vgpr80
; %bb.64:
	s_and_not1_saveexec_b32 s2, s2
; %bb.65:
	v_and_b32_e32 v90, 0xffff, v80
	v_or_b32_e32 v91, 0x10000, v80
	s_delay_alu instid0(VALU_DEP_2) | instskip(NEXT) | instid1(VALU_DEP_2)
	v_cmp_eq_u32_e32 vcc_lo, 0, v90
	v_cndmask_b32_e32 v90, v91, v80, vcc_lo
; %bb.66:
	s_or_b32 exec_lo, exec_lo, s2
	v_and_b32_e32 v80, 0x7f800000, v86
	s_delay_alu instid0(VALU_DEP_1) | instskip(SKIP_1) | instid1(SALU_CYCLE_1)
	v_cmp_ne_u32_e32 vcc_lo, 0x7f800000, v80
                                        ; implicit-def: $vgpr80
	s_and_saveexec_b32 s2, vcc_lo
	s_xor_b32 s2, exec_lo, s2
; %bb.67:
	v_bfe_u32 v80, v86, 16, 1
	s_delay_alu instid0(VALU_DEP_1)
	v_add3_u32 v80, v86, v80, 0x7fff
                                        ; implicit-def: $vgpr86
; %bb.68:
	s_and_not1_saveexec_b32 s2, s2
; %bb.69:
	v_and_b32_e32 v80, 0xffff, v86
	v_or_b32_e32 v91, 0x10000, v86
	s_delay_alu instid0(VALU_DEP_2) | instskip(NEXT) | instid1(VALU_DEP_2)
	v_cmp_eq_u32_e32 vcc_lo, 0, v80
	v_cndmask_b32_e32 v80, v91, v86, vcc_lo
; %bb.70:
	s_or_b32 exec_lo, exec_lo, s2
	v_and_b32_e32 v86, 0x7f800000, v87
	s_delay_alu instid0(VALU_DEP_1) | instskip(SKIP_1) | instid1(SALU_CYCLE_1)
	v_cmp_ne_u32_e32 vcc_lo, 0x7f800000, v86
                                        ; implicit-def: $vgpr86
	s_and_saveexec_b32 s2, vcc_lo
	s_xor_b32 s2, exec_lo, s2
; %bb.71:
	v_bfe_u32 v86, v87, 16, 1
	s_delay_alu instid0(VALU_DEP_1)
	v_add3_u32 v86, v87, v86, 0x7fff
                                        ; implicit-def: $vgpr87
; %bb.72:
	s_and_not1_saveexec_b32 s2, s2
; %bb.73:
	v_and_b32_e32 v86, 0xffff, v87
	v_or_b32_e32 v91, 0x10000, v87
	s_delay_alu instid0(VALU_DEP_2) | instskip(NEXT) | instid1(VALU_DEP_2)
	v_cmp_eq_u32_e32 vcc_lo, 0, v86
	v_cndmask_b32_e32 v86, v91, v87, vcc_lo
; %bb.74:
	s_or_b32 exec_lo, exec_lo, s2
	v_and_b32_e32 v87, 0x7f800000, v88
	s_delay_alu instid0(VALU_DEP_1) | instskip(SKIP_1) | instid1(SALU_CYCLE_1)
	v_cmp_ne_u32_e32 vcc_lo, 0x7f800000, v87
                                        ; implicit-def: $vgpr87
	s_and_saveexec_b32 s2, vcc_lo
	s_xor_b32 s2, exec_lo, s2
; %bb.75:
	v_bfe_u32 v87, v88, 16, 1
	s_delay_alu instid0(VALU_DEP_1)
	v_add3_u32 v87, v88, v87, 0x7fff
                                        ; implicit-def: $vgpr88
; %bb.76:
	s_and_not1_saveexec_b32 s2, s2
; %bb.77:
	v_and_b32_e32 v87, 0xffff, v88
	v_or_b32_e32 v91, 0x10000, v88
	s_delay_alu instid0(VALU_DEP_2) | instskip(NEXT) | instid1(VALU_DEP_2)
	v_cmp_eq_u32_e32 vcc_lo, 0, v87
	v_cndmask_b32_e32 v87, v91, v88, vcc_lo
; %bb.78:
	s_or_b32 exec_lo, exec_lo, s2
	s_delay_alu instid0(VALU_DEP_1)
	v_perm_b32 v94, v87, v86, 0x7060302
	v_perm_b32 v93, v80, v90, 0x7060302
	;; [unrolled: 1-line block ×4, first 2 shown]
	v_lshl_or_b32 v90, v73, 11, v85
	ds_store_b128 v76, v[91:94] offset:1024
	s_waitcnt lgkmcnt(0)
	s_barrier
	buffer_gl0_inv
	ds_load_b128 v[77:80], v90
	ds_load_b128 v[91:94], v90 offset:16
	s_waitcnt lgkmcnt(1)
	v_lshrrev_b32_e32 v73, 16, v77
	s_waitcnt lgkmcnt(0)
	v_lshrrev_b32_e32 v108, 16, v94
	v_lshlrev_b32_e32 v87, 2, v83
	v_lshrrev_b32_e32 v99, 16, v91
	v_lshrrev_b32_e32 v103, 16, v78
	;; [unrolled: 1-line block ×4, first 2 shown]
	v_or_b32_e32 v88, 1, v87
	v_cmp_eq_u32_e32 vcc_lo, 1, v87
	v_cmp_eq_u32_e64 s3, 2, v87
	v_cmp_eq_u32_e64 s6, 3, v87
	;; [unrolled: 1-line block ×4, first 2 shown]
	v_cndmask_b32_e32 v89, v77, v73, vcc_lo
	v_cndmask_b32_e32 v95, v91, v99, vcc_lo
	v_cmp_eq_u32_e64 s5, 2, v88
	v_cmp_eq_u32_e64 s7, 3, v88
	v_cndmask_b32_e64 v96, v77, v73, s2
	v_cndmask_b32_e64 v89, v89, v78, s3
	;; [unrolled: 1-line block ×3, first 2 shown]
	v_or_b32_e32 v86, 2, v87
	v_lshrrev_b32_e32 v107, 16, v93
	v_cndmask_b32_e64 v96, v96, v78, s5
	v_cndmask_b32_e64 v89, v89, v103, s6
	;; [unrolled: 1-line block ×4, first 2 shown]
	v_cmp_eq_u32_e64 s9, 5, v87
	v_cndmask_b32_e64 v96, v96, v103, s7
	v_cndmask_b32_e64 v89, v89, v79, s8
	;; [unrolled: 1-line block ×3, first 2 shown]
	v_cmp_eq_u32_e64 s10, 4, v88
	v_cmp_eq_u32_e64 s4, 1, v86
	v_cndmask_b32_e64 v97, v97, v92, s5
	v_cndmask_b32_e64 v89, v89, v104, s9
	v_cmp_eq_u32_e64 s11, 6, v87
	v_cndmask_b32_e64 v96, v96, v79, s10
	v_cndmask_b32_e64 v95, v95, v107, s9
	v_cmp_eq_u32_e64 s12, 5, v88
	v_lshrrev_b32_e32 v105, 16, v80
	v_cndmask_b32_e64 v98, v77, v73, s4
	v_cndmask_b32_e64 v97, v97, v106, s7
	;; [unrolled: 1-line block ×4, first 2 shown]
	v_cmp_eq_u32_e64 s13, 7, v87
	v_cndmask_b32_e64 v95, v95, v94, s11
	v_cmp_eq_u32_e64 s15, 6, v88
	v_cmp_eq_u32_e64 s16, 2, v86
	v_cndmask_b32_e64 v97, v97, v93, s10
	v_cndmask_b32_e64 v109, v89, v105, s13
	;; [unrolled: 1-line block ×6, first 2 shown]
	v_cmp_eq_u32_e64 s17, 7, v88
	v_cmp_eq_u32_e64 s18, 3, v86
	;; [unrolled: 1-line block ×4, first 2 shown]
	v_cndmask_b32_e64 v95, v95, v92, s16
	v_cndmask_b32_e64 v111, v96, v105, s17
	;; [unrolled: 1-line block ×4, first 2 shown]
	v_or_b32_e32 v89, 3, v87
	v_cndmask_b32_e64 v101, v95, v106, s18
	v_cmp_eq_u32_e64 s23, 6, v86
	v_cndmask_b32_e64 v112, v96, v94, s15
	v_cndmask_b32_e64 v100, v97, v79, s19
	v_cmp_eq_u32_e64 s20, 1, v89
	ds_load_b128 v[95:98], v90 offset:1024
	v_cmp_eq_u32_e64 s22, 2, v89
	v_cmp_eq_u32_e64 s24, 3, v89
	v_cndmask_b32_e64 v113, v100, v104, s21
	v_cndmask_b32_e64 v73, v77, v73, s20
	;; [unrolled: 1-line block ×4, first 2 shown]
	ds_load_b128 v[99:102], v90 offset:1040
	v_cmp_eq_u32_e64 s25, 4, v89
	v_cndmask_b32_e64 v73, v73, v78, s22
	v_cmp_eq_u32_e64 s26, 7, v86
	v_cndmask_b32_e64 v78, v91, v92, s22
	v_cndmask_b32_e64 v92, v113, v80, s23
	v_cmp_eq_u32_e64 s27, 5, v89
	v_cndmask_b32_e64 v73, v73, v103, s24
	v_cndmask_b32_e64 v77, v77, v107, s21
	;; [unrolled: 1-line block ×3, first 2 shown]
	v_cmp_eq_u32_e64 s28, 6, v89
	v_cndmask_b32_e64 v91, v112, v108, s17
	v_cndmask_b32_e64 v73, v73, v79, s25
	s_waitcnt lgkmcnt(1)
	v_lshrrev_b32_e32 v103, 16, v95
	v_cndmask_b32_e64 v78, v78, v93, s25
	v_cndmask_b32_e64 v79, v92, v105, s26
	;; [unrolled: 1-line block ×4, first 2 shown]
	v_cndmask_b32_e32 v92, v95, v103, vcc_lo
	v_cndmask_b32_e64 v78, v78, v107, s27
	s_waitcnt lgkmcnt(0)
	v_lshrrev_b32_e32 v93, 16, v99
	v_lshrrev_b32_e32 v104, 16, v96
	v_cndmask_b32_e64 v106, v95, v103, s2
	v_cndmask_b32_e64 v92, v92, v96, s3
	;; [unrolled: 1-line block ×3, first 2 shown]
	v_cndmask_b32_e32 v107, v99, v93, vcc_lo
	v_cndmask_b32_e64 v78, v78, v94, s28
	v_cmp_eq_u32_e32 vcc_lo, 7, v89
	v_cndmask_b32_e64 v80, v92, v104, s6
	v_cndmask_b32_e64 v92, v106, v96, s5
	;; [unrolled: 1-line block ×3, first 2 shown]
	v_lshrrev_b32_e32 v106, 16, v100
	v_cndmask_b32_e64 v77, v77, v108, s26
	v_cndmask_b32_e32 v78, v78, v108, vcc_lo
	v_lshrrev_b32_e32 v108, 16, v101
	v_cndmask_b32_e64 v80, v80, v97, s8
	v_cndmask_b32_e64 v94, v94, v106, s6
	v_lshrrev_b32_e32 v107, 16, v97
	v_cndmask_b32_e32 v73, v73, v105, vcc_lo
	v_perm_b32 v79, v77, v79, 0x5040100
	v_cndmask_b32_e64 v92, v92, v104, s7
	v_cndmask_b32_e64 v94, v94, v101, s8
	;; [unrolled: 1-line block ×3, first 2 shown]
	v_perm_b32 v80, v78, v73, 0x5040100
	v_perm_b32 v78, v91, v111, 0x5040100
	v_cndmask_b32_e64 v111, v99, v93, s4
	v_cndmask_b32_e64 v94, v94, v108, s9
	;; [unrolled: 1-line block ×3, first 2 shown]
	s_delay_alu instid0(VALU_DEP_2)
	v_cndmask_b32_e64 v77, v94, v102, s11
	v_cndmask_b32_e64 v94, v95, v103, s4
	;; [unrolled: 1-line block ×22, first 2 shown]
	v_lshrrev_b32_e32 v105, 16, v98
	v_cndmask_b32_e64 v94, v94, v107, s21
	v_cndmask_b32_e64 v95, v95, v107, s27
	;; [unrolled: 1-line block ×7, first 2 shown]
	v_lshrrev_b32_e32 v92, 16, v102
	v_cndmask_b32_e64 v94, v94, v98, s23
	v_cndmask_b32_e64 v95, v95, v98, s28
	;; [unrolled: 1-line block ×7, first 2 shown]
	v_dual_cndmask_b32 v94, v95, v105 :: v_dual_cndmask_b32 v95, v96, v92
	v_cndmask_b32_e64 v96, v97, v92, s26
	v_cndmask_b32_e64 v97, v93, v92, s17
	;; [unrolled: 1-line block ×3, first 2 shown]
	v_perm_b32 v77, v110, v109, 0x5040100
	v_perm_b32 v94, v95, v94, 0x5040100
	;; [unrolled: 1-line block ×5, first 2 shown]
	s_lshl_b32 s7, s35, 4
	s_mov_b32 s2, exec_lo
	ds_store_b128 v76, v[77:80]
	ds_store_b128 v76, v[91:94] offset:1024
	v_cmpx_gt_u32_e32 16, v0
	s_cbranch_execz .LBB725_80
; %bb.79:
	v_or_b32_e32 v73, s29, v0
	s_load_b128 s[8:11], s[0:1], 0x58
	s_delay_alu instid0(VALU_DEP_1) | instskip(NEXT) | instid1(VALU_DEP_1)
	v_mad_u64_u32 v[76:77], null, s7, s30, v[73:74]
	v_mad_u64_u32 v[77:78], null, v76, s34, s[14:15]
	s_delay_alu instid0(VALU_DEP_1) | instskip(NEXT) | instid1(VALU_DEP_1)
	v_ashrrev_i32_e32 v78, 31, v77
	v_lshlrev_b64 v[76:77], 2, v[77:78]
	s_waitcnt lgkmcnt(0)
	s_delay_alu instid0(VALU_DEP_1) | instskip(NEXT) | instid1(VALU_DEP_2)
	v_add_co_u32 v78, vcc_lo, s10, v76
	v_add_co_ci_u32_e32 v79, vcc_lo, s11, v77, vcc_lo
	v_add_co_u32 v76, vcc_lo, s8, v76
	v_add_co_ci_u32_e32 v77, vcc_lo, s9, v77, vcc_lo
	global_store_b32 v[78:79], v74, off
	global_store_b32 v[76:77], v75, off
.LBB725_80:
	s_or_b32 exec_lo, exec_lo, s2
	s_waitcnt lgkmcnt(0)
	s_waitcnt_vscnt null, 0x0
	s_barrier
	buffer_gl0_inv
	ds_load_b128 v[91:94], v85
	ds_load_b128 v[95:98], v85 offset:16
	ds_load_b128 v[103:106], v85 offset:1040
	;; [unrolled: 1-line block ×3, first 2 shown]
	v_mov_b32_e32 v73, 0
	ds_load_b128 v[111:114], v85 offset:2064
	ds_load_b128 v[107:110], v85 offset:2048
	;; [unrolled: 1-line block ×6, first 2 shown]
	v_mov_b32_e32 v74, v73
	v_mov_b32_e32 v75, v73
	;; [unrolled: 1-line block ×7, first 2 shown]
	s_waitcnt lgkmcnt(8)
	s_delay_alu instid0(VALU_DEP_1)
	v_wmma_f32_16x16x16_bf16 v[73:80], v[65:72], v[91:98], v[73:80]
	ds_load_b128 v[69:72], v85 offset:5136
	ds_load_b128 v[65:68], v85 offset:5120
	;; [unrolled: 1-line block ×4, first 2 shown]
	s_waitcnt lgkmcnt(10)
	v_wmma_f32_16x16x16_bf16 v[73:80], v[57:64], v[99:106], v[73:80]
	s_waitcnt lgkmcnt(8)
	s_delay_alu instid0(VALU_DEP_1)
	v_wmma_f32_16x16x16_bf16 v[73:80], v[57:64], v[107:114], v[73:80]
	ds_load_b128 v[61:64], v85 offset:7184
	ds_load_b128 v[57:60], v85 offset:7168
	ds_load_b128 v[103:106], v85 offset:8208
	ds_load_b128 v[99:102], v85 offset:8192
	s_waitcnt lgkmcnt(10)
	v_wmma_f32_16x16x16_bf16 v[73:80], v[49:56], v[115:122], v[73:80]
	s_waitcnt lgkmcnt(8)
	s_delay_alu instid0(VALU_DEP_1)
	v_wmma_f32_16x16x16_bf16 v[73:80], v[49:56], v[123:130], v[73:80]
	ds_load_b128 v[53:56], v85 offset:9232
	ds_load_b128 v[49:52], v85 offset:9216
	s_waitcnt lgkmcnt(8)
	v_wmma_f32_16x16x16_bf16 v[73:80], v[41:48], v[65:72], v[73:80]
	ds_load_b128 v[69:72], v85 offset:10256
	ds_load_b128 v[65:68], v85 offset:10240
	s_waitcnt lgkmcnt(8)
	;; [unrolled: 4-line block ×3, first 2 shown]
	v_wmma_f32_16x16x16_bf16 v[73:80], v[9:16], v[57:64], v[73:80]
	s_waitcnt lgkmcnt(6)
	s_delay_alu instid0(VALU_DEP_1)
	v_wmma_f32_16x16x16_bf16 v[73:80], v[9:16], v[99:106], v[73:80]
	ds_load_b128 v[13:16], v85 offset:12304
	ds_load_b128 v[9:12], v85 offset:12288
	s_waitcnt lgkmcnt(6)
	v_wmma_f32_16x16x16_bf16 v[73:80], v[1:8], v[49:56], v[73:80]
	ds_load_b128 v[53:56], v85 offset:13328
	ds_load_b128 v[49:52], v85 offset:13312
	s_waitcnt lgkmcnt(6)
	;; [unrolled: 4-line block ×4, first 2 shown]
	v_wmma_f32_16x16x16_bf16 v[73:80], v[33:40], v[9:16], v[73:80]
	s_waitcnt lgkmcnt(4)
	s_delay_alu instid0(VALU_DEP_1) | instskip(SKIP_1) | instid1(VALU_DEP_1)
	v_wmma_f32_16x16x16_bf16 v[73:80], v[25:32], v[49:56], v[73:80]
	s_waitcnt lgkmcnt(2)
	v_wmma_f32_16x16x16_bf16 v[73:80], v[25:32], v[1:8], v[73:80]
	s_waitcnt lgkmcnt(0)
	s_delay_alu instid0(VALU_DEP_1) | instskip(NEXT) | instid1(VALU_DEP_1)
	v_wmma_f32_16x16x16_bf16 v[73:80], v[17:24], v[41:48], v[73:80]
	v_and_b32_e32 v1, 0x7f800000, v73
	s_delay_alu instid0(VALU_DEP_1) | instskip(SKIP_1) | instid1(SALU_CYCLE_1)
	v_cmp_ne_u32_e32 vcc_lo, 0x7f800000, v1
                                        ; implicit-def: $vgpr1
	s_and_saveexec_b32 s2, vcc_lo
	s_xor_b32 s2, exec_lo, s2
; %bb.81:
	v_bfe_u32 v1, v73, 16, 1
	s_delay_alu instid0(VALU_DEP_1)
	v_add3_u32 v1, v73, v1, 0x7fff
; %bb.82:
	s_and_not1_saveexec_b32 s2, s2
; %bb.83:
	v_and_b32_e32 v1, 0xffff, v73
	v_or_b32_e32 v2, 0x10000, v73
	s_delay_alu instid0(VALU_DEP_2) | instskip(NEXT) | instid1(VALU_DEP_2)
	v_cmp_eq_u32_e32 vcc_lo, 0, v1
	v_cndmask_b32_e32 v1, v2, v73, vcc_lo
; %bb.84:
	s_or_b32 exec_lo, exec_lo, s2
	v_and_b32_e32 v2, 0x7f800000, v74
	s_delay_alu instid0(VALU_DEP_1) | instskip(SKIP_1) | instid1(SALU_CYCLE_1)
	v_cmp_ne_u32_e32 vcc_lo, 0x7f800000, v2
                                        ; implicit-def: $vgpr2
	s_and_saveexec_b32 s2, vcc_lo
	s_xor_b32 s2, exec_lo, s2
; %bb.85:
	v_bfe_u32 v2, v74, 16, 1
	s_delay_alu instid0(VALU_DEP_1)
	v_add3_u32 v2, v74, v2, 0x7fff
; %bb.86:
	s_and_not1_saveexec_b32 s2, s2
; %bb.87:
	v_and_b32_e32 v2, 0xffff, v74
	v_or_b32_e32 v3, 0x10000, v74
	s_delay_alu instid0(VALU_DEP_2) | instskip(NEXT) | instid1(VALU_DEP_2)
	v_cmp_eq_u32_e32 vcc_lo, 0, v2
	v_cndmask_b32_e32 v2, v3, v74, vcc_lo
; %bb.88:
	s_or_b32 exec_lo, exec_lo, s2
	v_and_b32_e32 v3, 0x7f800000, v75
	s_delay_alu instid0(VALU_DEP_1) | instskip(SKIP_1) | instid1(SALU_CYCLE_1)
	v_cmp_ne_u32_e32 vcc_lo, 0x7f800000, v3
                                        ; implicit-def: $vgpr3
	s_and_saveexec_b32 s2, vcc_lo
	s_xor_b32 s2, exec_lo, s2
; %bb.89:
	v_bfe_u32 v3, v75, 16, 1
	s_delay_alu instid0(VALU_DEP_1)
	v_add3_u32 v3, v75, v3, 0x7fff
; %bb.90:
	s_and_not1_saveexec_b32 s2, s2
; %bb.91:
	v_and_b32_e32 v3, 0xffff, v75
	v_or_b32_e32 v4, 0x10000, v75
	s_delay_alu instid0(VALU_DEP_2) | instskip(NEXT) | instid1(VALU_DEP_2)
	v_cmp_eq_u32_e32 vcc_lo, 0, v3
	v_cndmask_b32_e32 v3, v4, v75, vcc_lo
; %bb.92:
	s_or_b32 exec_lo, exec_lo, s2
	v_and_b32_e32 v4, 0x7f800000, v76
	s_delay_alu instid0(VALU_DEP_1) | instskip(SKIP_1) | instid1(SALU_CYCLE_1)
	v_cmp_ne_u32_e32 vcc_lo, 0x7f800000, v4
                                        ; implicit-def: $vgpr4
	s_and_saveexec_b32 s2, vcc_lo
	s_xor_b32 s2, exec_lo, s2
; %bb.93:
	v_bfe_u32 v4, v76, 16, 1
	s_delay_alu instid0(VALU_DEP_1)
	v_add3_u32 v4, v76, v4, 0x7fff
; %bb.94:
	s_and_not1_saveexec_b32 s2, s2
; %bb.95:
	v_and_b32_e32 v4, 0xffff, v76
	v_or_b32_e32 v5, 0x10000, v76
	s_delay_alu instid0(VALU_DEP_2) | instskip(NEXT) | instid1(VALU_DEP_2)
	v_cmp_eq_u32_e32 vcc_lo, 0, v4
	v_cndmask_b32_e32 v4, v5, v76, vcc_lo
; %bb.96:
	s_or_b32 exec_lo, exec_lo, s2
	v_and_b32_e32 v5, 0x7f800000, v77
	s_delay_alu instid0(VALU_DEP_1) | instskip(SKIP_1) | instid1(SALU_CYCLE_1)
	v_cmp_ne_u32_e32 vcc_lo, 0x7f800000, v5
                                        ; implicit-def: $vgpr5
	s_and_saveexec_b32 s2, vcc_lo
	s_xor_b32 s2, exec_lo, s2
; %bb.97:
	v_bfe_u32 v5, v77, 16, 1
	s_delay_alu instid0(VALU_DEP_1)
	v_add3_u32 v5, v77, v5, 0x7fff
; %bb.98:
	s_and_not1_saveexec_b32 s2, s2
; %bb.99:
	v_and_b32_e32 v5, 0xffff, v77
	v_or_b32_e32 v6, 0x10000, v77
	s_delay_alu instid0(VALU_DEP_2) | instskip(NEXT) | instid1(VALU_DEP_2)
	v_cmp_eq_u32_e32 vcc_lo, 0, v5
	v_cndmask_b32_e32 v5, v6, v77, vcc_lo
; %bb.100:
	s_or_b32 exec_lo, exec_lo, s2
	v_and_b32_e32 v6, 0x7f800000, v78
	s_delay_alu instid0(VALU_DEP_1) | instskip(SKIP_1) | instid1(SALU_CYCLE_1)
	v_cmp_ne_u32_e32 vcc_lo, 0x7f800000, v6
                                        ; implicit-def: $vgpr6
	s_and_saveexec_b32 s2, vcc_lo
	s_xor_b32 s2, exec_lo, s2
; %bb.101:
	v_bfe_u32 v6, v78, 16, 1
	s_delay_alu instid0(VALU_DEP_1)
	v_add3_u32 v6, v78, v6, 0x7fff
; %bb.102:
	s_and_not1_saveexec_b32 s2, s2
; %bb.103:
	v_and_b32_e32 v6, 0xffff, v78
	v_or_b32_e32 v7, 0x10000, v78
	s_delay_alu instid0(VALU_DEP_2) | instskip(NEXT) | instid1(VALU_DEP_2)
	v_cmp_eq_u32_e32 vcc_lo, 0, v6
	v_cndmask_b32_e32 v6, v7, v78, vcc_lo
; %bb.104:
	s_or_b32 exec_lo, exec_lo, s2
	v_and_b32_e32 v7, 0x7f800000, v79
	s_delay_alu instid0(VALU_DEP_1) | instskip(SKIP_1) | instid1(SALU_CYCLE_1)
	v_cmp_ne_u32_e32 vcc_lo, 0x7f800000, v7
                                        ; implicit-def: $vgpr7
	s_and_saveexec_b32 s2, vcc_lo
	s_xor_b32 s2, exec_lo, s2
; %bb.105:
	v_bfe_u32 v7, v79, 16, 1
	s_delay_alu instid0(VALU_DEP_1)
	v_add3_u32 v7, v79, v7, 0x7fff
; %bb.106:
	s_and_not1_saveexec_b32 s2, s2
; %bb.107:
	v_and_b32_e32 v7, 0xffff, v79
	v_or_b32_e32 v8, 0x10000, v79
	s_delay_alu instid0(VALU_DEP_2) | instskip(NEXT) | instid1(VALU_DEP_2)
	v_cmp_eq_u32_e32 vcc_lo, 0, v7
	v_cndmask_b32_e32 v7, v8, v79, vcc_lo
; %bb.108:
	s_or_b32 exec_lo, exec_lo, s2
	v_and_b32_e32 v8, 0x7f800000, v80
	s_delay_alu instid0(VALU_DEP_1) | instskip(SKIP_1) | instid1(SALU_CYCLE_1)
	v_cmp_ne_u32_e32 vcc_lo, 0x7f800000, v8
                                        ; implicit-def: $vgpr8
	s_and_saveexec_b32 s2, vcc_lo
	s_xor_b32 s2, exec_lo, s2
; %bb.109:
	v_bfe_u32 v8, v80, 16, 1
	s_delay_alu instid0(VALU_DEP_1)
	v_add3_u32 v8, v80, v8, 0x7fff
                                        ; implicit-def: $vgpr73_vgpr74_vgpr75_vgpr76_vgpr77_vgpr78_vgpr79_vgpr80
; %bb.110:
	s_and_not1_saveexec_b32 s2, s2
; %bb.111:
	v_and_b32_e32 v8, 0xffff, v80
	v_or_b32_e32 v9, 0x10000, v80
	s_delay_alu instid0(VALU_DEP_2) | instskip(NEXT) | instid1(VALU_DEP_2)
	v_cmp_eq_u32_e32 vcc_lo, 0, v8
	v_cndmask_b32_e32 v8, v9, v80, vcc_lo
; %bb.112:
	s_or_b32 exec_lo, exec_lo, s2
	s_delay_alu instid0(VALU_DEP_1)
	v_perm_b32 v7, v8, v7, 0x7060302
	v_perm_b32 v6, v6, v5, 0x7060302
	;; [unrolled: 1-line block ×4, first 2 shown]
	v_lshl_or_b32 v9, v83, 4, v90
	s_barrier
	buffer_gl0_inv
	v_cmp_eq_u32_e32 vcc_lo, 1, v87
	ds_store_b128 v9, v[4:7]
	s_waitcnt lgkmcnt(0)
	s_barrier
	buffer_gl0_inv
	ds_load_b128 v[1:4], v90
	ds_load_b128 v[5:8], v90 offset:16
	v_cmp_eq_u32_e64 s3, 2, v87
	v_cmp_eq_u32_e64 s2, 1, v88
	;; [unrolled: 1-line block ×5, first 2 shown]
	s_waitcnt lgkmcnt(1)
	v_lshrrev_b32_e32 v10, 16, v1
	s_waitcnt lgkmcnt(0)
	v_lshrrev_b32_e32 v14, 16, v5
	v_lshrrev_b32_e32 v15, 16, v6
	;; [unrolled: 1-line block ×4, first 2 shown]
	v_cndmask_b32_e64 v20, v1, v10, s2
	v_cndmask_b32_e32 v19, v5, v14, vcc_lo
	v_cndmask_b32_e64 v21, v5, v14, s2
	v_lshrrev_b32_e32 v16, 16, v7
	v_cmp_eq_u32_e64 s2, 1, v86
	v_lshrrev_b32_e32 v13, 16, v4
	v_cndmask_b32_e64 v19, v19, v6, s3
	v_lshrrev_b32_e32 v17, 16, v8
	s_delay_alu instid0(VALU_DEP_4) | instskip(SKIP_1) | instid1(VALU_DEP_4)
	v_cndmask_b32_e64 v22, v1, v10, s2
	v_cndmask_b32_e64 v23, v5, v14, s2
	;; [unrolled: 1-line block ×3, first 2 shown]
	v_cndmask_b32_e32 v18, v1, v10, vcc_lo
	v_cmp_eq_u32_e32 vcc_lo, 2, v88
	v_cmp_eq_u32_e64 s2, 2, v89
	v_cndmask_b32_e64 v22, v22, v2, s6
	v_cndmask_b32_e32 v20, v20, v2, vcc_lo
	v_cndmask_b32_e32 v21, v21, v6, vcc_lo
	v_cmp_eq_u32_e32 vcc_lo, 4, v87
	v_cndmask_b32_e32 v19, v19, v7, vcc_lo
	v_cndmask_b32_e64 v18, v18, v2, s3
	v_cmp_eq_u32_e64 s3, 3, v88
	s_delay_alu instid0(VALU_DEP_2) | instskip(NEXT) | instid1(VALU_DEP_2)
	v_cndmask_b32_e64 v18, v18, v11, s4
	v_cndmask_b32_e64 v21, v21, v15, s3
	v_cmp_eq_u32_e64 s4, 5, v87
	s_delay_alu instid0(VALU_DEP_3) | instskip(SKIP_1) | instid1(VALU_DEP_3)
	v_cndmask_b32_e32 v18, v18, v3, vcc_lo
	v_cmp_eq_u32_e32 vcc_lo, 4, v88
	v_cndmask_b32_e64 v19, v19, v16, s4
	s_delay_alu instid0(VALU_DEP_3) | instskip(SKIP_4) | instid1(VALU_DEP_3)
	v_cndmask_b32_e64 v18, v18, v12, s4
	v_cndmask_b32_e32 v21, v21, v7, vcc_lo
	v_cndmask_b32_e64 v20, v20, v11, s3
	v_cmp_eq_u32_e64 s3, 5, v88
	v_cmp_eq_u32_e64 s4, 6, v87
	v_cndmask_b32_e32 v20, v20, v3, vcc_lo
	s_delay_alu instid0(VALU_DEP_3) | instskip(SKIP_1) | instid1(VALU_DEP_4)
	v_cndmask_b32_e64 v21, v21, v16, s3
	v_cmp_eq_u32_e32 vcc_lo, 6, v88
	v_cndmask_b32_e64 v18, v18, v4, s4
	v_cndmask_b32_e64 v19, v19, v8, s4
	;; [unrolled: 1-line block ×3, first 2 shown]
	v_cmp_eq_u32_e64 s3, 1, v89
	v_cmp_eq_u32_e64 s4, 7, v87
	s_delay_alu instid0(VALU_DEP_3) | instskip(NEXT) | instid1(VALU_DEP_3)
	v_cndmask_b32_e32 v20, v20, v4, vcc_lo
	v_cndmask_b32_e64 v1, v1, v10, s3
	v_cndmask_b32_e64 v5, v5, v14, s3
	v_cmp_eq_u32_e64 s3, 3, v86
	v_cndmask_b32_e64 v14, v23, v6, s6
	v_cmp_eq_u32_e64 s6, 3, v89
	v_cndmask_b32_e64 v1, v1, v2, s2
	v_cndmask_b32_e64 v2, v5, v6, s2
	;; [unrolled: 1-line block ×3, first 2 shown]
	v_cmp_eq_u32_e64 s2, 4, v86
	v_cndmask_b32_e64 v6, v14, v15, s3
	v_cndmask_b32_e64 v1, v1, v11, s6
	v_cmp_eq_u32_e64 s3, 4, v89
	v_cndmask_b32_e64 v2, v2, v15, s6
	v_cndmask_b32_e64 v5, v10, v3, s2
	;; [unrolled: 3-line block ×3, first 2 shown]
	v_cndmask_b32_e64 v2, v2, v7, s3
	v_cmp_eq_u32_e64 s2, 5, v89
	v_cndmask_b32_e64 v5, v5, v12, s6
	v_cmp_eq_u32_e64 s3, 6, v86
	;; [unrolled: 2-line block ×3, first 2 shown]
	v_cndmask_b32_e64 v1, v1, v12, s2
	v_cndmask_b32_e64 v2, v2, v16, s2
	;; [unrolled: 1-line block ×4, first 2 shown]
	v_cmp_eq_u32_e64 s2, 7, v89
	v_cndmask_b32_e64 v1, v1, v4, s6
	v_cndmask_b32_e64 v2, v2, v8, s6
	v_cmp_eq_u32_e64 s3, 7, v86
	v_cndmask_b32_e32 v4, v21, v8, vcc_lo
	v_cndmask_b32_e64 v18, v18, v13, s4
	v_cndmask_b32_e64 v20, v20, v13, s5
	;; [unrolled: 1-line block ×8, first 2 shown]
	s_mov_b32 s2, exec_lo
	v_perm_b32 v4, v2, v1, 0x5040100
	v_perm_b32 v3, v3, v5, 0x5040100
	;; [unrolled: 1-line block ×4, first 2 shown]
	ds_store_b128 v9, v[1:4]
	s_waitcnt lgkmcnt(0)
	s_barrier
	buffer_gl0_inv
	v_cmpx_gt_u32_e32 32, v0
	s_cbranch_execz .LBB725_2
; %bb.113:
	s_load_b64 s[0:1], s[0:1], 0x68
	v_lshlrev_b32_e32 v0, 10, v0
	s_lshl_b32 s4, s34, 7
	v_or_b32_e32 v23, s29, v83
	s_mul_i32 s2, s4, s30
	v_lshlrev_b32_e32 v1, 4, v84
	v_lshlrev_b32_e32 v2, 6, v83
	s_mul_i32 s2, s2, s7
	v_and_b32_e32 v0, 0x3800, v0
	v_mul_lo_u32 v8, v23, s4
	s_ashr_i32 s3, s2, 31
	v_or_b32_e32 v3, 2, v23
	s_lshl_b64 s[2:3], s[2:3], 1
	v_or3_b32 v27, v0, v1, v2
	v_or_b32_e32 v11, 4, v23
	v_or_b32_e32 v18, 6, v23
	v_mul_lo_u32 v10, v3, s4
	v_ashrrev_i32_e32 v9, 31, v8
	ds_load_b128 v[0:3], v27
	ds_load_b128 v[4:7], v27 offset:128
	v_mul_lo_u32 v12, v11, s4
	s_waitcnt lgkmcnt(0)
	s_add_u32 s2, s0, s2
	s_addc_u32 s3, s1, s3
	s_lshl_b32 s0, s14, 7
	v_lshlrev_b64 v[8:9], 1, v[8:9]
	s_ashr_i32 s1, s0, 31
	v_ashrrev_i32_e32 v11, 31, v10
	s_lshl_b64 s[0:1], s[0:1], 1
	v_ashrrev_i32_e32 v13, 31, v12
	s_add_u32 s0, s2, s0
	s_addc_u32 s1, s3, s1
	v_add_co_u32 v30, vcc_lo, s0, v81
	v_add_co_ci_u32_e32 v31, vcc_lo, s1, v82, vcc_lo
	v_lshlrev_b64 v[16:17], 1, v[10:11]
	s_delay_alu instid0(VALU_DEP_3) | instskip(NEXT) | instid1(VALU_DEP_3)
	v_add_co_u32 v14, vcc_lo, v30, v8
	v_add_co_ci_u32_e32 v15, vcc_lo, v31, v9, vcc_lo
	ds_load_b128 v[8:11], v27 offset:256
	v_mul_lo_u32 v18, v18, s4
	v_or_b32_e32 v19, 8, v23
	v_add_co_u32 v16, vcc_lo, v30, v16
	global_store_b128 v[14:15], v[0:3], off
	v_lshlrev_b64 v[0:1], 1, v[12:13]
	v_add_co_ci_u32_e32 v17, vcc_lo, v31, v17, vcc_lo
	v_mul_lo_u32 v12, v19, s4
	v_ashrrev_i32_e32 v19, 31, v18
	v_or_b32_e32 v14, 10, v23
	global_store_b128 v[16:17], v[4:7], off
	v_add_co_u32 v4, vcc_lo, v30, v0
	v_add_co_ci_u32_e32 v5, vcc_lo, v31, v1, vcc_lo
	ds_load_b128 v[0:3], v27 offset:384
	v_ashrrev_i32_e32 v13, 31, v12
	v_lshlrev_b64 v[6:7], 1, v[18:19]
	v_mul_lo_u32 v14, v14, s4
	s_waitcnt lgkmcnt(1)
	global_store_b128 v[4:5], v[8:11], off
	v_or_b32_e32 v8, 12, v23
	v_lshlrev_b64 v[4:5], 1, v[12:13]
	v_add_co_u32 v20, vcc_lo, v30, v6
	v_or_b32_e32 v6, 14, v23
	v_ashrrev_i32_e32 v15, 31, v14
	v_mul_lo_u32 v22, v8, s4
	v_add_co_ci_u32_e32 v21, vcc_lo, v31, v7, vcc_lo
	v_add_co_u32 v24, vcc_lo, v30, v4
	v_mul_lo_u32 v26, v6, s4
	v_add_co_ci_u32_e32 v25, vcc_lo, v31, v5, vcc_lo
	v_lshlrev_b64 v[28:29], 1, v[14:15]
	ds_load_b128 v[4:7], v27 offset:512
	ds_load_b128 v[8:11], v27 offset:640
	;; [unrolled: 1-line block ×4, first 2 shown]
	v_ashrrev_i32_e32 v23, 31, v22
	v_ashrrev_i32_e32 v27, 31, v26
	v_add_co_u32 v28, vcc_lo, v30, v28
	s_delay_alu instid0(VALU_DEP_3) | instskip(SKIP_1) | instid1(VALU_DEP_4)
	v_lshlrev_b64 v[22:23], 1, v[22:23]
	v_add_co_ci_u32_e32 v29, vcc_lo, v31, v29, vcc_lo
	v_lshlrev_b64 v[26:27], 1, v[26:27]
	s_delay_alu instid0(VALU_DEP_3) | instskip(NEXT) | instid1(VALU_DEP_4)
	v_add_co_u32 v22, vcc_lo, v30, v22
	v_add_co_ci_u32_e32 v23, vcc_lo, v31, v23, vcc_lo
	s_delay_alu instid0(VALU_DEP_3) | instskip(NEXT) | instid1(VALU_DEP_4)
	v_add_co_u32 v26, vcc_lo, v30, v26
	v_add_co_ci_u32_e32 v27, vcc_lo, v31, v27, vcc_lo
	s_waitcnt lgkmcnt(4)
	global_store_b128 v[20:21], v[0:3], off
	s_waitcnt lgkmcnt(3)
	global_store_b128 v[24:25], v[4:7], off
	;; [unrolled: 2-line block ×5, first 2 shown]
	s_nop 0
	s_sendmsg sendmsg(MSG_DEALLOC_VGPRS)
	s_endpgm
	.section	.rodata,"a",@progbits
	.p2align	6, 0x0
	.amdhsa_kernel _Z39paged_attention_ll4mi_QKV_mfma16_kernelI14__hip_bfloat16S0_LN4vllm18Fp8KVCacheDataTypeE0EhLi32ELi128ELi256ELb0ELi16EL8MFMAType0EEvPKT_PKT0_S9_ifPKiSB_SB_iPKfiiiPfSE_PS4_PT2_iSD_SD_
		.amdhsa_group_segment_fixed_size 17472
		.amdhsa_private_segment_fixed_size 0
		.amdhsa_kernarg_size 400
		.amdhsa_user_sgpr_count 13
		.amdhsa_user_sgpr_dispatch_ptr 0
		.amdhsa_user_sgpr_queue_ptr 0
		.amdhsa_user_sgpr_kernarg_segment_ptr 1
		.amdhsa_user_sgpr_dispatch_id 0
		.amdhsa_user_sgpr_private_segment_size 0
		.amdhsa_wavefront_size32 1
		.amdhsa_uses_dynamic_stack 0
		.amdhsa_enable_private_segment 0
		.amdhsa_system_sgpr_workgroup_id_x 1
		.amdhsa_system_sgpr_workgroup_id_y 1
		.amdhsa_system_sgpr_workgroup_id_z 1
		.amdhsa_system_sgpr_workgroup_info 0
		.amdhsa_system_vgpr_workitem_id 0
		.amdhsa_next_free_vgpr 150
		.amdhsa_next_free_sgpr 38
		.amdhsa_reserve_vcc 1
		.amdhsa_float_round_mode_32 0
		.amdhsa_float_round_mode_16_64 0
		.amdhsa_float_denorm_mode_32 3
		.amdhsa_float_denorm_mode_16_64 3
		.amdhsa_dx10_clamp 1
		.amdhsa_ieee_mode 1
		.amdhsa_fp16_overflow 0
		.amdhsa_workgroup_processor_mode 1
		.amdhsa_memory_ordered 1
		.amdhsa_forward_progress 0
		.amdhsa_shared_vgpr_count 0
		.amdhsa_exception_fp_ieee_invalid_op 0
		.amdhsa_exception_fp_denorm_src 0
		.amdhsa_exception_fp_ieee_div_zero 0
		.amdhsa_exception_fp_ieee_overflow 0
		.amdhsa_exception_fp_ieee_underflow 0
		.amdhsa_exception_fp_ieee_inexact 0
		.amdhsa_exception_int_div_zero 0
	.end_amdhsa_kernel
	.section	.text._Z39paged_attention_ll4mi_QKV_mfma16_kernelI14__hip_bfloat16S0_LN4vllm18Fp8KVCacheDataTypeE0EhLi32ELi128ELi256ELb0ELi16EL8MFMAType0EEvPKT_PKT0_S9_ifPKiSB_SB_iPKfiiiPfSE_PS4_PT2_iSD_SD_,"axG",@progbits,_Z39paged_attention_ll4mi_QKV_mfma16_kernelI14__hip_bfloat16S0_LN4vllm18Fp8KVCacheDataTypeE0EhLi32ELi128ELi256ELb0ELi16EL8MFMAType0EEvPKT_PKT0_S9_ifPKiSB_SB_iPKfiiiPfSE_PS4_PT2_iSD_SD_,comdat
.Lfunc_end725:
	.size	_Z39paged_attention_ll4mi_QKV_mfma16_kernelI14__hip_bfloat16S0_LN4vllm18Fp8KVCacheDataTypeE0EhLi32ELi128ELi256ELb0ELi16EL8MFMAType0EEvPKT_PKT0_S9_ifPKiSB_SB_iPKfiiiPfSE_PS4_PT2_iSD_SD_, .Lfunc_end725-_Z39paged_attention_ll4mi_QKV_mfma16_kernelI14__hip_bfloat16S0_LN4vllm18Fp8KVCacheDataTypeE0EhLi32ELi128ELi256ELb0ELi16EL8MFMAType0EEvPKT_PKT0_S9_ifPKiSB_SB_iPKfiiiPfSE_PS4_PT2_iSD_SD_
                                        ; -- End function
	.section	.AMDGPU.csdata,"",@progbits
; Kernel info:
; codeLenInByte = 9920
; NumSgprs: 40
; NumVgprs: 150
; ScratchSize: 0
; MemoryBound: 0
; FloatMode: 240
; IeeeMode: 1
; LDSByteSize: 17472 bytes/workgroup (compile time only)
; SGPRBlocks: 4
; VGPRBlocks: 18
; NumSGPRsForWavesPerEU: 40
; NumVGPRsForWavesPerEU: 150
; Occupancy: 9
; WaveLimiterHint : 1
; COMPUTE_PGM_RSRC2:SCRATCH_EN: 0
; COMPUTE_PGM_RSRC2:USER_SGPR: 13
; COMPUTE_PGM_RSRC2:TRAP_HANDLER: 0
; COMPUTE_PGM_RSRC2:TGID_X_EN: 1
; COMPUTE_PGM_RSRC2:TGID_Y_EN: 1
; COMPUTE_PGM_RSRC2:TGID_Z_EN: 1
; COMPUTE_PGM_RSRC2:TIDIG_COMP_CNT: 0
	.section	.text._Z39paged_attention_ll4mi_QKV_mfma16_kernelI14__hip_bfloat16S0_LN4vllm18Fp8KVCacheDataTypeE0EhLi32ELi128ELi256ELb0ELi1EL8MFMAType0EEvPKT_PKT0_S9_ifPKiSB_SB_iPKfiiiPfSE_PS4_PT2_iSD_SD_,"axG",@progbits,_Z39paged_attention_ll4mi_QKV_mfma16_kernelI14__hip_bfloat16S0_LN4vllm18Fp8KVCacheDataTypeE0EhLi32ELi128ELi256ELb0ELi1EL8MFMAType0EEvPKT_PKT0_S9_ifPKiSB_SB_iPKfiiiPfSE_PS4_PT2_iSD_SD_,comdat
	.protected	_Z39paged_attention_ll4mi_QKV_mfma16_kernelI14__hip_bfloat16S0_LN4vllm18Fp8KVCacheDataTypeE0EhLi32ELi128ELi256ELb0ELi1EL8MFMAType0EEvPKT_PKT0_S9_ifPKiSB_SB_iPKfiiiPfSE_PS4_PT2_iSD_SD_ ; -- Begin function _Z39paged_attention_ll4mi_QKV_mfma16_kernelI14__hip_bfloat16S0_LN4vllm18Fp8KVCacheDataTypeE0EhLi32ELi128ELi256ELb0ELi1EL8MFMAType0EEvPKT_PKT0_S9_ifPKiSB_SB_iPKfiiiPfSE_PS4_PT2_iSD_SD_
	.globl	_Z39paged_attention_ll4mi_QKV_mfma16_kernelI14__hip_bfloat16S0_LN4vllm18Fp8KVCacheDataTypeE0EhLi32ELi128ELi256ELb0ELi1EL8MFMAType0EEvPKT_PKT0_S9_ifPKiSB_SB_iPKfiiiPfSE_PS4_PT2_iSD_SD_
	.p2align	8
	.type	_Z39paged_attention_ll4mi_QKV_mfma16_kernelI14__hip_bfloat16S0_LN4vllm18Fp8KVCacheDataTypeE0EhLi32ELi128ELi256ELb0ELi1EL8MFMAType0EEvPKT_PKT0_S9_ifPKiSB_SB_iPKfiiiPfSE_PS4_PT2_iSD_SD_,@function
_Z39paged_attention_ll4mi_QKV_mfma16_kernelI14__hip_bfloat16S0_LN4vllm18Fp8KVCacheDataTypeE0EhLi32ELi128ELi256ELb0ELi1EL8MFMAType0EEvPKT_PKT0_S9_ifPKiSB_SB_iPKfiiiPfSE_PS4_PT2_iSD_SD_: ; @_Z39paged_attention_ll4mi_QKV_mfma16_kernelI14__hip_bfloat16S0_LN4vllm18Fp8KVCacheDataTypeE0EhLi32ELi128ELi256ELb0ELi1EL8MFMAType0EEvPKT_PKT0_S9_ifPKiSB_SB_iPKfiiiPfSE_PS4_PT2_iSD_SD_
; %bb.0:
	s_load_b64 s[4:5], s[0:1], 0x30
	s_mov_b32 s34, s13
	s_waitcnt lgkmcnt(0)
	s_cmp_lg_u64 s[4:5], 0
	s_cselect_b32 s6, -1, 0
	s_ashr_i32 s35, s13, 31
	s_cmp_eq_u64 s[4:5], 0
	s_cbranch_scc1 .LBB726_3
; %bb.1:
	s_lshl_b64 s[2:3], s[34:35], 2
	s_delay_alu instid0(SALU_CYCLE_1) | instskip(SKIP_4) | instid1(SALU_CYCLE_1)
	s_add_u32 s2, s4, s2
	s_addc_u32 s3, s5, s3
	s_load_b64 s[2:3], s[2:3], 0x0
	s_waitcnt lgkmcnt(0)
	s_sub_i32 s2, s3, s2
	s_cmp_eq_u32 s2, 1
	s_cselect_b32 s2, -1, 0
	s_delay_alu instid0(SALU_CYCLE_1)
	s_and_not1_b32 vcc_lo, exec_lo, s2
	s_cbranch_vccz .LBB726_4
.LBB726_2:
	s_endpgm
.LBB726_3:
.LBB726_4:
	s_load_b64 s[2:3], s[0:1], 0x28
	s_lshl_b64 s[8:9], s[34:35], 2
	s_waitcnt lgkmcnt(0)
	s_add_u32 s2, s2, s8
	s_addc_u32 s3, s3, s9
	s_lshl_b32 s84, s14, 8
	s_load_b32 s33, s[2:3], 0x0
	s_waitcnt lgkmcnt(0)
	s_cmp_ge_i32 s84, s33
	s_cbranch_scc1 .LBB726_2
; %bb.5:
	s_clause 0x1
	s_load_b128 s[80:83], s[0:1], 0x8
	s_load_b64 s[2:3], s[0:1], 0x20
	s_and_not1_b32 vcc_lo, exec_lo, s6
	s_mov_b64 s[6:7], s[34:35]
	s_cbranch_vccnz .LBB726_7
; %bb.6:
	s_add_u32 s4, s4, s8
	s_addc_u32 s5, s5, s9
	s_load_b32 s6, s[4:5], 0x0
.LBB726_7:
	s_load_b128 s[76:79], s[0:1], 0x48
	v_and_b32_e32 v89, 15, v0
	s_mov_b32 s12, exec_lo
                                        ; implicit-def: $sgpr36
                                        ; implicit-def: $sgpr52
                                        ; implicit-def: $sgpr44
                                        ; implicit-def: $sgpr60
                                        ; implicit-def: $sgpr68
                                        ; implicit-def: $sgpr24
                                        ; implicit-def: $sgpr16
                                        ; implicit-def: $sgpr4
	s_delay_alu instid0(VALU_DEP_1)
	v_cmpx_eq_u32_e32 0, v89
	s_cbranch_execz .LBB726_9
; %bb.8:
	s_load_b64 s[4:5], s[0:1], 0x0
	s_waitcnt lgkmcnt(0)
	s_mul_hi_i32 s7, s6, s76
	s_mul_i32 s6, s6, s76
	s_delay_alu instid0(SALU_CYCLE_1) | instskip(NEXT) | instid1(SALU_CYCLE_1)
	s_lshl_b64 s[6:7], s[6:7], 1
	s_add_u32 s6, s4, s6
	s_addc_u32 s7, s5, s7
	s_lshl_b32 s4, s15, 7
	s_delay_alu instid0(SALU_CYCLE_1) | instskip(NEXT) | instid1(SALU_CYCLE_1)
	s_ashr_i32 s5, s4, 31
	s_lshl_b64 s[4:5], s[4:5], 1
	s_delay_alu instid0(SALU_CYCLE_1)
	s_add_u32 s4, s6, s4
	s_addc_u32 s5, s7, s5
	s_clause 0x7
	s_load_b256 s[36:43], s[4:5], 0x0
	s_load_b256 s[52:59], s[4:5], 0x20
	;; [unrolled: 1-line block ×8, first 2 shown]
.LBB726_9:
	s_or_b32 exec_lo, exec_lo, s12
	s_waitcnt lgkmcnt(0)
	v_dual_mov_b32 v108, s43 :: v_dual_and_b32 v1, 0xef, v0
	s_clause 0x1
	s_load_b32 s13, s[0:1], 0x38
	s_load_b32 s76, s[0:1], 0x1c
	s_add_i32 s35, s33, 31
	v_dual_mov_b32 v107, s42 :: v_dual_add_nc_u32 v2, s84, v1
	s_mul_i32 s12, s15, s78
	s_ashr_i32 s78, s35, 31
	v_lshrrev_b32_e32 v92, 5, v0
	s_delay_alu instid0(VALU_DEP_2)
	v_ashrrev_i32_e32 v1, 31, v2
	v_cmp_gt_i32_e32 vcc_lo, s33, v2
	s_lshr_b32 s79, s78, 27
	v_mov_b32_e32 v106, s41
	s_add_i32 s35, s35, s79
	v_lshrrev_b32_e32 v3, 27, v1
	v_mov_b32_e32 v104, s39
	v_mov_b32_e32 v102, s37
	v_dual_mov_b32 v140, s23 :: v_dual_mov_b32 v139, s22
	s_delay_alu instid0(VALU_DEP_4)
	v_add_nc_u32_e32 v1, v2, v3
	v_or_b32_e32 v2, 16, v2
	s_waitcnt lgkmcnt(0)
	s_mul_i32 s78, s34, s13
	s_ashr_i32 s13, s35, 5
	s_ashr_i32 s79, s78, 31
	v_ashrrev_i32_e32 v1, 5, v1
	v_add_nc_u32_e32 v3, v2, v3
	s_lshl_b64 s[86:87], s[78:79], 2
	s_add_i32 s79, s13, -1
	s_add_u32 s35, s2, s86
	v_cndmask_b32_e32 v1, s79, v1, vcc_lo
	v_ashrrev_i32_e32 v3, 5, v3
	v_cmp_gt_i32_e32 vcc_lo, s33, v2
	s_addc_u32 s78, s3, s87
	s_ashr_i32 s13, s12, 31
	v_ashrrev_i32_e32 v2, 31, v1
	s_lshl_b64 s[2:3], s[12:13], 1
	v_cndmask_b32_e32 v3, s79, v3, vcc_lo
	s_add_u32 s85, s80, s2
	s_addc_u32 s94, s81, s3
	v_lshlrev_b64 v[1:2], 2, v[1:2]
	s_lshl_b32 s12, s14, 3
	v_ashrrev_i32_e32 v4, 31, v3
	s_ashr_i32 s13, s12, 31
	v_mov_b32_e32 v138, s21
	s_lshl_b64 s[12:13], s[12:13], 2
	v_add_co_u32 v1, vcc_lo, s35, v1
	v_lshlrev_b64 v[3:4], 2, v[3:4]
	v_add_co_ci_u32_e32 v2, vcc_lo, s78, v2, vcc_lo
	s_add_u32 s12, s35, s12
	s_addc_u32 s13, s78, s13
	s_or_b32 s80, s84, 32
	s_delay_alu instid0(VALU_DEP_2)
	v_add_co_u32 v3, vcc_lo, s35, v3
	v_add_co_ci_u32_e32 v4, vcc_lo, s78, v4, vcc_lo
	s_clause 0x1
	global_load_b32 v5, v[1:2], off
	global_load_b32 v6, v[3:4], off
	s_ashr_i32 s81, s80, 5
	s_cmp_lt_i32 s80, s33
	v_mov_b32_e32 v137, s20
	s_cselect_b32 s80, s81, s79
	v_mov_b32_e32 v136, s19
	s_ashr_i32 s81, s80, 31
	v_mov_b32_e32 v135, s18
	s_lshl_b64 s[80:81], s[80:81], 2
	v_mov_b32_e32 v134, s17
	s_add_u32 s80, s35, s80
	s_addc_u32 s81, s78, s81
	s_or_b32 s86, s84, 64
	v_mov_b32_e32 v133, s16
	s_ashr_i32 s87, s86, 5
	s_cmp_lt_i32 s86, s33
	s_cselect_b32 s86, s87, s79
	s_delay_alu instid0(SALU_CYCLE_1) | instskip(NEXT) | instid1(SALU_CYCLE_1)
	s_ashr_i32 s87, s86, 31
	s_lshl_b64 s[86:87], s[86:87], 2
	s_delay_alu instid0(SALU_CYCLE_1) | instskip(SKIP_2) | instid1(SALU_CYCLE_1)
	s_add_u32 s86, s35, s86
	s_addc_u32 s87, s78, s87
	s_or_b32 s88, s84, 0x60
	s_ashr_i32 s89, s88, 5
	s_cmp_lt_i32 s88, s33
	s_cselect_b32 s88, s89, s79
	s_delay_alu instid0(SALU_CYCLE_1) | instskip(NEXT) | instid1(SALU_CYCLE_1)
	s_ashr_i32 s89, s88, 31
	s_lshl_b64 s[88:89], s[88:89], 2
	s_delay_alu instid0(SALU_CYCLE_1) | instskip(SKIP_2) | instid1(SALU_CYCLE_1)
	s_add_u32 s88, s35, s88
	s_addc_u32 s89, s78, s89
	s_or_b32 s90, s84, 0x80
	;; [unrolled: 10-line block ×3, first 2 shown]
	s_ashr_i32 s93, s92, 5
	s_cmp_lt_i32 s92, s33
	s_cselect_b32 s92, s93, s79
	s_delay_alu instid0(SALU_CYCLE_1) | instskip(NEXT) | instid1(SALU_CYCLE_1)
	s_ashr_i32 s93, s92, 31
	s_lshl_b64 s[92:93], s[92:93], 2
	s_delay_alu instid0(SALU_CYCLE_1)
	s_add_u32 s92, s35, s92
	s_addc_u32 s93, s78, s93
	s_clause 0x5
	s_load_b32 s96, s[12:13], 0x0
	s_load_b32 s80, s[80:81], 0x0
	;; [unrolled: 1-line block ×6, first 2 shown]
	s_mov_b32 s88, 0
	s_delay_alu instid0(SALU_CYCLE_1)
	s_mov_b32 s89, s88
	s_mov_b32 s90, s88
	;; [unrolled: 1-line block ×6, first 2 shown]
	s_waitcnt lgkmcnt(0)
	s_mul_hi_i32 s19, s96, s77
	s_mul_i32 s18, s96, s77
	s_mul_hi_i32 s21, s80, s77
	s_waitcnt vmcnt(1)
	v_mad_i64_i32 v[1:2], null, v5, s77, 0
	s_waitcnt vmcnt(0)
	v_mad_i64_i32 v[3:4], null, v6, s77, 0
	v_lshlrev_b32_e32 v5, 4, v89
	s_delay_alu instid0(VALU_DEP_3) | instskip(NEXT) | instid1(VALU_DEP_3)
	v_lshlrev_b64 v[1:2], 1, v[1:2]
	v_lshlrev_b64 v[3:4], 1, v[3:4]
	s_delay_alu instid0(VALU_DEP_2) | instskip(NEXT) | instid1(VALU_DEP_3)
	v_add_co_u32 v1, vcc_lo, s85, v1
	v_add_co_ci_u32_e32 v2, vcc_lo, s94, v2, vcc_lo
	s_delay_alu instid0(VALU_DEP_3) | instskip(NEXT) | instid1(VALU_DEP_4)
	v_add_co_u32 v3, vcc_lo, s85, v3
	v_add_co_ci_u32_e32 v4, vcc_lo, s94, v4, vcc_lo
	s_delay_alu instid0(VALU_DEP_4) | instskip(NEXT) | instid1(VALU_DEP_4)
	v_add_co_u32 v65, vcc_lo, v1, v5
	v_add_co_ci_u32_e32 v66, vcc_lo, 0, v2, vcc_lo
	s_delay_alu instid0(VALU_DEP_4) | instskip(NEXT) | instid1(VALU_DEP_4)
	v_add_co_u32 v73, vcc_lo, v3, v5
	v_add_co_ci_u32_e32 v74, vcc_lo, 0, v4, vcc_lo
	s_clause 0xf
	global_load_b128 v[1:4], v[65:66], off
	global_load_b128 v[5:8], v[65:66], off offset:512
	global_load_b128 v[9:12], v[73:74], off offset:256
	;; [unrolled: 1-line block ×15, first 2 shown]
	v_add_co_u32 v90, vcc_lo, 0x1000, v65
	v_add_co_ci_u32_e32 v91, vcc_lo, 0, v66, vcc_lo
	v_add_co_u32 v129, vcc_lo, 0x1000, v73
	v_add_co_ci_u32_e32 v130, vcc_lo, 0, v74, vcc_lo
	s_mov_b32 s94, s88
	s_clause 0x1
	global_load_b128 v[65:68], v[90:91], off
	global_load_b128 v[69:72], v[90:91], off offset:512
	v_dual_mov_b32 v73, s88 :: v_dual_mov_b32 v80, s95
	s_clause 0x1
	global_load_b128 v[93:96], v[129:130], off offset:256
	global_load_b128 v[97:100], v[129:130], off offset:768
	v_dual_mov_b32 v105, s40 :: v_dual_mov_b32 v74, s89
	v_dual_mov_b32 v103, s38 :: v_dual_mov_b32 v76, s91
	;; [unrolled: 1-line block ×3, first 2 shown]
	v_mov_b32_e32 v75, s90
	v_mov_b32_e32 v77, s92
	v_mov_b32_e32 v79, s94
	s_clause 0x1
	global_load_b128 v[109:112], v[90:91], off offset:1024
	global_load_b128 v[113:116], v[90:91], off offset:1536
	s_waitcnt vmcnt(20)
	v_wmma_f32_16x16x16_bf16 v[81:88], v[1:8], v[101:108], v[73:80]
	s_clause 0x1
	global_load_b128 v[1:4], v[129:130], off offset:1280
	global_load_b128 v[5:8], v[129:130], off offset:1792
	s_waitcnt vmcnt(20)
	v_wmma_f32_16x16x16_bf16 v[73:80], v[9:16], v[101:108], v[73:80]
	v_dual_mov_b32 v9, s52 :: v_dual_mov_b32 v16, s59
	v_dual_mov_b32 v10, s53 :: v_dual_mov_b32 v11, s54
	;; [unrolled: 1-line block ×4, first 2 shown]
	s_clause 0x1
	global_load_b128 v[101:104], v[90:91], off offset:2048
	global_load_b128 v[105:108], v[90:91], off offset:2560
	s_waitcnt vmcnt(18)
	v_wmma_f32_16x16x16_bf16 v[73:80], v[25:32], v[9:16], v[73:80]
	s_clause 0x5
	global_load_b128 v[25:28], v[129:130], off offset:2304
	global_load_b128 v[29:32], v[129:130], off offset:2816
	global_load_b128 v[117:120], v[90:91], off offset:3072
	global_load_b128 v[121:124], v[90:91], off offset:3584
	global_load_b128 v[125:128], v[129:130], off offset:3328
	global_load_b128 v[129:132], v[129:130], off offset:3840
	v_wmma_f32_16x16x16_bf16 v[81:88], v[17:24], v[9:16], v[81:88]
	v_dual_mov_b32 v9, s44 :: v_dual_mov_b32 v16, s51
	v_dual_mov_b32 v10, s45 :: v_dual_mov_b32 v11, s46
	;; [unrolled: 1-line block ×5, first 2 shown]
	v_mov_b32_e32 v19, s70
	v_mov_b32_e32 v21, s72
	s_waitcnt vmcnt(22)
	v_wmma_f32_16x16x16_bf16 v[81:88], v[33:40], v[9:16], v[81:88]
	v_mov_b32_e32 v40, s31
	v_dual_mov_b32 v38, s29 :: v_dual_mov_b32 v23, s74
	v_dual_mov_b32 v36, s27 :: v_dual_mov_b32 v39, s30
	v_dual_mov_b32 v34, s25 :: v_dual_mov_b32 v37, s28
	v_mov_b32_e32 v35, s26
	v_mov_b32_e32 v33, s24
	s_or_b32 s24, s84, 0xc0
	v_lshlrev_b32_e32 v91, 6, v89
	s_ashr_i32 s25, s24, 5
	s_cmp_lt_i32 s24, s33
	s_waitcnt vmcnt(20)
	v_wmma_f32_16x16x16_bf16 v[73:80], v[41:48], v[9:16], v[73:80]
	s_cselect_b32 s16, s25, s79
	v_dual_mov_b32 v9, s60 :: v_dual_mov_b32 v16, s67
	s_ashr_i32 s17, s16, 31
	v_mov_b32_e32 v10, s61
	s_lshl_b64 s[16:17], s[16:17], 2
	v_dual_mov_b32 v11, s62 :: v_dual_mov_b32 v18, s69
	s_add_u32 s16, s35, s16
	s_addc_u32 s17, s78, s17
	s_or_b32 s20, s84, 0xe0
	v_mov_b32_e32 v12, s63
	s_ashr_i32 s22, s20, 5
	s_cmp_lt_i32 s20, s33
	v_dual_mov_b32 v13, s64 :: v_dual_mov_b32 v20, s71
	s_cselect_b32 s22, s22, s79
	v_mov_b32_e32 v14, s65
	s_ashr_i32 s23, s22, 31
	v_dual_mov_b32 v15, s66 :: v_dual_mov_b32 v22, s73
	s_lshl_b64 s[22:23], s[22:23], 2
	s_mul_hi_i32 s27, s86, s77
	s_add_u32 s22, s35, s22
	s_addc_u32 s23, s78, s23
	s_add_i32 s28, s84, 0x100
	s_waitcnt vmcnt(18)
	v_wmma_f32_16x16x16_bf16 v[81:88], v[49:56], v[9:16], v[81:88]
	s_ashr_i32 s29, s28, 5
	s_cmp_lt_i32 s28, s33
	s_waitcnt vmcnt(16)
	v_wmma_f32_16x16x16_bf16 v[73:80], v[57:64], v[9:16], v[73:80]
	s_cselect_b32 s28, s29, s79
	v_lshl_or_b32 v9, v92, 10, v91
	s_ashr_i32 s29, s28, 31
	s_mul_i32 s26, s86, s77
	s_lshl_b64 s[28:29], s[28:29], 2
	s_load_b32 s30, s[16:17], 0x0
	s_add_u32 s28, s35, s28
	s_addc_u32 s29, s78, s29
	s_add_u32 s31, s82, s2
	s_clause 0x1
	s_load_b32 s35, s[22:23], 0x0
	s_load_b32 s28, s[28:29], 0x0
	s_addc_u32 s29, s83, s3
	s_lshl_b64 s[22:23], s[26:27], 1
	v_add_co_u32 v90, s26, s31, v9
	s_delay_alu instid0(VALU_DEP_1) | instskip(SKIP_2) | instid1(VALU_DEP_2)
	v_add_co_ci_u32_e64 v143, null, s29, 0, s26
	s_lshl_b64 s[2:3], s[18:19], 1
	s_mul_i32 s20, s80, s77
	v_add_co_u32 v9, vcc_lo, v90, s2
	s_lshl_b64 s[18:19], s[20:21], 1
	s_mul_hi_i32 s25, s81, s77
	s_mul_i32 s24, s81, s77
	v_add_co_ci_u32_e32 v10, vcc_lo, s3, v143, vcc_lo
	v_add_co_u32 v11, vcc_lo, v90, s18
	s_lshl_b64 s[20:21], s[24:25], 1
	v_add_co_ci_u32_e32 v12, vcc_lo, s19, v143, vcc_lo
	v_add_co_u32 v13, vcc_lo, v90, s20
	s_mul_hi_i32 s17, s13, s77
	s_mul_i32 s16, s13, s77
	v_add_co_ci_u32_e32 v14, vcc_lo, s21, v143, vcc_lo
	v_add_co_u32 v15, vcc_lo, v90, s22
	s_lshl_b64 s[16:17], s[16:17], 1
	s_mul_hi_i32 s13, s12, s77
	s_mul_i32 s12, s12, s77
	v_add_co_ci_u32_e32 v16, vcc_lo, s23, v143, vcc_lo
	v_add_co_u32 v141, vcc_lo, v90, s16
	s_lshl_b64 s[12:13], s[12:13], 1
	s_waitcnt lgkmcnt(0)
	s_mul_hi_i32 s25, s30, s77
	s_mul_i32 s24, s30, s77
	v_add_co_ci_u32_e32 v142, vcc_lo, s17, v143, vcc_lo
	s_waitcnt vmcnt(14)
	v_wmma_f32_16x16x16_bf16 v[81:88], v[65:72], v[17:24], v[81:88]
	s_clause 0x5
	global_load_b128 v[65:68], v[9:10], off
	global_load_b128 v[69:72], v[9:10], off offset:16
	global_load_b128 v[57:60], v[11:12], off
	global_load_b128 v[61:64], v[11:12], off offset:16
	;; [unrolled: 2-line block ×3, first 2 shown]
	v_add_co_u32 v13, vcc_lo, v90, s12
	s_lshl_b64 s[24:25], s[24:25], 1
	s_waitcnt vmcnt(18)
	v_wmma_f32_16x16x16_bf16 v[73:80], v[93:100], v[17:24], v[73:80]
	v_add_co_ci_u32_e32 v14, vcc_lo, s13, v143, vcc_lo
	s_mul_hi_i32 s3, s35, s77
	s_mul_i32 s2, s35, s77
	v_add_co_u32 v93, vcc_lo, v90, s24
	s_lshl_b64 s[2:3], s[2:3], 1
	v_add_co_ci_u32_e32 v94, vcc_lo, s25, v143, vcc_lo
	s_waitcnt vmcnt(16)
	v_wmma_f32_16x16x16_bf16 v[81:88], v[109:116], v[33:40], v[81:88]
	s_mul_hi_i32 s13, s28, s77
	s_mul_i32 s12, s28, s77
	s_clause 0x5
	global_load_b128 v[41:44], v[15:16], off
	global_load_b128 v[45:48], v[15:16], off offset:16
	global_load_b128 v[17:20], v[141:142], off
	global_load_b128 v[21:24], v[141:142], off offset:16
	;; [unrolled: 2-line block ×3, first 2 shown]
	s_waitcnt vmcnt(20)
	v_wmma_f32_16x16x16_bf16 v[73:80], v[1:8], v[33:40], v[73:80]
	v_add_co_u32 v37, vcc_lo, v90, s2
	v_add_co_ci_u32_e32 v38, vcc_lo, s3, v143, vcc_lo
	s_lshl_b64 s[2:3], s[12:13], 1
	s_clause 0x1
	global_load_b128 v[1:4], v[93:94], off
	global_load_b128 v[5:8], v[93:94], off offset:16
	v_add_co_u32 v95, vcc_lo, v90, s2
	v_add_co_ci_u32_e32 v96, vcc_lo, s3, v143, vcc_lo
	v_bfe_u32 v90, v0, 4, 1
	s_waitcnt vmcnt(18)
	v_wmma_f32_16x16x16_bf16 v[73:80], v[25:32], v[133:140], v[73:80]
	s_clause 0x3
	global_load_b128 v[33:36], v[37:38], off
	global_load_b128 v[37:40], v[37:38], off offset:16
	global_load_b128 v[25:28], v[95:96], off
	global_load_b128 v[29:32], v[95:96], off offset:16
	v_mov_b32_e32 v100, s11
	v_mov_b32_e32 v98, s9
	v_mov_b32_e32 v96, s7
	v_mov_b32_e32 v94, s5
	v_wmma_f32_16x16x16_bf16 v[81:88], v[101:108], v[133:140], v[81:88]
	v_mbcnt_lo_u32_b32 v102, -1, 0
	v_mov_b32_e32 v97, s8
	v_mov_b32_e32 v95, s6
	v_mov_b32_e32 v93, s4
	s_waitcnt vmcnt(0)
	v_xor_b32_e32 v103, 16, v102
	s_barrier
	buffer_gl0_inv
	v_cmp_gt_i32_e32 vcc_lo, 32, v103
	v_dual_mov_b32 v99, s10 :: v_dual_cndmask_b32 v102, v102, v103
	s_delay_alu instid0(VALU_DEP_1) | instskip(NEXT) | instid1(VALU_DEP_1)
	v_wmma_f32_16x16x16_bf16 v[81:88], v[117:124], v[93:100], v[81:88]
	v_mul_f32_e32 v110, s76, v88
	s_delay_alu instid0(VALU_DEP_2) | instskip(NEXT) | instid1(VALU_DEP_3)
	v_mul_f32_e32 v112, s76, v86
	v_mul_f32_e32 v114, s76, v84
	v_wmma_f32_16x16x16_bf16 v[73:80], v[125:132], v[93:100], v[73:80]
	v_and_b32_e32 v101, 0xe0, v0
	v_mul_f32_e32 v113, s76, v81
	v_mul_f32_e32 v115, s76, v82
	;; [unrolled: 1-line block ×3, first 2 shown]
	s_delay_alu instid0(VALU_DEP_4) | instskip(NEXT) | instid1(VALU_DEP_1)
	v_add_nc_u32_e32 v101, s84, v101
	v_or_b32_e32 v101, v101, v90
	s_delay_alu instid0(VALU_DEP_1)
	v_or_b32_e32 v103, 2, v101
	v_or_b32_e32 v104, 4, v101
	;; [unrolled: 1-line block ×3, first 2 shown]
	v_cmp_gt_i32_e32 vcc_lo, s33, v101
	v_or_b32_e32 v106, 8, v101
	v_cmp_gt_i32_e64 s2, s33, v103
	v_or_b32_e32 v107, 10, v101
	v_or_b32_e32 v93, 12, v101
	;; [unrolled: 1-line block ×11, first 2 shown]
	v_mul_f32_e32 v101, s76, v83
	v_cndmask_b32_e32 v113, 0xff7fffff, v113, vcc_lo
	v_cndmask_b32_e64 v103, 0xff7fffff, v115, s2
	v_cmp_gt_i32_e64 s3, s33, v104
	v_cmp_gt_i32_e64 s4, s33, v105
	v_mul_f32_e32 v105, s76, v85
	v_cmp_gt_i32_e64 s5, s33, v107
	v_max3_f32 v103, v113, 0xff7fffff, v103
	v_cndmask_b32_e64 v101, 0xff7fffff, v101, s3
	v_cndmask_b32_e64 v104, 0xff7fffff, v114, s4
	v_cmp_gt_i32_e64 s6, s33, v106
	v_cndmask_b32_e64 v112, 0xff7fffff, v112, s5
	v_cmp_gt_i32_e64 s7, s33, v93
	v_cmp_gt_i32_e64 s8, s33, v94
	v_max3_f32 v101, v103, v101, v104
	v_cndmask_b32_e64 v105, 0xff7fffff, v105, s6
	v_dual_mul_f32 v106, s76, v74 :: v_dual_mul_f32 v93, s76, v73
	v_cndmask_b32_e64 v111, 0xff7fffff, v111, s7
	v_cndmask_b32_e64 v94, 0xff7fffff, v110, s8
	s_delay_alu instid0(VALU_DEP_4) | instskip(SKIP_3) | instid1(VALU_DEP_4)
	v_max3_f32 v101, v101, v105, v112
	v_cmp_gt_i32_e64 s9, s33, v95
	v_cmp_gt_i32_e64 s10, s33, v96
	v_dual_mul_f32 v104, s76, v76 :: v_dual_mul_f32 v107, s76, v75
	v_max3_f32 v94, v101, v111, v94
	s_delay_alu instid0(VALU_DEP_4) | instskip(NEXT) | instid1(VALU_DEP_4)
	v_cndmask_b32_e64 v93, 0xff7fffff, v93, s9
	v_cndmask_b32_e64 v95, 0xff7fffff, v106, s10
	v_cmp_gt_i32_e64 s11, s33, v97
	v_cmp_gt_i32_e64 s12, s33, v98
	v_mul_f32_e32 v115, s76, v78
	v_mul_f32_e32 v103, s76, v77
	v_max3_f32 v93, v94, v93, v95
	v_cndmask_b32_e64 v96, 0xff7fffff, v107, s11
	v_cndmask_b32_e64 v97, 0xff7fffff, v104, s12
	v_cmp_gt_i32_e64 s13, s33, v99
	v_cmp_gt_i32_e64 s16, s33, v100
	v_dual_mul_f32 v113, s76, v80 :: v_dual_mul_f32 v114, s76, v79
	s_delay_alu instid0(VALU_DEP_4) | instskip(NEXT) | instid1(VALU_DEP_4)
	v_max3_f32 v93, v93, v96, v97
	v_cndmask_b32_e64 v94, 0xff7fffff, v103, s13
	s_delay_alu instid0(VALU_DEP_4) | instskip(SKIP_3) | instid1(VALU_DEP_4)
	v_cndmask_b32_e64 v95, 0xff7fffff, v115, s16
	v_cmp_gt_i32_e64 s17, s33, v108
	v_cmp_gt_i32_e64 s18, s33, v109
	v_lshlrev_b32_e32 v98, 2, v102
	v_max3_f32 v93, v93, v94, v95
	s_delay_alu instid0(VALU_DEP_4) | instskip(NEXT) | instid1(VALU_DEP_4)
	v_cndmask_b32_e64 v96, 0xff7fffff, v114, s17
	v_cndmask_b32_e64 v97, 0xff7fffff, v113, s18
	s_delay_alu instid0(VALU_DEP_1) | instskip(SKIP_3) | instid1(VALU_DEP_1)
	v_max3_f32 v93, v93, v96, v97
	ds_bpermute_b32 v94, v98, v93
	s_waitcnt lgkmcnt(0)
	v_max_f32_e32 v94, v94, v94
	v_max_f32_e32 v96, v93, v94
	s_delay_alu instid0(VALU_DEP_1) | instskip(SKIP_4) | instid1(VALU_DEP_4)
	v_fma_f32 v81, s76, v81, -v96
	v_fma_f32 v82, s76, v82, -v96
	;; [unrolled: 1-line block ×5, first 2 shown]
	v_dual_mul_f32 v81, 0x3fb8aa3b, v81 :: v_dual_mul_f32 v82, 0x3fb8aa3b, v82
	s_delay_alu instid0(VALU_DEP_3) | instskip(SKIP_1) | instid1(VALU_DEP_3)
	v_dual_mul_f32 v78, 0x3fb8aa3b, v78 :: v_dual_mul_f32 v83, 0x3fb8aa3b, v83
	v_fma_f32 v93, s76, v85, -v96
	v_exp_f32_e32 v81, v81
	s_delay_alu instid0(VALU_DEP_3)
	v_exp_f32_e32 v82, v82
	v_mul_f32_e32 v84, 0x3fb8aa3b, v84
	v_exp_f32_e32 v83, v83
	v_fma_f32 v87, s76, v87, -v96
	v_fma_f32 v73, s76, v73, -v96
	;; [unrolled: 1-line block ×5, first 2 shown]
	v_mul_f32_e32 v87, 0x3fb8aa3b, v87
	v_cndmask_b32_e32 v85, 0, v81, vcc_lo
	v_fma_f32 v81, s76, v86, -v96
	v_mul_f32_e32 v86, 0x3fb8aa3b, v93
	v_exp_f32_e32 v93, v84
	v_cndmask_b32_e64 v84, 0, v82, s2
	v_add_f32_e32 v82, 0, v85
	v_mul_f32_e32 v81, 0x3fb8aa3b, v81
	v_exp_f32_e32 v94, v86
	v_cndmask_b32_e64 v86, 0, v83, s3
	v_fma_f32 v83, s76, v88, -v96
	v_add_f32_e32 v82, v82, v84
	v_exp_f32_e32 v81, v81
	v_exp_f32_e32 v87, v87
	v_cndmask_b32_e64 v88, 0, v93, s4
	s_delay_alu instid0(VALU_DEP_2) | instskip(SKIP_1) | instid1(TRANS32_DEP_3)
	v_dual_mul_f32 v83, 0x3fb8aa3b, v83 :: v_dual_add_f32 v82, v82, v86
	v_mul_f32_e32 v73, 0x3fb8aa3b, v73
	v_cndmask_b32_e64 v93, 0, v94, s6
	v_mul_f32_e32 v74, 0x3fb8aa3b, v74
	s_delay_alu instid0(VALU_DEP_4) | instskip(SKIP_1) | instid1(TRANS32_DEP_3)
	v_exp_f32_e32 v83, v83
	v_add_f32_e32 v82, v82, v88
	v_cndmask_b32_e64 v94, 0, v81, s5
	v_exp_f32_e32 v73, v73
	v_cndmask_b32_e64 v87, 0, v87, s7
	v_mul_f32_e32 v75, 0x3fb8aa3b, v75
	v_add_f32_e32 v81, v82, v93
	v_exp_f32_e32 v74, v74
	v_fma_f32 v77, s76, v77, -v96
	v_mul_f32_e32 v76, 0x3fb8aa3b, v76
	v_cndmask_b32_e64 v95, 0, v83, s8
	v_add_f32_e32 v81, v81, v94
	v_exp_f32_e32 v82, v75
	v_cndmask_b32_e64 v75, 0, v73, s9
	v_mul_f32_e32 v77, 0x3fb8aa3b, v77
	v_fma_f32 v80, s76, v80, -v96
	v_add_f32_e32 v81, v81, v87
	v_and_b32_e32 v83, 31, v0
	s_mov_b32 s3, exec_lo
	s_delay_alu instid0(VALU_DEP_2)
	v_add_f32_e32 v73, v81, v95
	v_exp_f32_e32 v81, v76
	v_cndmask_b32_e64 v76, 0, v74, s10
	v_fma_f32 v74, s76, v79, -v96
	v_exp_f32_e32 v79, v77
	v_add_f32_e32 v73, v73, v75
	v_cndmask_b32_e64 v77, 0, v82, s11
	v_exp_f32_e32 v82, v78
	v_mul_f32_e32 v74, 0x3fb8aa3b, v74
	v_cmp_lt_u32_e64 s2, 15, v83
	v_add_f32_e32 v73, v73, v76
	v_cndmask_b32_e64 v78, 0, v81, s12
	v_mul_f32_e32 v81, 0x3fb8aa3b, v80
	v_exp_f32_e32 v74, v74
	v_cndmask_b32_e64 v79, 0, v79, s13
	v_add_f32_e32 v73, v73, v77
	s_delay_alu instid0(TRANS32_DEP_2) | instskip(SKIP_1) | instid1(VALU_DEP_2)
	v_cndmask_b32_e64 v80, 0, v82, s16
	v_exp_f32_e32 v82, v81
	v_add_f32_e32 v73, v73, v78
	s_waitcnt_depctr 0xfff
	v_cndmask_b32_e64 v81, 0, v74, s17
	v_add_f32_e32 v73, v73, v79
	v_cndmask_b32_e64 v82, 0, v82, s18
	s_delay_alu instid0(VALU_DEP_2) | instskip(NEXT) | instid1(VALU_DEP_1)
	v_add_f32_e32 v73, v73, v80
	v_add_f32_e32 v73, v73, v81
	s_delay_alu instid0(VALU_DEP_1)
	v_add_f32_e32 v73, v73, v82
	ds_bpermute_b32 v74, v98, v73
	v_cmpx_gt_u32_e32 16, v83
	s_cbranch_execz .LBB726_11
; %bb.10:
	v_mul_u32_u24_e32 v83, 0x44, v92
	s_delay_alu instid0(VALU_DEP_1) | instskip(SKIP_1) | instid1(VALU_DEP_1)
	v_lshl_add_u32 v83, v89, 2, v83
	s_waitcnt lgkmcnt(0)
	v_dual_add_f32 v73, v73, v74 :: v_dual_add_nc_u32 v74, 0x4000, v83
	ds_store_2addr_b32 v74, v96, v73 offset1:136
.LBB726_11:
	s_or_b32 exec_lo, exec_lo, s3
	v_lshlrev_b32_e32 v73, 2, v89
	s_waitcnt lgkmcnt(0)
	s_barrier
	buffer_gl0_inv
	v_cmp_eq_u32_e64 s3, 1, v92
	v_add_nc_u32_e32 v83, 0x4000, v73
	ds_load_2addr_b32 v[96:97], v83 offset1:17
	ds_load_2addr_b32 v[98:99], v83 offset0:34 offset1:51
	ds_load_2addr_b32 v[100:101], v83 offset0:68 offset1:85
	;; [unrolled: 1-line block ×4, first 2 shown]
	s_waitcnt lgkmcnt(4)
	v_max3_f32 v73, v96, 0xff7fffff, v97
	s_waitcnt lgkmcnt(3)
	s_delay_alu instid0(VALU_DEP_1) | instskip(SKIP_1) | instid1(VALU_DEP_1)
	v_max3_f32 v73, v73, v98, v99
	s_waitcnt lgkmcnt(2)
	v_max3_f32 v73, v73, v100, v101
	s_waitcnt lgkmcnt(1)
	s_delay_alu instid0(VALU_DEP_1) | instskip(NEXT) | instid1(VALU_DEP_1)
	v_max3_f32 v73, v73, v102, v103
	v_sub_f32_e32 v74, v96, v73
	v_sub_f32_e32 v98, v98, v73
	;; [unrolled: 1-line block ×3, first 2 shown]
	s_delay_alu instid0(VALU_DEP_3) | instskip(NEXT) | instid1(VALU_DEP_3)
	v_mul_f32_e32 v74, 0x3fb8aa3b, v74
	v_mul_f32_e32 v108, 0x3fb8aa3b, v98
	s_delay_alu instid0(VALU_DEP_3) | instskip(NEXT) | instid1(VALU_DEP_3)
	v_mul_f32_e32 v110, 0x3fb8aa3b, v100
	v_exp_f32_e32 v107, v74
	v_sub_f32_e32 v74, v99, v73
	v_sub_f32_e32 v106, v97, v73
	ds_load_2addr_b32 v[96:97], v83 offset0:170 offset1:187
	v_exp_f32_e32 v108, v108
	v_mul_f32_e32 v109, 0x3fb8aa3b, v74
	v_mul_f32_e32 v106, 0x3fb8aa3b, v106
	s_waitcnt lgkmcnt(1)
	v_fma_f32 v74, v107, v104, 0
	v_sub_f32_e32 v104, v101, v73
	s_delay_alu instid0(VALU_DEP_3) | instskip(SKIP_4) | instid1(VALU_DEP_1)
	v_exp_f32_e32 v106, v106
	v_exp_f32_e32 v109, v109
	s_waitcnt_depctr 0xfff
	v_fmac_f32_e32 v74, v106, v105
	s_waitcnt lgkmcnt(0)
	v_fmac_f32_e32 v74, v108, v96
	ds_load_2addr_b32 v[98:99], v83 offset0:204 offset1:221
	ds_load_2addr_b32 v[100:101], v83 offset0:238 offset1:255
	v_dual_sub_f32 v83, v102, v73 :: v_dual_mul_f32 v102, 0x3fb8aa3b, v104
	v_exp_f32_e32 v104, v110
	v_sub_f32_e32 v96, v103, v73
	s_delay_alu instid0(VALU_DEP_2) | instskip(NEXT) | instid1(VALU_DEP_3)
	v_dual_fmac_f32 v74, v109, v97 :: v_dual_mul_f32 v83, 0x3fb8aa3b, v83
	v_exp_f32_e32 v102, v102
	s_waitcnt lgkmcnt(0)
	s_delay_alu instid0(VALU_DEP_2)
	v_mul_f32_e32 v96, 0x3fb8aa3b, v96
	s_barrier
	v_exp_f32_e32 v83, v83
	buffer_gl0_inv
	v_exp_f32_e32 v96, v96
	v_fmac_f32_e32 v74, v104, v98
	s_delay_alu instid0(VALU_DEP_1) | instskip(NEXT) | instid1(VALU_DEP_1)
	v_fmac_f32_e32 v74, v102, v99
	v_fmac_f32_e32 v74, v83, v100
	s_waitcnt_depctr 0xfff
	v_fmac_f32_e32 v74, v96, v101
	s_delay_alu instid0(VALU_DEP_1) | instskip(NEXT) | instid1(VALU_DEP_1)
	v_add_f32_e32 v97, 0x358637bd, v74
	v_div_scale_f32 v98, null, v97, v97, 1.0
	v_div_scale_f32 v101, vcc_lo, 1.0, v97, 1.0
	s_delay_alu instid0(VALU_DEP_2) | instskip(SKIP_2) | instid1(VALU_DEP_1)
	v_rcp_f32_e32 v99, v98
	s_waitcnt_depctr 0xfff
	v_fma_f32 v100, -v98, v99, 1.0
	v_fmac_f32_e32 v99, v100, v99
	v_cndmask_b32_e64 v100, v107, v106, s3
	v_cmp_eq_u32_e64 s3, 2, v92
	s_delay_alu instid0(VALU_DEP_3) | instskip(NEXT) | instid1(VALU_DEP_2)
	v_mul_f32_e32 v103, v101, v99
	v_cndmask_b32_e64 v100, v100, v108, s3
	v_cmp_eq_u32_e64 s3, 3, v92
	s_delay_alu instid0(VALU_DEP_3) | instskip(NEXT) | instid1(VALU_DEP_2)
	v_fma_f32 v105, -v98, v103, v101
	v_cndmask_b32_e64 v100, v100, v109, s3
	v_cmp_eq_u32_e64 s3, 4, v92
	s_delay_alu instid0(VALU_DEP_3) | instskip(NEXT) | instid1(VALU_DEP_2)
	v_fmac_f32_e32 v103, v105, v99
	v_cndmask_b32_e64 v100, v100, v104, s3
	s_delay_alu instid0(VALU_DEP_2) | instskip(SKIP_1) | instid1(VALU_DEP_2)
	v_fma_f32 v98, -v98, v103, v101
	v_cmp_eq_u32_e64 s3, 5, v92
	v_div_fmas_f32 v98, v98, v99, v103
	s_delay_alu instid0(VALU_DEP_2) | instskip(SKIP_2) | instid1(VALU_DEP_3)
	v_cndmask_b32_e64 v100, v100, v102, s3
	v_cmp_eq_u32_e32 vcc_lo, 6, v92
	s_mov_b32 s3, exec_lo
	v_div_fixup_f32 v97, v98, v97, 1.0
	s_delay_alu instid0(VALU_DEP_3) | instskip(SKIP_1) | instid1(VALU_DEP_2)
	v_cndmask_b32_e32 v83, v100, v83, vcc_lo
	v_cmp_eq_u32_e32 vcc_lo, 7, v92
	v_cndmask_b32_e32 v83, v83, v96, vcc_lo
	s_delay_alu instid0(VALU_DEP_1) | instskip(NEXT) | instid1(VALU_DEP_1)
	v_mul_f32_e32 v83, v83, v97
	v_mul_f32_e32 v97, v83, v85
	;; [unrolled: 1-line block ×6, first 2 shown]
	v_dual_mul_f32 v93, v83, v86 :: v_dual_and_b32 v98, 0x7f800000, v97
	v_mul_f32_e32 v96, v83, v88
	v_mul_f32_e32 v88, v83, v84
                                        ; implicit-def: $vgpr84
	s_delay_alu instid0(VALU_DEP_3)
	v_cmpx_ne_u32_e32 0x7f800000, v98
	s_xor_b32 s3, exec_lo, s3
; %bb.12:
	v_bfe_u32 v84, v97, 16, 1
	s_delay_alu instid0(VALU_DEP_1)
	v_add3_u32 v84, v97, v84, 0x7fff
                                        ; implicit-def: $vgpr97
; %bb.13:
	s_and_not1_saveexec_b32 s3, s3
; %bb.14:
	v_and_b32_e32 v84, 0xffff, v97
	v_or_b32_e32 v86, 0x10000, v97
	s_delay_alu instid0(VALU_DEP_2) | instskip(NEXT) | instid1(VALU_DEP_2)
	v_cmp_eq_u32_e32 vcc_lo, 0, v84
	v_cndmask_b32_e32 v84, v86, v97, vcc_lo
; %bb.15:
	s_or_b32 exec_lo, exec_lo, s3
	v_and_b32_e32 v86, 0x7f800000, v88
	s_delay_alu instid0(VALU_DEP_1) | instskip(SKIP_1) | instid1(SALU_CYCLE_1)
	v_cmp_ne_u32_e32 vcc_lo, 0x7f800000, v86
                                        ; implicit-def: $vgpr86
	s_and_saveexec_b32 s3, vcc_lo
	s_xor_b32 s3, exec_lo, s3
; %bb.16:
	v_bfe_u32 v86, v88, 16, 1
	s_delay_alu instid0(VALU_DEP_1)
	v_add3_u32 v86, v88, v86, 0x7fff
                                        ; implicit-def: $vgpr88
; %bb.17:
	s_and_not1_saveexec_b32 s3, s3
; %bb.18:
	v_and_b32_e32 v86, 0xffff, v88
	v_or_b32_e32 v97, 0x10000, v88
	s_delay_alu instid0(VALU_DEP_2) | instskip(NEXT) | instid1(VALU_DEP_2)
	v_cmp_eq_u32_e32 vcc_lo, 0, v86
	v_cndmask_b32_e32 v86, v97, v88, vcc_lo
; %bb.19:
	s_or_b32 exec_lo, exec_lo, s3
	v_and_b32_e32 v88, 0x7f800000, v93
	s_delay_alu instid0(VALU_DEP_1) | instskip(SKIP_1) | instid1(SALU_CYCLE_1)
	v_cmp_ne_u32_e32 vcc_lo, 0x7f800000, v88
                                        ; implicit-def: $vgpr88
	s_and_saveexec_b32 s3, vcc_lo
	s_xor_b32 s3, exec_lo, s3
; %bb.20:
	v_bfe_u32 v88, v93, 16, 1
	s_delay_alu instid0(VALU_DEP_1)
	v_add3_u32 v88, v93, v88, 0x7fff
                                        ; implicit-def: $vgpr93
; %bb.21:
	s_and_not1_saveexec_b32 s3, s3
; %bb.22:
	v_and_b32_e32 v88, 0xffff, v93
	v_or_b32_e32 v97, 0x10000, v93
	s_delay_alu instid0(VALU_DEP_2) | instskip(NEXT) | instid1(VALU_DEP_2)
	v_cmp_eq_u32_e32 vcc_lo, 0, v88
	v_cndmask_b32_e32 v88, v97, v93, vcc_lo
; %bb.23:
	s_or_b32 exec_lo, exec_lo, s3
	v_and_b32_e32 v93, 0x7f800000, v96
	s_delay_alu instid0(VALU_DEP_1) | instskip(SKIP_1) | instid1(SALU_CYCLE_1)
	v_cmp_ne_u32_e32 vcc_lo, 0x7f800000, v93
                                        ; implicit-def: $vgpr93
	s_and_saveexec_b32 s3, vcc_lo
	s_xor_b32 s3, exec_lo, s3
; %bb.24:
	v_bfe_u32 v93, v96, 16, 1
	s_delay_alu instid0(VALU_DEP_1)
	v_add3_u32 v93, v96, v93, 0x7fff
                                        ; implicit-def: $vgpr96
; %bb.25:
	s_and_not1_saveexec_b32 s3, s3
; %bb.26:
	v_and_b32_e32 v93, 0xffff, v96
	v_or_b32_e32 v97, 0x10000, v96
	s_delay_alu instid0(VALU_DEP_2) | instskip(NEXT) | instid1(VALU_DEP_2)
	v_cmp_eq_u32_e32 vcc_lo, 0, v93
	v_cndmask_b32_e32 v93, v97, v96, vcc_lo
; %bb.27:
	s_or_b32 exec_lo, exec_lo, s3
	v_and_b32_e32 v96, 0x7f800000, v95
	s_delay_alu instid0(VALU_DEP_1) | instskip(SKIP_1) | instid1(SALU_CYCLE_1)
	v_cmp_ne_u32_e32 vcc_lo, 0x7f800000, v96
                                        ; implicit-def: $vgpr96
	s_and_saveexec_b32 s3, vcc_lo
	s_xor_b32 s3, exec_lo, s3
; %bb.28:
	v_bfe_u32 v96, v95, 16, 1
	s_delay_alu instid0(VALU_DEP_1)
	v_add3_u32 v96, v95, v96, 0x7fff
                                        ; implicit-def: $vgpr95
; %bb.29:
	s_and_not1_saveexec_b32 s3, s3
; %bb.30:
	v_and_b32_e32 v96, 0xffff, v95
	v_or_b32_e32 v97, 0x10000, v95
	s_delay_alu instid0(VALU_DEP_2) | instskip(NEXT) | instid1(VALU_DEP_2)
	v_cmp_eq_u32_e32 vcc_lo, 0, v96
	v_cndmask_b32_e32 v96, v97, v95, vcc_lo
; %bb.31:
	s_or_b32 exec_lo, exec_lo, s3
	v_and_b32_e32 v95, 0x7f800000, v94
	s_delay_alu instid0(VALU_DEP_1) | instskip(SKIP_1) | instid1(SALU_CYCLE_1)
	v_cmp_ne_u32_e32 vcc_lo, 0x7f800000, v95
                                        ; implicit-def: $vgpr95
	s_and_saveexec_b32 s3, vcc_lo
	s_xor_b32 s3, exec_lo, s3
; %bb.32:
	v_bfe_u32 v95, v94, 16, 1
	s_delay_alu instid0(VALU_DEP_1)
	v_add3_u32 v95, v94, v95, 0x7fff
                                        ; implicit-def: $vgpr94
; %bb.33:
	s_and_not1_saveexec_b32 s3, s3
; %bb.34:
	v_and_b32_e32 v95, 0xffff, v94
	v_or_b32_e32 v97, 0x10000, v94
	s_delay_alu instid0(VALU_DEP_2) | instskip(NEXT) | instid1(VALU_DEP_2)
	v_cmp_eq_u32_e32 vcc_lo, 0, v95
	v_cndmask_b32_e32 v95, v97, v94, vcc_lo
; %bb.35:
	s_or_b32 exec_lo, exec_lo, s3
	v_and_b32_e32 v94, 0x7f800000, v87
	s_delay_alu instid0(VALU_DEP_1) | instskip(SKIP_1) | instid1(SALU_CYCLE_1)
	v_cmp_ne_u32_e32 vcc_lo, 0x7f800000, v94
                                        ; implicit-def: $vgpr94
	s_and_saveexec_b32 s3, vcc_lo
	s_xor_b32 s3, exec_lo, s3
; %bb.36:
	v_bfe_u32 v94, v87, 16, 1
	s_delay_alu instid0(VALU_DEP_1)
	v_add3_u32 v94, v87, v94, 0x7fff
                                        ; implicit-def: $vgpr87
; %bb.37:
	s_and_not1_saveexec_b32 s3, s3
; %bb.38:
	v_and_b32_e32 v94, 0xffff, v87
	v_or_b32_e32 v97, 0x10000, v87
	s_delay_alu instid0(VALU_DEP_2) | instskip(NEXT) | instid1(VALU_DEP_2)
	v_cmp_eq_u32_e32 vcc_lo, 0, v94
	v_cndmask_b32_e32 v94, v97, v87, vcc_lo
; %bb.39:
	s_or_b32 exec_lo, exec_lo, s3
	v_and_b32_e32 v87, 0x7f800000, v85
	s_delay_alu instid0(VALU_DEP_1) | instskip(SKIP_1) | instid1(SALU_CYCLE_1)
	v_cmp_ne_u32_e32 vcc_lo, 0x7f800000, v87
                                        ; implicit-def: $vgpr87
	s_and_saveexec_b32 s3, vcc_lo
	s_xor_b32 s3, exec_lo, s3
; %bb.40:
	v_bfe_u32 v87, v85, 16, 1
	s_delay_alu instid0(VALU_DEP_1)
	v_add3_u32 v87, v85, v87, 0x7fff
                                        ; implicit-def: $vgpr85
; %bb.41:
	s_and_not1_saveexec_b32 s3, s3
; %bb.42:
	v_and_b32_e32 v87, 0xffff, v85
	v_or_b32_e32 v97, 0x10000, v85
	s_delay_alu instid0(VALU_DEP_2) | instskip(NEXT) | instid1(VALU_DEP_2)
	v_cmp_eq_u32_e32 vcc_lo, 0, v87
	v_cndmask_b32_e32 v87, v97, v85, vcc_lo
; %bb.43:
	s_or_b32 exec_lo, exec_lo, s3
	s_load_b64 s[36:37], s[0:1], 0x94
	v_lshlrev_b32_e32 v85, 4, v90
	s_delay_alu instid0(VALU_DEP_2)
	v_perm_b32 v97, v87, v94, 0x7060302
	v_dual_mul_f32 v82, v83, v82 :: v_dual_lshlrev_b32 v87, 11, v92
	v_perm_b32 v94, v86, v84, 0x7060302
	v_mul_f32_e32 v86, v83, v75
	v_perm_b32 v96, v95, v96, 0x7060302
	v_perm_b32 v95, v93, v88, 0x7060302
	v_or3_b32 v75, v85, v87, v91
	v_mul_f32_e32 v81, v83, v81
	v_dual_mul_f32 v80, v83, v80 :: v_dual_and_b32 v87, 0x7f800000, v86
	v_mul_f32_e32 v79, v83, v79
	v_mul_f32_e32 v84, v83, v78
	;; [unrolled: 1-line block ×4, first 2 shown]
	s_mov_b32 s3, exec_lo
	ds_store_b128 v75, v[94:97]
                                        ; implicit-def: $vgpr76
	v_cmpx_ne_u32_e32 0x7f800000, v87
	s_xor_b32 s3, exec_lo, s3
; %bb.44:
	v_bfe_u32 v76, v86, 16, 1
	s_delay_alu instid0(VALU_DEP_1)
	v_add3_u32 v76, v86, v76, 0x7fff
                                        ; implicit-def: $vgpr86
; %bb.45:
	s_and_not1_saveexec_b32 s3, s3
; %bb.46:
	v_and_b32_e32 v76, 0xffff, v86
	v_or_b32_e32 v77, 0x10000, v86
	s_delay_alu instid0(VALU_DEP_2) | instskip(NEXT) | instid1(VALU_DEP_2)
	v_cmp_eq_u32_e32 vcc_lo, 0, v76
	v_cndmask_b32_e32 v76, v77, v86, vcc_lo
; %bb.47:
	s_or_b32 exec_lo, exec_lo, s3
	v_and_b32_e32 v77, 0x7f800000, v78
	s_delay_alu instid0(VALU_DEP_1) | instskip(SKIP_1) | instid1(SALU_CYCLE_1)
	v_cmp_ne_u32_e32 vcc_lo, 0x7f800000, v77
                                        ; implicit-def: $vgpr77
	s_and_saveexec_b32 s3, vcc_lo
	s_xor_b32 s3, exec_lo, s3
; %bb.48:
	v_bfe_u32 v77, v78, 16, 1
	s_delay_alu instid0(VALU_DEP_1)
	v_add3_u32 v77, v78, v77, 0x7fff
                                        ; implicit-def: $vgpr78
; %bb.49:
	s_and_not1_saveexec_b32 s3, s3
; %bb.50:
	v_and_b32_e32 v77, 0xffff, v78
	v_or_b32_e32 v83, 0x10000, v78
	s_delay_alu instid0(VALU_DEP_2) | instskip(NEXT) | instid1(VALU_DEP_2)
	v_cmp_eq_u32_e32 vcc_lo, 0, v77
	v_cndmask_b32_e32 v77, v83, v78, vcc_lo
; %bb.51:
	s_or_b32 exec_lo, exec_lo, s3
	v_and_b32_e32 v78, 0x7f800000, v85
	s_delay_alu instid0(VALU_DEP_1) | instskip(SKIP_1) | instid1(SALU_CYCLE_1)
	v_cmp_ne_u32_e32 vcc_lo, 0x7f800000, v78
                                        ; implicit-def: $vgpr78
	s_and_saveexec_b32 s3, vcc_lo
	s_xor_b32 s3, exec_lo, s3
; %bb.52:
	v_bfe_u32 v78, v85, 16, 1
	s_delay_alu instid0(VALU_DEP_1)
	v_add3_u32 v78, v85, v78, 0x7fff
                                        ; implicit-def: $vgpr85
; %bb.53:
	s_and_not1_saveexec_b32 s3, s3
; %bb.54:
	v_and_b32_e32 v78, 0xffff, v85
	v_or_b32_e32 v83, 0x10000, v85
	s_delay_alu instid0(VALU_DEP_2) | instskip(NEXT) | instid1(VALU_DEP_2)
	v_cmp_eq_u32_e32 vcc_lo, 0, v78
	v_cndmask_b32_e32 v78, v83, v85, vcc_lo
; %bb.55:
	s_or_b32 exec_lo, exec_lo, s3
	v_and_b32_e32 v83, 0x7f800000, v84
	s_delay_alu instid0(VALU_DEP_1) | instskip(SKIP_1) | instid1(SALU_CYCLE_1)
	v_cmp_ne_u32_e32 vcc_lo, 0x7f800000, v83
                                        ; implicit-def: $vgpr83
	s_and_saveexec_b32 s3, vcc_lo
	s_xor_b32 s3, exec_lo, s3
; %bb.56:
	v_bfe_u32 v83, v84, 16, 1
	s_delay_alu instid0(VALU_DEP_1)
	v_add3_u32 v83, v84, v83, 0x7fff
                                        ; implicit-def: $vgpr84
; %bb.57:
	s_and_not1_saveexec_b32 s3, s3
; %bb.58:
	v_and_b32_e32 v83, 0xffff, v84
	v_or_b32_e32 v85, 0x10000, v84
	s_delay_alu instid0(VALU_DEP_2) | instskip(NEXT) | instid1(VALU_DEP_2)
	v_cmp_eq_u32_e32 vcc_lo, 0, v83
	v_cndmask_b32_e32 v83, v85, v84, vcc_lo
; %bb.59:
	s_or_b32 exec_lo, exec_lo, s3
	v_and_b32_e32 v84, 0x7f800000, v79
	s_delay_alu instid0(VALU_DEP_1) | instskip(SKIP_1) | instid1(SALU_CYCLE_1)
	v_cmp_ne_u32_e32 vcc_lo, 0x7f800000, v84
                                        ; implicit-def: $vgpr84
	s_and_saveexec_b32 s3, vcc_lo
	s_xor_b32 s3, exec_lo, s3
; %bb.60:
	v_bfe_u32 v84, v79, 16, 1
	s_delay_alu instid0(VALU_DEP_1)
	v_add3_u32 v84, v79, v84, 0x7fff
                                        ; implicit-def: $vgpr79
; %bb.61:
	s_and_not1_saveexec_b32 s3, s3
; %bb.62:
	v_and_b32_e32 v84, 0xffff, v79
	v_or_b32_e32 v85, 0x10000, v79
	s_delay_alu instid0(VALU_DEP_2) | instskip(NEXT) | instid1(VALU_DEP_2)
	v_cmp_eq_u32_e32 vcc_lo, 0, v84
	v_cndmask_b32_e32 v84, v85, v79, vcc_lo
; %bb.63:
	s_or_b32 exec_lo, exec_lo, s3
	v_and_b32_e32 v79, 0x7f800000, v80
	s_delay_alu instid0(VALU_DEP_1) | instskip(SKIP_1) | instid1(SALU_CYCLE_1)
	v_cmp_ne_u32_e32 vcc_lo, 0x7f800000, v79
                                        ; implicit-def: $vgpr79
	s_and_saveexec_b32 s3, vcc_lo
	s_xor_b32 s3, exec_lo, s3
; %bb.64:
	v_bfe_u32 v79, v80, 16, 1
	s_delay_alu instid0(VALU_DEP_1)
	v_add3_u32 v79, v80, v79, 0x7fff
                                        ; implicit-def: $vgpr80
; %bb.65:
	s_and_not1_saveexec_b32 s3, s3
; %bb.66:
	v_and_b32_e32 v79, 0xffff, v80
	v_or_b32_e32 v85, 0x10000, v80
	s_delay_alu instid0(VALU_DEP_2) | instskip(NEXT) | instid1(VALU_DEP_2)
	v_cmp_eq_u32_e32 vcc_lo, 0, v79
	v_cndmask_b32_e32 v79, v85, v80, vcc_lo
; %bb.67:
	s_or_b32 exec_lo, exec_lo, s3
	v_and_b32_e32 v80, 0x7f800000, v81
	s_delay_alu instid0(VALU_DEP_1) | instskip(SKIP_1) | instid1(SALU_CYCLE_1)
	v_cmp_ne_u32_e32 vcc_lo, 0x7f800000, v80
                                        ; implicit-def: $vgpr80
	s_and_saveexec_b32 s3, vcc_lo
	s_xor_b32 s3, exec_lo, s3
; %bb.68:
	v_bfe_u32 v80, v81, 16, 1
	s_delay_alu instid0(VALU_DEP_1)
	v_add3_u32 v80, v81, v80, 0x7fff
                                        ; implicit-def: $vgpr81
; %bb.69:
	s_and_not1_saveexec_b32 s3, s3
; %bb.70:
	v_and_b32_e32 v80, 0xffff, v81
	v_or_b32_e32 v85, 0x10000, v81
	s_delay_alu instid0(VALU_DEP_2) | instskip(NEXT) | instid1(VALU_DEP_2)
	v_cmp_eq_u32_e32 vcc_lo, 0, v80
	v_cndmask_b32_e32 v80, v85, v81, vcc_lo
; %bb.71:
	s_or_b32 exec_lo, exec_lo, s3
	v_and_b32_e32 v81, 0x7f800000, v82
	s_delay_alu instid0(VALU_DEP_1) | instskip(SKIP_1) | instid1(SALU_CYCLE_1)
	v_cmp_ne_u32_e32 vcc_lo, 0x7f800000, v81
                                        ; implicit-def: $vgpr81
	s_and_saveexec_b32 s3, vcc_lo
	s_xor_b32 s3, exec_lo, s3
; %bb.72:
	v_bfe_u32 v81, v82, 16, 1
	s_delay_alu instid0(VALU_DEP_1)
	v_add3_u32 v81, v82, v81, 0x7fff
                                        ; implicit-def: $vgpr82
; %bb.73:
	s_and_not1_saveexec_b32 s3, s3
; %bb.74:
	v_and_b32_e32 v81, 0xffff, v82
	v_or_b32_e32 v85, 0x10000, v82
	s_delay_alu instid0(VALU_DEP_2) | instskip(NEXT) | instid1(VALU_DEP_2)
	v_cmp_eq_u32_e32 vcc_lo, 0, v81
	v_cndmask_b32_e32 v81, v85, v82, vcc_lo
; %bb.75:
	s_or_b32 exec_lo, exec_lo, s3
	s_delay_alu instid0(VALU_DEP_1)
	v_perm_b32 v80, v81, v80, 0x7060302
	v_perm_b32 v79, v79, v84, 0x7060302
	;; [unrolled: 1-line block ×4, first 2 shown]
	v_lshl_or_b32 v85, v92, 11, v91
	v_lshlrev_b32_e32 v82, 2, v90
	ds_store_b128 v75, v[77:80] offset:1024
	s_waitcnt lgkmcnt(0)
	s_barrier
	buffer_gl0_inv
	ds_load_b128 v[76:79], v85
	ds_load_b128 v[92:95], v85 offset:16
	v_or_b32_e32 v83, 1, v82
	v_cmp_eq_u32_e32 vcc_lo, 1, v82
	v_cmp_eq_u32_e64 s4, 2, v82
	v_cmp_eq_u32_e64 s7, 3, v82
	;; [unrolled: 1-line block ×6, first 2 shown]
	v_or_b32_e32 v81, 2, v82
	v_cmp_eq_u32_e64 s10, 5, v82
	v_cmp_eq_u32_e64 s11, 4, v83
	;; [unrolled: 1-line block ×9, first 2 shown]
	s_waitcnt lgkmcnt(1)
	v_lshrrev_b32_e32 v80, 16, v76
	s_waitcnt lgkmcnt(0)
	v_lshrrev_b32_e32 v100, 16, v92
	v_lshrrev_b32_e32 v86, 16, v77
	;; [unrolled: 1-line block ×4, first 2 shown]
	v_cndmask_b32_e32 v84, v76, v80, vcc_lo
	v_cndmask_b32_e32 v96, v92, v100, vcc_lo
	v_cndmask_b32_e64 v97, v76, v80, s3
	v_lshrrev_b32_e32 v105, 16, v94
	v_cndmask_b32_e64 v98, v92, v100, s3
	v_cndmask_b32_e64 v84, v84, v77, s4
	v_cndmask_b32_e64 v96, v96, v93, s4
	v_cndmask_b32_e64 v97, v97, v77, s6
	v_lshrrev_b32_e32 v88, 16, v79
	v_cndmask_b32_e64 v98, v98, v93, s6
	v_cndmask_b32_e64 v84, v84, v86, s7
	v_cndmask_b32_e64 v96, v96, v104, s7
	;; [unrolled: 5-line block ×3, first 2 shown]
	v_cndmask_b32_e64 v97, v97, v78, s11
	v_cndmask_b32_e64 v98, v98, v104, s8
	v_cmp_eq_u32_e64 s20, 3, v81
	v_cndmask_b32_e64 v84, v84, v87, s10
	v_cndmask_b32_e64 v96, v96, v105, s10
	;; [unrolled: 1-line block ×4, first 2 shown]
	v_cmp_eq_u32_e64 s21, 4, v81
	v_cndmask_b32_e64 v84, v84, v79, s12
	v_cndmask_b32_e64 v96, v96, v95, s12
	;; [unrolled: 1-line block ×3, first 2 shown]
	v_cmp_eq_u32_e64 s23, 5, v81
	v_cmp_eq_u32_e64 s25, 6, v81
	v_cndmask_b32_e64 v107, v84, v88, s16
	v_cndmask_b32_e64 v108, v96, v106, s16
	v_cndmask_b32_e64 v84, v99, v77, s18
	v_cndmask_b32_e64 v96, v92, v100, s5
	v_cndmask_b32_e64 v109, v97, v88, s19
	v_cndmask_b32_e64 v97, v98, v105, s13
	v_cmp_eq_u32_e64 s28, 7, v81
	v_cndmask_b32_e64 v98, v84, v86, s20
	v_cndmask_b32_e64 v96, v96, v93, s18
	v_or_b32_e32 v84, 3, v82
	v_cndmask_b32_e64 v110, v97, v95, s17
	s_delay_alu instid0(VALU_DEP_4) | instskip(NEXT) | instid1(VALU_DEP_4)
	v_cndmask_b32_e64 v101, v98, v78, s21
	v_cndmask_b32_e64 v102, v96, v104, s20
	ds_load_b128 v[96:99], v85 offset:1024
	v_cmp_eq_u32_e64 s22, 1, v84
	v_cmp_eq_u32_e64 s24, 2, v84
	v_cndmask_b32_e64 v111, v101, v87, s23
	v_cmp_eq_u32_e64 s26, 3, v84
	v_cmp_eq_u32_e64 s27, 4, v84
	v_cndmask_b32_e64 v76, v76, v80, s22
	v_cndmask_b32_e64 v80, v102, v94, s21
	;; [unrolled: 1-line block ×3, first 2 shown]
	ds_load_b128 v[100:103], v85 offset:1040
	v_cmp_eq_u32_e64 s29, 5, v84
	v_cndmask_b32_e64 v76, v76, v77, s24
	v_cndmask_b32_e64 v77, v80, v105, s23
	;; [unrolled: 1-line block ×3, first 2 shown]
	v_cmp_eq_u32_e64 s30, 6, v84
	v_cndmask_b32_e64 v92, v110, v106, s19
	v_cndmask_b32_e64 v76, v76, v86, s26
	v_cndmask_b32_e64 v86, v111, v79, s25
	v_cndmask_b32_e64 v80, v80, v104, s26
	v_cndmask_b32_e64 v77, v77, v95, s25
	s_waitcnt lgkmcnt(1)
	v_lshrrev_b32_e32 v93, 16, v96
	v_cndmask_b32_e64 v76, v76, v78, s27
	v_cndmask_b32_e64 v78, v80, v94, s27
	;; [unrolled: 1-line block ×3, first 2 shown]
	s_delay_alu instid0(VALU_DEP_4) | instskip(NEXT) | instid1(VALU_DEP_4)
	v_cndmask_b32_e32 v86, v96, v93, vcc_lo
	v_cndmask_b32_e64 v76, v76, v87, s29
	v_lshrrev_b32_e32 v94, 16, v97
	v_cndmask_b32_e64 v104, v96, v93, s3
	s_waitcnt lgkmcnt(0)
	v_lshrrev_b32_e32 v87, 16, v100
	v_cndmask_b32_e64 v86, v86, v97, s4
	v_cndmask_b32_e64 v78, v78, v105, s29
	;; [unrolled: 1-line block ×4, first 2 shown]
	v_cndmask_b32_e32 v105, v100, v87, vcc_lo
	v_cndmask_b32_e64 v79, v86, v94, s7
	v_cndmask_b32_e64 v86, v104, v97, s6
	v_cndmask_b32_e64 v78, v78, v95, s30
	v_lshrrev_b32_e32 v104, 16, v101
	v_cndmask_b32_e64 v95, v105, v101, s4
	v_cmp_eq_u32_e32 vcc_lo, 7, v84
	v_cndmask_b32_e64 v86, v86, v94, s8
	v_cndmask_b32_e64 v79, v79, v98, s9
	v_lshrrev_b32_e32 v105, 16, v98
	v_cndmask_b32_e64 v95, v95, v104, s7
	v_cndmask_b32_e32 v76, v76, v88, vcc_lo
	v_cndmask_b32_e32 v78, v78, v106, vcc_lo
	v_cndmask_b32_e64 v86, v86, v98, s11
	v_cndmask_b32_e64 v88, v79, v105, s10
	;; [unrolled: 1-line block ×3, first 2 shown]
	v_lshrrev_b32_e32 v106, 16, v102
	v_perm_b32 v79, v78, v76, 0x5040100
	v_cndmask_b32_e64 v76, v86, v105, s13
	v_cndmask_b32_e64 v86, v88, v99, s12
	v_lshrrev_b32_e32 v88, 16, v99
	v_cndmask_b32_e64 v95, v95, v106, s10
	v_perm_b32 v78, v77, v80, 0x5040100
	v_cndmask_b32_e64 v76, v76, v99, s17
	v_perm_b32 v77, v92, v109, 0x5040100
	v_cndmask_b32_e64 v80, v86, v88, s16
	v_cndmask_b32_e64 v86, v95, v103, s12
	;; [unrolled: 1-line block ×13, first 2 shown]
	v_lshrrev_b32_e32 v92, 16, v103
	v_cndmask_b32_e64 v76, v76, v94, s20
	v_cndmask_b32_e64 v93, v93, v94, s26
	;; [unrolled: 1-line block ×21, first 2 shown]
	v_cndmask_b32_e32 v88, v93, v88, vcc_lo
	v_cndmask_b32_e32 v93, v94, v92, vcc_lo
	v_cndmask_b32_e64 v94, v95, v92, s28
	v_cndmask_b32_e64 v87, v87, v92, s19
	;; [unrolled: 1-line block ×3, first 2 shown]
	v_perm_b32 v76, v108, v107, 0x5040100
	v_perm_b32 v95, v93, v88, 0x5040100
	;; [unrolled: 1-line block ×5, first 2 shown]
	s_mov_b32 s3, exec_lo
	ds_store_b128 v75, v[76:79]
	ds_store_b128 v75, v[92:95] offset:1024
	v_cmpx_eq_u32_e32 0, v0
	s_cbranch_execz .LBB726_77
; %bb.76:
	s_load_b128 s[4:7], s[0:1], 0x58
	s_mul_i32 s8, s37, s34
	v_mov_b32_e32 v75, 0
	s_add_i32 s8, s8, s15
	s_delay_alu instid0(SALU_CYCLE_1) | instskip(NEXT) | instid1(SALU_CYCLE_1)
	s_mul_i32 s8, s8, s36
	s_add_i32 s8, s8, s14
	s_delay_alu instid0(SALU_CYCLE_1) | instskip(NEXT) | instid1(SALU_CYCLE_1)
	s_ashr_i32 s9, s8, 31
	s_lshl_b64 s[8:9], s[8:9], 2
	s_waitcnt lgkmcnt(0)
	s_add_u32 s6, s6, s8
	s_addc_u32 s7, s7, s9
	s_add_u32 s4, s4, s8
	s_addc_u32 s5, s5, s9
	s_clause 0x1
	global_store_b32 v75, v73, s[6:7]
	global_store_b32 v75, v74, s[4:5]
.LBB726_77:
	s_or_b32 exec_lo, exec_lo, s3
	s_waitcnt lgkmcnt(0)
	s_waitcnt_vscnt null, 0x0
	s_barrier
	buffer_gl0_inv
	ds_load_b128 v[92:95], v91
	ds_load_b128 v[96:99], v91 offset:16
	ds_load_b128 v[104:107], v91 offset:1040
	;; [unrolled: 1-line block ×3, first 2 shown]
	v_mov_b32_e32 v73, 0
	ds_load_b128 v[112:115], v91 offset:2064
	ds_load_b128 v[108:111], v91 offset:2048
	;; [unrolled: 1-line block ×4, first 2 shown]
	v_mov_b32_e32 v74, v73
	v_mov_b32_e32 v75, v73
	;; [unrolled: 1-line block ×7, first 2 shown]
	s_waitcnt lgkmcnt(6)
	s_delay_alu instid0(VALU_DEP_1)
	v_wmma_f32_16x16x16_bf16 v[73:80], v[65:72], v[92:99], v[73:80]
	ds_load_b128 v[69:72], v91 offset:4112
	ds_load_b128 v[65:68], v91 offset:4096
	;; [unrolled: 1-line block ×4, first 2 shown]
	s_waitcnt lgkmcnt(8)
	v_wmma_f32_16x16x16_bf16 v[73:80], v[57:64], v[100:107], v[73:80]
	ds_load_b128 v[104:107], v91 offset:6160
	ds_load_b128 v[100:103], v91 offset:6144
	s_waitcnt lgkmcnt(8)
	v_wmma_f32_16x16x16_bf16 v[73:80], v[57:64], v[108:115], v[73:80]
	ds_load_b128 v[61:64], v91 offset:7184
	ds_load_b128 v[57:60], v91 offset:7168
	;; [unrolled: 1-line block ×4, first 2 shown]
	s_waitcnt lgkmcnt(10)
	v_wmma_f32_16x16x16_bf16 v[73:80], v[49:56], v[116:123], v[73:80]
	s_waitcnt lgkmcnt(8)
	s_delay_alu instid0(VALU_DEP_1)
	v_wmma_f32_16x16x16_bf16 v[73:80], v[49:56], v[65:72], v[73:80]
	ds_load_b128 v[53:56], v91 offset:9232
	ds_load_b128 v[49:52], v91 offset:9216
	;; [unrolled: 1-line block ×4, first 2 shown]
	s_waitcnt lgkmcnt(10)
	v_wmma_f32_16x16x16_bf16 v[73:80], v[41:48], v[92:99], v[73:80]
	s_waitcnt lgkmcnt(8)
	s_delay_alu instid0(VALU_DEP_1)
	v_wmma_f32_16x16x16_bf16 v[73:80], v[41:48], v[100:107], v[73:80]
	ds_load_b128 v[45:48], v91 offset:11280
	ds_load_b128 v[41:44], v91 offset:11264
	s_waitcnt lgkmcnt(8)
	v_wmma_f32_16x16x16_bf16 v[73:80], v[17:24], v[57:64], v[73:80]
	s_waitcnt lgkmcnt(6)
	s_delay_alu instid0(VALU_DEP_1)
	v_wmma_f32_16x16x16_bf16 v[73:80], v[17:24], v[108:115], v[73:80]
	ds_load_b128 v[21:24], v91 offset:12304
	ds_load_b128 v[17:20], v91 offset:12288
	s_waitcnt lgkmcnt(6)
	v_wmma_f32_16x16x16_bf16 v[73:80], v[9:16], v[49:56], v[73:80]
	ds_load_b128 v[53:56], v91 offset:13328
	ds_load_b128 v[49:52], v91 offset:13312
	s_waitcnt lgkmcnt(6)
	;; [unrolled: 4-line block ×4, first 2 shown]
	v_wmma_f32_16x16x16_bf16 v[73:80], v[1:8], v[17:24], v[73:80]
	s_waitcnt lgkmcnt(4)
	s_delay_alu instid0(VALU_DEP_1) | instskip(SKIP_1) | instid1(VALU_DEP_1)
	v_wmma_f32_16x16x16_bf16 v[73:80], v[33:40], v[49:56], v[73:80]
	s_waitcnt lgkmcnt(2)
	v_wmma_f32_16x16x16_bf16 v[73:80], v[33:40], v[9:16], v[73:80]
	s_waitcnt lgkmcnt(0)
	s_delay_alu instid0(VALU_DEP_1) | instskip(NEXT) | instid1(VALU_DEP_1)
	v_wmma_f32_16x16x16_bf16 v[73:80], v[25:32], v[41:48], v[73:80]
	v_and_b32_e32 v1, 0x7f800000, v73
	s_delay_alu instid0(VALU_DEP_1) | instskip(SKIP_1) | instid1(SALU_CYCLE_1)
	v_cmp_ne_u32_e32 vcc_lo, 0x7f800000, v1
                                        ; implicit-def: $vgpr1
	s_and_saveexec_b32 s3, vcc_lo
	s_xor_b32 s3, exec_lo, s3
; %bb.78:
	v_bfe_u32 v1, v73, 16, 1
	s_delay_alu instid0(VALU_DEP_1)
	v_add3_u32 v1, v73, v1, 0x7fff
; %bb.79:
	s_and_not1_saveexec_b32 s3, s3
; %bb.80:
	v_and_b32_e32 v1, 0xffff, v73
	v_or_b32_e32 v2, 0x10000, v73
	s_delay_alu instid0(VALU_DEP_2) | instskip(NEXT) | instid1(VALU_DEP_2)
	v_cmp_eq_u32_e32 vcc_lo, 0, v1
	v_cndmask_b32_e32 v1, v2, v73, vcc_lo
; %bb.81:
	s_or_b32 exec_lo, exec_lo, s3
	v_and_b32_e32 v2, 0x7f800000, v74
	s_delay_alu instid0(VALU_DEP_1) | instskip(SKIP_1) | instid1(SALU_CYCLE_1)
	v_cmp_ne_u32_e32 vcc_lo, 0x7f800000, v2
                                        ; implicit-def: $vgpr2
	s_and_saveexec_b32 s3, vcc_lo
	s_xor_b32 s3, exec_lo, s3
; %bb.82:
	v_bfe_u32 v2, v74, 16, 1
	s_delay_alu instid0(VALU_DEP_1)
	v_add3_u32 v2, v74, v2, 0x7fff
; %bb.83:
	s_and_not1_saveexec_b32 s3, s3
; %bb.84:
	v_and_b32_e32 v2, 0xffff, v74
	v_or_b32_e32 v3, 0x10000, v74
	s_delay_alu instid0(VALU_DEP_2) | instskip(NEXT) | instid1(VALU_DEP_2)
	v_cmp_eq_u32_e32 vcc_lo, 0, v2
	v_cndmask_b32_e32 v2, v3, v74, vcc_lo
; %bb.85:
	s_or_b32 exec_lo, exec_lo, s3
	v_and_b32_e32 v3, 0x7f800000, v75
	s_delay_alu instid0(VALU_DEP_1) | instskip(SKIP_1) | instid1(SALU_CYCLE_1)
	v_cmp_ne_u32_e32 vcc_lo, 0x7f800000, v3
                                        ; implicit-def: $vgpr3
	s_and_saveexec_b32 s3, vcc_lo
	s_xor_b32 s3, exec_lo, s3
; %bb.86:
	v_bfe_u32 v3, v75, 16, 1
	s_delay_alu instid0(VALU_DEP_1)
	v_add3_u32 v3, v75, v3, 0x7fff
; %bb.87:
	s_and_not1_saveexec_b32 s3, s3
; %bb.88:
	v_and_b32_e32 v3, 0xffff, v75
	v_or_b32_e32 v4, 0x10000, v75
	s_delay_alu instid0(VALU_DEP_2) | instskip(NEXT) | instid1(VALU_DEP_2)
	v_cmp_eq_u32_e32 vcc_lo, 0, v3
	v_cndmask_b32_e32 v3, v4, v75, vcc_lo
; %bb.89:
	s_or_b32 exec_lo, exec_lo, s3
	v_and_b32_e32 v4, 0x7f800000, v76
	s_delay_alu instid0(VALU_DEP_1) | instskip(SKIP_1) | instid1(SALU_CYCLE_1)
	v_cmp_ne_u32_e32 vcc_lo, 0x7f800000, v4
                                        ; implicit-def: $vgpr4
	s_and_saveexec_b32 s3, vcc_lo
	s_xor_b32 s3, exec_lo, s3
; %bb.90:
	v_bfe_u32 v4, v76, 16, 1
	s_delay_alu instid0(VALU_DEP_1)
	v_add3_u32 v4, v76, v4, 0x7fff
; %bb.91:
	s_and_not1_saveexec_b32 s3, s3
; %bb.92:
	v_and_b32_e32 v4, 0xffff, v76
	v_or_b32_e32 v5, 0x10000, v76
	s_delay_alu instid0(VALU_DEP_2) | instskip(NEXT) | instid1(VALU_DEP_2)
	v_cmp_eq_u32_e32 vcc_lo, 0, v4
	v_cndmask_b32_e32 v4, v5, v76, vcc_lo
; %bb.93:
	s_or_b32 exec_lo, exec_lo, s3
	v_and_b32_e32 v5, 0x7f800000, v77
	s_delay_alu instid0(VALU_DEP_1) | instskip(SKIP_1) | instid1(SALU_CYCLE_1)
	v_cmp_ne_u32_e32 vcc_lo, 0x7f800000, v5
                                        ; implicit-def: $vgpr5
	s_and_saveexec_b32 s3, vcc_lo
	s_xor_b32 s3, exec_lo, s3
; %bb.94:
	v_bfe_u32 v5, v77, 16, 1
	s_delay_alu instid0(VALU_DEP_1)
	v_add3_u32 v5, v77, v5, 0x7fff
; %bb.95:
	s_and_not1_saveexec_b32 s3, s3
; %bb.96:
	v_and_b32_e32 v5, 0xffff, v77
	v_or_b32_e32 v6, 0x10000, v77
	s_delay_alu instid0(VALU_DEP_2) | instskip(NEXT) | instid1(VALU_DEP_2)
	v_cmp_eq_u32_e32 vcc_lo, 0, v5
	v_cndmask_b32_e32 v5, v6, v77, vcc_lo
; %bb.97:
	s_or_b32 exec_lo, exec_lo, s3
	v_and_b32_e32 v6, 0x7f800000, v78
	s_delay_alu instid0(VALU_DEP_1) | instskip(SKIP_1) | instid1(SALU_CYCLE_1)
	v_cmp_ne_u32_e32 vcc_lo, 0x7f800000, v6
                                        ; implicit-def: $vgpr6
	s_and_saveexec_b32 s3, vcc_lo
	s_xor_b32 s3, exec_lo, s3
; %bb.98:
	v_bfe_u32 v6, v78, 16, 1
	s_delay_alu instid0(VALU_DEP_1)
	v_add3_u32 v6, v78, v6, 0x7fff
; %bb.99:
	s_and_not1_saveexec_b32 s3, s3
; %bb.100:
	v_and_b32_e32 v6, 0xffff, v78
	v_or_b32_e32 v7, 0x10000, v78
	s_delay_alu instid0(VALU_DEP_2) | instskip(NEXT) | instid1(VALU_DEP_2)
	v_cmp_eq_u32_e32 vcc_lo, 0, v6
	v_cndmask_b32_e32 v6, v7, v78, vcc_lo
; %bb.101:
	s_or_b32 exec_lo, exec_lo, s3
	v_and_b32_e32 v7, 0x7f800000, v79
	s_delay_alu instid0(VALU_DEP_1) | instskip(SKIP_1) | instid1(SALU_CYCLE_1)
	v_cmp_ne_u32_e32 vcc_lo, 0x7f800000, v7
                                        ; implicit-def: $vgpr7
	s_and_saveexec_b32 s3, vcc_lo
	s_xor_b32 s3, exec_lo, s3
; %bb.102:
	v_bfe_u32 v7, v79, 16, 1
	s_delay_alu instid0(VALU_DEP_1)
	v_add3_u32 v7, v79, v7, 0x7fff
; %bb.103:
	s_and_not1_saveexec_b32 s3, s3
; %bb.104:
	v_and_b32_e32 v7, 0xffff, v79
	v_or_b32_e32 v8, 0x10000, v79
	s_delay_alu instid0(VALU_DEP_2) | instskip(NEXT) | instid1(VALU_DEP_2)
	v_cmp_eq_u32_e32 vcc_lo, 0, v7
	v_cndmask_b32_e32 v7, v8, v79, vcc_lo
; %bb.105:
	s_or_b32 exec_lo, exec_lo, s3
	v_and_b32_e32 v8, 0x7f800000, v80
	s_delay_alu instid0(VALU_DEP_1) | instskip(SKIP_1) | instid1(SALU_CYCLE_1)
	v_cmp_ne_u32_e32 vcc_lo, 0x7f800000, v8
                                        ; implicit-def: $vgpr8
	s_and_saveexec_b32 s3, vcc_lo
	s_xor_b32 s3, exec_lo, s3
; %bb.106:
	v_bfe_u32 v8, v80, 16, 1
	s_delay_alu instid0(VALU_DEP_1)
	v_add3_u32 v8, v80, v8, 0x7fff
                                        ; implicit-def: $vgpr73_vgpr74_vgpr75_vgpr76_vgpr77_vgpr78_vgpr79_vgpr80
; %bb.107:
	s_and_not1_saveexec_b32 s3, s3
; %bb.108:
	v_and_b32_e32 v8, 0xffff, v80
	v_or_b32_e32 v9, 0x10000, v80
	s_delay_alu instid0(VALU_DEP_2) | instskip(NEXT) | instid1(VALU_DEP_2)
	v_cmp_eq_u32_e32 vcc_lo, 0, v8
	v_cndmask_b32_e32 v8, v9, v80, vcc_lo
; %bb.109:
	s_or_b32 exec_lo, exec_lo, s3
	s_delay_alu instid0(VALU_DEP_1)
	v_perm_b32 v7, v8, v7, 0x7060302
	v_perm_b32 v6, v6, v5, 0x7060302
	;; [unrolled: 1-line block ×4, first 2 shown]
	v_lshl_or_b32 v9, v90, 4, v85
	s_barrier
	buffer_gl0_inv
	v_cmp_eq_u32_e32 vcc_lo, 1, v82
	ds_store_b128 v9, v[4:7]
	s_waitcnt lgkmcnt(0)
	s_barrier
	buffer_gl0_inv
	ds_load_b128 v[1:4], v85
	ds_load_b128 v[5:8], v85 offset:16
	v_cmp_eq_u32_e64 s4, 2, v82
	v_cmp_eq_u32_e64 s3, 1, v83
	;; [unrolled: 1-line block ×5, first 2 shown]
	s_xor_b32 s2, s2, -1
	s_waitcnt lgkmcnt(1)
	v_lshrrev_b32_e32 v10, 16, v1
	s_waitcnt lgkmcnt(0)
	v_lshrrev_b32_e32 v14, 16, v5
	v_lshrrev_b32_e32 v15, 16, v6
	;; [unrolled: 1-line block ×4, first 2 shown]
	v_cndmask_b32_e64 v20, v1, v10, s3
	v_cndmask_b32_e32 v19, v5, v14, vcc_lo
	v_cndmask_b32_e64 v21, v5, v14, s3
	v_lshrrev_b32_e32 v16, 16, v7
	v_cmp_eq_u32_e64 s3, 1, v81
	v_lshrrev_b32_e32 v13, 16, v4
	v_cndmask_b32_e64 v19, v19, v6, s4
	v_lshrrev_b32_e32 v17, 16, v8
	s_delay_alu instid0(VALU_DEP_4) | instskip(SKIP_1) | instid1(VALU_DEP_4)
	v_cndmask_b32_e64 v22, v1, v10, s3
	v_cndmask_b32_e64 v23, v5, v14, s3
	;; [unrolled: 1-line block ×3, first 2 shown]
	v_cndmask_b32_e32 v18, v1, v10, vcc_lo
	v_cmp_eq_u32_e32 vcc_lo, 2, v83
	v_cmp_eq_u32_e64 s3, 2, v84
	v_cndmask_b32_e64 v22, v22, v2, s7
	v_cndmask_b32_e32 v20, v20, v2, vcc_lo
	v_cndmask_b32_e32 v21, v21, v6, vcc_lo
	v_cmp_eq_u32_e32 vcc_lo, 4, v82
	v_cndmask_b32_e32 v19, v19, v7, vcc_lo
	v_cndmask_b32_e64 v18, v18, v2, s4
	v_cmp_eq_u32_e64 s4, 3, v83
	s_delay_alu instid0(VALU_DEP_2) | instskip(NEXT) | instid1(VALU_DEP_2)
	v_cndmask_b32_e64 v18, v18, v11, s5
	v_cndmask_b32_e64 v21, v21, v15, s4
	v_cmp_eq_u32_e64 s5, 5, v82
	s_delay_alu instid0(VALU_DEP_3) | instskip(SKIP_1) | instid1(VALU_DEP_3)
	v_cndmask_b32_e32 v18, v18, v3, vcc_lo
	v_cmp_eq_u32_e32 vcc_lo, 4, v83
	v_cndmask_b32_e64 v19, v19, v16, s5
	s_delay_alu instid0(VALU_DEP_3) | instskip(SKIP_4) | instid1(VALU_DEP_3)
	v_cndmask_b32_e64 v18, v18, v12, s5
	v_cndmask_b32_e32 v21, v21, v7, vcc_lo
	v_cndmask_b32_e64 v20, v20, v11, s4
	v_cmp_eq_u32_e64 s4, 5, v83
	v_cmp_eq_u32_e64 s5, 6, v82
	v_cndmask_b32_e32 v20, v20, v3, vcc_lo
	s_delay_alu instid0(VALU_DEP_3) | instskip(SKIP_1) | instid1(VALU_DEP_4)
	v_cndmask_b32_e64 v21, v21, v16, s4
	v_cmp_eq_u32_e32 vcc_lo, 6, v83
	v_cndmask_b32_e64 v18, v18, v4, s5
	v_cndmask_b32_e64 v19, v19, v8, s5
	;; [unrolled: 1-line block ×3, first 2 shown]
	v_cmp_eq_u32_e64 s4, 1, v84
	v_cmp_eq_u32_e64 s5, 7, v82
	s_delay_alu instid0(VALU_DEP_3) | instskip(NEXT) | instid1(VALU_DEP_3)
	v_cndmask_b32_e32 v20, v20, v4, vcc_lo
	v_cndmask_b32_e64 v1, v1, v10, s4
	v_cndmask_b32_e64 v5, v5, v14, s4
	v_cmp_eq_u32_e64 s4, 3, v81
	v_cndmask_b32_e64 v14, v23, v6, s7
	v_cmp_eq_u32_e64 s7, 3, v84
	v_cndmask_b32_e64 v1, v1, v2, s3
	v_cndmask_b32_e64 v2, v5, v6, s3
	;; [unrolled: 1-line block ×3, first 2 shown]
	v_cmp_eq_u32_e64 s3, 4, v81
	v_cndmask_b32_e64 v6, v14, v15, s4
	v_cndmask_b32_e64 v1, v1, v11, s7
	v_cmp_eq_u32_e64 s4, 4, v84
	v_cndmask_b32_e64 v2, v2, v15, s7
	v_cndmask_b32_e64 v5, v10, v3, s3
	;; [unrolled: 3-line block ×3, first 2 shown]
	v_cndmask_b32_e64 v2, v2, v7, s4
	v_cmp_eq_u32_e64 s3, 5, v84
	v_cndmask_b32_e64 v5, v5, v12, s7
	v_cmp_eq_u32_e64 s4, 6, v81
	;; [unrolled: 2-line block ×3, first 2 shown]
	v_cndmask_b32_e64 v1, v1, v12, s3
	v_cndmask_b32_e64 v2, v2, v16, s3
	;; [unrolled: 1-line block ×4, first 2 shown]
	v_cmp_eq_u32_e64 s3, 7, v84
	v_cndmask_b32_e64 v1, v1, v4, s7
	v_cndmask_b32_e64 v2, v2, v8, s7
	v_cmp_eq_u32_e64 s4, 7, v81
	v_cndmask_b32_e32 v4, v21, v8, vcc_lo
	v_cndmask_b32_e64 v18, v18, v13, s5
	v_cndmask_b32_e64 v20, v20, v13, s6
	v_cndmask_b32_e64 v1, v1, v13, s3
	v_cndmask_b32_e64 v5, v5, v13, s4
	v_cndmask_b32_e64 v2, v2, v17, s3
	v_cndmask_b32_e64 v3, v3, v17, s4
	v_cndmask_b32_e64 v6, v4, v17, s6
	v_cndmask_b32_e64 v7, v19, v17, s5
	v_cmp_gt_u32_e32 vcc_lo, 32, v0
	v_perm_b32 v4, v2, v1, 0x5040100
	v_perm_b32 v3, v3, v5, 0x5040100
	;; [unrolled: 1-line block ×4, first 2 shown]
	s_and_b32 s2, vcc_lo, s2
	ds_store_b128 v9, v[1:4]
	s_waitcnt lgkmcnt(0)
	s_barrier
	buffer_gl0_inv
	s_and_saveexec_b32 s3, s2
	s_cbranch_execz .LBB726_2
; %bb.110:
	s_load_b64 s[0:1], s[0:1], 0x68
	v_lshlrev_b32_e32 v1, 10, v0
	v_and_b32_e32 v0, 1, v0
	v_lshlrev_b32_e32 v2, 6, v90
	s_lshl_b32 s4, s36, 7
	v_lshlrev_b32_e32 v4, 3, v89
	v_and_b32_e32 v1, 0x3800, v1
	v_lshlrev_b32_e32 v0, 4, v0
	s_mul_i32 s2, s4, s34
	s_delay_alu instid0(SALU_CYCLE_1) | instskip(SKIP_1) | instid1(VALU_DEP_2)
	s_mul_i32 s2, s2, s37
	v_lshlrev_b32_e32 v4, 1, v4
	v_or3_b32 v0, v1, v2, v0
	s_ashr_i32 s3, s2, 31
	s_delay_alu instid0(SALU_CYCLE_1)
	s_lshl_b64 s[2:3], s[2:3], 1
	ds_load_b128 v[0:3], v0
	s_waitcnt lgkmcnt(0)
	s_add_u32 s5, s0, s2
	s_addc_u32 s3, s1, s3
	s_lshl_b32 s0, s14, 7
	s_mul_i32 s2, s4, s15
	s_ashr_i32 s1, s0, 31
	s_delay_alu instid0(SALU_CYCLE_1) | instskip(NEXT) | instid1(SALU_CYCLE_1)
	s_lshl_b64 s[0:1], s[0:1], 1
	s_add_u32 s4, s5, s0
	s_addc_u32 s5, s3, s1
	s_ashr_i32 s3, s2, 31
	s_delay_alu instid0(SALU_CYCLE_1) | instskip(NEXT) | instid1(SALU_CYCLE_1)
	s_lshl_b64 s[0:1], s[2:3], 1
	s_add_u32 s0, s4, s0
	s_addc_u32 s1, s5, s1
	global_store_b128 v4, v[0:3], s[0:1]
	s_nop 0
	s_sendmsg sendmsg(MSG_DEALLOC_VGPRS)
	s_endpgm
	.section	.rodata,"a",@progbits
	.p2align	6, 0x0
	.amdhsa_kernel _Z39paged_attention_ll4mi_QKV_mfma16_kernelI14__hip_bfloat16S0_LN4vllm18Fp8KVCacheDataTypeE0EhLi32ELi128ELi256ELb0ELi1EL8MFMAType0EEvPKT_PKT0_S9_ifPKiSB_SB_iPKfiiiPfSE_PS4_PT2_iSD_SD_
		.amdhsa_group_segment_fixed_size 17472
		.amdhsa_private_segment_fixed_size 0
		.amdhsa_kernarg_size 400
		.amdhsa_user_sgpr_count 13
		.amdhsa_user_sgpr_dispatch_ptr 0
		.amdhsa_user_sgpr_queue_ptr 0
		.amdhsa_user_sgpr_kernarg_segment_ptr 1
		.amdhsa_user_sgpr_dispatch_id 0
		.amdhsa_user_sgpr_private_segment_size 0
		.amdhsa_wavefront_size32 1
		.amdhsa_uses_dynamic_stack 0
		.amdhsa_enable_private_segment 0
		.amdhsa_system_sgpr_workgroup_id_x 1
		.amdhsa_system_sgpr_workgroup_id_y 1
		.amdhsa_system_sgpr_workgroup_id_z 1
		.amdhsa_system_sgpr_workgroup_info 0
		.amdhsa_system_vgpr_workitem_id 0
		.amdhsa_next_free_vgpr 144
		.amdhsa_next_free_sgpr 97
		.amdhsa_reserve_vcc 1
		.amdhsa_float_round_mode_32 0
		.amdhsa_float_round_mode_16_64 0
		.amdhsa_float_denorm_mode_32 3
		.amdhsa_float_denorm_mode_16_64 3
		.amdhsa_dx10_clamp 1
		.amdhsa_ieee_mode 1
		.amdhsa_fp16_overflow 0
		.amdhsa_workgroup_processor_mode 1
		.amdhsa_memory_ordered 1
		.amdhsa_forward_progress 0
		.amdhsa_shared_vgpr_count 0
		.amdhsa_exception_fp_ieee_invalid_op 0
		.amdhsa_exception_fp_denorm_src 0
		.amdhsa_exception_fp_ieee_div_zero 0
		.amdhsa_exception_fp_ieee_overflow 0
		.amdhsa_exception_fp_ieee_underflow 0
		.amdhsa_exception_fp_ieee_inexact 0
		.amdhsa_exception_int_div_zero 0
	.end_amdhsa_kernel
	.section	.text._Z39paged_attention_ll4mi_QKV_mfma16_kernelI14__hip_bfloat16S0_LN4vllm18Fp8KVCacheDataTypeE0EhLi32ELi128ELi256ELb0ELi1EL8MFMAType0EEvPKT_PKT0_S9_ifPKiSB_SB_iPKfiiiPfSE_PS4_PT2_iSD_SD_,"axG",@progbits,_Z39paged_attention_ll4mi_QKV_mfma16_kernelI14__hip_bfloat16S0_LN4vllm18Fp8KVCacheDataTypeE0EhLi32ELi128ELi256ELb0ELi1EL8MFMAType0EEvPKT_PKT0_S9_ifPKiSB_SB_iPKfiiiPfSE_PS4_PT2_iSD_SD_,comdat
.Lfunc_end726:
	.size	_Z39paged_attention_ll4mi_QKV_mfma16_kernelI14__hip_bfloat16S0_LN4vllm18Fp8KVCacheDataTypeE0EhLi32ELi128ELi256ELb0ELi1EL8MFMAType0EEvPKT_PKT0_S9_ifPKiSB_SB_iPKfiiiPfSE_PS4_PT2_iSD_SD_, .Lfunc_end726-_Z39paged_attention_ll4mi_QKV_mfma16_kernelI14__hip_bfloat16S0_LN4vllm18Fp8KVCacheDataTypeE0EhLi32ELi128ELi256ELb0ELi1EL8MFMAType0EEvPKT_PKT0_S9_ifPKiSB_SB_iPKfiiiPfSE_PS4_PT2_iSD_SD_
                                        ; -- End function
	.section	.AMDGPU.csdata,"",@progbits
; Kernel info:
; codeLenInByte = 9524
; NumSgprs: 99
; NumVgprs: 144
; ScratchSize: 0
; MemoryBound: 1
; FloatMode: 240
; IeeeMode: 1
; LDSByteSize: 17472 bytes/workgroup (compile time only)
; SGPRBlocks: 12
; VGPRBlocks: 17
; NumSGPRsForWavesPerEU: 99
; NumVGPRsForWavesPerEU: 144
; Occupancy: 10
; WaveLimiterHint : 1
; COMPUTE_PGM_RSRC2:SCRATCH_EN: 0
; COMPUTE_PGM_RSRC2:USER_SGPR: 13
; COMPUTE_PGM_RSRC2:TRAP_HANDLER: 0
; COMPUTE_PGM_RSRC2:TGID_X_EN: 1
; COMPUTE_PGM_RSRC2:TGID_Y_EN: 1
; COMPUTE_PGM_RSRC2:TGID_Z_EN: 1
; COMPUTE_PGM_RSRC2:TIDIG_COMP_CNT: 0
	.section	.text._Z39paged_attention_ll4mi_QKV_mfma16_kernelI14__hip_bfloat16S0_LN4vllm18Fp8KVCacheDataTypeE0EhLi32ELi128ELi256ELb0ELi2EL8MFMAType0EEvPKT_PKT0_S9_ifPKiSB_SB_iPKfiiiPfSE_PS4_PT2_iSD_SD_,"axG",@progbits,_Z39paged_attention_ll4mi_QKV_mfma16_kernelI14__hip_bfloat16S0_LN4vllm18Fp8KVCacheDataTypeE0EhLi32ELi128ELi256ELb0ELi2EL8MFMAType0EEvPKT_PKT0_S9_ifPKiSB_SB_iPKfiiiPfSE_PS4_PT2_iSD_SD_,comdat
	.protected	_Z39paged_attention_ll4mi_QKV_mfma16_kernelI14__hip_bfloat16S0_LN4vllm18Fp8KVCacheDataTypeE0EhLi32ELi128ELi256ELb0ELi2EL8MFMAType0EEvPKT_PKT0_S9_ifPKiSB_SB_iPKfiiiPfSE_PS4_PT2_iSD_SD_ ; -- Begin function _Z39paged_attention_ll4mi_QKV_mfma16_kernelI14__hip_bfloat16S0_LN4vllm18Fp8KVCacheDataTypeE0EhLi32ELi128ELi256ELb0ELi2EL8MFMAType0EEvPKT_PKT0_S9_ifPKiSB_SB_iPKfiiiPfSE_PS4_PT2_iSD_SD_
	.globl	_Z39paged_attention_ll4mi_QKV_mfma16_kernelI14__hip_bfloat16S0_LN4vllm18Fp8KVCacheDataTypeE0EhLi32ELi128ELi256ELb0ELi2EL8MFMAType0EEvPKT_PKT0_S9_ifPKiSB_SB_iPKfiiiPfSE_PS4_PT2_iSD_SD_
	.p2align	8
	.type	_Z39paged_attention_ll4mi_QKV_mfma16_kernelI14__hip_bfloat16S0_LN4vllm18Fp8KVCacheDataTypeE0EhLi32ELi128ELi256ELb0ELi2EL8MFMAType0EEvPKT_PKT0_S9_ifPKiSB_SB_iPKfiiiPfSE_PS4_PT2_iSD_SD_,@function
_Z39paged_attention_ll4mi_QKV_mfma16_kernelI14__hip_bfloat16S0_LN4vllm18Fp8KVCacheDataTypeE0EhLi32ELi128ELi256ELb0ELi2EL8MFMAType0EEvPKT_PKT0_S9_ifPKiSB_SB_iPKfiiiPfSE_PS4_PT2_iSD_SD_: ; @_Z39paged_attention_ll4mi_QKV_mfma16_kernelI14__hip_bfloat16S0_LN4vllm18Fp8KVCacheDataTypeE0EhLi32ELi128ELi256ELb0ELi2EL8MFMAType0EEvPKT_PKT0_S9_ifPKiSB_SB_iPKfiiiPfSE_PS4_PT2_iSD_SD_
; %bb.0:
	s_load_b64 s[2:3], s[0:1], 0x30
	s_mov_b32 s30, s13
	s_waitcnt lgkmcnt(0)
	s_cmp_lg_u64 s[2:3], 0
	s_cselect_b32 s6, -1, 0
	s_ashr_i32 s31, s13, 31
	s_cmp_eq_u64 s[2:3], 0
	s_cbranch_scc1 .LBB727_3
; %bb.1:
	s_lshl_b64 s[4:5], s[30:31], 2
	s_delay_alu instid0(SALU_CYCLE_1) | instskip(SKIP_4) | instid1(SALU_CYCLE_1)
	s_add_u32 s4, s2, s4
	s_addc_u32 s5, s3, s5
	s_load_b64 s[4:5], s[4:5], 0x0
	s_waitcnt lgkmcnt(0)
	s_sub_i32 s4, s5, s4
	s_cmp_eq_u32 s4, 1
	s_cselect_b32 s4, -1, 0
	s_delay_alu instid0(SALU_CYCLE_1)
	s_and_not1_b32 vcc_lo, exec_lo, s4
	s_cbranch_vccz .LBB727_4
.LBB727_2:
	s_endpgm
.LBB727_3:
.LBB727_4:
	s_load_b64 s[8:9], s[0:1], 0x28
	s_lshl_b64 s[4:5], s[30:31], 2
	s_waitcnt lgkmcnt(0)
	s_add_u32 s8, s8, s4
	s_addc_u32 s9, s9, s5
	s_lshl_b32 s16, s14, 8
	s_load_b32 s18, s[8:9], 0x0
	s_waitcnt lgkmcnt(0)
	s_cmp_ge_i32 s16, s18
	s_cbranch_scc1 .LBB727_2
; %bb.5:
	s_and_not1_b32 vcc_lo, exec_lo, s6
	s_cbranch_vccnz .LBB727_7
; %bb.6:
	s_add_u32 s2, s2, s4
	s_addc_u32 s3, s3, s5
	s_load_b32 s3, s[2:3], 0x0
	s_branch .LBB727_8
.LBB727_7:
	s_mov_b32 s3, s30
.LBB727_8:
	s_clause 0x2
	s_load_b128 s[8:11], s[0:1], 0x8
	s_load_b64 s[12:13], s[0:1], 0x20
	s_load_b128 s[4:7], s[0:1], 0x48
	v_and_b32_e32 v73, 15, v0
	v_bfe_u32 v86, v0, 4, 1
	v_cmp_gt_u32_e64 s2, 32, v0
	s_lshl_b32 s31, s15, 1
	s_waitcnt lgkmcnt(0)
	s_mov_b32 s7, exec_lo
	v_lshlrev_b32_e32 v1, 3, v73
	v_cmpx_lt_u32_e32 31, v0
	s_xor_b32 s7, exec_lo, s7
; %bb.9:
	v_mov_b32_e32 v2, 0
; %bb.10:
	s_or_saveexec_b32 s7, s7
	v_and_b32_e32 v74, 31, v0
	v_and_b32_e32 v85, 1, v0
	v_or_b32_e32 v84, s31, v86
	v_lshlrev_b32_e32 v83, 6, v86
	s_xor_b32 exec_lo, exec_lo, s7
	s_cbranch_execz .LBB727_12
; %bb.11:
	s_load_b64 s[20:21], s[0:1], 0x0
	v_lshlrev_b32_e32 v2, 7, v84
	s_mul_hi_i32 s23, s3, s4
	s_mul_i32 s22, s3, s4
	v_lshlrev_b32_e32 v4, 1, v1
	s_lshl_b64 s[22:23], s[22:23], 1
	v_ashrrev_i32_e32 v3, 31, v2
	v_lshlrev_b32_e32 v7, 10, v85
	s_delay_alu instid0(VALU_DEP_2) | instskip(SKIP_3) | instid1(VALU_DEP_1)
	v_lshlrev_b64 v[2:3], 1, v[2:3]
	s_waitcnt lgkmcnt(0)
	s_add_u32 s3, s20, s22
	s_addc_u32 s4, s21, s23
	v_add_co_u32 v2, vcc_lo, s3, v2
	s_delay_alu instid0(VALU_DEP_2) | instskip(NEXT) | instid1(VALU_DEP_2)
	v_add_co_ci_u32_e32 v3, vcc_lo, s4, v3, vcc_lo
	v_add_co_u32 v2, vcc_lo, v2, v4
	s_delay_alu instid0(VALU_DEP_2) | instskip(SKIP_2) | instid1(VALU_DEP_1)
	v_add_co_ci_u32_e32 v3, vcc_lo, 0, v3, vcc_lo
	global_load_b128 v[3:6], v[2:3], off
	v_lshlrev_b32_e32 v2, 10, v73
	v_and_b32_e32 v2, 0x3800, v2
	s_delay_alu instid0(VALU_DEP_1)
	v_or3_b32 v7, v2, v7, v83
	v_mov_b32_e32 v2, 0
	s_waitcnt vmcnt(0)
	ds_store_b128 v7, v[3:6]
.LBB727_12:
	s_or_b32 exec_lo, exec_lo, s7
	v_and_b32_e32 v3, 0xef, v0
	s_add_i32 s3, s18, 31
	s_clause 0x1
	s_load_b32 s4, s[0:1], 0x38
	s_load_b32 s19, s[0:1], 0x1c
	s_ashr_i32 s7, s3, 31
	v_add_nc_u32_e32 v3, s16, v3
	s_lshr_b32 s7, s7, 27
	s_waitcnt lgkmcnt(0)
	s_add_i32 s3, s3, s7
	s_barrier
	v_ashrrev_i32_e32 v4, 31, v3
	v_cmp_gt_i32_e32 vcc_lo, s18, v3
	s_ashr_i32 s3, s3, 5
	buffer_gl0_inv
	s_add_i32 s3, s3, -1
	v_lshrrev_b32_e32 v5, 27, v4
	v_or_b32_e32 v4, 16, v3
	s_mul_i32 s6, s15, s6
	v_lshlrev_b64 v[81:82], 1, v[1:2]
	v_lshlrev_b32_e32 v80, 6, v85
	v_add_nc_u32_e32 v6, v3, v5
	v_add_nc_u32_e32 v5, v4, v5
	s_mul_i32 s20, s30, s4
	s_delay_alu instid0(SALU_CYCLE_1) | instskip(NEXT) | instid1(VALU_DEP_2)
	s_ashr_i32 s21, s20, 31
	v_ashrrev_i32_e32 v6, 5, v6
	s_delay_alu instid0(VALU_DEP_2) | instskip(SKIP_1) | instid1(SALU_CYCLE_1)
	v_ashrrev_i32_e32 v5, 5, v5
	s_lshl_b64 s[20:21], s[20:21], 2
	s_add_u32 s4, s12, s20
	s_delay_alu instid0(VALU_DEP_2) | instskip(SKIP_3) | instid1(SALU_CYCLE_1)
	v_cndmask_b32_e32 v3, s3, v6, vcc_lo
	v_cmp_gt_i32_e32 vcc_lo, s18, v4
	s_addc_u32 s17, s13, s21
	s_ashr_i32 s7, s6, 31
	s_lshl_b64 s[6:7], s[6:7], 1
	v_cndmask_b32_e32 v5, s3, v5, vcc_lo
	v_ashrrev_i32_e32 v4, 31, v3
	s_add_u32 s15, s8, s6
	s_addc_u32 s28, s9, s7
	s_lshl_b32 s8, s14, 3
	v_ashrrev_i32_e32 v6, 31, v5
	v_lshlrev_b64 v[3:4], 2, v[3:4]
	s_ashr_i32 s9, s8, 31
	s_delay_alu instid0(SALU_CYCLE_1) | instskip(NEXT) | instid1(VALU_DEP_2)
	s_lshl_b64 s[8:9], s[8:9], 2
	v_lshlrev_b64 v[5:6], 2, v[5:6]
	s_add_u32 s8, s4, s8
	s_delay_alu instid0(VALU_DEP_2) | instskip(SKIP_1) | instid1(VALU_DEP_3)
	v_add_co_u32 v3, vcc_lo, s4, v3
	v_add_co_ci_u32_e32 v4, vcc_lo, s17, v4, vcc_lo
	v_add_co_u32 v5, vcc_lo, s4, v5
	s_delay_alu instid0(VALU_DEP_4)
	v_add_co_ci_u32_e32 v6, vcc_lo, s17, v6, vcc_lo
	s_addc_u32 s9, s17, s9
	s_clause 0x1
	global_load_b32 v7, v[3:4], off
	global_load_b32 v8, v[5:6], off
	s_or_b32 s12, s16, 32
	s_delay_alu instid0(SALU_CYCLE_1) | instskip(SKIP_2) | instid1(SALU_CYCLE_1)
	s_ashr_i32 s13, s12, 5
	s_cmp_lt_i32 s12, s18
	s_cselect_b32 s12, s13, s3
	s_ashr_i32 s13, s12, 31
	s_delay_alu instid0(SALU_CYCLE_1) | instskip(NEXT) | instid1(SALU_CYCLE_1)
	s_lshl_b64 s[12:13], s[12:13], 2
	s_add_u32 s12, s4, s12
	s_addc_u32 s13, s17, s13
	s_or_b32 s20, s16, 64
	s_delay_alu instid0(SALU_CYCLE_1) | instskip(SKIP_2) | instid1(SALU_CYCLE_1)
	s_ashr_i32 s21, s20, 5
	s_cmp_lt_i32 s20, s18
	s_cselect_b32 s20, s21, s3
	s_ashr_i32 s21, s20, 31
	s_delay_alu instid0(SALU_CYCLE_1) | instskip(NEXT) | instid1(SALU_CYCLE_1)
	s_lshl_b64 s[20:21], s[20:21], 2
	s_add_u32 s20, s4, s20
	s_addc_u32 s21, s17, s21
	;; [unrolled: 10-line block ×5, first 2 shown]
	s_clause 0x5
	s_load_b32 s29, s[8:9], 0x0
	s_load_b32 s33, s[12:13], 0x0
	s_load_b32 s34, s[20:21], 0x0
	s_load_b32 s35, s[22:23], 0x0
	s_load_b32 s36, s[24:25], 0x0
	s_load_b32 s37, s[26:27], 0x0
	s_mov_b32 s20, 0
	s_or_b32 s8, s16, 0xc0
	s_mov_b32 s27, s20
	s_mov_b32 s21, s20
	;; [unrolled: 1-line block ×7, first 2 shown]
	s_delay_alu instid0(SALU_CYCLE_1)
	v_dual_mov_b32 v110, s27 :: v_dual_mov_b32 v109, s26
	v_dual_mov_b32 v108, s25 :: v_dual_mov_b32 v107, s24
	v_mov_b32_e32 v104, s21
	v_dual_mov_b32 v106, s23 :: v_dual_mov_b32 v105, s22
	v_mov_b32_e32 v103, s20
	s_ashr_i32 s9, s8, 5
	s_cmp_lt_i32 s8, s18
	s_waitcnt lgkmcnt(0)
	s_mul_hi_i32 s13, s29, s5
	s_cselect_b32 s8, s9, s3
	s_mul_i32 s12, s29, s5
	s_ashr_i32 s9, s8, 31
	s_mul_hi_i32 s21, s33, s5
	s_lshl_b64 s[8:9], s[8:9], 2
	s_mul_i32 s20, s33, s5
	s_add_u32 s8, s4, s8
	s_addc_u32 s9, s17, s9
	s_mul_hi_i32 s25, s34, s5
	s_mul_i32 s24, s34, s5
	s_mul_hi_i32 s27, s35, s5
	s_mul_i32 s26, s35, s5
	;; [unrolled: 2-line block ×3, first 2 shown]
	s_waitcnt vmcnt(1)
	v_mad_i64_i32 v[3:4], null, v7, s5, 0
	s_waitcnt vmcnt(0)
	v_mad_i64_i32 v[5:6], null, v8, s5, 0
	s_delay_alu instid0(VALU_DEP_2) | instskip(NEXT) | instid1(VALU_DEP_2)
	v_lshlrev_b64 v[3:4], 1, v[3:4]
	v_lshlrev_b64 v[1:2], 1, v[5:6]
	s_delay_alu instid0(VALU_DEP_2) | instskip(NEXT) | instid1(VALU_DEP_3)
	v_add_co_u32 v3, vcc_lo, s15, v3
	v_add_co_ci_u32_e32 v4, vcc_lo, s28, v4, vcc_lo
	s_delay_alu instid0(VALU_DEP_3) | instskip(NEXT) | instid1(VALU_DEP_4)
	v_add_co_u32 v1, vcc_lo, s15, v1
	v_add_co_ci_u32_e32 v2, vcc_lo, s28, v2, vcc_lo
	s_delay_alu instid0(VALU_DEP_4) | instskip(NEXT) | instid1(VALU_DEP_4)
	v_add_co_u32 v65, vcc_lo, v3, v81
	v_add_co_ci_u32_e32 v66, vcc_lo, v4, v82, vcc_lo
	s_delay_alu instid0(VALU_DEP_4) | instskip(NEXT) | instid1(VALU_DEP_4)
	v_add_co_u32 v75, vcc_lo, v1, v81
	v_add_co_ci_u32_e32 v76, vcc_lo, v2, v82, vcc_lo
	s_clause 0xf
	global_load_b128 v[1:4], v[65:66], off
	global_load_b128 v[5:8], v[65:66], off offset:512
	global_load_b128 v[9:12], v[75:76], off offset:256
	;; [unrolled: 1-line block ×15, first 2 shown]
	v_add_co_u32 v77, vcc_lo, 0x1000, v65
	v_add_co_ci_u32_e32 v78, vcc_lo, 0, v66, vcc_lo
	v_add_co_u32 v75, vcc_lo, 0x1000, v75
	s_clause 0x1
	global_load_b128 v[65:68], v[77:78], off
	global_load_b128 v[69:72], v[77:78], off offset:512
	ds_load_b128 v[87:90], v80
	ds_load_b128 v[91:94], v80 offset:1024
	v_add_co_ci_u32_e32 v76, vcc_lo, 0, v76, vcc_lo
	s_clause 0x1
	global_load_b128 v[95:98], v[75:76], off offset:256
	global_load_b128 v[99:102], v[75:76], off offset:768
	ds_load_b128 v[111:114], v80 offset:2048
	ds_load_b128 v[115:118], v80 offset:3072
	s_or_b32 s15, s16, 0xe0
	s_delay_alu instid0(SALU_CYCLE_1) | instskip(SKIP_2) | instid1(SALU_CYCLE_1)
	s_ashr_i32 s22, s15, 5
	s_cmp_lt_i32 s15, s18
	s_cselect_b32 s22, s22, s3
	s_ashr_i32 s23, s22, 31
	s_delay_alu instid0(SALU_CYCLE_1) | instskip(NEXT) | instid1(SALU_CYCLE_1)
	s_lshl_b64 s[22:23], s[22:23], 2
	s_add_u32 s22, s4, s22
	s_addc_u32 s23, s17, s23
	s_add_i32 s15, s16, 0x100
	s_delay_alu instid0(SALU_CYCLE_1) | instskip(SKIP_2) | instid1(SALU_CYCLE_1)
	s_ashr_i32 s28, s15, 5
	s_cmp_lt_i32 s15, s18
	s_cselect_b32 s28, s28, s3
	s_ashr_i32 s29, s28, 31
	s_delay_alu instid0(SALU_CYCLE_1) | instskip(NEXT) | instid1(SALU_CYCLE_1)
	s_lshl_b64 s[28:29], s[28:29], 2
	s_add_u32 s28, s4, s28
	s_addc_u32 s29, s17, s29
	s_add_u32 s3, s10, s6
	s_waitcnt vmcnt(18) lgkmcnt(2)
	v_wmma_f32_16x16x16_bf16 v[119:126], v[1:8], v[87:94], v[103:110]
	s_waitcnt vmcnt(16)
	v_wmma_f32_16x16x16_bf16 v[103:110], v[9:16], v[87:94], v[103:110]
	s_clause 0x3
	global_load_b128 v[1:4], v[77:78], off offset:1024
	global_load_b128 v[5:8], v[77:78], off offset:1536
	;; [unrolled: 1-line block ×4, first 2 shown]
	s_waitcnt vmcnt(18) lgkmcnt(0)
	v_wmma_f32_16x16x16_bf16 v[119:126], v[17:24], v[111:118], v[119:126]
	s_clause 0x1
	global_load_b128 v[17:20], v[77:78], off offset:2048
	global_load_b128 v[21:24], v[77:78], off offset:2560
	s_waitcnt vmcnt(18)
	v_wmma_f32_16x16x16_bf16 v[103:110], v[25:32], v[111:118], v[103:110]
	s_clause 0x1
	global_load_b128 v[25:28], v[75:76], off offset:2304
	global_load_b128 v[29:32], v[75:76], off offset:2816
	ds_load_b128 v[87:90], v80 offset:4096
	ds_load_b128 v[91:94], v80 offset:5120
	s_clause 0x3
	global_load_b128 v[111:114], v[77:78], off offset:3072
	global_load_b128 v[115:118], v[77:78], off offset:3584
	;; [unrolled: 1-line block ×4, first 2 shown]
	v_lshrrev_b32_e32 v75, 5, v0
	s_waitcnt vmcnt(22) lgkmcnt(0)
	v_wmma_f32_16x16x16_bf16 v[119:126], v[33:40], v[87:94], v[119:126]
	ds_load_b128 v[33:36], v80 offset:6144
	ds_load_b128 v[37:40], v80 offset:7168
	s_waitcnt vmcnt(20)
	v_wmma_f32_16x16x16_bf16 v[103:110], v[41:48], v[87:94], v[103:110]
	v_lshlrev_b32_e32 v87, 6, v73
	ds_load_b128 v[41:44], v80 offset:8192
	ds_load_b128 v[45:48], v80 offset:9216
	s_waitcnt vmcnt(18) lgkmcnt(2)
	v_wmma_f32_16x16x16_bf16 v[119:126], v[49:56], v[33:40], v[119:126]
	v_lshl_or_b32 v49, v75, 10, v87
	s_waitcnt vmcnt(16)
	v_wmma_f32_16x16x16_bf16 v[103:110], v[57:64], v[33:40], v[103:110]
	ds_load_b128 v[33:36], v80 offset:10240
	ds_load_b128 v[37:40], v80 offset:11264
	;; [unrolled: 1-line block ×4, first 2 shown]
	s_clause 0x2
	s_load_b32 s15, s[8:9], 0x0
	s_load_b32 s4, s[22:23], 0x0
	;; [unrolled: 1-line block ×3, first 2 shown]
	s_addc_u32 s28, s11, s7
	v_add_co_u32 v143, s3, s3, v49
	s_delay_alu instid0(VALU_DEP_1) | instskip(SKIP_2) | instid1(VALU_DEP_2)
	v_add_co_ci_u32_e64 v144, null, s28, 0, s3
	s_lshl_b64 s[6:7], s[12:13], 1
	s_lshl_b64 s[10:11], s[20:21], 1
	v_add_co_u32 v49, vcc_lo, v143, s6
	s_delay_alu instid0(VALU_DEP_2)
	v_add_co_ci_u32_e32 v50, vcc_lo, s7, v144, vcc_lo
	v_add_co_u32 v51, vcc_lo, v143, s10
	s_lshl_b64 s[12:13], s[24:25], 1
	v_add_co_ci_u32_e32 v52, vcc_lo, s11, v144, vcc_lo
	v_add_co_u32 v53, vcc_lo, v143, s12
	s_lshl_b64 s[20:21], s[26:27], 1
	s_mul_hi_i32 s9, s36, s5
	s_mul_i32 s8, s36, s5
	v_add_co_ci_u32_e32 v54, vcc_lo, s13, v144, vcc_lo
	v_add_co_u32 v76, vcc_lo, v143, s20
	s_lshl_b64 s[8:9], s[8:9], 1
	v_add_co_ci_u32_e32 v77, vcc_lo, s21, v144, vcc_lo
	v_add_co_u32 v78, vcc_lo, v143, s8
	s_lshl_b64 s[22:23], s[34:35], 1
	s_waitcnt lgkmcnt(0)
	s_mul_hi_i32 s25, s15, s5
	s_mul_i32 s24, s15, s5
	v_add_co_ci_u32_e32 v79, vcc_lo, s9, v144, vcc_lo
	v_add_co_u32 v88, vcc_lo, v143, s22
	s_lshl_b64 s[24:25], s[24:25], 1
	s_waitcnt vmcnt(12)
	v_wmma_f32_16x16x16_bf16 v[103:110], v[95:102], v[41:48], v[103:110]
	v_wmma_f32_16x16x16_bf16 v[119:126], v[65:72], v[41:48], v[119:126]
	v_add_co_ci_u32_e32 v89, vcc_lo, s23, v144, vcc_lo
	s_mul_hi_i32 s7, s4, s5
	s_mul_i32 s6, s4, s5
	v_add_co_u32 v90, vcc_lo, v143, s24
	s_lshl_b64 s[6:7], s[6:7], 1
	v_add_co_ci_u32_e32 v91, vcc_lo, s25, v144, vcc_lo
	s_clause 0x5
	global_load_b128 v[65:68], v[49:50], off
	global_load_b128 v[69:72], v[49:50], off offset:16
	global_load_b128 v[57:60], v[51:52], off
	global_load_b128 v[61:64], v[51:52], off offset:16
	;; [unrolled: 2-line block ×3, first 2 shown]
	s_waitcnt vmcnt(16)
	v_wmma_f32_16x16x16_bf16 v[119:126], v[1:8], v[33:40], v[119:126]
	s_waitcnt vmcnt(14)
	v_wmma_f32_16x16x16_bf16 v[103:110], v[9:16], v[33:40], v[103:110]
	s_clause 0x3
	global_load_b128 v[41:44], v[76:77], off
	global_load_b128 v[45:48], v[76:77], off offset:16
	global_load_b128 v[9:12], v[78:79], off
	global_load_b128 v[13:16], v[78:79], off offset:16
	v_add_co_u32 v76, vcc_lo, v143, s6
	v_add_co_ci_u32_e32 v77, vcc_lo, s7, v144, vcc_lo
	s_mul_hi_i32 s7, s17, s5
	s_mul_i32 s6, s17, s5
	s_waitcnt vmcnt(16)
	v_wmma_f32_16x16x16_bf16 v[119:126], v[17:24], v[135:142], v[119:126]
	s_lshl_b64 s[4:5], s[6:7], 1
	s_clause 0x1
	global_load_b128 v[1:4], v[88:89], off
	global_load_b128 v[5:8], v[88:89], off offset:16
	v_add_co_u32 v21, vcc_lo, v143, s4
	v_add_co_ci_u32_e32 v22, vcc_lo, s5, v144, vcc_lo
	s_waitcnt vmcnt(16)
	v_wmma_f32_16x16x16_bf16 v[103:110], v[25:32], v[135:142], v[103:110]
	s_clause 0x3
	global_load_b128 v[33:36], v[90:91], off
	global_load_b128 v[37:40], v[90:91], off offset:16
	global_load_b128 v[25:28], v[76:77], off
	global_load_b128 v[29:32], v[76:77], off offset:16
	ds_load_b128 v[88:91], v80 offset:14336
	ds_load_b128 v[92:95], v80 offset:15360
	s_clause 0x1
	global_load_b128 v[17:20], v[21:22], off
	global_load_b128 v[21:24], v[21:22], off offset:16
	v_and_b32_e32 v76, 0xe0, v0
	v_mbcnt_lo_u32_b32 v77, -1, 0
	s_waitcnt vmcnt(0) lgkmcnt(0)
	s_barrier
	buffer_gl0_inv
	v_add_nc_u32_e32 v76, s16, v76
	v_xor_b32_e32 v78, 16, v77
	s_delay_alu instid0(VALU_DEP_2) | instskip(NEXT) | instid1(VALU_DEP_2)
	v_or_b32_e32 v76, v76, v86
	v_cmp_gt_i32_e32 vcc_lo, 32, v78
	s_delay_alu instid0(VALU_DEP_2)
	v_or_b32_e32 v79, 4, v76
	v_or_b32_e32 v80, 6, v76
	;; [unrolled: 1-line block ×3, first 2 shown]
	v_wmma_f32_16x16x16_bf16 v[119:126], v[111:118], v[88:95], v[119:126]
	v_cndmask_b32_e32 v77, v77, v78, vcc_lo
	v_or_b32_e32 v78, 2, v76
	v_cmp_gt_i32_e32 vcc_lo, s18, v76
	v_wmma_f32_16x16x16_bf16 v[103:110], v[127:134], v[88:95], v[103:110]
	v_mul_f32_e32 v100, s19, v120
	v_mul_f32_e32 v98, s19, v119
	v_cmp_gt_i32_e64 s3, s18, v78
	v_or_b32_e32 v88, 8, v76
	v_or_b32_e32 v89, 10, v76
	;; [unrolled: 1-line block ×11, first 2 shown]
	v_cndmask_b32_e32 v76, 0xff7fffff, v98, vcc_lo
	v_cndmask_b32_e64 v78, 0xff7fffff, v100, s3
	v_mul_f32_e32 v100, s19, v122
	v_cmp_gt_i32_e64 s4, s18, v80
	v_mul_f32_e32 v80, s19, v121
	v_cmp_gt_i32_e64 s5, s18, v79
	v_dual_mul_f32 v98, s19, v126 :: v_dual_mul_f32 v79, s19, v124
	v_cmp_gt_i32_e64 s6, s18, v88
	v_cmp_gt_i32_e64 s7, s18, v89
	s_delay_alu instid0(VALU_DEP_4)
	v_cndmask_b32_e64 v80, 0xff7fffff, v80, s5
	v_mul_f32_e32 v89, s19, v109
	v_cndmask_b32_e64 v100, 0xff7fffff, v100, s4
	v_cmp_gt_i32_e64 s8, s18, v91
	v_cmp_gt_i32_e64 s9, s18, v90
	;; [unrolled: 1-line block ×10, first 2 shown]
	v_lshlrev_b32_e32 v101, 2, v77
	v_max3_f32 v76, v76, 0xff7fffff, v78
	v_dual_mul_f32 v78, s19, v123 :: v_dual_mul_f32 v91, s19, v104
	v_cndmask_b32_e64 v79, 0xff7fffff, v79, s7
	v_mul_f32_e32 v90, s19, v103
	s_delay_alu instid0(VALU_DEP_4) | instskip(NEXT) | instid1(VALU_DEP_4)
	v_max3_f32 v76, v76, v80, v100
	v_cndmask_b32_e64 v78, 0xff7fffff, v78, s6
	v_mul_f32_e32 v80, s19, v125
	v_cndmask_b32_e64 v98, 0xff7fffff, v98, s8
	v_mul_f32_e32 v92, s19, v105
	v_cndmask_b32_e64 v90, 0xff7fffff, v90, s10
	v_max3_f32 v76, v76, v78, v79
	v_cndmask_b32_e64 v80, 0xff7fffff, v80, s9
	v_mul_f32_e32 v79, s19, v106
	v_cndmask_b32_e64 v91, 0xff7fffff, v91, s11
	v_mul_f32_e32 v100, s19, v108
	v_mul_f32_e32 v78, s19, v107
	v_max3_f32 v76, v76, v80, v98
	v_cndmask_b32_e64 v80, 0xff7fffff, v92, s12
	v_cndmask_b32_e64 v79, 0xff7fffff, v79, s13
	v_mul_f32_e32 v88, s19, v110
	v_cndmask_b32_e64 v78, 0xff7fffff, v78, s15
	v_max3_f32 v76, v76, v90, v91
	v_cndmask_b32_e64 v90, 0xff7fffff, v100, s16
	s_delay_alu instid0(VALU_DEP_2) | instskip(SKIP_2) | instid1(VALU_DEP_3)
	v_max3_f32 v76, v76, v80, v79
	v_cndmask_b32_e64 v79, 0xff7fffff, v89, s17
	v_cndmask_b32_e64 v80, 0xff7fffff, v88, s18
	v_max3_f32 v76, v76, v78, v90
	s_delay_alu instid0(VALU_DEP_1) | instskip(SKIP_3) | instid1(VALU_DEP_1)
	v_max3_f32 v76, v76, v79, v80
	ds_bpermute_b32 v77, v101, v76
	s_waitcnt lgkmcnt(0)
	v_max_f32_e32 v77, v77, v77
	v_max_f32_e32 v91, v76, v77
	s_delay_alu instid0(VALU_DEP_1) | instskip(SKIP_4) | instid1(VALU_DEP_4)
	v_fma_f32 v76, s19, v119, -v91
	v_fma_f32 v77, s19, v120, -v91
	;; [unrolled: 1-line block ×5, first 2 shown]
	v_dual_mul_f32 v76, 0x3fb8aa3b, v76 :: v_dual_mul_f32 v77, 0x3fb8aa3b, v77
	s_delay_alu instid0(VALU_DEP_4) | instskip(SKIP_2) | instid1(VALU_DEP_4)
	v_mul_f32_e32 v79, 0x3fb8aa3b, v79
	v_fma_f32 v88, s19, v125, -v91
	v_fma_f32 v89, s19, v107, -v91
	v_exp_f32_e32 v76, v76
	v_exp_f32_e32 v77, v77
	;; [unrolled: 1-line block ×3, first 2 shown]
	s_delay_alu instid0(VALU_DEP_1) | instskip(SKIP_2) | instid1(VALU_DEP_3)
	v_dual_mul_f32 v88, 0x3fb8aa3b, v88 :: v_dual_mul_f32 v89, 0x3fb8aa3b, v89
	v_fma_f32 v100, s19, v109, -v91
	v_fma_f32 v102, s19, v110, -v91
	v_exp_f32_e32 v88, v88
	s_delay_alu instid0(VALU_DEP_3) | instskip(SKIP_3) | instid1(TRANS32_DEP_3)
	v_exp_f32_e32 v89, v89
	v_cndmask_b32_e32 v93, 0, v76, vcc_lo
	v_cndmask_b32_e64 v92, 0, v77, s3
	v_fma_f32 v76, s19, v124, -v91
	v_cndmask_b32_e64 v96, 0, v79, s4
	v_fma_f32 v79, s19, v103, -v91
	v_dual_add_f32 v77, 0, v93 :: v_dual_mul_f32 v78, 0x3fb8aa3b, v78
	v_mul_f32_e32 v80, 0x3fb8aa3b, v80
	s_delay_alu instid0(VALU_DEP_3) | instskip(NEXT) | instid1(VALU_DEP_3)
	v_dual_mul_f32 v76, 0x3fb8aa3b, v76 :: v_dual_mul_f32 v79, 0x3fb8aa3b, v79
	v_add_f32_e32 v77, v77, v92
	s_delay_alu instid0(VALU_DEP_4) | instskip(NEXT) | instid1(VALU_DEP_3)
	v_exp_f32_e32 v78, v78
	v_exp_f32_e32 v80, v80
	s_delay_alu instid0(VALU_DEP_2)
	v_exp_f32_e32 v76, v76
	v_exp_f32_e32 v79, v79
	v_cndmask_b32_e64 v95, 0, v88, s9
	v_fma_f32 v88, s19, v106, -v91
	v_mul_f32_e32 v102, 0x3fb8aa3b, v102
	s_mov_b32 s3, exec_lo
	v_cndmask_b32_e64 v94, 0, v78, s5
	v_fma_f32 v78, s19, v126, -v91
	s_delay_alu instid0(TRANS32_DEP_3)
	v_cndmask_b32_e64 v97, 0, v80, s6
	v_fma_f32 v80, s19, v104, -v91
	v_cndmask_b32_e64 v98, 0, v76, s7
	v_add_f32_e32 v77, v77, v94
	v_mul_f32_e32 v78, 0x3fb8aa3b, v78
	v_mul_f32_e32 v88, 0x3fb8aa3b, v88
	;; [unrolled: 1-line block ×3, first 2 shown]
	v_exp_f32_e32 v102, v102
	v_add_f32_e32 v77, v77, v96
	v_exp_f32_e32 v78, v78
	v_exp_f32_e32 v88, v88
	;; [unrolled: 1-line block ×3, first 2 shown]
	s_delay_alu instid0(VALU_DEP_1) | instskip(SKIP_1) | instid1(VALU_DEP_1)
	v_add_f32_e32 v76, v77, v97
	v_fma_f32 v77, s19, v105, -v91
	v_dual_add_f32 v76, v76, v98 :: v_dual_mul_f32 v77, 0x3fb8aa3b, v77
	s_delay_alu instid0(TRANS32_DEP_3) | instskip(NEXT) | instid1(VALU_DEP_2)
	v_cndmask_b32_e64 v99, 0, v78, s8
	v_add_f32_e32 v78, v76, v95
	s_delay_alu instid0(VALU_DEP_3) | instskip(SKIP_2) | instid1(TRANS32_DEP_2)
	v_exp_f32_e32 v90, v77
	v_cndmask_b32_e64 v76, 0, v79, s10
	v_fma_f32 v79, s19, v108, -v91
	v_cndmask_b32_e64 v77, 0, v80, s11
	v_add_f32_e32 v78, v78, v99
	s_delay_alu instid0(VALU_DEP_1)
	v_dual_mul_f32 v79, 0x3fb8aa3b, v79 :: v_dual_add_f32 v80, v78, v76
	s_waitcnt_depctr 0xfff
	v_cndmask_b32_e64 v78, 0, v90, s12
	v_mul_f32_e32 v90, 0x3fb8aa3b, v100
	v_exp_f32_e32 v100, v79
	v_cndmask_b32_e64 v79, 0, v88, s13
	v_add_f32_e32 v80, v80, v77
	s_delay_alu instid0(VALU_DEP_3) | instskip(NEXT) | instid1(VALU_DEP_1)
	v_exp_f32_e32 v90, v90
	v_add_f32_e32 v88, v80, v78
	v_cndmask_b32_e64 v80, 0, v89, s15
	s_delay_alu instid0(VALU_DEP_2) | instskip(NEXT) | instid1(TRANS32_DEP_2)
	v_add_f32_e32 v89, v88, v79
	v_cndmask_b32_e64 v88, 0, v100, s16
	s_delay_alu instid0(VALU_DEP_2) | instskip(SKIP_3) | instid1(VALU_DEP_1)
	v_add_f32_e32 v100, v89, v80
	s_waitcnt_depctr 0xfff
	v_cndmask_b32_e64 v89, 0, v90, s17
	v_add_f32_e32 v90, v100, v88
	v_add_f32_e32 v100, v90, v89
	v_cndmask_b32_e64 v90, 0, v102, s18
	s_delay_alu instid0(VALU_DEP_1)
	v_add_f32_e32 v100, v100, v90
	ds_bpermute_b32 v101, v101, v100
	v_cmpx_gt_u32_e32 16, v74
	s_cbranch_execz .LBB727_14
; %bb.13:
	v_mul_u32_u24_e32 v74, 0x44, v75
	s_waitcnt lgkmcnt(0)
	v_add_f32_e32 v100, v100, v101
	s_delay_alu instid0(VALU_DEP_2) | instskip(NEXT) | instid1(VALU_DEP_1)
	v_lshl_add_u32 v74, v73, 2, v74
	v_add_nc_u32_e32 v74, 0x4000, v74
	ds_store_2addr_b32 v74, v91, v100 offset1:136
.LBB727_14:
	s_or_b32 exec_lo, exec_lo, s3
	v_lshlrev_b32_e32 v73, 2, v73
	s_waitcnt lgkmcnt(0)
	s_barrier
	buffer_gl0_inv
	v_cmp_eq_u32_e64 s3, 1, v75
	v_add_nc_u32_e32 v91, 0x4000, v73
	ds_load_2addr_b32 v[100:101], v91 offset1:17
	ds_load_2addr_b32 v[102:103], v91 offset0:34 offset1:51
	ds_load_2addr_b32 v[104:105], v91 offset0:68 offset1:85
	;; [unrolled: 1-line block ×4, first 2 shown]
	s_waitcnt lgkmcnt(4)
	v_max3_f32 v73, v100, 0xff7fffff, v101
	s_waitcnt lgkmcnt(3)
	s_delay_alu instid0(VALU_DEP_1) | instskip(SKIP_1) | instid1(VALU_DEP_1)
	v_max3_f32 v73, v73, v102, v103
	s_waitcnt lgkmcnt(2)
	v_max3_f32 v73, v73, v104, v105
	s_waitcnt lgkmcnt(1)
	s_delay_alu instid0(VALU_DEP_1) | instskip(NEXT) | instid1(VALU_DEP_1)
	v_max3_f32 v73, v73, v106, v107
	v_sub_f32_e32 v74, v100, v73
	v_sub_f32_e32 v102, v102, v73
	v_sub_f32_e32 v104, v104, v73
	s_delay_alu instid0(VALU_DEP_3) | instskip(NEXT) | instid1(VALU_DEP_3)
	v_mul_f32_e32 v74, 0x3fb8aa3b, v74
	v_mul_f32_e32 v112, 0x3fb8aa3b, v102
	s_delay_alu instid0(VALU_DEP_3) | instskip(NEXT) | instid1(VALU_DEP_3)
	v_mul_f32_e32 v114, 0x3fb8aa3b, v104
	v_exp_f32_e32 v111, v74
	v_sub_f32_e32 v74, v103, v73
	v_sub_f32_e32 v110, v101, v73
	ds_load_2addr_b32 v[100:101], v91 offset0:170 offset1:187
	v_exp_f32_e32 v112, v112
	v_mul_f32_e32 v113, 0x3fb8aa3b, v74
	v_mul_f32_e32 v110, 0x3fb8aa3b, v110
	s_waitcnt lgkmcnt(1)
	v_fma_f32 v74, v111, v108, 0
	v_sub_f32_e32 v108, v105, v73
	s_delay_alu instid0(VALU_DEP_3) | instskip(SKIP_4) | instid1(VALU_DEP_1)
	v_exp_f32_e32 v110, v110
	v_exp_f32_e32 v113, v113
	s_waitcnt_depctr 0xfff
	v_fmac_f32_e32 v74, v110, v109
	s_waitcnt lgkmcnt(0)
	v_fmac_f32_e32 v74, v112, v100
	ds_load_2addr_b32 v[102:103], v91 offset0:204 offset1:221
	ds_load_2addr_b32 v[104:105], v91 offset0:238 offset1:255
	v_dual_sub_f32 v91, v106, v73 :: v_dual_mul_f32 v106, 0x3fb8aa3b, v108
	v_exp_f32_e32 v108, v114
	v_sub_f32_e32 v100, v107, v73
	s_delay_alu instid0(VALU_DEP_2) | instskip(NEXT) | instid1(VALU_DEP_3)
	v_dual_fmac_f32 v74, v113, v101 :: v_dual_mul_f32 v91, 0x3fb8aa3b, v91
	v_exp_f32_e32 v106, v106
	s_waitcnt lgkmcnt(0)
	s_delay_alu instid0(VALU_DEP_2)
	v_mul_f32_e32 v100, 0x3fb8aa3b, v100
	s_barrier
	v_exp_f32_e32 v91, v91
	buffer_gl0_inv
	v_exp_f32_e32 v100, v100
	v_fmac_f32_e32 v74, v108, v102
	s_delay_alu instid0(VALU_DEP_1) | instskip(NEXT) | instid1(VALU_DEP_1)
	v_fmac_f32_e32 v74, v106, v103
	v_fmac_f32_e32 v74, v91, v104
	s_waitcnt_depctr 0xfff
	v_fmac_f32_e32 v74, v100, v105
	s_delay_alu instid0(VALU_DEP_1) | instskip(NEXT) | instid1(VALU_DEP_1)
	v_add_f32_e32 v101, 0x358637bd, v74
	v_div_scale_f32 v102, null, v101, v101, 1.0
	v_div_scale_f32 v105, vcc_lo, 1.0, v101, 1.0
	s_delay_alu instid0(VALU_DEP_2) | instskip(SKIP_2) | instid1(VALU_DEP_1)
	v_rcp_f32_e32 v103, v102
	s_waitcnt_depctr 0xfff
	v_fma_f32 v104, -v102, v103, 1.0
	v_fmac_f32_e32 v103, v104, v103
	v_cndmask_b32_e64 v104, v111, v110, s3
	v_cmp_eq_u32_e64 s3, 2, v75
	s_delay_alu instid0(VALU_DEP_3) | instskip(NEXT) | instid1(VALU_DEP_2)
	v_mul_f32_e32 v107, v105, v103
	v_cndmask_b32_e64 v104, v104, v112, s3
	v_cmp_eq_u32_e64 s3, 3, v75
	s_delay_alu instid0(VALU_DEP_3) | instskip(NEXT) | instid1(VALU_DEP_2)
	v_fma_f32 v109, -v102, v107, v105
	v_cndmask_b32_e64 v104, v104, v113, s3
	v_cmp_eq_u32_e64 s3, 4, v75
	s_delay_alu instid0(VALU_DEP_3) | instskip(NEXT) | instid1(VALU_DEP_2)
	v_fmac_f32_e32 v107, v109, v103
	v_cndmask_b32_e64 v104, v104, v108, s3
	s_delay_alu instid0(VALU_DEP_2) | instskip(SKIP_1) | instid1(VALU_DEP_2)
	v_fma_f32 v102, -v102, v107, v105
	v_cmp_eq_u32_e64 s3, 5, v75
	v_div_fmas_f32 v102, v102, v103, v107
	s_delay_alu instid0(VALU_DEP_2) | instskip(SKIP_2) | instid1(VALU_DEP_3)
	v_cndmask_b32_e64 v104, v104, v106, s3
	v_cmp_eq_u32_e32 vcc_lo, 6, v75
	s_mov_b32 s3, exec_lo
	v_div_fixup_f32 v101, v102, v101, 1.0
	s_delay_alu instid0(VALU_DEP_3) | instskip(SKIP_1) | instid1(VALU_DEP_2)
	v_cndmask_b32_e32 v91, v104, v91, vcc_lo
	v_cmp_eq_u32_e32 vcc_lo, 7, v75
	v_cndmask_b32_e32 v91, v91, v100, vcc_lo
	s_delay_alu instid0(VALU_DEP_1) | instskip(NEXT) | instid1(VALU_DEP_1)
	v_mul_f32_e32 v91, v91, v101
	v_mul_f32_e32 v101, v91, v93
	;; [unrolled: 1-line block ×6, first 2 shown]
	v_dual_mul_f32 v97, v91, v94 :: v_dual_and_b32 v102, 0x7f800000, v101
	v_mul_f32_e32 v100, v91, v96
	v_mul_f32_e32 v96, v91, v92
                                        ; implicit-def: $vgpr92
	s_delay_alu instid0(VALU_DEP_3)
	v_cmpx_ne_u32_e32 0x7f800000, v102
	s_xor_b32 s3, exec_lo, s3
; %bb.15:
	v_bfe_u32 v92, v101, 16, 1
	s_delay_alu instid0(VALU_DEP_1)
	v_add3_u32 v92, v101, v92, 0x7fff
                                        ; implicit-def: $vgpr101
; %bb.16:
	s_and_not1_saveexec_b32 s3, s3
; %bb.17:
	v_and_b32_e32 v92, 0xffff, v101
	v_or_b32_e32 v94, 0x10000, v101
	s_delay_alu instid0(VALU_DEP_2) | instskip(NEXT) | instid1(VALU_DEP_2)
	v_cmp_eq_u32_e32 vcc_lo, 0, v92
	v_cndmask_b32_e32 v92, v94, v101, vcc_lo
; %bb.18:
	s_or_b32 exec_lo, exec_lo, s3
	v_and_b32_e32 v94, 0x7f800000, v96
	s_delay_alu instid0(VALU_DEP_1) | instskip(SKIP_1) | instid1(SALU_CYCLE_1)
	v_cmp_ne_u32_e32 vcc_lo, 0x7f800000, v94
                                        ; implicit-def: $vgpr94
	s_and_saveexec_b32 s3, vcc_lo
	s_xor_b32 s3, exec_lo, s3
; %bb.19:
	v_bfe_u32 v94, v96, 16, 1
	s_delay_alu instid0(VALU_DEP_1)
	v_add3_u32 v94, v96, v94, 0x7fff
                                        ; implicit-def: $vgpr96
; %bb.20:
	s_and_not1_saveexec_b32 s3, s3
; %bb.21:
	v_and_b32_e32 v94, 0xffff, v96
	v_or_b32_e32 v101, 0x10000, v96
	s_delay_alu instid0(VALU_DEP_2) | instskip(NEXT) | instid1(VALU_DEP_2)
	v_cmp_eq_u32_e32 vcc_lo, 0, v94
	v_cndmask_b32_e32 v94, v101, v96, vcc_lo
; %bb.22:
	s_or_b32 exec_lo, exec_lo, s3
	v_and_b32_e32 v96, 0x7f800000, v97
	s_delay_alu instid0(VALU_DEP_1) | instskip(SKIP_1) | instid1(SALU_CYCLE_1)
	v_cmp_ne_u32_e32 vcc_lo, 0x7f800000, v96
                                        ; implicit-def: $vgpr96
	s_and_saveexec_b32 s3, vcc_lo
	s_xor_b32 s3, exec_lo, s3
; %bb.23:
	v_bfe_u32 v96, v97, 16, 1
	s_delay_alu instid0(VALU_DEP_1)
	v_add3_u32 v96, v97, v96, 0x7fff
                                        ; implicit-def: $vgpr97
; %bb.24:
	s_and_not1_saveexec_b32 s3, s3
; %bb.25:
	v_and_b32_e32 v96, 0xffff, v97
	v_or_b32_e32 v101, 0x10000, v97
	s_delay_alu instid0(VALU_DEP_2) | instskip(NEXT) | instid1(VALU_DEP_2)
	v_cmp_eq_u32_e32 vcc_lo, 0, v96
	v_cndmask_b32_e32 v96, v101, v97, vcc_lo
; %bb.26:
	s_or_b32 exec_lo, exec_lo, s3
	v_and_b32_e32 v97, 0x7f800000, v100
	s_delay_alu instid0(VALU_DEP_1) | instskip(SKIP_1) | instid1(SALU_CYCLE_1)
	v_cmp_ne_u32_e32 vcc_lo, 0x7f800000, v97
                                        ; implicit-def: $vgpr97
	s_and_saveexec_b32 s3, vcc_lo
	s_xor_b32 s3, exec_lo, s3
; %bb.27:
	v_bfe_u32 v97, v100, 16, 1
	s_delay_alu instid0(VALU_DEP_1)
	v_add3_u32 v97, v100, v97, 0x7fff
                                        ; implicit-def: $vgpr100
; %bb.28:
	s_and_not1_saveexec_b32 s3, s3
; %bb.29:
	v_and_b32_e32 v97, 0xffff, v100
	v_or_b32_e32 v101, 0x10000, v100
	s_delay_alu instid0(VALU_DEP_2) | instskip(NEXT) | instid1(VALU_DEP_2)
	v_cmp_eq_u32_e32 vcc_lo, 0, v97
	v_cndmask_b32_e32 v97, v101, v100, vcc_lo
; %bb.30:
	s_or_b32 exec_lo, exec_lo, s3
	v_and_b32_e32 v100, 0x7f800000, v99
	s_delay_alu instid0(VALU_DEP_1) | instskip(SKIP_1) | instid1(SALU_CYCLE_1)
	v_cmp_ne_u32_e32 vcc_lo, 0x7f800000, v100
                                        ; implicit-def: $vgpr100
	s_and_saveexec_b32 s3, vcc_lo
	s_xor_b32 s3, exec_lo, s3
; %bb.31:
	v_bfe_u32 v100, v99, 16, 1
	s_delay_alu instid0(VALU_DEP_1)
	v_add3_u32 v100, v99, v100, 0x7fff
                                        ; implicit-def: $vgpr99
; %bb.32:
	s_and_not1_saveexec_b32 s3, s3
; %bb.33:
	v_and_b32_e32 v100, 0xffff, v99
	v_or_b32_e32 v101, 0x10000, v99
	s_delay_alu instid0(VALU_DEP_2) | instskip(NEXT) | instid1(VALU_DEP_2)
	v_cmp_eq_u32_e32 vcc_lo, 0, v100
	v_cndmask_b32_e32 v100, v101, v99, vcc_lo
; %bb.34:
	s_or_b32 exec_lo, exec_lo, s3
	v_and_b32_e32 v99, 0x7f800000, v98
	s_delay_alu instid0(VALU_DEP_1) | instskip(SKIP_1) | instid1(SALU_CYCLE_1)
	v_cmp_ne_u32_e32 vcc_lo, 0x7f800000, v99
                                        ; implicit-def: $vgpr99
	s_and_saveexec_b32 s3, vcc_lo
	s_xor_b32 s3, exec_lo, s3
; %bb.35:
	v_bfe_u32 v99, v98, 16, 1
	s_delay_alu instid0(VALU_DEP_1)
	v_add3_u32 v99, v98, v99, 0x7fff
                                        ; implicit-def: $vgpr98
; %bb.36:
	s_and_not1_saveexec_b32 s3, s3
; %bb.37:
	v_and_b32_e32 v99, 0xffff, v98
	v_or_b32_e32 v101, 0x10000, v98
	s_delay_alu instid0(VALU_DEP_2) | instskip(NEXT) | instid1(VALU_DEP_2)
	v_cmp_eq_u32_e32 vcc_lo, 0, v99
	v_cndmask_b32_e32 v99, v101, v98, vcc_lo
; %bb.38:
	s_or_b32 exec_lo, exec_lo, s3
	v_and_b32_e32 v98, 0x7f800000, v95
	s_delay_alu instid0(VALU_DEP_1) | instskip(SKIP_1) | instid1(SALU_CYCLE_1)
	v_cmp_ne_u32_e32 vcc_lo, 0x7f800000, v98
                                        ; implicit-def: $vgpr98
	s_and_saveexec_b32 s3, vcc_lo
	s_xor_b32 s3, exec_lo, s3
; %bb.39:
	v_bfe_u32 v98, v95, 16, 1
	s_delay_alu instid0(VALU_DEP_1)
	v_add3_u32 v98, v95, v98, 0x7fff
                                        ; implicit-def: $vgpr95
; %bb.40:
	s_and_not1_saveexec_b32 s3, s3
; %bb.41:
	v_and_b32_e32 v98, 0xffff, v95
	v_or_b32_e32 v101, 0x10000, v95
	s_delay_alu instid0(VALU_DEP_2) | instskip(NEXT) | instid1(VALU_DEP_2)
	v_cmp_eq_u32_e32 vcc_lo, 0, v98
	v_cndmask_b32_e32 v98, v101, v95, vcc_lo
; %bb.42:
	s_or_b32 exec_lo, exec_lo, s3
	v_and_b32_e32 v95, 0x7f800000, v93
	s_delay_alu instid0(VALU_DEP_1) | instskip(SKIP_1) | instid1(SALU_CYCLE_1)
	v_cmp_ne_u32_e32 vcc_lo, 0x7f800000, v95
                                        ; implicit-def: $vgpr95
	s_and_saveexec_b32 s3, vcc_lo
	s_xor_b32 s3, exec_lo, s3
; %bb.43:
	v_bfe_u32 v95, v93, 16, 1
	s_delay_alu instid0(VALU_DEP_1)
	v_add3_u32 v95, v93, v95, 0x7fff
                                        ; implicit-def: $vgpr93
; %bb.44:
	s_and_not1_saveexec_b32 s3, s3
; %bb.45:
	v_and_b32_e32 v95, 0xffff, v93
	v_or_b32_e32 v101, 0x10000, v93
	s_delay_alu instid0(VALU_DEP_2) | instskip(NEXT) | instid1(VALU_DEP_2)
	v_cmp_eq_u32_e32 vcc_lo, 0, v95
	v_cndmask_b32_e32 v95, v101, v93, vcc_lo
; %bb.46:
	s_or_b32 exec_lo, exec_lo, s3
	s_load_b64 s[34:35], s[0:1], 0x94
	v_lshlrev_b32_e32 v93, 4, v86
	s_delay_alu instid0(VALU_DEP_2)
	v_perm_b32 v101, v95, v98, 0x7060302
	v_dual_mul_f32 v90, v91, v90 :: v_dual_lshlrev_b32 v95, 11, v75
	v_perm_b32 v98, v94, v92, 0x7060302
	v_mul_f32_e32 v94, v91, v76
	v_perm_b32 v100, v99, v100, 0x7060302
	v_perm_b32 v99, v97, v96, 0x7060302
	v_or3_b32 v76, v93, v95, v87
	v_mul_f32_e32 v89, v91, v89
	v_dual_mul_f32 v88, v91, v88 :: v_dual_and_b32 v95, 0x7f800000, v94
	v_mul_f32_e32 v80, v91, v80
	v_mul_f32_e32 v92, v91, v79
	;; [unrolled: 1-line block ×4, first 2 shown]
	s_mov_b32 s3, exec_lo
	ds_store_b128 v76, v[98:101]
                                        ; implicit-def: $vgpr77
	v_cmpx_ne_u32_e32 0x7f800000, v95
	s_xor_b32 s3, exec_lo, s3
; %bb.47:
	v_bfe_u32 v77, v94, 16, 1
	s_delay_alu instid0(VALU_DEP_1)
	v_add3_u32 v77, v94, v77, 0x7fff
                                        ; implicit-def: $vgpr94
; %bb.48:
	s_and_not1_saveexec_b32 s3, s3
; %bb.49:
	v_and_b32_e32 v77, 0xffff, v94
	v_or_b32_e32 v78, 0x10000, v94
	s_delay_alu instid0(VALU_DEP_2) | instskip(NEXT) | instid1(VALU_DEP_2)
	v_cmp_eq_u32_e32 vcc_lo, 0, v77
	v_cndmask_b32_e32 v77, v78, v94, vcc_lo
; %bb.50:
	s_or_b32 exec_lo, exec_lo, s3
	v_and_b32_e32 v78, 0x7f800000, v79
	s_delay_alu instid0(VALU_DEP_1) | instskip(SKIP_1) | instid1(SALU_CYCLE_1)
	v_cmp_ne_u32_e32 vcc_lo, 0x7f800000, v78
                                        ; implicit-def: $vgpr78
	s_and_saveexec_b32 s3, vcc_lo
	s_xor_b32 s3, exec_lo, s3
; %bb.51:
	v_bfe_u32 v78, v79, 16, 1
	s_delay_alu instid0(VALU_DEP_1)
	v_add3_u32 v78, v79, v78, 0x7fff
                                        ; implicit-def: $vgpr79
; %bb.52:
	s_and_not1_saveexec_b32 s3, s3
; %bb.53:
	v_and_b32_e32 v78, 0xffff, v79
	v_or_b32_e32 v91, 0x10000, v79
	s_delay_alu instid0(VALU_DEP_2) | instskip(NEXT) | instid1(VALU_DEP_2)
	v_cmp_eq_u32_e32 vcc_lo, 0, v78
	v_cndmask_b32_e32 v78, v91, v79, vcc_lo
; %bb.54:
	s_or_b32 exec_lo, exec_lo, s3
	v_and_b32_e32 v79, 0x7f800000, v93
	s_delay_alu instid0(VALU_DEP_1) | instskip(SKIP_1) | instid1(SALU_CYCLE_1)
	v_cmp_ne_u32_e32 vcc_lo, 0x7f800000, v79
                                        ; implicit-def: $vgpr79
	s_and_saveexec_b32 s3, vcc_lo
	s_xor_b32 s3, exec_lo, s3
; %bb.55:
	v_bfe_u32 v79, v93, 16, 1
	s_delay_alu instid0(VALU_DEP_1)
	v_add3_u32 v79, v93, v79, 0x7fff
                                        ; implicit-def: $vgpr93
; %bb.56:
	s_and_not1_saveexec_b32 s3, s3
; %bb.57:
	v_and_b32_e32 v79, 0xffff, v93
	v_or_b32_e32 v91, 0x10000, v93
	s_delay_alu instid0(VALU_DEP_2) | instskip(NEXT) | instid1(VALU_DEP_2)
	v_cmp_eq_u32_e32 vcc_lo, 0, v79
	v_cndmask_b32_e32 v79, v91, v93, vcc_lo
; %bb.58:
	s_or_b32 exec_lo, exec_lo, s3
	v_and_b32_e32 v91, 0x7f800000, v92
	s_delay_alu instid0(VALU_DEP_1) | instskip(SKIP_1) | instid1(SALU_CYCLE_1)
	v_cmp_ne_u32_e32 vcc_lo, 0x7f800000, v91
                                        ; implicit-def: $vgpr91
	s_and_saveexec_b32 s3, vcc_lo
	s_xor_b32 s3, exec_lo, s3
; %bb.59:
	v_bfe_u32 v91, v92, 16, 1
	s_delay_alu instid0(VALU_DEP_1)
	v_add3_u32 v91, v92, v91, 0x7fff
                                        ; implicit-def: $vgpr92
; %bb.60:
	s_and_not1_saveexec_b32 s3, s3
; %bb.61:
	v_and_b32_e32 v91, 0xffff, v92
	v_or_b32_e32 v93, 0x10000, v92
	s_delay_alu instid0(VALU_DEP_2) | instskip(NEXT) | instid1(VALU_DEP_2)
	v_cmp_eq_u32_e32 vcc_lo, 0, v91
	v_cndmask_b32_e32 v91, v93, v92, vcc_lo
; %bb.62:
	s_or_b32 exec_lo, exec_lo, s3
	v_and_b32_e32 v92, 0x7f800000, v80
	s_delay_alu instid0(VALU_DEP_1) | instskip(SKIP_1) | instid1(SALU_CYCLE_1)
	v_cmp_ne_u32_e32 vcc_lo, 0x7f800000, v92
                                        ; implicit-def: $vgpr92
	s_and_saveexec_b32 s3, vcc_lo
	s_xor_b32 s3, exec_lo, s3
; %bb.63:
	v_bfe_u32 v92, v80, 16, 1
	s_delay_alu instid0(VALU_DEP_1)
	v_add3_u32 v92, v80, v92, 0x7fff
                                        ; implicit-def: $vgpr80
; %bb.64:
	s_and_not1_saveexec_b32 s3, s3
; %bb.65:
	v_and_b32_e32 v92, 0xffff, v80
	v_or_b32_e32 v93, 0x10000, v80
	s_delay_alu instid0(VALU_DEP_2) | instskip(NEXT) | instid1(VALU_DEP_2)
	v_cmp_eq_u32_e32 vcc_lo, 0, v92
	v_cndmask_b32_e32 v92, v93, v80, vcc_lo
; %bb.66:
	s_or_b32 exec_lo, exec_lo, s3
	v_and_b32_e32 v80, 0x7f800000, v88
	s_delay_alu instid0(VALU_DEP_1) | instskip(SKIP_1) | instid1(SALU_CYCLE_1)
	v_cmp_ne_u32_e32 vcc_lo, 0x7f800000, v80
                                        ; implicit-def: $vgpr80
	s_and_saveexec_b32 s3, vcc_lo
	s_xor_b32 s3, exec_lo, s3
; %bb.67:
	v_bfe_u32 v80, v88, 16, 1
	s_delay_alu instid0(VALU_DEP_1)
	v_add3_u32 v80, v88, v80, 0x7fff
                                        ; implicit-def: $vgpr88
; %bb.68:
	s_and_not1_saveexec_b32 s3, s3
; %bb.69:
	v_and_b32_e32 v80, 0xffff, v88
	v_or_b32_e32 v93, 0x10000, v88
	s_delay_alu instid0(VALU_DEP_2) | instskip(NEXT) | instid1(VALU_DEP_2)
	v_cmp_eq_u32_e32 vcc_lo, 0, v80
	v_cndmask_b32_e32 v80, v93, v88, vcc_lo
; %bb.70:
	s_or_b32 exec_lo, exec_lo, s3
	v_and_b32_e32 v88, 0x7f800000, v89
	s_delay_alu instid0(VALU_DEP_1) | instskip(SKIP_1) | instid1(SALU_CYCLE_1)
	v_cmp_ne_u32_e32 vcc_lo, 0x7f800000, v88
                                        ; implicit-def: $vgpr88
	s_and_saveexec_b32 s3, vcc_lo
	s_xor_b32 s3, exec_lo, s3
; %bb.71:
	v_bfe_u32 v88, v89, 16, 1
	s_delay_alu instid0(VALU_DEP_1)
	v_add3_u32 v88, v89, v88, 0x7fff
                                        ; implicit-def: $vgpr89
; %bb.72:
	s_and_not1_saveexec_b32 s3, s3
; %bb.73:
	v_and_b32_e32 v88, 0xffff, v89
	v_or_b32_e32 v93, 0x10000, v89
	s_delay_alu instid0(VALU_DEP_2) | instskip(NEXT) | instid1(VALU_DEP_2)
	v_cmp_eq_u32_e32 vcc_lo, 0, v88
	v_cndmask_b32_e32 v88, v93, v89, vcc_lo
; %bb.74:
	s_or_b32 exec_lo, exec_lo, s3
	v_and_b32_e32 v89, 0x7f800000, v90
	s_delay_alu instid0(VALU_DEP_1) | instskip(SKIP_1) | instid1(SALU_CYCLE_1)
	v_cmp_ne_u32_e32 vcc_lo, 0x7f800000, v89
                                        ; implicit-def: $vgpr89
	s_and_saveexec_b32 s3, vcc_lo
	s_xor_b32 s3, exec_lo, s3
; %bb.75:
	v_bfe_u32 v89, v90, 16, 1
	s_delay_alu instid0(VALU_DEP_1)
	v_add3_u32 v89, v90, v89, 0x7fff
                                        ; implicit-def: $vgpr90
; %bb.76:
	s_and_not1_saveexec_b32 s3, s3
; %bb.77:
	v_and_b32_e32 v89, 0xffff, v90
	v_or_b32_e32 v93, 0x10000, v90
	s_delay_alu instid0(VALU_DEP_2) | instskip(NEXT) | instid1(VALU_DEP_2)
	v_cmp_eq_u32_e32 vcc_lo, 0, v89
	v_cndmask_b32_e32 v89, v93, v90, vcc_lo
; %bb.78:
	s_or_b32 exec_lo, exec_lo, s3
	s_delay_alu instid0(VALU_DEP_1)
	v_perm_b32 v96, v89, v88, 0x7060302
	v_perm_b32 v95, v80, v92, 0x7060302
	;; [unrolled: 1-line block ×4, first 2 shown]
	v_lshl_or_b32 v92, v75, 11, v87
	v_lshlrev_b32_e32 v89, 2, v86
	ds_store_b128 v76, v[93:96] offset:1024
	s_waitcnt lgkmcnt(0)
	s_barrier
	buffer_gl0_inv
	ds_load_b128 v[77:80], v92
	ds_load_b128 v[93:96], v92 offset:16
	v_or_b32_e32 v90, 1, v89
	v_cmp_eq_u32_e32 vcc_lo, 1, v89
	v_cmp_eq_u32_e64 s4, 2, v89
	v_cmp_eq_u32_e64 s7, 3, v89
	;; [unrolled: 1-line block ×6, first 2 shown]
	v_or_b32_e32 v88, 2, v89
	v_cmp_eq_u32_e64 s10, 5, v89
	v_cmp_eq_u32_e64 s11, 4, v90
	;; [unrolled: 1-line block ×9, first 2 shown]
	s_waitcnt lgkmcnt(1)
	v_lshrrev_b32_e32 v75, 16, v77
	s_waitcnt lgkmcnt(0)
	v_lshrrev_b32_e32 v101, 16, v93
	v_lshrrev_b32_e32 v110, 16, v96
	;; [unrolled: 1-line block ×4, first 2 shown]
	v_cndmask_b32_e32 v91, v77, v75, vcc_lo
	v_cndmask_b32_e32 v97, v93, v101, vcc_lo
	v_cndmask_b32_e64 v98, v77, v75, s3
	v_lshrrev_b32_e32 v106, 16, v79
	v_lshrrev_b32_e32 v109, 16, v95
	v_cndmask_b32_e64 v91, v91, v78, s4
	v_cndmask_b32_e64 v97, v97, v94, s4
	;; [unrolled: 1-line block ×4, first 2 shown]
	v_lshrrev_b32_e32 v107, 16, v80
	v_cndmask_b32_e64 v91, v91, v105, s7
	v_cndmask_b32_e64 v97, v97, v108, s7
	;; [unrolled: 1-line block ×9, first 2 shown]
	v_cmp_eq_u32_e64 s19, 3, v88
	v_cndmask_b32_e64 v91, v91, v106, s10
	v_cndmask_b32_e64 v97, v97, v109, s10
	;; [unrolled: 1-line block ×4, first 2 shown]
	v_cmp_eq_u32_e64 s20, 4, v88
	v_cndmask_b32_e64 v91, v91, v80, s12
	v_cndmask_b32_e64 v97, v97, v96, s12
	;; [unrolled: 1-line block ×3, first 2 shown]
	v_cmp_eq_u32_e64 s22, 5, v88
	v_cmp_eq_u32_e64 s24, 6, v88
	v_cndmask_b32_e64 v111, v91, v107, s15
	v_cndmask_b32_e64 v112, v97, v110, s15
	;; [unrolled: 1-line block ×6, first 2 shown]
	v_cmp_eq_u32_e64 s27, 7, v88
	v_cndmask_b32_e64 v99, v91, v105, s19
	v_cndmask_b32_e64 v97, v97, v94, s17
	v_or_b32_e32 v91, 3, v89
	v_cndmask_b32_e64 v114, v98, v96, s16
	s_delay_alu instid0(VALU_DEP_4) | instskip(NEXT) | instid1(VALU_DEP_4)
	v_cndmask_b32_e64 v102, v99, v79, s20
	v_cndmask_b32_e64 v103, v97, v108, s19
	s_delay_alu instid0(VALU_DEP_4)
	v_cmp_eq_u32_e64 s21, 1, v91
	ds_load_b128 v[97:100], v92 offset:1024
	v_cmp_eq_u32_e64 s23, 2, v91
	v_cndmask_b32_e64 v115, v102, v106, s22
	v_cmp_eq_u32_e64 s25, 3, v91
	v_cndmask_b32_e64 v75, v77, v75, s21
	v_cndmask_b32_e64 v77, v103, v95, s20
	;; [unrolled: 1-line block ×3, first 2 shown]
	ds_load_b128 v[101:104], v92 offset:1040
	v_cmp_eq_u32_e64 s26, 4, v91
	v_cndmask_b32_e64 v75, v75, v78, s23
	v_cmp_eq_u32_e64 s28, 5, v91
	v_cndmask_b32_e64 v78, v93, v94, s23
	v_cndmask_b32_e64 v94, v115, v80, s24
	v_cndmask_b32_e64 v77, v77, v109, s22
	v_cndmask_b32_e64 v75, v75, v105, s25
	v_cmp_eq_u32_e64 s29, 6, v91
	v_cndmask_b32_e64 v78, v78, v108, s25
	v_cndmask_b32_e64 v93, v114, v110, s18
	;; [unrolled: 1-line block ×4, first 2 shown]
	s_waitcnt lgkmcnt(1)
	v_lshrrev_b32_e32 v105, 16, v97
	v_cndmask_b32_e64 v78, v78, v95, s26
	v_cndmask_b32_e64 v79, v94, v107, s27
	;; [unrolled: 1-line block ×4, first 2 shown]
	v_cndmask_b32_e32 v94, v97, v105, vcc_lo
	v_cndmask_b32_e64 v78, v78, v109, s28
	s_waitcnt lgkmcnt(0)
	v_lshrrev_b32_e32 v95, 16, v101
	v_lshrrev_b32_e32 v106, 16, v98
	v_cndmask_b32_e64 v108, v97, v105, s3
	v_cndmask_b32_e64 v94, v94, v98, s4
	;; [unrolled: 1-line block ×3, first 2 shown]
	v_cndmask_b32_e32 v109, v101, v95, vcc_lo
	v_cndmask_b32_e64 v78, v78, v96, s29
	v_cmp_eq_u32_e32 vcc_lo, 7, v91
	v_cndmask_b32_e64 v80, v94, v106, s7
	v_cndmask_b32_e64 v94, v108, v98, s6
	;; [unrolled: 1-line block ×3, first 2 shown]
	v_lshrrev_b32_e32 v108, 16, v102
	v_cndmask_b32_e32 v78, v78, v110, vcc_lo
	v_lshrrev_b32_e32 v110, 16, v103
	v_cndmask_b32_e64 v80, v80, v99, s9
	v_lshrrev_b32_e32 v109, 16, v99
	v_cndmask_b32_e64 v96, v96, v108, s7
	v_cndmask_b32_e32 v75, v75, v107, vcc_lo
	v_perm_b32 v79, v77, v79, 0x5040100
	v_cndmask_b32_e64 v94, v94, v106, s8
	v_cndmask_b32_e64 v107, v80, v109, s10
	;; [unrolled: 1-line block ×3, first 2 shown]
	v_perm_b32 v80, v78, v75, 0x5040100
	v_perm_b32 v78, v93, v113, 0x5040100
	v_cndmask_b32_e64 v113, v101, v95, s5
	v_cndmask_b32_e64 v94, v94, v99, s11
	;; [unrolled: 1-line block ×3, first 2 shown]
	s_delay_alu instid0(VALU_DEP_2) | instskip(NEXT) | instid1(VALU_DEP_2)
	v_cndmask_b32_e64 v75, v94, v109, s13
	v_cndmask_b32_e64 v77, v96, v104, s12
	;; [unrolled: 1-line block ×22, first 2 shown]
	v_lshrrev_b32_e32 v107, 16, v100
	v_cndmask_b32_e64 v96, v96, v109, s22
	v_cndmask_b32_e64 v97, v97, v109, s28
	;; [unrolled: 1-line block ×7, first 2 shown]
	v_lshrrev_b32_e32 v94, 16, v104
	v_cndmask_b32_e64 v96, v96, v100, s24
	v_cndmask_b32_e64 v97, v97, v100, s29
	;; [unrolled: 1-line block ×7, first 2 shown]
	v_dual_cndmask_b32 v96, v97, v107 :: v_dual_cndmask_b32 v97, v98, v94
	v_cndmask_b32_e64 v98, v99, v94, s27
	v_cndmask_b32_e64 v99, v95, v94, s18
	;; [unrolled: 1-line block ×3, first 2 shown]
	v_perm_b32 v77, v112, v111, 0x5040100
	v_perm_b32 v96, v97, v96, 0x5040100
	;; [unrolled: 1-line block ×5, first 2 shown]
	s_lshl_b32 s8, s35, 1
	s_mov_b32 s3, exec_lo
	ds_store_b128 v76, v[77:80]
	ds_store_b128 v76, v[93:96] offset:1024
	v_cmpx_gt_u32_e32 2, v0
	s_cbranch_execz .LBB727_80
; %bb.79:
	v_or_b32_e32 v75, s31, v0
	s_load_b128 s[4:7], s[0:1], 0x58
	s_delay_alu instid0(VALU_DEP_1) | instskip(NEXT) | instid1(VALU_DEP_1)
	v_mad_u64_u32 v[76:77], null, s8, s30, v[75:76]
	v_mad_u64_u32 v[77:78], null, v76, s34, s[14:15]
	s_delay_alu instid0(VALU_DEP_1) | instskip(NEXT) | instid1(VALU_DEP_1)
	v_ashrrev_i32_e32 v78, 31, v77
	v_lshlrev_b64 v[75:76], 2, v[77:78]
	s_waitcnt lgkmcnt(0)
	s_delay_alu instid0(VALU_DEP_1) | instskip(NEXT) | instid1(VALU_DEP_2)
	v_add_co_u32 v77, vcc_lo, s6, v75
	v_add_co_ci_u32_e32 v78, vcc_lo, s7, v76, vcc_lo
	v_add_co_u32 v75, vcc_lo, s4, v75
	v_add_co_ci_u32_e32 v76, vcc_lo, s5, v76, vcc_lo
	global_store_b32 v[77:78], v73, off
	global_store_b32 v[75:76], v74, off
.LBB727_80:
	s_or_b32 exec_lo, exec_lo, s3
	s_waitcnt lgkmcnt(0)
	s_waitcnt_vscnt null, 0x0
	s_barrier
	buffer_gl0_inv
	ds_load_b128 v[93:96], v87
	ds_load_b128 v[97:100], v87 offset:16
	ds_load_b128 v[105:108], v87 offset:1040
	;; [unrolled: 1-line block ×3, first 2 shown]
	v_mov_b32_e32 v73, 0
	ds_load_b128 v[113:116], v87 offset:2064
	ds_load_b128 v[109:112], v87 offset:2048
	;; [unrolled: 1-line block ×6, first 2 shown]
	v_mov_b32_e32 v74, v73
	v_mov_b32_e32 v75, v73
	v_mov_b32_e32 v76, v73
	v_mov_b32_e32 v77, v73
	v_mov_b32_e32 v78, v73
	v_mov_b32_e32 v79, v73
	v_mov_b32_e32 v80, v73
	s_waitcnt lgkmcnt(8)
	s_delay_alu instid0(VALU_DEP_1)
	v_wmma_f32_16x16x16_bf16 v[73:80], v[65:72], v[93:100], v[73:80]
	ds_load_b128 v[69:72], v87 offset:5136
	ds_load_b128 v[65:68], v87 offset:5120
	;; [unrolled: 1-line block ×4, first 2 shown]
	s_waitcnt lgkmcnt(10)
	v_wmma_f32_16x16x16_bf16 v[73:80], v[57:64], v[101:108], v[73:80]
	s_waitcnt lgkmcnt(8)
	s_delay_alu instid0(VALU_DEP_1)
	v_wmma_f32_16x16x16_bf16 v[73:80], v[57:64], v[109:116], v[73:80]
	ds_load_b128 v[61:64], v87 offset:7184
	ds_load_b128 v[57:60], v87 offset:7168
	;; [unrolled: 1-line block ×4, first 2 shown]
	s_waitcnt lgkmcnt(10)
	v_wmma_f32_16x16x16_bf16 v[73:80], v[49:56], v[117:124], v[73:80]
	s_waitcnt lgkmcnt(8)
	s_delay_alu instid0(VALU_DEP_1)
	v_wmma_f32_16x16x16_bf16 v[73:80], v[49:56], v[125:132], v[73:80]
	ds_load_b128 v[53:56], v87 offset:9232
	ds_load_b128 v[49:52], v87 offset:9216
	s_waitcnt lgkmcnt(8)
	v_wmma_f32_16x16x16_bf16 v[73:80], v[41:48], v[65:72], v[73:80]
	ds_load_b128 v[69:72], v87 offset:10256
	ds_load_b128 v[65:68], v87 offset:10240
	s_waitcnt lgkmcnt(8)
	;; [unrolled: 4-line block ×3, first 2 shown]
	v_wmma_f32_16x16x16_bf16 v[73:80], v[9:16], v[57:64], v[73:80]
	s_waitcnt lgkmcnt(6)
	s_delay_alu instid0(VALU_DEP_1)
	v_wmma_f32_16x16x16_bf16 v[73:80], v[9:16], v[101:108], v[73:80]
	ds_load_b128 v[13:16], v87 offset:12304
	ds_load_b128 v[9:12], v87 offset:12288
	s_waitcnt lgkmcnt(6)
	v_wmma_f32_16x16x16_bf16 v[73:80], v[1:8], v[49:56], v[73:80]
	ds_load_b128 v[53:56], v87 offset:13328
	ds_load_b128 v[49:52], v87 offset:13312
	s_waitcnt lgkmcnt(6)
	;; [unrolled: 4-line block ×4, first 2 shown]
	v_wmma_f32_16x16x16_bf16 v[73:80], v[33:40], v[9:16], v[73:80]
	s_waitcnt lgkmcnt(4)
	s_delay_alu instid0(VALU_DEP_1) | instskip(SKIP_1) | instid1(VALU_DEP_1)
	v_wmma_f32_16x16x16_bf16 v[73:80], v[25:32], v[49:56], v[73:80]
	s_waitcnt lgkmcnt(2)
	v_wmma_f32_16x16x16_bf16 v[73:80], v[25:32], v[1:8], v[73:80]
	s_waitcnt lgkmcnt(0)
	s_delay_alu instid0(VALU_DEP_1) | instskip(NEXT) | instid1(VALU_DEP_1)
	v_wmma_f32_16x16x16_bf16 v[73:80], v[17:24], v[41:48], v[73:80]
	v_and_b32_e32 v1, 0x7f800000, v73
	s_delay_alu instid0(VALU_DEP_1) | instskip(SKIP_1) | instid1(SALU_CYCLE_1)
	v_cmp_ne_u32_e32 vcc_lo, 0x7f800000, v1
                                        ; implicit-def: $vgpr1
	s_and_saveexec_b32 s3, vcc_lo
	s_xor_b32 s3, exec_lo, s3
; %bb.81:
	v_bfe_u32 v1, v73, 16, 1
	s_delay_alu instid0(VALU_DEP_1)
	v_add3_u32 v1, v73, v1, 0x7fff
; %bb.82:
	s_and_not1_saveexec_b32 s3, s3
; %bb.83:
	v_and_b32_e32 v1, 0xffff, v73
	v_or_b32_e32 v2, 0x10000, v73
	s_delay_alu instid0(VALU_DEP_2) | instskip(NEXT) | instid1(VALU_DEP_2)
	v_cmp_eq_u32_e32 vcc_lo, 0, v1
	v_cndmask_b32_e32 v1, v2, v73, vcc_lo
; %bb.84:
	s_or_b32 exec_lo, exec_lo, s3
	v_and_b32_e32 v2, 0x7f800000, v74
	s_delay_alu instid0(VALU_DEP_1) | instskip(SKIP_1) | instid1(SALU_CYCLE_1)
	v_cmp_ne_u32_e32 vcc_lo, 0x7f800000, v2
                                        ; implicit-def: $vgpr2
	s_and_saveexec_b32 s3, vcc_lo
	s_xor_b32 s3, exec_lo, s3
; %bb.85:
	v_bfe_u32 v2, v74, 16, 1
	s_delay_alu instid0(VALU_DEP_1)
	v_add3_u32 v2, v74, v2, 0x7fff
; %bb.86:
	s_and_not1_saveexec_b32 s3, s3
; %bb.87:
	v_and_b32_e32 v2, 0xffff, v74
	v_or_b32_e32 v3, 0x10000, v74
	s_delay_alu instid0(VALU_DEP_2) | instskip(NEXT) | instid1(VALU_DEP_2)
	v_cmp_eq_u32_e32 vcc_lo, 0, v2
	v_cndmask_b32_e32 v2, v3, v74, vcc_lo
; %bb.88:
	s_or_b32 exec_lo, exec_lo, s3
	v_and_b32_e32 v3, 0x7f800000, v75
	s_delay_alu instid0(VALU_DEP_1) | instskip(SKIP_1) | instid1(SALU_CYCLE_1)
	v_cmp_ne_u32_e32 vcc_lo, 0x7f800000, v3
                                        ; implicit-def: $vgpr3
	s_and_saveexec_b32 s3, vcc_lo
	s_xor_b32 s3, exec_lo, s3
; %bb.89:
	v_bfe_u32 v3, v75, 16, 1
	s_delay_alu instid0(VALU_DEP_1)
	v_add3_u32 v3, v75, v3, 0x7fff
; %bb.90:
	s_and_not1_saveexec_b32 s3, s3
; %bb.91:
	v_and_b32_e32 v3, 0xffff, v75
	v_or_b32_e32 v4, 0x10000, v75
	s_delay_alu instid0(VALU_DEP_2) | instskip(NEXT) | instid1(VALU_DEP_2)
	v_cmp_eq_u32_e32 vcc_lo, 0, v3
	v_cndmask_b32_e32 v3, v4, v75, vcc_lo
; %bb.92:
	s_or_b32 exec_lo, exec_lo, s3
	v_and_b32_e32 v4, 0x7f800000, v76
	s_delay_alu instid0(VALU_DEP_1) | instskip(SKIP_1) | instid1(SALU_CYCLE_1)
	v_cmp_ne_u32_e32 vcc_lo, 0x7f800000, v4
                                        ; implicit-def: $vgpr4
	s_and_saveexec_b32 s3, vcc_lo
	s_xor_b32 s3, exec_lo, s3
; %bb.93:
	v_bfe_u32 v4, v76, 16, 1
	s_delay_alu instid0(VALU_DEP_1)
	v_add3_u32 v4, v76, v4, 0x7fff
; %bb.94:
	s_and_not1_saveexec_b32 s3, s3
; %bb.95:
	v_and_b32_e32 v4, 0xffff, v76
	v_or_b32_e32 v5, 0x10000, v76
	s_delay_alu instid0(VALU_DEP_2) | instskip(NEXT) | instid1(VALU_DEP_2)
	v_cmp_eq_u32_e32 vcc_lo, 0, v4
	v_cndmask_b32_e32 v4, v5, v76, vcc_lo
; %bb.96:
	s_or_b32 exec_lo, exec_lo, s3
	v_and_b32_e32 v5, 0x7f800000, v77
	s_delay_alu instid0(VALU_DEP_1) | instskip(SKIP_1) | instid1(SALU_CYCLE_1)
	v_cmp_ne_u32_e32 vcc_lo, 0x7f800000, v5
                                        ; implicit-def: $vgpr5
	s_and_saveexec_b32 s3, vcc_lo
	s_xor_b32 s3, exec_lo, s3
; %bb.97:
	v_bfe_u32 v5, v77, 16, 1
	s_delay_alu instid0(VALU_DEP_1)
	v_add3_u32 v5, v77, v5, 0x7fff
; %bb.98:
	s_and_not1_saveexec_b32 s3, s3
; %bb.99:
	v_and_b32_e32 v5, 0xffff, v77
	v_or_b32_e32 v6, 0x10000, v77
	s_delay_alu instid0(VALU_DEP_2) | instskip(NEXT) | instid1(VALU_DEP_2)
	v_cmp_eq_u32_e32 vcc_lo, 0, v5
	v_cndmask_b32_e32 v5, v6, v77, vcc_lo
; %bb.100:
	s_or_b32 exec_lo, exec_lo, s3
	v_and_b32_e32 v6, 0x7f800000, v78
	s_delay_alu instid0(VALU_DEP_1) | instskip(SKIP_1) | instid1(SALU_CYCLE_1)
	v_cmp_ne_u32_e32 vcc_lo, 0x7f800000, v6
                                        ; implicit-def: $vgpr6
	s_and_saveexec_b32 s3, vcc_lo
	s_xor_b32 s3, exec_lo, s3
; %bb.101:
	v_bfe_u32 v6, v78, 16, 1
	s_delay_alu instid0(VALU_DEP_1)
	v_add3_u32 v6, v78, v6, 0x7fff
; %bb.102:
	s_and_not1_saveexec_b32 s3, s3
; %bb.103:
	v_and_b32_e32 v6, 0xffff, v78
	v_or_b32_e32 v7, 0x10000, v78
	s_delay_alu instid0(VALU_DEP_2) | instskip(NEXT) | instid1(VALU_DEP_2)
	v_cmp_eq_u32_e32 vcc_lo, 0, v6
	v_cndmask_b32_e32 v6, v7, v78, vcc_lo
; %bb.104:
	s_or_b32 exec_lo, exec_lo, s3
	v_and_b32_e32 v7, 0x7f800000, v79
	s_delay_alu instid0(VALU_DEP_1) | instskip(SKIP_1) | instid1(SALU_CYCLE_1)
	v_cmp_ne_u32_e32 vcc_lo, 0x7f800000, v7
                                        ; implicit-def: $vgpr7
	s_and_saveexec_b32 s3, vcc_lo
	s_xor_b32 s3, exec_lo, s3
; %bb.105:
	v_bfe_u32 v7, v79, 16, 1
	s_delay_alu instid0(VALU_DEP_1)
	v_add3_u32 v7, v79, v7, 0x7fff
; %bb.106:
	s_and_not1_saveexec_b32 s3, s3
; %bb.107:
	v_and_b32_e32 v7, 0xffff, v79
	v_or_b32_e32 v8, 0x10000, v79
	s_delay_alu instid0(VALU_DEP_2) | instskip(NEXT) | instid1(VALU_DEP_2)
	v_cmp_eq_u32_e32 vcc_lo, 0, v7
	v_cndmask_b32_e32 v7, v8, v79, vcc_lo
; %bb.108:
	s_or_b32 exec_lo, exec_lo, s3
	v_and_b32_e32 v8, 0x7f800000, v80
	s_delay_alu instid0(VALU_DEP_1) | instskip(SKIP_1) | instid1(SALU_CYCLE_1)
	v_cmp_ne_u32_e32 vcc_lo, 0x7f800000, v8
                                        ; implicit-def: $vgpr8
	s_and_saveexec_b32 s3, vcc_lo
	s_xor_b32 s3, exec_lo, s3
; %bb.109:
	v_bfe_u32 v8, v80, 16, 1
	s_delay_alu instid0(VALU_DEP_1)
	v_add3_u32 v8, v80, v8, 0x7fff
                                        ; implicit-def: $vgpr73_vgpr74_vgpr75_vgpr76_vgpr77_vgpr78_vgpr79_vgpr80
; %bb.110:
	s_and_not1_saveexec_b32 s3, s3
; %bb.111:
	v_and_b32_e32 v8, 0xffff, v80
	v_or_b32_e32 v9, 0x10000, v80
	s_delay_alu instid0(VALU_DEP_2) | instskip(NEXT) | instid1(VALU_DEP_2)
	v_cmp_eq_u32_e32 vcc_lo, 0, v8
	v_cndmask_b32_e32 v8, v9, v80, vcc_lo
; %bb.112:
	s_or_b32 exec_lo, exec_lo, s3
	s_delay_alu instid0(VALU_DEP_1)
	v_perm_b32 v7, v8, v7, 0x7060302
	v_perm_b32 v6, v6, v5, 0x7060302
	;; [unrolled: 1-line block ×4, first 2 shown]
	v_lshl_or_b32 v9, v86, 4, v92
	s_barrier
	buffer_gl0_inv
	v_cmp_eq_u32_e32 vcc_lo, 1, v89
	ds_store_b128 v9, v[4:7]
	s_waitcnt lgkmcnt(0)
	s_barrier
	buffer_gl0_inv
	ds_load_b128 v[1:4], v92
	ds_load_b128 v[5:8], v92 offset:16
	v_cmp_eq_u32_e64 s4, 2, v89
	v_cmp_eq_u32_e64 s3, 1, v90
	;; [unrolled: 1-line block ×5, first 2 shown]
	s_waitcnt lgkmcnt(1)
	v_lshrrev_b32_e32 v10, 16, v1
	s_waitcnt lgkmcnt(0)
	v_lshrrev_b32_e32 v14, 16, v5
	v_lshrrev_b32_e32 v15, 16, v6
	;; [unrolled: 1-line block ×4, first 2 shown]
	v_cndmask_b32_e64 v20, v1, v10, s3
	v_cndmask_b32_e32 v19, v5, v14, vcc_lo
	v_cndmask_b32_e64 v21, v5, v14, s3
	v_lshrrev_b32_e32 v16, 16, v7
	v_cmp_eq_u32_e64 s3, 1, v88
	v_lshrrev_b32_e32 v13, 16, v4
	v_cndmask_b32_e64 v19, v19, v6, s4
	v_lshrrev_b32_e32 v17, 16, v8
	s_delay_alu instid0(VALU_DEP_4) | instskip(SKIP_1) | instid1(VALU_DEP_4)
	v_cndmask_b32_e64 v22, v1, v10, s3
	v_cndmask_b32_e64 v23, v5, v14, s3
	;; [unrolled: 1-line block ×3, first 2 shown]
	v_cndmask_b32_e32 v18, v1, v10, vcc_lo
	v_cmp_eq_u32_e32 vcc_lo, 2, v90
	v_cmp_eq_u32_e64 s3, 2, v91
	v_cndmask_b32_e64 v22, v22, v2, s7
	v_cndmask_b32_e32 v20, v20, v2, vcc_lo
	v_cndmask_b32_e32 v21, v21, v6, vcc_lo
	v_cmp_eq_u32_e32 vcc_lo, 4, v89
	v_cndmask_b32_e32 v19, v19, v7, vcc_lo
	v_cndmask_b32_e64 v18, v18, v2, s4
	v_cmp_eq_u32_e64 s4, 3, v90
	s_delay_alu instid0(VALU_DEP_2) | instskip(NEXT) | instid1(VALU_DEP_2)
	v_cndmask_b32_e64 v18, v18, v11, s5
	v_cndmask_b32_e64 v21, v21, v15, s4
	v_cmp_eq_u32_e64 s5, 5, v89
	s_delay_alu instid0(VALU_DEP_3) | instskip(SKIP_1) | instid1(VALU_DEP_3)
	v_cndmask_b32_e32 v18, v18, v3, vcc_lo
	v_cmp_eq_u32_e32 vcc_lo, 4, v90
	v_cndmask_b32_e64 v19, v19, v16, s5
	s_delay_alu instid0(VALU_DEP_3) | instskip(SKIP_4) | instid1(VALU_DEP_3)
	v_cndmask_b32_e64 v18, v18, v12, s5
	v_cndmask_b32_e32 v21, v21, v7, vcc_lo
	v_cndmask_b32_e64 v20, v20, v11, s4
	v_cmp_eq_u32_e64 s4, 5, v90
	v_cmp_eq_u32_e64 s5, 6, v89
	v_cndmask_b32_e32 v20, v20, v3, vcc_lo
	s_delay_alu instid0(VALU_DEP_3) | instskip(SKIP_1) | instid1(VALU_DEP_4)
	v_cndmask_b32_e64 v21, v21, v16, s4
	v_cmp_eq_u32_e32 vcc_lo, 6, v90
	v_cndmask_b32_e64 v18, v18, v4, s5
	v_cndmask_b32_e64 v19, v19, v8, s5
	;; [unrolled: 1-line block ×3, first 2 shown]
	v_cmp_eq_u32_e64 s4, 1, v91
	v_cmp_eq_u32_e64 s5, 7, v89
	s_delay_alu instid0(VALU_DEP_3) | instskip(NEXT) | instid1(VALU_DEP_3)
	v_cndmask_b32_e32 v20, v20, v4, vcc_lo
	v_cndmask_b32_e64 v1, v1, v10, s4
	v_cndmask_b32_e64 v5, v5, v14, s4
	v_cmp_eq_u32_e64 s4, 3, v88
	v_cndmask_b32_e64 v14, v23, v6, s7
	v_cmp_eq_u32_e64 s7, 3, v91
	v_cndmask_b32_e64 v1, v1, v2, s3
	v_cndmask_b32_e64 v2, v5, v6, s3
	;; [unrolled: 1-line block ×3, first 2 shown]
	v_cmp_eq_u32_e64 s3, 4, v88
	v_cndmask_b32_e64 v6, v14, v15, s4
	v_cndmask_b32_e64 v1, v1, v11, s7
	v_cmp_eq_u32_e64 s4, 4, v91
	v_cndmask_b32_e64 v2, v2, v15, s7
	v_cndmask_b32_e64 v5, v10, v3, s3
	;; [unrolled: 3-line block ×3, first 2 shown]
	v_cndmask_b32_e64 v2, v2, v7, s4
	v_cmp_eq_u32_e64 s3, 5, v91
	v_cndmask_b32_e64 v5, v5, v12, s7
	v_cmp_eq_u32_e64 s4, 6, v88
	;; [unrolled: 2-line block ×3, first 2 shown]
	v_cndmask_b32_e64 v1, v1, v12, s3
	v_cndmask_b32_e64 v2, v2, v16, s3
	;; [unrolled: 1-line block ×4, first 2 shown]
	v_cmp_eq_u32_e64 s3, 7, v91
	v_cndmask_b32_e64 v1, v1, v4, s7
	v_cndmask_b32_e64 v2, v2, v8, s7
	v_cmp_eq_u32_e64 s4, 7, v88
	v_cndmask_b32_e32 v4, v21, v8, vcc_lo
	v_cndmask_b32_e64 v18, v18, v13, s5
	v_cndmask_b32_e64 v20, v20, v13, s6
	;; [unrolled: 1-line block ×8, first 2 shown]
	s_delay_alu instid0(VALU_DEP_4) | instskip(NEXT) | instid1(VALU_DEP_4)
	v_perm_b32 v4, v2, v1, 0x5040100
	v_perm_b32 v3, v3, v5, 0x5040100
	s_delay_alu instid0(VALU_DEP_4) | instskip(NEXT) | instid1(VALU_DEP_4)
	v_perm_b32 v2, v6, v20, 0x5040100
	v_perm_b32 v1, v7, v18, 0x5040100
	ds_store_b128 v9, v[1:4]
	s_waitcnt lgkmcnt(0)
	s_barrier
	buffer_gl0_inv
	s_and_saveexec_b32 s3, s2
	s_cbranch_execz .LBB727_2
; %bb.113:
	s_load_b64 s[0:1], s[0:1], 0x68
	v_lshlrev_b32_e32 v0, 10, v0
	s_lshl_b32 s2, s34, 7
	v_lshlrev_b32_e32 v1, 4, v85
	v_mul_lo_u32 v4, s2, v84
	s_mul_i32 s3, s2, s30
	v_and_b32_e32 v0, 0x3800, v0
	s_mul_i32 s2, s3, s8
	s_delay_alu instid0(SALU_CYCLE_1) | instskip(NEXT) | instid1(VALU_DEP_1)
	s_ashr_i32 s3, s2, 31
	v_or3_b32 v0, v0, v83, v1
	s_lshl_b64 s[2:3], s[2:3], 1
	s_delay_alu instid0(VALU_DEP_3)
	v_ashrrev_i32_e32 v5, 31, v4
	ds_load_b128 v[0:3], v0
	v_lshlrev_b64 v[4:5], 1, v[4:5]
	s_waitcnt lgkmcnt(0)
	s_add_u32 s2, s0, s2
	s_addc_u32 s3, s1, s3
	s_lshl_b32 s0, s14, 7
	s_delay_alu instid0(SALU_CYCLE_1) | instskip(NEXT) | instid1(SALU_CYCLE_1)
	s_ashr_i32 s1, s0, 31
	s_lshl_b64 s[0:1], s[0:1], 1
	s_delay_alu instid0(SALU_CYCLE_1) | instskip(SKIP_3) | instid1(VALU_DEP_2)
	s_add_u32 s0, s2, s0
	s_addc_u32 s1, s3, s1
	v_add_co_u32 v4, vcc_lo, s0, v4
	v_add_co_ci_u32_e32 v5, vcc_lo, s1, v5, vcc_lo
	v_add_co_u32 v4, vcc_lo, v4, v81
	s_delay_alu instid0(VALU_DEP_2)
	v_add_co_ci_u32_e32 v5, vcc_lo, v5, v82, vcc_lo
	global_store_b128 v[4:5], v[0:3], off
	s_nop 0
	s_sendmsg sendmsg(MSG_DEALLOC_VGPRS)
	s_endpgm
	.section	.rodata,"a",@progbits
	.p2align	6, 0x0
	.amdhsa_kernel _Z39paged_attention_ll4mi_QKV_mfma16_kernelI14__hip_bfloat16S0_LN4vllm18Fp8KVCacheDataTypeE0EhLi32ELi128ELi256ELb0ELi2EL8MFMAType0EEvPKT_PKT0_S9_ifPKiSB_SB_iPKfiiiPfSE_PS4_PT2_iSD_SD_
		.amdhsa_group_segment_fixed_size 17472
		.amdhsa_private_segment_fixed_size 0
		.amdhsa_kernarg_size 400
		.amdhsa_user_sgpr_count 13
		.amdhsa_user_sgpr_dispatch_ptr 0
		.amdhsa_user_sgpr_queue_ptr 0
		.amdhsa_user_sgpr_kernarg_segment_ptr 1
		.amdhsa_user_sgpr_dispatch_id 0
		.amdhsa_user_sgpr_private_segment_size 0
		.amdhsa_wavefront_size32 1
		.amdhsa_uses_dynamic_stack 0
		.amdhsa_enable_private_segment 0
		.amdhsa_system_sgpr_workgroup_id_x 1
		.amdhsa_system_sgpr_workgroup_id_y 1
		.amdhsa_system_sgpr_workgroup_id_z 1
		.amdhsa_system_sgpr_workgroup_info 0
		.amdhsa_system_vgpr_workitem_id 0
		.amdhsa_next_free_vgpr 145
		.amdhsa_next_free_sgpr 38
		.amdhsa_reserve_vcc 1
		.amdhsa_float_round_mode_32 0
		.amdhsa_float_round_mode_16_64 0
		.amdhsa_float_denorm_mode_32 3
		.amdhsa_float_denorm_mode_16_64 3
		.amdhsa_dx10_clamp 1
		.amdhsa_ieee_mode 1
		.amdhsa_fp16_overflow 0
		.amdhsa_workgroup_processor_mode 1
		.amdhsa_memory_ordered 1
		.amdhsa_forward_progress 0
		.amdhsa_shared_vgpr_count 0
		.amdhsa_exception_fp_ieee_invalid_op 0
		.amdhsa_exception_fp_denorm_src 0
		.amdhsa_exception_fp_ieee_div_zero 0
		.amdhsa_exception_fp_ieee_overflow 0
		.amdhsa_exception_fp_ieee_underflow 0
		.amdhsa_exception_fp_ieee_inexact 0
		.amdhsa_exception_int_div_zero 0
	.end_amdhsa_kernel
	.section	.text._Z39paged_attention_ll4mi_QKV_mfma16_kernelI14__hip_bfloat16S0_LN4vllm18Fp8KVCacheDataTypeE0EhLi32ELi128ELi256ELb0ELi2EL8MFMAType0EEvPKT_PKT0_S9_ifPKiSB_SB_iPKfiiiPfSE_PS4_PT2_iSD_SD_,"axG",@progbits,_Z39paged_attention_ll4mi_QKV_mfma16_kernelI14__hip_bfloat16S0_LN4vllm18Fp8KVCacheDataTypeE0EhLi32ELi128ELi256ELb0ELi2EL8MFMAType0EEvPKT_PKT0_S9_ifPKiSB_SB_iPKfiiiPfSE_PS4_PT2_iSD_SD_,comdat
.Lfunc_end727:
	.size	_Z39paged_attention_ll4mi_QKV_mfma16_kernelI14__hip_bfloat16S0_LN4vllm18Fp8KVCacheDataTypeE0EhLi32ELi128ELi256ELb0ELi2EL8MFMAType0EEvPKT_PKT0_S9_ifPKiSB_SB_iPKfiiiPfSE_PS4_PT2_iSD_SD_, .Lfunc_end727-_Z39paged_attention_ll4mi_QKV_mfma16_kernelI14__hip_bfloat16S0_LN4vllm18Fp8KVCacheDataTypeE0EhLi32ELi128ELi256ELb0ELi2EL8MFMAType0EEvPKT_PKT0_S9_ifPKiSB_SB_iPKfiiiPfSE_PS4_PT2_iSD_SD_
                                        ; -- End function
	.section	.AMDGPU.csdata,"",@progbits
; Kernel info:
; codeLenInByte = 9548
; NumSgprs: 40
; NumVgprs: 145
; ScratchSize: 0
; MemoryBound: 0
; FloatMode: 240
; IeeeMode: 1
; LDSByteSize: 17472 bytes/workgroup (compile time only)
; SGPRBlocks: 4
; VGPRBlocks: 18
; NumSGPRsForWavesPerEU: 40
; NumVGPRsForWavesPerEU: 145
; Occupancy: 9
; WaveLimiterHint : 1
; COMPUTE_PGM_RSRC2:SCRATCH_EN: 0
; COMPUTE_PGM_RSRC2:USER_SGPR: 13
; COMPUTE_PGM_RSRC2:TRAP_HANDLER: 0
; COMPUTE_PGM_RSRC2:TGID_X_EN: 1
; COMPUTE_PGM_RSRC2:TGID_Y_EN: 1
; COMPUTE_PGM_RSRC2:TGID_Z_EN: 1
; COMPUTE_PGM_RSRC2:TIDIG_COMP_CNT: 0
	.section	.text._Z39paged_attention_ll4mi_QKV_mfma16_kernelI14__hip_bfloat16S0_LN4vllm18Fp8KVCacheDataTypeE0EhLi32ELi128ELi256ELb0ELi3EL8MFMAType0EEvPKT_PKT0_S9_ifPKiSB_SB_iPKfiiiPfSE_PS4_PT2_iSD_SD_,"axG",@progbits,_Z39paged_attention_ll4mi_QKV_mfma16_kernelI14__hip_bfloat16S0_LN4vllm18Fp8KVCacheDataTypeE0EhLi32ELi128ELi256ELb0ELi3EL8MFMAType0EEvPKT_PKT0_S9_ifPKiSB_SB_iPKfiiiPfSE_PS4_PT2_iSD_SD_,comdat
	.protected	_Z39paged_attention_ll4mi_QKV_mfma16_kernelI14__hip_bfloat16S0_LN4vllm18Fp8KVCacheDataTypeE0EhLi32ELi128ELi256ELb0ELi3EL8MFMAType0EEvPKT_PKT0_S9_ifPKiSB_SB_iPKfiiiPfSE_PS4_PT2_iSD_SD_ ; -- Begin function _Z39paged_attention_ll4mi_QKV_mfma16_kernelI14__hip_bfloat16S0_LN4vllm18Fp8KVCacheDataTypeE0EhLi32ELi128ELi256ELb0ELi3EL8MFMAType0EEvPKT_PKT0_S9_ifPKiSB_SB_iPKfiiiPfSE_PS4_PT2_iSD_SD_
	.globl	_Z39paged_attention_ll4mi_QKV_mfma16_kernelI14__hip_bfloat16S0_LN4vllm18Fp8KVCacheDataTypeE0EhLi32ELi128ELi256ELb0ELi3EL8MFMAType0EEvPKT_PKT0_S9_ifPKiSB_SB_iPKfiiiPfSE_PS4_PT2_iSD_SD_
	.p2align	8
	.type	_Z39paged_attention_ll4mi_QKV_mfma16_kernelI14__hip_bfloat16S0_LN4vllm18Fp8KVCacheDataTypeE0EhLi32ELi128ELi256ELb0ELi3EL8MFMAType0EEvPKT_PKT0_S9_ifPKiSB_SB_iPKfiiiPfSE_PS4_PT2_iSD_SD_,@function
_Z39paged_attention_ll4mi_QKV_mfma16_kernelI14__hip_bfloat16S0_LN4vllm18Fp8KVCacheDataTypeE0EhLi32ELi128ELi256ELb0ELi3EL8MFMAType0EEvPKT_PKT0_S9_ifPKiSB_SB_iPKfiiiPfSE_PS4_PT2_iSD_SD_: ; @_Z39paged_attention_ll4mi_QKV_mfma16_kernelI14__hip_bfloat16S0_LN4vllm18Fp8KVCacheDataTypeE0EhLi32ELi128ELi256ELb0ELi3EL8MFMAType0EEvPKT_PKT0_S9_ifPKiSB_SB_iPKfiiiPfSE_PS4_PT2_iSD_SD_
; %bb.0:
	s_load_b64 s[2:3], s[0:1], 0x30
	s_mov_b32 s30, s13
	s_waitcnt lgkmcnt(0)
	s_cmp_lg_u64 s[2:3], 0
	s_cselect_b32 s6, -1, 0
	s_ashr_i32 s31, s13, 31
	s_cmp_eq_u64 s[2:3], 0
	s_cbranch_scc1 .LBB728_3
; %bb.1:
	s_lshl_b64 s[4:5], s[30:31], 2
	s_delay_alu instid0(SALU_CYCLE_1) | instskip(SKIP_4) | instid1(SALU_CYCLE_1)
	s_add_u32 s4, s2, s4
	s_addc_u32 s5, s3, s5
	s_load_b64 s[4:5], s[4:5], 0x0
	s_waitcnt lgkmcnt(0)
	s_sub_i32 s4, s5, s4
	s_cmp_eq_u32 s4, 1
	s_cselect_b32 s4, -1, 0
	s_delay_alu instid0(SALU_CYCLE_1)
	s_and_not1_b32 vcc_lo, exec_lo, s4
	s_cbranch_vccz .LBB728_4
.LBB728_2:
	s_nop 0
	s_sendmsg sendmsg(MSG_DEALLOC_VGPRS)
	s_endpgm
.LBB728_3:
.LBB728_4:
	s_load_b64 s[8:9], s[0:1], 0x28
	s_lshl_b64 s[4:5], s[30:31], 2
	s_waitcnt lgkmcnt(0)
	s_add_u32 s8, s8, s4
	s_addc_u32 s9, s9, s5
	s_lshl_b32 s12, s14, 8
	s_load_b32 s17, s[8:9], 0x0
	s_waitcnt lgkmcnt(0)
	s_cmp_ge_i32 s12, s17
	s_cbranch_scc1 .LBB728_2
; %bb.5:
	s_and_not1_b32 vcc_lo, exec_lo, s6
	s_cbranch_vccnz .LBB728_7
; %bb.6:
	s_add_u32 s2, s2, s4
	s_addc_u32 s3, s3, s5
	s_load_b32 s13, s[2:3], 0x0
	s_branch .LBB728_8
.LBB728_7:
	s_mov_b32 s13, s30
.LBB728_8:
	s_clause 0x2
	s_load_b128 s[8:11], s[0:1], 0x8
	s_load_b64 s[2:3], s[0:1], 0x20
	s_load_b128 s[4:7], s[0:1], 0x48
	v_lshrrev_b32_e32 v74, 5, v0
	v_bfe_u32 v83, v0, 4, 1
	v_and_b32_e32 v73, 15, v0
	s_waitcnt lgkmcnt(0)
	s_mov_b32 s7, exec_lo
	s_delay_alu instid0(VALU_DEP_2) | instskip(NEXT) | instid1(VALU_DEP_2)
	v_lshl_or_b32 v3, v74, 1, v83
	v_lshlrev_b32_e32 v1, 3, v73
	s_delay_alu instid0(VALU_DEP_2)
	v_cmpx_lt_u32_e32 2, v3
	s_xor_b32 s7, exec_lo, s7
; %bb.9:
	v_mov_b32_e32 v2, 0
                                        ; implicit-def: $vgpr3
; %bb.10:
	s_or_saveexec_b32 s7, s7
	v_and_b32_e32 v75, 31, v0
	v_and_b32_e32 v84, 1, v0
	s_mul_i32 s31, s15, 3
	s_xor_b32 exec_lo, exec_lo, s7
	s_cbranch_execz .LBB728_12
; %bb.11:
	s_load_b64 s[18:19], s[0:1], 0x0
	v_add_lshl_u32 v4, v3, s31, 7
	s_mul_hi_i32 s21, s13, s4
	s_mul_i32 s20, s13, s4
	v_lshlrev_b32_e32 v2, 1, v1
	s_lshl_b64 s[20:21], s[20:21], 1
	v_ashrrev_i32_e32 v5, 31, v4
	v_lshlrev_b32_e32 v3, 6, v3
	v_lshlrev_b32_e32 v8, 10, v84
	s_delay_alu instid0(VALU_DEP_3) | instskip(SKIP_3) | instid1(VALU_DEP_1)
	v_lshlrev_b64 v[4:5], 1, v[4:5]
	s_waitcnt lgkmcnt(0)
	s_add_u32 s4, s18, s20
	s_addc_u32 s13, s19, s21
	v_add_co_u32 v4, vcc_lo, s4, v4
	s_delay_alu instid0(VALU_DEP_2) | instskip(NEXT) | instid1(VALU_DEP_2)
	v_add_co_ci_u32_e32 v5, vcc_lo, s13, v5, vcc_lo
	v_add_co_u32 v4, vcc_lo, v4, v2
	s_delay_alu instid0(VALU_DEP_2) | instskip(SKIP_3) | instid1(VALU_DEP_1)
	v_add_co_ci_u32_e32 v5, vcc_lo, 0, v5, vcc_lo
	v_lshlrev_b32_e32 v2, 10, v73
	global_load_b128 v[4:7], v[4:5], off
	v_and_b32_e32 v2, 0x3800, v2
	v_or3_b32 v3, v2, v8, v3
	v_mov_b32_e32 v2, 0
	s_waitcnt vmcnt(0)
	ds_store_b128 v3, v[4:7]
.LBB728_12:
	s_or_b32 exec_lo, exec_lo, s7
	v_and_b32_e32 v3, 0xef, v0
	v_mul_lo_u16 v80, 0x56, v73
	s_add_i32 s4, s17, 31
	s_clause 0x1
	s_load_b32 s7, s[0:1], 0x38
	s_load_b32 s18, s[0:1], 0x1c
	v_add_nc_u32_e32 v3, s12, v3
	v_lshrrev_b16 v80, 8, v80
	s_ashr_i32 s13, s4, 31
	s_waitcnt lgkmcnt(0)
	s_lshr_b32 s13, s13, 27
	v_ashrrev_i32_e32 v4, 31, v3
	v_mul_lo_u16 v80, v80, 3
	s_add_i32 s4, s4, s13
	v_cmp_gt_i32_e32 vcc_lo, s17, v3
	s_ashr_i32 s4, s4, 5
	v_lshrrev_b32_e32 v5, 27, v4
	v_or_b32_e32 v4, 16, v3
	v_sub_nc_u16 v80, v73, v80
	s_add_i32 s4, s4, -1
	s_barrier
	v_add_nc_u32_e32 v6, v3, v5
	v_add_nc_u32_e32 v5, v4, v5
	v_and_b32_e32 v80, 0xff, v80
	s_mul_i32 s20, s30, s7
	buffer_gl0_inv
	v_ashrrev_i32_e32 v6, 5, v6
	v_ashrrev_i32_e32 v5, 5, v5
	s_ashr_i32 s21, s20, 31
	v_lshlrev_b64 v[81:82], 1, v[1:2]
	s_lshl_b64 s[20:21], s[20:21], 2
	v_dual_cndmask_b32 v3, s4, v6 :: v_dual_lshlrev_b32 v80, 6, v80
	v_cmp_gt_i32_e32 vcc_lo, s17, v4
	s_add_u32 s13, s2, s20
	s_addc_u32 s16, s3, s21
	s_delay_alu instid0(VALU_DEP_2) | instskip(SKIP_3) | instid1(SALU_CYCLE_1)
	v_ashrrev_i32_e32 v4, 31, v3
	s_mul_i32 s2, s15, s6
	v_cndmask_b32_e32 v5, s4, v5, vcc_lo
	s_ashr_i32 s3, s2, 31
	s_lshl_b64 s[2:3], s[2:3], 1
	v_lshlrev_b64 v[3:4], 2, v[3:4]
	s_delay_alu instid0(VALU_DEP_2) | instskip(SKIP_3) | instid1(VALU_DEP_1)
	v_ashrrev_i32_e32 v6, 31, v5
	s_add_u32 s15, s8, s2
	s_addc_u32 s19, s9, s3
	s_lshl_b32 s6, s14, 3
	v_lshlrev_b64 v[5:6], 2, v[5:6]
	v_add_co_u32 v3, vcc_lo, s13, v3
	v_add_co_ci_u32_e32 v4, vcc_lo, s16, v4, vcc_lo
	s_ashr_i32 s7, s6, 31
	s_delay_alu instid0(VALU_DEP_3) | instskip(NEXT) | instid1(VALU_DEP_4)
	v_add_co_u32 v5, vcc_lo, s13, v5
	v_add_co_ci_u32_e32 v6, vcc_lo, s16, v6, vcc_lo
	s_clause 0x1
	global_load_b32 v7, v[3:4], off
	global_load_b32 v8, v[5:6], off
	s_lshl_b64 s[6:7], s[6:7], 2
	s_delay_alu instid0(SALU_CYCLE_1) | instskip(SKIP_2) | instid1(SALU_CYCLE_1)
	s_add_u32 s6, s13, s6
	s_addc_u32 s7, s16, s7
	s_or_b32 s8, s12, 32
	s_ashr_i32 s9, s8, 5
	s_cmp_lt_i32 s8, s17
	s_cselect_b32 s8, s9, s4
	s_delay_alu instid0(SALU_CYCLE_1) | instskip(NEXT) | instid1(SALU_CYCLE_1)
	s_ashr_i32 s9, s8, 31
	s_lshl_b64 s[8:9], s[8:9], 2
	s_delay_alu instid0(SALU_CYCLE_1) | instskip(SKIP_2) | instid1(SALU_CYCLE_1)
	s_add_u32 s8, s13, s8
	s_addc_u32 s9, s16, s9
	s_or_b32 s20, s12, 64
	s_ashr_i32 s21, s20, 5
	s_cmp_lt_i32 s20, s17
	s_cselect_b32 s20, s21, s4
	s_delay_alu instid0(SALU_CYCLE_1) | instskip(NEXT) | instid1(SALU_CYCLE_1)
	s_ashr_i32 s21, s20, 31
	;; [unrolled: 10-line block ×5, first 2 shown]
	s_lshl_b64 s[26:27], s[26:27], 2
	s_delay_alu instid0(SALU_CYCLE_1)
	s_add_u32 s26, s13, s26
	s_addc_u32 s27, s16, s27
	s_clause 0x5
	s_load_b32 s28, s[6:7], 0x0
	s_load_b32 s29, s[8:9], 0x0
	;; [unrolled: 1-line block ×6, first 2 shown]
	s_mov_b32 s20, 0
	s_or_b32 s6, s12, 0xc0
	s_mov_b32 s27, s20
	s_mov_b32 s21, s20
	s_mov_b32 s22, s20
	s_mov_b32 s23, s20
	s_mov_b32 s24, s20
	s_mov_b32 s25, s20
	s_mov_b32 s26, s20
	s_delay_alu instid0(SALU_CYCLE_1)
	v_dual_mov_b32 v108, s27 :: v_dual_mov_b32 v107, s26
	v_dual_mov_b32 v106, s25 :: v_dual_mov_b32 v105, s24
	;; [unrolled: 1-line block ×4, first 2 shown]
	s_ashr_i32 s7, s6, 5
	s_cmp_lt_i32 s6, s17
	s_waitcnt lgkmcnt(0)
	s_mul_hi_i32 s9, s28, s5
	s_cselect_b32 s6, s7, s4
	s_mul_i32 s8, s28, s5
	s_ashr_i32 s7, s6, 31
	s_mul_hi_i32 s21, s29, s5
	s_lshl_b64 s[6:7], s[6:7], 2
	s_mul_i32 s20, s29, s5
	s_add_u32 s6, s13, s6
	s_addc_u32 s7, s16, s7
	s_mul_hi_i32 s25, s33, s5
	s_mul_i32 s24, s33, s5
	s_mul_hi_i32 s27, s34, s5
	s_mul_i32 s26, s34, s5
	s_mul_i32 s34, s36, s5
	s_waitcnt vmcnt(1)
	v_mad_i64_i32 v[3:4], null, v7, s5, 0
	s_waitcnt vmcnt(0)
	v_mad_i64_i32 v[5:6], null, v8, s5, 0
	s_delay_alu instid0(VALU_DEP_2) | instskip(NEXT) | instid1(VALU_DEP_2)
	v_lshlrev_b64 v[3:4], 1, v[3:4]
	v_lshlrev_b64 v[1:2], 1, v[5:6]
	s_delay_alu instid0(VALU_DEP_2) | instskip(NEXT) | instid1(VALU_DEP_3)
	v_add_co_u32 v3, vcc_lo, s15, v3
	v_add_co_ci_u32_e32 v4, vcc_lo, s19, v4, vcc_lo
	s_delay_alu instid0(VALU_DEP_3) | instskip(NEXT) | instid1(VALU_DEP_4)
	v_add_co_u32 v1, vcc_lo, s15, v1
	v_add_co_ci_u32_e32 v2, vcc_lo, s19, v2, vcc_lo
	s_delay_alu instid0(VALU_DEP_4) | instskip(NEXT) | instid1(VALU_DEP_4)
	v_add_co_u32 v65, vcc_lo, v3, v81
	v_add_co_ci_u32_e32 v66, vcc_lo, v4, v82, vcc_lo
	s_delay_alu instid0(VALU_DEP_4) | instskip(NEXT) | instid1(VALU_DEP_4)
	v_add_co_u32 v76, vcc_lo, v1, v81
	v_add_co_ci_u32_e32 v77, vcc_lo, v2, v82, vcc_lo
	s_clause 0xf
	global_load_b128 v[1:4], v[65:66], off
	global_load_b128 v[5:8], v[65:66], off offset:512
	global_load_b128 v[9:12], v[76:77], off offset:256
	;; [unrolled: 1-line block ×15, first 2 shown]
	v_add_co_u32 v78, vcc_lo, 0x1000, v65
	v_add_co_ci_u32_e32 v79, vcc_lo, 0, v66, vcc_lo
	v_add_co_u32 v76, vcc_lo, 0x1000, v76
	s_clause 0x1
	global_load_b128 v[65:68], v[78:79], off
	global_load_b128 v[69:72], v[78:79], off offset:512
	v_add_co_ci_u32_e32 v77, vcc_lo, 0, v77, vcc_lo
	ds_load_b128 v[85:88], v80
	ds_load_b128 v[89:92], v80 offset:1024
	s_clause 0x1
	global_load_b128 v[93:96], v[76:77], off offset:256
	global_load_b128 v[97:100], v[76:77], off offset:768
	ds_load_b128 v[109:112], v80 offset:2048
	ds_load_b128 v[113:116], v80 offset:3072
	s_or_b32 s15, s12, 0xe0
	s_delay_alu instid0(SALU_CYCLE_1) | instskip(SKIP_2) | instid1(SALU_CYCLE_1)
	s_ashr_i32 s19, s15, 5
	s_cmp_lt_i32 s15, s17
	s_cselect_b32 s22, s19, s4
	s_ashr_i32 s23, s22, 31
	s_delay_alu instid0(SALU_CYCLE_1) | instskip(NEXT) | instid1(SALU_CYCLE_1)
	s_lshl_b64 s[22:23], s[22:23], 2
	s_add_u32 s22, s13, s22
	s_addc_u32 s23, s16, s23
	s_add_i32 s15, s12, 0x100
	s_delay_alu instid0(SALU_CYCLE_1) | instskip(SKIP_2) | instid1(SALU_CYCLE_1)
	s_ashr_i32 s19, s15, 5
	s_cmp_lt_i32 s15, s17
	s_cselect_b32 s28, s19, s4
	s_ashr_i32 s29, s28, 31
	s_delay_alu instid0(SALU_CYCLE_1) | instskip(NEXT) | instid1(SALU_CYCLE_1)
	s_lshl_b64 s[28:29], s[28:29], 2
	s_add_u32 s28, s13, s28
	s_addc_u32 s29, s16, s29
	s_add_u32 s4, s10, s2
	s_addc_u32 s19, s11, s3
	s_lshl_b64 s[2:3], s[8:9], 1
	s_lshl_b64 s[8:9], s[20:21], 1
	;; [unrolled: 1-line block ×4, first 2 shown]
	s_waitcnt vmcnt(18) lgkmcnt(2)
	v_wmma_f32_16x16x16_bf16 v[117:124], v[1:8], v[85:92], v[101:108]
	s_waitcnt vmcnt(16)
	v_wmma_f32_16x16x16_bf16 v[101:108], v[9:16], v[85:92], v[101:108]
	s_clause 0x3
	global_load_b128 v[1:4], v[78:79], off offset:1024
	global_load_b128 v[5:8], v[78:79], off offset:1536
	;; [unrolled: 1-line block ×4, first 2 shown]
	s_waitcnt vmcnt(18) lgkmcnt(0)
	v_wmma_f32_16x16x16_bf16 v[117:124], v[17:24], v[109:116], v[117:124]
	s_clause 0x1
	global_load_b128 v[17:20], v[78:79], off offset:2048
	global_load_b128 v[21:24], v[78:79], off offset:2560
	s_waitcnt vmcnt(18)
	v_wmma_f32_16x16x16_bf16 v[101:108], v[25:32], v[109:116], v[101:108]
	ds_load_b128 v[25:28], v80 offset:4096
	ds_load_b128 v[29:32], v80 offset:5120
	s_clause 0x5
	global_load_b128 v[109:112], v[76:77], off offset:2304
	global_load_b128 v[113:116], v[76:77], off offset:2816
	;; [unrolled: 1-line block ×6, first 2 shown]
	s_waitcnt vmcnt(22) lgkmcnt(0)
	v_wmma_f32_16x16x16_bf16 v[117:124], v[33:40], v[25:32], v[117:124]
	s_waitcnt vmcnt(20)
	v_wmma_f32_16x16x16_bf16 v[101:108], v[41:48], v[25:32], v[101:108]
	ds_load_b128 v[25:28], v80 offset:6144
	ds_load_b128 v[29:32], v80 offset:7168
	;; [unrolled: 1-line block ×4, first 2 shown]
	s_waitcnt vmcnt(18) lgkmcnt(2)
	v_wmma_f32_16x16x16_bf16 v[117:124], v[49:56], v[25:32], v[117:124]
	s_waitcnt vmcnt(16)
	v_wmma_f32_16x16x16_bf16 v[101:108], v[57:64], v[25:32], v[101:108]
	ds_load_b128 v[25:28], v80 offset:10240
	ds_load_b128 v[29:32], v80 offset:11264
	;; [unrolled: 1-line block ×6, first 2 shown]
	s_waitcnt vmcnt(14) lgkmcnt(6)
	v_wmma_f32_16x16x16_bf16 v[117:124], v[65:72], v[33:40], v[117:124]
	s_waitcnt vmcnt(12)
	v_wmma_f32_16x16x16_bf16 v[101:108], v[93:100], v[33:40], v[101:108]
	s_clause 0x2
	s_load_b32 s15, s[6:7], 0x0
	s_load_b32 s13, s[22:23], 0x0
	;; [unrolled: 1-line block ×3, first 2 shown]
	s_mul_hi_i32 s7, s35, s5
	s_mul_i32 s6, s35, s5
	s_mul_hi_i32 s35, s36, s5
	s_lshl_b64 s[6:7], s[6:7], 1
	s_lshl_b64 s[22:23], s[34:35], 1
	s_waitcnt lgkmcnt(0)
	s_mul_hi_i32 s25, s15, s5
	s_mul_i32 s24, s15, s5
	s_waitcnt vmcnt(10)
	v_wmma_f32_16x16x16_bf16 v[117:124], v[1:8], v[25:32], v[117:124]
	s_waitcnt vmcnt(8)
	v_wmma_f32_16x16x16_bf16 v[101:108], v[9:16], v[25:32], v[101:108]
	s_waitcnt vmcnt(6)
	s_delay_alu instid0(VALU_DEP_2) | instskip(SKIP_1) | instid1(VALU_DEP_2)
	v_wmma_f32_16x16x16_bf16 v[117:124], v[17:24], v[141:148], v[117:124]
	s_waitcnt vmcnt(4)
	v_wmma_f32_16x16x16_bf16 v[101:108], v[109:116], v[141:148], v[101:108]
	s_waitcnt vmcnt(2)
	s_delay_alu instid0(VALU_DEP_2) | instskip(SKIP_3) | instid1(VALU_DEP_3)
	v_wmma_f32_16x16x16_bf16 v[117:124], v[125:132], v[149:156], v[117:124]
	v_lshlrev_b32_e32 v85, 6, v73
	s_waitcnt vmcnt(0)
	v_wmma_f32_16x16x16_bf16 v[101:108], v[133:140], v[149:156], v[101:108]
	v_mul_f32_e32 v100, s18, v124
	s_delay_alu instid0(VALU_DEP_3) | instskip(SKIP_2) | instid1(VALU_DEP_3)
	v_lshl_or_b32 v41, v74, 10, v85
	v_mul_f32_e32 v97, s18, v117
	v_mul_f32_e32 v99, s18, v118
	v_add_co_u32 v76, s4, s4, v41
	s_delay_alu instid0(VALU_DEP_1) | instskip(NEXT) | instid1(VALU_DEP_2)
	v_add_co_ci_u32_e64 v77, null, s19, 0, s4
	v_add_co_u32 v41, vcc_lo, v76, s2
	s_delay_alu instid0(VALU_DEP_2)
	v_add_co_ci_u32_e32 v42, vcc_lo, s3, v77, vcc_lo
	v_add_co_u32 v33, vcc_lo, v76, s8
	v_add_co_ci_u32_e32 v34, vcc_lo, s9, v77, vcc_lo
	v_add_co_u32 v35, vcc_lo, v76, s10
	v_add_co_ci_u32_e32 v36, vcc_lo, s11, v77, vcc_lo
	v_add_co_u32 v37, vcc_lo, v76, s20
	v_add_co_ci_u32_e32 v38, vcc_lo, s21, v77, vcc_lo
	v_add_co_u32 v39, vcc_lo, v76, s6
	v_add_co_ci_u32_e32 v40, vcc_lo, s7, v77, vcc_lo
	v_add_co_u32 v5, vcc_lo, v76, s22
	s_lshl_b64 s[2:3], s[24:25], 1
	v_add_co_ci_u32_e32 v6, vcc_lo, s23, v77, vcc_lo
	s_mul_hi_i32 s7, s13, s5
	s_mul_i32 s6, s13, s5
	v_add_co_u32 v17, vcc_lo, v76, s2
	v_add_co_ci_u32_e32 v18, vcc_lo, s3, v77, vcc_lo
	s_lshl_b64 s[2:3], s[6:7], 1
	s_mul_hi_i32 s7, s16, s5
	s_mul_i32 s6, s16, s5
	v_add_co_u32 v19, vcc_lo, v76, s2
	v_add_co_ci_u32_e32 v20, vcc_lo, s3, v77, vcc_lo
	s_lshl_b64 s[2:3], s[6:7], 1
	s_clause 0x1
	global_load_b128 v[65:68], v[41:42], off
	global_load_b128 v[69:72], v[41:42], off offset:16
	v_add_co_u32 v21, vcc_lo, v76, s2
	v_add_co_ci_u32_e32 v22, vcc_lo, s3, v77, vcc_lo
	s_clause 0xf
	global_load_b128 v[57:60], v[33:34], off
	global_load_b128 v[61:64], v[33:34], off offset:16
	global_load_b128 v[49:52], v[35:36], off
	global_load_b128 v[53:56], v[35:36], off offset:16
	;; [unrolled: 2-line block ×8, first 2 shown]
	v_mbcnt_lo_u32_b32 v77, -1, 0
	v_and_b32_e32 v76, 0xe0, v0
	s_waitcnt vmcnt(0)
	s_barrier
	buffer_gl0_inv
	v_xor_b32_e32 v78, 16, v77
	s_delay_alu instid0(VALU_DEP_1) | instskip(SKIP_1) | instid1(VALU_DEP_1)
	v_cmp_gt_i32_e32 vcc_lo, 32, v78
	v_dual_cndmask_b32 v77, v77, v78 :: v_dual_add_nc_u32 v76, s12, v76
	v_or_b32_e32 v76, v76, v83
	s_delay_alu instid0(VALU_DEP_1)
	v_or_b32_e32 v78, 2, v76
	v_or_b32_e32 v79, 4, v76
	;; [unrolled: 1-line block ×3, first 2 shown]
	v_cmp_gt_i32_e32 vcc_lo, s17, v76
	v_or_b32_e32 v86, 8, v76
	v_cmp_gt_i32_e64 s2, s17, v78
	v_or_b32_e32 v87, 10, v76
	v_or_b32_e32 v88, 12, v76
	v_or_b32_e32 v89, 14, v76
	v_or_b32_e32 v90, 16, v76
	v_or_b32_e32 v91, 18, v76
	v_or_b32_e32 v92, 20, v76
	v_or_b32_e32 v93, 22, v76
	v_or_b32_e32 v94, 24, v76
	v_or_b32_e32 v95, 26, v76
	v_or_b32_e32 v96, 28, v76
	v_or_b32_e32 v98, 30, v76
	v_cndmask_b32_e64 v78, 0xff7fffff, v99, s2
	v_mul_f32_e32 v99, s18, v120
	v_cmp_gt_i32_e64 s3, s17, v80
	v_mul_f32_e32 v80, s18, v119
	v_cndmask_b32_e32 v76, 0xff7fffff, v97, vcc_lo
	v_cmp_gt_i32_e64 s4, s17, v79
	v_mul_f32_e32 v79, s18, v122
	v_cmp_gt_i32_e64 s5, s17, v86
	v_cmp_gt_i32_e64 s6, s17, v87
	v_max3_f32 v76, v76, 0xff7fffff, v78
	v_mul_f32_e32 v78, s18, v121
	v_cndmask_b32_e64 v80, 0xff7fffff, v80, s4
	v_mul_f32_e32 v86, s18, v107
	v_cndmask_b32_e64 v99, 0xff7fffff, v99, s3
	;; [unrolled: 2-line block ×3, first 2 shown]
	v_cndmask_b32_e64 v79, 0xff7fffff, v79, s6
	v_cmp_gt_i32_e64 s7, s17, v89
	v_max3_f32 v76, v76, v80, v99
	v_mul_f32_e32 v80, s18, v108
	v_cmp_gt_i32_e64 s8, s17, v88
	v_dual_mul_f32 v99, s18, v105 :: v_dual_mul_f32 v88, s18, v102
	s_delay_alu instid0(VALU_DEP_4) | instskip(SKIP_1) | instid1(VALU_DEP_4)
	v_max3_f32 v76, v76, v78, v79
	v_mul_f32_e32 v89, s18, v101
	v_cndmask_b32_e64 v97, 0xff7fffff, v97, s8
	v_cndmask_b32_e64 v100, 0xff7fffff, v100, s7
	v_cmp_gt_i32_e64 s9, s17, v90
	v_cmp_gt_i32_e64 s10, s17, v91
	v_dual_mul_f32 v78, s18, v104 :: v_dual_mul_f32 v79, s18, v103
	s_delay_alu instid0(VALU_DEP_4) | instskip(NEXT) | instid1(VALU_DEP_4)
	v_max3_f32 v76, v76, v97, v100
	v_cndmask_b32_e64 v89, 0xff7fffff, v89, s9
	s_delay_alu instid0(VALU_DEP_4)
	v_cndmask_b32_e64 v88, 0xff7fffff, v88, s10
	v_cmp_gt_i32_e64 s11, s17, v92
	v_cmp_gt_i32_e64 s12, s17, v93
	v_mul_f32_e32 v87, s18, v106
	v_cmp_gt_i32_e64 s13, s17, v94
	v_max3_f32 v76, v76, v89, v88
	v_cndmask_b32_e64 v79, 0xff7fffff, v79, s11
	v_cndmask_b32_e64 v78, 0xff7fffff, v78, s12
	v_cmp_gt_i32_e64 s15, s17, v95
	v_cndmask_b32_e64 v88, 0xff7fffff, v99, s13
	v_cmp_gt_i32_e64 s16, s17, v96
	v_cmp_gt_i32_e64 s17, s17, v98
	v_max3_f32 v76, v76, v79, v78
	v_cndmask_b32_e64 v87, 0xff7fffff, v87, s15
	v_lshlrev_b32_e32 v99, 2, v77
	v_cndmask_b32_e64 v78, 0xff7fffff, v86, s16
	v_cndmask_b32_e64 v79, 0xff7fffff, v80, s17
	s_delay_alu instid0(VALU_DEP_4) | instskip(NEXT) | instid1(VALU_DEP_1)
	v_max3_f32 v76, v76, v88, v87
	v_max3_f32 v76, v76, v78, v79
	ds_bpermute_b32 v77, v99, v76
	s_waitcnt lgkmcnt(0)
	v_max_f32_e32 v77, v77, v77
	s_delay_alu instid0(VALU_DEP_1) | instskip(NEXT) | instid1(VALU_DEP_1)
	v_max_f32_e32 v76, v76, v77
	v_fma_f32 v80, s18, v120, -v76
	v_fma_f32 v77, s18, v117, -v76
	;; [unrolled: 1-line block ×5, first 2 shown]
	v_mul_f32_e32 v80, 0x3fb8aa3b, v80
	v_fma_f32 v87, s18, v123, -v76
	v_mul_f32_e32 v78, 0x3fb8aa3b, v78
	v_fma_f32 v88, s18, v105, -v76
	v_mul_f32_e32 v86, 0x3fb8aa3b, v86
	v_exp_f32_e32 v80, v80
	v_fma_f32 v90, s18, v107, -v76
	v_exp_f32_e32 v78, v78
	v_fma_f32 v100, s18, v108, -v76
	v_exp_f32_e32 v86, v86
	v_mul_f32_e32 v88, 0x3fb8aa3b, v88
	s_delay_alu instid0(VALU_DEP_2) | instskip(NEXT) | instid1(TRANS32_DEP_3)
	v_mul_f32_e32 v100, 0x3fb8aa3b, v100
	v_cndmask_b32_e64 v95, 0, v80, s3
	v_mul_f32_e32 v77, 0x3fb8aa3b, v77
	s_delay_alu instid0(TRANS32_DEP_2) | instskip(SKIP_1) | instid1(TRANS32_DEP_1)
	v_cndmask_b32_e64 v91, 0, v78, s2
	v_fma_f32 v80, s18, v101, -v76
	v_cndmask_b32_e64 v96, 0, v86, s5
	v_fma_f32 v86, s18, v102, -v76
	v_exp_f32_e32 v77, v77
	s_delay_alu instid0(VALU_DEP_3) | instskip(SKIP_1) | instid1(VALU_DEP_2)
	v_dual_mul_f32 v79, 0x3fb8aa3b, v79 :: v_dual_mul_f32 v80, 0x3fb8aa3b, v80
	v_exp_f32_e32 v88, v88
	v_mul_f32_e32 v86, 0x3fb8aa3b, v86
	v_cmp_gt_u32_e64 s2, 16, v75
	v_exp_f32_e32 v100, v100
	v_exp_f32_e32 v80, v80
	s_delay_alu instid0(VALU_DEP_2) | instskip(SKIP_3) | instid1(VALU_DEP_1)
	v_exp_f32_e32 v86, v86
	v_cndmask_b32_e32 v92, 0, v77, vcc_lo
	v_exp_f32_e32 v79, v79
	v_fma_f32 v77, s18, v122, -v76
	v_dual_add_f32 v78, 0, v92 :: v_dual_mul_f32 v77, 0x3fb8aa3b, v77
	s_delay_alu instid0(VALU_DEP_1)
	v_add_f32_e32 v78, v78, v91
	s_waitcnt_depctr 0xfff
	v_cndmask_b32_e64 v93, 0, v79, s4
	v_fma_f32 v79, s18, v124, -v76
	v_mul_f32_e32 v87, 0x3fb8aa3b, v87
	v_exp_f32_e32 v77, v77
	s_delay_alu instid0(VALU_DEP_2) | instskip(NEXT) | instid1(VALU_DEP_2)
	v_dual_add_f32 v78, v78, v93 :: v_dual_mul_f32 v79, 0x3fb8aa3b, v79
	v_exp_f32_e32 v87, v87
	s_delay_alu instid0(VALU_DEP_1) | instskip(NEXT) | instid1(VALU_DEP_2)
	v_add_f32_e32 v78, v78, v95
	v_exp_f32_e32 v79, v79
	s_delay_alu instid0(TRANS32_DEP_3) | instskip(NEXT) | instid1(VALU_DEP_2)
	v_cndmask_b32_e64 v97, 0, v77, s6
	v_add_f32_e32 v77, v78, v96
	v_fma_f32 v78, s18, v103, -v76
	s_waitcnt_depctr 0xfff
	v_cndmask_b32_e64 v94, 0, v87, s8
	v_fma_f32 v87, s18, v104, -v76
	v_dual_add_f32 v77, v77, v97 :: v_dual_mul_f32 v78, 0x3fb8aa3b, v78
	v_cndmask_b32_e64 v98, 0, v79, s7
	s_delay_alu instid0(VALU_DEP_2) | instskip(SKIP_4) | instid1(VALU_DEP_2)
	v_add_f32_e32 v79, v77, v94
	v_cndmask_b32_e64 v77, 0, v80, s9
	v_fma_f32 v80, s18, v106, -v76
	v_exp_f32_e32 v89, v78
	v_cndmask_b32_e64 v78, 0, v86, s10
	v_dual_add_f32 v79, v79, v98 :: v_dual_mul_f32 v80, 0x3fb8aa3b, v80
	s_delay_alu instid0(VALU_DEP_1) | instskip(NEXT) | instid1(VALU_DEP_1)
	v_dual_mul_f32 v87, 0x3fb8aa3b, v87 :: v_dual_add_f32 v86, v79, v77
	v_exp_f32_e32 v87, v87
	s_waitcnt_depctr 0xfff
	v_cndmask_b32_e64 v79, 0, v89, s11
	v_add_f32_e32 v86, v86, v78
	v_mul_f32_e32 v89, 0x3fb8aa3b, v90
	v_exp_f32_e32 v90, v80
	v_cndmask_b32_e64 v80, 0, v87, s12
	s_delay_alu instid0(VALU_DEP_3) | instskip(SKIP_1) | instid1(VALU_DEP_2)
	v_add_f32_e32 v87, v86, v79
	v_cndmask_b32_e64 v86, 0, v88, s13
	v_add_f32_e32 v88, v87, v80
	v_exp_f32_e32 v89, v89
	s_waitcnt_depctr 0xfff
	v_cndmask_b32_e64 v87, 0, v90, s15
	v_add_f32_e32 v90, v88, v86
	v_cndmask_b32_e64 v88, 0, v89, s16
	s_delay_alu instid0(VALU_DEP_2) | instskip(NEXT) | instid1(VALU_DEP_1)
	v_add_f32_e32 v89, v90, v87
	v_add_f32_e32 v90, v89, v88
	v_cndmask_b32_e64 v89, 0, v100, s17
	s_delay_alu instid0(VALU_DEP_1)
	v_add_f32_e32 v90, v90, v89
	ds_bpermute_b32 v99, v99, v90
	s_and_saveexec_b32 s3, s2
	s_cbranch_execz .LBB728_14
; %bb.13:
	v_mul_u32_u24_e32 v75, 0x44, v74
	s_waitcnt lgkmcnt(0)
	v_add_f32_e32 v90, v90, v99
	s_delay_alu instid0(VALU_DEP_2) | instskip(NEXT) | instid1(VALU_DEP_1)
	v_lshl_add_u32 v75, v73, 2, v75
	v_add_nc_u32_e32 v75, 0x4000, v75
	ds_store_2addr_b32 v75, v76, v90 offset1:136
.LBB728_14:
	s_or_b32 exec_lo, exec_lo, s3
	v_lshlrev_b32_e32 v75, 2, v73
	s_waitcnt lgkmcnt(0)
	s_barrier
	buffer_gl0_inv
	v_cmp_eq_u32_e64 s3, 1, v74
	v_add_nc_u32_e32 v90, 0x4000, v75
	ds_load_2addr_b32 v[99:100], v90 offset1:17
	ds_load_2addr_b32 v[101:102], v90 offset0:34 offset1:51
	ds_load_2addr_b32 v[103:104], v90 offset0:68 offset1:85
	;; [unrolled: 1-line block ×4, first 2 shown]
	s_waitcnt lgkmcnt(4)
	v_max3_f32 v75, v99, 0xff7fffff, v100
	s_waitcnt lgkmcnt(3)
	s_delay_alu instid0(VALU_DEP_1) | instskip(SKIP_1) | instid1(VALU_DEP_1)
	v_max3_f32 v75, v75, v101, v102
	s_waitcnt lgkmcnt(2)
	v_max3_f32 v75, v75, v103, v104
	s_waitcnt lgkmcnt(1)
	s_delay_alu instid0(VALU_DEP_1) | instskip(NEXT) | instid1(VALU_DEP_1)
	v_max3_f32 v75, v75, v105, v106
	v_sub_f32_e32 v109, v100, v75
	v_sub_f32_e32 v76, v99, v75
	ds_load_2addr_b32 v[99:100], v90 offset0:170 offset1:187
	v_sub_f32_e32 v101, v101, v75
	v_dual_mul_f32 v109, 0x3fb8aa3b, v109 :: v_dual_mul_f32 v76, 0x3fb8aa3b, v76
	s_delay_alu instid0(VALU_DEP_2) | instskip(NEXT) | instid1(VALU_DEP_2)
	v_mul_f32_e32 v111, 0x3fb8aa3b, v101
	v_exp_f32_e32 v109, v109
	s_delay_alu instid0(VALU_DEP_2)
	v_exp_f32_e32 v110, v76
	v_sub_f32_e32 v76, v102, v75
	ds_load_2addr_b32 v[101:102], v90 offset0:204 offset1:221
	v_exp_f32_e32 v111, v111
	v_mul_f32_e32 v112, 0x3fb8aa3b, v76
	s_waitcnt lgkmcnt(2)
	v_fma_f32 v76, v110, v107, 0
	v_sub_f32_e32 v103, v103, v75
	s_delay_alu instid0(VALU_DEP_3) | instskip(NEXT) | instid1(VALU_DEP_2)
	v_exp_f32_e32 v112, v112
	v_dual_sub_f32 v107, v104, v75 :: v_dual_fmac_f32 v76, v109, v108
	s_waitcnt lgkmcnt(1)
	s_waitcnt_depctr 0xfff
	v_fmac_f32_e32 v76, v111, v99
	v_mul_f32_e32 v113, 0x3fb8aa3b, v103
	ds_load_2addr_b32 v[103:104], v90 offset0:238 offset1:255
	v_sub_f32_e32 v90, v105, v75
	v_dual_sub_f32 v99, v106, v75 :: v_dual_fmac_f32 v76, v112, v100
	v_mul_f32_e32 v105, 0x3fb8aa3b, v107
	v_exp_f32_e32 v107, v113
	s_delay_alu instid0(VALU_DEP_2)
	v_dual_mul_f32 v90, 0x3fb8aa3b, v90 :: v_dual_mul_f32 v99, 0x3fb8aa3b, v99
	s_waitcnt lgkmcnt(0)
	s_barrier
	buffer_gl0_inv
	v_exp_f32_e32 v90, v90
	v_exp_f32_e32 v99, v99
	v_fmac_f32_e32 v76, v107, v101
	v_exp_f32_e32 v105, v105
	s_waitcnt_depctr 0xfff
	v_fmac_f32_e32 v76, v105, v102
	s_delay_alu instid0(VALU_DEP_1) | instskip(NEXT) | instid1(VALU_DEP_1)
	v_fmac_f32_e32 v76, v90, v103
	v_fmac_f32_e32 v76, v99, v104
	s_delay_alu instid0(VALU_DEP_1) | instskip(NEXT) | instid1(VALU_DEP_1)
	v_add_f32_e32 v100, 0x358637bd, v76
	v_div_scale_f32 v101, null, v100, v100, 1.0
	v_div_scale_f32 v104, vcc_lo, 1.0, v100, 1.0
	s_delay_alu instid0(VALU_DEP_2) | instskip(SKIP_2) | instid1(VALU_DEP_1)
	v_rcp_f32_e32 v102, v101
	s_waitcnt_depctr 0xfff
	v_fma_f32 v103, -v101, v102, 1.0
	v_fmac_f32_e32 v102, v103, v102
	v_cndmask_b32_e64 v103, v110, v109, s3
	v_cmp_eq_u32_e64 s3, 2, v74
	s_delay_alu instid0(VALU_DEP_3) | instskip(NEXT) | instid1(VALU_DEP_2)
	v_mul_f32_e32 v106, v104, v102
	v_cndmask_b32_e64 v103, v103, v111, s3
	v_cmp_eq_u32_e64 s3, 3, v74
	s_delay_alu instid0(VALU_DEP_3) | instskip(NEXT) | instid1(VALU_DEP_2)
	v_fma_f32 v108, -v101, v106, v104
	v_cndmask_b32_e64 v103, v103, v112, s3
	v_cmp_eq_u32_e64 s3, 4, v74
	s_delay_alu instid0(VALU_DEP_3) | instskip(NEXT) | instid1(VALU_DEP_2)
	v_fmac_f32_e32 v106, v108, v102
	v_cndmask_b32_e64 v103, v103, v107, s3
	s_delay_alu instid0(VALU_DEP_2) | instskip(SKIP_1) | instid1(VALU_DEP_2)
	v_fma_f32 v101, -v101, v106, v104
	v_cmp_eq_u32_e64 s3, 5, v74
	v_div_fmas_f32 v101, v101, v102, v106
	s_delay_alu instid0(VALU_DEP_2) | instskip(SKIP_2) | instid1(VALU_DEP_3)
	v_cndmask_b32_e64 v103, v103, v105, s3
	v_cmp_eq_u32_e32 vcc_lo, 6, v74
	s_mov_b32 s3, exec_lo
	v_div_fixup_f32 v100, v101, v100, 1.0
	s_delay_alu instid0(VALU_DEP_3) | instskip(SKIP_1) | instid1(VALU_DEP_2)
	v_cndmask_b32_e32 v90, v103, v90, vcc_lo
	v_cmp_eq_u32_e32 vcc_lo, 7, v74
	v_cndmask_b32_e32 v90, v90, v99, vcc_lo
	s_delay_alu instid0(VALU_DEP_1) | instskip(NEXT) | instid1(VALU_DEP_1)
	v_mul_f32_e32 v90, v90, v100
	v_mul_f32_e32 v100, v90, v92
	;; [unrolled: 1-line block ×6, first 2 shown]
	v_and_b32_e32 v101, 0x7f800000, v100
	v_mul_f32_e32 v99, v90, v95
	v_mul_f32_e32 v95, v90, v91
	;; [unrolled: 1-line block ×3, first 2 shown]
                                        ; implicit-def: $vgpr91
	s_delay_alu instid0(VALU_DEP_4)
	v_cmpx_ne_u32_e32 0x7f800000, v101
	s_xor_b32 s3, exec_lo, s3
; %bb.15:
	v_bfe_u32 v91, v100, 16, 1
	s_delay_alu instid0(VALU_DEP_1)
	v_add3_u32 v91, v100, v91, 0x7fff
                                        ; implicit-def: $vgpr100
; %bb.16:
	s_and_not1_saveexec_b32 s3, s3
; %bb.17:
	v_and_b32_e32 v91, 0xffff, v100
	v_or_b32_e32 v93, 0x10000, v100
	s_delay_alu instid0(VALU_DEP_2) | instskip(NEXT) | instid1(VALU_DEP_2)
	v_cmp_eq_u32_e32 vcc_lo, 0, v91
	v_cndmask_b32_e32 v91, v93, v100, vcc_lo
; %bb.18:
	s_or_b32 exec_lo, exec_lo, s3
	v_and_b32_e32 v93, 0x7f800000, v95
	s_delay_alu instid0(VALU_DEP_1) | instskip(SKIP_1) | instid1(SALU_CYCLE_1)
	v_cmp_ne_u32_e32 vcc_lo, 0x7f800000, v93
                                        ; implicit-def: $vgpr93
	s_and_saveexec_b32 s3, vcc_lo
	s_xor_b32 s3, exec_lo, s3
; %bb.19:
	v_bfe_u32 v93, v95, 16, 1
	s_delay_alu instid0(VALU_DEP_1)
	v_add3_u32 v93, v95, v93, 0x7fff
                                        ; implicit-def: $vgpr95
; %bb.20:
	s_and_not1_saveexec_b32 s3, s3
; %bb.21:
	v_and_b32_e32 v93, 0xffff, v95
	v_or_b32_e32 v100, 0x10000, v95
	s_delay_alu instid0(VALU_DEP_2) | instskip(NEXT) | instid1(VALU_DEP_2)
	v_cmp_eq_u32_e32 vcc_lo, 0, v93
	v_cndmask_b32_e32 v93, v100, v95, vcc_lo
; %bb.22:
	s_or_b32 exec_lo, exec_lo, s3
	v_and_b32_e32 v95, 0x7f800000, v96
	s_delay_alu instid0(VALU_DEP_1) | instskip(SKIP_1) | instid1(SALU_CYCLE_1)
	v_cmp_ne_u32_e32 vcc_lo, 0x7f800000, v95
                                        ; implicit-def: $vgpr95
	s_and_saveexec_b32 s3, vcc_lo
	s_xor_b32 s3, exec_lo, s3
; %bb.23:
	v_bfe_u32 v95, v96, 16, 1
	s_delay_alu instid0(VALU_DEP_1)
	v_add3_u32 v95, v96, v95, 0x7fff
                                        ; implicit-def: $vgpr96
; %bb.24:
	s_and_not1_saveexec_b32 s3, s3
; %bb.25:
	v_and_b32_e32 v95, 0xffff, v96
	v_or_b32_e32 v100, 0x10000, v96
	s_delay_alu instid0(VALU_DEP_2) | instskip(NEXT) | instid1(VALU_DEP_2)
	v_cmp_eq_u32_e32 vcc_lo, 0, v95
	v_cndmask_b32_e32 v95, v100, v96, vcc_lo
; %bb.26:
	s_or_b32 exec_lo, exec_lo, s3
	v_and_b32_e32 v96, 0x7f800000, v99
	s_delay_alu instid0(VALU_DEP_1) | instskip(SKIP_1) | instid1(SALU_CYCLE_1)
	v_cmp_ne_u32_e32 vcc_lo, 0x7f800000, v96
                                        ; implicit-def: $vgpr96
	s_and_saveexec_b32 s3, vcc_lo
	s_xor_b32 s3, exec_lo, s3
; %bb.27:
	v_bfe_u32 v96, v99, 16, 1
	s_delay_alu instid0(VALU_DEP_1)
	v_add3_u32 v96, v99, v96, 0x7fff
                                        ; implicit-def: $vgpr99
; %bb.28:
	s_and_not1_saveexec_b32 s3, s3
; %bb.29:
	v_and_b32_e32 v96, 0xffff, v99
	v_or_b32_e32 v100, 0x10000, v99
	s_delay_alu instid0(VALU_DEP_2) | instskip(NEXT) | instid1(VALU_DEP_2)
	v_cmp_eq_u32_e32 vcc_lo, 0, v96
	v_cndmask_b32_e32 v96, v100, v99, vcc_lo
; %bb.30:
	s_or_b32 exec_lo, exec_lo, s3
	v_and_b32_e32 v99, 0x7f800000, v98
	s_delay_alu instid0(VALU_DEP_1) | instskip(SKIP_1) | instid1(SALU_CYCLE_1)
	v_cmp_ne_u32_e32 vcc_lo, 0x7f800000, v99
                                        ; implicit-def: $vgpr99
	s_and_saveexec_b32 s3, vcc_lo
	s_xor_b32 s3, exec_lo, s3
; %bb.31:
	v_bfe_u32 v99, v98, 16, 1
	s_delay_alu instid0(VALU_DEP_1)
	v_add3_u32 v99, v98, v99, 0x7fff
                                        ; implicit-def: $vgpr98
; %bb.32:
	s_and_not1_saveexec_b32 s3, s3
; %bb.33:
	v_and_b32_e32 v99, 0xffff, v98
	v_or_b32_e32 v100, 0x10000, v98
	s_delay_alu instid0(VALU_DEP_2) | instskip(NEXT) | instid1(VALU_DEP_2)
	v_cmp_eq_u32_e32 vcc_lo, 0, v99
	v_cndmask_b32_e32 v99, v100, v98, vcc_lo
; %bb.34:
	s_or_b32 exec_lo, exec_lo, s3
	v_and_b32_e32 v98, 0x7f800000, v97
	s_delay_alu instid0(VALU_DEP_1) | instskip(SKIP_1) | instid1(SALU_CYCLE_1)
	v_cmp_ne_u32_e32 vcc_lo, 0x7f800000, v98
                                        ; implicit-def: $vgpr98
	s_and_saveexec_b32 s3, vcc_lo
	s_xor_b32 s3, exec_lo, s3
; %bb.35:
	v_bfe_u32 v98, v97, 16, 1
	s_delay_alu instid0(VALU_DEP_1)
	v_add3_u32 v98, v97, v98, 0x7fff
                                        ; implicit-def: $vgpr97
; %bb.36:
	s_and_not1_saveexec_b32 s3, s3
; %bb.37:
	v_and_b32_e32 v98, 0xffff, v97
	v_or_b32_e32 v100, 0x10000, v97
	s_delay_alu instid0(VALU_DEP_2) | instskip(NEXT) | instid1(VALU_DEP_2)
	v_cmp_eq_u32_e32 vcc_lo, 0, v98
	v_cndmask_b32_e32 v98, v100, v97, vcc_lo
; %bb.38:
	s_or_b32 exec_lo, exec_lo, s3
	v_and_b32_e32 v97, 0x7f800000, v94
	s_delay_alu instid0(VALU_DEP_1) | instskip(SKIP_1) | instid1(SALU_CYCLE_1)
	v_cmp_ne_u32_e32 vcc_lo, 0x7f800000, v97
                                        ; implicit-def: $vgpr97
	s_and_saveexec_b32 s3, vcc_lo
	s_xor_b32 s3, exec_lo, s3
; %bb.39:
	v_bfe_u32 v97, v94, 16, 1
	s_delay_alu instid0(VALU_DEP_1)
	v_add3_u32 v97, v94, v97, 0x7fff
                                        ; implicit-def: $vgpr94
; %bb.40:
	s_and_not1_saveexec_b32 s3, s3
; %bb.41:
	v_and_b32_e32 v97, 0xffff, v94
	v_or_b32_e32 v100, 0x10000, v94
	s_delay_alu instid0(VALU_DEP_2) | instskip(NEXT) | instid1(VALU_DEP_2)
	v_cmp_eq_u32_e32 vcc_lo, 0, v97
	v_cndmask_b32_e32 v97, v100, v94, vcc_lo
; %bb.42:
	s_or_b32 exec_lo, exec_lo, s3
	v_and_b32_e32 v94, 0x7f800000, v92
	s_delay_alu instid0(VALU_DEP_1) | instskip(SKIP_1) | instid1(SALU_CYCLE_1)
	v_cmp_ne_u32_e32 vcc_lo, 0x7f800000, v94
                                        ; implicit-def: $vgpr94
	s_and_saveexec_b32 s3, vcc_lo
	s_xor_b32 s3, exec_lo, s3
; %bb.43:
	v_bfe_u32 v94, v92, 16, 1
	s_delay_alu instid0(VALU_DEP_1)
	v_add3_u32 v94, v92, v94, 0x7fff
                                        ; implicit-def: $vgpr92
; %bb.44:
	s_and_not1_saveexec_b32 s3, s3
; %bb.45:
	v_and_b32_e32 v94, 0xffff, v92
	v_or_b32_e32 v100, 0x10000, v92
	s_delay_alu instid0(VALU_DEP_2) | instskip(NEXT) | instid1(VALU_DEP_2)
	v_cmp_eq_u32_e32 vcc_lo, 0, v94
	v_cndmask_b32_e32 v94, v100, v92, vcc_lo
; %bb.46:
	s_or_b32 exec_lo, exec_lo, s3
	s_load_b64 s[34:35], s[0:1], 0x94
	v_lshlrev_b32_e32 v92, 4, v83
	s_delay_alu instid0(VALU_DEP_2)
	v_perm_b32 v100, v94, v97, 0x7060302
	v_dual_mul_f32 v89, v90, v89 :: v_dual_lshlrev_b32 v94, 11, v74
	v_perm_b32 v97, v93, v91, 0x7060302
	v_mul_f32_e32 v93, v90, v77
	v_perm_b32 v99, v98, v99, 0x7060302
	v_perm_b32 v98, v96, v95, 0x7060302
	v_or3_b32 v77, v92, v94, v85
	v_mul_f32_e32 v88, v90, v88
	v_dual_mul_f32 v87, v90, v87 :: v_dual_and_b32 v94, 0x7f800000, v93
	v_mul_f32_e32 v86, v90, v86
	v_mul_f32_e32 v91, v90, v80
	;; [unrolled: 1-line block ×4, first 2 shown]
	s_mov_b32 s3, exec_lo
	ds_store_b128 v77, v[97:100]
                                        ; implicit-def: $vgpr78
	v_cmpx_ne_u32_e32 0x7f800000, v94
	s_xor_b32 s3, exec_lo, s3
; %bb.47:
	v_bfe_u32 v78, v93, 16, 1
	s_delay_alu instid0(VALU_DEP_1)
	v_add3_u32 v78, v93, v78, 0x7fff
                                        ; implicit-def: $vgpr93
; %bb.48:
	s_and_not1_saveexec_b32 s3, s3
; %bb.49:
	v_and_b32_e32 v78, 0xffff, v93
	v_or_b32_e32 v79, 0x10000, v93
	s_delay_alu instid0(VALU_DEP_2) | instskip(NEXT) | instid1(VALU_DEP_2)
	v_cmp_eq_u32_e32 vcc_lo, 0, v78
	v_cndmask_b32_e32 v78, v79, v93, vcc_lo
; %bb.50:
	s_or_b32 exec_lo, exec_lo, s3
	v_and_b32_e32 v79, 0x7f800000, v80
	s_delay_alu instid0(VALU_DEP_1) | instskip(SKIP_1) | instid1(SALU_CYCLE_1)
	v_cmp_ne_u32_e32 vcc_lo, 0x7f800000, v79
                                        ; implicit-def: $vgpr79
	s_and_saveexec_b32 s3, vcc_lo
	s_xor_b32 s3, exec_lo, s3
; %bb.51:
	v_bfe_u32 v79, v80, 16, 1
	s_delay_alu instid0(VALU_DEP_1)
	v_add3_u32 v79, v80, v79, 0x7fff
                                        ; implicit-def: $vgpr80
; %bb.52:
	s_and_not1_saveexec_b32 s3, s3
; %bb.53:
	v_and_b32_e32 v79, 0xffff, v80
	v_or_b32_e32 v90, 0x10000, v80
	s_delay_alu instid0(VALU_DEP_2) | instskip(NEXT) | instid1(VALU_DEP_2)
	v_cmp_eq_u32_e32 vcc_lo, 0, v79
	v_cndmask_b32_e32 v79, v90, v80, vcc_lo
; %bb.54:
	s_or_b32 exec_lo, exec_lo, s3
	v_and_b32_e32 v80, 0x7f800000, v92
	s_delay_alu instid0(VALU_DEP_1) | instskip(SKIP_1) | instid1(SALU_CYCLE_1)
	v_cmp_ne_u32_e32 vcc_lo, 0x7f800000, v80
                                        ; implicit-def: $vgpr80
	s_and_saveexec_b32 s3, vcc_lo
	s_xor_b32 s3, exec_lo, s3
; %bb.55:
	v_bfe_u32 v80, v92, 16, 1
	s_delay_alu instid0(VALU_DEP_1)
	v_add3_u32 v80, v92, v80, 0x7fff
                                        ; implicit-def: $vgpr92
; %bb.56:
	s_and_not1_saveexec_b32 s3, s3
; %bb.57:
	v_and_b32_e32 v80, 0xffff, v92
	v_or_b32_e32 v90, 0x10000, v92
	s_delay_alu instid0(VALU_DEP_2) | instskip(NEXT) | instid1(VALU_DEP_2)
	v_cmp_eq_u32_e32 vcc_lo, 0, v80
	v_cndmask_b32_e32 v80, v90, v92, vcc_lo
; %bb.58:
	s_or_b32 exec_lo, exec_lo, s3
	v_and_b32_e32 v90, 0x7f800000, v91
	s_delay_alu instid0(VALU_DEP_1) | instskip(SKIP_1) | instid1(SALU_CYCLE_1)
	v_cmp_ne_u32_e32 vcc_lo, 0x7f800000, v90
                                        ; implicit-def: $vgpr90
	s_and_saveexec_b32 s3, vcc_lo
	s_xor_b32 s3, exec_lo, s3
; %bb.59:
	v_bfe_u32 v90, v91, 16, 1
	s_delay_alu instid0(VALU_DEP_1)
	v_add3_u32 v90, v91, v90, 0x7fff
                                        ; implicit-def: $vgpr91
; %bb.60:
	s_and_not1_saveexec_b32 s3, s3
; %bb.61:
	v_and_b32_e32 v90, 0xffff, v91
	v_or_b32_e32 v92, 0x10000, v91
	s_delay_alu instid0(VALU_DEP_2) | instskip(NEXT) | instid1(VALU_DEP_2)
	v_cmp_eq_u32_e32 vcc_lo, 0, v90
	v_cndmask_b32_e32 v90, v92, v91, vcc_lo
; %bb.62:
	s_or_b32 exec_lo, exec_lo, s3
	v_and_b32_e32 v91, 0x7f800000, v86
	s_delay_alu instid0(VALU_DEP_1) | instskip(SKIP_1) | instid1(SALU_CYCLE_1)
	v_cmp_ne_u32_e32 vcc_lo, 0x7f800000, v91
                                        ; implicit-def: $vgpr91
	s_and_saveexec_b32 s3, vcc_lo
	s_xor_b32 s3, exec_lo, s3
; %bb.63:
	v_bfe_u32 v91, v86, 16, 1
	s_delay_alu instid0(VALU_DEP_1)
	v_add3_u32 v91, v86, v91, 0x7fff
                                        ; implicit-def: $vgpr86
; %bb.64:
	s_and_not1_saveexec_b32 s3, s3
; %bb.65:
	v_and_b32_e32 v91, 0xffff, v86
	v_or_b32_e32 v92, 0x10000, v86
	s_delay_alu instid0(VALU_DEP_2) | instskip(NEXT) | instid1(VALU_DEP_2)
	v_cmp_eq_u32_e32 vcc_lo, 0, v91
	v_cndmask_b32_e32 v91, v92, v86, vcc_lo
; %bb.66:
	s_or_b32 exec_lo, exec_lo, s3
	v_and_b32_e32 v86, 0x7f800000, v87
	s_delay_alu instid0(VALU_DEP_1) | instskip(SKIP_1) | instid1(SALU_CYCLE_1)
	v_cmp_ne_u32_e32 vcc_lo, 0x7f800000, v86
                                        ; implicit-def: $vgpr86
	s_and_saveexec_b32 s3, vcc_lo
	s_xor_b32 s3, exec_lo, s3
; %bb.67:
	v_bfe_u32 v86, v87, 16, 1
	s_delay_alu instid0(VALU_DEP_1)
	v_add3_u32 v86, v87, v86, 0x7fff
                                        ; implicit-def: $vgpr87
; %bb.68:
	s_and_not1_saveexec_b32 s3, s3
; %bb.69:
	v_and_b32_e32 v86, 0xffff, v87
	v_or_b32_e32 v92, 0x10000, v87
	s_delay_alu instid0(VALU_DEP_2) | instskip(NEXT) | instid1(VALU_DEP_2)
	v_cmp_eq_u32_e32 vcc_lo, 0, v86
	v_cndmask_b32_e32 v86, v92, v87, vcc_lo
; %bb.70:
	s_or_b32 exec_lo, exec_lo, s3
	v_and_b32_e32 v87, 0x7f800000, v88
	s_delay_alu instid0(VALU_DEP_1) | instskip(SKIP_1) | instid1(SALU_CYCLE_1)
	v_cmp_ne_u32_e32 vcc_lo, 0x7f800000, v87
                                        ; implicit-def: $vgpr87
	s_and_saveexec_b32 s3, vcc_lo
	s_xor_b32 s3, exec_lo, s3
; %bb.71:
	v_bfe_u32 v87, v88, 16, 1
	s_delay_alu instid0(VALU_DEP_1)
	v_add3_u32 v87, v88, v87, 0x7fff
                                        ; implicit-def: $vgpr88
; %bb.72:
	s_and_not1_saveexec_b32 s3, s3
; %bb.73:
	v_and_b32_e32 v87, 0xffff, v88
	v_or_b32_e32 v92, 0x10000, v88
	s_delay_alu instid0(VALU_DEP_2) | instskip(NEXT) | instid1(VALU_DEP_2)
	v_cmp_eq_u32_e32 vcc_lo, 0, v87
	v_cndmask_b32_e32 v87, v92, v88, vcc_lo
; %bb.74:
	s_or_b32 exec_lo, exec_lo, s3
	v_and_b32_e32 v88, 0x7f800000, v89
	s_delay_alu instid0(VALU_DEP_1) | instskip(SKIP_1) | instid1(SALU_CYCLE_1)
	v_cmp_ne_u32_e32 vcc_lo, 0x7f800000, v88
                                        ; implicit-def: $vgpr88
	s_and_saveexec_b32 s3, vcc_lo
	s_xor_b32 s3, exec_lo, s3
; %bb.75:
	v_bfe_u32 v88, v89, 16, 1
	s_delay_alu instid0(VALU_DEP_1)
	v_add3_u32 v88, v89, v88, 0x7fff
                                        ; implicit-def: $vgpr89
; %bb.76:
	s_and_not1_saveexec_b32 s3, s3
; %bb.77:
	v_and_b32_e32 v88, 0xffff, v89
	v_or_b32_e32 v92, 0x10000, v89
	s_delay_alu instid0(VALU_DEP_2) | instskip(NEXT) | instid1(VALU_DEP_2)
	v_cmp_eq_u32_e32 vcc_lo, 0, v88
	v_cndmask_b32_e32 v88, v92, v89, vcc_lo
; %bb.78:
	s_or_b32 exec_lo, exec_lo, s3
	s_delay_alu instid0(VALU_DEP_1)
	v_perm_b32 v89, v88, v87, 0x7060302
	v_perm_b32 v88, v86, v91, 0x7060302
	;; [unrolled: 1-line block ×4, first 2 shown]
	v_lshl_or_b32 v90, v74, 11, v85
	ds_store_b128 v77, v[86:89] offset:1024
	s_waitcnt lgkmcnt(0)
	s_barrier
	buffer_gl0_inv
	ds_load_b128 v[91:94], v90
	ds_load_b128 v[95:98], v90 offset:16
	v_lshlrev_b32_e32 v87, 2, v83
	s_delay_alu instid0(VALU_DEP_1)
	v_or_b32_e32 v88, 1, v87
	v_cmp_eq_u32_e32 vcc_lo, 1, v87
	v_cmp_eq_u32_e64 s4, 2, v87
	v_cmp_eq_u32_e64 s7, 3, v87
	;; [unrolled: 1-line block ×6, first 2 shown]
	v_or_b32_e32 v86, 2, v87
	v_cmp_eq_u32_e64 s10, 5, v87
	v_cmp_eq_u32_e64 s11, 4, v88
	;; [unrolled: 1-line block ×4, first 2 shown]
	s_waitcnt lgkmcnt(1)
	v_lshrrev_b32_e32 v74, 16, v91
	s_waitcnt lgkmcnt(0)
	v_lshrrev_b32_e32 v103, 16, v95
	v_lshrrev_b32_e32 v80, 16, v94
	;; [unrolled: 1-line block ×4, first 2 shown]
	v_cndmask_b32_e32 v89, v91, v74, vcc_lo
	v_cndmask_b32_e32 v99, v95, v103, vcc_lo
	v_cndmask_b32_e64 v100, v91, v74, s3
	v_lshrrev_b32_e32 v79, 16, v93
	v_lshrrev_b32_e32 v108, 16, v97
	v_cndmask_b32_e64 v89, v89, v92, s4
	v_cndmask_b32_e64 v99, v99, v96, s4
	;; [unrolled: 1-line block ×4, first 2 shown]
	v_cmp_eq_u32_e64 s5, 1, v86
	v_cndmask_b32_e64 v89, v89, v78, s7
	v_cndmask_b32_e64 v99, v99, v107, s7
	;; [unrolled: 1-line block ×4, first 2 shown]
	v_lshrrev_b32_e32 v109, 16, v98
	v_cndmask_b32_e64 v89, v89, v93, s9
	v_cndmask_b32_e64 v99, v99, v97, s9
	;; [unrolled: 1-line block ×8, first 2 shown]
	v_cmp_eq_u32_e64 s15, 7, v87
	v_cmp_eq_u32_e64 s16, 6, v88
	v_cndmask_b32_e64 v89, v89, v94, s12
	v_cndmask_b32_e64 v99, v99, v98, s12
	v_cmp_eq_u32_e64 s17, 2, v86
	v_cndmask_b32_e64 v101, v101, v97, s11
	v_cndmask_b32_e64 v100, v100, v94, s16
	;; [unrolled: 1-line block ×6, first 2 shown]
	v_cmp_eq_u32_e64 s18, 7, v88
	v_cmp_eq_u32_e64 s19, 3, v86
	;; [unrolled: 1-line block ×4, first 2 shown]
	v_cndmask_b32_e64 v99, v99, v96, s17
	v_cndmask_b32_e64 v112, v100, v80, s18
	;; [unrolled: 1-line block ×4, first 2 shown]
	v_or_b32_e32 v89, 3, v87
	v_cndmask_b32_e64 v105, v99, v107, s19
	v_cmp_eq_u32_e64 s24, 6, v86
	v_cndmask_b32_e64 v113, v100, v98, s16
	v_cndmask_b32_e64 v104, v101, v93, s20
	ds_load_b128 v[99:102], v90 offset:1024
	v_cmp_eq_u32_e64 s21, 1, v89
	v_cmp_eq_u32_e64 s23, 2, v89
	;; [unrolled: 1-line block ×3, first 2 shown]
	v_cndmask_b32_e64 v114, v104, v79, s22
	v_cmp_eq_u32_e64 s26, 4, v89
	v_cndmask_b32_e64 v74, v91, v74, s21
	v_cndmask_b32_e64 v91, v105, v97, s20
	;; [unrolled: 1-line block ×3, first 2 shown]
	ds_load_b128 v[103:106], v90 offset:1040
	v_cmp_eq_u32_e64 s28, 5, v89
	v_cndmask_b32_e64 v74, v74, v92, s23
	v_cndmask_b32_e64 v91, v91, v108, s22
	v_cndmask_b32_e64 v92, v95, v96, s23
	v_cmp_eq_u32_e64 s29, 6, v89
	v_cndmask_b32_e64 v95, v113, v109, s18
	v_cndmask_b32_e64 v74, v74, v78, s25
	;; [unrolled: 1-line block ×5, first 2 shown]
	s_waitcnt lgkmcnt(1)
	v_lshrrev_b32_e32 v96, 16, v99
	v_cndmask_b32_e64 v74, v74, v93, s26
	v_lshrrev_b32_e32 v107, 16, v100
	v_cndmask_b32_e64 v92, v92, v97, s26
	v_cmp_eq_u32_e64 s27, 7, v86
	v_cndmask_b32_e32 v93, v99, v96, vcc_lo
	v_cndmask_b32_e64 v74, v74, v79, s28
	s_delay_alu instid0(VALU_DEP_4)
	v_cndmask_b32_e64 v79, v92, v108, s28
	s_waitcnt lgkmcnt(0)
	v_lshrrev_b32_e32 v97, 16, v103
	v_cndmask_b32_e64 v92, v93, v100, s4
	v_cndmask_b32_e64 v93, v99, v96, s3
	v_cndmask_b32_e64 v74, v74, v94, s29
	v_cndmask_b32_e64 v79, v79, v98, s29
	v_cndmask_b32_e32 v108, v103, v97, vcc_lo
	v_cndmask_b32_e64 v92, v92, v107, s7
	v_cndmask_b32_e64 v93, v93, v100, s6
	v_lshrrev_b32_e32 v98, 16, v104
	v_cmp_eq_u32_e32 vcc_lo, 7, v89
	v_cndmask_b32_e64 v94, v108, v104, s4
	v_cndmask_b32_e64 v92, v92, v101, s9
	v_lshrrev_b32_e32 v108, 16, v101
	v_cndmask_b32_e64 v93, v93, v107, s8
	v_cndmask_b32_e32 v74, v74, v80, vcc_lo
	v_cndmask_b32_e64 v94, v94, v98, s7
	v_cndmask_b32_e32 v79, v79, v109, vcc_lo
	v_cndmask_b32_e64 v92, v92, v108, s10
	v_cndmask_b32_e64 v78, v78, v80, s27
	;; [unrolled: 1-line block ×4, first 2 shown]
	v_perm_b32 v94, v79, v74, 0x5040100
	v_cndmask_b32_e64 v79, v92, v102, s12
	v_perm_b32 v92, v95, v112, 0x5040100
	v_cndmask_b32_e64 v95, v99, v96, s5
	v_cndmask_b32_e64 v96, v99, v96, s21
	;; [unrolled: 1-line block ×16, first 2 shown]
	v_lshrrev_b32_e32 v109, 16, v105
	v_cndmask_b32_e64 v95, v95, v101, s20
	v_cndmask_b32_e64 v96, v96, v101, s26
	v_cndmask_b32_e64 v98, v99, v105, s26
	v_cndmask_b32_e64 v99, v100, v105, s20
	v_cndmask_b32_e64 v97, v97, v105, s11
	v_cndmask_b32_e64 v74, v80, v108, s13
	v_lshrrev_b32_e32 v80, 16, v102
	v_cndmask_b32_e64 v113, v93, v109, s10
	v_cndmask_b32_e64 v95, v95, v108, s22
	;; [unrolled: 1-line block ×6, first 2 shown]
	v_perm_b32 v93, v91, v78, 0x5040100
	v_cndmask_b32_e64 v74, v74, v102, s16
	v_cndmask_b32_e64 v78, v79, v80, s15
	;; [unrolled: 1-line block ×3, first 2 shown]
	v_lshrrev_b32_e32 v91, 16, v106
	v_cndmask_b32_e64 v95, v95, v102, s24
	v_cndmask_b32_e64 v96, v96, v102, s29
	;; [unrolled: 1-line block ×7, first 2 shown]
	v_cndmask_b32_e32 v80, v96, v80, vcc_lo
	v_cndmask_b32_e32 v96, v98, v91, vcc_lo
	v_cndmask_b32_e64 v99, v99, v91, s27
	v_cndmask_b32_e64 v100, v97, v91, s18
	;; [unrolled: 1-line block ×3, first 2 shown]
	v_perm_b32 v91, v111, v110, 0x5040100
	v_perm_b32 v98, v96, v80, 0x5040100
	;; [unrolled: 1-line block ×5, first 2 shown]
	s_mul_i32 s8, s35, 3
	s_mov_b32 s3, exec_lo
	ds_store_b128 v77, v[91:94]
	ds_store_b128 v77, v[95:98] offset:1024
	v_cmpx_gt_u32_e32 3, v0
	s_cbranch_execz .LBB728_80
; %bb.79:
	s_mul_i32 s4, s8, s30
	s_delay_alu instid0(SALU_CYCLE_1) | instskip(SKIP_1) | instid1(VALU_DEP_1)
	v_add3_u32 v77, s4, s31, v73
	s_load_b128 s[4:7], s[0:1], 0x58
	v_mad_u64_u32 v[73:74], null, v77, s34, s[14:15]
	s_delay_alu instid0(VALU_DEP_1) | instskip(NEXT) | instid1(VALU_DEP_1)
	v_ashrrev_i32_e32 v74, 31, v73
	v_lshlrev_b64 v[73:74], 2, v[73:74]
	s_waitcnt lgkmcnt(0)
	s_delay_alu instid0(VALU_DEP_1) | instskip(NEXT) | instid1(VALU_DEP_2)
	v_add_co_u32 v77, vcc_lo, s6, v73
	v_add_co_ci_u32_e32 v78, vcc_lo, s7, v74, vcc_lo
	v_add_co_u32 v73, vcc_lo, s4, v73
	v_add_co_ci_u32_e32 v74, vcc_lo, s5, v74, vcc_lo
	global_store_b32 v[77:78], v75, off
	global_store_b32 v[73:74], v76, off
.LBB728_80:
	s_or_b32 exec_lo, exec_lo, s3
	s_waitcnt lgkmcnt(0)
	s_waitcnt_vscnt null, 0x0
	s_barrier
	buffer_gl0_inv
	ds_load_b128 v[91:94], v85
	ds_load_b128 v[95:98], v85 offset:16
	ds_load_b128 v[103:106], v85 offset:1040
	;; [unrolled: 1-line block ×3, first 2 shown]
	v_mov_b32_e32 v73, 0
	ds_load_b128 v[111:114], v85 offset:2064
	ds_load_b128 v[107:110], v85 offset:2048
	;; [unrolled: 1-line block ×6, first 2 shown]
	v_mov_b32_e32 v74, v73
	v_mov_b32_e32 v75, v73
	;; [unrolled: 1-line block ×7, first 2 shown]
	s_waitcnt lgkmcnt(8)
	s_delay_alu instid0(VALU_DEP_1)
	v_wmma_f32_16x16x16_bf16 v[73:80], v[65:72], v[91:98], v[73:80]
	ds_load_b128 v[69:72], v85 offset:5136
	ds_load_b128 v[65:68], v85 offset:5120
	;; [unrolled: 1-line block ×4, first 2 shown]
	s_waitcnt lgkmcnt(10)
	v_wmma_f32_16x16x16_bf16 v[73:80], v[57:64], v[99:106], v[73:80]
	s_waitcnt lgkmcnt(8)
	s_delay_alu instid0(VALU_DEP_1)
	v_wmma_f32_16x16x16_bf16 v[73:80], v[57:64], v[107:114], v[73:80]
	ds_load_b128 v[61:64], v85 offset:7184
	ds_load_b128 v[57:60], v85 offset:7168
	;; [unrolled: 1-line block ×4, first 2 shown]
	s_waitcnt lgkmcnt(10)
	v_wmma_f32_16x16x16_bf16 v[73:80], v[49:56], v[115:122], v[73:80]
	s_waitcnt lgkmcnt(8)
	s_delay_alu instid0(VALU_DEP_1)
	v_wmma_f32_16x16x16_bf16 v[73:80], v[49:56], v[123:130], v[73:80]
	ds_load_b128 v[53:56], v85 offset:9232
	ds_load_b128 v[49:52], v85 offset:9216
	s_waitcnt lgkmcnt(8)
	v_wmma_f32_16x16x16_bf16 v[73:80], v[41:48], v[65:72], v[73:80]
	ds_load_b128 v[69:72], v85 offset:10256
	ds_load_b128 v[65:68], v85 offset:10240
	s_waitcnt lgkmcnt(8)
	;; [unrolled: 4-line block ×3, first 2 shown]
	v_wmma_f32_16x16x16_bf16 v[73:80], v[9:16], v[57:64], v[73:80]
	s_waitcnt lgkmcnt(6)
	s_delay_alu instid0(VALU_DEP_1)
	v_wmma_f32_16x16x16_bf16 v[73:80], v[9:16], v[99:106], v[73:80]
	ds_load_b128 v[13:16], v85 offset:12304
	ds_load_b128 v[9:12], v85 offset:12288
	s_waitcnt lgkmcnt(6)
	v_wmma_f32_16x16x16_bf16 v[73:80], v[1:8], v[49:56], v[73:80]
	ds_load_b128 v[53:56], v85 offset:13328
	ds_load_b128 v[49:52], v85 offset:13312
	s_waitcnt lgkmcnt(6)
	;; [unrolled: 4-line block ×4, first 2 shown]
	v_wmma_f32_16x16x16_bf16 v[73:80], v[33:40], v[9:16], v[73:80]
	s_waitcnt lgkmcnt(4)
	s_delay_alu instid0(VALU_DEP_1) | instskip(SKIP_1) | instid1(VALU_DEP_1)
	v_wmma_f32_16x16x16_bf16 v[73:80], v[25:32], v[49:56], v[73:80]
	s_waitcnt lgkmcnt(2)
	v_wmma_f32_16x16x16_bf16 v[73:80], v[25:32], v[1:8], v[73:80]
	s_waitcnt lgkmcnt(0)
	s_delay_alu instid0(VALU_DEP_1) | instskip(NEXT) | instid1(VALU_DEP_1)
	v_wmma_f32_16x16x16_bf16 v[73:80], v[17:24], v[41:48], v[73:80]
	v_and_b32_e32 v1, 0x7f800000, v73
	s_delay_alu instid0(VALU_DEP_1) | instskip(SKIP_1) | instid1(SALU_CYCLE_1)
	v_cmp_ne_u32_e32 vcc_lo, 0x7f800000, v1
                                        ; implicit-def: $vgpr1
	s_and_saveexec_b32 s3, vcc_lo
	s_xor_b32 s3, exec_lo, s3
; %bb.81:
	v_bfe_u32 v1, v73, 16, 1
	s_delay_alu instid0(VALU_DEP_1)
	v_add3_u32 v1, v73, v1, 0x7fff
; %bb.82:
	s_and_not1_saveexec_b32 s3, s3
; %bb.83:
	v_and_b32_e32 v1, 0xffff, v73
	v_or_b32_e32 v2, 0x10000, v73
	s_delay_alu instid0(VALU_DEP_2) | instskip(NEXT) | instid1(VALU_DEP_2)
	v_cmp_eq_u32_e32 vcc_lo, 0, v1
	v_cndmask_b32_e32 v1, v2, v73, vcc_lo
; %bb.84:
	s_or_b32 exec_lo, exec_lo, s3
	v_and_b32_e32 v2, 0x7f800000, v74
	s_delay_alu instid0(VALU_DEP_1) | instskip(SKIP_1) | instid1(SALU_CYCLE_1)
	v_cmp_ne_u32_e32 vcc_lo, 0x7f800000, v2
                                        ; implicit-def: $vgpr2
	s_and_saveexec_b32 s3, vcc_lo
	s_xor_b32 s3, exec_lo, s3
; %bb.85:
	v_bfe_u32 v2, v74, 16, 1
	s_delay_alu instid0(VALU_DEP_1)
	v_add3_u32 v2, v74, v2, 0x7fff
; %bb.86:
	s_and_not1_saveexec_b32 s3, s3
; %bb.87:
	v_and_b32_e32 v2, 0xffff, v74
	v_or_b32_e32 v3, 0x10000, v74
	s_delay_alu instid0(VALU_DEP_2) | instskip(NEXT) | instid1(VALU_DEP_2)
	v_cmp_eq_u32_e32 vcc_lo, 0, v2
	v_cndmask_b32_e32 v2, v3, v74, vcc_lo
; %bb.88:
	s_or_b32 exec_lo, exec_lo, s3
	v_and_b32_e32 v3, 0x7f800000, v75
	s_delay_alu instid0(VALU_DEP_1) | instskip(SKIP_1) | instid1(SALU_CYCLE_1)
	v_cmp_ne_u32_e32 vcc_lo, 0x7f800000, v3
                                        ; implicit-def: $vgpr3
	s_and_saveexec_b32 s3, vcc_lo
	s_xor_b32 s3, exec_lo, s3
; %bb.89:
	v_bfe_u32 v3, v75, 16, 1
	s_delay_alu instid0(VALU_DEP_1)
	v_add3_u32 v3, v75, v3, 0x7fff
; %bb.90:
	s_and_not1_saveexec_b32 s3, s3
; %bb.91:
	v_and_b32_e32 v3, 0xffff, v75
	v_or_b32_e32 v4, 0x10000, v75
	s_delay_alu instid0(VALU_DEP_2) | instskip(NEXT) | instid1(VALU_DEP_2)
	v_cmp_eq_u32_e32 vcc_lo, 0, v3
	v_cndmask_b32_e32 v3, v4, v75, vcc_lo
; %bb.92:
	s_or_b32 exec_lo, exec_lo, s3
	v_and_b32_e32 v4, 0x7f800000, v76
	s_delay_alu instid0(VALU_DEP_1) | instskip(SKIP_1) | instid1(SALU_CYCLE_1)
	v_cmp_ne_u32_e32 vcc_lo, 0x7f800000, v4
                                        ; implicit-def: $vgpr4
	s_and_saveexec_b32 s3, vcc_lo
	s_xor_b32 s3, exec_lo, s3
; %bb.93:
	v_bfe_u32 v4, v76, 16, 1
	s_delay_alu instid0(VALU_DEP_1)
	v_add3_u32 v4, v76, v4, 0x7fff
; %bb.94:
	s_and_not1_saveexec_b32 s3, s3
; %bb.95:
	v_and_b32_e32 v4, 0xffff, v76
	v_or_b32_e32 v5, 0x10000, v76
	s_delay_alu instid0(VALU_DEP_2) | instskip(NEXT) | instid1(VALU_DEP_2)
	v_cmp_eq_u32_e32 vcc_lo, 0, v4
	v_cndmask_b32_e32 v4, v5, v76, vcc_lo
; %bb.96:
	s_or_b32 exec_lo, exec_lo, s3
	v_and_b32_e32 v5, 0x7f800000, v77
	s_delay_alu instid0(VALU_DEP_1) | instskip(SKIP_1) | instid1(SALU_CYCLE_1)
	v_cmp_ne_u32_e32 vcc_lo, 0x7f800000, v5
                                        ; implicit-def: $vgpr5
	s_and_saveexec_b32 s3, vcc_lo
	s_xor_b32 s3, exec_lo, s3
; %bb.97:
	v_bfe_u32 v5, v77, 16, 1
	s_delay_alu instid0(VALU_DEP_1)
	v_add3_u32 v5, v77, v5, 0x7fff
; %bb.98:
	s_and_not1_saveexec_b32 s3, s3
; %bb.99:
	v_and_b32_e32 v5, 0xffff, v77
	v_or_b32_e32 v6, 0x10000, v77
	s_delay_alu instid0(VALU_DEP_2) | instskip(NEXT) | instid1(VALU_DEP_2)
	v_cmp_eq_u32_e32 vcc_lo, 0, v5
	v_cndmask_b32_e32 v5, v6, v77, vcc_lo
; %bb.100:
	s_or_b32 exec_lo, exec_lo, s3
	v_and_b32_e32 v6, 0x7f800000, v78
	s_delay_alu instid0(VALU_DEP_1) | instskip(SKIP_1) | instid1(SALU_CYCLE_1)
	v_cmp_ne_u32_e32 vcc_lo, 0x7f800000, v6
                                        ; implicit-def: $vgpr6
	s_and_saveexec_b32 s3, vcc_lo
	s_xor_b32 s3, exec_lo, s3
; %bb.101:
	v_bfe_u32 v6, v78, 16, 1
	s_delay_alu instid0(VALU_DEP_1)
	v_add3_u32 v6, v78, v6, 0x7fff
; %bb.102:
	s_and_not1_saveexec_b32 s3, s3
; %bb.103:
	v_and_b32_e32 v6, 0xffff, v78
	v_or_b32_e32 v7, 0x10000, v78
	s_delay_alu instid0(VALU_DEP_2) | instskip(NEXT) | instid1(VALU_DEP_2)
	v_cmp_eq_u32_e32 vcc_lo, 0, v6
	v_cndmask_b32_e32 v6, v7, v78, vcc_lo
; %bb.104:
	s_or_b32 exec_lo, exec_lo, s3
	v_and_b32_e32 v7, 0x7f800000, v79
	s_delay_alu instid0(VALU_DEP_1) | instskip(SKIP_1) | instid1(SALU_CYCLE_1)
	v_cmp_ne_u32_e32 vcc_lo, 0x7f800000, v7
                                        ; implicit-def: $vgpr7
	s_and_saveexec_b32 s3, vcc_lo
	s_xor_b32 s3, exec_lo, s3
; %bb.105:
	v_bfe_u32 v7, v79, 16, 1
	s_delay_alu instid0(VALU_DEP_1)
	v_add3_u32 v7, v79, v7, 0x7fff
; %bb.106:
	s_and_not1_saveexec_b32 s3, s3
; %bb.107:
	v_and_b32_e32 v7, 0xffff, v79
	v_or_b32_e32 v8, 0x10000, v79
	s_delay_alu instid0(VALU_DEP_2) | instskip(NEXT) | instid1(VALU_DEP_2)
	v_cmp_eq_u32_e32 vcc_lo, 0, v7
	v_cndmask_b32_e32 v7, v8, v79, vcc_lo
; %bb.108:
	s_or_b32 exec_lo, exec_lo, s3
	v_and_b32_e32 v8, 0x7f800000, v80
	s_delay_alu instid0(VALU_DEP_1) | instskip(SKIP_1) | instid1(SALU_CYCLE_1)
	v_cmp_ne_u32_e32 vcc_lo, 0x7f800000, v8
                                        ; implicit-def: $vgpr8
	s_and_saveexec_b32 s3, vcc_lo
	s_xor_b32 s3, exec_lo, s3
; %bb.109:
	v_bfe_u32 v8, v80, 16, 1
	s_delay_alu instid0(VALU_DEP_1)
	v_add3_u32 v8, v80, v8, 0x7fff
                                        ; implicit-def: $vgpr73_vgpr74_vgpr75_vgpr76_vgpr77_vgpr78_vgpr79_vgpr80
; %bb.110:
	s_and_not1_saveexec_b32 s3, s3
; %bb.111:
	v_and_b32_e32 v8, 0xffff, v80
	v_or_b32_e32 v9, 0x10000, v80
	s_delay_alu instid0(VALU_DEP_2) | instskip(NEXT) | instid1(VALU_DEP_2)
	v_cmp_eq_u32_e32 vcc_lo, 0, v8
	v_cndmask_b32_e32 v8, v9, v80, vcc_lo
; %bb.112:
	s_or_b32 exec_lo, exec_lo, s3
	s_delay_alu instid0(VALU_DEP_1)
	v_perm_b32 v7, v8, v7, 0x7060302
	v_perm_b32 v6, v6, v5, 0x7060302
	;; [unrolled: 1-line block ×4, first 2 shown]
	v_lshl_or_b32 v9, v83, 4, v90
	s_barrier
	buffer_gl0_inv
	v_cmp_eq_u32_e32 vcc_lo, 1, v87
	ds_store_b128 v9, v[4:7]
	s_waitcnt lgkmcnt(0)
	s_barrier
	buffer_gl0_inv
	ds_load_b128 v[1:4], v90
	ds_load_b128 v[5:8], v90 offset:16
	v_cmp_eq_u32_e64 s4, 2, v87
	v_cmp_eq_u32_e64 s3, 1, v88
	;; [unrolled: 1-line block ×5, first 2 shown]
	s_waitcnt lgkmcnt(1)
	v_lshrrev_b32_e32 v10, 16, v1
	s_waitcnt lgkmcnt(0)
	v_lshrrev_b32_e32 v14, 16, v5
	v_lshrrev_b32_e32 v15, 16, v6
	;; [unrolled: 1-line block ×4, first 2 shown]
	v_cndmask_b32_e64 v20, v1, v10, s3
	v_cndmask_b32_e32 v19, v5, v14, vcc_lo
	v_cndmask_b32_e64 v21, v5, v14, s3
	v_lshrrev_b32_e32 v16, 16, v7
	v_cmp_eq_u32_e64 s3, 1, v86
	v_lshrrev_b32_e32 v13, 16, v4
	v_cndmask_b32_e64 v19, v19, v6, s4
	v_lshrrev_b32_e32 v17, 16, v8
	s_delay_alu instid0(VALU_DEP_4) | instskip(SKIP_1) | instid1(VALU_DEP_4)
	v_cndmask_b32_e64 v22, v1, v10, s3
	v_cndmask_b32_e64 v23, v5, v14, s3
	v_cndmask_b32_e64 v19, v19, v15, s5
	v_cndmask_b32_e32 v18, v1, v10, vcc_lo
	v_cmp_eq_u32_e32 vcc_lo, 2, v88
	v_cmp_eq_u32_e64 s3, 2, v89
	v_cndmask_b32_e64 v22, v22, v2, s7
	v_cndmask_b32_e32 v20, v20, v2, vcc_lo
	v_cndmask_b32_e32 v21, v21, v6, vcc_lo
	v_cmp_eq_u32_e32 vcc_lo, 4, v87
	v_cndmask_b32_e32 v19, v19, v7, vcc_lo
	v_cndmask_b32_e64 v18, v18, v2, s4
	v_cmp_eq_u32_e64 s4, 3, v88
	s_delay_alu instid0(VALU_DEP_2) | instskip(NEXT) | instid1(VALU_DEP_2)
	v_cndmask_b32_e64 v18, v18, v11, s5
	v_cndmask_b32_e64 v21, v21, v15, s4
	v_cmp_eq_u32_e64 s5, 5, v87
	s_delay_alu instid0(VALU_DEP_3) | instskip(SKIP_1) | instid1(VALU_DEP_3)
	v_cndmask_b32_e32 v18, v18, v3, vcc_lo
	v_cmp_eq_u32_e32 vcc_lo, 4, v88
	v_cndmask_b32_e64 v19, v19, v16, s5
	s_delay_alu instid0(VALU_DEP_3) | instskip(SKIP_4) | instid1(VALU_DEP_3)
	v_cndmask_b32_e64 v18, v18, v12, s5
	v_cndmask_b32_e32 v21, v21, v7, vcc_lo
	v_cndmask_b32_e64 v20, v20, v11, s4
	v_cmp_eq_u32_e64 s4, 5, v88
	v_cmp_eq_u32_e64 s5, 6, v87
	v_cndmask_b32_e32 v20, v20, v3, vcc_lo
	s_delay_alu instid0(VALU_DEP_3) | instskip(SKIP_1) | instid1(VALU_DEP_4)
	v_cndmask_b32_e64 v21, v21, v16, s4
	v_cmp_eq_u32_e32 vcc_lo, 6, v88
	v_cndmask_b32_e64 v18, v18, v4, s5
	v_cndmask_b32_e64 v19, v19, v8, s5
	;; [unrolled: 1-line block ×3, first 2 shown]
	v_cmp_eq_u32_e64 s4, 1, v89
	v_cmp_eq_u32_e64 s5, 7, v87
	s_delay_alu instid0(VALU_DEP_3) | instskip(NEXT) | instid1(VALU_DEP_3)
	v_cndmask_b32_e32 v20, v20, v4, vcc_lo
	v_cndmask_b32_e64 v1, v1, v10, s4
	v_cndmask_b32_e64 v5, v5, v14, s4
	v_cmp_eq_u32_e64 s4, 3, v86
	v_cndmask_b32_e64 v14, v23, v6, s7
	v_cmp_eq_u32_e64 s7, 3, v89
	v_cndmask_b32_e64 v1, v1, v2, s3
	v_cndmask_b32_e64 v2, v5, v6, s3
	v_cndmask_b32_e64 v10, v22, v11, s4
	v_cmp_eq_u32_e64 s3, 4, v86
	v_cndmask_b32_e64 v6, v14, v15, s4
	v_cndmask_b32_e64 v1, v1, v11, s7
	v_cmp_eq_u32_e64 s4, 4, v89
	v_cndmask_b32_e64 v2, v2, v15, s7
	v_cndmask_b32_e64 v5, v10, v3, s3
	;; [unrolled: 3-line block ×3, first 2 shown]
	v_cndmask_b32_e64 v2, v2, v7, s4
	v_cmp_eq_u32_e64 s3, 5, v89
	v_cndmask_b32_e64 v5, v5, v12, s7
	v_cmp_eq_u32_e64 s4, 6, v86
	v_cndmask_b32_e64 v3, v6, v16, s7
	v_cmp_eq_u32_e64 s7, 6, v89
	v_cndmask_b32_e64 v1, v1, v12, s3
	v_cndmask_b32_e64 v2, v2, v16, s3
	;; [unrolled: 1-line block ×4, first 2 shown]
	v_cmp_eq_u32_e64 s3, 7, v89
	v_cndmask_b32_e64 v1, v1, v4, s7
	v_cndmask_b32_e64 v2, v2, v8, s7
	v_cmp_eq_u32_e64 s4, 7, v86
	v_cndmask_b32_e32 v4, v21, v8, vcc_lo
	v_cndmask_b32_e64 v18, v18, v13, s5
	v_cndmask_b32_e64 v20, v20, v13, s6
	;; [unrolled: 1-line block ×8, first 2 shown]
	s_mov_b32 s3, exec_lo
	v_perm_b32 v4, v2, v1, 0x5040100
	v_perm_b32 v3, v3, v5, 0x5040100
	;; [unrolled: 1-line block ×4, first 2 shown]
	ds_store_b128 v9, v[1:4]
	s_waitcnt lgkmcnt(0)
	s_barrier
	buffer_gl0_inv
	v_cmpx_gt_u32_e32 32, v0
	s_cbranch_execz .LBB728_2
; %bb.113:
	s_load_b64 s[4:5], s[0:1], 0x68
	v_lshlrev_b32_e32 v0, 10, v0
	v_lshlrev_b32_e32 v2, 4, v84
	v_add_nc_u32_e32 v1, s31, v83
	s_lshl_b32 s0, s34, 7
	s_delay_alu instid0(SALU_CYCLE_1) | instskip(NEXT) | instid1(VALU_DEP_2)
	s_mul_i32 s1, s0, s30
	v_and_or_b32 v0, 0x3800, v0, v2
	s_mul_i32 s6, s1, s8
	v_mul_lo_u32 v1, v1, s0
	s_ashr_i32 s7, s6, 31
	s_delay_alu instid0(VALU_DEP_2) | instskip(SKIP_1) | instid1(VALU_DEP_2)
	v_lshl_or_b32 v3, v83, 6, v0
	s_lshl_b64 s[6:7], s[6:7], 1
	v_ashrrev_i32_e32 v2, 31, v1
	ds_load_b128 v[3:6], v3
	s_waitcnt lgkmcnt(0)
	s_add_u32 s1, s4, s6
	s_addc_u32 s3, s5, s7
	s_lshl_b32 s4, s14, 7
	v_lshlrev_b64 v[7:8], 1, v[1:2]
	s_ashr_i32 s5, s4, 31
	s_delay_alu instid0(SALU_CYCLE_1) | instskip(NEXT) | instid1(SALU_CYCLE_1)
	s_lshl_b64 s[4:5], s[4:5], 1
	s_add_u32 s1, s1, s4
	s_addc_u32 s3, s3, s5
	v_add_co_u32 v1, vcc_lo, s1, v81
	v_add_co_ci_u32_e32 v2, vcc_lo, s3, v82, vcc_lo
	s_delay_alu instid0(VALU_DEP_2) | instskip(NEXT) | instid1(VALU_DEP_2)
	v_add_co_u32 v7, vcc_lo, v1, v7
	v_add_co_ci_u32_e32 v8, vcc_lo, v2, v8, vcc_lo
	global_store_b128 v[7:8], v[3:6], off
	s_and_b32 exec_lo, exec_lo, s2
	s_cbranch_execz .LBB728_2
; %bb.114:
	ds_load_b128 v[3:6], v0 offset:128
	s_add_i32 s1, s31, 2
	s_delay_alu instid0(SALU_CYCLE_1) | instskip(NEXT) | instid1(SALU_CYCLE_1)
	s_mul_i32 s0, s1, s0
	s_ashr_i32 s1, s0, 31
	s_delay_alu instid0(SALU_CYCLE_1) | instskip(NEXT) | instid1(SALU_CYCLE_1)
	s_lshl_b64 s[0:1], s[0:1], 1
	v_add_co_u32 v0, vcc_lo, v1, s0
	v_add_co_ci_u32_e32 v1, vcc_lo, s1, v2, vcc_lo
	s_waitcnt lgkmcnt(0)
	global_store_b128 v[0:1], v[3:6], off
	s_nop 0
	s_sendmsg sendmsg(MSG_DEALLOC_VGPRS)
	s_endpgm
	.section	.rodata,"a",@progbits
	.p2align	6, 0x0
	.amdhsa_kernel _Z39paged_attention_ll4mi_QKV_mfma16_kernelI14__hip_bfloat16S0_LN4vllm18Fp8KVCacheDataTypeE0EhLi32ELi128ELi256ELb0ELi3EL8MFMAType0EEvPKT_PKT0_S9_ifPKiSB_SB_iPKfiiiPfSE_PS4_PT2_iSD_SD_
		.amdhsa_group_segment_fixed_size 17472
		.amdhsa_private_segment_fixed_size 0
		.amdhsa_kernarg_size 400
		.amdhsa_user_sgpr_count 13
		.amdhsa_user_sgpr_dispatch_ptr 0
		.amdhsa_user_sgpr_queue_ptr 0
		.amdhsa_user_sgpr_kernarg_segment_ptr 1
		.amdhsa_user_sgpr_dispatch_id 0
		.amdhsa_user_sgpr_private_segment_size 0
		.amdhsa_wavefront_size32 1
		.amdhsa_uses_dynamic_stack 0
		.amdhsa_enable_private_segment 0
		.amdhsa_system_sgpr_workgroup_id_x 1
		.amdhsa_system_sgpr_workgroup_id_y 1
		.amdhsa_system_sgpr_workgroup_id_z 1
		.amdhsa_system_sgpr_workgroup_info 0
		.amdhsa_system_vgpr_workitem_id 0
		.amdhsa_next_free_vgpr 157
		.amdhsa_next_free_sgpr 37
		.amdhsa_reserve_vcc 1
		.amdhsa_float_round_mode_32 0
		.amdhsa_float_round_mode_16_64 0
		.amdhsa_float_denorm_mode_32 3
		.amdhsa_float_denorm_mode_16_64 3
		.amdhsa_dx10_clamp 1
		.amdhsa_ieee_mode 1
		.amdhsa_fp16_overflow 0
		.amdhsa_workgroup_processor_mode 1
		.amdhsa_memory_ordered 1
		.amdhsa_forward_progress 0
		.amdhsa_shared_vgpr_count 0
		.amdhsa_exception_fp_ieee_invalid_op 0
		.amdhsa_exception_fp_denorm_src 0
		.amdhsa_exception_fp_ieee_div_zero 0
		.amdhsa_exception_fp_ieee_overflow 0
		.amdhsa_exception_fp_ieee_underflow 0
		.amdhsa_exception_fp_ieee_inexact 0
		.amdhsa_exception_int_div_zero 0
	.end_amdhsa_kernel
	.section	.text._Z39paged_attention_ll4mi_QKV_mfma16_kernelI14__hip_bfloat16S0_LN4vllm18Fp8KVCacheDataTypeE0EhLi32ELi128ELi256ELb0ELi3EL8MFMAType0EEvPKT_PKT0_S9_ifPKiSB_SB_iPKfiiiPfSE_PS4_PT2_iSD_SD_,"axG",@progbits,_Z39paged_attention_ll4mi_QKV_mfma16_kernelI14__hip_bfloat16S0_LN4vllm18Fp8KVCacheDataTypeE0EhLi32ELi128ELi256ELb0ELi3EL8MFMAType0EEvPKT_PKT0_S9_ifPKiSB_SB_iPKfiiiPfSE_PS4_PT2_iSD_SD_,comdat
.Lfunc_end728:
	.size	_Z39paged_attention_ll4mi_QKV_mfma16_kernelI14__hip_bfloat16S0_LN4vllm18Fp8KVCacheDataTypeE0EhLi32ELi128ELi256ELb0ELi3EL8MFMAType0EEvPKT_PKT0_S9_ifPKiSB_SB_iPKfiiiPfSE_PS4_PT2_iSD_SD_, .Lfunc_end728-_Z39paged_attention_ll4mi_QKV_mfma16_kernelI14__hip_bfloat16S0_LN4vllm18Fp8KVCacheDataTypeE0EhLi32ELi128ELi256ELb0ELi3EL8MFMAType0EEvPKT_PKT0_S9_ifPKiSB_SB_iPKfiiiPfSE_PS4_PT2_iSD_SD_
                                        ; -- End function
	.section	.AMDGPU.csdata,"",@progbits
; Kernel info:
; codeLenInByte = 9664
; NumSgprs: 39
; NumVgprs: 157
; ScratchSize: 0
; MemoryBound: 0
; FloatMode: 240
; IeeeMode: 1
; LDSByteSize: 17472 bytes/workgroup (compile time only)
; SGPRBlocks: 4
; VGPRBlocks: 19
; NumSGPRsForWavesPerEU: 39
; NumVGPRsForWavesPerEU: 157
; Occupancy: 9
; WaveLimiterHint : 1
; COMPUTE_PGM_RSRC2:SCRATCH_EN: 0
; COMPUTE_PGM_RSRC2:USER_SGPR: 13
; COMPUTE_PGM_RSRC2:TRAP_HANDLER: 0
; COMPUTE_PGM_RSRC2:TGID_X_EN: 1
; COMPUTE_PGM_RSRC2:TGID_Y_EN: 1
; COMPUTE_PGM_RSRC2:TGID_Z_EN: 1
; COMPUTE_PGM_RSRC2:TIDIG_COMP_CNT: 0
	.section	.text._Z39paged_attention_ll4mi_QKV_mfma16_kernelI14__hip_bfloat16S0_LN4vllm18Fp8KVCacheDataTypeE0EhLi32ELi128ELi256ELb0ELi4EL8MFMAType0EEvPKT_PKT0_S9_ifPKiSB_SB_iPKfiiiPfSE_PS4_PT2_iSD_SD_,"axG",@progbits,_Z39paged_attention_ll4mi_QKV_mfma16_kernelI14__hip_bfloat16S0_LN4vllm18Fp8KVCacheDataTypeE0EhLi32ELi128ELi256ELb0ELi4EL8MFMAType0EEvPKT_PKT0_S9_ifPKiSB_SB_iPKfiiiPfSE_PS4_PT2_iSD_SD_,comdat
	.protected	_Z39paged_attention_ll4mi_QKV_mfma16_kernelI14__hip_bfloat16S0_LN4vllm18Fp8KVCacheDataTypeE0EhLi32ELi128ELi256ELb0ELi4EL8MFMAType0EEvPKT_PKT0_S9_ifPKiSB_SB_iPKfiiiPfSE_PS4_PT2_iSD_SD_ ; -- Begin function _Z39paged_attention_ll4mi_QKV_mfma16_kernelI14__hip_bfloat16S0_LN4vllm18Fp8KVCacheDataTypeE0EhLi32ELi128ELi256ELb0ELi4EL8MFMAType0EEvPKT_PKT0_S9_ifPKiSB_SB_iPKfiiiPfSE_PS4_PT2_iSD_SD_
	.globl	_Z39paged_attention_ll4mi_QKV_mfma16_kernelI14__hip_bfloat16S0_LN4vllm18Fp8KVCacheDataTypeE0EhLi32ELi128ELi256ELb0ELi4EL8MFMAType0EEvPKT_PKT0_S9_ifPKiSB_SB_iPKfiiiPfSE_PS4_PT2_iSD_SD_
	.p2align	8
	.type	_Z39paged_attention_ll4mi_QKV_mfma16_kernelI14__hip_bfloat16S0_LN4vllm18Fp8KVCacheDataTypeE0EhLi32ELi128ELi256ELb0ELi4EL8MFMAType0EEvPKT_PKT0_S9_ifPKiSB_SB_iPKfiiiPfSE_PS4_PT2_iSD_SD_,@function
_Z39paged_attention_ll4mi_QKV_mfma16_kernelI14__hip_bfloat16S0_LN4vllm18Fp8KVCacheDataTypeE0EhLi32ELi128ELi256ELb0ELi4EL8MFMAType0EEvPKT_PKT0_S9_ifPKiSB_SB_iPKfiiiPfSE_PS4_PT2_iSD_SD_: ; @_Z39paged_attention_ll4mi_QKV_mfma16_kernelI14__hip_bfloat16S0_LN4vllm18Fp8KVCacheDataTypeE0EhLi32ELi128ELi256ELb0ELi4EL8MFMAType0EEvPKT_PKT0_S9_ifPKiSB_SB_iPKfiiiPfSE_PS4_PT2_iSD_SD_
; %bb.0:
	s_load_b64 s[2:3], s[0:1], 0x30
	s_mov_b32 s30, s13
	s_waitcnt lgkmcnt(0)
	s_cmp_lg_u64 s[2:3], 0
	s_cselect_b32 s6, -1, 0
	s_ashr_i32 s31, s13, 31
	s_cmp_eq_u64 s[2:3], 0
	s_cbranch_scc1 .LBB729_3
; %bb.1:
	s_lshl_b64 s[4:5], s[30:31], 2
	s_delay_alu instid0(SALU_CYCLE_1) | instskip(SKIP_4) | instid1(SALU_CYCLE_1)
	s_add_u32 s4, s2, s4
	s_addc_u32 s5, s3, s5
	s_load_b64 s[4:5], s[4:5], 0x0
	s_waitcnt lgkmcnt(0)
	s_sub_i32 s4, s5, s4
	s_cmp_eq_u32 s4, 1
	s_cselect_b32 s4, -1, 0
	s_delay_alu instid0(SALU_CYCLE_1)
	s_and_not1_b32 vcc_lo, exec_lo, s4
	s_cbranch_vccz .LBB729_4
.LBB729_2:
	s_endpgm
.LBB729_3:
.LBB729_4:
	s_load_b64 s[8:9], s[0:1], 0x28
	s_lshl_b64 s[4:5], s[30:31], 2
	s_waitcnt lgkmcnt(0)
	s_add_u32 s8, s8, s4
	s_addc_u32 s9, s9, s5
	s_lshl_b32 s12, s14, 8
	s_load_b32 s17, s[8:9], 0x0
	s_waitcnt lgkmcnt(0)
	s_cmp_ge_i32 s12, s17
	s_cbranch_scc1 .LBB729_2
; %bb.5:
	s_and_not1_b32 vcc_lo, exec_lo, s6
	s_cbranch_vccnz .LBB729_7
; %bb.6:
	s_add_u32 s2, s2, s4
	s_addc_u32 s3, s3, s5
	s_load_b32 s13, s[2:3], 0x0
	s_branch .LBB729_8
.LBB729_7:
	s_mov_b32 s13, s30
.LBB729_8:
	s_clause 0x2
	s_load_b128 s[8:11], s[0:1], 0x8
	s_load_b64 s[2:3], s[0:1], 0x20
	s_load_b128 s[4:7], s[0:1], 0x48
	v_and_b32_e32 v74, 15, v0
	s_waitcnt lgkmcnt(0)
	s_mov_b32 s7, exec_lo
	s_delay_alu instid0(VALU_DEP_1)
	v_lshlrev_b32_e32 v1, 3, v74
	v_cmpx_lt_u32_e32 63, v0
	s_xor_b32 s7, exec_lo, s7
; %bb.9:
	v_mov_b32_e32 v2, 0
; %bb.10:
	s_or_saveexec_b32 s7, s7
	v_lshrrev_b32_e32 v73, 5, v0
	v_and_b32_e32 v75, 31, v0
	v_and_b32_e32 v84, 1, v0
	v_bfe_u32 v83, v0, 4, 1
	s_lshl_b32 s29, s15, 2
	s_xor_b32 exec_lo, exec_lo, s7
	s_cbranch_execz .LBB729_12
; %bb.11:
	s_delay_alu instid0(VALU_DEP_1)
	v_lshl_or_b32 v7, v73, 1, v83
	s_load_b64 s[18:19], s[0:1], 0x0
	s_mul_hi_i32 s21, s13, s4
	s_mul_i32 s20, s13, s4
	v_lshlrev_b32_e32 v4, 1, v1
	v_or_b32_e32 v2, s29, v7
	s_lshl_b64 s[20:21], s[20:21], 1
	v_lshlrev_b32_e32 v7, 6, v7
	v_lshlrev_b32_e32 v8, 10, v84
	s_delay_alu instid0(VALU_DEP_3) | instskip(NEXT) | instid1(VALU_DEP_1)
	v_lshlrev_b32_e32 v2, 7, v2
	v_ashrrev_i32_e32 v3, 31, v2
	s_delay_alu instid0(VALU_DEP_1) | instskip(SKIP_3) | instid1(VALU_DEP_1)
	v_lshlrev_b64 v[2:3], 1, v[2:3]
	s_waitcnt lgkmcnt(0)
	s_add_u32 s4, s18, s20
	s_addc_u32 s13, s19, s21
	v_add_co_u32 v2, vcc_lo, s4, v2
	s_delay_alu instid0(VALU_DEP_2) | instskip(NEXT) | instid1(VALU_DEP_2)
	v_add_co_ci_u32_e32 v3, vcc_lo, s13, v3, vcc_lo
	v_add_co_u32 v2, vcc_lo, v2, v4
	s_delay_alu instid0(VALU_DEP_2) | instskip(SKIP_2) | instid1(VALU_DEP_1)
	v_add_co_ci_u32_e32 v3, vcc_lo, 0, v3, vcc_lo
	global_load_b128 v[3:6], v[2:3], off
	v_lshlrev_b32_e32 v2, 10, v74
	v_and_b32_e32 v2, 0x3800, v2
	s_delay_alu instid0(VALU_DEP_1)
	v_or3_b32 v7, v2, v8, v7
	v_mov_b32_e32 v2, 0
	s_waitcnt vmcnt(0)
	ds_store_b128 v7, v[3:6]
.LBB729_12:
	s_or_b32 exec_lo, exec_lo, s7
	v_and_b32_e32 v3, 0xef, v0
	s_add_i32 s4, s17, 31
	s_clause 0x1
	s_load_b32 s7, s[0:1], 0x38
	s_load_b32 s18, s[0:1], 0x1c
	s_ashr_i32 s13, s4, 31
	v_add_nc_u32_e32 v3, s12, v3
	s_lshr_b32 s13, s13, 27
	s_waitcnt lgkmcnt(0)
	s_add_i32 s4, s4, s13
	s_barrier
	v_ashrrev_i32_e32 v4, 31, v3
	v_cmp_gt_i32_e32 vcc_lo, s17, v3
	s_ashr_i32 s4, s4, 5
	buffer_gl0_inv
	s_add_i32 s4, s4, -1
	v_lshrrev_b32_e32 v5, 27, v4
	v_or_b32_e32 v4, 16, v3
	v_lshlrev_b64 v[81:82], 1, v[1:2]
	v_and_b32_e32 v80, 3, v0
	s_delay_alu instid0(VALU_DEP_4) | instskip(NEXT) | instid1(VALU_DEP_4)
	v_add_nc_u32_e32 v6, v3, v5
	v_add_nc_u32_e32 v5, v4, v5
	s_mul_i32 s20, s30, s7
	s_delay_alu instid0(VALU_DEP_3) | instskip(SKIP_4) | instid1(SALU_CYCLE_1)
	v_lshlrev_b32_e32 v80, 6, v80
	s_ashr_i32 s21, s20, 31
	v_ashrrev_i32_e32 v6, 5, v6
	v_ashrrev_i32_e32 v5, 5, v5
	s_lshl_b64 s[20:21], s[20:21], 2
	s_add_u32 s7, s2, s20
	s_delay_alu instid0(VALU_DEP_2) | instskip(SKIP_3) | instid1(VALU_DEP_2)
	v_cndmask_b32_e32 v3, s4, v6, vcc_lo
	v_cmp_gt_i32_e32 vcc_lo, s17, v4
	s_addc_u32 s13, s3, s21
	s_mul_i32 s2, s15, s6
	v_ashrrev_i32_e32 v4, 31, v3
	v_cndmask_b32_e32 v5, s4, v5, vcc_lo
	s_ashr_i32 s3, s2, 31
	s_delay_alu instid0(SALU_CYCLE_1) | instskip(NEXT) | instid1(VALU_DEP_2)
	s_lshl_b64 s[2:3], s[2:3], 1
	v_lshlrev_b64 v[3:4], 2, v[3:4]
	s_delay_alu instid0(VALU_DEP_2) | instskip(SKIP_3) | instid1(VALU_DEP_1)
	v_ashrrev_i32_e32 v6, 31, v5
	s_add_u32 s6, s8, s2
	s_addc_u32 s15, s9, s3
	s_lshl_b32 s8, s14, 3
	v_lshlrev_b64 v[5:6], 2, v[5:6]
	v_add_co_u32 v3, vcc_lo, s7, v3
	v_add_co_ci_u32_e32 v4, vcc_lo, s13, v4, vcc_lo
	s_ashr_i32 s9, s8, 31
	s_delay_alu instid0(VALU_DEP_3) | instskip(NEXT) | instid1(VALU_DEP_4)
	v_add_co_u32 v5, vcc_lo, s7, v5
	v_add_co_ci_u32_e32 v6, vcc_lo, s13, v6, vcc_lo
	s_lshl_b64 s[8:9], s[8:9], 2
	s_clause 0x1
	global_load_b32 v7, v[3:4], off
	global_load_b32 v8, v[5:6], off
	s_add_u32 s8, s7, s8
	s_addc_u32 s9, s13, s9
	s_or_b32 s16, s12, 32
	s_delay_alu instid0(SALU_CYCLE_1) | instskip(SKIP_2) | instid1(SALU_CYCLE_1)
	s_ashr_i32 s19, s16, 5
	s_cmp_lt_i32 s16, s17
	s_cselect_b32 s20, s19, s4
	s_ashr_i32 s21, s20, 31
	s_delay_alu instid0(SALU_CYCLE_1) | instskip(NEXT) | instid1(SALU_CYCLE_1)
	s_lshl_b64 s[20:21], s[20:21], 2
	s_add_u32 s20, s7, s20
	s_addc_u32 s21, s13, s21
	s_or_b32 s16, s12, 64
	s_delay_alu instid0(SALU_CYCLE_1) | instskip(SKIP_2) | instid1(SALU_CYCLE_1)
	s_ashr_i32 s19, s16, 5
	s_cmp_lt_i32 s16, s17
	s_cselect_b32 s22, s19, s4
	s_ashr_i32 s23, s22, 31
	s_delay_alu instid0(SALU_CYCLE_1) | instskip(NEXT) | instid1(SALU_CYCLE_1)
	s_lshl_b64 s[22:23], s[22:23], 2
	;; [unrolled: 10-line block ×5, first 2 shown]
	s_add_u32 s34, s7, s34
	s_addc_u32 s35, s13, s35
	s_clause 0x5
	s_load_b32 s16, s[8:9], 0x0
	s_load_b32 s19, s[20:21], 0x0
	;; [unrolled: 1-line block ×6, first 2 shown]
	s_mov_b32 s20, 0
	s_delay_alu instid0(SALU_CYCLE_1)
	s_mov_b32 s27, s20
	s_mov_b32 s21, s20
	;; [unrolled: 1-line block ×7, first 2 shown]
	s_delay_alu instid0(SALU_CYCLE_1)
	v_dual_mov_b32 v108, s27 :: v_dual_mov_b32 v107, s26
	v_dual_mov_b32 v106, s25 :: v_dual_mov_b32 v105, s24
	v_mov_b32_e32 v102, s21
	v_dual_mov_b32 v104, s23 :: v_dual_mov_b32 v103, s22
	v_mov_b32_e32 v101, s20
	s_waitcnt lgkmcnt(0)
	s_mul_hi_i32 s21, s16, s5
	s_mul_i32 s20, s16, s5
	s_mul_hi_i32 s23, s19, s5
	s_mul_i32 s22, s19, s5
	;; [unrolled: 2-line block ×5, first 2 shown]
	s_waitcnt vmcnt(1)
	v_mad_i64_i32 v[3:4], null, v7, s5, 0
	s_waitcnt vmcnt(0)
	v_mad_i64_i32 v[5:6], null, v8, s5, 0
	s_delay_alu instid0(VALU_DEP_2) | instskip(NEXT) | instid1(VALU_DEP_2)
	v_lshlrev_b64 v[3:4], 1, v[3:4]
	v_lshlrev_b64 v[1:2], 1, v[5:6]
	s_delay_alu instid0(VALU_DEP_2) | instskip(NEXT) | instid1(VALU_DEP_3)
	v_add_co_u32 v3, vcc_lo, s6, v3
	v_add_co_ci_u32_e32 v4, vcc_lo, s15, v4, vcc_lo
	s_delay_alu instid0(VALU_DEP_3) | instskip(NEXT) | instid1(VALU_DEP_4)
	v_add_co_u32 v1, vcc_lo, s6, v1
	v_add_co_ci_u32_e32 v2, vcc_lo, s15, v2, vcc_lo
	s_delay_alu instid0(VALU_DEP_4) | instskip(NEXT) | instid1(VALU_DEP_4)
	v_add_co_u32 v65, vcc_lo, v3, v81
	v_add_co_ci_u32_e32 v66, vcc_lo, v4, v82, vcc_lo
	s_delay_alu instid0(VALU_DEP_4) | instskip(NEXT) | instid1(VALU_DEP_4)
	v_add_co_u32 v76, vcc_lo, v1, v81
	v_add_co_ci_u32_e32 v77, vcc_lo, v2, v82, vcc_lo
	s_clause 0xf
	global_load_b128 v[1:4], v[65:66], off
	global_load_b128 v[5:8], v[65:66], off offset:512
	global_load_b128 v[9:12], v[76:77], off offset:256
	;; [unrolled: 1-line block ×15, first 2 shown]
	v_add_co_u32 v78, vcc_lo, 0x1000, v65
	v_add_co_ci_u32_e32 v79, vcc_lo, 0, v66, vcc_lo
	v_add_co_u32 v76, vcc_lo, 0x1000, v76
	s_clause 0x1
	global_load_b128 v[65:68], v[78:79], off
	global_load_b128 v[69:72], v[78:79], off offset:512
	v_add_co_ci_u32_e32 v77, vcc_lo, 0, v77, vcc_lo
	ds_load_b128 v[85:88], v80
	ds_load_b128 v[89:92], v80 offset:1024
	s_clause 0x1
	global_load_b128 v[93:96], v[76:77], off offset:256
	global_load_b128 v[97:100], v[76:77], off offset:768
	ds_load_b128 v[109:112], v80 offset:2048
	ds_load_b128 v[113:116], v80 offset:3072
	s_or_b32 s6, s12, 0xc0
	s_delay_alu instid0(SALU_CYCLE_1) | instskip(SKIP_2) | instid1(SALU_CYCLE_1)
	s_ashr_i32 s8, s6, 5
	s_cmp_lt_i32 s6, s17
	s_cselect_b32 s8, s8, s4
	s_ashr_i32 s9, s8, 31
	s_delay_alu instid0(SALU_CYCLE_1) | instskip(NEXT) | instid1(SALU_CYCLE_1)
	s_lshl_b64 s[8:9], s[8:9], 2
	s_add_u32 s8, s7, s8
	s_addc_u32 s9, s13, s9
	s_or_b32 s6, s12, 0xe0
	s_delay_alu instid0(SALU_CYCLE_1) | instskip(SKIP_2) | instid1(SALU_CYCLE_1)
	s_ashr_i32 s15, s6, 5
	s_cmp_lt_i32 s6, s17
	s_cselect_b32 s24, s15, s4
	s_ashr_i32 s25, s24, 31
	s_delay_alu instid0(SALU_CYCLE_1) | instskip(NEXT) | instid1(SALU_CYCLE_1)
	s_lshl_b64 s[24:25], s[24:25], 2
	s_add_u32 s24, s7, s24
	s_addc_u32 s25, s13, s25
	s_add_i32 s6, s12, 0x100
	s_delay_alu instid0(SALU_CYCLE_1) | instskip(SKIP_2) | instid1(SALU_CYCLE_1)
	s_ashr_i32 s15, s6, 5
	s_cmp_lt_i32 s6, s17
	s_cselect_b32 s36, s15, s4
	s_ashr_i32 s37, s36, 31
	s_delay_alu instid0(SALU_CYCLE_1) | instskip(NEXT) | instid1(SALU_CYCLE_1)
	s_lshl_b64 s[36:37], s[36:37], 2
	s_add_u32 s6, s7, s36
	s_addc_u32 s7, s13, s37
	s_add_u32 s4, s10, s2
	s_addc_u32 s19, s11, s3
	s_lshl_b64 s[2:3], s[20:21], 1
	s_lshl_b64 s[10:11], s[26:27], 1
	;; [unrolled: 1-line block ×3, first 2 shown]
	s_waitcnt vmcnt(18) lgkmcnt(2)
	v_wmma_f32_16x16x16_bf16 v[117:124], v[1:8], v[85:92], v[101:108]
	s_waitcnt vmcnt(16)
	v_wmma_f32_16x16x16_bf16 v[101:108], v[9:16], v[85:92], v[101:108]
	s_clause 0x3
	global_load_b128 v[1:4], v[78:79], off offset:1024
	global_load_b128 v[5:8], v[78:79], off offset:1536
	;; [unrolled: 1-line block ×4, first 2 shown]
	s_waitcnt vmcnt(18) lgkmcnt(0)
	v_wmma_f32_16x16x16_bf16 v[117:124], v[17:24], v[109:116], v[117:124]
	s_clause 0x1
	global_load_b128 v[17:20], v[78:79], off offset:2048
	global_load_b128 v[21:24], v[78:79], off offset:2560
	s_waitcnt vmcnt(18)
	v_wmma_f32_16x16x16_bf16 v[101:108], v[25:32], v[109:116], v[101:108]
	ds_load_b128 v[25:28], v80 offset:4096
	ds_load_b128 v[29:32], v80 offset:5120
	s_clause 0x5
	global_load_b128 v[109:112], v[76:77], off offset:2304
	global_load_b128 v[113:116], v[76:77], off offset:2816
	;; [unrolled: 1-line block ×6, first 2 shown]
	s_waitcnt vmcnt(22) lgkmcnt(0)
	v_wmma_f32_16x16x16_bf16 v[117:124], v[33:40], v[25:32], v[117:124]
	s_waitcnt vmcnt(20)
	v_wmma_f32_16x16x16_bf16 v[101:108], v[41:48], v[25:32], v[101:108]
	ds_load_b128 v[25:28], v80 offset:6144
	ds_load_b128 v[29:32], v80 offset:7168
	;; [unrolled: 1-line block ×4, first 2 shown]
	s_waitcnt vmcnt(18) lgkmcnt(2)
	v_wmma_f32_16x16x16_bf16 v[117:124], v[49:56], v[25:32], v[117:124]
	s_waitcnt vmcnt(16)
	v_wmma_f32_16x16x16_bf16 v[101:108], v[57:64], v[25:32], v[101:108]
	ds_load_b128 v[25:28], v80 offset:10240
	ds_load_b128 v[29:32], v80 offset:11264
	;; [unrolled: 1-line block ×6, first 2 shown]
	s_waitcnt vmcnt(14) lgkmcnt(6)
	v_wmma_f32_16x16x16_bf16 v[117:124], v[65:72], v[33:40], v[117:124]
	s_waitcnt vmcnt(12)
	v_wmma_f32_16x16x16_bf16 v[101:108], v[93:100], v[33:40], v[101:108]
	s_clause 0x2
	s_load_b32 s16, s[8:9], 0x0
	s_load_b32 s13, s[24:25], 0x0
	;; [unrolled: 1-line block ×3, first 2 shown]
	s_lshl_b64 s[6:7], s[22:23], 1
	s_mul_hi_i32 s9, s33, s5
	s_mul_i32 s8, s33, s5
	s_lshl_b64 s[22:23], s[38:39], 1
	s_lshl_b64 s[8:9], s[8:9], 1
	s_waitcnt lgkmcnt(0)
	s_mul_hi_i32 s25, s16, s5
	s_mul_i32 s24, s16, s5
	s_waitcnt vmcnt(10)
	v_wmma_f32_16x16x16_bf16 v[117:124], v[1:8], v[25:32], v[117:124]
	s_waitcnt vmcnt(8)
	v_wmma_f32_16x16x16_bf16 v[101:108], v[9:16], v[25:32], v[101:108]
	s_waitcnt vmcnt(6)
	s_delay_alu instid0(VALU_DEP_2) | instskip(SKIP_1) | instid1(VALU_DEP_2)
	v_wmma_f32_16x16x16_bf16 v[117:124], v[17:24], v[141:148], v[117:124]
	s_waitcnt vmcnt(4)
	v_wmma_f32_16x16x16_bf16 v[101:108], v[109:116], v[141:148], v[101:108]
	s_waitcnt vmcnt(2)
	s_delay_alu instid0(VALU_DEP_2) | instskip(SKIP_3) | instid1(VALU_DEP_3)
	v_wmma_f32_16x16x16_bf16 v[117:124], v[125:132], v[149:156], v[117:124]
	v_lshlrev_b32_e32 v85, 6, v74
	s_waitcnt vmcnt(0)
	v_wmma_f32_16x16x16_bf16 v[101:108], v[133:140], v[149:156], v[101:108]
	v_mul_f32_e32 v100, s18, v124
	s_delay_alu instid0(VALU_DEP_3) | instskip(SKIP_2) | instid1(VALU_DEP_3)
	v_lshl_or_b32 v41, v73, 10, v85
	v_mul_f32_e32 v97, s18, v117
	v_mul_f32_e32 v99, s18, v118
	v_add_co_u32 v76, s4, s4, v41
	s_delay_alu instid0(VALU_DEP_1) | instskip(NEXT) | instid1(VALU_DEP_2)
	v_add_co_ci_u32_e64 v77, null, s19, 0, s4
	v_add_co_u32 v41, vcc_lo, v76, s2
	s_delay_alu instid0(VALU_DEP_2)
	v_add_co_ci_u32_e32 v42, vcc_lo, s3, v77, vcc_lo
	v_add_co_u32 v33, vcc_lo, v76, s6
	v_add_co_ci_u32_e32 v34, vcc_lo, s7, v77, vcc_lo
	v_add_co_u32 v35, vcc_lo, v76, s10
	;; [unrolled: 2-line block ×5, first 2 shown]
	s_lshl_b64 s[2:3], s[24:25], 1
	v_add_co_ci_u32_e32 v6, vcc_lo, s23, v77, vcc_lo
	s_mul_hi_i32 s7, s13, s5
	s_mul_i32 s6, s13, s5
	v_add_co_u32 v17, vcc_lo, v76, s2
	v_add_co_ci_u32_e32 v18, vcc_lo, s3, v77, vcc_lo
	s_lshl_b64 s[2:3], s[6:7], 1
	s_mul_hi_i32 s7, s15, s5
	s_mul_i32 s6, s15, s5
	v_add_co_u32 v19, vcc_lo, v76, s2
	v_add_co_ci_u32_e32 v20, vcc_lo, s3, v77, vcc_lo
	s_lshl_b64 s[2:3], s[6:7], 1
	s_clause 0x1
	global_load_b128 v[65:68], v[41:42], off
	global_load_b128 v[69:72], v[41:42], off offset:16
	v_add_co_u32 v21, vcc_lo, v76, s2
	v_add_co_ci_u32_e32 v22, vcc_lo, s3, v77, vcc_lo
	s_clause 0xf
	global_load_b128 v[57:60], v[33:34], off
	global_load_b128 v[61:64], v[33:34], off offset:16
	global_load_b128 v[49:52], v[35:36], off
	global_load_b128 v[53:56], v[35:36], off offset:16
	;; [unrolled: 2-line block ×8, first 2 shown]
	v_and_b32_e32 v76, 0xe0, v0
	v_mbcnt_lo_u32_b32 v77, -1, 0
	s_waitcnt vmcnt(0)
	s_barrier
	buffer_gl0_inv
	v_add_nc_u32_e32 v76, s12, v76
	v_xor_b32_e32 v78, 16, v77
	s_delay_alu instid0(VALU_DEP_2) | instskip(NEXT) | instid1(VALU_DEP_2)
	v_or_b32_e32 v76, v76, v83
	v_cmp_gt_i32_e32 vcc_lo, 32, v78
	s_delay_alu instid0(VALU_DEP_2)
	v_or_b32_e32 v79, 4, v76
	v_cndmask_b32_e32 v77, v77, v78, vcc_lo
	v_or_b32_e32 v78, 2, v76
	v_or_b32_e32 v80, 6, v76
	v_cmp_gt_i32_e32 vcc_lo, s17, v76
	v_or_b32_e32 v86, 8, v76
	v_or_b32_e32 v87, 10, v76
	v_cmp_gt_i32_e64 s2, s17, v78
	v_or_b32_e32 v88, 12, v76
	v_or_b32_e32 v89, 14, v76
	;; [unrolled: 1-line block ×10, first 2 shown]
	v_cndmask_b32_e32 v76, 0xff7fffff, v97, vcc_lo
	v_cndmask_b32_e64 v78, 0xff7fffff, v99, s2
	v_mul_f32_e32 v99, s18, v120
	v_cmp_gt_i32_e64 s3, s17, v80
	v_mul_f32_e32 v80, s18, v119
	v_cmp_gt_i32_e64 s4, s17, v79
	v_max3_f32 v76, v76, 0xff7fffff, v78
	v_dual_mul_f32 v78, s18, v121 :: v_dual_mul_f32 v79, s18, v122
	v_cmp_gt_i32_e64 s5, s17, v86
	s_delay_alu instid0(VALU_DEP_4)
	v_cndmask_b32_e64 v80, 0xff7fffff, v80, s4
	v_cmp_gt_i32_e64 s6, s17, v87
	v_mul_f32_e32 v86, s18, v107
	v_cndmask_b32_e64 v99, 0xff7fffff, v99, s3
	v_mul_f32_e32 v97, s18, v123
	v_cndmask_b32_e64 v78, 0xff7fffff, v78, s5
	v_cndmask_b32_e64 v79, 0xff7fffff, v79, s6
	v_cmp_gt_i32_e64 s7, s17, v89
	v_max3_f32 v76, v76, v80, v99
	v_cmp_gt_i32_e64 s8, s17, v88
	v_dual_mul_f32 v99, s18, v105 :: v_dual_mul_f32 v88, s18, v102
	v_mul_f32_e32 v89, s18, v101
	s_delay_alu instid0(VALU_DEP_4)
	v_max3_f32 v76, v76, v78, v79
	v_mul_f32_e32 v78, s18, v104
	v_cndmask_b32_e64 v97, 0xff7fffff, v97, s8
	v_cndmask_b32_e64 v100, 0xff7fffff, v100, s7
	v_cmp_gt_i32_e64 s9, s17, v90
	v_cmp_gt_i32_e64 s10, s17, v91
	v_mul_f32_e32 v79, s18, v103
	v_cmp_gt_i32_e64 s11, s17, v92
	v_max3_f32 v76, v76, v97, v100
	v_cndmask_b32_e64 v89, 0xff7fffff, v89, s9
	v_cndmask_b32_e64 v88, 0xff7fffff, v88, s10
	v_cmp_gt_i32_e64 s12, s17, v93
	v_mul_f32_e32 v87, s18, v106
	v_cndmask_b32_e64 v79, 0xff7fffff, v79, s11
	v_cmp_gt_i32_e64 s13, s17, v94
	v_max3_f32 v76, v76, v89, v88
	v_cndmask_b32_e64 v78, 0xff7fffff, v78, s12
	v_cmp_gt_i32_e64 s15, s17, v95
	v_mul_f32_e32 v80, s18, v108
	v_cndmask_b32_e64 v88, 0xff7fffff, v99, s13
	v_cmp_gt_i32_e64 s16, s17, v96
	v_max3_f32 v76, v76, v79, v78
	v_cndmask_b32_e64 v87, 0xff7fffff, v87, s15
	v_cmp_gt_i32_e64 s17, s17, v98
	v_lshlrev_b32_e32 v99, 2, v77
	v_cndmask_b32_e64 v78, 0xff7fffff, v86, s16
	s_delay_alu instid0(VALU_DEP_4) | instskip(NEXT) | instid1(VALU_DEP_4)
	v_max3_f32 v76, v76, v88, v87
	v_cndmask_b32_e64 v79, 0xff7fffff, v80, s17
	s_delay_alu instid0(VALU_DEP_1) | instskip(SKIP_3) | instid1(VALU_DEP_1)
	v_max3_f32 v76, v76, v78, v79
	ds_bpermute_b32 v77, v99, v76
	s_waitcnt lgkmcnt(0)
	v_max_f32_e32 v77, v77, v77
	v_max_f32_e32 v89, v76, v77
	s_delay_alu instid0(VALU_DEP_1) | instskip(SKIP_4) | instid1(VALU_DEP_4)
	v_fma_f32 v76, s18, v117, -v89
	v_fma_f32 v77, s18, v118, -v89
	;; [unrolled: 1-line block ×5, first 2 shown]
	v_dual_mul_f32 v76, 0x3fb8aa3b, v76 :: v_dual_mul_f32 v77, 0x3fb8aa3b, v77
	s_delay_alu instid0(VALU_DEP_4) | instskip(NEXT) | instid1(VALU_DEP_3)
	v_mul_f32_e32 v78, 0x3fb8aa3b, v78
	v_mul_f32_e32 v80, 0x3fb8aa3b, v80
	s_delay_alu instid0(VALU_DEP_3) | instskip(NEXT) | instid1(VALU_DEP_3)
	v_exp_f32_e32 v76, v76
	v_exp_f32_e32 v77, v77
	s_delay_alu instid0(VALU_DEP_2) | instskip(NEXT) | instid1(VALU_DEP_1)
	v_exp_f32_e32 v78, v78
	v_exp_f32_e32 v80, v80
	v_cndmask_b32_e32 v91, 0, v76, vcc_lo
	v_fma_f32 v76, s18, v122, -v89
	s_delay_alu instid0(TRANS32_DEP_3)
	v_cndmask_b32_e64 v90, 0, v77, s2
	s_waitcnt_depctr 0xfff
	v_cndmask_b32_e64 v92, 0, v78, s4
	v_cndmask_b32_e64 v95, 0, v80, s5
	v_dual_add_f32 v77, 0, v91 :: v_dual_mul_f32 v76, 0x3fb8aa3b, v76
	s_mov_b32 s2, exec_lo
	s_delay_alu instid0(VALU_DEP_1) | instskip(NEXT) | instid1(VALU_DEP_2)
	v_add_f32_e32 v77, v77, v90
	v_exp_f32_e32 v76, v76
	s_delay_alu instid0(VALU_DEP_1) | instskip(SKIP_3) | instid1(VALU_DEP_1)
	v_add_f32_e32 v77, v77, v92
	s_waitcnt_depctr 0xfff
	v_cndmask_b32_e64 v96, 0, v76, s6
	v_mul_f32_e32 v79, 0x3fb8aa3b, v79
	v_exp_f32_e32 v79, v79
	s_waitcnt_depctr 0xfff
	v_cndmask_b32_e64 v94, 0, v79, s3
	s_delay_alu instid0(VALU_DEP_1) | instskip(NEXT) | instid1(VALU_DEP_1)
	v_add_f32_e32 v77, v77, v94
	v_add_f32_e32 v76, v77, v95
	v_fma_f32 v80, s18, v102, -v89
	v_fma_f32 v86, s18, v123, -v89
	;; [unrolled: 1-line block ×5, first 2 shown]
	v_mul_f32_e32 v80, 0x3fb8aa3b, v80
	v_mul_f32_e32 v86, 0x3fb8aa3b, v86
	;; [unrolled: 1-line block ×3, first 2 shown]
	v_fma_f32 v98, s18, v107, -v89
	v_mul_f32_e32 v77, 0x3fb8aa3b, v77
	v_exp_f32_e32 v80, v80
	v_exp_f32_e32 v86, v86
	;; [unrolled: 1-line block ×3, first 2 shown]
	v_add_f32_e32 v76, v76, v96
	v_exp_f32_e32 v88, v77
	v_fma_f32 v87, s18, v105, -v89
	v_fma_f32 v100, s18, v108, -v89
	v_cndmask_b32_e64 v77, 0, v80, s10
	v_mul_f32_e32 v79, 0x3fb8aa3b, v79
	s_delay_alu instid0(TRANS32_DEP_3) | instskip(SKIP_1) | instid1(TRANS32_DEP_2)
	v_cndmask_b32_e64 v93, 0, v86, s8
	v_fma_f32 v86, s18, v104, -v89
	v_cndmask_b32_e64 v97, 0, v78, s7
	v_mul_f32_e32 v100, 0x3fb8aa3b, v100
	v_exp_f32_e32 v79, v79
	v_add_f32_e32 v78, v76, v93
	v_mul_f32_e32 v86, 0x3fb8aa3b, v86
	s_delay_alu instid0(VALU_DEP_3) | instskip(NEXT) | instid1(VALU_DEP_2)
	v_exp_f32_e32 v100, v100
	v_add_f32_e32 v78, v78, v97
	s_delay_alu instid0(VALU_DEP_2) | instskip(NEXT) | instid1(TRANS32_DEP_3)
	v_exp_f32_e32 v86, v86
	v_cndmask_b32_e64 v76, 0, v79, s9
	v_fma_f32 v79, s18, v106, -v89
	s_delay_alu instid0(VALU_DEP_1) | instskip(SKIP_2) | instid1(VALU_DEP_3)
	v_dual_add_f32 v80, v78, v76 :: v_dual_mul_f32 v79, 0x3fb8aa3b, v79
	v_cndmask_b32_e64 v78, 0, v88, s11
	v_mul_f32_e32 v88, 0x3fb8aa3b, v98
	v_dual_add_f32 v80, v80, v77 :: v_dual_mul_f32 v87, 0x3fb8aa3b, v87
	s_delay_alu instid0(VALU_DEP_4) | instskip(NEXT) | instid1(TRANS32_DEP_2)
	v_exp_f32_e32 v98, v79
	v_cndmask_b32_e64 v79, 0, v86, s12
	s_delay_alu instid0(VALU_DEP_3) | instskip(NEXT) | instid1(VALU_DEP_2)
	v_exp_f32_e32 v88, v88
	v_add_f32_e32 v86, v80, v78
	v_exp_f32_e32 v87, v87
	s_waitcnt_depctr 0xfff
	v_cndmask_b32_e64 v80, 0, v87, s13
	v_add_f32_e32 v87, v86, v79
	v_cndmask_b32_e64 v86, 0, v98, s15
	s_delay_alu instid0(VALU_DEP_2) | instskip(SKIP_1) | instid1(VALU_DEP_2)
	v_add_f32_e32 v98, v87, v80
	v_cndmask_b32_e64 v87, 0, v88, s16
	v_add_f32_e32 v88, v98, v86
	s_delay_alu instid0(VALU_DEP_1) | instskip(SKIP_1) | instid1(VALU_DEP_1)
	v_add_f32_e32 v98, v88, v87
	v_cndmask_b32_e64 v88, 0, v100, s17
	v_add_f32_e32 v98, v98, v88
	ds_bpermute_b32 v99, v99, v98
	v_cmpx_gt_u32_e32 16, v75
	s_cbranch_execz .LBB729_14
; %bb.13:
	v_mul_u32_u24_e32 v75, 0x44, v73
	s_waitcnt lgkmcnt(0)
	v_add_f32_e32 v98, v98, v99
	s_delay_alu instid0(VALU_DEP_2) | instskip(NEXT) | instid1(VALU_DEP_1)
	v_lshl_add_u32 v75, v74, 2, v75
	v_add_nc_u32_e32 v75, 0x4000, v75
	ds_store_2addr_b32 v75, v89, v98 offset1:136
.LBB729_14:
	s_or_b32 exec_lo, exec_lo, s2
	v_lshlrev_b32_e32 v74, 2, v74
	s_waitcnt lgkmcnt(0)
	s_barrier
	buffer_gl0_inv
	v_cmp_eq_u32_e64 s2, 1, v73
	v_add_nc_u32_e32 v89, 0x4000, v74
	ds_load_2addr_b32 v[98:99], v89 offset1:17
	ds_load_2addr_b32 v[100:101], v89 offset0:34 offset1:51
	ds_load_2addr_b32 v[102:103], v89 offset0:68 offset1:85
	ds_load_2addr_b32 v[104:105], v89 offset0:102 offset1:119
	ds_load_2addr_b32 v[106:107], v89 offset0:136 offset1:153
	s_waitcnt lgkmcnt(4)
	v_max3_f32 v74, v98, 0xff7fffff, v99
	s_waitcnt lgkmcnt(3)
	s_delay_alu instid0(VALU_DEP_1) | instskip(SKIP_1) | instid1(VALU_DEP_1)
	v_max3_f32 v74, v74, v100, v101
	s_waitcnt lgkmcnt(2)
	v_max3_f32 v74, v74, v102, v103
	s_waitcnt lgkmcnt(1)
	s_delay_alu instid0(VALU_DEP_1) | instskip(NEXT) | instid1(VALU_DEP_1)
	v_max3_f32 v74, v74, v104, v105
	v_sub_f32_e32 v108, v99, v74
	v_sub_f32_e32 v75, v98, v74
	ds_load_2addr_b32 v[98:99], v89 offset0:170 offset1:187
	v_sub_f32_e32 v100, v100, v74
	v_dual_mul_f32 v108, 0x3fb8aa3b, v108 :: v_dual_mul_f32 v75, 0x3fb8aa3b, v75
	s_delay_alu instid0(VALU_DEP_2) | instskip(NEXT) | instid1(VALU_DEP_2)
	v_mul_f32_e32 v110, 0x3fb8aa3b, v100
	v_exp_f32_e32 v108, v108
	s_delay_alu instid0(VALU_DEP_2)
	v_exp_f32_e32 v109, v75
	v_sub_f32_e32 v75, v101, v74
	ds_load_2addr_b32 v[100:101], v89 offset0:204 offset1:221
	v_exp_f32_e32 v110, v110
	v_mul_f32_e32 v111, 0x3fb8aa3b, v75
	s_waitcnt lgkmcnt(2)
	v_fma_f32 v75, v109, v106, 0
	v_sub_f32_e32 v102, v102, v74
	s_delay_alu instid0(VALU_DEP_3) | instskip(NEXT) | instid1(VALU_DEP_2)
	v_exp_f32_e32 v111, v111
	v_dual_sub_f32 v106, v103, v74 :: v_dual_fmac_f32 v75, v108, v107
	s_waitcnt lgkmcnt(1)
	s_waitcnt_depctr 0xfff
	v_fmac_f32_e32 v75, v110, v98
	v_mul_f32_e32 v112, 0x3fb8aa3b, v102
	ds_load_2addr_b32 v[102:103], v89 offset0:238 offset1:255
	v_sub_f32_e32 v89, v104, v74
	v_dual_sub_f32 v98, v105, v74 :: v_dual_fmac_f32 v75, v111, v99
	v_mul_f32_e32 v104, 0x3fb8aa3b, v106
	v_exp_f32_e32 v106, v112
	s_delay_alu instid0(VALU_DEP_2)
	v_dual_mul_f32 v89, 0x3fb8aa3b, v89 :: v_dual_mul_f32 v98, 0x3fb8aa3b, v98
	s_waitcnt lgkmcnt(0)
	s_barrier
	buffer_gl0_inv
	v_exp_f32_e32 v89, v89
	v_exp_f32_e32 v98, v98
	v_fmac_f32_e32 v75, v106, v100
	v_exp_f32_e32 v104, v104
	s_waitcnt_depctr 0xfff
	v_fmac_f32_e32 v75, v104, v101
	s_delay_alu instid0(VALU_DEP_1) | instskip(NEXT) | instid1(VALU_DEP_1)
	v_fmac_f32_e32 v75, v89, v102
	v_fmac_f32_e32 v75, v98, v103
	s_delay_alu instid0(VALU_DEP_1) | instskip(NEXT) | instid1(VALU_DEP_1)
	v_add_f32_e32 v99, 0x358637bd, v75
	v_div_scale_f32 v100, null, v99, v99, 1.0
	v_div_scale_f32 v103, vcc_lo, 1.0, v99, 1.0
	s_delay_alu instid0(VALU_DEP_2) | instskip(SKIP_2) | instid1(VALU_DEP_1)
	v_rcp_f32_e32 v101, v100
	s_waitcnt_depctr 0xfff
	v_fma_f32 v102, -v100, v101, 1.0
	v_fmac_f32_e32 v101, v102, v101
	v_cndmask_b32_e64 v102, v109, v108, s2
	v_cmp_eq_u32_e64 s2, 2, v73
	s_delay_alu instid0(VALU_DEP_3) | instskip(NEXT) | instid1(VALU_DEP_2)
	v_mul_f32_e32 v105, v103, v101
	v_cndmask_b32_e64 v102, v102, v110, s2
	v_cmp_eq_u32_e64 s2, 3, v73
	s_delay_alu instid0(VALU_DEP_3) | instskip(NEXT) | instid1(VALU_DEP_2)
	v_fma_f32 v107, -v100, v105, v103
	v_cndmask_b32_e64 v102, v102, v111, s2
	v_cmp_eq_u32_e64 s2, 4, v73
	s_delay_alu instid0(VALU_DEP_3) | instskip(NEXT) | instid1(VALU_DEP_2)
	v_fmac_f32_e32 v105, v107, v101
	v_cndmask_b32_e64 v102, v102, v106, s2
	s_delay_alu instid0(VALU_DEP_2) | instskip(SKIP_1) | instid1(VALU_DEP_2)
	v_fma_f32 v100, -v100, v105, v103
	v_cmp_eq_u32_e64 s2, 5, v73
	v_div_fmas_f32 v100, v100, v101, v105
	s_delay_alu instid0(VALU_DEP_2) | instskip(SKIP_2) | instid1(VALU_DEP_3)
	v_cndmask_b32_e64 v102, v102, v104, s2
	v_cmp_eq_u32_e32 vcc_lo, 6, v73
	s_mov_b32 s2, exec_lo
	v_div_fixup_f32 v99, v100, v99, 1.0
	s_delay_alu instid0(VALU_DEP_3) | instskip(SKIP_1) | instid1(VALU_DEP_2)
	v_cndmask_b32_e32 v89, v102, v89, vcc_lo
	v_cmp_eq_u32_e32 vcc_lo, 7, v73
	v_cndmask_b32_e32 v89, v89, v98, vcc_lo
	s_delay_alu instid0(VALU_DEP_1) | instskip(NEXT) | instid1(VALU_DEP_1)
	v_mul_f32_e32 v89, v89, v99
	v_mul_f32_e32 v99, v89, v91
	;; [unrolled: 1-line block ×6, first 2 shown]
	v_and_b32_e32 v100, 0x7f800000, v99
	v_mul_f32_e32 v98, v89, v94
	v_mul_f32_e32 v94, v89, v90
	;; [unrolled: 1-line block ×3, first 2 shown]
                                        ; implicit-def: $vgpr90
	s_delay_alu instid0(VALU_DEP_4)
	v_cmpx_ne_u32_e32 0x7f800000, v100
	s_xor_b32 s2, exec_lo, s2
; %bb.15:
	v_bfe_u32 v90, v99, 16, 1
	s_delay_alu instid0(VALU_DEP_1)
	v_add3_u32 v90, v99, v90, 0x7fff
                                        ; implicit-def: $vgpr99
; %bb.16:
	s_and_not1_saveexec_b32 s2, s2
; %bb.17:
	v_and_b32_e32 v90, 0xffff, v99
	v_or_b32_e32 v92, 0x10000, v99
	s_delay_alu instid0(VALU_DEP_2) | instskip(NEXT) | instid1(VALU_DEP_2)
	v_cmp_eq_u32_e32 vcc_lo, 0, v90
	v_cndmask_b32_e32 v90, v92, v99, vcc_lo
; %bb.18:
	s_or_b32 exec_lo, exec_lo, s2
	v_and_b32_e32 v92, 0x7f800000, v94
	s_delay_alu instid0(VALU_DEP_1) | instskip(SKIP_1) | instid1(SALU_CYCLE_1)
	v_cmp_ne_u32_e32 vcc_lo, 0x7f800000, v92
                                        ; implicit-def: $vgpr92
	s_and_saveexec_b32 s2, vcc_lo
	s_xor_b32 s2, exec_lo, s2
; %bb.19:
	v_bfe_u32 v92, v94, 16, 1
	s_delay_alu instid0(VALU_DEP_1)
	v_add3_u32 v92, v94, v92, 0x7fff
                                        ; implicit-def: $vgpr94
; %bb.20:
	s_and_not1_saveexec_b32 s2, s2
; %bb.21:
	v_and_b32_e32 v92, 0xffff, v94
	v_or_b32_e32 v99, 0x10000, v94
	s_delay_alu instid0(VALU_DEP_2) | instskip(NEXT) | instid1(VALU_DEP_2)
	v_cmp_eq_u32_e32 vcc_lo, 0, v92
	v_cndmask_b32_e32 v92, v99, v94, vcc_lo
; %bb.22:
	s_or_b32 exec_lo, exec_lo, s2
	v_and_b32_e32 v94, 0x7f800000, v95
	s_delay_alu instid0(VALU_DEP_1) | instskip(SKIP_1) | instid1(SALU_CYCLE_1)
	v_cmp_ne_u32_e32 vcc_lo, 0x7f800000, v94
                                        ; implicit-def: $vgpr94
	s_and_saveexec_b32 s2, vcc_lo
	s_xor_b32 s2, exec_lo, s2
; %bb.23:
	v_bfe_u32 v94, v95, 16, 1
	s_delay_alu instid0(VALU_DEP_1)
	v_add3_u32 v94, v95, v94, 0x7fff
                                        ; implicit-def: $vgpr95
; %bb.24:
	s_and_not1_saveexec_b32 s2, s2
; %bb.25:
	v_and_b32_e32 v94, 0xffff, v95
	v_or_b32_e32 v99, 0x10000, v95
	s_delay_alu instid0(VALU_DEP_2) | instskip(NEXT) | instid1(VALU_DEP_2)
	v_cmp_eq_u32_e32 vcc_lo, 0, v94
	v_cndmask_b32_e32 v94, v99, v95, vcc_lo
; %bb.26:
	s_or_b32 exec_lo, exec_lo, s2
	v_and_b32_e32 v95, 0x7f800000, v98
	s_delay_alu instid0(VALU_DEP_1) | instskip(SKIP_1) | instid1(SALU_CYCLE_1)
	v_cmp_ne_u32_e32 vcc_lo, 0x7f800000, v95
                                        ; implicit-def: $vgpr95
	s_and_saveexec_b32 s2, vcc_lo
	s_xor_b32 s2, exec_lo, s2
; %bb.27:
	v_bfe_u32 v95, v98, 16, 1
	s_delay_alu instid0(VALU_DEP_1)
	v_add3_u32 v95, v98, v95, 0x7fff
                                        ; implicit-def: $vgpr98
; %bb.28:
	s_and_not1_saveexec_b32 s2, s2
; %bb.29:
	v_and_b32_e32 v95, 0xffff, v98
	v_or_b32_e32 v99, 0x10000, v98
	s_delay_alu instid0(VALU_DEP_2) | instskip(NEXT) | instid1(VALU_DEP_2)
	v_cmp_eq_u32_e32 vcc_lo, 0, v95
	v_cndmask_b32_e32 v95, v99, v98, vcc_lo
; %bb.30:
	s_or_b32 exec_lo, exec_lo, s2
	v_and_b32_e32 v98, 0x7f800000, v97
	s_delay_alu instid0(VALU_DEP_1) | instskip(SKIP_1) | instid1(SALU_CYCLE_1)
	v_cmp_ne_u32_e32 vcc_lo, 0x7f800000, v98
                                        ; implicit-def: $vgpr98
	s_and_saveexec_b32 s2, vcc_lo
	s_xor_b32 s2, exec_lo, s2
; %bb.31:
	v_bfe_u32 v98, v97, 16, 1
	s_delay_alu instid0(VALU_DEP_1)
	v_add3_u32 v98, v97, v98, 0x7fff
                                        ; implicit-def: $vgpr97
; %bb.32:
	s_and_not1_saveexec_b32 s2, s2
; %bb.33:
	v_and_b32_e32 v98, 0xffff, v97
	v_or_b32_e32 v99, 0x10000, v97
	s_delay_alu instid0(VALU_DEP_2) | instskip(NEXT) | instid1(VALU_DEP_2)
	v_cmp_eq_u32_e32 vcc_lo, 0, v98
	v_cndmask_b32_e32 v98, v99, v97, vcc_lo
; %bb.34:
	s_or_b32 exec_lo, exec_lo, s2
	v_and_b32_e32 v97, 0x7f800000, v96
	s_delay_alu instid0(VALU_DEP_1) | instskip(SKIP_1) | instid1(SALU_CYCLE_1)
	v_cmp_ne_u32_e32 vcc_lo, 0x7f800000, v97
                                        ; implicit-def: $vgpr97
	s_and_saveexec_b32 s2, vcc_lo
	s_xor_b32 s2, exec_lo, s2
; %bb.35:
	v_bfe_u32 v97, v96, 16, 1
	s_delay_alu instid0(VALU_DEP_1)
	v_add3_u32 v97, v96, v97, 0x7fff
                                        ; implicit-def: $vgpr96
; %bb.36:
	s_and_not1_saveexec_b32 s2, s2
; %bb.37:
	v_and_b32_e32 v97, 0xffff, v96
	v_or_b32_e32 v99, 0x10000, v96
	s_delay_alu instid0(VALU_DEP_2) | instskip(NEXT) | instid1(VALU_DEP_2)
	v_cmp_eq_u32_e32 vcc_lo, 0, v97
	v_cndmask_b32_e32 v97, v99, v96, vcc_lo
; %bb.38:
	s_or_b32 exec_lo, exec_lo, s2
	v_and_b32_e32 v96, 0x7f800000, v93
	s_delay_alu instid0(VALU_DEP_1) | instskip(SKIP_1) | instid1(SALU_CYCLE_1)
	v_cmp_ne_u32_e32 vcc_lo, 0x7f800000, v96
                                        ; implicit-def: $vgpr96
	s_and_saveexec_b32 s2, vcc_lo
	s_xor_b32 s2, exec_lo, s2
; %bb.39:
	v_bfe_u32 v96, v93, 16, 1
	s_delay_alu instid0(VALU_DEP_1)
	v_add3_u32 v96, v93, v96, 0x7fff
                                        ; implicit-def: $vgpr93
; %bb.40:
	s_and_not1_saveexec_b32 s2, s2
; %bb.41:
	v_and_b32_e32 v96, 0xffff, v93
	v_or_b32_e32 v99, 0x10000, v93
	s_delay_alu instid0(VALU_DEP_2) | instskip(NEXT) | instid1(VALU_DEP_2)
	v_cmp_eq_u32_e32 vcc_lo, 0, v96
	v_cndmask_b32_e32 v96, v99, v93, vcc_lo
; %bb.42:
	s_or_b32 exec_lo, exec_lo, s2
	v_and_b32_e32 v93, 0x7f800000, v91
	s_delay_alu instid0(VALU_DEP_1) | instskip(SKIP_1) | instid1(SALU_CYCLE_1)
	v_cmp_ne_u32_e32 vcc_lo, 0x7f800000, v93
                                        ; implicit-def: $vgpr93
	s_and_saveexec_b32 s2, vcc_lo
	s_xor_b32 s2, exec_lo, s2
; %bb.43:
	v_bfe_u32 v93, v91, 16, 1
	s_delay_alu instid0(VALU_DEP_1)
	v_add3_u32 v93, v91, v93, 0x7fff
                                        ; implicit-def: $vgpr91
; %bb.44:
	s_and_not1_saveexec_b32 s2, s2
; %bb.45:
	v_and_b32_e32 v93, 0xffff, v91
	v_or_b32_e32 v99, 0x10000, v91
	s_delay_alu instid0(VALU_DEP_2) | instskip(NEXT) | instid1(VALU_DEP_2)
	v_cmp_eq_u32_e32 vcc_lo, 0, v93
	v_cndmask_b32_e32 v93, v99, v91, vcc_lo
; %bb.46:
	s_or_b32 exec_lo, exec_lo, s2
	s_load_b64 s[34:35], s[0:1], 0x94
	v_lshlrev_b32_e32 v91, 4, v83
	s_delay_alu instid0(VALU_DEP_2)
	v_perm_b32 v99, v93, v96, 0x7060302
	v_dual_mul_f32 v88, v89, v88 :: v_dual_lshlrev_b32 v93, 11, v73
	v_perm_b32 v96, v92, v90, 0x7060302
	v_mul_f32_e32 v92, v89, v76
	v_perm_b32 v98, v97, v98, 0x7060302
	v_perm_b32 v97, v95, v94, 0x7060302
	v_or3_b32 v76, v91, v93, v85
	v_mul_f32_e32 v87, v89, v87
	v_dual_mul_f32 v86, v89, v86 :: v_dual_and_b32 v93, 0x7f800000, v92
	v_mul_f32_e32 v80, v89, v80
	v_mul_f32_e32 v90, v89, v79
	;; [unrolled: 1-line block ×4, first 2 shown]
	s_mov_b32 s2, exec_lo
	ds_store_b128 v76, v[96:99]
                                        ; implicit-def: $vgpr77
	v_cmpx_ne_u32_e32 0x7f800000, v93
	s_xor_b32 s2, exec_lo, s2
; %bb.47:
	v_bfe_u32 v77, v92, 16, 1
	s_delay_alu instid0(VALU_DEP_1)
	v_add3_u32 v77, v92, v77, 0x7fff
                                        ; implicit-def: $vgpr92
; %bb.48:
	s_and_not1_saveexec_b32 s2, s2
; %bb.49:
	v_and_b32_e32 v77, 0xffff, v92
	v_or_b32_e32 v78, 0x10000, v92
	s_delay_alu instid0(VALU_DEP_2) | instskip(NEXT) | instid1(VALU_DEP_2)
	v_cmp_eq_u32_e32 vcc_lo, 0, v77
	v_cndmask_b32_e32 v77, v78, v92, vcc_lo
; %bb.50:
	s_or_b32 exec_lo, exec_lo, s2
	v_and_b32_e32 v78, 0x7f800000, v79
	s_delay_alu instid0(VALU_DEP_1) | instskip(SKIP_1) | instid1(SALU_CYCLE_1)
	v_cmp_ne_u32_e32 vcc_lo, 0x7f800000, v78
                                        ; implicit-def: $vgpr78
	s_and_saveexec_b32 s2, vcc_lo
	s_xor_b32 s2, exec_lo, s2
; %bb.51:
	v_bfe_u32 v78, v79, 16, 1
	s_delay_alu instid0(VALU_DEP_1)
	v_add3_u32 v78, v79, v78, 0x7fff
                                        ; implicit-def: $vgpr79
; %bb.52:
	s_and_not1_saveexec_b32 s2, s2
; %bb.53:
	v_and_b32_e32 v78, 0xffff, v79
	v_or_b32_e32 v89, 0x10000, v79
	s_delay_alu instid0(VALU_DEP_2) | instskip(NEXT) | instid1(VALU_DEP_2)
	v_cmp_eq_u32_e32 vcc_lo, 0, v78
	v_cndmask_b32_e32 v78, v89, v79, vcc_lo
; %bb.54:
	s_or_b32 exec_lo, exec_lo, s2
	v_and_b32_e32 v79, 0x7f800000, v91
	s_delay_alu instid0(VALU_DEP_1) | instskip(SKIP_1) | instid1(SALU_CYCLE_1)
	v_cmp_ne_u32_e32 vcc_lo, 0x7f800000, v79
                                        ; implicit-def: $vgpr79
	s_and_saveexec_b32 s2, vcc_lo
	s_xor_b32 s2, exec_lo, s2
; %bb.55:
	v_bfe_u32 v79, v91, 16, 1
	s_delay_alu instid0(VALU_DEP_1)
	v_add3_u32 v79, v91, v79, 0x7fff
                                        ; implicit-def: $vgpr91
; %bb.56:
	s_and_not1_saveexec_b32 s2, s2
; %bb.57:
	v_and_b32_e32 v79, 0xffff, v91
	v_or_b32_e32 v89, 0x10000, v91
	s_delay_alu instid0(VALU_DEP_2) | instskip(NEXT) | instid1(VALU_DEP_2)
	v_cmp_eq_u32_e32 vcc_lo, 0, v79
	v_cndmask_b32_e32 v79, v89, v91, vcc_lo
; %bb.58:
	s_or_b32 exec_lo, exec_lo, s2
	v_and_b32_e32 v89, 0x7f800000, v90
	s_delay_alu instid0(VALU_DEP_1) | instskip(SKIP_1) | instid1(SALU_CYCLE_1)
	v_cmp_ne_u32_e32 vcc_lo, 0x7f800000, v89
                                        ; implicit-def: $vgpr89
	s_and_saveexec_b32 s2, vcc_lo
	s_xor_b32 s2, exec_lo, s2
; %bb.59:
	v_bfe_u32 v89, v90, 16, 1
	s_delay_alu instid0(VALU_DEP_1)
	v_add3_u32 v89, v90, v89, 0x7fff
                                        ; implicit-def: $vgpr90
; %bb.60:
	s_and_not1_saveexec_b32 s2, s2
; %bb.61:
	v_and_b32_e32 v89, 0xffff, v90
	v_or_b32_e32 v91, 0x10000, v90
	s_delay_alu instid0(VALU_DEP_2) | instskip(NEXT) | instid1(VALU_DEP_2)
	v_cmp_eq_u32_e32 vcc_lo, 0, v89
	v_cndmask_b32_e32 v89, v91, v90, vcc_lo
; %bb.62:
	s_or_b32 exec_lo, exec_lo, s2
	v_and_b32_e32 v90, 0x7f800000, v80
	s_delay_alu instid0(VALU_DEP_1) | instskip(SKIP_1) | instid1(SALU_CYCLE_1)
	v_cmp_ne_u32_e32 vcc_lo, 0x7f800000, v90
                                        ; implicit-def: $vgpr90
	s_and_saveexec_b32 s2, vcc_lo
	s_xor_b32 s2, exec_lo, s2
; %bb.63:
	v_bfe_u32 v90, v80, 16, 1
	s_delay_alu instid0(VALU_DEP_1)
	v_add3_u32 v90, v80, v90, 0x7fff
                                        ; implicit-def: $vgpr80
; %bb.64:
	s_and_not1_saveexec_b32 s2, s2
; %bb.65:
	v_and_b32_e32 v90, 0xffff, v80
	v_or_b32_e32 v91, 0x10000, v80
	s_delay_alu instid0(VALU_DEP_2) | instskip(NEXT) | instid1(VALU_DEP_2)
	v_cmp_eq_u32_e32 vcc_lo, 0, v90
	v_cndmask_b32_e32 v90, v91, v80, vcc_lo
; %bb.66:
	s_or_b32 exec_lo, exec_lo, s2
	v_and_b32_e32 v80, 0x7f800000, v86
	s_delay_alu instid0(VALU_DEP_1) | instskip(SKIP_1) | instid1(SALU_CYCLE_1)
	v_cmp_ne_u32_e32 vcc_lo, 0x7f800000, v80
                                        ; implicit-def: $vgpr80
	s_and_saveexec_b32 s2, vcc_lo
	s_xor_b32 s2, exec_lo, s2
; %bb.67:
	v_bfe_u32 v80, v86, 16, 1
	s_delay_alu instid0(VALU_DEP_1)
	v_add3_u32 v80, v86, v80, 0x7fff
                                        ; implicit-def: $vgpr86
; %bb.68:
	s_and_not1_saveexec_b32 s2, s2
; %bb.69:
	v_and_b32_e32 v80, 0xffff, v86
	v_or_b32_e32 v91, 0x10000, v86
	s_delay_alu instid0(VALU_DEP_2) | instskip(NEXT) | instid1(VALU_DEP_2)
	v_cmp_eq_u32_e32 vcc_lo, 0, v80
	v_cndmask_b32_e32 v80, v91, v86, vcc_lo
; %bb.70:
	s_or_b32 exec_lo, exec_lo, s2
	v_and_b32_e32 v86, 0x7f800000, v87
	s_delay_alu instid0(VALU_DEP_1) | instskip(SKIP_1) | instid1(SALU_CYCLE_1)
	v_cmp_ne_u32_e32 vcc_lo, 0x7f800000, v86
                                        ; implicit-def: $vgpr86
	s_and_saveexec_b32 s2, vcc_lo
	s_xor_b32 s2, exec_lo, s2
; %bb.71:
	v_bfe_u32 v86, v87, 16, 1
	s_delay_alu instid0(VALU_DEP_1)
	v_add3_u32 v86, v87, v86, 0x7fff
                                        ; implicit-def: $vgpr87
; %bb.72:
	s_and_not1_saveexec_b32 s2, s2
; %bb.73:
	v_and_b32_e32 v86, 0xffff, v87
	v_or_b32_e32 v91, 0x10000, v87
	s_delay_alu instid0(VALU_DEP_2) | instskip(NEXT) | instid1(VALU_DEP_2)
	v_cmp_eq_u32_e32 vcc_lo, 0, v86
	v_cndmask_b32_e32 v86, v91, v87, vcc_lo
; %bb.74:
	s_or_b32 exec_lo, exec_lo, s2
	v_and_b32_e32 v87, 0x7f800000, v88
	s_delay_alu instid0(VALU_DEP_1) | instskip(SKIP_1) | instid1(SALU_CYCLE_1)
	v_cmp_ne_u32_e32 vcc_lo, 0x7f800000, v87
                                        ; implicit-def: $vgpr87
	s_and_saveexec_b32 s2, vcc_lo
	s_xor_b32 s2, exec_lo, s2
; %bb.75:
	v_bfe_u32 v87, v88, 16, 1
	s_delay_alu instid0(VALU_DEP_1)
	v_add3_u32 v87, v88, v87, 0x7fff
                                        ; implicit-def: $vgpr88
; %bb.76:
	s_and_not1_saveexec_b32 s2, s2
; %bb.77:
	v_and_b32_e32 v87, 0xffff, v88
	v_or_b32_e32 v91, 0x10000, v88
	s_delay_alu instid0(VALU_DEP_2) | instskip(NEXT) | instid1(VALU_DEP_2)
	v_cmp_eq_u32_e32 vcc_lo, 0, v87
	v_cndmask_b32_e32 v87, v91, v88, vcc_lo
; %bb.78:
	s_or_b32 exec_lo, exec_lo, s2
	s_delay_alu instid0(VALU_DEP_1)
	v_perm_b32 v94, v87, v86, 0x7060302
	v_perm_b32 v93, v80, v90, 0x7060302
	;; [unrolled: 1-line block ×4, first 2 shown]
	v_lshl_or_b32 v90, v73, 11, v85
	ds_store_b128 v76, v[91:94] offset:1024
	s_waitcnt lgkmcnt(0)
	s_barrier
	buffer_gl0_inv
	ds_load_b128 v[77:80], v90
	ds_load_b128 v[91:94], v90 offset:16
	s_waitcnt lgkmcnt(1)
	v_lshrrev_b32_e32 v73, 16, v77
	s_waitcnt lgkmcnt(0)
	v_lshrrev_b32_e32 v108, 16, v94
	v_lshlrev_b32_e32 v87, 2, v83
	v_lshrrev_b32_e32 v99, 16, v91
	v_lshrrev_b32_e32 v103, 16, v78
	;; [unrolled: 1-line block ×4, first 2 shown]
	v_or_b32_e32 v88, 1, v87
	v_cmp_eq_u32_e32 vcc_lo, 1, v87
	v_cmp_eq_u32_e64 s3, 2, v87
	v_cmp_eq_u32_e64 s6, 3, v87
	;; [unrolled: 1-line block ×4, first 2 shown]
	v_cndmask_b32_e32 v89, v77, v73, vcc_lo
	v_cndmask_b32_e32 v95, v91, v99, vcc_lo
	v_cmp_eq_u32_e64 s5, 2, v88
	v_cmp_eq_u32_e64 s7, 3, v88
	v_cndmask_b32_e64 v96, v77, v73, s2
	v_cndmask_b32_e64 v89, v89, v78, s3
	;; [unrolled: 1-line block ×3, first 2 shown]
	v_or_b32_e32 v86, 2, v87
	v_lshrrev_b32_e32 v107, 16, v93
	v_cndmask_b32_e64 v96, v96, v78, s5
	v_cndmask_b32_e64 v89, v89, v103, s6
	;; [unrolled: 1-line block ×4, first 2 shown]
	v_cmp_eq_u32_e64 s9, 5, v87
	v_cndmask_b32_e64 v96, v96, v103, s7
	v_cndmask_b32_e64 v89, v89, v79, s8
	;; [unrolled: 1-line block ×3, first 2 shown]
	v_cmp_eq_u32_e64 s10, 4, v88
	v_cmp_eq_u32_e64 s4, 1, v86
	v_cndmask_b32_e64 v97, v97, v92, s5
	v_cndmask_b32_e64 v89, v89, v104, s9
	v_cmp_eq_u32_e64 s11, 6, v87
	v_cndmask_b32_e64 v96, v96, v79, s10
	v_cndmask_b32_e64 v95, v95, v107, s9
	v_cmp_eq_u32_e64 s12, 5, v88
	v_lshrrev_b32_e32 v105, 16, v80
	v_cndmask_b32_e64 v98, v77, v73, s4
	v_cndmask_b32_e64 v97, v97, v106, s7
	;; [unrolled: 1-line block ×4, first 2 shown]
	v_cmp_eq_u32_e64 s13, 7, v87
	v_cndmask_b32_e64 v95, v95, v94, s11
	v_cmp_eq_u32_e64 s15, 6, v88
	v_cmp_eq_u32_e64 s16, 2, v86
	v_cndmask_b32_e64 v97, v97, v93, s10
	v_cndmask_b32_e64 v109, v89, v105, s13
	;; [unrolled: 1-line block ×6, first 2 shown]
	v_cmp_eq_u32_e64 s17, 7, v88
	v_cmp_eq_u32_e64 s18, 3, v86
	;; [unrolled: 1-line block ×4, first 2 shown]
	v_cndmask_b32_e64 v95, v95, v92, s16
	v_cndmask_b32_e64 v111, v96, v105, s17
	;; [unrolled: 1-line block ×4, first 2 shown]
	v_or_b32_e32 v89, 3, v87
	v_cndmask_b32_e64 v101, v95, v106, s18
	v_cmp_eq_u32_e64 s23, 6, v86
	v_cndmask_b32_e64 v112, v96, v94, s15
	v_cndmask_b32_e64 v100, v97, v79, s19
	v_cmp_eq_u32_e64 s20, 1, v89
	ds_load_b128 v[95:98], v90 offset:1024
	v_cmp_eq_u32_e64 s22, 2, v89
	v_cmp_eq_u32_e64 s24, 3, v89
	v_cndmask_b32_e64 v113, v100, v104, s21
	v_cndmask_b32_e64 v73, v77, v73, s20
	;; [unrolled: 1-line block ×4, first 2 shown]
	ds_load_b128 v[99:102], v90 offset:1040
	v_cmp_eq_u32_e64 s25, 4, v89
	v_cndmask_b32_e64 v73, v73, v78, s22
	v_cmp_eq_u32_e64 s26, 7, v86
	v_cndmask_b32_e64 v78, v91, v92, s22
	v_cndmask_b32_e64 v92, v113, v80, s23
	v_cmp_eq_u32_e64 s27, 5, v89
	v_cndmask_b32_e64 v73, v73, v103, s24
	v_cndmask_b32_e64 v77, v77, v107, s21
	;; [unrolled: 1-line block ×3, first 2 shown]
	v_cmp_eq_u32_e64 s28, 6, v89
	v_cndmask_b32_e64 v91, v112, v108, s17
	v_cndmask_b32_e64 v73, v73, v79, s25
	s_waitcnt lgkmcnt(1)
	v_lshrrev_b32_e32 v103, 16, v95
	v_cndmask_b32_e64 v78, v78, v93, s25
	v_cndmask_b32_e64 v79, v92, v105, s26
	;; [unrolled: 1-line block ×4, first 2 shown]
	v_cndmask_b32_e32 v92, v95, v103, vcc_lo
	v_cndmask_b32_e64 v78, v78, v107, s27
	s_waitcnt lgkmcnt(0)
	v_lshrrev_b32_e32 v93, 16, v99
	v_lshrrev_b32_e32 v104, 16, v96
	v_cndmask_b32_e64 v106, v95, v103, s2
	v_cndmask_b32_e64 v92, v92, v96, s3
	;; [unrolled: 1-line block ×3, first 2 shown]
	v_cndmask_b32_e32 v107, v99, v93, vcc_lo
	v_cndmask_b32_e64 v78, v78, v94, s28
	v_cmp_eq_u32_e32 vcc_lo, 7, v89
	v_cndmask_b32_e64 v80, v92, v104, s6
	v_cndmask_b32_e64 v92, v106, v96, s5
	;; [unrolled: 1-line block ×3, first 2 shown]
	v_lshrrev_b32_e32 v106, 16, v100
	v_cndmask_b32_e64 v77, v77, v108, s26
	v_cndmask_b32_e32 v78, v78, v108, vcc_lo
	v_lshrrev_b32_e32 v108, 16, v101
	v_cndmask_b32_e64 v80, v80, v97, s8
	v_cndmask_b32_e64 v94, v94, v106, s6
	v_lshrrev_b32_e32 v107, 16, v97
	v_cndmask_b32_e32 v73, v73, v105, vcc_lo
	v_perm_b32 v79, v77, v79, 0x5040100
	v_cndmask_b32_e64 v92, v92, v104, s7
	v_cndmask_b32_e64 v94, v94, v101, s8
	;; [unrolled: 1-line block ×3, first 2 shown]
	v_perm_b32 v80, v78, v73, 0x5040100
	v_perm_b32 v78, v91, v111, 0x5040100
	v_cndmask_b32_e64 v111, v99, v93, s4
	v_cndmask_b32_e64 v94, v94, v108, s9
	;; [unrolled: 1-line block ×3, first 2 shown]
	s_delay_alu instid0(VALU_DEP_2)
	v_cndmask_b32_e64 v77, v94, v102, s11
	v_cndmask_b32_e64 v94, v95, v103, s4
	;; [unrolled: 1-line block ×22, first 2 shown]
	v_lshrrev_b32_e32 v105, 16, v98
	v_cndmask_b32_e64 v94, v94, v107, s21
	v_cndmask_b32_e64 v95, v95, v107, s27
	;; [unrolled: 1-line block ×7, first 2 shown]
	v_lshrrev_b32_e32 v92, 16, v102
	v_cndmask_b32_e64 v94, v94, v98, s23
	v_cndmask_b32_e64 v95, v95, v98, s28
	;; [unrolled: 1-line block ×7, first 2 shown]
	v_dual_cndmask_b32 v94, v95, v105 :: v_dual_cndmask_b32 v95, v96, v92
	v_cndmask_b32_e64 v96, v97, v92, s26
	v_cndmask_b32_e64 v97, v93, v92, s17
	;; [unrolled: 1-line block ×3, first 2 shown]
	v_perm_b32 v77, v110, v109, 0x5040100
	v_perm_b32 v94, v95, v94, 0x5040100
	;; [unrolled: 1-line block ×5, first 2 shown]
	s_lshl_b32 s7, s35, 2
	s_mov_b32 s2, exec_lo
	ds_store_b128 v76, v[77:80]
	ds_store_b128 v76, v[91:94] offset:1024
	v_cmpx_gt_u32_e32 4, v0
	s_cbranch_execz .LBB729_80
; %bb.79:
	v_or_b32_e32 v73, s29, v0
	s_load_b128 s[8:11], s[0:1], 0x58
	s_delay_alu instid0(VALU_DEP_1) | instskip(NEXT) | instid1(VALU_DEP_1)
	v_mad_u64_u32 v[76:77], null, s7, s30, v[73:74]
	v_mad_u64_u32 v[77:78], null, v76, s34, s[14:15]
	s_delay_alu instid0(VALU_DEP_1) | instskip(NEXT) | instid1(VALU_DEP_1)
	v_ashrrev_i32_e32 v78, 31, v77
	v_lshlrev_b64 v[76:77], 2, v[77:78]
	s_waitcnt lgkmcnt(0)
	s_delay_alu instid0(VALU_DEP_1) | instskip(NEXT) | instid1(VALU_DEP_2)
	v_add_co_u32 v78, vcc_lo, s10, v76
	v_add_co_ci_u32_e32 v79, vcc_lo, s11, v77, vcc_lo
	v_add_co_u32 v76, vcc_lo, s8, v76
	v_add_co_ci_u32_e32 v77, vcc_lo, s9, v77, vcc_lo
	global_store_b32 v[78:79], v74, off
	global_store_b32 v[76:77], v75, off
.LBB729_80:
	s_or_b32 exec_lo, exec_lo, s2
	s_waitcnt lgkmcnt(0)
	s_waitcnt_vscnt null, 0x0
	s_barrier
	buffer_gl0_inv
	ds_load_b128 v[91:94], v85
	ds_load_b128 v[95:98], v85 offset:16
	ds_load_b128 v[103:106], v85 offset:1040
	;; [unrolled: 1-line block ×3, first 2 shown]
	v_mov_b32_e32 v73, 0
	ds_load_b128 v[111:114], v85 offset:2064
	ds_load_b128 v[107:110], v85 offset:2048
	;; [unrolled: 1-line block ×6, first 2 shown]
	v_mov_b32_e32 v74, v73
	v_mov_b32_e32 v75, v73
	;; [unrolled: 1-line block ×7, first 2 shown]
	s_waitcnt lgkmcnt(8)
	s_delay_alu instid0(VALU_DEP_1)
	v_wmma_f32_16x16x16_bf16 v[73:80], v[65:72], v[91:98], v[73:80]
	ds_load_b128 v[69:72], v85 offset:5136
	ds_load_b128 v[65:68], v85 offset:5120
	;; [unrolled: 1-line block ×4, first 2 shown]
	s_waitcnt lgkmcnt(10)
	v_wmma_f32_16x16x16_bf16 v[73:80], v[57:64], v[99:106], v[73:80]
	s_waitcnt lgkmcnt(8)
	s_delay_alu instid0(VALU_DEP_1)
	v_wmma_f32_16x16x16_bf16 v[73:80], v[57:64], v[107:114], v[73:80]
	ds_load_b128 v[61:64], v85 offset:7184
	ds_load_b128 v[57:60], v85 offset:7168
	;; [unrolled: 1-line block ×4, first 2 shown]
	s_waitcnt lgkmcnt(10)
	v_wmma_f32_16x16x16_bf16 v[73:80], v[49:56], v[115:122], v[73:80]
	s_waitcnt lgkmcnt(8)
	s_delay_alu instid0(VALU_DEP_1)
	v_wmma_f32_16x16x16_bf16 v[73:80], v[49:56], v[123:130], v[73:80]
	ds_load_b128 v[53:56], v85 offset:9232
	ds_load_b128 v[49:52], v85 offset:9216
	s_waitcnt lgkmcnt(8)
	v_wmma_f32_16x16x16_bf16 v[73:80], v[41:48], v[65:72], v[73:80]
	ds_load_b128 v[69:72], v85 offset:10256
	ds_load_b128 v[65:68], v85 offset:10240
	s_waitcnt lgkmcnt(8)
	;; [unrolled: 4-line block ×3, first 2 shown]
	v_wmma_f32_16x16x16_bf16 v[73:80], v[9:16], v[57:64], v[73:80]
	s_waitcnt lgkmcnt(6)
	s_delay_alu instid0(VALU_DEP_1)
	v_wmma_f32_16x16x16_bf16 v[73:80], v[9:16], v[99:106], v[73:80]
	ds_load_b128 v[13:16], v85 offset:12304
	ds_load_b128 v[9:12], v85 offset:12288
	s_waitcnt lgkmcnt(6)
	v_wmma_f32_16x16x16_bf16 v[73:80], v[1:8], v[49:56], v[73:80]
	ds_load_b128 v[53:56], v85 offset:13328
	ds_load_b128 v[49:52], v85 offset:13312
	s_waitcnt lgkmcnt(6)
	;; [unrolled: 4-line block ×4, first 2 shown]
	v_wmma_f32_16x16x16_bf16 v[73:80], v[33:40], v[9:16], v[73:80]
	s_waitcnt lgkmcnt(4)
	s_delay_alu instid0(VALU_DEP_1) | instskip(SKIP_1) | instid1(VALU_DEP_1)
	v_wmma_f32_16x16x16_bf16 v[73:80], v[25:32], v[49:56], v[73:80]
	s_waitcnt lgkmcnt(2)
	v_wmma_f32_16x16x16_bf16 v[73:80], v[25:32], v[1:8], v[73:80]
	s_waitcnt lgkmcnt(0)
	s_delay_alu instid0(VALU_DEP_1) | instskip(NEXT) | instid1(VALU_DEP_1)
	v_wmma_f32_16x16x16_bf16 v[73:80], v[17:24], v[41:48], v[73:80]
	v_and_b32_e32 v1, 0x7f800000, v73
	s_delay_alu instid0(VALU_DEP_1) | instskip(SKIP_1) | instid1(SALU_CYCLE_1)
	v_cmp_ne_u32_e32 vcc_lo, 0x7f800000, v1
                                        ; implicit-def: $vgpr1
	s_and_saveexec_b32 s2, vcc_lo
	s_xor_b32 s2, exec_lo, s2
; %bb.81:
	v_bfe_u32 v1, v73, 16, 1
	s_delay_alu instid0(VALU_DEP_1)
	v_add3_u32 v1, v73, v1, 0x7fff
; %bb.82:
	s_and_not1_saveexec_b32 s2, s2
; %bb.83:
	v_and_b32_e32 v1, 0xffff, v73
	v_or_b32_e32 v2, 0x10000, v73
	s_delay_alu instid0(VALU_DEP_2) | instskip(NEXT) | instid1(VALU_DEP_2)
	v_cmp_eq_u32_e32 vcc_lo, 0, v1
	v_cndmask_b32_e32 v1, v2, v73, vcc_lo
; %bb.84:
	s_or_b32 exec_lo, exec_lo, s2
	v_and_b32_e32 v2, 0x7f800000, v74
	s_delay_alu instid0(VALU_DEP_1) | instskip(SKIP_1) | instid1(SALU_CYCLE_1)
	v_cmp_ne_u32_e32 vcc_lo, 0x7f800000, v2
                                        ; implicit-def: $vgpr2
	s_and_saveexec_b32 s2, vcc_lo
	s_xor_b32 s2, exec_lo, s2
; %bb.85:
	v_bfe_u32 v2, v74, 16, 1
	s_delay_alu instid0(VALU_DEP_1)
	v_add3_u32 v2, v74, v2, 0x7fff
; %bb.86:
	s_and_not1_saveexec_b32 s2, s2
; %bb.87:
	v_and_b32_e32 v2, 0xffff, v74
	v_or_b32_e32 v3, 0x10000, v74
	s_delay_alu instid0(VALU_DEP_2) | instskip(NEXT) | instid1(VALU_DEP_2)
	v_cmp_eq_u32_e32 vcc_lo, 0, v2
	v_cndmask_b32_e32 v2, v3, v74, vcc_lo
; %bb.88:
	s_or_b32 exec_lo, exec_lo, s2
	v_and_b32_e32 v3, 0x7f800000, v75
	s_delay_alu instid0(VALU_DEP_1) | instskip(SKIP_1) | instid1(SALU_CYCLE_1)
	v_cmp_ne_u32_e32 vcc_lo, 0x7f800000, v3
                                        ; implicit-def: $vgpr3
	s_and_saveexec_b32 s2, vcc_lo
	s_xor_b32 s2, exec_lo, s2
; %bb.89:
	v_bfe_u32 v3, v75, 16, 1
	s_delay_alu instid0(VALU_DEP_1)
	v_add3_u32 v3, v75, v3, 0x7fff
; %bb.90:
	s_and_not1_saveexec_b32 s2, s2
; %bb.91:
	v_and_b32_e32 v3, 0xffff, v75
	v_or_b32_e32 v4, 0x10000, v75
	s_delay_alu instid0(VALU_DEP_2) | instskip(NEXT) | instid1(VALU_DEP_2)
	v_cmp_eq_u32_e32 vcc_lo, 0, v3
	v_cndmask_b32_e32 v3, v4, v75, vcc_lo
; %bb.92:
	s_or_b32 exec_lo, exec_lo, s2
	v_and_b32_e32 v4, 0x7f800000, v76
	s_delay_alu instid0(VALU_DEP_1) | instskip(SKIP_1) | instid1(SALU_CYCLE_1)
	v_cmp_ne_u32_e32 vcc_lo, 0x7f800000, v4
                                        ; implicit-def: $vgpr4
	s_and_saveexec_b32 s2, vcc_lo
	s_xor_b32 s2, exec_lo, s2
; %bb.93:
	v_bfe_u32 v4, v76, 16, 1
	s_delay_alu instid0(VALU_DEP_1)
	v_add3_u32 v4, v76, v4, 0x7fff
; %bb.94:
	s_and_not1_saveexec_b32 s2, s2
; %bb.95:
	v_and_b32_e32 v4, 0xffff, v76
	v_or_b32_e32 v5, 0x10000, v76
	s_delay_alu instid0(VALU_DEP_2) | instskip(NEXT) | instid1(VALU_DEP_2)
	v_cmp_eq_u32_e32 vcc_lo, 0, v4
	v_cndmask_b32_e32 v4, v5, v76, vcc_lo
; %bb.96:
	s_or_b32 exec_lo, exec_lo, s2
	v_and_b32_e32 v5, 0x7f800000, v77
	s_delay_alu instid0(VALU_DEP_1) | instskip(SKIP_1) | instid1(SALU_CYCLE_1)
	v_cmp_ne_u32_e32 vcc_lo, 0x7f800000, v5
                                        ; implicit-def: $vgpr5
	s_and_saveexec_b32 s2, vcc_lo
	s_xor_b32 s2, exec_lo, s2
; %bb.97:
	v_bfe_u32 v5, v77, 16, 1
	s_delay_alu instid0(VALU_DEP_1)
	v_add3_u32 v5, v77, v5, 0x7fff
; %bb.98:
	s_and_not1_saveexec_b32 s2, s2
; %bb.99:
	v_and_b32_e32 v5, 0xffff, v77
	v_or_b32_e32 v6, 0x10000, v77
	s_delay_alu instid0(VALU_DEP_2) | instskip(NEXT) | instid1(VALU_DEP_2)
	v_cmp_eq_u32_e32 vcc_lo, 0, v5
	v_cndmask_b32_e32 v5, v6, v77, vcc_lo
; %bb.100:
	s_or_b32 exec_lo, exec_lo, s2
	v_and_b32_e32 v6, 0x7f800000, v78
	s_delay_alu instid0(VALU_DEP_1) | instskip(SKIP_1) | instid1(SALU_CYCLE_1)
	v_cmp_ne_u32_e32 vcc_lo, 0x7f800000, v6
                                        ; implicit-def: $vgpr6
	s_and_saveexec_b32 s2, vcc_lo
	s_xor_b32 s2, exec_lo, s2
; %bb.101:
	v_bfe_u32 v6, v78, 16, 1
	s_delay_alu instid0(VALU_DEP_1)
	v_add3_u32 v6, v78, v6, 0x7fff
; %bb.102:
	s_and_not1_saveexec_b32 s2, s2
; %bb.103:
	v_and_b32_e32 v6, 0xffff, v78
	v_or_b32_e32 v7, 0x10000, v78
	s_delay_alu instid0(VALU_DEP_2) | instskip(NEXT) | instid1(VALU_DEP_2)
	v_cmp_eq_u32_e32 vcc_lo, 0, v6
	v_cndmask_b32_e32 v6, v7, v78, vcc_lo
; %bb.104:
	s_or_b32 exec_lo, exec_lo, s2
	v_and_b32_e32 v7, 0x7f800000, v79
	s_delay_alu instid0(VALU_DEP_1) | instskip(SKIP_1) | instid1(SALU_CYCLE_1)
	v_cmp_ne_u32_e32 vcc_lo, 0x7f800000, v7
                                        ; implicit-def: $vgpr7
	s_and_saveexec_b32 s2, vcc_lo
	s_xor_b32 s2, exec_lo, s2
; %bb.105:
	v_bfe_u32 v7, v79, 16, 1
	s_delay_alu instid0(VALU_DEP_1)
	v_add3_u32 v7, v79, v7, 0x7fff
; %bb.106:
	s_and_not1_saveexec_b32 s2, s2
; %bb.107:
	v_and_b32_e32 v7, 0xffff, v79
	v_or_b32_e32 v8, 0x10000, v79
	s_delay_alu instid0(VALU_DEP_2) | instskip(NEXT) | instid1(VALU_DEP_2)
	v_cmp_eq_u32_e32 vcc_lo, 0, v7
	v_cndmask_b32_e32 v7, v8, v79, vcc_lo
; %bb.108:
	s_or_b32 exec_lo, exec_lo, s2
	v_and_b32_e32 v8, 0x7f800000, v80
	s_delay_alu instid0(VALU_DEP_1) | instskip(SKIP_1) | instid1(SALU_CYCLE_1)
	v_cmp_ne_u32_e32 vcc_lo, 0x7f800000, v8
                                        ; implicit-def: $vgpr8
	s_and_saveexec_b32 s2, vcc_lo
	s_xor_b32 s2, exec_lo, s2
; %bb.109:
	v_bfe_u32 v8, v80, 16, 1
	s_delay_alu instid0(VALU_DEP_1)
	v_add3_u32 v8, v80, v8, 0x7fff
                                        ; implicit-def: $vgpr73_vgpr74_vgpr75_vgpr76_vgpr77_vgpr78_vgpr79_vgpr80
; %bb.110:
	s_and_not1_saveexec_b32 s2, s2
; %bb.111:
	v_and_b32_e32 v8, 0xffff, v80
	v_or_b32_e32 v9, 0x10000, v80
	s_delay_alu instid0(VALU_DEP_2) | instskip(NEXT) | instid1(VALU_DEP_2)
	v_cmp_eq_u32_e32 vcc_lo, 0, v8
	v_cndmask_b32_e32 v8, v9, v80, vcc_lo
; %bb.112:
	s_or_b32 exec_lo, exec_lo, s2
	s_delay_alu instid0(VALU_DEP_1)
	v_perm_b32 v7, v8, v7, 0x7060302
	v_perm_b32 v6, v6, v5, 0x7060302
	;; [unrolled: 1-line block ×4, first 2 shown]
	v_lshl_or_b32 v9, v83, 4, v90
	s_barrier
	buffer_gl0_inv
	v_cmp_eq_u32_e32 vcc_lo, 1, v87
	ds_store_b128 v9, v[4:7]
	s_waitcnt lgkmcnt(0)
	s_barrier
	buffer_gl0_inv
	ds_load_b128 v[1:4], v90
	ds_load_b128 v[5:8], v90 offset:16
	v_cmp_eq_u32_e64 s3, 2, v87
	v_cmp_eq_u32_e64 s2, 1, v88
	;; [unrolled: 1-line block ×5, first 2 shown]
	s_waitcnt lgkmcnt(1)
	v_lshrrev_b32_e32 v10, 16, v1
	s_waitcnt lgkmcnt(0)
	v_lshrrev_b32_e32 v14, 16, v5
	v_lshrrev_b32_e32 v15, 16, v6
	;; [unrolled: 1-line block ×4, first 2 shown]
	v_cndmask_b32_e64 v20, v1, v10, s2
	v_cndmask_b32_e32 v19, v5, v14, vcc_lo
	v_cndmask_b32_e64 v21, v5, v14, s2
	v_lshrrev_b32_e32 v16, 16, v7
	v_cmp_eq_u32_e64 s2, 1, v86
	v_lshrrev_b32_e32 v13, 16, v4
	v_cndmask_b32_e64 v19, v19, v6, s3
	v_lshrrev_b32_e32 v17, 16, v8
	s_delay_alu instid0(VALU_DEP_4) | instskip(SKIP_1) | instid1(VALU_DEP_4)
	v_cndmask_b32_e64 v22, v1, v10, s2
	v_cndmask_b32_e64 v23, v5, v14, s2
	;; [unrolled: 1-line block ×3, first 2 shown]
	v_cndmask_b32_e32 v18, v1, v10, vcc_lo
	v_cmp_eq_u32_e32 vcc_lo, 2, v88
	v_cmp_eq_u32_e64 s2, 2, v89
	v_cndmask_b32_e64 v22, v22, v2, s6
	v_cndmask_b32_e32 v20, v20, v2, vcc_lo
	v_cndmask_b32_e32 v21, v21, v6, vcc_lo
	v_cmp_eq_u32_e32 vcc_lo, 4, v87
	v_cndmask_b32_e32 v19, v19, v7, vcc_lo
	v_cndmask_b32_e64 v18, v18, v2, s3
	v_cmp_eq_u32_e64 s3, 3, v88
	s_delay_alu instid0(VALU_DEP_2) | instskip(NEXT) | instid1(VALU_DEP_2)
	v_cndmask_b32_e64 v18, v18, v11, s4
	v_cndmask_b32_e64 v21, v21, v15, s3
	v_cmp_eq_u32_e64 s4, 5, v87
	s_delay_alu instid0(VALU_DEP_3) | instskip(SKIP_1) | instid1(VALU_DEP_3)
	v_cndmask_b32_e32 v18, v18, v3, vcc_lo
	v_cmp_eq_u32_e32 vcc_lo, 4, v88
	v_cndmask_b32_e64 v19, v19, v16, s4
	s_delay_alu instid0(VALU_DEP_3) | instskip(SKIP_4) | instid1(VALU_DEP_3)
	v_cndmask_b32_e64 v18, v18, v12, s4
	v_cndmask_b32_e32 v21, v21, v7, vcc_lo
	v_cndmask_b32_e64 v20, v20, v11, s3
	v_cmp_eq_u32_e64 s3, 5, v88
	v_cmp_eq_u32_e64 s4, 6, v87
	v_cndmask_b32_e32 v20, v20, v3, vcc_lo
	s_delay_alu instid0(VALU_DEP_3) | instskip(SKIP_1) | instid1(VALU_DEP_4)
	v_cndmask_b32_e64 v21, v21, v16, s3
	v_cmp_eq_u32_e32 vcc_lo, 6, v88
	v_cndmask_b32_e64 v18, v18, v4, s4
	v_cndmask_b32_e64 v19, v19, v8, s4
	;; [unrolled: 1-line block ×3, first 2 shown]
	v_cmp_eq_u32_e64 s3, 1, v89
	v_cmp_eq_u32_e64 s4, 7, v87
	s_delay_alu instid0(VALU_DEP_3) | instskip(NEXT) | instid1(VALU_DEP_3)
	v_cndmask_b32_e32 v20, v20, v4, vcc_lo
	v_cndmask_b32_e64 v1, v1, v10, s3
	v_cndmask_b32_e64 v5, v5, v14, s3
	v_cmp_eq_u32_e64 s3, 3, v86
	v_cndmask_b32_e64 v14, v23, v6, s6
	v_cmp_eq_u32_e64 s6, 3, v89
	v_cndmask_b32_e64 v1, v1, v2, s2
	v_cndmask_b32_e64 v2, v5, v6, s2
	;; [unrolled: 1-line block ×3, first 2 shown]
	v_cmp_eq_u32_e64 s2, 4, v86
	v_cndmask_b32_e64 v6, v14, v15, s3
	v_cndmask_b32_e64 v1, v1, v11, s6
	v_cmp_eq_u32_e64 s3, 4, v89
	v_cndmask_b32_e64 v2, v2, v15, s6
	v_cndmask_b32_e64 v5, v10, v3, s2
	v_cmp_eq_u32_e64 s6, 5, v86
	v_cndmask_b32_e64 v6, v6, v7, s2
	v_cndmask_b32_e64 v1, v1, v3, s3
	v_cndmask_b32_e64 v2, v2, v7, s3
	v_cmp_eq_u32_e64 s2, 5, v89
	v_cndmask_b32_e64 v5, v5, v12, s6
	v_cmp_eq_u32_e64 s3, 6, v86
	;; [unrolled: 2-line block ×3, first 2 shown]
	v_cndmask_b32_e64 v1, v1, v12, s2
	v_cndmask_b32_e64 v2, v2, v16, s2
	;; [unrolled: 1-line block ×4, first 2 shown]
	v_cmp_eq_u32_e64 s2, 7, v89
	v_cndmask_b32_e64 v1, v1, v4, s6
	v_cndmask_b32_e64 v2, v2, v8, s6
	v_cmp_eq_u32_e64 s3, 7, v86
	v_cndmask_b32_e32 v4, v21, v8, vcc_lo
	v_cndmask_b32_e64 v18, v18, v13, s4
	v_cndmask_b32_e64 v20, v20, v13, s5
	;; [unrolled: 1-line block ×8, first 2 shown]
	s_mov_b32 s2, exec_lo
	v_perm_b32 v4, v2, v1, 0x5040100
	v_perm_b32 v3, v3, v5, 0x5040100
	;; [unrolled: 1-line block ×4, first 2 shown]
	ds_store_b128 v9, v[1:4]
	s_waitcnt lgkmcnt(0)
	s_barrier
	buffer_gl0_inv
	v_cmpx_gt_u32_e32 32, v0
	s_cbranch_execz .LBB729_2
; %bb.113:
	s_load_b64 s[0:1], s[0:1], 0x68
	v_lshlrev_b32_e32 v0, 10, v0
	v_or_b32_e32 v1, s29, v83
	s_lshl_b32 s4, s34, 7
	v_lshlrev_b32_e32 v2, 4, v84
	s_mul_i32 s2, s4, s30
	v_lshlrev_b32_e32 v3, 6, v83
	v_mul_lo_u32 v8, v1, s4
	v_and_b32_e32 v0, 0x3800, v0
	v_or_b32_e32 v1, 2, v1
	s_mul_i32 s2, s2, s7
	s_delay_alu instid0(SALU_CYCLE_1) | instskip(NEXT) | instid1(VALU_DEP_2)
	s_ashr_i32 s3, s2, 31
	v_or3_b32 v4, v0, v2, v3
	s_lshl_b64 s[2:3], s[2:3], 1
	v_mul_lo_u32 v10, v1, s4
	v_ashrrev_i32_e32 v9, 31, v8
	ds_load_b128 v[0:3], v4
	ds_load_b128 v[4:7], v4 offset:128
	s_waitcnt lgkmcnt(0)
	s_add_u32 s2, s0, s2
	s_addc_u32 s3, s1, s3
	s_lshl_b32 s0, s14, 7
	v_ashrrev_i32_e32 v11, 31, v10
	s_ashr_i32 s1, s0, 31
	v_lshlrev_b64 v[8:9], 1, v[8:9]
	s_lshl_b64 s[0:1], s[0:1], 1
	s_delay_alu instid0(SALU_CYCLE_1) | instskip(SKIP_4) | instid1(VALU_DEP_3)
	s_add_u32 s0, s2, s0
	s_addc_u32 s1, s3, s1
	v_add_co_u32 v12, vcc_lo, s0, v81
	v_add_co_ci_u32_e32 v13, vcc_lo, s1, v82, vcc_lo
	v_lshlrev_b64 v[10:11], 1, v[10:11]
	v_add_co_u32 v8, vcc_lo, v12, v8
	s_delay_alu instid0(VALU_DEP_3) | instskip(NEXT) | instid1(VALU_DEP_3)
	v_add_co_ci_u32_e32 v9, vcc_lo, v13, v9, vcc_lo
	v_add_co_u32 v10, vcc_lo, v12, v10
	s_delay_alu instid0(VALU_DEP_4)
	v_add_co_ci_u32_e32 v11, vcc_lo, v13, v11, vcc_lo
	s_clause 0x1
	global_store_b128 v[8:9], v[0:3], off
	global_store_b128 v[10:11], v[4:7], off
	s_nop 0
	s_sendmsg sendmsg(MSG_DEALLOC_VGPRS)
	s_endpgm
	.section	.rodata,"a",@progbits
	.p2align	6, 0x0
	.amdhsa_kernel _Z39paged_attention_ll4mi_QKV_mfma16_kernelI14__hip_bfloat16S0_LN4vllm18Fp8KVCacheDataTypeE0EhLi32ELi128ELi256ELb0ELi4EL8MFMAType0EEvPKT_PKT0_S9_ifPKiSB_SB_iPKfiiiPfSE_PS4_PT2_iSD_SD_
		.amdhsa_group_segment_fixed_size 17472
		.amdhsa_private_segment_fixed_size 0
		.amdhsa_kernarg_size 400
		.amdhsa_user_sgpr_count 13
		.amdhsa_user_sgpr_dispatch_ptr 0
		.amdhsa_user_sgpr_queue_ptr 0
		.amdhsa_user_sgpr_kernarg_segment_ptr 1
		.amdhsa_user_sgpr_dispatch_id 0
		.amdhsa_user_sgpr_private_segment_size 0
		.amdhsa_wavefront_size32 1
		.amdhsa_uses_dynamic_stack 0
		.amdhsa_enable_private_segment 0
		.amdhsa_system_sgpr_workgroup_id_x 1
		.amdhsa_system_sgpr_workgroup_id_y 1
		.amdhsa_system_sgpr_workgroup_id_z 1
		.amdhsa_system_sgpr_workgroup_info 0
		.amdhsa_system_vgpr_workitem_id 0
		.amdhsa_next_free_vgpr 157
		.amdhsa_next_free_sgpr 40
		.amdhsa_reserve_vcc 1
		.amdhsa_float_round_mode_32 0
		.amdhsa_float_round_mode_16_64 0
		.amdhsa_float_denorm_mode_32 3
		.amdhsa_float_denorm_mode_16_64 3
		.amdhsa_dx10_clamp 1
		.amdhsa_ieee_mode 1
		.amdhsa_fp16_overflow 0
		.amdhsa_workgroup_processor_mode 1
		.amdhsa_memory_ordered 1
		.amdhsa_forward_progress 0
		.amdhsa_shared_vgpr_count 0
		.amdhsa_exception_fp_ieee_invalid_op 0
		.amdhsa_exception_fp_denorm_src 0
		.amdhsa_exception_fp_ieee_div_zero 0
		.amdhsa_exception_fp_ieee_overflow 0
		.amdhsa_exception_fp_ieee_underflow 0
		.amdhsa_exception_fp_ieee_inexact 0
		.amdhsa_exception_int_div_zero 0
	.end_amdhsa_kernel
	.section	.text._Z39paged_attention_ll4mi_QKV_mfma16_kernelI14__hip_bfloat16S0_LN4vllm18Fp8KVCacheDataTypeE0EhLi32ELi128ELi256ELb0ELi4EL8MFMAType0EEvPKT_PKT0_S9_ifPKiSB_SB_iPKfiiiPfSE_PS4_PT2_iSD_SD_,"axG",@progbits,_Z39paged_attention_ll4mi_QKV_mfma16_kernelI14__hip_bfloat16S0_LN4vllm18Fp8KVCacheDataTypeE0EhLi32ELi128ELi256ELb0ELi4EL8MFMAType0EEvPKT_PKT0_S9_ifPKiSB_SB_iPKfiiiPfSE_PS4_PT2_iSD_SD_,comdat
.Lfunc_end729:
	.size	_Z39paged_attention_ll4mi_QKV_mfma16_kernelI14__hip_bfloat16S0_LN4vllm18Fp8KVCacheDataTypeE0EhLi32ELi128ELi256ELb0ELi4EL8MFMAType0EEvPKT_PKT0_S9_ifPKiSB_SB_iPKfiiiPfSE_PS4_PT2_iSD_SD_, .Lfunc_end729-_Z39paged_attention_ll4mi_QKV_mfma16_kernelI14__hip_bfloat16S0_LN4vllm18Fp8KVCacheDataTypeE0EhLi32ELi128ELi256ELb0ELi4EL8MFMAType0EEvPKT_PKT0_S9_ifPKiSB_SB_iPKfiiiPfSE_PS4_PT2_iSD_SD_
                                        ; -- End function
	.section	.AMDGPU.csdata,"",@progbits
; Kernel info:
; codeLenInByte = 9636
; NumSgprs: 42
; NumVgprs: 157
; ScratchSize: 0
; MemoryBound: 0
; FloatMode: 240
; IeeeMode: 1
; LDSByteSize: 17472 bytes/workgroup (compile time only)
; SGPRBlocks: 5
; VGPRBlocks: 19
; NumSGPRsForWavesPerEU: 42
; NumVGPRsForWavesPerEU: 157
; Occupancy: 9
; WaveLimiterHint : 1
; COMPUTE_PGM_RSRC2:SCRATCH_EN: 0
; COMPUTE_PGM_RSRC2:USER_SGPR: 13
; COMPUTE_PGM_RSRC2:TRAP_HANDLER: 0
; COMPUTE_PGM_RSRC2:TGID_X_EN: 1
; COMPUTE_PGM_RSRC2:TGID_Y_EN: 1
; COMPUTE_PGM_RSRC2:TGID_Z_EN: 1
; COMPUTE_PGM_RSRC2:TIDIG_COMP_CNT: 0
	.section	.text._Z38paged_attention_ll4mi_QKV_mfma4_kernelI14__hip_bfloat16S0_LN4vllm18Fp8KVCacheDataTypeE0ES0_Li32ELi128ELi256ELb1ELi1EEvPKT_PKT0_S8_ifPKiSA_SA_iPKfiiiPfSD_PS3_PT2_iSC_SC_,"axG",@progbits,_Z38paged_attention_ll4mi_QKV_mfma4_kernelI14__hip_bfloat16S0_LN4vllm18Fp8KVCacheDataTypeE0ES0_Li32ELi128ELi256ELb1ELi1EEvPKT_PKT0_S8_ifPKiSA_SA_iPKfiiiPfSD_PS3_PT2_iSC_SC_,comdat
	.protected	_Z38paged_attention_ll4mi_QKV_mfma4_kernelI14__hip_bfloat16S0_LN4vllm18Fp8KVCacheDataTypeE0ES0_Li32ELi128ELi256ELb1ELi1EEvPKT_PKT0_S8_ifPKiSA_SA_iPKfiiiPfSD_PS3_PT2_iSC_SC_ ; -- Begin function _Z38paged_attention_ll4mi_QKV_mfma4_kernelI14__hip_bfloat16S0_LN4vllm18Fp8KVCacheDataTypeE0ES0_Li32ELi128ELi256ELb1ELi1EEvPKT_PKT0_S8_ifPKiSA_SA_iPKfiiiPfSD_PS3_PT2_iSC_SC_
	.globl	_Z38paged_attention_ll4mi_QKV_mfma4_kernelI14__hip_bfloat16S0_LN4vllm18Fp8KVCacheDataTypeE0ES0_Li32ELi128ELi256ELb1ELi1EEvPKT_PKT0_S8_ifPKiSA_SA_iPKfiiiPfSD_PS3_PT2_iSC_SC_
	.p2align	8
	.type	_Z38paged_attention_ll4mi_QKV_mfma4_kernelI14__hip_bfloat16S0_LN4vllm18Fp8KVCacheDataTypeE0ES0_Li32ELi128ELi256ELb1ELi1EEvPKT_PKT0_S8_ifPKiSA_SA_iPKfiiiPfSD_PS3_PT2_iSC_SC_,@function
_Z38paged_attention_ll4mi_QKV_mfma4_kernelI14__hip_bfloat16S0_LN4vllm18Fp8KVCacheDataTypeE0ES0_Li32ELi128ELi256ELb1ELi1EEvPKT_PKT0_S8_ifPKiSA_SA_iPKfiiiPfSD_PS3_PT2_iSC_SC_: ; @_Z38paged_attention_ll4mi_QKV_mfma4_kernelI14__hip_bfloat16S0_LN4vllm18Fp8KVCacheDataTypeE0ES0_Li32ELi128ELi256ELb1ELi1EEvPKT_PKT0_S8_ifPKiSA_SA_iPKfiiiPfSD_PS3_PT2_iSC_SC_
; %bb.0:
	s_add_u32 s8, s0, 0x90
	s_addc_u32 s9, s1, 0
	s_getpc_b64 s[0:1]
	s_add_u32 s0, s0, __PRETTY_FUNCTION__._Z38paged_attention_ll4mi_QKV_mfma4_kernelI14__hip_bfloat16S0_LN4vllm18Fp8KVCacheDataTypeE0ES0_Li32ELi128ELi256ELb1ELi1EEvPKT_PKT0_S8_ifPKiSA_SA_iPKfiiiPfSD_PS3_PT2_iSC_SC_@rel32@lo+4
	s_addc_u32 s1, s1, __PRETTY_FUNCTION__._Z38paged_attention_ll4mi_QKV_mfma4_kernelI14__hip_bfloat16S0_LN4vllm18Fp8KVCacheDataTypeE0ES0_Li32ELi128ELi256ELb1ELi1EEvPKT_PKT0_S8_ifPKiSA_SA_iPKfiiiPfSD_PS3_PT2_iSC_SC_@rel32@hi+12
	s_delay_alu instid0(SALU_CYCLE_1) | instskip(SKIP_4) | instid1(SALU_CYCLE_1)
	v_dual_mov_b32 v0, s0 :: v_dual_mov_b32 v1, s1
	s_mov_b32 s32, 0
	s_getpc_b64 s[2:3]
	s_add_u32 s2, s2, __assert_fail@rel32@lo+4
	s_addc_u32 s3, s3, __assert_fail@rel32@hi+12
	s_swappc_b64 s[30:31], s[2:3]
	.section	.rodata,"a",@progbits
	.p2align	6, 0x0
	.amdhsa_kernel _Z38paged_attention_ll4mi_QKV_mfma4_kernelI14__hip_bfloat16S0_LN4vllm18Fp8KVCacheDataTypeE0ES0_Li32ELi128ELi256ELb1ELi1EEvPKT_PKT0_S8_ifPKiSA_SA_iPKfiiiPfSD_PS3_PT2_iSC_SC_
		.amdhsa_group_segment_fixed_size 0
		.amdhsa_private_segment_fixed_size 64
		.amdhsa_kernarg_size 400
		.amdhsa_user_sgpr_count 15
		.amdhsa_user_sgpr_dispatch_ptr 0
		.amdhsa_user_sgpr_queue_ptr 0
		.amdhsa_user_sgpr_kernarg_segment_ptr 1
		.amdhsa_user_sgpr_dispatch_id 0
		.amdhsa_user_sgpr_private_segment_size 0
		.amdhsa_wavefront_size32 1
		.amdhsa_uses_dynamic_stack 0
		.amdhsa_enable_private_segment 1
		.amdhsa_system_sgpr_workgroup_id_x 1
		.amdhsa_system_sgpr_workgroup_id_y 0
		.amdhsa_system_sgpr_workgroup_id_z 0
		.amdhsa_system_sgpr_workgroup_info 0
		.amdhsa_system_vgpr_workitem_id 0
		.amdhsa_next_free_vgpr 41
		.amdhsa_next_free_sgpr 34
		.amdhsa_reserve_vcc 1
		.amdhsa_float_round_mode_32 0
		.amdhsa_float_round_mode_16_64 0
		.amdhsa_float_denorm_mode_32 3
		.amdhsa_float_denorm_mode_16_64 3
		.amdhsa_dx10_clamp 1
		.amdhsa_ieee_mode 1
		.amdhsa_fp16_overflow 0
		.amdhsa_workgroup_processor_mode 1
		.amdhsa_memory_ordered 1
		.amdhsa_forward_progress 0
		.amdhsa_shared_vgpr_count 0
		.amdhsa_exception_fp_ieee_invalid_op 0
		.amdhsa_exception_fp_denorm_src 0
		.amdhsa_exception_fp_ieee_div_zero 0
		.amdhsa_exception_fp_ieee_overflow 0
		.amdhsa_exception_fp_ieee_underflow 0
		.amdhsa_exception_fp_ieee_inexact 0
		.amdhsa_exception_int_div_zero 0
	.end_amdhsa_kernel
	.section	.text._Z38paged_attention_ll4mi_QKV_mfma4_kernelI14__hip_bfloat16S0_LN4vllm18Fp8KVCacheDataTypeE0ES0_Li32ELi128ELi256ELb1ELi1EEvPKT_PKT0_S8_ifPKiSA_SA_iPKfiiiPfSD_PS3_PT2_iSC_SC_,"axG",@progbits,_Z38paged_attention_ll4mi_QKV_mfma4_kernelI14__hip_bfloat16S0_LN4vllm18Fp8KVCacheDataTypeE0ES0_Li32ELi128ELi256ELb1ELi1EEvPKT_PKT0_S8_ifPKiSA_SA_iPKfiiiPfSD_PS3_PT2_iSC_SC_,comdat
.Lfunc_end730:
	.size	_Z38paged_attention_ll4mi_QKV_mfma4_kernelI14__hip_bfloat16S0_LN4vllm18Fp8KVCacheDataTypeE0ES0_Li32ELi128ELi256ELb1ELi1EEvPKT_PKT0_S8_ifPKiSA_SA_iPKfiiiPfSD_PS3_PT2_iSC_SC_, .Lfunc_end730-_Z38paged_attention_ll4mi_QKV_mfma4_kernelI14__hip_bfloat16S0_LN4vllm18Fp8KVCacheDataTypeE0ES0_Li32ELi128ELi256ELb1ELi1EEvPKT_PKT0_S8_ifPKiSA_SA_iPKfiiiPfSD_PS3_PT2_iSC_SC_
                                        ; -- End function
	.section	.AMDGPU.csdata,"",@progbits
; Kernel info:
; codeLenInByte = 72
; NumSgprs: 36
; NumVgprs: 41
; ScratchSize: 64
; MemoryBound: 0
; FloatMode: 240
; IeeeMode: 1
; LDSByteSize: 0 bytes/workgroup (compile time only)
; SGPRBlocks: 4
; VGPRBlocks: 5
; NumSGPRsForWavesPerEU: 36
; NumVGPRsForWavesPerEU: 41
; Occupancy: 16
; WaveLimiterHint : 1
; COMPUTE_PGM_RSRC2:SCRATCH_EN: 1
; COMPUTE_PGM_RSRC2:USER_SGPR: 15
; COMPUTE_PGM_RSRC2:TRAP_HANDLER: 0
; COMPUTE_PGM_RSRC2:TGID_X_EN: 1
; COMPUTE_PGM_RSRC2:TGID_Y_EN: 0
; COMPUTE_PGM_RSRC2:TGID_Z_EN: 0
; COMPUTE_PGM_RSRC2:TIDIG_COMP_CNT: 0
	.section	.text._Z38paged_attention_ll4mi_QKV_mfma4_kernelI14__hip_bfloat16S0_LN4vllm18Fp8KVCacheDataTypeE0ES0_Li32ELi128ELi256ELb1ELi2EEvPKT_PKT0_S8_ifPKiSA_SA_iPKfiiiPfSD_PS3_PT2_iSC_SC_,"axG",@progbits,_Z38paged_attention_ll4mi_QKV_mfma4_kernelI14__hip_bfloat16S0_LN4vllm18Fp8KVCacheDataTypeE0ES0_Li32ELi128ELi256ELb1ELi2EEvPKT_PKT0_S8_ifPKiSA_SA_iPKfiiiPfSD_PS3_PT2_iSC_SC_,comdat
	.protected	_Z38paged_attention_ll4mi_QKV_mfma4_kernelI14__hip_bfloat16S0_LN4vllm18Fp8KVCacheDataTypeE0ES0_Li32ELi128ELi256ELb1ELi2EEvPKT_PKT0_S8_ifPKiSA_SA_iPKfiiiPfSD_PS3_PT2_iSC_SC_ ; -- Begin function _Z38paged_attention_ll4mi_QKV_mfma4_kernelI14__hip_bfloat16S0_LN4vllm18Fp8KVCacheDataTypeE0ES0_Li32ELi128ELi256ELb1ELi2EEvPKT_PKT0_S8_ifPKiSA_SA_iPKfiiiPfSD_PS3_PT2_iSC_SC_
	.globl	_Z38paged_attention_ll4mi_QKV_mfma4_kernelI14__hip_bfloat16S0_LN4vllm18Fp8KVCacheDataTypeE0ES0_Li32ELi128ELi256ELb1ELi2EEvPKT_PKT0_S8_ifPKiSA_SA_iPKfiiiPfSD_PS3_PT2_iSC_SC_
	.p2align	8
	.type	_Z38paged_attention_ll4mi_QKV_mfma4_kernelI14__hip_bfloat16S0_LN4vllm18Fp8KVCacheDataTypeE0ES0_Li32ELi128ELi256ELb1ELi2EEvPKT_PKT0_S8_ifPKiSA_SA_iPKfiiiPfSD_PS3_PT2_iSC_SC_,@function
_Z38paged_attention_ll4mi_QKV_mfma4_kernelI14__hip_bfloat16S0_LN4vllm18Fp8KVCacheDataTypeE0ES0_Li32ELi128ELi256ELb1ELi2EEvPKT_PKT0_S8_ifPKiSA_SA_iPKfiiiPfSD_PS3_PT2_iSC_SC_: ; @_Z38paged_attention_ll4mi_QKV_mfma4_kernelI14__hip_bfloat16S0_LN4vllm18Fp8KVCacheDataTypeE0ES0_Li32ELi128ELi256ELb1ELi2EEvPKT_PKT0_S8_ifPKiSA_SA_iPKfiiiPfSD_PS3_PT2_iSC_SC_
; %bb.0:
	s_add_u32 s8, s0, 0x90
	s_addc_u32 s9, s1, 0
	s_getpc_b64 s[0:1]
	s_add_u32 s0, s0, __PRETTY_FUNCTION__._Z38paged_attention_ll4mi_QKV_mfma4_kernelI14__hip_bfloat16S0_LN4vllm18Fp8KVCacheDataTypeE0ES0_Li32ELi128ELi256ELb1ELi2EEvPKT_PKT0_S8_ifPKiSA_SA_iPKfiiiPfSD_PS3_PT2_iSC_SC_@rel32@lo+4
	s_addc_u32 s1, s1, __PRETTY_FUNCTION__._Z38paged_attention_ll4mi_QKV_mfma4_kernelI14__hip_bfloat16S0_LN4vllm18Fp8KVCacheDataTypeE0ES0_Li32ELi128ELi256ELb1ELi2EEvPKT_PKT0_S8_ifPKiSA_SA_iPKfiiiPfSD_PS3_PT2_iSC_SC_@rel32@hi+12
	s_delay_alu instid0(SALU_CYCLE_1) | instskip(SKIP_4) | instid1(SALU_CYCLE_1)
	v_dual_mov_b32 v0, s0 :: v_dual_mov_b32 v1, s1
	s_mov_b32 s32, 0
	s_getpc_b64 s[2:3]
	s_add_u32 s2, s2, __assert_fail@rel32@lo+4
	s_addc_u32 s3, s3, __assert_fail@rel32@hi+12
	s_swappc_b64 s[30:31], s[2:3]
	.section	.rodata,"a",@progbits
	.p2align	6, 0x0
	.amdhsa_kernel _Z38paged_attention_ll4mi_QKV_mfma4_kernelI14__hip_bfloat16S0_LN4vllm18Fp8KVCacheDataTypeE0ES0_Li32ELi128ELi256ELb1ELi2EEvPKT_PKT0_S8_ifPKiSA_SA_iPKfiiiPfSD_PS3_PT2_iSC_SC_
		.amdhsa_group_segment_fixed_size 0
		.amdhsa_private_segment_fixed_size 64
		.amdhsa_kernarg_size 400
		.amdhsa_user_sgpr_count 15
		.amdhsa_user_sgpr_dispatch_ptr 0
		.amdhsa_user_sgpr_queue_ptr 0
		.amdhsa_user_sgpr_kernarg_segment_ptr 1
		.amdhsa_user_sgpr_dispatch_id 0
		.amdhsa_user_sgpr_private_segment_size 0
		.amdhsa_wavefront_size32 1
		.amdhsa_uses_dynamic_stack 0
		.amdhsa_enable_private_segment 1
		.amdhsa_system_sgpr_workgroup_id_x 1
		.amdhsa_system_sgpr_workgroup_id_y 0
		.amdhsa_system_sgpr_workgroup_id_z 0
		.amdhsa_system_sgpr_workgroup_info 0
		.amdhsa_system_vgpr_workitem_id 0
		.amdhsa_next_free_vgpr 41
		.amdhsa_next_free_sgpr 34
		.amdhsa_reserve_vcc 1
		.amdhsa_float_round_mode_32 0
		.amdhsa_float_round_mode_16_64 0
		.amdhsa_float_denorm_mode_32 3
		.amdhsa_float_denorm_mode_16_64 3
		.amdhsa_dx10_clamp 1
		.amdhsa_ieee_mode 1
		.amdhsa_fp16_overflow 0
		.amdhsa_workgroup_processor_mode 1
		.amdhsa_memory_ordered 1
		.amdhsa_forward_progress 0
		.amdhsa_shared_vgpr_count 0
		.amdhsa_exception_fp_ieee_invalid_op 0
		.amdhsa_exception_fp_denorm_src 0
		.amdhsa_exception_fp_ieee_div_zero 0
		.amdhsa_exception_fp_ieee_overflow 0
		.amdhsa_exception_fp_ieee_underflow 0
		.amdhsa_exception_fp_ieee_inexact 0
		.amdhsa_exception_int_div_zero 0
	.end_amdhsa_kernel
	.section	.text._Z38paged_attention_ll4mi_QKV_mfma4_kernelI14__hip_bfloat16S0_LN4vllm18Fp8KVCacheDataTypeE0ES0_Li32ELi128ELi256ELb1ELi2EEvPKT_PKT0_S8_ifPKiSA_SA_iPKfiiiPfSD_PS3_PT2_iSC_SC_,"axG",@progbits,_Z38paged_attention_ll4mi_QKV_mfma4_kernelI14__hip_bfloat16S0_LN4vllm18Fp8KVCacheDataTypeE0ES0_Li32ELi128ELi256ELb1ELi2EEvPKT_PKT0_S8_ifPKiSA_SA_iPKfiiiPfSD_PS3_PT2_iSC_SC_,comdat
.Lfunc_end731:
	.size	_Z38paged_attention_ll4mi_QKV_mfma4_kernelI14__hip_bfloat16S0_LN4vllm18Fp8KVCacheDataTypeE0ES0_Li32ELi128ELi256ELb1ELi2EEvPKT_PKT0_S8_ifPKiSA_SA_iPKfiiiPfSD_PS3_PT2_iSC_SC_, .Lfunc_end731-_Z38paged_attention_ll4mi_QKV_mfma4_kernelI14__hip_bfloat16S0_LN4vllm18Fp8KVCacheDataTypeE0ES0_Li32ELi128ELi256ELb1ELi2EEvPKT_PKT0_S8_ifPKiSA_SA_iPKfiiiPfSD_PS3_PT2_iSC_SC_
                                        ; -- End function
	.section	.AMDGPU.csdata,"",@progbits
; Kernel info:
; codeLenInByte = 72
; NumSgprs: 36
; NumVgprs: 41
; ScratchSize: 64
; MemoryBound: 0
; FloatMode: 240
; IeeeMode: 1
; LDSByteSize: 0 bytes/workgroup (compile time only)
; SGPRBlocks: 4
; VGPRBlocks: 5
; NumSGPRsForWavesPerEU: 36
; NumVGPRsForWavesPerEU: 41
; Occupancy: 16
; WaveLimiterHint : 1
; COMPUTE_PGM_RSRC2:SCRATCH_EN: 1
; COMPUTE_PGM_RSRC2:USER_SGPR: 15
; COMPUTE_PGM_RSRC2:TRAP_HANDLER: 0
; COMPUTE_PGM_RSRC2:TGID_X_EN: 1
; COMPUTE_PGM_RSRC2:TGID_Y_EN: 0
; COMPUTE_PGM_RSRC2:TGID_Z_EN: 0
; COMPUTE_PGM_RSRC2:TIDIG_COMP_CNT: 0
	.section	.text._Z38paged_attention_ll4mi_QKV_mfma4_kernelI14__hip_bfloat16S0_LN4vllm18Fp8KVCacheDataTypeE0ES0_Li32ELi128ELi256ELb1ELi3EEvPKT_PKT0_S8_ifPKiSA_SA_iPKfiiiPfSD_PS3_PT2_iSC_SC_,"axG",@progbits,_Z38paged_attention_ll4mi_QKV_mfma4_kernelI14__hip_bfloat16S0_LN4vllm18Fp8KVCacheDataTypeE0ES0_Li32ELi128ELi256ELb1ELi3EEvPKT_PKT0_S8_ifPKiSA_SA_iPKfiiiPfSD_PS3_PT2_iSC_SC_,comdat
	.protected	_Z38paged_attention_ll4mi_QKV_mfma4_kernelI14__hip_bfloat16S0_LN4vllm18Fp8KVCacheDataTypeE0ES0_Li32ELi128ELi256ELb1ELi3EEvPKT_PKT0_S8_ifPKiSA_SA_iPKfiiiPfSD_PS3_PT2_iSC_SC_ ; -- Begin function _Z38paged_attention_ll4mi_QKV_mfma4_kernelI14__hip_bfloat16S0_LN4vllm18Fp8KVCacheDataTypeE0ES0_Li32ELi128ELi256ELb1ELi3EEvPKT_PKT0_S8_ifPKiSA_SA_iPKfiiiPfSD_PS3_PT2_iSC_SC_
	.globl	_Z38paged_attention_ll4mi_QKV_mfma4_kernelI14__hip_bfloat16S0_LN4vllm18Fp8KVCacheDataTypeE0ES0_Li32ELi128ELi256ELb1ELi3EEvPKT_PKT0_S8_ifPKiSA_SA_iPKfiiiPfSD_PS3_PT2_iSC_SC_
	.p2align	8
	.type	_Z38paged_attention_ll4mi_QKV_mfma4_kernelI14__hip_bfloat16S0_LN4vllm18Fp8KVCacheDataTypeE0ES0_Li32ELi128ELi256ELb1ELi3EEvPKT_PKT0_S8_ifPKiSA_SA_iPKfiiiPfSD_PS3_PT2_iSC_SC_,@function
_Z38paged_attention_ll4mi_QKV_mfma4_kernelI14__hip_bfloat16S0_LN4vllm18Fp8KVCacheDataTypeE0ES0_Li32ELi128ELi256ELb1ELi3EEvPKT_PKT0_S8_ifPKiSA_SA_iPKfiiiPfSD_PS3_PT2_iSC_SC_: ; @_Z38paged_attention_ll4mi_QKV_mfma4_kernelI14__hip_bfloat16S0_LN4vllm18Fp8KVCacheDataTypeE0ES0_Li32ELi128ELi256ELb1ELi3EEvPKT_PKT0_S8_ifPKiSA_SA_iPKfiiiPfSD_PS3_PT2_iSC_SC_
; %bb.0:
	s_add_u32 s8, s0, 0x90
	s_addc_u32 s9, s1, 0
	s_getpc_b64 s[0:1]
	s_add_u32 s0, s0, __PRETTY_FUNCTION__._Z38paged_attention_ll4mi_QKV_mfma4_kernelI14__hip_bfloat16S0_LN4vllm18Fp8KVCacheDataTypeE0ES0_Li32ELi128ELi256ELb1ELi3EEvPKT_PKT0_S8_ifPKiSA_SA_iPKfiiiPfSD_PS3_PT2_iSC_SC_@rel32@lo+4
	s_addc_u32 s1, s1, __PRETTY_FUNCTION__._Z38paged_attention_ll4mi_QKV_mfma4_kernelI14__hip_bfloat16S0_LN4vllm18Fp8KVCacheDataTypeE0ES0_Li32ELi128ELi256ELb1ELi3EEvPKT_PKT0_S8_ifPKiSA_SA_iPKfiiiPfSD_PS3_PT2_iSC_SC_@rel32@hi+12
	s_delay_alu instid0(SALU_CYCLE_1) | instskip(SKIP_4) | instid1(SALU_CYCLE_1)
	v_dual_mov_b32 v0, s0 :: v_dual_mov_b32 v1, s1
	s_mov_b32 s32, 0
	s_getpc_b64 s[2:3]
	s_add_u32 s2, s2, __assert_fail@rel32@lo+4
	s_addc_u32 s3, s3, __assert_fail@rel32@hi+12
	s_swappc_b64 s[30:31], s[2:3]
	.section	.rodata,"a",@progbits
	.p2align	6, 0x0
	.amdhsa_kernel _Z38paged_attention_ll4mi_QKV_mfma4_kernelI14__hip_bfloat16S0_LN4vllm18Fp8KVCacheDataTypeE0ES0_Li32ELi128ELi256ELb1ELi3EEvPKT_PKT0_S8_ifPKiSA_SA_iPKfiiiPfSD_PS3_PT2_iSC_SC_
		.amdhsa_group_segment_fixed_size 0
		.amdhsa_private_segment_fixed_size 64
		.amdhsa_kernarg_size 400
		.amdhsa_user_sgpr_count 15
		.amdhsa_user_sgpr_dispatch_ptr 0
		.amdhsa_user_sgpr_queue_ptr 0
		.amdhsa_user_sgpr_kernarg_segment_ptr 1
		.amdhsa_user_sgpr_dispatch_id 0
		.amdhsa_user_sgpr_private_segment_size 0
		.amdhsa_wavefront_size32 1
		.amdhsa_uses_dynamic_stack 0
		.amdhsa_enable_private_segment 1
		.amdhsa_system_sgpr_workgroup_id_x 1
		.amdhsa_system_sgpr_workgroup_id_y 0
		.amdhsa_system_sgpr_workgroup_id_z 0
		.amdhsa_system_sgpr_workgroup_info 0
		.amdhsa_system_vgpr_workitem_id 0
		.amdhsa_next_free_vgpr 41
		.amdhsa_next_free_sgpr 34
		.amdhsa_reserve_vcc 1
		.amdhsa_float_round_mode_32 0
		.amdhsa_float_round_mode_16_64 0
		.amdhsa_float_denorm_mode_32 3
		.amdhsa_float_denorm_mode_16_64 3
		.amdhsa_dx10_clamp 1
		.amdhsa_ieee_mode 1
		.amdhsa_fp16_overflow 0
		.amdhsa_workgroup_processor_mode 1
		.amdhsa_memory_ordered 1
		.amdhsa_forward_progress 0
		.amdhsa_shared_vgpr_count 0
		.amdhsa_exception_fp_ieee_invalid_op 0
		.amdhsa_exception_fp_denorm_src 0
		.amdhsa_exception_fp_ieee_div_zero 0
		.amdhsa_exception_fp_ieee_overflow 0
		.amdhsa_exception_fp_ieee_underflow 0
		.amdhsa_exception_fp_ieee_inexact 0
		.amdhsa_exception_int_div_zero 0
	.end_amdhsa_kernel
	.section	.text._Z38paged_attention_ll4mi_QKV_mfma4_kernelI14__hip_bfloat16S0_LN4vllm18Fp8KVCacheDataTypeE0ES0_Li32ELi128ELi256ELb1ELi3EEvPKT_PKT0_S8_ifPKiSA_SA_iPKfiiiPfSD_PS3_PT2_iSC_SC_,"axG",@progbits,_Z38paged_attention_ll4mi_QKV_mfma4_kernelI14__hip_bfloat16S0_LN4vllm18Fp8KVCacheDataTypeE0ES0_Li32ELi128ELi256ELb1ELi3EEvPKT_PKT0_S8_ifPKiSA_SA_iPKfiiiPfSD_PS3_PT2_iSC_SC_,comdat
.Lfunc_end732:
	.size	_Z38paged_attention_ll4mi_QKV_mfma4_kernelI14__hip_bfloat16S0_LN4vllm18Fp8KVCacheDataTypeE0ES0_Li32ELi128ELi256ELb1ELi3EEvPKT_PKT0_S8_ifPKiSA_SA_iPKfiiiPfSD_PS3_PT2_iSC_SC_, .Lfunc_end732-_Z38paged_attention_ll4mi_QKV_mfma4_kernelI14__hip_bfloat16S0_LN4vllm18Fp8KVCacheDataTypeE0ES0_Li32ELi128ELi256ELb1ELi3EEvPKT_PKT0_S8_ifPKiSA_SA_iPKfiiiPfSD_PS3_PT2_iSC_SC_
                                        ; -- End function
	.section	.AMDGPU.csdata,"",@progbits
; Kernel info:
; codeLenInByte = 72
; NumSgprs: 36
; NumVgprs: 41
; ScratchSize: 64
; MemoryBound: 0
; FloatMode: 240
; IeeeMode: 1
; LDSByteSize: 0 bytes/workgroup (compile time only)
; SGPRBlocks: 4
; VGPRBlocks: 5
; NumSGPRsForWavesPerEU: 36
; NumVGPRsForWavesPerEU: 41
; Occupancy: 16
; WaveLimiterHint : 1
; COMPUTE_PGM_RSRC2:SCRATCH_EN: 1
; COMPUTE_PGM_RSRC2:USER_SGPR: 15
; COMPUTE_PGM_RSRC2:TRAP_HANDLER: 0
; COMPUTE_PGM_RSRC2:TGID_X_EN: 1
; COMPUTE_PGM_RSRC2:TGID_Y_EN: 0
; COMPUTE_PGM_RSRC2:TGID_Z_EN: 0
; COMPUTE_PGM_RSRC2:TIDIG_COMP_CNT: 0
	.section	.text._Z38paged_attention_ll4mi_QKV_mfma4_kernelI14__hip_bfloat16S0_LN4vllm18Fp8KVCacheDataTypeE0ES0_Li32ELi128ELi256ELb1ELi4EEvPKT_PKT0_S8_ifPKiSA_SA_iPKfiiiPfSD_PS3_PT2_iSC_SC_,"axG",@progbits,_Z38paged_attention_ll4mi_QKV_mfma4_kernelI14__hip_bfloat16S0_LN4vllm18Fp8KVCacheDataTypeE0ES0_Li32ELi128ELi256ELb1ELi4EEvPKT_PKT0_S8_ifPKiSA_SA_iPKfiiiPfSD_PS3_PT2_iSC_SC_,comdat
	.protected	_Z38paged_attention_ll4mi_QKV_mfma4_kernelI14__hip_bfloat16S0_LN4vllm18Fp8KVCacheDataTypeE0ES0_Li32ELi128ELi256ELb1ELi4EEvPKT_PKT0_S8_ifPKiSA_SA_iPKfiiiPfSD_PS3_PT2_iSC_SC_ ; -- Begin function _Z38paged_attention_ll4mi_QKV_mfma4_kernelI14__hip_bfloat16S0_LN4vllm18Fp8KVCacheDataTypeE0ES0_Li32ELi128ELi256ELb1ELi4EEvPKT_PKT0_S8_ifPKiSA_SA_iPKfiiiPfSD_PS3_PT2_iSC_SC_
	.globl	_Z38paged_attention_ll4mi_QKV_mfma4_kernelI14__hip_bfloat16S0_LN4vllm18Fp8KVCacheDataTypeE0ES0_Li32ELi128ELi256ELb1ELi4EEvPKT_PKT0_S8_ifPKiSA_SA_iPKfiiiPfSD_PS3_PT2_iSC_SC_
	.p2align	8
	.type	_Z38paged_attention_ll4mi_QKV_mfma4_kernelI14__hip_bfloat16S0_LN4vllm18Fp8KVCacheDataTypeE0ES0_Li32ELi128ELi256ELb1ELi4EEvPKT_PKT0_S8_ifPKiSA_SA_iPKfiiiPfSD_PS3_PT2_iSC_SC_,@function
_Z38paged_attention_ll4mi_QKV_mfma4_kernelI14__hip_bfloat16S0_LN4vllm18Fp8KVCacheDataTypeE0ES0_Li32ELi128ELi256ELb1ELi4EEvPKT_PKT0_S8_ifPKiSA_SA_iPKfiiiPfSD_PS3_PT2_iSC_SC_: ; @_Z38paged_attention_ll4mi_QKV_mfma4_kernelI14__hip_bfloat16S0_LN4vllm18Fp8KVCacheDataTypeE0ES0_Li32ELi128ELi256ELb1ELi4EEvPKT_PKT0_S8_ifPKiSA_SA_iPKfiiiPfSD_PS3_PT2_iSC_SC_
; %bb.0:
	s_add_u32 s8, s0, 0x90
	s_addc_u32 s9, s1, 0
	s_getpc_b64 s[0:1]
	s_add_u32 s0, s0, __PRETTY_FUNCTION__._Z38paged_attention_ll4mi_QKV_mfma4_kernelI14__hip_bfloat16S0_LN4vllm18Fp8KVCacheDataTypeE0ES0_Li32ELi128ELi256ELb1ELi4EEvPKT_PKT0_S8_ifPKiSA_SA_iPKfiiiPfSD_PS3_PT2_iSC_SC_@rel32@lo+4
	s_addc_u32 s1, s1, __PRETTY_FUNCTION__._Z38paged_attention_ll4mi_QKV_mfma4_kernelI14__hip_bfloat16S0_LN4vllm18Fp8KVCacheDataTypeE0ES0_Li32ELi128ELi256ELb1ELi4EEvPKT_PKT0_S8_ifPKiSA_SA_iPKfiiiPfSD_PS3_PT2_iSC_SC_@rel32@hi+12
	s_delay_alu instid0(SALU_CYCLE_1) | instskip(SKIP_4) | instid1(SALU_CYCLE_1)
	v_dual_mov_b32 v0, s0 :: v_dual_mov_b32 v1, s1
	s_mov_b32 s32, 0
	s_getpc_b64 s[2:3]
	s_add_u32 s2, s2, __assert_fail@rel32@lo+4
	s_addc_u32 s3, s3, __assert_fail@rel32@hi+12
	s_swappc_b64 s[30:31], s[2:3]
	.section	.rodata,"a",@progbits
	.p2align	6, 0x0
	.amdhsa_kernel _Z38paged_attention_ll4mi_QKV_mfma4_kernelI14__hip_bfloat16S0_LN4vllm18Fp8KVCacheDataTypeE0ES0_Li32ELi128ELi256ELb1ELi4EEvPKT_PKT0_S8_ifPKiSA_SA_iPKfiiiPfSD_PS3_PT2_iSC_SC_
		.amdhsa_group_segment_fixed_size 0
		.amdhsa_private_segment_fixed_size 64
		.amdhsa_kernarg_size 400
		.amdhsa_user_sgpr_count 15
		.amdhsa_user_sgpr_dispatch_ptr 0
		.amdhsa_user_sgpr_queue_ptr 0
		.amdhsa_user_sgpr_kernarg_segment_ptr 1
		.amdhsa_user_sgpr_dispatch_id 0
		.amdhsa_user_sgpr_private_segment_size 0
		.amdhsa_wavefront_size32 1
		.amdhsa_uses_dynamic_stack 0
		.amdhsa_enable_private_segment 1
		.amdhsa_system_sgpr_workgroup_id_x 1
		.amdhsa_system_sgpr_workgroup_id_y 0
		.amdhsa_system_sgpr_workgroup_id_z 0
		.amdhsa_system_sgpr_workgroup_info 0
		.amdhsa_system_vgpr_workitem_id 0
		.amdhsa_next_free_vgpr 41
		.amdhsa_next_free_sgpr 34
		.amdhsa_reserve_vcc 1
		.amdhsa_float_round_mode_32 0
		.amdhsa_float_round_mode_16_64 0
		.amdhsa_float_denorm_mode_32 3
		.amdhsa_float_denorm_mode_16_64 3
		.amdhsa_dx10_clamp 1
		.amdhsa_ieee_mode 1
		.amdhsa_fp16_overflow 0
		.amdhsa_workgroup_processor_mode 1
		.amdhsa_memory_ordered 1
		.amdhsa_forward_progress 0
		.amdhsa_shared_vgpr_count 0
		.amdhsa_exception_fp_ieee_invalid_op 0
		.amdhsa_exception_fp_denorm_src 0
		.amdhsa_exception_fp_ieee_div_zero 0
		.amdhsa_exception_fp_ieee_overflow 0
		.amdhsa_exception_fp_ieee_underflow 0
		.amdhsa_exception_fp_ieee_inexact 0
		.amdhsa_exception_int_div_zero 0
	.end_amdhsa_kernel
	.section	.text._Z38paged_attention_ll4mi_QKV_mfma4_kernelI14__hip_bfloat16S0_LN4vllm18Fp8KVCacheDataTypeE0ES0_Li32ELi128ELi256ELb1ELi4EEvPKT_PKT0_S8_ifPKiSA_SA_iPKfiiiPfSD_PS3_PT2_iSC_SC_,"axG",@progbits,_Z38paged_attention_ll4mi_QKV_mfma4_kernelI14__hip_bfloat16S0_LN4vllm18Fp8KVCacheDataTypeE0ES0_Li32ELi128ELi256ELb1ELi4EEvPKT_PKT0_S8_ifPKiSA_SA_iPKfiiiPfSD_PS3_PT2_iSC_SC_,comdat
.Lfunc_end733:
	.size	_Z38paged_attention_ll4mi_QKV_mfma4_kernelI14__hip_bfloat16S0_LN4vllm18Fp8KVCacheDataTypeE0ES0_Li32ELi128ELi256ELb1ELi4EEvPKT_PKT0_S8_ifPKiSA_SA_iPKfiiiPfSD_PS3_PT2_iSC_SC_, .Lfunc_end733-_Z38paged_attention_ll4mi_QKV_mfma4_kernelI14__hip_bfloat16S0_LN4vllm18Fp8KVCacheDataTypeE0ES0_Li32ELi128ELi256ELb1ELi4EEvPKT_PKT0_S8_ifPKiSA_SA_iPKfiiiPfSD_PS3_PT2_iSC_SC_
                                        ; -- End function
	.section	.AMDGPU.csdata,"",@progbits
; Kernel info:
; codeLenInByte = 72
; NumSgprs: 36
; NumVgprs: 41
; ScratchSize: 64
; MemoryBound: 0
; FloatMode: 240
; IeeeMode: 1
; LDSByteSize: 0 bytes/workgroup (compile time only)
; SGPRBlocks: 4
; VGPRBlocks: 5
; NumSGPRsForWavesPerEU: 36
; NumVGPRsForWavesPerEU: 41
; Occupancy: 16
; WaveLimiterHint : 1
; COMPUTE_PGM_RSRC2:SCRATCH_EN: 1
; COMPUTE_PGM_RSRC2:USER_SGPR: 15
; COMPUTE_PGM_RSRC2:TRAP_HANDLER: 0
; COMPUTE_PGM_RSRC2:TGID_X_EN: 1
; COMPUTE_PGM_RSRC2:TGID_Y_EN: 0
; COMPUTE_PGM_RSRC2:TGID_Z_EN: 0
; COMPUTE_PGM_RSRC2:TIDIG_COMP_CNT: 0
	.section	.text._Z39paged_attention_ll4mi_QKV_mfma16_kernelI14__hip_bfloat16S0_LN4vllm18Fp8KVCacheDataTypeE0ES0_Li32ELi128ELi256ELb1ELi5EL8MFMAType0EEvPKT_PKT0_S9_ifPKiSB_SB_iPKfiiiPfSE_PS4_PT2_iSD_SD_,"axG",@progbits,_Z39paged_attention_ll4mi_QKV_mfma16_kernelI14__hip_bfloat16S0_LN4vllm18Fp8KVCacheDataTypeE0ES0_Li32ELi128ELi256ELb1ELi5EL8MFMAType0EEvPKT_PKT0_S9_ifPKiSB_SB_iPKfiiiPfSE_PS4_PT2_iSD_SD_,comdat
	.protected	_Z39paged_attention_ll4mi_QKV_mfma16_kernelI14__hip_bfloat16S0_LN4vllm18Fp8KVCacheDataTypeE0ES0_Li32ELi128ELi256ELb1ELi5EL8MFMAType0EEvPKT_PKT0_S9_ifPKiSB_SB_iPKfiiiPfSE_PS4_PT2_iSD_SD_ ; -- Begin function _Z39paged_attention_ll4mi_QKV_mfma16_kernelI14__hip_bfloat16S0_LN4vllm18Fp8KVCacheDataTypeE0ES0_Li32ELi128ELi256ELb1ELi5EL8MFMAType0EEvPKT_PKT0_S9_ifPKiSB_SB_iPKfiiiPfSE_PS4_PT2_iSD_SD_
	.globl	_Z39paged_attention_ll4mi_QKV_mfma16_kernelI14__hip_bfloat16S0_LN4vllm18Fp8KVCacheDataTypeE0ES0_Li32ELi128ELi256ELb1ELi5EL8MFMAType0EEvPKT_PKT0_S9_ifPKiSB_SB_iPKfiiiPfSE_PS4_PT2_iSD_SD_
	.p2align	8
	.type	_Z39paged_attention_ll4mi_QKV_mfma16_kernelI14__hip_bfloat16S0_LN4vllm18Fp8KVCacheDataTypeE0ES0_Li32ELi128ELi256ELb1ELi5EL8MFMAType0EEvPKT_PKT0_S9_ifPKiSB_SB_iPKfiiiPfSE_PS4_PT2_iSD_SD_,@function
_Z39paged_attention_ll4mi_QKV_mfma16_kernelI14__hip_bfloat16S0_LN4vllm18Fp8KVCacheDataTypeE0ES0_Li32ELi128ELi256ELb1ELi5EL8MFMAType0EEvPKT_PKT0_S9_ifPKiSB_SB_iPKfiiiPfSE_PS4_PT2_iSD_SD_: ; @_Z39paged_attention_ll4mi_QKV_mfma16_kernelI14__hip_bfloat16S0_LN4vllm18Fp8KVCacheDataTypeE0ES0_Li32ELi128ELi256ELb1ELi5EL8MFMAType0EEvPKT_PKT0_S9_ifPKiSB_SB_iPKfiiiPfSE_PS4_PT2_iSD_SD_
; %bb.0:
	s_load_b64 s[2:3], s[0:1], 0x30
	s_mov_b32 s30, s13
	s_waitcnt lgkmcnt(0)
	s_cmp_lg_u64 s[2:3], 0
	s_cselect_b32 s6, -1, 0
	s_ashr_i32 s31, s13, 31
	s_cmp_eq_u64 s[2:3], 0
	s_cbranch_scc1 .LBB734_3
; %bb.1:
	s_lshl_b64 s[4:5], s[30:31], 2
	s_delay_alu instid0(SALU_CYCLE_1) | instskip(SKIP_4) | instid1(SALU_CYCLE_1)
	s_add_u32 s4, s2, s4
	s_addc_u32 s5, s3, s5
	s_load_b64 s[4:5], s[4:5], 0x0
	s_waitcnt lgkmcnt(0)
	s_sub_i32 s4, s5, s4
	s_cmp_eq_u32 s4, 1
	s_cselect_b32 s4, -1, 0
	s_delay_alu instid0(SALU_CYCLE_1)
	s_and_not1_b32 vcc_lo, exec_lo, s4
	s_cbranch_vccz .LBB734_4
.LBB734_2:
	s_nop 0
	s_sendmsg sendmsg(MSG_DEALLOC_VGPRS)
	s_endpgm
.LBB734_3:
.LBB734_4:
	s_load_b64 s[8:9], s[0:1], 0x28
	s_lshl_b64 s[4:5], s[30:31], 2
	s_waitcnt lgkmcnt(0)
	s_add_u32 s8, s8, s4
	s_addc_u32 s9, s9, s5
	s_lshl_b32 s12, s14, 8
	s_load_b32 s17, s[8:9], 0x0
	s_waitcnt lgkmcnt(0)
	s_cmp_ge_i32 s12, s17
	s_cbranch_scc1 .LBB734_2
; %bb.5:
	s_and_not1_b32 vcc_lo, exec_lo, s6
	s_cbranch_vccnz .LBB734_7
; %bb.6:
	s_add_u32 s2, s2, s4
	s_addc_u32 s3, s3, s5
	s_load_b32 s13, s[2:3], 0x0
	s_branch .LBB734_8
.LBB734_7:
	s_mov_b32 s13, s30
.LBB734_8:
	s_clause 0x2
	s_load_b128 s[8:11], s[0:1], 0x8
	s_load_b64 s[2:3], s[0:1], 0x20
	s_load_b128 s[4:7], s[0:1], 0x48
	v_lshrrev_b32_e32 v74, 5, v0
	v_bfe_u32 v83, v0, 4, 1
	v_and_b32_e32 v73, 15, v0
	s_waitcnt lgkmcnt(0)
	s_mov_b32 s7, exec_lo
	s_delay_alu instid0(VALU_DEP_2) | instskip(NEXT) | instid1(VALU_DEP_2)
	v_lshl_or_b32 v3, v74, 1, v83
	v_lshlrev_b32_e32 v1, 3, v73
	s_delay_alu instid0(VALU_DEP_2)
	v_cmpx_lt_u32_e32 4, v3
	s_xor_b32 s7, exec_lo, s7
; %bb.9:
	v_mov_b32_e32 v2, 0
                                        ; implicit-def: $vgpr3
; %bb.10:
	s_or_saveexec_b32 s7, s7
	v_and_b32_e32 v75, 31, v0
	v_and_b32_e32 v84, 1, v0
	s_mul_i32 s31, s15, 5
	s_xor_b32 exec_lo, exec_lo, s7
	s_cbranch_execz .LBB734_12
; %bb.11:
	s_load_b64 s[18:19], s[0:1], 0x0
	v_add_lshl_u32 v4, v3, s31, 7
	s_mul_hi_i32 s21, s13, s4
	s_mul_i32 s20, s13, s4
	v_lshlrev_b32_e32 v2, 1, v1
	s_lshl_b64 s[20:21], s[20:21], 1
	v_ashrrev_i32_e32 v5, 31, v4
	v_lshlrev_b32_e32 v3, 6, v3
	v_lshlrev_b32_e32 v8, 10, v84
	s_delay_alu instid0(VALU_DEP_3) | instskip(SKIP_3) | instid1(VALU_DEP_1)
	v_lshlrev_b64 v[4:5], 1, v[4:5]
	s_waitcnt lgkmcnt(0)
	s_add_u32 s4, s18, s20
	s_addc_u32 s13, s19, s21
	v_add_co_u32 v4, vcc_lo, s4, v4
	s_delay_alu instid0(VALU_DEP_2) | instskip(NEXT) | instid1(VALU_DEP_2)
	v_add_co_ci_u32_e32 v5, vcc_lo, s13, v5, vcc_lo
	v_add_co_u32 v4, vcc_lo, v4, v2
	s_delay_alu instid0(VALU_DEP_2) | instskip(SKIP_3) | instid1(VALU_DEP_1)
	v_add_co_ci_u32_e32 v5, vcc_lo, 0, v5, vcc_lo
	v_lshlrev_b32_e32 v2, 10, v73
	global_load_b128 v[4:7], v[4:5], off
	v_and_b32_e32 v2, 0x3800, v2
	v_or3_b32 v3, v2, v8, v3
	v_mov_b32_e32 v2, 0
	s_waitcnt vmcnt(0)
	ds_store_b128 v3, v[4:7]
.LBB734_12:
	s_or_b32 exec_lo, exec_lo, s7
	v_and_b32_e32 v3, 0xef, v0
	v_mul_lo_u16 v80, v73, 52
	s_add_i32 s4, s17, 31
	s_clause 0x1
	s_load_b32 s7, s[0:1], 0x38
	s_load_b32 s18, s[0:1], 0x1c
	v_add_nc_u32_e32 v3, s12, v3
	v_lshrrev_b16 v80, 8, v80
	s_ashr_i32 s13, s4, 31
	s_waitcnt lgkmcnt(0)
	s_lshr_b32 s13, s13, 27
	v_ashrrev_i32_e32 v4, 31, v3
	v_mul_lo_u16 v80, v80, 5
	s_add_i32 s4, s4, s13
	v_cmp_gt_i32_e32 vcc_lo, s17, v3
	s_ashr_i32 s4, s4, 5
	v_lshrrev_b32_e32 v5, 27, v4
	v_or_b32_e32 v4, 16, v3
	v_sub_nc_u16 v80, v73, v80
	s_add_i32 s4, s4, -1
	s_barrier
	v_add_nc_u32_e32 v6, v3, v5
	v_add_nc_u32_e32 v5, v4, v5
	v_and_b32_e32 v80, 0xff, v80
	s_mul_i32 s20, s30, s7
	buffer_gl0_inv
	v_ashrrev_i32_e32 v6, 5, v6
	v_ashrrev_i32_e32 v5, 5, v5
	s_ashr_i32 s21, s20, 31
	v_lshlrev_b64 v[81:82], 1, v[1:2]
	s_lshl_b64 s[20:21], s[20:21], 2
	v_dual_cndmask_b32 v3, s4, v6 :: v_dual_lshlrev_b32 v80, 6, v80
	v_cmp_gt_i32_e32 vcc_lo, s17, v4
	s_add_u32 s13, s2, s20
	s_addc_u32 s16, s3, s21
	s_delay_alu instid0(VALU_DEP_2) | instskip(SKIP_3) | instid1(SALU_CYCLE_1)
	v_ashrrev_i32_e32 v4, 31, v3
	s_mul_i32 s2, s15, s6
	v_cndmask_b32_e32 v5, s4, v5, vcc_lo
	s_ashr_i32 s3, s2, 31
	s_lshl_b64 s[2:3], s[2:3], 1
	v_lshlrev_b64 v[3:4], 2, v[3:4]
	s_delay_alu instid0(VALU_DEP_2) | instskip(SKIP_3) | instid1(VALU_DEP_1)
	v_ashrrev_i32_e32 v6, 31, v5
	s_add_u32 s15, s8, s2
	s_addc_u32 s19, s9, s3
	s_lshl_b32 s6, s14, 3
	v_lshlrev_b64 v[5:6], 2, v[5:6]
	v_add_co_u32 v3, vcc_lo, s13, v3
	v_add_co_ci_u32_e32 v4, vcc_lo, s16, v4, vcc_lo
	s_ashr_i32 s7, s6, 31
	s_delay_alu instid0(VALU_DEP_3) | instskip(NEXT) | instid1(VALU_DEP_4)
	v_add_co_u32 v5, vcc_lo, s13, v5
	v_add_co_ci_u32_e32 v6, vcc_lo, s16, v6, vcc_lo
	s_clause 0x1
	global_load_b32 v7, v[3:4], off
	global_load_b32 v8, v[5:6], off
	s_lshl_b64 s[6:7], s[6:7], 2
	s_delay_alu instid0(SALU_CYCLE_1) | instskip(SKIP_2) | instid1(SALU_CYCLE_1)
	s_add_u32 s6, s13, s6
	s_addc_u32 s7, s16, s7
	s_or_b32 s8, s12, 32
	s_ashr_i32 s9, s8, 5
	s_cmp_lt_i32 s8, s17
	s_cselect_b32 s8, s9, s4
	s_delay_alu instid0(SALU_CYCLE_1) | instskip(NEXT) | instid1(SALU_CYCLE_1)
	s_ashr_i32 s9, s8, 31
	s_lshl_b64 s[8:9], s[8:9], 2
	s_delay_alu instid0(SALU_CYCLE_1) | instskip(SKIP_2) | instid1(SALU_CYCLE_1)
	s_add_u32 s8, s13, s8
	s_addc_u32 s9, s16, s9
	s_or_b32 s20, s12, 64
	s_ashr_i32 s21, s20, 5
	s_cmp_lt_i32 s20, s17
	s_cselect_b32 s20, s21, s4
	s_delay_alu instid0(SALU_CYCLE_1) | instskip(NEXT) | instid1(SALU_CYCLE_1)
	s_ashr_i32 s21, s20, 31
	;; [unrolled: 10-line block ×5, first 2 shown]
	s_lshl_b64 s[26:27], s[26:27], 2
	s_delay_alu instid0(SALU_CYCLE_1)
	s_add_u32 s26, s13, s26
	s_addc_u32 s27, s16, s27
	s_clause 0x5
	s_load_b32 s28, s[6:7], 0x0
	s_load_b32 s29, s[8:9], 0x0
	;; [unrolled: 1-line block ×6, first 2 shown]
	s_mov_b32 s20, 0
	s_or_b32 s6, s12, 0xc0
	s_mov_b32 s27, s20
	s_mov_b32 s21, s20
	;; [unrolled: 1-line block ×7, first 2 shown]
	s_delay_alu instid0(SALU_CYCLE_1)
	v_dual_mov_b32 v108, s27 :: v_dual_mov_b32 v107, s26
	v_dual_mov_b32 v106, s25 :: v_dual_mov_b32 v105, s24
	;; [unrolled: 1-line block ×4, first 2 shown]
	s_ashr_i32 s7, s6, 5
	s_cmp_lt_i32 s6, s17
	s_waitcnt lgkmcnt(0)
	s_mul_hi_i32 s9, s28, s5
	s_cselect_b32 s6, s7, s4
	s_mul_i32 s8, s28, s5
	s_ashr_i32 s7, s6, 31
	s_mul_hi_i32 s21, s29, s5
	s_lshl_b64 s[6:7], s[6:7], 2
	s_mul_i32 s20, s29, s5
	s_add_u32 s6, s13, s6
	s_addc_u32 s7, s16, s7
	s_mul_hi_i32 s25, s33, s5
	s_mul_i32 s24, s33, s5
	s_mul_hi_i32 s27, s34, s5
	s_mul_i32 s26, s34, s5
	s_mul_i32 s34, s36, s5
	s_waitcnt vmcnt(1)
	v_mad_i64_i32 v[3:4], null, v7, s5, 0
	s_waitcnt vmcnt(0)
	v_mad_i64_i32 v[5:6], null, v8, s5, 0
	s_delay_alu instid0(VALU_DEP_2) | instskip(NEXT) | instid1(VALU_DEP_2)
	v_lshlrev_b64 v[3:4], 1, v[3:4]
	v_lshlrev_b64 v[1:2], 1, v[5:6]
	s_delay_alu instid0(VALU_DEP_2) | instskip(NEXT) | instid1(VALU_DEP_3)
	v_add_co_u32 v3, vcc_lo, s15, v3
	v_add_co_ci_u32_e32 v4, vcc_lo, s19, v4, vcc_lo
	s_delay_alu instid0(VALU_DEP_3) | instskip(NEXT) | instid1(VALU_DEP_4)
	v_add_co_u32 v1, vcc_lo, s15, v1
	v_add_co_ci_u32_e32 v2, vcc_lo, s19, v2, vcc_lo
	s_delay_alu instid0(VALU_DEP_4) | instskip(NEXT) | instid1(VALU_DEP_4)
	v_add_co_u32 v65, vcc_lo, v3, v81
	v_add_co_ci_u32_e32 v66, vcc_lo, v4, v82, vcc_lo
	s_delay_alu instid0(VALU_DEP_4) | instskip(NEXT) | instid1(VALU_DEP_4)
	v_add_co_u32 v76, vcc_lo, v1, v81
	v_add_co_ci_u32_e32 v77, vcc_lo, v2, v82, vcc_lo
	s_clause 0xf
	global_load_b128 v[1:4], v[65:66], off
	global_load_b128 v[5:8], v[65:66], off offset:512
	global_load_b128 v[9:12], v[76:77], off offset:256
	;; [unrolled: 1-line block ×15, first 2 shown]
	v_add_co_u32 v78, vcc_lo, 0x1000, v65
	v_add_co_ci_u32_e32 v79, vcc_lo, 0, v66, vcc_lo
	v_add_co_u32 v76, vcc_lo, 0x1000, v76
	s_clause 0x1
	global_load_b128 v[65:68], v[78:79], off
	global_load_b128 v[69:72], v[78:79], off offset:512
	v_add_co_ci_u32_e32 v77, vcc_lo, 0, v77, vcc_lo
	ds_load_b128 v[85:88], v80
	ds_load_b128 v[89:92], v80 offset:1024
	s_clause 0x1
	global_load_b128 v[93:96], v[76:77], off offset:256
	global_load_b128 v[97:100], v[76:77], off offset:768
	ds_load_b128 v[109:112], v80 offset:2048
	ds_load_b128 v[113:116], v80 offset:3072
	s_or_b32 s15, s12, 0xe0
	s_delay_alu instid0(SALU_CYCLE_1) | instskip(SKIP_2) | instid1(SALU_CYCLE_1)
	s_ashr_i32 s19, s15, 5
	s_cmp_lt_i32 s15, s17
	s_cselect_b32 s22, s19, s4
	s_ashr_i32 s23, s22, 31
	s_delay_alu instid0(SALU_CYCLE_1) | instskip(NEXT) | instid1(SALU_CYCLE_1)
	s_lshl_b64 s[22:23], s[22:23], 2
	s_add_u32 s22, s13, s22
	s_addc_u32 s23, s16, s23
	s_add_i32 s15, s12, 0x100
	s_delay_alu instid0(SALU_CYCLE_1) | instskip(SKIP_2) | instid1(SALU_CYCLE_1)
	s_ashr_i32 s19, s15, 5
	s_cmp_lt_i32 s15, s17
	s_cselect_b32 s28, s19, s4
	s_ashr_i32 s29, s28, 31
	s_delay_alu instid0(SALU_CYCLE_1) | instskip(NEXT) | instid1(SALU_CYCLE_1)
	s_lshl_b64 s[28:29], s[28:29], 2
	s_add_u32 s28, s13, s28
	s_addc_u32 s29, s16, s29
	s_add_u32 s4, s10, s2
	s_addc_u32 s19, s11, s3
	s_lshl_b64 s[2:3], s[8:9], 1
	s_lshl_b64 s[8:9], s[20:21], 1
	;; [unrolled: 1-line block ×4, first 2 shown]
	s_waitcnt vmcnt(18) lgkmcnt(2)
	v_wmma_f32_16x16x16_bf16 v[117:124], v[1:8], v[85:92], v[101:108]
	s_waitcnt vmcnt(16)
	v_wmma_f32_16x16x16_bf16 v[101:108], v[9:16], v[85:92], v[101:108]
	s_clause 0x3
	global_load_b128 v[1:4], v[78:79], off offset:1024
	global_load_b128 v[5:8], v[78:79], off offset:1536
	;; [unrolled: 1-line block ×4, first 2 shown]
	s_waitcnt vmcnt(18) lgkmcnt(0)
	v_wmma_f32_16x16x16_bf16 v[117:124], v[17:24], v[109:116], v[117:124]
	s_clause 0x1
	global_load_b128 v[17:20], v[78:79], off offset:2048
	global_load_b128 v[21:24], v[78:79], off offset:2560
	s_waitcnt vmcnt(18)
	v_wmma_f32_16x16x16_bf16 v[101:108], v[25:32], v[109:116], v[101:108]
	ds_load_b128 v[25:28], v80 offset:4096
	ds_load_b128 v[29:32], v80 offset:5120
	s_clause 0x5
	global_load_b128 v[109:112], v[76:77], off offset:2304
	global_load_b128 v[113:116], v[76:77], off offset:2816
	;; [unrolled: 1-line block ×6, first 2 shown]
	s_waitcnt vmcnt(22) lgkmcnt(0)
	v_wmma_f32_16x16x16_bf16 v[117:124], v[33:40], v[25:32], v[117:124]
	s_waitcnt vmcnt(20)
	v_wmma_f32_16x16x16_bf16 v[101:108], v[41:48], v[25:32], v[101:108]
	ds_load_b128 v[25:28], v80 offset:6144
	ds_load_b128 v[29:32], v80 offset:7168
	ds_load_b128 v[33:36], v80 offset:8192
	ds_load_b128 v[37:40], v80 offset:9216
	s_waitcnt vmcnt(18) lgkmcnt(2)
	v_wmma_f32_16x16x16_bf16 v[117:124], v[49:56], v[25:32], v[117:124]
	s_waitcnt vmcnt(16)
	v_wmma_f32_16x16x16_bf16 v[101:108], v[57:64], v[25:32], v[101:108]
	ds_load_b128 v[25:28], v80 offset:10240
	ds_load_b128 v[29:32], v80 offset:11264
	ds_load_b128 v[141:144], v80 offset:12288
	ds_load_b128 v[145:148], v80 offset:13312
	ds_load_b128 v[149:152], v80 offset:14336
	ds_load_b128 v[153:156], v80 offset:15360
	s_waitcnt vmcnt(14) lgkmcnt(6)
	v_wmma_f32_16x16x16_bf16 v[117:124], v[65:72], v[33:40], v[117:124]
	s_waitcnt vmcnt(12)
	v_wmma_f32_16x16x16_bf16 v[101:108], v[93:100], v[33:40], v[101:108]
	s_clause 0x2
	s_load_b32 s15, s[6:7], 0x0
	s_load_b32 s13, s[22:23], 0x0
	;; [unrolled: 1-line block ×3, first 2 shown]
	s_mul_hi_i32 s7, s35, s5
	s_mul_i32 s6, s35, s5
	s_mul_hi_i32 s35, s36, s5
	s_lshl_b64 s[6:7], s[6:7], 1
	s_lshl_b64 s[22:23], s[34:35], 1
	s_waitcnt lgkmcnt(0)
	s_mul_hi_i32 s25, s15, s5
	s_mul_i32 s24, s15, s5
	s_waitcnt vmcnt(10)
	v_wmma_f32_16x16x16_bf16 v[117:124], v[1:8], v[25:32], v[117:124]
	s_waitcnt vmcnt(8)
	v_wmma_f32_16x16x16_bf16 v[101:108], v[9:16], v[25:32], v[101:108]
	s_waitcnt vmcnt(6)
	s_delay_alu instid0(VALU_DEP_2) | instskip(SKIP_1) | instid1(VALU_DEP_2)
	v_wmma_f32_16x16x16_bf16 v[117:124], v[17:24], v[141:148], v[117:124]
	s_waitcnt vmcnt(4)
	v_wmma_f32_16x16x16_bf16 v[101:108], v[109:116], v[141:148], v[101:108]
	s_waitcnt vmcnt(2)
	s_delay_alu instid0(VALU_DEP_2) | instskip(SKIP_3) | instid1(VALU_DEP_3)
	v_wmma_f32_16x16x16_bf16 v[117:124], v[125:132], v[149:156], v[117:124]
	v_lshlrev_b32_e32 v85, 6, v73
	s_waitcnt vmcnt(0)
	v_wmma_f32_16x16x16_bf16 v[101:108], v[133:140], v[149:156], v[101:108]
	v_mul_f32_e32 v100, s18, v124
	s_delay_alu instid0(VALU_DEP_3) | instskip(SKIP_2) | instid1(VALU_DEP_3)
	v_lshl_or_b32 v41, v74, 10, v85
	v_mul_f32_e32 v97, s18, v117
	v_mul_f32_e32 v99, s18, v118
	v_add_co_u32 v76, s4, s4, v41
	s_delay_alu instid0(VALU_DEP_1) | instskip(NEXT) | instid1(VALU_DEP_2)
	v_add_co_ci_u32_e64 v77, null, s19, 0, s4
	v_add_co_u32 v41, vcc_lo, v76, s2
	s_delay_alu instid0(VALU_DEP_2)
	v_add_co_ci_u32_e32 v42, vcc_lo, s3, v77, vcc_lo
	v_add_co_u32 v33, vcc_lo, v76, s8
	v_add_co_ci_u32_e32 v34, vcc_lo, s9, v77, vcc_lo
	v_add_co_u32 v35, vcc_lo, v76, s10
	;; [unrolled: 2-line block ×5, first 2 shown]
	s_lshl_b64 s[2:3], s[24:25], 1
	v_add_co_ci_u32_e32 v6, vcc_lo, s23, v77, vcc_lo
	s_mul_hi_i32 s7, s13, s5
	s_mul_i32 s6, s13, s5
	v_add_co_u32 v17, vcc_lo, v76, s2
	v_add_co_ci_u32_e32 v18, vcc_lo, s3, v77, vcc_lo
	s_lshl_b64 s[2:3], s[6:7], 1
	s_mul_hi_i32 s7, s16, s5
	s_mul_i32 s6, s16, s5
	v_add_co_u32 v19, vcc_lo, v76, s2
	v_add_co_ci_u32_e32 v20, vcc_lo, s3, v77, vcc_lo
	s_lshl_b64 s[2:3], s[6:7], 1
	s_clause 0x1
	global_load_b128 v[65:68], v[41:42], off
	global_load_b128 v[69:72], v[41:42], off offset:16
	v_add_co_u32 v21, vcc_lo, v76, s2
	v_add_co_ci_u32_e32 v22, vcc_lo, s3, v77, vcc_lo
	s_clause 0xf
	global_load_b128 v[57:60], v[33:34], off
	global_load_b128 v[61:64], v[33:34], off offset:16
	global_load_b128 v[49:52], v[35:36], off
	global_load_b128 v[53:56], v[35:36], off offset:16
	;; [unrolled: 2-line block ×8, first 2 shown]
	v_mbcnt_lo_u32_b32 v77, -1, 0
	v_and_b32_e32 v76, 0xe0, v0
	s_waitcnt vmcnt(0)
	s_barrier
	buffer_gl0_inv
	v_xor_b32_e32 v78, 16, v77
	s_delay_alu instid0(VALU_DEP_1) | instskip(SKIP_1) | instid1(VALU_DEP_1)
	v_cmp_gt_i32_e32 vcc_lo, 32, v78
	v_dual_cndmask_b32 v77, v77, v78 :: v_dual_add_nc_u32 v76, s12, v76
	v_or_b32_e32 v76, v76, v83
	s_delay_alu instid0(VALU_DEP_1)
	v_or_b32_e32 v78, 2, v76
	v_or_b32_e32 v79, 4, v76
	;; [unrolled: 1-line block ×3, first 2 shown]
	v_cmp_gt_i32_e32 vcc_lo, s17, v76
	v_or_b32_e32 v86, 8, v76
	v_cmp_gt_i32_e64 s2, s17, v78
	v_or_b32_e32 v87, 10, v76
	v_or_b32_e32 v88, 12, v76
	;; [unrolled: 1-line block ×11, first 2 shown]
	v_cndmask_b32_e64 v78, 0xff7fffff, v99, s2
	v_mul_f32_e32 v99, s18, v120
	v_cmp_gt_i32_e64 s3, s17, v80
	v_mul_f32_e32 v80, s18, v119
	v_cndmask_b32_e32 v76, 0xff7fffff, v97, vcc_lo
	v_cmp_gt_i32_e64 s4, s17, v79
	v_mul_f32_e32 v79, s18, v122
	v_cmp_gt_i32_e64 s5, s17, v86
	v_cmp_gt_i32_e64 s6, s17, v87
	v_max3_f32 v76, v76, 0xff7fffff, v78
	v_mul_f32_e32 v78, s18, v121
	v_cndmask_b32_e64 v80, 0xff7fffff, v80, s4
	v_mul_f32_e32 v86, s18, v107
	v_cndmask_b32_e64 v99, 0xff7fffff, v99, s3
	;; [unrolled: 2-line block ×3, first 2 shown]
	v_cndmask_b32_e64 v79, 0xff7fffff, v79, s6
	v_cmp_gt_i32_e64 s7, s17, v89
	v_max3_f32 v76, v76, v80, v99
	v_mul_f32_e32 v80, s18, v108
	v_cmp_gt_i32_e64 s8, s17, v88
	v_dual_mul_f32 v99, s18, v105 :: v_dual_mul_f32 v88, s18, v102
	s_delay_alu instid0(VALU_DEP_4) | instskip(SKIP_1) | instid1(VALU_DEP_4)
	v_max3_f32 v76, v76, v78, v79
	v_mul_f32_e32 v89, s18, v101
	v_cndmask_b32_e64 v97, 0xff7fffff, v97, s8
	v_cndmask_b32_e64 v100, 0xff7fffff, v100, s7
	v_cmp_gt_i32_e64 s9, s17, v90
	v_cmp_gt_i32_e64 s10, s17, v91
	v_dual_mul_f32 v78, s18, v104 :: v_dual_mul_f32 v79, s18, v103
	s_delay_alu instid0(VALU_DEP_4) | instskip(NEXT) | instid1(VALU_DEP_4)
	v_max3_f32 v76, v76, v97, v100
	v_cndmask_b32_e64 v89, 0xff7fffff, v89, s9
	s_delay_alu instid0(VALU_DEP_4)
	v_cndmask_b32_e64 v88, 0xff7fffff, v88, s10
	v_cmp_gt_i32_e64 s11, s17, v92
	v_cmp_gt_i32_e64 s12, s17, v93
	v_mul_f32_e32 v87, s18, v106
	v_cmp_gt_i32_e64 s13, s17, v94
	v_max3_f32 v76, v76, v89, v88
	v_cndmask_b32_e64 v79, 0xff7fffff, v79, s11
	v_cndmask_b32_e64 v78, 0xff7fffff, v78, s12
	v_cmp_gt_i32_e64 s15, s17, v95
	v_cndmask_b32_e64 v88, 0xff7fffff, v99, s13
	v_cmp_gt_i32_e64 s16, s17, v96
	v_cmp_gt_i32_e64 s17, s17, v98
	v_max3_f32 v76, v76, v79, v78
	v_cndmask_b32_e64 v87, 0xff7fffff, v87, s15
	v_lshlrev_b32_e32 v99, 2, v77
	v_cndmask_b32_e64 v78, 0xff7fffff, v86, s16
	v_cndmask_b32_e64 v79, 0xff7fffff, v80, s17
	s_delay_alu instid0(VALU_DEP_4) | instskip(NEXT) | instid1(VALU_DEP_1)
	v_max3_f32 v76, v76, v88, v87
	v_max3_f32 v76, v76, v78, v79
	ds_bpermute_b32 v77, v99, v76
	s_waitcnt lgkmcnt(0)
	v_max_f32_e32 v77, v77, v77
	s_delay_alu instid0(VALU_DEP_1) | instskip(NEXT) | instid1(VALU_DEP_1)
	v_max_f32_e32 v76, v76, v77
	v_fma_f32 v80, s18, v120, -v76
	v_fma_f32 v77, s18, v117, -v76
	;; [unrolled: 1-line block ×5, first 2 shown]
	v_mul_f32_e32 v80, 0x3fb8aa3b, v80
	v_fma_f32 v87, s18, v123, -v76
	v_mul_f32_e32 v78, 0x3fb8aa3b, v78
	v_fma_f32 v88, s18, v105, -v76
	v_mul_f32_e32 v86, 0x3fb8aa3b, v86
	v_exp_f32_e32 v80, v80
	v_fma_f32 v90, s18, v107, -v76
	v_exp_f32_e32 v78, v78
	v_fma_f32 v100, s18, v108, -v76
	v_exp_f32_e32 v86, v86
	v_mul_f32_e32 v88, 0x3fb8aa3b, v88
	s_delay_alu instid0(VALU_DEP_2) | instskip(NEXT) | instid1(TRANS32_DEP_3)
	v_mul_f32_e32 v100, 0x3fb8aa3b, v100
	v_cndmask_b32_e64 v95, 0, v80, s3
	v_mul_f32_e32 v77, 0x3fb8aa3b, v77
	s_delay_alu instid0(TRANS32_DEP_2) | instskip(SKIP_1) | instid1(TRANS32_DEP_1)
	v_cndmask_b32_e64 v91, 0, v78, s2
	v_fma_f32 v80, s18, v101, -v76
	v_cndmask_b32_e64 v96, 0, v86, s5
	v_fma_f32 v86, s18, v102, -v76
	v_exp_f32_e32 v77, v77
	s_delay_alu instid0(VALU_DEP_3) | instskip(SKIP_1) | instid1(VALU_DEP_2)
	v_dual_mul_f32 v79, 0x3fb8aa3b, v79 :: v_dual_mul_f32 v80, 0x3fb8aa3b, v80
	v_exp_f32_e32 v88, v88
	v_mul_f32_e32 v86, 0x3fb8aa3b, v86
	v_cmp_gt_u32_e64 s2, 16, v75
	v_exp_f32_e32 v100, v100
	v_exp_f32_e32 v80, v80
	s_delay_alu instid0(VALU_DEP_2) | instskip(SKIP_3) | instid1(VALU_DEP_1)
	v_exp_f32_e32 v86, v86
	v_cndmask_b32_e32 v92, 0, v77, vcc_lo
	v_exp_f32_e32 v79, v79
	v_fma_f32 v77, s18, v122, -v76
	v_dual_add_f32 v78, 0, v92 :: v_dual_mul_f32 v77, 0x3fb8aa3b, v77
	s_delay_alu instid0(VALU_DEP_1)
	v_add_f32_e32 v78, v78, v91
	s_waitcnt_depctr 0xfff
	v_cndmask_b32_e64 v93, 0, v79, s4
	v_fma_f32 v79, s18, v124, -v76
	v_mul_f32_e32 v87, 0x3fb8aa3b, v87
	v_exp_f32_e32 v77, v77
	s_delay_alu instid0(VALU_DEP_2) | instskip(NEXT) | instid1(VALU_DEP_2)
	v_dual_add_f32 v78, v78, v93 :: v_dual_mul_f32 v79, 0x3fb8aa3b, v79
	v_exp_f32_e32 v87, v87
	s_delay_alu instid0(VALU_DEP_1) | instskip(NEXT) | instid1(VALU_DEP_2)
	v_add_f32_e32 v78, v78, v95
	v_exp_f32_e32 v79, v79
	s_delay_alu instid0(TRANS32_DEP_3) | instskip(NEXT) | instid1(VALU_DEP_2)
	v_cndmask_b32_e64 v97, 0, v77, s6
	v_add_f32_e32 v77, v78, v96
	v_fma_f32 v78, s18, v103, -v76
	s_waitcnt_depctr 0xfff
	v_cndmask_b32_e64 v94, 0, v87, s8
	v_fma_f32 v87, s18, v104, -v76
	v_dual_add_f32 v77, v77, v97 :: v_dual_mul_f32 v78, 0x3fb8aa3b, v78
	v_cndmask_b32_e64 v98, 0, v79, s7
	s_delay_alu instid0(VALU_DEP_2) | instskip(SKIP_4) | instid1(VALU_DEP_2)
	v_add_f32_e32 v79, v77, v94
	v_cndmask_b32_e64 v77, 0, v80, s9
	v_fma_f32 v80, s18, v106, -v76
	v_exp_f32_e32 v89, v78
	v_cndmask_b32_e64 v78, 0, v86, s10
	v_dual_add_f32 v79, v79, v98 :: v_dual_mul_f32 v80, 0x3fb8aa3b, v80
	s_delay_alu instid0(VALU_DEP_1) | instskip(NEXT) | instid1(VALU_DEP_1)
	v_dual_mul_f32 v87, 0x3fb8aa3b, v87 :: v_dual_add_f32 v86, v79, v77
	v_exp_f32_e32 v87, v87
	s_waitcnt_depctr 0xfff
	v_cndmask_b32_e64 v79, 0, v89, s11
	v_add_f32_e32 v86, v86, v78
	v_mul_f32_e32 v89, 0x3fb8aa3b, v90
	v_exp_f32_e32 v90, v80
	v_cndmask_b32_e64 v80, 0, v87, s12
	s_delay_alu instid0(VALU_DEP_3) | instskip(SKIP_1) | instid1(VALU_DEP_2)
	v_add_f32_e32 v87, v86, v79
	v_cndmask_b32_e64 v86, 0, v88, s13
	v_add_f32_e32 v88, v87, v80
	v_exp_f32_e32 v89, v89
	s_waitcnt_depctr 0xfff
	v_cndmask_b32_e64 v87, 0, v90, s15
	v_add_f32_e32 v90, v88, v86
	v_cndmask_b32_e64 v88, 0, v89, s16
	s_delay_alu instid0(VALU_DEP_2) | instskip(NEXT) | instid1(VALU_DEP_1)
	v_add_f32_e32 v89, v90, v87
	v_add_f32_e32 v90, v89, v88
	v_cndmask_b32_e64 v89, 0, v100, s17
	s_delay_alu instid0(VALU_DEP_1)
	v_add_f32_e32 v90, v90, v89
	ds_bpermute_b32 v99, v99, v90
	s_and_saveexec_b32 s3, s2
	s_cbranch_execz .LBB734_14
; %bb.13:
	v_mul_u32_u24_e32 v75, 0x44, v74
	s_waitcnt lgkmcnt(0)
	v_add_f32_e32 v90, v90, v99
	s_delay_alu instid0(VALU_DEP_2) | instskip(NEXT) | instid1(VALU_DEP_1)
	v_lshl_add_u32 v75, v73, 2, v75
	v_add_nc_u32_e32 v75, 0x4000, v75
	ds_store_2addr_b32 v75, v76, v90 offset1:136
.LBB734_14:
	s_or_b32 exec_lo, exec_lo, s3
	v_lshlrev_b32_e32 v75, 2, v73
	s_waitcnt lgkmcnt(0)
	s_barrier
	buffer_gl0_inv
	v_cmp_eq_u32_e64 s3, 1, v74
	v_add_nc_u32_e32 v90, 0x4000, v75
	ds_load_2addr_b32 v[99:100], v90 offset1:17
	ds_load_2addr_b32 v[101:102], v90 offset0:34 offset1:51
	ds_load_2addr_b32 v[103:104], v90 offset0:68 offset1:85
	;; [unrolled: 1-line block ×4, first 2 shown]
	s_waitcnt lgkmcnt(4)
	v_max3_f32 v75, v99, 0xff7fffff, v100
	s_waitcnt lgkmcnt(3)
	s_delay_alu instid0(VALU_DEP_1) | instskip(SKIP_1) | instid1(VALU_DEP_1)
	v_max3_f32 v75, v75, v101, v102
	s_waitcnt lgkmcnt(2)
	v_max3_f32 v75, v75, v103, v104
	s_waitcnt lgkmcnt(1)
	s_delay_alu instid0(VALU_DEP_1) | instskip(NEXT) | instid1(VALU_DEP_1)
	v_max3_f32 v75, v75, v105, v106
	v_sub_f32_e32 v109, v100, v75
	v_sub_f32_e32 v76, v99, v75
	ds_load_2addr_b32 v[99:100], v90 offset0:170 offset1:187
	v_sub_f32_e32 v101, v101, v75
	v_dual_mul_f32 v109, 0x3fb8aa3b, v109 :: v_dual_mul_f32 v76, 0x3fb8aa3b, v76
	s_delay_alu instid0(VALU_DEP_2) | instskip(NEXT) | instid1(VALU_DEP_2)
	v_mul_f32_e32 v111, 0x3fb8aa3b, v101
	v_exp_f32_e32 v109, v109
	s_delay_alu instid0(VALU_DEP_2)
	v_exp_f32_e32 v110, v76
	v_sub_f32_e32 v76, v102, v75
	ds_load_2addr_b32 v[101:102], v90 offset0:204 offset1:221
	v_exp_f32_e32 v111, v111
	v_mul_f32_e32 v112, 0x3fb8aa3b, v76
	s_waitcnt lgkmcnt(2)
	v_fma_f32 v76, v110, v107, 0
	v_sub_f32_e32 v103, v103, v75
	s_delay_alu instid0(VALU_DEP_3) | instskip(NEXT) | instid1(VALU_DEP_2)
	v_exp_f32_e32 v112, v112
	v_dual_sub_f32 v107, v104, v75 :: v_dual_fmac_f32 v76, v109, v108
	s_waitcnt lgkmcnt(1)
	s_waitcnt_depctr 0xfff
	v_fmac_f32_e32 v76, v111, v99
	v_mul_f32_e32 v113, 0x3fb8aa3b, v103
	ds_load_2addr_b32 v[103:104], v90 offset0:238 offset1:255
	v_sub_f32_e32 v90, v105, v75
	v_dual_sub_f32 v99, v106, v75 :: v_dual_fmac_f32 v76, v112, v100
	v_mul_f32_e32 v105, 0x3fb8aa3b, v107
	v_exp_f32_e32 v107, v113
	s_delay_alu instid0(VALU_DEP_2)
	v_dual_mul_f32 v90, 0x3fb8aa3b, v90 :: v_dual_mul_f32 v99, 0x3fb8aa3b, v99
	s_waitcnt lgkmcnt(0)
	s_barrier
	buffer_gl0_inv
	v_exp_f32_e32 v90, v90
	v_exp_f32_e32 v99, v99
	v_fmac_f32_e32 v76, v107, v101
	v_exp_f32_e32 v105, v105
	s_waitcnt_depctr 0xfff
	v_fmac_f32_e32 v76, v105, v102
	s_delay_alu instid0(VALU_DEP_1) | instskip(NEXT) | instid1(VALU_DEP_1)
	v_fmac_f32_e32 v76, v90, v103
	v_fmac_f32_e32 v76, v99, v104
	s_delay_alu instid0(VALU_DEP_1) | instskip(NEXT) | instid1(VALU_DEP_1)
	v_add_f32_e32 v100, 0x358637bd, v76
	v_div_scale_f32 v101, null, v100, v100, 1.0
	v_div_scale_f32 v104, vcc_lo, 1.0, v100, 1.0
	s_delay_alu instid0(VALU_DEP_2) | instskip(SKIP_2) | instid1(VALU_DEP_1)
	v_rcp_f32_e32 v102, v101
	s_waitcnt_depctr 0xfff
	v_fma_f32 v103, -v101, v102, 1.0
	v_fmac_f32_e32 v102, v103, v102
	v_cndmask_b32_e64 v103, v110, v109, s3
	v_cmp_eq_u32_e64 s3, 2, v74
	s_delay_alu instid0(VALU_DEP_3) | instskip(NEXT) | instid1(VALU_DEP_2)
	v_mul_f32_e32 v106, v104, v102
	v_cndmask_b32_e64 v103, v103, v111, s3
	v_cmp_eq_u32_e64 s3, 3, v74
	s_delay_alu instid0(VALU_DEP_3) | instskip(NEXT) | instid1(VALU_DEP_2)
	v_fma_f32 v108, -v101, v106, v104
	v_cndmask_b32_e64 v103, v103, v112, s3
	v_cmp_eq_u32_e64 s3, 4, v74
	s_delay_alu instid0(VALU_DEP_3) | instskip(NEXT) | instid1(VALU_DEP_2)
	v_fmac_f32_e32 v106, v108, v102
	v_cndmask_b32_e64 v103, v103, v107, s3
	s_delay_alu instid0(VALU_DEP_2) | instskip(SKIP_1) | instid1(VALU_DEP_2)
	v_fma_f32 v101, -v101, v106, v104
	v_cmp_eq_u32_e64 s3, 5, v74
	v_div_fmas_f32 v101, v101, v102, v106
	s_delay_alu instid0(VALU_DEP_2) | instskip(SKIP_2) | instid1(VALU_DEP_3)
	v_cndmask_b32_e64 v103, v103, v105, s3
	v_cmp_eq_u32_e32 vcc_lo, 6, v74
	s_mov_b32 s3, exec_lo
	v_div_fixup_f32 v100, v101, v100, 1.0
	s_delay_alu instid0(VALU_DEP_3) | instskip(SKIP_1) | instid1(VALU_DEP_2)
	v_cndmask_b32_e32 v90, v103, v90, vcc_lo
	v_cmp_eq_u32_e32 vcc_lo, 7, v74
	v_cndmask_b32_e32 v90, v90, v99, vcc_lo
	s_delay_alu instid0(VALU_DEP_1) | instskip(NEXT) | instid1(VALU_DEP_1)
	v_mul_f32_e32 v90, v90, v100
	v_mul_f32_e32 v100, v90, v92
	;; [unrolled: 1-line block ×6, first 2 shown]
	v_and_b32_e32 v101, 0x7f800000, v100
	v_mul_f32_e32 v99, v90, v95
	v_mul_f32_e32 v95, v90, v91
	;; [unrolled: 1-line block ×3, first 2 shown]
                                        ; implicit-def: $vgpr91
	s_delay_alu instid0(VALU_DEP_4)
	v_cmpx_ne_u32_e32 0x7f800000, v101
	s_xor_b32 s3, exec_lo, s3
; %bb.15:
	v_bfe_u32 v91, v100, 16, 1
	s_delay_alu instid0(VALU_DEP_1)
	v_add3_u32 v91, v100, v91, 0x7fff
                                        ; implicit-def: $vgpr100
; %bb.16:
	s_and_not1_saveexec_b32 s3, s3
; %bb.17:
	v_and_b32_e32 v91, 0xffff, v100
	v_or_b32_e32 v93, 0x10000, v100
	s_delay_alu instid0(VALU_DEP_2) | instskip(NEXT) | instid1(VALU_DEP_2)
	v_cmp_eq_u32_e32 vcc_lo, 0, v91
	v_cndmask_b32_e32 v91, v93, v100, vcc_lo
; %bb.18:
	s_or_b32 exec_lo, exec_lo, s3
	v_and_b32_e32 v93, 0x7f800000, v95
	s_delay_alu instid0(VALU_DEP_1) | instskip(SKIP_1) | instid1(SALU_CYCLE_1)
	v_cmp_ne_u32_e32 vcc_lo, 0x7f800000, v93
                                        ; implicit-def: $vgpr93
	s_and_saveexec_b32 s3, vcc_lo
	s_xor_b32 s3, exec_lo, s3
; %bb.19:
	v_bfe_u32 v93, v95, 16, 1
	s_delay_alu instid0(VALU_DEP_1)
	v_add3_u32 v93, v95, v93, 0x7fff
                                        ; implicit-def: $vgpr95
; %bb.20:
	s_and_not1_saveexec_b32 s3, s3
; %bb.21:
	v_and_b32_e32 v93, 0xffff, v95
	v_or_b32_e32 v100, 0x10000, v95
	s_delay_alu instid0(VALU_DEP_2) | instskip(NEXT) | instid1(VALU_DEP_2)
	v_cmp_eq_u32_e32 vcc_lo, 0, v93
	v_cndmask_b32_e32 v93, v100, v95, vcc_lo
; %bb.22:
	s_or_b32 exec_lo, exec_lo, s3
	v_and_b32_e32 v95, 0x7f800000, v96
	s_delay_alu instid0(VALU_DEP_1) | instskip(SKIP_1) | instid1(SALU_CYCLE_1)
	v_cmp_ne_u32_e32 vcc_lo, 0x7f800000, v95
                                        ; implicit-def: $vgpr95
	s_and_saveexec_b32 s3, vcc_lo
	s_xor_b32 s3, exec_lo, s3
; %bb.23:
	v_bfe_u32 v95, v96, 16, 1
	s_delay_alu instid0(VALU_DEP_1)
	v_add3_u32 v95, v96, v95, 0x7fff
                                        ; implicit-def: $vgpr96
; %bb.24:
	s_and_not1_saveexec_b32 s3, s3
; %bb.25:
	v_and_b32_e32 v95, 0xffff, v96
	v_or_b32_e32 v100, 0x10000, v96
	s_delay_alu instid0(VALU_DEP_2) | instskip(NEXT) | instid1(VALU_DEP_2)
	v_cmp_eq_u32_e32 vcc_lo, 0, v95
	v_cndmask_b32_e32 v95, v100, v96, vcc_lo
; %bb.26:
	s_or_b32 exec_lo, exec_lo, s3
	v_and_b32_e32 v96, 0x7f800000, v99
	s_delay_alu instid0(VALU_DEP_1) | instskip(SKIP_1) | instid1(SALU_CYCLE_1)
	v_cmp_ne_u32_e32 vcc_lo, 0x7f800000, v96
                                        ; implicit-def: $vgpr96
	s_and_saveexec_b32 s3, vcc_lo
	s_xor_b32 s3, exec_lo, s3
; %bb.27:
	v_bfe_u32 v96, v99, 16, 1
	s_delay_alu instid0(VALU_DEP_1)
	v_add3_u32 v96, v99, v96, 0x7fff
                                        ; implicit-def: $vgpr99
; %bb.28:
	s_and_not1_saveexec_b32 s3, s3
; %bb.29:
	v_and_b32_e32 v96, 0xffff, v99
	v_or_b32_e32 v100, 0x10000, v99
	s_delay_alu instid0(VALU_DEP_2) | instskip(NEXT) | instid1(VALU_DEP_2)
	v_cmp_eq_u32_e32 vcc_lo, 0, v96
	v_cndmask_b32_e32 v96, v100, v99, vcc_lo
; %bb.30:
	s_or_b32 exec_lo, exec_lo, s3
	v_and_b32_e32 v99, 0x7f800000, v98
	s_delay_alu instid0(VALU_DEP_1) | instskip(SKIP_1) | instid1(SALU_CYCLE_1)
	v_cmp_ne_u32_e32 vcc_lo, 0x7f800000, v99
                                        ; implicit-def: $vgpr99
	s_and_saveexec_b32 s3, vcc_lo
	s_xor_b32 s3, exec_lo, s3
; %bb.31:
	v_bfe_u32 v99, v98, 16, 1
	s_delay_alu instid0(VALU_DEP_1)
	v_add3_u32 v99, v98, v99, 0x7fff
                                        ; implicit-def: $vgpr98
; %bb.32:
	s_and_not1_saveexec_b32 s3, s3
; %bb.33:
	v_and_b32_e32 v99, 0xffff, v98
	v_or_b32_e32 v100, 0x10000, v98
	s_delay_alu instid0(VALU_DEP_2) | instskip(NEXT) | instid1(VALU_DEP_2)
	v_cmp_eq_u32_e32 vcc_lo, 0, v99
	v_cndmask_b32_e32 v99, v100, v98, vcc_lo
; %bb.34:
	s_or_b32 exec_lo, exec_lo, s3
	v_and_b32_e32 v98, 0x7f800000, v97
	s_delay_alu instid0(VALU_DEP_1) | instskip(SKIP_1) | instid1(SALU_CYCLE_1)
	v_cmp_ne_u32_e32 vcc_lo, 0x7f800000, v98
                                        ; implicit-def: $vgpr98
	s_and_saveexec_b32 s3, vcc_lo
	s_xor_b32 s3, exec_lo, s3
; %bb.35:
	v_bfe_u32 v98, v97, 16, 1
	s_delay_alu instid0(VALU_DEP_1)
	v_add3_u32 v98, v97, v98, 0x7fff
                                        ; implicit-def: $vgpr97
; %bb.36:
	s_and_not1_saveexec_b32 s3, s3
; %bb.37:
	v_and_b32_e32 v98, 0xffff, v97
	v_or_b32_e32 v100, 0x10000, v97
	s_delay_alu instid0(VALU_DEP_2) | instskip(NEXT) | instid1(VALU_DEP_2)
	v_cmp_eq_u32_e32 vcc_lo, 0, v98
	v_cndmask_b32_e32 v98, v100, v97, vcc_lo
; %bb.38:
	s_or_b32 exec_lo, exec_lo, s3
	v_and_b32_e32 v97, 0x7f800000, v94
	s_delay_alu instid0(VALU_DEP_1) | instskip(SKIP_1) | instid1(SALU_CYCLE_1)
	v_cmp_ne_u32_e32 vcc_lo, 0x7f800000, v97
                                        ; implicit-def: $vgpr97
	s_and_saveexec_b32 s3, vcc_lo
	s_xor_b32 s3, exec_lo, s3
; %bb.39:
	v_bfe_u32 v97, v94, 16, 1
	s_delay_alu instid0(VALU_DEP_1)
	v_add3_u32 v97, v94, v97, 0x7fff
                                        ; implicit-def: $vgpr94
; %bb.40:
	s_and_not1_saveexec_b32 s3, s3
; %bb.41:
	v_and_b32_e32 v97, 0xffff, v94
	v_or_b32_e32 v100, 0x10000, v94
	s_delay_alu instid0(VALU_DEP_2) | instskip(NEXT) | instid1(VALU_DEP_2)
	v_cmp_eq_u32_e32 vcc_lo, 0, v97
	v_cndmask_b32_e32 v97, v100, v94, vcc_lo
; %bb.42:
	s_or_b32 exec_lo, exec_lo, s3
	v_and_b32_e32 v94, 0x7f800000, v92
	s_delay_alu instid0(VALU_DEP_1) | instskip(SKIP_1) | instid1(SALU_CYCLE_1)
	v_cmp_ne_u32_e32 vcc_lo, 0x7f800000, v94
                                        ; implicit-def: $vgpr94
	s_and_saveexec_b32 s3, vcc_lo
	s_xor_b32 s3, exec_lo, s3
; %bb.43:
	v_bfe_u32 v94, v92, 16, 1
	s_delay_alu instid0(VALU_DEP_1)
	v_add3_u32 v94, v92, v94, 0x7fff
                                        ; implicit-def: $vgpr92
; %bb.44:
	s_and_not1_saveexec_b32 s3, s3
; %bb.45:
	v_and_b32_e32 v94, 0xffff, v92
	v_or_b32_e32 v100, 0x10000, v92
	s_delay_alu instid0(VALU_DEP_2) | instskip(NEXT) | instid1(VALU_DEP_2)
	v_cmp_eq_u32_e32 vcc_lo, 0, v94
	v_cndmask_b32_e32 v94, v100, v92, vcc_lo
; %bb.46:
	s_or_b32 exec_lo, exec_lo, s3
	s_load_b64 s[34:35], s[0:1], 0x94
	v_lshlrev_b32_e32 v92, 4, v83
	s_delay_alu instid0(VALU_DEP_2)
	v_perm_b32 v100, v94, v97, 0x7060302
	v_dual_mul_f32 v89, v90, v89 :: v_dual_lshlrev_b32 v94, 11, v74
	v_perm_b32 v97, v93, v91, 0x7060302
	v_mul_f32_e32 v93, v90, v77
	v_perm_b32 v99, v98, v99, 0x7060302
	v_perm_b32 v98, v96, v95, 0x7060302
	v_or3_b32 v77, v92, v94, v85
	v_mul_f32_e32 v88, v90, v88
	v_dual_mul_f32 v87, v90, v87 :: v_dual_and_b32 v94, 0x7f800000, v93
	v_mul_f32_e32 v86, v90, v86
	v_mul_f32_e32 v91, v90, v80
	v_mul_f32_e32 v92, v90, v79
	v_mul_f32_e32 v80, v90, v78
	s_mov_b32 s3, exec_lo
	ds_store_b128 v77, v[97:100]
                                        ; implicit-def: $vgpr78
	v_cmpx_ne_u32_e32 0x7f800000, v94
	s_xor_b32 s3, exec_lo, s3
; %bb.47:
	v_bfe_u32 v78, v93, 16, 1
	s_delay_alu instid0(VALU_DEP_1)
	v_add3_u32 v78, v93, v78, 0x7fff
                                        ; implicit-def: $vgpr93
; %bb.48:
	s_and_not1_saveexec_b32 s3, s3
; %bb.49:
	v_and_b32_e32 v78, 0xffff, v93
	v_or_b32_e32 v79, 0x10000, v93
	s_delay_alu instid0(VALU_DEP_2) | instskip(NEXT) | instid1(VALU_DEP_2)
	v_cmp_eq_u32_e32 vcc_lo, 0, v78
	v_cndmask_b32_e32 v78, v79, v93, vcc_lo
; %bb.50:
	s_or_b32 exec_lo, exec_lo, s3
	v_and_b32_e32 v79, 0x7f800000, v80
	s_delay_alu instid0(VALU_DEP_1) | instskip(SKIP_1) | instid1(SALU_CYCLE_1)
	v_cmp_ne_u32_e32 vcc_lo, 0x7f800000, v79
                                        ; implicit-def: $vgpr79
	s_and_saveexec_b32 s3, vcc_lo
	s_xor_b32 s3, exec_lo, s3
; %bb.51:
	v_bfe_u32 v79, v80, 16, 1
	s_delay_alu instid0(VALU_DEP_1)
	v_add3_u32 v79, v80, v79, 0x7fff
                                        ; implicit-def: $vgpr80
; %bb.52:
	s_and_not1_saveexec_b32 s3, s3
; %bb.53:
	v_and_b32_e32 v79, 0xffff, v80
	v_or_b32_e32 v90, 0x10000, v80
	s_delay_alu instid0(VALU_DEP_2) | instskip(NEXT) | instid1(VALU_DEP_2)
	v_cmp_eq_u32_e32 vcc_lo, 0, v79
	v_cndmask_b32_e32 v79, v90, v80, vcc_lo
; %bb.54:
	s_or_b32 exec_lo, exec_lo, s3
	v_and_b32_e32 v80, 0x7f800000, v92
	s_delay_alu instid0(VALU_DEP_1) | instskip(SKIP_1) | instid1(SALU_CYCLE_1)
	v_cmp_ne_u32_e32 vcc_lo, 0x7f800000, v80
                                        ; implicit-def: $vgpr80
	s_and_saveexec_b32 s3, vcc_lo
	s_xor_b32 s3, exec_lo, s3
; %bb.55:
	v_bfe_u32 v80, v92, 16, 1
	s_delay_alu instid0(VALU_DEP_1)
	v_add3_u32 v80, v92, v80, 0x7fff
                                        ; implicit-def: $vgpr92
; %bb.56:
	s_and_not1_saveexec_b32 s3, s3
; %bb.57:
	v_and_b32_e32 v80, 0xffff, v92
	v_or_b32_e32 v90, 0x10000, v92
	s_delay_alu instid0(VALU_DEP_2) | instskip(NEXT) | instid1(VALU_DEP_2)
	v_cmp_eq_u32_e32 vcc_lo, 0, v80
	v_cndmask_b32_e32 v80, v90, v92, vcc_lo
; %bb.58:
	s_or_b32 exec_lo, exec_lo, s3
	v_and_b32_e32 v90, 0x7f800000, v91
	s_delay_alu instid0(VALU_DEP_1) | instskip(SKIP_1) | instid1(SALU_CYCLE_1)
	v_cmp_ne_u32_e32 vcc_lo, 0x7f800000, v90
                                        ; implicit-def: $vgpr90
	s_and_saveexec_b32 s3, vcc_lo
	s_xor_b32 s3, exec_lo, s3
; %bb.59:
	v_bfe_u32 v90, v91, 16, 1
	s_delay_alu instid0(VALU_DEP_1)
	v_add3_u32 v90, v91, v90, 0x7fff
                                        ; implicit-def: $vgpr91
; %bb.60:
	s_and_not1_saveexec_b32 s3, s3
; %bb.61:
	v_and_b32_e32 v90, 0xffff, v91
	v_or_b32_e32 v92, 0x10000, v91
	s_delay_alu instid0(VALU_DEP_2) | instskip(NEXT) | instid1(VALU_DEP_2)
	v_cmp_eq_u32_e32 vcc_lo, 0, v90
	v_cndmask_b32_e32 v90, v92, v91, vcc_lo
; %bb.62:
	s_or_b32 exec_lo, exec_lo, s3
	v_and_b32_e32 v91, 0x7f800000, v86
	s_delay_alu instid0(VALU_DEP_1) | instskip(SKIP_1) | instid1(SALU_CYCLE_1)
	v_cmp_ne_u32_e32 vcc_lo, 0x7f800000, v91
                                        ; implicit-def: $vgpr91
	s_and_saveexec_b32 s3, vcc_lo
	s_xor_b32 s3, exec_lo, s3
; %bb.63:
	v_bfe_u32 v91, v86, 16, 1
	s_delay_alu instid0(VALU_DEP_1)
	v_add3_u32 v91, v86, v91, 0x7fff
                                        ; implicit-def: $vgpr86
; %bb.64:
	s_and_not1_saveexec_b32 s3, s3
; %bb.65:
	v_and_b32_e32 v91, 0xffff, v86
	v_or_b32_e32 v92, 0x10000, v86
	s_delay_alu instid0(VALU_DEP_2) | instskip(NEXT) | instid1(VALU_DEP_2)
	v_cmp_eq_u32_e32 vcc_lo, 0, v91
	v_cndmask_b32_e32 v91, v92, v86, vcc_lo
; %bb.66:
	s_or_b32 exec_lo, exec_lo, s3
	v_and_b32_e32 v86, 0x7f800000, v87
	s_delay_alu instid0(VALU_DEP_1) | instskip(SKIP_1) | instid1(SALU_CYCLE_1)
	v_cmp_ne_u32_e32 vcc_lo, 0x7f800000, v86
                                        ; implicit-def: $vgpr86
	s_and_saveexec_b32 s3, vcc_lo
	s_xor_b32 s3, exec_lo, s3
; %bb.67:
	v_bfe_u32 v86, v87, 16, 1
	s_delay_alu instid0(VALU_DEP_1)
	v_add3_u32 v86, v87, v86, 0x7fff
                                        ; implicit-def: $vgpr87
; %bb.68:
	s_and_not1_saveexec_b32 s3, s3
; %bb.69:
	v_and_b32_e32 v86, 0xffff, v87
	v_or_b32_e32 v92, 0x10000, v87
	s_delay_alu instid0(VALU_DEP_2) | instskip(NEXT) | instid1(VALU_DEP_2)
	v_cmp_eq_u32_e32 vcc_lo, 0, v86
	v_cndmask_b32_e32 v86, v92, v87, vcc_lo
; %bb.70:
	s_or_b32 exec_lo, exec_lo, s3
	v_and_b32_e32 v87, 0x7f800000, v88
	s_delay_alu instid0(VALU_DEP_1) | instskip(SKIP_1) | instid1(SALU_CYCLE_1)
	v_cmp_ne_u32_e32 vcc_lo, 0x7f800000, v87
                                        ; implicit-def: $vgpr87
	s_and_saveexec_b32 s3, vcc_lo
	s_xor_b32 s3, exec_lo, s3
; %bb.71:
	v_bfe_u32 v87, v88, 16, 1
	s_delay_alu instid0(VALU_DEP_1)
	v_add3_u32 v87, v88, v87, 0x7fff
                                        ; implicit-def: $vgpr88
; %bb.72:
	s_and_not1_saveexec_b32 s3, s3
; %bb.73:
	v_and_b32_e32 v87, 0xffff, v88
	v_or_b32_e32 v92, 0x10000, v88
	s_delay_alu instid0(VALU_DEP_2) | instskip(NEXT) | instid1(VALU_DEP_2)
	v_cmp_eq_u32_e32 vcc_lo, 0, v87
	v_cndmask_b32_e32 v87, v92, v88, vcc_lo
; %bb.74:
	s_or_b32 exec_lo, exec_lo, s3
	v_and_b32_e32 v88, 0x7f800000, v89
	s_delay_alu instid0(VALU_DEP_1) | instskip(SKIP_1) | instid1(SALU_CYCLE_1)
	v_cmp_ne_u32_e32 vcc_lo, 0x7f800000, v88
                                        ; implicit-def: $vgpr88
	s_and_saveexec_b32 s3, vcc_lo
	s_xor_b32 s3, exec_lo, s3
; %bb.75:
	v_bfe_u32 v88, v89, 16, 1
	s_delay_alu instid0(VALU_DEP_1)
	v_add3_u32 v88, v89, v88, 0x7fff
                                        ; implicit-def: $vgpr89
; %bb.76:
	s_and_not1_saveexec_b32 s3, s3
; %bb.77:
	v_and_b32_e32 v88, 0xffff, v89
	v_or_b32_e32 v92, 0x10000, v89
	s_delay_alu instid0(VALU_DEP_2) | instskip(NEXT) | instid1(VALU_DEP_2)
	v_cmp_eq_u32_e32 vcc_lo, 0, v88
	v_cndmask_b32_e32 v88, v92, v89, vcc_lo
; %bb.78:
	s_or_b32 exec_lo, exec_lo, s3
	s_delay_alu instid0(VALU_DEP_1)
	v_perm_b32 v89, v88, v87, 0x7060302
	v_perm_b32 v88, v86, v91, 0x7060302
	;; [unrolled: 1-line block ×4, first 2 shown]
	v_lshl_or_b32 v90, v74, 11, v85
	ds_store_b128 v77, v[86:89] offset:1024
	s_waitcnt lgkmcnt(0)
	s_barrier
	buffer_gl0_inv
	ds_load_b128 v[91:94], v90
	ds_load_b128 v[95:98], v90 offset:16
	v_lshlrev_b32_e32 v87, 2, v83
	s_delay_alu instid0(VALU_DEP_1)
	v_or_b32_e32 v88, 1, v87
	v_cmp_eq_u32_e32 vcc_lo, 1, v87
	v_cmp_eq_u32_e64 s4, 2, v87
	v_cmp_eq_u32_e64 s7, 3, v87
	;; [unrolled: 1-line block ×6, first 2 shown]
	v_or_b32_e32 v86, 2, v87
	v_cmp_eq_u32_e64 s10, 5, v87
	v_cmp_eq_u32_e64 s11, 4, v88
	;; [unrolled: 1-line block ×4, first 2 shown]
	s_waitcnt lgkmcnt(1)
	v_lshrrev_b32_e32 v74, 16, v91
	s_waitcnt lgkmcnt(0)
	v_lshrrev_b32_e32 v103, 16, v95
	v_lshrrev_b32_e32 v80, 16, v94
	;; [unrolled: 1-line block ×4, first 2 shown]
	v_cndmask_b32_e32 v89, v91, v74, vcc_lo
	v_cndmask_b32_e32 v99, v95, v103, vcc_lo
	v_cndmask_b32_e64 v100, v91, v74, s3
	v_lshrrev_b32_e32 v79, 16, v93
	v_lshrrev_b32_e32 v108, 16, v97
	v_cndmask_b32_e64 v89, v89, v92, s4
	v_cndmask_b32_e64 v99, v99, v96, s4
	;; [unrolled: 1-line block ×4, first 2 shown]
	v_cmp_eq_u32_e64 s5, 1, v86
	v_cndmask_b32_e64 v89, v89, v78, s7
	v_cndmask_b32_e64 v99, v99, v107, s7
	;; [unrolled: 1-line block ×4, first 2 shown]
	v_lshrrev_b32_e32 v109, 16, v98
	v_cndmask_b32_e64 v89, v89, v93, s9
	v_cndmask_b32_e64 v99, v99, v97, s9
	v_cndmask_b32_e64 v100, v100, v93, s11
	v_cndmask_b32_e64 v102, v91, v74, s5
	v_cndmask_b32_e64 v101, v101, v107, s8
	v_cndmask_b32_e64 v89, v89, v79, s10
	v_cndmask_b32_e64 v99, v99, v108, s10
	v_cndmask_b32_e64 v100, v100, v79, s13
	v_cmp_eq_u32_e64 s15, 7, v87
	v_cmp_eq_u32_e64 s16, 6, v88
	v_cndmask_b32_e64 v89, v89, v94, s12
	v_cndmask_b32_e64 v99, v99, v98, s12
	v_cmp_eq_u32_e64 s17, 2, v86
	v_cndmask_b32_e64 v101, v101, v97, s11
	v_cndmask_b32_e64 v100, v100, v94, s16
	;; [unrolled: 1-line block ×6, first 2 shown]
	v_cmp_eq_u32_e64 s18, 7, v88
	v_cmp_eq_u32_e64 s19, 3, v86
	;; [unrolled: 1-line block ×4, first 2 shown]
	v_cndmask_b32_e64 v99, v99, v96, s17
	v_cndmask_b32_e64 v112, v100, v80, s18
	;; [unrolled: 1-line block ×4, first 2 shown]
	v_or_b32_e32 v89, 3, v87
	v_cndmask_b32_e64 v105, v99, v107, s19
	v_cmp_eq_u32_e64 s24, 6, v86
	v_cndmask_b32_e64 v113, v100, v98, s16
	v_cndmask_b32_e64 v104, v101, v93, s20
	ds_load_b128 v[99:102], v90 offset:1024
	v_cmp_eq_u32_e64 s21, 1, v89
	v_cmp_eq_u32_e64 s23, 2, v89
	;; [unrolled: 1-line block ×3, first 2 shown]
	v_cndmask_b32_e64 v114, v104, v79, s22
	v_cmp_eq_u32_e64 s26, 4, v89
	v_cndmask_b32_e64 v74, v91, v74, s21
	v_cndmask_b32_e64 v91, v105, v97, s20
	;; [unrolled: 1-line block ×3, first 2 shown]
	ds_load_b128 v[103:106], v90 offset:1040
	v_cmp_eq_u32_e64 s28, 5, v89
	v_cndmask_b32_e64 v74, v74, v92, s23
	v_cndmask_b32_e64 v91, v91, v108, s22
	;; [unrolled: 1-line block ×3, first 2 shown]
	v_cmp_eq_u32_e64 s29, 6, v89
	v_cndmask_b32_e64 v95, v113, v109, s18
	v_cndmask_b32_e64 v74, v74, v78, s25
	;; [unrolled: 1-line block ×5, first 2 shown]
	s_waitcnt lgkmcnt(1)
	v_lshrrev_b32_e32 v96, 16, v99
	v_cndmask_b32_e64 v74, v74, v93, s26
	v_lshrrev_b32_e32 v107, 16, v100
	v_cndmask_b32_e64 v92, v92, v97, s26
	v_cmp_eq_u32_e64 s27, 7, v86
	v_cndmask_b32_e32 v93, v99, v96, vcc_lo
	v_cndmask_b32_e64 v74, v74, v79, s28
	s_delay_alu instid0(VALU_DEP_4)
	v_cndmask_b32_e64 v79, v92, v108, s28
	s_waitcnt lgkmcnt(0)
	v_lshrrev_b32_e32 v97, 16, v103
	v_cndmask_b32_e64 v92, v93, v100, s4
	v_cndmask_b32_e64 v93, v99, v96, s3
	;; [unrolled: 1-line block ×4, first 2 shown]
	v_cndmask_b32_e32 v108, v103, v97, vcc_lo
	v_cndmask_b32_e64 v92, v92, v107, s7
	v_cndmask_b32_e64 v93, v93, v100, s6
	v_lshrrev_b32_e32 v98, 16, v104
	v_cmp_eq_u32_e32 vcc_lo, 7, v89
	v_cndmask_b32_e64 v94, v108, v104, s4
	v_cndmask_b32_e64 v92, v92, v101, s9
	v_lshrrev_b32_e32 v108, 16, v101
	v_cndmask_b32_e64 v93, v93, v107, s8
	v_cndmask_b32_e32 v74, v74, v80, vcc_lo
	v_cndmask_b32_e64 v94, v94, v98, s7
	v_cndmask_b32_e32 v79, v79, v109, vcc_lo
	v_cndmask_b32_e64 v92, v92, v108, s10
	v_cndmask_b32_e64 v78, v78, v80, s27
	;; [unrolled: 1-line block ×4, first 2 shown]
	v_perm_b32 v94, v79, v74, 0x5040100
	v_cndmask_b32_e64 v79, v92, v102, s12
	v_perm_b32 v92, v95, v112, 0x5040100
	v_cndmask_b32_e64 v95, v99, v96, s5
	v_cndmask_b32_e64 v96, v99, v96, s21
	;; [unrolled: 1-line block ×16, first 2 shown]
	v_lshrrev_b32_e32 v109, 16, v105
	v_cndmask_b32_e64 v95, v95, v101, s20
	v_cndmask_b32_e64 v96, v96, v101, s26
	;; [unrolled: 1-line block ×6, first 2 shown]
	v_lshrrev_b32_e32 v80, 16, v102
	v_cndmask_b32_e64 v113, v93, v109, s10
	v_cndmask_b32_e64 v95, v95, v108, s22
	;; [unrolled: 1-line block ×6, first 2 shown]
	v_perm_b32 v93, v91, v78, 0x5040100
	v_cndmask_b32_e64 v74, v74, v102, s16
	v_cndmask_b32_e64 v78, v79, v80, s15
	;; [unrolled: 1-line block ×3, first 2 shown]
	v_lshrrev_b32_e32 v91, 16, v106
	v_cndmask_b32_e64 v95, v95, v102, s24
	v_cndmask_b32_e64 v96, v96, v102, s29
	;; [unrolled: 1-line block ×7, first 2 shown]
	v_cndmask_b32_e32 v80, v96, v80, vcc_lo
	v_cndmask_b32_e32 v96, v98, v91, vcc_lo
	v_cndmask_b32_e64 v99, v99, v91, s27
	v_cndmask_b32_e64 v100, v97, v91, s18
	;; [unrolled: 1-line block ×3, first 2 shown]
	v_perm_b32 v91, v111, v110, 0x5040100
	v_perm_b32 v98, v96, v80, 0x5040100
	;; [unrolled: 1-line block ×5, first 2 shown]
	s_mul_i32 s8, s35, 5
	s_mov_b32 s3, exec_lo
	ds_store_b128 v77, v[91:94]
	ds_store_b128 v77, v[95:98] offset:1024
	v_cmpx_gt_u32_e32 5, v0
	s_cbranch_execz .LBB734_80
; %bb.79:
	s_mul_i32 s4, s8, s30
	s_delay_alu instid0(SALU_CYCLE_1) | instskip(SKIP_1) | instid1(VALU_DEP_1)
	v_add3_u32 v77, s4, s31, v73
	s_load_b128 s[4:7], s[0:1], 0x58
	v_mad_u64_u32 v[73:74], null, v77, s34, s[14:15]
	s_delay_alu instid0(VALU_DEP_1) | instskip(NEXT) | instid1(VALU_DEP_1)
	v_ashrrev_i32_e32 v74, 31, v73
	v_lshlrev_b64 v[73:74], 2, v[73:74]
	s_waitcnt lgkmcnt(0)
	s_delay_alu instid0(VALU_DEP_1) | instskip(NEXT) | instid1(VALU_DEP_2)
	v_add_co_u32 v77, vcc_lo, s6, v73
	v_add_co_ci_u32_e32 v78, vcc_lo, s7, v74, vcc_lo
	v_add_co_u32 v73, vcc_lo, s4, v73
	v_add_co_ci_u32_e32 v74, vcc_lo, s5, v74, vcc_lo
	global_store_b32 v[77:78], v75, off
	global_store_b32 v[73:74], v76, off
.LBB734_80:
	s_or_b32 exec_lo, exec_lo, s3
	s_waitcnt lgkmcnt(0)
	s_waitcnt_vscnt null, 0x0
	s_barrier
	buffer_gl0_inv
	ds_load_b128 v[91:94], v85
	ds_load_b128 v[95:98], v85 offset:16
	ds_load_b128 v[103:106], v85 offset:1040
	;; [unrolled: 1-line block ×3, first 2 shown]
	v_mov_b32_e32 v73, 0
	ds_load_b128 v[111:114], v85 offset:2064
	ds_load_b128 v[107:110], v85 offset:2048
	;; [unrolled: 1-line block ×6, first 2 shown]
	v_mov_b32_e32 v74, v73
	v_mov_b32_e32 v75, v73
	;; [unrolled: 1-line block ×7, first 2 shown]
	s_waitcnt lgkmcnt(8)
	s_delay_alu instid0(VALU_DEP_1)
	v_wmma_f32_16x16x16_bf16 v[73:80], v[65:72], v[91:98], v[73:80]
	ds_load_b128 v[69:72], v85 offset:5136
	ds_load_b128 v[65:68], v85 offset:5120
	;; [unrolled: 1-line block ×4, first 2 shown]
	s_waitcnt lgkmcnt(10)
	v_wmma_f32_16x16x16_bf16 v[73:80], v[57:64], v[99:106], v[73:80]
	s_waitcnt lgkmcnt(8)
	s_delay_alu instid0(VALU_DEP_1)
	v_wmma_f32_16x16x16_bf16 v[73:80], v[57:64], v[107:114], v[73:80]
	ds_load_b128 v[61:64], v85 offset:7184
	ds_load_b128 v[57:60], v85 offset:7168
	;; [unrolled: 1-line block ×4, first 2 shown]
	s_waitcnt lgkmcnt(10)
	v_wmma_f32_16x16x16_bf16 v[73:80], v[49:56], v[115:122], v[73:80]
	s_waitcnt lgkmcnt(8)
	s_delay_alu instid0(VALU_DEP_1)
	v_wmma_f32_16x16x16_bf16 v[73:80], v[49:56], v[123:130], v[73:80]
	ds_load_b128 v[53:56], v85 offset:9232
	ds_load_b128 v[49:52], v85 offset:9216
	s_waitcnt lgkmcnt(8)
	v_wmma_f32_16x16x16_bf16 v[73:80], v[41:48], v[65:72], v[73:80]
	ds_load_b128 v[69:72], v85 offset:10256
	ds_load_b128 v[65:68], v85 offset:10240
	s_waitcnt lgkmcnt(8)
	;; [unrolled: 4-line block ×3, first 2 shown]
	v_wmma_f32_16x16x16_bf16 v[73:80], v[9:16], v[57:64], v[73:80]
	s_waitcnt lgkmcnt(6)
	s_delay_alu instid0(VALU_DEP_1)
	v_wmma_f32_16x16x16_bf16 v[73:80], v[9:16], v[99:106], v[73:80]
	ds_load_b128 v[13:16], v85 offset:12304
	ds_load_b128 v[9:12], v85 offset:12288
	s_waitcnt lgkmcnt(6)
	v_wmma_f32_16x16x16_bf16 v[73:80], v[1:8], v[49:56], v[73:80]
	ds_load_b128 v[53:56], v85 offset:13328
	ds_load_b128 v[49:52], v85 offset:13312
	s_waitcnt lgkmcnt(6)
	v_wmma_f32_16x16x16_bf16 v[73:80], v[1:8], v[65:72], v[73:80]
	ds_load_b128 v[5:8], v85 offset:14352
	ds_load_b128 v[1:4], v85 offset:14336
	s_waitcnt lgkmcnt(6)
	v_wmma_f32_16x16x16_bf16 v[73:80], v[33:40], v[41:48], v[73:80]
	ds_load_b128 v[45:48], v85 offset:15376
	ds_load_b128 v[41:44], v85 offset:15360
	s_waitcnt lgkmcnt(6)
	v_wmma_f32_16x16x16_bf16 v[73:80], v[33:40], v[9:16], v[73:80]
	s_waitcnt lgkmcnt(4)
	s_delay_alu instid0(VALU_DEP_1) | instskip(SKIP_1) | instid1(VALU_DEP_1)
	v_wmma_f32_16x16x16_bf16 v[73:80], v[25:32], v[49:56], v[73:80]
	s_waitcnt lgkmcnt(2)
	v_wmma_f32_16x16x16_bf16 v[73:80], v[25:32], v[1:8], v[73:80]
	s_waitcnt lgkmcnt(0)
	s_delay_alu instid0(VALU_DEP_1) | instskip(NEXT) | instid1(VALU_DEP_1)
	v_wmma_f32_16x16x16_bf16 v[73:80], v[17:24], v[41:48], v[73:80]
	v_and_b32_e32 v1, 0x7f800000, v73
	s_delay_alu instid0(VALU_DEP_1) | instskip(SKIP_1) | instid1(SALU_CYCLE_1)
	v_cmp_ne_u32_e32 vcc_lo, 0x7f800000, v1
                                        ; implicit-def: $vgpr1
	s_and_saveexec_b32 s3, vcc_lo
	s_xor_b32 s3, exec_lo, s3
; %bb.81:
	v_bfe_u32 v1, v73, 16, 1
	s_delay_alu instid0(VALU_DEP_1)
	v_add3_u32 v1, v73, v1, 0x7fff
; %bb.82:
	s_and_not1_saveexec_b32 s3, s3
; %bb.83:
	v_and_b32_e32 v1, 0xffff, v73
	v_or_b32_e32 v2, 0x10000, v73
	s_delay_alu instid0(VALU_DEP_2) | instskip(NEXT) | instid1(VALU_DEP_2)
	v_cmp_eq_u32_e32 vcc_lo, 0, v1
	v_cndmask_b32_e32 v1, v2, v73, vcc_lo
; %bb.84:
	s_or_b32 exec_lo, exec_lo, s3
	v_and_b32_e32 v2, 0x7f800000, v74
	s_delay_alu instid0(VALU_DEP_1) | instskip(SKIP_1) | instid1(SALU_CYCLE_1)
	v_cmp_ne_u32_e32 vcc_lo, 0x7f800000, v2
                                        ; implicit-def: $vgpr2
	s_and_saveexec_b32 s3, vcc_lo
	s_xor_b32 s3, exec_lo, s3
; %bb.85:
	v_bfe_u32 v2, v74, 16, 1
	s_delay_alu instid0(VALU_DEP_1)
	v_add3_u32 v2, v74, v2, 0x7fff
; %bb.86:
	s_and_not1_saveexec_b32 s3, s3
; %bb.87:
	v_and_b32_e32 v2, 0xffff, v74
	v_or_b32_e32 v3, 0x10000, v74
	s_delay_alu instid0(VALU_DEP_2) | instskip(NEXT) | instid1(VALU_DEP_2)
	v_cmp_eq_u32_e32 vcc_lo, 0, v2
	v_cndmask_b32_e32 v2, v3, v74, vcc_lo
; %bb.88:
	s_or_b32 exec_lo, exec_lo, s3
	v_and_b32_e32 v3, 0x7f800000, v75
	s_delay_alu instid0(VALU_DEP_1) | instskip(SKIP_1) | instid1(SALU_CYCLE_1)
	v_cmp_ne_u32_e32 vcc_lo, 0x7f800000, v3
                                        ; implicit-def: $vgpr3
	s_and_saveexec_b32 s3, vcc_lo
	s_xor_b32 s3, exec_lo, s3
; %bb.89:
	v_bfe_u32 v3, v75, 16, 1
	s_delay_alu instid0(VALU_DEP_1)
	v_add3_u32 v3, v75, v3, 0x7fff
; %bb.90:
	s_and_not1_saveexec_b32 s3, s3
; %bb.91:
	v_and_b32_e32 v3, 0xffff, v75
	v_or_b32_e32 v4, 0x10000, v75
	s_delay_alu instid0(VALU_DEP_2) | instskip(NEXT) | instid1(VALU_DEP_2)
	v_cmp_eq_u32_e32 vcc_lo, 0, v3
	v_cndmask_b32_e32 v3, v4, v75, vcc_lo
; %bb.92:
	s_or_b32 exec_lo, exec_lo, s3
	v_and_b32_e32 v4, 0x7f800000, v76
	s_delay_alu instid0(VALU_DEP_1) | instskip(SKIP_1) | instid1(SALU_CYCLE_1)
	v_cmp_ne_u32_e32 vcc_lo, 0x7f800000, v4
                                        ; implicit-def: $vgpr4
	s_and_saveexec_b32 s3, vcc_lo
	s_xor_b32 s3, exec_lo, s3
; %bb.93:
	v_bfe_u32 v4, v76, 16, 1
	s_delay_alu instid0(VALU_DEP_1)
	v_add3_u32 v4, v76, v4, 0x7fff
; %bb.94:
	s_and_not1_saveexec_b32 s3, s3
; %bb.95:
	v_and_b32_e32 v4, 0xffff, v76
	v_or_b32_e32 v5, 0x10000, v76
	s_delay_alu instid0(VALU_DEP_2) | instskip(NEXT) | instid1(VALU_DEP_2)
	v_cmp_eq_u32_e32 vcc_lo, 0, v4
	v_cndmask_b32_e32 v4, v5, v76, vcc_lo
; %bb.96:
	s_or_b32 exec_lo, exec_lo, s3
	v_and_b32_e32 v5, 0x7f800000, v77
	s_delay_alu instid0(VALU_DEP_1) | instskip(SKIP_1) | instid1(SALU_CYCLE_1)
	v_cmp_ne_u32_e32 vcc_lo, 0x7f800000, v5
                                        ; implicit-def: $vgpr5
	s_and_saveexec_b32 s3, vcc_lo
	s_xor_b32 s3, exec_lo, s3
; %bb.97:
	v_bfe_u32 v5, v77, 16, 1
	s_delay_alu instid0(VALU_DEP_1)
	v_add3_u32 v5, v77, v5, 0x7fff
; %bb.98:
	s_and_not1_saveexec_b32 s3, s3
; %bb.99:
	v_and_b32_e32 v5, 0xffff, v77
	v_or_b32_e32 v6, 0x10000, v77
	s_delay_alu instid0(VALU_DEP_2) | instskip(NEXT) | instid1(VALU_DEP_2)
	v_cmp_eq_u32_e32 vcc_lo, 0, v5
	v_cndmask_b32_e32 v5, v6, v77, vcc_lo
; %bb.100:
	s_or_b32 exec_lo, exec_lo, s3
	v_and_b32_e32 v6, 0x7f800000, v78
	s_delay_alu instid0(VALU_DEP_1) | instskip(SKIP_1) | instid1(SALU_CYCLE_1)
	v_cmp_ne_u32_e32 vcc_lo, 0x7f800000, v6
                                        ; implicit-def: $vgpr6
	s_and_saveexec_b32 s3, vcc_lo
	s_xor_b32 s3, exec_lo, s3
; %bb.101:
	v_bfe_u32 v6, v78, 16, 1
	s_delay_alu instid0(VALU_DEP_1)
	v_add3_u32 v6, v78, v6, 0x7fff
; %bb.102:
	s_and_not1_saveexec_b32 s3, s3
; %bb.103:
	v_and_b32_e32 v6, 0xffff, v78
	v_or_b32_e32 v7, 0x10000, v78
	s_delay_alu instid0(VALU_DEP_2) | instskip(NEXT) | instid1(VALU_DEP_2)
	v_cmp_eq_u32_e32 vcc_lo, 0, v6
	v_cndmask_b32_e32 v6, v7, v78, vcc_lo
; %bb.104:
	s_or_b32 exec_lo, exec_lo, s3
	v_and_b32_e32 v7, 0x7f800000, v79
	s_delay_alu instid0(VALU_DEP_1) | instskip(SKIP_1) | instid1(SALU_CYCLE_1)
	v_cmp_ne_u32_e32 vcc_lo, 0x7f800000, v7
                                        ; implicit-def: $vgpr7
	s_and_saveexec_b32 s3, vcc_lo
	s_xor_b32 s3, exec_lo, s3
; %bb.105:
	v_bfe_u32 v7, v79, 16, 1
	s_delay_alu instid0(VALU_DEP_1)
	v_add3_u32 v7, v79, v7, 0x7fff
; %bb.106:
	s_and_not1_saveexec_b32 s3, s3
; %bb.107:
	v_and_b32_e32 v7, 0xffff, v79
	v_or_b32_e32 v8, 0x10000, v79
	s_delay_alu instid0(VALU_DEP_2) | instskip(NEXT) | instid1(VALU_DEP_2)
	v_cmp_eq_u32_e32 vcc_lo, 0, v7
	v_cndmask_b32_e32 v7, v8, v79, vcc_lo
; %bb.108:
	s_or_b32 exec_lo, exec_lo, s3
	v_and_b32_e32 v8, 0x7f800000, v80
	s_delay_alu instid0(VALU_DEP_1) | instskip(SKIP_1) | instid1(SALU_CYCLE_1)
	v_cmp_ne_u32_e32 vcc_lo, 0x7f800000, v8
                                        ; implicit-def: $vgpr8
	s_and_saveexec_b32 s3, vcc_lo
	s_xor_b32 s3, exec_lo, s3
; %bb.109:
	v_bfe_u32 v8, v80, 16, 1
	s_delay_alu instid0(VALU_DEP_1)
	v_add3_u32 v8, v80, v8, 0x7fff
                                        ; implicit-def: $vgpr73_vgpr74_vgpr75_vgpr76_vgpr77_vgpr78_vgpr79_vgpr80
; %bb.110:
	s_and_not1_saveexec_b32 s3, s3
; %bb.111:
	v_and_b32_e32 v8, 0xffff, v80
	v_or_b32_e32 v9, 0x10000, v80
	s_delay_alu instid0(VALU_DEP_2) | instskip(NEXT) | instid1(VALU_DEP_2)
	v_cmp_eq_u32_e32 vcc_lo, 0, v8
	v_cndmask_b32_e32 v8, v9, v80, vcc_lo
; %bb.112:
	s_or_b32 exec_lo, exec_lo, s3
	s_delay_alu instid0(VALU_DEP_1)
	v_perm_b32 v7, v8, v7, 0x7060302
	v_perm_b32 v6, v6, v5, 0x7060302
	;; [unrolled: 1-line block ×4, first 2 shown]
	v_lshl_or_b32 v9, v83, 4, v90
	s_barrier
	buffer_gl0_inv
	v_cmp_eq_u32_e32 vcc_lo, 1, v87
	ds_store_b128 v9, v[4:7]
	s_waitcnt lgkmcnt(0)
	s_barrier
	buffer_gl0_inv
	ds_load_b128 v[1:4], v90
	ds_load_b128 v[5:8], v90 offset:16
	v_cmp_eq_u32_e64 s4, 2, v87
	v_cmp_eq_u32_e64 s3, 1, v88
	;; [unrolled: 1-line block ×5, first 2 shown]
	s_waitcnt lgkmcnt(1)
	v_lshrrev_b32_e32 v10, 16, v1
	s_waitcnt lgkmcnt(0)
	v_lshrrev_b32_e32 v14, 16, v5
	v_lshrrev_b32_e32 v15, 16, v6
	;; [unrolled: 1-line block ×4, first 2 shown]
	v_cndmask_b32_e64 v20, v1, v10, s3
	v_cndmask_b32_e32 v19, v5, v14, vcc_lo
	v_cndmask_b32_e64 v21, v5, v14, s3
	v_lshrrev_b32_e32 v16, 16, v7
	v_cmp_eq_u32_e64 s3, 1, v86
	v_lshrrev_b32_e32 v13, 16, v4
	v_cndmask_b32_e64 v19, v19, v6, s4
	v_lshrrev_b32_e32 v17, 16, v8
	s_delay_alu instid0(VALU_DEP_4) | instskip(SKIP_1) | instid1(VALU_DEP_4)
	v_cndmask_b32_e64 v22, v1, v10, s3
	v_cndmask_b32_e64 v23, v5, v14, s3
	;; [unrolled: 1-line block ×3, first 2 shown]
	v_cndmask_b32_e32 v18, v1, v10, vcc_lo
	v_cmp_eq_u32_e32 vcc_lo, 2, v88
	v_cmp_eq_u32_e64 s3, 2, v89
	v_cndmask_b32_e64 v22, v22, v2, s7
	v_cndmask_b32_e32 v20, v20, v2, vcc_lo
	v_cndmask_b32_e32 v21, v21, v6, vcc_lo
	v_cmp_eq_u32_e32 vcc_lo, 4, v87
	v_cndmask_b32_e32 v19, v19, v7, vcc_lo
	v_cndmask_b32_e64 v18, v18, v2, s4
	v_cmp_eq_u32_e64 s4, 3, v88
	s_delay_alu instid0(VALU_DEP_2) | instskip(NEXT) | instid1(VALU_DEP_2)
	v_cndmask_b32_e64 v18, v18, v11, s5
	v_cndmask_b32_e64 v21, v21, v15, s4
	v_cmp_eq_u32_e64 s5, 5, v87
	s_delay_alu instid0(VALU_DEP_3) | instskip(SKIP_1) | instid1(VALU_DEP_3)
	v_cndmask_b32_e32 v18, v18, v3, vcc_lo
	v_cmp_eq_u32_e32 vcc_lo, 4, v88
	v_cndmask_b32_e64 v19, v19, v16, s5
	s_delay_alu instid0(VALU_DEP_3) | instskip(SKIP_4) | instid1(VALU_DEP_3)
	v_cndmask_b32_e64 v18, v18, v12, s5
	v_cndmask_b32_e32 v21, v21, v7, vcc_lo
	v_cndmask_b32_e64 v20, v20, v11, s4
	v_cmp_eq_u32_e64 s4, 5, v88
	v_cmp_eq_u32_e64 s5, 6, v87
	v_cndmask_b32_e32 v20, v20, v3, vcc_lo
	s_delay_alu instid0(VALU_DEP_3) | instskip(SKIP_1) | instid1(VALU_DEP_4)
	v_cndmask_b32_e64 v21, v21, v16, s4
	v_cmp_eq_u32_e32 vcc_lo, 6, v88
	v_cndmask_b32_e64 v18, v18, v4, s5
	v_cndmask_b32_e64 v19, v19, v8, s5
	;; [unrolled: 1-line block ×3, first 2 shown]
	v_cmp_eq_u32_e64 s4, 1, v89
	v_cmp_eq_u32_e64 s5, 7, v87
	s_delay_alu instid0(VALU_DEP_3) | instskip(NEXT) | instid1(VALU_DEP_3)
	v_cndmask_b32_e32 v20, v20, v4, vcc_lo
	v_cndmask_b32_e64 v1, v1, v10, s4
	v_cndmask_b32_e64 v5, v5, v14, s4
	v_cmp_eq_u32_e64 s4, 3, v86
	v_cndmask_b32_e64 v14, v23, v6, s7
	v_cmp_eq_u32_e64 s7, 3, v89
	v_cndmask_b32_e64 v1, v1, v2, s3
	v_cndmask_b32_e64 v2, v5, v6, s3
	;; [unrolled: 1-line block ×3, first 2 shown]
	v_cmp_eq_u32_e64 s3, 4, v86
	v_cndmask_b32_e64 v6, v14, v15, s4
	v_cndmask_b32_e64 v1, v1, v11, s7
	v_cmp_eq_u32_e64 s4, 4, v89
	v_cndmask_b32_e64 v2, v2, v15, s7
	v_cndmask_b32_e64 v5, v10, v3, s3
	;; [unrolled: 3-line block ×3, first 2 shown]
	v_cndmask_b32_e64 v2, v2, v7, s4
	v_cmp_eq_u32_e64 s3, 5, v89
	v_cndmask_b32_e64 v5, v5, v12, s7
	v_cmp_eq_u32_e64 s4, 6, v86
	;; [unrolled: 2-line block ×3, first 2 shown]
	v_cndmask_b32_e64 v1, v1, v12, s3
	v_cndmask_b32_e64 v2, v2, v16, s3
	;; [unrolled: 1-line block ×4, first 2 shown]
	v_cmp_eq_u32_e64 s3, 7, v89
	v_cndmask_b32_e64 v1, v1, v4, s7
	v_cndmask_b32_e64 v2, v2, v8, s7
	v_cmp_eq_u32_e64 s4, 7, v86
	v_cndmask_b32_e32 v4, v21, v8, vcc_lo
	v_cndmask_b32_e64 v18, v18, v13, s5
	v_cndmask_b32_e64 v20, v20, v13, s6
	;; [unrolled: 1-line block ×8, first 2 shown]
	s_mov_b32 s3, exec_lo
	v_perm_b32 v4, v2, v1, 0x5040100
	v_perm_b32 v3, v3, v5, 0x5040100
	;; [unrolled: 1-line block ×4, first 2 shown]
	ds_store_b128 v9, v[1:4]
	s_waitcnt lgkmcnt(0)
	s_barrier
	buffer_gl0_inv
	v_cmpx_gt_u32_e32 32, v0
	s_cbranch_execz .LBB734_2
; %bb.113:
	s_load_b64 s[4:5], s[0:1], 0x68
	v_lshlrev_b32_e32 v0, 10, v0
	v_add_nc_u32_e32 v2, s31, v83
	v_lshlrev_b32_e32 v3, 4, v84
	s_lshl_b32 s0, s34, 7
	s_delay_alu instid0(SALU_CYCLE_1) | instskip(NEXT) | instid1(VALU_DEP_2)
	s_mul_i32 s1, s0, s30
	v_mul_lo_u32 v1, v2, s0
	s_delay_alu instid0(VALU_DEP_2) | instskip(SKIP_2) | instid1(SALU_CYCLE_1)
	v_and_or_b32 v0, 0x3800, v0, v3
	v_add_nc_u32_e32 v2, 2, v2
	s_mul_i32 s6, s1, s8
	s_ashr_i32 s7, s6, 31
	s_delay_alu instid0(VALU_DEP_2)
	v_lshl_or_b32 v7, v83, 6, v0
	s_lshl_b64 s[6:7], s[6:7], 1
	v_mul_lo_u32 v11, v2, s0
	v_ashrrev_i32_e32 v2, 31, v1
	ds_load_b128 v[3:6], v7
	ds_load_b128 v[7:10], v7 offset:128
	s_waitcnt lgkmcnt(0)
	s_add_u32 s1, s4, s6
	s_addc_u32 s3, s5, s7
	s_lshl_b32 s4, s14, 7
	v_ashrrev_i32_e32 v12, 31, v11
	s_ashr_i32 s5, s4, 31
	v_lshlrev_b64 v[13:14], 1, v[1:2]
	s_lshl_b64 s[4:5], s[4:5], 1
	s_delay_alu instid0(SALU_CYCLE_1) | instskip(SKIP_4) | instid1(VALU_DEP_3)
	s_add_u32 s1, s1, s4
	s_addc_u32 s3, s3, s5
	v_add_co_u32 v1, vcc_lo, s1, v81
	v_add_co_ci_u32_e32 v2, vcc_lo, s3, v82, vcc_lo
	v_lshlrev_b64 v[11:12], 1, v[11:12]
	v_add_co_u32 v13, vcc_lo, v1, v13
	s_delay_alu instid0(VALU_DEP_3) | instskip(NEXT) | instid1(VALU_DEP_3)
	v_add_co_ci_u32_e32 v14, vcc_lo, v2, v14, vcc_lo
	v_add_co_u32 v11, vcc_lo, v1, v11
	s_delay_alu instid0(VALU_DEP_4)
	v_add_co_ci_u32_e32 v12, vcc_lo, v2, v12, vcc_lo
	s_clause 0x1
	global_store_b128 v[13:14], v[3:6], off
	global_store_b128 v[11:12], v[7:10], off
	s_and_b32 exec_lo, exec_lo, s2
	s_cbranch_execz .LBB734_2
; %bb.114:
	ds_load_b128 v[3:6], v0 offset:256
	s_add_i32 s1, s31, 4
	s_delay_alu instid0(SALU_CYCLE_1) | instskip(NEXT) | instid1(SALU_CYCLE_1)
	s_mul_i32 s0, s1, s0
	s_ashr_i32 s1, s0, 31
	s_delay_alu instid0(SALU_CYCLE_1) | instskip(NEXT) | instid1(SALU_CYCLE_1)
	s_lshl_b64 s[0:1], s[0:1], 1
	v_add_co_u32 v0, vcc_lo, v1, s0
	v_add_co_ci_u32_e32 v1, vcc_lo, s1, v2, vcc_lo
	s_waitcnt lgkmcnt(0)
	global_store_b128 v[0:1], v[3:6], off
	s_nop 0
	s_sendmsg sendmsg(MSG_DEALLOC_VGPRS)
	s_endpgm
	.section	.rodata,"a",@progbits
	.p2align	6, 0x0
	.amdhsa_kernel _Z39paged_attention_ll4mi_QKV_mfma16_kernelI14__hip_bfloat16S0_LN4vllm18Fp8KVCacheDataTypeE0ES0_Li32ELi128ELi256ELb1ELi5EL8MFMAType0EEvPKT_PKT0_S9_ifPKiSB_SB_iPKfiiiPfSE_PS4_PT2_iSD_SD_
		.amdhsa_group_segment_fixed_size 17472
		.amdhsa_private_segment_fixed_size 0
		.amdhsa_kernarg_size 400
		.amdhsa_user_sgpr_count 13
		.amdhsa_user_sgpr_dispatch_ptr 0
		.amdhsa_user_sgpr_queue_ptr 0
		.amdhsa_user_sgpr_kernarg_segment_ptr 1
		.amdhsa_user_sgpr_dispatch_id 0
		.amdhsa_user_sgpr_private_segment_size 0
		.amdhsa_wavefront_size32 1
		.amdhsa_uses_dynamic_stack 0
		.amdhsa_enable_private_segment 0
		.amdhsa_system_sgpr_workgroup_id_x 1
		.amdhsa_system_sgpr_workgroup_id_y 1
		.amdhsa_system_sgpr_workgroup_id_z 1
		.amdhsa_system_sgpr_workgroup_info 0
		.amdhsa_system_vgpr_workitem_id 0
		.amdhsa_next_free_vgpr 157
		.amdhsa_next_free_sgpr 37
		.amdhsa_reserve_vcc 1
		.amdhsa_float_round_mode_32 0
		.amdhsa_float_round_mode_16_64 0
		.amdhsa_float_denorm_mode_32 3
		.amdhsa_float_denorm_mode_16_64 3
		.amdhsa_dx10_clamp 1
		.amdhsa_ieee_mode 1
		.amdhsa_fp16_overflow 0
		.amdhsa_workgroup_processor_mode 1
		.amdhsa_memory_ordered 1
		.amdhsa_forward_progress 0
		.amdhsa_shared_vgpr_count 0
		.amdhsa_exception_fp_ieee_invalid_op 0
		.amdhsa_exception_fp_denorm_src 0
		.amdhsa_exception_fp_ieee_div_zero 0
		.amdhsa_exception_fp_ieee_overflow 0
		.amdhsa_exception_fp_ieee_underflow 0
		.amdhsa_exception_fp_ieee_inexact 0
		.amdhsa_exception_int_div_zero 0
	.end_amdhsa_kernel
	.section	.text._Z39paged_attention_ll4mi_QKV_mfma16_kernelI14__hip_bfloat16S0_LN4vllm18Fp8KVCacheDataTypeE0ES0_Li32ELi128ELi256ELb1ELi5EL8MFMAType0EEvPKT_PKT0_S9_ifPKiSB_SB_iPKfiiiPfSE_PS4_PT2_iSD_SD_,"axG",@progbits,_Z39paged_attention_ll4mi_QKV_mfma16_kernelI14__hip_bfloat16S0_LN4vllm18Fp8KVCacheDataTypeE0ES0_Li32ELi128ELi256ELb1ELi5EL8MFMAType0EEvPKT_PKT0_S9_ifPKiSB_SB_iPKfiiiPfSE_PS4_PT2_iSD_SD_,comdat
.Lfunc_end734:
	.size	_Z39paged_attention_ll4mi_QKV_mfma16_kernelI14__hip_bfloat16S0_LN4vllm18Fp8KVCacheDataTypeE0ES0_Li32ELi128ELi256ELb1ELi5EL8MFMAType0EEvPKT_PKT0_S9_ifPKiSB_SB_iPKfiiiPfSE_PS4_PT2_iSD_SD_, .Lfunc_end734-_Z39paged_attention_ll4mi_QKV_mfma16_kernelI14__hip_bfloat16S0_LN4vllm18Fp8KVCacheDataTypeE0ES0_Li32ELi128ELi256ELb1ELi5EL8MFMAType0EEvPKT_PKT0_S9_ifPKiSB_SB_iPKfiiiPfSE_PS4_PT2_iSD_SD_
                                        ; -- End function
	.section	.AMDGPU.csdata,"",@progbits
; Kernel info:
; codeLenInByte = 9724
; NumSgprs: 39
; NumVgprs: 157
; ScratchSize: 0
; MemoryBound: 0
; FloatMode: 240
; IeeeMode: 1
; LDSByteSize: 17472 bytes/workgroup (compile time only)
; SGPRBlocks: 4
; VGPRBlocks: 19
; NumSGPRsForWavesPerEU: 39
; NumVGPRsForWavesPerEU: 157
; Occupancy: 9
; WaveLimiterHint : 1
; COMPUTE_PGM_RSRC2:SCRATCH_EN: 0
; COMPUTE_PGM_RSRC2:USER_SGPR: 13
; COMPUTE_PGM_RSRC2:TRAP_HANDLER: 0
; COMPUTE_PGM_RSRC2:TGID_X_EN: 1
; COMPUTE_PGM_RSRC2:TGID_Y_EN: 1
; COMPUTE_PGM_RSRC2:TGID_Z_EN: 1
; COMPUTE_PGM_RSRC2:TIDIG_COMP_CNT: 0
	.section	.text._Z39paged_attention_ll4mi_QKV_mfma16_kernelI14__hip_bfloat16S0_LN4vllm18Fp8KVCacheDataTypeE0ES0_Li32ELi128ELi256ELb1ELi6EL8MFMAType0EEvPKT_PKT0_S9_ifPKiSB_SB_iPKfiiiPfSE_PS4_PT2_iSD_SD_,"axG",@progbits,_Z39paged_attention_ll4mi_QKV_mfma16_kernelI14__hip_bfloat16S0_LN4vllm18Fp8KVCacheDataTypeE0ES0_Li32ELi128ELi256ELb1ELi6EL8MFMAType0EEvPKT_PKT0_S9_ifPKiSB_SB_iPKfiiiPfSE_PS4_PT2_iSD_SD_,comdat
	.protected	_Z39paged_attention_ll4mi_QKV_mfma16_kernelI14__hip_bfloat16S0_LN4vllm18Fp8KVCacheDataTypeE0ES0_Li32ELi128ELi256ELb1ELi6EL8MFMAType0EEvPKT_PKT0_S9_ifPKiSB_SB_iPKfiiiPfSE_PS4_PT2_iSD_SD_ ; -- Begin function _Z39paged_attention_ll4mi_QKV_mfma16_kernelI14__hip_bfloat16S0_LN4vllm18Fp8KVCacheDataTypeE0ES0_Li32ELi128ELi256ELb1ELi6EL8MFMAType0EEvPKT_PKT0_S9_ifPKiSB_SB_iPKfiiiPfSE_PS4_PT2_iSD_SD_
	.globl	_Z39paged_attention_ll4mi_QKV_mfma16_kernelI14__hip_bfloat16S0_LN4vllm18Fp8KVCacheDataTypeE0ES0_Li32ELi128ELi256ELb1ELi6EL8MFMAType0EEvPKT_PKT0_S9_ifPKiSB_SB_iPKfiiiPfSE_PS4_PT2_iSD_SD_
	.p2align	8
	.type	_Z39paged_attention_ll4mi_QKV_mfma16_kernelI14__hip_bfloat16S0_LN4vllm18Fp8KVCacheDataTypeE0ES0_Li32ELi128ELi256ELb1ELi6EL8MFMAType0EEvPKT_PKT0_S9_ifPKiSB_SB_iPKfiiiPfSE_PS4_PT2_iSD_SD_,@function
_Z39paged_attention_ll4mi_QKV_mfma16_kernelI14__hip_bfloat16S0_LN4vllm18Fp8KVCacheDataTypeE0ES0_Li32ELi128ELi256ELb1ELi6EL8MFMAType0EEvPKT_PKT0_S9_ifPKiSB_SB_iPKfiiiPfSE_PS4_PT2_iSD_SD_: ; @_Z39paged_attention_ll4mi_QKV_mfma16_kernelI14__hip_bfloat16S0_LN4vllm18Fp8KVCacheDataTypeE0ES0_Li32ELi128ELi256ELb1ELi6EL8MFMAType0EEvPKT_PKT0_S9_ifPKiSB_SB_iPKfiiiPfSE_PS4_PT2_iSD_SD_
; %bb.0:
	s_load_b64 s[2:3], s[0:1], 0x30
	s_mov_b32 s30, s13
	s_waitcnt lgkmcnt(0)
	s_cmp_lg_u64 s[2:3], 0
	s_cselect_b32 s6, -1, 0
	s_ashr_i32 s31, s13, 31
	s_cmp_eq_u64 s[2:3], 0
	s_cbranch_scc1 .LBB735_3
; %bb.1:
	s_lshl_b64 s[4:5], s[30:31], 2
	s_delay_alu instid0(SALU_CYCLE_1) | instskip(SKIP_4) | instid1(SALU_CYCLE_1)
	s_add_u32 s4, s2, s4
	s_addc_u32 s5, s3, s5
	s_load_b64 s[4:5], s[4:5], 0x0
	s_waitcnt lgkmcnt(0)
	s_sub_i32 s4, s5, s4
	s_cmp_eq_u32 s4, 1
	s_cselect_b32 s4, -1, 0
	s_delay_alu instid0(SALU_CYCLE_1)
	s_and_not1_b32 vcc_lo, exec_lo, s4
	s_cbranch_vccz .LBB735_4
.LBB735_2:
	s_endpgm
.LBB735_3:
.LBB735_4:
	s_load_b64 s[8:9], s[0:1], 0x28
	s_lshl_b64 s[4:5], s[30:31], 2
	s_waitcnt lgkmcnt(0)
	s_add_u32 s8, s8, s4
	s_addc_u32 s9, s9, s5
	s_lshl_b32 s12, s14, 8
	s_load_b32 s17, s[8:9], 0x0
	s_waitcnt lgkmcnt(0)
	s_cmp_ge_i32 s12, s17
	s_cbranch_scc1 .LBB735_2
; %bb.5:
	s_and_not1_b32 vcc_lo, exec_lo, s6
	s_cbranch_vccnz .LBB735_7
; %bb.6:
	s_add_u32 s2, s2, s4
	s_addc_u32 s3, s3, s5
	s_load_b32 s13, s[2:3], 0x0
	s_branch .LBB735_8
.LBB735_7:
	s_mov_b32 s13, s30
.LBB735_8:
	s_clause 0x2
	s_load_b128 s[8:11], s[0:1], 0x8
	s_load_b64 s[2:3], s[0:1], 0x20
	s_load_b128 s[4:7], s[0:1], 0x48
	v_and_b32_e32 v73, 15, v0
	s_waitcnt lgkmcnt(0)
	s_mov_b32 s7, exec_lo
	s_delay_alu instid0(VALU_DEP_1)
	v_lshlrev_b32_e32 v1, 3, v73
	v_cmpx_lt_u32_e32 0x5f, v0
	s_xor_b32 s7, exec_lo, s7
; %bb.9:
	v_mov_b32_e32 v2, 0
; %bb.10:
	s_or_saveexec_b32 s7, s7
	v_lshrrev_b32_e32 v74, 5, v0
	v_and_b32_e32 v75, 31, v0
	v_and_b32_e32 v84, 1, v0
	v_bfe_u32 v83, v0, 4, 1
	s_mul_i32 s29, s15, 6
	s_xor_b32 exec_lo, exec_lo, s7
	s_cbranch_execz .LBB735_12
; %bb.11:
	s_load_b64 s[18:19], s[0:1], 0x0
	v_lshl_or_b32 v7, v74, 1, v83
	s_mul_hi_i32 s21, s13, s4
	s_mul_i32 s20, s13, s4
	v_lshlrev_b32_e32 v4, 1, v1
	s_lshl_b64 s[20:21], s[20:21], 1
	v_add_lshl_u32 v2, v7, s29, 7
	v_lshlrev_b32_e32 v7, 6, v7
	v_lshlrev_b32_e32 v8, 10, v84
	s_delay_alu instid0(VALU_DEP_3) | instskip(NEXT) | instid1(VALU_DEP_1)
	v_ashrrev_i32_e32 v3, 31, v2
	v_lshlrev_b64 v[2:3], 1, v[2:3]
	s_waitcnt lgkmcnt(0)
	s_add_u32 s4, s18, s20
	s_addc_u32 s13, s19, s21
	s_delay_alu instid0(VALU_DEP_1) | instskip(NEXT) | instid1(VALU_DEP_2)
	v_add_co_u32 v2, vcc_lo, s4, v2
	v_add_co_ci_u32_e32 v3, vcc_lo, s13, v3, vcc_lo
	s_delay_alu instid0(VALU_DEP_2) | instskip(NEXT) | instid1(VALU_DEP_2)
	v_add_co_u32 v2, vcc_lo, v2, v4
	v_add_co_ci_u32_e32 v3, vcc_lo, 0, v3, vcc_lo
	global_load_b128 v[3:6], v[2:3], off
	v_lshlrev_b32_e32 v2, 10, v73
	s_delay_alu instid0(VALU_DEP_1) | instskip(NEXT) | instid1(VALU_DEP_1)
	v_and_b32_e32 v2, 0x3800, v2
	v_or3_b32 v7, v2, v8, v7
	v_mov_b32_e32 v2, 0
	s_waitcnt vmcnt(0)
	ds_store_b128 v7, v[3:6]
.LBB735_12:
	s_or_b32 exec_lo, exec_lo, s7
	v_and_b32_e32 v3, 0xef, v0
	v_mul_lo_u16 v80, v73, 43
	s_add_i32 s4, s17, 31
	s_clause 0x1
	s_load_b32 s7, s[0:1], 0x38
	s_load_b32 s18, s[0:1], 0x1c
	v_add_nc_u32_e32 v3, s12, v3
	v_lshrrev_b16 v80, 8, v80
	s_ashr_i32 s13, s4, 31
	s_waitcnt lgkmcnt(0)
	s_lshr_b32 s13, s13, 27
	v_ashrrev_i32_e32 v4, 31, v3
	v_mul_lo_u16 v80, v80, 6
	s_add_i32 s4, s4, s13
	v_cmp_gt_i32_e32 vcc_lo, s17, v3
	s_ashr_i32 s4, s4, 5
	v_lshrrev_b32_e32 v5, 27, v4
	v_or_b32_e32 v4, 16, v3
	v_sub_nc_u16 v80, v73, v80
	s_add_i32 s4, s4, -1
	s_barrier
	v_add_nc_u32_e32 v6, v3, v5
	v_add_nc_u32_e32 v5, v4, v5
	v_and_b32_e32 v80, 0xff, v80
	s_mul_i32 s20, s30, s7
	buffer_gl0_inv
	v_ashrrev_i32_e32 v6, 5, v6
	v_ashrrev_i32_e32 v5, 5, v5
	s_ashr_i32 s21, s20, 31
	v_lshlrev_b64 v[81:82], 1, v[1:2]
	s_lshl_b64 s[20:21], s[20:21], 2
	v_dual_cndmask_b32 v3, s4, v6 :: v_dual_lshlrev_b32 v80, 6, v80
	v_cmp_gt_i32_e32 vcc_lo, s17, v4
	s_add_u32 s13, s2, s20
	s_addc_u32 s16, s3, s21
	s_delay_alu instid0(VALU_DEP_2) | instskip(SKIP_3) | instid1(SALU_CYCLE_1)
	v_ashrrev_i32_e32 v4, 31, v3
	s_mul_i32 s2, s15, s6
	v_cndmask_b32_e32 v5, s4, v5, vcc_lo
	s_ashr_i32 s3, s2, 31
	s_lshl_b64 s[2:3], s[2:3], 1
	v_lshlrev_b64 v[3:4], 2, v[3:4]
	s_delay_alu instid0(VALU_DEP_2) | instskip(SKIP_3) | instid1(VALU_DEP_1)
	v_ashrrev_i32_e32 v6, 31, v5
	s_add_u32 s15, s8, s2
	s_addc_u32 s19, s9, s3
	s_lshl_b32 s6, s14, 3
	v_lshlrev_b64 v[5:6], 2, v[5:6]
	v_add_co_u32 v3, vcc_lo, s13, v3
	v_add_co_ci_u32_e32 v4, vcc_lo, s16, v4, vcc_lo
	s_ashr_i32 s7, s6, 31
	s_delay_alu instid0(VALU_DEP_3) | instskip(NEXT) | instid1(VALU_DEP_4)
	v_add_co_u32 v5, vcc_lo, s13, v5
	v_add_co_ci_u32_e32 v6, vcc_lo, s16, v6, vcc_lo
	s_clause 0x1
	global_load_b32 v7, v[3:4], off
	global_load_b32 v8, v[5:6], off
	s_lshl_b64 s[6:7], s[6:7], 2
	s_delay_alu instid0(SALU_CYCLE_1) | instskip(SKIP_2) | instid1(SALU_CYCLE_1)
	s_add_u32 s6, s13, s6
	s_addc_u32 s7, s16, s7
	s_or_b32 s8, s12, 32
	s_ashr_i32 s9, s8, 5
	s_cmp_lt_i32 s8, s17
	s_cselect_b32 s8, s9, s4
	s_delay_alu instid0(SALU_CYCLE_1) | instskip(NEXT) | instid1(SALU_CYCLE_1)
	s_ashr_i32 s9, s8, 31
	s_lshl_b64 s[8:9], s[8:9], 2
	s_delay_alu instid0(SALU_CYCLE_1) | instskip(SKIP_2) | instid1(SALU_CYCLE_1)
	s_add_u32 s8, s13, s8
	s_addc_u32 s9, s16, s9
	s_or_b32 s20, s12, 64
	s_ashr_i32 s21, s20, 5
	s_cmp_lt_i32 s20, s17
	s_cselect_b32 s20, s21, s4
	s_delay_alu instid0(SALU_CYCLE_1) | instskip(NEXT) | instid1(SALU_CYCLE_1)
	s_ashr_i32 s21, s20, 31
	;; [unrolled: 10-line block ×5, first 2 shown]
	s_lshl_b64 s[26:27], s[26:27], 2
	s_delay_alu instid0(SALU_CYCLE_1)
	s_add_u32 s26, s13, s26
	s_addc_u32 s27, s16, s27
	s_clause 0x5
	s_load_b32 s28, s[6:7], 0x0
	s_load_b32 s31, s[8:9], 0x0
	;; [unrolled: 1-line block ×6, first 2 shown]
	s_mov_b32 s20, 0
	s_or_b32 s6, s12, 0xc0
	s_mov_b32 s27, s20
	s_mov_b32 s21, s20
	;; [unrolled: 1-line block ×7, first 2 shown]
	s_delay_alu instid0(SALU_CYCLE_1)
	v_dual_mov_b32 v108, s27 :: v_dual_mov_b32 v107, s26
	v_dual_mov_b32 v106, s25 :: v_dual_mov_b32 v105, s24
	;; [unrolled: 1-line block ×4, first 2 shown]
	s_ashr_i32 s7, s6, 5
	s_cmp_lt_i32 s6, s17
	s_waitcnt lgkmcnt(0)
	s_mul_hi_i32 s27, s34, s5
	s_cselect_b32 s6, s7, s4
	s_mul_i32 s26, s34, s5
	s_ashr_i32 s7, s6, 31
	s_mul_hi_i32 s9, s28, s5
	s_lshl_b64 s[6:7], s[6:7], 2
	s_mul_i32 s8, s28, s5
	s_add_u32 s6, s13, s6
	s_addc_u32 s7, s16, s7
	s_mul_hi_i32 s21, s31, s5
	s_mul_i32 s20, s31, s5
	s_mul_hi_i32 s25, s33, s5
	s_mul_i32 s24, s33, s5
	;; [unrolled: 2-line block ×3, first 2 shown]
	s_waitcnt vmcnt(1)
	v_mad_i64_i32 v[3:4], null, v7, s5, 0
	s_waitcnt vmcnt(0)
	v_mad_i64_i32 v[5:6], null, v8, s5, 0
	s_delay_alu instid0(VALU_DEP_2) | instskip(NEXT) | instid1(VALU_DEP_2)
	v_lshlrev_b64 v[3:4], 1, v[3:4]
	v_lshlrev_b64 v[1:2], 1, v[5:6]
	s_delay_alu instid0(VALU_DEP_2) | instskip(NEXT) | instid1(VALU_DEP_3)
	v_add_co_u32 v3, vcc_lo, s15, v3
	v_add_co_ci_u32_e32 v4, vcc_lo, s19, v4, vcc_lo
	s_delay_alu instid0(VALU_DEP_3) | instskip(NEXT) | instid1(VALU_DEP_4)
	v_add_co_u32 v1, vcc_lo, s15, v1
	v_add_co_ci_u32_e32 v2, vcc_lo, s19, v2, vcc_lo
	s_delay_alu instid0(VALU_DEP_4) | instskip(NEXT) | instid1(VALU_DEP_4)
	v_add_co_u32 v65, vcc_lo, v3, v81
	v_add_co_ci_u32_e32 v66, vcc_lo, v4, v82, vcc_lo
	s_delay_alu instid0(VALU_DEP_4) | instskip(NEXT) | instid1(VALU_DEP_4)
	v_add_co_u32 v76, vcc_lo, v1, v81
	v_add_co_ci_u32_e32 v77, vcc_lo, v2, v82, vcc_lo
	s_clause 0xf
	global_load_b128 v[1:4], v[65:66], off
	global_load_b128 v[5:8], v[65:66], off offset:512
	global_load_b128 v[9:12], v[76:77], off offset:256
	;; [unrolled: 1-line block ×15, first 2 shown]
	v_add_co_u32 v78, vcc_lo, 0x1000, v65
	v_add_co_ci_u32_e32 v79, vcc_lo, 0, v66, vcc_lo
	v_add_co_u32 v76, vcc_lo, 0x1000, v76
	s_clause 0x1
	global_load_b128 v[65:68], v[78:79], off
	global_load_b128 v[69:72], v[78:79], off offset:512
	v_add_co_ci_u32_e32 v77, vcc_lo, 0, v77, vcc_lo
	ds_load_b128 v[85:88], v80
	ds_load_b128 v[89:92], v80 offset:1024
	s_clause 0x1
	global_load_b128 v[93:96], v[76:77], off offset:256
	global_load_b128 v[97:100], v[76:77], off offset:768
	ds_load_b128 v[109:112], v80 offset:2048
	ds_load_b128 v[113:116], v80 offset:3072
	s_or_b32 s15, s12, 0xe0
	s_delay_alu instid0(SALU_CYCLE_1) | instskip(SKIP_2) | instid1(SALU_CYCLE_1)
	s_ashr_i32 s19, s15, 5
	s_cmp_lt_i32 s15, s17
	s_cselect_b32 s22, s19, s4
	s_ashr_i32 s23, s22, 31
	s_delay_alu instid0(SALU_CYCLE_1) | instskip(NEXT) | instid1(SALU_CYCLE_1)
	s_lshl_b64 s[22:23], s[22:23], 2
	s_add_u32 s22, s13, s22
	s_addc_u32 s23, s16, s23
	s_add_i32 s15, s12, 0x100
	s_delay_alu instid0(SALU_CYCLE_1)
	s_ashr_i32 s19, s15, 5
	s_cmp_lt_i32 s15, s17
	s_cselect_b32 s34, s19, s4
	s_waitcnt vmcnt(18) lgkmcnt(2)
	v_wmma_f32_16x16x16_bf16 v[117:124], v[1:8], v[85:92], v[101:108]
	s_waitcnt vmcnt(16)
	v_wmma_f32_16x16x16_bf16 v[101:108], v[9:16], v[85:92], v[101:108]
	s_clause 0x3
	global_load_b128 v[1:4], v[78:79], off offset:1024
	global_load_b128 v[5:8], v[78:79], off offset:1536
	;; [unrolled: 1-line block ×4, first 2 shown]
	s_waitcnt vmcnt(18) lgkmcnt(0)
	v_wmma_f32_16x16x16_bf16 v[117:124], v[17:24], v[109:116], v[117:124]
	s_clause 0x1
	global_load_b128 v[17:20], v[78:79], off offset:2048
	global_load_b128 v[21:24], v[78:79], off offset:2560
	s_waitcnt vmcnt(18)
	v_wmma_f32_16x16x16_bf16 v[101:108], v[25:32], v[109:116], v[101:108]
	ds_load_b128 v[25:28], v80 offset:4096
	ds_load_b128 v[29:32], v80 offset:5120
	s_clause 0x5
	global_load_b128 v[109:112], v[76:77], off offset:2304
	global_load_b128 v[113:116], v[76:77], off offset:2816
	;; [unrolled: 1-line block ×6, first 2 shown]
	s_waitcnt vmcnt(22) lgkmcnt(0)
	v_wmma_f32_16x16x16_bf16 v[117:124], v[33:40], v[25:32], v[117:124]
	s_waitcnt vmcnt(20)
	v_wmma_f32_16x16x16_bf16 v[101:108], v[41:48], v[25:32], v[101:108]
	ds_load_b128 v[25:28], v80 offset:6144
	ds_load_b128 v[29:32], v80 offset:7168
	;; [unrolled: 1-line block ×4, first 2 shown]
	s_waitcnt vmcnt(18) lgkmcnt(2)
	v_wmma_f32_16x16x16_bf16 v[117:124], v[49:56], v[25:32], v[117:124]
	s_waitcnt vmcnt(16)
	v_wmma_f32_16x16x16_bf16 v[101:108], v[57:64], v[25:32], v[101:108]
	ds_load_b128 v[25:28], v80 offset:10240
	ds_load_b128 v[29:32], v80 offset:11264
	;; [unrolled: 1-line block ×6, first 2 shown]
	s_waitcnt vmcnt(14) lgkmcnt(6)
	v_wmma_f32_16x16x16_bf16 v[117:124], v[65:72], v[33:40], v[117:124]
	s_load_b32 s15, s[6:7], 0x0
	s_mul_hi_i32 s7, s35, s5
	s_mul_i32 s6, s35, s5
	s_ashr_i32 s35, s34, 31
	s_waitcnt vmcnt(12)
	v_wmma_f32_16x16x16_bf16 v[101:108], v[93:100], v[33:40], v[101:108]
	s_lshl_b64 s[34:35], s[34:35], 2
	s_delay_alu instid0(SALU_CYCLE_1)
	s_add_u32 s34, s13, s34
	s_addc_u32 s35, s16, s35
	s_add_u32 s4, s10, s2
	s_addc_u32 s19, s11, s3
	s_lshl_b64 s[2:3], s[8:9], 1
	s_clause 0x1
	s_load_b32 s13, s[22:23], 0x0
	s_load_b32 s16, s[34:35], 0x0
	s_lshl_b64 s[8:9], s[20:21], 1
	s_lshl_b64 s[10:11], s[24:25], 1
	;; [unrolled: 1-line block ×5, first 2 shown]
	s_waitcnt lgkmcnt(0)
	s_mul_hi_i32 s25, s15, s5
	s_mul_i32 s24, s15, s5
	s_waitcnt vmcnt(10)
	v_wmma_f32_16x16x16_bf16 v[117:124], v[1:8], v[25:32], v[117:124]
	s_waitcnt vmcnt(8)
	v_wmma_f32_16x16x16_bf16 v[101:108], v[9:16], v[25:32], v[101:108]
	s_waitcnt vmcnt(6)
	s_delay_alu instid0(VALU_DEP_2) | instskip(SKIP_1) | instid1(VALU_DEP_2)
	v_wmma_f32_16x16x16_bf16 v[117:124], v[17:24], v[141:148], v[117:124]
	s_waitcnt vmcnt(4)
	v_wmma_f32_16x16x16_bf16 v[101:108], v[109:116], v[141:148], v[101:108]
	s_waitcnt vmcnt(2)
	s_delay_alu instid0(VALU_DEP_2) | instskip(SKIP_3) | instid1(VALU_DEP_3)
	v_wmma_f32_16x16x16_bf16 v[117:124], v[125:132], v[149:156], v[117:124]
	v_lshlrev_b32_e32 v85, 6, v73
	s_waitcnt vmcnt(0)
	v_wmma_f32_16x16x16_bf16 v[101:108], v[133:140], v[149:156], v[101:108]
	v_mul_f32_e32 v100, s18, v124
	s_delay_alu instid0(VALU_DEP_3) | instskip(SKIP_2) | instid1(VALU_DEP_3)
	v_lshl_or_b32 v41, v74, 10, v85
	v_mul_f32_e32 v97, s18, v117
	v_mul_f32_e32 v99, s18, v118
	v_add_co_u32 v76, s4, s4, v41
	s_delay_alu instid0(VALU_DEP_1) | instskip(NEXT) | instid1(VALU_DEP_2)
	v_add_co_ci_u32_e64 v77, null, s19, 0, s4
	v_add_co_u32 v41, vcc_lo, v76, s2
	s_delay_alu instid0(VALU_DEP_2)
	v_add_co_ci_u32_e32 v42, vcc_lo, s3, v77, vcc_lo
	v_add_co_u32 v33, vcc_lo, v76, s8
	v_add_co_ci_u32_e32 v34, vcc_lo, s9, v77, vcc_lo
	v_add_co_u32 v35, vcc_lo, v76, s10
	;; [unrolled: 2-line block ×5, first 2 shown]
	s_lshl_b64 s[2:3], s[24:25], 1
	v_add_co_ci_u32_e32 v6, vcc_lo, s23, v77, vcc_lo
	s_mul_hi_i32 s7, s13, s5
	s_mul_i32 s6, s13, s5
	v_add_co_u32 v17, vcc_lo, v76, s2
	v_add_co_ci_u32_e32 v18, vcc_lo, s3, v77, vcc_lo
	s_lshl_b64 s[2:3], s[6:7], 1
	s_mul_hi_i32 s7, s16, s5
	s_mul_i32 s6, s16, s5
	v_add_co_u32 v19, vcc_lo, v76, s2
	v_add_co_ci_u32_e32 v20, vcc_lo, s3, v77, vcc_lo
	s_lshl_b64 s[2:3], s[6:7], 1
	s_clause 0x1
	global_load_b128 v[65:68], v[41:42], off
	global_load_b128 v[69:72], v[41:42], off offset:16
	v_add_co_u32 v21, vcc_lo, v76, s2
	v_add_co_ci_u32_e32 v22, vcc_lo, s3, v77, vcc_lo
	s_clause 0xf
	global_load_b128 v[57:60], v[33:34], off
	global_load_b128 v[61:64], v[33:34], off offset:16
	global_load_b128 v[49:52], v[35:36], off
	global_load_b128 v[53:56], v[35:36], off offset:16
	;; [unrolled: 2-line block ×8, first 2 shown]
	v_mbcnt_lo_u32_b32 v77, -1, 0
	v_and_b32_e32 v76, 0xe0, v0
	s_waitcnt vmcnt(0)
	s_barrier
	buffer_gl0_inv
	v_xor_b32_e32 v78, 16, v77
	s_delay_alu instid0(VALU_DEP_1) | instskip(SKIP_1) | instid1(VALU_DEP_1)
	v_cmp_gt_i32_e32 vcc_lo, 32, v78
	v_dual_cndmask_b32 v77, v77, v78 :: v_dual_add_nc_u32 v76, s12, v76
	v_or_b32_e32 v76, v76, v83
	s_delay_alu instid0(VALU_DEP_1)
	v_or_b32_e32 v78, 2, v76
	v_or_b32_e32 v79, 4, v76
	;; [unrolled: 1-line block ×3, first 2 shown]
	v_cmp_gt_i32_e32 vcc_lo, s17, v76
	v_or_b32_e32 v86, 8, v76
	v_cmp_gt_i32_e64 s2, s17, v78
	v_or_b32_e32 v87, 10, v76
	v_or_b32_e32 v88, 12, v76
	;; [unrolled: 1-line block ×11, first 2 shown]
	v_cndmask_b32_e64 v78, 0xff7fffff, v99, s2
	v_mul_f32_e32 v99, s18, v120
	v_cmp_gt_i32_e64 s3, s17, v80
	v_mul_f32_e32 v80, s18, v119
	v_cndmask_b32_e32 v76, 0xff7fffff, v97, vcc_lo
	v_cmp_gt_i32_e64 s4, s17, v79
	v_mul_f32_e32 v79, s18, v122
	v_cmp_gt_i32_e64 s5, s17, v86
	v_cmp_gt_i32_e64 s6, s17, v87
	v_max3_f32 v76, v76, 0xff7fffff, v78
	v_mul_f32_e32 v78, s18, v121
	v_cndmask_b32_e64 v80, 0xff7fffff, v80, s4
	v_mul_f32_e32 v86, s18, v107
	v_cndmask_b32_e64 v99, 0xff7fffff, v99, s3
	;; [unrolled: 2-line block ×3, first 2 shown]
	v_cndmask_b32_e64 v79, 0xff7fffff, v79, s6
	v_cmp_gt_i32_e64 s7, s17, v89
	v_max3_f32 v76, v76, v80, v99
	v_mul_f32_e32 v80, s18, v108
	v_cmp_gt_i32_e64 s8, s17, v88
	v_dual_mul_f32 v99, s18, v105 :: v_dual_mul_f32 v88, s18, v102
	s_delay_alu instid0(VALU_DEP_4) | instskip(SKIP_1) | instid1(VALU_DEP_4)
	v_max3_f32 v76, v76, v78, v79
	v_mul_f32_e32 v89, s18, v101
	v_cndmask_b32_e64 v97, 0xff7fffff, v97, s8
	v_cndmask_b32_e64 v100, 0xff7fffff, v100, s7
	v_cmp_gt_i32_e64 s9, s17, v90
	v_cmp_gt_i32_e64 s10, s17, v91
	v_dual_mul_f32 v78, s18, v104 :: v_dual_mul_f32 v79, s18, v103
	s_delay_alu instid0(VALU_DEP_4) | instskip(NEXT) | instid1(VALU_DEP_4)
	v_max3_f32 v76, v76, v97, v100
	v_cndmask_b32_e64 v89, 0xff7fffff, v89, s9
	s_delay_alu instid0(VALU_DEP_4)
	v_cndmask_b32_e64 v88, 0xff7fffff, v88, s10
	v_cmp_gt_i32_e64 s11, s17, v92
	v_cmp_gt_i32_e64 s12, s17, v93
	v_mul_f32_e32 v87, s18, v106
	v_cmp_gt_i32_e64 s13, s17, v94
	v_max3_f32 v76, v76, v89, v88
	v_cndmask_b32_e64 v79, 0xff7fffff, v79, s11
	v_cndmask_b32_e64 v78, 0xff7fffff, v78, s12
	v_cmp_gt_i32_e64 s15, s17, v95
	v_cndmask_b32_e64 v88, 0xff7fffff, v99, s13
	v_cmp_gt_i32_e64 s16, s17, v96
	v_cmp_gt_i32_e64 s17, s17, v98
	v_max3_f32 v76, v76, v79, v78
	v_cndmask_b32_e64 v87, 0xff7fffff, v87, s15
	v_lshlrev_b32_e32 v99, 2, v77
	v_cndmask_b32_e64 v78, 0xff7fffff, v86, s16
	v_cndmask_b32_e64 v79, 0xff7fffff, v80, s17
	s_delay_alu instid0(VALU_DEP_4) | instskip(NEXT) | instid1(VALU_DEP_1)
	v_max3_f32 v76, v76, v88, v87
	v_max3_f32 v76, v76, v78, v79
	ds_bpermute_b32 v77, v99, v76
	s_waitcnt lgkmcnt(0)
	v_max_f32_e32 v77, v77, v77
	s_delay_alu instid0(VALU_DEP_1) | instskip(NEXT) | instid1(VALU_DEP_1)
	v_max_f32_e32 v76, v76, v77
	v_fma_f32 v80, s18, v120, -v76
	v_fma_f32 v77, s18, v117, -v76
	v_fma_f32 v78, s18, v118, -v76
	v_fma_f32 v79, s18, v119, -v76
	v_fma_f32 v86, s18, v121, -v76
	v_mul_f32_e32 v80, 0x3fb8aa3b, v80
	v_fma_f32 v87, s18, v123, -v76
	v_mul_f32_e32 v78, 0x3fb8aa3b, v78
	v_fma_f32 v88, s18, v105, -v76
	v_mul_f32_e32 v86, 0x3fb8aa3b, v86
	v_exp_f32_e32 v80, v80
	v_fma_f32 v90, s18, v107, -v76
	v_exp_f32_e32 v78, v78
	v_fma_f32 v100, s18, v108, -v76
	v_exp_f32_e32 v86, v86
	v_mul_f32_e32 v88, 0x3fb8aa3b, v88
	s_delay_alu instid0(VALU_DEP_2) | instskip(NEXT) | instid1(TRANS32_DEP_3)
	v_mul_f32_e32 v100, 0x3fb8aa3b, v100
	v_cndmask_b32_e64 v95, 0, v80, s3
	v_mul_f32_e32 v77, 0x3fb8aa3b, v77
	s_delay_alu instid0(TRANS32_DEP_2) | instskip(SKIP_1) | instid1(TRANS32_DEP_1)
	v_cndmask_b32_e64 v91, 0, v78, s2
	v_fma_f32 v80, s18, v101, -v76
	v_cndmask_b32_e64 v96, 0, v86, s5
	v_fma_f32 v86, s18, v102, -v76
	v_exp_f32_e32 v77, v77
	s_delay_alu instid0(VALU_DEP_3) | instskip(SKIP_1) | instid1(VALU_DEP_2)
	v_dual_mul_f32 v79, 0x3fb8aa3b, v79 :: v_dual_mul_f32 v80, 0x3fb8aa3b, v80
	v_exp_f32_e32 v88, v88
	v_mul_f32_e32 v86, 0x3fb8aa3b, v86
	s_mov_b32 s2, exec_lo
	v_exp_f32_e32 v100, v100
	v_exp_f32_e32 v80, v80
	s_delay_alu instid0(VALU_DEP_1) | instskip(SKIP_3) | instid1(VALU_DEP_1)
	v_exp_f32_e32 v86, v86
	v_cndmask_b32_e32 v92, 0, v77, vcc_lo
	v_exp_f32_e32 v79, v79
	v_fma_f32 v77, s18, v122, -v76
	v_dual_add_f32 v78, 0, v92 :: v_dual_mul_f32 v77, 0x3fb8aa3b, v77
	s_delay_alu instid0(VALU_DEP_1)
	v_add_f32_e32 v78, v78, v91
	s_waitcnt_depctr 0xfff
	v_cndmask_b32_e64 v93, 0, v79, s4
	v_fma_f32 v79, s18, v124, -v76
	v_mul_f32_e32 v87, 0x3fb8aa3b, v87
	v_exp_f32_e32 v77, v77
	s_delay_alu instid0(VALU_DEP_2) | instskip(NEXT) | instid1(VALU_DEP_2)
	v_dual_add_f32 v78, v78, v93 :: v_dual_mul_f32 v79, 0x3fb8aa3b, v79
	v_exp_f32_e32 v87, v87
	s_delay_alu instid0(VALU_DEP_1) | instskip(NEXT) | instid1(VALU_DEP_2)
	v_add_f32_e32 v78, v78, v95
	v_exp_f32_e32 v79, v79
	s_delay_alu instid0(TRANS32_DEP_3) | instskip(NEXT) | instid1(VALU_DEP_2)
	v_cndmask_b32_e64 v97, 0, v77, s6
	v_add_f32_e32 v77, v78, v96
	v_fma_f32 v78, s18, v103, -v76
	s_waitcnt_depctr 0xfff
	v_cndmask_b32_e64 v94, 0, v87, s8
	v_fma_f32 v87, s18, v104, -v76
	v_dual_add_f32 v77, v77, v97 :: v_dual_mul_f32 v78, 0x3fb8aa3b, v78
	v_cndmask_b32_e64 v98, 0, v79, s7
	s_delay_alu instid0(VALU_DEP_2) | instskip(SKIP_4) | instid1(VALU_DEP_2)
	v_add_f32_e32 v79, v77, v94
	v_cndmask_b32_e64 v77, 0, v80, s9
	v_fma_f32 v80, s18, v106, -v76
	v_exp_f32_e32 v89, v78
	v_cndmask_b32_e64 v78, 0, v86, s10
	v_dual_add_f32 v79, v79, v98 :: v_dual_mul_f32 v80, 0x3fb8aa3b, v80
	s_delay_alu instid0(VALU_DEP_1) | instskip(NEXT) | instid1(VALU_DEP_1)
	v_dual_mul_f32 v87, 0x3fb8aa3b, v87 :: v_dual_add_f32 v86, v79, v77
	v_exp_f32_e32 v87, v87
	s_waitcnt_depctr 0xfff
	v_cndmask_b32_e64 v79, 0, v89, s11
	v_add_f32_e32 v86, v86, v78
	v_mul_f32_e32 v89, 0x3fb8aa3b, v90
	v_exp_f32_e32 v90, v80
	v_cndmask_b32_e64 v80, 0, v87, s12
	s_delay_alu instid0(VALU_DEP_3) | instskip(SKIP_1) | instid1(VALU_DEP_2)
	v_add_f32_e32 v87, v86, v79
	v_cndmask_b32_e64 v86, 0, v88, s13
	v_add_f32_e32 v88, v87, v80
	v_exp_f32_e32 v89, v89
	s_waitcnt_depctr 0xfff
	v_cndmask_b32_e64 v87, 0, v90, s15
	v_add_f32_e32 v90, v88, v86
	v_cndmask_b32_e64 v88, 0, v89, s16
	s_delay_alu instid0(VALU_DEP_2) | instskip(NEXT) | instid1(VALU_DEP_1)
	v_add_f32_e32 v89, v90, v87
	v_add_f32_e32 v90, v89, v88
	v_cndmask_b32_e64 v89, 0, v100, s17
	s_delay_alu instid0(VALU_DEP_1)
	v_add_f32_e32 v90, v90, v89
	ds_bpermute_b32 v99, v99, v90
	v_cmpx_gt_u32_e32 16, v75
	s_cbranch_execz .LBB735_14
; %bb.13:
	v_mul_u32_u24_e32 v75, 0x44, v74
	s_waitcnt lgkmcnt(0)
	v_add_f32_e32 v90, v90, v99
	s_delay_alu instid0(VALU_DEP_2) | instskip(NEXT) | instid1(VALU_DEP_1)
	v_lshl_add_u32 v75, v73, 2, v75
	v_add_nc_u32_e32 v75, 0x4000, v75
	ds_store_2addr_b32 v75, v76, v90 offset1:136
.LBB735_14:
	s_or_b32 exec_lo, exec_lo, s2
	v_lshlrev_b32_e32 v75, 2, v73
	s_waitcnt lgkmcnt(0)
	s_barrier
	buffer_gl0_inv
	v_cmp_eq_u32_e64 s2, 1, v74
	v_add_nc_u32_e32 v90, 0x4000, v75
	ds_load_2addr_b32 v[99:100], v90 offset1:17
	ds_load_2addr_b32 v[101:102], v90 offset0:34 offset1:51
	ds_load_2addr_b32 v[103:104], v90 offset0:68 offset1:85
	;; [unrolled: 1-line block ×4, first 2 shown]
	s_waitcnt lgkmcnt(4)
	v_max3_f32 v75, v99, 0xff7fffff, v100
	s_waitcnt lgkmcnt(3)
	s_delay_alu instid0(VALU_DEP_1) | instskip(SKIP_1) | instid1(VALU_DEP_1)
	v_max3_f32 v75, v75, v101, v102
	s_waitcnt lgkmcnt(2)
	v_max3_f32 v75, v75, v103, v104
	s_waitcnt lgkmcnt(1)
	s_delay_alu instid0(VALU_DEP_1) | instskip(NEXT) | instid1(VALU_DEP_1)
	v_max3_f32 v75, v75, v105, v106
	v_sub_f32_e32 v109, v100, v75
	v_sub_f32_e32 v76, v99, v75
	ds_load_2addr_b32 v[99:100], v90 offset0:170 offset1:187
	v_sub_f32_e32 v101, v101, v75
	v_dual_mul_f32 v109, 0x3fb8aa3b, v109 :: v_dual_mul_f32 v76, 0x3fb8aa3b, v76
	s_delay_alu instid0(VALU_DEP_2) | instskip(NEXT) | instid1(VALU_DEP_2)
	v_mul_f32_e32 v111, 0x3fb8aa3b, v101
	v_exp_f32_e32 v109, v109
	s_delay_alu instid0(VALU_DEP_2)
	v_exp_f32_e32 v110, v76
	v_sub_f32_e32 v76, v102, v75
	ds_load_2addr_b32 v[101:102], v90 offset0:204 offset1:221
	v_exp_f32_e32 v111, v111
	v_mul_f32_e32 v112, 0x3fb8aa3b, v76
	s_waitcnt lgkmcnt(2)
	v_fma_f32 v76, v110, v107, 0
	v_sub_f32_e32 v103, v103, v75
	s_delay_alu instid0(VALU_DEP_3) | instskip(NEXT) | instid1(VALU_DEP_2)
	v_exp_f32_e32 v112, v112
	v_dual_sub_f32 v107, v104, v75 :: v_dual_fmac_f32 v76, v109, v108
	s_waitcnt lgkmcnt(1)
	s_waitcnt_depctr 0xfff
	v_fmac_f32_e32 v76, v111, v99
	v_mul_f32_e32 v113, 0x3fb8aa3b, v103
	ds_load_2addr_b32 v[103:104], v90 offset0:238 offset1:255
	v_sub_f32_e32 v90, v105, v75
	v_dual_sub_f32 v99, v106, v75 :: v_dual_fmac_f32 v76, v112, v100
	v_mul_f32_e32 v105, 0x3fb8aa3b, v107
	v_exp_f32_e32 v107, v113
	s_delay_alu instid0(VALU_DEP_2)
	v_dual_mul_f32 v90, 0x3fb8aa3b, v90 :: v_dual_mul_f32 v99, 0x3fb8aa3b, v99
	s_waitcnt lgkmcnt(0)
	s_barrier
	buffer_gl0_inv
	v_exp_f32_e32 v90, v90
	v_exp_f32_e32 v99, v99
	v_fmac_f32_e32 v76, v107, v101
	v_exp_f32_e32 v105, v105
	s_waitcnt_depctr 0xfff
	v_fmac_f32_e32 v76, v105, v102
	s_delay_alu instid0(VALU_DEP_1) | instskip(NEXT) | instid1(VALU_DEP_1)
	v_fmac_f32_e32 v76, v90, v103
	v_fmac_f32_e32 v76, v99, v104
	s_delay_alu instid0(VALU_DEP_1) | instskip(NEXT) | instid1(VALU_DEP_1)
	v_add_f32_e32 v100, 0x358637bd, v76
	v_div_scale_f32 v101, null, v100, v100, 1.0
	v_div_scale_f32 v104, vcc_lo, 1.0, v100, 1.0
	s_delay_alu instid0(VALU_DEP_2) | instskip(SKIP_2) | instid1(VALU_DEP_1)
	v_rcp_f32_e32 v102, v101
	s_waitcnt_depctr 0xfff
	v_fma_f32 v103, -v101, v102, 1.0
	v_fmac_f32_e32 v102, v103, v102
	v_cndmask_b32_e64 v103, v110, v109, s2
	v_cmp_eq_u32_e64 s2, 2, v74
	s_delay_alu instid0(VALU_DEP_3) | instskip(NEXT) | instid1(VALU_DEP_2)
	v_mul_f32_e32 v106, v104, v102
	v_cndmask_b32_e64 v103, v103, v111, s2
	v_cmp_eq_u32_e64 s2, 3, v74
	s_delay_alu instid0(VALU_DEP_3) | instskip(NEXT) | instid1(VALU_DEP_2)
	v_fma_f32 v108, -v101, v106, v104
	v_cndmask_b32_e64 v103, v103, v112, s2
	v_cmp_eq_u32_e64 s2, 4, v74
	s_delay_alu instid0(VALU_DEP_3) | instskip(NEXT) | instid1(VALU_DEP_2)
	v_fmac_f32_e32 v106, v108, v102
	v_cndmask_b32_e64 v103, v103, v107, s2
	s_delay_alu instid0(VALU_DEP_2) | instskip(SKIP_1) | instid1(VALU_DEP_2)
	v_fma_f32 v101, -v101, v106, v104
	v_cmp_eq_u32_e64 s2, 5, v74
	v_div_fmas_f32 v101, v101, v102, v106
	s_delay_alu instid0(VALU_DEP_2) | instskip(SKIP_2) | instid1(VALU_DEP_3)
	v_cndmask_b32_e64 v103, v103, v105, s2
	v_cmp_eq_u32_e32 vcc_lo, 6, v74
	s_mov_b32 s2, exec_lo
	v_div_fixup_f32 v100, v101, v100, 1.0
	s_delay_alu instid0(VALU_DEP_3) | instskip(SKIP_1) | instid1(VALU_DEP_2)
	v_cndmask_b32_e32 v90, v103, v90, vcc_lo
	v_cmp_eq_u32_e32 vcc_lo, 7, v74
	v_cndmask_b32_e32 v90, v90, v99, vcc_lo
	s_delay_alu instid0(VALU_DEP_1) | instskip(NEXT) | instid1(VALU_DEP_1)
	v_mul_f32_e32 v90, v90, v100
	v_mul_f32_e32 v100, v90, v92
	;; [unrolled: 1-line block ×6, first 2 shown]
	v_and_b32_e32 v101, 0x7f800000, v100
	v_mul_f32_e32 v99, v90, v95
	v_mul_f32_e32 v95, v90, v91
	v_mul_f32_e32 v96, v90, v93
                                        ; implicit-def: $vgpr91
	s_delay_alu instid0(VALU_DEP_4)
	v_cmpx_ne_u32_e32 0x7f800000, v101
	s_xor_b32 s2, exec_lo, s2
; %bb.15:
	v_bfe_u32 v91, v100, 16, 1
	s_delay_alu instid0(VALU_DEP_1)
	v_add3_u32 v91, v100, v91, 0x7fff
                                        ; implicit-def: $vgpr100
; %bb.16:
	s_and_not1_saveexec_b32 s2, s2
; %bb.17:
	v_and_b32_e32 v91, 0xffff, v100
	v_or_b32_e32 v93, 0x10000, v100
	s_delay_alu instid0(VALU_DEP_2) | instskip(NEXT) | instid1(VALU_DEP_2)
	v_cmp_eq_u32_e32 vcc_lo, 0, v91
	v_cndmask_b32_e32 v91, v93, v100, vcc_lo
; %bb.18:
	s_or_b32 exec_lo, exec_lo, s2
	v_and_b32_e32 v93, 0x7f800000, v95
	s_delay_alu instid0(VALU_DEP_1) | instskip(SKIP_1) | instid1(SALU_CYCLE_1)
	v_cmp_ne_u32_e32 vcc_lo, 0x7f800000, v93
                                        ; implicit-def: $vgpr93
	s_and_saveexec_b32 s2, vcc_lo
	s_xor_b32 s2, exec_lo, s2
; %bb.19:
	v_bfe_u32 v93, v95, 16, 1
	s_delay_alu instid0(VALU_DEP_1)
	v_add3_u32 v93, v95, v93, 0x7fff
                                        ; implicit-def: $vgpr95
; %bb.20:
	s_and_not1_saveexec_b32 s2, s2
; %bb.21:
	v_and_b32_e32 v93, 0xffff, v95
	v_or_b32_e32 v100, 0x10000, v95
	s_delay_alu instid0(VALU_DEP_2) | instskip(NEXT) | instid1(VALU_DEP_2)
	v_cmp_eq_u32_e32 vcc_lo, 0, v93
	v_cndmask_b32_e32 v93, v100, v95, vcc_lo
; %bb.22:
	s_or_b32 exec_lo, exec_lo, s2
	v_and_b32_e32 v95, 0x7f800000, v96
	s_delay_alu instid0(VALU_DEP_1) | instskip(SKIP_1) | instid1(SALU_CYCLE_1)
	v_cmp_ne_u32_e32 vcc_lo, 0x7f800000, v95
                                        ; implicit-def: $vgpr95
	s_and_saveexec_b32 s2, vcc_lo
	s_xor_b32 s2, exec_lo, s2
; %bb.23:
	v_bfe_u32 v95, v96, 16, 1
	s_delay_alu instid0(VALU_DEP_1)
	v_add3_u32 v95, v96, v95, 0x7fff
                                        ; implicit-def: $vgpr96
; %bb.24:
	s_and_not1_saveexec_b32 s2, s2
; %bb.25:
	v_and_b32_e32 v95, 0xffff, v96
	v_or_b32_e32 v100, 0x10000, v96
	s_delay_alu instid0(VALU_DEP_2) | instskip(NEXT) | instid1(VALU_DEP_2)
	v_cmp_eq_u32_e32 vcc_lo, 0, v95
	v_cndmask_b32_e32 v95, v100, v96, vcc_lo
; %bb.26:
	s_or_b32 exec_lo, exec_lo, s2
	v_and_b32_e32 v96, 0x7f800000, v99
	s_delay_alu instid0(VALU_DEP_1) | instskip(SKIP_1) | instid1(SALU_CYCLE_1)
	v_cmp_ne_u32_e32 vcc_lo, 0x7f800000, v96
                                        ; implicit-def: $vgpr96
	s_and_saveexec_b32 s2, vcc_lo
	s_xor_b32 s2, exec_lo, s2
; %bb.27:
	v_bfe_u32 v96, v99, 16, 1
	s_delay_alu instid0(VALU_DEP_1)
	v_add3_u32 v96, v99, v96, 0x7fff
                                        ; implicit-def: $vgpr99
; %bb.28:
	s_and_not1_saveexec_b32 s2, s2
; %bb.29:
	v_and_b32_e32 v96, 0xffff, v99
	v_or_b32_e32 v100, 0x10000, v99
	s_delay_alu instid0(VALU_DEP_2) | instskip(NEXT) | instid1(VALU_DEP_2)
	v_cmp_eq_u32_e32 vcc_lo, 0, v96
	v_cndmask_b32_e32 v96, v100, v99, vcc_lo
; %bb.30:
	s_or_b32 exec_lo, exec_lo, s2
	v_and_b32_e32 v99, 0x7f800000, v98
	s_delay_alu instid0(VALU_DEP_1) | instskip(SKIP_1) | instid1(SALU_CYCLE_1)
	v_cmp_ne_u32_e32 vcc_lo, 0x7f800000, v99
                                        ; implicit-def: $vgpr99
	s_and_saveexec_b32 s2, vcc_lo
	s_xor_b32 s2, exec_lo, s2
; %bb.31:
	v_bfe_u32 v99, v98, 16, 1
	s_delay_alu instid0(VALU_DEP_1)
	v_add3_u32 v99, v98, v99, 0x7fff
                                        ; implicit-def: $vgpr98
; %bb.32:
	s_and_not1_saveexec_b32 s2, s2
; %bb.33:
	v_and_b32_e32 v99, 0xffff, v98
	v_or_b32_e32 v100, 0x10000, v98
	s_delay_alu instid0(VALU_DEP_2) | instskip(NEXT) | instid1(VALU_DEP_2)
	v_cmp_eq_u32_e32 vcc_lo, 0, v99
	v_cndmask_b32_e32 v99, v100, v98, vcc_lo
; %bb.34:
	s_or_b32 exec_lo, exec_lo, s2
	v_and_b32_e32 v98, 0x7f800000, v97
	s_delay_alu instid0(VALU_DEP_1) | instskip(SKIP_1) | instid1(SALU_CYCLE_1)
	v_cmp_ne_u32_e32 vcc_lo, 0x7f800000, v98
                                        ; implicit-def: $vgpr98
	s_and_saveexec_b32 s2, vcc_lo
	s_xor_b32 s2, exec_lo, s2
; %bb.35:
	v_bfe_u32 v98, v97, 16, 1
	s_delay_alu instid0(VALU_DEP_1)
	v_add3_u32 v98, v97, v98, 0x7fff
                                        ; implicit-def: $vgpr97
; %bb.36:
	s_and_not1_saveexec_b32 s2, s2
; %bb.37:
	v_and_b32_e32 v98, 0xffff, v97
	v_or_b32_e32 v100, 0x10000, v97
	s_delay_alu instid0(VALU_DEP_2) | instskip(NEXT) | instid1(VALU_DEP_2)
	v_cmp_eq_u32_e32 vcc_lo, 0, v98
	v_cndmask_b32_e32 v98, v100, v97, vcc_lo
; %bb.38:
	s_or_b32 exec_lo, exec_lo, s2
	v_and_b32_e32 v97, 0x7f800000, v94
	s_delay_alu instid0(VALU_DEP_1) | instskip(SKIP_1) | instid1(SALU_CYCLE_1)
	v_cmp_ne_u32_e32 vcc_lo, 0x7f800000, v97
                                        ; implicit-def: $vgpr97
	s_and_saveexec_b32 s2, vcc_lo
	s_xor_b32 s2, exec_lo, s2
; %bb.39:
	v_bfe_u32 v97, v94, 16, 1
	s_delay_alu instid0(VALU_DEP_1)
	v_add3_u32 v97, v94, v97, 0x7fff
                                        ; implicit-def: $vgpr94
; %bb.40:
	s_and_not1_saveexec_b32 s2, s2
; %bb.41:
	v_and_b32_e32 v97, 0xffff, v94
	v_or_b32_e32 v100, 0x10000, v94
	s_delay_alu instid0(VALU_DEP_2) | instskip(NEXT) | instid1(VALU_DEP_2)
	v_cmp_eq_u32_e32 vcc_lo, 0, v97
	v_cndmask_b32_e32 v97, v100, v94, vcc_lo
; %bb.42:
	s_or_b32 exec_lo, exec_lo, s2
	v_and_b32_e32 v94, 0x7f800000, v92
	s_delay_alu instid0(VALU_DEP_1) | instskip(SKIP_1) | instid1(SALU_CYCLE_1)
	v_cmp_ne_u32_e32 vcc_lo, 0x7f800000, v94
                                        ; implicit-def: $vgpr94
	s_and_saveexec_b32 s2, vcc_lo
	s_xor_b32 s2, exec_lo, s2
; %bb.43:
	v_bfe_u32 v94, v92, 16, 1
	s_delay_alu instid0(VALU_DEP_1)
	v_add3_u32 v94, v92, v94, 0x7fff
                                        ; implicit-def: $vgpr92
; %bb.44:
	s_and_not1_saveexec_b32 s2, s2
; %bb.45:
	v_and_b32_e32 v94, 0xffff, v92
	v_or_b32_e32 v100, 0x10000, v92
	s_delay_alu instid0(VALU_DEP_2) | instskip(NEXT) | instid1(VALU_DEP_2)
	v_cmp_eq_u32_e32 vcc_lo, 0, v94
	v_cndmask_b32_e32 v94, v100, v92, vcc_lo
; %bb.46:
	s_or_b32 exec_lo, exec_lo, s2
	s_load_b64 s[34:35], s[0:1], 0x94
	v_lshlrev_b32_e32 v92, 4, v83
	s_delay_alu instid0(VALU_DEP_2)
	v_perm_b32 v100, v94, v97, 0x7060302
	v_dual_mul_f32 v89, v90, v89 :: v_dual_lshlrev_b32 v94, 11, v74
	v_perm_b32 v97, v93, v91, 0x7060302
	v_mul_f32_e32 v93, v90, v77
	v_perm_b32 v99, v98, v99, 0x7060302
	v_perm_b32 v98, v96, v95, 0x7060302
	v_or3_b32 v77, v92, v94, v85
	v_mul_f32_e32 v88, v90, v88
	v_dual_mul_f32 v87, v90, v87 :: v_dual_and_b32 v94, 0x7f800000, v93
	v_mul_f32_e32 v86, v90, v86
	v_mul_f32_e32 v91, v90, v80
	;; [unrolled: 1-line block ×4, first 2 shown]
	s_mov_b32 s2, exec_lo
	ds_store_b128 v77, v[97:100]
                                        ; implicit-def: $vgpr78
	v_cmpx_ne_u32_e32 0x7f800000, v94
	s_xor_b32 s2, exec_lo, s2
; %bb.47:
	v_bfe_u32 v78, v93, 16, 1
	s_delay_alu instid0(VALU_DEP_1)
	v_add3_u32 v78, v93, v78, 0x7fff
                                        ; implicit-def: $vgpr93
; %bb.48:
	s_and_not1_saveexec_b32 s2, s2
; %bb.49:
	v_and_b32_e32 v78, 0xffff, v93
	v_or_b32_e32 v79, 0x10000, v93
	s_delay_alu instid0(VALU_DEP_2) | instskip(NEXT) | instid1(VALU_DEP_2)
	v_cmp_eq_u32_e32 vcc_lo, 0, v78
	v_cndmask_b32_e32 v78, v79, v93, vcc_lo
; %bb.50:
	s_or_b32 exec_lo, exec_lo, s2
	v_and_b32_e32 v79, 0x7f800000, v80
	s_delay_alu instid0(VALU_DEP_1) | instskip(SKIP_1) | instid1(SALU_CYCLE_1)
	v_cmp_ne_u32_e32 vcc_lo, 0x7f800000, v79
                                        ; implicit-def: $vgpr79
	s_and_saveexec_b32 s2, vcc_lo
	s_xor_b32 s2, exec_lo, s2
; %bb.51:
	v_bfe_u32 v79, v80, 16, 1
	s_delay_alu instid0(VALU_DEP_1)
	v_add3_u32 v79, v80, v79, 0x7fff
                                        ; implicit-def: $vgpr80
; %bb.52:
	s_and_not1_saveexec_b32 s2, s2
; %bb.53:
	v_and_b32_e32 v79, 0xffff, v80
	v_or_b32_e32 v90, 0x10000, v80
	s_delay_alu instid0(VALU_DEP_2) | instskip(NEXT) | instid1(VALU_DEP_2)
	v_cmp_eq_u32_e32 vcc_lo, 0, v79
	v_cndmask_b32_e32 v79, v90, v80, vcc_lo
; %bb.54:
	s_or_b32 exec_lo, exec_lo, s2
	v_and_b32_e32 v80, 0x7f800000, v92
	s_delay_alu instid0(VALU_DEP_1) | instskip(SKIP_1) | instid1(SALU_CYCLE_1)
	v_cmp_ne_u32_e32 vcc_lo, 0x7f800000, v80
                                        ; implicit-def: $vgpr80
	s_and_saveexec_b32 s2, vcc_lo
	s_xor_b32 s2, exec_lo, s2
; %bb.55:
	v_bfe_u32 v80, v92, 16, 1
	s_delay_alu instid0(VALU_DEP_1)
	v_add3_u32 v80, v92, v80, 0x7fff
                                        ; implicit-def: $vgpr92
; %bb.56:
	s_and_not1_saveexec_b32 s2, s2
; %bb.57:
	v_and_b32_e32 v80, 0xffff, v92
	v_or_b32_e32 v90, 0x10000, v92
	s_delay_alu instid0(VALU_DEP_2) | instskip(NEXT) | instid1(VALU_DEP_2)
	v_cmp_eq_u32_e32 vcc_lo, 0, v80
	v_cndmask_b32_e32 v80, v90, v92, vcc_lo
; %bb.58:
	s_or_b32 exec_lo, exec_lo, s2
	v_and_b32_e32 v90, 0x7f800000, v91
	s_delay_alu instid0(VALU_DEP_1) | instskip(SKIP_1) | instid1(SALU_CYCLE_1)
	v_cmp_ne_u32_e32 vcc_lo, 0x7f800000, v90
                                        ; implicit-def: $vgpr90
	s_and_saveexec_b32 s2, vcc_lo
	s_xor_b32 s2, exec_lo, s2
; %bb.59:
	v_bfe_u32 v90, v91, 16, 1
	s_delay_alu instid0(VALU_DEP_1)
	v_add3_u32 v90, v91, v90, 0x7fff
                                        ; implicit-def: $vgpr91
; %bb.60:
	s_and_not1_saveexec_b32 s2, s2
; %bb.61:
	v_and_b32_e32 v90, 0xffff, v91
	v_or_b32_e32 v92, 0x10000, v91
	s_delay_alu instid0(VALU_DEP_2) | instskip(NEXT) | instid1(VALU_DEP_2)
	v_cmp_eq_u32_e32 vcc_lo, 0, v90
	v_cndmask_b32_e32 v90, v92, v91, vcc_lo
; %bb.62:
	s_or_b32 exec_lo, exec_lo, s2
	v_and_b32_e32 v91, 0x7f800000, v86
	s_delay_alu instid0(VALU_DEP_1) | instskip(SKIP_1) | instid1(SALU_CYCLE_1)
	v_cmp_ne_u32_e32 vcc_lo, 0x7f800000, v91
                                        ; implicit-def: $vgpr91
	s_and_saveexec_b32 s2, vcc_lo
	s_xor_b32 s2, exec_lo, s2
; %bb.63:
	v_bfe_u32 v91, v86, 16, 1
	s_delay_alu instid0(VALU_DEP_1)
	v_add3_u32 v91, v86, v91, 0x7fff
                                        ; implicit-def: $vgpr86
; %bb.64:
	s_and_not1_saveexec_b32 s2, s2
; %bb.65:
	v_and_b32_e32 v91, 0xffff, v86
	v_or_b32_e32 v92, 0x10000, v86
	s_delay_alu instid0(VALU_DEP_2) | instskip(NEXT) | instid1(VALU_DEP_2)
	v_cmp_eq_u32_e32 vcc_lo, 0, v91
	v_cndmask_b32_e32 v91, v92, v86, vcc_lo
; %bb.66:
	s_or_b32 exec_lo, exec_lo, s2
	v_and_b32_e32 v86, 0x7f800000, v87
	s_delay_alu instid0(VALU_DEP_1) | instskip(SKIP_1) | instid1(SALU_CYCLE_1)
	v_cmp_ne_u32_e32 vcc_lo, 0x7f800000, v86
                                        ; implicit-def: $vgpr86
	s_and_saveexec_b32 s2, vcc_lo
	s_xor_b32 s2, exec_lo, s2
; %bb.67:
	v_bfe_u32 v86, v87, 16, 1
	s_delay_alu instid0(VALU_DEP_1)
	v_add3_u32 v86, v87, v86, 0x7fff
                                        ; implicit-def: $vgpr87
; %bb.68:
	s_and_not1_saveexec_b32 s2, s2
; %bb.69:
	v_and_b32_e32 v86, 0xffff, v87
	v_or_b32_e32 v92, 0x10000, v87
	s_delay_alu instid0(VALU_DEP_2) | instskip(NEXT) | instid1(VALU_DEP_2)
	v_cmp_eq_u32_e32 vcc_lo, 0, v86
	v_cndmask_b32_e32 v86, v92, v87, vcc_lo
; %bb.70:
	s_or_b32 exec_lo, exec_lo, s2
	v_and_b32_e32 v87, 0x7f800000, v88
	s_delay_alu instid0(VALU_DEP_1) | instskip(SKIP_1) | instid1(SALU_CYCLE_1)
	v_cmp_ne_u32_e32 vcc_lo, 0x7f800000, v87
                                        ; implicit-def: $vgpr87
	s_and_saveexec_b32 s2, vcc_lo
	s_xor_b32 s2, exec_lo, s2
; %bb.71:
	v_bfe_u32 v87, v88, 16, 1
	s_delay_alu instid0(VALU_DEP_1)
	v_add3_u32 v87, v88, v87, 0x7fff
                                        ; implicit-def: $vgpr88
; %bb.72:
	s_and_not1_saveexec_b32 s2, s2
; %bb.73:
	v_and_b32_e32 v87, 0xffff, v88
	v_or_b32_e32 v92, 0x10000, v88
	s_delay_alu instid0(VALU_DEP_2) | instskip(NEXT) | instid1(VALU_DEP_2)
	v_cmp_eq_u32_e32 vcc_lo, 0, v87
	v_cndmask_b32_e32 v87, v92, v88, vcc_lo
; %bb.74:
	s_or_b32 exec_lo, exec_lo, s2
	v_and_b32_e32 v88, 0x7f800000, v89
	s_delay_alu instid0(VALU_DEP_1) | instskip(SKIP_1) | instid1(SALU_CYCLE_1)
	v_cmp_ne_u32_e32 vcc_lo, 0x7f800000, v88
                                        ; implicit-def: $vgpr88
	s_and_saveexec_b32 s2, vcc_lo
	s_xor_b32 s2, exec_lo, s2
; %bb.75:
	v_bfe_u32 v88, v89, 16, 1
	s_delay_alu instid0(VALU_DEP_1)
	v_add3_u32 v88, v89, v88, 0x7fff
                                        ; implicit-def: $vgpr89
; %bb.76:
	s_and_not1_saveexec_b32 s2, s2
; %bb.77:
	v_and_b32_e32 v88, 0xffff, v89
	v_or_b32_e32 v92, 0x10000, v89
	s_delay_alu instid0(VALU_DEP_2) | instskip(NEXT) | instid1(VALU_DEP_2)
	v_cmp_eq_u32_e32 vcc_lo, 0, v88
	v_cndmask_b32_e32 v88, v92, v89, vcc_lo
; %bb.78:
	s_or_b32 exec_lo, exec_lo, s2
	s_delay_alu instid0(VALU_DEP_1)
	v_perm_b32 v89, v88, v87, 0x7060302
	v_perm_b32 v88, v86, v91, 0x7060302
	v_perm_b32 v87, v90, v80, 0x7060302
	v_perm_b32 v86, v79, v78, 0x7060302
	v_lshl_or_b32 v90, v74, 11, v85
	ds_store_b128 v77, v[86:89] offset:1024
	s_waitcnt lgkmcnt(0)
	s_barrier
	buffer_gl0_inv
	ds_load_b128 v[91:94], v90
	ds_load_b128 v[95:98], v90 offset:16
	v_lshlrev_b32_e32 v87, 2, v83
	s_delay_alu instid0(VALU_DEP_1)
	v_or_b32_e32 v88, 1, v87
	v_cmp_eq_u32_e32 vcc_lo, 1, v87
	v_cmp_eq_u32_e64 s3, 2, v87
	v_cmp_eq_u32_e64 s6, 3, v87
	;; [unrolled: 1-line block ×6, first 2 shown]
	v_or_b32_e32 v86, 2, v87
	v_cmp_eq_u32_e64 s9, 5, v87
	v_cmp_eq_u32_e64 s10, 4, v88
	;; [unrolled: 1-line block ×4, first 2 shown]
	s_waitcnt lgkmcnt(1)
	v_lshrrev_b32_e32 v74, 16, v91
	s_waitcnt lgkmcnt(0)
	v_lshrrev_b32_e32 v103, 16, v95
	v_lshrrev_b32_e32 v80, 16, v94
	;; [unrolled: 1-line block ×4, first 2 shown]
	v_cndmask_b32_e32 v89, v91, v74, vcc_lo
	v_cndmask_b32_e32 v99, v95, v103, vcc_lo
	v_cndmask_b32_e64 v100, v91, v74, s2
	v_lshrrev_b32_e32 v79, 16, v93
	v_lshrrev_b32_e32 v108, 16, v97
	v_cndmask_b32_e64 v89, v89, v92, s3
	v_cndmask_b32_e64 v99, v99, v96, s3
	;; [unrolled: 1-line block ×4, first 2 shown]
	v_cmp_eq_u32_e64 s4, 1, v86
	v_cndmask_b32_e64 v89, v89, v78, s6
	v_cndmask_b32_e64 v99, v99, v107, s6
	;; [unrolled: 1-line block ×4, first 2 shown]
	v_lshrrev_b32_e32 v109, 16, v98
	v_cndmask_b32_e64 v89, v89, v93, s8
	v_cndmask_b32_e64 v99, v99, v97, s8
	v_cndmask_b32_e64 v100, v100, v93, s10
	v_cndmask_b32_e64 v102, v91, v74, s4
	v_cndmask_b32_e64 v101, v101, v107, s7
	v_cndmask_b32_e64 v89, v89, v79, s9
	v_cndmask_b32_e64 v99, v99, v108, s9
	v_cndmask_b32_e64 v100, v100, v79, s12
	v_cmp_eq_u32_e64 s13, 7, v87
	v_cmp_eq_u32_e64 s15, 6, v88
	v_cndmask_b32_e64 v89, v89, v94, s11
	v_cndmask_b32_e64 v99, v99, v98, s11
	v_cmp_eq_u32_e64 s16, 2, v86
	v_cndmask_b32_e64 v101, v101, v97, s10
	v_cndmask_b32_e64 v100, v100, v94, s15
	;; [unrolled: 1-line block ×6, first 2 shown]
	v_cmp_eq_u32_e64 s17, 7, v88
	v_cmp_eq_u32_e64 s18, 3, v86
	;; [unrolled: 1-line block ×4, first 2 shown]
	v_cndmask_b32_e64 v99, v99, v96, s16
	v_cndmask_b32_e64 v112, v100, v80, s17
	;; [unrolled: 1-line block ×4, first 2 shown]
	v_or_b32_e32 v89, 3, v87
	v_cndmask_b32_e64 v105, v99, v107, s18
	v_cmp_eq_u32_e64 s23, 6, v86
	v_cndmask_b32_e64 v113, v100, v98, s15
	v_cndmask_b32_e64 v104, v101, v93, s19
	ds_load_b128 v[99:102], v90 offset:1024
	v_cmp_eq_u32_e64 s20, 1, v89
	v_cmp_eq_u32_e64 s22, 2, v89
	;; [unrolled: 1-line block ×3, first 2 shown]
	v_cndmask_b32_e64 v114, v104, v79, s21
	v_cmp_eq_u32_e64 s25, 4, v89
	v_cndmask_b32_e64 v74, v91, v74, s20
	v_cndmask_b32_e64 v91, v105, v97, s19
	;; [unrolled: 1-line block ×3, first 2 shown]
	ds_load_b128 v[103:106], v90 offset:1040
	v_cmp_eq_u32_e64 s27, 5, v89
	v_cndmask_b32_e64 v74, v74, v92, s22
	v_cndmask_b32_e64 v91, v91, v108, s21
	;; [unrolled: 1-line block ×3, first 2 shown]
	v_cmp_eq_u32_e64 s28, 6, v89
	v_cndmask_b32_e64 v95, v113, v109, s17
	v_cndmask_b32_e64 v74, v74, v78, s24
	;; [unrolled: 1-line block ×5, first 2 shown]
	s_waitcnt lgkmcnt(1)
	v_lshrrev_b32_e32 v96, 16, v99
	v_cndmask_b32_e64 v74, v74, v93, s25
	v_lshrrev_b32_e32 v107, 16, v100
	v_cndmask_b32_e64 v92, v92, v97, s25
	v_cmp_eq_u32_e64 s26, 7, v86
	v_cndmask_b32_e32 v93, v99, v96, vcc_lo
	v_cndmask_b32_e64 v74, v74, v79, s27
	s_delay_alu instid0(VALU_DEP_4)
	v_cndmask_b32_e64 v79, v92, v108, s27
	s_waitcnt lgkmcnt(0)
	v_lshrrev_b32_e32 v97, 16, v103
	v_cndmask_b32_e64 v92, v93, v100, s3
	v_cndmask_b32_e64 v93, v99, v96, s2
	;; [unrolled: 1-line block ×4, first 2 shown]
	v_cndmask_b32_e32 v108, v103, v97, vcc_lo
	v_cndmask_b32_e64 v92, v92, v107, s6
	v_cndmask_b32_e64 v93, v93, v100, s5
	v_lshrrev_b32_e32 v98, 16, v104
	v_cmp_eq_u32_e32 vcc_lo, 7, v89
	v_cndmask_b32_e64 v94, v108, v104, s3
	v_cndmask_b32_e64 v92, v92, v101, s8
	v_lshrrev_b32_e32 v108, 16, v101
	v_cndmask_b32_e64 v93, v93, v107, s7
	v_cndmask_b32_e32 v74, v74, v80, vcc_lo
	v_cndmask_b32_e64 v94, v94, v98, s6
	v_cndmask_b32_e32 v79, v79, v109, vcc_lo
	v_cndmask_b32_e64 v92, v92, v108, s9
	v_cndmask_b32_e64 v78, v78, v80, s26
	;; [unrolled: 1-line block ×4, first 2 shown]
	v_perm_b32 v94, v79, v74, 0x5040100
	v_cndmask_b32_e64 v79, v92, v102, s11
	v_perm_b32 v92, v95, v112, 0x5040100
	v_cndmask_b32_e64 v95, v99, v96, s4
	v_cndmask_b32_e64 v96, v99, v96, s20
	;; [unrolled: 1-line block ×16, first 2 shown]
	v_lshrrev_b32_e32 v109, 16, v105
	v_cndmask_b32_e64 v95, v95, v101, s19
	v_cndmask_b32_e64 v96, v96, v101, s25
	;; [unrolled: 1-line block ×6, first 2 shown]
	v_lshrrev_b32_e32 v80, 16, v102
	v_cndmask_b32_e64 v113, v93, v109, s9
	v_cndmask_b32_e64 v95, v95, v108, s21
	;; [unrolled: 1-line block ×6, first 2 shown]
	v_perm_b32 v93, v91, v78, 0x5040100
	v_cndmask_b32_e64 v74, v74, v102, s15
	v_cndmask_b32_e64 v78, v79, v80, s13
	;; [unrolled: 1-line block ×3, first 2 shown]
	v_lshrrev_b32_e32 v91, 16, v106
	v_cndmask_b32_e64 v95, v95, v102, s23
	v_cndmask_b32_e64 v96, v96, v102, s28
	;; [unrolled: 1-line block ×7, first 2 shown]
	v_cndmask_b32_e32 v80, v96, v80, vcc_lo
	v_cndmask_b32_e32 v96, v98, v91, vcc_lo
	v_cndmask_b32_e64 v99, v99, v91, s26
	v_cndmask_b32_e64 v100, v97, v91, s17
	;; [unrolled: 1-line block ×3, first 2 shown]
	v_perm_b32 v91, v111, v110, 0x5040100
	v_perm_b32 v98, v96, v80, 0x5040100
	v_perm_b32 v97, v99, v95, 0x5040100
	v_perm_b32 v96, v100, v74, 0x5040100
	v_perm_b32 v95, v79, v78, 0x5040100
	s_mul_i32 s7, s35, 6
	s_mov_b32 s2, exec_lo
	ds_store_b128 v77, v[91:94]
	ds_store_b128 v77, v[95:98] offset:1024
	v_cmpx_gt_u32_e32 6, v0
	s_cbranch_execz .LBB735_80
; %bb.79:
	s_mul_i32 s3, s7, s30
	s_load_b128 s[8:11], s[0:1], 0x58
	v_add3_u32 v77, s3, s29, v73
	s_delay_alu instid0(VALU_DEP_1) | instskip(NEXT) | instid1(VALU_DEP_1)
	v_mad_u64_u32 v[73:74], null, v77, s34, s[14:15]
	v_ashrrev_i32_e32 v74, 31, v73
	s_delay_alu instid0(VALU_DEP_1) | instskip(SKIP_1) | instid1(VALU_DEP_1)
	v_lshlrev_b64 v[73:74], 2, v[73:74]
	s_waitcnt lgkmcnt(0)
	v_add_co_u32 v77, vcc_lo, s10, v73
	s_delay_alu instid0(VALU_DEP_2)
	v_add_co_ci_u32_e32 v78, vcc_lo, s11, v74, vcc_lo
	v_add_co_u32 v73, vcc_lo, s8, v73
	v_add_co_ci_u32_e32 v74, vcc_lo, s9, v74, vcc_lo
	global_store_b32 v[77:78], v75, off
	global_store_b32 v[73:74], v76, off
.LBB735_80:
	s_or_b32 exec_lo, exec_lo, s2
	s_waitcnt lgkmcnt(0)
	s_waitcnt_vscnt null, 0x0
	s_barrier
	buffer_gl0_inv
	ds_load_b128 v[91:94], v85
	ds_load_b128 v[95:98], v85 offset:16
	ds_load_b128 v[103:106], v85 offset:1040
	;; [unrolled: 1-line block ×3, first 2 shown]
	v_mov_b32_e32 v73, 0
	ds_load_b128 v[111:114], v85 offset:2064
	ds_load_b128 v[107:110], v85 offset:2048
	;; [unrolled: 1-line block ×6, first 2 shown]
	v_mov_b32_e32 v74, v73
	v_mov_b32_e32 v75, v73
	v_mov_b32_e32 v76, v73
	v_mov_b32_e32 v77, v73
	v_mov_b32_e32 v78, v73
	v_mov_b32_e32 v79, v73
	v_mov_b32_e32 v80, v73
	s_waitcnt lgkmcnt(8)
	s_delay_alu instid0(VALU_DEP_1)
	v_wmma_f32_16x16x16_bf16 v[73:80], v[65:72], v[91:98], v[73:80]
	ds_load_b128 v[69:72], v85 offset:5136
	ds_load_b128 v[65:68], v85 offset:5120
	;; [unrolled: 1-line block ×4, first 2 shown]
	s_waitcnt lgkmcnt(10)
	v_wmma_f32_16x16x16_bf16 v[73:80], v[57:64], v[99:106], v[73:80]
	s_waitcnt lgkmcnt(8)
	s_delay_alu instid0(VALU_DEP_1)
	v_wmma_f32_16x16x16_bf16 v[73:80], v[57:64], v[107:114], v[73:80]
	ds_load_b128 v[61:64], v85 offset:7184
	ds_load_b128 v[57:60], v85 offset:7168
	;; [unrolled: 1-line block ×4, first 2 shown]
	s_waitcnt lgkmcnt(10)
	v_wmma_f32_16x16x16_bf16 v[73:80], v[49:56], v[115:122], v[73:80]
	s_waitcnt lgkmcnt(8)
	s_delay_alu instid0(VALU_DEP_1)
	v_wmma_f32_16x16x16_bf16 v[73:80], v[49:56], v[123:130], v[73:80]
	ds_load_b128 v[53:56], v85 offset:9232
	ds_load_b128 v[49:52], v85 offset:9216
	s_waitcnt lgkmcnt(8)
	v_wmma_f32_16x16x16_bf16 v[73:80], v[41:48], v[65:72], v[73:80]
	ds_load_b128 v[69:72], v85 offset:10256
	ds_load_b128 v[65:68], v85 offset:10240
	s_waitcnt lgkmcnt(8)
	v_wmma_f32_16x16x16_bf16 v[73:80], v[41:48], v[91:98], v[73:80]
	ds_load_b128 v[45:48], v85 offset:11280
	ds_load_b128 v[41:44], v85 offset:11264
	s_waitcnt lgkmcnt(8)
	v_wmma_f32_16x16x16_bf16 v[73:80], v[9:16], v[57:64], v[73:80]
	s_waitcnt lgkmcnt(6)
	s_delay_alu instid0(VALU_DEP_1)
	v_wmma_f32_16x16x16_bf16 v[73:80], v[9:16], v[99:106], v[73:80]
	ds_load_b128 v[13:16], v85 offset:12304
	ds_load_b128 v[9:12], v85 offset:12288
	s_waitcnt lgkmcnt(6)
	v_wmma_f32_16x16x16_bf16 v[73:80], v[1:8], v[49:56], v[73:80]
	ds_load_b128 v[53:56], v85 offset:13328
	ds_load_b128 v[49:52], v85 offset:13312
	s_waitcnt lgkmcnt(6)
	;; [unrolled: 4-line block ×4, first 2 shown]
	v_wmma_f32_16x16x16_bf16 v[73:80], v[33:40], v[9:16], v[73:80]
	s_waitcnt lgkmcnt(4)
	s_delay_alu instid0(VALU_DEP_1) | instskip(SKIP_1) | instid1(VALU_DEP_1)
	v_wmma_f32_16x16x16_bf16 v[73:80], v[25:32], v[49:56], v[73:80]
	s_waitcnt lgkmcnt(2)
	v_wmma_f32_16x16x16_bf16 v[73:80], v[25:32], v[1:8], v[73:80]
	s_waitcnt lgkmcnt(0)
	s_delay_alu instid0(VALU_DEP_1) | instskip(NEXT) | instid1(VALU_DEP_1)
	v_wmma_f32_16x16x16_bf16 v[73:80], v[17:24], v[41:48], v[73:80]
	v_and_b32_e32 v1, 0x7f800000, v73
	s_delay_alu instid0(VALU_DEP_1) | instskip(SKIP_1) | instid1(SALU_CYCLE_1)
	v_cmp_ne_u32_e32 vcc_lo, 0x7f800000, v1
                                        ; implicit-def: $vgpr1
	s_and_saveexec_b32 s2, vcc_lo
	s_xor_b32 s2, exec_lo, s2
; %bb.81:
	v_bfe_u32 v1, v73, 16, 1
	s_delay_alu instid0(VALU_DEP_1)
	v_add3_u32 v1, v73, v1, 0x7fff
; %bb.82:
	s_and_not1_saveexec_b32 s2, s2
; %bb.83:
	v_and_b32_e32 v1, 0xffff, v73
	v_or_b32_e32 v2, 0x10000, v73
	s_delay_alu instid0(VALU_DEP_2) | instskip(NEXT) | instid1(VALU_DEP_2)
	v_cmp_eq_u32_e32 vcc_lo, 0, v1
	v_cndmask_b32_e32 v1, v2, v73, vcc_lo
; %bb.84:
	s_or_b32 exec_lo, exec_lo, s2
	v_and_b32_e32 v2, 0x7f800000, v74
	s_delay_alu instid0(VALU_DEP_1) | instskip(SKIP_1) | instid1(SALU_CYCLE_1)
	v_cmp_ne_u32_e32 vcc_lo, 0x7f800000, v2
                                        ; implicit-def: $vgpr2
	s_and_saveexec_b32 s2, vcc_lo
	s_xor_b32 s2, exec_lo, s2
; %bb.85:
	v_bfe_u32 v2, v74, 16, 1
	s_delay_alu instid0(VALU_DEP_1)
	v_add3_u32 v2, v74, v2, 0x7fff
; %bb.86:
	s_and_not1_saveexec_b32 s2, s2
; %bb.87:
	v_and_b32_e32 v2, 0xffff, v74
	v_or_b32_e32 v3, 0x10000, v74
	s_delay_alu instid0(VALU_DEP_2) | instskip(NEXT) | instid1(VALU_DEP_2)
	v_cmp_eq_u32_e32 vcc_lo, 0, v2
	v_cndmask_b32_e32 v2, v3, v74, vcc_lo
; %bb.88:
	s_or_b32 exec_lo, exec_lo, s2
	v_and_b32_e32 v3, 0x7f800000, v75
	s_delay_alu instid0(VALU_DEP_1) | instskip(SKIP_1) | instid1(SALU_CYCLE_1)
	v_cmp_ne_u32_e32 vcc_lo, 0x7f800000, v3
                                        ; implicit-def: $vgpr3
	s_and_saveexec_b32 s2, vcc_lo
	s_xor_b32 s2, exec_lo, s2
; %bb.89:
	v_bfe_u32 v3, v75, 16, 1
	s_delay_alu instid0(VALU_DEP_1)
	v_add3_u32 v3, v75, v3, 0x7fff
; %bb.90:
	s_and_not1_saveexec_b32 s2, s2
; %bb.91:
	v_and_b32_e32 v3, 0xffff, v75
	v_or_b32_e32 v4, 0x10000, v75
	s_delay_alu instid0(VALU_DEP_2) | instskip(NEXT) | instid1(VALU_DEP_2)
	v_cmp_eq_u32_e32 vcc_lo, 0, v3
	v_cndmask_b32_e32 v3, v4, v75, vcc_lo
; %bb.92:
	s_or_b32 exec_lo, exec_lo, s2
	v_and_b32_e32 v4, 0x7f800000, v76
	s_delay_alu instid0(VALU_DEP_1) | instskip(SKIP_1) | instid1(SALU_CYCLE_1)
	v_cmp_ne_u32_e32 vcc_lo, 0x7f800000, v4
                                        ; implicit-def: $vgpr4
	s_and_saveexec_b32 s2, vcc_lo
	s_xor_b32 s2, exec_lo, s2
; %bb.93:
	v_bfe_u32 v4, v76, 16, 1
	s_delay_alu instid0(VALU_DEP_1)
	v_add3_u32 v4, v76, v4, 0x7fff
; %bb.94:
	s_and_not1_saveexec_b32 s2, s2
; %bb.95:
	v_and_b32_e32 v4, 0xffff, v76
	v_or_b32_e32 v5, 0x10000, v76
	s_delay_alu instid0(VALU_DEP_2) | instskip(NEXT) | instid1(VALU_DEP_2)
	v_cmp_eq_u32_e32 vcc_lo, 0, v4
	v_cndmask_b32_e32 v4, v5, v76, vcc_lo
; %bb.96:
	s_or_b32 exec_lo, exec_lo, s2
	v_and_b32_e32 v5, 0x7f800000, v77
	s_delay_alu instid0(VALU_DEP_1) | instskip(SKIP_1) | instid1(SALU_CYCLE_1)
	v_cmp_ne_u32_e32 vcc_lo, 0x7f800000, v5
                                        ; implicit-def: $vgpr5
	s_and_saveexec_b32 s2, vcc_lo
	s_xor_b32 s2, exec_lo, s2
; %bb.97:
	v_bfe_u32 v5, v77, 16, 1
	s_delay_alu instid0(VALU_DEP_1)
	v_add3_u32 v5, v77, v5, 0x7fff
; %bb.98:
	s_and_not1_saveexec_b32 s2, s2
; %bb.99:
	v_and_b32_e32 v5, 0xffff, v77
	v_or_b32_e32 v6, 0x10000, v77
	s_delay_alu instid0(VALU_DEP_2) | instskip(NEXT) | instid1(VALU_DEP_2)
	v_cmp_eq_u32_e32 vcc_lo, 0, v5
	v_cndmask_b32_e32 v5, v6, v77, vcc_lo
; %bb.100:
	s_or_b32 exec_lo, exec_lo, s2
	v_and_b32_e32 v6, 0x7f800000, v78
	s_delay_alu instid0(VALU_DEP_1) | instskip(SKIP_1) | instid1(SALU_CYCLE_1)
	v_cmp_ne_u32_e32 vcc_lo, 0x7f800000, v6
                                        ; implicit-def: $vgpr6
	s_and_saveexec_b32 s2, vcc_lo
	s_xor_b32 s2, exec_lo, s2
; %bb.101:
	v_bfe_u32 v6, v78, 16, 1
	s_delay_alu instid0(VALU_DEP_1)
	v_add3_u32 v6, v78, v6, 0x7fff
; %bb.102:
	s_and_not1_saveexec_b32 s2, s2
; %bb.103:
	v_and_b32_e32 v6, 0xffff, v78
	v_or_b32_e32 v7, 0x10000, v78
	s_delay_alu instid0(VALU_DEP_2) | instskip(NEXT) | instid1(VALU_DEP_2)
	v_cmp_eq_u32_e32 vcc_lo, 0, v6
	v_cndmask_b32_e32 v6, v7, v78, vcc_lo
; %bb.104:
	s_or_b32 exec_lo, exec_lo, s2
	v_and_b32_e32 v7, 0x7f800000, v79
	s_delay_alu instid0(VALU_DEP_1) | instskip(SKIP_1) | instid1(SALU_CYCLE_1)
	v_cmp_ne_u32_e32 vcc_lo, 0x7f800000, v7
                                        ; implicit-def: $vgpr7
	s_and_saveexec_b32 s2, vcc_lo
	s_xor_b32 s2, exec_lo, s2
; %bb.105:
	v_bfe_u32 v7, v79, 16, 1
	s_delay_alu instid0(VALU_DEP_1)
	v_add3_u32 v7, v79, v7, 0x7fff
; %bb.106:
	s_and_not1_saveexec_b32 s2, s2
; %bb.107:
	v_and_b32_e32 v7, 0xffff, v79
	v_or_b32_e32 v8, 0x10000, v79
	s_delay_alu instid0(VALU_DEP_2) | instskip(NEXT) | instid1(VALU_DEP_2)
	v_cmp_eq_u32_e32 vcc_lo, 0, v7
	v_cndmask_b32_e32 v7, v8, v79, vcc_lo
; %bb.108:
	s_or_b32 exec_lo, exec_lo, s2
	v_and_b32_e32 v8, 0x7f800000, v80
	s_delay_alu instid0(VALU_DEP_1) | instskip(SKIP_1) | instid1(SALU_CYCLE_1)
	v_cmp_ne_u32_e32 vcc_lo, 0x7f800000, v8
                                        ; implicit-def: $vgpr8
	s_and_saveexec_b32 s2, vcc_lo
	s_xor_b32 s2, exec_lo, s2
; %bb.109:
	v_bfe_u32 v8, v80, 16, 1
	s_delay_alu instid0(VALU_DEP_1)
	v_add3_u32 v8, v80, v8, 0x7fff
                                        ; implicit-def: $vgpr73_vgpr74_vgpr75_vgpr76_vgpr77_vgpr78_vgpr79_vgpr80
; %bb.110:
	s_and_not1_saveexec_b32 s2, s2
; %bb.111:
	v_and_b32_e32 v8, 0xffff, v80
	v_or_b32_e32 v9, 0x10000, v80
	s_delay_alu instid0(VALU_DEP_2) | instskip(NEXT) | instid1(VALU_DEP_2)
	v_cmp_eq_u32_e32 vcc_lo, 0, v8
	v_cndmask_b32_e32 v8, v9, v80, vcc_lo
; %bb.112:
	s_or_b32 exec_lo, exec_lo, s2
	s_delay_alu instid0(VALU_DEP_1)
	v_perm_b32 v7, v8, v7, 0x7060302
	v_perm_b32 v6, v6, v5, 0x7060302
	;; [unrolled: 1-line block ×4, first 2 shown]
	v_lshl_or_b32 v9, v83, 4, v90
	s_barrier
	buffer_gl0_inv
	v_cmp_eq_u32_e32 vcc_lo, 1, v87
	ds_store_b128 v9, v[4:7]
	s_waitcnt lgkmcnt(0)
	s_barrier
	buffer_gl0_inv
	ds_load_b128 v[1:4], v90
	ds_load_b128 v[5:8], v90 offset:16
	v_cmp_eq_u32_e64 s3, 2, v87
	v_cmp_eq_u32_e64 s2, 1, v88
	;; [unrolled: 1-line block ×5, first 2 shown]
	s_waitcnt lgkmcnt(1)
	v_lshrrev_b32_e32 v10, 16, v1
	s_waitcnt lgkmcnt(0)
	v_lshrrev_b32_e32 v14, 16, v5
	v_lshrrev_b32_e32 v15, 16, v6
	;; [unrolled: 1-line block ×4, first 2 shown]
	v_cndmask_b32_e64 v20, v1, v10, s2
	v_cndmask_b32_e32 v19, v5, v14, vcc_lo
	v_cndmask_b32_e64 v21, v5, v14, s2
	v_lshrrev_b32_e32 v16, 16, v7
	v_cmp_eq_u32_e64 s2, 1, v86
	v_lshrrev_b32_e32 v13, 16, v4
	v_cndmask_b32_e64 v19, v19, v6, s3
	v_lshrrev_b32_e32 v17, 16, v8
	s_delay_alu instid0(VALU_DEP_4) | instskip(SKIP_1) | instid1(VALU_DEP_4)
	v_cndmask_b32_e64 v22, v1, v10, s2
	v_cndmask_b32_e64 v23, v5, v14, s2
	;; [unrolled: 1-line block ×3, first 2 shown]
	v_cndmask_b32_e32 v18, v1, v10, vcc_lo
	v_cmp_eq_u32_e32 vcc_lo, 2, v88
	v_cmp_eq_u32_e64 s2, 2, v89
	v_cndmask_b32_e64 v22, v22, v2, s6
	v_cndmask_b32_e32 v20, v20, v2, vcc_lo
	v_cndmask_b32_e32 v21, v21, v6, vcc_lo
	v_cmp_eq_u32_e32 vcc_lo, 4, v87
	v_cndmask_b32_e32 v19, v19, v7, vcc_lo
	v_cndmask_b32_e64 v18, v18, v2, s3
	v_cmp_eq_u32_e64 s3, 3, v88
	s_delay_alu instid0(VALU_DEP_2) | instskip(NEXT) | instid1(VALU_DEP_2)
	v_cndmask_b32_e64 v18, v18, v11, s4
	v_cndmask_b32_e64 v21, v21, v15, s3
	v_cmp_eq_u32_e64 s4, 5, v87
	s_delay_alu instid0(VALU_DEP_3) | instskip(SKIP_1) | instid1(VALU_DEP_3)
	v_cndmask_b32_e32 v18, v18, v3, vcc_lo
	v_cmp_eq_u32_e32 vcc_lo, 4, v88
	v_cndmask_b32_e64 v19, v19, v16, s4
	s_delay_alu instid0(VALU_DEP_3) | instskip(SKIP_4) | instid1(VALU_DEP_3)
	v_cndmask_b32_e64 v18, v18, v12, s4
	v_cndmask_b32_e32 v21, v21, v7, vcc_lo
	v_cndmask_b32_e64 v20, v20, v11, s3
	v_cmp_eq_u32_e64 s3, 5, v88
	v_cmp_eq_u32_e64 s4, 6, v87
	v_cndmask_b32_e32 v20, v20, v3, vcc_lo
	s_delay_alu instid0(VALU_DEP_3) | instskip(SKIP_1) | instid1(VALU_DEP_4)
	v_cndmask_b32_e64 v21, v21, v16, s3
	v_cmp_eq_u32_e32 vcc_lo, 6, v88
	v_cndmask_b32_e64 v18, v18, v4, s4
	v_cndmask_b32_e64 v19, v19, v8, s4
	;; [unrolled: 1-line block ×3, first 2 shown]
	v_cmp_eq_u32_e64 s3, 1, v89
	v_cmp_eq_u32_e64 s4, 7, v87
	s_delay_alu instid0(VALU_DEP_3) | instskip(NEXT) | instid1(VALU_DEP_3)
	v_cndmask_b32_e32 v20, v20, v4, vcc_lo
	v_cndmask_b32_e64 v1, v1, v10, s3
	v_cndmask_b32_e64 v5, v5, v14, s3
	v_cmp_eq_u32_e64 s3, 3, v86
	v_cndmask_b32_e64 v14, v23, v6, s6
	v_cmp_eq_u32_e64 s6, 3, v89
	v_cndmask_b32_e64 v1, v1, v2, s2
	v_cndmask_b32_e64 v2, v5, v6, s2
	;; [unrolled: 1-line block ×3, first 2 shown]
	v_cmp_eq_u32_e64 s2, 4, v86
	v_cndmask_b32_e64 v6, v14, v15, s3
	v_cndmask_b32_e64 v1, v1, v11, s6
	v_cmp_eq_u32_e64 s3, 4, v89
	v_cndmask_b32_e64 v2, v2, v15, s6
	v_cndmask_b32_e64 v5, v10, v3, s2
	;; [unrolled: 3-line block ×3, first 2 shown]
	v_cndmask_b32_e64 v2, v2, v7, s3
	v_cmp_eq_u32_e64 s2, 5, v89
	v_cndmask_b32_e64 v5, v5, v12, s6
	v_cmp_eq_u32_e64 s3, 6, v86
	;; [unrolled: 2-line block ×3, first 2 shown]
	v_cndmask_b32_e64 v1, v1, v12, s2
	v_cndmask_b32_e64 v2, v2, v16, s2
	;; [unrolled: 1-line block ×4, first 2 shown]
	v_cmp_eq_u32_e64 s2, 7, v89
	v_cndmask_b32_e64 v1, v1, v4, s6
	v_cndmask_b32_e64 v2, v2, v8, s6
	v_cmp_eq_u32_e64 s3, 7, v86
	v_cndmask_b32_e32 v4, v21, v8, vcc_lo
	v_cndmask_b32_e64 v18, v18, v13, s4
	v_cndmask_b32_e64 v20, v20, v13, s5
	;; [unrolled: 1-line block ×8, first 2 shown]
	s_mov_b32 s2, exec_lo
	v_perm_b32 v4, v2, v1, 0x5040100
	v_perm_b32 v3, v3, v5, 0x5040100
	;; [unrolled: 1-line block ×4, first 2 shown]
	ds_store_b128 v9, v[1:4]
	s_waitcnt lgkmcnt(0)
	s_barrier
	buffer_gl0_inv
	v_cmpx_gt_u32_e32 32, v0
	s_cbranch_execz .LBB735_2
; %bb.113:
	s_load_b64 s[0:1], s[0:1], 0x68
	s_lshl_b32 s4, s34, 7
	v_or_b32_e32 v3, s29, v83
	s_mul_i32 s2, s4, s30
	v_lshlrev_b32_e32 v0, 10, v0
	s_mul_i32 s2, s2, s7
	v_lshlrev_b32_e32 v1, 4, v84
	s_ashr_i32 s3, s2, 31
	v_mul_lo_u32 v12, v3, s4
	s_lshl_b64 s[2:3], s[2:3], 1
	v_lshlrev_b32_e32 v2, 6, v83
	v_and_b32_e32 v0, 0x3800, v0
	s_delay_alu instid0(VALU_DEP_1) | instskip(NEXT) | instid1(VALU_DEP_4)
	v_or3_b32 v8, v0, v1, v2
	v_ashrrev_i32_e32 v13, 31, v12
	ds_load_b128 v[0:3], v8
	ds_load_b128 v[4:7], v8 offset:128
	ds_load_b128 v[8:11], v8 offset:256
	s_waitcnt lgkmcnt(0)
	s_add_u32 s2, s0, s2
	s_addc_u32 s3, s1, s3
	s_lshl_b32 s0, s14, 7
	s_delay_alu instid0(SALU_CYCLE_1) | instskip(NEXT) | instid1(SALU_CYCLE_1)
	s_ashr_i32 s1, s0, 31
	s_lshl_b64 s[0:1], s[0:1], 1
	s_delay_alu instid0(SALU_CYCLE_1)
	s_add_u32 s0, s2, s0
	s_addc_u32 s1, s3, s1
	s_lshl_b32 s2, s34, 8
	v_add_co_u32 v18, vcc_lo, s0, v81
	v_add_nc_u32_e32 v14, s2, v12
	v_lshlrev_b64 v[12:13], 1, v[12:13]
	v_add_co_ci_u32_e32 v19, vcc_lo, s1, v82, vcc_lo
	s_delay_alu instid0(VALU_DEP_3) | instskip(SKIP_1) | instid1(VALU_DEP_4)
	v_add_nc_u32_e32 v16, s2, v14
	v_ashrrev_i32_e32 v15, 31, v14
	v_add_co_u32 v12, vcc_lo, v18, v12
	s_delay_alu instid0(VALU_DEP_4) | instskip(NEXT) | instid1(VALU_DEP_4)
	v_add_co_ci_u32_e32 v13, vcc_lo, v19, v13, vcc_lo
	v_ashrrev_i32_e32 v17, 31, v16
	s_delay_alu instid0(VALU_DEP_4) | instskip(NEXT) | instid1(VALU_DEP_2)
	v_lshlrev_b64 v[14:15], 1, v[14:15]
	v_lshlrev_b64 v[16:17], 1, v[16:17]
	s_delay_alu instid0(VALU_DEP_2) | instskip(NEXT) | instid1(VALU_DEP_3)
	v_add_co_u32 v14, vcc_lo, v18, v14
	v_add_co_ci_u32_e32 v15, vcc_lo, v19, v15, vcc_lo
	s_delay_alu instid0(VALU_DEP_3) | instskip(NEXT) | instid1(VALU_DEP_4)
	v_add_co_u32 v16, vcc_lo, v18, v16
	v_add_co_ci_u32_e32 v17, vcc_lo, v19, v17, vcc_lo
	s_clause 0x2
	global_store_b128 v[12:13], v[0:3], off
	global_store_b128 v[14:15], v[4:7], off
	;; [unrolled: 1-line block ×3, first 2 shown]
	s_nop 0
	s_sendmsg sendmsg(MSG_DEALLOC_VGPRS)
	s_endpgm
	.section	.rodata,"a",@progbits
	.p2align	6, 0x0
	.amdhsa_kernel _Z39paged_attention_ll4mi_QKV_mfma16_kernelI14__hip_bfloat16S0_LN4vllm18Fp8KVCacheDataTypeE0ES0_Li32ELi128ELi256ELb1ELi6EL8MFMAType0EEvPKT_PKT0_S9_ifPKiSB_SB_iPKfiiiPfSE_PS4_PT2_iSD_SD_
		.amdhsa_group_segment_fixed_size 17472
		.amdhsa_private_segment_fixed_size 0
		.amdhsa_kernarg_size 400
		.amdhsa_user_sgpr_count 13
		.amdhsa_user_sgpr_dispatch_ptr 0
		.amdhsa_user_sgpr_queue_ptr 0
		.amdhsa_user_sgpr_kernarg_segment_ptr 1
		.amdhsa_user_sgpr_dispatch_id 0
		.amdhsa_user_sgpr_private_segment_size 0
		.amdhsa_wavefront_size32 1
		.amdhsa_uses_dynamic_stack 0
		.amdhsa_enable_private_segment 0
		.amdhsa_system_sgpr_workgroup_id_x 1
		.amdhsa_system_sgpr_workgroup_id_y 1
		.amdhsa_system_sgpr_workgroup_id_z 1
		.amdhsa_system_sgpr_workgroup_info 0
		.amdhsa_system_vgpr_workitem_id 0
		.amdhsa_next_free_vgpr 157
		.amdhsa_next_free_sgpr 38
		.amdhsa_reserve_vcc 1
		.amdhsa_float_round_mode_32 0
		.amdhsa_float_round_mode_16_64 0
		.amdhsa_float_denorm_mode_32 3
		.amdhsa_float_denorm_mode_16_64 3
		.amdhsa_dx10_clamp 1
		.amdhsa_ieee_mode 1
		.amdhsa_fp16_overflow 0
		.amdhsa_workgroup_processor_mode 1
		.amdhsa_memory_ordered 1
		.amdhsa_forward_progress 0
		.amdhsa_shared_vgpr_count 0
		.amdhsa_exception_fp_ieee_invalid_op 0
		.amdhsa_exception_fp_denorm_src 0
		.amdhsa_exception_fp_ieee_div_zero 0
		.amdhsa_exception_fp_ieee_overflow 0
		.amdhsa_exception_fp_ieee_underflow 0
		.amdhsa_exception_fp_ieee_inexact 0
		.amdhsa_exception_int_div_zero 0
	.end_amdhsa_kernel
	.section	.text._Z39paged_attention_ll4mi_QKV_mfma16_kernelI14__hip_bfloat16S0_LN4vllm18Fp8KVCacheDataTypeE0ES0_Li32ELi128ELi256ELb1ELi6EL8MFMAType0EEvPKT_PKT0_S9_ifPKiSB_SB_iPKfiiiPfSE_PS4_PT2_iSD_SD_,"axG",@progbits,_Z39paged_attention_ll4mi_QKV_mfma16_kernelI14__hip_bfloat16S0_LN4vllm18Fp8KVCacheDataTypeE0ES0_Li32ELi128ELi256ELb1ELi6EL8MFMAType0EEvPKT_PKT0_S9_ifPKiSB_SB_iPKfiiiPfSE_PS4_PT2_iSD_SD_,comdat
.Lfunc_end735:
	.size	_Z39paged_attention_ll4mi_QKV_mfma16_kernelI14__hip_bfloat16S0_LN4vllm18Fp8KVCacheDataTypeE0ES0_Li32ELi128ELi256ELb1ELi6EL8MFMAType0EEvPKT_PKT0_S9_ifPKiSB_SB_iPKfiiiPfSE_PS4_PT2_iSD_SD_, .Lfunc_end735-_Z39paged_attention_ll4mi_QKV_mfma16_kernelI14__hip_bfloat16S0_LN4vllm18Fp8KVCacheDataTypeE0ES0_Li32ELi128ELi256ELb1ELi6EL8MFMAType0EEvPKT_PKT0_S9_ifPKiSB_SB_iPKfiiiPfSE_PS4_PT2_iSD_SD_
                                        ; -- End function
	.section	.AMDGPU.csdata,"",@progbits
; Kernel info:
; codeLenInByte = 9700
; NumSgprs: 40
; NumVgprs: 157
; ScratchSize: 0
; MemoryBound: 0
; FloatMode: 240
; IeeeMode: 1
; LDSByteSize: 17472 bytes/workgroup (compile time only)
; SGPRBlocks: 4
; VGPRBlocks: 19
; NumSGPRsForWavesPerEU: 40
; NumVGPRsForWavesPerEU: 157
; Occupancy: 9
; WaveLimiterHint : 1
; COMPUTE_PGM_RSRC2:SCRATCH_EN: 0
; COMPUTE_PGM_RSRC2:USER_SGPR: 13
; COMPUTE_PGM_RSRC2:TRAP_HANDLER: 0
; COMPUTE_PGM_RSRC2:TGID_X_EN: 1
; COMPUTE_PGM_RSRC2:TGID_Y_EN: 1
; COMPUTE_PGM_RSRC2:TGID_Z_EN: 1
; COMPUTE_PGM_RSRC2:TIDIG_COMP_CNT: 0
	.section	.text._Z39paged_attention_ll4mi_QKV_mfma16_kernelI14__hip_bfloat16S0_LN4vllm18Fp8KVCacheDataTypeE0ES0_Li32ELi128ELi256ELb1ELi7EL8MFMAType0EEvPKT_PKT0_S9_ifPKiSB_SB_iPKfiiiPfSE_PS4_PT2_iSD_SD_,"axG",@progbits,_Z39paged_attention_ll4mi_QKV_mfma16_kernelI14__hip_bfloat16S0_LN4vllm18Fp8KVCacheDataTypeE0ES0_Li32ELi128ELi256ELb1ELi7EL8MFMAType0EEvPKT_PKT0_S9_ifPKiSB_SB_iPKfiiiPfSE_PS4_PT2_iSD_SD_,comdat
	.protected	_Z39paged_attention_ll4mi_QKV_mfma16_kernelI14__hip_bfloat16S0_LN4vllm18Fp8KVCacheDataTypeE0ES0_Li32ELi128ELi256ELb1ELi7EL8MFMAType0EEvPKT_PKT0_S9_ifPKiSB_SB_iPKfiiiPfSE_PS4_PT2_iSD_SD_ ; -- Begin function _Z39paged_attention_ll4mi_QKV_mfma16_kernelI14__hip_bfloat16S0_LN4vllm18Fp8KVCacheDataTypeE0ES0_Li32ELi128ELi256ELb1ELi7EL8MFMAType0EEvPKT_PKT0_S9_ifPKiSB_SB_iPKfiiiPfSE_PS4_PT2_iSD_SD_
	.globl	_Z39paged_attention_ll4mi_QKV_mfma16_kernelI14__hip_bfloat16S0_LN4vllm18Fp8KVCacheDataTypeE0ES0_Li32ELi128ELi256ELb1ELi7EL8MFMAType0EEvPKT_PKT0_S9_ifPKiSB_SB_iPKfiiiPfSE_PS4_PT2_iSD_SD_
	.p2align	8
	.type	_Z39paged_attention_ll4mi_QKV_mfma16_kernelI14__hip_bfloat16S0_LN4vllm18Fp8KVCacheDataTypeE0ES0_Li32ELi128ELi256ELb1ELi7EL8MFMAType0EEvPKT_PKT0_S9_ifPKiSB_SB_iPKfiiiPfSE_PS4_PT2_iSD_SD_,@function
_Z39paged_attention_ll4mi_QKV_mfma16_kernelI14__hip_bfloat16S0_LN4vllm18Fp8KVCacheDataTypeE0ES0_Li32ELi128ELi256ELb1ELi7EL8MFMAType0EEvPKT_PKT0_S9_ifPKiSB_SB_iPKfiiiPfSE_PS4_PT2_iSD_SD_: ; @_Z39paged_attention_ll4mi_QKV_mfma16_kernelI14__hip_bfloat16S0_LN4vllm18Fp8KVCacheDataTypeE0ES0_Li32ELi128ELi256ELb1ELi7EL8MFMAType0EEvPKT_PKT0_S9_ifPKiSB_SB_iPKfiiiPfSE_PS4_PT2_iSD_SD_
; %bb.0:
	s_load_b64 s[2:3], s[0:1], 0x30
	s_mov_b32 s30, s13
	s_waitcnt lgkmcnt(0)
	s_cmp_lg_u64 s[2:3], 0
	s_cselect_b32 s6, -1, 0
	s_ashr_i32 s31, s13, 31
	s_cmp_eq_u64 s[2:3], 0
	s_cbranch_scc1 .LBB736_3
; %bb.1:
	s_lshl_b64 s[4:5], s[30:31], 2
	s_delay_alu instid0(SALU_CYCLE_1) | instskip(SKIP_4) | instid1(SALU_CYCLE_1)
	s_add_u32 s4, s2, s4
	s_addc_u32 s5, s3, s5
	s_load_b64 s[4:5], s[4:5], 0x0
	s_waitcnt lgkmcnt(0)
	s_sub_i32 s4, s5, s4
	s_cmp_eq_u32 s4, 1
	s_cselect_b32 s4, -1, 0
	s_delay_alu instid0(SALU_CYCLE_1)
	s_and_not1_b32 vcc_lo, exec_lo, s4
	s_cbranch_vccz .LBB736_4
.LBB736_2:
	s_nop 0
	s_sendmsg sendmsg(MSG_DEALLOC_VGPRS)
	s_endpgm
.LBB736_3:
.LBB736_4:
	s_load_b64 s[8:9], s[0:1], 0x28
	s_lshl_b64 s[4:5], s[30:31], 2
	s_waitcnt lgkmcnt(0)
	s_add_u32 s8, s8, s4
	s_addc_u32 s9, s9, s5
	s_lshl_b32 s12, s14, 8
	s_load_b32 s17, s[8:9], 0x0
	s_waitcnt lgkmcnt(0)
	s_cmp_ge_i32 s12, s17
	s_cbranch_scc1 .LBB736_2
; %bb.5:
	s_and_not1_b32 vcc_lo, exec_lo, s6
	s_cbranch_vccnz .LBB736_7
; %bb.6:
	s_add_u32 s2, s2, s4
	s_addc_u32 s3, s3, s5
	s_load_b32 s13, s[2:3], 0x0
	s_branch .LBB736_8
.LBB736_7:
	s_mov_b32 s13, s30
.LBB736_8:
	s_clause 0x2
	s_load_b128 s[8:11], s[0:1], 0x8
	s_load_b64 s[2:3], s[0:1], 0x20
	s_load_b128 s[4:7], s[0:1], 0x48
	v_lshrrev_b32_e32 v74, 5, v0
	v_bfe_u32 v83, v0, 4, 1
	v_and_b32_e32 v73, 15, v0
	s_waitcnt lgkmcnt(0)
	s_mov_b32 s7, exec_lo
	s_delay_alu instid0(VALU_DEP_2) | instskip(NEXT) | instid1(VALU_DEP_2)
	v_lshl_or_b32 v3, v74, 1, v83
	v_lshlrev_b32_e32 v1, 3, v73
	s_delay_alu instid0(VALU_DEP_2)
	v_cmpx_lt_u32_e32 6, v3
	s_xor_b32 s7, exec_lo, s7
; %bb.9:
	v_mov_b32_e32 v2, 0
                                        ; implicit-def: $vgpr3
; %bb.10:
	s_or_saveexec_b32 s7, s7
	v_and_b32_e32 v75, 31, v0
	v_and_b32_e32 v84, 1, v0
	s_mul_i32 s31, s15, 7
	s_xor_b32 exec_lo, exec_lo, s7
	s_cbranch_execz .LBB736_12
; %bb.11:
	s_load_b64 s[18:19], s[0:1], 0x0
	v_add_lshl_u32 v4, v3, s31, 7
	s_mul_hi_i32 s21, s13, s4
	s_mul_i32 s20, s13, s4
	v_lshlrev_b32_e32 v2, 1, v1
	s_lshl_b64 s[20:21], s[20:21], 1
	v_ashrrev_i32_e32 v5, 31, v4
	v_lshlrev_b32_e32 v3, 6, v3
	v_lshlrev_b32_e32 v8, 10, v84
	s_delay_alu instid0(VALU_DEP_3) | instskip(SKIP_3) | instid1(VALU_DEP_1)
	v_lshlrev_b64 v[4:5], 1, v[4:5]
	s_waitcnt lgkmcnt(0)
	s_add_u32 s4, s18, s20
	s_addc_u32 s13, s19, s21
	v_add_co_u32 v4, vcc_lo, s4, v4
	s_delay_alu instid0(VALU_DEP_2) | instskip(NEXT) | instid1(VALU_DEP_2)
	v_add_co_ci_u32_e32 v5, vcc_lo, s13, v5, vcc_lo
	v_add_co_u32 v4, vcc_lo, v4, v2
	s_delay_alu instid0(VALU_DEP_2) | instskip(SKIP_3) | instid1(VALU_DEP_1)
	v_add_co_ci_u32_e32 v5, vcc_lo, 0, v5, vcc_lo
	v_lshlrev_b32_e32 v2, 10, v73
	global_load_b128 v[4:7], v[4:5], off
	v_and_b32_e32 v2, 0x3800, v2
	v_or3_b32 v3, v2, v8, v3
	v_mov_b32_e32 v2, 0
	s_waitcnt vmcnt(0)
	ds_store_b128 v3, v[4:7]
.LBB736_12:
	s_or_b32 exec_lo, exec_lo, s7
	v_and_b32_e32 v3, 0xef, v0
	v_mul_lo_u16 v80, v73, 37
	s_add_i32 s4, s17, 31
	s_clause 0x1
	s_load_b32 s7, s[0:1], 0x38
	s_load_b32 s18, s[0:1], 0x1c
	v_add_nc_u32_e32 v3, s12, v3
	v_lshrrev_b16 v80, 8, v80
	s_ashr_i32 s13, s4, 31
	s_waitcnt lgkmcnt(0)
	s_lshr_b32 s13, s13, 27
	v_ashrrev_i32_e32 v4, 31, v3
	v_mul_lo_u16 v80, v80, 7
	s_add_i32 s4, s4, s13
	v_cmp_gt_i32_e32 vcc_lo, s17, v3
	s_ashr_i32 s4, s4, 5
	v_lshrrev_b32_e32 v5, 27, v4
	v_or_b32_e32 v4, 16, v3
	v_sub_nc_u16 v80, v73, v80
	s_add_i32 s4, s4, -1
	s_barrier
	v_add_nc_u32_e32 v6, v3, v5
	v_add_nc_u32_e32 v5, v4, v5
	v_and_b32_e32 v80, 0xff, v80
	s_mul_i32 s20, s30, s7
	buffer_gl0_inv
	v_ashrrev_i32_e32 v6, 5, v6
	v_ashrrev_i32_e32 v5, 5, v5
	s_ashr_i32 s21, s20, 31
	v_lshlrev_b64 v[81:82], 1, v[1:2]
	s_lshl_b64 s[20:21], s[20:21], 2
	v_dual_cndmask_b32 v3, s4, v6 :: v_dual_lshlrev_b32 v80, 6, v80
	v_cmp_gt_i32_e32 vcc_lo, s17, v4
	s_add_u32 s13, s2, s20
	s_addc_u32 s16, s3, s21
	s_delay_alu instid0(VALU_DEP_2) | instskip(SKIP_3) | instid1(SALU_CYCLE_1)
	v_ashrrev_i32_e32 v4, 31, v3
	s_mul_i32 s2, s15, s6
	v_cndmask_b32_e32 v5, s4, v5, vcc_lo
	s_ashr_i32 s3, s2, 31
	s_lshl_b64 s[2:3], s[2:3], 1
	v_lshlrev_b64 v[3:4], 2, v[3:4]
	s_delay_alu instid0(VALU_DEP_2) | instskip(SKIP_3) | instid1(VALU_DEP_1)
	v_ashrrev_i32_e32 v6, 31, v5
	s_add_u32 s15, s8, s2
	s_addc_u32 s19, s9, s3
	s_lshl_b32 s6, s14, 3
	v_lshlrev_b64 v[5:6], 2, v[5:6]
	v_add_co_u32 v3, vcc_lo, s13, v3
	v_add_co_ci_u32_e32 v4, vcc_lo, s16, v4, vcc_lo
	s_ashr_i32 s7, s6, 31
	s_delay_alu instid0(VALU_DEP_3) | instskip(NEXT) | instid1(VALU_DEP_4)
	v_add_co_u32 v5, vcc_lo, s13, v5
	v_add_co_ci_u32_e32 v6, vcc_lo, s16, v6, vcc_lo
	s_clause 0x1
	global_load_b32 v7, v[3:4], off
	global_load_b32 v8, v[5:6], off
	s_lshl_b64 s[6:7], s[6:7], 2
	s_delay_alu instid0(SALU_CYCLE_1) | instskip(SKIP_2) | instid1(SALU_CYCLE_1)
	s_add_u32 s6, s13, s6
	s_addc_u32 s7, s16, s7
	s_or_b32 s8, s12, 32
	s_ashr_i32 s9, s8, 5
	s_cmp_lt_i32 s8, s17
	s_cselect_b32 s8, s9, s4
	s_delay_alu instid0(SALU_CYCLE_1) | instskip(NEXT) | instid1(SALU_CYCLE_1)
	s_ashr_i32 s9, s8, 31
	s_lshl_b64 s[8:9], s[8:9], 2
	s_delay_alu instid0(SALU_CYCLE_1) | instskip(SKIP_2) | instid1(SALU_CYCLE_1)
	s_add_u32 s8, s13, s8
	s_addc_u32 s9, s16, s9
	s_or_b32 s20, s12, 64
	s_ashr_i32 s21, s20, 5
	s_cmp_lt_i32 s20, s17
	s_cselect_b32 s20, s21, s4
	s_delay_alu instid0(SALU_CYCLE_1) | instskip(NEXT) | instid1(SALU_CYCLE_1)
	s_ashr_i32 s21, s20, 31
	;; [unrolled: 10-line block ×5, first 2 shown]
	s_lshl_b64 s[26:27], s[26:27], 2
	s_delay_alu instid0(SALU_CYCLE_1)
	s_add_u32 s26, s13, s26
	s_addc_u32 s27, s16, s27
	s_clause 0x5
	s_load_b32 s28, s[6:7], 0x0
	s_load_b32 s29, s[8:9], 0x0
	;; [unrolled: 1-line block ×6, first 2 shown]
	s_mov_b32 s20, 0
	s_or_b32 s6, s12, 0xc0
	s_mov_b32 s27, s20
	s_mov_b32 s21, s20
	s_mov_b32 s22, s20
	s_mov_b32 s23, s20
	s_mov_b32 s24, s20
	s_mov_b32 s25, s20
	s_mov_b32 s26, s20
	s_delay_alu instid0(SALU_CYCLE_1)
	v_dual_mov_b32 v108, s27 :: v_dual_mov_b32 v107, s26
	v_dual_mov_b32 v106, s25 :: v_dual_mov_b32 v105, s24
	;; [unrolled: 1-line block ×4, first 2 shown]
	s_ashr_i32 s7, s6, 5
	s_cmp_lt_i32 s6, s17
	s_waitcnt lgkmcnt(0)
	s_mul_hi_i32 s9, s28, s5
	s_cselect_b32 s6, s7, s4
	s_mul_i32 s8, s28, s5
	s_ashr_i32 s7, s6, 31
	s_mul_hi_i32 s21, s29, s5
	s_lshl_b64 s[6:7], s[6:7], 2
	s_mul_i32 s20, s29, s5
	s_add_u32 s6, s13, s6
	s_addc_u32 s7, s16, s7
	s_mul_hi_i32 s25, s33, s5
	s_mul_i32 s24, s33, s5
	s_mul_hi_i32 s27, s34, s5
	s_mul_i32 s26, s34, s5
	s_mul_i32 s34, s36, s5
	s_waitcnt vmcnt(1)
	v_mad_i64_i32 v[3:4], null, v7, s5, 0
	s_waitcnt vmcnt(0)
	v_mad_i64_i32 v[5:6], null, v8, s5, 0
	s_delay_alu instid0(VALU_DEP_2) | instskip(NEXT) | instid1(VALU_DEP_2)
	v_lshlrev_b64 v[3:4], 1, v[3:4]
	v_lshlrev_b64 v[1:2], 1, v[5:6]
	s_delay_alu instid0(VALU_DEP_2) | instskip(NEXT) | instid1(VALU_DEP_3)
	v_add_co_u32 v3, vcc_lo, s15, v3
	v_add_co_ci_u32_e32 v4, vcc_lo, s19, v4, vcc_lo
	s_delay_alu instid0(VALU_DEP_3) | instskip(NEXT) | instid1(VALU_DEP_4)
	v_add_co_u32 v1, vcc_lo, s15, v1
	v_add_co_ci_u32_e32 v2, vcc_lo, s19, v2, vcc_lo
	s_delay_alu instid0(VALU_DEP_4) | instskip(NEXT) | instid1(VALU_DEP_4)
	v_add_co_u32 v65, vcc_lo, v3, v81
	v_add_co_ci_u32_e32 v66, vcc_lo, v4, v82, vcc_lo
	s_delay_alu instid0(VALU_DEP_4) | instskip(NEXT) | instid1(VALU_DEP_4)
	v_add_co_u32 v76, vcc_lo, v1, v81
	v_add_co_ci_u32_e32 v77, vcc_lo, v2, v82, vcc_lo
	s_clause 0xf
	global_load_b128 v[1:4], v[65:66], off
	global_load_b128 v[5:8], v[65:66], off offset:512
	global_load_b128 v[9:12], v[76:77], off offset:256
	;; [unrolled: 1-line block ×15, first 2 shown]
	v_add_co_u32 v78, vcc_lo, 0x1000, v65
	v_add_co_ci_u32_e32 v79, vcc_lo, 0, v66, vcc_lo
	v_add_co_u32 v76, vcc_lo, 0x1000, v76
	s_clause 0x1
	global_load_b128 v[65:68], v[78:79], off
	global_load_b128 v[69:72], v[78:79], off offset:512
	v_add_co_ci_u32_e32 v77, vcc_lo, 0, v77, vcc_lo
	ds_load_b128 v[85:88], v80
	ds_load_b128 v[89:92], v80 offset:1024
	s_clause 0x1
	global_load_b128 v[93:96], v[76:77], off offset:256
	global_load_b128 v[97:100], v[76:77], off offset:768
	ds_load_b128 v[109:112], v80 offset:2048
	ds_load_b128 v[113:116], v80 offset:3072
	s_or_b32 s15, s12, 0xe0
	s_delay_alu instid0(SALU_CYCLE_1) | instskip(SKIP_2) | instid1(SALU_CYCLE_1)
	s_ashr_i32 s19, s15, 5
	s_cmp_lt_i32 s15, s17
	s_cselect_b32 s22, s19, s4
	s_ashr_i32 s23, s22, 31
	s_delay_alu instid0(SALU_CYCLE_1) | instskip(NEXT) | instid1(SALU_CYCLE_1)
	s_lshl_b64 s[22:23], s[22:23], 2
	s_add_u32 s22, s13, s22
	s_addc_u32 s23, s16, s23
	s_add_i32 s15, s12, 0x100
	s_delay_alu instid0(SALU_CYCLE_1) | instskip(SKIP_2) | instid1(SALU_CYCLE_1)
	s_ashr_i32 s19, s15, 5
	s_cmp_lt_i32 s15, s17
	s_cselect_b32 s28, s19, s4
	s_ashr_i32 s29, s28, 31
	s_delay_alu instid0(SALU_CYCLE_1) | instskip(NEXT) | instid1(SALU_CYCLE_1)
	s_lshl_b64 s[28:29], s[28:29], 2
	s_add_u32 s28, s13, s28
	s_addc_u32 s29, s16, s29
	s_add_u32 s4, s10, s2
	s_addc_u32 s19, s11, s3
	s_lshl_b64 s[2:3], s[8:9], 1
	s_lshl_b64 s[8:9], s[20:21], 1
	;; [unrolled: 1-line block ×4, first 2 shown]
	s_waitcnt vmcnt(18) lgkmcnt(2)
	v_wmma_f32_16x16x16_bf16 v[117:124], v[1:8], v[85:92], v[101:108]
	s_waitcnt vmcnt(16)
	v_wmma_f32_16x16x16_bf16 v[101:108], v[9:16], v[85:92], v[101:108]
	s_clause 0x3
	global_load_b128 v[1:4], v[78:79], off offset:1024
	global_load_b128 v[5:8], v[78:79], off offset:1536
	;; [unrolled: 1-line block ×4, first 2 shown]
	s_waitcnt vmcnt(18) lgkmcnt(0)
	v_wmma_f32_16x16x16_bf16 v[117:124], v[17:24], v[109:116], v[117:124]
	s_clause 0x1
	global_load_b128 v[17:20], v[78:79], off offset:2048
	global_load_b128 v[21:24], v[78:79], off offset:2560
	s_waitcnt vmcnt(18)
	v_wmma_f32_16x16x16_bf16 v[101:108], v[25:32], v[109:116], v[101:108]
	ds_load_b128 v[25:28], v80 offset:4096
	ds_load_b128 v[29:32], v80 offset:5120
	s_clause 0x5
	global_load_b128 v[109:112], v[76:77], off offset:2304
	global_load_b128 v[113:116], v[76:77], off offset:2816
	;; [unrolled: 1-line block ×6, first 2 shown]
	s_waitcnt vmcnt(22) lgkmcnt(0)
	v_wmma_f32_16x16x16_bf16 v[117:124], v[33:40], v[25:32], v[117:124]
	s_waitcnt vmcnt(20)
	v_wmma_f32_16x16x16_bf16 v[101:108], v[41:48], v[25:32], v[101:108]
	ds_load_b128 v[25:28], v80 offset:6144
	ds_load_b128 v[29:32], v80 offset:7168
	;; [unrolled: 1-line block ×4, first 2 shown]
	s_waitcnt vmcnt(18) lgkmcnt(2)
	v_wmma_f32_16x16x16_bf16 v[117:124], v[49:56], v[25:32], v[117:124]
	s_waitcnt vmcnt(16)
	v_wmma_f32_16x16x16_bf16 v[101:108], v[57:64], v[25:32], v[101:108]
	ds_load_b128 v[25:28], v80 offset:10240
	ds_load_b128 v[29:32], v80 offset:11264
	;; [unrolled: 1-line block ×6, first 2 shown]
	s_waitcnt vmcnt(14) lgkmcnt(6)
	v_wmma_f32_16x16x16_bf16 v[117:124], v[65:72], v[33:40], v[117:124]
	s_waitcnt vmcnt(12)
	v_wmma_f32_16x16x16_bf16 v[101:108], v[93:100], v[33:40], v[101:108]
	s_clause 0x2
	s_load_b32 s15, s[6:7], 0x0
	s_load_b32 s13, s[22:23], 0x0
	s_load_b32 s16, s[28:29], 0x0
	s_mul_hi_i32 s7, s35, s5
	s_mul_i32 s6, s35, s5
	s_mul_hi_i32 s35, s36, s5
	s_lshl_b64 s[6:7], s[6:7], 1
	s_lshl_b64 s[22:23], s[34:35], 1
	s_waitcnt lgkmcnt(0)
	s_mul_hi_i32 s25, s15, s5
	s_mul_i32 s24, s15, s5
	s_waitcnt vmcnt(10)
	v_wmma_f32_16x16x16_bf16 v[117:124], v[1:8], v[25:32], v[117:124]
	s_waitcnt vmcnt(8)
	v_wmma_f32_16x16x16_bf16 v[101:108], v[9:16], v[25:32], v[101:108]
	s_waitcnt vmcnt(6)
	s_delay_alu instid0(VALU_DEP_2) | instskip(SKIP_1) | instid1(VALU_DEP_2)
	v_wmma_f32_16x16x16_bf16 v[117:124], v[17:24], v[141:148], v[117:124]
	s_waitcnt vmcnt(4)
	v_wmma_f32_16x16x16_bf16 v[101:108], v[109:116], v[141:148], v[101:108]
	s_waitcnt vmcnt(2)
	s_delay_alu instid0(VALU_DEP_2) | instskip(SKIP_3) | instid1(VALU_DEP_3)
	v_wmma_f32_16x16x16_bf16 v[117:124], v[125:132], v[149:156], v[117:124]
	v_lshlrev_b32_e32 v85, 6, v73
	s_waitcnt vmcnt(0)
	v_wmma_f32_16x16x16_bf16 v[101:108], v[133:140], v[149:156], v[101:108]
	v_mul_f32_e32 v100, s18, v124
	s_delay_alu instid0(VALU_DEP_3) | instskip(SKIP_2) | instid1(VALU_DEP_3)
	v_lshl_or_b32 v41, v74, 10, v85
	v_mul_f32_e32 v97, s18, v117
	v_mul_f32_e32 v99, s18, v118
	v_add_co_u32 v76, s4, s4, v41
	s_delay_alu instid0(VALU_DEP_1) | instskip(NEXT) | instid1(VALU_DEP_2)
	v_add_co_ci_u32_e64 v77, null, s19, 0, s4
	v_add_co_u32 v41, vcc_lo, v76, s2
	s_delay_alu instid0(VALU_DEP_2)
	v_add_co_ci_u32_e32 v42, vcc_lo, s3, v77, vcc_lo
	v_add_co_u32 v33, vcc_lo, v76, s8
	v_add_co_ci_u32_e32 v34, vcc_lo, s9, v77, vcc_lo
	v_add_co_u32 v35, vcc_lo, v76, s10
	;; [unrolled: 2-line block ×5, first 2 shown]
	s_lshl_b64 s[2:3], s[24:25], 1
	v_add_co_ci_u32_e32 v6, vcc_lo, s23, v77, vcc_lo
	s_mul_hi_i32 s7, s13, s5
	s_mul_i32 s6, s13, s5
	v_add_co_u32 v17, vcc_lo, v76, s2
	v_add_co_ci_u32_e32 v18, vcc_lo, s3, v77, vcc_lo
	s_lshl_b64 s[2:3], s[6:7], 1
	s_mul_hi_i32 s7, s16, s5
	s_mul_i32 s6, s16, s5
	v_add_co_u32 v19, vcc_lo, v76, s2
	v_add_co_ci_u32_e32 v20, vcc_lo, s3, v77, vcc_lo
	s_lshl_b64 s[2:3], s[6:7], 1
	s_clause 0x1
	global_load_b128 v[65:68], v[41:42], off
	global_load_b128 v[69:72], v[41:42], off offset:16
	v_add_co_u32 v21, vcc_lo, v76, s2
	v_add_co_ci_u32_e32 v22, vcc_lo, s3, v77, vcc_lo
	s_clause 0xf
	global_load_b128 v[57:60], v[33:34], off
	global_load_b128 v[61:64], v[33:34], off offset:16
	global_load_b128 v[49:52], v[35:36], off
	global_load_b128 v[53:56], v[35:36], off offset:16
	;; [unrolled: 2-line block ×8, first 2 shown]
	v_mbcnt_lo_u32_b32 v77, -1, 0
	v_and_b32_e32 v76, 0xe0, v0
	s_waitcnt vmcnt(0)
	s_barrier
	buffer_gl0_inv
	v_xor_b32_e32 v78, 16, v77
	s_delay_alu instid0(VALU_DEP_1) | instskip(SKIP_1) | instid1(VALU_DEP_1)
	v_cmp_gt_i32_e32 vcc_lo, 32, v78
	v_dual_cndmask_b32 v77, v77, v78 :: v_dual_add_nc_u32 v76, s12, v76
	v_or_b32_e32 v76, v76, v83
	s_delay_alu instid0(VALU_DEP_1)
	v_or_b32_e32 v78, 2, v76
	v_or_b32_e32 v79, 4, v76
	;; [unrolled: 1-line block ×3, first 2 shown]
	v_cmp_gt_i32_e32 vcc_lo, s17, v76
	v_or_b32_e32 v86, 8, v76
	v_cmp_gt_i32_e64 s2, s17, v78
	v_or_b32_e32 v87, 10, v76
	v_or_b32_e32 v88, 12, v76
	;; [unrolled: 1-line block ×11, first 2 shown]
	v_cndmask_b32_e64 v78, 0xff7fffff, v99, s2
	v_mul_f32_e32 v99, s18, v120
	v_cmp_gt_i32_e64 s3, s17, v80
	v_mul_f32_e32 v80, s18, v119
	v_cndmask_b32_e32 v76, 0xff7fffff, v97, vcc_lo
	v_cmp_gt_i32_e64 s4, s17, v79
	v_mul_f32_e32 v79, s18, v122
	v_cmp_gt_i32_e64 s5, s17, v86
	v_cmp_gt_i32_e64 s6, s17, v87
	v_max3_f32 v76, v76, 0xff7fffff, v78
	v_mul_f32_e32 v78, s18, v121
	v_cndmask_b32_e64 v80, 0xff7fffff, v80, s4
	v_mul_f32_e32 v86, s18, v107
	v_cndmask_b32_e64 v99, 0xff7fffff, v99, s3
	;; [unrolled: 2-line block ×3, first 2 shown]
	v_cndmask_b32_e64 v79, 0xff7fffff, v79, s6
	v_cmp_gt_i32_e64 s7, s17, v89
	v_max3_f32 v76, v76, v80, v99
	v_mul_f32_e32 v80, s18, v108
	v_cmp_gt_i32_e64 s8, s17, v88
	v_dual_mul_f32 v99, s18, v105 :: v_dual_mul_f32 v88, s18, v102
	s_delay_alu instid0(VALU_DEP_4) | instskip(SKIP_1) | instid1(VALU_DEP_4)
	v_max3_f32 v76, v76, v78, v79
	v_mul_f32_e32 v89, s18, v101
	v_cndmask_b32_e64 v97, 0xff7fffff, v97, s8
	v_cndmask_b32_e64 v100, 0xff7fffff, v100, s7
	v_cmp_gt_i32_e64 s9, s17, v90
	v_cmp_gt_i32_e64 s10, s17, v91
	v_dual_mul_f32 v78, s18, v104 :: v_dual_mul_f32 v79, s18, v103
	s_delay_alu instid0(VALU_DEP_4) | instskip(NEXT) | instid1(VALU_DEP_4)
	v_max3_f32 v76, v76, v97, v100
	v_cndmask_b32_e64 v89, 0xff7fffff, v89, s9
	s_delay_alu instid0(VALU_DEP_4)
	v_cndmask_b32_e64 v88, 0xff7fffff, v88, s10
	v_cmp_gt_i32_e64 s11, s17, v92
	v_cmp_gt_i32_e64 s12, s17, v93
	v_mul_f32_e32 v87, s18, v106
	v_cmp_gt_i32_e64 s13, s17, v94
	v_max3_f32 v76, v76, v89, v88
	v_cndmask_b32_e64 v79, 0xff7fffff, v79, s11
	v_cndmask_b32_e64 v78, 0xff7fffff, v78, s12
	v_cmp_gt_i32_e64 s15, s17, v95
	v_cndmask_b32_e64 v88, 0xff7fffff, v99, s13
	v_cmp_gt_i32_e64 s16, s17, v96
	v_cmp_gt_i32_e64 s17, s17, v98
	v_max3_f32 v76, v76, v79, v78
	v_cndmask_b32_e64 v87, 0xff7fffff, v87, s15
	v_lshlrev_b32_e32 v99, 2, v77
	v_cndmask_b32_e64 v78, 0xff7fffff, v86, s16
	v_cndmask_b32_e64 v79, 0xff7fffff, v80, s17
	s_delay_alu instid0(VALU_DEP_4) | instskip(NEXT) | instid1(VALU_DEP_1)
	v_max3_f32 v76, v76, v88, v87
	v_max3_f32 v76, v76, v78, v79
	ds_bpermute_b32 v77, v99, v76
	s_waitcnt lgkmcnt(0)
	v_max_f32_e32 v77, v77, v77
	s_delay_alu instid0(VALU_DEP_1) | instskip(NEXT) | instid1(VALU_DEP_1)
	v_max_f32_e32 v76, v76, v77
	v_fma_f32 v80, s18, v120, -v76
	v_fma_f32 v77, s18, v117, -v76
	;; [unrolled: 1-line block ×5, first 2 shown]
	v_mul_f32_e32 v80, 0x3fb8aa3b, v80
	v_fma_f32 v87, s18, v123, -v76
	v_mul_f32_e32 v78, 0x3fb8aa3b, v78
	v_fma_f32 v88, s18, v105, -v76
	v_mul_f32_e32 v86, 0x3fb8aa3b, v86
	v_exp_f32_e32 v80, v80
	v_fma_f32 v90, s18, v107, -v76
	v_exp_f32_e32 v78, v78
	v_fma_f32 v100, s18, v108, -v76
	v_exp_f32_e32 v86, v86
	v_mul_f32_e32 v88, 0x3fb8aa3b, v88
	s_delay_alu instid0(VALU_DEP_2) | instskip(NEXT) | instid1(TRANS32_DEP_3)
	v_mul_f32_e32 v100, 0x3fb8aa3b, v100
	v_cndmask_b32_e64 v95, 0, v80, s3
	v_mul_f32_e32 v77, 0x3fb8aa3b, v77
	s_delay_alu instid0(TRANS32_DEP_2) | instskip(SKIP_1) | instid1(TRANS32_DEP_1)
	v_cndmask_b32_e64 v91, 0, v78, s2
	v_fma_f32 v80, s18, v101, -v76
	v_cndmask_b32_e64 v96, 0, v86, s5
	v_fma_f32 v86, s18, v102, -v76
	v_exp_f32_e32 v77, v77
	s_delay_alu instid0(VALU_DEP_3) | instskip(SKIP_1) | instid1(VALU_DEP_2)
	v_dual_mul_f32 v79, 0x3fb8aa3b, v79 :: v_dual_mul_f32 v80, 0x3fb8aa3b, v80
	v_exp_f32_e32 v88, v88
	v_mul_f32_e32 v86, 0x3fb8aa3b, v86
	v_cmp_gt_u32_e64 s2, 16, v75
	v_exp_f32_e32 v100, v100
	v_exp_f32_e32 v80, v80
	s_delay_alu instid0(VALU_DEP_2) | instskip(SKIP_3) | instid1(VALU_DEP_1)
	v_exp_f32_e32 v86, v86
	v_cndmask_b32_e32 v92, 0, v77, vcc_lo
	v_exp_f32_e32 v79, v79
	v_fma_f32 v77, s18, v122, -v76
	v_dual_add_f32 v78, 0, v92 :: v_dual_mul_f32 v77, 0x3fb8aa3b, v77
	s_delay_alu instid0(VALU_DEP_1)
	v_add_f32_e32 v78, v78, v91
	s_waitcnt_depctr 0xfff
	v_cndmask_b32_e64 v93, 0, v79, s4
	v_fma_f32 v79, s18, v124, -v76
	v_mul_f32_e32 v87, 0x3fb8aa3b, v87
	v_exp_f32_e32 v77, v77
	s_delay_alu instid0(VALU_DEP_2) | instskip(NEXT) | instid1(VALU_DEP_2)
	v_dual_add_f32 v78, v78, v93 :: v_dual_mul_f32 v79, 0x3fb8aa3b, v79
	v_exp_f32_e32 v87, v87
	s_delay_alu instid0(VALU_DEP_1) | instskip(NEXT) | instid1(VALU_DEP_2)
	v_add_f32_e32 v78, v78, v95
	v_exp_f32_e32 v79, v79
	s_delay_alu instid0(TRANS32_DEP_3) | instskip(NEXT) | instid1(VALU_DEP_2)
	v_cndmask_b32_e64 v97, 0, v77, s6
	v_add_f32_e32 v77, v78, v96
	v_fma_f32 v78, s18, v103, -v76
	s_waitcnt_depctr 0xfff
	v_cndmask_b32_e64 v94, 0, v87, s8
	v_fma_f32 v87, s18, v104, -v76
	v_dual_add_f32 v77, v77, v97 :: v_dual_mul_f32 v78, 0x3fb8aa3b, v78
	v_cndmask_b32_e64 v98, 0, v79, s7
	s_delay_alu instid0(VALU_DEP_2) | instskip(SKIP_4) | instid1(VALU_DEP_2)
	v_add_f32_e32 v79, v77, v94
	v_cndmask_b32_e64 v77, 0, v80, s9
	v_fma_f32 v80, s18, v106, -v76
	v_exp_f32_e32 v89, v78
	v_cndmask_b32_e64 v78, 0, v86, s10
	v_dual_add_f32 v79, v79, v98 :: v_dual_mul_f32 v80, 0x3fb8aa3b, v80
	s_delay_alu instid0(VALU_DEP_1) | instskip(NEXT) | instid1(VALU_DEP_1)
	v_dual_mul_f32 v87, 0x3fb8aa3b, v87 :: v_dual_add_f32 v86, v79, v77
	v_exp_f32_e32 v87, v87
	s_waitcnt_depctr 0xfff
	v_cndmask_b32_e64 v79, 0, v89, s11
	v_add_f32_e32 v86, v86, v78
	v_mul_f32_e32 v89, 0x3fb8aa3b, v90
	v_exp_f32_e32 v90, v80
	v_cndmask_b32_e64 v80, 0, v87, s12
	s_delay_alu instid0(VALU_DEP_3) | instskip(SKIP_1) | instid1(VALU_DEP_2)
	v_add_f32_e32 v87, v86, v79
	v_cndmask_b32_e64 v86, 0, v88, s13
	v_add_f32_e32 v88, v87, v80
	v_exp_f32_e32 v89, v89
	s_waitcnt_depctr 0xfff
	v_cndmask_b32_e64 v87, 0, v90, s15
	v_add_f32_e32 v90, v88, v86
	v_cndmask_b32_e64 v88, 0, v89, s16
	s_delay_alu instid0(VALU_DEP_2) | instskip(NEXT) | instid1(VALU_DEP_1)
	v_add_f32_e32 v89, v90, v87
	v_add_f32_e32 v90, v89, v88
	v_cndmask_b32_e64 v89, 0, v100, s17
	s_delay_alu instid0(VALU_DEP_1)
	v_add_f32_e32 v90, v90, v89
	ds_bpermute_b32 v99, v99, v90
	s_and_saveexec_b32 s3, s2
	s_cbranch_execz .LBB736_14
; %bb.13:
	v_mul_u32_u24_e32 v75, 0x44, v74
	s_waitcnt lgkmcnt(0)
	v_add_f32_e32 v90, v90, v99
	s_delay_alu instid0(VALU_DEP_2) | instskip(NEXT) | instid1(VALU_DEP_1)
	v_lshl_add_u32 v75, v73, 2, v75
	v_add_nc_u32_e32 v75, 0x4000, v75
	ds_store_2addr_b32 v75, v76, v90 offset1:136
.LBB736_14:
	s_or_b32 exec_lo, exec_lo, s3
	v_lshlrev_b32_e32 v75, 2, v73
	s_waitcnt lgkmcnt(0)
	s_barrier
	buffer_gl0_inv
	v_cmp_eq_u32_e64 s3, 1, v74
	v_add_nc_u32_e32 v90, 0x4000, v75
	ds_load_2addr_b32 v[99:100], v90 offset1:17
	ds_load_2addr_b32 v[101:102], v90 offset0:34 offset1:51
	ds_load_2addr_b32 v[103:104], v90 offset0:68 offset1:85
	;; [unrolled: 1-line block ×4, first 2 shown]
	s_waitcnt lgkmcnt(4)
	v_max3_f32 v75, v99, 0xff7fffff, v100
	s_waitcnt lgkmcnt(3)
	s_delay_alu instid0(VALU_DEP_1) | instskip(SKIP_1) | instid1(VALU_DEP_1)
	v_max3_f32 v75, v75, v101, v102
	s_waitcnt lgkmcnt(2)
	v_max3_f32 v75, v75, v103, v104
	s_waitcnt lgkmcnt(1)
	s_delay_alu instid0(VALU_DEP_1) | instskip(NEXT) | instid1(VALU_DEP_1)
	v_max3_f32 v75, v75, v105, v106
	v_sub_f32_e32 v109, v100, v75
	v_sub_f32_e32 v76, v99, v75
	ds_load_2addr_b32 v[99:100], v90 offset0:170 offset1:187
	v_sub_f32_e32 v101, v101, v75
	v_dual_mul_f32 v109, 0x3fb8aa3b, v109 :: v_dual_mul_f32 v76, 0x3fb8aa3b, v76
	s_delay_alu instid0(VALU_DEP_2) | instskip(NEXT) | instid1(VALU_DEP_2)
	v_mul_f32_e32 v111, 0x3fb8aa3b, v101
	v_exp_f32_e32 v109, v109
	s_delay_alu instid0(VALU_DEP_2)
	v_exp_f32_e32 v110, v76
	v_sub_f32_e32 v76, v102, v75
	ds_load_2addr_b32 v[101:102], v90 offset0:204 offset1:221
	v_exp_f32_e32 v111, v111
	v_mul_f32_e32 v112, 0x3fb8aa3b, v76
	s_waitcnt lgkmcnt(2)
	v_fma_f32 v76, v110, v107, 0
	v_sub_f32_e32 v103, v103, v75
	s_delay_alu instid0(VALU_DEP_3) | instskip(NEXT) | instid1(VALU_DEP_2)
	v_exp_f32_e32 v112, v112
	v_dual_sub_f32 v107, v104, v75 :: v_dual_fmac_f32 v76, v109, v108
	s_waitcnt lgkmcnt(1)
	s_waitcnt_depctr 0xfff
	v_fmac_f32_e32 v76, v111, v99
	v_mul_f32_e32 v113, 0x3fb8aa3b, v103
	ds_load_2addr_b32 v[103:104], v90 offset0:238 offset1:255
	v_sub_f32_e32 v90, v105, v75
	v_dual_sub_f32 v99, v106, v75 :: v_dual_fmac_f32 v76, v112, v100
	v_mul_f32_e32 v105, 0x3fb8aa3b, v107
	v_exp_f32_e32 v107, v113
	s_delay_alu instid0(VALU_DEP_2)
	v_dual_mul_f32 v90, 0x3fb8aa3b, v90 :: v_dual_mul_f32 v99, 0x3fb8aa3b, v99
	s_waitcnt lgkmcnt(0)
	s_barrier
	buffer_gl0_inv
	v_exp_f32_e32 v90, v90
	v_exp_f32_e32 v99, v99
	v_fmac_f32_e32 v76, v107, v101
	v_exp_f32_e32 v105, v105
	s_waitcnt_depctr 0xfff
	v_fmac_f32_e32 v76, v105, v102
	s_delay_alu instid0(VALU_DEP_1) | instskip(NEXT) | instid1(VALU_DEP_1)
	v_fmac_f32_e32 v76, v90, v103
	v_fmac_f32_e32 v76, v99, v104
	s_delay_alu instid0(VALU_DEP_1) | instskip(NEXT) | instid1(VALU_DEP_1)
	v_add_f32_e32 v100, 0x358637bd, v76
	v_div_scale_f32 v101, null, v100, v100, 1.0
	v_div_scale_f32 v104, vcc_lo, 1.0, v100, 1.0
	s_delay_alu instid0(VALU_DEP_2) | instskip(SKIP_2) | instid1(VALU_DEP_1)
	v_rcp_f32_e32 v102, v101
	s_waitcnt_depctr 0xfff
	v_fma_f32 v103, -v101, v102, 1.0
	v_fmac_f32_e32 v102, v103, v102
	v_cndmask_b32_e64 v103, v110, v109, s3
	v_cmp_eq_u32_e64 s3, 2, v74
	s_delay_alu instid0(VALU_DEP_3) | instskip(NEXT) | instid1(VALU_DEP_2)
	v_mul_f32_e32 v106, v104, v102
	v_cndmask_b32_e64 v103, v103, v111, s3
	v_cmp_eq_u32_e64 s3, 3, v74
	s_delay_alu instid0(VALU_DEP_3) | instskip(NEXT) | instid1(VALU_DEP_2)
	v_fma_f32 v108, -v101, v106, v104
	v_cndmask_b32_e64 v103, v103, v112, s3
	v_cmp_eq_u32_e64 s3, 4, v74
	s_delay_alu instid0(VALU_DEP_3) | instskip(NEXT) | instid1(VALU_DEP_2)
	v_fmac_f32_e32 v106, v108, v102
	v_cndmask_b32_e64 v103, v103, v107, s3
	s_delay_alu instid0(VALU_DEP_2) | instskip(SKIP_1) | instid1(VALU_DEP_2)
	v_fma_f32 v101, -v101, v106, v104
	v_cmp_eq_u32_e64 s3, 5, v74
	v_div_fmas_f32 v101, v101, v102, v106
	s_delay_alu instid0(VALU_DEP_2) | instskip(SKIP_2) | instid1(VALU_DEP_3)
	v_cndmask_b32_e64 v103, v103, v105, s3
	v_cmp_eq_u32_e32 vcc_lo, 6, v74
	s_mov_b32 s3, exec_lo
	v_div_fixup_f32 v100, v101, v100, 1.0
	s_delay_alu instid0(VALU_DEP_3) | instskip(SKIP_1) | instid1(VALU_DEP_2)
	v_cndmask_b32_e32 v90, v103, v90, vcc_lo
	v_cmp_eq_u32_e32 vcc_lo, 7, v74
	v_cndmask_b32_e32 v90, v90, v99, vcc_lo
	s_delay_alu instid0(VALU_DEP_1) | instskip(NEXT) | instid1(VALU_DEP_1)
	v_mul_f32_e32 v90, v90, v100
	v_mul_f32_e32 v100, v90, v92
	;; [unrolled: 1-line block ×6, first 2 shown]
	v_and_b32_e32 v101, 0x7f800000, v100
	v_mul_f32_e32 v99, v90, v95
	v_mul_f32_e32 v95, v90, v91
	;; [unrolled: 1-line block ×3, first 2 shown]
                                        ; implicit-def: $vgpr91
	s_delay_alu instid0(VALU_DEP_4)
	v_cmpx_ne_u32_e32 0x7f800000, v101
	s_xor_b32 s3, exec_lo, s3
; %bb.15:
	v_bfe_u32 v91, v100, 16, 1
	s_delay_alu instid0(VALU_DEP_1)
	v_add3_u32 v91, v100, v91, 0x7fff
                                        ; implicit-def: $vgpr100
; %bb.16:
	s_and_not1_saveexec_b32 s3, s3
; %bb.17:
	v_and_b32_e32 v91, 0xffff, v100
	v_or_b32_e32 v93, 0x10000, v100
	s_delay_alu instid0(VALU_DEP_2) | instskip(NEXT) | instid1(VALU_DEP_2)
	v_cmp_eq_u32_e32 vcc_lo, 0, v91
	v_cndmask_b32_e32 v91, v93, v100, vcc_lo
; %bb.18:
	s_or_b32 exec_lo, exec_lo, s3
	v_and_b32_e32 v93, 0x7f800000, v95
	s_delay_alu instid0(VALU_DEP_1) | instskip(SKIP_1) | instid1(SALU_CYCLE_1)
	v_cmp_ne_u32_e32 vcc_lo, 0x7f800000, v93
                                        ; implicit-def: $vgpr93
	s_and_saveexec_b32 s3, vcc_lo
	s_xor_b32 s3, exec_lo, s3
; %bb.19:
	v_bfe_u32 v93, v95, 16, 1
	s_delay_alu instid0(VALU_DEP_1)
	v_add3_u32 v93, v95, v93, 0x7fff
                                        ; implicit-def: $vgpr95
; %bb.20:
	s_and_not1_saveexec_b32 s3, s3
; %bb.21:
	v_and_b32_e32 v93, 0xffff, v95
	v_or_b32_e32 v100, 0x10000, v95
	s_delay_alu instid0(VALU_DEP_2) | instskip(NEXT) | instid1(VALU_DEP_2)
	v_cmp_eq_u32_e32 vcc_lo, 0, v93
	v_cndmask_b32_e32 v93, v100, v95, vcc_lo
; %bb.22:
	s_or_b32 exec_lo, exec_lo, s3
	v_and_b32_e32 v95, 0x7f800000, v96
	s_delay_alu instid0(VALU_DEP_1) | instskip(SKIP_1) | instid1(SALU_CYCLE_1)
	v_cmp_ne_u32_e32 vcc_lo, 0x7f800000, v95
                                        ; implicit-def: $vgpr95
	s_and_saveexec_b32 s3, vcc_lo
	s_xor_b32 s3, exec_lo, s3
; %bb.23:
	v_bfe_u32 v95, v96, 16, 1
	s_delay_alu instid0(VALU_DEP_1)
	v_add3_u32 v95, v96, v95, 0x7fff
                                        ; implicit-def: $vgpr96
; %bb.24:
	s_and_not1_saveexec_b32 s3, s3
; %bb.25:
	v_and_b32_e32 v95, 0xffff, v96
	v_or_b32_e32 v100, 0x10000, v96
	s_delay_alu instid0(VALU_DEP_2) | instskip(NEXT) | instid1(VALU_DEP_2)
	v_cmp_eq_u32_e32 vcc_lo, 0, v95
	v_cndmask_b32_e32 v95, v100, v96, vcc_lo
; %bb.26:
	s_or_b32 exec_lo, exec_lo, s3
	v_and_b32_e32 v96, 0x7f800000, v99
	s_delay_alu instid0(VALU_DEP_1) | instskip(SKIP_1) | instid1(SALU_CYCLE_1)
	v_cmp_ne_u32_e32 vcc_lo, 0x7f800000, v96
                                        ; implicit-def: $vgpr96
	s_and_saveexec_b32 s3, vcc_lo
	s_xor_b32 s3, exec_lo, s3
; %bb.27:
	v_bfe_u32 v96, v99, 16, 1
	s_delay_alu instid0(VALU_DEP_1)
	v_add3_u32 v96, v99, v96, 0x7fff
                                        ; implicit-def: $vgpr99
; %bb.28:
	s_and_not1_saveexec_b32 s3, s3
; %bb.29:
	v_and_b32_e32 v96, 0xffff, v99
	v_or_b32_e32 v100, 0x10000, v99
	s_delay_alu instid0(VALU_DEP_2) | instskip(NEXT) | instid1(VALU_DEP_2)
	v_cmp_eq_u32_e32 vcc_lo, 0, v96
	v_cndmask_b32_e32 v96, v100, v99, vcc_lo
; %bb.30:
	s_or_b32 exec_lo, exec_lo, s3
	v_and_b32_e32 v99, 0x7f800000, v98
	s_delay_alu instid0(VALU_DEP_1) | instskip(SKIP_1) | instid1(SALU_CYCLE_1)
	v_cmp_ne_u32_e32 vcc_lo, 0x7f800000, v99
                                        ; implicit-def: $vgpr99
	s_and_saveexec_b32 s3, vcc_lo
	s_xor_b32 s3, exec_lo, s3
; %bb.31:
	v_bfe_u32 v99, v98, 16, 1
	s_delay_alu instid0(VALU_DEP_1)
	v_add3_u32 v99, v98, v99, 0x7fff
                                        ; implicit-def: $vgpr98
; %bb.32:
	s_and_not1_saveexec_b32 s3, s3
; %bb.33:
	v_and_b32_e32 v99, 0xffff, v98
	v_or_b32_e32 v100, 0x10000, v98
	s_delay_alu instid0(VALU_DEP_2) | instskip(NEXT) | instid1(VALU_DEP_2)
	v_cmp_eq_u32_e32 vcc_lo, 0, v99
	v_cndmask_b32_e32 v99, v100, v98, vcc_lo
; %bb.34:
	s_or_b32 exec_lo, exec_lo, s3
	v_and_b32_e32 v98, 0x7f800000, v97
	s_delay_alu instid0(VALU_DEP_1) | instskip(SKIP_1) | instid1(SALU_CYCLE_1)
	v_cmp_ne_u32_e32 vcc_lo, 0x7f800000, v98
                                        ; implicit-def: $vgpr98
	s_and_saveexec_b32 s3, vcc_lo
	s_xor_b32 s3, exec_lo, s3
; %bb.35:
	v_bfe_u32 v98, v97, 16, 1
	s_delay_alu instid0(VALU_DEP_1)
	v_add3_u32 v98, v97, v98, 0x7fff
                                        ; implicit-def: $vgpr97
; %bb.36:
	s_and_not1_saveexec_b32 s3, s3
; %bb.37:
	v_and_b32_e32 v98, 0xffff, v97
	v_or_b32_e32 v100, 0x10000, v97
	s_delay_alu instid0(VALU_DEP_2) | instskip(NEXT) | instid1(VALU_DEP_2)
	v_cmp_eq_u32_e32 vcc_lo, 0, v98
	v_cndmask_b32_e32 v98, v100, v97, vcc_lo
; %bb.38:
	s_or_b32 exec_lo, exec_lo, s3
	v_and_b32_e32 v97, 0x7f800000, v94
	s_delay_alu instid0(VALU_DEP_1) | instskip(SKIP_1) | instid1(SALU_CYCLE_1)
	v_cmp_ne_u32_e32 vcc_lo, 0x7f800000, v97
                                        ; implicit-def: $vgpr97
	s_and_saveexec_b32 s3, vcc_lo
	s_xor_b32 s3, exec_lo, s3
; %bb.39:
	v_bfe_u32 v97, v94, 16, 1
	s_delay_alu instid0(VALU_DEP_1)
	v_add3_u32 v97, v94, v97, 0x7fff
                                        ; implicit-def: $vgpr94
; %bb.40:
	s_and_not1_saveexec_b32 s3, s3
; %bb.41:
	v_and_b32_e32 v97, 0xffff, v94
	v_or_b32_e32 v100, 0x10000, v94
	s_delay_alu instid0(VALU_DEP_2) | instskip(NEXT) | instid1(VALU_DEP_2)
	v_cmp_eq_u32_e32 vcc_lo, 0, v97
	v_cndmask_b32_e32 v97, v100, v94, vcc_lo
; %bb.42:
	s_or_b32 exec_lo, exec_lo, s3
	v_and_b32_e32 v94, 0x7f800000, v92
	s_delay_alu instid0(VALU_DEP_1) | instskip(SKIP_1) | instid1(SALU_CYCLE_1)
	v_cmp_ne_u32_e32 vcc_lo, 0x7f800000, v94
                                        ; implicit-def: $vgpr94
	s_and_saveexec_b32 s3, vcc_lo
	s_xor_b32 s3, exec_lo, s3
; %bb.43:
	v_bfe_u32 v94, v92, 16, 1
	s_delay_alu instid0(VALU_DEP_1)
	v_add3_u32 v94, v92, v94, 0x7fff
                                        ; implicit-def: $vgpr92
; %bb.44:
	s_and_not1_saveexec_b32 s3, s3
; %bb.45:
	v_and_b32_e32 v94, 0xffff, v92
	v_or_b32_e32 v100, 0x10000, v92
	s_delay_alu instid0(VALU_DEP_2) | instskip(NEXT) | instid1(VALU_DEP_2)
	v_cmp_eq_u32_e32 vcc_lo, 0, v94
	v_cndmask_b32_e32 v94, v100, v92, vcc_lo
; %bb.46:
	s_or_b32 exec_lo, exec_lo, s3
	s_load_b64 s[34:35], s[0:1], 0x94
	v_lshlrev_b32_e32 v92, 4, v83
	s_delay_alu instid0(VALU_DEP_2)
	v_perm_b32 v100, v94, v97, 0x7060302
	v_dual_mul_f32 v89, v90, v89 :: v_dual_lshlrev_b32 v94, 11, v74
	v_perm_b32 v97, v93, v91, 0x7060302
	v_mul_f32_e32 v93, v90, v77
	v_perm_b32 v99, v98, v99, 0x7060302
	v_perm_b32 v98, v96, v95, 0x7060302
	v_or3_b32 v77, v92, v94, v85
	v_mul_f32_e32 v88, v90, v88
	v_dual_mul_f32 v87, v90, v87 :: v_dual_and_b32 v94, 0x7f800000, v93
	v_mul_f32_e32 v86, v90, v86
	v_mul_f32_e32 v91, v90, v80
	;; [unrolled: 1-line block ×4, first 2 shown]
	s_mov_b32 s3, exec_lo
	ds_store_b128 v77, v[97:100]
                                        ; implicit-def: $vgpr78
	v_cmpx_ne_u32_e32 0x7f800000, v94
	s_xor_b32 s3, exec_lo, s3
; %bb.47:
	v_bfe_u32 v78, v93, 16, 1
	s_delay_alu instid0(VALU_DEP_1)
	v_add3_u32 v78, v93, v78, 0x7fff
                                        ; implicit-def: $vgpr93
; %bb.48:
	s_and_not1_saveexec_b32 s3, s3
; %bb.49:
	v_and_b32_e32 v78, 0xffff, v93
	v_or_b32_e32 v79, 0x10000, v93
	s_delay_alu instid0(VALU_DEP_2) | instskip(NEXT) | instid1(VALU_DEP_2)
	v_cmp_eq_u32_e32 vcc_lo, 0, v78
	v_cndmask_b32_e32 v78, v79, v93, vcc_lo
; %bb.50:
	s_or_b32 exec_lo, exec_lo, s3
	v_and_b32_e32 v79, 0x7f800000, v80
	s_delay_alu instid0(VALU_DEP_1) | instskip(SKIP_1) | instid1(SALU_CYCLE_1)
	v_cmp_ne_u32_e32 vcc_lo, 0x7f800000, v79
                                        ; implicit-def: $vgpr79
	s_and_saveexec_b32 s3, vcc_lo
	s_xor_b32 s3, exec_lo, s3
; %bb.51:
	v_bfe_u32 v79, v80, 16, 1
	s_delay_alu instid0(VALU_DEP_1)
	v_add3_u32 v79, v80, v79, 0x7fff
                                        ; implicit-def: $vgpr80
; %bb.52:
	s_and_not1_saveexec_b32 s3, s3
; %bb.53:
	v_and_b32_e32 v79, 0xffff, v80
	v_or_b32_e32 v90, 0x10000, v80
	s_delay_alu instid0(VALU_DEP_2) | instskip(NEXT) | instid1(VALU_DEP_2)
	v_cmp_eq_u32_e32 vcc_lo, 0, v79
	v_cndmask_b32_e32 v79, v90, v80, vcc_lo
; %bb.54:
	s_or_b32 exec_lo, exec_lo, s3
	v_and_b32_e32 v80, 0x7f800000, v92
	s_delay_alu instid0(VALU_DEP_1) | instskip(SKIP_1) | instid1(SALU_CYCLE_1)
	v_cmp_ne_u32_e32 vcc_lo, 0x7f800000, v80
                                        ; implicit-def: $vgpr80
	s_and_saveexec_b32 s3, vcc_lo
	s_xor_b32 s3, exec_lo, s3
; %bb.55:
	v_bfe_u32 v80, v92, 16, 1
	s_delay_alu instid0(VALU_DEP_1)
	v_add3_u32 v80, v92, v80, 0x7fff
                                        ; implicit-def: $vgpr92
; %bb.56:
	s_and_not1_saveexec_b32 s3, s3
; %bb.57:
	v_and_b32_e32 v80, 0xffff, v92
	v_or_b32_e32 v90, 0x10000, v92
	s_delay_alu instid0(VALU_DEP_2) | instskip(NEXT) | instid1(VALU_DEP_2)
	v_cmp_eq_u32_e32 vcc_lo, 0, v80
	v_cndmask_b32_e32 v80, v90, v92, vcc_lo
; %bb.58:
	s_or_b32 exec_lo, exec_lo, s3
	v_and_b32_e32 v90, 0x7f800000, v91
	s_delay_alu instid0(VALU_DEP_1) | instskip(SKIP_1) | instid1(SALU_CYCLE_1)
	v_cmp_ne_u32_e32 vcc_lo, 0x7f800000, v90
                                        ; implicit-def: $vgpr90
	s_and_saveexec_b32 s3, vcc_lo
	s_xor_b32 s3, exec_lo, s3
; %bb.59:
	v_bfe_u32 v90, v91, 16, 1
	s_delay_alu instid0(VALU_DEP_1)
	v_add3_u32 v90, v91, v90, 0x7fff
                                        ; implicit-def: $vgpr91
; %bb.60:
	s_and_not1_saveexec_b32 s3, s3
; %bb.61:
	v_and_b32_e32 v90, 0xffff, v91
	v_or_b32_e32 v92, 0x10000, v91
	s_delay_alu instid0(VALU_DEP_2) | instskip(NEXT) | instid1(VALU_DEP_2)
	v_cmp_eq_u32_e32 vcc_lo, 0, v90
	v_cndmask_b32_e32 v90, v92, v91, vcc_lo
; %bb.62:
	s_or_b32 exec_lo, exec_lo, s3
	v_and_b32_e32 v91, 0x7f800000, v86
	s_delay_alu instid0(VALU_DEP_1) | instskip(SKIP_1) | instid1(SALU_CYCLE_1)
	v_cmp_ne_u32_e32 vcc_lo, 0x7f800000, v91
                                        ; implicit-def: $vgpr91
	s_and_saveexec_b32 s3, vcc_lo
	s_xor_b32 s3, exec_lo, s3
; %bb.63:
	v_bfe_u32 v91, v86, 16, 1
	s_delay_alu instid0(VALU_DEP_1)
	v_add3_u32 v91, v86, v91, 0x7fff
                                        ; implicit-def: $vgpr86
; %bb.64:
	s_and_not1_saveexec_b32 s3, s3
; %bb.65:
	v_and_b32_e32 v91, 0xffff, v86
	v_or_b32_e32 v92, 0x10000, v86
	s_delay_alu instid0(VALU_DEP_2) | instskip(NEXT) | instid1(VALU_DEP_2)
	v_cmp_eq_u32_e32 vcc_lo, 0, v91
	v_cndmask_b32_e32 v91, v92, v86, vcc_lo
; %bb.66:
	s_or_b32 exec_lo, exec_lo, s3
	v_and_b32_e32 v86, 0x7f800000, v87
	s_delay_alu instid0(VALU_DEP_1) | instskip(SKIP_1) | instid1(SALU_CYCLE_1)
	v_cmp_ne_u32_e32 vcc_lo, 0x7f800000, v86
                                        ; implicit-def: $vgpr86
	s_and_saveexec_b32 s3, vcc_lo
	s_xor_b32 s3, exec_lo, s3
; %bb.67:
	v_bfe_u32 v86, v87, 16, 1
	s_delay_alu instid0(VALU_DEP_1)
	v_add3_u32 v86, v87, v86, 0x7fff
                                        ; implicit-def: $vgpr87
; %bb.68:
	s_and_not1_saveexec_b32 s3, s3
; %bb.69:
	v_and_b32_e32 v86, 0xffff, v87
	v_or_b32_e32 v92, 0x10000, v87
	s_delay_alu instid0(VALU_DEP_2) | instskip(NEXT) | instid1(VALU_DEP_2)
	v_cmp_eq_u32_e32 vcc_lo, 0, v86
	v_cndmask_b32_e32 v86, v92, v87, vcc_lo
; %bb.70:
	s_or_b32 exec_lo, exec_lo, s3
	v_and_b32_e32 v87, 0x7f800000, v88
	s_delay_alu instid0(VALU_DEP_1) | instskip(SKIP_1) | instid1(SALU_CYCLE_1)
	v_cmp_ne_u32_e32 vcc_lo, 0x7f800000, v87
                                        ; implicit-def: $vgpr87
	s_and_saveexec_b32 s3, vcc_lo
	s_xor_b32 s3, exec_lo, s3
; %bb.71:
	v_bfe_u32 v87, v88, 16, 1
	s_delay_alu instid0(VALU_DEP_1)
	v_add3_u32 v87, v88, v87, 0x7fff
                                        ; implicit-def: $vgpr88
; %bb.72:
	s_and_not1_saveexec_b32 s3, s3
; %bb.73:
	v_and_b32_e32 v87, 0xffff, v88
	v_or_b32_e32 v92, 0x10000, v88
	s_delay_alu instid0(VALU_DEP_2) | instskip(NEXT) | instid1(VALU_DEP_2)
	v_cmp_eq_u32_e32 vcc_lo, 0, v87
	v_cndmask_b32_e32 v87, v92, v88, vcc_lo
; %bb.74:
	s_or_b32 exec_lo, exec_lo, s3
	v_and_b32_e32 v88, 0x7f800000, v89
	s_delay_alu instid0(VALU_DEP_1) | instskip(SKIP_1) | instid1(SALU_CYCLE_1)
	v_cmp_ne_u32_e32 vcc_lo, 0x7f800000, v88
                                        ; implicit-def: $vgpr88
	s_and_saveexec_b32 s3, vcc_lo
	s_xor_b32 s3, exec_lo, s3
; %bb.75:
	v_bfe_u32 v88, v89, 16, 1
	s_delay_alu instid0(VALU_DEP_1)
	v_add3_u32 v88, v89, v88, 0x7fff
                                        ; implicit-def: $vgpr89
; %bb.76:
	s_and_not1_saveexec_b32 s3, s3
; %bb.77:
	v_and_b32_e32 v88, 0xffff, v89
	v_or_b32_e32 v92, 0x10000, v89
	s_delay_alu instid0(VALU_DEP_2) | instskip(NEXT) | instid1(VALU_DEP_2)
	v_cmp_eq_u32_e32 vcc_lo, 0, v88
	v_cndmask_b32_e32 v88, v92, v89, vcc_lo
; %bb.78:
	s_or_b32 exec_lo, exec_lo, s3
	s_delay_alu instid0(VALU_DEP_1)
	v_perm_b32 v89, v88, v87, 0x7060302
	v_perm_b32 v88, v86, v91, 0x7060302
	;; [unrolled: 1-line block ×4, first 2 shown]
	v_lshl_or_b32 v90, v74, 11, v85
	ds_store_b128 v77, v[86:89] offset:1024
	s_waitcnt lgkmcnt(0)
	s_barrier
	buffer_gl0_inv
	ds_load_b128 v[91:94], v90
	ds_load_b128 v[95:98], v90 offset:16
	v_lshlrev_b32_e32 v87, 2, v83
	s_delay_alu instid0(VALU_DEP_1)
	v_or_b32_e32 v88, 1, v87
	v_cmp_eq_u32_e32 vcc_lo, 1, v87
	v_cmp_eq_u32_e64 s4, 2, v87
	v_cmp_eq_u32_e64 s7, 3, v87
	;; [unrolled: 1-line block ×6, first 2 shown]
	v_or_b32_e32 v86, 2, v87
	v_cmp_eq_u32_e64 s10, 5, v87
	v_cmp_eq_u32_e64 s11, 4, v88
	;; [unrolled: 1-line block ×4, first 2 shown]
	s_waitcnt lgkmcnt(1)
	v_lshrrev_b32_e32 v74, 16, v91
	s_waitcnt lgkmcnt(0)
	v_lshrrev_b32_e32 v103, 16, v95
	v_lshrrev_b32_e32 v80, 16, v94
	;; [unrolled: 1-line block ×4, first 2 shown]
	v_cndmask_b32_e32 v89, v91, v74, vcc_lo
	v_cndmask_b32_e32 v99, v95, v103, vcc_lo
	v_cndmask_b32_e64 v100, v91, v74, s3
	v_lshrrev_b32_e32 v79, 16, v93
	v_lshrrev_b32_e32 v108, 16, v97
	v_cndmask_b32_e64 v89, v89, v92, s4
	v_cndmask_b32_e64 v99, v99, v96, s4
	;; [unrolled: 1-line block ×4, first 2 shown]
	v_cmp_eq_u32_e64 s5, 1, v86
	v_cndmask_b32_e64 v89, v89, v78, s7
	v_cndmask_b32_e64 v99, v99, v107, s7
	;; [unrolled: 1-line block ×4, first 2 shown]
	v_lshrrev_b32_e32 v109, 16, v98
	v_cndmask_b32_e64 v89, v89, v93, s9
	v_cndmask_b32_e64 v99, v99, v97, s9
	;; [unrolled: 1-line block ×8, first 2 shown]
	v_cmp_eq_u32_e64 s15, 7, v87
	v_cmp_eq_u32_e64 s16, 6, v88
	v_cndmask_b32_e64 v89, v89, v94, s12
	v_cndmask_b32_e64 v99, v99, v98, s12
	v_cmp_eq_u32_e64 s17, 2, v86
	v_cndmask_b32_e64 v101, v101, v97, s11
	v_cndmask_b32_e64 v100, v100, v94, s16
	;; [unrolled: 1-line block ×6, first 2 shown]
	v_cmp_eq_u32_e64 s18, 7, v88
	v_cmp_eq_u32_e64 s19, 3, v86
	;; [unrolled: 1-line block ×4, first 2 shown]
	v_cndmask_b32_e64 v99, v99, v96, s17
	v_cndmask_b32_e64 v112, v100, v80, s18
	v_cndmask_b32_e64 v100, v101, v108, s13
	v_cndmask_b32_e64 v101, v89, v78, s19
	v_or_b32_e32 v89, 3, v87
	v_cndmask_b32_e64 v105, v99, v107, s19
	v_cmp_eq_u32_e64 s24, 6, v86
	v_cndmask_b32_e64 v113, v100, v98, s16
	v_cndmask_b32_e64 v104, v101, v93, s20
	ds_load_b128 v[99:102], v90 offset:1024
	v_cmp_eq_u32_e64 s21, 1, v89
	v_cmp_eq_u32_e64 s23, 2, v89
	;; [unrolled: 1-line block ×3, first 2 shown]
	v_cndmask_b32_e64 v114, v104, v79, s22
	v_cmp_eq_u32_e64 s26, 4, v89
	v_cndmask_b32_e64 v74, v91, v74, s21
	v_cndmask_b32_e64 v91, v105, v97, s20
	;; [unrolled: 1-line block ×3, first 2 shown]
	ds_load_b128 v[103:106], v90 offset:1040
	v_cmp_eq_u32_e64 s28, 5, v89
	v_cndmask_b32_e64 v74, v74, v92, s23
	v_cndmask_b32_e64 v91, v91, v108, s22
	;; [unrolled: 1-line block ×3, first 2 shown]
	v_cmp_eq_u32_e64 s29, 6, v89
	v_cndmask_b32_e64 v95, v113, v109, s18
	v_cndmask_b32_e64 v74, v74, v78, s25
	;; [unrolled: 1-line block ×5, first 2 shown]
	s_waitcnt lgkmcnt(1)
	v_lshrrev_b32_e32 v96, 16, v99
	v_cndmask_b32_e64 v74, v74, v93, s26
	v_lshrrev_b32_e32 v107, 16, v100
	v_cndmask_b32_e64 v92, v92, v97, s26
	v_cmp_eq_u32_e64 s27, 7, v86
	v_cndmask_b32_e32 v93, v99, v96, vcc_lo
	v_cndmask_b32_e64 v74, v74, v79, s28
	s_delay_alu instid0(VALU_DEP_4)
	v_cndmask_b32_e64 v79, v92, v108, s28
	s_waitcnt lgkmcnt(0)
	v_lshrrev_b32_e32 v97, 16, v103
	v_cndmask_b32_e64 v92, v93, v100, s4
	v_cndmask_b32_e64 v93, v99, v96, s3
	;; [unrolled: 1-line block ×4, first 2 shown]
	v_cndmask_b32_e32 v108, v103, v97, vcc_lo
	v_cndmask_b32_e64 v92, v92, v107, s7
	v_cndmask_b32_e64 v93, v93, v100, s6
	v_lshrrev_b32_e32 v98, 16, v104
	v_cmp_eq_u32_e32 vcc_lo, 7, v89
	v_cndmask_b32_e64 v94, v108, v104, s4
	v_cndmask_b32_e64 v92, v92, v101, s9
	v_lshrrev_b32_e32 v108, 16, v101
	v_cndmask_b32_e64 v93, v93, v107, s8
	v_cndmask_b32_e32 v74, v74, v80, vcc_lo
	v_cndmask_b32_e64 v94, v94, v98, s7
	v_cndmask_b32_e32 v79, v79, v109, vcc_lo
	v_cndmask_b32_e64 v92, v92, v108, s10
	v_cndmask_b32_e64 v78, v78, v80, s27
	;; [unrolled: 1-line block ×4, first 2 shown]
	v_perm_b32 v94, v79, v74, 0x5040100
	v_cndmask_b32_e64 v79, v92, v102, s12
	v_perm_b32 v92, v95, v112, 0x5040100
	v_cndmask_b32_e64 v95, v99, v96, s5
	v_cndmask_b32_e64 v96, v99, v96, s21
	;; [unrolled: 1-line block ×16, first 2 shown]
	v_lshrrev_b32_e32 v109, 16, v105
	v_cndmask_b32_e64 v95, v95, v101, s20
	v_cndmask_b32_e64 v96, v96, v101, s26
	;; [unrolled: 1-line block ×6, first 2 shown]
	v_lshrrev_b32_e32 v80, 16, v102
	v_cndmask_b32_e64 v113, v93, v109, s10
	v_cndmask_b32_e64 v95, v95, v108, s22
	;; [unrolled: 1-line block ×6, first 2 shown]
	v_perm_b32 v93, v91, v78, 0x5040100
	v_cndmask_b32_e64 v74, v74, v102, s16
	v_cndmask_b32_e64 v78, v79, v80, s15
	;; [unrolled: 1-line block ×3, first 2 shown]
	v_lshrrev_b32_e32 v91, 16, v106
	v_cndmask_b32_e64 v95, v95, v102, s24
	v_cndmask_b32_e64 v96, v96, v102, s29
	;; [unrolled: 1-line block ×7, first 2 shown]
	v_cndmask_b32_e32 v80, v96, v80, vcc_lo
	v_cndmask_b32_e32 v96, v98, v91, vcc_lo
	v_cndmask_b32_e64 v99, v99, v91, s27
	v_cndmask_b32_e64 v100, v97, v91, s18
	;; [unrolled: 1-line block ×3, first 2 shown]
	v_perm_b32 v91, v111, v110, 0x5040100
	v_perm_b32 v98, v96, v80, 0x5040100
	;; [unrolled: 1-line block ×5, first 2 shown]
	s_mul_i32 s8, s35, 7
	s_mov_b32 s3, exec_lo
	ds_store_b128 v77, v[91:94]
	ds_store_b128 v77, v[95:98] offset:1024
	v_cmpx_gt_u32_e32 7, v0
	s_cbranch_execz .LBB736_80
; %bb.79:
	s_mul_i32 s4, s8, s30
	s_delay_alu instid0(SALU_CYCLE_1) | instskip(SKIP_1) | instid1(VALU_DEP_1)
	v_add3_u32 v77, s4, s31, v73
	s_load_b128 s[4:7], s[0:1], 0x58
	v_mad_u64_u32 v[73:74], null, v77, s34, s[14:15]
	s_delay_alu instid0(VALU_DEP_1) | instskip(NEXT) | instid1(VALU_DEP_1)
	v_ashrrev_i32_e32 v74, 31, v73
	v_lshlrev_b64 v[73:74], 2, v[73:74]
	s_waitcnt lgkmcnt(0)
	s_delay_alu instid0(VALU_DEP_1) | instskip(NEXT) | instid1(VALU_DEP_2)
	v_add_co_u32 v77, vcc_lo, s6, v73
	v_add_co_ci_u32_e32 v78, vcc_lo, s7, v74, vcc_lo
	v_add_co_u32 v73, vcc_lo, s4, v73
	v_add_co_ci_u32_e32 v74, vcc_lo, s5, v74, vcc_lo
	global_store_b32 v[77:78], v75, off
	global_store_b32 v[73:74], v76, off
.LBB736_80:
	s_or_b32 exec_lo, exec_lo, s3
	s_waitcnt lgkmcnt(0)
	s_waitcnt_vscnt null, 0x0
	s_barrier
	buffer_gl0_inv
	ds_load_b128 v[91:94], v85
	ds_load_b128 v[95:98], v85 offset:16
	ds_load_b128 v[103:106], v85 offset:1040
	ds_load_b128 v[99:102], v85 offset:1024
	v_mov_b32_e32 v73, 0
	ds_load_b128 v[111:114], v85 offset:2064
	ds_load_b128 v[107:110], v85 offset:2048
	;; [unrolled: 1-line block ×6, first 2 shown]
	v_mov_b32_e32 v74, v73
	v_mov_b32_e32 v75, v73
	;; [unrolled: 1-line block ×7, first 2 shown]
	s_waitcnt lgkmcnt(8)
	s_delay_alu instid0(VALU_DEP_1)
	v_wmma_f32_16x16x16_bf16 v[73:80], v[65:72], v[91:98], v[73:80]
	ds_load_b128 v[69:72], v85 offset:5136
	ds_load_b128 v[65:68], v85 offset:5120
	;; [unrolled: 1-line block ×4, first 2 shown]
	s_waitcnt lgkmcnt(10)
	v_wmma_f32_16x16x16_bf16 v[73:80], v[57:64], v[99:106], v[73:80]
	s_waitcnt lgkmcnt(8)
	s_delay_alu instid0(VALU_DEP_1)
	v_wmma_f32_16x16x16_bf16 v[73:80], v[57:64], v[107:114], v[73:80]
	ds_load_b128 v[61:64], v85 offset:7184
	ds_load_b128 v[57:60], v85 offset:7168
	;; [unrolled: 1-line block ×4, first 2 shown]
	s_waitcnt lgkmcnt(10)
	v_wmma_f32_16x16x16_bf16 v[73:80], v[49:56], v[115:122], v[73:80]
	s_waitcnt lgkmcnt(8)
	s_delay_alu instid0(VALU_DEP_1)
	v_wmma_f32_16x16x16_bf16 v[73:80], v[49:56], v[123:130], v[73:80]
	ds_load_b128 v[53:56], v85 offset:9232
	ds_load_b128 v[49:52], v85 offset:9216
	s_waitcnt lgkmcnt(8)
	v_wmma_f32_16x16x16_bf16 v[73:80], v[41:48], v[65:72], v[73:80]
	ds_load_b128 v[69:72], v85 offset:10256
	ds_load_b128 v[65:68], v85 offset:10240
	s_waitcnt lgkmcnt(8)
	;; [unrolled: 4-line block ×3, first 2 shown]
	v_wmma_f32_16x16x16_bf16 v[73:80], v[9:16], v[57:64], v[73:80]
	s_waitcnt lgkmcnt(6)
	s_delay_alu instid0(VALU_DEP_1)
	v_wmma_f32_16x16x16_bf16 v[73:80], v[9:16], v[99:106], v[73:80]
	ds_load_b128 v[13:16], v85 offset:12304
	ds_load_b128 v[9:12], v85 offset:12288
	s_waitcnt lgkmcnt(6)
	v_wmma_f32_16x16x16_bf16 v[73:80], v[1:8], v[49:56], v[73:80]
	ds_load_b128 v[53:56], v85 offset:13328
	ds_load_b128 v[49:52], v85 offset:13312
	s_waitcnt lgkmcnt(6)
	;; [unrolled: 4-line block ×4, first 2 shown]
	v_wmma_f32_16x16x16_bf16 v[73:80], v[33:40], v[9:16], v[73:80]
	s_waitcnt lgkmcnt(4)
	s_delay_alu instid0(VALU_DEP_1) | instskip(SKIP_1) | instid1(VALU_DEP_1)
	v_wmma_f32_16x16x16_bf16 v[73:80], v[25:32], v[49:56], v[73:80]
	s_waitcnt lgkmcnt(2)
	v_wmma_f32_16x16x16_bf16 v[73:80], v[25:32], v[1:8], v[73:80]
	s_waitcnt lgkmcnt(0)
	s_delay_alu instid0(VALU_DEP_1) | instskip(NEXT) | instid1(VALU_DEP_1)
	v_wmma_f32_16x16x16_bf16 v[73:80], v[17:24], v[41:48], v[73:80]
	v_and_b32_e32 v1, 0x7f800000, v73
	s_delay_alu instid0(VALU_DEP_1) | instskip(SKIP_1) | instid1(SALU_CYCLE_1)
	v_cmp_ne_u32_e32 vcc_lo, 0x7f800000, v1
                                        ; implicit-def: $vgpr1
	s_and_saveexec_b32 s3, vcc_lo
	s_xor_b32 s3, exec_lo, s3
; %bb.81:
	v_bfe_u32 v1, v73, 16, 1
	s_delay_alu instid0(VALU_DEP_1)
	v_add3_u32 v1, v73, v1, 0x7fff
; %bb.82:
	s_and_not1_saveexec_b32 s3, s3
; %bb.83:
	v_and_b32_e32 v1, 0xffff, v73
	v_or_b32_e32 v2, 0x10000, v73
	s_delay_alu instid0(VALU_DEP_2) | instskip(NEXT) | instid1(VALU_DEP_2)
	v_cmp_eq_u32_e32 vcc_lo, 0, v1
	v_cndmask_b32_e32 v1, v2, v73, vcc_lo
; %bb.84:
	s_or_b32 exec_lo, exec_lo, s3
	v_and_b32_e32 v2, 0x7f800000, v74
	s_delay_alu instid0(VALU_DEP_1) | instskip(SKIP_1) | instid1(SALU_CYCLE_1)
	v_cmp_ne_u32_e32 vcc_lo, 0x7f800000, v2
                                        ; implicit-def: $vgpr2
	s_and_saveexec_b32 s3, vcc_lo
	s_xor_b32 s3, exec_lo, s3
; %bb.85:
	v_bfe_u32 v2, v74, 16, 1
	s_delay_alu instid0(VALU_DEP_1)
	v_add3_u32 v2, v74, v2, 0x7fff
; %bb.86:
	s_and_not1_saveexec_b32 s3, s3
; %bb.87:
	v_and_b32_e32 v2, 0xffff, v74
	v_or_b32_e32 v3, 0x10000, v74
	s_delay_alu instid0(VALU_DEP_2) | instskip(NEXT) | instid1(VALU_DEP_2)
	v_cmp_eq_u32_e32 vcc_lo, 0, v2
	v_cndmask_b32_e32 v2, v3, v74, vcc_lo
; %bb.88:
	s_or_b32 exec_lo, exec_lo, s3
	v_and_b32_e32 v3, 0x7f800000, v75
	s_delay_alu instid0(VALU_DEP_1) | instskip(SKIP_1) | instid1(SALU_CYCLE_1)
	v_cmp_ne_u32_e32 vcc_lo, 0x7f800000, v3
                                        ; implicit-def: $vgpr3
	s_and_saveexec_b32 s3, vcc_lo
	s_xor_b32 s3, exec_lo, s3
; %bb.89:
	v_bfe_u32 v3, v75, 16, 1
	s_delay_alu instid0(VALU_DEP_1)
	v_add3_u32 v3, v75, v3, 0x7fff
; %bb.90:
	s_and_not1_saveexec_b32 s3, s3
; %bb.91:
	v_and_b32_e32 v3, 0xffff, v75
	v_or_b32_e32 v4, 0x10000, v75
	s_delay_alu instid0(VALU_DEP_2) | instskip(NEXT) | instid1(VALU_DEP_2)
	v_cmp_eq_u32_e32 vcc_lo, 0, v3
	v_cndmask_b32_e32 v3, v4, v75, vcc_lo
; %bb.92:
	s_or_b32 exec_lo, exec_lo, s3
	v_and_b32_e32 v4, 0x7f800000, v76
	s_delay_alu instid0(VALU_DEP_1) | instskip(SKIP_1) | instid1(SALU_CYCLE_1)
	v_cmp_ne_u32_e32 vcc_lo, 0x7f800000, v4
                                        ; implicit-def: $vgpr4
	s_and_saveexec_b32 s3, vcc_lo
	s_xor_b32 s3, exec_lo, s3
; %bb.93:
	v_bfe_u32 v4, v76, 16, 1
	s_delay_alu instid0(VALU_DEP_1)
	v_add3_u32 v4, v76, v4, 0x7fff
; %bb.94:
	s_and_not1_saveexec_b32 s3, s3
; %bb.95:
	v_and_b32_e32 v4, 0xffff, v76
	v_or_b32_e32 v5, 0x10000, v76
	s_delay_alu instid0(VALU_DEP_2) | instskip(NEXT) | instid1(VALU_DEP_2)
	v_cmp_eq_u32_e32 vcc_lo, 0, v4
	v_cndmask_b32_e32 v4, v5, v76, vcc_lo
; %bb.96:
	s_or_b32 exec_lo, exec_lo, s3
	v_and_b32_e32 v5, 0x7f800000, v77
	s_delay_alu instid0(VALU_DEP_1) | instskip(SKIP_1) | instid1(SALU_CYCLE_1)
	v_cmp_ne_u32_e32 vcc_lo, 0x7f800000, v5
                                        ; implicit-def: $vgpr5
	s_and_saveexec_b32 s3, vcc_lo
	s_xor_b32 s3, exec_lo, s3
; %bb.97:
	v_bfe_u32 v5, v77, 16, 1
	s_delay_alu instid0(VALU_DEP_1)
	v_add3_u32 v5, v77, v5, 0x7fff
; %bb.98:
	s_and_not1_saveexec_b32 s3, s3
; %bb.99:
	v_and_b32_e32 v5, 0xffff, v77
	v_or_b32_e32 v6, 0x10000, v77
	s_delay_alu instid0(VALU_DEP_2) | instskip(NEXT) | instid1(VALU_DEP_2)
	v_cmp_eq_u32_e32 vcc_lo, 0, v5
	v_cndmask_b32_e32 v5, v6, v77, vcc_lo
; %bb.100:
	s_or_b32 exec_lo, exec_lo, s3
	v_and_b32_e32 v6, 0x7f800000, v78
	s_delay_alu instid0(VALU_DEP_1) | instskip(SKIP_1) | instid1(SALU_CYCLE_1)
	v_cmp_ne_u32_e32 vcc_lo, 0x7f800000, v6
                                        ; implicit-def: $vgpr6
	s_and_saveexec_b32 s3, vcc_lo
	s_xor_b32 s3, exec_lo, s3
; %bb.101:
	v_bfe_u32 v6, v78, 16, 1
	s_delay_alu instid0(VALU_DEP_1)
	v_add3_u32 v6, v78, v6, 0x7fff
; %bb.102:
	s_and_not1_saveexec_b32 s3, s3
; %bb.103:
	v_and_b32_e32 v6, 0xffff, v78
	v_or_b32_e32 v7, 0x10000, v78
	s_delay_alu instid0(VALU_DEP_2) | instskip(NEXT) | instid1(VALU_DEP_2)
	v_cmp_eq_u32_e32 vcc_lo, 0, v6
	v_cndmask_b32_e32 v6, v7, v78, vcc_lo
; %bb.104:
	s_or_b32 exec_lo, exec_lo, s3
	v_and_b32_e32 v7, 0x7f800000, v79
	s_delay_alu instid0(VALU_DEP_1) | instskip(SKIP_1) | instid1(SALU_CYCLE_1)
	v_cmp_ne_u32_e32 vcc_lo, 0x7f800000, v7
                                        ; implicit-def: $vgpr7
	s_and_saveexec_b32 s3, vcc_lo
	s_xor_b32 s3, exec_lo, s3
; %bb.105:
	v_bfe_u32 v7, v79, 16, 1
	s_delay_alu instid0(VALU_DEP_1)
	v_add3_u32 v7, v79, v7, 0x7fff
; %bb.106:
	s_and_not1_saveexec_b32 s3, s3
; %bb.107:
	v_and_b32_e32 v7, 0xffff, v79
	v_or_b32_e32 v8, 0x10000, v79
	s_delay_alu instid0(VALU_DEP_2) | instskip(NEXT) | instid1(VALU_DEP_2)
	v_cmp_eq_u32_e32 vcc_lo, 0, v7
	v_cndmask_b32_e32 v7, v8, v79, vcc_lo
; %bb.108:
	s_or_b32 exec_lo, exec_lo, s3
	v_and_b32_e32 v8, 0x7f800000, v80
	s_delay_alu instid0(VALU_DEP_1) | instskip(SKIP_1) | instid1(SALU_CYCLE_1)
	v_cmp_ne_u32_e32 vcc_lo, 0x7f800000, v8
                                        ; implicit-def: $vgpr8
	s_and_saveexec_b32 s3, vcc_lo
	s_xor_b32 s3, exec_lo, s3
; %bb.109:
	v_bfe_u32 v8, v80, 16, 1
	s_delay_alu instid0(VALU_DEP_1)
	v_add3_u32 v8, v80, v8, 0x7fff
                                        ; implicit-def: $vgpr73_vgpr74_vgpr75_vgpr76_vgpr77_vgpr78_vgpr79_vgpr80
; %bb.110:
	s_and_not1_saveexec_b32 s3, s3
; %bb.111:
	v_and_b32_e32 v8, 0xffff, v80
	v_or_b32_e32 v9, 0x10000, v80
	s_delay_alu instid0(VALU_DEP_2) | instskip(NEXT) | instid1(VALU_DEP_2)
	v_cmp_eq_u32_e32 vcc_lo, 0, v8
	v_cndmask_b32_e32 v8, v9, v80, vcc_lo
; %bb.112:
	s_or_b32 exec_lo, exec_lo, s3
	s_delay_alu instid0(VALU_DEP_1)
	v_perm_b32 v7, v8, v7, 0x7060302
	v_perm_b32 v6, v6, v5, 0x7060302
	;; [unrolled: 1-line block ×4, first 2 shown]
	v_lshl_or_b32 v9, v83, 4, v90
	s_barrier
	buffer_gl0_inv
	v_cmp_eq_u32_e32 vcc_lo, 1, v87
	ds_store_b128 v9, v[4:7]
	s_waitcnt lgkmcnt(0)
	s_barrier
	buffer_gl0_inv
	ds_load_b128 v[1:4], v90
	ds_load_b128 v[5:8], v90 offset:16
	v_cmp_eq_u32_e64 s4, 2, v87
	v_cmp_eq_u32_e64 s3, 1, v88
	;; [unrolled: 1-line block ×5, first 2 shown]
	s_waitcnt lgkmcnt(1)
	v_lshrrev_b32_e32 v10, 16, v1
	s_waitcnt lgkmcnt(0)
	v_lshrrev_b32_e32 v14, 16, v5
	v_lshrrev_b32_e32 v15, 16, v6
	;; [unrolled: 1-line block ×4, first 2 shown]
	v_cndmask_b32_e64 v20, v1, v10, s3
	v_cndmask_b32_e32 v19, v5, v14, vcc_lo
	v_cndmask_b32_e64 v21, v5, v14, s3
	v_lshrrev_b32_e32 v16, 16, v7
	v_cmp_eq_u32_e64 s3, 1, v86
	v_lshrrev_b32_e32 v13, 16, v4
	v_cndmask_b32_e64 v19, v19, v6, s4
	v_lshrrev_b32_e32 v17, 16, v8
	s_delay_alu instid0(VALU_DEP_4) | instskip(SKIP_1) | instid1(VALU_DEP_4)
	v_cndmask_b32_e64 v22, v1, v10, s3
	v_cndmask_b32_e64 v23, v5, v14, s3
	;; [unrolled: 1-line block ×3, first 2 shown]
	v_cndmask_b32_e32 v18, v1, v10, vcc_lo
	v_cmp_eq_u32_e32 vcc_lo, 2, v88
	v_cmp_eq_u32_e64 s3, 2, v89
	v_cndmask_b32_e64 v22, v22, v2, s7
	v_cndmask_b32_e32 v20, v20, v2, vcc_lo
	v_cndmask_b32_e32 v21, v21, v6, vcc_lo
	v_cmp_eq_u32_e32 vcc_lo, 4, v87
	v_cndmask_b32_e32 v19, v19, v7, vcc_lo
	v_cndmask_b32_e64 v18, v18, v2, s4
	v_cmp_eq_u32_e64 s4, 3, v88
	s_delay_alu instid0(VALU_DEP_2) | instskip(NEXT) | instid1(VALU_DEP_2)
	v_cndmask_b32_e64 v18, v18, v11, s5
	v_cndmask_b32_e64 v21, v21, v15, s4
	v_cmp_eq_u32_e64 s5, 5, v87
	s_delay_alu instid0(VALU_DEP_3) | instskip(SKIP_1) | instid1(VALU_DEP_3)
	v_cndmask_b32_e32 v18, v18, v3, vcc_lo
	v_cmp_eq_u32_e32 vcc_lo, 4, v88
	v_cndmask_b32_e64 v19, v19, v16, s5
	s_delay_alu instid0(VALU_DEP_3) | instskip(SKIP_4) | instid1(VALU_DEP_3)
	v_cndmask_b32_e64 v18, v18, v12, s5
	v_cndmask_b32_e32 v21, v21, v7, vcc_lo
	v_cndmask_b32_e64 v20, v20, v11, s4
	v_cmp_eq_u32_e64 s4, 5, v88
	v_cmp_eq_u32_e64 s5, 6, v87
	v_cndmask_b32_e32 v20, v20, v3, vcc_lo
	s_delay_alu instid0(VALU_DEP_3) | instskip(SKIP_1) | instid1(VALU_DEP_4)
	v_cndmask_b32_e64 v21, v21, v16, s4
	v_cmp_eq_u32_e32 vcc_lo, 6, v88
	v_cndmask_b32_e64 v18, v18, v4, s5
	v_cndmask_b32_e64 v19, v19, v8, s5
	;; [unrolled: 1-line block ×3, first 2 shown]
	v_cmp_eq_u32_e64 s4, 1, v89
	v_cmp_eq_u32_e64 s5, 7, v87
	s_delay_alu instid0(VALU_DEP_3) | instskip(NEXT) | instid1(VALU_DEP_3)
	v_cndmask_b32_e32 v20, v20, v4, vcc_lo
	v_cndmask_b32_e64 v1, v1, v10, s4
	v_cndmask_b32_e64 v5, v5, v14, s4
	v_cmp_eq_u32_e64 s4, 3, v86
	v_cndmask_b32_e64 v14, v23, v6, s7
	v_cmp_eq_u32_e64 s7, 3, v89
	v_cndmask_b32_e64 v1, v1, v2, s3
	v_cndmask_b32_e64 v2, v5, v6, s3
	;; [unrolled: 1-line block ×3, first 2 shown]
	v_cmp_eq_u32_e64 s3, 4, v86
	v_cndmask_b32_e64 v6, v14, v15, s4
	v_cndmask_b32_e64 v1, v1, v11, s7
	v_cmp_eq_u32_e64 s4, 4, v89
	v_cndmask_b32_e64 v2, v2, v15, s7
	v_cndmask_b32_e64 v5, v10, v3, s3
	;; [unrolled: 3-line block ×3, first 2 shown]
	v_cndmask_b32_e64 v2, v2, v7, s4
	v_cmp_eq_u32_e64 s3, 5, v89
	v_cndmask_b32_e64 v5, v5, v12, s7
	v_cmp_eq_u32_e64 s4, 6, v86
	;; [unrolled: 2-line block ×3, first 2 shown]
	v_cndmask_b32_e64 v1, v1, v12, s3
	v_cndmask_b32_e64 v2, v2, v16, s3
	;; [unrolled: 1-line block ×4, first 2 shown]
	v_cmp_eq_u32_e64 s3, 7, v89
	v_cndmask_b32_e64 v1, v1, v4, s7
	v_cndmask_b32_e64 v2, v2, v8, s7
	v_cmp_eq_u32_e64 s4, 7, v86
	v_cndmask_b32_e32 v4, v21, v8, vcc_lo
	v_cndmask_b32_e64 v18, v18, v13, s5
	v_cndmask_b32_e64 v20, v20, v13, s6
	;; [unrolled: 1-line block ×8, first 2 shown]
	s_mov_b32 s3, exec_lo
	v_perm_b32 v4, v2, v1, 0x5040100
	v_perm_b32 v3, v3, v5, 0x5040100
	;; [unrolled: 1-line block ×4, first 2 shown]
	ds_store_b128 v9, v[1:4]
	s_waitcnt lgkmcnt(0)
	s_barrier
	buffer_gl0_inv
	v_cmpx_gt_u32_e32 32, v0
	s_cbranch_execz .LBB736_2
; %bb.113:
	s_load_b64 s[4:5], s[0:1], 0x68
	v_lshlrev_b32_e32 v0, 10, v0
	v_add_nc_u32_e32 v2, s31, v83
	v_lshlrev_b32_e32 v3, 4, v84
	s_lshl_b32 s0, s34, 7
	s_delay_alu instid0(SALU_CYCLE_1) | instskip(NEXT) | instid1(VALU_DEP_2)
	s_mul_i32 s1, s0, s30
	v_mul_lo_u32 v1, v2, s0
	s_delay_alu instid0(VALU_DEP_2)
	v_and_or_b32 v0, 0x3800, v0, v3
	v_add_nc_u32_e32 v3, 2, v2
	s_mul_i32 s6, s1, s8
	v_add_nc_u32_e32 v4, 4, v2
	s_ashr_i32 s7, s6, 31
	v_lshl_or_b32 v11, v83, 6, v0
	s_lshl_b64 s[6:7], s[6:7], 1
	v_mul_lo_u32 v15, v3, s0
	v_mul_lo_u32 v17, v4, s0
	v_ashrrev_i32_e32 v2, 31, v1
	ds_load_b128 v[3:6], v11
	ds_load_b128 v[7:10], v11 offset:128
	ds_load_b128 v[11:14], v11 offset:256
	s_waitcnt lgkmcnt(0)
	s_add_u32 s1, s4, s6
	s_addc_u32 s3, s5, s7
	s_lshl_b32 s4, s14, 7
	v_ashrrev_i32_e32 v16, 31, v15
	s_ashr_i32 s5, s4, 31
	v_lshlrev_b64 v[19:20], 1, v[1:2]
	s_lshl_b64 s[4:5], s[4:5], 1
	v_ashrrev_i32_e32 v18, 31, v17
	s_add_u32 s1, s1, s4
	s_addc_u32 s3, s3, s5
	v_add_co_u32 v1, vcc_lo, s1, v81
	v_add_co_ci_u32_e32 v2, vcc_lo, s3, v82, vcc_lo
	v_lshlrev_b64 v[15:16], 1, v[15:16]
	s_delay_alu instid0(VALU_DEP_3) | instskip(SKIP_1) | instid1(VALU_DEP_4)
	v_add_co_u32 v19, vcc_lo, v1, v19
	v_lshlrev_b64 v[17:18], 1, v[17:18]
	v_add_co_ci_u32_e32 v20, vcc_lo, v2, v20, vcc_lo
	s_delay_alu instid0(VALU_DEP_4) | instskip(SKIP_1) | instid1(VALU_DEP_4)
	v_add_co_u32 v15, vcc_lo, v1, v15
	v_add_co_ci_u32_e32 v16, vcc_lo, v2, v16, vcc_lo
	v_add_co_u32 v17, vcc_lo, v1, v17
	v_add_co_ci_u32_e32 v18, vcc_lo, v2, v18, vcc_lo
	s_clause 0x2
	global_store_b128 v[19:20], v[3:6], off
	global_store_b128 v[15:16], v[7:10], off
	global_store_b128 v[17:18], v[11:14], off
	s_and_b32 exec_lo, exec_lo, s2
	s_cbranch_execz .LBB736_2
; %bb.114:
	ds_load_b128 v[3:6], v0 offset:384
	s_add_i32 s1, s31, 6
	s_delay_alu instid0(SALU_CYCLE_1) | instskip(NEXT) | instid1(SALU_CYCLE_1)
	s_mul_i32 s0, s1, s0
	s_ashr_i32 s1, s0, 31
	s_delay_alu instid0(SALU_CYCLE_1) | instskip(NEXT) | instid1(SALU_CYCLE_1)
	s_lshl_b64 s[0:1], s[0:1], 1
	v_add_co_u32 v0, vcc_lo, v1, s0
	v_add_co_ci_u32_e32 v1, vcc_lo, s1, v2, vcc_lo
	s_waitcnt lgkmcnt(0)
	global_store_b128 v[0:1], v[3:6], off
	s_nop 0
	s_sendmsg sendmsg(MSG_DEALLOC_VGPRS)
	s_endpgm
	.section	.rodata,"a",@progbits
	.p2align	6, 0x0
	.amdhsa_kernel _Z39paged_attention_ll4mi_QKV_mfma16_kernelI14__hip_bfloat16S0_LN4vllm18Fp8KVCacheDataTypeE0ES0_Li32ELi128ELi256ELb1ELi7EL8MFMAType0EEvPKT_PKT0_S9_ifPKiSB_SB_iPKfiiiPfSE_PS4_PT2_iSD_SD_
		.amdhsa_group_segment_fixed_size 17472
		.amdhsa_private_segment_fixed_size 0
		.amdhsa_kernarg_size 400
		.amdhsa_user_sgpr_count 13
		.amdhsa_user_sgpr_dispatch_ptr 0
		.amdhsa_user_sgpr_queue_ptr 0
		.amdhsa_user_sgpr_kernarg_segment_ptr 1
		.amdhsa_user_sgpr_dispatch_id 0
		.amdhsa_user_sgpr_private_segment_size 0
		.amdhsa_wavefront_size32 1
		.amdhsa_uses_dynamic_stack 0
		.amdhsa_enable_private_segment 0
		.amdhsa_system_sgpr_workgroup_id_x 1
		.amdhsa_system_sgpr_workgroup_id_y 1
		.amdhsa_system_sgpr_workgroup_id_z 1
		.amdhsa_system_sgpr_workgroup_info 0
		.amdhsa_system_vgpr_workitem_id 0
		.amdhsa_next_free_vgpr 157
		.amdhsa_next_free_sgpr 37
		.amdhsa_reserve_vcc 1
		.amdhsa_float_round_mode_32 0
		.amdhsa_float_round_mode_16_64 0
		.amdhsa_float_denorm_mode_32 3
		.amdhsa_float_denorm_mode_16_64 3
		.amdhsa_dx10_clamp 1
		.amdhsa_ieee_mode 1
		.amdhsa_fp16_overflow 0
		.amdhsa_workgroup_processor_mode 1
		.amdhsa_memory_ordered 1
		.amdhsa_forward_progress 0
		.amdhsa_shared_vgpr_count 0
		.amdhsa_exception_fp_ieee_invalid_op 0
		.amdhsa_exception_fp_denorm_src 0
		.amdhsa_exception_fp_ieee_div_zero 0
		.amdhsa_exception_fp_ieee_overflow 0
		.amdhsa_exception_fp_ieee_underflow 0
		.amdhsa_exception_fp_ieee_inexact 0
		.amdhsa_exception_int_div_zero 0
	.end_amdhsa_kernel
	.section	.text._Z39paged_attention_ll4mi_QKV_mfma16_kernelI14__hip_bfloat16S0_LN4vllm18Fp8KVCacheDataTypeE0ES0_Li32ELi128ELi256ELb1ELi7EL8MFMAType0EEvPKT_PKT0_S9_ifPKiSB_SB_iPKfiiiPfSE_PS4_PT2_iSD_SD_,"axG",@progbits,_Z39paged_attention_ll4mi_QKV_mfma16_kernelI14__hip_bfloat16S0_LN4vllm18Fp8KVCacheDataTypeE0ES0_Li32ELi128ELi256ELb1ELi7EL8MFMAType0EEvPKT_PKT0_S9_ifPKiSB_SB_iPKfiiiPfSE_PS4_PT2_iSD_SD_,comdat
.Lfunc_end736:
	.size	_Z39paged_attention_ll4mi_QKV_mfma16_kernelI14__hip_bfloat16S0_LN4vllm18Fp8KVCacheDataTypeE0ES0_Li32ELi128ELi256ELb1ELi7EL8MFMAType0EEvPKT_PKT0_S9_ifPKiSB_SB_iPKfiiiPfSE_PS4_PT2_iSD_SD_, .Lfunc_end736-_Z39paged_attention_ll4mi_QKV_mfma16_kernelI14__hip_bfloat16S0_LN4vllm18Fp8KVCacheDataTypeE0ES0_Li32ELi128ELi256ELb1ELi7EL8MFMAType0EEvPKT_PKT0_S9_ifPKiSB_SB_iPKfiiiPfSE_PS4_PT2_iSD_SD_
                                        ; -- End function
	.section	.AMDGPU.csdata,"",@progbits
; Kernel info:
; codeLenInByte = 9768
; NumSgprs: 39
; NumVgprs: 157
; ScratchSize: 0
; MemoryBound: 0
; FloatMode: 240
; IeeeMode: 1
; LDSByteSize: 17472 bytes/workgroup (compile time only)
; SGPRBlocks: 4
; VGPRBlocks: 19
; NumSGPRsForWavesPerEU: 39
; NumVGPRsForWavesPerEU: 157
; Occupancy: 9
; WaveLimiterHint : 1
; COMPUTE_PGM_RSRC2:SCRATCH_EN: 0
; COMPUTE_PGM_RSRC2:USER_SGPR: 13
; COMPUTE_PGM_RSRC2:TRAP_HANDLER: 0
; COMPUTE_PGM_RSRC2:TGID_X_EN: 1
; COMPUTE_PGM_RSRC2:TGID_Y_EN: 1
; COMPUTE_PGM_RSRC2:TGID_Z_EN: 1
; COMPUTE_PGM_RSRC2:TIDIG_COMP_CNT: 0
	.section	.text._Z39paged_attention_ll4mi_QKV_mfma16_kernelI14__hip_bfloat16S0_LN4vllm18Fp8KVCacheDataTypeE0ES0_Li32ELi128ELi256ELb1ELi8EL8MFMAType0EEvPKT_PKT0_S9_ifPKiSB_SB_iPKfiiiPfSE_PS4_PT2_iSD_SD_,"axG",@progbits,_Z39paged_attention_ll4mi_QKV_mfma16_kernelI14__hip_bfloat16S0_LN4vllm18Fp8KVCacheDataTypeE0ES0_Li32ELi128ELi256ELb1ELi8EL8MFMAType0EEvPKT_PKT0_S9_ifPKiSB_SB_iPKfiiiPfSE_PS4_PT2_iSD_SD_,comdat
	.protected	_Z39paged_attention_ll4mi_QKV_mfma16_kernelI14__hip_bfloat16S0_LN4vllm18Fp8KVCacheDataTypeE0ES0_Li32ELi128ELi256ELb1ELi8EL8MFMAType0EEvPKT_PKT0_S9_ifPKiSB_SB_iPKfiiiPfSE_PS4_PT2_iSD_SD_ ; -- Begin function _Z39paged_attention_ll4mi_QKV_mfma16_kernelI14__hip_bfloat16S0_LN4vllm18Fp8KVCacheDataTypeE0ES0_Li32ELi128ELi256ELb1ELi8EL8MFMAType0EEvPKT_PKT0_S9_ifPKiSB_SB_iPKfiiiPfSE_PS4_PT2_iSD_SD_
	.globl	_Z39paged_attention_ll4mi_QKV_mfma16_kernelI14__hip_bfloat16S0_LN4vllm18Fp8KVCacheDataTypeE0ES0_Li32ELi128ELi256ELb1ELi8EL8MFMAType0EEvPKT_PKT0_S9_ifPKiSB_SB_iPKfiiiPfSE_PS4_PT2_iSD_SD_
	.p2align	8
	.type	_Z39paged_attention_ll4mi_QKV_mfma16_kernelI14__hip_bfloat16S0_LN4vllm18Fp8KVCacheDataTypeE0ES0_Li32ELi128ELi256ELb1ELi8EL8MFMAType0EEvPKT_PKT0_S9_ifPKiSB_SB_iPKfiiiPfSE_PS4_PT2_iSD_SD_,@function
_Z39paged_attention_ll4mi_QKV_mfma16_kernelI14__hip_bfloat16S0_LN4vllm18Fp8KVCacheDataTypeE0ES0_Li32ELi128ELi256ELb1ELi8EL8MFMAType0EEvPKT_PKT0_S9_ifPKiSB_SB_iPKfiiiPfSE_PS4_PT2_iSD_SD_: ; @_Z39paged_attention_ll4mi_QKV_mfma16_kernelI14__hip_bfloat16S0_LN4vllm18Fp8KVCacheDataTypeE0ES0_Li32ELi128ELi256ELb1ELi8EL8MFMAType0EEvPKT_PKT0_S9_ifPKiSB_SB_iPKfiiiPfSE_PS4_PT2_iSD_SD_
; %bb.0:
	s_load_b64 s[2:3], s[0:1], 0x30
	s_mov_b32 s30, s13
	s_waitcnt lgkmcnt(0)
	s_cmp_lg_u64 s[2:3], 0
	s_cselect_b32 s6, -1, 0
	s_ashr_i32 s31, s13, 31
	s_cmp_eq_u64 s[2:3], 0
	s_cbranch_scc1 .LBB737_3
; %bb.1:
	s_lshl_b64 s[4:5], s[30:31], 2
	s_delay_alu instid0(SALU_CYCLE_1) | instskip(SKIP_4) | instid1(SALU_CYCLE_1)
	s_add_u32 s4, s2, s4
	s_addc_u32 s5, s3, s5
	s_load_b64 s[4:5], s[4:5], 0x0
	s_waitcnt lgkmcnt(0)
	s_sub_i32 s4, s5, s4
	s_cmp_eq_u32 s4, 1
	s_cselect_b32 s4, -1, 0
	s_delay_alu instid0(SALU_CYCLE_1)
	s_and_not1_b32 vcc_lo, exec_lo, s4
	s_cbranch_vccz .LBB737_4
.LBB737_2:
	s_endpgm
.LBB737_3:
.LBB737_4:
	s_load_b64 s[8:9], s[0:1], 0x28
	s_lshl_b64 s[4:5], s[30:31], 2
	s_waitcnt lgkmcnt(0)
	s_add_u32 s8, s8, s4
	s_addc_u32 s9, s9, s5
	s_lshl_b32 s12, s14, 8
	s_load_b32 s17, s[8:9], 0x0
	s_waitcnt lgkmcnt(0)
	s_cmp_ge_i32 s12, s17
	s_cbranch_scc1 .LBB737_2
; %bb.5:
	s_and_not1_b32 vcc_lo, exec_lo, s6
	s_cbranch_vccnz .LBB737_7
; %bb.6:
	s_add_u32 s2, s2, s4
	s_addc_u32 s3, s3, s5
	s_load_b32 s13, s[2:3], 0x0
	s_branch .LBB737_8
.LBB737_7:
	s_mov_b32 s13, s30
.LBB737_8:
	s_clause 0x2
	s_load_b128 s[8:11], s[0:1], 0x8
	s_load_b64 s[2:3], s[0:1], 0x20
	s_load_b128 s[4:7], s[0:1], 0x48
	v_and_b32_e32 v74, 15, v0
	s_waitcnt lgkmcnt(0)
	s_mov_b32 s7, exec_lo
	s_delay_alu instid0(VALU_DEP_1)
	v_lshlrev_b32_e32 v1, 3, v74
	v_cmpx_lt_u32_e32 0x7f, v0
	s_xor_b32 s7, exec_lo, s7
; %bb.9:
	v_mov_b32_e32 v2, 0
; %bb.10:
	s_or_saveexec_b32 s7, s7
	v_lshrrev_b32_e32 v73, 5, v0
	v_and_b32_e32 v75, 31, v0
	v_and_b32_e32 v84, 1, v0
	v_bfe_u32 v83, v0, 4, 1
	s_lshl_b32 s29, s15, 3
	s_xor_b32 exec_lo, exec_lo, s7
	s_cbranch_execz .LBB737_12
; %bb.11:
	s_delay_alu instid0(VALU_DEP_1)
	v_lshl_or_b32 v7, v73, 1, v83
	s_load_b64 s[18:19], s[0:1], 0x0
	s_mul_hi_i32 s21, s13, s4
	s_mul_i32 s20, s13, s4
	v_lshlrev_b32_e32 v4, 1, v1
	v_or_b32_e32 v2, s29, v7
	s_lshl_b64 s[20:21], s[20:21], 1
	v_lshlrev_b32_e32 v7, 6, v7
	v_lshlrev_b32_e32 v8, 10, v84
	s_delay_alu instid0(VALU_DEP_3) | instskip(NEXT) | instid1(VALU_DEP_1)
	v_lshlrev_b32_e32 v2, 7, v2
	v_ashrrev_i32_e32 v3, 31, v2
	s_delay_alu instid0(VALU_DEP_1) | instskip(SKIP_3) | instid1(VALU_DEP_1)
	v_lshlrev_b64 v[2:3], 1, v[2:3]
	s_waitcnt lgkmcnt(0)
	s_add_u32 s4, s18, s20
	s_addc_u32 s13, s19, s21
	v_add_co_u32 v2, vcc_lo, s4, v2
	s_delay_alu instid0(VALU_DEP_2) | instskip(NEXT) | instid1(VALU_DEP_2)
	v_add_co_ci_u32_e32 v3, vcc_lo, s13, v3, vcc_lo
	v_add_co_u32 v2, vcc_lo, v2, v4
	s_delay_alu instid0(VALU_DEP_2) | instskip(SKIP_2) | instid1(VALU_DEP_1)
	v_add_co_ci_u32_e32 v3, vcc_lo, 0, v3, vcc_lo
	global_load_b128 v[3:6], v[2:3], off
	v_lshlrev_b32_e32 v2, 10, v74
	v_and_b32_e32 v2, 0x3800, v2
	s_delay_alu instid0(VALU_DEP_1)
	v_or3_b32 v7, v2, v8, v7
	v_mov_b32_e32 v2, 0
	s_waitcnt vmcnt(0)
	ds_store_b128 v7, v[3:6]
.LBB737_12:
	s_or_b32 exec_lo, exec_lo, s7
	v_and_b32_e32 v3, 0xef, v0
	s_add_i32 s4, s17, 31
	s_clause 0x1
	s_load_b32 s7, s[0:1], 0x38
	s_load_b32 s18, s[0:1], 0x1c
	s_ashr_i32 s13, s4, 31
	v_add_nc_u32_e32 v3, s12, v3
	s_lshr_b32 s13, s13, 27
	s_waitcnt lgkmcnt(0)
	s_add_i32 s4, s4, s13
	s_barrier
	v_ashrrev_i32_e32 v4, 31, v3
	v_cmp_gt_i32_e32 vcc_lo, s17, v3
	s_ashr_i32 s4, s4, 5
	buffer_gl0_inv
	s_add_i32 s4, s4, -1
	v_lshrrev_b32_e32 v5, 27, v4
	v_or_b32_e32 v4, 16, v3
	v_lshlrev_b64 v[81:82], 1, v[1:2]
	v_and_b32_e32 v80, 7, v0
	s_delay_alu instid0(VALU_DEP_4) | instskip(NEXT) | instid1(VALU_DEP_4)
	v_add_nc_u32_e32 v6, v3, v5
	v_add_nc_u32_e32 v5, v4, v5
	s_mul_i32 s20, s30, s7
	s_delay_alu instid0(VALU_DEP_3) | instskip(SKIP_4) | instid1(SALU_CYCLE_1)
	v_lshlrev_b32_e32 v80, 6, v80
	s_ashr_i32 s21, s20, 31
	v_ashrrev_i32_e32 v6, 5, v6
	v_ashrrev_i32_e32 v5, 5, v5
	s_lshl_b64 s[20:21], s[20:21], 2
	s_add_u32 s7, s2, s20
	s_delay_alu instid0(VALU_DEP_2) | instskip(SKIP_3) | instid1(VALU_DEP_2)
	v_cndmask_b32_e32 v3, s4, v6, vcc_lo
	v_cmp_gt_i32_e32 vcc_lo, s17, v4
	s_addc_u32 s13, s3, s21
	s_mul_i32 s2, s15, s6
	v_ashrrev_i32_e32 v4, 31, v3
	v_cndmask_b32_e32 v5, s4, v5, vcc_lo
	s_ashr_i32 s3, s2, 31
	s_delay_alu instid0(SALU_CYCLE_1) | instskip(NEXT) | instid1(VALU_DEP_2)
	s_lshl_b64 s[2:3], s[2:3], 1
	v_lshlrev_b64 v[3:4], 2, v[3:4]
	s_delay_alu instid0(VALU_DEP_2) | instskip(SKIP_3) | instid1(VALU_DEP_1)
	v_ashrrev_i32_e32 v6, 31, v5
	s_add_u32 s6, s8, s2
	s_addc_u32 s15, s9, s3
	s_lshl_b32 s8, s14, 3
	v_lshlrev_b64 v[5:6], 2, v[5:6]
	v_add_co_u32 v3, vcc_lo, s7, v3
	v_add_co_ci_u32_e32 v4, vcc_lo, s13, v4, vcc_lo
	s_ashr_i32 s9, s8, 31
	s_delay_alu instid0(VALU_DEP_3) | instskip(NEXT) | instid1(VALU_DEP_4)
	v_add_co_u32 v5, vcc_lo, s7, v5
	v_add_co_ci_u32_e32 v6, vcc_lo, s13, v6, vcc_lo
	s_lshl_b64 s[8:9], s[8:9], 2
	s_clause 0x1
	global_load_b32 v7, v[3:4], off
	global_load_b32 v8, v[5:6], off
	s_add_u32 s8, s7, s8
	s_addc_u32 s9, s13, s9
	s_or_b32 s16, s12, 32
	s_delay_alu instid0(SALU_CYCLE_1) | instskip(SKIP_2) | instid1(SALU_CYCLE_1)
	s_ashr_i32 s19, s16, 5
	s_cmp_lt_i32 s16, s17
	s_cselect_b32 s20, s19, s4
	s_ashr_i32 s21, s20, 31
	s_delay_alu instid0(SALU_CYCLE_1) | instskip(NEXT) | instid1(SALU_CYCLE_1)
	s_lshl_b64 s[20:21], s[20:21], 2
	s_add_u32 s20, s7, s20
	s_addc_u32 s21, s13, s21
	s_or_b32 s16, s12, 64
	s_delay_alu instid0(SALU_CYCLE_1) | instskip(SKIP_2) | instid1(SALU_CYCLE_1)
	s_ashr_i32 s19, s16, 5
	s_cmp_lt_i32 s16, s17
	s_cselect_b32 s22, s19, s4
	s_ashr_i32 s23, s22, 31
	s_delay_alu instid0(SALU_CYCLE_1) | instskip(NEXT) | instid1(SALU_CYCLE_1)
	s_lshl_b64 s[22:23], s[22:23], 2
	;; [unrolled: 10-line block ×5, first 2 shown]
	s_add_u32 s34, s7, s34
	s_addc_u32 s35, s13, s35
	s_clause 0x5
	s_load_b32 s16, s[8:9], 0x0
	s_load_b32 s19, s[20:21], 0x0
	;; [unrolled: 1-line block ×6, first 2 shown]
	s_mov_b32 s20, 0
	s_delay_alu instid0(SALU_CYCLE_1)
	s_mov_b32 s27, s20
	s_mov_b32 s21, s20
	;; [unrolled: 1-line block ×7, first 2 shown]
	s_delay_alu instid0(SALU_CYCLE_1)
	v_dual_mov_b32 v108, s27 :: v_dual_mov_b32 v107, s26
	v_dual_mov_b32 v106, s25 :: v_dual_mov_b32 v105, s24
	v_mov_b32_e32 v102, s21
	v_dual_mov_b32 v104, s23 :: v_dual_mov_b32 v103, s22
	v_mov_b32_e32 v101, s20
	s_waitcnt lgkmcnt(0)
	s_mul_hi_i32 s21, s16, s5
	s_mul_i32 s20, s16, s5
	s_mul_hi_i32 s23, s19, s5
	s_mul_i32 s22, s19, s5
	;; [unrolled: 2-line block ×5, first 2 shown]
	s_waitcnt vmcnt(1)
	v_mad_i64_i32 v[3:4], null, v7, s5, 0
	s_waitcnt vmcnt(0)
	v_mad_i64_i32 v[5:6], null, v8, s5, 0
	s_delay_alu instid0(VALU_DEP_2) | instskip(NEXT) | instid1(VALU_DEP_2)
	v_lshlrev_b64 v[3:4], 1, v[3:4]
	v_lshlrev_b64 v[1:2], 1, v[5:6]
	s_delay_alu instid0(VALU_DEP_2) | instskip(NEXT) | instid1(VALU_DEP_3)
	v_add_co_u32 v3, vcc_lo, s6, v3
	v_add_co_ci_u32_e32 v4, vcc_lo, s15, v4, vcc_lo
	s_delay_alu instid0(VALU_DEP_3) | instskip(NEXT) | instid1(VALU_DEP_4)
	v_add_co_u32 v1, vcc_lo, s6, v1
	v_add_co_ci_u32_e32 v2, vcc_lo, s15, v2, vcc_lo
	s_delay_alu instid0(VALU_DEP_4) | instskip(NEXT) | instid1(VALU_DEP_4)
	v_add_co_u32 v65, vcc_lo, v3, v81
	v_add_co_ci_u32_e32 v66, vcc_lo, v4, v82, vcc_lo
	s_delay_alu instid0(VALU_DEP_4) | instskip(NEXT) | instid1(VALU_DEP_4)
	v_add_co_u32 v76, vcc_lo, v1, v81
	v_add_co_ci_u32_e32 v77, vcc_lo, v2, v82, vcc_lo
	s_clause 0xf
	global_load_b128 v[1:4], v[65:66], off
	global_load_b128 v[5:8], v[65:66], off offset:512
	global_load_b128 v[9:12], v[76:77], off offset:256
	;; [unrolled: 1-line block ×15, first 2 shown]
	v_add_co_u32 v78, vcc_lo, 0x1000, v65
	v_add_co_ci_u32_e32 v79, vcc_lo, 0, v66, vcc_lo
	v_add_co_u32 v76, vcc_lo, 0x1000, v76
	s_clause 0x1
	global_load_b128 v[65:68], v[78:79], off
	global_load_b128 v[69:72], v[78:79], off offset:512
	v_add_co_ci_u32_e32 v77, vcc_lo, 0, v77, vcc_lo
	ds_load_b128 v[85:88], v80
	ds_load_b128 v[89:92], v80 offset:1024
	s_clause 0x1
	global_load_b128 v[93:96], v[76:77], off offset:256
	global_load_b128 v[97:100], v[76:77], off offset:768
	ds_load_b128 v[109:112], v80 offset:2048
	ds_load_b128 v[113:116], v80 offset:3072
	s_or_b32 s6, s12, 0xc0
	s_delay_alu instid0(SALU_CYCLE_1) | instskip(SKIP_2) | instid1(SALU_CYCLE_1)
	s_ashr_i32 s8, s6, 5
	s_cmp_lt_i32 s6, s17
	s_cselect_b32 s8, s8, s4
	s_ashr_i32 s9, s8, 31
	s_delay_alu instid0(SALU_CYCLE_1) | instskip(NEXT) | instid1(SALU_CYCLE_1)
	s_lshl_b64 s[8:9], s[8:9], 2
	s_add_u32 s8, s7, s8
	s_addc_u32 s9, s13, s9
	s_or_b32 s6, s12, 0xe0
	s_delay_alu instid0(SALU_CYCLE_1) | instskip(SKIP_2) | instid1(SALU_CYCLE_1)
	s_ashr_i32 s15, s6, 5
	s_cmp_lt_i32 s6, s17
	s_cselect_b32 s24, s15, s4
	s_ashr_i32 s25, s24, 31
	s_delay_alu instid0(SALU_CYCLE_1) | instskip(NEXT) | instid1(SALU_CYCLE_1)
	s_lshl_b64 s[24:25], s[24:25], 2
	s_add_u32 s24, s7, s24
	s_addc_u32 s25, s13, s25
	s_add_i32 s6, s12, 0x100
	s_delay_alu instid0(SALU_CYCLE_1) | instskip(SKIP_2) | instid1(SALU_CYCLE_1)
	s_ashr_i32 s15, s6, 5
	s_cmp_lt_i32 s6, s17
	s_cselect_b32 s36, s15, s4
	s_ashr_i32 s37, s36, 31
	s_delay_alu instid0(SALU_CYCLE_1) | instskip(NEXT) | instid1(SALU_CYCLE_1)
	s_lshl_b64 s[36:37], s[36:37], 2
	s_add_u32 s6, s7, s36
	s_addc_u32 s7, s13, s37
	s_add_u32 s4, s10, s2
	s_addc_u32 s19, s11, s3
	s_lshl_b64 s[2:3], s[20:21], 1
	s_lshl_b64 s[10:11], s[26:27], 1
	;; [unrolled: 1-line block ×3, first 2 shown]
	s_waitcnt vmcnt(18) lgkmcnt(2)
	v_wmma_f32_16x16x16_bf16 v[117:124], v[1:8], v[85:92], v[101:108]
	s_waitcnt vmcnt(16)
	v_wmma_f32_16x16x16_bf16 v[101:108], v[9:16], v[85:92], v[101:108]
	s_clause 0x3
	global_load_b128 v[1:4], v[78:79], off offset:1024
	global_load_b128 v[5:8], v[78:79], off offset:1536
	;; [unrolled: 1-line block ×4, first 2 shown]
	s_waitcnt vmcnt(18) lgkmcnt(0)
	v_wmma_f32_16x16x16_bf16 v[117:124], v[17:24], v[109:116], v[117:124]
	s_clause 0x1
	global_load_b128 v[17:20], v[78:79], off offset:2048
	global_load_b128 v[21:24], v[78:79], off offset:2560
	s_waitcnt vmcnt(18)
	v_wmma_f32_16x16x16_bf16 v[101:108], v[25:32], v[109:116], v[101:108]
	ds_load_b128 v[25:28], v80 offset:4096
	ds_load_b128 v[29:32], v80 offset:5120
	s_clause 0x5
	global_load_b128 v[109:112], v[76:77], off offset:2304
	global_load_b128 v[113:116], v[76:77], off offset:2816
	;; [unrolled: 1-line block ×6, first 2 shown]
	s_waitcnt vmcnt(22) lgkmcnt(0)
	v_wmma_f32_16x16x16_bf16 v[117:124], v[33:40], v[25:32], v[117:124]
	s_waitcnt vmcnt(20)
	v_wmma_f32_16x16x16_bf16 v[101:108], v[41:48], v[25:32], v[101:108]
	ds_load_b128 v[25:28], v80 offset:6144
	ds_load_b128 v[29:32], v80 offset:7168
	;; [unrolled: 1-line block ×4, first 2 shown]
	s_waitcnt vmcnt(18) lgkmcnt(2)
	v_wmma_f32_16x16x16_bf16 v[117:124], v[49:56], v[25:32], v[117:124]
	s_waitcnt vmcnt(16)
	v_wmma_f32_16x16x16_bf16 v[101:108], v[57:64], v[25:32], v[101:108]
	ds_load_b128 v[25:28], v80 offset:10240
	ds_load_b128 v[29:32], v80 offset:11264
	;; [unrolled: 1-line block ×6, first 2 shown]
	s_waitcnt vmcnt(14) lgkmcnt(6)
	v_wmma_f32_16x16x16_bf16 v[117:124], v[65:72], v[33:40], v[117:124]
	s_waitcnt vmcnt(12)
	v_wmma_f32_16x16x16_bf16 v[101:108], v[93:100], v[33:40], v[101:108]
	s_clause 0x2
	s_load_b32 s16, s[8:9], 0x0
	s_load_b32 s13, s[24:25], 0x0
	;; [unrolled: 1-line block ×3, first 2 shown]
	s_lshl_b64 s[6:7], s[22:23], 1
	s_mul_hi_i32 s9, s33, s5
	s_mul_i32 s8, s33, s5
	s_lshl_b64 s[22:23], s[38:39], 1
	s_lshl_b64 s[8:9], s[8:9], 1
	s_waitcnt lgkmcnt(0)
	s_mul_hi_i32 s25, s16, s5
	s_mul_i32 s24, s16, s5
	s_waitcnt vmcnt(10)
	v_wmma_f32_16x16x16_bf16 v[117:124], v[1:8], v[25:32], v[117:124]
	s_waitcnt vmcnt(8)
	v_wmma_f32_16x16x16_bf16 v[101:108], v[9:16], v[25:32], v[101:108]
	s_waitcnt vmcnt(6)
	s_delay_alu instid0(VALU_DEP_2) | instskip(SKIP_1) | instid1(VALU_DEP_2)
	v_wmma_f32_16x16x16_bf16 v[117:124], v[17:24], v[141:148], v[117:124]
	s_waitcnt vmcnt(4)
	v_wmma_f32_16x16x16_bf16 v[101:108], v[109:116], v[141:148], v[101:108]
	s_waitcnt vmcnt(2)
	s_delay_alu instid0(VALU_DEP_2) | instskip(SKIP_3) | instid1(VALU_DEP_3)
	v_wmma_f32_16x16x16_bf16 v[117:124], v[125:132], v[149:156], v[117:124]
	v_lshlrev_b32_e32 v85, 6, v74
	s_waitcnt vmcnt(0)
	v_wmma_f32_16x16x16_bf16 v[101:108], v[133:140], v[149:156], v[101:108]
	v_mul_f32_e32 v100, s18, v124
	s_delay_alu instid0(VALU_DEP_3) | instskip(SKIP_2) | instid1(VALU_DEP_3)
	v_lshl_or_b32 v41, v73, 10, v85
	v_mul_f32_e32 v97, s18, v117
	v_mul_f32_e32 v99, s18, v118
	v_add_co_u32 v76, s4, s4, v41
	s_delay_alu instid0(VALU_DEP_1) | instskip(NEXT) | instid1(VALU_DEP_2)
	v_add_co_ci_u32_e64 v77, null, s19, 0, s4
	v_add_co_u32 v41, vcc_lo, v76, s2
	s_delay_alu instid0(VALU_DEP_2)
	v_add_co_ci_u32_e32 v42, vcc_lo, s3, v77, vcc_lo
	v_add_co_u32 v33, vcc_lo, v76, s6
	v_add_co_ci_u32_e32 v34, vcc_lo, s7, v77, vcc_lo
	v_add_co_u32 v35, vcc_lo, v76, s10
	;; [unrolled: 2-line block ×5, first 2 shown]
	s_lshl_b64 s[2:3], s[24:25], 1
	v_add_co_ci_u32_e32 v6, vcc_lo, s23, v77, vcc_lo
	s_mul_hi_i32 s7, s13, s5
	s_mul_i32 s6, s13, s5
	v_add_co_u32 v17, vcc_lo, v76, s2
	v_add_co_ci_u32_e32 v18, vcc_lo, s3, v77, vcc_lo
	s_lshl_b64 s[2:3], s[6:7], 1
	s_mul_hi_i32 s7, s15, s5
	s_mul_i32 s6, s15, s5
	v_add_co_u32 v19, vcc_lo, v76, s2
	v_add_co_ci_u32_e32 v20, vcc_lo, s3, v77, vcc_lo
	s_lshl_b64 s[2:3], s[6:7], 1
	s_clause 0x1
	global_load_b128 v[65:68], v[41:42], off
	global_load_b128 v[69:72], v[41:42], off offset:16
	v_add_co_u32 v21, vcc_lo, v76, s2
	v_add_co_ci_u32_e32 v22, vcc_lo, s3, v77, vcc_lo
	s_clause 0xf
	global_load_b128 v[57:60], v[33:34], off
	global_load_b128 v[61:64], v[33:34], off offset:16
	global_load_b128 v[49:52], v[35:36], off
	global_load_b128 v[53:56], v[35:36], off offset:16
	;; [unrolled: 2-line block ×8, first 2 shown]
	v_and_b32_e32 v76, 0xe0, v0
	v_mbcnt_lo_u32_b32 v77, -1, 0
	s_waitcnt vmcnt(0)
	s_barrier
	buffer_gl0_inv
	v_add_nc_u32_e32 v76, s12, v76
	v_xor_b32_e32 v78, 16, v77
	s_delay_alu instid0(VALU_DEP_2) | instskip(NEXT) | instid1(VALU_DEP_2)
	v_or_b32_e32 v76, v76, v83
	v_cmp_gt_i32_e32 vcc_lo, 32, v78
	s_delay_alu instid0(VALU_DEP_2)
	v_or_b32_e32 v79, 4, v76
	v_cndmask_b32_e32 v77, v77, v78, vcc_lo
	v_or_b32_e32 v78, 2, v76
	v_or_b32_e32 v80, 6, v76
	v_cmp_gt_i32_e32 vcc_lo, s17, v76
	v_or_b32_e32 v86, 8, v76
	v_or_b32_e32 v87, 10, v76
	v_cmp_gt_i32_e64 s2, s17, v78
	v_or_b32_e32 v88, 12, v76
	v_or_b32_e32 v89, 14, v76
	;; [unrolled: 1-line block ×10, first 2 shown]
	v_cndmask_b32_e32 v76, 0xff7fffff, v97, vcc_lo
	v_cndmask_b32_e64 v78, 0xff7fffff, v99, s2
	v_mul_f32_e32 v99, s18, v120
	v_cmp_gt_i32_e64 s3, s17, v80
	v_mul_f32_e32 v80, s18, v119
	v_cmp_gt_i32_e64 s4, s17, v79
	v_max3_f32 v76, v76, 0xff7fffff, v78
	v_dual_mul_f32 v78, s18, v121 :: v_dual_mul_f32 v79, s18, v122
	v_cmp_gt_i32_e64 s5, s17, v86
	s_delay_alu instid0(VALU_DEP_4)
	v_cndmask_b32_e64 v80, 0xff7fffff, v80, s4
	v_cmp_gt_i32_e64 s6, s17, v87
	v_mul_f32_e32 v86, s18, v107
	v_cndmask_b32_e64 v99, 0xff7fffff, v99, s3
	v_mul_f32_e32 v97, s18, v123
	v_cndmask_b32_e64 v78, 0xff7fffff, v78, s5
	v_cndmask_b32_e64 v79, 0xff7fffff, v79, s6
	v_cmp_gt_i32_e64 s7, s17, v89
	v_max3_f32 v76, v76, v80, v99
	v_cmp_gt_i32_e64 s8, s17, v88
	v_dual_mul_f32 v99, s18, v105 :: v_dual_mul_f32 v88, s18, v102
	v_mul_f32_e32 v89, s18, v101
	s_delay_alu instid0(VALU_DEP_4)
	v_max3_f32 v76, v76, v78, v79
	v_mul_f32_e32 v78, s18, v104
	v_cndmask_b32_e64 v97, 0xff7fffff, v97, s8
	v_cndmask_b32_e64 v100, 0xff7fffff, v100, s7
	v_cmp_gt_i32_e64 s9, s17, v90
	v_cmp_gt_i32_e64 s10, s17, v91
	v_mul_f32_e32 v79, s18, v103
	v_cmp_gt_i32_e64 s11, s17, v92
	v_max3_f32 v76, v76, v97, v100
	v_cndmask_b32_e64 v89, 0xff7fffff, v89, s9
	v_cndmask_b32_e64 v88, 0xff7fffff, v88, s10
	v_cmp_gt_i32_e64 s12, s17, v93
	v_mul_f32_e32 v87, s18, v106
	v_cndmask_b32_e64 v79, 0xff7fffff, v79, s11
	v_cmp_gt_i32_e64 s13, s17, v94
	v_max3_f32 v76, v76, v89, v88
	v_cndmask_b32_e64 v78, 0xff7fffff, v78, s12
	v_cmp_gt_i32_e64 s15, s17, v95
	v_mul_f32_e32 v80, s18, v108
	v_cndmask_b32_e64 v88, 0xff7fffff, v99, s13
	v_cmp_gt_i32_e64 s16, s17, v96
	v_max3_f32 v76, v76, v79, v78
	v_cndmask_b32_e64 v87, 0xff7fffff, v87, s15
	v_cmp_gt_i32_e64 s17, s17, v98
	v_lshlrev_b32_e32 v99, 2, v77
	v_cndmask_b32_e64 v78, 0xff7fffff, v86, s16
	s_delay_alu instid0(VALU_DEP_4) | instskip(NEXT) | instid1(VALU_DEP_4)
	v_max3_f32 v76, v76, v88, v87
	v_cndmask_b32_e64 v79, 0xff7fffff, v80, s17
	s_delay_alu instid0(VALU_DEP_1) | instskip(SKIP_3) | instid1(VALU_DEP_1)
	v_max3_f32 v76, v76, v78, v79
	ds_bpermute_b32 v77, v99, v76
	s_waitcnt lgkmcnt(0)
	v_max_f32_e32 v77, v77, v77
	v_max_f32_e32 v89, v76, v77
	s_delay_alu instid0(VALU_DEP_1) | instskip(SKIP_4) | instid1(VALU_DEP_4)
	v_fma_f32 v76, s18, v117, -v89
	v_fma_f32 v77, s18, v118, -v89
	;; [unrolled: 1-line block ×5, first 2 shown]
	v_dual_mul_f32 v76, 0x3fb8aa3b, v76 :: v_dual_mul_f32 v77, 0x3fb8aa3b, v77
	s_delay_alu instid0(VALU_DEP_4) | instskip(NEXT) | instid1(VALU_DEP_3)
	v_mul_f32_e32 v78, 0x3fb8aa3b, v78
	v_mul_f32_e32 v80, 0x3fb8aa3b, v80
	s_delay_alu instid0(VALU_DEP_3) | instskip(NEXT) | instid1(VALU_DEP_3)
	v_exp_f32_e32 v76, v76
	v_exp_f32_e32 v77, v77
	s_delay_alu instid0(VALU_DEP_2) | instskip(NEXT) | instid1(VALU_DEP_1)
	v_exp_f32_e32 v78, v78
	v_exp_f32_e32 v80, v80
	v_cndmask_b32_e32 v91, 0, v76, vcc_lo
	v_fma_f32 v76, s18, v122, -v89
	s_delay_alu instid0(TRANS32_DEP_3)
	v_cndmask_b32_e64 v90, 0, v77, s2
	s_waitcnt_depctr 0xfff
	v_cndmask_b32_e64 v92, 0, v78, s4
	v_cndmask_b32_e64 v95, 0, v80, s5
	v_dual_add_f32 v77, 0, v91 :: v_dual_mul_f32 v76, 0x3fb8aa3b, v76
	s_mov_b32 s2, exec_lo
	s_delay_alu instid0(VALU_DEP_1) | instskip(NEXT) | instid1(VALU_DEP_2)
	v_add_f32_e32 v77, v77, v90
	v_exp_f32_e32 v76, v76
	s_delay_alu instid0(VALU_DEP_1) | instskip(SKIP_3) | instid1(VALU_DEP_1)
	v_add_f32_e32 v77, v77, v92
	s_waitcnt_depctr 0xfff
	v_cndmask_b32_e64 v96, 0, v76, s6
	v_mul_f32_e32 v79, 0x3fb8aa3b, v79
	v_exp_f32_e32 v79, v79
	s_waitcnt_depctr 0xfff
	v_cndmask_b32_e64 v94, 0, v79, s3
	s_delay_alu instid0(VALU_DEP_1) | instskip(NEXT) | instid1(VALU_DEP_1)
	v_add_f32_e32 v77, v77, v94
	v_add_f32_e32 v76, v77, v95
	v_fma_f32 v80, s18, v102, -v89
	v_fma_f32 v86, s18, v123, -v89
	;; [unrolled: 1-line block ×5, first 2 shown]
	v_mul_f32_e32 v80, 0x3fb8aa3b, v80
	v_mul_f32_e32 v86, 0x3fb8aa3b, v86
	;; [unrolled: 1-line block ×3, first 2 shown]
	v_fma_f32 v98, s18, v107, -v89
	v_mul_f32_e32 v77, 0x3fb8aa3b, v77
	v_exp_f32_e32 v80, v80
	v_exp_f32_e32 v86, v86
	;; [unrolled: 1-line block ×3, first 2 shown]
	v_add_f32_e32 v76, v76, v96
	v_exp_f32_e32 v88, v77
	v_fma_f32 v87, s18, v105, -v89
	v_fma_f32 v100, s18, v108, -v89
	v_cndmask_b32_e64 v77, 0, v80, s10
	v_mul_f32_e32 v79, 0x3fb8aa3b, v79
	s_delay_alu instid0(TRANS32_DEP_3) | instskip(SKIP_1) | instid1(TRANS32_DEP_2)
	v_cndmask_b32_e64 v93, 0, v86, s8
	v_fma_f32 v86, s18, v104, -v89
	v_cndmask_b32_e64 v97, 0, v78, s7
	v_mul_f32_e32 v100, 0x3fb8aa3b, v100
	v_exp_f32_e32 v79, v79
	v_add_f32_e32 v78, v76, v93
	v_mul_f32_e32 v86, 0x3fb8aa3b, v86
	s_delay_alu instid0(VALU_DEP_3) | instskip(NEXT) | instid1(VALU_DEP_2)
	v_exp_f32_e32 v100, v100
	v_add_f32_e32 v78, v78, v97
	s_delay_alu instid0(VALU_DEP_2) | instskip(NEXT) | instid1(TRANS32_DEP_3)
	v_exp_f32_e32 v86, v86
	v_cndmask_b32_e64 v76, 0, v79, s9
	v_fma_f32 v79, s18, v106, -v89
	s_delay_alu instid0(VALU_DEP_1) | instskip(SKIP_2) | instid1(VALU_DEP_3)
	v_dual_add_f32 v80, v78, v76 :: v_dual_mul_f32 v79, 0x3fb8aa3b, v79
	v_cndmask_b32_e64 v78, 0, v88, s11
	v_mul_f32_e32 v88, 0x3fb8aa3b, v98
	v_dual_add_f32 v80, v80, v77 :: v_dual_mul_f32 v87, 0x3fb8aa3b, v87
	s_delay_alu instid0(VALU_DEP_4) | instskip(NEXT) | instid1(TRANS32_DEP_2)
	v_exp_f32_e32 v98, v79
	v_cndmask_b32_e64 v79, 0, v86, s12
	s_delay_alu instid0(VALU_DEP_3) | instskip(NEXT) | instid1(VALU_DEP_2)
	v_exp_f32_e32 v88, v88
	v_add_f32_e32 v86, v80, v78
	v_exp_f32_e32 v87, v87
	s_waitcnt_depctr 0xfff
	v_cndmask_b32_e64 v80, 0, v87, s13
	v_add_f32_e32 v87, v86, v79
	v_cndmask_b32_e64 v86, 0, v98, s15
	s_delay_alu instid0(VALU_DEP_2) | instskip(SKIP_1) | instid1(VALU_DEP_2)
	v_add_f32_e32 v98, v87, v80
	v_cndmask_b32_e64 v87, 0, v88, s16
	v_add_f32_e32 v88, v98, v86
	s_delay_alu instid0(VALU_DEP_1) | instskip(SKIP_1) | instid1(VALU_DEP_1)
	v_add_f32_e32 v98, v88, v87
	v_cndmask_b32_e64 v88, 0, v100, s17
	v_add_f32_e32 v98, v98, v88
	ds_bpermute_b32 v99, v99, v98
	v_cmpx_gt_u32_e32 16, v75
	s_cbranch_execz .LBB737_14
; %bb.13:
	v_mul_u32_u24_e32 v75, 0x44, v73
	s_waitcnt lgkmcnt(0)
	v_add_f32_e32 v98, v98, v99
	s_delay_alu instid0(VALU_DEP_2) | instskip(NEXT) | instid1(VALU_DEP_1)
	v_lshl_add_u32 v75, v74, 2, v75
	v_add_nc_u32_e32 v75, 0x4000, v75
	ds_store_2addr_b32 v75, v89, v98 offset1:136
.LBB737_14:
	s_or_b32 exec_lo, exec_lo, s2
	v_lshlrev_b32_e32 v74, 2, v74
	s_waitcnt lgkmcnt(0)
	s_barrier
	buffer_gl0_inv
	v_cmp_eq_u32_e64 s2, 1, v73
	v_add_nc_u32_e32 v89, 0x4000, v74
	ds_load_2addr_b32 v[98:99], v89 offset1:17
	ds_load_2addr_b32 v[100:101], v89 offset0:34 offset1:51
	ds_load_2addr_b32 v[102:103], v89 offset0:68 offset1:85
	;; [unrolled: 1-line block ×4, first 2 shown]
	s_waitcnt lgkmcnt(4)
	v_max3_f32 v74, v98, 0xff7fffff, v99
	s_waitcnt lgkmcnt(3)
	s_delay_alu instid0(VALU_DEP_1) | instskip(SKIP_1) | instid1(VALU_DEP_1)
	v_max3_f32 v74, v74, v100, v101
	s_waitcnt lgkmcnt(2)
	v_max3_f32 v74, v74, v102, v103
	s_waitcnt lgkmcnt(1)
	s_delay_alu instid0(VALU_DEP_1) | instskip(NEXT) | instid1(VALU_DEP_1)
	v_max3_f32 v74, v74, v104, v105
	v_sub_f32_e32 v108, v99, v74
	v_sub_f32_e32 v75, v98, v74
	ds_load_2addr_b32 v[98:99], v89 offset0:170 offset1:187
	v_sub_f32_e32 v100, v100, v74
	v_dual_mul_f32 v108, 0x3fb8aa3b, v108 :: v_dual_mul_f32 v75, 0x3fb8aa3b, v75
	s_delay_alu instid0(VALU_DEP_2) | instskip(NEXT) | instid1(VALU_DEP_2)
	v_mul_f32_e32 v110, 0x3fb8aa3b, v100
	v_exp_f32_e32 v108, v108
	s_delay_alu instid0(VALU_DEP_2)
	v_exp_f32_e32 v109, v75
	v_sub_f32_e32 v75, v101, v74
	ds_load_2addr_b32 v[100:101], v89 offset0:204 offset1:221
	v_exp_f32_e32 v110, v110
	v_mul_f32_e32 v111, 0x3fb8aa3b, v75
	s_waitcnt lgkmcnt(2)
	v_fma_f32 v75, v109, v106, 0
	v_sub_f32_e32 v102, v102, v74
	s_delay_alu instid0(VALU_DEP_3) | instskip(NEXT) | instid1(VALU_DEP_2)
	v_exp_f32_e32 v111, v111
	v_dual_sub_f32 v106, v103, v74 :: v_dual_fmac_f32 v75, v108, v107
	s_waitcnt lgkmcnt(1)
	s_waitcnt_depctr 0xfff
	v_fmac_f32_e32 v75, v110, v98
	v_mul_f32_e32 v112, 0x3fb8aa3b, v102
	ds_load_2addr_b32 v[102:103], v89 offset0:238 offset1:255
	v_sub_f32_e32 v89, v104, v74
	v_dual_sub_f32 v98, v105, v74 :: v_dual_fmac_f32 v75, v111, v99
	v_mul_f32_e32 v104, 0x3fb8aa3b, v106
	v_exp_f32_e32 v106, v112
	s_delay_alu instid0(VALU_DEP_2)
	v_dual_mul_f32 v89, 0x3fb8aa3b, v89 :: v_dual_mul_f32 v98, 0x3fb8aa3b, v98
	s_waitcnt lgkmcnt(0)
	s_barrier
	buffer_gl0_inv
	v_exp_f32_e32 v89, v89
	v_exp_f32_e32 v98, v98
	v_fmac_f32_e32 v75, v106, v100
	v_exp_f32_e32 v104, v104
	s_waitcnt_depctr 0xfff
	v_fmac_f32_e32 v75, v104, v101
	s_delay_alu instid0(VALU_DEP_1) | instskip(NEXT) | instid1(VALU_DEP_1)
	v_fmac_f32_e32 v75, v89, v102
	v_fmac_f32_e32 v75, v98, v103
	s_delay_alu instid0(VALU_DEP_1) | instskip(NEXT) | instid1(VALU_DEP_1)
	v_add_f32_e32 v99, 0x358637bd, v75
	v_div_scale_f32 v100, null, v99, v99, 1.0
	v_div_scale_f32 v103, vcc_lo, 1.0, v99, 1.0
	s_delay_alu instid0(VALU_DEP_2) | instskip(SKIP_2) | instid1(VALU_DEP_1)
	v_rcp_f32_e32 v101, v100
	s_waitcnt_depctr 0xfff
	v_fma_f32 v102, -v100, v101, 1.0
	v_fmac_f32_e32 v101, v102, v101
	v_cndmask_b32_e64 v102, v109, v108, s2
	v_cmp_eq_u32_e64 s2, 2, v73
	s_delay_alu instid0(VALU_DEP_3) | instskip(NEXT) | instid1(VALU_DEP_2)
	v_mul_f32_e32 v105, v103, v101
	v_cndmask_b32_e64 v102, v102, v110, s2
	v_cmp_eq_u32_e64 s2, 3, v73
	s_delay_alu instid0(VALU_DEP_3) | instskip(NEXT) | instid1(VALU_DEP_2)
	v_fma_f32 v107, -v100, v105, v103
	v_cndmask_b32_e64 v102, v102, v111, s2
	v_cmp_eq_u32_e64 s2, 4, v73
	s_delay_alu instid0(VALU_DEP_3) | instskip(NEXT) | instid1(VALU_DEP_2)
	v_fmac_f32_e32 v105, v107, v101
	v_cndmask_b32_e64 v102, v102, v106, s2
	s_delay_alu instid0(VALU_DEP_2) | instskip(SKIP_1) | instid1(VALU_DEP_2)
	v_fma_f32 v100, -v100, v105, v103
	v_cmp_eq_u32_e64 s2, 5, v73
	v_div_fmas_f32 v100, v100, v101, v105
	s_delay_alu instid0(VALU_DEP_2) | instskip(SKIP_2) | instid1(VALU_DEP_3)
	v_cndmask_b32_e64 v102, v102, v104, s2
	v_cmp_eq_u32_e32 vcc_lo, 6, v73
	s_mov_b32 s2, exec_lo
	v_div_fixup_f32 v99, v100, v99, 1.0
	s_delay_alu instid0(VALU_DEP_3) | instskip(SKIP_1) | instid1(VALU_DEP_2)
	v_cndmask_b32_e32 v89, v102, v89, vcc_lo
	v_cmp_eq_u32_e32 vcc_lo, 7, v73
	v_cndmask_b32_e32 v89, v89, v98, vcc_lo
	s_delay_alu instid0(VALU_DEP_1) | instskip(NEXT) | instid1(VALU_DEP_1)
	v_mul_f32_e32 v89, v89, v99
	v_mul_f32_e32 v99, v89, v91
	;; [unrolled: 1-line block ×6, first 2 shown]
	v_and_b32_e32 v100, 0x7f800000, v99
	v_mul_f32_e32 v98, v89, v94
	v_mul_f32_e32 v94, v89, v90
	;; [unrolled: 1-line block ×3, first 2 shown]
                                        ; implicit-def: $vgpr90
	s_delay_alu instid0(VALU_DEP_4)
	v_cmpx_ne_u32_e32 0x7f800000, v100
	s_xor_b32 s2, exec_lo, s2
; %bb.15:
	v_bfe_u32 v90, v99, 16, 1
	s_delay_alu instid0(VALU_DEP_1)
	v_add3_u32 v90, v99, v90, 0x7fff
                                        ; implicit-def: $vgpr99
; %bb.16:
	s_and_not1_saveexec_b32 s2, s2
; %bb.17:
	v_and_b32_e32 v90, 0xffff, v99
	v_or_b32_e32 v92, 0x10000, v99
	s_delay_alu instid0(VALU_DEP_2) | instskip(NEXT) | instid1(VALU_DEP_2)
	v_cmp_eq_u32_e32 vcc_lo, 0, v90
	v_cndmask_b32_e32 v90, v92, v99, vcc_lo
; %bb.18:
	s_or_b32 exec_lo, exec_lo, s2
	v_and_b32_e32 v92, 0x7f800000, v94
	s_delay_alu instid0(VALU_DEP_1) | instskip(SKIP_1) | instid1(SALU_CYCLE_1)
	v_cmp_ne_u32_e32 vcc_lo, 0x7f800000, v92
                                        ; implicit-def: $vgpr92
	s_and_saveexec_b32 s2, vcc_lo
	s_xor_b32 s2, exec_lo, s2
; %bb.19:
	v_bfe_u32 v92, v94, 16, 1
	s_delay_alu instid0(VALU_DEP_1)
	v_add3_u32 v92, v94, v92, 0x7fff
                                        ; implicit-def: $vgpr94
; %bb.20:
	s_and_not1_saveexec_b32 s2, s2
; %bb.21:
	v_and_b32_e32 v92, 0xffff, v94
	v_or_b32_e32 v99, 0x10000, v94
	s_delay_alu instid0(VALU_DEP_2) | instskip(NEXT) | instid1(VALU_DEP_2)
	v_cmp_eq_u32_e32 vcc_lo, 0, v92
	v_cndmask_b32_e32 v92, v99, v94, vcc_lo
; %bb.22:
	s_or_b32 exec_lo, exec_lo, s2
	v_and_b32_e32 v94, 0x7f800000, v95
	s_delay_alu instid0(VALU_DEP_1) | instskip(SKIP_1) | instid1(SALU_CYCLE_1)
	v_cmp_ne_u32_e32 vcc_lo, 0x7f800000, v94
                                        ; implicit-def: $vgpr94
	s_and_saveexec_b32 s2, vcc_lo
	s_xor_b32 s2, exec_lo, s2
; %bb.23:
	v_bfe_u32 v94, v95, 16, 1
	s_delay_alu instid0(VALU_DEP_1)
	v_add3_u32 v94, v95, v94, 0x7fff
                                        ; implicit-def: $vgpr95
; %bb.24:
	s_and_not1_saveexec_b32 s2, s2
; %bb.25:
	v_and_b32_e32 v94, 0xffff, v95
	v_or_b32_e32 v99, 0x10000, v95
	s_delay_alu instid0(VALU_DEP_2) | instskip(NEXT) | instid1(VALU_DEP_2)
	v_cmp_eq_u32_e32 vcc_lo, 0, v94
	v_cndmask_b32_e32 v94, v99, v95, vcc_lo
; %bb.26:
	s_or_b32 exec_lo, exec_lo, s2
	v_and_b32_e32 v95, 0x7f800000, v98
	s_delay_alu instid0(VALU_DEP_1) | instskip(SKIP_1) | instid1(SALU_CYCLE_1)
	v_cmp_ne_u32_e32 vcc_lo, 0x7f800000, v95
                                        ; implicit-def: $vgpr95
	s_and_saveexec_b32 s2, vcc_lo
	s_xor_b32 s2, exec_lo, s2
; %bb.27:
	v_bfe_u32 v95, v98, 16, 1
	s_delay_alu instid0(VALU_DEP_1)
	v_add3_u32 v95, v98, v95, 0x7fff
                                        ; implicit-def: $vgpr98
; %bb.28:
	s_and_not1_saveexec_b32 s2, s2
; %bb.29:
	v_and_b32_e32 v95, 0xffff, v98
	v_or_b32_e32 v99, 0x10000, v98
	s_delay_alu instid0(VALU_DEP_2) | instskip(NEXT) | instid1(VALU_DEP_2)
	v_cmp_eq_u32_e32 vcc_lo, 0, v95
	v_cndmask_b32_e32 v95, v99, v98, vcc_lo
; %bb.30:
	s_or_b32 exec_lo, exec_lo, s2
	v_and_b32_e32 v98, 0x7f800000, v97
	s_delay_alu instid0(VALU_DEP_1) | instskip(SKIP_1) | instid1(SALU_CYCLE_1)
	v_cmp_ne_u32_e32 vcc_lo, 0x7f800000, v98
                                        ; implicit-def: $vgpr98
	s_and_saveexec_b32 s2, vcc_lo
	s_xor_b32 s2, exec_lo, s2
; %bb.31:
	v_bfe_u32 v98, v97, 16, 1
	s_delay_alu instid0(VALU_DEP_1)
	v_add3_u32 v98, v97, v98, 0x7fff
                                        ; implicit-def: $vgpr97
; %bb.32:
	s_and_not1_saveexec_b32 s2, s2
; %bb.33:
	v_and_b32_e32 v98, 0xffff, v97
	v_or_b32_e32 v99, 0x10000, v97
	s_delay_alu instid0(VALU_DEP_2) | instskip(NEXT) | instid1(VALU_DEP_2)
	v_cmp_eq_u32_e32 vcc_lo, 0, v98
	v_cndmask_b32_e32 v98, v99, v97, vcc_lo
; %bb.34:
	s_or_b32 exec_lo, exec_lo, s2
	v_and_b32_e32 v97, 0x7f800000, v96
	s_delay_alu instid0(VALU_DEP_1) | instskip(SKIP_1) | instid1(SALU_CYCLE_1)
	v_cmp_ne_u32_e32 vcc_lo, 0x7f800000, v97
                                        ; implicit-def: $vgpr97
	s_and_saveexec_b32 s2, vcc_lo
	s_xor_b32 s2, exec_lo, s2
; %bb.35:
	v_bfe_u32 v97, v96, 16, 1
	s_delay_alu instid0(VALU_DEP_1)
	v_add3_u32 v97, v96, v97, 0x7fff
                                        ; implicit-def: $vgpr96
; %bb.36:
	s_and_not1_saveexec_b32 s2, s2
; %bb.37:
	v_and_b32_e32 v97, 0xffff, v96
	v_or_b32_e32 v99, 0x10000, v96
	s_delay_alu instid0(VALU_DEP_2) | instskip(NEXT) | instid1(VALU_DEP_2)
	v_cmp_eq_u32_e32 vcc_lo, 0, v97
	v_cndmask_b32_e32 v97, v99, v96, vcc_lo
; %bb.38:
	s_or_b32 exec_lo, exec_lo, s2
	v_and_b32_e32 v96, 0x7f800000, v93
	s_delay_alu instid0(VALU_DEP_1) | instskip(SKIP_1) | instid1(SALU_CYCLE_1)
	v_cmp_ne_u32_e32 vcc_lo, 0x7f800000, v96
                                        ; implicit-def: $vgpr96
	s_and_saveexec_b32 s2, vcc_lo
	s_xor_b32 s2, exec_lo, s2
; %bb.39:
	v_bfe_u32 v96, v93, 16, 1
	s_delay_alu instid0(VALU_DEP_1)
	v_add3_u32 v96, v93, v96, 0x7fff
                                        ; implicit-def: $vgpr93
; %bb.40:
	s_and_not1_saveexec_b32 s2, s2
; %bb.41:
	v_and_b32_e32 v96, 0xffff, v93
	v_or_b32_e32 v99, 0x10000, v93
	s_delay_alu instid0(VALU_DEP_2) | instskip(NEXT) | instid1(VALU_DEP_2)
	v_cmp_eq_u32_e32 vcc_lo, 0, v96
	v_cndmask_b32_e32 v96, v99, v93, vcc_lo
; %bb.42:
	s_or_b32 exec_lo, exec_lo, s2
	v_and_b32_e32 v93, 0x7f800000, v91
	s_delay_alu instid0(VALU_DEP_1) | instskip(SKIP_1) | instid1(SALU_CYCLE_1)
	v_cmp_ne_u32_e32 vcc_lo, 0x7f800000, v93
                                        ; implicit-def: $vgpr93
	s_and_saveexec_b32 s2, vcc_lo
	s_xor_b32 s2, exec_lo, s2
; %bb.43:
	v_bfe_u32 v93, v91, 16, 1
	s_delay_alu instid0(VALU_DEP_1)
	v_add3_u32 v93, v91, v93, 0x7fff
                                        ; implicit-def: $vgpr91
; %bb.44:
	s_and_not1_saveexec_b32 s2, s2
; %bb.45:
	v_and_b32_e32 v93, 0xffff, v91
	v_or_b32_e32 v99, 0x10000, v91
	s_delay_alu instid0(VALU_DEP_2) | instskip(NEXT) | instid1(VALU_DEP_2)
	v_cmp_eq_u32_e32 vcc_lo, 0, v93
	v_cndmask_b32_e32 v93, v99, v91, vcc_lo
; %bb.46:
	s_or_b32 exec_lo, exec_lo, s2
	s_load_b64 s[34:35], s[0:1], 0x94
	v_lshlrev_b32_e32 v91, 4, v83
	s_delay_alu instid0(VALU_DEP_2)
	v_perm_b32 v99, v93, v96, 0x7060302
	v_dual_mul_f32 v88, v89, v88 :: v_dual_lshlrev_b32 v93, 11, v73
	v_perm_b32 v96, v92, v90, 0x7060302
	v_mul_f32_e32 v92, v89, v76
	v_perm_b32 v98, v97, v98, 0x7060302
	v_perm_b32 v97, v95, v94, 0x7060302
	v_or3_b32 v76, v91, v93, v85
	v_mul_f32_e32 v87, v89, v87
	v_dual_mul_f32 v86, v89, v86 :: v_dual_and_b32 v93, 0x7f800000, v92
	v_mul_f32_e32 v80, v89, v80
	v_mul_f32_e32 v90, v89, v79
	;; [unrolled: 1-line block ×4, first 2 shown]
	s_mov_b32 s2, exec_lo
	ds_store_b128 v76, v[96:99]
                                        ; implicit-def: $vgpr77
	v_cmpx_ne_u32_e32 0x7f800000, v93
	s_xor_b32 s2, exec_lo, s2
; %bb.47:
	v_bfe_u32 v77, v92, 16, 1
	s_delay_alu instid0(VALU_DEP_1)
	v_add3_u32 v77, v92, v77, 0x7fff
                                        ; implicit-def: $vgpr92
; %bb.48:
	s_and_not1_saveexec_b32 s2, s2
; %bb.49:
	v_and_b32_e32 v77, 0xffff, v92
	v_or_b32_e32 v78, 0x10000, v92
	s_delay_alu instid0(VALU_DEP_2) | instskip(NEXT) | instid1(VALU_DEP_2)
	v_cmp_eq_u32_e32 vcc_lo, 0, v77
	v_cndmask_b32_e32 v77, v78, v92, vcc_lo
; %bb.50:
	s_or_b32 exec_lo, exec_lo, s2
	v_and_b32_e32 v78, 0x7f800000, v79
	s_delay_alu instid0(VALU_DEP_1) | instskip(SKIP_1) | instid1(SALU_CYCLE_1)
	v_cmp_ne_u32_e32 vcc_lo, 0x7f800000, v78
                                        ; implicit-def: $vgpr78
	s_and_saveexec_b32 s2, vcc_lo
	s_xor_b32 s2, exec_lo, s2
; %bb.51:
	v_bfe_u32 v78, v79, 16, 1
	s_delay_alu instid0(VALU_DEP_1)
	v_add3_u32 v78, v79, v78, 0x7fff
                                        ; implicit-def: $vgpr79
; %bb.52:
	s_and_not1_saveexec_b32 s2, s2
; %bb.53:
	v_and_b32_e32 v78, 0xffff, v79
	v_or_b32_e32 v89, 0x10000, v79
	s_delay_alu instid0(VALU_DEP_2) | instskip(NEXT) | instid1(VALU_DEP_2)
	v_cmp_eq_u32_e32 vcc_lo, 0, v78
	v_cndmask_b32_e32 v78, v89, v79, vcc_lo
; %bb.54:
	s_or_b32 exec_lo, exec_lo, s2
	v_and_b32_e32 v79, 0x7f800000, v91
	s_delay_alu instid0(VALU_DEP_1) | instskip(SKIP_1) | instid1(SALU_CYCLE_1)
	v_cmp_ne_u32_e32 vcc_lo, 0x7f800000, v79
                                        ; implicit-def: $vgpr79
	s_and_saveexec_b32 s2, vcc_lo
	s_xor_b32 s2, exec_lo, s2
; %bb.55:
	v_bfe_u32 v79, v91, 16, 1
	s_delay_alu instid0(VALU_DEP_1)
	v_add3_u32 v79, v91, v79, 0x7fff
                                        ; implicit-def: $vgpr91
; %bb.56:
	s_and_not1_saveexec_b32 s2, s2
; %bb.57:
	v_and_b32_e32 v79, 0xffff, v91
	v_or_b32_e32 v89, 0x10000, v91
	s_delay_alu instid0(VALU_DEP_2) | instskip(NEXT) | instid1(VALU_DEP_2)
	v_cmp_eq_u32_e32 vcc_lo, 0, v79
	v_cndmask_b32_e32 v79, v89, v91, vcc_lo
; %bb.58:
	s_or_b32 exec_lo, exec_lo, s2
	v_and_b32_e32 v89, 0x7f800000, v90
	s_delay_alu instid0(VALU_DEP_1) | instskip(SKIP_1) | instid1(SALU_CYCLE_1)
	v_cmp_ne_u32_e32 vcc_lo, 0x7f800000, v89
                                        ; implicit-def: $vgpr89
	s_and_saveexec_b32 s2, vcc_lo
	s_xor_b32 s2, exec_lo, s2
; %bb.59:
	v_bfe_u32 v89, v90, 16, 1
	s_delay_alu instid0(VALU_DEP_1)
	v_add3_u32 v89, v90, v89, 0x7fff
                                        ; implicit-def: $vgpr90
; %bb.60:
	s_and_not1_saveexec_b32 s2, s2
; %bb.61:
	v_and_b32_e32 v89, 0xffff, v90
	v_or_b32_e32 v91, 0x10000, v90
	s_delay_alu instid0(VALU_DEP_2) | instskip(NEXT) | instid1(VALU_DEP_2)
	v_cmp_eq_u32_e32 vcc_lo, 0, v89
	v_cndmask_b32_e32 v89, v91, v90, vcc_lo
; %bb.62:
	s_or_b32 exec_lo, exec_lo, s2
	v_and_b32_e32 v90, 0x7f800000, v80
	s_delay_alu instid0(VALU_DEP_1) | instskip(SKIP_1) | instid1(SALU_CYCLE_1)
	v_cmp_ne_u32_e32 vcc_lo, 0x7f800000, v90
                                        ; implicit-def: $vgpr90
	s_and_saveexec_b32 s2, vcc_lo
	s_xor_b32 s2, exec_lo, s2
; %bb.63:
	v_bfe_u32 v90, v80, 16, 1
	s_delay_alu instid0(VALU_DEP_1)
	v_add3_u32 v90, v80, v90, 0x7fff
                                        ; implicit-def: $vgpr80
; %bb.64:
	s_and_not1_saveexec_b32 s2, s2
; %bb.65:
	v_and_b32_e32 v90, 0xffff, v80
	v_or_b32_e32 v91, 0x10000, v80
	s_delay_alu instid0(VALU_DEP_2) | instskip(NEXT) | instid1(VALU_DEP_2)
	v_cmp_eq_u32_e32 vcc_lo, 0, v90
	v_cndmask_b32_e32 v90, v91, v80, vcc_lo
; %bb.66:
	s_or_b32 exec_lo, exec_lo, s2
	v_and_b32_e32 v80, 0x7f800000, v86
	s_delay_alu instid0(VALU_DEP_1) | instskip(SKIP_1) | instid1(SALU_CYCLE_1)
	v_cmp_ne_u32_e32 vcc_lo, 0x7f800000, v80
                                        ; implicit-def: $vgpr80
	s_and_saveexec_b32 s2, vcc_lo
	s_xor_b32 s2, exec_lo, s2
; %bb.67:
	v_bfe_u32 v80, v86, 16, 1
	s_delay_alu instid0(VALU_DEP_1)
	v_add3_u32 v80, v86, v80, 0x7fff
                                        ; implicit-def: $vgpr86
; %bb.68:
	s_and_not1_saveexec_b32 s2, s2
; %bb.69:
	v_and_b32_e32 v80, 0xffff, v86
	v_or_b32_e32 v91, 0x10000, v86
	s_delay_alu instid0(VALU_DEP_2) | instskip(NEXT) | instid1(VALU_DEP_2)
	v_cmp_eq_u32_e32 vcc_lo, 0, v80
	v_cndmask_b32_e32 v80, v91, v86, vcc_lo
; %bb.70:
	s_or_b32 exec_lo, exec_lo, s2
	v_and_b32_e32 v86, 0x7f800000, v87
	s_delay_alu instid0(VALU_DEP_1) | instskip(SKIP_1) | instid1(SALU_CYCLE_1)
	v_cmp_ne_u32_e32 vcc_lo, 0x7f800000, v86
                                        ; implicit-def: $vgpr86
	s_and_saveexec_b32 s2, vcc_lo
	s_xor_b32 s2, exec_lo, s2
; %bb.71:
	v_bfe_u32 v86, v87, 16, 1
	s_delay_alu instid0(VALU_DEP_1)
	v_add3_u32 v86, v87, v86, 0x7fff
                                        ; implicit-def: $vgpr87
; %bb.72:
	s_and_not1_saveexec_b32 s2, s2
; %bb.73:
	v_and_b32_e32 v86, 0xffff, v87
	v_or_b32_e32 v91, 0x10000, v87
	s_delay_alu instid0(VALU_DEP_2) | instskip(NEXT) | instid1(VALU_DEP_2)
	v_cmp_eq_u32_e32 vcc_lo, 0, v86
	v_cndmask_b32_e32 v86, v91, v87, vcc_lo
; %bb.74:
	s_or_b32 exec_lo, exec_lo, s2
	v_and_b32_e32 v87, 0x7f800000, v88
	s_delay_alu instid0(VALU_DEP_1) | instskip(SKIP_1) | instid1(SALU_CYCLE_1)
	v_cmp_ne_u32_e32 vcc_lo, 0x7f800000, v87
                                        ; implicit-def: $vgpr87
	s_and_saveexec_b32 s2, vcc_lo
	s_xor_b32 s2, exec_lo, s2
; %bb.75:
	v_bfe_u32 v87, v88, 16, 1
	s_delay_alu instid0(VALU_DEP_1)
	v_add3_u32 v87, v88, v87, 0x7fff
                                        ; implicit-def: $vgpr88
; %bb.76:
	s_and_not1_saveexec_b32 s2, s2
; %bb.77:
	v_and_b32_e32 v87, 0xffff, v88
	v_or_b32_e32 v91, 0x10000, v88
	s_delay_alu instid0(VALU_DEP_2) | instskip(NEXT) | instid1(VALU_DEP_2)
	v_cmp_eq_u32_e32 vcc_lo, 0, v87
	v_cndmask_b32_e32 v87, v91, v88, vcc_lo
; %bb.78:
	s_or_b32 exec_lo, exec_lo, s2
	s_delay_alu instid0(VALU_DEP_1)
	v_perm_b32 v94, v87, v86, 0x7060302
	v_perm_b32 v93, v80, v90, 0x7060302
	;; [unrolled: 1-line block ×4, first 2 shown]
	v_lshl_or_b32 v90, v73, 11, v85
	ds_store_b128 v76, v[91:94] offset:1024
	s_waitcnt lgkmcnt(0)
	s_barrier
	buffer_gl0_inv
	ds_load_b128 v[77:80], v90
	ds_load_b128 v[91:94], v90 offset:16
	s_waitcnt lgkmcnt(1)
	v_lshrrev_b32_e32 v73, 16, v77
	s_waitcnt lgkmcnt(0)
	v_lshrrev_b32_e32 v108, 16, v94
	v_lshlrev_b32_e32 v87, 2, v83
	v_lshrrev_b32_e32 v99, 16, v91
	v_lshrrev_b32_e32 v103, 16, v78
	;; [unrolled: 1-line block ×4, first 2 shown]
	v_or_b32_e32 v88, 1, v87
	v_cmp_eq_u32_e32 vcc_lo, 1, v87
	v_cmp_eq_u32_e64 s3, 2, v87
	v_cmp_eq_u32_e64 s6, 3, v87
	;; [unrolled: 1-line block ×4, first 2 shown]
	v_cndmask_b32_e32 v89, v77, v73, vcc_lo
	v_cndmask_b32_e32 v95, v91, v99, vcc_lo
	v_cmp_eq_u32_e64 s5, 2, v88
	v_cmp_eq_u32_e64 s7, 3, v88
	v_cndmask_b32_e64 v96, v77, v73, s2
	v_cndmask_b32_e64 v89, v89, v78, s3
	;; [unrolled: 1-line block ×3, first 2 shown]
	v_or_b32_e32 v86, 2, v87
	v_lshrrev_b32_e32 v107, 16, v93
	v_cndmask_b32_e64 v96, v96, v78, s5
	v_cndmask_b32_e64 v89, v89, v103, s6
	;; [unrolled: 1-line block ×4, first 2 shown]
	v_cmp_eq_u32_e64 s9, 5, v87
	v_cndmask_b32_e64 v96, v96, v103, s7
	v_cndmask_b32_e64 v89, v89, v79, s8
	;; [unrolled: 1-line block ×3, first 2 shown]
	v_cmp_eq_u32_e64 s10, 4, v88
	v_cmp_eq_u32_e64 s4, 1, v86
	v_cndmask_b32_e64 v97, v97, v92, s5
	v_cndmask_b32_e64 v89, v89, v104, s9
	v_cmp_eq_u32_e64 s11, 6, v87
	v_cndmask_b32_e64 v96, v96, v79, s10
	v_cndmask_b32_e64 v95, v95, v107, s9
	v_cmp_eq_u32_e64 s12, 5, v88
	v_lshrrev_b32_e32 v105, 16, v80
	v_cndmask_b32_e64 v98, v77, v73, s4
	v_cndmask_b32_e64 v97, v97, v106, s7
	;; [unrolled: 1-line block ×4, first 2 shown]
	v_cmp_eq_u32_e64 s13, 7, v87
	v_cndmask_b32_e64 v95, v95, v94, s11
	v_cmp_eq_u32_e64 s15, 6, v88
	v_cmp_eq_u32_e64 s16, 2, v86
	v_cndmask_b32_e64 v97, v97, v93, s10
	v_cndmask_b32_e64 v109, v89, v105, s13
	;; [unrolled: 1-line block ×6, first 2 shown]
	v_cmp_eq_u32_e64 s17, 7, v88
	v_cmp_eq_u32_e64 s18, 3, v86
	;; [unrolled: 1-line block ×4, first 2 shown]
	v_cndmask_b32_e64 v95, v95, v92, s16
	v_cndmask_b32_e64 v111, v96, v105, s17
	;; [unrolled: 1-line block ×4, first 2 shown]
	v_or_b32_e32 v89, 3, v87
	v_cndmask_b32_e64 v101, v95, v106, s18
	v_cmp_eq_u32_e64 s23, 6, v86
	v_cndmask_b32_e64 v112, v96, v94, s15
	v_cndmask_b32_e64 v100, v97, v79, s19
	v_cmp_eq_u32_e64 s20, 1, v89
	ds_load_b128 v[95:98], v90 offset:1024
	v_cmp_eq_u32_e64 s22, 2, v89
	v_cmp_eq_u32_e64 s24, 3, v89
	v_cndmask_b32_e64 v113, v100, v104, s21
	v_cndmask_b32_e64 v73, v77, v73, s20
	v_cndmask_b32_e64 v77, v101, v93, s19
	v_cndmask_b32_e64 v91, v91, v99, s20
	ds_load_b128 v[99:102], v90 offset:1040
	v_cmp_eq_u32_e64 s25, 4, v89
	v_cndmask_b32_e64 v73, v73, v78, s22
	v_cmp_eq_u32_e64 s26, 7, v86
	v_cndmask_b32_e64 v78, v91, v92, s22
	v_cndmask_b32_e64 v92, v113, v80, s23
	v_cmp_eq_u32_e64 s27, 5, v89
	v_cndmask_b32_e64 v73, v73, v103, s24
	v_cndmask_b32_e64 v77, v77, v107, s21
	;; [unrolled: 1-line block ×3, first 2 shown]
	v_cmp_eq_u32_e64 s28, 6, v89
	v_cndmask_b32_e64 v91, v112, v108, s17
	v_cndmask_b32_e64 v73, v73, v79, s25
	s_waitcnt lgkmcnt(1)
	v_lshrrev_b32_e32 v103, 16, v95
	v_cndmask_b32_e64 v78, v78, v93, s25
	v_cndmask_b32_e64 v79, v92, v105, s26
	v_cndmask_b32_e64 v77, v77, v94, s23
	v_cndmask_b32_e64 v73, v73, v104, s27
	v_cndmask_b32_e32 v92, v95, v103, vcc_lo
	v_cndmask_b32_e64 v78, v78, v107, s27
	s_waitcnt lgkmcnt(0)
	v_lshrrev_b32_e32 v93, 16, v99
	v_lshrrev_b32_e32 v104, 16, v96
	v_cndmask_b32_e64 v106, v95, v103, s2
	v_cndmask_b32_e64 v92, v92, v96, s3
	;; [unrolled: 1-line block ×3, first 2 shown]
	v_cndmask_b32_e32 v107, v99, v93, vcc_lo
	v_cndmask_b32_e64 v78, v78, v94, s28
	v_cmp_eq_u32_e32 vcc_lo, 7, v89
	v_cndmask_b32_e64 v80, v92, v104, s6
	v_cndmask_b32_e64 v92, v106, v96, s5
	;; [unrolled: 1-line block ×3, first 2 shown]
	v_lshrrev_b32_e32 v106, 16, v100
	v_cndmask_b32_e64 v77, v77, v108, s26
	v_cndmask_b32_e32 v78, v78, v108, vcc_lo
	v_lshrrev_b32_e32 v108, 16, v101
	v_cndmask_b32_e64 v80, v80, v97, s8
	v_cndmask_b32_e64 v94, v94, v106, s6
	v_lshrrev_b32_e32 v107, 16, v97
	v_cndmask_b32_e32 v73, v73, v105, vcc_lo
	v_perm_b32 v79, v77, v79, 0x5040100
	v_cndmask_b32_e64 v92, v92, v104, s7
	v_cndmask_b32_e64 v94, v94, v101, s8
	;; [unrolled: 1-line block ×3, first 2 shown]
	v_perm_b32 v80, v78, v73, 0x5040100
	v_perm_b32 v78, v91, v111, 0x5040100
	v_cndmask_b32_e64 v111, v99, v93, s4
	v_cndmask_b32_e64 v94, v94, v108, s9
	;; [unrolled: 1-line block ×3, first 2 shown]
	s_delay_alu instid0(VALU_DEP_2)
	v_cndmask_b32_e64 v77, v94, v102, s11
	v_cndmask_b32_e64 v94, v95, v103, s4
	;; [unrolled: 1-line block ×22, first 2 shown]
	v_lshrrev_b32_e32 v105, 16, v98
	v_cndmask_b32_e64 v94, v94, v107, s21
	v_cndmask_b32_e64 v95, v95, v107, s27
	;; [unrolled: 1-line block ×7, first 2 shown]
	v_lshrrev_b32_e32 v92, 16, v102
	v_cndmask_b32_e64 v94, v94, v98, s23
	v_cndmask_b32_e64 v95, v95, v98, s28
	v_cndmask_b32_e64 v96, v96, v102, s28
	v_cndmask_b32_e64 v97, v97, v102, s23
	v_cndmask_b32_e64 v93, v93, v102, s15
	v_cndmask_b32_e64 v73, v73, v105, s17
	v_cndmask_b32_e64 v98, v94, v105, s26
	v_dual_cndmask_b32 v94, v95, v105 :: v_dual_cndmask_b32 v95, v96, v92
	v_cndmask_b32_e64 v96, v97, v92, s26
	v_cndmask_b32_e64 v97, v93, v92, s17
	;; [unrolled: 1-line block ×3, first 2 shown]
	v_perm_b32 v77, v110, v109, 0x5040100
	v_perm_b32 v94, v95, v94, 0x5040100
	;; [unrolled: 1-line block ×5, first 2 shown]
	s_lshl_b32 s7, s35, 3
	s_mov_b32 s2, exec_lo
	ds_store_b128 v76, v[77:80]
	ds_store_b128 v76, v[91:94] offset:1024
	v_cmpx_gt_u32_e32 8, v0
	s_cbranch_execz .LBB737_80
; %bb.79:
	v_or_b32_e32 v73, s29, v0
	s_load_b128 s[8:11], s[0:1], 0x58
	s_delay_alu instid0(VALU_DEP_1) | instskip(NEXT) | instid1(VALU_DEP_1)
	v_mad_u64_u32 v[76:77], null, s7, s30, v[73:74]
	v_mad_u64_u32 v[77:78], null, v76, s34, s[14:15]
	s_delay_alu instid0(VALU_DEP_1) | instskip(NEXT) | instid1(VALU_DEP_1)
	v_ashrrev_i32_e32 v78, 31, v77
	v_lshlrev_b64 v[76:77], 2, v[77:78]
	s_waitcnt lgkmcnt(0)
	s_delay_alu instid0(VALU_DEP_1) | instskip(NEXT) | instid1(VALU_DEP_2)
	v_add_co_u32 v78, vcc_lo, s10, v76
	v_add_co_ci_u32_e32 v79, vcc_lo, s11, v77, vcc_lo
	v_add_co_u32 v76, vcc_lo, s8, v76
	v_add_co_ci_u32_e32 v77, vcc_lo, s9, v77, vcc_lo
	global_store_b32 v[78:79], v74, off
	global_store_b32 v[76:77], v75, off
.LBB737_80:
	s_or_b32 exec_lo, exec_lo, s2
	s_waitcnt lgkmcnt(0)
	s_waitcnt_vscnt null, 0x0
	s_barrier
	buffer_gl0_inv
	ds_load_b128 v[91:94], v85
	ds_load_b128 v[95:98], v85 offset:16
	ds_load_b128 v[103:106], v85 offset:1040
	;; [unrolled: 1-line block ×3, first 2 shown]
	v_mov_b32_e32 v73, 0
	ds_load_b128 v[111:114], v85 offset:2064
	ds_load_b128 v[107:110], v85 offset:2048
	;; [unrolled: 1-line block ×6, first 2 shown]
	v_mov_b32_e32 v74, v73
	v_mov_b32_e32 v75, v73
	;; [unrolled: 1-line block ×7, first 2 shown]
	s_waitcnt lgkmcnt(8)
	s_delay_alu instid0(VALU_DEP_1)
	v_wmma_f32_16x16x16_bf16 v[73:80], v[65:72], v[91:98], v[73:80]
	ds_load_b128 v[69:72], v85 offset:5136
	ds_load_b128 v[65:68], v85 offset:5120
	;; [unrolled: 1-line block ×4, first 2 shown]
	s_waitcnt lgkmcnt(10)
	v_wmma_f32_16x16x16_bf16 v[73:80], v[57:64], v[99:106], v[73:80]
	s_waitcnt lgkmcnt(8)
	s_delay_alu instid0(VALU_DEP_1)
	v_wmma_f32_16x16x16_bf16 v[73:80], v[57:64], v[107:114], v[73:80]
	ds_load_b128 v[61:64], v85 offset:7184
	ds_load_b128 v[57:60], v85 offset:7168
	;; [unrolled: 1-line block ×4, first 2 shown]
	s_waitcnt lgkmcnt(10)
	v_wmma_f32_16x16x16_bf16 v[73:80], v[49:56], v[115:122], v[73:80]
	s_waitcnt lgkmcnt(8)
	s_delay_alu instid0(VALU_DEP_1)
	v_wmma_f32_16x16x16_bf16 v[73:80], v[49:56], v[123:130], v[73:80]
	ds_load_b128 v[53:56], v85 offset:9232
	ds_load_b128 v[49:52], v85 offset:9216
	s_waitcnt lgkmcnt(8)
	v_wmma_f32_16x16x16_bf16 v[73:80], v[41:48], v[65:72], v[73:80]
	ds_load_b128 v[69:72], v85 offset:10256
	ds_load_b128 v[65:68], v85 offset:10240
	s_waitcnt lgkmcnt(8)
	;; [unrolled: 4-line block ×3, first 2 shown]
	v_wmma_f32_16x16x16_bf16 v[73:80], v[9:16], v[57:64], v[73:80]
	s_waitcnt lgkmcnt(6)
	s_delay_alu instid0(VALU_DEP_1)
	v_wmma_f32_16x16x16_bf16 v[73:80], v[9:16], v[99:106], v[73:80]
	ds_load_b128 v[13:16], v85 offset:12304
	ds_load_b128 v[9:12], v85 offset:12288
	s_waitcnt lgkmcnt(6)
	v_wmma_f32_16x16x16_bf16 v[73:80], v[1:8], v[49:56], v[73:80]
	ds_load_b128 v[53:56], v85 offset:13328
	ds_load_b128 v[49:52], v85 offset:13312
	s_waitcnt lgkmcnt(6)
	;; [unrolled: 4-line block ×4, first 2 shown]
	v_wmma_f32_16x16x16_bf16 v[73:80], v[33:40], v[9:16], v[73:80]
	s_waitcnt lgkmcnt(4)
	s_delay_alu instid0(VALU_DEP_1) | instskip(SKIP_1) | instid1(VALU_DEP_1)
	v_wmma_f32_16x16x16_bf16 v[73:80], v[25:32], v[49:56], v[73:80]
	s_waitcnt lgkmcnt(2)
	v_wmma_f32_16x16x16_bf16 v[73:80], v[25:32], v[1:8], v[73:80]
	s_waitcnt lgkmcnt(0)
	s_delay_alu instid0(VALU_DEP_1) | instskip(NEXT) | instid1(VALU_DEP_1)
	v_wmma_f32_16x16x16_bf16 v[73:80], v[17:24], v[41:48], v[73:80]
	v_and_b32_e32 v1, 0x7f800000, v73
	s_delay_alu instid0(VALU_DEP_1) | instskip(SKIP_1) | instid1(SALU_CYCLE_1)
	v_cmp_ne_u32_e32 vcc_lo, 0x7f800000, v1
                                        ; implicit-def: $vgpr1
	s_and_saveexec_b32 s2, vcc_lo
	s_xor_b32 s2, exec_lo, s2
; %bb.81:
	v_bfe_u32 v1, v73, 16, 1
	s_delay_alu instid0(VALU_DEP_1)
	v_add3_u32 v1, v73, v1, 0x7fff
; %bb.82:
	s_and_not1_saveexec_b32 s2, s2
; %bb.83:
	v_and_b32_e32 v1, 0xffff, v73
	v_or_b32_e32 v2, 0x10000, v73
	s_delay_alu instid0(VALU_DEP_2) | instskip(NEXT) | instid1(VALU_DEP_2)
	v_cmp_eq_u32_e32 vcc_lo, 0, v1
	v_cndmask_b32_e32 v1, v2, v73, vcc_lo
; %bb.84:
	s_or_b32 exec_lo, exec_lo, s2
	v_and_b32_e32 v2, 0x7f800000, v74
	s_delay_alu instid0(VALU_DEP_1) | instskip(SKIP_1) | instid1(SALU_CYCLE_1)
	v_cmp_ne_u32_e32 vcc_lo, 0x7f800000, v2
                                        ; implicit-def: $vgpr2
	s_and_saveexec_b32 s2, vcc_lo
	s_xor_b32 s2, exec_lo, s2
; %bb.85:
	v_bfe_u32 v2, v74, 16, 1
	s_delay_alu instid0(VALU_DEP_1)
	v_add3_u32 v2, v74, v2, 0x7fff
; %bb.86:
	s_and_not1_saveexec_b32 s2, s2
; %bb.87:
	v_and_b32_e32 v2, 0xffff, v74
	v_or_b32_e32 v3, 0x10000, v74
	s_delay_alu instid0(VALU_DEP_2) | instskip(NEXT) | instid1(VALU_DEP_2)
	v_cmp_eq_u32_e32 vcc_lo, 0, v2
	v_cndmask_b32_e32 v2, v3, v74, vcc_lo
; %bb.88:
	s_or_b32 exec_lo, exec_lo, s2
	v_and_b32_e32 v3, 0x7f800000, v75
	s_delay_alu instid0(VALU_DEP_1) | instskip(SKIP_1) | instid1(SALU_CYCLE_1)
	v_cmp_ne_u32_e32 vcc_lo, 0x7f800000, v3
                                        ; implicit-def: $vgpr3
	s_and_saveexec_b32 s2, vcc_lo
	s_xor_b32 s2, exec_lo, s2
; %bb.89:
	v_bfe_u32 v3, v75, 16, 1
	s_delay_alu instid0(VALU_DEP_1)
	v_add3_u32 v3, v75, v3, 0x7fff
; %bb.90:
	s_and_not1_saveexec_b32 s2, s2
; %bb.91:
	v_and_b32_e32 v3, 0xffff, v75
	v_or_b32_e32 v4, 0x10000, v75
	s_delay_alu instid0(VALU_DEP_2) | instskip(NEXT) | instid1(VALU_DEP_2)
	v_cmp_eq_u32_e32 vcc_lo, 0, v3
	v_cndmask_b32_e32 v3, v4, v75, vcc_lo
; %bb.92:
	s_or_b32 exec_lo, exec_lo, s2
	v_and_b32_e32 v4, 0x7f800000, v76
	s_delay_alu instid0(VALU_DEP_1) | instskip(SKIP_1) | instid1(SALU_CYCLE_1)
	v_cmp_ne_u32_e32 vcc_lo, 0x7f800000, v4
                                        ; implicit-def: $vgpr4
	s_and_saveexec_b32 s2, vcc_lo
	s_xor_b32 s2, exec_lo, s2
; %bb.93:
	v_bfe_u32 v4, v76, 16, 1
	s_delay_alu instid0(VALU_DEP_1)
	v_add3_u32 v4, v76, v4, 0x7fff
; %bb.94:
	s_and_not1_saveexec_b32 s2, s2
; %bb.95:
	v_and_b32_e32 v4, 0xffff, v76
	v_or_b32_e32 v5, 0x10000, v76
	s_delay_alu instid0(VALU_DEP_2) | instskip(NEXT) | instid1(VALU_DEP_2)
	v_cmp_eq_u32_e32 vcc_lo, 0, v4
	v_cndmask_b32_e32 v4, v5, v76, vcc_lo
; %bb.96:
	s_or_b32 exec_lo, exec_lo, s2
	v_and_b32_e32 v5, 0x7f800000, v77
	s_delay_alu instid0(VALU_DEP_1) | instskip(SKIP_1) | instid1(SALU_CYCLE_1)
	v_cmp_ne_u32_e32 vcc_lo, 0x7f800000, v5
                                        ; implicit-def: $vgpr5
	s_and_saveexec_b32 s2, vcc_lo
	s_xor_b32 s2, exec_lo, s2
; %bb.97:
	v_bfe_u32 v5, v77, 16, 1
	s_delay_alu instid0(VALU_DEP_1)
	v_add3_u32 v5, v77, v5, 0x7fff
; %bb.98:
	s_and_not1_saveexec_b32 s2, s2
; %bb.99:
	v_and_b32_e32 v5, 0xffff, v77
	v_or_b32_e32 v6, 0x10000, v77
	s_delay_alu instid0(VALU_DEP_2) | instskip(NEXT) | instid1(VALU_DEP_2)
	v_cmp_eq_u32_e32 vcc_lo, 0, v5
	v_cndmask_b32_e32 v5, v6, v77, vcc_lo
; %bb.100:
	s_or_b32 exec_lo, exec_lo, s2
	v_and_b32_e32 v6, 0x7f800000, v78
	s_delay_alu instid0(VALU_DEP_1) | instskip(SKIP_1) | instid1(SALU_CYCLE_1)
	v_cmp_ne_u32_e32 vcc_lo, 0x7f800000, v6
                                        ; implicit-def: $vgpr6
	s_and_saveexec_b32 s2, vcc_lo
	s_xor_b32 s2, exec_lo, s2
; %bb.101:
	v_bfe_u32 v6, v78, 16, 1
	s_delay_alu instid0(VALU_DEP_1)
	v_add3_u32 v6, v78, v6, 0x7fff
; %bb.102:
	s_and_not1_saveexec_b32 s2, s2
; %bb.103:
	v_and_b32_e32 v6, 0xffff, v78
	v_or_b32_e32 v7, 0x10000, v78
	s_delay_alu instid0(VALU_DEP_2) | instskip(NEXT) | instid1(VALU_DEP_2)
	v_cmp_eq_u32_e32 vcc_lo, 0, v6
	v_cndmask_b32_e32 v6, v7, v78, vcc_lo
; %bb.104:
	s_or_b32 exec_lo, exec_lo, s2
	v_and_b32_e32 v7, 0x7f800000, v79
	s_delay_alu instid0(VALU_DEP_1) | instskip(SKIP_1) | instid1(SALU_CYCLE_1)
	v_cmp_ne_u32_e32 vcc_lo, 0x7f800000, v7
                                        ; implicit-def: $vgpr7
	s_and_saveexec_b32 s2, vcc_lo
	s_xor_b32 s2, exec_lo, s2
; %bb.105:
	v_bfe_u32 v7, v79, 16, 1
	s_delay_alu instid0(VALU_DEP_1)
	v_add3_u32 v7, v79, v7, 0x7fff
; %bb.106:
	s_and_not1_saveexec_b32 s2, s2
; %bb.107:
	v_and_b32_e32 v7, 0xffff, v79
	v_or_b32_e32 v8, 0x10000, v79
	s_delay_alu instid0(VALU_DEP_2) | instskip(NEXT) | instid1(VALU_DEP_2)
	v_cmp_eq_u32_e32 vcc_lo, 0, v7
	v_cndmask_b32_e32 v7, v8, v79, vcc_lo
; %bb.108:
	s_or_b32 exec_lo, exec_lo, s2
	v_and_b32_e32 v8, 0x7f800000, v80
	s_delay_alu instid0(VALU_DEP_1) | instskip(SKIP_1) | instid1(SALU_CYCLE_1)
	v_cmp_ne_u32_e32 vcc_lo, 0x7f800000, v8
                                        ; implicit-def: $vgpr8
	s_and_saveexec_b32 s2, vcc_lo
	s_xor_b32 s2, exec_lo, s2
; %bb.109:
	v_bfe_u32 v8, v80, 16, 1
	s_delay_alu instid0(VALU_DEP_1)
	v_add3_u32 v8, v80, v8, 0x7fff
                                        ; implicit-def: $vgpr73_vgpr74_vgpr75_vgpr76_vgpr77_vgpr78_vgpr79_vgpr80
; %bb.110:
	s_and_not1_saveexec_b32 s2, s2
; %bb.111:
	v_and_b32_e32 v8, 0xffff, v80
	v_or_b32_e32 v9, 0x10000, v80
	s_delay_alu instid0(VALU_DEP_2) | instskip(NEXT) | instid1(VALU_DEP_2)
	v_cmp_eq_u32_e32 vcc_lo, 0, v8
	v_cndmask_b32_e32 v8, v9, v80, vcc_lo
; %bb.112:
	s_or_b32 exec_lo, exec_lo, s2
	s_delay_alu instid0(VALU_DEP_1)
	v_perm_b32 v7, v8, v7, 0x7060302
	v_perm_b32 v6, v6, v5, 0x7060302
	;; [unrolled: 1-line block ×4, first 2 shown]
	v_lshl_or_b32 v9, v83, 4, v90
	s_barrier
	buffer_gl0_inv
	v_cmp_eq_u32_e32 vcc_lo, 1, v87
	ds_store_b128 v9, v[4:7]
	s_waitcnt lgkmcnt(0)
	s_barrier
	buffer_gl0_inv
	ds_load_b128 v[1:4], v90
	ds_load_b128 v[5:8], v90 offset:16
	v_cmp_eq_u32_e64 s3, 2, v87
	v_cmp_eq_u32_e64 s2, 1, v88
	;; [unrolled: 1-line block ×5, first 2 shown]
	s_waitcnt lgkmcnt(1)
	v_lshrrev_b32_e32 v10, 16, v1
	s_waitcnt lgkmcnt(0)
	v_lshrrev_b32_e32 v14, 16, v5
	v_lshrrev_b32_e32 v15, 16, v6
	;; [unrolled: 1-line block ×4, first 2 shown]
	v_cndmask_b32_e64 v20, v1, v10, s2
	v_cndmask_b32_e32 v19, v5, v14, vcc_lo
	v_cndmask_b32_e64 v21, v5, v14, s2
	v_lshrrev_b32_e32 v16, 16, v7
	v_cmp_eq_u32_e64 s2, 1, v86
	v_lshrrev_b32_e32 v13, 16, v4
	v_cndmask_b32_e64 v19, v19, v6, s3
	v_lshrrev_b32_e32 v17, 16, v8
	s_delay_alu instid0(VALU_DEP_4) | instskip(SKIP_1) | instid1(VALU_DEP_4)
	v_cndmask_b32_e64 v22, v1, v10, s2
	v_cndmask_b32_e64 v23, v5, v14, s2
	v_cndmask_b32_e64 v19, v19, v15, s4
	v_cndmask_b32_e32 v18, v1, v10, vcc_lo
	v_cmp_eq_u32_e32 vcc_lo, 2, v88
	v_cmp_eq_u32_e64 s2, 2, v89
	v_cndmask_b32_e64 v22, v22, v2, s6
	v_cndmask_b32_e32 v20, v20, v2, vcc_lo
	v_cndmask_b32_e32 v21, v21, v6, vcc_lo
	v_cmp_eq_u32_e32 vcc_lo, 4, v87
	v_cndmask_b32_e32 v19, v19, v7, vcc_lo
	v_cndmask_b32_e64 v18, v18, v2, s3
	v_cmp_eq_u32_e64 s3, 3, v88
	s_delay_alu instid0(VALU_DEP_2) | instskip(NEXT) | instid1(VALU_DEP_2)
	v_cndmask_b32_e64 v18, v18, v11, s4
	v_cndmask_b32_e64 v21, v21, v15, s3
	v_cmp_eq_u32_e64 s4, 5, v87
	s_delay_alu instid0(VALU_DEP_3) | instskip(SKIP_1) | instid1(VALU_DEP_3)
	v_cndmask_b32_e32 v18, v18, v3, vcc_lo
	v_cmp_eq_u32_e32 vcc_lo, 4, v88
	v_cndmask_b32_e64 v19, v19, v16, s4
	s_delay_alu instid0(VALU_DEP_3) | instskip(SKIP_4) | instid1(VALU_DEP_3)
	v_cndmask_b32_e64 v18, v18, v12, s4
	v_cndmask_b32_e32 v21, v21, v7, vcc_lo
	v_cndmask_b32_e64 v20, v20, v11, s3
	v_cmp_eq_u32_e64 s3, 5, v88
	v_cmp_eq_u32_e64 s4, 6, v87
	v_cndmask_b32_e32 v20, v20, v3, vcc_lo
	s_delay_alu instid0(VALU_DEP_3) | instskip(SKIP_1) | instid1(VALU_DEP_4)
	v_cndmask_b32_e64 v21, v21, v16, s3
	v_cmp_eq_u32_e32 vcc_lo, 6, v88
	v_cndmask_b32_e64 v18, v18, v4, s4
	v_cndmask_b32_e64 v19, v19, v8, s4
	;; [unrolled: 1-line block ×3, first 2 shown]
	v_cmp_eq_u32_e64 s3, 1, v89
	v_cmp_eq_u32_e64 s4, 7, v87
	s_delay_alu instid0(VALU_DEP_3) | instskip(NEXT) | instid1(VALU_DEP_3)
	v_cndmask_b32_e32 v20, v20, v4, vcc_lo
	v_cndmask_b32_e64 v1, v1, v10, s3
	v_cndmask_b32_e64 v5, v5, v14, s3
	v_cmp_eq_u32_e64 s3, 3, v86
	v_cndmask_b32_e64 v14, v23, v6, s6
	v_cmp_eq_u32_e64 s6, 3, v89
	v_cndmask_b32_e64 v1, v1, v2, s2
	v_cndmask_b32_e64 v2, v5, v6, s2
	;; [unrolled: 1-line block ×3, first 2 shown]
	v_cmp_eq_u32_e64 s2, 4, v86
	v_cndmask_b32_e64 v6, v14, v15, s3
	v_cndmask_b32_e64 v1, v1, v11, s6
	v_cmp_eq_u32_e64 s3, 4, v89
	v_cndmask_b32_e64 v2, v2, v15, s6
	v_cndmask_b32_e64 v5, v10, v3, s2
	v_cmp_eq_u32_e64 s6, 5, v86
	v_cndmask_b32_e64 v6, v6, v7, s2
	v_cndmask_b32_e64 v1, v1, v3, s3
	v_cndmask_b32_e64 v2, v2, v7, s3
	v_cmp_eq_u32_e64 s2, 5, v89
	v_cndmask_b32_e64 v5, v5, v12, s6
	v_cmp_eq_u32_e64 s3, 6, v86
	v_cndmask_b32_e64 v3, v6, v16, s6
	v_cmp_eq_u32_e64 s6, 6, v89
	v_cndmask_b32_e64 v1, v1, v12, s2
	v_cndmask_b32_e64 v2, v2, v16, s2
	;; [unrolled: 1-line block ×4, first 2 shown]
	v_cmp_eq_u32_e64 s2, 7, v89
	v_cndmask_b32_e64 v1, v1, v4, s6
	v_cndmask_b32_e64 v2, v2, v8, s6
	v_cmp_eq_u32_e64 s3, 7, v86
	v_cndmask_b32_e32 v4, v21, v8, vcc_lo
	v_cndmask_b32_e64 v18, v18, v13, s4
	v_cndmask_b32_e64 v20, v20, v13, s5
	;; [unrolled: 1-line block ×8, first 2 shown]
	s_mov_b32 s2, exec_lo
	v_perm_b32 v4, v2, v1, 0x5040100
	v_perm_b32 v3, v3, v5, 0x5040100
	;; [unrolled: 1-line block ×4, first 2 shown]
	ds_store_b128 v9, v[1:4]
	s_waitcnt lgkmcnt(0)
	s_barrier
	buffer_gl0_inv
	v_cmpx_gt_u32_e32 32, v0
	s_cbranch_execz .LBB737_2
; %bb.113:
	s_load_b64 s[0:1], s[0:1], 0x68
	s_lshl_b32 s4, s34, 7
	v_or_b32_e32 v2, s29, v83
	s_mul_i32 s2, s4, s30
	v_lshlrev_b32_e32 v1, 10, v0
	s_mul_i32 s2, s2, s7
	v_lshlrev_b32_e32 v3, 4, v84
	v_mul_lo_u32 v0, v2, s4
	s_ashr_i32 s3, s2, 31
	v_lshlrev_b32_e32 v4, 6, v83
	v_and_b32_e32 v1, 0x3800, v1
	v_or_b32_e32 v5, 2, v2
	s_lshl_b64 s[2:3], s[2:3], 1
	v_or_b32_e32 v6, 4, v2
	v_or_b32_e32 v7, 6, v2
	v_or3_b32 v12, v1, v3, v4
	v_ashrrev_i32_e32 v1, 31, v0
	v_mul_lo_u32 v2, v5, s4
	v_mul_lo_u32 v16, v6, s4
	;; [unrolled: 1-line block ×3, first 2 shown]
	s_waitcnt lgkmcnt(0)
	s_add_u32 s2, s0, s2
	s_addc_u32 s3, s1, s3
	s_lshl_b32 s0, s14, 7
	v_lshlrev_b64 v[0:1], 1, v[0:1]
	s_ashr_i32 s1, s0, 31
	v_ashrrev_i32_e32 v3, 31, v2
	s_lshl_b64 s[0:1], s[0:1], 1
	v_ashrrev_i32_e32 v17, 31, v16
	s_add_u32 s0, s2, s0
	s_addc_u32 s1, s3, s1
	v_add_co_u32 v24, vcc_lo, s0, v81
	v_add_co_ci_u32_e32 v25, vcc_lo, s1, v82, vcc_lo
	v_lshlrev_b64 v[22:23], 1, v[2:3]
	s_delay_alu instid0(VALU_DEP_3) | instskip(NEXT) | instid1(VALU_DEP_3)
	v_add_co_u32 v18, vcc_lo, v24, v0
	v_add_co_ci_u32_e32 v19, vcc_lo, v25, v1, vcc_lo
	ds_load_b128 v[0:3], v12
	ds_load_b128 v[4:7], v12 offset:128
	ds_load_b128 v[8:11], v12 offset:256
	;; [unrolled: 1-line block ×3, first 2 shown]
	v_ashrrev_i32_e32 v21, 31, v20
	v_lshlrev_b64 v[16:17], 1, v[16:17]
	v_add_co_u32 v22, vcc_lo, v24, v22
	v_add_co_ci_u32_e32 v23, vcc_lo, v25, v23, vcc_lo
	s_delay_alu instid0(VALU_DEP_4) | instskip(NEXT) | instid1(VALU_DEP_4)
	v_lshlrev_b64 v[20:21], 1, v[20:21]
	v_add_co_u32 v16, vcc_lo, v24, v16
	v_add_co_ci_u32_e32 v17, vcc_lo, v25, v17, vcc_lo
	s_delay_alu instid0(VALU_DEP_3) | instskip(NEXT) | instid1(VALU_DEP_4)
	v_add_co_u32 v20, vcc_lo, v24, v20
	v_add_co_ci_u32_e32 v21, vcc_lo, v25, v21, vcc_lo
	s_waitcnt lgkmcnt(3)
	global_store_b128 v[18:19], v[0:3], off
	s_waitcnt lgkmcnt(2)
	global_store_b128 v[22:23], v[4:7], off
	;; [unrolled: 2-line block ×4, first 2 shown]
	s_nop 0
	s_sendmsg sendmsg(MSG_DEALLOC_VGPRS)
	s_endpgm
	.section	.rodata,"a",@progbits
	.p2align	6, 0x0
	.amdhsa_kernel _Z39paged_attention_ll4mi_QKV_mfma16_kernelI14__hip_bfloat16S0_LN4vllm18Fp8KVCacheDataTypeE0ES0_Li32ELi128ELi256ELb1ELi8EL8MFMAType0EEvPKT_PKT0_S9_ifPKiSB_SB_iPKfiiiPfSE_PS4_PT2_iSD_SD_
		.amdhsa_group_segment_fixed_size 17472
		.amdhsa_private_segment_fixed_size 0
		.amdhsa_kernarg_size 400
		.amdhsa_user_sgpr_count 13
		.amdhsa_user_sgpr_dispatch_ptr 0
		.amdhsa_user_sgpr_queue_ptr 0
		.amdhsa_user_sgpr_kernarg_segment_ptr 1
		.amdhsa_user_sgpr_dispatch_id 0
		.amdhsa_user_sgpr_private_segment_size 0
		.amdhsa_wavefront_size32 1
		.amdhsa_uses_dynamic_stack 0
		.amdhsa_enable_private_segment 0
		.amdhsa_system_sgpr_workgroup_id_x 1
		.amdhsa_system_sgpr_workgroup_id_y 1
		.amdhsa_system_sgpr_workgroup_id_z 1
		.amdhsa_system_sgpr_workgroup_info 0
		.amdhsa_system_vgpr_workitem_id 0
		.amdhsa_next_free_vgpr 157
		.amdhsa_next_free_sgpr 40
		.amdhsa_reserve_vcc 1
		.amdhsa_float_round_mode_32 0
		.amdhsa_float_round_mode_16_64 0
		.amdhsa_float_denorm_mode_32 3
		.amdhsa_float_denorm_mode_16_64 3
		.amdhsa_dx10_clamp 1
		.amdhsa_ieee_mode 1
		.amdhsa_fp16_overflow 0
		.amdhsa_workgroup_processor_mode 1
		.amdhsa_memory_ordered 1
		.amdhsa_forward_progress 0
		.amdhsa_shared_vgpr_count 0
		.amdhsa_exception_fp_ieee_invalid_op 0
		.amdhsa_exception_fp_denorm_src 0
		.amdhsa_exception_fp_ieee_div_zero 0
		.amdhsa_exception_fp_ieee_overflow 0
		.amdhsa_exception_fp_ieee_underflow 0
		.amdhsa_exception_fp_ieee_inexact 0
		.amdhsa_exception_int_div_zero 0
	.end_amdhsa_kernel
	.section	.text._Z39paged_attention_ll4mi_QKV_mfma16_kernelI14__hip_bfloat16S0_LN4vllm18Fp8KVCacheDataTypeE0ES0_Li32ELi128ELi256ELb1ELi8EL8MFMAType0EEvPKT_PKT0_S9_ifPKiSB_SB_iPKfiiiPfSE_PS4_PT2_iSD_SD_,"axG",@progbits,_Z39paged_attention_ll4mi_QKV_mfma16_kernelI14__hip_bfloat16S0_LN4vllm18Fp8KVCacheDataTypeE0ES0_Li32ELi128ELi256ELb1ELi8EL8MFMAType0EEvPKT_PKT0_S9_ifPKiSB_SB_iPKfiiiPfSE_PS4_PT2_iSD_SD_,comdat
.Lfunc_end737:
	.size	_Z39paged_attention_ll4mi_QKV_mfma16_kernelI14__hip_bfloat16S0_LN4vllm18Fp8KVCacheDataTypeE0ES0_Li32ELi128ELi256ELb1ELi8EL8MFMAType0EEvPKT_PKT0_S9_ifPKiSB_SB_iPKfiiiPfSE_PS4_PT2_iSD_SD_, .Lfunc_end737-_Z39paged_attention_ll4mi_QKV_mfma16_kernelI14__hip_bfloat16S0_LN4vllm18Fp8KVCacheDataTypeE0ES0_Li32ELi128ELi256ELb1ELi8EL8MFMAType0EEvPKT_PKT0_S9_ifPKiSB_SB_iPKfiiiPfSE_PS4_PT2_iSD_SD_
                                        ; -- End function
	.section	.AMDGPU.csdata,"",@progbits
; Kernel info:
; codeLenInByte = 9752
; NumSgprs: 42
; NumVgprs: 157
; ScratchSize: 0
; MemoryBound: 0
; FloatMode: 240
; IeeeMode: 1
; LDSByteSize: 17472 bytes/workgroup (compile time only)
; SGPRBlocks: 5
; VGPRBlocks: 19
; NumSGPRsForWavesPerEU: 42
; NumVGPRsForWavesPerEU: 157
; Occupancy: 9
; WaveLimiterHint : 1
; COMPUTE_PGM_RSRC2:SCRATCH_EN: 0
; COMPUTE_PGM_RSRC2:USER_SGPR: 13
; COMPUTE_PGM_RSRC2:TRAP_HANDLER: 0
; COMPUTE_PGM_RSRC2:TGID_X_EN: 1
; COMPUTE_PGM_RSRC2:TGID_Y_EN: 1
; COMPUTE_PGM_RSRC2:TGID_Z_EN: 1
; COMPUTE_PGM_RSRC2:TIDIG_COMP_CNT: 0
	.section	.text._Z39paged_attention_ll4mi_QKV_mfma16_kernelI14__hip_bfloat16S0_LN4vllm18Fp8KVCacheDataTypeE0ES0_Li32ELi128ELi256ELb1ELi9EL8MFMAType0EEvPKT_PKT0_S9_ifPKiSB_SB_iPKfiiiPfSE_PS4_PT2_iSD_SD_,"axG",@progbits,_Z39paged_attention_ll4mi_QKV_mfma16_kernelI14__hip_bfloat16S0_LN4vllm18Fp8KVCacheDataTypeE0ES0_Li32ELi128ELi256ELb1ELi9EL8MFMAType0EEvPKT_PKT0_S9_ifPKiSB_SB_iPKfiiiPfSE_PS4_PT2_iSD_SD_,comdat
	.protected	_Z39paged_attention_ll4mi_QKV_mfma16_kernelI14__hip_bfloat16S0_LN4vllm18Fp8KVCacheDataTypeE0ES0_Li32ELi128ELi256ELb1ELi9EL8MFMAType0EEvPKT_PKT0_S9_ifPKiSB_SB_iPKfiiiPfSE_PS4_PT2_iSD_SD_ ; -- Begin function _Z39paged_attention_ll4mi_QKV_mfma16_kernelI14__hip_bfloat16S0_LN4vllm18Fp8KVCacheDataTypeE0ES0_Li32ELi128ELi256ELb1ELi9EL8MFMAType0EEvPKT_PKT0_S9_ifPKiSB_SB_iPKfiiiPfSE_PS4_PT2_iSD_SD_
	.globl	_Z39paged_attention_ll4mi_QKV_mfma16_kernelI14__hip_bfloat16S0_LN4vllm18Fp8KVCacheDataTypeE0ES0_Li32ELi128ELi256ELb1ELi9EL8MFMAType0EEvPKT_PKT0_S9_ifPKiSB_SB_iPKfiiiPfSE_PS4_PT2_iSD_SD_
	.p2align	8
	.type	_Z39paged_attention_ll4mi_QKV_mfma16_kernelI14__hip_bfloat16S0_LN4vllm18Fp8KVCacheDataTypeE0ES0_Li32ELi128ELi256ELb1ELi9EL8MFMAType0EEvPKT_PKT0_S9_ifPKiSB_SB_iPKfiiiPfSE_PS4_PT2_iSD_SD_,@function
_Z39paged_attention_ll4mi_QKV_mfma16_kernelI14__hip_bfloat16S0_LN4vllm18Fp8KVCacheDataTypeE0ES0_Li32ELi128ELi256ELb1ELi9EL8MFMAType0EEvPKT_PKT0_S9_ifPKiSB_SB_iPKfiiiPfSE_PS4_PT2_iSD_SD_: ; @_Z39paged_attention_ll4mi_QKV_mfma16_kernelI14__hip_bfloat16S0_LN4vllm18Fp8KVCacheDataTypeE0ES0_Li32ELi128ELi256ELb1ELi9EL8MFMAType0EEvPKT_PKT0_S9_ifPKiSB_SB_iPKfiiiPfSE_PS4_PT2_iSD_SD_
; %bb.0:
	s_load_b64 s[2:3], s[0:1], 0x30
	s_mov_b32 s30, s13
	s_waitcnt lgkmcnt(0)
	s_cmp_lg_u64 s[2:3], 0
	s_cselect_b32 s6, -1, 0
	s_ashr_i32 s31, s13, 31
	s_cmp_eq_u64 s[2:3], 0
	s_cbranch_scc1 .LBB738_3
; %bb.1:
	s_lshl_b64 s[4:5], s[30:31], 2
	s_delay_alu instid0(SALU_CYCLE_1) | instskip(SKIP_4) | instid1(SALU_CYCLE_1)
	s_add_u32 s4, s2, s4
	s_addc_u32 s5, s3, s5
	s_load_b64 s[4:5], s[4:5], 0x0
	s_waitcnt lgkmcnt(0)
	s_sub_i32 s4, s5, s4
	s_cmp_eq_u32 s4, 1
	s_cselect_b32 s4, -1, 0
	s_delay_alu instid0(SALU_CYCLE_1)
	s_and_not1_b32 vcc_lo, exec_lo, s4
	s_cbranch_vccz .LBB738_4
.LBB738_2:
	s_nop 0
	s_sendmsg sendmsg(MSG_DEALLOC_VGPRS)
	s_endpgm
.LBB738_3:
.LBB738_4:
	s_load_b64 s[8:9], s[0:1], 0x28
	s_lshl_b64 s[4:5], s[30:31], 2
	s_waitcnt lgkmcnt(0)
	s_add_u32 s8, s8, s4
	s_addc_u32 s9, s9, s5
	s_lshl_b32 s12, s14, 8
	s_load_b32 s17, s[8:9], 0x0
	s_waitcnt lgkmcnt(0)
	s_cmp_ge_i32 s12, s17
	s_cbranch_scc1 .LBB738_2
; %bb.5:
	s_and_not1_b32 vcc_lo, exec_lo, s6
	s_cbranch_vccnz .LBB738_7
; %bb.6:
	s_add_u32 s2, s2, s4
	s_addc_u32 s3, s3, s5
	s_load_b32 s13, s[2:3], 0x0
	s_branch .LBB738_8
.LBB738_7:
	s_mov_b32 s13, s30
.LBB738_8:
	s_clause 0x2
	s_load_b128 s[8:11], s[0:1], 0x8
	s_load_b64 s[2:3], s[0:1], 0x20
	s_load_b128 s[4:7], s[0:1], 0x48
	v_lshrrev_b32_e32 v74, 5, v0
	v_bfe_u32 v83, v0, 4, 1
	v_and_b32_e32 v73, 15, v0
	s_waitcnt lgkmcnt(0)
	s_mov_b32 s7, exec_lo
	s_delay_alu instid0(VALU_DEP_2) | instskip(NEXT) | instid1(VALU_DEP_2)
	v_lshl_or_b32 v3, v74, 1, v83
	v_lshlrev_b32_e32 v1, 3, v73
	s_delay_alu instid0(VALU_DEP_2)
	v_cmpx_lt_u32_e32 8, v3
	s_xor_b32 s7, exec_lo, s7
; %bb.9:
	v_mov_b32_e32 v2, 0
                                        ; implicit-def: $vgpr3
; %bb.10:
	s_or_saveexec_b32 s7, s7
	v_and_b32_e32 v75, 31, v0
	v_and_b32_e32 v84, 1, v0
	s_mul_i32 s31, s15, 9
	s_xor_b32 exec_lo, exec_lo, s7
	s_cbranch_execz .LBB738_12
; %bb.11:
	s_load_b64 s[18:19], s[0:1], 0x0
	v_add_lshl_u32 v4, v3, s31, 7
	s_mul_hi_i32 s21, s13, s4
	s_mul_i32 s20, s13, s4
	v_lshlrev_b32_e32 v2, 1, v1
	s_lshl_b64 s[20:21], s[20:21], 1
	v_ashrrev_i32_e32 v5, 31, v4
	v_lshlrev_b32_e32 v3, 6, v3
	v_lshlrev_b32_e32 v8, 10, v84
	s_delay_alu instid0(VALU_DEP_3) | instskip(SKIP_3) | instid1(VALU_DEP_1)
	v_lshlrev_b64 v[4:5], 1, v[4:5]
	s_waitcnt lgkmcnt(0)
	s_add_u32 s4, s18, s20
	s_addc_u32 s13, s19, s21
	v_add_co_u32 v4, vcc_lo, s4, v4
	s_delay_alu instid0(VALU_DEP_2) | instskip(NEXT) | instid1(VALU_DEP_2)
	v_add_co_ci_u32_e32 v5, vcc_lo, s13, v5, vcc_lo
	v_add_co_u32 v4, vcc_lo, v4, v2
	s_delay_alu instid0(VALU_DEP_2) | instskip(SKIP_3) | instid1(VALU_DEP_1)
	v_add_co_ci_u32_e32 v5, vcc_lo, 0, v5, vcc_lo
	v_lshlrev_b32_e32 v2, 10, v73
	global_load_b128 v[4:7], v[4:5], off
	v_and_b32_e32 v2, 0x3800, v2
	v_or3_b32 v3, v2, v8, v3
	v_mov_b32_e32 v2, 0
	s_waitcnt vmcnt(0)
	ds_store_b128 v3, v[4:7]
.LBB738_12:
	s_or_b32 exec_lo, exec_lo, s7
	v_add_nc_u32_e32 v80, -9, v73
	v_and_b32_e32 v3, 0xef, v0
	s_add_i32 s4, s17, 31
	s_clause 0x1
	s_load_b32 s7, s[0:1], 0x38
	s_load_b32 s18, s[0:1], 0x1c
	s_ashr_i32 s13, s4, 31
	v_add_nc_u32_e32 v3, s12, v3
	s_lshr_b32 s13, s13, 27
	s_waitcnt lgkmcnt(0)
	s_add_i32 s4, s4, s13
	s_barrier
	v_ashrrev_i32_e32 v4, 31, v3
	v_cmp_gt_i32_e32 vcc_lo, s17, v3
	s_ashr_i32 s4, s4, 5
	buffer_gl0_inv
	s_add_i32 s4, s4, -1
	v_lshrrev_b32_e32 v5, 27, v4
	v_or_b32_e32 v4, 16, v3
	v_lshlrev_b64 v[81:82], 1, v[1:2]
	s_delay_alu instid0(VALU_DEP_3) | instskip(NEXT) | instid1(VALU_DEP_3)
	v_add_nc_u32_e32 v6, v3, v5
	v_add_nc_u32_e32 v5, v4, v5
	s_mul_i32 s20, s30, s7
	s_delay_alu instid0(SALU_CYCLE_1) | instskip(NEXT) | instid1(VALU_DEP_2)
	s_ashr_i32 s21, s20, 31
	v_ashrrev_i32_e32 v6, 5, v6
	s_delay_alu instid0(VALU_DEP_2) | instskip(SKIP_1) | instid1(SALU_CYCLE_1)
	v_ashrrev_i32_e32 v5, 5, v5
	s_lshl_b64 s[20:21], s[20:21], 2
	s_add_u32 s7, s2, s20
	s_delay_alu instid0(VALU_DEP_2) | instskip(SKIP_3) | instid1(VALU_DEP_2)
	v_cndmask_b32_e32 v3, s4, v6, vcc_lo
	v_cmp_gt_i32_e32 vcc_lo, s17, v4
	s_addc_u32 s13, s3, s21
	s_mul_i32 s2, s15, s6
	v_ashrrev_i32_e32 v4, 31, v3
	v_cndmask_b32_e32 v5, s4, v5, vcc_lo
	s_ashr_i32 s3, s2, 31
	s_delay_alu instid0(SALU_CYCLE_1) | instskip(NEXT) | instid1(VALU_DEP_2)
	s_lshl_b64 s[2:3], s[2:3], 1
	v_lshlrev_b64 v[3:4], 2, v[3:4]
	s_delay_alu instid0(VALU_DEP_2) | instskip(SKIP_3) | instid1(VALU_DEP_1)
	v_ashrrev_i32_e32 v6, 31, v5
	s_add_u32 s6, s8, s2
	s_addc_u32 s15, s9, s3
	s_lshl_b32 s8, s14, 3
	v_lshlrev_b64 v[5:6], 2, v[5:6]
	v_add_co_u32 v3, vcc_lo, s7, v3
	v_add_co_ci_u32_e32 v4, vcc_lo, s13, v4, vcc_lo
	s_ashr_i32 s9, s8, 31
	s_delay_alu instid0(VALU_DEP_3) | instskip(NEXT) | instid1(VALU_DEP_4)
	v_add_co_u32 v5, vcc_lo, s7, v5
	v_add_co_ci_u32_e32 v6, vcc_lo, s13, v6, vcc_lo
	s_clause 0x1
	global_load_b32 v7, v[3:4], off
	global_load_b32 v8, v[5:6], off
	s_lshl_b64 s[8:9], s[8:9], 2
	s_delay_alu instid0(SALU_CYCLE_1) | instskip(SKIP_2) | instid1(SALU_CYCLE_1)
	s_add_u32 s8, s7, s8
	s_addc_u32 s9, s13, s9
	s_or_b32 s16, s12, 32
	s_ashr_i32 s19, s16, 5
	s_cmp_lt_i32 s16, s17
	s_cselect_b32 s20, s19, s4
	s_delay_alu instid0(SALU_CYCLE_1) | instskip(NEXT) | instid1(SALU_CYCLE_1)
	s_ashr_i32 s21, s20, 31
	s_lshl_b64 s[20:21], s[20:21], 2
	s_delay_alu instid0(SALU_CYCLE_1) | instskip(SKIP_2) | instid1(SALU_CYCLE_1)
	s_add_u32 s20, s7, s20
	s_addc_u32 s21, s13, s21
	s_or_b32 s16, s12, 64
	s_ashr_i32 s19, s16, 5
	s_cmp_lt_i32 s16, s17
	s_cselect_b32 s22, s19, s4
	s_delay_alu instid0(SALU_CYCLE_1) | instskip(NEXT) | instid1(SALU_CYCLE_1)
	s_ashr_i32 s23, s22, 31
	;; [unrolled: 10-line block ×5, first 2 shown]
	s_lshl_b64 s[28:29], s[28:29], 2
	s_delay_alu instid0(SALU_CYCLE_1)
	s_add_u32 s28, s7, s28
	s_addc_u32 s29, s13, s29
	s_clause 0x5
	s_load_b32 s16, s[8:9], 0x0
	s_load_b32 s19, s[20:21], 0x0
	;; [unrolled: 1-line block ×6, first 2 shown]
	s_mov_b32 s20, 0
	s_delay_alu instid0(SALU_CYCLE_1)
	s_mov_b32 s27, s20
	s_mov_b32 s24, s20
	;; [unrolled: 1-line block ×7, first 2 shown]
	v_dual_mov_b32 v108, s27 :: v_dual_mov_b32 v105, s24
	v_dual_mov_b32 v107, s26 :: v_dual_mov_b32 v106, s25
	;; [unrolled: 1-line block ×4, first 2 shown]
	s_waitcnt lgkmcnt(0)
	s_mul_hi_i32 s29, s34, s5
	s_mul_i32 s28, s34, s5
	s_mul_hi_i32 s21, s16, s5
	s_mul_i32 s20, s16, s5
	;; [unrolled: 2-line block ×5, first 2 shown]
	s_waitcnt vmcnt(1)
	v_mad_i64_i32 v[3:4], null, v7, s5, 0
	s_waitcnt vmcnt(0)
	v_mad_i64_i32 v[5:6], null, v8, s5, 0
	s_delay_alu instid0(VALU_DEP_2) | instskip(NEXT) | instid1(VALU_DEP_2)
	v_lshlrev_b64 v[3:4], 1, v[3:4]
	v_lshlrev_b64 v[1:2], 1, v[5:6]
	s_delay_alu instid0(VALU_DEP_2) | instskip(NEXT) | instid1(VALU_DEP_3)
	v_add_co_u32 v3, vcc_lo, s6, v3
	v_add_co_ci_u32_e32 v4, vcc_lo, s15, v4, vcc_lo
	s_delay_alu instid0(VALU_DEP_3) | instskip(NEXT) | instid1(VALU_DEP_4)
	v_add_co_u32 v1, vcc_lo, s6, v1
	v_add_co_ci_u32_e32 v2, vcc_lo, s15, v2, vcc_lo
	s_delay_alu instid0(VALU_DEP_4) | instskip(NEXT) | instid1(VALU_DEP_4)
	v_add_co_u32 v65, vcc_lo, v3, v81
	v_add_co_ci_u32_e32 v66, vcc_lo, v4, v82, vcc_lo
	s_delay_alu instid0(VALU_DEP_4) | instskip(NEXT) | instid1(VALU_DEP_4)
	v_add_co_u32 v76, vcc_lo, v1, v81
	v_add_co_ci_u32_e32 v77, vcc_lo, v2, v82, vcc_lo
	s_clause 0xf
	global_load_b128 v[1:4], v[65:66], off
	global_load_b128 v[5:8], v[65:66], off offset:512
	global_load_b128 v[9:12], v[76:77], off offset:256
	;; [unrolled: 1-line block ×15, first 2 shown]
	v_add_co_u32 v78, vcc_lo, 0x1000, v65
	v_add_co_ci_u32_e32 v79, vcc_lo, 0, v66, vcc_lo
	v_cmp_gt_u32_e32 vcc_lo, 9, v73
	s_clause 0x1
	global_load_b128 v[65:68], v[78:79], off
	global_load_b128 v[69:72], v[78:79], off offset:512
	s_or_b32 s6, s12, 0xc0
	v_cndmask_b32_e32 v80, v80, v73, vcc_lo
	v_add_co_u32 v76, vcc_lo, 0x1000, v76
	v_add_co_ci_u32_e32 v77, vcc_lo, 0, v77, vcc_lo
	s_delay_alu instid0(VALU_DEP_3)
	v_lshlrev_b32_e32 v80, 6, v80
	ds_load_b128 v[85:88], v80
	ds_load_b128 v[89:92], v80 offset:1024
	s_clause 0x1
	global_load_b128 v[93:96], v[76:77], off offset:256
	global_load_b128 v[97:100], v[76:77], off offset:768
	ds_load_b128 v[109:112], v80 offset:2048
	ds_load_b128 v[113:116], v80 offset:3072
	s_ashr_i32 s8, s6, 5
	s_cmp_lt_i32 s6, s17
	s_cselect_b32 s8, s8, s4
	s_delay_alu instid0(SALU_CYCLE_1) | instskip(NEXT) | instid1(SALU_CYCLE_1)
	s_ashr_i32 s9, s8, 31
	s_lshl_b64 s[8:9], s[8:9], 2
	s_delay_alu instid0(SALU_CYCLE_1) | instskip(SKIP_2) | instid1(SALU_CYCLE_1)
	s_add_u32 s8, s7, s8
	s_addc_u32 s9, s13, s9
	s_or_b32 s6, s12, 0xe0
	s_ashr_i32 s15, s6, 5
	s_cmp_lt_i32 s6, s17
	s_cselect_b32 s24, s15, s4
	s_delay_alu instid0(SALU_CYCLE_1) | instskip(NEXT) | instid1(SALU_CYCLE_1)
	s_ashr_i32 s25, s24, 31
	s_lshl_b64 s[24:25], s[24:25], 2
	s_delay_alu instid0(SALU_CYCLE_1) | instskip(SKIP_2) | instid1(SALU_CYCLE_1)
	s_add_u32 s24, s7, s24
	s_addc_u32 s25, s13, s25
	s_add_i32 s6, s12, 0x100
	s_ashr_i32 s15, s6, 5
	s_cmp_lt_i32 s6, s17
	s_cselect_b32 s34, s15, s4
	s_waitcnt vmcnt(18) lgkmcnt(2)
	v_wmma_f32_16x16x16_bf16 v[117:124], v[1:8], v[85:92], v[101:108]
	s_waitcnt vmcnt(16)
	v_wmma_f32_16x16x16_bf16 v[101:108], v[9:16], v[85:92], v[101:108]
	s_clause 0x3
	global_load_b128 v[1:4], v[78:79], off offset:1024
	global_load_b128 v[5:8], v[78:79], off offset:1536
	;; [unrolled: 1-line block ×4, first 2 shown]
	s_waitcnt vmcnt(18) lgkmcnt(0)
	v_wmma_f32_16x16x16_bf16 v[117:124], v[17:24], v[109:116], v[117:124]
	s_clause 0x1
	global_load_b128 v[17:20], v[78:79], off offset:2048
	global_load_b128 v[21:24], v[78:79], off offset:2560
	s_waitcnt vmcnt(18)
	v_wmma_f32_16x16x16_bf16 v[101:108], v[25:32], v[109:116], v[101:108]
	ds_load_b128 v[25:28], v80 offset:4096
	ds_load_b128 v[29:32], v80 offset:5120
	s_clause 0x5
	global_load_b128 v[109:112], v[76:77], off offset:2304
	global_load_b128 v[113:116], v[76:77], off offset:2816
	;; [unrolled: 1-line block ×6, first 2 shown]
	s_waitcnt vmcnt(22) lgkmcnt(0)
	v_wmma_f32_16x16x16_bf16 v[117:124], v[33:40], v[25:32], v[117:124]
	s_waitcnt vmcnt(20)
	v_wmma_f32_16x16x16_bf16 v[101:108], v[41:48], v[25:32], v[101:108]
	ds_load_b128 v[25:28], v80 offset:6144
	ds_load_b128 v[29:32], v80 offset:7168
	;; [unrolled: 1-line block ×4, first 2 shown]
	s_waitcnt vmcnt(18) lgkmcnt(2)
	v_wmma_f32_16x16x16_bf16 v[117:124], v[49:56], v[25:32], v[117:124]
	s_waitcnt vmcnt(16)
	v_wmma_f32_16x16x16_bf16 v[101:108], v[57:64], v[25:32], v[101:108]
	ds_load_b128 v[25:28], v80 offset:10240
	ds_load_b128 v[29:32], v80 offset:11264
	;; [unrolled: 1-line block ×6, first 2 shown]
	s_waitcnt vmcnt(14) lgkmcnt(6)
	v_wmma_f32_16x16x16_bf16 v[117:124], v[65:72], v[33:40], v[117:124]
	s_load_b32 s16, s[8:9], 0x0
	s_mul_hi_i32 s9, s35, s5
	s_mul_i32 s8, s35, s5
	s_ashr_i32 s35, s34, 31
	s_waitcnt vmcnt(12)
	v_wmma_f32_16x16x16_bf16 v[101:108], v[93:100], v[33:40], v[101:108]
	s_lshl_b64 s[34:35], s[34:35], 2
	s_delay_alu instid0(SALU_CYCLE_1)
	s_add_u32 s6, s7, s34
	s_addc_u32 s7, s13, s35
	s_add_u32 s4, s10, s2
	s_addc_u32 s19, s11, s3
	s_lshl_b64 s[2:3], s[20:21], 1
	s_clause 0x1
	s_load_b32 s13, s[24:25], 0x0
	s_load_b32 s15, s[6:7], 0x0
	s_lshl_b64 s[6:7], s[22:23], 1
	s_lshl_b64 s[10:11], s[26:27], 1
	;; [unrolled: 1-line block ×5, first 2 shown]
	s_waitcnt lgkmcnt(0)
	s_mul_hi_i32 s25, s16, s5
	s_mul_i32 s24, s16, s5
	s_waitcnt vmcnt(10)
	v_wmma_f32_16x16x16_bf16 v[117:124], v[1:8], v[25:32], v[117:124]
	s_waitcnt vmcnt(8)
	v_wmma_f32_16x16x16_bf16 v[101:108], v[9:16], v[25:32], v[101:108]
	s_waitcnt vmcnt(6)
	s_delay_alu instid0(VALU_DEP_2) | instskip(SKIP_1) | instid1(VALU_DEP_2)
	v_wmma_f32_16x16x16_bf16 v[117:124], v[17:24], v[141:148], v[117:124]
	s_waitcnt vmcnt(4)
	v_wmma_f32_16x16x16_bf16 v[101:108], v[109:116], v[141:148], v[101:108]
	s_waitcnt vmcnt(2)
	s_delay_alu instid0(VALU_DEP_2) | instskip(SKIP_3) | instid1(VALU_DEP_3)
	v_wmma_f32_16x16x16_bf16 v[117:124], v[125:132], v[149:156], v[117:124]
	v_lshlrev_b32_e32 v85, 6, v73
	s_waitcnt vmcnt(0)
	v_wmma_f32_16x16x16_bf16 v[101:108], v[133:140], v[149:156], v[101:108]
	v_mul_f32_e32 v100, s18, v124
	s_delay_alu instid0(VALU_DEP_3) | instskip(SKIP_2) | instid1(VALU_DEP_3)
	v_lshl_or_b32 v41, v74, 10, v85
	v_mul_f32_e32 v99, s18, v118
	v_mul_f32_e32 v97, s18, v117
	v_add_co_u32 v76, s4, s4, v41
	s_delay_alu instid0(VALU_DEP_1) | instskip(NEXT) | instid1(VALU_DEP_2)
	v_add_co_ci_u32_e64 v77, null, s19, 0, s4
	v_add_co_u32 v41, vcc_lo, v76, s2
	s_delay_alu instid0(VALU_DEP_2)
	v_add_co_ci_u32_e32 v42, vcc_lo, s3, v77, vcc_lo
	v_add_co_u32 v33, vcc_lo, v76, s6
	v_add_co_ci_u32_e32 v34, vcc_lo, s7, v77, vcc_lo
	v_add_co_u32 v35, vcc_lo, v76, s10
	;; [unrolled: 2-line block ×5, first 2 shown]
	s_lshl_b64 s[2:3], s[24:25], 1
	v_add_co_ci_u32_e32 v6, vcc_lo, s23, v77, vcc_lo
	s_mul_hi_i32 s7, s13, s5
	s_mul_i32 s6, s13, s5
	v_add_co_u32 v17, vcc_lo, v76, s2
	v_add_co_ci_u32_e32 v18, vcc_lo, s3, v77, vcc_lo
	s_lshl_b64 s[2:3], s[6:7], 1
	s_mul_hi_i32 s7, s15, s5
	s_mul_i32 s6, s15, s5
	v_add_co_u32 v19, vcc_lo, v76, s2
	v_add_co_ci_u32_e32 v20, vcc_lo, s3, v77, vcc_lo
	s_lshl_b64 s[2:3], s[6:7], 1
	s_clause 0x1
	global_load_b128 v[65:68], v[41:42], off
	global_load_b128 v[69:72], v[41:42], off offset:16
	v_add_co_u32 v21, vcc_lo, v76, s2
	v_add_co_ci_u32_e32 v22, vcc_lo, s3, v77, vcc_lo
	s_clause 0xf
	global_load_b128 v[57:60], v[33:34], off
	global_load_b128 v[61:64], v[33:34], off offset:16
	global_load_b128 v[49:52], v[35:36], off
	global_load_b128 v[53:56], v[35:36], off offset:16
	global_load_b128 v[41:44], v[37:38], off
	global_load_b128 v[45:48], v[37:38], off offset:16
	global_load_b128 v[9:12], v[39:40], off
	global_load_b128 v[13:16], v[39:40], off offset:16
	global_load_b128 v[1:4], v[5:6], off
	global_load_b128 v[5:8], v[5:6], off offset:16
	global_load_b128 v[33:36], v[17:18], off
	global_load_b128 v[37:40], v[17:18], off offset:16
	global_load_b128 v[25:28], v[19:20], off
	global_load_b128 v[29:32], v[19:20], off offset:16
	global_load_b128 v[17:20], v[21:22], off
	global_load_b128 v[21:24], v[21:22], off offset:16
	v_mbcnt_lo_u32_b32 v77, -1, 0
	s_waitcnt vmcnt(0)
	s_barrier
	buffer_gl0_inv
	v_xor_b32_e32 v78, 16, v77
	s_delay_alu instid0(VALU_DEP_1) | instskip(SKIP_1) | instid1(VALU_DEP_1)
	v_cmp_gt_i32_e32 vcc_lo, 32, v78
	v_dual_cndmask_b32 v77, v77, v78 :: v_dual_and_b32 v76, 0xe0, v0
	v_add_nc_u32_e32 v76, s12, v76
	s_delay_alu instid0(VALU_DEP_1) | instskip(NEXT) | instid1(VALU_DEP_1)
	v_or_b32_e32 v76, v76, v83
	v_or_b32_e32 v78, 2, v76
	;; [unrolled: 1-line block ×4, first 2 shown]
	v_cmp_gt_i32_e32 vcc_lo, s17, v76
	v_or_b32_e32 v86, 8, v76
	v_cmp_gt_i32_e64 s2, s17, v78
	v_or_b32_e32 v87, 10, v76
	v_or_b32_e32 v88, 12, v76
	;; [unrolled: 1-line block ×11, first 2 shown]
	v_cndmask_b32_e32 v76, 0xff7fffff, v97, vcc_lo
	v_cmp_gt_i32_e64 s3, s17, v80
	v_mul_f32_e32 v80, s18, v119
	v_cndmask_b32_e64 v78, 0xff7fffff, v99, s2
	v_mul_f32_e32 v99, s18, v120
	v_cmp_gt_i32_e64 s4, s17, v79
	v_mul_f32_e32 v97, s18, v123
	v_mul_f32_e32 v79, s18, v122
	v_max3_f32 v76, v76, 0xff7fffff, v78
	v_mul_f32_e32 v78, s18, v121
	v_cndmask_b32_e64 v80, 0xff7fffff, v80, s4
	v_cmp_gt_i32_e64 s5, s17, v86
	v_cmp_gt_i32_e64 s6, s17, v87
	v_mul_f32_e32 v86, s18, v107
	v_cndmask_b32_e64 v99, 0xff7fffff, v99, s3
	v_cmp_gt_i32_e64 s7, s17, v89
	v_cndmask_b32_e64 v78, 0xff7fffff, v78, s5
	v_cmp_gt_i32_e64 s8, s17, v88
	v_mul_f32_e32 v89, s18, v101
	v_max3_f32 v76, v76, v80, v99
	v_mul_f32_e32 v80, s18, v108
	v_cndmask_b32_e64 v79, 0xff7fffff, v79, s6
	v_dual_mul_f32 v99, s18, v105 :: v_dual_mul_f32 v88, s18, v102
	v_cndmask_b32_e64 v97, 0xff7fffff, v97, s8
	v_cndmask_b32_e64 v100, 0xff7fffff, v100, s7
	s_delay_alu instid0(VALU_DEP_4) | instskip(SKIP_4) | instid1(VALU_DEP_4)
	v_max3_f32 v76, v76, v78, v79
	v_cmp_gt_i32_e64 s9, s17, v90
	v_cmp_gt_i32_e64 s10, s17, v91
	v_dual_mul_f32 v87, s18, v106 :: v_dual_mul_f32 v78, s18, v104
	v_mul_f32_e32 v79, s18, v103
	v_cndmask_b32_e64 v89, 0xff7fffff, v89, s9
	s_delay_alu instid0(VALU_DEP_4)
	v_cndmask_b32_e64 v88, 0xff7fffff, v88, s10
	v_max3_f32 v76, v76, v97, v100
	v_cmp_gt_i32_e64 s11, s17, v92
	v_cmp_gt_i32_e64 s12, s17, v93
	;; [unrolled: 1-line block ×4, first 2 shown]
	v_max3_f32 v76, v76, v89, v88
	v_cndmask_b32_e64 v79, 0xff7fffff, v79, s11
	v_cndmask_b32_e64 v78, 0xff7fffff, v78, s12
	;; [unrolled: 1-line block ×4, first 2 shown]
	v_cmp_gt_i32_e64 s16, s17, v96
	v_cmp_gt_i32_e64 s17, s17, v98
	v_max3_f32 v76, v76, v79, v78
	v_lshlrev_b32_e32 v99, 2, v77
	s_delay_alu instid0(VALU_DEP_4) | instskip(NEXT) | instid1(VALU_DEP_4)
	v_cndmask_b32_e64 v78, 0xff7fffff, v86, s16
	v_cndmask_b32_e64 v79, 0xff7fffff, v80, s17
	s_delay_alu instid0(VALU_DEP_4) | instskip(NEXT) | instid1(VALU_DEP_1)
	v_max3_f32 v76, v76, v88, v87
	v_max3_f32 v76, v76, v78, v79
	ds_bpermute_b32 v77, v99, v76
	s_waitcnt lgkmcnt(0)
	v_max_f32_e32 v77, v77, v77
	s_delay_alu instid0(VALU_DEP_1) | instskip(NEXT) | instid1(VALU_DEP_1)
	v_max_f32_e32 v76, v76, v77
	v_fma_f32 v78, s18, v118, -v76
	v_fma_f32 v77, s18, v117, -v76
	;; [unrolled: 1-line block ×5, first 2 shown]
	v_mul_f32_e32 v78, 0x3fb8aa3b, v78
	v_fma_f32 v87, s18, v123, -v76
	v_fma_f32 v88, s18, v105, -v76
	v_mul_f32_e32 v80, 0x3fb8aa3b, v80
	v_mul_f32_e32 v86, 0x3fb8aa3b, v86
	v_exp_f32_e32 v78, v78
	v_fma_f32 v90, s18, v107, -v76
	v_fma_f32 v100, s18, v108, -v76
	v_exp_f32_e32 v80, v80
	v_exp_f32_e32 v86, v86
	v_mul_f32_e32 v88, 0x3fb8aa3b, v88
	s_delay_alu instid0(VALU_DEP_2) | instskip(NEXT) | instid1(TRANS32_DEP_3)
	v_mul_f32_e32 v100, 0x3fb8aa3b, v100
	v_cndmask_b32_e64 v91, 0, v78, s2
	v_mul_f32_e32 v77, 0x3fb8aa3b, v77
	s_delay_alu instid0(VALU_DEP_4) | instskip(NEXT) | instid1(TRANS32_DEP_3)
	v_exp_f32_e32 v88, v88
	v_cndmask_b32_e64 v95, 0, v80, s3
	v_fma_f32 v80, s18, v101, -v76
	s_delay_alu instid0(TRANS32_DEP_2)
	v_cndmask_b32_e64 v96, 0, v86, s5
	v_exp_f32_e32 v77, v77
	v_mul_f32_e32 v79, 0x3fb8aa3b, v79
	v_fma_f32 v86, s18, v102, -v76
	v_mul_f32_e32 v80, 0x3fb8aa3b, v80
	v_cmp_gt_u32_e64 s2, 16, v75
	v_exp_f32_e32 v100, v100
	s_delay_alu instid0(VALU_DEP_2) | instskip(NEXT) | instid1(TRANS32_DEP_3)
	v_exp_f32_e32 v80, v80
	v_cndmask_b32_e32 v92, 0, v77, vcc_lo
	v_exp_f32_e32 v79, v79
	v_fma_f32 v77, s18, v122, -v76
	s_delay_alu instid0(VALU_DEP_2) | instskip(NEXT) | instid1(VALU_DEP_1)
	v_add_f32_e32 v78, 0, v92
	v_add_f32_e32 v78, v78, v91
	s_waitcnt_depctr 0xfff
	v_cndmask_b32_e64 v93, 0, v79, s4
	v_mul_f32_e32 v87, 0x3fb8aa3b, v87
	v_fma_f32 v79, s18, v124, -v76
	s_delay_alu instid0(VALU_DEP_3) | instskip(SKIP_1) | instid1(VALU_DEP_3)
	v_add_f32_e32 v78, v78, v93
	v_mul_f32_e32 v77, 0x3fb8aa3b, v77
	v_mul_f32_e32 v79, 0x3fb8aa3b, v79
	v_exp_f32_e32 v87, v87
	s_delay_alu instid0(VALU_DEP_3) | instskip(NEXT) | instid1(VALU_DEP_3)
	v_add_f32_e32 v78, v78, v95
	v_exp_f32_e32 v77, v77
	s_delay_alu instid0(VALU_DEP_2) | instskip(NEXT) | instid1(TRANS32_DEP_3)
	v_exp_f32_e32 v79, v79
	v_cndmask_b32_e64 v94, 0, v87, s8
	v_fma_f32 v87, s18, v104, -v76
	s_waitcnt_depctr 0xfff
	v_cndmask_b32_e64 v97, 0, v77, s6
	v_add_f32_e32 v77, v78, v96
	v_fma_f32 v78, s18, v103, -v76
	v_mul_f32_e32 v86, 0x3fb8aa3b, v86
	v_cndmask_b32_e64 v98, 0, v79, s7
	v_mul_f32_e32 v87, 0x3fb8aa3b, v87
	s_delay_alu instid0(VALU_DEP_4) | instskip(NEXT) | instid1(VALU_DEP_4)
	v_dual_add_f32 v77, v77, v97 :: v_dual_mul_f32 v78, 0x3fb8aa3b, v78
	v_exp_f32_e32 v86, v86
	s_delay_alu instid0(VALU_DEP_2) | instskip(NEXT) | instid1(VALU_DEP_1)
	v_exp_f32_e32 v87, v87
	v_add_f32_e32 v79, v77, v94
	s_delay_alu instid0(VALU_DEP_2) | instskip(SKIP_2) | instid1(VALU_DEP_3)
	v_exp_f32_e32 v89, v78
	v_cndmask_b32_e64 v77, 0, v80, s9
	v_fma_f32 v80, s18, v106, -v76
	v_add_f32_e32 v79, v79, v98
	s_delay_alu instid0(TRANS32_DEP_3) | instskip(NEXT) | instid1(VALU_DEP_3)
	v_cndmask_b32_e64 v78, 0, v86, s10
	v_mul_f32_e32 v80, 0x3fb8aa3b, v80
	s_delay_alu instid0(VALU_DEP_3) | instskip(NEXT) | instid1(TRANS32_DEP_1)
	v_add_f32_e32 v86, v79, v77
	v_cndmask_b32_e64 v79, 0, v89, s11
	v_mul_f32_e32 v89, 0x3fb8aa3b, v90
	s_delay_alu instid0(VALU_DEP_4) | instskip(SKIP_2) | instid1(VALU_DEP_3)
	v_exp_f32_e32 v90, v80
	v_cndmask_b32_e64 v80, 0, v87, s12
	v_add_f32_e32 v86, v86, v78
	v_exp_f32_e32 v89, v89
	s_delay_alu instid0(VALU_DEP_1) | instskip(SKIP_1) | instid1(VALU_DEP_2)
	v_add_f32_e32 v87, v86, v79
	v_cndmask_b32_e64 v86, 0, v88, s13
	v_add_f32_e32 v88, v87, v80
	s_delay_alu instid0(TRANS32_DEP_2) | instskip(NEXT) | instid1(VALU_DEP_2)
	v_cndmask_b32_e64 v87, 0, v90, s15
	v_add_f32_e32 v90, v88, v86
	s_waitcnt_depctr 0xfff
	v_cndmask_b32_e64 v88, 0, v89, s16
	v_add_f32_e32 v89, v90, v87
	s_delay_alu instid0(VALU_DEP_1) | instskip(SKIP_1) | instid1(VALU_DEP_1)
	v_add_f32_e32 v90, v89, v88
	v_cndmask_b32_e64 v89, 0, v100, s17
	v_add_f32_e32 v90, v90, v89
	ds_bpermute_b32 v99, v99, v90
	s_and_saveexec_b32 s3, s2
	s_cbranch_execz .LBB738_14
; %bb.13:
	v_mul_u32_u24_e32 v75, 0x44, v74
	s_waitcnt lgkmcnt(0)
	v_add_f32_e32 v90, v90, v99
	s_delay_alu instid0(VALU_DEP_2) | instskip(NEXT) | instid1(VALU_DEP_1)
	v_lshl_add_u32 v75, v73, 2, v75
	v_add_nc_u32_e32 v75, 0x4000, v75
	ds_store_2addr_b32 v75, v76, v90 offset1:136
.LBB738_14:
	s_or_b32 exec_lo, exec_lo, s3
	v_lshlrev_b32_e32 v75, 2, v73
	s_waitcnt lgkmcnt(0)
	s_barrier
	buffer_gl0_inv
	v_cmp_eq_u32_e64 s3, 1, v74
	v_add_nc_u32_e32 v90, 0x4000, v75
	ds_load_2addr_b32 v[99:100], v90 offset1:17
	ds_load_2addr_b32 v[101:102], v90 offset0:34 offset1:51
	ds_load_2addr_b32 v[103:104], v90 offset0:68 offset1:85
	;; [unrolled: 1-line block ×4, first 2 shown]
	s_waitcnt lgkmcnt(4)
	v_max3_f32 v75, v99, 0xff7fffff, v100
	s_waitcnt lgkmcnt(3)
	s_delay_alu instid0(VALU_DEP_1) | instskip(SKIP_1) | instid1(VALU_DEP_1)
	v_max3_f32 v75, v75, v101, v102
	s_waitcnt lgkmcnt(2)
	v_max3_f32 v75, v75, v103, v104
	s_waitcnt lgkmcnt(1)
	s_delay_alu instid0(VALU_DEP_1) | instskip(NEXT) | instid1(VALU_DEP_1)
	v_max3_f32 v75, v75, v105, v106
	v_sub_f32_e32 v109, v100, v75
	v_sub_f32_e32 v76, v99, v75
	ds_load_2addr_b32 v[99:100], v90 offset0:170 offset1:187
	v_sub_f32_e32 v101, v101, v75
	v_dual_mul_f32 v109, 0x3fb8aa3b, v109 :: v_dual_mul_f32 v76, 0x3fb8aa3b, v76
	s_delay_alu instid0(VALU_DEP_2) | instskip(NEXT) | instid1(VALU_DEP_2)
	v_mul_f32_e32 v111, 0x3fb8aa3b, v101
	v_exp_f32_e32 v109, v109
	s_delay_alu instid0(VALU_DEP_2)
	v_exp_f32_e32 v110, v76
	v_sub_f32_e32 v76, v102, v75
	ds_load_2addr_b32 v[101:102], v90 offset0:204 offset1:221
	v_exp_f32_e32 v111, v111
	v_mul_f32_e32 v112, 0x3fb8aa3b, v76
	s_waitcnt lgkmcnt(2)
	v_fma_f32 v76, v110, v107, 0
	v_sub_f32_e32 v103, v103, v75
	s_delay_alu instid0(VALU_DEP_3) | instskip(NEXT) | instid1(VALU_DEP_2)
	v_exp_f32_e32 v112, v112
	v_dual_sub_f32 v107, v104, v75 :: v_dual_fmac_f32 v76, v109, v108
	s_waitcnt lgkmcnt(1)
	s_waitcnt_depctr 0xfff
	v_fmac_f32_e32 v76, v111, v99
	v_mul_f32_e32 v113, 0x3fb8aa3b, v103
	ds_load_2addr_b32 v[103:104], v90 offset0:238 offset1:255
	v_sub_f32_e32 v90, v105, v75
	v_dual_sub_f32 v99, v106, v75 :: v_dual_fmac_f32 v76, v112, v100
	v_mul_f32_e32 v105, 0x3fb8aa3b, v107
	v_exp_f32_e32 v107, v113
	s_delay_alu instid0(VALU_DEP_2)
	v_dual_mul_f32 v90, 0x3fb8aa3b, v90 :: v_dual_mul_f32 v99, 0x3fb8aa3b, v99
	s_waitcnt lgkmcnt(0)
	s_barrier
	buffer_gl0_inv
	v_exp_f32_e32 v90, v90
	v_exp_f32_e32 v99, v99
	v_fmac_f32_e32 v76, v107, v101
	v_exp_f32_e32 v105, v105
	s_waitcnt_depctr 0xfff
	v_fmac_f32_e32 v76, v105, v102
	s_delay_alu instid0(VALU_DEP_1) | instskip(NEXT) | instid1(VALU_DEP_1)
	v_fmac_f32_e32 v76, v90, v103
	v_fmac_f32_e32 v76, v99, v104
	s_delay_alu instid0(VALU_DEP_1) | instskip(NEXT) | instid1(VALU_DEP_1)
	v_add_f32_e32 v100, 0x358637bd, v76
	v_div_scale_f32 v101, null, v100, v100, 1.0
	v_div_scale_f32 v104, vcc_lo, 1.0, v100, 1.0
	s_delay_alu instid0(VALU_DEP_2) | instskip(SKIP_2) | instid1(VALU_DEP_1)
	v_rcp_f32_e32 v102, v101
	s_waitcnt_depctr 0xfff
	v_fma_f32 v103, -v101, v102, 1.0
	v_fmac_f32_e32 v102, v103, v102
	v_cndmask_b32_e64 v103, v110, v109, s3
	v_cmp_eq_u32_e64 s3, 2, v74
	s_delay_alu instid0(VALU_DEP_3) | instskip(NEXT) | instid1(VALU_DEP_2)
	v_mul_f32_e32 v106, v104, v102
	v_cndmask_b32_e64 v103, v103, v111, s3
	v_cmp_eq_u32_e64 s3, 3, v74
	s_delay_alu instid0(VALU_DEP_3) | instskip(NEXT) | instid1(VALU_DEP_2)
	v_fma_f32 v108, -v101, v106, v104
	v_cndmask_b32_e64 v103, v103, v112, s3
	v_cmp_eq_u32_e64 s3, 4, v74
	s_delay_alu instid0(VALU_DEP_3) | instskip(NEXT) | instid1(VALU_DEP_2)
	v_fmac_f32_e32 v106, v108, v102
	v_cndmask_b32_e64 v103, v103, v107, s3
	s_delay_alu instid0(VALU_DEP_2) | instskip(SKIP_1) | instid1(VALU_DEP_2)
	v_fma_f32 v101, -v101, v106, v104
	v_cmp_eq_u32_e64 s3, 5, v74
	v_div_fmas_f32 v101, v101, v102, v106
	s_delay_alu instid0(VALU_DEP_2) | instskip(SKIP_2) | instid1(VALU_DEP_3)
	v_cndmask_b32_e64 v103, v103, v105, s3
	v_cmp_eq_u32_e32 vcc_lo, 6, v74
	s_mov_b32 s3, exec_lo
	v_div_fixup_f32 v100, v101, v100, 1.0
	s_delay_alu instid0(VALU_DEP_3) | instskip(SKIP_1) | instid1(VALU_DEP_2)
	v_cndmask_b32_e32 v90, v103, v90, vcc_lo
	v_cmp_eq_u32_e32 vcc_lo, 7, v74
	v_cndmask_b32_e32 v90, v90, v99, vcc_lo
	s_delay_alu instid0(VALU_DEP_1) | instskip(NEXT) | instid1(VALU_DEP_1)
	v_mul_f32_e32 v90, v90, v100
	v_mul_f32_e32 v100, v90, v92
	;; [unrolled: 1-line block ×6, first 2 shown]
	v_and_b32_e32 v101, 0x7f800000, v100
	v_mul_f32_e32 v99, v90, v95
	v_mul_f32_e32 v95, v90, v91
	;; [unrolled: 1-line block ×3, first 2 shown]
                                        ; implicit-def: $vgpr91
	s_delay_alu instid0(VALU_DEP_4)
	v_cmpx_ne_u32_e32 0x7f800000, v101
	s_xor_b32 s3, exec_lo, s3
; %bb.15:
	v_bfe_u32 v91, v100, 16, 1
	s_delay_alu instid0(VALU_DEP_1)
	v_add3_u32 v91, v100, v91, 0x7fff
                                        ; implicit-def: $vgpr100
; %bb.16:
	s_and_not1_saveexec_b32 s3, s3
; %bb.17:
	v_and_b32_e32 v91, 0xffff, v100
	v_or_b32_e32 v93, 0x10000, v100
	s_delay_alu instid0(VALU_DEP_2) | instskip(NEXT) | instid1(VALU_DEP_2)
	v_cmp_eq_u32_e32 vcc_lo, 0, v91
	v_cndmask_b32_e32 v91, v93, v100, vcc_lo
; %bb.18:
	s_or_b32 exec_lo, exec_lo, s3
	v_and_b32_e32 v93, 0x7f800000, v95
	s_delay_alu instid0(VALU_DEP_1) | instskip(SKIP_1) | instid1(SALU_CYCLE_1)
	v_cmp_ne_u32_e32 vcc_lo, 0x7f800000, v93
                                        ; implicit-def: $vgpr93
	s_and_saveexec_b32 s3, vcc_lo
	s_xor_b32 s3, exec_lo, s3
; %bb.19:
	v_bfe_u32 v93, v95, 16, 1
	s_delay_alu instid0(VALU_DEP_1)
	v_add3_u32 v93, v95, v93, 0x7fff
                                        ; implicit-def: $vgpr95
; %bb.20:
	s_and_not1_saveexec_b32 s3, s3
; %bb.21:
	v_and_b32_e32 v93, 0xffff, v95
	v_or_b32_e32 v100, 0x10000, v95
	s_delay_alu instid0(VALU_DEP_2) | instskip(NEXT) | instid1(VALU_DEP_2)
	v_cmp_eq_u32_e32 vcc_lo, 0, v93
	v_cndmask_b32_e32 v93, v100, v95, vcc_lo
; %bb.22:
	s_or_b32 exec_lo, exec_lo, s3
	v_and_b32_e32 v95, 0x7f800000, v96
	s_delay_alu instid0(VALU_DEP_1) | instskip(SKIP_1) | instid1(SALU_CYCLE_1)
	v_cmp_ne_u32_e32 vcc_lo, 0x7f800000, v95
                                        ; implicit-def: $vgpr95
	s_and_saveexec_b32 s3, vcc_lo
	s_xor_b32 s3, exec_lo, s3
; %bb.23:
	v_bfe_u32 v95, v96, 16, 1
	s_delay_alu instid0(VALU_DEP_1)
	v_add3_u32 v95, v96, v95, 0x7fff
                                        ; implicit-def: $vgpr96
; %bb.24:
	s_and_not1_saveexec_b32 s3, s3
; %bb.25:
	v_and_b32_e32 v95, 0xffff, v96
	v_or_b32_e32 v100, 0x10000, v96
	s_delay_alu instid0(VALU_DEP_2) | instskip(NEXT) | instid1(VALU_DEP_2)
	v_cmp_eq_u32_e32 vcc_lo, 0, v95
	v_cndmask_b32_e32 v95, v100, v96, vcc_lo
; %bb.26:
	s_or_b32 exec_lo, exec_lo, s3
	v_and_b32_e32 v96, 0x7f800000, v99
	s_delay_alu instid0(VALU_DEP_1) | instskip(SKIP_1) | instid1(SALU_CYCLE_1)
	v_cmp_ne_u32_e32 vcc_lo, 0x7f800000, v96
                                        ; implicit-def: $vgpr96
	s_and_saveexec_b32 s3, vcc_lo
	s_xor_b32 s3, exec_lo, s3
; %bb.27:
	v_bfe_u32 v96, v99, 16, 1
	s_delay_alu instid0(VALU_DEP_1)
	v_add3_u32 v96, v99, v96, 0x7fff
                                        ; implicit-def: $vgpr99
; %bb.28:
	s_and_not1_saveexec_b32 s3, s3
; %bb.29:
	v_and_b32_e32 v96, 0xffff, v99
	v_or_b32_e32 v100, 0x10000, v99
	s_delay_alu instid0(VALU_DEP_2) | instskip(NEXT) | instid1(VALU_DEP_2)
	v_cmp_eq_u32_e32 vcc_lo, 0, v96
	v_cndmask_b32_e32 v96, v100, v99, vcc_lo
; %bb.30:
	s_or_b32 exec_lo, exec_lo, s3
	v_and_b32_e32 v99, 0x7f800000, v98
	s_delay_alu instid0(VALU_DEP_1) | instskip(SKIP_1) | instid1(SALU_CYCLE_1)
	v_cmp_ne_u32_e32 vcc_lo, 0x7f800000, v99
                                        ; implicit-def: $vgpr99
	s_and_saveexec_b32 s3, vcc_lo
	s_xor_b32 s3, exec_lo, s3
; %bb.31:
	v_bfe_u32 v99, v98, 16, 1
	s_delay_alu instid0(VALU_DEP_1)
	v_add3_u32 v99, v98, v99, 0x7fff
                                        ; implicit-def: $vgpr98
; %bb.32:
	s_and_not1_saveexec_b32 s3, s3
; %bb.33:
	v_and_b32_e32 v99, 0xffff, v98
	v_or_b32_e32 v100, 0x10000, v98
	s_delay_alu instid0(VALU_DEP_2) | instskip(NEXT) | instid1(VALU_DEP_2)
	v_cmp_eq_u32_e32 vcc_lo, 0, v99
	v_cndmask_b32_e32 v99, v100, v98, vcc_lo
; %bb.34:
	s_or_b32 exec_lo, exec_lo, s3
	v_and_b32_e32 v98, 0x7f800000, v97
	s_delay_alu instid0(VALU_DEP_1) | instskip(SKIP_1) | instid1(SALU_CYCLE_1)
	v_cmp_ne_u32_e32 vcc_lo, 0x7f800000, v98
                                        ; implicit-def: $vgpr98
	s_and_saveexec_b32 s3, vcc_lo
	s_xor_b32 s3, exec_lo, s3
; %bb.35:
	v_bfe_u32 v98, v97, 16, 1
	s_delay_alu instid0(VALU_DEP_1)
	v_add3_u32 v98, v97, v98, 0x7fff
                                        ; implicit-def: $vgpr97
; %bb.36:
	s_and_not1_saveexec_b32 s3, s3
; %bb.37:
	v_and_b32_e32 v98, 0xffff, v97
	v_or_b32_e32 v100, 0x10000, v97
	s_delay_alu instid0(VALU_DEP_2) | instskip(NEXT) | instid1(VALU_DEP_2)
	v_cmp_eq_u32_e32 vcc_lo, 0, v98
	v_cndmask_b32_e32 v98, v100, v97, vcc_lo
; %bb.38:
	s_or_b32 exec_lo, exec_lo, s3
	v_and_b32_e32 v97, 0x7f800000, v94
	s_delay_alu instid0(VALU_DEP_1) | instskip(SKIP_1) | instid1(SALU_CYCLE_1)
	v_cmp_ne_u32_e32 vcc_lo, 0x7f800000, v97
                                        ; implicit-def: $vgpr97
	s_and_saveexec_b32 s3, vcc_lo
	s_xor_b32 s3, exec_lo, s3
; %bb.39:
	v_bfe_u32 v97, v94, 16, 1
	s_delay_alu instid0(VALU_DEP_1)
	v_add3_u32 v97, v94, v97, 0x7fff
                                        ; implicit-def: $vgpr94
; %bb.40:
	s_and_not1_saveexec_b32 s3, s3
; %bb.41:
	v_and_b32_e32 v97, 0xffff, v94
	v_or_b32_e32 v100, 0x10000, v94
	s_delay_alu instid0(VALU_DEP_2) | instskip(NEXT) | instid1(VALU_DEP_2)
	v_cmp_eq_u32_e32 vcc_lo, 0, v97
	v_cndmask_b32_e32 v97, v100, v94, vcc_lo
; %bb.42:
	s_or_b32 exec_lo, exec_lo, s3
	v_and_b32_e32 v94, 0x7f800000, v92
	s_delay_alu instid0(VALU_DEP_1) | instskip(SKIP_1) | instid1(SALU_CYCLE_1)
	v_cmp_ne_u32_e32 vcc_lo, 0x7f800000, v94
                                        ; implicit-def: $vgpr94
	s_and_saveexec_b32 s3, vcc_lo
	s_xor_b32 s3, exec_lo, s3
; %bb.43:
	v_bfe_u32 v94, v92, 16, 1
	s_delay_alu instid0(VALU_DEP_1)
	v_add3_u32 v94, v92, v94, 0x7fff
                                        ; implicit-def: $vgpr92
; %bb.44:
	s_and_not1_saveexec_b32 s3, s3
; %bb.45:
	v_and_b32_e32 v94, 0xffff, v92
	v_or_b32_e32 v100, 0x10000, v92
	s_delay_alu instid0(VALU_DEP_2) | instskip(NEXT) | instid1(VALU_DEP_2)
	v_cmp_eq_u32_e32 vcc_lo, 0, v94
	v_cndmask_b32_e32 v94, v100, v92, vcc_lo
; %bb.46:
	s_or_b32 exec_lo, exec_lo, s3
	s_load_b64 s[34:35], s[0:1], 0x94
	v_lshlrev_b32_e32 v92, 4, v83
	s_delay_alu instid0(VALU_DEP_2)
	v_perm_b32 v100, v94, v97, 0x7060302
	v_dual_mul_f32 v89, v90, v89 :: v_dual_lshlrev_b32 v94, 11, v74
	v_perm_b32 v97, v93, v91, 0x7060302
	v_mul_f32_e32 v93, v90, v77
	v_perm_b32 v99, v98, v99, 0x7060302
	v_perm_b32 v98, v96, v95, 0x7060302
	v_or3_b32 v77, v92, v94, v85
	v_mul_f32_e32 v88, v90, v88
	v_dual_mul_f32 v87, v90, v87 :: v_dual_and_b32 v94, 0x7f800000, v93
	v_mul_f32_e32 v86, v90, v86
	v_mul_f32_e32 v91, v90, v80
	;; [unrolled: 1-line block ×4, first 2 shown]
	s_mov_b32 s3, exec_lo
	ds_store_b128 v77, v[97:100]
                                        ; implicit-def: $vgpr78
	v_cmpx_ne_u32_e32 0x7f800000, v94
	s_xor_b32 s3, exec_lo, s3
; %bb.47:
	v_bfe_u32 v78, v93, 16, 1
	s_delay_alu instid0(VALU_DEP_1)
	v_add3_u32 v78, v93, v78, 0x7fff
                                        ; implicit-def: $vgpr93
; %bb.48:
	s_and_not1_saveexec_b32 s3, s3
; %bb.49:
	v_and_b32_e32 v78, 0xffff, v93
	v_or_b32_e32 v79, 0x10000, v93
	s_delay_alu instid0(VALU_DEP_2) | instskip(NEXT) | instid1(VALU_DEP_2)
	v_cmp_eq_u32_e32 vcc_lo, 0, v78
	v_cndmask_b32_e32 v78, v79, v93, vcc_lo
; %bb.50:
	s_or_b32 exec_lo, exec_lo, s3
	v_and_b32_e32 v79, 0x7f800000, v80
	s_delay_alu instid0(VALU_DEP_1) | instskip(SKIP_1) | instid1(SALU_CYCLE_1)
	v_cmp_ne_u32_e32 vcc_lo, 0x7f800000, v79
                                        ; implicit-def: $vgpr79
	s_and_saveexec_b32 s3, vcc_lo
	s_xor_b32 s3, exec_lo, s3
; %bb.51:
	v_bfe_u32 v79, v80, 16, 1
	s_delay_alu instid0(VALU_DEP_1)
	v_add3_u32 v79, v80, v79, 0x7fff
                                        ; implicit-def: $vgpr80
; %bb.52:
	s_and_not1_saveexec_b32 s3, s3
; %bb.53:
	v_and_b32_e32 v79, 0xffff, v80
	v_or_b32_e32 v90, 0x10000, v80
	s_delay_alu instid0(VALU_DEP_2) | instskip(NEXT) | instid1(VALU_DEP_2)
	v_cmp_eq_u32_e32 vcc_lo, 0, v79
	v_cndmask_b32_e32 v79, v90, v80, vcc_lo
; %bb.54:
	s_or_b32 exec_lo, exec_lo, s3
	v_and_b32_e32 v80, 0x7f800000, v92
	s_delay_alu instid0(VALU_DEP_1) | instskip(SKIP_1) | instid1(SALU_CYCLE_1)
	v_cmp_ne_u32_e32 vcc_lo, 0x7f800000, v80
                                        ; implicit-def: $vgpr80
	s_and_saveexec_b32 s3, vcc_lo
	s_xor_b32 s3, exec_lo, s3
; %bb.55:
	v_bfe_u32 v80, v92, 16, 1
	s_delay_alu instid0(VALU_DEP_1)
	v_add3_u32 v80, v92, v80, 0x7fff
                                        ; implicit-def: $vgpr92
; %bb.56:
	s_and_not1_saveexec_b32 s3, s3
; %bb.57:
	v_and_b32_e32 v80, 0xffff, v92
	v_or_b32_e32 v90, 0x10000, v92
	s_delay_alu instid0(VALU_DEP_2) | instskip(NEXT) | instid1(VALU_DEP_2)
	v_cmp_eq_u32_e32 vcc_lo, 0, v80
	v_cndmask_b32_e32 v80, v90, v92, vcc_lo
; %bb.58:
	s_or_b32 exec_lo, exec_lo, s3
	v_and_b32_e32 v90, 0x7f800000, v91
	s_delay_alu instid0(VALU_DEP_1) | instskip(SKIP_1) | instid1(SALU_CYCLE_1)
	v_cmp_ne_u32_e32 vcc_lo, 0x7f800000, v90
                                        ; implicit-def: $vgpr90
	s_and_saveexec_b32 s3, vcc_lo
	s_xor_b32 s3, exec_lo, s3
; %bb.59:
	v_bfe_u32 v90, v91, 16, 1
	s_delay_alu instid0(VALU_DEP_1)
	v_add3_u32 v90, v91, v90, 0x7fff
                                        ; implicit-def: $vgpr91
; %bb.60:
	s_and_not1_saveexec_b32 s3, s3
; %bb.61:
	v_and_b32_e32 v90, 0xffff, v91
	v_or_b32_e32 v92, 0x10000, v91
	s_delay_alu instid0(VALU_DEP_2) | instskip(NEXT) | instid1(VALU_DEP_2)
	v_cmp_eq_u32_e32 vcc_lo, 0, v90
	v_cndmask_b32_e32 v90, v92, v91, vcc_lo
; %bb.62:
	s_or_b32 exec_lo, exec_lo, s3
	v_and_b32_e32 v91, 0x7f800000, v86
	s_delay_alu instid0(VALU_DEP_1) | instskip(SKIP_1) | instid1(SALU_CYCLE_1)
	v_cmp_ne_u32_e32 vcc_lo, 0x7f800000, v91
                                        ; implicit-def: $vgpr91
	s_and_saveexec_b32 s3, vcc_lo
	s_xor_b32 s3, exec_lo, s3
; %bb.63:
	v_bfe_u32 v91, v86, 16, 1
	s_delay_alu instid0(VALU_DEP_1)
	v_add3_u32 v91, v86, v91, 0x7fff
                                        ; implicit-def: $vgpr86
; %bb.64:
	s_and_not1_saveexec_b32 s3, s3
; %bb.65:
	v_and_b32_e32 v91, 0xffff, v86
	v_or_b32_e32 v92, 0x10000, v86
	s_delay_alu instid0(VALU_DEP_2) | instskip(NEXT) | instid1(VALU_DEP_2)
	v_cmp_eq_u32_e32 vcc_lo, 0, v91
	v_cndmask_b32_e32 v91, v92, v86, vcc_lo
; %bb.66:
	s_or_b32 exec_lo, exec_lo, s3
	v_and_b32_e32 v86, 0x7f800000, v87
	s_delay_alu instid0(VALU_DEP_1) | instskip(SKIP_1) | instid1(SALU_CYCLE_1)
	v_cmp_ne_u32_e32 vcc_lo, 0x7f800000, v86
                                        ; implicit-def: $vgpr86
	s_and_saveexec_b32 s3, vcc_lo
	s_xor_b32 s3, exec_lo, s3
; %bb.67:
	v_bfe_u32 v86, v87, 16, 1
	s_delay_alu instid0(VALU_DEP_1)
	v_add3_u32 v86, v87, v86, 0x7fff
                                        ; implicit-def: $vgpr87
; %bb.68:
	s_and_not1_saveexec_b32 s3, s3
; %bb.69:
	v_and_b32_e32 v86, 0xffff, v87
	v_or_b32_e32 v92, 0x10000, v87
	s_delay_alu instid0(VALU_DEP_2) | instskip(NEXT) | instid1(VALU_DEP_2)
	v_cmp_eq_u32_e32 vcc_lo, 0, v86
	v_cndmask_b32_e32 v86, v92, v87, vcc_lo
; %bb.70:
	s_or_b32 exec_lo, exec_lo, s3
	v_and_b32_e32 v87, 0x7f800000, v88
	s_delay_alu instid0(VALU_DEP_1) | instskip(SKIP_1) | instid1(SALU_CYCLE_1)
	v_cmp_ne_u32_e32 vcc_lo, 0x7f800000, v87
                                        ; implicit-def: $vgpr87
	s_and_saveexec_b32 s3, vcc_lo
	s_xor_b32 s3, exec_lo, s3
; %bb.71:
	v_bfe_u32 v87, v88, 16, 1
	s_delay_alu instid0(VALU_DEP_1)
	v_add3_u32 v87, v88, v87, 0x7fff
                                        ; implicit-def: $vgpr88
; %bb.72:
	s_and_not1_saveexec_b32 s3, s3
; %bb.73:
	v_and_b32_e32 v87, 0xffff, v88
	v_or_b32_e32 v92, 0x10000, v88
	s_delay_alu instid0(VALU_DEP_2) | instskip(NEXT) | instid1(VALU_DEP_2)
	v_cmp_eq_u32_e32 vcc_lo, 0, v87
	v_cndmask_b32_e32 v87, v92, v88, vcc_lo
; %bb.74:
	s_or_b32 exec_lo, exec_lo, s3
	v_and_b32_e32 v88, 0x7f800000, v89
	s_delay_alu instid0(VALU_DEP_1) | instskip(SKIP_1) | instid1(SALU_CYCLE_1)
	v_cmp_ne_u32_e32 vcc_lo, 0x7f800000, v88
                                        ; implicit-def: $vgpr88
	s_and_saveexec_b32 s3, vcc_lo
	s_xor_b32 s3, exec_lo, s3
; %bb.75:
	v_bfe_u32 v88, v89, 16, 1
	s_delay_alu instid0(VALU_DEP_1)
	v_add3_u32 v88, v89, v88, 0x7fff
                                        ; implicit-def: $vgpr89
; %bb.76:
	s_and_not1_saveexec_b32 s3, s3
; %bb.77:
	v_and_b32_e32 v88, 0xffff, v89
	v_or_b32_e32 v92, 0x10000, v89
	s_delay_alu instid0(VALU_DEP_2) | instskip(NEXT) | instid1(VALU_DEP_2)
	v_cmp_eq_u32_e32 vcc_lo, 0, v88
	v_cndmask_b32_e32 v88, v92, v89, vcc_lo
; %bb.78:
	s_or_b32 exec_lo, exec_lo, s3
	s_delay_alu instid0(VALU_DEP_1)
	v_perm_b32 v89, v88, v87, 0x7060302
	v_perm_b32 v88, v86, v91, 0x7060302
	;; [unrolled: 1-line block ×4, first 2 shown]
	v_lshl_or_b32 v90, v74, 11, v85
	ds_store_b128 v77, v[86:89] offset:1024
	s_waitcnt lgkmcnt(0)
	s_barrier
	buffer_gl0_inv
	ds_load_b128 v[91:94], v90
	ds_load_b128 v[95:98], v90 offset:16
	v_lshlrev_b32_e32 v87, 2, v83
	s_delay_alu instid0(VALU_DEP_1)
	v_or_b32_e32 v88, 1, v87
	v_cmp_eq_u32_e32 vcc_lo, 1, v87
	v_cmp_eq_u32_e64 s4, 2, v87
	v_cmp_eq_u32_e64 s7, 3, v87
	;; [unrolled: 1-line block ×6, first 2 shown]
	v_or_b32_e32 v86, 2, v87
	v_cmp_eq_u32_e64 s10, 5, v87
	v_cmp_eq_u32_e64 s11, 4, v88
	;; [unrolled: 1-line block ×4, first 2 shown]
	s_waitcnt lgkmcnt(1)
	v_lshrrev_b32_e32 v74, 16, v91
	s_waitcnt lgkmcnt(0)
	v_lshrrev_b32_e32 v103, 16, v95
	v_lshrrev_b32_e32 v80, 16, v94
	;; [unrolled: 1-line block ×4, first 2 shown]
	v_cndmask_b32_e32 v89, v91, v74, vcc_lo
	v_cndmask_b32_e32 v99, v95, v103, vcc_lo
	v_cndmask_b32_e64 v100, v91, v74, s3
	v_lshrrev_b32_e32 v79, 16, v93
	v_lshrrev_b32_e32 v108, 16, v97
	v_cndmask_b32_e64 v89, v89, v92, s4
	v_cndmask_b32_e64 v99, v99, v96, s4
	;; [unrolled: 1-line block ×4, first 2 shown]
	v_cmp_eq_u32_e64 s5, 1, v86
	v_cndmask_b32_e64 v89, v89, v78, s7
	v_cndmask_b32_e64 v99, v99, v107, s7
	;; [unrolled: 1-line block ×4, first 2 shown]
	v_lshrrev_b32_e32 v109, 16, v98
	v_cndmask_b32_e64 v89, v89, v93, s9
	v_cndmask_b32_e64 v99, v99, v97, s9
	;; [unrolled: 1-line block ×8, first 2 shown]
	v_cmp_eq_u32_e64 s15, 7, v87
	v_cmp_eq_u32_e64 s16, 6, v88
	v_cndmask_b32_e64 v89, v89, v94, s12
	v_cndmask_b32_e64 v99, v99, v98, s12
	v_cmp_eq_u32_e64 s17, 2, v86
	v_cndmask_b32_e64 v101, v101, v97, s11
	v_cndmask_b32_e64 v100, v100, v94, s16
	;; [unrolled: 1-line block ×6, first 2 shown]
	v_cmp_eq_u32_e64 s18, 7, v88
	v_cmp_eq_u32_e64 s19, 3, v86
	;; [unrolled: 1-line block ×4, first 2 shown]
	v_cndmask_b32_e64 v99, v99, v96, s17
	v_cndmask_b32_e64 v112, v100, v80, s18
	;; [unrolled: 1-line block ×4, first 2 shown]
	v_or_b32_e32 v89, 3, v87
	v_cndmask_b32_e64 v105, v99, v107, s19
	v_cmp_eq_u32_e64 s24, 6, v86
	v_cndmask_b32_e64 v113, v100, v98, s16
	v_cndmask_b32_e64 v104, v101, v93, s20
	ds_load_b128 v[99:102], v90 offset:1024
	v_cmp_eq_u32_e64 s21, 1, v89
	v_cmp_eq_u32_e64 s23, 2, v89
	;; [unrolled: 1-line block ×3, first 2 shown]
	v_cndmask_b32_e64 v114, v104, v79, s22
	v_cmp_eq_u32_e64 s26, 4, v89
	v_cndmask_b32_e64 v74, v91, v74, s21
	v_cndmask_b32_e64 v91, v105, v97, s20
	;; [unrolled: 1-line block ×3, first 2 shown]
	ds_load_b128 v[103:106], v90 offset:1040
	v_cmp_eq_u32_e64 s28, 5, v89
	v_cndmask_b32_e64 v74, v74, v92, s23
	v_cndmask_b32_e64 v91, v91, v108, s22
	;; [unrolled: 1-line block ×3, first 2 shown]
	v_cmp_eq_u32_e64 s29, 6, v89
	v_cndmask_b32_e64 v95, v113, v109, s18
	v_cndmask_b32_e64 v74, v74, v78, s25
	;; [unrolled: 1-line block ×5, first 2 shown]
	s_waitcnt lgkmcnt(1)
	v_lshrrev_b32_e32 v96, 16, v99
	v_cndmask_b32_e64 v74, v74, v93, s26
	v_lshrrev_b32_e32 v107, 16, v100
	v_cndmask_b32_e64 v92, v92, v97, s26
	v_cmp_eq_u32_e64 s27, 7, v86
	v_cndmask_b32_e32 v93, v99, v96, vcc_lo
	v_cndmask_b32_e64 v74, v74, v79, s28
	s_delay_alu instid0(VALU_DEP_4)
	v_cndmask_b32_e64 v79, v92, v108, s28
	s_waitcnt lgkmcnt(0)
	v_lshrrev_b32_e32 v97, 16, v103
	v_cndmask_b32_e64 v92, v93, v100, s4
	v_cndmask_b32_e64 v93, v99, v96, s3
	;; [unrolled: 1-line block ×4, first 2 shown]
	v_cndmask_b32_e32 v108, v103, v97, vcc_lo
	v_cndmask_b32_e64 v92, v92, v107, s7
	v_cndmask_b32_e64 v93, v93, v100, s6
	v_lshrrev_b32_e32 v98, 16, v104
	v_cmp_eq_u32_e32 vcc_lo, 7, v89
	v_cndmask_b32_e64 v94, v108, v104, s4
	v_cndmask_b32_e64 v92, v92, v101, s9
	v_lshrrev_b32_e32 v108, 16, v101
	v_cndmask_b32_e64 v93, v93, v107, s8
	v_cndmask_b32_e32 v74, v74, v80, vcc_lo
	v_cndmask_b32_e64 v94, v94, v98, s7
	v_cndmask_b32_e32 v79, v79, v109, vcc_lo
	v_cndmask_b32_e64 v92, v92, v108, s10
	v_cndmask_b32_e64 v78, v78, v80, s27
	;; [unrolled: 1-line block ×4, first 2 shown]
	v_perm_b32 v94, v79, v74, 0x5040100
	v_cndmask_b32_e64 v79, v92, v102, s12
	v_perm_b32 v92, v95, v112, 0x5040100
	v_cndmask_b32_e64 v95, v99, v96, s5
	v_cndmask_b32_e64 v96, v99, v96, s21
	;; [unrolled: 1-line block ×16, first 2 shown]
	v_lshrrev_b32_e32 v109, 16, v105
	v_cndmask_b32_e64 v95, v95, v101, s20
	v_cndmask_b32_e64 v96, v96, v101, s26
	;; [unrolled: 1-line block ×6, first 2 shown]
	v_lshrrev_b32_e32 v80, 16, v102
	v_cndmask_b32_e64 v113, v93, v109, s10
	v_cndmask_b32_e64 v95, v95, v108, s22
	;; [unrolled: 1-line block ×6, first 2 shown]
	v_perm_b32 v93, v91, v78, 0x5040100
	v_cndmask_b32_e64 v74, v74, v102, s16
	v_cndmask_b32_e64 v78, v79, v80, s15
	;; [unrolled: 1-line block ×3, first 2 shown]
	v_lshrrev_b32_e32 v91, 16, v106
	v_cndmask_b32_e64 v95, v95, v102, s24
	v_cndmask_b32_e64 v96, v96, v102, s29
	;; [unrolled: 1-line block ×7, first 2 shown]
	v_cndmask_b32_e32 v80, v96, v80, vcc_lo
	v_cndmask_b32_e32 v96, v98, v91, vcc_lo
	v_cndmask_b32_e64 v99, v99, v91, s27
	v_cndmask_b32_e64 v100, v97, v91, s18
	;; [unrolled: 1-line block ×3, first 2 shown]
	v_perm_b32 v91, v111, v110, 0x5040100
	v_perm_b32 v98, v96, v80, 0x5040100
	;; [unrolled: 1-line block ×5, first 2 shown]
	s_mul_i32 s8, s35, 9
	s_mov_b32 s3, exec_lo
	ds_store_b128 v77, v[91:94]
	ds_store_b128 v77, v[95:98] offset:1024
	v_cmpx_gt_u32_e32 9, v0
	s_cbranch_execz .LBB738_80
; %bb.79:
	s_mul_i32 s4, s8, s30
	s_delay_alu instid0(SALU_CYCLE_1) | instskip(SKIP_1) | instid1(VALU_DEP_1)
	v_add3_u32 v77, s4, s31, v73
	s_load_b128 s[4:7], s[0:1], 0x58
	v_mad_u64_u32 v[73:74], null, v77, s34, s[14:15]
	s_delay_alu instid0(VALU_DEP_1) | instskip(NEXT) | instid1(VALU_DEP_1)
	v_ashrrev_i32_e32 v74, 31, v73
	v_lshlrev_b64 v[73:74], 2, v[73:74]
	s_waitcnt lgkmcnt(0)
	s_delay_alu instid0(VALU_DEP_1) | instskip(NEXT) | instid1(VALU_DEP_2)
	v_add_co_u32 v77, vcc_lo, s6, v73
	v_add_co_ci_u32_e32 v78, vcc_lo, s7, v74, vcc_lo
	v_add_co_u32 v73, vcc_lo, s4, v73
	v_add_co_ci_u32_e32 v74, vcc_lo, s5, v74, vcc_lo
	global_store_b32 v[77:78], v75, off
	global_store_b32 v[73:74], v76, off
.LBB738_80:
	s_or_b32 exec_lo, exec_lo, s3
	s_waitcnt lgkmcnt(0)
	s_waitcnt_vscnt null, 0x0
	s_barrier
	buffer_gl0_inv
	ds_load_b128 v[91:94], v85
	ds_load_b128 v[95:98], v85 offset:16
	ds_load_b128 v[103:106], v85 offset:1040
	;; [unrolled: 1-line block ×3, first 2 shown]
	v_mov_b32_e32 v73, 0
	ds_load_b128 v[111:114], v85 offset:2064
	ds_load_b128 v[107:110], v85 offset:2048
	;; [unrolled: 1-line block ×6, first 2 shown]
	v_mov_b32_e32 v74, v73
	v_mov_b32_e32 v75, v73
	;; [unrolled: 1-line block ×7, first 2 shown]
	s_waitcnt lgkmcnt(8)
	s_delay_alu instid0(VALU_DEP_1)
	v_wmma_f32_16x16x16_bf16 v[73:80], v[65:72], v[91:98], v[73:80]
	ds_load_b128 v[69:72], v85 offset:5136
	ds_load_b128 v[65:68], v85 offset:5120
	;; [unrolled: 1-line block ×4, first 2 shown]
	s_waitcnt lgkmcnt(10)
	v_wmma_f32_16x16x16_bf16 v[73:80], v[57:64], v[99:106], v[73:80]
	s_waitcnt lgkmcnt(8)
	s_delay_alu instid0(VALU_DEP_1)
	v_wmma_f32_16x16x16_bf16 v[73:80], v[57:64], v[107:114], v[73:80]
	ds_load_b128 v[61:64], v85 offset:7184
	ds_load_b128 v[57:60], v85 offset:7168
	;; [unrolled: 1-line block ×4, first 2 shown]
	s_waitcnt lgkmcnt(10)
	v_wmma_f32_16x16x16_bf16 v[73:80], v[49:56], v[115:122], v[73:80]
	s_waitcnt lgkmcnt(8)
	s_delay_alu instid0(VALU_DEP_1)
	v_wmma_f32_16x16x16_bf16 v[73:80], v[49:56], v[123:130], v[73:80]
	ds_load_b128 v[53:56], v85 offset:9232
	ds_load_b128 v[49:52], v85 offset:9216
	s_waitcnt lgkmcnt(8)
	v_wmma_f32_16x16x16_bf16 v[73:80], v[41:48], v[65:72], v[73:80]
	ds_load_b128 v[69:72], v85 offset:10256
	ds_load_b128 v[65:68], v85 offset:10240
	s_waitcnt lgkmcnt(8)
	v_wmma_f32_16x16x16_bf16 v[73:80], v[41:48], v[91:98], v[73:80]
	ds_load_b128 v[45:48], v85 offset:11280
	ds_load_b128 v[41:44], v85 offset:11264
	s_waitcnt lgkmcnt(8)
	v_wmma_f32_16x16x16_bf16 v[73:80], v[9:16], v[57:64], v[73:80]
	s_waitcnt lgkmcnt(6)
	s_delay_alu instid0(VALU_DEP_1)
	v_wmma_f32_16x16x16_bf16 v[73:80], v[9:16], v[99:106], v[73:80]
	ds_load_b128 v[13:16], v85 offset:12304
	ds_load_b128 v[9:12], v85 offset:12288
	s_waitcnt lgkmcnt(6)
	v_wmma_f32_16x16x16_bf16 v[73:80], v[1:8], v[49:56], v[73:80]
	ds_load_b128 v[53:56], v85 offset:13328
	ds_load_b128 v[49:52], v85 offset:13312
	s_waitcnt lgkmcnt(6)
	;; [unrolled: 4-line block ×4, first 2 shown]
	v_wmma_f32_16x16x16_bf16 v[73:80], v[33:40], v[9:16], v[73:80]
	s_waitcnt lgkmcnt(4)
	s_delay_alu instid0(VALU_DEP_1) | instskip(SKIP_1) | instid1(VALU_DEP_1)
	v_wmma_f32_16x16x16_bf16 v[73:80], v[25:32], v[49:56], v[73:80]
	s_waitcnt lgkmcnt(2)
	v_wmma_f32_16x16x16_bf16 v[73:80], v[25:32], v[1:8], v[73:80]
	s_waitcnt lgkmcnt(0)
	s_delay_alu instid0(VALU_DEP_1) | instskip(NEXT) | instid1(VALU_DEP_1)
	v_wmma_f32_16x16x16_bf16 v[73:80], v[17:24], v[41:48], v[73:80]
	v_and_b32_e32 v1, 0x7f800000, v73
	s_delay_alu instid0(VALU_DEP_1) | instskip(SKIP_1) | instid1(SALU_CYCLE_1)
	v_cmp_ne_u32_e32 vcc_lo, 0x7f800000, v1
                                        ; implicit-def: $vgpr1
	s_and_saveexec_b32 s3, vcc_lo
	s_xor_b32 s3, exec_lo, s3
; %bb.81:
	v_bfe_u32 v1, v73, 16, 1
	s_delay_alu instid0(VALU_DEP_1)
	v_add3_u32 v1, v73, v1, 0x7fff
; %bb.82:
	s_and_not1_saveexec_b32 s3, s3
; %bb.83:
	v_and_b32_e32 v1, 0xffff, v73
	v_or_b32_e32 v2, 0x10000, v73
	s_delay_alu instid0(VALU_DEP_2) | instskip(NEXT) | instid1(VALU_DEP_2)
	v_cmp_eq_u32_e32 vcc_lo, 0, v1
	v_cndmask_b32_e32 v1, v2, v73, vcc_lo
; %bb.84:
	s_or_b32 exec_lo, exec_lo, s3
	v_and_b32_e32 v2, 0x7f800000, v74
	s_delay_alu instid0(VALU_DEP_1) | instskip(SKIP_1) | instid1(SALU_CYCLE_1)
	v_cmp_ne_u32_e32 vcc_lo, 0x7f800000, v2
                                        ; implicit-def: $vgpr2
	s_and_saveexec_b32 s3, vcc_lo
	s_xor_b32 s3, exec_lo, s3
; %bb.85:
	v_bfe_u32 v2, v74, 16, 1
	s_delay_alu instid0(VALU_DEP_1)
	v_add3_u32 v2, v74, v2, 0x7fff
; %bb.86:
	s_and_not1_saveexec_b32 s3, s3
; %bb.87:
	v_and_b32_e32 v2, 0xffff, v74
	v_or_b32_e32 v3, 0x10000, v74
	s_delay_alu instid0(VALU_DEP_2) | instskip(NEXT) | instid1(VALU_DEP_2)
	v_cmp_eq_u32_e32 vcc_lo, 0, v2
	v_cndmask_b32_e32 v2, v3, v74, vcc_lo
; %bb.88:
	s_or_b32 exec_lo, exec_lo, s3
	v_and_b32_e32 v3, 0x7f800000, v75
	s_delay_alu instid0(VALU_DEP_1) | instskip(SKIP_1) | instid1(SALU_CYCLE_1)
	v_cmp_ne_u32_e32 vcc_lo, 0x7f800000, v3
                                        ; implicit-def: $vgpr3
	s_and_saveexec_b32 s3, vcc_lo
	s_xor_b32 s3, exec_lo, s3
; %bb.89:
	v_bfe_u32 v3, v75, 16, 1
	s_delay_alu instid0(VALU_DEP_1)
	v_add3_u32 v3, v75, v3, 0x7fff
; %bb.90:
	s_and_not1_saveexec_b32 s3, s3
; %bb.91:
	v_and_b32_e32 v3, 0xffff, v75
	v_or_b32_e32 v4, 0x10000, v75
	s_delay_alu instid0(VALU_DEP_2) | instskip(NEXT) | instid1(VALU_DEP_2)
	v_cmp_eq_u32_e32 vcc_lo, 0, v3
	v_cndmask_b32_e32 v3, v4, v75, vcc_lo
; %bb.92:
	s_or_b32 exec_lo, exec_lo, s3
	v_and_b32_e32 v4, 0x7f800000, v76
	s_delay_alu instid0(VALU_DEP_1) | instskip(SKIP_1) | instid1(SALU_CYCLE_1)
	v_cmp_ne_u32_e32 vcc_lo, 0x7f800000, v4
                                        ; implicit-def: $vgpr4
	s_and_saveexec_b32 s3, vcc_lo
	s_xor_b32 s3, exec_lo, s3
; %bb.93:
	v_bfe_u32 v4, v76, 16, 1
	s_delay_alu instid0(VALU_DEP_1)
	v_add3_u32 v4, v76, v4, 0x7fff
; %bb.94:
	s_and_not1_saveexec_b32 s3, s3
; %bb.95:
	v_and_b32_e32 v4, 0xffff, v76
	v_or_b32_e32 v5, 0x10000, v76
	s_delay_alu instid0(VALU_DEP_2) | instskip(NEXT) | instid1(VALU_DEP_2)
	v_cmp_eq_u32_e32 vcc_lo, 0, v4
	v_cndmask_b32_e32 v4, v5, v76, vcc_lo
; %bb.96:
	s_or_b32 exec_lo, exec_lo, s3
	v_and_b32_e32 v5, 0x7f800000, v77
	s_delay_alu instid0(VALU_DEP_1) | instskip(SKIP_1) | instid1(SALU_CYCLE_1)
	v_cmp_ne_u32_e32 vcc_lo, 0x7f800000, v5
                                        ; implicit-def: $vgpr5
	s_and_saveexec_b32 s3, vcc_lo
	s_xor_b32 s3, exec_lo, s3
; %bb.97:
	v_bfe_u32 v5, v77, 16, 1
	s_delay_alu instid0(VALU_DEP_1)
	v_add3_u32 v5, v77, v5, 0x7fff
; %bb.98:
	s_and_not1_saveexec_b32 s3, s3
; %bb.99:
	v_and_b32_e32 v5, 0xffff, v77
	v_or_b32_e32 v6, 0x10000, v77
	s_delay_alu instid0(VALU_DEP_2) | instskip(NEXT) | instid1(VALU_DEP_2)
	v_cmp_eq_u32_e32 vcc_lo, 0, v5
	v_cndmask_b32_e32 v5, v6, v77, vcc_lo
; %bb.100:
	s_or_b32 exec_lo, exec_lo, s3
	v_and_b32_e32 v6, 0x7f800000, v78
	s_delay_alu instid0(VALU_DEP_1) | instskip(SKIP_1) | instid1(SALU_CYCLE_1)
	v_cmp_ne_u32_e32 vcc_lo, 0x7f800000, v6
                                        ; implicit-def: $vgpr6
	s_and_saveexec_b32 s3, vcc_lo
	s_xor_b32 s3, exec_lo, s3
; %bb.101:
	v_bfe_u32 v6, v78, 16, 1
	s_delay_alu instid0(VALU_DEP_1)
	v_add3_u32 v6, v78, v6, 0x7fff
; %bb.102:
	s_and_not1_saveexec_b32 s3, s3
; %bb.103:
	v_and_b32_e32 v6, 0xffff, v78
	v_or_b32_e32 v7, 0x10000, v78
	s_delay_alu instid0(VALU_DEP_2) | instskip(NEXT) | instid1(VALU_DEP_2)
	v_cmp_eq_u32_e32 vcc_lo, 0, v6
	v_cndmask_b32_e32 v6, v7, v78, vcc_lo
; %bb.104:
	s_or_b32 exec_lo, exec_lo, s3
	v_and_b32_e32 v7, 0x7f800000, v79
	s_delay_alu instid0(VALU_DEP_1) | instskip(SKIP_1) | instid1(SALU_CYCLE_1)
	v_cmp_ne_u32_e32 vcc_lo, 0x7f800000, v7
                                        ; implicit-def: $vgpr7
	s_and_saveexec_b32 s3, vcc_lo
	s_xor_b32 s3, exec_lo, s3
; %bb.105:
	v_bfe_u32 v7, v79, 16, 1
	s_delay_alu instid0(VALU_DEP_1)
	v_add3_u32 v7, v79, v7, 0x7fff
; %bb.106:
	s_and_not1_saveexec_b32 s3, s3
; %bb.107:
	v_and_b32_e32 v7, 0xffff, v79
	v_or_b32_e32 v8, 0x10000, v79
	s_delay_alu instid0(VALU_DEP_2) | instskip(NEXT) | instid1(VALU_DEP_2)
	v_cmp_eq_u32_e32 vcc_lo, 0, v7
	v_cndmask_b32_e32 v7, v8, v79, vcc_lo
; %bb.108:
	s_or_b32 exec_lo, exec_lo, s3
	v_and_b32_e32 v8, 0x7f800000, v80
	s_delay_alu instid0(VALU_DEP_1) | instskip(SKIP_1) | instid1(SALU_CYCLE_1)
	v_cmp_ne_u32_e32 vcc_lo, 0x7f800000, v8
                                        ; implicit-def: $vgpr8
	s_and_saveexec_b32 s3, vcc_lo
	s_xor_b32 s3, exec_lo, s3
; %bb.109:
	v_bfe_u32 v8, v80, 16, 1
	s_delay_alu instid0(VALU_DEP_1)
	v_add3_u32 v8, v80, v8, 0x7fff
                                        ; implicit-def: $vgpr73_vgpr74_vgpr75_vgpr76_vgpr77_vgpr78_vgpr79_vgpr80
; %bb.110:
	s_and_not1_saveexec_b32 s3, s3
; %bb.111:
	v_and_b32_e32 v8, 0xffff, v80
	v_or_b32_e32 v9, 0x10000, v80
	s_delay_alu instid0(VALU_DEP_2) | instskip(NEXT) | instid1(VALU_DEP_2)
	v_cmp_eq_u32_e32 vcc_lo, 0, v8
	v_cndmask_b32_e32 v8, v9, v80, vcc_lo
; %bb.112:
	s_or_b32 exec_lo, exec_lo, s3
	s_delay_alu instid0(VALU_DEP_1)
	v_perm_b32 v7, v8, v7, 0x7060302
	v_perm_b32 v6, v6, v5, 0x7060302
	;; [unrolled: 1-line block ×4, first 2 shown]
	v_lshl_or_b32 v9, v83, 4, v90
	s_barrier
	buffer_gl0_inv
	v_cmp_eq_u32_e32 vcc_lo, 1, v87
	ds_store_b128 v9, v[4:7]
	s_waitcnt lgkmcnt(0)
	s_barrier
	buffer_gl0_inv
	ds_load_b128 v[1:4], v90
	ds_load_b128 v[5:8], v90 offset:16
	v_cmp_eq_u32_e64 s4, 2, v87
	v_cmp_eq_u32_e64 s3, 1, v88
	;; [unrolled: 1-line block ×5, first 2 shown]
	s_waitcnt lgkmcnt(1)
	v_lshrrev_b32_e32 v10, 16, v1
	s_waitcnt lgkmcnt(0)
	v_lshrrev_b32_e32 v14, 16, v5
	v_lshrrev_b32_e32 v15, 16, v6
	;; [unrolled: 1-line block ×4, first 2 shown]
	v_cndmask_b32_e64 v20, v1, v10, s3
	v_cndmask_b32_e32 v19, v5, v14, vcc_lo
	v_cndmask_b32_e64 v21, v5, v14, s3
	v_lshrrev_b32_e32 v16, 16, v7
	v_cmp_eq_u32_e64 s3, 1, v86
	v_lshrrev_b32_e32 v13, 16, v4
	v_cndmask_b32_e64 v19, v19, v6, s4
	v_lshrrev_b32_e32 v17, 16, v8
	s_delay_alu instid0(VALU_DEP_4) | instskip(SKIP_1) | instid1(VALU_DEP_4)
	v_cndmask_b32_e64 v22, v1, v10, s3
	v_cndmask_b32_e64 v23, v5, v14, s3
	;; [unrolled: 1-line block ×3, first 2 shown]
	v_cndmask_b32_e32 v18, v1, v10, vcc_lo
	v_cmp_eq_u32_e32 vcc_lo, 2, v88
	v_cmp_eq_u32_e64 s3, 2, v89
	v_cndmask_b32_e64 v22, v22, v2, s7
	v_cndmask_b32_e32 v20, v20, v2, vcc_lo
	v_cndmask_b32_e32 v21, v21, v6, vcc_lo
	v_cmp_eq_u32_e32 vcc_lo, 4, v87
	v_cndmask_b32_e32 v19, v19, v7, vcc_lo
	v_cndmask_b32_e64 v18, v18, v2, s4
	v_cmp_eq_u32_e64 s4, 3, v88
	s_delay_alu instid0(VALU_DEP_2) | instskip(NEXT) | instid1(VALU_DEP_2)
	v_cndmask_b32_e64 v18, v18, v11, s5
	v_cndmask_b32_e64 v21, v21, v15, s4
	v_cmp_eq_u32_e64 s5, 5, v87
	s_delay_alu instid0(VALU_DEP_3) | instskip(SKIP_1) | instid1(VALU_DEP_3)
	v_cndmask_b32_e32 v18, v18, v3, vcc_lo
	v_cmp_eq_u32_e32 vcc_lo, 4, v88
	v_cndmask_b32_e64 v19, v19, v16, s5
	s_delay_alu instid0(VALU_DEP_3) | instskip(SKIP_4) | instid1(VALU_DEP_3)
	v_cndmask_b32_e64 v18, v18, v12, s5
	v_cndmask_b32_e32 v21, v21, v7, vcc_lo
	v_cndmask_b32_e64 v20, v20, v11, s4
	v_cmp_eq_u32_e64 s4, 5, v88
	v_cmp_eq_u32_e64 s5, 6, v87
	v_cndmask_b32_e32 v20, v20, v3, vcc_lo
	s_delay_alu instid0(VALU_DEP_3) | instskip(SKIP_1) | instid1(VALU_DEP_4)
	v_cndmask_b32_e64 v21, v21, v16, s4
	v_cmp_eq_u32_e32 vcc_lo, 6, v88
	v_cndmask_b32_e64 v18, v18, v4, s5
	v_cndmask_b32_e64 v19, v19, v8, s5
	;; [unrolled: 1-line block ×3, first 2 shown]
	v_cmp_eq_u32_e64 s4, 1, v89
	v_cmp_eq_u32_e64 s5, 7, v87
	s_delay_alu instid0(VALU_DEP_3) | instskip(NEXT) | instid1(VALU_DEP_3)
	v_cndmask_b32_e32 v20, v20, v4, vcc_lo
	v_cndmask_b32_e64 v1, v1, v10, s4
	v_cndmask_b32_e64 v5, v5, v14, s4
	v_cmp_eq_u32_e64 s4, 3, v86
	v_cndmask_b32_e64 v14, v23, v6, s7
	v_cmp_eq_u32_e64 s7, 3, v89
	v_cndmask_b32_e64 v1, v1, v2, s3
	v_cndmask_b32_e64 v2, v5, v6, s3
	;; [unrolled: 1-line block ×3, first 2 shown]
	v_cmp_eq_u32_e64 s3, 4, v86
	v_cndmask_b32_e64 v6, v14, v15, s4
	v_cndmask_b32_e64 v1, v1, v11, s7
	v_cmp_eq_u32_e64 s4, 4, v89
	v_cndmask_b32_e64 v2, v2, v15, s7
	v_cndmask_b32_e64 v5, v10, v3, s3
	;; [unrolled: 3-line block ×3, first 2 shown]
	v_cndmask_b32_e64 v2, v2, v7, s4
	v_cmp_eq_u32_e64 s3, 5, v89
	v_cndmask_b32_e64 v5, v5, v12, s7
	v_cmp_eq_u32_e64 s4, 6, v86
	v_cndmask_b32_e64 v3, v6, v16, s7
	v_cmp_eq_u32_e64 s7, 6, v89
	v_cndmask_b32_e64 v1, v1, v12, s3
	v_cndmask_b32_e64 v2, v2, v16, s3
	;; [unrolled: 1-line block ×4, first 2 shown]
	v_cmp_eq_u32_e64 s3, 7, v89
	v_cndmask_b32_e64 v1, v1, v4, s7
	v_cndmask_b32_e64 v2, v2, v8, s7
	v_cmp_eq_u32_e64 s4, 7, v86
	v_cndmask_b32_e32 v4, v21, v8, vcc_lo
	v_cndmask_b32_e64 v18, v18, v13, s5
	v_cndmask_b32_e64 v20, v20, v13, s6
	;; [unrolled: 1-line block ×8, first 2 shown]
	s_mov_b32 s3, exec_lo
	v_perm_b32 v4, v2, v1, 0x5040100
	v_perm_b32 v3, v3, v5, 0x5040100
	;; [unrolled: 1-line block ×4, first 2 shown]
	ds_store_b128 v9, v[1:4]
	s_waitcnt lgkmcnt(0)
	s_barrier
	buffer_gl0_inv
	v_cmpx_gt_u32_e32 32, v0
	s_cbranch_execz .LBB738_2
; %bb.113:
	s_load_b64 s[4:5], s[0:1], 0x68
	v_lshlrev_b32_e32 v0, 10, v0
	v_lshlrev_b32_e32 v1, 4, v84
	s_lshl_b32 s0, s34, 7
	v_add_nc_u32_e32 v2, s31, v83
	s_mul_i32 s1, s0, s30
	s_delay_alu instid0(SALU_CYCLE_1) | instskip(SKIP_1) | instid1(VALU_DEP_2)
	s_mul_i32 s6, s1, s8
	v_and_or_b32 v0, 0x3800, v0, v1
	v_mul_lo_u32 v1, v2, s0
	s_ashr_i32 s7, s6, 31
	v_add_nc_u32_e32 v3, 2, v2
	s_lshl_b64 s[6:7], s[6:7], 1
	v_add_nc_u32_e32 v4, 4, v2
	v_add_nc_u32_e32 v5, 6, v2
	v_lshl_or_b32 v15, v83, 6, v0
	v_mul_lo_u32 v3, v3, s0
	v_ashrrev_i32_e32 v2, 31, v1
	v_mul_lo_u32 v19, v4, s0
	v_mul_lo_u32 v21, v5, s0
	s_waitcnt lgkmcnt(0)
	s_add_u32 s1, s4, s6
	s_addc_u32 s3, s5, s7
	s_lshl_b32 s4, s14, 7
	v_lshlrev_b64 v[5:6], 1, v[1:2]
	s_ashr_i32 s5, s4, 31
	v_ashrrev_i32_e32 v4, 31, v3
	s_lshl_b64 s[4:5], s[4:5], 1
	v_ashrrev_i32_e32 v20, 31, v19
	s_add_u32 s1, s1, s4
	s_addc_u32 s3, s3, s5
	v_add_co_u32 v1, vcc_lo, s1, v81
	v_add_co_ci_u32_e32 v2, vcc_lo, s3, v82, vcc_lo
	v_lshlrev_b64 v[25:26], 1, v[3:4]
	s_delay_alu instid0(VALU_DEP_3) | instskip(NEXT) | instid1(VALU_DEP_3)
	v_add_co_u32 v23, vcc_lo, v1, v5
	v_add_co_ci_u32_e32 v24, vcc_lo, v2, v6, vcc_lo
	ds_load_b128 v[3:6], v15
	ds_load_b128 v[7:10], v15 offset:128
	ds_load_b128 v[11:14], v15 offset:256
	;; [unrolled: 1-line block ×3, first 2 shown]
	v_ashrrev_i32_e32 v22, 31, v21
	v_lshlrev_b64 v[19:20], 1, v[19:20]
	v_add_co_u32 v25, vcc_lo, v1, v25
	v_add_co_ci_u32_e32 v26, vcc_lo, v2, v26, vcc_lo
	s_delay_alu instid0(VALU_DEP_4) | instskip(NEXT) | instid1(VALU_DEP_4)
	v_lshlrev_b64 v[21:22], 1, v[21:22]
	v_add_co_u32 v19, vcc_lo, v1, v19
	v_add_co_ci_u32_e32 v20, vcc_lo, v2, v20, vcc_lo
	s_delay_alu instid0(VALU_DEP_3) | instskip(NEXT) | instid1(VALU_DEP_4)
	v_add_co_u32 v21, vcc_lo, v1, v21
	v_add_co_ci_u32_e32 v22, vcc_lo, v2, v22, vcc_lo
	s_waitcnt lgkmcnt(3)
	global_store_b128 v[23:24], v[3:6], off
	s_waitcnt lgkmcnt(2)
	global_store_b128 v[25:26], v[7:10], off
	;; [unrolled: 2-line block ×4, first 2 shown]
	s_and_b32 exec_lo, exec_lo, s2
	s_cbranch_execz .LBB738_2
; %bb.114:
	ds_load_b128 v[3:6], v0 offset:512
	s_add_i32 s1, s31, 8
	s_delay_alu instid0(SALU_CYCLE_1) | instskip(NEXT) | instid1(SALU_CYCLE_1)
	s_mul_i32 s0, s1, s0
	s_ashr_i32 s1, s0, 31
	s_delay_alu instid0(SALU_CYCLE_1) | instskip(NEXT) | instid1(SALU_CYCLE_1)
	s_lshl_b64 s[0:1], s[0:1], 1
	v_add_co_u32 v0, vcc_lo, v1, s0
	v_add_co_ci_u32_e32 v1, vcc_lo, s1, v2, vcc_lo
	s_waitcnt lgkmcnt(0)
	global_store_b128 v[0:1], v[3:6], off
	s_nop 0
	s_sendmsg sendmsg(MSG_DEALLOC_VGPRS)
	s_endpgm
	.section	.rodata,"a",@progbits
	.p2align	6, 0x0
	.amdhsa_kernel _Z39paged_attention_ll4mi_QKV_mfma16_kernelI14__hip_bfloat16S0_LN4vllm18Fp8KVCacheDataTypeE0ES0_Li32ELi128ELi256ELb1ELi9EL8MFMAType0EEvPKT_PKT0_S9_ifPKiSB_SB_iPKfiiiPfSE_PS4_PT2_iSD_SD_
		.amdhsa_group_segment_fixed_size 17472
		.amdhsa_private_segment_fixed_size 0
		.amdhsa_kernarg_size 400
		.amdhsa_user_sgpr_count 13
		.amdhsa_user_sgpr_dispatch_ptr 0
		.amdhsa_user_sgpr_queue_ptr 0
		.amdhsa_user_sgpr_kernarg_segment_ptr 1
		.amdhsa_user_sgpr_dispatch_id 0
		.amdhsa_user_sgpr_private_segment_size 0
		.amdhsa_wavefront_size32 1
		.amdhsa_uses_dynamic_stack 0
		.amdhsa_enable_private_segment 0
		.amdhsa_system_sgpr_workgroup_id_x 1
		.amdhsa_system_sgpr_workgroup_id_y 1
		.amdhsa_system_sgpr_workgroup_id_z 1
		.amdhsa_system_sgpr_workgroup_info 0
		.amdhsa_system_vgpr_workitem_id 0
		.amdhsa_next_free_vgpr 157
		.amdhsa_next_free_sgpr 38
		.amdhsa_reserve_vcc 1
		.amdhsa_float_round_mode_32 0
		.amdhsa_float_round_mode_16_64 0
		.amdhsa_float_denorm_mode_32 3
		.amdhsa_float_denorm_mode_16_64 3
		.amdhsa_dx10_clamp 1
		.amdhsa_ieee_mode 1
		.amdhsa_fp16_overflow 0
		.amdhsa_workgroup_processor_mode 1
		.amdhsa_memory_ordered 1
		.amdhsa_forward_progress 0
		.amdhsa_shared_vgpr_count 0
		.amdhsa_exception_fp_ieee_invalid_op 0
		.amdhsa_exception_fp_denorm_src 0
		.amdhsa_exception_fp_ieee_div_zero 0
		.amdhsa_exception_fp_ieee_overflow 0
		.amdhsa_exception_fp_ieee_underflow 0
		.amdhsa_exception_fp_ieee_inexact 0
		.amdhsa_exception_int_div_zero 0
	.end_amdhsa_kernel
	.section	.text._Z39paged_attention_ll4mi_QKV_mfma16_kernelI14__hip_bfloat16S0_LN4vllm18Fp8KVCacheDataTypeE0ES0_Li32ELi128ELi256ELb1ELi9EL8MFMAType0EEvPKT_PKT0_S9_ifPKiSB_SB_iPKfiiiPfSE_PS4_PT2_iSD_SD_,"axG",@progbits,_Z39paged_attention_ll4mi_QKV_mfma16_kernelI14__hip_bfloat16S0_LN4vllm18Fp8KVCacheDataTypeE0ES0_Li32ELi128ELi256ELb1ELi9EL8MFMAType0EEvPKT_PKT0_S9_ifPKiSB_SB_iPKfiiiPfSE_PS4_PT2_iSD_SD_,comdat
.Lfunc_end738:
	.size	_Z39paged_attention_ll4mi_QKV_mfma16_kernelI14__hip_bfloat16S0_LN4vllm18Fp8KVCacheDataTypeE0ES0_Li32ELi128ELi256ELb1ELi9EL8MFMAType0EEvPKT_PKT0_S9_ifPKiSB_SB_iPKfiiiPfSE_PS4_PT2_iSD_SD_, .Lfunc_end738-_Z39paged_attention_ll4mi_QKV_mfma16_kernelI14__hip_bfloat16S0_LN4vllm18Fp8KVCacheDataTypeE0ES0_Li32ELi128ELi256ELb1ELi9EL8MFMAType0EEvPKT_PKT0_S9_ifPKiSB_SB_iPKfiiiPfSE_PS4_PT2_iSD_SD_
                                        ; -- End function
	.section	.AMDGPU.csdata,"",@progbits
; Kernel info:
; codeLenInByte = 9844
; NumSgprs: 40
; NumVgprs: 157
; ScratchSize: 0
; MemoryBound: 0
; FloatMode: 240
; IeeeMode: 1
; LDSByteSize: 17472 bytes/workgroup (compile time only)
; SGPRBlocks: 4
; VGPRBlocks: 19
; NumSGPRsForWavesPerEU: 40
; NumVGPRsForWavesPerEU: 157
; Occupancy: 9
; WaveLimiterHint : 1
; COMPUTE_PGM_RSRC2:SCRATCH_EN: 0
; COMPUTE_PGM_RSRC2:USER_SGPR: 13
; COMPUTE_PGM_RSRC2:TRAP_HANDLER: 0
; COMPUTE_PGM_RSRC2:TGID_X_EN: 1
; COMPUTE_PGM_RSRC2:TGID_Y_EN: 1
; COMPUTE_PGM_RSRC2:TGID_Z_EN: 1
; COMPUTE_PGM_RSRC2:TIDIG_COMP_CNT: 0
	.section	.text._Z39paged_attention_ll4mi_QKV_mfma16_kernelI14__hip_bfloat16S0_LN4vllm18Fp8KVCacheDataTypeE0ES0_Li32ELi128ELi256ELb1ELi10EL8MFMAType0EEvPKT_PKT0_S9_ifPKiSB_SB_iPKfiiiPfSE_PS4_PT2_iSD_SD_,"axG",@progbits,_Z39paged_attention_ll4mi_QKV_mfma16_kernelI14__hip_bfloat16S0_LN4vllm18Fp8KVCacheDataTypeE0ES0_Li32ELi128ELi256ELb1ELi10EL8MFMAType0EEvPKT_PKT0_S9_ifPKiSB_SB_iPKfiiiPfSE_PS4_PT2_iSD_SD_,comdat
	.protected	_Z39paged_attention_ll4mi_QKV_mfma16_kernelI14__hip_bfloat16S0_LN4vllm18Fp8KVCacheDataTypeE0ES0_Li32ELi128ELi256ELb1ELi10EL8MFMAType0EEvPKT_PKT0_S9_ifPKiSB_SB_iPKfiiiPfSE_PS4_PT2_iSD_SD_ ; -- Begin function _Z39paged_attention_ll4mi_QKV_mfma16_kernelI14__hip_bfloat16S0_LN4vllm18Fp8KVCacheDataTypeE0ES0_Li32ELi128ELi256ELb1ELi10EL8MFMAType0EEvPKT_PKT0_S9_ifPKiSB_SB_iPKfiiiPfSE_PS4_PT2_iSD_SD_
	.globl	_Z39paged_attention_ll4mi_QKV_mfma16_kernelI14__hip_bfloat16S0_LN4vllm18Fp8KVCacheDataTypeE0ES0_Li32ELi128ELi256ELb1ELi10EL8MFMAType0EEvPKT_PKT0_S9_ifPKiSB_SB_iPKfiiiPfSE_PS4_PT2_iSD_SD_
	.p2align	8
	.type	_Z39paged_attention_ll4mi_QKV_mfma16_kernelI14__hip_bfloat16S0_LN4vllm18Fp8KVCacheDataTypeE0ES0_Li32ELi128ELi256ELb1ELi10EL8MFMAType0EEvPKT_PKT0_S9_ifPKiSB_SB_iPKfiiiPfSE_PS4_PT2_iSD_SD_,@function
_Z39paged_attention_ll4mi_QKV_mfma16_kernelI14__hip_bfloat16S0_LN4vllm18Fp8KVCacheDataTypeE0ES0_Li32ELi128ELi256ELb1ELi10EL8MFMAType0EEvPKT_PKT0_S9_ifPKiSB_SB_iPKfiiiPfSE_PS4_PT2_iSD_SD_: ; @_Z39paged_attention_ll4mi_QKV_mfma16_kernelI14__hip_bfloat16S0_LN4vllm18Fp8KVCacheDataTypeE0ES0_Li32ELi128ELi256ELb1ELi10EL8MFMAType0EEvPKT_PKT0_S9_ifPKiSB_SB_iPKfiiiPfSE_PS4_PT2_iSD_SD_
; %bb.0:
	s_load_b64 s[2:3], s[0:1], 0x30
	s_mov_b32 s30, s13
	s_waitcnt lgkmcnt(0)
	s_cmp_lg_u64 s[2:3], 0
	s_cselect_b32 s6, -1, 0
	s_ashr_i32 s31, s13, 31
	s_cmp_eq_u64 s[2:3], 0
	s_cbranch_scc1 .LBB739_3
; %bb.1:
	s_lshl_b64 s[4:5], s[30:31], 2
	s_delay_alu instid0(SALU_CYCLE_1) | instskip(SKIP_4) | instid1(SALU_CYCLE_1)
	s_add_u32 s4, s2, s4
	s_addc_u32 s5, s3, s5
	s_load_b64 s[4:5], s[4:5], 0x0
	s_waitcnt lgkmcnt(0)
	s_sub_i32 s4, s5, s4
	s_cmp_eq_u32 s4, 1
	s_cselect_b32 s4, -1, 0
	s_delay_alu instid0(SALU_CYCLE_1)
	s_and_not1_b32 vcc_lo, exec_lo, s4
	s_cbranch_vccz .LBB739_4
.LBB739_2:
	s_endpgm
.LBB739_3:
.LBB739_4:
	s_load_b64 s[8:9], s[0:1], 0x28
	s_lshl_b64 s[4:5], s[30:31], 2
	s_waitcnt lgkmcnt(0)
	s_add_u32 s8, s8, s4
	s_addc_u32 s9, s9, s5
	s_lshl_b32 s12, s14, 8
	s_load_b32 s17, s[8:9], 0x0
	s_waitcnt lgkmcnt(0)
	s_cmp_ge_i32 s12, s17
	s_cbranch_scc1 .LBB739_2
; %bb.5:
	s_and_not1_b32 vcc_lo, exec_lo, s6
	s_cbranch_vccnz .LBB739_7
; %bb.6:
	s_add_u32 s2, s2, s4
	s_addc_u32 s3, s3, s5
	s_load_b32 s13, s[2:3], 0x0
	s_branch .LBB739_8
.LBB739_7:
	s_mov_b32 s13, s30
.LBB739_8:
	s_clause 0x2
	s_load_b128 s[8:11], s[0:1], 0x8
	s_load_b64 s[2:3], s[0:1], 0x20
	s_load_b128 s[4:7], s[0:1], 0x48
	v_and_b32_e32 v73, 15, v0
	s_waitcnt lgkmcnt(0)
	s_mov_b32 s7, exec_lo
	s_delay_alu instid0(VALU_DEP_1)
	v_lshlrev_b32_e32 v1, 3, v73
	v_cmpx_lt_u32_e32 0x9f, v0
	s_xor_b32 s7, exec_lo, s7
; %bb.9:
	v_mov_b32_e32 v2, 0
; %bb.10:
	s_or_saveexec_b32 s7, s7
	v_lshrrev_b32_e32 v74, 5, v0
	v_and_b32_e32 v75, 31, v0
	v_and_b32_e32 v84, 1, v0
	v_bfe_u32 v83, v0, 4, 1
	s_mul_i32 s29, s15, 10
	s_xor_b32 exec_lo, exec_lo, s7
	s_cbranch_execz .LBB739_12
; %bb.11:
	s_load_b64 s[18:19], s[0:1], 0x0
	v_lshl_or_b32 v7, v74, 1, v83
	s_mul_hi_i32 s21, s13, s4
	s_mul_i32 s20, s13, s4
	v_lshlrev_b32_e32 v4, 1, v1
	s_lshl_b64 s[20:21], s[20:21], 1
	v_add_lshl_u32 v2, v7, s29, 7
	v_lshlrev_b32_e32 v7, 6, v7
	v_lshlrev_b32_e32 v8, 10, v84
	s_delay_alu instid0(VALU_DEP_3) | instskip(NEXT) | instid1(VALU_DEP_1)
	v_ashrrev_i32_e32 v3, 31, v2
	v_lshlrev_b64 v[2:3], 1, v[2:3]
	s_waitcnt lgkmcnt(0)
	s_add_u32 s4, s18, s20
	s_addc_u32 s13, s19, s21
	s_delay_alu instid0(VALU_DEP_1) | instskip(NEXT) | instid1(VALU_DEP_2)
	v_add_co_u32 v2, vcc_lo, s4, v2
	v_add_co_ci_u32_e32 v3, vcc_lo, s13, v3, vcc_lo
	s_delay_alu instid0(VALU_DEP_2) | instskip(NEXT) | instid1(VALU_DEP_2)
	v_add_co_u32 v2, vcc_lo, v2, v4
	v_add_co_ci_u32_e32 v3, vcc_lo, 0, v3, vcc_lo
	global_load_b128 v[3:6], v[2:3], off
	v_lshlrev_b32_e32 v2, 10, v73
	s_delay_alu instid0(VALU_DEP_1) | instskip(NEXT) | instid1(VALU_DEP_1)
	v_and_b32_e32 v2, 0x3800, v2
	v_or3_b32 v7, v2, v8, v7
	v_mov_b32_e32 v2, 0
	s_waitcnt vmcnt(0)
	ds_store_b128 v7, v[3:6]
.LBB739_12:
	s_or_b32 exec_lo, exec_lo, s7
	v_add_nc_u32_e32 v80, -10, v73
	v_and_b32_e32 v3, 0xef, v0
	s_add_i32 s4, s17, 31
	s_clause 0x1
	s_load_b32 s7, s[0:1], 0x38
	s_load_b32 s18, s[0:1], 0x1c
	s_ashr_i32 s13, s4, 31
	v_add_nc_u32_e32 v3, s12, v3
	s_lshr_b32 s13, s13, 27
	s_waitcnt lgkmcnt(0)
	s_add_i32 s4, s4, s13
	s_barrier
	v_ashrrev_i32_e32 v4, 31, v3
	v_cmp_gt_i32_e32 vcc_lo, s17, v3
	s_ashr_i32 s4, s4, 5
	buffer_gl0_inv
	s_add_i32 s4, s4, -1
	v_lshrrev_b32_e32 v5, 27, v4
	v_or_b32_e32 v4, 16, v3
	v_lshlrev_b64 v[81:82], 1, v[1:2]
	s_delay_alu instid0(VALU_DEP_3) | instskip(NEXT) | instid1(VALU_DEP_3)
	v_add_nc_u32_e32 v6, v3, v5
	v_add_nc_u32_e32 v5, v4, v5
	s_mul_i32 s20, s30, s7
	s_delay_alu instid0(SALU_CYCLE_1) | instskip(NEXT) | instid1(VALU_DEP_2)
	s_ashr_i32 s21, s20, 31
	v_ashrrev_i32_e32 v6, 5, v6
	s_delay_alu instid0(VALU_DEP_2) | instskip(SKIP_1) | instid1(SALU_CYCLE_1)
	v_ashrrev_i32_e32 v5, 5, v5
	s_lshl_b64 s[20:21], s[20:21], 2
	s_add_u32 s7, s2, s20
	s_delay_alu instid0(VALU_DEP_2) | instskip(SKIP_3) | instid1(VALU_DEP_2)
	v_cndmask_b32_e32 v3, s4, v6, vcc_lo
	v_cmp_gt_i32_e32 vcc_lo, s17, v4
	s_addc_u32 s13, s3, s21
	s_mul_i32 s2, s15, s6
	v_ashrrev_i32_e32 v4, 31, v3
	v_cndmask_b32_e32 v5, s4, v5, vcc_lo
	s_ashr_i32 s3, s2, 31
	s_delay_alu instid0(SALU_CYCLE_1) | instskip(NEXT) | instid1(VALU_DEP_2)
	s_lshl_b64 s[2:3], s[2:3], 1
	v_lshlrev_b64 v[3:4], 2, v[3:4]
	s_delay_alu instid0(VALU_DEP_2) | instskip(SKIP_3) | instid1(VALU_DEP_1)
	v_ashrrev_i32_e32 v6, 31, v5
	s_add_u32 s6, s8, s2
	s_addc_u32 s15, s9, s3
	s_lshl_b32 s8, s14, 3
	v_lshlrev_b64 v[5:6], 2, v[5:6]
	v_add_co_u32 v3, vcc_lo, s7, v3
	v_add_co_ci_u32_e32 v4, vcc_lo, s13, v4, vcc_lo
	s_ashr_i32 s9, s8, 31
	s_delay_alu instid0(VALU_DEP_3) | instskip(NEXT) | instid1(VALU_DEP_4)
	v_add_co_u32 v5, vcc_lo, s7, v5
	v_add_co_ci_u32_e32 v6, vcc_lo, s13, v6, vcc_lo
	s_clause 0x1
	global_load_b32 v7, v[3:4], off
	global_load_b32 v8, v[5:6], off
	s_lshl_b64 s[8:9], s[8:9], 2
	s_delay_alu instid0(SALU_CYCLE_1) | instskip(SKIP_2) | instid1(SALU_CYCLE_1)
	s_add_u32 s8, s7, s8
	s_addc_u32 s9, s13, s9
	s_or_b32 s16, s12, 32
	s_ashr_i32 s19, s16, 5
	s_cmp_lt_i32 s16, s17
	s_cselect_b32 s20, s19, s4
	s_delay_alu instid0(SALU_CYCLE_1) | instskip(NEXT) | instid1(SALU_CYCLE_1)
	s_ashr_i32 s21, s20, 31
	s_lshl_b64 s[20:21], s[20:21], 2
	s_delay_alu instid0(SALU_CYCLE_1) | instskip(SKIP_2) | instid1(SALU_CYCLE_1)
	s_add_u32 s20, s7, s20
	s_addc_u32 s21, s13, s21
	s_or_b32 s16, s12, 64
	s_ashr_i32 s19, s16, 5
	s_cmp_lt_i32 s16, s17
	s_cselect_b32 s22, s19, s4
	s_delay_alu instid0(SALU_CYCLE_1) | instskip(NEXT) | instid1(SALU_CYCLE_1)
	s_ashr_i32 s23, s22, 31
	;; [unrolled: 10-line block ×5, first 2 shown]
	s_lshl_b64 s[34:35], s[34:35], 2
	s_delay_alu instid0(SALU_CYCLE_1)
	s_add_u32 s34, s7, s34
	s_addc_u32 s35, s13, s35
	s_clause 0x5
	s_load_b32 s16, s[8:9], 0x0
	s_load_b32 s19, s[20:21], 0x0
	;; [unrolled: 1-line block ×6, first 2 shown]
	s_mov_b32 s20, 0
	s_delay_alu instid0(SALU_CYCLE_1)
	s_mov_b32 s27, s20
	s_mov_b32 s24, s20
	;; [unrolled: 1-line block ×7, first 2 shown]
	v_dual_mov_b32 v108, s27 :: v_dual_mov_b32 v105, s24
	v_dual_mov_b32 v107, s26 :: v_dual_mov_b32 v106, s25
	;; [unrolled: 1-line block ×4, first 2 shown]
	s_waitcnt lgkmcnt(0)
	s_mul_hi_i32 s21, s16, s5
	s_mul_i32 s20, s16, s5
	s_mul_hi_i32 s23, s19, s5
	s_mul_i32 s22, s19, s5
	s_mul_hi_i32 s27, s28, s5
	s_mul_i32 s26, s28, s5
	s_mul_hi_i32 s35, s31, s5
	s_mul_i32 s34, s31, s5
	s_mul_hi_i32 s39, s38, s5
	s_mul_i32 s38, s38, s5
	s_waitcnt vmcnt(1)
	v_mad_i64_i32 v[3:4], null, v7, s5, 0
	s_waitcnt vmcnt(0)
	v_mad_i64_i32 v[5:6], null, v8, s5, 0
	s_delay_alu instid0(VALU_DEP_2) | instskip(NEXT) | instid1(VALU_DEP_2)
	v_lshlrev_b64 v[3:4], 1, v[3:4]
	v_lshlrev_b64 v[1:2], 1, v[5:6]
	s_delay_alu instid0(VALU_DEP_2) | instskip(NEXT) | instid1(VALU_DEP_3)
	v_add_co_u32 v3, vcc_lo, s6, v3
	v_add_co_ci_u32_e32 v4, vcc_lo, s15, v4, vcc_lo
	s_delay_alu instid0(VALU_DEP_3) | instskip(NEXT) | instid1(VALU_DEP_4)
	v_add_co_u32 v1, vcc_lo, s6, v1
	v_add_co_ci_u32_e32 v2, vcc_lo, s15, v2, vcc_lo
	s_delay_alu instid0(VALU_DEP_4) | instskip(NEXT) | instid1(VALU_DEP_4)
	v_add_co_u32 v65, vcc_lo, v3, v81
	v_add_co_ci_u32_e32 v66, vcc_lo, v4, v82, vcc_lo
	s_delay_alu instid0(VALU_DEP_4) | instskip(NEXT) | instid1(VALU_DEP_4)
	v_add_co_u32 v76, vcc_lo, v1, v81
	v_add_co_ci_u32_e32 v77, vcc_lo, v2, v82, vcc_lo
	s_clause 0xf
	global_load_b128 v[1:4], v[65:66], off
	global_load_b128 v[5:8], v[65:66], off offset:512
	global_load_b128 v[9:12], v[76:77], off offset:256
	;; [unrolled: 1-line block ×15, first 2 shown]
	v_add_co_u32 v78, vcc_lo, 0x1000, v65
	v_add_co_ci_u32_e32 v79, vcc_lo, 0, v66, vcc_lo
	v_cmp_gt_u32_e32 vcc_lo, 10, v73
	s_clause 0x1
	global_load_b128 v[65:68], v[78:79], off
	global_load_b128 v[69:72], v[78:79], off offset:512
	s_or_b32 s6, s12, 0xc0
	v_cndmask_b32_e32 v80, v80, v73, vcc_lo
	v_add_co_u32 v76, vcc_lo, 0x1000, v76
	v_add_co_ci_u32_e32 v77, vcc_lo, 0, v77, vcc_lo
	s_delay_alu instid0(VALU_DEP_3)
	v_lshlrev_b32_e32 v80, 6, v80
	ds_load_b128 v[85:88], v80
	ds_load_b128 v[89:92], v80 offset:1024
	s_clause 0x1
	global_load_b128 v[93:96], v[76:77], off offset:256
	global_load_b128 v[97:100], v[76:77], off offset:768
	ds_load_b128 v[109:112], v80 offset:2048
	ds_load_b128 v[113:116], v80 offset:3072
	s_ashr_i32 s8, s6, 5
	s_cmp_lt_i32 s6, s17
	s_cselect_b32 s8, s8, s4
	s_delay_alu instid0(SALU_CYCLE_1) | instskip(NEXT) | instid1(SALU_CYCLE_1)
	s_ashr_i32 s9, s8, 31
	s_lshl_b64 s[8:9], s[8:9], 2
	s_delay_alu instid0(SALU_CYCLE_1) | instskip(SKIP_2) | instid1(SALU_CYCLE_1)
	s_add_u32 s8, s7, s8
	s_addc_u32 s9, s13, s9
	s_or_b32 s6, s12, 0xe0
	s_ashr_i32 s15, s6, 5
	s_cmp_lt_i32 s6, s17
	s_cselect_b32 s24, s15, s4
	s_delay_alu instid0(SALU_CYCLE_1) | instskip(NEXT) | instid1(SALU_CYCLE_1)
	s_ashr_i32 s25, s24, 31
	s_lshl_b64 s[24:25], s[24:25], 2
	s_delay_alu instid0(SALU_CYCLE_1) | instskip(SKIP_2) | instid1(SALU_CYCLE_1)
	s_add_u32 s24, s7, s24
	s_addc_u32 s25, s13, s25
	s_add_i32 s6, s12, 0x100
	s_ashr_i32 s15, s6, 5
	s_cmp_lt_i32 s6, s17
	s_cselect_b32 s36, s15, s4
	s_delay_alu instid0(SALU_CYCLE_1) | instskip(NEXT) | instid1(SALU_CYCLE_1)
	s_ashr_i32 s37, s36, 31
	s_lshl_b64 s[36:37], s[36:37], 2
	s_delay_alu instid0(SALU_CYCLE_1)
	s_add_u32 s6, s7, s36
	s_addc_u32 s7, s13, s37
	s_add_u32 s4, s10, s2
	s_addc_u32 s19, s11, s3
	s_lshl_b64 s[2:3], s[20:21], 1
	s_lshl_b64 s[10:11], s[26:27], 1
	;; [unrolled: 1-line block ×3, first 2 shown]
	s_waitcnt vmcnt(18) lgkmcnt(2)
	v_wmma_f32_16x16x16_bf16 v[117:124], v[1:8], v[85:92], v[101:108]
	s_waitcnt vmcnt(16)
	v_wmma_f32_16x16x16_bf16 v[101:108], v[9:16], v[85:92], v[101:108]
	s_clause 0x3
	global_load_b128 v[1:4], v[78:79], off offset:1024
	global_load_b128 v[5:8], v[78:79], off offset:1536
	global_load_b128 v[9:12], v[76:77], off offset:1280
	global_load_b128 v[13:16], v[76:77], off offset:1792
	s_waitcnt vmcnt(18) lgkmcnt(0)
	v_wmma_f32_16x16x16_bf16 v[117:124], v[17:24], v[109:116], v[117:124]
	s_clause 0x1
	global_load_b128 v[17:20], v[78:79], off offset:2048
	global_load_b128 v[21:24], v[78:79], off offset:2560
	s_waitcnt vmcnt(18)
	v_wmma_f32_16x16x16_bf16 v[101:108], v[25:32], v[109:116], v[101:108]
	ds_load_b128 v[25:28], v80 offset:4096
	ds_load_b128 v[29:32], v80 offset:5120
	s_clause 0x5
	global_load_b128 v[109:112], v[76:77], off offset:2304
	global_load_b128 v[113:116], v[76:77], off offset:2816
	;; [unrolled: 1-line block ×6, first 2 shown]
	s_waitcnt vmcnt(22) lgkmcnt(0)
	v_wmma_f32_16x16x16_bf16 v[117:124], v[33:40], v[25:32], v[117:124]
	s_waitcnt vmcnt(20)
	v_wmma_f32_16x16x16_bf16 v[101:108], v[41:48], v[25:32], v[101:108]
	ds_load_b128 v[25:28], v80 offset:6144
	ds_load_b128 v[29:32], v80 offset:7168
	;; [unrolled: 1-line block ×4, first 2 shown]
	s_waitcnt vmcnt(18) lgkmcnt(2)
	v_wmma_f32_16x16x16_bf16 v[117:124], v[49:56], v[25:32], v[117:124]
	s_waitcnt vmcnt(16)
	v_wmma_f32_16x16x16_bf16 v[101:108], v[57:64], v[25:32], v[101:108]
	ds_load_b128 v[25:28], v80 offset:10240
	ds_load_b128 v[29:32], v80 offset:11264
	;; [unrolled: 1-line block ×6, first 2 shown]
	s_waitcnt vmcnt(14) lgkmcnt(6)
	v_wmma_f32_16x16x16_bf16 v[117:124], v[65:72], v[33:40], v[117:124]
	s_waitcnt vmcnt(12)
	v_wmma_f32_16x16x16_bf16 v[101:108], v[93:100], v[33:40], v[101:108]
	s_clause 0x2
	s_load_b32 s16, s[8:9], 0x0
	s_load_b32 s13, s[24:25], 0x0
	;; [unrolled: 1-line block ×3, first 2 shown]
	s_lshl_b64 s[6:7], s[22:23], 1
	s_mul_hi_i32 s9, s33, s5
	s_mul_i32 s8, s33, s5
	s_lshl_b64 s[22:23], s[38:39], 1
	s_lshl_b64 s[8:9], s[8:9], 1
	s_waitcnt lgkmcnt(0)
	s_mul_hi_i32 s25, s16, s5
	s_mul_i32 s24, s16, s5
	s_waitcnt vmcnt(10)
	v_wmma_f32_16x16x16_bf16 v[117:124], v[1:8], v[25:32], v[117:124]
	s_waitcnt vmcnt(8)
	v_wmma_f32_16x16x16_bf16 v[101:108], v[9:16], v[25:32], v[101:108]
	s_waitcnt vmcnt(6)
	s_delay_alu instid0(VALU_DEP_2) | instskip(SKIP_1) | instid1(VALU_DEP_2)
	v_wmma_f32_16x16x16_bf16 v[117:124], v[17:24], v[141:148], v[117:124]
	s_waitcnt vmcnt(4)
	v_wmma_f32_16x16x16_bf16 v[101:108], v[109:116], v[141:148], v[101:108]
	s_waitcnt vmcnt(2)
	s_delay_alu instid0(VALU_DEP_2) | instskip(SKIP_3) | instid1(VALU_DEP_3)
	v_wmma_f32_16x16x16_bf16 v[117:124], v[125:132], v[149:156], v[117:124]
	v_lshlrev_b32_e32 v85, 6, v73
	s_waitcnt vmcnt(0)
	v_wmma_f32_16x16x16_bf16 v[101:108], v[133:140], v[149:156], v[101:108]
	v_mul_f32_e32 v100, s18, v124
	s_delay_alu instid0(VALU_DEP_3) | instskip(SKIP_2) | instid1(VALU_DEP_3)
	v_lshl_or_b32 v41, v74, 10, v85
	v_mul_f32_e32 v99, s18, v118
	v_mul_f32_e32 v97, s18, v117
	v_add_co_u32 v76, s4, s4, v41
	s_delay_alu instid0(VALU_DEP_1) | instskip(NEXT) | instid1(VALU_DEP_2)
	v_add_co_ci_u32_e64 v77, null, s19, 0, s4
	v_add_co_u32 v41, vcc_lo, v76, s2
	s_delay_alu instid0(VALU_DEP_2)
	v_add_co_ci_u32_e32 v42, vcc_lo, s3, v77, vcc_lo
	v_add_co_u32 v33, vcc_lo, v76, s6
	v_add_co_ci_u32_e32 v34, vcc_lo, s7, v77, vcc_lo
	v_add_co_u32 v35, vcc_lo, v76, s10
	;; [unrolled: 2-line block ×5, first 2 shown]
	s_lshl_b64 s[2:3], s[24:25], 1
	v_add_co_ci_u32_e32 v6, vcc_lo, s23, v77, vcc_lo
	s_mul_hi_i32 s7, s13, s5
	s_mul_i32 s6, s13, s5
	v_add_co_u32 v17, vcc_lo, v76, s2
	v_add_co_ci_u32_e32 v18, vcc_lo, s3, v77, vcc_lo
	s_lshl_b64 s[2:3], s[6:7], 1
	s_mul_hi_i32 s7, s15, s5
	s_mul_i32 s6, s15, s5
	v_add_co_u32 v19, vcc_lo, v76, s2
	v_add_co_ci_u32_e32 v20, vcc_lo, s3, v77, vcc_lo
	s_lshl_b64 s[2:3], s[6:7], 1
	s_clause 0x1
	global_load_b128 v[65:68], v[41:42], off
	global_load_b128 v[69:72], v[41:42], off offset:16
	v_add_co_u32 v21, vcc_lo, v76, s2
	v_add_co_ci_u32_e32 v22, vcc_lo, s3, v77, vcc_lo
	s_clause 0xf
	global_load_b128 v[57:60], v[33:34], off
	global_load_b128 v[61:64], v[33:34], off offset:16
	global_load_b128 v[49:52], v[35:36], off
	global_load_b128 v[53:56], v[35:36], off offset:16
	;; [unrolled: 2-line block ×8, first 2 shown]
	v_mbcnt_lo_u32_b32 v77, -1, 0
	s_waitcnt vmcnt(0)
	s_barrier
	buffer_gl0_inv
	v_xor_b32_e32 v78, 16, v77
	s_delay_alu instid0(VALU_DEP_1) | instskip(SKIP_1) | instid1(VALU_DEP_1)
	v_cmp_gt_i32_e32 vcc_lo, 32, v78
	v_dual_cndmask_b32 v77, v77, v78 :: v_dual_and_b32 v76, 0xe0, v0
	v_add_nc_u32_e32 v76, s12, v76
	s_delay_alu instid0(VALU_DEP_1) | instskip(NEXT) | instid1(VALU_DEP_1)
	v_or_b32_e32 v76, v76, v83
	v_or_b32_e32 v78, 2, v76
	;; [unrolled: 1-line block ×4, first 2 shown]
	v_cmp_gt_i32_e32 vcc_lo, s17, v76
	v_or_b32_e32 v86, 8, v76
	v_cmp_gt_i32_e64 s2, s17, v78
	v_or_b32_e32 v87, 10, v76
	v_or_b32_e32 v88, 12, v76
	;; [unrolled: 1-line block ×11, first 2 shown]
	v_cndmask_b32_e32 v76, 0xff7fffff, v97, vcc_lo
	v_cmp_gt_i32_e64 s3, s17, v80
	v_mul_f32_e32 v80, s18, v119
	v_cndmask_b32_e64 v78, 0xff7fffff, v99, s2
	v_mul_f32_e32 v99, s18, v120
	v_cmp_gt_i32_e64 s4, s17, v79
	v_mul_f32_e32 v97, s18, v123
	v_mul_f32_e32 v79, s18, v122
	v_max3_f32 v76, v76, 0xff7fffff, v78
	v_mul_f32_e32 v78, s18, v121
	v_cndmask_b32_e64 v80, 0xff7fffff, v80, s4
	v_cmp_gt_i32_e64 s5, s17, v86
	v_cmp_gt_i32_e64 s6, s17, v87
	v_mul_f32_e32 v86, s18, v107
	v_cndmask_b32_e64 v99, 0xff7fffff, v99, s3
	v_cmp_gt_i32_e64 s7, s17, v89
	v_cndmask_b32_e64 v78, 0xff7fffff, v78, s5
	v_cmp_gt_i32_e64 s8, s17, v88
	v_mul_f32_e32 v89, s18, v101
	v_max3_f32 v76, v76, v80, v99
	v_mul_f32_e32 v80, s18, v108
	v_cndmask_b32_e64 v79, 0xff7fffff, v79, s6
	v_dual_mul_f32 v99, s18, v105 :: v_dual_mul_f32 v88, s18, v102
	v_cndmask_b32_e64 v97, 0xff7fffff, v97, s8
	v_cndmask_b32_e64 v100, 0xff7fffff, v100, s7
	s_delay_alu instid0(VALU_DEP_4) | instskip(SKIP_4) | instid1(VALU_DEP_4)
	v_max3_f32 v76, v76, v78, v79
	v_cmp_gt_i32_e64 s9, s17, v90
	v_cmp_gt_i32_e64 s10, s17, v91
	v_dual_mul_f32 v87, s18, v106 :: v_dual_mul_f32 v78, s18, v104
	v_mul_f32_e32 v79, s18, v103
	v_cndmask_b32_e64 v89, 0xff7fffff, v89, s9
	s_delay_alu instid0(VALU_DEP_4)
	v_cndmask_b32_e64 v88, 0xff7fffff, v88, s10
	v_max3_f32 v76, v76, v97, v100
	v_cmp_gt_i32_e64 s11, s17, v92
	v_cmp_gt_i32_e64 s12, s17, v93
	;; [unrolled: 1-line block ×4, first 2 shown]
	v_max3_f32 v76, v76, v89, v88
	v_cndmask_b32_e64 v79, 0xff7fffff, v79, s11
	v_cndmask_b32_e64 v78, 0xff7fffff, v78, s12
	;; [unrolled: 1-line block ×4, first 2 shown]
	v_cmp_gt_i32_e64 s16, s17, v96
	v_cmp_gt_i32_e64 s17, s17, v98
	v_max3_f32 v76, v76, v79, v78
	v_lshlrev_b32_e32 v99, 2, v77
	s_delay_alu instid0(VALU_DEP_4) | instskip(NEXT) | instid1(VALU_DEP_4)
	v_cndmask_b32_e64 v78, 0xff7fffff, v86, s16
	v_cndmask_b32_e64 v79, 0xff7fffff, v80, s17
	s_delay_alu instid0(VALU_DEP_4) | instskip(NEXT) | instid1(VALU_DEP_1)
	v_max3_f32 v76, v76, v88, v87
	v_max3_f32 v76, v76, v78, v79
	ds_bpermute_b32 v77, v99, v76
	s_waitcnt lgkmcnt(0)
	v_max_f32_e32 v77, v77, v77
	s_delay_alu instid0(VALU_DEP_1) | instskip(NEXT) | instid1(VALU_DEP_1)
	v_max_f32_e32 v76, v76, v77
	v_fma_f32 v78, s18, v118, -v76
	v_fma_f32 v77, s18, v117, -v76
	;; [unrolled: 1-line block ×5, first 2 shown]
	v_mul_f32_e32 v78, 0x3fb8aa3b, v78
	v_fma_f32 v87, s18, v123, -v76
	v_fma_f32 v88, s18, v105, -v76
	v_mul_f32_e32 v80, 0x3fb8aa3b, v80
	v_mul_f32_e32 v86, 0x3fb8aa3b, v86
	v_exp_f32_e32 v78, v78
	v_fma_f32 v90, s18, v107, -v76
	v_fma_f32 v100, s18, v108, -v76
	v_exp_f32_e32 v80, v80
	v_exp_f32_e32 v86, v86
	v_mul_f32_e32 v88, 0x3fb8aa3b, v88
	s_delay_alu instid0(VALU_DEP_2) | instskip(NEXT) | instid1(TRANS32_DEP_3)
	v_mul_f32_e32 v100, 0x3fb8aa3b, v100
	v_cndmask_b32_e64 v91, 0, v78, s2
	v_mul_f32_e32 v77, 0x3fb8aa3b, v77
	s_delay_alu instid0(VALU_DEP_4) | instskip(NEXT) | instid1(TRANS32_DEP_3)
	v_exp_f32_e32 v88, v88
	v_cndmask_b32_e64 v95, 0, v80, s3
	v_fma_f32 v80, s18, v101, -v76
	s_delay_alu instid0(TRANS32_DEP_2)
	v_cndmask_b32_e64 v96, 0, v86, s5
	v_exp_f32_e32 v77, v77
	v_mul_f32_e32 v79, 0x3fb8aa3b, v79
	v_fma_f32 v86, s18, v102, -v76
	v_mul_f32_e32 v80, 0x3fb8aa3b, v80
	s_mov_b32 s2, exec_lo
	v_exp_f32_e32 v100, v100
	s_delay_alu instid0(VALU_DEP_1) | instskip(NEXT) | instid1(TRANS32_DEP_3)
	v_exp_f32_e32 v80, v80
	v_cndmask_b32_e32 v92, 0, v77, vcc_lo
	v_exp_f32_e32 v79, v79
	v_fma_f32 v77, s18, v122, -v76
	s_delay_alu instid0(VALU_DEP_2) | instskip(NEXT) | instid1(VALU_DEP_1)
	v_add_f32_e32 v78, 0, v92
	v_add_f32_e32 v78, v78, v91
	s_waitcnt_depctr 0xfff
	v_cndmask_b32_e64 v93, 0, v79, s4
	v_mul_f32_e32 v87, 0x3fb8aa3b, v87
	v_fma_f32 v79, s18, v124, -v76
	s_delay_alu instid0(VALU_DEP_3) | instskip(SKIP_1) | instid1(VALU_DEP_3)
	v_add_f32_e32 v78, v78, v93
	v_mul_f32_e32 v77, 0x3fb8aa3b, v77
	v_mul_f32_e32 v79, 0x3fb8aa3b, v79
	v_exp_f32_e32 v87, v87
	s_delay_alu instid0(VALU_DEP_3) | instskip(NEXT) | instid1(VALU_DEP_3)
	v_add_f32_e32 v78, v78, v95
	v_exp_f32_e32 v77, v77
	s_delay_alu instid0(VALU_DEP_2) | instskip(NEXT) | instid1(TRANS32_DEP_3)
	v_exp_f32_e32 v79, v79
	v_cndmask_b32_e64 v94, 0, v87, s8
	v_fma_f32 v87, s18, v104, -v76
	s_waitcnt_depctr 0xfff
	v_cndmask_b32_e64 v97, 0, v77, s6
	v_add_f32_e32 v77, v78, v96
	v_fma_f32 v78, s18, v103, -v76
	v_mul_f32_e32 v86, 0x3fb8aa3b, v86
	v_cndmask_b32_e64 v98, 0, v79, s7
	v_mul_f32_e32 v87, 0x3fb8aa3b, v87
	s_delay_alu instid0(VALU_DEP_4) | instskip(NEXT) | instid1(VALU_DEP_4)
	v_dual_add_f32 v77, v77, v97 :: v_dual_mul_f32 v78, 0x3fb8aa3b, v78
	v_exp_f32_e32 v86, v86
	s_delay_alu instid0(VALU_DEP_2) | instskip(NEXT) | instid1(VALU_DEP_1)
	v_exp_f32_e32 v87, v87
	v_add_f32_e32 v79, v77, v94
	s_delay_alu instid0(VALU_DEP_2) | instskip(SKIP_2) | instid1(VALU_DEP_3)
	v_exp_f32_e32 v89, v78
	v_cndmask_b32_e64 v77, 0, v80, s9
	v_fma_f32 v80, s18, v106, -v76
	v_add_f32_e32 v79, v79, v98
	s_delay_alu instid0(TRANS32_DEP_3) | instskip(NEXT) | instid1(VALU_DEP_3)
	v_cndmask_b32_e64 v78, 0, v86, s10
	v_mul_f32_e32 v80, 0x3fb8aa3b, v80
	s_delay_alu instid0(VALU_DEP_3) | instskip(NEXT) | instid1(TRANS32_DEP_1)
	v_add_f32_e32 v86, v79, v77
	v_cndmask_b32_e64 v79, 0, v89, s11
	v_mul_f32_e32 v89, 0x3fb8aa3b, v90
	s_delay_alu instid0(VALU_DEP_4) | instskip(SKIP_2) | instid1(VALU_DEP_3)
	v_exp_f32_e32 v90, v80
	v_cndmask_b32_e64 v80, 0, v87, s12
	v_add_f32_e32 v86, v86, v78
	v_exp_f32_e32 v89, v89
	s_delay_alu instid0(VALU_DEP_1) | instskip(SKIP_1) | instid1(VALU_DEP_2)
	v_add_f32_e32 v87, v86, v79
	v_cndmask_b32_e64 v86, 0, v88, s13
	v_add_f32_e32 v88, v87, v80
	s_delay_alu instid0(TRANS32_DEP_2) | instskip(NEXT) | instid1(VALU_DEP_2)
	v_cndmask_b32_e64 v87, 0, v90, s15
	v_add_f32_e32 v90, v88, v86
	s_waitcnt_depctr 0xfff
	v_cndmask_b32_e64 v88, 0, v89, s16
	v_add_f32_e32 v89, v90, v87
	s_delay_alu instid0(VALU_DEP_1) | instskip(SKIP_1) | instid1(VALU_DEP_1)
	v_add_f32_e32 v90, v89, v88
	v_cndmask_b32_e64 v89, 0, v100, s17
	v_add_f32_e32 v90, v90, v89
	ds_bpermute_b32 v99, v99, v90
	v_cmpx_gt_u32_e32 16, v75
	s_cbranch_execz .LBB739_14
; %bb.13:
	v_mul_u32_u24_e32 v75, 0x44, v74
	s_waitcnt lgkmcnt(0)
	v_add_f32_e32 v90, v90, v99
	s_delay_alu instid0(VALU_DEP_2) | instskip(NEXT) | instid1(VALU_DEP_1)
	v_lshl_add_u32 v75, v73, 2, v75
	v_add_nc_u32_e32 v75, 0x4000, v75
	ds_store_2addr_b32 v75, v76, v90 offset1:136
.LBB739_14:
	s_or_b32 exec_lo, exec_lo, s2
	v_lshlrev_b32_e32 v75, 2, v73
	s_waitcnt lgkmcnt(0)
	s_barrier
	buffer_gl0_inv
	v_cmp_eq_u32_e64 s2, 1, v74
	v_add_nc_u32_e32 v90, 0x4000, v75
	ds_load_2addr_b32 v[99:100], v90 offset1:17
	ds_load_2addr_b32 v[101:102], v90 offset0:34 offset1:51
	ds_load_2addr_b32 v[103:104], v90 offset0:68 offset1:85
	;; [unrolled: 1-line block ×4, first 2 shown]
	s_waitcnt lgkmcnt(4)
	v_max3_f32 v75, v99, 0xff7fffff, v100
	s_waitcnt lgkmcnt(3)
	s_delay_alu instid0(VALU_DEP_1) | instskip(SKIP_1) | instid1(VALU_DEP_1)
	v_max3_f32 v75, v75, v101, v102
	s_waitcnt lgkmcnt(2)
	v_max3_f32 v75, v75, v103, v104
	s_waitcnt lgkmcnt(1)
	s_delay_alu instid0(VALU_DEP_1) | instskip(NEXT) | instid1(VALU_DEP_1)
	v_max3_f32 v75, v75, v105, v106
	v_sub_f32_e32 v109, v100, v75
	v_sub_f32_e32 v76, v99, v75
	ds_load_2addr_b32 v[99:100], v90 offset0:170 offset1:187
	v_sub_f32_e32 v101, v101, v75
	v_dual_mul_f32 v109, 0x3fb8aa3b, v109 :: v_dual_mul_f32 v76, 0x3fb8aa3b, v76
	s_delay_alu instid0(VALU_DEP_2) | instskip(NEXT) | instid1(VALU_DEP_2)
	v_mul_f32_e32 v111, 0x3fb8aa3b, v101
	v_exp_f32_e32 v109, v109
	s_delay_alu instid0(VALU_DEP_2)
	v_exp_f32_e32 v110, v76
	v_sub_f32_e32 v76, v102, v75
	ds_load_2addr_b32 v[101:102], v90 offset0:204 offset1:221
	v_exp_f32_e32 v111, v111
	v_mul_f32_e32 v112, 0x3fb8aa3b, v76
	s_waitcnt lgkmcnt(2)
	v_fma_f32 v76, v110, v107, 0
	v_sub_f32_e32 v103, v103, v75
	s_delay_alu instid0(VALU_DEP_3) | instskip(NEXT) | instid1(VALU_DEP_2)
	v_exp_f32_e32 v112, v112
	v_dual_sub_f32 v107, v104, v75 :: v_dual_fmac_f32 v76, v109, v108
	s_waitcnt lgkmcnt(1)
	s_waitcnt_depctr 0xfff
	v_fmac_f32_e32 v76, v111, v99
	v_mul_f32_e32 v113, 0x3fb8aa3b, v103
	ds_load_2addr_b32 v[103:104], v90 offset0:238 offset1:255
	v_sub_f32_e32 v90, v105, v75
	v_dual_sub_f32 v99, v106, v75 :: v_dual_fmac_f32 v76, v112, v100
	v_mul_f32_e32 v105, 0x3fb8aa3b, v107
	v_exp_f32_e32 v107, v113
	s_delay_alu instid0(VALU_DEP_2)
	v_dual_mul_f32 v90, 0x3fb8aa3b, v90 :: v_dual_mul_f32 v99, 0x3fb8aa3b, v99
	s_waitcnt lgkmcnt(0)
	s_barrier
	buffer_gl0_inv
	v_exp_f32_e32 v90, v90
	v_exp_f32_e32 v99, v99
	v_fmac_f32_e32 v76, v107, v101
	v_exp_f32_e32 v105, v105
	s_waitcnt_depctr 0xfff
	v_fmac_f32_e32 v76, v105, v102
	s_delay_alu instid0(VALU_DEP_1) | instskip(NEXT) | instid1(VALU_DEP_1)
	v_fmac_f32_e32 v76, v90, v103
	v_fmac_f32_e32 v76, v99, v104
	s_delay_alu instid0(VALU_DEP_1) | instskip(NEXT) | instid1(VALU_DEP_1)
	v_add_f32_e32 v100, 0x358637bd, v76
	v_div_scale_f32 v101, null, v100, v100, 1.0
	v_div_scale_f32 v104, vcc_lo, 1.0, v100, 1.0
	s_delay_alu instid0(VALU_DEP_2) | instskip(SKIP_2) | instid1(VALU_DEP_1)
	v_rcp_f32_e32 v102, v101
	s_waitcnt_depctr 0xfff
	v_fma_f32 v103, -v101, v102, 1.0
	v_fmac_f32_e32 v102, v103, v102
	v_cndmask_b32_e64 v103, v110, v109, s2
	v_cmp_eq_u32_e64 s2, 2, v74
	s_delay_alu instid0(VALU_DEP_3) | instskip(NEXT) | instid1(VALU_DEP_2)
	v_mul_f32_e32 v106, v104, v102
	v_cndmask_b32_e64 v103, v103, v111, s2
	v_cmp_eq_u32_e64 s2, 3, v74
	s_delay_alu instid0(VALU_DEP_3) | instskip(NEXT) | instid1(VALU_DEP_2)
	v_fma_f32 v108, -v101, v106, v104
	v_cndmask_b32_e64 v103, v103, v112, s2
	v_cmp_eq_u32_e64 s2, 4, v74
	s_delay_alu instid0(VALU_DEP_3) | instskip(NEXT) | instid1(VALU_DEP_2)
	v_fmac_f32_e32 v106, v108, v102
	v_cndmask_b32_e64 v103, v103, v107, s2
	s_delay_alu instid0(VALU_DEP_2) | instskip(SKIP_1) | instid1(VALU_DEP_2)
	v_fma_f32 v101, -v101, v106, v104
	v_cmp_eq_u32_e64 s2, 5, v74
	v_div_fmas_f32 v101, v101, v102, v106
	s_delay_alu instid0(VALU_DEP_2) | instskip(SKIP_2) | instid1(VALU_DEP_3)
	v_cndmask_b32_e64 v103, v103, v105, s2
	v_cmp_eq_u32_e32 vcc_lo, 6, v74
	s_mov_b32 s2, exec_lo
	v_div_fixup_f32 v100, v101, v100, 1.0
	s_delay_alu instid0(VALU_DEP_3) | instskip(SKIP_1) | instid1(VALU_DEP_2)
	v_cndmask_b32_e32 v90, v103, v90, vcc_lo
	v_cmp_eq_u32_e32 vcc_lo, 7, v74
	v_cndmask_b32_e32 v90, v90, v99, vcc_lo
	s_delay_alu instid0(VALU_DEP_1) | instskip(NEXT) | instid1(VALU_DEP_1)
	v_mul_f32_e32 v90, v90, v100
	v_mul_f32_e32 v100, v90, v92
	v_mul_f32_e32 v92, v90, v98
	v_mul_f32_e32 v94, v90, v94
	v_mul_f32_e32 v97, v90, v97
	v_mul_f32_e32 v98, v90, v96
	v_and_b32_e32 v101, 0x7f800000, v100
	v_mul_f32_e32 v99, v90, v95
	v_mul_f32_e32 v95, v90, v91
	;; [unrolled: 1-line block ×3, first 2 shown]
                                        ; implicit-def: $vgpr91
	s_delay_alu instid0(VALU_DEP_4)
	v_cmpx_ne_u32_e32 0x7f800000, v101
	s_xor_b32 s2, exec_lo, s2
; %bb.15:
	v_bfe_u32 v91, v100, 16, 1
	s_delay_alu instid0(VALU_DEP_1)
	v_add3_u32 v91, v100, v91, 0x7fff
                                        ; implicit-def: $vgpr100
; %bb.16:
	s_and_not1_saveexec_b32 s2, s2
; %bb.17:
	v_and_b32_e32 v91, 0xffff, v100
	v_or_b32_e32 v93, 0x10000, v100
	s_delay_alu instid0(VALU_DEP_2) | instskip(NEXT) | instid1(VALU_DEP_2)
	v_cmp_eq_u32_e32 vcc_lo, 0, v91
	v_cndmask_b32_e32 v91, v93, v100, vcc_lo
; %bb.18:
	s_or_b32 exec_lo, exec_lo, s2
	v_and_b32_e32 v93, 0x7f800000, v95
	s_delay_alu instid0(VALU_DEP_1) | instskip(SKIP_1) | instid1(SALU_CYCLE_1)
	v_cmp_ne_u32_e32 vcc_lo, 0x7f800000, v93
                                        ; implicit-def: $vgpr93
	s_and_saveexec_b32 s2, vcc_lo
	s_xor_b32 s2, exec_lo, s2
; %bb.19:
	v_bfe_u32 v93, v95, 16, 1
	s_delay_alu instid0(VALU_DEP_1)
	v_add3_u32 v93, v95, v93, 0x7fff
                                        ; implicit-def: $vgpr95
; %bb.20:
	s_and_not1_saveexec_b32 s2, s2
; %bb.21:
	v_and_b32_e32 v93, 0xffff, v95
	v_or_b32_e32 v100, 0x10000, v95
	s_delay_alu instid0(VALU_DEP_2) | instskip(NEXT) | instid1(VALU_DEP_2)
	v_cmp_eq_u32_e32 vcc_lo, 0, v93
	v_cndmask_b32_e32 v93, v100, v95, vcc_lo
; %bb.22:
	s_or_b32 exec_lo, exec_lo, s2
	v_and_b32_e32 v95, 0x7f800000, v96
	s_delay_alu instid0(VALU_DEP_1) | instskip(SKIP_1) | instid1(SALU_CYCLE_1)
	v_cmp_ne_u32_e32 vcc_lo, 0x7f800000, v95
                                        ; implicit-def: $vgpr95
	s_and_saveexec_b32 s2, vcc_lo
	s_xor_b32 s2, exec_lo, s2
; %bb.23:
	v_bfe_u32 v95, v96, 16, 1
	s_delay_alu instid0(VALU_DEP_1)
	v_add3_u32 v95, v96, v95, 0x7fff
                                        ; implicit-def: $vgpr96
; %bb.24:
	s_and_not1_saveexec_b32 s2, s2
; %bb.25:
	v_and_b32_e32 v95, 0xffff, v96
	v_or_b32_e32 v100, 0x10000, v96
	s_delay_alu instid0(VALU_DEP_2) | instskip(NEXT) | instid1(VALU_DEP_2)
	v_cmp_eq_u32_e32 vcc_lo, 0, v95
	v_cndmask_b32_e32 v95, v100, v96, vcc_lo
; %bb.26:
	s_or_b32 exec_lo, exec_lo, s2
	v_and_b32_e32 v96, 0x7f800000, v99
	s_delay_alu instid0(VALU_DEP_1) | instskip(SKIP_1) | instid1(SALU_CYCLE_1)
	v_cmp_ne_u32_e32 vcc_lo, 0x7f800000, v96
                                        ; implicit-def: $vgpr96
	s_and_saveexec_b32 s2, vcc_lo
	s_xor_b32 s2, exec_lo, s2
; %bb.27:
	v_bfe_u32 v96, v99, 16, 1
	s_delay_alu instid0(VALU_DEP_1)
	v_add3_u32 v96, v99, v96, 0x7fff
                                        ; implicit-def: $vgpr99
; %bb.28:
	s_and_not1_saveexec_b32 s2, s2
; %bb.29:
	v_and_b32_e32 v96, 0xffff, v99
	v_or_b32_e32 v100, 0x10000, v99
	s_delay_alu instid0(VALU_DEP_2) | instskip(NEXT) | instid1(VALU_DEP_2)
	v_cmp_eq_u32_e32 vcc_lo, 0, v96
	v_cndmask_b32_e32 v96, v100, v99, vcc_lo
; %bb.30:
	s_or_b32 exec_lo, exec_lo, s2
	v_and_b32_e32 v99, 0x7f800000, v98
	s_delay_alu instid0(VALU_DEP_1) | instskip(SKIP_1) | instid1(SALU_CYCLE_1)
	v_cmp_ne_u32_e32 vcc_lo, 0x7f800000, v99
                                        ; implicit-def: $vgpr99
	s_and_saveexec_b32 s2, vcc_lo
	s_xor_b32 s2, exec_lo, s2
; %bb.31:
	v_bfe_u32 v99, v98, 16, 1
	s_delay_alu instid0(VALU_DEP_1)
	v_add3_u32 v99, v98, v99, 0x7fff
                                        ; implicit-def: $vgpr98
; %bb.32:
	s_and_not1_saveexec_b32 s2, s2
; %bb.33:
	v_and_b32_e32 v99, 0xffff, v98
	v_or_b32_e32 v100, 0x10000, v98
	s_delay_alu instid0(VALU_DEP_2) | instskip(NEXT) | instid1(VALU_DEP_2)
	v_cmp_eq_u32_e32 vcc_lo, 0, v99
	v_cndmask_b32_e32 v99, v100, v98, vcc_lo
; %bb.34:
	s_or_b32 exec_lo, exec_lo, s2
	v_and_b32_e32 v98, 0x7f800000, v97
	s_delay_alu instid0(VALU_DEP_1) | instskip(SKIP_1) | instid1(SALU_CYCLE_1)
	v_cmp_ne_u32_e32 vcc_lo, 0x7f800000, v98
                                        ; implicit-def: $vgpr98
	s_and_saveexec_b32 s2, vcc_lo
	s_xor_b32 s2, exec_lo, s2
; %bb.35:
	v_bfe_u32 v98, v97, 16, 1
	s_delay_alu instid0(VALU_DEP_1)
	v_add3_u32 v98, v97, v98, 0x7fff
                                        ; implicit-def: $vgpr97
; %bb.36:
	s_and_not1_saveexec_b32 s2, s2
; %bb.37:
	v_and_b32_e32 v98, 0xffff, v97
	v_or_b32_e32 v100, 0x10000, v97
	s_delay_alu instid0(VALU_DEP_2) | instskip(NEXT) | instid1(VALU_DEP_2)
	v_cmp_eq_u32_e32 vcc_lo, 0, v98
	v_cndmask_b32_e32 v98, v100, v97, vcc_lo
; %bb.38:
	s_or_b32 exec_lo, exec_lo, s2
	v_and_b32_e32 v97, 0x7f800000, v94
	s_delay_alu instid0(VALU_DEP_1) | instskip(SKIP_1) | instid1(SALU_CYCLE_1)
	v_cmp_ne_u32_e32 vcc_lo, 0x7f800000, v97
                                        ; implicit-def: $vgpr97
	s_and_saveexec_b32 s2, vcc_lo
	s_xor_b32 s2, exec_lo, s2
; %bb.39:
	v_bfe_u32 v97, v94, 16, 1
	s_delay_alu instid0(VALU_DEP_1)
	v_add3_u32 v97, v94, v97, 0x7fff
                                        ; implicit-def: $vgpr94
; %bb.40:
	s_and_not1_saveexec_b32 s2, s2
; %bb.41:
	v_and_b32_e32 v97, 0xffff, v94
	v_or_b32_e32 v100, 0x10000, v94
	s_delay_alu instid0(VALU_DEP_2) | instskip(NEXT) | instid1(VALU_DEP_2)
	v_cmp_eq_u32_e32 vcc_lo, 0, v97
	v_cndmask_b32_e32 v97, v100, v94, vcc_lo
; %bb.42:
	s_or_b32 exec_lo, exec_lo, s2
	v_and_b32_e32 v94, 0x7f800000, v92
	s_delay_alu instid0(VALU_DEP_1) | instskip(SKIP_1) | instid1(SALU_CYCLE_1)
	v_cmp_ne_u32_e32 vcc_lo, 0x7f800000, v94
                                        ; implicit-def: $vgpr94
	s_and_saveexec_b32 s2, vcc_lo
	s_xor_b32 s2, exec_lo, s2
; %bb.43:
	v_bfe_u32 v94, v92, 16, 1
	s_delay_alu instid0(VALU_DEP_1)
	v_add3_u32 v94, v92, v94, 0x7fff
                                        ; implicit-def: $vgpr92
; %bb.44:
	s_and_not1_saveexec_b32 s2, s2
; %bb.45:
	v_and_b32_e32 v94, 0xffff, v92
	v_or_b32_e32 v100, 0x10000, v92
	s_delay_alu instid0(VALU_DEP_2) | instskip(NEXT) | instid1(VALU_DEP_2)
	v_cmp_eq_u32_e32 vcc_lo, 0, v94
	v_cndmask_b32_e32 v94, v100, v92, vcc_lo
; %bb.46:
	s_or_b32 exec_lo, exec_lo, s2
	s_load_b64 s[34:35], s[0:1], 0x94
	v_lshlrev_b32_e32 v92, 4, v83
	s_delay_alu instid0(VALU_DEP_2)
	v_perm_b32 v100, v94, v97, 0x7060302
	v_dual_mul_f32 v89, v90, v89 :: v_dual_lshlrev_b32 v94, 11, v74
	v_perm_b32 v97, v93, v91, 0x7060302
	v_mul_f32_e32 v93, v90, v77
	v_perm_b32 v99, v98, v99, 0x7060302
	v_perm_b32 v98, v96, v95, 0x7060302
	v_or3_b32 v77, v92, v94, v85
	v_mul_f32_e32 v88, v90, v88
	v_dual_mul_f32 v87, v90, v87 :: v_dual_and_b32 v94, 0x7f800000, v93
	v_mul_f32_e32 v86, v90, v86
	v_mul_f32_e32 v91, v90, v80
	v_mul_f32_e32 v92, v90, v79
	v_mul_f32_e32 v80, v90, v78
	s_mov_b32 s2, exec_lo
	ds_store_b128 v77, v[97:100]
                                        ; implicit-def: $vgpr78
	v_cmpx_ne_u32_e32 0x7f800000, v94
	s_xor_b32 s2, exec_lo, s2
; %bb.47:
	v_bfe_u32 v78, v93, 16, 1
	s_delay_alu instid0(VALU_DEP_1)
	v_add3_u32 v78, v93, v78, 0x7fff
                                        ; implicit-def: $vgpr93
; %bb.48:
	s_and_not1_saveexec_b32 s2, s2
; %bb.49:
	v_and_b32_e32 v78, 0xffff, v93
	v_or_b32_e32 v79, 0x10000, v93
	s_delay_alu instid0(VALU_DEP_2) | instskip(NEXT) | instid1(VALU_DEP_2)
	v_cmp_eq_u32_e32 vcc_lo, 0, v78
	v_cndmask_b32_e32 v78, v79, v93, vcc_lo
; %bb.50:
	s_or_b32 exec_lo, exec_lo, s2
	v_and_b32_e32 v79, 0x7f800000, v80
	s_delay_alu instid0(VALU_DEP_1) | instskip(SKIP_1) | instid1(SALU_CYCLE_1)
	v_cmp_ne_u32_e32 vcc_lo, 0x7f800000, v79
                                        ; implicit-def: $vgpr79
	s_and_saveexec_b32 s2, vcc_lo
	s_xor_b32 s2, exec_lo, s2
; %bb.51:
	v_bfe_u32 v79, v80, 16, 1
	s_delay_alu instid0(VALU_DEP_1)
	v_add3_u32 v79, v80, v79, 0x7fff
                                        ; implicit-def: $vgpr80
; %bb.52:
	s_and_not1_saveexec_b32 s2, s2
; %bb.53:
	v_and_b32_e32 v79, 0xffff, v80
	v_or_b32_e32 v90, 0x10000, v80
	s_delay_alu instid0(VALU_DEP_2) | instskip(NEXT) | instid1(VALU_DEP_2)
	v_cmp_eq_u32_e32 vcc_lo, 0, v79
	v_cndmask_b32_e32 v79, v90, v80, vcc_lo
; %bb.54:
	s_or_b32 exec_lo, exec_lo, s2
	v_and_b32_e32 v80, 0x7f800000, v92
	s_delay_alu instid0(VALU_DEP_1) | instskip(SKIP_1) | instid1(SALU_CYCLE_1)
	v_cmp_ne_u32_e32 vcc_lo, 0x7f800000, v80
                                        ; implicit-def: $vgpr80
	s_and_saveexec_b32 s2, vcc_lo
	s_xor_b32 s2, exec_lo, s2
; %bb.55:
	v_bfe_u32 v80, v92, 16, 1
	s_delay_alu instid0(VALU_DEP_1)
	v_add3_u32 v80, v92, v80, 0x7fff
                                        ; implicit-def: $vgpr92
; %bb.56:
	s_and_not1_saveexec_b32 s2, s2
; %bb.57:
	v_and_b32_e32 v80, 0xffff, v92
	v_or_b32_e32 v90, 0x10000, v92
	s_delay_alu instid0(VALU_DEP_2) | instskip(NEXT) | instid1(VALU_DEP_2)
	v_cmp_eq_u32_e32 vcc_lo, 0, v80
	v_cndmask_b32_e32 v80, v90, v92, vcc_lo
; %bb.58:
	s_or_b32 exec_lo, exec_lo, s2
	v_and_b32_e32 v90, 0x7f800000, v91
	s_delay_alu instid0(VALU_DEP_1) | instskip(SKIP_1) | instid1(SALU_CYCLE_1)
	v_cmp_ne_u32_e32 vcc_lo, 0x7f800000, v90
                                        ; implicit-def: $vgpr90
	s_and_saveexec_b32 s2, vcc_lo
	s_xor_b32 s2, exec_lo, s2
; %bb.59:
	v_bfe_u32 v90, v91, 16, 1
	s_delay_alu instid0(VALU_DEP_1)
	v_add3_u32 v90, v91, v90, 0x7fff
                                        ; implicit-def: $vgpr91
; %bb.60:
	s_and_not1_saveexec_b32 s2, s2
; %bb.61:
	v_and_b32_e32 v90, 0xffff, v91
	v_or_b32_e32 v92, 0x10000, v91
	s_delay_alu instid0(VALU_DEP_2) | instskip(NEXT) | instid1(VALU_DEP_2)
	v_cmp_eq_u32_e32 vcc_lo, 0, v90
	v_cndmask_b32_e32 v90, v92, v91, vcc_lo
; %bb.62:
	s_or_b32 exec_lo, exec_lo, s2
	v_and_b32_e32 v91, 0x7f800000, v86
	s_delay_alu instid0(VALU_DEP_1) | instskip(SKIP_1) | instid1(SALU_CYCLE_1)
	v_cmp_ne_u32_e32 vcc_lo, 0x7f800000, v91
                                        ; implicit-def: $vgpr91
	s_and_saveexec_b32 s2, vcc_lo
	s_xor_b32 s2, exec_lo, s2
; %bb.63:
	v_bfe_u32 v91, v86, 16, 1
	s_delay_alu instid0(VALU_DEP_1)
	v_add3_u32 v91, v86, v91, 0x7fff
                                        ; implicit-def: $vgpr86
; %bb.64:
	s_and_not1_saveexec_b32 s2, s2
; %bb.65:
	v_and_b32_e32 v91, 0xffff, v86
	v_or_b32_e32 v92, 0x10000, v86
	s_delay_alu instid0(VALU_DEP_2) | instskip(NEXT) | instid1(VALU_DEP_2)
	v_cmp_eq_u32_e32 vcc_lo, 0, v91
	v_cndmask_b32_e32 v91, v92, v86, vcc_lo
; %bb.66:
	s_or_b32 exec_lo, exec_lo, s2
	v_and_b32_e32 v86, 0x7f800000, v87
	s_delay_alu instid0(VALU_DEP_1) | instskip(SKIP_1) | instid1(SALU_CYCLE_1)
	v_cmp_ne_u32_e32 vcc_lo, 0x7f800000, v86
                                        ; implicit-def: $vgpr86
	s_and_saveexec_b32 s2, vcc_lo
	s_xor_b32 s2, exec_lo, s2
; %bb.67:
	v_bfe_u32 v86, v87, 16, 1
	s_delay_alu instid0(VALU_DEP_1)
	v_add3_u32 v86, v87, v86, 0x7fff
                                        ; implicit-def: $vgpr87
; %bb.68:
	s_and_not1_saveexec_b32 s2, s2
; %bb.69:
	v_and_b32_e32 v86, 0xffff, v87
	v_or_b32_e32 v92, 0x10000, v87
	s_delay_alu instid0(VALU_DEP_2) | instskip(NEXT) | instid1(VALU_DEP_2)
	v_cmp_eq_u32_e32 vcc_lo, 0, v86
	v_cndmask_b32_e32 v86, v92, v87, vcc_lo
; %bb.70:
	s_or_b32 exec_lo, exec_lo, s2
	v_and_b32_e32 v87, 0x7f800000, v88
	s_delay_alu instid0(VALU_DEP_1) | instskip(SKIP_1) | instid1(SALU_CYCLE_1)
	v_cmp_ne_u32_e32 vcc_lo, 0x7f800000, v87
                                        ; implicit-def: $vgpr87
	s_and_saveexec_b32 s2, vcc_lo
	s_xor_b32 s2, exec_lo, s2
; %bb.71:
	v_bfe_u32 v87, v88, 16, 1
	s_delay_alu instid0(VALU_DEP_1)
	v_add3_u32 v87, v88, v87, 0x7fff
                                        ; implicit-def: $vgpr88
; %bb.72:
	s_and_not1_saveexec_b32 s2, s2
; %bb.73:
	v_and_b32_e32 v87, 0xffff, v88
	v_or_b32_e32 v92, 0x10000, v88
	s_delay_alu instid0(VALU_DEP_2) | instskip(NEXT) | instid1(VALU_DEP_2)
	v_cmp_eq_u32_e32 vcc_lo, 0, v87
	v_cndmask_b32_e32 v87, v92, v88, vcc_lo
; %bb.74:
	s_or_b32 exec_lo, exec_lo, s2
	v_and_b32_e32 v88, 0x7f800000, v89
	s_delay_alu instid0(VALU_DEP_1) | instskip(SKIP_1) | instid1(SALU_CYCLE_1)
	v_cmp_ne_u32_e32 vcc_lo, 0x7f800000, v88
                                        ; implicit-def: $vgpr88
	s_and_saveexec_b32 s2, vcc_lo
	s_xor_b32 s2, exec_lo, s2
; %bb.75:
	v_bfe_u32 v88, v89, 16, 1
	s_delay_alu instid0(VALU_DEP_1)
	v_add3_u32 v88, v89, v88, 0x7fff
                                        ; implicit-def: $vgpr89
; %bb.76:
	s_and_not1_saveexec_b32 s2, s2
; %bb.77:
	v_and_b32_e32 v88, 0xffff, v89
	v_or_b32_e32 v92, 0x10000, v89
	s_delay_alu instid0(VALU_DEP_2) | instskip(NEXT) | instid1(VALU_DEP_2)
	v_cmp_eq_u32_e32 vcc_lo, 0, v88
	v_cndmask_b32_e32 v88, v92, v89, vcc_lo
; %bb.78:
	s_or_b32 exec_lo, exec_lo, s2
	s_delay_alu instid0(VALU_DEP_1)
	v_perm_b32 v89, v88, v87, 0x7060302
	v_perm_b32 v88, v86, v91, 0x7060302
	v_perm_b32 v87, v90, v80, 0x7060302
	v_perm_b32 v86, v79, v78, 0x7060302
	v_lshl_or_b32 v90, v74, 11, v85
	ds_store_b128 v77, v[86:89] offset:1024
	s_waitcnt lgkmcnt(0)
	s_barrier
	buffer_gl0_inv
	ds_load_b128 v[91:94], v90
	ds_load_b128 v[95:98], v90 offset:16
	v_lshlrev_b32_e32 v87, 2, v83
	s_delay_alu instid0(VALU_DEP_1)
	v_or_b32_e32 v88, 1, v87
	v_cmp_eq_u32_e32 vcc_lo, 1, v87
	v_cmp_eq_u32_e64 s3, 2, v87
	v_cmp_eq_u32_e64 s6, 3, v87
	v_cmp_eq_u32_e64 s8, 4, v87
	v_cmp_eq_u32_e64 s2, 1, v88
	v_cmp_eq_u32_e64 s5, 2, v88
	v_cmp_eq_u32_e64 s7, 3, v88
	v_or_b32_e32 v86, 2, v87
	v_cmp_eq_u32_e64 s9, 5, v87
	v_cmp_eq_u32_e64 s10, 4, v88
	;; [unrolled: 1-line block ×4, first 2 shown]
	s_waitcnt lgkmcnt(1)
	v_lshrrev_b32_e32 v74, 16, v91
	s_waitcnt lgkmcnt(0)
	v_lshrrev_b32_e32 v103, 16, v95
	v_lshrrev_b32_e32 v80, 16, v94
	;; [unrolled: 1-line block ×4, first 2 shown]
	v_cndmask_b32_e32 v89, v91, v74, vcc_lo
	v_cndmask_b32_e32 v99, v95, v103, vcc_lo
	v_cndmask_b32_e64 v100, v91, v74, s2
	v_lshrrev_b32_e32 v79, 16, v93
	v_lshrrev_b32_e32 v108, 16, v97
	v_cndmask_b32_e64 v89, v89, v92, s3
	v_cndmask_b32_e64 v99, v99, v96, s3
	;; [unrolled: 1-line block ×4, first 2 shown]
	v_cmp_eq_u32_e64 s4, 1, v86
	v_cndmask_b32_e64 v89, v89, v78, s6
	v_cndmask_b32_e64 v99, v99, v107, s6
	;; [unrolled: 1-line block ×4, first 2 shown]
	v_lshrrev_b32_e32 v109, 16, v98
	v_cndmask_b32_e64 v89, v89, v93, s8
	v_cndmask_b32_e64 v99, v99, v97, s8
	;; [unrolled: 1-line block ×8, first 2 shown]
	v_cmp_eq_u32_e64 s13, 7, v87
	v_cmp_eq_u32_e64 s15, 6, v88
	v_cndmask_b32_e64 v89, v89, v94, s11
	v_cndmask_b32_e64 v99, v99, v98, s11
	v_cmp_eq_u32_e64 s16, 2, v86
	v_cndmask_b32_e64 v101, v101, v97, s10
	v_cndmask_b32_e64 v100, v100, v94, s15
	;; [unrolled: 1-line block ×6, first 2 shown]
	v_cmp_eq_u32_e64 s17, 7, v88
	v_cmp_eq_u32_e64 s18, 3, v86
	;; [unrolled: 1-line block ×4, first 2 shown]
	v_cndmask_b32_e64 v99, v99, v96, s16
	v_cndmask_b32_e64 v112, v100, v80, s17
	v_cndmask_b32_e64 v100, v101, v108, s12
	v_cndmask_b32_e64 v101, v89, v78, s18
	v_or_b32_e32 v89, 3, v87
	v_cndmask_b32_e64 v105, v99, v107, s18
	v_cmp_eq_u32_e64 s23, 6, v86
	v_cndmask_b32_e64 v113, v100, v98, s15
	v_cndmask_b32_e64 v104, v101, v93, s19
	ds_load_b128 v[99:102], v90 offset:1024
	v_cmp_eq_u32_e64 s20, 1, v89
	v_cmp_eq_u32_e64 s22, 2, v89
	;; [unrolled: 1-line block ×3, first 2 shown]
	v_cndmask_b32_e64 v114, v104, v79, s21
	v_cmp_eq_u32_e64 s25, 4, v89
	v_cndmask_b32_e64 v74, v91, v74, s20
	v_cndmask_b32_e64 v91, v105, v97, s19
	;; [unrolled: 1-line block ×3, first 2 shown]
	ds_load_b128 v[103:106], v90 offset:1040
	v_cmp_eq_u32_e64 s27, 5, v89
	v_cndmask_b32_e64 v74, v74, v92, s22
	v_cndmask_b32_e64 v91, v91, v108, s21
	;; [unrolled: 1-line block ×3, first 2 shown]
	v_cmp_eq_u32_e64 s28, 6, v89
	v_cndmask_b32_e64 v95, v113, v109, s17
	v_cndmask_b32_e64 v74, v74, v78, s24
	;; [unrolled: 1-line block ×5, first 2 shown]
	s_waitcnt lgkmcnt(1)
	v_lshrrev_b32_e32 v96, 16, v99
	v_cndmask_b32_e64 v74, v74, v93, s25
	v_lshrrev_b32_e32 v107, 16, v100
	v_cndmask_b32_e64 v92, v92, v97, s25
	v_cmp_eq_u32_e64 s26, 7, v86
	v_cndmask_b32_e32 v93, v99, v96, vcc_lo
	v_cndmask_b32_e64 v74, v74, v79, s27
	s_delay_alu instid0(VALU_DEP_4)
	v_cndmask_b32_e64 v79, v92, v108, s27
	s_waitcnt lgkmcnt(0)
	v_lshrrev_b32_e32 v97, 16, v103
	v_cndmask_b32_e64 v92, v93, v100, s3
	v_cndmask_b32_e64 v93, v99, v96, s2
	;; [unrolled: 1-line block ×4, first 2 shown]
	v_cndmask_b32_e32 v108, v103, v97, vcc_lo
	v_cndmask_b32_e64 v92, v92, v107, s6
	v_cndmask_b32_e64 v93, v93, v100, s5
	v_lshrrev_b32_e32 v98, 16, v104
	v_cmp_eq_u32_e32 vcc_lo, 7, v89
	v_cndmask_b32_e64 v94, v108, v104, s3
	v_cndmask_b32_e64 v92, v92, v101, s8
	v_lshrrev_b32_e32 v108, 16, v101
	v_cndmask_b32_e64 v93, v93, v107, s7
	v_cndmask_b32_e32 v74, v74, v80, vcc_lo
	v_cndmask_b32_e64 v94, v94, v98, s6
	v_cndmask_b32_e32 v79, v79, v109, vcc_lo
	v_cndmask_b32_e64 v92, v92, v108, s9
	v_cndmask_b32_e64 v78, v78, v80, s26
	;; [unrolled: 1-line block ×4, first 2 shown]
	v_perm_b32 v94, v79, v74, 0x5040100
	v_cndmask_b32_e64 v79, v92, v102, s11
	v_perm_b32 v92, v95, v112, 0x5040100
	v_cndmask_b32_e64 v95, v99, v96, s4
	v_cndmask_b32_e64 v96, v99, v96, s20
	;; [unrolled: 1-line block ×16, first 2 shown]
	v_lshrrev_b32_e32 v109, 16, v105
	v_cndmask_b32_e64 v95, v95, v101, s19
	v_cndmask_b32_e64 v96, v96, v101, s25
	;; [unrolled: 1-line block ×6, first 2 shown]
	v_lshrrev_b32_e32 v80, 16, v102
	v_cndmask_b32_e64 v113, v93, v109, s9
	v_cndmask_b32_e64 v95, v95, v108, s21
	;; [unrolled: 1-line block ×6, first 2 shown]
	v_perm_b32 v93, v91, v78, 0x5040100
	v_cndmask_b32_e64 v74, v74, v102, s15
	v_cndmask_b32_e64 v78, v79, v80, s13
	v_cndmask_b32_e64 v79, v113, v106, s11
	v_lshrrev_b32_e32 v91, 16, v106
	v_cndmask_b32_e64 v95, v95, v102, s23
	v_cndmask_b32_e64 v96, v96, v102, s28
	;; [unrolled: 1-line block ×7, first 2 shown]
	v_cndmask_b32_e32 v80, v96, v80, vcc_lo
	v_cndmask_b32_e32 v96, v98, v91, vcc_lo
	v_cndmask_b32_e64 v99, v99, v91, s26
	v_cndmask_b32_e64 v100, v97, v91, s17
	;; [unrolled: 1-line block ×3, first 2 shown]
	v_perm_b32 v91, v111, v110, 0x5040100
	v_perm_b32 v98, v96, v80, 0x5040100
	;; [unrolled: 1-line block ×5, first 2 shown]
	s_mul_i32 s7, s35, 10
	s_mov_b32 s2, exec_lo
	ds_store_b128 v77, v[91:94]
	ds_store_b128 v77, v[95:98] offset:1024
	v_cmpx_gt_u32_e32 10, v0
	s_cbranch_execz .LBB739_80
; %bb.79:
	s_mul_i32 s3, s7, s30
	s_load_b128 s[8:11], s[0:1], 0x58
	v_add3_u32 v77, s3, s29, v73
	s_delay_alu instid0(VALU_DEP_1) | instskip(NEXT) | instid1(VALU_DEP_1)
	v_mad_u64_u32 v[73:74], null, v77, s34, s[14:15]
	v_ashrrev_i32_e32 v74, 31, v73
	s_delay_alu instid0(VALU_DEP_1) | instskip(SKIP_1) | instid1(VALU_DEP_1)
	v_lshlrev_b64 v[73:74], 2, v[73:74]
	s_waitcnt lgkmcnt(0)
	v_add_co_u32 v77, vcc_lo, s10, v73
	s_delay_alu instid0(VALU_DEP_2)
	v_add_co_ci_u32_e32 v78, vcc_lo, s11, v74, vcc_lo
	v_add_co_u32 v73, vcc_lo, s8, v73
	v_add_co_ci_u32_e32 v74, vcc_lo, s9, v74, vcc_lo
	global_store_b32 v[77:78], v75, off
	global_store_b32 v[73:74], v76, off
.LBB739_80:
	s_or_b32 exec_lo, exec_lo, s2
	s_waitcnt lgkmcnt(0)
	s_waitcnt_vscnt null, 0x0
	s_barrier
	buffer_gl0_inv
	ds_load_b128 v[91:94], v85
	ds_load_b128 v[95:98], v85 offset:16
	ds_load_b128 v[103:106], v85 offset:1040
	;; [unrolled: 1-line block ×3, first 2 shown]
	v_mov_b32_e32 v73, 0
	ds_load_b128 v[111:114], v85 offset:2064
	ds_load_b128 v[107:110], v85 offset:2048
	;; [unrolled: 1-line block ×6, first 2 shown]
	v_mov_b32_e32 v74, v73
	v_mov_b32_e32 v75, v73
	;; [unrolled: 1-line block ×7, first 2 shown]
	s_waitcnt lgkmcnt(8)
	s_delay_alu instid0(VALU_DEP_1)
	v_wmma_f32_16x16x16_bf16 v[73:80], v[65:72], v[91:98], v[73:80]
	ds_load_b128 v[69:72], v85 offset:5136
	ds_load_b128 v[65:68], v85 offset:5120
	;; [unrolled: 1-line block ×4, first 2 shown]
	s_waitcnt lgkmcnt(10)
	v_wmma_f32_16x16x16_bf16 v[73:80], v[57:64], v[99:106], v[73:80]
	s_waitcnt lgkmcnt(8)
	s_delay_alu instid0(VALU_DEP_1)
	v_wmma_f32_16x16x16_bf16 v[73:80], v[57:64], v[107:114], v[73:80]
	ds_load_b128 v[61:64], v85 offset:7184
	ds_load_b128 v[57:60], v85 offset:7168
	;; [unrolled: 1-line block ×4, first 2 shown]
	s_waitcnt lgkmcnt(10)
	v_wmma_f32_16x16x16_bf16 v[73:80], v[49:56], v[115:122], v[73:80]
	s_waitcnt lgkmcnt(8)
	s_delay_alu instid0(VALU_DEP_1)
	v_wmma_f32_16x16x16_bf16 v[73:80], v[49:56], v[123:130], v[73:80]
	ds_load_b128 v[53:56], v85 offset:9232
	ds_load_b128 v[49:52], v85 offset:9216
	s_waitcnt lgkmcnt(8)
	v_wmma_f32_16x16x16_bf16 v[73:80], v[41:48], v[65:72], v[73:80]
	ds_load_b128 v[69:72], v85 offset:10256
	ds_load_b128 v[65:68], v85 offset:10240
	s_waitcnt lgkmcnt(8)
	;; [unrolled: 4-line block ×3, first 2 shown]
	v_wmma_f32_16x16x16_bf16 v[73:80], v[9:16], v[57:64], v[73:80]
	s_waitcnt lgkmcnt(6)
	s_delay_alu instid0(VALU_DEP_1)
	v_wmma_f32_16x16x16_bf16 v[73:80], v[9:16], v[99:106], v[73:80]
	ds_load_b128 v[13:16], v85 offset:12304
	ds_load_b128 v[9:12], v85 offset:12288
	s_waitcnt lgkmcnt(6)
	v_wmma_f32_16x16x16_bf16 v[73:80], v[1:8], v[49:56], v[73:80]
	ds_load_b128 v[53:56], v85 offset:13328
	ds_load_b128 v[49:52], v85 offset:13312
	s_waitcnt lgkmcnt(6)
	;; [unrolled: 4-line block ×4, first 2 shown]
	v_wmma_f32_16x16x16_bf16 v[73:80], v[33:40], v[9:16], v[73:80]
	s_waitcnt lgkmcnt(4)
	s_delay_alu instid0(VALU_DEP_1) | instskip(SKIP_1) | instid1(VALU_DEP_1)
	v_wmma_f32_16x16x16_bf16 v[73:80], v[25:32], v[49:56], v[73:80]
	s_waitcnt lgkmcnt(2)
	v_wmma_f32_16x16x16_bf16 v[73:80], v[25:32], v[1:8], v[73:80]
	s_waitcnt lgkmcnt(0)
	s_delay_alu instid0(VALU_DEP_1) | instskip(NEXT) | instid1(VALU_DEP_1)
	v_wmma_f32_16x16x16_bf16 v[73:80], v[17:24], v[41:48], v[73:80]
	v_and_b32_e32 v1, 0x7f800000, v73
	s_delay_alu instid0(VALU_DEP_1) | instskip(SKIP_1) | instid1(SALU_CYCLE_1)
	v_cmp_ne_u32_e32 vcc_lo, 0x7f800000, v1
                                        ; implicit-def: $vgpr1
	s_and_saveexec_b32 s2, vcc_lo
	s_xor_b32 s2, exec_lo, s2
; %bb.81:
	v_bfe_u32 v1, v73, 16, 1
	s_delay_alu instid0(VALU_DEP_1)
	v_add3_u32 v1, v73, v1, 0x7fff
; %bb.82:
	s_and_not1_saveexec_b32 s2, s2
; %bb.83:
	v_and_b32_e32 v1, 0xffff, v73
	v_or_b32_e32 v2, 0x10000, v73
	s_delay_alu instid0(VALU_DEP_2) | instskip(NEXT) | instid1(VALU_DEP_2)
	v_cmp_eq_u32_e32 vcc_lo, 0, v1
	v_cndmask_b32_e32 v1, v2, v73, vcc_lo
; %bb.84:
	s_or_b32 exec_lo, exec_lo, s2
	v_and_b32_e32 v2, 0x7f800000, v74
	s_delay_alu instid0(VALU_DEP_1) | instskip(SKIP_1) | instid1(SALU_CYCLE_1)
	v_cmp_ne_u32_e32 vcc_lo, 0x7f800000, v2
                                        ; implicit-def: $vgpr2
	s_and_saveexec_b32 s2, vcc_lo
	s_xor_b32 s2, exec_lo, s2
; %bb.85:
	v_bfe_u32 v2, v74, 16, 1
	s_delay_alu instid0(VALU_DEP_1)
	v_add3_u32 v2, v74, v2, 0x7fff
; %bb.86:
	s_and_not1_saveexec_b32 s2, s2
; %bb.87:
	v_and_b32_e32 v2, 0xffff, v74
	v_or_b32_e32 v3, 0x10000, v74
	s_delay_alu instid0(VALU_DEP_2) | instskip(NEXT) | instid1(VALU_DEP_2)
	v_cmp_eq_u32_e32 vcc_lo, 0, v2
	v_cndmask_b32_e32 v2, v3, v74, vcc_lo
; %bb.88:
	s_or_b32 exec_lo, exec_lo, s2
	v_and_b32_e32 v3, 0x7f800000, v75
	s_delay_alu instid0(VALU_DEP_1) | instskip(SKIP_1) | instid1(SALU_CYCLE_1)
	v_cmp_ne_u32_e32 vcc_lo, 0x7f800000, v3
                                        ; implicit-def: $vgpr3
	s_and_saveexec_b32 s2, vcc_lo
	s_xor_b32 s2, exec_lo, s2
; %bb.89:
	v_bfe_u32 v3, v75, 16, 1
	s_delay_alu instid0(VALU_DEP_1)
	v_add3_u32 v3, v75, v3, 0x7fff
; %bb.90:
	s_and_not1_saveexec_b32 s2, s2
; %bb.91:
	v_and_b32_e32 v3, 0xffff, v75
	v_or_b32_e32 v4, 0x10000, v75
	s_delay_alu instid0(VALU_DEP_2) | instskip(NEXT) | instid1(VALU_DEP_2)
	v_cmp_eq_u32_e32 vcc_lo, 0, v3
	v_cndmask_b32_e32 v3, v4, v75, vcc_lo
; %bb.92:
	s_or_b32 exec_lo, exec_lo, s2
	v_and_b32_e32 v4, 0x7f800000, v76
	s_delay_alu instid0(VALU_DEP_1) | instskip(SKIP_1) | instid1(SALU_CYCLE_1)
	v_cmp_ne_u32_e32 vcc_lo, 0x7f800000, v4
                                        ; implicit-def: $vgpr4
	s_and_saveexec_b32 s2, vcc_lo
	s_xor_b32 s2, exec_lo, s2
; %bb.93:
	v_bfe_u32 v4, v76, 16, 1
	s_delay_alu instid0(VALU_DEP_1)
	v_add3_u32 v4, v76, v4, 0x7fff
; %bb.94:
	s_and_not1_saveexec_b32 s2, s2
; %bb.95:
	v_and_b32_e32 v4, 0xffff, v76
	v_or_b32_e32 v5, 0x10000, v76
	s_delay_alu instid0(VALU_DEP_2) | instskip(NEXT) | instid1(VALU_DEP_2)
	v_cmp_eq_u32_e32 vcc_lo, 0, v4
	v_cndmask_b32_e32 v4, v5, v76, vcc_lo
; %bb.96:
	s_or_b32 exec_lo, exec_lo, s2
	v_and_b32_e32 v5, 0x7f800000, v77
	s_delay_alu instid0(VALU_DEP_1) | instskip(SKIP_1) | instid1(SALU_CYCLE_1)
	v_cmp_ne_u32_e32 vcc_lo, 0x7f800000, v5
                                        ; implicit-def: $vgpr5
	s_and_saveexec_b32 s2, vcc_lo
	s_xor_b32 s2, exec_lo, s2
; %bb.97:
	v_bfe_u32 v5, v77, 16, 1
	s_delay_alu instid0(VALU_DEP_1)
	v_add3_u32 v5, v77, v5, 0x7fff
; %bb.98:
	s_and_not1_saveexec_b32 s2, s2
; %bb.99:
	v_and_b32_e32 v5, 0xffff, v77
	v_or_b32_e32 v6, 0x10000, v77
	s_delay_alu instid0(VALU_DEP_2) | instskip(NEXT) | instid1(VALU_DEP_2)
	v_cmp_eq_u32_e32 vcc_lo, 0, v5
	v_cndmask_b32_e32 v5, v6, v77, vcc_lo
; %bb.100:
	s_or_b32 exec_lo, exec_lo, s2
	v_and_b32_e32 v6, 0x7f800000, v78
	s_delay_alu instid0(VALU_DEP_1) | instskip(SKIP_1) | instid1(SALU_CYCLE_1)
	v_cmp_ne_u32_e32 vcc_lo, 0x7f800000, v6
                                        ; implicit-def: $vgpr6
	s_and_saveexec_b32 s2, vcc_lo
	s_xor_b32 s2, exec_lo, s2
; %bb.101:
	v_bfe_u32 v6, v78, 16, 1
	s_delay_alu instid0(VALU_DEP_1)
	v_add3_u32 v6, v78, v6, 0x7fff
; %bb.102:
	s_and_not1_saveexec_b32 s2, s2
; %bb.103:
	v_and_b32_e32 v6, 0xffff, v78
	v_or_b32_e32 v7, 0x10000, v78
	s_delay_alu instid0(VALU_DEP_2) | instskip(NEXT) | instid1(VALU_DEP_2)
	v_cmp_eq_u32_e32 vcc_lo, 0, v6
	v_cndmask_b32_e32 v6, v7, v78, vcc_lo
; %bb.104:
	s_or_b32 exec_lo, exec_lo, s2
	v_and_b32_e32 v7, 0x7f800000, v79
	s_delay_alu instid0(VALU_DEP_1) | instskip(SKIP_1) | instid1(SALU_CYCLE_1)
	v_cmp_ne_u32_e32 vcc_lo, 0x7f800000, v7
                                        ; implicit-def: $vgpr7
	s_and_saveexec_b32 s2, vcc_lo
	s_xor_b32 s2, exec_lo, s2
; %bb.105:
	v_bfe_u32 v7, v79, 16, 1
	s_delay_alu instid0(VALU_DEP_1)
	v_add3_u32 v7, v79, v7, 0x7fff
; %bb.106:
	s_and_not1_saveexec_b32 s2, s2
; %bb.107:
	v_and_b32_e32 v7, 0xffff, v79
	v_or_b32_e32 v8, 0x10000, v79
	s_delay_alu instid0(VALU_DEP_2) | instskip(NEXT) | instid1(VALU_DEP_2)
	v_cmp_eq_u32_e32 vcc_lo, 0, v7
	v_cndmask_b32_e32 v7, v8, v79, vcc_lo
; %bb.108:
	s_or_b32 exec_lo, exec_lo, s2
	v_and_b32_e32 v8, 0x7f800000, v80
	s_delay_alu instid0(VALU_DEP_1) | instskip(SKIP_1) | instid1(SALU_CYCLE_1)
	v_cmp_ne_u32_e32 vcc_lo, 0x7f800000, v8
                                        ; implicit-def: $vgpr8
	s_and_saveexec_b32 s2, vcc_lo
	s_xor_b32 s2, exec_lo, s2
; %bb.109:
	v_bfe_u32 v8, v80, 16, 1
	s_delay_alu instid0(VALU_DEP_1)
	v_add3_u32 v8, v80, v8, 0x7fff
                                        ; implicit-def: $vgpr73_vgpr74_vgpr75_vgpr76_vgpr77_vgpr78_vgpr79_vgpr80
; %bb.110:
	s_and_not1_saveexec_b32 s2, s2
; %bb.111:
	v_and_b32_e32 v8, 0xffff, v80
	v_or_b32_e32 v9, 0x10000, v80
	s_delay_alu instid0(VALU_DEP_2) | instskip(NEXT) | instid1(VALU_DEP_2)
	v_cmp_eq_u32_e32 vcc_lo, 0, v8
	v_cndmask_b32_e32 v8, v9, v80, vcc_lo
; %bb.112:
	s_or_b32 exec_lo, exec_lo, s2
	s_delay_alu instid0(VALU_DEP_1)
	v_perm_b32 v7, v8, v7, 0x7060302
	v_perm_b32 v6, v6, v5, 0x7060302
	;; [unrolled: 1-line block ×4, first 2 shown]
	v_lshl_or_b32 v9, v83, 4, v90
	s_barrier
	buffer_gl0_inv
	v_cmp_eq_u32_e32 vcc_lo, 1, v87
	ds_store_b128 v9, v[4:7]
	s_waitcnt lgkmcnt(0)
	s_barrier
	buffer_gl0_inv
	ds_load_b128 v[1:4], v90
	ds_load_b128 v[5:8], v90 offset:16
	v_cmp_eq_u32_e64 s3, 2, v87
	v_cmp_eq_u32_e64 s2, 1, v88
	;; [unrolled: 1-line block ×5, first 2 shown]
	s_waitcnt lgkmcnt(1)
	v_lshrrev_b32_e32 v10, 16, v1
	s_waitcnt lgkmcnt(0)
	v_lshrrev_b32_e32 v14, 16, v5
	v_lshrrev_b32_e32 v15, 16, v6
	;; [unrolled: 1-line block ×4, first 2 shown]
	v_cndmask_b32_e64 v20, v1, v10, s2
	v_cndmask_b32_e32 v19, v5, v14, vcc_lo
	v_cndmask_b32_e64 v21, v5, v14, s2
	v_lshrrev_b32_e32 v16, 16, v7
	v_cmp_eq_u32_e64 s2, 1, v86
	v_lshrrev_b32_e32 v13, 16, v4
	v_cndmask_b32_e64 v19, v19, v6, s3
	v_lshrrev_b32_e32 v17, 16, v8
	s_delay_alu instid0(VALU_DEP_4) | instskip(SKIP_1) | instid1(VALU_DEP_4)
	v_cndmask_b32_e64 v22, v1, v10, s2
	v_cndmask_b32_e64 v23, v5, v14, s2
	;; [unrolled: 1-line block ×3, first 2 shown]
	v_cndmask_b32_e32 v18, v1, v10, vcc_lo
	v_cmp_eq_u32_e32 vcc_lo, 2, v88
	v_cmp_eq_u32_e64 s2, 2, v89
	v_cndmask_b32_e64 v22, v22, v2, s6
	v_cndmask_b32_e32 v20, v20, v2, vcc_lo
	v_cndmask_b32_e32 v21, v21, v6, vcc_lo
	v_cmp_eq_u32_e32 vcc_lo, 4, v87
	v_cndmask_b32_e32 v19, v19, v7, vcc_lo
	v_cndmask_b32_e64 v18, v18, v2, s3
	v_cmp_eq_u32_e64 s3, 3, v88
	s_delay_alu instid0(VALU_DEP_2) | instskip(NEXT) | instid1(VALU_DEP_2)
	v_cndmask_b32_e64 v18, v18, v11, s4
	v_cndmask_b32_e64 v21, v21, v15, s3
	v_cmp_eq_u32_e64 s4, 5, v87
	s_delay_alu instid0(VALU_DEP_3) | instskip(SKIP_1) | instid1(VALU_DEP_3)
	v_cndmask_b32_e32 v18, v18, v3, vcc_lo
	v_cmp_eq_u32_e32 vcc_lo, 4, v88
	v_cndmask_b32_e64 v19, v19, v16, s4
	s_delay_alu instid0(VALU_DEP_3) | instskip(SKIP_4) | instid1(VALU_DEP_3)
	v_cndmask_b32_e64 v18, v18, v12, s4
	v_cndmask_b32_e32 v21, v21, v7, vcc_lo
	v_cndmask_b32_e64 v20, v20, v11, s3
	v_cmp_eq_u32_e64 s3, 5, v88
	v_cmp_eq_u32_e64 s4, 6, v87
	v_cndmask_b32_e32 v20, v20, v3, vcc_lo
	s_delay_alu instid0(VALU_DEP_3) | instskip(SKIP_1) | instid1(VALU_DEP_4)
	v_cndmask_b32_e64 v21, v21, v16, s3
	v_cmp_eq_u32_e32 vcc_lo, 6, v88
	v_cndmask_b32_e64 v18, v18, v4, s4
	v_cndmask_b32_e64 v19, v19, v8, s4
	;; [unrolled: 1-line block ×3, first 2 shown]
	v_cmp_eq_u32_e64 s3, 1, v89
	v_cmp_eq_u32_e64 s4, 7, v87
	s_delay_alu instid0(VALU_DEP_3) | instskip(NEXT) | instid1(VALU_DEP_3)
	v_cndmask_b32_e32 v20, v20, v4, vcc_lo
	v_cndmask_b32_e64 v1, v1, v10, s3
	v_cndmask_b32_e64 v5, v5, v14, s3
	v_cmp_eq_u32_e64 s3, 3, v86
	v_cndmask_b32_e64 v14, v23, v6, s6
	v_cmp_eq_u32_e64 s6, 3, v89
	v_cndmask_b32_e64 v1, v1, v2, s2
	v_cndmask_b32_e64 v2, v5, v6, s2
	;; [unrolled: 1-line block ×3, first 2 shown]
	v_cmp_eq_u32_e64 s2, 4, v86
	v_cndmask_b32_e64 v6, v14, v15, s3
	v_cndmask_b32_e64 v1, v1, v11, s6
	v_cmp_eq_u32_e64 s3, 4, v89
	v_cndmask_b32_e64 v2, v2, v15, s6
	v_cndmask_b32_e64 v5, v10, v3, s2
	;; [unrolled: 3-line block ×3, first 2 shown]
	v_cndmask_b32_e64 v2, v2, v7, s3
	v_cmp_eq_u32_e64 s2, 5, v89
	v_cndmask_b32_e64 v5, v5, v12, s6
	v_cmp_eq_u32_e64 s3, 6, v86
	;; [unrolled: 2-line block ×3, first 2 shown]
	v_cndmask_b32_e64 v1, v1, v12, s2
	v_cndmask_b32_e64 v2, v2, v16, s2
	;; [unrolled: 1-line block ×4, first 2 shown]
	v_cmp_eq_u32_e64 s2, 7, v89
	v_cndmask_b32_e64 v1, v1, v4, s6
	v_cndmask_b32_e64 v2, v2, v8, s6
	v_cmp_eq_u32_e64 s3, 7, v86
	v_cndmask_b32_e32 v4, v21, v8, vcc_lo
	v_cndmask_b32_e64 v18, v18, v13, s4
	v_cndmask_b32_e64 v20, v20, v13, s5
	;; [unrolled: 1-line block ×8, first 2 shown]
	s_mov_b32 s2, exec_lo
	v_perm_b32 v4, v2, v1, 0x5040100
	v_perm_b32 v3, v3, v5, 0x5040100
	;; [unrolled: 1-line block ×4, first 2 shown]
	ds_store_b128 v9, v[1:4]
	s_waitcnt lgkmcnt(0)
	s_barrier
	buffer_gl0_inv
	v_cmpx_gt_u32_e32 32, v0
	s_cbranch_execz .LBB739_2
; %bb.113:
	s_load_b64 s[0:1], s[0:1], 0x68
	s_lshl_b32 s4, s34, 7
	v_or_b32_e32 v2, s29, v83
	s_mul_i32 s2, s4, s30
	v_lshlrev_b32_e32 v0, 10, v0
	s_mul_i32 s2, s2, s7
	v_lshlrev_b32_e32 v1, 4, v84
	s_ashr_i32 s3, s2, 31
	v_mul_lo_u32 v20, v2, s4
	s_lshl_b64 s[2:3], s[2:3], 1
	v_lshlrev_b32_e32 v3, 6, v83
	v_and_b32_e32 v0, 0x3800, v0
	s_delay_alu instid0(VALU_DEP_1) | instskip(NEXT) | instid1(VALU_DEP_4)
	v_or3_b32 v16, v0, v1, v3
	v_ashrrev_i32_e32 v21, 31, v20
	ds_load_b128 v[0:3], v16
	ds_load_b128 v[4:7], v16 offset:128
	s_waitcnt lgkmcnt(0)
	s_add_u32 s2, s0, s2
	s_addc_u32 s3, s1, s3
	s_lshl_b32 s0, s14, 7
	ds_load_b128 v[8:11], v16 offset:256
	ds_load_b128 v[12:15], v16 offset:384
	ds_load_b128 v[16:19], v16 offset:512
	s_ashr_i32 s1, s0, 31
	s_delay_alu instid0(SALU_CYCLE_1) | instskip(NEXT) | instid1(SALU_CYCLE_1)
	s_lshl_b64 s[0:1], s[0:1], 1
	s_add_u32 s0, s2, s0
	s_addc_u32 s1, s3, s1
	s_lshl_b32 s2, s34, 8
	v_add_co_u32 v30, vcc_lo, s0, v81
	v_add_nc_u32_e32 v22, s2, v20
	v_lshlrev_b64 v[20:21], 1, v[20:21]
	v_add_co_ci_u32_e32 v31, vcc_lo, s1, v82, vcc_lo
	s_delay_alu instid0(VALU_DEP_3) | instskip(SKIP_1) | instid1(VALU_DEP_4)
	v_add_nc_u32_e32 v24, s2, v22
	v_ashrrev_i32_e32 v23, 31, v22
	v_add_co_u32 v20, vcc_lo, v30, v20
	s_delay_alu instid0(VALU_DEP_4) | instskip(NEXT) | instid1(VALU_DEP_4)
	v_add_co_ci_u32_e32 v21, vcc_lo, v31, v21, vcc_lo
	v_add_nc_u32_e32 v26, s2, v24
	v_ashrrev_i32_e32 v25, 31, v24
	v_lshlrev_b64 v[22:23], 1, v[22:23]
	s_delay_alu instid0(VALU_DEP_3) | instskip(SKIP_1) | instid1(VALU_DEP_4)
	v_add_nc_u32_e32 v28, s2, v26
	v_ashrrev_i32_e32 v27, 31, v26
	v_lshlrev_b64 v[24:25], 1, v[24:25]
	s_delay_alu instid0(VALU_DEP_4) | instskip(NEXT) | instid1(VALU_DEP_4)
	v_add_co_u32 v22, vcc_lo, v30, v22
	v_ashrrev_i32_e32 v29, 31, v28
	s_delay_alu instid0(VALU_DEP_4) | instskip(SKIP_2) | instid1(VALU_DEP_4)
	v_lshlrev_b64 v[26:27], 1, v[26:27]
	v_add_co_ci_u32_e32 v23, vcc_lo, v31, v23, vcc_lo
	v_add_co_u32 v24, vcc_lo, v30, v24
	v_lshlrev_b64 v[28:29], 1, v[28:29]
	v_add_co_ci_u32_e32 v25, vcc_lo, v31, v25, vcc_lo
	v_add_co_u32 v26, vcc_lo, v30, v26
	v_add_co_ci_u32_e32 v27, vcc_lo, v31, v27, vcc_lo
	s_delay_alu instid0(VALU_DEP_4)
	v_add_co_u32 v28, vcc_lo, v30, v28
	v_add_co_ci_u32_e32 v29, vcc_lo, v31, v29, vcc_lo
	s_clause 0x1
	global_store_b128 v[20:21], v[0:3], off
	global_store_b128 v[22:23], v[4:7], off
	s_waitcnt lgkmcnt(2)
	global_store_b128 v[24:25], v[8:11], off
	s_waitcnt lgkmcnt(1)
	;; [unrolled: 2-line block ×3, first 2 shown]
	global_store_b128 v[28:29], v[16:19], off
	s_nop 0
	s_sendmsg sendmsg(MSG_DEALLOC_VGPRS)
	s_endpgm
	.section	.rodata,"a",@progbits
	.p2align	6, 0x0
	.amdhsa_kernel _Z39paged_attention_ll4mi_QKV_mfma16_kernelI14__hip_bfloat16S0_LN4vllm18Fp8KVCacheDataTypeE0ES0_Li32ELi128ELi256ELb1ELi10EL8MFMAType0EEvPKT_PKT0_S9_ifPKiSB_SB_iPKfiiiPfSE_PS4_PT2_iSD_SD_
		.amdhsa_group_segment_fixed_size 17472
		.amdhsa_private_segment_fixed_size 0
		.amdhsa_kernarg_size 400
		.amdhsa_user_sgpr_count 13
		.amdhsa_user_sgpr_dispatch_ptr 0
		.amdhsa_user_sgpr_queue_ptr 0
		.amdhsa_user_sgpr_kernarg_segment_ptr 1
		.amdhsa_user_sgpr_dispatch_id 0
		.amdhsa_user_sgpr_private_segment_size 0
		.amdhsa_wavefront_size32 1
		.amdhsa_uses_dynamic_stack 0
		.amdhsa_enable_private_segment 0
		.amdhsa_system_sgpr_workgroup_id_x 1
		.amdhsa_system_sgpr_workgroup_id_y 1
		.amdhsa_system_sgpr_workgroup_id_z 1
		.amdhsa_system_sgpr_workgroup_info 0
		.amdhsa_system_vgpr_workitem_id 0
		.amdhsa_next_free_vgpr 157
		.amdhsa_next_free_sgpr 40
		.amdhsa_reserve_vcc 1
		.amdhsa_float_round_mode_32 0
		.amdhsa_float_round_mode_16_64 0
		.amdhsa_float_denorm_mode_32 3
		.amdhsa_float_denorm_mode_16_64 3
		.amdhsa_dx10_clamp 1
		.amdhsa_ieee_mode 1
		.amdhsa_fp16_overflow 0
		.amdhsa_workgroup_processor_mode 1
		.amdhsa_memory_ordered 1
		.amdhsa_forward_progress 0
		.amdhsa_shared_vgpr_count 0
		.amdhsa_exception_fp_ieee_invalid_op 0
		.amdhsa_exception_fp_denorm_src 0
		.amdhsa_exception_fp_ieee_div_zero 0
		.amdhsa_exception_fp_ieee_overflow 0
		.amdhsa_exception_fp_ieee_underflow 0
		.amdhsa_exception_fp_ieee_inexact 0
		.amdhsa_exception_int_div_zero 0
	.end_amdhsa_kernel
	.section	.text._Z39paged_attention_ll4mi_QKV_mfma16_kernelI14__hip_bfloat16S0_LN4vllm18Fp8KVCacheDataTypeE0ES0_Li32ELi128ELi256ELb1ELi10EL8MFMAType0EEvPKT_PKT0_S9_ifPKiSB_SB_iPKfiiiPfSE_PS4_PT2_iSD_SD_,"axG",@progbits,_Z39paged_attention_ll4mi_QKV_mfma16_kernelI14__hip_bfloat16S0_LN4vllm18Fp8KVCacheDataTypeE0ES0_Li32ELi128ELi256ELb1ELi10EL8MFMAType0EEvPKT_PKT0_S9_ifPKiSB_SB_iPKfiiiPfSE_PS4_PT2_iSD_SD_,comdat
.Lfunc_end739:
	.size	_Z39paged_attention_ll4mi_QKV_mfma16_kernelI14__hip_bfloat16S0_LN4vllm18Fp8KVCacheDataTypeE0ES0_Li32ELi128ELi256ELb1ELi10EL8MFMAType0EEvPKT_PKT0_S9_ifPKiSB_SB_iPKfiiiPfSE_PS4_PT2_iSD_SD_, .Lfunc_end739-_Z39paged_attention_ll4mi_QKV_mfma16_kernelI14__hip_bfloat16S0_LN4vllm18Fp8KVCacheDataTypeE0ES0_Li32ELi128ELi256ELb1ELi10EL8MFMAType0EEvPKT_PKT0_S9_ifPKiSB_SB_iPKfiiiPfSE_PS4_PT2_iSD_SD_
                                        ; -- End function
	.section	.AMDGPU.csdata,"",@progbits
; Kernel info:
; codeLenInByte = 9816
; NumSgprs: 42
; NumVgprs: 157
; ScratchSize: 0
; MemoryBound: 0
; FloatMode: 240
; IeeeMode: 1
; LDSByteSize: 17472 bytes/workgroup (compile time only)
; SGPRBlocks: 5
; VGPRBlocks: 19
; NumSGPRsForWavesPerEU: 42
; NumVGPRsForWavesPerEU: 157
; Occupancy: 9
; WaveLimiterHint : 1
; COMPUTE_PGM_RSRC2:SCRATCH_EN: 0
; COMPUTE_PGM_RSRC2:USER_SGPR: 13
; COMPUTE_PGM_RSRC2:TRAP_HANDLER: 0
; COMPUTE_PGM_RSRC2:TGID_X_EN: 1
; COMPUTE_PGM_RSRC2:TGID_Y_EN: 1
; COMPUTE_PGM_RSRC2:TGID_Z_EN: 1
; COMPUTE_PGM_RSRC2:TIDIG_COMP_CNT: 0
	.section	.text._Z39paged_attention_ll4mi_QKV_mfma16_kernelI14__hip_bfloat16S0_LN4vllm18Fp8KVCacheDataTypeE0ES0_Li32ELi128ELi256ELb1ELi11EL8MFMAType0EEvPKT_PKT0_S9_ifPKiSB_SB_iPKfiiiPfSE_PS4_PT2_iSD_SD_,"axG",@progbits,_Z39paged_attention_ll4mi_QKV_mfma16_kernelI14__hip_bfloat16S0_LN4vllm18Fp8KVCacheDataTypeE0ES0_Li32ELi128ELi256ELb1ELi11EL8MFMAType0EEvPKT_PKT0_S9_ifPKiSB_SB_iPKfiiiPfSE_PS4_PT2_iSD_SD_,comdat
	.protected	_Z39paged_attention_ll4mi_QKV_mfma16_kernelI14__hip_bfloat16S0_LN4vllm18Fp8KVCacheDataTypeE0ES0_Li32ELi128ELi256ELb1ELi11EL8MFMAType0EEvPKT_PKT0_S9_ifPKiSB_SB_iPKfiiiPfSE_PS4_PT2_iSD_SD_ ; -- Begin function _Z39paged_attention_ll4mi_QKV_mfma16_kernelI14__hip_bfloat16S0_LN4vllm18Fp8KVCacheDataTypeE0ES0_Li32ELi128ELi256ELb1ELi11EL8MFMAType0EEvPKT_PKT0_S9_ifPKiSB_SB_iPKfiiiPfSE_PS4_PT2_iSD_SD_
	.globl	_Z39paged_attention_ll4mi_QKV_mfma16_kernelI14__hip_bfloat16S0_LN4vllm18Fp8KVCacheDataTypeE0ES0_Li32ELi128ELi256ELb1ELi11EL8MFMAType0EEvPKT_PKT0_S9_ifPKiSB_SB_iPKfiiiPfSE_PS4_PT2_iSD_SD_
	.p2align	8
	.type	_Z39paged_attention_ll4mi_QKV_mfma16_kernelI14__hip_bfloat16S0_LN4vllm18Fp8KVCacheDataTypeE0ES0_Li32ELi128ELi256ELb1ELi11EL8MFMAType0EEvPKT_PKT0_S9_ifPKiSB_SB_iPKfiiiPfSE_PS4_PT2_iSD_SD_,@function
_Z39paged_attention_ll4mi_QKV_mfma16_kernelI14__hip_bfloat16S0_LN4vllm18Fp8KVCacheDataTypeE0ES0_Li32ELi128ELi256ELb1ELi11EL8MFMAType0EEvPKT_PKT0_S9_ifPKiSB_SB_iPKfiiiPfSE_PS4_PT2_iSD_SD_: ; @_Z39paged_attention_ll4mi_QKV_mfma16_kernelI14__hip_bfloat16S0_LN4vllm18Fp8KVCacheDataTypeE0ES0_Li32ELi128ELi256ELb1ELi11EL8MFMAType0EEvPKT_PKT0_S9_ifPKiSB_SB_iPKfiiiPfSE_PS4_PT2_iSD_SD_
; %bb.0:
	s_load_b64 s[2:3], s[0:1], 0x30
	s_mov_b32 s30, s13
	s_waitcnt lgkmcnt(0)
	s_cmp_lg_u64 s[2:3], 0
	s_cselect_b32 s6, -1, 0
	s_ashr_i32 s31, s13, 31
	s_cmp_eq_u64 s[2:3], 0
	s_cbranch_scc1 .LBB740_3
; %bb.1:
	s_lshl_b64 s[4:5], s[30:31], 2
	s_delay_alu instid0(SALU_CYCLE_1) | instskip(SKIP_4) | instid1(SALU_CYCLE_1)
	s_add_u32 s4, s2, s4
	s_addc_u32 s5, s3, s5
	s_load_b64 s[4:5], s[4:5], 0x0
	s_waitcnt lgkmcnt(0)
	s_sub_i32 s4, s5, s4
	s_cmp_eq_u32 s4, 1
	s_cselect_b32 s4, -1, 0
	s_delay_alu instid0(SALU_CYCLE_1)
	s_and_not1_b32 vcc_lo, exec_lo, s4
	s_cbranch_vccz .LBB740_4
.LBB740_2:
	s_nop 0
	s_sendmsg sendmsg(MSG_DEALLOC_VGPRS)
	s_endpgm
.LBB740_3:
.LBB740_4:
	s_load_b64 s[8:9], s[0:1], 0x28
	s_lshl_b64 s[4:5], s[30:31], 2
	s_waitcnt lgkmcnt(0)
	s_add_u32 s8, s8, s4
	s_addc_u32 s9, s9, s5
	s_lshl_b32 s12, s14, 8
	s_load_b32 s17, s[8:9], 0x0
	s_waitcnt lgkmcnt(0)
	s_cmp_ge_i32 s12, s17
	s_cbranch_scc1 .LBB740_2
; %bb.5:
	s_and_not1_b32 vcc_lo, exec_lo, s6
	s_cbranch_vccnz .LBB740_7
; %bb.6:
	s_add_u32 s2, s2, s4
	s_addc_u32 s3, s3, s5
	s_load_b32 s13, s[2:3], 0x0
	s_branch .LBB740_8
.LBB740_7:
	s_mov_b32 s13, s30
.LBB740_8:
	s_clause 0x2
	s_load_b128 s[8:11], s[0:1], 0x8
	s_load_b64 s[2:3], s[0:1], 0x20
	s_load_b128 s[4:7], s[0:1], 0x48
	v_lshrrev_b32_e32 v74, 5, v0
	v_bfe_u32 v83, v0, 4, 1
	v_and_b32_e32 v73, 15, v0
	s_waitcnt lgkmcnt(0)
	s_mov_b32 s7, exec_lo
	s_delay_alu instid0(VALU_DEP_2) | instskip(NEXT) | instid1(VALU_DEP_2)
	v_lshl_or_b32 v3, v74, 1, v83
	v_lshlrev_b32_e32 v1, 3, v73
	s_delay_alu instid0(VALU_DEP_2)
	v_cmpx_lt_u32_e32 10, v3
	s_xor_b32 s7, exec_lo, s7
; %bb.9:
	v_mov_b32_e32 v2, 0
                                        ; implicit-def: $vgpr3
; %bb.10:
	s_or_saveexec_b32 s7, s7
	v_and_b32_e32 v75, 31, v0
	v_and_b32_e32 v84, 1, v0
	s_mul_i32 s31, s15, 11
	s_xor_b32 exec_lo, exec_lo, s7
	s_cbranch_execz .LBB740_12
; %bb.11:
	s_load_b64 s[18:19], s[0:1], 0x0
	v_add_lshl_u32 v4, v3, s31, 7
	s_mul_hi_i32 s21, s13, s4
	s_mul_i32 s20, s13, s4
	v_lshlrev_b32_e32 v2, 1, v1
	s_lshl_b64 s[20:21], s[20:21], 1
	v_ashrrev_i32_e32 v5, 31, v4
	v_lshlrev_b32_e32 v3, 6, v3
	v_lshlrev_b32_e32 v8, 10, v84
	s_delay_alu instid0(VALU_DEP_3) | instskip(SKIP_3) | instid1(VALU_DEP_1)
	v_lshlrev_b64 v[4:5], 1, v[4:5]
	s_waitcnt lgkmcnt(0)
	s_add_u32 s4, s18, s20
	s_addc_u32 s13, s19, s21
	v_add_co_u32 v4, vcc_lo, s4, v4
	s_delay_alu instid0(VALU_DEP_2) | instskip(NEXT) | instid1(VALU_DEP_2)
	v_add_co_ci_u32_e32 v5, vcc_lo, s13, v5, vcc_lo
	v_add_co_u32 v4, vcc_lo, v4, v2
	s_delay_alu instid0(VALU_DEP_2) | instskip(SKIP_3) | instid1(VALU_DEP_1)
	v_add_co_ci_u32_e32 v5, vcc_lo, 0, v5, vcc_lo
	v_lshlrev_b32_e32 v2, 10, v73
	global_load_b128 v[4:7], v[4:5], off
	v_and_b32_e32 v2, 0x3800, v2
	v_or3_b32 v3, v2, v8, v3
	v_mov_b32_e32 v2, 0
	s_waitcnt vmcnt(0)
	ds_store_b128 v3, v[4:7]
.LBB740_12:
	s_or_b32 exec_lo, exec_lo, s7
	v_add_nc_u32_e32 v80, -11, v73
	v_and_b32_e32 v3, 0xef, v0
	s_add_i32 s4, s17, 31
	s_clause 0x1
	s_load_b32 s7, s[0:1], 0x38
	s_load_b32 s18, s[0:1], 0x1c
	s_ashr_i32 s13, s4, 31
	v_add_nc_u32_e32 v3, s12, v3
	s_lshr_b32 s13, s13, 27
	s_waitcnt lgkmcnt(0)
	s_add_i32 s4, s4, s13
	s_barrier
	v_ashrrev_i32_e32 v4, 31, v3
	v_cmp_gt_i32_e32 vcc_lo, s17, v3
	s_ashr_i32 s4, s4, 5
	buffer_gl0_inv
	s_add_i32 s4, s4, -1
	v_lshrrev_b32_e32 v5, 27, v4
	v_or_b32_e32 v4, 16, v3
	v_lshlrev_b64 v[81:82], 1, v[1:2]
	s_delay_alu instid0(VALU_DEP_3) | instskip(NEXT) | instid1(VALU_DEP_3)
	v_add_nc_u32_e32 v6, v3, v5
	v_add_nc_u32_e32 v5, v4, v5
	s_mul_i32 s20, s30, s7
	s_delay_alu instid0(SALU_CYCLE_1) | instskip(NEXT) | instid1(VALU_DEP_2)
	s_ashr_i32 s21, s20, 31
	v_ashrrev_i32_e32 v6, 5, v6
	s_delay_alu instid0(VALU_DEP_2) | instskip(SKIP_1) | instid1(SALU_CYCLE_1)
	v_ashrrev_i32_e32 v5, 5, v5
	s_lshl_b64 s[20:21], s[20:21], 2
	s_add_u32 s7, s2, s20
	s_delay_alu instid0(VALU_DEP_2) | instskip(SKIP_3) | instid1(VALU_DEP_2)
	v_cndmask_b32_e32 v3, s4, v6, vcc_lo
	v_cmp_gt_i32_e32 vcc_lo, s17, v4
	s_addc_u32 s13, s3, s21
	s_mul_i32 s2, s15, s6
	v_ashrrev_i32_e32 v4, 31, v3
	v_cndmask_b32_e32 v5, s4, v5, vcc_lo
	s_ashr_i32 s3, s2, 31
	s_delay_alu instid0(SALU_CYCLE_1) | instskip(NEXT) | instid1(VALU_DEP_2)
	s_lshl_b64 s[2:3], s[2:3], 1
	v_lshlrev_b64 v[3:4], 2, v[3:4]
	s_delay_alu instid0(VALU_DEP_2) | instskip(SKIP_3) | instid1(VALU_DEP_1)
	v_ashrrev_i32_e32 v6, 31, v5
	s_add_u32 s6, s8, s2
	s_addc_u32 s15, s9, s3
	s_lshl_b32 s8, s14, 3
	v_lshlrev_b64 v[5:6], 2, v[5:6]
	v_add_co_u32 v3, vcc_lo, s7, v3
	v_add_co_ci_u32_e32 v4, vcc_lo, s13, v4, vcc_lo
	s_ashr_i32 s9, s8, 31
	s_delay_alu instid0(VALU_DEP_3) | instskip(NEXT) | instid1(VALU_DEP_4)
	v_add_co_u32 v5, vcc_lo, s7, v5
	v_add_co_ci_u32_e32 v6, vcc_lo, s13, v6, vcc_lo
	s_clause 0x1
	global_load_b32 v7, v[3:4], off
	global_load_b32 v8, v[5:6], off
	s_lshl_b64 s[8:9], s[8:9], 2
	s_delay_alu instid0(SALU_CYCLE_1) | instskip(SKIP_2) | instid1(SALU_CYCLE_1)
	s_add_u32 s8, s7, s8
	s_addc_u32 s9, s13, s9
	s_or_b32 s16, s12, 32
	s_ashr_i32 s19, s16, 5
	s_cmp_lt_i32 s16, s17
	s_cselect_b32 s20, s19, s4
	s_delay_alu instid0(SALU_CYCLE_1) | instskip(NEXT) | instid1(SALU_CYCLE_1)
	s_ashr_i32 s21, s20, 31
	s_lshl_b64 s[20:21], s[20:21], 2
	s_delay_alu instid0(SALU_CYCLE_1) | instskip(SKIP_2) | instid1(SALU_CYCLE_1)
	s_add_u32 s20, s7, s20
	s_addc_u32 s21, s13, s21
	s_or_b32 s16, s12, 64
	s_ashr_i32 s19, s16, 5
	s_cmp_lt_i32 s16, s17
	s_cselect_b32 s22, s19, s4
	s_delay_alu instid0(SALU_CYCLE_1) | instskip(NEXT) | instid1(SALU_CYCLE_1)
	s_ashr_i32 s23, s22, 31
	s_lshl_b64 s[22:23], s[22:23], 2
	s_delay_alu instid0(SALU_CYCLE_1) | instskip(SKIP_2) | instid1(SALU_CYCLE_1)
	s_add_u32 s22, s7, s22
	s_addc_u32 s23, s13, s23
	s_or_b32 s16, s12, 0x60
	s_ashr_i32 s19, s16, 5
	s_cmp_lt_i32 s16, s17
	s_cselect_b32 s24, s19, s4
	s_delay_alu instid0(SALU_CYCLE_1) | instskip(NEXT) | instid1(SALU_CYCLE_1)
	s_ashr_i32 s25, s24, 31
	s_lshl_b64 s[24:25], s[24:25], 2
	s_delay_alu instid0(SALU_CYCLE_1) | instskip(SKIP_2) | instid1(SALU_CYCLE_1)
	s_add_u32 s24, s7, s24
	s_addc_u32 s25, s13, s25
	s_or_b32 s16, s12, 0x80
	s_ashr_i32 s19, s16, 5
	s_cmp_lt_i32 s16, s17
	s_cselect_b32 s26, s19, s4
	s_delay_alu instid0(SALU_CYCLE_1) | instskip(NEXT) | instid1(SALU_CYCLE_1)
	s_ashr_i32 s27, s26, 31
	s_lshl_b64 s[26:27], s[26:27], 2
	s_delay_alu instid0(SALU_CYCLE_1) | instskip(SKIP_2) | instid1(SALU_CYCLE_1)
	s_add_u32 s26, s7, s26
	s_addc_u32 s27, s13, s27
	s_or_b32 s16, s12, 0xa0
	s_ashr_i32 s19, s16, 5
	s_cmp_lt_i32 s16, s17
	s_cselect_b32 s28, s19, s4
	s_delay_alu instid0(SALU_CYCLE_1) | instskip(NEXT) | instid1(SALU_CYCLE_1)
	s_ashr_i32 s29, s28, 31
	s_lshl_b64 s[28:29], s[28:29], 2
	s_delay_alu instid0(SALU_CYCLE_1)
	s_add_u32 s28, s7, s28
	s_addc_u32 s29, s13, s29
	s_clause 0x5
	s_load_b32 s16, s[8:9], 0x0
	s_load_b32 s19, s[20:21], 0x0
	;; [unrolled: 1-line block ×6, first 2 shown]
	s_mov_b32 s20, 0
	s_delay_alu instid0(SALU_CYCLE_1)
	s_mov_b32 s27, s20
	s_mov_b32 s24, s20
	;; [unrolled: 1-line block ×7, first 2 shown]
	v_dual_mov_b32 v108, s27 :: v_dual_mov_b32 v105, s24
	v_dual_mov_b32 v107, s26 :: v_dual_mov_b32 v106, s25
	;; [unrolled: 1-line block ×4, first 2 shown]
	s_waitcnt lgkmcnt(0)
	s_mul_hi_i32 s29, s34, s5
	s_mul_i32 s28, s34, s5
	s_mul_hi_i32 s21, s16, s5
	s_mul_i32 s20, s16, s5
	s_mul_hi_i32 s23, s19, s5
	s_mul_i32 s22, s19, s5
	s_mul_hi_i32 s27, s33, s5
	s_mul_i32 s26, s33, s5
	s_mul_hi_i32 s37, s36, s5
	s_mul_i32 s36, s36, s5
	s_waitcnt vmcnt(1)
	v_mad_i64_i32 v[3:4], null, v7, s5, 0
	s_waitcnt vmcnt(0)
	v_mad_i64_i32 v[5:6], null, v8, s5, 0
	s_delay_alu instid0(VALU_DEP_2) | instskip(NEXT) | instid1(VALU_DEP_2)
	v_lshlrev_b64 v[3:4], 1, v[3:4]
	v_lshlrev_b64 v[1:2], 1, v[5:6]
	s_delay_alu instid0(VALU_DEP_2) | instskip(NEXT) | instid1(VALU_DEP_3)
	v_add_co_u32 v3, vcc_lo, s6, v3
	v_add_co_ci_u32_e32 v4, vcc_lo, s15, v4, vcc_lo
	s_delay_alu instid0(VALU_DEP_3) | instskip(NEXT) | instid1(VALU_DEP_4)
	v_add_co_u32 v1, vcc_lo, s6, v1
	v_add_co_ci_u32_e32 v2, vcc_lo, s15, v2, vcc_lo
	s_delay_alu instid0(VALU_DEP_4) | instskip(NEXT) | instid1(VALU_DEP_4)
	v_add_co_u32 v65, vcc_lo, v3, v81
	v_add_co_ci_u32_e32 v66, vcc_lo, v4, v82, vcc_lo
	s_delay_alu instid0(VALU_DEP_4) | instskip(NEXT) | instid1(VALU_DEP_4)
	v_add_co_u32 v76, vcc_lo, v1, v81
	v_add_co_ci_u32_e32 v77, vcc_lo, v2, v82, vcc_lo
	s_clause 0xf
	global_load_b128 v[1:4], v[65:66], off
	global_load_b128 v[5:8], v[65:66], off offset:512
	global_load_b128 v[9:12], v[76:77], off offset:256
	;; [unrolled: 1-line block ×15, first 2 shown]
	v_add_co_u32 v78, vcc_lo, 0x1000, v65
	v_add_co_ci_u32_e32 v79, vcc_lo, 0, v66, vcc_lo
	v_cmp_gt_u32_e32 vcc_lo, 11, v73
	s_clause 0x1
	global_load_b128 v[65:68], v[78:79], off
	global_load_b128 v[69:72], v[78:79], off offset:512
	s_or_b32 s6, s12, 0xc0
	v_cndmask_b32_e32 v80, v80, v73, vcc_lo
	v_add_co_u32 v76, vcc_lo, 0x1000, v76
	v_add_co_ci_u32_e32 v77, vcc_lo, 0, v77, vcc_lo
	s_delay_alu instid0(VALU_DEP_3)
	v_lshlrev_b32_e32 v80, 6, v80
	ds_load_b128 v[85:88], v80
	ds_load_b128 v[89:92], v80 offset:1024
	s_clause 0x1
	global_load_b128 v[93:96], v[76:77], off offset:256
	global_load_b128 v[97:100], v[76:77], off offset:768
	ds_load_b128 v[109:112], v80 offset:2048
	ds_load_b128 v[113:116], v80 offset:3072
	s_ashr_i32 s8, s6, 5
	s_cmp_lt_i32 s6, s17
	s_cselect_b32 s8, s8, s4
	s_delay_alu instid0(SALU_CYCLE_1) | instskip(NEXT) | instid1(SALU_CYCLE_1)
	s_ashr_i32 s9, s8, 31
	s_lshl_b64 s[8:9], s[8:9], 2
	s_delay_alu instid0(SALU_CYCLE_1) | instskip(SKIP_2) | instid1(SALU_CYCLE_1)
	s_add_u32 s8, s7, s8
	s_addc_u32 s9, s13, s9
	s_or_b32 s6, s12, 0xe0
	s_ashr_i32 s15, s6, 5
	s_cmp_lt_i32 s6, s17
	s_cselect_b32 s24, s15, s4
	s_delay_alu instid0(SALU_CYCLE_1) | instskip(NEXT) | instid1(SALU_CYCLE_1)
	s_ashr_i32 s25, s24, 31
	s_lshl_b64 s[24:25], s[24:25], 2
	s_delay_alu instid0(SALU_CYCLE_1) | instskip(SKIP_2) | instid1(SALU_CYCLE_1)
	s_add_u32 s24, s7, s24
	s_addc_u32 s25, s13, s25
	s_add_i32 s6, s12, 0x100
	s_ashr_i32 s15, s6, 5
	s_cmp_lt_i32 s6, s17
	s_cselect_b32 s34, s15, s4
	s_waitcnt vmcnt(18) lgkmcnt(2)
	v_wmma_f32_16x16x16_bf16 v[117:124], v[1:8], v[85:92], v[101:108]
	s_waitcnt vmcnt(16)
	v_wmma_f32_16x16x16_bf16 v[101:108], v[9:16], v[85:92], v[101:108]
	s_clause 0x3
	global_load_b128 v[1:4], v[78:79], off offset:1024
	global_load_b128 v[5:8], v[78:79], off offset:1536
	global_load_b128 v[9:12], v[76:77], off offset:1280
	global_load_b128 v[13:16], v[76:77], off offset:1792
	s_waitcnt vmcnt(18) lgkmcnt(0)
	v_wmma_f32_16x16x16_bf16 v[117:124], v[17:24], v[109:116], v[117:124]
	s_clause 0x1
	global_load_b128 v[17:20], v[78:79], off offset:2048
	global_load_b128 v[21:24], v[78:79], off offset:2560
	s_waitcnt vmcnt(18)
	v_wmma_f32_16x16x16_bf16 v[101:108], v[25:32], v[109:116], v[101:108]
	ds_load_b128 v[25:28], v80 offset:4096
	ds_load_b128 v[29:32], v80 offset:5120
	s_clause 0x5
	global_load_b128 v[109:112], v[76:77], off offset:2304
	global_load_b128 v[113:116], v[76:77], off offset:2816
	;; [unrolled: 1-line block ×6, first 2 shown]
	s_waitcnt vmcnt(22) lgkmcnt(0)
	v_wmma_f32_16x16x16_bf16 v[117:124], v[33:40], v[25:32], v[117:124]
	s_waitcnt vmcnt(20)
	v_wmma_f32_16x16x16_bf16 v[101:108], v[41:48], v[25:32], v[101:108]
	ds_load_b128 v[25:28], v80 offset:6144
	ds_load_b128 v[29:32], v80 offset:7168
	;; [unrolled: 1-line block ×4, first 2 shown]
	s_waitcnt vmcnt(18) lgkmcnt(2)
	v_wmma_f32_16x16x16_bf16 v[117:124], v[49:56], v[25:32], v[117:124]
	s_waitcnt vmcnt(16)
	v_wmma_f32_16x16x16_bf16 v[101:108], v[57:64], v[25:32], v[101:108]
	ds_load_b128 v[25:28], v80 offset:10240
	ds_load_b128 v[29:32], v80 offset:11264
	ds_load_b128 v[141:144], v80 offset:12288
	ds_load_b128 v[145:148], v80 offset:13312
	ds_load_b128 v[149:152], v80 offset:14336
	ds_load_b128 v[153:156], v80 offset:15360
	s_waitcnt vmcnt(14) lgkmcnt(6)
	v_wmma_f32_16x16x16_bf16 v[117:124], v[65:72], v[33:40], v[117:124]
	s_load_b32 s16, s[8:9], 0x0
	s_mul_hi_i32 s9, s35, s5
	s_mul_i32 s8, s35, s5
	s_ashr_i32 s35, s34, 31
	s_waitcnt vmcnt(12)
	v_wmma_f32_16x16x16_bf16 v[101:108], v[93:100], v[33:40], v[101:108]
	s_lshl_b64 s[34:35], s[34:35], 2
	s_delay_alu instid0(SALU_CYCLE_1)
	s_add_u32 s6, s7, s34
	s_addc_u32 s7, s13, s35
	s_add_u32 s4, s10, s2
	s_addc_u32 s19, s11, s3
	s_lshl_b64 s[2:3], s[20:21], 1
	s_clause 0x1
	s_load_b32 s13, s[24:25], 0x0
	s_load_b32 s15, s[6:7], 0x0
	s_lshl_b64 s[6:7], s[22:23], 1
	s_lshl_b64 s[10:11], s[26:27], 1
	;; [unrolled: 1-line block ×5, first 2 shown]
	s_waitcnt lgkmcnt(0)
	s_mul_hi_i32 s25, s16, s5
	s_mul_i32 s24, s16, s5
	s_waitcnt vmcnt(10)
	v_wmma_f32_16x16x16_bf16 v[117:124], v[1:8], v[25:32], v[117:124]
	s_waitcnt vmcnt(8)
	v_wmma_f32_16x16x16_bf16 v[101:108], v[9:16], v[25:32], v[101:108]
	s_waitcnt vmcnt(6)
	s_delay_alu instid0(VALU_DEP_2) | instskip(SKIP_1) | instid1(VALU_DEP_2)
	v_wmma_f32_16x16x16_bf16 v[117:124], v[17:24], v[141:148], v[117:124]
	s_waitcnt vmcnt(4)
	v_wmma_f32_16x16x16_bf16 v[101:108], v[109:116], v[141:148], v[101:108]
	s_waitcnt vmcnt(2)
	s_delay_alu instid0(VALU_DEP_2) | instskip(SKIP_3) | instid1(VALU_DEP_3)
	v_wmma_f32_16x16x16_bf16 v[117:124], v[125:132], v[149:156], v[117:124]
	v_lshlrev_b32_e32 v85, 6, v73
	s_waitcnt vmcnt(0)
	v_wmma_f32_16x16x16_bf16 v[101:108], v[133:140], v[149:156], v[101:108]
	v_mul_f32_e32 v100, s18, v124
	s_delay_alu instid0(VALU_DEP_3) | instskip(SKIP_2) | instid1(VALU_DEP_3)
	v_lshl_or_b32 v41, v74, 10, v85
	v_mul_f32_e32 v99, s18, v118
	v_mul_f32_e32 v97, s18, v117
	v_add_co_u32 v76, s4, s4, v41
	s_delay_alu instid0(VALU_DEP_1) | instskip(NEXT) | instid1(VALU_DEP_2)
	v_add_co_ci_u32_e64 v77, null, s19, 0, s4
	v_add_co_u32 v41, vcc_lo, v76, s2
	s_delay_alu instid0(VALU_DEP_2)
	v_add_co_ci_u32_e32 v42, vcc_lo, s3, v77, vcc_lo
	v_add_co_u32 v33, vcc_lo, v76, s6
	v_add_co_ci_u32_e32 v34, vcc_lo, s7, v77, vcc_lo
	v_add_co_u32 v35, vcc_lo, v76, s10
	;; [unrolled: 2-line block ×5, first 2 shown]
	s_lshl_b64 s[2:3], s[24:25], 1
	v_add_co_ci_u32_e32 v6, vcc_lo, s23, v77, vcc_lo
	s_mul_hi_i32 s7, s13, s5
	s_mul_i32 s6, s13, s5
	v_add_co_u32 v17, vcc_lo, v76, s2
	v_add_co_ci_u32_e32 v18, vcc_lo, s3, v77, vcc_lo
	s_lshl_b64 s[2:3], s[6:7], 1
	s_mul_hi_i32 s7, s15, s5
	s_mul_i32 s6, s15, s5
	v_add_co_u32 v19, vcc_lo, v76, s2
	v_add_co_ci_u32_e32 v20, vcc_lo, s3, v77, vcc_lo
	s_lshl_b64 s[2:3], s[6:7], 1
	s_clause 0x1
	global_load_b128 v[65:68], v[41:42], off
	global_load_b128 v[69:72], v[41:42], off offset:16
	v_add_co_u32 v21, vcc_lo, v76, s2
	v_add_co_ci_u32_e32 v22, vcc_lo, s3, v77, vcc_lo
	s_clause 0xf
	global_load_b128 v[57:60], v[33:34], off
	global_load_b128 v[61:64], v[33:34], off offset:16
	global_load_b128 v[49:52], v[35:36], off
	global_load_b128 v[53:56], v[35:36], off offset:16
	;; [unrolled: 2-line block ×8, first 2 shown]
	v_mbcnt_lo_u32_b32 v77, -1, 0
	s_waitcnt vmcnt(0)
	s_barrier
	buffer_gl0_inv
	v_xor_b32_e32 v78, 16, v77
	s_delay_alu instid0(VALU_DEP_1) | instskip(SKIP_1) | instid1(VALU_DEP_1)
	v_cmp_gt_i32_e32 vcc_lo, 32, v78
	v_dual_cndmask_b32 v77, v77, v78 :: v_dual_and_b32 v76, 0xe0, v0
	v_add_nc_u32_e32 v76, s12, v76
	s_delay_alu instid0(VALU_DEP_1) | instskip(NEXT) | instid1(VALU_DEP_1)
	v_or_b32_e32 v76, v76, v83
	v_or_b32_e32 v78, 2, v76
	;; [unrolled: 1-line block ×4, first 2 shown]
	v_cmp_gt_i32_e32 vcc_lo, s17, v76
	v_or_b32_e32 v86, 8, v76
	v_cmp_gt_i32_e64 s2, s17, v78
	v_or_b32_e32 v87, 10, v76
	v_or_b32_e32 v88, 12, v76
	;; [unrolled: 1-line block ×11, first 2 shown]
	v_cndmask_b32_e32 v76, 0xff7fffff, v97, vcc_lo
	v_cmp_gt_i32_e64 s3, s17, v80
	v_mul_f32_e32 v80, s18, v119
	v_cndmask_b32_e64 v78, 0xff7fffff, v99, s2
	v_mul_f32_e32 v99, s18, v120
	v_cmp_gt_i32_e64 s4, s17, v79
	v_mul_f32_e32 v97, s18, v123
	v_mul_f32_e32 v79, s18, v122
	v_max3_f32 v76, v76, 0xff7fffff, v78
	v_mul_f32_e32 v78, s18, v121
	v_cndmask_b32_e64 v80, 0xff7fffff, v80, s4
	v_cmp_gt_i32_e64 s5, s17, v86
	v_cmp_gt_i32_e64 s6, s17, v87
	v_mul_f32_e32 v86, s18, v107
	v_cndmask_b32_e64 v99, 0xff7fffff, v99, s3
	v_cmp_gt_i32_e64 s7, s17, v89
	v_cndmask_b32_e64 v78, 0xff7fffff, v78, s5
	v_cmp_gt_i32_e64 s8, s17, v88
	v_mul_f32_e32 v89, s18, v101
	v_max3_f32 v76, v76, v80, v99
	v_mul_f32_e32 v80, s18, v108
	v_cndmask_b32_e64 v79, 0xff7fffff, v79, s6
	v_dual_mul_f32 v99, s18, v105 :: v_dual_mul_f32 v88, s18, v102
	v_cndmask_b32_e64 v97, 0xff7fffff, v97, s8
	v_cndmask_b32_e64 v100, 0xff7fffff, v100, s7
	s_delay_alu instid0(VALU_DEP_4) | instskip(SKIP_4) | instid1(VALU_DEP_4)
	v_max3_f32 v76, v76, v78, v79
	v_cmp_gt_i32_e64 s9, s17, v90
	v_cmp_gt_i32_e64 s10, s17, v91
	v_dual_mul_f32 v87, s18, v106 :: v_dual_mul_f32 v78, s18, v104
	v_mul_f32_e32 v79, s18, v103
	v_cndmask_b32_e64 v89, 0xff7fffff, v89, s9
	s_delay_alu instid0(VALU_DEP_4)
	v_cndmask_b32_e64 v88, 0xff7fffff, v88, s10
	v_max3_f32 v76, v76, v97, v100
	v_cmp_gt_i32_e64 s11, s17, v92
	v_cmp_gt_i32_e64 s12, s17, v93
	;; [unrolled: 1-line block ×4, first 2 shown]
	v_max3_f32 v76, v76, v89, v88
	v_cndmask_b32_e64 v79, 0xff7fffff, v79, s11
	v_cndmask_b32_e64 v78, 0xff7fffff, v78, s12
	v_cndmask_b32_e64 v88, 0xff7fffff, v99, s13
	v_cndmask_b32_e64 v87, 0xff7fffff, v87, s15
	v_cmp_gt_i32_e64 s16, s17, v96
	v_cmp_gt_i32_e64 s17, s17, v98
	v_max3_f32 v76, v76, v79, v78
	v_lshlrev_b32_e32 v99, 2, v77
	s_delay_alu instid0(VALU_DEP_4) | instskip(NEXT) | instid1(VALU_DEP_4)
	v_cndmask_b32_e64 v78, 0xff7fffff, v86, s16
	v_cndmask_b32_e64 v79, 0xff7fffff, v80, s17
	s_delay_alu instid0(VALU_DEP_4) | instskip(NEXT) | instid1(VALU_DEP_1)
	v_max3_f32 v76, v76, v88, v87
	v_max3_f32 v76, v76, v78, v79
	ds_bpermute_b32 v77, v99, v76
	s_waitcnt lgkmcnt(0)
	v_max_f32_e32 v77, v77, v77
	s_delay_alu instid0(VALU_DEP_1) | instskip(NEXT) | instid1(VALU_DEP_1)
	v_max_f32_e32 v76, v76, v77
	v_fma_f32 v78, s18, v118, -v76
	v_fma_f32 v77, s18, v117, -v76
	;; [unrolled: 1-line block ×5, first 2 shown]
	v_mul_f32_e32 v78, 0x3fb8aa3b, v78
	v_fma_f32 v87, s18, v123, -v76
	v_fma_f32 v88, s18, v105, -v76
	v_mul_f32_e32 v80, 0x3fb8aa3b, v80
	v_mul_f32_e32 v86, 0x3fb8aa3b, v86
	v_exp_f32_e32 v78, v78
	v_fma_f32 v90, s18, v107, -v76
	v_fma_f32 v100, s18, v108, -v76
	v_exp_f32_e32 v80, v80
	v_exp_f32_e32 v86, v86
	v_mul_f32_e32 v88, 0x3fb8aa3b, v88
	s_delay_alu instid0(VALU_DEP_2) | instskip(NEXT) | instid1(TRANS32_DEP_3)
	v_mul_f32_e32 v100, 0x3fb8aa3b, v100
	v_cndmask_b32_e64 v91, 0, v78, s2
	v_mul_f32_e32 v77, 0x3fb8aa3b, v77
	s_delay_alu instid0(VALU_DEP_4) | instskip(NEXT) | instid1(TRANS32_DEP_3)
	v_exp_f32_e32 v88, v88
	v_cndmask_b32_e64 v95, 0, v80, s3
	v_fma_f32 v80, s18, v101, -v76
	s_delay_alu instid0(TRANS32_DEP_2)
	v_cndmask_b32_e64 v96, 0, v86, s5
	v_exp_f32_e32 v77, v77
	v_mul_f32_e32 v79, 0x3fb8aa3b, v79
	v_fma_f32 v86, s18, v102, -v76
	v_mul_f32_e32 v80, 0x3fb8aa3b, v80
	v_cmp_gt_u32_e64 s2, 16, v75
	v_exp_f32_e32 v100, v100
	s_delay_alu instid0(VALU_DEP_2) | instskip(NEXT) | instid1(TRANS32_DEP_3)
	v_exp_f32_e32 v80, v80
	v_cndmask_b32_e32 v92, 0, v77, vcc_lo
	v_exp_f32_e32 v79, v79
	v_fma_f32 v77, s18, v122, -v76
	s_delay_alu instid0(VALU_DEP_2) | instskip(NEXT) | instid1(VALU_DEP_1)
	v_add_f32_e32 v78, 0, v92
	v_add_f32_e32 v78, v78, v91
	s_waitcnt_depctr 0xfff
	v_cndmask_b32_e64 v93, 0, v79, s4
	v_mul_f32_e32 v87, 0x3fb8aa3b, v87
	v_fma_f32 v79, s18, v124, -v76
	s_delay_alu instid0(VALU_DEP_3) | instskip(SKIP_1) | instid1(VALU_DEP_3)
	v_add_f32_e32 v78, v78, v93
	v_mul_f32_e32 v77, 0x3fb8aa3b, v77
	v_mul_f32_e32 v79, 0x3fb8aa3b, v79
	v_exp_f32_e32 v87, v87
	s_delay_alu instid0(VALU_DEP_3) | instskip(NEXT) | instid1(VALU_DEP_3)
	v_add_f32_e32 v78, v78, v95
	v_exp_f32_e32 v77, v77
	s_delay_alu instid0(VALU_DEP_2) | instskip(NEXT) | instid1(TRANS32_DEP_3)
	v_exp_f32_e32 v79, v79
	v_cndmask_b32_e64 v94, 0, v87, s8
	v_fma_f32 v87, s18, v104, -v76
	s_waitcnt_depctr 0xfff
	v_cndmask_b32_e64 v97, 0, v77, s6
	v_add_f32_e32 v77, v78, v96
	v_fma_f32 v78, s18, v103, -v76
	v_mul_f32_e32 v86, 0x3fb8aa3b, v86
	v_cndmask_b32_e64 v98, 0, v79, s7
	v_mul_f32_e32 v87, 0x3fb8aa3b, v87
	s_delay_alu instid0(VALU_DEP_4) | instskip(NEXT) | instid1(VALU_DEP_4)
	v_dual_add_f32 v77, v77, v97 :: v_dual_mul_f32 v78, 0x3fb8aa3b, v78
	v_exp_f32_e32 v86, v86
	s_delay_alu instid0(VALU_DEP_2) | instskip(NEXT) | instid1(VALU_DEP_1)
	v_exp_f32_e32 v87, v87
	v_add_f32_e32 v79, v77, v94
	s_delay_alu instid0(VALU_DEP_2) | instskip(SKIP_2) | instid1(VALU_DEP_3)
	v_exp_f32_e32 v89, v78
	v_cndmask_b32_e64 v77, 0, v80, s9
	v_fma_f32 v80, s18, v106, -v76
	v_add_f32_e32 v79, v79, v98
	s_delay_alu instid0(TRANS32_DEP_3) | instskip(NEXT) | instid1(VALU_DEP_3)
	v_cndmask_b32_e64 v78, 0, v86, s10
	v_mul_f32_e32 v80, 0x3fb8aa3b, v80
	s_delay_alu instid0(VALU_DEP_3) | instskip(NEXT) | instid1(TRANS32_DEP_1)
	v_add_f32_e32 v86, v79, v77
	v_cndmask_b32_e64 v79, 0, v89, s11
	v_mul_f32_e32 v89, 0x3fb8aa3b, v90
	s_delay_alu instid0(VALU_DEP_4) | instskip(SKIP_2) | instid1(VALU_DEP_3)
	v_exp_f32_e32 v90, v80
	v_cndmask_b32_e64 v80, 0, v87, s12
	v_add_f32_e32 v86, v86, v78
	v_exp_f32_e32 v89, v89
	s_delay_alu instid0(VALU_DEP_1) | instskip(SKIP_1) | instid1(VALU_DEP_2)
	v_add_f32_e32 v87, v86, v79
	v_cndmask_b32_e64 v86, 0, v88, s13
	v_add_f32_e32 v88, v87, v80
	s_delay_alu instid0(TRANS32_DEP_2) | instskip(NEXT) | instid1(VALU_DEP_2)
	v_cndmask_b32_e64 v87, 0, v90, s15
	v_add_f32_e32 v90, v88, v86
	s_waitcnt_depctr 0xfff
	v_cndmask_b32_e64 v88, 0, v89, s16
	v_add_f32_e32 v89, v90, v87
	s_delay_alu instid0(VALU_DEP_1) | instskip(SKIP_1) | instid1(VALU_DEP_1)
	v_add_f32_e32 v90, v89, v88
	v_cndmask_b32_e64 v89, 0, v100, s17
	v_add_f32_e32 v90, v90, v89
	ds_bpermute_b32 v99, v99, v90
	s_and_saveexec_b32 s3, s2
	s_cbranch_execz .LBB740_14
; %bb.13:
	v_mul_u32_u24_e32 v75, 0x44, v74
	s_waitcnt lgkmcnt(0)
	v_add_f32_e32 v90, v90, v99
	s_delay_alu instid0(VALU_DEP_2) | instskip(NEXT) | instid1(VALU_DEP_1)
	v_lshl_add_u32 v75, v73, 2, v75
	v_add_nc_u32_e32 v75, 0x4000, v75
	ds_store_2addr_b32 v75, v76, v90 offset1:136
.LBB740_14:
	s_or_b32 exec_lo, exec_lo, s3
	v_lshlrev_b32_e32 v75, 2, v73
	s_waitcnt lgkmcnt(0)
	s_barrier
	buffer_gl0_inv
	v_cmp_eq_u32_e64 s3, 1, v74
	v_add_nc_u32_e32 v90, 0x4000, v75
	ds_load_2addr_b32 v[99:100], v90 offset1:17
	ds_load_2addr_b32 v[101:102], v90 offset0:34 offset1:51
	ds_load_2addr_b32 v[103:104], v90 offset0:68 offset1:85
	;; [unrolled: 1-line block ×4, first 2 shown]
	s_waitcnt lgkmcnt(4)
	v_max3_f32 v75, v99, 0xff7fffff, v100
	s_waitcnt lgkmcnt(3)
	s_delay_alu instid0(VALU_DEP_1) | instskip(SKIP_1) | instid1(VALU_DEP_1)
	v_max3_f32 v75, v75, v101, v102
	s_waitcnt lgkmcnt(2)
	v_max3_f32 v75, v75, v103, v104
	s_waitcnt lgkmcnt(1)
	s_delay_alu instid0(VALU_DEP_1) | instskip(NEXT) | instid1(VALU_DEP_1)
	v_max3_f32 v75, v75, v105, v106
	v_sub_f32_e32 v109, v100, v75
	v_sub_f32_e32 v76, v99, v75
	ds_load_2addr_b32 v[99:100], v90 offset0:170 offset1:187
	v_sub_f32_e32 v101, v101, v75
	v_dual_mul_f32 v109, 0x3fb8aa3b, v109 :: v_dual_mul_f32 v76, 0x3fb8aa3b, v76
	s_delay_alu instid0(VALU_DEP_2) | instskip(NEXT) | instid1(VALU_DEP_2)
	v_mul_f32_e32 v111, 0x3fb8aa3b, v101
	v_exp_f32_e32 v109, v109
	s_delay_alu instid0(VALU_DEP_2)
	v_exp_f32_e32 v110, v76
	v_sub_f32_e32 v76, v102, v75
	ds_load_2addr_b32 v[101:102], v90 offset0:204 offset1:221
	v_exp_f32_e32 v111, v111
	v_mul_f32_e32 v112, 0x3fb8aa3b, v76
	s_waitcnt lgkmcnt(2)
	v_fma_f32 v76, v110, v107, 0
	v_sub_f32_e32 v103, v103, v75
	s_delay_alu instid0(VALU_DEP_3) | instskip(NEXT) | instid1(VALU_DEP_2)
	v_exp_f32_e32 v112, v112
	v_dual_sub_f32 v107, v104, v75 :: v_dual_fmac_f32 v76, v109, v108
	s_waitcnt lgkmcnt(1)
	s_waitcnt_depctr 0xfff
	v_fmac_f32_e32 v76, v111, v99
	v_mul_f32_e32 v113, 0x3fb8aa3b, v103
	ds_load_2addr_b32 v[103:104], v90 offset0:238 offset1:255
	v_sub_f32_e32 v90, v105, v75
	v_dual_sub_f32 v99, v106, v75 :: v_dual_fmac_f32 v76, v112, v100
	v_mul_f32_e32 v105, 0x3fb8aa3b, v107
	v_exp_f32_e32 v107, v113
	s_delay_alu instid0(VALU_DEP_2)
	v_dual_mul_f32 v90, 0x3fb8aa3b, v90 :: v_dual_mul_f32 v99, 0x3fb8aa3b, v99
	s_waitcnt lgkmcnt(0)
	s_barrier
	buffer_gl0_inv
	v_exp_f32_e32 v90, v90
	v_exp_f32_e32 v99, v99
	v_fmac_f32_e32 v76, v107, v101
	v_exp_f32_e32 v105, v105
	s_waitcnt_depctr 0xfff
	v_fmac_f32_e32 v76, v105, v102
	s_delay_alu instid0(VALU_DEP_1) | instskip(NEXT) | instid1(VALU_DEP_1)
	v_fmac_f32_e32 v76, v90, v103
	v_fmac_f32_e32 v76, v99, v104
	s_delay_alu instid0(VALU_DEP_1) | instskip(NEXT) | instid1(VALU_DEP_1)
	v_add_f32_e32 v100, 0x358637bd, v76
	v_div_scale_f32 v101, null, v100, v100, 1.0
	v_div_scale_f32 v104, vcc_lo, 1.0, v100, 1.0
	s_delay_alu instid0(VALU_DEP_2) | instskip(SKIP_2) | instid1(VALU_DEP_1)
	v_rcp_f32_e32 v102, v101
	s_waitcnt_depctr 0xfff
	v_fma_f32 v103, -v101, v102, 1.0
	v_fmac_f32_e32 v102, v103, v102
	v_cndmask_b32_e64 v103, v110, v109, s3
	v_cmp_eq_u32_e64 s3, 2, v74
	s_delay_alu instid0(VALU_DEP_3) | instskip(NEXT) | instid1(VALU_DEP_2)
	v_mul_f32_e32 v106, v104, v102
	v_cndmask_b32_e64 v103, v103, v111, s3
	v_cmp_eq_u32_e64 s3, 3, v74
	s_delay_alu instid0(VALU_DEP_3) | instskip(NEXT) | instid1(VALU_DEP_2)
	v_fma_f32 v108, -v101, v106, v104
	v_cndmask_b32_e64 v103, v103, v112, s3
	v_cmp_eq_u32_e64 s3, 4, v74
	s_delay_alu instid0(VALU_DEP_3) | instskip(NEXT) | instid1(VALU_DEP_2)
	v_fmac_f32_e32 v106, v108, v102
	v_cndmask_b32_e64 v103, v103, v107, s3
	s_delay_alu instid0(VALU_DEP_2) | instskip(SKIP_1) | instid1(VALU_DEP_2)
	v_fma_f32 v101, -v101, v106, v104
	v_cmp_eq_u32_e64 s3, 5, v74
	v_div_fmas_f32 v101, v101, v102, v106
	s_delay_alu instid0(VALU_DEP_2) | instskip(SKIP_2) | instid1(VALU_DEP_3)
	v_cndmask_b32_e64 v103, v103, v105, s3
	v_cmp_eq_u32_e32 vcc_lo, 6, v74
	s_mov_b32 s3, exec_lo
	v_div_fixup_f32 v100, v101, v100, 1.0
	s_delay_alu instid0(VALU_DEP_3) | instskip(SKIP_1) | instid1(VALU_DEP_2)
	v_cndmask_b32_e32 v90, v103, v90, vcc_lo
	v_cmp_eq_u32_e32 vcc_lo, 7, v74
	v_cndmask_b32_e32 v90, v90, v99, vcc_lo
	s_delay_alu instid0(VALU_DEP_1) | instskip(NEXT) | instid1(VALU_DEP_1)
	v_mul_f32_e32 v90, v90, v100
	v_mul_f32_e32 v100, v90, v92
	;; [unrolled: 1-line block ×6, first 2 shown]
	v_and_b32_e32 v101, 0x7f800000, v100
	v_mul_f32_e32 v99, v90, v95
	v_mul_f32_e32 v95, v90, v91
	;; [unrolled: 1-line block ×3, first 2 shown]
                                        ; implicit-def: $vgpr91
	s_delay_alu instid0(VALU_DEP_4)
	v_cmpx_ne_u32_e32 0x7f800000, v101
	s_xor_b32 s3, exec_lo, s3
; %bb.15:
	v_bfe_u32 v91, v100, 16, 1
	s_delay_alu instid0(VALU_DEP_1)
	v_add3_u32 v91, v100, v91, 0x7fff
                                        ; implicit-def: $vgpr100
; %bb.16:
	s_and_not1_saveexec_b32 s3, s3
; %bb.17:
	v_and_b32_e32 v91, 0xffff, v100
	v_or_b32_e32 v93, 0x10000, v100
	s_delay_alu instid0(VALU_DEP_2) | instskip(NEXT) | instid1(VALU_DEP_2)
	v_cmp_eq_u32_e32 vcc_lo, 0, v91
	v_cndmask_b32_e32 v91, v93, v100, vcc_lo
; %bb.18:
	s_or_b32 exec_lo, exec_lo, s3
	v_and_b32_e32 v93, 0x7f800000, v95
	s_delay_alu instid0(VALU_DEP_1) | instskip(SKIP_1) | instid1(SALU_CYCLE_1)
	v_cmp_ne_u32_e32 vcc_lo, 0x7f800000, v93
                                        ; implicit-def: $vgpr93
	s_and_saveexec_b32 s3, vcc_lo
	s_xor_b32 s3, exec_lo, s3
; %bb.19:
	v_bfe_u32 v93, v95, 16, 1
	s_delay_alu instid0(VALU_DEP_1)
	v_add3_u32 v93, v95, v93, 0x7fff
                                        ; implicit-def: $vgpr95
; %bb.20:
	s_and_not1_saveexec_b32 s3, s3
; %bb.21:
	v_and_b32_e32 v93, 0xffff, v95
	v_or_b32_e32 v100, 0x10000, v95
	s_delay_alu instid0(VALU_DEP_2) | instskip(NEXT) | instid1(VALU_DEP_2)
	v_cmp_eq_u32_e32 vcc_lo, 0, v93
	v_cndmask_b32_e32 v93, v100, v95, vcc_lo
; %bb.22:
	s_or_b32 exec_lo, exec_lo, s3
	v_and_b32_e32 v95, 0x7f800000, v96
	s_delay_alu instid0(VALU_DEP_1) | instskip(SKIP_1) | instid1(SALU_CYCLE_1)
	v_cmp_ne_u32_e32 vcc_lo, 0x7f800000, v95
                                        ; implicit-def: $vgpr95
	s_and_saveexec_b32 s3, vcc_lo
	s_xor_b32 s3, exec_lo, s3
; %bb.23:
	v_bfe_u32 v95, v96, 16, 1
	s_delay_alu instid0(VALU_DEP_1)
	v_add3_u32 v95, v96, v95, 0x7fff
                                        ; implicit-def: $vgpr96
; %bb.24:
	s_and_not1_saveexec_b32 s3, s3
; %bb.25:
	v_and_b32_e32 v95, 0xffff, v96
	v_or_b32_e32 v100, 0x10000, v96
	s_delay_alu instid0(VALU_DEP_2) | instskip(NEXT) | instid1(VALU_DEP_2)
	v_cmp_eq_u32_e32 vcc_lo, 0, v95
	v_cndmask_b32_e32 v95, v100, v96, vcc_lo
; %bb.26:
	s_or_b32 exec_lo, exec_lo, s3
	v_and_b32_e32 v96, 0x7f800000, v99
	s_delay_alu instid0(VALU_DEP_1) | instskip(SKIP_1) | instid1(SALU_CYCLE_1)
	v_cmp_ne_u32_e32 vcc_lo, 0x7f800000, v96
                                        ; implicit-def: $vgpr96
	s_and_saveexec_b32 s3, vcc_lo
	s_xor_b32 s3, exec_lo, s3
; %bb.27:
	v_bfe_u32 v96, v99, 16, 1
	s_delay_alu instid0(VALU_DEP_1)
	v_add3_u32 v96, v99, v96, 0x7fff
                                        ; implicit-def: $vgpr99
; %bb.28:
	s_and_not1_saveexec_b32 s3, s3
; %bb.29:
	v_and_b32_e32 v96, 0xffff, v99
	v_or_b32_e32 v100, 0x10000, v99
	s_delay_alu instid0(VALU_DEP_2) | instskip(NEXT) | instid1(VALU_DEP_2)
	v_cmp_eq_u32_e32 vcc_lo, 0, v96
	v_cndmask_b32_e32 v96, v100, v99, vcc_lo
; %bb.30:
	s_or_b32 exec_lo, exec_lo, s3
	v_and_b32_e32 v99, 0x7f800000, v98
	s_delay_alu instid0(VALU_DEP_1) | instskip(SKIP_1) | instid1(SALU_CYCLE_1)
	v_cmp_ne_u32_e32 vcc_lo, 0x7f800000, v99
                                        ; implicit-def: $vgpr99
	s_and_saveexec_b32 s3, vcc_lo
	s_xor_b32 s3, exec_lo, s3
; %bb.31:
	v_bfe_u32 v99, v98, 16, 1
	s_delay_alu instid0(VALU_DEP_1)
	v_add3_u32 v99, v98, v99, 0x7fff
                                        ; implicit-def: $vgpr98
; %bb.32:
	s_and_not1_saveexec_b32 s3, s3
; %bb.33:
	v_and_b32_e32 v99, 0xffff, v98
	v_or_b32_e32 v100, 0x10000, v98
	s_delay_alu instid0(VALU_DEP_2) | instskip(NEXT) | instid1(VALU_DEP_2)
	v_cmp_eq_u32_e32 vcc_lo, 0, v99
	v_cndmask_b32_e32 v99, v100, v98, vcc_lo
; %bb.34:
	s_or_b32 exec_lo, exec_lo, s3
	v_and_b32_e32 v98, 0x7f800000, v97
	s_delay_alu instid0(VALU_DEP_1) | instskip(SKIP_1) | instid1(SALU_CYCLE_1)
	v_cmp_ne_u32_e32 vcc_lo, 0x7f800000, v98
                                        ; implicit-def: $vgpr98
	s_and_saveexec_b32 s3, vcc_lo
	s_xor_b32 s3, exec_lo, s3
; %bb.35:
	v_bfe_u32 v98, v97, 16, 1
	s_delay_alu instid0(VALU_DEP_1)
	v_add3_u32 v98, v97, v98, 0x7fff
                                        ; implicit-def: $vgpr97
; %bb.36:
	s_and_not1_saveexec_b32 s3, s3
; %bb.37:
	v_and_b32_e32 v98, 0xffff, v97
	v_or_b32_e32 v100, 0x10000, v97
	s_delay_alu instid0(VALU_DEP_2) | instskip(NEXT) | instid1(VALU_DEP_2)
	v_cmp_eq_u32_e32 vcc_lo, 0, v98
	v_cndmask_b32_e32 v98, v100, v97, vcc_lo
; %bb.38:
	s_or_b32 exec_lo, exec_lo, s3
	v_and_b32_e32 v97, 0x7f800000, v94
	s_delay_alu instid0(VALU_DEP_1) | instskip(SKIP_1) | instid1(SALU_CYCLE_1)
	v_cmp_ne_u32_e32 vcc_lo, 0x7f800000, v97
                                        ; implicit-def: $vgpr97
	s_and_saveexec_b32 s3, vcc_lo
	s_xor_b32 s3, exec_lo, s3
; %bb.39:
	v_bfe_u32 v97, v94, 16, 1
	s_delay_alu instid0(VALU_DEP_1)
	v_add3_u32 v97, v94, v97, 0x7fff
                                        ; implicit-def: $vgpr94
; %bb.40:
	s_and_not1_saveexec_b32 s3, s3
; %bb.41:
	v_and_b32_e32 v97, 0xffff, v94
	v_or_b32_e32 v100, 0x10000, v94
	s_delay_alu instid0(VALU_DEP_2) | instskip(NEXT) | instid1(VALU_DEP_2)
	v_cmp_eq_u32_e32 vcc_lo, 0, v97
	v_cndmask_b32_e32 v97, v100, v94, vcc_lo
; %bb.42:
	s_or_b32 exec_lo, exec_lo, s3
	v_and_b32_e32 v94, 0x7f800000, v92
	s_delay_alu instid0(VALU_DEP_1) | instskip(SKIP_1) | instid1(SALU_CYCLE_1)
	v_cmp_ne_u32_e32 vcc_lo, 0x7f800000, v94
                                        ; implicit-def: $vgpr94
	s_and_saveexec_b32 s3, vcc_lo
	s_xor_b32 s3, exec_lo, s3
; %bb.43:
	v_bfe_u32 v94, v92, 16, 1
	s_delay_alu instid0(VALU_DEP_1)
	v_add3_u32 v94, v92, v94, 0x7fff
                                        ; implicit-def: $vgpr92
; %bb.44:
	s_and_not1_saveexec_b32 s3, s3
; %bb.45:
	v_and_b32_e32 v94, 0xffff, v92
	v_or_b32_e32 v100, 0x10000, v92
	s_delay_alu instid0(VALU_DEP_2) | instskip(NEXT) | instid1(VALU_DEP_2)
	v_cmp_eq_u32_e32 vcc_lo, 0, v94
	v_cndmask_b32_e32 v94, v100, v92, vcc_lo
; %bb.46:
	s_or_b32 exec_lo, exec_lo, s3
	s_load_b64 s[34:35], s[0:1], 0x94
	v_lshlrev_b32_e32 v92, 4, v83
	s_delay_alu instid0(VALU_DEP_2)
	v_perm_b32 v100, v94, v97, 0x7060302
	v_dual_mul_f32 v89, v90, v89 :: v_dual_lshlrev_b32 v94, 11, v74
	v_perm_b32 v97, v93, v91, 0x7060302
	v_mul_f32_e32 v93, v90, v77
	v_perm_b32 v99, v98, v99, 0x7060302
	v_perm_b32 v98, v96, v95, 0x7060302
	v_or3_b32 v77, v92, v94, v85
	v_mul_f32_e32 v88, v90, v88
	v_dual_mul_f32 v87, v90, v87 :: v_dual_and_b32 v94, 0x7f800000, v93
	v_mul_f32_e32 v86, v90, v86
	v_mul_f32_e32 v91, v90, v80
	;; [unrolled: 1-line block ×4, first 2 shown]
	s_mov_b32 s3, exec_lo
	ds_store_b128 v77, v[97:100]
                                        ; implicit-def: $vgpr78
	v_cmpx_ne_u32_e32 0x7f800000, v94
	s_xor_b32 s3, exec_lo, s3
; %bb.47:
	v_bfe_u32 v78, v93, 16, 1
	s_delay_alu instid0(VALU_DEP_1)
	v_add3_u32 v78, v93, v78, 0x7fff
                                        ; implicit-def: $vgpr93
; %bb.48:
	s_and_not1_saveexec_b32 s3, s3
; %bb.49:
	v_and_b32_e32 v78, 0xffff, v93
	v_or_b32_e32 v79, 0x10000, v93
	s_delay_alu instid0(VALU_DEP_2) | instskip(NEXT) | instid1(VALU_DEP_2)
	v_cmp_eq_u32_e32 vcc_lo, 0, v78
	v_cndmask_b32_e32 v78, v79, v93, vcc_lo
; %bb.50:
	s_or_b32 exec_lo, exec_lo, s3
	v_and_b32_e32 v79, 0x7f800000, v80
	s_delay_alu instid0(VALU_DEP_1) | instskip(SKIP_1) | instid1(SALU_CYCLE_1)
	v_cmp_ne_u32_e32 vcc_lo, 0x7f800000, v79
                                        ; implicit-def: $vgpr79
	s_and_saveexec_b32 s3, vcc_lo
	s_xor_b32 s3, exec_lo, s3
; %bb.51:
	v_bfe_u32 v79, v80, 16, 1
	s_delay_alu instid0(VALU_DEP_1)
	v_add3_u32 v79, v80, v79, 0x7fff
                                        ; implicit-def: $vgpr80
; %bb.52:
	s_and_not1_saveexec_b32 s3, s3
; %bb.53:
	v_and_b32_e32 v79, 0xffff, v80
	v_or_b32_e32 v90, 0x10000, v80
	s_delay_alu instid0(VALU_DEP_2) | instskip(NEXT) | instid1(VALU_DEP_2)
	v_cmp_eq_u32_e32 vcc_lo, 0, v79
	v_cndmask_b32_e32 v79, v90, v80, vcc_lo
; %bb.54:
	s_or_b32 exec_lo, exec_lo, s3
	v_and_b32_e32 v80, 0x7f800000, v92
	s_delay_alu instid0(VALU_DEP_1) | instskip(SKIP_1) | instid1(SALU_CYCLE_1)
	v_cmp_ne_u32_e32 vcc_lo, 0x7f800000, v80
                                        ; implicit-def: $vgpr80
	s_and_saveexec_b32 s3, vcc_lo
	s_xor_b32 s3, exec_lo, s3
; %bb.55:
	v_bfe_u32 v80, v92, 16, 1
	s_delay_alu instid0(VALU_DEP_1)
	v_add3_u32 v80, v92, v80, 0x7fff
                                        ; implicit-def: $vgpr92
; %bb.56:
	s_and_not1_saveexec_b32 s3, s3
; %bb.57:
	v_and_b32_e32 v80, 0xffff, v92
	v_or_b32_e32 v90, 0x10000, v92
	s_delay_alu instid0(VALU_DEP_2) | instskip(NEXT) | instid1(VALU_DEP_2)
	v_cmp_eq_u32_e32 vcc_lo, 0, v80
	v_cndmask_b32_e32 v80, v90, v92, vcc_lo
; %bb.58:
	s_or_b32 exec_lo, exec_lo, s3
	v_and_b32_e32 v90, 0x7f800000, v91
	s_delay_alu instid0(VALU_DEP_1) | instskip(SKIP_1) | instid1(SALU_CYCLE_1)
	v_cmp_ne_u32_e32 vcc_lo, 0x7f800000, v90
                                        ; implicit-def: $vgpr90
	s_and_saveexec_b32 s3, vcc_lo
	s_xor_b32 s3, exec_lo, s3
; %bb.59:
	v_bfe_u32 v90, v91, 16, 1
	s_delay_alu instid0(VALU_DEP_1)
	v_add3_u32 v90, v91, v90, 0x7fff
                                        ; implicit-def: $vgpr91
; %bb.60:
	s_and_not1_saveexec_b32 s3, s3
; %bb.61:
	v_and_b32_e32 v90, 0xffff, v91
	v_or_b32_e32 v92, 0x10000, v91
	s_delay_alu instid0(VALU_DEP_2) | instskip(NEXT) | instid1(VALU_DEP_2)
	v_cmp_eq_u32_e32 vcc_lo, 0, v90
	v_cndmask_b32_e32 v90, v92, v91, vcc_lo
; %bb.62:
	s_or_b32 exec_lo, exec_lo, s3
	v_and_b32_e32 v91, 0x7f800000, v86
	s_delay_alu instid0(VALU_DEP_1) | instskip(SKIP_1) | instid1(SALU_CYCLE_1)
	v_cmp_ne_u32_e32 vcc_lo, 0x7f800000, v91
                                        ; implicit-def: $vgpr91
	s_and_saveexec_b32 s3, vcc_lo
	s_xor_b32 s3, exec_lo, s3
; %bb.63:
	v_bfe_u32 v91, v86, 16, 1
	s_delay_alu instid0(VALU_DEP_1)
	v_add3_u32 v91, v86, v91, 0x7fff
                                        ; implicit-def: $vgpr86
; %bb.64:
	s_and_not1_saveexec_b32 s3, s3
; %bb.65:
	v_and_b32_e32 v91, 0xffff, v86
	v_or_b32_e32 v92, 0x10000, v86
	s_delay_alu instid0(VALU_DEP_2) | instskip(NEXT) | instid1(VALU_DEP_2)
	v_cmp_eq_u32_e32 vcc_lo, 0, v91
	v_cndmask_b32_e32 v91, v92, v86, vcc_lo
; %bb.66:
	s_or_b32 exec_lo, exec_lo, s3
	v_and_b32_e32 v86, 0x7f800000, v87
	s_delay_alu instid0(VALU_DEP_1) | instskip(SKIP_1) | instid1(SALU_CYCLE_1)
	v_cmp_ne_u32_e32 vcc_lo, 0x7f800000, v86
                                        ; implicit-def: $vgpr86
	s_and_saveexec_b32 s3, vcc_lo
	s_xor_b32 s3, exec_lo, s3
; %bb.67:
	v_bfe_u32 v86, v87, 16, 1
	s_delay_alu instid0(VALU_DEP_1)
	v_add3_u32 v86, v87, v86, 0x7fff
                                        ; implicit-def: $vgpr87
; %bb.68:
	s_and_not1_saveexec_b32 s3, s3
; %bb.69:
	v_and_b32_e32 v86, 0xffff, v87
	v_or_b32_e32 v92, 0x10000, v87
	s_delay_alu instid0(VALU_DEP_2) | instskip(NEXT) | instid1(VALU_DEP_2)
	v_cmp_eq_u32_e32 vcc_lo, 0, v86
	v_cndmask_b32_e32 v86, v92, v87, vcc_lo
; %bb.70:
	s_or_b32 exec_lo, exec_lo, s3
	v_and_b32_e32 v87, 0x7f800000, v88
	s_delay_alu instid0(VALU_DEP_1) | instskip(SKIP_1) | instid1(SALU_CYCLE_1)
	v_cmp_ne_u32_e32 vcc_lo, 0x7f800000, v87
                                        ; implicit-def: $vgpr87
	s_and_saveexec_b32 s3, vcc_lo
	s_xor_b32 s3, exec_lo, s3
; %bb.71:
	v_bfe_u32 v87, v88, 16, 1
	s_delay_alu instid0(VALU_DEP_1)
	v_add3_u32 v87, v88, v87, 0x7fff
                                        ; implicit-def: $vgpr88
; %bb.72:
	s_and_not1_saveexec_b32 s3, s3
; %bb.73:
	v_and_b32_e32 v87, 0xffff, v88
	v_or_b32_e32 v92, 0x10000, v88
	s_delay_alu instid0(VALU_DEP_2) | instskip(NEXT) | instid1(VALU_DEP_2)
	v_cmp_eq_u32_e32 vcc_lo, 0, v87
	v_cndmask_b32_e32 v87, v92, v88, vcc_lo
; %bb.74:
	s_or_b32 exec_lo, exec_lo, s3
	v_and_b32_e32 v88, 0x7f800000, v89
	s_delay_alu instid0(VALU_DEP_1) | instskip(SKIP_1) | instid1(SALU_CYCLE_1)
	v_cmp_ne_u32_e32 vcc_lo, 0x7f800000, v88
                                        ; implicit-def: $vgpr88
	s_and_saveexec_b32 s3, vcc_lo
	s_xor_b32 s3, exec_lo, s3
; %bb.75:
	v_bfe_u32 v88, v89, 16, 1
	s_delay_alu instid0(VALU_DEP_1)
	v_add3_u32 v88, v89, v88, 0x7fff
                                        ; implicit-def: $vgpr89
; %bb.76:
	s_and_not1_saveexec_b32 s3, s3
; %bb.77:
	v_and_b32_e32 v88, 0xffff, v89
	v_or_b32_e32 v92, 0x10000, v89
	s_delay_alu instid0(VALU_DEP_2) | instskip(NEXT) | instid1(VALU_DEP_2)
	v_cmp_eq_u32_e32 vcc_lo, 0, v88
	v_cndmask_b32_e32 v88, v92, v89, vcc_lo
; %bb.78:
	s_or_b32 exec_lo, exec_lo, s3
	s_delay_alu instid0(VALU_DEP_1)
	v_perm_b32 v89, v88, v87, 0x7060302
	v_perm_b32 v88, v86, v91, 0x7060302
	;; [unrolled: 1-line block ×4, first 2 shown]
	v_lshl_or_b32 v90, v74, 11, v85
	ds_store_b128 v77, v[86:89] offset:1024
	s_waitcnt lgkmcnt(0)
	s_barrier
	buffer_gl0_inv
	ds_load_b128 v[91:94], v90
	ds_load_b128 v[95:98], v90 offset:16
	v_lshlrev_b32_e32 v87, 2, v83
	s_delay_alu instid0(VALU_DEP_1)
	v_or_b32_e32 v88, 1, v87
	v_cmp_eq_u32_e32 vcc_lo, 1, v87
	v_cmp_eq_u32_e64 s4, 2, v87
	v_cmp_eq_u32_e64 s7, 3, v87
	;; [unrolled: 1-line block ×6, first 2 shown]
	v_or_b32_e32 v86, 2, v87
	v_cmp_eq_u32_e64 s10, 5, v87
	v_cmp_eq_u32_e64 s11, 4, v88
	;; [unrolled: 1-line block ×4, first 2 shown]
	s_waitcnt lgkmcnt(1)
	v_lshrrev_b32_e32 v74, 16, v91
	s_waitcnt lgkmcnt(0)
	v_lshrrev_b32_e32 v103, 16, v95
	v_lshrrev_b32_e32 v80, 16, v94
	;; [unrolled: 1-line block ×4, first 2 shown]
	v_cndmask_b32_e32 v89, v91, v74, vcc_lo
	v_cndmask_b32_e32 v99, v95, v103, vcc_lo
	v_cndmask_b32_e64 v100, v91, v74, s3
	v_lshrrev_b32_e32 v79, 16, v93
	v_lshrrev_b32_e32 v108, 16, v97
	v_cndmask_b32_e64 v89, v89, v92, s4
	v_cndmask_b32_e64 v99, v99, v96, s4
	;; [unrolled: 1-line block ×4, first 2 shown]
	v_cmp_eq_u32_e64 s5, 1, v86
	v_cndmask_b32_e64 v89, v89, v78, s7
	v_cndmask_b32_e64 v99, v99, v107, s7
	;; [unrolled: 1-line block ×4, first 2 shown]
	v_lshrrev_b32_e32 v109, 16, v98
	v_cndmask_b32_e64 v89, v89, v93, s9
	v_cndmask_b32_e64 v99, v99, v97, s9
	;; [unrolled: 1-line block ×8, first 2 shown]
	v_cmp_eq_u32_e64 s15, 7, v87
	v_cmp_eq_u32_e64 s16, 6, v88
	v_cndmask_b32_e64 v89, v89, v94, s12
	v_cndmask_b32_e64 v99, v99, v98, s12
	v_cmp_eq_u32_e64 s17, 2, v86
	v_cndmask_b32_e64 v101, v101, v97, s11
	v_cndmask_b32_e64 v100, v100, v94, s16
	;; [unrolled: 1-line block ×6, first 2 shown]
	v_cmp_eq_u32_e64 s18, 7, v88
	v_cmp_eq_u32_e64 s19, 3, v86
	;; [unrolled: 1-line block ×4, first 2 shown]
	v_cndmask_b32_e64 v99, v99, v96, s17
	v_cndmask_b32_e64 v112, v100, v80, s18
	;; [unrolled: 1-line block ×4, first 2 shown]
	v_or_b32_e32 v89, 3, v87
	v_cndmask_b32_e64 v105, v99, v107, s19
	v_cmp_eq_u32_e64 s24, 6, v86
	v_cndmask_b32_e64 v113, v100, v98, s16
	v_cndmask_b32_e64 v104, v101, v93, s20
	ds_load_b128 v[99:102], v90 offset:1024
	v_cmp_eq_u32_e64 s21, 1, v89
	v_cmp_eq_u32_e64 s23, 2, v89
	;; [unrolled: 1-line block ×3, first 2 shown]
	v_cndmask_b32_e64 v114, v104, v79, s22
	v_cmp_eq_u32_e64 s26, 4, v89
	v_cndmask_b32_e64 v74, v91, v74, s21
	v_cndmask_b32_e64 v91, v105, v97, s20
	;; [unrolled: 1-line block ×3, first 2 shown]
	ds_load_b128 v[103:106], v90 offset:1040
	v_cmp_eq_u32_e64 s28, 5, v89
	v_cndmask_b32_e64 v74, v74, v92, s23
	v_cndmask_b32_e64 v91, v91, v108, s22
	;; [unrolled: 1-line block ×3, first 2 shown]
	v_cmp_eq_u32_e64 s29, 6, v89
	v_cndmask_b32_e64 v95, v113, v109, s18
	v_cndmask_b32_e64 v74, v74, v78, s25
	;; [unrolled: 1-line block ×5, first 2 shown]
	s_waitcnt lgkmcnt(1)
	v_lshrrev_b32_e32 v96, 16, v99
	v_cndmask_b32_e64 v74, v74, v93, s26
	v_lshrrev_b32_e32 v107, 16, v100
	v_cndmask_b32_e64 v92, v92, v97, s26
	v_cmp_eq_u32_e64 s27, 7, v86
	v_cndmask_b32_e32 v93, v99, v96, vcc_lo
	v_cndmask_b32_e64 v74, v74, v79, s28
	s_delay_alu instid0(VALU_DEP_4)
	v_cndmask_b32_e64 v79, v92, v108, s28
	s_waitcnt lgkmcnt(0)
	v_lshrrev_b32_e32 v97, 16, v103
	v_cndmask_b32_e64 v92, v93, v100, s4
	v_cndmask_b32_e64 v93, v99, v96, s3
	;; [unrolled: 1-line block ×4, first 2 shown]
	v_cndmask_b32_e32 v108, v103, v97, vcc_lo
	v_cndmask_b32_e64 v92, v92, v107, s7
	v_cndmask_b32_e64 v93, v93, v100, s6
	v_lshrrev_b32_e32 v98, 16, v104
	v_cmp_eq_u32_e32 vcc_lo, 7, v89
	v_cndmask_b32_e64 v94, v108, v104, s4
	v_cndmask_b32_e64 v92, v92, v101, s9
	v_lshrrev_b32_e32 v108, 16, v101
	v_cndmask_b32_e64 v93, v93, v107, s8
	v_cndmask_b32_e32 v74, v74, v80, vcc_lo
	v_cndmask_b32_e64 v94, v94, v98, s7
	v_cndmask_b32_e32 v79, v79, v109, vcc_lo
	v_cndmask_b32_e64 v92, v92, v108, s10
	v_cndmask_b32_e64 v78, v78, v80, s27
	;; [unrolled: 1-line block ×4, first 2 shown]
	v_perm_b32 v94, v79, v74, 0x5040100
	v_cndmask_b32_e64 v79, v92, v102, s12
	v_perm_b32 v92, v95, v112, 0x5040100
	v_cndmask_b32_e64 v95, v99, v96, s5
	v_cndmask_b32_e64 v96, v99, v96, s21
	;; [unrolled: 1-line block ×16, first 2 shown]
	v_lshrrev_b32_e32 v109, 16, v105
	v_cndmask_b32_e64 v95, v95, v101, s20
	v_cndmask_b32_e64 v96, v96, v101, s26
	;; [unrolled: 1-line block ×6, first 2 shown]
	v_lshrrev_b32_e32 v80, 16, v102
	v_cndmask_b32_e64 v113, v93, v109, s10
	v_cndmask_b32_e64 v95, v95, v108, s22
	;; [unrolled: 1-line block ×6, first 2 shown]
	v_perm_b32 v93, v91, v78, 0x5040100
	v_cndmask_b32_e64 v74, v74, v102, s16
	v_cndmask_b32_e64 v78, v79, v80, s15
	;; [unrolled: 1-line block ×3, first 2 shown]
	v_lshrrev_b32_e32 v91, 16, v106
	v_cndmask_b32_e64 v95, v95, v102, s24
	v_cndmask_b32_e64 v96, v96, v102, s29
	;; [unrolled: 1-line block ×7, first 2 shown]
	v_cndmask_b32_e32 v80, v96, v80, vcc_lo
	v_cndmask_b32_e32 v96, v98, v91, vcc_lo
	v_cndmask_b32_e64 v99, v99, v91, s27
	v_cndmask_b32_e64 v100, v97, v91, s18
	;; [unrolled: 1-line block ×3, first 2 shown]
	v_perm_b32 v91, v111, v110, 0x5040100
	v_perm_b32 v98, v96, v80, 0x5040100
	;; [unrolled: 1-line block ×5, first 2 shown]
	s_mul_i32 s8, s35, 11
	s_mov_b32 s3, exec_lo
	ds_store_b128 v77, v[91:94]
	ds_store_b128 v77, v[95:98] offset:1024
	v_cmpx_gt_u32_e32 11, v0
	s_cbranch_execz .LBB740_80
; %bb.79:
	s_mul_i32 s4, s8, s30
	s_delay_alu instid0(SALU_CYCLE_1) | instskip(SKIP_1) | instid1(VALU_DEP_1)
	v_add3_u32 v77, s4, s31, v73
	s_load_b128 s[4:7], s[0:1], 0x58
	v_mad_u64_u32 v[73:74], null, v77, s34, s[14:15]
	s_delay_alu instid0(VALU_DEP_1) | instskip(NEXT) | instid1(VALU_DEP_1)
	v_ashrrev_i32_e32 v74, 31, v73
	v_lshlrev_b64 v[73:74], 2, v[73:74]
	s_waitcnt lgkmcnt(0)
	s_delay_alu instid0(VALU_DEP_1) | instskip(NEXT) | instid1(VALU_DEP_2)
	v_add_co_u32 v77, vcc_lo, s6, v73
	v_add_co_ci_u32_e32 v78, vcc_lo, s7, v74, vcc_lo
	v_add_co_u32 v73, vcc_lo, s4, v73
	v_add_co_ci_u32_e32 v74, vcc_lo, s5, v74, vcc_lo
	global_store_b32 v[77:78], v75, off
	global_store_b32 v[73:74], v76, off
.LBB740_80:
	s_or_b32 exec_lo, exec_lo, s3
	s_waitcnt lgkmcnt(0)
	s_waitcnt_vscnt null, 0x0
	s_barrier
	buffer_gl0_inv
	ds_load_b128 v[91:94], v85
	ds_load_b128 v[95:98], v85 offset:16
	ds_load_b128 v[103:106], v85 offset:1040
	;; [unrolled: 1-line block ×3, first 2 shown]
	v_mov_b32_e32 v73, 0
	ds_load_b128 v[111:114], v85 offset:2064
	ds_load_b128 v[107:110], v85 offset:2048
	;; [unrolled: 1-line block ×6, first 2 shown]
	v_mov_b32_e32 v74, v73
	v_mov_b32_e32 v75, v73
	;; [unrolled: 1-line block ×7, first 2 shown]
	s_waitcnt lgkmcnt(8)
	s_delay_alu instid0(VALU_DEP_1)
	v_wmma_f32_16x16x16_bf16 v[73:80], v[65:72], v[91:98], v[73:80]
	ds_load_b128 v[69:72], v85 offset:5136
	ds_load_b128 v[65:68], v85 offset:5120
	;; [unrolled: 1-line block ×4, first 2 shown]
	s_waitcnt lgkmcnt(10)
	v_wmma_f32_16x16x16_bf16 v[73:80], v[57:64], v[99:106], v[73:80]
	s_waitcnt lgkmcnt(8)
	s_delay_alu instid0(VALU_DEP_1)
	v_wmma_f32_16x16x16_bf16 v[73:80], v[57:64], v[107:114], v[73:80]
	ds_load_b128 v[61:64], v85 offset:7184
	ds_load_b128 v[57:60], v85 offset:7168
	;; [unrolled: 1-line block ×4, first 2 shown]
	s_waitcnt lgkmcnt(10)
	v_wmma_f32_16x16x16_bf16 v[73:80], v[49:56], v[115:122], v[73:80]
	s_waitcnt lgkmcnt(8)
	s_delay_alu instid0(VALU_DEP_1)
	v_wmma_f32_16x16x16_bf16 v[73:80], v[49:56], v[123:130], v[73:80]
	ds_load_b128 v[53:56], v85 offset:9232
	ds_load_b128 v[49:52], v85 offset:9216
	s_waitcnt lgkmcnt(8)
	v_wmma_f32_16x16x16_bf16 v[73:80], v[41:48], v[65:72], v[73:80]
	ds_load_b128 v[69:72], v85 offset:10256
	ds_load_b128 v[65:68], v85 offset:10240
	s_waitcnt lgkmcnt(8)
	;; [unrolled: 4-line block ×3, first 2 shown]
	v_wmma_f32_16x16x16_bf16 v[73:80], v[9:16], v[57:64], v[73:80]
	s_waitcnt lgkmcnt(6)
	s_delay_alu instid0(VALU_DEP_1)
	v_wmma_f32_16x16x16_bf16 v[73:80], v[9:16], v[99:106], v[73:80]
	ds_load_b128 v[13:16], v85 offset:12304
	ds_load_b128 v[9:12], v85 offset:12288
	s_waitcnt lgkmcnt(6)
	v_wmma_f32_16x16x16_bf16 v[73:80], v[1:8], v[49:56], v[73:80]
	ds_load_b128 v[53:56], v85 offset:13328
	ds_load_b128 v[49:52], v85 offset:13312
	s_waitcnt lgkmcnt(6)
	v_wmma_f32_16x16x16_bf16 v[73:80], v[1:8], v[65:72], v[73:80]
	ds_load_b128 v[5:8], v85 offset:14352
	ds_load_b128 v[1:4], v85 offset:14336
	s_waitcnt lgkmcnt(6)
	v_wmma_f32_16x16x16_bf16 v[73:80], v[33:40], v[41:48], v[73:80]
	ds_load_b128 v[45:48], v85 offset:15376
	ds_load_b128 v[41:44], v85 offset:15360
	s_waitcnt lgkmcnt(6)
	v_wmma_f32_16x16x16_bf16 v[73:80], v[33:40], v[9:16], v[73:80]
	s_waitcnt lgkmcnt(4)
	s_delay_alu instid0(VALU_DEP_1) | instskip(SKIP_1) | instid1(VALU_DEP_1)
	v_wmma_f32_16x16x16_bf16 v[73:80], v[25:32], v[49:56], v[73:80]
	s_waitcnt lgkmcnt(2)
	v_wmma_f32_16x16x16_bf16 v[73:80], v[25:32], v[1:8], v[73:80]
	s_waitcnt lgkmcnt(0)
	s_delay_alu instid0(VALU_DEP_1) | instskip(NEXT) | instid1(VALU_DEP_1)
	v_wmma_f32_16x16x16_bf16 v[73:80], v[17:24], v[41:48], v[73:80]
	v_and_b32_e32 v1, 0x7f800000, v73
	s_delay_alu instid0(VALU_DEP_1) | instskip(SKIP_1) | instid1(SALU_CYCLE_1)
	v_cmp_ne_u32_e32 vcc_lo, 0x7f800000, v1
                                        ; implicit-def: $vgpr1
	s_and_saveexec_b32 s3, vcc_lo
	s_xor_b32 s3, exec_lo, s3
; %bb.81:
	v_bfe_u32 v1, v73, 16, 1
	s_delay_alu instid0(VALU_DEP_1)
	v_add3_u32 v1, v73, v1, 0x7fff
; %bb.82:
	s_and_not1_saveexec_b32 s3, s3
; %bb.83:
	v_and_b32_e32 v1, 0xffff, v73
	v_or_b32_e32 v2, 0x10000, v73
	s_delay_alu instid0(VALU_DEP_2) | instskip(NEXT) | instid1(VALU_DEP_2)
	v_cmp_eq_u32_e32 vcc_lo, 0, v1
	v_cndmask_b32_e32 v1, v2, v73, vcc_lo
; %bb.84:
	s_or_b32 exec_lo, exec_lo, s3
	v_and_b32_e32 v2, 0x7f800000, v74
	s_delay_alu instid0(VALU_DEP_1) | instskip(SKIP_1) | instid1(SALU_CYCLE_1)
	v_cmp_ne_u32_e32 vcc_lo, 0x7f800000, v2
                                        ; implicit-def: $vgpr2
	s_and_saveexec_b32 s3, vcc_lo
	s_xor_b32 s3, exec_lo, s3
; %bb.85:
	v_bfe_u32 v2, v74, 16, 1
	s_delay_alu instid0(VALU_DEP_1)
	v_add3_u32 v2, v74, v2, 0x7fff
; %bb.86:
	s_and_not1_saveexec_b32 s3, s3
; %bb.87:
	v_and_b32_e32 v2, 0xffff, v74
	v_or_b32_e32 v3, 0x10000, v74
	s_delay_alu instid0(VALU_DEP_2) | instskip(NEXT) | instid1(VALU_DEP_2)
	v_cmp_eq_u32_e32 vcc_lo, 0, v2
	v_cndmask_b32_e32 v2, v3, v74, vcc_lo
; %bb.88:
	s_or_b32 exec_lo, exec_lo, s3
	v_and_b32_e32 v3, 0x7f800000, v75
	s_delay_alu instid0(VALU_DEP_1) | instskip(SKIP_1) | instid1(SALU_CYCLE_1)
	v_cmp_ne_u32_e32 vcc_lo, 0x7f800000, v3
                                        ; implicit-def: $vgpr3
	s_and_saveexec_b32 s3, vcc_lo
	s_xor_b32 s3, exec_lo, s3
; %bb.89:
	v_bfe_u32 v3, v75, 16, 1
	s_delay_alu instid0(VALU_DEP_1)
	v_add3_u32 v3, v75, v3, 0x7fff
; %bb.90:
	s_and_not1_saveexec_b32 s3, s3
; %bb.91:
	v_and_b32_e32 v3, 0xffff, v75
	v_or_b32_e32 v4, 0x10000, v75
	s_delay_alu instid0(VALU_DEP_2) | instskip(NEXT) | instid1(VALU_DEP_2)
	v_cmp_eq_u32_e32 vcc_lo, 0, v3
	v_cndmask_b32_e32 v3, v4, v75, vcc_lo
; %bb.92:
	s_or_b32 exec_lo, exec_lo, s3
	v_and_b32_e32 v4, 0x7f800000, v76
	s_delay_alu instid0(VALU_DEP_1) | instskip(SKIP_1) | instid1(SALU_CYCLE_1)
	v_cmp_ne_u32_e32 vcc_lo, 0x7f800000, v4
                                        ; implicit-def: $vgpr4
	s_and_saveexec_b32 s3, vcc_lo
	s_xor_b32 s3, exec_lo, s3
; %bb.93:
	v_bfe_u32 v4, v76, 16, 1
	s_delay_alu instid0(VALU_DEP_1)
	v_add3_u32 v4, v76, v4, 0x7fff
; %bb.94:
	s_and_not1_saveexec_b32 s3, s3
; %bb.95:
	v_and_b32_e32 v4, 0xffff, v76
	v_or_b32_e32 v5, 0x10000, v76
	s_delay_alu instid0(VALU_DEP_2) | instskip(NEXT) | instid1(VALU_DEP_2)
	v_cmp_eq_u32_e32 vcc_lo, 0, v4
	v_cndmask_b32_e32 v4, v5, v76, vcc_lo
; %bb.96:
	s_or_b32 exec_lo, exec_lo, s3
	v_and_b32_e32 v5, 0x7f800000, v77
	s_delay_alu instid0(VALU_DEP_1) | instskip(SKIP_1) | instid1(SALU_CYCLE_1)
	v_cmp_ne_u32_e32 vcc_lo, 0x7f800000, v5
                                        ; implicit-def: $vgpr5
	s_and_saveexec_b32 s3, vcc_lo
	s_xor_b32 s3, exec_lo, s3
; %bb.97:
	v_bfe_u32 v5, v77, 16, 1
	s_delay_alu instid0(VALU_DEP_1)
	v_add3_u32 v5, v77, v5, 0x7fff
; %bb.98:
	s_and_not1_saveexec_b32 s3, s3
; %bb.99:
	v_and_b32_e32 v5, 0xffff, v77
	v_or_b32_e32 v6, 0x10000, v77
	s_delay_alu instid0(VALU_DEP_2) | instskip(NEXT) | instid1(VALU_DEP_2)
	v_cmp_eq_u32_e32 vcc_lo, 0, v5
	v_cndmask_b32_e32 v5, v6, v77, vcc_lo
; %bb.100:
	s_or_b32 exec_lo, exec_lo, s3
	v_and_b32_e32 v6, 0x7f800000, v78
	s_delay_alu instid0(VALU_DEP_1) | instskip(SKIP_1) | instid1(SALU_CYCLE_1)
	v_cmp_ne_u32_e32 vcc_lo, 0x7f800000, v6
                                        ; implicit-def: $vgpr6
	s_and_saveexec_b32 s3, vcc_lo
	s_xor_b32 s3, exec_lo, s3
; %bb.101:
	v_bfe_u32 v6, v78, 16, 1
	s_delay_alu instid0(VALU_DEP_1)
	v_add3_u32 v6, v78, v6, 0x7fff
; %bb.102:
	s_and_not1_saveexec_b32 s3, s3
; %bb.103:
	v_and_b32_e32 v6, 0xffff, v78
	v_or_b32_e32 v7, 0x10000, v78
	s_delay_alu instid0(VALU_DEP_2) | instskip(NEXT) | instid1(VALU_DEP_2)
	v_cmp_eq_u32_e32 vcc_lo, 0, v6
	v_cndmask_b32_e32 v6, v7, v78, vcc_lo
; %bb.104:
	s_or_b32 exec_lo, exec_lo, s3
	v_and_b32_e32 v7, 0x7f800000, v79
	s_delay_alu instid0(VALU_DEP_1) | instskip(SKIP_1) | instid1(SALU_CYCLE_1)
	v_cmp_ne_u32_e32 vcc_lo, 0x7f800000, v7
                                        ; implicit-def: $vgpr7
	s_and_saveexec_b32 s3, vcc_lo
	s_xor_b32 s3, exec_lo, s3
; %bb.105:
	v_bfe_u32 v7, v79, 16, 1
	s_delay_alu instid0(VALU_DEP_1)
	v_add3_u32 v7, v79, v7, 0x7fff
; %bb.106:
	s_and_not1_saveexec_b32 s3, s3
; %bb.107:
	v_and_b32_e32 v7, 0xffff, v79
	v_or_b32_e32 v8, 0x10000, v79
	s_delay_alu instid0(VALU_DEP_2) | instskip(NEXT) | instid1(VALU_DEP_2)
	v_cmp_eq_u32_e32 vcc_lo, 0, v7
	v_cndmask_b32_e32 v7, v8, v79, vcc_lo
; %bb.108:
	s_or_b32 exec_lo, exec_lo, s3
	v_and_b32_e32 v8, 0x7f800000, v80
	s_delay_alu instid0(VALU_DEP_1) | instskip(SKIP_1) | instid1(SALU_CYCLE_1)
	v_cmp_ne_u32_e32 vcc_lo, 0x7f800000, v8
                                        ; implicit-def: $vgpr8
	s_and_saveexec_b32 s3, vcc_lo
	s_xor_b32 s3, exec_lo, s3
; %bb.109:
	v_bfe_u32 v8, v80, 16, 1
	s_delay_alu instid0(VALU_DEP_1)
	v_add3_u32 v8, v80, v8, 0x7fff
                                        ; implicit-def: $vgpr73_vgpr74_vgpr75_vgpr76_vgpr77_vgpr78_vgpr79_vgpr80
; %bb.110:
	s_and_not1_saveexec_b32 s3, s3
; %bb.111:
	v_and_b32_e32 v8, 0xffff, v80
	v_or_b32_e32 v9, 0x10000, v80
	s_delay_alu instid0(VALU_DEP_2) | instskip(NEXT) | instid1(VALU_DEP_2)
	v_cmp_eq_u32_e32 vcc_lo, 0, v8
	v_cndmask_b32_e32 v8, v9, v80, vcc_lo
; %bb.112:
	s_or_b32 exec_lo, exec_lo, s3
	s_delay_alu instid0(VALU_DEP_1)
	v_perm_b32 v7, v8, v7, 0x7060302
	v_perm_b32 v6, v6, v5, 0x7060302
	;; [unrolled: 1-line block ×4, first 2 shown]
	v_lshl_or_b32 v9, v83, 4, v90
	s_barrier
	buffer_gl0_inv
	v_cmp_eq_u32_e32 vcc_lo, 1, v87
	ds_store_b128 v9, v[4:7]
	s_waitcnt lgkmcnt(0)
	s_barrier
	buffer_gl0_inv
	ds_load_b128 v[1:4], v90
	ds_load_b128 v[5:8], v90 offset:16
	v_cmp_eq_u32_e64 s4, 2, v87
	v_cmp_eq_u32_e64 s3, 1, v88
	v_cmp_eq_u32_e64 s5, 3, v87
	v_cmp_eq_u32_e64 s7, 2, v86
	v_cmp_eq_u32_e64 s6, 7, v88
	s_waitcnt lgkmcnt(1)
	v_lshrrev_b32_e32 v10, 16, v1
	s_waitcnt lgkmcnt(0)
	v_lshrrev_b32_e32 v14, 16, v5
	v_lshrrev_b32_e32 v15, 16, v6
	;; [unrolled: 1-line block ×4, first 2 shown]
	v_cndmask_b32_e64 v20, v1, v10, s3
	v_cndmask_b32_e32 v19, v5, v14, vcc_lo
	v_cndmask_b32_e64 v21, v5, v14, s3
	v_lshrrev_b32_e32 v16, 16, v7
	v_cmp_eq_u32_e64 s3, 1, v86
	v_lshrrev_b32_e32 v13, 16, v4
	v_cndmask_b32_e64 v19, v19, v6, s4
	v_lshrrev_b32_e32 v17, 16, v8
	s_delay_alu instid0(VALU_DEP_4) | instskip(SKIP_1) | instid1(VALU_DEP_4)
	v_cndmask_b32_e64 v22, v1, v10, s3
	v_cndmask_b32_e64 v23, v5, v14, s3
	;; [unrolled: 1-line block ×3, first 2 shown]
	v_cndmask_b32_e32 v18, v1, v10, vcc_lo
	v_cmp_eq_u32_e32 vcc_lo, 2, v88
	v_cmp_eq_u32_e64 s3, 2, v89
	v_cndmask_b32_e64 v22, v22, v2, s7
	v_cndmask_b32_e32 v20, v20, v2, vcc_lo
	v_cndmask_b32_e32 v21, v21, v6, vcc_lo
	v_cmp_eq_u32_e32 vcc_lo, 4, v87
	v_cndmask_b32_e32 v19, v19, v7, vcc_lo
	v_cndmask_b32_e64 v18, v18, v2, s4
	v_cmp_eq_u32_e64 s4, 3, v88
	s_delay_alu instid0(VALU_DEP_2) | instskip(NEXT) | instid1(VALU_DEP_2)
	v_cndmask_b32_e64 v18, v18, v11, s5
	v_cndmask_b32_e64 v21, v21, v15, s4
	v_cmp_eq_u32_e64 s5, 5, v87
	s_delay_alu instid0(VALU_DEP_3) | instskip(SKIP_1) | instid1(VALU_DEP_3)
	v_cndmask_b32_e32 v18, v18, v3, vcc_lo
	v_cmp_eq_u32_e32 vcc_lo, 4, v88
	v_cndmask_b32_e64 v19, v19, v16, s5
	s_delay_alu instid0(VALU_DEP_3) | instskip(SKIP_4) | instid1(VALU_DEP_3)
	v_cndmask_b32_e64 v18, v18, v12, s5
	v_cndmask_b32_e32 v21, v21, v7, vcc_lo
	v_cndmask_b32_e64 v20, v20, v11, s4
	v_cmp_eq_u32_e64 s4, 5, v88
	v_cmp_eq_u32_e64 s5, 6, v87
	v_cndmask_b32_e32 v20, v20, v3, vcc_lo
	s_delay_alu instid0(VALU_DEP_3) | instskip(SKIP_1) | instid1(VALU_DEP_4)
	v_cndmask_b32_e64 v21, v21, v16, s4
	v_cmp_eq_u32_e32 vcc_lo, 6, v88
	v_cndmask_b32_e64 v18, v18, v4, s5
	v_cndmask_b32_e64 v19, v19, v8, s5
	;; [unrolled: 1-line block ×3, first 2 shown]
	v_cmp_eq_u32_e64 s4, 1, v89
	v_cmp_eq_u32_e64 s5, 7, v87
	s_delay_alu instid0(VALU_DEP_3) | instskip(NEXT) | instid1(VALU_DEP_3)
	v_cndmask_b32_e32 v20, v20, v4, vcc_lo
	v_cndmask_b32_e64 v1, v1, v10, s4
	v_cndmask_b32_e64 v5, v5, v14, s4
	v_cmp_eq_u32_e64 s4, 3, v86
	v_cndmask_b32_e64 v14, v23, v6, s7
	v_cmp_eq_u32_e64 s7, 3, v89
	v_cndmask_b32_e64 v1, v1, v2, s3
	v_cndmask_b32_e64 v2, v5, v6, s3
	;; [unrolled: 1-line block ×3, first 2 shown]
	v_cmp_eq_u32_e64 s3, 4, v86
	v_cndmask_b32_e64 v6, v14, v15, s4
	v_cndmask_b32_e64 v1, v1, v11, s7
	v_cmp_eq_u32_e64 s4, 4, v89
	v_cndmask_b32_e64 v2, v2, v15, s7
	v_cndmask_b32_e64 v5, v10, v3, s3
	;; [unrolled: 3-line block ×3, first 2 shown]
	v_cndmask_b32_e64 v2, v2, v7, s4
	v_cmp_eq_u32_e64 s3, 5, v89
	v_cndmask_b32_e64 v5, v5, v12, s7
	v_cmp_eq_u32_e64 s4, 6, v86
	;; [unrolled: 2-line block ×3, first 2 shown]
	v_cndmask_b32_e64 v1, v1, v12, s3
	v_cndmask_b32_e64 v2, v2, v16, s3
	;; [unrolled: 1-line block ×4, first 2 shown]
	v_cmp_eq_u32_e64 s3, 7, v89
	v_cndmask_b32_e64 v1, v1, v4, s7
	v_cndmask_b32_e64 v2, v2, v8, s7
	v_cmp_eq_u32_e64 s4, 7, v86
	v_cndmask_b32_e32 v4, v21, v8, vcc_lo
	v_cndmask_b32_e64 v18, v18, v13, s5
	v_cndmask_b32_e64 v20, v20, v13, s6
	;; [unrolled: 1-line block ×8, first 2 shown]
	s_mov_b32 s3, exec_lo
	v_perm_b32 v4, v2, v1, 0x5040100
	v_perm_b32 v3, v3, v5, 0x5040100
	v_perm_b32 v2, v6, v20, 0x5040100
	v_perm_b32 v1, v7, v18, 0x5040100
	ds_store_b128 v9, v[1:4]
	s_waitcnt lgkmcnt(0)
	s_barrier
	buffer_gl0_inv
	v_cmpx_gt_u32_e32 32, v0
	s_cbranch_execz .LBB740_2
; %bb.113:
	s_load_b64 s[4:5], s[0:1], 0x68
	v_lshlrev_b32_e32 v0, 10, v0
	v_lshlrev_b32_e32 v1, 4, v84
	s_lshl_b32 s0, s34, 7
	v_add_nc_u32_e32 v7, s31, v83
	s_mul_i32 s1, s0, s30
	s_delay_alu instid0(SALU_CYCLE_1) | instskip(SKIP_1) | instid1(VALU_DEP_2)
	s_mul_i32 s6, s1, s8
	v_and_or_b32 v0, 0x3800, v0, v1
	v_mul_lo_u32 v1, v7, s0
	v_add_nc_u32_e32 v2, 2, v7
	s_ashr_i32 s7, s6, 31
	v_add_nc_u32_e32 v4, 4, v7
	s_lshl_b64 s[6:7], s[6:7], 1
	v_add_nc_u32_e32 v8, 6, v7
	v_mul_lo_u32 v3, v2, s0
	v_lshl_or_b32 v19, v83, 6, v0
	v_ashrrev_i32_e32 v2, 31, v1
	v_mul_lo_u32 v11, v4, s0
	v_mul_lo_u32 v25, v8, s0
	s_waitcnt lgkmcnt(0)
	s_add_u32 s1, s4, s6
	s_addc_u32 s3, s5, s7
	s_lshl_b32 s4, s14, 7
	v_lshlrev_b64 v[5:6], 1, v[1:2]
	s_ashr_i32 s5, s4, 31
	v_ashrrev_i32_e32 v4, 31, v3
	s_lshl_b64 s[4:5], s[4:5], 1
	v_ashrrev_i32_e32 v12, 31, v11
	s_add_u32 s1, s1, s4
	s_addc_u32 s3, s3, s5
	v_add_co_u32 v1, vcc_lo, s1, v81
	v_add_co_ci_u32_e32 v2, vcc_lo, s3, v82, vcc_lo
	v_lshlrev_b64 v[3:4], 1, v[3:4]
	s_delay_alu instid0(VALU_DEP_3) | instskip(SKIP_1) | instid1(VALU_DEP_4)
	v_add_co_u32 v23, vcc_lo, v1, v5
	v_add_nc_u32_e32 v5, 8, v7
	v_add_co_ci_u32_e32 v24, vcc_lo, v2, v6, vcc_lo
	s_delay_alu instid0(VALU_DEP_4) | instskip(NEXT) | instid1(VALU_DEP_3)
	v_add_co_u32 v27, vcc_lo, v1, v3
	v_mul_lo_u32 v29, v5, s0
	v_add_co_ci_u32_e32 v28, vcc_lo, v2, v4, vcc_lo
	ds_load_b128 v[3:6], v19
	ds_load_b128 v[7:10], v19 offset:128
	v_lshlrev_b64 v[31:32], 1, v[11:12]
	ds_load_b128 v[11:14], v19 offset:256
	ds_load_b128 v[15:18], v19 offset:384
	;; [unrolled: 1-line block ×3, first 2 shown]
	v_ashrrev_i32_e32 v26, 31, v25
	v_ashrrev_i32_e32 v30, 31, v29
	v_add_co_u32 v31, vcc_lo, v1, v31
	s_delay_alu instid0(VALU_DEP_3) | instskip(NEXT) | instid1(VALU_DEP_3)
	v_lshlrev_b64 v[25:26], 1, v[25:26]
	v_lshlrev_b64 v[29:30], 1, v[29:30]
	v_add_co_ci_u32_e32 v32, vcc_lo, v2, v32, vcc_lo
	s_delay_alu instid0(VALU_DEP_3) | instskip(NEXT) | instid1(VALU_DEP_4)
	v_add_co_u32 v25, vcc_lo, v1, v25
	v_add_co_ci_u32_e32 v26, vcc_lo, v2, v26, vcc_lo
	s_delay_alu instid0(VALU_DEP_4)
	v_add_co_u32 v29, vcc_lo, v1, v29
	v_add_co_ci_u32_e32 v30, vcc_lo, v2, v30, vcc_lo
	s_waitcnt lgkmcnt(4)
	global_store_b128 v[23:24], v[3:6], off
	s_waitcnt lgkmcnt(3)
	global_store_b128 v[27:28], v[7:10], off
	;; [unrolled: 2-line block ×5, first 2 shown]
	s_and_b32 exec_lo, exec_lo, s2
	s_cbranch_execz .LBB740_2
; %bb.114:
	ds_load_b128 v[3:6], v0 offset:640
	s_add_i32 s1, s31, 10
	s_delay_alu instid0(SALU_CYCLE_1) | instskip(NEXT) | instid1(SALU_CYCLE_1)
	s_mul_i32 s0, s1, s0
	s_ashr_i32 s1, s0, 31
	s_delay_alu instid0(SALU_CYCLE_1) | instskip(NEXT) | instid1(SALU_CYCLE_1)
	s_lshl_b64 s[0:1], s[0:1], 1
	v_add_co_u32 v0, vcc_lo, v1, s0
	v_add_co_ci_u32_e32 v1, vcc_lo, s1, v2, vcc_lo
	s_waitcnt lgkmcnt(0)
	global_store_b128 v[0:1], v[3:6], off
	s_nop 0
	s_sendmsg sendmsg(MSG_DEALLOC_VGPRS)
	s_endpgm
	.section	.rodata,"a",@progbits
	.p2align	6, 0x0
	.amdhsa_kernel _Z39paged_attention_ll4mi_QKV_mfma16_kernelI14__hip_bfloat16S0_LN4vllm18Fp8KVCacheDataTypeE0ES0_Li32ELi128ELi256ELb1ELi11EL8MFMAType0EEvPKT_PKT0_S9_ifPKiSB_SB_iPKfiiiPfSE_PS4_PT2_iSD_SD_
		.amdhsa_group_segment_fixed_size 17472
		.amdhsa_private_segment_fixed_size 0
		.amdhsa_kernarg_size 400
		.amdhsa_user_sgpr_count 13
		.amdhsa_user_sgpr_dispatch_ptr 0
		.amdhsa_user_sgpr_queue_ptr 0
		.amdhsa_user_sgpr_kernarg_segment_ptr 1
		.amdhsa_user_sgpr_dispatch_id 0
		.amdhsa_user_sgpr_private_segment_size 0
		.amdhsa_wavefront_size32 1
		.amdhsa_uses_dynamic_stack 0
		.amdhsa_enable_private_segment 0
		.amdhsa_system_sgpr_workgroup_id_x 1
		.amdhsa_system_sgpr_workgroup_id_y 1
		.amdhsa_system_sgpr_workgroup_id_z 1
		.amdhsa_system_sgpr_workgroup_info 0
		.amdhsa_system_vgpr_workitem_id 0
		.amdhsa_next_free_vgpr 157
		.amdhsa_next_free_sgpr 38
		.amdhsa_reserve_vcc 1
		.amdhsa_float_round_mode_32 0
		.amdhsa_float_round_mode_16_64 0
		.amdhsa_float_denorm_mode_32 3
		.amdhsa_float_denorm_mode_16_64 3
		.amdhsa_dx10_clamp 1
		.amdhsa_ieee_mode 1
		.amdhsa_fp16_overflow 0
		.amdhsa_workgroup_processor_mode 1
		.amdhsa_memory_ordered 1
		.amdhsa_forward_progress 0
		.amdhsa_shared_vgpr_count 0
		.amdhsa_exception_fp_ieee_invalid_op 0
		.amdhsa_exception_fp_denorm_src 0
		.amdhsa_exception_fp_ieee_div_zero 0
		.amdhsa_exception_fp_ieee_overflow 0
		.amdhsa_exception_fp_ieee_underflow 0
		.amdhsa_exception_fp_ieee_inexact 0
		.amdhsa_exception_int_div_zero 0
	.end_amdhsa_kernel
	.section	.text._Z39paged_attention_ll4mi_QKV_mfma16_kernelI14__hip_bfloat16S0_LN4vllm18Fp8KVCacheDataTypeE0ES0_Li32ELi128ELi256ELb1ELi11EL8MFMAType0EEvPKT_PKT0_S9_ifPKiSB_SB_iPKfiiiPfSE_PS4_PT2_iSD_SD_,"axG",@progbits,_Z39paged_attention_ll4mi_QKV_mfma16_kernelI14__hip_bfloat16S0_LN4vllm18Fp8KVCacheDataTypeE0ES0_Li32ELi128ELi256ELb1ELi11EL8MFMAType0EEvPKT_PKT0_S9_ifPKiSB_SB_iPKfiiiPfSE_PS4_PT2_iSD_SD_,comdat
.Lfunc_end740:
	.size	_Z39paged_attention_ll4mi_QKV_mfma16_kernelI14__hip_bfloat16S0_LN4vllm18Fp8KVCacheDataTypeE0ES0_Li32ELi128ELi256ELb1ELi11EL8MFMAType0EEvPKT_PKT0_S9_ifPKiSB_SB_iPKfiiiPfSE_PS4_PT2_iSD_SD_, .Lfunc_end740-_Z39paged_attention_ll4mi_QKV_mfma16_kernelI14__hip_bfloat16S0_LN4vllm18Fp8KVCacheDataTypeE0ES0_Li32ELi128ELi256ELb1ELi11EL8MFMAType0EEvPKT_PKT0_S9_ifPKiSB_SB_iPKfiiiPfSE_PS4_PT2_iSD_SD_
                                        ; -- End function
	.section	.AMDGPU.csdata,"",@progbits
; Kernel info:
; codeLenInByte = 9908
; NumSgprs: 40
; NumVgprs: 157
; ScratchSize: 0
; MemoryBound: 0
; FloatMode: 240
; IeeeMode: 1
; LDSByteSize: 17472 bytes/workgroup (compile time only)
; SGPRBlocks: 4
; VGPRBlocks: 19
; NumSGPRsForWavesPerEU: 40
; NumVGPRsForWavesPerEU: 157
; Occupancy: 9
; WaveLimiterHint : 1
; COMPUTE_PGM_RSRC2:SCRATCH_EN: 0
; COMPUTE_PGM_RSRC2:USER_SGPR: 13
; COMPUTE_PGM_RSRC2:TRAP_HANDLER: 0
; COMPUTE_PGM_RSRC2:TGID_X_EN: 1
; COMPUTE_PGM_RSRC2:TGID_Y_EN: 1
; COMPUTE_PGM_RSRC2:TGID_Z_EN: 1
; COMPUTE_PGM_RSRC2:TIDIG_COMP_CNT: 0
	.section	.text._Z39paged_attention_ll4mi_QKV_mfma16_kernelI14__hip_bfloat16S0_LN4vllm18Fp8KVCacheDataTypeE0ES0_Li32ELi128ELi256ELb1ELi12EL8MFMAType0EEvPKT_PKT0_S9_ifPKiSB_SB_iPKfiiiPfSE_PS4_PT2_iSD_SD_,"axG",@progbits,_Z39paged_attention_ll4mi_QKV_mfma16_kernelI14__hip_bfloat16S0_LN4vllm18Fp8KVCacheDataTypeE0ES0_Li32ELi128ELi256ELb1ELi12EL8MFMAType0EEvPKT_PKT0_S9_ifPKiSB_SB_iPKfiiiPfSE_PS4_PT2_iSD_SD_,comdat
	.protected	_Z39paged_attention_ll4mi_QKV_mfma16_kernelI14__hip_bfloat16S0_LN4vllm18Fp8KVCacheDataTypeE0ES0_Li32ELi128ELi256ELb1ELi12EL8MFMAType0EEvPKT_PKT0_S9_ifPKiSB_SB_iPKfiiiPfSE_PS4_PT2_iSD_SD_ ; -- Begin function _Z39paged_attention_ll4mi_QKV_mfma16_kernelI14__hip_bfloat16S0_LN4vllm18Fp8KVCacheDataTypeE0ES0_Li32ELi128ELi256ELb1ELi12EL8MFMAType0EEvPKT_PKT0_S9_ifPKiSB_SB_iPKfiiiPfSE_PS4_PT2_iSD_SD_
	.globl	_Z39paged_attention_ll4mi_QKV_mfma16_kernelI14__hip_bfloat16S0_LN4vllm18Fp8KVCacheDataTypeE0ES0_Li32ELi128ELi256ELb1ELi12EL8MFMAType0EEvPKT_PKT0_S9_ifPKiSB_SB_iPKfiiiPfSE_PS4_PT2_iSD_SD_
	.p2align	8
	.type	_Z39paged_attention_ll4mi_QKV_mfma16_kernelI14__hip_bfloat16S0_LN4vllm18Fp8KVCacheDataTypeE0ES0_Li32ELi128ELi256ELb1ELi12EL8MFMAType0EEvPKT_PKT0_S9_ifPKiSB_SB_iPKfiiiPfSE_PS4_PT2_iSD_SD_,@function
_Z39paged_attention_ll4mi_QKV_mfma16_kernelI14__hip_bfloat16S0_LN4vllm18Fp8KVCacheDataTypeE0ES0_Li32ELi128ELi256ELb1ELi12EL8MFMAType0EEvPKT_PKT0_S9_ifPKiSB_SB_iPKfiiiPfSE_PS4_PT2_iSD_SD_: ; @_Z39paged_attention_ll4mi_QKV_mfma16_kernelI14__hip_bfloat16S0_LN4vllm18Fp8KVCacheDataTypeE0ES0_Li32ELi128ELi256ELb1ELi12EL8MFMAType0EEvPKT_PKT0_S9_ifPKiSB_SB_iPKfiiiPfSE_PS4_PT2_iSD_SD_
; %bb.0:
	s_load_b64 s[2:3], s[0:1], 0x30
	s_mov_b32 s30, s13
	s_waitcnt lgkmcnt(0)
	s_cmp_lg_u64 s[2:3], 0
	s_cselect_b32 s6, -1, 0
	s_ashr_i32 s31, s13, 31
	s_cmp_eq_u64 s[2:3], 0
	s_cbranch_scc1 .LBB741_3
; %bb.1:
	s_lshl_b64 s[4:5], s[30:31], 2
	s_delay_alu instid0(SALU_CYCLE_1) | instskip(SKIP_4) | instid1(SALU_CYCLE_1)
	s_add_u32 s4, s2, s4
	s_addc_u32 s5, s3, s5
	s_load_b64 s[4:5], s[4:5], 0x0
	s_waitcnt lgkmcnt(0)
	s_sub_i32 s4, s5, s4
	s_cmp_eq_u32 s4, 1
	s_cselect_b32 s4, -1, 0
	s_delay_alu instid0(SALU_CYCLE_1)
	s_and_not1_b32 vcc_lo, exec_lo, s4
	s_cbranch_vccz .LBB741_4
.LBB741_2:
	s_endpgm
.LBB741_3:
.LBB741_4:
	s_load_b64 s[8:9], s[0:1], 0x28
	s_lshl_b64 s[4:5], s[30:31], 2
	s_waitcnt lgkmcnt(0)
	s_add_u32 s8, s8, s4
	s_addc_u32 s9, s9, s5
	s_lshl_b32 s12, s14, 8
	s_load_b32 s17, s[8:9], 0x0
	s_waitcnt lgkmcnt(0)
	s_cmp_ge_i32 s12, s17
	s_cbranch_scc1 .LBB741_2
; %bb.5:
	s_and_not1_b32 vcc_lo, exec_lo, s6
	s_cbranch_vccnz .LBB741_7
; %bb.6:
	s_add_u32 s2, s2, s4
	s_addc_u32 s3, s3, s5
	s_load_b32 s13, s[2:3], 0x0
	s_branch .LBB741_8
.LBB741_7:
	s_mov_b32 s13, s30
.LBB741_8:
	s_clause 0x2
	s_load_b128 s[8:11], s[0:1], 0x8
	s_load_b64 s[2:3], s[0:1], 0x20
	s_load_b128 s[4:7], s[0:1], 0x48
	v_and_b32_e32 v73, 15, v0
	s_waitcnt lgkmcnt(0)
	s_mov_b32 s7, exec_lo
	s_delay_alu instid0(VALU_DEP_1)
	v_lshlrev_b32_e32 v1, 3, v73
	v_cmpx_lt_u32_e32 0xbf, v0
	s_xor_b32 s7, exec_lo, s7
; %bb.9:
	v_mov_b32_e32 v2, 0
; %bb.10:
	s_or_saveexec_b32 s7, s7
	v_lshrrev_b32_e32 v74, 5, v0
	v_and_b32_e32 v75, 31, v0
	v_and_b32_e32 v84, 1, v0
	v_bfe_u32 v83, v0, 4, 1
	s_mul_i32 s29, s15, 12
	s_xor_b32 exec_lo, exec_lo, s7
	s_cbranch_execz .LBB741_12
; %bb.11:
	s_load_b64 s[18:19], s[0:1], 0x0
	v_lshl_or_b32 v7, v74, 1, v83
	s_mul_hi_i32 s21, s13, s4
	s_mul_i32 s20, s13, s4
	v_lshlrev_b32_e32 v4, 1, v1
	s_lshl_b64 s[20:21], s[20:21], 1
	v_add_lshl_u32 v2, v7, s29, 7
	v_lshlrev_b32_e32 v7, 6, v7
	v_lshlrev_b32_e32 v8, 10, v84
	s_delay_alu instid0(VALU_DEP_3) | instskip(NEXT) | instid1(VALU_DEP_1)
	v_ashrrev_i32_e32 v3, 31, v2
	v_lshlrev_b64 v[2:3], 1, v[2:3]
	s_waitcnt lgkmcnt(0)
	s_add_u32 s4, s18, s20
	s_addc_u32 s13, s19, s21
	s_delay_alu instid0(VALU_DEP_1) | instskip(NEXT) | instid1(VALU_DEP_2)
	v_add_co_u32 v2, vcc_lo, s4, v2
	v_add_co_ci_u32_e32 v3, vcc_lo, s13, v3, vcc_lo
	s_delay_alu instid0(VALU_DEP_2) | instskip(NEXT) | instid1(VALU_DEP_2)
	v_add_co_u32 v2, vcc_lo, v2, v4
	v_add_co_ci_u32_e32 v3, vcc_lo, 0, v3, vcc_lo
	global_load_b128 v[3:6], v[2:3], off
	v_lshlrev_b32_e32 v2, 10, v73
	s_delay_alu instid0(VALU_DEP_1) | instskip(NEXT) | instid1(VALU_DEP_1)
	v_and_b32_e32 v2, 0x3800, v2
	v_or3_b32 v7, v2, v8, v7
	v_mov_b32_e32 v2, 0
	s_waitcnt vmcnt(0)
	ds_store_b128 v7, v[3:6]
.LBB741_12:
	s_or_b32 exec_lo, exec_lo, s7
	v_add_nc_u32_e32 v80, -12, v73
	v_and_b32_e32 v3, 0xef, v0
	s_add_i32 s4, s17, 31
	s_clause 0x1
	s_load_b32 s7, s[0:1], 0x38
	s_load_b32 s18, s[0:1], 0x1c
	s_ashr_i32 s13, s4, 31
	v_add_nc_u32_e32 v3, s12, v3
	s_lshr_b32 s13, s13, 27
	s_waitcnt lgkmcnt(0)
	s_add_i32 s4, s4, s13
	s_barrier
	v_ashrrev_i32_e32 v4, 31, v3
	v_cmp_gt_i32_e32 vcc_lo, s17, v3
	s_ashr_i32 s4, s4, 5
	buffer_gl0_inv
	s_add_i32 s4, s4, -1
	v_lshrrev_b32_e32 v5, 27, v4
	v_or_b32_e32 v4, 16, v3
	v_lshlrev_b64 v[81:82], 1, v[1:2]
	s_delay_alu instid0(VALU_DEP_3) | instskip(NEXT) | instid1(VALU_DEP_3)
	v_add_nc_u32_e32 v6, v3, v5
	v_add_nc_u32_e32 v5, v4, v5
	s_mul_i32 s20, s30, s7
	s_delay_alu instid0(SALU_CYCLE_1) | instskip(NEXT) | instid1(VALU_DEP_2)
	s_ashr_i32 s21, s20, 31
	v_ashrrev_i32_e32 v6, 5, v6
	s_delay_alu instid0(VALU_DEP_2) | instskip(SKIP_1) | instid1(SALU_CYCLE_1)
	v_ashrrev_i32_e32 v5, 5, v5
	s_lshl_b64 s[20:21], s[20:21], 2
	s_add_u32 s7, s2, s20
	s_delay_alu instid0(VALU_DEP_2) | instskip(SKIP_3) | instid1(VALU_DEP_2)
	v_cndmask_b32_e32 v3, s4, v6, vcc_lo
	v_cmp_gt_i32_e32 vcc_lo, s17, v4
	s_addc_u32 s13, s3, s21
	s_mul_i32 s2, s15, s6
	v_ashrrev_i32_e32 v4, 31, v3
	v_cndmask_b32_e32 v5, s4, v5, vcc_lo
	s_ashr_i32 s3, s2, 31
	s_delay_alu instid0(SALU_CYCLE_1) | instskip(NEXT) | instid1(VALU_DEP_2)
	s_lshl_b64 s[2:3], s[2:3], 1
	v_lshlrev_b64 v[3:4], 2, v[3:4]
	s_delay_alu instid0(VALU_DEP_2) | instskip(SKIP_3) | instid1(VALU_DEP_1)
	v_ashrrev_i32_e32 v6, 31, v5
	s_add_u32 s6, s8, s2
	s_addc_u32 s15, s9, s3
	s_lshl_b32 s8, s14, 3
	v_lshlrev_b64 v[5:6], 2, v[5:6]
	v_add_co_u32 v3, vcc_lo, s7, v3
	v_add_co_ci_u32_e32 v4, vcc_lo, s13, v4, vcc_lo
	s_ashr_i32 s9, s8, 31
	s_delay_alu instid0(VALU_DEP_3) | instskip(NEXT) | instid1(VALU_DEP_4)
	v_add_co_u32 v5, vcc_lo, s7, v5
	v_add_co_ci_u32_e32 v6, vcc_lo, s13, v6, vcc_lo
	s_clause 0x1
	global_load_b32 v7, v[3:4], off
	global_load_b32 v8, v[5:6], off
	s_lshl_b64 s[8:9], s[8:9], 2
	s_delay_alu instid0(SALU_CYCLE_1) | instskip(SKIP_2) | instid1(SALU_CYCLE_1)
	s_add_u32 s8, s7, s8
	s_addc_u32 s9, s13, s9
	s_or_b32 s16, s12, 32
	s_ashr_i32 s19, s16, 5
	s_cmp_lt_i32 s16, s17
	s_cselect_b32 s20, s19, s4
	s_delay_alu instid0(SALU_CYCLE_1) | instskip(NEXT) | instid1(SALU_CYCLE_1)
	s_ashr_i32 s21, s20, 31
	s_lshl_b64 s[20:21], s[20:21], 2
	s_delay_alu instid0(SALU_CYCLE_1) | instskip(SKIP_2) | instid1(SALU_CYCLE_1)
	s_add_u32 s20, s7, s20
	s_addc_u32 s21, s13, s21
	s_or_b32 s16, s12, 64
	s_ashr_i32 s19, s16, 5
	s_cmp_lt_i32 s16, s17
	s_cselect_b32 s22, s19, s4
	s_delay_alu instid0(SALU_CYCLE_1) | instskip(NEXT) | instid1(SALU_CYCLE_1)
	s_ashr_i32 s23, s22, 31
	;; [unrolled: 10-line block ×5, first 2 shown]
	s_lshl_b64 s[34:35], s[34:35], 2
	s_delay_alu instid0(SALU_CYCLE_1)
	s_add_u32 s34, s7, s34
	s_addc_u32 s35, s13, s35
	s_clause 0x5
	s_load_b32 s16, s[8:9], 0x0
	s_load_b32 s19, s[20:21], 0x0
	;; [unrolled: 1-line block ×6, first 2 shown]
	s_mov_b32 s20, 0
	s_delay_alu instid0(SALU_CYCLE_1)
	s_mov_b32 s27, s20
	s_mov_b32 s24, s20
	;; [unrolled: 1-line block ×7, first 2 shown]
	v_dual_mov_b32 v108, s27 :: v_dual_mov_b32 v105, s24
	v_dual_mov_b32 v107, s26 :: v_dual_mov_b32 v106, s25
	;; [unrolled: 1-line block ×4, first 2 shown]
	s_waitcnt lgkmcnt(0)
	s_mul_hi_i32 s21, s16, s5
	s_mul_i32 s20, s16, s5
	s_mul_hi_i32 s23, s19, s5
	s_mul_i32 s22, s19, s5
	;; [unrolled: 2-line block ×5, first 2 shown]
	s_waitcnt vmcnt(1)
	v_mad_i64_i32 v[3:4], null, v7, s5, 0
	s_waitcnt vmcnt(0)
	v_mad_i64_i32 v[5:6], null, v8, s5, 0
	s_delay_alu instid0(VALU_DEP_2) | instskip(NEXT) | instid1(VALU_DEP_2)
	v_lshlrev_b64 v[3:4], 1, v[3:4]
	v_lshlrev_b64 v[1:2], 1, v[5:6]
	s_delay_alu instid0(VALU_DEP_2) | instskip(NEXT) | instid1(VALU_DEP_3)
	v_add_co_u32 v3, vcc_lo, s6, v3
	v_add_co_ci_u32_e32 v4, vcc_lo, s15, v4, vcc_lo
	s_delay_alu instid0(VALU_DEP_3) | instskip(NEXT) | instid1(VALU_DEP_4)
	v_add_co_u32 v1, vcc_lo, s6, v1
	v_add_co_ci_u32_e32 v2, vcc_lo, s15, v2, vcc_lo
	s_delay_alu instid0(VALU_DEP_4) | instskip(NEXT) | instid1(VALU_DEP_4)
	v_add_co_u32 v65, vcc_lo, v3, v81
	v_add_co_ci_u32_e32 v66, vcc_lo, v4, v82, vcc_lo
	s_delay_alu instid0(VALU_DEP_4) | instskip(NEXT) | instid1(VALU_DEP_4)
	v_add_co_u32 v76, vcc_lo, v1, v81
	v_add_co_ci_u32_e32 v77, vcc_lo, v2, v82, vcc_lo
	s_clause 0xf
	global_load_b128 v[1:4], v[65:66], off
	global_load_b128 v[5:8], v[65:66], off offset:512
	global_load_b128 v[9:12], v[76:77], off offset:256
	;; [unrolled: 1-line block ×15, first 2 shown]
	v_add_co_u32 v78, vcc_lo, 0x1000, v65
	v_add_co_ci_u32_e32 v79, vcc_lo, 0, v66, vcc_lo
	v_cmp_gt_u32_e32 vcc_lo, 12, v73
	s_clause 0x1
	global_load_b128 v[65:68], v[78:79], off
	global_load_b128 v[69:72], v[78:79], off offset:512
	s_or_b32 s6, s12, 0xc0
	v_cndmask_b32_e32 v80, v80, v73, vcc_lo
	v_add_co_u32 v76, vcc_lo, 0x1000, v76
	v_add_co_ci_u32_e32 v77, vcc_lo, 0, v77, vcc_lo
	s_delay_alu instid0(VALU_DEP_3)
	v_lshlrev_b32_e32 v80, 6, v80
	ds_load_b128 v[85:88], v80
	ds_load_b128 v[89:92], v80 offset:1024
	s_clause 0x1
	global_load_b128 v[93:96], v[76:77], off offset:256
	global_load_b128 v[97:100], v[76:77], off offset:768
	ds_load_b128 v[109:112], v80 offset:2048
	ds_load_b128 v[113:116], v80 offset:3072
	s_ashr_i32 s8, s6, 5
	s_cmp_lt_i32 s6, s17
	s_cselect_b32 s8, s8, s4
	s_delay_alu instid0(SALU_CYCLE_1) | instskip(NEXT) | instid1(SALU_CYCLE_1)
	s_ashr_i32 s9, s8, 31
	s_lshl_b64 s[8:9], s[8:9], 2
	s_delay_alu instid0(SALU_CYCLE_1) | instskip(SKIP_2) | instid1(SALU_CYCLE_1)
	s_add_u32 s8, s7, s8
	s_addc_u32 s9, s13, s9
	s_or_b32 s6, s12, 0xe0
	s_ashr_i32 s15, s6, 5
	s_cmp_lt_i32 s6, s17
	s_cselect_b32 s24, s15, s4
	s_delay_alu instid0(SALU_CYCLE_1) | instskip(NEXT) | instid1(SALU_CYCLE_1)
	s_ashr_i32 s25, s24, 31
	s_lshl_b64 s[24:25], s[24:25], 2
	s_delay_alu instid0(SALU_CYCLE_1) | instskip(SKIP_2) | instid1(SALU_CYCLE_1)
	s_add_u32 s24, s7, s24
	s_addc_u32 s25, s13, s25
	s_add_i32 s6, s12, 0x100
	s_ashr_i32 s15, s6, 5
	s_cmp_lt_i32 s6, s17
	s_cselect_b32 s36, s15, s4
	s_delay_alu instid0(SALU_CYCLE_1) | instskip(NEXT) | instid1(SALU_CYCLE_1)
	s_ashr_i32 s37, s36, 31
	s_lshl_b64 s[36:37], s[36:37], 2
	s_delay_alu instid0(SALU_CYCLE_1)
	s_add_u32 s6, s7, s36
	s_addc_u32 s7, s13, s37
	s_add_u32 s4, s10, s2
	s_addc_u32 s19, s11, s3
	s_lshl_b64 s[2:3], s[20:21], 1
	s_lshl_b64 s[10:11], s[26:27], 1
	;; [unrolled: 1-line block ×3, first 2 shown]
	s_waitcnt vmcnt(18) lgkmcnt(2)
	v_wmma_f32_16x16x16_bf16 v[117:124], v[1:8], v[85:92], v[101:108]
	s_waitcnt vmcnt(16)
	v_wmma_f32_16x16x16_bf16 v[101:108], v[9:16], v[85:92], v[101:108]
	s_clause 0x3
	global_load_b128 v[1:4], v[78:79], off offset:1024
	global_load_b128 v[5:8], v[78:79], off offset:1536
	;; [unrolled: 1-line block ×4, first 2 shown]
	s_waitcnt vmcnt(18) lgkmcnt(0)
	v_wmma_f32_16x16x16_bf16 v[117:124], v[17:24], v[109:116], v[117:124]
	s_clause 0x1
	global_load_b128 v[17:20], v[78:79], off offset:2048
	global_load_b128 v[21:24], v[78:79], off offset:2560
	s_waitcnt vmcnt(18)
	v_wmma_f32_16x16x16_bf16 v[101:108], v[25:32], v[109:116], v[101:108]
	ds_load_b128 v[25:28], v80 offset:4096
	ds_load_b128 v[29:32], v80 offset:5120
	s_clause 0x5
	global_load_b128 v[109:112], v[76:77], off offset:2304
	global_load_b128 v[113:116], v[76:77], off offset:2816
	;; [unrolled: 1-line block ×6, first 2 shown]
	s_waitcnt vmcnt(22) lgkmcnt(0)
	v_wmma_f32_16x16x16_bf16 v[117:124], v[33:40], v[25:32], v[117:124]
	s_waitcnt vmcnt(20)
	v_wmma_f32_16x16x16_bf16 v[101:108], v[41:48], v[25:32], v[101:108]
	ds_load_b128 v[25:28], v80 offset:6144
	ds_load_b128 v[29:32], v80 offset:7168
	;; [unrolled: 1-line block ×4, first 2 shown]
	s_waitcnt vmcnt(18) lgkmcnt(2)
	v_wmma_f32_16x16x16_bf16 v[117:124], v[49:56], v[25:32], v[117:124]
	s_waitcnt vmcnt(16)
	v_wmma_f32_16x16x16_bf16 v[101:108], v[57:64], v[25:32], v[101:108]
	ds_load_b128 v[25:28], v80 offset:10240
	ds_load_b128 v[29:32], v80 offset:11264
	;; [unrolled: 1-line block ×6, first 2 shown]
	s_waitcnt vmcnt(14) lgkmcnt(6)
	v_wmma_f32_16x16x16_bf16 v[117:124], v[65:72], v[33:40], v[117:124]
	s_waitcnt vmcnt(12)
	v_wmma_f32_16x16x16_bf16 v[101:108], v[93:100], v[33:40], v[101:108]
	s_clause 0x2
	s_load_b32 s16, s[8:9], 0x0
	s_load_b32 s13, s[24:25], 0x0
	;; [unrolled: 1-line block ×3, first 2 shown]
	s_lshl_b64 s[6:7], s[22:23], 1
	s_mul_hi_i32 s9, s33, s5
	s_mul_i32 s8, s33, s5
	s_lshl_b64 s[22:23], s[38:39], 1
	s_lshl_b64 s[8:9], s[8:9], 1
	s_waitcnt lgkmcnt(0)
	s_mul_hi_i32 s25, s16, s5
	s_mul_i32 s24, s16, s5
	s_waitcnt vmcnt(10)
	v_wmma_f32_16x16x16_bf16 v[117:124], v[1:8], v[25:32], v[117:124]
	s_waitcnt vmcnt(8)
	v_wmma_f32_16x16x16_bf16 v[101:108], v[9:16], v[25:32], v[101:108]
	s_waitcnt vmcnt(6)
	s_delay_alu instid0(VALU_DEP_2) | instskip(SKIP_1) | instid1(VALU_DEP_2)
	v_wmma_f32_16x16x16_bf16 v[117:124], v[17:24], v[141:148], v[117:124]
	s_waitcnt vmcnt(4)
	v_wmma_f32_16x16x16_bf16 v[101:108], v[109:116], v[141:148], v[101:108]
	s_waitcnt vmcnt(2)
	s_delay_alu instid0(VALU_DEP_2) | instskip(SKIP_3) | instid1(VALU_DEP_3)
	v_wmma_f32_16x16x16_bf16 v[117:124], v[125:132], v[149:156], v[117:124]
	v_lshlrev_b32_e32 v85, 6, v73
	s_waitcnt vmcnt(0)
	v_wmma_f32_16x16x16_bf16 v[101:108], v[133:140], v[149:156], v[101:108]
	v_mul_f32_e32 v100, s18, v124
	s_delay_alu instid0(VALU_DEP_3) | instskip(SKIP_2) | instid1(VALU_DEP_3)
	v_lshl_or_b32 v41, v74, 10, v85
	v_mul_f32_e32 v99, s18, v118
	v_mul_f32_e32 v97, s18, v117
	v_add_co_u32 v76, s4, s4, v41
	s_delay_alu instid0(VALU_DEP_1) | instskip(NEXT) | instid1(VALU_DEP_2)
	v_add_co_ci_u32_e64 v77, null, s19, 0, s4
	v_add_co_u32 v41, vcc_lo, v76, s2
	s_delay_alu instid0(VALU_DEP_2)
	v_add_co_ci_u32_e32 v42, vcc_lo, s3, v77, vcc_lo
	v_add_co_u32 v33, vcc_lo, v76, s6
	v_add_co_ci_u32_e32 v34, vcc_lo, s7, v77, vcc_lo
	v_add_co_u32 v35, vcc_lo, v76, s10
	v_add_co_ci_u32_e32 v36, vcc_lo, s11, v77, vcc_lo
	v_add_co_u32 v37, vcc_lo, v76, s20
	v_add_co_ci_u32_e32 v38, vcc_lo, s21, v77, vcc_lo
	v_add_co_u32 v39, vcc_lo, v76, s8
	v_add_co_ci_u32_e32 v40, vcc_lo, s9, v77, vcc_lo
	v_add_co_u32 v5, vcc_lo, v76, s22
	s_lshl_b64 s[2:3], s[24:25], 1
	v_add_co_ci_u32_e32 v6, vcc_lo, s23, v77, vcc_lo
	s_mul_hi_i32 s7, s13, s5
	s_mul_i32 s6, s13, s5
	v_add_co_u32 v17, vcc_lo, v76, s2
	v_add_co_ci_u32_e32 v18, vcc_lo, s3, v77, vcc_lo
	s_lshl_b64 s[2:3], s[6:7], 1
	s_mul_hi_i32 s7, s15, s5
	s_mul_i32 s6, s15, s5
	v_add_co_u32 v19, vcc_lo, v76, s2
	v_add_co_ci_u32_e32 v20, vcc_lo, s3, v77, vcc_lo
	s_lshl_b64 s[2:3], s[6:7], 1
	s_clause 0x1
	global_load_b128 v[65:68], v[41:42], off
	global_load_b128 v[69:72], v[41:42], off offset:16
	v_add_co_u32 v21, vcc_lo, v76, s2
	v_add_co_ci_u32_e32 v22, vcc_lo, s3, v77, vcc_lo
	s_clause 0xf
	global_load_b128 v[57:60], v[33:34], off
	global_load_b128 v[61:64], v[33:34], off offset:16
	global_load_b128 v[49:52], v[35:36], off
	global_load_b128 v[53:56], v[35:36], off offset:16
	;; [unrolled: 2-line block ×8, first 2 shown]
	v_mbcnt_lo_u32_b32 v77, -1, 0
	s_waitcnt vmcnt(0)
	s_barrier
	buffer_gl0_inv
	v_xor_b32_e32 v78, 16, v77
	s_delay_alu instid0(VALU_DEP_1) | instskip(SKIP_1) | instid1(VALU_DEP_1)
	v_cmp_gt_i32_e32 vcc_lo, 32, v78
	v_dual_cndmask_b32 v77, v77, v78 :: v_dual_and_b32 v76, 0xe0, v0
	v_add_nc_u32_e32 v76, s12, v76
	s_delay_alu instid0(VALU_DEP_1) | instskip(NEXT) | instid1(VALU_DEP_1)
	v_or_b32_e32 v76, v76, v83
	v_or_b32_e32 v78, 2, v76
	;; [unrolled: 1-line block ×4, first 2 shown]
	v_cmp_gt_i32_e32 vcc_lo, s17, v76
	v_or_b32_e32 v86, 8, v76
	v_cmp_gt_i32_e64 s2, s17, v78
	v_or_b32_e32 v87, 10, v76
	v_or_b32_e32 v88, 12, v76
	;; [unrolled: 1-line block ×11, first 2 shown]
	v_cndmask_b32_e32 v76, 0xff7fffff, v97, vcc_lo
	v_cmp_gt_i32_e64 s3, s17, v80
	v_mul_f32_e32 v80, s18, v119
	v_cndmask_b32_e64 v78, 0xff7fffff, v99, s2
	v_mul_f32_e32 v99, s18, v120
	v_cmp_gt_i32_e64 s4, s17, v79
	v_mul_f32_e32 v97, s18, v123
	v_mul_f32_e32 v79, s18, v122
	v_max3_f32 v76, v76, 0xff7fffff, v78
	v_mul_f32_e32 v78, s18, v121
	v_cndmask_b32_e64 v80, 0xff7fffff, v80, s4
	v_cmp_gt_i32_e64 s5, s17, v86
	v_cmp_gt_i32_e64 s6, s17, v87
	v_mul_f32_e32 v86, s18, v107
	v_cndmask_b32_e64 v99, 0xff7fffff, v99, s3
	v_cmp_gt_i32_e64 s7, s17, v89
	v_cndmask_b32_e64 v78, 0xff7fffff, v78, s5
	v_cmp_gt_i32_e64 s8, s17, v88
	v_mul_f32_e32 v89, s18, v101
	v_max3_f32 v76, v76, v80, v99
	v_mul_f32_e32 v80, s18, v108
	v_cndmask_b32_e64 v79, 0xff7fffff, v79, s6
	v_dual_mul_f32 v99, s18, v105 :: v_dual_mul_f32 v88, s18, v102
	v_cndmask_b32_e64 v97, 0xff7fffff, v97, s8
	v_cndmask_b32_e64 v100, 0xff7fffff, v100, s7
	s_delay_alu instid0(VALU_DEP_4) | instskip(SKIP_4) | instid1(VALU_DEP_4)
	v_max3_f32 v76, v76, v78, v79
	v_cmp_gt_i32_e64 s9, s17, v90
	v_cmp_gt_i32_e64 s10, s17, v91
	v_dual_mul_f32 v87, s18, v106 :: v_dual_mul_f32 v78, s18, v104
	v_mul_f32_e32 v79, s18, v103
	v_cndmask_b32_e64 v89, 0xff7fffff, v89, s9
	s_delay_alu instid0(VALU_DEP_4)
	v_cndmask_b32_e64 v88, 0xff7fffff, v88, s10
	v_max3_f32 v76, v76, v97, v100
	v_cmp_gt_i32_e64 s11, s17, v92
	v_cmp_gt_i32_e64 s12, s17, v93
	;; [unrolled: 1-line block ×4, first 2 shown]
	v_max3_f32 v76, v76, v89, v88
	v_cndmask_b32_e64 v79, 0xff7fffff, v79, s11
	v_cndmask_b32_e64 v78, 0xff7fffff, v78, s12
	;; [unrolled: 1-line block ×4, first 2 shown]
	v_cmp_gt_i32_e64 s16, s17, v96
	v_cmp_gt_i32_e64 s17, s17, v98
	v_max3_f32 v76, v76, v79, v78
	v_lshlrev_b32_e32 v99, 2, v77
	s_delay_alu instid0(VALU_DEP_4) | instskip(NEXT) | instid1(VALU_DEP_4)
	v_cndmask_b32_e64 v78, 0xff7fffff, v86, s16
	v_cndmask_b32_e64 v79, 0xff7fffff, v80, s17
	s_delay_alu instid0(VALU_DEP_4) | instskip(NEXT) | instid1(VALU_DEP_1)
	v_max3_f32 v76, v76, v88, v87
	v_max3_f32 v76, v76, v78, v79
	ds_bpermute_b32 v77, v99, v76
	s_waitcnt lgkmcnt(0)
	v_max_f32_e32 v77, v77, v77
	s_delay_alu instid0(VALU_DEP_1) | instskip(NEXT) | instid1(VALU_DEP_1)
	v_max_f32_e32 v76, v76, v77
	v_fma_f32 v78, s18, v118, -v76
	v_fma_f32 v77, s18, v117, -v76
	;; [unrolled: 1-line block ×5, first 2 shown]
	v_mul_f32_e32 v78, 0x3fb8aa3b, v78
	v_fma_f32 v87, s18, v123, -v76
	v_fma_f32 v88, s18, v105, -v76
	v_mul_f32_e32 v80, 0x3fb8aa3b, v80
	v_mul_f32_e32 v86, 0x3fb8aa3b, v86
	v_exp_f32_e32 v78, v78
	v_fma_f32 v90, s18, v107, -v76
	v_fma_f32 v100, s18, v108, -v76
	v_exp_f32_e32 v80, v80
	v_exp_f32_e32 v86, v86
	v_mul_f32_e32 v88, 0x3fb8aa3b, v88
	s_delay_alu instid0(VALU_DEP_2) | instskip(NEXT) | instid1(TRANS32_DEP_3)
	v_mul_f32_e32 v100, 0x3fb8aa3b, v100
	v_cndmask_b32_e64 v91, 0, v78, s2
	v_mul_f32_e32 v77, 0x3fb8aa3b, v77
	s_delay_alu instid0(VALU_DEP_4) | instskip(NEXT) | instid1(TRANS32_DEP_3)
	v_exp_f32_e32 v88, v88
	v_cndmask_b32_e64 v95, 0, v80, s3
	v_fma_f32 v80, s18, v101, -v76
	s_delay_alu instid0(TRANS32_DEP_2)
	v_cndmask_b32_e64 v96, 0, v86, s5
	v_exp_f32_e32 v77, v77
	v_mul_f32_e32 v79, 0x3fb8aa3b, v79
	v_fma_f32 v86, s18, v102, -v76
	v_mul_f32_e32 v80, 0x3fb8aa3b, v80
	s_mov_b32 s2, exec_lo
	v_exp_f32_e32 v100, v100
	s_delay_alu instid0(VALU_DEP_1) | instskip(NEXT) | instid1(TRANS32_DEP_3)
	v_exp_f32_e32 v80, v80
	v_cndmask_b32_e32 v92, 0, v77, vcc_lo
	v_exp_f32_e32 v79, v79
	v_fma_f32 v77, s18, v122, -v76
	s_delay_alu instid0(VALU_DEP_2) | instskip(NEXT) | instid1(VALU_DEP_1)
	v_add_f32_e32 v78, 0, v92
	v_add_f32_e32 v78, v78, v91
	s_waitcnt_depctr 0xfff
	v_cndmask_b32_e64 v93, 0, v79, s4
	v_mul_f32_e32 v87, 0x3fb8aa3b, v87
	v_fma_f32 v79, s18, v124, -v76
	s_delay_alu instid0(VALU_DEP_3) | instskip(SKIP_1) | instid1(VALU_DEP_3)
	v_add_f32_e32 v78, v78, v93
	v_mul_f32_e32 v77, 0x3fb8aa3b, v77
	v_mul_f32_e32 v79, 0x3fb8aa3b, v79
	v_exp_f32_e32 v87, v87
	s_delay_alu instid0(VALU_DEP_3) | instskip(NEXT) | instid1(VALU_DEP_3)
	v_add_f32_e32 v78, v78, v95
	v_exp_f32_e32 v77, v77
	s_delay_alu instid0(VALU_DEP_2) | instskip(NEXT) | instid1(TRANS32_DEP_3)
	v_exp_f32_e32 v79, v79
	v_cndmask_b32_e64 v94, 0, v87, s8
	v_fma_f32 v87, s18, v104, -v76
	s_waitcnt_depctr 0xfff
	v_cndmask_b32_e64 v97, 0, v77, s6
	v_add_f32_e32 v77, v78, v96
	v_fma_f32 v78, s18, v103, -v76
	v_mul_f32_e32 v86, 0x3fb8aa3b, v86
	v_cndmask_b32_e64 v98, 0, v79, s7
	v_mul_f32_e32 v87, 0x3fb8aa3b, v87
	s_delay_alu instid0(VALU_DEP_4) | instskip(NEXT) | instid1(VALU_DEP_4)
	v_dual_add_f32 v77, v77, v97 :: v_dual_mul_f32 v78, 0x3fb8aa3b, v78
	v_exp_f32_e32 v86, v86
	s_delay_alu instid0(VALU_DEP_2) | instskip(NEXT) | instid1(VALU_DEP_1)
	v_exp_f32_e32 v87, v87
	v_add_f32_e32 v79, v77, v94
	s_delay_alu instid0(VALU_DEP_2) | instskip(SKIP_2) | instid1(VALU_DEP_3)
	v_exp_f32_e32 v89, v78
	v_cndmask_b32_e64 v77, 0, v80, s9
	v_fma_f32 v80, s18, v106, -v76
	v_add_f32_e32 v79, v79, v98
	s_delay_alu instid0(TRANS32_DEP_3) | instskip(NEXT) | instid1(VALU_DEP_3)
	v_cndmask_b32_e64 v78, 0, v86, s10
	v_mul_f32_e32 v80, 0x3fb8aa3b, v80
	s_delay_alu instid0(VALU_DEP_3) | instskip(NEXT) | instid1(TRANS32_DEP_1)
	v_add_f32_e32 v86, v79, v77
	v_cndmask_b32_e64 v79, 0, v89, s11
	v_mul_f32_e32 v89, 0x3fb8aa3b, v90
	s_delay_alu instid0(VALU_DEP_4) | instskip(SKIP_2) | instid1(VALU_DEP_3)
	v_exp_f32_e32 v90, v80
	v_cndmask_b32_e64 v80, 0, v87, s12
	v_add_f32_e32 v86, v86, v78
	v_exp_f32_e32 v89, v89
	s_delay_alu instid0(VALU_DEP_1) | instskip(SKIP_1) | instid1(VALU_DEP_2)
	v_add_f32_e32 v87, v86, v79
	v_cndmask_b32_e64 v86, 0, v88, s13
	v_add_f32_e32 v88, v87, v80
	s_delay_alu instid0(TRANS32_DEP_2) | instskip(NEXT) | instid1(VALU_DEP_2)
	v_cndmask_b32_e64 v87, 0, v90, s15
	v_add_f32_e32 v90, v88, v86
	s_waitcnt_depctr 0xfff
	v_cndmask_b32_e64 v88, 0, v89, s16
	v_add_f32_e32 v89, v90, v87
	s_delay_alu instid0(VALU_DEP_1) | instskip(SKIP_1) | instid1(VALU_DEP_1)
	v_add_f32_e32 v90, v89, v88
	v_cndmask_b32_e64 v89, 0, v100, s17
	v_add_f32_e32 v90, v90, v89
	ds_bpermute_b32 v99, v99, v90
	v_cmpx_gt_u32_e32 16, v75
	s_cbranch_execz .LBB741_14
; %bb.13:
	v_mul_u32_u24_e32 v75, 0x44, v74
	s_waitcnt lgkmcnt(0)
	v_add_f32_e32 v90, v90, v99
	s_delay_alu instid0(VALU_DEP_2) | instskip(NEXT) | instid1(VALU_DEP_1)
	v_lshl_add_u32 v75, v73, 2, v75
	v_add_nc_u32_e32 v75, 0x4000, v75
	ds_store_2addr_b32 v75, v76, v90 offset1:136
.LBB741_14:
	s_or_b32 exec_lo, exec_lo, s2
	v_lshlrev_b32_e32 v75, 2, v73
	s_waitcnt lgkmcnt(0)
	s_barrier
	buffer_gl0_inv
	v_cmp_eq_u32_e64 s2, 1, v74
	v_add_nc_u32_e32 v90, 0x4000, v75
	ds_load_2addr_b32 v[99:100], v90 offset1:17
	ds_load_2addr_b32 v[101:102], v90 offset0:34 offset1:51
	ds_load_2addr_b32 v[103:104], v90 offset0:68 offset1:85
	;; [unrolled: 1-line block ×4, first 2 shown]
	s_waitcnt lgkmcnt(4)
	v_max3_f32 v75, v99, 0xff7fffff, v100
	s_waitcnt lgkmcnt(3)
	s_delay_alu instid0(VALU_DEP_1) | instskip(SKIP_1) | instid1(VALU_DEP_1)
	v_max3_f32 v75, v75, v101, v102
	s_waitcnt lgkmcnt(2)
	v_max3_f32 v75, v75, v103, v104
	s_waitcnt lgkmcnt(1)
	s_delay_alu instid0(VALU_DEP_1) | instskip(NEXT) | instid1(VALU_DEP_1)
	v_max3_f32 v75, v75, v105, v106
	v_sub_f32_e32 v109, v100, v75
	v_sub_f32_e32 v76, v99, v75
	ds_load_2addr_b32 v[99:100], v90 offset0:170 offset1:187
	v_sub_f32_e32 v101, v101, v75
	v_dual_mul_f32 v109, 0x3fb8aa3b, v109 :: v_dual_mul_f32 v76, 0x3fb8aa3b, v76
	s_delay_alu instid0(VALU_DEP_2) | instskip(NEXT) | instid1(VALU_DEP_2)
	v_mul_f32_e32 v111, 0x3fb8aa3b, v101
	v_exp_f32_e32 v109, v109
	s_delay_alu instid0(VALU_DEP_2)
	v_exp_f32_e32 v110, v76
	v_sub_f32_e32 v76, v102, v75
	ds_load_2addr_b32 v[101:102], v90 offset0:204 offset1:221
	v_exp_f32_e32 v111, v111
	v_mul_f32_e32 v112, 0x3fb8aa3b, v76
	s_waitcnt lgkmcnt(2)
	v_fma_f32 v76, v110, v107, 0
	v_sub_f32_e32 v103, v103, v75
	s_delay_alu instid0(VALU_DEP_3) | instskip(NEXT) | instid1(VALU_DEP_2)
	v_exp_f32_e32 v112, v112
	v_dual_sub_f32 v107, v104, v75 :: v_dual_fmac_f32 v76, v109, v108
	s_waitcnt lgkmcnt(1)
	s_waitcnt_depctr 0xfff
	v_fmac_f32_e32 v76, v111, v99
	v_mul_f32_e32 v113, 0x3fb8aa3b, v103
	ds_load_2addr_b32 v[103:104], v90 offset0:238 offset1:255
	v_sub_f32_e32 v90, v105, v75
	v_dual_sub_f32 v99, v106, v75 :: v_dual_fmac_f32 v76, v112, v100
	v_mul_f32_e32 v105, 0x3fb8aa3b, v107
	v_exp_f32_e32 v107, v113
	s_delay_alu instid0(VALU_DEP_2)
	v_dual_mul_f32 v90, 0x3fb8aa3b, v90 :: v_dual_mul_f32 v99, 0x3fb8aa3b, v99
	s_waitcnt lgkmcnt(0)
	s_barrier
	buffer_gl0_inv
	v_exp_f32_e32 v90, v90
	v_exp_f32_e32 v99, v99
	v_fmac_f32_e32 v76, v107, v101
	v_exp_f32_e32 v105, v105
	s_waitcnt_depctr 0xfff
	v_fmac_f32_e32 v76, v105, v102
	s_delay_alu instid0(VALU_DEP_1) | instskip(NEXT) | instid1(VALU_DEP_1)
	v_fmac_f32_e32 v76, v90, v103
	v_fmac_f32_e32 v76, v99, v104
	s_delay_alu instid0(VALU_DEP_1) | instskip(NEXT) | instid1(VALU_DEP_1)
	v_add_f32_e32 v100, 0x358637bd, v76
	v_div_scale_f32 v101, null, v100, v100, 1.0
	v_div_scale_f32 v104, vcc_lo, 1.0, v100, 1.0
	s_delay_alu instid0(VALU_DEP_2) | instskip(SKIP_2) | instid1(VALU_DEP_1)
	v_rcp_f32_e32 v102, v101
	s_waitcnt_depctr 0xfff
	v_fma_f32 v103, -v101, v102, 1.0
	v_fmac_f32_e32 v102, v103, v102
	v_cndmask_b32_e64 v103, v110, v109, s2
	v_cmp_eq_u32_e64 s2, 2, v74
	s_delay_alu instid0(VALU_DEP_3) | instskip(NEXT) | instid1(VALU_DEP_2)
	v_mul_f32_e32 v106, v104, v102
	v_cndmask_b32_e64 v103, v103, v111, s2
	v_cmp_eq_u32_e64 s2, 3, v74
	s_delay_alu instid0(VALU_DEP_3) | instskip(NEXT) | instid1(VALU_DEP_2)
	v_fma_f32 v108, -v101, v106, v104
	v_cndmask_b32_e64 v103, v103, v112, s2
	v_cmp_eq_u32_e64 s2, 4, v74
	s_delay_alu instid0(VALU_DEP_3) | instskip(NEXT) | instid1(VALU_DEP_2)
	v_fmac_f32_e32 v106, v108, v102
	v_cndmask_b32_e64 v103, v103, v107, s2
	s_delay_alu instid0(VALU_DEP_2) | instskip(SKIP_1) | instid1(VALU_DEP_2)
	v_fma_f32 v101, -v101, v106, v104
	v_cmp_eq_u32_e64 s2, 5, v74
	v_div_fmas_f32 v101, v101, v102, v106
	s_delay_alu instid0(VALU_DEP_2) | instskip(SKIP_2) | instid1(VALU_DEP_3)
	v_cndmask_b32_e64 v103, v103, v105, s2
	v_cmp_eq_u32_e32 vcc_lo, 6, v74
	s_mov_b32 s2, exec_lo
	v_div_fixup_f32 v100, v101, v100, 1.0
	s_delay_alu instid0(VALU_DEP_3) | instskip(SKIP_1) | instid1(VALU_DEP_2)
	v_cndmask_b32_e32 v90, v103, v90, vcc_lo
	v_cmp_eq_u32_e32 vcc_lo, 7, v74
	v_cndmask_b32_e32 v90, v90, v99, vcc_lo
	s_delay_alu instid0(VALU_DEP_1) | instskip(NEXT) | instid1(VALU_DEP_1)
	v_mul_f32_e32 v90, v90, v100
	v_mul_f32_e32 v100, v90, v92
	;; [unrolled: 1-line block ×6, first 2 shown]
	v_and_b32_e32 v101, 0x7f800000, v100
	v_mul_f32_e32 v99, v90, v95
	v_mul_f32_e32 v95, v90, v91
	;; [unrolled: 1-line block ×3, first 2 shown]
                                        ; implicit-def: $vgpr91
	s_delay_alu instid0(VALU_DEP_4)
	v_cmpx_ne_u32_e32 0x7f800000, v101
	s_xor_b32 s2, exec_lo, s2
; %bb.15:
	v_bfe_u32 v91, v100, 16, 1
	s_delay_alu instid0(VALU_DEP_1)
	v_add3_u32 v91, v100, v91, 0x7fff
                                        ; implicit-def: $vgpr100
; %bb.16:
	s_and_not1_saveexec_b32 s2, s2
; %bb.17:
	v_and_b32_e32 v91, 0xffff, v100
	v_or_b32_e32 v93, 0x10000, v100
	s_delay_alu instid0(VALU_DEP_2) | instskip(NEXT) | instid1(VALU_DEP_2)
	v_cmp_eq_u32_e32 vcc_lo, 0, v91
	v_cndmask_b32_e32 v91, v93, v100, vcc_lo
; %bb.18:
	s_or_b32 exec_lo, exec_lo, s2
	v_and_b32_e32 v93, 0x7f800000, v95
	s_delay_alu instid0(VALU_DEP_1) | instskip(SKIP_1) | instid1(SALU_CYCLE_1)
	v_cmp_ne_u32_e32 vcc_lo, 0x7f800000, v93
                                        ; implicit-def: $vgpr93
	s_and_saveexec_b32 s2, vcc_lo
	s_xor_b32 s2, exec_lo, s2
; %bb.19:
	v_bfe_u32 v93, v95, 16, 1
	s_delay_alu instid0(VALU_DEP_1)
	v_add3_u32 v93, v95, v93, 0x7fff
                                        ; implicit-def: $vgpr95
; %bb.20:
	s_and_not1_saveexec_b32 s2, s2
; %bb.21:
	v_and_b32_e32 v93, 0xffff, v95
	v_or_b32_e32 v100, 0x10000, v95
	s_delay_alu instid0(VALU_DEP_2) | instskip(NEXT) | instid1(VALU_DEP_2)
	v_cmp_eq_u32_e32 vcc_lo, 0, v93
	v_cndmask_b32_e32 v93, v100, v95, vcc_lo
; %bb.22:
	s_or_b32 exec_lo, exec_lo, s2
	v_and_b32_e32 v95, 0x7f800000, v96
	s_delay_alu instid0(VALU_DEP_1) | instskip(SKIP_1) | instid1(SALU_CYCLE_1)
	v_cmp_ne_u32_e32 vcc_lo, 0x7f800000, v95
                                        ; implicit-def: $vgpr95
	s_and_saveexec_b32 s2, vcc_lo
	s_xor_b32 s2, exec_lo, s2
; %bb.23:
	v_bfe_u32 v95, v96, 16, 1
	s_delay_alu instid0(VALU_DEP_1)
	v_add3_u32 v95, v96, v95, 0x7fff
                                        ; implicit-def: $vgpr96
; %bb.24:
	s_and_not1_saveexec_b32 s2, s2
; %bb.25:
	v_and_b32_e32 v95, 0xffff, v96
	v_or_b32_e32 v100, 0x10000, v96
	s_delay_alu instid0(VALU_DEP_2) | instskip(NEXT) | instid1(VALU_DEP_2)
	v_cmp_eq_u32_e32 vcc_lo, 0, v95
	v_cndmask_b32_e32 v95, v100, v96, vcc_lo
; %bb.26:
	s_or_b32 exec_lo, exec_lo, s2
	v_and_b32_e32 v96, 0x7f800000, v99
	s_delay_alu instid0(VALU_DEP_1) | instskip(SKIP_1) | instid1(SALU_CYCLE_1)
	v_cmp_ne_u32_e32 vcc_lo, 0x7f800000, v96
                                        ; implicit-def: $vgpr96
	s_and_saveexec_b32 s2, vcc_lo
	s_xor_b32 s2, exec_lo, s2
; %bb.27:
	v_bfe_u32 v96, v99, 16, 1
	s_delay_alu instid0(VALU_DEP_1)
	v_add3_u32 v96, v99, v96, 0x7fff
                                        ; implicit-def: $vgpr99
; %bb.28:
	s_and_not1_saveexec_b32 s2, s2
; %bb.29:
	v_and_b32_e32 v96, 0xffff, v99
	v_or_b32_e32 v100, 0x10000, v99
	s_delay_alu instid0(VALU_DEP_2) | instskip(NEXT) | instid1(VALU_DEP_2)
	v_cmp_eq_u32_e32 vcc_lo, 0, v96
	v_cndmask_b32_e32 v96, v100, v99, vcc_lo
; %bb.30:
	s_or_b32 exec_lo, exec_lo, s2
	v_and_b32_e32 v99, 0x7f800000, v98
	s_delay_alu instid0(VALU_DEP_1) | instskip(SKIP_1) | instid1(SALU_CYCLE_1)
	v_cmp_ne_u32_e32 vcc_lo, 0x7f800000, v99
                                        ; implicit-def: $vgpr99
	s_and_saveexec_b32 s2, vcc_lo
	s_xor_b32 s2, exec_lo, s2
; %bb.31:
	v_bfe_u32 v99, v98, 16, 1
	s_delay_alu instid0(VALU_DEP_1)
	v_add3_u32 v99, v98, v99, 0x7fff
                                        ; implicit-def: $vgpr98
; %bb.32:
	s_and_not1_saveexec_b32 s2, s2
; %bb.33:
	v_and_b32_e32 v99, 0xffff, v98
	v_or_b32_e32 v100, 0x10000, v98
	s_delay_alu instid0(VALU_DEP_2) | instskip(NEXT) | instid1(VALU_DEP_2)
	v_cmp_eq_u32_e32 vcc_lo, 0, v99
	v_cndmask_b32_e32 v99, v100, v98, vcc_lo
; %bb.34:
	s_or_b32 exec_lo, exec_lo, s2
	v_and_b32_e32 v98, 0x7f800000, v97
	s_delay_alu instid0(VALU_DEP_1) | instskip(SKIP_1) | instid1(SALU_CYCLE_1)
	v_cmp_ne_u32_e32 vcc_lo, 0x7f800000, v98
                                        ; implicit-def: $vgpr98
	s_and_saveexec_b32 s2, vcc_lo
	s_xor_b32 s2, exec_lo, s2
; %bb.35:
	v_bfe_u32 v98, v97, 16, 1
	s_delay_alu instid0(VALU_DEP_1)
	v_add3_u32 v98, v97, v98, 0x7fff
                                        ; implicit-def: $vgpr97
; %bb.36:
	s_and_not1_saveexec_b32 s2, s2
; %bb.37:
	v_and_b32_e32 v98, 0xffff, v97
	v_or_b32_e32 v100, 0x10000, v97
	s_delay_alu instid0(VALU_DEP_2) | instskip(NEXT) | instid1(VALU_DEP_2)
	v_cmp_eq_u32_e32 vcc_lo, 0, v98
	v_cndmask_b32_e32 v98, v100, v97, vcc_lo
; %bb.38:
	s_or_b32 exec_lo, exec_lo, s2
	v_and_b32_e32 v97, 0x7f800000, v94
	s_delay_alu instid0(VALU_DEP_1) | instskip(SKIP_1) | instid1(SALU_CYCLE_1)
	v_cmp_ne_u32_e32 vcc_lo, 0x7f800000, v97
                                        ; implicit-def: $vgpr97
	s_and_saveexec_b32 s2, vcc_lo
	s_xor_b32 s2, exec_lo, s2
; %bb.39:
	v_bfe_u32 v97, v94, 16, 1
	s_delay_alu instid0(VALU_DEP_1)
	v_add3_u32 v97, v94, v97, 0x7fff
                                        ; implicit-def: $vgpr94
; %bb.40:
	s_and_not1_saveexec_b32 s2, s2
; %bb.41:
	v_and_b32_e32 v97, 0xffff, v94
	v_or_b32_e32 v100, 0x10000, v94
	s_delay_alu instid0(VALU_DEP_2) | instskip(NEXT) | instid1(VALU_DEP_2)
	v_cmp_eq_u32_e32 vcc_lo, 0, v97
	v_cndmask_b32_e32 v97, v100, v94, vcc_lo
; %bb.42:
	s_or_b32 exec_lo, exec_lo, s2
	v_and_b32_e32 v94, 0x7f800000, v92
	s_delay_alu instid0(VALU_DEP_1) | instskip(SKIP_1) | instid1(SALU_CYCLE_1)
	v_cmp_ne_u32_e32 vcc_lo, 0x7f800000, v94
                                        ; implicit-def: $vgpr94
	s_and_saveexec_b32 s2, vcc_lo
	s_xor_b32 s2, exec_lo, s2
; %bb.43:
	v_bfe_u32 v94, v92, 16, 1
	s_delay_alu instid0(VALU_DEP_1)
	v_add3_u32 v94, v92, v94, 0x7fff
                                        ; implicit-def: $vgpr92
; %bb.44:
	s_and_not1_saveexec_b32 s2, s2
; %bb.45:
	v_and_b32_e32 v94, 0xffff, v92
	v_or_b32_e32 v100, 0x10000, v92
	s_delay_alu instid0(VALU_DEP_2) | instskip(NEXT) | instid1(VALU_DEP_2)
	v_cmp_eq_u32_e32 vcc_lo, 0, v94
	v_cndmask_b32_e32 v94, v100, v92, vcc_lo
; %bb.46:
	s_or_b32 exec_lo, exec_lo, s2
	s_load_b64 s[34:35], s[0:1], 0x94
	v_lshlrev_b32_e32 v92, 4, v83
	s_delay_alu instid0(VALU_DEP_2)
	v_perm_b32 v100, v94, v97, 0x7060302
	v_dual_mul_f32 v89, v90, v89 :: v_dual_lshlrev_b32 v94, 11, v74
	v_perm_b32 v97, v93, v91, 0x7060302
	v_mul_f32_e32 v93, v90, v77
	v_perm_b32 v99, v98, v99, 0x7060302
	v_perm_b32 v98, v96, v95, 0x7060302
	v_or3_b32 v77, v92, v94, v85
	v_mul_f32_e32 v88, v90, v88
	v_dual_mul_f32 v87, v90, v87 :: v_dual_and_b32 v94, 0x7f800000, v93
	v_mul_f32_e32 v86, v90, v86
	v_mul_f32_e32 v91, v90, v80
	;; [unrolled: 1-line block ×4, first 2 shown]
	s_mov_b32 s2, exec_lo
	ds_store_b128 v77, v[97:100]
                                        ; implicit-def: $vgpr78
	v_cmpx_ne_u32_e32 0x7f800000, v94
	s_xor_b32 s2, exec_lo, s2
; %bb.47:
	v_bfe_u32 v78, v93, 16, 1
	s_delay_alu instid0(VALU_DEP_1)
	v_add3_u32 v78, v93, v78, 0x7fff
                                        ; implicit-def: $vgpr93
; %bb.48:
	s_and_not1_saveexec_b32 s2, s2
; %bb.49:
	v_and_b32_e32 v78, 0xffff, v93
	v_or_b32_e32 v79, 0x10000, v93
	s_delay_alu instid0(VALU_DEP_2) | instskip(NEXT) | instid1(VALU_DEP_2)
	v_cmp_eq_u32_e32 vcc_lo, 0, v78
	v_cndmask_b32_e32 v78, v79, v93, vcc_lo
; %bb.50:
	s_or_b32 exec_lo, exec_lo, s2
	v_and_b32_e32 v79, 0x7f800000, v80
	s_delay_alu instid0(VALU_DEP_1) | instskip(SKIP_1) | instid1(SALU_CYCLE_1)
	v_cmp_ne_u32_e32 vcc_lo, 0x7f800000, v79
                                        ; implicit-def: $vgpr79
	s_and_saveexec_b32 s2, vcc_lo
	s_xor_b32 s2, exec_lo, s2
; %bb.51:
	v_bfe_u32 v79, v80, 16, 1
	s_delay_alu instid0(VALU_DEP_1)
	v_add3_u32 v79, v80, v79, 0x7fff
                                        ; implicit-def: $vgpr80
; %bb.52:
	s_and_not1_saveexec_b32 s2, s2
; %bb.53:
	v_and_b32_e32 v79, 0xffff, v80
	v_or_b32_e32 v90, 0x10000, v80
	s_delay_alu instid0(VALU_DEP_2) | instskip(NEXT) | instid1(VALU_DEP_2)
	v_cmp_eq_u32_e32 vcc_lo, 0, v79
	v_cndmask_b32_e32 v79, v90, v80, vcc_lo
; %bb.54:
	s_or_b32 exec_lo, exec_lo, s2
	v_and_b32_e32 v80, 0x7f800000, v92
	s_delay_alu instid0(VALU_DEP_1) | instskip(SKIP_1) | instid1(SALU_CYCLE_1)
	v_cmp_ne_u32_e32 vcc_lo, 0x7f800000, v80
                                        ; implicit-def: $vgpr80
	s_and_saveexec_b32 s2, vcc_lo
	s_xor_b32 s2, exec_lo, s2
; %bb.55:
	v_bfe_u32 v80, v92, 16, 1
	s_delay_alu instid0(VALU_DEP_1)
	v_add3_u32 v80, v92, v80, 0x7fff
                                        ; implicit-def: $vgpr92
; %bb.56:
	s_and_not1_saveexec_b32 s2, s2
; %bb.57:
	v_and_b32_e32 v80, 0xffff, v92
	v_or_b32_e32 v90, 0x10000, v92
	s_delay_alu instid0(VALU_DEP_2) | instskip(NEXT) | instid1(VALU_DEP_2)
	v_cmp_eq_u32_e32 vcc_lo, 0, v80
	v_cndmask_b32_e32 v80, v90, v92, vcc_lo
; %bb.58:
	s_or_b32 exec_lo, exec_lo, s2
	v_and_b32_e32 v90, 0x7f800000, v91
	s_delay_alu instid0(VALU_DEP_1) | instskip(SKIP_1) | instid1(SALU_CYCLE_1)
	v_cmp_ne_u32_e32 vcc_lo, 0x7f800000, v90
                                        ; implicit-def: $vgpr90
	s_and_saveexec_b32 s2, vcc_lo
	s_xor_b32 s2, exec_lo, s2
; %bb.59:
	v_bfe_u32 v90, v91, 16, 1
	s_delay_alu instid0(VALU_DEP_1)
	v_add3_u32 v90, v91, v90, 0x7fff
                                        ; implicit-def: $vgpr91
; %bb.60:
	s_and_not1_saveexec_b32 s2, s2
; %bb.61:
	v_and_b32_e32 v90, 0xffff, v91
	v_or_b32_e32 v92, 0x10000, v91
	s_delay_alu instid0(VALU_DEP_2) | instskip(NEXT) | instid1(VALU_DEP_2)
	v_cmp_eq_u32_e32 vcc_lo, 0, v90
	v_cndmask_b32_e32 v90, v92, v91, vcc_lo
; %bb.62:
	s_or_b32 exec_lo, exec_lo, s2
	v_and_b32_e32 v91, 0x7f800000, v86
	s_delay_alu instid0(VALU_DEP_1) | instskip(SKIP_1) | instid1(SALU_CYCLE_1)
	v_cmp_ne_u32_e32 vcc_lo, 0x7f800000, v91
                                        ; implicit-def: $vgpr91
	s_and_saveexec_b32 s2, vcc_lo
	s_xor_b32 s2, exec_lo, s2
; %bb.63:
	v_bfe_u32 v91, v86, 16, 1
	s_delay_alu instid0(VALU_DEP_1)
	v_add3_u32 v91, v86, v91, 0x7fff
                                        ; implicit-def: $vgpr86
; %bb.64:
	s_and_not1_saveexec_b32 s2, s2
; %bb.65:
	v_and_b32_e32 v91, 0xffff, v86
	v_or_b32_e32 v92, 0x10000, v86
	s_delay_alu instid0(VALU_DEP_2) | instskip(NEXT) | instid1(VALU_DEP_2)
	v_cmp_eq_u32_e32 vcc_lo, 0, v91
	v_cndmask_b32_e32 v91, v92, v86, vcc_lo
; %bb.66:
	s_or_b32 exec_lo, exec_lo, s2
	v_and_b32_e32 v86, 0x7f800000, v87
	s_delay_alu instid0(VALU_DEP_1) | instskip(SKIP_1) | instid1(SALU_CYCLE_1)
	v_cmp_ne_u32_e32 vcc_lo, 0x7f800000, v86
                                        ; implicit-def: $vgpr86
	s_and_saveexec_b32 s2, vcc_lo
	s_xor_b32 s2, exec_lo, s2
; %bb.67:
	v_bfe_u32 v86, v87, 16, 1
	s_delay_alu instid0(VALU_DEP_1)
	v_add3_u32 v86, v87, v86, 0x7fff
                                        ; implicit-def: $vgpr87
; %bb.68:
	s_and_not1_saveexec_b32 s2, s2
; %bb.69:
	v_and_b32_e32 v86, 0xffff, v87
	v_or_b32_e32 v92, 0x10000, v87
	s_delay_alu instid0(VALU_DEP_2) | instskip(NEXT) | instid1(VALU_DEP_2)
	v_cmp_eq_u32_e32 vcc_lo, 0, v86
	v_cndmask_b32_e32 v86, v92, v87, vcc_lo
; %bb.70:
	s_or_b32 exec_lo, exec_lo, s2
	v_and_b32_e32 v87, 0x7f800000, v88
	s_delay_alu instid0(VALU_DEP_1) | instskip(SKIP_1) | instid1(SALU_CYCLE_1)
	v_cmp_ne_u32_e32 vcc_lo, 0x7f800000, v87
                                        ; implicit-def: $vgpr87
	s_and_saveexec_b32 s2, vcc_lo
	s_xor_b32 s2, exec_lo, s2
; %bb.71:
	v_bfe_u32 v87, v88, 16, 1
	s_delay_alu instid0(VALU_DEP_1)
	v_add3_u32 v87, v88, v87, 0x7fff
                                        ; implicit-def: $vgpr88
; %bb.72:
	s_and_not1_saveexec_b32 s2, s2
; %bb.73:
	v_and_b32_e32 v87, 0xffff, v88
	v_or_b32_e32 v92, 0x10000, v88
	s_delay_alu instid0(VALU_DEP_2) | instskip(NEXT) | instid1(VALU_DEP_2)
	v_cmp_eq_u32_e32 vcc_lo, 0, v87
	v_cndmask_b32_e32 v87, v92, v88, vcc_lo
; %bb.74:
	s_or_b32 exec_lo, exec_lo, s2
	v_and_b32_e32 v88, 0x7f800000, v89
	s_delay_alu instid0(VALU_DEP_1) | instskip(SKIP_1) | instid1(SALU_CYCLE_1)
	v_cmp_ne_u32_e32 vcc_lo, 0x7f800000, v88
                                        ; implicit-def: $vgpr88
	s_and_saveexec_b32 s2, vcc_lo
	s_xor_b32 s2, exec_lo, s2
; %bb.75:
	v_bfe_u32 v88, v89, 16, 1
	s_delay_alu instid0(VALU_DEP_1)
	v_add3_u32 v88, v89, v88, 0x7fff
                                        ; implicit-def: $vgpr89
; %bb.76:
	s_and_not1_saveexec_b32 s2, s2
; %bb.77:
	v_and_b32_e32 v88, 0xffff, v89
	v_or_b32_e32 v92, 0x10000, v89
	s_delay_alu instid0(VALU_DEP_2) | instskip(NEXT) | instid1(VALU_DEP_2)
	v_cmp_eq_u32_e32 vcc_lo, 0, v88
	v_cndmask_b32_e32 v88, v92, v89, vcc_lo
; %bb.78:
	s_or_b32 exec_lo, exec_lo, s2
	s_delay_alu instid0(VALU_DEP_1)
	v_perm_b32 v89, v88, v87, 0x7060302
	v_perm_b32 v88, v86, v91, 0x7060302
	;; [unrolled: 1-line block ×4, first 2 shown]
	v_lshl_or_b32 v90, v74, 11, v85
	ds_store_b128 v77, v[86:89] offset:1024
	s_waitcnt lgkmcnt(0)
	s_barrier
	buffer_gl0_inv
	ds_load_b128 v[91:94], v90
	ds_load_b128 v[95:98], v90 offset:16
	v_lshlrev_b32_e32 v87, 2, v83
	s_delay_alu instid0(VALU_DEP_1)
	v_or_b32_e32 v88, 1, v87
	v_cmp_eq_u32_e32 vcc_lo, 1, v87
	v_cmp_eq_u32_e64 s3, 2, v87
	v_cmp_eq_u32_e64 s6, 3, v87
	;; [unrolled: 1-line block ×6, first 2 shown]
	v_or_b32_e32 v86, 2, v87
	v_cmp_eq_u32_e64 s9, 5, v87
	v_cmp_eq_u32_e64 s10, 4, v88
	v_cmp_eq_u32_e64 s11, 6, v87
	v_cmp_eq_u32_e64 s12, 5, v88
	s_waitcnt lgkmcnt(1)
	v_lshrrev_b32_e32 v74, 16, v91
	s_waitcnt lgkmcnt(0)
	v_lshrrev_b32_e32 v103, 16, v95
	v_lshrrev_b32_e32 v80, 16, v94
	;; [unrolled: 1-line block ×4, first 2 shown]
	v_cndmask_b32_e32 v89, v91, v74, vcc_lo
	v_cndmask_b32_e32 v99, v95, v103, vcc_lo
	v_cndmask_b32_e64 v100, v91, v74, s2
	v_lshrrev_b32_e32 v79, 16, v93
	v_lshrrev_b32_e32 v108, 16, v97
	v_cndmask_b32_e64 v89, v89, v92, s3
	v_cndmask_b32_e64 v99, v99, v96, s3
	v_cndmask_b32_e64 v100, v100, v92, s5
	v_cndmask_b32_e64 v101, v95, v103, s2
	v_cmp_eq_u32_e64 s4, 1, v86
	v_cndmask_b32_e64 v89, v89, v78, s6
	v_cndmask_b32_e64 v99, v99, v107, s6
	;; [unrolled: 1-line block ×4, first 2 shown]
	v_lshrrev_b32_e32 v109, 16, v98
	v_cndmask_b32_e64 v89, v89, v93, s8
	v_cndmask_b32_e64 v99, v99, v97, s8
	;; [unrolled: 1-line block ×8, first 2 shown]
	v_cmp_eq_u32_e64 s13, 7, v87
	v_cmp_eq_u32_e64 s15, 6, v88
	v_cndmask_b32_e64 v89, v89, v94, s11
	v_cndmask_b32_e64 v99, v99, v98, s11
	v_cmp_eq_u32_e64 s16, 2, v86
	v_cndmask_b32_e64 v101, v101, v97, s10
	v_cndmask_b32_e64 v100, v100, v94, s15
	;; [unrolled: 1-line block ×6, first 2 shown]
	v_cmp_eq_u32_e64 s17, 7, v88
	v_cmp_eq_u32_e64 s18, 3, v86
	;; [unrolled: 1-line block ×4, first 2 shown]
	v_cndmask_b32_e64 v99, v99, v96, s16
	v_cndmask_b32_e64 v112, v100, v80, s17
	;; [unrolled: 1-line block ×4, first 2 shown]
	v_or_b32_e32 v89, 3, v87
	v_cndmask_b32_e64 v105, v99, v107, s18
	v_cmp_eq_u32_e64 s23, 6, v86
	v_cndmask_b32_e64 v113, v100, v98, s15
	v_cndmask_b32_e64 v104, v101, v93, s19
	ds_load_b128 v[99:102], v90 offset:1024
	v_cmp_eq_u32_e64 s20, 1, v89
	v_cmp_eq_u32_e64 s22, 2, v89
	;; [unrolled: 1-line block ×3, first 2 shown]
	v_cndmask_b32_e64 v114, v104, v79, s21
	v_cmp_eq_u32_e64 s25, 4, v89
	v_cndmask_b32_e64 v74, v91, v74, s20
	v_cndmask_b32_e64 v91, v105, v97, s19
	;; [unrolled: 1-line block ×3, first 2 shown]
	ds_load_b128 v[103:106], v90 offset:1040
	v_cmp_eq_u32_e64 s27, 5, v89
	v_cndmask_b32_e64 v74, v74, v92, s22
	v_cndmask_b32_e64 v91, v91, v108, s21
	;; [unrolled: 1-line block ×3, first 2 shown]
	v_cmp_eq_u32_e64 s28, 6, v89
	v_cndmask_b32_e64 v95, v113, v109, s17
	v_cndmask_b32_e64 v74, v74, v78, s24
	;; [unrolled: 1-line block ×5, first 2 shown]
	s_waitcnt lgkmcnt(1)
	v_lshrrev_b32_e32 v96, 16, v99
	v_cndmask_b32_e64 v74, v74, v93, s25
	v_lshrrev_b32_e32 v107, 16, v100
	v_cndmask_b32_e64 v92, v92, v97, s25
	v_cmp_eq_u32_e64 s26, 7, v86
	v_cndmask_b32_e32 v93, v99, v96, vcc_lo
	v_cndmask_b32_e64 v74, v74, v79, s27
	s_delay_alu instid0(VALU_DEP_4)
	v_cndmask_b32_e64 v79, v92, v108, s27
	s_waitcnt lgkmcnt(0)
	v_lshrrev_b32_e32 v97, 16, v103
	v_cndmask_b32_e64 v92, v93, v100, s3
	v_cndmask_b32_e64 v93, v99, v96, s2
	v_cndmask_b32_e64 v74, v74, v94, s28
	v_cndmask_b32_e64 v79, v79, v98, s28
	v_cndmask_b32_e32 v108, v103, v97, vcc_lo
	v_cndmask_b32_e64 v92, v92, v107, s6
	v_cndmask_b32_e64 v93, v93, v100, s5
	v_lshrrev_b32_e32 v98, 16, v104
	v_cmp_eq_u32_e32 vcc_lo, 7, v89
	v_cndmask_b32_e64 v94, v108, v104, s3
	v_cndmask_b32_e64 v92, v92, v101, s8
	v_lshrrev_b32_e32 v108, 16, v101
	v_cndmask_b32_e64 v93, v93, v107, s7
	v_cndmask_b32_e32 v74, v74, v80, vcc_lo
	v_cndmask_b32_e64 v94, v94, v98, s6
	v_cndmask_b32_e32 v79, v79, v109, vcc_lo
	v_cndmask_b32_e64 v92, v92, v108, s9
	v_cndmask_b32_e64 v78, v78, v80, s26
	;; [unrolled: 1-line block ×4, first 2 shown]
	v_perm_b32 v94, v79, v74, 0x5040100
	v_cndmask_b32_e64 v79, v92, v102, s11
	v_perm_b32 v92, v95, v112, 0x5040100
	v_cndmask_b32_e64 v95, v99, v96, s4
	v_cndmask_b32_e64 v96, v99, v96, s20
	;; [unrolled: 1-line block ×16, first 2 shown]
	v_lshrrev_b32_e32 v109, 16, v105
	v_cndmask_b32_e64 v95, v95, v101, s19
	v_cndmask_b32_e64 v96, v96, v101, s25
	;; [unrolled: 1-line block ×6, first 2 shown]
	v_lshrrev_b32_e32 v80, 16, v102
	v_cndmask_b32_e64 v113, v93, v109, s9
	v_cndmask_b32_e64 v95, v95, v108, s21
	;; [unrolled: 1-line block ×6, first 2 shown]
	v_perm_b32 v93, v91, v78, 0x5040100
	v_cndmask_b32_e64 v74, v74, v102, s15
	v_cndmask_b32_e64 v78, v79, v80, s13
	;; [unrolled: 1-line block ×3, first 2 shown]
	v_lshrrev_b32_e32 v91, 16, v106
	v_cndmask_b32_e64 v95, v95, v102, s23
	v_cndmask_b32_e64 v96, v96, v102, s28
	;; [unrolled: 1-line block ×7, first 2 shown]
	v_cndmask_b32_e32 v80, v96, v80, vcc_lo
	v_cndmask_b32_e32 v96, v98, v91, vcc_lo
	v_cndmask_b32_e64 v99, v99, v91, s26
	v_cndmask_b32_e64 v100, v97, v91, s17
	;; [unrolled: 1-line block ×3, first 2 shown]
	v_perm_b32 v91, v111, v110, 0x5040100
	v_perm_b32 v98, v96, v80, 0x5040100
	;; [unrolled: 1-line block ×5, first 2 shown]
	s_mul_i32 s7, s35, 12
	s_mov_b32 s2, exec_lo
	ds_store_b128 v77, v[91:94]
	ds_store_b128 v77, v[95:98] offset:1024
	v_cmpx_gt_u32_e32 12, v0
	s_cbranch_execz .LBB741_80
; %bb.79:
	s_mul_i32 s3, s7, s30
	s_load_b128 s[8:11], s[0:1], 0x58
	v_add3_u32 v77, s3, s29, v73
	s_delay_alu instid0(VALU_DEP_1) | instskip(NEXT) | instid1(VALU_DEP_1)
	v_mad_u64_u32 v[73:74], null, v77, s34, s[14:15]
	v_ashrrev_i32_e32 v74, 31, v73
	s_delay_alu instid0(VALU_DEP_1) | instskip(SKIP_1) | instid1(VALU_DEP_1)
	v_lshlrev_b64 v[73:74], 2, v[73:74]
	s_waitcnt lgkmcnt(0)
	v_add_co_u32 v77, vcc_lo, s10, v73
	s_delay_alu instid0(VALU_DEP_2)
	v_add_co_ci_u32_e32 v78, vcc_lo, s11, v74, vcc_lo
	v_add_co_u32 v73, vcc_lo, s8, v73
	v_add_co_ci_u32_e32 v74, vcc_lo, s9, v74, vcc_lo
	global_store_b32 v[77:78], v75, off
	global_store_b32 v[73:74], v76, off
.LBB741_80:
	s_or_b32 exec_lo, exec_lo, s2
	s_waitcnt lgkmcnt(0)
	s_waitcnt_vscnt null, 0x0
	s_barrier
	buffer_gl0_inv
	ds_load_b128 v[91:94], v85
	ds_load_b128 v[95:98], v85 offset:16
	ds_load_b128 v[103:106], v85 offset:1040
	;; [unrolled: 1-line block ×3, first 2 shown]
	v_mov_b32_e32 v73, 0
	ds_load_b128 v[111:114], v85 offset:2064
	ds_load_b128 v[107:110], v85 offset:2048
	;; [unrolled: 1-line block ×6, first 2 shown]
	v_mov_b32_e32 v74, v73
	v_mov_b32_e32 v75, v73
	;; [unrolled: 1-line block ×7, first 2 shown]
	s_waitcnt lgkmcnt(8)
	s_delay_alu instid0(VALU_DEP_1)
	v_wmma_f32_16x16x16_bf16 v[73:80], v[65:72], v[91:98], v[73:80]
	ds_load_b128 v[69:72], v85 offset:5136
	ds_load_b128 v[65:68], v85 offset:5120
	;; [unrolled: 1-line block ×4, first 2 shown]
	s_waitcnt lgkmcnt(10)
	v_wmma_f32_16x16x16_bf16 v[73:80], v[57:64], v[99:106], v[73:80]
	s_waitcnt lgkmcnt(8)
	s_delay_alu instid0(VALU_DEP_1)
	v_wmma_f32_16x16x16_bf16 v[73:80], v[57:64], v[107:114], v[73:80]
	ds_load_b128 v[61:64], v85 offset:7184
	ds_load_b128 v[57:60], v85 offset:7168
	;; [unrolled: 1-line block ×4, first 2 shown]
	s_waitcnt lgkmcnt(10)
	v_wmma_f32_16x16x16_bf16 v[73:80], v[49:56], v[115:122], v[73:80]
	s_waitcnt lgkmcnt(8)
	s_delay_alu instid0(VALU_DEP_1)
	v_wmma_f32_16x16x16_bf16 v[73:80], v[49:56], v[123:130], v[73:80]
	ds_load_b128 v[53:56], v85 offset:9232
	ds_load_b128 v[49:52], v85 offset:9216
	s_waitcnt lgkmcnt(8)
	v_wmma_f32_16x16x16_bf16 v[73:80], v[41:48], v[65:72], v[73:80]
	ds_load_b128 v[69:72], v85 offset:10256
	ds_load_b128 v[65:68], v85 offset:10240
	s_waitcnt lgkmcnt(8)
	v_wmma_f32_16x16x16_bf16 v[73:80], v[41:48], v[91:98], v[73:80]
	ds_load_b128 v[45:48], v85 offset:11280
	ds_load_b128 v[41:44], v85 offset:11264
	s_waitcnt lgkmcnt(8)
	v_wmma_f32_16x16x16_bf16 v[73:80], v[9:16], v[57:64], v[73:80]
	s_waitcnt lgkmcnt(6)
	s_delay_alu instid0(VALU_DEP_1)
	v_wmma_f32_16x16x16_bf16 v[73:80], v[9:16], v[99:106], v[73:80]
	ds_load_b128 v[13:16], v85 offset:12304
	ds_load_b128 v[9:12], v85 offset:12288
	s_waitcnt lgkmcnt(6)
	v_wmma_f32_16x16x16_bf16 v[73:80], v[1:8], v[49:56], v[73:80]
	ds_load_b128 v[53:56], v85 offset:13328
	ds_load_b128 v[49:52], v85 offset:13312
	s_waitcnt lgkmcnt(6)
	;; [unrolled: 4-line block ×4, first 2 shown]
	v_wmma_f32_16x16x16_bf16 v[73:80], v[33:40], v[9:16], v[73:80]
	s_waitcnt lgkmcnt(4)
	s_delay_alu instid0(VALU_DEP_1) | instskip(SKIP_1) | instid1(VALU_DEP_1)
	v_wmma_f32_16x16x16_bf16 v[73:80], v[25:32], v[49:56], v[73:80]
	s_waitcnt lgkmcnt(2)
	v_wmma_f32_16x16x16_bf16 v[73:80], v[25:32], v[1:8], v[73:80]
	s_waitcnt lgkmcnt(0)
	s_delay_alu instid0(VALU_DEP_1) | instskip(NEXT) | instid1(VALU_DEP_1)
	v_wmma_f32_16x16x16_bf16 v[73:80], v[17:24], v[41:48], v[73:80]
	v_and_b32_e32 v1, 0x7f800000, v73
	s_delay_alu instid0(VALU_DEP_1) | instskip(SKIP_1) | instid1(SALU_CYCLE_1)
	v_cmp_ne_u32_e32 vcc_lo, 0x7f800000, v1
                                        ; implicit-def: $vgpr1
	s_and_saveexec_b32 s2, vcc_lo
	s_xor_b32 s2, exec_lo, s2
; %bb.81:
	v_bfe_u32 v1, v73, 16, 1
	s_delay_alu instid0(VALU_DEP_1)
	v_add3_u32 v1, v73, v1, 0x7fff
; %bb.82:
	s_and_not1_saveexec_b32 s2, s2
; %bb.83:
	v_and_b32_e32 v1, 0xffff, v73
	v_or_b32_e32 v2, 0x10000, v73
	s_delay_alu instid0(VALU_DEP_2) | instskip(NEXT) | instid1(VALU_DEP_2)
	v_cmp_eq_u32_e32 vcc_lo, 0, v1
	v_cndmask_b32_e32 v1, v2, v73, vcc_lo
; %bb.84:
	s_or_b32 exec_lo, exec_lo, s2
	v_and_b32_e32 v2, 0x7f800000, v74
	s_delay_alu instid0(VALU_DEP_1) | instskip(SKIP_1) | instid1(SALU_CYCLE_1)
	v_cmp_ne_u32_e32 vcc_lo, 0x7f800000, v2
                                        ; implicit-def: $vgpr2
	s_and_saveexec_b32 s2, vcc_lo
	s_xor_b32 s2, exec_lo, s2
; %bb.85:
	v_bfe_u32 v2, v74, 16, 1
	s_delay_alu instid0(VALU_DEP_1)
	v_add3_u32 v2, v74, v2, 0x7fff
; %bb.86:
	s_and_not1_saveexec_b32 s2, s2
; %bb.87:
	v_and_b32_e32 v2, 0xffff, v74
	v_or_b32_e32 v3, 0x10000, v74
	s_delay_alu instid0(VALU_DEP_2) | instskip(NEXT) | instid1(VALU_DEP_2)
	v_cmp_eq_u32_e32 vcc_lo, 0, v2
	v_cndmask_b32_e32 v2, v3, v74, vcc_lo
; %bb.88:
	s_or_b32 exec_lo, exec_lo, s2
	v_and_b32_e32 v3, 0x7f800000, v75
	s_delay_alu instid0(VALU_DEP_1) | instskip(SKIP_1) | instid1(SALU_CYCLE_1)
	v_cmp_ne_u32_e32 vcc_lo, 0x7f800000, v3
                                        ; implicit-def: $vgpr3
	s_and_saveexec_b32 s2, vcc_lo
	s_xor_b32 s2, exec_lo, s2
; %bb.89:
	v_bfe_u32 v3, v75, 16, 1
	s_delay_alu instid0(VALU_DEP_1)
	v_add3_u32 v3, v75, v3, 0x7fff
; %bb.90:
	s_and_not1_saveexec_b32 s2, s2
; %bb.91:
	v_and_b32_e32 v3, 0xffff, v75
	v_or_b32_e32 v4, 0x10000, v75
	s_delay_alu instid0(VALU_DEP_2) | instskip(NEXT) | instid1(VALU_DEP_2)
	v_cmp_eq_u32_e32 vcc_lo, 0, v3
	v_cndmask_b32_e32 v3, v4, v75, vcc_lo
; %bb.92:
	s_or_b32 exec_lo, exec_lo, s2
	v_and_b32_e32 v4, 0x7f800000, v76
	s_delay_alu instid0(VALU_DEP_1) | instskip(SKIP_1) | instid1(SALU_CYCLE_1)
	v_cmp_ne_u32_e32 vcc_lo, 0x7f800000, v4
                                        ; implicit-def: $vgpr4
	s_and_saveexec_b32 s2, vcc_lo
	s_xor_b32 s2, exec_lo, s2
; %bb.93:
	v_bfe_u32 v4, v76, 16, 1
	s_delay_alu instid0(VALU_DEP_1)
	v_add3_u32 v4, v76, v4, 0x7fff
; %bb.94:
	s_and_not1_saveexec_b32 s2, s2
; %bb.95:
	v_and_b32_e32 v4, 0xffff, v76
	v_or_b32_e32 v5, 0x10000, v76
	s_delay_alu instid0(VALU_DEP_2) | instskip(NEXT) | instid1(VALU_DEP_2)
	v_cmp_eq_u32_e32 vcc_lo, 0, v4
	v_cndmask_b32_e32 v4, v5, v76, vcc_lo
; %bb.96:
	s_or_b32 exec_lo, exec_lo, s2
	v_and_b32_e32 v5, 0x7f800000, v77
	s_delay_alu instid0(VALU_DEP_1) | instskip(SKIP_1) | instid1(SALU_CYCLE_1)
	v_cmp_ne_u32_e32 vcc_lo, 0x7f800000, v5
                                        ; implicit-def: $vgpr5
	s_and_saveexec_b32 s2, vcc_lo
	s_xor_b32 s2, exec_lo, s2
; %bb.97:
	v_bfe_u32 v5, v77, 16, 1
	s_delay_alu instid0(VALU_DEP_1)
	v_add3_u32 v5, v77, v5, 0x7fff
; %bb.98:
	s_and_not1_saveexec_b32 s2, s2
; %bb.99:
	v_and_b32_e32 v5, 0xffff, v77
	v_or_b32_e32 v6, 0x10000, v77
	s_delay_alu instid0(VALU_DEP_2) | instskip(NEXT) | instid1(VALU_DEP_2)
	v_cmp_eq_u32_e32 vcc_lo, 0, v5
	v_cndmask_b32_e32 v5, v6, v77, vcc_lo
; %bb.100:
	s_or_b32 exec_lo, exec_lo, s2
	v_and_b32_e32 v6, 0x7f800000, v78
	s_delay_alu instid0(VALU_DEP_1) | instskip(SKIP_1) | instid1(SALU_CYCLE_1)
	v_cmp_ne_u32_e32 vcc_lo, 0x7f800000, v6
                                        ; implicit-def: $vgpr6
	s_and_saveexec_b32 s2, vcc_lo
	s_xor_b32 s2, exec_lo, s2
; %bb.101:
	v_bfe_u32 v6, v78, 16, 1
	s_delay_alu instid0(VALU_DEP_1)
	v_add3_u32 v6, v78, v6, 0x7fff
; %bb.102:
	s_and_not1_saveexec_b32 s2, s2
; %bb.103:
	v_and_b32_e32 v6, 0xffff, v78
	v_or_b32_e32 v7, 0x10000, v78
	s_delay_alu instid0(VALU_DEP_2) | instskip(NEXT) | instid1(VALU_DEP_2)
	v_cmp_eq_u32_e32 vcc_lo, 0, v6
	v_cndmask_b32_e32 v6, v7, v78, vcc_lo
; %bb.104:
	s_or_b32 exec_lo, exec_lo, s2
	v_and_b32_e32 v7, 0x7f800000, v79
	s_delay_alu instid0(VALU_DEP_1) | instskip(SKIP_1) | instid1(SALU_CYCLE_1)
	v_cmp_ne_u32_e32 vcc_lo, 0x7f800000, v7
                                        ; implicit-def: $vgpr7
	s_and_saveexec_b32 s2, vcc_lo
	s_xor_b32 s2, exec_lo, s2
; %bb.105:
	v_bfe_u32 v7, v79, 16, 1
	s_delay_alu instid0(VALU_DEP_1)
	v_add3_u32 v7, v79, v7, 0x7fff
; %bb.106:
	s_and_not1_saveexec_b32 s2, s2
; %bb.107:
	v_and_b32_e32 v7, 0xffff, v79
	v_or_b32_e32 v8, 0x10000, v79
	s_delay_alu instid0(VALU_DEP_2) | instskip(NEXT) | instid1(VALU_DEP_2)
	v_cmp_eq_u32_e32 vcc_lo, 0, v7
	v_cndmask_b32_e32 v7, v8, v79, vcc_lo
; %bb.108:
	s_or_b32 exec_lo, exec_lo, s2
	v_and_b32_e32 v8, 0x7f800000, v80
	s_delay_alu instid0(VALU_DEP_1) | instskip(SKIP_1) | instid1(SALU_CYCLE_1)
	v_cmp_ne_u32_e32 vcc_lo, 0x7f800000, v8
                                        ; implicit-def: $vgpr8
	s_and_saveexec_b32 s2, vcc_lo
	s_xor_b32 s2, exec_lo, s2
; %bb.109:
	v_bfe_u32 v8, v80, 16, 1
	s_delay_alu instid0(VALU_DEP_1)
	v_add3_u32 v8, v80, v8, 0x7fff
                                        ; implicit-def: $vgpr73_vgpr74_vgpr75_vgpr76_vgpr77_vgpr78_vgpr79_vgpr80
; %bb.110:
	s_and_not1_saveexec_b32 s2, s2
; %bb.111:
	v_and_b32_e32 v8, 0xffff, v80
	v_or_b32_e32 v9, 0x10000, v80
	s_delay_alu instid0(VALU_DEP_2) | instskip(NEXT) | instid1(VALU_DEP_2)
	v_cmp_eq_u32_e32 vcc_lo, 0, v8
	v_cndmask_b32_e32 v8, v9, v80, vcc_lo
; %bb.112:
	s_or_b32 exec_lo, exec_lo, s2
	s_delay_alu instid0(VALU_DEP_1)
	v_perm_b32 v7, v8, v7, 0x7060302
	v_perm_b32 v6, v6, v5, 0x7060302
	v_perm_b32 v5, v4, v3, 0x7060302
	v_perm_b32 v4, v2, v1, 0x7060302
	v_lshl_or_b32 v9, v83, 4, v90
	s_barrier
	buffer_gl0_inv
	v_cmp_eq_u32_e32 vcc_lo, 1, v87
	ds_store_b128 v9, v[4:7]
	s_waitcnt lgkmcnt(0)
	s_barrier
	buffer_gl0_inv
	ds_load_b128 v[1:4], v90
	ds_load_b128 v[5:8], v90 offset:16
	v_cmp_eq_u32_e64 s3, 2, v87
	v_cmp_eq_u32_e64 s2, 1, v88
	;; [unrolled: 1-line block ×5, first 2 shown]
	s_waitcnt lgkmcnt(1)
	v_lshrrev_b32_e32 v10, 16, v1
	s_waitcnt lgkmcnt(0)
	v_lshrrev_b32_e32 v14, 16, v5
	v_lshrrev_b32_e32 v15, 16, v6
	;; [unrolled: 1-line block ×4, first 2 shown]
	v_cndmask_b32_e64 v20, v1, v10, s2
	v_cndmask_b32_e32 v19, v5, v14, vcc_lo
	v_cndmask_b32_e64 v21, v5, v14, s2
	v_lshrrev_b32_e32 v16, 16, v7
	v_cmp_eq_u32_e64 s2, 1, v86
	v_lshrrev_b32_e32 v13, 16, v4
	v_cndmask_b32_e64 v19, v19, v6, s3
	v_lshrrev_b32_e32 v17, 16, v8
	s_delay_alu instid0(VALU_DEP_4) | instskip(SKIP_1) | instid1(VALU_DEP_4)
	v_cndmask_b32_e64 v22, v1, v10, s2
	v_cndmask_b32_e64 v23, v5, v14, s2
	;; [unrolled: 1-line block ×3, first 2 shown]
	v_cndmask_b32_e32 v18, v1, v10, vcc_lo
	v_cmp_eq_u32_e32 vcc_lo, 2, v88
	v_cmp_eq_u32_e64 s2, 2, v89
	v_cndmask_b32_e64 v22, v22, v2, s6
	v_cndmask_b32_e32 v20, v20, v2, vcc_lo
	v_cndmask_b32_e32 v21, v21, v6, vcc_lo
	v_cmp_eq_u32_e32 vcc_lo, 4, v87
	v_cndmask_b32_e32 v19, v19, v7, vcc_lo
	v_cndmask_b32_e64 v18, v18, v2, s3
	v_cmp_eq_u32_e64 s3, 3, v88
	s_delay_alu instid0(VALU_DEP_2) | instskip(NEXT) | instid1(VALU_DEP_2)
	v_cndmask_b32_e64 v18, v18, v11, s4
	v_cndmask_b32_e64 v21, v21, v15, s3
	v_cmp_eq_u32_e64 s4, 5, v87
	s_delay_alu instid0(VALU_DEP_3) | instskip(SKIP_1) | instid1(VALU_DEP_3)
	v_cndmask_b32_e32 v18, v18, v3, vcc_lo
	v_cmp_eq_u32_e32 vcc_lo, 4, v88
	v_cndmask_b32_e64 v19, v19, v16, s4
	s_delay_alu instid0(VALU_DEP_3) | instskip(SKIP_4) | instid1(VALU_DEP_3)
	v_cndmask_b32_e64 v18, v18, v12, s4
	v_cndmask_b32_e32 v21, v21, v7, vcc_lo
	v_cndmask_b32_e64 v20, v20, v11, s3
	v_cmp_eq_u32_e64 s3, 5, v88
	v_cmp_eq_u32_e64 s4, 6, v87
	v_cndmask_b32_e32 v20, v20, v3, vcc_lo
	s_delay_alu instid0(VALU_DEP_3) | instskip(SKIP_1) | instid1(VALU_DEP_4)
	v_cndmask_b32_e64 v21, v21, v16, s3
	v_cmp_eq_u32_e32 vcc_lo, 6, v88
	v_cndmask_b32_e64 v18, v18, v4, s4
	v_cndmask_b32_e64 v19, v19, v8, s4
	;; [unrolled: 1-line block ×3, first 2 shown]
	v_cmp_eq_u32_e64 s3, 1, v89
	v_cmp_eq_u32_e64 s4, 7, v87
	s_delay_alu instid0(VALU_DEP_3) | instskip(NEXT) | instid1(VALU_DEP_3)
	v_cndmask_b32_e32 v20, v20, v4, vcc_lo
	v_cndmask_b32_e64 v1, v1, v10, s3
	v_cndmask_b32_e64 v5, v5, v14, s3
	v_cmp_eq_u32_e64 s3, 3, v86
	v_cndmask_b32_e64 v14, v23, v6, s6
	v_cmp_eq_u32_e64 s6, 3, v89
	v_cndmask_b32_e64 v1, v1, v2, s2
	v_cndmask_b32_e64 v2, v5, v6, s2
	;; [unrolled: 1-line block ×3, first 2 shown]
	v_cmp_eq_u32_e64 s2, 4, v86
	v_cndmask_b32_e64 v6, v14, v15, s3
	v_cndmask_b32_e64 v1, v1, v11, s6
	v_cmp_eq_u32_e64 s3, 4, v89
	v_cndmask_b32_e64 v2, v2, v15, s6
	v_cndmask_b32_e64 v5, v10, v3, s2
	;; [unrolled: 3-line block ×3, first 2 shown]
	v_cndmask_b32_e64 v2, v2, v7, s3
	v_cmp_eq_u32_e64 s2, 5, v89
	v_cndmask_b32_e64 v5, v5, v12, s6
	v_cmp_eq_u32_e64 s3, 6, v86
	v_cndmask_b32_e64 v3, v6, v16, s6
	v_cmp_eq_u32_e64 s6, 6, v89
	v_cndmask_b32_e64 v1, v1, v12, s2
	v_cndmask_b32_e64 v2, v2, v16, s2
	;; [unrolled: 1-line block ×4, first 2 shown]
	v_cmp_eq_u32_e64 s2, 7, v89
	v_cndmask_b32_e64 v1, v1, v4, s6
	v_cndmask_b32_e64 v2, v2, v8, s6
	v_cmp_eq_u32_e64 s3, 7, v86
	v_cndmask_b32_e32 v4, v21, v8, vcc_lo
	v_cndmask_b32_e64 v18, v18, v13, s4
	v_cndmask_b32_e64 v20, v20, v13, s5
	;; [unrolled: 1-line block ×8, first 2 shown]
	s_mov_b32 s2, exec_lo
	v_perm_b32 v4, v2, v1, 0x5040100
	v_perm_b32 v3, v3, v5, 0x5040100
	;; [unrolled: 1-line block ×4, first 2 shown]
	ds_store_b128 v9, v[1:4]
	s_waitcnt lgkmcnt(0)
	s_barrier
	buffer_gl0_inv
	v_cmpx_gt_u32_e32 32, v0
	s_cbranch_execz .LBB741_2
; %bb.113:
	s_load_b64 s[0:1], s[0:1], 0x68
	v_lshlrev_b32_e32 v0, 10, v0
	s_lshl_b32 s4, s34, 7
	v_or_b32_e32 v3, s29, v83
	s_mul_i32 s2, s4, s30
	v_lshlrev_b32_e32 v1, 4, v84
	s_mul_i32 s2, s2, s7
	v_lshlrev_b32_e32 v2, 6, v83
	v_and_b32_e32 v0, 0x3800, v0
	s_ashr_i32 s3, s2, 31
	v_mul_lo_u32 v4, v3, s4
	s_lshl_b64 s[2:3], s[2:3], 1
	s_delay_alu instid0(VALU_DEP_2) | instskip(NEXT) | instid1(VALU_DEP_2)
	v_or3_b32 v16, v0, v1, v2
	v_ashrrev_i32_e32 v5, 31, v4
	ds_load_b128 v[0:3], v16
	s_waitcnt lgkmcnt(0)
	s_add_u32 s2, s0, s2
	s_addc_u32 s3, s1, s3
	s_lshl_b32 s0, s14, 7
	v_lshlrev_b64 v[5:6], 1, v[4:5]
	s_ashr_i32 s1, s0, 31
	s_delay_alu instid0(SALU_CYCLE_1) | instskip(NEXT) | instid1(SALU_CYCLE_1)
	s_lshl_b64 s[0:1], s[0:1], 1
	s_add_u32 s0, s2, s0
	s_addc_u32 s1, s3, s1
	s_lshl_b32 s2, s34, 8
	v_add_co_u32 v30, vcc_lo, s0, v81
	v_add_nc_u32_e32 v8, s2, v4
	v_add_co_ci_u32_e32 v31, vcc_lo, s1, v82, vcc_lo
	s_delay_alu instid0(VALU_DEP_3) | instskip(NEXT) | instid1(VALU_DEP_3)
	v_add_co_u32 v12, vcc_lo, v30, v5
	v_add_nc_u32_e32 v10, s2, v8
	v_ashrrev_i32_e32 v9, 31, v8
	s_delay_alu instid0(VALU_DEP_4)
	v_add_co_ci_u32_e32 v13, vcc_lo, v31, v6, vcc_lo
	ds_load_b128 v[4:7], v16 offset:128
	v_ashrrev_i32_e32 v11, 31, v10
	v_lshlrev_b64 v[8:9], 1, v[8:9]
	v_add_nc_u32_e32 v14, s2, v10
	global_store_b128 v[12:13], v[0:3], off
	v_lshlrev_b64 v[0:1], 1, v[10:11]
	v_ashrrev_i32_e32 v15, 31, v14
	v_add_co_u32 v22, vcc_lo, v30, v8
	v_add_nc_u32_e32 v20, s2, v14
	v_add_co_ci_u32_e32 v23, vcc_lo, v31, v9, vcc_lo
	v_add_co_u32 v26, vcc_lo, v30, v0
	v_lshlrev_b64 v[24:25], 1, v[14:15]
	v_add_co_ci_u32_e32 v27, vcc_lo, v31, v1, vcc_lo
	ds_load_b128 v[0:3], v16 offset:256
	ds_load_b128 v[8:11], v16 offset:384
	;; [unrolled: 1-line block ×4, first 2 shown]
	v_add_nc_u32_e32 v28, s2, v20
	v_ashrrev_i32_e32 v21, 31, v20
	v_add_co_u32 v24, vcc_lo, v30, v24
	v_add_co_ci_u32_e32 v25, vcc_lo, v31, v25, vcc_lo
	s_delay_alu instid0(VALU_DEP_4) | instskip(NEXT) | instid1(VALU_DEP_4)
	v_ashrrev_i32_e32 v29, 31, v28
	v_lshlrev_b64 v[20:21], 1, v[20:21]
	s_delay_alu instid0(VALU_DEP_2) | instskip(NEXT) | instid1(VALU_DEP_2)
	v_lshlrev_b64 v[28:29], 1, v[28:29]
	v_add_co_u32 v20, vcc_lo, v30, v20
	s_delay_alu instid0(VALU_DEP_3) | instskip(NEXT) | instid1(VALU_DEP_3)
	v_add_co_ci_u32_e32 v21, vcc_lo, v31, v21, vcc_lo
	v_add_co_u32 v28, vcc_lo, v30, v28
	s_delay_alu instid0(VALU_DEP_4)
	v_add_co_ci_u32_e32 v29, vcc_lo, v31, v29, vcc_lo
	s_waitcnt lgkmcnt(4)
	global_store_b128 v[22:23], v[4:7], off
	s_waitcnt lgkmcnt(3)
	global_store_b128 v[26:27], v[0:3], off
	s_waitcnt lgkmcnt(2)
	global_store_b128 v[24:25], v[8:11], off
	s_waitcnt lgkmcnt(1)
	global_store_b128 v[20:21], v[12:15], off
	s_waitcnt lgkmcnt(0)
	global_store_b128 v[28:29], v[16:19], off
	s_nop 0
	s_sendmsg sendmsg(MSG_DEALLOC_VGPRS)
	s_endpgm
	.section	.rodata,"a",@progbits
	.p2align	6, 0x0
	.amdhsa_kernel _Z39paged_attention_ll4mi_QKV_mfma16_kernelI14__hip_bfloat16S0_LN4vllm18Fp8KVCacheDataTypeE0ES0_Li32ELi128ELi256ELb1ELi12EL8MFMAType0EEvPKT_PKT0_S9_ifPKiSB_SB_iPKfiiiPfSE_PS4_PT2_iSD_SD_
		.amdhsa_group_segment_fixed_size 17472
		.amdhsa_private_segment_fixed_size 0
		.amdhsa_kernarg_size 400
		.amdhsa_user_sgpr_count 13
		.amdhsa_user_sgpr_dispatch_ptr 0
		.amdhsa_user_sgpr_queue_ptr 0
		.amdhsa_user_sgpr_kernarg_segment_ptr 1
		.amdhsa_user_sgpr_dispatch_id 0
		.amdhsa_user_sgpr_private_segment_size 0
		.amdhsa_wavefront_size32 1
		.amdhsa_uses_dynamic_stack 0
		.amdhsa_enable_private_segment 0
		.amdhsa_system_sgpr_workgroup_id_x 1
		.amdhsa_system_sgpr_workgroup_id_y 1
		.amdhsa_system_sgpr_workgroup_id_z 1
		.amdhsa_system_sgpr_workgroup_info 0
		.amdhsa_system_vgpr_workitem_id 0
		.amdhsa_next_free_vgpr 157
		.amdhsa_next_free_sgpr 40
		.amdhsa_reserve_vcc 1
		.amdhsa_float_round_mode_32 0
		.amdhsa_float_round_mode_16_64 0
		.amdhsa_float_denorm_mode_32 3
		.amdhsa_float_denorm_mode_16_64 3
		.amdhsa_dx10_clamp 1
		.amdhsa_ieee_mode 1
		.amdhsa_fp16_overflow 0
		.amdhsa_workgroup_processor_mode 1
		.amdhsa_memory_ordered 1
		.amdhsa_forward_progress 0
		.amdhsa_shared_vgpr_count 0
		.amdhsa_exception_fp_ieee_invalid_op 0
		.amdhsa_exception_fp_denorm_src 0
		.amdhsa_exception_fp_ieee_div_zero 0
		.amdhsa_exception_fp_ieee_overflow 0
		.amdhsa_exception_fp_ieee_underflow 0
		.amdhsa_exception_fp_ieee_inexact 0
		.amdhsa_exception_int_div_zero 0
	.end_amdhsa_kernel
	.section	.text._Z39paged_attention_ll4mi_QKV_mfma16_kernelI14__hip_bfloat16S0_LN4vllm18Fp8KVCacheDataTypeE0ES0_Li32ELi128ELi256ELb1ELi12EL8MFMAType0EEvPKT_PKT0_S9_ifPKiSB_SB_iPKfiiiPfSE_PS4_PT2_iSD_SD_,"axG",@progbits,_Z39paged_attention_ll4mi_QKV_mfma16_kernelI14__hip_bfloat16S0_LN4vllm18Fp8KVCacheDataTypeE0ES0_Li32ELi128ELi256ELb1ELi12EL8MFMAType0EEvPKT_PKT0_S9_ifPKiSB_SB_iPKfiiiPfSE_PS4_PT2_iSD_SD_,comdat
.Lfunc_end741:
	.size	_Z39paged_attention_ll4mi_QKV_mfma16_kernelI14__hip_bfloat16S0_LN4vllm18Fp8KVCacheDataTypeE0ES0_Li32ELi128ELi256ELb1ELi12EL8MFMAType0EEvPKT_PKT0_S9_ifPKiSB_SB_iPKfiiiPfSE_PS4_PT2_iSD_SD_, .Lfunc_end741-_Z39paged_attention_ll4mi_QKV_mfma16_kernelI14__hip_bfloat16S0_LN4vllm18Fp8KVCacheDataTypeE0ES0_Li32ELi128ELi256ELb1ELi12EL8MFMAType0EEvPKT_PKT0_S9_ifPKiSB_SB_iPKfiiiPfSE_PS4_PT2_iSD_SD_
                                        ; -- End function
	.section	.AMDGPU.csdata,"",@progbits
; Kernel info:
; codeLenInByte = 9864
; NumSgprs: 42
; NumVgprs: 157
; ScratchSize: 0
; MemoryBound: 0
; FloatMode: 240
; IeeeMode: 1
; LDSByteSize: 17472 bytes/workgroup (compile time only)
; SGPRBlocks: 5
; VGPRBlocks: 19
; NumSGPRsForWavesPerEU: 42
; NumVGPRsForWavesPerEU: 157
; Occupancy: 9
; WaveLimiterHint : 1
; COMPUTE_PGM_RSRC2:SCRATCH_EN: 0
; COMPUTE_PGM_RSRC2:USER_SGPR: 13
; COMPUTE_PGM_RSRC2:TRAP_HANDLER: 0
; COMPUTE_PGM_RSRC2:TGID_X_EN: 1
; COMPUTE_PGM_RSRC2:TGID_Y_EN: 1
; COMPUTE_PGM_RSRC2:TGID_Z_EN: 1
; COMPUTE_PGM_RSRC2:TIDIG_COMP_CNT: 0
	.section	.text._Z39paged_attention_ll4mi_QKV_mfma16_kernelI14__hip_bfloat16S0_LN4vllm18Fp8KVCacheDataTypeE0ES0_Li32ELi128ELi256ELb1ELi13EL8MFMAType0EEvPKT_PKT0_S9_ifPKiSB_SB_iPKfiiiPfSE_PS4_PT2_iSD_SD_,"axG",@progbits,_Z39paged_attention_ll4mi_QKV_mfma16_kernelI14__hip_bfloat16S0_LN4vllm18Fp8KVCacheDataTypeE0ES0_Li32ELi128ELi256ELb1ELi13EL8MFMAType0EEvPKT_PKT0_S9_ifPKiSB_SB_iPKfiiiPfSE_PS4_PT2_iSD_SD_,comdat
	.protected	_Z39paged_attention_ll4mi_QKV_mfma16_kernelI14__hip_bfloat16S0_LN4vllm18Fp8KVCacheDataTypeE0ES0_Li32ELi128ELi256ELb1ELi13EL8MFMAType0EEvPKT_PKT0_S9_ifPKiSB_SB_iPKfiiiPfSE_PS4_PT2_iSD_SD_ ; -- Begin function _Z39paged_attention_ll4mi_QKV_mfma16_kernelI14__hip_bfloat16S0_LN4vllm18Fp8KVCacheDataTypeE0ES0_Li32ELi128ELi256ELb1ELi13EL8MFMAType0EEvPKT_PKT0_S9_ifPKiSB_SB_iPKfiiiPfSE_PS4_PT2_iSD_SD_
	.globl	_Z39paged_attention_ll4mi_QKV_mfma16_kernelI14__hip_bfloat16S0_LN4vllm18Fp8KVCacheDataTypeE0ES0_Li32ELi128ELi256ELb1ELi13EL8MFMAType0EEvPKT_PKT0_S9_ifPKiSB_SB_iPKfiiiPfSE_PS4_PT2_iSD_SD_
	.p2align	8
	.type	_Z39paged_attention_ll4mi_QKV_mfma16_kernelI14__hip_bfloat16S0_LN4vllm18Fp8KVCacheDataTypeE0ES0_Li32ELi128ELi256ELb1ELi13EL8MFMAType0EEvPKT_PKT0_S9_ifPKiSB_SB_iPKfiiiPfSE_PS4_PT2_iSD_SD_,@function
_Z39paged_attention_ll4mi_QKV_mfma16_kernelI14__hip_bfloat16S0_LN4vllm18Fp8KVCacheDataTypeE0ES0_Li32ELi128ELi256ELb1ELi13EL8MFMAType0EEvPKT_PKT0_S9_ifPKiSB_SB_iPKfiiiPfSE_PS4_PT2_iSD_SD_: ; @_Z39paged_attention_ll4mi_QKV_mfma16_kernelI14__hip_bfloat16S0_LN4vllm18Fp8KVCacheDataTypeE0ES0_Li32ELi128ELi256ELb1ELi13EL8MFMAType0EEvPKT_PKT0_S9_ifPKiSB_SB_iPKfiiiPfSE_PS4_PT2_iSD_SD_
; %bb.0:
	s_load_b64 s[2:3], s[0:1], 0x30
	s_mov_b32 s30, s13
	s_waitcnt lgkmcnt(0)
	s_cmp_lg_u64 s[2:3], 0
	s_cselect_b32 s6, -1, 0
	s_ashr_i32 s31, s13, 31
	s_cmp_eq_u64 s[2:3], 0
	s_cbranch_scc1 .LBB742_3
; %bb.1:
	s_lshl_b64 s[4:5], s[30:31], 2
	s_delay_alu instid0(SALU_CYCLE_1) | instskip(SKIP_4) | instid1(SALU_CYCLE_1)
	s_add_u32 s4, s2, s4
	s_addc_u32 s5, s3, s5
	s_load_b64 s[4:5], s[4:5], 0x0
	s_waitcnt lgkmcnt(0)
	s_sub_i32 s4, s5, s4
	s_cmp_eq_u32 s4, 1
	s_cselect_b32 s4, -1, 0
	s_delay_alu instid0(SALU_CYCLE_1)
	s_and_not1_b32 vcc_lo, exec_lo, s4
	s_cbranch_vccz .LBB742_4
.LBB742_2:
	s_nop 0
	s_sendmsg sendmsg(MSG_DEALLOC_VGPRS)
	s_endpgm
.LBB742_3:
.LBB742_4:
	s_load_b64 s[8:9], s[0:1], 0x28
	s_lshl_b64 s[4:5], s[30:31], 2
	s_waitcnt lgkmcnt(0)
	s_add_u32 s8, s8, s4
	s_addc_u32 s9, s9, s5
	s_lshl_b32 s12, s14, 8
	s_load_b32 s17, s[8:9], 0x0
	s_waitcnt lgkmcnt(0)
	s_cmp_ge_i32 s12, s17
	s_cbranch_scc1 .LBB742_2
; %bb.5:
	s_and_not1_b32 vcc_lo, exec_lo, s6
	s_cbranch_vccnz .LBB742_7
; %bb.6:
	s_add_u32 s2, s2, s4
	s_addc_u32 s3, s3, s5
	s_load_b32 s13, s[2:3], 0x0
	s_branch .LBB742_8
.LBB742_7:
	s_mov_b32 s13, s30
.LBB742_8:
	s_clause 0x2
	s_load_b128 s[8:11], s[0:1], 0x8
	s_load_b64 s[2:3], s[0:1], 0x20
	s_load_b128 s[4:7], s[0:1], 0x48
	v_lshrrev_b32_e32 v74, 5, v0
	v_bfe_u32 v83, v0, 4, 1
	v_and_b32_e32 v73, 15, v0
	s_waitcnt lgkmcnt(0)
	s_mov_b32 s7, exec_lo
	s_delay_alu instid0(VALU_DEP_2) | instskip(NEXT) | instid1(VALU_DEP_2)
	v_lshl_or_b32 v3, v74, 1, v83
	v_lshlrev_b32_e32 v1, 3, v73
	s_delay_alu instid0(VALU_DEP_2)
	v_cmpx_lt_u32_e32 12, v3
	s_xor_b32 s7, exec_lo, s7
; %bb.9:
	v_mov_b32_e32 v2, 0
                                        ; implicit-def: $vgpr3
; %bb.10:
	s_or_saveexec_b32 s7, s7
	v_and_b32_e32 v75, 31, v0
	v_and_b32_e32 v84, 1, v0
	s_mul_i32 s31, s15, 13
	s_xor_b32 exec_lo, exec_lo, s7
	s_cbranch_execz .LBB742_12
; %bb.11:
	s_load_b64 s[18:19], s[0:1], 0x0
	v_add_lshl_u32 v4, v3, s31, 7
	s_mul_hi_i32 s21, s13, s4
	s_mul_i32 s20, s13, s4
	v_lshlrev_b32_e32 v2, 1, v1
	s_lshl_b64 s[20:21], s[20:21], 1
	v_ashrrev_i32_e32 v5, 31, v4
	v_lshlrev_b32_e32 v3, 6, v3
	v_lshlrev_b32_e32 v8, 10, v84
	s_delay_alu instid0(VALU_DEP_3) | instskip(SKIP_3) | instid1(VALU_DEP_1)
	v_lshlrev_b64 v[4:5], 1, v[4:5]
	s_waitcnt lgkmcnt(0)
	s_add_u32 s4, s18, s20
	s_addc_u32 s13, s19, s21
	v_add_co_u32 v4, vcc_lo, s4, v4
	s_delay_alu instid0(VALU_DEP_2) | instskip(NEXT) | instid1(VALU_DEP_2)
	v_add_co_ci_u32_e32 v5, vcc_lo, s13, v5, vcc_lo
	v_add_co_u32 v4, vcc_lo, v4, v2
	s_delay_alu instid0(VALU_DEP_2) | instskip(SKIP_3) | instid1(VALU_DEP_1)
	v_add_co_ci_u32_e32 v5, vcc_lo, 0, v5, vcc_lo
	v_lshlrev_b32_e32 v2, 10, v73
	global_load_b128 v[4:7], v[4:5], off
	v_and_b32_e32 v2, 0x3800, v2
	v_or3_b32 v3, v2, v8, v3
	v_mov_b32_e32 v2, 0
	s_waitcnt vmcnt(0)
	ds_store_b128 v3, v[4:7]
.LBB742_12:
	s_or_b32 exec_lo, exec_lo, s7
	v_add_nc_u32_e32 v80, -13, v73
	v_and_b32_e32 v3, 0xef, v0
	s_add_i32 s4, s17, 31
	s_clause 0x1
	s_load_b32 s7, s[0:1], 0x38
	s_load_b32 s18, s[0:1], 0x1c
	s_ashr_i32 s13, s4, 31
	v_add_nc_u32_e32 v3, s12, v3
	s_lshr_b32 s13, s13, 27
	s_waitcnt lgkmcnt(0)
	s_add_i32 s4, s4, s13
	s_barrier
	v_ashrrev_i32_e32 v4, 31, v3
	v_cmp_gt_i32_e32 vcc_lo, s17, v3
	s_ashr_i32 s4, s4, 5
	buffer_gl0_inv
	s_add_i32 s4, s4, -1
	v_lshrrev_b32_e32 v5, 27, v4
	v_or_b32_e32 v4, 16, v3
	v_lshlrev_b64 v[81:82], 1, v[1:2]
	s_delay_alu instid0(VALU_DEP_3) | instskip(NEXT) | instid1(VALU_DEP_3)
	v_add_nc_u32_e32 v6, v3, v5
	v_add_nc_u32_e32 v5, v4, v5
	s_mul_i32 s20, s30, s7
	s_delay_alu instid0(SALU_CYCLE_1) | instskip(NEXT) | instid1(VALU_DEP_2)
	s_ashr_i32 s21, s20, 31
	v_ashrrev_i32_e32 v6, 5, v6
	s_delay_alu instid0(VALU_DEP_2) | instskip(SKIP_1) | instid1(SALU_CYCLE_1)
	v_ashrrev_i32_e32 v5, 5, v5
	s_lshl_b64 s[20:21], s[20:21], 2
	s_add_u32 s7, s2, s20
	s_delay_alu instid0(VALU_DEP_2) | instskip(SKIP_3) | instid1(VALU_DEP_2)
	v_cndmask_b32_e32 v3, s4, v6, vcc_lo
	v_cmp_gt_i32_e32 vcc_lo, s17, v4
	s_addc_u32 s13, s3, s21
	s_mul_i32 s2, s15, s6
	v_ashrrev_i32_e32 v4, 31, v3
	v_cndmask_b32_e32 v5, s4, v5, vcc_lo
	s_ashr_i32 s3, s2, 31
	s_delay_alu instid0(SALU_CYCLE_1) | instskip(NEXT) | instid1(VALU_DEP_2)
	s_lshl_b64 s[2:3], s[2:3], 1
	v_lshlrev_b64 v[3:4], 2, v[3:4]
	s_delay_alu instid0(VALU_DEP_2) | instskip(SKIP_3) | instid1(VALU_DEP_1)
	v_ashrrev_i32_e32 v6, 31, v5
	s_add_u32 s6, s8, s2
	s_addc_u32 s15, s9, s3
	s_lshl_b32 s8, s14, 3
	v_lshlrev_b64 v[5:6], 2, v[5:6]
	v_add_co_u32 v3, vcc_lo, s7, v3
	v_add_co_ci_u32_e32 v4, vcc_lo, s13, v4, vcc_lo
	s_ashr_i32 s9, s8, 31
	s_delay_alu instid0(VALU_DEP_3) | instskip(NEXT) | instid1(VALU_DEP_4)
	v_add_co_u32 v5, vcc_lo, s7, v5
	v_add_co_ci_u32_e32 v6, vcc_lo, s13, v6, vcc_lo
	s_clause 0x1
	global_load_b32 v7, v[3:4], off
	global_load_b32 v8, v[5:6], off
	s_lshl_b64 s[8:9], s[8:9], 2
	s_delay_alu instid0(SALU_CYCLE_1) | instskip(SKIP_2) | instid1(SALU_CYCLE_1)
	s_add_u32 s8, s7, s8
	s_addc_u32 s9, s13, s9
	s_or_b32 s16, s12, 32
	s_ashr_i32 s19, s16, 5
	s_cmp_lt_i32 s16, s17
	s_cselect_b32 s20, s19, s4
	s_delay_alu instid0(SALU_CYCLE_1) | instskip(NEXT) | instid1(SALU_CYCLE_1)
	s_ashr_i32 s21, s20, 31
	s_lshl_b64 s[20:21], s[20:21], 2
	s_delay_alu instid0(SALU_CYCLE_1) | instskip(SKIP_2) | instid1(SALU_CYCLE_1)
	s_add_u32 s20, s7, s20
	s_addc_u32 s21, s13, s21
	s_or_b32 s16, s12, 64
	s_ashr_i32 s19, s16, 5
	s_cmp_lt_i32 s16, s17
	s_cselect_b32 s22, s19, s4
	s_delay_alu instid0(SALU_CYCLE_1) | instskip(NEXT) | instid1(SALU_CYCLE_1)
	s_ashr_i32 s23, s22, 31
	;; [unrolled: 10-line block ×5, first 2 shown]
	s_lshl_b64 s[28:29], s[28:29], 2
	s_delay_alu instid0(SALU_CYCLE_1)
	s_add_u32 s28, s7, s28
	s_addc_u32 s29, s13, s29
	s_clause 0x5
	s_load_b32 s16, s[8:9], 0x0
	s_load_b32 s19, s[20:21], 0x0
	;; [unrolled: 1-line block ×6, first 2 shown]
	s_mov_b32 s20, 0
	s_delay_alu instid0(SALU_CYCLE_1)
	s_mov_b32 s27, s20
	s_mov_b32 s24, s20
	;; [unrolled: 1-line block ×7, first 2 shown]
	v_dual_mov_b32 v108, s27 :: v_dual_mov_b32 v105, s24
	v_dual_mov_b32 v107, s26 :: v_dual_mov_b32 v106, s25
	;; [unrolled: 1-line block ×4, first 2 shown]
	s_waitcnt lgkmcnt(0)
	s_mul_hi_i32 s29, s34, s5
	s_mul_i32 s28, s34, s5
	s_mul_hi_i32 s21, s16, s5
	s_mul_i32 s20, s16, s5
	;; [unrolled: 2-line block ×5, first 2 shown]
	s_waitcnt vmcnt(1)
	v_mad_i64_i32 v[3:4], null, v7, s5, 0
	s_waitcnt vmcnt(0)
	v_mad_i64_i32 v[5:6], null, v8, s5, 0
	s_delay_alu instid0(VALU_DEP_2) | instskip(NEXT) | instid1(VALU_DEP_2)
	v_lshlrev_b64 v[3:4], 1, v[3:4]
	v_lshlrev_b64 v[1:2], 1, v[5:6]
	s_delay_alu instid0(VALU_DEP_2) | instskip(NEXT) | instid1(VALU_DEP_3)
	v_add_co_u32 v3, vcc_lo, s6, v3
	v_add_co_ci_u32_e32 v4, vcc_lo, s15, v4, vcc_lo
	s_delay_alu instid0(VALU_DEP_3) | instskip(NEXT) | instid1(VALU_DEP_4)
	v_add_co_u32 v1, vcc_lo, s6, v1
	v_add_co_ci_u32_e32 v2, vcc_lo, s15, v2, vcc_lo
	s_delay_alu instid0(VALU_DEP_4) | instskip(NEXT) | instid1(VALU_DEP_4)
	v_add_co_u32 v65, vcc_lo, v3, v81
	v_add_co_ci_u32_e32 v66, vcc_lo, v4, v82, vcc_lo
	s_delay_alu instid0(VALU_DEP_4) | instskip(NEXT) | instid1(VALU_DEP_4)
	v_add_co_u32 v76, vcc_lo, v1, v81
	v_add_co_ci_u32_e32 v77, vcc_lo, v2, v82, vcc_lo
	s_clause 0xf
	global_load_b128 v[1:4], v[65:66], off
	global_load_b128 v[5:8], v[65:66], off offset:512
	global_load_b128 v[9:12], v[76:77], off offset:256
	;; [unrolled: 1-line block ×15, first 2 shown]
	v_add_co_u32 v78, vcc_lo, 0x1000, v65
	v_add_co_ci_u32_e32 v79, vcc_lo, 0, v66, vcc_lo
	v_cmp_gt_u32_e32 vcc_lo, 13, v73
	s_clause 0x1
	global_load_b128 v[65:68], v[78:79], off
	global_load_b128 v[69:72], v[78:79], off offset:512
	s_or_b32 s6, s12, 0xc0
	v_cndmask_b32_e32 v80, v80, v73, vcc_lo
	v_add_co_u32 v76, vcc_lo, 0x1000, v76
	v_add_co_ci_u32_e32 v77, vcc_lo, 0, v77, vcc_lo
	s_delay_alu instid0(VALU_DEP_3)
	v_lshlrev_b32_e32 v80, 6, v80
	ds_load_b128 v[85:88], v80
	ds_load_b128 v[89:92], v80 offset:1024
	s_clause 0x1
	global_load_b128 v[93:96], v[76:77], off offset:256
	global_load_b128 v[97:100], v[76:77], off offset:768
	ds_load_b128 v[109:112], v80 offset:2048
	ds_load_b128 v[113:116], v80 offset:3072
	s_ashr_i32 s8, s6, 5
	s_cmp_lt_i32 s6, s17
	s_cselect_b32 s8, s8, s4
	s_delay_alu instid0(SALU_CYCLE_1) | instskip(NEXT) | instid1(SALU_CYCLE_1)
	s_ashr_i32 s9, s8, 31
	s_lshl_b64 s[8:9], s[8:9], 2
	s_delay_alu instid0(SALU_CYCLE_1) | instskip(SKIP_2) | instid1(SALU_CYCLE_1)
	s_add_u32 s8, s7, s8
	s_addc_u32 s9, s13, s9
	s_or_b32 s6, s12, 0xe0
	s_ashr_i32 s15, s6, 5
	s_cmp_lt_i32 s6, s17
	s_cselect_b32 s24, s15, s4
	s_delay_alu instid0(SALU_CYCLE_1) | instskip(NEXT) | instid1(SALU_CYCLE_1)
	s_ashr_i32 s25, s24, 31
	s_lshl_b64 s[24:25], s[24:25], 2
	s_delay_alu instid0(SALU_CYCLE_1) | instskip(SKIP_2) | instid1(SALU_CYCLE_1)
	s_add_u32 s24, s7, s24
	s_addc_u32 s25, s13, s25
	s_add_i32 s6, s12, 0x100
	s_ashr_i32 s15, s6, 5
	s_cmp_lt_i32 s6, s17
	s_cselect_b32 s34, s15, s4
	s_waitcnt vmcnt(18) lgkmcnt(2)
	v_wmma_f32_16x16x16_bf16 v[117:124], v[1:8], v[85:92], v[101:108]
	s_waitcnt vmcnt(16)
	v_wmma_f32_16x16x16_bf16 v[101:108], v[9:16], v[85:92], v[101:108]
	s_clause 0x3
	global_load_b128 v[1:4], v[78:79], off offset:1024
	global_load_b128 v[5:8], v[78:79], off offset:1536
	;; [unrolled: 1-line block ×4, first 2 shown]
	s_waitcnt vmcnt(18) lgkmcnt(0)
	v_wmma_f32_16x16x16_bf16 v[117:124], v[17:24], v[109:116], v[117:124]
	s_clause 0x1
	global_load_b128 v[17:20], v[78:79], off offset:2048
	global_load_b128 v[21:24], v[78:79], off offset:2560
	s_waitcnt vmcnt(18)
	v_wmma_f32_16x16x16_bf16 v[101:108], v[25:32], v[109:116], v[101:108]
	ds_load_b128 v[25:28], v80 offset:4096
	ds_load_b128 v[29:32], v80 offset:5120
	s_clause 0x5
	global_load_b128 v[109:112], v[76:77], off offset:2304
	global_load_b128 v[113:116], v[76:77], off offset:2816
	;; [unrolled: 1-line block ×6, first 2 shown]
	s_waitcnt vmcnt(22) lgkmcnt(0)
	v_wmma_f32_16x16x16_bf16 v[117:124], v[33:40], v[25:32], v[117:124]
	s_waitcnt vmcnt(20)
	v_wmma_f32_16x16x16_bf16 v[101:108], v[41:48], v[25:32], v[101:108]
	ds_load_b128 v[25:28], v80 offset:6144
	ds_load_b128 v[29:32], v80 offset:7168
	;; [unrolled: 1-line block ×4, first 2 shown]
	s_waitcnt vmcnt(18) lgkmcnt(2)
	v_wmma_f32_16x16x16_bf16 v[117:124], v[49:56], v[25:32], v[117:124]
	s_waitcnt vmcnt(16)
	v_wmma_f32_16x16x16_bf16 v[101:108], v[57:64], v[25:32], v[101:108]
	ds_load_b128 v[25:28], v80 offset:10240
	ds_load_b128 v[29:32], v80 offset:11264
	;; [unrolled: 1-line block ×6, first 2 shown]
	s_waitcnt vmcnt(14) lgkmcnt(6)
	v_wmma_f32_16x16x16_bf16 v[117:124], v[65:72], v[33:40], v[117:124]
	s_load_b32 s16, s[8:9], 0x0
	s_mul_hi_i32 s9, s35, s5
	s_mul_i32 s8, s35, s5
	s_ashr_i32 s35, s34, 31
	s_waitcnt vmcnt(12)
	v_wmma_f32_16x16x16_bf16 v[101:108], v[93:100], v[33:40], v[101:108]
	s_lshl_b64 s[34:35], s[34:35], 2
	s_delay_alu instid0(SALU_CYCLE_1)
	s_add_u32 s6, s7, s34
	s_addc_u32 s7, s13, s35
	s_add_u32 s4, s10, s2
	s_addc_u32 s19, s11, s3
	s_lshl_b64 s[2:3], s[20:21], 1
	s_clause 0x1
	s_load_b32 s13, s[24:25], 0x0
	s_load_b32 s15, s[6:7], 0x0
	s_lshl_b64 s[6:7], s[22:23], 1
	s_lshl_b64 s[10:11], s[26:27], 1
	;; [unrolled: 1-line block ×5, first 2 shown]
	s_waitcnt lgkmcnt(0)
	s_mul_hi_i32 s25, s16, s5
	s_mul_i32 s24, s16, s5
	s_waitcnt vmcnt(10)
	v_wmma_f32_16x16x16_bf16 v[117:124], v[1:8], v[25:32], v[117:124]
	s_waitcnt vmcnt(8)
	v_wmma_f32_16x16x16_bf16 v[101:108], v[9:16], v[25:32], v[101:108]
	s_waitcnt vmcnt(6)
	s_delay_alu instid0(VALU_DEP_2) | instskip(SKIP_1) | instid1(VALU_DEP_2)
	v_wmma_f32_16x16x16_bf16 v[117:124], v[17:24], v[141:148], v[117:124]
	s_waitcnt vmcnt(4)
	v_wmma_f32_16x16x16_bf16 v[101:108], v[109:116], v[141:148], v[101:108]
	s_waitcnt vmcnt(2)
	s_delay_alu instid0(VALU_DEP_2) | instskip(SKIP_3) | instid1(VALU_DEP_3)
	v_wmma_f32_16x16x16_bf16 v[117:124], v[125:132], v[149:156], v[117:124]
	v_lshlrev_b32_e32 v85, 6, v73
	s_waitcnt vmcnt(0)
	v_wmma_f32_16x16x16_bf16 v[101:108], v[133:140], v[149:156], v[101:108]
	v_mul_f32_e32 v100, s18, v124
	s_delay_alu instid0(VALU_DEP_3) | instskip(SKIP_2) | instid1(VALU_DEP_3)
	v_lshl_or_b32 v41, v74, 10, v85
	v_mul_f32_e32 v99, s18, v118
	v_mul_f32_e32 v97, s18, v117
	v_add_co_u32 v76, s4, s4, v41
	s_delay_alu instid0(VALU_DEP_1) | instskip(NEXT) | instid1(VALU_DEP_2)
	v_add_co_ci_u32_e64 v77, null, s19, 0, s4
	v_add_co_u32 v41, vcc_lo, v76, s2
	s_delay_alu instid0(VALU_DEP_2)
	v_add_co_ci_u32_e32 v42, vcc_lo, s3, v77, vcc_lo
	v_add_co_u32 v33, vcc_lo, v76, s6
	v_add_co_ci_u32_e32 v34, vcc_lo, s7, v77, vcc_lo
	v_add_co_u32 v35, vcc_lo, v76, s10
	;; [unrolled: 2-line block ×5, first 2 shown]
	s_lshl_b64 s[2:3], s[24:25], 1
	v_add_co_ci_u32_e32 v6, vcc_lo, s23, v77, vcc_lo
	s_mul_hi_i32 s7, s13, s5
	s_mul_i32 s6, s13, s5
	v_add_co_u32 v17, vcc_lo, v76, s2
	v_add_co_ci_u32_e32 v18, vcc_lo, s3, v77, vcc_lo
	s_lshl_b64 s[2:3], s[6:7], 1
	s_mul_hi_i32 s7, s15, s5
	s_mul_i32 s6, s15, s5
	v_add_co_u32 v19, vcc_lo, v76, s2
	v_add_co_ci_u32_e32 v20, vcc_lo, s3, v77, vcc_lo
	s_lshl_b64 s[2:3], s[6:7], 1
	s_clause 0x1
	global_load_b128 v[65:68], v[41:42], off
	global_load_b128 v[69:72], v[41:42], off offset:16
	v_add_co_u32 v21, vcc_lo, v76, s2
	v_add_co_ci_u32_e32 v22, vcc_lo, s3, v77, vcc_lo
	s_clause 0xf
	global_load_b128 v[57:60], v[33:34], off
	global_load_b128 v[61:64], v[33:34], off offset:16
	global_load_b128 v[49:52], v[35:36], off
	global_load_b128 v[53:56], v[35:36], off offset:16
	;; [unrolled: 2-line block ×8, first 2 shown]
	v_mbcnt_lo_u32_b32 v77, -1, 0
	s_waitcnt vmcnt(0)
	s_barrier
	buffer_gl0_inv
	v_xor_b32_e32 v78, 16, v77
	s_delay_alu instid0(VALU_DEP_1) | instskip(SKIP_1) | instid1(VALU_DEP_1)
	v_cmp_gt_i32_e32 vcc_lo, 32, v78
	v_dual_cndmask_b32 v77, v77, v78 :: v_dual_and_b32 v76, 0xe0, v0
	v_add_nc_u32_e32 v76, s12, v76
	s_delay_alu instid0(VALU_DEP_1) | instskip(NEXT) | instid1(VALU_DEP_1)
	v_or_b32_e32 v76, v76, v83
	v_or_b32_e32 v78, 2, v76
	;; [unrolled: 1-line block ×4, first 2 shown]
	v_cmp_gt_i32_e32 vcc_lo, s17, v76
	v_or_b32_e32 v86, 8, v76
	v_cmp_gt_i32_e64 s2, s17, v78
	v_or_b32_e32 v87, 10, v76
	v_or_b32_e32 v88, 12, v76
	;; [unrolled: 1-line block ×11, first 2 shown]
	v_cndmask_b32_e32 v76, 0xff7fffff, v97, vcc_lo
	v_cmp_gt_i32_e64 s3, s17, v80
	v_mul_f32_e32 v80, s18, v119
	v_cndmask_b32_e64 v78, 0xff7fffff, v99, s2
	v_mul_f32_e32 v99, s18, v120
	v_cmp_gt_i32_e64 s4, s17, v79
	v_mul_f32_e32 v97, s18, v123
	v_mul_f32_e32 v79, s18, v122
	v_max3_f32 v76, v76, 0xff7fffff, v78
	v_mul_f32_e32 v78, s18, v121
	v_cndmask_b32_e64 v80, 0xff7fffff, v80, s4
	v_cmp_gt_i32_e64 s5, s17, v86
	v_cmp_gt_i32_e64 s6, s17, v87
	v_mul_f32_e32 v86, s18, v107
	v_cndmask_b32_e64 v99, 0xff7fffff, v99, s3
	v_cmp_gt_i32_e64 s7, s17, v89
	v_cndmask_b32_e64 v78, 0xff7fffff, v78, s5
	v_cmp_gt_i32_e64 s8, s17, v88
	v_mul_f32_e32 v89, s18, v101
	v_max3_f32 v76, v76, v80, v99
	v_mul_f32_e32 v80, s18, v108
	v_cndmask_b32_e64 v79, 0xff7fffff, v79, s6
	v_dual_mul_f32 v99, s18, v105 :: v_dual_mul_f32 v88, s18, v102
	v_cndmask_b32_e64 v97, 0xff7fffff, v97, s8
	v_cndmask_b32_e64 v100, 0xff7fffff, v100, s7
	s_delay_alu instid0(VALU_DEP_4) | instskip(SKIP_4) | instid1(VALU_DEP_4)
	v_max3_f32 v76, v76, v78, v79
	v_cmp_gt_i32_e64 s9, s17, v90
	v_cmp_gt_i32_e64 s10, s17, v91
	v_dual_mul_f32 v87, s18, v106 :: v_dual_mul_f32 v78, s18, v104
	v_mul_f32_e32 v79, s18, v103
	v_cndmask_b32_e64 v89, 0xff7fffff, v89, s9
	s_delay_alu instid0(VALU_DEP_4)
	v_cndmask_b32_e64 v88, 0xff7fffff, v88, s10
	v_max3_f32 v76, v76, v97, v100
	v_cmp_gt_i32_e64 s11, s17, v92
	v_cmp_gt_i32_e64 s12, s17, v93
	;; [unrolled: 1-line block ×4, first 2 shown]
	v_max3_f32 v76, v76, v89, v88
	v_cndmask_b32_e64 v79, 0xff7fffff, v79, s11
	v_cndmask_b32_e64 v78, 0xff7fffff, v78, s12
	;; [unrolled: 1-line block ×4, first 2 shown]
	v_cmp_gt_i32_e64 s16, s17, v96
	v_cmp_gt_i32_e64 s17, s17, v98
	v_max3_f32 v76, v76, v79, v78
	v_lshlrev_b32_e32 v99, 2, v77
	s_delay_alu instid0(VALU_DEP_4) | instskip(NEXT) | instid1(VALU_DEP_4)
	v_cndmask_b32_e64 v78, 0xff7fffff, v86, s16
	v_cndmask_b32_e64 v79, 0xff7fffff, v80, s17
	s_delay_alu instid0(VALU_DEP_4) | instskip(NEXT) | instid1(VALU_DEP_1)
	v_max3_f32 v76, v76, v88, v87
	v_max3_f32 v76, v76, v78, v79
	ds_bpermute_b32 v77, v99, v76
	s_waitcnt lgkmcnt(0)
	v_max_f32_e32 v77, v77, v77
	s_delay_alu instid0(VALU_DEP_1) | instskip(NEXT) | instid1(VALU_DEP_1)
	v_max_f32_e32 v76, v76, v77
	v_fma_f32 v78, s18, v118, -v76
	v_fma_f32 v77, s18, v117, -v76
	;; [unrolled: 1-line block ×5, first 2 shown]
	v_mul_f32_e32 v78, 0x3fb8aa3b, v78
	v_fma_f32 v87, s18, v123, -v76
	v_fma_f32 v88, s18, v105, -v76
	v_mul_f32_e32 v80, 0x3fb8aa3b, v80
	v_mul_f32_e32 v86, 0x3fb8aa3b, v86
	v_exp_f32_e32 v78, v78
	v_fma_f32 v90, s18, v107, -v76
	v_fma_f32 v100, s18, v108, -v76
	v_exp_f32_e32 v80, v80
	v_exp_f32_e32 v86, v86
	v_mul_f32_e32 v88, 0x3fb8aa3b, v88
	s_delay_alu instid0(VALU_DEP_2) | instskip(NEXT) | instid1(TRANS32_DEP_3)
	v_mul_f32_e32 v100, 0x3fb8aa3b, v100
	v_cndmask_b32_e64 v91, 0, v78, s2
	v_mul_f32_e32 v77, 0x3fb8aa3b, v77
	s_delay_alu instid0(VALU_DEP_4) | instskip(NEXT) | instid1(TRANS32_DEP_3)
	v_exp_f32_e32 v88, v88
	v_cndmask_b32_e64 v95, 0, v80, s3
	v_fma_f32 v80, s18, v101, -v76
	s_delay_alu instid0(TRANS32_DEP_2)
	v_cndmask_b32_e64 v96, 0, v86, s5
	v_exp_f32_e32 v77, v77
	v_mul_f32_e32 v79, 0x3fb8aa3b, v79
	v_fma_f32 v86, s18, v102, -v76
	v_mul_f32_e32 v80, 0x3fb8aa3b, v80
	v_cmp_gt_u32_e64 s2, 16, v75
	v_exp_f32_e32 v100, v100
	s_delay_alu instid0(VALU_DEP_2) | instskip(NEXT) | instid1(TRANS32_DEP_3)
	v_exp_f32_e32 v80, v80
	v_cndmask_b32_e32 v92, 0, v77, vcc_lo
	v_exp_f32_e32 v79, v79
	v_fma_f32 v77, s18, v122, -v76
	s_delay_alu instid0(VALU_DEP_2) | instskip(NEXT) | instid1(VALU_DEP_1)
	v_add_f32_e32 v78, 0, v92
	v_add_f32_e32 v78, v78, v91
	s_waitcnt_depctr 0xfff
	v_cndmask_b32_e64 v93, 0, v79, s4
	v_mul_f32_e32 v87, 0x3fb8aa3b, v87
	v_fma_f32 v79, s18, v124, -v76
	s_delay_alu instid0(VALU_DEP_3) | instskip(SKIP_1) | instid1(VALU_DEP_3)
	v_add_f32_e32 v78, v78, v93
	v_mul_f32_e32 v77, 0x3fb8aa3b, v77
	v_mul_f32_e32 v79, 0x3fb8aa3b, v79
	v_exp_f32_e32 v87, v87
	s_delay_alu instid0(VALU_DEP_3) | instskip(NEXT) | instid1(VALU_DEP_3)
	v_add_f32_e32 v78, v78, v95
	v_exp_f32_e32 v77, v77
	s_delay_alu instid0(VALU_DEP_2) | instskip(NEXT) | instid1(TRANS32_DEP_3)
	v_exp_f32_e32 v79, v79
	v_cndmask_b32_e64 v94, 0, v87, s8
	v_fma_f32 v87, s18, v104, -v76
	s_waitcnt_depctr 0xfff
	v_cndmask_b32_e64 v97, 0, v77, s6
	v_add_f32_e32 v77, v78, v96
	v_fma_f32 v78, s18, v103, -v76
	v_mul_f32_e32 v86, 0x3fb8aa3b, v86
	v_cndmask_b32_e64 v98, 0, v79, s7
	v_mul_f32_e32 v87, 0x3fb8aa3b, v87
	s_delay_alu instid0(VALU_DEP_4) | instskip(NEXT) | instid1(VALU_DEP_4)
	v_dual_add_f32 v77, v77, v97 :: v_dual_mul_f32 v78, 0x3fb8aa3b, v78
	v_exp_f32_e32 v86, v86
	s_delay_alu instid0(VALU_DEP_2) | instskip(NEXT) | instid1(VALU_DEP_1)
	v_exp_f32_e32 v87, v87
	v_add_f32_e32 v79, v77, v94
	s_delay_alu instid0(VALU_DEP_2) | instskip(SKIP_2) | instid1(VALU_DEP_3)
	v_exp_f32_e32 v89, v78
	v_cndmask_b32_e64 v77, 0, v80, s9
	v_fma_f32 v80, s18, v106, -v76
	v_add_f32_e32 v79, v79, v98
	s_delay_alu instid0(TRANS32_DEP_3) | instskip(NEXT) | instid1(VALU_DEP_3)
	v_cndmask_b32_e64 v78, 0, v86, s10
	v_mul_f32_e32 v80, 0x3fb8aa3b, v80
	s_delay_alu instid0(VALU_DEP_3) | instskip(NEXT) | instid1(TRANS32_DEP_1)
	v_add_f32_e32 v86, v79, v77
	v_cndmask_b32_e64 v79, 0, v89, s11
	v_mul_f32_e32 v89, 0x3fb8aa3b, v90
	s_delay_alu instid0(VALU_DEP_4) | instskip(SKIP_2) | instid1(VALU_DEP_3)
	v_exp_f32_e32 v90, v80
	v_cndmask_b32_e64 v80, 0, v87, s12
	v_add_f32_e32 v86, v86, v78
	v_exp_f32_e32 v89, v89
	s_delay_alu instid0(VALU_DEP_1) | instskip(SKIP_1) | instid1(VALU_DEP_2)
	v_add_f32_e32 v87, v86, v79
	v_cndmask_b32_e64 v86, 0, v88, s13
	v_add_f32_e32 v88, v87, v80
	s_delay_alu instid0(TRANS32_DEP_2) | instskip(NEXT) | instid1(VALU_DEP_2)
	v_cndmask_b32_e64 v87, 0, v90, s15
	v_add_f32_e32 v90, v88, v86
	s_waitcnt_depctr 0xfff
	v_cndmask_b32_e64 v88, 0, v89, s16
	v_add_f32_e32 v89, v90, v87
	s_delay_alu instid0(VALU_DEP_1) | instskip(SKIP_1) | instid1(VALU_DEP_1)
	v_add_f32_e32 v90, v89, v88
	v_cndmask_b32_e64 v89, 0, v100, s17
	v_add_f32_e32 v90, v90, v89
	ds_bpermute_b32 v99, v99, v90
	s_and_saveexec_b32 s3, s2
	s_cbranch_execz .LBB742_14
; %bb.13:
	v_mul_u32_u24_e32 v75, 0x44, v74
	s_waitcnt lgkmcnt(0)
	v_add_f32_e32 v90, v90, v99
	s_delay_alu instid0(VALU_DEP_2) | instskip(NEXT) | instid1(VALU_DEP_1)
	v_lshl_add_u32 v75, v73, 2, v75
	v_add_nc_u32_e32 v75, 0x4000, v75
	ds_store_2addr_b32 v75, v76, v90 offset1:136
.LBB742_14:
	s_or_b32 exec_lo, exec_lo, s3
	v_lshlrev_b32_e32 v75, 2, v73
	s_waitcnt lgkmcnt(0)
	s_barrier
	buffer_gl0_inv
	v_cmp_eq_u32_e64 s3, 1, v74
	v_add_nc_u32_e32 v90, 0x4000, v75
	ds_load_2addr_b32 v[99:100], v90 offset1:17
	ds_load_2addr_b32 v[101:102], v90 offset0:34 offset1:51
	ds_load_2addr_b32 v[103:104], v90 offset0:68 offset1:85
	;; [unrolled: 1-line block ×4, first 2 shown]
	s_waitcnt lgkmcnt(4)
	v_max3_f32 v75, v99, 0xff7fffff, v100
	s_waitcnt lgkmcnt(3)
	s_delay_alu instid0(VALU_DEP_1) | instskip(SKIP_1) | instid1(VALU_DEP_1)
	v_max3_f32 v75, v75, v101, v102
	s_waitcnt lgkmcnt(2)
	v_max3_f32 v75, v75, v103, v104
	s_waitcnt lgkmcnt(1)
	s_delay_alu instid0(VALU_DEP_1) | instskip(NEXT) | instid1(VALU_DEP_1)
	v_max3_f32 v75, v75, v105, v106
	v_sub_f32_e32 v109, v100, v75
	v_sub_f32_e32 v76, v99, v75
	ds_load_2addr_b32 v[99:100], v90 offset0:170 offset1:187
	v_sub_f32_e32 v101, v101, v75
	v_dual_mul_f32 v109, 0x3fb8aa3b, v109 :: v_dual_mul_f32 v76, 0x3fb8aa3b, v76
	s_delay_alu instid0(VALU_DEP_2) | instskip(NEXT) | instid1(VALU_DEP_2)
	v_mul_f32_e32 v111, 0x3fb8aa3b, v101
	v_exp_f32_e32 v109, v109
	s_delay_alu instid0(VALU_DEP_2)
	v_exp_f32_e32 v110, v76
	v_sub_f32_e32 v76, v102, v75
	ds_load_2addr_b32 v[101:102], v90 offset0:204 offset1:221
	v_exp_f32_e32 v111, v111
	v_mul_f32_e32 v112, 0x3fb8aa3b, v76
	s_waitcnt lgkmcnt(2)
	v_fma_f32 v76, v110, v107, 0
	v_sub_f32_e32 v103, v103, v75
	s_delay_alu instid0(VALU_DEP_3) | instskip(NEXT) | instid1(VALU_DEP_2)
	v_exp_f32_e32 v112, v112
	v_dual_sub_f32 v107, v104, v75 :: v_dual_fmac_f32 v76, v109, v108
	s_waitcnt lgkmcnt(1)
	s_waitcnt_depctr 0xfff
	v_fmac_f32_e32 v76, v111, v99
	v_mul_f32_e32 v113, 0x3fb8aa3b, v103
	ds_load_2addr_b32 v[103:104], v90 offset0:238 offset1:255
	v_sub_f32_e32 v90, v105, v75
	v_dual_sub_f32 v99, v106, v75 :: v_dual_fmac_f32 v76, v112, v100
	v_mul_f32_e32 v105, 0x3fb8aa3b, v107
	v_exp_f32_e32 v107, v113
	s_delay_alu instid0(VALU_DEP_2)
	v_dual_mul_f32 v90, 0x3fb8aa3b, v90 :: v_dual_mul_f32 v99, 0x3fb8aa3b, v99
	s_waitcnt lgkmcnt(0)
	s_barrier
	buffer_gl0_inv
	v_exp_f32_e32 v90, v90
	v_exp_f32_e32 v99, v99
	v_fmac_f32_e32 v76, v107, v101
	v_exp_f32_e32 v105, v105
	s_waitcnt_depctr 0xfff
	v_fmac_f32_e32 v76, v105, v102
	s_delay_alu instid0(VALU_DEP_1) | instskip(NEXT) | instid1(VALU_DEP_1)
	v_fmac_f32_e32 v76, v90, v103
	v_fmac_f32_e32 v76, v99, v104
	s_delay_alu instid0(VALU_DEP_1) | instskip(NEXT) | instid1(VALU_DEP_1)
	v_add_f32_e32 v100, 0x358637bd, v76
	v_div_scale_f32 v101, null, v100, v100, 1.0
	v_div_scale_f32 v104, vcc_lo, 1.0, v100, 1.0
	s_delay_alu instid0(VALU_DEP_2) | instskip(SKIP_2) | instid1(VALU_DEP_1)
	v_rcp_f32_e32 v102, v101
	s_waitcnt_depctr 0xfff
	v_fma_f32 v103, -v101, v102, 1.0
	v_fmac_f32_e32 v102, v103, v102
	v_cndmask_b32_e64 v103, v110, v109, s3
	v_cmp_eq_u32_e64 s3, 2, v74
	s_delay_alu instid0(VALU_DEP_3) | instskip(NEXT) | instid1(VALU_DEP_2)
	v_mul_f32_e32 v106, v104, v102
	v_cndmask_b32_e64 v103, v103, v111, s3
	v_cmp_eq_u32_e64 s3, 3, v74
	s_delay_alu instid0(VALU_DEP_3) | instskip(NEXT) | instid1(VALU_DEP_2)
	v_fma_f32 v108, -v101, v106, v104
	v_cndmask_b32_e64 v103, v103, v112, s3
	v_cmp_eq_u32_e64 s3, 4, v74
	s_delay_alu instid0(VALU_DEP_3) | instskip(NEXT) | instid1(VALU_DEP_2)
	v_fmac_f32_e32 v106, v108, v102
	v_cndmask_b32_e64 v103, v103, v107, s3
	s_delay_alu instid0(VALU_DEP_2) | instskip(SKIP_1) | instid1(VALU_DEP_2)
	v_fma_f32 v101, -v101, v106, v104
	v_cmp_eq_u32_e64 s3, 5, v74
	v_div_fmas_f32 v101, v101, v102, v106
	s_delay_alu instid0(VALU_DEP_2) | instskip(SKIP_2) | instid1(VALU_DEP_3)
	v_cndmask_b32_e64 v103, v103, v105, s3
	v_cmp_eq_u32_e32 vcc_lo, 6, v74
	s_mov_b32 s3, exec_lo
	v_div_fixup_f32 v100, v101, v100, 1.0
	s_delay_alu instid0(VALU_DEP_3) | instskip(SKIP_1) | instid1(VALU_DEP_2)
	v_cndmask_b32_e32 v90, v103, v90, vcc_lo
	v_cmp_eq_u32_e32 vcc_lo, 7, v74
	v_cndmask_b32_e32 v90, v90, v99, vcc_lo
	s_delay_alu instid0(VALU_DEP_1) | instskip(NEXT) | instid1(VALU_DEP_1)
	v_mul_f32_e32 v90, v90, v100
	v_mul_f32_e32 v100, v90, v92
	;; [unrolled: 1-line block ×6, first 2 shown]
	v_and_b32_e32 v101, 0x7f800000, v100
	v_mul_f32_e32 v99, v90, v95
	v_mul_f32_e32 v95, v90, v91
	;; [unrolled: 1-line block ×3, first 2 shown]
                                        ; implicit-def: $vgpr91
	s_delay_alu instid0(VALU_DEP_4)
	v_cmpx_ne_u32_e32 0x7f800000, v101
	s_xor_b32 s3, exec_lo, s3
; %bb.15:
	v_bfe_u32 v91, v100, 16, 1
	s_delay_alu instid0(VALU_DEP_1)
	v_add3_u32 v91, v100, v91, 0x7fff
                                        ; implicit-def: $vgpr100
; %bb.16:
	s_and_not1_saveexec_b32 s3, s3
; %bb.17:
	v_and_b32_e32 v91, 0xffff, v100
	v_or_b32_e32 v93, 0x10000, v100
	s_delay_alu instid0(VALU_DEP_2) | instskip(NEXT) | instid1(VALU_DEP_2)
	v_cmp_eq_u32_e32 vcc_lo, 0, v91
	v_cndmask_b32_e32 v91, v93, v100, vcc_lo
; %bb.18:
	s_or_b32 exec_lo, exec_lo, s3
	v_and_b32_e32 v93, 0x7f800000, v95
	s_delay_alu instid0(VALU_DEP_1) | instskip(SKIP_1) | instid1(SALU_CYCLE_1)
	v_cmp_ne_u32_e32 vcc_lo, 0x7f800000, v93
                                        ; implicit-def: $vgpr93
	s_and_saveexec_b32 s3, vcc_lo
	s_xor_b32 s3, exec_lo, s3
; %bb.19:
	v_bfe_u32 v93, v95, 16, 1
	s_delay_alu instid0(VALU_DEP_1)
	v_add3_u32 v93, v95, v93, 0x7fff
                                        ; implicit-def: $vgpr95
; %bb.20:
	s_and_not1_saveexec_b32 s3, s3
; %bb.21:
	v_and_b32_e32 v93, 0xffff, v95
	v_or_b32_e32 v100, 0x10000, v95
	s_delay_alu instid0(VALU_DEP_2) | instskip(NEXT) | instid1(VALU_DEP_2)
	v_cmp_eq_u32_e32 vcc_lo, 0, v93
	v_cndmask_b32_e32 v93, v100, v95, vcc_lo
; %bb.22:
	s_or_b32 exec_lo, exec_lo, s3
	v_and_b32_e32 v95, 0x7f800000, v96
	s_delay_alu instid0(VALU_DEP_1) | instskip(SKIP_1) | instid1(SALU_CYCLE_1)
	v_cmp_ne_u32_e32 vcc_lo, 0x7f800000, v95
                                        ; implicit-def: $vgpr95
	s_and_saveexec_b32 s3, vcc_lo
	s_xor_b32 s3, exec_lo, s3
; %bb.23:
	v_bfe_u32 v95, v96, 16, 1
	s_delay_alu instid0(VALU_DEP_1)
	v_add3_u32 v95, v96, v95, 0x7fff
                                        ; implicit-def: $vgpr96
; %bb.24:
	s_and_not1_saveexec_b32 s3, s3
; %bb.25:
	v_and_b32_e32 v95, 0xffff, v96
	v_or_b32_e32 v100, 0x10000, v96
	s_delay_alu instid0(VALU_DEP_2) | instskip(NEXT) | instid1(VALU_DEP_2)
	v_cmp_eq_u32_e32 vcc_lo, 0, v95
	v_cndmask_b32_e32 v95, v100, v96, vcc_lo
; %bb.26:
	s_or_b32 exec_lo, exec_lo, s3
	v_and_b32_e32 v96, 0x7f800000, v99
	s_delay_alu instid0(VALU_DEP_1) | instskip(SKIP_1) | instid1(SALU_CYCLE_1)
	v_cmp_ne_u32_e32 vcc_lo, 0x7f800000, v96
                                        ; implicit-def: $vgpr96
	s_and_saveexec_b32 s3, vcc_lo
	s_xor_b32 s3, exec_lo, s3
; %bb.27:
	v_bfe_u32 v96, v99, 16, 1
	s_delay_alu instid0(VALU_DEP_1)
	v_add3_u32 v96, v99, v96, 0x7fff
                                        ; implicit-def: $vgpr99
; %bb.28:
	s_and_not1_saveexec_b32 s3, s3
; %bb.29:
	v_and_b32_e32 v96, 0xffff, v99
	v_or_b32_e32 v100, 0x10000, v99
	s_delay_alu instid0(VALU_DEP_2) | instskip(NEXT) | instid1(VALU_DEP_2)
	v_cmp_eq_u32_e32 vcc_lo, 0, v96
	v_cndmask_b32_e32 v96, v100, v99, vcc_lo
; %bb.30:
	s_or_b32 exec_lo, exec_lo, s3
	v_and_b32_e32 v99, 0x7f800000, v98
	s_delay_alu instid0(VALU_DEP_1) | instskip(SKIP_1) | instid1(SALU_CYCLE_1)
	v_cmp_ne_u32_e32 vcc_lo, 0x7f800000, v99
                                        ; implicit-def: $vgpr99
	s_and_saveexec_b32 s3, vcc_lo
	s_xor_b32 s3, exec_lo, s3
; %bb.31:
	v_bfe_u32 v99, v98, 16, 1
	s_delay_alu instid0(VALU_DEP_1)
	v_add3_u32 v99, v98, v99, 0x7fff
                                        ; implicit-def: $vgpr98
; %bb.32:
	s_and_not1_saveexec_b32 s3, s3
; %bb.33:
	v_and_b32_e32 v99, 0xffff, v98
	v_or_b32_e32 v100, 0x10000, v98
	s_delay_alu instid0(VALU_DEP_2) | instskip(NEXT) | instid1(VALU_DEP_2)
	v_cmp_eq_u32_e32 vcc_lo, 0, v99
	v_cndmask_b32_e32 v99, v100, v98, vcc_lo
; %bb.34:
	s_or_b32 exec_lo, exec_lo, s3
	v_and_b32_e32 v98, 0x7f800000, v97
	s_delay_alu instid0(VALU_DEP_1) | instskip(SKIP_1) | instid1(SALU_CYCLE_1)
	v_cmp_ne_u32_e32 vcc_lo, 0x7f800000, v98
                                        ; implicit-def: $vgpr98
	s_and_saveexec_b32 s3, vcc_lo
	s_xor_b32 s3, exec_lo, s3
; %bb.35:
	v_bfe_u32 v98, v97, 16, 1
	s_delay_alu instid0(VALU_DEP_1)
	v_add3_u32 v98, v97, v98, 0x7fff
                                        ; implicit-def: $vgpr97
; %bb.36:
	s_and_not1_saveexec_b32 s3, s3
; %bb.37:
	v_and_b32_e32 v98, 0xffff, v97
	v_or_b32_e32 v100, 0x10000, v97
	s_delay_alu instid0(VALU_DEP_2) | instskip(NEXT) | instid1(VALU_DEP_2)
	v_cmp_eq_u32_e32 vcc_lo, 0, v98
	v_cndmask_b32_e32 v98, v100, v97, vcc_lo
; %bb.38:
	s_or_b32 exec_lo, exec_lo, s3
	v_and_b32_e32 v97, 0x7f800000, v94
	s_delay_alu instid0(VALU_DEP_1) | instskip(SKIP_1) | instid1(SALU_CYCLE_1)
	v_cmp_ne_u32_e32 vcc_lo, 0x7f800000, v97
                                        ; implicit-def: $vgpr97
	s_and_saveexec_b32 s3, vcc_lo
	s_xor_b32 s3, exec_lo, s3
; %bb.39:
	v_bfe_u32 v97, v94, 16, 1
	s_delay_alu instid0(VALU_DEP_1)
	v_add3_u32 v97, v94, v97, 0x7fff
                                        ; implicit-def: $vgpr94
; %bb.40:
	s_and_not1_saveexec_b32 s3, s3
; %bb.41:
	v_and_b32_e32 v97, 0xffff, v94
	v_or_b32_e32 v100, 0x10000, v94
	s_delay_alu instid0(VALU_DEP_2) | instskip(NEXT) | instid1(VALU_DEP_2)
	v_cmp_eq_u32_e32 vcc_lo, 0, v97
	v_cndmask_b32_e32 v97, v100, v94, vcc_lo
; %bb.42:
	s_or_b32 exec_lo, exec_lo, s3
	v_and_b32_e32 v94, 0x7f800000, v92
	s_delay_alu instid0(VALU_DEP_1) | instskip(SKIP_1) | instid1(SALU_CYCLE_1)
	v_cmp_ne_u32_e32 vcc_lo, 0x7f800000, v94
                                        ; implicit-def: $vgpr94
	s_and_saveexec_b32 s3, vcc_lo
	s_xor_b32 s3, exec_lo, s3
; %bb.43:
	v_bfe_u32 v94, v92, 16, 1
	s_delay_alu instid0(VALU_DEP_1)
	v_add3_u32 v94, v92, v94, 0x7fff
                                        ; implicit-def: $vgpr92
; %bb.44:
	s_and_not1_saveexec_b32 s3, s3
; %bb.45:
	v_and_b32_e32 v94, 0xffff, v92
	v_or_b32_e32 v100, 0x10000, v92
	s_delay_alu instid0(VALU_DEP_2) | instskip(NEXT) | instid1(VALU_DEP_2)
	v_cmp_eq_u32_e32 vcc_lo, 0, v94
	v_cndmask_b32_e32 v94, v100, v92, vcc_lo
; %bb.46:
	s_or_b32 exec_lo, exec_lo, s3
	s_load_b64 s[34:35], s[0:1], 0x94
	v_lshlrev_b32_e32 v92, 4, v83
	s_delay_alu instid0(VALU_DEP_2)
	v_perm_b32 v100, v94, v97, 0x7060302
	v_dual_mul_f32 v89, v90, v89 :: v_dual_lshlrev_b32 v94, 11, v74
	v_perm_b32 v97, v93, v91, 0x7060302
	v_mul_f32_e32 v93, v90, v77
	v_perm_b32 v99, v98, v99, 0x7060302
	v_perm_b32 v98, v96, v95, 0x7060302
	v_or3_b32 v77, v92, v94, v85
	v_mul_f32_e32 v88, v90, v88
	v_dual_mul_f32 v87, v90, v87 :: v_dual_and_b32 v94, 0x7f800000, v93
	v_mul_f32_e32 v86, v90, v86
	v_mul_f32_e32 v91, v90, v80
	v_mul_f32_e32 v92, v90, v79
	v_mul_f32_e32 v80, v90, v78
	s_mov_b32 s3, exec_lo
	ds_store_b128 v77, v[97:100]
                                        ; implicit-def: $vgpr78
	v_cmpx_ne_u32_e32 0x7f800000, v94
	s_xor_b32 s3, exec_lo, s3
; %bb.47:
	v_bfe_u32 v78, v93, 16, 1
	s_delay_alu instid0(VALU_DEP_1)
	v_add3_u32 v78, v93, v78, 0x7fff
                                        ; implicit-def: $vgpr93
; %bb.48:
	s_and_not1_saveexec_b32 s3, s3
; %bb.49:
	v_and_b32_e32 v78, 0xffff, v93
	v_or_b32_e32 v79, 0x10000, v93
	s_delay_alu instid0(VALU_DEP_2) | instskip(NEXT) | instid1(VALU_DEP_2)
	v_cmp_eq_u32_e32 vcc_lo, 0, v78
	v_cndmask_b32_e32 v78, v79, v93, vcc_lo
; %bb.50:
	s_or_b32 exec_lo, exec_lo, s3
	v_and_b32_e32 v79, 0x7f800000, v80
	s_delay_alu instid0(VALU_DEP_1) | instskip(SKIP_1) | instid1(SALU_CYCLE_1)
	v_cmp_ne_u32_e32 vcc_lo, 0x7f800000, v79
                                        ; implicit-def: $vgpr79
	s_and_saveexec_b32 s3, vcc_lo
	s_xor_b32 s3, exec_lo, s3
; %bb.51:
	v_bfe_u32 v79, v80, 16, 1
	s_delay_alu instid0(VALU_DEP_1)
	v_add3_u32 v79, v80, v79, 0x7fff
                                        ; implicit-def: $vgpr80
; %bb.52:
	s_and_not1_saveexec_b32 s3, s3
; %bb.53:
	v_and_b32_e32 v79, 0xffff, v80
	v_or_b32_e32 v90, 0x10000, v80
	s_delay_alu instid0(VALU_DEP_2) | instskip(NEXT) | instid1(VALU_DEP_2)
	v_cmp_eq_u32_e32 vcc_lo, 0, v79
	v_cndmask_b32_e32 v79, v90, v80, vcc_lo
; %bb.54:
	s_or_b32 exec_lo, exec_lo, s3
	v_and_b32_e32 v80, 0x7f800000, v92
	s_delay_alu instid0(VALU_DEP_1) | instskip(SKIP_1) | instid1(SALU_CYCLE_1)
	v_cmp_ne_u32_e32 vcc_lo, 0x7f800000, v80
                                        ; implicit-def: $vgpr80
	s_and_saveexec_b32 s3, vcc_lo
	s_xor_b32 s3, exec_lo, s3
; %bb.55:
	v_bfe_u32 v80, v92, 16, 1
	s_delay_alu instid0(VALU_DEP_1)
	v_add3_u32 v80, v92, v80, 0x7fff
                                        ; implicit-def: $vgpr92
; %bb.56:
	s_and_not1_saveexec_b32 s3, s3
; %bb.57:
	v_and_b32_e32 v80, 0xffff, v92
	v_or_b32_e32 v90, 0x10000, v92
	s_delay_alu instid0(VALU_DEP_2) | instskip(NEXT) | instid1(VALU_DEP_2)
	v_cmp_eq_u32_e32 vcc_lo, 0, v80
	v_cndmask_b32_e32 v80, v90, v92, vcc_lo
; %bb.58:
	s_or_b32 exec_lo, exec_lo, s3
	v_and_b32_e32 v90, 0x7f800000, v91
	s_delay_alu instid0(VALU_DEP_1) | instskip(SKIP_1) | instid1(SALU_CYCLE_1)
	v_cmp_ne_u32_e32 vcc_lo, 0x7f800000, v90
                                        ; implicit-def: $vgpr90
	s_and_saveexec_b32 s3, vcc_lo
	s_xor_b32 s3, exec_lo, s3
; %bb.59:
	v_bfe_u32 v90, v91, 16, 1
	s_delay_alu instid0(VALU_DEP_1)
	v_add3_u32 v90, v91, v90, 0x7fff
                                        ; implicit-def: $vgpr91
; %bb.60:
	s_and_not1_saveexec_b32 s3, s3
; %bb.61:
	v_and_b32_e32 v90, 0xffff, v91
	v_or_b32_e32 v92, 0x10000, v91
	s_delay_alu instid0(VALU_DEP_2) | instskip(NEXT) | instid1(VALU_DEP_2)
	v_cmp_eq_u32_e32 vcc_lo, 0, v90
	v_cndmask_b32_e32 v90, v92, v91, vcc_lo
; %bb.62:
	s_or_b32 exec_lo, exec_lo, s3
	v_and_b32_e32 v91, 0x7f800000, v86
	s_delay_alu instid0(VALU_DEP_1) | instskip(SKIP_1) | instid1(SALU_CYCLE_1)
	v_cmp_ne_u32_e32 vcc_lo, 0x7f800000, v91
                                        ; implicit-def: $vgpr91
	s_and_saveexec_b32 s3, vcc_lo
	s_xor_b32 s3, exec_lo, s3
; %bb.63:
	v_bfe_u32 v91, v86, 16, 1
	s_delay_alu instid0(VALU_DEP_1)
	v_add3_u32 v91, v86, v91, 0x7fff
                                        ; implicit-def: $vgpr86
; %bb.64:
	s_and_not1_saveexec_b32 s3, s3
; %bb.65:
	v_and_b32_e32 v91, 0xffff, v86
	v_or_b32_e32 v92, 0x10000, v86
	s_delay_alu instid0(VALU_DEP_2) | instskip(NEXT) | instid1(VALU_DEP_2)
	v_cmp_eq_u32_e32 vcc_lo, 0, v91
	v_cndmask_b32_e32 v91, v92, v86, vcc_lo
; %bb.66:
	s_or_b32 exec_lo, exec_lo, s3
	v_and_b32_e32 v86, 0x7f800000, v87
	s_delay_alu instid0(VALU_DEP_1) | instskip(SKIP_1) | instid1(SALU_CYCLE_1)
	v_cmp_ne_u32_e32 vcc_lo, 0x7f800000, v86
                                        ; implicit-def: $vgpr86
	s_and_saveexec_b32 s3, vcc_lo
	s_xor_b32 s3, exec_lo, s3
; %bb.67:
	v_bfe_u32 v86, v87, 16, 1
	s_delay_alu instid0(VALU_DEP_1)
	v_add3_u32 v86, v87, v86, 0x7fff
                                        ; implicit-def: $vgpr87
; %bb.68:
	s_and_not1_saveexec_b32 s3, s3
; %bb.69:
	v_and_b32_e32 v86, 0xffff, v87
	v_or_b32_e32 v92, 0x10000, v87
	s_delay_alu instid0(VALU_DEP_2) | instskip(NEXT) | instid1(VALU_DEP_2)
	v_cmp_eq_u32_e32 vcc_lo, 0, v86
	v_cndmask_b32_e32 v86, v92, v87, vcc_lo
; %bb.70:
	s_or_b32 exec_lo, exec_lo, s3
	v_and_b32_e32 v87, 0x7f800000, v88
	s_delay_alu instid0(VALU_DEP_1) | instskip(SKIP_1) | instid1(SALU_CYCLE_1)
	v_cmp_ne_u32_e32 vcc_lo, 0x7f800000, v87
                                        ; implicit-def: $vgpr87
	s_and_saveexec_b32 s3, vcc_lo
	s_xor_b32 s3, exec_lo, s3
; %bb.71:
	v_bfe_u32 v87, v88, 16, 1
	s_delay_alu instid0(VALU_DEP_1)
	v_add3_u32 v87, v88, v87, 0x7fff
                                        ; implicit-def: $vgpr88
; %bb.72:
	s_and_not1_saveexec_b32 s3, s3
; %bb.73:
	v_and_b32_e32 v87, 0xffff, v88
	v_or_b32_e32 v92, 0x10000, v88
	s_delay_alu instid0(VALU_DEP_2) | instskip(NEXT) | instid1(VALU_DEP_2)
	v_cmp_eq_u32_e32 vcc_lo, 0, v87
	v_cndmask_b32_e32 v87, v92, v88, vcc_lo
; %bb.74:
	s_or_b32 exec_lo, exec_lo, s3
	v_and_b32_e32 v88, 0x7f800000, v89
	s_delay_alu instid0(VALU_DEP_1) | instskip(SKIP_1) | instid1(SALU_CYCLE_1)
	v_cmp_ne_u32_e32 vcc_lo, 0x7f800000, v88
                                        ; implicit-def: $vgpr88
	s_and_saveexec_b32 s3, vcc_lo
	s_xor_b32 s3, exec_lo, s3
; %bb.75:
	v_bfe_u32 v88, v89, 16, 1
	s_delay_alu instid0(VALU_DEP_1)
	v_add3_u32 v88, v89, v88, 0x7fff
                                        ; implicit-def: $vgpr89
; %bb.76:
	s_and_not1_saveexec_b32 s3, s3
; %bb.77:
	v_and_b32_e32 v88, 0xffff, v89
	v_or_b32_e32 v92, 0x10000, v89
	s_delay_alu instid0(VALU_DEP_2) | instskip(NEXT) | instid1(VALU_DEP_2)
	v_cmp_eq_u32_e32 vcc_lo, 0, v88
	v_cndmask_b32_e32 v88, v92, v89, vcc_lo
; %bb.78:
	s_or_b32 exec_lo, exec_lo, s3
	s_delay_alu instid0(VALU_DEP_1)
	v_perm_b32 v89, v88, v87, 0x7060302
	v_perm_b32 v88, v86, v91, 0x7060302
	;; [unrolled: 1-line block ×4, first 2 shown]
	v_lshl_or_b32 v90, v74, 11, v85
	ds_store_b128 v77, v[86:89] offset:1024
	s_waitcnt lgkmcnt(0)
	s_barrier
	buffer_gl0_inv
	ds_load_b128 v[91:94], v90
	ds_load_b128 v[95:98], v90 offset:16
	v_lshlrev_b32_e32 v87, 2, v83
	s_delay_alu instid0(VALU_DEP_1)
	v_or_b32_e32 v88, 1, v87
	v_cmp_eq_u32_e32 vcc_lo, 1, v87
	v_cmp_eq_u32_e64 s4, 2, v87
	v_cmp_eq_u32_e64 s7, 3, v87
	;; [unrolled: 1-line block ×6, first 2 shown]
	v_or_b32_e32 v86, 2, v87
	v_cmp_eq_u32_e64 s10, 5, v87
	v_cmp_eq_u32_e64 s11, 4, v88
	;; [unrolled: 1-line block ×4, first 2 shown]
	s_waitcnt lgkmcnt(1)
	v_lshrrev_b32_e32 v74, 16, v91
	s_waitcnt lgkmcnt(0)
	v_lshrrev_b32_e32 v103, 16, v95
	v_lshrrev_b32_e32 v80, 16, v94
	;; [unrolled: 1-line block ×4, first 2 shown]
	v_cndmask_b32_e32 v89, v91, v74, vcc_lo
	v_cndmask_b32_e32 v99, v95, v103, vcc_lo
	v_cndmask_b32_e64 v100, v91, v74, s3
	v_lshrrev_b32_e32 v79, 16, v93
	v_lshrrev_b32_e32 v108, 16, v97
	v_cndmask_b32_e64 v89, v89, v92, s4
	v_cndmask_b32_e64 v99, v99, v96, s4
	;; [unrolled: 1-line block ×4, first 2 shown]
	v_cmp_eq_u32_e64 s5, 1, v86
	v_cndmask_b32_e64 v89, v89, v78, s7
	v_cndmask_b32_e64 v99, v99, v107, s7
	;; [unrolled: 1-line block ×4, first 2 shown]
	v_lshrrev_b32_e32 v109, 16, v98
	v_cndmask_b32_e64 v89, v89, v93, s9
	v_cndmask_b32_e64 v99, v99, v97, s9
	;; [unrolled: 1-line block ×8, first 2 shown]
	v_cmp_eq_u32_e64 s15, 7, v87
	v_cmp_eq_u32_e64 s16, 6, v88
	v_cndmask_b32_e64 v89, v89, v94, s12
	v_cndmask_b32_e64 v99, v99, v98, s12
	v_cmp_eq_u32_e64 s17, 2, v86
	v_cndmask_b32_e64 v101, v101, v97, s11
	v_cndmask_b32_e64 v100, v100, v94, s16
	;; [unrolled: 1-line block ×6, first 2 shown]
	v_cmp_eq_u32_e64 s18, 7, v88
	v_cmp_eq_u32_e64 s19, 3, v86
	;; [unrolled: 1-line block ×4, first 2 shown]
	v_cndmask_b32_e64 v99, v99, v96, s17
	v_cndmask_b32_e64 v112, v100, v80, s18
	;; [unrolled: 1-line block ×4, first 2 shown]
	v_or_b32_e32 v89, 3, v87
	v_cndmask_b32_e64 v105, v99, v107, s19
	v_cmp_eq_u32_e64 s24, 6, v86
	v_cndmask_b32_e64 v113, v100, v98, s16
	v_cndmask_b32_e64 v104, v101, v93, s20
	ds_load_b128 v[99:102], v90 offset:1024
	v_cmp_eq_u32_e64 s21, 1, v89
	v_cmp_eq_u32_e64 s23, 2, v89
	v_cmp_eq_u32_e64 s25, 3, v89
	v_cndmask_b32_e64 v114, v104, v79, s22
	v_cmp_eq_u32_e64 s26, 4, v89
	v_cndmask_b32_e64 v74, v91, v74, s21
	v_cndmask_b32_e64 v91, v105, v97, s20
	;; [unrolled: 1-line block ×3, first 2 shown]
	ds_load_b128 v[103:106], v90 offset:1040
	v_cmp_eq_u32_e64 s28, 5, v89
	v_cndmask_b32_e64 v74, v74, v92, s23
	v_cndmask_b32_e64 v91, v91, v108, s22
	;; [unrolled: 1-line block ×3, first 2 shown]
	v_cmp_eq_u32_e64 s29, 6, v89
	v_cndmask_b32_e64 v95, v113, v109, s18
	v_cndmask_b32_e64 v74, v74, v78, s25
	;; [unrolled: 1-line block ×5, first 2 shown]
	s_waitcnt lgkmcnt(1)
	v_lshrrev_b32_e32 v96, 16, v99
	v_cndmask_b32_e64 v74, v74, v93, s26
	v_lshrrev_b32_e32 v107, 16, v100
	v_cndmask_b32_e64 v92, v92, v97, s26
	v_cmp_eq_u32_e64 s27, 7, v86
	v_cndmask_b32_e32 v93, v99, v96, vcc_lo
	v_cndmask_b32_e64 v74, v74, v79, s28
	s_delay_alu instid0(VALU_DEP_4)
	v_cndmask_b32_e64 v79, v92, v108, s28
	s_waitcnt lgkmcnt(0)
	v_lshrrev_b32_e32 v97, 16, v103
	v_cndmask_b32_e64 v92, v93, v100, s4
	v_cndmask_b32_e64 v93, v99, v96, s3
	;; [unrolled: 1-line block ×4, first 2 shown]
	v_cndmask_b32_e32 v108, v103, v97, vcc_lo
	v_cndmask_b32_e64 v92, v92, v107, s7
	v_cndmask_b32_e64 v93, v93, v100, s6
	v_lshrrev_b32_e32 v98, 16, v104
	v_cmp_eq_u32_e32 vcc_lo, 7, v89
	v_cndmask_b32_e64 v94, v108, v104, s4
	v_cndmask_b32_e64 v92, v92, v101, s9
	v_lshrrev_b32_e32 v108, 16, v101
	v_cndmask_b32_e64 v93, v93, v107, s8
	v_cndmask_b32_e32 v74, v74, v80, vcc_lo
	v_cndmask_b32_e64 v94, v94, v98, s7
	v_cndmask_b32_e32 v79, v79, v109, vcc_lo
	v_cndmask_b32_e64 v92, v92, v108, s10
	v_cndmask_b32_e64 v78, v78, v80, s27
	;; [unrolled: 1-line block ×4, first 2 shown]
	v_perm_b32 v94, v79, v74, 0x5040100
	v_cndmask_b32_e64 v79, v92, v102, s12
	v_perm_b32 v92, v95, v112, 0x5040100
	v_cndmask_b32_e64 v95, v99, v96, s5
	v_cndmask_b32_e64 v96, v99, v96, s21
	;; [unrolled: 1-line block ×16, first 2 shown]
	v_lshrrev_b32_e32 v109, 16, v105
	v_cndmask_b32_e64 v95, v95, v101, s20
	v_cndmask_b32_e64 v96, v96, v101, s26
	;; [unrolled: 1-line block ×6, first 2 shown]
	v_lshrrev_b32_e32 v80, 16, v102
	v_cndmask_b32_e64 v113, v93, v109, s10
	v_cndmask_b32_e64 v95, v95, v108, s22
	;; [unrolled: 1-line block ×6, first 2 shown]
	v_perm_b32 v93, v91, v78, 0x5040100
	v_cndmask_b32_e64 v74, v74, v102, s16
	v_cndmask_b32_e64 v78, v79, v80, s15
	;; [unrolled: 1-line block ×3, first 2 shown]
	v_lshrrev_b32_e32 v91, 16, v106
	v_cndmask_b32_e64 v95, v95, v102, s24
	v_cndmask_b32_e64 v96, v96, v102, s29
	;; [unrolled: 1-line block ×7, first 2 shown]
	v_cndmask_b32_e32 v80, v96, v80, vcc_lo
	v_cndmask_b32_e32 v96, v98, v91, vcc_lo
	v_cndmask_b32_e64 v99, v99, v91, s27
	v_cndmask_b32_e64 v100, v97, v91, s18
	v_cndmask_b32_e64 v79, v79, v91, s15
	v_perm_b32 v91, v111, v110, 0x5040100
	v_perm_b32 v98, v96, v80, 0x5040100
	;; [unrolled: 1-line block ×5, first 2 shown]
	s_mul_i32 s8, s35, 13
	s_mov_b32 s3, exec_lo
	ds_store_b128 v77, v[91:94]
	ds_store_b128 v77, v[95:98] offset:1024
	v_cmpx_gt_u32_e32 13, v0
	s_cbranch_execz .LBB742_80
; %bb.79:
	s_mul_i32 s4, s8, s30
	s_delay_alu instid0(SALU_CYCLE_1) | instskip(SKIP_1) | instid1(VALU_DEP_1)
	v_add3_u32 v77, s4, s31, v73
	s_load_b128 s[4:7], s[0:1], 0x58
	v_mad_u64_u32 v[73:74], null, v77, s34, s[14:15]
	s_delay_alu instid0(VALU_DEP_1) | instskip(NEXT) | instid1(VALU_DEP_1)
	v_ashrrev_i32_e32 v74, 31, v73
	v_lshlrev_b64 v[73:74], 2, v[73:74]
	s_waitcnt lgkmcnt(0)
	s_delay_alu instid0(VALU_DEP_1) | instskip(NEXT) | instid1(VALU_DEP_2)
	v_add_co_u32 v77, vcc_lo, s6, v73
	v_add_co_ci_u32_e32 v78, vcc_lo, s7, v74, vcc_lo
	v_add_co_u32 v73, vcc_lo, s4, v73
	v_add_co_ci_u32_e32 v74, vcc_lo, s5, v74, vcc_lo
	global_store_b32 v[77:78], v75, off
	global_store_b32 v[73:74], v76, off
.LBB742_80:
	s_or_b32 exec_lo, exec_lo, s3
	s_waitcnt lgkmcnt(0)
	s_waitcnt_vscnt null, 0x0
	s_barrier
	buffer_gl0_inv
	ds_load_b128 v[91:94], v85
	ds_load_b128 v[95:98], v85 offset:16
	ds_load_b128 v[103:106], v85 offset:1040
	;; [unrolled: 1-line block ×3, first 2 shown]
	v_mov_b32_e32 v73, 0
	ds_load_b128 v[111:114], v85 offset:2064
	ds_load_b128 v[107:110], v85 offset:2048
	;; [unrolled: 1-line block ×6, first 2 shown]
	v_mov_b32_e32 v74, v73
	v_mov_b32_e32 v75, v73
	;; [unrolled: 1-line block ×7, first 2 shown]
	s_waitcnt lgkmcnt(8)
	s_delay_alu instid0(VALU_DEP_1)
	v_wmma_f32_16x16x16_bf16 v[73:80], v[65:72], v[91:98], v[73:80]
	ds_load_b128 v[69:72], v85 offset:5136
	ds_load_b128 v[65:68], v85 offset:5120
	;; [unrolled: 1-line block ×4, first 2 shown]
	s_waitcnt lgkmcnt(10)
	v_wmma_f32_16x16x16_bf16 v[73:80], v[57:64], v[99:106], v[73:80]
	s_waitcnt lgkmcnt(8)
	s_delay_alu instid0(VALU_DEP_1)
	v_wmma_f32_16x16x16_bf16 v[73:80], v[57:64], v[107:114], v[73:80]
	ds_load_b128 v[61:64], v85 offset:7184
	ds_load_b128 v[57:60], v85 offset:7168
	;; [unrolled: 1-line block ×4, first 2 shown]
	s_waitcnt lgkmcnt(10)
	v_wmma_f32_16x16x16_bf16 v[73:80], v[49:56], v[115:122], v[73:80]
	s_waitcnt lgkmcnt(8)
	s_delay_alu instid0(VALU_DEP_1)
	v_wmma_f32_16x16x16_bf16 v[73:80], v[49:56], v[123:130], v[73:80]
	ds_load_b128 v[53:56], v85 offset:9232
	ds_load_b128 v[49:52], v85 offset:9216
	s_waitcnt lgkmcnt(8)
	v_wmma_f32_16x16x16_bf16 v[73:80], v[41:48], v[65:72], v[73:80]
	ds_load_b128 v[69:72], v85 offset:10256
	ds_load_b128 v[65:68], v85 offset:10240
	s_waitcnt lgkmcnt(8)
	;; [unrolled: 4-line block ×3, first 2 shown]
	v_wmma_f32_16x16x16_bf16 v[73:80], v[9:16], v[57:64], v[73:80]
	s_waitcnt lgkmcnt(6)
	s_delay_alu instid0(VALU_DEP_1)
	v_wmma_f32_16x16x16_bf16 v[73:80], v[9:16], v[99:106], v[73:80]
	ds_load_b128 v[13:16], v85 offset:12304
	ds_load_b128 v[9:12], v85 offset:12288
	s_waitcnt lgkmcnt(6)
	v_wmma_f32_16x16x16_bf16 v[73:80], v[1:8], v[49:56], v[73:80]
	ds_load_b128 v[53:56], v85 offset:13328
	ds_load_b128 v[49:52], v85 offset:13312
	s_waitcnt lgkmcnt(6)
	;; [unrolled: 4-line block ×4, first 2 shown]
	v_wmma_f32_16x16x16_bf16 v[73:80], v[33:40], v[9:16], v[73:80]
	s_waitcnt lgkmcnt(4)
	s_delay_alu instid0(VALU_DEP_1) | instskip(SKIP_1) | instid1(VALU_DEP_1)
	v_wmma_f32_16x16x16_bf16 v[73:80], v[25:32], v[49:56], v[73:80]
	s_waitcnt lgkmcnt(2)
	v_wmma_f32_16x16x16_bf16 v[73:80], v[25:32], v[1:8], v[73:80]
	s_waitcnt lgkmcnt(0)
	s_delay_alu instid0(VALU_DEP_1) | instskip(NEXT) | instid1(VALU_DEP_1)
	v_wmma_f32_16x16x16_bf16 v[73:80], v[17:24], v[41:48], v[73:80]
	v_and_b32_e32 v1, 0x7f800000, v73
	s_delay_alu instid0(VALU_DEP_1) | instskip(SKIP_1) | instid1(SALU_CYCLE_1)
	v_cmp_ne_u32_e32 vcc_lo, 0x7f800000, v1
                                        ; implicit-def: $vgpr1
	s_and_saveexec_b32 s3, vcc_lo
	s_xor_b32 s3, exec_lo, s3
; %bb.81:
	v_bfe_u32 v1, v73, 16, 1
	s_delay_alu instid0(VALU_DEP_1)
	v_add3_u32 v1, v73, v1, 0x7fff
; %bb.82:
	s_and_not1_saveexec_b32 s3, s3
; %bb.83:
	v_and_b32_e32 v1, 0xffff, v73
	v_or_b32_e32 v2, 0x10000, v73
	s_delay_alu instid0(VALU_DEP_2) | instskip(NEXT) | instid1(VALU_DEP_2)
	v_cmp_eq_u32_e32 vcc_lo, 0, v1
	v_cndmask_b32_e32 v1, v2, v73, vcc_lo
; %bb.84:
	s_or_b32 exec_lo, exec_lo, s3
	v_and_b32_e32 v2, 0x7f800000, v74
	s_delay_alu instid0(VALU_DEP_1) | instskip(SKIP_1) | instid1(SALU_CYCLE_1)
	v_cmp_ne_u32_e32 vcc_lo, 0x7f800000, v2
                                        ; implicit-def: $vgpr2
	s_and_saveexec_b32 s3, vcc_lo
	s_xor_b32 s3, exec_lo, s3
; %bb.85:
	v_bfe_u32 v2, v74, 16, 1
	s_delay_alu instid0(VALU_DEP_1)
	v_add3_u32 v2, v74, v2, 0x7fff
; %bb.86:
	s_and_not1_saveexec_b32 s3, s3
; %bb.87:
	v_and_b32_e32 v2, 0xffff, v74
	v_or_b32_e32 v3, 0x10000, v74
	s_delay_alu instid0(VALU_DEP_2) | instskip(NEXT) | instid1(VALU_DEP_2)
	v_cmp_eq_u32_e32 vcc_lo, 0, v2
	v_cndmask_b32_e32 v2, v3, v74, vcc_lo
; %bb.88:
	s_or_b32 exec_lo, exec_lo, s3
	v_and_b32_e32 v3, 0x7f800000, v75
	s_delay_alu instid0(VALU_DEP_1) | instskip(SKIP_1) | instid1(SALU_CYCLE_1)
	v_cmp_ne_u32_e32 vcc_lo, 0x7f800000, v3
                                        ; implicit-def: $vgpr3
	s_and_saveexec_b32 s3, vcc_lo
	s_xor_b32 s3, exec_lo, s3
; %bb.89:
	v_bfe_u32 v3, v75, 16, 1
	s_delay_alu instid0(VALU_DEP_1)
	v_add3_u32 v3, v75, v3, 0x7fff
; %bb.90:
	s_and_not1_saveexec_b32 s3, s3
; %bb.91:
	v_and_b32_e32 v3, 0xffff, v75
	v_or_b32_e32 v4, 0x10000, v75
	s_delay_alu instid0(VALU_DEP_2) | instskip(NEXT) | instid1(VALU_DEP_2)
	v_cmp_eq_u32_e32 vcc_lo, 0, v3
	v_cndmask_b32_e32 v3, v4, v75, vcc_lo
; %bb.92:
	s_or_b32 exec_lo, exec_lo, s3
	v_and_b32_e32 v4, 0x7f800000, v76
	s_delay_alu instid0(VALU_DEP_1) | instskip(SKIP_1) | instid1(SALU_CYCLE_1)
	v_cmp_ne_u32_e32 vcc_lo, 0x7f800000, v4
                                        ; implicit-def: $vgpr4
	s_and_saveexec_b32 s3, vcc_lo
	s_xor_b32 s3, exec_lo, s3
; %bb.93:
	v_bfe_u32 v4, v76, 16, 1
	s_delay_alu instid0(VALU_DEP_1)
	v_add3_u32 v4, v76, v4, 0x7fff
; %bb.94:
	s_and_not1_saveexec_b32 s3, s3
; %bb.95:
	v_and_b32_e32 v4, 0xffff, v76
	v_or_b32_e32 v5, 0x10000, v76
	s_delay_alu instid0(VALU_DEP_2) | instskip(NEXT) | instid1(VALU_DEP_2)
	v_cmp_eq_u32_e32 vcc_lo, 0, v4
	v_cndmask_b32_e32 v4, v5, v76, vcc_lo
; %bb.96:
	s_or_b32 exec_lo, exec_lo, s3
	v_and_b32_e32 v5, 0x7f800000, v77
	s_delay_alu instid0(VALU_DEP_1) | instskip(SKIP_1) | instid1(SALU_CYCLE_1)
	v_cmp_ne_u32_e32 vcc_lo, 0x7f800000, v5
                                        ; implicit-def: $vgpr5
	s_and_saveexec_b32 s3, vcc_lo
	s_xor_b32 s3, exec_lo, s3
; %bb.97:
	v_bfe_u32 v5, v77, 16, 1
	s_delay_alu instid0(VALU_DEP_1)
	v_add3_u32 v5, v77, v5, 0x7fff
; %bb.98:
	s_and_not1_saveexec_b32 s3, s3
; %bb.99:
	v_and_b32_e32 v5, 0xffff, v77
	v_or_b32_e32 v6, 0x10000, v77
	s_delay_alu instid0(VALU_DEP_2) | instskip(NEXT) | instid1(VALU_DEP_2)
	v_cmp_eq_u32_e32 vcc_lo, 0, v5
	v_cndmask_b32_e32 v5, v6, v77, vcc_lo
; %bb.100:
	s_or_b32 exec_lo, exec_lo, s3
	v_and_b32_e32 v6, 0x7f800000, v78
	s_delay_alu instid0(VALU_DEP_1) | instskip(SKIP_1) | instid1(SALU_CYCLE_1)
	v_cmp_ne_u32_e32 vcc_lo, 0x7f800000, v6
                                        ; implicit-def: $vgpr6
	s_and_saveexec_b32 s3, vcc_lo
	s_xor_b32 s3, exec_lo, s3
; %bb.101:
	v_bfe_u32 v6, v78, 16, 1
	s_delay_alu instid0(VALU_DEP_1)
	v_add3_u32 v6, v78, v6, 0x7fff
; %bb.102:
	s_and_not1_saveexec_b32 s3, s3
; %bb.103:
	v_and_b32_e32 v6, 0xffff, v78
	v_or_b32_e32 v7, 0x10000, v78
	s_delay_alu instid0(VALU_DEP_2) | instskip(NEXT) | instid1(VALU_DEP_2)
	v_cmp_eq_u32_e32 vcc_lo, 0, v6
	v_cndmask_b32_e32 v6, v7, v78, vcc_lo
; %bb.104:
	s_or_b32 exec_lo, exec_lo, s3
	v_and_b32_e32 v7, 0x7f800000, v79
	s_delay_alu instid0(VALU_DEP_1) | instskip(SKIP_1) | instid1(SALU_CYCLE_1)
	v_cmp_ne_u32_e32 vcc_lo, 0x7f800000, v7
                                        ; implicit-def: $vgpr7
	s_and_saveexec_b32 s3, vcc_lo
	s_xor_b32 s3, exec_lo, s3
; %bb.105:
	v_bfe_u32 v7, v79, 16, 1
	s_delay_alu instid0(VALU_DEP_1)
	v_add3_u32 v7, v79, v7, 0x7fff
; %bb.106:
	s_and_not1_saveexec_b32 s3, s3
; %bb.107:
	v_and_b32_e32 v7, 0xffff, v79
	v_or_b32_e32 v8, 0x10000, v79
	s_delay_alu instid0(VALU_DEP_2) | instskip(NEXT) | instid1(VALU_DEP_2)
	v_cmp_eq_u32_e32 vcc_lo, 0, v7
	v_cndmask_b32_e32 v7, v8, v79, vcc_lo
; %bb.108:
	s_or_b32 exec_lo, exec_lo, s3
	v_and_b32_e32 v8, 0x7f800000, v80
	s_delay_alu instid0(VALU_DEP_1) | instskip(SKIP_1) | instid1(SALU_CYCLE_1)
	v_cmp_ne_u32_e32 vcc_lo, 0x7f800000, v8
                                        ; implicit-def: $vgpr8
	s_and_saveexec_b32 s3, vcc_lo
	s_xor_b32 s3, exec_lo, s3
; %bb.109:
	v_bfe_u32 v8, v80, 16, 1
	s_delay_alu instid0(VALU_DEP_1)
	v_add3_u32 v8, v80, v8, 0x7fff
                                        ; implicit-def: $vgpr73_vgpr74_vgpr75_vgpr76_vgpr77_vgpr78_vgpr79_vgpr80
; %bb.110:
	s_and_not1_saveexec_b32 s3, s3
; %bb.111:
	v_and_b32_e32 v8, 0xffff, v80
	v_or_b32_e32 v9, 0x10000, v80
	s_delay_alu instid0(VALU_DEP_2) | instskip(NEXT) | instid1(VALU_DEP_2)
	v_cmp_eq_u32_e32 vcc_lo, 0, v8
	v_cndmask_b32_e32 v8, v9, v80, vcc_lo
; %bb.112:
	s_or_b32 exec_lo, exec_lo, s3
	s_delay_alu instid0(VALU_DEP_1)
	v_perm_b32 v7, v8, v7, 0x7060302
	v_perm_b32 v6, v6, v5, 0x7060302
	;; [unrolled: 1-line block ×4, first 2 shown]
	v_lshl_or_b32 v9, v83, 4, v90
	s_barrier
	buffer_gl0_inv
	v_cmp_eq_u32_e32 vcc_lo, 1, v87
	ds_store_b128 v9, v[4:7]
	s_waitcnt lgkmcnt(0)
	s_barrier
	buffer_gl0_inv
	ds_load_b128 v[1:4], v90
	ds_load_b128 v[5:8], v90 offset:16
	v_cmp_eq_u32_e64 s4, 2, v87
	v_cmp_eq_u32_e64 s3, 1, v88
	;; [unrolled: 1-line block ×5, first 2 shown]
	s_waitcnt lgkmcnt(1)
	v_lshrrev_b32_e32 v10, 16, v1
	s_waitcnt lgkmcnt(0)
	v_lshrrev_b32_e32 v14, 16, v5
	v_lshrrev_b32_e32 v15, 16, v6
	;; [unrolled: 1-line block ×4, first 2 shown]
	v_cndmask_b32_e64 v20, v1, v10, s3
	v_cndmask_b32_e32 v19, v5, v14, vcc_lo
	v_cndmask_b32_e64 v21, v5, v14, s3
	v_lshrrev_b32_e32 v16, 16, v7
	v_cmp_eq_u32_e64 s3, 1, v86
	v_lshrrev_b32_e32 v13, 16, v4
	v_cndmask_b32_e64 v19, v19, v6, s4
	v_lshrrev_b32_e32 v17, 16, v8
	s_delay_alu instid0(VALU_DEP_4) | instskip(SKIP_1) | instid1(VALU_DEP_4)
	v_cndmask_b32_e64 v22, v1, v10, s3
	v_cndmask_b32_e64 v23, v5, v14, s3
	;; [unrolled: 1-line block ×3, first 2 shown]
	v_cndmask_b32_e32 v18, v1, v10, vcc_lo
	v_cmp_eq_u32_e32 vcc_lo, 2, v88
	v_cmp_eq_u32_e64 s3, 2, v89
	v_cndmask_b32_e64 v22, v22, v2, s7
	v_cndmask_b32_e32 v20, v20, v2, vcc_lo
	v_cndmask_b32_e32 v21, v21, v6, vcc_lo
	v_cmp_eq_u32_e32 vcc_lo, 4, v87
	v_cndmask_b32_e32 v19, v19, v7, vcc_lo
	v_cndmask_b32_e64 v18, v18, v2, s4
	v_cmp_eq_u32_e64 s4, 3, v88
	s_delay_alu instid0(VALU_DEP_2) | instskip(NEXT) | instid1(VALU_DEP_2)
	v_cndmask_b32_e64 v18, v18, v11, s5
	v_cndmask_b32_e64 v21, v21, v15, s4
	v_cmp_eq_u32_e64 s5, 5, v87
	s_delay_alu instid0(VALU_DEP_3) | instskip(SKIP_1) | instid1(VALU_DEP_3)
	v_cndmask_b32_e32 v18, v18, v3, vcc_lo
	v_cmp_eq_u32_e32 vcc_lo, 4, v88
	v_cndmask_b32_e64 v19, v19, v16, s5
	s_delay_alu instid0(VALU_DEP_3) | instskip(SKIP_4) | instid1(VALU_DEP_3)
	v_cndmask_b32_e64 v18, v18, v12, s5
	v_cndmask_b32_e32 v21, v21, v7, vcc_lo
	v_cndmask_b32_e64 v20, v20, v11, s4
	v_cmp_eq_u32_e64 s4, 5, v88
	v_cmp_eq_u32_e64 s5, 6, v87
	v_cndmask_b32_e32 v20, v20, v3, vcc_lo
	s_delay_alu instid0(VALU_DEP_3) | instskip(SKIP_1) | instid1(VALU_DEP_4)
	v_cndmask_b32_e64 v21, v21, v16, s4
	v_cmp_eq_u32_e32 vcc_lo, 6, v88
	v_cndmask_b32_e64 v18, v18, v4, s5
	v_cndmask_b32_e64 v19, v19, v8, s5
	;; [unrolled: 1-line block ×3, first 2 shown]
	v_cmp_eq_u32_e64 s4, 1, v89
	v_cmp_eq_u32_e64 s5, 7, v87
	s_delay_alu instid0(VALU_DEP_3) | instskip(NEXT) | instid1(VALU_DEP_3)
	v_cndmask_b32_e32 v20, v20, v4, vcc_lo
	v_cndmask_b32_e64 v1, v1, v10, s4
	v_cndmask_b32_e64 v5, v5, v14, s4
	v_cmp_eq_u32_e64 s4, 3, v86
	v_cndmask_b32_e64 v14, v23, v6, s7
	v_cmp_eq_u32_e64 s7, 3, v89
	v_cndmask_b32_e64 v1, v1, v2, s3
	v_cndmask_b32_e64 v2, v5, v6, s3
	;; [unrolled: 1-line block ×3, first 2 shown]
	v_cmp_eq_u32_e64 s3, 4, v86
	v_cndmask_b32_e64 v6, v14, v15, s4
	v_cndmask_b32_e64 v1, v1, v11, s7
	v_cmp_eq_u32_e64 s4, 4, v89
	v_cndmask_b32_e64 v2, v2, v15, s7
	v_cndmask_b32_e64 v5, v10, v3, s3
	;; [unrolled: 3-line block ×3, first 2 shown]
	v_cndmask_b32_e64 v2, v2, v7, s4
	v_cmp_eq_u32_e64 s3, 5, v89
	v_cndmask_b32_e64 v5, v5, v12, s7
	v_cmp_eq_u32_e64 s4, 6, v86
	;; [unrolled: 2-line block ×3, first 2 shown]
	v_cndmask_b32_e64 v1, v1, v12, s3
	v_cndmask_b32_e64 v2, v2, v16, s3
	;; [unrolled: 1-line block ×4, first 2 shown]
	v_cmp_eq_u32_e64 s3, 7, v89
	v_cndmask_b32_e64 v1, v1, v4, s7
	v_cndmask_b32_e64 v2, v2, v8, s7
	v_cmp_eq_u32_e64 s4, 7, v86
	v_cndmask_b32_e32 v4, v21, v8, vcc_lo
	v_cndmask_b32_e64 v18, v18, v13, s5
	v_cndmask_b32_e64 v20, v20, v13, s6
	;; [unrolled: 1-line block ×8, first 2 shown]
	s_mov_b32 s3, exec_lo
	v_perm_b32 v4, v2, v1, 0x5040100
	v_perm_b32 v3, v3, v5, 0x5040100
	v_perm_b32 v2, v6, v20, 0x5040100
	v_perm_b32 v1, v7, v18, 0x5040100
	ds_store_b128 v9, v[1:4]
	s_waitcnt lgkmcnt(0)
	s_barrier
	buffer_gl0_inv
	v_cmpx_gt_u32_e32 32, v0
	s_cbranch_execz .LBB742_2
; %bb.113:
	s_load_b64 s[4:5], s[0:1], 0x68
	v_lshlrev_b32_e32 v0, 10, v0
	v_lshlrev_b32_e32 v1, 4, v84
	s_lshl_b32 s0, s34, 7
	v_add_nc_u32_e32 v18, s31, v83
	s_mul_i32 s1, s0, s30
	s_delay_alu instid0(VALU_DEP_2) | instskip(SKIP_1) | instid1(VALU_DEP_2)
	v_and_or_b32 v0, 0x3800, v0, v1
	s_mul_i32 s6, s1, s8
	v_mul_lo_u32 v1, v18, s0
	s_ashr_i32 s7, s6, 31
	v_add_nc_u32_e32 v2, 2, v18
	v_lshl_or_b32 v19, v83, 6, v0
	s_lshl_b64 s[6:7], s[6:7], 1
	v_add_nc_u32_e32 v8, 4, v18
	v_add_nc_u32_e32 v15, 6, v18
	v_mul_lo_u32 v7, v2, s0
	ds_load_b128 v[3:6], v19
	v_ashrrev_i32_e32 v2, 31, v1
	v_mul_lo_u32 v11, v8, s0
	s_waitcnt lgkmcnt(0)
	s_add_u32 s1, s4, s6
	s_addc_u32 s3, s5, s7
	s_lshl_b32 s4, s14, 7
	v_lshlrev_b64 v[9:10], 1, v[1:2]
	s_ashr_i32 s5, s4, 31
	v_ashrrev_i32_e32 v8, 31, v7
	s_lshl_b64 s[4:5], s[4:5], 1
	v_ashrrev_i32_e32 v12, 31, v11
	s_add_u32 s1, s1, s4
	s_addc_u32 s3, s3, s5
	v_add_co_u32 v1, vcc_lo, s1, v81
	v_add_co_ci_u32_e32 v2, vcc_lo, s3, v82, vcc_lo
	v_mul_lo_u32 v15, v15, s0
	s_delay_alu instid0(VALU_DEP_3) | instskip(NEXT) | instid1(VALU_DEP_3)
	v_add_co_u32 v13, vcc_lo, v1, v9
	v_add_co_ci_u32_e32 v14, vcc_lo, v2, v10, vcc_lo
	v_lshlrev_b64 v[16:17], 1, v[7:8]
	ds_load_b128 v[7:10], v19 offset:128
	global_store_b128 v[13:14], v[3:6], off
	v_add_nc_u32_e32 v5, 8, v18
	v_lshlrev_b64 v[3:4], 1, v[11:12]
	v_add_co_u32 v23, vcc_lo, v1, v16
	v_ashrrev_i32_e32 v16, 31, v15
	s_delay_alu instid0(VALU_DEP_4) | instskip(SKIP_3) | instid1(VALU_DEP_3)
	v_mul_lo_u32 v25, v5, s0
	v_add_nc_u32_e32 v5, 10, v18
	v_add_co_ci_u32_e32 v24, vcc_lo, v2, v17, vcc_lo
	v_add_co_u32 v27, vcc_lo, v1, v3
	v_mul_lo_u32 v29, v5, s0
	v_add_co_ci_u32_e32 v28, vcc_lo, v2, v4, vcc_lo
	v_lshlrev_b64 v[31:32], 1, v[15:16]
	ds_load_b128 v[3:6], v19 offset:256
	ds_load_b128 v[11:14], v19 offset:384
	ds_load_b128 v[15:18], v19 offset:512
	ds_load_b128 v[19:22], v19 offset:640
	v_ashrrev_i32_e32 v26, 31, v25
	v_ashrrev_i32_e32 v30, 31, v29
	v_add_co_u32 v31, vcc_lo, v1, v31
	s_delay_alu instid0(VALU_DEP_3) | instskip(SKIP_1) | instid1(VALU_DEP_4)
	v_lshlrev_b64 v[25:26], 1, v[25:26]
	v_add_co_ci_u32_e32 v32, vcc_lo, v2, v32, vcc_lo
	v_lshlrev_b64 v[29:30], 1, v[29:30]
	s_delay_alu instid0(VALU_DEP_3) | instskip(NEXT) | instid1(VALU_DEP_4)
	v_add_co_u32 v25, vcc_lo, v1, v25
	v_add_co_ci_u32_e32 v26, vcc_lo, v2, v26, vcc_lo
	s_delay_alu instid0(VALU_DEP_3) | instskip(NEXT) | instid1(VALU_DEP_4)
	v_add_co_u32 v29, vcc_lo, v1, v29
	v_add_co_ci_u32_e32 v30, vcc_lo, v2, v30, vcc_lo
	s_waitcnt lgkmcnt(4)
	global_store_b128 v[23:24], v[7:10], off
	s_waitcnt lgkmcnt(3)
	global_store_b128 v[27:28], v[3:6], off
	s_waitcnt lgkmcnt(2)
	global_store_b128 v[31:32], v[11:14], off
	s_waitcnt lgkmcnt(1)
	global_store_b128 v[25:26], v[15:18], off
	s_waitcnt lgkmcnt(0)
	global_store_b128 v[29:30], v[19:22], off
	s_and_b32 exec_lo, exec_lo, s2
	s_cbranch_execz .LBB742_2
; %bb.114:
	ds_load_b128 v[3:6], v0 offset:768
	s_add_i32 s1, s31, 12
	s_delay_alu instid0(SALU_CYCLE_1) | instskip(NEXT) | instid1(SALU_CYCLE_1)
	s_mul_i32 s0, s1, s0
	s_ashr_i32 s1, s0, 31
	s_delay_alu instid0(SALU_CYCLE_1) | instskip(NEXT) | instid1(SALU_CYCLE_1)
	s_lshl_b64 s[0:1], s[0:1], 1
	v_add_co_u32 v0, vcc_lo, v1, s0
	v_add_co_ci_u32_e32 v1, vcc_lo, s1, v2, vcc_lo
	s_waitcnt lgkmcnt(0)
	global_store_b128 v[0:1], v[3:6], off
	s_nop 0
	s_sendmsg sendmsg(MSG_DEALLOC_VGPRS)
	s_endpgm
	.section	.rodata,"a",@progbits
	.p2align	6, 0x0
	.amdhsa_kernel _Z39paged_attention_ll4mi_QKV_mfma16_kernelI14__hip_bfloat16S0_LN4vllm18Fp8KVCacheDataTypeE0ES0_Li32ELi128ELi256ELb1ELi13EL8MFMAType0EEvPKT_PKT0_S9_ifPKiSB_SB_iPKfiiiPfSE_PS4_PT2_iSD_SD_
		.amdhsa_group_segment_fixed_size 17472
		.amdhsa_private_segment_fixed_size 0
		.amdhsa_kernarg_size 400
		.amdhsa_user_sgpr_count 13
		.amdhsa_user_sgpr_dispatch_ptr 0
		.amdhsa_user_sgpr_queue_ptr 0
		.amdhsa_user_sgpr_kernarg_segment_ptr 1
		.amdhsa_user_sgpr_dispatch_id 0
		.amdhsa_user_sgpr_private_segment_size 0
		.amdhsa_wavefront_size32 1
		.amdhsa_uses_dynamic_stack 0
		.amdhsa_enable_private_segment 0
		.amdhsa_system_sgpr_workgroup_id_x 1
		.amdhsa_system_sgpr_workgroup_id_y 1
		.amdhsa_system_sgpr_workgroup_id_z 1
		.amdhsa_system_sgpr_workgroup_info 0
		.amdhsa_system_vgpr_workitem_id 0
		.amdhsa_next_free_vgpr 157
		.amdhsa_next_free_sgpr 38
		.amdhsa_reserve_vcc 1
		.amdhsa_float_round_mode_32 0
		.amdhsa_float_round_mode_16_64 0
		.amdhsa_float_denorm_mode_32 3
		.amdhsa_float_denorm_mode_16_64 3
		.amdhsa_dx10_clamp 1
		.amdhsa_ieee_mode 1
		.amdhsa_fp16_overflow 0
		.amdhsa_workgroup_processor_mode 1
		.amdhsa_memory_ordered 1
		.amdhsa_forward_progress 0
		.amdhsa_shared_vgpr_count 0
		.amdhsa_exception_fp_ieee_invalid_op 0
		.amdhsa_exception_fp_denorm_src 0
		.amdhsa_exception_fp_ieee_div_zero 0
		.amdhsa_exception_fp_ieee_overflow 0
		.amdhsa_exception_fp_ieee_underflow 0
		.amdhsa_exception_fp_ieee_inexact 0
		.amdhsa_exception_int_div_zero 0
	.end_amdhsa_kernel
	.section	.text._Z39paged_attention_ll4mi_QKV_mfma16_kernelI14__hip_bfloat16S0_LN4vllm18Fp8KVCacheDataTypeE0ES0_Li32ELi128ELi256ELb1ELi13EL8MFMAType0EEvPKT_PKT0_S9_ifPKiSB_SB_iPKfiiiPfSE_PS4_PT2_iSD_SD_,"axG",@progbits,_Z39paged_attention_ll4mi_QKV_mfma16_kernelI14__hip_bfloat16S0_LN4vllm18Fp8KVCacheDataTypeE0ES0_Li32ELi128ELi256ELb1ELi13EL8MFMAType0EEvPKT_PKT0_S9_ifPKiSB_SB_iPKfiiiPfSE_PS4_PT2_iSD_SD_,comdat
.Lfunc_end742:
	.size	_Z39paged_attention_ll4mi_QKV_mfma16_kernelI14__hip_bfloat16S0_LN4vllm18Fp8KVCacheDataTypeE0ES0_Li32ELi128ELi256ELb1ELi13EL8MFMAType0EEvPKT_PKT0_S9_ifPKiSB_SB_iPKfiiiPfSE_PS4_PT2_iSD_SD_, .Lfunc_end742-_Z39paged_attention_ll4mi_QKV_mfma16_kernelI14__hip_bfloat16S0_LN4vllm18Fp8KVCacheDataTypeE0ES0_Li32ELi128ELi256ELb1ELi13EL8MFMAType0EEvPKT_PKT0_S9_ifPKiSB_SB_iPKfiiiPfSE_PS4_PT2_iSD_SD_
                                        ; -- End function
	.section	.AMDGPU.csdata,"",@progbits
; Kernel info:
; codeLenInByte = 9960
; NumSgprs: 40
; NumVgprs: 157
; ScratchSize: 0
; MemoryBound: 0
; FloatMode: 240
; IeeeMode: 1
; LDSByteSize: 17472 bytes/workgroup (compile time only)
; SGPRBlocks: 4
; VGPRBlocks: 19
; NumSGPRsForWavesPerEU: 40
; NumVGPRsForWavesPerEU: 157
; Occupancy: 9
; WaveLimiterHint : 1
; COMPUTE_PGM_RSRC2:SCRATCH_EN: 0
; COMPUTE_PGM_RSRC2:USER_SGPR: 13
; COMPUTE_PGM_RSRC2:TRAP_HANDLER: 0
; COMPUTE_PGM_RSRC2:TGID_X_EN: 1
; COMPUTE_PGM_RSRC2:TGID_Y_EN: 1
; COMPUTE_PGM_RSRC2:TGID_Z_EN: 1
; COMPUTE_PGM_RSRC2:TIDIG_COMP_CNT: 0
	.section	.text._Z39paged_attention_ll4mi_QKV_mfma16_kernelI14__hip_bfloat16S0_LN4vllm18Fp8KVCacheDataTypeE0ES0_Li32ELi128ELi256ELb1ELi14EL8MFMAType0EEvPKT_PKT0_S9_ifPKiSB_SB_iPKfiiiPfSE_PS4_PT2_iSD_SD_,"axG",@progbits,_Z39paged_attention_ll4mi_QKV_mfma16_kernelI14__hip_bfloat16S0_LN4vllm18Fp8KVCacheDataTypeE0ES0_Li32ELi128ELi256ELb1ELi14EL8MFMAType0EEvPKT_PKT0_S9_ifPKiSB_SB_iPKfiiiPfSE_PS4_PT2_iSD_SD_,comdat
	.protected	_Z39paged_attention_ll4mi_QKV_mfma16_kernelI14__hip_bfloat16S0_LN4vllm18Fp8KVCacheDataTypeE0ES0_Li32ELi128ELi256ELb1ELi14EL8MFMAType0EEvPKT_PKT0_S9_ifPKiSB_SB_iPKfiiiPfSE_PS4_PT2_iSD_SD_ ; -- Begin function _Z39paged_attention_ll4mi_QKV_mfma16_kernelI14__hip_bfloat16S0_LN4vllm18Fp8KVCacheDataTypeE0ES0_Li32ELi128ELi256ELb1ELi14EL8MFMAType0EEvPKT_PKT0_S9_ifPKiSB_SB_iPKfiiiPfSE_PS4_PT2_iSD_SD_
	.globl	_Z39paged_attention_ll4mi_QKV_mfma16_kernelI14__hip_bfloat16S0_LN4vllm18Fp8KVCacheDataTypeE0ES0_Li32ELi128ELi256ELb1ELi14EL8MFMAType0EEvPKT_PKT0_S9_ifPKiSB_SB_iPKfiiiPfSE_PS4_PT2_iSD_SD_
	.p2align	8
	.type	_Z39paged_attention_ll4mi_QKV_mfma16_kernelI14__hip_bfloat16S0_LN4vllm18Fp8KVCacheDataTypeE0ES0_Li32ELi128ELi256ELb1ELi14EL8MFMAType0EEvPKT_PKT0_S9_ifPKiSB_SB_iPKfiiiPfSE_PS4_PT2_iSD_SD_,@function
_Z39paged_attention_ll4mi_QKV_mfma16_kernelI14__hip_bfloat16S0_LN4vllm18Fp8KVCacheDataTypeE0ES0_Li32ELi128ELi256ELb1ELi14EL8MFMAType0EEvPKT_PKT0_S9_ifPKiSB_SB_iPKfiiiPfSE_PS4_PT2_iSD_SD_: ; @_Z39paged_attention_ll4mi_QKV_mfma16_kernelI14__hip_bfloat16S0_LN4vllm18Fp8KVCacheDataTypeE0ES0_Li32ELi128ELi256ELb1ELi14EL8MFMAType0EEvPKT_PKT0_S9_ifPKiSB_SB_iPKfiiiPfSE_PS4_PT2_iSD_SD_
; %bb.0:
	s_load_b64 s[2:3], s[0:1], 0x30
	s_mov_b32 s30, s13
	s_waitcnt lgkmcnt(0)
	s_cmp_lg_u64 s[2:3], 0
	s_cselect_b32 s6, -1, 0
	s_ashr_i32 s31, s13, 31
	s_cmp_eq_u64 s[2:3], 0
	s_cbranch_scc1 .LBB743_3
; %bb.1:
	s_lshl_b64 s[4:5], s[30:31], 2
	s_delay_alu instid0(SALU_CYCLE_1) | instskip(SKIP_4) | instid1(SALU_CYCLE_1)
	s_add_u32 s4, s2, s4
	s_addc_u32 s5, s3, s5
	s_load_b64 s[4:5], s[4:5], 0x0
	s_waitcnt lgkmcnt(0)
	s_sub_i32 s4, s5, s4
	s_cmp_eq_u32 s4, 1
	s_cselect_b32 s4, -1, 0
	s_delay_alu instid0(SALU_CYCLE_1)
	s_and_not1_b32 vcc_lo, exec_lo, s4
	s_cbranch_vccz .LBB743_4
.LBB743_2:
	s_endpgm
.LBB743_3:
.LBB743_4:
	s_load_b64 s[8:9], s[0:1], 0x28
	s_lshl_b64 s[4:5], s[30:31], 2
	s_waitcnt lgkmcnt(0)
	s_add_u32 s8, s8, s4
	s_addc_u32 s9, s9, s5
	s_lshl_b32 s12, s14, 8
	s_load_b32 s17, s[8:9], 0x0
	s_waitcnt lgkmcnt(0)
	s_cmp_ge_i32 s12, s17
	s_cbranch_scc1 .LBB743_2
; %bb.5:
	s_and_not1_b32 vcc_lo, exec_lo, s6
	s_cbranch_vccnz .LBB743_7
; %bb.6:
	s_add_u32 s2, s2, s4
	s_addc_u32 s3, s3, s5
	s_load_b32 s13, s[2:3], 0x0
	s_branch .LBB743_8
.LBB743_7:
	s_mov_b32 s13, s30
.LBB743_8:
	s_clause 0x2
	s_load_b128 s[8:11], s[0:1], 0x8
	s_load_b64 s[2:3], s[0:1], 0x20
	s_load_b128 s[4:7], s[0:1], 0x48
	v_and_b32_e32 v73, 15, v0
	s_waitcnt lgkmcnt(0)
	s_mov_b32 s7, exec_lo
	s_delay_alu instid0(VALU_DEP_1)
	v_lshlrev_b32_e32 v1, 3, v73
	v_cmpx_lt_u32_e32 0xdf, v0
	s_xor_b32 s7, exec_lo, s7
; %bb.9:
	v_mov_b32_e32 v2, 0
; %bb.10:
	s_or_saveexec_b32 s7, s7
	v_lshrrev_b32_e32 v74, 5, v0
	v_and_b32_e32 v75, 31, v0
	v_and_b32_e32 v84, 1, v0
	v_bfe_u32 v83, v0, 4, 1
	s_mul_i32 s29, s15, 14
	s_xor_b32 exec_lo, exec_lo, s7
	s_cbranch_execz .LBB743_12
; %bb.11:
	s_load_b64 s[18:19], s[0:1], 0x0
	v_lshl_or_b32 v7, v74, 1, v83
	s_mul_hi_i32 s21, s13, s4
	s_mul_i32 s20, s13, s4
	v_lshlrev_b32_e32 v4, 1, v1
	s_lshl_b64 s[20:21], s[20:21], 1
	v_add_lshl_u32 v2, v7, s29, 7
	v_lshlrev_b32_e32 v7, 6, v7
	v_lshlrev_b32_e32 v8, 10, v84
	s_delay_alu instid0(VALU_DEP_3) | instskip(NEXT) | instid1(VALU_DEP_1)
	v_ashrrev_i32_e32 v3, 31, v2
	v_lshlrev_b64 v[2:3], 1, v[2:3]
	s_waitcnt lgkmcnt(0)
	s_add_u32 s4, s18, s20
	s_addc_u32 s13, s19, s21
	s_delay_alu instid0(VALU_DEP_1) | instskip(NEXT) | instid1(VALU_DEP_2)
	v_add_co_u32 v2, vcc_lo, s4, v2
	v_add_co_ci_u32_e32 v3, vcc_lo, s13, v3, vcc_lo
	s_delay_alu instid0(VALU_DEP_2) | instskip(NEXT) | instid1(VALU_DEP_2)
	v_add_co_u32 v2, vcc_lo, v2, v4
	v_add_co_ci_u32_e32 v3, vcc_lo, 0, v3, vcc_lo
	global_load_b128 v[3:6], v[2:3], off
	v_lshlrev_b32_e32 v2, 10, v73
	s_delay_alu instid0(VALU_DEP_1) | instskip(NEXT) | instid1(VALU_DEP_1)
	v_and_b32_e32 v2, 0x3800, v2
	v_or3_b32 v7, v2, v8, v7
	v_mov_b32_e32 v2, 0
	s_waitcnt vmcnt(0)
	ds_store_b128 v7, v[3:6]
.LBB743_12:
	s_or_b32 exec_lo, exec_lo, s7
	v_add_nc_u32_e32 v80, -14, v73
	v_and_b32_e32 v3, 0xef, v0
	s_add_i32 s4, s17, 31
	s_clause 0x1
	s_load_b32 s7, s[0:1], 0x38
	s_load_b32 s18, s[0:1], 0x1c
	s_ashr_i32 s13, s4, 31
	v_add_nc_u32_e32 v3, s12, v3
	s_lshr_b32 s13, s13, 27
	s_waitcnt lgkmcnt(0)
	s_add_i32 s4, s4, s13
	s_barrier
	v_ashrrev_i32_e32 v4, 31, v3
	v_cmp_gt_i32_e32 vcc_lo, s17, v3
	s_ashr_i32 s4, s4, 5
	buffer_gl0_inv
	s_add_i32 s4, s4, -1
	v_lshrrev_b32_e32 v5, 27, v4
	v_or_b32_e32 v4, 16, v3
	v_lshlrev_b64 v[81:82], 1, v[1:2]
	s_delay_alu instid0(VALU_DEP_3) | instskip(NEXT) | instid1(VALU_DEP_3)
	v_add_nc_u32_e32 v6, v3, v5
	v_add_nc_u32_e32 v5, v4, v5
	s_mul_i32 s20, s30, s7
	s_delay_alu instid0(SALU_CYCLE_1) | instskip(NEXT) | instid1(VALU_DEP_2)
	s_ashr_i32 s21, s20, 31
	v_ashrrev_i32_e32 v6, 5, v6
	s_delay_alu instid0(VALU_DEP_2) | instskip(SKIP_1) | instid1(SALU_CYCLE_1)
	v_ashrrev_i32_e32 v5, 5, v5
	s_lshl_b64 s[20:21], s[20:21], 2
	s_add_u32 s7, s2, s20
	s_delay_alu instid0(VALU_DEP_2) | instskip(SKIP_3) | instid1(VALU_DEP_2)
	v_cndmask_b32_e32 v3, s4, v6, vcc_lo
	v_cmp_gt_i32_e32 vcc_lo, s17, v4
	s_addc_u32 s13, s3, s21
	s_mul_i32 s2, s15, s6
	v_ashrrev_i32_e32 v4, 31, v3
	v_cndmask_b32_e32 v5, s4, v5, vcc_lo
	s_ashr_i32 s3, s2, 31
	s_delay_alu instid0(SALU_CYCLE_1) | instskip(NEXT) | instid1(VALU_DEP_2)
	s_lshl_b64 s[2:3], s[2:3], 1
	v_lshlrev_b64 v[3:4], 2, v[3:4]
	s_delay_alu instid0(VALU_DEP_2) | instskip(SKIP_3) | instid1(VALU_DEP_1)
	v_ashrrev_i32_e32 v6, 31, v5
	s_add_u32 s6, s8, s2
	s_addc_u32 s15, s9, s3
	s_lshl_b32 s8, s14, 3
	v_lshlrev_b64 v[5:6], 2, v[5:6]
	v_add_co_u32 v3, vcc_lo, s7, v3
	v_add_co_ci_u32_e32 v4, vcc_lo, s13, v4, vcc_lo
	s_ashr_i32 s9, s8, 31
	s_delay_alu instid0(VALU_DEP_3) | instskip(NEXT) | instid1(VALU_DEP_4)
	v_add_co_u32 v5, vcc_lo, s7, v5
	v_add_co_ci_u32_e32 v6, vcc_lo, s13, v6, vcc_lo
	s_clause 0x1
	global_load_b32 v7, v[3:4], off
	global_load_b32 v8, v[5:6], off
	s_lshl_b64 s[8:9], s[8:9], 2
	s_delay_alu instid0(SALU_CYCLE_1) | instskip(SKIP_2) | instid1(SALU_CYCLE_1)
	s_add_u32 s8, s7, s8
	s_addc_u32 s9, s13, s9
	s_or_b32 s16, s12, 32
	s_ashr_i32 s19, s16, 5
	s_cmp_lt_i32 s16, s17
	s_cselect_b32 s20, s19, s4
	s_delay_alu instid0(SALU_CYCLE_1) | instskip(NEXT) | instid1(SALU_CYCLE_1)
	s_ashr_i32 s21, s20, 31
	s_lshl_b64 s[20:21], s[20:21], 2
	s_delay_alu instid0(SALU_CYCLE_1) | instskip(SKIP_2) | instid1(SALU_CYCLE_1)
	s_add_u32 s20, s7, s20
	s_addc_u32 s21, s13, s21
	s_or_b32 s16, s12, 64
	s_ashr_i32 s19, s16, 5
	s_cmp_lt_i32 s16, s17
	s_cselect_b32 s22, s19, s4
	s_delay_alu instid0(SALU_CYCLE_1) | instskip(NEXT) | instid1(SALU_CYCLE_1)
	s_ashr_i32 s23, s22, 31
	;; [unrolled: 10-line block ×5, first 2 shown]
	s_lshl_b64 s[34:35], s[34:35], 2
	s_delay_alu instid0(SALU_CYCLE_1)
	s_add_u32 s34, s7, s34
	s_addc_u32 s35, s13, s35
	s_clause 0x5
	s_load_b32 s16, s[8:9], 0x0
	s_load_b32 s19, s[20:21], 0x0
	;; [unrolled: 1-line block ×6, first 2 shown]
	s_mov_b32 s20, 0
	s_delay_alu instid0(SALU_CYCLE_1)
	s_mov_b32 s27, s20
	s_mov_b32 s24, s20
	;; [unrolled: 1-line block ×7, first 2 shown]
	v_dual_mov_b32 v108, s27 :: v_dual_mov_b32 v105, s24
	v_dual_mov_b32 v107, s26 :: v_dual_mov_b32 v106, s25
	;; [unrolled: 1-line block ×4, first 2 shown]
	s_waitcnt lgkmcnt(0)
	s_mul_hi_i32 s21, s16, s5
	s_mul_i32 s20, s16, s5
	s_mul_hi_i32 s23, s19, s5
	s_mul_i32 s22, s19, s5
	;; [unrolled: 2-line block ×5, first 2 shown]
	s_waitcnt vmcnt(1)
	v_mad_i64_i32 v[3:4], null, v7, s5, 0
	s_waitcnt vmcnt(0)
	v_mad_i64_i32 v[5:6], null, v8, s5, 0
	s_delay_alu instid0(VALU_DEP_2) | instskip(NEXT) | instid1(VALU_DEP_2)
	v_lshlrev_b64 v[3:4], 1, v[3:4]
	v_lshlrev_b64 v[1:2], 1, v[5:6]
	s_delay_alu instid0(VALU_DEP_2) | instskip(NEXT) | instid1(VALU_DEP_3)
	v_add_co_u32 v3, vcc_lo, s6, v3
	v_add_co_ci_u32_e32 v4, vcc_lo, s15, v4, vcc_lo
	s_delay_alu instid0(VALU_DEP_3) | instskip(NEXT) | instid1(VALU_DEP_4)
	v_add_co_u32 v1, vcc_lo, s6, v1
	v_add_co_ci_u32_e32 v2, vcc_lo, s15, v2, vcc_lo
	s_delay_alu instid0(VALU_DEP_4) | instskip(NEXT) | instid1(VALU_DEP_4)
	v_add_co_u32 v65, vcc_lo, v3, v81
	v_add_co_ci_u32_e32 v66, vcc_lo, v4, v82, vcc_lo
	s_delay_alu instid0(VALU_DEP_4) | instskip(NEXT) | instid1(VALU_DEP_4)
	v_add_co_u32 v76, vcc_lo, v1, v81
	v_add_co_ci_u32_e32 v77, vcc_lo, v2, v82, vcc_lo
	s_clause 0xf
	global_load_b128 v[1:4], v[65:66], off
	global_load_b128 v[5:8], v[65:66], off offset:512
	global_load_b128 v[9:12], v[76:77], off offset:256
	;; [unrolled: 1-line block ×15, first 2 shown]
	v_add_co_u32 v78, vcc_lo, 0x1000, v65
	v_add_co_ci_u32_e32 v79, vcc_lo, 0, v66, vcc_lo
	v_cmp_gt_u32_e32 vcc_lo, 14, v73
	s_clause 0x1
	global_load_b128 v[65:68], v[78:79], off
	global_load_b128 v[69:72], v[78:79], off offset:512
	s_or_b32 s6, s12, 0xc0
	v_cndmask_b32_e32 v80, v80, v73, vcc_lo
	v_add_co_u32 v76, vcc_lo, 0x1000, v76
	v_add_co_ci_u32_e32 v77, vcc_lo, 0, v77, vcc_lo
	s_delay_alu instid0(VALU_DEP_3)
	v_lshlrev_b32_e32 v80, 6, v80
	ds_load_b128 v[85:88], v80
	ds_load_b128 v[89:92], v80 offset:1024
	s_clause 0x1
	global_load_b128 v[93:96], v[76:77], off offset:256
	global_load_b128 v[97:100], v[76:77], off offset:768
	ds_load_b128 v[109:112], v80 offset:2048
	ds_load_b128 v[113:116], v80 offset:3072
	s_ashr_i32 s8, s6, 5
	s_cmp_lt_i32 s6, s17
	s_cselect_b32 s8, s8, s4
	s_delay_alu instid0(SALU_CYCLE_1) | instskip(NEXT) | instid1(SALU_CYCLE_1)
	s_ashr_i32 s9, s8, 31
	s_lshl_b64 s[8:9], s[8:9], 2
	s_delay_alu instid0(SALU_CYCLE_1) | instskip(SKIP_2) | instid1(SALU_CYCLE_1)
	s_add_u32 s8, s7, s8
	s_addc_u32 s9, s13, s9
	s_or_b32 s6, s12, 0xe0
	s_ashr_i32 s15, s6, 5
	s_cmp_lt_i32 s6, s17
	s_cselect_b32 s24, s15, s4
	s_delay_alu instid0(SALU_CYCLE_1) | instskip(NEXT) | instid1(SALU_CYCLE_1)
	s_ashr_i32 s25, s24, 31
	s_lshl_b64 s[24:25], s[24:25], 2
	s_delay_alu instid0(SALU_CYCLE_1) | instskip(SKIP_2) | instid1(SALU_CYCLE_1)
	s_add_u32 s24, s7, s24
	s_addc_u32 s25, s13, s25
	s_add_i32 s6, s12, 0x100
	s_ashr_i32 s15, s6, 5
	s_cmp_lt_i32 s6, s17
	s_cselect_b32 s36, s15, s4
	s_delay_alu instid0(SALU_CYCLE_1) | instskip(NEXT) | instid1(SALU_CYCLE_1)
	s_ashr_i32 s37, s36, 31
	s_lshl_b64 s[36:37], s[36:37], 2
	s_delay_alu instid0(SALU_CYCLE_1)
	s_add_u32 s6, s7, s36
	s_addc_u32 s7, s13, s37
	s_add_u32 s4, s10, s2
	s_addc_u32 s19, s11, s3
	s_lshl_b64 s[2:3], s[20:21], 1
	s_lshl_b64 s[10:11], s[26:27], 1
	;; [unrolled: 1-line block ×3, first 2 shown]
	s_waitcnt vmcnt(18) lgkmcnt(2)
	v_wmma_f32_16x16x16_bf16 v[117:124], v[1:8], v[85:92], v[101:108]
	s_waitcnt vmcnt(16)
	v_wmma_f32_16x16x16_bf16 v[101:108], v[9:16], v[85:92], v[101:108]
	s_clause 0x3
	global_load_b128 v[1:4], v[78:79], off offset:1024
	global_load_b128 v[5:8], v[78:79], off offset:1536
	;; [unrolled: 1-line block ×4, first 2 shown]
	s_waitcnt vmcnt(18) lgkmcnt(0)
	v_wmma_f32_16x16x16_bf16 v[117:124], v[17:24], v[109:116], v[117:124]
	s_clause 0x1
	global_load_b128 v[17:20], v[78:79], off offset:2048
	global_load_b128 v[21:24], v[78:79], off offset:2560
	s_waitcnt vmcnt(18)
	v_wmma_f32_16x16x16_bf16 v[101:108], v[25:32], v[109:116], v[101:108]
	ds_load_b128 v[25:28], v80 offset:4096
	ds_load_b128 v[29:32], v80 offset:5120
	s_clause 0x5
	global_load_b128 v[109:112], v[76:77], off offset:2304
	global_load_b128 v[113:116], v[76:77], off offset:2816
	global_load_b128 v[125:128], v[78:79], off offset:3072
	global_load_b128 v[129:132], v[78:79], off offset:3584
	global_load_b128 v[133:136], v[76:77], off offset:3328
	global_load_b128 v[137:140], v[76:77], off offset:3840
	s_waitcnt vmcnt(22) lgkmcnt(0)
	v_wmma_f32_16x16x16_bf16 v[117:124], v[33:40], v[25:32], v[117:124]
	s_waitcnt vmcnt(20)
	v_wmma_f32_16x16x16_bf16 v[101:108], v[41:48], v[25:32], v[101:108]
	ds_load_b128 v[25:28], v80 offset:6144
	ds_load_b128 v[29:32], v80 offset:7168
	;; [unrolled: 1-line block ×4, first 2 shown]
	s_waitcnt vmcnt(18) lgkmcnt(2)
	v_wmma_f32_16x16x16_bf16 v[117:124], v[49:56], v[25:32], v[117:124]
	s_waitcnt vmcnt(16)
	v_wmma_f32_16x16x16_bf16 v[101:108], v[57:64], v[25:32], v[101:108]
	ds_load_b128 v[25:28], v80 offset:10240
	ds_load_b128 v[29:32], v80 offset:11264
	;; [unrolled: 1-line block ×6, first 2 shown]
	s_waitcnt vmcnt(14) lgkmcnt(6)
	v_wmma_f32_16x16x16_bf16 v[117:124], v[65:72], v[33:40], v[117:124]
	s_waitcnt vmcnt(12)
	v_wmma_f32_16x16x16_bf16 v[101:108], v[93:100], v[33:40], v[101:108]
	s_clause 0x2
	s_load_b32 s16, s[8:9], 0x0
	s_load_b32 s13, s[24:25], 0x0
	;; [unrolled: 1-line block ×3, first 2 shown]
	s_lshl_b64 s[6:7], s[22:23], 1
	s_mul_hi_i32 s9, s33, s5
	s_mul_i32 s8, s33, s5
	s_lshl_b64 s[22:23], s[38:39], 1
	s_lshl_b64 s[8:9], s[8:9], 1
	s_waitcnt lgkmcnt(0)
	s_mul_hi_i32 s25, s16, s5
	s_mul_i32 s24, s16, s5
	s_waitcnt vmcnt(10)
	v_wmma_f32_16x16x16_bf16 v[117:124], v[1:8], v[25:32], v[117:124]
	s_waitcnt vmcnt(8)
	v_wmma_f32_16x16x16_bf16 v[101:108], v[9:16], v[25:32], v[101:108]
	s_waitcnt vmcnt(6)
	s_delay_alu instid0(VALU_DEP_2) | instskip(SKIP_1) | instid1(VALU_DEP_2)
	v_wmma_f32_16x16x16_bf16 v[117:124], v[17:24], v[141:148], v[117:124]
	s_waitcnt vmcnt(4)
	v_wmma_f32_16x16x16_bf16 v[101:108], v[109:116], v[141:148], v[101:108]
	s_waitcnt vmcnt(2)
	s_delay_alu instid0(VALU_DEP_2) | instskip(SKIP_3) | instid1(VALU_DEP_3)
	v_wmma_f32_16x16x16_bf16 v[117:124], v[125:132], v[149:156], v[117:124]
	v_lshlrev_b32_e32 v85, 6, v73
	s_waitcnt vmcnt(0)
	v_wmma_f32_16x16x16_bf16 v[101:108], v[133:140], v[149:156], v[101:108]
	v_mul_f32_e32 v100, s18, v124
	s_delay_alu instid0(VALU_DEP_3) | instskip(SKIP_2) | instid1(VALU_DEP_3)
	v_lshl_or_b32 v41, v74, 10, v85
	v_mul_f32_e32 v99, s18, v118
	v_mul_f32_e32 v97, s18, v117
	v_add_co_u32 v76, s4, s4, v41
	s_delay_alu instid0(VALU_DEP_1) | instskip(NEXT) | instid1(VALU_DEP_2)
	v_add_co_ci_u32_e64 v77, null, s19, 0, s4
	v_add_co_u32 v41, vcc_lo, v76, s2
	s_delay_alu instid0(VALU_DEP_2)
	v_add_co_ci_u32_e32 v42, vcc_lo, s3, v77, vcc_lo
	v_add_co_u32 v33, vcc_lo, v76, s6
	v_add_co_ci_u32_e32 v34, vcc_lo, s7, v77, vcc_lo
	v_add_co_u32 v35, vcc_lo, v76, s10
	;; [unrolled: 2-line block ×5, first 2 shown]
	s_lshl_b64 s[2:3], s[24:25], 1
	v_add_co_ci_u32_e32 v6, vcc_lo, s23, v77, vcc_lo
	s_mul_hi_i32 s7, s13, s5
	s_mul_i32 s6, s13, s5
	v_add_co_u32 v17, vcc_lo, v76, s2
	v_add_co_ci_u32_e32 v18, vcc_lo, s3, v77, vcc_lo
	s_lshl_b64 s[2:3], s[6:7], 1
	s_mul_hi_i32 s7, s15, s5
	s_mul_i32 s6, s15, s5
	v_add_co_u32 v19, vcc_lo, v76, s2
	v_add_co_ci_u32_e32 v20, vcc_lo, s3, v77, vcc_lo
	s_lshl_b64 s[2:3], s[6:7], 1
	s_clause 0x1
	global_load_b128 v[65:68], v[41:42], off
	global_load_b128 v[69:72], v[41:42], off offset:16
	v_add_co_u32 v21, vcc_lo, v76, s2
	v_add_co_ci_u32_e32 v22, vcc_lo, s3, v77, vcc_lo
	s_clause 0xf
	global_load_b128 v[57:60], v[33:34], off
	global_load_b128 v[61:64], v[33:34], off offset:16
	global_load_b128 v[49:52], v[35:36], off
	global_load_b128 v[53:56], v[35:36], off offset:16
	global_load_b128 v[41:44], v[37:38], off
	global_load_b128 v[45:48], v[37:38], off offset:16
	global_load_b128 v[9:12], v[39:40], off
	global_load_b128 v[13:16], v[39:40], off offset:16
	global_load_b128 v[1:4], v[5:6], off
	global_load_b128 v[5:8], v[5:6], off offset:16
	global_load_b128 v[33:36], v[17:18], off
	global_load_b128 v[37:40], v[17:18], off offset:16
	global_load_b128 v[25:28], v[19:20], off
	global_load_b128 v[29:32], v[19:20], off offset:16
	global_load_b128 v[17:20], v[21:22], off
	global_load_b128 v[21:24], v[21:22], off offset:16
	v_mbcnt_lo_u32_b32 v77, -1, 0
	s_waitcnt vmcnt(0)
	s_barrier
	buffer_gl0_inv
	v_xor_b32_e32 v78, 16, v77
	s_delay_alu instid0(VALU_DEP_1) | instskip(SKIP_1) | instid1(VALU_DEP_1)
	v_cmp_gt_i32_e32 vcc_lo, 32, v78
	v_dual_cndmask_b32 v77, v77, v78 :: v_dual_and_b32 v76, 0xe0, v0
	v_add_nc_u32_e32 v76, s12, v76
	s_delay_alu instid0(VALU_DEP_1) | instskip(NEXT) | instid1(VALU_DEP_1)
	v_or_b32_e32 v76, v76, v83
	v_or_b32_e32 v78, 2, v76
	;; [unrolled: 1-line block ×4, first 2 shown]
	v_cmp_gt_i32_e32 vcc_lo, s17, v76
	v_or_b32_e32 v86, 8, v76
	v_cmp_gt_i32_e64 s2, s17, v78
	v_or_b32_e32 v87, 10, v76
	v_or_b32_e32 v88, 12, v76
	;; [unrolled: 1-line block ×11, first 2 shown]
	v_cndmask_b32_e32 v76, 0xff7fffff, v97, vcc_lo
	v_cmp_gt_i32_e64 s3, s17, v80
	v_mul_f32_e32 v80, s18, v119
	v_cndmask_b32_e64 v78, 0xff7fffff, v99, s2
	v_mul_f32_e32 v99, s18, v120
	v_cmp_gt_i32_e64 s4, s17, v79
	v_mul_f32_e32 v97, s18, v123
	v_mul_f32_e32 v79, s18, v122
	v_max3_f32 v76, v76, 0xff7fffff, v78
	v_mul_f32_e32 v78, s18, v121
	v_cndmask_b32_e64 v80, 0xff7fffff, v80, s4
	v_cmp_gt_i32_e64 s5, s17, v86
	v_cmp_gt_i32_e64 s6, s17, v87
	v_mul_f32_e32 v86, s18, v107
	v_cndmask_b32_e64 v99, 0xff7fffff, v99, s3
	v_cmp_gt_i32_e64 s7, s17, v89
	v_cndmask_b32_e64 v78, 0xff7fffff, v78, s5
	v_cmp_gt_i32_e64 s8, s17, v88
	v_mul_f32_e32 v89, s18, v101
	v_max3_f32 v76, v76, v80, v99
	v_mul_f32_e32 v80, s18, v108
	v_cndmask_b32_e64 v79, 0xff7fffff, v79, s6
	v_dual_mul_f32 v99, s18, v105 :: v_dual_mul_f32 v88, s18, v102
	v_cndmask_b32_e64 v97, 0xff7fffff, v97, s8
	v_cndmask_b32_e64 v100, 0xff7fffff, v100, s7
	s_delay_alu instid0(VALU_DEP_4) | instskip(SKIP_4) | instid1(VALU_DEP_4)
	v_max3_f32 v76, v76, v78, v79
	v_cmp_gt_i32_e64 s9, s17, v90
	v_cmp_gt_i32_e64 s10, s17, v91
	v_dual_mul_f32 v87, s18, v106 :: v_dual_mul_f32 v78, s18, v104
	v_mul_f32_e32 v79, s18, v103
	v_cndmask_b32_e64 v89, 0xff7fffff, v89, s9
	s_delay_alu instid0(VALU_DEP_4)
	v_cndmask_b32_e64 v88, 0xff7fffff, v88, s10
	v_max3_f32 v76, v76, v97, v100
	v_cmp_gt_i32_e64 s11, s17, v92
	v_cmp_gt_i32_e64 s12, s17, v93
	;; [unrolled: 1-line block ×4, first 2 shown]
	v_max3_f32 v76, v76, v89, v88
	v_cndmask_b32_e64 v79, 0xff7fffff, v79, s11
	v_cndmask_b32_e64 v78, 0xff7fffff, v78, s12
	;; [unrolled: 1-line block ×4, first 2 shown]
	v_cmp_gt_i32_e64 s16, s17, v96
	v_cmp_gt_i32_e64 s17, s17, v98
	v_max3_f32 v76, v76, v79, v78
	v_lshlrev_b32_e32 v99, 2, v77
	s_delay_alu instid0(VALU_DEP_4) | instskip(NEXT) | instid1(VALU_DEP_4)
	v_cndmask_b32_e64 v78, 0xff7fffff, v86, s16
	v_cndmask_b32_e64 v79, 0xff7fffff, v80, s17
	s_delay_alu instid0(VALU_DEP_4) | instskip(NEXT) | instid1(VALU_DEP_1)
	v_max3_f32 v76, v76, v88, v87
	v_max3_f32 v76, v76, v78, v79
	ds_bpermute_b32 v77, v99, v76
	s_waitcnt lgkmcnt(0)
	v_max_f32_e32 v77, v77, v77
	s_delay_alu instid0(VALU_DEP_1) | instskip(NEXT) | instid1(VALU_DEP_1)
	v_max_f32_e32 v76, v76, v77
	v_fma_f32 v78, s18, v118, -v76
	v_fma_f32 v77, s18, v117, -v76
	;; [unrolled: 1-line block ×5, first 2 shown]
	v_mul_f32_e32 v78, 0x3fb8aa3b, v78
	v_fma_f32 v87, s18, v123, -v76
	v_fma_f32 v88, s18, v105, -v76
	v_mul_f32_e32 v80, 0x3fb8aa3b, v80
	v_mul_f32_e32 v86, 0x3fb8aa3b, v86
	v_exp_f32_e32 v78, v78
	v_fma_f32 v90, s18, v107, -v76
	v_fma_f32 v100, s18, v108, -v76
	v_exp_f32_e32 v80, v80
	v_exp_f32_e32 v86, v86
	v_mul_f32_e32 v88, 0x3fb8aa3b, v88
	s_delay_alu instid0(VALU_DEP_2) | instskip(NEXT) | instid1(TRANS32_DEP_3)
	v_mul_f32_e32 v100, 0x3fb8aa3b, v100
	v_cndmask_b32_e64 v91, 0, v78, s2
	v_mul_f32_e32 v77, 0x3fb8aa3b, v77
	s_delay_alu instid0(VALU_DEP_4) | instskip(NEXT) | instid1(TRANS32_DEP_3)
	v_exp_f32_e32 v88, v88
	v_cndmask_b32_e64 v95, 0, v80, s3
	v_fma_f32 v80, s18, v101, -v76
	s_delay_alu instid0(TRANS32_DEP_2)
	v_cndmask_b32_e64 v96, 0, v86, s5
	v_exp_f32_e32 v77, v77
	v_mul_f32_e32 v79, 0x3fb8aa3b, v79
	v_fma_f32 v86, s18, v102, -v76
	v_mul_f32_e32 v80, 0x3fb8aa3b, v80
	s_mov_b32 s2, exec_lo
	v_exp_f32_e32 v100, v100
	s_delay_alu instid0(VALU_DEP_1) | instskip(NEXT) | instid1(TRANS32_DEP_3)
	v_exp_f32_e32 v80, v80
	v_cndmask_b32_e32 v92, 0, v77, vcc_lo
	v_exp_f32_e32 v79, v79
	v_fma_f32 v77, s18, v122, -v76
	s_delay_alu instid0(VALU_DEP_2) | instskip(NEXT) | instid1(VALU_DEP_1)
	v_add_f32_e32 v78, 0, v92
	v_add_f32_e32 v78, v78, v91
	s_waitcnt_depctr 0xfff
	v_cndmask_b32_e64 v93, 0, v79, s4
	v_mul_f32_e32 v87, 0x3fb8aa3b, v87
	v_fma_f32 v79, s18, v124, -v76
	s_delay_alu instid0(VALU_DEP_3) | instskip(SKIP_1) | instid1(VALU_DEP_3)
	v_add_f32_e32 v78, v78, v93
	v_mul_f32_e32 v77, 0x3fb8aa3b, v77
	v_mul_f32_e32 v79, 0x3fb8aa3b, v79
	v_exp_f32_e32 v87, v87
	s_delay_alu instid0(VALU_DEP_3) | instskip(NEXT) | instid1(VALU_DEP_3)
	v_add_f32_e32 v78, v78, v95
	v_exp_f32_e32 v77, v77
	s_delay_alu instid0(VALU_DEP_2) | instskip(NEXT) | instid1(TRANS32_DEP_3)
	v_exp_f32_e32 v79, v79
	v_cndmask_b32_e64 v94, 0, v87, s8
	v_fma_f32 v87, s18, v104, -v76
	s_waitcnt_depctr 0xfff
	v_cndmask_b32_e64 v97, 0, v77, s6
	v_add_f32_e32 v77, v78, v96
	v_fma_f32 v78, s18, v103, -v76
	v_mul_f32_e32 v86, 0x3fb8aa3b, v86
	v_cndmask_b32_e64 v98, 0, v79, s7
	v_mul_f32_e32 v87, 0x3fb8aa3b, v87
	s_delay_alu instid0(VALU_DEP_4) | instskip(NEXT) | instid1(VALU_DEP_4)
	v_dual_add_f32 v77, v77, v97 :: v_dual_mul_f32 v78, 0x3fb8aa3b, v78
	v_exp_f32_e32 v86, v86
	s_delay_alu instid0(VALU_DEP_2) | instskip(NEXT) | instid1(VALU_DEP_1)
	v_exp_f32_e32 v87, v87
	v_add_f32_e32 v79, v77, v94
	s_delay_alu instid0(VALU_DEP_2) | instskip(SKIP_2) | instid1(VALU_DEP_3)
	v_exp_f32_e32 v89, v78
	v_cndmask_b32_e64 v77, 0, v80, s9
	v_fma_f32 v80, s18, v106, -v76
	v_add_f32_e32 v79, v79, v98
	s_delay_alu instid0(TRANS32_DEP_3) | instskip(NEXT) | instid1(VALU_DEP_3)
	v_cndmask_b32_e64 v78, 0, v86, s10
	v_mul_f32_e32 v80, 0x3fb8aa3b, v80
	s_delay_alu instid0(VALU_DEP_3) | instskip(NEXT) | instid1(TRANS32_DEP_1)
	v_add_f32_e32 v86, v79, v77
	v_cndmask_b32_e64 v79, 0, v89, s11
	v_mul_f32_e32 v89, 0x3fb8aa3b, v90
	s_delay_alu instid0(VALU_DEP_4) | instskip(SKIP_2) | instid1(VALU_DEP_3)
	v_exp_f32_e32 v90, v80
	v_cndmask_b32_e64 v80, 0, v87, s12
	v_add_f32_e32 v86, v86, v78
	v_exp_f32_e32 v89, v89
	s_delay_alu instid0(VALU_DEP_1) | instskip(SKIP_1) | instid1(VALU_DEP_2)
	v_add_f32_e32 v87, v86, v79
	v_cndmask_b32_e64 v86, 0, v88, s13
	v_add_f32_e32 v88, v87, v80
	s_delay_alu instid0(TRANS32_DEP_2) | instskip(NEXT) | instid1(VALU_DEP_2)
	v_cndmask_b32_e64 v87, 0, v90, s15
	v_add_f32_e32 v90, v88, v86
	s_waitcnt_depctr 0xfff
	v_cndmask_b32_e64 v88, 0, v89, s16
	v_add_f32_e32 v89, v90, v87
	s_delay_alu instid0(VALU_DEP_1) | instskip(SKIP_1) | instid1(VALU_DEP_1)
	v_add_f32_e32 v90, v89, v88
	v_cndmask_b32_e64 v89, 0, v100, s17
	v_add_f32_e32 v90, v90, v89
	ds_bpermute_b32 v99, v99, v90
	v_cmpx_gt_u32_e32 16, v75
	s_cbranch_execz .LBB743_14
; %bb.13:
	v_mul_u32_u24_e32 v75, 0x44, v74
	s_waitcnt lgkmcnt(0)
	v_add_f32_e32 v90, v90, v99
	s_delay_alu instid0(VALU_DEP_2) | instskip(NEXT) | instid1(VALU_DEP_1)
	v_lshl_add_u32 v75, v73, 2, v75
	v_add_nc_u32_e32 v75, 0x4000, v75
	ds_store_2addr_b32 v75, v76, v90 offset1:136
.LBB743_14:
	s_or_b32 exec_lo, exec_lo, s2
	v_lshlrev_b32_e32 v75, 2, v73
	s_waitcnt lgkmcnt(0)
	s_barrier
	buffer_gl0_inv
	v_cmp_eq_u32_e64 s2, 1, v74
	v_add_nc_u32_e32 v90, 0x4000, v75
	ds_load_2addr_b32 v[99:100], v90 offset1:17
	ds_load_2addr_b32 v[101:102], v90 offset0:34 offset1:51
	ds_load_2addr_b32 v[103:104], v90 offset0:68 offset1:85
	;; [unrolled: 1-line block ×4, first 2 shown]
	s_waitcnt lgkmcnt(4)
	v_max3_f32 v75, v99, 0xff7fffff, v100
	s_waitcnt lgkmcnt(3)
	s_delay_alu instid0(VALU_DEP_1) | instskip(SKIP_1) | instid1(VALU_DEP_1)
	v_max3_f32 v75, v75, v101, v102
	s_waitcnt lgkmcnt(2)
	v_max3_f32 v75, v75, v103, v104
	s_waitcnt lgkmcnt(1)
	s_delay_alu instid0(VALU_DEP_1) | instskip(NEXT) | instid1(VALU_DEP_1)
	v_max3_f32 v75, v75, v105, v106
	v_sub_f32_e32 v109, v100, v75
	v_sub_f32_e32 v76, v99, v75
	ds_load_2addr_b32 v[99:100], v90 offset0:170 offset1:187
	v_sub_f32_e32 v101, v101, v75
	v_dual_mul_f32 v109, 0x3fb8aa3b, v109 :: v_dual_mul_f32 v76, 0x3fb8aa3b, v76
	s_delay_alu instid0(VALU_DEP_2) | instskip(NEXT) | instid1(VALU_DEP_2)
	v_mul_f32_e32 v111, 0x3fb8aa3b, v101
	v_exp_f32_e32 v109, v109
	s_delay_alu instid0(VALU_DEP_2)
	v_exp_f32_e32 v110, v76
	v_sub_f32_e32 v76, v102, v75
	ds_load_2addr_b32 v[101:102], v90 offset0:204 offset1:221
	v_exp_f32_e32 v111, v111
	v_mul_f32_e32 v112, 0x3fb8aa3b, v76
	s_waitcnt lgkmcnt(2)
	v_fma_f32 v76, v110, v107, 0
	v_sub_f32_e32 v103, v103, v75
	s_delay_alu instid0(VALU_DEP_3) | instskip(NEXT) | instid1(VALU_DEP_2)
	v_exp_f32_e32 v112, v112
	v_dual_sub_f32 v107, v104, v75 :: v_dual_fmac_f32 v76, v109, v108
	s_waitcnt lgkmcnt(1)
	s_waitcnt_depctr 0xfff
	v_fmac_f32_e32 v76, v111, v99
	v_mul_f32_e32 v113, 0x3fb8aa3b, v103
	ds_load_2addr_b32 v[103:104], v90 offset0:238 offset1:255
	v_sub_f32_e32 v90, v105, v75
	v_dual_sub_f32 v99, v106, v75 :: v_dual_fmac_f32 v76, v112, v100
	v_mul_f32_e32 v105, 0x3fb8aa3b, v107
	v_exp_f32_e32 v107, v113
	s_delay_alu instid0(VALU_DEP_2)
	v_dual_mul_f32 v90, 0x3fb8aa3b, v90 :: v_dual_mul_f32 v99, 0x3fb8aa3b, v99
	s_waitcnt lgkmcnt(0)
	s_barrier
	buffer_gl0_inv
	v_exp_f32_e32 v90, v90
	v_exp_f32_e32 v99, v99
	v_fmac_f32_e32 v76, v107, v101
	v_exp_f32_e32 v105, v105
	s_waitcnt_depctr 0xfff
	v_fmac_f32_e32 v76, v105, v102
	s_delay_alu instid0(VALU_DEP_1) | instskip(NEXT) | instid1(VALU_DEP_1)
	v_fmac_f32_e32 v76, v90, v103
	v_fmac_f32_e32 v76, v99, v104
	s_delay_alu instid0(VALU_DEP_1) | instskip(NEXT) | instid1(VALU_DEP_1)
	v_add_f32_e32 v100, 0x358637bd, v76
	v_div_scale_f32 v101, null, v100, v100, 1.0
	v_div_scale_f32 v104, vcc_lo, 1.0, v100, 1.0
	s_delay_alu instid0(VALU_DEP_2) | instskip(SKIP_2) | instid1(VALU_DEP_1)
	v_rcp_f32_e32 v102, v101
	s_waitcnt_depctr 0xfff
	v_fma_f32 v103, -v101, v102, 1.0
	v_fmac_f32_e32 v102, v103, v102
	v_cndmask_b32_e64 v103, v110, v109, s2
	v_cmp_eq_u32_e64 s2, 2, v74
	s_delay_alu instid0(VALU_DEP_3) | instskip(NEXT) | instid1(VALU_DEP_2)
	v_mul_f32_e32 v106, v104, v102
	v_cndmask_b32_e64 v103, v103, v111, s2
	v_cmp_eq_u32_e64 s2, 3, v74
	s_delay_alu instid0(VALU_DEP_3) | instskip(NEXT) | instid1(VALU_DEP_2)
	v_fma_f32 v108, -v101, v106, v104
	v_cndmask_b32_e64 v103, v103, v112, s2
	v_cmp_eq_u32_e64 s2, 4, v74
	s_delay_alu instid0(VALU_DEP_3) | instskip(NEXT) | instid1(VALU_DEP_2)
	v_fmac_f32_e32 v106, v108, v102
	v_cndmask_b32_e64 v103, v103, v107, s2
	s_delay_alu instid0(VALU_DEP_2) | instskip(SKIP_1) | instid1(VALU_DEP_2)
	v_fma_f32 v101, -v101, v106, v104
	v_cmp_eq_u32_e64 s2, 5, v74
	v_div_fmas_f32 v101, v101, v102, v106
	s_delay_alu instid0(VALU_DEP_2) | instskip(SKIP_2) | instid1(VALU_DEP_3)
	v_cndmask_b32_e64 v103, v103, v105, s2
	v_cmp_eq_u32_e32 vcc_lo, 6, v74
	s_mov_b32 s2, exec_lo
	v_div_fixup_f32 v100, v101, v100, 1.0
	s_delay_alu instid0(VALU_DEP_3) | instskip(SKIP_1) | instid1(VALU_DEP_2)
	v_cndmask_b32_e32 v90, v103, v90, vcc_lo
	v_cmp_eq_u32_e32 vcc_lo, 7, v74
	v_cndmask_b32_e32 v90, v90, v99, vcc_lo
	s_delay_alu instid0(VALU_DEP_1) | instskip(NEXT) | instid1(VALU_DEP_1)
	v_mul_f32_e32 v90, v90, v100
	v_mul_f32_e32 v100, v90, v92
	;; [unrolled: 1-line block ×6, first 2 shown]
	v_and_b32_e32 v101, 0x7f800000, v100
	v_mul_f32_e32 v99, v90, v95
	v_mul_f32_e32 v95, v90, v91
	v_mul_f32_e32 v96, v90, v93
                                        ; implicit-def: $vgpr91
	s_delay_alu instid0(VALU_DEP_4)
	v_cmpx_ne_u32_e32 0x7f800000, v101
	s_xor_b32 s2, exec_lo, s2
; %bb.15:
	v_bfe_u32 v91, v100, 16, 1
	s_delay_alu instid0(VALU_DEP_1)
	v_add3_u32 v91, v100, v91, 0x7fff
                                        ; implicit-def: $vgpr100
; %bb.16:
	s_and_not1_saveexec_b32 s2, s2
; %bb.17:
	v_and_b32_e32 v91, 0xffff, v100
	v_or_b32_e32 v93, 0x10000, v100
	s_delay_alu instid0(VALU_DEP_2) | instskip(NEXT) | instid1(VALU_DEP_2)
	v_cmp_eq_u32_e32 vcc_lo, 0, v91
	v_cndmask_b32_e32 v91, v93, v100, vcc_lo
; %bb.18:
	s_or_b32 exec_lo, exec_lo, s2
	v_and_b32_e32 v93, 0x7f800000, v95
	s_delay_alu instid0(VALU_DEP_1) | instskip(SKIP_1) | instid1(SALU_CYCLE_1)
	v_cmp_ne_u32_e32 vcc_lo, 0x7f800000, v93
                                        ; implicit-def: $vgpr93
	s_and_saveexec_b32 s2, vcc_lo
	s_xor_b32 s2, exec_lo, s2
; %bb.19:
	v_bfe_u32 v93, v95, 16, 1
	s_delay_alu instid0(VALU_DEP_1)
	v_add3_u32 v93, v95, v93, 0x7fff
                                        ; implicit-def: $vgpr95
; %bb.20:
	s_and_not1_saveexec_b32 s2, s2
; %bb.21:
	v_and_b32_e32 v93, 0xffff, v95
	v_or_b32_e32 v100, 0x10000, v95
	s_delay_alu instid0(VALU_DEP_2) | instskip(NEXT) | instid1(VALU_DEP_2)
	v_cmp_eq_u32_e32 vcc_lo, 0, v93
	v_cndmask_b32_e32 v93, v100, v95, vcc_lo
; %bb.22:
	s_or_b32 exec_lo, exec_lo, s2
	v_and_b32_e32 v95, 0x7f800000, v96
	s_delay_alu instid0(VALU_DEP_1) | instskip(SKIP_1) | instid1(SALU_CYCLE_1)
	v_cmp_ne_u32_e32 vcc_lo, 0x7f800000, v95
                                        ; implicit-def: $vgpr95
	s_and_saveexec_b32 s2, vcc_lo
	s_xor_b32 s2, exec_lo, s2
; %bb.23:
	v_bfe_u32 v95, v96, 16, 1
	s_delay_alu instid0(VALU_DEP_1)
	v_add3_u32 v95, v96, v95, 0x7fff
                                        ; implicit-def: $vgpr96
; %bb.24:
	s_and_not1_saveexec_b32 s2, s2
; %bb.25:
	v_and_b32_e32 v95, 0xffff, v96
	v_or_b32_e32 v100, 0x10000, v96
	s_delay_alu instid0(VALU_DEP_2) | instskip(NEXT) | instid1(VALU_DEP_2)
	v_cmp_eq_u32_e32 vcc_lo, 0, v95
	v_cndmask_b32_e32 v95, v100, v96, vcc_lo
; %bb.26:
	s_or_b32 exec_lo, exec_lo, s2
	v_and_b32_e32 v96, 0x7f800000, v99
	s_delay_alu instid0(VALU_DEP_1) | instskip(SKIP_1) | instid1(SALU_CYCLE_1)
	v_cmp_ne_u32_e32 vcc_lo, 0x7f800000, v96
                                        ; implicit-def: $vgpr96
	s_and_saveexec_b32 s2, vcc_lo
	s_xor_b32 s2, exec_lo, s2
; %bb.27:
	v_bfe_u32 v96, v99, 16, 1
	s_delay_alu instid0(VALU_DEP_1)
	v_add3_u32 v96, v99, v96, 0x7fff
                                        ; implicit-def: $vgpr99
; %bb.28:
	s_and_not1_saveexec_b32 s2, s2
; %bb.29:
	v_and_b32_e32 v96, 0xffff, v99
	v_or_b32_e32 v100, 0x10000, v99
	s_delay_alu instid0(VALU_DEP_2) | instskip(NEXT) | instid1(VALU_DEP_2)
	v_cmp_eq_u32_e32 vcc_lo, 0, v96
	v_cndmask_b32_e32 v96, v100, v99, vcc_lo
; %bb.30:
	s_or_b32 exec_lo, exec_lo, s2
	v_and_b32_e32 v99, 0x7f800000, v98
	s_delay_alu instid0(VALU_DEP_1) | instskip(SKIP_1) | instid1(SALU_CYCLE_1)
	v_cmp_ne_u32_e32 vcc_lo, 0x7f800000, v99
                                        ; implicit-def: $vgpr99
	s_and_saveexec_b32 s2, vcc_lo
	s_xor_b32 s2, exec_lo, s2
; %bb.31:
	v_bfe_u32 v99, v98, 16, 1
	s_delay_alu instid0(VALU_DEP_1)
	v_add3_u32 v99, v98, v99, 0x7fff
                                        ; implicit-def: $vgpr98
; %bb.32:
	s_and_not1_saveexec_b32 s2, s2
; %bb.33:
	v_and_b32_e32 v99, 0xffff, v98
	v_or_b32_e32 v100, 0x10000, v98
	s_delay_alu instid0(VALU_DEP_2) | instskip(NEXT) | instid1(VALU_DEP_2)
	v_cmp_eq_u32_e32 vcc_lo, 0, v99
	v_cndmask_b32_e32 v99, v100, v98, vcc_lo
; %bb.34:
	s_or_b32 exec_lo, exec_lo, s2
	v_and_b32_e32 v98, 0x7f800000, v97
	s_delay_alu instid0(VALU_DEP_1) | instskip(SKIP_1) | instid1(SALU_CYCLE_1)
	v_cmp_ne_u32_e32 vcc_lo, 0x7f800000, v98
                                        ; implicit-def: $vgpr98
	s_and_saveexec_b32 s2, vcc_lo
	s_xor_b32 s2, exec_lo, s2
; %bb.35:
	v_bfe_u32 v98, v97, 16, 1
	s_delay_alu instid0(VALU_DEP_1)
	v_add3_u32 v98, v97, v98, 0x7fff
                                        ; implicit-def: $vgpr97
; %bb.36:
	s_and_not1_saveexec_b32 s2, s2
; %bb.37:
	v_and_b32_e32 v98, 0xffff, v97
	v_or_b32_e32 v100, 0x10000, v97
	s_delay_alu instid0(VALU_DEP_2) | instskip(NEXT) | instid1(VALU_DEP_2)
	v_cmp_eq_u32_e32 vcc_lo, 0, v98
	v_cndmask_b32_e32 v98, v100, v97, vcc_lo
; %bb.38:
	s_or_b32 exec_lo, exec_lo, s2
	v_and_b32_e32 v97, 0x7f800000, v94
	s_delay_alu instid0(VALU_DEP_1) | instskip(SKIP_1) | instid1(SALU_CYCLE_1)
	v_cmp_ne_u32_e32 vcc_lo, 0x7f800000, v97
                                        ; implicit-def: $vgpr97
	s_and_saveexec_b32 s2, vcc_lo
	s_xor_b32 s2, exec_lo, s2
; %bb.39:
	v_bfe_u32 v97, v94, 16, 1
	s_delay_alu instid0(VALU_DEP_1)
	v_add3_u32 v97, v94, v97, 0x7fff
                                        ; implicit-def: $vgpr94
; %bb.40:
	s_and_not1_saveexec_b32 s2, s2
; %bb.41:
	v_and_b32_e32 v97, 0xffff, v94
	v_or_b32_e32 v100, 0x10000, v94
	s_delay_alu instid0(VALU_DEP_2) | instskip(NEXT) | instid1(VALU_DEP_2)
	v_cmp_eq_u32_e32 vcc_lo, 0, v97
	v_cndmask_b32_e32 v97, v100, v94, vcc_lo
; %bb.42:
	s_or_b32 exec_lo, exec_lo, s2
	v_and_b32_e32 v94, 0x7f800000, v92
	s_delay_alu instid0(VALU_DEP_1) | instskip(SKIP_1) | instid1(SALU_CYCLE_1)
	v_cmp_ne_u32_e32 vcc_lo, 0x7f800000, v94
                                        ; implicit-def: $vgpr94
	s_and_saveexec_b32 s2, vcc_lo
	s_xor_b32 s2, exec_lo, s2
; %bb.43:
	v_bfe_u32 v94, v92, 16, 1
	s_delay_alu instid0(VALU_DEP_1)
	v_add3_u32 v94, v92, v94, 0x7fff
                                        ; implicit-def: $vgpr92
; %bb.44:
	s_and_not1_saveexec_b32 s2, s2
; %bb.45:
	v_and_b32_e32 v94, 0xffff, v92
	v_or_b32_e32 v100, 0x10000, v92
	s_delay_alu instid0(VALU_DEP_2) | instskip(NEXT) | instid1(VALU_DEP_2)
	v_cmp_eq_u32_e32 vcc_lo, 0, v94
	v_cndmask_b32_e32 v94, v100, v92, vcc_lo
; %bb.46:
	s_or_b32 exec_lo, exec_lo, s2
	s_load_b64 s[34:35], s[0:1], 0x94
	v_lshlrev_b32_e32 v92, 4, v83
	s_delay_alu instid0(VALU_DEP_2)
	v_perm_b32 v100, v94, v97, 0x7060302
	v_dual_mul_f32 v89, v90, v89 :: v_dual_lshlrev_b32 v94, 11, v74
	v_perm_b32 v97, v93, v91, 0x7060302
	v_mul_f32_e32 v93, v90, v77
	v_perm_b32 v99, v98, v99, 0x7060302
	v_perm_b32 v98, v96, v95, 0x7060302
	v_or3_b32 v77, v92, v94, v85
	v_mul_f32_e32 v88, v90, v88
	v_dual_mul_f32 v87, v90, v87 :: v_dual_and_b32 v94, 0x7f800000, v93
	v_mul_f32_e32 v86, v90, v86
	v_mul_f32_e32 v91, v90, v80
	;; [unrolled: 1-line block ×4, first 2 shown]
	s_mov_b32 s2, exec_lo
	ds_store_b128 v77, v[97:100]
                                        ; implicit-def: $vgpr78
	v_cmpx_ne_u32_e32 0x7f800000, v94
	s_xor_b32 s2, exec_lo, s2
; %bb.47:
	v_bfe_u32 v78, v93, 16, 1
	s_delay_alu instid0(VALU_DEP_1)
	v_add3_u32 v78, v93, v78, 0x7fff
                                        ; implicit-def: $vgpr93
; %bb.48:
	s_and_not1_saveexec_b32 s2, s2
; %bb.49:
	v_and_b32_e32 v78, 0xffff, v93
	v_or_b32_e32 v79, 0x10000, v93
	s_delay_alu instid0(VALU_DEP_2) | instskip(NEXT) | instid1(VALU_DEP_2)
	v_cmp_eq_u32_e32 vcc_lo, 0, v78
	v_cndmask_b32_e32 v78, v79, v93, vcc_lo
; %bb.50:
	s_or_b32 exec_lo, exec_lo, s2
	v_and_b32_e32 v79, 0x7f800000, v80
	s_delay_alu instid0(VALU_DEP_1) | instskip(SKIP_1) | instid1(SALU_CYCLE_1)
	v_cmp_ne_u32_e32 vcc_lo, 0x7f800000, v79
                                        ; implicit-def: $vgpr79
	s_and_saveexec_b32 s2, vcc_lo
	s_xor_b32 s2, exec_lo, s2
; %bb.51:
	v_bfe_u32 v79, v80, 16, 1
	s_delay_alu instid0(VALU_DEP_1)
	v_add3_u32 v79, v80, v79, 0x7fff
                                        ; implicit-def: $vgpr80
; %bb.52:
	s_and_not1_saveexec_b32 s2, s2
; %bb.53:
	v_and_b32_e32 v79, 0xffff, v80
	v_or_b32_e32 v90, 0x10000, v80
	s_delay_alu instid0(VALU_DEP_2) | instskip(NEXT) | instid1(VALU_DEP_2)
	v_cmp_eq_u32_e32 vcc_lo, 0, v79
	v_cndmask_b32_e32 v79, v90, v80, vcc_lo
; %bb.54:
	s_or_b32 exec_lo, exec_lo, s2
	v_and_b32_e32 v80, 0x7f800000, v92
	s_delay_alu instid0(VALU_DEP_1) | instskip(SKIP_1) | instid1(SALU_CYCLE_1)
	v_cmp_ne_u32_e32 vcc_lo, 0x7f800000, v80
                                        ; implicit-def: $vgpr80
	s_and_saveexec_b32 s2, vcc_lo
	s_xor_b32 s2, exec_lo, s2
; %bb.55:
	v_bfe_u32 v80, v92, 16, 1
	s_delay_alu instid0(VALU_DEP_1)
	v_add3_u32 v80, v92, v80, 0x7fff
                                        ; implicit-def: $vgpr92
; %bb.56:
	s_and_not1_saveexec_b32 s2, s2
; %bb.57:
	v_and_b32_e32 v80, 0xffff, v92
	v_or_b32_e32 v90, 0x10000, v92
	s_delay_alu instid0(VALU_DEP_2) | instskip(NEXT) | instid1(VALU_DEP_2)
	v_cmp_eq_u32_e32 vcc_lo, 0, v80
	v_cndmask_b32_e32 v80, v90, v92, vcc_lo
; %bb.58:
	s_or_b32 exec_lo, exec_lo, s2
	v_and_b32_e32 v90, 0x7f800000, v91
	s_delay_alu instid0(VALU_DEP_1) | instskip(SKIP_1) | instid1(SALU_CYCLE_1)
	v_cmp_ne_u32_e32 vcc_lo, 0x7f800000, v90
                                        ; implicit-def: $vgpr90
	s_and_saveexec_b32 s2, vcc_lo
	s_xor_b32 s2, exec_lo, s2
; %bb.59:
	v_bfe_u32 v90, v91, 16, 1
	s_delay_alu instid0(VALU_DEP_1)
	v_add3_u32 v90, v91, v90, 0x7fff
                                        ; implicit-def: $vgpr91
; %bb.60:
	s_and_not1_saveexec_b32 s2, s2
; %bb.61:
	v_and_b32_e32 v90, 0xffff, v91
	v_or_b32_e32 v92, 0x10000, v91
	s_delay_alu instid0(VALU_DEP_2) | instskip(NEXT) | instid1(VALU_DEP_2)
	v_cmp_eq_u32_e32 vcc_lo, 0, v90
	v_cndmask_b32_e32 v90, v92, v91, vcc_lo
; %bb.62:
	s_or_b32 exec_lo, exec_lo, s2
	v_and_b32_e32 v91, 0x7f800000, v86
	s_delay_alu instid0(VALU_DEP_1) | instskip(SKIP_1) | instid1(SALU_CYCLE_1)
	v_cmp_ne_u32_e32 vcc_lo, 0x7f800000, v91
                                        ; implicit-def: $vgpr91
	s_and_saveexec_b32 s2, vcc_lo
	s_xor_b32 s2, exec_lo, s2
; %bb.63:
	v_bfe_u32 v91, v86, 16, 1
	s_delay_alu instid0(VALU_DEP_1)
	v_add3_u32 v91, v86, v91, 0x7fff
                                        ; implicit-def: $vgpr86
; %bb.64:
	s_and_not1_saveexec_b32 s2, s2
; %bb.65:
	v_and_b32_e32 v91, 0xffff, v86
	v_or_b32_e32 v92, 0x10000, v86
	s_delay_alu instid0(VALU_DEP_2) | instskip(NEXT) | instid1(VALU_DEP_2)
	v_cmp_eq_u32_e32 vcc_lo, 0, v91
	v_cndmask_b32_e32 v91, v92, v86, vcc_lo
; %bb.66:
	s_or_b32 exec_lo, exec_lo, s2
	v_and_b32_e32 v86, 0x7f800000, v87
	s_delay_alu instid0(VALU_DEP_1) | instskip(SKIP_1) | instid1(SALU_CYCLE_1)
	v_cmp_ne_u32_e32 vcc_lo, 0x7f800000, v86
                                        ; implicit-def: $vgpr86
	s_and_saveexec_b32 s2, vcc_lo
	s_xor_b32 s2, exec_lo, s2
; %bb.67:
	v_bfe_u32 v86, v87, 16, 1
	s_delay_alu instid0(VALU_DEP_1)
	v_add3_u32 v86, v87, v86, 0x7fff
                                        ; implicit-def: $vgpr87
; %bb.68:
	s_and_not1_saveexec_b32 s2, s2
; %bb.69:
	v_and_b32_e32 v86, 0xffff, v87
	v_or_b32_e32 v92, 0x10000, v87
	s_delay_alu instid0(VALU_DEP_2) | instskip(NEXT) | instid1(VALU_DEP_2)
	v_cmp_eq_u32_e32 vcc_lo, 0, v86
	v_cndmask_b32_e32 v86, v92, v87, vcc_lo
; %bb.70:
	s_or_b32 exec_lo, exec_lo, s2
	v_and_b32_e32 v87, 0x7f800000, v88
	s_delay_alu instid0(VALU_DEP_1) | instskip(SKIP_1) | instid1(SALU_CYCLE_1)
	v_cmp_ne_u32_e32 vcc_lo, 0x7f800000, v87
                                        ; implicit-def: $vgpr87
	s_and_saveexec_b32 s2, vcc_lo
	s_xor_b32 s2, exec_lo, s2
; %bb.71:
	v_bfe_u32 v87, v88, 16, 1
	s_delay_alu instid0(VALU_DEP_1)
	v_add3_u32 v87, v88, v87, 0x7fff
                                        ; implicit-def: $vgpr88
; %bb.72:
	s_and_not1_saveexec_b32 s2, s2
; %bb.73:
	v_and_b32_e32 v87, 0xffff, v88
	v_or_b32_e32 v92, 0x10000, v88
	s_delay_alu instid0(VALU_DEP_2) | instskip(NEXT) | instid1(VALU_DEP_2)
	v_cmp_eq_u32_e32 vcc_lo, 0, v87
	v_cndmask_b32_e32 v87, v92, v88, vcc_lo
; %bb.74:
	s_or_b32 exec_lo, exec_lo, s2
	v_and_b32_e32 v88, 0x7f800000, v89
	s_delay_alu instid0(VALU_DEP_1) | instskip(SKIP_1) | instid1(SALU_CYCLE_1)
	v_cmp_ne_u32_e32 vcc_lo, 0x7f800000, v88
                                        ; implicit-def: $vgpr88
	s_and_saveexec_b32 s2, vcc_lo
	s_xor_b32 s2, exec_lo, s2
; %bb.75:
	v_bfe_u32 v88, v89, 16, 1
	s_delay_alu instid0(VALU_DEP_1)
	v_add3_u32 v88, v89, v88, 0x7fff
                                        ; implicit-def: $vgpr89
; %bb.76:
	s_and_not1_saveexec_b32 s2, s2
; %bb.77:
	v_and_b32_e32 v88, 0xffff, v89
	v_or_b32_e32 v92, 0x10000, v89
	s_delay_alu instid0(VALU_DEP_2) | instskip(NEXT) | instid1(VALU_DEP_2)
	v_cmp_eq_u32_e32 vcc_lo, 0, v88
	v_cndmask_b32_e32 v88, v92, v89, vcc_lo
; %bb.78:
	s_or_b32 exec_lo, exec_lo, s2
	s_delay_alu instid0(VALU_DEP_1)
	v_perm_b32 v89, v88, v87, 0x7060302
	v_perm_b32 v88, v86, v91, 0x7060302
	;; [unrolled: 1-line block ×4, first 2 shown]
	v_lshl_or_b32 v90, v74, 11, v85
	ds_store_b128 v77, v[86:89] offset:1024
	s_waitcnt lgkmcnt(0)
	s_barrier
	buffer_gl0_inv
	ds_load_b128 v[91:94], v90
	ds_load_b128 v[95:98], v90 offset:16
	v_lshlrev_b32_e32 v87, 2, v83
	s_delay_alu instid0(VALU_DEP_1)
	v_or_b32_e32 v88, 1, v87
	v_cmp_eq_u32_e32 vcc_lo, 1, v87
	v_cmp_eq_u32_e64 s3, 2, v87
	v_cmp_eq_u32_e64 s6, 3, v87
	;; [unrolled: 1-line block ×6, first 2 shown]
	v_or_b32_e32 v86, 2, v87
	v_cmp_eq_u32_e64 s9, 5, v87
	v_cmp_eq_u32_e64 s10, 4, v88
	;; [unrolled: 1-line block ×4, first 2 shown]
	s_waitcnt lgkmcnt(1)
	v_lshrrev_b32_e32 v74, 16, v91
	s_waitcnt lgkmcnt(0)
	v_lshrrev_b32_e32 v103, 16, v95
	v_lshrrev_b32_e32 v80, 16, v94
	;; [unrolled: 1-line block ×4, first 2 shown]
	v_cndmask_b32_e32 v89, v91, v74, vcc_lo
	v_cndmask_b32_e32 v99, v95, v103, vcc_lo
	v_cndmask_b32_e64 v100, v91, v74, s2
	v_lshrrev_b32_e32 v79, 16, v93
	v_lshrrev_b32_e32 v108, 16, v97
	v_cndmask_b32_e64 v89, v89, v92, s3
	v_cndmask_b32_e64 v99, v99, v96, s3
	;; [unrolled: 1-line block ×4, first 2 shown]
	v_cmp_eq_u32_e64 s4, 1, v86
	v_cndmask_b32_e64 v89, v89, v78, s6
	v_cndmask_b32_e64 v99, v99, v107, s6
	;; [unrolled: 1-line block ×4, first 2 shown]
	v_lshrrev_b32_e32 v109, 16, v98
	v_cndmask_b32_e64 v89, v89, v93, s8
	v_cndmask_b32_e64 v99, v99, v97, s8
	;; [unrolled: 1-line block ×8, first 2 shown]
	v_cmp_eq_u32_e64 s13, 7, v87
	v_cmp_eq_u32_e64 s15, 6, v88
	v_cndmask_b32_e64 v89, v89, v94, s11
	v_cndmask_b32_e64 v99, v99, v98, s11
	v_cmp_eq_u32_e64 s16, 2, v86
	v_cndmask_b32_e64 v101, v101, v97, s10
	v_cndmask_b32_e64 v100, v100, v94, s15
	;; [unrolled: 1-line block ×6, first 2 shown]
	v_cmp_eq_u32_e64 s17, 7, v88
	v_cmp_eq_u32_e64 s18, 3, v86
	;; [unrolled: 1-line block ×4, first 2 shown]
	v_cndmask_b32_e64 v99, v99, v96, s16
	v_cndmask_b32_e64 v112, v100, v80, s17
	;; [unrolled: 1-line block ×4, first 2 shown]
	v_or_b32_e32 v89, 3, v87
	v_cndmask_b32_e64 v105, v99, v107, s18
	v_cmp_eq_u32_e64 s23, 6, v86
	v_cndmask_b32_e64 v113, v100, v98, s15
	v_cndmask_b32_e64 v104, v101, v93, s19
	ds_load_b128 v[99:102], v90 offset:1024
	v_cmp_eq_u32_e64 s20, 1, v89
	v_cmp_eq_u32_e64 s22, 2, v89
	;; [unrolled: 1-line block ×3, first 2 shown]
	v_cndmask_b32_e64 v114, v104, v79, s21
	v_cmp_eq_u32_e64 s25, 4, v89
	v_cndmask_b32_e64 v74, v91, v74, s20
	v_cndmask_b32_e64 v91, v105, v97, s19
	;; [unrolled: 1-line block ×3, first 2 shown]
	ds_load_b128 v[103:106], v90 offset:1040
	v_cmp_eq_u32_e64 s27, 5, v89
	v_cndmask_b32_e64 v74, v74, v92, s22
	v_cndmask_b32_e64 v91, v91, v108, s21
	;; [unrolled: 1-line block ×3, first 2 shown]
	v_cmp_eq_u32_e64 s28, 6, v89
	v_cndmask_b32_e64 v95, v113, v109, s17
	v_cndmask_b32_e64 v74, v74, v78, s24
	;; [unrolled: 1-line block ×5, first 2 shown]
	s_waitcnt lgkmcnt(1)
	v_lshrrev_b32_e32 v96, 16, v99
	v_cndmask_b32_e64 v74, v74, v93, s25
	v_lshrrev_b32_e32 v107, 16, v100
	v_cndmask_b32_e64 v92, v92, v97, s25
	v_cmp_eq_u32_e64 s26, 7, v86
	v_cndmask_b32_e32 v93, v99, v96, vcc_lo
	v_cndmask_b32_e64 v74, v74, v79, s27
	s_delay_alu instid0(VALU_DEP_4)
	v_cndmask_b32_e64 v79, v92, v108, s27
	s_waitcnt lgkmcnt(0)
	v_lshrrev_b32_e32 v97, 16, v103
	v_cndmask_b32_e64 v92, v93, v100, s3
	v_cndmask_b32_e64 v93, v99, v96, s2
	;; [unrolled: 1-line block ×4, first 2 shown]
	v_cndmask_b32_e32 v108, v103, v97, vcc_lo
	v_cndmask_b32_e64 v92, v92, v107, s6
	v_cndmask_b32_e64 v93, v93, v100, s5
	v_lshrrev_b32_e32 v98, 16, v104
	v_cmp_eq_u32_e32 vcc_lo, 7, v89
	v_cndmask_b32_e64 v94, v108, v104, s3
	v_cndmask_b32_e64 v92, v92, v101, s8
	v_lshrrev_b32_e32 v108, 16, v101
	v_cndmask_b32_e64 v93, v93, v107, s7
	v_cndmask_b32_e32 v74, v74, v80, vcc_lo
	v_cndmask_b32_e64 v94, v94, v98, s6
	v_cndmask_b32_e32 v79, v79, v109, vcc_lo
	v_cndmask_b32_e64 v92, v92, v108, s9
	v_cndmask_b32_e64 v78, v78, v80, s26
	;; [unrolled: 1-line block ×4, first 2 shown]
	v_perm_b32 v94, v79, v74, 0x5040100
	v_cndmask_b32_e64 v79, v92, v102, s11
	v_perm_b32 v92, v95, v112, 0x5040100
	v_cndmask_b32_e64 v95, v99, v96, s4
	v_cndmask_b32_e64 v96, v99, v96, s20
	;; [unrolled: 1-line block ×16, first 2 shown]
	v_lshrrev_b32_e32 v109, 16, v105
	v_cndmask_b32_e64 v95, v95, v101, s19
	v_cndmask_b32_e64 v96, v96, v101, s25
	;; [unrolled: 1-line block ×6, first 2 shown]
	v_lshrrev_b32_e32 v80, 16, v102
	v_cndmask_b32_e64 v113, v93, v109, s9
	v_cndmask_b32_e64 v95, v95, v108, s21
	;; [unrolled: 1-line block ×6, first 2 shown]
	v_perm_b32 v93, v91, v78, 0x5040100
	v_cndmask_b32_e64 v74, v74, v102, s15
	v_cndmask_b32_e64 v78, v79, v80, s13
	;; [unrolled: 1-line block ×3, first 2 shown]
	v_lshrrev_b32_e32 v91, 16, v106
	v_cndmask_b32_e64 v95, v95, v102, s23
	v_cndmask_b32_e64 v96, v96, v102, s28
	;; [unrolled: 1-line block ×7, first 2 shown]
	v_cndmask_b32_e32 v80, v96, v80, vcc_lo
	v_cndmask_b32_e32 v96, v98, v91, vcc_lo
	v_cndmask_b32_e64 v99, v99, v91, s26
	v_cndmask_b32_e64 v100, v97, v91, s17
	;; [unrolled: 1-line block ×3, first 2 shown]
	v_perm_b32 v91, v111, v110, 0x5040100
	v_perm_b32 v98, v96, v80, 0x5040100
	;; [unrolled: 1-line block ×5, first 2 shown]
	s_mul_i32 s7, s35, 14
	s_mov_b32 s2, exec_lo
	ds_store_b128 v77, v[91:94]
	ds_store_b128 v77, v[95:98] offset:1024
	v_cmpx_gt_u32_e32 14, v0
	s_cbranch_execz .LBB743_80
; %bb.79:
	s_mul_i32 s3, s7, s30
	s_load_b128 s[8:11], s[0:1], 0x58
	v_add3_u32 v77, s3, s29, v73
	s_delay_alu instid0(VALU_DEP_1) | instskip(NEXT) | instid1(VALU_DEP_1)
	v_mad_u64_u32 v[73:74], null, v77, s34, s[14:15]
	v_ashrrev_i32_e32 v74, 31, v73
	s_delay_alu instid0(VALU_DEP_1) | instskip(SKIP_1) | instid1(VALU_DEP_1)
	v_lshlrev_b64 v[73:74], 2, v[73:74]
	s_waitcnt lgkmcnt(0)
	v_add_co_u32 v77, vcc_lo, s10, v73
	s_delay_alu instid0(VALU_DEP_2)
	v_add_co_ci_u32_e32 v78, vcc_lo, s11, v74, vcc_lo
	v_add_co_u32 v73, vcc_lo, s8, v73
	v_add_co_ci_u32_e32 v74, vcc_lo, s9, v74, vcc_lo
	global_store_b32 v[77:78], v75, off
	global_store_b32 v[73:74], v76, off
.LBB743_80:
	s_or_b32 exec_lo, exec_lo, s2
	s_waitcnt lgkmcnt(0)
	s_waitcnt_vscnt null, 0x0
	s_barrier
	buffer_gl0_inv
	ds_load_b128 v[91:94], v85
	ds_load_b128 v[95:98], v85 offset:16
	ds_load_b128 v[103:106], v85 offset:1040
	ds_load_b128 v[99:102], v85 offset:1024
	v_mov_b32_e32 v73, 0
	ds_load_b128 v[111:114], v85 offset:2064
	ds_load_b128 v[107:110], v85 offset:2048
	;; [unrolled: 1-line block ×6, first 2 shown]
	v_mov_b32_e32 v74, v73
	v_mov_b32_e32 v75, v73
	;; [unrolled: 1-line block ×7, first 2 shown]
	s_waitcnt lgkmcnt(8)
	s_delay_alu instid0(VALU_DEP_1)
	v_wmma_f32_16x16x16_bf16 v[73:80], v[65:72], v[91:98], v[73:80]
	ds_load_b128 v[69:72], v85 offset:5136
	ds_load_b128 v[65:68], v85 offset:5120
	;; [unrolled: 1-line block ×4, first 2 shown]
	s_waitcnt lgkmcnt(10)
	v_wmma_f32_16x16x16_bf16 v[73:80], v[57:64], v[99:106], v[73:80]
	s_waitcnt lgkmcnt(8)
	s_delay_alu instid0(VALU_DEP_1)
	v_wmma_f32_16x16x16_bf16 v[73:80], v[57:64], v[107:114], v[73:80]
	ds_load_b128 v[61:64], v85 offset:7184
	ds_load_b128 v[57:60], v85 offset:7168
	;; [unrolled: 1-line block ×4, first 2 shown]
	s_waitcnt lgkmcnt(10)
	v_wmma_f32_16x16x16_bf16 v[73:80], v[49:56], v[115:122], v[73:80]
	s_waitcnt lgkmcnt(8)
	s_delay_alu instid0(VALU_DEP_1)
	v_wmma_f32_16x16x16_bf16 v[73:80], v[49:56], v[123:130], v[73:80]
	ds_load_b128 v[53:56], v85 offset:9232
	ds_load_b128 v[49:52], v85 offset:9216
	s_waitcnt lgkmcnt(8)
	v_wmma_f32_16x16x16_bf16 v[73:80], v[41:48], v[65:72], v[73:80]
	ds_load_b128 v[69:72], v85 offset:10256
	ds_load_b128 v[65:68], v85 offset:10240
	s_waitcnt lgkmcnt(8)
	v_wmma_f32_16x16x16_bf16 v[73:80], v[41:48], v[91:98], v[73:80]
	ds_load_b128 v[45:48], v85 offset:11280
	ds_load_b128 v[41:44], v85 offset:11264
	s_waitcnt lgkmcnt(8)
	v_wmma_f32_16x16x16_bf16 v[73:80], v[9:16], v[57:64], v[73:80]
	s_waitcnt lgkmcnt(6)
	s_delay_alu instid0(VALU_DEP_1)
	v_wmma_f32_16x16x16_bf16 v[73:80], v[9:16], v[99:106], v[73:80]
	ds_load_b128 v[13:16], v85 offset:12304
	ds_load_b128 v[9:12], v85 offset:12288
	s_waitcnt lgkmcnt(6)
	v_wmma_f32_16x16x16_bf16 v[73:80], v[1:8], v[49:56], v[73:80]
	ds_load_b128 v[53:56], v85 offset:13328
	ds_load_b128 v[49:52], v85 offset:13312
	s_waitcnt lgkmcnt(6)
	;; [unrolled: 4-line block ×4, first 2 shown]
	v_wmma_f32_16x16x16_bf16 v[73:80], v[33:40], v[9:16], v[73:80]
	s_waitcnt lgkmcnt(4)
	s_delay_alu instid0(VALU_DEP_1) | instskip(SKIP_1) | instid1(VALU_DEP_1)
	v_wmma_f32_16x16x16_bf16 v[73:80], v[25:32], v[49:56], v[73:80]
	s_waitcnt lgkmcnt(2)
	v_wmma_f32_16x16x16_bf16 v[73:80], v[25:32], v[1:8], v[73:80]
	s_waitcnt lgkmcnt(0)
	s_delay_alu instid0(VALU_DEP_1) | instskip(NEXT) | instid1(VALU_DEP_1)
	v_wmma_f32_16x16x16_bf16 v[73:80], v[17:24], v[41:48], v[73:80]
	v_and_b32_e32 v1, 0x7f800000, v73
	s_delay_alu instid0(VALU_DEP_1) | instskip(SKIP_1) | instid1(SALU_CYCLE_1)
	v_cmp_ne_u32_e32 vcc_lo, 0x7f800000, v1
                                        ; implicit-def: $vgpr1
	s_and_saveexec_b32 s2, vcc_lo
	s_xor_b32 s2, exec_lo, s2
; %bb.81:
	v_bfe_u32 v1, v73, 16, 1
	s_delay_alu instid0(VALU_DEP_1)
	v_add3_u32 v1, v73, v1, 0x7fff
; %bb.82:
	s_and_not1_saveexec_b32 s2, s2
; %bb.83:
	v_and_b32_e32 v1, 0xffff, v73
	v_or_b32_e32 v2, 0x10000, v73
	s_delay_alu instid0(VALU_DEP_2) | instskip(NEXT) | instid1(VALU_DEP_2)
	v_cmp_eq_u32_e32 vcc_lo, 0, v1
	v_cndmask_b32_e32 v1, v2, v73, vcc_lo
; %bb.84:
	s_or_b32 exec_lo, exec_lo, s2
	v_and_b32_e32 v2, 0x7f800000, v74
	s_delay_alu instid0(VALU_DEP_1) | instskip(SKIP_1) | instid1(SALU_CYCLE_1)
	v_cmp_ne_u32_e32 vcc_lo, 0x7f800000, v2
                                        ; implicit-def: $vgpr2
	s_and_saveexec_b32 s2, vcc_lo
	s_xor_b32 s2, exec_lo, s2
; %bb.85:
	v_bfe_u32 v2, v74, 16, 1
	s_delay_alu instid0(VALU_DEP_1)
	v_add3_u32 v2, v74, v2, 0x7fff
; %bb.86:
	s_and_not1_saveexec_b32 s2, s2
; %bb.87:
	v_and_b32_e32 v2, 0xffff, v74
	v_or_b32_e32 v3, 0x10000, v74
	s_delay_alu instid0(VALU_DEP_2) | instskip(NEXT) | instid1(VALU_DEP_2)
	v_cmp_eq_u32_e32 vcc_lo, 0, v2
	v_cndmask_b32_e32 v2, v3, v74, vcc_lo
; %bb.88:
	s_or_b32 exec_lo, exec_lo, s2
	v_and_b32_e32 v3, 0x7f800000, v75
	s_delay_alu instid0(VALU_DEP_1) | instskip(SKIP_1) | instid1(SALU_CYCLE_1)
	v_cmp_ne_u32_e32 vcc_lo, 0x7f800000, v3
                                        ; implicit-def: $vgpr3
	s_and_saveexec_b32 s2, vcc_lo
	s_xor_b32 s2, exec_lo, s2
; %bb.89:
	v_bfe_u32 v3, v75, 16, 1
	s_delay_alu instid0(VALU_DEP_1)
	v_add3_u32 v3, v75, v3, 0x7fff
; %bb.90:
	s_and_not1_saveexec_b32 s2, s2
; %bb.91:
	v_and_b32_e32 v3, 0xffff, v75
	v_or_b32_e32 v4, 0x10000, v75
	s_delay_alu instid0(VALU_DEP_2) | instskip(NEXT) | instid1(VALU_DEP_2)
	v_cmp_eq_u32_e32 vcc_lo, 0, v3
	v_cndmask_b32_e32 v3, v4, v75, vcc_lo
; %bb.92:
	s_or_b32 exec_lo, exec_lo, s2
	v_and_b32_e32 v4, 0x7f800000, v76
	s_delay_alu instid0(VALU_DEP_1) | instskip(SKIP_1) | instid1(SALU_CYCLE_1)
	v_cmp_ne_u32_e32 vcc_lo, 0x7f800000, v4
                                        ; implicit-def: $vgpr4
	s_and_saveexec_b32 s2, vcc_lo
	s_xor_b32 s2, exec_lo, s2
; %bb.93:
	v_bfe_u32 v4, v76, 16, 1
	s_delay_alu instid0(VALU_DEP_1)
	v_add3_u32 v4, v76, v4, 0x7fff
; %bb.94:
	s_and_not1_saveexec_b32 s2, s2
; %bb.95:
	v_and_b32_e32 v4, 0xffff, v76
	v_or_b32_e32 v5, 0x10000, v76
	s_delay_alu instid0(VALU_DEP_2) | instskip(NEXT) | instid1(VALU_DEP_2)
	v_cmp_eq_u32_e32 vcc_lo, 0, v4
	v_cndmask_b32_e32 v4, v5, v76, vcc_lo
; %bb.96:
	s_or_b32 exec_lo, exec_lo, s2
	v_and_b32_e32 v5, 0x7f800000, v77
	s_delay_alu instid0(VALU_DEP_1) | instskip(SKIP_1) | instid1(SALU_CYCLE_1)
	v_cmp_ne_u32_e32 vcc_lo, 0x7f800000, v5
                                        ; implicit-def: $vgpr5
	s_and_saveexec_b32 s2, vcc_lo
	s_xor_b32 s2, exec_lo, s2
; %bb.97:
	v_bfe_u32 v5, v77, 16, 1
	s_delay_alu instid0(VALU_DEP_1)
	v_add3_u32 v5, v77, v5, 0x7fff
; %bb.98:
	s_and_not1_saveexec_b32 s2, s2
; %bb.99:
	v_and_b32_e32 v5, 0xffff, v77
	v_or_b32_e32 v6, 0x10000, v77
	s_delay_alu instid0(VALU_DEP_2) | instskip(NEXT) | instid1(VALU_DEP_2)
	v_cmp_eq_u32_e32 vcc_lo, 0, v5
	v_cndmask_b32_e32 v5, v6, v77, vcc_lo
; %bb.100:
	s_or_b32 exec_lo, exec_lo, s2
	v_and_b32_e32 v6, 0x7f800000, v78
	s_delay_alu instid0(VALU_DEP_1) | instskip(SKIP_1) | instid1(SALU_CYCLE_1)
	v_cmp_ne_u32_e32 vcc_lo, 0x7f800000, v6
                                        ; implicit-def: $vgpr6
	s_and_saveexec_b32 s2, vcc_lo
	s_xor_b32 s2, exec_lo, s2
; %bb.101:
	v_bfe_u32 v6, v78, 16, 1
	s_delay_alu instid0(VALU_DEP_1)
	v_add3_u32 v6, v78, v6, 0x7fff
; %bb.102:
	s_and_not1_saveexec_b32 s2, s2
; %bb.103:
	v_and_b32_e32 v6, 0xffff, v78
	v_or_b32_e32 v7, 0x10000, v78
	s_delay_alu instid0(VALU_DEP_2) | instskip(NEXT) | instid1(VALU_DEP_2)
	v_cmp_eq_u32_e32 vcc_lo, 0, v6
	v_cndmask_b32_e32 v6, v7, v78, vcc_lo
; %bb.104:
	s_or_b32 exec_lo, exec_lo, s2
	v_and_b32_e32 v7, 0x7f800000, v79
	s_delay_alu instid0(VALU_DEP_1) | instskip(SKIP_1) | instid1(SALU_CYCLE_1)
	v_cmp_ne_u32_e32 vcc_lo, 0x7f800000, v7
                                        ; implicit-def: $vgpr7
	s_and_saveexec_b32 s2, vcc_lo
	s_xor_b32 s2, exec_lo, s2
; %bb.105:
	v_bfe_u32 v7, v79, 16, 1
	s_delay_alu instid0(VALU_DEP_1)
	v_add3_u32 v7, v79, v7, 0x7fff
; %bb.106:
	s_and_not1_saveexec_b32 s2, s2
; %bb.107:
	v_and_b32_e32 v7, 0xffff, v79
	v_or_b32_e32 v8, 0x10000, v79
	s_delay_alu instid0(VALU_DEP_2) | instskip(NEXT) | instid1(VALU_DEP_2)
	v_cmp_eq_u32_e32 vcc_lo, 0, v7
	v_cndmask_b32_e32 v7, v8, v79, vcc_lo
; %bb.108:
	s_or_b32 exec_lo, exec_lo, s2
	v_and_b32_e32 v8, 0x7f800000, v80
	s_delay_alu instid0(VALU_DEP_1) | instskip(SKIP_1) | instid1(SALU_CYCLE_1)
	v_cmp_ne_u32_e32 vcc_lo, 0x7f800000, v8
                                        ; implicit-def: $vgpr8
	s_and_saveexec_b32 s2, vcc_lo
	s_xor_b32 s2, exec_lo, s2
; %bb.109:
	v_bfe_u32 v8, v80, 16, 1
	s_delay_alu instid0(VALU_DEP_1)
	v_add3_u32 v8, v80, v8, 0x7fff
                                        ; implicit-def: $vgpr73_vgpr74_vgpr75_vgpr76_vgpr77_vgpr78_vgpr79_vgpr80
; %bb.110:
	s_and_not1_saveexec_b32 s2, s2
; %bb.111:
	v_and_b32_e32 v8, 0xffff, v80
	v_or_b32_e32 v9, 0x10000, v80
	s_delay_alu instid0(VALU_DEP_2) | instskip(NEXT) | instid1(VALU_DEP_2)
	v_cmp_eq_u32_e32 vcc_lo, 0, v8
	v_cndmask_b32_e32 v8, v9, v80, vcc_lo
; %bb.112:
	s_or_b32 exec_lo, exec_lo, s2
	s_delay_alu instid0(VALU_DEP_1)
	v_perm_b32 v7, v8, v7, 0x7060302
	v_perm_b32 v6, v6, v5, 0x7060302
	;; [unrolled: 1-line block ×4, first 2 shown]
	v_lshl_or_b32 v9, v83, 4, v90
	s_barrier
	buffer_gl0_inv
	v_cmp_eq_u32_e32 vcc_lo, 1, v87
	ds_store_b128 v9, v[4:7]
	s_waitcnt lgkmcnt(0)
	s_barrier
	buffer_gl0_inv
	ds_load_b128 v[1:4], v90
	ds_load_b128 v[5:8], v90 offset:16
	v_cmp_eq_u32_e64 s3, 2, v87
	v_cmp_eq_u32_e64 s2, 1, v88
	;; [unrolled: 1-line block ×5, first 2 shown]
	s_waitcnt lgkmcnt(1)
	v_lshrrev_b32_e32 v10, 16, v1
	s_waitcnt lgkmcnt(0)
	v_lshrrev_b32_e32 v14, 16, v5
	v_lshrrev_b32_e32 v15, 16, v6
	;; [unrolled: 1-line block ×4, first 2 shown]
	v_cndmask_b32_e64 v20, v1, v10, s2
	v_cndmask_b32_e32 v19, v5, v14, vcc_lo
	v_cndmask_b32_e64 v21, v5, v14, s2
	v_lshrrev_b32_e32 v16, 16, v7
	v_cmp_eq_u32_e64 s2, 1, v86
	v_lshrrev_b32_e32 v13, 16, v4
	v_cndmask_b32_e64 v19, v19, v6, s3
	v_lshrrev_b32_e32 v17, 16, v8
	s_delay_alu instid0(VALU_DEP_4) | instskip(SKIP_1) | instid1(VALU_DEP_4)
	v_cndmask_b32_e64 v22, v1, v10, s2
	v_cndmask_b32_e64 v23, v5, v14, s2
	;; [unrolled: 1-line block ×3, first 2 shown]
	v_cndmask_b32_e32 v18, v1, v10, vcc_lo
	v_cmp_eq_u32_e32 vcc_lo, 2, v88
	v_cmp_eq_u32_e64 s2, 2, v89
	v_cndmask_b32_e64 v22, v22, v2, s6
	v_cndmask_b32_e32 v20, v20, v2, vcc_lo
	v_cndmask_b32_e32 v21, v21, v6, vcc_lo
	v_cmp_eq_u32_e32 vcc_lo, 4, v87
	v_cndmask_b32_e32 v19, v19, v7, vcc_lo
	v_cndmask_b32_e64 v18, v18, v2, s3
	v_cmp_eq_u32_e64 s3, 3, v88
	s_delay_alu instid0(VALU_DEP_2) | instskip(NEXT) | instid1(VALU_DEP_2)
	v_cndmask_b32_e64 v18, v18, v11, s4
	v_cndmask_b32_e64 v21, v21, v15, s3
	v_cmp_eq_u32_e64 s4, 5, v87
	s_delay_alu instid0(VALU_DEP_3) | instskip(SKIP_1) | instid1(VALU_DEP_3)
	v_cndmask_b32_e32 v18, v18, v3, vcc_lo
	v_cmp_eq_u32_e32 vcc_lo, 4, v88
	v_cndmask_b32_e64 v19, v19, v16, s4
	s_delay_alu instid0(VALU_DEP_3) | instskip(SKIP_4) | instid1(VALU_DEP_3)
	v_cndmask_b32_e64 v18, v18, v12, s4
	v_cndmask_b32_e32 v21, v21, v7, vcc_lo
	v_cndmask_b32_e64 v20, v20, v11, s3
	v_cmp_eq_u32_e64 s3, 5, v88
	v_cmp_eq_u32_e64 s4, 6, v87
	v_cndmask_b32_e32 v20, v20, v3, vcc_lo
	s_delay_alu instid0(VALU_DEP_3) | instskip(SKIP_1) | instid1(VALU_DEP_4)
	v_cndmask_b32_e64 v21, v21, v16, s3
	v_cmp_eq_u32_e32 vcc_lo, 6, v88
	v_cndmask_b32_e64 v18, v18, v4, s4
	v_cndmask_b32_e64 v19, v19, v8, s4
	;; [unrolled: 1-line block ×3, first 2 shown]
	v_cmp_eq_u32_e64 s3, 1, v89
	v_cmp_eq_u32_e64 s4, 7, v87
	s_delay_alu instid0(VALU_DEP_3) | instskip(NEXT) | instid1(VALU_DEP_3)
	v_cndmask_b32_e32 v20, v20, v4, vcc_lo
	v_cndmask_b32_e64 v1, v1, v10, s3
	v_cndmask_b32_e64 v5, v5, v14, s3
	v_cmp_eq_u32_e64 s3, 3, v86
	v_cndmask_b32_e64 v14, v23, v6, s6
	v_cmp_eq_u32_e64 s6, 3, v89
	v_cndmask_b32_e64 v1, v1, v2, s2
	v_cndmask_b32_e64 v2, v5, v6, s2
	;; [unrolled: 1-line block ×3, first 2 shown]
	v_cmp_eq_u32_e64 s2, 4, v86
	v_cndmask_b32_e64 v6, v14, v15, s3
	v_cndmask_b32_e64 v1, v1, v11, s6
	v_cmp_eq_u32_e64 s3, 4, v89
	v_cndmask_b32_e64 v2, v2, v15, s6
	v_cndmask_b32_e64 v5, v10, v3, s2
	;; [unrolled: 3-line block ×3, first 2 shown]
	v_cndmask_b32_e64 v2, v2, v7, s3
	v_cmp_eq_u32_e64 s2, 5, v89
	v_cndmask_b32_e64 v5, v5, v12, s6
	v_cmp_eq_u32_e64 s3, 6, v86
	;; [unrolled: 2-line block ×3, first 2 shown]
	v_cndmask_b32_e64 v1, v1, v12, s2
	v_cndmask_b32_e64 v2, v2, v16, s2
	;; [unrolled: 1-line block ×4, first 2 shown]
	v_cmp_eq_u32_e64 s2, 7, v89
	v_cndmask_b32_e64 v1, v1, v4, s6
	v_cndmask_b32_e64 v2, v2, v8, s6
	v_cmp_eq_u32_e64 s3, 7, v86
	v_cndmask_b32_e32 v4, v21, v8, vcc_lo
	v_cndmask_b32_e64 v18, v18, v13, s4
	v_cndmask_b32_e64 v20, v20, v13, s5
	;; [unrolled: 1-line block ×8, first 2 shown]
	s_mov_b32 s2, exec_lo
	v_perm_b32 v4, v2, v1, 0x5040100
	v_perm_b32 v3, v3, v5, 0x5040100
	;; [unrolled: 1-line block ×4, first 2 shown]
	ds_store_b128 v9, v[1:4]
	s_waitcnt lgkmcnt(0)
	s_barrier
	buffer_gl0_inv
	v_cmpx_gt_u32_e32 32, v0
	s_cbranch_execz .LBB743_2
; %bb.113:
	s_load_b64 s[0:1], s[0:1], 0x68
	v_lshlrev_b32_e32 v0, 10, v0
	s_lshl_b32 s4, s34, 7
	v_or_b32_e32 v3, s29, v83
	s_mul_i32 s2, s4, s30
	v_lshlrev_b32_e32 v1, 4, v84
	v_lshlrev_b32_e32 v2, 6, v83
	v_and_b32_e32 v0, 0x3800, v0
	s_mul_i32 s2, s2, s7
	v_mul_lo_u32 v8, v3, s4
	s_ashr_i32 s3, s2, 31
	s_delay_alu instid0(SALU_CYCLE_1)
	s_lshl_b64 s[2:3], s[2:3], 1
	v_or3_b32 v16, v0, v1, v2
	ds_load_b128 v[0:3], v16
	ds_load_b128 v[4:7], v16 offset:128
	v_ashrrev_i32_e32 v9, 31, v8
	s_waitcnt lgkmcnt(0)
	s_add_u32 s2, s0, s2
	s_addc_u32 s3, s1, s3
	s_lshl_b32 s0, s14, 7
	s_delay_alu instid0(SALU_CYCLE_1) | instskip(SKIP_2) | instid1(SALU_CYCLE_1)
	s_ashr_i32 s1, s0, 31
	v_lshlrev_b64 v[9:10], 1, v[8:9]
	s_lshl_b64 s[0:1], s[0:1], 1
	s_add_u32 s0, s2, s0
	s_addc_u32 s1, s3, s1
	s_lshl_b32 s2, s34, 8
	v_add_co_u32 v30, vcc_lo, s0, v81
	v_add_nc_u32_e32 v11, s2, v8
	v_add_co_ci_u32_e32 v31, vcc_lo, s1, v82, vcc_lo
	s_delay_alu instid0(VALU_DEP_3) | instskip(NEXT) | instid1(VALU_DEP_3)
	v_add_co_u32 v9, vcc_lo, v30, v9
	v_add_nc_u32_e32 v8, s2, v11
	s_delay_alu instid0(VALU_DEP_3) | instskip(SKIP_1) | instid1(VALU_DEP_3)
	v_add_co_ci_u32_e32 v10, vcc_lo, v31, v10, vcc_lo
	v_ashrrev_i32_e32 v12, 31, v11
	v_add_nc_u32_e32 v13, s2, v8
	global_store_b128 v[9:10], v[0:3], off
	v_ashrrev_i32_e32 v9, 31, v8
	v_lshlrev_b64 v[11:12], 1, v[11:12]
	v_ashrrev_i32_e32 v14, 31, v13
	v_add_nc_u32_e32 v10, s2, v13
	s_delay_alu instid0(VALU_DEP_4) | instskip(NEXT) | instid1(VALU_DEP_4)
	v_lshlrev_b64 v[2:3], 1, v[8:9]
	v_add_co_u32 v0, vcc_lo, v30, v11
	s_delay_alu instid0(VALU_DEP_4)
	v_lshlrev_b64 v[8:9], 1, v[13:14]
	v_add_co_ci_u32_e32 v1, vcc_lo, v31, v12, vcc_lo
	v_ashrrev_i32_e32 v11, 31, v10
	v_add_co_u32 v22, vcc_lo, v30, v2
	v_add_nc_u32_e32 v20, s2, v10
	v_add_co_ci_u32_e32 v23, vcc_lo, v31, v3, vcc_lo
	v_add_co_u32 v24, vcc_lo, v30, v8
	global_store_b128 v[0:1], v[4:7], off
	v_add_co_ci_u32_e32 v25, vcc_lo, v31, v9, vcc_lo
	ds_load_b128 v[0:3], v16 offset:256
	ds_load_b128 v[4:7], v16 offset:384
	v_lshlrev_b64 v[26:27], 1, v[10:11]
	ds_load_b128 v[8:11], v16 offset:512
	ds_load_b128 v[12:15], v16 offset:640
	;; [unrolled: 1-line block ×3, first 2 shown]
	v_add_nc_u32_e32 v28, s2, v20
	v_ashrrev_i32_e32 v21, 31, v20
	v_add_co_u32 v26, vcc_lo, v30, v26
	s_delay_alu instid0(VALU_DEP_3) | instskip(NEXT) | instid1(VALU_DEP_3)
	v_ashrrev_i32_e32 v29, 31, v28
	v_lshlrev_b64 v[20:21], 1, v[20:21]
	v_add_co_ci_u32_e32 v27, vcc_lo, v31, v27, vcc_lo
	s_delay_alu instid0(VALU_DEP_3) | instskip(NEXT) | instid1(VALU_DEP_3)
	v_lshlrev_b64 v[28:29], 1, v[28:29]
	v_add_co_u32 v20, vcc_lo, v30, v20
	s_delay_alu instid0(VALU_DEP_4) | instskip(NEXT) | instid1(VALU_DEP_3)
	v_add_co_ci_u32_e32 v21, vcc_lo, v31, v21, vcc_lo
	v_add_co_u32 v28, vcc_lo, v30, v28
	s_delay_alu instid0(VALU_DEP_4)
	v_add_co_ci_u32_e32 v29, vcc_lo, v31, v29, vcc_lo
	s_waitcnt lgkmcnt(4)
	global_store_b128 v[22:23], v[0:3], off
	s_waitcnt lgkmcnt(3)
	global_store_b128 v[24:25], v[4:7], off
	;; [unrolled: 2-line block ×5, first 2 shown]
	s_nop 0
	s_sendmsg sendmsg(MSG_DEALLOC_VGPRS)
	s_endpgm
	.section	.rodata,"a",@progbits
	.p2align	6, 0x0
	.amdhsa_kernel _Z39paged_attention_ll4mi_QKV_mfma16_kernelI14__hip_bfloat16S0_LN4vllm18Fp8KVCacheDataTypeE0ES0_Li32ELi128ELi256ELb1ELi14EL8MFMAType0EEvPKT_PKT0_S9_ifPKiSB_SB_iPKfiiiPfSE_PS4_PT2_iSD_SD_
		.amdhsa_group_segment_fixed_size 17472
		.amdhsa_private_segment_fixed_size 0
		.amdhsa_kernarg_size 400
		.amdhsa_user_sgpr_count 13
		.amdhsa_user_sgpr_dispatch_ptr 0
		.amdhsa_user_sgpr_queue_ptr 0
		.amdhsa_user_sgpr_kernarg_segment_ptr 1
		.amdhsa_user_sgpr_dispatch_id 0
		.amdhsa_user_sgpr_private_segment_size 0
		.amdhsa_wavefront_size32 1
		.amdhsa_uses_dynamic_stack 0
		.amdhsa_enable_private_segment 0
		.amdhsa_system_sgpr_workgroup_id_x 1
		.amdhsa_system_sgpr_workgroup_id_y 1
		.amdhsa_system_sgpr_workgroup_id_z 1
		.amdhsa_system_sgpr_workgroup_info 0
		.amdhsa_system_vgpr_workitem_id 0
		.amdhsa_next_free_vgpr 157
		.amdhsa_next_free_sgpr 40
		.amdhsa_reserve_vcc 1
		.amdhsa_float_round_mode_32 0
		.amdhsa_float_round_mode_16_64 0
		.amdhsa_float_denorm_mode_32 3
		.amdhsa_float_denorm_mode_16_64 3
		.amdhsa_dx10_clamp 1
		.amdhsa_ieee_mode 1
		.amdhsa_fp16_overflow 0
		.amdhsa_workgroup_processor_mode 1
		.amdhsa_memory_ordered 1
		.amdhsa_forward_progress 0
		.amdhsa_shared_vgpr_count 0
		.amdhsa_exception_fp_ieee_invalid_op 0
		.amdhsa_exception_fp_denorm_src 0
		.amdhsa_exception_fp_ieee_div_zero 0
		.amdhsa_exception_fp_ieee_overflow 0
		.amdhsa_exception_fp_ieee_underflow 0
		.amdhsa_exception_fp_ieee_inexact 0
		.amdhsa_exception_int_div_zero 0
	.end_amdhsa_kernel
	.section	.text._Z39paged_attention_ll4mi_QKV_mfma16_kernelI14__hip_bfloat16S0_LN4vllm18Fp8KVCacheDataTypeE0ES0_Li32ELi128ELi256ELb1ELi14EL8MFMAType0EEvPKT_PKT0_S9_ifPKiSB_SB_iPKfiiiPfSE_PS4_PT2_iSD_SD_,"axG",@progbits,_Z39paged_attention_ll4mi_QKV_mfma16_kernelI14__hip_bfloat16S0_LN4vllm18Fp8KVCacheDataTypeE0ES0_Li32ELi128ELi256ELb1ELi14EL8MFMAType0EEvPKT_PKT0_S9_ifPKiSB_SB_iPKfiiiPfSE_PS4_PT2_iSD_SD_,comdat
.Lfunc_end743:
	.size	_Z39paged_attention_ll4mi_QKV_mfma16_kernelI14__hip_bfloat16S0_LN4vllm18Fp8KVCacheDataTypeE0ES0_Li32ELi128ELi256ELb1ELi14EL8MFMAType0EEvPKT_PKT0_S9_ifPKiSB_SB_iPKfiiiPfSE_PS4_PT2_iSD_SD_, .Lfunc_end743-_Z39paged_attention_ll4mi_QKV_mfma16_kernelI14__hip_bfloat16S0_LN4vllm18Fp8KVCacheDataTypeE0ES0_Li32ELi128ELi256ELb1ELi14EL8MFMAType0EEvPKT_PKT0_S9_ifPKiSB_SB_iPKfiiiPfSE_PS4_PT2_iSD_SD_
                                        ; -- End function
	.section	.AMDGPU.csdata,"",@progbits
; Kernel info:
; codeLenInByte = 9916
; NumSgprs: 42
; NumVgprs: 157
; ScratchSize: 0
; MemoryBound: 0
; FloatMode: 240
; IeeeMode: 1
; LDSByteSize: 17472 bytes/workgroup (compile time only)
; SGPRBlocks: 5
; VGPRBlocks: 19
; NumSGPRsForWavesPerEU: 42
; NumVGPRsForWavesPerEU: 157
; Occupancy: 9
; WaveLimiterHint : 1
; COMPUTE_PGM_RSRC2:SCRATCH_EN: 0
; COMPUTE_PGM_RSRC2:USER_SGPR: 13
; COMPUTE_PGM_RSRC2:TRAP_HANDLER: 0
; COMPUTE_PGM_RSRC2:TGID_X_EN: 1
; COMPUTE_PGM_RSRC2:TGID_Y_EN: 1
; COMPUTE_PGM_RSRC2:TGID_Z_EN: 1
; COMPUTE_PGM_RSRC2:TIDIG_COMP_CNT: 0
	.section	.text._Z39paged_attention_ll4mi_QKV_mfma16_kernelI14__hip_bfloat16S0_LN4vllm18Fp8KVCacheDataTypeE0ES0_Li32ELi128ELi256ELb1ELi15EL8MFMAType0EEvPKT_PKT0_S9_ifPKiSB_SB_iPKfiiiPfSE_PS4_PT2_iSD_SD_,"axG",@progbits,_Z39paged_attention_ll4mi_QKV_mfma16_kernelI14__hip_bfloat16S0_LN4vllm18Fp8KVCacheDataTypeE0ES0_Li32ELi128ELi256ELb1ELi15EL8MFMAType0EEvPKT_PKT0_S9_ifPKiSB_SB_iPKfiiiPfSE_PS4_PT2_iSD_SD_,comdat
	.protected	_Z39paged_attention_ll4mi_QKV_mfma16_kernelI14__hip_bfloat16S0_LN4vllm18Fp8KVCacheDataTypeE0ES0_Li32ELi128ELi256ELb1ELi15EL8MFMAType0EEvPKT_PKT0_S9_ifPKiSB_SB_iPKfiiiPfSE_PS4_PT2_iSD_SD_ ; -- Begin function _Z39paged_attention_ll4mi_QKV_mfma16_kernelI14__hip_bfloat16S0_LN4vllm18Fp8KVCacheDataTypeE0ES0_Li32ELi128ELi256ELb1ELi15EL8MFMAType0EEvPKT_PKT0_S9_ifPKiSB_SB_iPKfiiiPfSE_PS4_PT2_iSD_SD_
	.globl	_Z39paged_attention_ll4mi_QKV_mfma16_kernelI14__hip_bfloat16S0_LN4vllm18Fp8KVCacheDataTypeE0ES0_Li32ELi128ELi256ELb1ELi15EL8MFMAType0EEvPKT_PKT0_S9_ifPKiSB_SB_iPKfiiiPfSE_PS4_PT2_iSD_SD_
	.p2align	8
	.type	_Z39paged_attention_ll4mi_QKV_mfma16_kernelI14__hip_bfloat16S0_LN4vllm18Fp8KVCacheDataTypeE0ES0_Li32ELi128ELi256ELb1ELi15EL8MFMAType0EEvPKT_PKT0_S9_ifPKiSB_SB_iPKfiiiPfSE_PS4_PT2_iSD_SD_,@function
_Z39paged_attention_ll4mi_QKV_mfma16_kernelI14__hip_bfloat16S0_LN4vllm18Fp8KVCacheDataTypeE0ES0_Li32ELi128ELi256ELb1ELi15EL8MFMAType0EEvPKT_PKT0_S9_ifPKiSB_SB_iPKfiiiPfSE_PS4_PT2_iSD_SD_: ; @_Z39paged_attention_ll4mi_QKV_mfma16_kernelI14__hip_bfloat16S0_LN4vllm18Fp8KVCacheDataTypeE0ES0_Li32ELi128ELi256ELb1ELi15EL8MFMAType0EEvPKT_PKT0_S9_ifPKiSB_SB_iPKfiiiPfSE_PS4_PT2_iSD_SD_
; %bb.0:
	s_load_b64 s[2:3], s[0:1], 0x30
	s_mov_b32 s30, s13
	s_waitcnt lgkmcnt(0)
	s_cmp_lg_u64 s[2:3], 0
	s_cselect_b32 s6, -1, 0
	s_ashr_i32 s31, s13, 31
	s_cmp_eq_u64 s[2:3], 0
	s_cbranch_scc1 .LBB744_3
; %bb.1:
	s_lshl_b64 s[4:5], s[30:31], 2
	s_delay_alu instid0(SALU_CYCLE_1) | instskip(SKIP_4) | instid1(SALU_CYCLE_1)
	s_add_u32 s4, s2, s4
	s_addc_u32 s5, s3, s5
	s_load_b64 s[4:5], s[4:5], 0x0
	s_waitcnt lgkmcnt(0)
	s_sub_i32 s4, s5, s4
	s_cmp_eq_u32 s4, 1
	s_cselect_b32 s4, -1, 0
	s_delay_alu instid0(SALU_CYCLE_1)
	s_and_not1_b32 vcc_lo, exec_lo, s4
	s_cbranch_vccz .LBB744_4
.LBB744_2:
	s_nop 0
	s_sendmsg sendmsg(MSG_DEALLOC_VGPRS)
	s_endpgm
.LBB744_3:
.LBB744_4:
	s_load_b64 s[8:9], s[0:1], 0x28
	s_lshl_b64 s[4:5], s[30:31], 2
	s_waitcnt lgkmcnt(0)
	s_add_u32 s8, s8, s4
	s_addc_u32 s9, s9, s5
	s_lshl_b32 s12, s14, 8
	s_load_b32 s17, s[8:9], 0x0
	s_waitcnt lgkmcnt(0)
	s_cmp_ge_i32 s12, s17
	s_cbranch_scc1 .LBB744_2
; %bb.5:
	s_and_not1_b32 vcc_lo, exec_lo, s6
	s_cbranch_vccnz .LBB744_7
; %bb.6:
	s_add_u32 s2, s2, s4
	s_addc_u32 s3, s3, s5
	s_load_b32 s13, s[2:3], 0x0
	s_branch .LBB744_8
.LBB744_7:
	s_mov_b32 s13, s30
.LBB744_8:
	s_clause 0x2
	s_load_b128 s[8:11], s[0:1], 0x8
	s_load_b64 s[2:3], s[0:1], 0x20
	s_load_b128 s[4:7], s[0:1], 0x48
	v_lshrrev_b32_e32 v74, 5, v0
	v_bfe_u32 v83, v0, 4, 1
	v_and_b32_e32 v73, 15, v0
	s_waitcnt lgkmcnt(0)
	s_mov_b32 s7, exec_lo
	s_delay_alu instid0(VALU_DEP_2) | instskip(NEXT) | instid1(VALU_DEP_2)
	v_lshl_or_b32 v3, v74, 1, v83
	v_lshlrev_b32_e32 v1, 3, v73
	s_delay_alu instid0(VALU_DEP_2)
	v_cmpx_lt_u32_e32 14, v3
	s_xor_b32 s7, exec_lo, s7
; %bb.9:
	v_mov_b32_e32 v2, 0
                                        ; implicit-def: $vgpr3
; %bb.10:
	s_or_saveexec_b32 s7, s7
	v_and_b32_e32 v75, 31, v0
	v_and_b32_e32 v84, 1, v0
	s_mul_i32 s31, s15, 15
	s_xor_b32 exec_lo, exec_lo, s7
	s_cbranch_execz .LBB744_12
; %bb.11:
	s_load_b64 s[18:19], s[0:1], 0x0
	v_add_lshl_u32 v4, v3, s31, 7
	s_mul_hi_i32 s21, s13, s4
	s_mul_i32 s20, s13, s4
	v_lshlrev_b32_e32 v2, 1, v1
	s_lshl_b64 s[20:21], s[20:21], 1
	v_ashrrev_i32_e32 v5, 31, v4
	v_lshlrev_b32_e32 v3, 6, v3
	v_lshlrev_b32_e32 v8, 10, v84
	s_delay_alu instid0(VALU_DEP_3) | instskip(SKIP_3) | instid1(VALU_DEP_1)
	v_lshlrev_b64 v[4:5], 1, v[4:5]
	s_waitcnt lgkmcnt(0)
	s_add_u32 s4, s18, s20
	s_addc_u32 s13, s19, s21
	v_add_co_u32 v4, vcc_lo, s4, v4
	s_delay_alu instid0(VALU_DEP_2) | instskip(NEXT) | instid1(VALU_DEP_2)
	v_add_co_ci_u32_e32 v5, vcc_lo, s13, v5, vcc_lo
	v_add_co_u32 v4, vcc_lo, v4, v2
	s_delay_alu instid0(VALU_DEP_2) | instskip(SKIP_3) | instid1(VALU_DEP_1)
	v_add_co_ci_u32_e32 v5, vcc_lo, 0, v5, vcc_lo
	v_lshlrev_b32_e32 v2, 10, v73
	global_load_b128 v[4:7], v[4:5], off
	v_and_b32_e32 v2, 0x3800, v2
	v_or3_b32 v3, v2, v8, v3
	v_mov_b32_e32 v2, 0
	s_waitcnt vmcnt(0)
	ds_store_b128 v3, v[4:7]
.LBB744_12:
	s_or_b32 exec_lo, exec_lo, s7
	v_and_b32_e32 v3, 0xef, v0
	s_add_i32 s4, s17, 31
	s_clause 0x1
	s_load_b32 s7, s[0:1], 0x38
	s_load_b32 s18, s[0:1], 0x1c
	s_ashr_i32 s13, s4, 31
	v_add_nc_u32_e32 v3, s12, v3
	s_lshr_b32 s13, s13, 27
	s_waitcnt lgkmcnt(0)
	s_add_i32 s4, s4, s13
	s_barrier
	v_ashrrev_i32_e32 v4, 31, v3
	v_cmp_gt_i32_e32 vcc_lo, s17, v3
	s_ashr_i32 s4, s4, 5
	buffer_gl0_inv
	s_add_i32 s4, s4, -1
	v_lshrrev_b32_e32 v5, 27, v4
	v_or_b32_e32 v4, 16, v3
	v_lshlrev_b64 v[81:82], 1, v[1:2]
	s_delay_alu instid0(VALU_DEP_3) | instskip(NEXT) | instid1(VALU_DEP_3)
	v_add_nc_u32_e32 v6, v3, v5
	v_add_nc_u32_e32 v5, v4, v5
	s_mul_i32 s20, s30, s7
	s_delay_alu instid0(SALU_CYCLE_1) | instskip(NEXT) | instid1(VALU_DEP_2)
	s_ashr_i32 s21, s20, 31
	v_ashrrev_i32_e32 v6, 5, v6
	s_delay_alu instid0(VALU_DEP_2) | instskip(SKIP_1) | instid1(SALU_CYCLE_1)
	v_ashrrev_i32_e32 v5, 5, v5
	s_lshl_b64 s[20:21], s[20:21], 2
	s_add_u32 s7, s2, s20
	s_delay_alu instid0(VALU_DEP_2) | instskip(SKIP_3) | instid1(SALU_CYCLE_1)
	v_cndmask_b32_e32 v3, s4, v6, vcc_lo
	v_cmp_gt_i32_e32 vcc_lo, s17, v4
	s_addc_u32 s13, s3, s21
	s_mul_i32 s2, s15, s6
	s_ashr_i32 s3, s2, 31
	v_cndmask_b32_e32 v5, s4, v5, vcc_lo
	v_ashrrev_i32_e32 v4, 31, v3
	s_lshl_b64 s[2:3], s[2:3], 1
	s_delay_alu instid0(SALU_CYCLE_1) | instskip(NEXT) | instid1(VALU_DEP_2)
	s_add_u32 s6, s8, s2
	v_ashrrev_i32_e32 v6, 31, v5
	s_delay_alu instid0(VALU_DEP_2) | instskip(SKIP_2) | instid1(VALU_DEP_2)
	v_lshlrev_b64 v[3:4], 2, v[3:4]
	s_addc_u32 s15, s9, s3
	s_lshl_b32 s8, s14, 3
	v_lshlrev_b64 v[5:6], 2, v[5:6]
	s_ashr_i32 s9, s8, 31
	s_delay_alu instid0(VALU_DEP_2) | instskip(SKIP_1) | instid1(VALU_DEP_3)
	v_add_co_u32 v3, vcc_lo, s7, v3
	v_add_co_ci_u32_e32 v4, vcc_lo, s13, v4, vcc_lo
	v_add_co_u32 v5, vcc_lo, s7, v5
	s_delay_alu instid0(VALU_DEP_4)
	v_add_co_ci_u32_e32 v6, vcc_lo, s13, v6, vcc_lo
	s_lshl_b64 s[8:9], s[8:9], 2
	s_clause 0x1
	global_load_b32 v7, v[3:4], off
	global_load_b32 v8, v[5:6], off
	s_add_u32 s8, s7, s8
	s_addc_u32 s9, s13, s9
	s_or_b32 s16, s12, 32
	s_delay_alu instid0(SALU_CYCLE_1) | instskip(SKIP_2) | instid1(SALU_CYCLE_1)
	s_ashr_i32 s19, s16, 5
	s_cmp_lt_i32 s16, s17
	s_cselect_b32 s20, s19, s4
	s_ashr_i32 s21, s20, 31
	s_delay_alu instid0(SALU_CYCLE_1) | instskip(NEXT) | instid1(SALU_CYCLE_1)
	s_lshl_b64 s[20:21], s[20:21], 2
	s_add_u32 s20, s7, s20
	s_addc_u32 s21, s13, s21
	s_or_b32 s16, s12, 64
	s_delay_alu instid0(SALU_CYCLE_1) | instskip(SKIP_2) | instid1(SALU_CYCLE_1)
	s_ashr_i32 s19, s16, 5
	s_cmp_lt_i32 s16, s17
	s_cselect_b32 s22, s19, s4
	s_ashr_i32 s23, s22, 31
	s_delay_alu instid0(SALU_CYCLE_1) | instskip(NEXT) | instid1(SALU_CYCLE_1)
	s_lshl_b64 s[22:23], s[22:23], 2
	;; [unrolled: 10-line block ×5, first 2 shown]
	s_add_u32 s28, s7, s28
	s_addc_u32 s29, s13, s29
	s_clause 0x5
	s_load_b32 s16, s[8:9], 0x0
	s_load_b32 s19, s[20:21], 0x0
	s_load_b32 s33, s[22:23], 0x0
	s_load_b32 s34, s[24:25], 0x0
	s_load_b32 s35, s[26:27], 0x0
	s_load_b32 s36, s[28:29], 0x0
	s_mov_b32 s20, 0
	s_delay_alu instid0(SALU_CYCLE_1)
	s_mov_b32 s27, s20
	s_mov_b32 s21, s20
	;; [unrolled: 1-line block ×7, first 2 shown]
	s_delay_alu instid0(SALU_CYCLE_1)
	v_dual_mov_b32 v108, s27 :: v_dual_mov_b32 v107, s26
	v_dual_mov_b32 v106, s25 :: v_dual_mov_b32 v105, s24
	;; [unrolled: 1-line block ×4, first 2 shown]
	s_waitcnt lgkmcnt(0)
	s_mul_hi_i32 s29, s34, s5
	s_mul_i32 s28, s34, s5
	s_mul_hi_i32 s21, s16, s5
	s_mul_i32 s20, s16, s5
	;; [unrolled: 2-line block ×5, first 2 shown]
	s_waitcnt vmcnt(1)
	v_mad_i64_i32 v[3:4], null, v7, s5, 0
	s_waitcnt vmcnt(0)
	v_mad_i64_i32 v[5:6], null, v8, s5, 0
	s_delay_alu instid0(VALU_DEP_2) | instskip(NEXT) | instid1(VALU_DEP_2)
	v_lshlrev_b64 v[3:4], 1, v[3:4]
	v_lshlrev_b64 v[1:2], 1, v[5:6]
	s_delay_alu instid0(VALU_DEP_2) | instskip(NEXT) | instid1(VALU_DEP_3)
	v_add_co_u32 v3, vcc_lo, s6, v3
	v_add_co_ci_u32_e32 v4, vcc_lo, s15, v4, vcc_lo
	s_delay_alu instid0(VALU_DEP_3) | instskip(NEXT) | instid1(VALU_DEP_4)
	v_add_co_u32 v1, vcc_lo, s6, v1
	v_add_co_ci_u32_e32 v2, vcc_lo, s15, v2, vcc_lo
	s_delay_alu instid0(VALU_DEP_4) | instskip(NEXT) | instid1(VALU_DEP_4)
	v_add_co_u32 v65, vcc_lo, v3, v81
	v_add_co_ci_u32_e32 v66, vcc_lo, v4, v82, vcc_lo
	s_delay_alu instid0(VALU_DEP_4) | instskip(NEXT) | instid1(VALU_DEP_4)
	v_add_co_u32 v76, vcc_lo, v1, v81
	v_add_co_ci_u32_e32 v77, vcc_lo, v2, v82, vcc_lo
	s_clause 0xf
	global_load_b128 v[1:4], v[65:66], off
	global_load_b128 v[5:8], v[65:66], off offset:512
	global_load_b128 v[9:12], v[76:77], off offset:256
	;; [unrolled: 1-line block ×15, first 2 shown]
	v_add_co_u32 v78, vcc_lo, 0x1000, v65
	v_add_co_ci_u32_e32 v79, vcc_lo, 0, v66, vcc_lo
	v_cmp_ne_u32_e32 vcc_lo, 15, v73
	s_clause 0x1
	global_load_b128 v[65:68], v[78:79], off
	global_load_b128 v[69:72], v[78:79], off offset:512
	s_or_b32 s6, s12, 0xc0
	v_cndmask_b32_e32 v80, 0, v73, vcc_lo
	v_add_co_u32 v76, vcc_lo, 0x1000, v76
	v_add_co_ci_u32_e32 v77, vcc_lo, 0, v77, vcc_lo
	s_delay_alu instid0(VALU_DEP_3)
	v_lshlrev_b32_e32 v80, 6, v80
	ds_load_b128 v[85:88], v80
	ds_load_b128 v[89:92], v80 offset:1024
	s_clause 0x1
	global_load_b128 v[93:96], v[76:77], off offset:256
	global_load_b128 v[97:100], v[76:77], off offset:768
	ds_load_b128 v[109:112], v80 offset:2048
	ds_load_b128 v[113:116], v80 offset:3072
	s_ashr_i32 s8, s6, 5
	s_cmp_lt_i32 s6, s17
	s_cselect_b32 s8, s8, s4
	s_delay_alu instid0(SALU_CYCLE_1) | instskip(NEXT) | instid1(SALU_CYCLE_1)
	s_ashr_i32 s9, s8, 31
	s_lshl_b64 s[8:9], s[8:9], 2
	s_delay_alu instid0(SALU_CYCLE_1) | instskip(SKIP_2) | instid1(SALU_CYCLE_1)
	s_add_u32 s8, s7, s8
	s_addc_u32 s9, s13, s9
	s_or_b32 s6, s12, 0xe0
	s_ashr_i32 s15, s6, 5
	s_cmp_lt_i32 s6, s17
	s_cselect_b32 s24, s15, s4
	s_delay_alu instid0(SALU_CYCLE_1) | instskip(NEXT) | instid1(SALU_CYCLE_1)
	s_ashr_i32 s25, s24, 31
	s_lshl_b64 s[24:25], s[24:25], 2
	s_delay_alu instid0(SALU_CYCLE_1) | instskip(SKIP_2) | instid1(SALU_CYCLE_1)
	s_add_u32 s24, s7, s24
	s_addc_u32 s25, s13, s25
	s_add_i32 s6, s12, 0x100
	s_ashr_i32 s15, s6, 5
	s_cmp_lt_i32 s6, s17
	s_cselect_b32 s34, s15, s4
	s_waitcnt vmcnt(18) lgkmcnt(2)
	v_wmma_f32_16x16x16_bf16 v[117:124], v[1:8], v[85:92], v[101:108]
	s_waitcnt vmcnt(16)
	v_wmma_f32_16x16x16_bf16 v[101:108], v[9:16], v[85:92], v[101:108]
	s_clause 0x3
	global_load_b128 v[1:4], v[78:79], off offset:1024
	global_load_b128 v[5:8], v[78:79], off offset:1536
	;; [unrolled: 1-line block ×4, first 2 shown]
	s_waitcnt vmcnt(18) lgkmcnt(0)
	v_wmma_f32_16x16x16_bf16 v[117:124], v[17:24], v[109:116], v[117:124]
	s_clause 0x1
	global_load_b128 v[17:20], v[78:79], off offset:2048
	global_load_b128 v[21:24], v[78:79], off offset:2560
	s_waitcnt vmcnt(18)
	v_wmma_f32_16x16x16_bf16 v[101:108], v[25:32], v[109:116], v[101:108]
	ds_load_b128 v[25:28], v80 offset:4096
	ds_load_b128 v[29:32], v80 offset:5120
	s_clause 0x5
	global_load_b128 v[109:112], v[76:77], off offset:2304
	global_load_b128 v[113:116], v[76:77], off offset:2816
	;; [unrolled: 1-line block ×6, first 2 shown]
	s_waitcnt vmcnt(22) lgkmcnt(0)
	v_wmma_f32_16x16x16_bf16 v[117:124], v[33:40], v[25:32], v[117:124]
	s_waitcnt vmcnt(20)
	v_wmma_f32_16x16x16_bf16 v[101:108], v[41:48], v[25:32], v[101:108]
	ds_load_b128 v[25:28], v80 offset:6144
	ds_load_b128 v[29:32], v80 offset:7168
	;; [unrolled: 1-line block ×4, first 2 shown]
	s_waitcnt vmcnt(18) lgkmcnt(2)
	v_wmma_f32_16x16x16_bf16 v[117:124], v[49:56], v[25:32], v[117:124]
	s_waitcnt vmcnt(16)
	v_wmma_f32_16x16x16_bf16 v[101:108], v[57:64], v[25:32], v[101:108]
	ds_load_b128 v[25:28], v80 offset:10240
	ds_load_b128 v[29:32], v80 offset:11264
	;; [unrolled: 1-line block ×6, first 2 shown]
	s_waitcnt vmcnt(14) lgkmcnt(6)
	v_wmma_f32_16x16x16_bf16 v[117:124], v[65:72], v[33:40], v[117:124]
	s_load_b32 s16, s[8:9], 0x0
	s_mul_hi_i32 s9, s35, s5
	s_mul_i32 s8, s35, s5
	s_ashr_i32 s35, s34, 31
	s_waitcnt vmcnt(12)
	v_wmma_f32_16x16x16_bf16 v[101:108], v[93:100], v[33:40], v[101:108]
	s_lshl_b64 s[34:35], s[34:35], 2
	s_delay_alu instid0(SALU_CYCLE_1)
	s_add_u32 s6, s7, s34
	s_addc_u32 s7, s13, s35
	s_add_u32 s4, s10, s2
	s_addc_u32 s19, s11, s3
	s_lshl_b64 s[2:3], s[20:21], 1
	s_clause 0x1
	s_load_b32 s13, s[24:25], 0x0
	s_load_b32 s15, s[6:7], 0x0
	s_lshl_b64 s[6:7], s[22:23], 1
	s_lshl_b64 s[10:11], s[26:27], 1
	s_lshl_b64 s[20:21], s[28:29], 1
	s_lshl_b64 s[8:9], s[8:9], 1
	s_lshl_b64 s[22:23], s[36:37], 1
	s_waitcnt lgkmcnt(0)
	s_mul_hi_i32 s25, s16, s5
	s_mul_i32 s24, s16, s5
	s_waitcnt vmcnt(10)
	v_wmma_f32_16x16x16_bf16 v[117:124], v[1:8], v[25:32], v[117:124]
	s_waitcnt vmcnt(8)
	v_wmma_f32_16x16x16_bf16 v[101:108], v[9:16], v[25:32], v[101:108]
	s_waitcnt vmcnt(6)
	s_delay_alu instid0(VALU_DEP_2) | instskip(SKIP_1) | instid1(VALU_DEP_2)
	v_wmma_f32_16x16x16_bf16 v[117:124], v[17:24], v[141:148], v[117:124]
	s_waitcnt vmcnt(4)
	v_wmma_f32_16x16x16_bf16 v[101:108], v[109:116], v[141:148], v[101:108]
	s_waitcnt vmcnt(2)
	s_delay_alu instid0(VALU_DEP_2) | instskip(SKIP_3) | instid1(VALU_DEP_3)
	v_wmma_f32_16x16x16_bf16 v[117:124], v[125:132], v[149:156], v[117:124]
	v_lshlrev_b32_e32 v85, 6, v73
	s_waitcnt vmcnt(0)
	v_wmma_f32_16x16x16_bf16 v[101:108], v[133:140], v[149:156], v[101:108]
	v_mul_f32_e32 v100, s18, v124
	s_delay_alu instid0(VALU_DEP_3) | instskip(SKIP_2) | instid1(VALU_DEP_3)
	v_lshl_or_b32 v41, v74, 10, v85
	v_mul_f32_e32 v97, s18, v117
	v_mul_f32_e32 v99, s18, v118
	v_add_co_u32 v76, s4, s4, v41
	s_delay_alu instid0(VALU_DEP_1) | instskip(NEXT) | instid1(VALU_DEP_2)
	v_add_co_ci_u32_e64 v77, null, s19, 0, s4
	v_add_co_u32 v41, vcc_lo, v76, s2
	s_delay_alu instid0(VALU_DEP_2)
	v_add_co_ci_u32_e32 v42, vcc_lo, s3, v77, vcc_lo
	v_add_co_u32 v33, vcc_lo, v76, s6
	v_add_co_ci_u32_e32 v34, vcc_lo, s7, v77, vcc_lo
	v_add_co_u32 v35, vcc_lo, v76, s10
	;; [unrolled: 2-line block ×5, first 2 shown]
	s_lshl_b64 s[2:3], s[24:25], 1
	v_add_co_ci_u32_e32 v6, vcc_lo, s23, v77, vcc_lo
	s_mul_hi_i32 s7, s13, s5
	s_mul_i32 s6, s13, s5
	v_add_co_u32 v17, vcc_lo, v76, s2
	v_add_co_ci_u32_e32 v18, vcc_lo, s3, v77, vcc_lo
	s_lshl_b64 s[2:3], s[6:7], 1
	s_mul_hi_i32 s7, s15, s5
	s_mul_i32 s6, s15, s5
	v_add_co_u32 v19, vcc_lo, v76, s2
	v_add_co_ci_u32_e32 v20, vcc_lo, s3, v77, vcc_lo
	s_lshl_b64 s[2:3], s[6:7], 1
	s_clause 0x1
	global_load_b128 v[65:68], v[41:42], off
	global_load_b128 v[69:72], v[41:42], off offset:16
	v_add_co_u32 v21, vcc_lo, v76, s2
	v_add_co_ci_u32_e32 v22, vcc_lo, s3, v77, vcc_lo
	s_clause 0xf
	global_load_b128 v[57:60], v[33:34], off
	global_load_b128 v[61:64], v[33:34], off offset:16
	global_load_b128 v[49:52], v[35:36], off
	global_load_b128 v[53:56], v[35:36], off offset:16
	;; [unrolled: 2-line block ×8, first 2 shown]
	v_mbcnt_lo_u32_b32 v77, -1, 0
	v_and_b32_e32 v76, 0xe0, v0
	s_waitcnt vmcnt(0)
	s_barrier
	buffer_gl0_inv
	v_xor_b32_e32 v78, 16, v77
	s_delay_alu instid0(VALU_DEP_1) | instskip(SKIP_1) | instid1(VALU_DEP_1)
	v_cmp_gt_i32_e32 vcc_lo, 32, v78
	v_dual_cndmask_b32 v77, v77, v78 :: v_dual_add_nc_u32 v76, s12, v76
	v_or_b32_e32 v76, v76, v83
	s_delay_alu instid0(VALU_DEP_1)
	v_or_b32_e32 v78, 2, v76
	v_or_b32_e32 v79, 4, v76
	v_or_b32_e32 v80, 6, v76
	v_cmp_gt_i32_e32 vcc_lo, s17, v76
	v_or_b32_e32 v86, 8, v76
	v_cmp_gt_i32_e64 s2, s17, v78
	v_or_b32_e32 v87, 10, v76
	v_or_b32_e32 v88, 12, v76
	;; [unrolled: 1-line block ×11, first 2 shown]
	v_cndmask_b32_e64 v78, 0xff7fffff, v99, s2
	v_mul_f32_e32 v99, s18, v120
	v_cmp_gt_i32_e64 s3, s17, v80
	v_mul_f32_e32 v80, s18, v119
	v_cndmask_b32_e32 v76, 0xff7fffff, v97, vcc_lo
	v_cmp_gt_i32_e64 s4, s17, v79
	v_mul_f32_e32 v79, s18, v122
	v_cmp_gt_i32_e64 s5, s17, v86
	v_cmp_gt_i32_e64 s6, s17, v87
	v_max3_f32 v76, v76, 0xff7fffff, v78
	v_mul_f32_e32 v78, s18, v121
	v_cndmask_b32_e64 v80, 0xff7fffff, v80, s4
	v_mul_f32_e32 v86, s18, v107
	v_cndmask_b32_e64 v99, 0xff7fffff, v99, s3
	;; [unrolled: 2-line block ×3, first 2 shown]
	v_cndmask_b32_e64 v79, 0xff7fffff, v79, s6
	v_cmp_gt_i32_e64 s7, s17, v89
	v_max3_f32 v76, v76, v80, v99
	v_mul_f32_e32 v80, s18, v108
	v_cmp_gt_i32_e64 s8, s17, v88
	v_dual_mul_f32 v99, s18, v105 :: v_dual_mul_f32 v88, s18, v102
	s_delay_alu instid0(VALU_DEP_4) | instskip(SKIP_1) | instid1(VALU_DEP_4)
	v_max3_f32 v76, v76, v78, v79
	v_mul_f32_e32 v89, s18, v101
	v_cndmask_b32_e64 v97, 0xff7fffff, v97, s8
	v_cndmask_b32_e64 v100, 0xff7fffff, v100, s7
	v_cmp_gt_i32_e64 s9, s17, v90
	v_cmp_gt_i32_e64 s10, s17, v91
	v_dual_mul_f32 v78, s18, v104 :: v_dual_mul_f32 v79, s18, v103
	s_delay_alu instid0(VALU_DEP_4) | instskip(NEXT) | instid1(VALU_DEP_4)
	v_max3_f32 v76, v76, v97, v100
	v_cndmask_b32_e64 v89, 0xff7fffff, v89, s9
	s_delay_alu instid0(VALU_DEP_4)
	v_cndmask_b32_e64 v88, 0xff7fffff, v88, s10
	v_cmp_gt_i32_e64 s11, s17, v92
	v_cmp_gt_i32_e64 s12, s17, v93
	v_mul_f32_e32 v87, s18, v106
	v_cmp_gt_i32_e64 s13, s17, v94
	v_max3_f32 v76, v76, v89, v88
	v_cndmask_b32_e64 v79, 0xff7fffff, v79, s11
	v_cndmask_b32_e64 v78, 0xff7fffff, v78, s12
	v_cmp_gt_i32_e64 s15, s17, v95
	v_cndmask_b32_e64 v88, 0xff7fffff, v99, s13
	v_cmp_gt_i32_e64 s16, s17, v96
	v_cmp_gt_i32_e64 s17, s17, v98
	v_max3_f32 v76, v76, v79, v78
	v_cndmask_b32_e64 v87, 0xff7fffff, v87, s15
	v_lshlrev_b32_e32 v99, 2, v77
	v_cndmask_b32_e64 v78, 0xff7fffff, v86, s16
	v_cndmask_b32_e64 v79, 0xff7fffff, v80, s17
	s_delay_alu instid0(VALU_DEP_4) | instskip(NEXT) | instid1(VALU_DEP_1)
	v_max3_f32 v76, v76, v88, v87
	v_max3_f32 v76, v76, v78, v79
	ds_bpermute_b32 v77, v99, v76
	s_waitcnt lgkmcnt(0)
	v_max_f32_e32 v77, v77, v77
	s_delay_alu instid0(VALU_DEP_1) | instskip(NEXT) | instid1(VALU_DEP_1)
	v_max_f32_e32 v76, v76, v77
	v_fma_f32 v80, s18, v120, -v76
	v_fma_f32 v77, s18, v117, -v76
	;; [unrolled: 1-line block ×5, first 2 shown]
	v_mul_f32_e32 v80, 0x3fb8aa3b, v80
	v_fma_f32 v87, s18, v123, -v76
	v_mul_f32_e32 v78, 0x3fb8aa3b, v78
	v_fma_f32 v88, s18, v105, -v76
	v_mul_f32_e32 v86, 0x3fb8aa3b, v86
	v_exp_f32_e32 v80, v80
	v_fma_f32 v90, s18, v107, -v76
	v_exp_f32_e32 v78, v78
	v_fma_f32 v100, s18, v108, -v76
	v_exp_f32_e32 v86, v86
	v_mul_f32_e32 v88, 0x3fb8aa3b, v88
	s_delay_alu instid0(VALU_DEP_2) | instskip(NEXT) | instid1(TRANS32_DEP_3)
	v_mul_f32_e32 v100, 0x3fb8aa3b, v100
	v_cndmask_b32_e64 v95, 0, v80, s3
	v_mul_f32_e32 v77, 0x3fb8aa3b, v77
	s_delay_alu instid0(TRANS32_DEP_2) | instskip(SKIP_1) | instid1(TRANS32_DEP_1)
	v_cndmask_b32_e64 v91, 0, v78, s2
	v_fma_f32 v80, s18, v101, -v76
	v_cndmask_b32_e64 v96, 0, v86, s5
	v_fma_f32 v86, s18, v102, -v76
	v_exp_f32_e32 v77, v77
	s_delay_alu instid0(VALU_DEP_3) | instskip(SKIP_1) | instid1(VALU_DEP_2)
	v_dual_mul_f32 v79, 0x3fb8aa3b, v79 :: v_dual_mul_f32 v80, 0x3fb8aa3b, v80
	v_exp_f32_e32 v88, v88
	v_mul_f32_e32 v86, 0x3fb8aa3b, v86
	v_cmp_gt_u32_e64 s2, 16, v75
	v_exp_f32_e32 v100, v100
	v_exp_f32_e32 v80, v80
	s_delay_alu instid0(VALU_DEP_2) | instskip(SKIP_3) | instid1(VALU_DEP_1)
	v_exp_f32_e32 v86, v86
	v_cndmask_b32_e32 v92, 0, v77, vcc_lo
	v_exp_f32_e32 v79, v79
	v_fma_f32 v77, s18, v122, -v76
	v_dual_add_f32 v78, 0, v92 :: v_dual_mul_f32 v77, 0x3fb8aa3b, v77
	s_delay_alu instid0(VALU_DEP_1)
	v_add_f32_e32 v78, v78, v91
	s_waitcnt_depctr 0xfff
	v_cndmask_b32_e64 v93, 0, v79, s4
	v_fma_f32 v79, s18, v124, -v76
	v_mul_f32_e32 v87, 0x3fb8aa3b, v87
	v_exp_f32_e32 v77, v77
	s_delay_alu instid0(VALU_DEP_2) | instskip(NEXT) | instid1(VALU_DEP_2)
	v_dual_add_f32 v78, v78, v93 :: v_dual_mul_f32 v79, 0x3fb8aa3b, v79
	v_exp_f32_e32 v87, v87
	s_delay_alu instid0(VALU_DEP_1) | instskip(NEXT) | instid1(VALU_DEP_2)
	v_add_f32_e32 v78, v78, v95
	v_exp_f32_e32 v79, v79
	s_delay_alu instid0(TRANS32_DEP_3) | instskip(NEXT) | instid1(VALU_DEP_2)
	v_cndmask_b32_e64 v97, 0, v77, s6
	v_add_f32_e32 v77, v78, v96
	v_fma_f32 v78, s18, v103, -v76
	s_waitcnt_depctr 0xfff
	v_cndmask_b32_e64 v94, 0, v87, s8
	v_fma_f32 v87, s18, v104, -v76
	v_dual_add_f32 v77, v77, v97 :: v_dual_mul_f32 v78, 0x3fb8aa3b, v78
	v_cndmask_b32_e64 v98, 0, v79, s7
	s_delay_alu instid0(VALU_DEP_2) | instskip(SKIP_4) | instid1(VALU_DEP_2)
	v_add_f32_e32 v79, v77, v94
	v_cndmask_b32_e64 v77, 0, v80, s9
	v_fma_f32 v80, s18, v106, -v76
	v_exp_f32_e32 v89, v78
	v_cndmask_b32_e64 v78, 0, v86, s10
	v_dual_add_f32 v79, v79, v98 :: v_dual_mul_f32 v80, 0x3fb8aa3b, v80
	s_delay_alu instid0(VALU_DEP_1) | instskip(NEXT) | instid1(VALU_DEP_1)
	v_dual_mul_f32 v87, 0x3fb8aa3b, v87 :: v_dual_add_f32 v86, v79, v77
	v_exp_f32_e32 v87, v87
	s_waitcnt_depctr 0xfff
	v_cndmask_b32_e64 v79, 0, v89, s11
	v_add_f32_e32 v86, v86, v78
	v_mul_f32_e32 v89, 0x3fb8aa3b, v90
	v_exp_f32_e32 v90, v80
	v_cndmask_b32_e64 v80, 0, v87, s12
	s_delay_alu instid0(VALU_DEP_3) | instskip(SKIP_1) | instid1(VALU_DEP_2)
	v_add_f32_e32 v87, v86, v79
	v_cndmask_b32_e64 v86, 0, v88, s13
	v_add_f32_e32 v88, v87, v80
	v_exp_f32_e32 v89, v89
	s_waitcnt_depctr 0xfff
	v_cndmask_b32_e64 v87, 0, v90, s15
	v_add_f32_e32 v90, v88, v86
	v_cndmask_b32_e64 v88, 0, v89, s16
	s_delay_alu instid0(VALU_DEP_2) | instskip(NEXT) | instid1(VALU_DEP_1)
	v_add_f32_e32 v89, v90, v87
	v_add_f32_e32 v90, v89, v88
	v_cndmask_b32_e64 v89, 0, v100, s17
	s_delay_alu instid0(VALU_DEP_1)
	v_add_f32_e32 v90, v90, v89
	ds_bpermute_b32 v99, v99, v90
	s_and_saveexec_b32 s3, s2
	s_cbranch_execz .LBB744_14
; %bb.13:
	v_mul_u32_u24_e32 v75, 0x44, v74
	s_waitcnt lgkmcnt(0)
	v_add_f32_e32 v90, v90, v99
	s_delay_alu instid0(VALU_DEP_2) | instskip(NEXT) | instid1(VALU_DEP_1)
	v_lshl_add_u32 v75, v73, 2, v75
	v_add_nc_u32_e32 v75, 0x4000, v75
	ds_store_2addr_b32 v75, v76, v90 offset1:136
.LBB744_14:
	s_or_b32 exec_lo, exec_lo, s3
	v_lshlrev_b32_e32 v75, 2, v73
	s_waitcnt lgkmcnt(0)
	s_barrier
	buffer_gl0_inv
	v_cmp_eq_u32_e64 s3, 1, v74
	v_add_nc_u32_e32 v90, 0x4000, v75
	ds_load_2addr_b32 v[99:100], v90 offset1:17
	ds_load_2addr_b32 v[101:102], v90 offset0:34 offset1:51
	ds_load_2addr_b32 v[103:104], v90 offset0:68 offset1:85
	;; [unrolled: 1-line block ×4, first 2 shown]
	s_waitcnt lgkmcnt(4)
	v_max3_f32 v75, v99, 0xff7fffff, v100
	s_waitcnt lgkmcnt(3)
	s_delay_alu instid0(VALU_DEP_1) | instskip(SKIP_1) | instid1(VALU_DEP_1)
	v_max3_f32 v75, v75, v101, v102
	s_waitcnt lgkmcnt(2)
	v_max3_f32 v75, v75, v103, v104
	s_waitcnt lgkmcnt(1)
	s_delay_alu instid0(VALU_DEP_1) | instskip(NEXT) | instid1(VALU_DEP_1)
	v_max3_f32 v75, v75, v105, v106
	v_sub_f32_e32 v109, v100, v75
	v_sub_f32_e32 v76, v99, v75
	ds_load_2addr_b32 v[99:100], v90 offset0:170 offset1:187
	v_sub_f32_e32 v101, v101, v75
	v_dual_mul_f32 v109, 0x3fb8aa3b, v109 :: v_dual_mul_f32 v76, 0x3fb8aa3b, v76
	s_delay_alu instid0(VALU_DEP_2) | instskip(NEXT) | instid1(VALU_DEP_2)
	v_mul_f32_e32 v111, 0x3fb8aa3b, v101
	v_exp_f32_e32 v109, v109
	s_delay_alu instid0(VALU_DEP_2)
	v_exp_f32_e32 v110, v76
	v_sub_f32_e32 v76, v102, v75
	ds_load_2addr_b32 v[101:102], v90 offset0:204 offset1:221
	v_exp_f32_e32 v111, v111
	v_mul_f32_e32 v112, 0x3fb8aa3b, v76
	s_waitcnt lgkmcnt(2)
	v_fma_f32 v76, v110, v107, 0
	v_sub_f32_e32 v103, v103, v75
	s_delay_alu instid0(VALU_DEP_3) | instskip(NEXT) | instid1(VALU_DEP_2)
	v_exp_f32_e32 v112, v112
	v_dual_sub_f32 v107, v104, v75 :: v_dual_fmac_f32 v76, v109, v108
	s_waitcnt lgkmcnt(1)
	s_waitcnt_depctr 0xfff
	v_fmac_f32_e32 v76, v111, v99
	v_mul_f32_e32 v113, 0x3fb8aa3b, v103
	ds_load_2addr_b32 v[103:104], v90 offset0:238 offset1:255
	v_sub_f32_e32 v90, v105, v75
	v_dual_sub_f32 v99, v106, v75 :: v_dual_fmac_f32 v76, v112, v100
	v_mul_f32_e32 v105, 0x3fb8aa3b, v107
	v_exp_f32_e32 v107, v113
	s_delay_alu instid0(VALU_DEP_2)
	v_dual_mul_f32 v90, 0x3fb8aa3b, v90 :: v_dual_mul_f32 v99, 0x3fb8aa3b, v99
	s_waitcnt lgkmcnt(0)
	s_barrier
	buffer_gl0_inv
	v_exp_f32_e32 v90, v90
	v_exp_f32_e32 v99, v99
	v_fmac_f32_e32 v76, v107, v101
	v_exp_f32_e32 v105, v105
	s_waitcnt_depctr 0xfff
	v_fmac_f32_e32 v76, v105, v102
	s_delay_alu instid0(VALU_DEP_1) | instskip(NEXT) | instid1(VALU_DEP_1)
	v_fmac_f32_e32 v76, v90, v103
	v_fmac_f32_e32 v76, v99, v104
	s_delay_alu instid0(VALU_DEP_1) | instskip(NEXT) | instid1(VALU_DEP_1)
	v_add_f32_e32 v100, 0x358637bd, v76
	v_div_scale_f32 v101, null, v100, v100, 1.0
	v_div_scale_f32 v104, vcc_lo, 1.0, v100, 1.0
	s_delay_alu instid0(VALU_DEP_2) | instskip(SKIP_2) | instid1(VALU_DEP_1)
	v_rcp_f32_e32 v102, v101
	s_waitcnt_depctr 0xfff
	v_fma_f32 v103, -v101, v102, 1.0
	v_fmac_f32_e32 v102, v103, v102
	v_cndmask_b32_e64 v103, v110, v109, s3
	v_cmp_eq_u32_e64 s3, 2, v74
	s_delay_alu instid0(VALU_DEP_3) | instskip(NEXT) | instid1(VALU_DEP_2)
	v_mul_f32_e32 v106, v104, v102
	v_cndmask_b32_e64 v103, v103, v111, s3
	v_cmp_eq_u32_e64 s3, 3, v74
	s_delay_alu instid0(VALU_DEP_3) | instskip(NEXT) | instid1(VALU_DEP_2)
	v_fma_f32 v108, -v101, v106, v104
	v_cndmask_b32_e64 v103, v103, v112, s3
	v_cmp_eq_u32_e64 s3, 4, v74
	s_delay_alu instid0(VALU_DEP_3) | instskip(NEXT) | instid1(VALU_DEP_2)
	v_fmac_f32_e32 v106, v108, v102
	v_cndmask_b32_e64 v103, v103, v107, s3
	s_delay_alu instid0(VALU_DEP_2) | instskip(SKIP_1) | instid1(VALU_DEP_2)
	v_fma_f32 v101, -v101, v106, v104
	v_cmp_eq_u32_e64 s3, 5, v74
	v_div_fmas_f32 v101, v101, v102, v106
	s_delay_alu instid0(VALU_DEP_2) | instskip(SKIP_2) | instid1(VALU_DEP_3)
	v_cndmask_b32_e64 v103, v103, v105, s3
	v_cmp_eq_u32_e32 vcc_lo, 6, v74
	s_mov_b32 s3, exec_lo
	v_div_fixup_f32 v100, v101, v100, 1.0
	s_delay_alu instid0(VALU_DEP_3) | instskip(SKIP_1) | instid1(VALU_DEP_2)
	v_cndmask_b32_e32 v90, v103, v90, vcc_lo
	v_cmp_eq_u32_e32 vcc_lo, 7, v74
	v_cndmask_b32_e32 v90, v90, v99, vcc_lo
	s_delay_alu instid0(VALU_DEP_1) | instskip(NEXT) | instid1(VALU_DEP_1)
	v_mul_f32_e32 v90, v90, v100
	v_mul_f32_e32 v100, v90, v92
	;; [unrolled: 1-line block ×6, first 2 shown]
	v_and_b32_e32 v101, 0x7f800000, v100
	v_mul_f32_e32 v99, v90, v95
	v_mul_f32_e32 v95, v90, v91
	;; [unrolled: 1-line block ×3, first 2 shown]
                                        ; implicit-def: $vgpr91
	s_delay_alu instid0(VALU_DEP_4)
	v_cmpx_ne_u32_e32 0x7f800000, v101
	s_xor_b32 s3, exec_lo, s3
; %bb.15:
	v_bfe_u32 v91, v100, 16, 1
	s_delay_alu instid0(VALU_DEP_1)
	v_add3_u32 v91, v100, v91, 0x7fff
                                        ; implicit-def: $vgpr100
; %bb.16:
	s_and_not1_saveexec_b32 s3, s3
; %bb.17:
	v_and_b32_e32 v91, 0xffff, v100
	v_or_b32_e32 v93, 0x10000, v100
	s_delay_alu instid0(VALU_DEP_2) | instskip(NEXT) | instid1(VALU_DEP_2)
	v_cmp_eq_u32_e32 vcc_lo, 0, v91
	v_cndmask_b32_e32 v91, v93, v100, vcc_lo
; %bb.18:
	s_or_b32 exec_lo, exec_lo, s3
	v_and_b32_e32 v93, 0x7f800000, v95
	s_delay_alu instid0(VALU_DEP_1) | instskip(SKIP_1) | instid1(SALU_CYCLE_1)
	v_cmp_ne_u32_e32 vcc_lo, 0x7f800000, v93
                                        ; implicit-def: $vgpr93
	s_and_saveexec_b32 s3, vcc_lo
	s_xor_b32 s3, exec_lo, s3
; %bb.19:
	v_bfe_u32 v93, v95, 16, 1
	s_delay_alu instid0(VALU_DEP_1)
	v_add3_u32 v93, v95, v93, 0x7fff
                                        ; implicit-def: $vgpr95
; %bb.20:
	s_and_not1_saveexec_b32 s3, s3
; %bb.21:
	v_and_b32_e32 v93, 0xffff, v95
	v_or_b32_e32 v100, 0x10000, v95
	s_delay_alu instid0(VALU_DEP_2) | instskip(NEXT) | instid1(VALU_DEP_2)
	v_cmp_eq_u32_e32 vcc_lo, 0, v93
	v_cndmask_b32_e32 v93, v100, v95, vcc_lo
; %bb.22:
	s_or_b32 exec_lo, exec_lo, s3
	v_and_b32_e32 v95, 0x7f800000, v96
	s_delay_alu instid0(VALU_DEP_1) | instskip(SKIP_1) | instid1(SALU_CYCLE_1)
	v_cmp_ne_u32_e32 vcc_lo, 0x7f800000, v95
                                        ; implicit-def: $vgpr95
	s_and_saveexec_b32 s3, vcc_lo
	s_xor_b32 s3, exec_lo, s3
; %bb.23:
	v_bfe_u32 v95, v96, 16, 1
	s_delay_alu instid0(VALU_DEP_1)
	v_add3_u32 v95, v96, v95, 0x7fff
                                        ; implicit-def: $vgpr96
; %bb.24:
	s_and_not1_saveexec_b32 s3, s3
; %bb.25:
	v_and_b32_e32 v95, 0xffff, v96
	v_or_b32_e32 v100, 0x10000, v96
	s_delay_alu instid0(VALU_DEP_2) | instskip(NEXT) | instid1(VALU_DEP_2)
	v_cmp_eq_u32_e32 vcc_lo, 0, v95
	v_cndmask_b32_e32 v95, v100, v96, vcc_lo
; %bb.26:
	s_or_b32 exec_lo, exec_lo, s3
	v_and_b32_e32 v96, 0x7f800000, v99
	s_delay_alu instid0(VALU_DEP_1) | instskip(SKIP_1) | instid1(SALU_CYCLE_1)
	v_cmp_ne_u32_e32 vcc_lo, 0x7f800000, v96
                                        ; implicit-def: $vgpr96
	s_and_saveexec_b32 s3, vcc_lo
	s_xor_b32 s3, exec_lo, s3
; %bb.27:
	v_bfe_u32 v96, v99, 16, 1
	s_delay_alu instid0(VALU_DEP_1)
	v_add3_u32 v96, v99, v96, 0x7fff
                                        ; implicit-def: $vgpr99
; %bb.28:
	s_and_not1_saveexec_b32 s3, s3
; %bb.29:
	v_and_b32_e32 v96, 0xffff, v99
	v_or_b32_e32 v100, 0x10000, v99
	s_delay_alu instid0(VALU_DEP_2) | instskip(NEXT) | instid1(VALU_DEP_2)
	v_cmp_eq_u32_e32 vcc_lo, 0, v96
	v_cndmask_b32_e32 v96, v100, v99, vcc_lo
; %bb.30:
	s_or_b32 exec_lo, exec_lo, s3
	v_and_b32_e32 v99, 0x7f800000, v98
	s_delay_alu instid0(VALU_DEP_1) | instskip(SKIP_1) | instid1(SALU_CYCLE_1)
	v_cmp_ne_u32_e32 vcc_lo, 0x7f800000, v99
                                        ; implicit-def: $vgpr99
	s_and_saveexec_b32 s3, vcc_lo
	s_xor_b32 s3, exec_lo, s3
; %bb.31:
	v_bfe_u32 v99, v98, 16, 1
	s_delay_alu instid0(VALU_DEP_1)
	v_add3_u32 v99, v98, v99, 0x7fff
                                        ; implicit-def: $vgpr98
; %bb.32:
	s_and_not1_saveexec_b32 s3, s3
; %bb.33:
	v_and_b32_e32 v99, 0xffff, v98
	v_or_b32_e32 v100, 0x10000, v98
	s_delay_alu instid0(VALU_DEP_2) | instskip(NEXT) | instid1(VALU_DEP_2)
	v_cmp_eq_u32_e32 vcc_lo, 0, v99
	v_cndmask_b32_e32 v99, v100, v98, vcc_lo
; %bb.34:
	s_or_b32 exec_lo, exec_lo, s3
	v_and_b32_e32 v98, 0x7f800000, v97
	s_delay_alu instid0(VALU_DEP_1) | instskip(SKIP_1) | instid1(SALU_CYCLE_1)
	v_cmp_ne_u32_e32 vcc_lo, 0x7f800000, v98
                                        ; implicit-def: $vgpr98
	s_and_saveexec_b32 s3, vcc_lo
	s_xor_b32 s3, exec_lo, s3
; %bb.35:
	v_bfe_u32 v98, v97, 16, 1
	s_delay_alu instid0(VALU_DEP_1)
	v_add3_u32 v98, v97, v98, 0x7fff
                                        ; implicit-def: $vgpr97
; %bb.36:
	s_and_not1_saveexec_b32 s3, s3
; %bb.37:
	v_and_b32_e32 v98, 0xffff, v97
	v_or_b32_e32 v100, 0x10000, v97
	s_delay_alu instid0(VALU_DEP_2) | instskip(NEXT) | instid1(VALU_DEP_2)
	v_cmp_eq_u32_e32 vcc_lo, 0, v98
	v_cndmask_b32_e32 v98, v100, v97, vcc_lo
; %bb.38:
	s_or_b32 exec_lo, exec_lo, s3
	v_and_b32_e32 v97, 0x7f800000, v94
	s_delay_alu instid0(VALU_DEP_1) | instskip(SKIP_1) | instid1(SALU_CYCLE_1)
	v_cmp_ne_u32_e32 vcc_lo, 0x7f800000, v97
                                        ; implicit-def: $vgpr97
	s_and_saveexec_b32 s3, vcc_lo
	s_xor_b32 s3, exec_lo, s3
; %bb.39:
	v_bfe_u32 v97, v94, 16, 1
	s_delay_alu instid0(VALU_DEP_1)
	v_add3_u32 v97, v94, v97, 0x7fff
                                        ; implicit-def: $vgpr94
; %bb.40:
	s_and_not1_saveexec_b32 s3, s3
; %bb.41:
	v_and_b32_e32 v97, 0xffff, v94
	v_or_b32_e32 v100, 0x10000, v94
	s_delay_alu instid0(VALU_DEP_2) | instskip(NEXT) | instid1(VALU_DEP_2)
	v_cmp_eq_u32_e32 vcc_lo, 0, v97
	v_cndmask_b32_e32 v97, v100, v94, vcc_lo
; %bb.42:
	s_or_b32 exec_lo, exec_lo, s3
	v_and_b32_e32 v94, 0x7f800000, v92
	s_delay_alu instid0(VALU_DEP_1) | instskip(SKIP_1) | instid1(SALU_CYCLE_1)
	v_cmp_ne_u32_e32 vcc_lo, 0x7f800000, v94
                                        ; implicit-def: $vgpr94
	s_and_saveexec_b32 s3, vcc_lo
	s_xor_b32 s3, exec_lo, s3
; %bb.43:
	v_bfe_u32 v94, v92, 16, 1
	s_delay_alu instid0(VALU_DEP_1)
	v_add3_u32 v94, v92, v94, 0x7fff
                                        ; implicit-def: $vgpr92
; %bb.44:
	s_and_not1_saveexec_b32 s3, s3
; %bb.45:
	v_and_b32_e32 v94, 0xffff, v92
	v_or_b32_e32 v100, 0x10000, v92
	s_delay_alu instid0(VALU_DEP_2) | instskip(NEXT) | instid1(VALU_DEP_2)
	v_cmp_eq_u32_e32 vcc_lo, 0, v94
	v_cndmask_b32_e32 v94, v100, v92, vcc_lo
; %bb.46:
	s_or_b32 exec_lo, exec_lo, s3
	s_load_b64 s[34:35], s[0:1], 0x94
	v_lshlrev_b32_e32 v92, 4, v83
	s_delay_alu instid0(VALU_DEP_2)
	v_perm_b32 v100, v94, v97, 0x7060302
	v_dual_mul_f32 v89, v90, v89 :: v_dual_lshlrev_b32 v94, 11, v74
	v_perm_b32 v97, v93, v91, 0x7060302
	v_mul_f32_e32 v93, v90, v77
	v_perm_b32 v99, v98, v99, 0x7060302
	v_perm_b32 v98, v96, v95, 0x7060302
	v_or3_b32 v77, v92, v94, v85
	v_mul_f32_e32 v88, v90, v88
	v_dual_mul_f32 v87, v90, v87 :: v_dual_and_b32 v94, 0x7f800000, v93
	v_mul_f32_e32 v86, v90, v86
	v_mul_f32_e32 v91, v90, v80
	;; [unrolled: 1-line block ×4, first 2 shown]
	s_mov_b32 s3, exec_lo
	ds_store_b128 v77, v[97:100]
                                        ; implicit-def: $vgpr78
	v_cmpx_ne_u32_e32 0x7f800000, v94
	s_xor_b32 s3, exec_lo, s3
; %bb.47:
	v_bfe_u32 v78, v93, 16, 1
	s_delay_alu instid0(VALU_DEP_1)
	v_add3_u32 v78, v93, v78, 0x7fff
                                        ; implicit-def: $vgpr93
; %bb.48:
	s_and_not1_saveexec_b32 s3, s3
; %bb.49:
	v_and_b32_e32 v78, 0xffff, v93
	v_or_b32_e32 v79, 0x10000, v93
	s_delay_alu instid0(VALU_DEP_2) | instskip(NEXT) | instid1(VALU_DEP_2)
	v_cmp_eq_u32_e32 vcc_lo, 0, v78
	v_cndmask_b32_e32 v78, v79, v93, vcc_lo
; %bb.50:
	s_or_b32 exec_lo, exec_lo, s3
	v_and_b32_e32 v79, 0x7f800000, v80
	s_delay_alu instid0(VALU_DEP_1) | instskip(SKIP_1) | instid1(SALU_CYCLE_1)
	v_cmp_ne_u32_e32 vcc_lo, 0x7f800000, v79
                                        ; implicit-def: $vgpr79
	s_and_saveexec_b32 s3, vcc_lo
	s_xor_b32 s3, exec_lo, s3
; %bb.51:
	v_bfe_u32 v79, v80, 16, 1
	s_delay_alu instid0(VALU_DEP_1)
	v_add3_u32 v79, v80, v79, 0x7fff
                                        ; implicit-def: $vgpr80
; %bb.52:
	s_and_not1_saveexec_b32 s3, s3
; %bb.53:
	v_and_b32_e32 v79, 0xffff, v80
	v_or_b32_e32 v90, 0x10000, v80
	s_delay_alu instid0(VALU_DEP_2) | instskip(NEXT) | instid1(VALU_DEP_2)
	v_cmp_eq_u32_e32 vcc_lo, 0, v79
	v_cndmask_b32_e32 v79, v90, v80, vcc_lo
; %bb.54:
	s_or_b32 exec_lo, exec_lo, s3
	v_and_b32_e32 v80, 0x7f800000, v92
	s_delay_alu instid0(VALU_DEP_1) | instskip(SKIP_1) | instid1(SALU_CYCLE_1)
	v_cmp_ne_u32_e32 vcc_lo, 0x7f800000, v80
                                        ; implicit-def: $vgpr80
	s_and_saveexec_b32 s3, vcc_lo
	s_xor_b32 s3, exec_lo, s3
; %bb.55:
	v_bfe_u32 v80, v92, 16, 1
	s_delay_alu instid0(VALU_DEP_1)
	v_add3_u32 v80, v92, v80, 0x7fff
                                        ; implicit-def: $vgpr92
; %bb.56:
	s_and_not1_saveexec_b32 s3, s3
; %bb.57:
	v_and_b32_e32 v80, 0xffff, v92
	v_or_b32_e32 v90, 0x10000, v92
	s_delay_alu instid0(VALU_DEP_2) | instskip(NEXT) | instid1(VALU_DEP_2)
	v_cmp_eq_u32_e32 vcc_lo, 0, v80
	v_cndmask_b32_e32 v80, v90, v92, vcc_lo
; %bb.58:
	s_or_b32 exec_lo, exec_lo, s3
	v_and_b32_e32 v90, 0x7f800000, v91
	s_delay_alu instid0(VALU_DEP_1) | instskip(SKIP_1) | instid1(SALU_CYCLE_1)
	v_cmp_ne_u32_e32 vcc_lo, 0x7f800000, v90
                                        ; implicit-def: $vgpr90
	s_and_saveexec_b32 s3, vcc_lo
	s_xor_b32 s3, exec_lo, s3
; %bb.59:
	v_bfe_u32 v90, v91, 16, 1
	s_delay_alu instid0(VALU_DEP_1)
	v_add3_u32 v90, v91, v90, 0x7fff
                                        ; implicit-def: $vgpr91
; %bb.60:
	s_and_not1_saveexec_b32 s3, s3
; %bb.61:
	v_and_b32_e32 v90, 0xffff, v91
	v_or_b32_e32 v92, 0x10000, v91
	s_delay_alu instid0(VALU_DEP_2) | instskip(NEXT) | instid1(VALU_DEP_2)
	v_cmp_eq_u32_e32 vcc_lo, 0, v90
	v_cndmask_b32_e32 v90, v92, v91, vcc_lo
; %bb.62:
	s_or_b32 exec_lo, exec_lo, s3
	v_and_b32_e32 v91, 0x7f800000, v86
	s_delay_alu instid0(VALU_DEP_1) | instskip(SKIP_1) | instid1(SALU_CYCLE_1)
	v_cmp_ne_u32_e32 vcc_lo, 0x7f800000, v91
                                        ; implicit-def: $vgpr91
	s_and_saveexec_b32 s3, vcc_lo
	s_xor_b32 s3, exec_lo, s3
; %bb.63:
	v_bfe_u32 v91, v86, 16, 1
	s_delay_alu instid0(VALU_DEP_1)
	v_add3_u32 v91, v86, v91, 0x7fff
                                        ; implicit-def: $vgpr86
; %bb.64:
	s_and_not1_saveexec_b32 s3, s3
; %bb.65:
	v_and_b32_e32 v91, 0xffff, v86
	v_or_b32_e32 v92, 0x10000, v86
	s_delay_alu instid0(VALU_DEP_2) | instskip(NEXT) | instid1(VALU_DEP_2)
	v_cmp_eq_u32_e32 vcc_lo, 0, v91
	v_cndmask_b32_e32 v91, v92, v86, vcc_lo
; %bb.66:
	s_or_b32 exec_lo, exec_lo, s3
	v_and_b32_e32 v86, 0x7f800000, v87
	s_delay_alu instid0(VALU_DEP_1) | instskip(SKIP_1) | instid1(SALU_CYCLE_1)
	v_cmp_ne_u32_e32 vcc_lo, 0x7f800000, v86
                                        ; implicit-def: $vgpr86
	s_and_saveexec_b32 s3, vcc_lo
	s_xor_b32 s3, exec_lo, s3
; %bb.67:
	v_bfe_u32 v86, v87, 16, 1
	s_delay_alu instid0(VALU_DEP_1)
	v_add3_u32 v86, v87, v86, 0x7fff
                                        ; implicit-def: $vgpr87
; %bb.68:
	s_and_not1_saveexec_b32 s3, s3
; %bb.69:
	v_and_b32_e32 v86, 0xffff, v87
	v_or_b32_e32 v92, 0x10000, v87
	s_delay_alu instid0(VALU_DEP_2) | instskip(NEXT) | instid1(VALU_DEP_2)
	v_cmp_eq_u32_e32 vcc_lo, 0, v86
	v_cndmask_b32_e32 v86, v92, v87, vcc_lo
; %bb.70:
	s_or_b32 exec_lo, exec_lo, s3
	v_and_b32_e32 v87, 0x7f800000, v88
	s_delay_alu instid0(VALU_DEP_1) | instskip(SKIP_1) | instid1(SALU_CYCLE_1)
	v_cmp_ne_u32_e32 vcc_lo, 0x7f800000, v87
                                        ; implicit-def: $vgpr87
	s_and_saveexec_b32 s3, vcc_lo
	s_xor_b32 s3, exec_lo, s3
; %bb.71:
	v_bfe_u32 v87, v88, 16, 1
	s_delay_alu instid0(VALU_DEP_1)
	v_add3_u32 v87, v88, v87, 0x7fff
                                        ; implicit-def: $vgpr88
; %bb.72:
	s_and_not1_saveexec_b32 s3, s3
; %bb.73:
	v_and_b32_e32 v87, 0xffff, v88
	v_or_b32_e32 v92, 0x10000, v88
	s_delay_alu instid0(VALU_DEP_2) | instskip(NEXT) | instid1(VALU_DEP_2)
	v_cmp_eq_u32_e32 vcc_lo, 0, v87
	v_cndmask_b32_e32 v87, v92, v88, vcc_lo
; %bb.74:
	s_or_b32 exec_lo, exec_lo, s3
	v_and_b32_e32 v88, 0x7f800000, v89
	s_delay_alu instid0(VALU_DEP_1) | instskip(SKIP_1) | instid1(SALU_CYCLE_1)
	v_cmp_ne_u32_e32 vcc_lo, 0x7f800000, v88
                                        ; implicit-def: $vgpr88
	s_and_saveexec_b32 s3, vcc_lo
	s_xor_b32 s3, exec_lo, s3
; %bb.75:
	v_bfe_u32 v88, v89, 16, 1
	s_delay_alu instid0(VALU_DEP_1)
	v_add3_u32 v88, v89, v88, 0x7fff
                                        ; implicit-def: $vgpr89
; %bb.76:
	s_and_not1_saveexec_b32 s3, s3
; %bb.77:
	v_and_b32_e32 v88, 0xffff, v89
	v_or_b32_e32 v92, 0x10000, v89
	s_delay_alu instid0(VALU_DEP_2) | instskip(NEXT) | instid1(VALU_DEP_2)
	v_cmp_eq_u32_e32 vcc_lo, 0, v88
	v_cndmask_b32_e32 v88, v92, v89, vcc_lo
; %bb.78:
	s_or_b32 exec_lo, exec_lo, s3
	s_delay_alu instid0(VALU_DEP_1)
	v_perm_b32 v89, v88, v87, 0x7060302
	v_perm_b32 v88, v86, v91, 0x7060302
	;; [unrolled: 1-line block ×4, first 2 shown]
	v_lshl_or_b32 v90, v74, 11, v85
	ds_store_b128 v77, v[86:89] offset:1024
	s_waitcnt lgkmcnt(0)
	s_barrier
	buffer_gl0_inv
	ds_load_b128 v[91:94], v90
	ds_load_b128 v[95:98], v90 offset:16
	v_lshlrev_b32_e32 v87, 2, v83
	s_delay_alu instid0(VALU_DEP_1)
	v_or_b32_e32 v88, 1, v87
	v_cmp_eq_u32_e32 vcc_lo, 1, v87
	v_cmp_eq_u32_e64 s4, 2, v87
	v_cmp_eq_u32_e64 s7, 3, v87
	;; [unrolled: 1-line block ×6, first 2 shown]
	v_or_b32_e32 v86, 2, v87
	v_cmp_eq_u32_e64 s10, 5, v87
	v_cmp_eq_u32_e64 s11, 4, v88
	;; [unrolled: 1-line block ×4, first 2 shown]
	s_waitcnt lgkmcnt(1)
	v_lshrrev_b32_e32 v74, 16, v91
	s_waitcnt lgkmcnt(0)
	v_lshrrev_b32_e32 v103, 16, v95
	v_lshrrev_b32_e32 v80, 16, v94
	;; [unrolled: 1-line block ×4, first 2 shown]
	v_cndmask_b32_e32 v89, v91, v74, vcc_lo
	v_cndmask_b32_e32 v99, v95, v103, vcc_lo
	v_cndmask_b32_e64 v100, v91, v74, s3
	v_lshrrev_b32_e32 v79, 16, v93
	v_lshrrev_b32_e32 v108, 16, v97
	v_cndmask_b32_e64 v89, v89, v92, s4
	v_cndmask_b32_e64 v99, v99, v96, s4
	;; [unrolled: 1-line block ×4, first 2 shown]
	v_cmp_eq_u32_e64 s5, 1, v86
	v_cndmask_b32_e64 v89, v89, v78, s7
	v_cndmask_b32_e64 v99, v99, v107, s7
	v_cndmask_b32_e64 v100, v100, v78, s8
	v_cndmask_b32_e64 v101, v101, v96, s6
	v_lshrrev_b32_e32 v109, 16, v98
	v_cndmask_b32_e64 v89, v89, v93, s9
	v_cndmask_b32_e64 v99, v99, v97, s9
	;; [unrolled: 1-line block ×8, first 2 shown]
	v_cmp_eq_u32_e64 s15, 7, v87
	v_cmp_eq_u32_e64 s16, 6, v88
	v_cndmask_b32_e64 v89, v89, v94, s12
	v_cndmask_b32_e64 v99, v99, v98, s12
	v_cmp_eq_u32_e64 s17, 2, v86
	v_cndmask_b32_e64 v101, v101, v97, s11
	v_cndmask_b32_e64 v100, v100, v94, s16
	v_cndmask_b32_e64 v110, v89, v80, s15
	v_cndmask_b32_e64 v111, v99, v109, s15
	v_cndmask_b32_e64 v89, v102, v92, s17
	v_cndmask_b32_e64 v99, v95, v103, s5
	v_cmp_eq_u32_e64 s18, 7, v88
	v_cmp_eq_u32_e64 s19, 3, v86
	v_cmp_eq_u32_e64 s20, 4, v86
	v_cmp_eq_u32_e64 s22, 5, v86
	v_cndmask_b32_e64 v99, v99, v96, s17
	v_cndmask_b32_e64 v112, v100, v80, s18
	;; [unrolled: 1-line block ×4, first 2 shown]
	v_or_b32_e32 v89, 3, v87
	v_cndmask_b32_e64 v105, v99, v107, s19
	v_cmp_eq_u32_e64 s24, 6, v86
	v_cndmask_b32_e64 v113, v100, v98, s16
	v_cndmask_b32_e64 v104, v101, v93, s20
	ds_load_b128 v[99:102], v90 offset:1024
	v_cmp_eq_u32_e64 s21, 1, v89
	v_cmp_eq_u32_e64 s23, 2, v89
	;; [unrolled: 1-line block ×3, first 2 shown]
	v_cndmask_b32_e64 v114, v104, v79, s22
	v_cmp_eq_u32_e64 s26, 4, v89
	v_cndmask_b32_e64 v74, v91, v74, s21
	v_cndmask_b32_e64 v91, v105, v97, s20
	;; [unrolled: 1-line block ×3, first 2 shown]
	ds_load_b128 v[103:106], v90 offset:1040
	v_cmp_eq_u32_e64 s28, 5, v89
	v_cndmask_b32_e64 v74, v74, v92, s23
	v_cndmask_b32_e64 v91, v91, v108, s22
	;; [unrolled: 1-line block ×3, first 2 shown]
	v_cmp_eq_u32_e64 s29, 6, v89
	v_cndmask_b32_e64 v95, v113, v109, s18
	v_cndmask_b32_e64 v74, v74, v78, s25
	;; [unrolled: 1-line block ×5, first 2 shown]
	s_waitcnt lgkmcnt(1)
	v_lshrrev_b32_e32 v96, 16, v99
	v_cndmask_b32_e64 v74, v74, v93, s26
	v_lshrrev_b32_e32 v107, 16, v100
	v_cndmask_b32_e64 v92, v92, v97, s26
	v_cmp_eq_u32_e64 s27, 7, v86
	v_cndmask_b32_e32 v93, v99, v96, vcc_lo
	v_cndmask_b32_e64 v74, v74, v79, s28
	s_delay_alu instid0(VALU_DEP_4)
	v_cndmask_b32_e64 v79, v92, v108, s28
	s_waitcnt lgkmcnt(0)
	v_lshrrev_b32_e32 v97, 16, v103
	v_cndmask_b32_e64 v92, v93, v100, s4
	v_cndmask_b32_e64 v93, v99, v96, s3
	;; [unrolled: 1-line block ×4, first 2 shown]
	v_cndmask_b32_e32 v108, v103, v97, vcc_lo
	v_cndmask_b32_e64 v92, v92, v107, s7
	v_cndmask_b32_e64 v93, v93, v100, s6
	v_lshrrev_b32_e32 v98, 16, v104
	v_cmp_eq_u32_e32 vcc_lo, 7, v89
	v_cndmask_b32_e64 v94, v108, v104, s4
	v_cndmask_b32_e64 v92, v92, v101, s9
	v_lshrrev_b32_e32 v108, 16, v101
	v_cndmask_b32_e64 v93, v93, v107, s8
	v_cndmask_b32_e32 v74, v74, v80, vcc_lo
	v_cndmask_b32_e64 v94, v94, v98, s7
	v_cndmask_b32_e32 v79, v79, v109, vcc_lo
	v_cndmask_b32_e64 v92, v92, v108, s10
	v_cndmask_b32_e64 v78, v78, v80, s27
	;; [unrolled: 1-line block ×4, first 2 shown]
	v_perm_b32 v94, v79, v74, 0x5040100
	v_cndmask_b32_e64 v79, v92, v102, s12
	v_perm_b32 v92, v95, v112, 0x5040100
	v_cndmask_b32_e64 v95, v99, v96, s5
	v_cndmask_b32_e64 v96, v99, v96, s21
	;; [unrolled: 1-line block ×16, first 2 shown]
	v_lshrrev_b32_e32 v109, 16, v105
	v_cndmask_b32_e64 v95, v95, v101, s20
	v_cndmask_b32_e64 v96, v96, v101, s26
	;; [unrolled: 1-line block ×6, first 2 shown]
	v_lshrrev_b32_e32 v80, 16, v102
	v_cndmask_b32_e64 v113, v93, v109, s10
	v_cndmask_b32_e64 v95, v95, v108, s22
	;; [unrolled: 1-line block ×6, first 2 shown]
	v_perm_b32 v93, v91, v78, 0x5040100
	v_cndmask_b32_e64 v74, v74, v102, s16
	v_cndmask_b32_e64 v78, v79, v80, s15
	;; [unrolled: 1-line block ×3, first 2 shown]
	v_lshrrev_b32_e32 v91, 16, v106
	v_cndmask_b32_e64 v95, v95, v102, s24
	v_cndmask_b32_e64 v96, v96, v102, s29
	;; [unrolled: 1-line block ×7, first 2 shown]
	v_cndmask_b32_e32 v80, v96, v80, vcc_lo
	v_cndmask_b32_e32 v96, v98, v91, vcc_lo
	v_cndmask_b32_e64 v99, v99, v91, s27
	v_cndmask_b32_e64 v100, v97, v91, s18
	;; [unrolled: 1-line block ×3, first 2 shown]
	v_perm_b32 v91, v111, v110, 0x5040100
	v_perm_b32 v98, v96, v80, 0x5040100
	;; [unrolled: 1-line block ×5, first 2 shown]
	s_mul_i32 s8, s35, 15
	s_mov_b32 s3, exec_lo
	ds_store_b128 v77, v[91:94]
	ds_store_b128 v77, v[95:98] offset:1024
	v_cmpx_gt_u32_e32 15, v0
	s_cbranch_execz .LBB744_80
; %bb.79:
	s_mul_i32 s4, s8, s30
	s_delay_alu instid0(SALU_CYCLE_1) | instskip(SKIP_1) | instid1(VALU_DEP_1)
	v_add3_u32 v77, s4, s31, v73
	s_load_b128 s[4:7], s[0:1], 0x58
	v_mad_u64_u32 v[73:74], null, v77, s34, s[14:15]
	s_delay_alu instid0(VALU_DEP_1) | instskip(NEXT) | instid1(VALU_DEP_1)
	v_ashrrev_i32_e32 v74, 31, v73
	v_lshlrev_b64 v[73:74], 2, v[73:74]
	s_waitcnt lgkmcnt(0)
	s_delay_alu instid0(VALU_DEP_1) | instskip(NEXT) | instid1(VALU_DEP_2)
	v_add_co_u32 v77, vcc_lo, s6, v73
	v_add_co_ci_u32_e32 v78, vcc_lo, s7, v74, vcc_lo
	v_add_co_u32 v73, vcc_lo, s4, v73
	v_add_co_ci_u32_e32 v74, vcc_lo, s5, v74, vcc_lo
	global_store_b32 v[77:78], v75, off
	global_store_b32 v[73:74], v76, off
.LBB744_80:
	s_or_b32 exec_lo, exec_lo, s3
	s_waitcnt lgkmcnt(0)
	s_waitcnt_vscnt null, 0x0
	s_barrier
	buffer_gl0_inv
	ds_load_b128 v[91:94], v85
	ds_load_b128 v[95:98], v85 offset:16
	ds_load_b128 v[103:106], v85 offset:1040
	;; [unrolled: 1-line block ×3, first 2 shown]
	v_mov_b32_e32 v73, 0
	ds_load_b128 v[111:114], v85 offset:2064
	ds_load_b128 v[107:110], v85 offset:2048
	ds_load_b128 v[119:122], v85 offset:3088
	ds_load_b128 v[115:118], v85 offset:3072
	ds_load_b128 v[127:130], v85 offset:4112
	ds_load_b128 v[123:126], v85 offset:4096
	v_mov_b32_e32 v74, v73
	v_mov_b32_e32 v75, v73
	;; [unrolled: 1-line block ×7, first 2 shown]
	s_waitcnt lgkmcnt(8)
	s_delay_alu instid0(VALU_DEP_1)
	v_wmma_f32_16x16x16_bf16 v[73:80], v[65:72], v[91:98], v[73:80]
	ds_load_b128 v[69:72], v85 offset:5136
	ds_load_b128 v[65:68], v85 offset:5120
	;; [unrolled: 1-line block ×4, first 2 shown]
	s_waitcnt lgkmcnt(10)
	v_wmma_f32_16x16x16_bf16 v[73:80], v[57:64], v[99:106], v[73:80]
	s_waitcnt lgkmcnt(8)
	s_delay_alu instid0(VALU_DEP_1)
	v_wmma_f32_16x16x16_bf16 v[73:80], v[57:64], v[107:114], v[73:80]
	ds_load_b128 v[61:64], v85 offset:7184
	ds_load_b128 v[57:60], v85 offset:7168
	ds_load_b128 v[103:106], v85 offset:8208
	ds_load_b128 v[99:102], v85 offset:8192
	s_waitcnt lgkmcnt(10)
	v_wmma_f32_16x16x16_bf16 v[73:80], v[49:56], v[115:122], v[73:80]
	s_waitcnt lgkmcnt(8)
	s_delay_alu instid0(VALU_DEP_1)
	v_wmma_f32_16x16x16_bf16 v[73:80], v[49:56], v[123:130], v[73:80]
	ds_load_b128 v[53:56], v85 offset:9232
	ds_load_b128 v[49:52], v85 offset:9216
	s_waitcnt lgkmcnt(8)
	v_wmma_f32_16x16x16_bf16 v[73:80], v[41:48], v[65:72], v[73:80]
	ds_load_b128 v[69:72], v85 offset:10256
	ds_load_b128 v[65:68], v85 offset:10240
	s_waitcnt lgkmcnt(8)
	;; [unrolled: 4-line block ×3, first 2 shown]
	v_wmma_f32_16x16x16_bf16 v[73:80], v[9:16], v[57:64], v[73:80]
	s_waitcnt lgkmcnt(6)
	s_delay_alu instid0(VALU_DEP_1)
	v_wmma_f32_16x16x16_bf16 v[73:80], v[9:16], v[99:106], v[73:80]
	ds_load_b128 v[13:16], v85 offset:12304
	ds_load_b128 v[9:12], v85 offset:12288
	s_waitcnt lgkmcnt(6)
	v_wmma_f32_16x16x16_bf16 v[73:80], v[1:8], v[49:56], v[73:80]
	ds_load_b128 v[53:56], v85 offset:13328
	ds_load_b128 v[49:52], v85 offset:13312
	s_waitcnt lgkmcnt(6)
	;; [unrolled: 4-line block ×4, first 2 shown]
	v_wmma_f32_16x16x16_bf16 v[73:80], v[33:40], v[9:16], v[73:80]
	s_waitcnt lgkmcnt(4)
	s_delay_alu instid0(VALU_DEP_1) | instskip(SKIP_1) | instid1(VALU_DEP_1)
	v_wmma_f32_16x16x16_bf16 v[73:80], v[25:32], v[49:56], v[73:80]
	s_waitcnt lgkmcnt(2)
	v_wmma_f32_16x16x16_bf16 v[73:80], v[25:32], v[1:8], v[73:80]
	s_waitcnt lgkmcnt(0)
	s_delay_alu instid0(VALU_DEP_1) | instskip(NEXT) | instid1(VALU_DEP_1)
	v_wmma_f32_16x16x16_bf16 v[73:80], v[17:24], v[41:48], v[73:80]
	v_and_b32_e32 v1, 0x7f800000, v73
	s_delay_alu instid0(VALU_DEP_1) | instskip(SKIP_1) | instid1(SALU_CYCLE_1)
	v_cmp_ne_u32_e32 vcc_lo, 0x7f800000, v1
                                        ; implicit-def: $vgpr1
	s_and_saveexec_b32 s3, vcc_lo
	s_xor_b32 s3, exec_lo, s3
; %bb.81:
	v_bfe_u32 v1, v73, 16, 1
	s_delay_alu instid0(VALU_DEP_1)
	v_add3_u32 v1, v73, v1, 0x7fff
; %bb.82:
	s_and_not1_saveexec_b32 s3, s3
; %bb.83:
	v_and_b32_e32 v1, 0xffff, v73
	v_or_b32_e32 v2, 0x10000, v73
	s_delay_alu instid0(VALU_DEP_2) | instskip(NEXT) | instid1(VALU_DEP_2)
	v_cmp_eq_u32_e32 vcc_lo, 0, v1
	v_cndmask_b32_e32 v1, v2, v73, vcc_lo
; %bb.84:
	s_or_b32 exec_lo, exec_lo, s3
	v_and_b32_e32 v2, 0x7f800000, v74
	s_delay_alu instid0(VALU_DEP_1) | instskip(SKIP_1) | instid1(SALU_CYCLE_1)
	v_cmp_ne_u32_e32 vcc_lo, 0x7f800000, v2
                                        ; implicit-def: $vgpr2
	s_and_saveexec_b32 s3, vcc_lo
	s_xor_b32 s3, exec_lo, s3
; %bb.85:
	v_bfe_u32 v2, v74, 16, 1
	s_delay_alu instid0(VALU_DEP_1)
	v_add3_u32 v2, v74, v2, 0x7fff
; %bb.86:
	s_and_not1_saveexec_b32 s3, s3
; %bb.87:
	v_and_b32_e32 v2, 0xffff, v74
	v_or_b32_e32 v3, 0x10000, v74
	s_delay_alu instid0(VALU_DEP_2) | instskip(NEXT) | instid1(VALU_DEP_2)
	v_cmp_eq_u32_e32 vcc_lo, 0, v2
	v_cndmask_b32_e32 v2, v3, v74, vcc_lo
; %bb.88:
	s_or_b32 exec_lo, exec_lo, s3
	v_and_b32_e32 v3, 0x7f800000, v75
	s_delay_alu instid0(VALU_DEP_1) | instskip(SKIP_1) | instid1(SALU_CYCLE_1)
	v_cmp_ne_u32_e32 vcc_lo, 0x7f800000, v3
                                        ; implicit-def: $vgpr3
	s_and_saveexec_b32 s3, vcc_lo
	s_xor_b32 s3, exec_lo, s3
; %bb.89:
	v_bfe_u32 v3, v75, 16, 1
	s_delay_alu instid0(VALU_DEP_1)
	v_add3_u32 v3, v75, v3, 0x7fff
; %bb.90:
	s_and_not1_saveexec_b32 s3, s3
; %bb.91:
	v_and_b32_e32 v3, 0xffff, v75
	v_or_b32_e32 v4, 0x10000, v75
	s_delay_alu instid0(VALU_DEP_2) | instskip(NEXT) | instid1(VALU_DEP_2)
	v_cmp_eq_u32_e32 vcc_lo, 0, v3
	v_cndmask_b32_e32 v3, v4, v75, vcc_lo
; %bb.92:
	s_or_b32 exec_lo, exec_lo, s3
	v_and_b32_e32 v4, 0x7f800000, v76
	s_delay_alu instid0(VALU_DEP_1) | instskip(SKIP_1) | instid1(SALU_CYCLE_1)
	v_cmp_ne_u32_e32 vcc_lo, 0x7f800000, v4
                                        ; implicit-def: $vgpr4
	s_and_saveexec_b32 s3, vcc_lo
	s_xor_b32 s3, exec_lo, s3
; %bb.93:
	v_bfe_u32 v4, v76, 16, 1
	s_delay_alu instid0(VALU_DEP_1)
	v_add3_u32 v4, v76, v4, 0x7fff
; %bb.94:
	s_and_not1_saveexec_b32 s3, s3
; %bb.95:
	v_and_b32_e32 v4, 0xffff, v76
	v_or_b32_e32 v5, 0x10000, v76
	s_delay_alu instid0(VALU_DEP_2) | instskip(NEXT) | instid1(VALU_DEP_2)
	v_cmp_eq_u32_e32 vcc_lo, 0, v4
	v_cndmask_b32_e32 v4, v5, v76, vcc_lo
; %bb.96:
	s_or_b32 exec_lo, exec_lo, s3
	v_and_b32_e32 v5, 0x7f800000, v77
	s_delay_alu instid0(VALU_DEP_1) | instskip(SKIP_1) | instid1(SALU_CYCLE_1)
	v_cmp_ne_u32_e32 vcc_lo, 0x7f800000, v5
                                        ; implicit-def: $vgpr5
	s_and_saveexec_b32 s3, vcc_lo
	s_xor_b32 s3, exec_lo, s3
; %bb.97:
	v_bfe_u32 v5, v77, 16, 1
	s_delay_alu instid0(VALU_DEP_1)
	v_add3_u32 v5, v77, v5, 0x7fff
; %bb.98:
	s_and_not1_saveexec_b32 s3, s3
; %bb.99:
	v_and_b32_e32 v5, 0xffff, v77
	v_or_b32_e32 v6, 0x10000, v77
	s_delay_alu instid0(VALU_DEP_2) | instskip(NEXT) | instid1(VALU_DEP_2)
	v_cmp_eq_u32_e32 vcc_lo, 0, v5
	v_cndmask_b32_e32 v5, v6, v77, vcc_lo
; %bb.100:
	s_or_b32 exec_lo, exec_lo, s3
	v_and_b32_e32 v6, 0x7f800000, v78
	s_delay_alu instid0(VALU_DEP_1) | instskip(SKIP_1) | instid1(SALU_CYCLE_1)
	v_cmp_ne_u32_e32 vcc_lo, 0x7f800000, v6
                                        ; implicit-def: $vgpr6
	s_and_saveexec_b32 s3, vcc_lo
	s_xor_b32 s3, exec_lo, s3
; %bb.101:
	v_bfe_u32 v6, v78, 16, 1
	s_delay_alu instid0(VALU_DEP_1)
	v_add3_u32 v6, v78, v6, 0x7fff
; %bb.102:
	s_and_not1_saveexec_b32 s3, s3
; %bb.103:
	v_and_b32_e32 v6, 0xffff, v78
	v_or_b32_e32 v7, 0x10000, v78
	s_delay_alu instid0(VALU_DEP_2) | instskip(NEXT) | instid1(VALU_DEP_2)
	v_cmp_eq_u32_e32 vcc_lo, 0, v6
	v_cndmask_b32_e32 v6, v7, v78, vcc_lo
; %bb.104:
	s_or_b32 exec_lo, exec_lo, s3
	v_and_b32_e32 v7, 0x7f800000, v79
	s_delay_alu instid0(VALU_DEP_1) | instskip(SKIP_1) | instid1(SALU_CYCLE_1)
	v_cmp_ne_u32_e32 vcc_lo, 0x7f800000, v7
                                        ; implicit-def: $vgpr7
	s_and_saveexec_b32 s3, vcc_lo
	s_xor_b32 s3, exec_lo, s3
; %bb.105:
	v_bfe_u32 v7, v79, 16, 1
	s_delay_alu instid0(VALU_DEP_1)
	v_add3_u32 v7, v79, v7, 0x7fff
; %bb.106:
	s_and_not1_saveexec_b32 s3, s3
; %bb.107:
	v_and_b32_e32 v7, 0xffff, v79
	v_or_b32_e32 v8, 0x10000, v79
	s_delay_alu instid0(VALU_DEP_2) | instskip(NEXT) | instid1(VALU_DEP_2)
	v_cmp_eq_u32_e32 vcc_lo, 0, v7
	v_cndmask_b32_e32 v7, v8, v79, vcc_lo
; %bb.108:
	s_or_b32 exec_lo, exec_lo, s3
	v_and_b32_e32 v8, 0x7f800000, v80
	s_delay_alu instid0(VALU_DEP_1) | instskip(SKIP_1) | instid1(SALU_CYCLE_1)
	v_cmp_ne_u32_e32 vcc_lo, 0x7f800000, v8
                                        ; implicit-def: $vgpr8
	s_and_saveexec_b32 s3, vcc_lo
	s_xor_b32 s3, exec_lo, s3
; %bb.109:
	v_bfe_u32 v8, v80, 16, 1
	s_delay_alu instid0(VALU_DEP_1)
	v_add3_u32 v8, v80, v8, 0x7fff
                                        ; implicit-def: $vgpr73_vgpr74_vgpr75_vgpr76_vgpr77_vgpr78_vgpr79_vgpr80
; %bb.110:
	s_and_not1_saveexec_b32 s3, s3
; %bb.111:
	v_and_b32_e32 v8, 0xffff, v80
	v_or_b32_e32 v9, 0x10000, v80
	s_delay_alu instid0(VALU_DEP_2) | instskip(NEXT) | instid1(VALU_DEP_2)
	v_cmp_eq_u32_e32 vcc_lo, 0, v8
	v_cndmask_b32_e32 v8, v9, v80, vcc_lo
; %bb.112:
	s_or_b32 exec_lo, exec_lo, s3
	s_delay_alu instid0(VALU_DEP_1)
	v_perm_b32 v7, v8, v7, 0x7060302
	v_perm_b32 v6, v6, v5, 0x7060302
	;; [unrolled: 1-line block ×4, first 2 shown]
	v_lshl_or_b32 v9, v83, 4, v90
	s_barrier
	buffer_gl0_inv
	v_cmp_eq_u32_e32 vcc_lo, 1, v87
	ds_store_b128 v9, v[4:7]
	s_waitcnt lgkmcnt(0)
	s_barrier
	buffer_gl0_inv
	ds_load_b128 v[1:4], v90
	ds_load_b128 v[5:8], v90 offset:16
	v_cmp_eq_u32_e64 s4, 2, v87
	v_cmp_eq_u32_e64 s3, 1, v88
	v_cmp_eq_u32_e64 s5, 3, v87
	v_cmp_eq_u32_e64 s7, 2, v86
	v_cmp_eq_u32_e64 s6, 7, v88
	s_waitcnt lgkmcnt(1)
	v_lshrrev_b32_e32 v10, 16, v1
	s_waitcnt lgkmcnt(0)
	v_lshrrev_b32_e32 v14, 16, v5
	v_lshrrev_b32_e32 v15, 16, v6
	;; [unrolled: 1-line block ×4, first 2 shown]
	v_cndmask_b32_e64 v20, v1, v10, s3
	v_cndmask_b32_e32 v19, v5, v14, vcc_lo
	v_cndmask_b32_e64 v21, v5, v14, s3
	v_lshrrev_b32_e32 v16, 16, v7
	v_cmp_eq_u32_e64 s3, 1, v86
	v_lshrrev_b32_e32 v13, 16, v4
	v_cndmask_b32_e64 v19, v19, v6, s4
	v_lshrrev_b32_e32 v17, 16, v8
	s_delay_alu instid0(VALU_DEP_4) | instskip(SKIP_1) | instid1(VALU_DEP_4)
	v_cndmask_b32_e64 v22, v1, v10, s3
	v_cndmask_b32_e64 v23, v5, v14, s3
	;; [unrolled: 1-line block ×3, first 2 shown]
	v_cndmask_b32_e32 v18, v1, v10, vcc_lo
	v_cmp_eq_u32_e32 vcc_lo, 2, v88
	v_cmp_eq_u32_e64 s3, 2, v89
	v_cndmask_b32_e64 v22, v22, v2, s7
	v_cndmask_b32_e32 v20, v20, v2, vcc_lo
	v_cndmask_b32_e32 v21, v21, v6, vcc_lo
	v_cmp_eq_u32_e32 vcc_lo, 4, v87
	v_cndmask_b32_e32 v19, v19, v7, vcc_lo
	v_cndmask_b32_e64 v18, v18, v2, s4
	v_cmp_eq_u32_e64 s4, 3, v88
	s_delay_alu instid0(VALU_DEP_2) | instskip(NEXT) | instid1(VALU_DEP_2)
	v_cndmask_b32_e64 v18, v18, v11, s5
	v_cndmask_b32_e64 v21, v21, v15, s4
	v_cmp_eq_u32_e64 s5, 5, v87
	s_delay_alu instid0(VALU_DEP_3) | instskip(SKIP_1) | instid1(VALU_DEP_3)
	v_cndmask_b32_e32 v18, v18, v3, vcc_lo
	v_cmp_eq_u32_e32 vcc_lo, 4, v88
	v_cndmask_b32_e64 v19, v19, v16, s5
	s_delay_alu instid0(VALU_DEP_3) | instskip(SKIP_4) | instid1(VALU_DEP_3)
	v_cndmask_b32_e64 v18, v18, v12, s5
	v_cndmask_b32_e32 v21, v21, v7, vcc_lo
	v_cndmask_b32_e64 v20, v20, v11, s4
	v_cmp_eq_u32_e64 s4, 5, v88
	v_cmp_eq_u32_e64 s5, 6, v87
	v_cndmask_b32_e32 v20, v20, v3, vcc_lo
	s_delay_alu instid0(VALU_DEP_3) | instskip(SKIP_1) | instid1(VALU_DEP_4)
	v_cndmask_b32_e64 v21, v21, v16, s4
	v_cmp_eq_u32_e32 vcc_lo, 6, v88
	v_cndmask_b32_e64 v18, v18, v4, s5
	v_cndmask_b32_e64 v19, v19, v8, s5
	;; [unrolled: 1-line block ×3, first 2 shown]
	v_cmp_eq_u32_e64 s4, 1, v89
	v_cmp_eq_u32_e64 s5, 7, v87
	s_delay_alu instid0(VALU_DEP_3) | instskip(NEXT) | instid1(VALU_DEP_3)
	v_cndmask_b32_e32 v20, v20, v4, vcc_lo
	v_cndmask_b32_e64 v1, v1, v10, s4
	v_cndmask_b32_e64 v5, v5, v14, s4
	v_cmp_eq_u32_e64 s4, 3, v86
	v_cndmask_b32_e64 v14, v23, v6, s7
	v_cmp_eq_u32_e64 s7, 3, v89
	v_cndmask_b32_e64 v1, v1, v2, s3
	v_cndmask_b32_e64 v2, v5, v6, s3
	;; [unrolled: 1-line block ×3, first 2 shown]
	v_cmp_eq_u32_e64 s3, 4, v86
	v_cndmask_b32_e64 v6, v14, v15, s4
	v_cndmask_b32_e64 v1, v1, v11, s7
	v_cmp_eq_u32_e64 s4, 4, v89
	v_cndmask_b32_e64 v2, v2, v15, s7
	v_cndmask_b32_e64 v5, v10, v3, s3
	;; [unrolled: 3-line block ×3, first 2 shown]
	v_cndmask_b32_e64 v2, v2, v7, s4
	v_cmp_eq_u32_e64 s3, 5, v89
	v_cndmask_b32_e64 v5, v5, v12, s7
	v_cmp_eq_u32_e64 s4, 6, v86
	;; [unrolled: 2-line block ×3, first 2 shown]
	v_cndmask_b32_e64 v1, v1, v12, s3
	v_cndmask_b32_e64 v2, v2, v16, s3
	;; [unrolled: 1-line block ×4, first 2 shown]
	v_cmp_eq_u32_e64 s3, 7, v89
	v_cndmask_b32_e64 v1, v1, v4, s7
	v_cndmask_b32_e64 v2, v2, v8, s7
	v_cmp_eq_u32_e64 s4, 7, v86
	v_cndmask_b32_e32 v4, v21, v8, vcc_lo
	v_cndmask_b32_e64 v18, v18, v13, s5
	v_cndmask_b32_e64 v20, v20, v13, s6
	;; [unrolled: 1-line block ×8, first 2 shown]
	s_mov_b32 s3, exec_lo
	v_perm_b32 v4, v2, v1, 0x5040100
	v_perm_b32 v3, v3, v5, 0x5040100
	v_perm_b32 v2, v6, v20, 0x5040100
	v_perm_b32 v1, v7, v18, 0x5040100
	ds_store_b128 v9, v[1:4]
	s_waitcnt lgkmcnt(0)
	s_barrier
	buffer_gl0_inv
	v_cmpx_gt_u32_e32 32, v0
	s_cbranch_execz .LBB744_2
; %bb.113:
	s_load_b64 s[4:5], s[0:1], 0x68
	v_add_nc_u32_e32 v20, s31, v83
	v_lshlrev_b32_e32 v0, 10, v0
	v_lshlrev_b32_e32 v1, 4, v84
	s_lshl_b32 s0, s34, 7
	s_delay_alu instid0(SALU_CYCLE_1)
	s_mul_i32 s1, s0, s30
	v_add_nc_u32_e32 v2, 2, v20
	s_mul_i32 s6, s1, s8
	v_and_or_b32 v0, 0x3800, v0, v1
	v_mul_lo_u32 v1, v20, s0
	s_ashr_i32 s7, s6, 31
	v_mul_lo_u32 v11, v2, s0
	s_lshl_b64 s[6:7], s[6:7], 1
	v_add_nc_u32_e32 v3, 4, v20
	v_lshl_or_b32 v21, v83, 6, v0
	v_add_nc_u32_e32 v16, 6, v20
	v_ashrrev_i32_e32 v2, 31, v1
	s_delay_alu instid0(VALU_DEP_4)
	v_mul_lo_u32 v13, v3, s0
	s_waitcnt lgkmcnt(0)
	s_add_u32 s1, s4, s6
	s_addc_u32 s3, s5, s7
	s_lshl_b32 s4, s14, 7
	ds_load_b128 v[3:6], v21
	ds_load_b128 v[7:10], v21 offset:128
	s_ashr_i32 s5, s4, 31
	v_ashrrev_i32_e32 v12, 31, v11
	s_lshl_b64 s[4:5], s[4:5], 1
	v_lshlrev_b64 v[14:15], 1, v[1:2]
	s_add_u32 s1, s1, s4
	s_addc_u32 s3, s3, s5
	v_add_co_u32 v1, vcc_lo, s1, v81
	v_add_co_ci_u32_e32 v2, vcc_lo, s3, v82, vcc_lo
	v_lshlrev_b64 v[11:12], 1, v[11:12]
	s_delay_alu instid0(VALU_DEP_3) | instskip(SKIP_1) | instid1(VALU_DEP_4)
	v_add_co_u32 v18, vcc_lo, v1, v14
	v_mul_lo_u32 v16, v16, s0
	v_add_co_ci_u32_e32 v19, vcc_lo, v2, v15, vcc_lo
	s_delay_alu instid0(VALU_DEP_4)
	v_add_co_u32 v11, vcc_lo, v1, v11
	v_ashrrev_i32_e32 v14, 31, v13
	v_add_co_ci_u32_e32 v12, vcc_lo, v2, v12, vcc_lo
	v_add_nc_u32_e32 v15, 8, v20
	v_ashrrev_i32_e32 v17, 31, v16
	s_waitcnt lgkmcnt(1)
	global_store_b128 v[18:19], v[3:6], off
	v_lshlrev_b64 v[3:4], 1, v[13:14]
	s_waitcnt lgkmcnt(0)
	global_store_b128 v[11:12], v[7:10], off
	v_mul_lo_u32 v11, v15, s0
	v_add_nc_u32_e32 v7, 10, v20
	v_lshlrev_b64 v[5:6], 1, v[16:17]
	v_add_co_u32 v23, vcc_lo, v1, v3
	v_add_nc_u32_e32 v3, 12, v20
	s_delay_alu instid0(VALU_DEP_4)
	v_mul_lo_u32 v25, v7, s0
	v_ashrrev_i32_e32 v12, 31, v11
	v_add_co_ci_u32_e32 v24, vcc_lo, v2, v4, vcc_lo
	v_add_co_u32 v27, vcc_lo, v1, v5
	v_mul_lo_u32 v29, v3, s0
	v_add_co_ci_u32_e32 v28, vcc_lo, v2, v6, vcc_lo
	ds_load_b128 v[3:6], v21 offset:256
	ds_load_b128 v[7:10], v21 offset:384
	v_lshlrev_b64 v[31:32], 1, v[11:12]
	ds_load_b128 v[11:14], v21 offset:512
	ds_load_b128 v[15:18], v21 offset:640
	;; [unrolled: 1-line block ×3, first 2 shown]
	v_ashrrev_i32_e32 v26, 31, v25
	v_ashrrev_i32_e32 v30, 31, v29
	v_add_co_u32 v31, vcc_lo, v1, v31
	s_delay_alu instid0(VALU_DEP_3) | instskip(NEXT) | instid1(VALU_DEP_3)
	v_lshlrev_b64 v[25:26], 1, v[25:26]
	v_lshlrev_b64 v[29:30], 1, v[29:30]
	v_add_co_ci_u32_e32 v32, vcc_lo, v2, v32, vcc_lo
	s_delay_alu instid0(VALU_DEP_3) | instskip(NEXT) | instid1(VALU_DEP_4)
	v_add_co_u32 v25, vcc_lo, v1, v25
	v_add_co_ci_u32_e32 v26, vcc_lo, v2, v26, vcc_lo
	s_delay_alu instid0(VALU_DEP_4)
	v_add_co_u32 v29, vcc_lo, v1, v29
	v_add_co_ci_u32_e32 v30, vcc_lo, v2, v30, vcc_lo
	s_waitcnt lgkmcnt(4)
	global_store_b128 v[23:24], v[3:6], off
	s_waitcnt lgkmcnt(3)
	global_store_b128 v[27:28], v[7:10], off
	;; [unrolled: 2-line block ×5, first 2 shown]
	s_and_b32 exec_lo, exec_lo, s2
	s_cbranch_execz .LBB744_2
; %bb.114:
	ds_load_b128 v[3:6], v0 offset:896
	s_add_i32 s1, s31, 14
	s_delay_alu instid0(SALU_CYCLE_1) | instskip(NEXT) | instid1(SALU_CYCLE_1)
	s_mul_i32 s0, s1, s0
	s_ashr_i32 s1, s0, 31
	s_delay_alu instid0(SALU_CYCLE_1) | instskip(NEXT) | instid1(SALU_CYCLE_1)
	s_lshl_b64 s[0:1], s[0:1], 1
	v_add_co_u32 v0, vcc_lo, v1, s0
	v_add_co_ci_u32_e32 v1, vcc_lo, s1, v2, vcc_lo
	s_waitcnt lgkmcnt(0)
	global_store_b128 v[0:1], v[3:6], off
	s_nop 0
	s_sendmsg sendmsg(MSG_DEALLOC_VGPRS)
	s_endpgm
	.section	.rodata,"a",@progbits
	.p2align	6, 0x0
	.amdhsa_kernel _Z39paged_attention_ll4mi_QKV_mfma16_kernelI14__hip_bfloat16S0_LN4vllm18Fp8KVCacheDataTypeE0ES0_Li32ELi128ELi256ELb1ELi15EL8MFMAType0EEvPKT_PKT0_S9_ifPKiSB_SB_iPKfiiiPfSE_PS4_PT2_iSD_SD_
		.amdhsa_group_segment_fixed_size 17472
		.amdhsa_private_segment_fixed_size 0
		.amdhsa_kernarg_size 400
		.amdhsa_user_sgpr_count 13
		.amdhsa_user_sgpr_dispatch_ptr 0
		.amdhsa_user_sgpr_queue_ptr 0
		.amdhsa_user_sgpr_kernarg_segment_ptr 1
		.amdhsa_user_sgpr_dispatch_id 0
		.amdhsa_user_sgpr_private_segment_size 0
		.amdhsa_wavefront_size32 1
		.amdhsa_uses_dynamic_stack 0
		.amdhsa_enable_private_segment 0
		.amdhsa_system_sgpr_workgroup_id_x 1
		.amdhsa_system_sgpr_workgroup_id_y 1
		.amdhsa_system_sgpr_workgroup_id_z 1
		.amdhsa_system_sgpr_workgroup_info 0
		.amdhsa_system_vgpr_workitem_id 0
		.amdhsa_next_free_vgpr 157
		.amdhsa_next_free_sgpr 38
		.amdhsa_reserve_vcc 1
		.amdhsa_float_round_mode_32 0
		.amdhsa_float_round_mode_16_64 0
		.amdhsa_float_denorm_mode_32 3
		.amdhsa_float_denorm_mode_16_64 3
		.amdhsa_dx10_clamp 1
		.amdhsa_ieee_mode 1
		.amdhsa_fp16_overflow 0
		.amdhsa_workgroup_processor_mode 1
		.amdhsa_memory_ordered 1
		.amdhsa_forward_progress 0
		.amdhsa_shared_vgpr_count 0
		.amdhsa_exception_fp_ieee_invalid_op 0
		.amdhsa_exception_fp_denorm_src 0
		.amdhsa_exception_fp_ieee_div_zero 0
		.amdhsa_exception_fp_ieee_overflow 0
		.amdhsa_exception_fp_ieee_underflow 0
		.amdhsa_exception_fp_ieee_inexact 0
		.amdhsa_exception_int_div_zero 0
	.end_amdhsa_kernel
	.section	.text._Z39paged_attention_ll4mi_QKV_mfma16_kernelI14__hip_bfloat16S0_LN4vllm18Fp8KVCacheDataTypeE0ES0_Li32ELi128ELi256ELb1ELi15EL8MFMAType0EEvPKT_PKT0_S9_ifPKiSB_SB_iPKfiiiPfSE_PS4_PT2_iSD_SD_,"axG",@progbits,_Z39paged_attention_ll4mi_QKV_mfma16_kernelI14__hip_bfloat16S0_LN4vllm18Fp8KVCacheDataTypeE0ES0_Li32ELi128ELi256ELb1ELi15EL8MFMAType0EEvPKT_PKT0_S9_ifPKiSB_SB_iPKfiiiPfSE_PS4_PT2_iSD_SD_,comdat
.Lfunc_end744:
	.size	_Z39paged_attention_ll4mi_QKV_mfma16_kernelI14__hip_bfloat16S0_LN4vllm18Fp8KVCacheDataTypeE0ES0_Li32ELi128ELi256ELb1ELi15EL8MFMAType0EEvPKT_PKT0_S9_ifPKiSB_SB_iPKfiiiPfSE_PS4_PT2_iSD_SD_, .Lfunc_end744-_Z39paged_attention_ll4mi_QKV_mfma16_kernelI14__hip_bfloat16S0_LN4vllm18Fp8KVCacheDataTypeE0ES0_Li32ELi128ELi256ELb1ELi15EL8MFMAType0EEvPKT_PKT0_S9_ifPKiSB_SB_iPKfiiiPfSE_PS4_PT2_iSD_SD_
                                        ; -- End function
	.section	.AMDGPU.csdata,"",@progbits
; Kernel info:
; codeLenInByte = 10012
; NumSgprs: 40
; NumVgprs: 157
; ScratchSize: 0
; MemoryBound: 0
; FloatMode: 240
; IeeeMode: 1
; LDSByteSize: 17472 bytes/workgroup (compile time only)
; SGPRBlocks: 4
; VGPRBlocks: 19
; NumSGPRsForWavesPerEU: 40
; NumVGPRsForWavesPerEU: 157
; Occupancy: 9
; WaveLimiterHint : 1
; COMPUTE_PGM_RSRC2:SCRATCH_EN: 0
; COMPUTE_PGM_RSRC2:USER_SGPR: 13
; COMPUTE_PGM_RSRC2:TRAP_HANDLER: 0
; COMPUTE_PGM_RSRC2:TGID_X_EN: 1
; COMPUTE_PGM_RSRC2:TGID_Y_EN: 1
; COMPUTE_PGM_RSRC2:TGID_Z_EN: 1
; COMPUTE_PGM_RSRC2:TIDIG_COMP_CNT: 0
	.section	.text._Z39paged_attention_ll4mi_QKV_mfma16_kernelI14__hip_bfloat16S0_LN4vllm18Fp8KVCacheDataTypeE0ES0_Li32ELi128ELi256ELb1ELi16EL8MFMAType0EEvPKT_PKT0_S9_ifPKiSB_SB_iPKfiiiPfSE_PS4_PT2_iSD_SD_,"axG",@progbits,_Z39paged_attention_ll4mi_QKV_mfma16_kernelI14__hip_bfloat16S0_LN4vllm18Fp8KVCacheDataTypeE0ES0_Li32ELi128ELi256ELb1ELi16EL8MFMAType0EEvPKT_PKT0_S9_ifPKiSB_SB_iPKfiiiPfSE_PS4_PT2_iSD_SD_,comdat
	.protected	_Z39paged_attention_ll4mi_QKV_mfma16_kernelI14__hip_bfloat16S0_LN4vllm18Fp8KVCacheDataTypeE0ES0_Li32ELi128ELi256ELb1ELi16EL8MFMAType0EEvPKT_PKT0_S9_ifPKiSB_SB_iPKfiiiPfSE_PS4_PT2_iSD_SD_ ; -- Begin function _Z39paged_attention_ll4mi_QKV_mfma16_kernelI14__hip_bfloat16S0_LN4vllm18Fp8KVCacheDataTypeE0ES0_Li32ELi128ELi256ELb1ELi16EL8MFMAType0EEvPKT_PKT0_S9_ifPKiSB_SB_iPKfiiiPfSE_PS4_PT2_iSD_SD_
	.globl	_Z39paged_attention_ll4mi_QKV_mfma16_kernelI14__hip_bfloat16S0_LN4vllm18Fp8KVCacheDataTypeE0ES0_Li32ELi128ELi256ELb1ELi16EL8MFMAType0EEvPKT_PKT0_S9_ifPKiSB_SB_iPKfiiiPfSE_PS4_PT2_iSD_SD_
	.p2align	8
	.type	_Z39paged_attention_ll4mi_QKV_mfma16_kernelI14__hip_bfloat16S0_LN4vllm18Fp8KVCacheDataTypeE0ES0_Li32ELi128ELi256ELb1ELi16EL8MFMAType0EEvPKT_PKT0_S9_ifPKiSB_SB_iPKfiiiPfSE_PS4_PT2_iSD_SD_,@function
_Z39paged_attention_ll4mi_QKV_mfma16_kernelI14__hip_bfloat16S0_LN4vllm18Fp8KVCacheDataTypeE0ES0_Li32ELi128ELi256ELb1ELi16EL8MFMAType0EEvPKT_PKT0_S9_ifPKiSB_SB_iPKfiiiPfSE_PS4_PT2_iSD_SD_: ; @_Z39paged_attention_ll4mi_QKV_mfma16_kernelI14__hip_bfloat16S0_LN4vllm18Fp8KVCacheDataTypeE0ES0_Li32ELi128ELi256ELb1ELi16EL8MFMAType0EEvPKT_PKT0_S9_ifPKiSB_SB_iPKfiiiPfSE_PS4_PT2_iSD_SD_
; %bb.0:
	s_load_b64 s[2:3], s[0:1], 0x30
	s_mov_b32 s30, s13
	s_waitcnt lgkmcnt(0)
	s_cmp_lg_u64 s[2:3], 0
	s_cselect_b32 s6, -1, 0
	s_ashr_i32 s31, s13, 31
	s_cmp_eq_u64 s[2:3], 0
	s_cbranch_scc1 .LBB745_3
; %bb.1:
	s_lshl_b64 s[4:5], s[30:31], 2
	s_delay_alu instid0(SALU_CYCLE_1) | instskip(SKIP_4) | instid1(SALU_CYCLE_1)
	s_add_u32 s4, s2, s4
	s_addc_u32 s5, s3, s5
	s_load_b64 s[4:5], s[4:5], 0x0
	s_waitcnt lgkmcnt(0)
	s_sub_i32 s4, s5, s4
	s_cmp_eq_u32 s4, 1
	s_cselect_b32 s4, -1, 0
	s_delay_alu instid0(SALU_CYCLE_1)
	s_and_not1_b32 vcc_lo, exec_lo, s4
	s_cbranch_vccz .LBB745_4
.LBB745_2:
	s_endpgm
.LBB745_3:
.LBB745_4:
	s_load_b64 s[8:9], s[0:1], 0x28
	s_lshl_b64 s[4:5], s[30:31], 2
	s_waitcnt lgkmcnt(0)
	s_add_u32 s8, s8, s4
	s_addc_u32 s9, s9, s5
	s_lshl_b32 s12, s14, 8
	s_load_b32 s17, s[8:9], 0x0
	s_waitcnt lgkmcnt(0)
	s_cmp_ge_i32 s12, s17
	s_cbranch_scc1 .LBB745_2
; %bb.5:
	s_and_not1_b32 vcc_lo, exec_lo, s6
	s_cbranch_vccnz .LBB745_7
; %bb.6:
	s_add_u32 s2, s2, s4
	s_addc_u32 s3, s3, s5
	s_load_b32 s13, s[2:3], 0x0
	s_branch .LBB745_8
.LBB745_7:
	s_mov_b32 s13, s30
.LBB745_8:
	s_clause 0x2
	s_load_b128 s[8:11], s[0:1], 0x8
	s_load_b64 s[2:3], s[0:1], 0x20
	s_load_b128 s[4:7], s[0:1], 0x48
	v_and_b32_e32 v74, 15, v0
	s_waitcnt lgkmcnt(0)
	s_mov_b32 s7, exec_lo
	s_delay_alu instid0(VALU_DEP_1)
	v_lshlrev_b32_e32 v1, 3, v74
	v_cmpx_lt_u32_e32 0xff, v0
	s_xor_b32 s7, exec_lo, s7
; %bb.9:
	v_mov_b32_e32 v2, 0
; %bb.10:
	s_or_saveexec_b32 s7, s7
	v_lshrrev_b32_e32 v73, 5, v0
	v_and_b32_e32 v75, 31, v0
	v_and_b32_e32 v84, 1, v0
	v_bfe_u32 v83, v0, 4, 1
	s_lshl_b32 s29, s15, 4
	s_xor_b32 exec_lo, exec_lo, s7
	s_cbranch_execz .LBB745_12
; %bb.11:
	s_delay_alu instid0(VALU_DEP_1)
	v_lshl_or_b32 v7, v73, 1, v83
	s_load_b64 s[18:19], s[0:1], 0x0
	s_mul_hi_i32 s21, s13, s4
	s_mul_i32 s20, s13, s4
	v_lshlrev_b32_e32 v4, 1, v1
	v_or_b32_e32 v2, s29, v7
	s_lshl_b64 s[20:21], s[20:21], 1
	v_lshlrev_b32_e32 v7, 6, v7
	v_lshlrev_b32_e32 v8, 10, v84
	s_delay_alu instid0(VALU_DEP_3) | instskip(NEXT) | instid1(VALU_DEP_1)
	v_lshlrev_b32_e32 v2, 7, v2
	v_ashrrev_i32_e32 v3, 31, v2
	s_delay_alu instid0(VALU_DEP_1) | instskip(SKIP_3) | instid1(VALU_DEP_1)
	v_lshlrev_b64 v[2:3], 1, v[2:3]
	s_waitcnt lgkmcnt(0)
	s_add_u32 s4, s18, s20
	s_addc_u32 s13, s19, s21
	v_add_co_u32 v2, vcc_lo, s4, v2
	s_delay_alu instid0(VALU_DEP_2) | instskip(NEXT) | instid1(VALU_DEP_2)
	v_add_co_ci_u32_e32 v3, vcc_lo, s13, v3, vcc_lo
	v_add_co_u32 v2, vcc_lo, v2, v4
	s_delay_alu instid0(VALU_DEP_2) | instskip(SKIP_2) | instid1(VALU_DEP_1)
	v_add_co_ci_u32_e32 v3, vcc_lo, 0, v3, vcc_lo
	global_load_b128 v[3:6], v[2:3], off
	v_lshlrev_b32_e32 v2, 10, v74
	v_and_b32_e32 v2, 0x3800, v2
	s_delay_alu instid0(VALU_DEP_1)
	v_or3_b32 v7, v2, v8, v7
	v_mov_b32_e32 v2, 0
	s_waitcnt vmcnt(0)
	ds_store_b128 v7, v[3:6]
.LBB745_12:
	s_or_b32 exec_lo, exec_lo, s7
	v_and_b32_e32 v3, 0xef, v0
	s_add_i32 s4, s17, 31
	s_clause 0x1
	s_load_b32 s7, s[0:1], 0x38
	s_load_b32 s18, s[0:1], 0x1c
	s_ashr_i32 s13, s4, 31
	v_add_nc_u32_e32 v3, s12, v3
	s_lshr_b32 s13, s13, 27
	s_waitcnt lgkmcnt(0)
	s_add_i32 s4, s4, s13
	s_barrier
	v_ashrrev_i32_e32 v4, 31, v3
	v_cmp_gt_i32_e32 vcc_lo, s17, v3
	s_ashr_i32 s4, s4, 5
	buffer_gl0_inv
	s_add_i32 s4, s4, -1
	v_lshrrev_b32_e32 v5, 27, v4
	v_or_b32_e32 v4, 16, v3
	v_lshlrev_b64 v[81:82], 1, v[1:2]
	s_delay_alu instid0(VALU_DEP_3) | instskip(NEXT) | instid1(VALU_DEP_3)
	v_add_nc_u32_e32 v6, v3, v5
	v_add_nc_u32_e32 v5, v4, v5
	s_mul_i32 s20, s30, s7
	s_delay_alu instid0(SALU_CYCLE_1) | instskip(NEXT) | instid1(VALU_DEP_2)
	s_ashr_i32 s21, s20, 31
	v_ashrrev_i32_e32 v6, 5, v6
	s_delay_alu instid0(VALU_DEP_2) | instskip(SKIP_1) | instid1(SALU_CYCLE_1)
	v_ashrrev_i32_e32 v5, 5, v5
	s_lshl_b64 s[20:21], s[20:21], 2
	s_add_u32 s13, s2, s20
	s_delay_alu instid0(VALU_DEP_2) | instskip(SKIP_3) | instid1(SALU_CYCLE_1)
	v_cndmask_b32_e32 v3, s4, v6, vcc_lo
	v_cmp_gt_i32_e32 vcc_lo, s17, v4
	s_addc_u32 s16, s3, s21
	s_mul_i32 s2, s15, s6
	s_ashr_i32 s3, s2, 31
	v_cndmask_b32_e32 v5, s4, v5, vcc_lo
	v_ashrrev_i32_e32 v4, 31, v3
	s_lshl_b64 s[2:3], s[2:3], 1
	s_delay_alu instid0(SALU_CYCLE_1) | instskip(NEXT) | instid1(VALU_DEP_2)
	s_add_u32 s15, s8, s2
	v_ashrrev_i32_e32 v6, 31, v5
	s_delay_alu instid0(VALU_DEP_2) | instskip(SKIP_2) | instid1(VALU_DEP_2)
	v_lshlrev_b64 v[3:4], 2, v[3:4]
	s_addc_u32 s19, s9, s3
	s_lshl_b32 s6, s14, 3
	v_lshlrev_b64 v[5:6], 2, v[5:6]
	s_ashr_i32 s7, s6, 31
	s_delay_alu instid0(VALU_DEP_2) | instskip(SKIP_1) | instid1(VALU_DEP_3)
	v_add_co_u32 v3, vcc_lo, s13, v3
	v_add_co_ci_u32_e32 v4, vcc_lo, s16, v4, vcc_lo
	v_add_co_u32 v5, vcc_lo, s13, v5
	s_delay_alu instid0(VALU_DEP_4)
	v_add_co_ci_u32_e32 v6, vcc_lo, s16, v6, vcc_lo
	s_lshl_b64 s[6:7], s[6:7], 2
	s_clause 0x1
	global_load_b32 v7, v[3:4], off
	global_load_b32 v8, v[5:6], off
	s_add_u32 s6, s13, s6
	s_addc_u32 s7, s16, s7
	s_or_b32 s8, s12, 32
	s_delay_alu instid0(SALU_CYCLE_1) | instskip(SKIP_2) | instid1(SALU_CYCLE_1)
	s_ashr_i32 s9, s8, 5
	s_cmp_lt_i32 s8, s17
	s_cselect_b32 s8, s9, s4
	s_ashr_i32 s9, s8, 31
	s_delay_alu instid0(SALU_CYCLE_1) | instskip(NEXT) | instid1(SALU_CYCLE_1)
	s_lshl_b64 s[8:9], s[8:9], 2
	s_add_u32 s8, s13, s8
	s_addc_u32 s9, s16, s9
	s_or_b32 s20, s12, 64
	s_delay_alu instid0(SALU_CYCLE_1) | instskip(SKIP_2) | instid1(SALU_CYCLE_1)
	s_ashr_i32 s21, s20, 5
	s_cmp_lt_i32 s20, s17
	s_cselect_b32 s20, s21, s4
	s_ashr_i32 s21, s20, 31
	s_delay_alu instid0(SALU_CYCLE_1) | instskip(NEXT) | instid1(SALU_CYCLE_1)
	s_lshl_b64 s[20:21], s[20:21], 2
	;; [unrolled: 10-line block ×5, first 2 shown]
	s_add_u32 s26, s13, s26
	s_addc_u32 s27, s16, s27
	s_clause 0x5
	s_load_b32 s28, s[6:7], 0x0
	s_load_b32 s31, s[8:9], 0x0
	;; [unrolled: 1-line block ×6, first 2 shown]
	s_mov_b32 s20, 0
	s_or_b32 s6, s12, 0xc0
	s_mov_b32 s21, s20
	s_mov_b32 s22, s20
	;; [unrolled: 1-line block ×7, first 2 shown]
	v_lshlrev_b32_e32 v85, 6, v74
	v_dual_mov_b32 v109, s27 :: v_dual_mov_b32 v102, s20
	v_dual_mov_b32 v108, s26 :: v_dual_mov_b32 v107, s25
	;; [unrolled: 1-line block ×4, first 2 shown]
	s_ashr_i32 s7, s6, 5
	s_cmp_lt_i32 s6, s17
	s_waitcnt lgkmcnt(0)
	s_mul_hi_i32 s27, s34, s5
	s_cselect_b32 s6, s7, s4
	s_mul_i32 s26, s34, s5
	s_ashr_i32 s7, s6, 31
	s_mul_hi_i32 s9, s28, s5
	s_lshl_b64 s[6:7], s[6:7], 2
	s_mul_i32 s8, s28, s5
	s_add_u32 s6, s13, s6
	s_addc_u32 s7, s16, s7
	s_mul_hi_i32 s21, s31, s5
	s_mul_i32 s20, s31, s5
	s_mul_hi_i32 s25, s33, s5
	s_mul_i32 s24, s33, s5
	;; [unrolled: 2-line block ×3, first 2 shown]
	s_waitcnt vmcnt(1)
	v_mad_i64_i32 v[3:4], null, v7, s5, 0
	s_waitcnt vmcnt(0)
	v_mad_i64_i32 v[5:6], null, v8, s5, 0
	s_delay_alu instid0(VALU_DEP_2) | instskip(NEXT) | instid1(VALU_DEP_2)
	v_lshlrev_b64 v[3:4], 1, v[3:4]
	v_lshlrev_b64 v[1:2], 1, v[5:6]
	s_delay_alu instid0(VALU_DEP_2) | instskip(NEXT) | instid1(VALU_DEP_3)
	v_add_co_u32 v3, vcc_lo, s15, v3
	v_add_co_ci_u32_e32 v4, vcc_lo, s19, v4, vcc_lo
	s_delay_alu instid0(VALU_DEP_3) | instskip(NEXT) | instid1(VALU_DEP_4)
	v_add_co_u32 v1, vcc_lo, s15, v1
	v_add_co_ci_u32_e32 v2, vcc_lo, s19, v2, vcc_lo
	s_delay_alu instid0(VALU_DEP_4) | instskip(NEXT) | instid1(VALU_DEP_4)
	v_add_co_u32 v65, vcc_lo, v3, v81
	v_add_co_ci_u32_e32 v66, vcc_lo, v4, v82, vcc_lo
	s_delay_alu instid0(VALU_DEP_4) | instskip(NEXT) | instid1(VALU_DEP_4)
	v_add_co_u32 v76, vcc_lo, v1, v81
	v_add_co_ci_u32_e32 v77, vcc_lo, v2, v82, vcc_lo
	s_clause 0xf
	global_load_b128 v[1:4], v[65:66], off
	global_load_b128 v[5:8], v[65:66], off offset:512
	global_load_b128 v[9:12], v[76:77], off offset:256
	;; [unrolled: 1-line block ×15, first 2 shown]
	v_add_co_u32 v78, vcc_lo, 0x1000, v65
	v_add_co_ci_u32_e32 v79, vcc_lo, 0, v66, vcc_lo
	v_add_co_u32 v76, vcc_lo, 0x1000, v76
	s_clause 0x1
	global_load_b128 v[65:68], v[78:79], off
	global_load_b128 v[69:72], v[78:79], off offset:512
	v_add_co_ci_u32_e32 v77, vcc_lo, 0, v77, vcc_lo
	ds_load_b128 v[86:89], v85
	ds_load_b128 v[90:93], v85 offset:1024
	s_clause 0x1
	global_load_b128 v[94:97], v[76:77], off offset:256
	global_load_b128 v[98:101], v[76:77], off offset:768
	ds_load_b128 v[110:113], v85 offset:2048
	ds_load_b128 v[114:117], v85 offset:3072
	s_or_b32 s15, s12, 0xe0
	s_delay_alu instid0(SALU_CYCLE_1) | instskip(SKIP_2) | instid1(SALU_CYCLE_1)
	s_ashr_i32 s19, s15, 5
	s_cmp_lt_i32 s15, s17
	s_cselect_b32 s22, s19, s4
	s_ashr_i32 s23, s22, 31
	s_delay_alu instid0(SALU_CYCLE_1) | instskip(NEXT) | instid1(SALU_CYCLE_1)
	s_lshl_b64 s[22:23], s[22:23], 2
	s_add_u32 s22, s13, s22
	s_addc_u32 s23, s16, s23
	s_add_i32 s15, s12, 0x100
	s_delay_alu instid0(SALU_CYCLE_1)
	s_ashr_i32 s19, s15, 5
	s_cmp_lt_i32 s15, s17
	s_cselect_b32 s34, s19, s4
	s_waitcnt vmcnt(18) lgkmcnt(2)
	v_wmma_f32_16x16x16_bf16 v[118:125], v[1:8], v[86:93], v[102:109]
	s_waitcnt vmcnt(16)
	v_wmma_f32_16x16x16_bf16 v[102:109], v[9:16], v[86:93], v[102:109]
	s_clause 0x3
	global_load_b128 v[1:4], v[78:79], off offset:1024
	global_load_b128 v[5:8], v[78:79], off offset:1536
	;; [unrolled: 1-line block ×4, first 2 shown]
	s_waitcnt vmcnt(18) lgkmcnt(0)
	v_wmma_f32_16x16x16_bf16 v[118:125], v[17:24], v[110:117], v[118:125]
	s_clause 0x1
	global_load_b128 v[17:20], v[78:79], off offset:2048
	global_load_b128 v[21:24], v[78:79], off offset:2560
	s_waitcnt vmcnt(18)
	v_wmma_f32_16x16x16_bf16 v[102:109], v[25:32], v[110:117], v[102:109]
	ds_load_b128 v[25:28], v85 offset:4096
	ds_load_b128 v[29:32], v85 offset:5120
	s_clause 0x5
	global_load_b128 v[86:89], v[76:77], off offset:2304
	global_load_b128 v[90:93], v[76:77], off offset:2816
	;; [unrolled: 1-line block ×6, first 2 shown]
	s_waitcnt vmcnt(22) lgkmcnt(0)
	v_wmma_f32_16x16x16_bf16 v[118:125], v[33:40], v[25:32], v[118:125]
	s_waitcnt vmcnt(20)
	v_wmma_f32_16x16x16_bf16 v[102:109], v[41:48], v[25:32], v[102:109]
	ds_load_b128 v[25:28], v85 offset:6144
	ds_load_b128 v[29:32], v85 offset:7168
	;; [unrolled: 1-line block ×4, first 2 shown]
	v_lshl_or_b32 v41, v73, 10, v85
	s_waitcnt vmcnt(18) lgkmcnt(2)
	v_wmma_f32_16x16x16_bf16 v[118:125], v[49:56], v[25:32], v[118:125]
	s_waitcnt vmcnt(16)
	v_wmma_f32_16x16x16_bf16 v[102:109], v[57:64], v[25:32], v[102:109]
	ds_load_b128 v[25:28], v85 offset:10240
	ds_load_b128 v[29:32], v85 offset:11264
	;; [unrolled: 1-line block ×6, first 2 shown]
	s_load_b32 s15, s[6:7], 0x0
	s_mul_hi_i32 s7, s35, s5
	s_mul_i32 s6, s35, s5
	s_ashr_i32 s35, s34, 31
	s_waitcnt vmcnt(14) lgkmcnt(0)
	v_wmma_f32_16x16x16_bf16 v[118:125], v[65:72], v[33:40], v[118:125]
	s_lshl_b64 s[34:35], s[34:35], 2
	s_waitcnt vmcnt(12)
	v_wmma_f32_16x16x16_bf16 v[102:109], v[94:101], v[33:40], v[102:109]
	s_add_u32 s34, s13, s34
	s_addc_u32 s35, s16, s35
	s_add_u32 s4, s10, s2
	s_addc_u32 s19, s11, s3
	v_add_co_u32 v76, s4, s4, v41
	s_delay_alu instid0(VALU_DEP_1)
	v_add_co_ci_u32_e64 v77, null, s19, 0, s4
	s_lshl_b64 s[2:3], s[8:9], 1
	s_clause 0x1
	s_load_b32 s13, s[22:23], 0x0
	s_load_b32 s16, s[34:35], 0x0
	v_add_co_u32 v41, vcc_lo, v76, s2
	s_lshl_b64 s[8:9], s[20:21], 1
	v_add_co_ci_u32_e32 v42, vcc_lo, s3, v77, vcc_lo
	v_add_co_u32 v33, vcc_lo, v76, s8
	s_lshl_b64 s[10:11], s[24:25], 1
	v_add_co_ci_u32_e32 v34, vcc_lo, s9, v77, vcc_lo
	v_add_co_u32 v35, vcc_lo, v76, s10
	s_lshl_b64 s[20:21], s[26:27], 1
	v_add_co_ci_u32_e32 v36, vcc_lo, s11, v77, vcc_lo
	v_add_co_u32 v37, vcc_lo, v76, s20
	s_lshl_b64 s[6:7], s[6:7], 1
	v_add_co_ci_u32_e32 v38, vcc_lo, s21, v77, vcc_lo
	v_add_co_u32 v39, vcc_lo, v76, s6
	s_lshl_b64 s[22:23], s[36:37], 1
	s_mul_hi_i32 s25, s15, s5
	s_mul_i32 s24, s15, s5
	v_add_co_ci_u32_e32 v40, vcc_lo, s7, v77, vcc_lo
	s_lshl_b64 s[2:3], s[24:25], 1
	s_waitcnt lgkmcnt(0)
	s_mul_hi_i32 s7, s13, s5
	s_mul_i32 s6, s13, s5
	s_clause 0x3
	global_load_b128 v[65:68], v[41:42], off
	global_load_b128 v[69:72], v[41:42], off offset:16
	global_load_b128 v[57:60], v[33:34], off
	global_load_b128 v[61:64], v[33:34], off offset:16
	s_waitcnt vmcnt(14)
	v_wmma_f32_16x16x16_bf16 v[118:125], v[1:8], v[25:32], v[118:125]
	v_add_co_u32 v5, vcc_lo, v76, s22
	v_add_co_ci_u32_e32 v6, vcc_lo, s23, v77, vcc_lo
	s_waitcnt vmcnt(10)
	s_delay_alu instid0(VALU_DEP_3)
	v_wmma_f32_16x16x16_bf16 v[118:125], v[17:24], v[134:141], v[118:125]
	v_add_co_u32 v17, vcc_lo, v76, s2
	v_add_co_ci_u32_e32 v18, vcc_lo, s3, v77, vcc_lo
	s_lshl_b64 s[2:3], s[6:7], 1
	s_mul_hi_i32 s7, s16, s5
	s_mul_i32 s6, s16, s5
	v_add_co_u32 v19, vcc_lo, v76, s2
	v_add_co_ci_u32_e32 v20, vcc_lo, s3, v77, vcc_lo
	s_lshl_b64 s[2:3], s[6:7], 1
	v_wmma_f32_16x16x16_bf16 v[102:109], v[9:16], v[25:32], v[102:109]
	v_add_co_u32 v21, vcc_lo, v76, s2
	v_add_co_ci_u32_e32 v22, vcc_lo, s3, v77, vcc_lo
	s_clause 0xd
	global_load_b128 v[49:52], v[35:36], off
	global_load_b128 v[53:56], v[35:36], off offset:16
	global_load_b128 v[41:44], v[37:38], off
	global_load_b128 v[45:48], v[37:38], off offset:16
	global_load_b128 v[9:12], v[39:40], off
	global_load_b128 v[13:16], v[39:40], off offset:16
	global_load_b128 v[1:4], v[5:6], off
	global_load_b128 v[5:8], v[5:6], off offset:16
	global_load_b128 v[33:36], v[17:18], off
	global_load_b128 v[37:40], v[17:18], off offset:16
	global_load_b128 v[25:28], v[19:20], off
	global_load_b128 v[29:32], v[19:20], off offset:16
	global_load_b128 v[17:20], v[21:22], off
	global_load_b128 v[21:24], v[21:22], off offset:16
	v_and_b32_e32 v76, 0xe0, v0
	v_mbcnt_lo_u32_b32 v77, -1, 0
	s_waitcnt vmcnt(22)
	v_wmma_f32_16x16x16_bf16 v[102:109], v[86:93], v[134:141], v[102:109]
	s_waitcnt vmcnt(20)
	v_wmma_f32_16x16x16_bf16 v[118:125], v[110:117], v[142:149], v[118:125]
	s_waitcnt vmcnt(0)
	v_add_nc_u32_e32 v76, s12, v76
	v_xor_b32_e32 v78, 16, v77
	v_wmma_f32_16x16x16_bf16 v[102:109], v[126:133], v[142:149], v[102:109]
	v_dual_mul_f32 v100, s18, v125 :: v_dual_mul_f32 v97, s18, v118
	s_delay_alu instid0(VALU_DEP_4) | instskip(NEXT) | instid1(VALU_DEP_4)
	v_or_b32_e32 v76, v76, v83
	v_cmp_gt_i32_e32 vcc_lo, 32, v78
	v_mul_f32_e32 v99, s18, v119
	s_barrier
	buffer_gl0_inv
	v_or_b32_e32 v79, 4, v76
	v_cndmask_b32_e32 v77, v77, v78, vcc_lo
	v_or_b32_e32 v78, 2, v76
	v_or_b32_e32 v80, 6, v76
	v_cmp_gt_i32_e32 vcc_lo, s17, v76
	v_or_b32_e32 v86, 8, v76
	v_or_b32_e32 v87, 10, v76
	v_cmp_gt_i32_e64 s2, s17, v78
	v_or_b32_e32 v88, 12, v76
	v_or_b32_e32 v89, 14, v76
	;; [unrolled: 1-line block ×10, first 2 shown]
	v_cndmask_b32_e32 v76, 0xff7fffff, v97, vcc_lo
	v_cndmask_b32_e64 v78, 0xff7fffff, v99, s2
	v_mul_f32_e32 v99, s18, v121
	v_cmp_gt_i32_e64 s3, s17, v80
	v_mul_f32_e32 v80, s18, v120
	v_cmp_gt_i32_e64 s4, s17, v79
	v_max3_f32 v76, v76, 0xff7fffff, v78
	v_dual_mul_f32 v78, s18, v122 :: v_dual_mul_f32 v79, s18, v123
	v_cmp_gt_i32_e64 s5, s17, v86
	s_delay_alu instid0(VALU_DEP_4)
	v_cndmask_b32_e64 v80, 0xff7fffff, v80, s4
	v_cmp_gt_i32_e64 s6, s17, v87
	v_mul_f32_e32 v86, s18, v108
	v_cndmask_b32_e64 v99, 0xff7fffff, v99, s3
	v_mul_f32_e32 v97, s18, v124
	v_cndmask_b32_e64 v78, 0xff7fffff, v78, s5
	v_cndmask_b32_e64 v79, 0xff7fffff, v79, s6
	v_cmp_gt_i32_e64 s7, s17, v89
	v_max3_f32 v76, v76, v80, v99
	v_cmp_gt_i32_e64 s8, s17, v88
	v_dual_mul_f32 v99, s18, v106 :: v_dual_mul_f32 v88, s18, v103
	v_mul_f32_e32 v89, s18, v102
	s_delay_alu instid0(VALU_DEP_4)
	v_max3_f32 v76, v76, v78, v79
	v_mul_f32_e32 v78, s18, v105
	v_cndmask_b32_e64 v97, 0xff7fffff, v97, s8
	v_cndmask_b32_e64 v100, 0xff7fffff, v100, s7
	v_cmp_gt_i32_e64 s9, s17, v90
	v_cmp_gt_i32_e64 s10, s17, v91
	v_mul_f32_e32 v79, s18, v104
	v_cmp_gt_i32_e64 s11, s17, v92
	v_max3_f32 v76, v76, v97, v100
	v_cndmask_b32_e64 v89, 0xff7fffff, v89, s9
	v_cndmask_b32_e64 v88, 0xff7fffff, v88, s10
	v_cmp_gt_i32_e64 s12, s17, v93
	v_mul_f32_e32 v87, s18, v107
	v_cndmask_b32_e64 v79, 0xff7fffff, v79, s11
	v_cmp_gt_i32_e64 s13, s17, v94
	v_max3_f32 v76, v76, v89, v88
	v_cndmask_b32_e64 v78, 0xff7fffff, v78, s12
	v_cmp_gt_i32_e64 s15, s17, v95
	v_mul_f32_e32 v80, s18, v109
	v_cndmask_b32_e64 v88, 0xff7fffff, v99, s13
	v_cmp_gt_i32_e64 s16, s17, v96
	v_max3_f32 v76, v76, v79, v78
	v_cndmask_b32_e64 v87, 0xff7fffff, v87, s15
	v_cmp_gt_i32_e64 s17, s17, v98
	v_lshlrev_b32_e32 v99, 2, v77
	v_cndmask_b32_e64 v78, 0xff7fffff, v86, s16
	s_delay_alu instid0(VALU_DEP_4) | instskip(NEXT) | instid1(VALU_DEP_4)
	v_max3_f32 v76, v76, v88, v87
	v_cndmask_b32_e64 v79, 0xff7fffff, v80, s17
	s_delay_alu instid0(VALU_DEP_1) | instskip(SKIP_3) | instid1(VALU_DEP_1)
	v_max3_f32 v76, v76, v78, v79
	ds_bpermute_b32 v77, v99, v76
	s_waitcnt lgkmcnt(0)
	v_max_f32_e32 v77, v77, v77
	v_max_f32_e32 v89, v76, v77
	s_delay_alu instid0(VALU_DEP_1) | instskip(NEXT) | instid1(VALU_DEP_1)
	v_fma_f32 v80, s18, v122, -v89
	v_mul_f32_e32 v80, 0x3fb8aa3b, v80
	s_delay_alu instid0(VALU_DEP_1) | instskip(SKIP_3) | instid1(VALU_DEP_1)
	v_exp_f32_e32 v80, v80
	s_waitcnt_depctr 0xfff
	v_cndmask_b32_e64 v95, 0, v80, s5
	v_fma_f32 v80, s18, v103, -v89
	v_mul_f32_e32 v80, 0x3fb8aa3b, v80
	v_fma_f32 v78, s18, v120, -v89
	v_fma_f32 v86, s18, v124, -v89
	;; [unrolled: 1-line block ×5, first 2 shown]
	v_mul_f32_e32 v78, 0x3fb8aa3b, v78
	v_mul_f32_e32 v86, 0x3fb8aa3b, v86
	;; [unrolled: 1-line block ×3, first 2 shown]
	v_fma_f32 v98, s18, v108, -v89
	v_fma_f32 v100, s18, v109, -v89
	v_exp_f32_e32 v78, v78
	v_exp_f32_e32 v86, v86
	;; [unrolled: 1-line block ×4, first 2 shown]
	v_fma_f32 v87, s18, v106, -v89
	s_delay_alu instid0(VALU_DEP_1) | instskip(SKIP_2) | instid1(TRANS32_DEP_3)
	v_dual_mul_f32 v100, 0x3fb8aa3b, v100 :: v_dual_mul_f32 v87, 0x3fb8aa3b, v87
	v_cndmask_b32_e64 v92, 0, v78, s4
	v_fma_f32 v78, s18, v125, -v89
	v_cndmask_b32_e64 v93, 0, v86, s8
	v_fma_f32 v86, s18, v105, -v89
	v_mul_f32_e32 v77, 0x3fb8aa3b, v77
	s_delay_alu instid0(VALU_DEP_4) | instskip(SKIP_1) | instid1(VALU_DEP_3)
	v_dual_mul_f32 v79, 0x3fb8aa3b, v79 :: v_dual_mul_f32 v78, 0x3fb8aa3b, v78
	v_exp_f32_e32 v87, v87
	v_mul_f32_e32 v86, 0x3fb8aa3b, v86
	s_delay_alu instid0(VALU_DEP_3) | instskip(NEXT) | instid1(VALU_DEP_2)
	v_exp_f32_e32 v77, v77
	v_exp_f32_e32 v79, v79
	;; [unrolled: 1-line block ×5, first 2 shown]
	v_cndmask_b32_e64 v90, 0, v77, s2
	v_cndmask_b32_e64 v94, 0, v79, s3
	s_delay_alu instid0(TRANS32_DEP_3) | instskip(SKIP_4) | instid1(VALU_DEP_2)
	v_cndmask_b32_e64 v97, 0, v78, s7
	v_cndmask_b32_e32 v91, 0, v76, vcc_lo
	v_fma_f32 v76, s18, v123, -v89
	v_fma_f32 v79, s18, v102, -v89
	s_mov_b32 s2, exec_lo
	v_dual_add_f32 v77, 0, v91 :: v_dual_mul_f32 v76, 0x3fb8aa3b, v76
	s_delay_alu instid0(VALU_DEP_1) | instskip(NEXT) | instid1(VALU_DEP_2)
	v_add_f32_e32 v77, v77, v90
	v_exp_f32_e32 v76, v76
	s_delay_alu instid0(VALU_DEP_1) | instskip(NEXT) | instid1(VALU_DEP_1)
	v_add_f32_e32 v77, v77, v92
	v_add_f32_e32 v77, v77, v94
	s_waitcnt_depctr 0xfff
	v_cndmask_b32_e64 v96, 0, v76, s6
	v_add_f32_e32 v76, v77, v95
	v_fma_f32 v77, s18, v104, -v89
	s_delay_alu instid0(VALU_DEP_1) | instskip(NEXT) | instid1(VALU_DEP_1)
	v_dual_add_f32 v76, v76, v96 :: v_dual_mul_f32 v77, 0x3fb8aa3b, v77
	v_add_f32_e32 v78, v76, v93
	s_delay_alu instid0(VALU_DEP_2) | instskip(SKIP_1) | instid1(VALU_DEP_2)
	v_exp_f32_e32 v88, v77
	v_cndmask_b32_e64 v77, 0, v80, s10
	v_dual_mul_f32 v79, 0x3fb8aa3b, v79 :: v_dual_add_f32 v78, v78, v97
	s_delay_alu instid0(VALU_DEP_1) | instskip(SKIP_3) | instid1(VALU_DEP_1)
	v_exp_f32_e32 v79, v79
	s_waitcnt_depctr 0xfff
	v_cndmask_b32_e64 v76, 0, v79, s9
	v_fma_f32 v79, s18, v107, -v89
	v_dual_add_f32 v80, v78, v76 :: v_dual_mul_f32 v79, 0x3fb8aa3b, v79
	v_cndmask_b32_e64 v78, 0, v88, s11
	v_mul_f32_e32 v88, 0x3fb8aa3b, v98
	s_delay_alu instid0(VALU_DEP_3) | instskip(NEXT) | instid1(VALU_DEP_4)
	v_add_f32_e32 v80, v80, v77
	v_exp_f32_e32 v98, v79
	v_cndmask_b32_e64 v79, 0, v86, s12
	s_delay_alu instid0(VALU_DEP_3) | instskip(NEXT) | instid1(VALU_DEP_2)
	v_exp_f32_e32 v88, v88
	v_add_f32_e32 v86, v80, v78
	v_cndmask_b32_e64 v80, 0, v87, s13
	s_delay_alu instid0(VALU_DEP_2) | instskip(SKIP_4) | instid1(VALU_DEP_2)
	v_add_f32_e32 v87, v86, v79
	s_waitcnt_depctr 0xfff
	v_cndmask_b32_e64 v86, 0, v98, s15
	v_add_f32_e32 v98, v87, v80
	v_cndmask_b32_e64 v87, 0, v88, s16
	v_add_f32_e32 v88, v98, v86
	s_delay_alu instid0(VALU_DEP_1) | instskip(SKIP_1) | instid1(VALU_DEP_1)
	v_add_f32_e32 v98, v88, v87
	v_cndmask_b32_e64 v88, 0, v100, s17
	v_add_f32_e32 v98, v98, v88
	ds_bpermute_b32 v99, v99, v98
	v_cmpx_gt_u32_e32 16, v75
	s_cbranch_execz .LBB745_14
; %bb.13:
	v_mul_u32_u24_e32 v75, 0x44, v73
	s_waitcnt lgkmcnt(0)
	v_add_f32_e32 v98, v98, v99
	s_delay_alu instid0(VALU_DEP_2) | instskip(NEXT) | instid1(VALU_DEP_1)
	v_lshl_add_u32 v75, v74, 2, v75
	v_add_nc_u32_e32 v75, 0x4000, v75
	ds_store_2addr_b32 v75, v89, v98 offset1:136
.LBB745_14:
	s_or_b32 exec_lo, exec_lo, s2
	v_lshlrev_b32_e32 v74, 2, v74
	s_waitcnt lgkmcnt(0)
	s_barrier
	buffer_gl0_inv
	v_cmp_eq_u32_e64 s2, 1, v73
	v_add_nc_u32_e32 v89, 0x4000, v74
	ds_load_2addr_b32 v[98:99], v89 offset1:17
	ds_load_2addr_b32 v[100:101], v89 offset0:34 offset1:51
	ds_load_2addr_b32 v[102:103], v89 offset0:68 offset1:85
	;; [unrolled: 1-line block ×4, first 2 shown]
	s_waitcnt lgkmcnt(4)
	v_max3_f32 v74, v98, 0xff7fffff, v99
	s_waitcnt lgkmcnt(3)
	s_delay_alu instid0(VALU_DEP_1) | instskip(SKIP_1) | instid1(VALU_DEP_1)
	v_max3_f32 v74, v74, v100, v101
	s_waitcnt lgkmcnt(2)
	v_max3_f32 v74, v74, v102, v103
	s_waitcnt lgkmcnt(1)
	s_delay_alu instid0(VALU_DEP_1) | instskip(NEXT) | instid1(VALU_DEP_1)
	v_max3_f32 v74, v74, v104, v105
	v_sub_f32_e32 v108, v99, v74
	v_sub_f32_e32 v75, v98, v74
	ds_load_2addr_b32 v[98:99], v89 offset0:170 offset1:187
	v_sub_f32_e32 v100, v100, v74
	v_dual_mul_f32 v108, 0x3fb8aa3b, v108 :: v_dual_mul_f32 v75, 0x3fb8aa3b, v75
	s_delay_alu instid0(VALU_DEP_2) | instskip(NEXT) | instid1(VALU_DEP_2)
	v_mul_f32_e32 v110, 0x3fb8aa3b, v100
	v_exp_f32_e32 v108, v108
	s_delay_alu instid0(VALU_DEP_2)
	v_exp_f32_e32 v109, v75
	v_sub_f32_e32 v75, v101, v74
	ds_load_2addr_b32 v[100:101], v89 offset0:204 offset1:221
	v_exp_f32_e32 v110, v110
	v_mul_f32_e32 v111, 0x3fb8aa3b, v75
	s_waitcnt lgkmcnt(2)
	v_fma_f32 v75, v109, v106, 0
	v_sub_f32_e32 v102, v102, v74
	s_delay_alu instid0(VALU_DEP_3) | instskip(NEXT) | instid1(VALU_DEP_2)
	v_exp_f32_e32 v111, v111
	v_dual_sub_f32 v106, v103, v74 :: v_dual_fmac_f32 v75, v108, v107
	s_waitcnt lgkmcnt(1)
	s_waitcnt_depctr 0xfff
	v_fmac_f32_e32 v75, v110, v98
	v_mul_f32_e32 v112, 0x3fb8aa3b, v102
	ds_load_2addr_b32 v[102:103], v89 offset0:238 offset1:255
	v_sub_f32_e32 v89, v104, v74
	v_dual_sub_f32 v98, v105, v74 :: v_dual_fmac_f32 v75, v111, v99
	v_mul_f32_e32 v104, 0x3fb8aa3b, v106
	v_exp_f32_e32 v106, v112
	s_delay_alu instid0(VALU_DEP_2)
	v_dual_mul_f32 v89, 0x3fb8aa3b, v89 :: v_dual_mul_f32 v98, 0x3fb8aa3b, v98
	s_waitcnt lgkmcnt(0)
	s_barrier
	buffer_gl0_inv
	v_exp_f32_e32 v89, v89
	v_exp_f32_e32 v98, v98
	v_fmac_f32_e32 v75, v106, v100
	v_exp_f32_e32 v104, v104
	s_waitcnt_depctr 0xfff
	v_fmac_f32_e32 v75, v104, v101
	s_delay_alu instid0(VALU_DEP_1) | instskip(NEXT) | instid1(VALU_DEP_1)
	v_fmac_f32_e32 v75, v89, v102
	v_fmac_f32_e32 v75, v98, v103
	s_delay_alu instid0(VALU_DEP_1) | instskip(NEXT) | instid1(VALU_DEP_1)
	v_add_f32_e32 v99, 0x358637bd, v75
	v_div_scale_f32 v100, null, v99, v99, 1.0
	v_div_scale_f32 v103, vcc_lo, 1.0, v99, 1.0
	s_delay_alu instid0(VALU_DEP_2) | instskip(SKIP_2) | instid1(VALU_DEP_1)
	v_rcp_f32_e32 v101, v100
	s_waitcnt_depctr 0xfff
	v_fma_f32 v102, -v100, v101, 1.0
	v_fmac_f32_e32 v101, v102, v101
	v_cndmask_b32_e64 v102, v109, v108, s2
	v_cmp_eq_u32_e64 s2, 2, v73
	s_delay_alu instid0(VALU_DEP_3) | instskip(NEXT) | instid1(VALU_DEP_2)
	v_mul_f32_e32 v105, v103, v101
	v_cndmask_b32_e64 v102, v102, v110, s2
	v_cmp_eq_u32_e64 s2, 3, v73
	s_delay_alu instid0(VALU_DEP_3) | instskip(NEXT) | instid1(VALU_DEP_2)
	v_fma_f32 v107, -v100, v105, v103
	v_cndmask_b32_e64 v102, v102, v111, s2
	v_cmp_eq_u32_e64 s2, 4, v73
	s_delay_alu instid0(VALU_DEP_3) | instskip(NEXT) | instid1(VALU_DEP_2)
	v_fmac_f32_e32 v105, v107, v101
	v_cndmask_b32_e64 v102, v102, v106, s2
	s_delay_alu instid0(VALU_DEP_2) | instskip(SKIP_1) | instid1(VALU_DEP_2)
	v_fma_f32 v100, -v100, v105, v103
	v_cmp_eq_u32_e64 s2, 5, v73
	v_div_fmas_f32 v100, v100, v101, v105
	s_delay_alu instid0(VALU_DEP_2) | instskip(SKIP_2) | instid1(VALU_DEP_3)
	v_cndmask_b32_e64 v102, v102, v104, s2
	v_cmp_eq_u32_e32 vcc_lo, 6, v73
	s_mov_b32 s2, exec_lo
	v_div_fixup_f32 v99, v100, v99, 1.0
	s_delay_alu instid0(VALU_DEP_3) | instskip(SKIP_1) | instid1(VALU_DEP_2)
	v_cndmask_b32_e32 v89, v102, v89, vcc_lo
	v_cmp_eq_u32_e32 vcc_lo, 7, v73
	v_cndmask_b32_e32 v89, v89, v98, vcc_lo
	s_delay_alu instid0(VALU_DEP_1) | instskip(NEXT) | instid1(VALU_DEP_1)
	v_mul_f32_e32 v89, v89, v99
	v_mul_f32_e32 v99, v89, v91
	;; [unrolled: 1-line block ×6, first 2 shown]
	v_and_b32_e32 v100, 0x7f800000, v99
	v_mul_f32_e32 v98, v89, v94
	v_mul_f32_e32 v94, v89, v90
	v_mul_f32_e32 v95, v89, v92
                                        ; implicit-def: $vgpr90
	s_delay_alu instid0(VALU_DEP_4)
	v_cmpx_ne_u32_e32 0x7f800000, v100
	s_xor_b32 s2, exec_lo, s2
; %bb.15:
	v_bfe_u32 v90, v99, 16, 1
	s_delay_alu instid0(VALU_DEP_1)
	v_add3_u32 v90, v99, v90, 0x7fff
                                        ; implicit-def: $vgpr99
; %bb.16:
	s_and_not1_saveexec_b32 s2, s2
; %bb.17:
	v_and_b32_e32 v90, 0xffff, v99
	v_or_b32_e32 v92, 0x10000, v99
	s_delay_alu instid0(VALU_DEP_2) | instskip(NEXT) | instid1(VALU_DEP_2)
	v_cmp_eq_u32_e32 vcc_lo, 0, v90
	v_cndmask_b32_e32 v90, v92, v99, vcc_lo
; %bb.18:
	s_or_b32 exec_lo, exec_lo, s2
	v_and_b32_e32 v92, 0x7f800000, v94
	s_delay_alu instid0(VALU_DEP_1) | instskip(SKIP_1) | instid1(SALU_CYCLE_1)
	v_cmp_ne_u32_e32 vcc_lo, 0x7f800000, v92
                                        ; implicit-def: $vgpr92
	s_and_saveexec_b32 s2, vcc_lo
	s_xor_b32 s2, exec_lo, s2
; %bb.19:
	v_bfe_u32 v92, v94, 16, 1
	s_delay_alu instid0(VALU_DEP_1)
	v_add3_u32 v92, v94, v92, 0x7fff
                                        ; implicit-def: $vgpr94
; %bb.20:
	s_and_not1_saveexec_b32 s2, s2
; %bb.21:
	v_and_b32_e32 v92, 0xffff, v94
	v_or_b32_e32 v99, 0x10000, v94
	s_delay_alu instid0(VALU_DEP_2) | instskip(NEXT) | instid1(VALU_DEP_2)
	v_cmp_eq_u32_e32 vcc_lo, 0, v92
	v_cndmask_b32_e32 v92, v99, v94, vcc_lo
; %bb.22:
	s_or_b32 exec_lo, exec_lo, s2
	v_and_b32_e32 v94, 0x7f800000, v95
	s_delay_alu instid0(VALU_DEP_1) | instskip(SKIP_1) | instid1(SALU_CYCLE_1)
	v_cmp_ne_u32_e32 vcc_lo, 0x7f800000, v94
                                        ; implicit-def: $vgpr94
	s_and_saveexec_b32 s2, vcc_lo
	s_xor_b32 s2, exec_lo, s2
; %bb.23:
	v_bfe_u32 v94, v95, 16, 1
	s_delay_alu instid0(VALU_DEP_1)
	v_add3_u32 v94, v95, v94, 0x7fff
                                        ; implicit-def: $vgpr95
; %bb.24:
	s_and_not1_saveexec_b32 s2, s2
; %bb.25:
	v_and_b32_e32 v94, 0xffff, v95
	v_or_b32_e32 v99, 0x10000, v95
	s_delay_alu instid0(VALU_DEP_2) | instskip(NEXT) | instid1(VALU_DEP_2)
	v_cmp_eq_u32_e32 vcc_lo, 0, v94
	v_cndmask_b32_e32 v94, v99, v95, vcc_lo
; %bb.26:
	s_or_b32 exec_lo, exec_lo, s2
	v_and_b32_e32 v95, 0x7f800000, v98
	s_delay_alu instid0(VALU_DEP_1) | instskip(SKIP_1) | instid1(SALU_CYCLE_1)
	v_cmp_ne_u32_e32 vcc_lo, 0x7f800000, v95
                                        ; implicit-def: $vgpr95
	s_and_saveexec_b32 s2, vcc_lo
	s_xor_b32 s2, exec_lo, s2
; %bb.27:
	v_bfe_u32 v95, v98, 16, 1
	s_delay_alu instid0(VALU_DEP_1)
	v_add3_u32 v95, v98, v95, 0x7fff
                                        ; implicit-def: $vgpr98
; %bb.28:
	s_and_not1_saveexec_b32 s2, s2
; %bb.29:
	v_and_b32_e32 v95, 0xffff, v98
	v_or_b32_e32 v99, 0x10000, v98
	s_delay_alu instid0(VALU_DEP_2) | instskip(NEXT) | instid1(VALU_DEP_2)
	v_cmp_eq_u32_e32 vcc_lo, 0, v95
	v_cndmask_b32_e32 v95, v99, v98, vcc_lo
; %bb.30:
	s_or_b32 exec_lo, exec_lo, s2
	v_and_b32_e32 v98, 0x7f800000, v97
	s_delay_alu instid0(VALU_DEP_1) | instskip(SKIP_1) | instid1(SALU_CYCLE_1)
	v_cmp_ne_u32_e32 vcc_lo, 0x7f800000, v98
                                        ; implicit-def: $vgpr98
	s_and_saveexec_b32 s2, vcc_lo
	s_xor_b32 s2, exec_lo, s2
; %bb.31:
	v_bfe_u32 v98, v97, 16, 1
	s_delay_alu instid0(VALU_DEP_1)
	v_add3_u32 v98, v97, v98, 0x7fff
                                        ; implicit-def: $vgpr97
; %bb.32:
	s_and_not1_saveexec_b32 s2, s2
; %bb.33:
	v_and_b32_e32 v98, 0xffff, v97
	v_or_b32_e32 v99, 0x10000, v97
	s_delay_alu instid0(VALU_DEP_2) | instskip(NEXT) | instid1(VALU_DEP_2)
	v_cmp_eq_u32_e32 vcc_lo, 0, v98
	v_cndmask_b32_e32 v98, v99, v97, vcc_lo
; %bb.34:
	s_or_b32 exec_lo, exec_lo, s2
	v_and_b32_e32 v97, 0x7f800000, v96
	s_delay_alu instid0(VALU_DEP_1) | instskip(SKIP_1) | instid1(SALU_CYCLE_1)
	v_cmp_ne_u32_e32 vcc_lo, 0x7f800000, v97
                                        ; implicit-def: $vgpr97
	s_and_saveexec_b32 s2, vcc_lo
	s_xor_b32 s2, exec_lo, s2
; %bb.35:
	v_bfe_u32 v97, v96, 16, 1
	s_delay_alu instid0(VALU_DEP_1)
	v_add3_u32 v97, v96, v97, 0x7fff
                                        ; implicit-def: $vgpr96
; %bb.36:
	s_and_not1_saveexec_b32 s2, s2
; %bb.37:
	v_and_b32_e32 v97, 0xffff, v96
	v_or_b32_e32 v99, 0x10000, v96
	s_delay_alu instid0(VALU_DEP_2) | instskip(NEXT) | instid1(VALU_DEP_2)
	v_cmp_eq_u32_e32 vcc_lo, 0, v97
	v_cndmask_b32_e32 v97, v99, v96, vcc_lo
; %bb.38:
	s_or_b32 exec_lo, exec_lo, s2
	v_and_b32_e32 v96, 0x7f800000, v93
	s_delay_alu instid0(VALU_DEP_1) | instskip(SKIP_1) | instid1(SALU_CYCLE_1)
	v_cmp_ne_u32_e32 vcc_lo, 0x7f800000, v96
                                        ; implicit-def: $vgpr96
	s_and_saveexec_b32 s2, vcc_lo
	s_xor_b32 s2, exec_lo, s2
; %bb.39:
	v_bfe_u32 v96, v93, 16, 1
	s_delay_alu instid0(VALU_DEP_1)
	v_add3_u32 v96, v93, v96, 0x7fff
                                        ; implicit-def: $vgpr93
; %bb.40:
	s_and_not1_saveexec_b32 s2, s2
; %bb.41:
	v_and_b32_e32 v96, 0xffff, v93
	v_or_b32_e32 v99, 0x10000, v93
	s_delay_alu instid0(VALU_DEP_2) | instskip(NEXT) | instid1(VALU_DEP_2)
	v_cmp_eq_u32_e32 vcc_lo, 0, v96
	v_cndmask_b32_e32 v96, v99, v93, vcc_lo
; %bb.42:
	s_or_b32 exec_lo, exec_lo, s2
	v_and_b32_e32 v93, 0x7f800000, v91
	s_delay_alu instid0(VALU_DEP_1) | instskip(SKIP_1) | instid1(SALU_CYCLE_1)
	v_cmp_ne_u32_e32 vcc_lo, 0x7f800000, v93
                                        ; implicit-def: $vgpr93
	s_and_saveexec_b32 s2, vcc_lo
	s_xor_b32 s2, exec_lo, s2
; %bb.43:
	v_bfe_u32 v93, v91, 16, 1
	s_delay_alu instid0(VALU_DEP_1)
	v_add3_u32 v93, v91, v93, 0x7fff
                                        ; implicit-def: $vgpr91
; %bb.44:
	s_and_not1_saveexec_b32 s2, s2
; %bb.45:
	v_and_b32_e32 v93, 0xffff, v91
	v_or_b32_e32 v99, 0x10000, v91
	s_delay_alu instid0(VALU_DEP_2) | instskip(NEXT) | instid1(VALU_DEP_2)
	v_cmp_eq_u32_e32 vcc_lo, 0, v93
	v_cndmask_b32_e32 v93, v99, v91, vcc_lo
; %bb.46:
	s_or_b32 exec_lo, exec_lo, s2
	s_load_b64 s[34:35], s[0:1], 0x94
	v_lshlrev_b32_e32 v91, 4, v83
	s_delay_alu instid0(VALU_DEP_2)
	v_perm_b32 v99, v93, v96, 0x7060302
	v_dual_mul_f32 v88, v89, v88 :: v_dual_lshlrev_b32 v93, 11, v73
	v_perm_b32 v96, v92, v90, 0x7060302
	v_mul_f32_e32 v92, v89, v76
	v_perm_b32 v98, v97, v98, 0x7060302
	v_perm_b32 v97, v95, v94, 0x7060302
	v_or3_b32 v76, v91, v93, v85
	v_mul_f32_e32 v87, v89, v87
	v_dual_mul_f32 v86, v89, v86 :: v_dual_and_b32 v93, 0x7f800000, v92
	v_mul_f32_e32 v80, v89, v80
	v_mul_f32_e32 v90, v89, v79
	;; [unrolled: 1-line block ×4, first 2 shown]
	s_mov_b32 s2, exec_lo
	ds_store_b128 v76, v[96:99]
                                        ; implicit-def: $vgpr77
	v_cmpx_ne_u32_e32 0x7f800000, v93
	s_xor_b32 s2, exec_lo, s2
; %bb.47:
	v_bfe_u32 v77, v92, 16, 1
	s_delay_alu instid0(VALU_DEP_1)
	v_add3_u32 v77, v92, v77, 0x7fff
                                        ; implicit-def: $vgpr92
; %bb.48:
	s_and_not1_saveexec_b32 s2, s2
; %bb.49:
	v_and_b32_e32 v77, 0xffff, v92
	v_or_b32_e32 v78, 0x10000, v92
	s_delay_alu instid0(VALU_DEP_2) | instskip(NEXT) | instid1(VALU_DEP_2)
	v_cmp_eq_u32_e32 vcc_lo, 0, v77
	v_cndmask_b32_e32 v77, v78, v92, vcc_lo
; %bb.50:
	s_or_b32 exec_lo, exec_lo, s2
	v_and_b32_e32 v78, 0x7f800000, v79
	s_delay_alu instid0(VALU_DEP_1) | instskip(SKIP_1) | instid1(SALU_CYCLE_1)
	v_cmp_ne_u32_e32 vcc_lo, 0x7f800000, v78
                                        ; implicit-def: $vgpr78
	s_and_saveexec_b32 s2, vcc_lo
	s_xor_b32 s2, exec_lo, s2
; %bb.51:
	v_bfe_u32 v78, v79, 16, 1
	s_delay_alu instid0(VALU_DEP_1)
	v_add3_u32 v78, v79, v78, 0x7fff
                                        ; implicit-def: $vgpr79
; %bb.52:
	s_and_not1_saveexec_b32 s2, s2
; %bb.53:
	v_and_b32_e32 v78, 0xffff, v79
	v_or_b32_e32 v89, 0x10000, v79
	s_delay_alu instid0(VALU_DEP_2) | instskip(NEXT) | instid1(VALU_DEP_2)
	v_cmp_eq_u32_e32 vcc_lo, 0, v78
	v_cndmask_b32_e32 v78, v89, v79, vcc_lo
; %bb.54:
	s_or_b32 exec_lo, exec_lo, s2
	v_and_b32_e32 v79, 0x7f800000, v91
	s_delay_alu instid0(VALU_DEP_1) | instskip(SKIP_1) | instid1(SALU_CYCLE_1)
	v_cmp_ne_u32_e32 vcc_lo, 0x7f800000, v79
                                        ; implicit-def: $vgpr79
	s_and_saveexec_b32 s2, vcc_lo
	s_xor_b32 s2, exec_lo, s2
; %bb.55:
	v_bfe_u32 v79, v91, 16, 1
	s_delay_alu instid0(VALU_DEP_1)
	v_add3_u32 v79, v91, v79, 0x7fff
                                        ; implicit-def: $vgpr91
; %bb.56:
	s_and_not1_saveexec_b32 s2, s2
; %bb.57:
	v_and_b32_e32 v79, 0xffff, v91
	v_or_b32_e32 v89, 0x10000, v91
	s_delay_alu instid0(VALU_DEP_2) | instskip(NEXT) | instid1(VALU_DEP_2)
	v_cmp_eq_u32_e32 vcc_lo, 0, v79
	v_cndmask_b32_e32 v79, v89, v91, vcc_lo
; %bb.58:
	s_or_b32 exec_lo, exec_lo, s2
	v_and_b32_e32 v89, 0x7f800000, v90
	s_delay_alu instid0(VALU_DEP_1) | instskip(SKIP_1) | instid1(SALU_CYCLE_1)
	v_cmp_ne_u32_e32 vcc_lo, 0x7f800000, v89
                                        ; implicit-def: $vgpr89
	s_and_saveexec_b32 s2, vcc_lo
	s_xor_b32 s2, exec_lo, s2
; %bb.59:
	v_bfe_u32 v89, v90, 16, 1
	s_delay_alu instid0(VALU_DEP_1)
	v_add3_u32 v89, v90, v89, 0x7fff
                                        ; implicit-def: $vgpr90
; %bb.60:
	s_and_not1_saveexec_b32 s2, s2
; %bb.61:
	v_and_b32_e32 v89, 0xffff, v90
	v_or_b32_e32 v91, 0x10000, v90
	s_delay_alu instid0(VALU_DEP_2) | instskip(NEXT) | instid1(VALU_DEP_2)
	v_cmp_eq_u32_e32 vcc_lo, 0, v89
	v_cndmask_b32_e32 v89, v91, v90, vcc_lo
; %bb.62:
	s_or_b32 exec_lo, exec_lo, s2
	v_and_b32_e32 v90, 0x7f800000, v80
	s_delay_alu instid0(VALU_DEP_1) | instskip(SKIP_1) | instid1(SALU_CYCLE_1)
	v_cmp_ne_u32_e32 vcc_lo, 0x7f800000, v90
                                        ; implicit-def: $vgpr90
	s_and_saveexec_b32 s2, vcc_lo
	s_xor_b32 s2, exec_lo, s2
; %bb.63:
	v_bfe_u32 v90, v80, 16, 1
	s_delay_alu instid0(VALU_DEP_1)
	v_add3_u32 v90, v80, v90, 0x7fff
                                        ; implicit-def: $vgpr80
; %bb.64:
	s_and_not1_saveexec_b32 s2, s2
; %bb.65:
	v_and_b32_e32 v90, 0xffff, v80
	v_or_b32_e32 v91, 0x10000, v80
	s_delay_alu instid0(VALU_DEP_2) | instskip(NEXT) | instid1(VALU_DEP_2)
	v_cmp_eq_u32_e32 vcc_lo, 0, v90
	v_cndmask_b32_e32 v90, v91, v80, vcc_lo
; %bb.66:
	s_or_b32 exec_lo, exec_lo, s2
	v_and_b32_e32 v80, 0x7f800000, v86
	s_delay_alu instid0(VALU_DEP_1) | instskip(SKIP_1) | instid1(SALU_CYCLE_1)
	v_cmp_ne_u32_e32 vcc_lo, 0x7f800000, v80
                                        ; implicit-def: $vgpr80
	s_and_saveexec_b32 s2, vcc_lo
	s_xor_b32 s2, exec_lo, s2
; %bb.67:
	v_bfe_u32 v80, v86, 16, 1
	s_delay_alu instid0(VALU_DEP_1)
	v_add3_u32 v80, v86, v80, 0x7fff
                                        ; implicit-def: $vgpr86
; %bb.68:
	s_and_not1_saveexec_b32 s2, s2
; %bb.69:
	v_and_b32_e32 v80, 0xffff, v86
	v_or_b32_e32 v91, 0x10000, v86
	s_delay_alu instid0(VALU_DEP_2) | instskip(NEXT) | instid1(VALU_DEP_2)
	v_cmp_eq_u32_e32 vcc_lo, 0, v80
	v_cndmask_b32_e32 v80, v91, v86, vcc_lo
; %bb.70:
	s_or_b32 exec_lo, exec_lo, s2
	v_and_b32_e32 v86, 0x7f800000, v87
	s_delay_alu instid0(VALU_DEP_1) | instskip(SKIP_1) | instid1(SALU_CYCLE_1)
	v_cmp_ne_u32_e32 vcc_lo, 0x7f800000, v86
                                        ; implicit-def: $vgpr86
	s_and_saveexec_b32 s2, vcc_lo
	s_xor_b32 s2, exec_lo, s2
; %bb.71:
	v_bfe_u32 v86, v87, 16, 1
	s_delay_alu instid0(VALU_DEP_1)
	v_add3_u32 v86, v87, v86, 0x7fff
                                        ; implicit-def: $vgpr87
; %bb.72:
	s_and_not1_saveexec_b32 s2, s2
; %bb.73:
	v_and_b32_e32 v86, 0xffff, v87
	v_or_b32_e32 v91, 0x10000, v87
	s_delay_alu instid0(VALU_DEP_2) | instskip(NEXT) | instid1(VALU_DEP_2)
	v_cmp_eq_u32_e32 vcc_lo, 0, v86
	v_cndmask_b32_e32 v86, v91, v87, vcc_lo
; %bb.74:
	s_or_b32 exec_lo, exec_lo, s2
	v_and_b32_e32 v87, 0x7f800000, v88
	s_delay_alu instid0(VALU_DEP_1) | instskip(SKIP_1) | instid1(SALU_CYCLE_1)
	v_cmp_ne_u32_e32 vcc_lo, 0x7f800000, v87
                                        ; implicit-def: $vgpr87
	s_and_saveexec_b32 s2, vcc_lo
	s_xor_b32 s2, exec_lo, s2
; %bb.75:
	v_bfe_u32 v87, v88, 16, 1
	s_delay_alu instid0(VALU_DEP_1)
	v_add3_u32 v87, v88, v87, 0x7fff
                                        ; implicit-def: $vgpr88
; %bb.76:
	s_and_not1_saveexec_b32 s2, s2
; %bb.77:
	v_and_b32_e32 v87, 0xffff, v88
	v_or_b32_e32 v91, 0x10000, v88
	s_delay_alu instid0(VALU_DEP_2) | instskip(NEXT) | instid1(VALU_DEP_2)
	v_cmp_eq_u32_e32 vcc_lo, 0, v87
	v_cndmask_b32_e32 v87, v91, v88, vcc_lo
; %bb.78:
	s_or_b32 exec_lo, exec_lo, s2
	s_delay_alu instid0(VALU_DEP_1)
	v_perm_b32 v94, v87, v86, 0x7060302
	v_perm_b32 v93, v80, v90, 0x7060302
	;; [unrolled: 1-line block ×4, first 2 shown]
	v_lshl_or_b32 v90, v73, 11, v85
	ds_store_b128 v76, v[91:94] offset:1024
	s_waitcnt lgkmcnt(0)
	s_barrier
	buffer_gl0_inv
	ds_load_b128 v[77:80], v90
	ds_load_b128 v[91:94], v90 offset:16
	s_waitcnt lgkmcnt(1)
	v_lshrrev_b32_e32 v73, 16, v77
	s_waitcnt lgkmcnt(0)
	v_lshrrev_b32_e32 v108, 16, v94
	v_lshlrev_b32_e32 v87, 2, v83
	v_lshrrev_b32_e32 v99, 16, v91
	v_lshrrev_b32_e32 v103, 16, v78
	;; [unrolled: 1-line block ×4, first 2 shown]
	v_or_b32_e32 v88, 1, v87
	v_cmp_eq_u32_e32 vcc_lo, 1, v87
	v_cmp_eq_u32_e64 s3, 2, v87
	v_cmp_eq_u32_e64 s6, 3, v87
	v_cmp_eq_u32_e64 s8, 4, v87
	v_cmp_eq_u32_e64 s2, 1, v88
	v_cndmask_b32_e32 v89, v77, v73, vcc_lo
	v_cndmask_b32_e32 v95, v91, v99, vcc_lo
	v_cmp_eq_u32_e64 s5, 2, v88
	v_cmp_eq_u32_e64 s7, 3, v88
	v_cndmask_b32_e64 v96, v77, v73, s2
	v_cndmask_b32_e64 v89, v89, v78, s3
	;; [unrolled: 1-line block ×3, first 2 shown]
	v_or_b32_e32 v86, 2, v87
	v_lshrrev_b32_e32 v107, 16, v93
	v_cndmask_b32_e64 v96, v96, v78, s5
	v_cndmask_b32_e64 v89, v89, v103, s6
	;; [unrolled: 1-line block ×4, first 2 shown]
	v_cmp_eq_u32_e64 s9, 5, v87
	v_cndmask_b32_e64 v96, v96, v103, s7
	v_cndmask_b32_e64 v89, v89, v79, s8
	;; [unrolled: 1-line block ×3, first 2 shown]
	v_cmp_eq_u32_e64 s10, 4, v88
	v_cmp_eq_u32_e64 s4, 1, v86
	v_cndmask_b32_e64 v97, v97, v92, s5
	v_cndmask_b32_e64 v89, v89, v104, s9
	v_cmp_eq_u32_e64 s11, 6, v87
	v_cndmask_b32_e64 v96, v96, v79, s10
	v_cndmask_b32_e64 v95, v95, v107, s9
	v_cmp_eq_u32_e64 s12, 5, v88
	v_lshrrev_b32_e32 v105, 16, v80
	v_cndmask_b32_e64 v98, v77, v73, s4
	v_cndmask_b32_e64 v97, v97, v106, s7
	;; [unrolled: 1-line block ×4, first 2 shown]
	v_cmp_eq_u32_e64 s13, 7, v87
	v_cndmask_b32_e64 v95, v95, v94, s11
	v_cmp_eq_u32_e64 s15, 6, v88
	v_cmp_eq_u32_e64 s16, 2, v86
	v_cndmask_b32_e64 v97, v97, v93, s10
	v_cndmask_b32_e64 v109, v89, v105, s13
	;; [unrolled: 1-line block ×6, first 2 shown]
	v_cmp_eq_u32_e64 s17, 7, v88
	v_cmp_eq_u32_e64 s18, 3, v86
	;; [unrolled: 1-line block ×4, first 2 shown]
	v_cndmask_b32_e64 v95, v95, v92, s16
	v_cndmask_b32_e64 v111, v96, v105, s17
	;; [unrolled: 1-line block ×4, first 2 shown]
	v_or_b32_e32 v89, 3, v87
	v_cndmask_b32_e64 v101, v95, v106, s18
	v_cmp_eq_u32_e64 s23, 6, v86
	v_cndmask_b32_e64 v112, v96, v94, s15
	v_cndmask_b32_e64 v100, v97, v79, s19
	v_cmp_eq_u32_e64 s20, 1, v89
	ds_load_b128 v[95:98], v90 offset:1024
	v_cmp_eq_u32_e64 s22, 2, v89
	v_cmp_eq_u32_e64 s24, 3, v89
	v_cndmask_b32_e64 v113, v100, v104, s21
	v_cndmask_b32_e64 v73, v77, v73, s20
	;; [unrolled: 1-line block ×4, first 2 shown]
	ds_load_b128 v[99:102], v90 offset:1040
	v_cmp_eq_u32_e64 s25, 4, v89
	v_cndmask_b32_e64 v73, v73, v78, s22
	v_cmp_eq_u32_e64 s26, 7, v86
	v_cndmask_b32_e64 v78, v91, v92, s22
	v_cndmask_b32_e64 v92, v113, v80, s23
	v_cmp_eq_u32_e64 s27, 5, v89
	v_cndmask_b32_e64 v73, v73, v103, s24
	v_cndmask_b32_e64 v77, v77, v107, s21
	;; [unrolled: 1-line block ×3, first 2 shown]
	v_cmp_eq_u32_e64 s28, 6, v89
	v_cndmask_b32_e64 v91, v112, v108, s17
	v_cndmask_b32_e64 v73, v73, v79, s25
	s_waitcnt lgkmcnt(1)
	v_lshrrev_b32_e32 v103, 16, v95
	v_cndmask_b32_e64 v78, v78, v93, s25
	v_cndmask_b32_e64 v79, v92, v105, s26
	;; [unrolled: 1-line block ×4, first 2 shown]
	v_cndmask_b32_e32 v92, v95, v103, vcc_lo
	v_cndmask_b32_e64 v78, v78, v107, s27
	s_waitcnt lgkmcnt(0)
	v_lshrrev_b32_e32 v93, 16, v99
	v_lshrrev_b32_e32 v104, 16, v96
	v_cndmask_b32_e64 v106, v95, v103, s2
	v_cndmask_b32_e64 v92, v92, v96, s3
	;; [unrolled: 1-line block ×3, first 2 shown]
	v_cndmask_b32_e32 v107, v99, v93, vcc_lo
	v_cndmask_b32_e64 v78, v78, v94, s28
	v_cmp_eq_u32_e32 vcc_lo, 7, v89
	v_cndmask_b32_e64 v80, v92, v104, s6
	v_cndmask_b32_e64 v92, v106, v96, s5
	;; [unrolled: 1-line block ×3, first 2 shown]
	v_lshrrev_b32_e32 v106, 16, v100
	v_cndmask_b32_e64 v77, v77, v108, s26
	v_cndmask_b32_e32 v78, v78, v108, vcc_lo
	v_lshrrev_b32_e32 v108, 16, v101
	v_cndmask_b32_e64 v80, v80, v97, s8
	v_cndmask_b32_e64 v94, v94, v106, s6
	v_lshrrev_b32_e32 v107, 16, v97
	v_cndmask_b32_e32 v73, v73, v105, vcc_lo
	v_perm_b32 v79, v77, v79, 0x5040100
	v_cndmask_b32_e64 v92, v92, v104, s7
	v_cndmask_b32_e64 v94, v94, v101, s8
	v_cndmask_b32_e64 v105, v80, v107, s9
	v_perm_b32 v80, v78, v73, 0x5040100
	v_perm_b32 v78, v91, v111, 0x5040100
	v_cndmask_b32_e64 v111, v99, v93, s4
	v_cndmask_b32_e64 v94, v94, v108, s9
	;; [unrolled: 1-line block ×3, first 2 shown]
	s_delay_alu instid0(VALU_DEP_2)
	v_cndmask_b32_e64 v77, v94, v102, s11
	v_cndmask_b32_e64 v94, v95, v103, s4
	;; [unrolled: 1-line block ×22, first 2 shown]
	v_lshrrev_b32_e32 v105, 16, v98
	v_cndmask_b32_e64 v94, v94, v107, s21
	v_cndmask_b32_e64 v95, v95, v107, s27
	v_cndmask_b32_e64 v96, v96, v108, s27
	v_cndmask_b32_e64 v97, v97, v108, s21
	v_cndmask_b32_e64 v93, v93, v108, s12
	v_cndmask_b32_e64 v73, v73, v98, s15
	v_cndmask_b32_e64 v91, v92, v105, s13
	v_lshrrev_b32_e32 v92, 16, v102
	v_cndmask_b32_e64 v94, v94, v98, s23
	v_cndmask_b32_e64 v95, v95, v98, s28
	;; [unrolled: 1-line block ×7, first 2 shown]
	v_dual_cndmask_b32 v94, v95, v105 :: v_dual_cndmask_b32 v95, v96, v92
	v_cndmask_b32_e64 v96, v97, v92, s26
	v_cndmask_b32_e64 v97, v93, v92, s17
	;; [unrolled: 1-line block ×3, first 2 shown]
	v_perm_b32 v77, v110, v109, 0x5040100
	v_perm_b32 v94, v95, v94, 0x5040100
	;; [unrolled: 1-line block ×5, first 2 shown]
	s_lshl_b32 s7, s35, 4
	s_mov_b32 s2, exec_lo
	ds_store_b128 v76, v[77:80]
	ds_store_b128 v76, v[91:94] offset:1024
	v_cmpx_gt_u32_e32 16, v0
	s_cbranch_execz .LBB745_80
; %bb.79:
	v_or_b32_e32 v73, s29, v0
	s_load_b128 s[8:11], s[0:1], 0x58
	s_delay_alu instid0(VALU_DEP_1) | instskip(NEXT) | instid1(VALU_DEP_1)
	v_mad_u64_u32 v[76:77], null, s7, s30, v[73:74]
	v_mad_u64_u32 v[77:78], null, v76, s34, s[14:15]
	s_delay_alu instid0(VALU_DEP_1) | instskip(NEXT) | instid1(VALU_DEP_1)
	v_ashrrev_i32_e32 v78, 31, v77
	v_lshlrev_b64 v[76:77], 2, v[77:78]
	s_waitcnt lgkmcnt(0)
	s_delay_alu instid0(VALU_DEP_1) | instskip(NEXT) | instid1(VALU_DEP_2)
	v_add_co_u32 v78, vcc_lo, s10, v76
	v_add_co_ci_u32_e32 v79, vcc_lo, s11, v77, vcc_lo
	v_add_co_u32 v76, vcc_lo, s8, v76
	v_add_co_ci_u32_e32 v77, vcc_lo, s9, v77, vcc_lo
	global_store_b32 v[78:79], v74, off
	global_store_b32 v[76:77], v75, off
.LBB745_80:
	s_or_b32 exec_lo, exec_lo, s2
	s_waitcnt lgkmcnt(0)
	s_waitcnt_vscnt null, 0x0
	s_barrier
	buffer_gl0_inv
	ds_load_b128 v[91:94], v85
	ds_load_b128 v[95:98], v85 offset:16
	ds_load_b128 v[103:106], v85 offset:1040
	;; [unrolled: 1-line block ×3, first 2 shown]
	v_mov_b32_e32 v73, 0
	ds_load_b128 v[111:114], v85 offset:2064
	ds_load_b128 v[107:110], v85 offset:2048
	;; [unrolled: 1-line block ×6, first 2 shown]
	v_mov_b32_e32 v74, v73
	v_mov_b32_e32 v75, v73
	;; [unrolled: 1-line block ×7, first 2 shown]
	s_waitcnt lgkmcnt(8)
	s_delay_alu instid0(VALU_DEP_1)
	v_wmma_f32_16x16x16_bf16 v[73:80], v[65:72], v[91:98], v[73:80]
	ds_load_b128 v[69:72], v85 offset:5136
	ds_load_b128 v[65:68], v85 offset:5120
	;; [unrolled: 1-line block ×4, first 2 shown]
	s_waitcnt lgkmcnt(10)
	v_wmma_f32_16x16x16_bf16 v[73:80], v[57:64], v[99:106], v[73:80]
	s_waitcnt lgkmcnt(8)
	s_delay_alu instid0(VALU_DEP_1)
	v_wmma_f32_16x16x16_bf16 v[73:80], v[57:64], v[107:114], v[73:80]
	ds_load_b128 v[61:64], v85 offset:7184
	ds_load_b128 v[57:60], v85 offset:7168
	;; [unrolled: 1-line block ×4, first 2 shown]
	s_waitcnt lgkmcnt(10)
	v_wmma_f32_16x16x16_bf16 v[73:80], v[49:56], v[115:122], v[73:80]
	s_waitcnt lgkmcnt(8)
	s_delay_alu instid0(VALU_DEP_1)
	v_wmma_f32_16x16x16_bf16 v[73:80], v[49:56], v[123:130], v[73:80]
	ds_load_b128 v[53:56], v85 offset:9232
	ds_load_b128 v[49:52], v85 offset:9216
	s_waitcnt lgkmcnt(8)
	v_wmma_f32_16x16x16_bf16 v[73:80], v[41:48], v[65:72], v[73:80]
	ds_load_b128 v[69:72], v85 offset:10256
	ds_load_b128 v[65:68], v85 offset:10240
	s_waitcnt lgkmcnt(8)
	;; [unrolled: 4-line block ×3, first 2 shown]
	v_wmma_f32_16x16x16_bf16 v[73:80], v[9:16], v[57:64], v[73:80]
	s_waitcnt lgkmcnt(6)
	s_delay_alu instid0(VALU_DEP_1)
	v_wmma_f32_16x16x16_bf16 v[73:80], v[9:16], v[99:106], v[73:80]
	ds_load_b128 v[13:16], v85 offset:12304
	ds_load_b128 v[9:12], v85 offset:12288
	s_waitcnt lgkmcnt(6)
	v_wmma_f32_16x16x16_bf16 v[73:80], v[1:8], v[49:56], v[73:80]
	ds_load_b128 v[53:56], v85 offset:13328
	ds_load_b128 v[49:52], v85 offset:13312
	s_waitcnt lgkmcnt(6)
	;; [unrolled: 4-line block ×4, first 2 shown]
	v_wmma_f32_16x16x16_bf16 v[73:80], v[33:40], v[9:16], v[73:80]
	s_waitcnt lgkmcnt(4)
	s_delay_alu instid0(VALU_DEP_1) | instskip(SKIP_1) | instid1(VALU_DEP_1)
	v_wmma_f32_16x16x16_bf16 v[73:80], v[25:32], v[49:56], v[73:80]
	s_waitcnt lgkmcnt(2)
	v_wmma_f32_16x16x16_bf16 v[73:80], v[25:32], v[1:8], v[73:80]
	s_waitcnt lgkmcnt(0)
	s_delay_alu instid0(VALU_DEP_1) | instskip(NEXT) | instid1(VALU_DEP_1)
	v_wmma_f32_16x16x16_bf16 v[73:80], v[17:24], v[41:48], v[73:80]
	v_and_b32_e32 v1, 0x7f800000, v73
	s_delay_alu instid0(VALU_DEP_1) | instskip(SKIP_1) | instid1(SALU_CYCLE_1)
	v_cmp_ne_u32_e32 vcc_lo, 0x7f800000, v1
                                        ; implicit-def: $vgpr1
	s_and_saveexec_b32 s2, vcc_lo
	s_xor_b32 s2, exec_lo, s2
; %bb.81:
	v_bfe_u32 v1, v73, 16, 1
	s_delay_alu instid0(VALU_DEP_1)
	v_add3_u32 v1, v73, v1, 0x7fff
; %bb.82:
	s_and_not1_saveexec_b32 s2, s2
; %bb.83:
	v_and_b32_e32 v1, 0xffff, v73
	v_or_b32_e32 v2, 0x10000, v73
	s_delay_alu instid0(VALU_DEP_2) | instskip(NEXT) | instid1(VALU_DEP_2)
	v_cmp_eq_u32_e32 vcc_lo, 0, v1
	v_cndmask_b32_e32 v1, v2, v73, vcc_lo
; %bb.84:
	s_or_b32 exec_lo, exec_lo, s2
	v_and_b32_e32 v2, 0x7f800000, v74
	s_delay_alu instid0(VALU_DEP_1) | instskip(SKIP_1) | instid1(SALU_CYCLE_1)
	v_cmp_ne_u32_e32 vcc_lo, 0x7f800000, v2
                                        ; implicit-def: $vgpr2
	s_and_saveexec_b32 s2, vcc_lo
	s_xor_b32 s2, exec_lo, s2
; %bb.85:
	v_bfe_u32 v2, v74, 16, 1
	s_delay_alu instid0(VALU_DEP_1)
	v_add3_u32 v2, v74, v2, 0x7fff
; %bb.86:
	s_and_not1_saveexec_b32 s2, s2
; %bb.87:
	v_and_b32_e32 v2, 0xffff, v74
	v_or_b32_e32 v3, 0x10000, v74
	s_delay_alu instid0(VALU_DEP_2) | instskip(NEXT) | instid1(VALU_DEP_2)
	v_cmp_eq_u32_e32 vcc_lo, 0, v2
	v_cndmask_b32_e32 v2, v3, v74, vcc_lo
; %bb.88:
	s_or_b32 exec_lo, exec_lo, s2
	v_and_b32_e32 v3, 0x7f800000, v75
	s_delay_alu instid0(VALU_DEP_1) | instskip(SKIP_1) | instid1(SALU_CYCLE_1)
	v_cmp_ne_u32_e32 vcc_lo, 0x7f800000, v3
                                        ; implicit-def: $vgpr3
	s_and_saveexec_b32 s2, vcc_lo
	s_xor_b32 s2, exec_lo, s2
; %bb.89:
	v_bfe_u32 v3, v75, 16, 1
	s_delay_alu instid0(VALU_DEP_1)
	v_add3_u32 v3, v75, v3, 0x7fff
; %bb.90:
	s_and_not1_saveexec_b32 s2, s2
; %bb.91:
	v_and_b32_e32 v3, 0xffff, v75
	v_or_b32_e32 v4, 0x10000, v75
	s_delay_alu instid0(VALU_DEP_2) | instskip(NEXT) | instid1(VALU_DEP_2)
	v_cmp_eq_u32_e32 vcc_lo, 0, v3
	v_cndmask_b32_e32 v3, v4, v75, vcc_lo
; %bb.92:
	s_or_b32 exec_lo, exec_lo, s2
	v_and_b32_e32 v4, 0x7f800000, v76
	s_delay_alu instid0(VALU_DEP_1) | instskip(SKIP_1) | instid1(SALU_CYCLE_1)
	v_cmp_ne_u32_e32 vcc_lo, 0x7f800000, v4
                                        ; implicit-def: $vgpr4
	s_and_saveexec_b32 s2, vcc_lo
	s_xor_b32 s2, exec_lo, s2
; %bb.93:
	v_bfe_u32 v4, v76, 16, 1
	s_delay_alu instid0(VALU_DEP_1)
	v_add3_u32 v4, v76, v4, 0x7fff
; %bb.94:
	s_and_not1_saveexec_b32 s2, s2
; %bb.95:
	v_and_b32_e32 v4, 0xffff, v76
	v_or_b32_e32 v5, 0x10000, v76
	s_delay_alu instid0(VALU_DEP_2) | instskip(NEXT) | instid1(VALU_DEP_2)
	v_cmp_eq_u32_e32 vcc_lo, 0, v4
	v_cndmask_b32_e32 v4, v5, v76, vcc_lo
; %bb.96:
	s_or_b32 exec_lo, exec_lo, s2
	v_and_b32_e32 v5, 0x7f800000, v77
	s_delay_alu instid0(VALU_DEP_1) | instskip(SKIP_1) | instid1(SALU_CYCLE_1)
	v_cmp_ne_u32_e32 vcc_lo, 0x7f800000, v5
                                        ; implicit-def: $vgpr5
	s_and_saveexec_b32 s2, vcc_lo
	s_xor_b32 s2, exec_lo, s2
; %bb.97:
	v_bfe_u32 v5, v77, 16, 1
	s_delay_alu instid0(VALU_DEP_1)
	v_add3_u32 v5, v77, v5, 0x7fff
; %bb.98:
	s_and_not1_saveexec_b32 s2, s2
; %bb.99:
	v_and_b32_e32 v5, 0xffff, v77
	v_or_b32_e32 v6, 0x10000, v77
	s_delay_alu instid0(VALU_DEP_2) | instskip(NEXT) | instid1(VALU_DEP_2)
	v_cmp_eq_u32_e32 vcc_lo, 0, v5
	v_cndmask_b32_e32 v5, v6, v77, vcc_lo
; %bb.100:
	s_or_b32 exec_lo, exec_lo, s2
	v_and_b32_e32 v6, 0x7f800000, v78
	s_delay_alu instid0(VALU_DEP_1) | instskip(SKIP_1) | instid1(SALU_CYCLE_1)
	v_cmp_ne_u32_e32 vcc_lo, 0x7f800000, v6
                                        ; implicit-def: $vgpr6
	s_and_saveexec_b32 s2, vcc_lo
	s_xor_b32 s2, exec_lo, s2
; %bb.101:
	v_bfe_u32 v6, v78, 16, 1
	s_delay_alu instid0(VALU_DEP_1)
	v_add3_u32 v6, v78, v6, 0x7fff
; %bb.102:
	s_and_not1_saveexec_b32 s2, s2
; %bb.103:
	v_and_b32_e32 v6, 0xffff, v78
	v_or_b32_e32 v7, 0x10000, v78
	s_delay_alu instid0(VALU_DEP_2) | instskip(NEXT) | instid1(VALU_DEP_2)
	v_cmp_eq_u32_e32 vcc_lo, 0, v6
	v_cndmask_b32_e32 v6, v7, v78, vcc_lo
; %bb.104:
	s_or_b32 exec_lo, exec_lo, s2
	v_and_b32_e32 v7, 0x7f800000, v79
	s_delay_alu instid0(VALU_DEP_1) | instskip(SKIP_1) | instid1(SALU_CYCLE_1)
	v_cmp_ne_u32_e32 vcc_lo, 0x7f800000, v7
                                        ; implicit-def: $vgpr7
	s_and_saveexec_b32 s2, vcc_lo
	s_xor_b32 s2, exec_lo, s2
; %bb.105:
	v_bfe_u32 v7, v79, 16, 1
	s_delay_alu instid0(VALU_DEP_1)
	v_add3_u32 v7, v79, v7, 0x7fff
; %bb.106:
	s_and_not1_saveexec_b32 s2, s2
; %bb.107:
	v_and_b32_e32 v7, 0xffff, v79
	v_or_b32_e32 v8, 0x10000, v79
	s_delay_alu instid0(VALU_DEP_2) | instskip(NEXT) | instid1(VALU_DEP_2)
	v_cmp_eq_u32_e32 vcc_lo, 0, v7
	v_cndmask_b32_e32 v7, v8, v79, vcc_lo
; %bb.108:
	s_or_b32 exec_lo, exec_lo, s2
	v_and_b32_e32 v8, 0x7f800000, v80
	s_delay_alu instid0(VALU_DEP_1) | instskip(SKIP_1) | instid1(SALU_CYCLE_1)
	v_cmp_ne_u32_e32 vcc_lo, 0x7f800000, v8
                                        ; implicit-def: $vgpr8
	s_and_saveexec_b32 s2, vcc_lo
	s_xor_b32 s2, exec_lo, s2
; %bb.109:
	v_bfe_u32 v8, v80, 16, 1
	s_delay_alu instid0(VALU_DEP_1)
	v_add3_u32 v8, v80, v8, 0x7fff
                                        ; implicit-def: $vgpr73_vgpr74_vgpr75_vgpr76_vgpr77_vgpr78_vgpr79_vgpr80
; %bb.110:
	s_and_not1_saveexec_b32 s2, s2
; %bb.111:
	v_and_b32_e32 v8, 0xffff, v80
	v_or_b32_e32 v9, 0x10000, v80
	s_delay_alu instid0(VALU_DEP_2) | instskip(NEXT) | instid1(VALU_DEP_2)
	v_cmp_eq_u32_e32 vcc_lo, 0, v8
	v_cndmask_b32_e32 v8, v9, v80, vcc_lo
; %bb.112:
	s_or_b32 exec_lo, exec_lo, s2
	s_delay_alu instid0(VALU_DEP_1)
	v_perm_b32 v7, v8, v7, 0x7060302
	v_perm_b32 v6, v6, v5, 0x7060302
	;; [unrolled: 1-line block ×4, first 2 shown]
	v_lshl_or_b32 v9, v83, 4, v90
	s_barrier
	buffer_gl0_inv
	v_cmp_eq_u32_e32 vcc_lo, 1, v87
	ds_store_b128 v9, v[4:7]
	s_waitcnt lgkmcnt(0)
	s_barrier
	buffer_gl0_inv
	ds_load_b128 v[1:4], v90
	ds_load_b128 v[5:8], v90 offset:16
	v_cmp_eq_u32_e64 s3, 2, v87
	v_cmp_eq_u32_e64 s2, 1, v88
	;; [unrolled: 1-line block ×5, first 2 shown]
	s_waitcnt lgkmcnt(1)
	v_lshrrev_b32_e32 v10, 16, v1
	s_waitcnt lgkmcnt(0)
	v_lshrrev_b32_e32 v14, 16, v5
	v_lshrrev_b32_e32 v15, 16, v6
	;; [unrolled: 1-line block ×4, first 2 shown]
	v_cndmask_b32_e64 v20, v1, v10, s2
	v_cndmask_b32_e32 v19, v5, v14, vcc_lo
	v_cndmask_b32_e64 v21, v5, v14, s2
	v_lshrrev_b32_e32 v16, 16, v7
	v_cmp_eq_u32_e64 s2, 1, v86
	v_lshrrev_b32_e32 v13, 16, v4
	v_cndmask_b32_e64 v19, v19, v6, s3
	v_lshrrev_b32_e32 v17, 16, v8
	s_delay_alu instid0(VALU_DEP_4) | instskip(SKIP_1) | instid1(VALU_DEP_4)
	v_cndmask_b32_e64 v22, v1, v10, s2
	v_cndmask_b32_e64 v23, v5, v14, s2
	;; [unrolled: 1-line block ×3, first 2 shown]
	v_cndmask_b32_e32 v18, v1, v10, vcc_lo
	v_cmp_eq_u32_e32 vcc_lo, 2, v88
	v_cmp_eq_u32_e64 s2, 2, v89
	v_cndmask_b32_e64 v22, v22, v2, s6
	v_cndmask_b32_e32 v20, v20, v2, vcc_lo
	v_cndmask_b32_e32 v21, v21, v6, vcc_lo
	v_cmp_eq_u32_e32 vcc_lo, 4, v87
	v_cndmask_b32_e32 v19, v19, v7, vcc_lo
	v_cndmask_b32_e64 v18, v18, v2, s3
	v_cmp_eq_u32_e64 s3, 3, v88
	s_delay_alu instid0(VALU_DEP_2) | instskip(NEXT) | instid1(VALU_DEP_2)
	v_cndmask_b32_e64 v18, v18, v11, s4
	v_cndmask_b32_e64 v21, v21, v15, s3
	v_cmp_eq_u32_e64 s4, 5, v87
	s_delay_alu instid0(VALU_DEP_3) | instskip(SKIP_1) | instid1(VALU_DEP_3)
	v_cndmask_b32_e32 v18, v18, v3, vcc_lo
	v_cmp_eq_u32_e32 vcc_lo, 4, v88
	v_cndmask_b32_e64 v19, v19, v16, s4
	s_delay_alu instid0(VALU_DEP_3) | instskip(SKIP_4) | instid1(VALU_DEP_3)
	v_cndmask_b32_e64 v18, v18, v12, s4
	v_cndmask_b32_e32 v21, v21, v7, vcc_lo
	v_cndmask_b32_e64 v20, v20, v11, s3
	v_cmp_eq_u32_e64 s3, 5, v88
	v_cmp_eq_u32_e64 s4, 6, v87
	v_cndmask_b32_e32 v20, v20, v3, vcc_lo
	s_delay_alu instid0(VALU_DEP_3) | instskip(SKIP_1) | instid1(VALU_DEP_4)
	v_cndmask_b32_e64 v21, v21, v16, s3
	v_cmp_eq_u32_e32 vcc_lo, 6, v88
	v_cndmask_b32_e64 v18, v18, v4, s4
	v_cndmask_b32_e64 v19, v19, v8, s4
	;; [unrolled: 1-line block ×3, first 2 shown]
	v_cmp_eq_u32_e64 s3, 1, v89
	v_cmp_eq_u32_e64 s4, 7, v87
	s_delay_alu instid0(VALU_DEP_3) | instskip(NEXT) | instid1(VALU_DEP_3)
	v_cndmask_b32_e32 v20, v20, v4, vcc_lo
	v_cndmask_b32_e64 v1, v1, v10, s3
	v_cndmask_b32_e64 v5, v5, v14, s3
	v_cmp_eq_u32_e64 s3, 3, v86
	v_cndmask_b32_e64 v14, v23, v6, s6
	v_cmp_eq_u32_e64 s6, 3, v89
	v_cndmask_b32_e64 v1, v1, v2, s2
	v_cndmask_b32_e64 v2, v5, v6, s2
	;; [unrolled: 1-line block ×3, first 2 shown]
	v_cmp_eq_u32_e64 s2, 4, v86
	v_cndmask_b32_e64 v6, v14, v15, s3
	v_cndmask_b32_e64 v1, v1, v11, s6
	v_cmp_eq_u32_e64 s3, 4, v89
	v_cndmask_b32_e64 v2, v2, v15, s6
	v_cndmask_b32_e64 v5, v10, v3, s2
	;; [unrolled: 3-line block ×3, first 2 shown]
	v_cndmask_b32_e64 v2, v2, v7, s3
	v_cmp_eq_u32_e64 s2, 5, v89
	v_cndmask_b32_e64 v5, v5, v12, s6
	v_cmp_eq_u32_e64 s3, 6, v86
	;; [unrolled: 2-line block ×3, first 2 shown]
	v_cndmask_b32_e64 v1, v1, v12, s2
	v_cndmask_b32_e64 v2, v2, v16, s2
	;; [unrolled: 1-line block ×4, first 2 shown]
	v_cmp_eq_u32_e64 s2, 7, v89
	v_cndmask_b32_e64 v1, v1, v4, s6
	v_cndmask_b32_e64 v2, v2, v8, s6
	v_cmp_eq_u32_e64 s3, 7, v86
	v_cndmask_b32_e32 v4, v21, v8, vcc_lo
	v_cndmask_b32_e64 v18, v18, v13, s4
	v_cndmask_b32_e64 v20, v20, v13, s5
	;; [unrolled: 1-line block ×8, first 2 shown]
	s_mov_b32 s2, exec_lo
	v_perm_b32 v4, v2, v1, 0x5040100
	v_perm_b32 v3, v3, v5, 0x5040100
	;; [unrolled: 1-line block ×4, first 2 shown]
	ds_store_b128 v9, v[1:4]
	s_waitcnt lgkmcnt(0)
	s_barrier
	buffer_gl0_inv
	v_cmpx_gt_u32_e32 32, v0
	s_cbranch_execz .LBB745_2
; %bb.113:
	s_load_b64 s[0:1], s[0:1], 0x68
	v_lshlrev_b32_e32 v0, 10, v0
	s_lshl_b32 s4, s34, 7
	v_or_b32_e32 v23, s29, v83
	s_mul_i32 s2, s4, s30
	v_lshlrev_b32_e32 v1, 4, v84
	v_lshlrev_b32_e32 v2, 6, v83
	s_mul_i32 s2, s2, s7
	v_and_b32_e32 v0, 0x3800, v0
	v_mul_lo_u32 v8, v23, s4
	s_ashr_i32 s3, s2, 31
	v_or_b32_e32 v3, 2, v23
	s_lshl_b64 s[2:3], s[2:3], 1
	v_or3_b32 v27, v0, v1, v2
	v_or_b32_e32 v11, 4, v23
	v_or_b32_e32 v18, 6, v23
	v_mul_lo_u32 v10, v3, s4
	v_ashrrev_i32_e32 v9, 31, v8
	ds_load_b128 v[0:3], v27
	ds_load_b128 v[4:7], v27 offset:128
	v_mul_lo_u32 v12, v11, s4
	s_waitcnt lgkmcnt(0)
	s_add_u32 s2, s0, s2
	s_addc_u32 s3, s1, s3
	s_lshl_b32 s0, s14, 7
	v_lshlrev_b64 v[8:9], 1, v[8:9]
	s_ashr_i32 s1, s0, 31
	v_ashrrev_i32_e32 v11, 31, v10
	s_lshl_b64 s[0:1], s[0:1], 1
	v_ashrrev_i32_e32 v13, 31, v12
	s_add_u32 s0, s2, s0
	s_addc_u32 s1, s3, s1
	v_add_co_u32 v30, vcc_lo, s0, v81
	v_add_co_ci_u32_e32 v31, vcc_lo, s1, v82, vcc_lo
	v_lshlrev_b64 v[16:17], 1, v[10:11]
	s_delay_alu instid0(VALU_DEP_3) | instskip(NEXT) | instid1(VALU_DEP_3)
	v_add_co_u32 v14, vcc_lo, v30, v8
	v_add_co_ci_u32_e32 v15, vcc_lo, v31, v9, vcc_lo
	ds_load_b128 v[8:11], v27 offset:256
	v_mul_lo_u32 v18, v18, s4
	v_or_b32_e32 v19, 8, v23
	v_add_co_u32 v16, vcc_lo, v30, v16
	global_store_b128 v[14:15], v[0:3], off
	v_lshlrev_b64 v[0:1], 1, v[12:13]
	v_add_co_ci_u32_e32 v17, vcc_lo, v31, v17, vcc_lo
	v_mul_lo_u32 v12, v19, s4
	v_ashrrev_i32_e32 v19, 31, v18
	v_or_b32_e32 v14, 10, v23
	global_store_b128 v[16:17], v[4:7], off
	v_add_co_u32 v4, vcc_lo, v30, v0
	v_add_co_ci_u32_e32 v5, vcc_lo, v31, v1, vcc_lo
	ds_load_b128 v[0:3], v27 offset:384
	v_ashrrev_i32_e32 v13, 31, v12
	v_lshlrev_b64 v[6:7], 1, v[18:19]
	v_mul_lo_u32 v14, v14, s4
	s_waitcnt lgkmcnt(1)
	global_store_b128 v[4:5], v[8:11], off
	v_or_b32_e32 v8, 12, v23
	v_lshlrev_b64 v[4:5], 1, v[12:13]
	v_add_co_u32 v20, vcc_lo, v30, v6
	v_or_b32_e32 v6, 14, v23
	v_ashrrev_i32_e32 v15, 31, v14
	v_mul_lo_u32 v22, v8, s4
	v_add_co_ci_u32_e32 v21, vcc_lo, v31, v7, vcc_lo
	v_add_co_u32 v24, vcc_lo, v30, v4
	v_mul_lo_u32 v26, v6, s4
	v_add_co_ci_u32_e32 v25, vcc_lo, v31, v5, vcc_lo
	v_lshlrev_b64 v[28:29], 1, v[14:15]
	ds_load_b128 v[4:7], v27 offset:512
	ds_load_b128 v[8:11], v27 offset:640
	;; [unrolled: 1-line block ×4, first 2 shown]
	v_ashrrev_i32_e32 v23, 31, v22
	v_ashrrev_i32_e32 v27, 31, v26
	v_add_co_u32 v28, vcc_lo, v30, v28
	s_delay_alu instid0(VALU_DEP_3) | instskip(SKIP_1) | instid1(VALU_DEP_4)
	v_lshlrev_b64 v[22:23], 1, v[22:23]
	v_add_co_ci_u32_e32 v29, vcc_lo, v31, v29, vcc_lo
	v_lshlrev_b64 v[26:27], 1, v[26:27]
	s_delay_alu instid0(VALU_DEP_3) | instskip(NEXT) | instid1(VALU_DEP_4)
	v_add_co_u32 v22, vcc_lo, v30, v22
	v_add_co_ci_u32_e32 v23, vcc_lo, v31, v23, vcc_lo
	s_delay_alu instid0(VALU_DEP_3) | instskip(NEXT) | instid1(VALU_DEP_4)
	v_add_co_u32 v26, vcc_lo, v30, v26
	v_add_co_ci_u32_e32 v27, vcc_lo, v31, v27, vcc_lo
	s_waitcnt lgkmcnt(4)
	global_store_b128 v[20:21], v[0:3], off
	s_waitcnt lgkmcnt(3)
	global_store_b128 v[24:25], v[4:7], off
	;; [unrolled: 2-line block ×5, first 2 shown]
	s_nop 0
	s_sendmsg sendmsg(MSG_DEALLOC_VGPRS)
	s_endpgm
	.section	.rodata,"a",@progbits
	.p2align	6, 0x0
	.amdhsa_kernel _Z39paged_attention_ll4mi_QKV_mfma16_kernelI14__hip_bfloat16S0_LN4vllm18Fp8KVCacheDataTypeE0ES0_Li32ELi128ELi256ELb1ELi16EL8MFMAType0EEvPKT_PKT0_S9_ifPKiSB_SB_iPKfiiiPfSE_PS4_PT2_iSD_SD_
		.amdhsa_group_segment_fixed_size 17472
		.amdhsa_private_segment_fixed_size 0
		.amdhsa_kernarg_size 400
		.amdhsa_user_sgpr_count 13
		.amdhsa_user_sgpr_dispatch_ptr 0
		.amdhsa_user_sgpr_queue_ptr 0
		.amdhsa_user_sgpr_kernarg_segment_ptr 1
		.amdhsa_user_sgpr_dispatch_id 0
		.amdhsa_user_sgpr_private_segment_size 0
		.amdhsa_wavefront_size32 1
		.amdhsa_uses_dynamic_stack 0
		.amdhsa_enable_private_segment 0
		.amdhsa_system_sgpr_workgroup_id_x 1
		.amdhsa_system_sgpr_workgroup_id_y 1
		.amdhsa_system_sgpr_workgroup_id_z 1
		.amdhsa_system_sgpr_workgroup_info 0
		.amdhsa_system_vgpr_workitem_id 0
		.amdhsa_next_free_vgpr 150
		.amdhsa_next_free_sgpr 38
		.amdhsa_reserve_vcc 1
		.amdhsa_float_round_mode_32 0
		.amdhsa_float_round_mode_16_64 0
		.amdhsa_float_denorm_mode_32 3
		.amdhsa_float_denorm_mode_16_64 3
		.amdhsa_dx10_clamp 1
		.amdhsa_ieee_mode 1
		.amdhsa_fp16_overflow 0
		.amdhsa_workgroup_processor_mode 1
		.amdhsa_memory_ordered 1
		.amdhsa_forward_progress 0
		.amdhsa_shared_vgpr_count 0
		.amdhsa_exception_fp_ieee_invalid_op 0
		.amdhsa_exception_fp_denorm_src 0
		.amdhsa_exception_fp_ieee_div_zero 0
		.amdhsa_exception_fp_ieee_overflow 0
		.amdhsa_exception_fp_ieee_underflow 0
		.amdhsa_exception_fp_ieee_inexact 0
		.amdhsa_exception_int_div_zero 0
	.end_amdhsa_kernel
	.section	.text._Z39paged_attention_ll4mi_QKV_mfma16_kernelI14__hip_bfloat16S0_LN4vllm18Fp8KVCacheDataTypeE0ES0_Li32ELi128ELi256ELb1ELi16EL8MFMAType0EEvPKT_PKT0_S9_ifPKiSB_SB_iPKfiiiPfSE_PS4_PT2_iSD_SD_,"axG",@progbits,_Z39paged_attention_ll4mi_QKV_mfma16_kernelI14__hip_bfloat16S0_LN4vllm18Fp8KVCacheDataTypeE0ES0_Li32ELi128ELi256ELb1ELi16EL8MFMAType0EEvPKT_PKT0_S9_ifPKiSB_SB_iPKfiiiPfSE_PS4_PT2_iSD_SD_,comdat
.Lfunc_end745:
	.size	_Z39paged_attention_ll4mi_QKV_mfma16_kernelI14__hip_bfloat16S0_LN4vllm18Fp8KVCacheDataTypeE0ES0_Li32ELi128ELi256ELb1ELi16EL8MFMAType0EEvPKT_PKT0_S9_ifPKiSB_SB_iPKfiiiPfSE_PS4_PT2_iSD_SD_, .Lfunc_end745-_Z39paged_attention_ll4mi_QKV_mfma16_kernelI14__hip_bfloat16S0_LN4vllm18Fp8KVCacheDataTypeE0ES0_Li32ELi128ELi256ELb1ELi16EL8MFMAType0EEvPKT_PKT0_S9_ifPKiSB_SB_iPKfiiiPfSE_PS4_PT2_iSD_SD_
                                        ; -- End function
	.section	.AMDGPU.csdata,"",@progbits
; Kernel info:
; codeLenInByte = 9920
; NumSgprs: 40
; NumVgprs: 150
; ScratchSize: 0
; MemoryBound: 0
; FloatMode: 240
; IeeeMode: 1
; LDSByteSize: 17472 bytes/workgroup (compile time only)
; SGPRBlocks: 4
; VGPRBlocks: 18
; NumSGPRsForWavesPerEU: 40
; NumVGPRsForWavesPerEU: 150
; Occupancy: 9
; WaveLimiterHint : 1
; COMPUTE_PGM_RSRC2:SCRATCH_EN: 0
; COMPUTE_PGM_RSRC2:USER_SGPR: 13
; COMPUTE_PGM_RSRC2:TRAP_HANDLER: 0
; COMPUTE_PGM_RSRC2:TGID_X_EN: 1
; COMPUTE_PGM_RSRC2:TGID_Y_EN: 1
; COMPUTE_PGM_RSRC2:TGID_Z_EN: 1
; COMPUTE_PGM_RSRC2:TIDIG_COMP_CNT: 0
	.section	.text._Z39paged_attention_ll4mi_QKV_mfma16_kernelI14__hip_bfloat16S0_LN4vllm18Fp8KVCacheDataTypeE0ES0_Li32ELi128ELi256ELb1ELi1EL8MFMAType0EEvPKT_PKT0_S9_ifPKiSB_SB_iPKfiiiPfSE_PS4_PT2_iSD_SD_,"axG",@progbits,_Z39paged_attention_ll4mi_QKV_mfma16_kernelI14__hip_bfloat16S0_LN4vllm18Fp8KVCacheDataTypeE0ES0_Li32ELi128ELi256ELb1ELi1EL8MFMAType0EEvPKT_PKT0_S9_ifPKiSB_SB_iPKfiiiPfSE_PS4_PT2_iSD_SD_,comdat
	.protected	_Z39paged_attention_ll4mi_QKV_mfma16_kernelI14__hip_bfloat16S0_LN4vllm18Fp8KVCacheDataTypeE0ES0_Li32ELi128ELi256ELb1ELi1EL8MFMAType0EEvPKT_PKT0_S9_ifPKiSB_SB_iPKfiiiPfSE_PS4_PT2_iSD_SD_ ; -- Begin function _Z39paged_attention_ll4mi_QKV_mfma16_kernelI14__hip_bfloat16S0_LN4vllm18Fp8KVCacheDataTypeE0ES0_Li32ELi128ELi256ELb1ELi1EL8MFMAType0EEvPKT_PKT0_S9_ifPKiSB_SB_iPKfiiiPfSE_PS4_PT2_iSD_SD_
	.globl	_Z39paged_attention_ll4mi_QKV_mfma16_kernelI14__hip_bfloat16S0_LN4vllm18Fp8KVCacheDataTypeE0ES0_Li32ELi128ELi256ELb1ELi1EL8MFMAType0EEvPKT_PKT0_S9_ifPKiSB_SB_iPKfiiiPfSE_PS4_PT2_iSD_SD_
	.p2align	8
	.type	_Z39paged_attention_ll4mi_QKV_mfma16_kernelI14__hip_bfloat16S0_LN4vllm18Fp8KVCacheDataTypeE0ES0_Li32ELi128ELi256ELb1ELi1EL8MFMAType0EEvPKT_PKT0_S9_ifPKiSB_SB_iPKfiiiPfSE_PS4_PT2_iSD_SD_,@function
_Z39paged_attention_ll4mi_QKV_mfma16_kernelI14__hip_bfloat16S0_LN4vllm18Fp8KVCacheDataTypeE0ES0_Li32ELi128ELi256ELb1ELi1EL8MFMAType0EEvPKT_PKT0_S9_ifPKiSB_SB_iPKfiiiPfSE_PS4_PT2_iSD_SD_: ; @_Z39paged_attention_ll4mi_QKV_mfma16_kernelI14__hip_bfloat16S0_LN4vllm18Fp8KVCacheDataTypeE0ES0_Li32ELi128ELi256ELb1ELi1EL8MFMAType0EEvPKT_PKT0_S9_ifPKiSB_SB_iPKfiiiPfSE_PS4_PT2_iSD_SD_
; %bb.0:
	s_load_b64 s[4:5], s[0:1], 0x30
	s_mov_b32 s34, s13
	s_waitcnt lgkmcnt(0)
	s_cmp_lg_u64 s[4:5], 0
	s_cselect_b32 s6, -1, 0
	s_ashr_i32 s35, s13, 31
	s_cmp_eq_u64 s[4:5], 0
	s_cbranch_scc1 .LBB746_3
; %bb.1:
	s_lshl_b64 s[2:3], s[34:35], 2
	s_delay_alu instid0(SALU_CYCLE_1) | instskip(SKIP_4) | instid1(SALU_CYCLE_1)
	s_add_u32 s2, s4, s2
	s_addc_u32 s3, s5, s3
	s_load_b64 s[2:3], s[2:3], 0x0
	s_waitcnt lgkmcnt(0)
	s_sub_i32 s2, s3, s2
	s_cmp_eq_u32 s2, 1
	s_cselect_b32 s2, -1, 0
	s_delay_alu instid0(SALU_CYCLE_1)
	s_and_not1_b32 vcc_lo, exec_lo, s2
	s_cbranch_vccz .LBB746_4
.LBB746_2:
	s_endpgm
.LBB746_3:
.LBB746_4:
	s_load_b64 s[2:3], s[0:1], 0x28
	s_lshl_b64 s[8:9], s[34:35], 2
	s_waitcnt lgkmcnt(0)
	s_add_u32 s2, s2, s8
	s_addc_u32 s3, s3, s9
	s_lshl_b32 s84, s14, 8
	s_load_b32 s33, s[2:3], 0x0
	s_waitcnt lgkmcnt(0)
	s_cmp_ge_i32 s84, s33
	s_cbranch_scc1 .LBB746_2
; %bb.5:
	s_clause 0x1
	s_load_b128 s[80:83], s[0:1], 0x8
	s_load_b64 s[2:3], s[0:1], 0x20
	s_and_not1_b32 vcc_lo, exec_lo, s6
	s_mov_b64 s[6:7], s[34:35]
	s_cbranch_vccnz .LBB746_7
; %bb.6:
	s_add_u32 s4, s4, s8
	s_addc_u32 s5, s5, s9
	s_load_b32 s6, s[4:5], 0x0
.LBB746_7:
	s_load_b128 s[76:79], s[0:1], 0x48
	v_and_b32_e32 v89, 15, v0
	s_mov_b32 s12, exec_lo
                                        ; implicit-def: $sgpr36
                                        ; implicit-def: $sgpr52
                                        ; implicit-def: $sgpr44
                                        ; implicit-def: $sgpr60
                                        ; implicit-def: $sgpr68
                                        ; implicit-def: $sgpr24
                                        ; implicit-def: $sgpr16
                                        ; implicit-def: $sgpr4
	s_delay_alu instid0(VALU_DEP_1)
	v_cmpx_eq_u32_e32 0, v89
	s_cbranch_execz .LBB746_9
; %bb.8:
	s_load_b64 s[4:5], s[0:1], 0x0
	s_waitcnt lgkmcnt(0)
	s_mul_hi_i32 s7, s6, s76
	s_mul_i32 s6, s6, s76
	s_delay_alu instid0(SALU_CYCLE_1) | instskip(NEXT) | instid1(SALU_CYCLE_1)
	s_lshl_b64 s[6:7], s[6:7], 1
	s_add_u32 s6, s4, s6
	s_addc_u32 s7, s5, s7
	s_lshl_b32 s4, s15, 7
	s_delay_alu instid0(SALU_CYCLE_1) | instskip(NEXT) | instid1(SALU_CYCLE_1)
	s_ashr_i32 s5, s4, 31
	s_lshl_b64 s[4:5], s[4:5], 1
	s_delay_alu instid0(SALU_CYCLE_1)
	s_add_u32 s4, s6, s4
	s_addc_u32 s5, s7, s5
	s_clause 0x7
	s_load_b256 s[36:43], s[4:5], 0x0
	s_load_b256 s[52:59], s[4:5], 0x20
	;; [unrolled: 1-line block ×8, first 2 shown]
.LBB746_9:
	s_or_b32 exec_lo, exec_lo, s12
	s_waitcnt lgkmcnt(0)
	v_dual_mov_b32 v108, s43 :: v_dual_and_b32 v1, 0xef, v0
	s_clause 0x1
	s_load_b32 s13, s[0:1], 0x38
	s_load_b32 s76, s[0:1], 0x1c
	s_add_i32 s35, s33, 31
	v_dual_mov_b32 v107, s42 :: v_dual_add_nc_u32 v2, s84, v1
	s_mul_i32 s12, s15, s78
	s_ashr_i32 s78, s35, 31
	v_lshrrev_b32_e32 v92, 5, v0
	s_delay_alu instid0(VALU_DEP_2)
	v_ashrrev_i32_e32 v1, 31, v2
	v_cmp_gt_i32_e32 vcc_lo, s33, v2
	s_lshr_b32 s79, s78, 27
	v_mov_b32_e32 v106, s41
	s_add_i32 s35, s35, s79
	v_lshrrev_b32_e32 v3, 27, v1
	v_mov_b32_e32 v104, s39
	v_mov_b32_e32 v102, s37
	v_dual_mov_b32 v140, s23 :: v_dual_mov_b32 v139, s22
	s_delay_alu instid0(VALU_DEP_4)
	v_add_nc_u32_e32 v1, v2, v3
	v_or_b32_e32 v2, 16, v2
	s_waitcnt lgkmcnt(0)
	s_mul_i32 s78, s34, s13
	s_ashr_i32 s13, s35, 5
	s_ashr_i32 s79, s78, 31
	v_ashrrev_i32_e32 v1, 5, v1
	v_add_nc_u32_e32 v3, v2, v3
	s_lshl_b64 s[86:87], s[78:79], 2
	s_add_i32 s79, s13, -1
	s_add_u32 s35, s2, s86
	v_cndmask_b32_e32 v1, s79, v1, vcc_lo
	v_ashrrev_i32_e32 v3, 5, v3
	v_cmp_gt_i32_e32 vcc_lo, s33, v2
	s_addc_u32 s78, s3, s87
	s_ashr_i32 s13, s12, 31
	v_ashrrev_i32_e32 v2, 31, v1
	s_lshl_b64 s[2:3], s[12:13], 1
	v_cndmask_b32_e32 v3, s79, v3, vcc_lo
	s_add_u32 s85, s80, s2
	s_addc_u32 s94, s81, s3
	v_lshlrev_b64 v[1:2], 2, v[1:2]
	s_lshl_b32 s12, s14, 3
	v_ashrrev_i32_e32 v4, 31, v3
	s_ashr_i32 s13, s12, 31
	v_mov_b32_e32 v138, s21
	s_lshl_b64 s[12:13], s[12:13], 2
	v_add_co_u32 v1, vcc_lo, s35, v1
	v_lshlrev_b64 v[3:4], 2, v[3:4]
	v_add_co_ci_u32_e32 v2, vcc_lo, s78, v2, vcc_lo
	s_add_u32 s12, s35, s12
	s_addc_u32 s13, s78, s13
	s_or_b32 s80, s84, 32
	s_delay_alu instid0(VALU_DEP_2)
	v_add_co_u32 v3, vcc_lo, s35, v3
	v_add_co_ci_u32_e32 v4, vcc_lo, s78, v4, vcc_lo
	s_clause 0x1
	global_load_b32 v5, v[1:2], off
	global_load_b32 v6, v[3:4], off
	s_ashr_i32 s81, s80, 5
	s_cmp_lt_i32 s80, s33
	v_mov_b32_e32 v137, s20
	s_cselect_b32 s80, s81, s79
	v_mov_b32_e32 v136, s19
	s_ashr_i32 s81, s80, 31
	v_mov_b32_e32 v135, s18
	s_lshl_b64 s[80:81], s[80:81], 2
	v_mov_b32_e32 v134, s17
	s_add_u32 s80, s35, s80
	s_addc_u32 s81, s78, s81
	s_or_b32 s86, s84, 64
	v_mov_b32_e32 v133, s16
	s_ashr_i32 s87, s86, 5
	s_cmp_lt_i32 s86, s33
	s_cselect_b32 s86, s87, s79
	s_delay_alu instid0(SALU_CYCLE_1) | instskip(NEXT) | instid1(SALU_CYCLE_1)
	s_ashr_i32 s87, s86, 31
	s_lshl_b64 s[86:87], s[86:87], 2
	s_delay_alu instid0(SALU_CYCLE_1) | instskip(SKIP_2) | instid1(SALU_CYCLE_1)
	s_add_u32 s86, s35, s86
	s_addc_u32 s87, s78, s87
	s_or_b32 s88, s84, 0x60
	s_ashr_i32 s89, s88, 5
	s_cmp_lt_i32 s88, s33
	s_cselect_b32 s88, s89, s79
	s_delay_alu instid0(SALU_CYCLE_1) | instskip(NEXT) | instid1(SALU_CYCLE_1)
	s_ashr_i32 s89, s88, 31
	s_lshl_b64 s[88:89], s[88:89], 2
	s_delay_alu instid0(SALU_CYCLE_1) | instskip(SKIP_2) | instid1(SALU_CYCLE_1)
	s_add_u32 s88, s35, s88
	s_addc_u32 s89, s78, s89
	s_or_b32 s90, s84, 0x80
	;; [unrolled: 10-line block ×3, first 2 shown]
	s_ashr_i32 s93, s92, 5
	s_cmp_lt_i32 s92, s33
	s_cselect_b32 s92, s93, s79
	s_delay_alu instid0(SALU_CYCLE_1) | instskip(NEXT) | instid1(SALU_CYCLE_1)
	s_ashr_i32 s93, s92, 31
	s_lshl_b64 s[92:93], s[92:93], 2
	s_delay_alu instid0(SALU_CYCLE_1)
	s_add_u32 s92, s35, s92
	s_addc_u32 s93, s78, s93
	s_clause 0x5
	s_load_b32 s96, s[12:13], 0x0
	s_load_b32 s80, s[80:81], 0x0
	;; [unrolled: 1-line block ×6, first 2 shown]
	s_mov_b32 s88, 0
	s_delay_alu instid0(SALU_CYCLE_1)
	s_mov_b32 s89, s88
	s_mov_b32 s90, s88
	;; [unrolled: 1-line block ×6, first 2 shown]
	s_waitcnt lgkmcnt(0)
	s_mul_hi_i32 s19, s96, s77
	s_mul_i32 s18, s96, s77
	s_mul_hi_i32 s21, s80, s77
	s_waitcnt vmcnt(1)
	v_mad_i64_i32 v[1:2], null, v5, s77, 0
	s_waitcnt vmcnt(0)
	v_mad_i64_i32 v[3:4], null, v6, s77, 0
	v_lshlrev_b32_e32 v5, 4, v89
	s_delay_alu instid0(VALU_DEP_3) | instskip(NEXT) | instid1(VALU_DEP_3)
	v_lshlrev_b64 v[1:2], 1, v[1:2]
	v_lshlrev_b64 v[3:4], 1, v[3:4]
	s_delay_alu instid0(VALU_DEP_2) | instskip(NEXT) | instid1(VALU_DEP_3)
	v_add_co_u32 v1, vcc_lo, s85, v1
	v_add_co_ci_u32_e32 v2, vcc_lo, s94, v2, vcc_lo
	s_delay_alu instid0(VALU_DEP_3) | instskip(NEXT) | instid1(VALU_DEP_4)
	v_add_co_u32 v3, vcc_lo, s85, v3
	v_add_co_ci_u32_e32 v4, vcc_lo, s94, v4, vcc_lo
	s_delay_alu instid0(VALU_DEP_4) | instskip(NEXT) | instid1(VALU_DEP_4)
	v_add_co_u32 v65, vcc_lo, v1, v5
	v_add_co_ci_u32_e32 v66, vcc_lo, 0, v2, vcc_lo
	s_delay_alu instid0(VALU_DEP_4) | instskip(NEXT) | instid1(VALU_DEP_4)
	v_add_co_u32 v73, vcc_lo, v3, v5
	v_add_co_ci_u32_e32 v74, vcc_lo, 0, v4, vcc_lo
	s_clause 0xf
	global_load_b128 v[1:4], v[65:66], off
	global_load_b128 v[5:8], v[65:66], off offset:512
	global_load_b128 v[9:12], v[73:74], off offset:256
	;; [unrolled: 1-line block ×15, first 2 shown]
	v_add_co_u32 v90, vcc_lo, 0x1000, v65
	v_add_co_ci_u32_e32 v91, vcc_lo, 0, v66, vcc_lo
	v_add_co_u32 v129, vcc_lo, 0x1000, v73
	v_add_co_ci_u32_e32 v130, vcc_lo, 0, v74, vcc_lo
	s_mov_b32 s94, s88
	s_clause 0x1
	global_load_b128 v[65:68], v[90:91], off
	global_load_b128 v[69:72], v[90:91], off offset:512
	v_dual_mov_b32 v73, s88 :: v_dual_mov_b32 v80, s95
	s_clause 0x1
	global_load_b128 v[93:96], v[129:130], off offset:256
	global_load_b128 v[97:100], v[129:130], off offset:768
	v_dual_mov_b32 v105, s40 :: v_dual_mov_b32 v74, s89
	v_dual_mov_b32 v103, s38 :: v_dual_mov_b32 v76, s91
	;; [unrolled: 1-line block ×3, first 2 shown]
	v_mov_b32_e32 v75, s90
	v_mov_b32_e32 v77, s92
	;; [unrolled: 1-line block ×3, first 2 shown]
	s_clause 0x1
	global_load_b128 v[109:112], v[90:91], off offset:1024
	global_load_b128 v[113:116], v[90:91], off offset:1536
	s_waitcnt vmcnt(20)
	v_wmma_f32_16x16x16_bf16 v[81:88], v[1:8], v[101:108], v[73:80]
	s_clause 0x1
	global_load_b128 v[1:4], v[129:130], off offset:1280
	global_load_b128 v[5:8], v[129:130], off offset:1792
	s_waitcnt vmcnt(20)
	v_wmma_f32_16x16x16_bf16 v[73:80], v[9:16], v[101:108], v[73:80]
	v_dual_mov_b32 v9, s52 :: v_dual_mov_b32 v16, s59
	v_dual_mov_b32 v10, s53 :: v_dual_mov_b32 v11, s54
	;; [unrolled: 1-line block ×4, first 2 shown]
	s_clause 0x1
	global_load_b128 v[101:104], v[90:91], off offset:2048
	global_load_b128 v[105:108], v[90:91], off offset:2560
	s_waitcnt vmcnt(18)
	v_wmma_f32_16x16x16_bf16 v[73:80], v[25:32], v[9:16], v[73:80]
	s_clause 0x5
	global_load_b128 v[25:28], v[129:130], off offset:2304
	global_load_b128 v[29:32], v[129:130], off offset:2816
	;; [unrolled: 1-line block ×6, first 2 shown]
	v_wmma_f32_16x16x16_bf16 v[81:88], v[17:24], v[9:16], v[81:88]
	v_dual_mov_b32 v9, s44 :: v_dual_mov_b32 v16, s51
	v_dual_mov_b32 v10, s45 :: v_dual_mov_b32 v11, s46
	;; [unrolled: 1-line block ×5, first 2 shown]
	v_mov_b32_e32 v19, s70
	v_mov_b32_e32 v21, s72
	s_waitcnt vmcnt(22)
	v_wmma_f32_16x16x16_bf16 v[81:88], v[33:40], v[9:16], v[81:88]
	v_mov_b32_e32 v40, s31
	v_dual_mov_b32 v38, s29 :: v_dual_mov_b32 v23, s74
	v_dual_mov_b32 v36, s27 :: v_dual_mov_b32 v39, s30
	;; [unrolled: 1-line block ×3, first 2 shown]
	v_mov_b32_e32 v35, s26
	v_mov_b32_e32 v33, s24
	s_or_b32 s24, s84, 0xc0
	v_lshlrev_b32_e32 v91, 6, v89
	s_ashr_i32 s25, s24, 5
	s_cmp_lt_i32 s24, s33
	s_waitcnt vmcnt(20)
	v_wmma_f32_16x16x16_bf16 v[73:80], v[41:48], v[9:16], v[73:80]
	s_cselect_b32 s16, s25, s79
	v_dual_mov_b32 v9, s60 :: v_dual_mov_b32 v16, s67
	s_ashr_i32 s17, s16, 31
	v_mov_b32_e32 v10, s61
	s_lshl_b64 s[16:17], s[16:17], 2
	v_dual_mov_b32 v11, s62 :: v_dual_mov_b32 v18, s69
	s_add_u32 s16, s35, s16
	s_addc_u32 s17, s78, s17
	s_or_b32 s20, s84, 0xe0
	v_mov_b32_e32 v12, s63
	s_ashr_i32 s22, s20, 5
	s_cmp_lt_i32 s20, s33
	v_dual_mov_b32 v13, s64 :: v_dual_mov_b32 v20, s71
	s_cselect_b32 s22, s22, s79
	v_mov_b32_e32 v14, s65
	s_ashr_i32 s23, s22, 31
	v_dual_mov_b32 v15, s66 :: v_dual_mov_b32 v22, s73
	s_lshl_b64 s[22:23], s[22:23], 2
	s_mul_hi_i32 s27, s86, s77
	s_add_u32 s22, s35, s22
	s_addc_u32 s23, s78, s23
	s_add_i32 s28, s84, 0x100
	s_waitcnt vmcnt(18)
	v_wmma_f32_16x16x16_bf16 v[81:88], v[49:56], v[9:16], v[81:88]
	s_ashr_i32 s29, s28, 5
	s_cmp_lt_i32 s28, s33
	s_waitcnt vmcnt(16)
	v_wmma_f32_16x16x16_bf16 v[73:80], v[57:64], v[9:16], v[73:80]
	s_cselect_b32 s28, s29, s79
	v_lshl_or_b32 v9, v92, 10, v91
	s_ashr_i32 s29, s28, 31
	s_mul_i32 s26, s86, s77
	s_lshl_b64 s[28:29], s[28:29], 2
	s_load_b32 s30, s[16:17], 0x0
	s_add_u32 s28, s35, s28
	s_addc_u32 s29, s78, s29
	s_add_u32 s31, s82, s2
	s_clause 0x1
	s_load_b32 s35, s[22:23], 0x0
	s_load_b32 s28, s[28:29], 0x0
	s_addc_u32 s29, s83, s3
	s_lshl_b64 s[22:23], s[26:27], 1
	v_add_co_u32 v90, s26, s31, v9
	s_delay_alu instid0(VALU_DEP_1) | instskip(SKIP_2) | instid1(VALU_DEP_2)
	v_add_co_ci_u32_e64 v143, null, s29, 0, s26
	s_lshl_b64 s[2:3], s[18:19], 1
	s_mul_i32 s20, s80, s77
	v_add_co_u32 v9, vcc_lo, v90, s2
	s_lshl_b64 s[18:19], s[20:21], 1
	s_mul_hi_i32 s25, s81, s77
	s_mul_i32 s24, s81, s77
	v_add_co_ci_u32_e32 v10, vcc_lo, s3, v143, vcc_lo
	v_add_co_u32 v11, vcc_lo, v90, s18
	s_lshl_b64 s[20:21], s[24:25], 1
	v_add_co_ci_u32_e32 v12, vcc_lo, s19, v143, vcc_lo
	v_add_co_u32 v13, vcc_lo, v90, s20
	s_mul_hi_i32 s17, s13, s77
	s_mul_i32 s16, s13, s77
	v_add_co_ci_u32_e32 v14, vcc_lo, s21, v143, vcc_lo
	v_add_co_u32 v15, vcc_lo, v90, s22
	s_lshl_b64 s[16:17], s[16:17], 1
	s_mul_hi_i32 s13, s12, s77
	s_mul_i32 s12, s12, s77
	v_add_co_ci_u32_e32 v16, vcc_lo, s23, v143, vcc_lo
	v_add_co_u32 v141, vcc_lo, v90, s16
	s_lshl_b64 s[12:13], s[12:13], 1
	s_waitcnt lgkmcnt(0)
	s_mul_hi_i32 s25, s30, s77
	s_mul_i32 s24, s30, s77
	v_add_co_ci_u32_e32 v142, vcc_lo, s17, v143, vcc_lo
	s_waitcnt vmcnt(14)
	v_wmma_f32_16x16x16_bf16 v[81:88], v[65:72], v[17:24], v[81:88]
	s_clause 0x5
	global_load_b128 v[65:68], v[9:10], off
	global_load_b128 v[69:72], v[9:10], off offset:16
	global_load_b128 v[57:60], v[11:12], off
	global_load_b128 v[61:64], v[11:12], off offset:16
	;; [unrolled: 2-line block ×3, first 2 shown]
	v_add_co_u32 v13, vcc_lo, v90, s12
	s_lshl_b64 s[24:25], s[24:25], 1
	s_waitcnt vmcnt(18)
	v_wmma_f32_16x16x16_bf16 v[73:80], v[93:100], v[17:24], v[73:80]
	v_add_co_ci_u32_e32 v14, vcc_lo, s13, v143, vcc_lo
	s_mul_hi_i32 s3, s35, s77
	s_mul_i32 s2, s35, s77
	v_add_co_u32 v93, vcc_lo, v90, s24
	s_lshl_b64 s[2:3], s[2:3], 1
	v_add_co_ci_u32_e32 v94, vcc_lo, s25, v143, vcc_lo
	s_waitcnt vmcnt(16)
	v_wmma_f32_16x16x16_bf16 v[81:88], v[109:116], v[33:40], v[81:88]
	s_mul_hi_i32 s13, s28, s77
	s_mul_i32 s12, s28, s77
	s_clause 0x5
	global_load_b128 v[41:44], v[15:16], off
	global_load_b128 v[45:48], v[15:16], off offset:16
	global_load_b128 v[17:20], v[141:142], off
	global_load_b128 v[21:24], v[141:142], off offset:16
	;; [unrolled: 2-line block ×3, first 2 shown]
	s_waitcnt vmcnt(20)
	v_wmma_f32_16x16x16_bf16 v[73:80], v[1:8], v[33:40], v[73:80]
	v_add_co_u32 v37, vcc_lo, v90, s2
	v_add_co_ci_u32_e32 v38, vcc_lo, s3, v143, vcc_lo
	s_lshl_b64 s[2:3], s[12:13], 1
	s_clause 0x1
	global_load_b128 v[1:4], v[93:94], off
	global_load_b128 v[5:8], v[93:94], off offset:16
	v_add_co_u32 v95, vcc_lo, v90, s2
	v_add_co_ci_u32_e32 v96, vcc_lo, s3, v143, vcc_lo
	v_bfe_u32 v90, v0, 4, 1
	s_waitcnt vmcnt(18)
	v_wmma_f32_16x16x16_bf16 v[73:80], v[25:32], v[133:140], v[73:80]
	s_clause 0x3
	global_load_b128 v[33:36], v[37:38], off
	global_load_b128 v[37:40], v[37:38], off offset:16
	global_load_b128 v[25:28], v[95:96], off
	global_load_b128 v[29:32], v[95:96], off offset:16
	v_mov_b32_e32 v100, s11
	v_mov_b32_e32 v98, s9
	;; [unrolled: 1-line block ×4, first 2 shown]
	v_wmma_f32_16x16x16_bf16 v[81:88], v[101:108], v[133:140], v[81:88]
	v_mbcnt_lo_u32_b32 v102, -1, 0
	v_mov_b32_e32 v97, s8
	v_mov_b32_e32 v95, s6
	;; [unrolled: 1-line block ×3, first 2 shown]
	s_waitcnt vmcnt(0)
	v_xor_b32_e32 v103, 16, v102
	s_barrier
	buffer_gl0_inv
	v_cmp_gt_i32_e32 vcc_lo, 32, v103
	v_dual_mov_b32 v99, s10 :: v_dual_cndmask_b32 v102, v102, v103
	s_delay_alu instid0(VALU_DEP_1) | instskip(NEXT) | instid1(VALU_DEP_1)
	v_wmma_f32_16x16x16_bf16 v[81:88], v[117:124], v[93:100], v[81:88]
	v_mul_f32_e32 v110, s76, v88
	s_delay_alu instid0(VALU_DEP_2) | instskip(NEXT) | instid1(VALU_DEP_3)
	v_mul_f32_e32 v112, s76, v86
	v_mul_f32_e32 v114, s76, v84
	v_wmma_f32_16x16x16_bf16 v[73:80], v[125:132], v[93:100], v[73:80]
	v_and_b32_e32 v101, 0xe0, v0
	v_mul_f32_e32 v113, s76, v81
	v_mul_f32_e32 v115, s76, v82
	;; [unrolled: 1-line block ×3, first 2 shown]
	s_delay_alu instid0(VALU_DEP_4) | instskip(NEXT) | instid1(VALU_DEP_1)
	v_add_nc_u32_e32 v101, s84, v101
	v_or_b32_e32 v101, v101, v90
	s_delay_alu instid0(VALU_DEP_1)
	v_or_b32_e32 v103, 2, v101
	v_or_b32_e32 v104, 4, v101
	v_or_b32_e32 v105, 6, v101
	v_cmp_gt_i32_e32 vcc_lo, s33, v101
	v_or_b32_e32 v106, 8, v101
	v_cmp_gt_i32_e64 s2, s33, v103
	v_or_b32_e32 v107, 10, v101
	v_or_b32_e32 v93, 12, v101
	v_or_b32_e32 v94, 14, v101
	v_or_b32_e32 v95, 16, v101
	v_or_b32_e32 v96, 18, v101
	v_or_b32_e32 v97, 20, v101
	v_or_b32_e32 v98, 22, v101
	v_or_b32_e32 v99, 24, v101
	v_or_b32_e32 v100, 26, v101
	v_or_b32_e32 v108, 28, v101
	v_or_b32_e32 v109, 30, v101
	v_mul_f32_e32 v101, s76, v83
	v_cndmask_b32_e32 v113, 0xff7fffff, v113, vcc_lo
	v_cndmask_b32_e64 v103, 0xff7fffff, v115, s2
	v_cmp_gt_i32_e64 s3, s33, v104
	v_cmp_gt_i32_e64 s4, s33, v105
	v_mul_f32_e32 v105, s76, v85
	v_cmp_gt_i32_e64 s5, s33, v107
	v_max3_f32 v103, v113, 0xff7fffff, v103
	v_cndmask_b32_e64 v101, 0xff7fffff, v101, s3
	v_cndmask_b32_e64 v104, 0xff7fffff, v114, s4
	v_cmp_gt_i32_e64 s6, s33, v106
	v_cndmask_b32_e64 v112, 0xff7fffff, v112, s5
	v_cmp_gt_i32_e64 s7, s33, v93
	v_cmp_gt_i32_e64 s8, s33, v94
	v_max3_f32 v101, v103, v101, v104
	v_cndmask_b32_e64 v105, 0xff7fffff, v105, s6
	v_dual_mul_f32 v106, s76, v74 :: v_dual_mul_f32 v93, s76, v73
	v_cndmask_b32_e64 v111, 0xff7fffff, v111, s7
	v_cndmask_b32_e64 v94, 0xff7fffff, v110, s8
	s_delay_alu instid0(VALU_DEP_4) | instskip(SKIP_3) | instid1(VALU_DEP_4)
	v_max3_f32 v101, v101, v105, v112
	v_cmp_gt_i32_e64 s9, s33, v95
	v_cmp_gt_i32_e64 s10, s33, v96
	v_dual_mul_f32 v104, s76, v76 :: v_dual_mul_f32 v107, s76, v75
	v_max3_f32 v94, v101, v111, v94
	s_delay_alu instid0(VALU_DEP_4) | instskip(NEXT) | instid1(VALU_DEP_4)
	v_cndmask_b32_e64 v93, 0xff7fffff, v93, s9
	v_cndmask_b32_e64 v95, 0xff7fffff, v106, s10
	v_cmp_gt_i32_e64 s11, s33, v97
	v_cmp_gt_i32_e64 s12, s33, v98
	v_mul_f32_e32 v115, s76, v78
	v_mul_f32_e32 v103, s76, v77
	v_max3_f32 v93, v94, v93, v95
	v_cndmask_b32_e64 v96, 0xff7fffff, v107, s11
	v_cndmask_b32_e64 v97, 0xff7fffff, v104, s12
	v_cmp_gt_i32_e64 s13, s33, v99
	v_cmp_gt_i32_e64 s16, s33, v100
	v_dual_mul_f32 v113, s76, v80 :: v_dual_mul_f32 v114, s76, v79
	s_delay_alu instid0(VALU_DEP_4) | instskip(NEXT) | instid1(VALU_DEP_4)
	v_max3_f32 v93, v93, v96, v97
	v_cndmask_b32_e64 v94, 0xff7fffff, v103, s13
	s_delay_alu instid0(VALU_DEP_4) | instskip(SKIP_3) | instid1(VALU_DEP_4)
	v_cndmask_b32_e64 v95, 0xff7fffff, v115, s16
	v_cmp_gt_i32_e64 s17, s33, v108
	v_cmp_gt_i32_e64 s18, s33, v109
	v_lshlrev_b32_e32 v98, 2, v102
	v_max3_f32 v93, v93, v94, v95
	s_delay_alu instid0(VALU_DEP_4) | instskip(NEXT) | instid1(VALU_DEP_4)
	v_cndmask_b32_e64 v96, 0xff7fffff, v114, s17
	v_cndmask_b32_e64 v97, 0xff7fffff, v113, s18
	s_delay_alu instid0(VALU_DEP_1) | instskip(SKIP_3) | instid1(VALU_DEP_1)
	v_max3_f32 v93, v93, v96, v97
	ds_bpermute_b32 v94, v98, v93
	s_waitcnt lgkmcnt(0)
	v_max_f32_e32 v94, v94, v94
	v_max_f32_e32 v96, v93, v94
	s_delay_alu instid0(VALU_DEP_1) | instskip(SKIP_4) | instid1(VALU_DEP_4)
	v_fma_f32 v81, s76, v81, -v96
	v_fma_f32 v82, s76, v82, -v96
	v_fma_f32 v78, s76, v78, -v96
	v_fma_f32 v83, s76, v83, -v96
	v_fma_f32 v84, s76, v84, -v96
	v_dual_mul_f32 v81, 0x3fb8aa3b, v81 :: v_dual_mul_f32 v82, 0x3fb8aa3b, v82
	s_delay_alu instid0(VALU_DEP_3) | instskip(SKIP_1) | instid1(VALU_DEP_3)
	v_dual_mul_f32 v78, 0x3fb8aa3b, v78 :: v_dual_mul_f32 v83, 0x3fb8aa3b, v83
	v_fma_f32 v93, s76, v85, -v96
	v_exp_f32_e32 v81, v81
	s_delay_alu instid0(VALU_DEP_3)
	v_exp_f32_e32 v82, v82
	v_mul_f32_e32 v84, 0x3fb8aa3b, v84
	v_exp_f32_e32 v83, v83
	v_fma_f32 v87, s76, v87, -v96
	v_fma_f32 v73, s76, v73, -v96
	;; [unrolled: 1-line block ×5, first 2 shown]
	v_mul_f32_e32 v87, 0x3fb8aa3b, v87
	v_cndmask_b32_e32 v85, 0, v81, vcc_lo
	v_fma_f32 v81, s76, v86, -v96
	v_mul_f32_e32 v86, 0x3fb8aa3b, v93
	v_exp_f32_e32 v93, v84
	v_cndmask_b32_e64 v84, 0, v82, s2
	v_add_f32_e32 v82, 0, v85
	v_mul_f32_e32 v81, 0x3fb8aa3b, v81
	v_exp_f32_e32 v94, v86
	v_cndmask_b32_e64 v86, 0, v83, s3
	v_fma_f32 v83, s76, v88, -v96
	v_add_f32_e32 v82, v82, v84
	v_exp_f32_e32 v81, v81
	v_exp_f32_e32 v87, v87
	v_cndmask_b32_e64 v88, 0, v93, s4
	s_delay_alu instid0(VALU_DEP_2) | instskip(SKIP_1) | instid1(TRANS32_DEP_3)
	v_dual_mul_f32 v83, 0x3fb8aa3b, v83 :: v_dual_add_f32 v82, v82, v86
	v_mul_f32_e32 v73, 0x3fb8aa3b, v73
	v_cndmask_b32_e64 v93, 0, v94, s6
	v_mul_f32_e32 v74, 0x3fb8aa3b, v74
	s_delay_alu instid0(VALU_DEP_4) | instskip(SKIP_1) | instid1(TRANS32_DEP_3)
	v_exp_f32_e32 v83, v83
	v_add_f32_e32 v82, v82, v88
	v_cndmask_b32_e64 v94, 0, v81, s5
	v_exp_f32_e32 v73, v73
	v_cndmask_b32_e64 v87, 0, v87, s7
	v_mul_f32_e32 v75, 0x3fb8aa3b, v75
	v_add_f32_e32 v81, v82, v93
	v_exp_f32_e32 v74, v74
	v_fma_f32 v77, s76, v77, -v96
	v_mul_f32_e32 v76, 0x3fb8aa3b, v76
	v_cndmask_b32_e64 v95, 0, v83, s8
	v_add_f32_e32 v81, v81, v94
	v_exp_f32_e32 v82, v75
	v_cndmask_b32_e64 v75, 0, v73, s9
	v_mul_f32_e32 v77, 0x3fb8aa3b, v77
	v_fma_f32 v80, s76, v80, -v96
	v_add_f32_e32 v81, v81, v87
	v_and_b32_e32 v83, 31, v0
	s_mov_b32 s3, exec_lo
	s_delay_alu instid0(VALU_DEP_2)
	v_add_f32_e32 v73, v81, v95
	v_exp_f32_e32 v81, v76
	v_cndmask_b32_e64 v76, 0, v74, s10
	v_fma_f32 v74, s76, v79, -v96
	v_exp_f32_e32 v79, v77
	v_add_f32_e32 v73, v73, v75
	v_cndmask_b32_e64 v77, 0, v82, s11
	v_exp_f32_e32 v82, v78
	v_mul_f32_e32 v74, 0x3fb8aa3b, v74
	v_cmp_lt_u32_e64 s2, 15, v83
	v_add_f32_e32 v73, v73, v76
	v_cndmask_b32_e64 v78, 0, v81, s12
	v_mul_f32_e32 v81, 0x3fb8aa3b, v80
	v_exp_f32_e32 v74, v74
	v_cndmask_b32_e64 v79, 0, v79, s13
	v_add_f32_e32 v73, v73, v77
	s_delay_alu instid0(TRANS32_DEP_2) | instskip(SKIP_1) | instid1(VALU_DEP_2)
	v_cndmask_b32_e64 v80, 0, v82, s16
	v_exp_f32_e32 v82, v81
	v_add_f32_e32 v73, v73, v78
	s_waitcnt_depctr 0xfff
	v_cndmask_b32_e64 v81, 0, v74, s17
	v_add_f32_e32 v73, v73, v79
	v_cndmask_b32_e64 v82, 0, v82, s18
	s_delay_alu instid0(VALU_DEP_2) | instskip(NEXT) | instid1(VALU_DEP_1)
	v_add_f32_e32 v73, v73, v80
	v_add_f32_e32 v73, v73, v81
	s_delay_alu instid0(VALU_DEP_1)
	v_add_f32_e32 v73, v73, v82
	ds_bpermute_b32 v74, v98, v73
	v_cmpx_gt_u32_e32 16, v83
	s_cbranch_execz .LBB746_11
; %bb.10:
	v_mul_u32_u24_e32 v83, 0x44, v92
	s_delay_alu instid0(VALU_DEP_1) | instskip(SKIP_1) | instid1(VALU_DEP_1)
	v_lshl_add_u32 v83, v89, 2, v83
	s_waitcnt lgkmcnt(0)
	v_dual_add_f32 v73, v73, v74 :: v_dual_add_nc_u32 v74, 0x4000, v83
	ds_store_2addr_b32 v74, v96, v73 offset1:136
.LBB746_11:
	s_or_b32 exec_lo, exec_lo, s3
	v_lshlrev_b32_e32 v73, 2, v89
	s_waitcnt lgkmcnt(0)
	s_barrier
	buffer_gl0_inv
	v_cmp_eq_u32_e64 s3, 1, v92
	v_add_nc_u32_e32 v83, 0x4000, v73
	ds_load_2addr_b32 v[96:97], v83 offset1:17
	ds_load_2addr_b32 v[98:99], v83 offset0:34 offset1:51
	ds_load_2addr_b32 v[100:101], v83 offset0:68 offset1:85
	;; [unrolled: 1-line block ×4, first 2 shown]
	s_waitcnt lgkmcnt(4)
	v_max3_f32 v73, v96, 0xff7fffff, v97
	s_waitcnt lgkmcnt(3)
	s_delay_alu instid0(VALU_DEP_1) | instskip(SKIP_1) | instid1(VALU_DEP_1)
	v_max3_f32 v73, v73, v98, v99
	s_waitcnt lgkmcnt(2)
	v_max3_f32 v73, v73, v100, v101
	s_waitcnt lgkmcnt(1)
	s_delay_alu instid0(VALU_DEP_1) | instskip(NEXT) | instid1(VALU_DEP_1)
	v_max3_f32 v73, v73, v102, v103
	v_sub_f32_e32 v74, v96, v73
	v_sub_f32_e32 v98, v98, v73
	;; [unrolled: 1-line block ×3, first 2 shown]
	s_delay_alu instid0(VALU_DEP_3) | instskip(NEXT) | instid1(VALU_DEP_3)
	v_mul_f32_e32 v74, 0x3fb8aa3b, v74
	v_mul_f32_e32 v108, 0x3fb8aa3b, v98
	s_delay_alu instid0(VALU_DEP_3) | instskip(NEXT) | instid1(VALU_DEP_3)
	v_mul_f32_e32 v110, 0x3fb8aa3b, v100
	v_exp_f32_e32 v107, v74
	v_sub_f32_e32 v74, v99, v73
	v_sub_f32_e32 v106, v97, v73
	ds_load_2addr_b32 v[96:97], v83 offset0:170 offset1:187
	v_exp_f32_e32 v108, v108
	v_mul_f32_e32 v109, 0x3fb8aa3b, v74
	v_mul_f32_e32 v106, 0x3fb8aa3b, v106
	s_waitcnt lgkmcnt(1)
	v_fma_f32 v74, v107, v104, 0
	v_sub_f32_e32 v104, v101, v73
	s_delay_alu instid0(VALU_DEP_3) | instskip(SKIP_4) | instid1(VALU_DEP_1)
	v_exp_f32_e32 v106, v106
	v_exp_f32_e32 v109, v109
	s_waitcnt_depctr 0xfff
	v_fmac_f32_e32 v74, v106, v105
	s_waitcnt lgkmcnt(0)
	v_fmac_f32_e32 v74, v108, v96
	ds_load_2addr_b32 v[98:99], v83 offset0:204 offset1:221
	ds_load_2addr_b32 v[100:101], v83 offset0:238 offset1:255
	v_dual_sub_f32 v83, v102, v73 :: v_dual_mul_f32 v102, 0x3fb8aa3b, v104
	v_exp_f32_e32 v104, v110
	v_sub_f32_e32 v96, v103, v73
	s_delay_alu instid0(VALU_DEP_2) | instskip(NEXT) | instid1(VALU_DEP_3)
	v_dual_fmac_f32 v74, v109, v97 :: v_dual_mul_f32 v83, 0x3fb8aa3b, v83
	v_exp_f32_e32 v102, v102
	s_waitcnt lgkmcnt(0)
	s_delay_alu instid0(VALU_DEP_2)
	v_mul_f32_e32 v96, 0x3fb8aa3b, v96
	s_barrier
	v_exp_f32_e32 v83, v83
	buffer_gl0_inv
	v_exp_f32_e32 v96, v96
	v_fmac_f32_e32 v74, v104, v98
	s_delay_alu instid0(VALU_DEP_1) | instskip(NEXT) | instid1(VALU_DEP_1)
	v_fmac_f32_e32 v74, v102, v99
	v_fmac_f32_e32 v74, v83, v100
	s_waitcnt_depctr 0xfff
	v_fmac_f32_e32 v74, v96, v101
	s_delay_alu instid0(VALU_DEP_1) | instskip(NEXT) | instid1(VALU_DEP_1)
	v_add_f32_e32 v97, 0x358637bd, v74
	v_div_scale_f32 v98, null, v97, v97, 1.0
	v_div_scale_f32 v101, vcc_lo, 1.0, v97, 1.0
	s_delay_alu instid0(VALU_DEP_2) | instskip(SKIP_2) | instid1(VALU_DEP_1)
	v_rcp_f32_e32 v99, v98
	s_waitcnt_depctr 0xfff
	v_fma_f32 v100, -v98, v99, 1.0
	v_fmac_f32_e32 v99, v100, v99
	v_cndmask_b32_e64 v100, v107, v106, s3
	v_cmp_eq_u32_e64 s3, 2, v92
	s_delay_alu instid0(VALU_DEP_3) | instskip(NEXT) | instid1(VALU_DEP_2)
	v_mul_f32_e32 v103, v101, v99
	v_cndmask_b32_e64 v100, v100, v108, s3
	v_cmp_eq_u32_e64 s3, 3, v92
	s_delay_alu instid0(VALU_DEP_3) | instskip(NEXT) | instid1(VALU_DEP_2)
	v_fma_f32 v105, -v98, v103, v101
	v_cndmask_b32_e64 v100, v100, v109, s3
	v_cmp_eq_u32_e64 s3, 4, v92
	s_delay_alu instid0(VALU_DEP_3) | instskip(NEXT) | instid1(VALU_DEP_2)
	v_fmac_f32_e32 v103, v105, v99
	v_cndmask_b32_e64 v100, v100, v104, s3
	s_delay_alu instid0(VALU_DEP_2) | instskip(SKIP_1) | instid1(VALU_DEP_2)
	v_fma_f32 v98, -v98, v103, v101
	v_cmp_eq_u32_e64 s3, 5, v92
	v_div_fmas_f32 v98, v98, v99, v103
	s_delay_alu instid0(VALU_DEP_2) | instskip(SKIP_2) | instid1(VALU_DEP_3)
	v_cndmask_b32_e64 v100, v100, v102, s3
	v_cmp_eq_u32_e32 vcc_lo, 6, v92
	s_mov_b32 s3, exec_lo
	v_div_fixup_f32 v97, v98, v97, 1.0
	s_delay_alu instid0(VALU_DEP_3) | instskip(SKIP_1) | instid1(VALU_DEP_2)
	v_cndmask_b32_e32 v83, v100, v83, vcc_lo
	v_cmp_eq_u32_e32 vcc_lo, 7, v92
	v_cndmask_b32_e32 v83, v83, v96, vcc_lo
	s_delay_alu instid0(VALU_DEP_1) | instskip(NEXT) | instid1(VALU_DEP_1)
	v_mul_f32_e32 v83, v83, v97
	v_mul_f32_e32 v97, v83, v85
	;; [unrolled: 1-line block ×6, first 2 shown]
	v_dual_mul_f32 v93, v83, v86 :: v_dual_and_b32 v98, 0x7f800000, v97
	v_mul_f32_e32 v96, v83, v88
	v_mul_f32_e32 v88, v83, v84
                                        ; implicit-def: $vgpr84
	s_delay_alu instid0(VALU_DEP_3)
	v_cmpx_ne_u32_e32 0x7f800000, v98
	s_xor_b32 s3, exec_lo, s3
; %bb.12:
	v_bfe_u32 v84, v97, 16, 1
	s_delay_alu instid0(VALU_DEP_1)
	v_add3_u32 v84, v97, v84, 0x7fff
                                        ; implicit-def: $vgpr97
; %bb.13:
	s_and_not1_saveexec_b32 s3, s3
; %bb.14:
	v_and_b32_e32 v84, 0xffff, v97
	v_or_b32_e32 v86, 0x10000, v97
	s_delay_alu instid0(VALU_DEP_2) | instskip(NEXT) | instid1(VALU_DEP_2)
	v_cmp_eq_u32_e32 vcc_lo, 0, v84
	v_cndmask_b32_e32 v84, v86, v97, vcc_lo
; %bb.15:
	s_or_b32 exec_lo, exec_lo, s3
	v_and_b32_e32 v86, 0x7f800000, v88
	s_delay_alu instid0(VALU_DEP_1) | instskip(SKIP_1) | instid1(SALU_CYCLE_1)
	v_cmp_ne_u32_e32 vcc_lo, 0x7f800000, v86
                                        ; implicit-def: $vgpr86
	s_and_saveexec_b32 s3, vcc_lo
	s_xor_b32 s3, exec_lo, s3
; %bb.16:
	v_bfe_u32 v86, v88, 16, 1
	s_delay_alu instid0(VALU_DEP_1)
	v_add3_u32 v86, v88, v86, 0x7fff
                                        ; implicit-def: $vgpr88
; %bb.17:
	s_and_not1_saveexec_b32 s3, s3
; %bb.18:
	v_and_b32_e32 v86, 0xffff, v88
	v_or_b32_e32 v97, 0x10000, v88
	s_delay_alu instid0(VALU_DEP_2) | instskip(NEXT) | instid1(VALU_DEP_2)
	v_cmp_eq_u32_e32 vcc_lo, 0, v86
	v_cndmask_b32_e32 v86, v97, v88, vcc_lo
; %bb.19:
	s_or_b32 exec_lo, exec_lo, s3
	v_and_b32_e32 v88, 0x7f800000, v93
	s_delay_alu instid0(VALU_DEP_1) | instskip(SKIP_1) | instid1(SALU_CYCLE_1)
	v_cmp_ne_u32_e32 vcc_lo, 0x7f800000, v88
                                        ; implicit-def: $vgpr88
	s_and_saveexec_b32 s3, vcc_lo
	s_xor_b32 s3, exec_lo, s3
; %bb.20:
	v_bfe_u32 v88, v93, 16, 1
	s_delay_alu instid0(VALU_DEP_1)
	v_add3_u32 v88, v93, v88, 0x7fff
                                        ; implicit-def: $vgpr93
; %bb.21:
	s_and_not1_saveexec_b32 s3, s3
; %bb.22:
	v_and_b32_e32 v88, 0xffff, v93
	v_or_b32_e32 v97, 0x10000, v93
	s_delay_alu instid0(VALU_DEP_2) | instskip(NEXT) | instid1(VALU_DEP_2)
	v_cmp_eq_u32_e32 vcc_lo, 0, v88
	v_cndmask_b32_e32 v88, v97, v93, vcc_lo
; %bb.23:
	s_or_b32 exec_lo, exec_lo, s3
	v_and_b32_e32 v93, 0x7f800000, v96
	s_delay_alu instid0(VALU_DEP_1) | instskip(SKIP_1) | instid1(SALU_CYCLE_1)
	v_cmp_ne_u32_e32 vcc_lo, 0x7f800000, v93
                                        ; implicit-def: $vgpr93
	s_and_saveexec_b32 s3, vcc_lo
	s_xor_b32 s3, exec_lo, s3
; %bb.24:
	v_bfe_u32 v93, v96, 16, 1
	s_delay_alu instid0(VALU_DEP_1)
	v_add3_u32 v93, v96, v93, 0x7fff
                                        ; implicit-def: $vgpr96
; %bb.25:
	s_and_not1_saveexec_b32 s3, s3
; %bb.26:
	v_and_b32_e32 v93, 0xffff, v96
	v_or_b32_e32 v97, 0x10000, v96
	s_delay_alu instid0(VALU_DEP_2) | instskip(NEXT) | instid1(VALU_DEP_2)
	v_cmp_eq_u32_e32 vcc_lo, 0, v93
	v_cndmask_b32_e32 v93, v97, v96, vcc_lo
; %bb.27:
	s_or_b32 exec_lo, exec_lo, s3
	v_and_b32_e32 v96, 0x7f800000, v95
	s_delay_alu instid0(VALU_DEP_1) | instskip(SKIP_1) | instid1(SALU_CYCLE_1)
	v_cmp_ne_u32_e32 vcc_lo, 0x7f800000, v96
                                        ; implicit-def: $vgpr96
	s_and_saveexec_b32 s3, vcc_lo
	s_xor_b32 s3, exec_lo, s3
; %bb.28:
	v_bfe_u32 v96, v95, 16, 1
	s_delay_alu instid0(VALU_DEP_1)
	v_add3_u32 v96, v95, v96, 0x7fff
                                        ; implicit-def: $vgpr95
; %bb.29:
	s_and_not1_saveexec_b32 s3, s3
; %bb.30:
	v_and_b32_e32 v96, 0xffff, v95
	v_or_b32_e32 v97, 0x10000, v95
	s_delay_alu instid0(VALU_DEP_2) | instskip(NEXT) | instid1(VALU_DEP_2)
	v_cmp_eq_u32_e32 vcc_lo, 0, v96
	v_cndmask_b32_e32 v96, v97, v95, vcc_lo
; %bb.31:
	s_or_b32 exec_lo, exec_lo, s3
	v_and_b32_e32 v95, 0x7f800000, v94
	s_delay_alu instid0(VALU_DEP_1) | instskip(SKIP_1) | instid1(SALU_CYCLE_1)
	v_cmp_ne_u32_e32 vcc_lo, 0x7f800000, v95
                                        ; implicit-def: $vgpr95
	s_and_saveexec_b32 s3, vcc_lo
	s_xor_b32 s3, exec_lo, s3
; %bb.32:
	v_bfe_u32 v95, v94, 16, 1
	s_delay_alu instid0(VALU_DEP_1)
	v_add3_u32 v95, v94, v95, 0x7fff
                                        ; implicit-def: $vgpr94
; %bb.33:
	s_and_not1_saveexec_b32 s3, s3
; %bb.34:
	v_and_b32_e32 v95, 0xffff, v94
	v_or_b32_e32 v97, 0x10000, v94
	s_delay_alu instid0(VALU_DEP_2) | instskip(NEXT) | instid1(VALU_DEP_2)
	v_cmp_eq_u32_e32 vcc_lo, 0, v95
	v_cndmask_b32_e32 v95, v97, v94, vcc_lo
; %bb.35:
	s_or_b32 exec_lo, exec_lo, s3
	v_and_b32_e32 v94, 0x7f800000, v87
	s_delay_alu instid0(VALU_DEP_1) | instskip(SKIP_1) | instid1(SALU_CYCLE_1)
	v_cmp_ne_u32_e32 vcc_lo, 0x7f800000, v94
                                        ; implicit-def: $vgpr94
	s_and_saveexec_b32 s3, vcc_lo
	s_xor_b32 s3, exec_lo, s3
; %bb.36:
	v_bfe_u32 v94, v87, 16, 1
	s_delay_alu instid0(VALU_DEP_1)
	v_add3_u32 v94, v87, v94, 0x7fff
                                        ; implicit-def: $vgpr87
; %bb.37:
	s_and_not1_saveexec_b32 s3, s3
; %bb.38:
	v_and_b32_e32 v94, 0xffff, v87
	v_or_b32_e32 v97, 0x10000, v87
	s_delay_alu instid0(VALU_DEP_2) | instskip(NEXT) | instid1(VALU_DEP_2)
	v_cmp_eq_u32_e32 vcc_lo, 0, v94
	v_cndmask_b32_e32 v94, v97, v87, vcc_lo
; %bb.39:
	s_or_b32 exec_lo, exec_lo, s3
	v_and_b32_e32 v87, 0x7f800000, v85
	s_delay_alu instid0(VALU_DEP_1) | instskip(SKIP_1) | instid1(SALU_CYCLE_1)
	v_cmp_ne_u32_e32 vcc_lo, 0x7f800000, v87
                                        ; implicit-def: $vgpr87
	s_and_saveexec_b32 s3, vcc_lo
	s_xor_b32 s3, exec_lo, s3
; %bb.40:
	v_bfe_u32 v87, v85, 16, 1
	s_delay_alu instid0(VALU_DEP_1)
	v_add3_u32 v87, v85, v87, 0x7fff
                                        ; implicit-def: $vgpr85
; %bb.41:
	s_and_not1_saveexec_b32 s3, s3
; %bb.42:
	v_and_b32_e32 v87, 0xffff, v85
	v_or_b32_e32 v97, 0x10000, v85
	s_delay_alu instid0(VALU_DEP_2) | instskip(NEXT) | instid1(VALU_DEP_2)
	v_cmp_eq_u32_e32 vcc_lo, 0, v87
	v_cndmask_b32_e32 v87, v97, v85, vcc_lo
; %bb.43:
	s_or_b32 exec_lo, exec_lo, s3
	s_load_b64 s[36:37], s[0:1], 0x94
	v_lshlrev_b32_e32 v85, 4, v90
	s_delay_alu instid0(VALU_DEP_2)
	v_perm_b32 v97, v87, v94, 0x7060302
	v_dual_mul_f32 v82, v83, v82 :: v_dual_lshlrev_b32 v87, 11, v92
	v_perm_b32 v94, v86, v84, 0x7060302
	v_mul_f32_e32 v86, v83, v75
	v_perm_b32 v96, v95, v96, 0x7060302
	v_perm_b32 v95, v93, v88, 0x7060302
	v_or3_b32 v75, v85, v87, v91
	v_mul_f32_e32 v81, v83, v81
	v_dual_mul_f32 v80, v83, v80 :: v_dual_and_b32 v87, 0x7f800000, v86
	v_mul_f32_e32 v79, v83, v79
	v_mul_f32_e32 v84, v83, v78
	;; [unrolled: 1-line block ×4, first 2 shown]
	s_mov_b32 s3, exec_lo
	ds_store_b128 v75, v[94:97]
                                        ; implicit-def: $vgpr76
	v_cmpx_ne_u32_e32 0x7f800000, v87
	s_xor_b32 s3, exec_lo, s3
; %bb.44:
	v_bfe_u32 v76, v86, 16, 1
	s_delay_alu instid0(VALU_DEP_1)
	v_add3_u32 v76, v86, v76, 0x7fff
                                        ; implicit-def: $vgpr86
; %bb.45:
	s_and_not1_saveexec_b32 s3, s3
; %bb.46:
	v_and_b32_e32 v76, 0xffff, v86
	v_or_b32_e32 v77, 0x10000, v86
	s_delay_alu instid0(VALU_DEP_2) | instskip(NEXT) | instid1(VALU_DEP_2)
	v_cmp_eq_u32_e32 vcc_lo, 0, v76
	v_cndmask_b32_e32 v76, v77, v86, vcc_lo
; %bb.47:
	s_or_b32 exec_lo, exec_lo, s3
	v_and_b32_e32 v77, 0x7f800000, v78
	s_delay_alu instid0(VALU_DEP_1) | instskip(SKIP_1) | instid1(SALU_CYCLE_1)
	v_cmp_ne_u32_e32 vcc_lo, 0x7f800000, v77
                                        ; implicit-def: $vgpr77
	s_and_saveexec_b32 s3, vcc_lo
	s_xor_b32 s3, exec_lo, s3
; %bb.48:
	v_bfe_u32 v77, v78, 16, 1
	s_delay_alu instid0(VALU_DEP_1)
	v_add3_u32 v77, v78, v77, 0x7fff
                                        ; implicit-def: $vgpr78
; %bb.49:
	s_and_not1_saveexec_b32 s3, s3
; %bb.50:
	v_and_b32_e32 v77, 0xffff, v78
	v_or_b32_e32 v83, 0x10000, v78
	s_delay_alu instid0(VALU_DEP_2) | instskip(NEXT) | instid1(VALU_DEP_2)
	v_cmp_eq_u32_e32 vcc_lo, 0, v77
	v_cndmask_b32_e32 v77, v83, v78, vcc_lo
; %bb.51:
	s_or_b32 exec_lo, exec_lo, s3
	v_and_b32_e32 v78, 0x7f800000, v85
	s_delay_alu instid0(VALU_DEP_1) | instskip(SKIP_1) | instid1(SALU_CYCLE_1)
	v_cmp_ne_u32_e32 vcc_lo, 0x7f800000, v78
                                        ; implicit-def: $vgpr78
	s_and_saveexec_b32 s3, vcc_lo
	s_xor_b32 s3, exec_lo, s3
; %bb.52:
	v_bfe_u32 v78, v85, 16, 1
	s_delay_alu instid0(VALU_DEP_1)
	v_add3_u32 v78, v85, v78, 0x7fff
                                        ; implicit-def: $vgpr85
; %bb.53:
	s_and_not1_saveexec_b32 s3, s3
; %bb.54:
	v_and_b32_e32 v78, 0xffff, v85
	v_or_b32_e32 v83, 0x10000, v85
	s_delay_alu instid0(VALU_DEP_2) | instskip(NEXT) | instid1(VALU_DEP_2)
	v_cmp_eq_u32_e32 vcc_lo, 0, v78
	v_cndmask_b32_e32 v78, v83, v85, vcc_lo
; %bb.55:
	s_or_b32 exec_lo, exec_lo, s3
	v_and_b32_e32 v83, 0x7f800000, v84
	s_delay_alu instid0(VALU_DEP_1) | instskip(SKIP_1) | instid1(SALU_CYCLE_1)
	v_cmp_ne_u32_e32 vcc_lo, 0x7f800000, v83
                                        ; implicit-def: $vgpr83
	s_and_saveexec_b32 s3, vcc_lo
	s_xor_b32 s3, exec_lo, s3
; %bb.56:
	v_bfe_u32 v83, v84, 16, 1
	s_delay_alu instid0(VALU_DEP_1)
	v_add3_u32 v83, v84, v83, 0x7fff
                                        ; implicit-def: $vgpr84
; %bb.57:
	s_and_not1_saveexec_b32 s3, s3
; %bb.58:
	v_and_b32_e32 v83, 0xffff, v84
	v_or_b32_e32 v85, 0x10000, v84
	s_delay_alu instid0(VALU_DEP_2) | instskip(NEXT) | instid1(VALU_DEP_2)
	v_cmp_eq_u32_e32 vcc_lo, 0, v83
	v_cndmask_b32_e32 v83, v85, v84, vcc_lo
; %bb.59:
	s_or_b32 exec_lo, exec_lo, s3
	v_and_b32_e32 v84, 0x7f800000, v79
	s_delay_alu instid0(VALU_DEP_1) | instskip(SKIP_1) | instid1(SALU_CYCLE_1)
	v_cmp_ne_u32_e32 vcc_lo, 0x7f800000, v84
                                        ; implicit-def: $vgpr84
	s_and_saveexec_b32 s3, vcc_lo
	s_xor_b32 s3, exec_lo, s3
; %bb.60:
	v_bfe_u32 v84, v79, 16, 1
	s_delay_alu instid0(VALU_DEP_1)
	v_add3_u32 v84, v79, v84, 0x7fff
                                        ; implicit-def: $vgpr79
; %bb.61:
	s_and_not1_saveexec_b32 s3, s3
; %bb.62:
	v_and_b32_e32 v84, 0xffff, v79
	v_or_b32_e32 v85, 0x10000, v79
	s_delay_alu instid0(VALU_DEP_2) | instskip(NEXT) | instid1(VALU_DEP_2)
	v_cmp_eq_u32_e32 vcc_lo, 0, v84
	v_cndmask_b32_e32 v84, v85, v79, vcc_lo
; %bb.63:
	s_or_b32 exec_lo, exec_lo, s3
	v_and_b32_e32 v79, 0x7f800000, v80
	s_delay_alu instid0(VALU_DEP_1) | instskip(SKIP_1) | instid1(SALU_CYCLE_1)
	v_cmp_ne_u32_e32 vcc_lo, 0x7f800000, v79
                                        ; implicit-def: $vgpr79
	s_and_saveexec_b32 s3, vcc_lo
	s_xor_b32 s3, exec_lo, s3
; %bb.64:
	v_bfe_u32 v79, v80, 16, 1
	s_delay_alu instid0(VALU_DEP_1)
	v_add3_u32 v79, v80, v79, 0x7fff
                                        ; implicit-def: $vgpr80
; %bb.65:
	s_and_not1_saveexec_b32 s3, s3
; %bb.66:
	v_and_b32_e32 v79, 0xffff, v80
	v_or_b32_e32 v85, 0x10000, v80
	s_delay_alu instid0(VALU_DEP_2) | instskip(NEXT) | instid1(VALU_DEP_2)
	v_cmp_eq_u32_e32 vcc_lo, 0, v79
	v_cndmask_b32_e32 v79, v85, v80, vcc_lo
; %bb.67:
	s_or_b32 exec_lo, exec_lo, s3
	v_and_b32_e32 v80, 0x7f800000, v81
	s_delay_alu instid0(VALU_DEP_1) | instskip(SKIP_1) | instid1(SALU_CYCLE_1)
	v_cmp_ne_u32_e32 vcc_lo, 0x7f800000, v80
                                        ; implicit-def: $vgpr80
	s_and_saveexec_b32 s3, vcc_lo
	s_xor_b32 s3, exec_lo, s3
; %bb.68:
	v_bfe_u32 v80, v81, 16, 1
	s_delay_alu instid0(VALU_DEP_1)
	v_add3_u32 v80, v81, v80, 0x7fff
                                        ; implicit-def: $vgpr81
; %bb.69:
	s_and_not1_saveexec_b32 s3, s3
; %bb.70:
	v_and_b32_e32 v80, 0xffff, v81
	v_or_b32_e32 v85, 0x10000, v81
	s_delay_alu instid0(VALU_DEP_2) | instskip(NEXT) | instid1(VALU_DEP_2)
	v_cmp_eq_u32_e32 vcc_lo, 0, v80
	v_cndmask_b32_e32 v80, v85, v81, vcc_lo
; %bb.71:
	s_or_b32 exec_lo, exec_lo, s3
	v_and_b32_e32 v81, 0x7f800000, v82
	s_delay_alu instid0(VALU_DEP_1) | instskip(SKIP_1) | instid1(SALU_CYCLE_1)
	v_cmp_ne_u32_e32 vcc_lo, 0x7f800000, v81
                                        ; implicit-def: $vgpr81
	s_and_saveexec_b32 s3, vcc_lo
	s_xor_b32 s3, exec_lo, s3
; %bb.72:
	v_bfe_u32 v81, v82, 16, 1
	s_delay_alu instid0(VALU_DEP_1)
	v_add3_u32 v81, v82, v81, 0x7fff
                                        ; implicit-def: $vgpr82
; %bb.73:
	s_and_not1_saveexec_b32 s3, s3
; %bb.74:
	v_and_b32_e32 v81, 0xffff, v82
	v_or_b32_e32 v85, 0x10000, v82
	s_delay_alu instid0(VALU_DEP_2) | instskip(NEXT) | instid1(VALU_DEP_2)
	v_cmp_eq_u32_e32 vcc_lo, 0, v81
	v_cndmask_b32_e32 v81, v85, v82, vcc_lo
; %bb.75:
	s_or_b32 exec_lo, exec_lo, s3
	s_delay_alu instid0(VALU_DEP_1)
	v_perm_b32 v80, v81, v80, 0x7060302
	v_perm_b32 v79, v79, v84, 0x7060302
	;; [unrolled: 1-line block ×4, first 2 shown]
	v_lshl_or_b32 v85, v92, 11, v91
	v_lshlrev_b32_e32 v82, 2, v90
	ds_store_b128 v75, v[77:80] offset:1024
	s_waitcnt lgkmcnt(0)
	s_barrier
	buffer_gl0_inv
	ds_load_b128 v[76:79], v85
	ds_load_b128 v[92:95], v85 offset:16
	v_or_b32_e32 v83, 1, v82
	v_cmp_eq_u32_e32 vcc_lo, 1, v82
	v_cmp_eq_u32_e64 s4, 2, v82
	v_cmp_eq_u32_e64 s7, 3, v82
	;; [unrolled: 1-line block ×6, first 2 shown]
	v_or_b32_e32 v81, 2, v82
	v_cmp_eq_u32_e64 s10, 5, v82
	v_cmp_eq_u32_e64 s11, 4, v83
	;; [unrolled: 1-line block ×9, first 2 shown]
	s_waitcnt lgkmcnt(1)
	v_lshrrev_b32_e32 v80, 16, v76
	s_waitcnt lgkmcnt(0)
	v_lshrrev_b32_e32 v100, 16, v92
	v_lshrrev_b32_e32 v86, 16, v77
	;; [unrolled: 1-line block ×4, first 2 shown]
	v_cndmask_b32_e32 v84, v76, v80, vcc_lo
	v_cndmask_b32_e32 v96, v92, v100, vcc_lo
	v_cndmask_b32_e64 v97, v76, v80, s3
	v_lshrrev_b32_e32 v105, 16, v94
	v_cndmask_b32_e64 v98, v92, v100, s3
	v_cndmask_b32_e64 v84, v84, v77, s4
	v_cndmask_b32_e64 v96, v96, v93, s4
	v_cndmask_b32_e64 v97, v97, v77, s6
	v_lshrrev_b32_e32 v88, 16, v79
	v_cndmask_b32_e64 v98, v98, v93, s6
	v_cndmask_b32_e64 v84, v84, v86, s7
	v_cndmask_b32_e64 v96, v96, v104, s7
	v_cndmask_b32_e64 v97, v97, v86, s8
	v_lshrrev_b32_e32 v106, 16, v95
	v_cndmask_b32_e64 v99, v76, v80, s5
	v_cndmask_b32_e64 v84, v84, v78, s9
	v_cndmask_b32_e64 v96, v96, v94, s9
	v_cndmask_b32_e64 v97, v97, v78, s11
	v_cndmask_b32_e64 v98, v98, v104, s8
	v_cmp_eq_u32_e64 s20, 3, v81
	v_cndmask_b32_e64 v84, v84, v87, s10
	v_cndmask_b32_e64 v96, v96, v105, s10
	;; [unrolled: 1-line block ×4, first 2 shown]
	v_cmp_eq_u32_e64 s21, 4, v81
	v_cndmask_b32_e64 v84, v84, v79, s12
	v_cndmask_b32_e64 v96, v96, v95, s12
	;; [unrolled: 1-line block ×3, first 2 shown]
	v_cmp_eq_u32_e64 s23, 5, v81
	v_cmp_eq_u32_e64 s25, 6, v81
	v_cndmask_b32_e64 v107, v84, v88, s16
	v_cndmask_b32_e64 v108, v96, v106, s16
	;; [unrolled: 1-line block ×6, first 2 shown]
	v_cmp_eq_u32_e64 s28, 7, v81
	v_cndmask_b32_e64 v98, v84, v86, s20
	v_cndmask_b32_e64 v96, v96, v93, s18
	v_or_b32_e32 v84, 3, v82
	v_cndmask_b32_e64 v110, v97, v95, s17
	s_delay_alu instid0(VALU_DEP_4) | instskip(NEXT) | instid1(VALU_DEP_4)
	v_cndmask_b32_e64 v101, v98, v78, s21
	v_cndmask_b32_e64 v102, v96, v104, s20
	ds_load_b128 v[96:99], v85 offset:1024
	v_cmp_eq_u32_e64 s22, 1, v84
	v_cmp_eq_u32_e64 s24, 2, v84
	v_cndmask_b32_e64 v111, v101, v87, s23
	v_cmp_eq_u32_e64 s26, 3, v84
	v_cmp_eq_u32_e64 s27, 4, v84
	v_cndmask_b32_e64 v76, v76, v80, s22
	v_cndmask_b32_e64 v80, v102, v94, s21
	;; [unrolled: 1-line block ×3, first 2 shown]
	ds_load_b128 v[100:103], v85 offset:1040
	v_cmp_eq_u32_e64 s29, 5, v84
	v_cndmask_b32_e64 v76, v76, v77, s24
	v_cndmask_b32_e64 v77, v80, v105, s23
	;; [unrolled: 1-line block ×3, first 2 shown]
	v_cmp_eq_u32_e64 s30, 6, v84
	v_cndmask_b32_e64 v92, v110, v106, s19
	v_cndmask_b32_e64 v76, v76, v86, s26
	;; [unrolled: 1-line block ×5, first 2 shown]
	s_waitcnt lgkmcnt(1)
	v_lshrrev_b32_e32 v93, 16, v96
	v_cndmask_b32_e64 v76, v76, v78, s27
	v_cndmask_b32_e64 v78, v80, v94, s27
	;; [unrolled: 1-line block ×3, first 2 shown]
	s_delay_alu instid0(VALU_DEP_4) | instskip(NEXT) | instid1(VALU_DEP_4)
	v_cndmask_b32_e32 v86, v96, v93, vcc_lo
	v_cndmask_b32_e64 v76, v76, v87, s29
	v_lshrrev_b32_e32 v94, 16, v97
	v_cndmask_b32_e64 v104, v96, v93, s3
	s_waitcnt lgkmcnt(0)
	v_lshrrev_b32_e32 v87, 16, v100
	v_cndmask_b32_e64 v86, v86, v97, s4
	v_cndmask_b32_e64 v78, v78, v105, s29
	;; [unrolled: 1-line block ×4, first 2 shown]
	v_cndmask_b32_e32 v105, v100, v87, vcc_lo
	v_cndmask_b32_e64 v79, v86, v94, s7
	v_cndmask_b32_e64 v86, v104, v97, s6
	;; [unrolled: 1-line block ×3, first 2 shown]
	v_lshrrev_b32_e32 v104, 16, v101
	v_cndmask_b32_e64 v95, v105, v101, s4
	v_cmp_eq_u32_e32 vcc_lo, 7, v84
	v_cndmask_b32_e64 v86, v86, v94, s8
	v_cndmask_b32_e64 v79, v79, v98, s9
	v_lshrrev_b32_e32 v105, 16, v98
	v_cndmask_b32_e64 v95, v95, v104, s7
	v_cndmask_b32_e32 v76, v76, v88, vcc_lo
	v_cndmask_b32_e32 v78, v78, v106, vcc_lo
	v_cndmask_b32_e64 v86, v86, v98, s11
	v_cndmask_b32_e64 v88, v79, v105, s10
	;; [unrolled: 1-line block ×3, first 2 shown]
	v_lshrrev_b32_e32 v106, 16, v102
	v_perm_b32 v79, v78, v76, 0x5040100
	v_cndmask_b32_e64 v76, v86, v105, s13
	v_cndmask_b32_e64 v86, v88, v99, s12
	v_lshrrev_b32_e32 v88, 16, v99
	v_cndmask_b32_e64 v95, v95, v106, s10
	v_perm_b32 v78, v77, v80, 0x5040100
	v_cndmask_b32_e64 v76, v76, v99, s17
	v_perm_b32 v77, v92, v109, 0x5040100
	v_cndmask_b32_e64 v80, v86, v88, s16
	v_cndmask_b32_e64 v86, v95, v103, s12
	;; [unrolled: 1-line block ×13, first 2 shown]
	v_lshrrev_b32_e32 v92, 16, v103
	v_cndmask_b32_e64 v76, v76, v94, s20
	v_cndmask_b32_e64 v93, v93, v94, s26
	;; [unrolled: 1-line block ×21, first 2 shown]
	v_cndmask_b32_e32 v88, v93, v88, vcc_lo
	v_cndmask_b32_e32 v93, v94, v92, vcc_lo
	v_cndmask_b32_e64 v94, v95, v92, s28
	v_cndmask_b32_e64 v87, v87, v92, s19
	v_cndmask_b32_e64 v86, v86, v92, s16
	v_perm_b32 v76, v108, v107, 0x5040100
	v_perm_b32 v95, v93, v88, 0x5040100
	;; [unrolled: 1-line block ×5, first 2 shown]
	s_mov_b32 s3, exec_lo
	ds_store_b128 v75, v[76:79]
	ds_store_b128 v75, v[92:95] offset:1024
	v_cmpx_eq_u32_e32 0, v0
	s_cbranch_execz .LBB746_77
; %bb.76:
	s_load_b128 s[4:7], s[0:1], 0x58
	s_mul_i32 s8, s37, s34
	v_mov_b32_e32 v75, 0
	s_add_i32 s8, s8, s15
	s_delay_alu instid0(SALU_CYCLE_1) | instskip(NEXT) | instid1(SALU_CYCLE_1)
	s_mul_i32 s8, s8, s36
	s_add_i32 s8, s8, s14
	s_delay_alu instid0(SALU_CYCLE_1) | instskip(NEXT) | instid1(SALU_CYCLE_1)
	s_ashr_i32 s9, s8, 31
	s_lshl_b64 s[8:9], s[8:9], 2
	s_waitcnt lgkmcnt(0)
	s_add_u32 s6, s6, s8
	s_addc_u32 s7, s7, s9
	s_add_u32 s4, s4, s8
	s_addc_u32 s5, s5, s9
	s_clause 0x1
	global_store_b32 v75, v73, s[6:7]
	global_store_b32 v75, v74, s[4:5]
.LBB746_77:
	s_or_b32 exec_lo, exec_lo, s3
	s_waitcnt lgkmcnt(0)
	s_waitcnt_vscnt null, 0x0
	s_barrier
	buffer_gl0_inv
	ds_load_b128 v[92:95], v91
	ds_load_b128 v[96:99], v91 offset:16
	ds_load_b128 v[104:107], v91 offset:1040
	;; [unrolled: 1-line block ×3, first 2 shown]
	v_mov_b32_e32 v73, 0
	ds_load_b128 v[112:115], v91 offset:2064
	ds_load_b128 v[108:111], v91 offset:2048
	;; [unrolled: 1-line block ×4, first 2 shown]
	v_mov_b32_e32 v74, v73
	v_mov_b32_e32 v75, v73
	;; [unrolled: 1-line block ×7, first 2 shown]
	s_waitcnt lgkmcnt(6)
	s_delay_alu instid0(VALU_DEP_1)
	v_wmma_f32_16x16x16_bf16 v[73:80], v[65:72], v[92:99], v[73:80]
	ds_load_b128 v[69:72], v91 offset:4112
	ds_load_b128 v[65:68], v91 offset:4096
	;; [unrolled: 1-line block ×4, first 2 shown]
	s_waitcnt lgkmcnt(8)
	v_wmma_f32_16x16x16_bf16 v[73:80], v[57:64], v[100:107], v[73:80]
	ds_load_b128 v[104:107], v91 offset:6160
	ds_load_b128 v[100:103], v91 offset:6144
	s_waitcnt lgkmcnt(8)
	v_wmma_f32_16x16x16_bf16 v[73:80], v[57:64], v[108:115], v[73:80]
	ds_load_b128 v[61:64], v91 offset:7184
	ds_load_b128 v[57:60], v91 offset:7168
	;; [unrolled: 1-line block ×4, first 2 shown]
	s_waitcnt lgkmcnt(10)
	v_wmma_f32_16x16x16_bf16 v[73:80], v[49:56], v[116:123], v[73:80]
	s_waitcnt lgkmcnt(8)
	s_delay_alu instid0(VALU_DEP_1)
	v_wmma_f32_16x16x16_bf16 v[73:80], v[49:56], v[65:72], v[73:80]
	ds_load_b128 v[53:56], v91 offset:9232
	ds_load_b128 v[49:52], v91 offset:9216
	;; [unrolled: 1-line block ×4, first 2 shown]
	s_waitcnt lgkmcnt(10)
	v_wmma_f32_16x16x16_bf16 v[73:80], v[41:48], v[92:99], v[73:80]
	s_waitcnt lgkmcnt(8)
	s_delay_alu instid0(VALU_DEP_1)
	v_wmma_f32_16x16x16_bf16 v[73:80], v[41:48], v[100:107], v[73:80]
	ds_load_b128 v[45:48], v91 offset:11280
	ds_load_b128 v[41:44], v91 offset:11264
	s_waitcnt lgkmcnt(8)
	v_wmma_f32_16x16x16_bf16 v[73:80], v[17:24], v[57:64], v[73:80]
	s_waitcnt lgkmcnt(6)
	s_delay_alu instid0(VALU_DEP_1)
	v_wmma_f32_16x16x16_bf16 v[73:80], v[17:24], v[108:115], v[73:80]
	ds_load_b128 v[21:24], v91 offset:12304
	ds_load_b128 v[17:20], v91 offset:12288
	s_waitcnt lgkmcnt(6)
	v_wmma_f32_16x16x16_bf16 v[73:80], v[9:16], v[49:56], v[73:80]
	ds_load_b128 v[53:56], v91 offset:13328
	ds_load_b128 v[49:52], v91 offset:13312
	s_waitcnt lgkmcnt(6)
	;; [unrolled: 4-line block ×4, first 2 shown]
	v_wmma_f32_16x16x16_bf16 v[73:80], v[1:8], v[17:24], v[73:80]
	s_waitcnt lgkmcnt(4)
	s_delay_alu instid0(VALU_DEP_1) | instskip(SKIP_1) | instid1(VALU_DEP_1)
	v_wmma_f32_16x16x16_bf16 v[73:80], v[33:40], v[49:56], v[73:80]
	s_waitcnt lgkmcnt(2)
	v_wmma_f32_16x16x16_bf16 v[73:80], v[33:40], v[9:16], v[73:80]
	s_waitcnt lgkmcnt(0)
	s_delay_alu instid0(VALU_DEP_1) | instskip(NEXT) | instid1(VALU_DEP_1)
	v_wmma_f32_16x16x16_bf16 v[73:80], v[25:32], v[41:48], v[73:80]
	v_and_b32_e32 v1, 0x7f800000, v73
	s_delay_alu instid0(VALU_DEP_1) | instskip(SKIP_1) | instid1(SALU_CYCLE_1)
	v_cmp_ne_u32_e32 vcc_lo, 0x7f800000, v1
                                        ; implicit-def: $vgpr1
	s_and_saveexec_b32 s3, vcc_lo
	s_xor_b32 s3, exec_lo, s3
; %bb.78:
	v_bfe_u32 v1, v73, 16, 1
	s_delay_alu instid0(VALU_DEP_1)
	v_add3_u32 v1, v73, v1, 0x7fff
; %bb.79:
	s_and_not1_saveexec_b32 s3, s3
; %bb.80:
	v_and_b32_e32 v1, 0xffff, v73
	v_or_b32_e32 v2, 0x10000, v73
	s_delay_alu instid0(VALU_DEP_2) | instskip(NEXT) | instid1(VALU_DEP_2)
	v_cmp_eq_u32_e32 vcc_lo, 0, v1
	v_cndmask_b32_e32 v1, v2, v73, vcc_lo
; %bb.81:
	s_or_b32 exec_lo, exec_lo, s3
	v_and_b32_e32 v2, 0x7f800000, v74
	s_delay_alu instid0(VALU_DEP_1) | instskip(SKIP_1) | instid1(SALU_CYCLE_1)
	v_cmp_ne_u32_e32 vcc_lo, 0x7f800000, v2
                                        ; implicit-def: $vgpr2
	s_and_saveexec_b32 s3, vcc_lo
	s_xor_b32 s3, exec_lo, s3
; %bb.82:
	v_bfe_u32 v2, v74, 16, 1
	s_delay_alu instid0(VALU_DEP_1)
	v_add3_u32 v2, v74, v2, 0x7fff
; %bb.83:
	s_and_not1_saveexec_b32 s3, s3
; %bb.84:
	v_and_b32_e32 v2, 0xffff, v74
	v_or_b32_e32 v3, 0x10000, v74
	s_delay_alu instid0(VALU_DEP_2) | instskip(NEXT) | instid1(VALU_DEP_2)
	v_cmp_eq_u32_e32 vcc_lo, 0, v2
	v_cndmask_b32_e32 v2, v3, v74, vcc_lo
; %bb.85:
	s_or_b32 exec_lo, exec_lo, s3
	v_and_b32_e32 v3, 0x7f800000, v75
	s_delay_alu instid0(VALU_DEP_1) | instskip(SKIP_1) | instid1(SALU_CYCLE_1)
	v_cmp_ne_u32_e32 vcc_lo, 0x7f800000, v3
                                        ; implicit-def: $vgpr3
	s_and_saveexec_b32 s3, vcc_lo
	s_xor_b32 s3, exec_lo, s3
; %bb.86:
	v_bfe_u32 v3, v75, 16, 1
	s_delay_alu instid0(VALU_DEP_1)
	v_add3_u32 v3, v75, v3, 0x7fff
; %bb.87:
	s_and_not1_saveexec_b32 s3, s3
; %bb.88:
	v_and_b32_e32 v3, 0xffff, v75
	v_or_b32_e32 v4, 0x10000, v75
	s_delay_alu instid0(VALU_DEP_2) | instskip(NEXT) | instid1(VALU_DEP_2)
	v_cmp_eq_u32_e32 vcc_lo, 0, v3
	v_cndmask_b32_e32 v3, v4, v75, vcc_lo
; %bb.89:
	s_or_b32 exec_lo, exec_lo, s3
	v_and_b32_e32 v4, 0x7f800000, v76
	s_delay_alu instid0(VALU_DEP_1) | instskip(SKIP_1) | instid1(SALU_CYCLE_1)
	v_cmp_ne_u32_e32 vcc_lo, 0x7f800000, v4
                                        ; implicit-def: $vgpr4
	s_and_saveexec_b32 s3, vcc_lo
	s_xor_b32 s3, exec_lo, s3
; %bb.90:
	v_bfe_u32 v4, v76, 16, 1
	s_delay_alu instid0(VALU_DEP_1)
	v_add3_u32 v4, v76, v4, 0x7fff
; %bb.91:
	s_and_not1_saveexec_b32 s3, s3
; %bb.92:
	v_and_b32_e32 v4, 0xffff, v76
	v_or_b32_e32 v5, 0x10000, v76
	s_delay_alu instid0(VALU_DEP_2) | instskip(NEXT) | instid1(VALU_DEP_2)
	v_cmp_eq_u32_e32 vcc_lo, 0, v4
	v_cndmask_b32_e32 v4, v5, v76, vcc_lo
; %bb.93:
	s_or_b32 exec_lo, exec_lo, s3
	v_and_b32_e32 v5, 0x7f800000, v77
	s_delay_alu instid0(VALU_DEP_1) | instskip(SKIP_1) | instid1(SALU_CYCLE_1)
	v_cmp_ne_u32_e32 vcc_lo, 0x7f800000, v5
                                        ; implicit-def: $vgpr5
	s_and_saveexec_b32 s3, vcc_lo
	s_xor_b32 s3, exec_lo, s3
; %bb.94:
	v_bfe_u32 v5, v77, 16, 1
	s_delay_alu instid0(VALU_DEP_1)
	v_add3_u32 v5, v77, v5, 0x7fff
; %bb.95:
	s_and_not1_saveexec_b32 s3, s3
; %bb.96:
	v_and_b32_e32 v5, 0xffff, v77
	v_or_b32_e32 v6, 0x10000, v77
	s_delay_alu instid0(VALU_DEP_2) | instskip(NEXT) | instid1(VALU_DEP_2)
	v_cmp_eq_u32_e32 vcc_lo, 0, v5
	v_cndmask_b32_e32 v5, v6, v77, vcc_lo
; %bb.97:
	s_or_b32 exec_lo, exec_lo, s3
	v_and_b32_e32 v6, 0x7f800000, v78
	s_delay_alu instid0(VALU_DEP_1) | instskip(SKIP_1) | instid1(SALU_CYCLE_1)
	v_cmp_ne_u32_e32 vcc_lo, 0x7f800000, v6
                                        ; implicit-def: $vgpr6
	s_and_saveexec_b32 s3, vcc_lo
	s_xor_b32 s3, exec_lo, s3
; %bb.98:
	v_bfe_u32 v6, v78, 16, 1
	s_delay_alu instid0(VALU_DEP_1)
	v_add3_u32 v6, v78, v6, 0x7fff
; %bb.99:
	s_and_not1_saveexec_b32 s3, s3
; %bb.100:
	v_and_b32_e32 v6, 0xffff, v78
	v_or_b32_e32 v7, 0x10000, v78
	s_delay_alu instid0(VALU_DEP_2) | instskip(NEXT) | instid1(VALU_DEP_2)
	v_cmp_eq_u32_e32 vcc_lo, 0, v6
	v_cndmask_b32_e32 v6, v7, v78, vcc_lo
; %bb.101:
	s_or_b32 exec_lo, exec_lo, s3
	v_and_b32_e32 v7, 0x7f800000, v79
	s_delay_alu instid0(VALU_DEP_1) | instskip(SKIP_1) | instid1(SALU_CYCLE_1)
	v_cmp_ne_u32_e32 vcc_lo, 0x7f800000, v7
                                        ; implicit-def: $vgpr7
	s_and_saveexec_b32 s3, vcc_lo
	s_xor_b32 s3, exec_lo, s3
; %bb.102:
	v_bfe_u32 v7, v79, 16, 1
	s_delay_alu instid0(VALU_DEP_1)
	v_add3_u32 v7, v79, v7, 0x7fff
; %bb.103:
	s_and_not1_saveexec_b32 s3, s3
; %bb.104:
	v_and_b32_e32 v7, 0xffff, v79
	v_or_b32_e32 v8, 0x10000, v79
	s_delay_alu instid0(VALU_DEP_2) | instskip(NEXT) | instid1(VALU_DEP_2)
	v_cmp_eq_u32_e32 vcc_lo, 0, v7
	v_cndmask_b32_e32 v7, v8, v79, vcc_lo
; %bb.105:
	s_or_b32 exec_lo, exec_lo, s3
	v_and_b32_e32 v8, 0x7f800000, v80
	s_delay_alu instid0(VALU_DEP_1) | instskip(SKIP_1) | instid1(SALU_CYCLE_1)
	v_cmp_ne_u32_e32 vcc_lo, 0x7f800000, v8
                                        ; implicit-def: $vgpr8
	s_and_saveexec_b32 s3, vcc_lo
	s_xor_b32 s3, exec_lo, s3
; %bb.106:
	v_bfe_u32 v8, v80, 16, 1
	s_delay_alu instid0(VALU_DEP_1)
	v_add3_u32 v8, v80, v8, 0x7fff
                                        ; implicit-def: $vgpr73_vgpr74_vgpr75_vgpr76_vgpr77_vgpr78_vgpr79_vgpr80
; %bb.107:
	s_and_not1_saveexec_b32 s3, s3
; %bb.108:
	v_and_b32_e32 v8, 0xffff, v80
	v_or_b32_e32 v9, 0x10000, v80
	s_delay_alu instid0(VALU_DEP_2) | instskip(NEXT) | instid1(VALU_DEP_2)
	v_cmp_eq_u32_e32 vcc_lo, 0, v8
	v_cndmask_b32_e32 v8, v9, v80, vcc_lo
; %bb.109:
	s_or_b32 exec_lo, exec_lo, s3
	s_delay_alu instid0(VALU_DEP_1)
	v_perm_b32 v7, v8, v7, 0x7060302
	v_perm_b32 v6, v6, v5, 0x7060302
	v_perm_b32 v5, v4, v3, 0x7060302
	v_perm_b32 v4, v2, v1, 0x7060302
	v_lshl_or_b32 v9, v90, 4, v85
	s_barrier
	buffer_gl0_inv
	v_cmp_eq_u32_e32 vcc_lo, 1, v82
	ds_store_b128 v9, v[4:7]
	s_waitcnt lgkmcnt(0)
	s_barrier
	buffer_gl0_inv
	ds_load_b128 v[1:4], v85
	ds_load_b128 v[5:8], v85 offset:16
	v_cmp_eq_u32_e64 s4, 2, v82
	v_cmp_eq_u32_e64 s3, 1, v83
	;; [unrolled: 1-line block ×5, first 2 shown]
	s_xor_b32 s2, s2, -1
	s_waitcnt lgkmcnt(1)
	v_lshrrev_b32_e32 v10, 16, v1
	s_waitcnt lgkmcnt(0)
	v_lshrrev_b32_e32 v14, 16, v5
	v_lshrrev_b32_e32 v15, 16, v6
	;; [unrolled: 1-line block ×4, first 2 shown]
	v_cndmask_b32_e64 v20, v1, v10, s3
	v_cndmask_b32_e32 v19, v5, v14, vcc_lo
	v_cndmask_b32_e64 v21, v5, v14, s3
	v_lshrrev_b32_e32 v16, 16, v7
	v_cmp_eq_u32_e64 s3, 1, v81
	v_lshrrev_b32_e32 v13, 16, v4
	v_cndmask_b32_e64 v19, v19, v6, s4
	v_lshrrev_b32_e32 v17, 16, v8
	s_delay_alu instid0(VALU_DEP_4) | instskip(SKIP_1) | instid1(VALU_DEP_4)
	v_cndmask_b32_e64 v22, v1, v10, s3
	v_cndmask_b32_e64 v23, v5, v14, s3
	;; [unrolled: 1-line block ×3, first 2 shown]
	v_cndmask_b32_e32 v18, v1, v10, vcc_lo
	v_cmp_eq_u32_e32 vcc_lo, 2, v83
	v_cmp_eq_u32_e64 s3, 2, v84
	v_cndmask_b32_e64 v22, v22, v2, s7
	v_cndmask_b32_e32 v20, v20, v2, vcc_lo
	v_cndmask_b32_e32 v21, v21, v6, vcc_lo
	v_cmp_eq_u32_e32 vcc_lo, 4, v82
	v_cndmask_b32_e32 v19, v19, v7, vcc_lo
	v_cndmask_b32_e64 v18, v18, v2, s4
	v_cmp_eq_u32_e64 s4, 3, v83
	s_delay_alu instid0(VALU_DEP_2) | instskip(NEXT) | instid1(VALU_DEP_2)
	v_cndmask_b32_e64 v18, v18, v11, s5
	v_cndmask_b32_e64 v21, v21, v15, s4
	v_cmp_eq_u32_e64 s5, 5, v82
	s_delay_alu instid0(VALU_DEP_3) | instskip(SKIP_1) | instid1(VALU_DEP_3)
	v_cndmask_b32_e32 v18, v18, v3, vcc_lo
	v_cmp_eq_u32_e32 vcc_lo, 4, v83
	v_cndmask_b32_e64 v19, v19, v16, s5
	s_delay_alu instid0(VALU_DEP_3) | instskip(SKIP_4) | instid1(VALU_DEP_3)
	v_cndmask_b32_e64 v18, v18, v12, s5
	v_cndmask_b32_e32 v21, v21, v7, vcc_lo
	v_cndmask_b32_e64 v20, v20, v11, s4
	v_cmp_eq_u32_e64 s4, 5, v83
	v_cmp_eq_u32_e64 s5, 6, v82
	v_cndmask_b32_e32 v20, v20, v3, vcc_lo
	s_delay_alu instid0(VALU_DEP_3) | instskip(SKIP_1) | instid1(VALU_DEP_4)
	v_cndmask_b32_e64 v21, v21, v16, s4
	v_cmp_eq_u32_e32 vcc_lo, 6, v83
	v_cndmask_b32_e64 v18, v18, v4, s5
	v_cndmask_b32_e64 v19, v19, v8, s5
	v_cndmask_b32_e64 v20, v20, v12, s4
	v_cmp_eq_u32_e64 s4, 1, v84
	v_cmp_eq_u32_e64 s5, 7, v82
	s_delay_alu instid0(VALU_DEP_3) | instskip(NEXT) | instid1(VALU_DEP_3)
	v_cndmask_b32_e32 v20, v20, v4, vcc_lo
	v_cndmask_b32_e64 v1, v1, v10, s4
	v_cndmask_b32_e64 v5, v5, v14, s4
	v_cmp_eq_u32_e64 s4, 3, v81
	v_cndmask_b32_e64 v14, v23, v6, s7
	v_cmp_eq_u32_e64 s7, 3, v84
	v_cndmask_b32_e64 v1, v1, v2, s3
	v_cndmask_b32_e64 v2, v5, v6, s3
	;; [unrolled: 1-line block ×3, first 2 shown]
	v_cmp_eq_u32_e64 s3, 4, v81
	v_cndmask_b32_e64 v6, v14, v15, s4
	v_cndmask_b32_e64 v1, v1, v11, s7
	v_cmp_eq_u32_e64 s4, 4, v84
	v_cndmask_b32_e64 v2, v2, v15, s7
	v_cndmask_b32_e64 v5, v10, v3, s3
	;; [unrolled: 3-line block ×3, first 2 shown]
	v_cndmask_b32_e64 v2, v2, v7, s4
	v_cmp_eq_u32_e64 s3, 5, v84
	v_cndmask_b32_e64 v5, v5, v12, s7
	v_cmp_eq_u32_e64 s4, 6, v81
	;; [unrolled: 2-line block ×3, first 2 shown]
	v_cndmask_b32_e64 v1, v1, v12, s3
	v_cndmask_b32_e64 v2, v2, v16, s3
	;; [unrolled: 1-line block ×4, first 2 shown]
	v_cmp_eq_u32_e64 s3, 7, v84
	v_cndmask_b32_e64 v1, v1, v4, s7
	v_cndmask_b32_e64 v2, v2, v8, s7
	v_cmp_eq_u32_e64 s4, 7, v81
	v_cndmask_b32_e32 v4, v21, v8, vcc_lo
	v_cndmask_b32_e64 v18, v18, v13, s5
	v_cndmask_b32_e64 v20, v20, v13, s6
	;; [unrolled: 1-line block ×8, first 2 shown]
	v_cmp_gt_u32_e32 vcc_lo, 32, v0
	v_perm_b32 v4, v2, v1, 0x5040100
	v_perm_b32 v3, v3, v5, 0x5040100
	;; [unrolled: 1-line block ×4, first 2 shown]
	s_and_b32 s2, vcc_lo, s2
	ds_store_b128 v9, v[1:4]
	s_waitcnt lgkmcnt(0)
	s_barrier
	buffer_gl0_inv
	s_and_saveexec_b32 s3, s2
	s_cbranch_execz .LBB746_2
; %bb.110:
	s_load_b64 s[0:1], s[0:1], 0x68
	v_lshlrev_b32_e32 v1, 10, v0
	v_and_b32_e32 v0, 1, v0
	v_lshlrev_b32_e32 v2, 6, v90
	s_lshl_b32 s4, s36, 7
	v_lshlrev_b32_e32 v4, 3, v89
	v_and_b32_e32 v1, 0x3800, v1
	v_lshlrev_b32_e32 v0, 4, v0
	s_mul_i32 s2, s4, s34
	s_delay_alu instid0(SALU_CYCLE_1) | instskip(SKIP_1) | instid1(VALU_DEP_2)
	s_mul_i32 s2, s2, s37
	v_lshlrev_b32_e32 v4, 1, v4
	v_or3_b32 v0, v1, v2, v0
	s_ashr_i32 s3, s2, 31
	s_delay_alu instid0(SALU_CYCLE_1)
	s_lshl_b64 s[2:3], s[2:3], 1
	ds_load_b128 v[0:3], v0
	s_waitcnt lgkmcnt(0)
	s_add_u32 s5, s0, s2
	s_addc_u32 s3, s1, s3
	s_lshl_b32 s0, s14, 7
	s_mul_i32 s2, s4, s15
	s_ashr_i32 s1, s0, 31
	s_delay_alu instid0(SALU_CYCLE_1) | instskip(NEXT) | instid1(SALU_CYCLE_1)
	s_lshl_b64 s[0:1], s[0:1], 1
	s_add_u32 s4, s5, s0
	s_addc_u32 s5, s3, s1
	s_ashr_i32 s3, s2, 31
	s_delay_alu instid0(SALU_CYCLE_1) | instskip(NEXT) | instid1(SALU_CYCLE_1)
	s_lshl_b64 s[0:1], s[2:3], 1
	s_add_u32 s0, s4, s0
	s_addc_u32 s1, s5, s1
	global_store_b128 v4, v[0:3], s[0:1]
	s_nop 0
	s_sendmsg sendmsg(MSG_DEALLOC_VGPRS)
	s_endpgm
	.section	.rodata,"a",@progbits
	.p2align	6, 0x0
	.amdhsa_kernel _Z39paged_attention_ll4mi_QKV_mfma16_kernelI14__hip_bfloat16S0_LN4vllm18Fp8KVCacheDataTypeE0ES0_Li32ELi128ELi256ELb1ELi1EL8MFMAType0EEvPKT_PKT0_S9_ifPKiSB_SB_iPKfiiiPfSE_PS4_PT2_iSD_SD_
		.amdhsa_group_segment_fixed_size 17472
		.amdhsa_private_segment_fixed_size 0
		.amdhsa_kernarg_size 400
		.amdhsa_user_sgpr_count 13
		.amdhsa_user_sgpr_dispatch_ptr 0
		.amdhsa_user_sgpr_queue_ptr 0
		.amdhsa_user_sgpr_kernarg_segment_ptr 1
		.amdhsa_user_sgpr_dispatch_id 0
		.amdhsa_user_sgpr_private_segment_size 0
		.amdhsa_wavefront_size32 1
		.amdhsa_uses_dynamic_stack 0
		.amdhsa_enable_private_segment 0
		.amdhsa_system_sgpr_workgroup_id_x 1
		.amdhsa_system_sgpr_workgroup_id_y 1
		.amdhsa_system_sgpr_workgroup_id_z 1
		.amdhsa_system_sgpr_workgroup_info 0
		.amdhsa_system_vgpr_workitem_id 0
		.amdhsa_next_free_vgpr 144
		.amdhsa_next_free_sgpr 97
		.amdhsa_reserve_vcc 1
		.amdhsa_float_round_mode_32 0
		.amdhsa_float_round_mode_16_64 0
		.amdhsa_float_denorm_mode_32 3
		.amdhsa_float_denorm_mode_16_64 3
		.amdhsa_dx10_clamp 1
		.amdhsa_ieee_mode 1
		.amdhsa_fp16_overflow 0
		.amdhsa_workgroup_processor_mode 1
		.amdhsa_memory_ordered 1
		.amdhsa_forward_progress 0
		.amdhsa_shared_vgpr_count 0
		.amdhsa_exception_fp_ieee_invalid_op 0
		.amdhsa_exception_fp_denorm_src 0
		.amdhsa_exception_fp_ieee_div_zero 0
		.amdhsa_exception_fp_ieee_overflow 0
		.amdhsa_exception_fp_ieee_underflow 0
		.amdhsa_exception_fp_ieee_inexact 0
		.amdhsa_exception_int_div_zero 0
	.end_amdhsa_kernel
	.section	.text._Z39paged_attention_ll4mi_QKV_mfma16_kernelI14__hip_bfloat16S0_LN4vllm18Fp8KVCacheDataTypeE0ES0_Li32ELi128ELi256ELb1ELi1EL8MFMAType0EEvPKT_PKT0_S9_ifPKiSB_SB_iPKfiiiPfSE_PS4_PT2_iSD_SD_,"axG",@progbits,_Z39paged_attention_ll4mi_QKV_mfma16_kernelI14__hip_bfloat16S0_LN4vllm18Fp8KVCacheDataTypeE0ES0_Li32ELi128ELi256ELb1ELi1EL8MFMAType0EEvPKT_PKT0_S9_ifPKiSB_SB_iPKfiiiPfSE_PS4_PT2_iSD_SD_,comdat
.Lfunc_end746:
	.size	_Z39paged_attention_ll4mi_QKV_mfma16_kernelI14__hip_bfloat16S0_LN4vllm18Fp8KVCacheDataTypeE0ES0_Li32ELi128ELi256ELb1ELi1EL8MFMAType0EEvPKT_PKT0_S9_ifPKiSB_SB_iPKfiiiPfSE_PS4_PT2_iSD_SD_, .Lfunc_end746-_Z39paged_attention_ll4mi_QKV_mfma16_kernelI14__hip_bfloat16S0_LN4vllm18Fp8KVCacheDataTypeE0ES0_Li32ELi128ELi256ELb1ELi1EL8MFMAType0EEvPKT_PKT0_S9_ifPKiSB_SB_iPKfiiiPfSE_PS4_PT2_iSD_SD_
                                        ; -- End function
	.section	.AMDGPU.csdata,"",@progbits
; Kernel info:
; codeLenInByte = 9524
; NumSgprs: 99
; NumVgprs: 144
; ScratchSize: 0
; MemoryBound: 1
; FloatMode: 240
; IeeeMode: 1
; LDSByteSize: 17472 bytes/workgroup (compile time only)
; SGPRBlocks: 12
; VGPRBlocks: 17
; NumSGPRsForWavesPerEU: 99
; NumVGPRsForWavesPerEU: 144
; Occupancy: 10
; WaveLimiterHint : 1
; COMPUTE_PGM_RSRC2:SCRATCH_EN: 0
; COMPUTE_PGM_RSRC2:USER_SGPR: 13
; COMPUTE_PGM_RSRC2:TRAP_HANDLER: 0
; COMPUTE_PGM_RSRC2:TGID_X_EN: 1
; COMPUTE_PGM_RSRC2:TGID_Y_EN: 1
; COMPUTE_PGM_RSRC2:TGID_Z_EN: 1
; COMPUTE_PGM_RSRC2:TIDIG_COMP_CNT: 0
	.section	.text._Z39paged_attention_ll4mi_QKV_mfma16_kernelI14__hip_bfloat16S0_LN4vllm18Fp8KVCacheDataTypeE0ES0_Li32ELi128ELi256ELb1ELi2EL8MFMAType0EEvPKT_PKT0_S9_ifPKiSB_SB_iPKfiiiPfSE_PS4_PT2_iSD_SD_,"axG",@progbits,_Z39paged_attention_ll4mi_QKV_mfma16_kernelI14__hip_bfloat16S0_LN4vllm18Fp8KVCacheDataTypeE0ES0_Li32ELi128ELi256ELb1ELi2EL8MFMAType0EEvPKT_PKT0_S9_ifPKiSB_SB_iPKfiiiPfSE_PS4_PT2_iSD_SD_,comdat
	.protected	_Z39paged_attention_ll4mi_QKV_mfma16_kernelI14__hip_bfloat16S0_LN4vllm18Fp8KVCacheDataTypeE0ES0_Li32ELi128ELi256ELb1ELi2EL8MFMAType0EEvPKT_PKT0_S9_ifPKiSB_SB_iPKfiiiPfSE_PS4_PT2_iSD_SD_ ; -- Begin function _Z39paged_attention_ll4mi_QKV_mfma16_kernelI14__hip_bfloat16S0_LN4vllm18Fp8KVCacheDataTypeE0ES0_Li32ELi128ELi256ELb1ELi2EL8MFMAType0EEvPKT_PKT0_S9_ifPKiSB_SB_iPKfiiiPfSE_PS4_PT2_iSD_SD_
	.globl	_Z39paged_attention_ll4mi_QKV_mfma16_kernelI14__hip_bfloat16S0_LN4vllm18Fp8KVCacheDataTypeE0ES0_Li32ELi128ELi256ELb1ELi2EL8MFMAType0EEvPKT_PKT0_S9_ifPKiSB_SB_iPKfiiiPfSE_PS4_PT2_iSD_SD_
	.p2align	8
	.type	_Z39paged_attention_ll4mi_QKV_mfma16_kernelI14__hip_bfloat16S0_LN4vllm18Fp8KVCacheDataTypeE0ES0_Li32ELi128ELi256ELb1ELi2EL8MFMAType0EEvPKT_PKT0_S9_ifPKiSB_SB_iPKfiiiPfSE_PS4_PT2_iSD_SD_,@function
_Z39paged_attention_ll4mi_QKV_mfma16_kernelI14__hip_bfloat16S0_LN4vllm18Fp8KVCacheDataTypeE0ES0_Li32ELi128ELi256ELb1ELi2EL8MFMAType0EEvPKT_PKT0_S9_ifPKiSB_SB_iPKfiiiPfSE_PS4_PT2_iSD_SD_: ; @_Z39paged_attention_ll4mi_QKV_mfma16_kernelI14__hip_bfloat16S0_LN4vllm18Fp8KVCacheDataTypeE0ES0_Li32ELi128ELi256ELb1ELi2EL8MFMAType0EEvPKT_PKT0_S9_ifPKiSB_SB_iPKfiiiPfSE_PS4_PT2_iSD_SD_
; %bb.0:
	s_load_b64 s[2:3], s[0:1], 0x30
	s_mov_b32 s30, s13
	s_waitcnt lgkmcnt(0)
	s_cmp_lg_u64 s[2:3], 0
	s_cselect_b32 s6, -1, 0
	s_ashr_i32 s31, s13, 31
	s_cmp_eq_u64 s[2:3], 0
	s_cbranch_scc1 .LBB747_3
; %bb.1:
	s_lshl_b64 s[4:5], s[30:31], 2
	s_delay_alu instid0(SALU_CYCLE_1) | instskip(SKIP_4) | instid1(SALU_CYCLE_1)
	s_add_u32 s4, s2, s4
	s_addc_u32 s5, s3, s5
	s_load_b64 s[4:5], s[4:5], 0x0
	s_waitcnt lgkmcnt(0)
	s_sub_i32 s4, s5, s4
	s_cmp_eq_u32 s4, 1
	s_cselect_b32 s4, -1, 0
	s_delay_alu instid0(SALU_CYCLE_1)
	s_and_not1_b32 vcc_lo, exec_lo, s4
	s_cbranch_vccz .LBB747_4
.LBB747_2:
	s_endpgm
.LBB747_3:
.LBB747_4:
	s_load_b64 s[8:9], s[0:1], 0x28
	s_lshl_b64 s[4:5], s[30:31], 2
	s_waitcnt lgkmcnt(0)
	s_add_u32 s8, s8, s4
	s_addc_u32 s9, s9, s5
	s_lshl_b32 s16, s14, 8
	s_load_b32 s18, s[8:9], 0x0
	s_waitcnt lgkmcnt(0)
	s_cmp_ge_i32 s16, s18
	s_cbranch_scc1 .LBB747_2
; %bb.5:
	s_and_not1_b32 vcc_lo, exec_lo, s6
	s_cbranch_vccnz .LBB747_7
; %bb.6:
	s_add_u32 s2, s2, s4
	s_addc_u32 s3, s3, s5
	s_load_b32 s3, s[2:3], 0x0
	s_branch .LBB747_8
.LBB747_7:
	s_mov_b32 s3, s30
.LBB747_8:
	s_clause 0x2
	s_load_b128 s[8:11], s[0:1], 0x8
	s_load_b64 s[12:13], s[0:1], 0x20
	s_load_b128 s[4:7], s[0:1], 0x48
	v_and_b32_e32 v73, 15, v0
	v_bfe_u32 v86, v0, 4, 1
	v_cmp_gt_u32_e64 s2, 32, v0
	s_lshl_b32 s31, s15, 1
	s_waitcnt lgkmcnt(0)
	s_mov_b32 s7, exec_lo
	v_lshlrev_b32_e32 v1, 3, v73
	v_cmpx_lt_u32_e32 31, v0
	s_xor_b32 s7, exec_lo, s7
; %bb.9:
	v_mov_b32_e32 v2, 0
; %bb.10:
	s_or_saveexec_b32 s7, s7
	v_and_b32_e32 v74, 31, v0
	v_and_b32_e32 v85, 1, v0
	v_or_b32_e32 v84, s31, v86
	v_lshlrev_b32_e32 v83, 6, v86
	s_xor_b32 exec_lo, exec_lo, s7
	s_cbranch_execz .LBB747_12
; %bb.11:
	s_load_b64 s[20:21], s[0:1], 0x0
	v_lshlrev_b32_e32 v2, 7, v84
	s_mul_hi_i32 s23, s3, s4
	s_mul_i32 s22, s3, s4
	v_lshlrev_b32_e32 v4, 1, v1
	s_lshl_b64 s[22:23], s[22:23], 1
	v_ashrrev_i32_e32 v3, 31, v2
	v_lshlrev_b32_e32 v7, 10, v85
	s_delay_alu instid0(VALU_DEP_2) | instskip(SKIP_3) | instid1(VALU_DEP_1)
	v_lshlrev_b64 v[2:3], 1, v[2:3]
	s_waitcnt lgkmcnt(0)
	s_add_u32 s3, s20, s22
	s_addc_u32 s4, s21, s23
	v_add_co_u32 v2, vcc_lo, s3, v2
	s_delay_alu instid0(VALU_DEP_2) | instskip(NEXT) | instid1(VALU_DEP_2)
	v_add_co_ci_u32_e32 v3, vcc_lo, s4, v3, vcc_lo
	v_add_co_u32 v2, vcc_lo, v2, v4
	s_delay_alu instid0(VALU_DEP_2) | instskip(SKIP_2) | instid1(VALU_DEP_1)
	v_add_co_ci_u32_e32 v3, vcc_lo, 0, v3, vcc_lo
	global_load_b128 v[3:6], v[2:3], off
	v_lshlrev_b32_e32 v2, 10, v73
	v_and_b32_e32 v2, 0x3800, v2
	s_delay_alu instid0(VALU_DEP_1)
	v_or3_b32 v7, v2, v7, v83
	v_mov_b32_e32 v2, 0
	s_waitcnt vmcnt(0)
	ds_store_b128 v7, v[3:6]
.LBB747_12:
	s_or_b32 exec_lo, exec_lo, s7
	v_and_b32_e32 v3, 0xef, v0
	s_add_i32 s3, s18, 31
	s_clause 0x1
	s_load_b32 s4, s[0:1], 0x38
	s_load_b32 s19, s[0:1], 0x1c
	s_ashr_i32 s7, s3, 31
	v_add_nc_u32_e32 v3, s16, v3
	s_lshr_b32 s7, s7, 27
	s_waitcnt lgkmcnt(0)
	s_add_i32 s3, s3, s7
	s_barrier
	v_ashrrev_i32_e32 v4, 31, v3
	v_cmp_gt_i32_e32 vcc_lo, s18, v3
	s_ashr_i32 s3, s3, 5
	buffer_gl0_inv
	s_add_i32 s3, s3, -1
	v_lshrrev_b32_e32 v5, 27, v4
	v_or_b32_e32 v4, 16, v3
	s_mul_i32 s6, s15, s6
	v_lshlrev_b64 v[81:82], 1, v[1:2]
	v_lshlrev_b32_e32 v80, 6, v85
	v_add_nc_u32_e32 v6, v3, v5
	v_add_nc_u32_e32 v5, v4, v5
	s_mul_i32 s20, s30, s4
	s_delay_alu instid0(SALU_CYCLE_1) | instskip(NEXT) | instid1(VALU_DEP_2)
	s_ashr_i32 s21, s20, 31
	v_ashrrev_i32_e32 v6, 5, v6
	s_delay_alu instid0(VALU_DEP_2) | instskip(SKIP_1) | instid1(SALU_CYCLE_1)
	v_ashrrev_i32_e32 v5, 5, v5
	s_lshl_b64 s[20:21], s[20:21], 2
	s_add_u32 s4, s12, s20
	s_delay_alu instid0(VALU_DEP_2) | instskip(SKIP_3) | instid1(SALU_CYCLE_1)
	v_cndmask_b32_e32 v3, s3, v6, vcc_lo
	v_cmp_gt_i32_e32 vcc_lo, s18, v4
	s_addc_u32 s17, s13, s21
	s_ashr_i32 s7, s6, 31
	s_lshl_b64 s[6:7], s[6:7], 1
	v_cndmask_b32_e32 v5, s3, v5, vcc_lo
	v_ashrrev_i32_e32 v4, 31, v3
	s_add_u32 s15, s8, s6
	s_addc_u32 s28, s9, s7
	s_lshl_b32 s8, s14, 3
	v_ashrrev_i32_e32 v6, 31, v5
	v_lshlrev_b64 v[3:4], 2, v[3:4]
	s_ashr_i32 s9, s8, 31
	s_delay_alu instid0(SALU_CYCLE_1) | instskip(NEXT) | instid1(VALU_DEP_2)
	s_lshl_b64 s[8:9], s[8:9], 2
	v_lshlrev_b64 v[5:6], 2, v[5:6]
	s_add_u32 s8, s4, s8
	s_delay_alu instid0(VALU_DEP_2) | instskip(SKIP_1) | instid1(VALU_DEP_3)
	v_add_co_u32 v3, vcc_lo, s4, v3
	v_add_co_ci_u32_e32 v4, vcc_lo, s17, v4, vcc_lo
	v_add_co_u32 v5, vcc_lo, s4, v5
	s_delay_alu instid0(VALU_DEP_4)
	v_add_co_ci_u32_e32 v6, vcc_lo, s17, v6, vcc_lo
	s_addc_u32 s9, s17, s9
	s_clause 0x1
	global_load_b32 v7, v[3:4], off
	global_load_b32 v8, v[5:6], off
	s_or_b32 s12, s16, 32
	s_delay_alu instid0(SALU_CYCLE_1) | instskip(SKIP_2) | instid1(SALU_CYCLE_1)
	s_ashr_i32 s13, s12, 5
	s_cmp_lt_i32 s12, s18
	s_cselect_b32 s12, s13, s3
	s_ashr_i32 s13, s12, 31
	s_delay_alu instid0(SALU_CYCLE_1) | instskip(NEXT) | instid1(SALU_CYCLE_1)
	s_lshl_b64 s[12:13], s[12:13], 2
	s_add_u32 s12, s4, s12
	s_addc_u32 s13, s17, s13
	s_or_b32 s20, s16, 64
	s_delay_alu instid0(SALU_CYCLE_1) | instskip(SKIP_2) | instid1(SALU_CYCLE_1)
	s_ashr_i32 s21, s20, 5
	s_cmp_lt_i32 s20, s18
	s_cselect_b32 s20, s21, s3
	s_ashr_i32 s21, s20, 31
	s_delay_alu instid0(SALU_CYCLE_1) | instskip(NEXT) | instid1(SALU_CYCLE_1)
	s_lshl_b64 s[20:21], s[20:21], 2
	s_add_u32 s20, s4, s20
	s_addc_u32 s21, s17, s21
	;; [unrolled: 10-line block ×5, first 2 shown]
	s_clause 0x5
	s_load_b32 s29, s[8:9], 0x0
	s_load_b32 s33, s[12:13], 0x0
	;; [unrolled: 1-line block ×6, first 2 shown]
	s_mov_b32 s20, 0
	s_or_b32 s8, s16, 0xc0
	s_mov_b32 s27, s20
	s_mov_b32 s21, s20
	;; [unrolled: 1-line block ×7, first 2 shown]
	s_delay_alu instid0(SALU_CYCLE_1)
	v_dual_mov_b32 v110, s27 :: v_dual_mov_b32 v109, s26
	v_dual_mov_b32 v108, s25 :: v_dual_mov_b32 v107, s24
	v_mov_b32_e32 v104, s21
	v_dual_mov_b32 v106, s23 :: v_dual_mov_b32 v105, s22
	v_mov_b32_e32 v103, s20
	s_ashr_i32 s9, s8, 5
	s_cmp_lt_i32 s8, s18
	s_waitcnt lgkmcnt(0)
	s_mul_hi_i32 s13, s29, s5
	s_cselect_b32 s8, s9, s3
	s_mul_i32 s12, s29, s5
	s_ashr_i32 s9, s8, 31
	s_mul_hi_i32 s21, s33, s5
	s_lshl_b64 s[8:9], s[8:9], 2
	s_mul_i32 s20, s33, s5
	s_add_u32 s8, s4, s8
	s_addc_u32 s9, s17, s9
	s_mul_hi_i32 s25, s34, s5
	s_mul_i32 s24, s34, s5
	s_mul_hi_i32 s27, s35, s5
	s_mul_i32 s26, s35, s5
	;; [unrolled: 2-line block ×3, first 2 shown]
	s_waitcnt vmcnt(1)
	v_mad_i64_i32 v[3:4], null, v7, s5, 0
	s_waitcnt vmcnt(0)
	v_mad_i64_i32 v[5:6], null, v8, s5, 0
	s_delay_alu instid0(VALU_DEP_2) | instskip(NEXT) | instid1(VALU_DEP_2)
	v_lshlrev_b64 v[3:4], 1, v[3:4]
	v_lshlrev_b64 v[1:2], 1, v[5:6]
	s_delay_alu instid0(VALU_DEP_2) | instskip(NEXT) | instid1(VALU_DEP_3)
	v_add_co_u32 v3, vcc_lo, s15, v3
	v_add_co_ci_u32_e32 v4, vcc_lo, s28, v4, vcc_lo
	s_delay_alu instid0(VALU_DEP_3) | instskip(NEXT) | instid1(VALU_DEP_4)
	v_add_co_u32 v1, vcc_lo, s15, v1
	v_add_co_ci_u32_e32 v2, vcc_lo, s28, v2, vcc_lo
	s_delay_alu instid0(VALU_DEP_4) | instskip(NEXT) | instid1(VALU_DEP_4)
	v_add_co_u32 v65, vcc_lo, v3, v81
	v_add_co_ci_u32_e32 v66, vcc_lo, v4, v82, vcc_lo
	s_delay_alu instid0(VALU_DEP_4) | instskip(NEXT) | instid1(VALU_DEP_4)
	v_add_co_u32 v75, vcc_lo, v1, v81
	v_add_co_ci_u32_e32 v76, vcc_lo, v2, v82, vcc_lo
	s_clause 0xf
	global_load_b128 v[1:4], v[65:66], off
	global_load_b128 v[5:8], v[65:66], off offset:512
	global_load_b128 v[9:12], v[75:76], off offset:256
	;; [unrolled: 1-line block ×15, first 2 shown]
	v_add_co_u32 v77, vcc_lo, 0x1000, v65
	v_add_co_ci_u32_e32 v78, vcc_lo, 0, v66, vcc_lo
	v_add_co_u32 v75, vcc_lo, 0x1000, v75
	s_clause 0x1
	global_load_b128 v[65:68], v[77:78], off
	global_load_b128 v[69:72], v[77:78], off offset:512
	ds_load_b128 v[87:90], v80
	ds_load_b128 v[91:94], v80 offset:1024
	v_add_co_ci_u32_e32 v76, vcc_lo, 0, v76, vcc_lo
	s_clause 0x1
	global_load_b128 v[95:98], v[75:76], off offset:256
	global_load_b128 v[99:102], v[75:76], off offset:768
	ds_load_b128 v[111:114], v80 offset:2048
	ds_load_b128 v[115:118], v80 offset:3072
	s_or_b32 s15, s16, 0xe0
	s_delay_alu instid0(SALU_CYCLE_1) | instskip(SKIP_2) | instid1(SALU_CYCLE_1)
	s_ashr_i32 s22, s15, 5
	s_cmp_lt_i32 s15, s18
	s_cselect_b32 s22, s22, s3
	s_ashr_i32 s23, s22, 31
	s_delay_alu instid0(SALU_CYCLE_1) | instskip(NEXT) | instid1(SALU_CYCLE_1)
	s_lshl_b64 s[22:23], s[22:23], 2
	s_add_u32 s22, s4, s22
	s_addc_u32 s23, s17, s23
	s_add_i32 s15, s16, 0x100
	s_delay_alu instid0(SALU_CYCLE_1) | instskip(SKIP_2) | instid1(SALU_CYCLE_1)
	s_ashr_i32 s28, s15, 5
	s_cmp_lt_i32 s15, s18
	s_cselect_b32 s28, s28, s3
	s_ashr_i32 s29, s28, 31
	s_delay_alu instid0(SALU_CYCLE_1) | instskip(NEXT) | instid1(SALU_CYCLE_1)
	s_lshl_b64 s[28:29], s[28:29], 2
	s_add_u32 s28, s4, s28
	s_addc_u32 s29, s17, s29
	s_add_u32 s3, s10, s6
	s_waitcnt vmcnt(18) lgkmcnt(2)
	v_wmma_f32_16x16x16_bf16 v[119:126], v[1:8], v[87:94], v[103:110]
	s_waitcnt vmcnt(16)
	v_wmma_f32_16x16x16_bf16 v[103:110], v[9:16], v[87:94], v[103:110]
	s_clause 0x3
	global_load_b128 v[1:4], v[77:78], off offset:1024
	global_load_b128 v[5:8], v[77:78], off offset:1536
	;; [unrolled: 1-line block ×4, first 2 shown]
	s_waitcnt vmcnt(18) lgkmcnt(0)
	v_wmma_f32_16x16x16_bf16 v[119:126], v[17:24], v[111:118], v[119:126]
	s_clause 0x1
	global_load_b128 v[17:20], v[77:78], off offset:2048
	global_load_b128 v[21:24], v[77:78], off offset:2560
	s_waitcnt vmcnt(18)
	v_wmma_f32_16x16x16_bf16 v[103:110], v[25:32], v[111:118], v[103:110]
	s_clause 0x1
	global_load_b128 v[25:28], v[75:76], off offset:2304
	global_load_b128 v[29:32], v[75:76], off offset:2816
	ds_load_b128 v[87:90], v80 offset:4096
	ds_load_b128 v[91:94], v80 offset:5120
	s_clause 0x3
	global_load_b128 v[111:114], v[77:78], off offset:3072
	global_load_b128 v[115:118], v[77:78], off offset:3584
	;; [unrolled: 1-line block ×4, first 2 shown]
	v_lshrrev_b32_e32 v75, 5, v0
	s_waitcnt vmcnt(22) lgkmcnt(0)
	v_wmma_f32_16x16x16_bf16 v[119:126], v[33:40], v[87:94], v[119:126]
	ds_load_b128 v[33:36], v80 offset:6144
	ds_load_b128 v[37:40], v80 offset:7168
	s_waitcnt vmcnt(20)
	v_wmma_f32_16x16x16_bf16 v[103:110], v[41:48], v[87:94], v[103:110]
	v_lshlrev_b32_e32 v87, 6, v73
	ds_load_b128 v[41:44], v80 offset:8192
	ds_load_b128 v[45:48], v80 offset:9216
	s_waitcnt vmcnt(18) lgkmcnt(2)
	v_wmma_f32_16x16x16_bf16 v[119:126], v[49:56], v[33:40], v[119:126]
	v_lshl_or_b32 v49, v75, 10, v87
	s_waitcnt vmcnt(16)
	v_wmma_f32_16x16x16_bf16 v[103:110], v[57:64], v[33:40], v[103:110]
	ds_load_b128 v[33:36], v80 offset:10240
	ds_load_b128 v[37:40], v80 offset:11264
	;; [unrolled: 1-line block ×4, first 2 shown]
	s_clause 0x2
	s_load_b32 s15, s[8:9], 0x0
	s_load_b32 s4, s[22:23], 0x0
	;; [unrolled: 1-line block ×3, first 2 shown]
	s_addc_u32 s28, s11, s7
	v_add_co_u32 v143, s3, s3, v49
	s_delay_alu instid0(VALU_DEP_1) | instskip(SKIP_2) | instid1(VALU_DEP_2)
	v_add_co_ci_u32_e64 v144, null, s28, 0, s3
	s_lshl_b64 s[6:7], s[12:13], 1
	s_lshl_b64 s[10:11], s[20:21], 1
	v_add_co_u32 v49, vcc_lo, v143, s6
	s_delay_alu instid0(VALU_DEP_2)
	v_add_co_ci_u32_e32 v50, vcc_lo, s7, v144, vcc_lo
	v_add_co_u32 v51, vcc_lo, v143, s10
	s_lshl_b64 s[12:13], s[24:25], 1
	v_add_co_ci_u32_e32 v52, vcc_lo, s11, v144, vcc_lo
	v_add_co_u32 v53, vcc_lo, v143, s12
	s_lshl_b64 s[20:21], s[26:27], 1
	s_mul_hi_i32 s9, s36, s5
	s_mul_i32 s8, s36, s5
	v_add_co_ci_u32_e32 v54, vcc_lo, s13, v144, vcc_lo
	v_add_co_u32 v76, vcc_lo, v143, s20
	s_lshl_b64 s[8:9], s[8:9], 1
	v_add_co_ci_u32_e32 v77, vcc_lo, s21, v144, vcc_lo
	v_add_co_u32 v78, vcc_lo, v143, s8
	s_lshl_b64 s[22:23], s[34:35], 1
	s_waitcnt lgkmcnt(0)
	s_mul_hi_i32 s25, s15, s5
	s_mul_i32 s24, s15, s5
	v_add_co_ci_u32_e32 v79, vcc_lo, s9, v144, vcc_lo
	v_add_co_u32 v88, vcc_lo, v143, s22
	s_lshl_b64 s[24:25], s[24:25], 1
	s_waitcnt vmcnt(12)
	v_wmma_f32_16x16x16_bf16 v[103:110], v[95:102], v[41:48], v[103:110]
	v_wmma_f32_16x16x16_bf16 v[119:126], v[65:72], v[41:48], v[119:126]
	v_add_co_ci_u32_e32 v89, vcc_lo, s23, v144, vcc_lo
	s_mul_hi_i32 s7, s4, s5
	s_mul_i32 s6, s4, s5
	v_add_co_u32 v90, vcc_lo, v143, s24
	s_lshl_b64 s[6:7], s[6:7], 1
	v_add_co_ci_u32_e32 v91, vcc_lo, s25, v144, vcc_lo
	s_clause 0x5
	global_load_b128 v[65:68], v[49:50], off
	global_load_b128 v[69:72], v[49:50], off offset:16
	global_load_b128 v[57:60], v[51:52], off
	global_load_b128 v[61:64], v[51:52], off offset:16
	;; [unrolled: 2-line block ×3, first 2 shown]
	s_waitcnt vmcnt(16)
	v_wmma_f32_16x16x16_bf16 v[119:126], v[1:8], v[33:40], v[119:126]
	s_waitcnt vmcnt(14)
	v_wmma_f32_16x16x16_bf16 v[103:110], v[9:16], v[33:40], v[103:110]
	s_clause 0x3
	global_load_b128 v[41:44], v[76:77], off
	global_load_b128 v[45:48], v[76:77], off offset:16
	global_load_b128 v[9:12], v[78:79], off
	global_load_b128 v[13:16], v[78:79], off offset:16
	v_add_co_u32 v76, vcc_lo, v143, s6
	v_add_co_ci_u32_e32 v77, vcc_lo, s7, v144, vcc_lo
	s_mul_hi_i32 s7, s17, s5
	s_mul_i32 s6, s17, s5
	s_waitcnt vmcnt(16)
	v_wmma_f32_16x16x16_bf16 v[119:126], v[17:24], v[135:142], v[119:126]
	s_lshl_b64 s[4:5], s[6:7], 1
	s_clause 0x1
	global_load_b128 v[1:4], v[88:89], off
	global_load_b128 v[5:8], v[88:89], off offset:16
	v_add_co_u32 v21, vcc_lo, v143, s4
	v_add_co_ci_u32_e32 v22, vcc_lo, s5, v144, vcc_lo
	s_waitcnt vmcnt(16)
	v_wmma_f32_16x16x16_bf16 v[103:110], v[25:32], v[135:142], v[103:110]
	s_clause 0x3
	global_load_b128 v[33:36], v[90:91], off
	global_load_b128 v[37:40], v[90:91], off offset:16
	global_load_b128 v[25:28], v[76:77], off
	global_load_b128 v[29:32], v[76:77], off offset:16
	ds_load_b128 v[88:91], v80 offset:14336
	ds_load_b128 v[92:95], v80 offset:15360
	s_clause 0x1
	global_load_b128 v[17:20], v[21:22], off
	global_load_b128 v[21:24], v[21:22], off offset:16
	v_and_b32_e32 v76, 0xe0, v0
	v_mbcnt_lo_u32_b32 v77, -1, 0
	s_waitcnt vmcnt(0) lgkmcnt(0)
	s_barrier
	buffer_gl0_inv
	v_add_nc_u32_e32 v76, s16, v76
	v_xor_b32_e32 v78, 16, v77
	s_delay_alu instid0(VALU_DEP_2) | instskip(NEXT) | instid1(VALU_DEP_2)
	v_or_b32_e32 v76, v76, v86
	v_cmp_gt_i32_e32 vcc_lo, 32, v78
	s_delay_alu instid0(VALU_DEP_2)
	v_or_b32_e32 v79, 4, v76
	v_or_b32_e32 v80, 6, v76
	;; [unrolled: 1-line block ×3, first 2 shown]
	v_wmma_f32_16x16x16_bf16 v[119:126], v[111:118], v[88:95], v[119:126]
	v_cndmask_b32_e32 v77, v77, v78, vcc_lo
	v_or_b32_e32 v78, 2, v76
	v_cmp_gt_i32_e32 vcc_lo, s18, v76
	v_wmma_f32_16x16x16_bf16 v[103:110], v[127:134], v[88:95], v[103:110]
	v_mul_f32_e32 v100, s19, v120
	v_mul_f32_e32 v98, s19, v119
	v_cmp_gt_i32_e64 s3, s18, v78
	v_or_b32_e32 v88, 8, v76
	v_or_b32_e32 v89, 10, v76
	v_or_b32_e32 v90, 12, v76
	v_or_b32_e32 v91, 14, v76
	v_or_b32_e32 v92, 16, v76
	v_or_b32_e32 v93, 18, v76
	v_or_b32_e32 v94, 20, v76
	v_or_b32_e32 v95, 22, v76
	v_or_b32_e32 v97, 26, v76
	v_or_b32_e32 v99, 28, v76
	v_or_b32_e32 v101, 30, v76
	v_cndmask_b32_e32 v76, 0xff7fffff, v98, vcc_lo
	v_cndmask_b32_e64 v78, 0xff7fffff, v100, s3
	v_mul_f32_e32 v100, s19, v122
	v_cmp_gt_i32_e64 s4, s18, v80
	v_mul_f32_e32 v80, s19, v121
	v_cmp_gt_i32_e64 s5, s18, v79
	v_dual_mul_f32 v98, s19, v126 :: v_dual_mul_f32 v79, s19, v124
	v_cmp_gt_i32_e64 s6, s18, v88
	v_cmp_gt_i32_e64 s7, s18, v89
	s_delay_alu instid0(VALU_DEP_4)
	v_cndmask_b32_e64 v80, 0xff7fffff, v80, s5
	v_mul_f32_e32 v89, s19, v109
	v_cndmask_b32_e64 v100, 0xff7fffff, v100, s4
	v_cmp_gt_i32_e64 s8, s18, v91
	v_cmp_gt_i32_e64 s9, s18, v90
	;; [unrolled: 1-line block ×10, first 2 shown]
	v_lshlrev_b32_e32 v101, 2, v77
	v_max3_f32 v76, v76, 0xff7fffff, v78
	v_dual_mul_f32 v78, s19, v123 :: v_dual_mul_f32 v91, s19, v104
	v_cndmask_b32_e64 v79, 0xff7fffff, v79, s7
	v_mul_f32_e32 v90, s19, v103
	s_delay_alu instid0(VALU_DEP_4) | instskip(NEXT) | instid1(VALU_DEP_4)
	v_max3_f32 v76, v76, v80, v100
	v_cndmask_b32_e64 v78, 0xff7fffff, v78, s6
	v_mul_f32_e32 v80, s19, v125
	v_cndmask_b32_e64 v98, 0xff7fffff, v98, s8
	v_mul_f32_e32 v92, s19, v105
	v_cndmask_b32_e64 v90, 0xff7fffff, v90, s10
	v_max3_f32 v76, v76, v78, v79
	v_cndmask_b32_e64 v80, 0xff7fffff, v80, s9
	v_mul_f32_e32 v79, s19, v106
	v_cndmask_b32_e64 v91, 0xff7fffff, v91, s11
	v_mul_f32_e32 v100, s19, v108
	v_mul_f32_e32 v78, s19, v107
	v_max3_f32 v76, v76, v80, v98
	v_cndmask_b32_e64 v80, 0xff7fffff, v92, s12
	v_cndmask_b32_e64 v79, 0xff7fffff, v79, s13
	v_mul_f32_e32 v88, s19, v110
	v_cndmask_b32_e64 v78, 0xff7fffff, v78, s15
	v_max3_f32 v76, v76, v90, v91
	v_cndmask_b32_e64 v90, 0xff7fffff, v100, s16
	s_delay_alu instid0(VALU_DEP_2) | instskip(SKIP_2) | instid1(VALU_DEP_3)
	v_max3_f32 v76, v76, v80, v79
	v_cndmask_b32_e64 v79, 0xff7fffff, v89, s17
	v_cndmask_b32_e64 v80, 0xff7fffff, v88, s18
	v_max3_f32 v76, v76, v78, v90
	s_delay_alu instid0(VALU_DEP_1) | instskip(SKIP_3) | instid1(VALU_DEP_1)
	v_max3_f32 v76, v76, v79, v80
	ds_bpermute_b32 v77, v101, v76
	s_waitcnt lgkmcnt(0)
	v_max_f32_e32 v77, v77, v77
	v_max_f32_e32 v91, v76, v77
	s_delay_alu instid0(VALU_DEP_1) | instskip(SKIP_4) | instid1(VALU_DEP_4)
	v_fma_f32 v76, s19, v119, -v91
	v_fma_f32 v77, s19, v120, -v91
	;; [unrolled: 1-line block ×5, first 2 shown]
	v_dual_mul_f32 v76, 0x3fb8aa3b, v76 :: v_dual_mul_f32 v77, 0x3fb8aa3b, v77
	s_delay_alu instid0(VALU_DEP_4) | instskip(SKIP_2) | instid1(VALU_DEP_4)
	v_mul_f32_e32 v79, 0x3fb8aa3b, v79
	v_fma_f32 v88, s19, v125, -v91
	v_fma_f32 v89, s19, v107, -v91
	v_exp_f32_e32 v76, v76
	v_exp_f32_e32 v77, v77
	;; [unrolled: 1-line block ×3, first 2 shown]
	s_delay_alu instid0(VALU_DEP_1) | instskip(SKIP_2) | instid1(VALU_DEP_3)
	v_dual_mul_f32 v88, 0x3fb8aa3b, v88 :: v_dual_mul_f32 v89, 0x3fb8aa3b, v89
	v_fma_f32 v100, s19, v109, -v91
	v_fma_f32 v102, s19, v110, -v91
	v_exp_f32_e32 v88, v88
	s_delay_alu instid0(VALU_DEP_3) | instskip(SKIP_3) | instid1(TRANS32_DEP_3)
	v_exp_f32_e32 v89, v89
	v_cndmask_b32_e32 v93, 0, v76, vcc_lo
	v_cndmask_b32_e64 v92, 0, v77, s3
	v_fma_f32 v76, s19, v124, -v91
	v_cndmask_b32_e64 v96, 0, v79, s4
	v_fma_f32 v79, s19, v103, -v91
	v_dual_add_f32 v77, 0, v93 :: v_dual_mul_f32 v78, 0x3fb8aa3b, v78
	v_mul_f32_e32 v80, 0x3fb8aa3b, v80
	s_delay_alu instid0(VALU_DEP_3) | instskip(NEXT) | instid1(VALU_DEP_3)
	v_dual_mul_f32 v76, 0x3fb8aa3b, v76 :: v_dual_mul_f32 v79, 0x3fb8aa3b, v79
	v_add_f32_e32 v77, v77, v92
	s_delay_alu instid0(VALU_DEP_4) | instskip(NEXT) | instid1(VALU_DEP_3)
	v_exp_f32_e32 v78, v78
	v_exp_f32_e32 v80, v80
	s_delay_alu instid0(VALU_DEP_2)
	v_exp_f32_e32 v76, v76
	v_exp_f32_e32 v79, v79
	v_cndmask_b32_e64 v95, 0, v88, s9
	v_fma_f32 v88, s19, v106, -v91
	v_mul_f32_e32 v102, 0x3fb8aa3b, v102
	s_mov_b32 s3, exec_lo
	v_cndmask_b32_e64 v94, 0, v78, s5
	v_fma_f32 v78, s19, v126, -v91
	s_delay_alu instid0(TRANS32_DEP_3)
	v_cndmask_b32_e64 v97, 0, v80, s6
	v_fma_f32 v80, s19, v104, -v91
	v_cndmask_b32_e64 v98, 0, v76, s7
	v_add_f32_e32 v77, v77, v94
	v_mul_f32_e32 v78, 0x3fb8aa3b, v78
	v_mul_f32_e32 v88, 0x3fb8aa3b, v88
	;; [unrolled: 1-line block ×3, first 2 shown]
	v_exp_f32_e32 v102, v102
	v_add_f32_e32 v77, v77, v96
	v_exp_f32_e32 v78, v78
	v_exp_f32_e32 v88, v88
	;; [unrolled: 1-line block ×3, first 2 shown]
	s_delay_alu instid0(VALU_DEP_1) | instskip(SKIP_1) | instid1(VALU_DEP_1)
	v_add_f32_e32 v76, v77, v97
	v_fma_f32 v77, s19, v105, -v91
	v_dual_add_f32 v76, v76, v98 :: v_dual_mul_f32 v77, 0x3fb8aa3b, v77
	s_delay_alu instid0(TRANS32_DEP_3) | instskip(NEXT) | instid1(VALU_DEP_2)
	v_cndmask_b32_e64 v99, 0, v78, s8
	v_add_f32_e32 v78, v76, v95
	s_delay_alu instid0(VALU_DEP_3) | instskip(SKIP_2) | instid1(TRANS32_DEP_2)
	v_exp_f32_e32 v90, v77
	v_cndmask_b32_e64 v76, 0, v79, s10
	v_fma_f32 v79, s19, v108, -v91
	v_cndmask_b32_e64 v77, 0, v80, s11
	v_add_f32_e32 v78, v78, v99
	s_delay_alu instid0(VALU_DEP_1)
	v_dual_mul_f32 v79, 0x3fb8aa3b, v79 :: v_dual_add_f32 v80, v78, v76
	s_waitcnt_depctr 0xfff
	v_cndmask_b32_e64 v78, 0, v90, s12
	v_mul_f32_e32 v90, 0x3fb8aa3b, v100
	v_exp_f32_e32 v100, v79
	v_cndmask_b32_e64 v79, 0, v88, s13
	v_add_f32_e32 v80, v80, v77
	s_delay_alu instid0(VALU_DEP_3) | instskip(NEXT) | instid1(VALU_DEP_1)
	v_exp_f32_e32 v90, v90
	v_add_f32_e32 v88, v80, v78
	v_cndmask_b32_e64 v80, 0, v89, s15
	s_delay_alu instid0(VALU_DEP_2) | instskip(NEXT) | instid1(TRANS32_DEP_2)
	v_add_f32_e32 v89, v88, v79
	v_cndmask_b32_e64 v88, 0, v100, s16
	s_delay_alu instid0(VALU_DEP_2) | instskip(SKIP_3) | instid1(VALU_DEP_1)
	v_add_f32_e32 v100, v89, v80
	s_waitcnt_depctr 0xfff
	v_cndmask_b32_e64 v89, 0, v90, s17
	v_add_f32_e32 v90, v100, v88
	v_add_f32_e32 v100, v90, v89
	v_cndmask_b32_e64 v90, 0, v102, s18
	s_delay_alu instid0(VALU_DEP_1)
	v_add_f32_e32 v100, v100, v90
	ds_bpermute_b32 v101, v101, v100
	v_cmpx_gt_u32_e32 16, v74
	s_cbranch_execz .LBB747_14
; %bb.13:
	v_mul_u32_u24_e32 v74, 0x44, v75
	s_waitcnt lgkmcnt(0)
	v_add_f32_e32 v100, v100, v101
	s_delay_alu instid0(VALU_DEP_2) | instskip(NEXT) | instid1(VALU_DEP_1)
	v_lshl_add_u32 v74, v73, 2, v74
	v_add_nc_u32_e32 v74, 0x4000, v74
	ds_store_2addr_b32 v74, v91, v100 offset1:136
.LBB747_14:
	s_or_b32 exec_lo, exec_lo, s3
	v_lshlrev_b32_e32 v73, 2, v73
	s_waitcnt lgkmcnt(0)
	s_barrier
	buffer_gl0_inv
	v_cmp_eq_u32_e64 s3, 1, v75
	v_add_nc_u32_e32 v91, 0x4000, v73
	ds_load_2addr_b32 v[100:101], v91 offset1:17
	ds_load_2addr_b32 v[102:103], v91 offset0:34 offset1:51
	ds_load_2addr_b32 v[104:105], v91 offset0:68 offset1:85
	;; [unrolled: 1-line block ×4, first 2 shown]
	s_waitcnt lgkmcnt(4)
	v_max3_f32 v73, v100, 0xff7fffff, v101
	s_waitcnt lgkmcnt(3)
	s_delay_alu instid0(VALU_DEP_1) | instskip(SKIP_1) | instid1(VALU_DEP_1)
	v_max3_f32 v73, v73, v102, v103
	s_waitcnt lgkmcnt(2)
	v_max3_f32 v73, v73, v104, v105
	s_waitcnt lgkmcnt(1)
	s_delay_alu instid0(VALU_DEP_1) | instskip(NEXT) | instid1(VALU_DEP_1)
	v_max3_f32 v73, v73, v106, v107
	v_sub_f32_e32 v74, v100, v73
	v_sub_f32_e32 v102, v102, v73
	;; [unrolled: 1-line block ×3, first 2 shown]
	s_delay_alu instid0(VALU_DEP_3) | instskip(NEXT) | instid1(VALU_DEP_3)
	v_mul_f32_e32 v74, 0x3fb8aa3b, v74
	v_mul_f32_e32 v112, 0x3fb8aa3b, v102
	s_delay_alu instid0(VALU_DEP_3) | instskip(NEXT) | instid1(VALU_DEP_3)
	v_mul_f32_e32 v114, 0x3fb8aa3b, v104
	v_exp_f32_e32 v111, v74
	v_sub_f32_e32 v74, v103, v73
	v_sub_f32_e32 v110, v101, v73
	ds_load_2addr_b32 v[100:101], v91 offset0:170 offset1:187
	v_exp_f32_e32 v112, v112
	v_mul_f32_e32 v113, 0x3fb8aa3b, v74
	v_mul_f32_e32 v110, 0x3fb8aa3b, v110
	s_waitcnt lgkmcnt(1)
	v_fma_f32 v74, v111, v108, 0
	v_sub_f32_e32 v108, v105, v73
	s_delay_alu instid0(VALU_DEP_3) | instskip(SKIP_4) | instid1(VALU_DEP_1)
	v_exp_f32_e32 v110, v110
	v_exp_f32_e32 v113, v113
	s_waitcnt_depctr 0xfff
	v_fmac_f32_e32 v74, v110, v109
	s_waitcnt lgkmcnt(0)
	v_fmac_f32_e32 v74, v112, v100
	ds_load_2addr_b32 v[102:103], v91 offset0:204 offset1:221
	ds_load_2addr_b32 v[104:105], v91 offset0:238 offset1:255
	v_dual_sub_f32 v91, v106, v73 :: v_dual_mul_f32 v106, 0x3fb8aa3b, v108
	v_exp_f32_e32 v108, v114
	v_sub_f32_e32 v100, v107, v73
	s_delay_alu instid0(VALU_DEP_2) | instskip(NEXT) | instid1(VALU_DEP_3)
	v_dual_fmac_f32 v74, v113, v101 :: v_dual_mul_f32 v91, 0x3fb8aa3b, v91
	v_exp_f32_e32 v106, v106
	s_waitcnt lgkmcnt(0)
	s_delay_alu instid0(VALU_DEP_2)
	v_mul_f32_e32 v100, 0x3fb8aa3b, v100
	s_barrier
	v_exp_f32_e32 v91, v91
	buffer_gl0_inv
	v_exp_f32_e32 v100, v100
	v_fmac_f32_e32 v74, v108, v102
	s_delay_alu instid0(VALU_DEP_1) | instskip(NEXT) | instid1(VALU_DEP_1)
	v_fmac_f32_e32 v74, v106, v103
	v_fmac_f32_e32 v74, v91, v104
	s_waitcnt_depctr 0xfff
	v_fmac_f32_e32 v74, v100, v105
	s_delay_alu instid0(VALU_DEP_1) | instskip(NEXT) | instid1(VALU_DEP_1)
	v_add_f32_e32 v101, 0x358637bd, v74
	v_div_scale_f32 v102, null, v101, v101, 1.0
	v_div_scale_f32 v105, vcc_lo, 1.0, v101, 1.0
	s_delay_alu instid0(VALU_DEP_2) | instskip(SKIP_2) | instid1(VALU_DEP_1)
	v_rcp_f32_e32 v103, v102
	s_waitcnt_depctr 0xfff
	v_fma_f32 v104, -v102, v103, 1.0
	v_fmac_f32_e32 v103, v104, v103
	v_cndmask_b32_e64 v104, v111, v110, s3
	v_cmp_eq_u32_e64 s3, 2, v75
	s_delay_alu instid0(VALU_DEP_3) | instskip(NEXT) | instid1(VALU_DEP_2)
	v_mul_f32_e32 v107, v105, v103
	v_cndmask_b32_e64 v104, v104, v112, s3
	v_cmp_eq_u32_e64 s3, 3, v75
	s_delay_alu instid0(VALU_DEP_3) | instskip(NEXT) | instid1(VALU_DEP_2)
	v_fma_f32 v109, -v102, v107, v105
	v_cndmask_b32_e64 v104, v104, v113, s3
	v_cmp_eq_u32_e64 s3, 4, v75
	s_delay_alu instid0(VALU_DEP_3) | instskip(NEXT) | instid1(VALU_DEP_2)
	v_fmac_f32_e32 v107, v109, v103
	v_cndmask_b32_e64 v104, v104, v108, s3
	s_delay_alu instid0(VALU_DEP_2) | instskip(SKIP_1) | instid1(VALU_DEP_2)
	v_fma_f32 v102, -v102, v107, v105
	v_cmp_eq_u32_e64 s3, 5, v75
	v_div_fmas_f32 v102, v102, v103, v107
	s_delay_alu instid0(VALU_DEP_2) | instskip(SKIP_2) | instid1(VALU_DEP_3)
	v_cndmask_b32_e64 v104, v104, v106, s3
	v_cmp_eq_u32_e32 vcc_lo, 6, v75
	s_mov_b32 s3, exec_lo
	v_div_fixup_f32 v101, v102, v101, 1.0
	s_delay_alu instid0(VALU_DEP_3) | instskip(SKIP_1) | instid1(VALU_DEP_2)
	v_cndmask_b32_e32 v91, v104, v91, vcc_lo
	v_cmp_eq_u32_e32 vcc_lo, 7, v75
	v_cndmask_b32_e32 v91, v91, v100, vcc_lo
	s_delay_alu instid0(VALU_DEP_1) | instskip(NEXT) | instid1(VALU_DEP_1)
	v_mul_f32_e32 v91, v91, v101
	v_mul_f32_e32 v101, v91, v93
	;; [unrolled: 1-line block ×6, first 2 shown]
	v_dual_mul_f32 v97, v91, v94 :: v_dual_and_b32 v102, 0x7f800000, v101
	v_mul_f32_e32 v100, v91, v96
	v_mul_f32_e32 v96, v91, v92
                                        ; implicit-def: $vgpr92
	s_delay_alu instid0(VALU_DEP_3)
	v_cmpx_ne_u32_e32 0x7f800000, v102
	s_xor_b32 s3, exec_lo, s3
; %bb.15:
	v_bfe_u32 v92, v101, 16, 1
	s_delay_alu instid0(VALU_DEP_1)
	v_add3_u32 v92, v101, v92, 0x7fff
                                        ; implicit-def: $vgpr101
; %bb.16:
	s_and_not1_saveexec_b32 s3, s3
; %bb.17:
	v_and_b32_e32 v92, 0xffff, v101
	v_or_b32_e32 v94, 0x10000, v101
	s_delay_alu instid0(VALU_DEP_2) | instskip(NEXT) | instid1(VALU_DEP_2)
	v_cmp_eq_u32_e32 vcc_lo, 0, v92
	v_cndmask_b32_e32 v92, v94, v101, vcc_lo
; %bb.18:
	s_or_b32 exec_lo, exec_lo, s3
	v_and_b32_e32 v94, 0x7f800000, v96
	s_delay_alu instid0(VALU_DEP_1) | instskip(SKIP_1) | instid1(SALU_CYCLE_1)
	v_cmp_ne_u32_e32 vcc_lo, 0x7f800000, v94
                                        ; implicit-def: $vgpr94
	s_and_saveexec_b32 s3, vcc_lo
	s_xor_b32 s3, exec_lo, s3
; %bb.19:
	v_bfe_u32 v94, v96, 16, 1
	s_delay_alu instid0(VALU_DEP_1)
	v_add3_u32 v94, v96, v94, 0x7fff
                                        ; implicit-def: $vgpr96
; %bb.20:
	s_and_not1_saveexec_b32 s3, s3
; %bb.21:
	v_and_b32_e32 v94, 0xffff, v96
	v_or_b32_e32 v101, 0x10000, v96
	s_delay_alu instid0(VALU_DEP_2) | instskip(NEXT) | instid1(VALU_DEP_2)
	v_cmp_eq_u32_e32 vcc_lo, 0, v94
	v_cndmask_b32_e32 v94, v101, v96, vcc_lo
; %bb.22:
	s_or_b32 exec_lo, exec_lo, s3
	v_and_b32_e32 v96, 0x7f800000, v97
	s_delay_alu instid0(VALU_DEP_1) | instskip(SKIP_1) | instid1(SALU_CYCLE_1)
	v_cmp_ne_u32_e32 vcc_lo, 0x7f800000, v96
                                        ; implicit-def: $vgpr96
	s_and_saveexec_b32 s3, vcc_lo
	s_xor_b32 s3, exec_lo, s3
; %bb.23:
	v_bfe_u32 v96, v97, 16, 1
	s_delay_alu instid0(VALU_DEP_1)
	v_add3_u32 v96, v97, v96, 0x7fff
                                        ; implicit-def: $vgpr97
; %bb.24:
	s_and_not1_saveexec_b32 s3, s3
; %bb.25:
	v_and_b32_e32 v96, 0xffff, v97
	v_or_b32_e32 v101, 0x10000, v97
	s_delay_alu instid0(VALU_DEP_2) | instskip(NEXT) | instid1(VALU_DEP_2)
	v_cmp_eq_u32_e32 vcc_lo, 0, v96
	v_cndmask_b32_e32 v96, v101, v97, vcc_lo
; %bb.26:
	s_or_b32 exec_lo, exec_lo, s3
	v_and_b32_e32 v97, 0x7f800000, v100
	s_delay_alu instid0(VALU_DEP_1) | instskip(SKIP_1) | instid1(SALU_CYCLE_1)
	v_cmp_ne_u32_e32 vcc_lo, 0x7f800000, v97
                                        ; implicit-def: $vgpr97
	s_and_saveexec_b32 s3, vcc_lo
	s_xor_b32 s3, exec_lo, s3
; %bb.27:
	v_bfe_u32 v97, v100, 16, 1
	s_delay_alu instid0(VALU_DEP_1)
	v_add3_u32 v97, v100, v97, 0x7fff
                                        ; implicit-def: $vgpr100
; %bb.28:
	s_and_not1_saveexec_b32 s3, s3
; %bb.29:
	v_and_b32_e32 v97, 0xffff, v100
	v_or_b32_e32 v101, 0x10000, v100
	s_delay_alu instid0(VALU_DEP_2) | instskip(NEXT) | instid1(VALU_DEP_2)
	v_cmp_eq_u32_e32 vcc_lo, 0, v97
	v_cndmask_b32_e32 v97, v101, v100, vcc_lo
; %bb.30:
	s_or_b32 exec_lo, exec_lo, s3
	v_and_b32_e32 v100, 0x7f800000, v99
	s_delay_alu instid0(VALU_DEP_1) | instskip(SKIP_1) | instid1(SALU_CYCLE_1)
	v_cmp_ne_u32_e32 vcc_lo, 0x7f800000, v100
                                        ; implicit-def: $vgpr100
	s_and_saveexec_b32 s3, vcc_lo
	s_xor_b32 s3, exec_lo, s3
; %bb.31:
	v_bfe_u32 v100, v99, 16, 1
	s_delay_alu instid0(VALU_DEP_1)
	v_add3_u32 v100, v99, v100, 0x7fff
                                        ; implicit-def: $vgpr99
; %bb.32:
	s_and_not1_saveexec_b32 s3, s3
; %bb.33:
	v_and_b32_e32 v100, 0xffff, v99
	v_or_b32_e32 v101, 0x10000, v99
	s_delay_alu instid0(VALU_DEP_2) | instskip(NEXT) | instid1(VALU_DEP_2)
	v_cmp_eq_u32_e32 vcc_lo, 0, v100
	v_cndmask_b32_e32 v100, v101, v99, vcc_lo
; %bb.34:
	s_or_b32 exec_lo, exec_lo, s3
	v_and_b32_e32 v99, 0x7f800000, v98
	s_delay_alu instid0(VALU_DEP_1) | instskip(SKIP_1) | instid1(SALU_CYCLE_1)
	v_cmp_ne_u32_e32 vcc_lo, 0x7f800000, v99
                                        ; implicit-def: $vgpr99
	s_and_saveexec_b32 s3, vcc_lo
	s_xor_b32 s3, exec_lo, s3
; %bb.35:
	v_bfe_u32 v99, v98, 16, 1
	s_delay_alu instid0(VALU_DEP_1)
	v_add3_u32 v99, v98, v99, 0x7fff
                                        ; implicit-def: $vgpr98
; %bb.36:
	s_and_not1_saveexec_b32 s3, s3
; %bb.37:
	v_and_b32_e32 v99, 0xffff, v98
	v_or_b32_e32 v101, 0x10000, v98
	s_delay_alu instid0(VALU_DEP_2) | instskip(NEXT) | instid1(VALU_DEP_2)
	v_cmp_eq_u32_e32 vcc_lo, 0, v99
	v_cndmask_b32_e32 v99, v101, v98, vcc_lo
; %bb.38:
	s_or_b32 exec_lo, exec_lo, s3
	v_and_b32_e32 v98, 0x7f800000, v95
	s_delay_alu instid0(VALU_DEP_1) | instskip(SKIP_1) | instid1(SALU_CYCLE_1)
	v_cmp_ne_u32_e32 vcc_lo, 0x7f800000, v98
                                        ; implicit-def: $vgpr98
	s_and_saveexec_b32 s3, vcc_lo
	s_xor_b32 s3, exec_lo, s3
; %bb.39:
	v_bfe_u32 v98, v95, 16, 1
	s_delay_alu instid0(VALU_DEP_1)
	v_add3_u32 v98, v95, v98, 0x7fff
                                        ; implicit-def: $vgpr95
; %bb.40:
	s_and_not1_saveexec_b32 s3, s3
; %bb.41:
	v_and_b32_e32 v98, 0xffff, v95
	v_or_b32_e32 v101, 0x10000, v95
	s_delay_alu instid0(VALU_DEP_2) | instskip(NEXT) | instid1(VALU_DEP_2)
	v_cmp_eq_u32_e32 vcc_lo, 0, v98
	v_cndmask_b32_e32 v98, v101, v95, vcc_lo
; %bb.42:
	s_or_b32 exec_lo, exec_lo, s3
	v_and_b32_e32 v95, 0x7f800000, v93
	s_delay_alu instid0(VALU_DEP_1) | instskip(SKIP_1) | instid1(SALU_CYCLE_1)
	v_cmp_ne_u32_e32 vcc_lo, 0x7f800000, v95
                                        ; implicit-def: $vgpr95
	s_and_saveexec_b32 s3, vcc_lo
	s_xor_b32 s3, exec_lo, s3
; %bb.43:
	v_bfe_u32 v95, v93, 16, 1
	s_delay_alu instid0(VALU_DEP_1)
	v_add3_u32 v95, v93, v95, 0x7fff
                                        ; implicit-def: $vgpr93
; %bb.44:
	s_and_not1_saveexec_b32 s3, s3
; %bb.45:
	v_and_b32_e32 v95, 0xffff, v93
	v_or_b32_e32 v101, 0x10000, v93
	s_delay_alu instid0(VALU_DEP_2) | instskip(NEXT) | instid1(VALU_DEP_2)
	v_cmp_eq_u32_e32 vcc_lo, 0, v95
	v_cndmask_b32_e32 v95, v101, v93, vcc_lo
; %bb.46:
	s_or_b32 exec_lo, exec_lo, s3
	s_load_b64 s[34:35], s[0:1], 0x94
	v_lshlrev_b32_e32 v93, 4, v86
	s_delay_alu instid0(VALU_DEP_2)
	v_perm_b32 v101, v95, v98, 0x7060302
	v_dual_mul_f32 v90, v91, v90 :: v_dual_lshlrev_b32 v95, 11, v75
	v_perm_b32 v98, v94, v92, 0x7060302
	v_mul_f32_e32 v94, v91, v76
	v_perm_b32 v100, v99, v100, 0x7060302
	v_perm_b32 v99, v97, v96, 0x7060302
	v_or3_b32 v76, v93, v95, v87
	v_mul_f32_e32 v89, v91, v89
	v_dual_mul_f32 v88, v91, v88 :: v_dual_and_b32 v95, 0x7f800000, v94
	v_mul_f32_e32 v80, v91, v80
	v_mul_f32_e32 v92, v91, v79
	;; [unrolled: 1-line block ×4, first 2 shown]
	s_mov_b32 s3, exec_lo
	ds_store_b128 v76, v[98:101]
                                        ; implicit-def: $vgpr77
	v_cmpx_ne_u32_e32 0x7f800000, v95
	s_xor_b32 s3, exec_lo, s3
; %bb.47:
	v_bfe_u32 v77, v94, 16, 1
	s_delay_alu instid0(VALU_DEP_1)
	v_add3_u32 v77, v94, v77, 0x7fff
                                        ; implicit-def: $vgpr94
; %bb.48:
	s_and_not1_saveexec_b32 s3, s3
; %bb.49:
	v_and_b32_e32 v77, 0xffff, v94
	v_or_b32_e32 v78, 0x10000, v94
	s_delay_alu instid0(VALU_DEP_2) | instskip(NEXT) | instid1(VALU_DEP_2)
	v_cmp_eq_u32_e32 vcc_lo, 0, v77
	v_cndmask_b32_e32 v77, v78, v94, vcc_lo
; %bb.50:
	s_or_b32 exec_lo, exec_lo, s3
	v_and_b32_e32 v78, 0x7f800000, v79
	s_delay_alu instid0(VALU_DEP_1) | instskip(SKIP_1) | instid1(SALU_CYCLE_1)
	v_cmp_ne_u32_e32 vcc_lo, 0x7f800000, v78
                                        ; implicit-def: $vgpr78
	s_and_saveexec_b32 s3, vcc_lo
	s_xor_b32 s3, exec_lo, s3
; %bb.51:
	v_bfe_u32 v78, v79, 16, 1
	s_delay_alu instid0(VALU_DEP_1)
	v_add3_u32 v78, v79, v78, 0x7fff
                                        ; implicit-def: $vgpr79
; %bb.52:
	s_and_not1_saveexec_b32 s3, s3
; %bb.53:
	v_and_b32_e32 v78, 0xffff, v79
	v_or_b32_e32 v91, 0x10000, v79
	s_delay_alu instid0(VALU_DEP_2) | instskip(NEXT) | instid1(VALU_DEP_2)
	v_cmp_eq_u32_e32 vcc_lo, 0, v78
	v_cndmask_b32_e32 v78, v91, v79, vcc_lo
; %bb.54:
	s_or_b32 exec_lo, exec_lo, s3
	v_and_b32_e32 v79, 0x7f800000, v93
	s_delay_alu instid0(VALU_DEP_1) | instskip(SKIP_1) | instid1(SALU_CYCLE_1)
	v_cmp_ne_u32_e32 vcc_lo, 0x7f800000, v79
                                        ; implicit-def: $vgpr79
	s_and_saveexec_b32 s3, vcc_lo
	s_xor_b32 s3, exec_lo, s3
; %bb.55:
	v_bfe_u32 v79, v93, 16, 1
	s_delay_alu instid0(VALU_DEP_1)
	v_add3_u32 v79, v93, v79, 0x7fff
                                        ; implicit-def: $vgpr93
; %bb.56:
	s_and_not1_saveexec_b32 s3, s3
; %bb.57:
	v_and_b32_e32 v79, 0xffff, v93
	v_or_b32_e32 v91, 0x10000, v93
	s_delay_alu instid0(VALU_DEP_2) | instskip(NEXT) | instid1(VALU_DEP_2)
	v_cmp_eq_u32_e32 vcc_lo, 0, v79
	v_cndmask_b32_e32 v79, v91, v93, vcc_lo
; %bb.58:
	s_or_b32 exec_lo, exec_lo, s3
	v_and_b32_e32 v91, 0x7f800000, v92
	s_delay_alu instid0(VALU_DEP_1) | instskip(SKIP_1) | instid1(SALU_CYCLE_1)
	v_cmp_ne_u32_e32 vcc_lo, 0x7f800000, v91
                                        ; implicit-def: $vgpr91
	s_and_saveexec_b32 s3, vcc_lo
	s_xor_b32 s3, exec_lo, s3
; %bb.59:
	v_bfe_u32 v91, v92, 16, 1
	s_delay_alu instid0(VALU_DEP_1)
	v_add3_u32 v91, v92, v91, 0x7fff
                                        ; implicit-def: $vgpr92
; %bb.60:
	s_and_not1_saveexec_b32 s3, s3
; %bb.61:
	v_and_b32_e32 v91, 0xffff, v92
	v_or_b32_e32 v93, 0x10000, v92
	s_delay_alu instid0(VALU_DEP_2) | instskip(NEXT) | instid1(VALU_DEP_2)
	v_cmp_eq_u32_e32 vcc_lo, 0, v91
	v_cndmask_b32_e32 v91, v93, v92, vcc_lo
; %bb.62:
	s_or_b32 exec_lo, exec_lo, s3
	v_and_b32_e32 v92, 0x7f800000, v80
	s_delay_alu instid0(VALU_DEP_1) | instskip(SKIP_1) | instid1(SALU_CYCLE_1)
	v_cmp_ne_u32_e32 vcc_lo, 0x7f800000, v92
                                        ; implicit-def: $vgpr92
	s_and_saveexec_b32 s3, vcc_lo
	s_xor_b32 s3, exec_lo, s3
; %bb.63:
	v_bfe_u32 v92, v80, 16, 1
	s_delay_alu instid0(VALU_DEP_1)
	v_add3_u32 v92, v80, v92, 0x7fff
                                        ; implicit-def: $vgpr80
; %bb.64:
	s_and_not1_saveexec_b32 s3, s3
; %bb.65:
	v_and_b32_e32 v92, 0xffff, v80
	v_or_b32_e32 v93, 0x10000, v80
	s_delay_alu instid0(VALU_DEP_2) | instskip(NEXT) | instid1(VALU_DEP_2)
	v_cmp_eq_u32_e32 vcc_lo, 0, v92
	v_cndmask_b32_e32 v92, v93, v80, vcc_lo
; %bb.66:
	s_or_b32 exec_lo, exec_lo, s3
	v_and_b32_e32 v80, 0x7f800000, v88
	s_delay_alu instid0(VALU_DEP_1) | instskip(SKIP_1) | instid1(SALU_CYCLE_1)
	v_cmp_ne_u32_e32 vcc_lo, 0x7f800000, v80
                                        ; implicit-def: $vgpr80
	s_and_saveexec_b32 s3, vcc_lo
	s_xor_b32 s3, exec_lo, s3
; %bb.67:
	v_bfe_u32 v80, v88, 16, 1
	s_delay_alu instid0(VALU_DEP_1)
	v_add3_u32 v80, v88, v80, 0x7fff
                                        ; implicit-def: $vgpr88
; %bb.68:
	s_and_not1_saveexec_b32 s3, s3
; %bb.69:
	v_and_b32_e32 v80, 0xffff, v88
	v_or_b32_e32 v93, 0x10000, v88
	s_delay_alu instid0(VALU_DEP_2) | instskip(NEXT) | instid1(VALU_DEP_2)
	v_cmp_eq_u32_e32 vcc_lo, 0, v80
	v_cndmask_b32_e32 v80, v93, v88, vcc_lo
; %bb.70:
	s_or_b32 exec_lo, exec_lo, s3
	v_and_b32_e32 v88, 0x7f800000, v89
	s_delay_alu instid0(VALU_DEP_1) | instskip(SKIP_1) | instid1(SALU_CYCLE_1)
	v_cmp_ne_u32_e32 vcc_lo, 0x7f800000, v88
                                        ; implicit-def: $vgpr88
	s_and_saveexec_b32 s3, vcc_lo
	s_xor_b32 s3, exec_lo, s3
; %bb.71:
	v_bfe_u32 v88, v89, 16, 1
	s_delay_alu instid0(VALU_DEP_1)
	v_add3_u32 v88, v89, v88, 0x7fff
                                        ; implicit-def: $vgpr89
; %bb.72:
	s_and_not1_saveexec_b32 s3, s3
; %bb.73:
	v_and_b32_e32 v88, 0xffff, v89
	v_or_b32_e32 v93, 0x10000, v89
	s_delay_alu instid0(VALU_DEP_2) | instskip(NEXT) | instid1(VALU_DEP_2)
	v_cmp_eq_u32_e32 vcc_lo, 0, v88
	v_cndmask_b32_e32 v88, v93, v89, vcc_lo
; %bb.74:
	s_or_b32 exec_lo, exec_lo, s3
	v_and_b32_e32 v89, 0x7f800000, v90
	s_delay_alu instid0(VALU_DEP_1) | instskip(SKIP_1) | instid1(SALU_CYCLE_1)
	v_cmp_ne_u32_e32 vcc_lo, 0x7f800000, v89
                                        ; implicit-def: $vgpr89
	s_and_saveexec_b32 s3, vcc_lo
	s_xor_b32 s3, exec_lo, s3
; %bb.75:
	v_bfe_u32 v89, v90, 16, 1
	s_delay_alu instid0(VALU_DEP_1)
	v_add3_u32 v89, v90, v89, 0x7fff
                                        ; implicit-def: $vgpr90
; %bb.76:
	s_and_not1_saveexec_b32 s3, s3
; %bb.77:
	v_and_b32_e32 v89, 0xffff, v90
	v_or_b32_e32 v93, 0x10000, v90
	s_delay_alu instid0(VALU_DEP_2) | instskip(NEXT) | instid1(VALU_DEP_2)
	v_cmp_eq_u32_e32 vcc_lo, 0, v89
	v_cndmask_b32_e32 v89, v93, v90, vcc_lo
; %bb.78:
	s_or_b32 exec_lo, exec_lo, s3
	s_delay_alu instid0(VALU_DEP_1)
	v_perm_b32 v96, v89, v88, 0x7060302
	v_perm_b32 v95, v80, v92, 0x7060302
	;; [unrolled: 1-line block ×4, first 2 shown]
	v_lshl_or_b32 v92, v75, 11, v87
	v_lshlrev_b32_e32 v89, 2, v86
	ds_store_b128 v76, v[93:96] offset:1024
	s_waitcnt lgkmcnt(0)
	s_barrier
	buffer_gl0_inv
	ds_load_b128 v[77:80], v92
	ds_load_b128 v[93:96], v92 offset:16
	v_or_b32_e32 v90, 1, v89
	v_cmp_eq_u32_e32 vcc_lo, 1, v89
	v_cmp_eq_u32_e64 s4, 2, v89
	v_cmp_eq_u32_e64 s7, 3, v89
	;; [unrolled: 1-line block ×6, first 2 shown]
	v_or_b32_e32 v88, 2, v89
	v_cmp_eq_u32_e64 s10, 5, v89
	v_cmp_eq_u32_e64 s11, 4, v90
	;; [unrolled: 1-line block ×9, first 2 shown]
	s_waitcnt lgkmcnt(1)
	v_lshrrev_b32_e32 v75, 16, v77
	s_waitcnt lgkmcnt(0)
	v_lshrrev_b32_e32 v101, 16, v93
	v_lshrrev_b32_e32 v110, 16, v96
	;; [unrolled: 1-line block ×4, first 2 shown]
	v_cndmask_b32_e32 v91, v77, v75, vcc_lo
	v_cndmask_b32_e32 v97, v93, v101, vcc_lo
	v_cndmask_b32_e64 v98, v77, v75, s3
	v_lshrrev_b32_e32 v106, 16, v79
	v_lshrrev_b32_e32 v109, 16, v95
	v_cndmask_b32_e64 v91, v91, v78, s4
	v_cndmask_b32_e64 v97, v97, v94, s4
	;; [unrolled: 1-line block ×4, first 2 shown]
	v_lshrrev_b32_e32 v107, 16, v80
	v_cndmask_b32_e64 v91, v91, v105, s7
	v_cndmask_b32_e64 v97, v97, v108, s7
	v_cndmask_b32_e64 v98, v98, v105, s8
	v_cndmask_b32_e64 v99, v99, v94, s6
	v_cndmask_b32_e64 v100, v77, v75, s5
	v_cndmask_b32_e64 v91, v91, v79, s9
	v_cndmask_b32_e64 v97, v97, v95, s9
	v_cndmask_b32_e64 v98, v98, v79, s11
	v_cndmask_b32_e64 v99, v99, v108, s8
	v_cmp_eq_u32_e64 s19, 3, v88
	v_cndmask_b32_e64 v91, v91, v106, s10
	v_cndmask_b32_e64 v97, v97, v109, s10
	;; [unrolled: 1-line block ×4, first 2 shown]
	v_cmp_eq_u32_e64 s20, 4, v88
	v_cndmask_b32_e64 v91, v91, v80, s12
	v_cndmask_b32_e64 v97, v97, v96, s12
	v_cndmask_b32_e64 v98, v98, v80, s16
	v_cmp_eq_u32_e64 s22, 5, v88
	v_cmp_eq_u32_e64 s24, 6, v88
	v_cndmask_b32_e64 v111, v91, v107, s15
	v_cndmask_b32_e64 v112, v97, v110, s15
	;; [unrolled: 1-line block ×6, first 2 shown]
	v_cmp_eq_u32_e64 s27, 7, v88
	v_cndmask_b32_e64 v99, v91, v105, s19
	v_cndmask_b32_e64 v97, v97, v94, s17
	v_or_b32_e32 v91, 3, v89
	v_cndmask_b32_e64 v114, v98, v96, s16
	s_delay_alu instid0(VALU_DEP_4) | instskip(NEXT) | instid1(VALU_DEP_4)
	v_cndmask_b32_e64 v102, v99, v79, s20
	v_cndmask_b32_e64 v103, v97, v108, s19
	s_delay_alu instid0(VALU_DEP_4)
	v_cmp_eq_u32_e64 s21, 1, v91
	ds_load_b128 v[97:100], v92 offset:1024
	v_cmp_eq_u32_e64 s23, 2, v91
	v_cndmask_b32_e64 v115, v102, v106, s22
	v_cmp_eq_u32_e64 s25, 3, v91
	v_cndmask_b32_e64 v75, v77, v75, s21
	v_cndmask_b32_e64 v77, v103, v95, s20
	;; [unrolled: 1-line block ×3, first 2 shown]
	ds_load_b128 v[101:104], v92 offset:1040
	v_cmp_eq_u32_e64 s26, 4, v91
	v_cndmask_b32_e64 v75, v75, v78, s23
	v_cmp_eq_u32_e64 s28, 5, v91
	v_cndmask_b32_e64 v78, v93, v94, s23
	v_cndmask_b32_e64 v94, v115, v80, s24
	;; [unrolled: 1-line block ×4, first 2 shown]
	v_cmp_eq_u32_e64 s29, 6, v91
	v_cndmask_b32_e64 v78, v78, v108, s25
	v_cndmask_b32_e64 v93, v114, v110, s18
	v_cndmask_b32_e64 v77, v77, v96, s24
	v_cndmask_b32_e64 v75, v75, v79, s26
	s_waitcnt lgkmcnt(1)
	v_lshrrev_b32_e32 v105, 16, v97
	v_cndmask_b32_e64 v78, v78, v95, s26
	v_cndmask_b32_e64 v79, v94, v107, s27
	;; [unrolled: 1-line block ×4, first 2 shown]
	v_cndmask_b32_e32 v94, v97, v105, vcc_lo
	v_cndmask_b32_e64 v78, v78, v109, s28
	s_waitcnt lgkmcnt(0)
	v_lshrrev_b32_e32 v95, 16, v101
	v_lshrrev_b32_e32 v106, 16, v98
	v_cndmask_b32_e64 v108, v97, v105, s3
	v_cndmask_b32_e64 v94, v94, v98, s4
	;; [unrolled: 1-line block ×3, first 2 shown]
	v_cndmask_b32_e32 v109, v101, v95, vcc_lo
	v_cndmask_b32_e64 v78, v78, v96, s29
	v_cmp_eq_u32_e32 vcc_lo, 7, v91
	v_cndmask_b32_e64 v80, v94, v106, s7
	v_cndmask_b32_e64 v94, v108, v98, s6
	;; [unrolled: 1-line block ×3, first 2 shown]
	v_lshrrev_b32_e32 v108, 16, v102
	v_cndmask_b32_e32 v78, v78, v110, vcc_lo
	v_lshrrev_b32_e32 v110, 16, v103
	v_cndmask_b32_e64 v80, v80, v99, s9
	v_lshrrev_b32_e32 v109, 16, v99
	v_cndmask_b32_e64 v96, v96, v108, s7
	v_cndmask_b32_e32 v75, v75, v107, vcc_lo
	v_perm_b32 v79, v77, v79, 0x5040100
	v_cndmask_b32_e64 v94, v94, v106, s8
	v_cndmask_b32_e64 v107, v80, v109, s10
	;; [unrolled: 1-line block ×3, first 2 shown]
	v_perm_b32 v80, v78, v75, 0x5040100
	v_perm_b32 v78, v93, v113, 0x5040100
	v_cndmask_b32_e64 v113, v101, v95, s5
	v_cndmask_b32_e64 v94, v94, v99, s11
	;; [unrolled: 1-line block ×3, first 2 shown]
	s_delay_alu instid0(VALU_DEP_2) | instskip(NEXT) | instid1(VALU_DEP_2)
	v_cndmask_b32_e64 v75, v94, v109, s13
	v_cndmask_b32_e64 v77, v96, v104, s12
	;; [unrolled: 1-line block ×22, first 2 shown]
	v_lshrrev_b32_e32 v107, 16, v100
	v_cndmask_b32_e64 v96, v96, v109, s22
	v_cndmask_b32_e64 v97, v97, v109, s28
	;; [unrolled: 1-line block ×7, first 2 shown]
	v_lshrrev_b32_e32 v94, 16, v104
	v_cndmask_b32_e64 v96, v96, v100, s24
	v_cndmask_b32_e64 v97, v97, v100, s29
	;; [unrolled: 1-line block ×7, first 2 shown]
	v_dual_cndmask_b32 v96, v97, v107 :: v_dual_cndmask_b32 v97, v98, v94
	v_cndmask_b32_e64 v98, v99, v94, s27
	v_cndmask_b32_e64 v99, v95, v94, s18
	;; [unrolled: 1-line block ×3, first 2 shown]
	v_perm_b32 v77, v112, v111, 0x5040100
	v_perm_b32 v96, v97, v96, 0x5040100
	;; [unrolled: 1-line block ×5, first 2 shown]
	s_lshl_b32 s8, s35, 1
	s_mov_b32 s3, exec_lo
	ds_store_b128 v76, v[77:80]
	ds_store_b128 v76, v[93:96] offset:1024
	v_cmpx_gt_u32_e32 2, v0
	s_cbranch_execz .LBB747_80
; %bb.79:
	v_or_b32_e32 v75, s31, v0
	s_load_b128 s[4:7], s[0:1], 0x58
	s_delay_alu instid0(VALU_DEP_1) | instskip(NEXT) | instid1(VALU_DEP_1)
	v_mad_u64_u32 v[76:77], null, s8, s30, v[75:76]
	v_mad_u64_u32 v[77:78], null, v76, s34, s[14:15]
	s_delay_alu instid0(VALU_DEP_1) | instskip(NEXT) | instid1(VALU_DEP_1)
	v_ashrrev_i32_e32 v78, 31, v77
	v_lshlrev_b64 v[75:76], 2, v[77:78]
	s_waitcnt lgkmcnt(0)
	s_delay_alu instid0(VALU_DEP_1) | instskip(NEXT) | instid1(VALU_DEP_2)
	v_add_co_u32 v77, vcc_lo, s6, v75
	v_add_co_ci_u32_e32 v78, vcc_lo, s7, v76, vcc_lo
	v_add_co_u32 v75, vcc_lo, s4, v75
	v_add_co_ci_u32_e32 v76, vcc_lo, s5, v76, vcc_lo
	global_store_b32 v[77:78], v73, off
	global_store_b32 v[75:76], v74, off
.LBB747_80:
	s_or_b32 exec_lo, exec_lo, s3
	s_waitcnt lgkmcnt(0)
	s_waitcnt_vscnt null, 0x0
	s_barrier
	buffer_gl0_inv
	ds_load_b128 v[93:96], v87
	ds_load_b128 v[97:100], v87 offset:16
	ds_load_b128 v[105:108], v87 offset:1040
	;; [unrolled: 1-line block ×3, first 2 shown]
	v_mov_b32_e32 v73, 0
	ds_load_b128 v[113:116], v87 offset:2064
	ds_load_b128 v[109:112], v87 offset:2048
	;; [unrolled: 1-line block ×6, first 2 shown]
	v_mov_b32_e32 v74, v73
	v_mov_b32_e32 v75, v73
	;; [unrolled: 1-line block ×7, first 2 shown]
	s_waitcnt lgkmcnt(8)
	s_delay_alu instid0(VALU_DEP_1)
	v_wmma_f32_16x16x16_bf16 v[73:80], v[65:72], v[93:100], v[73:80]
	ds_load_b128 v[69:72], v87 offset:5136
	ds_load_b128 v[65:68], v87 offset:5120
	;; [unrolled: 1-line block ×4, first 2 shown]
	s_waitcnt lgkmcnt(10)
	v_wmma_f32_16x16x16_bf16 v[73:80], v[57:64], v[101:108], v[73:80]
	s_waitcnt lgkmcnt(8)
	s_delay_alu instid0(VALU_DEP_1)
	v_wmma_f32_16x16x16_bf16 v[73:80], v[57:64], v[109:116], v[73:80]
	ds_load_b128 v[61:64], v87 offset:7184
	ds_load_b128 v[57:60], v87 offset:7168
	;; [unrolled: 1-line block ×4, first 2 shown]
	s_waitcnt lgkmcnt(10)
	v_wmma_f32_16x16x16_bf16 v[73:80], v[49:56], v[117:124], v[73:80]
	s_waitcnt lgkmcnt(8)
	s_delay_alu instid0(VALU_DEP_1)
	v_wmma_f32_16x16x16_bf16 v[73:80], v[49:56], v[125:132], v[73:80]
	ds_load_b128 v[53:56], v87 offset:9232
	ds_load_b128 v[49:52], v87 offset:9216
	s_waitcnt lgkmcnt(8)
	v_wmma_f32_16x16x16_bf16 v[73:80], v[41:48], v[65:72], v[73:80]
	ds_load_b128 v[69:72], v87 offset:10256
	ds_load_b128 v[65:68], v87 offset:10240
	s_waitcnt lgkmcnt(8)
	;; [unrolled: 4-line block ×3, first 2 shown]
	v_wmma_f32_16x16x16_bf16 v[73:80], v[9:16], v[57:64], v[73:80]
	s_waitcnt lgkmcnt(6)
	s_delay_alu instid0(VALU_DEP_1)
	v_wmma_f32_16x16x16_bf16 v[73:80], v[9:16], v[101:108], v[73:80]
	ds_load_b128 v[13:16], v87 offset:12304
	ds_load_b128 v[9:12], v87 offset:12288
	s_waitcnt lgkmcnt(6)
	v_wmma_f32_16x16x16_bf16 v[73:80], v[1:8], v[49:56], v[73:80]
	ds_load_b128 v[53:56], v87 offset:13328
	ds_load_b128 v[49:52], v87 offset:13312
	s_waitcnt lgkmcnt(6)
	;; [unrolled: 4-line block ×4, first 2 shown]
	v_wmma_f32_16x16x16_bf16 v[73:80], v[33:40], v[9:16], v[73:80]
	s_waitcnt lgkmcnt(4)
	s_delay_alu instid0(VALU_DEP_1) | instskip(SKIP_1) | instid1(VALU_DEP_1)
	v_wmma_f32_16x16x16_bf16 v[73:80], v[25:32], v[49:56], v[73:80]
	s_waitcnt lgkmcnt(2)
	v_wmma_f32_16x16x16_bf16 v[73:80], v[25:32], v[1:8], v[73:80]
	s_waitcnt lgkmcnt(0)
	s_delay_alu instid0(VALU_DEP_1) | instskip(NEXT) | instid1(VALU_DEP_1)
	v_wmma_f32_16x16x16_bf16 v[73:80], v[17:24], v[41:48], v[73:80]
	v_and_b32_e32 v1, 0x7f800000, v73
	s_delay_alu instid0(VALU_DEP_1) | instskip(SKIP_1) | instid1(SALU_CYCLE_1)
	v_cmp_ne_u32_e32 vcc_lo, 0x7f800000, v1
                                        ; implicit-def: $vgpr1
	s_and_saveexec_b32 s3, vcc_lo
	s_xor_b32 s3, exec_lo, s3
; %bb.81:
	v_bfe_u32 v1, v73, 16, 1
	s_delay_alu instid0(VALU_DEP_1)
	v_add3_u32 v1, v73, v1, 0x7fff
; %bb.82:
	s_and_not1_saveexec_b32 s3, s3
; %bb.83:
	v_and_b32_e32 v1, 0xffff, v73
	v_or_b32_e32 v2, 0x10000, v73
	s_delay_alu instid0(VALU_DEP_2) | instskip(NEXT) | instid1(VALU_DEP_2)
	v_cmp_eq_u32_e32 vcc_lo, 0, v1
	v_cndmask_b32_e32 v1, v2, v73, vcc_lo
; %bb.84:
	s_or_b32 exec_lo, exec_lo, s3
	v_and_b32_e32 v2, 0x7f800000, v74
	s_delay_alu instid0(VALU_DEP_1) | instskip(SKIP_1) | instid1(SALU_CYCLE_1)
	v_cmp_ne_u32_e32 vcc_lo, 0x7f800000, v2
                                        ; implicit-def: $vgpr2
	s_and_saveexec_b32 s3, vcc_lo
	s_xor_b32 s3, exec_lo, s3
; %bb.85:
	v_bfe_u32 v2, v74, 16, 1
	s_delay_alu instid0(VALU_DEP_1)
	v_add3_u32 v2, v74, v2, 0x7fff
; %bb.86:
	s_and_not1_saveexec_b32 s3, s3
; %bb.87:
	v_and_b32_e32 v2, 0xffff, v74
	v_or_b32_e32 v3, 0x10000, v74
	s_delay_alu instid0(VALU_DEP_2) | instskip(NEXT) | instid1(VALU_DEP_2)
	v_cmp_eq_u32_e32 vcc_lo, 0, v2
	v_cndmask_b32_e32 v2, v3, v74, vcc_lo
; %bb.88:
	s_or_b32 exec_lo, exec_lo, s3
	v_and_b32_e32 v3, 0x7f800000, v75
	s_delay_alu instid0(VALU_DEP_1) | instskip(SKIP_1) | instid1(SALU_CYCLE_1)
	v_cmp_ne_u32_e32 vcc_lo, 0x7f800000, v3
                                        ; implicit-def: $vgpr3
	s_and_saveexec_b32 s3, vcc_lo
	s_xor_b32 s3, exec_lo, s3
; %bb.89:
	v_bfe_u32 v3, v75, 16, 1
	s_delay_alu instid0(VALU_DEP_1)
	v_add3_u32 v3, v75, v3, 0x7fff
; %bb.90:
	s_and_not1_saveexec_b32 s3, s3
; %bb.91:
	v_and_b32_e32 v3, 0xffff, v75
	v_or_b32_e32 v4, 0x10000, v75
	s_delay_alu instid0(VALU_DEP_2) | instskip(NEXT) | instid1(VALU_DEP_2)
	v_cmp_eq_u32_e32 vcc_lo, 0, v3
	v_cndmask_b32_e32 v3, v4, v75, vcc_lo
; %bb.92:
	s_or_b32 exec_lo, exec_lo, s3
	v_and_b32_e32 v4, 0x7f800000, v76
	s_delay_alu instid0(VALU_DEP_1) | instskip(SKIP_1) | instid1(SALU_CYCLE_1)
	v_cmp_ne_u32_e32 vcc_lo, 0x7f800000, v4
                                        ; implicit-def: $vgpr4
	s_and_saveexec_b32 s3, vcc_lo
	s_xor_b32 s3, exec_lo, s3
; %bb.93:
	v_bfe_u32 v4, v76, 16, 1
	s_delay_alu instid0(VALU_DEP_1)
	v_add3_u32 v4, v76, v4, 0x7fff
; %bb.94:
	s_and_not1_saveexec_b32 s3, s3
; %bb.95:
	v_and_b32_e32 v4, 0xffff, v76
	v_or_b32_e32 v5, 0x10000, v76
	s_delay_alu instid0(VALU_DEP_2) | instskip(NEXT) | instid1(VALU_DEP_2)
	v_cmp_eq_u32_e32 vcc_lo, 0, v4
	v_cndmask_b32_e32 v4, v5, v76, vcc_lo
; %bb.96:
	s_or_b32 exec_lo, exec_lo, s3
	v_and_b32_e32 v5, 0x7f800000, v77
	s_delay_alu instid0(VALU_DEP_1) | instskip(SKIP_1) | instid1(SALU_CYCLE_1)
	v_cmp_ne_u32_e32 vcc_lo, 0x7f800000, v5
                                        ; implicit-def: $vgpr5
	s_and_saveexec_b32 s3, vcc_lo
	s_xor_b32 s3, exec_lo, s3
; %bb.97:
	v_bfe_u32 v5, v77, 16, 1
	s_delay_alu instid0(VALU_DEP_1)
	v_add3_u32 v5, v77, v5, 0x7fff
; %bb.98:
	s_and_not1_saveexec_b32 s3, s3
; %bb.99:
	v_and_b32_e32 v5, 0xffff, v77
	v_or_b32_e32 v6, 0x10000, v77
	s_delay_alu instid0(VALU_DEP_2) | instskip(NEXT) | instid1(VALU_DEP_2)
	v_cmp_eq_u32_e32 vcc_lo, 0, v5
	v_cndmask_b32_e32 v5, v6, v77, vcc_lo
; %bb.100:
	s_or_b32 exec_lo, exec_lo, s3
	v_and_b32_e32 v6, 0x7f800000, v78
	s_delay_alu instid0(VALU_DEP_1) | instskip(SKIP_1) | instid1(SALU_CYCLE_1)
	v_cmp_ne_u32_e32 vcc_lo, 0x7f800000, v6
                                        ; implicit-def: $vgpr6
	s_and_saveexec_b32 s3, vcc_lo
	s_xor_b32 s3, exec_lo, s3
; %bb.101:
	v_bfe_u32 v6, v78, 16, 1
	s_delay_alu instid0(VALU_DEP_1)
	v_add3_u32 v6, v78, v6, 0x7fff
; %bb.102:
	s_and_not1_saveexec_b32 s3, s3
; %bb.103:
	v_and_b32_e32 v6, 0xffff, v78
	v_or_b32_e32 v7, 0x10000, v78
	s_delay_alu instid0(VALU_DEP_2) | instskip(NEXT) | instid1(VALU_DEP_2)
	v_cmp_eq_u32_e32 vcc_lo, 0, v6
	v_cndmask_b32_e32 v6, v7, v78, vcc_lo
; %bb.104:
	s_or_b32 exec_lo, exec_lo, s3
	v_and_b32_e32 v7, 0x7f800000, v79
	s_delay_alu instid0(VALU_DEP_1) | instskip(SKIP_1) | instid1(SALU_CYCLE_1)
	v_cmp_ne_u32_e32 vcc_lo, 0x7f800000, v7
                                        ; implicit-def: $vgpr7
	s_and_saveexec_b32 s3, vcc_lo
	s_xor_b32 s3, exec_lo, s3
; %bb.105:
	v_bfe_u32 v7, v79, 16, 1
	s_delay_alu instid0(VALU_DEP_1)
	v_add3_u32 v7, v79, v7, 0x7fff
; %bb.106:
	s_and_not1_saveexec_b32 s3, s3
; %bb.107:
	v_and_b32_e32 v7, 0xffff, v79
	v_or_b32_e32 v8, 0x10000, v79
	s_delay_alu instid0(VALU_DEP_2) | instskip(NEXT) | instid1(VALU_DEP_2)
	v_cmp_eq_u32_e32 vcc_lo, 0, v7
	v_cndmask_b32_e32 v7, v8, v79, vcc_lo
; %bb.108:
	s_or_b32 exec_lo, exec_lo, s3
	v_and_b32_e32 v8, 0x7f800000, v80
	s_delay_alu instid0(VALU_DEP_1) | instskip(SKIP_1) | instid1(SALU_CYCLE_1)
	v_cmp_ne_u32_e32 vcc_lo, 0x7f800000, v8
                                        ; implicit-def: $vgpr8
	s_and_saveexec_b32 s3, vcc_lo
	s_xor_b32 s3, exec_lo, s3
; %bb.109:
	v_bfe_u32 v8, v80, 16, 1
	s_delay_alu instid0(VALU_DEP_1)
	v_add3_u32 v8, v80, v8, 0x7fff
                                        ; implicit-def: $vgpr73_vgpr74_vgpr75_vgpr76_vgpr77_vgpr78_vgpr79_vgpr80
; %bb.110:
	s_and_not1_saveexec_b32 s3, s3
; %bb.111:
	v_and_b32_e32 v8, 0xffff, v80
	v_or_b32_e32 v9, 0x10000, v80
	s_delay_alu instid0(VALU_DEP_2) | instskip(NEXT) | instid1(VALU_DEP_2)
	v_cmp_eq_u32_e32 vcc_lo, 0, v8
	v_cndmask_b32_e32 v8, v9, v80, vcc_lo
; %bb.112:
	s_or_b32 exec_lo, exec_lo, s3
	s_delay_alu instid0(VALU_DEP_1)
	v_perm_b32 v7, v8, v7, 0x7060302
	v_perm_b32 v6, v6, v5, 0x7060302
	;; [unrolled: 1-line block ×4, first 2 shown]
	v_lshl_or_b32 v9, v86, 4, v92
	s_barrier
	buffer_gl0_inv
	v_cmp_eq_u32_e32 vcc_lo, 1, v89
	ds_store_b128 v9, v[4:7]
	s_waitcnt lgkmcnt(0)
	s_barrier
	buffer_gl0_inv
	ds_load_b128 v[1:4], v92
	ds_load_b128 v[5:8], v92 offset:16
	v_cmp_eq_u32_e64 s4, 2, v89
	v_cmp_eq_u32_e64 s3, 1, v90
	;; [unrolled: 1-line block ×5, first 2 shown]
	s_waitcnt lgkmcnt(1)
	v_lshrrev_b32_e32 v10, 16, v1
	s_waitcnt lgkmcnt(0)
	v_lshrrev_b32_e32 v14, 16, v5
	v_lshrrev_b32_e32 v15, 16, v6
	;; [unrolled: 1-line block ×4, first 2 shown]
	v_cndmask_b32_e64 v20, v1, v10, s3
	v_cndmask_b32_e32 v19, v5, v14, vcc_lo
	v_cndmask_b32_e64 v21, v5, v14, s3
	v_lshrrev_b32_e32 v16, 16, v7
	v_cmp_eq_u32_e64 s3, 1, v88
	v_lshrrev_b32_e32 v13, 16, v4
	v_cndmask_b32_e64 v19, v19, v6, s4
	v_lshrrev_b32_e32 v17, 16, v8
	s_delay_alu instid0(VALU_DEP_4) | instskip(SKIP_1) | instid1(VALU_DEP_4)
	v_cndmask_b32_e64 v22, v1, v10, s3
	v_cndmask_b32_e64 v23, v5, v14, s3
	;; [unrolled: 1-line block ×3, first 2 shown]
	v_cndmask_b32_e32 v18, v1, v10, vcc_lo
	v_cmp_eq_u32_e32 vcc_lo, 2, v90
	v_cmp_eq_u32_e64 s3, 2, v91
	v_cndmask_b32_e64 v22, v22, v2, s7
	v_cndmask_b32_e32 v20, v20, v2, vcc_lo
	v_cndmask_b32_e32 v21, v21, v6, vcc_lo
	v_cmp_eq_u32_e32 vcc_lo, 4, v89
	v_cndmask_b32_e32 v19, v19, v7, vcc_lo
	v_cndmask_b32_e64 v18, v18, v2, s4
	v_cmp_eq_u32_e64 s4, 3, v90
	s_delay_alu instid0(VALU_DEP_2) | instskip(NEXT) | instid1(VALU_DEP_2)
	v_cndmask_b32_e64 v18, v18, v11, s5
	v_cndmask_b32_e64 v21, v21, v15, s4
	v_cmp_eq_u32_e64 s5, 5, v89
	s_delay_alu instid0(VALU_DEP_3) | instskip(SKIP_1) | instid1(VALU_DEP_3)
	v_cndmask_b32_e32 v18, v18, v3, vcc_lo
	v_cmp_eq_u32_e32 vcc_lo, 4, v90
	v_cndmask_b32_e64 v19, v19, v16, s5
	s_delay_alu instid0(VALU_DEP_3) | instskip(SKIP_4) | instid1(VALU_DEP_3)
	v_cndmask_b32_e64 v18, v18, v12, s5
	v_cndmask_b32_e32 v21, v21, v7, vcc_lo
	v_cndmask_b32_e64 v20, v20, v11, s4
	v_cmp_eq_u32_e64 s4, 5, v90
	v_cmp_eq_u32_e64 s5, 6, v89
	v_cndmask_b32_e32 v20, v20, v3, vcc_lo
	s_delay_alu instid0(VALU_DEP_3) | instskip(SKIP_1) | instid1(VALU_DEP_4)
	v_cndmask_b32_e64 v21, v21, v16, s4
	v_cmp_eq_u32_e32 vcc_lo, 6, v90
	v_cndmask_b32_e64 v18, v18, v4, s5
	v_cndmask_b32_e64 v19, v19, v8, s5
	;; [unrolled: 1-line block ×3, first 2 shown]
	v_cmp_eq_u32_e64 s4, 1, v91
	v_cmp_eq_u32_e64 s5, 7, v89
	s_delay_alu instid0(VALU_DEP_3) | instskip(NEXT) | instid1(VALU_DEP_3)
	v_cndmask_b32_e32 v20, v20, v4, vcc_lo
	v_cndmask_b32_e64 v1, v1, v10, s4
	v_cndmask_b32_e64 v5, v5, v14, s4
	v_cmp_eq_u32_e64 s4, 3, v88
	v_cndmask_b32_e64 v14, v23, v6, s7
	v_cmp_eq_u32_e64 s7, 3, v91
	v_cndmask_b32_e64 v1, v1, v2, s3
	v_cndmask_b32_e64 v2, v5, v6, s3
	;; [unrolled: 1-line block ×3, first 2 shown]
	v_cmp_eq_u32_e64 s3, 4, v88
	v_cndmask_b32_e64 v6, v14, v15, s4
	v_cndmask_b32_e64 v1, v1, v11, s7
	v_cmp_eq_u32_e64 s4, 4, v91
	v_cndmask_b32_e64 v2, v2, v15, s7
	v_cndmask_b32_e64 v5, v10, v3, s3
	;; [unrolled: 3-line block ×3, first 2 shown]
	v_cndmask_b32_e64 v2, v2, v7, s4
	v_cmp_eq_u32_e64 s3, 5, v91
	v_cndmask_b32_e64 v5, v5, v12, s7
	v_cmp_eq_u32_e64 s4, 6, v88
	;; [unrolled: 2-line block ×3, first 2 shown]
	v_cndmask_b32_e64 v1, v1, v12, s3
	v_cndmask_b32_e64 v2, v2, v16, s3
	v_cndmask_b32_e64 v5, v5, v4, s4
	v_cndmask_b32_e64 v3, v3, v8, s4
	v_cmp_eq_u32_e64 s3, 7, v91
	v_cndmask_b32_e64 v1, v1, v4, s7
	v_cndmask_b32_e64 v2, v2, v8, s7
	v_cmp_eq_u32_e64 s4, 7, v88
	v_cndmask_b32_e32 v4, v21, v8, vcc_lo
	v_cndmask_b32_e64 v18, v18, v13, s5
	v_cndmask_b32_e64 v20, v20, v13, s6
	;; [unrolled: 1-line block ×8, first 2 shown]
	s_delay_alu instid0(VALU_DEP_4) | instskip(NEXT) | instid1(VALU_DEP_4)
	v_perm_b32 v4, v2, v1, 0x5040100
	v_perm_b32 v3, v3, v5, 0x5040100
	s_delay_alu instid0(VALU_DEP_4) | instskip(NEXT) | instid1(VALU_DEP_4)
	v_perm_b32 v2, v6, v20, 0x5040100
	v_perm_b32 v1, v7, v18, 0x5040100
	ds_store_b128 v9, v[1:4]
	s_waitcnt lgkmcnt(0)
	s_barrier
	buffer_gl0_inv
	s_and_saveexec_b32 s3, s2
	s_cbranch_execz .LBB747_2
; %bb.113:
	s_load_b64 s[0:1], s[0:1], 0x68
	v_lshlrev_b32_e32 v0, 10, v0
	s_lshl_b32 s2, s34, 7
	v_lshlrev_b32_e32 v1, 4, v85
	v_mul_lo_u32 v4, s2, v84
	s_mul_i32 s3, s2, s30
	v_and_b32_e32 v0, 0x3800, v0
	s_mul_i32 s2, s3, s8
	s_delay_alu instid0(SALU_CYCLE_1) | instskip(NEXT) | instid1(VALU_DEP_1)
	s_ashr_i32 s3, s2, 31
	v_or3_b32 v0, v0, v83, v1
	s_lshl_b64 s[2:3], s[2:3], 1
	s_delay_alu instid0(VALU_DEP_3)
	v_ashrrev_i32_e32 v5, 31, v4
	ds_load_b128 v[0:3], v0
	v_lshlrev_b64 v[4:5], 1, v[4:5]
	s_waitcnt lgkmcnt(0)
	s_add_u32 s2, s0, s2
	s_addc_u32 s3, s1, s3
	s_lshl_b32 s0, s14, 7
	s_delay_alu instid0(SALU_CYCLE_1) | instskip(NEXT) | instid1(SALU_CYCLE_1)
	s_ashr_i32 s1, s0, 31
	s_lshl_b64 s[0:1], s[0:1], 1
	s_delay_alu instid0(SALU_CYCLE_1) | instskip(SKIP_3) | instid1(VALU_DEP_2)
	s_add_u32 s0, s2, s0
	s_addc_u32 s1, s3, s1
	v_add_co_u32 v4, vcc_lo, s0, v4
	v_add_co_ci_u32_e32 v5, vcc_lo, s1, v5, vcc_lo
	v_add_co_u32 v4, vcc_lo, v4, v81
	s_delay_alu instid0(VALU_DEP_2)
	v_add_co_ci_u32_e32 v5, vcc_lo, v5, v82, vcc_lo
	global_store_b128 v[4:5], v[0:3], off
	s_nop 0
	s_sendmsg sendmsg(MSG_DEALLOC_VGPRS)
	s_endpgm
	.section	.rodata,"a",@progbits
	.p2align	6, 0x0
	.amdhsa_kernel _Z39paged_attention_ll4mi_QKV_mfma16_kernelI14__hip_bfloat16S0_LN4vllm18Fp8KVCacheDataTypeE0ES0_Li32ELi128ELi256ELb1ELi2EL8MFMAType0EEvPKT_PKT0_S9_ifPKiSB_SB_iPKfiiiPfSE_PS4_PT2_iSD_SD_
		.amdhsa_group_segment_fixed_size 17472
		.amdhsa_private_segment_fixed_size 0
		.amdhsa_kernarg_size 400
		.amdhsa_user_sgpr_count 13
		.amdhsa_user_sgpr_dispatch_ptr 0
		.amdhsa_user_sgpr_queue_ptr 0
		.amdhsa_user_sgpr_kernarg_segment_ptr 1
		.amdhsa_user_sgpr_dispatch_id 0
		.amdhsa_user_sgpr_private_segment_size 0
		.amdhsa_wavefront_size32 1
		.amdhsa_uses_dynamic_stack 0
		.amdhsa_enable_private_segment 0
		.amdhsa_system_sgpr_workgroup_id_x 1
		.amdhsa_system_sgpr_workgroup_id_y 1
		.amdhsa_system_sgpr_workgroup_id_z 1
		.amdhsa_system_sgpr_workgroup_info 0
		.amdhsa_system_vgpr_workitem_id 0
		.amdhsa_next_free_vgpr 145
		.amdhsa_next_free_sgpr 38
		.amdhsa_reserve_vcc 1
		.amdhsa_float_round_mode_32 0
		.amdhsa_float_round_mode_16_64 0
		.amdhsa_float_denorm_mode_32 3
		.amdhsa_float_denorm_mode_16_64 3
		.amdhsa_dx10_clamp 1
		.amdhsa_ieee_mode 1
		.amdhsa_fp16_overflow 0
		.amdhsa_workgroup_processor_mode 1
		.amdhsa_memory_ordered 1
		.amdhsa_forward_progress 0
		.amdhsa_shared_vgpr_count 0
		.amdhsa_exception_fp_ieee_invalid_op 0
		.amdhsa_exception_fp_denorm_src 0
		.amdhsa_exception_fp_ieee_div_zero 0
		.amdhsa_exception_fp_ieee_overflow 0
		.amdhsa_exception_fp_ieee_underflow 0
		.amdhsa_exception_fp_ieee_inexact 0
		.amdhsa_exception_int_div_zero 0
	.end_amdhsa_kernel
	.section	.text._Z39paged_attention_ll4mi_QKV_mfma16_kernelI14__hip_bfloat16S0_LN4vllm18Fp8KVCacheDataTypeE0ES0_Li32ELi128ELi256ELb1ELi2EL8MFMAType0EEvPKT_PKT0_S9_ifPKiSB_SB_iPKfiiiPfSE_PS4_PT2_iSD_SD_,"axG",@progbits,_Z39paged_attention_ll4mi_QKV_mfma16_kernelI14__hip_bfloat16S0_LN4vllm18Fp8KVCacheDataTypeE0ES0_Li32ELi128ELi256ELb1ELi2EL8MFMAType0EEvPKT_PKT0_S9_ifPKiSB_SB_iPKfiiiPfSE_PS4_PT2_iSD_SD_,comdat
.Lfunc_end747:
	.size	_Z39paged_attention_ll4mi_QKV_mfma16_kernelI14__hip_bfloat16S0_LN4vllm18Fp8KVCacheDataTypeE0ES0_Li32ELi128ELi256ELb1ELi2EL8MFMAType0EEvPKT_PKT0_S9_ifPKiSB_SB_iPKfiiiPfSE_PS4_PT2_iSD_SD_, .Lfunc_end747-_Z39paged_attention_ll4mi_QKV_mfma16_kernelI14__hip_bfloat16S0_LN4vllm18Fp8KVCacheDataTypeE0ES0_Li32ELi128ELi256ELb1ELi2EL8MFMAType0EEvPKT_PKT0_S9_ifPKiSB_SB_iPKfiiiPfSE_PS4_PT2_iSD_SD_
                                        ; -- End function
	.section	.AMDGPU.csdata,"",@progbits
; Kernel info:
; codeLenInByte = 9548
; NumSgprs: 40
; NumVgprs: 145
; ScratchSize: 0
; MemoryBound: 0
; FloatMode: 240
; IeeeMode: 1
; LDSByteSize: 17472 bytes/workgroup (compile time only)
; SGPRBlocks: 4
; VGPRBlocks: 18
; NumSGPRsForWavesPerEU: 40
; NumVGPRsForWavesPerEU: 145
; Occupancy: 9
; WaveLimiterHint : 1
; COMPUTE_PGM_RSRC2:SCRATCH_EN: 0
; COMPUTE_PGM_RSRC2:USER_SGPR: 13
; COMPUTE_PGM_RSRC2:TRAP_HANDLER: 0
; COMPUTE_PGM_RSRC2:TGID_X_EN: 1
; COMPUTE_PGM_RSRC2:TGID_Y_EN: 1
; COMPUTE_PGM_RSRC2:TGID_Z_EN: 1
; COMPUTE_PGM_RSRC2:TIDIG_COMP_CNT: 0
	.section	.text._Z39paged_attention_ll4mi_QKV_mfma16_kernelI14__hip_bfloat16S0_LN4vllm18Fp8KVCacheDataTypeE0ES0_Li32ELi128ELi256ELb1ELi3EL8MFMAType0EEvPKT_PKT0_S9_ifPKiSB_SB_iPKfiiiPfSE_PS4_PT2_iSD_SD_,"axG",@progbits,_Z39paged_attention_ll4mi_QKV_mfma16_kernelI14__hip_bfloat16S0_LN4vllm18Fp8KVCacheDataTypeE0ES0_Li32ELi128ELi256ELb1ELi3EL8MFMAType0EEvPKT_PKT0_S9_ifPKiSB_SB_iPKfiiiPfSE_PS4_PT2_iSD_SD_,comdat
	.protected	_Z39paged_attention_ll4mi_QKV_mfma16_kernelI14__hip_bfloat16S0_LN4vllm18Fp8KVCacheDataTypeE0ES0_Li32ELi128ELi256ELb1ELi3EL8MFMAType0EEvPKT_PKT0_S9_ifPKiSB_SB_iPKfiiiPfSE_PS4_PT2_iSD_SD_ ; -- Begin function _Z39paged_attention_ll4mi_QKV_mfma16_kernelI14__hip_bfloat16S0_LN4vllm18Fp8KVCacheDataTypeE0ES0_Li32ELi128ELi256ELb1ELi3EL8MFMAType0EEvPKT_PKT0_S9_ifPKiSB_SB_iPKfiiiPfSE_PS4_PT2_iSD_SD_
	.globl	_Z39paged_attention_ll4mi_QKV_mfma16_kernelI14__hip_bfloat16S0_LN4vllm18Fp8KVCacheDataTypeE0ES0_Li32ELi128ELi256ELb1ELi3EL8MFMAType0EEvPKT_PKT0_S9_ifPKiSB_SB_iPKfiiiPfSE_PS4_PT2_iSD_SD_
	.p2align	8
	.type	_Z39paged_attention_ll4mi_QKV_mfma16_kernelI14__hip_bfloat16S0_LN4vllm18Fp8KVCacheDataTypeE0ES0_Li32ELi128ELi256ELb1ELi3EL8MFMAType0EEvPKT_PKT0_S9_ifPKiSB_SB_iPKfiiiPfSE_PS4_PT2_iSD_SD_,@function
_Z39paged_attention_ll4mi_QKV_mfma16_kernelI14__hip_bfloat16S0_LN4vllm18Fp8KVCacheDataTypeE0ES0_Li32ELi128ELi256ELb1ELi3EL8MFMAType0EEvPKT_PKT0_S9_ifPKiSB_SB_iPKfiiiPfSE_PS4_PT2_iSD_SD_: ; @_Z39paged_attention_ll4mi_QKV_mfma16_kernelI14__hip_bfloat16S0_LN4vllm18Fp8KVCacheDataTypeE0ES0_Li32ELi128ELi256ELb1ELi3EL8MFMAType0EEvPKT_PKT0_S9_ifPKiSB_SB_iPKfiiiPfSE_PS4_PT2_iSD_SD_
; %bb.0:
	s_load_b64 s[2:3], s[0:1], 0x30
	s_mov_b32 s30, s13
	s_waitcnt lgkmcnt(0)
	s_cmp_lg_u64 s[2:3], 0
	s_cselect_b32 s6, -1, 0
	s_ashr_i32 s31, s13, 31
	s_cmp_eq_u64 s[2:3], 0
	s_cbranch_scc1 .LBB748_3
; %bb.1:
	s_lshl_b64 s[4:5], s[30:31], 2
	s_delay_alu instid0(SALU_CYCLE_1) | instskip(SKIP_4) | instid1(SALU_CYCLE_1)
	s_add_u32 s4, s2, s4
	s_addc_u32 s5, s3, s5
	s_load_b64 s[4:5], s[4:5], 0x0
	s_waitcnt lgkmcnt(0)
	s_sub_i32 s4, s5, s4
	s_cmp_eq_u32 s4, 1
	s_cselect_b32 s4, -1, 0
	s_delay_alu instid0(SALU_CYCLE_1)
	s_and_not1_b32 vcc_lo, exec_lo, s4
	s_cbranch_vccz .LBB748_4
.LBB748_2:
	s_nop 0
	s_sendmsg sendmsg(MSG_DEALLOC_VGPRS)
	s_endpgm
.LBB748_3:
.LBB748_4:
	s_load_b64 s[8:9], s[0:1], 0x28
	s_lshl_b64 s[4:5], s[30:31], 2
	s_waitcnt lgkmcnt(0)
	s_add_u32 s8, s8, s4
	s_addc_u32 s9, s9, s5
	s_lshl_b32 s12, s14, 8
	s_load_b32 s17, s[8:9], 0x0
	s_waitcnt lgkmcnt(0)
	s_cmp_ge_i32 s12, s17
	s_cbranch_scc1 .LBB748_2
; %bb.5:
	s_and_not1_b32 vcc_lo, exec_lo, s6
	s_cbranch_vccnz .LBB748_7
; %bb.6:
	s_add_u32 s2, s2, s4
	s_addc_u32 s3, s3, s5
	s_load_b32 s13, s[2:3], 0x0
	s_branch .LBB748_8
.LBB748_7:
	s_mov_b32 s13, s30
.LBB748_8:
	s_clause 0x2
	s_load_b128 s[8:11], s[0:1], 0x8
	s_load_b64 s[2:3], s[0:1], 0x20
	s_load_b128 s[4:7], s[0:1], 0x48
	v_lshrrev_b32_e32 v74, 5, v0
	v_bfe_u32 v83, v0, 4, 1
	v_and_b32_e32 v73, 15, v0
	s_waitcnt lgkmcnt(0)
	s_mov_b32 s7, exec_lo
	s_delay_alu instid0(VALU_DEP_2) | instskip(NEXT) | instid1(VALU_DEP_2)
	v_lshl_or_b32 v3, v74, 1, v83
	v_lshlrev_b32_e32 v1, 3, v73
	s_delay_alu instid0(VALU_DEP_2)
	v_cmpx_lt_u32_e32 2, v3
	s_xor_b32 s7, exec_lo, s7
; %bb.9:
	v_mov_b32_e32 v2, 0
                                        ; implicit-def: $vgpr3
; %bb.10:
	s_or_saveexec_b32 s7, s7
	v_and_b32_e32 v75, 31, v0
	v_and_b32_e32 v84, 1, v0
	s_mul_i32 s31, s15, 3
	s_xor_b32 exec_lo, exec_lo, s7
	s_cbranch_execz .LBB748_12
; %bb.11:
	s_load_b64 s[18:19], s[0:1], 0x0
	v_add_lshl_u32 v4, v3, s31, 7
	s_mul_hi_i32 s21, s13, s4
	s_mul_i32 s20, s13, s4
	v_lshlrev_b32_e32 v2, 1, v1
	s_lshl_b64 s[20:21], s[20:21], 1
	v_ashrrev_i32_e32 v5, 31, v4
	v_lshlrev_b32_e32 v3, 6, v3
	v_lshlrev_b32_e32 v8, 10, v84
	s_delay_alu instid0(VALU_DEP_3) | instskip(SKIP_3) | instid1(VALU_DEP_1)
	v_lshlrev_b64 v[4:5], 1, v[4:5]
	s_waitcnt lgkmcnt(0)
	s_add_u32 s4, s18, s20
	s_addc_u32 s13, s19, s21
	v_add_co_u32 v4, vcc_lo, s4, v4
	s_delay_alu instid0(VALU_DEP_2) | instskip(NEXT) | instid1(VALU_DEP_2)
	v_add_co_ci_u32_e32 v5, vcc_lo, s13, v5, vcc_lo
	v_add_co_u32 v4, vcc_lo, v4, v2
	s_delay_alu instid0(VALU_DEP_2) | instskip(SKIP_3) | instid1(VALU_DEP_1)
	v_add_co_ci_u32_e32 v5, vcc_lo, 0, v5, vcc_lo
	v_lshlrev_b32_e32 v2, 10, v73
	global_load_b128 v[4:7], v[4:5], off
	v_and_b32_e32 v2, 0x3800, v2
	v_or3_b32 v3, v2, v8, v3
	v_mov_b32_e32 v2, 0
	s_waitcnt vmcnt(0)
	ds_store_b128 v3, v[4:7]
.LBB748_12:
	s_or_b32 exec_lo, exec_lo, s7
	v_and_b32_e32 v3, 0xef, v0
	v_mul_lo_u16 v80, 0x56, v73
	s_add_i32 s4, s17, 31
	s_clause 0x1
	s_load_b32 s7, s[0:1], 0x38
	s_load_b32 s18, s[0:1], 0x1c
	v_add_nc_u32_e32 v3, s12, v3
	v_lshrrev_b16 v80, 8, v80
	s_ashr_i32 s13, s4, 31
	s_waitcnt lgkmcnt(0)
	s_lshr_b32 s13, s13, 27
	v_ashrrev_i32_e32 v4, 31, v3
	v_mul_lo_u16 v80, v80, 3
	s_add_i32 s4, s4, s13
	v_cmp_gt_i32_e32 vcc_lo, s17, v3
	s_ashr_i32 s4, s4, 5
	v_lshrrev_b32_e32 v5, 27, v4
	v_or_b32_e32 v4, 16, v3
	v_sub_nc_u16 v80, v73, v80
	s_add_i32 s4, s4, -1
	s_barrier
	v_add_nc_u32_e32 v6, v3, v5
	v_add_nc_u32_e32 v5, v4, v5
	v_and_b32_e32 v80, 0xff, v80
	s_mul_i32 s20, s30, s7
	buffer_gl0_inv
	v_ashrrev_i32_e32 v6, 5, v6
	v_ashrrev_i32_e32 v5, 5, v5
	s_ashr_i32 s21, s20, 31
	v_lshlrev_b64 v[81:82], 1, v[1:2]
	s_lshl_b64 s[20:21], s[20:21], 2
	v_dual_cndmask_b32 v3, s4, v6 :: v_dual_lshlrev_b32 v80, 6, v80
	v_cmp_gt_i32_e32 vcc_lo, s17, v4
	s_add_u32 s13, s2, s20
	s_addc_u32 s16, s3, s21
	s_delay_alu instid0(VALU_DEP_2) | instskip(SKIP_3) | instid1(SALU_CYCLE_1)
	v_ashrrev_i32_e32 v4, 31, v3
	s_mul_i32 s2, s15, s6
	v_cndmask_b32_e32 v5, s4, v5, vcc_lo
	s_ashr_i32 s3, s2, 31
	s_lshl_b64 s[2:3], s[2:3], 1
	v_lshlrev_b64 v[3:4], 2, v[3:4]
	s_delay_alu instid0(VALU_DEP_2) | instskip(SKIP_3) | instid1(VALU_DEP_1)
	v_ashrrev_i32_e32 v6, 31, v5
	s_add_u32 s15, s8, s2
	s_addc_u32 s19, s9, s3
	s_lshl_b32 s6, s14, 3
	v_lshlrev_b64 v[5:6], 2, v[5:6]
	v_add_co_u32 v3, vcc_lo, s13, v3
	v_add_co_ci_u32_e32 v4, vcc_lo, s16, v4, vcc_lo
	s_ashr_i32 s7, s6, 31
	s_delay_alu instid0(VALU_DEP_3) | instskip(NEXT) | instid1(VALU_DEP_4)
	v_add_co_u32 v5, vcc_lo, s13, v5
	v_add_co_ci_u32_e32 v6, vcc_lo, s16, v6, vcc_lo
	s_clause 0x1
	global_load_b32 v7, v[3:4], off
	global_load_b32 v8, v[5:6], off
	s_lshl_b64 s[6:7], s[6:7], 2
	s_delay_alu instid0(SALU_CYCLE_1) | instskip(SKIP_2) | instid1(SALU_CYCLE_1)
	s_add_u32 s6, s13, s6
	s_addc_u32 s7, s16, s7
	s_or_b32 s8, s12, 32
	s_ashr_i32 s9, s8, 5
	s_cmp_lt_i32 s8, s17
	s_cselect_b32 s8, s9, s4
	s_delay_alu instid0(SALU_CYCLE_1) | instskip(NEXT) | instid1(SALU_CYCLE_1)
	s_ashr_i32 s9, s8, 31
	s_lshl_b64 s[8:9], s[8:9], 2
	s_delay_alu instid0(SALU_CYCLE_1) | instskip(SKIP_2) | instid1(SALU_CYCLE_1)
	s_add_u32 s8, s13, s8
	s_addc_u32 s9, s16, s9
	s_or_b32 s20, s12, 64
	s_ashr_i32 s21, s20, 5
	s_cmp_lt_i32 s20, s17
	s_cselect_b32 s20, s21, s4
	s_delay_alu instid0(SALU_CYCLE_1) | instskip(NEXT) | instid1(SALU_CYCLE_1)
	s_ashr_i32 s21, s20, 31
	;; [unrolled: 10-line block ×5, first 2 shown]
	s_lshl_b64 s[26:27], s[26:27], 2
	s_delay_alu instid0(SALU_CYCLE_1)
	s_add_u32 s26, s13, s26
	s_addc_u32 s27, s16, s27
	s_clause 0x5
	s_load_b32 s28, s[6:7], 0x0
	s_load_b32 s29, s[8:9], 0x0
	s_load_b32 s33, s[20:21], 0x0
	s_load_b32 s34, s[22:23], 0x0
	s_load_b32 s35, s[24:25], 0x0
	s_load_b32 s36, s[26:27], 0x0
	s_mov_b32 s20, 0
	s_or_b32 s6, s12, 0xc0
	s_mov_b32 s27, s20
	s_mov_b32 s21, s20
	;; [unrolled: 1-line block ×7, first 2 shown]
	s_delay_alu instid0(SALU_CYCLE_1)
	v_dual_mov_b32 v108, s27 :: v_dual_mov_b32 v107, s26
	v_dual_mov_b32 v106, s25 :: v_dual_mov_b32 v105, s24
	;; [unrolled: 1-line block ×4, first 2 shown]
	s_ashr_i32 s7, s6, 5
	s_cmp_lt_i32 s6, s17
	s_waitcnt lgkmcnt(0)
	s_mul_hi_i32 s9, s28, s5
	s_cselect_b32 s6, s7, s4
	s_mul_i32 s8, s28, s5
	s_ashr_i32 s7, s6, 31
	s_mul_hi_i32 s21, s29, s5
	s_lshl_b64 s[6:7], s[6:7], 2
	s_mul_i32 s20, s29, s5
	s_add_u32 s6, s13, s6
	s_addc_u32 s7, s16, s7
	s_mul_hi_i32 s25, s33, s5
	s_mul_i32 s24, s33, s5
	s_mul_hi_i32 s27, s34, s5
	s_mul_i32 s26, s34, s5
	s_mul_i32 s34, s36, s5
	s_waitcnt vmcnt(1)
	v_mad_i64_i32 v[3:4], null, v7, s5, 0
	s_waitcnt vmcnt(0)
	v_mad_i64_i32 v[5:6], null, v8, s5, 0
	s_delay_alu instid0(VALU_DEP_2) | instskip(NEXT) | instid1(VALU_DEP_2)
	v_lshlrev_b64 v[3:4], 1, v[3:4]
	v_lshlrev_b64 v[1:2], 1, v[5:6]
	s_delay_alu instid0(VALU_DEP_2) | instskip(NEXT) | instid1(VALU_DEP_3)
	v_add_co_u32 v3, vcc_lo, s15, v3
	v_add_co_ci_u32_e32 v4, vcc_lo, s19, v4, vcc_lo
	s_delay_alu instid0(VALU_DEP_3) | instskip(NEXT) | instid1(VALU_DEP_4)
	v_add_co_u32 v1, vcc_lo, s15, v1
	v_add_co_ci_u32_e32 v2, vcc_lo, s19, v2, vcc_lo
	s_delay_alu instid0(VALU_DEP_4) | instskip(NEXT) | instid1(VALU_DEP_4)
	v_add_co_u32 v65, vcc_lo, v3, v81
	v_add_co_ci_u32_e32 v66, vcc_lo, v4, v82, vcc_lo
	s_delay_alu instid0(VALU_DEP_4) | instskip(NEXT) | instid1(VALU_DEP_4)
	v_add_co_u32 v76, vcc_lo, v1, v81
	v_add_co_ci_u32_e32 v77, vcc_lo, v2, v82, vcc_lo
	s_clause 0xf
	global_load_b128 v[1:4], v[65:66], off
	global_load_b128 v[5:8], v[65:66], off offset:512
	global_load_b128 v[9:12], v[76:77], off offset:256
	;; [unrolled: 1-line block ×15, first 2 shown]
	v_add_co_u32 v78, vcc_lo, 0x1000, v65
	v_add_co_ci_u32_e32 v79, vcc_lo, 0, v66, vcc_lo
	v_add_co_u32 v76, vcc_lo, 0x1000, v76
	s_clause 0x1
	global_load_b128 v[65:68], v[78:79], off
	global_load_b128 v[69:72], v[78:79], off offset:512
	v_add_co_ci_u32_e32 v77, vcc_lo, 0, v77, vcc_lo
	ds_load_b128 v[85:88], v80
	ds_load_b128 v[89:92], v80 offset:1024
	s_clause 0x1
	global_load_b128 v[93:96], v[76:77], off offset:256
	global_load_b128 v[97:100], v[76:77], off offset:768
	ds_load_b128 v[109:112], v80 offset:2048
	ds_load_b128 v[113:116], v80 offset:3072
	s_or_b32 s15, s12, 0xe0
	s_delay_alu instid0(SALU_CYCLE_1) | instskip(SKIP_2) | instid1(SALU_CYCLE_1)
	s_ashr_i32 s19, s15, 5
	s_cmp_lt_i32 s15, s17
	s_cselect_b32 s22, s19, s4
	s_ashr_i32 s23, s22, 31
	s_delay_alu instid0(SALU_CYCLE_1) | instskip(NEXT) | instid1(SALU_CYCLE_1)
	s_lshl_b64 s[22:23], s[22:23], 2
	s_add_u32 s22, s13, s22
	s_addc_u32 s23, s16, s23
	s_add_i32 s15, s12, 0x100
	s_delay_alu instid0(SALU_CYCLE_1) | instskip(SKIP_2) | instid1(SALU_CYCLE_1)
	s_ashr_i32 s19, s15, 5
	s_cmp_lt_i32 s15, s17
	s_cselect_b32 s28, s19, s4
	s_ashr_i32 s29, s28, 31
	s_delay_alu instid0(SALU_CYCLE_1) | instskip(NEXT) | instid1(SALU_CYCLE_1)
	s_lshl_b64 s[28:29], s[28:29], 2
	s_add_u32 s28, s13, s28
	s_addc_u32 s29, s16, s29
	s_add_u32 s4, s10, s2
	s_addc_u32 s19, s11, s3
	s_lshl_b64 s[2:3], s[8:9], 1
	s_lshl_b64 s[8:9], s[20:21], 1
	s_lshl_b64 s[10:11], s[24:25], 1
	s_lshl_b64 s[20:21], s[26:27], 1
	s_waitcnt vmcnt(18) lgkmcnt(2)
	v_wmma_f32_16x16x16_bf16 v[117:124], v[1:8], v[85:92], v[101:108]
	s_waitcnt vmcnt(16)
	v_wmma_f32_16x16x16_bf16 v[101:108], v[9:16], v[85:92], v[101:108]
	s_clause 0x3
	global_load_b128 v[1:4], v[78:79], off offset:1024
	global_load_b128 v[5:8], v[78:79], off offset:1536
	;; [unrolled: 1-line block ×4, first 2 shown]
	s_waitcnt vmcnt(18) lgkmcnt(0)
	v_wmma_f32_16x16x16_bf16 v[117:124], v[17:24], v[109:116], v[117:124]
	s_clause 0x1
	global_load_b128 v[17:20], v[78:79], off offset:2048
	global_load_b128 v[21:24], v[78:79], off offset:2560
	s_waitcnt vmcnt(18)
	v_wmma_f32_16x16x16_bf16 v[101:108], v[25:32], v[109:116], v[101:108]
	ds_load_b128 v[25:28], v80 offset:4096
	ds_load_b128 v[29:32], v80 offset:5120
	s_clause 0x5
	global_load_b128 v[109:112], v[76:77], off offset:2304
	global_load_b128 v[113:116], v[76:77], off offset:2816
	;; [unrolled: 1-line block ×6, first 2 shown]
	s_waitcnt vmcnt(22) lgkmcnt(0)
	v_wmma_f32_16x16x16_bf16 v[117:124], v[33:40], v[25:32], v[117:124]
	s_waitcnt vmcnt(20)
	v_wmma_f32_16x16x16_bf16 v[101:108], v[41:48], v[25:32], v[101:108]
	ds_load_b128 v[25:28], v80 offset:6144
	ds_load_b128 v[29:32], v80 offset:7168
	;; [unrolled: 1-line block ×4, first 2 shown]
	s_waitcnt vmcnt(18) lgkmcnt(2)
	v_wmma_f32_16x16x16_bf16 v[117:124], v[49:56], v[25:32], v[117:124]
	s_waitcnt vmcnt(16)
	v_wmma_f32_16x16x16_bf16 v[101:108], v[57:64], v[25:32], v[101:108]
	ds_load_b128 v[25:28], v80 offset:10240
	ds_load_b128 v[29:32], v80 offset:11264
	;; [unrolled: 1-line block ×6, first 2 shown]
	s_waitcnt vmcnt(14) lgkmcnt(6)
	v_wmma_f32_16x16x16_bf16 v[117:124], v[65:72], v[33:40], v[117:124]
	s_waitcnt vmcnt(12)
	v_wmma_f32_16x16x16_bf16 v[101:108], v[93:100], v[33:40], v[101:108]
	s_clause 0x2
	s_load_b32 s15, s[6:7], 0x0
	s_load_b32 s13, s[22:23], 0x0
	;; [unrolled: 1-line block ×3, first 2 shown]
	s_mul_hi_i32 s7, s35, s5
	s_mul_i32 s6, s35, s5
	s_mul_hi_i32 s35, s36, s5
	s_lshl_b64 s[6:7], s[6:7], 1
	s_lshl_b64 s[22:23], s[34:35], 1
	s_waitcnt lgkmcnt(0)
	s_mul_hi_i32 s25, s15, s5
	s_mul_i32 s24, s15, s5
	s_waitcnt vmcnt(10)
	v_wmma_f32_16x16x16_bf16 v[117:124], v[1:8], v[25:32], v[117:124]
	s_waitcnt vmcnt(8)
	v_wmma_f32_16x16x16_bf16 v[101:108], v[9:16], v[25:32], v[101:108]
	s_waitcnt vmcnt(6)
	s_delay_alu instid0(VALU_DEP_2) | instskip(SKIP_1) | instid1(VALU_DEP_2)
	v_wmma_f32_16x16x16_bf16 v[117:124], v[17:24], v[141:148], v[117:124]
	s_waitcnt vmcnt(4)
	v_wmma_f32_16x16x16_bf16 v[101:108], v[109:116], v[141:148], v[101:108]
	s_waitcnt vmcnt(2)
	s_delay_alu instid0(VALU_DEP_2) | instskip(SKIP_3) | instid1(VALU_DEP_3)
	v_wmma_f32_16x16x16_bf16 v[117:124], v[125:132], v[149:156], v[117:124]
	v_lshlrev_b32_e32 v85, 6, v73
	s_waitcnt vmcnt(0)
	v_wmma_f32_16x16x16_bf16 v[101:108], v[133:140], v[149:156], v[101:108]
	v_mul_f32_e32 v100, s18, v124
	s_delay_alu instid0(VALU_DEP_3) | instskip(SKIP_2) | instid1(VALU_DEP_3)
	v_lshl_or_b32 v41, v74, 10, v85
	v_mul_f32_e32 v97, s18, v117
	v_mul_f32_e32 v99, s18, v118
	v_add_co_u32 v76, s4, s4, v41
	s_delay_alu instid0(VALU_DEP_1) | instskip(NEXT) | instid1(VALU_DEP_2)
	v_add_co_ci_u32_e64 v77, null, s19, 0, s4
	v_add_co_u32 v41, vcc_lo, v76, s2
	s_delay_alu instid0(VALU_DEP_2)
	v_add_co_ci_u32_e32 v42, vcc_lo, s3, v77, vcc_lo
	v_add_co_u32 v33, vcc_lo, v76, s8
	v_add_co_ci_u32_e32 v34, vcc_lo, s9, v77, vcc_lo
	v_add_co_u32 v35, vcc_lo, v76, s10
	;; [unrolled: 2-line block ×5, first 2 shown]
	s_lshl_b64 s[2:3], s[24:25], 1
	v_add_co_ci_u32_e32 v6, vcc_lo, s23, v77, vcc_lo
	s_mul_hi_i32 s7, s13, s5
	s_mul_i32 s6, s13, s5
	v_add_co_u32 v17, vcc_lo, v76, s2
	v_add_co_ci_u32_e32 v18, vcc_lo, s3, v77, vcc_lo
	s_lshl_b64 s[2:3], s[6:7], 1
	s_mul_hi_i32 s7, s16, s5
	s_mul_i32 s6, s16, s5
	v_add_co_u32 v19, vcc_lo, v76, s2
	v_add_co_ci_u32_e32 v20, vcc_lo, s3, v77, vcc_lo
	s_lshl_b64 s[2:3], s[6:7], 1
	s_clause 0x1
	global_load_b128 v[65:68], v[41:42], off
	global_load_b128 v[69:72], v[41:42], off offset:16
	v_add_co_u32 v21, vcc_lo, v76, s2
	v_add_co_ci_u32_e32 v22, vcc_lo, s3, v77, vcc_lo
	s_clause 0xf
	global_load_b128 v[57:60], v[33:34], off
	global_load_b128 v[61:64], v[33:34], off offset:16
	global_load_b128 v[49:52], v[35:36], off
	global_load_b128 v[53:56], v[35:36], off offset:16
	;; [unrolled: 2-line block ×8, first 2 shown]
	v_mbcnt_lo_u32_b32 v77, -1, 0
	v_and_b32_e32 v76, 0xe0, v0
	s_waitcnt vmcnt(0)
	s_barrier
	buffer_gl0_inv
	v_xor_b32_e32 v78, 16, v77
	s_delay_alu instid0(VALU_DEP_1) | instskip(SKIP_1) | instid1(VALU_DEP_1)
	v_cmp_gt_i32_e32 vcc_lo, 32, v78
	v_dual_cndmask_b32 v77, v77, v78 :: v_dual_add_nc_u32 v76, s12, v76
	v_or_b32_e32 v76, v76, v83
	s_delay_alu instid0(VALU_DEP_1)
	v_or_b32_e32 v78, 2, v76
	v_or_b32_e32 v79, 4, v76
	;; [unrolled: 1-line block ×3, first 2 shown]
	v_cmp_gt_i32_e32 vcc_lo, s17, v76
	v_or_b32_e32 v86, 8, v76
	v_cmp_gt_i32_e64 s2, s17, v78
	v_or_b32_e32 v87, 10, v76
	v_or_b32_e32 v88, 12, v76
	;; [unrolled: 1-line block ×11, first 2 shown]
	v_cndmask_b32_e64 v78, 0xff7fffff, v99, s2
	v_mul_f32_e32 v99, s18, v120
	v_cmp_gt_i32_e64 s3, s17, v80
	v_mul_f32_e32 v80, s18, v119
	v_cndmask_b32_e32 v76, 0xff7fffff, v97, vcc_lo
	v_cmp_gt_i32_e64 s4, s17, v79
	v_mul_f32_e32 v79, s18, v122
	v_cmp_gt_i32_e64 s5, s17, v86
	v_cmp_gt_i32_e64 s6, s17, v87
	v_max3_f32 v76, v76, 0xff7fffff, v78
	v_mul_f32_e32 v78, s18, v121
	v_cndmask_b32_e64 v80, 0xff7fffff, v80, s4
	v_mul_f32_e32 v86, s18, v107
	v_cndmask_b32_e64 v99, 0xff7fffff, v99, s3
	;; [unrolled: 2-line block ×3, first 2 shown]
	v_cndmask_b32_e64 v79, 0xff7fffff, v79, s6
	v_cmp_gt_i32_e64 s7, s17, v89
	v_max3_f32 v76, v76, v80, v99
	v_mul_f32_e32 v80, s18, v108
	v_cmp_gt_i32_e64 s8, s17, v88
	v_dual_mul_f32 v99, s18, v105 :: v_dual_mul_f32 v88, s18, v102
	s_delay_alu instid0(VALU_DEP_4) | instskip(SKIP_1) | instid1(VALU_DEP_4)
	v_max3_f32 v76, v76, v78, v79
	v_mul_f32_e32 v89, s18, v101
	v_cndmask_b32_e64 v97, 0xff7fffff, v97, s8
	v_cndmask_b32_e64 v100, 0xff7fffff, v100, s7
	v_cmp_gt_i32_e64 s9, s17, v90
	v_cmp_gt_i32_e64 s10, s17, v91
	v_dual_mul_f32 v78, s18, v104 :: v_dual_mul_f32 v79, s18, v103
	s_delay_alu instid0(VALU_DEP_4) | instskip(NEXT) | instid1(VALU_DEP_4)
	v_max3_f32 v76, v76, v97, v100
	v_cndmask_b32_e64 v89, 0xff7fffff, v89, s9
	s_delay_alu instid0(VALU_DEP_4)
	v_cndmask_b32_e64 v88, 0xff7fffff, v88, s10
	v_cmp_gt_i32_e64 s11, s17, v92
	v_cmp_gt_i32_e64 s12, s17, v93
	v_mul_f32_e32 v87, s18, v106
	v_cmp_gt_i32_e64 s13, s17, v94
	v_max3_f32 v76, v76, v89, v88
	v_cndmask_b32_e64 v79, 0xff7fffff, v79, s11
	v_cndmask_b32_e64 v78, 0xff7fffff, v78, s12
	v_cmp_gt_i32_e64 s15, s17, v95
	v_cndmask_b32_e64 v88, 0xff7fffff, v99, s13
	v_cmp_gt_i32_e64 s16, s17, v96
	v_cmp_gt_i32_e64 s17, s17, v98
	v_max3_f32 v76, v76, v79, v78
	v_cndmask_b32_e64 v87, 0xff7fffff, v87, s15
	v_lshlrev_b32_e32 v99, 2, v77
	v_cndmask_b32_e64 v78, 0xff7fffff, v86, s16
	v_cndmask_b32_e64 v79, 0xff7fffff, v80, s17
	s_delay_alu instid0(VALU_DEP_4) | instskip(NEXT) | instid1(VALU_DEP_1)
	v_max3_f32 v76, v76, v88, v87
	v_max3_f32 v76, v76, v78, v79
	ds_bpermute_b32 v77, v99, v76
	s_waitcnt lgkmcnt(0)
	v_max_f32_e32 v77, v77, v77
	s_delay_alu instid0(VALU_DEP_1) | instskip(NEXT) | instid1(VALU_DEP_1)
	v_max_f32_e32 v76, v76, v77
	v_fma_f32 v80, s18, v120, -v76
	v_fma_f32 v77, s18, v117, -v76
	;; [unrolled: 1-line block ×5, first 2 shown]
	v_mul_f32_e32 v80, 0x3fb8aa3b, v80
	v_fma_f32 v87, s18, v123, -v76
	v_mul_f32_e32 v78, 0x3fb8aa3b, v78
	v_fma_f32 v88, s18, v105, -v76
	v_mul_f32_e32 v86, 0x3fb8aa3b, v86
	v_exp_f32_e32 v80, v80
	v_fma_f32 v90, s18, v107, -v76
	v_exp_f32_e32 v78, v78
	v_fma_f32 v100, s18, v108, -v76
	v_exp_f32_e32 v86, v86
	v_mul_f32_e32 v88, 0x3fb8aa3b, v88
	s_delay_alu instid0(VALU_DEP_2) | instskip(NEXT) | instid1(TRANS32_DEP_3)
	v_mul_f32_e32 v100, 0x3fb8aa3b, v100
	v_cndmask_b32_e64 v95, 0, v80, s3
	v_mul_f32_e32 v77, 0x3fb8aa3b, v77
	s_delay_alu instid0(TRANS32_DEP_2) | instskip(SKIP_1) | instid1(TRANS32_DEP_1)
	v_cndmask_b32_e64 v91, 0, v78, s2
	v_fma_f32 v80, s18, v101, -v76
	v_cndmask_b32_e64 v96, 0, v86, s5
	v_fma_f32 v86, s18, v102, -v76
	v_exp_f32_e32 v77, v77
	s_delay_alu instid0(VALU_DEP_3) | instskip(SKIP_1) | instid1(VALU_DEP_2)
	v_dual_mul_f32 v79, 0x3fb8aa3b, v79 :: v_dual_mul_f32 v80, 0x3fb8aa3b, v80
	v_exp_f32_e32 v88, v88
	v_mul_f32_e32 v86, 0x3fb8aa3b, v86
	v_cmp_gt_u32_e64 s2, 16, v75
	v_exp_f32_e32 v100, v100
	v_exp_f32_e32 v80, v80
	s_delay_alu instid0(VALU_DEP_2) | instskip(SKIP_3) | instid1(VALU_DEP_1)
	v_exp_f32_e32 v86, v86
	v_cndmask_b32_e32 v92, 0, v77, vcc_lo
	v_exp_f32_e32 v79, v79
	v_fma_f32 v77, s18, v122, -v76
	v_dual_add_f32 v78, 0, v92 :: v_dual_mul_f32 v77, 0x3fb8aa3b, v77
	s_delay_alu instid0(VALU_DEP_1)
	v_add_f32_e32 v78, v78, v91
	s_waitcnt_depctr 0xfff
	v_cndmask_b32_e64 v93, 0, v79, s4
	v_fma_f32 v79, s18, v124, -v76
	v_mul_f32_e32 v87, 0x3fb8aa3b, v87
	v_exp_f32_e32 v77, v77
	s_delay_alu instid0(VALU_DEP_2) | instskip(NEXT) | instid1(VALU_DEP_2)
	v_dual_add_f32 v78, v78, v93 :: v_dual_mul_f32 v79, 0x3fb8aa3b, v79
	v_exp_f32_e32 v87, v87
	s_delay_alu instid0(VALU_DEP_1) | instskip(NEXT) | instid1(VALU_DEP_2)
	v_add_f32_e32 v78, v78, v95
	v_exp_f32_e32 v79, v79
	s_delay_alu instid0(TRANS32_DEP_3) | instskip(NEXT) | instid1(VALU_DEP_2)
	v_cndmask_b32_e64 v97, 0, v77, s6
	v_add_f32_e32 v77, v78, v96
	v_fma_f32 v78, s18, v103, -v76
	s_waitcnt_depctr 0xfff
	v_cndmask_b32_e64 v94, 0, v87, s8
	v_fma_f32 v87, s18, v104, -v76
	v_dual_add_f32 v77, v77, v97 :: v_dual_mul_f32 v78, 0x3fb8aa3b, v78
	v_cndmask_b32_e64 v98, 0, v79, s7
	s_delay_alu instid0(VALU_DEP_2) | instskip(SKIP_4) | instid1(VALU_DEP_2)
	v_add_f32_e32 v79, v77, v94
	v_cndmask_b32_e64 v77, 0, v80, s9
	v_fma_f32 v80, s18, v106, -v76
	v_exp_f32_e32 v89, v78
	v_cndmask_b32_e64 v78, 0, v86, s10
	v_dual_add_f32 v79, v79, v98 :: v_dual_mul_f32 v80, 0x3fb8aa3b, v80
	s_delay_alu instid0(VALU_DEP_1) | instskip(NEXT) | instid1(VALU_DEP_1)
	v_dual_mul_f32 v87, 0x3fb8aa3b, v87 :: v_dual_add_f32 v86, v79, v77
	v_exp_f32_e32 v87, v87
	s_waitcnt_depctr 0xfff
	v_cndmask_b32_e64 v79, 0, v89, s11
	v_add_f32_e32 v86, v86, v78
	v_mul_f32_e32 v89, 0x3fb8aa3b, v90
	v_exp_f32_e32 v90, v80
	v_cndmask_b32_e64 v80, 0, v87, s12
	s_delay_alu instid0(VALU_DEP_3) | instskip(SKIP_1) | instid1(VALU_DEP_2)
	v_add_f32_e32 v87, v86, v79
	v_cndmask_b32_e64 v86, 0, v88, s13
	v_add_f32_e32 v88, v87, v80
	v_exp_f32_e32 v89, v89
	s_waitcnt_depctr 0xfff
	v_cndmask_b32_e64 v87, 0, v90, s15
	v_add_f32_e32 v90, v88, v86
	v_cndmask_b32_e64 v88, 0, v89, s16
	s_delay_alu instid0(VALU_DEP_2) | instskip(NEXT) | instid1(VALU_DEP_1)
	v_add_f32_e32 v89, v90, v87
	v_add_f32_e32 v90, v89, v88
	v_cndmask_b32_e64 v89, 0, v100, s17
	s_delay_alu instid0(VALU_DEP_1)
	v_add_f32_e32 v90, v90, v89
	ds_bpermute_b32 v99, v99, v90
	s_and_saveexec_b32 s3, s2
	s_cbranch_execz .LBB748_14
; %bb.13:
	v_mul_u32_u24_e32 v75, 0x44, v74
	s_waitcnt lgkmcnt(0)
	v_add_f32_e32 v90, v90, v99
	s_delay_alu instid0(VALU_DEP_2) | instskip(NEXT) | instid1(VALU_DEP_1)
	v_lshl_add_u32 v75, v73, 2, v75
	v_add_nc_u32_e32 v75, 0x4000, v75
	ds_store_2addr_b32 v75, v76, v90 offset1:136
.LBB748_14:
	s_or_b32 exec_lo, exec_lo, s3
	v_lshlrev_b32_e32 v75, 2, v73
	s_waitcnt lgkmcnt(0)
	s_barrier
	buffer_gl0_inv
	v_cmp_eq_u32_e64 s3, 1, v74
	v_add_nc_u32_e32 v90, 0x4000, v75
	ds_load_2addr_b32 v[99:100], v90 offset1:17
	ds_load_2addr_b32 v[101:102], v90 offset0:34 offset1:51
	ds_load_2addr_b32 v[103:104], v90 offset0:68 offset1:85
	ds_load_2addr_b32 v[105:106], v90 offset0:102 offset1:119
	ds_load_2addr_b32 v[107:108], v90 offset0:136 offset1:153
	s_waitcnt lgkmcnt(4)
	v_max3_f32 v75, v99, 0xff7fffff, v100
	s_waitcnt lgkmcnt(3)
	s_delay_alu instid0(VALU_DEP_1) | instskip(SKIP_1) | instid1(VALU_DEP_1)
	v_max3_f32 v75, v75, v101, v102
	s_waitcnt lgkmcnt(2)
	v_max3_f32 v75, v75, v103, v104
	s_waitcnt lgkmcnt(1)
	s_delay_alu instid0(VALU_DEP_1) | instskip(NEXT) | instid1(VALU_DEP_1)
	v_max3_f32 v75, v75, v105, v106
	v_sub_f32_e32 v109, v100, v75
	v_sub_f32_e32 v76, v99, v75
	ds_load_2addr_b32 v[99:100], v90 offset0:170 offset1:187
	v_sub_f32_e32 v101, v101, v75
	v_dual_mul_f32 v109, 0x3fb8aa3b, v109 :: v_dual_mul_f32 v76, 0x3fb8aa3b, v76
	s_delay_alu instid0(VALU_DEP_2) | instskip(NEXT) | instid1(VALU_DEP_2)
	v_mul_f32_e32 v111, 0x3fb8aa3b, v101
	v_exp_f32_e32 v109, v109
	s_delay_alu instid0(VALU_DEP_2)
	v_exp_f32_e32 v110, v76
	v_sub_f32_e32 v76, v102, v75
	ds_load_2addr_b32 v[101:102], v90 offset0:204 offset1:221
	v_exp_f32_e32 v111, v111
	v_mul_f32_e32 v112, 0x3fb8aa3b, v76
	s_waitcnt lgkmcnt(2)
	v_fma_f32 v76, v110, v107, 0
	v_sub_f32_e32 v103, v103, v75
	s_delay_alu instid0(VALU_DEP_3) | instskip(NEXT) | instid1(VALU_DEP_2)
	v_exp_f32_e32 v112, v112
	v_dual_sub_f32 v107, v104, v75 :: v_dual_fmac_f32 v76, v109, v108
	s_waitcnt lgkmcnt(1)
	s_waitcnt_depctr 0xfff
	v_fmac_f32_e32 v76, v111, v99
	v_mul_f32_e32 v113, 0x3fb8aa3b, v103
	ds_load_2addr_b32 v[103:104], v90 offset0:238 offset1:255
	v_sub_f32_e32 v90, v105, v75
	v_dual_sub_f32 v99, v106, v75 :: v_dual_fmac_f32 v76, v112, v100
	v_mul_f32_e32 v105, 0x3fb8aa3b, v107
	v_exp_f32_e32 v107, v113
	s_delay_alu instid0(VALU_DEP_2)
	v_dual_mul_f32 v90, 0x3fb8aa3b, v90 :: v_dual_mul_f32 v99, 0x3fb8aa3b, v99
	s_waitcnt lgkmcnt(0)
	s_barrier
	buffer_gl0_inv
	v_exp_f32_e32 v90, v90
	v_exp_f32_e32 v99, v99
	v_fmac_f32_e32 v76, v107, v101
	v_exp_f32_e32 v105, v105
	s_waitcnt_depctr 0xfff
	v_fmac_f32_e32 v76, v105, v102
	s_delay_alu instid0(VALU_DEP_1) | instskip(NEXT) | instid1(VALU_DEP_1)
	v_fmac_f32_e32 v76, v90, v103
	v_fmac_f32_e32 v76, v99, v104
	s_delay_alu instid0(VALU_DEP_1) | instskip(NEXT) | instid1(VALU_DEP_1)
	v_add_f32_e32 v100, 0x358637bd, v76
	v_div_scale_f32 v101, null, v100, v100, 1.0
	v_div_scale_f32 v104, vcc_lo, 1.0, v100, 1.0
	s_delay_alu instid0(VALU_DEP_2) | instskip(SKIP_2) | instid1(VALU_DEP_1)
	v_rcp_f32_e32 v102, v101
	s_waitcnt_depctr 0xfff
	v_fma_f32 v103, -v101, v102, 1.0
	v_fmac_f32_e32 v102, v103, v102
	v_cndmask_b32_e64 v103, v110, v109, s3
	v_cmp_eq_u32_e64 s3, 2, v74
	s_delay_alu instid0(VALU_DEP_3) | instskip(NEXT) | instid1(VALU_DEP_2)
	v_mul_f32_e32 v106, v104, v102
	v_cndmask_b32_e64 v103, v103, v111, s3
	v_cmp_eq_u32_e64 s3, 3, v74
	s_delay_alu instid0(VALU_DEP_3) | instskip(NEXT) | instid1(VALU_DEP_2)
	v_fma_f32 v108, -v101, v106, v104
	v_cndmask_b32_e64 v103, v103, v112, s3
	v_cmp_eq_u32_e64 s3, 4, v74
	s_delay_alu instid0(VALU_DEP_3) | instskip(NEXT) | instid1(VALU_DEP_2)
	v_fmac_f32_e32 v106, v108, v102
	v_cndmask_b32_e64 v103, v103, v107, s3
	s_delay_alu instid0(VALU_DEP_2) | instskip(SKIP_1) | instid1(VALU_DEP_2)
	v_fma_f32 v101, -v101, v106, v104
	v_cmp_eq_u32_e64 s3, 5, v74
	v_div_fmas_f32 v101, v101, v102, v106
	s_delay_alu instid0(VALU_DEP_2) | instskip(SKIP_2) | instid1(VALU_DEP_3)
	v_cndmask_b32_e64 v103, v103, v105, s3
	v_cmp_eq_u32_e32 vcc_lo, 6, v74
	s_mov_b32 s3, exec_lo
	v_div_fixup_f32 v100, v101, v100, 1.0
	s_delay_alu instid0(VALU_DEP_3) | instskip(SKIP_1) | instid1(VALU_DEP_2)
	v_cndmask_b32_e32 v90, v103, v90, vcc_lo
	v_cmp_eq_u32_e32 vcc_lo, 7, v74
	v_cndmask_b32_e32 v90, v90, v99, vcc_lo
	s_delay_alu instid0(VALU_DEP_1) | instskip(NEXT) | instid1(VALU_DEP_1)
	v_mul_f32_e32 v90, v90, v100
	v_mul_f32_e32 v100, v90, v92
	;; [unrolled: 1-line block ×6, first 2 shown]
	v_and_b32_e32 v101, 0x7f800000, v100
	v_mul_f32_e32 v99, v90, v95
	v_mul_f32_e32 v95, v90, v91
	;; [unrolled: 1-line block ×3, first 2 shown]
                                        ; implicit-def: $vgpr91
	s_delay_alu instid0(VALU_DEP_4)
	v_cmpx_ne_u32_e32 0x7f800000, v101
	s_xor_b32 s3, exec_lo, s3
; %bb.15:
	v_bfe_u32 v91, v100, 16, 1
	s_delay_alu instid0(VALU_DEP_1)
	v_add3_u32 v91, v100, v91, 0x7fff
                                        ; implicit-def: $vgpr100
; %bb.16:
	s_and_not1_saveexec_b32 s3, s3
; %bb.17:
	v_and_b32_e32 v91, 0xffff, v100
	v_or_b32_e32 v93, 0x10000, v100
	s_delay_alu instid0(VALU_DEP_2) | instskip(NEXT) | instid1(VALU_DEP_2)
	v_cmp_eq_u32_e32 vcc_lo, 0, v91
	v_cndmask_b32_e32 v91, v93, v100, vcc_lo
; %bb.18:
	s_or_b32 exec_lo, exec_lo, s3
	v_and_b32_e32 v93, 0x7f800000, v95
	s_delay_alu instid0(VALU_DEP_1) | instskip(SKIP_1) | instid1(SALU_CYCLE_1)
	v_cmp_ne_u32_e32 vcc_lo, 0x7f800000, v93
                                        ; implicit-def: $vgpr93
	s_and_saveexec_b32 s3, vcc_lo
	s_xor_b32 s3, exec_lo, s3
; %bb.19:
	v_bfe_u32 v93, v95, 16, 1
	s_delay_alu instid0(VALU_DEP_1)
	v_add3_u32 v93, v95, v93, 0x7fff
                                        ; implicit-def: $vgpr95
; %bb.20:
	s_and_not1_saveexec_b32 s3, s3
; %bb.21:
	v_and_b32_e32 v93, 0xffff, v95
	v_or_b32_e32 v100, 0x10000, v95
	s_delay_alu instid0(VALU_DEP_2) | instskip(NEXT) | instid1(VALU_DEP_2)
	v_cmp_eq_u32_e32 vcc_lo, 0, v93
	v_cndmask_b32_e32 v93, v100, v95, vcc_lo
; %bb.22:
	s_or_b32 exec_lo, exec_lo, s3
	v_and_b32_e32 v95, 0x7f800000, v96
	s_delay_alu instid0(VALU_DEP_1) | instskip(SKIP_1) | instid1(SALU_CYCLE_1)
	v_cmp_ne_u32_e32 vcc_lo, 0x7f800000, v95
                                        ; implicit-def: $vgpr95
	s_and_saveexec_b32 s3, vcc_lo
	s_xor_b32 s3, exec_lo, s3
; %bb.23:
	v_bfe_u32 v95, v96, 16, 1
	s_delay_alu instid0(VALU_DEP_1)
	v_add3_u32 v95, v96, v95, 0x7fff
                                        ; implicit-def: $vgpr96
; %bb.24:
	s_and_not1_saveexec_b32 s3, s3
; %bb.25:
	v_and_b32_e32 v95, 0xffff, v96
	v_or_b32_e32 v100, 0x10000, v96
	s_delay_alu instid0(VALU_DEP_2) | instskip(NEXT) | instid1(VALU_DEP_2)
	v_cmp_eq_u32_e32 vcc_lo, 0, v95
	v_cndmask_b32_e32 v95, v100, v96, vcc_lo
; %bb.26:
	s_or_b32 exec_lo, exec_lo, s3
	v_and_b32_e32 v96, 0x7f800000, v99
	s_delay_alu instid0(VALU_DEP_1) | instskip(SKIP_1) | instid1(SALU_CYCLE_1)
	v_cmp_ne_u32_e32 vcc_lo, 0x7f800000, v96
                                        ; implicit-def: $vgpr96
	s_and_saveexec_b32 s3, vcc_lo
	s_xor_b32 s3, exec_lo, s3
; %bb.27:
	v_bfe_u32 v96, v99, 16, 1
	s_delay_alu instid0(VALU_DEP_1)
	v_add3_u32 v96, v99, v96, 0x7fff
                                        ; implicit-def: $vgpr99
; %bb.28:
	s_and_not1_saveexec_b32 s3, s3
; %bb.29:
	v_and_b32_e32 v96, 0xffff, v99
	v_or_b32_e32 v100, 0x10000, v99
	s_delay_alu instid0(VALU_DEP_2) | instskip(NEXT) | instid1(VALU_DEP_2)
	v_cmp_eq_u32_e32 vcc_lo, 0, v96
	v_cndmask_b32_e32 v96, v100, v99, vcc_lo
; %bb.30:
	s_or_b32 exec_lo, exec_lo, s3
	v_and_b32_e32 v99, 0x7f800000, v98
	s_delay_alu instid0(VALU_DEP_1) | instskip(SKIP_1) | instid1(SALU_CYCLE_1)
	v_cmp_ne_u32_e32 vcc_lo, 0x7f800000, v99
                                        ; implicit-def: $vgpr99
	s_and_saveexec_b32 s3, vcc_lo
	s_xor_b32 s3, exec_lo, s3
; %bb.31:
	v_bfe_u32 v99, v98, 16, 1
	s_delay_alu instid0(VALU_DEP_1)
	v_add3_u32 v99, v98, v99, 0x7fff
                                        ; implicit-def: $vgpr98
; %bb.32:
	s_and_not1_saveexec_b32 s3, s3
; %bb.33:
	v_and_b32_e32 v99, 0xffff, v98
	v_or_b32_e32 v100, 0x10000, v98
	s_delay_alu instid0(VALU_DEP_2) | instskip(NEXT) | instid1(VALU_DEP_2)
	v_cmp_eq_u32_e32 vcc_lo, 0, v99
	v_cndmask_b32_e32 v99, v100, v98, vcc_lo
; %bb.34:
	s_or_b32 exec_lo, exec_lo, s3
	v_and_b32_e32 v98, 0x7f800000, v97
	s_delay_alu instid0(VALU_DEP_1) | instskip(SKIP_1) | instid1(SALU_CYCLE_1)
	v_cmp_ne_u32_e32 vcc_lo, 0x7f800000, v98
                                        ; implicit-def: $vgpr98
	s_and_saveexec_b32 s3, vcc_lo
	s_xor_b32 s3, exec_lo, s3
; %bb.35:
	v_bfe_u32 v98, v97, 16, 1
	s_delay_alu instid0(VALU_DEP_1)
	v_add3_u32 v98, v97, v98, 0x7fff
                                        ; implicit-def: $vgpr97
; %bb.36:
	s_and_not1_saveexec_b32 s3, s3
; %bb.37:
	v_and_b32_e32 v98, 0xffff, v97
	v_or_b32_e32 v100, 0x10000, v97
	s_delay_alu instid0(VALU_DEP_2) | instskip(NEXT) | instid1(VALU_DEP_2)
	v_cmp_eq_u32_e32 vcc_lo, 0, v98
	v_cndmask_b32_e32 v98, v100, v97, vcc_lo
; %bb.38:
	s_or_b32 exec_lo, exec_lo, s3
	v_and_b32_e32 v97, 0x7f800000, v94
	s_delay_alu instid0(VALU_DEP_1) | instskip(SKIP_1) | instid1(SALU_CYCLE_1)
	v_cmp_ne_u32_e32 vcc_lo, 0x7f800000, v97
                                        ; implicit-def: $vgpr97
	s_and_saveexec_b32 s3, vcc_lo
	s_xor_b32 s3, exec_lo, s3
; %bb.39:
	v_bfe_u32 v97, v94, 16, 1
	s_delay_alu instid0(VALU_DEP_1)
	v_add3_u32 v97, v94, v97, 0x7fff
                                        ; implicit-def: $vgpr94
; %bb.40:
	s_and_not1_saveexec_b32 s3, s3
; %bb.41:
	v_and_b32_e32 v97, 0xffff, v94
	v_or_b32_e32 v100, 0x10000, v94
	s_delay_alu instid0(VALU_DEP_2) | instskip(NEXT) | instid1(VALU_DEP_2)
	v_cmp_eq_u32_e32 vcc_lo, 0, v97
	v_cndmask_b32_e32 v97, v100, v94, vcc_lo
; %bb.42:
	s_or_b32 exec_lo, exec_lo, s3
	v_and_b32_e32 v94, 0x7f800000, v92
	s_delay_alu instid0(VALU_DEP_1) | instskip(SKIP_1) | instid1(SALU_CYCLE_1)
	v_cmp_ne_u32_e32 vcc_lo, 0x7f800000, v94
                                        ; implicit-def: $vgpr94
	s_and_saveexec_b32 s3, vcc_lo
	s_xor_b32 s3, exec_lo, s3
; %bb.43:
	v_bfe_u32 v94, v92, 16, 1
	s_delay_alu instid0(VALU_DEP_1)
	v_add3_u32 v94, v92, v94, 0x7fff
                                        ; implicit-def: $vgpr92
; %bb.44:
	s_and_not1_saveexec_b32 s3, s3
; %bb.45:
	v_and_b32_e32 v94, 0xffff, v92
	v_or_b32_e32 v100, 0x10000, v92
	s_delay_alu instid0(VALU_DEP_2) | instskip(NEXT) | instid1(VALU_DEP_2)
	v_cmp_eq_u32_e32 vcc_lo, 0, v94
	v_cndmask_b32_e32 v94, v100, v92, vcc_lo
; %bb.46:
	s_or_b32 exec_lo, exec_lo, s3
	s_load_b64 s[34:35], s[0:1], 0x94
	v_lshlrev_b32_e32 v92, 4, v83
	s_delay_alu instid0(VALU_DEP_2)
	v_perm_b32 v100, v94, v97, 0x7060302
	v_dual_mul_f32 v89, v90, v89 :: v_dual_lshlrev_b32 v94, 11, v74
	v_perm_b32 v97, v93, v91, 0x7060302
	v_mul_f32_e32 v93, v90, v77
	v_perm_b32 v99, v98, v99, 0x7060302
	v_perm_b32 v98, v96, v95, 0x7060302
	v_or3_b32 v77, v92, v94, v85
	v_mul_f32_e32 v88, v90, v88
	v_dual_mul_f32 v87, v90, v87 :: v_dual_and_b32 v94, 0x7f800000, v93
	v_mul_f32_e32 v86, v90, v86
	v_mul_f32_e32 v91, v90, v80
	;; [unrolled: 1-line block ×4, first 2 shown]
	s_mov_b32 s3, exec_lo
	ds_store_b128 v77, v[97:100]
                                        ; implicit-def: $vgpr78
	v_cmpx_ne_u32_e32 0x7f800000, v94
	s_xor_b32 s3, exec_lo, s3
; %bb.47:
	v_bfe_u32 v78, v93, 16, 1
	s_delay_alu instid0(VALU_DEP_1)
	v_add3_u32 v78, v93, v78, 0x7fff
                                        ; implicit-def: $vgpr93
; %bb.48:
	s_and_not1_saveexec_b32 s3, s3
; %bb.49:
	v_and_b32_e32 v78, 0xffff, v93
	v_or_b32_e32 v79, 0x10000, v93
	s_delay_alu instid0(VALU_DEP_2) | instskip(NEXT) | instid1(VALU_DEP_2)
	v_cmp_eq_u32_e32 vcc_lo, 0, v78
	v_cndmask_b32_e32 v78, v79, v93, vcc_lo
; %bb.50:
	s_or_b32 exec_lo, exec_lo, s3
	v_and_b32_e32 v79, 0x7f800000, v80
	s_delay_alu instid0(VALU_DEP_1) | instskip(SKIP_1) | instid1(SALU_CYCLE_1)
	v_cmp_ne_u32_e32 vcc_lo, 0x7f800000, v79
                                        ; implicit-def: $vgpr79
	s_and_saveexec_b32 s3, vcc_lo
	s_xor_b32 s3, exec_lo, s3
; %bb.51:
	v_bfe_u32 v79, v80, 16, 1
	s_delay_alu instid0(VALU_DEP_1)
	v_add3_u32 v79, v80, v79, 0x7fff
                                        ; implicit-def: $vgpr80
; %bb.52:
	s_and_not1_saveexec_b32 s3, s3
; %bb.53:
	v_and_b32_e32 v79, 0xffff, v80
	v_or_b32_e32 v90, 0x10000, v80
	s_delay_alu instid0(VALU_DEP_2) | instskip(NEXT) | instid1(VALU_DEP_2)
	v_cmp_eq_u32_e32 vcc_lo, 0, v79
	v_cndmask_b32_e32 v79, v90, v80, vcc_lo
; %bb.54:
	s_or_b32 exec_lo, exec_lo, s3
	v_and_b32_e32 v80, 0x7f800000, v92
	s_delay_alu instid0(VALU_DEP_1) | instskip(SKIP_1) | instid1(SALU_CYCLE_1)
	v_cmp_ne_u32_e32 vcc_lo, 0x7f800000, v80
                                        ; implicit-def: $vgpr80
	s_and_saveexec_b32 s3, vcc_lo
	s_xor_b32 s3, exec_lo, s3
; %bb.55:
	v_bfe_u32 v80, v92, 16, 1
	s_delay_alu instid0(VALU_DEP_1)
	v_add3_u32 v80, v92, v80, 0x7fff
                                        ; implicit-def: $vgpr92
; %bb.56:
	s_and_not1_saveexec_b32 s3, s3
; %bb.57:
	v_and_b32_e32 v80, 0xffff, v92
	v_or_b32_e32 v90, 0x10000, v92
	s_delay_alu instid0(VALU_DEP_2) | instskip(NEXT) | instid1(VALU_DEP_2)
	v_cmp_eq_u32_e32 vcc_lo, 0, v80
	v_cndmask_b32_e32 v80, v90, v92, vcc_lo
; %bb.58:
	s_or_b32 exec_lo, exec_lo, s3
	v_and_b32_e32 v90, 0x7f800000, v91
	s_delay_alu instid0(VALU_DEP_1) | instskip(SKIP_1) | instid1(SALU_CYCLE_1)
	v_cmp_ne_u32_e32 vcc_lo, 0x7f800000, v90
                                        ; implicit-def: $vgpr90
	s_and_saveexec_b32 s3, vcc_lo
	s_xor_b32 s3, exec_lo, s3
; %bb.59:
	v_bfe_u32 v90, v91, 16, 1
	s_delay_alu instid0(VALU_DEP_1)
	v_add3_u32 v90, v91, v90, 0x7fff
                                        ; implicit-def: $vgpr91
; %bb.60:
	s_and_not1_saveexec_b32 s3, s3
; %bb.61:
	v_and_b32_e32 v90, 0xffff, v91
	v_or_b32_e32 v92, 0x10000, v91
	s_delay_alu instid0(VALU_DEP_2) | instskip(NEXT) | instid1(VALU_DEP_2)
	v_cmp_eq_u32_e32 vcc_lo, 0, v90
	v_cndmask_b32_e32 v90, v92, v91, vcc_lo
; %bb.62:
	s_or_b32 exec_lo, exec_lo, s3
	v_and_b32_e32 v91, 0x7f800000, v86
	s_delay_alu instid0(VALU_DEP_1) | instskip(SKIP_1) | instid1(SALU_CYCLE_1)
	v_cmp_ne_u32_e32 vcc_lo, 0x7f800000, v91
                                        ; implicit-def: $vgpr91
	s_and_saveexec_b32 s3, vcc_lo
	s_xor_b32 s3, exec_lo, s3
; %bb.63:
	v_bfe_u32 v91, v86, 16, 1
	s_delay_alu instid0(VALU_DEP_1)
	v_add3_u32 v91, v86, v91, 0x7fff
                                        ; implicit-def: $vgpr86
; %bb.64:
	s_and_not1_saveexec_b32 s3, s3
; %bb.65:
	v_and_b32_e32 v91, 0xffff, v86
	v_or_b32_e32 v92, 0x10000, v86
	s_delay_alu instid0(VALU_DEP_2) | instskip(NEXT) | instid1(VALU_DEP_2)
	v_cmp_eq_u32_e32 vcc_lo, 0, v91
	v_cndmask_b32_e32 v91, v92, v86, vcc_lo
; %bb.66:
	s_or_b32 exec_lo, exec_lo, s3
	v_and_b32_e32 v86, 0x7f800000, v87
	s_delay_alu instid0(VALU_DEP_1) | instskip(SKIP_1) | instid1(SALU_CYCLE_1)
	v_cmp_ne_u32_e32 vcc_lo, 0x7f800000, v86
                                        ; implicit-def: $vgpr86
	s_and_saveexec_b32 s3, vcc_lo
	s_xor_b32 s3, exec_lo, s3
; %bb.67:
	v_bfe_u32 v86, v87, 16, 1
	s_delay_alu instid0(VALU_DEP_1)
	v_add3_u32 v86, v87, v86, 0x7fff
                                        ; implicit-def: $vgpr87
; %bb.68:
	s_and_not1_saveexec_b32 s3, s3
; %bb.69:
	v_and_b32_e32 v86, 0xffff, v87
	v_or_b32_e32 v92, 0x10000, v87
	s_delay_alu instid0(VALU_DEP_2) | instskip(NEXT) | instid1(VALU_DEP_2)
	v_cmp_eq_u32_e32 vcc_lo, 0, v86
	v_cndmask_b32_e32 v86, v92, v87, vcc_lo
; %bb.70:
	s_or_b32 exec_lo, exec_lo, s3
	v_and_b32_e32 v87, 0x7f800000, v88
	s_delay_alu instid0(VALU_DEP_1) | instskip(SKIP_1) | instid1(SALU_CYCLE_1)
	v_cmp_ne_u32_e32 vcc_lo, 0x7f800000, v87
                                        ; implicit-def: $vgpr87
	s_and_saveexec_b32 s3, vcc_lo
	s_xor_b32 s3, exec_lo, s3
; %bb.71:
	v_bfe_u32 v87, v88, 16, 1
	s_delay_alu instid0(VALU_DEP_1)
	v_add3_u32 v87, v88, v87, 0x7fff
                                        ; implicit-def: $vgpr88
; %bb.72:
	s_and_not1_saveexec_b32 s3, s3
; %bb.73:
	v_and_b32_e32 v87, 0xffff, v88
	v_or_b32_e32 v92, 0x10000, v88
	s_delay_alu instid0(VALU_DEP_2) | instskip(NEXT) | instid1(VALU_DEP_2)
	v_cmp_eq_u32_e32 vcc_lo, 0, v87
	v_cndmask_b32_e32 v87, v92, v88, vcc_lo
; %bb.74:
	s_or_b32 exec_lo, exec_lo, s3
	v_and_b32_e32 v88, 0x7f800000, v89
	s_delay_alu instid0(VALU_DEP_1) | instskip(SKIP_1) | instid1(SALU_CYCLE_1)
	v_cmp_ne_u32_e32 vcc_lo, 0x7f800000, v88
                                        ; implicit-def: $vgpr88
	s_and_saveexec_b32 s3, vcc_lo
	s_xor_b32 s3, exec_lo, s3
; %bb.75:
	v_bfe_u32 v88, v89, 16, 1
	s_delay_alu instid0(VALU_DEP_1)
	v_add3_u32 v88, v89, v88, 0x7fff
                                        ; implicit-def: $vgpr89
; %bb.76:
	s_and_not1_saveexec_b32 s3, s3
; %bb.77:
	v_and_b32_e32 v88, 0xffff, v89
	v_or_b32_e32 v92, 0x10000, v89
	s_delay_alu instid0(VALU_DEP_2) | instskip(NEXT) | instid1(VALU_DEP_2)
	v_cmp_eq_u32_e32 vcc_lo, 0, v88
	v_cndmask_b32_e32 v88, v92, v89, vcc_lo
; %bb.78:
	s_or_b32 exec_lo, exec_lo, s3
	s_delay_alu instid0(VALU_DEP_1)
	v_perm_b32 v89, v88, v87, 0x7060302
	v_perm_b32 v88, v86, v91, 0x7060302
	;; [unrolled: 1-line block ×4, first 2 shown]
	v_lshl_or_b32 v90, v74, 11, v85
	ds_store_b128 v77, v[86:89] offset:1024
	s_waitcnt lgkmcnt(0)
	s_barrier
	buffer_gl0_inv
	ds_load_b128 v[91:94], v90
	ds_load_b128 v[95:98], v90 offset:16
	v_lshlrev_b32_e32 v87, 2, v83
	s_delay_alu instid0(VALU_DEP_1)
	v_or_b32_e32 v88, 1, v87
	v_cmp_eq_u32_e32 vcc_lo, 1, v87
	v_cmp_eq_u32_e64 s4, 2, v87
	v_cmp_eq_u32_e64 s7, 3, v87
	v_cmp_eq_u32_e64 s9, 4, v87
	v_cmp_eq_u32_e64 s3, 1, v88
	v_cmp_eq_u32_e64 s6, 2, v88
	v_cmp_eq_u32_e64 s8, 3, v88
	v_or_b32_e32 v86, 2, v87
	v_cmp_eq_u32_e64 s10, 5, v87
	v_cmp_eq_u32_e64 s11, 4, v88
	;; [unrolled: 1-line block ×4, first 2 shown]
	s_waitcnt lgkmcnt(1)
	v_lshrrev_b32_e32 v74, 16, v91
	s_waitcnt lgkmcnt(0)
	v_lshrrev_b32_e32 v103, 16, v95
	v_lshrrev_b32_e32 v80, 16, v94
	;; [unrolled: 1-line block ×4, first 2 shown]
	v_cndmask_b32_e32 v89, v91, v74, vcc_lo
	v_cndmask_b32_e32 v99, v95, v103, vcc_lo
	v_cndmask_b32_e64 v100, v91, v74, s3
	v_lshrrev_b32_e32 v79, 16, v93
	v_lshrrev_b32_e32 v108, 16, v97
	v_cndmask_b32_e64 v89, v89, v92, s4
	v_cndmask_b32_e64 v99, v99, v96, s4
	;; [unrolled: 1-line block ×4, first 2 shown]
	v_cmp_eq_u32_e64 s5, 1, v86
	v_cndmask_b32_e64 v89, v89, v78, s7
	v_cndmask_b32_e64 v99, v99, v107, s7
	;; [unrolled: 1-line block ×4, first 2 shown]
	v_lshrrev_b32_e32 v109, 16, v98
	v_cndmask_b32_e64 v89, v89, v93, s9
	v_cndmask_b32_e64 v99, v99, v97, s9
	;; [unrolled: 1-line block ×8, first 2 shown]
	v_cmp_eq_u32_e64 s15, 7, v87
	v_cmp_eq_u32_e64 s16, 6, v88
	v_cndmask_b32_e64 v89, v89, v94, s12
	v_cndmask_b32_e64 v99, v99, v98, s12
	v_cmp_eq_u32_e64 s17, 2, v86
	v_cndmask_b32_e64 v101, v101, v97, s11
	v_cndmask_b32_e64 v100, v100, v94, s16
	;; [unrolled: 1-line block ×6, first 2 shown]
	v_cmp_eq_u32_e64 s18, 7, v88
	v_cmp_eq_u32_e64 s19, 3, v86
	;; [unrolled: 1-line block ×4, first 2 shown]
	v_cndmask_b32_e64 v99, v99, v96, s17
	v_cndmask_b32_e64 v112, v100, v80, s18
	;; [unrolled: 1-line block ×4, first 2 shown]
	v_or_b32_e32 v89, 3, v87
	v_cndmask_b32_e64 v105, v99, v107, s19
	v_cmp_eq_u32_e64 s24, 6, v86
	v_cndmask_b32_e64 v113, v100, v98, s16
	v_cndmask_b32_e64 v104, v101, v93, s20
	ds_load_b128 v[99:102], v90 offset:1024
	v_cmp_eq_u32_e64 s21, 1, v89
	v_cmp_eq_u32_e64 s23, 2, v89
	;; [unrolled: 1-line block ×3, first 2 shown]
	v_cndmask_b32_e64 v114, v104, v79, s22
	v_cmp_eq_u32_e64 s26, 4, v89
	v_cndmask_b32_e64 v74, v91, v74, s21
	v_cndmask_b32_e64 v91, v105, v97, s20
	;; [unrolled: 1-line block ×3, first 2 shown]
	ds_load_b128 v[103:106], v90 offset:1040
	v_cmp_eq_u32_e64 s28, 5, v89
	v_cndmask_b32_e64 v74, v74, v92, s23
	v_cndmask_b32_e64 v91, v91, v108, s22
	;; [unrolled: 1-line block ×3, first 2 shown]
	v_cmp_eq_u32_e64 s29, 6, v89
	v_cndmask_b32_e64 v95, v113, v109, s18
	v_cndmask_b32_e64 v74, v74, v78, s25
	;; [unrolled: 1-line block ×5, first 2 shown]
	s_waitcnt lgkmcnt(1)
	v_lshrrev_b32_e32 v96, 16, v99
	v_cndmask_b32_e64 v74, v74, v93, s26
	v_lshrrev_b32_e32 v107, 16, v100
	v_cndmask_b32_e64 v92, v92, v97, s26
	v_cmp_eq_u32_e64 s27, 7, v86
	v_cndmask_b32_e32 v93, v99, v96, vcc_lo
	v_cndmask_b32_e64 v74, v74, v79, s28
	s_delay_alu instid0(VALU_DEP_4)
	v_cndmask_b32_e64 v79, v92, v108, s28
	s_waitcnt lgkmcnt(0)
	v_lshrrev_b32_e32 v97, 16, v103
	v_cndmask_b32_e64 v92, v93, v100, s4
	v_cndmask_b32_e64 v93, v99, v96, s3
	;; [unrolled: 1-line block ×4, first 2 shown]
	v_cndmask_b32_e32 v108, v103, v97, vcc_lo
	v_cndmask_b32_e64 v92, v92, v107, s7
	v_cndmask_b32_e64 v93, v93, v100, s6
	v_lshrrev_b32_e32 v98, 16, v104
	v_cmp_eq_u32_e32 vcc_lo, 7, v89
	v_cndmask_b32_e64 v94, v108, v104, s4
	v_cndmask_b32_e64 v92, v92, v101, s9
	v_lshrrev_b32_e32 v108, 16, v101
	v_cndmask_b32_e64 v93, v93, v107, s8
	v_cndmask_b32_e32 v74, v74, v80, vcc_lo
	v_cndmask_b32_e64 v94, v94, v98, s7
	v_cndmask_b32_e32 v79, v79, v109, vcc_lo
	v_cndmask_b32_e64 v92, v92, v108, s10
	v_cndmask_b32_e64 v78, v78, v80, s27
	;; [unrolled: 1-line block ×4, first 2 shown]
	v_perm_b32 v94, v79, v74, 0x5040100
	v_cndmask_b32_e64 v79, v92, v102, s12
	v_perm_b32 v92, v95, v112, 0x5040100
	v_cndmask_b32_e64 v95, v99, v96, s5
	v_cndmask_b32_e64 v96, v99, v96, s21
	;; [unrolled: 1-line block ×16, first 2 shown]
	v_lshrrev_b32_e32 v109, 16, v105
	v_cndmask_b32_e64 v95, v95, v101, s20
	v_cndmask_b32_e64 v96, v96, v101, s26
	;; [unrolled: 1-line block ×6, first 2 shown]
	v_lshrrev_b32_e32 v80, 16, v102
	v_cndmask_b32_e64 v113, v93, v109, s10
	v_cndmask_b32_e64 v95, v95, v108, s22
	;; [unrolled: 1-line block ×6, first 2 shown]
	v_perm_b32 v93, v91, v78, 0x5040100
	v_cndmask_b32_e64 v74, v74, v102, s16
	v_cndmask_b32_e64 v78, v79, v80, s15
	;; [unrolled: 1-line block ×3, first 2 shown]
	v_lshrrev_b32_e32 v91, 16, v106
	v_cndmask_b32_e64 v95, v95, v102, s24
	v_cndmask_b32_e64 v96, v96, v102, s29
	;; [unrolled: 1-line block ×7, first 2 shown]
	v_cndmask_b32_e32 v80, v96, v80, vcc_lo
	v_cndmask_b32_e32 v96, v98, v91, vcc_lo
	v_cndmask_b32_e64 v99, v99, v91, s27
	v_cndmask_b32_e64 v100, v97, v91, s18
	;; [unrolled: 1-line block ×3, first 2 shown]
	v_perm_b32 v91, v111, v110, 0x5040100
	v_perm_b32 v98, v96, v80, 0x5040100
	;; [unrolled: 1-line block ×5, first 2 shown]
	s_mul_i32 s8, s35, 3
	s_mov_b32 s3, exec_lo
	ds_store_b128 v77, v[91:94]
	ds_store_b128 v77, v[95:98] offset:1024
	v_cmpx_gt_u32_e32 3, v0
	s_cbranch_execz .LBB748_80
; %bb.79:
	s_mul_i32 s4, s8, s30
	s_delay_alu instid0(SALU_CYCLE_1) | instskip(SKIP_1) | instid1(VALU_DEP_1)
	v_add3_u32 v77, s4, s31, v73
	s_load_b128 s[4:7], s[0:1], 0x58
	v_mad_u64_u32 v[73:74], null, v77, s34, s[14:15]
	s_delay_alu instid0(VALU_DEP_1) | instskip(NEXT) | instid1(VALU_DEP_1)
	v_ashrrev_i32_e32 v74, 31, v73
	v_lshlrev_b64 v[73:74], 2, v[73:74]
	s_waitcnt lgkmcnt(0)
	s_delay_alu instid0(VALU_DEP_1) | instskip(NEXT) | instid1(VALU_DEP_2)
	v_add_co_u32 v77, vcc_lo, s6, v73
	v_add_co_ci_u32_e32 v78, vcc_lo, s7, v74, vcc_lo
	v_add_co_u32 v73, vcc_lo, s4, v73
	v_add_co_ci_u32_e32 v74, vcc_lo, s5, v74, vcc_lo
	global_store_b32 v[77:78], v75, off
	global_store_b32 v[73:74], v76, off
.LBB748_80:
	s_or_b32 exec_lo, exec_lo, s3
	s_waitcnt lgkmcnt(0)
	s_waitcnt_vscnt null, 0x0
	s_barrier
	buffer_gl0_inv
	ds_load_b128 v[91:94], v85
	ds_load_b128 v[95:98], v85 offset:16
	ds_load_b128 v[103:106], v85 offset:1040
	;; [unrolled: 1-line block ×3, first 2 shown]
	v_mov_b32_e32 v73, 0
	ds_load_b128 v[111:114], v85 offset:2064
	ds_load_b128 v[107:110], v85 offset:2048
	;; [unrolled: 1-line block ×6, first 2 shown]
	v_mov_b32_e32 v74, v73
	v_mov_b32_e32 v75, v73
	;; [unrolled: 1-line block ×7, first 2 shown]
	s_waitcnt lgkmcnt(8)
	s_delay_alu instid0(VALU_DEP_1)
	v_wmma_f32_16x16x16_bf16 v[73:80], v[65:72], v[91:98], v[73:80]
	ds_load_b128 v[69:72], v85 offset:5136
	ds_load_b128 v[65:68], v85 offset:5120
	ds_load_b128 v[95:98], v85 offset:6160
	ds_load_b128 v[91:94], v85 offset:6144
	s_waitcnt lgkmcnt(10)
	v_wmma_f32_16x16x16_bf16 v[73:80], v[57:64], v[99:106], v[73:80]
	s_waitcnt lgkmcnt(8)
	s_delay_alu instid0(VALU_DEP_1)
	v_wmma_f32_16x16x16_bf16 v[73:80], v[57:64], v[107:114], v[73:80]
	ds_load_b128 v[61:64], v85 offset:7184
	ds_load_b128 v[57:60], v85 offset:7168
	;; [unrolled: 1-line block ×4, first 2 shown]
	s_waitcnt lgkmcnt(10)
	v_wmma_f32_16x16x16_bf16 v[73:80], v[49:56], v[115:122], v[73:80]
	s_waitcnt lgkmcnt(8)
	s_delay_alu instid0(VALU_DEP_1)
	v_wmma_f32_16x16x16_bf16 v[73:80], v[49:56], v[123:130], v[73:80]
	ds_load_b128 v[53:56], v85 offset:9232
	ds_load_b128 v[49:52], v85 offset:9216
	s_waitcnt lgkmcnt(8)
	v_wmma_f32_16x16x16_bf16 v[73:80], v[41:48], v[65:72], v[73:80]
	ds_load_b128 v[69:72], v85 offset:10256
	ds_load_b128 v[65:68], v85 offset:10240
	s_waitcnt lgkmcnt(8)
	;; [unrolled: 4-line block ×3, first 2 shown]
	v_wmma_f32_16x16x16_bf16 v[73:80], v[9:16], v[57:64], v[73:80]
	s_waitcnt lgkmcnt(6)
	s_delay_alu instid0(VALU_DEP_1)
	v_wmma_f32_16x16x16_bf16 v[73:80], v[9:16], v[99:106], v[73:80]
	ds_load_b128 v[13:16], v85 offset:12304
	ds_load_b128 v[9:12], v85 offset:12288
	s_waitcnt lgkmcnt(6)
	v_wmma_f32_16x16x16_bf16 v[73:80], v[1:8], v[49:56], v[73:80]
	ds_load_b128 v[53:56], v85 offset:13328
	ds_load_b128 v[49:52], v85 offset:13312
	s_waitcnt lgkmcnt(6)
	;; [unrolled: 4-line block ×4, first 2 shown]
	v_wmma_f32_16x16x16_bf16 v[73:80], v[33:40], v[9:16], v[73:80]
	s_waitcnt lgkmcnt(4)
	s_delay_alu instid0(VALU_DEP_1) | instskip(SKIP_1) | instid1(VALU_DEP_1)
	v_wmma_f32_16x16x16_bf16 v[73:80], v[25:32], v[49:56], v[73:80]
	s_waitcnt lgkmcnt(2)
	v_wmma_f32_16x16x16_bf16 v[73:80], v[25:32], v[1:8], v[73:80]
	s_waitcnt lgkmcnt(0)
	s_delay_alu instid0(VALU_DEP_1) | instskip(NEXT) | instid1(VALU_DEP_1)
	v_wmma_f32_16x16x16_bf16 v[73:80], v[17:24], v[41:48], v[73:80]
	v_and_b32_e32 v1, 0x7f800000, v73
	s_delay_alu instid0(VALU_DEP_1) | instskip(SKIP_1) | instid1(SALU_CYCLE_1)
	v_cmp_ne_u32_e32 vcc_lo, 0x7f800000, v1
                                        ; implicit-def: $vgpr1
	s_and_saveexec_b32 s3, vcc_lo
	s_xor_b32 s3, exec_lo, s3
; %bb.81:
	v_bfe_u32 v1, v73, 16, 1
	s_delay_alu instid0(VALU_DEP_1)
	v_add3_u32 v1, v73, v1, 0x7fff
; %bb.82:
	s_and_not1_saveexec_b32 s3, s3
; %bb.83:
	v_and_b32_e32 v1, 0xffff, v73
	v_or_b32_e32 v2, 0x10000, v73
	s_delay_alu instid0(VALU_DEP_2) | instskip(NEXT) | instid1(VALU_DEP_2)
	v_cmp_eq_u32_e32 vcc_lo, 0, v1
	v_cndmask_b32_e32 v1, v2, v73, vcc_lo
; %bb.84:
	s_or_b32 exec_lo, exec_lo, s3
	v_and_b32_e32 v2, 0x7f800000, v74
	s_delay_alu instid0(VALU_DEP_1) | instskip(SKIP_1) | instid1(SALU_CYCLE_1)
	v_cmp_ne_u32_e32 vcc_lo, 0x7f800000, v2
                                        ; implicit-def: $vgpr2
	s_and_saveexec_b32 s3, vcc_lo
	s_xor_b32 s3, exec_lo, s3
; %bb.85:
	v_bfe_u32 v2, v74, 16, 1
	s_delay_alu instid0(VALU_DEP_1)
	v_add3_u32 v2, v74, v2, 0x7fff
; %bb.86:
	s_and_not1_saveexec_b32 s3, s3
; %bb.87:
	v_and_b32_e32 v2, 0xffff, v74
	v_or_b32_e32 v3, 0x10000, v74
	s_delay_alu instid0(VALU_DEP_2) | instskip(NEXT) | instid1(VALU_DEP_2)
	v_cmp_eq_u32_e32 vcc_lo, 0, v2
	v_cndmask_b32_e32 v2, v3, v74, vcc_lo
; %bb.88:
	s_or_b32 exec_lo, exec_lo, s3
	v_and_b32_e32 v3, 0x7f800000, v75
	s_delay_alu instid0(VALU_DEP_1) | instskip(SKIP_1) | instid1(SALU_CYCLE_1)
	v_cmp_ne_u32_e32 vcc_lo, 0x7f800000, v3
                                        ; implicit-def: $vgpr3
	s_and_saveexec_b32 s3, vcc_lo
	s_xor_b32 s3, exec_lo, s3
; %bb.89:
	v_bfe_u32 v3, v75, 16, 1
	s_delay_alu instid0(VALU_DEP_1)
	v_add3_u32 v3, v75, v3, 0x7fff
; %bb.90:
	s_and_not1_saveexec_b32 s3, s3
; %bb.91:
	v_and_b32_e32 v3, 0xffff, v75
	v_or_b32_e32 v4, 0x10000, v75
	s_delay_alu instid0(VALU_DEP_2) | instskip(NEXT) | instid1(VALU_DEP_2)
	v_cmp_eq_u32_e32 vcc_lo, 0, v3
	v_cndmask_b32_e32 v3, v4, v75, vcc_lo
; %bb.92:
	s_or_b32 exec_lo, exec_lo, s3
	v_and_b32_e32 v4, 0x7f800000, v76
	s_delay_alu instid0(VALU_DEP_1) | instskip(SKIP_1) | instid1(SALU_CYCLE_1)
	v_cmp_ne_u32_e32 vcc_lo, 0x7f800000, v4
                                        ; implicit-def: $vgpr4
	s_and_saveexec_b32 s3, vcc_lo
	s_xor_b32 s3, exec_lo, s3
; %bb.93:
	v_bfe_u32 v4, v76, 16, 1
	s_delay_alu instid0(VALU_DEP_1)
	v_add3_u32 v4, v76, v4, 0x7fff
; %bb.94:
	s_and_not1_saveexec_b32 s3, s3
; %bb.95:
	v_and_b32_e32 v4, 0xffff, v76
	v_or_b32_e32 v5, 0x10000, v76
	s_delay_alu instid0(VALU_DEP_2) | instskip(NEXT) | instid1(VALU_DEP_2)
	v_cmp_eq_u32_e32 vcc_lo, 0, v4
	v_cndmask_b32_e32 v4, v5, v76, vcc_lo
; %bb.96:
	s_or_b32 exec_lo, exec_lo, s3
	v_and_b32_e32 v5, 0x7f800000, v77
	s_delay_alu instid0(VALU_DEP_1) | instskip(SKIP_1) | instid1(SALU_CYCLE_1)
	v_cmp_ne_u32_e32 vcc_lo, 0x7f800000, v5
                                        ; implicit-def: $vgpr5
	s_and_saveexec_b32 s3, vcc_lo
	s_xor_b32 s3, exec_lo, s3
; %bb.97:
	v_bfe_u32 v5, v77, 16, 1
	s_delay_alu instid0(VALU_DEP_1)
	v_add3_u32 v5, v77, v5, 0x7fff
; %bb.98:
	s_and_not1_saveexec_b32 s3, s3
; %bb.99:
	v_and_b32_e32 v5, 0xffff, v77
	v_or_b32_e32 v6, 0x10000, v77
	s_delay_alu instid0(VALU_DEP_2) | instskip(NEXT) | instid1(VALU_DEP_2)
	v_cmp_eq_u32_e32 vcc_lo, 0, v5
	v_cndmask_b32_e32 v5, v6, v77, vcc_lo
; %bb.100:
	s_or_b32 exec_lo, exec_lo, s3
	v_and_b32_e32 v6, 0x7f800000, v78
	s_delay_alu instid0(VALU_DEP_1) | instskip(SKIP_1) | instid1(SALU_CYCLE_1)
	v_cmp_ne_u32_e32 vcc_lo, 0x7f800000, v6
                                        ; implicit-def: $vgpr6
	s_and_saveexec_b32 s3, vcc_lo
	s_xor_b32 s3, exec_lo, s3
; %bb.101:
	v_bfe_u32 v6, v78, 16, 1
	s_delay_alu instid0(VALU_DEP_1)
	v_add3_u32 v6, v78, v6, 0x7fff
; %bb.102:
	s_and_not1_saveexec_b32 s3, s3
; %bb.103:
	v_and_b32_e32 v6, 0xffff, v78
	v_or_b32_e32 v7, 0x10000, v78
	s_delay_alu instid0(VALU_DEP_2) | instskip(NEXT) | instid1(VALU_DEP_2)
	v_cmp_eq_u32_e32 vcc_lo, 0, v6
	v_cndmask_b32_e32 v6, v7, v78, vcc_lo
; %bb.104:
	s_or_b32 exec_lo, exec_lo, s3
	v_and_b32_e32 v7, 0x7f800000, v79
	s_delay_alu instid0(VALU_DEP_1) | instskip(SKIP_1) | instid1(SALU_CYCLE_1)
	v_cmp_ne_u32_e32 vcc_lo, 0x7f800000, v7
                                        ; implicit-def: $vgpr7
	s_and_saveexec_b32 s3, vcc_lo
	s_xor_b32 s3, exec_lo, s3
; %bb.105:
	v_bfe_u32 v7, v79, 16, 1
	s_delay_alu instid0(VALU_DEP_1)
	v_add3_u32 v7, v79, v7, 0x7fff
; %bb.106:
	s_and_not1_saveexec_b32 s3, s3
; %bb.107:
	v_and_b32_e32 v7, 0xffff, v79
	v_or_b32_e32 v8, 0x10000, v79
	s_delay_alu instid0(VALU_DEP_2) | instskip(NEXT) | instid1(VALU_DEP_2)
	v_cmp_eq_u32_e32 vcc_lo, 0, v7
	v_cndmask_b32_e32 v7, v8, v79, vcc_lo
; %bb.108:
	s_or_b32 exec_lo, exec_lo, s3
	v_and_b32_e32 v8, 0x7f800000, v80
	s_delay_alu instid0(VALU_DEP_1) | instskip(SKIP_1) | instid1(SALU_CYCLE_1)
	v_cmp_ne_u32_e32 vcc_lo, 0x7f800000, v8
                                        ; implicit-def: $vgpr8
	s_and_saveexec_b32 s3, vcc_lo
	s_xor_b32 s3, exec_lo, s3
; %bb.109:
	v_bfe_u32 v8, v80, 16, 1
	s_delay_alu instid0(VALU_DEP_1)
	v_add3_u32 v8, v80, v8, 0x7fff
                                        ; implicit-def: $vgpr73_vgpr74_vgpr75_vgpr76_vgpr77_vgpr78_vgpr79_vgpr80
; %bb.110:
	s_and_not1_saveexec_b32 s3, s3
; %bb.111:
	v_and_b32_e32 v8, 0xffff, v80
	v_or_b32_e32 v9, 0x10000, v80
	s_delay_alu instid0(VALU_DEP_2) | instskip(NEXT) | instid1(VALU_DEP_2)
	v_cmp_eq_u32_e32 vcc_lo, 0, v8
	v_cndmask_b32_e32 v8, v9, v80, vcc_lo
; %bb.112:
	s_or_b32 exec_lo, exec_lo, s3
	s_delay_alu instid0(VALU_DEP_1)
	v_perm_b32 v7, v8, v7, 0x7060302
	v_perm_b32 v6, v6, v5, 0x7060302
	;; [unrolled: 1-line block ×4, first 2 shown]
	v_lshl_or_b32 v9, v83, 4, v90
	s_barrier
	buffer_gl0_inv
	v_cmp_eq_u32_e32 vcc_lo, 1, v87
	ds_store_b128 v9, v[4:7]
	s_waitcnt lgkmcnt(0)
	s_barrier
	buffer_gl0_inv
	ds_load_b128 v[1:4], v90
	ds_load_b128 v[5:8], v90 offset:16
	v_cmp_eq_u32_e64 s4, 2, v87
	v_cmp_eq_u32_e64 s3, 1, v88
	;; [unrolled: 1-line block ×5, first 2 shown]
	s_waitcnt lgkmcnt(1)
	v_lshrrev_b32_e32 v10, 16, v1
	s_waitcnt lgkmcnt(0)
	v_lshrrev_b32_e32 v14, 16, v5
	v_lshrrev_b32_e32 v15, 16, v6
	;; [unrolled: 1-line block ×4, first 2 shown]
	v_cndmask_b32_e64 v20, v1, v10, s3
	v_cndmask_b32_e32 v19, v5, v14, vcc_lo
	v_cndmask_b32_e64 v21, v5, v14, s3
	v_lshrrev_b32_e32 v16, 16, v7
	v_cmp_eq_u32_e64 s3, 1, v86
	v_lshrrev_b32_e32 v13, 16, v4
	v_cndmask_b32_e64 v19, v19, v6, s4
	v_lshrrev_b32_e32 v17, 16, v8
	s_delay_alu instid0(VALU_DEP_4) | instskip(SKIP_1) | instid1(VALU_DEP_4)
	v_cndmask_b32_e64 v22, v1, v10, s3
	v_cndmask_b32_e64 v23, v5, v14, s3
	;; [unrolled: 1-line block ×3, first 2 shown]
	v_cndmask_b32_e32 v18, v1, v10, vcc_lo
	v_cmp_eq_u32_e32 vcc_lo, 2, v88
	v_cmp_eq_u32_e64 s3, 2, v89
	v_cndmask_b32_e64 v22, v22, v2, s7
	v_cndmask_b32_e32 v20, v20, v2, vcc_lo
	v_cndmask_b32_e32 v21, v21, v6, vcc_lo
	v_cmp_eq_u32_e32 vcc_lo, 4, v87
	v_cndmask_b32_e32 v19, v19, v7, vcc_lo
	v_cndmask_b32_e64 v18, v18, v2, s4
	v_cmp_eq_u32_e64 s4, 3, v88
	s_delay_alu instid0(VALU_DEP_2) | instskip(NEXT) | instid1(VALU_DEP_2)
	v_cndmask_b32_e64 v18, v18, v11, s5
	v_cndmask_b32_e64 v21, v21, v15, s4
	v_cmp_eq_u32_e64 s5, 5, v87
	s_delay_alu instid0(VALU_DEP_3) | instskip(SKIP_1) | instid1(VALU_DEP_3)
	v_cndmask_b32_e32 v18, v18, v3, vcc_lo
	v_cmp_eq_u32_e32 vcc_lo, 4, v88
	v_cndmask_b32_e64 v19, v19, v16, s5
	s_delay_alu instid0(VALU_DEP_3) | instskip(SKIP_4) | instid1(VALU_DEP_3)
	v_cndmask_b32_e64 v18, v18, v12, s5
	v_cndmask_b32_e32 v21, v21, v7, vcc_lo
	v_cndmask_b32_e64 v20, v20, v11, s4
	v_cmp_eq_u32_e64 s4, 5, v88
	v_cmp_eq_u32_e64 s5, 6, v87
	v_cndmask_b32_e32 v20, v20, v3, vcc_lo
	s_delay_alu instid0(VALU_DEP_3) | instskip(SKIP_1) | instid1(VALU_DEP_4)
	v_cndmask_b32_e64 v21, v21, v16, s4
	v_cmp_eq_u32_e32 vcc_lo, 6, v88
	v_cndmask_b32_e64 v18, v18, v4, s5
	v_cndmask_b32_e64 v19, v19, v8, s5
	;; [unrolled: 1-line block ×3, first 2 shown]
	v_cmp_eq_u32_e64 s4, 1, v89
	v_cmp_eq_u32_e64 s5, 7, v87
	s_delay_alu instid0(VALU_DEP_3) | instskip(NEXT) | instid1(VALU_DEP_3)
	v_cndmask_b32_e32 v20, v20, v4, vcc_lo
	v_cndmask_b32_e64 v1, v1, v10, s4
	v_cndmask_b32_e64 v5, v5, v14, s4
	v_cmp_eq_u32_e64 s4, 3, v86
	v_cndmask_b32_e64 v14, v23, v6, s7
	v_cmp_eq_u32_e64 s7, 3, v89
	v_cndmask_b32_e64 v1, v1, v2, s3
	v_cndmask_b32_e64 v2, v5, v6, s3
	;; [unrolled: 1-line block ×3, first 2 shown]
	v_cmp_eq_u32_e64 s3, 4, v86
	v_cndmask_b32_e64 v6, v14, v15, s4
	v_cndmask_b32_e64 v1, v1, v11, s7
	v_cmp_eq_u32_e64 s4, 4, v89
	v_cndmask_b32_e64 v2, v2, v15, s7
	v_cndmask_b32_e64 v5, v10, v3, s3
	;; [unrolled: 3-line block ×3, first 2 shown]
	v_cndmask_b32_e64 v2, v2, v7, s4
	v_cmp_eq_u32_e64 s3, 5, v89
	v_cndmask_b32_e64 v5, v5, v12, s7
	v_cmp_eq_u32_e64 s4, 6, v86
	;; [unrolled: 2-line block ×3, first 2 shown]
	v_cndmask_b32_e64 v1, v1, v12, s3
	v_cndmask_b32_e64 v2, v2, v16, s3
	;; [unrolled: 1-line block ×4, first 2 shown]
	v_cmp_eq_u32_e64 s3, 7, v89
	v_cndmask_b32_e64 v1, v1, v4, s7
	v_cndmask_b32_e64 v2, v2, v8, s7
	v_cmp_eq_u32_e64 s4, 7, v86
	v_cndmask_b32_e32 v4, v21, v8, vcc_lo
	v_cndmask_b32_e64 v18, v18, v13, s5
	v_cndmask_b32_e64 v20, v20, v13, s6
	;; [unrolled: 1-line block ×8, first 2 shown]
	s_mov_b32 s3, exec_lo
	v_perm_b32 v4, v2, v1, 0x5040100
	v_perm_b32 v3, v3, v5, 0x5040100
	;; [unrolled: 1-line block ×4, first 2 shown]
	ds_store_b128 v9, v[1:4]
	s_waitcnt lgkmcnt(0)
	s_barrier
	buffer_gl0_inv
	v_cmpx_gt_u32_e32 32, v0
	s_cbranch_execz .LBB748_2
; %bb.113:
	s_load_b64 s[4:5], s[0:1], 0x68
	v_lshlrev_b32_e32 v0, 10, v0
	v_lshlrev_b32_e32 v2, 4, v84
	v_add_nc_u32_e32 v1, s31, v83
	s_lshl_b32 s0, s34, 7
	s_delay_alu instid0(SALU_CYCLE_1) | instskip(NEXT) | instid1(VALU_DEP_2)
	s_mul_i32 s1, s0, s30
	v_and_or_b32 v0, 0x3800, v0, v2
	s_mul_i32 s6, s1, s8
	v_mul_lo_u32 v1, v1, s0
	s_ashr_i32 s7, s6, 31
	s_delay_alu instid0(VALU_DEP_2) | instskip(SKIP_1) | instid1(VALU_DEP_2)
	v_lshl_or_b32 v3, v83, 6, v0
	s_lshl_b64 s[6:7], s[6:7], 1
	v_ashrrev_i32_e32 v2, 31, v1
	ds_load_b128 v[3:6], v3
	s_waitcnt lgkmcnt(0)
	s_add_u32 s1, s4, s6
	s_addc_u32 s3, s5, s7
	s_lshl_b32 s4, s14, 7
	v_lshlrev_b64 v[7:8], 1, v[1:2]
	s_ashr_i32 s5, s4, 31
	s_delay_alu instid0(SALU_CYCLE_1) | instskip(NEXT) | instid1(SALU_CYCLE_1)
	s_lshl_b64 s[4:5], s[4:5], 1
	s_add_u32 s1, s1, s4
	s_addc_u32 s3, s3, s5
	v_add_co_u32 v1, vcc_lo, s1, v81
	v_add_co_ci_u32_e32 v2, vcc_lo, s3, v82, vcc_lo
	s_delay_alu instid0(VALU_DEP_2) | instskip(NEXT) | instid1(VALU_DEP_2)
	v_add_co_u32 v7, vcc_lo, v1, v7
	v_add_co_ci_u32_e32 v8, vcc_lo, v2, v8, vcc_lo
	global_store_b128 v[7:8], v[3:6], off
	s_and_b32 exec_lo, exec_lo, s2
	s_cbranch_execz .LBB748_2
; %bb.114:
	ds_load_b128 v[3:6], v0 offset:128
	s_add_i32 s1, s31, 2
	s_delay_alu instid0(SALU_CYCLE_1) | instskip(NEXT) | instid1(SALU_CYCLE_1)
	s_mul_i32 s0, s1, s0
	s_ashr_i32 s1, s0, 31
	s_delay_alu instid0(SALU_CYCLE_1) | instskip(NEXT) | instid1(SALU_CYCLE_1)
	s_lshl_b64 s[0:1], s[0:1], 1
	v_add_co_u32 v0, vcc_lo, v1, s0
	v_add_co_ci_u32_e32 v1, vcc_lo, s1, v2, vcc_lo
	s_waitcnt lgkmcnt(0)
	global_store_b128 v[0:1], v[3:6], off
	s_nop 0
	s_sendmsg sendmsg(MSG_DEALLOC_VGPRS)
	s_endpgm
	.section	.rodata,"a",@progbits
	.p2align	6, 0x0
	.amdhsa_kernel _Z39paged_attention_ll4mi_QKV_mfma16_kernelI14__hip_bfloat16S0_LN4vllm18Fp8KVCacheDataTypeE0ES0_Li32ELi128ELi256ELb1ELi3EL8MFMAType0EEvPKT_PKT0_S9_ifPKiSB_SB_iPKfiiiPfSE_PS4_PT2_iSD_SD_
		.amdhsa_group_segment_fixed_size 17472
		.amdhsa_private_segment_fixed_size 0
		.amdhsa_kernarg_size 400
		.amdhsa_user_sgpr_count 13
		.amdhsa_user_sgpr_dispatch_ptr 0
		.amdhsa_user_sgpr_queue_ptr 0
		.amdhsa_user_sgpr_kernarg_segment_ptr 1
		.amdhsa_user_sgpr_dispatch_id 0
		.amdhsa_user_sgpr_private_segment_size 0
		.amdhsa_wavefront_size32 1
		.amdhsa_uses_dynamic_stack 0
		.amdhsa_enable_private_segment 0
		.amdhsa_system_sgpr_workgroup_id_x 1
		.amdhsa_system_sgpr_workgroup_id_y 1
		.amdhsa_system_sgpr_workgroup_id_z 1
		.amdhsa_system_sgpr_workgroup_info 0
		.amdhsa_system_vgpr_workitem_id 0
		.amdhsa_next_free_vgpr 157
		.amdhsa_next_free_sgpr 37
		.amdhsa_reserve_vcc 1
		.amdhsa_float_round_mode_32 0
		.amdhsa_float_round_mode_16_64 0
		.amdhsa_float_denorm_mode_32 3
		.amdhsa_float_denorm_mode_16_64 3
		.amdhsa_dx10_clamp 1
		.amdhsa_ieee_mode 1
		.amdhsa_fp16_overflow 0
		.amdhsa_workgroup_processor_mode 1
		.amdhsa_memory_ordered 1
		.amdhsa_forward_progress 0
		.amdhsa_shared_vgpr_count 0
		.amdhsa_exception_fp_ieee_invalid_op 0
		.amdhsa_exception_fp_denorm_src 0
		.amdhsa_exception_fp_ieee_div_zero 0
		.amdhsa_exception_fp_ieee_overflow 0
		.amdhsa_exception_fp_ieee_underflow 0
		.amdhsa_exception_fp_ieee_inexact 0
		.amdhsa_exception_int_div_zero 0
	.end_amdhsa_kernel
	.section	.text._Z39paged_attention_ll4mi_QKV_mfma16_kernelI14__hip_bfloat16S0_LN4vllm18Fp8KVCacheDataTypeE0ES0_Li32ELi128ELi256ELb1ELi3EL8MFMAType0EEvPKT_PKT0_S9_ifPKiSB_SB_iPKfiiiPfSE_PS4_PT2_iSD_SD_,"axG",@progbits,_Z39paged_attention_ll4mi_QKV_mfma16_kernelI14__hip_bfloat16S0_LN4vllm18Fp8KVCacheDataTypeE0ES0_Li32ELi128ELi256ELb1ELi3EL8MFMAType0EEvPKT_PKT0_S9_ifPKiSB_SB_iPKfiiiPfSE_PS4_PT2_iSD_SD_,comdat
.Lfunc_end748:
	.size	_Z39paged_attention_ll4mi_QKV_mfma16_kernelI14__hip_bfloat16S0_LN4vllm18Fp8KVCacheDataTypeE0ES0_Li32ELi128ELi256ELb1ELi3EL8MFMAType0EEvPKT_PKT0_S9_ifPKiSB_SB_iPKfiiiPfSE_PS4_PT2_iSD_SD_, .Lfunc_end748-_Z39paged_attention_ll4mi_QKV_mfma16_kernelI14__hip_bfloat16S0_LN4vllm18Fp8KVCacheDataTypeE0ES0_Li32ELi128ELi256ELb1ELi3EL8MFMAType0EEvPKT_PKT0_S9_ifPKiSB_SB_iPKfiiiPfSE_PS4_PT2_iSD_SD_
                                        ; -- End function
	.section	.AMDGPU.csdata,"",@progbits
; Kernel info:
; codeLenInByte = 9664
; NumSgprs: 39
; NumVgprs: 157
; ScratchSize: 0
; MemoryBound: 0
; FloatMode: 240
; IeeeMode: 1
; LDSByteSize: 17472 bytes/workgroup (compile time only)
; SGPRBlocks: 4
; VGPRBlocks: 19
; NumSGPRsForWavesPerEU: 39
; NumVGPRsForWavesPerEU: 157
; Occupancy: 9
; WaveLimiterHint : 1
; COMPUTE_PGM_RSRC2:SCRATCH_EN: 0
; COMPUTE_PGM_RSRC2:USER_SGPR: 13
; COMPUTE_PGM_RSRC2:TRAP_HANDLER: 0
; COMPUTE_PGM_RSRC2:TGID_X_EN: 1
; COMPUTE_PGM_RSRC2:TGID_Y_EN: 1
; COMPUTE_PGM_RSRC2:TGID_Z_EN: 1
; COMPUTE_PGM_RSRC2:TIDIG_COMP_CNT: 0
	.section	.text._Z39paged_attention_ll4mi_QKV_mfma16_kernelI14__hip_bfloat16S0_LN4vllm18Fp8KVCacheDataTypeE0ES0_Li32ELi128ELi256ELb1ELi4EL8MFMAType0EEvPKT_PKT0_S9_ifPKiSB_SB_iPKfiiiPfSE_PS4_PT2_iSD_SD_,"axG",@progbits,_Z39paged_attention_ll4mi_QKV_mfma16_kernelI14__hip_bfloat16S0_LN4vllm18Fp8KVCacheDataTypeE0ES0_Li32ELi128ELi256ELb1ELi4EL8MFMAType0EEvPKT_PKT0_S9_ifPKiSB_SB_iPKfiiiPfSE_PS4_PT2_iSD_SD_,comdat
	.protected	_Z39paged_attention_ll4mi_QKV_mfma16_kernelI14__hip_bfloat16S0_LN4vllm18Fp8KVCacheDataTypeE0ES0_Li32ELi128ELi256ELb1ELi4EL8MFMAType0EEvPKT_PKT0_S9_ifPKiSB_SB_iPKfiiiPfSE_PS4_PT2_iSD_SD_ ; -- Begin function _Z39paged_attention_ll4mi_QKV_mfma16_kernelI14__hip_bfloat16S0_LN4vllm18Fp8KVCacheDataTypeE0ES0_Li32ELi128ELi256ELb1ELi4EL8MFMAType0EEvPKT_PKT0_S9_ifPKiSB_SB_iPKfiiiPfSE_PS4_PT2_iSD_SD_
	.globl	_Z39paged_attention_ll4mi_QKV_mfma16_kernelI14__hip_bfloat16S0_LN4vllm18Fp8KVCacheDataTypeE0ES0_Li32ELi128ELi256ELb1ELi4EL8MFMAType0EEvPKT_PKT0_S9_ifPKiSB_SB_iPKfiiiPfSE_PS4_PT2_iSD_SD_
	.p2align	8
	.type	_Z39paged_attention_ll4mi_QKV_mfma16_kernelI14__hip_bfloat16S0_LN4vllm18Fp8KVCacheDataTypeE0ES0_Li32ELi128ELi256ELb1ELi4EL8MFMAType0EEvPKT_PKT0_S9_ifPKiSB_SB_iPKfiiiPfSE_PS4_PT2_iSD_SD_,@function
_Z39paged_attention_ll4mi_QKV_mfma16_kernelI14__hip_bfloat16S0_LN4vllm18Fp8KVCacheDataTypeE0ES0_Li32ELi128ELi256ELb1ELi4EL8MFMAType0EEvPKT_PKT0_S9_ifPKiSB_SB_iPKfiiiPfSE_PS4_PT2_iSD_SD_: ; @_Z39paged_attention_ll4mi_QKV_mfma16_kernelI14__hip_bfloat16S0_LN4vllm18Fp8KVCacheDataTypeE0ES0_Li32ELi128ELi256ELb1ELi4EL8MFMAType0EEvPKT_PKT0_S9_ifPKiSB_SB_iPKfiiiPfSE_PS4_PT2_iSD_SD_
; %bb.0:
	s_load_b64 s[2:3], s[0:1], 0x30
	s_mov_b32 s30, s13
	s_waitcnt lgkmcnt(0)
	s_cmp_lg_u64 s[2:3], 0
	s_cselect_b32 s6, -1, 0
	s_ashr_i32 s31, s13, 31
	s_cmp_eq_u64 s[2:3], 0
	s_cbranch_scc1 .LBB749_3
; %bb.1:
	s_lshl_b64 s[4:5], s[30:31], 2
	s_delay_alu instid0(SALU_CYCLE_1) | instskip(SKIP_4) | instid1(SALU_CYCLE_1)
	s_add_u32 s4, s2, s4
	s_addc_u32 s5, s3, s5
	s_load_b64 s[4:5], s[4:5], 0x0
	s_waitcnt lgkmcnt(0)
	s_sub_i32 s4, s5, s4
	s_cmp_eq_u32 s4, 1
	s_cselect_b32 s4, -1, 0
	s_delay_alu instid0(SALU_CYCLE_1)
	s_and_not1_b32 vcc_lo, exec_lo, s4
	s_cbranch_vccz .LBB749_4
.LBB749_2:
	s_endpgm
.LBB749_3:
.LBB749_4:
	s_load_b64 s[8:9], s[0:1], 0x28
	s_lshl_b64 s[4:5], s[30:31], 2
	s_waitcnt lgkmcnt(0)
	s_add_u32 s8, s8, s4
	s_addc_u32 s9, s9, s5
	s_lshl_b32 s12, s14, 8
	s_load_b32 s17, s[8:9], 0x0
	s_waitcnt lgkmcnt(0)
	s_cmp_ge_i32 s12, s17
	s_cbranch_scc1 .LBB749_2
; %bb.5:
	s_and_not1_b32 vcc_lo, exec_lo, s6
	s_cbranch_vccnz .LBB749_7
; %bb.6:
	s_add_u32 s2, s2, s4
	s_addc_u32 s3, s3, s5
	s_load_b32 s13, s[2:3], 0x0
	s_branch .LBB749_8
.LBB749_7:
	s_mov_b32 s13, s30
.LBB749_8:
	s_clause 0x2
	s_load_b128 s[8:11], s[0:1], 0x8
	s_load_b64 s[2:3], s[0:1], 0x20
	s_load_b128 s[4:7], s[0:1], 0x48
	v_and_b32_e32 v74, 15, v0
	s_waitcnt lgkmcnt(0)
	s_mov_b32 s7, exec_lo
	s_delay_alu instid0(VALU_DEP_1)
	v_lshlrev_b32_e32 v1, 3, v74
	v_cmpx_lt_u32_e32 63, v0
	s_xor_b32 s7, exec_lo, s7
; %bb.9:
	v_mov_b32_e32 v2, 0
; %bb.10:
	s_or_saveexec_b32 s7, s7
	v_lshrrev_b32_e32 v73, 5, v0
	v_and_b32_e32 v75, 31, v0
	v_and_b32_e32 v84, 1, v0
	v_bfe_u32 v83, v0, 4, 1
	s_lshl_b32 s29, s15, 2
	s_xor_b32 exec_lo, exec_lo, s7
	s_cbranch_execz .LBB749_12
; %bb.11:
	s_delay_alu instid0(VALU_DEP_1)
	v_lshl_or_b32 v7, v73, 1, v83
	s_load_b64 s[18:19], s[0:1], 0x0
	s_mul_hi_i32 s21, s13, s4
	s_mul_i32 s20, s13, s4
	v_lshlrev_b32_e32 v4, 1, v1
	v_or_b32_e32 v2, s29, v7
	s_lshl_b64 s[20:21], s[20:21], 1
	v_lshlrev_b32_e32 v7, 6, v7
	v_lshlrev_b32_e32 v8, 10, v84
	s_delay_alu instid0(VALU_DEP_3) | instskip(NEXT) | instid1(VALU_DEP_1)
	v_lshlrev_b32_e32 v2, 7, v2
	v_ashrrev_i32_e32 v3, 31, v2
	s_delay_alu instid0(VALU_DEP_1) | instskip(SKIP_3) | instid1(VALU_DEP_1)
	v_lshlrev_b64 v[2:3], 1, v[2:3]
	s_waitcnt lgkmcnt(0)
	s_add_u32 s4, s18, s20
	s_addc_u32 s13, s19, s21
	v_add_co_u32 v2, vcc_lo, s4, v2
	s_delay_alu instid0(VALU_DEP_2) | instskip(NEXT) | instid1(VALU_DEP_2)
	v_add_co_ci_u32_e32 v3, vcc_lo, s13, v3, vcc_lo
	v_add_co_u32 v2, vcc_lo, v2, v4
	s_delay_alu instid0(VALU_DEP_2) | instskip(SKIP_2) | instid1(VALU_DEP_1)
	v_add_co_ci_u32_e32 v3, vcc_lo, 0, v3, vcc_lo
	global_load_b128 v[3:6], v[2:3], off
	v_lshlrev_b32_e32 v2, 10, v74
	v_and_b32_e32 v2, 0x3800, v2
	s_delay_alu instid0(VALU_DEP_1)
	v_or3_b32 v7, v2, v8, v7
	v_mov_b32_e32 v2, 0
	s_waitcnt vmcnt(0)
	ds_store_b128 v7, v[3:6]
.LBB749_12:
	s_or_b32 exec_lo, exec_lo, s7
	v_and_b32_e32 v3, 0xef, v0
	s_add_i32 s4, s17, 31
	s_clause 0x1
	s_load_b32 s7, s[0:1], 0x38
	s_load_b32 s18, s[0:1], 0x1c
	s_ashr_i32 s13, s4, 31
	v_add_nc_u32_e32 v3, s12, v3
	s_lshr_b32 s13, s13, 27
	s_waitcnt lgkmcnt(0)
	s_add_i32 s4, s4, s13
	s_barrier
	v_ashrrev_i32_e32 v4, 31, v3
	v_cmp_gt_i32_e32 vcc_lo, s17, v3
	s_ashr_i32 s4, s4, 5
	buffer_gl0_inv
	s_add_i32 s4, s4, -1
	v_lshrrev_b32_e32 v5, 27, v4
	v_or_b32_e32 v4, 16, v3
	v_lshlrev_b64 v[81:82], 1, v[1:2]
	v_and_b32_e32 v80, 3, v0
	s_delay_alu instid0(VALU_DEP_4) | instskip(NEXT) | instid1(VALU_DEP_4)
	v_add_nc_u32_e32 v6, v3, v5
	v_add_nc_u32_e32 v5, v4, v5
	s_mul_i32 s20, s30, s7
	s_delay_alu instid0(VALU_DEP_3) | instskip(SKIP_4) | instid1(SALU_CYCLE_1)
	v_lshlrev_b32_e32 v80, 6, v80
	s_ashr_i32 s21, s20, 31
	v_ashrrev_i32_e32 v6, 5, v6
	v_ashrrev_i32_e32 v5, 5, v5
	s_lshl_b64 s[20:21], s[20:21], 2
	s_add_u32 s7, s2, s20
	s_delay_alu instid0(VALU_DEP_2) | instskip(SKIP_3) | instid1(VALU_DEP_2)
	v_cndmask_b32_e32 v3, s4, v6, vcc_lo
	v_cmp_gt_i32_e32 vcc_lo, s17, v4
	s_addc_u32 s13, s3, s21
	s_mul_i32 s2, s15, s6
	v_ashrrev_i32_e32 v4, 31, v3
	v_cndmask_b32_e32 v5, s4, v5, vcc_lo
	s_ashr_i32 s3, s2, 31
	s_delay_alu instid0(SALU_CYCLE_1) | instskip(NEXT) | instid1(VALU_DEP_2)
	s_lshl_b64 s[2:3], s[2:3], 1
	v_lshlrev_b64 v[3:4], 2, v[3:4]
	s_delay_alu instid0(VALU_DEP_2) | instskip(SKIP_3) | instid1(VALU_DEP_1)
	v_ashrrev_i32_e32 v6, 31, v5
	s_add_u32 s6, s8, s2
	s_addc_u32 s15, s9, s3
	s_lshl_b32 s8, s14, 3
	v_lshlrev_b64 v[5:6], 2, v[5:6]
	v_add_co_u32 v3, vcc_lo, s7, v3
	v_add_co_ci_u32_e32 v4, vcc_lo, s13, v4, vcc_lo
	s_ashr_i32 s9, s8, 31
	s_delay_alu instid0(VALU_DEP_3) | instskip(NEXT) | instid1(VALU_DEP_4)
	v_add_co_u32 v5, vcc_lo, s7, v5
	v_add_co_ci_u32_e32 v6, vcc_lo, s13, v6, vcc_lo
	s_lshl_b64 s[8:9], s[8:9], 2
	s_clause 0x1
	global_load_b32 v7, v[3:4], off
	global_load_b32 v8, v[5:6], off
	s_add_u32 s8, s7, s8
	s_addc_u32 s9, s13, s9
	s_or_b32 s16, s12, 32
	s_delay_alu instid0(SALU_CYCLE_1) | instskip(SKIP_2) | instid1(SALU_CYCLE_1)
	s_ashr_i32 s19, s16, 5
	s_cmp_lt_i32 s16, s17
	s_cselect_b32 s20, s19, s4
	s_ashr_i32 s21, s20, 31
	s_delay_alu instid0(SALU_CYCLE_1) | instskip(NEXT) | instid1(SALU_CYCLE_1)
	s_lshl_b64 s[20:21], s[20:21], 2
	s_add_u32 s20, s7, s20
	s_addc_u32 s21, s13, s21
	s_or_b32 s16, s12, 64
	s_delay_alu instid0(SALU_CYCLE_1) | instskip(SKIP_2) | instid1(SALU_CYCLE_1)
	s_ashr_i32 s19, s16, 5
	s_cmp_lt_i32 s16, s17
	s_cselect_b32 s22, s19, s4
	s_ashr_i32 s23, s22, 31
	s_delay_alu instid0(SALU_CYCLE_1) | instskip(NEXT) | instid1(SALU_CYCLE_1)
	s_lshl_b64 s[22:23], s[22:23], 2
	;; [unrolled: 10-line block ×5, first 2 shown]
	s_add_u32 s34, s7, s34
	s_addc_u32 s35, s13, s35
	s_clause 0x5
	s_load_b32 s16, s[8:9], 0x0
	s_load_b32 s19, s[20:21], 0x0
	;; [unrolled: 1-line block ×6, first 2 shown]
	s_mov_b32 s20, 0
	s_delay_alu instid0(SALU_CYCLE_1)
	s_mov_b32 s27, s20
	s_mov_b32 s21, s20
	;; [unrolled: 1-line block ×7, first 2 shown]
	s_delay_alu instid0(SALU_CYCLE_1)
	v_dual_mov_b32 v108, s27 :: v_dual_mov_b32 v107, s26
	v_dual_mov_b32 v106, s25 :: v_dual_mov_b32 v105, s24
	v_mov_b32_e32 v102, s21
	v_dual_mov_b32 v104, s23 :: v_dual_mov_b32 v103, s22
	v_mov_b32_e32 v101, s20
	s_waitcnt lgkmcnt(0)
	s_mul_hi_i32 s21, s16, s5
	s_mul_i32 s20, s16, s5
	s_mul_hi_i32 s23, s19, s5
	s_mul_i32 s22, s19, s5
	;; [unrolled: 2-line block ×5, first 2 shown]
	s_waitcnt vmcnt(1)
	v_mad_i64_i32 v[3:4], null, v7, s5, 0
	s_waitcnt vmcnt(0)
	v_mad_i64_i32 v[5:6], null, v8, s5, 0
	s_delay_alu instid0(VALU_DEP_2) | instskip(NEXT) | instid1(VALU_DEP_2)
	v_lshlrev_b64 v[3:4], 1, v[3:4]
	v_lshlrev_b64 v[1:2], 1, v[5:6]
	s_delay_alu instid0(VALU_DEP_2) | instskip(NEXT) | instid1(VALU_DEP_3)
	v_add_co_u32 v3, vcc_lo, s6, v3
	v_add_co_ci_u32_e32 v4, vcc_lo, s15, v4, vcc_lo
	s_delay_alu instid0(VALU_DEP_3) | instskip(NEXT) | instid1(VALU_DEP_4)
	v_add_co_u32 v1, vcc_lo, s6, v1
	v_add_co_ci_u32_e32 v2, vcc_lo, s15, v2, vcc_lo
	s_delay_alu instid0(VALU_DEP_4) | instskip(NEXT) | instid1(VALU_DEP_4)
	v_add_co_u32 v65, vcc_lo, v3, v81
	v_add_co_ci_u32_e32 v66, vcc_lo, v4, v82, vcc_lo
	s_delay_alu instid0(VALU_DEP_4) | instskip(NEXT) | instid1(VALU_DEP_4)
	v_add_co_u32 v76, vcc_lo, v1, v81
	v_add_co_ci_u32_e32 v77, vcc_lo, v2, v82, vcc_lo
	s_clause 0xf
	global_load_b128 v[1:4], v[65:66], off
	global_load_b128 v[5:8], v[65:66], off offset:512
	global_load_b128 v[9:12], v[76:77], off offset:256
	global_load_b128 v[13:16], v[76:77], off offset:768
	global_load_b128 v[17:20], v[65:66], off offset:1024
	global_load_b128 v[21:24], v[65:66], off offset:1536
	global_load_b128 v[25:28], v[76:77], off offset:1280
	global_load_b128 v[29:32], v[76:77], off offset:1792
	global_load_b128 v[33:36], v[65:66], off offset:2048
	global_load_b128 v[37:40], v[65:66], off offset:2560
	global_load_b128 v[41:44], v[76:77], off offset:2304
	global_load_b128 v[45:48], v[76:77], off offset:2816
	global_load_b128 v[49:52], v[65:66], off offset:3072
	global_load_b128 v[53:56], v[65:66], off offset:3584
	global_load_b128 v[57:60], v[76:77], off offset:3328
	global_load_b128 v[61:64], v[76:77], off offset:3840
	v_add_co_u32 v78, vcc_lo, 0x1000, v65
	v_add_co_ci_u32_e32 v79, vcc_lo, 0, v66, vcc_lo
	v_add_co_u32 v76, vcc_lo, 0x1000, v76
	s_clause 0x1
	global_load_b128 v[65:68], v[78:79], off
	global_load_b128 v[69:72], v[78:79], off offset:512
	v_add_co_ci_u32_e32 v77, vcc_lo, 0, v77, vcc_lo
	ds_load_b128 v[85:88], v80
	ds_load_b128 v[89:92], v80 offset:1024
	s_clause 0x1
	global_load_b128 v[93:96], v[76:77], off offset:256
	global_load_b128 v[97:100], v[76:77], off offset:768
	ds_load_b128 v[109:112], v80 offset:2048
	ds_load_b128 v[113:116], v80 offset:3072
	s_or_b32 s6, s12, 0xc0
	s_delay_alu instid0(SALU_CYCLE_1) | instskip(SKIP_2) | instid1(SALU_CYCLE_1)
	s_ashr_i32 s8, s6, 5
	s_cmp_lt_i32 s6, s17
	s_cselect_b32 s8, s8, s4
	s_ashr_i32 s9, s8, 31
	s_delay_alu instid0(SALU_CYCLE_1) | instskip(NEXT) | instid1(SALU_CYCLE_1)
	s_lshl_b64 s[8:9], s[8:9], 2
	s_add_u32 s8, s7, s8
	s_addc_u32 s9, s13, s9
	s_or_b32 s6, s12, 0xe0
	s_delay_alu instid0(SALU_CYCLE_1) | instskip(SKIP_2) | instid1(SALU_CYCLE_1)
	s_ashr_i32 s15, s6, 5
	s_cmp_lt_i32 s6, s17
	s_cselect_b32 s24, s15, s4
	s_ashr_i32 s25, s24, 31
	s_delay_alu instid0(SALU_CYCLE_1) | instskip(NEXT) | instid1(SALU_CYCLE_1)
	s_lshl_b64 s[24:25], s[24:25], 2
	s_add_u32 s24, s7, s24
	s_addc_u32 s25, s13, s25
	s_add_i32 s6, s12, 0x100
	s_delay_alu instid0(SALU_CYCLE_1) | instskip(SKIP_2) | instid1(SALU_CYCLE_1)
	s_ashr_i32 s15, s6, 5
	s_cmp_lt_i32 s6, s17
	s_cselect_b32 s36, s15, s4
	s_ashr_i32 s37, s36, 31
	s_delay_alu instid0(SALU_CYCLE_1) | instskip(NEXT) | instid1(SALU_CYCLE_1)
	s_lshl_b64 s[36:37], s[36:37], 2
	s_add_u32 s6, s7, s36
	s_addc_u32 s7, s13, s37
	s_add_u32 s4, s10, s2
	s_addc_u32 s19, s11, s3
	s_lshl_b64 s[2:3], s[20:21], 1
	s_lshl_b64 s[10:11], s[26:27], 1
	;; [unrolled: 1-line block ×3, first 2 shown]
	s_waitcnt vmcnt(18) lgkmcnt(2)
	v_wmma_f32_16x16x16_bf16 v[117:124], v[1:8], v[85:92], v[101:108]
	s_waitcnt vmcnt(16)
	v_wmma_f32_16x16x16_bf16 v[101:108], v[9:16], v[85:92], v[101:108]
	s_clause 0x3
	global_load_b128 v[1:4], v[78:79], off offset:1024
	global_load_b128 v[5:8], v[78:79], off offset:1536
	;; [unrolled: 1-line block ×4, first 2 shown]
	s_waitcnt vmcnt(18) lgkmcnt(0)
	v_wmma_f32_16x16x16_bf16 v[117:124], v[17:24], v[109:116], v[117:124]
	s_clause 0x1
	global_load_b128 v[17:20], v[78:79], off offset:2048
	global_load_b128 v[21:24], v[78:79], off offset:2560
	s_waitcnt vmcnt(18)
	v_wmma_f32_16x16x16_bf16 v[101:108], v[25:32], v[109:116], v[101:108]
	ds_load_b128 v[25:28], v80 offset:4096
	ds_load_b128 v[29:32], v80 offset:5120
	s_clause 0x5
	global_load_b128 v[109:112], v[76:77], off offset:2304
	global_load_b128 v[113:116], v[76:77], off offset:2816
	;; [unrolled: 1-line block ×6, first 2 shown]
	s_waitcnt vmcnt(22) lgkmcnt(0)
	v_wmma_f32_16x16x16_bf16 v[117:124], v[33:40], v[25:32], v[117:124]
	s_waitcnt vmcnt(20)
	v_wmma_f32_16x16x16_bf16 v[101:108], v[41:48], v[25:32], v[101:108]
	ds_load_b128 v[25:28], v80 offset:6144
	ds_load_b128 v[29:32], v80 offset:7168
	;; [unrolled: 1-line block ×4, first 2 shown]
	s_waitcnt vmcnt(18) lgkmcnt(2)
	v_wmma_f32_16x16x16_bf16 v[117:124], v[49:56], v[25:32], v[117:124]
	s_waitcnt vmcnt(16)
	v_wmma_f32_16x16x16_bf16 v[101:108], v[57:64], v[25:32], v[101:108]
	ds_load_b128 v[25:28], v80 offset:10240
	ds_load_b128 v[29:32], v80 offset:11264
	;; [unrolled: 1-line block ×6, first 2 shown]
	s_waitcnt vmcnt(14) lgkmcnt(6)
	v_wmma_f32_16x16x16_bf16 v[117:124], v[65:72], v[33:40], v[117:124]
	s_waitcnt vmcnt(12)
	v_wmma_f32_16x16x16_bf16 v[101:108], v[93:100], v[33:40], v[101:108]
	s_clause 0x2
	s_load_b32 s16, s[8:9], 0x0
	s_load_b32 s13, s[24:25], 0x0
	;; [unrolled: 1-line block ×3, first 2 shown]
	s_lshl_b64 s[6:7], s[22:23], 1
	s_mul_hi_i32 s9, s33, s5
	s_mul_i32 s8, s33, s5
	s_lshl_b64 s[22:23], s[38:39], 1
	s_lshl_b64 s[8:9], s[8:9], 1
	s_waitcnt lgkmcnt(0)
	s_mul_hi_i32 s25, s16, s5
	s_mul_i32 s24, s16, s5
	s_waitcnt vmcnt(10)
	v_wmma_f32_16x16x16_bf16 v[117:124], v[1:8], v[25:32], v[117:124]
	s_waitcnt vmcnt(8)
	v_wmma_f32_16x16x16_bf16 v[101:108], v[9:16], v[25:32], v[101:108]
	s_waitcnt vmcnt(6)
	s_delay_alu instid0(VALU_DEP_2) | instskip(SKIP_1) | instid1(VALU_DEP_2)
	v_wmma_f32_16x16x16_bf16 v[117:124], v[17:24], v[141:148], v[117:124]
	s_waitcnt vmcnt(4)
	v_wmma_f32_16x16x16_bf16 v[101:108], v[109:116], v[141:148], v[101:108]
	s_waitcnt vmcnt(2)
	s_delay_alu instid0(VALU_DEP_2) | instskip(SKIP_3) | instid1(VALU_DEP_3)
	v_wmma_f32_16x16x16_bf16 v[117:124], v[125:132], v[149:156], v[117:124]
	v_lshlrev_b32_e32 v85, 6, v74
	s_waitcnt vmcnt(0)
	v_wmma_f32_16x16x16_bf16 v[101:108], v[133:140], v[149:156], v[101:108]
	v_mul_f32_e32 v100, s18, v124
	s_delay_alu instid0(VALU_DEP_3) | instskip(SKIP_2) | instid1(VALU_DEP_3)
	v_lshl_or_b32 v41, v73, 10, v85
	v_mul_f32_e32 v97, s18, v117
	v_mul_f32_e32 v99, s18, v118
	v_add_co_u32 v76, s4, s4, v41
	s_delay_alu instid0(VALU_DEP_1) | instskip(NEXT) | instid1(VALU_DEP_2)
	v_add_co_ci_u32_e64 v77, null, s19, 0, s4
	v_add_co_u32 v41, vcc_lo, v76, s2
	s_delay_alu instid0(VALU_DEP_2)
	v_add_co_ci_u32_e32 v42, vcc_lo, s3, v77, vcc_lo
	v_add_co_u32 v33, vcc_lo, v76, s6
	v_add_co_ci_u32_e32 v34, vcc_lo, s7, v77, vcc_lo
	v_add_co_u32 v35, vcc_lo, v76, s10
	v_add_co_ci_u32_e32 v36, vcc_lo, s11, v77, vcc_lo
	v_add_co_u32 v37, vcc_lo, v76, s20
	v_add_co_ci_u32_e32 v38, vcc_lo, s21, v77, vcc_lo
	v_add_co_u32 v39, vcc_lo, v76, s8
	v_add_co_ci_u32_e32 v40, vcc_lo, s9, v77, vcc_lo
	v_add_co_u32 v5, vcc_lo, v76, s22
	s_lshl_b64 s[2:3], s[24:25], 1
	v_add_co_ci_u32_e32 v6, vcc_lo, s23, v77, vcc_lo
	s_mul_hi_i32 s7, s13, s5
	s_mul_i32 s6, s13, s5
	v_add_co_u32 v17, vcc_lo, v76, s2
	v_add_co_ci_u32_e32 v18, vcc_lo, s3, v77, vcc_lo
	s_lshl_b64 s[2:3], s[6:7], 1
	s_mul_hi_i32 s7, s15, s5
	s_mul_i32 s6, s15, s5
	v_add_co_u32 v19, vcc_lo, v76, s2
	v_add_co_ci_u32_e32 v20, vcc_lo, s3, v77, vcc_lo
	s_lshl_b64 s[2:3], s[6:7], 1
	s_clause 0x1
	global_load_b128 v[65:68], v[41:42], off
	global_load_b128 v[69:72], v[41:42], off offset:16
	v_add_co_u32 v21, vcc_lo, v76, s2
	v_add_co_ci_u32_e32 v22, vcc_lo, s3, v77, vcc_lo
	s_clause 0xf
	global_load_b128 v[57:60], v[33:34], off
	global_load_b128 v[61:64], v[33:34], off offset:16
	global_load_b128 v[49:52], v[35:36], off
	global_load_b128 v[53:56], v[35:36], off offset:16
	global_load_b128 v[41:44], v[37:38], off
	global_load_b128 v[45:48], v[37:38], off offset:16
	global_load_b128 v[9:12], v[39:40], off
	global_load_b128 v[13:16], v[39:40], off offset:16
	global_load_b128 v[1:4], v[5:6], off
	global_load_b128 v[5:8], v[5:6], off offset:16
	global_load_b128 v[33:36], v[17:18], off
	global_load_b128 v[37:40], v[17:18], off offset:16
	global_load_b128 v[25:28], v[19:20], off
	global_load_b128 v[29:32], v[19:20], off offset:16
	global_load_b128 v[17:20], v[21:22], off
	global_load_b128 v[21:24], v[21:22], off offset:16
	v_and_b32_e32 v76, 0xe0, v0
	v_mbcnt_lo_u32_b32 v77, -1, 0
	s_waitcnt vmcnt(0)
	s_barrier
	buffer_gl0_inv
	v_add_nc_u32_e32 v76, s12, v76
	v_xor_b32_e32 v78, 16, v77
	s_delay_alu instid0(VALU_DEP_2) | instskip(NEXT) | instid1(VALU_DEP_2)
	v_or_b32_e32 v76, v76, v83
	v_cmp_gt_i32_e32 vcc_lo, 32, v78
	s_delay_alu instid0(VALU_DEP_2)
	v_or_b32_e32 v79, 4, v76
	v_cndmask_b32_e32 v77, v77, v78, vcc_lo
	v_or_b32_e32 v78, 2, v76
	v_or_b32_e32 v80, 6, v76
	v_cmp_gt_i32_e32 vcc_lo, s17, v76
	v_or_b32_e32 v86, 8, v76
	v_or_b32_e32 v87, 10, v76
	v_cmp_gt_i32_e64 s2, s17, v78
	v_or_b32_e32 v88, 12, v76
	v_or_b32_e32 v89, 14, v76
	;; [unrolled: 1-line block ×10, first 2 shown]
	v_cndmask_b32_e32 v76, 0xff7fffff, v97, vcc_lo
	v_cndmask_b32_e64 v78, 0xff7fffff, v99, s2
	v_mul_f32_e32 v99, s18, v120
	v_cmp_gt_i32_e64 s3, s17, v80
	v_mul_f32_e32 v80, s18, v119
	v_cmp_gt_i32_e64 s4, s17, v79
	v_max3_f32 v76, v76, 0xff7fffff, v78
	v_dual_mul_f32 v78, s18, v121 :: v_dual_mul_f32 v79, s18, v122
	v_cmp_gt_i32_e64 s5, s17, v86
	s_delay_alu instid0(VALU_DEP_4)
	v_cndmask_b32_e64 v80, 0xff7fffff, v80, s4
	v_cmp_gt_i32_e64 s6, s17, v87
	v_mul_f32_e32 v86, s18, v107
	v_cndmask_b32_e64 v99, 0xff7fffff, v99, s3
	v_mul_f32_e32 v97, s18, v123
	v_cndmask_b32_e64 v78, 0xff7fffff, v78, s5
	v_cndmask_b32_e64 v79, 0xff7fffff, v79, s6
	v_cmp_gt_i32_e64 s7, s17, v89
	v_max3_f32 v76, v76, v80, v99
	v_cmp_gt_i32_e64 s8, s17, v88
	v_dual_mul_f32 v99, s18, v105 :: v_dual_mul_f32 v88, s18, v102
	v_mul_f32_e32 v89, s18, v101
	s_delay_alu instid0(VALU_DEP_4)
	v_max3_f32 v76, v76, v78, v79
	v_mul_f32_e32 v78, s18, v104
	v_cndmask_b32_e64 v97, 0xff7fffff, v97, s8
	v_cndmask_b32_e64 v100, 0xff7fffff, v100, s7
	v_cmp_gt_i32_e64 s9, s17, v90
	v_cmp_gt_i32_e64 s10, s17, v91
	v_mul_f32_e32 v79, s18, v103
	v_cmp_gt_i32_e64 s11, s17, v92
	v_max3_f32 v76, v76, v97, v100
	v_cndmask_b32_e64 v89, 0xff7fffff, v89, s9
	v_cndmask_b32_e64 v88, 0xff7fffff, v88, s10
	v_cmp_gt_i32_e64 s12, s17, v93
	v_mul_f32_e32 v87, s18, v106
	v_cndmask_b32_e64 v79, 0xff7fffff, v79, s11
	v_cmp_gt_i32_e64 s13, s17, v94
	v_max3_f32 v76, v76, v89, v88
	v_cndmask_b32_e64 v78, 0xff7fffff, v78, s12
	v_cmp_gt_i32_e64 s15, s17, v95
	v_mul_f32_e32 v80, s18, v108
	v_cndmask_b32_e64 v88, 0xff7fffff, v99, s13
	v_cmp_gt_i32_e64 s16, s17, v96
	v_max3_f32 v76, v76, v79, v78
	v_cndmask_b32_e64 v87, 0xff7fffff, v87, s15
	v_cmp_gt_i32_e64 s17, s17, v98
	v_lshlrev_b32_e32 v99, 2, v77
	v_cndmask_b32_e64 v78, 0xff7fffff, v86, s16
	s_delay_alu instid0(VALU_DEP_4) | instskip(NEXT) | instid1(VALU_DEP_4)
	v_max3_f32 v76, v76, v88, v87
	v_cndmask_b32_e64 v79, 0xff7fffff, v80, s17
	s_delay_alu instid0(VALU_DEP_1) | instskip(SKIP_3) | instid1(VALU_DEP_1)
	v_max3_f32 v76, v76, v78, v79
	ds_bpermute_b32 v77, v99, v76
	s_waitcnt lgkmcnt(0)
	v_max_f32_e32 v77, v77, v77
	v_max_f32_e32 v89, v76, v77
	s_delay_alu instid0(VALU_DEP_1) | instskip(SKIP_4) | instid1(VALU_DEP_4)
	v_fma_f32 v76, s18, v117, -v89
	v_fma_f32 v77, s18, v118, -v89
	;; [unrolled: 1-line block ×5, first 2 shown]
	v_dual_mul_f32 v76, 0x3fb8aa3b, v76 :: v_dual_mul_f32 v77, 0x3fb8aa3b, v77
	s_delay_alu instid0(VALU_DEP_4) | instskip(NEXT) | instid1(VALU_DEP_3)
	v_mul_f32_e32 v78, 0x3fb8aa3b, v78
	v_mul_f32_e32 v80, 0x3fb8aa3b, v80
	s_delay_alu instid0(VALU_DEP_3) | instskip(NEXT) | instid1(VALU_DEP_3)
	v_exp_f32_e32 v76, v76
	v_exp_f32_e32 v77, v77
	s_delay_alu instid0(VALU_DEP_2) | instskip(NEXT) | instid1(VALU_DEP_1)
	v_exp_f32_e32 v78, v78
	v_exp_f32_e32 v80, v80
	v_cndmask_b32_e32 v91, 0, v76, vcc_lo
	v_fma_f32 v76, s18, v122, -v89
	s_delay_alu instid0(TRANS32_DEP_3)
	v_cndmask_b32_e64 v90, 0, v77, s2
	s_waitcnt_depctr 0xfff
	v_cndmask_b32_e64 v92, 0, v78, s4
	v_cndmask_b32_e64 v95, 0, v80, s5
	v_dual_add_f32 v77, 0, v91 :: v_dual_mul_f32 v76, 0x3fb8aa3b, v76
	s_mov_b32 s2, exec_lo
	s_delay_alu instid0(VALU_DEP_1) | instskip(NEXT) | instid1(VALU_DEP_2)
	v_add_f32_e32 v77, v77, v90
	v_exp_f32_e32 v76, v76
	s_delay_alu instid0(VALU_DEP_1) | instskip(SKIP_3) | instid1(VALU_DEP_1)
	v_add_f32_e32 v77, v77, v92
	s_waitcnt_depctr 0xfff
	v_cndmask_b32_e64 v96, 0, v76, s6
	v_mul_f32_e32 v79, 0x3fb8aa3b, v79
	v_exp_f32_e32 v79, v79
	s_waitcnt_depctr 0xfff
	v_cndmask_b32_e64 v94, 0, v79, s3
	s_delay_alu instid0(VALU_DEP_1) | instskip(NEXT) | instid1(VALU_DEP_1)
	v_add_f32_e32 v77, v77, v94
	v_add_f32_e32 v76, v77, v95
	v_fma_f32 v80, s18, v102, -v89
	v_fma_f32 v86, s18, v123, -v89
	;; [unrolled: 1-line block ×5, first 2 shown]
	v_mul_f32_e32 v80, 0x3fb8aa3b, v80
	v_mul_f32_e32 v86, 0x3fb8aa3b, v86
	v_mul_f32_e32 v78, 0x3fb8aa3b, v78
	v_fma_f32 v98, s18, v107, -v89
	v_mul_f32_e32 v77, 0x3fb8aa3b, v77
	v_exp_f32_e32 v80, v80
	v_exp_f32_e32 v86, v86
	;; [unrolled: 1-line block ×3, first 2 shown]
	v_add_f32_e32 v76, v76, v96
	v_exp_f32_e32 v88, v77
	v_fma_f32 v87, s18, v105, -v89
	v_fma_f32 v100, s18, v108, -v89
	v_cndmask_b32_e64 v77, 0, v80, s10
	v_mul_f32_e32 v79, 0x3fb8aa3b, v79
	s_delay_alu instid0(TRANS32_DEP_3) | instskip(SKIP_1) | instid1(TRANS32_DEP_2)
	v_cndmask_b32_e64 v93, 0, v86, s8
	v_fma_f32 v86, s18, v104, -v89
	v_cndmask_b32_e64 v97, 0, v78, s7
	v_mul_f32_e32 v100, 0x3fb8aa3b, v100
	v_exp_f32_e32 v79, v79
	v_add_f32_e32 v78, v76, v93
	v_mul_f32_e32 v86, 0x3fb8aa3b, v86
	s_delay_alu instid0(VALU_DEP_3) | instskip(NEXT) | instid1(VALU_DEP_2)
	v_exp_f32_e32 v100, v100
	v_add_f32_e32 v78, v78, v97
	s_delay_alu instid0(VALU_DEP_2) | instskip(NEXT) | instid1(TRANS32_DEP_3)
	v_exp_f32_e32 v86, v86
	v_cndmask_b32_e64 v76, 0, v79, s9
	v_fma_f32 v79, s18, v106, -v89
	s_delay_alu instid0(VALU_DEP_1) | instskip(SKIP_2) | instid1(VALU_DEP_3)
	v_dual_add_f32 v80, v78, v76 :: v_dual_mul_f32 v79, 0x3fb8aa3b, v79
	v_cndmask_b32_e64 v78, 0, v88, s11
	v_mul_f32_e32 v88, 0x3fb8aa3b, v98
	v_dual_add_f32 v80, v80, v77 :: v_dual_mul_f32 v87, 0x3fb8aa3b, v87
	s_delay_alu instid0(VALU_DEP_4) | instskip(NEXT) | instid1(TRANS32_DEP_2)
	v_exp_f32_e32 v98, v79
	v_cndmask_b32_e64 v79, 0, v86, s12
	s_delay_alu instid0(VALU_DEP_3) | instskip(NEXT) | instid1(VALU_DEP_2)
	v_exp_f32_e32 v88, v88
	v_add_f32_e32 v86, v80, v78
	v_exp_f32_e32 v87, v87
	s_waitcnt_depctr 0xfff
	v_cndmask_b32_e64 v80, 0, v87, s13
	v_add_f32_e32 v87, v86, v79
	v_cndmask_b32_e64 v86, 0, v98, s15
	s_delay_alu instid0(VALU_DEP_2) | instskip(SKIP_1) | instid1(VALU_DEP_2)
	v_add_f32_e32 v98, v87, v80
	v_cndmask_b32_e64 v87, 0, v88, s16
	v_add_f32_e32 v88, v98, v86
	s_delay_alu instid0(VALU_DEP_1) | instskip(SKIP_1) | instid1(VALU_DEP_1)
	v_add_f32_e32 v98, v88, v87
	v_cndmask_b32_e64 v88, 0, v100, s17
	v_add_f32_e32 v98, v98, v88
	ds_bpermute_b32 v99, v99, v98
	v_cmpx_gt_u32_e32 16, v75
	s_cbranch_execz .LBB749_14
; %bb.13:
	v_mul_u32_u24_e32 v75, 0x44, v73
	s_waitcnt lgkmcnt(0)
	v_add_f32_e32 v98, v98, v99
	s_delay_alu instid0(VALU_DEP_2) | instskip(NEXT) | instid1(VALU_DEP_1)
	v_lshl_add_u32 v75, v74, 2, v75
	v_add_nc_u32_e32 v75, 0x4000, v75
	ds_store_2addr_b32 v75, v89, v98 offset1:136
.LBB749_14:
	s_or_b32 exec_lo, exec_lo, s2
	v_lshlrev_b32_e32 v74, 2, v74
	s_waitcnt lgkmcnt(0)
	s_barrier
	buffer_gl0_inv
	v_cmp_eq_u32_e64 s2, 1, v73
	v_add_nc_u32_e32 v89, 0x4000, v74
	ds_load_2addr_b32 v[98:99], v89 offset1:17
	ds_load_2addr_b32 v[100:101], v89 offset0:34 offset1:51
	ds_load_2addr_b32 v[102:103], v89 offset0:68 offset1:85
	;; [unrolled: 1-line block ×4, first 2 shown]
	s_waitcnt lgkmcnt(4)
	v_max3_f32 v74, v98, 0xff7fffff, v99
	s_waitcnt lgkmcnt(3)
	s_delay_alu instid0(VALU_DEP_1) | instskip(SKIP_1) | instid1(VALU_DEP_1)
	v_max3_f32 v74, v74, v100, v101
	s_waitcnt lgkmcnt(2)
	v_max3_f32 v74, v74, v102, v103
	s_waitcnt lgkmcnt(1)
	s_delay_alu instid0(VALU_DEP_1) | instskip(NEXT) | instid1(VALU_DEP_1)
	v_max3_f32 v74, v74, v104, v105
	v_sub_f32_e32 v108, v99, v74
	v_sub_f32_e32 v75, v98, v74
	ds_load_2addr_b32 v[98:99], v89 offset0:170 offset1:187
	v_sub_f32_e32 v100, v100, v74
	v_dual_mul_f32 v108, 0x3fb8aa3b, v108 :: v_dual_mul_f32 v75, 0x3fb8aa3b, v75
	s_delay_alu instid0(VALU_DEP_2) | instskip(NEXT) | instid1(VALU_DEP_2)
	v_mul_f32_e32 v110, 0x3fb8aa3b, v100
	v_exp_f32_e32 v108, v108
	s_delay_alu instid0(VALU_DEP_2)
	v_exp_f32_e32 v109, v75
	v_sub_f32_e32 v75, v101, v74
	ds_load_2addr_b32 v[100:101], v89 offset0:204 offset1:221
	v_exp_f32_e32 v110, v110
	v_mul_f32_e32 v111, 0x3fb8aa3b, v75
	s_waitcnt lgkmcnt(2)
	v_fma_f32 v75, v109, v106, 0
	v_sub_f32_e32 v102, v102, v74
	s_delay_alu instid0(VALU_DEP_3) | instskip(NEXT) | instid1(VALU_DEP_2)
	v_exp_f32_e32 v111, v111
	v_dual_sub_f32 v106, v103, v74 :: v_dual_fmac_f32 v75, v108, v107
	s_waitcnt lgkmcnt(1)
	s_waitcnt_depctr 0xfff
	v_fmac_f32_e32 v75, v110, v98
	v_mul_f32_e32 v112, 0x3fb8aa3b, v102
	ds_load_2addr_b32 v[102:103], v89 offset0:238 offset1:255
	v_sub_f32_e32 v89, v104, v74
	v_dual_sub_f32 v98, v105, v74 :: v_dual_fmac_f32 v75, v111, v99
	v_mul_f32_e32 v104, 0x3fb8aa3b, v106
	v_exp_f32_e32 v106, v112
	s_delay_alu instid0(VALU_DEP_2)
	v_dual_mul_f32 v89, 0x3fb8aa3b, v89 :: v_dual_mul_f32 v98, 0x3fb8aa3b, v98
	s_waitcnt lgkmcnt(0)
	s_barrier
	buffer_gl0_inv
	v_exp_f32_e32 v89, v89
	v_exp_f32_e32 v98, v98
	v_fmac_f32_e32 v75, v106, v100
	v_exp_f32_e32 v104, v104
	s_waitcnt_depctr 0xfff
	v_fmac_f32_e32 v75, v104, v101
	s_delay_alu instid0(VALU_DEP_1) | instskip(NEXT) | instid1(VALU_DEP_1)
	v_fmac_f32_e32 v75, v89, v102
	v_fmac_f32_e32 v75, v98, v103
	s_delay_alu instid0(VALU_DEP_1) | instskip(NEXT) | instid1(VALU_DEP_1)
	v_add_f32_e32 v99, 0x358637bd, v75
	v_div_scale_f32 v100, null, v99, v99, 1.0
	v_div_scale_f32 v103, vcc_lo, 1.0, v99, 1.0
	s_delay_alu instid0(VALU_DEP_2) | instskip(SKIP_2) | instid1(VALU_DEP_1)
	v_rcp_f32_e32 v101, v100
	s_waitcnt_depctr 0xfff
	v_fma_f32 v102, -v100, v101, 1.0
	v_fmac_f32_e32 v101, v102, v101
	v_cndmask_b32_e64 v102, v109, v108, s2
	v_cmp_eq_u32_e64 s2, 2, v73
	s_delay_alu instid0(VALU_DEP_3) | instskip(NEXT) | instid1(VALU_DEP_2)
	v_mul_f32_e32 v105, v103, v101
	v_cndmask_b32_e64 v102, v102, v110, s2
	v_cmp_eq_u32_e64 s2, 3, v73
	s_delay_alu instid0(VALU_DEP_3) | instskip(NEXT) | instid1(VALU_DEP_2)
	v_fma_f32 v107, -v100, v105, v103
	v_cndmask_b32_e64 v102, v102, v111, s2
	v_cmp_eq_u32_e64 s2, 4, v73
	s_delay_alu instid0(VALU_DEP_3) | instskip(NEXT) | instid1(VALU_DEP_2)
	v_fmac_f32_e32 v105, v107, v101
	v_cndmask_b32_e64 v102, v102, v106, s2
	s_delay_alu instid0(VALU_DEP_2) | instskip(SKIP_1) | instid1(VALU_DEP_2)
	v_fma_f32 v100, -v100, v105, v103
	v_cmp_eq_u32_e64 s2, 5, v73
	v_div_fmas_f32 v100, v100, v101, v105
	s_delay_alu instid0(VALU_DEP_2) | instskip(SKIP_2) | instid1(VALU_DEP_3)
	v_cndmask_b32_e64 v102, v102, v104, s2
	v_cmp_eq_u32_e32 vcc_lo, 6, v73
	s_mov_b32 s2, exec_lo
	v_div_fixup_f32 v99, v100, v99, 1.0
	s_delay_alu instid0(VALU_DEP_3) | instskip(SKIP_1) | instid1(VALU_DEP_2)
	v_cndmask_b32_e32 v89, v102, v89, vcc_lo
	v_cmp_eq_u32_e32 vcc_lo, 7, v73
	v_cndmask_b32_e32 v89, v89, v98, vcc_lo
	s_delay_alu instid0(VALU_DEP_1) | instskip(NEXT) | instid1(VALU_DEP_1)
	v_mul_f32_e32 v89, v89, v99
	v_mul_f32_e32 v99, v89, v91
	;; [unrolled: 1-line block ×6, first 2 shown]
	v_and_b32_e32 v100, 0x7f800000, v99
	v_mul_f32_e32 v98, v89, v94
	v_mul_f32_e32 v94, v89, v90
	;; [unrolled: 1-line block ×3, first 2 shown]
                                        ; implicit-def: $vgpr90
	s_delay_alu instid0(VALU_DEP_4)
	v_cmpx_ne_u32_e32 0x7f800000, v100
	s_xor_b32 s2, exec_lo, s2
; %bb.15:
	v_bfe_u32 v90, v99, 16, 1
	s_delay_alu instid0(VALU_DEP_1)
	v_add3_u32 v90, v99, v90, 0x7fff
                                        ; implicit-def: $vgpr99
; %bb.16:
	s_and_not1_saveexec_b32 s2, s2
; %bb.17:
	v_and_b32_e32 v90, 0xffff, v99
	v_or_b32_e32 v92, 0x10000, v99
	s_delay_alu instid0(VALU_DEP_2) | instskip(NEXT) | instid1(VALU_DEP_2)
	v_cmp_eq_u32_e32 vcc_lo, 0, v90
	v_cndmask_b32_e32 v90, v92, v99, vcc_lo
; %bb.18:
	s_or_b32 exec_lo, exec_lo, s2
	v_and_b32_e32 v92, 0x7f800000, v94
	s_delay_alu instid0(VALU_DEP_1) | instskip(SKIP_1) | instid1(SALU_CYCLE_1)
	v_cmp_ne_u32_e32 vcc_lo, 0x7f800000, v92
                                        ; implicit-def: $vgpr92
	s_and_saveexec_b32 s2, vcc_lo
	s_xor_b32 s2, exec_lo, s2
; %bb.19:
	v_bfe_u32 v92, v94, 16, 1
	s_delay_alu instid0(VALU_DEP_1)
	v_add3_u32 v92, v94, v92, 0x7fff
                                        ; implicit-def: $vgpr94
; %bb.20:
	s_and_not1_saveexec_b32 s2, s2
; %bb.21:
	v_and_b32_e32 v92, 0xffff, v94
	v_or_b32_e32 v99, 0x10000, v94
	s_delay_alu instid0(VALU_DEP_2) | instskip(NEXT) | instid1(VALU_DEP_2)
	v_cmp_eq_u32_e32 vcc_lo, 0, v92
	v_cndmask_b32_e32 v92, v99, v94, vcc_lo
; %bb.22:
	s_or_b32 exec_lo, exec_lo, s2
	v_and_b32_e32 v94, 0x7f800000, v95
	s_delay_alu instid0(VALU_DEP_1) | instskip(SKIP_1) | instid1(SALU_CYCLE_1)
	v_cmp_ne_u32_e32 vcc_lo, 0x7f800000, v94
                                        ; implicit-def: $vgpr94
	s_and_saveexec_b32 s2, vcc_lo
	s_xor_b32 s2, exec_lo, s2
; %bb.23:
	v_bfe_u32 v94, v95, 16, 1
	s_delay_alu instid0(VALU_DEP_1)
	v_add3_u32 v94, v95, v94, 0x7fff
                                        ; implicit-def: $vgpr95
; %bb.24:
	s_and_not1_saveexec_b32 s2, s2
; %bb.25:
	v_and_b32_e32 v94, 0xffff, v95
	v_or_b32_e32 v99, 0x10000, v95
	s_delay_alu instid0(VALU_DEP_2) | instskip(NEXT) | instid1(VALU_DEP_2)
	v_cmp_eq_u32_e32 vcc_lo, 0, v94
	v_cndmask_b32_e32 v94, v99, v95, vcc_lo
; %bb.26:
	s_or_b32 exec_lo, exec_lo, s2
	v_and_b32_e32 v95, 0x7f800000, v98
	s_delay_alu instid0(VALU_DEP_1) | instskip(SKIP_1) | instid1(SALU_CYCLE_1)
	v_cmp_ne_u32_e32 vcc_lo, 0x7f800000, v95
                                        ; implicit-def: $vgpr95
	s_and_saveexec_b32 s2, vcc_lo
	s_xor_b32 s2, exec_lo, s2
; %bb.27:
	v_bfe_u32 v95, v98, 16, 1
	s_delay_alu instid0(VALU_DEP_1)
	v_add3_u32 v95, v98, v95, 0x7fff
                                        ; implicit-def: $vgpr98
; %bb.28:
	s_and_not1_saveexec_b32 s2, s2
; %bb.29:
	v_and_b32_e32 v95, 0xffff, v98
	v_or_b32_e32 v99, 0x10000, v98
	s_delay_alu instid0(VALU_DEP_2) | instskip(NEXT) | instid1(VALU_DEP_2)
	v_cmp_eq_u32_e32 vcc_lo, 0, v95
	v_cndmask_b32_e32 v95, v99, v98, vcc_lo
; %bb.30:
	s_or_b32 exec_lo, exec_lo, s2
	v_and_b32_e32 v98, 0x7f800000, v97
	s_delay_alu instid0(VALU_DEP_1) | instskip(SKIP_1) | instid1(SALU_CYCLE_1)
	v_cmp_ne_u32_e32 vcc_lo, 0x7f800000, v98
                                        ; implicit-def: $vgpr98
	s_and_saveexec_b32 s2, vcc_lo
	s_xor_b32 s2, exec_lo, s2
; %bb.31:
	v_bfe_u32 v98, v97, 16, 1
	s_delay_alu instid0(VALU_DEP_1)
	v_add3_u32 v98, v97, v98, 0x7fff
                                        ; implicit-def: $vgpr97
; %bb.32:
	s_and_not1_saveexec_b32 s2, s2
; %bb.33:
	v_and_b32_e32 v98, 0xffff, v97
	v_or_b32_e32 v99, 0x10000, v97
	s_delay_alu instid0(VALU_DEP_2) | instskip(NEXT) | instid1(VALU_DEP_2)
	v_cmp_eq_u32_e32 vcc_lo, 0, v98
	v_cndmask_b32_e32 v98, v99, v97, vcc_lo
; %bb.34:
	s_or_b32 exec_lo, exec_lo, s2
	v_and_b32_e32 v97, 0x7f800000, v96
	s_delay_alu instid0(VALU_DEP_1) | instskip(SKIP_1) | instid1(SALU_CYCLE_1)
	v_cmp_ne_u32_e32 vcc_lo, 0x7f800000, v97
                                        ; implicit-def: $vgpr97
	s_and_saveexec_b32 s2, vcc_lo
	s_xor_b32 s2, exec_lo, s2
; %bb.35:
	v_bfe_u32 v97, v96, 16, 1
	s_delay_alu instid0(VALU_DEP_1)
	v_add3_u32 v97, v96, v97, 0x7fff
                                        ; implicit-def: $vgpr96
; %bb.36:
	s_and_not1_saveexec_b32 s2, s2
; %bb.37:
	v_and_b32_e32 v97, 0xffff, v96
	v_or_b32_e32 v99, 0x10000, v96
	s_delay_alu instid0(VALU_DEP_2) | instskip(NEXT) | instid1(VALU_DEP_2)
	v_cmp_eq_u32_e32 vcc_lo, 0, v97
	v_cndmask_b32_e32 v97, v99, v96, vcc_lo
; %bb.38:
	s_or_b32 exec_lo, exec_lo, s2
	v_and_b32_e32 v96, 0x7f800000, v93
	s_delay_alu instid0(VALU_DEP_1) | instskip(SKIP_1) | instid1(SALU_CYCLE_1)
	v_cmp_ne_u32_e32 vcc_lo, 0x7f800000, v96
                                        ; implicit-def: $vgpr96
	s_and_saveexec_b32 s2, vcc_lo
	s_xor_b32 s2, exec_lo, s2
; %bb.39:
	v_bfe_u32 v96, v93, 16, 1
	s_delay_alu instid0(VALU_DEP_1)
	v_add3_u32 v96, v93, v96, 0x7fff
                                        ; implicit-def: $vgpr93
; %bb.40:
	s_and_not1_saveexec_b32 s2, s2
; %bb.41:
	v_and_b32_e32 v96, 0xffff, v93
	v_or_b32_e32 v99, 0x10000, v93
	s_delay_alu instid0(VALU_DEP_2) | instskip(NEXT) | instid1(VALU_DEP_2)
	v_cmp_eq_u32_e32 vcc_lo, 0, v96
	v_cndmask_b32_e32 v96, v99, v93, vcc_lo
; %bb.42:
	s_or_b32 exec_lo, exec_lo, s2
	v_and_b32_e32 v93, 0x7f800000, v91
	s_delay_alu instid0(VALU_DEP_1) | instskip(SKIP_1) | instid1(SALU_CYCLE_1)
	v_cmp_ne_u32_e32 vcc_lo, 0x7f800000, v93
                                        ; implicit-def: $vgpr93
	s_and_saveexec_b32 s2, vcc_lo
	s_xor_b32 s2, exec_lo, s2
; %bb.43:
	v_bfe_u32 v93, v91, 16, 1
	s_delay_alu instid0(VALU_DEP_1)
	v_add3_u32 v93, v91, v93, 0x7fff
                                        ; implicit-def: $vgpr91
; %bb.44:
	s_and_not1_saveexec_b32 s2, s2
; %bb.45:
	v_and_b32_e32 v93, 0xffff, v91
	v_or_b32_e32 v99, 0x10000, v91
	s_delay_alu instid0(VALU_DEP_2) | instskip(NEXT) | instid1(VALU_DEP_2)
	v_cmp_eq_u32_e32 vcc_lo, 0, v93
	v_cndmask_b32_e32 v93, v99, v91, vcc_lo
; %bb.46:
	s_or_b32 exec_lo, exec_lo, s2
	s_load_b64 s[34:35], s[0:1], 0x94
	v_lshlrev_b32_e32 v91, 4, v83
	s_delay_alu instid0(VALU_DEP_2)
	v_perm_b32 v99, v93, v96, 0x7060302
	v_dual_mul_f32 v88, v89, v88 :: v_dual_lshlrev_b32 v93, 11, v73
	v_perm_b32 v96, v92, v90, 0x7060302
	v_mul_f32_e32 v92, v89, v76
	v_perm_b32 v98, v97, v98, 0x7060302
	v_perm_b32 v97, v95, v94, 0x7060302
	v_or3_b32 v76, v91, v93, v85
	v_mul_f32_e32 v87, v89, v87
	v_dual_mul_f32 v86, v89, v86 :: v_dual_and_b32 v93, 0x7f800000, v92
	v_mul_f32_e32 v80, v89, v80
	v_mul_f32_e32 v90, v89, v79
	;; [unrolled: 1-line block ×4, first 2 shown]
	s_mov_b32 s2, exec_lo
	ds_store_b128 v76, v[96:99]
                                        ; implicit-def: $vgpr77
	v_cmpx_ne_u32_e32 0x7f800000, v93
	s_xor_b32 s2, exec_lo, s2
; %bb.47:
	v_bfe_u32 v77, v92, 16, 1
	s_delay_alu instid0(VALU_DEP_1)
	v_add3_u32 v77, v92, v77, 0x7fff
                                        ; implicit-def: $vgpr92
; %bb.48:
	s_and_not1_saveexec_b32 s2, s2
; %bb.49:
	v_and_b32_e32 v77, 0xffff, v92
	v_or_b32_e32 v78, 0x10000, v92
	s_delay_alu instid0(VALU_DEP_2) | instskip(NEXT) | instid1(VALU_DEP_2)
	v_cmp_eq_u32_e32 vcc_lo, 0, v77
	v_cndmask_b32_e32 v77, v78, v92, vcc_lo
; %bb.50:
	s_or_b32 exec_lo, exec_lo, s2
	v_and_b32_e32 v78, 0x7f800000, v79
	s_delay_alu instid0(VALU_DEP_1) | instskip(SKIP_1) | instid1(SALU_CYCLE_1)
	v_cmp_ne_u32_e32 vcc_lo, 0x7f800000, v78
                                        ; implicit-def: $vgpr78
	s_and_saveexec_b32 s2, vcc_lo
	s_xor_b32 s2, exec_lo, s2
; %bb.51:
	v_bfe_u32 v78, v79, 16, 1
	s_delay_alu instid0(VALU_DEP_1)
	v_add3_u32 v78, v79, v78, 0x7fff
                                        ; implicit-def: $vgpr79
; %bb.52:
	s_and_not1_saveexec_b32 s2, s2
; %bb.53:
	v_and_b32_e32 v78, 0xffff, v79
	v_or_b32_e32 v89, 0x10000, v79
	s_delay_alu instid0(VALU_DEP_2) | instskip(NEXT) | instid1(VALU_DEP_2)
	v_cmp_eq_u32_e32 vcc_lo, 0, v78
	v_cndmask_b32_e32 v78, v89, v79, vcc_lo
; %bb.54:
	s_or_b32 exec_lo, exec_lo, s2
	v_and_b32_e32 v79, 0x7f800000, v91
	s_delay_alu instid0(VALU_DEP_1) | instskip(SKIP_1) | instid1(SALU_CYCLE_1)
	v_cmp_ne_u32_e32 vcc_lo, 0x7f800000, v79
                                        ; implicit-def: $vgpr79
	s_and_saveexec_b32 s2, vcc_lo
	s_xor_b32 s2, exec_lo, s2
; %bb.55:
	v_bfe_u32 v79, v91, 16, 1
	s_delay_alu instid0(VALU_DEP_1)
	v_add3_u32 v79, v91, v79, 0x7fff
                                        ; implicit-def: $vgpr91
; %bb.56:
	s_and_not1_saveexec_b32 s2, s2
; %bb.57:
	v_and_b32_e32 v79, 0xffff, v91
	v_or_b32_e32 v89, 0x10000, v91
	s_delay_alu instid0(VALU_DEP_2) | instskip(NEXT) | instid1(VALU_DEP_2)
	v_cmp_eq_u32_e32 vcc_lo, 0, v79
	v_cndmask_b32_e32 v79, v89, v91, vcc_lo
; %bb.58:
	s_or_b32 exec_lo, exec_lo, s2
	v_and_b32_e32 v89, 0x7f800000, v90
	s_delay_alu instid0(VALU_DEP_1) | instskip(SKIP_1) | instid1(SALU_CYCLE_1)
	v_cmp_ne_u32_e32 vcc_lo, 0x7f800000, v89
                                        ; implicit-def: $vgpr89
	s_and_saveexec_b32 s2, vcc_lo
	s_xor_b32 s2, exec_lo, s2
; %bb.59:
	v_bfe_u32 v89, v90, 16, 1
	s_delay_alu instid0(VALU_DEP_1)
	v_add3_u32 v89, v90, v89, 0x7fff
                                        ; implicit-def: $vgpr90
; %bb.60:
	s_and_not1_saveexec_b32 s2, s2
; %bb.61:
	v_and_b32_e32 v89, 0xffff, v90
	v_or_b32_e32 v91, 0x10000, v90
	s_delay_alu instid0(VALU_DEP_2) | instskip(NEXT) | instid1(VALU_DEP_2)
	v_cmp_eq_u32_e32 vcc_lo, 0, v89
	v_cndmask_b32_e32 v89, v91, v90, vcc_lo
; %bb.62:
	s_or_b32 exec_lo, exec_lo, s2
	v_and_b32_e32 v90, 0x7f800000, v80
	s_delay_alu instid0(VALU_DEP_1) | instskip(SKIP_1) | instid1(SALU_CYCLE_1)
	v_cmp_ne_u32_e32 vcc_lo, 0x7f800000, v90
                                        ; implicit-def: $vgpr90
	s_and_saveexec_b32 s2, vcc_lo
	s_xor_b32 s2, exec_lo, s2
; %bb.63:
	v_bfe_u32 v90, v80, 16, 1
	s_delay_alu instid0(VALU_DEP_1)
	v_add3_u32 v90, v80, v90, 0x7fff
                                        ; implicit-def: $vgpr80
; %bb.64:
	s_and_not1_saveexec_b32 s2, s2
; %bb.65:
	v_and_b32_e32 v90, 0xffff, v80
	v_or_b32_e32 v91, 0x10000, v80
	s_delay_alu instid0(VALU_DEP_2) | instskip(NEXT) | instid1(VALU_DEP_2)
	v_cmp_eq_u32_e32 vcc_lo, 0, v90
	v_cndmask_b32_e32 v90, v91, v80, vcc_lo
; %bb.66:
	s_or_b32 exec_lo, exec_lo, s2
	v_and_b32_e32 v80, 0x7f800000, v86
	s_delay_alu instid0(VALU_DEP_1) | instskip(SKIP_1) | instid1(SALU_CYCLE_1)
	v_cmp_ne_u32_e32 vcc_lo, 0x7f800000, v80
                                        ; implicit-def: $vgpr80
	s_and_saveexec_b32 s2, vcc_lo
	s_xor_b32 s2, exec_lo, s2
; %bb.67:
	v_bfe_u32 v80, v86, 16, 1
	s_delay_alu instid0(VALU_DEP_1)
	v_add3_u32 v80, v86, v80, 0x7fff
                                        ; implicit-def: $vgpr86
; %bb.68:
	s_and_not1_saveexec_b32 s2, s2
; %bb.69:
	v_and_b32_e32 v80, 0xffff, v86
	v_or_b32_e32 v91, 0x10000, v86
	s_delay_alu instid0(VALU_DEP_2) | instskip(NEXT) | instid1(VALU_DEP_2)
	v_cmp_eq_u32_e32 vcc_lo, 0, v80
	v_cndmask_b32_e32 v80, v91, v86, vcc_lo
; %bb.70:
	s_or_b32 exec_lo, exec_lo, s2
	v_and_b32_e32 v86, 0x7f800000, v87
	s_delay_alu instid0(VALU_DEP_1) | instskip(SKIP_1) | instid1(SALU_CYCLE_1)
	v_cmp_ne_u32_e32 vcc_lo, 0x7f800000, v86
                                        ; implicit-def: $vgpr86
	s_and_saveexec_b32 s2, vcc_lo
	s_xor_b32 s2, exec_lo, s2
; %bb.71:
	v_bfe_u32 v86, v87, 16, 1
	s_delay_alu instid0(VALU_DEP_1)
	v_add3_u32 v86, v87, v86, 0x7fff
                                        ; implicit-def: $vgpr87
; %bb.72:
	s_and_not1_saveexec_b32 s2, s2
; %bb.73:
	v_and_b32_e32 v86, 0xffff, v87
	v_or_b32_e32 v91, 0x10000, v87
	s_delay_alu instid0(VALU_DEP_2) | instskip(NEXT) | instid1(VALU_DEP_2)
	v_cmp_eq_u32_e32 vcc_lo, 0, v86
	v_cndmask_b32_e32 v86, v91, v87, vcc_lo
; %bb.74:
	s_or_b32 exec_lo, exec_lo, s2
	v_and_b32_e32 v87, 0x7f800000, v88
	s_delay_alu instid0(VALU_DEP_1) | instskip(SKIP_1) | instid1(SALU_CYCLE_1)
	v_cmp_ne_u32_e32 vcc_lo, 0x7f800000, v87
                                        ; implicit-def: $vgpr87
	s_and_saveexec_b32 s2, vcc_lo
	s_xor_b32 s2, exec_lo, s2
; %bb.75:
	v_bfe_u32 v87, v88, 16, 1
	s_delay_alu instid0(VALU_DEP_1)
	v_add3_u32 v87, v88, v87, 0x7fff
                                        ; implicit-def: $vgpr88
; %bb.76:
	s_and_not1_saveexec_b32 s2, s2
; %bb.77:
	v_and_b32_e32 v87, 0xffff, v88
	v_or_b32_e32 v91, 0x10000, v88
	s_delay_alu instid0(VALU_DEP_2) | instskip(NEXT) | instid1(VALU_DEP_2)
	v_cmp_eq_u32_e32 vcc_lo, 0, v87
	v_cndmask_b32_e32 v87, v91, v88, vcc_lo
; %bb.78:
	s_or_b32 exec_lo, exec_lo, s2
	s_delay_alu instid0(VALU_DEP_1)
	v_perm_b32 v94, v87, v86, 0x7060302
	v_perm_b32 v93, v80, v90, 0x7060302
	;; [unrolled: 1-line block ×4, first 2 shown]
	v_lshl_or_b32 v90, v73, 11, v85
	ds_store_b128 v76, v[91:94] offset:1024
	s_waitcnt lgkmcnt(0)
	s_barrier
	buffer_gl0_inv
	ds_load_b128 v[77:80], v90
	ds_load_b128 v[91:94], v90 offset:16
	s_waitcnt lgkmcnt(1)
	v_lshrrev_b32_e32 v73, 16, v77
	s_waitcnt lgkmcnt(0)
	v_lshrrev_b32_e32 v108, 16, v94
	v_lshlrev_b32_e32 v87, 2, v83
	v_lshrrev_b32_e32 v99, 16, v91
	v_lshrrev_b32_e32 v103, 16, v78
	;; [unrolled: 1-line block ×4, first 2 shown]
	v_or_b32_e32 v88, 1, v87
	v_cmp_eq_u32_e32 vcc_lo, 1, v87
	v_cmp_eq_u32_e64 s3, 2, v87
	v_cmp_eq_u32_e64 s6, 3, v87
	;; [unrolled: 1-line block ×4, first 2 shown]
	v_cndmask_b32_e32 v89, v77, v73, vcc_lo
	v_cndmask_b32_e32 v95, v91, v99, vcc_lo
	v_cmp_eq_u32_e64 s5, 2, v88
	v_cmp_eq_u32_e64 s7, 3, v88
	v_cndmask_b32_e64 v96, v77, v73, s2
	v_cndmask_b32_e64 v89, v89, v78, s3
	;; [unrolled: 1-line block ×3, first 2 shown]
	v_or_b32_e32 v86, 2, v87
	v_lshrrev_b32_e32 v107, 16, v93
	v_cndmask_b32_e64 v96, v96, v78, s5
	v_cndmask_b32_e64 v89, v89, v103, s6
	v_cndmask_b32_e64 v95, v95, v106, s6
	v_cndmask_b32_e64 v97, v91, v99, s2
	v_cmp_eq_u32_e64 s9, 5, v87
	v_cndmask_b32_e64 v96, v96, v103, s7
	v_cndmask_b32_e64 v89, v89, v79, s8
	;; [unrolled: 1-line block ×3, first 2 shown]
	v_cmp_eq_u32_e64 s10, 4, v88
	v_cmp_eq_u32_e64 s4, 1, v86
	v_cndmask_b32_e64 v97, v97, v92, s5
	v_cndmask_b32_e64 v89, v89, v104, s9
	v_cmp_eq_u32_e64 s11, 6, v87
	v_cndmask_b32_e64 v96, v96, v79, s10
	v_cndmask_b32_e64 v95, v95, v107, s9
	v_cmp_eq_u32_e64 s12, 5, v88
	v_lshrrev_b32_e32 v105, 16, v80
	v_cndmask_b32_e64 v98, v77, v73, s4
	v_cndmask_b32_e64 v97, v97, v106, s7
	;; [unrolled: 1-line block ×4, first 2 shown]
	v_cmp_eq_u32_e64 s13, 7, v87
	v_cndmask_b32_e64 v95, v95, v94, s11
	v_cmp_eq_u32_e64 s15, 6, v88
	v_cmp_eq_u32_e64 s16, 2, v86
	v_cndmask_b32_e64 v97, v97, v93, s10
	v_cndmask_b32_e64 v109, v89, v105, s13
	;; [unrolled: 1-line block ×6, first 2 shown]
	v_cmp_eq_u32_e64 s17, 7, v88
	v_cmp_eq_u32_e64 s18, 3, v86
	;; [unrolled: 1-line block ×4, first 2 shown]
	v_cndmask_b32_e64 v95, v95, v92, s16
	v_cndmask_b32_e64 v111, v96, v105, s17
	;; [unrolled: 1-line block ×4, first 2 shown]
	v_or_b32_e32 v89, 3, v87
	v_cndmask_b32_e64 v101, v95, v106, s18
	v_cmp_eq_u32_e64 s23, 6, v86
	v_cndmask_b32_e64 v112, v96, v94, s15
	v_cndmask_b32_e64 v100, v97, v79, s19
	v_cmp_eq_u32_e64 s20, 1, v89
	ds_load_b128 v[95:98], v90 offset:1024
	v_cmp_eq_u32_e64 s22, 2, v89
	v_cmp_eq_u32_e64 s24, 3, v89
	v_cndmask_b32_e64 v113, v100, v104, s21
	v_cndmask_b32_e64 v73, v77, v73, s20
	;; [unrolled: 1-line block ×4, first 2 shown]
	ds_load_b128 v[99:102], v90 offset:1040
	v_cmp_eq_u32_e64 s25, 4, v89
	v_cndmask_b32_e64 v73, v73, v78, s22
	v_cmp_eq_u32_e64 s26, 7, v86
	v_cndmask_b32_e64 v78, v91, v92, s22
	v_cndmask_b32_e64 v92, v113, v80, s23
	v_cmp_eq_u32_e64 s27, 5, v89
	v_cndmask_b32_e64 v73, v73, v103, s24
	v_cndmask_b32_e64 v77, v77, v107, s21
	;; [unrolled: 1-line block ×3, first 2 shown]
	v_cmp_eq_u32_e64 s28, 6, v89
	v_cndmask_b32_e64 v91, v112, v108, s17
	v_cndmask_b32_e64 v73, v73, v79, s25
	s_waitcnt lgkmcnt(1)
	v_lshrrev_b32_e32 v103, 16, v95
	v_cndmask_b32_e64 v78, v78, v93, s25
	v_cndmask_b32_e64 v79, v92, v105, s26
	;; [unrolled: 1-line block ×4, first 2 shown]
	v_cndmask_b32_e32 v92, v95, v103, vcc_lo
	v_cndmask_b32_e64 v78, v78, v107, s27
	s_waitcnt lgkmcnt(0)
	v_lshrrev_b32_e32 v93, 16, v99
	v_lshrrev_b32_e32 v104, 16, v96
	v_cndmask_b32_e64 v106, v95, v103, s2
	v_cndmask_b32_e64 v92, v92, v96, s3
	;; [unrolled: 1-line block ×3, first 2 shown]
	v_cndmask_b32_e32 v107, v99, v93, vcc_lo
	v_cndmask_b32_e64 v78, v78, v94, s28
	v_cmp_eq_u32_e32 vcc_lo, 7, v89
	v_cndmask_b32_e64 v80, v92, v104, s6
	v_cndmask_b32_e64 v92, v106, v96, s5
	;; [unrolled: 1-line block ×3, first 2 shown]
	v_lshrrev_b32_e32 v106, 16, v100
	v_cndmask_b32_e64 v77, v77, v108, s26
	v_cndmask_b32_e32 v78, v78, v108, vcc_lo
	v_lshrrev_b32_e32 v108, 16, v101
	v_cndmask_b32_e64 v80, v80, v97, s8
	v_cndmask_b32_e64 v94, v94, v106, s6
	v_lshrrev_b32_e32 v107, 16, v97
	v_cndmask_b32_e32 v73, v73, v105, vcc_lo
	v_perm_b32 v79, v77, v79, 0x5040100
	v_cndmask_b32_e64 v92, v92, v104, s7
	v_cndmask_b32_e64 v94, v94, v101, s8
	;; [unrolled: 1-line block ×3, first 2 shown]
	v_perm_b32 v80, v78, v73, 0x5040100
	v_perm_b32 v78, v91, v111, 0x5040100
	v_cndmask_b32_e64 v111, v99, v93, s4
	v_cndmask_b32_e64 v94, v94, v108, s9
	v_cndmask_b32_e64 v92, v92, v97, s10
	s_delay_alu instid0(VALU_DEP_2)
	v_cndmask_b32_e64 v77, v94, v102, s11
	v_cndmask_b32_e64 v94, v95, v103, s4
	;; [unrolled: 1-line block ×22, first 2 shown]
	v_lshrrev_b32_e32 v105, 16, v98
	v_cndmask_b32_e64 v94, v94, v107, s21
	v_cndmask_b32_e64 v95, v95, v107, s27
	v_cndmask_b32_e64 v96, v96, v108, s27
	v_cndmask_b32_e64 v97, v97, v108, s21
	v_cndmask_b32_e64 v93, v93, v108, s12
	v_cndmask_b32_e64 v73, v73, v98, s15
	v_cndmask_b32_e64 v91, v92, v105, s13
	v_lshrrev_b32_e32 v92, 16, v102
	v_cndmask_b32_e64 v94, v94, v98, s23
	v_cndmask_b32_e64 v95, v95, v98, s28
	;; [unrolled: 1-line block ×7, first 2 shown]
	v_dual_cndmask_b32 v94, v95, v105 :: v_dual_cndmask_b32 v95, v96, v92
	v_cndmask_b32_e64 v96, v97, v92, s26
	v_cndmask_b32_e64 v97, v93, v92, s17
	;; [unrolled: 1-line block ×3, first 2 shown]
	v_perm_b32 v77, v110, v109, 0x5040100
	v_perm_b32 v94, v95, v94, 0x5040100
	v_perm_b32 v93, v96, v98, 0x5040100
	v_perm_b32 v92, v97, v73, 0x5040100
	v_perm_b32 v91, v99, v91, 0x5040100
	s_lshl_b32 s7, s35, 2
	s_mov_b32 s2, exec_lo
	ds_store_b128 v76, v[77:80]
	ds_store_b128 v76, v[91:94] offset:1024
	v_cmpx_gt_u32_e32 4, v0
	s_cbranch_execz .LBB749_80
; %bb.79:
	v_or_b32_e32 v73, s29, v0
	s_load_b128 s[8:11], s[0:1], 0x58
	s_delay_alu instid0(VALU_DEP_1) | instskip(NEXT) | instid1(VALU_DEP_1)
	v_mad_u64_u32 v[76:77], null, s7, s30, v[73:74]
	v_mad_u64_u32 v[77:78], null, v76, s34, s[14:15]
	s_delay_alu instid0(VALU_DEP_1) | instskip(NEXT) | instid1(VALU_DEP_1)
	v_ashrrev_i32_e32 v78, 31, v77
	v_lshlrev_b64 v[76:77], 2, v[77:78]
	s_waitcnt lgkmcnt(0)
	s_delay_alu instid0(VALU_DEP_1) | instskip(NEXT) | instid1(VALU_DEP_2)
	v_add_co_u32 v78, vcc_lo, s10, v76
	v_add_co_ci_u32_e32 v79, vcc_lo, s11, v77, vcc_lo
	v_add_co_u32 v76, vcc_lo, s8, v76
	v_add_co_ci_u32_e32 v77, vcc_lo, s9, v77, vcc_lo
	global_store_b32 v[78:79], v74, off
	global_store_b32 v[76:77], v75, off
.LBB749_80:
	s_or_b32 exec_lo, exec_lo, s2
	s_waitcnt lgkmcnt(0)
	s_waitcnt_vscnt null, 0x0
	s_barrier
	buffer_gl0_inv
	ds_load_b128 v[91:94], v85
	ds_load_b128 v[95:98], v85 offset:16
	ds_load_b128 v[103:106], v85 offset:1040
	;; [unrolled: 1-line block ×3, first 2 shown]
	v_mov_b32_e32 v73, 0
	ds_load_b128 v[111:114], v85 offset:2064
	ds_load_b128 v[107:110], v85 offset:2048
	;; [unrolled: 1-line block ×6, first 2 shown]
	v_mov_b32_e32 v74, v73
	v_mov_b32_e32 v75, v73
	;; [unrolled: 1-line block ×7, first 2 shown]
	s_waitcnt lgkmcnt(8)
	s_delay_alu instid0(VALU_DEP_1)
	v_wmma_f32_16x16x16_bf16 v[73:80], v[65:72], v[91:98], v[73:80]
	ds_load_b128 v[69:72], v85 offset:5136
	ds_load_b128 v[65:68], v85 offset:5120
	;; [unrolled: 1-line block ×4, first 2 shown]
	s_waitcnt lgkmcnt(10)
	v_wmma_f32_16x16x16_bf16 v[73:80], v[57:64], v[99:106], v[73:80]
	s_waitcnt lgkmcnt(8)
	s_delay_alu instid0(VALU_DEP_1)
	v_wmma_f32_16x16x16_bf16 v[73:80], v[57:64], v[107:114], v[73:80]
	ds_load_b128 v[61:64], v85 offset:7184
	ds_load_b128 v[57:60], v85 offset:7168
	;; [unrolled: 1-line block ×4, first 2 shown]
	s_waitcnt lgkmcnt(10)
	v_wmma_f32_16x16x16_bf16 v[73:80], v[49:56], v[115:122], v[73:80]
	s_waitcnt lgkmcnt(8)
	s_delay_alu instid0(VALU_DEP_1)
	v_wmma_f32_16x16x16_bf16 v[73:80], v[49:56], v[123:130], v[73:80]
	ds_load_b128 v[53:56], v85 offset:9232
	ds_load_b128 v[49:52], v85 offset:9216
	s_waitcnt lgkmcnt(8)
	v_wmma_f32_16x16x16_bf16 v[73:80], v[41:48], v[65:72], v[73:80]
	ds_load_b128 v[69:72], v85 offset:10256
	ds_load_b128 v[65:68], v85 offset:10240
	s_waitcnt lgkmcnt(8)
	;; [unrolled: 4-line block ×3, first 2 shown]
	v_wmma_f32_16x16x16_bf16 v[73:80], v[9:16], v[57:64], v[73:80]
	s_waitcnt lgkmcnt(6)
	s_delay_alu instid0(VALU_DEP_1)
	v_wmma_f32_16x16x16_bf16 v[73:80], v[9:16], v[99:106], v[73:80]
	ds_load_b128 v[13:16], v85 offset:12304
	ds_load_b128 v[9:12], v85 offset:12288
	s_waitcnt lgkmcnt(6)
	v_wmma_f32_16x16x16_bf16 v[73:80], v[1:8], v[49:56], v[73:80]
	ds_load_b128 v[53:56], v85 offset:13328
	ds_load_b128 v[49:52], v85 offset:13312
	s_waitcnt lgkmcnt(6)
	;; [unrolled: 4-line block ×4, first 2 shown]
	v_wmma_f32_16x16x16_bf16 v[73:80], v[33:40], v[9:16], v[73:80]
	s_waitcnt lgkmcnt(4)
	s_delay_alu instid0(VALU_DEP_1) | instskip(SKIP_1) | instid1(VALU_DEP_1)
	v_wmma_f32_16x16x16_bf16 v[73:80], v[25:32], v[49:56], v[73:80]
	s_waitcnt lgkmcnt(2)
	v_wmma_f32_16x16x16_bf16 v[73:80], v[25:32], v[1:8], v[73:80]
	s_waitcnt lgkmcnt(0)
	s_delay_alu instid0(VALU_DEP_1) | instskip(NEXT) | instid1(VALU_DEP_1)
	v_wmma_f32_16x16x16_bf16 v[73:80], v[17:24], v[41:48], v[73:80]
	v_and_b32_e32 v1, 0x7f800000, v73
	s_delay_alu instid0(VALU_DEP_1) | instskip(SKIP_1) | instid1(SALU_CYCLE_1)
	v_cmp_ne_u32_e32 vcc_lo, 0x7f800000, v1
                                        ; implicit-def: $vgpr1
	s_and_saveexec_b32 s2, vcc_lo
	s_xor_b32 s2, exec_lo, s2
; %bb.81:
	v_bfe_u32 v1, v73, 16, 1
	s_delay_alu instid0(VALU_DEP_1)
	v_add3_u32 v1, v73, v1, 0x7fff
; %bb.82:
	s_and_not1_saveexec_b32 s2, s2
; %bb.83:
	v_and_b32_e32 v1, 0xffff, v73
	v_or_b32_e32 v2, 0x10000, v73
	s_delay_alu instid0(VALU_DEP_2) | instskip(NEXT) | instid1(VALU_DEP_2)
	v_cmp_eq_u32_e32 vcc_lo, 0, v1
	v_cndmask_b32_e32 v1, v2, v73, vcc_lo
; %bb.84:
	s_or_b32 exec_lo, exec_lo, s2
	v_and_b32_e32 v2, 0x7f800000, v74
	s_delay_alu instid0(VALU_DEP_1) | instskip(SKIP_1) | instid1(SALU_CYCLE_1)
	v_cmp_ne_u32_e32 vcc_lo, 0x7f800000, v2
                                        ; implicit-def: $vgpr2
	s_and_saveexec_b32 s2, vcc_lo
	s_xor_b32 s2, exec_lo, s2
; %bb.85:
	v_bfe_u32 v2, v74, 16, 1
	s_delay_alu instid0(VALU_DEP_1)
	v_add3_u32 v2, v74, v2, 0x7fff
; %bb.86:
	s_and_not1_saveexec_b32 s2, s2
; %bb.87:
	v_and_b32_e32 v2, 0xffff, v74
	v_or_b32_e32 v3, 0x10000, v74
	s_delay_alu instid0(VALU_DEP_2) | instskip(NEXT) | instid1(VALU_DEP_2)
	v_cmp_eq_u32_e32 vcc_lo, 0, v2
	v_cndmask_b32_e32 v2, v3, v74, vcc_lo
; %bb.88:
	s_or_b32 exec_lo, exec_lo, s2
	v_and_b32_e32 v3, 0x7f800000, v75
	s_delay_alu instid0(VALU_DEP_1) | instskip(SKIP_1) | instid1(SALU_CYCLE_1)
	v_cmp_ne_u32_e32 vcc_lo, 0x7f800000, v3
                                        ; implicit-def: $vgpr3
	s_and_saveexec_b32 s2, vcc_lo
	s_xor_b32 s2, exec_lo, s2
; %bb.89:
	v_bfe_u32 v3, v75, 16, 1
	s_delay_alu instid0(VALU_DEP_1)
	v_add3_u32 v3, v75, v3, 0x7fff
; %bb.90:
	s_and_not1_saveexec_b32 s2, s2
; %bb.91:
	v_and_b32_e32 v3, 0xffff, v75
	v_or_b32_e32 v4, 0x10000, v75
	s_delay_alu instid0(VALU_DEP_2) | instskip(NEXT) | instid1(VALU_DEP_2)
	v_cmp_eq_u32_e32 vcc_lo, 0, v3
	v_cndmask_b32_e32 v3, v4, v75, vcc_lo
; %bb.92:
	s_or_b32 exec_lo, exec_lo, s2
	v_and_b32_e32 v4, 0x7f800000, v76
	s_delay_alu instid0(VALU_DEP_1) | instskip(SKIP_1) | instid1(SALU_CYCLE_1)
	v_cmp_ne_u32_e32 vcc_lo, 0x7f800000, v4
                                        ; implicit-def: $vgpr4
	s_and_saveexec_b32 s2, vcc_lo
	s_xor_b32 s2, exec_lo, s2
; %bb.93:
	v_bfe_u32 v4, v76, 16, 1
	s_delay_alu instid0(VALU_DEP_1)
	v_add3_u32 v4, v76, v4, 0x7fff
; %bb.94:
	s_and_not1_saveexec_b32 s2, s2
; %bb.95:
	v_and_b32_e32 v4, 0xffff, v76
	v_or_b32_e32 v5, 0x10000, v76
	s_delay_alu instid0(VALU_DEP_2) | instskip(NEXT) | instid1(VALU_DEP_2)
	v_cmp_eq_u32_e32 vcc_lo, 0, v4
	v_cndmask_b32_e32 v4, v5, v76, vcc_lo
; %bb.96:
	s_or_b32 exec_lo, exec_lo, s2
	v_and_b32_e32 v5, 0x7f800000, v77
	s_delay_alu instid0(VALU_DEP_1) | instskip(SKIP_1) | instid1(SALU_CYCLE_1)
	v_cmp_ne_u32_e32 vcc_lo, 0x7f800000, v5
                                        ; implicit-def: $vgpr5
	s_and_saveexec_b32 s2, vcc_lo
	s_xor_b32 s2, exec_lo, s2
; %bb.97:
	v_bfe_u32 v5, v77, 16, 1
	s_delay_alu instid0(VALU_DEP_1)
	v_add3_u32 v5, v77, v5, 0x7fff
; %bb.98:
	s_and_not1_saveexec_b32 s2, s2
; %bb.99:
	v_and_b32_e32 v5, 0xffff, v77
	v_or_b32_e32 v6, 0x10000, v77
	s_delay_alu instid0(VALU_DEP_2) | instskip(NEXT) | instid1(VALU_DEP_2)
	v_cmp_eq_u32_e32 vcc_lo, 0, v5
	v_cndmask_b32_e32 v5, v6, v77, vcc_lo
; %bb.100:
	s_or_b32 exec_lo, exec_lo, s2
	v_and_b32_e32 v6, 0x7f800000, v78
	s_delay_alu instid0(VALU_DEP_1) | instskip(SKIP_1) | instid1(SALU_CYCLE_1)
	v_cmp_ne_u32_e32 vcc_lo, 0x7f800000, v6
                                        ; implicit-def: $vgpr6
	s_and_saveexec_b32 s2, vcc_lo
	s_xor_b32 s2, exec_lo, s2
; %bb.101:
	v_bfe_u32 v6, v78, 16, 1
	s_delay_alu instid0(VALU_DEP_1)
	v_add3_u32 v6, v78, v6, 0x7fff
; %bb.102:
	s_and_not1_saveexec_b32 s2, s2
; %bb.103:
	v_and_b32_e32 v6, 0xffff, v78
	v_or_b32_e32 v7, 0x10000, v78
	s_delay_alu instid0(VALU_DEP_2) | instskip(NEXT) | instid1(VALU_DEP_2)
	v_cmp_eq_u32_e32 vcc_lo, 0, v6
	v_cndmask_b32_e32 v6, v7, v78, vcc_lo
; %bb.104:
	s_or_b32 exec_lo, exec_lo, s2
	v_and_b32_e32 v7, 0x7f800000, v79
	s_delay_alu instid0(VALU_DEP_1) | instskip(SKIP_1) | instid1(SALU_CYCLE_1)
	v_cmp_ne_u32_e32 vcc_lo, 0x7f800000, v7
                                        ; implicit-def: $vgpr7
	s_and_saveexec_b32 s2, vcc_lo
	s_xor_b32 s2, exec_lo, s2
; %bb.105:
	v_bfe_u32 v7, v79, 16, 1
	s_delay_alu instid0(VALU_DEP_1)
	v_add3_u32 v7, v79, v7, 0x7fff
; %bb.106:
	s_and_not1_saveexec_b32 s2, s2
; %bb.107:
	v_and_b32_e32 v7, 0xffff, v79
	v_or_b32_e32 v8, 0x10000, v79
	s_delay_alu instid0(VALU_DEP_2) | instskip(NEXT) | instid1(VALU_DEP_2)
	v_cmp_eq_u32_e32 vcc_lo, 0, v7
	v_cndmask_b32_e32 v7, v8, v79, vcc_lo
; %bb.108:
	s_or_b32 exec_lo, exec_lo, s2
	v_and_b32_e32 v8, 0x7f800000, v80
	s_delay_alu instid0(VALU_DEP_1) | instskip(SKIP_1) | instid1(SALU_CYCLE_1)
	v_cmp_ne_u32_e32 vcc_lo, 0x7f800000, v8
                                        ; implicit-def: $vgpr8
	s_and_saveexec_b32 s2, vcc_lo
	s_xor_b32 s2, exec_lo, s2
; %bb.109:
	v_bfe_u32 v8, v80, 16, 1
	s_delay_alu instid0(VALU_DEP_1)
	v_add3_u32 v8, v80, v8, 0x7fff
                                        ; implicit-def: $vgpr73_vgpr74_vgpr75_vgpr76_vgpr77_vgpr78_vgpr79_vgpr80
; %bb.110:
	s_and_not1_saveexec_b32 s2, s2
; %bb.111:
	v_and_b32_e32 v8, 0xffff, v80
	v_or_b32_e32 v9, 0x10000, v80
	s_delay_alu instid0(VALU_DEP_2) | instskip(NEXT) | instid1(VALU_DEP_2)
	v_cmp_eq_u32_e32 vcc_lo, 0, v8
	v_cndmask_b32_e32 v8, v9, v80, vcc_lo
; %bb.112:
	s_or_b32 exec_lo, exec_lo, s2
	s_delay_alu instid0(VALU_DEP_1)
	v_perm_b32 v7, v8, v7, 0x7060302
	v_perm_b32 v6, v6, v5, 0x7060302
	;; [unrolled: 1-line block ×4, first 2 shown]
	v_lshl_or_b32 v9, v83, 4, v90
	s_barrier
	buffer_gl0_inv
	v_cmp_eq_u32_e32 vcc_lo, 1, v87
	ds_store_b128 v9, v[4:7]
	s_waitcnt lgkmcnt(0)
	s_barrier
	buffer_gl0_inv
	ds_load_b128 v[1:4], v90
	ds_load_b128 v[5:8], v90 offset:16
	v_cmp_eq_u32_e64 s3, 2, v87
	v_cmp_eq_u32_e64 s2, 1, v88
	;; [unrolled: 1-line block ×5, first 2 shown]
	s_waitcnt lgkmcnt(1)
	v_lshrrev_b32_e32 v10, 16, v1
	s_waitcnt lgkmcnt(0)
	v_lshrrev_b32_e32 v14, 16, v5
	v_lshrrev_b32_e32 v15, 16, v6
	;; [unrolled: 1-line block ×4, first 2 shown]
	v_cndmask_b32_e64 v20, v1, v10, s2
	v_cndmask_b32_e32 v19, v5, v14, vcc_lo
	v_cndmask_b32_e64 v21, v5, v14, s2
	v_lshrrev_b32_e32 v16, 16, v7
	v_cmp_eq_u32_e64 s2, 1, v86
	v_lshrrev_b32_e32 v13, 16, v4
	v_cndmask_b32_e64 v19, v19, v6, s3
	v_lshrrev_b32_e32 v17, 16, v8
	s_delay_alu instid0(VALU_DEP_4) | instskip(SKIP_1) | instid1(VALU_DEP_4)
	v_cndmask_b32_e64 v22, v1, v10, s2
	v_cndmask_b32_e64 v23, v5, v14, s2
	;; [unrolled: 1-line block ×3, first 2 shown]
	v_cndmask_b32_e32 v18, v1, v10, vcc_lo
	v_cmp_eq_u32_e32 vcc_lo, 2, v88
	v_cmp_eq_u32_e64 s2, 2, v89
	v_cndmask_b32_e64 v22, v22, v2, s6
	v_cndmask_b32_e32 v20, v20, v2, vcc_lo
	v_cndmask_b32_e32 v21, v21, v6, vcc_lo
	v_cmp_eq_u32_e32 vcc_lo, 4, v87
	v_cndmask_b32_e32 v19, v19, v7, vcc_lo
	v_cndmask_b32_e64 v18, v18, v2, s3
	v_cmp_eq_u32_e64 s3, 3, v88
	s_delay_alu instid0(VALU_DEP_2) | instskip(NEXT) | instid1(VALU_DEP_2)
	v_cndmask_b32_e64 v18, v18, v11, s4
	v_cndmask_b32_e64 v21, v21, v15, s3
	v_cmp_eq_u32_e64 s4, 5, v87
	s_delay_alu instid0(VALU_DEP_3) | instskip(SKIP_1) | instid1(VALU_DEP_3)
	v_cndmask_b32_e32 v18, v18, v3, vcc_lo
	v_cmp_eq_u32_e32 vcc_lo, 4, v88
	v_cndmask_b32_e64 v19, v19, v16, s4
	s_delay_alu instid0(VALU_DEP_3) | instskip(SKIP_4) | instid1(VALU_DEP_3)
	v_cndmask_b32_e64 v18, v18, v12, s4
	v_cndmask_b32_e32 v21, v21, v7, vcc_lo
	v_cndmask_b32_e64 v20, v20, v11, s3
	v_cmp_eq_u32_e64 s3, 5, v88
	v_cmp_eq_u32_e64 s4, 6, v87
	v_cndmask_b32_e32 v20, v20, v3, vcc_lo
	s_delay_alu instid0(VALU_DEP_3) | instskip(SKIP_1) | instid1(VALU_DEP_4)
	v_cndmask_b32_e64 v21, v21, v16, s3
	v_cmp_eq_u32_e32 vcc_lo, 6, v88
	v_cndmask_b32_e64 v18, v18, v4, s4
	v_cndmask_b32_e64 v19, v19, v8, s4
	;; [unrolled: 1-line block ×3, first 2 shown]
	v_cmp_eq_u32_e64 s3, 1, v89
	v_cmp_eq_u32_e64 s4, 7, v87
	s_delay_alu instid0(VALU_DEP_3) | instskip(NEXT) | instid1(VALU_DEP_3)
	v_cndmask_b32_e32 v20, v20, v4, vcc_lo
	v_cndmask_b32_e64 v1, v1, v10, s3
	v_cndmask_b32_e64 v5, v5, v14, s3
	v_cmp_eq_u32_e64 s3, 3, v86
	v_cndmask_b32_e64 v14, v23, v6, s6
	v_cmp_eq_u32_e64 s6, 3, v89
	v_cndmask_b32_e64 v1, v1, v2, s2
	v_cndmask_b32_e64 v2, v5, v6, s2
	;; [unrolled: 1-line block ×3, first 2 shown]
	v_cmp_eq_u32_e64 s2, 4, v86
	v_cndmask_b32_e64 v6, v14, v15, s3
	v_cndmask_b32_e64 v1, v1, v11, s6
	v_cmp_eq_u32_e64 s3, 4, v89
	v_cndmask_b32_e64 v2, v2, v15, s6
	v_cndmask_b32_e64 v5, v10, v3, s2
	;; [unrolled: 3-line block ×3, first 2 shown]
	v_cndmask_b32_e64 v2, v2, v7, s3
	v_cmp_eq_u32_e64 s2, 5, v89
	v_cndmask_b32_e64 v5, v5, v12, s6
	v_cmp_eq_u32_e64 s3, 6, v86
	;; [unrolled: 2-line block ×3, first 2 shown]
	v_cndmask_b32_e64 v1, v1, v12, s2
	v_cndmask_b32_e64 v2, v2, v16, s2
	;; [unrolled: 1-line block ×4, first 2 shown]
	v_cmp_eq_u32_e64 s2, 7, v89
	v_cndmask_b32_e64 v1, v1, v4, s6
	v_cndmask_b32_e64 v2, v2, v8, s6
	v_cmp_eq_u32_e64 s3, 7, v86
	v_cndmask_b32_e32 v4, v21, v8, vcc_lo
	v_cndmask_b32_e64 v18, v18, v13, s4
	v_cndmask_b32_e64 v20, v20, v13, s5
	;; [unrolled: 1-line block ×8, first 2 shown]
	s_mov_b32 s2, exec_lo
	v_perm_b32 v4, v2, v1, 0x5040100
	v_perm_b32 v3, v3, v5, 0x5040100
	;; [unrolled: 1-line block ×4, first 2 shown]
	ds_store_b128 v9, v[1:4]
	s_waitcnt lgkmcnt(0)
	s_barrier
	buffer_gl0_inv
	v_cmpx_gt_u32_e32 32, v0
	s_cbranch_execz .LBB749_2
; %bb.113:
	s_load_b64 s[0:1], s[0:1], 0x68
	v_lshlrev_b32_e32 v0, 10, v0
	v_or_b32_e32 v1, s29, v83
	s_lshl_b32 s4, s34, 7
	v_lshlrev_b32_e32 v2, 4, v84
	s_mul_i32 s2, s4, s30
	v_lshlrev_b32_e32 v3, 6, v83
	v_mul_lo_u32 v8, v1, s4
	v_and_b32_e32 v0, 0x3800, v0
	v_or_b32_e32 v1, 2, v1
	s_mul_i32 s2, s2, s7
	s_delay_alu instid0(SALU_CYCLE_1) | instskip(NEXT) | instid1(VALU_DEP_2)
	s_ashr_i32 s3, s2, 31
	v_or3_b32 v4, v0, v2, v3
	s_lshl_b64 s[2:3], s[2:3], 1
	v_mul_lo_u32 v10, v1, s4
	v_ashrrev_i32_e32 v9, 31, v8
	ds_load_b128 v[0:3], v4
	ds_load_b128 v[4:7], v4 offset:128
	s_waitcnt lgkmcnt(0)
	s_add_u32 s2, s0, s2
	s_addc_u32 s3, s1, s3
	s_lshl_b32 s0, s14, 7
	v_ashrrev_i32_e32 v11, 31, v10
	s_ashr_i32 s1, s0, 31
	v_lshlrev_b64 v[8:9], 1, v[8:9]
	s_lshl_b64 s[0:1], s[0:1], 1
	s_delay_alu instid0(SALU_CYCLE_1) | instskip(SKIP_4) | instid1(VALU_DEP_3)
	s_add_u32 s0, s2, s0
	s_addc_u32 s1, s3, s1
	v_add_co_u32 v12, vcc_lo, s0, v81
	v_add_co_ci_u32_e32 v13, vcc_lo, s1, v82, vcc_lo
	v_lshlrev_b64 v[10:11], 1, v[10:11]
	v_add_co_u32 v8, vcc_lo, v12, v8
	s_delay_alu instid0(VALU_DEP_3) | instskip(NEXT) | instid1(VALU_DEP_3)
	v_add_co_ci_u32_e32 v9, vcc_lo, v13, v9, vcc_lo
	v_add_co_u32 v10, vcc_lo, v12, v10
	s_delay_alu instid0(VALU_DEP_4)
	v_add_co_ci_u32_e32 v11, vcc_lo, v13, v11, vcc_lo
	s_clause 0x1
	global_store_b128 v[8:9], v[0:3], off
	global_store_b128 v[10:11], v[4:7], off
	s_nop 0
	s_sendmsg sendmsg(MSG_DEALLOC_VGPRS)
	s_endpgm
	.section	.rodata,"a",@progbits
	.p2align	6, 0x0
	.amdhsa_kernel _Z39paged_attention_ll4mi_QKV_mfma16_kernelI14__hip_bfloat16S0_LN4vllm18Fp8KVCacheDataTypeE0ES0_Li32ELi128ELi256ELb1ELi4EL8MFMAType0EEvPKT_PKT0_S9_ifPKiSB_SB_iPKfiiiPfSE_PS4_PT2_iSD_SD_
		.amdhsa_group_segment_fixed_size 17472
		.amdhsa_private_segment_fixed_size 0
		.amdhsa_kernarg_size 400
		.amdhsa_user_sgpr_count 13
		.amdhsa_user_sgpr_dispatch_ptr 0
		.amdhsa_user_sgpr_queue_ptr 0
		.amdhsa_user_sgpr_kernarg_segment_ptr 1
		.amdhsa_user_sgpr_dispatch_id 0
		.amdhsa_user_sgpr_private_segment_size 0
		.amdhsa_wavefront_size32 1
		.amdhsa_uses_dynamic_stack 0
		.amdhsa_enable_private_segment 0
		.amdhsa_system_sgpr_workgroup_id_x 1
		.amdhsa_system_sgpr_workgroup_id_y 1
		.amdhsa_system_sgpr_workgroup_id_z 1
		.amdhsa_system_sgpr_workgroup_info 0
		.amdhsa_system_vgpr_workitem_id 0
		.amdhsa_next_free_vgpr 157
		.amdhsa_next_free_sgpr 40
		.amdhsa_reserve_vcc 1
		.amdhsa_float_round_mode_32 0
		.amdhsa_float_round_mode_16_64 0
		.amdhsa_float_denorm_mode_32 3
		.amdhsa_float_denorm_mode_16_64 3
		.amdhsa_dx10_clamp 1
		.amdhsa_ieee_mode 1
		.amdhsa_fp16_overflow 0
		.amdhsa_workgroup_processor_mode 1
		.amdhsa_memory_ordered 1
		.amdhsa_forward_progress 0
		.amdhsa_shared_vgpr_count 0
		.amdhsa_exception_fp_ieee_invalid_op 0
		.amdhsa_exception_fp_denorm_src 0
		.amdhsa_exception_fp_ieee_div_zero 0
		.amdhsa_exception_fp_ieee_overflow 0
		.amdhsa_exception_fp_ieee_underflow 0
		.amdhsa_exception_fp_ieee_inexact 0
		.amdhsa_exception_int_div_zero 0
	.end_amdhsa_kernel
	.section	.text._Z39paged_attention_ll4mi_QKV_mfma16_kernelI14__hip_bfloat16S0_LN4vllm18Fp8KVCacheDataTypeE0ES0_Li32ELi128ELi256ELb1ELi4EL8MFMAType0EEvPKT_PKT0_S9_ifPKiSB_SB_iPKfiiiPfSE_PS4_PT2_iSD_SD_,"axG",@progbits,_Z39paged_attention_ll4mi_QKV_mfma16_kernelI14__hip_bfloat16S0_LN4vllm18Fp8KVCacheDataTypeE0ES0_Li32ELi128ELi256ELb1ELi4EL8MFMAType0EEvPKT_PKT0_S9_ifPKiSB_SB_iPKfiiiPfSE_PS4_PT2_iSD_SD_,comdat
.Lfunc_end749:
	.size	_Z39paged_attention_ll4mi_QKV_mfma16_kernelI14__hip_bfloat16S0_LN4vllm18Fp8KVCacheDataTypeE0ES0_Li32ELi128ELi256ELb1ELi4EL8MFMAType0EEvPKT_PKT0_S9_ifPKiSB_SB_iPKfiiiPfSE_PS4_PT2_iSD_SD_, .Lfunc_end749-_Z39paged_attention_ll4mi_QKV_mfma16_kernelI14__hip_bfloat16S0_LN4vllm18Fp8KVCacheDataTypeE0ES0_Li32ELi128ELi256ELb1ELi4EL8MFMAType0EEvPKT_PKT0_S9_ifPKiSB_SB_iPKfiiiPfSE_PS4_PT2_iSD_SD_
                                        ; -- End function
	.section	.AMDGPU.csdata,"",@progbits
; Kernel info:
; codeLenInByte = 9636
; NumSgprs: 42
; NumVgprs: 157
; ScratchSize: 0
; MemoryBound: 0
; FloatMode: 240
; IeeeMode: 1
; LDSByteSize: 17472 bytes/workgroup (compile time only)
; SGPRBlocks: 5
; VGPRBlocks: 19
; NumSGPRsForWavesPerEU: 42
; NumVGPRsForWavesPerEU: 157
; Occupancy: 9
; WaveLimiterHint : 1
; COMPUTE_PGM_RSRC2:SCRATCH_EN: 0
; COMPUTE_PGM_RSRC2:USER_SGPR: 13
; COMPUTE_PGM_RSRC2:TRAP_HANDLER: 0
; COMPUTE_PGM_RSRC2:TGID_X_EN: 1
; COMPUTE_PGM_RSRC2:TGID_Y_EN: 1
; COMPUTE_PGM_RSRC2:TGID_Z_EN: 1
; COMPUTE_PGM_RSRC2:TIDIG_COMP_CNT: 0
	.section	.text._Z38paged_attention_ll4mi_QKV_mfma4_kernelI14__hip_bfloat16S0_LN4vllm18Fp8KVCacheDataTypeE0ES0_Li32ELi128ELi256ELb0ELi1EEvPKT_PKT0_S8_ifPKiSA_SA_iPKfiiiPfSD_PS3_PT2_iSC_SC_,"axG",@progbits,_Z38paged_attention_ll4mi_QKV_mfma4_kernelI14__hip_bfloat16S0_LN4vllm18Fp8KVCacheDataTypeE0ES0_Li32ELi128ELi256ELb0ELi1EEvPKT_PKT0_S8_ifPKiSA_SA_iPKfiiiPfSD_PS3_PT2_iSC_SC_,comdat
	.protected	_Z38paged_attention_ll4mi_QKV_mfma4_kernelI14__hip_bfloat16S0_LN4vllm18Fp8KVCacheDataTypeE0ES0_Li32ELi128ELi256ELb0ELi1EEvPKT_PKT0_S8_ifPKiSA_SA_iPKfiiiPfSD_PS3_PT2_iSC_SC_ ; -- Begin function _Z38paged_attention_ll4mi_QKV_mfma4_kernelI14__hip_bfloat16S0_LN4vllm18Fp8KVCacheDataTypeE0ES0_Li32ELi128ELi256ELb0ELi1EEvPKT_PKT0_S8_ifPKiSA_SA_iPKfiiiPfSD_PS3_PT2_iSC_SC_
	.globl	_Z38paged_attention_ll4mi_QKV_mfma4_kernelI14__hip_bfloat16S0_LN4vllm18Fp8KVCacheDataTypeE0ES0_Li32ELi128ELi256ELb0ELi1EEvPKT_PKT0_S8_ifPKiSA_SA_iPKfiiiPfSD_PS3_PT2_iSC_SC_
	.p2align	8
	.type	_Z38paged_attention_ll4mi_QKV_mfma4_kernelI14__hip_bfloat16S0_LN4vllm18Fp8KVCacheDataTypeE0ES0_Li32ELi128ELi256ELb0ELi1EEvPKT_PKT0_S8_ifPKiSA_SA_iPKfiiiPfSD_PS3_PT2_iSC_SC_,@function
_Z38paged_attention_ll4mi_QKV_mfma4_kernelI14__hip_bfloat16S0_LN4vllm18Fp8KVCacheDataTypeE0ES0_Li32ELi128ELi256ELb0ELi1EEvPKT_PKT0_S8_ifPKiSA_SA_iPKfiiiPfSD_PS3_PT2_iSC_SC_: ; @_Z38paged_attention_ll4mi_QKV_mfma4_kernelI14__hip_bfloat16S0_LN4vllm18Fp8KVCacheDataTypeE0ES0_Li32ELi128ELi256ELb0ELi1EEvPKT_PKT0_S8_ifPKiSA_SA_iPKfiiiPfSD_PS3_PT2_iSC_SC_
; %bb.0:
	s_add_u32 s8, s0, 0x90
	s_addc_u32 s9, s1, 0
	s_getpc_b64 s[0:1]
	s_add_u32 s0, s0, __PRETTY_FUNCTION__._Z38paged_attention_ll4mi_QKV_mfma4_kernelI14__hip_bfloat16S0_LN4vllm18Fp8KVCacheDataTypeE0ES0_Li32ELi128ELi256ELb0ELi1EEvPKT_PKT0_S8_ifPKiSA_SA_iPKfiiiPfSD_PS3_PT2_iSC_SC_@rel32@lo+4
	s_addc_u32 s1, s1, __PRETTY_FUNCTION__._Z38paged_attention_ll4mi_QKV_mfma4_kernelI14__hip_bfloat16S0_LN4vllm18Fp8KVCacheDataTypeE0ES0_Li32ELi128ELi256ELb0ELi1EEvPKT_PKT0_S8_ifPKiSA_SA_iPKfiiiPfSD_PS3_PT2_iSC_SC_@rel32@hi+12
	s_delay_alu instid0(SALU_CYCLE_1) | instskip(SKIP_4) | instid1(SALU_CYCLE_1)
	v_dual_mov_b32 v0, s0 :: v_dual_mov_b32 v1, s1
	s_mov_b32 s32, 0
	s_getpc_b64 s[2:3]
	s_add_u32 s2, s2, __assert_fail@rel32@lo+4
	s_addc_u32 s3, s3, __assert_fail@rel32@hi+12
	s_swappc_b64 s[30:31], s[2:3]
	.section	.rodata,"a",@progbits
	.p2align	6, 0x0
	.amdhsa_kernel _Z38paged_attention_ll4mi_QKV_mfma4_kernelI14__hip_bfloat16S0_LN4vllm18Fp8KVCacheDataTypeE0ES0_Li32ELi128ELi256ELb0ELi1EEvPKT_PKT0_S8_ifPKiSA_SA_iPKfiiiPfSD_PS3_PT2_iSC_SC_
		.amdhsa_group_segment_fixed_size 0
		.amdhsa_private_segment_fixed_size 64
		.amdhsa_kernarg_size 400
		.amdhsa_user_sgpr_count 15
		.amdhsa_user_sgpr_dispatch_ptr 0
		.amdhsa_user_sgpr_queue_ptr 0
		.amdhsa_user_sgpr_kernarg_segment_ptr 1
		.amdhsa_user_sgpr_dispatch_id 0
		.amdhsa_user_sgpr_private_segment_size 0
		.amdhsa_wavefront_size32 1
		.amdhsa_uses_dynamic_stack 0
		.amdhsa_enable_private_segment 1
		.amdhsa_system_sgpr_workgroup_id_x 1
		.amdhsa_system_sgpr_workgroup_id_y 0
		.amdhsa_system_sgpr_workgroup_id_z 0
		.amdhsa_system_sgpr_workgroup_info 0
		.amdhsa_system_vgpr_workitem_id 0
		.amdhsa_next_free_vgpr 41
		.amdhsa_next_free_sgpr 34
		.amdhsa_reserve_vcc 1
		.amdhsa_float_round_mode_32 0
		.amdhsa_float_round_mode_16_64 0
		.amdhsa_float_denorm_mode_32 3
		.amdhsa_float_denorm_mode_16_64 3
		.amdhsa_dx10_clamp 1
		.amdhsa_ieee_mode 1
		.amdhsa_fp16_overflow 0
		.amdhsa_workgroup_processor_mode 1
		.amdhsa_memory_ordered 1
		.amdhsa_forward_progress 0
		.amdhsa_shared_vgpr_count 0
		.amdhsa_exception_fp_ieee_invalid_op 0
		.amdhsa_exception_fp_denorm_src 0
		.amdhsa_exception_fp_ieee_div_zero 0
		.amdhsa_exception_fp_ieee_overflow 0
		.amdhsa_exception_fp_ieee_underflow 0
		.amdhsa_exception_fp_ieee_inexact 0
		.amdhsa_exception_int_div_zero 0
	.end_amdhsa_kernel
	.section	.text._Z38paged_attention_ll4mi_QKV_mfma4_kernelI14__hip_bfloat16S0_LN4vllm18Fp8KVCacheDataTypeE0ES0_Li32ELi128ELi256ELb0ELi1EEvPKT_PKT0_S8_ifPKiSA_SA_iPKfiiiPfSD_PS3_PT2_iSC_SC_,"axG",@progbits,_Z38paged_attention_ll4mi_QKV_mfma4_kernelI14__hip_bfloat16S0_LN4vllm18Fp8KVCacheDataTypeE0ES0_Li32ELi128ELi256ELb0ELi1EEvPKT_PKT0_S8_ifPKiSA_SA_iPKfiiiPfSD_PS3_PT2_iSC_SC_,comdat
.Lfunc_end750:
	.size	_Z38paged_attention_ll4mi_QKV_mfma4_kernelI14__hip_bfloat16S0_LN4vllm18Fp8KVCacheDataTypeE0ES0_Li32ELi128ELi256ELb0ELi1EEvPKT_PKT0_S8_ifPKiSA_SA_iPKfiiiPfSD_PS3_PT2_iSC_SC_, .Lfunc_end750-_Z38paged_attention_ll4mi_QKV_mfma4_kernelI14__hip_bfloat16S0_LN4vllm18Fp8KVCacheDataTypeE0ES0_Li32ELi128ELi256ELb0ELi1EEvPKT_PKT0_S8_ifPKiSA_SA_iPKfiiiPfSD_PS3_PT2_iSC_SC_
                                        ; -- End function
	.section	.AMDGPU.csdata,"",@progbits
; Kernel info:
; codeLenInByte = 72
; NumSgprs: 36
; NumVgprs: 41
; ScratchSize: 64
; MemoryBound: 0
; FloatMode: 240
; IeeeMode: 1
; LDSByteSize: 0 bytes/workgroup (compile time only)
; SGPRBlocks: 4
; VGPRBlocks: 5
; NumSGPRsForWavesPerEU: 36
; NumVGPRsForWavesPerEU: 41
; Occupancy: 16
; WaveLimiterHint : 1
; COMPUTE_PGM_RSRC2:SCRATCH_EN: 1
; COMPUTE_PGM_RSRC2:USER_SGPR: 15
; COMPUTE_PGM_RSRC2:TRAP_HANDLER: 0
; COMPUTE_PGM_RSRC2:TGID_X_EN: 1
; COMPUTE_PGM_RSRC2:TGID_Y_EN: 0
; COMPUTE_PGM_RSRC2:TGID_Z_EN: 0
; COMPUTE_PGM_RSRC2:TIDIG_COMP_CNT: 0
	.section	.text._Z38paged_attention_ll4mi_QKV_mfma4_kernelI14__hip_bfloat16S0_LN4vllm18Fp8KVCacheDataTypeE0ES0_Li32ELi128ELi256ELb0ELi2EEvPKT_PKT0_S8_ifPKiSA_SA_iPKfiiiPfSD_PS3_PT2_iSC_SC_,"axG",@progbits,_Z38paged_attention_ll4mi_QKV_mfma4_kernelI14__hip_bfloat16S0_LN4vllm18Fp8KVCacheDataTypeE0ES0_Li32ELi128ELi256ELb0ELi2EEvPKT_PKT0_S8_ifPKiSA_SA_iPKfiiiPfSD_PS3_PT2_iSC_SC_,comdat
	.protected	_Z38paged_attention_ll4mi_QKV_mfma4_kernelI14__hip_bfloat16S0_LN4vllm18Fp8KVCacheDataTypeE0ES0_Li32ELi128ELi256ELb0ELi2EEvPKT_PKT0_S8_ifPKiSA_SA_iPKfiiiPfSD_PS3_PT2_iSC_SC_ ; -- Begin function _Z38paged_attention_ll4mi_QKV_mfma4_kernelI14__hip_bfloat16S0_LN4vllm18Fp8KVCacheDataTypeE0ES0_Li32ELi128ELi256ELb0ELi2EEvPKT_PKT0_S8_ifPKiSA_SA_iPKfiiiPfSD_PS3_PT2_iSC_SC_
	.globl	_Z38paged_attention_ll4mi_QKV_mfma4_kernelI14__hip_bfloat16S0_LN4vllm18Fp8KVCacheDataTypeE0ES0_Li32ELi128ELi256ELb0ELi2EEvPKT_PKT0_S8_ifPKiSA_SA_iPKfiiiPfSD_PS3_PT2_iSC_SC_
	.p2align	8
	.type	_Z38paged_attention_ll4mi_QKV_mfma4_kernelI14__hip_bfloat16S0_LN4vllm18Fp8KVCacheDataTypeE0ES0_Li32ELi128ELi256ELb0ELi2EEvPKT_PKT0_S8_ifPKiSA_SA_iPKfiiiPfSD_PS3_PT2_iSC_SC_,@function
_Z38paged_attention_ll4mi_QKV_mfma4_kernelI14__hip_bfloat16S0_LN4vllm18Fp8KVCacheDataTypeE0ES0_Li32ELi128ELi256ELb0ELi2EEvPKT_PKT0_S8_ifPKiSA_SA_iPKfiiiPfSD_PS3_PT2_iSC_SC_: ; @_Z38paged_attention_ll4mi_QKV_mfma4_kernelI14__hip_bfloat16S0_LN4vllm18Fp8KVCacheDataTypeE0ES0_Li32ELi128ELi256ELb0ELi2EEvPKT_PKT0_S8_ifPKiSA_SA_iPKfiiiPfSD_PS3_PT2_iSC_SC_
; %bb.0:
	s_add_u32 s8, s0, 0x90
	s_addc_u32 s9, s1, 0
	s_getpc_b64 s[0:1]
	s_add_u32 s0, s0, __PRETTY_FUNCTION__._Z38paged_attention_ll4mi_QKV_mfma4_kernelI14__hip_bfloat16S0_LN4vllm18Fp8KVCacheDataTypeE0ES0_Li32ELi128ELi256ELb0ELi2EEvPKT_PKT0_S8_ifPKiSA_SA_iPKfiiiPfSD_PS3_PT2_iSC_SC_@rel32@lo+4
	s_addc_u32 s1, s1, __PRETTY_FUNCTION__._Z38paged_attention_ll4mi_QKV_mfma4_kernelI14__hip_bfloat16S0_LN4vllm18Fp8KVCacheDataTypeE0ES0_Li32ELi128ELi256ELb0ELi2EEvPKT_PKT0_S8_ifPKiSA_SA_iPKfiiiPfSD_PS3_PT2_iSC_SC_@rel32@hi+12
	s_delay_alu instid0(SALU_CYCLE_1) | instskip(SKIP_4) | instid1(SALU_CYCLE_1)
	v_dual_mov_b32 v0, s0 :: v_dual_mov_b32 v1, s1
	s_mov_b32 s32, 0
	s_getpc_b64 s[2:3]
	s_add_u32 s2, s2, __assert_fail@rel32@lo+4
	s_addc_u32 s3, s3, __assert_fail@rel32@hi+12
	s_swappc_b64 s[30:31], s[2:3]
	.section	.rodata,"a",@progbits
	.p2align	6, 0x0
	.amdhsa_kernel _Z38paged_attention_ll4mi_QKV_mfma4_kernelI14__hip_bfloat16S0_LN4vllm18Fp8KVCacheDataTypeE0ES0_Li32ELi128ELi256ELb0ELi2EEvPKT_PKT0_S8_ifPKiSA_SA_iPKfiiiPfSD_PS3_PT2_iSC_SC_
		.amdhsa_group_segment_fixed_size 0
		.amdhsa_private_segment_fixed_size 64
		.amdhsa_kernarg_size 400
		.amdhsa_user_sgpr_count 15
		.amdhsa_user_sgpr_dispatch_ptr 0
		.amdhsa_user_sgpr_queue_ptr 0
		.amdhsa_user_sgpr_kernarg_segment_ptr 1
		.amdhsa_user_sgpr_dispatch_id 0
		.amdhsa_user_sgpr_private_segment_size 0
		.amdhsa_wavefront_size32 1
		.amdhsa_uses_dynamic_stack 0
		.amdhsa_enable_private_segment 1
		.amdhsa_system_sgpr_workgroup_id_x 1
		.amdhsa_system_sgpr_workgroup_id_y 0
		.amdhsa_system_sgpr_workgroup_id_z 0
		.amdhsa_system_sgpr_workgroup_info 0
		.amdhsa_system_vgpr_workitem_id 0
		.amdhsa_next_free_vgpr 41
		.amdhsa_next_free_sgpr 34
		.amdhsa_reserve_vcc 1
		.amdhsa_float_round_mode_32 0
		.amdhsa_float_round_mode_16_64 0
		.amdhsa_float_denorm_mode_32 3
		.amdhsa_float_denorm_mode_16_64 3
		.amdhsa_dx10_clamp 1
		.amdhsa_ieee_mode 1
		.amdhsa_fp16_overflow 0
		.amdhsa_workgroup_processor_mode 1
		.amdhsa_memory_ordered 1
		.amdhsa_forward_progress 0
		.amdhsa_shared_vgpr_count 0
		.amdhsa_exception_fp_ieee_invalid_op 0
		.amdhsa_exception_fp_denorm_src 0
		.amdhsa_exception_fp_ieee_div_zero 0
		.amdhsa_exception_fp_ieee_overflow 0
		.amdhsa_exception_fp_ieee_underflow 0
		.amdhsa_exception_fp_ieee_inexact 0
		.amdhsa_exception_int_div_zero 0
	.end_amdhsa_kernel
	.section	.text._Z38paged_attention_ll4mi_QKV_mfma4_kernelI14__hip_bfloat16S0_LN4vllm18Fp8KVCacheDataTypeE0ES0_Li32ELi128ELi256ELb0ELi2EEvPKT_PKT0_S8_ifPKiSA_SA_iPKfiiiPfSD_PS3_PT2_iSC_SC_,"axG",@progbits,_Z38paged_attention_ll4mi_QKV_mfma4_kernelI14__hip_bfloat16S0_LN4vllm18Fp8KVCacheDataTypeE0ES0_Li32ELi128ELi256ELb0ELi2EEvPKT_PKT0_S8_ifPKiSA_SA_iPKfiiiPfSD_PS3_PT2_iSC_SC_,comdat
.Lfunc_end751:
	.size	_Z38paged_attention_ll4mi_QKV_mfma4_kernelI14__hip_bfloat16S0_LN4vllm18Fp8KVCacheDataTypeE0ES0_Li32ELi128ELi256ELb0ELi2EEvPKT_PKT0_S8_ifPKiSA_SA_iPKfiiiPfSD_PS3_PT2_iSC_SC_, .Lfunc_end751-_Z38paged_attention_ll4mi_QKV_mfma4_kernelI14__hip_bfloat16S0_LN4vllm18Fp8KVCacheDataTypeE0ES0_Li32ELi128ELi256ELb0ELi2EEvPKT_PKT0_S8_ifPKiSA_SA_iPKfiiiPfSD_PS3_PT2_iSC_SC_
                                        ; -- End function
	.section	.AMDGPU.csdata,"",@progbits
; Kernel info:
; codeLenInByte = 72
; NumSgprs: 36
; NumVgprs: 41
; ScratchSize: 64
; MemoryBound: 0
; FloatMode: 240
; IeeeMode: 1
; LDSByteSize: 0 bytes/workgroup (compile time only)
; SGPRBlocks: 4
; VGPRBlocks: 5
; NumSGPRsForWavesPerEU: 36
; NumVGPRsForWavesPerEU: 41
; Occupancy: 16
; WaveLimiterHint : 1
; COMPUTE_PGM_RSRC2:SCRATCH_EN: 1
; COMPUTE_PGM_RSRC2:USER_SGPR: 15
; COMPUTE_PGM_RSRC2:TRAP_HANDLER: 0
; COMPUTE_PGM_RSRC2:TGID_X_EN: 1
; COMPUTE_PGM_RSRC2:TGID_Y_EN: 0
; COMPUTE_PGM_RSRC2:TGID_Z_EN: 0
; COMPUTE_PGM_RSRC2:TIDIG_COMP_CNT: 0
	.section	.text._Z38paged_attention_ll4mi_QKV_mfma4_kernelI14__hip_bfloat16S0_LN4vllm18Fp8KVCacheDataTypeE0ES0_Li32ELi128ELi256ELb0ELi3EEvPKT_PKT0_S8_ifPKiSA_SA_iPKfiiiPfSD_PS3_PT2_iSC_SC_,"axG",@progbits,_Z38paged_attention_ll4mi_QKV_mfma4_kernelI14__hip_bfloat16S0_LN4vllm18Fp8KVCacheDataTypeE0ES0_Li32ELi128ELi256ELb0ELi3EEvPKT_PKT0_S8_ifPKiSA_SA_iPKfiiiPfSD_PS3_PT2_iSC_SC_,comdat
	.protected	_Z38paged_attention_ll4mi_QKV_mfma4_kernelI14__hip_bfloat16S0_LN4vllm18Fp8KVCacheDataTypeE0ES0_Li32ELi128ELi256ELb0ELi3EEvPKT_PKT0_S8_ifPKiSA_SA_iPKfiiiPfSD_PS3_PT2_iSC_SC_ ; -- Begin function _Z38paged_attention_ll4mi_QKV_mfma4_kernelI14__hip_bfloat16S0_LN4vllm18Fp8KVCacheDataTypeE0ES0_Li32ELi128ELi256ELb0ELi3EEvPKT_PKT0_S8_ifPKiSA_SA_iPKfiiiPfSD_PS3_PT2_iSC_SC_
	.globl	_Z38paged_attention_ll4mi_QKV_mfma4_kernelI14__hip_bfloat16S0_LN4vllm18Fp8KVCacheDataTypeE0ES0_Li32ELi128ELi256ELb0ELi3EEvPKT_PKT0_S8_ifPKiSA_SA_iPKfiiiPfSD_PS3_PT2_iSC_SC_
	.p2align	8
	.type	_Z38paged_attention_ll4mi_QKV_mfma4_kernelI14__hip_bfloat16S0_LN4vllm18Fp8KVCacheDataTypeE0ES0_Li32ELi128ELi256ELb0ELi3EEvPKT_PKT0_S8_ifPKiSA_SA_iPKfiiiPfSD_PS3_PT2_iSC_SC_,@function
_Z38paged_attention_ll4mi_QKV_mfma4_kernelI14__hip_bfloat16S0_LN4vllm18Fp8KVCacheDataTypeE0ES0_Li32ELi128ELi256ELb0ELi3EEvPKT_PKT0_S8_ifPKiSA_SA_iPKfiiiPfSD_PS3_PT2_iSC_SC_: ; @_Z38paged_attention_ll4mi_QKV_mfma4_kernelI14__hip_bfloat16S0_LN4vllm18Fp8KVCacheDataTypeE0ES0_Li32ELi128ELi256ELb0ELi3EEvPKT_PKT0_S8_ifPKiSA_SA_iPKfiiiPfSD_PS3_PT2_iSC_SC_
; %bb.0:
	s_add_u32 s8, s0, 0x90
	s_addc_u32 s9, s1, 0
	s_getpc_b64 s[0:1]
	s_add_u32 s0, s0, __PRETTY_FUNCTION__._Z38paged_attention_ll4mi_QKV_mfma4_kernelI14__hip_bfloat16S0_LN4vllm18Fp8KVCacheDataTypeE0ES0_Li32ELi128ELi256ELb0ELi3EEvPKT_PKT0_S8_ifPKiSA_SA_iPKfiiiPfSD_PS3_PT2_iSC_SC_@rel32@lo+4
	s_addc_u32 s1, s1, __PRETTY_FUNCTION__._Z38paged_attention_ll4mi_QKV_mfma4_kernelI14__hip_bfloat16S0_LN4vllm18Fp8KVCacheDataTypeE0ES0_Li32ELi128ELi256ELb0ELi3EEvPKT_PKT0_S8_ifPKiSA_SA_iPKfiiiPfSD_PS3_PT2_iSC_SC_@rel32@hi+12
	s_delay_alu instid0(SALU_CYCLE_1) | instskip(SKIP_4) | instid1(SALU_CYCLE_1)
	v_dual_mov_b32 v0, s0 :: v_dual_mov_b32 v1, s1
	s_mov_b32 s32, 0
	s_getpc_b64 s[2:3]
	s_add_u32 s2, s2, __assert_fail@rel32@lo+4
	s_addc_u32 s3, s3, __assert_fail@rel32@hi+12
	s_swappc_b64 s[30:31], s[2:3]
	.section	.rodata,"a",@progbits
	.p2align	6, 0x0
	.amdhsa_kernel _Z38paged_attention_ll4mi_QKV_mfma4_kernelI14__hip_bfloat16S0_LN4vllm18Fp8KVCacheDataTypeE0ES0_Li32ELi128ELi256ELb0ELi3EEvPKT_PKT0_S8_ifPKiSA_SA_iPKfiiiPfSD_PS3_PT2_iSC_SC_
		.amdhsa_group_segment_fixed_size 0
		.amdhsa_private_segment_fixed_size 64
		.amdhsa_kernarg_size 400
		.amdhsa_user_sgpr_count 15
		.amdhsa_user_sgpr_dispatch_ptr 0
		.amdhsa_user_sgpr_queue_ptr 0
		.amdhsa_user_sgpr_kernarg_segment_ptr 1
		.amdhsa_user_sgpr_dispatch_id 0
		.amdhsa_user_sgpr_private_segment_size 0
		.amdhsa_wavefront_size32 1
		.amdhsa_uses_dynamic_stack 0
		.amdhsa_enable_private_segment 1
		.amdhsa_system_sgpr_workgroup_id_x 1
		.amdhsa_system_sgpr_workgroup_id_y 0
		.amdhsa_system_sgpr_workgroup_id_z 0
		.amdhsa_system_sgpr_workgroup_info 0
		.amdhsa_system_vgpr_workitem_id 0
		.amdhsa_next_free_vgpr 41
		.amdhsa_next_free_sgpr 34
		.amdhsa_reserve_vcc 1
		.amdhsa_float_round_mode_32 0
		.amdhsa_float_round_mode_16_64 0
		.amdhsa_float_denorm_mode_32 3
		.amdhsa_float_denorm_mode_16_64 3
		.amdhsa_dx10_clamp 1
		.amdhsa_ieee_mode 1
		.amdhsa_fp16_overflow 0
		.amdhsa_workgroup_processor_mode 1
		.amdhsa_memory_ordered 1
		.amdhsa_forward_progress 0
		.amdhsa_shared_vgpr_count 0
		.amdhsa_exception_fp_ieee_invalid_op 0
		.amdhsa_exception_fp_denorm_src 0
		.amdhsa_exception_fp_ieee_div_zero 0
		.amdhsa_exception_fp_ieee_overflow 0
		.amdhsa_exception_fp_ieee_underflow 0
		.amdhsa_exception_fp_ieee_inexact 0
		.amdhsa_exception_int_div_zero 0
	.end_amdhsa_kernel
	.section	.text._Z38paged_attention_ll4mi_QKV_mfma4_kernelI14__hip_bfloat16S0_LN4vllm18Fp8KVCacheDataTypeE0ES0_Li32ELi128ELi256ELb0ELi3EEvPKT_PKT0_S8_ifPKiSA_SA_iPKfiiiPfSD_PS3_PT2_iSC_SC_,"axG",@progbits,_Z38paged_attention_ll4mi_QKV_mfma4_kernelI14__hip_bfloat16S0_LN4vllm18Fp8KVCacheDataTypeE0ES0_Li32ELi128ELi256ELb0ELi3EEvPKT_PKT0_S8_ifPKiSA_SA_iPKfiiiPfSD_PS3_PT2_iSC_SC_,comdat
.Lfunc_end752:
	.size	_Z38paged_attention_ll4mi_QKV_mfma4_kernelI14__hip_bfloat16S0_LN4vllm18Fp8KVCacheDataTypeE0ES0_Li32ELi128ELi256ELb0ELi3EEvPKT_PKT0_S8_ifPKiSA_SA_iPKfiiiPfSD_PS3_PT2_iSC_SC_, .Lfunc_end752-_Z38paged_attention_ll4mi_QKV_mfma4_kernelI14__hip_bfloat16S0_LN4vllm18Fp8KVCacheDataTypeE0ES0_Li32ELi128ELi256ELb0ELi3EEvPKT_PKT0_S8_ifPKiSA_SA_iPKfiiiPfSD_PS3_PT2_iSC_SC_
                                        ; -- End function
	.section	.AMDGPU.csdata,"",@progbits
; Kernel info:
; codeLenInByte = 72
; NumSgprs: 36
; NumVgprs: 41
; ScratchSize: 64
; MemoryBound: 0
; FloatMode: 240
; IeeeMode: 1
; LDSByteSize: 0 bytes/workgroup (compile time only)
; SGPRBlocks: 4
; VGPRBlocks: 5
; NumSGPRsForWavesPerEU: 36
; NumVGPRsForWavesPerEU: 41
; Occupancy: 16
; WaveLimiterHint : 1
; COMPUTE_PGM_RSRC2:SCRATCH_EN: 1
; COMPUTE_PGM_RSRC2:USER_SGPR: 15
; COMPUTE_PGM_RSRC2:TRAP_HANDLER: 0
; COMPUTE_PGM_RSRC2:TGID_X_EN: 1
; COMPUTE_PGM_RSRC2:TGID_Y_EN: 0
; COMPUTE_PGM_RSRC2:TGID_Z_EN: 0
; COMPUTE_PGM_RSRC2:TIDIG_COMP_CNT: 0
	.section	.text._Z38paged_attention_ll4mi_QKV_mfma4_kernelI14__hip_bfloat16S0_LN4vllm18Fp8KVCacheDataTypeE0ES0_Li32ELi128ELi256ELb0ELi4EEvPKT_PKT0_S8_ifPKiSA_SA_iPKfiiiPfSD_PS3_PT2_iSC_SC_,"axG",@progbits,_Z38paged_attention_ll4mi_QKV_mfma4_kernelI14__hip_bfloat16S0_LN4vllm18Fp8KVCacheDataTypeE0ES0_Li32ELi128ELi256ELb0ELi4EEvPKT_PKT0_S8_ifPKiSA_SA_iPKfiiiPfSD_PS3_PT2_iSC_SC_,comdat
	.protected	_Z38paged_attention_ll4mi_QKV_mfma4_kernelI14__hip_bfloat16S0_LN4vllm18Fp8KVCacheDataTypeE0ES0_Li32ELi128ELi256ELb0ELi4EEvPKT_PKT0_S8_ifPKiSA_SA_iPKfiiiPfSD_PS3_PT2_iSC_SC_ ; -- Begin function _Z38paged_attention_ll4mi_QKV_mfma4_kernelI14__hip_bfloat16S0_LN4vllm18Fp8KVCacheDataTypeE0ES0_Li32ELi128ELi256ELb0ELi4EEvPKT_PKT0_S8_ifPKiSA_SA_iPKfiiiPfSD_PS3_PT2_iSC_SC_
	.globl	_Z38paged_attention_ll4mi_QKV_mfma4_kernelI14__hip_bfloat16S0_LN4vllm18Fp8KVCacheDataTypeE0ES0_Li32ELi128ELi256ELb0ELi4EEvPKT_PKT0_S8_ifPKiSA_SA_iPKfiiiPfSD_PS3_PT2_iSC_SC_
	.p2align	8
	.type	_Z38paged_attention_ll4mi_QKV_mfma4_kernelI14__hip_bfloat16S0_LN4vllm18Fp8KVCacheDataTypeE0ES0_Li32ELi128ELi256ELb0ELi4EEvPKT_PKT0_S8_ifPKiSA_SA_iPKfiiiPfSD_PS3_PT2_iSC_SC_,@function
_Z38paged_attention_ll4mi_QKV_mfma4_kernelI14__hip_bfloat16S0_LN4vllm18Fp8KVCacheDataTypeE0ES0_Li32ELi128ELi256ELb0ELi4EEvPKT_PKT0_S8_ifPKiSA_SA_iPKfiiiPfSD_PS3_PT2_iSC_SC_: ; @_Z38paged_attention_ll4mi_QKV_mfma4_kernelI14__hip_bfloat16S0_LN4vllm18Fp8KVCacheDataTypeE0ES0_Li32ELi128ELi256ELb0ELi4EEvPKT_PKT0_S8_ifPKiSA_SA_iPKfiiiPfSD_PS3_PT2_iSC_SC_
; %bb.0:
	s_add_u32 s8, s0, 0x90
	s_addc_u32 s9, s1, 0
	s_getpc_b64 s[0:1]
	s_add_u32 s0, s0, __PRETTY_FUNCTION__._Z38paged_attention_ll4mi_QKV_mfma4_kernelI14__hip_bfloat16S0_LN4vllm18Fp8KVCacheDataTypeE0ES0_Li32ELi128ELi256ELb0ELi4EEvPKT_PKT0_S8_ifPKiSA_SA_iPKfiiiPfSD_PS3_PT2_iSC_SC_@rel32@lo+4
	s_addc_u32 s1, s1, __PRETTY_FUNCTION__._Z38paged_attention_ll4mi_QKV_mfma4_kernelI14__hip_bfloat16S0_LN4vllm18Fp8KVCacheDataTypeE0ES0_Li32ELi128ELi256ELb0ELi4EEvPKT_PKT0_S8_ifPKiSA_SA_iPKfiiiPfSD_PS3_PT2_iSC_SC_@rel32@hi+12
	s_delay_alu instid0(SALU_CYCLE_1) | instskip(SKIP_4) | instid1(SALU_CYCLE_1)
	v_dual_mov_b32 v0, s0 :: v_dual_mov_b32 v1, s1
	s_mov_b32 s32, 0
	s_getpc_b64 s[2:3]
	s_add_u32 s2, s2, __assert_fail@rel32@lo+4
	s_addc_u32 s3, s3, __assert_fail@rel32@hi+12
	s_swappc_b64 s[30:31], s[2:3]
	.section	.rodata,"a",@progbits
	.p2align	6, 0x0
	.amdhsa_kernel _Z38paged_attention_ll4mi_QKV_mfma4_kernelI14__hip_bfloat16S0_LN4vllm18Fp8KVCacheDataTypeE0ES0_Li32ELi128ELi256ELb0ELi4EEvPKT_PKT0_S8_ifPKiSA_SA_iPKfiiiPfSD_PS3_PT2_iSC_SC_
		.amdhsa_group_segment_fixed_size 0
		.amdhsa_private_segment_fixed_size 64
		.amdhsa_kernarg_size 400
		.amdhsa_user_sgpr_count 15
		.amdhsa_user_sgpr_dispatch_ptr 0
		.amdhsa_user_sgpr_queue_ptr 0
		.amdhsa_user_sgpr_kernarg_segment_ptr 1
		.amdhsa_user_sgpr_dispatch_id 0
		.amdhsa_user_sgpr_private_segment_size 0
		.amdhsa_wavefront_size32 1
		.amdhsa_uses_dynamic_stack 0
		.amdhsa_enable_private_segment 1
		.amdhsa_system_sgpr_workgroup_id_x 1
		.amdhsa_system_sgpr_workgroup_id_y 0
		.amdhsa_system_sgpr_workgroup_id_z 0
		.amdhsa_system_sgpr_workgroup_info 0
		.amdhsa_system_vgpr_workitem_id 0
		.amdhsa_next_free_vgpr 41
		.amdhsa_next_free_sgpr 34
		.amdhsa_reserve_vcc 1
		.amdhsa_float_round_mode_32 0
		.amdhsa_float_round_mode_16_64 0
		.amdhsa_float_denorm_mode_32 3
		.amdhsa_float_denorm_mode_16_64 3
		.amdhsa_dx10_clamp 1
		.amdhsa_ieee_mode 1
		.amdhsa_fp16_overflow 0
		.amdhsa_workgroup_processor_mode 1
		.amdhsa_memory_ordered 1
		.amdhsa_forward_progress 0
		.amdhsa_shared_vgpr_count 0
		.amdhsa_exception_fp_ieee_invalid_op 0
		.amdhsa_exception_fp_denorm_src 0
		.amdhsa_exception_fp_ieee_div_zero 0
		.amdhsa_exception_fp_ieee_overflow 0
		.amdhsa_exception_fp_ieee_underflow 0
		.amdhsa_exception_fp_ieee_inexact 0
		.amdhsa_exception_int_div_zero 0
	.end_amdhsa_kernel
	.section	.text._Z38paged_attention_ll4mi_QKV_mfma4_kernelI14__hip_bfloat16S0_LN4vllm18Fp8KVCacheDataTypeE0ES0_Li32ELi128ELi256ELb0ELi4EEvPKT_PKT0_S8_ifPKiSA_SA_iPKfiiiPfSD_PS3_PT2_iSC_SC_,"axG",@progbits,_Z38paged_attention_ll4mi_QKV_mfma4_kernelI14__hip_bfloat16S0_LN4vllm18Fp8KVCacheDataTypeE0ES0_Li32ELi128ELi256ELb0ELi4EEvPKT_PKT0_S8_ifPKiSA_SA_iPKfiiiPfSD_PS3_PT2_iSC_SC_,comdat
.Lfunc_end753:
	.size	_Z38paged_attention_ll4mi_QKV_mfma4_kernelI14__hip_bfloat16S0_LN4vllm18Fp8KVCacheDataTypeE0ES0_Li32ELi128ELi256ELb0ELi4EEvPKT_PKT0_S8_ifPKiSA_SA_iPKfiiiPfSD_PS3_PT2_iSC_SC_, .Lfunc_end753-_Z38paged_attention_ll4mi_QKV_mfma4_kernelI14__hip_bfloat16S0_LN4vllm18Fp8KVCacheDataTypeE0ES0_Li32ELi128ELi256ELb0ELi4EEvPKT_PKT0_S8_ifPKiSA_SA_iPKfiiiPfSD_PS3_PT2_iSC_SC_
                                        ; -- End function
	.section	.AMDGPU.csdata,"",@progbits
; Kernel info:
; codeLenInByte = 72
; NumSgprs: 36
; NumVgprs: 41
; ScratchSize: 64
; MemoryBound: 0
; FloatMode: 240
; IeeeMode: 1
; LDSByteSize: 0 bytes/workgroup (compile time only)
; SGPRBlocks: 4
; VGPRBlocks: 5
; NumSGPRsForWavesPerEU: 36
; NumVGPRsForWavesPerEU: 41
; Occupancy: 16
; WaveLimiterHint : 1
; COMPUTE_PGM_RSRC2:SCRATCH_EN: 1
; COMPUTE_PGM_RSRC2:USER_SGPR: 15
; COMPUTE_PGM_RSRC2:TRAP_HANDLER: 0
; COMPUTE_PGM_RSRC2:TGID_X_EN: 1
; COMPUTE_PGM_RSRC2:TGID_Y_EN: 0
; COMPUTE_PGM_RSRC2:TGID_Z_EN: 0
; COMPUTE_PGM_RSRC2:TIDIG_COMP_CNT: 0
	.section	.text._Z39paged_attention_ll4mi_QKV_mfma16_kernelI14__hip_bfloat16S0_LN4vllm18Fp8KVCacheDataTypeE0ES0_Li32ELi128ELi256ELb0ELi5EL8MFMAType0EEvPKT_PKT0_S9_ifPKiSB_SB_iPKfiiiPfSE_PS4_PT2_iSD_SD_,"axG",@progbits,_Z39paged_attention_ll4mi_QKV_mfma16_kernelI14__hip_bfloat16S0_LN4vllm18Fp8KVCacheDataTypeE0ES0_Li32ELi128ELi256ELb0ELi5EL8MFMAType0EEvPKT_PKT0_S9_ifPKiSB_SB_iPKfiiiPfSE_PS4_PT2_iSD_SD_,comdat
	.protected	_Z39paged_attention_ll4mi_QKV_mfma16_kernelI14__hip_bfloat16S0_LN4vllm18Fp8KVCacheDataTypeE0ES0_Li32ELi128ELi256ELb0ELi5EL8MFMAType0EEvPKT_PKT0_S9_ifPKiSB_SB_iPKfiiiPfSE_PS4_PT2_iSD_SD_ ; -- Begin function _Z39paged_attention_ll4mi_QKV_mfma16_kernelI14__hip_bfloat16S0_LN4vllm18Fp8KVCacheDataTypeE0ES0_Li32ELi128ELi256ELb0ELi5EL8MFMAType0EEvPKT_PKT0_S9_ifPKiSB_SB_iPKfiiiPfSE_PS4_PT2_iSD_SD_
	.globl	_Z39paged_attention_ll4mi_QKV_mfma16_kernelI14__hip_bfloat16S0_LN4vllm18Fp8KVCacheDataTypeE0ES0_Li32ELi128ELi256ELb0ELi5EL8MFMAType0EEvPKT_PKT0_S9_ifPKiSB_SB_iPKfiiiPfSE_PS4_PT2_iSD_SD_
	.p2align	8
	.type	_Z39paged_attention_ll4mi_QKV_mfma16_kernelI14__hip_bfloat16S0_LN4vllm18Fp8KVCacheDataTypeE0ES0_Li32ELi128ELi256ELb0ELi5EL8MFMAType0EEvPKT_PKT0_S9_ifPKiSB_SB_iPKfiiiPfSE_PS4_PT2_iSD_SD_,@function
_Z39paged_attention_ll4mi_QKV_mfma16_kernelI14__hip_bfloat16S0_LN4vllm18Fp8KVCacheDataTypeE0ES0_Li32ELi128ELi256ELb0ELi5EL8MFMAType0EEvPKT_PKT0_S9_ifPKiSB_SB_iPKfiiiPfSE_PS4_PT2_iSD_SD_: ; @_Z39paged_attention_ll4mi_QKV_mfma16_kernelI14__hip_bfloat16S0_LN4vllm18Fp8KVCacheDataTypeE0ES0_Li32ELi128ELi256ELb0ELi5EL8MFMAType0EEvPKT_PKT0_S9_ifPKiSB_SB_iPKfiiiPfSE_PS4_PT2_iSD_SD_
; %bb.0:
	s_load_b64 s[2:3], s[0:1], 0x30
	s_mov_b32 s30, s13
	s_waitcnt lgkmcnt(0)
	s_cmp_lg_u64 s[2:3], 0
	s_cselect_b32 s6, -1, 0
	s_ashr_i32 s31, s13, 31
	s_cmp_eq_u64 s[2:3], 0
	s_cbranch_scc1 .LBB754_3
; %bb.1:
	s_lshl_b64 s[4:5], s[30:31], 2
	s_delay_alu instid0(SALU_CYCLE_1) | instskip(SKIP_4) | instid1(SALU_CYCLE_1)
	s_add_u32 s4, s2, s4
	s_addc_u32 s5, s3, s5
	s_load_b64 s[4:5], s[4:5], 0x0
	s_waitcnt lgkmcnt(0)
	s_sub_i32 s4, s5, s4
	s_cmp_eq_u32 s4, 1
	s_cselect_b32 s4, -1, 0
	s_delay_alu instid0(SALU_CYCLE_1)
	s_and_not1_b32 vcc_lo, exec_lo, s4
	s_cbranch_vccz .LBB754_4
.LBB754_2:
	s_nop 0
	s_sendmsg sendmsg(MSG_DEALLOC_VGPRS)
	s_endpgm
.LBB754_3:
.LBB754_4:
	s_load_b64 s[8:9], s[0:1], 0x28
	s_lshl_b64 s[4:5], s[30:31], 2
	s_waitcnt lgkmcnt(0)
	s_add_u32 s8, s8, s4
	s_addc_u32 s9, s9, s5
	s_lshl_b32 s12, s14, 8
	s_load_b32 s17, s[8:9], 0x0
	s_waitcnt lgkmcnt(0)
	s_cmp_ge_i32 s12, s17
	s_cbranch_scc1 .LBB754_2
; %bb.5:
	s_and_not1_b32 vcc_lo, exec_lo, s6
	s_cbranch_vccnz .LBB754_7
; %bb.6:
	s_add_u32 s2, s2, s4
	s_addc_u32 s3, s3, s5
	s_load_b32 s13, s[2:3], 0x0
	s_branch .LBB754_8
.LBB754_7:
	s_mov_b32 s13, s30
.LBB754_8:
	s_clause 0x2
	s_load_b128 s[8:11], s[0:1], 0x8
	s_load_b64 s[2:3], s[0:1], 0x20
	s_load_b128 s[4:7], s[0:1], 0x48
	v_lshrrev_b32_e32 v74, 5, v0
	v_bfe_u32 v83, v0, 4, 1
	v_and_b32_e32 v73, 15, v0
	s_waitcnt lgkmcnt(0)
	s_mov_b32 s7, exec_lo
	s_delay_alu instid0(VALU_DEP_2) | instskip(NEXT) | instid1(VALU_DEP_2)
	v_lshl_or_b32 v3, v74, 1, v83
	v_lshlrev_b32_e32 v1, 3, v73
	s_delay_alu instid0(VALU_DEP_2)
	v_cmpx_lt_u32_e32 4, v3
	s_xor_b32 s7, exec_lo, s7
; %bb.9:
	v_mov_b32_e32 v2, 0
                                        ; implicit-def: $vgpr3
; %bb.10:
	s_or_saveexec_b32 s7, s7
	v_and_b32_e32 v75, 31, v0
	v_and_b32_e32 v84, 1, v0
	s_mul_i32 s31, s15, 5
	s_xor_b32 exec_lo, exec_lo, s7
	s_cbranch_execz .LBB754_12
; %bb.11:
	s_load_b64 s[18:19], s[0:1], 0x0
	v_add_lshl_u32 v4, v3, s31, 7
	s_mul_hi_i32 s21, s13, s4
	s_mul_i32 s20, s13, s4
	v_lshlrev_b32_e32 v2, 1, v1
	s_lshl_b64 s[20:21], s[20:21], 1
	v_ashrrev_i32_e32 v5, 31, v4
	v_lshlrev_b32_e32 v3, 6, v3
	v_lshlrev_b32_e32 v8, 10, v84
	s_delay_alu instid0(VALU_DEP_3) | instskip(SKIP_3) | instid1(VALU_DEP_1)
	v_lshlrev_b64 v[4:5], 1, v[4:5]
	s_waitcnt lgkmcnt(0)
	s_add_u32 s4, s18, s20
	s_addc_u32 s13, s19, s21
	v_add_co_u32 v4, vcc_lo, s4, v4
	s_delay_alu instid0(VALU_DEP_2) | instskip(NEXT) | instid1(VALU_DEP_2)
	v_add_co_ci_u32_e32 v5, vcc_lo, s13, v5, vcc_lo
	v_add_co_u32 v4, vcc_lo, v4, v2
	s_delay_alu instid0(VALU_DEP_2) | instskip(SKIP_3) | instid1(VALU_DEP_1)
	v_add_co_ci_u32_e32 v5, vcc_lo, 0, v5, vcc_lo
	v_lshlrev_b32_e32 v2, 10, v73
	global_load_b128 v[4:7], v[4:5], off
	v_and_b32_e32 v2, 0x3800, v2
	v_or3_b32 v3, v2, v8, v3
	v_mov_b32_e32 v2, 0
	s_waitcnt vmcnt(0)
	ds_store_b128 v3, v[4:7]
.LBB754_12:
	s_or_b32 exec_lo, exec_lo, s7
	v_and_b32_e32 v3, 0xef, v0
	v_mul_lo_u16 v80, v73, 52
	s_add_i32 s4, s17, 31
	s_clause 0x1
	s_load_b32 s7, s[0:1], 0x38
	s_load_b32 s18, s[0:1], 0x1c
	v_add_nc_u32_e32 v3, s12, v3
	v_lshrrev_b16 v80, 8, v80
	s_ashr_i32 s13, s4, 31
	s_waitcnt lgkmcnt(0)
	s_lshr_b32 s13, s13, 27
	v_ashrrev_i32_e32 v4, 31, v3
	v_mul_lo_u16 v80, v80, 5
	s_add_i32 s4, s4, s13
	v_cmp_gt_i32_e32 vcc_lo, s17, v3
	s_ashr_i32 s4, s4, 5
	v_lshrrev_b32_e32 v5, 27, v4
	v_or_b32_e32 v4, 16, v3
	v_sub_nc_u16 v80, v73, v80
	s_add_i32 s4, s4, -1
	s_barrier
	v_add_nc_u32_e32 v6, v3, v5
	v_add_nc_u32_e32 v5, v4, v5
	v_and_b32_e32 v80, 0xff, v80
	s_mul_i32 s20, s30, s7
	buffer_gl0_inv
	v_ashrrev_i32_e32 v6, 5, v6
	v_ashrrev_i32_e32 v5, 5, v5
	s_ashr_i32 s21, s20, 31
	v_lshlrev_b64 v[81:82], 1, v[1:2]
	s_lshl_b64 s[20:21], s[20:21], 2
	v_dual_cndmask_b32 v3, s4, v6 :: v_dual_lshlrev_b32 v80, 6, v80
	v_cmp_gt_i32_e32 vcc_lo, s17, v4
	s_add_u32 s13, s2, s20
	s_addc_u32 s16, s3, s21
	s_delay_alu instid0(VALU_DEP_2) | instskip(SKIP_3) | instid1(SALU_CYCLE_1)
	v_ashrrev_i32_e32 v4, 31, v3
	s_mul_i32 s2, s15, s6
	v_cndmask_b32_e32 v5, s4, v5, vcc_lo
	s_ashr_i32 s3, s2, 31
	s_lshl_b64 s[2:3], s[2:3], 1
	v_lshlrev_b64 v[3:4], 2, v[3:4]
	s_delay_alu instid0(VALU_DEP_2) | instskip(SKIP_3) | instid1(VALU_DEP_1)
	v_ashrrev_i32_e32 v6, 31, v5
	s_add_u32 s15, s8, s2
	s_addc_u32 s19, s9, s3
	s_lshl_b32 s6, s14, 3
	v_lshlrev_b64 v[5:6], 2, v[5:6]
	v_add_co_u32 v3, vcc_lo, s13, v3
	v_add_co_ci_u32_e32 v4, vcc_lo, s16, v4, vcc_lo
	s_ashr_i32 s7, s6, 31
	s_delay_alu instid0(VALU_DEP_3) | instskip(NEXT) | instid1(VALU_DEP_4)
	v_add_co_u32 v5, vcc_lo, s13, v5
	v_add_co_ci_u32_e32 v6, vcc_lo, s16, v6, vcc_lo
	s_clause 0x1
	global_load_b32 v7, v[3:4], off
	global_load_b32 v8, v[5:6], off
	s_lshl_b64 s[6:7], s[6:7], 2
	s_delay_alu instid0(SALU_CYCLE_1) | instskip(SKIP_2) | instid1(SALU_CYCLE_1)
	s_add_u32 s6, s13, s6
	s_addc_u32 s7, s16, s7
	s_or_b32 s8, s12, 32
	s_ashr_i32 s9, s8, 5
	s_cmp_lt_i32 s8, s17
	s_cselect_b32 s8, s9, s4
	s_delay_alu instid0(SALU_CYCLE_1) | instskip(NEXT) | instid1(SALU_CYCLE_1)
	s_ashr_i32 s9, s8, 31
	s_lshl_b64 s[8:9], s[8:9], 2
	s_delay_alu instid0(SALU_CYCLE_1) | instskip(SKIP_2) | instid1(SALU_CYCLE_1)
	s_add_u32 s8, s13, s8
	s_addc_u32 s9, s16, s9
	s_or_b32 s20, s12, 64
	s_ashr_i32 s21, s20, 5
	s_cmp_lt_i32 s20, s17
	s_cselect_b32 s20, s21, s4
	s_delay_alu instid0(SALU_CYCLE_1) | instskip(NEXT) | instid1(SALU_CYCLE_1)
	s_ashr_i32 s21, s20, 31
	;; [unrolled: 10-line block ×5, first 2 shown]
	s_lshl_b64 s[26:27], s[26:27], 2
	s_delay_alu instid0(SALU_CYCLE_1)
	s_add_u32 s26, s13, s26
	s_addc_u32 s27, s16, s27
	s_clause 0x5
	s_load_b32 s28, s[6:7], 0x0
	s_load_b32 s29, s[8:9], 0x0
	;; [unrolled: 1-line block ×6, first 2 shown]
	s_mov_b32 s20, 0
	s_or_b32 s6, s12, 0xc0
	s_mov_b32 s27, s20
	s_mov_b32 s21, s20
	;; [unrolled: 1-line block ×7, first 2 shown]
	s_delay_alu instid0(SALU_CYCLE_1)
	v_dual_mov_b32 v108, s27 :: v_dual_mov_b32 v107, s26
	v_dual_mov_b32 v106, s25 :: v_dual_mov_b32 v105, s24
	;; [unrolled: 1-line block ×4, first 2 shown]
	s_ashr_i32 s7, s6, 5
	s_cmp_lt_i32 s6, s17
	s_waitcnt lgkmcnt(0)
	s_mul_hi_i32 s9, s28, s5
	s_cselect_b32 s6, s7, s4
	s_mul_i32 s8, s28, s5
	s_ashr_i32 s7, s6, 31
	s_mul_hi_i32 s21, s29, s5
	s_lshl_b64 s[6:7], s[6:7], 2
	s_mul_i32 s20, s29, s5
	s_add_u32 s6, s13, s6
	s_addc_u32 s7, s16, s7
	s_mul_hi_i32 s25, s33, s5
	s_mul_i32 s24, s33, s5
	s_mul_hi_i32 s27, s34, s5
	s_mul_i32 s26, s34, s5
	s_mul_i32 s34, s36, s5
	s_waitcnt vmcnt(1)
	v_mad_i64_i32 v[3:4], null, v7, s5, 0
	s_waitcnt vmcnt(0)
	v_mad_i64_i32 v[5:6], null, v8, s5, 0
	s_delay_alu instid0(VALU_DEP_2) | instskip(NEXT) | instid1(VALU_DEP_2)
	v_lshlrev_b64 v[3:4], 1, v[3:4]
	v_lshlrev_b64 v[1:2], 1, v[5:6]
	s_delay_alu instid0(VALU_DEP_2) | instskip(NEXT) | instid1(VALU_DEP_3)
	v_add_co_u32 v3, vcc_lo, s15, v3
	v_add_co_ci_u32_e32 v4, vcc_lo, s19, v4, vcc_lo
	s_delay_alu instid0(VALU_DEP_3) | instskip(NEXT) | instid1(VALU_DEP_4)
	v_add_co_u32 v1, vcc_lo, s15, v1
	v_add_co_ci_u32_e32 v2, vcc_lo, s19, v2, vcc_lo
	s_delay_alu instid0(VALU_DEP_4) | instskip(NEXT) | instid1(VALU_DEP_4)
	v_add_co_u32 v65, vcc_lo, v3, v81
	v_add_co_ci_u32_e32 v66, vcc_lo, v4, v82, vcc_lo
	s_delay_alu instid0(VALU_DEP_4) | instskip(NEXT) | instid1(VALU_DEP_4)
	v_add_co_u32 v76, vcc_lo, v1, v81
	v_add_co_ci_u32_e32 v77, vcc_lo, v2, v82, vcc_lo
	s_clause 0xf
	global_load_b128 v[1:4], v[65:66], off
	global_load_b128 v[5:8], v[65:66], off offset:512
	global_load_b128 v[9:12], v[76:77], off offset:256
	;; [unrolled: 1-line block ×15, first 2 shown]
	v_add_co_u32 v78, vcc_lo, 0x1000, v65
	v_add_co_ci_u32_e32 v79, vcc_lo, 0, v66, vcc_lo
	v_add_co_u32 v76, vcc_lo, 0x1000, v76
	s_clause 0x1
	global_load_b128 v[65:68], v[78:79], off
	global_load_b128 v[69:72], v[78:79], off offset:512
	v_add_co_ci_u32_e32 v77, vcc_lo, 0, v77, vcc_lo
	ds_load_b128 v[85:88], v80
	ds_load_b128 v[89:92], v80 offset:1024
	s_clause 0x1
	global_load_b128 v[93:96], v[76:77], off offset:256
	global_load_b128 v[97:100], v[76:77], off offset:768
	ds_load_b128 v[109:112], v80 offset:2048
	ds_load_b128 v[113:116], v80 offset:3072
	s_or_b32 s15, s12, 0xe0
	s_delay_alu instid0(SALU_CYCLE_1) | instskip(SKIP_2) | instid1(SALU_CYCLE_1)
	s_ashr_i32 s19, s15, 5
	s_cmp_lt_i32 s15, s17
	s_cselect_b32 s22, s19, s4
	s_ashr_i32 s23, s22, 31
	s_delay_alu instid0(SALU_CYCLE_1) | instskip(NEXT) | instid1(SALU_CYCLE_1)
	s_lshl_b64 s[22:23], s[22:23], 2
	s_add_u32 s22, s13, s22
	s_addc_u32 s23, s16, s23
	s_add_i32 s15, s12, 0x100
	s_delay_alu instid0(SALU_CYCLE_1) | instskip(SKIP_2) | instid1(SALU_CYCLE_1)
	s_ashr_i32 s19, s15, 5
	s_cmp_lt_i32 s15, s17
	s_cselect_b32 s28, s19, s4
	s_ashr_i32 s29, s28, 31
	s_delay_alu instid0(SALU_CYCLE_1) | instskip(NEXT) | instid1(SALU_CYCLE_1)
	s_lshl_b64 s[28:29], s[28:29], 2
	s_add_u32 s28, s13, s28
	s_addc_u32 s29, s16, s29
	s_add_u32 s4, s10, s2
	s_addc_u32 s19, s11, s3
	s_lshl_b64 s[2:3], s[8:9], 1
	s_lshl_b64 s[8:9], s[20:21], 1
	;; [unrolled: 1-line block ×4, first 2 shown]
	s_waitcnt vmcnt(18) lgkmcnt(2)
	v_wmma_f32_16x16x16_bf16 v[117:124], v[1:8], v[85:92], v[101:108]
	s_waitcnt vmcnt(16)
	v_wmma_f32_16x16x16_bf16 v[101:108], v[9:16], v[85:92], v[101:108]
	s_clause 0x3
	global_load_b128 v[1:4], v[78:79], off offset:1024
	global_load_b128 v[5:8], v[78:79], off offset:1536
	;; [unrolled: 1-line block ×4, first 2 shown]
	s_waitcnt vmcnt(18) lgkmcnt(0)
	v_wmma_f32_16x16x16_bf16 v[117:124], v[17:24], v[109:116], v[117:124]
	s_clause 0x1
	global_load_b128 v[17:20], v[78:79], off offset:2048
	global_load_b128 v[21:24], v[78:79], off offset:2560
	s_waitcnt vmcnt(18)
	v_wmma_f32_16x16x16_bf16 v[101:108], v[25:32], v[109:116], v[101:108]
	ds_load_b128 v[25:28], v80 offset:4096
	ds_load_b128 v[29:32], v80 offset:5120
	s_clause 0x5
	global_load_b128 v[109:112], v[76:77], off offset:2304
	global_load_b128 v[113:116], v[76:77], off offset:2816
	;; [unrolled: 1-line block ×6, first 2 shown]
	s_waitcnt vmcnt(22) lgkmcnt(0)
	v_wmma_f32_16x16x16_bf16 v[117:124], v[33:40], v[25:32], v[117:124]
	s_waitcnt vmcnt(20)
	v_wmma_f32_16x16x16_bf16 v[101:108], v[41:48], v[25:32], v[101:108]
	ds_load_b128 v[25:28], v80 offset:6144
	ds_load_b128 v[29:32], v80 offset:7168
	;; [unrolled: 1-line block ×4, first 2 shown]
	s_waitcnt vmcnt(18) lgkmcnt(2)
	v_wmma_f32_16x16x16_bf16 v[117:124], v[49:56], v[25:32], v[117:124]
	s_waitcnt vmcnt(16)
	v_wmma_f32_16x16x16_bf16 v[101:108], v[57:64], v[25:32], v[101:108]
	ds_load_b128 v[25:28], v80 offset:10240
	ds_load_b128 v[29:32], v80 offset:11264
	;; [unrolled: 1-line block ×6, first 2 shown]
	s_waitcnt vmcnt(14) lgkmcnt(6)
	v_wmma_f32_16x16x16_bf16 v[117:124], v[65:72], v[33:40], v[117:124]
	s_waitcnt vmcnt(12)
	v_wmma_f32_16x16x16_bf16 v[101:108], v[93:100], v[33:40], v[101:108]
	s_clause 0x2
	s_load_b32 s15, s[6:7], 0x0
	s_load_b32 s13, s[22:23], 0x0
	;; [unrolled: 1-line block ×3, first 2 shown]
	s_mul_hi_i32 s7, s35, s5
	s_mul_i32 s6, s35, s5
	s_mul_hi_i32 s35, s36, s5
	s_lshl_b64 s[6:7], s[6:7], 1
	s_lshl_b64 s[22:23], s[34:35], 1
	s_waitcnt lgkmcnt(0)
	s_mul_hi_i32 s25, s15, s5
	s_mul_i32 s24, s15, s5
	s_waitcnt vmcnt(10)
	v_wmma_f32_16x16x16_bf16 v[117:124], v[1:8], v[25:32], v[117:124]
	s_waitcnt vmcnt(8)
	v_wmma_f32_16x16x16_bf16 v[101:108], v[9:16], v[25:32], v[101:108]
	s_waitcnt vmcnt(6)
	s_delay_alu instid0(VALU_DEP_2) | instskip(SKIP_1) | instid1(VALU_DEP_2)
	v_wmma_f32_16x16x16_bf16 v[117:124], v[17:24], v[141:148], v[117:124]
	s_waitcnt vmcnt(4)
	v_wmma_f32_16x16x16_bf16 v[101:108], v[109:116], v[141:148], v[101:108]
	s_waitcnt vmcnt(2)
	s_delay_alu instid0(VALU_DEP_2) | instskip(SKIP_3) | instid1(VALU_DEP_3)
	v_wmma_f32_16x16x16_bf16 v[117:124], v[125:132], v[149:156], v[117:124]
	v_lshlrev_b32_e32 v85, 6, v73
	s_waitcnt vmcnt(0)
	v_wmma_f32_16x16x16_bf16 v[101:108], v[133:140], v[149:156], v[101:108]
	v_mul_f32_e32 v100, s18, v124
	s_delay_alu instid0(VALU_DEP_3) | instskip(SKIP_2) | instid1(VALU_DEP_3)
	v_lshl_or_b32 v41, v74, 10, v85
	v_mul_f32_e32 v97, s18, v117
	v_mul_f32_e32 v99, s18, v118
	v_add_co_u32 v76, s4, s4, v41
	s_delay_alu instid0(VALU_DEP_1) | instskip(NEXT) | instid1(VALU_DEP_2)
	v_add_co_ci_u32_e64 v77, null, s19, 0, s4
	v_add_co_u32 v41, vcc_lo, v76, s2
	s_delay_alu instid0(VALU_DEP_2)
	v_add_co_ci_u32_e32 v42, vcc_lo, s3, v77, vcc_lo
	v_add_co_u32 v33, vcc_lo, v76, s8
	v_add_co_ci_u32_e32 v34, vcc_lo, s9, v77, vcc_lo
	v_add_co_u32 v35, vcc_lo, v76, s10
	;; [unrolled: 2-line block ×5, first 2 shown]
	s_lshl_b64 s[2:3], s[24:25], 1
	v_add_co_ci_u32_e32 v6, vcc_lo, s23, v77, vcc_lo
	s_mul_hi_i32 s7, s13, s5
	s_mul_i32 s6, s13, s5
	v_add_co_u32 v17, vcc_lo, v76, s2
	v_add_co_ci_u32_e32 v18, vcc_lo, s3, v77, vcc_lo
	s_lshl_b64 s[2:3], s[6:7], 1
	s_mul_hi_i32 s7, s16, s5
	s_mul_i32 s6, s16, s5
	v_add_co_u32 v19, vcc_lo, v76, s2
	v_add_co_ci_u32_e32 v20, vcc_lo, s3, v77, vcc_lo
	s_lshl_b64 s[2:3], s[6:7], 1
	s_clause 0x1
	global_load_b128 v[65:68], v[41:42], off
	global_load_b128 v[69:72], v[41:42], off offset:16
	v_add_co_u32 v21, vcc_lo, v76, s2
	v_add_co_ci_u32_e32 v22, vcc_lo, s3, v77, vcc_lo
	s_clause 0xf
	global_load_b128 v[57:60], v[33:34], off
	global_load_b128 v[61:64], v[33:34], off offset:16
	global_load_b128 v[49:52], v[35:36], off
	global_load_b128 v[53:56], v[35:36], off offset:16
	;; [unrolled: 2-line block ×8, first 2 shown]
	v_mbcnt_lo_u32_b32 v77, -1, 0
	v_and_b32_e32 v76, 0xe0, v0
	s_waitcnt vmcnt(0)
	s_barrier
	buffer_gl0_inv
	v_xor_b32_e32 v78, 16, v77
	s_delay_alu instid0(VALU_DEP_1) | instskip(SKIP_1) | instid1(VALU_DEP_1)
	v_cmp_gt_i32_e32 vcc_lo, 32, v78
	v_dual_cndmask_b32 v77, v77, v78 :: v_dual_add_nc_u32 v76, s12, v76
	v_or_b32_e32 v76, v76, v83
	s_delay_alu instid0(VALU_DEP_1)
	v_or_b32_e32 v78, 2, v76
	v_or_b32_e32 v79, 4, v76
	v_or_b32_e32 v80, 6, v76
	v_cmp_gt_i32_e32 vcc_lo, s17, v76
	v_or_b32_e32 v86, 8, v76
	v_cmp_gt_i32_e64 s2, s17, v78
	v_or_b32_e32 v87, 10, v76
	v_or_b32_e32 v88, 12, v76
	;; [unrolled: 1-line block ×11, first 2 shown]
	v_cndmask_b32_e64 v78, 0xff7fffff, v99, s2
	v_mul_f32_e32 v99, s18, v120
	v_cmp_gt_i32_e64 s3, s17, v80
	v_mul_f32_e32 v80, s18, v119
	v_cndmask_b32_e32 v76, 0xff7fffff, v97, vcc_lo
	v_cmp_gt_i32_e64 s4, s17, v79
	v_mul_f32_e32 v79, s18, v122
	v_cmp_gt_i32_e64 s5, s17, v86
	v_cmp_gt_i32_e64 s6, s17, v87
	v_max3_f32 v76, v76, 0xff7fffff, v78
	v_mul_f32_e32 v78, s18, v121
	v_cndmask_b32_e64 v80, 0xff7fffff, v80, s4
	v_mul_f32_e32 v86, s18, v107
	v_cndmask_b32_e64 v99, 0xff7fffff, v99, s3
	;; [unrolled: 2-line block ×3, first 2 shown]
	v_cndmask_b32_e64 v79, 0xff7fffff, v79, s6
	v_cmp_gt_i32_e64 s7, s17, v89
	v_max3_f32 v76, v76, v80, v99
	v_mul_f32_e32 v80, s18, v108
	v_cmp_gt_i32_e64 s8, s17, v88
	v_dual_mul_f32 v99, s18, v105 :: v_dual_mul_f32 v88, s18, v102
	s_delay_alu instid0(VALU_DEP_4) | instskip(SKIP_1) | instid1(VALU_DEP_4)
	v_max3_f32 v76, v76, v78, v79
	v_mul_f32_e32 v89, s18, v101
	v_cndmask_b32_e64 v97, 0xff7fffff, v97, s8
	v_cndmask_b32_e64 v100, 0xff7fffff, v100, s7
	v_cmp_gt_i32_e64 s9, s17, v90
	v_cmp_gt_i32_e64 s10, s17, v91
	v_dual_mul_f32 v78, s18, v104 :: v_dual_mul_f32 v79, s18, v103
	s_delay_alu instid0(VALU_DEP_4) | instskip(NEXT) | instid1(VALU_DEP_4)
	v_max3_f32 v76, v76, v97, v100
	v_cndmask_b32_e64 v89, 0xff7fffff, v89, s9
	s_delay_alu instid0(VALU_DEP_4)
	v_cndmask_b32_e64 v88, 0xff7fffff, v88, s10
	v_cmp_gt_i32_e64 s11, s17, v92
	v_cmp_gt_i32_e64 s12, s17, v93
	v_mul_f32_e32 v87, s18, v106
	v_cmp_gt_i32_e64 s13, s17, v94
	v_max3_f32 v76, v76, v89, v88
	v_cndmask_b32_e64 v79, 0xff7fffff, v79, s11
	v_cndmask_b32_e64 v78, 0xff7fffff, v78, s12
	v_cmp_gt_i32_e64 s15, s17, v95
	v_cndmask_b32_e64 v88, 0xff7fffff, v99, s13
	v_cmp_gt_i32_e64 s16, s17, v96
	v_cmp_gt_i32_e64 s17, s17, v98
	v_max3_f32 v76, v76, v79, v78
	v_cndmask_b32_e64 v87, 0xff7fffff, v87, s15
	v_lshlrev_b32_e32 v99, 2, v77
	v_cndmask_b32_e64 v78, 0xff7fffff, v86, s16
	v_cndmask_b32_e64 v79, 0xff7fffff, v80, s17
	s_delay_alu instid0(VALU_DEP_4) | instskip(NEXT) | instid1(VALU_DEP_1)
	v_max3_f32 v76, v76, v88, v87
	v_max3_f32 v76, v76, v78, v79
	ds_bpermute_b32 v77, v99, v76
	s_waitcnt lgkmcnt(0)
	v_max_f32_e32 v77, v77, v77
	s_delay_alu instid0(VALU_DEP_1) | instskip(NEXT) | instid1(VALU_DEP_1)
	v_max_f32_e32 v76, v76, v77
	v_fma_f32 v80, s18, v120, -v76
	v_fma_f32 v77, s18, v117, -v76
	;; [unrolled: 1-line block ×5, first 2 shown]
	v_mul_f32_e32 v80, 0x3fb8aa3b, v80
	v_fma_f32 v87, s18, v123, -v76
	v_mul_f32_e32 v78, 0x3fb8aa3b, v78
	v_fma_f32 v88, s18, v105, -v76
	v_mul_f32_e32 v86, 0x3fb8aa3b, v86
	v_exp_f32_e32 v80, v80
	v_fma_f32 v90, s18, v107, -v76
	v_exp_f32_e32 v78, v78
	v_fma_f32 v100, s18, v108, -v76
	v_exp_f32_e32 v86, v86
	v_mul_f32_e32 v88, 0x3fb8aa3b, v88
	s_delay_alu instid0(VALU_DEP_2) | instskip(NEXT) | instid1(TRANS32_DEP_3)
	v_mul_f32_e32 v100, 0x3fb8aa3b, v100
	v_cndmask_b32_e64 v95, 0, v80, s3
	v_mul_f32_e32 v77, 0x3fb8aa3b, v77
	s_delay_alu instid0(TRANS32_DEP_2) | instskip(SKIP_1) | instid1(TRANS32_DEP_1)
	v_cndmask_b32_e64 v91, 0, v78, s2
	v_fma_f32 v80, s18, v101, -v76
	v_cndmask_b32_e64 v96, 0, v86, s5
	v_fma_f32 v86, s18, v102, -v76
	v_exp_f32_e32 v77, v77
	s_delay_alu instid0(VALU_DEP_3) | instskip(SKIP_1) | instid1(VALU_DEP_2)
	v_dual_mul_f32 v79, 0x3fb8aa3b, v79 :: v_dual_mul_f32 v80, 0x3fb8aa3b, v80
	v_exp_f32_e32 v88, v88
	v_mul_f32_e32 v86, 0x3fb8aa3b, v86
	v_cmp_gt_u32_e64 s2, 16, v75
	v_exp_f32_e32 v100, v100
	v_exp_f32_e32 v80, v80
	s_delay_alu instid0(VALU_DEP_2) | instskip(SKIP_3) | instid1(VALU_DEP_1)
	v_exp_f32_e32 v86, v86
	v_cndmask_b32_e32 v92, 0, v77, vcc_lo
	v_exp_f32_e32 v79, v79
	v_fma_f32 v77, s18, v122, -v76
	v_dual_add_f32 v78, 0, v92 :: v_dual_mul_f32 v77, 0x3fb8aa3b, v77
	s_delay_alu instid0(VALU_DEP_1)
	v_add_f32_e32 v78, v78, v91
	s_waitcnt_depctr 0xfff
	v_cndmask_b32_e64 v93, 0, v79, s4
	v_fma_f32 v79, s18, v124, -v76
	v_mul_f32_e32 v87, 0x3fb8aa3b, v87
	v_exp_f32_e32 v77, v77
	s_delay_alu instid0(VALU_DEP_2) | instskip(NEXT) | instid1(VALU_DEP_2)
	v_dual_add_f32 v78, v78, v93 :: v_dual_mul_f32 v79, 0x3fb8aa3b, v79
	v_exp_f32_e32 v87, v87
	s_delay_alu instid0(VALU_DEP_1) | instskip(NEXT) | instid1(VALU_DEP_2)
	v_add_f32_e32 v78, v78, v95
	v_exp_f32_e32 v79, v79
	s_delay_alu instid0(TRANS32_DEP_3) | instskip(NEXT) | instid1(VALU_DEP_2)
	v_cndmask_b32_e64 v97, 0, v77, s6
	v_add_f32_e32 v77, v78, v96
	v_fma_f32 v78, s18, v103, -v76
	s_waitcnt_depctr 0xfff
	v_cndmask_b32_e64 v94, 0, v87, s8
	v_fma_f32 v87, s18, v104, -v76
	v_dual_add_f32 v77, v77, v97 :: v_dual_mul_f32 v78, 0x3fb8aa3b, v78
	v_cndmask_b32_e64 v98, 0, v79, s7
	s_delay_alu instid0(VALU_DEP_2) | instskip(SKIP_4) | instid1(VALU_DEP_2)
	v_add_f32_e32 v79, v77, v94
	v_cndmask_b32_e64 v77, 0, v80, s9
	v_fma_f32 v80, s18, v106, -v76
	v_exp_f32_e32 v89, v78
	v_cndmask_b32_e64 v78, 0, v86, s10
	v_dual_add_f32 v79, v79, v98 :: v_dual_mul_f32 v80, 0x3fb8aa3b, v80
	s_delay_alu instid0(VALU_DEP_1) | instskip(NEXT) | instid1(VALU_DEP_1)
	v_dual_mul_f32 v87, 0x3fb8aa3b, v87 :: v_dual_add_f32 v86, v79, v77
	v_exp_f32_e32 v87, v87
	s_waitcnt_depctr 0xfff
	v_cndmask_b32_e64 v79, 0, v89, s11
	v_add_f32_e32 v86, v86, v78
	v_mul_f32_e32 v89, 0x3fb8aa3b, v90
	v_exp_f32_e32 v90, v80
	v_cndmask_b32_e64 v80, 0, v87, s12
	s_delay_alu instid0(VALU_DEP_3) | instskip(SKIP_1) | instid1(VALU_DEP_2)
	v_add_f32_e32 v87, v86, v79
	v_cndmask_b32_e64 v86, 0, v88, s13
	v_add_f32_e32 v88, v87, v80
	v_exp_f32_e32 v89, v89
	s_waitcnt_depctr 0xfff
	v_cndmask_b32_e64 v87, 0, v90, s15
	v_add_f32_e32 v90, v88, v86
	v_cndmask_b32_e64 v88, 0, v89, s16
	s_delay_alu instid0(VALU_DEP_2) | instskip(NEXT) | instid1(VALU_DEP_1)
	v_add_f32_e32 v89, v90, v87
	v_add_f32_e32 v90, v89, v88
	v_cndmask_b32_e64 v89, 0, v100, s17
	s_delay_alu instid0(VALU_DEP_1)
	v_add_f32_e32 v90, v90, v89
	ds_bpermute_b32 v99, v99, v90
	s_and_saveexec_b32 s3, s2
	s_cbranch_execz .LBB754_14
; %bb.13:
	v_mul_u32_u24_e32 v75, 0x44, v74
	s_waitcnt lgkmcnt(0)
	v_add_f32_e32 v90, v90, v99
	s_delay_alu instid0(VALU_DEP_2) | instskip(NEXT) | instid1(VALU_DEP_1)
	v_lshl_add_u32 v75, v73, 2, v75
	v_add_nc_u32_e32 v75, 0x4000, v75
	ds_store_2addr_b32 v75, v76, v90 offset1:136
.LBB754_14:
	s_or_b32 exec_lo, exec_lo, s3
	v_lshlrev_b32_e32 v75, 2, v73
	s_waitcnt lgkmcnt(0)
	s_barrier
	buffer_gl0_inv
	v_cmp_eq_u32_e64 s3, 1, v74
	v_add_nc_u32_e32 v90, 0x4000, v75
	ds_load_2addr_b32 v[99:100], v90 offset1:17
	ds_load_2addr_b32 v[101:102], v90 offset0:34 offset1:51
	ds_load_2addr_b32 v[103:104], v90 offset0:68 offset1:85
	ds_load_2addr_b32 v[105:106], v90 offset0:102 offset1:119
	ds_load_2addr_b32 v[107:108], v90 offset0:136 offset1:153
	s_waitcnt lgkmcnt(4)
	v_max3_f32 v75, v99, 0xff7fffff, v100
	s_waitcnt lgkmcnt(3)
	s_delay_alu instid0(VALU_DEP_1) | instskip(SKIP_1) | instid1(VALU_DEP_1)
	v_max3_f32 v75, v75, v101, v102
	s_waitcnt lgkmcnt(2)
	v_max3_f32 v75, v75, v103, v104
	s_waitcnt lgkmcnt(1)
	s_delay_alu instid0(VALU_DEP_1) | instskip(NEXT) | instid1(VALU_DEP_1)
	v_max3_f32 v75, v75, v105, v106
	v_sub_f32_e32 v109, v100, v75
	v_sub_f32_e32 v76, v99, v75
	ds_load_2addr_b32 v[99:100], v90 offset0:170 offset1:187
	v_sub_f32_e32 v101, v101, v75
	v_dual_mul_f32 v109, 0x3fb8aa3b, v109 :: v_dual_mul_f32 v76, 0x3fb8aa3b, v76
	s_delay_alu instid0(VALU_DEP_2) | instskip(NEXT) | instid1(VALU_DEP_2)
	v_mul_f32_e32 v111, 0x3fb8aa3b, v101
	v_exp_f32_e32 v109, v109
	s_delay_alu instid0(VALU_DEP_2)
	v_exp_f32_e32 v110, v76
	v_sub_f32_e32 v76, v102, v75
	ds_load_2addr_b32 v[101:102], v90 offset0:204 offset1:221
	v_exp_f32_e32 v111, v111
	v_mul_f32_e32 v112, 0x3fb8aa3b, v76
	s_waitcnt lgkmcnt(2)
	v_fma_f32 v76, v110, v107, 0
	v_sub_f32_e32 v103, v103, v75
	s_delay_alu instid0(VALU_DEP_3) | instskip(NEXT) | instid1(VALU_DEP_2)
	v_exp_f32_e32 v112, v112
	v_dual_sub_f32 v107, v104, v75 :: v_dual_fmac_f32 v76, v109, v108
	s_waitcnt lgkmcnt(1)
	s_waitcnt_depctr 0xfff
	v_fmac_f32_e32 v76, v111, v99
	v_mul_f32_e32 v113, 0x3fb8aa3b, v103
	ds_load_2addr_b32 v[103:104], v90 offset0:238 offset1:255
	v_sub_f32_e32 v90, v105, v75
	v_dual_sub_f32 v99, v106, v75 :: v_dual_fmac_f32 v76, v112, v100
	v_mul_f32_e32 v105, 0x3fb8aa3b, v107
	v_exp_f32_e32 v107, v113
	s_delay_alu instid0(VALU_DEP_2)
	v_dual_mul_f32 v90, 0x3fb8aa3b, v90 :: v_dual_mul_f32 v99, 0x3fb8aa3b, v99
	s_waitcnt lgkmcnt(0)
	s_barrier
	buffer_gl0_inv
	v_exp_f32_e32 v90, v90
	v_exp_f32_e32 v99, v99
	v_fmac_f32_e32 v76, v107, v101
	v_exp_f32_e32 v105, v105
	s_waitcnt_depctr 0xfff
	v_fmac_f32_e32 v76, v105, v102
	s_delay_alu instid0(VALU_DEP_1) | instskip(NEXT) | instid1(VALU_DEP_1)
	v_fmac_f32_e32 v76, v90, v103
	v_fmac_f32_e32 v76, v99, v104
	s_delay_alu instid0(VALU_DEP_1) | instskip(NEXT) | instid1(VALU_DEP_1)
	v_add_f32_e32 v100, 0x358637bd, v76
	v_div_scale_f32 v101, null, v100, v100, 1.0
	v_div_scale_f32 v104, vcc_lo, 1.0, v100, 1.0
	s_delay_alu instid0(VALU_DEP_2) | instskip(SKIP_2) | instid1(VALU_DEP_1)
	v_rcp_f32_e32 v102, v101
	s_waitcnt_depctr 0xfff
	v_fma_f32 v103, -v101, v102, 1.0
	v_fmac_f32_e32 v102, v103, v102
	v_cndmask_b32_e64 v103, v110, v109, s3
	v_cmp_eq_u32_e64 s3, 2, v74
	s_delay_alu instid0(VALU_DEP_3) | instskip(NEXT) | instid1(VALU_DEP_2)
	v_mul_f32_e32 v106, v104, v102
	v_cndmask_b32_e64 v103, v103, v111, s3
	v_cmp_eq_u32_e64 s3, 3, v74
	s_delay_alu instid0(VALU_DEP_3) | instskip(NEXT) | instid1(VALU_DEP_2)
	v_fma_f32 v108, -v101, v106, v104
	v_cndmask_b32_e64 v103, v103, v112, s3
	v_cmp_eq_u32_e64 s3, 4, v74
	s_delay_alu instid0(VALU_DEP_3) | instskip(NEXT) | instid1(VALU_DEP_2)
	v_fmac_f32_e32 v106, v108, v102
	v_cndmask_b32_e64 v103, v103, v107, s3
	s_delay_alu instid0(VALU_DEP_2) | instskip(SKIP_1) | instid1(VALU_DEP_2)
	v_fma_f32 v101, -v101, v106, v104
	v_cmp_eq_u32_e64 s3, 5, v74
	v_div_fmas_f32 v101, v101, v102, v106
	s_delay_alu instid0(VALU_DEP_2) | instskip(SKIP_2) | instid1(VALU_DEP_3)
	v_cndmask_b32_e64 v103, v103, v105, s3
	v_cmp_eq_u32_e32 vcc_lo, 6, v74
	s_mov_b32 s3, exec_lo
	v_div_fixup_f32 v100, v101, v100, 1.0
	s_delay_alu instid0(VALU_DEP_3) | instskip(SKIP_1) | instid1(VALU_DEP_2)
	v_cndmask_b32_e32 v90, v103, v90, vcc_lo
	v_cmp_eq_u32_e32 vcc_lo, 7, v74
	v_cndmask_b32_e32 v90, v90, v99, vcc_lo
	s_delay_alu instid0(VALU_DEP_1) | instskip(NEXT) | instid1(VALU_DEP_1)
	v_mul_f32_e32 v90, v90, v100
	v_mul_f32_e32 v100, v90, v92
	;; [unrolled: 1-line block ×6, first 2 shown]
	v_and_b32_e32 v101, 0x7f800000, v100
	v_mul_f32_e32 v99, v90, v95
	v_mul_f32_e32 v95, v90, v91
	;; [unrolled: 1-line block ×3, first 2 shown]
                                        ; implicit-def: $vgpr91
	s_delay_alu instid0(VALU_DEP_4)
	v_cmpx_ne_u32_e32 0x7f800000, v101
	s_xor_b32 s3, exec_lo, s3
; %bb.15:
	v_bfe_u32 v91, v100, 16, 1
	s_delay_alu instid0(VALU_DEP_1)
	v_add3_u32 v91, v100, v91, 0x7fff
                                        ; implicit-def: $vgpr100
; %bb.16:
	s_and_not1_saveexec_b32 s3, s3
; %bb.17:
	v_and_b32_e32 v91, 0xffff, v100
	v_or_b32_e32 v93, 0x10000, v100
	s_delay_alu instid0(VALU_DEP_2) | instskip(NEXT) | instid1(VALU_DEP_2)
	v_cmp_eq_u32_e32 vcc_lo, 0, v91
	v_cndmask_b32_e32 v91, v93, v100, vcc_lo
; %bb.18:
	s_or_b32 exec_lo, exec_lo, s3
	v_and_b32_e32 v93, 0x7f800000, v95
	s_delay_alu instid0(VALU_DEP_1) | instskip(SKIP_1) | instid1(SALU_CYCLE_1)
	v_cmp_ne_u32_e32 vcc_lo, 0x7f800000, v93
                                        ; implicit-def: $vgpr93
	s_and_saveexec_b32 s3, vcc_lo
	s_xor_b32 s3, exec_lo, s3
; %bb.19:
	v_bfe_u32 v93, v95, 16, 1
	s_delay_alu instid0(VALU_DEP_1)
	v_add3_u32 v93, v95, v93, 0x7fff
                                        ; implicit-def: $vgpr95
; %bb.20:
	s_and_not1_saveexec_b32 s3, s3
; %bb.21:
	v_and_b32_e32 v93, 0xffff, v95
	v_or_b32_e32 v100, 0x10000, v95
	s_delay_alu instid0(VALU_DEP_2) | instskip(NEXT) | instid1(VALU_DEP_2)
	v_cmp_eq_u32_e32 vcc_lo, 0, v93
	v_cndmask_b32_e32 v93, v100, v95, vcc_lo
; %bb.22:
	s_or_b32 exec_lo, exec_lo, s3
	v_and_b32_e32 v95, 0x7f800000, v96
	s_delay_alu instid0(VALU_DEP_1) | instskip(SKIP_1) | instid1(SALU_CYCLE_1)
	v_cmp_ne_u32_e32 vcc_lo, 0x7f800000, v95
                                        ; implicit-def: $vgpr95
	s_and_saveexec_b32 s3, vcc_lo
	s_xor_b32 s3, exec_lo, s3
; %bb.23:
	v_bfe_u32 v95, v96, 16, 1
	s_delay_alu instid0(VALU_DEP_1)
	v_add3_u32 v95, v96, v95, 0x7fff
                                        ; implicit-def: $vgpr96
; %bb.24:
	s_and_not1_saveexec_b32 s3, s3
; %bb.25:
	v_and_b32_e32 v95, 0xffff, v96
	v_or_b32_e32 v100, 0x10000, v96
	s_delay_alu instid0(VALU_DEP_2) | instskip(NEXT) | instid1(VALU_DEP_2)
	v_cmp_eq_u32_e32 vcc_lo, 0, v95
	v_cndmask_b32_e32 v95, v100, v96, vcc_lo
; %bb.26:
	s_or_b32 exec_lo, exec_lo, s3
	v_and_b32_e32 v96, 0x7f800000, v99
	s_delay_alu instid0(VALU_DEP_1) | instskip(SKIP_1) | instid1(SALU_CYCLE_1)
	v_cmp_ne_u32_e32 vcc_lo, 0x7f800000, v96
                                        ; implicit-def: $vgpr96
	s_and_saveexec_b32 s3, vcc_lo
	s_xor_b32 s3, exec_lo, s3
; %bb.27:
	v_bfe_u32 v96, v99, 16, 1
	s_delay_alu instid0(VALU_DEP_1)
	v_add3_u32 v96, v99, v96, 0x7fff
                                        ; implicit-def: $vgpr99
; %bb.28:
	s_and_not1_saveexec_b32 s3, s3
; %bb.29:
	v_and_b32_e32 v96, 0xffff, v99
	v_or_b32_e32 v100, 0x10000, v99
	s_delay_alu instid0(VALU_DEP_2) | instskip(NEXT) | instid1(VALU_DEP_2)
	v_cmp_eq_u32_e32 vcc_lo, 0, v96
	v_cndmask_b32_e32 v96, v100, v99, vcc_lo
; %bb.30:
	s_or_b32 exec_lo, exec_lo, s3
	v_and_b32_e32 v99, 0x7f800000, v98
	s_delay_alu instid0(VALU_DEP_1) | instskip(SKIP_1) | instid1(SALU_CYCLE_1)
	v_cmp_ne_u32_e32 vcc_lo, 0x7f800000, v99
                                        ; implicit-def: $vgpr99
	s_and_saveexec_b32 s3, vcc_lo
	s_xor_b32 s3, exec_lo, s3
; %bb.31:
	v_bfe_u32 v99, v98, 16, 1
	s_delay_alu instid0(VALU_DEP_1)
	v_add3_u32 v99, v98, v99, 0x7fff
                                        ; implicit-def: $vgpr98
; %bb.32:
	s_and_not1_saveexec_b32 s3, s3
; %bb.33:
	v_and_b32_e32 v99, 0xffff, v98
	v_or_b32_e32 v100, 0x10000, v98
	s_delay_alu instid0(VALU_DEP_2) | instskip(NEXT) | instid1(VALU_DEP_2)
	v_cmp_eq_u32_e32 vcc_lo, 0, v99
	v_cndmask_b32_e32 v99, v100, v98, vcc_lo
; %bb.34:
	s_or_b32 exec_lo, exec_lo, s3
	v_and_b32_e32 v98, 0x7f800000, v97
	s_delay_alu instid0(VALU_DEP_1) | instskip(SKIP_1) | instid1(SALU_CYCLE_1)
	v_cmp_ne_u32_e32 vcc_lo, 0x7f800000, v98
                                        ; implicit-def: $vgpr98
	s_and_saveexec_b32 s3, vcc_lo
	s_xor_b32 s3, exec_lo, s3
; %bb.35:
	v_bfe_u32 v98, v97, 16, 1
	s_delay_alu instid0(VALU_DEP_1)
	v_add3_u32 v98, v97, v98, 0x7fff
                                        ; implicit-def: $vgpr97
; %bb.36:
	s_and_not1_saveexec_b32 s3, s3
; %bb.37:
	v_and_b32_e32 v98, 0xffff, v97
	v_or_b32_e32 v100, 0x10000, v97
	s_delay_alu instid0(VALU_DEP_2) | instskip(NEXT) | instid1(VALU_DEP_2)
	v_cmp_eq_u32_e32 vcc_lo, 0, v98
	v_cndmask_b32_e32 v98, v100, v97, vcc_lo
; %bb.38:
	s_or_b32 exec_lo, exec_lo, s3
	v_and_b32_e32 v97, 0x7f800000, v94
	s_delay_alu instid0(VALU_DEP_1) | instskip(SKIP_1) | instid1(SALU_CYCLE_1)
	v_cmp_ne_u32_e32 vcc_lo, 0x7f800000, v97
                                        ; implicit-def: $vgpr97
	s_and_saveexec_b32 s3, vcc_lo
	s_xor_b32 s3, exec_lo, s3
; %bb.39:
	v_bfe_u32 v97, v94, 16, 1
	s_delay_alu instid0(VALU_DEP_1)
	v_add3_u32 v97, v94, v97, 0x7fff
                                        ; implicit-def: $vgpr94
; %bb.40:
	s_and_not1_saveexec_b32 s3, s3
; %bb.41:
	v_and_b32_e32 v97, 0xffff, v94
	v_or_b32_e32 v100, 0x10000, v94
	s_delay_alu instid0(VALU_DEP_2) | instskip(NEXT) | instid1(VALU_DEP_2)
	v_cmp_eq_u32_e32 vcc_lo, 0, v97
	v_cndmask_b32_e32 v97, v100, v94, vcc_lo
; %bb.42:
	s_or_b32 exec_lo, exec_lo, s3
	v_and_b32_e32 v94, 0x7f800000, v92
	s_delay_alu instid0(VALU_DEP_1) | instskip(SKIP_1) | instid1(SALU_CYCLE_1)
	v_cmp_ne_u32_e32 vcc_lo, 0x7f800000, v94
                                        ; implicit-def: $vgpr94
	s_and_saveexec_b32 s3, vcc_lo
	s_xor_b32 s3, exec_lo, s3
; %bb.43:
	v_bfe_u32 v94, v92, 16, 1
	s_delay_alu instid0(VALU_DEP_1)
	v_add3_u32 v94, v92, v94, 0x7fff
                                        ; implicit-def: $vgpr92
; %bb.44:
	s_and_not1_saveexec_b32 s3, s3
; %bb.45:
	v_and_b32_e32 v94, 0xffff, v92
	v_or_b32_e32 v100, 0x10000, v92
	s_delay_alu instid0(VALU_DEP_2) | instskip(NEXT) | instid1(VALU_DEP_2)
	v_cmp_eq_u32_e32 vcc_lo, 0, v94
	v_cndmask_b32_e32 v94, v100, v92, vcc_lo
; %bb.46:
	s_or_b32 exec_lo, exec_lo, s3
	s_load_b64 s[34:35], s[0:1], 0x94
	v_lshlrev_b32_e32 v92, 4, v83
	s_delay_alu instid0(VALU_DEP_2)
	v_perm_b32 v100, v94, v97, 0x7060302
	v_dual_mul_f32 v89, v90, v89 :: v_dual_lshlrev_b32 v94, 11, v74
	v_perm_b32 v97, v93, v91, 0x7060302
	v_mul_f32_e32 v93, v90, v77
	v_perm_b32 v99, v98, v99, 0x7060302
	v_perm_b32 v98, v96, v95, 0x7060302
	v_or3_b32 v77, v92, v94, v85
	v_mul_f32_e32 v88, v90, v88
	v_dual_mul_f32 v87, v90, v87 :: v_dual_and_b32 v94, 0x7f800000, v93
	v_mul_f32_e32 v86, v90, v86
	v_mul_f32_e32 v91, v90, v80
	;; [unrolled: 1-line block ×4, first 2 shown]
	s_mov_b32 s3, exec_lo
	ds_store_b128 v77, v[97:100]
                                        ; implicit-def: $vgpr78
	v_cmpx_ne_u32_e32 0x7f800000, v94
	s_xor_b32 s3, exec_lo, s3
; %bb.47:
	v_bfe_u32 v78, v93, 16, 1
	s_delay_alu instid0(VALU_DEP_1)
	v_add3_u32 v78, v93, v78, 0x7fff
                                        ; implicit-def: $vgpr93
; %bb.48:
	s_and_not1_saveexec_b32 s3, s3
; %bb.49:
	v_and_b32_e32 v78, 0xffff, v93
	v_or_b32_e32 v79, 0x10000, v93
	s_delay_alu instid0(VALU_DEP_2) | instskip(NEXT) | instid1(VALU_DEP_2)
	v_cmp_eq_u32_e32 vcc_lo, 0, v78
	v_cndmask_b32_e32 v78, v79, v93, vcc_lo
; %bb.50:
	s_or_b32 exec_lo, exec_lo, s3
	v_and_b32_e32 v79, 0x7f800000, v80
	s_delay_alu instid0(VALU_DEP_1) | instskip(SKIP_1) | instid1(SALU_CYCLE_1)
	v_cmp_ne_u32_e32 vcc_lo, 0x7f800000, v79
                                        ; implicit-def: $vgpr79
	s_and_saveexec_b32 s3, vcc_lo
	s_xor_b32 s3, exec_lo, s3
; %bb.51:
	v_bfe_u32 v79, v80, 16, 1
	s_delay_alu instid0(VALU_DEP_1)
	v_add3_u32 v79, v80, v79, 0x7fff
                                        ; implicit-def: $vgpr80
; %bb.52:
	s_and_not1_saveexec_b32 s3, s3
; %bb.53:
	v_and_b32_e32 v79, 0xffff, v80
	v_or_b32_e32 v90, 0x10000, v80
	s_delay_alu instid0(VALU_DEP_2) | instskip(NEXT) | instid1(VALU_DEP_2)
	v_cmp_eq_u32_e32 vcc_lo, 0, v79
	v_cndmask_b32_e32 v79, v90, v80, vcc_lo
; %bb.54:
	s_or_b32 exec_lo, exec_lo, s3
	v_and_b32_e32 v80, 0x7f800000, v92
	s_delay_alu instid0(VALU_DEP_1) | instskip(SKIP_1) | instid1(SALU_CYCLE_1)
	v_cmp_ne_u32_e32 vcc_lo, 0x7f800000, v80
                                        ; implicit-def: $vgpr80
	s_and_saveexec_b32 s3, vcc_lo
	s_xor_b32 s3, exec_lo, s3
; %bb.55:
	v_bfe_u32 v80, v92, 16, 1
	s_delay_alu instid0(VALU_DEP_1)
	v_add3_u32 v80, v92, v80, 0x7fff
                                        ; implicit-def: $vgpr92
; %bb.56:
	s_and_not1_saveexec_b32 s3, s3
; %bb.57:
	v_and_b32_e32 v80, 0xffff, v92
	v_or_b32_e32 v90, 0x10000, v92
	s_delay_alu instid0(VALU_DEP_2) | instskip(NEXT) | instid1(VALU_DEP_2)
	v_cmp_eq_u32_e32 vcc_lo, 0, v80
	v_cndmask_b32_e32 v80, v90, v92, vcc_lo
; %bb.58:
	s_or_b32 exec_lo, exec_lo, s3
	v_and_b32_e32 v90, 0x7f800000, v91
	s_delay_alu instid0(VALU_DEP_1) | instskip(SKIP_1) | instid1(SALU_CYCLE_1)
	v_cmp_ne_u32_e32 vcc_lo, 0x7f800000, v90
                                        ; implicit-def: $vgpr90
	s_and_saveexec_b32 s3, vcc_lo
	s_xor_b32 s3, exec_lo, s3
; %bb.59:
	v_bfe_u32 v90, v91, 16, 1
	s_delay_alu instid0(VALU_DEP_1)
	v_add3_u32 v90, v91, v90, 0x7fff
                                        ; implicit-def: $vgpr91
; %bb.60:
	s_and_not1_saveexec_b32 s3, s3
; %bb.61:
	v_and_b32_e32 v90, 0xffff, v91
	v_or_b32_e32 v92, 0x10000, v91
	s_delay_alu instid0(VALU_DEP_2) | instskip(NEXT) | instid1(VALU_DEP_2)
	v_cmp_eq_u32_e32 vcc_lo, 0, v90
	v_cndmask_b32_e32 v90, v92, v91, vcc_lo
; %bb.62:
	s_or_b32 exec_lo, exec_lo, s3
	v_and_b32_e32 v91, 0x7f800000, v86
	s_delay_alu instid0(VALU_DEP_1) | instskip(SKIP_1) | instid1(SALU_CYCLE_1)
	v_cmp_ne_u32_e32 vcc_lo, 0x7f800000, v91
                                        ; implicit-def: $vgpr91
	s_and_saveexec_b32 s3, vcc_lo
	s_xor_b32 s3, exec_lo, s3
; %bb.63:
	v_bfe_u32 v91, v86, 16, 1
	s_delay_alu instid0(VALU_DEP_1)
	v_add3_u32 v91, v86, v91, 0x7fff
                                        ; implicit-def: $vgpr86
; %bb.64:
	s_and_not1_saveexec_b32 s3, s3
; %bb.65:
	v_and_b32_e32 v91, 0xffff, v86
	v_or_b32_e32 v92, 0x10000, v86
	s_delay_alu instid0(VALU_DEP_2) | instskip(NEXT) | instid1(VALU_DEP_2)
	v_cmp_eq_u32_e32 vcc_lo, 0, v91
	v_cndmask_b32_e32 v91, v92, v86, vcc_lo
; %bb.66:
	s_or_b32 exec_lo, exec_lo, s3
	v_and_b32_e32 v86, 0x7f800000, v87
	s_delay_alu instid0(VALU_DEP_1) | instskip(SKIP_1) | instid1(SALU_CYCLE_1)
	v_cmp_ne_u32_e32 vcc_lo, 0x7f800000, v86
                                        ; implicit-def: $vgpr86
	s_and_saveexec_b32 s3, vcc_lo
	s_xor_b32 s3, exec_lo, s3
; %bb.67:
	v_bfe_u32 v86, v87, 16, 1
	s_delay_alu instid0(VALU_DEP_1)
	v_add3_u32 v86, v87, v86, 0x7fff
                                        ; implicit-def: $vgpr87
; %bb.68:
	s_and_not1_saveexec_b32 s3, s3
; %bb.69:
	v_and_b32_e32 v86, 0xffff, v87
	v_or_b32_e32 v92, 0x10000, v87
	s_delay_alu instid0(VALU_DEP_2) | instskip(NEXT) | instid1(VALU_DEP_2)
	v_cmp_eq_u32_e32 vcc_lo, 0, v86
	v_cndmask_b32_e32 v86, v92, v87, vcc_lo
; %bb.70:
	s_or_b32 exec_lo, exec_lo, s3
	v_and_b32_e32 v87, 0x7f800000, v88
	s_delay_alu instid0(VALU_DEP_1) | instskip(SKIP_1) | instid1(SALU_CYCLE_1)
	v_cmp_ne_u32_e32 vcc_lo, 0x7f800000, v87
                                        ; implicit-def: $vgpr87
	s_and_saveexec_b32 s3, vcc_lo
	s_xor_b32 s3, exec_lo, s3
; %bb.71:
	v_bfe_u32 v87, v88, 16, 1
	s_delay_alu instid0(VALU_DEP_1)
	v_add3_u32 v87, v88, v87, 0x7fff
                                        ; implicit-def: $vgpr88
; %bb.72:
	s_and_not1_saveexec_b32 s3, s3
; %bb.73:
	v_and_b32_e32 v87, 0xffff, v88
	v_or_b32_e32 v92, 0x10000, v88
	s_delay_alu instid0(VALU_DEP_2) | instskip(NEXT) | instid1(VALU_DEP_2)
	v_cmp_eq_u32_e32 vcc_lo, 0, v87
	v_cndmask_b32_e32 v87, v92, v88, vcc_lo
; %bb.74:
	s_or_b32 exec_lo, exec_lo, s3
	v_and_b32_e32 v88, 0x7f800000, v89
	s_delay_alu instid0(VALU_DEP_1) | instskip(SKIP_1) | instid1(SALU_CYCLE_1)
	v_cmp_ne_u32_e32 vcc_lo, 0x7f800000, v88
                                        ; implicit-def: $vgpr88
	s_and_saveexec_b32 s3, vcc_lo
	s_xor_b32 s3, exec_lo, s3
; %bb.75:
	v_bfe_u32 v88, v89, 16, 1
	s_delay_alu instid0(VALU_DEP_1)
	v_add3_u32 v88, v89, v88, 0x7fff
                                        ; implicit-def: $vgpr89
; %bb.76:
	s_and_not1_saveexec_b32 s3, s3
; %bb.77:
	v_and_b32_e32 v88, 0xffff, v89
	v_or_b32_e32 v92, 0x10000, v89
	s_delay_alu instid0(VALU_DEP_2) | instskip(NEXT) | instid1(VALU_DEP_2)
	v_cmp_eq_u32_e32 vcc_lo, 0, v88
	v_cndmask_b32_e32 v88, v92, v89, vcc_lo
; %bb.78:
	s_or_b32 exec_lo, exec_lo, s3
	s_delay_alu instid0(VALU_DEP_1)
	v_perm_b32 v89, v88, v87, 0x7060302
	v_perm_b32 v88, v86, v91, 0x7060302
	;; [unrolled: 1-line block ×4, first 2 shown]
	v_lshl_or_b32 v90, v74, 11, v85
	ds_store_b128 v77, v[86:89] offset:1024
	s_waitcnt lgkmcnt(0)
	s_barrier
	buffer_gl0_inv
	ds_load_b128 v[91:94], v90
	ds_load_b128 v[95:98], v90 offset:16
	v_lshlrev_b32_e32 v87, 2, v83
	s_delay_alu instid0(VALU_DEP_1)
	v_or_b32_e32 v88, 1, v87
	v_cmp_eq_u32_e32 vcc_lo, 1, v87
	v_cmp_eq_u32_e64 s4, 2, v87
	v_cmp_eq_u32_e64 s7, 3, v87
	;; [unrolled: 1-line block ×6, first 2 shown]
	v_or_b32_e32 v86, 2, v87
	v_cmp_eq_u32_e64 s10, 5, v87
	v_cmp_eq_u32_e64 s11, 4, v88
	;; [unrolled: 1-line block ×4, first 2 shown]
	s_waitcnt lgkmcnt(1)
	v_lshrrev_b32_e32 v74, 16, v91
	s_waitcnt lgkmcnt(0)
	v_lshrrev_b32_e32 v103, 16, v95
	v_lshrrev_b32_e32 v80, 16, v94
	;; [unrolled: 1-line block ×4, first 2 shown]
	v_cndmask_b32_e32 v89, v91, v74, vcc_lo
	v_cndmask_b32_e32 v99, v95, v103, vcc_lo
	v_cndmask_b32_e64 v100, v91, v74, s3
	v_lshrrev_b32_e32 v79, 16, v93
	v_lshrrev_b32_e32 v108, 16, v97
	v_cndmask_b32_e64 v89, v89, v92, s4
	v_cndmask_b32_e64 v99, v99, v96, s4
	;; [unrolled: 1-line block ×4, first 2 shown]
	v_cmp_eq_u32_e64 s5, 1, v86
	v_cndmask_b32_e64 v89, v89, v78, s7
	v_cndmask_b32_e64 v99, v99, v107, s7
	;; [unrolled: 1-line block ×4, first 2 shown]
	v_lshrrev_b32_e32 v109, 16, v98
	v_cndmask_b32_e64 v89, v89, v93, s9
	v_cndmask_b32_e64 v99, v99, v97, s9
	;; [unrolled: 1-line block ×8, first 2 shown]
	v_cmp_eq_u32_e64 s15, 7, v87
	v_cmp_eq_u32_e64 s16, 6, v88
	v_cndmask_b32_e64 v89, v89, v94, s12
	v_cndmask_b32_e64 v99, v99, v98, s12
	v_cmp_eq_u32_e64 s17, 2, v86
	v_cndmask_b32_e64 v101, v101, v97, s11
	v_cndmask_b32_e64 v100, v100, v94, s16
	;; [unrolled: 1-line block ×6, first 2 shown]
	v_cmp_eq_u32_e64 s18, 7, v88
	v_cmp_eq_u32_e64 s19, 3, v86
	;; [unrolled: 1-line block ×4, first 2 shown]
	v_cndmask_b32_e64 v99, v99, v96, s17
	v_cndmask_b32_e64 v112, v100, v80, s18
	v_cndmask_b32_e64 v100, v101, v108, s13
	v_cndmask_b32_e64 v101, v89, v78, s19
	v_or_b32_e32 v89, 3, v87
	v_cndmask_b32_e64 v105, v99, v107, s19
	v_cmp_eq_u32_e64 s24, 6, v86
	v_cndmask_b32_e64 v113, v100, v98, s16
	v_cndmask_b32_e64 v104, v101, v93, s20
	ds_load_b128 v[99:102], v90 offset:1024
	v_cmp_eq_u32_e64 s21, 1, v89
	v_cmp_eq_u32_e64 s23, 2, v89
	;; [unrolled: 1-line block ×3, first 2 shown]
	v_cndmask_b32_e64 v114, v104, v79, s22
	v_cmp_eq_u32_e64 s26, 4, v89
	v_cndmask_b32_e64 v74, v91, v74, s21
	v_cndmask_b32_e64 v91, v105, v97, s20
	;; [unrolled: 1-line block ×3, first 2 shown]
	ds_load_b128 v[103:106], v90 offset:1040
	v_cmp_eq_u32_e64 s28, 5, v89
	v_cndmask_b32_e64 v74, v74, v92, s23
	v_cndmask_b32_e64 v91, v91, v108, s22
	v_cndmask_b32_e64 v92, v95, v96, s23
	v_cmp_eq_u32_e64 s29, 6, v89
	v_cndmask_b32_e64 v95, v113, v109, s18
	v_cndmask_b32_e64 v74, v74, v78, s25
	;; [unrolled: 1-line block ×5, first 2 shown]
	s_waitcnt lgkmcnt(1)
	v_lshrrev_b32_e32 v96, 16, v99
	v_cndmask_b32_e64 v74, v74, v93, s26
	v_lshrrev_b32_e32 v107, 16, v100
	v_cndmask_b32_e64 v92, v92, v97, s26
	v_cmp_eq_u32_e64 s27, 7, v86
	v_cndmask_b32_e32 v93, v99, v96, vcc_lo
	v_cndmask_b32_e64 v74, v74, v79, s28
	s_delay_alu instid0(VALU_DEP_4)
	v_cndmask_b32_e64 v79, v92, v108, s28
	s_waitcnt lgkmcnt(0)
	v_lshrrev_b32_e32 v97, 16, v103
	v_cndmask_b32_e64 v92, v93, v100, s4
	v_cndmask_b32_e64 v93, v99, v96, s3
	;; [unrolled: 1-line block ×4, first 2 shown]
	v_cndmask_b32_e32 v108, v103, v97, vcc_lo
	v_cndmask_b32_e64 v92, v92, v107, s7
	v_cndmask_b32_e64 v93, v93, v100, s6
	v_lshrrev_b32_e32 v98, 16, v104
	v_cmp_eq_u32_e32 vcc_lo, 7, v89
	v_cndmask_b32_e64 v94, v108, v104, s4
	v_cndmask_b32_e64 v92, v92, v101, s9
	v_lshrrev_b32_e32 v108, 16, v101
	v_cndmask_b32_e64 v93, v93, v107, s8
	v_cndmask_b32_e32 v74, v74, v80, vcc_lo
	v_cndmask_b32_e64 v94, v94, v98, s7
	v_cndmask_b32_e32 v79, v79, v109, vcc_lo
	v_cndmask_b32_e64 v92, v92, v108, s10
	v_cndmask_b32_e64 v78, v78, v80, s27
	;; [unrolled: 1-line block ×4, first 2 shown]
	v_perm_b32 v94, v79, v74, 0x5040100
	v_cndmask_b32_e64 v79, v92, v102, s12
	v_perm_b32 v92, v95, v112, 0x5040100
	v_cndmask_b32_e64 v95, v99, v96, s5
	v_cndmask_b32_e64 v96, v99, v96, s21
	v_cndmask_b32_e64 v99, v103, v97, s21
	v_cndmask_b32_e64 v112, v103, v97, s5
	v_cndmask_b32_e64 v97, v103, v97, s3
	v_cndmask_b32_e64 v95, v95, v100, s17
	v_cndmask_b32_e64 v96, v96, v100, s23
	v_cndmask_b32_e64 v99, v99, v104, s23
	v_cndmask_b32_e64 v100, v112, v104, s17
	v_cndmask_b32_e64 v97, v97, v104, s6
	v_cndmask_b32_e64 v95, v95, v107, s19
	v_cndmask_b32_e64 v96, v96, v107, s25
	v_cndmask_b32_e64 v99, v99, v98, s25
	v_cndmask_b32_e64 v100, v100, v98, s19
	v_cndmask_b32_e64 v97, v97, v98, s8
	v_cndmask_b32_e64 v91, v91, v109, s27
	v_lshrrev_b32_e32 v109, 16, v105
	v_cndmask_b32_e64 v95, v95, v101, s20
	v_cndmask_b32_e64 v96, v96, v101, s26
	;; [unrolled: 1-line block ×6, first 2 shown]
	v_lshrrev_b32_e32 v80, 16, v102
	v_cndmask_b32_e64 v113, v93, v109, s10
	v_cndmask_b32_e64 v95, v95, v108, s22
	;; [unrolled: 1-line block ×6, first 2 shown]
	v_perm_b32 v93, v91, v78, 0x5040100
	v_cndmask_b32_e64 v74, v74, v102, s16
	v_cndmask_b32_e64 v78, v79, v80, s15
	;; [unrolled: 1-line block ×3, first 2 shown]
	v_lshrrev_b32_e32 v91, 16, v106
	v_cndmask_b32_e64 v95, v95, v102, s24
	v_cndmask_b32_e64 v96, v96, v102, s29
	;; [unrolled: 1-line block ×7, first 2 shown]
	v_cndmask_b32_e32 v80, v96, v80, vcc_lo
	v_cndmask_b32_e32 v96, v98, v91, vcc_lo
	v_cndmask_b32_e64 v99, v99, v91, s27
	v_cndmask_b32_e64 v100, v97, v91, s18
	;; [unrolled: 1-line block ×3, first 2 shown]
	v_perm_b32 v91, v111, v110, 0x5040100
	v_perm_b32 v98, v96, v80, 0x5040100
	;; [unrolled: 1-line block ×5, first 2 shown]
	s_mul_i32 s8, s35, 5
	s_mov_b32 s3, exec_lo
	ds_store_b128 v77, v[91:94]
	ds_store_b128 v77, v[95:98] offset:1024
	v_cmpx_gt_u32_e32 5, v0
	s_cbranch_execz .LBB754_80
; %bb.79:
	s_mul_i32 s4, s8, s30
	s_delay_alu instid0(SALU_CYCLE_1) | instskip(SKIP_1) | instid1(VALU_DEP_1)
	v_add3_u32 v77, s4, s31, v73
	s_load_b128 s[4:7], s[0:1], 0x58
	v_mad_u64_u32 v[73:74], null, v77, s34, s[14:15]
	s_delay_alu instid0(VALU_DEP_1) | instskip(NEXT) | instid1(VALU_DEP_1)
	v_ashrrev_i32_e32 v74, 31, v73
	v_lshlrev_b64 v[73:74], 2, v[73:74]
	s_waitcnt lgkmcnt(0)
	s_delay_alu instid0(VALU_DEP_1) | instskip(NEXT) | instid1(VALU_DEP_2)
	v_add_co_u32 v77, vcc_lo, s6, v73
	v_add_co_ci_u32_e32 v78, vcc_lo, s7, v74, vcc_lo
	v_add_co_u32 v73, vcc_lo, s4, v73
	v_add_co_ci_u32_e32 v74, vcc_lo, s5, v74, vcc_lo
	global_store_b32 v[77:78], v75, off
	global_store_b32 v[73:74], v76, off
.LBB754_80:
	s_or_b32 exec_lo, exec_lo, s3
	s_waitcnt lgkmcnt(0)
	s_waitcnt_vscnt null, 0x0
	s_barrier
	buffer_gl0_inv
	ds_load_b128 v[91:94], v85
	ds_load_b128 v[95:98], v85 offset:16
	ds_load_b128 v[103:106], v85 offset:1040
	;; [unrolled: 1-line block ×3, first 2 shown]
	v_mov_b32_e32 v73, 0
	ds_load_b128 v[111:114], v85 offset:2064
	ds_load_b128 v[107:110], v85 offset:2048
	;; [unrolled: 1-line block ×6, first 2 shown]
	v_mov_b32_e32 v74, v73
	v_mov_b32_e32 v75, v73
	;; [unrolled: 1-line block ×7, first 2 shown]
	s_waitcnt lgkmcnt(8)
	s_delay_alu instid0(VALU_DEP_1)
	v_wmma_f32_16x16x16_bf16 v[73:80], v[65:72], v[91:98], v[73:80]
	ds_load_b128 v[69:72], v85 offset:5136
	ds_load_b128 v[65:68], v85 offset:5120
	;; [unrolled: 1-line block ×4, first 2 shown]
	s_waitcnt lgkmcnt(10)
	v_wmma_f32_16x16x16_bf16 v[73:80], v[57:64], v[99:106], v[73:80]
	s_waitcnt lgkmcnt(8)
	s_delay_alu instid0(VALU_DEP_1)
	v_wmma_f32_16x16x16_bf16 v[73:80], v[57:64], v[107:114], v[73:80]
	ds_load_b128 v[61:64], v85 offset:7184
	ds_load_b128 v[57:60], v85 offset:7168
	;; [unrolled: 1-line block ×4, first 2 shown]
	s_waitcnt lgkmcnt(10)
	v_wmma_f32_16x16x16_bf16 v[73:80], v[49:56], v[115:122], v[73:80]
	s_waitcnt lgkmcnt(8)
	s_delay_alu instid0(VALU_DEP_1)
	v_wmma_f32_16x16x16_bf16 v[73:80], v[49:56], v[123:130], v[73:80]
	ds_load_b128 v[53:56], v85 offset:9232
	ds_load_b128 v[49:52], v85 offset:9216
	s_waitcnt lgkmcnt(8)
	v_wmma_f32_16x16x16_bf16 v[73:80], v[41:48], v[65:72], v[73:80]
	ds_load_b128 v[69:72], v85 offset:10256
	ds_load_b128 v[65:68], v85 offset:10240
	s_waitcnt lgkmcnt(8)
	;; [unrolled: 4-line block ×3, first 2 shown]
	v_wmma_f32_16x16x16_bf16 v[73:80], v[9:16], v[57:64], v[73:80]
	s_waitcnt lgkmcnt(6)
	s_delay_alu instid0(VALU_DEP_1)
	v_wmma_f32_16x16x16_bf16 v[73:80], v[9:16], v[99:106], v[73:80]
	ds_load_b128 v[13:16], v85 offset:12304
	ds_load_b128 v[9:12], v85 offset:12288
	s_waitcnt lgkmcnt(6)
	v_wmma_f32_16x16x16_bf16 v[73:80], v[1:8], v[49:56], v[73:80]
	ds_load_b128 v[53:56], v85 offset:13328
	ds_load_b128 v[49:52], v85 offset:13312
	s_waitcnt lgkmcnt(6)
	;; [unrolled: 4-line block ×4, first 2 shown]
	v_wmma_f32_16x16x16_bf16 v[73:80], v[33:40], v[9:16], v[73:80]
	s_waitcnt lgkmcnt(4)
	s_delay_alu instid0(VALU_DEP_1) | instskip(SKIP_1) | instid1(VALU_DEP_1)
	v_wmma_f32_16x16x16_bf16 v[73:80], v[25:32], v[49:56], v[73:80]
	s_waitcnt lgkmcnt(2)
	v_wmma_f32_16x16x16_bf16 v[73:80], v[25:32], v[1:8], v[73:80]
	s_waitcnt lgkmcnt(0)
	s_delay_alu instid0(VALU_DEP_1) | instskip(NEXT) | instid1(VALU_DEP_1)
	v_wmma_f32_16x16x16_bf16 v[73:80], v[17:24], v[41:48], v[73:80]
	v_and_b32_e32 v1, 0x7f800000, v73
	s_delay_alu instid0(VALU_DEP_1) | instskip(SKIP_1) | instid1(SALU_CYCLE_1)
	v_cmp_ne_u32_e32 vcc_lo, 0x7f800000, v1
                                        ; implicit-def: $vgpr1
	s_and_saveexec_b32 s3, vcc_lo
	s_xor_b32 s3, exec_lo, s3
; %bb.81:
	v_bfe_u32 v1, v73, 16, 1
	s_delay_alu instid0(VALU_DEP_1)
	v_add3_u32 v1, v73, v1, 0x7fff
; %bb.82:
	s_and_not1_saveexec_b32 s3, s3
; %bb.83:
	v_and_b32_e32 v1, 0xffff, v73
	v_or_b32_e32 v2, 0x10000, v73
	s_delay_alu instid0(VALU_DEP_2) | instskip(NEXT) | instid1(VALU_DEP_2)
	v_cmp_eq_u32_e32 vcc_lo, 0, v1
	v_cndmask_b32_e32 v1, v2, v73, vcc_lo
; %bb.84:
	s_or_b32 exec_lo, exec_lo, s3
	v_and_b32_e32 v2, 0x7f800000, v74
	s_delay_alu instid0(VALU_DEP_1) | instskip(SKIP_1) | instid1(SALU_CYCLE_1)
	v_cmp_ne_u32_e32 vcc_lo, 0x7f800000, v2
                                        ; implicit-def: $vgpr2
	s_and_saveexec_b32 s3, vcc_lo
	s_xor_b32 s3, exec_lo, s3
; %bb.85:
	v_bfe_u32 v2, v74, 16, 1
	s_delay_alu instid0(VALU_DEP_1)
	v_add3_u32 v2, v74, v2, 0x7fff
; %bb.86:
	s_and_not1_saveexec_b32 s3, s3
; %bb.87:
	v_and_b32_e32 v2, 0xffff, v74
	v_or_b32_e32 v3, 0x10000, v74
	s_delay_alu instid0(VALU_DEP_2) | instskip(NEXT) | instid1(VALU_DEP_2)
	v_cmp_eq_u32_e32 vcc_lo, 0, v2
	v_cndmask_b32_e32 v2, v3, v74, vcc_lo
; %bb.88:
	s_or_b32 exec_lo, exec_lo, s3
	v_and_b32_e32 v3, 0x7f800000, v75
	s_delay_alu instid0(VALU_DEP_1) | instskip(SKIP_1) | instid1(SALU_CYCLE_1)
	v_cmp_ne_u32_e32 vcc_lo, 0x7f800000, v3
                                        ; implicit-def: $vgpr3
	s_and_saveexec_b32 s3, vcc_lo
	s_xor_b32 s3, exec_lo, s3
; %bb.89:
	v_bfe_u32 v3, v75, 16, 1
	s_delay_alu instid0(VALU_DEP_1)
	v_add3_u32 v3, v75, v3, 0x7fff
; %bb.90:
	s_and_not1_saveexec_b32 s3, s3
; %bb.91:
	v_and_b32_e32 v3, 0xffff, v75
	v_or_b32_e32 v4, 0x10000, v75
	s_delay_alu instid0(VALU_DEP_2) | instskip(NEXT) | instid1(VALU_DEP_2)
	v_cmp_eq_u32_e32 vcc_lo, 0, v3
	v_cndmask_b32_e32 v3, v4, v75, vcc_lo
; %bb.92:
	s_or_b32 exec_lo, exec_lo, s3
	v_and_b32_e32 v4, 0x7f800000, v76
	s_delay_alu instid0(VALU_DEP_1) | instskip(SKIP_1) | instid1(SALU_CYCLE_1)
	v_cmp_ne_u32_e32 vcc_lo, 0x7f800000, v4
                                        ; implicit-def: $vgpr4
	s_and_saveexec_b32 s3, vcc_lo
	s_xor_b32 s3, exec_lo, s3
; %bb.93:
	v_bfe_u32 v4, v76, 16, 1
	s_delay_alu instid0(VALU_DEP_1)
	v_add3_u32 v4, v76, v4, 0x7fff
; %bb.94:
	s_and_not1_saveexec_b32 s3, s3
; %bb.95:
	v_and_b32_e32 v4, 0xffff, v76
	v_or_b32_e32 v5, 0x10000, v76
	s_delay_alu instid0(VALU_DEP_2) | instskip(NEXT) | instid1(VALU_DEP_2)
	v_cmp_eq_u32_e32 vcc_lo, 0, v4
	v_cndmask_b32_e32 v4, v5, v76, vcc_lo
; %bb.96:
	s_or_b32 exec_lo, exec_lo, s3
	v_and_b32_e32 v5, 0x7f800000, v77
	s_delay_alu instid0(VALU_DEP_1) | instskip(SKIP_1) | instid1(SALU_CYCLE_1)
	v_cmp_ne_u32_e32 vcc_lo, 0x7f800000, v5
                                        ; implicit-def: $vgpr5
	s_and_saveexec_b32 s3, vcc_lo
	s_xor_b32 s3, exec_lo, s3
; %bb.97:
	v_bfe_u32 v5, v77, 16, 1
	s_delay_alu instid0(VALU_DEP_1)
	v_add3_u32 v5, v77, v5, 0x7fff
; %bb.98:
	s_and_not1_saveexec_b32 s3, s3
; %bb.99:
	v_and_b32_e32 v5, 0xffff, v77
	v_or_b32_e32 v6, 0x10000, v77
	s_delay_alu instid0(VALU_DEP_2) | instskip(NEXT) | instid1(VALU_DEP_2)
	v_cmp_eq_u32_e32 vcc_lo, 0, v5
	v_cndmask_b32_e32 v5, v6, v77, vcc_lo
; %bb.100:
	s_or_b32 exec_lo, exec_lo, s3
	v_and_b32_e32 v6, 0x7f800000, v78
	s_delay_alu instid0(VALU_DEP_1) | instskip(SKIP_1) | instid1(SALU_CYCLE_1)
	v_cmp_ne_u32_e32 vcc_lo, 0x7f800000, v6
                                        ; implicit-def: $vgpr6
	s_and_saveexec_b32 s3, vcc_lo
	s_xor_b32 s3, exec_lo, s3
; %bb.101:
	v_bfe_u32 v6, v78, 16, 1
	s_delay_alu instid0(VALU_DEP_1)
	v_add3_u32 v6, v78, v6, 0x7fff
; %bb.102:
	s_and_not1_saveexec_b32 s3, s3
; %bb.103:
	v_and_b32_e32 v6, 0xffff, v78
	v_or_b32_e32 v7, 0x10000, v78
	s_delay_alu instid0(VALU_DEP_2) | instskip(NEXT) | instid1(VALU_DEP_2)
	v_cmp_eq_u32_e32 vcc_lo, 0, v6
	v_cndmask_b32_e32 v6, v7, v78, vcc_lo
; %bb.104:
	s_or_b32 exec_lo, exec_lo, s3
	v_and_b32_e32 v7, 0x7f800000, v79
	s_delay_alu instid0(VALU_DEP_1) | instskip(SKIP_1) | instid1(SALU_CYCLE_1)
	v_cmp_ne_u32_e32 vcc_lo, 0x7f800000, v7
                                        ; implicit-def: $vgpr7
	s_and_saveexec_b32 s3, vcc_lo
	s_xor_b32 s3, exec_lo, s3
; %bb.105:
	v_bfe_u32 v7, v79, 16, 1
	s_delay_alu instid0(VALU_DEP_1)
	v_add3_u32 v7, v79, v7, 0x7fff
; %bb.106:
	s_and_not1_saveexec_b32 s3, s3
; %bb.107:
	v_and_b32_e32 v7, 0xffff, v79
	v_or_b32_e32 v8, 0x10000, v79
	s_delay_alu instid0(VALU_DEP_2) | instskip(NEXT) | instid1(VALU_DEP_2)
	v_cmp_eq_u32_e32 vcc_lo, 0, v7
	v_cndmask_b32_e32 v7, v8, v79, vcc_lo
; %bb.108:
	s_or_b32 exec_lo, exec_lo, s3
	v_and_b32_e32 v8, 0x7f800000, v80
	s_delay_alu instid0(VALU_DEP_1) | instskip(SKIP_1) | instid1(SALU_CYCLE_1)
	v_cmp_ne_u32_e32 vcc_lo, 0x7f800000, v8
                                        ; implicit-def: $vgpr8
	s_and_saveexec_b32 s3, vcc_lo
	s_xor_b32 s3, exec_lo, s3
; %bb.109:
	v_bfe_u32 v8, v80, 16, 1
	s_delay_alu instid0(VALU_DEP_1)
	v_add3_u32 v8, v80, v8, 0x7fff
                                        ; implicit-def: $vgpr73_vgpr74_vgpr75_vgpr76_vgpr77_vgpr78_vgpr79_vgpr80
; %bb.110:
	s_and_not1_saveexec_b32 s3, s3
; %bb.111:
	v_and_b32_e32 v8, 0xffff, v80
	v_or_b32_e32 v9, 0x10000, v80
	s_delay_alu instid0(VALU_DEP_2) | instskip(NEXT) | instid1(VALU_DEP_2)
	v_cmp_eq_u32_e32 vcc_lo, 0, v8
	v_cndmask_b32_e32 v8, v9, v80, vcc_lo
; %bb.112:
	s_or_b32 exec_lo, exec_lo, s3
	s_delay_alu instid0(VALU_DEP_1)
	v_perm_b32 v7, v8, v7, 0x7060302
	v_perm_b32 v6, v6, v5, 0x7060302
	;; [unrolled: 1-line block ×4, first 2 shown]
	v_lshl_or_b32 v9, v83, 4, v90
	s_barrier
	buffer_gl0_inv
	v_cmp_eq_u32_e32 vcc_lo, 1, v87
	ds_store_b128 v9, v[4:7]
	s_waitcnt lgkmcnt(0)
	s_barrier
	buffer_gl0_inv
	ds_load_b128 v[1:4], v90
	ds_load_b128 v[5:8], v90 offset:16
	v_cmp_eq_u32_e64 s4, 2, v87
	v_cmp_eq_u32_e64 s3, 1, v88
	;; [unrolled: 1-line block ×5, first 2 shown]
	s_waitcnt lgkmcnt(1)
	v_lshrrev_b32_e32 v10, 16, v1
	s_waitcnt lgkmcnt(0)
	v_lshrrev_b32_e32 v14, 16, v5
	v_lshrrev_b32_e32 v15, 16, v6
	;; [unrolled: 1-line block ×4, first 2 shown]
	v_cndmask_b32_e64 v20, v1, v10, s3
	v_cndmask_b32_e32 v19, v5, v14, vcc_lo
	v_cndmask_b32_e64 v21, v5, v14, s3
	v_lshrrev_b32_e32 v16, 16, v7
	v_cmp_eq_u32_e64 s3, 1, v86
	v_lshrrev_b32_e32 v13, 16, v4
	v_cndmask_b32_e64 v19, v19, v6, s4
	v_lshrrev_b32_e32 v17, 16, v8
	s_delay_alu instid0(VALU_DEP_4) | instskip(SKIP_1) | instid1(VALU_DEP_4)
	v_cndmask_b32_e64 v22, v1, v10, s3
	v_cndmask_b32_e64 v23, v5, v14, s3
	;; [unrolled: 1-line block ×3, first 2 shown]
	v_cndmask_b32_e32 v18, v1, v10, vcc_lo
	v_cmp_eq_u32_e32 vcc_lo, 2, v88
	v_cmp_eq_u32_e64 s3, 2, v89
	v_cndmask_b32_e64 v22, v22, v2, s7
	v_cndmask_b32_e32 v20, v20, v2, vcc_lo
	v_cndmask_b32_e32 v21, v21, v6, vcc_lo
	v_cmp_eq_u32_e32 vcc_lo, 4, v87
	v_cndmask_b32_e32 v19, v19, v7, vcc_lo
	v_cndmask_b32_e64 v18, v18, v2, s4
	v_cmp_eq_u32_e64 s4, 3, v88
	s_delay_alu instid0(VALU_DEP_2) | instskip(NEXT) | instid1(VALU_DEP_2)
	v_cndmask_b32_e64 v18, v18, v11, s5
	v_cndmask_b32_e64 v21, v21, v15, s4
	v_cmp_eq_u32_e64 s5, 5, v87
	s_delay_alu instid0(VALU_DEP_3) | instskip(SKIP_1) | instid1(VALU_DEP_3)
	v_cndmask_b32_e32 v18, v18, v3, vcc_lo
	v_cmp_eq_u32_e32 vcc_lo, 4, v88
	v_cndmask_b32_e64 v19, v19, v16, s5
	s_delay_alu instid0(VALU_DEP_3) | instskip(SKIP_4) | instid1(VALU_DEP_3)
	v_cndmask_b32_e64 v18, v18, v12, s5
	v_cndmask_b32_e32 v21, v21, v7, vcc_lo
	v_cndmask_b32_e64 v20, v20, v11, s4
	v_cmp_eq_u32_e64 s4, 5, v88
	v_cmp_eq_u32_e64 s5, 6, v87
	v_cndmask_b32_e32 v20, v20, v3, vcc_lo
	s_delay_alu instid0(VALU_DEP_3) | instskip(SKIP_1) | instid1(VALU_DEP_4)
	v_cndmask_b32_e64 v21, v21, v16, s4
	v_cmp_eq_u32_e32 vcc_lo, 6, v88
	v_cndmask_b32_e64 v18, v18, v4, s5
	v_cndmask_b32_e64 v19, v19, v8, s5
	;; [unrolled: 1-line block ×3, first 2 shown]
	v_cmp_eq_u32_e64 s4, 1, v89
	v_cmp_eq_u32_e64 s5, 7, v87
	s_delay_alu instid0(VALU_DEP_3) | instskip(NEXT) | instid1(VALU_DEP_3)
	v_cndmask_b32_e32 v20, v20, v4, vcc_lo
	v_cndmask_b32_e64 v1, v1, v10, s4
	v_cndmask_b32_e64 v5, v5, v14, s4
	v_cmp_eq_u32_e64 s4, 3, v86
	v_cndmask_b32_e64 v14, v23, v6, s7
	v_cmp_eq_u32_e64 s7, 3, v89
	v_cndmask_b32_e64 v1, v1, v2, s3
	v_cndmask_b32_e64 v2, v5, v6, s3
	;; [unrolled: 1-line block ×3, first 2 shown]
	v_cmp_eq_u32_e64 s3, 4, v86
	v_cndmask_b32_e64 v6, v14, v15, s4
	v_cndmask_b32_e64 v1, v1, v11, s7
	v_cmp_eq_u32_e64 s4, 4, v89
	v_cndmask_b32_e64 v2, v2, v15, s7
	v_cndmask_b32_e64 v5, v10, v3, s3
	;; [unrolled: 3-line block ×3, first 2 shown]
	v_cndmask_b32_e64 v2, v2, v7, s4
	v_cmp_eq_u32_e64 s3, 5, v89
	v_cndmask_b32_e64 v5, v5, v12, s7
	v_cmp_eq_u32_e64 s4, 6, v86
	v_cndmask_b32_e64 v3, v6, v16, s7
	v_cmp_eq_u32_e64 s7, 6, v89
	v_cndmask_b32_e64 v1, v1, v12, s3
	v_cndmask_b32_e64 v2, v2, v16, s3
	;; [unrolled: 1-line block ×4, first 2 shown]
	v_cmp_eq_u32_e64 s3, 7, v89
	v_cndmask_b32_e64 v1, v1, v4, s7
	v_cndmask_b32_e64 v2, v2, v8, s7
	v_cmp_eq_u32_e64 s4, 7, v86
	v_cndmask_b32_e32 v4, v21, v8, vcc_lo
	v_cndmask_b32_e64 v18, v18, v13, s5
	v_cndmask_b32_e64 v20, v20, v13, s6
	;; [unrolled: 1-line block ×8, first 2 shown]
	s_mov_b32 s3, exec_lo
	v_perm_b32 v4, v2, v1, 0x5040100
	v_perm_b32 v3, v3, v5, 0x5040100
	;; [unrolled: 1-line block ×4, first 2 shown]
	ds_store_b128 v9, v[1:4]
	s_waitcnt lgkmcnt(0)
	s_barrier
	buffer_gl0_inv
	v_cmpx_gt_u32_e32 32, v0
	s_cbranch_execz .LBB754_2
; %bb.113:
	s_load_b64 s[4:5], s[0:1], 0x68
	v_lshlrev_b32_e32 v0, 10, v0
	v_add_nc_u32_e32 v2, s31, v83
	v_lshlrev_b32_e32 v3, 4, v84
	s_lshl_b32 s0, s34, 7
	s_delay_alu instid0(SALU_CYCLE_1) | instskip(NEXT) | instid1(VALU_DEP_2)
	s_mul_i32 s1, s0, s30
	v_mul_lo_u32 v1, v2, s0
	s_delay_alu instid0(VALU_DEP_2) | instskip(SKIP_2) | instid1(SALU_CYCLE_1)
	v_and_or_b32 v0, 0x3800, v0, v3
	v_add_nc_u32_e32 v2, 2, v2
	s_mul_i32 s6, s1, s8
	s_ashr_i32 s7, s6, 31
	s_delay_alu instid0(VALU_DEP_2)
	v_lshl_or_b32 v7, v83, 6, v0
	s_lshl_b64 s[6:7], s[6:7], 1
	v_mul_lo_u32 v11, v2, s0
	v_ashrrev_i32_e32 v2, 31, v1
	ds_load_b128 v[3:6], v7
	ds_load_b128 v[7:10], v7 offset:128
	s_waitcnt lgkmcnt(0)
	s_add_u32 s1, s4, s6
	s_addc_u32 s3, s5, s7
	s_lshl_b32 s4, s14, 7
	v_ashrrev_i32_e32 v12, 31, v11
	s_ashr_i32 s5, s4, 31
	v_lshlrev_b64 v[13:14], 1, v[1:2]
	s_lshl_b64 s[4:5], s[4:5], 1
	s_delay_alu instid0(SALU_CYCLE_1) | instskip(SKIP_4) | instid1(VALU_DEP_3)
	s_add_u32 s1, s1, s4
	s_addc_u32 s3, s3, s5
	v_add_co_u32 v1, vcc_lo, s1, v81
	v_add_co_ci_u32_e32 v2, vcc_lo, s3, v82, vcc_lo
	v_lshlrev_b64 v[11:12], 1, v[11:12]
	v_add_co_u32 v13, vcc_lo, v1, v13
	s_delay_alu instid0(VALU_DEP_3) | instskip(NEXT) | instid1(VALU_DEP_3)
	v_add_co_ci_u32_e32 v14, vcc_lo, v2, v14, vcc_lo
	v_add_co_u32 v11, vcc_lo, v1, v11
	s_delay_alu instid0(VALU_DEP_4)
	v_add_co_ci_u32_e32 v12, vcc_lo, v2, v12, vcc_lo
	s_clause 0x1
	global_store_b128 v[13:14], v[3:6], off
	global_store_b128 v[11:12], v[7:10], off
	s_and_b32 exec_lo, exec_lo, s2
	s_cbranch_execz .LBB754_2
; %bb.114:
	ds_load_b128 v[3:6], v0 offset:256
	s_add_i32 s1, s31, 4
	s_delay_alu instid0(SALU_CYCLE_1) | instskip(NEXT) | instid1(SALU_CYCLE_1)
	s_mul_i32 s0, s1, s0
	s_ashr_i32 s1, s0, 31
	s_delay_alu instid0(SALU_CYCLE_1) | instskip(NEXT) | instid1(SALU_CYCLE_1)
	s_lshl_b64 s[0:1], s[0:1], 1
	v_add_co_u32 v0, vcc_lo, v1, s0
	v_add_co_ci_u32_e32 v1, vcc_lo, s1, v2, vcc_lo
	s_waitcnt lgkmcnt(0)
	global_store_b128 v[0:1], v[3:6], off
	s_nop 0
	s_sendmsg sendmsg(MSG_DEALLOC_VGPRS)
	s_endpgm
	.section	.rodata,"a",@progbits
	.p2align	6, 0x0
	.amdhsa_kernel _Z39paged_attention_ll4mi_QKV_mfma16_kernelI14__hip_bfloat16S0_LN4vllm18Fp8KVCacheDataTypeE0ES0_Li32ELi128ELi256ELb0ELi5EL8MFMAType0EEvPKT_PKT0_S9_ifPKiSB_SB_iPKfiiiPfSE_PS4_PT2_iSD_SD_
		.amdhsa_group_segment_fixed_size 17472
		.amdhsa_private_segment_fixed_size 0
		.amdhsa_kernarg_size 400
		.amdhsa_user_sgpr_count 13
		.amdhsa_user_sgpr_dispatch_ptr 0
		.amdhsa_user_sgpr_queue_ptr 0
		.amdhsa_user_sgpr_kernarg_segment_ptr 1
		.amdhsa_user_sgpr_dispatch_id 0
		.amdhsa_user_sgpr_private_segment_size 0
		.amdhsa_wavefront_size32 1
		.amdhsa_uses_dynamic_stack 0
		.amdhsa_enable_private_segment 0
		.amdhsa_system_sgpr_workgroup_id_x 1
		.amdhsa_system_sgpr_workgroup_id_y 1
		.amdhsa_system_sgpr_workgroup_id_z 1
		.amdhsa_system_sgpr_workgroup_info 0
		.amdhsa_system_vgpr_workitem_id 0
		.amdhsa_next_free_vgpr 157
		.amdhsa_next_free_sgpr 37
		.amdhsa_reserve_vcc 1
		.amdhsa_float_round_mode_32 0
		.amdhsa_float_round_mode_16_64 0
		.amdhsa_float_denorm_mode_32 3
		.amdhsa_float_denorm_mode_16_64 3
		.amdhsa_dx10_clamp 1
		.amdhsa_ieee_mode 1
		.amdhsa_fp16_overflow 0
		.amdhsa_workgroup_processor_mode 1
		.amdhsa_memory_ordered 1
		.amdhsa_forward_progress 0
		.amdhsa_shared_vgpr_count 0
		.amdhsa_exception_fp_ieee_invalid_op 0
		.amdhsa_exception_fp_denorm_src 0
		.amdhsa_exception_fp_ieee_div_zero 0
		.amdhsa_exception_fp_ieee_overflow 0
		.amdhsa_exception_fp_ieee_underflow 0
		.amdhsa_exception_fp_ieee_inexact 0
		.amdhsa_exception_int_div_zero 0
	.end_amdhsa_kernel
	.section	.text._Z39paged_attention_ll4mi_QKV_mfma16_kernelI14__hip_bfloat16S0_LN4vllm18Fp8KVCacheDataTypeE0ES0_Li32ELi128ELi256ELb0ELi5EL8MFMAType0EEvPKT_PKT0_S9_ifPKiSB_SB_iPKfiiiPfSE_PS4_PT2_iSD_SD_,"axG",@progbits,_Z39paged_attention_ll4mi_QKV_mfma16_kernelI14__hip_bfloat16S0_LN4vllm18Fp8KVCacheDataTypeE0ES0_Li32ELi128ELi256ELb0ELi5EL8MFMAType0EEvPKT_PKT0_S9_ifPKiSB_SB_iPKfiiiPfSE_PS4_PT2_iSD_SD_,comdat
.Lfunc_end754:
	.size	_Z39paged_attention_ll4mi_QKV_mfma16_kernelI14__hip_bfloat16S0_LN4vllm18Fp8KVCacheDataTypeE0ES0_Li32ELi128ELi256ELb0ELi5EL8MFMAType0EEvPKT_PKT0_S9_ifPKiSB_SB_iPKfiiiPfSE_PS4_PT2_iSD_SD_, .Lfunc_end754-_Z39paged_attention_ll4mi_QKV_mfma16_kernelI14__hip_bfloat16S0_LN4vllm18Fp8KVCacheDataTypeE0ES0_Li32ELi128ELi256ELb0ELi5EL8MFMAType0EEvPKT_PKT0_S9_ifPKiSB_SB_iPKfiiiPfSE_PS4_PT2_iSD_SD_
                                        ; -- End function
	.section	.AMDGPU.csdata,"",@progbits
; Kernel info:
; codeLenInByte = 9724
; NumSgprs: 39
; NumVgprs: 157
; ScratchSize: 0
; MemoryBound: 0
; FloatMode: 240
; IeeeMode: 1
; LDSByteSize: 17472 bytes/workgroup (compile time only)
; SGPRBlocks: 4
; VGPRBlocks: 19
; NumSGPRsForWavesPerEU: 39
; NumVGPRsForWavesPerEU: 157
; Occupancy: 9
; WaveLimiterHint : 1
; COMPUTE_PGM_RSRC2:SCRATCH_EN: 0
; COMPUTE_PGM_RSRC2:USER_SGPR: 13
; COMPUTE_PGM_RSRC2:TRAP_HANDLER: 0
; COMPUTE_PGM_RSRC2:TGID_X_EN: 1
; COMPUTE_PGM_RSRC2:TGID_Y_EN: 1
; COMPUTE_PGM_RSRC2:TGID_Z_EN: 1
; COMPUTE_PGM_RSRC2:TIDIG_COMP_CNT: 0
	.section	.text._Z39paged_attention_ll4mi_QKV_mfma16_kernelI14__hip_bfloat16S0_LN4vllm18Fp8KVCacheDataTypeE0ES0_Li32ELi128ELi256ELb0ELi6EL8MFMAType0EEvPKT_PKT0_S9_ifPKiSB_SB_iPKfiiiPfSE_PS4_PT2_iSD_SD_,"axG",@progbits,_Z39paged_attention_ll4mi_QKV_mfma16_kernelI14__hip_bfloat16S0_LN4vllm18Fp8KVCacheDataTypeE0ES0_Li32ELi128ELi256ELb0ELi6EL8MFMAType0EEvPKT_PKT0_S9_ifPKiSB_SB_iPKfiiiPfSE_PS4_PT2_iSD_SD_,comdat
	.protected	_Z39paged_attention_ll4mi_QKV_mfma16_kernelI14__hip_bfloat16S0_LN4vllm18Fp8KVCacheDataTypeE0ES0_Li32ELi128ELi256ELb0ELi6EL8MFMAType0EEvPKT_PKT0_S9_ifPKiSB_SB_iPKfiiiPfSE_PS4_PT2_iSD_SD_ ; -- Begin function _Z39paged_attention_ll4mi_QKV_mfma16_kernelI14__hip_bfloat16S0_LN4vllm18Fp8KVCacheDataTypeE0ES0_Li32ELi128ELi256ELb0ELi6EL8MFMAType0EEvPKT_PKT0_S9_ifPKiSB_SB_iPKfiiiPfSE_PS4_PT2_iSD_SD_
	.globl	_Z39paged_attention_ll4mi_QKV_mfma16_kernelI14__hip_bfloat16S0_LN4vllm18Fp8KVCacheDataTypeE0ES0_Li32ELi128ELi256ELb0ELi6EL8MFMAType0EEvPKT_PKT0_S9_ifPKiSB_SB_iPKfiiiPfSE_PS4_PT2_iSD_SD_
	.p2align	8
	.type	_Z39paged_attention_ll4mi_QKV_mfma16_kernelI14__hip_bfloat16S0_LN4vllm18Fp8KVCacheDataTypeE0ES0_Li32ELi128ELi256ELb0ELi6EL8MFMAType0EEvPKT_PKT0_S9_ifPKiSB_SB_iPKfiiiPfSE_PS4_PT2_iSD_SD_,@function
_Z39paged_attention_ll4mi_QKV_mfma16_kernelI14__hip_bfloat16S0_LN4vllm18Fp8KVCacheDataTypeE0ES0_Li32ELi128ELi256ELb0ELi6EL8MFMAType0EEvPKT_PKT0_S9_ifPKiSB_SB_iPKfiiiPfSE_PS4_PT2_iSD_SD_: ; @_Z39paged_attention_ll4mi_QKV_mfma16_kernelI14__hip_bfloat16S0_LN4vllm18Fp8KVCacheDataTypeE0ES0_Li32ELi128ELi256ELb0ELi6EL8MFMAType0EEvPKT_PKT0_S9_ifPKiSB_SB_iPKfiiiPfSE_PS4_PT2_iSD_SD_
; %bb.0:
	s_load_b64 s[2:3], s[0:1], 0x30
	s_mov_b32 s30, s13
	s_waitcnt lgkmcnt(0)
	s_cmp_lg_u64 s[2:3], 0
	s_cselect_b32 s6, -1, 0
	s_ashr_i32 s31, s13, 31
	s_cmp_eq_u64 s[2:3], 0
	s_cbranch_scc1 .LBB755_3
; %bb.1:
	s_lshl_b64 s[4:5], s[30:31], 2
	s_delay_alu instid0(SALU_CYCLE_1) | instskip(SKIP_4) | instid1(SALU_CYCLE_1)
	s_add_u32 s4, s2, s4
	s_addc_u32 s5, s3, s5
	s_load_b64 s[4:5], s[4:5], 0x0
	s_waitcnt lgkmcnt(0)
	s_sub_i32 s4, s5, s4
	s_cmp_eq_u32 s4, 1
	s_cselect_b32 s4, -1, 0
	s_delay_alu instid0(SALU_CYCLE_1)
	s_and_not1_b32 vcc_lo, exec_lo, s4
	s_cbranch_vccz .LBB755_4
.LBB755_2:
	s_endpgm
.LBB755_3:
.LBB755_4:
	s_load_b64 s[8:9], s[0:1], 0x28
	s_lshl_b64 s[4:5], s[30:31], 2
	s_waitcnt lgkmcnt(0)
	s_add_u32 s8, s8, s4
	s_addc_u32 s9, s9, s5
	s_lshl_b32 s12, s14, 8
	s_load_b32 s17, s[8:9], 0x0
	s_waitcnt lgkmcnt(0)
	s_cmp_ge_i32 s12, s17
	s_cbranch_scc1 .LBB755_2
; %bb.5:
	s_and_not1_b32 vcc_lo, exec_lo, s6
	s_cbranch_vccnz .LBB755_7
; %bb.6:
	s_add_u32 s2, s2, s4
	s_addc_u32 s3, s3, s5
	s_load_b32 s13, s[2:3], 0x0
	s_branch .LBB755_8
.LBB755_7:
	s_mov_b32 s13, s30
.LBB755_8:
	s_clause 0x2
	s_load_b128 s[8:11], s[0:1], 0x8
	s_load_b64 s[2:3], s[0:1], 0x20
	s_load_b128 s[4:7], s[0:1], 0x48
	v_and_b32_e32 v73, 15, v0
	s_waitcnt lgkmcnt(0)
	s_mov_b32 s7, exec_lo
	s_delay_alu instid0(VALU_DEP_1)
	v_lshlrev_b32_e32 v1, 3, v73
	v_cmpx_lt_u32_e32 0x5f, v0
	s_xor_b32 s7, exec_lo, s7
; %bb.9:
	v_mov_b32_e32 v2, 0
; %bb.10:
	s_or_saveexec_b32 s7, s7
	v_lshrrev_b32_e32 v74, 5, v0
	v_and_b32_e32 v75, 31, v0
	v_and_b32_e32 v84, 1, v0
	v_bfe_u32 v83, v0, 4, 1
	s_mul_i32 s29, s15, 6
	s_xor_b32 exec_lo, exec_lo, s7
	s_cbranch_execz .LBB755_12
; %bb.11:
	s_load_b64 s[18:19], s[0:1], 0x0
	v_lshl_or_b32 v7, v74, 1, v83
	s_mul_hi_i32 s21, s13, s4
	s_mul_i32 s20, s13, s4
	v_lshlrev_b32_e32 v4, 1, v1
	s_lshl_b64 s[20:21], s[20:21], 1
	v_add_lshl_u32 v2, v7, s29, 7
	v_lshlrev_b32_e32 v7, 6, v7
	v_lshlrev_b32_e32 v8, 10, v84
	s_delay_alu instid0(VALU_DEP_3) | instskip(NEXT) | instid1(VALU_DEP_1)
	v_ashrrev_i32_e32 v3, 31, v2
	v_lshlrev_b64 v[2:3], 1, v[2:3]
	s_waitcnt lgkmcnt(0)
	s_add_u32 s4, s18, s20
	s_addc_u32 s13, s19, s21
	s_delay_alu instid0(VALU_DEP_1) | instskip(NEXT) | instid1(VALU_DEP_2)
	v_add_co_u32 v2, vcc_lo, s4, v2
	v_add_co_ci_u32_e32 v3, vcc_lo, s13, v3, vcc_lo
	s_delay_alu instid0(VALU_DEP_2) | instskip(NEXT) | instid1(VALU_DEP_2)
	v_add_co_u32 v2, vcc_lo, v2, v4
	v_add_co_ci_u32_e32 v3, vcc_lo, 0, v3, vcc_lo
	global_load_b128 v[3:6], v[2:3], off
	v_lshlrev_b32_e32 v2, 10, v73
	s_delay_alu instid0(VALU_DEP_1) | instskip(NEXT) | instid1(VALU_DEP_1)
	v_and_b32_e32 v2, 0x3800, v2
	v_or3_b32 v7, v2, v8, v7
	v_mov_b32_e32 v2, 0
	s_waitcnt vmcnt(0)
	ds_store_b128 v7, v[3:6]
.LBB755_12:
	s_or_b32 exec_lo, exec_lo, s7
	v_and_b32_e32 v3, 0xef, v0
	v_mul_lo_u16 v80, v73, 43
	s_add_i32 s4, s17, 31
	s_clause 0x1
	s_load_b32 s7, s[0:1], 0x38
	s_load_b32 s18, s[0:1], 0x1c
	v_add_nc_u32_e32 v3, s12, v3
	v_lshrrev_b16 v80, 8, v80
	s_ashr_i32 s13, s4, 31
	s_waitcnt lgkmcnt(0)
	s_lshr_b32 s13, s13, 27
	v_ashrrev_i32_e32 v4, 31, v3
	v_mul_lo_u16 v80, v80, 6
	s_add_i32 s4, s4, s13
	v_cmp_gt_i32_e32 vcc_lo, s17, v3
	s_ashr_i32 s4, s4, 5
	v_lshrrev_b32_e32 v5, 27, v4
	v_or_b32_e32 v4, 16, v3
	v_sub_nc_u16 v80, v73, v80
	s_add_i32 s4, s4, -1
	s_barrier
	v_add_nc_u32_e32 v6, v3, v5
	v_add_nc_u32_e32 v5, v4, v5
	v_and_b32_e32 v80, 0xff, v80
	s_mul_i32 s20, s30, s7
	buffer_gl0_inv
	v_ashrrev_i32_e32 v6, 5, v6
	v_ashrrev_i32_e32 v5, 5, v5
	s_ashr_i32 s21, s20, 31
	v_lshlrev_b64 v[81:82], 1, v[1:2]
	s_lshl_b64 s[20:21], s[20:21], 2
	v_dual_cndmask_b32 v3, s4, v6 :: v_dual_lshlrev_b32 v80, 6, v80
	v_cmp_gt_i32_e32 vcc_lo, s17, v4
	s_add_u32 s13, s2, s20
	s_addc_u32 s16, s3, s21
	s_delay_alu instid0(VALU_DEP_2) | instskip(SKIP_3) | instid1(SALU_CYCLE_1)
	v_ashrrev_i32_e32 v4, 31, v3
	s_mul_i32 s2, s15, s6
	v_cndmask_b32_e32 v5, s4, v5, vcc_lo
	s_ashr_i32 s3, s2, 31
	s_lshl_b64 s[2:3], s[2:3], 1
	v_lshlrev_b64 v[3:4], 2, v[3:4]
	s_delay_alu instid0(VALU_DEP_2) | instskip(SKIP_3) | instid1(VALU_DEP_1)
	v_ashrrev_i32_e32 v6, 31, v5
	s_add_u32 s15, s8, s2
	s_addc_u32 s19, s9, s3
	s_lshl_b32 s6, s14, 3
	v_lshlrev_b64 v[5:6], 2, v[5:6]
	v_add_co_u32 v3, vcc_lo, s13, v3
	v_add_co_ci_u32_e32 v4, vcc_lo, s16, v4, vcc_lo
	s_ashr_i32 s7, s6, 31
	s_delay_alu instid0(VALU_DEP_3) | instskip(NEXT) | instid1(VALU_DEP_4)
	v_add_co_u32 v5, vcc_lo, s13, v5
	v_add_co_ci_u32_e32 v6, vcc_lo, s16, v6, vcc_lo
	s_clause 0x1
	global_load_b32 v7, v[3:4], off
	global_load_b32 v8, v[5:6], off
	s_lshl_b64 s[6:7], s[6:7], 2
	s_delay_alu instid0(SALU_CYCLE_1) | instskip(SKIP_2) | instid1(SALU_CYCLE_1)
	s_add_u32 s6, s13, s6
	s_addc_u32 s7, s16, s7
	s_or_b32 s8, s12, 32
	s_ashr_i32 s9, s8, 5
	s_cmp_lt_i32 s8, s17
	s_cselect_b32 s8, s9, s4
	s_delay_alu instid0(SALU_CYCLE_1) | instskip(NEXT) | instid1(SALU_CYCLE_1)
	s_ashr_i32 s9, s8, 31
	s_lshl_b64 s[8:9], s[8:9], 2
	s_delay_alu instid0(SALU_CYCLE_1) | instskip(SKIP_2) | instid1(SALU_CYCLE_1)
	s_add_u32 s8, s13, s8
	s_addc_u32 s9, s16, s9
	s_or_b32 s20, s12, 64
	s_ashr_i32 s21, s20, 5
	s_cmp_lt_i32 s20, s17
	s_cselect_b32 s20, s21, s4
	s_delay_alu instid0(SALU_CYCLE_1) | instskip(NEXT) | instid1(SALU_CYCLE_1)
	s_ashr_i32 s21, s20, 31
	;; [unrolled: 10-line block ×5, first 2 shown]
	s_lshl_b64 s[26:27], s[26:27], 2
	s_delay_alu instid0(SALU_CYCLE_1)
	s_add_u32 s26, s13, s26
	s_addc_u32 s27, s16, s27
	s_clause 0x5
	s_load_b32 s28, s[6:7], 0x0
	s_load_b32 s31, s[8:9], 0x0
	;; [unrolled: 1-line block ×6, first 2 shown]
	s_mov_b32 s20, 0
	s_or_b32 s6, s12, 0xc0
	s_mov_b32 s27, s20
	s_mov_b32 s21, s20
	s_mov_b32 s22, s20
	s_mov_b32 s23, s20
	s_mov_b32 s24, s20
	s_mov_b32 s25, s20
	s_mov_b32 s26, s20
	s_delay_alu instid0(SALU_CYCLE_1)
	v_dual_mov_b32 v108, s27 :: v_dual_mov_b32 v107, s26
	v_dual_mov_b32 v106, s25 :: v_dual_mov_b32 v105, s24
	;; [unrolled: 1-line block ×4, first 2 shown]
	s_ashr_i32 s7, s6, 5
	s_cmp_lt_i32 s6, s17
	s_waitcnt lgkmcnt(0)
	s_mul_hi_i32 s27, s34, s5
	s_cselect_b32 s6, s7, s4
	s_mul_i32 s26, s34, s5
	s_ashr_i32 s7, s6, 31
	s_mul_hi_i32 s9, s28, s5
	s_lshl_b64 s[6:7], s[6:7], 2
	s_mul_i32 s8, s28, s5
	s_add_u32 s6, s13, s6
	s_addc_u32 s7, s16, s7
	s_mul_hi_i32 s21, s31, s5
	s_mul_i32 s20, s31, s5
	s_mul_hi_i32 s25, s33, s5
	s_mul_i32 s24, s33, s5
	;; [unrolled: 2-line block ×3, first 2 shown]
	s_waitcnt vmcnt(1)
	v_mad_i64_i32 v[3:4], null, v7, s5, 0
	s_waitcnt vmcnt(0)
	v_mad_i64_i32 v[5:6], null, v8, s5, 0
	s_delay_alu instid0(VALU_DEP_2) | instskip(NEXT) | instid1(VALU_DEP_2)
	v_lshlrev_b64 v[3:4], 1, v[3:4]
	v_lshlrev_b64 v[1:2], 1, v[5:6]
	s_delay_alu instid0(VALU_DEP_2) | instskip(NEXT) | instid1(VALU_DEP_3)
	v_add_co_u32 v3, vcc_lo, s15, v3
	v_add_co_ci_u32_e32 v4, vcc_lo, s19, v4, vcc_lo
	s_delay_alu instid0(VALU_DEP_3) | instskip(NEXT) | instid1(VALU_DEP_4)
	v_add_co_u32 v1, vcc_lo, s15, v1
	v_add_co_ci_u32_e32 v2, vcc_lo, s19, v2, vcc_lo
	s_delay_alu instid0(VALU_DEP_4) | instskip(NEXT) | instid1(VALU_DEP_4)
	v_add_co_u32 v65, vcc_lo, v3, v81
	v_add_co_ci_u32_e32 v66, vcc_lo, v4, v82, vcc_lo
	s_delay_alu instid0(VALU_DEP_4) | instskip(NEXT) | instid1(VALU_DEP_4)
	v_add_co_u32 v76, vcc_lo, v1, v81
	v_add_co_ci_u32_e32 v77, vcc_lo, v2, v82, vcc_lo
	s_clause 0xf
	global_load_b128 v[1:4], v[65:66], off
	global_load_b128 v[5:8], v[65:66], off offset:512
	global_load_b128 v[9:12], v[76:77], off offset:256
	;; [unrolled: 1-line block ×15, first 2 shown]
	v_add_co_u32 v78, vcc_lo, 0x1000, v65
	v_add_co_ci_u32_e32 v79, vcc_lo, 0, v66, vcc_lo
	v_add_co_u32 v76, vcc_lo, 0x1000, v76
	s_clause 0x1
	global_load_b128 v[65:68], v[78:79], off
	global_load_b128 v[69:72], v[78:79], off offset:512
	v_add_co_ci_u32_e32 v77, vcc_lo, 0, v77, vcc_lo
	ds_load_b128 v[85:88], v80
	ds_load_b128 v[89:92], v80 offset:1024
	s_clause 0x1
	global_load_b128 v[93:96], v[76:77], off offset:256
	global_load_b128 v[97:100], v[76:77], off offset:768
	ds_load_b128 v[109:112], v80 offset:2048
	ds_load_b128 v[113:116], v80 offset:3072
	s_or_b32 s15, s12, 0xe0
	s_delay_alu instid0(SALU_CYCLE_1) | instskip(SKIP_2) | instid1(SALU_CYCLE_1)
	s_ashr_i32 s19, s15, 5
	s_cmp_lt_i32 s15, s17
	s_cselect_b32 s22, s19, s4
	s_ashr_i32 s23, s22, 31
	s_delay_alu instid0(SALU_CYCLE_1) | instskip(NEXT) | instid1(SALU_CYCLE_1)
	s_lshl_b64 s[22:23], s[22:23], 2
	s_add_u32 s22, s13, s22
	s_addc_u32 s23, s16, s23
	s_add_i32 s15, s12, 0x100
	s_delay_alu instid0(SALU_CYCLE_1)
	s_ashr_i32 s19, s15, 5
	s_cmp_lt_i32 s15, s17
	s_cselect_b32 s34, s19, s4
	s_waitcnt vmcnt(18) lgkmcnt(2)
	v_wmma_f32_16x16x16_bf16 v[117:124], v[1:8], v[85:92], v[101:108]
	s_waitcnt vmcnt(16)
	v_wmma_f32_16x16x16_bf16 v[101:108], v[9:16], v[85:92], v[101:108]
	s_clause 0x3
	global_load_b128 v[1:4], v[78:79], off offset:1024
	global_load_b128 v[5:8], v[78:79], off offset:1536
	;; [unrolled: 1-line block ×4, first 2 shown]
	s_waitcnt vmcnt(18) lgkmcnt(0)
	v_wmma_f32_16x16x16_bf16 v[117:124], v[17:24], v[109:116], v[117:124]
	s_clause 0x1
	global_load_b128 v[17:20], v[78:79], off offset:2048
	global_load_b128 v[21:24], v[78:79], off offset:2560
	s_waitcnt vmcnt(18)
	v_wmma_f32_16x16x16_bf16 v[101:108], v[25:32], v[109:116], v[101:108]
	ds_load_b128 v[25:28], v80 offset:4096
	ds_load_b128 v[29:32], v80 offset:5120
	s_clause 0x5
	global_load_b128 v[109:112], v[76:77], off offset:2304
	global_load_b128 v[113:116], v[76:77], off offset:2816
	;; [unrolled: 1-line block ×6, first 2 shown]
	s_waitcnt vmcnt(22) lgkmcnt(0)
	v_wmma_f32_16x16x16_bf16 v[117:124], v[33:40], v[25:32], v[117:124]
	s_waitcnt vmcnt(20)
	v_wmma_f32_16x16x16_bf16 v[101:108], v[41:48], v[25:32], v[101:108]
	ds_load_b128 v[25:28], v80 offset:6144
	ds_load_b128 v[29:32], v80 offset:7168
	;; [unrolled: 1-line block ×4, first 2 shown]
	s_waitcnt vmcnt(18) lgkmcnt(2)
	v_wmma_f32_16x16x16_bf16 v[117:124], v[49:56], v[25:32], v[117:124]
	s_waitcnt vmcnt(16)
	v_wmma_f32_16x16x16_bf16 v[101:108], v[57:64], v[25:32], v[101:108]
	ds_load_b128 v[25:28], v80 offset:10240
	ds_load_b128 v[29:32], v80 offset:11264
	;; [unrolled: 1-line block ×6, first 2 shown]
	s_waitcnt vmcnt(14) lgkmcnt(6)
	v_wmma_f32_16x16x16_bf16 v[117:124], v[65:72], v[33:40], v[117:124]
	s_load_b32 s15, s[6:7], 0x0
	s_mul_hi_i32 s7, s35, s5
	s_mul_i32 s6, s35, s5
	s_ashr_i32 s35, s34, 31
	s_waitcnt vmcnt(12)
	v_wmma_f32_16x16x16_bf16 v[101:108], v[93:100], v[33:40], v[101:108]
	s_lshl_b64 s[34:35], s[34:35], 2
	s_delay_alu instid0(SALU_CYCLE_1)
	s_add_u32 s34, s13, s34
	s_addc_u32 s35, s16, s35
	s_add_u32 s4, s10, s2
	s_addc_u32 s19, s11, s3
	s_lshl_b64 s[2:3], s[8:9], 1
	s_clause 0x1
	s_load_b32 s13, s[22:23], 0x0
	s_load_b32 s16, s[34:35], 0x0
	s_lshl_b64 s[8:9], s[20:21], 1
	s_lshl_b64 s[10:11], s[24:25], 1
	;; [unrolled: 1-line block ×5, first 2 shown]
	s_waitcnt lgkmcnt(0)
	s_mul_hi_i32 s25, s15, s5
	s_mul_i32 s24, s15, s5
	s_waitcnt vmcnt(10)
	v_wmma_f32_16x16x16_bf16 v[117:124], v[1:8], v[25:32], v[117:124]
	s_waitcnt vmcnt(8)
	v_wmma_f32_16x16x16_bf16 v[101:108], v[9:16], v[25:32], v[101:108]
	s_waitcnt vmcnt(6)
	s_delay_alu instid0(VALU_DEP_2) | instskip(SKIP_1) | instid1(VALU_DEP_2)
	v_wmma_f32_16x16x16_bf16 v[117:124], v[17:24], v[141:148], v[117:124]
	s_waitcnt vmcnt(4)
	v_wmma_f32_16x16x16_bf16 v[101:108], v[109:116], v[141:148], v[101:108]
	s_waitcnt vmcnt(2)
	s_delay_alu instid0(VALU_DEP_2) | instskip(SKIP_3) | instid1(VALU_DEP_3)
	v_wmma_f32_16x16x16_bf16 v[117:124], v[125:132], v[149:156], v[117:124]
	v_lshlrev_b32_e32 v85, 6, v73
	s_waitcnt vmcnt(0)
	v_wmma_f32_16x16x16_bf16 v[101:108], v[133:140], v[149:156], v[101:108]
	v_mul_f32_e32 v100, s18, v124
	s_delay_alu instid0(VALU_DEP_3) | instskip(SKIP_2) | instid1(VALU_DEP_3)
	v_lshl_or_b32 v41, v74, 10, v85
	v_mul_f32_e32 v97, s18, v117
	v_mul_f32_e32 v99, s18, v118
	v_add_co_u32 v76, s4, s4, v41
	s_delay_alu instid0(VALU_DEP_1) | instskip(NEXT) | instid1(VALU_DEP_2)
	v_add_co_ci_u32_e64 v77, null, s19, 0, s4
	v_add_co_u32 v41, vcc_lo, v76, s2
	s_delay_alu instid0(VALU_DEP_2)
	v_add_co_ci_u32_e32 v42, vcc_lo, s3, v77, vcc_lo
	v_add_co_u32 v33, vcc_lo, v76, s8
	v_add_co_ci_u32_e32 v34, vcc_lo, s9, v77, vcc_lo
	v_add_co_u32 v35, vcc_lo, v76, s10
	;; [unrolled: 2-line block ×5, first 2 shown]
	s_lshl_b64 s[2:3], s[24:25], 1
	v_add_co_ci_u32_e32 v6, vcc_lo, s23, v77, vcc_lo
	s_mul_hi_i32 s7, s13, s5
	s_mul_i32 s6, s13, s5
	v_add_co_u32 v17, vcc_lo, v76, s2
	v_add_co_ci_u32_e32 v18, vcc_lo, s3, v77, vcc_lo
	s_lshl_b64 s[2:3], s[6:7], 1
	s_mul_hi_i32 s7, s16, s5
	s_mul_i32 s6, s16, s5
	v_add_co_u32 v19, vcc_lo, v76, s2
	v_add_co_ci_u32_e32 v20, vcc_lo, s3, v77, vcc_lo
	s_lshl_b64 s[2:3], s[6:7], 1
	s_clause 0x1
	global_load_b128 v[65:68], v[41:42], off
	global_load_b128 v[69:72], v[41:42], off offset:16
	v_add_co_u32 v21, vcc_lo, v76, s2
	v_add_co_ci_u32_e32 v22, vcc_lo, s3, v77, vcc_lo
	s_clause 0xf
	global_load_b128 v[57:60], v[33:34], off
	global_load_b128 v[61:64], v[33:34], off offset:16
	global_load_b128 v[49:52], v[35:36], off
	global_load_b128 v[53:56], v[35:36], off offset:16
	;; [unrolled: 2-line block ×8, first 2 shown]
	v_mbcnt_lo_u32_b32 v77, -1, 0
	v_and_b32_e32 v76, 0xe0, v0
	s_waitcnt vmcnt(0)
	s_barrier
	buffer_gl0_inv
	v_xor_b32_e32 v78, 16, v77
	s_delay_alu instid0(VALU_DEP_1) | instskip(SKIP_1) | instid1(VALU_DEP_1)
	v_cmp_gt_i32_e32 vcc_lo, 32, v78
	v_dual_cndmask_b32 v77, v77, v78 :: v_dual_add_nc_u32 v76, s12, v76
	v_or_b32_e32 v76, v76, v83
	s_delay_alu instid0(VALU_DEP_1)
	v_or_b32_e32 v78, 2, v76
	v_or_b32_e32 v79, 4, v76
	;; [unrolled: 1-line block ×3, first 2 shown]
	v_cmp_gt_i32_e32 vcc_lo, s17, v76
	v_or_b32_e32 v86, 8, v76
	v_cmp_gt_i32_e64 s2, s17, v78
	v_or_b32_e32 v87, 10, v76
	v_or_b32_e32 v88, 12, v76
	;; [unrolled: 1-line block ×11, first 2 shown]
	v_cndmask_b32_e64 v78, 0xff7fffff, v99, s2
	v_mul_f32_e32 v99, s18, v120
	v_cmp_gt_i32_e64 s3, s17, v80
	v_mul_f32_e32 v80, s18, v119
	v_cndmask_b32_e32 v76, 0xff7fffff, v97, vcc_lo
	v_cmp_gt_i32_e64 s4, s17, v79
	v_mul_f32_e32 v79, s18, v122
	v_cmp_gt_i32_e64 s5, s17, v86
	v_cmp_gt_i32_e64 s6, s17, v87
	v_max3_f32 v76, v76, 0xff7fffff, v78
	v_mul_f32_e32 v78, s18, v121
	v_cndmask_b32_e64 v80, 0xff7fffff, v80, s4
	v_mul_f32_e32 v86, s18, v107
	v_cndmask_b32_e64 v99, 0xff7fffff, v99, s3
	;; [unrolled: 2-line block ×3, first 2 shown]
	v_cndmask_b32_e64 v79, 0xff7fffff, v79, s6
	v_cmp_gt_i32_e64 s7, s17, v89
	v_max3_f32 v76, v76, v80, v99
	v_mul_f32_e32 v80, s18, v108
	v_cmp_gt_i32_e64 s8, s17, v88
	v_dual_mul_f32 v99, s18, v105 :: v_dual_mul_f32 v88, s18, v102
	s_delay_alu instid0(VALU_DEP_4) | instskip(SKIP_1) | instid1(VALU_DEP_4)
	v_max3_f32 v76, v76, v78, v79
	v_mul_f32_e32 v89, s18, v101
	v_cndmask_b32_e64 v97, 0xff7fffff, v97, s8
	v_cndmask_b32_e64 v100, 0xff7fffff, v100, s7
	v_cmp_gt_i32_e64 s9, s17, v90
	v_cmp_gt_i32_e64 s10, s17, v91
	v_dual_mul_f32 v78, s18, v104 :: v_dual_mul_f32 v79, s18, v103
	s_delay_alu instid0(VALU_DEP_4) | instskip(NEXT) | instid1(VALU_DEP_4)
	v_max3_f32 v76, v76, v97, v100
	v_cndmask_b32_e64 v89, 0xff7fffff, v89, s9
	s_delay_alu instid0(VALU_DEP_4)
	v_cndmask_b32_e64 v88, 0xff7fffff, v88, s10
	v_cmp_gt_i32_e64 s11, s17, v92
	v_cmp_gt_i32_e64 s12, s17, v93
	v_mul_f32_e32 v87, s18, v106
	v_cmp_gt_i32_e64 s13, s17, v94
	v_max3_f32 v76, v76, v89, v88
	v_cndmask_b32_e64 v79, 0xff7fffff, v79, s11
	v_cndmask_b32_e64 v78, 0xff7fffff, v78, s12
	v_cmp_gt_i32_e64 s15, s17, v95
	v_cndmask_b32_e64 v88, 0xff7fffff, v99, s13
	v_cmp_gt_i32_e64 s16, s17, v96
	v_cmp_gt_i32_e64 s17, s17, v98
	v_max3_f32 v76, v76, v79, v78
	v_cndmask_b32_e64 v87, 0xff7fffff, v87, s15
	v_lshlrev_b32_e32 v99, 2, v77
	v_cndmask_b32_e64 v78, 0xff7fffff, v86, s16
	v_cndmask_b32_e64 v79, 0xff7fffff, v80, s17
	s_delay_alu instid0(VALU_DEP_4) | instskip(NEXT) | instid1(VALU_DEP_1)
	v_max3_f32 v76, v76, v88, v87
	v_max3_f32 v76, v76, v78, v79
	ds_bpermute_b32 v77, v99, v76
	s_waitcnt lgkmcnt(0)
	v_max_f32_e32 v77, v77, v77
	s_delay_alu instid0(VALU_DEP_1) | instskip(NEXT) | instid1(VALU_DEP_1)
	v_max_f32_e32 v76, v76, v77
	v_fma_f32 v80, s18, v120, -v76
	v_fma_f32 v77, s18, v117, -v76
	;; [unrolled: 1-line block ×5, first 2 shown]
	v_mul_f32_e32 v80, 0x3fb8aa3b, v80
	v_fma_f32 v87, s18, v123, -v76
	v_mul_f32_e32 v78, 0x3fb8aa3b, v78
	v_fma_f32 v88, s18, v105, -v76
	v_mul_f32_e32 v86, 0x3fb8aa3b, v86
	v_exp_f32_e32 v80, v80
	v_fma_f32 v90, s18, v107, -v76
	v_exp_f32_e32 v78, v78
	v_fma_f32 v100, s18, v108, -v76
	v_exp_f32_e32 v86, v86
	v_mul_f32_e32 v88, 0x3fb8aa3b, v88
	s_delay_alu instid0(VALU_DEP_2) | instskip(NEXT) | instid1(TRANS32_DEP_3)
	v_mul_f32_e32 v100, 0x3fb8aa3b, v100
	v_cndmask_b32_e64 v95, 0, v80, s3
	v_mul_f32_e32 v77, 0x3fb8aa3b, v77
	s_delay_alu instid0(TRANS32_DEP_2) | instskip(SKIP_1) | instid1(TRANS32_DEP_1)
	v_cndmask_b32_e64 v91, 0, v78, s2
	v_fma_f32 v80, s18, v101, -v76
	v_cndmask_b32_e64 v96, 0, v86, s5
	v_fma_f32 v86, s18, v102, -v76
	v_exp_f32_e32 v77, v77
	s_delay_alu instid0(VALU_DEP_3) | instskip(SKIP_1) | instid1(VALU_DEP_2)
	v_dual_mul_f32 v79, 0x3fb8aa3b, v79 :: v_dual_mul_f32 v80, 0x3fb8aa3b, v80
	v_exp_f32_e32 v88, v88
	v_mul_f32_e32 v86, 0x3fb8aa3b, v86
	s_mov_b32 s2, exec_lo
	v_exp_f32_e32 v100, v100
	v_exp_f32_e32 v80, v80
	s_delay_alu instid0(VALU_DEP_1) | instskip(SKIP_3) | instid1(VALU_DEP_1)
	v_exp_f32_e32 v86, v86
	v_cndmask_b32_e32 v92, 0, v77, vcc_lo
	v_exp_f32_e32 v79, v79
	v_fma_f32 v77, s18, v122, -v76
	v_dual_add_f32 v78, 0, v92 :: v_dual_mul_f32 v77, 0x3fb8aa3b, v77
	s_delay_alu instid0(VALU_DEP_1)
	v_add_f32_e32 v78, v78, v91
	s_waitcnt_depctr 0xfff
	v_cndmask_b32_e64 v93, 0, v79, s4
	v_fma_f32 v79, s18, v124, -v76
	v_mul_f32_e32 v87, 0x3fb8aa3b, v87
	v_exp_f32_e32 v77, v77
	s_delay_alu instid0(VALU_DEP_2) | instskip(NEXT) | instid1(VALU_DEP_2)
	v_dual_add_f32 v78, v78, v93 :: v_dual_mul_f32 v79, 0x3fb8aa3b, v79
	v_exp_f32_e32 v87, v87
	s_delay_alu instid0(VALU_DEP_1) | instskip(NEXT) | instid1(VALU_DEP_2)
	v_add_f32_e32 v78, v78, v95
	v_exp_f32_e32 v79, v79
	s_delay_alu instid0(TRANS32_DEP_3) | instskip(NEXT) | instid1(VALU_DEP_2)
	v_cndmask_b32_e64 v97, 0, v77, s6
	v_add_f32_e32 v77, v78, v96
	v_fma_f32 v78, s18, v103, -v76
	s_waitcnt_depctr 0xfff
	v_cndmask_b32_e64 v94, 0, v87, s8
	v_fma_f32 v87, s18, v104, -v76
	v_dual_add_f32 v77, v77, v97 :: v_dual_mul_f32 v78, 0x3fb8aa3b, v78
	v_cndmask_b32_e64 v98, 0, v79, s7
	s_delay_alu instid0(VALU_DEP_2) | instskip(SKIP_4) | instid1(VALU_DEP_2)
	v_add_f32_e32 v79, v77, v94
	v_cndmask_b32_e64 v77, 0, v80, s9
	v_fma_f32 v80, s18, v106, -v76
	v_exp_f32_e32 v89, v78
	v_cndmask_b32_e64 v78, 0, v86, s10
	v_dual_add_f32 v79, v79, v98 :: v_dual_mul_f32 v80, 0x3fb8aa3b, v80
	s_delay_alu instid0(VALU_DEP_1) | instskip(NEXT) | instid1(VALU_DEP_1)
	v_dual_mul_f32 v87, 0x3fb8aa3b, v87 :: v_dual_add_f32 v86, v79, v77
	v_exp_f32_e32 v87, v87
	s_waitcnt_depctr 0xfff
	v_cndmask_b32_e64 v79, 0, v89, s11
	v_add_f32_e32 v86, v86, v78
	v_mul_f32_e32 v89, 0x3fb8aa3b, v90
	v_exp_f32_e32 v90, v80
	v_cndmask_b32_e64 v80, 0, v87, s12
	s_delay_alu instid0(VALU_DEP_3) | instskip(SKIP_1) | instid1(VALU_DEP_2)
	v_add_f32_e32 v87, v86, v79
	v_cndmask_b32_e64 v86, 0, v88, s13
	v_add_f32_e32 v88, v87, v80
	v_exp_f32_e32 v89, v89
	s_waitcnt_depctr 0xfff
	v_cndmask_b32_e64 v87, 0, v90, s15
	v_add_f32_e32 v90, v88, v86
	v_cndmask_b32_e64 v88, 0, v89, s16
	s_delay_alu instid0(VALU_DEP_2) | instskip(NEXT) | instid1(VALU_DEP_1)
	v_add_f32_e32 v89, v90, v87
	v_add_f32_e32 v90, v89, v88
	v_cndmask_b32_e64 v89, 0, v100, s17
	s_delay_alu instid0(VALU_DEP_1)
	v_add_f32_e32 v90, v90, v89
	ds_bpermute_b32 v99, v99, v90
	v_cmpx_gt_u32_e32 16, v75
	s_cbranch_execz .LBB755_14
; %bb.13:
	v_mul_u32_u24_e32 v75, 0x44, v74
	s_waitcnt lgkmcnt(0)
	v_add_f32_e32 v90, v90, v99
	s_delay_alu instid0(VALU_DEP_2) | instskip(NEXT) | instid1(VALU_DEP_1)
	v_lshl_add_u32 v75, v73, 2, v75
	v_add_nc_u32_e32 v75, 0x4000, v75
	ds_store_2addr_b32 v75, v76, v90 offset1:136
.LBB755_14:
	s_or_b32 exec_lo, exec_lo, s2
	v_lshlrev_b32_e32 v75, 2, v73
	s_waitcnt lgkmcnt(0)
	s_barrier
	buffer_gl0_inv
	v_cmp_eq_u32_e64 s2, 1, v74
	v_add_nc_u32_e32 v90, 0x4000, v75
	ds_load_2addr_b32 v[99:100], v90 offset1:17
	ds_load_2addr_b32 v[101:102], v90 offset0:34 offset1:51
	ds_load_2addr_b32 v[103:104], v90 offset0:68 offset1:85
	;; [unrolled: 1-line block ×4, first 2 shown]
	s_waitcnt lgkmcnt(4)
	v_max3_f32 v75, v99, 0xff7fffff, v100
	s_waitcnt lgkmcnt(3)
	s_delay_alu instid0(VALU_DEP_1) | instskip(SKIP_1) | instid1(VALU_DEP_1)
	v_max3_f32 v75, v75, v101, v102
	s_waitcnt lgkmcnt(2)
	v_max3_f32 v75, v75, v103, v104
	s_waitcnt lgkmcnt(1)
	s_delay_alu instid0(VALU_DEP_1) | instskip(NEXT) | instid1(VALU_DEP_1)
	v_max3_f32 v75, v75, v105, v106
	v_sub_f32_e32 v109, v100, v75
	v_sub_f32_e32 v76, v99, v75
	ds_load_2addr_b32 v[99:100], v90 offset0:170 offset1:187
	v_sub_f32_e32 v101, v101, v75
	v_dual_mul_f32 v109, 0x3fb8aa3b, v109 :: v_dual_mul_f32 v76, 0x3fb8aa3b, v76
	s_delay_alu instid0(VALU_DEP_2) | instskip(NEXT) | instid1(VALU_DEP_2)
	v_mul_f32_e32 v111, 0x3fb8aa3b, v101
	v_exp_f32_e32 v109, v109
	s_delay_alu instid0(VALU_DEP_2)
	v_exp_f32_e32 v110, v76
	v_sub_f32_e32 v76, v102, v75
	ds_load_2addr_b32 v[101:102], v90 offset0:204 offset1:221
	v_exp_f32_e32 v111, v111
	v_mul_f32_e32 v112, 0x3fb8aa3b, v76
	s_waitcnt lgkmcnt(2)
	v_fma_f32 v76, v110, v107, 0
	v_sub_f32_e32 v103, v103, v75
	s_delay_alu instid0(VALU_DEP_3) | instskip(NEXT) | instid1(VALU_DEP_2)
	v_exp_f32_e32 v112, v112
	v_dual_sub_f32 v107, v104, v75 :: v_dual_fmac_f32 v76, v109, v108
	s_waitcnt lgkmcnt(1)
	s_waitcnt_depctr 0xfff
	v_fmac_f32_e32 v76, v111, v99
	v_mul_f32_e32 v113, 0x3fb8aa3b, v103
	ds_load_2addr_b32 v[103:104], v90 offset0:238 offset1:255
	v_sub_f32_e32 v90, v105, v75
	v_dual_sub_f32 v99, v106, v75 :: v_dual_fmac_f32 v76, v112, v100
	v_mul_f32_e32 v105, 0x3fb8aa3b, v107
	v_exp_f32_e32 v107, v113
	s_delay_alu instid0(VALU_DEP_2)
	v_dual_mul_f32 v90, 0x3fb8aa3b, v90 :: v_dual_mul_f32 v99, 0x3fb8aa3b, v99
	s_waitcnt lgkmcnt(0)
	s_barrier
	buffer_gl0_inv
	v_exp_f32_e32 v90, v90
	v_exp_f32_e32 v99, v99
	v_fmac_f32_e32 v76, v107, v101
	v_exp_f32_e32 v105, v105
	s_waitcnt_depctr 0xfff
	v_fmac_f32_e32 v76, v105, v102
	s_delay_alu instid0(VALU_DEP_1) | instskip(NEXT) | instid1(VALU_DEP_1)
	v_fmac_f32_e32 v76, v90, v103
	v_fmac_f32_e32 v76, v99, v104
	s_delay_alu instid0(VALU_DEP_1) | instskip(NEXT) | instid1(VALU_DEP_1)
	v_add_f32_e32 v100, 0x358637bd, v76
	v_div_scale_f32 v101, null, v100, v100, 1.0
	v_div_scale_f32 v104, vcc_lo, 1.0, v100, 1.0
	s_delay_alu instid0(VALU_DEP_2) | instskip(SKIP_2) | instid1(VALU_DEP_1)
	v_rcp_f32_e32 v102, v101
	s_waitcnt_depctr 0xfff
	v_fma_f32 v103, -v101, v102, 1.0
	v_fmac_f32_e32 v102, v103, v102
	v_cndmask_b32_e64 v103, v110, v109, s2
	v_cmp_eq_u32_e64 s2, 2, v74
	s_delay_alu instid0(VALU_DEP_3) | instskip(NEXT) | instid1(VALU_DEP_2)
	v_mul_f32_e32 v106, v104, v102
	v_cndmask_b32_e64 v103, v103, v111, s2
	v_cmp_eq_u32_e64 s2, 3, v74
	s_delay_alu instid0(VALU_DEP_3) | instskip(NEXT) | instid1(VALU_DEP_2)
	v_fma_f32 v108, -v101, v106, v104
	v_cndmask_b32_e64 v103, v103, v112, s2
	v_cmp_eq_u32_e64 s2, 4, v74
	s_delay_alu instid0(VALU_DEP_3) | instskip(NEXT) | instid1(VALU_DEP_2)
	v_fmac_f32_e32 v106, v108, v102
	v_cndmask_b32_e64 v103, v103, v107, s2
	s_delay_alu instid0(VALU_DEP_2) | instskip(SKIP_1) | instid1(VALU_DEP_2)
	v_fma_f32 v101, -v101, v106, v104
	v_cmp_eq_u32_e64 s2, 5, v74
	v_div_fmas_f32 v101, v101, v102, v106
	s_delay_alu instid0(VALU_DEP_2) | instskip(SKIP_2) | instid1(VALU_DEP_3)
	v_cndmask_b32_e64 v103, v103, v105, s2
	v_cmp_eq_u32_e32 vcc_lo, 6, v74
	s_mov_b32 s2, exec_lo
	v_div_fixup_f32 v100, v101, v100, 1.0
	s_delay_alu instid0(VALU_DEP_3) | instskip(SKIP_1) | instid1(VALU_DEP_2)
	v_cndmask_b32_e32 v90, v103, v90, vcc_lo
	v_cmp_eq_u32_e32 vcc_lo, 7, v74
	v_cndmask_b32_e32 v90, v90, v99, vcc_lo
	s_delay_alu instid0(VALU_DEP_1) | instskip(NEXT) | instid1(VALU_DEP_1)
	v_mul_f32_e32 v90, v90, v100
	v_mul_f32_e32 v100, v90, v92
	;; [unrolled: 1-line block ×6, first 2 shown]
	v_and_b32_e32 v101, 0x7f800000, v100
	v_mul_f32_e32 v99, v90, v95
	v_mul_f32_e32 v95, v90, v91
	;; [unrolled: 1-line block ×3, first 2 shown]
                                        ; implicit-def: $vgpr91
	s_delay_alu instid0(VALU_DEP_4)
	v_cmpx_ne_u32_e32 0x7f800000, v101
	s_xor_b32 s2, exec_lo, s2
; %bb.15:
	v_bfe_u32 v91, v100, 16, 1
	s_delay_alu instid0(VALU_DEP_1)
	v_add3_u32 v91, v100, v91, 0x7fff
                                        ; implicit-def: $vgpr100
; %bb.16:
	s_and_not1_saveexec_b32 s2, s2
; %bb.17:
	v_and_b32_e32 v91, 0xffff, v100
	v_or_b32_e32 v93, 0x10000, v100
	s_delay_alu instid0(VALU_DEP_2) | instskip(NEXT) | instid1(VALU_DEP_2)
	v_cmp_eq_u32_e32 vcc_lo, 0, v91
	v_cndmask_b32_e32 v91, v93, v100, vcc_lo
; %bb.18:
	s_or_b32 exec_lo, exec_lo, s2
	v_and_b32_e32 v93, 0x7f800000, v95
	s_delay_alu instid0(VALU_DEP_1) | instskip(SKIP_1) | instid1(SALU_CYCLE_1)
	v_cmp_ne_u32_e32 vcc_lo, 0x7f800000, v93
                                        ; implicit-def: $vgpr93
	s_and_saveexec_b32 s2, vcc_lo
	s_xor_b32 s2, exec_lo, s2
; %bb.19:
	v_bfe_u32 v93, v95, 16, 1
	s_delay_alu instid0(VALU_DEP_1)
	v_add3_u32 v93, v95, v93, 0x7fff
                                        ; implicit-def: $vgpr95
; %bb.20:
	s_and_not1_saveexec_b32 s2, s2
; %bb.21:
	v_and_b32_e32 v93, 0xffff, v95
	v_or_b32_e32 v100, 0x10000, v95
	s_delay_alu instid0(VALU_DEP_2) | instskip(NEXT) | instid1(VALU_DEP_2)
	v_cmp_eq_u32_e32 vcc_lo, 0, v93
	v_cndmask_b32_e32 v93, v100, v95, vcc_lo
; %bb.22:
	s_or_b32 exec_lo, exec_lo, s2
	v_and_b32_e32 v95, 0x7f800000, v96
	s_delay_alu instid0(VALU_DEP_1) | instskip(SKIP_1) | instid1(SALU_CYCLE_1)
	v_cmp_ne_u32_e32 vcc_lo, 0x7f800000, v95
                                        ; implicit-def: $vgpr95
	s_and_saveexec_b32 s2, vcc_lo
	s_xor_b32 s2, exec_lo, s2
; %bb.23:
	v_bfe_u32 v95, v96, 16, 1
	s_delay_alu instid0(VALU_DEP_1)
	v_add3_u32 v95, v96, v95, 0x7fff
                                        ; implicit-def: $vgpr96
; %bb.24:
	s_and_not1_saveexec_b32 s2, s2
; %bb.25:
	v_and_b32_e32 v95, 0xffff, v96
	v_or_b32_e32 v100, 0x10000, v96
	s_delay_alu instid0(VALU_DEP_2) | instskip(NEXT) | instid1(VALU_DEP_2)
	v_cmp_eq_u32_e32 vcc_lo, 0, v95
	v_cndmask_b32_e32 v95, v100, v96, vcc_lo
; %bb.26:
	s_or_b32 exec_lo, exec_lo, s2
	v_and_b32_e32 v96, 0x7f800000, v99
	s_delay_alu instid0(VALU_DEP_1) | instskip(SKIP_1) | instid1(SALU_CYCLE_1)
	v_cmp_ne_u32_e32 vcc_lo, 0x7f800000, v96
                                        ; implicit-def: $vgpr96
	s_and_saveexec_b32 s2, vcc_lo
	s_xor_b32 s2, exec_lo, s2
; %bb.27:
	v_bfe_u32 v96, v99, 16, 1
	s_delay_alu instid0(VALU_DEP_1)
	v_add3_u32 v96, v99, v96, 0x7fff
                                        ; implicit-def: $vgpr99
; %bb.28:
	s_and_not1_saveexec_b32 s2, s2
; %bb.29:
	v_and_b32_e32 v96, 0xffff, v99
	v_or_b32_e32 v100, 0x10000, v99
	s_delay_alu instid0(VALU_DEP_2) | instskip(NEXT) | instid1(VALU_DEP_2)
	v_cmp_eq_u32_e32 vcc_lo, 0, v96
	v_cndmask_b32_e32 v96, v100, v99, vcc_lo
; %bb.30:
	s_or_b32 exec_lo, exec_lo, s2
	v_and_b32_e32 v99, 0x7f800000, v98
	s_delay_alu instid0(VALU_DEP_1) | instskip(SKIP_1) | instid1(SALU_CYCLE_1)
	v_cmp_ne_u32_e32 vcc_lo, 0x7f800000, v99
                                        ; implicit-def: $vgpr99
	s_and_saveexec_b32 s2, vcc_lo
	s_xor_b32 s2, exec_lo, s2
; %bb.31:
	v_bfe_u32 v99, v98, 16, 1
	s_delay_alu instid0(VALU_DEP_1)
	v_add3_u32 v99, v98, v99, 0x7fff
                                        ; implicit-def: $vgpr98
; %bb.32:
	s_and_not1_saveexec_b32 s2, s2
; %bb.33:
	v_and_b32_e32 v99, 0xffff, v98
	v_or_b32_e32 v100, 0x10000, v98
	s_delay_alu instid0(VALU_DEP_2) | instskip(NEXT) | instid1(VALU_DEP_2)
	v_cmp_eq_u32_e32 vcc_lo, 0, v99
	v_cndmask_b32_e32 v99, v100, v98, vcc_lo
; %bb.34:
	s_or_b32 exec_lo, exec_lo, s2
	v_and_b32_e32 v98, 0x7f800000, v97
	s_delay_alu instid0(VALU_DEP_1) | instskip(SKIP_1) | instid1(SALU_CYCLE_1)
	v_cmp_ne_u32_e32 vcc_lo, 0x7f800000, v98
                                        ; implicit-def: $vgpr98
	s_and_saveexec_b32 s2, vcc_lo
	s_xor_b32 s2, exec_lo, s2
; %bb.35:
	v_bfe_u32 v98, v97, 16, 1
	s_delay_alu instid0(VALU_DEP_1)
	v_add3_u32 v98, v97, v98, 0x7fff
                                        ; implicit-def: $vgpr97
; %bb.36:
	s_and_not1_saveexec_b32 s2, s2
; %bb.37:
	v_and_b32_e32 v98, 0xffff, v97
	v_or_b32_e32 v100, 0x10000, v97
	s_delay_alu instid0(VALU_DEP_2) | instskip(NEXT) | instid1(VALU_DEP_2)
	v_cmp_eq_u32_e32 vcc_lo, 0, v98
	v_cndmask_b32_e32 v98, v100, v97, vcc_lo
; %bb.38:
	s_or_b32 exec_lo, exec_lo, s2
	v_and_b32_e32 v97, 0x7f800000, v94
	s_delay_alu instid0(VALU_DEP_1) | instskip(SKIP_1) | instid1(SALU_CYCLE_1)
	v_cmp_ne_u32_e32 vcc_lo, 0x7f800000, v97
                                        ; implicit-def: $vgpr97
	s_and_saveexec_b32 s2, vcc_lo
	s_xor_b32 s2, exec_lo, s2
; %bb.39:
	v_bfe_u32 v97, v94, 16, 1
	s_delay_alu instid0(VALU_DEP_1)
	v_add3_u32 v97, v94, v97, 0x7fff
                                        ; implicit-def: $vgpr94
; %bb.40:
	s_and_not1_saveexec_b32 s2, s2
; %bb.41:
	v_and_b32_e32 v97, 0xffff, v94
	v_or_b32_e32 v100, 0x10000, v94
	s_delay_alu instid0(VALU_DEP_2) | instskip(NEXT) | instid1(VALU_DEP_2)
	v_cmp_eq_u32_e32 vcc_lo, 0, v97
	v_cndmask_b32_e32 v97, v100, v94, vcc_lo
; %bb.42:
	s_or_b32 exec_lo, exec_lo, s2
	v_and_b32_e32 v94, 0x7f800000, v92
	s_delay_alu instid0(VALU_DEP_1) | instskip(SKIP_1) | instid1(SALU_CYCLE_1)
	v_cmp_ne_u32_e32 vcc_lo, 0x7f800000, v94
                                        ; implicit-def: $vgpr94
	s_and_saveexec_b32 s2, vcc_lo
	s_xor_b32 s2, exec_lo, s2
; %bb.43:
	v_bfe_u32 v94, v92, 16, 1
	s_delay_alu instid0(VALU_DEP_1)
	v_add3_u32 v94, v92, v94, 0x7fff
                                        ; implicit-def: $vgpr92
; %bb.44:
	s_and_not1_saveexec_b32 s2, s2
; %bb.45:
	v_and_b32_e32 v94, 0xffff, v92
	v_or_b32_e32 v100, 0x10000, v92
	s_delay_alu instid0(VALU_DEP_2) | instskip(NEXT) | instid1(VALU_DEP_2)
	v_cmp_eq_u32_e32 vcc_lo, 0, v94
	v_cndmask_b32_e32 v94, v100, v92, vcc_lo
; %bb.46:
	s_or_b32 exec_lo, exec_lo, s2
	s_load_b64 s[34:35], s[0:1], 0x94
	v_lshlrev_b32_e32 v92, 4, v83
	s_delay_alu instid0(VALU_DEP_2)
	v_perm_b32 v100, v94, v97, 0x7060302
	v_dual_mul_f32 v89, v90, v89 :: v_dual_lshlrev_b32 v94, 11, v74
	v_perm_b32 v97, v93, v91, 0x7060302
	v_mul_f32_e32 v93, v90, v77
	v_perm_b32 v99, v98, v99, 0x7060302
	v_perm_b32 v98, v96, v95, 0x7060302
	v_or3_b32 v77, v92, v94, v85
	v_mul_f32_e32 v88, v90, v88
	v_dual_mul_f32 v87, v90, v87 :: v_dual_and_b32 v94, 0x7f800000, v93
	v_mul_f32_e32 v86, v90, v86
	v_mul_f32_e32 v91, v90, v80
	v_mul_f32_e32 v92, v90, v79
	v_mul_f32_e32 v80, v90, v78
	s_mov_b32 s2, exec_lo
	ds_store_b128 v77, v[97:100]
                                        ; implicit-def: $vgpr78
	v_cmpx_ne_u32_e32 0x7f800000, v94
	s_xor_b32 s2, exec_lo, s2
; %bb.47:
	v_bfe_u32 v78, v93, 16, 1
	s_delay_alu instid0(VALU_DEP_1)
	v_add3_u32 v78, v93, v78, 0x7fff
                                        ; implicit-def: $vgpr93
; %bb.48:
	s_and_not1_saveexec_b32 s2, s2
; %bb.49:
	v_and_b32_e32 v78, 0xffff, v93
	v_or_b32_e32 v79, 0x10000, v93
	s_delay_alu instid0(VALU_DEP_2) | instskip(NEXT) | instid1(VALU_DEP_2)
	v_cmp_eq_u32_e32 vcc_lo, 0, v78
	v_cndmask_b32_e32 v78, v79, v93, vcc_lo
; %bb.50:
	s_or_b32 exec_lo, exec_lo, s2
	v_and_b32_e32 v79, 0x7f800000, v80
	s_delay_alu instid0(VALU_DEP_1) | instskip(SKIP_1) | instid1(SALU_CYCLE_1)
	v_cmp_ne_u32_e32 vcc_lo, 0x7f800000, v79
                                        ; implicit-def: $vgpr79
	s_and_saveexec_b32 s2, vcc_lo
	s_xor_b32 s2, exec_lo, s2
; %bb.51:
	v_bfe_u32 v79, v80, 16, 1
	s_delay_alu instid0(VALU_DEP_1)
	v_add3_u32 v79, v80, v79, 0x7fff
                                        ; implicit-def: $vgpr80
; %bb.52:
	s_and_not1_saveexec_b32 s2, s2
; %bb.53:
	v_and_b32_e32 v79, 0xffff, v80
	v_or_b32_e32 v90, 0x10000, v80
	s_delay_alu instid0(VALU_DEP_2) | instskip(NEXT) | instid1(VALU_DEP_2)
	v_cmp_eq_u32_e32 vcc_lo, 0, v79
	v_cndmask_b32_e32 v79, v90, v80, vcc_lo
; %bb.54:
	s_or_b32 exec_lo, exec_lo, s2
	v_and_b32_e32 v80, 0x7f800000, v92
	s_delay_alu instid0(VALU_DEP_1) | instskip(SKIP_1) | instid1(SALU_CYCLE_1)
	v_cmp_ne_u32_e32 vcc_lo, 0x7f800000, v80
                                        ; implicit-def: $vgpr80
	s_and_saveexec_b32 s2, vcc_lo
	s_xor_b32 s2, exec_lo, s2
; %bb.55:
	v_bfe_u32 v80, v92, 16, 1
	s_delay_alu instid0(VALU_DEP_1)
	v_add3_u32 v80, v92, v80, 0x7fff
                                        ; implicit-def: $vgpr92
; %bb.56:
	s_and_not1_saveexec_b32 s2, s2
; %bb.57:
	v_and_b32_e32 v80, 0xffff, v92
	v_or_b32_e32 v90, 0x10000, v92
	s_delay_alu instid0(VALU_DEP_2) | instskip(NEXT) | instid1(VALU_DEP_2)
	v_cmp_eq_u32_e32 vcc_lo, 0, v80
	v_cndmask_b32_e32 v80, v90, v92, vcc_lo
; %bb.58:
	s_or_b32 exec_lo, exec_lo, s2
	v_and_b32_e32 v90, 0x7f800000, v91
	s_delay_alu instid0(VALU_DEP_1) | instskip(SKIP_1) | instid1(SALU_CYCLE_1)
	v_cmp_ne_u32_e32 vcc_lo, 0x7f800000, v90
                                        ; implicit-def: $vgpr90
	s_and_saveexec_b32 s2, vcc_lo
	s_xor_b32 s2, exec_lo, s2
; %bb.59:
	v_bfe_u32 v90, v91, 16, 1
	s_delay_alu instid0(VALU_DEP_1)
	v_add3_u32 v90, v91, v90, 0x7fff
                                        ; implicit-def: $vgpr91
; %bb.60:
	s_and_not1_saveexec_b32 s2, s2
; %bb.61:
	v_and_b32_e32 v90, 0xffff, v91
	v_or_b32_e32 v92, 0x10000, v91
	s_delay_alu instid0(VALU_DEP_2) | instskip(NEXT) | instid1(VALU_DEP_2)
	v_cmp_eq_u32_e32 vcc_lo, 0, v90
	v_cndmask_b32_e32 v90, v92, v91, vcc_lo
; %bb.62:
	s_or_b32 exec_lo, exec_lo, s2
	v_and_b32_e32 v91, 0x7f800000, v86
	s_delay_alu instid0(VALU_DEP_1) | instskip(SKIP_1) | instid1(SALU_CYCLE_1)
	v_cmp_ne_u32_e32 vcc_lo, 0x7f800000, v91
                                        ; implicit-def: $vgpr91
	s_and_saveexec_b32 s2, vcc_lo
	s_xor_b32 s2, exec_lo, s2
; %bb.63:
	v_bfe_u32 v91, v86, 16, 1
	s_delay_alu instid0(VALU_DEP_1)
	v_add3_u32 v91, v86, v91, 0x7fff
                                        ; implicit-def: $vgpr86
; %bb.64:
	s_and_not1_saveexec_b32 s2, s2
; %bb.65:
	v_and_b32_e32 v91, 0xffff, v86
	v_or_b32_e32 v92, 0x10000, v86
	s_delay_alu instid0(VALU_DEP_2) | instskip(NEXT) | instid1(VALU_DEP_2)
	v_cmp_eq_u32_e32 vcc_lo, 0, v91
	v_cndmask_b32_e32 v91, v92, v86, vcc_lo
; %bb.66:
	s_or_b32 exec_lo, exec_lo, s2
	v_and_b32_e32 v86, 0x7f800000, v87
	s_delay_alu instid0(VALU_DEP_1) | instskip(SKIP_1) | instid1(SALU_CYCLE_1)
	v_cmp_ne_u32_e32 vcc_lo, 0x7f800000, v86
                                        ; implicit-def: $vgpr86
	s_and_saveexec_b32 s2, vcc_lo
	s_xor_b32 s2, exec_lo, s2
; %bb.67:
	v_bfe_u32 v86, v87, 16, 1
	s_delay_alu instid0(VALU_DEP_1)
	v_add3_u32 v86, v87, v86, 0x7fff
                                        ; implicit-def: $vgpr87
; %bb.68:
	s_and_not1_saveexec_b32 s2, s2
; %bb.69:
	v_and_b32_e32 v86, 0xffff, v87
	v_or_b32_e32 v92, 0x10000, v87
	s_delay_alu instid0(VALU_DEP_2) | instskip(NEXT) | instid1(VALU_DEP_2)
	v_cmp_eq_u32_e32 vcc_lo, 0, v86
	v_cndmask_b32_e32 v86, v92, v87, vcc_lo
; %bb.70:
	s_or_b32 exec_lo, exec_lo, s2
	v_and_b32_e32 v87, 0x7f800000, v88
	s_delay_alu instid0(VALU_DEP_1) | instskip(SKIP_1) | instid1(SALU_CYCLE_1)
	v_cmp_ne_u32_e32 vcc_lo, 0x7f800000, v87
                                        ; implicit-def: $vgpr87
	s_and_saveexec_b32 s2, vcc_lo
	s_xor_b32 s2, exec_lo, s2
; %bb.71:
	v_bfe_u32 v87, v88, 16, 1
	s_delay_alu instid0(VALU_DEP_1)
	v_add3_u32 v87, v88, v87, 0x7fff
                                        ; implicit-def: $vgpr88
; %bb.72:
	s_and_not1_saveexec_b32 s2, s2
; %bb.73:
	v_and_b32_e32 v87, 0xffff, v88
	v_or_b32_e32 v92, 0x10000, v88
	s_delay_alu instid0(VALU_DEP_2) | instskip(NEXT) | instid1(VALU_DEP_2)
	v_cmp_eq_u32_e32 vcc_lo, 0, v87
	v_cndmask_b32_e32 v87, v92, v88, vcc_lo
; %bb.74:
	s_or_b32 exec_lo, exec_lo, s2
	v_and_b32_e32 v88, 0x7f800000, v89
	s_delay_alu instid0(VALU_DEP_1) | instskip(SKIP_1) | instid1(SALU_CYCLE_1)
	v_cmp_ne_u32_e32 vcc_lo, 0x7f800000, v88
                                        ; implicit-def: $vgpr88
	s_and_saveexec_b32 s2, vcc_lo
	s_xor_b32 s2, exec_lo, s2
; %bb.75:
	v_bfe_u32 v88, v89, 16, 1
	s_delay_alu instid0(VALU_DEP_1)
	v_add3_u32 v88, v89, v88, 0x7fff
                                        ; implicit-def: $vgpr89
; %bb.76:
	s_and_not1_saveexec_b32 s2, s2
; %bb.77:
	v_and_b32_e32 v88, 0xffff, v89
	v_or_b32_e32 v92, 0x10000, v89
	s_delay_alu instid0(VALU_DEP_2) | instskip(NEXT) | instid1(VALU_DEP_2)
	v_cmp_eq_u32_e32 vcc_lo, 0, v88
	v_cndmask_b32_e32 v88, v92, v89, vcc_lo
; %bb.78:
	s_or_b32 exec_lo, exec_lo, s2
	s_delay_alu instid0(VALU_DEP_1)
	v_perm_b32 v89, v88, v87, 0x7060302
	v_perm_b32 v88, v86, v91, 0x7060302
	;; [unrolled: 1-line block ×4, first 2 shown]
	v_lshl_or_b32 v90, v74, 11, v85
	ds_store_b128 v77, v[86:89] offset:1024
	s_waitcnt lgkmcnt(0)
	s_barrier
	buffer_gl0_inv
	ds_load_b128 v[91:94], v90
	ds_load_b128 v[95:98], v90 offset:16
	v_lshlrev_b32_e32 v87, 2, v83
	s_delay_alu instid0(VALU_DEP_1)
	v_or_b32_e32 v88, 1, v87
	v_cmp_eq_u32_e32 vcc_lo, 1, v87
	v_cmp_eq_u32_e64 s3, 2, v87
	v_cmp_eq_u32_e64 s6, 3, v87
	;; [unrolled: 1-line block ×6, first 2 shown]
	v_or_b32_e32 v86, 2, v87
	v_cmp_eq_u32_e64 s9, 5, v87
	v_cmp_eq_u32_e64 s10, 4, v88
	;; [unrolled: 1-line block ×4, first 2 shown]
	s_waitcnt lgkmcnt(1)
	v_lshrrev_b32_e32 v74, 16, v91
	s_waitcnt lgkmcnt(0)
	v_lshrrev_b32_e32 v103, 16, v95
	v_lshrrev_b32_e32 v80, 16, v94
	;; [unrolled: 1-line block ×4, first 2 shown]
	v_cndmask_b32_e32 v89, v91, v74, vcc_lo
	v_cndmask_b32_e32 v99, v95, v103, vcc_lo
	v_cndmask_b32_e64 v100, v91, v74, s2
	v_lshrrev_b32_e32 v79, 16, v93
	v_lshrrev_b32_e32 v108, 16, v97
	v_cndmask_b32_e64 v89, v89, v92, s3
	v_cndmask_b32_e64 v99, v99, v96, s3
	;; [unrolled: 1-line block ×4, first 2 shown]
	v_cmp_eq_u32_e64 s4, 1, v86
	v_cndmask_b32_e64 v89, v89, v78, s6
	v_cndmask_b32_e64 v99, v99, v107, s6
	;; [unrolled: 1-line block ×4, first 2 shown]
	v_lshrrev_b32_e32 v109, 16, v98
	v_cndmask_b32_e64 v89, v89, v93, s8
	v_cndmask_b32_e64 v99, v99, v97, s8
	;; [unrolled: 1-line block ×8, first 2 shown]
	v_cmp_eq_u32_e64 s13, 7, v87
	v_cmp_eq_u32_e64 s15, 6, v88
	v_cndmask_b32_e64 v89, v89, v94, s11
	v_cndmask_b32_e64 v99, v99, v98, s11
	v_cmp_eq_u32_e64 s16, 2, v86
	v_cndmask_b32_e64 v101, v101, v97, s10
	v_cndmask_b32_e64 v100, v100, v94, s15
	;; [unrolled: 1-line block ×6, first 2 shown]
	v_cmp_eq_u32_e64 s17, 7, v88
	v_cmp_eq_u32_e64 s18, 3, v86
	;; [unrolled: 1-line block ×4, first 2 shown]
	v_cndmask_b32_e64 v99, v99, v96, s16
	v_cndmask_b32_e64 v112, v100, v80, s17
	;; [unrolled: 1-line block ×4, first 2 shown]
	v_or_b32_e32 v89, 3, v87
	v_cndmask_b32_e64 v105, v99, v107, s18
	v_cmp_eq_u32_e64 s23, 6, v86
	v_cndmask_b32_e64 v113, v100, v98, s15
	v_cndmask_b32_e64 v104, v101, v93, s19
	ds_load_b128 v[99:102], v90 offset:1024
	v_cmp_eq_u32_e64 s20, 1, v89
	v_cmp_eq_u32_e64 s22, 2, v89
	;; [unrolled: 1-line block ×3, first 2 shown]
	v_cndmask_b32_e64 v114, v104, v79, s21
	v_cmp_eq_u32_e64 s25, 4, v89
	v_cndmask_b32_e64 v74, v91, v74, s20
	v_cndmask_b32_e64 v91, v105, v97, s19
	;; [unrolled: 1-line block ×3, first 2 shown]
	ds_load_b128 v[103:106], v90 offset:1040
	v_cmp_eq_u32_e64 s27, 5, v89
	v_cndmask_b32_e64 v74, v74, v92, s22
	v_cndmask_b32_e64 v91, v91, v108, s21
	;; [unrolled: 1-line block ×3, first 2 shown]
	v_cmp_eq_u32_e64 s28, 6, v89
	v_cndmask_b32_e64 v95, v113, v109, s17
	v_cndmask_b32_e64 v74, v74, v78, s24
	;; [unrolled: 1-line block ×5, first 2 shown]
	s_waitcnt lgkmcnt(1)
	v_lshrrev_b32_e32 v96, 16, v99
	v_cndmask_b32_e64 v74, v74, v93, s25
	v_lshrrev_b32_e32 v107, 16, v100
	v_cndmask_b32_e64 v92, v92, v97, s25
	v_cmp_eq_u32_e64 s26, 7, v86
	v_cndmask_b32_e32 v93, v99, v96, vcc_lo
	v_cndmask_b32_e64 v74, v74, v79, s27
	s_delay_alu instid0(VALU_DEP_4)
	v_cndmask_b32_e64 v79, v92, v108, s27
	s_waitcnt lgkmcnt(0)
	v_lshrrev_b32_e32 v97, 16, v103
	v_cndmask_b32_e64 v92, v93, v100, s3
	v_cndmask_b32_e64 v93, v99, v96, s2
	;; [unrolled: 1-line block ×4, first 2 shown]
	v_cndmask_b32_e32 v108, v103, v97, vcc_lo
	v_cndmask_b32_e64 v92, v92, v107, s6
	v_cndmask_b32_e64 v93, v93, v100, s5
	v_lshrrev_b32_e32 v98, 16, v104
	v_cmp_eq_u32_e32 vcc_lo, 7, v89
	v_cndmask_b32_e64 v94, v108, v104, s3
	v_cndmask_b32_e64 v92, v92, v101, s8
	v_lshrrev_b32_e32 v108, 16, v101
	v_cndmask_b32_e64 v93, v93, v107, s7
	v_cndmask_b32_e32 v74, v74, v80, vcc_lo
	v_cndmask_b32_e64 v94, v94, v98, s6
	v_cndmask_b32_e32 v79, v79, v109, vcc_lo
	v_cndmask_b32_e64 v92, v92, v108, s9
	v_cndmask_b32_e64 v78, v78, v80, s26
	;; [unrolled: 1-line block ×4, first 2 shown]
	v_perm_b32 v94, v79, v74, 0x5040100
	v_cndmask_b32_e64 v79, v92, v102, s11
	v_perm_b32 v92, v95, v112, 0x5040100
	v_cndmask_b32_e64 v95, v99, v96, s4
	v_cndmask_b32_e64 v96, v99, v96, s20
	;; [unrolled: 1-line block ×16, first 2 shown]
	v_lshrrev_b32_e32 v109, 16, v105
	v_cndmask_b32_e64 v95, v95, v101, s19
	v_cndmask_b32_e64 v96, v96, v101, s25
	;; [unrolled: 1-line block ×6, first 2 shown]
	v_lshrrev_b32_e32 v80, 16, v102
	v_cndmask_b32_e64 v113, v93, v109, s9
	v_cndmask_b32_e64 v95, v95, v108, s21
	;; [unrolled: 1-line block ×6, first 2 shown]
	v_perm_b32 v93, v91, v78, 0x5040100
	v_cndmask_b32_e64 v74, v74, v102, s15
	v_cndmask_b32_e64 v78, v79, v80, s13
	;; [unrolled: 1-line block ×3, first 2 shown]
	v_lshrrev_b32_e32 v91, 16, v106
	v_cndmask_b32_e64 v95, v95, v102, s23
	v_cndmask_b32_e64 v96, v96, v102, s28
	;; [unrolled: 1-line block ×7, first 2 shown]
	v_cndmask_b32_e32 v80, v96, v80, vcc_lo
	v_cndmask_b32_e32 v96, v98, v91, vcc_lo
	v_cndmask_b32_e64 v99, v99, v91, s26
	v_cndmask_b32_e64 v100, v97, v91, s17
	;; [unrolled: 1-line block ×3, first 2 shown]
	v_perm_b32 v91, v111, v110, 0x5040100
	v_perm_b32 v98, v96, v80, 0x5040100
	;; [unrolled: 1-line block ×5, first 2 shown]
	s_mul_i32 s7, s35, 6
	s_mov_b32 s2, exec_lo
	ds_store_b128 v77, v[91:94]
	ds_store_b128 v77, v[95:98] offset:1024
	v_cmpx_gt_u32_e32 6, v0
	s_cbranch_execz .LBB755_80
; %bb.79:
	s_mul_i32 s3, s7, s30
	s_load_b128 s[8:11], s[0:1], 0x58
	v_add3_u32 v77, s3, s29, v73
	s_delay_alu instid0(VALU_DEP_1) | instskip(NEXT) | instid1(VALU_DEP_1)
	v_mad_u64_u32 v[73:74], null, v77, s34, s[14:15]
	v_ashrrev_i32_e32 v74, 31, v73
	s_delay_alu instid0(VALU_DEP_1) | instskip(SKIP_1) | instid1(VALU_DEP_1)
	v_lshlrev_b64 v[73:74], 2, v[73:74]
	s_waitcnt lgkmcnt(0)
	v_add_co_u32 v77, vcc_lo, s10, v73
	s_delay_alu instid0(VALU_DEP_2)
	v_add_co_ci_u32_e32 v78, vcc_lo, s11, v74, vcc_lo
	v_add_co_u32 v73, vcc_lo, s8, v73
	v_add_co_ci_u32_e32 v74, vcc_lo, s9, v74, vcc_lo
	global_store_b32 v[77:78], v75, off
	global_store_b32 v[73:74], v76, off
.LBB755_80:
	s_or_b32 exec_lo, exec_lo, s2
	s_waitcnt lgkmcnt(0)
	s_waitcnt_vscnt null, 0x0
	s_barrier
	buffer_gl0_inv
	ds_load_b128 v[91:94], v85
	ds_load_b128 v[95:98], v85 offset:16
	ds_load_b128 v[103:106], v85 offset:1040
	;; [unrolled: 1-line block ×3, first 2 shown]
	v_mov_b32_e32 v73, 0
	ds_load_b128 v[111:114], v85 offset:2064
	ds_load_b128 v[107:110], v85 offset:2048
	ds_load_b128 v[119:122], v85 offset:3088
	ds_load_b128 v[115:118], v85 offset:3072
	ds_load_b128 v[127:130], v85 offset:4112
	ds_load_b128 v[123:126], v85 offset:4096
	v_mov_b32_e32 v74, v73
	v_mov_b32_e32 v75, v73
	;; [unrolled: 1-line block ×7, first 2 shown]
	s_waitcnt lgkmcnt(8)
	s_delay_alu instid0(VALU_DEP_1)
	v_wmma_f32_16x16x16_bf16 v[73:80], v[65:72], v[91:98], v[73:80]
	ds_load_b128 v[69:72], v85 offset:5136
	ds_load_b128 v[65:68], v85 offset:5120
	;; [unrolled: 1-line block ×4, first 2 shown]
	s_waitcnt lgkmcnt(10)
	v_wmma_f32_16x16x16_bf16 v[73:80], v[57:64], v[99:106], v[73:80]
	s_waitcnt lgkmcnt(8)
	s_delay_alu instid0(VALU_DEP_1)
	v_wmma_f32_16x16x16_bf16 v[73:80], v[57:64], v[107:114], v[73:80]
	ds_load_b128 v[61:64], v85 offset:7184
	ds_load_b128 v[57:60], v85 offset:7168
	;; [unrolled: 1-line block ×4, first 2 shown]
	s_waitcnt lgkmcnt(10)
	v_wmma_f32_16x16x16_bf16 v[73:80], v[49:56], v[115:122], v[73:80]
	s_waitcnt lgkmcnt(8)
	s_delay_alu instid0(VALU_DEP_1)
	v_wmma_f32_16x16x16_bf16 v[73:80], v[49:56], v[123:130], v[73:80]
	ds_load_b128 v[53:56], v85 offset:9232
	ds_load_b128 v[49:52], v85 offset:9216
	s_waitcnt lgkmcnt(8)
	v_wmma_f32_16x16x16_bf16 v[73:80], v[41:48], v[65:72], v[73:80]
	ds_load_b128 v[69:72], v85 offset:10256
	ds_load_b128 v[65:68], v85 offset:10240
	s_waitcnt lgkmcnt(8)
	;; [unrolled: 4-line block ×3, first 2 shown]
	v_wmma_f32_16x16x16_bf16 v[73:80], v[9:16], v[57:64], v[73:80]
	s_waitcnt lgkmcnt(6)
	s_delay_alu instid0(VALU_DEP_1)
	v_wmma_f32_16x16x16_bf16 v[73:80], v[9:16], v[99:106], v[73:80]
	ds_load_b128 v[13:16], v85 offset:12304
	ds_load_b128 v[9:12], v85 offset:12288
	s_waitcnt lgkmcnt(6)
	v_wmma_f32_16x16x16_bf16 v[73:80], v[1:8], v[49:56], v[73:80]
	ds_load_b128 v[53:56], v85 offset:13328
	ds_load_b128 v[49:52], v85 offset:13312
	s_waitcnt lgkmcnt(6)
	;; [unrolled: 4-line block ×4, first 2 shown]
	v_wmma_f32_16x16x16_bf16 v[73:80], v[33:40], v[9:16], v[73:80]
	s_waitcnt lgkmcnt(4)
	s_delay_alu instid0(VALU_DEP_1) | instskip(SKIP_1) | instid1(VALU_DEP_1)
	v_wmma_f32_16x16x16_bf16 v[73:80], v[25:32], v[49:56], v[73:80]
	s_waitcnt lgkmcnt(2)
	v_wmma_f32_16x16x16_bf16 v[73:80], v[25:32], v[1:8], v[73:80]
	s_waitcnt lgkmcnt(0)
	s_delay_alu instid0(VALU_DEP_1) | instskip(NEXT) | instid1(VALU_DEP_1)
	v_wmma_f32_16x16x16_bf16 v[73:80], v[17:24], v[41:48], v[73:80]
	v_and_b32_e32 v1, 0x7f800000, v73
	s_delay_alu instid0(VALU_DEP_1) | instskip(SKIP_1) | instid1(SALU_CYCLE_1)
	v_cmp_ne_u32_e32 vcc_lo, 0x7f800000, v1
                                        ; implicit-def: $vgpr1
	s_and_saveexec_b32 s2, vcc_lo
	s_xor_b32 s2, exec_lo, s2
; %bb.81:
	v_bfe_u32 v1, v73, 16, 1
	s_delay_alu instid0(VALU_DEP_1)
	v_add3_u32 v1, v73, v1, 0x7fff
; %bb.82:
	s_and_not1_saveexec_b32 s2, s2
; %bb.83:
	v_and_b32_e32 v1, 0xffff, v73
	v_or_b32_e32 v2, 0x10000, v73
	s_delay_alu instid0(VALU_DEP_2) | instskip(NEXT) | instid1(VALU_DEP_2)
	v_cmp_eq_u32_e32 vcc_lo, 0, v1
	v_cndmask_b32_e32 v1, v2, v73, vcc_lo
; %bb.84:
	s_or_b32 exec_lo, exec_lo, s2
	v_and_b32_e32 v2, 0x7f800000, v74
	s_delay_alu instid0(VALU_DEP_1) | instskip(SKIP_1) | instid1(SALU_CYCLE_1)
	v_cmp_ne_u32_e32 vcc_lo, 0x7f800000, v2
                                        ; implicit-def: $vgpr2
	s_and_saveexec_b32 s2, vcc_lo
	s_xor_b32 s2, exec_lo, s2
; %bb.85:
	v_bfe_u32 v2, v74, 16, 1
	s_delay_alu instid0(VALU_DEP_1)
	v_add3_u32 v2, v74, v2, 0x7fff
; %bb.86:
	s_and_not1_saveexec_b32 s2, s2
; %bb.87:
	v_and_b32_e32 v2, 0xffff, v74
	v_or_b32_e32 v3, 0x10000, v74
	s_delay_alu instid0(VALU_DEP_2) | instskip(NEXT) | instid1(VALU_DEP_2)
	v_cmp_eq_u32_e32 vcc_lo, 0, v2
	v_cndmask_b32_e32 v2, v3, v74, vcc_lo
; %bb.88:
	s_or_b32 exec_lo, exec_lo, s2
	v_and_b32_e32 v3, 0x7f800000, v75
	s_delay_alu instid0(VALU_DEP_1) | instskip(SKIP_1) | instid1(SALU_CYCLE_1)
	v_cmp_ne_u32_e32 vcc_lo, 0x7f800000, v3
                                        ; implicit-def: $vgpr3
	s_and_saveexec_b32 s2, vcc_lo
	s_xor_b32 s2, exec_lo, s2
; %bb.89:
	v_bfe_u32 v3, v75, 16, 1
	s_delay_alu instid0(VALU_DEP_1)
	v_add3_u32 v3, v75, v3, 0x7fff
; %bb.90:
	s_and_not1_saveexec_b32 s2, s2
; %bb.91:
	v_and_b32_e32 v3, 0xffff, v75
	v_or_b32_e32 v4, 0x10000, v75
	s_delay_alu instid0(VALU_DEP_2) | instskip(NEXT) | instid1(VALU_DEP_2)
	v_cmp_eq_u32_e32 vcc_lo, 0, v3
	v_cndmask_b32_e32 v3, v4, v75, vcc_lo
; %bb.92:
	s_or_b32 exec_lo, exec_lo, s2
	v_and_b32_e32 v4, 0x7f800000, v76
	s_delay_alu instid0(VALU_DEP_1) | instskip(SKIP_1) | instid1(SALU_CYCLE_1)
	v_cmp_ne_u32_e32 vcc_lo, 0x7f800000, v4
                                        ; implicit-def: $vgpr4
	s_and_saveexec_b32 s2, vcc_lo
	s_xor_b32 s2, exec_lo, s2
; %bb.93:
	v_bfe_u32 v4, v76, 16, 1
	s_delay_alu instid0(VALU_DEP_1)
	v_add3_u32 v4, v76, v4, 0x7fff
; %bb.94:
	s_and_not1_saveexec_b32 s2, s2
; %bb.95:
	v_and_b32_e32 v4, 0xffff, v76
	v_or_b32_e32 v5, 0x10000, v76
	s_delay_alu instid0(VALU_DEP_2) | instskip(NEXT) | instid1(VALU_DEP_2)
	v_cmp_eq_u32_e32 vcc_lo, 0, v4
	v_cndmask_b32_e32 v4, v5, v76, vcc_lo
; %bb.96:
	s_or_b32 exec_lo, exec_lo, s2
	v_and_b32_e32 v5, 0x7f800000, v77
	s_delay_alu instid0(VALU_DEP_1) | instskip(SKIP_1) | instid1(SALU_CYCLE_1)
	v_cmp_ne_u32_e32 vcc_lo, 0x7f800000, v5
                                        ; implicit-def: $vgpr5
	s_and_saveexec_b32 s2, vcc_lo
	s_xor_b32 s2, exec_lo, s2
; %bb.97:
	v_bfe_u32 v5, v77, 16, 1
	s_delay_alu instid0(VALU_DEP_1)
	v_add3_u32 v5, v77, v5, 0x7fff
; %bb.98:
	s_and_not1_saveexec_b32 s2, s2
; %bb.99:
	v_and_b32_e32 v5, 0xffff, v77
	v_or_b32_e32 v6, 0x10000, v77
	s_delay_alu instid0(VALU_DEP_2) | instskip(NEXT) | instid1(VALU_DEP_2)
	v_cmp_eq_u32_e32 vcc_lo, 0, v5
	v_cndmask_b32_e32 v5, v6, v77, vcc_lo
; %bb.100:
	s_or_b32 exec_lo, exec_lo, s2
	v_and_b32_e32 v6, 0x7f800000, v78
	s_delay_alu instid0(VALU_DEP_1) | instskip(SKIP_1) | instid1(SALU_CYCLE_1)
	v_cmp_ne_u32_e32 vcc_lo, 0x7f800000, v6
                                        ; implicit-def: $vgpr6
	s_and_saveexec_b32 s2, vcc_lo
	s_xor_b32 s2, exec_lo, s2
; %bb.101:
	v_bfe_u32 v6, v78, 16, 1
	s_delay_alu instid0(VALU_DEP_1)
	v_add3_u32 v6, v78, v6, 0x7fff
; %bb.102:
	s_and_not1_saveexec_b32 s2, s2
; %bb.103:
	v_and_b32_e32 v6, 0xffff, v78
	v_or_b32_e32 v7, 0x10000, v78
	s_delay_alu instid0(VALU_DEP_2) | instskip(NEXT) | instid1(VALU_DEP_2)
	v_cmp_eq_u32_e32 vcc_lo, 0, v6
	v_cndmask_b32_e32 v6, v7, v78, vcc_lo
; %bb.104:
	s_or_b32 exec_lo, exec_lo, s2
	v_and_b32_e32 v7, 0x7f800000, v79
	s_delay_alu instid0(VALU_DEP_1) | instskip(SKIP_1) | instid1(SALU_CYCLE_1)
	v_cmp_ne_u32_e32 vcc_lo, 0x7f800000, v7
                                        ; implicit-def: $vgpr7
	s_and_saveexec_b32 s2, vcc_lo
	s_xor_b32 s2, exec_lo, s2
; %bb.105:
	v_bfe_u32 v7, v79, 16, 1
	s_delay_alu instid0(VALU_DEP_1)
	v_add3_u32 v7, v79, v7, 0x7fff
; %bb.106:
	s_and_not1_saveexec_b32 s2, s2
; %bb.107:
	v_and_b32_e32 v7, 0xffff, v79
	v_or_b32_e32 v8, 0x10000, v79
	s_delay_alu instid0(VALU_DEP_2) | instskip(NEXT) | instid1(VALU_DEP_2)
	v_cmp_eq_u32_e32 vcc_lo, 0, v7
	v_cndmask_b32_e32 v7, v8, v79, vcc_lo
; %bb.108:
	s_or_b32 exec_lo, exec_lo, s2
	v_and_b32_e32 v8, 0x7f800000, v80
	s_delay_alu instid0(VALU_DEP_1) | instskip(SKIP_1) | instid1(SALU_CYCLE_1)
	v_cmp_ne_u32_e32 vcc_lo, 0x7f800000, v8
                                        ; implicit-def: $vgpr8
	s_and_saveexec_b32 s2, vcc_lo
	s_xor_b32 s2, exec_lo, s2
; %bb.109:
	v_bfe_u32 v8, v80, 16, 1
	s_delay_alu instid0(VALU_DEP_1)
	v_add3_u32 v8, v80, v8, 0x7fff
                                        ; implicit-def: $vgpr73_vgpr74_vgpr75_vgpr76_vgpr77_vgpr78_vgpr79_vgpr80
; %bb.110:
	s_and_not1_saveexec_b32 s2, s2
; %bb.111:
	v_and_b32_e32 v8, 0xffff, v80
	v_or_b32_e32 v9, 0x10000, v80
	s_delay_alu instid0(VALU_DEP_2) | instskip(NEXT) | instid1(VALU_DEP_2)
	v_cmp_eq_u32_e32 vcc_lo, 0, v8
	v_cndmask_b32_e32 v8, v9, v80, vcc_lo
; %bb.112:
	s_or_b32 exec_lo, exec_lo, s2
	s_delay_alu instid0(VALU_DEP_1)
	v_perm_b32 v7, v8, v7, 0x7060302
	v_perm_b32 v6, v6, v5, 0x7060302
	;; [unrolled: 1-line block ×4, first 2 shown]
	v_lshl_or_b32 v9, v83, 4, v90
	s_barrier
	buffer_gl0_inv
	v_cmp_eq_u32_e32 vcc_lo, 1, v87
	ds_store_b128 v9, v[4:7]
	s_waitcnt lgkmcnt(0)
	s_barrier
	buffer_gl0_inv
	ds_load_b128 v[1:4], v90
	ds_load_b128 v[5:8], v90 offset:16
	v_cmp_eq_u32_e64 s3, 2, v87
	v_cmp_eq_u32_e64 s2, 1, v88
	;; [unrolled: 1-line block ×5, first 2 shown]
	s_waitcnt lgkmcnt(1)
	v_lshrrev_b32_e32 v10, 16, v1
	s_waitcnt lgkmcnt(0)
	v_lshrrev_b32_e32 v14, 16, v5
	v_lshrrev_b32_e32 v15, 16, v6
	v_lshrrev_b32_e32 v11, 16, v2
	v_lshrrev_b32_e32 v12, 16, v3
	v_cndmask_b32_e64 v20, v1, v10, s2
	v_cndmask_b32_e32 v19, v5, v14, vcc_lo
	v_cndmask_b32_e64 v21, v5, v14, s2
	v_lshrrev_b32_e32 v16, 16, v7
	v_cmp_eq_u32_e64 s2, 1, v86
	v_lshrrev_b32_e32 v13, 16, v4
	v_cndmask_b32_e64 v19, v19, v6, s3
	v_lshrrev_b32_e32 v17, 16, v8
	s_delay_alu instid0(VALU_DEP_4) | instskip(SKIP_1) | instid1(VALU_DEP_4)
	v_cndmask_b32_e64 v22, v1, v10, s2
	v_cndmask_b32_e64 v23, v5, v14, s2
	;; [unrolled: 1-line block ×3, first 2 shown]
	v_cndmask_b32_e32 v18, v1, v10, vcc_lo
	v_cmp_eq_u32_e32 vcc_lo, 2, v88
	v_cmp_eq_u32_e64 s2, 2, v89
	v_cndmask_b32_e64 v22, v22, v2, s6
	v_cndmask_b32_e32 v20, v20, v2, vcc_lo
	v_cndmask_b32_e32 v21, v21, v6, vcc_lo
	v_cmp_eq_u32_e32 vcc_lo, 4, v87
	v_cndmask_b32_e32 v19, v19, v7, vcc_lo
	v_cndmask_b32_e64 v18, v18, v2, s3
	v_cmp_eq_u32_e64 s3, 3, v88
	s_delay_alu instid0(VALU_DEP_2) | instskip(NEXT) | instid1(VALU_DEP_2)
	v_cndmask_b32_e64 v18, v18, v11, s4
	v_cndmask_b32_e64 v21, v21, v15, s3
	v_cmp_eq_u32_e64 s4, 5, v87
	s_delay_alu instid0(VALU_DEP_3) | instskip(SKIP_1) | instid1(VALU_DEP_3)
	v_cndmask_b32_e32 v18, v18, v3, vcc_lo
	v_cmp_eq_u32_e32 vcc_lo, 4, v88
	v_cndmask_b32_e64 v19, v19, v16, s4
	s_delay_alu instid0(VALU_DEP_3) | instskip(SKIP_4) | instid1(VALU_DEP_3)
	v_cndmask_b32_e64 v18, v18, v12, s4
	v_cndmask_b32_e32 v21, v21, v7, vcc_lo
	v_cndmask_b32_e64 v20, v20, v11, s3
	v_cmp_eq_u32_e64 s3, 5, v88
	v_cmp_eq_u32_e64 s4, 6, v87
	v_cndmask_b32_e32 v20, v20, v3, vcc_lo
	s_delay_alu instid0(VALU_DEP_3) | instskip(SKIP_1) | instid1(VALU_DEP_4)
	v_cndmask_b32_e64 v21, v21, v16, s3
	v_cmp_eq_u32_e32 vcc_lo, 6, v88
	v_cndmask_b32_e64 v18, v18, v4, s4
	v_cndmask_b32_e64 v19, v19, v8, s4
	;; [unrolled: 1-line block ×3, first 2 shown]
	v_cmp_eq_u32_e64 s3, 1, v89
	v_cmp_eq_u32_e64 s4, 7, v87
	s_delay_alu instid0(VALU_DEP_3) | instskip(NEXT) | instid1(VALU_DEP_3)
	v_cndmask_b32_e32 v20, v20, v4, vcc_lo
	v_cndmask_b32_e64 v1, v1, v10, s3
	v_cndmask_b32_e64 v5, v5, v14, s3
	v_cmp_eq_u32_e64 s3, 3, v86
	v_cndmask_b32_e64 v14, v23, v6, s6
	v_cmp_eq_u32_e64 s6, 3, v89
	v_cndmask_b32_e64 v1, v1, v2, s2
	v_cndmask_b32_e64 v2, v5, v6, s2
	;; [unrolled: 1-line block ×3, first 2 shown]
	v_cmp_eq_u32_e64 s2, 4, v86
	v_cndmask_b32_e64 v6, v14, v15, s3
	v_cndmask_b32_e64 v1, v1, v11, s6
	v_cmp_eq_u32_e64 s3, 4, v89
	v_cndmask_b32_e64 v2, v2, v15, s6
	v_cndmask_b32_e64 v5, v10, v3, s2
	;; [unrolled: 3-line block ×3, first 2 shown]
	v_cndmask_b32_e64 v2, v2, v7, s3
	v_cmp_eq_u32_e64 s2, 5, v89
	v_cndmask_b32_e64 v5, v5, v12, s6
	v_cmp_eq_u32_e64 s3, 6, v86
	;; [unrolled: 2-line block ×3, first 2 shown]
	v_cndmask_b32_e64 v1, v1, v12, s2
	v_cndmask_b32_e64 v2, v2, v16, s2
	;; [unrolled: 1-line block ×4, first 2 shown]
	v_cmp_eq_u32_e64 s2, 7, v89
	v_cndmask_b32_e64 v1, v1, v4, s6
	v_cndmask_b32_e64 v2, v2, v8, s6
	v_cmp_eq_u32_e64 s3, 7, v86
	v_cndmask_b32_e32 v4, v21, v8, vcc_lo
	v_cndmask_b32_e64 v18, v18, v13, s4
	v_cndmask_b32_e64 v20, v20, v13, s5
	;; [unrolled: 1-line block ×8, first 2 shown]
	s_mov_b32 s2, exec_lo
	v_perm_b32 v4, v2, v1, 0x5040100
	v_perm_b32 v3, v3, v5, 0x5040100
	;; [unrolled: 1-line block ×4, first 2 shown]
	ds_store_b128 v9, v[1:4]
	s_waitcnt lgkmcnt(0)
	s_barrier
	buffer_gl0_inv
	v_cmpx_gt_u32_e32 32, v0
	s_cbranch_execz .LBB755_2
; %bb.113:
	s_load_b64 s[0:1], s[0:1], 0x68
	s_lshl_b32 s4, s34, 7
	v_or_b32_e32 v3, s29, v83
	s_mul_i32 s2, s4, s30
	v_lshlrev_b32_e32 v0, 10, v0
	s_mul_i32 s2, s2, s7
	v_lshlrev_b32_e32 v1, 4, v84
	s_ashr_i32 s3, s2, 31
	v_mul_lo_u32 v12, v3, s4
	s_lshl_b64 s[2:3], s[2:3], 1
	v_lshlrev_b32_e32 v2, 6, v83
	v_and_b32_e32 v0, 0x3800, v0
	s_delay_alu instid0(VALU_DEP_1) | instskip(NEXT) | instid1(VALU_DEP_4)
	v_or3_b32 v8, v0, v1, v2
	v_ashrrev_i32_e32 v13, 31, v12
	ds_load_b128 v[0:3], v8
	ds_load_b128 v[4:7], v8 offset:128
	ds_load_b128 v[8:11], v8 offset:256
	s_waitcnt lgkmcnt(0)
	s_add_u32 s2, s0, s2
	s_addc_u32 s3, s1, s3
	s_lshl_b32 s0, s14, 7
	s_delay_alu instid0(SALU_CYCLE_1) | instskip(NEXT) | instid1(SALU_CYCLE_1)
	s_ashr_i32 s1, s0, 31
	s_lshl_b64 s[0:1], s[0:1], 1
	s_delay_alu instid0(SALU_CYCLE_1)
	s_add_u32 s0, s2, s0
	s_addc_u32 s1, s3, s1
	s_lshl_b32 s2, s34, 8
	v_add_co_u32 v18, vcc_lo, s0, v81
	v_add_nc_u32_e32 v14, s2, v12
	v_lshlrev_b64 v[12:13], 1, v[12:13]
	v_add_co_ci_u32_e32 v19, vcc_lo, s1, v82, vcc_lo
	s_delay_alu instid0(VALU_DEP_3) | instskip(SKIP_1) | instid1(VALU_DEP_4)
	v_add_nc_u32_e32 v16, s2, v14
	v_ashrrev_i32_e32 v15, 31, v14
	v_add_co_u32 v12, vcc_lo, v18, v12
	s_delay_alu instid0(VALU_DEP_4) | instskip(NEXT) | instid1(VALU_DEP_4)
	v_add_co_ci_u32_e32 v13, vcc_lo, v19, v13, vcc_lo
	v_ashrrev_i32_e32 v17, 31, v16
	s_delay_alu instid0(VALU_DEP_4) | instskip(NEXT) | instid1(VALU_DEP_2)
	v_lshlrev_b64 v[14:15], 1, v[14:15]
	v_lshlrev_b64 v[16:17], 1, v[16:17]
	s_delay_alu instid0(VALU_DEP_2) | instskip(NEXT) | instid1(VALU_DEP_3)
	v_add_co_u32 v14, vcc_lo, v18, v14
	v_add_co_ci_u32_e32 v15, vcc_lo, v19, v15, vcc_lo
	s_delay_alu instid0(VALU_DEP_3) | instskip(NEXT) | instid1(VALU_DEP_4)
	v_add_co_u32 v16, vcc_lo, v18, v16
	v_add_co_ci_u32_e32 v17, vcc_lo, v19, v17, vcc_lo
	s_clause 0x2
	global_store_b128 v[12:13], v[0:3], off
	global_store_b128 v[14:15], v[4:7], off
	;; [unrolled: 1-line block ×3, first 2 shown]
	s_nop 0
	s_sendmsg sendmsg(MSG_DEALLOC_VGPRS)
	s_endpgm
	.section	.rodata,"a",@progbits
	.p2align	6, 0x0
	.amdhsa_kernel _Z39paged_attention_ll4mi_QKV_mfma16_kernelI14__hip_bfloat16S0_LN4vllm18Fp8KVCacheDataTypeE0ES0_Li32ELi128ELi256ELb0ELi6EL8MFMAType0EEvPKT_PKT0_S9_ifPKiSB_SB_iPKfiiiPfSE_PS4_PT2_iSD_SD_
		.amdhsa_group_segment_fixed_size 17472
		.amdhsa_private_segment_fixed_size 0
		.amdhsa_kernarg_size 400
		.amdhsa_user_sgpr_count 13
		.amdhsa_user_sgpr_dispatch_ptr 0
		.amdhsa_user_sgpr_queue_ptr 0
		.amdhsa_user_sgpr_kernarg_segment_ptr 1
		.amdhsa_user_sgpr_dispatch_id 0
		.amdhsa_user_sgpr_private_segment_size 0
		.amdhsa_wavefront_size32 1
		.amdhsa_uses_dynamic_stack 0
		.amdhsa_enable_private_segment 0
		.amdhsa_system_sgpr_workgroup_id_x 1
		.amdhsa_system_sgpr_workgroup_id_y 1
		.amdhsa_system_sgpr_workgroup_id_z 1
		.amdhsa_system_sgpr_workgroup_info 0
		.amdhsa_system_vgpr_workitem_id 0
		.amdhsa_next_free_vgpr 157
		.amdhsa_next_free_sgpr 38
		.amdhsa_reserve_vcc 1
		.amdhsa_float_round_mode_32 0
		.amdhsa_float_round_mode_16_64 0
		.amdhsa_float_denorm_mode_32 3
		.amdhsa_float_denorm_mode_16_64 3
		.amdhsa_dx10_clamp 1
		.amdhsa_ieee_mode 1
		.amdhsa_fp16_overflow 0
		.amdhsa_workgroup_processor_mode 1
		.amdhsa_memory_ordered 1
		.amdhsa_forward_progress 0
		.amdhsa_shared_vgpr_count 0
		.amdhsa_exception_fp_ieee_invalid_op 0
		.amdhsa_exception_fp_denorm_src 0
		.amdhsa_exception_fp_ieee_div_zero 0
		.amdhsa_exception_fp_ieee_overflow 0
		.amdhsa_exception_fp_ieee_underflow 0
		.amdhsa_exception_fp_ieee_inexact 0
		.amdhsa_exception_int_div_zero 0
	.end_amdhsa_kernel
	.section	.text._Z39paged_attention_ll4mi_QKV_mfma16_kernelI14__hip_bfloat16S0_LN4vllm18Fp8KVCacheDataTypeE0ES0_Li32ELi128ELi256ELb0ELi6EL8MFMAType0EEvPKT_PKT0_S9_ifPKiSB_SB_iPKfiiiPfSE_PS4_PT2_iSD_SD_,"axG",@progbits,_Z39paged_attention_ll4mi_QKV_mfma16_kernelI14__hip_bfloat16S0_LN4vllm18Fp8KVCacheDataTypeE0ES0_Li32ELi128ELi256ELb0ELi6EL8MFMAType0EEvPKT_PKT0_S9_ifPKiSB_SB_iPKfiiiPfSE_PS4_PT2_iSD_SD_,comdat
.Lfunc_end755:
	.size	_Z39paged_attention_ll4mi_QKV_mfma16_kernelI14__hip_bfloat16S0_LN4vllm18Fp8KVCacheDataTypeE0ES0_Li32ELi128ELi256ELb0ELi6EL8MFMAType0EEvPKT_PKT0_S9_ifPKiSB_SB_iPKfiiiPfSE_PS4_PT2_iSD_SD_, .Lfunc_end755-_Z39paged_attention_ll4mi_QKV_mfma16_kernelI14__hip_bfloat16S0_LN4vllm18Fp8KVCacheDataTypeE0ES0_Li32ELi128ELi256ELb0ELi6EL8MFMAType0EEvPKT_PKT0_S9_ifPKiSB_SB_iPKfiiiPfSE_PS4_PT2_iSD_SD_
                                        ; -- End function
	.section	.AMDGPU.csdata,"",@progbits
; Kernel info:
; codeLenInByte = 9700
; NumSgprs: 40
; NumVgprs: 157
; ScratchSize: 0
; MemoryBound: 0
; FloatMode: 240
; IeeeMode: 1
; LDSByteSize: 17472 bytes/workgroup (compile time only)
; SGPRBlocks: 4
; VGPRBlocks: 19
; NumSGPRsForWavesPerEU: 40
; NumVGPRsForWavesPerEU: 157
; Occupancy: 9
; WaveLimiterHint : 1
; COMPUTE_PGM_RSRC2:SCRATCH_EN: 0
; COMPUTE_PGM_RSRC2:USER_SGPR: 13
; COMPUTE_PGM_RSRC2:TRAP_HANDLER: 0
; COMPUTE_PGM_RSRC2:TGID_X_EN: 1
; COMPUTE_PGM_RSRC2:TGID_Y_EN: 1
; COMPUTE_PGM_RSRC2:TGID_Z_EN: 1
; COMPUTE_PGM_RSRC2:TIDIG_COMP_CNT: 0
	.section	.text._Z39paged_attention_ll4mi_QKV_mfma16_kernelI14__hip_bfloat16S0_LN4vllm18Fp8KVCacheDataTypeE0ES0_Li32ELi128ELi256ELb0ELi7EL8MFMAType0EEvPKT_PKT0_S9_ifPKiSB_SB_iPKfiiiPfSE_PS4_PT2_iSD_SD_,"axG",@progbits,_Z39paged_attention_ll4mi_QKV_mfma16_kernelI14__hip_bfloat16S0_LN4vllm18Fp8KVCacheDataTypeE0ES0_Li32ELi128ELi256ELb0ELi7EL8MFMAType0EEvPKT_PKT0_S9_ifPKiSB_SB_iPKfiiiPfSE_PS4_PT2_iSD_SD_,comdat
	.protected	_Z39paged_attention_ll4mi_QKV_mfma16_kernelI14__hip_bfloat16S0_LN4vllm18Fp8KVCacheDataTypeE0ES0_Li32ELi128ELi256ELb0ELi7EL8MFMAType0EEvPKT_PKT0_S9_ifPKiSB_SB_iPKfiiiPfSE_PS4_PT2_iSD_SD_ ; -- Begin function _Z39paged_attention_ll4mi_QKV_mfma16_kernelI14__hip_bfloat16S0_LN4vllm18Fp8KVCacheDataTypeE0ES0_Li32ELi128ELi256ELb0ELi7EL8MFMAType0EEvPKT_PKT0_S9_ifPKiSB_SB_iPKfiiiPfSE_PS4_PT2_iSD_SD_
	.globl	_Z39paged_attention_ll4mi_QKV_mfma16_kernelI14__hip_bfloat16S0_LN4vllm18Fp8KVCacheDataTypeE0ES0_Li32ELi128ELi256ELb0ELi7EL8MFMAType0EEvPKT_PKT0_S9_ifPKiSB_SB_iPKfiiiPfSE_PS4_PT2_iSD_SD_
	.p2align	8
	.type	_Z39paged_attention_ll4mi_QKV_mfma16_kernelI14__hip_bfloat16S0_LN4vllm18Fp8KVCacheDataTypeE0ES0_Li32ELi128ELi256ELb0ELi7EL8MFMAType0EEvPKT_PKT0_S9_ifPKiSB_SB_iPKfiiiPfSE_PS4_PT2_iSD_SD_,@function
_Z39paged_attention_ll4mi_QKV_mfma16_kernelI14__hip_bfloat16S0_LN4vllm18Fp8KVCacheDataTypeE0ES0_Li32ELi128ELi256ELb0ELi7EL8MFMAType0EEvPKT_PKT0_S9_ifPKiSB_SB_iPKfiiiPfSE_PS4_PT2_iSD_SD_: ; @_Z39paged_attention_ll4mi_QKV_mfma16_kernelI14__hip_bfloat16S0_LN4vllm18Fp8KVCacheDataTypeE0ES0_Li32ELi128ELi256ELb0ELi7EL8MFMAType0EEvPKT_PKT0_S9_ifPKiSB_SB_iPKfiiiPfSE_PS4_PT2_iSD_SD_
; %bb.0:
	s_load_b64 s[2:3], s[0:1], 0x30
	s_mov_b32 s30, s13
	s_waitcnt lgkmcnt(0)
	s_cmp_lg_u64 s[2:3], 0
	s_cselect_b32 s6, -1, 0
	s_ashr_i32 s31, s13, 31
	s_cmp_eq_u64 s[2:3], 0
	s_cbranch_scc1 .LBB756_3
; %bb.1:
	s_lshl_b64 s[4:5], s[30:31], 2
	s_delay_alu instid0(SALU_CYCLE_1) | instskip(SKIP_4) | instid1(SALU_CYCLE_1)
	s_add_u32 s4, s2, s4
	s_addc_u32 s5, s3, s5
	s_load_b64 s[4:5], s[4:5], 0x0
	s_waitcnt lgkmcnt(0)
	s_sub_i32 s4, s5, s4
	s_cmp_eq_u32 s4, 1
	s_cselect_b32 s4, -1, 0
	s_delay_alu instid0(SALU_CYCLE_1)
	s_and_not1_b32 vcc_lo, exec_lo, s4
	s_cbranch_vccz .LBB756_4
.LBB756_2:
	s_nop 0
	s_sendmsg sendmsg(MSG_DEALLOC_VGPRS)
	s_endpgm
.LBB756_3:
.LBB756_4:
	s_load_b64 s[8:9], s[0:1], 0x28
	s_lshl_b64 s[4:5], s[30:31], 2
	s_waitcnt lgkmcnt(0)
	s_add_u32 s8, s8, s4
	s_addc_u32 s9, s9, s5
	s_lshl_b32 s12, s14, 8
	s_load_b32 s17, s[8:9], 0x0
	s_waitcnt lgkmcnt(0)
	s_cmp_ge_i32 s12, s17
	s_cbranch_scc1 .LBB756_2
; %bb.5:
	s_and_not1_b32 vcc_lo, exec_lo, s6
	s_cbranch_vccnz .LBB756_7
; %bb.6:
	s_add_u32 s2, s2, s4
	s_addc_u32 s3, s3, s5
	s_load_b32 s13, s[2:3], 0x0
	s_branch .LBB756_8
.LBB756_7:
	s_mov_b32 s13, s30
.LBB756_8:
	s_clause 0x2
	s_load_b128 s[8:11], s[0:1], 0x8
	s_load_b64 s[2:3], s[0:1], 0x20
	s_load_b128 s[4:7], s[0:1], 0x48
	v_lshrrev_b32_e32 v74, 5, v0
	v_bfe_u32 v83, v0, 4, 1
	v_and_b32_e32 v73, 15, v0
	s_waitcnt lgkmcnt(0)
	s_mov_b32 s7, exec_lo
	s_delay_alu instid0(VALU_DEP_2) | instskip(NEXT) | instid1(VALU_DEP_2)
	v_lshl_or_b32 v3, v74, 1, v83
	v_lshlrev_b32_e32 v1, 3, v73
	s_delay_alu instid0(VALU_DEP_2)
	v_cmpx_lt_u32_e32 6, v3
	s_xor_b32 s7, exec_lo, s7
; %bb.9:
	v_mov_b32_e32 v2, 0
                                        ; implicit-def: $vgpr3
; %bb.10:
	s_or_saveexec_b32 s7, s7
	v_and_b32_e32 v75, 31, v0
	v_and_b32_e32 v84, 1, v0
	s_mul_i32 s31, s15, 7
	s_xor_b32 exec_lo, exec_lo, s7
	s_cbranch_execz .LBB756_12
; %bb.11:
	s_load_b64 s[18:19], s[0:1], 0x0
	v_add_lshl_u32 v4, v3, s31, 7
	s_mul_hi_i32 s21, s13, s4
	s_mul_i32 s20, s13, s4
	v_lshlrev_b32_e32 v2, 1, v1
	s_lshl_b64 s[20:21], s[20:21], 1
	v_ashrrev_i32_e32 v5, 31, v4
	v_lshlrev_b32_e32 v3, 6, v3
	v_lshlrev_b32_e32 v8, 10, v84
	s_delay_alu instid0(VALU_DEP_3) | instskip(SKIP_3) | instid1(VALU_DEP_1)
	v_lshlrev_b64 v[4:5], 1, v[4:5]
	s_waitcnt lgkmcnt(0)
	s_add_u32 s4, s18, s20
	s_addc_u32 s13, s19, s21
	v_add_co_u32 v4, vcc_lo, s4, v4
	s_delay_alu instid0(VALU_DEP_2) | instskip(NEXT) | instid1(VALU_DEP_2)
	v_add_co_ci_u32_e32 v5, vcc_lo, s13, v5, vcc_lo
	v_add_co_u32 v4, vcc_lo, v4, v2
	s_delay_alu instid0(VALU_DEP_2) | instskip(SKIP_3) | instid1(VALU_DEP_1)
	v_add_co_ci_u32_e32 v5, vcc_lo, 0, v5, vcc_lo
	v_lshlrev_b32_e32 v2, 10, v73
	global_load_b128 v[4:7], v[4:5], off
	v_and_b32_e32 v2, 0x3800, v2
	v_or3_b32 v3, v2, v8, v3
	v_mov_b32_e32 v2, 0
	s_waitcnt vmcnt(0)
	ds_store_b128 v3, v[4:7]
.LBB756_12:
	s_or_b32 exec_lo, exec_lo, s7
	v_and_b32_e32 v3, 0xef, v0
	v_mul_lo_u16 v80, v73, 37
	s_add_i32 s4, s17, 31
	s_clause 0x1
	s_load_b32 s7, s[0:1], 0x38
	s_load_b32 s18, s[0:1], 0x1c
	v_add_nc_u32_e32 v3, s12, v3
	v_lshrrev_b16 v80, 8, v80
	s_ashr_i32 s13, s4, 31
	s_waitcnt lgkmcnt(0)
	s_lshr_b32 s13, s13, 27
	v_ashrrev_i32_e32 v4, 31, v3
	v_mul_lo_u16 v80, v80, 7
	s_add_i32 s4, s4, s13
	v_cmp_gt_i32_e32 vcc_lo, s17, v3
	s_ashr_i32 s4, s4, 5
	v_lshrrev_b32_e32 v5, 27, v4
	v_or_b32_e32 v4, 16, v3
	v_sub_nc_u16 v80, v73, v80
	s_add_i32 s4, s4, -1
	s_barrier
	v_add_nc_u32_e32 v6, v3, v5
	v_add_nc_u32_e32 v5, v4, v5
	v_and_b32_e32 v80, 0xff, v80
	s_mul_i32 s20, s30, s7
	buffer_gl0_inv
	v_ashrrev_i32_e32 v6, 5, v6
	v_ashrrev_i32_e32 v5, 5, v5
	s_ashr_i32 s21, s20, 31
	v_lshlrev_b64 v[81:82], 1, v[1:2]
	s_lshl_b64 s[20:21], s[20:21], 2
	v_dual_cndmask_b32 v3, s4, v6 :: v_dual_lshlrev_b32 v80, 6, v80
	v_cmp_gt_i32_e32 vcc_lo, s17, v4
	s_add_u32 s13, s2, s20
	s_addc_u32 s16, s3, s21
	s_delay_alu instid0(VALU_DEP_2) | instskip(SKIP_3) | instid1(SALU_CYCLE_1)
	v_ashrrev_i32_e32 v4, 31, v3
	s_mul_i32 s2, s15, s6
	v_cndmask_b32_e32 v5, s4, v5, vcc_lo
	s_ashr_i32 s3, s2, 31
	s_lshl_b64 s[2:3], s[2:3], 1
	v_lshlrev_b64 v[3:4], 2, v[3:4]
	s_delay_alu instid0(VALU_DEP_2) | instskip(SKIP_3) | instid1(VALU_DEP_1)
	v_ashrrev_i32_e32 v6, 31, v5
	s_add_u32 s15, s8, s2
	s_addc_u32 s19, s9, s3
	s_lshl_b32 s6, s14, 3
	v_lshlrev_b64 v[5:6], 2, v[5:6]
	v_add_co_u32 v3, vcc_lo, s13, v3
	v_add_co_ci_u32_e32 v4, vcc_lo, s16, v4, vcc_lo
	s_ashr_i32 s7, s6, 31
	s_delay_alu instid0(VALU_DEP_3) | instskip(NEXT) | instid1(VALU_DEP_4)
	v_add_co_u32 v5, vcc_lo, s13, v5
	v_add_co_ci_u32_e32 v6, vcc_lo, s16, v6, vcc_lo
	s_clause 0x1
	global_load_b32 v7, v[3:4], off
	global_load_b32 v8, v[5:6], off
	s_lshl_b64 s[6:7], s[6:7], 2
	s_delay_alu instid0(SALU_CYCLE_1) | instskip(SKIP_2) | instid1(SALU_CYCLE_1)
	s_add_u32 s6, s13, s6
	s_addc_u32 s7, s16, s7
	s_or_b32 s8, s12, 32
	s_ashr_i32 s9, s8, 5
	s_cmp_lt_i32 s8, s17
	s_cselect_b32 s8, s9, s4
	s_delay_alu instid0(SALU_CYCLE_1) | instskip(NEXT) | instid1(SALU_CYCLE_1)
	s_ashr_i32 s9, s8, 31
	s_lshl_b64 s[8:9], s[8:9], 2
	s_delay_alu instid0(SALU_CYCLE_1) | instskip(SKIP_2) | instid1(SALU_CYCLE_1)
	s_add_u32 s8, s13, s8
	s_addc_u32 s9, s16, s9
	s_or_b32 s20, s12, 64
	s_ashr_i32 s21, s20, 5
	s_cmp_lt_i32 s20, s17
	s_cselect_b32 s20, s21, s4
	s_delay_alu instid0(SALU_CYCLE_1) | instskip(NEXT) | instid1(SALU_CYCLE_1)
	s_ashr_i32 s21, s20, 31
	;; [unrolled: 10-line block ×5, first 2 shown]
	s_lshl_b64 s[26:27], s[26:27], 2
	s_delay_alu instid0(SALU_CYCLE_1)
	s_add_u32 s26, s13, s26
	s_addc_u32 s27, s16, s27
	s_clause 0x5
	s_load_b32 s28, s[6:7], 0x0
	s_load_b32 s29, s[8:9], 0x0
	;; [unrolled: 1-line block ×6, first 2 shown]
	s_mov_b32 s20, 0
	s_or_b32 s6, s12, 0xc0
	s_mov_b32 s27, s20
	s_mov_b32 s21, s20
	;; [unrolled: 1-line block ×7, first 2 shown]
	s_delay_alu instid0(SALU_CYCLE_1)
	v_dual_mov_b32 v108, s27 :: v_dual_mov_b32 v107, s26
	v_dual_mov_b32 v106, s25 :: v_dual_mov_b32 v105, s24
	;; [unrolled: 1-line block ×4, first 2 shown]
	s_ashr_i32 s7, s6, 5
	s_cmp_lt_i32 s6, s17
	s_waitcnt lgkmcnt(0)
	s_mul_hi_i32 s9, s28, s5
	s_cselect_b32 s6, s7, s4
	s_mul_i32 s8, s28, s5
	s_ashr_i32 s7, s6, 31
	s_mul_hi_i32 s21, s29, s5
	s_lshl_b64 s[6:7], s[6:7], 2
	s_mul_i32 s20, s29, s5
	s_add_u32 s6, s13, s6
	s_addc_u32 s7, s16, s7
	s_mul_hi_i32 s25, s33, s5
	s_mul_i32 s24, s33, s5
	s_mul_hi_i32 s27, s34, s5
	s_mul_i32 s26, s34, s5
	s_mul_i32 s34, s36, s5
	s_waitcnt vmcnt(1)
	v_mad_i64_i32 v[3:4], null, v7, s5, 0
	s_waitcnt vmcnt(0)
	v_mad_i64_i32 v[5:6], null, v8, s5, 0
	s_delay_alu instid0(VALU_DEP_2) | instskip(NEXT) | instid1(VALU_DEP_2)
	v_lshlrev_b64 v[3:4], 1, v[3:4]
	v_lshlrev_b64 v[1:2], 1, v[5:6]
	s_delay_alu instid0(VALU_DEP_2) | instskip(NEXT) | instid1(VALU_DEP_3)
	v_add_co_u32 v3, vcc_lo, s15, v3
	v_add_co_ci_u32_e32 v4, vcc_lo, s19, v4, vcc_lo
	s_delay_alu instid0(VALU_DEP_3) | instskip(NEXT) | instid1(VALU_DEP_4)
	v_add_co_u32 v1, vcc_lo, s15, v1
	v_add_co_ci_u32_e32 v2, vcc_lo, s19, v2, vcc_lo
	s_delay_alu instid0(VALU_DEP_4) | instskip(NEXT) | instid1(VALU_DEP_4)
	v_add_co_u32 v65, vcc_lo, v3, v81
	v_add_co_ci_u32_e32 v66, vcc_lo, v4, v82, vcc_lo
	s_delay_alu instid0(VALU_DEP_4) | instskip(NEXT) | instid1(VALU_DEP_4)
	v_add_co_u32 v76, vcc_lo, v1, v81
	v_add_co_ci_u32_e32 v77, vcc_lo, v2, v82, vcc_lo
	s_clause 0xf
	global_load_b128 v[1:4], v[65:66], off
	global_load_b128 v[5:8], v[65:66], off offset:512
	global_load_b128 v[9:12], v[76:77], off offset:256
	;; [unrolled: 1-line block ×15, first 2 shown]
	v_add_co_u32 v78, vcc_lo, 0x1000, v65
	v_add_co_ci_u32_e32 v79, vcc_lo, 0, v66, vcc_lo
	v_add_co_u32 v76, vcc_lo, 0x1000, v76
	s_clause 0x1
	global_load_b128 v[65:68], v[78:79], off
	global_load_b128 v[69:72], v[78:79], off offset:512
	v_add_co_ci_u32_e32 v77, vcc_lo, 0, v77, vcc_lo
	ds_load_b128 v[85:88], v80
	ds_load_b128 v[89:92], v80 offset:1024
	s_clause 0x1
	global_load_b128 v[93:96], v[76:77], off offset:256
	global_load_b128 v[97:100], v[76:77], off offset:768
	ds_load_b128 v[109:112], v80 offset:2048
	ds_load_b128 v[113:116], v80 offset:3072
	s_or_b32 s15, s12, 0xe0
	s_delay_alu instid0(SALU_CYCLE_1) | instskip(SKIP_2) | instid1(SALU_CYCLE_1)
	s_ashr_i32 s19, s15, 5
	s_cmp_lt_i32 s15, s17
	s_cselect_b32 s22, s19, s4
	s_ashr_i32 s23, s22, 31
	s_delay_alu instid0(SALU_CYCLE_1) | instskip(NEXT) | instid1(SALU_CYCLE_1)
	s_lshl_b64 s[22:23], s[22:23], 2
	s_add_u32 s22, s13, s22
	s_addc_u32 s23, s16, s23
	s_add_i32 s15, s12, 0x100
	s_delay_alu instid0(SALU_CYCLE_1) | instskip(SKIP_2) | instid1(SALU_CYCLE_1)
	s_ashr_i32 s19, s15, 5
	s_cmp_lt_i32 s15, s17
	s_cselect_b32 s28, s19, s4
	s_ashr_i32 s29, s28, 31
	s_delay_alu instid0(SALU_CYCLE_1) | instskip(NEXT) | instid1(SALU_CYCLE_1)
	s_lshl_b64 s[28:29], s[28:29], 2
	s_add_u32 s28, s13, s28
	s_addc_u32 s29, s16, s29
	s_add_u32 s4, s10, s2
	s_addc_u32 s19, s11, s3
	s_lshl_b64 s[2:3], s[8:9], 1
	s_lshl_b64 s[8:9], s[20:21], 1
	;; [unrolled: 1-line block ×4, first 2 shown]
	s_waitcnt vmcnt(18) lgkmcnt(2)
	v_wmma_f32_16x16x16_bf16 v[117:124], v[1:8], v[85:92], v[101:108]
	s_waitcnt vmcnt(16)
	v_wmma_f32_16x16x16_bf16 v[101:108], v[9:16], v[85:92], v[101:108]
	s_clause 0x3
	global_load_b128 v[1:4], v[78:79], off offset:1024
	global_load_b128 v[5:8], v[78:79], off offset:1536
	;; [unrolled: 1-line block ×4, first 2 shown]
	s_waitcnt vmcnt(18) lgkmcnt(0)
	v_wmma_f32_16x16x16_bf16 v[117:124], v[17:24], v[109:116], v[117:124]
	s_clause 0x1
	global_load_b128 v[17:20], v[78:79], off offset:2048
	global_load_b128 v[21:24], v[78:79], off offset:2560
	s_waitcnt vmcnt(18)
	v_wmma_f32_16x16x16_bf16 v[101:108], v[25:32], v[109:116], v[101:108]
	ds_load_b128 v[25:28], v80 offset:4096
	ds_load_b128 v[29:32], v80 offset:5120
	s_clause 0x5
	global_load_b128 v[109:112], v[76:77], off offset:2304
	global_load_b128 v[113:116], v[76:77], off offset:2816
	;; [unrolled: 1-line block ×6, first 2 shown]
	s_waitcnt vmcnt(22) lgkmcnt(0)
	v_wmma_f32_16x16x16_bf16 v[117:124], v[33:40], v[25:32], v[117:124]
	s_waitcnt vmcnt(20)
	v_wmma_f32_16x16x16_bf16 v[101:108], v[41:48], v[25:32], v[101:108]
	ds_load_b128 v[25:28], v80 offset:6144
	ds_load_b128 v[29:32], v80 offset:7168
	;; [unrolled: 1-line block ×4, first 2 shown]
	s_waitcnt vmcnt(18) lgkmcnt(2)
	v_wmma_f32_16x16x16_bf16 v[117:124], v[49:56], v[25:32], v[117:124]
	s_waitcnt vmcnt(16)
	v_wmma_f32_16x16x16_bf16 v[101:108], v[57:64], v[25:32], v[101:108]
	ds_load_b128 v[25:28], v80 offset:10240
	ds_load_b128 v[29:32], v80 offset:11264
	;; [unrolled: 1-line block ×6, first 2 shown]
	s_waitcnt vmcnt(14) lgkmcnt(6)
	v_wmma_f32_16x16x16_bf16 v[117:124], v[65:72], v[33:40], v[117:124]
	s_waitcnt vmcnt(12)
	v_wmma_f32_16x16x16_bf16 v[101:108], v[93:100], v[33:40], v[101:108]
	s_clause 0x2
	s_load_b32 s15, s[6:7], 0x0
	s_load_b32 s13, s[22:23], 0x0
	;; [unrolled: 1-line block ×3, first 2 shown]
	s_mul_hi_i32 s7, s35, s5
	s_mul_i32 s6, s35, s5
	s_mul_hi_i32 s35, s36, s5
	s_lshl_b64 s[6:7], s[6:7], 1
	s_lshl_b64 s[22:23], s[34:35], 1
	s_waitcnt lgkmcnt(0)
	s_mul_hi_i32 s25, s15, s5
	s_mul_i32 s24, s15, s5
	s_waitcnt vmcnt(10)
	v_wmma_f32_16x16x16_bf16 v[117:124], v[1:8], v[25:32], v[117:124]
	s_waitcnt vmcnt(8)
	v_wmma_f32_16x16x16_bf16 v[101:108], v[9:16], v[25:32], v[101:108]
	s_waitcnt vmcnt(6)
	s_delay_alu instid0(VALU_DEP_2) | instskip(SKIP_1) | instid1(VALU_DEP_2)
	v_wmma_f32_16x16x16_bf16 v[117:124], v[17:24], v[141:148], v[117:124]
	s_waitcnt vmcnt(4)
	v_wmma_f32_16x16x16_bf16 v[101:108], v[109:116], v[141:148], v[101:108]
	s_waitcnt vmcnt(2)
	s_delay_alu instid0(VALU_DEP_2) | instskip(SKIP_3) | instid1(VALU_DEP_3)
	v_wmma_f32_16x16x16_bf16 v[117:124], v[125:132], v[149:156], v[117:124]
	v_lshlrev_b32_e32 v85, 6, v73
	s_waitcnt vmcnt(0)
	v_wmma_f32_16x16x16_bf16 v[101:108], v[133:140], v[149:156], v[101:108]
	v_mul_f32_e32 v100, s18, v124
	s_delay_alu instid0(VALU_DEP_3) | instskip(SKIP_2) | instid1(VALU_DEP_3)
	v_lshl_or_b32 v41, v74, 10, v85
	v_mul_f32_e32 v97, s18, v117
	v_mul_f32_e32 v99, s18, v118
	v_add_co_u32 v76, s4, s4, v41
	s_delay_alu instid0(VALU_DEP_1) | instskip(NEXT) | instid1(VALU_DEP_2)
	v_add_co_ci_u32_e64 v77, null, s19, 0, s4
	v_add_co_u32 v41, vcc_lo, v76, s2
	s_delay_alu instid0(VALU_DEP_2)
	v_add_co_ci_u32_e32 v42, vcc_lo, s3, v77, vcc_lo
	v_add_co_u32 v33, vcc_lo, v76, s8
	v_add_co_ci_u32_e32 v34, vcc_lo, s9, v77, vcc_lo
	v_add_co_u32 v35, vcc_lo, v76, s10
	;; [unrolled: 2-line block ×5, first 2 shown]
	s_lshl_b64 s[2:3], s[24:25], 1
	v_add_co_ci_u32_e32 v6, vcc_lo, s23, v77, vcc_lo
	s_mul_hi_i32 s7, s13, s5
	s_mul_i32 s6, s13, s5
	v_add_co_u32 v17, vcc_lo, v76, s2
	v_add_co_ci_u32_e32 v18, vcc_lo, s3, v77, vcc_lo
	s_lshl_b64 s[2:3], s[6:7], 1
	s_mul_hi_i32 s7, s16, s5
	s_mul_i32 s6, s16, s5
	v_add_co_u32 v19, vcc_lo, v76, s2
	v_add_co_ci_u32_e32 v20, vcc_lo, s3, v77, vcc_lo
	s_lshl_b64 s[2:3], s[6:7], 1
	s_clause 0x1
	global_load_b128 v[65:68], v[41:42], off
	global_load_b128 v[69:72], v[41:42], off offset:16
	v_add_co_u32 v21, vcc_lo, v76, s2
	v_add_co_ci_u32_e32 v22, vcc_lo, s3, v77, vcc_lo
	s_clause 0xf
	global_load_b128 v[57:60], v[33:34], off
	global_load_b128 v[61:64], v[33:34], off offset:16
	global_load_b128 v[49:52], v[35:36], off
	global_load_b128 v[53:56], v[35:36], off offset:16
	;; [unrolled: 2-line block ×8, first 2 shown]
	v_mbcnt_lo_u32_b32 v77, -1, 0
	v_and_b32_e32 v76, 0xe0, v0
	s_waitcnt vmcnt(0)
	s_barrier
	buffer_gl0_inv
	v_xor_b32_e32 v78, 16, v77
	s_delay_alu instid0(VALU_DEP_1) | instskip(SKIP_1) | instid1(VALU_DEP_1)
	v_cmp_gt_i32_e32 vcc_lo, 32, v78
	v_dual_cndmask_b32 v77, v77, v78 :: v_dual_add_nc_u32 v76, s12, v76
	v_or_b32_e32 v76, v76, v83
	s_delay_alu instid0(VALU_DEP_1)
	v_or_b32_e32 v78, 2, v76
	v_or_b32_e32 v79, 4, v76
	;; [unrolled: 1-line block ×3, first 2 shown]
	v_cmp_gt_i32_e32 vcc_lo, s17, v76
	v_or_b32_e32 v86, 8, v76
	v_cmp_gt_i32_e64 s2, s17, v78
	v_or_b32_e32 v87, 10, v76
	v_or_b32_e32 v88, 12, v76
	;; [unrolled: 1-line block ×11, first 2 shown]
	v_cndmask_b32_e64 v78, 0xff7fffff, v99, s2
	v_mul_f32_e32 v99, s18, v120
	v_cmp_gt_i32_e64 s3, s17, v80
	v_mul_f32_e32 v80, s18, v119
	v_cndmask_b32_e32 v76, 0xff7fffff, v97, vcc_lo
	v_cmp_gt_i32_e64 s4, s17, v79
	v_mul_f32_e32 v79, s18, v122
	v_cmp_gt_i32_e64 s5, s17, v86
	v_cmp_gt_i32_e64 s6, s17, v87
	v_max3_f32 v76, v76, 0xff7fffff, v78
	v_mul_f32_e32 v78, s18, v121
	v_cndmask_b32_e64 v80, 0xff7fffff, v80, s4
	v_mul_f32_e32 v86, s18, v107
	v_cndmask_b32_e64 v99, 0xff7fffff, v99, s3
	;; [unrolled: 2-line block ×3, first 2 shown]
	v_cndmask_b32_e64 v79, 0xff7fffff, v79, s6
	v_cmp_gt_i32_e64 s7, s17, v89
	v_max3_f32 v76, v76, v80, v99
	v_mul_f32_e32 v80, s18, v108
	v_cmp_gt_i32_e64 s8, s17, v88
	v_dual_mul_f32 v99, s18, v105 :: v_dual_mul_f32 v88, s18, v102
	s_delay_alu instid0(VALU_DEP_4) | instskip(SKIP_1) | instid1(VALU_DEP_4)
	v_max3_f32 v76, v76, v78, v79
	v_mul_f32_e32 v89, s18, v101
	v_cndmask_b32_e64 v97, 0xff7fffff, v97, s8
	v_cndmask_b32_e64 v100, 0xff7fffff, v100, s7
	v_cmp_gt_i32_e64 s9, s17, v90
	v_cmp_gt_i32_e64 s10, s17, v91
	v_dual_mul_f32 v78, s18, v104 :: v_dual_mul_f32 v79, s18, v103
	s_delay_alu instid0(VALU_DEP_4) | instskip(NEXT) | instid1(VALU_DEP_4)
	v_max3_f32 v76, v76, v97, v100
	v_cndmask_b32_e64 v89, 0xff7fffff, v89, s9
	s_delay_alu instid0(VALU_DEP_4)
	v_cndmask_b32_e64 v88, 0xff7fffff, v88, s10
	v_cmp_gt_i32_e64 s11, s17, v92
	v_cmp_gt_i32_e64 s12, s17, v93
	v_mul_f32_e32 v87, s18, v106
	v_cmp_gt_i32_e64 s13, s17, v94
	v_max3_f32 v76, v76, v89, v88
	v_cndmask_b32_e64 v79, 0xff7fffff, v79, s11
	v_cndmask_b32_e64 v78, 0xff7fffff, v78, s12
	v_cmp_gt_i32_e64 s15, s17, v95
	v_cndmask_b32_e64 v88, 0xff7fffff, v99, s13
	v_cmp_gt_i32_e64 s16, s17, v96
	v_cmp_gt_i32_e64 s17, s17, v98
	v_max3_f32 v76, v76, v79, v78
	v_cndmask_b32_e64 v87, 0xff7fffff, v87, s15
	v_lshlrev_b32_e32 v99, 2, v77
	v_cndmask_b32_e64 v78, 0xff7fffff, v86, s16
	v_cndmask_b32_e64 v79, 0xff7fffff, v80, s17
	s_delay_alu instid0(VALU_DEP_4) | instskip(NEXT) | instid1(VALU_DEP_1)
	v_max3_f32 v76, v76, v88, v87
	v_max3_f32 v76, v76, v78, v79
	ds_bpermute_b32 v77, v99, v76
	s_waitcnt lgkmcnt(0)
	v_max_f32_e32 v77, v77, v77
	s_delay_alu instid0(VALU_DEP_1) | instskip(NEXT) | instid1(VALU_DEP_1)
	v_max_f32_e32 v76, v76, v77
	v_fma_f32 v80, s18, v120, -v76
	v_fma_f32 v77, s18, v117, -v76
	;; [unrolled: 1-line block ×5, first 2 shown]
	v_mul_f32_e32 v80, 0x3fb8aa3b, v80
	v_fma_f32 v87, s18, v123, -v76
	v_mul_f32_e32 v78, 0x3fb8aa3b, v78
	v_fma_f32 v88, s18, v105, -v76
	v_mul_f32_e32 v86, 0x3fb8aa3b, v86
	v_exp_f32_e32 v80, v80
	v_fma_f32 v90, s18, v107, -v76
	v_exp_f32_e32 v78, v78
	v_fma_f32 v100, s18, v108, -v76
	v_exp_f32_e32 v86, v86
	v_mul_f32_e32 v88, 0x3fb8aa3b, v88
	s_delay_alu instid0(VALU_DEP_2) | instskip(NEXT) | instid1(TRANS32_DEP_3)
	v_mul_f32_e32 v100, 0x3fb8aa3b, v100
	v_cndmask_b32_e64 v95, 0, v80, s3
	v_mul_f32_e32 v77, 0x3fb8aa3b, v77
	s_delay_alu instid0(TRANS32_DEP_2) | instskip(SKIP_1) | instid1(TRANS32_DEP_1)
	v_cndmask_b32_e64 v91, 0, v78, s2
	v_fma_f32 v80, s18, v101, -v76
	v_cndmask_b32_e64 v96, 0, v86, s5
	v_fma_f32 v86, s18, v102, -v76
	v_exp_f32_e32 v77, v77
	s_delay_alu instid0(VALU_DEP_3) | instskip(SKIP_1) | instid1(VALU_DEP_2)
	v_dual_mul_f32 v79, 0x3fb8aa3b, v79 :: v_dual_mul_f32 v80, 0x3fb8aa3b, v80
	v_exp_f32_e32 v88, v88
	v_mul_f32_e32 v86, 0x3fb8aa3b, v86
	v_cmp_gt_u32_e64 s2, 16, v75
	v_exp_f32_e32 v100, v100
	v_exp_f32_e32 v80, v80
	s_delay_alu instid0(VALU_DEP_2) | instskip(SKIP_3) | instid1(VALU_DEP_1)
	v_exp_f32_e32 v86, v86
	v_cndmask_b32_e32 v92, 0, v77, vcc_lo
	v_exp_f32_e32 v79, v79
	v_fma_f32 v77, s18, v122, -v76
	v_dual_add_f32 v78, 0, v92 :: v_dual_mul_f32 v77, 0x3fb8aa3b, v77
	s_delay_alu instid0(VALU_DEP_1)
	v_add_f32_e32 v78, v78, v91
	s_waitcnt_depctr 0xfff
	v_cndmask_b32_e64 v93, 0, v79, s4
	v_fma_f32 v79, s18, v124, -v76
	v_mul_f32_e32 v87, 0x3fb8aa3b, v87
	v_exp_f32_e32 v77, v77
	s_delay_alu instid0(VALU_DEP_2) | instskip(NEXT) | instid1(VALU_DEP_2)
	v_dual_add_f32 v78, v78, v93 :: v_dual_mul_f32 v79, 0x3fb8aa3b, v79
	v_exp_f32_e32 v87, v87
	s_delay_alu instid0(VALU_DEP_1) | instskip(NEXT) | instid1(VALU_DEP_2)
	v_add_f32_e32 v78, v78, v95
	v_exp_f32_e32 v79, v79
	s_delay_alu instid0(TRANS32_DEP_3) | instskip(NEXT) | instid1(VALU_DEP_2)
	v_cndmask_b32_e64 v97, 0, v77, s6
	v_add_f32_e32 v77, v78, v96
	v_fma_f32 v78, s18, v103, -v76
	s_waitcnt_depctr 0xfff
	v_cndmask_b32_e64 v94, 0, v87, s8
	v_fma_f32 v87, s18, v104, -v76
	v_dual_add_f32 v77, v77, v97 :: v_dual_mul_f32 v78, 0x3fb8aa3b, v78
	v_cndmask_b32_e64 v98, 0, v79, s7
	s_delay_alu instid0(VALU_DEP_2) | instskip(SKIP_4) | instid1(VALU_DEP_2)
	v_add_f32_e32 v79, v77, v94
	v_cndmask_b32_e64 v77, 0, v80, s9
	v_fma_f32 v80, s18, v106, -v76
	v_exp_f32_e32 v89, v78
	v_cndmask_b32_e64 v78, 0, v86, s10
	v_dual_add_f32 v79, v79, v98 :: v_dual_mul_f32 v80, 0x3fb8aa3b, v80
	s_delay_alu instid0(VALU_DEP_1) | instskip(NEXT) | instid1(VALU_DEP_1)
	v_dual_mul_f32 v87, 0x3fb8aa3b, v87 :: v_dual_add_f32 v86, v79, v77
	v_exp_f32_e32 v87, v87
	s_waitcnt_depctr 0xfff
	v_cndmask_b32_e64 v79, 0, v89, s11
	v_add_f32_e32 v86, v86, v78
	v_mul_f32_e32 v89, 0x3fb8aa3b, v90
	v_exp_f32_e32 v90, v80
	v_cndmask_b32_e64 v80, 0, v87, s12
	s_delay_alu instid0(VALU_DEP_3) | instskip(SKIP_1) | instid1(VALU_DEP_2)
	v_add_f32_e32 v87, v86, v79
	v_cndmask_b32_e64 v86, 0, v88, s13
	v_add_f32_e32 v88, v87, v80
	v_exp_f32_e32 v89, v89
	s_waitcnt_depctr 0xfff
	v_cndmask_b32_e64 v87, 0, v90, s15
	v_add_f32_e32 v90, v88, v86
	v_cndmask_b32_e64 v88, 0, v89, s16
	s_delay_alu instid0(VALU_DEP_2) | instskip(NEXT) | instid1(VALU_DEP_1)
	v_add_f32_e32 v89, v90, v87
	v_add_f32_e32 v90, v89, v88
	v_cndmask_b32_e64 v89, 0, v100, s17
	s_delay_alu instid0(VALU_DEP_1)
	v_add_f32_e32 v90, v90, v89
	ds_bpermute_b32 v99, v99, v90
	s_and_saveexec_b32 s3, s2
	s_cbranch_execz .LBB756_14
; %bb.13:
	v_mul_u32_u24_e32 v75, 0x44, v74
	s_waitcnt lgkmcnt(0)
	v_add_f32_e32 v90, v90, v99
	s_delay_alu instid0(VALU_DEP_2) | instskip(NEXT) | instid1(VALU_DEP_1)
	v_lshl_add_u32 v75, v73, 2, v75
	v_add_nc_u32_e32 v75, 0x4000, v75
	ds_store_2addr_b32 v75, v76, v90 offset1:136
.LBB756_14:
	s_or_b32 exec_lo, exec_lo, s3
	v_lshlrev_b32_e32 v75, 2, v73
	s_waitcnt lgkmcnt(0)
	s_barrier
	buffer_gl0_inv
	v_cmp_eq_u32_e64 s3, 1, v74
	v_add_nc_u32_e32 v90, 0x4000, v75
	ds_load_2addr_b32 v[99:100], v90 offset1:17
	ds_load_2addr_b32 v[101:102], v90 offset0:34 offset1:51
	ds_load_2addr_b32 v[103:104], v90 offset0:68 offset1:85
	;; [unrolled: 1-line block ×4, first 2 shown]
	s_waitcnt lgkmcnt(4)
	v_max3_f32 v75, v99, 0xff7fffff, v100
	s_waitcnt lgkmcnt(3)
	s_delay_alu instid0(VALU_DEP_1) | instskip(SKIP_1) | instid1(VALU_DEP_1)
	v_max3_f32 v75, v75, v101, v102
	s_waitcnt lgkmcnt(2)
	v_max3_f32 v75, v75, v103, v104
	s_waitcnt lgkmcnt(1)
	s_delay_alu instid0(VALU_DEP_1) | instskip(NEXT) | instid1(VALU_DEP_1)
	v_max3_f32 v75, v75, v105, v106
	v_sub_f32_e32 v109, v100, v75
	v_sub_f32_e32 v76, v99, v75
	ds_load_2addr_b32 v[99:100], v90 offset0:170 offset1:187
	v_sub_f32_e32 v101, v101, v75
	v_dual_mul_f32 v109, 0x3fb8aa3b, v109 :: v_dual_mul_f32 v76, 0x3fb8aa3b, v76
	s_delay_alu instid0(VALU_DEP_2) | instskip(NEXT) | instid1(VALU_DEP_2)
	v_mul_f32_e32 v111, 0x3fb8aa3b, v101
	v_exp_f32_e32 v109, v109
	s_delay_alu instid0(VALU_DEP_2)
	v_exp_f32_e32 v110, v76
	v_sub_f32_e32 v76, v102, v75
	ds_load_2addr_b32 v[101:102], v90 offset0:204 offset1:221
	v_exp_f32_e32 v111, v111
	v_mul_f32_e32 v112, 0x3fb8aa3b, v76
	s_waitcnt lgkmcnt(2)
	v_fma_f32 v76, v110, v107, 0
	v_sub_f32_e32 v103, v103, v75
	s_delay_alu instid0(VALU_DEP_3) | instskip(NEXT) | instid1(VALU_DEP_2)
	v_exp_f32_e32 v112, v112
	v_dual_sub_f32 v107, v104, v75 :: v_dual_fmac_f32 v76, v109, v108
	s_waitcnt lgkmcnt(1)
	s_waitcnt_depctr 0xfff
	v_fmac_f32_e32 v76, v111, v99
	v_mul_f32_e32 v113, 0x3fb8aa3b, v103
	ds_load_2addr_b32 v[103:104], v90 offset0:238 offset1:255
	v_sub_f32_e32 v90, v105, v75
	v_dual_sub_f32 v99, v106, v75 :: v_dual_fmac_f32 v76, v112, v100
	v_mul_f32_e32 v105, 0x3fb8aa3b, v107
	v_exp_f32_e32 v107, v113
	s_delay_alu instid0(VALU_DEP_2)
	v_dual_mul_f32 v90, 0x3fb8aa3b, v90 :: v_dual_mul_f32 v99, 0x3fb8aa3b, v99
	s_waitcnt lgkmcnt(0)
	s_barrier
	buffer_gl0_inv
	v_exp_f32_e32 v90, v90
	v_exp_f32_e32 v99, v99
	v_fmac_f32_e32 v76, v107, v101
	v_exp_f32_e32 v105, v105
	s_waitcnt_depctr 0xfff
	v_fmac_f32_e32 v76, v105, v102
	s_delay_alu instid0(VALU_DEP_1) | instskip(NEXT) | instid1(VALU_DEP_1)
	v_fmac_f32_e32 v76, v90, v103
	v_fmac_f32_e32 v76, v99, v104
	s_delay_alu instid0(VALU_DEP_1) | instskip(NEXT) | instid1(VALU_DEP_1)
	v_add_f32_e32 v100, 0x358637bd, v76
	v_div_scale_f32 v101, null, v100, v100, 1.0
	v_div_scale_f32 v104, vcc_lo, 1.0, v100, 1.0
	s_delay_alu instid0(VALU_DEP_2) | instskip(SKIP_2) | instid1(VALU_DEP_1)
	v_rcp_f32_e32 v102, v101
	s_waitcnt_depctr 0xfff
	v_fma_f32 v103, -v101, v102, 1.0
	v_fmac_f32_e32 v102, v103, v102
	v_cndmask_b32_e64 v103, v110, v109, s3
	v_cmp_eq_u32_e64 s3, 2, v74
	s_delay_alu instid0(VALU_DEP_3) | instskip(NEXT) | instid1(VALU_DEP_2)
	v_mul_f32_e32 v106, v104, v102
	v_cndmask_b32_e64 v103, v103, v111, s3
	v_cmp_eq_u32_e64 s3, 3, v74
	s_delay_alu instid0(VALU_DEP_3) | instskip(NEXT) | instid1(VALU_DEP_2)
	v_fma_f32 v108, -v101, v106, v104
	v_cndmask_b32_e64 v103, v103, v112, s3
	v_cmp_eq_u32_e64 s3, 4, v74
	s_delay_alu instid0(VALU_DEP_3) | instskip(NEXT) | instid1(VALU_DEP_2)
	v_fmac_f32_e32 v106, v108, v102
	v_cndmask_b32_e64 v103, v103, v107, s3
	s_delay_alu instid0(VALU_DEP_2) | instskip(SKIP_1) | instid1(VALU_DEP_2)
	v_fma_f32 v101, -v101, v106, v104
	v_cmp_eq_u32_e64 s3, 5, v74
	v_div_fmas_f32 v101, v101, v102, v106
	s_delay_alu instid0(VALU_DEP_2) | instskip(SKIP_2) | instid1(VALU_DEP_3)
	v_cndmask_b32_e64 v103, v103, v105, s3
	v_cmp_eq_u32_e32 vcc_lo, 6, v74
	s_mov_b32 s3, exec_lo
	v_div_fixup_f32 v100, v101, v100, 1.0
	s_delay_alu instid0(VALU_DEP_3) | instskip(SKIP_1) | instid1(VALU_DEP_2)
	v_cndmask_b32_e32 v90, v103, v90, vcc_lo
	v_cmp_eq_u32_e32 vcc_lo, 7, v74
	v_cndmask_b32_e32 v90, v90, v99, vcc_lo
	s_delay_alu instid0(VALU_DEP_1) | instskip(NEXT) | instid1(VALU_DEP_1)
	v_mul_f32_e32 v90, v90, v100
	v_mul_f32_e32 v100, v90, v92
	;; [unrolled: 1-line block ×6, first 2 shown]
	v_and_b32_e32 v101, 0x7f800000, v100
	v_mul_f32_e32 v99, v90, v95
	v_mul_f32_e32 v95, v90, v91
	;; [unrolled: 1-line block ×3, first 2 shown]
                                        ; implicit-def: $vgpr91
	s_delay_alu instid0(VALU_DEP_4)
	v_cmpx_ne_u32_e32 0x7f800000, v101
	s_xor_b32 s3, exec_lo, s3
; %bb.15:
	v_bfe_u32 v91, v100, 16, 1
	s_delay_alu instid0(VALU_DEP_1)
	v_add3_u32 v91, v100, v91, 0x7fff
                                        ; implicit-def: $vgpr100
; %bb.16:
	s_and_not1_saveexec_b32 s3, s3
; %bb.17:
	v_and_b32_e32 v91, 0xffff, v100
	v_or_b32_e32 v93, 0x10000, v100
	s_delay_alu instid0(VALU_DEP_2) | instskip(NEXT) | instid1(VALU_DEP_2)
	v_cmp_eq_u32_e32 vcc_lo, 0, v91
	v_cndmask_b32_e32 v91, v93, v100, vcc_lo
; %bb.18:
	s_or_b32 exec_lo, exec_lo, s3
	v_and_b32_e32 v93, 0x7f800000, v95
	s_delay_alu instid0(VALU_DEP_1) | instskip(SKIP_1) | instid1(SALU_CYCLE_1)
	v_cmp_ne_u32_e32 vcc_lo, 0x7f800000, v93
                                        ; implicit-def: $vgpr93
	s_and_saveexec_b32 s3, vcc_lo
	s_xor_b32 s3, exec_lo, s3
; %bb.19:
	v_bfe_u32 v93, v95, 16, 1
	s_delay_alu instid0(VALU_DEP_1)
	v_add3_u32 v93, v95, v93, 0x7fff
                                        ; implicit-def: $vgpr95
; %bb.20:
	s_and_not1_saveexec_b32 s3, s3
; %bb.21:
	v_and_b32_e32 v93, 0xffff, v95
	v_or_b32_e32 v100, 0x10000, v95
	s_delay_alu instid0(VALU_DEP_2) | instskip(NEXT) | instid1(VALU_DEP_2)
	v_cmp_eq_u32_e32 vcc_lo, 0, v93
	v_cndmask_b32_e32 v93, v100, v95, vcc_lo
; %bb.22:
	s_or_b32 exec_lo, exec_lo, s3
	v_and_b32_e32 v95, 0x7f800000, v96
	s_delay_alu instid0(VALU_DEP_1) | instskip(SKIP_1) | instid1(SALU_CYCLE_1)
	v_cmp_ne_u32_e32 vcc_lo, 0x7f800000, v95
                                        ; implicit-def: $vgpr95
	s_and_saveexec_b32 s3, vcc_lo
	s_xor_b32 s3, exec_lo, s3
; %bb.23:
	v_bfe_u32 v95, v96, 16, 1
	s_delay_alu instid0(VALU_DEP_1)
	v_add3_u32 v95, v96, v95, 0x7fff
                                        ; implicit-def: $vgpr96
; %bb.24:
	s_and_not1_saveexec_b32 s3, s3
; %bb.25:
	v_and_b32_e32 v95, 0xffff, v96
	v_or_b32_e32 v100, 0x10000, v96
	s_delay_alu instid0(VALU_DEP_2) | instskip(NEXT) | instid1(VALU_DEP_2)
	v_cmp_eq_u32_e32 vcc_lo, 0, v95
	v_cndmask_b32_e32 v95, v100, v96, vcc_lo
; %bb.26:
	s_or_b32 exec_lo, exec_lo, s3
	v_and_b32_e32 v96, 0x7f800000, v99
	s_delay_alu instid0(VALU_DEP_1) | instskip(SKIP_1) | instid1(SALU_CYCLE_1)
	v_cmp_ne_u32_e32 vcc_lo, 0x7f800000, v96
                                        ; implicit-def: $vgpr96
	s_and_saveexec_b32 s3, vcc_lo
	s_xor_b32 s3, exec_lo, s3
; %bb.27:
	v_bfe_u32 v96, v99, 16, 1
	s_delay_alu instid0(VALU_DEP_1)
	v_add3_u32 v96, v99, v96, 0x7fff
                                        ; implicit-def: $vgpr99
; %bb.28:
	s_and_not1_saveexec_b32 s3, s3
; %bb.29:
	v_and_b32_e32 v96, 0xffff, v99
	v_or_b32_e32 v100, 0x10000, v99
	s_delay_alu instid0(VALU_DEP_2) | instskip(NEXT) | instid1(VALU_DEP_2)
	v_cmp_eq_u32_e32 vcc_lo, 0, v96
	v_cndmask_b32_e32 v96, v100, v99, vcc_lo
; %bb.30:
	s_or_b32 exec_lo, exec_lo, s3
	v_and_b32_e32 v99, 0x7f800000, v98
	s_delay_alu instid0(VALU_DEP_1) | instskip(SKIP_1) | instid1(SALU_CYCLE_1)
	v_cmp_ne_u32_e32 vcc_lo, 0x7f800000, v99
                                        ; implicit-def: $vgpr99
	s_and_saveexec_b32 s3, vcc_lo
	s_xor_b32 s3, exec_lo, s3
; %bb.31:
	v_bfe_u32 v99, v98, 16, 1
	s_delay_alu instid0(VALU_DEP_1)
	v_add3_u32 v99, v98, v99, 0x7fff
                                        ; implicit-def: $vgpr98
; %bb.32:
	s_and_not1_saveexec_b32 s3, s3
; %bb.33:
	v_and_b32_e32 v99, 0xffff, v98
	v_or_b32_e32 v100, 0x10000, v98
	s_delay_alu instid0(VALU_DEP_2) | instskip(NEXT) | instid1(VALU_DEP_2)
	v_cmp_eq_u32_e32 vcc_lo, 0, v99
	v_cndmask_b32_e32 v99, v100, v98, vcc_lo
; %bb.34:
	s_or_b32 exec_lo, exec_lo, s3
	v_and_b32_e32 v98, 0x7f800000, v97
	s_delay_alu instid0(VALU_DEP_1) | instskip(SKIP_1) | instid1(SALU_CYCLE_1)
	v_cmp_ne_u32_e32 vcc_lo, 0x7f800000, v98
                                        ; implicit-def: $vgpr98
	s_and_saveexec_b32 s3, vcc_lo
	s_xor_b32 s3, exec_lo, s3
; %bb.35:
	v_bfe_u32 v98, v97, 16, 1
	s_delay_alu instid0(VALU_DEP_1)
	v_add3_u32 v98, v97, v98, 0x7fff
                                        ; implicit-def: $vgpr97
; %bb.36:
	s_and_not1_saveexec_b32 s3, s3
; %bb.37:
	v_and_b32_e32 v98, 0xffff, v97
	v_or_b32_e32 v100, 0x10000, v97
	s_delay_alu instid0(VALU_DEP_2) | instskip(NEXT) | instid1(VALU_DEP_2)
	v_cmp_eq_u32_e32 vcc_lo, 0, v98
	v_cndmask_b32_e32 v98, v100, v97, vcc_lo
; %bb.38:
	s_or_b32 exec_lo, exec_lo, s3
	v_and_b32_e32 v97, 0x7f800000, v94
	s_delay_alu instid0(VALU_DEP_1) | instskip(SKIP_1) | instid1(SALU_CYCLE_1)
	v_cmp_ne_u32_e32 vcc_lo, 0x7f800000, v97
                                        ; implicit-def: $vgpr97
	s_and_saveexec_b32 s3, vcc_lo
	s_xor_b32 s3, exec_lo, s3
; %bb.39:
	v_bfe_u32 v97, v94, 16, 1
	s_delay_alu instid0(VALU_DEP_1)
	v_add3_u32 v97, v94, v97, 0x7fff
                                        ; implicit-def: $vgpr94
; %bb.40:
	s_and_not1_saveexec_b32 s3, s3
; %bb.41:
	v_and_b32_e32 v97, 0xffff, v94
	v_or_b32_e32 v100, 0x10000, v94
	s_delay_alu instid0(VALU_DEP_2) | instskip(NEXT) | instid1(VALU_DEP_2)
	v_cmp_eq_u32_e32 vcc_lo, 0, v97
	v_cndmask_b32_e32 v97, v100, v94, vcc_lo
; %bb.42:
	s_or_b32 exec_lo, exec_lo, s3
	v_and_b32_e32 v94, 0x7f800000, v92
	s_delay_alu instid0(VALU_DEP_1) | instskip(SKIP_1) | instid1(SALU_CYCLE_1)
	v_cmp_ne_u32_e32 vcc_lo, 0x7f800000, v94
                                        ; implicit-def: $vgpr94
	s_and_saveexec_b32 s3, vcc_lo
	s_xor_b32 s3, exec_lo, s3
; %bb.43:
	v_bfe_u32 v94, v92, 16, 1
	s_delay_alu instid0(VALU_DEP_1)
	v_add3_u32 v94, v92, v94, 0x7fff
                                        ; implicit-def: $vgpr92
; %bb.44:
	s_and_not1_saveexec_b32 s3, s3
; %bb.45:
	v_and_b32_e32 v94, 0xffff, v92
	v_or_b32_e32 v100, 0x10000, v92
	s_delay_alu instid0(VALU_DEP_2) | instskip(NEXT) | instid1(VALU_DEP_2)
	v_cmp_eq_u32_e32 vcc_lo, 0, v94
	v_cndmask_b32_e32 v94, v100, v92, vcc_lo
; %bb.46:
	s_or_b32 exec_lo, exec_lo, s3
	s_load_b64 s[34:35], s[0:1], 0x94
	v_lshlrev_b32_e32 v92, 4, v83
	s_delay_alu instid0(VALU_DEP_2)
	v_perm_b32 v100, v94, v97, 0x7060302
	v_dual_mul_f32 v89, v90, v89 :: v_dual_lshlrev_b32 v94, 11, v74
	v_perm_b32 v97, v93, v91, 0x7060302
	v_mul_f32_e32 v93, v90, v77
	v_perm_b32 v99, v98, v99, 0x7060302
	v_perm_b32 v98, v96, v95, 0x7060302
	v_or3_b32 v77, v92, v94, v85
	v_mul_f32_e32 v88, v90, v88
	v_dual_mul_f32 v87, v90, v87 :: v_dual_and_b32 v94, 0x7f800000, v93
	v_mul_f32_e32 v86, v90, v86
	v_mul_f32_e32 v91, v90, v80
	v_mul_f32_e32 v92, v90, v79
	v_mul_f32_e32 v80, v90, v78
	s_mov_b32 s3, exec_lo
	ds_store_b128 v77, v[97:100]
                                        ; implicit-def: $vgpr78
	v_cmpx_ne_u32_e32 0x7f800000, v94
	s_xor_b32 s3, exec_lo, s3
; %bb.47:
	v_bfe_u32 v78, v93, 16, 1
	s_delay_alu instid0(VALU_DEP_1)
	v_add3_u32 v78, v93, v78, 0x7fff
                                        ; implicit-def: $vgpr93
; %bb.48:
	s_and_not1_saveexec_b32 s3, s3
; %bb.49:
	v_and_b32_e32 v78, 0xffff, v93
	v_or_b32_e32 v79, 0x10000, v93
	s_delay_alu instid0(VALU_DEP_2) | instskip(NEXT) | instid1(VALU_DEP_2)
	v_cmp_eq_u32_e32 vcc_lo, 0, v78
	v_cndmask_b32_e32 v78, v79, v93, vcc_lo
; %bb.50:
	s_or_b32 exec_lo, exec_lo, s3
	v_and_b32_e32 v79, 0x7f800000, v80
	s_delay_alu instid0(VALU_DEP_1) | instskip(SKIP_1) | instid1(SALU_CYCLE_1)
	v_cmp_ne_u32_e32 vcc_lo, 0x7f800000, v79
                                        ; implicit-def: $vgpr79
	s_and_saveexec_b32 s3, vcc_lo
	s_xor_b32 s3, exec_lo, s3
; %bb.51:
	v_bfe_u32 v79, v80, 16, 1
	s_delay_alu instid0(VALU_DEP_1)
	v_add3_u32 v79, v80, v79, 0x7fff
                                        ; implicit-def: $vgpr80
; %bb.52:
	s_and_not1_saveexec_b32 s3, s3
; %bb.53:
	v_and_b32_e32 v79, 0xffff, v80
	v_or_b32_e32 v90, 0x10000, v80
	s_delay_alu instid0(VALU_DEP_2) | instskip(NEXT) | instid1(VALU_DEP_2)
	v_cmp_eq_u32_e32 vcc_lo, 0, v79
	v_cndmask_b32_e32 v79, v90, v80, vcc_lo
; %bb.54:
	s_or_b32 exec_lo, exec_lo, s3
	v_and_b32_e32 v80, 0x7f800000, v92
	s_delay_alu instid0(VALU_DEP_1) | instskip(SKIP_1) | instid1(SALU_CYCLE_1)
	v_cmp_ne_u32_e32 vcc_lo, 0x7f800000, v80
                                        ; implicit-def: $vgpr80
	s_and_saveexec_b32 s3, vcc_lo
	s_xor_b32 s3, exec_lo, s3
; %bb.55:
	v_bfe_u32 v80, v92, 16, 1
	s_delay_alu instid0(VALU_DEP_1)
	v_add3_u32 v80, v92, v80, 0x7fff
                                        ; implicit-def: $vgpr92
; %bb.56:
	s_and_not1_saveexec_b32 s3, s3
; %bb.57:
	v_and_b32_e32 v80, 0xffff, v92
	v_or_b32_e32 v90, 0x10000, v92
	s_delay_alu instid0(VALU_DEP_2) | instskip(NEXT) | instid1(VALU_DEP_2)
	v_cmp_eq_u32_e32 vcc_lo, 0, v80
	v_cndmask_b32_e32 v80, v90, v92, vcc_lo
; %bb.58:
	s_or_b32 exec_lo, exec_lo, s3
	v_and_b32_e32 v90, 0x7f800000, v91
	s_delay_alu instid0(VALU_DEP_1) | instskip(SKIP_1) | instid1(SALU_CYCLE_1)
	v_cmp_ne_u32_e32 vcc_lo, 0x7f800000, v90
                                        ; implicit-def: $vgpr90
	s_and_saveexec_b32 s3, vcc_lo
	s_xor_b32 s3, exec_lo, s3
; %bb.59:
	v_bfe_u32 v90, v91, 16, 1
	s_delay_alu instid0(VALU_DEP_1)
	v_add3_u32 v90, v91, v90, 0x7fff
                                        ; implicit-def: $vgpr91
; %bb.60:
	s_and_not1_saveexec_b32 s3, s3
; %bb.61:
	v_and_b32_e32 v90, 0xffff, v91
	v_or_b32_e32 v92, 0x10000, v91
	s_delay_alu instid0(VALU_DEP_2) | instskip(NEXT) | instid1(VALU_DEP_2)
	v_cmp_eq_u32_e32 vcc_lo, 0, v90
	v_cndmask_b32_e32 v90, v92, v91, vcc_lo
; %bb.62:
	s_or_b32 exec_lo, exec_lo, s3
	v_and_b32_e32 v91, 0x7f800000, v86
	s_delay_alu instid0(VALU_DEP_1) | instskip(SKIP_1) | instid1(SALU_CYCLE_1)
	v_cmp_ne_u32_e32 vcc_lo, 0x7f800000, v91
                                        ; implicit-def: $vgpr91
	s_and_saveexec_b32 s3, vcc_lo
	s_xor_b32 s3, exec_lo, s3
; %bb.63:
	v_bfe_u32 v91, v86, 16, 1
	s_delay_alu instid0(VALU_DEP_1)
	v_add3_u32 v91, v86, v91, 0x7fff
                                        ; implicit-def: $vgpr86
; %bb.64:
	s_and_not1_saveexec_b32 s3, s3
; %bb.65:
	v_and_b32_e32 v91, 0xffff, v86
	v_or_b32_e32 v92, 0x10000, v86
	s_delay_alu instid0(VALU_DEP_2) | instskip(NEXT) | instid1(VALU_DEP_2)
	v_cmp_eq_u32_e32 vcc_lo, 0, v91
	v_cndmask_b32_e32 v91, v92, v86, vcc_lo
; %bb.66:
	s_or_b32 exec_lo, exec_lo, s3
	v_and_b32_e32 v86, 0x7f800000, v87
	s_delay_alu instid0(VALU_DEP_1) | instskip(SKIP_1) | instid1(SALU_CYCLE_1)
	v_cmp_ne_u32_e32 vcc_lo, 0x7f800000, v86
                                        ; implicit-def: $vgpr86
	s_and_saveexec_b32 s3, vcc_lo
	s_xor_b32 s3, exec_lo, s3
; %bb.67:
	v_bfe_u32 v86, v87, 16, 1
	s_delay_alu instid0(VALU_DEP_1)
	v_add3_u32 v86, v87, v86, 0x7fff
                                        ; implicit-def: $vgpr87
; %bb.68:
	s_and_not1_saveexec_b32 s3, s3
; %bb.69:
	v_and_b32_e32 v86, 0xffff, v87
	v_or_b32_e32 v92, 0x10000, v87
	s_delay_alu instid0(VALU_DEP_2) | instskip(NEXT) | instid1(VALU_DEP_2)
	v_cmp_eq_u32_e32 vcc_lo, 0, v86
	v_cndmask_b32_e32 v86, v92, v87, vcc_lo
; %bb.70:
	s_or_b32 exec_lo, exec_lo, s3
	v_and_b32_e32 v87, 0x7f800000, v88
	s_delay_alu instid0(VALU_DEP_1) | instskip(SKIP_1) | instid1(SALU_CYCLE_1)
	v_cmp_ne_u32_e32 vcc_lo, 0x7f800000, v87
                                        ; implicit-def: $vgpr87
	s_and_saveexec_b32 s3, vcc_lo
	s_xor_b32 s3, exec_lo, s3
; %bb.71:
	v_bfe_u32 v87, v88, 16, 1
	s_delay_alu instid0(VALU_DEP_1)
	v_add3_u32 v87, v88, v87, 0x7fff
                                        ; implicit-def: $vgpr88
; %bb.72:
	s_and_not1_saveexec_b32 s3, s3
; %bb.73:
	v_and_b32_e32 v87, 0xffff, v88
	v_or_b32_e32 v92, 0x10000, v88
	s_delay_alu instid0(VALU_DEP_2) | instskip(NEXT) | instid1(VALU_DEP_2)
	v_cmp_eq_u32_e32 vcc_lo, 0, v87
	v_cndmask_b32_e32 v87, v92, v88, vcc_lo
; %bb.74:
	s_or_b32 exec_lo, exec_lo, s3
	v_and_b32_e32 v88, 0x7f800000, v89
	s_delay_alu instid0(VALU_DEP_1) | instskip(SKIP_1) | instid1(SALU_CYCLE_1)
	v_cmp_ne_u32_e32 vcc_lo, 0x7f800000, v88
                                        ; implicit-def: $vgpr88
	s_and_saveexec_b32 s3, vcc_lo
	s_xor_b32 s3, exec_lo, s3
; %bb.75:
	v_bfe_u32 v88, v89, 16, 1
	s_delay_alu instid0(VALU_DEP_1)
	v_add3_u32 v88, v89, v88, 0x7fff
                                        ; implicit-def: $vgpr89
; %bb.76:
	s_and_not1_saveexec_b32 s3, s3
; %bb.77:
	v_and_b32_e32 v88, 0xffff, v89
	v_or_b32_e32 v92, 0x10000, v89
	s_delay_alu instid0(VALU_DEP_2) | instskip(NEXT) | instid1(VALU_DEP_2)
	v_cmp_eq_u32_e32 vcc_lo, 0, v88
	v_cndmask_b32_e32 v88, v92, v89, vcc_lo
; %bb.78:
	s_or_b32 exec_lo, exec_lo, s3
	s_delay_alu instid0(VALU_DEP_1)
	v_perm_b32 v89, v88, v87, 0x7060302
	v_perm_b32 v88, v86, v91, 0x7060302
	;; [unrolled: 1-line block ×4, first 2 shown]
	v_lshl_or_b32 v90, v74, 11, v85
	ds_store_b128 v77, v[86:89] offset:1024
	s_waitcnt lgkmcnt(0)
	s_barrier
	buffer_gl0_inv
	ds_load_b128 v[91:94], v90
	ds_load_b128 v[95:98], v90 offset:16
	v_lshlrev_b32_e32 v87, 2, v83
	s_delay_alu instid0(VALU_DEP_1)
	v_or_b32_e32 v88, 1, v87
	v_cmp_eq_u32_e32 vcc_lo, 1, v87
	v_cmp_eq_u32_e64 s4, 2, v87
	v_cmp_eq_u32_e64 s7, 3, v87
	;; [unrolled: 1-line block ×6, first 2 shown]
	v_or_b32_e32 v86, 2, v87
	v_cmp_eq_u32_e64 s10, 5, v87
	v_cmp_eq_u32_e64 s11, 4, v88
	;; [unrolled: 1-line block ×4, first 2 shown]
	s_waitcnt lgkmcnt(1)
	v_lshrrev_b32_e32 v74, 16, v91
	s_waitcnt lgkmcnt(0)
	v_lshrrev_b32_e32 v103, 16, v95
	v_lshrrev_b32_e32 v80, 16, v94
	;; [unrolled: 1-line block ×4, first 2 shown]
	v_cndmask_b32_e32 v89, v91, v74, vcc_lo
	v_cndmask_b32_e32 v99, v95, v103, vcc_lo
	v_cndmask_b32_e64 v100, v91, v74, s3
	v_lshrrev_b32_e32 v79, 16, v93
	v_lshrrev_b32_e32 v108, 16, v97
	v_cndmask_b32_e64 v89, v89, v92, s4
	v_cndmask_b32_e64 v99, v99, v96, s4
	;; [unrolled: 1-line block ×4, first 2 shown]
	v_cmp_eq_u32_e64 s5, 1, v86
	v_cndmask_b32_e64 v89, v89, v78, s7
	v_cndmask_b32_e64 v99, v99, v107, s7
	;; [unrolled: 1-line block ×4, first 2 shown]
	v_lshrrev_b32_e32 v109, 16, v98
	v_cndmask_b32_e64 v89, v89, v93, s9
	v_cndmask_b32_e64 v99, v99, v97, s9
	;; [unrolled: 1-line block ×8, first 2 shown]
	v_cmp_eq_u32_e64 s15, 7, v87
	v_cmp_eq_u32_e64 s16, 6, v88
	v_cndmask_b32_e64 v89, v89, v94, s12
	v_cndmask_b32_e64 v99, v99, v98, s12
	v_cmp_eq_u32_e64 s17, 2, v86
	v_cndmask_b32_e64 v101, v101, v97, s11
	v_cndmask_b32_e64 v100, v100, v94, s16
	;; [unrolled: 1-line block ×6, first 2 shown]
	v_cmp_eq_u32_e64 s18, 7, v88
	v_cmp_eq_u32_e64 s19, 3, v86
	;; [unrolled: 1-line block ×4, first 2 shown]
	v_cndmask_b32_e64 v99, v99, v96, s17
	v_cndmask_b32_e64 v112, v100, v80, s18
	;; [unrolled: 1-line block ×4, first 2 shown]
	v_or_b32_e32 v89, 3, v87
	v_cndmask_b32_e64 v105, v99, v107, s19
	v_cmp_eq_u32_e64 s24, 6, v86
	v_cndmask_b32_e64 v113, v100, v98, s16
	v_cndmask_b32_e64 v104, v101, v93, s20
	ds_load_b128 v[99:102], v90 offset:1024
	v_cmp_eq_u32_e64 s21, 1, v89
	v_cmp_eq_u32_e64 s23, 2, v89
	;; [unrolled: 1-line block ×3, first 2 shown]
	v_cndmask_b32_e64 v114, v104, v79, s22
	v_cmp_eq_u32_e64 s26, 4, v89
	v_cndmask_b32_e64 v74, v91, v74, s21
	v_cndmask_b32_e64 v91, v105, v97, s20
	;; [unrolled: 1-line block ×3, first 2 shown]
	ds_load_b128 v[103:106], v90 offset:1040
	v_cmp_eq_u32_e64 s28, 5, v89
	v_cndmask_b32_e64 v74, v74, v92, s23
	v_cndmask_b32_e64 v91, v91, v108, s22
	;; [unrolled: 1-line block ×3, first 2 shown]
	v_cmp_eq_u32_e64 s29, 6, v89
	v_cndmask_b32_e64 v95, v113, v109, s18
	v_cndmask_b32_e64 v74, v74, v78, s25
	;; [unrolled: 1-line block ×5, first 2 shown]
	s_waitcnt lgkmcnt(1)
	v_lshrrev_b32_e32 v96, 16, v99
	v_cndmask_b32_e64 v74, v74, v93, s26
	v_lshrrev_b32_e32 v107, 16, v100
	v_cndmask_b32_e64 v92, v92, v97, s26
	v_cmp_eq_u32_e64 s27, 7, v86
	v_cndmask_b32_e32 v93, v99, v96, vcc_lo
	v_cndmask_b32_e64 v74, v74, v79, s28
	s_delay_alu instid0(VALU_DEP_4)
	v_cndmask_b32_e64 v79, v92, v108, s28
	s_waitcnt lgkmcnt(0)
	v_lshrrev_b32_e32 v97, 16, v103
	v_cndmask_b32_e64 v92, v93, v100, s4
	v_cndmask_b32_e64 v93, v99, v96, s3
	;; [unrolled: 1-line block ×4, first 2 shown]
	v_cndmask_b32_e32 v108, v103, v97, vcc_lo
	v_cndmask_b32_e64 v92, v92, v107, s7
	v_cndmask_b32_e64 v93, v93, v100, s6
	v_lshrrev_b32_e32 v98, 16, v104
	v_cmp_eq_u32_e32 vcc_lo, 7, v89
	v_cndmask_b32_e64 v94, v108, v104, s4
	v_cndmask_b32_e64 v92, v92, v101, s9
	v_lshrrev_b32_e32 v108, 16, v101
	v_cndmask_b32_e64 v93, v93, v107, s8
	v_cndmask_b32_e32 v74, v74, v80, vcc_lo
	v_cndmask_b32_e64 v94, v94, v98, s7
	v_cndmask_b32_e32 v79, v79, v109, vcc_lo
	v_cndmask_b32_e64 v92, v92, v108, s10
	v_cndmask_b32_e64 v78, v78, v80, s27
	;; [unrolled: 1-line block ×4, first 2 shown]
	v_perm_b32 v94, v79, v74, 0x5040100
	v_cndmask_b32_e64 v79, v92, v102, s12
	v_perm_b32 v92, v95, v112, 0x5040100
	v_cndmask_b32_e64 v95, v99, v96, s5
	v_cndmask_b32_e64 v96, v99, v96, s21
	;; [unrolled: 1-line block ×16, first 2 shown]
	v_lshrrev_b32_e32 v109, 16, v105
	v_cndmask_b32_e64 v95, v95, v101, s20
	v_cndmask_b32_e64 v96, v96, v101, s26
	;; [unrolled: 1-line block ×6, first 2 shown]
	v_lshrrev_b32_e32 v80, 16, v102
	v_cndmask_b32_e64 v113, v93, v109, s10
	v_cndmask_b32_e64 v95, v95, v108, s22
	;; [unrolled: 1-line block ×6, first 2 shown]
	v_perm_b32 v93, v91, v78, 0x5040100
	v_cndmask_b32_e64 v74, v74, v102, s16
	v_cndmask_b32_e64 v78, v79, v80, s15
	;; [unrolled: 1-line block ×3, first 2 shown]
	v_lshrrev_b32_e32 v91, 16, v106
	v_cndmask_b32_e64 v95, v95, v102, s24
	v_cndmask_b32_e64 v96, v96, v102, s29
	;; [unrolled: 1-line block ×7, first 2 shown]
	v_cndmask_b32_e32 v80, v96, v80, vcc_lo
	v_cndmask_b32_e32 v96, v98, v91, vcc_lo
	v_cndmask_b32_e64 v99, v99, v91, s27
	v_cndmask_b32_e64 v100, v97, v91, s18
	;; [unrolled: 1-line block ×3, first 2 shown]
	v_perm_b32 v91, v111, v110, 0x5040100
	v_perm_b32 v98, v96, v80, 0x5040100
	;; [unrolled: 1-line block ×5, first 2 shown]
	s_mul_i32 s8, s35, 7
	s_mov_b32 s3, exec_lo
	ds_store_b128 v77, v[91:94]
	ds_store_b128 v77, v[95:98] offset:1024
	v_cmpx_gt_u32_e32 7, v0
	s_cbranch_execz .LBB756_80
; %bb.79:
	s_mul_i32 s4, s8, s30
	s_delay_alu instid0(SALU_CYCLE_1) | instskip(SKIP_1) | instid1(VALU_DEP_1)
	v_add3_u32 v77, s4, s31, v73
	s_load_b128 s[4:7], s[0:1], 0x58
	v_mad_u64_u32 v[73:74], null, v77, s34, s[14:15]
	s_delay_alu instid0(VALU_DEP_1) | instskip(NEXT) | instid1(VALU_DEP_1)
	v_ashrrev_i32_e32 v74, 31, v73
	v_lshlrev_b64 v[73:74], 2, v[73:74]
	s_waitcnt lgkmcnt(0)
	s_delay_alu instid0(VALU_DEP_1) | instskip(NEXT) | instid1(VALU_DEP_2)
	v_add_co_u32 v77, vcc_lo, s6, v73
	v_add_co_ci_u32_e32 v78, vcc_lo, s7, v74, vcc_lo
	v_add_co_u32 v73, vcc_lo, s4, v73
	v_add_co_ci_u32_e32 v74, vcc_lo, s5, v74, vcc_lo
	global_store_b32 v[77:78], v75, off
	global_store_b32 v[73:74], v76, off
.LBB756_80:
	s_or_b32 exec_lo, exec_lo, s3
	s_waitcnt lgkmcnt(0)
	s_waitcnt_vscnt null, 0x0
	s_barrier
	buffer_gl0_inv
	ds_load_b128 v[91:94], v85
	ds_load_b128 v[95:98], v85 offset:16
	ds_load_b128 v[103:106], v85 offset:1040
	ds_load_b128 v[99:102], v85 offset:1024
	v_mov_b32_e32 v73, 0
	ds_load_b128 v[111:114], v85 offset:2064
	ds_load_b128 v[107:110], v85 offset:2048
	;; [unrolled: 1-line block ×6, first 2 shown]
	v_mov_b32_e32 v74, v73
	v_mov_b32_e32 v75, v73
	;; [unrolled: 1-line block ×7, first 2 shown]
	s_waitcnt lgkmcnt(8)
	s_delay_alu instid0(VALU_DEP_1)
	v_wmma_f32_16x16x16_bf16 v[73:80], v[65:72], v[91:98], v[73:80]
	ds_load_b128 v[69:72], v85 offset:5136
	ds_load_b128 v[65:68], v85 offset:5120
	;; [unrolled: 1-line block ×4, first 2 shown]
	s_waitcnt lgkmcnt(10)
	v_wmma_f32_16x16x16_bf16 v[73:80], v[57:64], v[99:106], v[73:80]
	s_waitcnt lgkmcnt(8)
	s_delay_alu instid0(VALU_DEP_1)
	v_wmma_f32_16x16x16_bf16 v[73:80], v[57:64], v[107:114], v[73:80]
	ds_load_b128 v[61:64], v85 offset:7184
	ds_load_b128 v[57:60], v85 offset:7168
	;; [unrolled: 1-line block ×4, first 2 shown]
	s_waitcnt lgkmcnt(10)
	v_wmma_f32_16x16x16_bf16 v[73:80], v[49:56], v[115:122], v[73:80]
	s_waitcnt lgkmcnt(8)
	s_delay_alu instid0(VALU_DEP_1)
	v_wmma_f32_16x16x16_bf16 v[73:80], v[49:56], v[123:130], v[73:80]
	ds_load_b128 v[53:56], v85 offset:9232
	ds_load_b128 v[49:52], v85 offset:9216
	s_waitcnt lgkmcnt(8)
	v_wmma_f32_16x16x16_bf16 v[73:80], v[41:48], v[65:72], v[73:80]
	ds_load_b128 v[69:72], v85 offset:10256
	ds_load_b128 v[65:68], v85 offset:10240
	s_waitcnt lgkmcnt(8)
	;; [unrolled: 4-line block ×3, first 2 shown]
	v_wmma_f32_16x16x16_bf16 v[73:80], v[9:16], v[57:64], v[73:80]
	s_waitcnt lgkmcnt(6)
	s_delay_alu instid0(VALU_DEP_1)
	v_wmma_f32_16x16x16_bf16 v[73:80], v[9:16], v[99:106], v[73:80]
	ds_load_b128 v[13:16], v85 offset:12304
	ds_load_b128 v[9:12], v85 offset:12288
	s_waitcnt lgkmcnt(6)
	v_wmma_f32_16x16x16_bf16 v[73:80], v[1:8], v[49:56], v[73:80]
	ds_load_b128 v[53:56], v85 offset:13328
	ds_load_b128 v[49:52], v85 offset:13312
	s_waitcnt lgkmcnt(6)
	;; [unrolled: 4-line block ×4, first 2 shown]
	v_wmma_f32_16x16x16_bf16 v[73:80], v[33:40], v[9:16], v[73:80]
	s_waitcnt lgkmcnt(4)
	s_delay_alu instid0(VALU_DEP_1) | instskip(SKIP_1) | instid1(VALU_DEP_1)
	v_wmma_f32_16x16x16_bf16 v[73:80], v[25:32], v[49:56], v[73:80]
	s_waitcnt lgkmcnt(2)
	v_wmma_f32_16x16x16_bf16 v[73:80], v[25:32], v[1:8], v[73:80]
	s_waitcnt lgkmcnt(0)
	s_delay_alu instid0(VALU_DEP_1) | instskip(NEXT) | instid1(VALU_DEP_1)
	v_wmma_f32_16x16x16_bf16 v[73:80], v[17:24], v[41:48], v[73:80]
	v_and_b32_e32 v1, 0x7f800000, v73
	s_delay_alu instid0(VALU_DEP_1) | instskip(SKIP_1) | instid1(SALU_CYCLE_1)
	v_cmp_ne_u32_e32 vcc_lo, 0x7f800000, v1
                                        ; implicit-def: $vgpr1
	s_and_saveexec_b32 s3, vcc_lo
	s_xor_b32 s3, exec_lo, s3
; %bb.81:
	v_bfe_u32 v1, v73, 16, 1
	s_delay_alu instid0(VALU_DEP_1)
	v_add3_u32 v1, v73, v1, 0x7fff
; %bb.82:
	s_and_not1_saveexec_b32 s3, s3
; %bb.83:
	v_and_b32_e32 v1, 0xffff, v73
	v_or_b32_e32 v2, 0x10000, v73
	s_delay_alu instid0(VALU_DEP_2) | instskip(NEXT) | instid1(VALU_DEP_2)
	v_cmp_eq_u32_e32 vcc_lo, 0, v1
	v_cndmask_b32_e32 v1, v2, v73, vcc_lo
; %bb.84:
	s_or_b32 exec_lo, exec_lo, s3
	v_and_b32_e32 v2, 0x7f800000, v74
	s_delay_alu instid0(VALU_DEP_1) | instskip(SKIP_1) | instid1(SALU_CYCLE_1)
	v_cmp_ne_u32_e32 vcc_lo, 0x7f800000, v2
                                        ; implicit-def: $vgpr2
	s_and_saveexec_b32 s3, vcc_lo
	s_xor_b32 s3, exec_lo, s3
; %bb.85:
	v_bfe_u32 v2, v74, 16, 1
	s_delay_alu instid0(VALU_DEP_1)
	v_add3_u32 v2, v74, v2, 0x7fff
; %bb.86:
	s_and_not1_saveexec_b32 s3, s3
; %bb.87:
	v_and_b32_e32 v2, 0xffff, v74
	v_or_b32_e32 v3, 0x10000, v74
	s_delay_alu instid0(VALU_DEP_2) | instskip(NEXT) | instid1(VALU_DEP_2)
	v_cmp_eq_u32_e32 vcc_lo, 0, v2
	v_cndmask_b32_e32 v2, v3, v74, vcc_lo
; %bb.88:
	s_or_b32 exec_lo, exec_lo, s3
	v_and_b32_e32 v3, 0x7f800000, v75
	s_delay_alu instid0(VALU_DEP_1) | instskip(SKIP_1) | instid1(SALU_CYCLE_1)
	v_cmp_ne_u32_e32 vcc_lo, 0x7f800000, v3
                                        ; implicit-def: $vgpr3
	s_and_saveexec_b32 s3, vcc_lo
	s_xor_b32 s3, exec_lo, s3
; %bb.89:
	v_bfe_u32 v3, v75, 16, 1
	s_delay_alu instid0(VALU_DEP_1)
	v_add3_u32 v3, v75, v3, 0x7fff
; %bb.90:
	s_and_not1_saveexec_b32 s3, s3
; %bb.91:
	v_and_b32_e32 v3, 0xffff, v75
	v_or_b32_e32 v4, 0x10000, v75
	s_delay_alu instid0(VALU_DEP_2) | instskip(NEXT) | instid1(VALU_DEP_2)
	v_cmp_eq_u32_e32 vcc_lo, 0, v3
	v_cndmask_b32_e32 v3, v4, v75, vcc_lo
; %bb.92:
	s_or_b32 exec_lo, exec_lo, s3
	v_and_b32_e32 v4, 0x7f800000, v76
	s_delay_alu instid0(VALU_DEP_1) | instskip(SKIP_1) | instid1(SALU_CYCLE_1)
	v_cmp_ne_u32_e32 vcc_lo, 0x7f800000, v4
                                        ; implicit-def: $vgpr4
	s_and_saveexec_b32 s3, vcc_lo
	s_xor_b32 s3, exec_lo, s3
; %bb.93:
	v_bfe_u32 v4, v76, 16, 1
	s_delay_alu instid0(VALU_DEP_1)
	v_add3_u32 v4, v76, v4, 0x7fff
; %bb.94:
	s_and_not1_saveexec_b32 s3, s3
; %bb.95:
	v_and_b32_e32 v4, 0xffff, v76
	v_or_b32_e32 v5, 0x10000, v76
	s_delay_alu instid0(VALU_DEP_2) | instskip(NEXT) | instid1(VALU_DEP_2)
	v_cmp_eq_u32_e32 vcc_lo, 0, v4
	v_cndmask_b32_e32 v4, v5, v76, vcc_lo
; %bb.96:
	s_or_b32 exec_lo, exec_lo, s3
	v_and_b32_e32 v5, 0x7f800000, v77
	s_delay_alu instid0(VALU_DEP_1) | instskip(SKIP_1) | instid1(SALU_CYCLE_1)
	v_cmp_ne_u32_e32 vcc_lo, 0x7f800000, v5
                                        ; implicit-def: $vgpr5
	s_and_saveexec_b32 s3, vcc_lo
	s_xor_b32 s3, exec_lo, s3
; %bb.97:
	v_bfe_u32 v5, v77, 16, 1
	s_delay_alu instid0(VALU_DEP_1)
	v_add3_u32 v5, v77, v5, 0x7fff
; %bb.98:
	s_and_not1_saveexec_b32 s3, s3
; %bb.99:
	v_and_b32_e32 v5, 0xffff, v77
	v_or_b32_e32 v6, 0x10000, v77
	s_delay_alu instid0(VALU_DEP_2) | instskip(NEXT) | instid1(VALU_DEP_2)
	v_cmp_eq_u32_e32 vcc_lo, 0, v5
	v_cndmask_b32_e32 v5, v6, v77, vcc_lo
; %bb.100:
	s_or_b32 exec_lo, exec_lo, s3
	v_and_b32_e32 v6, 0x7f800000, v78
	s_delay_alu instid0(VALU_DEP_1) | instskip(SKIP_1) | instid1(SALU_CYCLE_1)
	v_cmp_ne_u32_e32 vcc_lo, 0x7f800000, v6
                                        ; implicit-def: $vgpr6
	s_and_saveexec_b32 s3, vcc_lo
	s_xor_b32 s3, exec_lo, s3
; %bb.101:
	v_bfe_u32 v6, v78, 16, 1
	s_delay_alu instid0(VALU_DEP_1)
	v_add3_u32 v6, v78, v6, 0x7fff
; %bb.102:
	s_and_not1_saveexec_b32 s3, s3
; %bb.103:
	v_and_b32_e32 v6, 0xffff, v78
	v_or_b32_e32 v7, 0x10000, v78
	s_delay_alu instid0(VALU_DEP_2) | instskip(NEXT) | instid1(VALU_DEP_2)
	v_cmp_eq_u32_e32 vcc_lo, 0, v6
	v_cndmask_b32_e32 v6, v7, v78, vcc_lo
; %bb.104:
	s_or_b32 exec_lo, exec_lo, s3
	v_and_b32_e32 v7, 0x7f800000, v79
	s_delay_alu instid0(VALU_DEP_1) | instskip(SKIP_1) | instid1(SALU_CYCLE_1)
	v_cmp_ne_u32_e32 vcc_lo, 0x7f800000, v7
                                        ; implicit-def: $vgpr7
	s_and_saveexec_b32 s3, vcc_lo
	s_xor_b32 s3, exec_lo, s3
; %bb.105:
	v_bfe_u32 v7, v79, 16, 1
	s_delay_alu instid0(VALU_DEP_1)
	v_add3_u32 v7, v79, v7, 0x7fff
; %bb.106:
	s_and_not1_saveexec_b32 s3, s3
; %bb.107:
	v_and_b32_e32 v7, 0xffff, v79
	v_or_b32_e32 v8, 0x10000, v79
	s_delay_alu instid0(VALU_DEP_2) | instskip(NEXT) | instid1(VALU_DEP_2)
	v_cmp_eq_u32_e32 vcc_lo, 0, v7
	v_cndmask_b32_e32 v7, v8, v79, vcc_lo
; %bb.108:
	s_or_b32 exec_lo, exec_lo, s3
	v_and_b32_e32 v8, 0x7f800000, v80
	s_delay_alu instid0(VALU_DEP_1) | instskip(SKIP_1) | instid1(SALU_CYCLE_1)
	v_cmp_ne_u32_e32 vcc_lo, 0x7f800000, v8
                                        ; implicit-def: $vgpr8
	s_and_saveexec_b32 s3, vcc_lo
	s_xor_b32 s3, exec_lo, s3
; %bb.109:
	v_bfe_u32 v8, v80, 16, 1
	s_delay_alu instid0(VALU_DEP_1)
	v_add3_u32 v8, v80, v8, 0x7fff
                                        ; implicit-def: $vgpr73_vgpr74_vgpr75_vgpr76_vgpr77_vgpr78_vgpr79_vgpr80
; %bb.110:
	s_and_not1_saveexec_b32 s3, s3
; %bb.111:
	v_and_b32_e32 v8, 0xffff, v80
	v_or_b32_e32 v9, 0x10000, v80
	s_delay_alu instid0(VALU_DEP_2) | instskip(NEXT) | instid1(VALU_DEP_2)
	v_cmp_eq_u32_e32 vcc_lo, 0, v8
	v_cndmask_b32_e32 v8, v9, v80, vcc_lo
; %bb.112:
	s_or_b32 exec_lo, exec_lo, s3
	s_delay_alu instid0(VALU_DEP_1)
	v_perm_b32 v7, v8, v7, 0x7060302
	v_perm_b32 v6, v6, v5, 0x7060302
	;; [unrolled: 1-line block ×4, first 2 shown]
	v_lshl_or_b32 v9, v83, 4, v90
	s_barrier
	buffer_gl0_inv
	v_cmp_eq_u32_e32 vcc_lo, 1, v87
	ds_store_b128 v9, v[4:7]
	s_waitcnt lgkmcnt(0)
	s_barrier
	buffer_gl0_inv
	ds_load_b128 v[1:4], v90
	ds_load_b128 v[5:8], v90 offset:16
	v_cmp_eq_u32_e64 s4, 2, v87
	v_cmp_eq_u32_e64 s3, 1, v88
	;; [unrolled: 1-line block ×5, first 2 shown]
	s_waitcnt lgkmcnt(1)
	v_lshrrev_b32_e32 v10, 16, v1
	s_waitcnt lgkmcnt(0)
	v_lshrrev_b32_e32 v14, 16, v5
	v_lshrrev_b32_e32 v15, 16, v6
	;; [unrolled: 1-line block ×4, first 2 shown]
	v_cndmask_b32_e64 v20, v1, v10, s3
	v_cndmask_b32_e32 v19, v5, v14, vcc_lo
	v_cndmask_b32_e64 v21, v5, v14, s3
	v_lshrrev_b32_e32 v16, 16, v7
	v_cmp_eq_u32_e64 s3, 1, v86
	v_lshrrev_b32_e32 v13, 16, v4
	v_cndmask_b32_e64 v19, v19, v6, s4
	v_lshrrev_b32_e32 v17, 16, v8
	s_delay_alu instid0(VALU_DEP_4) | instskip(SKIP_1) | instid1(VALU_DEP_4)
	v_cndmask_b32_e64 v22, v1, v10, s3
	v_cndmask_b32_e64 v23, v5, v14, s3
	;; [unrolled: 1-line block ×3, first 2 shown]
	v_cndmask_b32_e32 v18, v1, v10, vcc_lo
	v_cmp_eq_u32_e32 vcc_lo, 2, v88
	v_cmp_eq_u32_e64 s3, 2, v89
	v_cndmask_b32_e64 v22, v22, v2, s7
	v_cndmask_b32_e32 v20, v20, v2, vcc_lo
	v_cndmask_b32_e32 v21, v21, v6, vcc_lo
	v_cmp_eq_u32_e32 vcc_lo, 4, v87
	v_cndmask_b32_e32 v19, v19, v7, vcc_lo
	v_cndmask_b32_e64 v18, v18, v2, s4
	v_cmp_eq_u32_e64 s4, 3, v88
	s_delay_alu instid0(VALU_DEP_2) | instskip(NEXT) | instid1(VALU_DEP_2)
	v_cndmask_b32_e64 v18, v18, v11, s5
	v_cndmask_b32_e64 v21, v21, v15, s4
	v_cmp_eq_u32_e64 s5, 5, v87
	s_delay_alu instid0(VALU_DEP_3) | instskip(SKIP_1) | instid1(VALU_DEP_3)
	v_cndmask_b32_e32 v18, v18, v3, vcc_lo
	v_cmp_eq_u32_e32 vcc_lo, 4, v88
	v_cndmask_b32_e64 v19, v19, v16, s5
	s_delay_alu instid0(VALU_DEP_3) | instskip(SKIP_4) | instid1(VALU_DEP_3)
	v_cndmask_b32_e64 v18, v18, v12, s5
	v_cndmask_b32_e32 v21, v21, v7, vcc_lo
	v_cndmask_b32_e64 v20, v20, v11, s4
	v_cmp_eq_u32_e64 s4, 5, v88
	v_cmp_eq_u32_e64 s5, 6, v87
	v_cndmask_b32_e32 v20, v20, v3, vcc_lo
	s_delay_alu instid0(VALU_DEP_3) | instskip(SKIP_1) | instid1(VALU_DEP_4)
	v_cndmask_b32_e64 v21, v21, v16, s4
	v_cmp_eq_u32_e32 vcc_lo, 6, v88
	v_cndmask_b32_e64 v18, v18, v4, s5
	v_cndmask_b32_e64 v19, v19, v8, s5
	;; [unrolled: 1-line block ×3, first 2 shown]
	v_cmp_eq_u32_e64 s4, 1, v89
	v_cmp_eq_u32_e64 s5, 7, v87
	s_delay_alu instid0(VALU_DEP_3) | instskip(NEXT) | instid1(VALU_DEP_3)
	v_cndmask_b32_e32 v20, v20, v4, vcc_lo
	v_cndmask_b32_e64 v1, v1, v10, s4
	v_cndmask_b32_e64 v5, v5, v14, s4
	v_cmp_eq_u32_e64 s4, 3, v86
	v_cndmask_b32_e64 v14, v23, v6, s7
	v_cmp_eq_u32_e64 s7, 3, v89
	v_cndmask_b32_e64 v1, v1, v2, s3
	v_cndmask_b32_e64 v2, v5, v6, s3
	;; [unrolled: 1-line block ×3, first 2 shown]
	v_cmp_eq_u32_e64 s3, 4, v86
	v_cndmask_b32_e64 v6, v14, v15, s4
	v_cndmask_b32_e64 v1, v1, v11, s7
	v_cmp_eq_u32_e64 s4, 4, v89
	v_cndmask_b32_e64 v2, v2, v15, s7
	v_cndmask_b32_e64 v5, v10, v3, s3
	;; [unrolled: 3-line block ×3, first 2 shown]
	v_cndmask_b32_e64 v2, v2, v7, s4
	v_cmp_eq_u32_e64 s3, 5, v89
	v_cndmask_b32_e64 v5, v5, v12, s7
	v_cmp_eq_u32_e64 s4, 6, v86
	;; [unrolled: 2-line block ×3, first 2 shown]
	v_cndmask_b32_e64 v1, v1, v12, s3
	v_cndmask_b32_e64 v2, v2, v16, s3
	v_cndmask_b32_e64 v5, v5, v4, s4
	v_cndmask_b32_e64 v3, v3, v8, s4
	v_cmp_eq_u32_e64 s3, 7, v89
	v_cndmask_b32_e64 v1, v1, v4, s7
	v_cndmask_b32_e64 v2, v2, v8, s7
	v_cmp_eq_u32_e64 s4, 7, v86
	v_cndmask_b32_e32 v4, v21, v8, vcc_lo
	v_cndmask_b32_e64 v18, v18, v13, s5
	v_cndmask_b32_e64 v20, v20, v13, s6
	;; [unrolled: 1-line block ×8, first 2 shown]
	s_mov_b32 s3, exec_lo
	v_perm_b32 v4, v2, v1, 0x5040100
	v_perm_b32 v3, v3, v5, 0x5040100
	;; [unrolled: 1-line block ×4, first 2 shown]
	ds_store_b128 v9, v[1:4]
	s_waitcnt lgkmcnt(0)
	s_barrier
	buffer_gl0_inv
	v_cmpx_gt_u32_e32 32, v0
	s_cbranch_execz .LBB756_2
; %bb.113:
	s_load_b64 s[4:5], s[0:1], 0x68
	v_lshlrev_b32_e32 v0, 10, v0
	v_add_nc_u32_e32 v2, s31, v83
	v_lshlrev_b32_e32 v3, 4, v84
	s_lshl_b32 s0, s34, 7
	s_delay_alu instid0(SALU_CYCLE_1) | instskip(NEXT) | instid1(VALU_DEP_2)
	s_mul_i32 s1, s0, s30
	v_mul_lo_u32 v1, v2, s0
	s_delay_alu instid0(VALU_DEP_2)
	v_and_or_b32 v0, 0x3800, v0, v3
	v_add_nc_u32_e32 v3, 2, v2
	s_mul_i32 s6, s1, s8
	v_add_nc_u32_e32 v4, 4, v2
	s_ashr_i32 s7, s6, 31
	v_lshl_or_b32 v11, v83, 6, v0
	s_lshl_b64 s[6:7], s[6:7], 1
	v_mul_lo_u32 v15, v3, s0
	v_mul_lo_u32 v17, v4, s0
	v_ashrrev_i32_e32 v2, 31, v1
	ds_load_b128 v[3:6], v11
	ds_load_b128 v[7:10], v11 offset:128
	ds_load_b128 v[11:14], v11 offset:256
	s_waitcnt lgkmcnt(0)
	s_add_u32 s1, s4, s6
	s_addc_u32 s3, s5, s7
	s_lshl_b32 s4, s14, 7
	v_ashrrev_i32_e32 v16, 31, v15
	s_ashr_i32 s5, s4, 31
	v_lshlrev_b64 v[19:20], 1, v[1:2]
	s_lshl_b64 s[4:5], s[4:5], 1
	v_ashrrev_i32_e32 v18, 31, v17
	s_add_u32 s1, s1, s4
	s_addc_u32 s3, s3, s5
	v_add_co_u32 v1, vcc_lo, s1, v81
	v_add_co_ci_u32_e32 v2, vcc_lo, s3, v82, vcc_lo
	v_lshlrev_b64 v[15:16], 1, v[15:16]
	s_delay_alu instid0(VALU_DEP_3) | instskip(SKIP_1) | instid1(VALU_DEP_4)
	v_add_co_u32 v19, vcc_lo, v1, v19
	v_lshlrev_b64 v[17:18], 1, v[17:18]
	v_add_co_ci_u32_e32 v20, vcc_lo, v2, v20, vcc_lo
	s_delay_alu instid0(VALU_DEP_4) | instskip(SKIP_1) | instid1(VALU_DEP_4)
	v_add_co_u32 v15, vcc_lo, v1, v15
	v_add_co_ci_u32_e32 v16, vcc_lo, v2, v16, vcc_lo
	v_add_co_u32 v17, vcc_lo, v1, v17
	v_add_co_ci_u32_e32 v18, vcc_lo, v2, v18, vcc_lo
	s_clause 0x2
	global_store_b128 v[19:20], v[3:6], off
	global_store_b128 v[15:16], v[7:10], off
	;; [unrolled: 1-line block ×3, first 2 shown]
	s_and_b32 exec_lo, exec_lo, s2
	s_cbranch_execz .LBB756_2
; %bb.114:
	ds_load_b128 v[3:6], v0 offset:384
	s_add_i32 s1, s31, 6
	s_delay_alu instid0(SALU_CYCLE_1) | instskip(NEXT) | instid1(SALU_CYCLE_1)
	s_mul_i32 s0, s1, s0
	s_ashr_i32 s1, s0, 31
	s_delay_alu instid0(SALU_CYCLE_1) | instskip(NEXT) | instid1(SALU_CYCLE_1)
	s_lshl_b64 s[0:1], s[0:1], 1
	v_add_co_u32 v0, vcc_lo, v1, s0
	v_add_co_ci_u32_e32 v1, vcc_lo, s1, v2, vcc_lo
	s_waitcnt lgkmcnt(0)
	global_store_b128 v[0:1], v[3:6], off
	s_nop 0
	s_sendmsg sendmsg(MSG_DEALLOC_VGPRS)
	s_endpgm
	.section	.rodata,"a",@progbits
	.p2align	6, 0x0
	.amdhsa_kernel _Z39paged_attention_ll4mi_QKV_mfma16_kernelI14__hip_bfloat16S0_LN4vllm18Fp8KVCacheDataTypeE0ES0_Li32ELi128ELi256ELb0ELi7EL8MFMAType0EEvPKT_PKT0_S9_ifPKiSB_SB_iPKfiiiPfSE_PS4_PT2_iSD_SD_
		.amdhsa_group_segment_fixed_size 17472
		.amdhsa_private_segment_fixed_size 0
		.amdhsa_kernarg_size 400
		.amdhsa_user_sgpr_count 13
		.amdhsa_user_sgpr_dispatch_ptr 0
		.amdhsa_user_sgpr_queue_ptr 0
		.amdhsa_user_sgpr_kernarg_segment_ptr 1
		.amdhsa_user_sgpr_dispatch_id 0
		.amdhsa_user_sgpr_private_segment_size 0
		.amdhsa_wavefront_size32 1
		.amdhsa_uses_dynamic_stack 0
		.amdhsa_enable_private_segment 0
		.amdhsa_system_sgpr_workgroup_id_x 1
		.amdhsa_system_sgpr_workgroup_id_y 1
		.amdhsa_system_sgpr_workgroup_id_z 1
		.amdhsa_system_sgpr_workgroup_info 0
		.amdhsa_system_vgpr_workitem_id 0
		.amdhsa_next_free_vgpr 157
		.amdhsa_next_free_sgpr 37
		.amdhsa_reserve_vcc 1
		.amdhsa_float_round_mode_32 0
		.amdhsa_float_round_mode_16_64 0
		.amdhsa_float_denorm_mode_32 3
		.amdhsa_float_denorm_mode_16_64 3
		.amdhsa_dx10_clamp 1
		.amdhsa_ieee_mode 1
		.amdhsa_fp16_overflow 0
		.amdhsa_workgroup_processor_mode 1
		.amdhsa_memory_ordered 1
		.amdhsa_forward_progress 0
		.amdhsa_shared_vgpr_count 0
		.amdhsa_exception_fp_ieee_invalid_op 0
		.amdhsa_exception_fp_denorm_src 0
		.amdhsa_exception_fp_ieee_div_zero 0
		.amdhsa_exception_fp_ieee_overflow 0
		.amdhsa_exception_fp_ieee_underflow 0
		.amdhsa_exception_fp_ieee_inexact 0
		.amdhsa_exception_int_div_zero 0
	.end_amdhsa_kernel
	.section	.text._Z39paged_attention_ll4mi_QKV_mfma16_kernelI14__hip_bfloat16S0_LN4vllm18Fp8KVCacheDataTypeE0ES0_Li32ELi128ELi256ELb0ELi7EL8MFMAType0EEvPKT_PKT0_S9_ifPKiSB_SB_iPKfiiiPfSE_PS4_PT2_iSD_SD_,"axG",@progbits,_Z39paged_attention_ll4mi_QKV_mfma16_kernelI14__hip_bfloat16S0_LN4vllm18Fp8KVCacheDataTypeE0ES0_Li32ELi128ELi256ELb0ELi7EL8MFMAType0EEvPKT_PKT0_S9_ifPKiSB_SB_iPKfiiiPfSE_PS4_PT2_iSD_SD_,comdat
.Lfunc_end756:
	.size	_Z39paged_attention_ll4mi_QKV_mfma16_kernelI14__hip_bfloat16S0_LN4vllm18Fp8KVCacheDataTypeE0ES0_Li32ELi128ELi256ELb0ELi7EL8MFMAType0EEvPKT_PKT0_S9_ifPKiSB_SB_iPKfiiiPfSE_PS4_PT2_iSD_SD_, .Lfunc_end756-_Z39paged_attention_ll4mi_QKV_mfma16_kernelI14__hip_bfloat16S0_LN4vllm18Fp8KVCacheDataTypeE0ES0_Li32ELi128ELi256ELb0ELi7EL8MFMAType0EEvPKT_PKT0_S9_ifPKiSB_SB_iPKfiiiPfSE_PS4_PT2_iSD_SD_
                                        ; -- End function
	.section	.AMDGPU.csdata,"",@progbits
; Kernel info:
; codeLenInByte = 9768
; NumSgprs: 39
; NumVgprs: 157
; ScratchSize: 0
; MemoryBound: 0
; FloatMode: 240
; IeeeMode: 1
; LDSByteSize: 17472 bytes/workgroup (compile time only)
; SGPRBlocks: 4
; VGPRBlocks: 19
; NumSGPRsForWavesPerEU: 39
; NumVGPRsForWavesPerEU: 157
; Occupancy: 9
; WaveLimiterHint : 1
; COMPUTE_PGM_RSRC2:SCRATCH_EN: 0
; COMPUTE_PGM_RSRC2:USER_SGPR: 13
; COMPUTE_PGM_RSRC2:TRAP_HANDLER: 0
; COMPUTE_PGM_RSRC2:TGID_X_EN: 1
; COMPUTE_PGM_RSRC2:TGID_Y_EN: 1
; COMPUTE_PGM_RSRC2:TGID_Z_EN: 1
; COMPUTE_PGM_RSRC2:TIDIG_COMP_CNT: 0
	.section	.text._Z39paged_attention_ll4mi_QKV_mfma16_kernelI14__hip_bfloat16S0_LN4vllm18Fp8KVCacheDataTypeE0ES0_Li32ELi128ELi256ELb0ELi8EL8MFMAType0EEvPKT_PKT0_S9_ifPKiSB_SB_iPKfiiiPfSE_PS4_PT2_iSD_SD_,"axG",@progbits,_Z39paged_attention_ll4mi_QKV_mfma16_kernelI14__hip_bfloat16S0_LN4vllm18Fp8KVCacheDataTypeE0ES0_Li32ELi128ELi256ELb0ELi8EL8MFMAType0EEvPKT_PKT0_S9_ifPKiSB_SB_iPKfiiiPfSE_PS4_PT2_iSD_SD_,comdat
	.protected	_Z39paged_attention_ll4mi_QKV_mfma16_kernelI14__hip_bfloat16S0_LN4vllm18Fp8KVCacheDataTypeE0ES0_Li32ELi128ELi256ELb0ELi8EL8MFMAType0EEvPKT_PKT0_S9_ifPKiSB_SB_iPKfiiiPfSE_PS4_PT2_iSD_SD_ ; -- Begin function _Z39paged_attention_ll4mi_QKV_mfma16_kernelI14__hip_bfloat16S0_LN4vllm18Fp8KVCacheDataTypeE0ES0_Li32ELi128ELi256ELb0ELi8EL8MFMAType0EEvPKT_PKT0_S9_ifPKiSB_SB_iPKfiiiPfSE_PS4_PT2_iSD_SD_
	.globl	_Z39paged_attention_ll4mi_QKV_mfma16_kernelI14__hip_bfloat16S0_LN4vllm18Fp8KVCacheDataTypeE0ES0_Li32ELi128ELi256ELb0ELi8EL8MFMAType0EEvPKT_PKT0_S9_ifPKiSB_SB_iPKfiiiPfSE_PS4_PT2_iSD_SD_
	.p2align	8
	.type	_Z39paged_attention_ll4mi_QKV_mfma16_kernelI14__hip_bfloat16S0_LN4vllm18Fp8KVCacheDataTypeE0ES0_Li32ELi128ELi256ELb0ELi8EL8MFMAType0EEvPKT_PKT0_S9_ifPKiSB_SB_iPKfiiiPfSE_PS4_PT2_iSD_SD_,@function
_Z39paged_attention_ll4mi_QKV_mfma16_kernelI14__hip_bfloat16S0_LN4vllm18Fp8KVCacheDataTypeE0ES0_Li32ELi128ELi256ELb0ELi8EL8MFMAType0EEvPKT_PKT0_S9_ifPKiSB_SB_iPKfiiiPfSE_PS4_PT2_iSD_SD_: ; @_Z39paged_attention_ll4mi_QKV_mfma16_kernelI14__hip_bfloat16S0_LN4vllm18Fp8KVCacheDataTypeE0ES0_Li32ELi128ELi256ELb0ELi8EL8MFMAType0EEvPKT_PKT0_S9_ifPKiSB_SB_iPKfiiiPfSE_PS4_PT2_iSD_SD_
; %bb.0:
	s_load_b64 s[2:3], s[0:1], 0x30
	s_mov_b32 s30, s13
	s_waitcnt lgkmcnt(0)
	s_cmp_lg_u64 s[2:3], 0
	s_cselect_b32 s6, -1, 0
	s_ashr_i32 s31, s13, 31
	s_cmp_eq_u64 s[2:3], 0
	s_cbranch_scc1 .LBB757_3
; %bb.1:
	s_lshl_b64 s[4:5], s[30:31], 2
	s_delay_alu instid0(SALU_CYCLE_1) | instskip(SKIP_4) | instid1(SALU_CYCLE_1)
	s_add_u32 s4, s2, s4
	s_addc_u32 s5, s3, s5
	s_load_b64 s[4:5], s[4:5], 0x0
	s_waitcnt lgkmcnt(0)
	s_sub_i32 s4, s5, s4
	s_cmp_eq_u32 s4, 1
	s_cselect_b32 s4, -1, 0
	s_delay_alu instid0(SALU_CYCLE_1)
	s_and_not1_b32 vcc_lo, exec_lo, s4
	s_cbranch_vccz .LBB757_4
.LBB757_2:
	s_endpgm
.LBB757_3:
.LBB757_4:
	s_load_b64 s[8:9], s[0:1], 0x28
	s_lshl_b64 s[4:5], s[30:31], 2
	s_waitcnt lgkmcnt(0)
	s_add_u32 s8, s8, s4
	s_addc_u32 s9, s9, s5
	s_lshl_b32 s12, s14, 8
	s_load_b32 s17, s[8:9], 0x0
	s_waitcnt lgkmcnt(0)
	s_cmp_ge_i32 s12, s17
	s_cbranch_scc1 .LBB757_2
; %bb.5:
	s_and_not1_b32 vcc_lo, exec_lo, s6
	s_cbranch_vccnz .LBB757_7
; %bb.6:
	s_add_u32 s2, s2, s4
	s_addc_u32 s3, s3, s5
	s_load_b32 s13, s[2:3], 0x0
	s_branch .LBB757_8
.LBB757_7:
	s_mov_b32 s13, s30
.LBB757_8:
	s_clause 0x2
	s_load_b128 s[8:11], s[0:1], 0x8
	s_load_b64 s[2:3], s[0:1], 0x20
	s_load_b128 s[4:7], s[0:1], 0x48
	v_and_b32_e32 v74, 15, v0
	s_waitcnt lgkmcnt(0)
	s_mov_b32 s7, exec_lo
	s_delay_alu instid0(VALU_DEP_1)
	v_lshlrev_b32_e32 v1, 3, v74
	v_cmpx_lt_u32_e32 0x7f, v0
	s_xor_b32 s7, exec_lo, s7
; %bb.9:
	v_mov_b32_e32 v2, 0
; %bb.10:
	s_or_saveexec_b32 s7, s7
	v_lshrrev_b32_e32 v73, 5, v0
	v_and_b32_e32 v75, 31, v0
	v_and_b32_e32 v84, 1, v0
	v_bfe_u32 v83, v0, 4, 1
	s_lshl_b32 s29, s15, 3
	s_xor_b32 exec_lo, exec_lo, s7
	s_cbranch_execz .LBB757_12
; %bb.11:
	s_delay_alu instid0(VALU_DEP_1)
	v_lshl_or_b32 v7, v73, 1, v83
	s_load_b64 s[18:19], s[0:1], 0x0
	s_mul_hi_i32 s21, s13, s4
	s_mul_i32 s20, s13, s4
	v_lshlrev_b32_e32 v4, 1, v1
	v_or_b32_e32 v2, s29, v7
	s_lshl_b64 s[20:21], s[20:21], 1
	v_lshlrev_b32_e32 v7, 6, v7
	v_lshlrev_b32_e32 v8, 10, v84
	s_delay_alu instid0(VALU_DEP_3) | instskip(NEXT) | instid1(VALU_DEP_1)
	v_lshlrev_b32_e32 v2, 7, v2
	v_ashrrev_i32_e32 v3, 31, v2
	s_delay_alu instid0(VALU_DEP_1) | instskip(SKIP_3) | instid1(VALU_DEP_1)
	v_lshlrev_b64 v[2:3], 1, v[2:3]
	s_waitcnt lgkmcnt(0)
	s_add_u32 s4, s18, s20
	s_addc_u32 s13, s19, s21
	v_add_co_u32 v2, vcc_lo, s4, v2
	s_delay_alu instid0(VALU_DEP_2) | instskip(NEXT) | instid1(VALU_DEP_2)
	v_add_co_ci_u32_e32 v3, vcc_lo, s13, v3, vcc_lo
	v_add_co_u32 v2, vcc_lo, v2, v4
	s_delay_alu instid0(VALU_DEP_2) | instskip(SKIP_2) | instid1(VALU_DEP_1)
	v_add_co_ci_u32_e32 v3, vcc_lo, 0, v3, vcc_lo
	global_load_b128 v[3:6], v[2:3], off
	v_lshlrev_b32_e32 v2, 10, v74
	v_and_b32_e32 v2, 0x3800, v2
	s_delay_alu instid0(VALU_DEP_1)
	v_or3_b32 v7, v2, v8, v7
	v_mov_b32_e32 v2, 0
	s_waitcnt vmcnt(0)
	ds_store_b128 v7, v[3:6]
.LBB757_12:
	s_or_b32 exec_lo, exec_lo, s7
	v_and_b32_e32 v3, 0xef, v0
	s_add_i32 s4, s17, 31
	s_clause 0x1
	s_load_b32 s7, s[0:1], 0x38
	s_load_b32 s18, s[0:1], 0x1c
	s_ashr_i32 s13, s4, 31
	v_add_nc_u32_e32 v3, s12, v3
	s_lshr_b32 s13, s13, 27
	s_waitcnt lgkmcnt(0)
	s_add_i32 s4, s4, s13
	s_barrier
	v_ashrrev_i32_e32 v4, 31, v3
	v_cmp_gt_i32_e32 vcc_lo, s17, v3
	s_ashr_i32 s4, s4, 5
	buffer_gl0_inv
	s_add_i32 s4, s4, -1
	v_lshrrev_b32_e32 v5, 27, v4
	v_or_b32_e32 v4, 16, v3
	v_lshlrev_b64 v[81:82], 1, v[1:2]
	v_and_b32_e32 v80, 7, v0
	s_delay_alu instid0(VALU_DEP_4) | instskip(NEXT) | instid1(VALU_DEP_4)
	v_add_nc_u32_e32 v6, v3, v5
	v_add_nc_u32_e32 v5, v4, v5
	s_mul_i32 s20, s30, s7
	s_delay_alu instid0(VALU_DEP_3) | instskip(SKIP_4) | instid1(SALU_CYCLE_1)
	v_lshlrev_b32_e32 v80, 6, v80
	s_ashr_i32 s21, s20, 31
	v_ashrrev_i32_e32 v6, 5, v6
	v_ashrrev_i32_e32 v5, 5, v5
	s_lshl_b64 s[20:21], s[20:21], 2
	s_add_u32 s7, s2, s20
	s_delay_alu instid0(VALU_DEP_2) | instskip(SKIP_3) | instid1(VALU_DEP_2)
	v_cndmask_b32_e32 v3, s4, v6, vcc_lo
	v_cmp_gt_i32_e32 vcc_lo, s17, v4
	s_addc_u32 s13, s3, s21
	s_mul_i32 s2, s15, s6
	v_ashrrev_i32_e32 v4, 31, v3
	v_cndmask_b32_e32 v5, s4, v5, vcc_lo
	s_ashr_i32 s3, s2, 31
	s_delay_alu instid0(SALU_CYCLE_1) | instskip(NEXT) | instid1(VALU_DEP_2)
	s_lshl_b64 s[2:3], s[2:3], 1
	v_lshlrev_b64 v[3:4], 2, v[3:4]
	s_delay_alu instid0(VALU_DEP_2) | instskip(SKIP_3) | instid1(VALU_DEP_1)
	v_ashrrev_i32_e32 v6, 31, v5
	s_add_u32 s6, s8, s2
	s_addc_u32 s15, s9, s3
	s_lshl_b32 s8, s14, 3
	v_lshlrev_b64 v[5:6], 2, v[5:6]
	v_add_co_u32 v3, vcc_lo, s7, v3
	v_add_co_ci_u32_e32 v4, vcc_lo, s13, v4, vcc_lo
	s_ashr_i32 s9, s8, 31
	s_delay_alu instid0(VALU_DEP_3) | instskip(NEXT) | instid1(VALU_DEP_4)
	v_add_co_u32 v5, vcc_lo, s7, v5
	v_add_co_ci_u32_e32 v6, vcc_lo, s13, v6, vcc_lo
	s_lshl_b64 s[8:9], s[8:9], 2
	s_clause 0x1
	global_load_b32 v7, v[3:4], off
	global_load_b32 v8, v[5:6], off
	s_add_u32 s8, s7, s8
	s_addc_u32 s9, s13, s9
	s_or_b32 s16, s12, 32
	s_delay_alu instid0(SALU_CYCLE_1) | instskip(SKIP_2) | instid1(SALU_CYCLE_1)
	s_ashr_i32 s19, s16, 5
	s_cmp_lt_i32 s16, s17
	s_cselect_b32 s20, s19, s4
	s_ashr_i32 s21, s20, 31
	s_delay_alu instid0(SALU_CYCLE_1) | instskip(NEXT) | instid1(SALU_CYCLE_1)
	s_lshl_b64 s[20:21], s[20:21], 2
	s_add_u32 s20, s7, s20
	s_addc_u32 s21, s13, s21
	s_or_b32 s16, s12, 64
	s_delay_alu instid0(SALU_CYCLE_1) | instskip(SKIP_2) | instid1(SALU_CYCLE_1)
	s_ashr_i32 s19, s16, 5
	s_cmp_lt_i32 s16, s17
	s_cselect_b32 s22, s19, s4
	s_ashr_i32 s23, s22, 31
	s_delay_alu instid0(SALU_CYCLE_1) | instskip(NEXT) | instid1(SALU_CYCLE_1)
	s_lshl_b64 s[22:23], s[22:23], 2
	;; [unrolled: 10-line block ×5, first 2 shown]
	s_add_u32 s34, s7, s34
	s_addc_u32 s35, s13, s35
	s_clause 0x5
	s_load_b32 s16, s[8:9], 0x0
	s_load_b32 s19, s[20:21], 0x0
	;; [unrolled: 1-line block ×6, first 2 shown]
	s_mov_b32 s20, 0
	s_delay_alu instid0(SALU_CYCLE_1)
	s_mov_b32 s27, s20
	s_mov_b32 s21, s20
	;; [unrolled: 1-line block ×7, first 2 shown]
	s_delay_alu instid0(SALU_CYCLE_1)
	v_dual_mov_b32 v108, s27 :: v_dual_mov_b32 v107, s26
	v_dual_mov_b32 v106, s25 :: v_dual_mov_b32 v105, s24
	v_mov_b32_e32 v102, s21
	v_dual_mov_b32 v104, s23 :: v_dual_mov_b32 v103, s22
	v_mov_b32_e32 v101, s20
	s_waitcnt lgkmcnt(0)
	s_mul_hi_i32 s21, s16, s5
	s_mul_i32 s20, s16, s5
	s_mul_hi_i32 s23, s19, s5
	s_mul_i32 s22, s19, s5
	;; [unrolled: 2-line block ×5, first 2 shown]
	s_waitcnt vmcnt(1)
	v_mad_i64_i32 v[3:4], null, v7, s5, 0
	s_waitcnt vmcnt(0)
	v_mad_i64_i32 v[5:6], null, v8, s5, 0
	s_delay_alu instid0(VALU_DEP_2) | instskip(NEXT) | instid1(VALU_DEP_2)
	v_lshlrev_b64 v[3:4], 1, v[3:4]
	v_lshlrev_b64 v[1:2], 1, v[5:6]
	s_delay_alu instid0(VALU_DEP_2) | instskip(NEXT) | instid1(VALU_DEP_3)
	v_add_co_u32 v3, vcc_lo, s6, v3
	v_add_co_ci_u32_e32 v4, vcc_lo, s15, v4, vcc_lo
	s_delay_alu instid0(VALU_DEP_3) | instskip(NEXT) | instid1(VALU_DEP_4)
	v_add_co_u32 v1, vcc_lo, s6, v1
	v_add_co_ci_u32_e32 v2, vcc_lo, s15, v2, vcc_lo
	s_delay_alu instid0(VALU_DEP_4) | instskip(NEXT) | instid1(VALU_DEP_4)
	v_add_co_u32 v65, vcc_lo, v3, v81
	v_add_co_ci_u32_e32 v66, vcc_lo, v4, v82, vcc_lo
	s_delay_alu instid0(VALU_DEP_4) | instskip(NEXT) | instid1(VALU_DEP_4)
	v_add_co_u32 v76, vcc_lo, v1, v81
	v_add_co_ci_u32_e32 v77, vcc_lo, v2, v82, vcc_lo
	s_clause 0xf
	global_load_b128 v[1:4], v[65:66], off
	global_load_b128 v[5:8], v[65:66], off offset:512
	global_load_b128 v[9:12], v[76:77], off offset:256
	;; [unrolled: 1-line block ×15, first 2 shown]
	v_add_co_u32 v78, vcc_lo, 0x1000, v65
	v_add_co_ci_u32_e32 v79, vcc_lo, 0, v66, vcc_lo
	v_add_co_u32 v76, vcc_lo, 0x1000, v76
	s_clause 0x1
	global_load_b128 v[65:68], v[78:79], off
	global_load_b128 v[69:72], v[78:79], off offset:512
	v_add_co_ci_u32_e32 v77, vcc_lo, 0, v77, vcc_lo
	ds_load_b128 v[85:88], v80
	ds_load_b128 v[89:92], v80 offset:1024
	s_clause 0x1
	global_load_b128 v[93:96], v[76:77], off offset:256
	global_load_b128 v[97:100], v[76:77], off offset:768
	ds_load_b128 v[109:112], v80 offset:2048
	ds_load_b128 v[113:116], v80 offset:3072
	s_or_b32 s6, s12, 0xc0
	s_delay_alu instid0(SALU_CYCLE_1) | instskip(SKIP_2) | instid1(SALU_CYCLE_1)
	s_ashr_i32 s8, s6, 5
	s_cmp_lt_i32 s6, s17
	s_cselect_b32 s8, s8, s4
	s_ashr_i32 s9, s8, 31
	s_delay_alu instid0(SALU_CYCLE_1) | instskip(NEXT) | instid1(SALU_CYCLE_1)
	s_lshl_b64 s[8:9], s[8:9], 2
	s_add_u32 s8, s7, s8
	s_addc_u32 s9, s13, s9
	s_or_b32 s6, s12, 0xe0
	s_delay_alu instid0(SALU_CYCLE_1) | instskip(SKIP_2) | instid1(SALU_CYCLE_1)
	s_ashr_i32 s15, s6, 5
	s_cmp_lt_i32 s6, s17
	s_cselect_b32 s24, s15, s4
	s_ashr_i32 s25, s24, 31
	s_delay_alu instid0(SALU_CYCLE_1) | instskip(NEXT) | instid1(SALU_CYCLE_1)
	s_lshl_b64 s[24:25], s[24:25], 2
	s_add_u32 s24, s7, s24
	s_addc_u32 s25, s13, s25
	s_add_i32 s6, s12, 0x100
	s_delay_alu instid0(SALU_CYCLE_1) | instskip(SKIP_2) | instid1(SALU_CYCLE_1)
	s_ashr_i32 s15, s6, 5
	s_cmp_lt_i32 s6, s17
	s_cselect_b32 s36, s15, s4
	s_ashr_i32 s37, s36, 31
	s_delay_alu instid0(SALU_CYCLE_1) | instskip(NEXT) | instid1(SALU_CYCLE_1)
	s_lshl_b64 s[36:37], s[36:37], 2
	s_add_u32 s6, s7, s36
	s_addc_u32 s7, s13, s37
	s_add_u32 s4, s10, s2
	s_addc_u32 s19, s11, s3
	s_lshl_b64 s[2:3], s[20:21], 1
	s_lshl_b64 s[10:11], s[26:27], 1
	;; [unrolled: 1-line block ×3, first 2 shown]
	s_waitcnt vmcnt(18) lgkmcnt(2)
	v_wmma_f32_16x16x16_bf16 v[117:124], v[1:8], v[85:92], v[101:108]
	s_waitcnt vmcnt(16)
	v_wmma_f32_16x16x16_bf16 v[101:108], v[9:16], v[85:92], v[101:108]
	s_clause 0x3
	global_load_b128 v[1:4], v[78:79], off offset:1024
	global_load_b128 v[5:8], v[78:79], off offset:1536
	;; [unrolled: 1-line block ×4, first 2 shown]
	s_waitcnt vmcnt(18) lgkmcnt(0)
	v_wmma_f32_16x16x16_bf16 v[117:124], v[17:24], v[109:116], v[117:124]
	s_clause 0x1
	global_load_b128 v[17:20], v[78:79], off offset:2048
	global_load_b128 v[21:24], v[78:79], off offset:2560
	s_waitcnt vmcnt(18)
	v_wmma_f32_16x16x16_bf16 v[101:108], v[25:32], v[109:116], v[101:108]
	ds_load_b128 v[25:28], v80 offset:4096
	ds_load_b128 v[29:32], v80 offset:5120
	s_clause 0x5
	global_load_b128 v[109:112], v[76:77], off offset:2304
	global_load_b128 v[113:116], v[76:77], off offset:2816
	;; [unrolled: 1-line block ×6, first 2 shown]
	s_waitcnt vmcnt(22) lgkmcnt(0)
	v_wmma_f32_16x16x16_bf16 v[117:124], v[33:40], v[25:32], v[117:124]
	s_waitcnt vmcnt(20)
	v_wmma_f32_16x16x16_bf16 v[101:108], v[41:48], v[25:32], v[101:108]
	ds_load_b128 v[25:28], v80 offset:6144
	ds_load_b128 v[29:32], v80 offset:7168
	;; [unrolled: 1-line block ×4, first 2 shown]
	s_waitcnt vmcnt(18) lgkmcnt(2)
	v_wmma_f32_16x16x16_bf16 v[117:124], v[49:56], v[25:32], v[117:124]
	s_waitcnt vmcnt(16)
	v_wmma_f32_16x16x16_bf16 v[101:108], v[57:64], v[25:32], v[101:108]
	ds_load_b128 v[25:28], v80 offset:10240
	ds_load_b128 v[29:32], v80 offset:11264
	ds_load_b128 v[141:144], v80 offset:12288
	ds_load_b128 v[145:148], v80 offset:13312
	ds_load_b128 v[149:152], v80 offset:14336
	ds_load_b128 v[153:156], v80 offset:15360
	s_waitcnt vmcnt(14) lgkmcnt(6)
	v_wmma_f32_16x16x16_bf16 v[117:124], v[65:72], v[33:40], v[117:124]
	s_waitcnt vmcnt(12)
	v_wmma_f32_16x16x16_bf16 v[101:108], v[93:100], v[33:40], v[101:108]
	s_clause 0x2
	s_load_b32 s16, s[8:9], 0x0
	s_load_b32 s13, s[24:25], 0x0
	;; [unrolled: 1-line block ×3, first 2 shown]
	s_lshl_b64 s[6:7], s[22:23], 1
	s_mul_hi_i32 s9, s33, s5
	s_mul_i32 s8, s33, s5
	s_lshl_b64 s[22:23], s[38:39], 1
	s_lshl_b64 s[8:9], s[8:9], 1
	s_waitcnt lgkmcnt(0)
	s_mul_hi_i32 s25, s16, s5
	s_mul_i32 s24, s16, s5
	s_waitcnt vmcnt(10)
	v_wmma_f32_16x16x16_bf16 v[117:124], v[1:8], v[25:32], v[117:124]
	s_waitcnt vmcnt(8)
	v_wmma_f32_16x16x16_bf16 v[101:108], v[9:16], v[25:32], v[101:108]
	s_waitcnt vmcnt(6)
	s_delay_alu instid0(VALU_DEP_2) | instskip(SKIP_1) | instid1(VALU_DEP_2)
	v_wmma_f32_16x16x16_bf16 v[117:124], v[17:24], v[141:148], v[117:124]
	s_waitcnt vmcnt(4)
	v_wmma_f32_16x16x16_bf16 v[101:108], v[109:116], v[141:148], v[101:108]
	s_waitcnt vmcnt(2)
	s_delay_alu instid0(VALU_DEP_2) | instskip(SKIP_3) | instid1(VALU_DEP_3)
	v_wmma_f32_16x16x16_bf16 v[117:124], v[125:132], v[149:156], v[117:124]
	v_lshlrev_b32_e32 v85, 6, v74
	s_waitcnt vmcnt(0)
	v_wmma_f32_16x16x16_bf16 v[101:108], v[133:140], v[149:156], v[101:108]
	v_mul_f32_e32 v100, s18, v124
	s_delay_alu instid0(VALU_DEP_3) | instskip(SKIP_2) | instid1(VALU_DEP_3)
	v_lshl_or_b32 v41, v73, 10, v85
	v_mul_f32_e32 v97, s18, v117
	v_mul_f32_e32 v99, s18, v118
	v_add_co_u32 v76, s4, s4, v41
	s_delay_alu instid0(VALU_DEP_1) | instskip(NEXT) | instid1(VALU_DEP_2)
	v_add_co_ci_u32_e64 v77, null, s19, 0, s4
	v_add_co_u32 v41, vcc_lo, v76, s2
	s_delay_alu instid0(VALU_DEP_2)
	v_add_co_ci_u32_e32 v42, vcc_lo, s3, v77, vcc_lo
	v_add_co_u32 v33, vcc_lo, v76, s6
	v_add_co_ci_u32_e32 v34, vcc_lo, s7, v77, vcc_lo
	v_add_co_u32 v35, vcc_lo, v76, s10
	v_add_co_ci_u32_e32 v36, vcc_lo, s11, v77, vcc_lo
	v_add_co_u32 v37, vcc_lo, v76, s20
	v_add_co_ci_u32_e32 v38, vcc_lo, s21, v77, vcc_lo
	v_add_co_u32 v39, vcc_lo, v76, s8
	v_add_co_ci_u32_e32 v40, vcc_lo, s9, v77, vcc_lo
	v_add_co_u32 v5, vcc_lo, v76, s22
	s_lshl_b64 s[2:3], s[24:25], 1
	v_add_co_ci_u32_e32 v6, vcc_lo, s23, v77, vcc_lo
	s_mul_hi_i32 s7, s13, s5
	s_mul_i32 s6, s13, s5
	v_add_co_u32 v17, vcc_lo, v76, s2
	v_add_co_ci_u32_e32 v18, vcc_lo, s3, v77, vcc_lo
	s_lshl_b64 s[2:3], s[6:7], 1
	s_mul_hi_i32 s7, s15, s5
	s_mul_i32 s6, s15, s5
	v_add_co_u32 v19, vcc_lo, v76, s2
	v_add_co_ci_u32_e32 v20, vcc_lo, s3, v77, vcc_lo
	s_lshl_b64 s[2:3], s[6:7], 1
	s_clause 0x1
	global_load_b128 v[65:68], v[41:42], off
	global_load_b128 v[69:72], v[41:42], off offset:16
	v_add_co_u32 v21, vcc_lo, v76, s2
	v_add_co_ci_u32_e32 v22, vcc_lo, s3, v77, vcc_lo
	s_clause 0xf
	global_load_b128 v[57:60], v[33:34], off
	global_load_b128 v[61:64], v[33:34], off offset:16
	global_load_b128 v[49:52], v[35:36], off
	global_load_b128 v[53:56], v[35:36], off offset:16
	;; [unrolled: 2-line block ×8, first 2 shown]
	v_and_b32_e32 v76, 0xe0, v0
	v_mbcnt_lo_u32_b32 v77, -1, 0
	s_waitcnt vmcnt(0)
	s_barrier
	buffer_gl0_inv
	v_add_nc_u32_e32 v76, s12, v76
	v_xor_b32_e32 v78, 16, v77
	s_delay_alu instid0(VALU_DEP_2) | instskip(NEXT) | instid1(VALU_DEP_2)
	v_or_b32_e32 v76, v76, v83
	v_cmp_gt_i32_e32 vcc_lo, 32, v78
	s_delay_alu instid0(VALU_DEP_2)
	v_or_b32_e32 v79, 4, v76
	v_cndmask_b32_e32 v77, v77, v78, vcc_lo
	v_or_b32_e32 v78, 2, v76
	v_or_b32_e32 v80, 6, v76
	v_cmp_gt_i32_e32 vcc_lo, s17, v76
	v_or_b32_e32 v86, 8, v76
	v_or_b32_e32 v87, 10, v76
	v_cmp_gt_i32_e64 s2, s17, v78
	v_or_b32_e32 v88, 12, v76
	v_or_b32_e32 v89, 14, v76
	;; [unrolled: 1-line block ×10, first 2 shown]
	v_cndmask_b32_e32 v76, 0xff7fffff, v97, vcc_lo
	v_cndmask_b32_e64 v78, 0xff7fffff, v99, s2
	v_mul_f32_e32 v99, s18, v120
	v_cmp_gt_i32_e64 s3, s17, v80
	v_mul_f32_e32 v80, s18, v119
	v_cmp_gt_i32_e64 s4, s17, v79
	v_max3_f32 v76, v76, 0xff7fffff, v78
	v_dual_mul_f32 v78, s18, v121 :: v_dual_mul_f32 v79, s18, v122
	v_cmp_gt_i32_e64 s5, s17, v86
	s_delay_alu instid0(VALU_DEP_4)
	v_cndmask_b32_e64 v80, 0xff7fffff, v80, s4
	v_cmp_gt_i32_e64 s6, s17, v87
	v_mul_f32_e32 v86, s18, v107
	v_cndmask_b32_e64 v99, 0xff7fffff, v99, s3
	v_mul_f32_e32 v97, s18, v123
	v_cndmask_b32_e64 v78, 0xff7fffff, v78, s5
	v_cndmask_b32_e64 v79, 0xff7fffff, v79, s6
	v_cmp_gt_i32_e64 s7, s17, v89
	v_max3_f32 v76, v76, v80, v99
	v_cmp_gt_i32_e64 s8, s17, v88
	v_dual_mul_f32 v99, s18, v105 :: v_dual_mul_f32 v88, s18, v102
	v_mul_f32_e32 v89, s18, v101
	s_delay_alu instid0(VALU_DEP_4)
	v_max3_f32 v76, v76, v78, v79
	v_mul_f32_e32 v78, s18, v104
	v_cndmask_b32_e64 v97, 0xff7fffff, v97, s8
	v_cndmask_b32_e64 v100, 0xff7fffff, v100, s7
	v_cmp_gt_i32_e64 s9, s17, v90
	v_cmp_gt_i32_e64 s10, s17, v91
	v_mul_f32_e32 v79, s18, v103
	v_cmp_gt_i32_e64 s11, s17, v92
	v_max3_f32 v76, v76, v97, v100
	v_cndmask_b32_e64 v89, 0xff7fffff, v89, s9
	v_cndmask_b32_e64 v88, 0xff7fffff, v88, s10
	v_cmp_gt_i32_e64 s12, s17, v93
	v_mul_f32_e32 v87, s18, v106
	v_cndmask_b32_e64 v79, 0xff7fffff, v79, s11
	v_cmp_gt_i32_e64 s13, s17, v94
	v_max3_f32 v76, v76, v89, v88
	v_cndmask_b32_e64 v78, 0xff7fffff, v78, s12
	v_cmp_gt_i32_e64 s15, s17, v95
	v_mul_f32_e32 v80, s18, v108
	v_cndmask_b32_e64 v88, 0xff7fffff, v99, s13
	v_cmp_gt_i32_e64 s16, s17, v96
	v_max3_f32 v76, v76, v79, v78
	v_cndmask_b32_e64 v87, 0xff7fffff, v87, s15
	v_cmp_gt_i32_e64 s17, s17, v98
	v_lshlrev_b32_e32 v99, 2, v77
	v_cndmask_b32_e64 v78, 0xff7fffff, v86, s16
	s_delay_alu instid0(VALU_DEP_4) | instskip(NEXT) | instid1(VALU_DEP_4)
	v_max3_f32 v76, v76, v88, v87
	v_cndmask_b32_e64 v79, 0xff7fffff, v80, s17
	s_delay_alu instid0(VALU_DEP_1) | instskip(SKIP_3) | instid1(VALU_DEP_1)
	v_max3_f32 v76, v76, v78, v79
	ds_bpermute_b32 v77, v99, v76
	s_waitcnt lgkmcnt(0)
	v_max_f32_e32 v77, v77, v77
	v_max_f32_e32 v89, v76, v77
	s_delay_alu instid0(VALU_DEP_1) | instskip(SKIP_4) | instid1(VALU_DEP_4)
	v_fma_f32 v76, s18, v117, -v89
	v_fma_f32 v77, s18, v118, -v89
	;; [unrolled: 1-line block ×5, first 2 shown]
	v_dual_mul_f32 v76, 0x3fb8aa3b, v76 :: v_dual_mul_f32 v77, 0x3fb8aa3b, v77
	s_delay_alu instid0(VALU_DEP_4) | instskip(NEXT) | instid1(VALU_DEP_3)
	v_mul_f32_e32 v78, 0x3fb8aa3b, v78
	v_mul_f32_e32 v80, 0x3fb8aa3b, v80
	s_delay_alu instid0(VALU_DEP_3) | instskip(NEXT) | instid1(VALU_DEP_3)
	v_exp_f32_e32 v76, v76
	v_exp_f32_e32 v77, v77
	s_delay_alu instid0(VALU_DEP_2) | instskip(NEXT) | instid1(VALU_DEP_1)
	v_exp_f32_e32 v78, v78
	v_exp_f32_e32 v80, v80
	v_cndmask_b32_e32 v91, 0, v76, vcc_lo
	v_fma_f32 v76, s18, v122, -v89
	s_delay_alu instid0(TRANS32_DEP_3)
	v_cndmask_b32_e64 v90, 0, v77, s2
	s_waitcnt_depctr 0xfff
	v_cndmask_b32_e64 v92, 0, v78, s4
	v_cndmask_b32_e64 v95, 0, v80, s5
	v_dual_add_f32 v77, 0, v91 :: v_dual_mul_f32 v76, 0x3fb8aa3b, v76
	s_mov_b32 s2, exec_lo
	s_delay_alu instid0(VALU_DEP_1) | instskip(NEXT) | instid1(VALU_DEP_2)
	v_add_f32_e32 v77, v77, v90
	v_exp_f32_e32 v76, v76
	s_delay_alu instid0(VALU_DEP_1) | instskip(SKIP_3) | instid1(VALU_DEP_1)
	v_add_f32_e32 v77, v77, v92
	s_waitcnt_depctr 0xfff
	v_cndmask_b32_e64 v96, 0, v76, s6
	v_mul_f32_e32 v79, 0x3fb8aa3b, v79
	v_exp_f32_e32 v79, v79
	s_waitcnt_depctr 0xfff
	v_cndmask_b32_e64 v94, 0, v79, s3
	s_delay_alu instid0(VALU_DEP_1) | instskip(NEXT) | instid1(VALU_DEP_1)
	v_add_f32_e32 v77, v77, v94
	v_add_f32_e32 v76, v77, v95
	v_fma_f32 v80, s18, v102, -v89
	v_fma_f32 v86, s18, v123, -v89
	;; [unrolled: 1-line block ×5, first 2 shown]
	v_mul_f32_e32 v80, 0x3fb8aa3b, v80
	v_mul_f32_e32 v86, 0x3fb8aa3b, v86
	;; [unrolled: 1-line block ×3, first 2 shown]
	v_fma_f32 v98, s18, v107, -v89
	v_mul_f32_e32 v77, 0x3fb8aa3b, v77
	v_exp_f32_e32 v80, v80
	v_exp_f32_e32 v86, v86
	;; [unrolled: 1-line block ×3, first 2 shown]
	v_add_f32_e32 v76, v76, v96
	v_exp_f32_e32 v88, v77
	v_fma_f32 v87, s18, v105, -v89
	v_fma_f32 v100, s18, v108, -v89
	v_cndmask_b32_e64 v77, 0, v80, s10
	v_mul_f32_e32 v79, 0x3fb8aa3b, v79
	s_delay_alu instid0(TRANS32_DEP_3) | instskip(SKIP_1) | instid1(TRANS32_DEP_2)
	v_cndmask_b32_e64 v93, 0, v86, s8
	v_fma_f32 v86, s18, v104, -v89
	v_cndmask_b32_e64 v97, 0, v78, s7
	v_mul_f32_e32 v100, 0x3fb8aa3b, v100
	v_exp_f32_e32 v79, v79
	v_add_f32_e32 v78, v76, v93
	v_mul_f32_e32 v86, 0x3fb8aa3b, v86
	s_delay_alu instid0(VALU_DEP_3) | instskip(NEXT) | instid1(VALU_DEP_2)
	v_exp_f32_e32 v100, v100
	v_add_f32_e32 v78, v78, v97
	s_delay_alu instid0(VALU_DEP_2) | instskip(NEXT) | instid1(TRANS32_DEP_3)
	v_exp_f32_e32 v86, v86
	v_cndmask_b32_e64 v76, 0, v79, s9
	v_fma_f32 v79, s18, v106, -v89
	s_delay_alu instid0(VALU_DEP_1) | instskip(SKIP_2) | instid1(VALU_DEP_3)
	v_dual_add_f32 v80, v78, v76 :: v_dual_mul_f32 v79, 0x3fb8aa3b, v79
	v_cndmask_b32_e64 v78, 0, v88, s11
	v_mul_f32_e32 v88, 0x3fb8aa3b, v98
	v_dual_add_f32 v80, v80, v77 :: v_dual_mul_f32 v87, 0x3fb8aa3b, v87
	s_delay_alu instid0(VALU_DEP_4) | instskip(NEXT) | instid1(TRANS32_DEP_2)
	v_exp_f32_e32 v98, v79
	v_cndmask_b32_e64 v79, 0, v86, s12
	s_delay_alu instid0(VALU_DEP_3) | instskip(NEXT) | instid1(VALU_DEP_2)
	v_exp_f32_e32 v88, v88
	v_add_f32_e32 v86, v80, v78
	v_exp_f32_e32 v87, v87
	s_waitcnt_depctr 0xfff
	v_cndmask_b32_e64 v80, 0, v87, s13
	v_add_f32_e32 v87, v86, v79
	v_cndmask_b32_e64 v86, 0, v98, s15
	s_delay_alu instid0(VALU_DEP_2) | instskip(SKIP_1) | instid1(VALU_DEP_2)
	v_add_f32_e32 v98, v87, v80
	v_cndmask_b32_e64 v87, 0, v88, s16
	v_add_f32_e32 v88, v98, v86
	s_delay_alu instid0(VALU_DEP_1) | instskip(SKIP_1) | instid1(VALU_DEP_1)
	v_add_f32_e32 v98, v88, v87
	v_cndmask_b32_e64 v88, 0, v100, s17
	v_add_f32_e32 v98, v98, v88
	ds_bpermute_b32 v99, v99, v98
	v_cmpx_gt_u32_e32 16, v75
	s_cbranch_execz .LBB757_14
; %bb.13:
	v_mul_u32_u24_e32 v75, 0x44, v73
	s_waitcnt lgkmcnt(0)
	v_add_f32_e32 v98, v98, v99
	s_delay_alu instid0(VALU_DEP_2) | instskip(NEXT) | instid1(VALU_DEP_1)
	v_lshl_add_u32 v75, v74, 2, v75
	v_add_nc_u32_e32 v75, 0x4000, v75
	ds_store_2addr_b32 v75, v89, v98 offset1:136
.LBB757_14:
	s_or_b32 exec_lo, exec_lo, s2
	v_lshlrev_b32_e32 v74, 2, v74
	s_waitcnt lgkmcnt(0)
	s_barrier
	buffer_gl0_inv
	v_cmp_eq_u32_e64 s2, 1, v73
	v_add_nc_u32_e32 v89, 0x4000, v74
	ds_load_2addr_b32 v[98:99], v89 offset1:17
	ds_load_2addr_b32 v[100:101], v89 offset0:34 offset1:51
	ds_load_2addr_b32 v[102:103], v89 offset0:68 offset1:85
	;; [unrolled: 1-line block ×4, first 2 shown]
	s_waitcnt lgkmcnt(4)
	v_max3_f32 v74, v98, 0xff7fffff, v99
	s_waitcnt lgkmcnt(3)
	s_delay_alu instid0(VALU_DEP_1) | instskip(SKIP_1) | instid1(VALU_DEP_1)
	v_max3_f32 v74, v74, v100, v101
	s_waitcnt lgkmcnt(2)
	v_max3_f32 v74, v74, v102, v103
	s_waitcnt lgkmcnt(1)
	s_delay_alu instid0(VALU_DEP_1) | instskip(NEXT) | instid1(VALU_DEP_1)
	v_max3_f32 v74, v74, v104, v105
	v_sub_f32_e32 v108, v99, v74
	v_sub_f32_e32 v75, v98, v74
	ds_load_2addr_b32 v[98:99], v89 offset0:170 offset1:187
	v_sub_f32_e32 v100, v100, v74
	v_dual_mul_f32 v108, 0x3fb8aa3b, v108 :: v_dual_mul_f32 v75, 0x3fb8aa3b, v75
	s_delay_alu instid0(VALU_DEP_2) | instskip(NEXT) | instid1(VALU_DEP_2)
	v_mul_f32_e32 v110, 0x3fb8aa3b, v100
	v_exp_f32_e32 v108, v108
	s_delay_alu instid0(VALU_DEP_2)
	v_exp_f32_e32 v109, v75
	v_sub_f32_e32 v75, v101, v74
	ds_load_2addr_b32 v[100:101], v89 offset0:204 offset1:221
	v_exp_f32_e32 v110, v110
	v_mul_f32_e32 v111, 0x3fb8aa3b, v75
	s_waitcnt lgkmcnt(2)
	v_fma_f32 v75, v109, v106, 0
	v_sub_f32_e32 v102, v102, v74
	s_delay_alu instid0(VALU_DEP_3) | instskip(NEXT) | instid1(VALU_DEP_2)
	v_exp_f32_e32 v111, v111
	v_dual_sub_f32 v106, v103, v74 :: v_dual_fmac_f32 v75, v108, v107
	s_waitcnt lgkmcnt(1)
	s_waitcnt_depctr 0xfff
	v_fmac_f32_e32 v75, v110, v98
	v_mul_f32_e32 v112, 0x3fb8aa3b, v102
	ds_load_2addr_b32 v[102:103], v89 offset0:238 offset1:255
	v_sub_f32_e32 v89, v104, v74
	v_dual_sub_f32 v98, v105, v74 :: v_dual_fmac_f32 v75, v111, v99
	v_mul_f32_e32 v104, 0x3fb8aa3b, v106
	v_exp_f32_e32 v106, v112
	s_delay_alu instid0(VALU_DEP_2)
	v_dual_mul_f32 v89, 0x3fb8aa3b, v89 :: v_dual_mul_f32 v98, 0x3fb8aa3b, v98
	s_waitcnt lgkmcnt(0)
	s_barrier
	buffer_gl0_inv
	v_exp_f32_e32 v89, v89
	v_exp_f32_e32 v98, v98
	v_fmac_f32_e32 v75, v106, v100
	v_exp_f32_e32 v104, v104
	s_waitcnt_depctr 0xfff
	v_fmac_f32_e32 v75, v104, v101
	s_delay_alu instid0(VALU_DEP_1) | instskip(NEXT) | instid1(VALU_DEP_1)
	v_fmac_f32_e32 v75, v89, v102
	v_fmac_f32_e32 v75, v98, v103
	s_delay_alu instid0(VALU_DEP_1) | instskip(NEXT) | instid1(VALU_DEP_1)
	v_add_f32_e32 v99, 0x358637bd, v75
	v_div_scale_f32 v100, null, v99, v99, 1.0
	v_div_scale_f32 v103, vcc_lo, 1.0, v99, 1.0
	s_delay_alu instid0(VALU_DEP_2) | instskip(SKIP_2) | instid1(VALU_DEP_1)
	v_rcp_f32_e32 v101, v100
	s_waitcnt_depctr 0xfff
	v_fma_f32 v102, -v100, v101, 1.0
	v_fmac_f32_e32 v101, v102, v101
	v_cndmask_b32_e64 v102, v109, v108, s2
	v_cmp_eq_u32_e64 s2, 2, v73
	s_delay_alu instid0(VALU_DEP_3) | instskip(NEXT) | instid1(VALU_DEP_2)
	v_mul_f32_e32 v105, v103, v101
	v_cndmask_b32_e64 v102, v102, v110, s2
	v_cmp_eq_u32_e64 s2, 3, v73
	s_delay_alu instid0(VALU_DEP_3) | instskip(NEXT) | instid1(VALU_DEP_2)
	v_fma_f32 v107, -v100, v105, v103
	v_cndmask_b32_e64 v102, v102, v111, s2
	v_cmp_eq_u32_e64 s2, 4, v73
	s_delay_alu instid0(VALU_DEP_3) | instskip(NEXT) | instid1(VALU_DEP_2)
	v_fmac_f32_e32 v105, v107, v101
	v_cndmask_b32_e64 v102, v102, v106, s2
	s_delay_alu instid0(VALU_DEP_2) | instskip(SKIP_1) | instid1(VALU_DEP_2)
	v_fma_f32 v100, -v100, v105, v103
	v_cmp_eq_u32_e64 s2, 5, v73
	v_div_fmas_f32 v100, v100, v101, v105
	s_delay_alu instid0(VALU_DEP_2) | instskip(SKIP_2) | instid1(VALU_DEP_3)
	v_cndmask_b32_e64 v102, v102, v104, s2
	v_cmp_eq_u32_e32 vcc_lo, 6, v73
	s_mov_b32 s2, exec_lo
	v_div_fixup_f32 v99, v100, v99, 1.0
	s_delay_alu instid0(VALU_DEP_3) | instskip(SKIP_1) | instid1(VALU_DEP_2)
	v_cndmask_b32_e32 v89, v102, v89, vcc_lo
	v_cmp_eq_u32_e32 vcc_lo, 7, v73
	v_cndmask_b32_e32 v89, v89, v98, vcc_lo
	s_delay_alu instid0(VALU_DEP_1) | instskip(NEXT) | instid1(VALU_DEP_1)
	v_mul_f32_e32 v89, v89, v99
	v_mul_f32_e32 v99, v89, v91
	;; [unrolled: 1-line block ×6, first 2 shown]
	v_and_b32_e32 v100, 0x7f800000, v99
	v_mul_f32_e32 v98, v89, v94
	v_mul_f32_e32 v94, v89, v90
	;; [unrolled: 1-line block ×3, first 2 shown]
                                        ; implicit-def: $vgpr90
	s_delay_alu instid0(VALU_DEP_4)
	v_cmpx_ne_u32_e32 0x7f800000, v100
	s_xor_b32 s2, exec_lo, s2
; %bb.15:
	v_bfe_u32 v90, v99, 16, 1
	s_delay_alu instid0(VALU_DEP_1)
	v_add3_u32 v90, v99, v90, 0x7fff
                                        ; implicit-def: $vgpr99
; %bb.16:
	s_and_not1_saveexec_b32 s2, s2
; %bb.17:
	v_and_b32_e32 v90, 0xffff, v99
	v_or_b32_e32 v92, 0x10000, v99
	s_delay_alu instid0(VALU_DEP_2) | instskip(NEXT) | instid1(VALU_DEP_2)
	v_cmp_eq_u32_e32 vcc_lo, 0, v90
	v_cndmask_b32_e32 v90, v92, v99, vcc_lo
; %bb.18:
	s_or_b32 exec_lo, exec_lo, s2
	v_and_b32_e32 v92, 0x7f800000, v94
	s_delay_alu instid0(VALU_DEP_1) | instskip(SKIP_1) | instid1(SALU_CYCLE_1)
	v_cmp_ne_u32_e32 vcc_lo, 0x7f800000, v92
                                        ; implicit-def: $vgpr92
	s_and_saveexec_b32 s2, vcc_lo
	s_xor_b32 s2, exec_lo, s2
; %bb.19:
	v_bfe_u32 v92, v94, 16, 1
	s_delay_alu instid0(VALU_DEP_1)
	v_add3_u32 v92, v94, v92, 0x7fff
                                        ; implicit-def: $vgpr94
; %bb.20:
	s_and_not1_saveexec_b32 s2, s2
; %bb.21:
	v_and_b32_e32 v92, 0xffff, v94
	v_or_b32_e32 v99, 0x10000, v94
	s_delay_alu instid0(VALU_DEP_2) | instskip(NEXT) | instid1(VALU_DEP_2)
	v_cmp_eq_u32_e32 vcc_lo, 0, v92
	v_cndmask_b32_e32 v92, v99, v94, vcc_lo
; %bb.22:
	s_or_b32 exec_lo, exec_lo, s2
	v_and_b32_e32 v94, 0x7f800000, v95
	s_delay_alu instid0(VALU_DEP_1) | instskip(SKIP_1) | instid1(SALU_CYCLE_1)
	v_cmp_ne_u32_e32 vcc_lo, 0x7f800000, v94
                                        ; implicit-def: $vgpr94
	s_and_saveexec_b32 s2, vcc_lo
	s_xor_b32 s2, exec_lo, s2
; %bb.23:
	v_bfe_u32 v94, v95, 16, 1
	s_delay_alu instid0(VALU_DEP_1)
	v_add3_u32 v94, v95, v94, 0x7fff
                                        ; implicit-def: $vgpr95
; %bb.24:
	s_and_not1_saveexec_b32 s2, s2
; %bb.25:
	v_and_b32_e32 v94, 0xffff, v95
	v_or_b32_e32 v99, 0x10000, v95
	s_delay_alu instid0(VALU_DEP_2) | instskip(NEXT) | instid1(VALU_DEP_2)
	v_cmp_eq_u32_e32 vcc_lo, 0, v94
	v_cndmask_b32_e32 v94, v99, v95, vcc_lo
; %bb.26:
	s_or_b32 exec_lo, exec_lo, s2
	v_and_b32_e32 v95, 0x7f800000, v98
	s_delay_alu instid0(VALU_DEP_1) | instskip(SKIP_1) | instid1(SALU_CYCLE_1)
	v_cmp_ne_u32_e32 vcc_lo, 0x7f800000, v95
                                        ; implicit-def: $vgpr95
	s_and_saveexec_b32 s2, vcc_lo
	s_xor_b32 s2, exec_lo, s2
; %bb.27:
	v_bfe_u32 v95, v98, 16, 1
	s_delay_alu instid0(VALU_DEP_1)
	v_add3_u32 v95, v98, v95, 0x7fff
                                        ; implicit-def: $vgpr98
; %bb.28:
	s_and_not1_saveexec_b32 s2, s2
; %bb.29:
	v_and_b32_e32 v95, 0xffff, v98
	v_or_b32_e32 v99, 0x10000, v98
	s_delay_alu instid0(VALU_DEP_2) | instskip(NEXT) | instid1(VALU_DEP_2)
	v_cmp_eq_u32_e32 vcc_lo, 0, v95
	v_cndmask_b32_e32 v95, v99, v98, vcc_lo
; %bb.30:
	s_or_b32 exec_lo, exec_lo, s2
	v_and_b32_e32 v98, 0x7f800000, v97
	s_delay_alu instid0(VALU_DEP_1) | instskip(SKIP_1) | instid1(SALU_CYCLE_1)
	v_cmp_ne_u32_e32 vcc_lo, 0x7f800000, v98
                                        ; implicit-def: $vgpr98
	s_and_saveexec_b32 s2, vcc_lo
	s_xor_b32 s2, exec_lo, s2
; %bb.31:
	v_bfe_u32 v98, v97, 16, 1
	s_delay_alu instid0(VALU_DEP_1)
	v_add3_u32 v98, v97, v98, 0x7fff
                                        ; implicit-def: $vgpr97
; %bb.32:
	s_and_not1_saveexec_b32 s2, s2
; %bb.33:
	v_and_b32_e32 v98, 0xffff, v97
	v_or_b32_e32 v99, 0x10000, v97
	s_delay_alu instid0(VALU_DEP_2) | instskip(NEXT) | instid1(VALU_DEP_2)
	v_cmp_eq_u32_e32 vcc_lo, 0, v98
	v_cndmask_b32_e32 v98, v99, v97, vcc_lo
; %bb.34:
	s_or_b32 exec_lo, exec_lo, s2
	v_and_b32_e32 v97, 0x7f800000, v96
	s_delay_alu instid0(VALU_DEP_1) | instskip(SKIP_1) | instid1(SALU_CYCLE_1)
	v_cmp_ne_u32_e32 vcc_lo, 0x7f800000, v97
                                        ; implicit-def: $vgpr97
	s_and_saveexec_b32 s2, vcc_lo
	s_xor_b32 s2, exec_lo, s2
; %bb.35:
	v_bfe_u32 v97, v96, 16, 1
	s_delay_alu instid0(VALU_DEP_1)
	v_add3_u32 v97, v96, v97, 0x7fff
                                        ; implicit-def: $vgpr96
; %bb.36:
	s_and_not1_saveexec_b32 s2, s2
; %bb.37:
	v_and_b32_e32 v97, 0xffff, v96
	v_or_b32_e32 v99, 0x10000, v96
	s_delay_alu instid0(VALU_DEP_2) | instskip(NEXT) | instid1(VALU_DEP_2)
	v_cmp_eq_u32_e32 vcc_lo, 0, v97
	v_cndmask_b32_e32 v97, v99, v96, vcc_lo
; %bb.38:
	s_or_b32 exec_lo, exec_lo, s2
	v_and_b32_e32 v96, 0x7f800000, v93
	s_delay_alu instid0(VALU_DEP_1) | instskip(SKIP_1) | instid1(SALU_CYCLE_1)
	v_cmp_ne_u32_e32 vcc_lo, 0x7f800000, v96
                                        ; implicit-def: $vgpr96
	s_and_saveexec_b32 s2, vcc_lo
	s_xor_b32 s2, exec_lo, s2
; %bb.39:
	v_bfe_u32 v96, v93, 16, 1
	s_delay_alu instid0(VALU_DEP_1)
	v_add3_u32 v96, v93, v96, 0x7fff
                                        ; implicit-def: $vgpr93
; %bb.40:
	s_and_not1_saveexec_b32 s2, s2
; %bb.41:
	v_and_b32_e32 v96, 0xffff, v93
	v_or_b32_e32 v99, 0x10000, v93
	s_delay_alu instid0(VALU_DEP_2) | instskip(NEXT) | instid1(VALU_DEP_2)
	v_cmp_eq_u32_e32 vcc_lo, 0, v96
	v_cndmask_b32_e32 v96, v99, v93, vcc_lo
; %bb.42:
	s_or_b32 exec_lo, exec_lo, s2
	v_and_b32_e32 v93, 0x7f800000, v91
	s_delay_alu instid0(VALU_DEP_1) | instskip(SKIP_1) | instid1(SALU_CYCLE_1)
	v_cmp_ne_u32_e32 vcc_lo, 0x7f800000, v93
                                        ; implicit-def: $vgpr93
	s_and_saveexec_b32 s2, vcc_lo
	s_xor_b32 s2, exec_lo, s2
; %bb.43:
	v_bfe_u32 v93, v91, 16, 1
	s_delay_alu instid0(VALU_DEP_1)
	v_add3_u32 v93, v91, v93, 0x7fff
                                        ; implicit-def: $vgpr91
; %bb.44:
	s_and_not1_saveexec_b32 s2, s2
; %bb.45:
	v_and_b32_e32 v93, 0xffff, v91
	v_or_b32_e32 v99, 0x10000, v91
	s_delay_alu instid0(VALU_DEP_2) | instskip(NEXT) | instid1(VALU_DEP_2)
	v_cmp_eq_u32_e32 vcc_lo, 0, v93
	v_cndmask_b32_e32 v93, v99, v91, vcc_lo
; %bb.46:
	s_or_b32 exec_lo, exec_lo, s2
	s_load_b64 s[34:35], s[0:1], 0x94
	v_lshlrev_b32_e32 v91, 4, v83
	s_delay_alu instid0(VALU_DEP_2)
	v_perm_b32 v99, v93, v96, 0x7060302
	v_dual_mul_f32 v88, v89, v88 :: v_dual_lshlrev_b32 v93, 11, v73
	v_perm_b32 v96, v92, v90, 0x7060302
	v_mul_f32_e32 v92, v89, v76
	v_perm_b32 v98, v97, v98, 0x7060302
	v_perm_b32 v97, v95, v94, 0x7060302
	v_or3_b32 v76, v91, v93, v85
	v_mul_f32_e32 v87, v89, v87
	v_dual_mul_f32 v86, v89, v86 :: v_dual_and_b32 v93, 0x7f800000, v92
	v_mul_f32_e32 v80, v89, v80
	v_mul_f32_e32 v90, v89, v79
	;; [unrolled: 1-line block ×4, first 2 shown]
	s_mov_b32 s2, exec_lo
	ds_store_b128 v76, v[96:99]
                                        ; implicit-def: $vgpr77
	v_cmpx_ne_u32_e32 0x7f800000, v93
	s_xor_b32 s2, exec_lo, s2
; %bb.47:
	v_bfe_u32 v77, v92, 16, 1
	s_delay_alu instid0(VALU_DEP_1)
	v_add3_u32 v77, v92, v77, 0x7fff
                                        ; implicit-def: $vgpr92
; %bb.48:
	s_and_not1_saveexec_b32 s2, s2
; %bb.49:
	v_and_b32_e32 v77, 0xffff, v92
	v_or_b32_e32 v78, 0x10000, v92
	s_delay_alu instid0(VALU_DEP_2) | instskip(NEXT) | instid1(VALU_DEP_2)
	v_cmp_eq_u32_e32 vcc_lo, 0, v77
	v_cndmask_b32_e32 v77, v78, v92, vcc_lo
; %bb.50:
	s_or_b32 exec_lo, exec_lo, s2
	v_and_b32_e32 v78, 0x7f800000, v79
	s_delay_alu instid0(VALU_DEP_1) | instskip(SKIP_1) | instid1(SALU_CYCLE_1)
	v_cmp_ne_u32_e32 vcc_lo, 0x7f800000, v78
                                        ; implicit-def: $vgpr78
	s_and_saveexec_b32 s2, vcc_lo
	s_xor_b32 s2, exec_lo, s2
; %bb.51:
	v_bfe_u32 v78, v79, 16, 1
	s_delay_alu instid0(VALU_DEP_1)
	v_add3_u32 v78, v79, v78, 0x7fff
                                        ; implicit-def: $vgpr79
; %bb.52:
	s_and_not1_saveexec_b32 s2, s2
; %bb.53:
	v_and_b32_e32 v78, 0xffff, v79
	v_or_b32_e32 v89, 0x10000, v79
	s_delay_alu instid0(VALU_DEP_2) | instskip(NEXT) | instid1(VALU_DEP_2)
	v_cmp_eq_u32_e32 vcc_lo, 0, v78
	v_cndmask_b32_e32 v78, v89, v79, vcc_lo
; %bb.54:
	s_or_b32 exec_lo, exec_lo, s2
	v_and_b32_e32 v79, 0x7f800000, v91
	s_delay_alu instid0(VALU_DEP_1) | instskip(SKIP_1) | instid1(SALU_CYCLE_1)
	v_cmp_ne_u32_e32 vcc_lo, 0x7f800000, v79
                                        ; implicit-def: $vgpr79
	s_and_saveexec_b32 s2, vcc_lo
	s_xor_b32 s2, exec_lo, s2
; %bb.55:
	v_bfe_u32 v79, v91, 16, 1
	s_delay_alu instid0(VALU_DEP_1)
	v_add3_u32 v79, v91, v79, 0x7fff
                                        ; implicit-def: $vgpr91
; %bb.56:
	s_and_not1_saveexec_b32 s2, s2
; %bb.57:
	v_and_b32_e32 v79, 0xffff, v91
	v_or_b32_e32 v89, 0x10000, v91
	s_delay_alu instid0(VALU_DEP_2) | instskip(NEXT) | instid1(VALU_DEP_2)
	v_cmp_eq_u32_e32 vcc_lo, 0, v79
	v_cndmask_b32_e32 v79, v89, v91, vcc_lo
; %bb.58:
	s_or_b32 exec_lo, exec_lo, s2
	v_and_b32_e32 v89, 0x7f800000, v90
	s_delay_alu instid0(VALU_DEP_1) | instskip(SKIP_1) | instid1(SALU_CYCLE_1)
	v_cmp_ne_u32_e32 vcc_lo, 0x7f800000, v89
                                        ; implicit-def: $vgpr89
	s_and_saveexec_b32 s2, vcc_lo
	s_xor_b32 s2, exec_lo, s2
; %bb.59:
	v_bfe_u32 v89, v90, 16, 1
	s_delay_alu instid0(VALU_DEP_1)
	v_add3_u32 v89, v90, v89, 0x7fff
                                        ; implicit-def: $vgpr90
; %bb.60:
	s_and_not1_saveexec_b32 s2, s2
; %bb.61:
	v_and_b32_e32 v89, 0xffff, v90
	v_or_b32_e32 v91, 0x10000, v90
	s_delay_alu instid0(VALU_DEP_2) | instskip(NEXT) | instid1(VALU_DEP_2)
	v_cmp_eq_u32_e32 vcc_lo, 0, v89
	v_cndmask_b32_e32 v89, v91, v90, vcc_lo
; %bb.62:
	s_or_b32 exec_lo, exec_lo, s2
	v_and_b32_e32 v90, 0x7f800000, v80
	s_delay_alu instid0(VALU_DEP_1) | instskip(SKIP_1) | instid1(SALU_CYCLE_1)
	v_cmp_ne_u32_e32 vcc_lo, 0x7f800000, v90
                                        ; implicit-def: $vgpr90
	s_and_saveexec_b32 s2, vcc_lo
	s_xor_b32 s2, exec_lo, s2
; %bb.63:
	v_bfe_u32 v90, v80, 16, 1
	s_delay_alu instid0(VALU_DEP_1)
	v_add3_u32 v90, v80, v90, 0x7fff
                                        ; implicit-def: $vgpr80
; %bb.64:
	s_and_not1_saveexec_b32 s2, s2
; %bb.65:
	v_and_b32_e32 v90, 0xffff, v80
	v_or_b32_e32 v91, 0x10000, v80
	s_delay_alu instid0(VALU_DEP_2) | instskip(NEXT) | instid1(VALU_DEP_2)
	v_cmp_eq_u32_e32 vcc_lo, 0, v90
	v_cndmask_b32_e32 v90, v91, v80, vcc_lo
; %bb.66:
	s_or_b32 exec_lo, exec_lo, s2
	v_and_b32_e32 v80, 0x7f800000, v86
	s_delay_alu instid0(VALU_DEP_1) | instskip(SKIP_1) | instid1(SALU_CYCLE_1)
	v_cmp_ne_u32_e32 vcc_lo, 0x7f800000, v80
                                        ; implicit-def: $vgpr80
	s_and_saveexec_b32 s2, vcc_lo
	s_xor_b32 s2, exec_lo, s2
; %bb.67:
	v_bfe_u32 v80, v86, 16, 1
	s_delay_alu instid0(VALU_DEP_1)
	v_add3_u32 v80, v86, v80, 0x7fff
                                        ; implicit-def: $vgpr86
; %bb.68:
	s_and_not1_saveexec_b32 s2, s2
; %bb.69:
	v_and_b32_e32 v80, 0xffff, v86
	v_or_b32_e32 v91, 0x10000, v86
	s_delay_alu instid0(VALU_DEP_2) | instskip(NEXT) | instid1(VALU_DEP_2)
	v_cmp_eq_u32_e32 vcc_lo, 0, v80
	v_cndmask_b32_e32 v80, v91, v86, vcc_lo
; %bb.70:
	s_or_b32 exec_lo, exec_lo, s2
	v_and_b32_e32 v86, 0x7f800000, v87
	s_delay_alu instid0(VALU_DEP_1) | instskip(SKIP_1) | instid1(SALU_CYCLE_1)
	v_cmp_ne_u32_e32 vcc_lo, 0x7f800000, v86
                                        ; implicit-def: $vgpr86
	s_and_saveexec_b32 s2, vcc_lo
	s_xor_b32 s2, exec_lo, s2
; %bb.71:
	v_bfe_u32 v86, v87, 16, 1
	s_delay_alu instid0(VALU_DEP_1)
	v_add3_u32 v86, v87, v86, 0x7fff
                                        ; implicit-def: $vgpr87
; %bb.72:
	s_and_not1_saveexec_b32 s2, s2
; %bb.73:
	v_and_b32_e32 v86, 0xffff, v87
	v_or_b32_e32 v91, 0x10000, v87
	s_delay_alu instid0(VALU_DEP_2) | instskip(NEXT) | instid1(VALU_DEP_2)
	v_cmp_eq_u32_e32 vcc_lo, 0, v86
	v_cndmask_b32_e32 v86, v91, v87, vcc_lo
; %bb.74:
	s_or_b32 exec_lo, exec_lo, s2
	v_and_b32_e32 v87, 0x7f800000, v88
	s_delay_alu instid0(VALU_DEP_1) | instskip(SKIP_1) | instid1(SALU_CYCLE_1)
	v_cmp_ne_u32_e32 vcc_lo, 0x7f800000, v87
                                        ; implicit-def: $vgpr87
	s_and_saveexec_b32 s2, vcc_lo
	s_xor_b32 s2, exec_lo, s2
; %bb.75:
	v_bfe_u32 v87, v88, 16, 1
	s_delay_alu instid0(VALU_DEP_1)
	v_add3_u32 v87, v88, v87, 0x7fff
                                        ; implicit-def: $vgpr88
; %bb.76:
	s_and_not1_saveexec_b32 s2, s2
; %bb.77:
	v_and_b32_e32 v87, 0xffff, v88
	v_or_b32_e32 v91, 0x10000, v88
	s_delay_alu instid0(VALU_DEP_2) | instskip(NEXT) | instid1(VALU_DEP_2)
	v_cmp_eq_u32_e32 vcc_lo, 0, v87
	v_cndmask_b32_e32 v87, v91, v88, vcc_lo
; %bb.78:
	s_or_b32 exec_lo, exec_lo, s2
	s_delay_alu instid0(VALU_DEP_1)
	v_perm_b32 v94, v87, v86, 0x7060302
	v_perm_b32 v93, v80, v90, 0x7060302
	;; [unrolled: 1-line block ×4, first 2 shown]
	v_lshl_or_b32 v90, v73, 11, v85
	ds_store_b128 v76, v[91:94] offset:1024
	s_waitcnt lgkmcnt(0)
	s_barrier
	buffer_gl0_inv
	ds_load_b128 v[77:80], v90
	ds_load_b128 v[91:94], v90 offset:16
	s_waitcnt lgkmcnt(1)
	v_lshrrev_b32_e32 v73, 16, v77
	s_waitcnt lgkmcnt(0)
	v_lshrrev_b32_e32 v108, 16, v94
	v_lshlrev_b32_e32 v87, 2, v83
	v_lshrrev_b32_e32 v99, 16, v91
	v_lshrrev_b32_e32 v103, 16, v78
	;; [unrolled: 1-line block ×4, first 2 shown]
	v_or_b32_e32 v88, 1, v87
	v_cmp_eq_u32_e32 vcc_lo, 1, v87
	v_cmp_eq_u32_e64 s3, 2, v87
	v_cmp_eq_u32_e64 s6, 3, v87
	;; [unrolled: 1-line block ×4, first 2 shown]
	v_cndmask_b32_e32 v89, v77, v73, vcc_lo
	v_cndmask_b32_e32 v95, v91, v99, vcc_lo
	v_cmp_eq_u32_e64 s5, 2, v88
	v_cmp_eq_u32_e64 s7, 3, v88
	v_cndmask_b32_e64 v96, v77, v73, s2
	v_cndmask_b32_e64 v89, v89, v78, s3
	;; [unrolled: 1-line block ×3, first 2 shown]
	v_or_b32_e32 v86, 2, v87
	v_lshrrev_b32_e32 v107, 16, v93
	v_cndmask_b32_e64 v96, v96, v78, s5
	v_cndmask_b32_e64 v89, v89, v103, s6
	;; [unrolled: 1-line block ×4, first 2 shown]
	v_cmp_eq_u32_e64 s9, 5, v87
	v_cndmask_b32_e64 v96, v96, v103, s7
	v_cndmask_b32_e64 v89, v89, v79, s8
	;; [unrolled: 1-line block ×3, first 2 shown]
	v_cmp_eq_u32_e64 s10, 4, v88
	v_cmp_eq_u32_e64 s4, 1, v86
	v_cndmask_b32_e64 v97, v97, v92, s5
	v_cndmask_b32_e64 v89, v89, v104, s9
	v_cmp_eq_u32_e64 s11, 6, v87
	v_cndmask_b32_e64 v96, v96, v79, s10
	v_cndmask_b32_e64 v95, v95, v107, s9
	v_cmp_eq_u32_e64 s12, 5, v88
	v_lshrrev_b32_e32 v105, 16, v80
	v_cndmask_b32_e64 v98, v77, v73, s4
	v_cndmask_b32_e64 v97, v97, v106, s7
	;; [unrolled: 1-line block ×4, first 2 shown]
	v_cmp_eq_u32_e64 s13, 7, v87
	v_cndmask_b32_e64 v95, v95, v94, s11
	v_cmp_eq_u32_e64 s15, 6, v88
	v_cmp_eq_u32_e64 s16, 2, v86
	v_cndmask_b32_e64 v97, v97, v93, s10
	v_cndmask_b32_e64 v109, v89, v105, s13
	;; [unrolled: 1-line block ×6, first 2 shown]
	v_cmp_eq_u32_e64 s17, 7, v88
	v_cmp_eq_u32_e64 s18, 3, v86
	;; [unrolled: 1-line block ×4, first 2 shown]
	v_cndmask_b32_e64 v95, v95, v92, s16
	v_cndmask_b32_e64 v111, v96, v105, s17
	;; [unrolled: 1-line block ×4, first 2 shown]
	v_or_b32_e32 v89, 3, v87
	v_cndmask_b32_e64 v101, v95, v106, s18
	v_cmp_eq_u32_e64 s23, 6, v86
	v_cndmask_b32_e64 v112, v96, v94, s15
	v_cndmask_b32_e64 v100, v97, v79, s19
	v_cmp_eq_u32_e64 s20, 1, v89
	ds_load_b128 v[95:98], v90 offset:1024
	v_cmp_eq_u32_e64 s22, 2, v89
	v_cmp_eq_u32_e64 s24, 3, v89
	v_cndmask_b32_e64 v113, v100, v104, s21
	v_cndmask_b32_e64 v73, v77, v73, s20
	v_cndmask_b32_e64 v77, v101, v93, s19
	v_cndmask_b32_e64 v91, v91, v99, s20
	ds_load_b128 v[99:102], v90 offset:1040
	v_cmp_eq_u32_e64 s25, 4, v89
	v_cndmask_b32_e64 v73, v73, v78, s22
	v_cmp_eq_u32_e64 s26, 7, v86
	v_cndmask_b32_e64 v78, v91, v92, s22
	v_cndmask_b32_e64 v92, v113, v80, s23
	v_cmp_eq_u32_e64 s27, 5, v89
	v_cndmask_b32_e64 v73, v73, v103, s24
	v_cndmask_b32_e64 v77, v77, v107, s21
	;; [unrolled: 1-line block ×3, first 2 shown]
	v_cmp_eq_u32_e64 s28, 6, v89
	v_cndmask_b32_e64 v91, v112, v108, s17
	v_cndmask_b32_e64 v73, v73, v79, s25
	s_waitcnt lgkmcnt(1)
	v_lshrrev_b32_e32 v103, 16, v95
	v_cndmask_b32_e64 v78, v78, v93, s25
	v_cndmask_b32_e64 v79, v92, v105, s26
	;; [unrolled: 1-line block ×4, first 2 shown]
	v_cndmask_b32_e32 v92, v95, v103, vcc_lo
	v_cndmask_b32_e64 v78, v78, v107, s27
	s_waitcnt lgkmcnt(0)
	v_lshrrev_b32_e32 v93, 16, v99
	v_lshrrev_b32_e32 v104, 16, v96
	v_cndmask_b32_e64 v106, v95, v103, s2
	v_cndmask_b32_e64 v92, v92, v96, s3
	;; [unrolled: 1-line block ×3, first 2 shown]
	v_cndmask_b32_e32 v107, v99, v93, vcc_lo
	v_cndmask_b32_e64 v78, v78, v94, s28
	v_cmp_eq_u32_e32 vcc_lo, 7, v89
	v_cndmask_b32_e64 v80, v92, v104, s6
	v_cndmask_b32_e64 v92, v106, v96, s5
	;; [unrolled: 1-line block ×3, first 2 shown]
	v_lshrrev_b32_e32 v106, 16, v100
	v_cndmask_b32_e64 v77, v77, v108, s26
	v_cndmask_b32_e32 v78, v78, v108, vcc_lo
	v_lshrrev_b32_e32 v108, 16, v101
	v_cndmask_b32_e64 v80, v80, v97, s8
	v_cndmask_b32_e64 v94, v94, v106, s6
	v_lshrrev_b32_e32 v107, 16, v97
	v_cndmask_b32_e32 v73, v73, v105, vcc_lo
	v_perm_b32 v79, v77, v79, 0x5040100
	v_cndmask_b32_e64 v92, v92, v104, s7
	v_cndmask_b32_e64 v94, v94, v101, s8
	;; [unrolled: 1-line block ×3, first 2 shown]
	v_perm_b32 v80, v78, v73, 0x5040100
	v_perm_b32 v78, v91, v111, 0x5040100
	v_cndmask_b32_e64 v111, v99, v93, s4
	v_cndmask_b32_e64 v94, v94, v108, s9
	v_cndmask_b32_e64 v92, v92, v97, s10
	s_delay_alu instid0(VALU_DEP_2)
	v_cndmask_b32_e64 v77, v94, v102, s11
	v_cndmask_b32_e64 v94, v95, v103, s4
	;; [unrolled: 1-line block ×22, first 2 shown]
	v_lshrrev_b32_e32 v105, 16, v98
	v_cndmask_b32_e64 v94, v94, v107, s21
	v_cndmask_b32_e64 v95, v95, v107, s27
	v_cndmask_b32_e64 v96, v96, v108, s27
	v_cndmask_b32_e64 v97, v97, v108, s21
	v_cndmask_b32_e64 v93, v93, v108, s12
	v_cndmask_b32_e64 v73, v73, v98, s15
	v_cndmask_b32_e64 v91, v92, v105, s13
	v_lshrrev_b32_e32 v92, 16, v102
	v_cndmask_b32_e64 v94, v94, v98, s23
	v_cndmask_b32_e64 v95, v95, v98, s28
	;; [unrolled: 1-line block ×7, first 2 shown]
	v_dual_cndmask_b32 v94, v95, v105 :: v_dual_cndmask_b32 v95, v96, v92
	v_cndmask_b32_e64 v96, v97, v92, s26
	v_cndmask_b32_e64 v97, v93, v92, s17
	;; [unrolled: 1-line block ×3, first 2 shown]
	v_perm_b32 v77, v110, v109, 0x5040100
	v_perm_b32 v94, v95, v94, 0x5040100
	;; [unrolled: 1-line block ×5, first 2 shown]
	s_lshl_b32 s7, s35, 3
	s_mov_b32 s2, exec_lo
	ds_store_b128 v76, v[77:80]
	ds_store_b128 v76, v[91:94] offset:1024
	v_cmpx_gt_u32_e32 8, v0
	s_cbranch_execz .LBB757_80
; %bb.79:
	v_or_b32_e32 v73, s29, v0
	s_load_b128 s[8:11], s[0:1], 0x58
	s_delay_alu instid0(VALU_DEP_1) | instskip(NEXT) | instid1(VALU_DEP_1)
	v_mad_u64_u32 v[76:77], null, s7, s30, v[73:74]
	v_mad_u64_u32 v[77:78], null, v76, s34, s[14:15]
	s_delay_alu instid0(VALU_DEP_1) | instskip(NEXT) | instid1(VALU_DEP_1)
	v_ashrrev_i32_e32 v78, 31, v77
	v_lshlrev_b64 v[76:77], 2, v[77:78]
	s_waitcnt lgkmcnt(0)
	s_delay_alu instid0(VALU_DEP_1) | instskip(NEXT) | instid1(VALU_DEP_2)
	v_add_co_u32 v78, vcc_lo, s10, v76
	v_add_co_ci_u32_e32 v79, vcc_lo, s11, v77, vcc_lo
	v_add_co_u32 v76, vcc_lo, s8, v76
	v_add_co_ci_u32_e32 v77, vcc_lo, s9, v77, vcc_lo
	global_store_b32 v[78:79], v74, off
	global_store_b32 v[76:77], v75, off
.LBB757_80:
	s_or_b32 exec_lo, exec_lo, s2
	s_waitcnt lgkmcnt(0)
	s_waitcnt_vscnt null, 0x0
	s_barrier
	buffer_gl0_inv
	ds_load_b128 v[91:94], v85
	ds_load_b128 v[95:98], v85 offset:16
	ds_load_b128 v[103:106], v85 offset:1040
	;; [unrolled: 1-line block ×3, first 2 shown]
	v_mov_b32_e32 v73, 0
	ds_load_b128 v[111:114], v85 offset:2064
	ds_load_b128 v[107:110], v85 offset:2048
	;; [unrolled: 1-line block ×6, first 2 shown]
	v_mov_b32_e32 v74, v73
	v_mov_b32_e32 v75, v73
	;; [unrolled: 1-line block ×7, first 2 shown]
	s_waitcnt lgkmcnt(8)
	s_delay_alu instid0(VALU_DEP_1)
	v_wmma_f32_16x16x16_bf16 v[73:80], v[65:72], v[91:98], v[73:80]
	ds_load_b128 v[69:72], v85 offset:5136
	ds_load_b128 v[65:68], v85 offset:5120
	;; [unrolled: 1-line block ×4, first 2 shown]
	s_waitcnt lgkmcnt(10)
	v_wmma_f32_16x16x16_bf16 v[73:80], v[57:64], v[99:106], v[73:80]
	s_waitcnt lgkmcnt(8)
	s_delay_alu instid0(VALU_DEP_1)
	v_wmma_f32_16x16x16_bf16 v[73:80], v[57:64], v[107:114], v[73:80]
	ds_load_b128 v[61:64], v85 offset:7184
	ds_load_b128 v[57:60], v85 offset:7168
	;; [unrolled: 1-line block ×4, first 2 shown]
	s_waitcnt lgkmcnt(10)
	v_wmma_f32_16x16x16_bf16 v[73:80], v[49:56], v[115:122], v[73:80]
	s_waitcnt lgkmcnt(8)
	s_delay_alu instid0(VALU_DEP_1)
	v_wmma_f32_16x16x16_bf16 v[73:80], v[49:56], v[123:130], v[73:80]
	ds_load_b128 v[53:56], v85 offset:9232
	ds_load_b128 v[49:52], v85 offset:9216
	s_waitcnt lgkmcnt(8)
	v_wmma_f32_16x16x16_bf16 v[73:80], v[41:48], v[65:72], v[73:80]
	ds_load_b128 v[69:72], v85 offset:10256
	ds_load_b128 v[65:68], v85 offset:10240
	s_waitcnt lgkmcnt(8)
	;; [unrolled: 4-line block ×3, first 2 shown]
	v_wmma_f32_16x16x16_bf16 v[73:80], v[9:16], v[57:64], v[73:80]
	s_waitcnt lgkmcnt(6)
	s_delay_alu instid0(VALU_DEP_1)
	v_wmma_f32_16x16x16_bf16 v[73:80], v[9:16], v[99:106], v[73:80]
	ds_load_b128 v[13:16], v85 offset:12304
	ds_load_b128 v[9:12], v85 offset:12288
	s_waitcnt lgkmcnt(6)
	v_wmma_f32_16x16x16_bf16 v[73:80], v[1:8], v[49:56], v[73:80]
	ds_load_b128 v[53:56], v85 offset:13328
	ds_load_b128 v[49:52], v85 offset:13312
	s_waitcnt lgkmcnt(6)
	;; [unrolled: 4-line block ×4, first 2 shown]
	v_wmma_f32_16x16x16_bf16 v[73:80], v[33:40], v[9:16], v[73:80]
	s_waitcnt lgkmcnt(4)
	s_delay_alu instid0(VALU_DEP_1) | instskip(SKIP_1) | instid1(VALU_DEP_1)
	v_wmma_f32_16x16x16_bf16 v[73:80], v[25:32], v[49:56], v[73:80]
	s_waitcnt lgkmcnt(2)
	v_wmma_f32_16x16x16_bf16 v[73:80], v[25:32], v[1:8], v[73:80]
	s_waitcnt lgkmcnt(0)
	s_delay_alu instid0(VALU_DEP_1) | instskip(NEXT) | instid1(VALU_DEP_1)
	v_wmma_f32_16x16x16_bf16 v[73:80], v[17:24], v[41:48], v[73:80]
	v_and_b32_e32 v1, 0x7f800000, v73
	s_delay_alu instid0(VALU_DEP_1) | instskip(SKIP_1) | instid1(SALU_CYCLE_1)
	v_cmp_ne_u32_e32 vcc_lo, 0x7f800000, v1
                                        ; implicit-def: $vgpr1
	s_and_saveexec_b32 s2, vcc_lo
	s_xor_b32 s2, exec_lo, s2
; %bb.81:
	v_bfe_u32 v1, v73, 16, 1
	s_delay_alu instid0(VALU_DEP_1)
	v_add3_u32 v1, v73, v1, 0x7fff
; %bb.82:
	s_and_not1_saveexec_b32 s2, s2
; %bb.83:
	v_and_b32_e32 v1, 0xffff, v73
	v_or_b32_e32 v2, 0x10000, v73
	s_delay_alu instid0(VALU_DEP_2) | instskip(NEXT) | instid1(VALU_DEP_2)
	v_cmp_eq_u32_e32 vcc_lo, 0, v1
	v_cndmask_b32_e32 v1, v2, v73, vcc_lo
; %bb.84:
	s_or_b32 exec_lo, exec_lo, s2
	v_and_b32_e32 v2, 0x7f800000, v74
	s_delay_alu instid0(VALU_DEP_1) | instskip(SKIP_1) | instid1(SALU_CYCLE_1)
	v_cmp_ne_u32_e32 vcc_lo, 0x7f800000, v2
                                        ; implicit-def: $vgpr2
	s_and_saveexec_b32 s2, vcc_lo
	s_xor_b32 s2, exec_lo, s2
; %bb.85:
	v_bfe_u32 v2, v74, 16, 1
	s_delay_alu instid0(VALU_DEP_1)
	v_add3_u32 v2, v74, v2, 0x7fff
; %bb.86:
	s_and_not1_saveexec_b32 s2, s2
; %bb.87:
	v_and_b32_e32 v2, 0xffff, v74
	v_or_b32_e32 v3, 0x10000, v74
	s_delay_alu instid0(VALU_DEP_2) | instskip(NEXT) | instid1(VALU_DEP_2)
	v_cmp_eq_u32_e32 vcc_lo, 0, v2
	v_cndmask_b32_e32 v2, v3, v74, vcc_lo
; %bb.88:
	s_or_b32 exec_lo, exec_lo, s2
	v_and_b32_e32 v3, 0x7f800000, v75
	s_delay_alu instid0(VALU_DEP_1) | instskip(SKIP_1) | instid1(SALU_CYCLE_1)
	v_cmp_ne_u32_e32 vcc_lo, 0x7f800000, v3
                                        ; implicit-def: $vgpr3
	s_and_saveexec_b32 s2, vcc_lo
	s_xor_b32 s2, exec_lo, s2
; %bb.89:
	v_bfe_u32 v3, v75, 16, 1
	s_delay_alu instid0(VALU_DEP_1)
	v_add3_u32 v3, v75, v3, 0x7fff
; %bb.90:
	s_and_not1_saveexec_b32 s2, s2
; %bb.91:
	v_and_b32_e32 v3, 0xffff, v75
	v_or_b32_e32 v4, 0x10000, v75
	s_delay_alu instid0(VALU_DEP_2) | instskip(NEXT) | instid1(VALU_DEP_2)
	v_cmp_eq_u32_e32 vcc_lo, 0, v3
	v_cndmask_b32_e32 v3, v4, v75, vcc_lo
; %bb.92:
	s_or_b32 exec_lo, exec_lo, s2
	v_and_b32_e32 v4, 0x7f800000, v76
	s_delay_alu instid0(VALU_DEP_1) | instskip(SKIP_1) | instid1(SALU_CYCLE_1)
	v_cmp_ne_u32_e32 vcc_lo, 0x7f800000, v4
                                        ; implicit-def: $vgpr4
	s_and_saveexec_b32 s2, vcc_lo
	s_xor_b32 s2, exec_lo, s2
; %bb.93:
	v_bfe_u32 v4, v76, 16, 1
	s_delay_alu instid0(VALU_DEP_1)
	v_add3_u32 v4, v76, v4, 0x7fff
; %bb.94:
	s_and_not1_saveexec_b32 s2, s2
; %bb.95:
	v_and_b32_e32 v4, 0xffff, v76
	v_or_b32_e32 v5, 0x10000, v76
	s_delay_alu instid0(VALU_DEP_2) | instskip(NEXT) | instid1(VALU_DEP_2)
	v_cmp_eq_u32_e32 vcc_lo, 0, v4
	v_cndmask_b32_e32 v4, v5, v76, vcc_lo
; %bb.96:
	s_or_b32 exec_lo, exec_lo, s2
	v_and_b32_e32 v5, 0x7f800000, v77
	s_delay_alu instid0(VALU_DEP_1) | instskip(SKIP_1) | instid1(SALU_CYCLE_1)
	v_cmp_ne_u32_e32 vcc_lo, 0x7f800000, v5
                                        ; implicit-def: $vgpr5
	s_and_saveexec_b32 s2, vcc_lo
	s_xor_b32 s2, exec_lo, s2
; %bb.97:
	v_bfe_u32 v5, v77, 16, 1
	s_delay_alu instid0(VALU_DEP_1)
	v_add3_u32 v5, v77, v5, 0x7fff
; %bb.98:
	s_and_not1_saveexec_b32 s2, s2
; %bb.99:
	v_and_b32_e32 v5, 0xffff, v77
	v_or_b32_e32 v6, 0x10000, v77
	s_delay_alu instid0(VALU_DEP_2) | instskip(NEXT) | instid1(VALU_DEP_2)
	v_cmp_eq_u32_e32 vcc_lo, 0, v5
	v_cndmask_b32_e32 v5, v6, v77, vcc_lo
; %bb.100:
	s_or_b32 exec_lo, exec_lo, s2
	v_and_b32_e32 v6, 0x7f800000, v78
	s_delay_alu instid0(VALU_DEP_1) | instskip(SKIP_1) | instid1(SALU_CYCLE_1)
	v_cmp_ne_u32_e32 vcc_lo, 0x7f800000, v6
                                        ; implicit-def: $vgpr6
	s_and_saveexec_b32 s2, vcc_lo
	s_xor_b32 s2, exec_lo, s2
; %bb.101:
	v_bfe_u32 v6, v78, 16, 1
	s_delay_alu instid0(VALU_DEP_1)
	v_add3_u32 v6, v78, v6, 0x7fff
; %bb.102:
	s_and_not1_saveexec_b32 s2, s2
; %bb.103:
	v_and_b32_e32 v6, 0xffff, v78
	v_or_b32_e32 v7, 0x10000, v78
	s_delay_alu instid0(VALU_DEP_2) | instskip(NEXT) | instid1(VALU_DEP_2)
	v_cmp_eq_u32_e32 vcc_lo, 0, v6
	v_cndmask_b32_e32 v6, v7, v78, vcc_lo
; %bb.104:
	s_or_b32 exec_lo, exec_lo, s2
	v_and_b32_e32 v7, 0x7f800000, v79
	s_delay_alu instid0(VALU_DEP_1) | instskip(SKIP_1) | instid1(SALU_CYCLE_1)
	v_cmp_ne_u32_e32 vcc_lo, 0x7f800000, v7
                                        ; implicit-def: $vgpr7
	s_and_saveexec_b32 s2, vcc_lo
	s_xor_b32 s2, exec_lo, s2
; %bb.105:
	v_bfe_u32 v7, v79, 16, 1
	s_delay_alu instid0(VALU_DEP_1)
	v_add3_u32 v7, v79, v7, 0x7fff
; %bb.106:
	s_and_not1_saveexec_b32 s2, s2
; %bb.107:
	v_and_b32_e32 v7, 0xffff, v79
	v_or_b32_e32 v8, 0x10000, v79
	s_delay_alu instid0(VALU_DEP_2) | instskip(NEXT) | instid1(VALU_DEP_2)
	v_cmp_eq_u32_e32 vcc_lo, 0, v7
	v_cndmask_b32_e32 v7, v8, v79, vcc_lo
; %bb.108:
	s_or_b32 exec_lo, exec_lo, s2
	v_and_b32_e32 v8, 0x7f800000, v80
	s_delay_alu instid0(VALU_DEP_1) | instskip(SKIP_1) | instid1(SALU_CYCLE_1)
	v_cmp_ne_u32_e32 vcc_lo, 0x7f800000, v8
                                        ; implicit-def: $vgpr8
	s_and_saveexec_b32 s2, vcc_lo
	s_xor_b32 s2, exec_lo, s2
; %bb.109:
	v_bfe_u32 v8, v80, 16, 1
	s_delay_alu instid0(VALU_DEP_1)
	v_add3_u32 v8, v80, v8, 0x7fff
                                        ; implicit-def: $vgpr73_vgpr74_vgpr75_vgpr76_vgpr77_vgpr78_vgpr79_vgpr80
; %bb.110:
	s_and_not1_saveexec_b32 s2, s2
; %bb.111:
	v_and_b32_e32 v8, 0xffff, v80
	v_or_b32_e32 v9, 0x10000, v80
	s_delay_alu instid0(VALU_DEP_2) | instskip(NEXT) | instid1(VALU_DEP_2)
	v_cmp_eq_u32_e32 vcc_lo, 0, v8
	v_cndmask_b32_e32 v8, v9, v80, vcc_lo
; %bb.112:
	s_or_b32 exec_lo, exec_lo, s2
	s_delay_alu instid0(VALU_DEP_1)
	v_perm_b32 v7, v8, v7, 0x7060302
	v_perm_b32 v6, v6, v5, 0x7060302
	;; [unrolled: 1-line block ×4, first 2 shown]
	v_lshl_or_b32 v9, v83, 4, v90
	s_barrier
	buffer_gl0_inv
	v_cmp_eq_u32_e32 vcc_lo, 1, v87
	ds_store_b128 v9, v[4:7]
	s_waitcnt lgkmcnt(0)
	s_barrier
	buffer_gl0_inv
	ds_load_b128 v[1:4], v90
	ds_load_b128 v[5:8], v90 offset:16
	v_cmp_eq_u32_e64 s3, 2, v87
	v_cmp_eq_u32_e64 s2, 1, v88
	;; [unrolled: 1-line block ×5, first 2 shown]
	s_waitcnt lgkmcnt(1)
	v_lshrrev_b32_e32 v10, 16, v1
	s_waitcnt lgkmcnt(0)
	v_lshrrev_b32_e32 v14, 16, v5
	v_lshrrev_b32_e32 v15, 16, v6
	;; [unrolled: 1-line block ×4, first 2 shown]
	v_cndmask_b32_e64 v20, v1, v10, s2
	v_cndmask_b32_e32 v19, v5, v14, vcc_lo
	v_cndmask_b32_e64 v21, v5, v14, s2
	v_lshrrev_b32_e32 v16, 16, v7
	v_cmp_eq_u32_e64 s2, 1, v86
	v_lshrrev_b32_e32 v13, 16, v4
	v_cndmask_b32_e64 v19, v19, v6, s3
	v_lshrrev_b32_e32 v17, 16, v8
	s_delay_alu instid0(VALU_DEP_4) | instskip(SKIP_1) | instid1(VALU_DEP_4)
	v_cndmask_b32_e64 v22, v1, v10, s2
	v_cndmask_b32_e64 v23, v5, v14, s2
	;; [unrolled: 1-line block ×3, first 2 shown]
	v_cndmask_b32_e32 v18, v1, v10, vcc_lo
	v_cmp_eq_u32_e32 vcc_lo, 2, v88
	v_cmp_eq_u32_e64 s2, 2, v89
	v_cndmask_b32_e64 v22, v22, v2, s6
	v_cndmask_b32_e32 v20, v20, v2, vcc_lo
	v_cndmask_b32_e32 v21, v21, v6, vcc_lo
	v_cmp_eq_u32_e32 vcc_lo, 4, v87
	v_cndmask_b32_e32 v19, v19, v7, vcc_lo
	v_cndmask_b32_e64 v18, v18, v2, s3
	v_cmp_eq_u32_e64 s3, 3, v88
	s_delay_alu instid0(VALU_DEP_2) | instskip(NEXT) | instid1(VALU_DEP_2)
	v_cndmask_b32_e64 v18, v18, v11, s4
	v_cndmask_b32_e64 v21, v21, v15, s3
	v_cmp_eq_u32_e64 s4, 5, v87
	s_delay_alu instid0(VALU_DEP_3) | instskip(SKIP_1) | instid1(VALU_DEP_3)
	v_cndmask_b32_e32 v18, v18, v3, vcc_lo
	v_cmp_eq_u32_e32 vcc_lo, 4, v88
	v_cndmask_b32_e64 v19, v19, v16, s4
	s_delay_alu instid0(VALU_DEP_3) | instskip(SKIP_4) | instid1(VALU_DEP_3)
	v_cndmask_b32_e64 v18, v18, v12, s4
	v_cndmask_b32_e32 v21, v21, v7, vcc_lo
	v_cndmask_b32_e64 v20, v20, v11, s3
	v_cmp_eq_u32_e64 s3, 5, v88
	v_cmp_eq_u32_e64 s4, 6, v87
	v_cndmask_b32_e32 v20, v20, v3, vcc_lo
	s_delay_alu instid0(VALU_DEP_3) | instskip(SKIP_1) | instid1(VALU_DEP_4)
	v_cndmask_b32_e64 v21, v21, v16, s3
	v_cmp_eq_u32_e32 vcc_lo, 6, v88
	v_cndmask_b32_e64 v18, v18, v4, s4
	v_cndmask_b32_e64 v19, v19, v8, s4
	;; [unrolled: 1-line block ×3, first 2 shown]
	v_cmp_eq_u32_e64 s3, 1, v89
	v_cmp_eq_u32_e64 s4, 7, v87
	s_delay_alu instid0(VALU_DEP_3) | instskip(NEXT) | instid1(VALU_DEP_3)
	v_cndmask_b32_e32 v20, v20, v4, vcc_lo
	v_cndmask_b32_e64 v1, v1, v10, s3
	v_cndmask_b32_e64 v5, v5, v14, s3
	v_cmp_eq_u32_e64 s3, 3, v86
	v_cndmask_b32_e64 v14, v23, v6, s6
	v_cmp_eq_u32_e64 s6, 3, v89
	v_cndmask_b32_e64 v1, v1, v2, s2
	v_cndmask_b32_e64 v2, v5, v6, s2
	;; [unrolled: 1-line block ×3, first 2 shown]
	v_cmp_eq_u32_e64 s2, 4, v86
	v_cndmask_b32_e64 v6, v14, v15, s3
	v_cndmask_b32_e64 v1, v1, v11, s6
	v_cmp_eq_u32_e64 s3, 4, v89
	v_cndmask_b32_e64 v2, v2, v15, s6
	v_cndmask_b32_e64 v5, v10, v3, s2
	;; [unrolled: 3-line block ×3, first 2 shown]
	v_cndmask_b32_e64 v2, v2, v7, s3
	v_cmp_eq_u32_e64 s2, 5, v89
	v_cndmask_b32_e64 v5, v5, v12, s6
	v_cmp_eq_u32_e64 s3, 6, v86
	;; [unrolled: 2-line block ×3, first 2 shown]
	v_cndmask_b32_e64 v1, v1, v12, s2
	v_cndmask_b32_e64 v2, v2, v16, s2
	;; [unrolled: 1-line block ×4, first 2 shown]
	v_cmp_eq_u32_e64 s2, 7, v89
	v_cndmask_b32_e64 v1, v1, v4, s6
	v_cndmask_b32_e64 v2, v2, v8, s6
	v_cmp_eq_u32_e64 s3, 7, v86
	v_cndmask_b32_e32 v4, v21, v8, vcc_lo
	v_cndmask_b32_e64 v18, v18, v13, s4
	v_cndmask_b32_e64 v20, v20, v13, s5
	v_cndmask_b32_e64 v1, v1, v13, s2
	v_cndmask_b32_e64 v5, v5, v13, s3
	v_cndmask_b32_e64 v2, v2, v17, s2
	v_cndmask_b32_e64 v3, v3, v17, s3
	v_cndmask_b32_e64 v6, v4, v17, s5
	v_cndmask_b32_e64 v7, v19, v17, s4
	s_mov_b32 s2, exec_lo
	v_perm_b32 v4, v2, v1, 0x5040100
	v_perm_b32 v3, v3, v5, 0x5040100
	;; [unrolled: 1-line block ×4, first 2 shown]
	ds_store_b128 v9, v[1:4]
	s_waitcnt lgkmcnt(0)
	s_barrier
	buffer_gl0_inv
	v_cmpx_gt_u32_e32 32, v0
	s_cbranch_execz .LBB757_2
; %bb.113:
	s_load_b64 s[0:1], s[0:1], 0x68
	s_lshl_b32 s4, s34, 7
	v_or_b32_e32 v2, s29, v83
	s_mul_i32 s2, s4, s30
	v_lshlrev_b32_e32 v1, 10, v0
	s_mul_i32 s2, s2, s7
	v_lshlrev_b32_e32 v3, 4, v84
	v_mul_lo_u32 v0, v2, s4
	s_ashr_i32 s3, s2, 31
	v_lshlrev_b32_e32 v4, 6, v83
	v_and_b32_e32 v1, 0x3800, v1
	v_or_b32_e32 v5, 2, v2
	s_lshl_b64 s[2:3], s[2:3], 1
	v_or_b32_e32 v6, 4, v2
	v_or_b32_e32 v7, 6, v2
	v_or3_b32 v12, v1, v3, v4
	v_ashrrev_i32_e32 v1, 31, v0
	v_mul_lo_u32 v2, v5, s4
	v_mul_lo_u32 v16, v6, s4
	;; [unrolled: 1-line block ×3, first 2 shown]
	s_waitcnt lgkmcnt(0)
	s_add_u32 s2, s0, s2
	s_addc_u32 s3, s1, s3
	s_lshl_b32 s0, s14, 7
	v_lshlrev_b64 v[0:1], 1, v[0:1]
	s_ashr_i32 s1, s0, 31
	v_ashrrev_i32_e32 v3, 31, v2
	s_lshl_b64 s[0:1], s[0:1], 1
	v_ashrrev_i32_e32 v17, 31, v16
	s_add_u32 s0, s2, s0
	s_addc_u32 s1, s3, s1
	v_add_co_u32 v24, vcc_lo, s0, v81
	v_add_co_ci_u32_e32 v25, vcc_lo, s1, v82, vcc_lo
	v_lshlrev_b64 v[22:23], 1, v[2:3]
	s_delay_alu instid0(VALU_DEP_3) | instskip(NEXT) | instid1(VALU_DEP_3)
	v_add_co_u32 v18, vcc_lo, v24, v0
	v_add_co_ci_u32_e32 v19, vcc_lo, v25, v1, vcc_lo
	ds_load_b128 v[0:3], v12
	ds_load_b128 v[4:7], v12 offset:128
	ds_load_b128 v[8:11], v12 offset:256
	;; [unrolled: 1-line block ×3, first 2 shown]
	v_ashrrev_i32_e32 v21, 31, v20
	v_lshlrev_b64 v[16:17], 1, v[16:17]
	v_add_co_u32 v22, vcc_lo, v24, v22
	v_add_co_ci_u32_e32 v23, vcc_lo, v25, v23, vcc_lo
	s_delay_alu instid0(VALU_DEP_4) | instskip(NEXT) | instid1(VALU_DEP_4)
	v_lshlrev_b64 v[20:21], 1, v[20:21]
	v_add_co_u32 v16, vcc_lo, v24, v16
	v_add_co_ci_u32_e32 v17, vcc_lo, v25, v17, vcc_lo
	s_delay_alu instid0(VALU_DEP_3) | instskip(NEXT) | instid1(VALU_DEP_4)
	v_add_co_u32 v20, vcc_lo, v24, v20
	v_add_co_ci_u32_e32 v21, vcc_lo, v25, v21, vcc_lo
	s_waitcnt lgkmcnt(3)
	global_store_b128 v[18:19], v[0:3], off
	s_waitcnt lgkmcnt(2)
	global_store_b128 v[22:23], v[4:7], off
	;; [unrolled: 2-line block ×4, first 2 shown]
	s_nop 0
	s_sendmsg sendmsg(MSG_DEALLOC_VGPRS)
	s_endpgm
	.section	.rodata,"a",@progbits
	.p2align	6, 0x0
	.amdhsa_kernel _Z39paged_attention_ll4mi_QKV_mfma16_kernelI14__hip_bfloat16S0_LN4vllm18Fp8KVCacheDataTypeE0ES0_Li32ELi128ELi256ELb0ELi8EL8MFMAType0EEvPKT_PKT0_S9_ifPKiSB_SB_iPKfiiiPfSE_PS4_PT2_iSD_SD_
		.amdhsa_group_segment_fixed_size 17472
		.amdhsa_private_segment_fixed_size 0
		.amdhsa_kernarg_size 400
		.amdhsa_user_sgpr_count 13
		.amdhsa_user_sgpr_dispatch_ptr 0
		.amdhsa_user_sgpr_queue_ptr 0
		.amdhsa_user_sgpr_kernarg_segment_ptr 1
		.amdhsa_user_sgpr_dispatch_id 0
		.amdhsa_user_sgpr_private_segment_size 0
		.amdhsa_wavefront_size32 1
		.amdhsa_uses_dynamic_stack 0
		.amdhsa_enable_private_segment 0
		.amdhsa_system_sgpr_workgroup_id_x 1
		.amdhsa_system_sgpr_workgroup_id_y 1
		.amdhsa_system_sgpr_workgroup_id_z 1
		.amdhsa_system_sgpr_workgroup_info 0
		.amdhsa_system_vgpr_workitem_id 0
		.amdhsa_next_free_vgpr 157
		.amdhsa_next_free_sgpr 40
		.amdhsa_reserve_vcc 1
		.amdhsa_float_round_mode_32 0
		.amdhsa_float_round_mode_16_64 0
		.amdhsa_float_denorm_mode_32 3
		.amdhsa_float_denorm_mode_16_64 3
		.amdhsa_dx10_clamp 1
		.amdhsa_ieee_mode 1
		.amdhsa_fp16_overflow 0
		.amdhsa_workgroup_processor_mode 1
		.amdhsa_memory_ordered 1
		.amdhsa_forward_progress 0
		.amdhsa_shared_vgpr_count 0
		.amdhsa_exception_fp_ieee_invalid_op 0
		.amdhsa_exception_fp_denorm_src 0
		.amdhsa_exception_fp_ieee_div_zero 0
		.amdhsa_exception_fp_ieee_overflow 0
		.amdhsa_exception_fp_ieee_underflow 0
		.amdhsa_exception_fp_ieee_inexact 0
		.amdhsa_exception_int_div_zero 0
	.end_amdhsa_kernel
	.section	.text._Z39paged_attention_ll4mi_QKV_mfma16_kernelI14__hip_bfloat16S0_LN4vllm18Fp8KVCacheDataTypeE0ES0_Li32ELi128ELi256ELb0ELi8EL8MFMAType0EEvPKT_PKT0_S9_ifPKiSB_SB_iPKfiiiPfSE_PS4_PT2_iSD_SD_,"axG",@progbits,_Z39paged_attention_ll4mi_QKV_mfma16_kernelI14__hip_bfloat16S0_LN4vllm18Fp8KVCacheDataTypeE0ES0_Li32ELi128ELi256ELb0ELi8EL8MFMAType0EEvPKT_PKT0_S9_ifPKiSB_SB_iPKfiiiPfSE_PS4_PT2_iSD_SD_,comdat
.Lfunc_end757:
	.size	_Z39paged_attention_ll4mi_QKV_mfma16_kernelI14__hip_bfloat16S0_LN4vllm18Fp8KVCacheDataTypeE0ES0_Li32ELi128ELi256ELb0ELi8EL8MFMAType0EEvPKT_PKT0_S9_ifPKiSB_SB_iPKfiiiPfSE_PS4_PT2_iSD_SD_, .Lfunc_end757-_Z39paged_attention_ll4mi_QKV_mfma16_kernelI14__hip_bfloat16S0_LN4vllm18Fp8KVCacheDataTypeE0ES0_Li32ELi128ELi256ELb0ELi8EL8MFMAType0EEvPKT_PKT0_S9_ifPKiSB_SB_iPKfiiiPfSE_PS4_PT2_iSD_SD_
                                        ; -- End function
	.section	.AMDGPU.csdata,"",@progbits
; Kernel info:
; codeLenInByte = 9752
; NumSgprs: 42
; NumVgprs: 157
; ScratchSize: 0
; MemoryBound: 0
; FloatMode: 240
; IeeeMode: 1
; LDSByteSize: 17472 bytes/workgroup (compile time only)
; SGPRBlocks: 5
; VGPRBlocks: 19
; NumSGPRsForWavesPerEU: 42
; NumVGPRsForWavesPerEU: 157
; Occupancy: 9
; WaveLimiterHint : 1
; COMPUTE_PGM_RSRC2:SCRATCH_EN: 0
; COMPUTE_PGM_RSRC2:USER_SGPR: 13
; COMPUTE_PGM_RSRC2:TRAP_HANDLER: 0
; COMPUTE_PGM_RSRC2:TGID_X_EN: 1
; COMPUTE_PGM_RSRC2:TGID_Y_EN: 1
; COMPUTE_PGM_RSRC2:TGID_Z_EN: 1
; COMPUTE_PGM_RSRC2:TIDIG_COMP_CNT: 0
	.section	.text._Z39paged_attention_ll4mi_QKV_mfma16_kernelI14__hip_bfloat16S0_LN4vllm18Fp8KVCacheDataTypeE0ES0_Li32ELi128ELi256ELb0ELi9EL8MFMAType0EEvPKT_PKT0_S9_ifPKiSB_SB_iPKfiiiPfSE_PS4_PT2_iSD_SD_,"axG",@progbits,_Z39paged_attention_ll4mi_QKV_mfma16_kernelI14__hip_bfloat16S0_LN4vllm18Fp8KVCacheDataTypeE0ES0_Li32ELi128ELi256ELb0ELi9EL8MFMAType0EEvPKT_PKT0_S9_ifPKiSB_SB_iPKfiiiPfSE_PS4_PT2_iSD_SD_,comdat
	.protected	_Z39paged_attention_ll4mi_QKV_mfma16_kernelI14__hip_bfloat16S0_LN4vllm18Fp8KVCacheDataTypeE0ES0_Li32ELi128ELi256ELb0ELi9EL8MFMAType0EEvPKT_PKT0_S9_ifPKiSB_SB_iPKfiiiPfSE_PS4_PT2_iSD_SD_ ; -- Begin function _Z39paged_attention_ll4mi_QKV_mfma16_kernelI14__hip_bfloat16S0_LN4vllm18Fp8KVCacheDataTypeE0ES0_Li32ELi128ELi256ELb0ELi9EL8MFMAType0EEvPKT_PKT0_S9_ifPKiSB_SB_iPKfiiiPfSE_PS4_PT2_iSD_SD_
	.globl	_Z39paged_attention_ll4mi_QKV_mfma16_kernelI14__hip_bfloat16S0_LN4vllm18Fp8KVCacheDataTypeE0ES0_Li32ELi128ELi256ELb0ELi9EL8MFMAType0EEvPKT_PKT0_S9_ifPKiSB_SB_iPKfiiiPfSE_PS4_PT2_iSD_SD_
	.p2align	8
	.type	_Z39paged_attention_ll4mi_QKV_mfma16_kernelI14__hip_bfloat16S0_LN4vllm18Fp8KVCacheDataTypeE0ES0_Li32ELi128ELi256ELb0ELi9EL8MFMAType0EEvPKT_PKT0_S9_ifPKiSB_SB_iPKfiiiPfSE_PS4_PT2_iSD_SD_,@function
_Z39paged_attention_ll4mi_QKV_mfma16_kernelI14__hip_bfloat16S0_LN4vllm18Fp8KVCacheDataTypeE0ES0_Li32ELi128ELi256ELb0ELi9EL8MFMAType0EEvPKT_PKT0_S9_ifPKiSB_SB_iPKfiiiPfSE_PS4_PT2_iSD_SD_: ; @_Z39paged_attention_ll4mi_QKV_mfma16_kernelI14__hip_bfloat16S0_LN4vllm18Fp8KVCacheDataTypeE0ES0_Li32ELi128ELi256ELb0ELi9EL8MFMAType0EEvPKT_PKT0_S9_ifPKiSB_SB_iPKfiiiPfSE_PS4_PT2_iSD_SD_
; %bb.0:
	s_load_b64 s[2:3], s[0:1], 0x30
	s_mov_b32 s30, s13
	s_waitcnt lgkmcnt(0)
	s_cmp_lg_u64 s[2:3], 0
	s_cselect_b32 s6, -1, 0
	s_ashr_i32 s31, s13, 31
	s_cmp_eq_u64 s[2:3], 0
	s_cbranch_scc1 .LBB758_3
; %bb.1:
	s_lshl_b64 s[4:5], s[30:31], 2
	s_delay_alu instid0(SALU_CYCLE_1) | instskip(SKIP_4) | instid1(SALU_CYCLE_1)
	s_add_u32 s4, s2, s4
	s_addc_u32 s5, s3, s5
	s_load_b64 s[4:5], s[4:5], 0x0
	s_waitcnt lgkmcnt(0)
	s_sub_i32 s4, s5, s4
	s_cmp_eq_u32 s4, 1
	s_cselect_b32 s4, -1, 0
	s_delay_alu instid0(SALU_CYCLE_1)
	s_and_not1_b32 vcc_lo, exec_lo, s4
	s_cbranch_vccz .LBB758_4
.LBB758_2:
	s_nop 0
	s_sendmsg sendmsg(MSG_DEALLOC_VGPRS)
	s_endpgm
.LBB758_3:
.LBB758_4:
	s_load_b64 s[8:9], s[0:1], 0x28
	s_lshl_b64 s[4:5], s[30:31], 2
	s_waitcnt lgkmcnt(0)
	s_add_u32 s8, s8, s4
	s_addc_u32 s9, s9, s5
	s_lshl_b32 s12, s14, 8
	s_load_b32 s17, s[8:9], 0x0
	s_waitcnt lgkmcnt(0)
	s_cmp_ge_i32 s12, s17
	s_cbranch_scc1 .LBB758_2
; %bb.5:
	s_and_not1_b32 vcc_lo, exec_lo, s6
	s_cbranch_vccnz .LBB758_7
; %bb.6:
	s_add_u32 s2, s2, s4
	s_addc_u32 s3, s3, s5
	s_load_b32 s13, s[2:3], 0x0
	s_branch .LBB758_8
.LBB758_7:
	s_mov_b32 s13, s30
.LBB758_8:
	s_clause 0x2
	s_load_b128 s[8:11], s[0:1], 0x8
	s_load_b64 s[2:3], s[0:1], 0x20
	s_load_b128 s[4:7], s[0:1], 0x48
	v_lshrrev_b32_e32 v74, 5, v0
	v_bfe_u32 v83, v0, 4, 1
	v_and_b32_e32 v73, 15, v0
	s_waitcnt lgkmcnt(0)
	s_mov_b32 s7, exec_lo
	s_delay_alu instid0(VALU_DEP_2) | instskip(NEXT) | instid1(VALU_DEP_2)
	v_lshl_or_b32 v3, v74, 1, v83
	v_lshlrev_b32_e32 v1, 3, v73
	s_delay_alu instid0(VALU_DEP_2)
	v_cmpx_lt_u32_e32 8, v3
	s_xor_b32 s7, exec_lo, s7
; %bb.9:
	v_mov_b32_e32 v2, 0
                                        ; implicit-def: $vgpr3
; %bb.10:
	s_or_saveexec_b32 s7, s7
	v_and_b32_e32 v75, 31, v0
	v_and_b32_e32 v84, 1, v0
	s_mul_i32 s31, s15, 9
	s_xor_b32 exec_lo, exec_lo, s7
	s_cbranch_execz .LBB758_12
; %bb.11:
	s_load_b64 s[18:19], s[0:1], 0x0
	v_add_lshl_u32 v4, v3, s31, 7
	s_mul_hi_i32 s21, s13, s4
	s_mul_i32 s20, s13, s4
	v_lshlrev_b32_e32 v2, 1, v1
	s_lshl_b64 s[20:21], s[20:21], 1
	v_ashrrev_i32_e32 v5, 31, v4
	v_lshlrev_b32_e32 v3, 6, v3
	v_lshlrev_b32_e32 v8, 10, v84
	s_delay_alu instid0(VALU_DEP_3) | instskip(SKIP_3) | instid1(VALU_DEP_1)
	v_lshlrev_b64 v[4:5], 1, v[4:5]
	s_waitcnt lgkmcnt(0)
	s_add_u32 s4, s18, s20
	s_addc_u32 s13, s19, s21
	v_add_co_u32 v4, vcc_lo, s4, v4
	s_delay_alu instid0(VALU_DEP_2) | instskip(NEXT) | instid1(VALU_DEP_2)
	v_add_co_ci_u32_e32 v5, vcc_lo, s13, v5, vcc_lo
	v_add_co_u32 v4, vcc_lo, v4, v2
	s_delay_alu instid0(VALU_DEP_2) | instskip(SKIP_3) | instid1(VALU_DEP_1)
	v_add_co_ci_u32_e32 v5, vcc_lo, 0, v5, vcc_lo
	v_lshlrev_b32_e32 v2, 10, v73
	global_load_b128 v[4:7], v[4:5], off
	v_and_b32_e32 v2, 0x3800, v2
	v_or3_b32 v3, v2, v8, v3
	v_mov_b32_e32 v2, 0
	s_waitcnt vmcnt(0)
	ds_store_b128 v3, v[4:7]
.LBB758_12:
	s_or_b32 exec_lo, exec_lo, s7
	v_add_nc_u32_e32 v80, -9, v73
	v_and_b32_e32 v3, 0xef, v0
	s_add_i32 s4, s17, 31
	s_clause 0x1
	s_load_b32 s7, s[0:1], 0x38
	s_load_b32 s18, s[0:1], 0x1c
	s_ashr_i32 s13, s4, 31
	v_add_nc_u32_e32 v3, s12, v3
	s_lshr_b32 s13, s13, 27
	s_waitcnt lgkmcnt(0)
	s_add_i32 s4, s4, s13
	s_barrier
	v_ashrrev_i32_e32 v4, 31, v3
	v_cmp_gt_i32_e32 vcc_lo, s17, v3
	s_ashr_i32 s4, s4, 5
	buffer_gl0_inv
	s_add_i32 s4, s4, -1
	v_lshrrev_b32_e32 v5, 27, v4
	v_or_b32_e32 v4, 16, v3
	v_lshlrev_b64 v[81:82], 1, v[1:2]
	s_delay_alu instid0(VALU_DEP_3) | instskip(NEXT) | instid1(VALU_DEP_3)
	v_add_nc_u32_e32 v6, v3, v5
	v_add_nc_u32_e32 v5, v4, v5
	s_mul_i32 s20, s30, s7
	s_delay_alu instid0(SALU_CYCLE_1) | instskip(NEXT) | instid1(VALU_DEP_2)
	s_ashr_i32 s21, s20, 31
	v_ashrrev_i32_e32 v6, 5, v6
	s_delay_alu instid0(VALU_DEP_2) | instskip(SKIP_1) | instid1(SALU_CYCLE_1)
	v_ashrrev_i32_e32 v5, 5, v5
	s_lshl_b64 s[20:21], s[20:21], 2
	s_add_u32 s7, s2, s20
	s_delay_alu instid0(VALU_DEP_2) | instskip(SKIP_3) | instid1(VALU_DEP_2)
	v_cndmask_b32_e32 v3, s4, v6, vcc_lo
	v_cmp_gt_i32_e32 vcc_lo, s17, v4
	s_addc_u32 s13, s3, s21
	s_mul_i32 s2, s15, s6
	v_ashrrev_i32_e32 v4, 31, v3
	v_cndmask_b32_e32 v5, s4, v5, vcc_lo
	s_ashr_i32 s3, s2, 31
	s_delay_alu instid0(SALU_CYCLE_1) | instskip(NEXT) | instid1(VALU_DEP_2)
	s_lshl_b64 s[2:3], s[2:3], 1
	v_lshlrev_b64 v[3:4], 2, v[3:4]
	s_delay_alu instid0(VALU_DEP_2) | instskip(SKIP_3) | instid1(VALU_DEP_1)
	v_ashrrev_i32_e32 v6, 31, v5
	s_add_u32 s6, s8, s2
	s_addc_u32 s15, s9, s3
	s_lshl_b32 s8, s14, 3
	v_lshlrev_b64 v[5:6], 2, v[5:6]
	v_add_co_u32 v3, vcc_lo, s7, v3
	v_add_co_ci_u32_e32 v4, vcc_lo, s13, v4, vcc_lo
	s_ashr_i32 s9, s8, 31
	s_delay_alu instid0(VALU_DEP_3) | instskip(NEXT) | instid1(VALU_DEP_4)
	v_add_co_u32 v5, vcc_lo, s7, v5
	v_add_co_ci_u32_e32 v6, vcc_lo, s13, v6, vcc_lo
	s_clause 0x1
	global_load_b32 v7, v[3:4], off
	global_load_b32 v8, v[5:6], off
	s_lshl_b64 s[8:9], s[8:9], 2
	s_delay_alu instid0(SALU_CYCLE_1) | instskip(SKIP_2) | instid1(SALU_CYCLE_1)
	s_add_u32 s8, s7, s8
	s_addc_u32 s9, s13, s9
	s_or_b32 s16, s12, 32
	s_ashr_i32 s19, s16, 5
	s_cmp_lt_i32 s16, s17
	s_cselect_b32 s20, s19, s4
	s_delay_alu instid0(SALU_CYCLE_1) | instskip(NEXT) | instid1(SALU_CYCLE_1)
	s_ashr_i32 s21, s20, 31
	s_lshl_b64 s[20:21], s[20:21], 2
	s_delay_alu instid0(SALU_CYCLE_1) | instskip(SKIP_2) | instid1(SALU_CYCLE_1)
	s_add_u32 s20, s7, s20
	s_addc_u32 s21, s13, s21
	s_or_b32 s16, s12, 64
	s_ashr_i32 s19, s16, 5
	s_cmp_lt_i32 s16, s17
	s_cselect_b32 s22, s19, s4
	s_delay_alu instid0(SALU_CYCLE_1) | instskip(NEXT) | instid1(SALU_CYCLE_1)
	s_ashr_i32 s23, s22, 31
	;; [unrolled: 10-line block ×5, first 2 shown]
	s_lshl_b64 s[28:29], s[28:29], 2
	s_delay_alu instid0(SALU_CYCLE_1)
	s_add_u32 s28, s7, s28
	s_addc_u32 s29, s13, s29
	s_clause 0x5
	s_load_b32 s16, s[8:9], 0x0
	s_load_b32 s19, s[20:21], 0x0
	;; [unrolled: 1-line block ×6, first 2 shown]
	s_mov_b32 s20, 0
	s_delay_alu instid0(SALU_CYCLE_1)
	s_mov_b32 s27, s20
	s_mov_b32 s24, s20
	;; [unrolled: 1-line block ×7, first 2 shown]
	v_dual_mov_b32 v108, s27 :: v_dual_mov_b32 v105, s24
	v_dual_mov_b32 v107, s26 :: v_dual_mov_b32 v106, s25
	;; [unrolled: 1-line block ×4, first 2 shown]
	s_waitcnt lgkmcnt(0)
	s_mul_hi_i32 s29, s34, s5
	s_mul_i32 s28, s34, s5
	s_mul_hi_i32 s21, s16, s5
	s_mul_i32 s20, s16, s5
	;; [unrolled: 2-line block ×5, first 2 shown]
	s_waitcnt vmcnt(1)
	v_mad_i64_i32 v[3:4], null, v7, s5, 0
	s_waitcnt vmcnt(0)
	v_mad_i64_i32 v[5:6], null, v8, s5, 0
	s_delay_alu instid0(VALU_DEP_2) | instskip(NEXT) | instid1(VALU_DEP_2)
	v_lshlrev_b64 v[3:4], 1, v[3:4]
	v_lshlrev_b64 v[1:2], 1, v[5:6]
	s_delay_alu instid0(VALU_DEP_2) | instskip(NEXT) | instid1(VALU_DEP_3)
	v_add_co_u32 v3, vcc_lo, s6, v3
	v_add_co_ci_u32_e32 v4, vcc_lo, s15, v4, vcc_lo
	s_delay_alu instid0(VALU_DEP_3) | instskip(NEXT) | instid1(VALU_DEP_4)
	v_add_co_u32 v1, vcc_lo, s6, v1
	v_add_co_ci_u32_e32 v2, vcc_lo, s15, v2, vcc_lo
	s_delay_alu instid0(VALU_DEP_4) | instskip(NEXT) | instid1(VALU_DEP_4)
	v_add_co_u32 v65, vcc_lo, v3, v81
	v_add_co_ci_u32_e32 v66, vcc_lo, v4, v82, vcc_lo
	s_delay_alu instid0(VALU_DEP_4) | instskip(NEXT) | instid1(VALU_DEP_4)
	v_add_co_u32 v76, vcc_lo, v1, v81
	v_add_co_ci_u32_e32 v77, vcc_lo, v2, v82, vcc_lo
	s_clause 0xf
	global_load_b128 v[1:4], v[65:66], off
	global_load_b128 v[5:8], v[65:66], off offset:512
	global_load_b128 v[9:12], v[76:77], off offset:256
	;; [unrolled: 1-line block ×15, first 2 shown]
	v_add_co_u32 v78, vcc_lo, 0x1000, v65
	v_add_co_ci_u32_e32 v79, vcc_lo, 0, v66, vcc_lo
	v_cmp_gt_u32_e32 vcc_lo, 9, v73
	s_clause 0x1
	global_load_b128 v[65:68], v[78:79], off
	global_load_b128 v[69:72], v[78:79], off offset:512
	s_or_b32 s6, s12, 0xc0
	v_cndmask_b32_e32 v80, v80, v73, vcc_lo
	v_add_co_u32 v76, vcc_lo, 0x1000, v76
	v_add_co_ci_u32_e32 v77, vcc_lo, 0, v77, vcc_lo
	s_delay_alu instid0(VALU_DEP_3)
	v_lshlrev_b32_e32 v80, 6, v80
	ds_load_b128 v[85:88], v80
	ds_load_b128 v[89:92], v80 offset:1024
	s_clause 0x1
	global_load_b128 v[93:96], v[76:77], off offset:256
	global_load_b128 v[97:100], v[76:77], off offset:768
	ds_load_b128 v[109:112], v80 offset:2048
	ds_load_b128 v[113:116], v80 offset:3072
	s_ashr_i32 s8, s6, 5
	s_cmp_lt_i32 s6, s17
	s_cselect_b32 s8, s8, s4
	s_delay_alu instid0(SALU_CYCLE_1) | instskip(NEXT) | instid1(SALU_CYCLE_1)
	s_ashr_i32 s9, s8, 31
	s_lshl_b64 s[8:9], s[8:9], 2
	s_delay_alu instid0(SALU_CYCLE_1) | instskip(SKIP_2) | instid1(SALU_CYCLE_1)
	s_add_u32 s8, s7, s8
	s_addc_u32 s9, s13, s9
	s_or_b32 s6, s12, 0xe0
	s_ashr_i32 s15, s6, 5
	s_cmp_lt_i32 s6, s17
	s_cselect_b32 s24, s15, s4
	s_delay_alu instid0(SALU_CYCLE_1) | instskip(NEXT) | instid1(SALU_CYCLE_1)
	s_ashr_i32 s25, s24, 31
	s_lshl_b64 s[24:25], s[24:25], 2
	s_delay_alu instid0(SALU_CYCLE_1) | instskip(SKIP_2) | instid1(SALU_CYCLE_1)
	s_add_u32 s24, s7, s24
	s_addc_u32 s25, s13, s25
	s_add_i32 s6, s12, 0x100
	s_ashr_i32 s15, s6, 5
	s_cmp_lt_i32 s6, s17
	s_cselect_b32 s34, s15, s4
	s_waitcnt vmcnt(18) lgkmcnt(2)
	v_wmma_f32_16x16x16_bf16 v[117:124], v[1:8], v[85:92], v[101:108]
	s_waitcnt vmcnt(16)
	v_wmma_f32_16x16x16_bf16 v[101:108], v[9:16], v[85:92], v[101:108]
	s_clause 0x3
	global_load_b128 v[1:4], v[78:79], off offset:1024
	global_load_b128 v[5:8], v[78:79], off offset:1536
	;; [unrolled: 1-line block ×4, first 2 shown]
	s_waitcnt vmcnt(18) lgkmcnt(0)
	v_wmma_f32_16x16x16_bf16 v[117:124], v[17:24], v[109:116], v[117:124]
	s_clause 0x1
	global_load_b128 v[17:20], v[78:79], off offset:2048
	global_load_b128 v[21:24], v[78:79], off offset:2560
	s_waitcnt vmcnt(18)
	v_wmma_f32_16x16x16_bf16 v[101:108], v[25:32], v[109:116], v[101:108]
	ds_load_b128 v[25:28], v80 offset:4096
	ds_load_b128 v[29:32], v80 offset:5120
	s_clause 0x5
	global_load_b128 v[109:112], v[76:77], off offset:2304
	global_load_b128 v[113:116], v[76:77], off offset:2816
	;; [unrolled: 1-line block ×6, first 2 shown]
	s_waitcnt vmcnt(22) lgkmcnt(0)
	v_wmma_f32_16x16x16_bf16 v[117:124], v[33:40], v[25:32], v[117:124]
	s_waitcnt vmcnt(20)
	v_wmma_f32_16x16x16_bf16 v[101:108], v[41:48], v[25:32], v[101:108]
	ds_load_b128 v[25:28], v80 offset:6144
	ds_load_b128 v[29:32], v80 offset:7168
	;; [unrolled: 1-line block ×4, first 2 shown]
	s_waitcnt vmcnt(18) lgkmcnt(2)
	v_wmma_f32_16x16x16_bf16 v[117:124], v[49:56], v[25:32], v[117:124]
	s_waitcnt vmcnt(16)
	v_wmma_f32_16x16x16_bf16 v[101:108], v[57:64], v[25:32], v[101:108]
	ds_load_b128 v[25:28], v80 offset:10240
	ds_load_b128 v[29:32], v80 offset:11264
	;; [unrolled: 1-line block ×6, first 2 shown]
	s_waitcnt vmcnt(14) lgkmcnt(6)
	v_wmma_f32_16x16x16_bf16 v[117:124], v[65:72], v[33:40], v[117:124]
	s_load_b32 s16, s[8:9], 0x0
	s_mul_hi_i32 s9, s35, s5
	s_mul_i32 s8, s35, s5
	s_ashr_i32 s35, s34, 31
	s_waitcnt vmcnt(12)
	v_wmma_f32_16x16x16_bf16 v[101:108], v[93:100], v[33:40], v[101:108]
	s_lshl_b64 s[34:35], s[34:35], 2
	s_delay_alu instid0(SALU_CYCLE_1)
	s_add_u32 s6, s7, s34
	s_addc_u32 s7, s13, s35
	s_add_u32 s4, s10, s2
	s_addc_u32 s19, s11, s3
	s_lshl_b64 s[2:3], s[20:21], 1
	s_clause 0x1
	s_load_b32 s13, s[24:25], 0x0
	s_load_b32 s15, s[6:7], 0x0
	s_lshl_b64 s[6:7], s[22:23], 1
	s_lshl_b64 s[10:11], s[26:27], 1
	s_lshl_b64 s[20:21], s[28:29], 1
	s_lshl_b64 s[8:9], s[8:9], 1
	s_lshl_b64 s[22:23], s[36:37], 1
	s_waitcnt lgkmcnt(0)
	s_mul_hi_i32 s25, s16, s5
	s_mul_i32 s24, s16, s5
	s_waitcnt vmcnt(10)
	v_wmma_f32_16x16x16_bf16 v[117:124], v[1:8], v[25:32], v[117:124]
	s_waitcnt vmcnt(8)
	v_wmma_f32_16x16x16_bf16 v[101:108], v[9:16], v[25:32], v[101:108]
	s_waitcnt vmcnt(6)
	s_delay_alu instid0(VALU_DEP_2) | instskip(SKIP_1) | instid1(VALU_DEP_2)
	v_wmma_f32_16x16x16_bf16 v[117:124], v[17:24], v[141:148], v[117:124]
	s_waitcnt vmcnt(4)
	v_wmma_f32_16x16x16_bf16 v[101:108], v[109:116], v[141:148], v[101:108]
	s_waitcnt vmcnt(2)
	s_delay_alu instid0(VALU_DEP_2) | instskip(SKIP_3) | instid1(VALU_DEP_3)
	v_wmma_f32_16x16x16_bf16 v[117:124], v[125:132], v[149:156], v[117:124]
	v_lshlrev_b32_e32 v85, 6, v73
	s_waitcnt vmcnt(0)
	v_wmma_f32_16x16x16_bf16 v[101:108], v[133:140], v[149:156], v[101:108]
	v_mul_f32_e32 v100, s18, v124
	s_delay_alu instid0(VALU_DEP_3) | instskip(SKIP_2) | instid1(VALU_DEP_3)
	v_lshl_or_b32 v41, v74, 10, v85
	v_mul_f32_e32 v99, s18, v118
	v_mul_f32_e32 v97, s18, v117
	v_add_co_u32 v76, s4, s4, v41
	s_delay_alu instid0(VALU_DEP_1) | instskip(NEXT) | instid1(VALU_DEP_2)
	v_add_co_ci_u32_e64 v77, null, s19, 0, s4
	v_add_co_u32 v41, vcc_lo, v76, s2
	s_delay_alu instid0(VALU_DEP_2)
	v_add_co_ci_u32_e32 v42, vcc_lo, s3, v77, vcc_lo
	v_add_co_u32 v33, vcc_lo, v76, s6
	v_add_co_ci_u32_e32 v34, vcc_lo, s7, v77, vcc_lo
	v_add_co_u32 v35, vcc_lo, v76, s10
	;; [unrolled: 2-line block ×5, first 2 shown]
	s_lshl_b64 s[2:3], s[24:25], 1
	v_add_co_ci_u32_e32 v6, vcc_lo, s23, v77, vcc_lo
	s_mul_hi_i32 s7, s13, s5
	s_mul_i32 s6, s13, s5
	v_add_co_u32 v17, vcc_lo, v76, s2
	v_add_co_ci_u32_e32 v18, vcc_lo, s3, v77, vcc_lo
	s_lshl_b64 s[2:3], s[6:7], 1
	s_mul_hi_i32 s7, s15, s5
	s_mul_i32 s6, s15, s5
	v_add_co_u32 v19, vcc_lo, v76, s2
	v_add_co_ci_u32_e32 v20, vcc_lo, s3, v77, vcc_lo
	s_lshl_b64 s[2:3], s[6:7], 1
	s_clause 0x1
	global_load_b128 v[65:68], v[41:42], off
	global_load_b128 v[69:72], v[41:42], off offset:16
	v_add_co_u32 v21, vcc_lo, v76, s2
	v_add_co_ci_u32_e32 v22, vcc_lo, s3, v77, vcc_lo
	s_clause 0xf
	global_load_b128 v[57:60], v[33:34], off
	global_load_b128 v[61:64], v[33:34], off offset:16
	global_load_b128 v[49:52], v[35:36], off
	global_load_b128 v[53:56], v[35:36], off offset:16
	;; [unrolled: 2-line block ×8, first 2 shown]
	v_mbcnt_lo_u32_b32 v77, -1, 0
	s_waitcnt vmcnt(0)
	s_barrier
	buffer_gl0_inv
	v_xor_b32_e32 v78, 16, v77
	s_delay_alu instid0(VALU_DEP_1) | instskip(SKIP_1) | instid1(VALU_DEP_1)
	v_cmp_gt_i32_e32 vcc_lo, 32, v78
	v_dual_cndmask_b32 v77, v77, v78 :: v_dual_and_b32 v76, 0xe0, v0
	v_add_nc_u32_e32 v76, s12, v76
	s_delay_alu instid0(VALU_DEP_1) | instskip(NEXT) | instid1(VALU_DEP_1)
	v_or_b32_e32 v76, v76, v83
	v_or_b32_e32 v78, 2, v76
	;; [unrolled: 1-line block ×4, first 2 shown]
	v_cmp_gt_i32_e32 vcc_lo, s17, v76
	v_or_b32_e32 v86, 8, v76
	v_cmp_gt_i32_e64 s2, s17, v78
	v_or_b32_e32 v87, 10, v76
	v_or_b32_e32 v88, 12, v76
	;; [unrolled: 1-line block ×11, first 2 shown]
	v_cndmask_b32_e32 v76, 0xff7fffff, v97, vcc_lo
	v_cmp_gt_i32_e64 s3, s17, v80
	v_mul_f32_e32 v80, s18, v119
	v_cndmask_b32_e64 v78, 0xff7fffff, v99, s2
	v_mul_f32_e32 v99, s18, v120
	v_cmp_gt_i32_e64 s4, s17, v79
	v_mul_f32_e32 v97, s18, v123
	v_mul_f32_e32 v79, s18, v122
	v_max3_f32 v76, v76, 0xff7fffff, v78
	v_mul_f32_e32 v78, s18, v121
	v_cndmask_b32_e64 v80, 0xff7fffff, v80, s4
	v_cmp_gt_i32_e64 s5, s17, v86
	v_cmp_gt_i32_e64 s6, s17, v87
	v_mul_f32_e32 v86, s18, v107
	v_cndmask_b32_e64 v99, 0xff7fffff, v99, s3
	v_cmp_gt_i32_e64 s7, s17, v89
	v_cndmask_b32_e64 v78, 0xff7fffff, v78, s5
	v_cmp_gt_i32_e64 s8, s17, v88
	v_mul_f32_e32 v89, s18, v101
	v_max3_f32 v76, v76, v80, v99
	v_mul_f32_e32 v80, s18, v108
	v_cndmask_b32_e64 v79, 0xff7fffff, v79, s6
	v_dual_mul_f32 v99, s18, v105 :: v_dual_mul_f32 v88, s18, v102
	v_cndmask_b32_e64 v97, 0xff7fffff, v97, s8
	v_cndmask_b32_e64 v100, 0xff7fffff, v100, s7
	s_delay_alu instid0(VALU_DEP_4) | instskip(SKIP_4) | instid1(VALU_DEP_4)
	v_max3_f32 v76, v76, v78, v79
	v_cmp_gt_i32_e64 s9, s17, v90
	v_cmp_gt_i32_e64 s10, s17, v91
	v_dual_mul_f32 v87, s18, v106 :: v_dual_mul_f32 v78, s18, v104
	v_mul_f32_e32 v79, s18, v103
	v_cndmask_b32_e64 v89, 0xff7fffff, v89, s9
	s_delay_alu instid0(VALU_DEP_4)
	v_cndmask_b32_e64 v88, 0xff7fffff, v88, s10
	v_max3_f32 v76, v76, v97, v100
	v_cmp_gt_i32_e64 s11, s17, v92
	v_cmp_gt_i32_e64 s12, s17, v93
	;; [unrolled: 1-line block ×4, first 2 shown]
	v_max3_f32 v76, v76, v89, v88
	v_cndmask_b32_e64 v79, 0xff7fffff, v79, s11
	v_cndmask_b32_e64 v78, 0xff7fffff, v78, s12
	;; [unrolled: 1-line block ×4, first 2 shown]
	v_cmp_gt_i32_e64 s16, s17, v96
	v_cmp_gt_i32_e64 s17, s17, v98
	v_max3_f32 v76, v76, v79, v78
	v_lshlrev_b32_e32 v99, 2, v77
	s_delay_alu instid0(VALU_DEP_4) | instskip(NEXT) | instid1(VALU_DEP_4)
	v_cndmask_b32_e64 v78, 0xff7fffff, v86, s16
	v_cndmask_b32_e64 v79, 0xff7fffff, v80, s17
	s_delay_alu instid0(VALU_DEP_4) | instskip(NEXT) | instid1(VALU_DEP_1)
	v_max3_f32 v76, v76, v88, v87
	v_max3_f32 v76, v76, v78, v79
	ds_bpermute_b32 v77, v99, v76
	s_waitcnt lgkmcnt(0)
	v_max_f32_e32 v77, v77, v77
	s_delay_alu instid0(VALU_DEP_1) | instskip(NEXT) | instid1(VALU_DEP_1)
	v_max_f32_e32 v76, v76, v77
	v_fma_f32 v78, s18, v118, -v76
	v_fma_f32 v77, s18, v117, -v76
	;; [unrolled: 1-line block ×5, first 2 shown]
	v_mul_f32_e32 v78, 0x3fb8aa3b, v78
	v_fma_f32 v87, s18, v123, -v76
	v_fma_f32 v88, s18, v105, -v76
	v_mul_f32_e32 v80, 0x3fb8aa3b, v80
	v_mul_f32_e32 v86, 0x3fb8aa3b, v86
	v_exp_f32_e32 v78, v78
	v_fma_f32 v90, s18, v107, -v76
	v_fma_f32 v100, s18, v108, -v76
	v_exp_f32_e32 v80, v80
	v_exp_f32_e32 v86, v86
	v_mul_f32_e32 v88, 0x3fb8aa3b, v88
	s_delay_alu instid0(VALU_DEP_2) | instskip(NEXT) | instid1(TRANS32_DEP_3)
	v_mul_f32_e32 v100, 0x3fb8aa3b, v100
	v_cndmask_b32_e64 v91, 0, v78, s2
	v_mul_f32_e32 v77, 0x3fb8aa3b, v77
	s_delay_alu instid0(VALU_DEP_4) | instskip(NEXT) | instid1(TRANS32_DEP_3)
	v_exp_f32_e32 v88, v88
	v_cndmask_b32_e64 v95, 0, v80, s3
	v_fma_f32 v80, s18, v101, -v76
	s_delay_alu instid0(TRANS32_DEP_2)
	v_cndmask_b32_e64 v96, 0, v86, s5
	v_exp_f32_e32 v77, v77
	v_mul_f32_e32 v79, 0x3fb8aa3b, v79
	v_fma_f32 v86, s18, v102, -v76
	v_mul_f32_e32 v80, 0x3fb8aa3b, v80
	v_cmp_gt_u32_e64 s2, 16, v75
	v_exp_f32_e32 v100, v100
	s_delay_alu instid0(VALU_DEP_2) | instskip(NEXT) | instid1(TRANS32_DEP_3)
	v_exp_f32_e32 v80, v80
	v_cndmask_b32_e32 v92, 0, v77, vcc_lo
	v_exp_f32_e32 v79, v79
	v_fma_f32 v77, s18, v122, -v76
	s_delay_alu instid0(VALU_DEP_2) | instskip(NEXT) | instid1(VALU_DEP_1)
	v_add_f32_e32 v78, 0, v92
	v_add_f32_e32 v78, v78, v91
	s_waitcnt_depctr 0xfff
	v_cndmask_b32_e64 v93, 0, v79, s4
	v_mul_f32_e32 v87, 0x3fb8aa3b, v87
	v_fma_f32 v79, s18, v124, -v76
	s_delay_alu instid0(VALU_DEP_3) | instskip(SKIP_1) | instid1(VALU_DEP_3)
	v_add_f32_e32 v78, v78, v93
	v_mul_f32_e32 v77, 0x3fb8aa3b, v77
	v_mul_f32_e32 v79, 0x3fb8aa3b, v79
	v_exp_f32_e32 v87, v87
	s_delay_alu instid0(VALU_DEP_3) | instskip(NEXT) | instid1(VALU_DEP_3)
	v_add_f32_e32 v78, v78, v95
	v_exp_f32_e32 v77, v77
	s_delay_alu instid0(VALU_DEP_2) | instskip(NEXT) | instid1(TRANS32_DEP_3)
	v_exp_f32_e32 v79, v79
	v_cndmask_b32_e64 v94, 0, v87, s8
	v_fma_f32 v87, s18, v104, -v76
	s_waitcnt_depctr 0xfff
	v_cndmask_b32_e64 v97, 0, v77, s6
	v_add_f32_e32 v77, v78, v96
	v_fma_f32 v78, s18, v103, -v76
	v_mul_f32_e32 v86, 0x3fb8aa3b, v86
	v_cndmask_b32_e64 v98, 0, v79, s7
	v_mul_f32_e32 v87, 0x3fb8aa3b, v87
	s_delay_alu instid0(VALU_DEP_4) | instskip(NEXT) | instid1(VALU_DEP_4)
	v_dual_add_f32 v77, v77, v97 :: v_dual_mul_f32 v78, 0x3fb8aa3b, v78
	v_exp_f32_e32 v86, v86
	s_delay_alu instid0(VALU_DEP_2) | instskip(NEXT) | instid1(VALU_DEP_1)
	v_exp_f32_e32 v87, v87
	v_add_f32_e32 v79, v77, v94
	s_delay_alu instid0(VALU_DEP_2) | instskip(SKIP_2) | instid1(VALU_DEP_3)
	v_exp_f32_e32 v89, v78
	v_cndmask_b32_e64 v77, 0, v80, s9
	v_fma_f32 v80, s18, v106, -v76
	v_add_f32_e32 v79, v79, v98
	s_delay_alu instid0(TRANS32_DEP_3) | instskip(NEXT) | instid1(VALU_DEP_3)
	v_cndmask_b32_e64 v78, 0, v86, s10
	v_mul_f32_e32 v80, 0x3fb8aa3b, v80
	s_delay_alu instid0(VALU_DEP_3) | instskip(NEXT) | instid1(TRANS32_DEP_1)
	v_add_f32_e32 v86, v79, v77
	v_cndmask_b32_e64 v79, 0, v89, s11
	v_mul_f32_e32 v89, 0x3fb8aa3b, v90
	s_delay_alu instid0(VALU_DEP_4) | instskip(SKIP_2) | instid1(VALU_DEP_3)
	v_exp_f32_e32 v90, v80
	v_cndmask_b32_e64 v80, 0, v87, s12
	v_add_f32_e32 v86, v86, v78
	v_exp_f32_e32 v89, v89
	s_delay_alu instid0(VALU_DEP_1) | instskip(SKIP_1) | instid1(VALU_DEP_2)
	v_add_f32_e32 v87, v86, v79
	v_cndmask_b32_e64 v86, 0, v88, s13
	v_add_f32_e32 v88, v87, v80
	s_delay_alu instid0(TRANS32_DEP_2) | instskip(NEXT) | instid1(VALU_DEP_2)
	v_cndmask_b32_e64 v87, 0, v90, s15
	v_add_f32_e32 v90, v88, v86
	s_waitcnt_depctr 0xfff
	v_cndmask_b32_e64 v88, 0, v89, s16
	v_add_f32_e32 v89, v90, v87
	s_delay_alu instid0(VALU_DEP_1) | instskip(SKIP_1) | instid1(VALU_DEP_1)
	v_add_f32_e32 v90, v89, v88
	v_cndmask_b32_e64 v89, 0, v100, s17
	v_add_f32_e32 v90, v90, v89
	ds_bpermute_b32 v99, v99, v90
	s_and_saveexec_b32 s3, s2
	s_cbranch_execz .LBB758_14
; %bb.13:
	v_mul_u32_u24_e32 v75, 0x44, v74
	s_waitcnt lgkmcnt(0)
	v_add_f32_e32 v90, v90, v99
	s_delay_alu instid0(VALU_DEP_2) | instskip(NEXT) | instid1(VALU_DEP_1)
	v_lshl_add_u32 v75, v73, 2, v75
	v_add_nc_u32_e32 v75, 0x4000, v75
	ds_store_2addr_b32 v75, v76, v90 offset1:136
.LBB758_14:
	s_or_b32 exec_lo, exec_lo, s3
	v_lshlrev_b32_e32 v75, 2, v73
	s_waitcnt lgkmcnt(0)
	s_barrier
	buffer_gl0_inv
	v_cmp_eq_u32_e64 s3, 1, v74
	v_add_nc_u32_e32 v90, 0x4000, v75
	ds_load_2addr_b32 v[99:100], v90 offset1:17
	ds_load_2addr_b32 v[101:102], v90 offset0:34 offset1:51
	ds_load_2addr_b32 v[103:104], v90 offset0:68 offset1:85
	;; [unrolled: 1-line block ×4, first 2 shown]
	s_waitcnt lgkmcnt(4)
	v_max3_f32 v75, v99, 0xff7fffff, v100
	s_waitcnt lgkmcnt(3)
	s_delay_alu instid0(VALU_DEP_1) | instskip(SKIP_1) | instid1(VALU_DEP_1)
	v_max3_f32 v75, v75, v101, v102
	s_waitcnt lgkmcnt(2)
	v_max3_f32 v75, v75, v103, v104
	s_waitcnt lgkmcnt(1)
	s_delay_alu instid0(VALU_DEP_1) | instskip(NEXT) | instid1(VALU_DEP_1)
	v_max3_f32 v75, v75, v105, v106
	v_sub_f32_e32 v109, v100, v75
	v_sub_f32_e32 v76, v99, v75
	ds_load_2addr_b32 v[99:100], v90 offset0:170 offset1:187
	v_sub_f32_e32 v101, v101, v75
	v_dual_mul_f32 v109, 0x3fb8aa3b, v109 :: v_dual_mul_f32 v76, 0x3fb8aa3b, v76
	s_delay_alu instid0(VALU_DEP_2) | instskip(NEXT) | instid1(VALU_DEP_2)
	v_mul_f32_e32 v111, 0x3fb8aa3b, v101
	v_exp_f32_e32 v109, v109
	s_delay_alu instid0(VALU_DEP_2)
	v_exp_f32_e32 v110, v76
	v_sub_f32_e32 v76, v102, v75
	ds_load_2addr_b32 v[101:102], v90 offset0:204 offset1:221
	v_exp_f32_e32 v111, v111
	v_mul_f32_e32 v112, 0x3fb8aa3b, v76
	s_waitcnt lgkmcnt(2)
	v_fma_f32 v76, v110, v107, 0
	v_sub_f32_e32 v103, v103, v75
	s_delay_alu instid0(VALU_DEP_3) | instskip(NEXT) | instid1(VALU_DEP_2)
	v_exp_f32_e32 v112, v112
	v_dual_sub_f32 v107, v104, v75 :: v_dual_fmac_f32 v76, v109, v108
	s_waitcnt lgkmcnt(1)
	s_waitcnt_depctr 0xfff
	v_fmac_f32_e32 v76, v111, v99
	v_mul_f32_e32 v113, 0x3fb8aa3b, v103
	ds_load_2addr_b32 v[103:104], v90 offset0:238 offset1:255
	v_sub_f32_e32 v90, v105, v75
	v_dual_sub_f32 v99, v106, v75 :: v_dual_fmac_f32 v76, v112, v100
	v_mul_f32_e32 v105, 0x3fb8aa3b, v107
	v_exp_f32_e32 v107, v113
	s_delay_alu instid0(VALU_DEP_2)
	v_dual_mul_f32 v90, 0x3fb8aa3b, v90 :: v_dual_mul_f32 v99, 0x3fb8aa3b, v99
	s_waitcnt lgkmcnt(0)
	s_barrier
	buffer_gl0_inv
	v_exp_f32_e32 v90, v90
	v_exp_f32_e32 v99, v99
	v_fmac_f32_e32 v76, v107, v101
	v_exp_f32_e32 v105, v105
	s_waitcnt_depctr 0xfff
	v_fmac_f32_e32 v76, v105, v102
	s_delay_alu instid0(VALU_DEP_1) | instskip(NEXT) | instid1(VALU_DEP_1)
	v_fmac_f32_e32 v76, v90, v103
	v_fmac_f32_e32 v76, v99, v104
	s_delay_alu instid0(VALU_DEP_1) | instskip(NEXT) | instid1(VALU_DEP_1)
	v_add_f32_e32 v100, 0x358637bd, v76
	v_div_scale_f32 v101, null, v100, v100, 1.0
	v_div_scale_f32 v104, vcc_lo, 1.0, v100, 1.0
	s_delay_alu instid0(VALU_DEP_2) | instskip(SKIP_2) | instid1(VALU_DEP_1)
	v_rcp_f32_e32 v102, v101
	s_waitcnt_depctr 0xfff
	v_fma_f32 v103, -v101, v102, 1.0
	v_fmac_f32_e32 v102, v103, v102
	v_cndmask_b32_e64 v103, v110, v109, s3
	v_cmp_eq_u32_e64 s3, 2, v74
	s_delay_alu instid0(VALU_DEP_3) | instskip(NEXT) | instid1(VALU_DEP_2)
	v_mul_f32_e32 v106, v104, v102
	v_cndmask_b32_e64 v103, v103, v111, s3
	v_cmp_eq_u32_e64 s3, 3, v74
	s_delay_alu instid0(VALU_DEP_3) | instskip(NEXT) | instid1(VALU_DEP_2)
	v_fma_f32 v108, -v101, v106, v104
	v_cndmask_b32_e64 v103, v103, v112, s3
	v_cmp_eq_u32_e64 s3, 4, v74
	s_delay_alu instid0(VALU_DEP_3) | instskip(NEXT) | instid1(VALU_DEP_2)
	v_fmac_f32_e32 v106, v108, v102
	v_cndmask_b32_e64 v103, v103, v107, s3
	s_delay_alu instid0(VALU_DEP_2) | instskip(SKIP_1) | instid1(VALU_DEP_2)
	v_fma_f32 v101, -v101, v106, v104
	v_cmp_eq_u32_e64 s3, 5, v74
	v_div_fmas_f32 v101, v101, v102, v106
	s_delay_alu instid0(VALU_DEP_2) | instskip(SKIP_2) | instid1(VALU_DEP_3)
	v_cndmask_b32_e64 v103, v103, v105, s3
	v_cmp_eq_u32_e32 vcc_lo, 6, v74
	s_mov_b32 s3, exec_lo
	v_div_fixup_f32 v100, v101, v100, 1.0
	s_delay_alu instid0(VALU_DEP_3) | instskip(SKIP_1) | instid1(VALU_DEP_2)
	v_cndmask_b32_e32 v90, v103, v90, vcc_lo
	v_cmp_eq_u32_e32 vcc_lo, 7, v74
	v_cndmask_b32_e32 v90, v90, v99, vcc_lo
	s_delay_alu instid0(VALU_DEP_1) | instskip(NEXT) | instid1(VALU_DEP_1)
	v_mul_f32_e32 v90, v90, v100
	v_mul_f32_e32 v100, v90, v92
	v_mul_f32_e32 v92, v90, v98
	v_mul_f32_e32 v94, v90, v94
	v_mul_f32_e32 v97, v90, v97
	v_mul_f32_e32 v98, v90, v96
	v_and_b32_e32 v101, 0x7f800000, v100
	v_mul_f32_e32 v99, v90, v95
	v_mul_f32_e32 v95, v90, v91
	;; [unrolled: 1-line block ×3, first 2 shown]
                                        ; implicit-def: $vgpr91
	s_delay_alu instid0(VALU_DEP_4)
	v_cmpx_ne_u32_e32 0x7f800000, v101
	s_xor_b32 s3, exec_lo, s3
; %bb.15:
	v_bfe_u32 v91, v100, 16, 1
	s_delay_alu instid0(VALU_DEP_1)
	v_add3_u32 v91, v100, v91, 0x7fff
                                        ; implicit-def: $vgpr100
; %bb.16:
	s_and_not1_saveexec_b32 s3, s3
; %bb.17:
	v_and_b32_e32 v91, 0xffff, v100
	v_or_b32_e32 v93, 0x10000, v100
	s_delay_alu instid0(VALU_DEP_2) | instskip(NEXT) | instid1(VALU_DEP_2)
	v_cmp_eq_u32_e32 vcc_lo, 0, v91
	v_cndmask_b32_e32 v91, v93, v100, vcc_lo
; %bb.18:
	s_or_b32 exec_lo, exec_lo, s3
	v_and_b32_e32 v93, 0x7f800000, v95
	s_delay_alu instid0(VALU_DEP_1) | instskip(SKIP_1) | instid1(SALU_CYCLE_1)
	v_cmp_ne_u32_e32 vcc_lo, 0x7f800000, v93
                                        ; implicit-def: $vgpr93
	s_and_saveexec_b32 s3, vcc_lo
	s_xor_b32 s3, exec_lo, s3
; %bb.19:
	v_bfe_u32 v93, v95, 16, 1
	s_delay_alu instid0(VALU_DEP_1)
	v_add3_u32 v93, v95, v93, 0x7fff
                                        ; implicit-def: $vgpr95
; %bb.20:
	s_and_not1_saveexec_b32 s3, s3
; %bb.21:
	v_and_b32_e32 v93, 0xffff, v95
	v_or_b32_e32 v100, 0x10000, v95
	s_delay_alu instid0(VALU_DEP_2) | instskip(NEXT) | instid1(VALU_DEP_2)
	v_cmp_eq_u32_e32 vcc_lo, 0, v93
	v_cndmask_b32_e32 v93, v100, v95, vcc_lo
; %bb.22:
	s_or_b32 exec_lo, exec_lo, s3
	v_and_b32_e32 v95, 0x7f800000, v96
	s_delay_alu instid0(VALU_DEP_1) | instskip(SKIP_1) | instid1(SALU_CYCLE_1)
	v_cmp_ne_u32_e32 vcc_lo, 0x7f800000, v95
                                        ; implicit-def: $vgpr95
	s_and_saveexec_b32 s3, vcc_lo
	s_xor_b32 s3, exec_lo, s3
; %bb.23:
	v_bfe_u32 v95, v96, 16, 1
	s_delay_alu instid0(VALU_DEP_1)
	v_add3_u32 v95, v96, v95, 0x7fff
                                        ; implicit-def: $vgpr96
; %bb.24:
	s_and_not1_saveexec_b32 s3, s3
; %bb.25:
	v_and_b32_e32 v95, 0xffff, v96
	v_or_b32_e32 v100, 0x10000, v96
	s_delay_alu instid0(VALU_DEP_2) | instskip(NEXT) | instid1(VALU_DEP_2)
	v_cmp_eq_u32_e32 vcc_lo, 0, v95
	v_cndmask_b32_e32 v95, v100, v96, vcc_lo
; %bb.26:
	s_or_b32 exec_lo, exec_lo, s3
	v_and_b32_e32 v96, 0x7f800000, v99
	s_delay_alu instid0(VALU_DEP_1) | instskip(SKIP_1) | instid1(SALU_CYCLE_1)
	v_cmp_ne_u32_e32 vcc_lo, 0x7f800000, v96
                                        ; implicit-def: $vgpr96
	s_and_saveexec_b32 s3, vcc_lo
	s_xor_b32 s3, exec_lo, s3
; %bb.27:
	v_bfe_u32 v96, v99, 16, 1
	s_delay_alu instid0(VALU_DEP_1)
	v_add3_u32 v96, v99, v96, 0x7fff
                                        ; implicit-def: $vgpr99
; %bb.28:
	s_and_not1_saveexec_b32 s3, s3
; %bb.29:
	v_and_b32_e32 v96, 0xffff, v99
	v_or_b32_e32 v100, 0x10000, v99
	s_delay_alu instid0(VALU_DEP_2) | instskip(NEXT) | instid1(VALU_DEP_2)
	v_cmp_eq_u32_e32 vcc_lo, 0, v96
	v_cndmask_b32_e32 v96, v100, v99, vcc_lo
; %bb.30:
	s_or_b32 exec_lo, exec_lo, s3
	v_and_b32_e32 v99, 0x7f800000, v98
	s_delay_alu instid0(VALU_DEP_1) | instskip(SKIP_1) | instid1(SALU_CYCLE_1)
	v_cmp_ne_u32_e32 vcc_lo, 0x7f800000, v99
                                        ; implicit-def: $vgpr99
	s_and_saveexec_b32 s3, vcc_lo
	s_xor_b32 s3, exec_lo, s3
; %bb.31:
	v_bfe_u32 v99, v98, 16, 1
	s_delay_alu instid0(VALU_DEP_1)
	v_add3_u32 v99, v98, v99, 0x7fff
                                        ; implicit-def: $vgpr98
; %bb.32:
	s_and_not1_saveexec_b32 s3, s3
; %bb.33:
	v_and_b32_e32 v99, 0xffff, v98
	v_or_b32_e32 v100, 0x10000, v98
	s_delay_alu instid0(VALU_DEP_2) | instskip(NEXT) | instid1(VALU_DEP_2)
	v_cmp_eq_u32_e32 vcc_lo, 0, v99
	v_cndmask_b32_e32 v99, v100, v98, vcc_lo
; %bb.34:
	s_or_b32 exec_lo, exec_lo, s3
	v_and_b32_e32 v98, 0x7f800000, v97
	s_delay_alu instid0(VALU_DEP_1) | instskip(SKIP_1) | instid1(SALU_CYCLE_1)
	v_cmp_ne_u32_e32 vcc_lo, 0x7f800000, v98
                                        ; implicit-def: $vgpr98
	s_and_saveexec_b32 s3, vcc_lo
	s_xor_b32 s3, exec_lo, s3
; %bb.35:
	v_bfe_u32 v98, v97, 16, 1
	s_delay_alu instid0(VALU_DEP_1)
	v_add3_u32 v98, v97, v98, 0x7fff
                                        ; implicit-def: $vgpr97
; %bb.36:
	s_and_not1_saveexec_b32 s3, s3
; %bb.37:
	v_and_b32_e32 v98, 0xffff, v97
	v_or_b32_e32 v100, 0x10000, v97
	s_delay_alu instid0(VALU_DEP_2) | instskip(NEXT) | instid1(VALU_DEP_2)
	v_cmp_eq_u32_e32 vcc_lo, 0, v98
	v_cndmask_b32_e32 v98, v100, v97, vcc_lo
; %bb.38:
	s_or_b32 exec_lo, exec_lo, s3
	v_and_b32_e32 v97, 0x7f800000, v94
	s_delay_alu instid0(VALU_DEP_1) | instskip(SKIP_1) | instid1(SALU_CYCLE_1)
	v_cmp_ne_u32_e32 vcc_lo, 0x7f800000, v97
                                        ; implicit-def: $vgpr97
	s_and_saveexec_b32 s3, vcc_lo
	s_xor_b32 s3, exec_lo, s3
; %bb.39:
	v_bfe_u32 v97, v94, 16, 1
	s_delay_alu instid0(VALU_DEP_1)
	v_add3_u32 v97, v94, v97, 0x7fff
                                        ; implicit-def: $vgpr94
; %bb.40:
	s_and_not1_saveexec_b32 s3, s3
; %bb.41:
	v_and_b32_e32 v97, 0xffff, v94
	v_or_b32_e32 v100, 0x10000, v94
	s_delay_alu instid0(VALU_DEP_2) | instskip(NEXT) | instid1(VALU_DEP_2)
	v_cmp_eq_u32_e32 vcc_lo, 0, v97
	v_cndmask_b32_e32 v97, v100, v94, vcc_lo
; %bb.42:
	s_or_b32 exec_lo, exec_lo, s3
	v_and_b32_e32 v94, 0x7f800000, v92
	s_delay_alu instid0(VALU_DEP_1) | instskip(SKIP_1) | instid1(SALU_CYCLE_1)
	v_cmp_ne_u32_e32 vcc_lo, 0x7f800000, v94
                                        ; implicit-def: $vgpr94
	s_and_saveexec_b32 s3, vcc_lo
	s_xor_b32 s3, exec_lo, s3
; %bb.43:
	v_bfe_u32 v94, v92, 16, 1
	s_delay_alu instid0(VALU_DEP_1)
	v_add3_u32 v94, v92, v94, 0x7fff
                                        ; implicit-def: $vgpr92
; %bb.44:
	s_and_not1_saveexec_b32 s3, s3
; %bb.45:
	v_and_b32_e32 v94, 0xffff, v92
	v_or_b32_e32 v100, 0x10000, v92
	s_delay_alu instid0(VALU_DEP_2) | instskip(NEXT) | instid1(VALU_DEP_2)
	v_cmp_eq_u32_e32 vcc_lo, 0, v94
	v_cndmask_b32_e32 v94, v100, v92, vcc_lo
; %bb.46:
	s_or_b32 exec_lo, exec_lo, s3
	s_load_b64 s[34:35], s[0:1], 0x94
	v_lshlrev_b32_e32 v92, 4, v83
	s_delay_alu instid0(VALU_DEP_2)
	v_perm_b32 v100, v94, v97, 0x7060302
	v_dual_mul_f32 v89, v90, v89 :: v_dual_lshlrev_b32 v94, 11, v74
	v_perm_b32 v97, v93, v91, 0x7060302
	v_mul_f32_e32 v93, v90, v77
	v_perm_b32 v99, v98, v99, 0x7060302
	v_perm_b32 v98, v96, v95, 0x7060302
	v_or3_b32 v77, v92, v94, v85
	v_mul_f32_e32 v88, v90, v88
	v_dual_mul_f32 v87, v90, v87 :: v_dual_and_b32 v94, 0x7f800000, v93
	v_mul_f32_e32 v86, v90, v86
	v_mul_f32_e32 v91, v90, v80
	;; [unrolled: 1-line block ×4, first 2 shown]
	s_mov_b32 s3, exec_lo
	ds_store_b128 v77, v[97:100]
                                        ; implicit-def: $vgpr78
	v_cmpx_ne_u32_e32 0x7f800000, v94
	s_xor_b32 s3, exec_lo, s3
; %bb.47:
	v_bfe_u32 v78, v93, 16, 1
	s_delay_alu instid0(VALU_DEP_1)
	v_add3_u32 v78, v93, v78, 0x7fff
                                        ; implicit-def: $vgpr93
; %bb.48:
	s_and_not1_saveexec_b32 s3, s3
; %bb.49:
	v_and_b32_e32 v78, 0xffff, v93
	v_or_b32_e32 v79, 0x10000, v93
	s_delay_alu instid0(VALU_DEP_2) | instskip(NEXT) | instid1(VALU_DEP_2)
	v_cmp_eq_u32_e32 vcc_lo, 0, v78
	v_cndmask_b32_e32 v78, v79, v93, vcc_lo
; %bb.50:
	s_or_b32 exec_lo, exec_lo, s3
	v_and_b32_e32 v79, 0x7f800000, v80
	s_delay_alu instid0(VALU_DEP_1) | instskip(SKIP_1) | instid1(SALU_CYCLE_1)
	v_cmp_ne_u32_e32 vcc_lo, 0x7f800000, v79
                                        ; implicit-def: $vgpr79
	s_and_saveexec_b32 s3, vcc_lo
	s_xor_b32 s3, exec_lo, s3
; %bb.51:
	v_bfe_u32 v79, v80, 16, 1
	s_delay_alu instid0(VALU_DEP_1)
	v_add3_u32 v79, v80, v79, 0x7fff
                                        ; implicit-def: $vgpr80
; %bb.52:
	s_and_not1_saveexec_b32 s3, s3
; %bb.53:
	v_and_b32_e32 v79, 0xffff, v80
	v_or_b32_e32 v90, 0x10000, v80
	s_delay_alu instid0(VALU_DEP_2) | instskip(NEXT) | instid1(VALU_DEP_2)
	v_cmp_eq_u32_e32 vcc_lo, 0, v79
	v_cndmask_b32_e32 v79, v90, v80, vcc_lo
; %bb.54:
	s_or_b32 exec_lo, exec_lo, s3
	v_and_b32_e32 v80, 0x7f800000, v92
	s_delay_alu instid0(VALU_DEP_1) | instskip(SKIP_1) | instid1(SALU_CYCLE_1)
	v_cmp_ne_u32_e32 vcc_lo, 0x7f800000, v80
                                        ; implicit-def: $vgpr80
	s_and_saveexec_b32 s3, vcc_lo
	s_xor_b32 s3, exec_lo, s3
; %bb.55:
	v_bfe_u32 v80, v92, 16, 1
	s_delay_alu instid0(VALU_DEP_1)
	v_add3_u32 v80, v92, v80, 0x7fff
                                        ; implicit-def: $vgpr92
; %bb.56:
	s_and_not1_saveexec_b32 s3, s3
; %bb.57:
	v_and_b32_e32 v80, 0xffff, v92
	v_or_b32_e32 v90, 0x10000, v92
	s_delay_alu instid0(VALU_DEP_2) | instskip(NEXT) | instid1(VALU_DEP_2)
	v_cmp_eq_u32_e32 vcc_lo, 0, v80
	v_cndmask_b32_e32 v80, v90, v92, vcc_lo
; %bb.58:
	s_or_b32 exec_lo, exec_lo, s3
	v_and_b32_e32 v90, 0x7f800000, v91
	s_delay_alu instid0(VALU_DEP_1) | instskip(SKIP_1) | instid1(SALU_CYCLE_1)
	v_cmp_ne_u32_e32 vcc_lo, 0x7f800000, v90
                                        ; implicit-def: $vgpr90
	s_and_saveexec_b32 s3, vcc_lo
	s_xor_b32 s3, exec_lo, s3
; %bb.59:
	v_bfe_u32 v90, v91, 16, 1
	s_delay_alu instid0(VALU_DEP_1)
	v_add3_u32 v90, v91, v90, 0x7fff
                                        ; implicit-def: $vgpr91
; %bb.60:
	s_and_not1_saveexec_b32 s3, s3
; %bb.61:
	v_and_b32_e32 v90, 0xffff, v91
	v_or_b32_e32 v92, 0x10000, v91
	s_delay_alu instid0(VALU_DEP_2) | instskip(NEXT) | instid1(VALU_DEP_2)
	v_cmp_eq_u32_e32 vcc_lo, 0, v90
	v_cndmask_b32_e32 v90, v92, v91, vcc_lo
; %bb.62:
	s_or_b32 exec_lo, exec_lo, s3
	v_and_b32_e32 v91, 0x7f800000, v86
	s_delay_alu instid0(VALU_DEP_1) | instskip(SKIP_1) | instid1(SALU_CYCLE_1)
	v_cmp_ne_u32_e32 vcc_lo, 0x7f800000, v91
                                        ; implicit-def: $vgpr91
	s_and_saveexec_b32 s3, vcc_lo
	s_xor_b32 s3, exec_lo, s3
; %bb.63:
	v_bfe_u32 v91, v86, 16, 1
	s_delay_alu instid0(VALU_DEP_1)
	v_add3_u32 v91, v86, v91, 0x7fff
                                        ; implicit-def: $vgpr86
; %bb.64:
	s_and_not1_saveexec_b32 s3, s3
; %bb.65:
	v_and_b32_e32 v91, 0xffff, v86
	v_or_b32_e32 v92, 0x10000, v86
	s_delay_alu instid0(VALU_DEP_2) | instskip(NEXT) | instid1(VALU_DEP_2)
	v_cmp_eq_u32_e32 vcc_lo, 0, v91
	v_cndmask_b32_e32 v91, v92, v86, vcc_lo
; %bb.66:
	s_or_b32 exec_lo, exec_lo, s3
	v_and_b32_e32 v86, 0x7f800000, v87
	s_delay_alu instid0(VALU_DEP_1) | instskip(SKIP_1) | instid1(SALU_CYCLE_1)
	v_cmp_ne_u32_e32 vcc_lo, 0x7f800000, v86
                                        ; implicit-def: $vgpr86
	s_and_saveexec_b32 s3, vcc_lo
	s_xor_b32 s3, exec_lo, s3
; %bb.67:
	v_bfe_u32 v86, v87, 16, 1
	s_delay_alu instid0(VALU_DEP_1)
	v_add3_u32 v86, v87, v86, 0x7fff
                                        ; implicit-def: $vgpr87
; %bb.68:
	s_and_not1_saveexec_b32 s3, s3
; %bb.69:
	v_and_b32_e32 v86, 0xffff, v87
	v_or_b32_e32 v92, 0x10000, v87
	s_delay_alu instid0(VALU_DEP_2) | instskip(NEXT) | instid1(VALU_DEP_2)
	v_cmp_eq_u32_e32 vcc_lo, 0, v86
	v_cndmask_b32_e32 v86, v92, v87, vcc_lo
; %bb.70:
	s_or_b32 exec_lo, exec_lo, s3
	v_and_b32_e32 v87, 0x7f800000, v88
	s_delay_alu instid0(VALU_DEP_1) | instskip(SKIP_1) | instid1(SALU_CYCLE_1)
	v_cmp_ne_u32_e32 vcc_lo, 0x7f800000, v87
                                        ; implicit-def: $vgpr87
	s_and_saveexec_b32 s3, vcc_lo
	s_xor_b32 s3, exec_lo, s3
; %bb.71:
	v_bfe_u32 v87, v88, 16, 1
	s_delay_alu instid0(VALU_DEP_1)
	v_add3_u32 v87, v88, v87, 0x7fff
                                        ; implicit-def: $vgpr88
; %bb.72:
	s_and_not1_saveexec_b32 s3, s3
; %bb.73:
	v_and_b32_e32 v87, 0xffff, v88
	v_or_b32_e32 v92, 0x10000, v88
	s_delay_alu instid0(VALU_DEP_2) | instskip(NEXT) | instid1(VALU_DEP_2)
	v_cmp_eq_u32_e32 vcc_lo, 0, v87
	v_cndmask_b32_e32 v87, v92, v88, vcc_lo
; %bb.74:
	s_or_b32 exec_lo, exec_lo, s3
	v_and_b32_e32 v88, 0x7f800000, v89
	s_delay_alu instid0(VALU_DEP_1) | instskip(SKIP_1) | instid1(SALU_CYCLE_1)
	v_cmp_ne_u32_e32 vcc_lo, 0x7f800000, v88
                                        ; implicit-def: $vgpr88
	s_and_saveexec_b32 s3, vcc_lo
	s_xor_b32 s3, exec_lo, s3
; %bb.75:
	v_bfe_u32 v88, v89, 16, 1
	s_delay_alu instid0(VALU_DEP_1)
	v_add3_u32 v88, v89, v88, 0x7fff
                                        ; implicit-def: $vgpr89
; %bb.76:
	s_and_not1_saveexec_b32 s3, s3
; %bb.77:
	v_and_b32_e32 v88, 0xffff, v89
	v_or_b32_e32 v92, 0x10000, v89
	s_delay_alu instid0(VALU_DEP_2) | instskip(NEXT) | instid1(VALU_DEP_2)
	v_cmp_eq_u32_e32 vcc_lo, 0, v88
	v_cndmask_b32_e32 v88, v92, v89, vcc_lo
; %bb.78:
	s_or_b32 exec_lo, exec_lo, s3
	s_delay_alu instid0(VALU_DEP_1)
	v_perm_b32 v89, v88, v87, 0x7060302
	v_perm_b32 v88, v86, v91, 0x7060302
	;; [unrolled: 1-line block ×4, first 2 shown]
	v_lshl_or_b32 v90, v74, 11, v85
	ds_store_b128 v77, v[86:89] offset:1024
	s_waitcnt lgkmcnt(0)
	s_barrier
	buffer_gl0_inv
	ds_load_b128 v[91:94], v90
	ds_load_b128 v[95:98], v90 offset:16
	v_lshlrev_b32_e32 v87, 2, v83
	s_delay_alu instid0(VALU_DEP_1)
	v_or_b32_e32 v88, 1, v87
	v_cmp_eq_u32_e32 vcc_lo, 1, v87
	v_cmp_eq_u32_e64 s4, 2, v87
	v_cmp_eq_u32_e64 s7, 3, v87
	;; [unrolled: 1-line block ×6, first 2 shown]
	v_or_b32_e32 v86, 2, v87
	v_cmp_eq_u32_e64 s10, 5, v87
	v_cmp_eq_u32_e64 s11, 4, v88
	;; [unrolled: 1-line block ×4, first 2 shown]
	s_waitcnt lgkmcnt(1)
	v_lshrrev_b32_e32 v74, 16, v91
	s_waitcnt lgkmcnt(0)
	v_lshrrev_b32_e32 v103, 16, v95
	v_lshrrev_b32_e32 v80, 16, v94
	;; [unrolled: 1-line block ×4, first 2 shown]
	v_cndmask_b32_e32 v89, v91, v74, vcc_lo
	v_cndmask_b32_e32 v99, v95, v103, vcc_lo
	v_cndmask_b32_e64 v100, v91, v74, s3
	v_lshrrev_b32_e32 v79, 16, v93
	v_lshrrev_b32_e32 v108, 16, v97
	v_cndmask_b32_e64 v89, v89, v92, s4
	v_cndmask_b32_e64 v99, v99, v96, s4
	v_cndmask_b32_e64 v100, v100, v92, s6
	v_cndmask_b32_e64 v101, v95, v103, s3
	v_cmp_eq_u32_e64 s5, 1, v86
	v_cndmask_b32_e64 v89, v89, v78, s7
	v_cndmask_b32_e64 v99, v99, v107, s7
	;; [unrolled: 1-line block ×4, first 2 shown]
	v_lshrrev_b32_e32 v109, 16, v98
	v_cndmask_b32_e64 v89, v89, v93, s9
	v_cndmask_b32_e64 v99, v99, v97, s9
	;; [unrolled: 1-line block ×8, first 2 shown]
	v_cmp_eq_u32_e64 s15, 7, v87
	v_cmp_eq_u32_e64 s16, 6, v88
	v_cndmask_b32_e64 v89, v89, v94, s12
	v_cndmask_b32_e64 v99, v99, v98, s12
	v_cmp_eq_u32_e64 s17, 2, v86
	v_cndmask_b32_e64 v101, v101, v97, s11
	v_cndmask_b32_e64 v100, v100, v94, s16
	;; [unrolled: 1-line block ×6, first 2 shown]
	v_cmp_eq_u32_e64 s18, 7, v88
	v_cmp_eq_u32_e64 s19, 3, v86
	;; [unrolled: 1-line block ×4, first 2 shown]
	v_cndmask_b32_e64 v99, v99, v96, s17
	v_cndmask_b32_e64 v112, v100, v80, s18
	v_cndmask_b32_e64 v100, v101, v108, s13
	v_cndmask_b32_e64 v101, v89, v78, s19
	v_or_b32_e32 v89, 3, v87
	v_cndmask_b32_e64 v105, v99, v107, s19
	v_cmp_eq_u32_e64 s24, 6, v86
	v_cndmask_b32_e64 v113, v100, v98, s16
	v_cndmask_b32_e64 v104, v101, v93, s20
	ds_load_b128 v[99:102], v90 offset:1024
	v_cmp_eq_u32_e64 s21, 1, v89
	v_cmp_eq_u32_e64 s23, 2, v89
	;; [unrolled: 1-line block ×3, first 2 shown]
	v_cndmask_b32_e64 v114, v104, v79, s22
	v_cmp_eq_u32_e64 s26, 4, v89
	v_cndmask_b32_e64 v74, v91, v74, s21
	v_cndmask_b32_e64 v91, v105, v97, s20
	;; [unrolled: 1-line block ×3, first 2 shown]
	ds_load_b128 v[103:106], v90 offset:1040
	v_cmp_eq_u32_e64 s28, 5, v89
	v_cndmask_b32_e64 v74, v74, v92, s23
	v_cndmask_b32_e64 v91, v91, v108, s22
	;; [unrolled: 1-line block ×3, first 2 shown]
	v_cmp_eq_u32_e64 s29, 6, v89
	v_cndmask_b32_e64 v95, v113, v109, s18
	v_cndmask_b32_e64 v74, v74, v78, s25
	;; [unrolled: 1-line block ×5, first 2 shown]
	s_waitcnt lgkmcnt(1)
	v_lshrrev_b32_e32 v96, 16, v99
	v_cndmask_b32_e64 v74, v74, v93, s26
	v_lshrrev_b32_e32 v107, 16, v100
	v_cndmask_b32_e64 v92, v92, v97, s26
	v_cmp_eq_u32_e64 s27, 7, v86
	v_cndmask_b32_e32 v93, v99, v96, vcc_lo
	v_cndmask_b32_e64 v74, v74, v79, s28
	s_delay_alu instid0(VALU_DEP_4)
	v_cndmask_b32_e64 v79, v92, v108, s28
	s_waitcnt lgkmcnt(0)
	v_lshrrev_b32_e32 v97, 16, v103
	v_cndmask_b32_e64 v92, v93, v100, s4
	v_cndmask_b32_e64 v93, v99, v96, s3
	;; [unrolled: 1-line block ×4, first 2 shown]
	v_cndmask_b32_e32 v108, v103, v97, vcc_lo
	v_cndmask_b32_e64 v92, v92, v107, s7
	v_cndmask_b32_e64 v93, v93, v100, s6
	v_lshrrev_b32_e32 v98, 16, v104
	v_cmp_eq_u32_e32 vcc_lo, 7, v89
	v_cndmask_b32_e64 v94, v108, v104, s4
	v_cndmask_b32_e64 v92, v92, v101, s9
	v_lshrrev_b32_e32 v108, 16, v101
	v_cndmask_b32_e64 v93, v93, v107, s8
	v_cndmask_b32_e32 v74, v74, v80, vcc_lo
	v_cndmask_b32_e64 v94, v94, v98, s7
	v_cndmask_b32_e32 v79, v79, v109, vcc_lo
	v_cndmask_b32_e64 v92, v92, v108, s10
	v_cndmask_b32_e64 v78, v78, v80, s27
	;; [unrolled: 1-line block ×4, first 2 shown]
	v_perm_b32 v94, v79, v74, 0x5040100
	v_cndmask_b32_e64 v79, v92, v102, s12
	v_perm_b32 v92, v95, v112, 0x5040100
	v_cndmask_b32_e64 v95, v99, v96, s5
	v_cndmask_b32_e64 v96, v99, v96, s21
	;; [unrolled: 1-line block ×16, first 2 shown]
	v_lshrrev_b32_e32 v109, 16, v105
	v_cndmask_b32_e64 v95, v95, v101, s20
	v_cndmask_b32_e64 v96, v96, v101, s26
	;; [unrolled: 1-line block ×6, first 2 shown]
	v_lshrrev_b32_e32 v80, 16, v102
	v_cndmask_b32_e64 v113, v93, v109, s10
	v_cndmask_b32_e64 v95, v95, v108, s22
	;; [unrolled: 1-line block ×6, first 2 shown]
	v_perm_b32 v93, v91, v78, 0x5040100
	v_cndmask_b32_e64 v74, v74, v102, s16
	v_cndmask_b32_e64 v78, v79, v80, s15
	;; [unrolled: 1-line block ×3, first 2 shown]
	v_lshrrev_b32_e32 v91, 16, v106
	v_cndmask_b32_e64 v95, v95, v102, s24
	v_cndmask_b32_e64 v96, v96, v102, s29
	v_cndmask_b32_e64 v98, v98, v106, s29
	v_cndmask_b32_e64 v99, v99, v106, s24
	v_cndmask_b32_e64 v97, v97, v106, s16
	v_cndmask_b32_e64 v74, v74, v80, s18
	v_cndmask_b32_e64 v95, v95, v80, s27
	v_cndmask_b32_e32 v80, v96, v80, vcc_lo
	v_cndmask_b32_e32 v96, v98, v91, vcc_lo
	v_cndmask_b32_e64 v99, v99, v91, s27
	v_cndmask_b32_e64 v100, v97, v91, s18
	;; [unrolled: 1-line block ×3, first 2 shown]
	v_perm_b32 v91, v111, v110, 0x5040100
	v_perm_b32 v98, v96, v80, 0x5040100
	;; [unrolled: 1-line block ×5, first 2 shown]
	s_mul_i32 s8, s35, 9
	s_mov_b32 s3, exec_lo
	ds_store_b128 v77, v[91:94]
	ds_store_b128 v77, v[95:98] offset:1024
	v_cmpx_gt_u32_e32 9, v0
	s_cbranch_execz .LBB758_80
; %bb.79:
	s_mul_i32 s4, s8, s30
	s_delay_alu instid0(SALU_CYCLE_1) | instskip(SKIP_1) | instid1(VALU_DEP_1)
	v_add3_u32 v77, s4, s31, v73
	s_load_b128 s[4:7], s[0:1], 0x58
	v_mad_u64_u32 v[73:74], null, v77, s34, s[14:15]
	s_delay_alu instid0(VALU_DEP_1) | instskip(NEXT) | instid1(VALU_DEP_1)
	v_ashrrev_i32_e32 v74, 31, v73
	v_lshlrev_b64 v[73:74], 2, v[73:74]
	s_waitcnt lgkmcnt(0)
	s_delay_alu instid0(VALU_DEP_1) | instskip(NEXT) | instid1(VALU_DEP_2)
	v_add_co_u32 v77, vcc_lo, s6, v73
	v_add_co_ci_u32_e32 v78, vcc_lo, s7, v74, vcc_lo
	v_add_co_u32 v73, vcc_lo, s4, v73
	v_add_co_ci_u32_e32 v74, vcc_lo, s5, v74, vcc_lo
	global_store_b32 v[77:78], v75, off
	global_store_b32 v[73:74], v76, off
.LBB758_80:
	s_or_b32 exec_lo, exec_lo, s3
	s_waitcnt lgkmcnt(0)
	s_waitcnt_vscnt null, 0x0
	s_barrier
	buffer_gl0_inv
	ds_load_b128 v[91:94], v85
	ds_load_b128 v[95:98], v85 offset:16
	ds_load_b128 v[103:106], v85 offset:1040
	ds_load_b128 v[99:102], v85 offset:1024
	v_mov_b32_e32 v73, 0
	ds_load_b128 v[111:114], v85 offset:2064
	ds_load_b128 v[107:110], v85 offset:2048
	;; [unrolled: 1-line block ×6, first 2 shown]
	v_mov_b32_e32 v74, v73
	v_mov_b32_e32 v75, v73
	;; [unrolled: 1-line block ×7, first 2 shown]
	s_waitcnt lgkmcnt(8)
	s_delay_alu instid0(VALU_DEP_1)
	v_wmma_f32_16x16x16_bf16 v[73:80], v[65:72], v[91:98], v[73:80]
	ds_load_b128 v[69:72], v85 offset:5136
	ds_load_b128 v[65:68], v85 offset:5120
	;; [unrolled: 1-line block ×4, first 2 shown]
	s_waitcnt lgkmcnt(10)
	v_wmma_f32_16x16x16_bf16 v[73:80], v[57:64], v[99:106], v[73:80]
	s_waitcnt lgkmcnt(8)
	s_delay_alu instid0(VALU_DEP_1)
	v_wmma_f32_16x16x16_bf16 v[73:80], v[57:64], v[107:114], v[73:80]
	ds_load_b128 v[61:64], v85 offset:7184
	ds_load_b128 v[57:60], v85 offset:7168
	;; [unrolled: 1-line block ×4, first 2 shown]
	s_waitcnt lgkmcnt(10)
	v_wmma_f32_16x16x16_bf16 v[73:80], v[49:56], v[115:122], v[73:80]
	s_waitcnt lgkmcnt(8)
	s_delay_alu instid0(VALU_DEP_1)
	v_wmma_f32_16x16x16_bf16 v[73:80], v[49:56], v[123:130], v[73:80]
	ds_load_b128 v[53:56], v85 offset:9232
	ds_load_b128 v[49:52], v85 offset:9216
	s_waitcnt lgkmcnt(8)
	v_wmma_f32_16x16x16_bf16 v[73:80], v[41:48], v[65:72], v[73:80]
	ds_load_b128 v[69:72], v85 offset:10256
	ds_load_b128 v[65:68], v85 offset:10240
	s_waitcnt lgkmcnt(8)
	;; [unrolled: 4-line block ×3, first 2 shown]
	v_wmma_f32_16x16x16_bf16 v[73:80], v[9:16], v[57:64], v[73:80]
	s_waitcnt lgkmcnt(6)
	s_delay_alu instid0(VALU_DEP_1)
	v_wmma_f32_16x16x16_bf16 v[73:80], v[9:16], v[99:106], v[73:80]
	ds_load_b128 v[13:16], v85 offset:12304
	ds_load_b128 v[9:12], v85 offset:12288
	s_waitcnt lgkmcnt(6)
	v_wmma_f32_16x16x16_bf16 v[73:80], v[1:8], v[49:56], v[73:80]
	ds_load_b128 v[53:56], v85 offset:13328
	ds_load_b128 v[49:52], v85 offset:13312
	s_waitcnt lgkmcnt(6)
	;; [unrolled: 4-line block ×4, first 2 shown]
	v_wmma_f32_16x16x16_bf16 v[73:80], v[33:40], v[9:16], v[73:80]
	s_waitcnt lgkmcnt(4)
	s_delay_alu instid0(VALU_DEP_1) | instskip(SKIP_1) | instid1(VALU_DEP_1)
	v_wmma_f32_16x16x16_bf16 v[73:80], v[25:32], v[49:56], v[73:80]
	s_waitcnt lgkmcnt(2)
	v_wmma_f32_16x16x16_bf16 v[73:80], v[25:32], v[1:8], v[73:80]
	s_waitcnt lgkmcnt(0)
	s_delay_alu instid0(VALU_DEP_1) | instskip(NEXT) | instid1(VALU_DEP_1)
	v_wmma_f32_16x16x16_bf16 v[73:80], v[17:24], v[41:48], v[73:80]
	v_and_b32_e32 v1, 0x7f800000, v73
	s_delay_alu instid0(VALU_DEP_1) | instskip(SKIP_1) | instid1(SALU_CYCLE_1)
	v_cmp_ne_u32_e32 vcc_lo, 0x7f800000, v1
                                        ; implicit-def: $vgpr1
	s_and_saveexec_b32 s3, vcc_lo
	s_xor_b32 s3, exec_lo, s3
; %bb.81:
	v_bfe_u32 v1, v73, 16, 1
	s_delay_alu instid0(VALU_DEP_1)
	v_add3_u32 v1, v73, v1, 0x7fff
; %bb.82:
	s_and_not1_saveexec_b32 s3, s3
; %bb.83:
	v_and_b32_e32 v1, 0xffff, v73
	v_or_b32_e32 v2, 0x10000, v73
	s_delay_alu instid0(VALU_DEP_2) | instskip(NEXT) | instid1(VALU_DEP_2)
	v_cmp_eq_u32_e32 vcc_lo, 0, v1
	v_cndmask_b32_e32 v1, v2, v73, vcc_lo
; %bb.84:
	s_or_b32 exec_lo, exec_lo, s3
	v_and_b32_e32 v2, 0x7f800000, v74
	s_delay_alu instid0(VALU_DEP_1) | instskip(SKIP_1) | instid1(SALU_CYCLE_1)
	v_cmp_ne_u32_e32 vcc_lo, 0x7f800000, v2
                                        ; implicit-def: $vgpr2
	s_and_saveexec_b32 s3, vcc_lo
	s_xor_b32 s3, exec_lo, s3
; %bb.85:
	v_bfe_u32 v2, v74, 16, 1
	s_delay_alu instid0(VALU_DEP_1)
	v_add3_u32 v2, v74, v2, 0x7fff
; %bb.86:
	s_and_not1_saveexec_b32 s3, s3
; %bb.87:
	v_and_b32_e32 v2, 0xffff, v74
	v_or_b32_e32 v3, 0x10000, v74
	s_delay_alu instid0(VALU_DEP_2) | instskip(NEXT) | instid1(VALU_DEP_2)
	v_cmp_eq_u32_e32 vcc_lo, 0, v2
	v_cndmask_b32_e32 v2, v3, v74, vcc_lo
; %bb.88:
	s_or_b32 exec_lo, exec_lo, s3
	v_and_b32_e32 v3, 0x7f800000, v75
	s_delay_alu instid0(VALU_DEP_1) | instskip(SKIP_1) | instid1(SALU_CYCLE_1)
	v_cmp_ne_u32_e32 vcc_lo, 0x7f800000, v3
                                        ; implicit-def: $vgpr3
	s_and_saveexec_b32 s3, vcc_lo
	s_xor_b32 s3, exec_lo, s3
; %bb.89:
	v_bfe_u32 v3, v75, 16, 1
	s_delay_alu instid0(VALU_DEP_1)
	v_add3_u32 v3, v75, v3, 0x7fff
; %bb.90:
	s_and_not1_saveexec_b32 s3, s3
; %bb.91:
	v_and_b32_e32 v3, 0xffff, v75
	v_or_b32_e32 v4, 0x10000, v75
	s_delay_alu instid0(VALU_DEP_2) | instskip(NEXT) | instid1(VALU_DEP_2)
	v_cmp_eq_u32_e32 vcc_lo, 0, v3
	v_cndmask_b32_e32 v3, v4, v75, vcc_lo
; %bb.92:
	s_or_b32 exec_lo, exec_lo, s3
	v_and_b32_e32 v4, 0x7f800000, v76
	s_delay_alu instid0(VALU_DEP_1) | instskip(SKIP_1) | instid1(SALU_CYCLE_1)
	v_cmp_ne_u32_e32 vcc_lo, 0x7f800000, v4
                                        ; implicit-def: $vgpr4
	s_and_saveexec_b32 s3, vcc_lo
	s_xor_b32 s3, exec_lo, s3
; %bb.93:
	v_bfe_u32 v4, v76, 16, 1
	s_delay_alu instid0(VALU_DEP_1)
	v_add3_u32 v4, v76, v4, 0x7fff
; %bb.94:
	s_and_not1_saveexec_b32 s3, s3
; %bb.95:
	v_and_b32_e32 v4, 0xffff, v76
	v_or_b32_e32 v5, 0x10000, v76
	s_delay_alu instid0(VALU_DEP_2) | instskip(NEXT) | instid1(VALU_DEP_2)
	v_cmp_eq_u32_e32 vcc_lo, 0, v4
	v_cndmask_b32_e32 v4, v5, v76, vcc_lo
; %bb.96:
	s_or_b32 exec_lo, exec_lo, s3
	v_and_b32_e32 v5, 0x7f800000, v77
	s_delay_alu instid0(VALU_DEP_1) | instskip(SKIP_1) | instid1(SALU_CYCLE_1)
	v_cmp_ne_u32_e32 vcc_lo, 0x7f800000, v5
                                        ; implicit-def: $vgpr5
	s_and_saveexec_b32 s3, vcc_lo
	s_xor_b32 s3, exec_lo, s3
; %bb.97:
	v_bfe_u32 v5, v77, 16, 1
	s_delay_alu instid0(VALU_DEP_1)
	v_add3_u32 v5, v77, v5, 0x7fff
; %bb.98:
	s_and_not1_saveexec_b32 s3, s3
; %bb.99:
	v_and_b32_e32 v5, 0xffff, v77
	v_or_b32_e32 v6, 0x10000, v77
	s_delay_alu instid0(VALU_DEP_2) | instskip(NEXT) | instid1(VALU_DEP_2)
	v_cmp_eq_u32_e32 vcc_lo, 0, v5
	v_cndmask_b32_e32 v5, v6, v77, vcc_lo
; %bb.100:
	s_or_b32 exec_lo, exec_lo, s3
	v_and_b32_e32 v6, 0x7f800000, v78
	s_delay_alu instid0(VALU_DEP_1) | instskip(SKIP_1) | instid1(SALU_CYCLE_1)
	v_cmp_ne_u32_e32 vcc_lo, 0x7f800000, v6
                                        ; implicit-def: $vgpr6
	s_and_saveexec_b32 s3, vcc_lo
	s_xor_b32 s3, exec_lo, s3
; %bb.101:
	v_bfe_u32 v6, v78, 16, 1
	s_delay_alu instid0(VALU_DEP_1)
	v_add3_u32 v6, v78, v6, 0x7fff
; %bb.102:
	s_and_not1_saveexec_b32 s3, s3
; %bb.103:
	v_and_b32_e32 v6, 0xffff, v78
	v_or_b32_e32 v7, 0x10000, v78
	s_delay_alu instid0(VALU_DEP_2) | instskip(NEXT) | instid1(VALU_DEP_2)
	v_cmp_eq_u32_e32 vcc_lo, 0, v6
	v_cndmask_b32_e32 v6, v7, v78, vcc_lo
; %bb.104:
	s_or_b32 exec_lo, exec_lo, s3
	v_and_b32_e32 v7, 0x7f800000, v79
	s_delay_alu instid0(VALU_DEP_1) | instskip(SKIP_1) | instid1(SALU_CYCLE_1)
	v_cmp_ne_u32_e32 vcc_lo, 0x7f800000, v7
                                        ; implicit-def: $vgpr7
	s_and_saveexec_b32 s3, vcc_lo
	s_xor_b32 s3, exec_lo, s3
; %bb.105:
	v_bfe_u32 v7, v79, 16, 1
	s_delay_alu instid0(VALU_DEP_1)
	v_add3_u32 v7, v79, v7, 0x7fff
; %bb.106:
	s_and_not1_saveexec_b32 s3, s3
; %bb.107:
	v_and_b32_e32 v7, 0xffff, v79
	v_or_b32_e32 v8, 0x10000, v79
	s_delay_alu instid0(VALU_DEP_2) | instskip(NEXT) | instid1(VALU_DEP_2)
	v_cmp_eq_u32_e32 vcc_lo, 0, v7
	v_cndmask_b32_e32 v7, v8, v79, vcc_lo
; %bb.108:
	s_or_b32 exec_lo, exec_lo, s3
	v_and_b32_e32 v8, 0x7f800000, v80
	s_delay_alu instid0(VALU_DEP_1) | instskip(SKIP_1) | instid1(SALU_CYCLE_1)
	v_cmp_ne_u32_e32 vcc_lo, 0x7f800000, v8
                                        ; implicit-def: $vgpr8
	s_and_saveexec_b32 s3, vcc_lo
	s_xor_b32 s3, exec_lo, s3
; %bb.109:
	v_bfe_u32 v8, v80, 16, 1
	s_delay_alu instid0(VALU_DEP_1)
	v_add3_u32 v8, v80, v8, 0x7fff
                                        ; implicit-def: $vgpr73_vgpr74_vgpr75_vgpr76_vgpr77_vgpr78_vgpr79_vgpr80
; %bb.110:
	s_and_not1_saveexec_b32 s3, s3
; %bb.111:
	v_and_b32_e32 v8, 0xffff, v80
	v_or_b32_e32 v9, 0x10000, v80
	s_delay_alu instid0(VALU_DEP_2) | instskip(NEXT) | instid1(VALU_DEP_2)
	v_cmp_eq_u32_e32 vcc_lo, 0, v8
	v_cndmask_b32_e32 v8, v9, v80, vcc_lo
; %bb.112:
	s_or_b32 exec_lo, exec_lo, s3
	s_delay_alu instid0(VALU_DEP_1)
	v_perm_b32 v7, v8, v7, 0x7060302
	v_perm_b32 v6, v6, v5, 0x7060302
	;; [unrolled: 1-line block ×4, first 2 shown]
	v_lshl_or_b32 v9, v83, 4, v90
	s_barrier
	buffer_gl0_inv
	v_cmp_eq_u32_e32 vcc_lo, 1, v87
	ds_store_b128 v9, v[4:7]
	s_waitcnt lgkmcnt(0)
	s_barrier
	buffer_gl0_inv
	ds_load_b128 v[1:4], v90
	ds_load_b128 v[5:8], v90 offset:16
	v_cmp_eq_u32_e64 s4, 2, v87
	v_cmp_eq_u32_e64 s3, 1, v88
	;; [unrolled: 1-line block ×5, first 2 shown]
	s_waitcnt lgkmcnt(1)
	v_lshrrev_b32_e32 v10, 16, v1
	s_waitcnt lgkmcnt(0)
	v_lshrrev_b32_e32 v14, 16, v5
	v_lshrrev_b32_e32 v15, 16, v6
	;; [unrolled: 1-line block ×4, first 2 shown]
	v_cndmask_b32_e64 v20, v1, v10, s3
	v_cndmask_b32_e32 v19, v5, v14, vcc_lo
	v_cndmask_b32_e64 v21, v5, v14, s3
	v_lshrrev_b32_e32 v16, 16, v7
	v_cmp_eq_u32_e64 s3, 1, v86
	v_lshrrev_b32_e32 v13, 16, v4
	v_cndmask_b32_e64 v19, v19, v6, s4
	v_lshrrev_b32_e32 v17, 16, v8
	s_delay_alu instid0(VALU_DEP_4) | instskip(SKIP_1) | instid1(VALU_DEP_4)
	v_cndmask_b32_e64 v22, v1, v10, s3
	v_cndmask_b32_e64 v23, v5, v14, s3
	;; [unrolled: 1-line block ×3, first 2 shown]
	v_cndmask_b32_e32 v18, v1, v10, vcc_lo
	v_cmp_eq_u32_e32 vcc_lo, 2, v88
	v_cmp_eq_u32_e64 s3, 2, v89
	v_cndmask_b32_e64 v22, v22, v2, s7
	v_cndmask_b32_e32 v20, v20, v2, vcc_lo
	v_cndmask_b32_e32 v21, v21, v6, vcc_lo
	v_cmp_eq_u32_e32 vcc_lo, 4, v87
	v_cndmask_b32_e32 v19, v19, v7, vcc_lo
	v_cndmask_b32_e64 v18, v18, v2, s4
	v_cmp_eq_u32_e64 s4, 3, v88
	s_delay_alu instid0(VALU_DEP_2) | instskip(NEXT) | instid1(VALU_DEP_2)
	v_cndmask_b32_e64 v18, v18, v11, s5
	v_cndmask_b32_e64 v21, v21, v15, s4
	v_cmp_eq_u32_e64 s5, 5, v87
	s_delay_alu instid0(VALU_DEP_3) | instskip(SKIP_1) | instid1(VALU_DEP_3)
	v_cndmask_b32_e32 v18, v18, v3, vcc_lo
	v_cmp_eq_u32_e32 vcc_lo, 4, v88
	v_cndmask_b32_e64 v19, v19, v16, s5
	s_delay_alu instid0(VALU_DEP_3) | instskip(SKIP_4) | instid1(VALU_DEP_3)
	v_cndmask_b32_e64 v18, v18, v12, s5
	v_cndmask_b32_e32 v21, v21, v7, vcc_lo
	v_cndmask_b32_e64 v20, v20, v11, s4
	v_cmp_eq_u32_e64 s4, 5, v88
	v_cmp_eq_u32_e64 s5, 6, v87
	v_cndmask_b32_e32 v20, v20, v3, vcc_lo
	s_delay_alu instid0(VALU_DEP_3) | instskip(SKIP_1) | instid1(VALU_DEP_4)
	v_cndmask_b32_e64 v21, v21, v16, s4
	v_cmp_eq_u32_e32 vcc_lo, 6, v88
	v_cndmask_b32_e64 v18, v18, v4, s5
	v_cndmask_b32_e64 v19, v19, v8, s5
	;; [unrolled: 1-line block ×3, first 2 shown]
	v_cmp_eq_u32_e64 s4, 1, v89
	v_cmp_eq_u32_e64 s5, 7, v87
	s_delay_alu instid0(VALU_DEP_3) | instskip(NEXT) | instid1(VALU_DEP_3)
	v_cndmask_b32_e32 v20, v20, v4, vcc_lo
	v_cndmask_b32_e64 v1, v1, v10, s4
	v_cndmask_b32_e64 v5, v5, v14, s4
	v_cmp_eq_u32_e64 s4, 3, v86
	v_cndmask_b32_e64 v14, v23, v6, s7
	v_cmp_eq_u32_e64 s7, 3, v89
	v_cndmask_b32_e64 v1, v1, v2, s3
	v_cndmask_b32_e64 v2, v5, v6, s3
	;; [unrolled: 1-line block ×3, first 2 shown]
	v_cmp_eq_u32_e64 s3, 4, v86
	v_cndmask_b32_e64 v6, v14, v15, s4
	v_cndmask_b32_e64 v1, v1, v11, s7
	v_cmp_eq_u32_e64 s4, 4, v89
	v_cndmask_b32_e64 v2, v2, v15, s7
	v_cndmask_b32_e64 v5, v10, v3, s3
	;; [unrolled: 3-line block ×3, first 2 shown]
	v_cndmask_b32_e64 v2, v2, v7, s4
	v_cmp_eq_u32_e64 s3, 5, v89
	v_cndmask_b32_e64 v5, v5, v12, s7
	v_cmp_eq_u32_e64 s4, 6, v86
	;; [unrolled: 2-line block ×3, first 2 shown]
	v_cndmask_b32_e64 v1, v1, v12, s3
	v_cndmask_b32_e64 v2, v2, v16, s3
	;; [unrolled: 1-line block ×4, first 2 shown]
	v_cmp_eq_u32_e64 s3, 7, v89
	v_cndmask_b32_e64 v1, v1, v4, s7
	v_cndmask_b32_e64 v2, v2, v8, s7
	v_cmp_eq_u32_e64 s4, 7, v86
	v_cndmask_b32_e32 v4, v21, v8, vcc_lo
	v_cndmask_b32_e64 v18, v18, v13, s5
	v_cndmask_b32_e64 v20, v20, v13, s6
	;; [unrolled: 1-line block ×8, first 2 shown]
	s_mov_b32 s3, exec_lo
	v_perm_b32 v4, v2, v1, 0x5040100
	v_perm_b32 v3, v3, v5, 0x5040100
	;; [unrolled: 1-line block ×4, first 2 shown]
	ds_store_b128 v9, v[1:4]
	s_waitcnt lgkmcnt(0)
	s_barrier
	buffer_gl0_inv
	v_cmpx_gt_u32_e32 32, v0
	s_cbranch_execz .LBB758_2
; %bb.113:
	s_load_b64 s[4:5], s[0:1], 0x68
	v_lshlrev_b32_e32 v0, 10, v0
	v_lshlrev_b32_e32 v1, 4, v84
	s_lshl_b32 s0, s34, 7
	v_add_nc_u32_e32 v2, s31, v83
	s_mul_i32 s1, s0, s30
	s_delay_alu instid0(SALU_CYCLE_1) | instskip(SKIP_1) | instid1(VALU_DEP_2)
	s_mul_i32 s6, s1, s8
	v_and_or_b32 v0, 0x3800, v0, v1
	v_mul_lo_u32 v1, v2, s0
	s_ashr_i32 s7, s6, 31
	v_add_nc_u32_e32 v3, 2, v2
	s_lshl_b64 s[6:7], s[6:7], 1
	v_add_nc_u32_e32 v4, 4, v2
	v_add_nc_u32_e32 v5, 6, v2
	v_lshl_or_b32 v15, v83, 6, v0
	v_mul_lo_u32 v3, v3, s0
	v_ashrrev_i32_e32 v2, 31, v1
	v_mul_lo_u32 v19, v4, s0
	v_mul_lo_u32 v21, v5, s0
	s_waitcnt lgkmcnt(0)
	s_add_u32 s1, s4, s6
	s_addc_u32 s3, s5, s7
	s_lshl_b32 s4, s14, 7
	v_lshlrev_b64 v[5:6], 1, v[1:2]
	s_ashr_i32 s5, s4, 31
	v_ashrrev_i32_e32 v4, 31, v3
	s_lshl_b64 s[4:5], s[4:5], 1
	v_ashrrev_i32_e32 v20, 31, v19
	s_add_u32 s1, s1, s4
	s_addc_u32 s3, s3, s5
	v_add_co_u32 v1, vcc_lo, s1, v81
	v_add_co_ci_u32_e32 v2, vcc_lo, s3, v82, vcc_lo
	v_lshlrev_b64 v[25:26], 1, v[3:4]
	s_delay_alu instid0(VALU_DEP_3) | instskip(NEXT) | instid1(VALU_DEP_3)
	v_add_co_u32 v23, vcc_lo, v1, v5
	v_add_co_ci_u32_e32 v24, vcc_lo, v2, v6, vcc_lo
	ds_load_b128 v[3:6], v15
	ds_load_b128 v[7:10], v15 offset:128
	ds_load_b128 v[11:14], v15 offset:256
	;; [unrolled: 1-line block ×3, first 2 shown]
	v_ashrrev_i32_e32 v22, 31, v21
	v_lshlrev_b64 v[19:20], 1, v[19:20]
	v_add_co_u32 v25, vcc_lo, v1, v25
	v_add_co_ci_u32_e32 v26, vcc_lo, v2, v26, vcc_lo
	s_delay_alu instid0(VALU_DEP_4) | instskip(NEXT) | instid1(VALU_DEP_4)
	v_lshlrev_b64 v[21:22], 1, v[21:22]
	v_add_co_u32 v19, vcc_lo, v1, v19
	v_add_co_ci_u32_e32 v20, vcc_lo, v2, v20, vcc_lo
	s_delay_alu instid0(VALU_DEP_3) | instskip(NEXT) | instid1(VALU_DEP_4)
	v_add_co_u32 v21, vcc_lo, v1, v21
	v_add_co_ci_u32_e32 v22, vcc_lo, v2, v22, vcc_lo
	s_waitcnt lgkmcnt(3)
	global_store_b128 v[23:24], v[3:6], off
	s_waitcnt lgkmcnt(2)
	global_store_b128 v[25:26], v[7:10], off
	;; [unrolled: 2-line block ×4, first 2 shown]
	s_and_b32 exec_lo, exec_lo, s2
	s_cbranch_execz .LBB758_2
; %bb.114:
	ds_load_b128 v[3:6], v0 offset:512
	s_add_i32 s1, s31, 8
	s_delay_alu instid0(SALU_CYCLE_1) | instskip(NEXT) | instid1(SALU_CYCLE_1)
	s_mul_i32 s0, s1, s0
	s_ashr_i32 s1, s0, 31
	s_delay_alu instid0(SALU_CYCLE_1) | instskip(NEXT) | instid1(SALU_CYCLE_1)
	s_lshl_b64 s[0:1], s[0:1], 1
	v_add_co_u32 v0, vcc_lo, v1, s0
	v_add_co_ci_u32_e32 v1, vcc_lo, s1, v2, vcc_lo
	s_waitcnt lgkmcnt(0)
	global_store_b128 v[0:1], v[3:6], off
	s_nop 0
	s_sendmsg sendmsg(MSG_DEALLOC_VGPRS)
	s_endpgm
	.section	.rodata,"a",@progbits
	.p2align	6, 0x0
	.amdhsa_kernel _Z39paged_attention_ll4mi_QKV_mfma16_kernelI14__hip_bfloat16S0_LN4vllm18Fp8KVCacheDataTypeE0ES0_Li32ELi128ELi256ELb0ELi9EL8MFMAType0EEvPKT_PKT0_S9_ifPKiSB_SB_iPKfiiiPfSE_PS4_PT2_iSD_SD_
		.amdhsa_group_segment_fixed_size 17472
		.amdhsa_private_segment_fixed_size 0
		.amdhsa_kernarg_size 400
		.amdhsa_user_sgpr_count 13
		.amdhsa_user_sgpr_dispatch_ptr 0
		.amdhsa_user_sgpr_queue_ptr 0
		.amdhsa_user_sgpr_kernarg_segment_ptr 1
		.amdhsa_user_sgpr_dispatch_id 0
		.amdhsa_user_sgpr_private_segment_size 0
		.amdhsa_wavefront_size32 1
		.amdhsa_uses_dynamic_stack 0
		.amdhsa_enable_private_segment 0
		.amdhsa_system_sgpr_workgroup_id_x 1
		.amdhsa_system_sgpr_workgroup_id_y 1
		.amdhsa_system_sgpr_workgroup_id_z 1
		.amdhsa_system_sgpr_workgroup_info 0
		.amdhsa_system_vgpr_workitem_id 0
		.amdhsa_next_free_vgpr 157
		.amdhsa_next_free_sgpr 38
		.amdhsa_reserve_vcc 1
		.amdhsa_float_round_mode_32 0
		.amdhsa_float_round_mode_16_64 0
		.amdhsa_float_denorm_mode_32 3
		.amdhsa_float_denorm_mode_16_64 3
		.amdhsa_dx10_clamp 1
		.amdhsa_ieee_mode 1
		.amdhsa_fp16_overflow 0
		.amdhsa_workgroup_processor_mode 1
		.amdhsa_memory_ordered 1
		.amdhsa_forward_progress 0
		.amdhsa_shared_vgpr_count 0
		.amdhsa_exception_fp_ieee_invalid_op 0
		.amdhsa_exception_fp_denorm_src 0
		.amdhsa_exception_fp_ieee_div_zero 0
		.amdhsa_exception_fp_ieee_overflow 0
		.amdhsa_exception_fp_ieee_underflow 0
		.amdhsa_exception_fp_ieee_inexact 0
		.amdhsa_exception_int_div_zero 0
	.end_amdhsa_kernel
	.section	.text._Z39paged_attention_ll4mi_QKV_mfma16_kernelI14__hip_bfloat16S0_LN4vllm18Fp8KVCacheDataTypeE0ES0_Li32ELi128ELi256ELb0ELi9EL8MFMAType0EEvPKT_PKT0_S9_ifPKiSB_SB_iPKfiiiPfSE_PS4_PT2_iSD_SD_,"axG",@progbits,_Z39paged_attention_ll4mi_QKV_mfma16_kernelI14__hip_bfloat16S0_LN4vllm18Fp8KVCacheDataTypeE0ES0_Li32ELi128ELi256ELb0ELi9EL8MFMAType0EEvPKT_PKT0_S9_ifPKiSB_SB_iPKfiiiPfSE_PS4_PT2_iSD_SD_,comdat
.Lfunc_end758:
	.size	_Z39paged_attention_ll4mi_QKV_mfma16_kernelI14__hip_bfloat16S0_LN4vllm18Fp8KVCacheDataTypeE0ES0_Li32ELi128ELi256ELb0ELi9EL8MFMAType0EEvPKT_PKT0_S9_ifPKiSB_SB_iPKfiiiPfSE_PS4_PT2_iSD_SD_, .Lfunc_end758-_Z39paged_attention_ll4mi_QKV_mfma16_kernelI14__hip_bfloat16S0_LN4vllm18Fp8KVCacheDataTypeE0ES0_Li32ELi128ELi256ELb0ELi9EL8MFMAType0EEvPKT_PKT0_S9_ifPKiSB_SB_iPKfiiiPfSE_PS4_PT2_iSD_SD_
                                        ; -- End function
	.section	.AMDGPU.csdata,"",@progbits
; Kernel info:
; codeLenInByte = 9844
; NumSgprs: 40
; NumVgprs: 157
; ScratchSize: 0
; MemoryBound: 0
; FloatMode: 240
; IeeeMode: 1
; LDSByteSize: 17472 bytes/workgroup (compile time only)
; SGPRBlocks: 4
; VGPRBlocks: 19
; NumSGPRsForWavesPerEU: 40
; NumVGPRsForWavesPerEU: 157
; Occupancy: 9
; WaveLimiterHint : 1
; COMPUTE_PGM_RSRC2:SCRATCH_EN: 0
; COMPUTE_PGM_RSRC2:USER_SGPR: 13
; COMPUTE_PGM_RSRC2:TRAP_HANDLER: 0
; COMPUTE_PGM_RSRC2:TGID_X_EN: 1
; COMPUTE_PGM_RSRC2:TGID_Y_EN: 1
; COMPUTE_PGM_RSRC2:TGID_Z_EN: 1
; COMPUTE_PGM_RSRC2:TIDIG_COMP_CNT: 0
	.section	.text._Z39paged_attention_ll4mi_QKV_mfma16_kernelI14__hip_bfloat16S0_LN4vllm18Fp8KVCacheDataTypeE0ES0_Li32ELi128ELi256ELb0ELi10EL8MFMAType0EEvPKT_PKT0_S9_ifPKiSB_SB_iPKfiiiPfSE_PS4_PT2_iSD_SD_,"axG",@progbits,_Z39paged_attention_ll4mi_QKV_mfma16_kernelI14__hip_bfloat16S0_LN4vllm18Fp8KVCacheDataTypeE0ES0_Li32ELi128ELi256ELb0ELi10EL8MFMAType0EEvPKT_PKT0_S9_ifPKiSB_SB_iPKfiiiPfSE_PS4_PT2_iSD_SD_,comdat
	.protected	_Z39paged_attention_ll4mi_QKV_mfma16_kernelI14__hip_bfloat16S0_LN4vllm18Fp8KVCacheDataTypeE0ES0_Li32ELi128ELi256ELb0ELi10EL8MFMAType0EEvPKT_PKT0_S9_ifPKiSB_SB_iPKfiiiPfSE_PS4_PT2_iSD_SD_ ; -- Begin function _Z39paged_attention_ll4mi_QKV_mfma16_kernelI14__hip_bfloat16S0_LN4vllm18Fp8KVCacheDataTypeE0ES0_Li32ELi128ELi256ELb0ELi10EL8MFMAType0EEvPKT_PKT0_S9_ifPKiSB_SB_iPKfiiiPfSE_PS4_PT2_iSD_SD_
	.globl	_Z39paged_attention_ll4mi_QKV_mfma16_kernelI14__hip_bfloat16S0_LN4vllm18Fp8KVCacheDataTypeE0ES0_Li32ELi128ELi256ELb0ELi10EL8MFMAType0EEvPKT_PKT0_S9_ifPKiSB_SB_iPKfiiiPfSE_PS4_PT2_iSD_SD_
	.p2align	8
	.type	_Z39paged_attention_ll4mi_QKV_mfma16_kernelI14__hip_bfloat16S0_LN4vllm18Fp8KVCacheDataTypeE0ES0_Li32ELi128ELi256ELb0ELi10EL8MFMAType0EEvPKT_PKT0_S9_ifPKiSB_SB_iPKfiiiPfSE_PS4_PT2_iSD_SD_,@function
_Z39paged_attention_ll4mi_QKV_mfma16_kernelI14__hip_bfloat16S0_LN4vllm18Fp8KVCacheDataTypeE0ES0_Li32ELi128ELi256ELb0ELi10EL8MFMAType0EEvPKT_PKT0_S9_ifPKiSB_SB_iPKfiiiPfSE_PS4_PT2_iSD_SD_: ; @_Z39paged_attention_ll4mi_QKV_mfma16_kernelI14__hip_bfloat16S0_LN4vllm18Fp8KVCacheDataTypeE0ES0_Li32ELi128ELi256ELb0ELi10EL8MFMAType0EEvPKT_PKT0_S9_ifPKiSB_SB_iPKfiiiPfSE_PS4_PT2_iSD_SD_
; %bb.0:
	s_load_b64 s[2:3], s[0:1], 0x30
	s_mov_b32 s30, s13
	s_waitcnt lgkmcnt(0)
	s_cmp_lg_u64 s[2:3], 0
	s_cselect_b32 s6, -1, 0
	s_ashr_i32 s31, s13, 31
	s_cmp_eq_u64 s[2:3], 0
	s_cbranch_scc1 .LBB759_3
; %bb.1:
	s_lshl_b64 s[4:5], s[30:31], 2
	s_delay_alu instid0(SALU_CYCLE_1) | instskip(SKIP_4) | instid1(SALU_CYCLE_1)
	s_add_u32 s4, s2, s4
	s_addc_u32 s5, s3, s5
	s_load_b64 s[4:5], s[4:5], 0x0
	s_waitcnt lgkmcnt(0)
	s_sub_i32 s4, s5, s4
	s_cmp_eq_u32 s4, 1
	s_cselect_b32 s4, -1, 0
	s_delay_alu instid0(SALU_CYCLE_1)
	s_and_not1_b32 vcc_lo, exec_lo, s4
	s_cbranch_vccz .LBB759_4
.LBB759_2:
	s_endpgm
.LBB759_3:
.LBB759_4:
	s_load_b64 s[8:9], s[0:1], 0x28
	s_lshl_b64 s[4:5], s[30:31], 2
	s_waitcnt lgkmcnt(0)
	s_add_u32 s8, s8, s4
	s_addc_u32 s9, s9, s5
	s_lshl_b32 s12, s14, 8
	s_load_b32 s17, s[8:9], 0x0
	s_waitcnt lgkmcnt(0)
	s_cmp_ge_i32 s12, s17
	s_cbranch_scc1 .LBB759_2
; %bb.5:
	s_and_not1_b32 vcc_lo, exec_lo, s6
	s_cbranch_vccnz .LBB759_7
; %bb.6:
	s_add_u32 s2, s2, s4
	s_addc_u32 s3, s3, s5
	s_load_b32 s13, s[2:3], 0x0
	s_branch .LBB759_8
.LBB759_7:
	s_mov_b32 s13, s30
.LBB759_8:
	s_clause 0x2
	s_load_b128 s[8:11], s[0:1], 0x8
	s_load_b64 s[2:3], s[0:1], 0x20
	s_load_b128 s[4:7], s[0:1], 0x48
	v_and_b32_e32 v73, 15, v0
	s_waitcnt lgkmcnt(0)
	s_mov_b32 s7, exec_lo
	s_delay_alu instid0(VALU_DEP_1)
	v_lshlrev_b32_e32 v1, 3, v73
	v_cmpx_lt_u32_e32 0x9f, v0
	s_xor_b32 s7, exec_lo, s7
; %bb.9:
	v_mov_b32_e32 v2, 0
; %bb.10:
	s_or_saveexec_b32 s7, s7
	v_lshrrev_b32_e32 v74, 5, v0
	v_and_b32_e32 v75, 31, v0
	v_and_b32_e32 v84, 1, v0
	v_bfe_u32 v83, v0, 4, 1
	s_mul_i32 s29, s15, 10
	s_xor_b32 exec_lo, exec_lo, s7
	s_cbranch_execz .LBB759_12
; %bb.11:
	s_load_b64 s[18:19], s[0:1], 0x0
	v_lshl_or_b32 v7, v74, 1, v83
	s_mul_hi_i32 s21, s13, s4
	s_mul_i32 s20, s13, s4
	v_lshlrev_b32_e32 v4, 1, v1
	s_lshl_b64 s[20:21], s[20:21], 1
	v_add_lshl_u32 v2, v7, s29, 7
	v_lshlrev_b32_e32 v7, 6, v7
	v_lshlrev_b32_e32 v8, 10, v84
	s_delay_alu instid0(VALU_DEP_3) | instskip(NEXT) | instid1(VALU_DEP_1)
	v_ashrrev_i32_e32 v3, 31, v2
	v_lshlrev_b64 v[2:3], 1, v[2:3]
	s_waitcnt lgkmcnt(0)
	s_add_u32 s4, s18, s20
	s_addc_u32 s13, s19, s21
	s_delay_alu instid0(VALU_DEP_1) | instskip(NEXT) | instid1(VALU_DEP_2)
	v_add_co_u32 v2, vcc_lo, s4, v2
	v_add_co_ci_u32_e32 v3, vcc_lo, s13, v3, vcc_lo
	s_delay_alu instid0(VALU_DEP_2) | instskip(NEXT) | instid1(VALU_DEP_2)
	v_add_co_u32 v2, vcc_lo, v2, v4
	v_add_co_ci_u32_e32 v3, vcc_lo, 0, v3, vcc_lo
	global_load_b128 v[3:6], v[2:3], off
	v_lshlrev_b32_e32 v2, 10, v73
	s_delay_alu instid0(VALU_DEP_1) | instskip(NEXT) | instid1(VALU_DEP_1)
	v_and_b32_e32 v2, 0x3800, v2
	v_or3_b32 v7, v2, v8, v7
	v_mov_b32_e32 v2, 0
	s_waitcnt vmcnt(0)
	ds_store_b128 v7, v[3:6]
.LBB759_12:
	s_or_b32 exec_lo, exec_lo, s7
	v_add_nc_u32_e32 v80, -10, v73
	v_and_b32_e32 v3, 0xef, v0
	s_add_i32 s4, s17, 31
	s_clause 0x1
	s_load_b32 s7, s[0:1], 0x38
	s_load_b32 s18, s[0:1], 0x1c
	s_ashr_i32 s13, s4, 31
	v_add_nc_u32_e32 v3, s12, v3
	s_lshr_b32 s13, s13, 27
	s_waitcnt lgkmcnt(0)
	s_add_i32 s4, s4, s13
	s_barrier
	v_ashrrev_i32_e32 v4, 31, v3
	v_cmp_gt_i32_e32 vcc_lo, s17, v3
	s_ashr_i32 s4, s4, 5
	buffer_gl0_inv
	s_add_i32 s4, s4, -1
	v_lshrrev_b32_e32 v5, 27, v4
	v_or_b32_e32 v4, 16, v3
	v_lshlrev_b64 v[81:82], 1, v[1:2]
	s_delay_alu instid0(VALU_DEP_3) | instskip(NEXT) | instid1(VALU_DEP_3)
	v_add_nc_u32_e32 v6, v3, v5
	v_add_nc_u32_e32 v5, v4, v5
	s_mul_i32 s20, s30, s7
	s_delay_alu instid0(SALU_CYCLE_1) | instskip(NEXT) | instid1(VALU_DEP_2)
	s_ashr_i32 s21, s20, 31
	v_ashrrev_i32_e32 v6, 5, v6
	s_delay_alu instid0(VALU_DEP_2) | instskip(SKIP_1) | instid1(SALU_CYCLE_1)
	v_ashrrev_i32_e32 v5, 5, v5
	s_lshl_b64 s[20:21], s[20:21], 2
	s_add_u32 s7, s2, s20
	s_delay_alu instid0(VALU_DEP_2) | instskip(SKIP_3) | instid1(VALU_DEP_2)
	v_cndmask_b32_e32 v3, s4, v6, vcc_lo
	v_cmp_gt_i32_e32 vcc_lo, s17, v4
	s_addc_u32 s13, s3, s21
	s_mul_i32 s2, s15, s6
	v_ashrrev_i32_e32 v4, 31, v3
	v_cndmask_b32_e32 v5, s4, v5, vcc_lo
	s_ashr_i32 s3, s2, 31
	s_delay_alu instid0(SALU_CYCLE_1) | instskip(NEXT) | instid1(VALU_DEP_2)
	s_lshl_b64 s[2:3], s[2:3], 1
	v_lshlrev_b64 v[3:4], 2, v[3:4]
	s_delay_alu instid0(VALU_DEP_2) | instskip(SKIP_3) | instid1(VALU_DEP_1)
	v_ashrrev_i32_e32 v6, 31, v5
	s_add_u32 s6, s8, s2
	s_addc_u32 s15, s9, s3
	s_lshl_b32 s8, s14, 3
	v_lshlrev_b64 v[5:6], 2, v[5:6]
	v_add_co_u32 v3, vcc_lo, s7, v3
	v_add_co_ci_u32_e32 v4, vcc_lo, s13, v4, vcc_lo
	s_ashr_i32 s9, s8, 31
	s_delay_alu instid0(VALU_DEP_3) | instskip(NEXT) | instid1(VALU_DEP_4)
	v_add_co_u32 v5, vcc_lo, s7, v5
	v_add_co_ci_u32_e32 v6, vcc_lo, s13, v6, vcc_lo
	s_clause 0x1
	global_load_b32 v7, v[3:4], off
	global_load_b32 v8, v[5:6], off
	s_lshl_b64 s[8:9], s[8:9], 2
	s_delay_alu instid0(SALU_CYCLE_1) | instskip(SKIP_2) | instid1(SALU_CYCLE_1)
	s_add_u32 s8, s7, s8
	s_addc_u32 s9, s13, s9
	s_or_b32 s16, s12, 32
	s_ashr_i32 s19, s16, 5
	s_cmp_lt_i32 s16, s17
	s_cselect_b32 s20, s19, s4
	s_delay_alu instid0(SALU_CYCLE_1) | instskip(NEXT) | instid1(SALU_CYCLE_1)
	s_ashr_i32 s21, s20, 31
	s_lshl_b64 s[20:21], s[20:21], 2
	s_delay_alu instid0(SALU_CYCLE_1) | instskip(SKIP_2) | instid1(SALU_CYCLE_1)
	s_add_u32 s20, s7, s20
	s_addc_u32 s21, s13, s21
	s_or_b32 s16, s12, 64
	s_ashr_i32 s19, s16, 5
	s_cmp_lt_i32 s16, s17
	s_cselect_b32 s22, s19, s4
	s_delay_alu instid0(SALU_CYCLE_1) | instskip(NEXT) | instid1(SALU_CYCLE_1)
	s_ashr_i32 s23, s22, 31
	;; [unrolled: 10-line block ×5, first 2 shown]
	s_lshl_b64 s[34:35], s[34:35], 2
	s_delay_alu instid0(SALU_CYCLE_1)
	s_add_u32 s34, s7, s34
	s_addc_u32 s35, s13, s35
	s_clause 0x5
	s_load_b32 s16, s[8:9], 0x0
	s_load_b32 s19, s[20:21], 0x0
	;; [unrolled: 1-line block ×6, first 2 shown]
	s_mov_b32 s20, 0
	s_delay_alu instid0(SALU_CYCLE_1)
	s_mov_b32 s27, s20
	s_mov_b32 s24, s20
	s_mov_b32 s21, s20
	s_mov_b32 s22, s20
	s_mov_b32 s23, s20
	s_mov_b32 s25, s20
	s_mov_b32 s26, s20
	v_dual_mov_b32 v108, s27 :: v_dual_mov_b32 v105, s24
	v_dual_mov_b32 v107, s26 :: v_dual_mov_b32 v106, s25
	;; [unrolled: 1-line block ×4, first 2 shown]
	s_waitcnt lgkmcnt(0)
	s_mul_hi_i32 s21, s16, s5
	s_mul_i32 s20, s16, s5
	s_mul_hi_i32 s23, s19, s5
	s_mul_i32 s22, s19, s5
	;; [unrolled: 2-line block ×5, first 2 shown]
	s_waitcnt vmcnt(1)
	v_mad_i64_i32 v[3:4], null, v7, s5, 0
	s_waitcnt vmcnt(0)
	v_mad_i64_i32 v[5:6], null, v8, s5, 0
	s_delay_alu instid0(VALU_DEP_2) | instskip(NEXT) | instid1(VALU_DEP_2)
	v_lshlrev_b64 v[3:4], 1, v[3:4]
	v_lshlrev_b64 v[1:2], 1, v[5:6]
	s_delay_alu instid0(VALU_DEP_2) | instskip(NEXT) | instid1(VALU_DEP_3)
	v_add_co_u32 v3, vcc_lo, s6, v3
	v_add_co_ci_u32_e32 v4, vcc_lo, s15, v4, vcc_lo
	s_delay_alu instid0(VALU_DEP_3) | instskip(NEXT) | instid1(VALU_DEP_4)
	v_add_co_u32 v1, vcc_lo, s6, v1
	v_add_co_ci_u32_e32 v2, vcc_lo, s15, v2, vcc_lo
	s_delay_alu instid0(VALU_DEP_4) | instskip(NEXT) | instid1(VALU_DEP_4)
	v_add_co_u32 v65, vcc_lo, v3, v81
	v_add_co_ci_u32_e32 v66, vcc_lo, v4, v82, vcc_lo
	s_delay_alu instid0(VALU_DEP_4) | instskip(NEXT) | instid1(VALU_DEP_4)
	v_add_co_u32 v76, vcc_lo, v1, v81
	v_add_co_ci_u32_e32 v77, vcc_lo, v2, v82, vcc_lo
	s_clause 0xf
	global_load_b128 v[1:4], v[65:66], off
	global_load_b128 v[5:8], v[65:66], off offset:512
	global_load_b128 v[9:12], v[76:77], off offset:256
	;; [unrolled: 1-line block ×15, first 2 shown]
	v_add_co_u32 v78, vcc_lo, 0x1000, v65
	v_add_co_ci_u32_e32 v79, vcc_lo, 0, v66, vcc_lo
	v_cmp_gt_u32_e32 vcc_lo, 10, v73
	s_clause 0x1
	global_load_b128 v[65:68], v[78:79], off
	global_load_b128 v[69:72], v[78:79], off offset:512
	s_or_b32 s6, s12, 0xc0
	v_cndmask_b32_e32 v80, v80, v73, vcc_lo
	v_add_co_u32 v76, vcc_lo, 0x1000, v76
	v_add_co_ci_u32_e32 v77, vcc_lo, 0, v77, vcc_lo
	s_delay_alu instid0(VALU_DEP_3)
	v_lshlrev_b32_e32 v80, 6, v80
	ds_load_b128 v[85:88], v80
	ds_load_b128 v[89:92], v80 offset:1024
	s_clause 0x1
	global_load_b128 v[93:96], v[76:77], off offset:256
	global_load_b128 v[97:100], v[76:77], off offset:768
	ds_load_b128 v[109:112], v80 offset:2048
	ds_load_b128 v[113:116], v80 offset:3072
	s_ashr_i32 s8, s6, 5
	s_cmp_lt_i32 s6, s17
	s_cselect_b32 s8, s8, s4
	s_delay_alu instid0(SALU_CYCLE_1) | instskip(NEXT) | instid1(SALU_CYCLE_1)
	s_ashr_i32 s9, s8, 31
	s_lshl_b64 s[8:9], s[8:9], 2
	s_delay_alu instid0(SALU_CYCLE_1) | instskip(SKIP_2) | instid1(SALU_CYCLE_1)
	s_add_u32 s8, s7, s8
	s_addc_u32 s9, s13, s9
	s_or_b32 s6, s12, 0xe0
	s_ashr_i32 s15, s6, 5
	s_cmp_lt_i32 s6, s17
	s_cselect_b32 s24, s15, s4
	s_delay_alu instid0(SALU_CYCLE_1) | instskip(NEXT) | instid1(SALU_CYCLE_1)
	s_ashr_i32 s25, s24, 31
	s_lshl_b64 s[24:25], s[24:25], 2
	s_delay_alu instid0(SALU_CYCLE_1) | instskip(SKIP_2) | instid1(SALU_CYCLE_1)
	s_add_u32 s24, s7, s24
	s_addc_u32 s25, s13, s25
	s_add_i32 s6, s12, 0x100
	s_ashr_i32 s15, s6, 5
	s_cmp_lt_i32 s6, s17
	s_cselect_b32 s36, s15, s4
	s_delay_alu instid0(SALU_CYCLE_1) | instskip(NEXT) | instid1(SALU_CYCLE_1)
	s_ashr_i32 s37, s36, 31
	s_lshl_b64 s[36:37], s[36:37], 2
	s_delay_alu instid0(SALU_CYCLE_1)
	s_add_u32 s6, s7, s36
	s_addc_u32 s7, s13, s37
	s_add_u32 s4, s10, s2
	s_addc_u32 s19, s11, s3
	s_lshl_b64 s[2:3], s[20:21], 1
	s_lshl_b64 s[10:11], s[26:27], 1
	;; [unrolled: 1-line block ×3, first 2 shown]
	s_waitcnt vmcnt(18) lgkmcnt(2)
	v_wmma_f32_16x16x16_bf16 v[117:124], v[1:8], v[85:92], v[101:108]
	s_waitcnt vmcnt(16)
	v_wmma_f32_16x16x16_bf16 v[101:108], v[9:16], v[85:92], v[101:108]
	s_clause 0x3
	global_load_b128 v[1:4], v[78:79], off offset:1024
	global_load_b128 v[5:8], v[78:79], off offset:1536
	global_load_b128 v[9:12], v[76:77], off offset:1280
	global_load_b128 v[13:16], v[76:77], off offset:1792
	s_waitcnt vmcnt(18) lgkmcnt(0)
	v_wmma_f32_16x16x16_bf16 v[117:124], v[17:24], v[109:116], v[117:124]
	s_clause 0x1
	global_load_b128 v[17:20], v[78:79], off offset:2048
	global_load_b128 v[21:24], v[78:79], off offset:2560
	s_waitcnt vmcnt(18)
	v_wmma_f32_16x16x16_bf16 v[101:108], v[25:32], v[109:116], v[101:108]
	ds_load_b128 v[25:28], v80 offset:4096
	ds_load_b128 v[29:32], v80 offset:5120
	s_clause 0x5
	global_load_b128 v[109:112], v[76:77], off offset:2304
	global_load_b128 v[113:116], v[76:77], off offset:2816
	;; [unrolled: 1-line block ×6, first 2 shown]
	s_waitcnt vmcnt(22) lgkmcnt(0)
	v_wmma_f32_16x16x16_bf16 v[117:124], v[33:40], v[25:32], v[117:124]
	s_waitcnt vmcnt(20)
	v_wmma_f32_16x16x16_bf16 v[101:108], v[41:48], v[25:32], v[101:108]
	ds_load_b128 v[25:28], v80 offset:6144
	ds_load_b128 v[29:32], v80 offset:7168
	;; [unrolled: 1-line block ×4, first 2 shown]
	s_waitcnt vmcnt(18) lgkmcnt(2)
	v_wmma_f32_16x16x16_bf16 v[117:124], v[49:56], v[25:32], v[117:124]
	s_waitcnt vmcnt(16)
	v_wmma_f32_16x16x16_bf16 v[101:108], v[57:64], v[25:32], v[101:108]
	ds_load_b128 v[25:28], v80 offset:10240
	ds_load_b128 v[29:32], v80 offset:11264
	ds_load_b128 v[141:144], v80 offset:12288
	ds_load_b128 v[145:148], v80 offset:13312
	ds_load_b128 v[149:152], v80 offset:14336
	ds_load_b128 v[153:156], v80 offset:15360
	s_waitcnt vmcnt(14) lgkmcnt(6)
	v_wmma_f32_16x16x16_bf16 v[117:124], v[65:72], v[33:40], v[117:124]
	s_waitcnt vmcnt(12)
	v_wmma_f32_16x16x16_bf16 v[101:108], v[93:100], v[33:40], v[101:108]
	s_clause 0x2
	s_load_b32 s16, s[8:9], 0x0
	s_load_b32 s13, s[24:25], 0x0
	;; [unrolled: 1-line block ×3, first 2 shown]
	s_lshl_b64 s[6:7], s[22:23], 1
	s_mul_hi_i32 s9, s33, s5
	s_mul_i32 s8, s33, s5
	s_lshl_b64 s[22:23], s[38:39], 1
	s_lshl_b64 s[8:9], s[8:9], 1
	s_waitcnt lgkmcnt(0)
	s_mul_hi_i32 s25, s16, s5
	s_mul_i32 s24, s16, s5
	s_waitcnt vmcnt(10)
	v_wmma_f32_16x16x16_bf16 v[117:124], v[1:8], v[25:32], v[117:124]
	s_waitcnt vmcnt(8)
	v_wmma_f32_16x16x16_bf16 v[101:108], v[9:16], v[25:32], v[101:108]
	s_waitcnt vmcnt(6)
	s_delay_alu instid0(VALU_DEP_2) | instskip(SKIP_1) | instid1(VALU_DEP_2)
	v_wmma_f32_16x16x16_bf16 v[117:124], v[17:24], v[141:148], v[117:124]
	s_waitcnt vmcnt(4)
	v_wmma_f32_16x16x16_bf16 v[101:108], v[109:116], v[141:148], v[101:108]
	s_waitcnt vmcnt(2)
	s_delay_alu instid0(VALU_DEP_2) | instskip(SKIP_3) | instid1(VALU_DEP_3)
	v_wmma_f32_16x16x16_bf16 v[117:124], v[125:132], v[149:156], v[117:124]
	v_lshlrev_b32_e32 v85, 6, v73
	s_waitcnt vmcnt(0)
	v_wmma_f32_16x16x16_bf16 v[101:108], v[133:140], v[149:156], v[101:108]
	v_mul_f32_e32 v100, s18, v124
	s_delay_alu instid0(VALU_DEP_3) | instskip(SKIP_2) | instid1(VALU_DEP_3)
	v_lshl_or_b32 v41, v74, 10, v85
	v_mul_f32_e32 v99, s18, v118
	v_mul_f32_e32 v97, s18, v117
	v_add_co_u32 v76, s4, s4, v41
	s_delay_alu instid0(VALU_DEP_1) | instskip(NEXT) | instid1(VALU_DEP_2)
	v_add_co_ci_u32_e64 v77, null, s19, 0, s4
	v_add_co_u32 v41, vcc_lo, v76, s2
	s_delay_alu instid0(VALU_DEP_2)
	v_add_co_ci_u32_e32 v42, vcc_lo, s3, v77, vcc_lo
	v_add_co_u32 v33, vcc_lo, v76, s6
	v_add_co_ci_u32_e32 v34, vcc_lo, s7, v77, vcc_lo
	v_add_co_u32 v35, vcc_lo, v76, s10
	v_add_co_ci_u32_e32 v36, vcc_lo, s11, v77, vcc_lo
	v_add_co_u32 v37, vcc_lo, v76, s20
	v_add_co_ci_u32_e32 v38, vcc_lo, s21, v77, vcc_lo
	v_add_co_u32 v39, vcc_lo, v76, s8
	v_add_co_ci_u32_e32 v40, vcc_lo, s9, v77, vcc_lo
	v_add_co_u32 v5, vcc_lo, v76, s22
	s_lshl_b64 s[2:3], s[24:25], 1
	v_add_co_ci_u32_e32 v6, vcc_lo, s23, v77, vcc_lo
	s_mul_hi_i32 s7, s13, s5
	s_mul_i32 s6, s13, s5
	v_add_co_u32 v17, vcc_lo, v76, s2
	v_add_co_ci_u32_e32 v18, vcc_lo, s3, v77, vcc_lo
	s_lshl_b64 s[2:3], s[6:7], 1
	s_mul_hi_i32 s7, s15, s5
	s_mul_i32 s6, s15, s5
	v_add_co_u32 v19, vcc_lo, v76, s2
	v_add_co_ci_u32_e32 v20, vcc_lo, s3, v77, vcc_lo
	s_lshl_b64 s[2:3], s[6:7], 1
	s_clause 0x1
	global_load_b128 v[65:68], v[41:42], off
	global_load_b128 v[69:72], v[41:42], off offset:16
	v_add_co_u32 v21, vcc_lo, v76, s2
	v_add_co_ci_u32_e32 v22, vcc_lo, s3, v77, vcc_lo
	s_clause 0xf
	global_load_b128 v[57:60], v[33:34], off
	global_load_b128 v[61:64], v[33:34], off offset:16
	global_load_b128 v[49:52], v[35:36], off
	global_load_b128 v[53:56], v[35:36], off offset:16
	;; [unrolled: 2-line block ×8, first 2 shown]
	v_mbcnt_lo_u32_b32 v77, -1, 0
	s_waitcnt vmcnt(0)
	s_barrier
	buffer_gl0_inv
	v_xor_b32_e32 v78, 16, v77
	s_delay_alu instid0(VALU_DEP_1) | instskip(SKIP_1) | instid1(VALU_DEP_1)
	v_cmp_gt_i32_e32 vcc_lo, 32, v78
	v_dual_cndmask_b32 v77, v77, v78 :: v_dual_and_b32 v76, 0xe0, v0
	v_add_nc_u32_e32 v76, s12, v76
	s_delay_alu instid0(VALU_DEP_1) | instskip(NEXT) | instid1(VALU_DEP_1)
	v_or_b32_e32 v76, v76, v83
	v_or_b32_e32 v78, 2, v76
	;; [unrolled: 1-line block ×4, first 2 shown]
	v_cmp_gt_i32_e32 vcc_lo, s17, v76
	v_or_b32_e32 v86, 8, v76
	v_cmp_gt_i32_e64 s2, s17, v78
	v_or_b32_e32 v87, 10, v76
	v_or_b32_e32 v88, 12, v76
	;; [unrolled: 1-line block ×11, first 2 shown]
	v_cndmask_b32_e32 v76, 0xff7fffff, v97, vcc_lo
	v_cmp_gt_i32_e64 s3, s17, v80
	v_mul_f32_e32 v80, s18, v119
	v_cndmask_b32_e64 v78, 0xff7fffff, v99, s2
	v_mul_f32_e32 v99, s18, v120
	v_cmp_gt_i32_e64 s4, s17, v79
	v_mul_f32_e32 v97, s18, v123
	v_mul_f32_e32 v79, s18, v122
	v_max3_f32 v76, v76, 0xff7fffff, v78
	v_mul_f32_e32 v78, s18, v121
	v_cndmask_b32_e64 v80, 0xff7fffff, v80, s4
	v_cmp_gt_i32_e64 s5, s17, v86
	v_cmp_gt_i32_e64 s6, s17, v87
	v_mul_f32_e32 v86, s18, v107
	v_cndmask_b32_e64 v99, 0xff7fffff, v99, s3
	v_cmp_gt_i32_e64 s7, s17, v89
	v_cndmask_b32_e64 v78, 0xff7fffff, v78, s5
	v_cmp_gt_i32_e64 s8, s17, v88
	v_mul_f32_e32 v89, s18, v101
	v_max3_f32 v76, v76, v80, v99
	v_mul_f32_e32 v80, s18, v108
	v_cndmask_b32_e64 v79, 0xff7fffff, v79, s6
	v_dual_mul_f32 v99, s18, v105 :: v_dual_mul_f32 v88, s18, v102
	v_cndmask_b32_e64 v97, 0xff7fffff, v97, s8
	v_cndmask_b32_e64 v100, 0xff7fffff, v100, s7
	s_delay_alu instid0(VALU_DEP_4) | instskip(SKIP_4) | instid1(VALU_DEP_4)
	v_max3_f32 v76, v76, v78, v79
	v_cmp_gt_i32_e64 s9, s17, v90
	v_cmp_gt_i32_e64 s10, s17, v91
	v_dual_mul_f32 v87, s18, v106 :: v_dual_mul_f32 v78, s18, v104
	v_mul_f32_e32 v79, s18, v103
	v_cndmask_b32_e64 v89, 0xff7fffff, v89, s9
	s_delay_alu instid0(VALU_DEP_4)
	v_cndmask_b32_e64 v88, 0xff7fffff, v88, s10
	v_max3_f32 v76, v76, v97, v100
	v_cmp_gt_i32_e64 s11, s17, v92
	v_cmp_gt_i32_e64 s12, s17, v93
	v_cmp_gt_i32_e64 s13, s17, v94
	v_cmp_gt_i32_e64 s15, s17, v95
	v_max3_f32 v76, v76, v89, v88
	v_cndmask_b32_e64 v79, 0xff7fffff, v79, s11
	v_cndmask_b32_e64 v78, 0xff7fffff, v78, s12
	;; [unrolled: 1-line block ×4, first 2 shown]
	v_cmp_gt_i32_e64 s16, s17, v96
	v_cmp_gt_i32_e64 s17, s17, v98
	v_max3_f32 v76, v76, v79, v78
	v_lshlrev_b32_e32 v99, 2, v77
	s_delay_alu instid0(VALU_DEP_4) | instskip(NEXT) | instid1(VALU_DEP_4)
	v_cndmask_b32_e64 v78, 0xff7fffff, v86, s16
	v_cndmask_b32_e64 v79, 0xff7fffff, v80, s17
	s_delay_alu instid0(VALU_DEP_4) | instskip(NEXT) | instid1(VALU_DEP_1)
	v_max3_f32 v76, v76, v88, v87
	v_max3_f32 v76, v76, v78, v79
	ds_bpermute_b32 v77, v99, v76
	s_waitcnt lgkmcnt(0)
	v_max_f32_e32 v77, v77, v77
	s_delay_alu instid0(VALU_DEP_1) | instskip(NEXT) | instid1(VALU_DEP_1)
	v_max_f32_e32 v76, v76, v77
	v_fma_f32 v78, s18, v118, -v76
	v_fma_f32 v77, s18, v117, -v76
	;; [unrolled: 1-line block ×5, first 2 shown]
	v_mul_f32_e32 v78, 0x3fb8aa3b, v78
	v_fma_f32 v87, s18, v123, -v76
	v_fma_f32 v88, s18, v105, -v76
	v_mul_f32_e32 v80, 0x3fb8aa3b, v80
	v_mul_f32_e32 v86, 0x3fb8aa3b, v86
	v_exp_f32_e32 v78, v78
	v_fma_f32 v90, s18, v107, -v76
	v_fma_f32 v100, s18, v108, -v76
	v_exp_f32_e32 v80, v80
	v_exp_f32_e32 v86, v86
	v_mul_f32_e32 v88, 0x3fb8aa3b, v88
	s_delay_alu instid0(VALU_DEP_2) | instskip(NEXT) | instid1(TRANS32_DEP_3)
	v_mul_f32_e32 v100, 0x3fb8aa3b, v100
	v_cndmask_b32_e64 v91, 0, v78, s2
	v_mul_f32_e32 v77, 0x3fb8aa3b, v77
	s_delay_alu instid0(VALU_DEP_4) | instskip(NEXT) | instid1(TRANS32_DEP_3)
	v_exp_f32_e32 v88, v88
	v_cndmask_b32_e64 v95, 0, v80, s3
	v_fma_f32 v80, s18, v101, -v76
	s_delay_alu instid0(TRANS32_DEP_2)
	v_cndmask_b32_e64 v96, 0, v86, s5
	v_exp_f32_e32 v77, v77
	v_mul_f32_e32 v79, 0x3fb8aa3b, v79
	v_fma_f32 v86, s18, v102, -v76
	v_mul_f32_e32 v80, 0x3fb8aa3b, v80
	s_mov_b32 s2, exec_lo
	v_exp_f32_e32 v100, v100
	s_delay_alu instid0(VALU_DEP_1) | instskip(NEXT) | instid1(TRANS32_DEP_3)
	v_exp_f32_e32 v80, v80
	v_cndmask_b32_e32 v92, 0, v77, vcc_lo
	v_exp_f32_e32 v79, v79
	v_fma_f32 v77, s18, v122, -v76
	s_delay_alu instid0(VALU_DEP_2) | instskip(NEXT) | instid1(VALU_DEP_1)
	v_add_f32_e32 v78, 0, v92
	v_add_f32_e32 v78, v78, v91
	s_waitcnt_depctr 0xfff
	v_cndmask_b32_e64 v93, 0, v79, s4
	v_mul_f32_e32 v87, 0x3fb8aa3b, v87
	v_fma_f32 v79, s18, v124, -v76
	s_delay_alu instid0(VALU_DEP_3) | instskip(SKIP_1) | instid1(VALU_DEP_3)
	v_add_f32_e32 v78, v78, v93
	v_mul_f32_e32 v77, 0x3fb8aa3b, v77
	v_mul_f32_e32 v79, 0x3fb8aa3b, v79
	v_exp_f32_e32 v87, v87
	s_delay_alu instid0(VALU_DEP_3) | instskip(NEXT) | instid1(VALU_DEP_3)
	v_add_f32_e32 v78, v78, v95
	v_exp_f32_e32 v77, v77
	s_delay_alu instid0(VALU_DEP_2) | instskip(NEXT) | instid1(TRANS32_DEP_3)
	v_exp_f32_e32 v79, v79
	v_cndmask_b32_e64 v94, 0, v87, s8
	v_fma_f32 v87, s18, v104, -v76
	s_waitcnt_depctr 0xfff
	v_cndmask_b32_e64 v97, 0, v77, s6
	v_add_f32_e32 v77, v78, v96
	v_fma_f32 v78, s18, v103, -v76
	v_mul_f32_e32 v86, 0x3fb8aa3b, v86
	v_cndmask_b32_e64 v98, 0, v79, s7
	v_mul_f32_e32 v87, 0x3fb8aa3b, v87
	s_delay_alu instid0(VALU_DEP_4) | instskip(NEXT) | instid1(VALU_DEP_4)
	v_dual_add_f32 v77, v77, v97 :: v_dual_mul_f32 v78, 0x3fb8aa3b, v78
	v_exp_f32_e32 v86, v86
	s_delay_alu instid0(VALU_DEP_2) | instskip(NEXT) | instid1(VALU_DEP_1)
	v_exp_f32_e32 v87, v87
	v_add_f32_e32 v79, v77, v94
	s_delay_alu instid0(VALU_DEP_2) | instskip(SKIP_2) | instid1(VALU_DEP_3)
	v_exp_f32_e32 v89, v78
	v_cndmask_b32_e64 v77, 0, v80, s9
	v_fma_f32 v80, s18, v106, -v76
	v_add_f32_e32 v79, v79, v98
	s_delay_alu instid0(TRANS32_DEP_3) | instskip(NEXT) | instid1(VALU_DEP_3)
	v_cndmask_b32_e64 v78, 0, v86, s10
	v_mul_f32_e32 v80, 0x3fb8aa3b, v80
	s_delay_alu instid0(VALU_DEP_3) | instskip(NEXT) | instid1(TRANS32_DEP_1)
	v_add_f32_e32 v86, v79, v77
	v_cndmask_b32_e64 v79, 0, v89, s11
	v_mul_f32_e32 v89, 0x3fb8aa3b, v90
	s_delay_alu instid0(VALU_DEP_4) | instskip(SKIP_2) | instid1(VALU_DEP_3)
	v_exp_f32_e32 v90, v80
	v_cndmask_b32_e64 v80, 0, v87, s12
	v_add_f32_e32 v86, v86, v78
	v_exp_f32_e32 v89, v89
	s_delay_alu instid0(VALU_DEP_1) | instskip(SKIP_1) | instid1(VALU_DEP_2)
	v_add_f32_e32 v87, v86, v79
	v_cndmask_b32_e64 v86, 0, v88, s13
	v_add_f32_e32 v88, v87, v80
	s_delay_alu instid0(TRANS32_DEP_2) | instskip(NEXT) | instid1(VALU_DEP_2)
	v_cndmask_b32_e64 v87, 0, v90, s15
	v_add_f32_e32 v90, v88, v86
	s_waitcnt_depctr 0xfff
	v_cndmask_b32_e64 v88, 0, v89, s16
	v_add_f32_e32 v89, v90, v87
	s_delay_alu instid0(VALU_DEP_1) | instskip(SKIP_1) | instid1(VALU_DEP_1)
	v_add_f32_e32 v90, v89, v88
	v_cndmask_b32_e64 v89, 0, v100, s17
	v_add_f32_e32 v90, v90, v89
	ds_bpermute_b32 v99, v99, v90
	v_cmpx_gt_u32_e32 16, v75
	s_cbranch_execz .LBB759_14
; %bb.13:
	v_mul_u32_u24_e32 v75, 0x44, v74
	s_waitcnt lgkmcnt(0)
	v_add_f32_e32 v90, v90, v99
	s_delay_alu instid0(VALU_DEP_2) | instskip(NEXT) | instid1(VALU_DEP_1)
	v_lshl_add_u32 v75, v73, 2, v75
	v_add_nc_u32_e32 v75, 0x4000, v75
	ds_store_2addr_b32 v75, v76, v90 offset1:136
.LBB759_14:
	s_or_b32 exec_lo, exec_lo, s2
	v_lshlrev_b32_e32 v75, 2, v73
	s_waitcnt lgkmcnt(0)
	s_barrier
	buffer_gl0_inv
	v_cmp_eq_u32_e64 s2, 1, v74
	v_add_nc_u32_e32 v90, 0x4000, v75
	ds_load_2addr_b32 v[99:100], v90 offset1:17
	ds_load_2addr_b32 v[101:102], v90 offset0:34 offset1:51
	ds_load_2addr_b32 v[103:104], v90 offset0:68 offset1:85
	;; [unrolled: 1-line block ×4, first 2 shown]
	s_waitcnt lgkmcnt(4)
	v_max3_f32 v75, v99, 0xff7fffff, v100
	s_waitcnt lgkmcnt(3)
	s_delay_alu instid0(VALU_DEP_1) | instskip(SKIP_1) | instid1(VALU_DEP_1)
	v_max3_f32 v75, v75, v101, v102
	s_waitcnt lgkmcnt(2)
	v_max3_f32 v75, v75, v103, v104
	s_waitcnt lgkmcnt(1)
	s_delay_alu instid0(VALU_DEP_1) | instskip(NEXT) | instid1(VALU_DEP_1)
	v_max3_f32 v75, v75, v105, v106
	v_sub_f32_e32 v109, v100, v75
	v_sub_f32_e32 v76, v99, v75
	ds_load_2addr_b32 v[99:100], v90 offset0:170 offset1:187
	v_sub_f32_e32 v101, v101, v75
	v_dual_mul_f32 v109, 0x3fb8aa3b, v109 :: v_dual_mul_f32 v76, 0x3fb8aa3b, v76
	s_delay_alu instid0(VALU_DEP_2) | instskip(NEXT) | instid1(VALU_DEP_2)
	v_mul_f32_e32 v111, 0x3fb8aa3b, v101
	v_exp_f32_e32 v109, v109
	s_delay_alu instid0(VALU_DEP_2)
	v_exp_f32_e32 v110, v76
	v_sub_f32_e32 v76, v102, v75
	ds_load_2addr_b32 v[101:102], v90 offset0:204 offset1:221
	v_exp_f32_e32 v111, v111
	v_mul_f32_e32 v112, 0x3fb8aa3b, v76
	s_waitcnt lgkmcnt(2)
	v_fma_f32 v76, v110, v107, 0
	v_sub_f32_e32 v103, v103, v75
	s_delay_alu instid0(VALU_DEP_3) | instskip(NEXT) | instid1(VALU_DEP_2)
	v_exp_f32_e32 v112, v112
	v_dual_sub_f32 v107, v104, v75 :: v_dual_fmac_f32 v76, v109, v108
	s_waitcnt lgkmcnt(1)
	s_waitcnt_depctr 0xfff
	v_fmac_f32_e32 v76, v111, v99
	v_mul_f32_e32 v113, 0x3fb8aa3b, v103
	ds_load_2addr_b32 v[103:104], v90 offset0:238 offset1:255
	v_sub_f32_e32 v90, v105, v75
	v_dual_sub_f32 v99, v106, v75 :: v_dual_fmac_f32 v76, v112, v100
	v_mul_f32_e32 v105, 0x3fb8aa3b, v107
	v_exp_f32_e32 v107, v113
	s_delay_alu instid0(VALU_DEP_2)
	v_dual_mul_f32 v90, 0x3fb8aa3b, v90 :: v_dual_mul_f32 v99, 0x3fb8aa3b, v99
	s_waitcnt lgkmcnt(0)
	s_barrier
	buffer_gl0_inv
	v_exp_f32_e32 v90, v90
	v_exp_f32_e32 v99, v99
	v_fmac_f32_e32 v76, v107, v101
	v_exp_f32_e32 v105, v105
	s_waitcnt_depctr 0xfff
	v_fmac_f32_e32 v76, v105, v102
	s_delay_alu instid0(VALU_DEP_1) | instskip(NEXT) | instid1(VALU_DEP_1)
	v_fmac_f32_e32 v76, v90, v103
	v_fmac_f32_e32 v76, v99, v104
	s_delay_alu instid0(VALU_DEP_1) | instskip(NEXT) | instid1(VALU_DEP_1)
	v_add_f32_e32 v100, 0x358637bd, v76
	v_div_scale_f32 v101, null, v100, v100, 1.0
	v_div_scale_f32 v104, vcc_lo, 1.0, v100, 1.0
	s_delay_alu instid0(VALU_DEP_2) | instskip(SKIP_2) | instid1(VALU_DEP_1)
	v_rcp_f32_e32 v102, v101
	s_waitcnt_depctr 0xfff
	v_fma_f32 v103, -v101, v102, 1.0
	v_fmac_f32_e32 v102, v103, v102
	v_cndmask_b32_e64 v103, v110, v109, s2
	v_cmp_eq_u32_e64 s2, 2, v74
	s_delay_alu instid0(VALU_DEP_3) | instskip(NEXT) | instid1(VALU_DEP_2)
	v_mul_f32_e32 v106, v104, v102
	v_cndmask_b32_e64 v103, v103, v111, s2
	v_cmp_eq_u32_e64 s2, 3, v74
	s_delay_alu instid0(VALU_DEP_3) | instskip(NEXT) | instid1(VALU_DEP_2)
	v_fma_f32 v108, -v101, v106, v104
	v_cndmask_b32_e64 v103, v103, v112, s2
	v_cmp_eq_u32_e64 s2, 4, v74
	s_delay_alu instid0(VALU_DEP_3) | instskip(NEXT) | instid1(VALU_DEP_2)
	v_fmac_f32_e32 v106, v108, v102
	v_cndmask_b32_e64 v103, v103, v107, s2
	s_delay_alu instid0(VALU_DEP_2) | instskip(SKIP_1) | instid1(VALU_DEP_2)
	v_fma_f32 v101, -v101, v106, v104
	v_cmp_eq_u32_e64 s2, 5, v74
	v_div_fmas_f32 v101, v101, v102, v106
	s_delay_alu instid0(VALU_DEP_2) | instskip(SKIP_2) | instid1(VALU_DEP_3)
	v_cndmask_b32_e64 v103, v103, v105, s2
	v_cmp_eq_u32_e32 vcc_lo, 6, v74
	s_mov_b32 s2, exec_lo
	v_div_fixup_f32 v100, v101, v100, 1.0
	s_delay_alu instid0(VALU_DEP_3) | instskip(SKIP_1) | instid1(VALU_DEP_2)
	v_cndmask_b32_e32 v90, v103, v90, vcc_lo
	v_cmp_eq_u32_e32 vcc_lo, 7, v74
	v_cndmask_b32_e32 v90, v90, v99, vcc_lo
	s_delay_alu instid0(VALU_DEP_1) | instskip(NEXT) | instid1(VALU_DEP_1)
	v_mul_f32_e32 v90, v90, v100
	v_mul_f32_e32 v100, v90, v92
	;; [unrolled: 1-line block ×6, first 2 shown]
	v_and_b32_e32 v101, 0x7f800000, v100
	v_mul_f32_e32 v99, v90, v95
	v_mul_f32_e32 v95, v90, v91
	;; [unrolled: 1-line block ×3, first 2 shown]
                                        ; implicit-def: $vgpr91
	s_delay_alu instid0(VALU_DEP_4)
	v_cmpx_ne_u32_e32 0x7f800000, v101
	s_xor_b32 s2, exec_lo, s2
; %bb.15:
	v_bfe_u32 v91, v100, 16, 1
	s_delay_alu instid0(VALU_DEP_1)
	v_add3_u32 v91, v100, v91, 0x7fff
                                        ; implicit-def: $vgpr100
; %bb.16:
	s_and_not1_saveexec_b32 s2, s2
; %bb.17:
	v_and_b32_e32 v91, 0xffff, v100
	v_or_b32_e32 v93, 0x10000, v100
	s_delay_alu instid0(VALU_DEP_2) | instskip(NEXT) | instid1(VALU_DEP_2)
	v_cmp_eq_u32_e32 vcc_lo, 0, v91
	v_cndmask_b32_e32 v91, v93, v100, vcc_lo
; %bb.18:
	s_or_b32 exec_lo, exec_lo, s2
	v_and_b32_e32 v93, 0x7f800000, v95
	s_delay_alu instid0(VALU_DEP_1) | instskip(SKIP_1) | instid1(SALU_CYCLE_1)
	v_cmp_ne_u32_e32 vcc_lo, 0x7f800000, v93
                                        ; implicit-def: $vgpr93
	s_and_saveexec_b32 s2, vcc_lo
	s_xor_b32 s2, exec_lo, s2
; %bb.19:
	v_bfe_u32 v93, v95, 16, 1
	s_delay_alu instid0(VALU_DEP_1)
	v_add3_u32 v93, v95, v93, 0x7fff
                                        ; implicit-def: $vgpr95
; %bb.20:
	s_and_not1_saveexec_b32 s2, s2
; %bb.21:
	v_and_b32_e32 v93, 0xffff, v95
	v_or_b32_e32 v100, 0x10000, v95
	s_delay_alu instid0(VALU_DEP_2) | instskip(NEXT) | instid1(VALU_DEP_2)
	v_cmp_eq_u32_e32 vcc_lo, 0, v93
	v_cndmask_b32_e32 v93, v100, v95, vcc_lo
; %bb.22:
	s_or_b32 exec_lo, exec_lo, s2
	v_and_b32_e32 v95, 0x7f800000, v96
	s_delay_alu instid0(VALU_DEP_1) | instskip(SKIP_1) | instid1(SALU_CYCLE_1)
	v_cmp_ne_u32_e32 vcc_lo, 0x7f800000, v95
                                        ; implicit-def: $vgpr95
	s_and_saveexec_b32 s2, vcc_lo
	s_xor_b32 s2, exec_lo, s2
; %bb.23:
	v_bfe_u32 v95, v96, 16, 1
	s_delay_alu instid0(VALU_DEP_1)
	v_add3_u32 v95, v96, v95, 0x7fff
                                        ; implicit-def: $vgpr96
; %bb.24:
	s_and_not1_saveexec_b32 s2, s2
; %bb.25:
	v_and_b32_e32 v95, 0xffff, v96
	v_or_b32_e32 v100, 0x10000, v96
	s_delay_alu instid0(VALU_DEP_2) | instskip(NEXT) | instid1(VALU_DEP_2)
	v_cmp_eq_u32_e32 vcc_lo, 0, v95
	v_cndmask_b32_e32 v95, v100, v96, vcc_lo
; %bb.26:
	s_or_b32 exec_lo, exec_lo, s2
	v_and_b32_e32 v96, 0x7f800000, v99
	s_delay_alu instid0(VALU_DEP_1) | instskip(SKIP_1) | instid1(SALU_CYCLE_1)
	v_cmp_ne_u32_e32 vcc_lo, 0x7f800000, v96
                                        ; implicit-def: $vgpr96
	s_and_saveexec_b32 s2, vcc_lo
	s_xor_b32 s2, exec_lo, s2
; %bb.27:
	v_bfe_u32 v96, v99, 16, 1
	s_delay_alu instid0(VALU_DEP_1)
	v_add3_u32 v96, v99, v96, 0x7fff
                                        ; implicit-def: $vgpr99
; %bb.28:
	s_and_not1_saveexec_b32 s2, s2
; %bb.29:
	v_and_b32_e32 v96, 0xffff, v99
	v_or_b32_e32 v100, 0x10000, v99
	s_delay_alu instid0(VALU_DEP_2) | instskip(NEXT) | instid1(VALU_DEP_2)
	v_cmp_eq_u32_e32 vcc_lo, 0, v96
	v_cndmask_b32_e32 v96, v100, v99, vcc_lo
; %bb.30:
	s_or_b32 exec_lo, exec_lo, s2
	v_and_b32_e32 v99, 0x7f800000, v98
	s_delay_alu instid0(VALU_DEP_1) | instskip(SKIP_1) | instid1(SALU_CYCLE_1)
	v_cmp_ne_u32_e32 vcc_lo, 0x7f800000, v99
                                        ; implicit-def: $vgpr99
	s_and_saveexec_b32 s2, vcc_lo
	s_xor_b32 s2, exec_lo, s2
; %bb.31:
	v_bfe_u32 v99, v98, 16, 1
	s_delay_alu instid0(VALU_DEP_1)
	v_add3_u32 v99, v98, v99, 0x7fff
                                        ; implicit-def: $vgpr98
; %bb.32:
	s_and_not1_saveexec_b32 s2, s2
; %bb.33:
	v_and_b32_e32 v99, 0xffff, v98
	v_or_b32_e32 v100, 0x10000, v98
	s_delay_alu instid0(VALU_DEP_2) | instskip(NEXT) | instid1(VALU_DEP_2)
	v_cmp_eq_u32_e32 vcc_lo, 0, v99
	v_cndmask_b32_e32 v99, v100, v98, vcc_lo
; %bb.34:
	s_or_b32 exec_lo, exec_lo, s2
	v_and_b32_e32 v98, 0x7f800000, v97
	s_delay_alu instid0(VALU_DEP_1) | instskip(SKIP_1) | instid1(SALU_CYCLE_1)
	v_cmp_ne_u32_e32 vcc_lo, 0x7f800000, v98
                                        ; implicit-def: $vgpr98
	s_and_saveexec_b32 s2, vcc_lo
	s_xor_b32 s2, exec_lo, s2
; %bb.35:
	v_bfe_u32 v98, v97, 16, 1
	s_delay_alu instid0(VALU_DEP_1)
	v_add3_u32 v98, v97, v98, 0x7fff
                                        ; implicit-def: $vgpr97
; %bb.36:
	s_and_not1_saveexec_b32 s2, s2
; %bb.37:
	v_and_b32_e32 v98, 0xffff, v97
	v_or_b32_e32 v100, 0x10000, v97
	s_delay_alu instid0(VALU_DEP_2) | instskip(NEXT) | instid1(VALU_DEP_2)
	v_cmp_eq_u32_e32 vcc_lo, 0, v98
	v_cndmask_b32_e32 v98, v100, v97, vcc_lo
; %bb.38:
	s_or_b32 exec_lo, exec_lo, s2
	v_and_b32_e32 v97, 0x7f800000, v94
	s_delay_alu instid0(VALU_DEP_1) | instskip(SKIP_1) | instid1(SALU_CYCLE_1)
	v_cmp_ne_u32_e32 vcc_lo, 0x7f800000, v97
                                        ; implicit-def: $vgpr97
	s_and_saveexec_b32 s2, vcc_lo
	s_xor_b32 s2, exec_lo, s2
; %bb.39:
	v_bfe_u32 v97, v94, 16, 1
	s_delay_alu instid0(VALU_DEP_1)
	v_add3_u32 v97, v94, v97, 0x7fff
                                        ; implicit-def: $vgpr94
; %bb.40:
	s_and_not1_saveexec_b32 s2, s2
; %bb.41:
	v_and_b32_e32 v97, 0xffff, v94
	v_or_b32_e32 v100, 0x10000, v94
	s_delay_alu instid0(VALU_DEP_2) | instskip(NEXT) | instid1(VALU_DEP_2)
	v_cmp_eq_u32_e32 vcc_lo, 0, v97
	v_cndmask_b32_e32 v97, v100, v94, vcc_lo
; %bb.42:
	s_or_b32 exec_lo, exec_lo, s2
	v_and_b32_e32 v94, 0x7f800000, v92
	s_delay_alu instid0(VALU_DEP_1) | instskip(SKIP_1) | instid1(SALU_CYCLE_1)
	v_cmp_ne_u32_e32 vcc_lo, 0x7f800000, v94
                                        ; implicit-def: $vgpr94
	s_and_saveexec_b32 s2, vcc_lo
	s_xor_b32 s2, exec_lo, s2
; %bb.43:
	v_bfe_u32 v94, v92, 16, 1
	s_delay_alu instid0(VALU_DEP_1)
	v_add3_u32 v94, v92, v94, 0x7fff
                                        ; implicit-def: $vgpr92
; %bb.44:
	s_and_not1_saveexec_b32 s2, s2
; %bb.45:
	v_and_b32_e32 v94, 0xffff, v92
	v_or_b32_e32 v100, 0x10000, v92
	s_delay_alu instid0(VALU_DEP_2) | instskip(NEXT) | instid1(VALU_DEP_2)
	v_cmp_eq_u32_e32 vcc_lo, 0, v94
	v_cndmask_b32_e32 v94, v100, v92, vcc_lo
; %bb.46:
	s_or_b32 exec_lo, exec_lo, s2
	s_load_b64 s[34:35], s[0:1], 0x94
	v_lshlrev_b32_e32 v92, 4, v83
	s_delay_alu instid0(VALU_DEP_2)
	v_perm_b32 v100, v94, v97, 0x7060302
	v_dual_mul_f32 v89, v90, v89 :: v_dual_lshlrev_b32 v94, 11, v74
	v_perm_b32 v97, v93, v91, 0x7060302
	v_mul_f32_e32 v93, v90, v77
	v_perm_b32 v99, v98, v99, 0x7060302
	v_perm_b32 v98, v96, v95, 0x7060302
	v_or3_b32 v77, v92, v94, v85
	v_mul_f32_e32 v88, v90, v88
	v_dual_mul_f32 v87, v90, v87 :: v_dual_and_b32 v94, 0x7f800000, v93
	v_mul_f32_e32 v86, v90, v86
	v_mul_f32_e32 v91, v90, v80
	;; [unrolled: 1-line block ×4, first 2 shown]
	s_mov_b32 s2, exec_lo
	ds_store_b128 v77, v[97:100]
                                        ; implicit-def: $vgpr78
	v_cmpx_ne_u32_e32 0x7f800000, v94
	s_xor_b32 s2, exec_lo, s2
; %bb.47:
	v_bfe_u32 v78, v93, 16, 1
	s_delay_alu instid0(VALU_DEP_1)
	v_add3_u32 v78, v93, v78, 0x7fff
                                        ; implicit-def: $vgpr93
; %bb.48:
	s_and_not1_saveexec_b32 s2, s2
; %bb.49:
	v_and_b32_e32 v78, 0xffff, v93
	v_or_b32_e32 v79, 0x10000, v93
	s_delay_alu instid0(VALU_DEP_2) | instskip(NEXT) | instid1(VALU_DEP_2)
	v_cmp_eq_u32_e32 vcc_lo, 0, v78
	v_cndmask_b32_e32 v78, v79, v93, vcc_lo
; %bb.50:
	s_or_b32 exec_lo, exec_lo, s2
	v_and_b32_e32 v79, 0x7f800000, v80
	s_delay_alu instid0(VALU_DEP_1) | instskip(SKIP_1) | instid1(SALU_CYCLE_1)
	v_cmp_ne_u32_e32 vcc_lo, 0x7f800000, v79
                                        ; implicit-def: $vgpr79
	s_and_saveexec_b32 s2, vcc_lo
	s_xor_b32 s2, exec_lo, s2
; %bb.51:
	v_bfe_u32 v79, v80, 16, 1
	s_delay_alu instid0(VALU_DEP_1)
	v_add3_u32 v79, v80, v79, 0x7fff
                                        ; implicit-def: $vgpr80
; %bb.52:
	s_and_not1_saveexec_b32 s2, s2
; %bb.53:
	v_and_b32_e32 v79, 0xffff, v80
	v_or_b32_e32 v90, 0x10000, v80
	s_delay_alu instid0(VALU_DEP_2) | instskip(NEXT) | instid1(VALU_DEP_2)
	v_cmp_eq_u32_e32 vcc_lo, 0, v79
	v_cndmask_b32_e32 v79, v90, v80, vcc_lo
; %bb.54:
	s_or_b32 exec_lo, exec_lo, s2
	v_and_b32_e32 v80, 0x7f800000, v92
	s_delay_alu instid0(VALU_DEP_1) | instskip(SKIP_1) | instid1(SALU_CYCLE_1)
	v_cmp_ne_u32_e32 vcc_lo, 0x7f800000, v80
                                        ; implicit-def: $vgpr80
	s_and_saveexec_b32 s2, vcc_lo
	s_xor_b32 s2, exec_lo, s2
; %bb.55:
	v_bfe_u32 v80, v92, 16, 1
	s_delay_alu instid0(VALU_DEP_1)
	v_add3_u32 v80, v92, v80, 0x7fff
                                        ; implicit-def: $vgpr92
; %bb.56:
	s_and_not1_saveexec_b32 s2, s2
; %bb.57:
	v_and_b32_e32 v80, 0xffff, v92
	v_or_b32_e32 v90, 0x10000, v92
	s_delay_alu instid0(VALU_DEP_2) | instskip(NEXT) | instid1(VALU_DEP_2)
	v_cmp_eq_u32_e32 vcc_lo, 0, v80
	v_cndmask_b32_e32 v80, v90, v92, vcc_lo
; %bb.58:
	s_or_b32 exec_lo, exec_lo, s2
	v_and_b32_e32 v90, 0x7f800000, v91
	s_delay_alu instid0(VALU_DEP_1) | instskip(SKIP_1) | instid1(SALU_CYCLE_1)
	v_cmp_ne_u32_e32 vcc_lo, 0x7f800000, v90
                                        ; implicit-def: $vgpr90
	s_and_saveexec_b32 s2, vcc_lo
	s_xor_b32 s2, exec_lo, s2
; %bb.59:
	v_bfe_u32 v90, v91, 16, 1
	s_delay_alu instid0(VALU_DEP_1)
	v_add3_u32 v90, v91, v90, 0x7fff
                                        ; implicit-def: $vgpr91
; %bb.60:
	s_and_not1_saveexec_b32 s2, s2
; %bb.61:
	v_and_b32_e32 v90, 0xffff, v91
	v_or_b32_e32 v92, 0x10000, v91
	s_delay_alu instid0(VALU_DEP_2) | instskip(NEXT) | instid1(VALU_DEP_2)
	v_cmp_eq_u32_e32 vcc_lo, 0, v90
	v_cndmask_b32_e32 v90, v92, v91, vcc_lo
; %bb.62:
	s_or_b32 exec_lo, exec_lo, s2
	v_and_b32_e32 v91, 0x7f800000, v86
	s_delay_alu instid0(VALU_DEP_1) | instskip(SKIP_1) | instid1(SALU_CYCLE_1)
	v_cmp_ne_u32_e32 vcc_lo, 0x7f800000, v91
                                        ; implicit-def: $vgpr91
	s_and_saveexec_b32 s2, vcc_lo
	s_xor_b32 s2, exec_lo, s2
; %bb.63:
	v_bfe_u32 v91, v86, 16, 1
	s_delay_alu instid0(VALU_DEP_1)
	v_add3_u32 v91, v86, v91, 0x7fff
                                        ; implicit-def: $vgpr86
; %bb.64:
	s_and_not1_saveexec_b32 s2, s2
; %bb.65:
	v_and_b32_e32 v91, 0xffff, v86
	v_or_b32_e32 v92, 0x10000, v86
	s_delay_alu instid0(VALU_DEP_2) | instskip(NEXT) | instid1(VALU_DEP_2)
	v_cmp_eq_u32_e32 vcc_lo, 0, v91
	v_cndmask_b32_e32 v91, v92, v86, vcc_lo
; %bb.66:
	s_or_b32 exec_lo, exec_lo, s2
	v_and_b32_e32 v86, 0x7f800000, v87
	s_delay_alu instid0(VALU_DEP_1) | instskip(SKIP_1) | instid1(SALU_CYCLE_1)
	v_cmp_ne_u32_e32 vcc_lo, 0x7f800000, v86
                                        ; implicit-def: $vgpr86
	s_and_saveexec_b32 s2, vcc_lo
	s_xor_b32 s2, exec_lo, s2
; %bb.67:
	v_bfe_u32 v86, v87, 16, 1
	s_delay_alu instid0(VALU_DEP_1)
	v_add3_u32 v86, v87, v86, 0x7fff
                                        ; implicit-def: $vgpr87
; %bb.68:
	s_and_not1_saveexec_b32 s2, s2
; %bb.69:
	v_and_b32_e32 v86, 0xffff, v87
	v_or_b32_e32 v92, 0x10000, v87
	s_delay_alu instid0(VALU_DEP_2) | instskip(NEXT) | instid1(VALU_DEP_2)
	v_cmp_eq_u32_e32 vcc_lo, 0, v86
	v_cndmask_b32_e32 v86, v92, v87, vcc_lo
; %bb.70:
	s_or_b32 exec_lo, exec_lo, s2
	v_and_b32_e32 v87, 0x7f800000, v88
	s_delay_alu instid0(VALU_DEP_1) | instskip(SKIP_1) | instid1(SALU_CYCLE_1)
	v_cmp_ne_u32_e32 vcc_lo, 0x7f800000, v87
                                        ; implicit-def: $vgpr87
	s_and_saveexec_b32 s2, vcc_lo
	s_xor_b32 s2, exec_lo, s2
; %bb.71:
	v_bfe_u32 v87, v88, 16, 1
	s_delay_alu instid0(VALU_DEP_1)
	v_add3_u32 v87, v88, v87, 0x7fff
                                        ; implicit-def: $vgpr88
; %bb.72:
	s_and_not1_saveexec_b32 s2, s2
; %bb.73:
	v_and_b32_e32 v87, 0xffff, v88
	v_or_b32_e32 v92, 0x10000, v88
	s_delay_alu instid0(VALU_DEP_2) | instskip(NEXT) | instid1(VALU_DEP_2)
	v_cmp_eq_u32_e32 vcc_lo, 0, v87
	v_cndmask_b32_e32 v87, v92, v88, vcc_lo
; %bb.74:
	s_or_b32 exec_lo, exec_lo, s2
	v_and_b32_e32 v88, 0x7f800000, v89
	s_delay_alu instid0(VALU_DEP_1) | instskip(SKIP_1) | instid1(SALU_CYCLE_1)
	v_cmp_ne_u32_e32 vcc_lo, 0x7f800000, v88
                                        ; implicit-def: $vgpr88
	s_and_saveexec_b32 s2, vcc_lo
	s_xor_b32 s2, exec_lo, s2
; %bb.75:
	v_bfe_u32 v88, v89, 16, 1
	s_delay_alu instid0(VALU_DEP_1)
	v_add3_u32 v88, v89, v88, 0x7fff
                                        ; implicit-def: $vgpr89
; %bb.76:
	s_and_not1_saveexec_b32 s2, s2
; %bb.77:
	v_and_b32_e32 v88, 0xffff, v89
	v_or_b32_e32 v92, 0x10000, v89
	s_delay_alu instid0(VALU_DEP_2) | instskip(NEXT) | instid1(VALU_DEP_2)
	v_cmp_eq_u32_e32 vcc_lo, 0, v88
	v_cndmask_b32_e32 v88, v92, v89, vcc_lo
; %bb.78:
	s_or_b32 exec_lo, exec_lo, s2
	s_delay_alu instid0(VALU_DEP_1)
	v_perm_b32 v89, v88, v87, 0x7060302
	v_perm_b32 v88, v86, v91, 0x7060302
	;; [unrolled: 1-line block ×4, first 2 shown]
	v_lshl_or_b32 v90, v74, 11, v85
	ds_store_b128 v77, v[86:89] offset:1024
	s_waitcnt lgkmcnt(0)
	s_barrier
	buffer_gl0_inv
	ds_load_b128 v[91:94], v90
	ds_load_b128 v[95:98], v90 offset:16
	v_lshlrev_b32_e32 v87, 2, v83
	s_delay_alu instid0(VALU_DEP_1)
	v_or_b32_e32 v88, 1, v87
	v_cmp_eq_u32_e32 vcc_lo, 1, v87
	v_cmp_eq_u32_e64 s3, 2, v87
	v_cmp_eq_u32_e64 s6, 3, v87
	;; [unrolled: 1-line block ×6, first 2 shown]
	v_or_b32_e32 v86, 2, v87
	v_cmp_eq_u32_e64 s9, 5, v87
	v_cmp_eq_u32_e64 s10, 4, v88
	;; [unrolled: 1-line block ×4, first 2 shown]
	s_waitcnt lgkmcnt(1)
	v_lshrrev_b32_e32 v74, 16, v91
	s_waitcnt lgkmcnt(0)
	v_lshrrev_b32_e32 v103, 16, v95
	v_lshrrev_b32_e32 v80, 16, v94
	;; [unrolled: 1-line block ×4, first 2 shown]
	v_cndmask_b32_e32 v89, v91, v74, vcc_lo
	v_cndmask_b32_e32 v99, v95, v103, vcc_lo
	v_cndmask_b32_e64 v100, v91, v74, s2
	v_lshrrev_b32_e32 v79, 16, v93
	v_lshrrev_b32_e32 v108, 16, v97
	v_cndmask_b32_e64 v89, v89, v92, s3
	v_cndmask_b32_e64 v99, v99, v96, s3
	;; [unrolled: 1-line block ×4, first 2 shown]
	v_cmp_eq_u32_e64 s4, 1, v86
	v_cndmask_b32_e64 v89, v89, v78, s6
	v_cndmask_b32_e64 v99, v99, v107, s6
	;; [unrolled: 1-line block ×4, first 2 shown]
	v_lshrrev_b32_e32 v109, 16, v98
	v_cndmask_b32_e64 v89, v89, v93, s8
	v_cndmask_b32_e64 v99, v99, v97, s8
	;; [unrolled: 1-line block ×8, first 2 shown]
	v_cmp_eq_u32_e64 s13, 7, v87
	v_cmp_eq_u32_e64 s15, 6, v88
	v_cndmask_b32_e64 v89, v89, v94, s11
	v_cndmask_b32_e64 v99, v99, v98, s11
	v_cmp_eq_u32_e64 s16, 2, v86
	v_cndmask_b32_e64 v101, v101, v97, s10
	v_cndmask_b32_e64 v100, v100, v94, s15
	;; [unrolled: 1-line block ×6, first 2 shown]
	v_cmp_eq_u32_e64 s17, 7, v88
	v_cmp_eq_u32_e64 s18, 3, v86
	;; [unrolled: 1-line block ×4, first 2 shown]
	v_cndmask_b32_e64 v99, v99, v96, s16
	v_cndmask_b32_e64 v112, v100, v80, s17
	v_cndmask_b32_e64 v100, v101, v108, s12
	v_cndmask_b32_e64 v101, v89, v78, s18
	v_or_b32_e32 v89, 3, v87
	v_cndmask_b32_e64 v105, v99, v107, s18
	v_cmp_eq_u32_e64 s23, 6, v86
	v_cndmask_b32_e64 v113, v100, v98, s15
	v_cndmask_b32_e64 v104, v101, v93, s19
	ds_load_b128 v[99:102], v90 offset:1024
	v_cmp_eq_u32_e64 s20, 1, v89
	v_cmp_eq_u32_e64 s22, 2, v89
	;; [unrolled: 1-line block ×3, first 2 shown]
	v_cndmask_b32_e64 v114, v104, v79, s21
	v_cmp_eq_u32_e64 s25, 4, v89
	v_cndmask_b32_e64 v74, v91, v74, s20
	v_cndmask_b32_e64 v91, v105, v97, s19
	;; [unrolled: 1-line block ×3, first 2 shown]
	ds_load_b128 v[103:106], v90 offset:1040
	v_cmp_eq_u32_e64 s27, 5, v89
	v_cndmask_b32_e64 v74, v74, v92, s22
	v_cndmask_b32_e64 v91, v91, v108, s21
	v_cndmask_b32_e64 v92, v95, v96, s22
	v_cmp_eq_u32_e64 s28, 6, v89
	v_cndmask_b32_e64 v95, v113, v109, s17
	v_cndmask_b32_e64 v74, v74, v78, s24
	v_cndmask_b32_e64 v78, v114, v94, s23
	v_cndmask_b32_e64 v92, v92, v107, s24
	v_cndmask_b32_e64 v91, v91, v98, s23
	s_waitcnt lgkmcnt(1)
	v_lshrrev_b32_e32 v96, 16, v99
	v_cndmask_b32_e64 v74, v74, v93, s25
	v_lshrrev_b32_e32 v107, 16, v100
	v_cndmask_b32_e64 v92, v92, v97, s25
	v_cmp_eq_u32_e64 s26, 7, v86
	v_cndmask_b32_e32 v93, v99, v96, vcc_lo
	v_cndmask_b32_e64 v74, v74, v79, s27
	s_delay_alu instid0(VALU_DEP_4)
	v_cndmask_b32_e64 v79, v92, v108, s27
	s_waitcnt lgkmcnt(0)
	v_lshrrev_b32_e32 v97, 16, v103
	v_cndmask_b32_e64 v92, v93, v100, s3
	v_cndmask_b32_e64 v93, v99, v96, s2
	;; [unrolled: 1-line block ×4, first 2 shown]
	v_cndmask_b32_e32 v108, v103, v97, vcc_lo
	v_cndmask_b32_e64 v92, v92, v107, s6
	v_cndmask_b32_e64 v93, v93, v100, s5
	v_lshrrev_b32_e32 v98, 16, v104
	v_cmp_eq_u32_e32 vcc_lo, 7, v89
	v_cndmask_b32_e64 v94, v108, v104, s3
	v_cndmask_b32_e64 v92, v92, v101, s8
	v_lshrrev_b32_e32 v108, 16, v101
	v_cndmask_b32_e64 v93, v93, v107, s7
	v_cndmask_b32_e32 v74, v74, v80, vcc_lo
	v_cndmask_b32_e64 v94, v94, v98, s6
	v_cndmask_b32_e32 v79, v79, v109, vcc_lo
	v_cndmask_b32_e64 v92, v92, v108, s9
	v_cndmask_b32_e64 v78, v78, v80, s26
	;; [unrolled: 1-line block ×4, first 2 shown]
	v_perm_b32 v94, v79, v74, 0x5040100
	v_cndmask_b32_e64 v79, v92, v102, s11
	v_perm_b32 v92, v95, v112, 0x5040100
	v_cndmask_b32_e64 v95, v99, v96, s4
	v_cndmask_b32_e64 v96, v99, v96, s20
	;; [unrolled: 1-line block ×16, first 2 shown]
	v_lshrrev_b32_e32 v109, 16, v105
	v_cndmask_b32_e64 v95, v95, v101, s19
	v_cndmask_b32_e64 v96, v96, v101, s25
	;; [unrolled: 1-line block ×6, first 2 shown]
	v_lshrrev_b32_e32 v80, 16, v102
	v_cndmask_b32_e64 v113, v93, v109, s9
	v_cndmask_b32_e64 v95, v95, v108, s21
	;; [unrolled: 1-line block ×6, first 2 shown]
	v_perm_b32 v93, v91, v78, 0x5040100
	v_cndmask_b32_e64 v74, v74, v102, s15
	v_cndmask_b32_e64 v78, v79, v80, s13
	v_cndmask_b32_e64 v79, v113, v106, s11
	v_lshrrev_b32_e32 v91, 16, v106
	v_cndmask_b32_e64 v95, v95, v102, s23
	v_cndmask_b32_e64 v96, v96, v102, s28
	v_cndmask_b32_e64 v98, v98, v106, s28
	v_cndmask_b32_e64 v99, v99, v106, s23
	v_cndmask_b32_e64 v97, v97, v106, s15
	v_cndmask_b32_e64 v74, v74, v80, s17
	v_cndmask_b32_e64 v95, v95, v80, s26
	v_cndmask_b32_e32 v80, v96, v80, vcc_lo
	v_cndmask_b32_e32 v96, v98, v91, vcc_lo
	v_cndmask_b32_e64 v99, v99, v91, s26
	v_cndmask_b32_e64 v100, v97, v91, s17
	;; [unrolled: 1-line block ×3, first 2 shown]
	v_perm_b32 v91, v111, v110, 0x5040100
	v_perm_b32 v98, v96, v80, 0x5040100
	;; [unrolled: 1-line block ×5, first 2 shown]
	s_mul_i32 s7, s35, 10
	s_mov_b32 s2, exec_lo
	ds_store_b128 v77, v[91:94]
	ds_store_b128 v77, v[95:98] offset:1024
	v_cmpx_gt_u32_e32 10, v0
	s_cbranch_execz .LBB759_80
; %bb.79:
	s_mul_i32 s3, s7, s30
	s_load_b128 s[8:11], s[0:1], 0x58
	v_add3_u32 v77, s3, s29, v73
	s_delay_alu instid0(VALU_DEP_1) | instskip(NEXT) | instid1(VALU_DEP_1)
	v_mad_u64_u32 v[73:74], null, v77, s34, s[14:15]
	v_ashrrev_i32_e32 v74, 31, v73
	s_delay_alu instid0(VALU_DEP_1) | instskip(SKIP_1) | instid1(VALU_DEP_1)
	v_lshlrev_b64 v[73:74], 2, v[73:74]
	s_waitcnt lgkmcnt(0)
	v_add_co_u32 v77, vcc_lo, s10, v73
	s_delay_alu instid0(VALU_DEP_2)
	v_add_co_ci_u32_e32 v78, vcc_lo, s11, v74, vcc_lo
	v_add_co_u32 v73, vcc_lo, s8, v73
	v_add_co_ci_u32_e32 v74, vcc_lo, s9, v74, vcc_lo
	global_store_b32 v[77:78], v75, off
	global_store_b32 v[73:74], v76, off
.LBB759_80:
	s_or_b32 exec_lo, exec_lo, s2
	s_waitcnt lgkmcnt(0)
	s_waitcnt_vscnt null, 0x0
	s_barrier
	buffer_gl0_inv
	ds_load_b128 v[91:94], v85
	ds_load_b128 v[95:98], v85 offset:16
	ds_load_b128 v[103:106], v85 offset:1040
	;; [unrolled: 1-line block ×3, first 2 shown]
	v_mov_b32_e32 v73, 0
	ds_load_b128 v[111:114], v85 offset:2064
	ds_load_b128 v[107:110], v85 offset:2048
	;; [unrolled: 1-line block ×6, first 2 shown]
	v_mov_b32_e32 v74, v73
	v_mov_b32_e32 v75, v73
	;; [unrolled: 1-line block ×7, first 2 shown]
	s_waitcnt lgkmcnt(8)
	s_delay_alu instid0(VALU_DEP_1)
	v_wmma_f32_16x16x16_bf16 v[73:80], v[65:72], v[91:98], v[73:80]
	ds_load_b128 v[69:72], v85 offset:5136
	ds_load_b128 v[65:68], v85 offset:5120
	;; [unrolled: 1-line block ×4, first 2 shown]
	s_waitcnt lgkmcnt(10)
	v_wmma_f32_16x16x16_bf16 v[73:80], v[57:64], v[99:106], v[73:80]
	s_waitcnt lgkmcnt(8)
	s_delay_alu instid0(VALU_DEP_1)
	v_wmma_f32_16x16x16_bf16 v[73:80], v[57:64], v[107:114], v[73:80]
	ds_load_b128 v[61:64], v85 offset:7184
	ds_load_b128 v[57:60], v85 offset:7168
	;; [unrolled: 1-line block ×4, first 2 shown]
	s_waitcnt lgkmcnt(10)
	v_wmma_f32_16x16x16_bf16 v[73:80], v[49:56], v[115:122], v[73:80]
	s_waitcnt lgkmcnt(8)
	s_delay_alu instid0(VALU_DEP_1)
	v_wmma_f32_16x16x16_bf16 v[73:80], v[49:56], v[123:130], v[73:80]
	ds_load_b128 v[53:56], v85 offset:9232
	ds_load_b128 v[49:52], v85 offset:9216
	s_waitcnt lgkmcnt(8)
	v_wmma_f32_16x16x16_bf16 v[73:80], v[41:48], v[65:72], v[73:80]
	ds_load_b128 v[69:72], v85 offset:10256
	ds_load_b128 v[65:68], v85 offset:10240
	s_waitcnt lgkmcnt(8)
	;; [unrolled: 4-line block ×3, first 2 shown]
	v_wmma_f32_16x16x16_bf16 v[73:80], v[9:16], v[57:64], v[73:80]
	s_waitcnt lgkmcnt(6)
	s_delay_alu instid0(VALU_DEP_1)
	v_wmma_f32_16x16x16_bf16 v[73:80], v[9:16], v[99:106], v[73:80]
	ds_load_b128 v[13:16], v85 offset:12304
	ds_load_b128 v[9:12], v85 offset:12288
	s_waitcnt lgkmcnt(6)
	v_wmma_f32_16x16x16_bf16 v[73:80], v[1:8], v[49:56], v[73:80]
	ds_load_b128 v[53:56], v85 offset:13328
	ds_load_b128 v[49:52], v85 offset:13312
	s_waitcnt lgkmcnt(6)
	;; [unrolled: 4-line block ×4, first 2 shown]
	v_wmma_f32_16x16x16_bf16 v[73:80], v[33:40], v[9:16], v[73:80]
	s_waitcnt lgkmcnt(4)
	s_delay_alu instid0(VALU_DEP_1) | instskip(SKIP_1) | instid1(VALU_DEP_1)
	v_wmma_f32_16x16x16_bf16 v[73:80], v[25:32], v[49:56], v[73:80]
	s_waitcnt lgkmcnt(2)
	v_wmma_f32_16x16x16_bf16 v[73:80], v[25:32], v[1:8], v[73:80]
	s_waitcnt lgkmcnt(0)
	s_delay_alu instid0(VALU_DEP_1) | instskip(NEXT) | instid1(VALU_DEP_1)
	v_wmma_f32_16x16x16_bf16 v[73:80], v[17:24], v[41:48], v[73:80]
	v_and_b32_e32 v1, 0x7f800000, v73
	s_delay_alu instid0(VALU_DEP_1) | instskip(SKIP_1) | instid1(SALU_CYCLE_1)
	v_cmp_ne_u32_e32 vcc_lo, 0x7f800000, v1
                                        ; implicit-def: $vgpr1
	s_and_saveexec_b32 s2, vcc_lo
	s_xor_b32 s2, exec_lo, s2
; %bb.81:
	v_bfe_u32 v1, v73, 16, 1
	s_delay_alu instid0(VALU_DEP_1)
	v_add3_u32 v1, v73, v1, 0x7fff
; %bb.82:
	s_and_not1_saveexec_b32 s2, s2
; %bb.83:
	v_and_b32_e32 v1, 0xffff, v73
	v_or_b32_e32 v2, 0x10000, v73
	s_delay_alu instid0(VALU_DEP_2) | instskip(NEXT) | instid1(VALU_DEP_2)
	v_cmp_eq_u32_e32 vcc_lo, 0, v1
	v_cndmask_b32_e32 v1, v2, v73, vcc_lo
; %bb.84:
	s_or_b32 exec_lo, exec_lo, s2
	v_and_b32_e32 v2, 0x7f800000, v74
	s_delay_alu instid0(VALU_DEP_1) | instskip(SKIP_1) | instid1(SALU_CYCLE_1)
	v_cmp_ne_u32_e32 vcc_lo, 0x7f800000, v2
                                        ; implicit-def: $vgpr2
	s_and_saveexec_b32 s2, vcc_lo
	s_xor_b32 s2, exec_lo, s2
; %bb.85:
	v_bfe_u32 v2, v74, 16, 1
	s_delay_alu instid0(VALU_DEP_1)
	v_add3_u32 v2, v74, v2, 0x7fff
; %bb.86:
	s_and_not1_saveexec_b32 s2, s2
; %bb.87:
	v_and_b32_e32 v2, 0xffff, v74
	v_or_b32_e32 v3, 0x10000, v74
	s_delay_alu instid0(VALU_DEP_2) | instskip(NEXT) | instid1(VALU_DEP_2)
	v_cmp_eq_u32_e32 vcc_lo, 0, v2
	v_cndmask_b32_e32 v2, v3, v74, vcc_lo
; %bb.88:
	s_or_b32 exec_lo, exec_lo, s2
	v_and_b32_e32 v3, 0x7f800000, v75
	s_delay_alu instid0(VALU_DEP_1) | instskip(SKIP_1) | instid1(SALU_CYCLE_1)
	v_cmp_ne_u32_e32 vcc_lo, 0x7f800000, v3
                                        ; implicit-def: $vgpr3
	s_and_saveexec_b32 s2, vcc_lo
	s_xor_b32 s2, exec_lo, s2
; %bb.89:
	v_bfe_u32 v3, v75, 16, 1
	s_delay_alu instid0(VALU_DEP_1)
	v_add3_u32 v3, v75, v3, 0x7fff
; %bb.90:
	s_and_not1_saveexec_b32 s2, s2
; %bb.91:
	v_and_b32_e32 v3, 0xffff, v75
	v_or_b32_e32 v4, 0x10000, v75
	s_delay_alu instid0(VALU_DEP_2) | instskip(NEXT) | instid1(VALU_DEP_2)
	v_cmp_eq_u32_e32 vcc_lo, 0, v3
	v_cndmask_b32_e32 v3, v4, v75, vcc_lo
; %bb.92:
	s_or_b32 exec_lo, exec_lo, s2
	v_and_b32_e32 v4, 0x7f800000, v76
	s_delay_alu instid0(VALU_DEP_1) | instskip(SKIP_1) | instid1(SALU_CYCLE_1)
	v_cmp_ne_u32_e32 vcc_lo, 0x7f800000, v4
                                        ; implicit-def: $vgpr4
	s_and_saveexec_b32 s2, vcc_lo
	s_xor_b32 s2, exec_lo, s2
; %bb.93:
	v_bfe_u32 v4, v76, 16, 1
	s_delay_alu instid0(VALU_DEP_1)
	v_add3_u32 v4, v76, v4, 0x7fff
; %bb.94:
	s_and_not1_saveexec_b32 s2, s2
; %bb.95:
	v_and_b32_e32 v4, 0xffff, v76
	v_or_b32_e32 v5, 0x10000, v76
	s_delay_alu instid0(VALU_DEP_2) | instskip(NEXT) | instid1(VALU_DEP_2)
	v_cmp_eq_u32_e32 vcc_lo, 0, v4
	v_cndmask_b32_e32 v4, v5, v76, vcc_lo
; %bb.96:
	s_or_b32 exec_lo, exec_lo, s2
	v_and_b32_e32 v5, 0x7f800000, v77
	s_delay_alu instid0(VALU_DEP_1) | instskip(SKIP_1) | instid1(SALU_CYCLE_1)
	v_cmp_ne_u32_e32 vcc_lo, 0x7f800000, v5
                                        ; implicit-def: $vgpr5
	s_and_saveexec_b32 s2, vcc_lo
	s_xor_b32 s2, exec_lo, s2
; %bb.97:
	v_bfe_u32 v5, v77, 16, 1
	s_delay_alu instid0(VALU_DEP_1)
	v_add3_u32 v5, v77, v5, 0x7fff
; %bb.98:
	s_and_not1_saveexec_b32 s2, s2
; %bb.99:
	v_and_b32_e32 v5, 0xffff, v77
	v_or_b32_e32 v6, 0x10000, v77
	s_delay_alu instid0(VALU_DEP_2) | instskip(NEXT) | instid1(VALU_DEP_2)
	v_cmp_eq_u32_e32 vcc_lo, 0, v5
	v_cndmask_b32_e32 v5, v6, v77, vcc_lo
; %bb.100:
	s_or_b32 exec_lo, exec_lo, s2
	v_and_b32_e32 v6, 0x7f800000, v78
	s_delay_alu instid0(VALU_DEP_1) | instskip(SKIP_1) | instid1(SALU_CYCLE_1)
	v_cmp_ne_u32_e32 vcc_lo, 0x7f800000, v6
                                        ; implicit-def: $vgpr6
	s_and_saveexec_b32 s2, vcc_lo
	s_xor_b32 s2, exec_lo, s2
; %bb.101:
	v_bfe_u32 v6, v78, 16, 1
	s_delay_alu instid0(VALU_DEP_1)
	v_add3_u32 v6, v78, v6, 0x7fff
; %bb.102:
	s_and_not1_saveexec_b32 s2, s2
; %bb.103:
	v_and_b32_e32 v6, 0xffff, v78
	v_or_b32_e32 v7, 0x10000, v78
	s_delay_alu instid0(VALU_DEP_2) | instskip(NEXT) | instid1(VALU_DEP_2)
	v_cmp_eq_u32_e32 vcc_lo, 0, v6
	v_cndmask_b32_e32 v6, v7, v78, vcc_lo
; %bb.104:
	s_or_b32 exec_lo, exec_lo, s2
	v_and_b32_e32 v7, 0x7f800000, v79
	s_delay_alu instid0(VALU_DEP_1) | instskip(SKIP_1) | instid1(SALU_CYCLE_1)
	v_cmp_ne_u32_e32 vcc_lo, 0x7f800000, v7
                                        ; implicit-def: $vgpr7
	s_and_saveexec_b32 s2, vcc_lo
	s_xor_b32 s2, exec_lo, s2
; %bb.105:
	v_bfe_u32 v7, v79, 16, 1
	s_delay_alu instid0(VALU_DEP_1)
	v_add3_u32 v7, v79, v7, 0x7fff
; %bb.106:
	s_and_not1_saveexec_b32 s2, s2
; %bb.107:
	v_and_b32_e32 v7, 0xffff, v79
	v_or_b32_e32 v8, 0x10000, v79
	s_delay_alu instid0(VALU_DEP_2) | instskip(NEXT) | instid1(VALU_DEP_2)
	v_cmp_eq_u32_e32 vcc_lo, 0, v7
	v_cndmask_b32_e32 v7, v8, v79, vcc_lo
; %bb.108:
	s_or_b32 exec_lo, exec_lo, s2
	v_and_b32_e32 v8, 0x7f800000, v80
	s_delay_alu instid0(VALU_DEP_1) | instskip(SKIP_1) | instid1(SALU_CYCLE_1)
	v_cmp_ne_u32_e32 vcc_lo, 0x7f800000, v8
                                        ; implicit-def: $vgpr8
	s_and_saveexec_b32 s2, vcc_lo
	s_xor_b32 s2, exec_lo, s2
; %bb.109:
	v_bfe_u32 v8, v80, 16, 1
	s_delay_alu instid0(VALU_DEP_1)
	v_add3_u32 v8, v80, v8, 0x7fff
                                        ; implicit-def: $vgpr73_vgpr74_vgpr75_vgpr76_vgpr77_vgpr78_vgpr79_vgpr80
; %bb.110:
	s_and_not1_saveexec_b32 s2, s2
; %bb.111:
	v_and_b32_e32 v8, 0xffff, v80
	v_or_b32_e32 v9, 0x10000, v80
	s_delay_alu instid0(VALU_DEP_2) | instskip(NEXT) | instid1(VALU_DEP_2)
	v_cmp_eq_u32_e32 vcc_lo, 0, v8
	v_cndmask_b32_e32 v8, v9, v80, vcc_lo
; %bb.112:
	s_or_b32 exec_lo, exec_lo, s2
	s_delay_alu instid0(VALU_DEP_1)
	v_perm_b32 v7, v8, v7, 0x7060302
	v_perm_b32 v6, v6, v5, 0x7060302
	;; [unrolled: 1-line block ×4, first 2 shown]
	v_lshl_or_b32 v9, v83, 4, v90
	s_barrier
	buffer_gl0_inv
	v_cmp_eq_u32_e32 vcc_lo, 1, v87
	ds_store_b128 v9, v[4:7]
	s_waitcnt lgkmcnt(0)
	s_barrier
	buffer_gl0_inv
	ds_load_b128 v[1:4], v90
	ds_load_b128 v[5:8], v90 offset:16
	v_cmp_eq_u32_e64 s3, 2, v87
	v_cmp_eq_u32_e64 s2, 1, v88
	v_cmp_eq_u32_e64 s4, 3, v87
	v_cmp_eq_u32_e64 s6, 2, v86
	v_cmp_eq_u32_e64 s5, 7, v88
	s_waitcnt lgkmcnt(1)
	v_lshrrev_b32_e32 v10, 16, v1
	s_waitcnt lgkmcnt(0)
	v_lshrrev_b32_e32 v14, 16, v5
	v_lshrrev_b32_e32 v15, 16, v6
	;; [unrolled: 1-line block ×4, first 2 shown]
	v_cndmask_b32_e64 v20, v1, v10, s2
	v_cndmask_b32_e32 v19, v5, v14, vcc_lo
	v_cndmask_b32_e64 v21, v5, v14, s2
	v_lshrrev_b32_e32 v16, 16, v7
	v_cmp_eq_u32_e64 s2, 1, v86
	v_lshrrev_b32_e32 v13, 16, v4
	v_cndmask_b32_e64 v19, v19, v6, s3
	v_lshrrev_b32_e32 v17, 16, v8
	s_delay_alu instid0(VALU_DEP_4) | instskip(SKIP_1) | instid1(VALU_DEP_4)
	v_cndmask_b32_e64 v22, v1, v10, s2
	v_cndmask_b32_e64 v23, v5, v14, s2
	;; [unrolled: 1-line block ×3, first 2 shown]
	v_cndmask_b32_e32 v18, v1, v10, vcc_lo
	v_cmp_eq_u32_e32 vcc_lo, 2, v88
	v_cmp_eq_u32_e64 s2, 2, v89
	v_cndmask_b32_e64 v22, v22, v2, s6
	v_cndmask_b32_e32 v20, v20, v2, vcc_lo
	v_cndmask_b32_e32 v21, v21, v6, vcc_lo
	v_cmp_eq_u32_e32 vcc_lo, 4, v87
	v_cndmask_b32_e32 v19, v19, v7, vcc_lo
	v_cndmask_b32_e64 v18, v18, v2, s3
	v_cmp_eq_u32_e64 s3, 3, v88
	s_delay_alu instid0(VALU_DEP_2) | instskip(NEXT) | instid1(VALU_DEP_2)
	v_cndmask_b32_e64 v18, v18, v11, s4
	v_cndmask_b32_e64 v21, v21, v15, s3
	v_cmp_eq_u32_e64 s4, 5, v87
	s_delay_alu instid0(VALU_DEP_3) | instskip(SKIP_1) | instid1(VALU_DEP_3)
	v_cndmask_b32_e32 v18, v18, v3, vcc_lo
	v_cmp_eq_u32_e32 vcc_lo, 4, v88
	v_cndmask_b32_e64 v19, v19, v16, s4
	s_delay_alu instid0(VALU_DEP_3) | instskip(SKIP_4) | instid1(VALU_DEP_3)
	v_cndmask_b32_e64 v18, v18, v12, s4
	v_cndmask_b32_e32 v21, v21, v7, vcc_lo
	v_cndmask_b32_e64 v20, v20, v11, s3
	v_cmp_eq_u32_e64 s3, 5, v88
	v_cmp_eq_u32_e64 s4, 6, v87
	v_cndmask_b32_e32 v20, v20, v3, vcc_lo
	s_delay_alu instid0(VALU_DEP_3) | instskip(SKIP_1) | instid1(VALU_DEP_4)
	v_cndmask_b32_e64 v21, v21, v16, s3
	v_cmp_eq_u32_e32 vcc_lo, 6, v88
	v_cndmask_b32_e64 v18, v18, v4, s4
	v_cndmask_b32_e64 v19, v19, v8, s4
	;; [unrolled: 1-line block ×3, first 2 shown]
	v_cmp_eq_u32_e64 s3, 1, v89
	v_cmp_eq_u32_e64 s4, 7, v87
	s_delay_alu instid0(VALU_DEP_3) | instskip(NEXT) | instid1(VALU_DEP_3)
	v_cndmask_b32_e32 v20, v20, v4, vcc_lo
	v_cndmask_b32_e64 v1, v1, v10, s3
	v_cndmask_b32_e64 v5, v5, v14, s3
	v_cmp_eq_u32_e64 s3, 3, v86
	v_cndmask_b32_e64 v14, v23, v6, s6
	v_cmp_eq_u32_e64 s6, 3, v89
	v_cndmask_b32_e64 v1, v1, v2, s2
	v_cndmask_b32_e64 v2, v5, v6, s2
	;; [unrolled: 1-line block ×3, first 2 shown]
	v_cmp_eq_u32_e64 s2, 4, v86
	v_cndmask_b32_e64 v6, v14, v15, s3
	v_cndmask_b32_e64 v1, v1, v11, s6
	v_cmp_eq_u32_e64 s3, 4, v89
	v_cndmask_b32_e64 v2, v2, v15, s6
	v_cndmask_b32_e64 v5, v10, v3, s2
	;; [unrolled: 3-line block ×3, first 2 shown]
	v_cndmask_b32_e64 v2, v2, v7, s3
	v_cmp_eq_u32_e64 s2, 5, v89
	v_cndmask_b32_e64 v5, v5, v12, s6
	v_cmp_eq_u32_e64 s3, 6, v86
	;; [unrolled: 2-line block ×3, first 2 shown]
	v_cndmask_b32_e64 v1, v1, v12, s2
	v_cndmask_b32_e64 v2, v2, v16, s2
	;; [unrolled: 1-line block ×4, first 2 shown]
	v_cmp_eq_u32_e64 s2, 7, v89
	v_cndmask_b32_e64 v1, v1, v4, s6
	v_cndmask_b32_e64 v2, v2, v8, s6
	v_cmp_eq_u32_e64 s3, 7, v86
	v_cndmask_b32_e32 v4, v21, v8, vcc_lo
	v_cndmask_b32_e64 v18, v18, v13, s4
	v_cndmask_b32_e64 v20, v20, v13, s5
	;; [unrolled: 1-line block ×8, first 2 shown]
	s_mov_b32 s2, exec_lo
	v_perm_b32 v4, v2, v1, 0x5040100
	v_perm_b32 v3, v3, v5, 0x5040100
	;; [unrolled: 1-line block ×4, first 2 shown]
	ds_store_b128 v9, v[1:4]
	s_waitcnt lgkmcnt(0)
	s_barrier
	buffer_gl0_inv
	v_cmpx_gt_u32_e32 32, v0
	s_cbranch_execz .LBB759_2
; %bb.113:
	s_load_b64 s[0:1], s[0:1], 0x68
	s_lshl_b32 s4, s34, 7
	v_or_b32_e32 v2, s29, v83
	s_mul_i32 s2, s4, s30
	v_lshlrev_b32_e32 v0, 10, v0
	s_mul_i32 s2, s2, s7
	v_lshlrev_b32_e32 v1, 4, v84
	s_ashr_i32 s3, s2, 31
	v_mul_lo_u32 v20, v2, s4
	s_lshl_b64 s[2:3], s[2:3], 1
	v_lshlrev_b32_e32 v3, 6, v83
	v_and_b32_e32 v0, 0x3800, v0
	s_delay_alu instid0(VALU_DEP_1) | instskip(NEXT) | instid1(VALU_DEP_4)
	v_or3_b32 v16, v0, v1, v3
	v_ashrrev_i32_e32 v21, 31, v20
	ds_load_b128 v[0:3], v16
	ds_load_b128 v[4:7], v16 offset:128
	s_waitcnt lgkmcnt(0)
	s_add_u32 s2, s0, s2
	s_addc_u32 s3, s1, s3
	s_lshl_b32 s0, s14, 7
	ds_load_b128 v[8:11], v16 offset:256
	ds_load_b128 v[12:15], v16 offset:384
	;; [unrolled: 1-line block ×3, first 2 shown]
	s_ashr_i32 s1, s0, 31
	s_delay_alu instid0(SALU_CYCLE_1) | instskip(NEXT) | instid1(SALU_CYCLE_1)
	s_lshl_b64 s[0:1], s[0:1], 1
	s_add_u32 s0, s2, s0
	s_addc_u32 s1, s3, s1
	s_lshl_b32 s2, s34, 8
	v_add_co_u32 v30, vcc_lo, s0, v81
	v_add_nc_u32_e32 v22, s2, v20
	v_lshlrev_b64 v[20:21], 1, v[20:21]
	v_add_co_ci_u32_e32 v31, vcc_lo, s1, v82, vcc_lo
	s_delay_alu instid0(VALU_DEP_3) | instskip(SKIP_1) | instid1(VALU_DEP_4)
	v_add_nc_u32_e32 v24, s2, v22
	v_ashrrev_i32_e32 v23, 31, v22
	v_add_co_u32 v20, vcc_lo, v30, v20
	s_delay_alu instid0(VALU_DEP_4) | instskip(NEXT) | instid1(VALU_DEP_4)
	v_add_co_ci_u32_e32 v21, vcc_lo, v31, v21, vcc_lo
	v_add_nc_u32_e32 v26, s2, v24
	v_ashrrev_i32_e32 v25, 31, v24
	v_lshlrev_b64 v[22:23], 1, v[22:23]
	s_delay_alu instid0(VALU_DEP_3) | instskip(SKIP_1) | instid1(VALU_DEP_4)
	v_add_nc_u32_e32 v28, s2, v26
	v_ashrrev_i32_e32 v27, 31, v26
	v_lshlrev_b64 v[24:25], 1, v[24:25]
	s_delay_alu instid0(VALU_DEP_4) | instskip(NEXT) | instid1(VALU_DEP_4)
	v_add_co_u32 v22, vcc_lo, v30, v22
	v_ashrrev_i32_e32 v29, 31, v28
	s_delay_alu instid0(VALU_DEP_4) | instskip(SKIP_2) | instid1(VALU_DEP_4)
	v_lshlrev_b64 v[26:27], 1, v[26:27]
	v_add_co_ci_u32_e32 v23, vcc_lo, v31, v23, vcc_lo
	v_add_co_u32 v24, vcc_lo, v30, v24
	v_lshlrev_b64 v[28:29], 1, v[28:29]
	v_add_co_ci_u32_e32 v25, vcc_lo, v31, v25, vcc_lo
	v_add_co_u32 v26, vcc_lo, v30, v26
	v_add_co_ci_u32_e32 v27, vcc_lo, v31, v27, vcc_lo
	s_delay_alu instid0(VALU_DEP_4)
	v_add_co_u32 v28, vcc_lo, v30, v28
	v_add_co_ci_u32_e32 v29, vcc_lo, v31, v29, vcc_lo
	s_clause 0x1
	global_store_b128 v[20:21], v[0:3], off
	global_store_b128 v[22:23], v[4:7], off
	s_waitcnt lgkmcnt(2)
	global_store_b128 v[24:25], v[8:11], off
	s_waitcnt lgkmcnt(1)
	global_store_b128 v[26:27], v[12:15], off
	s_waitcnt lgkmcnt(0)
	global_store_b128 v[28:29], v[16:19], off
	s_nop 0
	s_sendmsg sendmsg(MSG_DEALLOC_VGPRS)
	s_endpgm
	.section	.rodata,"a",@progbits
	.p2align	6, 0x0
	.amdhsa_kernel _Z39paged_attention_ll4mi_QKV_mfma16_kernelI14__hip_bfloat16S0_LN4vllm18Fp8KVCacheDataTypeE0ES0_Li32ELi128ELi256ELb0ELi10EL8MFMAType0EEvPKT_PKT0_S9_ifPKiSB_SB_iPKfiiiPfSE_PS4_PT2_iSD_SD_
		.amdhsa_group_segment_fixed_size 17472
		.amdhsa_private_segment_fixed_size 0
		.amdhsa_kernarg_size 400
		.amdhsa_user_sgpr_count 13
		.amdhsa_user_sgpr_dispatch_ptr 0
		.amdhsa_user_sgpr_queue_ptr 0
		.amdhsa_user_sgpr_kernarg_segment_ptr 1
		.amdhsa_user_sgpr_dispatch_id 0
		.amdhsa_user_sgpr_private_segment_size 0
		.amdhsa_wavefront_size32 1
		.amdhsa_uses_dynamic_stack 0
		.amdhsa_enable_private_segment 0
		.amdhsa_system_sgpr_workgroup_id_x 1
		.amdhsa_system_sgpr_workgroup_id_y 1
		.amdhsa_system_sgpr_workgroup_id_z 1
		.amdhsa_system_sgpr_workgroup_info 0
		.amdhsa_system_vgpr_workitem_id 0
		.amdhsa_next_free_vgpr 157
		.amdhsa_next_free_sgpr 40
		.amdhsa_reserve_vcc 1
		.amdhsa_float_round_mode_32 0
		.amdhsa_float_round_mode_16_64 0
		.amdhsa_float_denorm_mode_32 3
		.amdhsa_float_denorm_mode_16_64 3
		.amdhsa_dx10_clamp 1
		.amdhsa_ieee_mode 1
		.amdhsa_fp16_overflow 0
		.amdhsa_workgroup_processor_mode 1
		.amdhsa_memory_ordered 1
		.amdhsa_forward_progress 0
		.amdhsa_shared_vgpr_count 0
		.amdhsa_exception_fp_ieee_invalid_op 0
		.amdhsa_exception_fp_denorm_src 0
		.amdhsa_exception_fp_ieee_div_zero 0
		.amdhsa_exception_fp_ieee_overflow 0
		.amdhsa_exception_fp_ieee_underflow 0
		.amdhsa_exception_fp_ieee_inexact 0
		.amdhsa_exception_int_div_zero 0
	.end_amdhsa_kernel
	.section	.text._Z39paged_attention_ll4mi_QKV_mfma16_kernelI14__hip_bfloat16S0_LN4vllm18Fp8KVCacheDataTypeE0ES0_Li32ELi128ELi256ELb0ELi10EL8MFMAType0EEvPKT_PKT0_S9_ifPKiSB_SB_iPKfiiiPfSE_PS4_PT2_iSD_SD_,"axG",@progbits,_Z39paged_attention_ll4mi_QKV_mfma16_kernelI14__hip_bfloat16S0_LN4vllm18Fp8KVCacheDataTypeE0ES0_Li32ELi128ELi256ELb0ELi10EL8MFMAType0EEvPKT_PKT0_S9_ifPKiSB_SB_iPKfiiiPfSE_PS4_PT2_iSD_SD_,comdat
.Lfunc_end759:
	.size	_Z39paged_attention_ll4mi_QKV_mfma16_kernelI14__hip_bfloat16S0_LN4vllm18Fp8KVCacheDataTypeE0ES0_Li32ELi128ELi256ELb0ELi10EL8MFMAType0EEvPKT_PKT0_S9_ifPKiSB_SB_iPKfiiiPfSE_PS4_PT2_iSD_SD_, .Lfunc_end759-_Z39paged_attention_ll4mi_QKV_mfma16_kernelI14__hip_bfloat16S0_LN4vllm18Fp8KVCacheDataTypeE0ES0_Li32ELi128ELi256ELb0ELi10EL8MFMAType0EEvPKT_PKT0_S9_ifPKiSB_SB_iPKfiiiPfSE_PS4_PT2_iSD_SD_
                                        ; -- End function
	.section	.AMDGPU.csdata,"",@progbits
; Kernel info:
; codeLenInByte = 9816
; NumSgprs: 42
; NumVgprs: 157
; ScratchSize: 0
; MemoryBound: 0
; FloatMode: 240
; IeeeMode: 1
; LDSByteSize: 17472 bytes/workgroup (compile time only)
; SGPRBlocks: 5
; VGPRBlocks: 19
; NumSGPRsForWavesPerEU: 42
; NumVGPRsForWavesPerEU: 157
; Occupancy: 9
; WaveLimiterHint : 1
; COMPUTE_PGM_RSRC2:SCRATCH_EN: 0
; COMPUTE_PGM_RSRC2:USER_SGPR: 13
; COMPUTE_PGM_RSRC2:TRAP_HANDLER: 0
; COMPUTE_PGM_RSRC2:TGID_X_EN: 1
; COMPUTE_PGM_RSRC2:TGID_Y_EN: 1
; COMPUTE_PGM_RSRC2:TGID_Z_EN: 1
; COMPUTE_PGM_RSRC2:TIDIG_COMP_CNT: 0
	.section	.text._Z39paged_attention_ll4mi_QKV_mfma16_kernelI14__hip_bfloat16S0_LN4vllm18Fp8KVCacheDataTypeE0ES0_Li32ELi128ELi256ELb0ELi11EL8MFMAType0EEvPKT_PKT0_S9_ifPKiSB_SB_iPKfiiiPfSE_PS4_PT2_iSD_SD_,"axG",@progbits,_Z39paged_attention_ll4mi_QKV_mfma16_kernelI14__hip_bfloat16S0_LN4vllm18Fp8KVCacheDataTypeE0ES0_Li32ELi128ELi256ELb0ELi11EL8MFMAType0EEvPKT_PKT0_S9_ifPKiSB_SB_iPKfiiiPfSE_PS4_PT2_iSD_SD_,comdat
	.protected	_Z39paged_attention_ll4mi_QKV_mfma16_kernelI14__hip_bfloat16S0_LN4vllm18Fp8KVCacheDataTypeE0ES0_Li32ELi128ELi256ELb0ELi11EL8MFMAType0EEvPKT_PKT0_S9_ifPKiSB_SB_iPKfiiiPfSE_PS4_PT2_iSD_SD_ ; -- Begin function _Z39paged_attention_ll4mi_QKV_mfma16_kernelI14__hip_bfloat16S0_LN4vllm18Fp8KVCacheDataTypeE0ES0_Li32ELi128ELi256ELb0ELi11EL8MFMAType0EEvPKT_PKT0_S9_ifPKiSB_SB_iPKfiiiPfSE_PS4_PT2_iSD_SD_
	.globl	_Z39paged_attention_ll4mi_QKV_mfma16_kernelI14__hip_bfloat16S0_LN4vllm18Fp8KVCacheDataTypeE0ES0_Li32ELi128ELi256ELb0ELi11EL8MFMAType0EEvPKT_PKT0_S9_ifPKiSB_SB_iPKfiiiPfSE_PS4_PT2_iSD_SD_
	.p2align	8
	.type	_Z39paged_attention_ll4mi_QKV_mfma16_kernelI14__hip_bfloat16S0_LN4vllm18Fp8KVCacheDataTypeE0ES0_Li32ELi128ELi256ELb0ELi11EL8MFMAType0EEvPKT_PKT0_S9_ifPKiSB_SB_iPKfiiiPfSE_PS4_PT2_iSD_SD_,@function
_Z39paged_attention_ll4mi_QKV_mfma16_kernelI14__hip_bfloat16S0_LN4vllm18Fp8KVCacheDataTypeE0ES0_Li32ELi128ELi256ELb0ELi11EL8MFMAType0EEvPKT_PKT0_S9_ifPKiSB_SB_iPKfiiiPfSE_PS4_PT2_iSD_SD_: ; @_Z39paged_attention_ll4mi_QKV_mfma16_kernelI14__hip_bfloat16S0_LN4vllm18Fp8KVCacheDataTypeE0ES0_Li32ELi128ELi256ELb0ELi11EL8MFMAType0EEvPKT_PKT0_S9_ifPKiSB_SB_iPKfiiiPfSE_PS4_PT2_iSD_SD_
; %bb.0:
	s_load_b64 s[2:3], s[0:1], 0x30
	s_mov_b32 s30, s13
	s_waitcnt lgkmcnt(0)
	s_cmp_lg_u64 s[2:3], 0
	s_cselect_b32 s6, -1, 0
	s_ashr_i32 s31, s13, 31
	s_cmp_eq_u64 s[2:3], 0
	s_cbranch_scc1 .LBB760_3
; %bb.1:
	s_lshl_b64 s[4:5], s[30:31], 2
	s_delay_alu instid0(SALU_CYCLE_1) | instskip(SKIP_4) | instid1(SALU_CYCLE_1)
	s_add_u32 s4, s2, s4
	s_addc_u32 s5, s3, s5
	s_load_b64 s[4:5], s[4:5], 0x0
	s_waitcnt lgkmcnt(0)
	s_sub_i32 s4, s5, s4
	s_cmp_eq_u32 s4, 1
	s_cselect_b32 s4, -1, 0
	s_delay_alu instid0(SALU_CYCLE_1)
	s_and_not1_b32 vcc_lo, exec_lo, s4
	s_cbranch_vccz .LBB760_4
.LBB760_2:
	s_nop 0
	s_sendmsg sendmsg(MSG_DEALLOC_VGPRS)
	s_endpgm
.LBB760_3:
.LBB760_4:
	s_load_b64 s[8:9], s[0:1], 0x28
	s_lshl_b64 s[4:5], s[30:31], 2
	s_waitcnt lgkmcnt(0)
	s_add_u32 s8, s8, s4
	s_addc_u32 s9, s9, s5
	s_lshl_b32 s12, s14, 8
	s_load_b32 s17, s[8:9], 0x0
	s_waitcnt lgkmcnt(0)
	s_cmp_ge_i32 s12, s17
	s_cbranch_scc1 .LBB760_2
; %bb.5:
	s_and_not1_b32 vcc_lo, exec_lo, s6
	s_cbranch_vccnz .LBB760_7
; %bb.6:
	s_add_u32 s2, s2, s4
	s_addc_u32 s3, s3, s5
	s_load_b32 s13, s[2:3], 0x0
	s_branch .LBB760_8
.LBB760_7:
	s_mov_b32 s13, s30
.LBB760_8:
	s_clause 0x2
	s_load_b128 s[8:11], s[0:1], 0x8
	s_load_b64 s[2:3], s[0:1], 0x20
	s_load_b128 s[4:7], s[0:1], 0x48
	v_lshrrev_b32_e32 v74, 5, v0
	v_bfe_u32 v83, v0, 4, 1
	v_and_b32_e32 v73, 15, v0
	s_waitcnt lgkmcnt(0)
	s_mov_b32 s7, exec_lo
	s_delay_alu instid0(VALU_DEP_2) | instskip(NEXT) | instid1(VALU_DEP_2)
	v_lshl_or_b32 v3, v74, 1, v83
	v_lshlrev_b32_e32 v1, 3, v73
	s_delay_alu instid0(VALU_DEP_2)
	v_cmpx_lt_u32_e32 10, v3
	s_xor_b32 s7, exec_lo, s7
; %bb.9:
	v_mov_b32_e32 v2, 0
                                        ; implicit-def: $vgpr3
; %bb.10:
	s_or_saveexec_b32 s7, s7
	v_and_b32_e32 v75, 31, v0
	v_and_b32_e32 v84, 1, v0
	s_mul_i32 s31, s15, 11
	s_xor_b32 exec_lo, exec_lo, s7
	s_cbranch_execz .LBB760_12
; %bb.11:
	s_load_b64 s[18:19], s[0:1], 0x0
	v_add_lshl_u32 v4, v3, s31, 7
	s_mul_hi_i32 s21, s13, s4
	s_mul_i32 s20, s13, s4
	v_lshlrev_b32_e32 v2, 1, v1
	s_lshl_b64 s[20:21], s[20:21], 1
	v_ashrrev_i32_e32 v5, 31, v4
	v_lshlrev_b32_e32 v3, 6, v3
	v_lshlrev_b32_e32 v8, 10, v84
	s_delay_alu instid0(VALU_DEP_3) | instskip(SKIP_3) | instid1(VALU_DEP_1)
	v_lshlrev_b64 v[4:5], 1, v[4:5]
	s_waitcnt lgkmcnt(0)
	s_add_u32 s4, s18, s20
	s_addc_u32 s13, s19, s21
	v_add_co_u32 v4, vcc_lo, s4, v4
	s_delay_alu instid0(VALU_DEP_2) | instskip(NEXT) | instid1(VALU_DEP_2)
	v_add_co_ci_u32_e32 v5, vcc_lo, s13, v5, vcc_lo
	v_add_co_u32 v4, vcc_lo, v4, v2
	s_delay_alu instid0(VALU_DEP_2) | instskip(SKIP_3) | instid1(VALU_DEP_1)
	v_add_co_ci_u32_e32 v5, vcc_lo, 0, v5, vcc_lo
	v_lshlrev_b32_e32 v2, 10, v73
	global_load_b128 v[4:7], v[4:5], off
	v_and_b32_e32 v2, 0x3800, v2
	v_or3_b32 v3, v2, v8, v3
	v_mov_b32_e32 v2, 0
	s_waitcnt vmcnt(0)
	ds_store_b128 v3, v[4:7]
.LBB760_12:
	s_or_b32 exec_lo, exec_lo, s7
	v_add_nc_u32_e32 v80, -11, v73
	v_and_b32_e32 v3, 0xef, v0
	s_add_i32 s4, s17, 31
	s_clause 0x1
	s_load_b32 s7, s[0:1], 0x38
	s_load_b32 s18, s[0:1], 0x1c
	s_ashr_i32 s13, s4, 31
	v_add_nc_u32_e32 v3, s12, v3
	s_lshr_b32 s13, s13, 27
	s_waitcnt lgkmcnt(0)
	s_add_i32 s4, s4, s13
	s_barrier
	v_ashrrev_i32_e32 v4, 31, v3
	v_cmp_gt_i32_e32 vcc_lo, s17, v3
	s_ashr_i32 s4, s4, 5
	buffer_gl0_inv
	s_add_i32 s4, s4, -1
	v_lshrrev_b32_e32 v5, 27, v4
	v_or_b32_e32 v4, 16, v3
	v_lshlrev_b64 v[81:82], 1, v[1:2]
	s_delay_alu instid0(VALU_DEP_3) | instskip(NEXT) | instid1(VALU_DEP_3)
	v_add_nc_u32_e32 v6, v3, v5
	v_add_nc_u32_e32 v5, v4, v5
	s_mul_i32 s20, s30, s7
	s_delay_alu instid0(SALU_CYCLE_1) | instskip(NEXT) | instid1(VALU_DEP_2)
	s_ashr_i32 s21, s20, 31
	v_ashrrev_i32_e32 v6, 5, v6
	s_delay_alu instid0(VALU_DEP_2) | instskip(SKIP_1) | instid1(SALU_CYCLE_1)
	v_ashrrev_i32_e32 v5, 5, v5
	s_lshl_b64 s[20:21], s[20:21], 2
	s_add_u32 s7, s2, s20
	s_delay_alu instid0(VALU_DEP_2) | instskip(SKIP_3) | instid1(VALU_DEP_2)
	v_cndmask_b32_e32 v3, s4, v6, vcc_lo
	v_cmp_gt_i32_e32 vcc_lo, s17, v4
	s_addc_u32 s13, s3, s21
	s_mul_i32 s2, s15, s6
	v_ashrrev_i32_e32 v4, 31, v3
	v_cndmask_b32_e32 v5, s4, v5, vcc_lo
	s_ashr_i32 s3, s2, 31
	s_delay_alu instid0(SALU_CYCLE_1) | instskip(NEXT) | instid1(VALU_DEP_2)
	s_lshl_b64 s[2:3], s[2:3], 1
	v_lshlrev_b64 v[3:4], 2, v[3:4]
	s_delay_alu instid0(VALU_DEP_2) | instskip(SKIP_3) | instid1(VALU_DEP_1)
	v_ashrrev_i32_e32 v6, 31, v5
	s_add_u32 s6, s8, s2
	s_addc_u32 s15, s9, s3
	s_lshl_b32 s8, s14, 3
	v_lshlrev_b64 v[5:6], 2, v[5:6]
	v_add_co_u32 v3, vcc_lo, s7, v3
	v_add_co_ci_u32_e32 v4, vcc_lo, s13, v4, vcc_lo
	s_ashr_i32 s9, s8, 31
	s_delay_alu instid0(VALU_DEP_3) | instskip(NEXT) | instid1(VALU_DEP_4)
	v_add_co_u32 v5, vcc_lo, s7, v5
	v_add_co_ci_u32_e32 v6, vcc_lo, s13, v6, vcc_lo
	s_clause 0x1
	global_load_b32 v7, v[3:4], off
	global_load_b32 v8, v[5:6], off
	s_lshl_b64 s[8:9], s[8:9], 2
	s_delay_alu instid0(SALU_CYCLE_1) | instskip(SKIP_2) | instid1(SALU_CYCLE_1)
	s_add_u32 s8, s7, s8
	s_addc_u32 s9, s13, s9
	s_or_b32 s16, s12, 32
	s_ashr_i32 s19, s16, 5
	s_cmp_lt_i32 s16, s17
	s_cselect_b32 s20, s19, s4
	s_delay_alu instid0(SALU_CYCLE_1) | instskip(NEXT) | instid1(SALU_CYCLE_1)
	s_ashr_i32 s21, s20, 31
	s_lshl_b64 s[20:21], s[20:21], 2
	s_delay_alu instid0(SALU_CYCLE_1) | instskip(SKIP_2) | instid1(SALU_CYCLE_1)
	s_add_u32 s20, s7, s20
	s_addc_u32 s21, s13, s21
	s_or_b32 s16, s12, 64
	s_ashr_i32 s19, s16, 5
	s_cmp_lt_i32 s16, s17
	s_cselect_b32 s22, s19, s4
	s_delay_alu instid0(SALU_CYCLE_1) | instskip(NEXT) | instid1(SALU_CYCLE_1)
	s_ashr_i32 s23, s22, 31
	;; [unrolled: 10-line block ×5, first 2 shown]
	s_lshl_b64 s[28:29], s[28:29], 2
	s_delay_alu instid0(SALU_CYCLE_1)
	s_add_u32 s28, s7, s28
	s_addc_u32 s29, s13, s29
	s_clause 0x5
	s_load_b32 s16, s[8:9], 0x0
	s_load_b32 s19, s[20:21], 0x0
	;; [unrolled: 1-line block ×6, first 2 shown]
	s_mov_b32 s20, 0
	s_delay_alu instid0(SALU_CYCLE_1)
	s_mov_b32 s27, s20
	s_mov_b32 s24, s20
	;; [unrolled: 1-line block ×7, first 2 shown]
	v_dual_mov_b32 v108, s27 :: v_dual_mov_b32 v105, s24
	v_dual_mov_b32 v107, s26 :: v_dual_mov_b32 v106, s25
	;; [unrolled: 1-line block ×4, first 2 shown]
	s_waitcnt lgkmcnt(0)
	s_mul_hi_i32 s29, s34, s5
	s_mul_i32 s28, s34, s5
	s_mul_hi_i32 s21, s16, s5
	s_mul_i32 s20, s16, s5
	s_mul_hi_i32 s23, s19, s5
	s_mul_i32 s22, s19, s5
	s_mul_hi_i32 s27, s33, s5
	s_mul_i32 s26, s33, s5
	s_mul_hi_i32 s37, s36, s5
	s_mul_i32 s36, s36, s5
	s_waitcnt vmcnt(1)
	v_mad_i64_i32 v[3:4], null, v7, s5, 0
	s_waitcnt vmcnt(0)
	v_mad_i64_i32 v[5:6], null, v8, s5, 0
	s_delay_alu instid0(VALU_DEP_2) | instskip(NEXT) | instid1(VALU_DEP_2)
	v_lshlrev_b64 v[3:4], 1, v[3:4]
	v_lshlrev_b64 v[1:2], 1, v[5:6]
	s_delay_alu instid0(VALU_DEP_2) | instskip(NEXT) | instid1(VALU_DEP_3)
	v_add_co_u32 v3, vcc_lo, s6, v3
	v_add_co_ci_u32_e32 v4, vcc_lo, s15, v4, vcc_lo
	s_delay_alu instid0(VALU_DEP_3) | instskip(NEXT) | instid1(VALU_DEP_4)
	v_add_co_u32 v1, vcc_lo, s6, v1
	v_add_co_ci_u32_e32 v2, vcc_lo, s15, v2, vcc_lo
	s_delay_alu instid0(VALU_DEP_4) | instskip(NEXT) | instid1(VALU_DEP_4)
	v_add_co_u32 v65, vcc_lo, v3, v81
	v_add_co_ci_u32_e32 v66, vcc_lo, v4, v82, vcc_lo
	s_delay_alu instid0(VALU_DEP_4) | instskip(NEXT) | instid1(VALU_DEP_4)
	v_add_co_u32 v76, vcc_lo, v1, v81
	v_add_co_ci_u32_e32 v77, vcc_lo, v2, v82, vcc_lo
	s_clause 0xf
	global_load_b128 v[1:4], v[65:66], off
	global_load_b128 v[5:8], v[65:66], off offset:512
	global_load_b128 v[9:12], v[76:77], off offset:256
	;; [unrolled: 1-line block ×15, first 2 shown]
	v_add_co_u32 v78, vcc_lo, 0x1000, v65
	v_add_co_ci_u32_e32 v79, vcc_lo, 0, v66, vcc_lo
	v_cmp_gt_u32_e32 vcc_lo, 11, v73
	s_clause 0x1
	global_load_b128 v[65:68], v[78:79], off
	global_load_b128 v[69:72], v[78:79], off offset:512
	s_or_b32 s6, s12, 0xc0
	v_cndmask_b32_e32 v80, v80, v73, vcc_lo
	v_add_co_u32 v76, vcc_lo, 0x1000, v76
	v_add_co_ci_u32_e32 v77, vcc_lo, 0, v77, vcc_lo
	s_delay_alu instid0(VALU_DEP_3)
	v_lshlrev_b32_e32 v80, 6, v80
	ds_load_b128 v[85:88], v80
	ds_load_b128 v[89:92], v80 offset:1024
	s_clause 0x1
	global_load_b128 v[93:96], v[76:77], off offset:256
	global_load_b128 v[97:100], v[76:77], off offset:768
	ds_load_b128 v[109:112], v80 offset:2048
	ds_load_b128 v[113:116], v80 offset:3072
	s_ashr_i32 s8, s6, 5
	s_cmp_lt_i32 s6, s17
	s_cselect_b32 s8, s8, s4
	s_delay_alu instid0(SALU_CYCLE_1) | instskip(NEXT) | instid1(SALU_CYCLE_1)
	s_ashr_i32 s9, s8, 31
	s_lshl_b64 s[8:9], s[8:9], 2
	s_delay_alu instid0(SALU_CYCLE_1) | instskip(SKIP_2) | instid1(SALU_CYCLE_1)
	s_add_u32 s8, s7, s8
	s_addc_u32 s9, s13, s9
	s_or_b32 s6, s12, 0xe0
	s_ashr_i32 s15, s6, 5
	s_cmp_lt_i32 s6, s17
	s_cselect_b32 s24, s15, s4
	s_delay_alu instid0(SALU_CYCLE_1) | instskip(NEXT) | instid1(SALU_CYCLE_1)
	s_ashr_i32 s25, s24, 31
	s_lshl_b64 s[24:25], s[24:25], 2
	s_delay_alu instid0(SALU_CYCLE_1) | instskip(SKIP_2) | instid1(SALU_CYCLE_1)
	s_add_u32 s24, s7, s24
	s_addc_u32 s25, s13, s25
	s_add_i32 s6, s12, 0x100
	s_ashr_i32 s15, s6, 5
	s_cmp_lt_i32 s6, s17
	s_cselect_b32 s34, s15, s4
	s_waitcnt vmcnt(18) lgkmcnt(2)
	v_wmma_f32_16x16x16_bf16 v[117:124], v[1:8], v[85:92], v[101:108]
	s_waitcnt vmcnt(16)
	v_wmma_f32_16x16x16_bf16 v[101:108], v[9:16], v[85:92], v[101:108]
	s_clause 0x3
	global_load_b128 v[1:4], v[78:79], off offset:1024
	global_load_b128 v[5:8], v[78:79], off offset:1536
	;; [unrolled: 1-line block ×4, first 2 shown]
	s_waitcnt vmcnt(18) lgkmcnt(0)
	v_wmma_f32_16x16x16_bf16 v[117:124], v[17:24], v[109:116], v[117:124]
	s_clause 0x1
	global_load_b128 v[17:20], v[78:79], off offset:2048
	global_load_b128 v[21:24], v[78:79], off offset:2560
	s_waitcnt vmcnt(18)
	v_wmma_f32_16x16x16_bf16 v[101:108], v[25:32], v[109:116], v[101:108]
	ds_load_b128 v[25:28], v80 offset:4096
	ds_load_b128 v[29:32], v80 offset:5120
	s_clause 0x5
	global_load_b128 v[109:112], v[76:77], off offset:2304
	global_load_b128 v[113:116], v[76:77], off offset:2816
	;; [unrolled: 1-line block ×6, first 2 shown]
	s_waitcnt vmcnt(22) lgkmcnt(0)
	v_wmma_f32_16x16x16_bf16 v[117:124], v[33:40], v[25:32], v[117:124]
	s_waitcnt vmcnt(20)
	v_wmma_f32_16x16x16_bf16 v[101:108], v[41:48], v[25:32], v[101:108]
	ds_load_b128 v[25:28], v80 offset:6144
	ds_load_b128 v[29:32], v80 offset:7168
	;; [unrolled: 1-line block ×4, first 2 shown]
	s_waitcnt vmcnt(18) lgkmcnt(2)
	v_wmma_f32_16x16x16_bf16 v[117:124], v[49:56], v[25:32], v[117:124]
	s_waitcnt vmcnt(16)
	v_wmma_f32_16x16x16_bf16 v[101:108], v[57:64], v[25:32], v[101:108]
	ds_load_b128 v[25:28], v80 offset:10240
	ds_load_b128 v[29:32], v80 offset:11264
	;; [unrolled: 1-line block ×6, first 2 shown]
	s_waitcnt vmcnt(14) lgkmcnt(6)
	v_wmma_f32_16x16x16_bf16 v[117:124], v[65:72], v[33:40], v[117:124]
	s_load_b32 s16, s[8:9], 0x0
	s_mul_hi_i32 s9, s35, s5
	s_mul_i32 s8, s35, s5
	s_ashr_i32 s35, s34, 31
	s_waitcnt vmcnt(12)
	v_wmma_f32_16x16x16_bf16 v[101:108], v[93:100], v[33:40], v[101:108]
	s_lshl_b64 s[34:35], s[34:35], 2
	s_delay_alu instid0(SALU_CYCLE_1)
	s_add_u32 s6, s7, s34
	s_addc_u32 s7, s13, s35
	s_add_u32 s4, s10, s2
	s_addc_u32 s19, s11, s3
	s_lshl_b64 s[2:3], s[20:21], 1
	s_clause 0x1
	s_load_b32 s13, s[24:25], 0x0
	s_load_b32 s15, s[6:7], 0x0
	s_lshl_b64 s[6:7], s[22:23], 1
	s_lshl_b64 s[10:11], s[26:27], 1
	;; [unrolled: 1-line block ×5, first 2 shown]
	s_waitcnt lgkmcnt(0)
	s_mul_hi_i32 s25, s16, s5
	s_mul_i32 s24, s16, s5
	s_waitcnt vmcnt(10)
	v_wmma_f32_16x16x16_bf16 v[117:124], v[1:8], v[25:32], v[117:124]
	s_waitcnt vmcnt(8)
	v_wmma_f32_16x16x16_bf16 v[101:108], v[9:16], v[25:32], v[101:108]
	s_waitcnt vmcnt(6)
	s_delay_alu instid0(VALU_DEP_2) | instskip(SKIP_1) | instid1(VALU_DEP_2)
	v_wmma_f32_16x16x16_bf16 v[117:124], v[17:24], v[141:148], v[117:124]
	s_waitcnt vmcnt(4)
	v_wmma_f32_16x16x16_bf16 v[101:108], v[109:116], v[141:148], v[101:108]
	s_waitcnt vmcnt(2)
	s_delay_alu instid0(VALU_DEP_2) | instskip(SKIP_3) | instid1(VALU_DEP_3)
	v_wmma_f32_16x16x16_bf16 v[117:124], v[125:132], v[149:156], v[117:124]
	v_lshlrev_b32_e32 v85, 6, v73
	s_waitcnt vmcnt(0)
	v_wmma_f32_16x16x16_bf16 v[101:108], v[133:140], v[149:156], v[101:108]
	v_mul_f32_e32 v100, s18, v124
	s_delay_alu instid0(VALU_DEP_3) | instskip(SKIP_2) | instid1(VALU_DEP_3)
	v_lshl_or_b32 v41, v74, 10, v85
	v_mul_f32_e32 v99, s18, v118
	v_mul_f32_e32 v97, s18, v117
	v_add_co_u32 v76, s4, s4, v41
	s_delay_alu instid0(VALU_DEP_1) | instskip(NEXT) | instid1(VALU_DEP_2)
	v_add_co_ci_u32_e64 v77, null, s19, 0, s4
	v_add_co_u32 v41, vcc_lo, v76, s2
	s_delay_alu instid0(VALU_DEP_2)
	v_add_co_ci_u32_e32 v42, vcc_lo, s3, v77, vcc_lo
	v_add_co_u32 v33, vcc_lo, v76, s6
	v_add_co_ci_u32_e32 v34, vcc_lo, s7, v77, vcc_lo
	v_add_co_u32 v35, vcc_lo, v76, s10
	;; [unrolled: 2-line block ×5, first 2 shown]
	s_lshl_b64 s[2:3], s[24:25], 1
	v_add_co_ci_u32_e32 v6, vcc_lo, s23, v77, vcc_lo
	s_mul_hi_i32 s7, s13, s5
	s_mul_i32 s6, s13, s5
	v_add_co_u32 v17, vcc_lo, v76, s2
	v_add_co_ci_u32_e32 v18, vcc_lo, s3, v77, vcc_lo
	s_lshl_b64 s[2:3], s[6:7], 1
	s_mul_hi_i32 s7, s15, s5
	s_mul_i32 s6, s15, s5
	v_add_co_u32 v19, vcc_lo, v76, s2
	v_add_co_ci_u32_e32 v20, vcc_lo, s3, v77, vcc_lo
	s_lshl_b64 s[2:3], s[6:7], 1
	s_clause 0x1
	global_load_b128 v[65:68], v[41:42], off
	global_load_b128 v[69:72], v[41:42], off offset:16
	v_add_co_u32 v21, vcc_lo, v76, s2
	v_add_co_ci_u32_e32 v22, vcc_lo, s3, v77, vcc_lo
	s_clause 0xf
	global_load_b128 v[57:60], v[33:34], off
	global_load_b128 v[61:64], v[33:34], off offset:16
	global_load_b128 v[49:52], v[35:36], off
	global_load_b128 v[53:56], v[35:36], off offset:16
	;; [unrolled: 2-line block ×8, first 2 shown]
	v_mbcnt_lo_u32_b32 v77, -1, 0
	s_waitcnt vmcnt(0)
	s_barrier
	buffer_gl0_inv
	v_xor_b32_e32 v78, 16, v77
	s_delay_alu instid0(VALU_DEP_1) | instskip(SKIP_1) | instid1(VALU_DEP_1)
	v_cmp_gt_i32_e32 vcc_lo, 32, v78
	v_dual_cndmask_b32 v77, v77, v78 :: v_dual_and_b32 v76, 0xe0, v0
	v_add_nc_u32_e32 v76, s12, v76
	s_delay_alu instid0(VALU_DEP_1) | instskip(NEXT) | instid1(VALU_DEP_1)
	v_or_b32_e32 v76, v76, v83
	v_or_b32_e32 v78, 2, v76
	;; [unrolled: 1-line block ×4, first 2 shown]
	v_cmp_gt_i32_e32 vcc_lo, s17, v76
	v_or_b32_e32 v86, 8, v76
	v_cmp_gt_i32_e64 s2, s17, v78
	v_or_b32_e32 v87, 10, v76
	v_or_b32_e32 v88, 12, v76
	;; [unrolled: 1-line block ×11, first 2 shown]
	v_cndmask_b32_e32 v76, 0xff7fffff, v97, vcc_lo
	v_cmp_gt_i32_e64 s3, s17, v80
	v_mul_f32_e32 v80, s18, v119
	v_cndmask_b32_e64 v78, 0xff7fffff, v99, s2
	v_mul_f32_e32 v99, s18, v120
	v_cmp_gt_i32_e64 s4, s17, v79
	v_mul_f32_e32 v97, s18, v123
	v_mul_f32_e32 v79, s18, v122
	v_max3_f32 v76, v76, 0xff7fffff, v78
	v_mul_f32_e32 v78, s18, v121
	v_cndmask_b32_e64 v80, 0xff7fffff, v80, s4
	v_cmp_gt_i32_e64 s5, s17, v86
	v_cmp_gt_i32_e64 s6, s17, v87
	v_mul_f32_e32 v86, s18, v107
	v_cndmask_b32_e64 v99, 0xff7fffff, v99, s3
	v_cmp_gt_i32_e64 s7, s17, v89
	v_cndmask_b32_e64 v78, 0xff7fffff, v78, s5
	v_cmp_gt_i32_e64 s8, s17, v88
	v_mul_f32_e32 v89, s18, v101
	v_max3_f32 v76, v76, v80, v99
	v_mul_f32_e32 v80, s18, v108
	v_cndmask_b32_e64 v79, 0xff7fffff, v79, s6
	v_dual_mul_f32 v99, s18, v105 :: v_dual_mul_f32 v88, s18, v102
	v_cndmask_b32_e64 v97, 0xff7fffff, v97, s8
	v_cndmask_b32_e64 v100, 0xff7fffff, v100, s7
	s_delay_alu instid0(VALU_DEP_4) | instskip(SKIP_4) | instid1(VALU_DEP_4)
	v_max3_f32 v76, v76, v78, v79
	v_cmp_gt_i32_e64 s9, s17, v90
	v_cmp_gt_i32_e64 s10, s17, v91
	v_dual_mul_f32 v87, s18, v106 :: v_dual_mul_f32 v78, s18, v104
	v_mul_f32_e32 v79, s18, v103
	v_cndmask_b32_e64 v89, 0xff7fffff, v89, s9
	s_delay_alu instid0(VALU_DEP_4)
	v_cndmask_b32_e64 v88, 0xff7fffff, v88, s10
	v_max3_f32 v76, v76, v97, v100
	v_cmp_gt_i32_e64 s11, s17, v92
	v_cmp_gt_i32_e64 s12, s17, v93
	;; [unrolled: 1-line block ×4, first 2 shown]
	v_max3_f32 v76, v76, v89, v88
	v_cndmask_b32_e64 v79, 0xff7fffff, v79, s11
	v_cndmask_b32_e64 v78, 0xff7fffff, v78, s12
	;; [unrolled: 1-line block ×4, first 2 shown]
	v_cmp_gt_i32_e64 s16, s17, v96
	v_cmp_gt_i32_e64 s17, s17, v98
	v_max3_f32 v76, v76, v79, v78
	v_lshlrev_b32_e32 v99, 2, v77
	s_delay_alu instid0(VALU_DEP_4) | instskip(NEXT) | instid1(VALU_DEP_4)
	v_cndmask_b32_e64 v78, 0xff7fffff, v86, s16
	v_cndmask_b32_e64 v79, 0xff7fffff, v80, s17
	s_delay_alu instid0(VALU_DEP_4) | instskip(NEXT) | instid1(VALU_DEP_1)
	v_max3_f32 v76, v76, v88, v87
	v_max3_f32 v76, v76, v78, v79
	ds_bpermute_b32 v77, v99, v76
	s_waitcnt lgkmcnt(0)
	v_max_f32_e32 v77, v77, v77
	s_delay_alu instid0(VALU_DEP_1) | instskip(NEXT) | instid1(VALU_DEP_1)
	v_max_f32_e32 v76, v76, v77
	v_fma_f32 v78, s18, v118, -v76
	v_fma_f32 v77, s18, v117, -v76
	;; [unrolled: 1-line block ×5, first 2 shown]
	v_mul_f32_e32 v78, 0x3fb8aa3b, v78
	v_fma_f32 v87, s18, v123, -v76
	v_fma_f32 v88, s18, v105, -v76
	v_mul_f32_e32 v80, 0x3fb8aa3b, v80
	v_mul_f32_e32 v86, 0x3fb8aa3b, v86
	v_exp_f32_e32 v78, v78
	v_fma_f32 v90, s18, v107, -v76
	v_fma_f32 v100, s18, v108, -v76
	v_exp_f32_e32 v80, v80
	v_exp_f32_e32 v86, v86
	v_mul_f32_e32 v88, 0x3fb8aa3b, v88
	s_delay_alu instid0(VALU_DEP_2) | instskip(NEXT) | instid1(TRANS32_DEP_3)
	v_mul_f32_e32 v100, 0x3fb8aa3b, v100
	v_cndmask_b32_e64 v91, 0, v78, s2
	v_mul_f32_e32 v77, 0x3fb8aa3b, v77
	s_delay_alu instid0(VALU_DEP_4) | instskip(NEXT) | instid1(TRANS32_DEP_3)
	v_exp_f32_e32 v88, v88
	v_cndmask_b32_e64 v95, 0, v80, s3
	v_fma_f32 v80, s18, v101, -v76
	s_delay_alu instid0(TRANS32_DEP_2)
	v_cndmask_b32_e64 v96, 0, v86, s5
	v_exp_f32_e32 v77, v77
	v_mul_f32_e32 v79, 0x3fb8aa3b, v79
	v_fma_f32 v86, s18, v102, -v76
	v_mul_f32_e32 v80, 0x3fb8aa3b, v80
	v_cmp_gt_u32_e64 s2, 16, v75
	v_exp_f32_e32 v100, v100
	s_delay_alu instid0(VALU_DEP_2) | instskip(NEXT) | instid1(TRANS32_DEP_3)
	v_exp_f32_e32 v80, v80
	v_cndmask_b32_e32 v92, 0, v77, vcc_lo
	v_exp_f32_e32 v79, v79
	v_fma_f32 v77, s18, v122, -v76
	s_delay_alu instid0(VALU_DEP_2) | instskip(NEXT) | instid1(VALU_DEP_1)
	v_add_f32_e32 v78, 0, v92
	v_add_f32_e32 v78, v78, v91
	s_waitcnt_depctr 0xfff
	v_cndmask_b32_e64 v93, 0, v79, s4
	v_mul_f32_e32 v87, 0x3fb8aa3b, v87
	v_fma_f32 v79, s18, v124, -v76
	s_delay_alu instid0(VALU_DEP_3) | instskip(SKIP_1) | instid1(VALU_DEP_3)
	v_add_f32_e32 v78, v78, v93
	v_mul_f32_e32 v77, 0x3fb8aa3b, v77
	v_mul_f32_e32 v79, 0x3fb8aa3b, v79
	v_exp_f32_e32 v87, v87
	s_delay_alu instid0(VALU_DEP_3) | instskip(NEXT) | instid1(VALU_DEP_3)
	v_add_f32_e32 v78, v78, v95
	v_exp_f32_e32 v77, v77
	s_delay_alu instid0(VALU_DEP_2) | instskip(NEXT) | instid1(TRANS32_DEP_3)
	v_exp_f32_e32 v79, v79
	v_cndmask_b32_e64 v94, 0, v87, s8
	v_fma_f32 v87, s18, v104, -v76
	s_waitcnt_depctr 0xfff
	v_cndmask_b32_e64 v97, 0, v77, s6
	v_add_f32_e32 v77, v78, v96
	v_fma_f32 v78, s18, v103, -v76
	v_mul_f32_e32 v86, 0x3fb8aa3b, v86
	v_cndmask_b32_e64 v98, 0, v79, s7
	v_mul_f32_e32 v87, 0x3fb8aa3b, v87
	s_delay_alu instid0(VALU_DEP_4) | instskip(NEXT) | instid1(VALU_DEP_4)
	v_dual_add_f32 v77, v77, v97 :: v_dual_mul_f32 v78, 0x3fb8aa3b, v78
	v_exp_f32_e32 v86, v86
	s_delay_alu instid0(VALU_DEP_2) | instskip(NEXT) | instid1(VALU_DEP_1)
	v_exp_f32_e32 v87, v87
	v_add_f32_e32 v79, v77, v94
	s_delay_alu instid0(VALU_DEP_2) | instskip(SKIP_2) | instid1(VALU_DEP_3)
	v_exp_f32_e32 v89, v78
	v_cndmask_b32_e64 v77, 0, v80, s9
	v_fma_f32 v80, s18, v106, -v76
	v_add_f32_e32 v79, v79, v98
	s_delay_alu instid0(TRANS32_DEP_3) | instskip(NEXT) | instid1(VALU_DEP_3)
	v_cndmask_b32_e64 v78, 0, v86, s10
	v_mul_f32_e32 v80, 0x3fb8aa3b, v80
	s_delay_alu instid0(VALU_DEP_3) | instskip(NEXT) | instid1(TRANS32_DEP_1)
	v_add_f32_e32 v86, v79, v77
	v_cndmask_b32_e64 v79, 0, v89, s11
	v_mul_f32_e32 v89, 0x3fb8aa3b, v90
	s_delay_alu instid0(VALU_DEP_4) | instskip(SKIP_2) | instid1(VALU_DEP_3)
	v_exp_f32_e32 v90, v80
	v_cndmask_b32_e64 v80, 0, v87, s12
	v_add_f32_e32 v86, v86, v78
	v_exp_f32_e32 v89, v89
	s_delay_alu instid0(VALU_DEP_1) | instskip(SKIP_1) | instid1(VALU_DEP_2)
	v_add_f32_e32 v87, v86, v79
	v_cndmask_b32_e64 v86, 0, v88, s13
	v_add_f32_e32 v88, v87, v80
	s_delay_alu instid0(TRANS32_DEP_2) | instskip(NEXT) | instid1(VALU_DEP_2)
	v_cndmask_b32_e64 v87, 0, v90, s15
	v_add_f32_e32 v90, v88, v86
	s_waitcnt_depctr 0xfff
	v_cndmask_b32_e64 v88, 0, v89, s16
	v_add_f32_e32 v89, v90, v87
	s_delay_alu instid0(VALU_DEP_1) | instskip(SKIP_1) | instid1(VALU_DEP_1)
	v_add_f32_e32 v90, v89, v88
	v_cndmask_b32_e64 v89, 0, v100, s17
	v_add_f32_e32 v90, v90, v89
	ds_bpermute_b32 v99, v99, v90
	s_and_saveexec_b32 s3, s2
	s_cbranch_execz .LBB760_14
; %bb.13:
	v_mul_u32_u24_e32 v75, 0x44, v74
	s_waitcnt lgkmcnt(0)
	v_add_f32_e32 v90, v90, v99
	s_delay_alu instid0(VALU_DEP_2) | instskip(NEXT) | instid1(VALU_DEP_1)
	v_lshl_add_u32 v75, v73, 2, v75
	v_add_nc_u32_e32 v75, 0x4000, v75
	ds_store_2addr_b32 v75, v76, v90 offset1:136
.LBB760_14:
	s_or_b32 exec_lo, exec_lo, s3
	v_lshlrev_b32_e32 v75, 2, v73
	s_waitcnt lgkmcnt(0)
	s_barrier
	buffer_gl0_inv
	v_cmp_eq_u32_e64 s3, 1, v74
	v_add_nc_u32_e32 v90, 0x4000, v75
	ds_load_2addr_b32 v[99:100], v90 offset1:17
	ds_load_2addr_b32 v[101:102], v90 offset0:34 offset1:51
	ds_load_2addr_b32 v[103:104], v90 offset0:68 offset1:85
	;; [unrolled: 1-line block ×4, first 2 shown]
	s_waitcnt lgkmcnt(4)
	v_max3_f32 v75, v99, 0xff7fffff, v100
	s_waitcnt lgkmcnt(3)
	s_delay_alu instid0(VALU_DEP_1) | instskip(SKIP_1) | instid1(VALU_DEP_1)
	v_max3_f32 v75, v75, v101, v102
	s_waitcnt lgkmcnt(2)
	v_max3_f32 v75, v75, v103, v104
	s_waitcnt lgkmcnt(1)
	s_delay_alu instid0(VALU_DEP_1) | instskip(NEXT) | instid1(VALU_DEP_1)
	v_max3_f32 v75, v75, v105, v106
	v_sub_f32_e32 v109, v100, v75
	v_sub_f32_e32 v76, v99, v75
	ds_load_2addr_b32 v[99:100], v90 offset0:170 offset1:187
	v_sub_f32_e32 v101, v101, v75
	v_dual_mul_f32 v109, 0x3fb8aa3b, v109 :: v_dual_mul_f32 v76, 0x3fb8aa3b, v76
	s_delay_alu instid0(VALU_DEP_2) | instskip(NEXT) | instid1(VALU_DEP_2)
	v_mul_f32_e32 v111, 0x3fb8aa3b, v101
	v_exp_f32_e32 v109, v109
	s_delay_alu instid0(VALU_DEP_2)
	v_exp_f32_e32 v110, v76
	v_sub_f32_e32 v76, v102, v75
	ds_load_2addr_b32 v[101:102], v90 offset0:204 offset1:221
	v_exp_f32_e32 v111, v111
	v_mul_f32_e32 v112, 0x3fb8aa3b, v76
	s_waitcnt lgkmcnt(2)
	v_fma_f32 v76, v110, v107, 0
	v_sub_f32_e32 v103, v103, v75
	s_delay_alu instid0(VALU_DEP_3) | instskip(NEXT) | instid1(VALU_DEP_2)
	v_exp_f32_e32 v112, v112
	v_dual_sub_f32 v107, v104, v75 :: v_dual_fmac_f32 v76, v109, v108
	s_waitcnt lgkmcnt(1)
	s_waitcnt_depctr 0xfff
	v_fmac_f32_e32 v76, v111, v99
	v_mul_f32_e32 v113, 0x3fb8aa3b, v103
	ds_load_2addr_b32 v[103:104], v90 offset0:238 offset1:255
	v_sub_f32_e32 v90, v105, v75
	v_dual_sub_f32 v99, v106, v75 :: v_dual_fmac_f32 v76, v112, v100
	v_mul_f32_e32 v105, 0x3fb8aa3b, v107
	v_exp_f32_e32 v107, v113
	s_delay_alu instid0(VALU_DEP_2)
	v_dual_mul_f32 v90, 0x3fb8aa3b, v90 :: v_dual_mul_f32 v99, 0x3fb8aa3b, v99
	s_waitcnt lgkmcnt(0)
	s_barrier
	buffer_gl0_inv
	v_exp_f32_e32 v90, v90
	v_exp_f32_e32 v99, v99
	v_fmac_f32_e32 v76, v107, v101
	v_exp_f32_e32 v105, v105
	s_waitcnt_depctr 0xfff
	v_fmac_f32_e32 v76, v105, v102
	s_delay_alu instid0(VALU_DEP_1) | instskip(NEXT) | instid1(VALU_DEP_1)
	v_fmac_f32_e32 v76, v90, v103
	v_fmac_f32_e32 v76, v99, v104
	s_delay_alu instid0(VALU_DEP_1) | instskip(NEXT) | instid1(VALU_DEP_1)
	v_add_f32_e32 v100, 0x358637bd, v76
	v_div_scale_f32 v101, null, v100, v100, 1.0
	v_div_scale_f32 v104, vcc_lo, 1.0, v100, 1.0
	s_delay_alu instid0(VALU_DEP_2) | instskip(SKIP_2) | instid1(VALU_DEP_1)
	v_rcp_f32_e32 v102, v101
	s_waitcnt_depctr 0xfff
	v_fma_f32 v103, -v101, v102, 1.0
	v_fmac_f32_e32 v102, v103, v102
	v_cndmask_b32_e64 v103, v110, v109, s3
	v_cmp_eq_u32_e64 s3, 2, v74
	s_delay_alu instid0(VALU_DEP_3) | instskip(NEXT) | instid1(VALU_DEP_2)
	v_mul_f32_e32 v106, v104, v102
	v_cndmask_b32_e64 v103, v103, v111, s3
	v_cmp_eq_u32_e64 s3, 3, v74
	s_delay_alu instid0(VALU_DEP_3) | instskip(NEXT) | instid1(VALU_DEP_2)
	v_fma_f32 v108, -v101, v106, v104
	v_cndmask_b32_e64 v103, v103, v112, s3
	v_cmp_eq_u32_e64 s3, 4, v74
	s_delay_alu instid0(VALU_DEP_3) | instskip(NEXT) | instid1(VALU_DEP_2)
	v_fmac_f32_e32 v106, v108, v102
	v_cndmask_b32_e64 v103, v103, v107, s3
	s_delay_alu instid0(VALU_DEP_2) | instskip(SKIP_1) | instid1(VALU_DEP_2)
	v_fma_f32 v101, -v101, v106, v104
	v_cmp_eq_u32_e64 s3, 5, v74
	v_div_fmas_f32 v101, v101, v102, v106
	s_delay_alu instid0(VALU_DEP_2) | instskip(SKIP_2) | instid1(VALU_DEP_3)
	v_cndmask_b32_e64 v103, v103, v105, s3
	v_cmp_eq_u32_e32 vcc_lo, 6, v74
	s_mov_b32 s3, exec_lo
	v_div_fixup_f32 v100, v101, v100, 1.0
	s_delay_alu instid0(VALU_DEP_3) | instskip(SKIP_1) | instid1(VALU_DEP_2)
	v_cndmask_b32_e32 v90, v103, v90, vcc_lo
	v_cmp_eq_u32_e32 vcc_lo, 7, v74
	v_cndmask_b32_e32 v90, v90, v99, vcc_lo
	s_delay_alu instid0(VALU_DEP_1) | instskip(NEXT) | instid1(VALU_DEP_1)
	v_mul_f32_e32 v90, v90, v100
	v_mul_f32_e32 v100, v90, v92
	;; [unrolled: 1-line block ×6, first 2 shown]
	v_and_b32_e32 v101, 0x7f800000, v100
	v_mul_f32_e32 v99, v90, v95
	v_mul_f32_e32 v95, v90, v91
	;; [unrolled: 1-line block ×3, first 2 shown]
                                        ; implicit-def: $vgpr91
	s_delay_alu instid0(VALU_DEP_4)
	v_cmpx_ne_u32_e32 0x7f800000, v101
	s_xor_b32 s3, exec_lo, s3
; %bb.15:
	v_bfe_u32 v91, v100, 16, 1
	s_delay_alu instid0(VALU_DEP_1)
	v_add3_u32 v91, v100, v91, 0x7fff
                                        ; implicit-def: $vgpr100
; %bb.16:
	s_and_not1_saveexec_b32 s3, s3
; %bb.17:
	v_and_b32_e32 v91, 0xffff, v100
	v_or_b32_e32 v93, 0x10000, v100
	s_delay_alu instid0(VALU_DEP_2) | instskip(NEXT) | instid1(VALU_DEP_2)
	v_cmp_eq_u32_e32 vcc_lo, 0, v91
	v_cndmask_b32_e32 v91, v93, v100, vcc_lo
; %bb.18:
	s_or_b32 exec_lo, exec_lo, s3
	v_and_b32_e32 v93, 0x7f800000, v95
	s_delay_alu instid0(VALU_DEP_1) | instskip(SKIP_1) | instid1(SALU_CYCLE_1)
	v_cmp_ne_u32_e32 vcc_lo, 0x7f800000, v93
                                        ; implicit-def: $vgpr93
	s_and_saveexec_b32 s3, vcc_lo
	s_xor_b32 s3, exec_lo, s3
; %bb.19:
	v_bfe_u32 v93, v95, 16, 1
	s_delay_alu instid0(VALU_DEP_1)
	v_add3_u32 v93, v95, v93, 0x7fff
                                        ; implicit-def: $vgpr95
; %bb.20:
	s_and_not1_saveexec_b32 s3, s3
; %bb.21:
	v_and_b32_e32 v93, 0xffff, v95
	v_or_b32_e32 v100, 0x10000, v95
	s_delay_alu instid0(VALU_DEP_2) | instskip(NEXT) | instid1(VALU_DEP_2)
	v_cmp_eq_u32_e32 vcc_lo, 0, v93
	v_cndmask_b32_e32 v93, v100, v95, vcc_lo
; %bb.22:
	s_or_b32 exec_lo, exec_lo, s3
	v_and_b32_e32 v95, 0x7f800000, v96
	s_delay_alu instid0(VALU_DEP_1) | instskip(SKIP_1) | instid1(SALU_CYCLE_1)
	v_cmp_ne_u32_e32 vcc_lo, 0x7f800000, v95
                                        ; implicit-def: $vgpr95
	s_and_saveexec_b32 s3, vcc_lo
	s_xor_b32 s3, exec_lo, s3
; %bb.23:
	v_bfe_u32 v95, v96, 16, 1
	s_delay_alu instid0(VALU_DEP_1)
	v_add3_u32 v95, v96, v95, 0x7fff
                                        ; implicit-def: $vgpr96
; %bb.24:
	s_and_not1_saveexec_b32 s3, s3
; %bb.25:
	v_and_b32_e32 v95, 0xffff, v96
	v_or_b32_e32 v100, 0x10000, v96
	s_delay_alu instid0(VALU_DEP_2) | instskip(NEXT) | instid1(VALU_DEP_2)
	v_cmp_eq_u32_e32 vcc_lo, 0, v95
	v_cndmask_b32_e32 v95, v100, v96, vcc_lo
; %bb.26:
	s_or_b32 exec_lo, exec_lo, s3
	v_and_b32_e32 v96, 0x7f800000, v99
	s_delay_alu instid0(VALU_DEP_1) | instskip(SKIP_1) | instid1(SALU_CYCLE_1)
	v_cmp_ne_u32_e32 vcc_lo, 0x7f800000, v96
                                        ; implicit-def: $vgpr96
	s_and_saveexec_b32 s3, vcc_lo
	s_xor_b32 s3, exec_lo, s3
; %bb.27:
	v_bfe_u32 v96, v99, 16, 1
	s_delay_alu instid0(VALU_DEP_1)
	v_add3_u32 v96, v99, v96, 0x7fff
                                        ; implicit-def: $vgpr99
; %bb.28:
	s_and_not1_saveexec_b32 s3, s3
; %bb.29:
	v_and_b32_e32 v96, 0xffff, v99
	v_or_b32_e32 v100, 0x10000, v99
	s_delay_alu instid0(VALU_DEP_2) | instskip(NEXT) | instid1(VALU_DEP_2)
	v_cmp_eq_u32_e32 vcc_lo, 0, v96
	v_cndmask_b32_e32 v96, v100, v99, vcc_lo
; %bb.30:
	s_or_b32 exec_lo, exec_lo, s3
	v_and_b32_e32 v99, 0x7f800000, v98
	s_delay_alu instid0(VALU_DEP_1) | instskip(SKIP_1) | instid1(SALU_CYCLE_1)
	v_cmp_ne_u32_e32 vcc_lo, 0x7f800000, v99
                                        ; implicit-def: $vgpr99
	s_and_saveexec_b32 s3, vcc_lo
	s_xor_b32 s3, exec_lo, s3
; %bb.31:
	v_bfe_u32 v99, v98, 16, 1
	s_delay_alu instid0(VALU_DEP_1)
	v_add3_u32 v99, v98, v99, 0x7fff
                                        ; implicit-def: $vgpr98
; %bb.32:
	s_and_not1_saveexec_b32 s3, s3
; %bb.33:
	v_and_b32_e32 v99, 0xffff, v98
	v_or_b32_e32 v100, 0x10000, v98
	s_delay_alu instid0(VALU_DEP_2) | instskip(NEXT) | instid1(VALU_DEP_2)
	v_cmp_eq_u32_e32 vcc_lo, 0, v99
	v_cndmask_b32_e32 v99, v100, v98, vcc_lo
; %bb.34:
	s_or_b32 exec_lo, exec_lo, s3
	v_and_b32_e32 v98, 0x7f800000, v97
	s_delay_alu instid0(VALU_DEP_1) | instskip(SKIP_1) | instid1(SALU_CYCLE_1)
	v_cmp_ne_u32_e32 vcc_lo, 0x7f800000, v98
                                        ; implicit-def: $vgpr98
	s_and_saveexec_b32 s3, vcc_lo
	s_xor_b32 s3, exec_lo, s3
; %bb.35:
	v_bfe_u32 v98, v97, 16, 1
	s_delay_alu instid0(VALU_DEP_1)
	v_add3_u32 v98, v97, v98, 0x7fff
                                        ; implicit-def: $vgpr97
; %bb.36:
	s_and_not1_saveexec_b32 s3, s3
; %bb.37:
	v_and_b32_e32 v98, 0xffff, v97
	v_or_b32_e32 v100, 0x10000, v97
	s_delay_alu instid0(VALU_DEP_2) | instskip(NEXT) | instid1(VALU_DEP_2)
	v_cmp_eq_u32_e32 vcc_lo, 0, v98
	v_cndmask_b32_e32 v98, v100, v97, vcc_lo
; %bb.38:
	s_or_b32 exec_lo, exec_lo, s3
	v_and_b32_e32 v97, 0x7f800000, v94
	s_delay_alu instid0(VALU_DEP_1) | instskip(SKIP_1) | instid1(SALU_CYCLE_1)
	v_cmp_ne_u32_e32 vcc_lo, 0x7f800000, v97
                                        ; implicit-def: $vgpr97
	s_and_saveexec_b32 s3, vcc_lo
	s_xor_b32 s3, exec_lo, s3
; %bb.39:
	v_bfe_u32 v97, v94, 16, 1
	s_delay_alu instid0(VALU_DEP_1)
	v_add3_u32 v97, v94, v97, 0x7fff
                                        ; implicit-def: $vgpr94
; %bb.40:
	s_and_not1_saveexec_b32 s3, s3
; %bb.41:
	v_and_b32_e32 v97, 0xffff, v94
	v_or_b32_e32 v100, 0x10000, v94
	s_delay_alu instid0(VALU_DEP_2) | instskip(NEXT) | instid1(VALU_DEP_2)
	v_cmp_eq_u32_e32 vcc_lo, 0, v97
	v_cndmask_b32_e32 v97, v100, v94, vcc_lo
; %bb.42:
	s_or_b32 exec_lo, exec_lo, s3
	v_and_b32_e32 v94, 0x7f800000, v92
	s_delay_alu instid0(VALU_DEP_1) | instskip(SKIP_1) | instid1(SALU_CYCLE_1)
	v_cmp_ne_u32_e32 vcc_lo, 0x7f800000, v94
                                        ; implicit-def: $vgpr94
	s_and_saveexec_b32 s3, vcc_lo
	s_xor_b32 s3, exec_lo, s3
; %bb.43:
	v_bfe_u32 v94, v92, 16, 1
	s_delay_alu instid0(VALU_DEP_1)
	v_add3_u32 v94, v92, v94, 0x7fff
                                        ; implicit-def: $vgpr92
; %bb.44:
	s_and_not1_saveexec_b32 s3, s3
; %bb.45:
	v_and_b32_e32 v94, 0xffff, v92
	v_or_b32_e32 v100, 0x10000, v92
	s_delay_alu instid0(VALU_DEP_2) | instskip(NEXT) | instid1(VALU_DEP_2)
	v_cmp_eq_u32_e32 vcc_lo, 0, v94
	v_cndmask_b32_e32 v94, v100, v92, vcc_lo
; %bb.46:
	s_or_b32 exec_lo, exec_lo, s3
	s_load_b64 s[34:35], s[0:1], 0x94
	v_lshlrev_b32_e32 v92, 4, v83
	s_delay_alu instid0(VALU_DEP_2)
	v_perm_b32 v100, v94, v97, 0x7060302
	v_dual_mul_f32 v89, v90, v89 :: v_dual_lshlrev_b32 v94, 11, v74
	v_perm_b32 v97, v93, v91, 0x7060302
	v_mul_f32_e32 v93, v90, v77
	v_perm_b32 v99, v98, v99, 0x7060302
	v_perm_b32 v98, v96, v95, 0x7060302
	v_or3_b32 v77, v92, v94, v85
	v_mul_f32_e32 v88, v90, v88
	v_dual_mul_f32 v87, v90, v87 :: v_dual_and_b32 v94, 0x7f800000, v93
	v_mul_f32_e32 v86, v90, v86
	v_mul_f32_e32 v91, v90, v80
	;; [unrolled: 1-line block ×4, first 2 shown]
	s_mov_b32 s3, exec_lo
	ds_store_b128 v77, v[97:100]
                                        ; implicit-def: $vgpr78
	v_cmpx_ne_u32_e32 0x7f800000, v94
	s_xor_b32 s3, exec_lo, s3
; %bb.47:
	v_bfe_u32 v78, v93, 16, 1
	s_delay_alu instid0(VALU_DEP_1)
	v_add3_u32 v78, v93, v78, 0x7fff
                                        ; implicit-def: $vgpr93
; %bb.48:
	s_and_not1_saveexec_b32 s3, s3
; %bb.49:
	v_and_b32_e32 v78, 0xffff, v93
	v_or_b32_e32 v79, 0x10000, v93
	s_delay_alu instid0(VALU_DEP_2) | instskip(NEXT) | instid1(VALU_DEP_2)
	v_cmp_eq_u32_e32 vcc_lo, 0, v78
	v_cndmask_b32_e32 v78, v79, v93, vcc_lo
; %bb.50:
	s_or_b32 exec_lo, exec_lo, s3
	v_and_b32_e32 v79, 0x7f800000, v80
	s_delay_alu instid0(VALU_DEP_1) | instskip(SKIP_1) | instid1(SALU_CYCLE_1)
	v_cmp_ne_u32_e32 vcc_lo, 0x7f800000, v79
                                        ; implicit-def: $vgpr79
	s_and_saveexec_b32 s3, vcc_lo
	s_xor_b32 s3, exec_lo, s3
; %bb.51:
	v_bfe_u32 v79, v80, 16, 1
	s_delay_alu instid0(VALU_DEP_1)
	v_add3_u32 v79, v80, v79, 0x7fff
                                        ; implicit-def: $vgpr80
; %bb.52:
	s_and_not1_saveexec_b32 s3, s3
; %bb.53:
	v_and_b32_e32 v79, 0xffff, v80
	v_or_b32_e32 v90, 0x10000, v80
	s_delay_alu instid0(VALU_DEP_2) | instskip(NEXT) | instid1(VALU_DEP_2)
	v_cmp_eq_u32_e32 vcc_lo, 0, v79
	v_cndmask_b32_e32 v79, v90, v80, vcc_lo
; %bb.54:
	s_or_b32 exec_lo, exec_lo, s3
	v_and_b32_e32 v80, 0x7f800000, v92
	s_delay_alu instid0(VALU_DEP_1) | instskip(SKIP_1) | instid1(SALU_CYCLE_1)
	v_cmp_ne_u32_e32 vcc_lo, 0x7f800000, v80
                                        ; implicit-def: $vgpr80
	s_and_saveexec_b32 s3, vcc_lo
	s_xor_b32 s3, exec_lo, s3
; %bb.55:
	v_bfe_u32 v80, v92, 16, 1
	s_delay_alu instid0(VALU_DEP_1)
	v_add3_u32 v80, v92, v80, 0x7fff
                                        ; implicit-def: $vgpr92
; %bb.56:
	s_and_not1_saveexec_b32 s3, s3
; %bb.57:
	v_and_b32_e32 v80, 0xffff, v92
	v_or_b32_e32 v90, 0x10000, v92
	s_delay_alu instid0(VALU_DEP_2) | instskip(NEXT) | instid1(VALU_DEP_2)
	v_cmp_eq_u32_e32 vcc_lo, 0, v80
	v_cndmask_b32_e32 v80, v90, v92, vcc_lo
; %bb.58:
	s_or_b32 exec_lo, exec_lo, s3
	v_and_b32_e32 v90, 0x7f800000, v91
	s_delay_alu instid0(VALU_DEP_1) | instskip(SKIP_1) | instid1(SALU_CYCLE_1)
	v_cmp_ne_u32_e32 vcc_lo, 0x7f800000, v90
                                        ; implicit-def: $vgpr90
	s_and_saveexec_b32 s3, vcc_lo
	s_xor_b32 s3, exec_lo, s3
; %bb.59:
	v_bfe_u32 v90, v91, 16, 1
	s_delay_alu instid0(VALU_DEP_1)
	v_add3_u32 v90, v91, v90, 0x7fff
                                        ; implicit-def: $vgpr91
; %bb.60:
	s_and_not1_saveexec_b32 s3, s3
; %bb.61:
	v_and_b32_e32 v90, 0xffff, v91
	v_or_b32_e32 v92, 0x10000, v91
	s_delay_alu instid0(VALU_DEP_2) | instskip(NEXT) | instid1(VALU_DEP_2)
	v_cmp_eq_u32_e32 vcc_lo, 0, v90
	v_cndmask_b32_e32 v90, v92, v91, vcc_lo
; %bb.62:
	s_or_b32 exec_lo, exec_lo, s3
	v_and_b32_e32 v91, 0x7f800000, v86
	s_delay_alu instid0(VALU_DEP_1) | instskip(SKIP_1) | instid1(SALU_CYCLE_1)
	v_cmp_ne_u32_e32 vcc_lo, 0x7f800000, v91
                                        ; implicit-def: $vgpr91
	s_and_saveexec_b32 s3, vcc_lo
	s_xor_b32 s3, exec_lo, s3
; %bb.63:
	v_bfe_u32 v91, v86, 16, 1
	s_delay_alu instid0(VALU_DEP_1)
	v_add3_u32 v91, v86, v91, 0x7fff
                                        ; implicit-def: $vgpr86
; %bb.64:
	s_and_not1_saveexec_b32 s3, s3
; %bb.65:
	v_and_b32_e32 v91, 0xffff, v86
	v_or_b32_e32 v92, 0x10000, v86
	s_delay_alu instid0(VALU_DEP_2) | instskip(NEXT) | instid1(VALU_DEP_2)
	v_cmp_eq_u32_e32 vcc_lo, 0, v91
	v_cndmask_b32_e32 v91, v92, v86, vcc_lo
; %bb.66:
	s_or_b32 exec_lo, exec_lo, s3
	v_and_b32_e32 v86, 0x7f800000, v87
	s_delay_alu instid0(VALU_DEP_1) | instskip(SKIP_1) | instid1(SALU_CYCLE_1)
	v_cmp_ne_u32_e32 vcc_lo, 0x7f800000, v86
                                        ; implicit-def: $vgpr86
	s_and_saveexec_b32 s3, vcc_lo
	s_xor_b32 s3, exec_lo, s3
; %bb.67:
	v_bfe_u32 v86, v87, 16, 1
	s_delay_alu instid0(VALU_DEP_1)
	v_add3_u32 v86, v87, v86, 0x7fff
                                        ; implicit-def: $vgpr87
; %bb.68:
	s_and_not1_saveexec_b32 s3, s3
; %bb.69:
	v_and_b32_e32 v86, 0xffff, v87
	v_or_b32_e32 v92, 0x10000, v87
	s_delay_alu instid0(VALU_DEP_2) | instskip(NEXT) | instid1(VALU_DEP_2)
	v_cmp_eq_u32_e32 vcc_lo, 0, v86
	v_cndmask_b32_e32 v86, v92, v87, vcc_lo
; %bb.70:
	s_or_b32 exec_lo, exec_lo, s3
	v_and_b32_e32 v87, 0x7f800000, v88
	s_delay_alu instid0(VALU_DEP_1) | instskip(SKIP_1) | instid1(SALU_CYCLE_1)
	v_cmp_ne_u32_e32 vcc_lo, 0x7f800000, v87
                                        ; implicit-def: $vgpr87
	s_and_saveexec_b32 s3, vcc_lo
	s_xor_b32 s3, exec_lo, s3
; %bb.71:
	v_bfe_u32 v87, v88, 16, 1
	s_delay_alu instid0(VALU_DEP_1)
	v_add3_u32 v87, v88, v87, 0x7fff
                                        ; implicit-def: $vgpr88
; %bb.72:
	s_and_not1_saveexec_b32 s3, s3
; %bb.73:
	v_and_b32_e32 v87, 0xffff, v88
	v_or_b32_e32 v92, 0x10000, v88
	s_delay_alu instid0(VALU_DEP_2) | instskip(NEXT) | instid1(VALU_DEP_2)
	v_cmp_eq_u32_e32 vcc_lo, 0, v87
	v_cndmask_b32_e32 v87, v92, v88, vcc_lo
; %bb.74:
	s_or_b32 exec_lo, exec_lo, s3
	v_and_b32_e32 v88, 0x7f800000, v89
	s_delay_alu instid0(VALU_DEP_1) | instskip(SKIP_1) | instid1(SALU_CYCLE_1)
	v_cmp_ne_u32_e32 vcc_lo, 0x7f800000, v88
                                        ; implicit-def: $vgpr88
	s_and_saveexec_b32 s3, vcc_lo
	s_xor_b32 s3, exec_lo, s3
; %bb.75:
	v_bfe_u32 v88, v89, 16, 1
	s_delay_alu instid0(VALU_DEP_1)
	v_add3_u32 v88, v89, v88, 0x7fff
                                        ; implicit-def: $vgpr89
; %bb.76:
	s_and_not1_saveexec_b32 s3, s3
; %bb.77:
	v_and_b32_e32 v88, 0xffff, v89
	v_or_b32_e32 v92, 0x10000, v89
	s_delay_alu instid0(VALU_DEP_2) | instskip(NEXT) | instid1(VALU_DEP_2)
	v_cmp_eq_u32_e32 vcc_lo, 0, v88
	v_cndmask_b32_e32 v88, v92, v89, vcc_lo
; %bb.78:
	s_or_b32 exec_lo, exec_lo, s3
	s_delay_alu instid0(VALU_DEP_1)
	v_perm_b32 v89, v88, v87, 0x7060302
	v_perm_b32 v88, v86, v91, 0x7060302
	;; [unrolled: 1-line block ×4, first 2 shown]
	v_lshl_or_b32 v90, v74, 11, v85
	ds_store_b128 v77, v[86:89] offset:1024
	s_waitcnt lgkmcnt(0)
	s_barrier
	buffer_gl0_inv
	ds_load_b128 v[91:94], v90
	ds_load_b128 v[95:98], v90 offset:16
	v_lshlrev_b32_e32 v87, 2, v83
	s_delay_alu instid0(VALU_DEP_1)
	v_or_b32_e32 v88, 1, v87
	v_cmp_eq_u32_e32 vcc_lo, 1, v87
	v_cmp_eq_u32_e64 s4, 2, v87
	v_cmp_eq_u32_e64 s7, 3, v87
	;; [unrolled: 1-line block ×6, first 2 shown]
	v_or_b32_e32 v86, 2, v87
	v_cmp_eq_u32_e64 s10, 5, v87
	v_cmp_eq_u32_e64 s11, 4, v88
	;; [unrolled: 1-line block ×4, first 2 shown]
	s_waitcnt lgkmcnt(1)
	v_lshrrev_b32_e32 v74, 16, v91
	s_waitcnt lgkmcnt(0)
	v_lshrrev_b32_e32 v103, 16, v95
	v_lshrrev_b32_e32 v80, 16, v94
	;; [unrolled: 1-line block ×4, first 2 shown]
	v_cndmask_b32_e32 v89, v91, v74, vcc_lo
	v_cndmask_b32_e32 v99, v95, v103, vcc_lo
	v_cndmask_b32_e64 v100, v91, v74, s3
	v_lshrrev_b32_e32 v79, 16, v93
	v_lshrrev_b32_e32 v108, 16, v97
	v_cndmask_b32_e64 v89, v89, v92, s4
	v_cndmask_b32_e64 v99, v99, v96, s4
	;; [unrolled: 1-line block ×4, first 2 shown]
	v_cmp_eq_u32_e64 s5, 1, v86
	v_cndmask_b32_e64 v89, v89, v78, s7
	v_cndmask_b32_e64 v99, v99, v107, s7
	v_cndmask_b32_e64 v100, v100, v78, s8
	v_cndmask_b32_e64 v101, v101, v96, s6
	v_lshrrev_b32_e32 v109, 16, v98
	v_cndmask_b32_e64 v89, v89, v93, s9
	v_cndmask_b32_e64 v99, v99, v97, s9
	;; [unrolled: 1-line block ×8, first 2 shown]
	v_cmp_eq_u32_e64 s15, 7, v87
	v_cmp_eq_u32_e64 s16, 6, v88
	v_cndmask_b32_e64 v89, v89, v94, s12
	v_cndmask_b32_e64 v99, v99, v98, s12
	v_cmp_eq_u32_e64 s17, 2, v86
	v_cndmask_b32_e64 v101, v101, v97, s11
	v_cndmask_b32_e64 v100, v100, v94, s16
	;; [unrolled: 1-line block ×6, first 2 shown]
	v_cmp_eq_u32_e64 s18, 7, v88
	v_cmp_eq_u32_e64 s19, 3, v86
	;; [unrolled: 1-line block ×4, first 2 shown]
	v_cndmask_b32_e64 v99, v99, v96, s17
	v_cndmask_b32_e64 v112, v100, v80, s18
	;; [unrolled: 1-line block ×4, first 2 shown]
	v_or_b32_e32 v89, 3, v87
	v_cndmask_b32_e64 v105, v99, v107, s19
	v_cmp_eq_u32_e64 s24, 6, v86
	v_cndmask_b32_e64 v113, v100, v98, s16
	v_cndmask_b32_e64 v104, v101, v93, s20
	ds_load_b128 v[99:102], v90 offset:1024
	v_cmp_eq_u32_e64 s21, 1, v89
	v_cmp_eq_u32_e64 s23, 2, v89
	;; [unrolled: 1-line block ×3, first 2 shown]
	v_cndmask_b32_e64 v114, v104, v79, s22
	v_cmp_eq_u32_e64 s26, 4, v89
	v_cndmask_b32_e64 v74, v91, v74, s21
	v_cndmask_b32_e64 v91, v105, v97, s20
	;; [unrolled: 1-line block ×3, first 2 shown]
	ds_load_b128 v[103:106], v90 offset:1040
	v_cmp_eq_u32_e64 s28, 5, v89
	v_cndmask_b32_e64 v74, v74, v92, s23
	v_cndmask_b32_e64 v91, v91, v108, s22
	;; [unrolled: 1-line block ×3, first 2 shown]
	v_cmp_eq_u32_e64 s29, 6, v89
	v_cndmask_b32_e64 v95, v113, v109, s18
	v_cndmask_b32_e64 v74, v74, v78, s25
	;; [unrolled: 1-line block ×5, first 2 shown]
	s_waitcnt lgkmcnt(1)
	v_lshrrev_b32_e32 v96, 16, v99
	v_cndmask_b32_e64 v74, v74, v93, s26
	v_lshrrev_b32_e32 v107, 16, v100
	v_cndmask_b32_e64 v92, v92, v97, s26
	v_cmp_eq_u32_e64 s27, 7, v86
	v_cndmask_b32_e32 v93, v99, v96, vcc_lo
	v_cndmask_b32_e64 v74, v74, v79, s28
	s_delay_alu instid0(VALU_DEP_4)
	v_cndmask_b32_e64 v79, v92, v108, s28
	s_waitcnt lgkmcnt(0)
	v_lshrrev_b32_e32 v97, 16, v103
	v_cndmask_b32_e64 v92, v93, v100, s4
	v_cndmask_b32_e64 v93, v99, v96, s3
	v_cndmask_b32_e64 v74, v74, v94, s29
	v_cndmask_b32_e64 v79, v79, v98, s29
	v_cndmask_b32_e32 v108, v103, v97, vcc_lo
	v_cndmask_b32_e64 v92, v92, v107, s7
	v_cndmask_b32_e64 v93, v93, v100, s6
	v_lshrrev_b32_e32 v98, 16, v104
	v_cmp_eq_u32_e32 vcc_lo, 7, v89
	v_cndmask_b32_e64 v94, v108, v104, s4
	v_cndmask_b32_e64 v92, v92, v101, s9
	v_lshrrev_b32_e32 v108, 16, v101
	v_cndmask_b32_e64 v93, v93, v107, s8
	v_cndmask_b32_e32 v74, v74, v80, vcc_lo
	v_cndmask_b32_e64 v94, v94, v98, s7
	v_cndmask_b32_e32 v79, v79, v109, vcc_lo
	v_cndmask_b32_e64 v92, v92, v108, s10
	v_cndmask_b32_e64 v78, v78, v80, s27
	;; [unrolled: 1-line block ×4, first 2 shown]
	v_perm_b32 v94, v79, v74, 0x5040100
	v_cndmask_b32_e64 v79, v92, v102, s12
	v_perm_b32 v92, v95, v112, 0x5040100
	v_cndmask_b32_e64 v95, v99, v96, s5
	v_cndmask_b32_e64 v96, v99, v96, s21
	;; [unrolled: 1-line block ×16, first 2 shown]
	v_lshrrev_b32_e32 v109, 16, v105
	v_cndmask_b32_e64 v95, v95, v101, s20
	v_cndmask_b32_e64 v96, v96, v101, s26
	;; [unrolled: 1-line block ×6, first 2 shown]
	v_lshrrev_b32_e32 v80, 16, v102
	v_cndmask_b32_e64 v113, v93, v109, s10
	v_cndmask_b32_e64 v95, v95, v108, s22
	;; [unrolled: 1-line block ×6, first 2 shown]
	v_perm_b32 v93, v91, v78, 0x5040100
	v_cndmask_b32_e64 v74, v74, v102, s16
	v_cndmask_b32_e64 v78, v79, v80, s15
	;; [unrolled: 1-line block ×3, first 2 shown]
	v_lshrrev_b32_e32 v91, 16, v106
	v_cndmask_b32_e64 v95, v95, v102, s24
	v_cndmask_b32_e64 v96, v96, v102, s29
	;; [unrolled: 1-line block ×7, first 2 shown]
	v_cndmask_b32_e32 v80, v96, v80, vcc_lo
	v_cndmask_b32_e32 v96, v98, v91, vcc_lo
	v_cndmask_b32_e64 v99, v99, v91, s27
	v_cndmask_b32_e64 v100, v97, v91, s18
	;; [unrolled: 1-line block ×3, first 2 shown]
	v_perm_b32 v91, v111, v110, 0x5040100
	v_perm_b32 v98, v96, v80, 0x5040100
	;; [unrolled: 1-line block ×5, first 2 shown]
	s_mul_i32 s8, s35, 11
	s_mov_b32 s3, exec_lo
	ds_store_b128 v77, v[91:94]
	ds_store_b128 v77, v[95:98] offset:1024
	v_cmpx_gt_u32_e32 11, v0
	s_cbranch_execz .LBB760_80
; %bb.79:
	s_mul_i32 s4, s8, s30
	s_delay_alu instid0(SALU_CYCLE_1) | instskip(SKIP_1) | instid1(VALU_DEP_1)
	v_add3_u32 v77, s4, s31, v73
	s_load_b128 s[4:7], s[0:1], 0x58
	v_mad_u64_u32 v[73:74], null, v77, s34, s[14:15]
	s_delay_alu instid0(VALU_DEP_1) | instskip(NEXT) | instid1(VALU_DEP_1)
	v_ashrrev_i32_e32 v74, 31, v73
	v_lshlrev_b64 v[73:74], 2, v[73:74]
	s_waitcnt lgkmcnt(0)
	s_delay_alu instid0(VALU_DEP_1) | instskip(NEXT) | instid1(VALU_DEP_2)
	v_add_co_u32 v77, vcc_lo, s6, v73
	v_add_co_ci_u32_e32 v78, vcc_lo, s7, v74, vcc_lo
	v_add_co_u32 v73, vcc_lo, s4, v73
	v_add_co_ci_u32_e32 v74, vcc_lo, s5, v74, vcc_lo
	global_store_b32 v[77:78], v75, off
	global_store_b32 v[73:74], v76, off
.LBB760_80:
	s_or_b32 exec_lo, exec_lo, s3
	s_waitcnt lgkmcnt(0)
	s_waitcnt_vscnt null, 0x0
	s_barrier
	buffer_gl0_inv
	ds_load_b128 v[91:94], v85
	ds_load_b128 v[95:98], v85 offset:16
	ds_load_b128 v[103:106], v85 offset:1040
	;; [unrolled: 1-line block ×3, first 2 shown]
	v_mov_b32_e32 v73, 0
	ds_load_b128 v[111:114], v85 offset:2064
	ds_load_b128 v[107:110], v85 offset:2048
	;; [unrolled: 1-line block ×6, first 2 shown]
	v_mov_b32_e32 v74, v73
	v_mov_b32_e32 v75, v73
	;; [unrolled: 1-line block ×7, first 2 shown]
	s_waitcnt lgkmcnt(8)
	s_delay_alu instid0(VALU_DEP_1)
	v_wmma_f32_16x16x16_bf16 v[73:80], v[65:72], v[91:98], v[73:80]
	ds_load_b128 v[69:72], v85 offset:5136
	ds_load_b128 v[65:68], v85 offset:5120
	ds_load_b128 v[95:98], v85 offset:6160
	ds_load_b128 v[91:94], v85 offset:6144
	s_waitcnt lgkmcnt(10)
	v_wmma_f32_16x16x16_bf16 v[73:80], v[57:64], v[99:106], v[73:80]
	s_waitcnt lgkmcnt(8)
	s_delay_alu instid0(VALU_DEP_1)
	v_wmma_f32_16x16x16_bf16 v[73:80], v[57:64], v[107:114], v[73:80]
	ds_load_b128 v[61:64], v85 offset:7184
	ds_load_b128 v[57:60], v85 offset:7168
	;; [unrolled: 1-line block ×4, first 2 shown]
	s_waitcnt lgkmcnt(10)
	v_wmma_f32_16x16x16_bf16 v[73:80], v[49:56], v[115:122], v[73:80]
	s_waitcnt lgkmcnt(8)
	s_delay_alu instid0(VALU_DEP_1)
	v_wmma_f32_16x16x16_bf16 v[73:80], v[49:56], v[123:130], v[73:80]
	ds_load_b128 v[53:56], v85 offset:9232
	ds_load_b128 v[49:52], v85 offset:9216
	s_waitcnt lgkmcnt(8)
	v_wmma_f32_16x16x16_bf16 v[73:80], v[41:48], v[65:72], v[73:80]
	ds_load_b128 v[69:72], v85 offset:10256
	ds_load_b128 v[65:68], v85 offset:10240
	s_waitcnt lgkmcnt(8)
	;; [unrolled: 4-line block ×3, first 2 shown]
	v_wmma_f32_16x16x16_bf16 v[73:80], v[9:16], v[57:64], v[73:80]
	s_waitcnt lgkmcnt(6)
	s_delay_alu instid0(VALU_DEP_1)
	v_wmma_f32_16x16x16_bf16 v[73:80], v[9:16], v[99:106], v[73:80]
	ds_load_b128 v[13:16], v85 offset:12304
	ds_load_b128 v[9:12], v85 offset:12288
	s_waitcnt lgkmcnt(6)
	v_wmma_f32_16x16x16_bf16 v[73:80], v[1:8], v[49:56], v[73:80]
	ds_load_b128 v[53:56], v85 offset:13328
	ds_load_b128 v[49:52], v85 offset:13312
	s_waitcnt lgkmcnt(6)
	v_wmma_f32_16x16x16_bf16 v[73:80], v[1:8], v[65:72], v[73:80]
	ds_load_b128 v[5:8], v85 offset:14352
	ds_load_b128 v[1:4], v85 offset:14336
	s_waitcnt lgkmcnt(6)
	v_wmma_f32_16x16x16_bf16 v[73:80], v[33:40], v[41:48], v[73:80]
	ds_load_b128 v[45:48], v85 offset:15376
	ds_load_b128 v[41:44], v85 offset:15360
	s_waitcnt lgkmcnt(6)
	v_wmma_f32_16x16x16_bf16 v[73:80], v[33:40], v[9:16], v[73:80]
	s_waitcnt lgkmcnt(4)
	s_delay_alu instid0(VALU_DEP_1) | instskip(SKIP_1) | instid1(VALU_DEP_1)
	v_wmma_f32_16x16x16_bf16 v[73:80], v[25:32], v[49:56], v[73:80]
	s_waitcnt lgkmcnt(2)
	v_wmma_f32_16x16x16_bf16 v[73:80], v[25:32], v[1:8], v[73:80]
	s_waitcnt lgkmcnt(0)
	s_delay_alu instid0(VALU_DEP_1) | instskip(NEXT) | instid1(VALU_DEP_1)
	v_wmma_f32_16x16x16_bf16 v[73:80], v[17:24], v[41:48], v[73:80]
	v_and_b32_e32 v1, 0x7f800000, v73
	s_delay_alu instid0(VALU_DEP_1) | instskip(SKIP_1) | instid1(SALU_CYCLE_1)
	v_cmp_ne_u32_e32 vcc_lo, 0x7f800000, v1
                                        ; implicit-def: $vgpr1
	s_and_saveexec_b32 s3, vcc_lo
	s_xor_b32 s3, exec_lo, s3
; %bb.81:
	v_bfe_u32 v1, v73, 16, 1
	s_delay_alu instid0(VALU_DEP_1)
	v_add3_u32 v1, v73, v1, 0x7fff
; %bb.82:
	s_and_not1_saveexec_b32 s3, s3
; %bb.83:
	v_and_b32_e32 v1, 0xffff, v73
	v_or_b32_e32 v2, 0x10000, v73
	s_delay_alu instid0(VALU_DEP_2) | instskip(NEXT) | instid1(VALU_DEP_2)
	v_cmp_eq_u32_e32 vcc_lo, 0, v1
	v_cndmask_b32_e32 v1, v2, v73, vcc_lo
; %bb.84:
	s_or_b32 exec_lo, exec_lo, s3
	v_and_b32_e32 v2, 0x7f800000, v74
	s_delay_alu instid0(VALU_DEP_1) | instskip(SKIP_1) | instid1(SALU_CYCLE_1)
	v_cmp_ne_u32_e32 vcc_lo, 0x7f800000, v2
                                        ; implicit-def: $vgpr2
	s_and_saveexec_b32 s3, vcc_lo
	s_xor_b32 s3, exec_lo, s3
; %bb.85:
	v_bfe_u32 v2, v74, 16, 1
	s_delay_alu instid0(VALU_DEP_1)
	v_add3_u32 v2, v74, v2, 0x7fff
; %bb.86:
	s_and_not1_saveexec_b32 s3, s3
; %bb.87:
	v_and_b32_e32 v2, 0xffff, v74
	v_or_b32_e32 v3, 0x10000, v74
	s_delay_alu instid0(VALU_DEP_2) | instskip(NEXT) | instid1(VALU_DEP_2)
	v_cmp_eq_u32_e32 vcc_lo, 0, v2
	v_cndmask_b32_e32 v2, v3, v74, vcc_lo
; %bb.88:
	s_or_b32 exec_lo, exec_lo, s3
	v_and_b32_e32 v3, 0x7f800000, v75
	s_delay_alu instid0(VALU_DEP_1) | instskip(SKIP_1) | instid1(SALU_CYCLE_1)
	v_cmp_ne_u32_e32 vcc_lo, 0x7f800000, v3
                                        ; implicit-def: $vgpr3
	s_and_saveexec_b32 s3, vcc_lo
	s_xor_b32 s3, exec_lo, s3
; %bb.89:
	v_bfe_u32 v3, v75, 16, 1
	s_delay_alu instid0(VALU_DEP_1)
	v_add3_u32 v3, v75, v3, 0x7fff
; %bb.90:
	s_and_not1_saveexec_b32 s3, s3
; %bb.91:
	v_and_b32_e32 v3, 0xffff, v75
	v_or_b32_e32 v4, 0x10000, v75
	s_delay_alu instid0(VALU_DEP_2) | instskip(NEXT) | instid1(VALU_DEP_2)
	v_cmp_eq_u32_e32 vcc_lo, 0, v3
	v_cndmask_b32_e32 v3, v4, v75, vcc_lo
; %bb.92:
	s_or_b32 exec_lo, exec_lo, s3
	v_and_b32_e32 v4, 0x7f800000, v76
	s_delay_alu instid0(VALU_DEP_1) | instskip(SKIP_1) | instid1(SALU_CYCLE_1)
	v_cmp_ne_u32_e32 vcc_lo, 0x7f800000, v4
                                        ; implicit-def: $vgpr4
	s_and_saveexec_b32 s3, vcc_lo
	s_xor_b32 s3, exec_lo, s3
; %bb.93:
	v_bfe_u32 v4, v76, 16, 1
	s_delay_alu instid0(VALU_DEP_1)
	v_add3_u32 v4, v76, v4, 0x7fff
; %bb.94:
	s_and_not1_saveexec_b32 s3, s3
; %bb.95:
	v_and_b32_e32 v4, 0xffff, v76
	v_or_b32_e32 v5, 0x10000, v76
	s_delay_alu instid0(VALU_DEP_2) | instskip(NEXT) | instid1(VALU_DEP_2)
	v_cmp_eq_u32_e32 vcc_lo, 0, v4
	v_cndmask_b32_e32 v4, v5, v76, vcc_lo
; %bb.96:
	s_or_b32 exec_lo, exec_lo, s3
	v_and_b32_e32 v5, 0x7f800000, v77
	s_delay_alu instid0(VALU_DEP_1) | instskip(SKIP_1) | instid1(SALU_CYCLE_1)
	v_cmp_ne_u32_e32 vcc_lo, 0x7f800000, v5
                                        ; implicit-def: $vgpr5
	s_and_saveexec_b32 s3, vcc_lo
	s_xor_b32 s3, exec_lo, s3
; %bb.97:
	v_bfe_u32 v5, v77, 16, 1
	s_delay_alu instid0(VALU_DEP_1)
	v_add3_u32 v5, v77, v5, 0x7fff
; %bb.98:
	s_and_not1_saveexec_b32 s3, s3
; %bb.99:
	v_and_b32_e32 v5, 0xffff, v77
	v_or_b32_e32 v6, 0x10000, v77
	s_delay_alu instid0(VALU_DEP_2) | instskip(NEXT) | instid1(VALU_DEP_2)
	v_cmp_eq_u32_e32 vcc_lo, 0, v5
	v_cndmask_b32_e32 v5, v6, v77, vcc_lo
; %bb.100:
	s_or_b32 exec_lo, exec_lo, s3
	v_and_b32_e32 v6, 0x7f800000, v78
	s_delay_alu instid0(VALU_DEP_1) | instskip(SKIP_1) | instid1(SALU_CYCLE_1)
	v_cmp_ne_u32_e32 vcc_lo, 0x7f800000, v6
                                        ; implicit-def: $vgpr6
	s_and_saveexec_b32 s3, vcc_lo
	s_xor_b32 s3, exec_lo, s3
; %bb.101:
	v_bfe_u32 v6, v78, 16, 1
	s_delay_alu instid0(VALU_DEP_1)
	v_add3_u32 v6, v78, v6, 0x7fff
; %bb.102:
	s_and_not1_saveexec_b32 s3, s3
; %bb.103:
	v_and_b32_e32 v6, 0xffff, v78
	v_or_b32_e32 v7, 0x10000, v78
	s_delay_alu instid0(VALU_DEP_2) | instskip(NEXT) | instid1(VALU_DEP_2)
	v_cmp_eq_u32_e32 vcc_lo, 0, v6
	v_cndmask_b32_e32 v6, v7, v78, vcc_lo
; %bb.104:
	s_or_b32 exec_lo, exec_lo, s3
	v_and_b32_e32 v7, 0x7f800000, v79
	s_delay_alu instid0(VALU_DEP_1) | instskip(SKIP_1) | instid1(SALU_CYCLE_1)
	v_cmp_ne_u32_e32 vcc_lo, 0x7f800000, v7
                                        ; implicit-def: $vgpr7
	s_and_saveexec_b32 s3, vcc_lo
	s_xor_b32 s3, exec_lo, s3
; %bb.105:
	v_bfe_u32 v7, v79, 16, 1
	s_delay_alu instid0(VALU_DEP_1)
	v_add3_u32 v7, v79, v7, 0x7fff
; %bb.106:
	s_and_not1_saveexec_b32 s3, s3
; %bb.107:
	v_and_b32_e32 v7, 0xffff, v79
	v_or_b32_e32 v8, 0x10000, v79
	s_delay_alu instid0(VALU_DEP_2) | instskip(NEXT) | instid1(VALU_DEP_2)
	v_cmp_eq_u32_e32 vcc_lo, 0, v7
	v_cndmask_b32_e32 v7, v8, v79, vcc_lo
; %bb.108:
	s_or_b32 exec_lo, exec_lo, s3
	v_and_b32_e32 v8, 0x7f800000, v80
	s_delay_alu instid0(VALU_DEP_1) | instskip(SKIP_1) | instid1(SALU_CYCLE_1)
	v_cmp_ne_u32_e32 vcc_lo, 0x7f800000, v8
                                        ; implicit-def: $vgpr8
	s_and_saveexec_b32 s3, vcc_lo
	s_xor_b32 s3, exec_lo, s3
; %bb.109:
	v_bfe_u32 v8, v80, 16, 1
	s_delay_alu instid0(VALU_DEP_1)
	v_add3_u32 v8, v80, v8, 0x7fff
                                        ; implicit-def: $vgpr73_vgpr74_vgpr75_vgpr76_vgpr77_vgpr78_vgpr79_vgpr80
; %bb.110:
	s_and_not1_saveexec_b32 s3, s3
; %bb.111:
	v_and_b32_e32 v8, 0xffff, v80
	v_or_b32_e32 v9, 0x10000, v80
	s_delay_alu instid0(VALU_DEP_2) | instskip(NEXT) | instid1(VALU_DEP_2)
	v_cmp_eq_u32_e32 vcc_lo, 0, v8
	v_cndmask_b32_e32 v8, v9, v80, vcc_lo
; %bb.112:
	s_or_b32 exec_lo, exec_lo, s3
	s_delay_alu instid0(VALU_DEP_1)
	v_perm_b32 v7, v8, v7, 0x7060302
	v_perm_b32 v6, v6, v5, 0x7060302
	;; [unrolled: 1-line block ×4, first 2 shown]
	v_lshl_or_b32 v9, v83, 4, v90
	s_barrier
	buffer_gl0_inv
	v_cmp_eq_u32_e32 vcc_lo, 1, v87
	ds_store_b128 v9, v[4:7]
	s_waitcnt lgkmcnt(0)
	s_barrier
	buffer_gl0_inv
	ds_load_b128 v[1:4], v90
	ds_load_b128 v[5:8], v90 offset:16
	v_cmp_eq_u32_e64 s4, 2, v87
	v_cmp_eq_u32_e64 s3, 1, v88
	;; [unrolled: 1-line block ×5, first 2 shown]
	s_waitcnt lgkmcnt(1)
	v_lshrrev_b32_e32 v10, 16, v1
	s_waitcnt lgkmcnt(0)
	v_lshrrev_b32_e32 v14, 16, v5
	v_lshrrev_b32_e32 v15, 16, v6
	;; [unrolled: 1-line block ×4, first 2 shown]
	v_cndmask_b32_e64 v20, v1, v10, s3
	v_cndmask_b32_e32 v19, v5, v14, vcc_lo
	v_cndmask_b32_e64 v21, v5, v14, s3
	v_lshrrev_b32_e32 v16, 16, v7
	v_cmp_eq_u32_e64 s3, 1, v86
	v_lshrrev_b32_e32 v13, 16, v4
	v_cndmask_b32_e64 v19, v19, v6, s4
	v_lshrrev_b32_e32 v17, 16, v8
	s_delay_alu instid0(VALU_DEP_4) | instskip(SKIP_1) | instid1(VALU_DEP_4)
	v_cndmask_b32_e64 v22, v1, v10, s3
	v_cndmask_b32_e64 v23, v5, v14, s3
	;; [unrolled: 1-line block ×3, first 2 shown]
	v_cndmask_b32_e32 v18, v1, v10, vcc_lo
	v_cmp_eq_u32_e32 vcc_lo, 2, v88
	v_cmp_eq_u32_e64 s3, 2, v89
	v_cndmask_b32_e64 v22, v22, v2, s7
	v_cndmask_b32_e32 v20, v20, v2, vcc_lo
	v_cndmask_b32_e32 v21, v21, v6, vcc_lo
	v_cmp_eq_u32_e32 vcc_lo, 4, v87
	v_cndmask_b32_e32 v19, v19, v7, vcc_lo
	v_cndmask_b32_e64 v18, v18, v2, s4
	v_cmp_eq_u32_e64 s4, 3, v88
	s_delay_alu instid0(VALU_DEP_2) | instskip(NEXT) | instid1(VALU_DEP_2)
	v_cndmask_b32_e64 v18, v18, v11, s5
	v_cndmask_b32_e64 v21, v21, v15, s4
	v_cmp_eq_u32_e64 s5, 5, v87
	s_delay_alu instid0(VALU_DEP_3) | instskip(SKIP_1) | instid1(VALU_DEP_3)
	v_cndmask_b32_e32 v18, v18, v3, vcc_lo
	v_cmp_eq_u32_e32 vcc_lo, 4, v88
	v_cndmask_b32_e64 v19, v19, v16, s5
	s_delay_alu instid0(VALU_DEP_3) | instskip(SKIP_4) | instid1(VALU_DEP_3)
	v_cndmask_b32_e64 v18, v18, v12, s5
	v_cndmask_b32_e32 v21, v21, v7, vcc_lo
	v_cndmask_b32_e64 v20, v20, v11, s4
	v_cmp_eq_u32_e64 s4, 5, v88
	v_cmp_eq_u32_e64 s5, 6, v87
	v_cndmask_b32_e32 v20, v20, v3, vcc_lo
	s_delay_alu instid0(VALU_DEP_3) | instskip(SKIP_1) | instid1(VALU_DEP_4)
	v_cndmask_b32_e64 v21, v21, v16, s4
	v_cmp_eq_u32_e32 vcc_lo, 6, v88
	v_cndmask_b32_e64 v18, v18, v4, s5
	v_cndmask_b32_e64 v19, v19, v8, s5
	;; [unrolled: 1-line block ×3, first 2 shown]
	v_cmp_eq_u32_e64 s4, 1, v89
	v_cmp_eq_u32_e64 s5, 7, v87
	s_delay_alu instid0(VALU_DEP_3) | instskip(NEXT) | instid1(VALU_DEP_3)
	v_cndmask_b32_e32 v20, v20, v4, vcc_lo
	v_cndmask_b32_e64 v1, v1, v10, s4
	v_cndmask_b32_e64 v5, v5, v14, s4
	v_cmp_eq_u32_e64 s4, 3, v86
	v_cndmask_b32_e64 v14, v23, v6, s7
	v_cmp_eq_u32_e64 s7, 3, v89
	v_cndmask_b32_e64 v1, v1, v2, s3
	v_cndmask_b32_e64 v2, v5, v6, s3
	v_cndmask_b32_e64 v10, v22, v11, s4
	v_cmp_eq_u32_e64 s3, 4, v86
	v_cndmask_b32_e64 v6, v14, v15, s4
	v_cndmask_b32_e64 v1, v1, v11, s7
	v_cmp_eq_u32_e64 s4, 4, v89
	v_cndmask_b32_e64 v2, v2, v15, s7
	v_cndmask_b32_e64 v5, v10, v3, s3
	;; [unrolled: 3-line block ×3, first 2 shown]
	v_cndmask_b32_e64 v2, v2, v7, s4
	v_cmp_eq_u32_e64 s3, 5, v89
	v_cndmask_b32_e64 v5, v5, v12, s7
	v_cmp_eq_u32_e64 s4, 6, v86
	;; [unrolled: 2-line block ×3, first 2 shown]
	v_cndmask_b32_e64 v1, v1, v12, s3
	v_cndmask_b32_e64 v2, v2, v16, s3
	;; [unrolled: 1-line block ×4, first 2 shown]
	v_cmp_eq_u32_e64 s3, 7, v89
	v_cndmask_b32_e64 v1, v1, v4, s7
	v_cndmask_b32_e64 v2, v2, v8, s7
	v_cmp_eq_u32_e64 s4, 7, v86
	v_cndmask_b32_e32 v4, v21, v8, vcc_lo
	v_cndmask_b32_e64 v18, v18, v13, s5
	v_cndmask_b32_e64 v20, v20, v13, s6
	;; [unrolled: 1-line block ×8, first 2 shown]
	s_mov_b32 s3, exec_lo
	v_perm_b32 v4, v2, v1, 0x5040100
	v_perm_b32 v3, v3, v5, 0x5040100
	v_perm_b32 v2, v6, v20, 0x5040100
	v_perm_b32 v1, v7, v18, 0x5040100
	ds_store_b128 v9, v[1:4]
	s_waitcnt lgkmcnt(0)
	s_barrier
	buffer_gl0_inv
	v_cmpx_gt_u32_e32 32, v0
	s_cbranch_execz .LBB760_2
; %bb.113:
	s_load_b64 s[4:5], s[0:1], 0x68
	v_lshlrev_b32_e32 v0, 10, v0
	v_lshlrev_b32_e32 v1, 4, v84
	s_lshl_b32 s0, s34, 7
	v_add_nc_u32_e32 v7, s31, v83
	s_mul_i32 s1, s0, s30
	s_delay_alu instid0(SALU_CYCLE_1) | instskip(SKIP_1) | instid1(VALU_DEP_2)
	s_mul_i32 s6, s1, s8
	v_and_or_b32 v0, 0x3800, v0, v1
	v_mul_lo_u32 v1, v7, s0
	v_add_nc_u32_e32 v2, 2, v7
	s_ashr_i32 s7, s6, 31
	v_add_nc_u32_e32 v4, 4, v7
	s_lshl_b64 s[6:7], s[6:7], 1
	v_add_nc_u32_e32 v8, 6, v7
	v_mul_lo_u32 v3, v2, s0
	v_lshl_or_b32 v19, v83, 6, v0
	v_ashrrev_i32_e32 v2, 31, v1
	v_mul_lo_u32 v11, v4, s0
	v_mul_lo_u32 v25, v8, s0
	s_waitcnt lgkmcnt(0)
	s_add_u32 s1, s4, s6
	s_addc_u32 s3, s5, s7
	s_lshl_b32 s4, s14, 7
	v_lshlrev_b64 v[5:6], 1, v[1:2]
	s_ashr_i32 s5, s4, 31
	v_ashrrev_i32_e32 v4, 31, v3
	s_lshl_b64 s[4:5], s[4:5], 1
	v_ashrrev_i32_e32 v12, 31, v11
	s_add_u32 s1, s1, s4
	s_addc_u32 s3, s3, s5
	v_add_co_u32 v1, vcc_lo, s1, v81
	v_add_co_ci_u32_e32 v2, vcc_lo, s3, v82, vcc_lo
	v_lshlrev_b64 v[3:4], 1, v[3:4]
	s_delay_alu instid0(VALU_DEP_3) | instskip(SKIP_1) | instid1(VALU_DEP_4)
	v_add_co_u32 v23, vcc_lo, v1, v5
	v_add_nc_u32_e32 v5, 8, v7
	v_add_co_ci_u32_e32 v24, vcc_lo, v2, v6, vcc_lo
	s_delay_alu instid0(VALU_DEP_4) | instskip(NEXT) | instid1(VALU_DEP_3)
	v_add_co_u32 v27, vcc_lo, v1, v3
	v_mul_lo_u32 v29, v5, s0
	v_add_co_ci_u32_e32 v28, vcc_lo, v2, v4, vcc_lo
	ds_load_b128 v[3:6], v19
	ds_load_b128 v[7:10], v19 offset:128
	v_lshlrev_b64 v[31:32], 1, v[11:12]
	ds_load_b128 v[11:14], v19 offset:256
	ds_load_b128 v[15:18], v19 offset:384
	;; [unrolled: 1-line block ×3, first 2 shown]
	v_ashrrev_i32_e32 v26, 31, v25
	v_ashrrev_i32_e32 v30, 31, v29
	v_add_co_u32 v31, vcc_lo, v1, v31
	s_delay_alu instid0(VALU_DEP_3) | instskip(NEXT) | instid1(VALU_DEP_3)
	v_lshlrev_b64 v[25:26], 1, v[25:26]
	v_lshlrev_b64 v[29:30], 1, v[29:30]
	v_add_co_ci_u32_e32 v32, vcc_lo, v2, v32, vcc_lo
	s_delay_alu instid0(VALU_DEP_3) | instskip(NEXT) | instid1(VALU_DEP_4)
	v_add_co_u32 v25, vcc_lo, v1, v25
	v_add_co_ci_u32_e32 v26, vcc_lo, v2, v26, vcc_lo
	s_delay_alu instid0(VALU_DEP_4)
	v_add_co_u32 v29, vcc_lo, v1, v29
	v_add_co_ci_u32_e32 v30, vcc_lo, v2, v30, vcc_lo
	s_waitcnt lgkmcnt(4)
	global_store_b128 v[23:24], v[3:6], off
	s_waitcnt lgkmcnt(3)
	global_store_b128 v[27:28], v[7:10], off
	;; [unrolled: 2-line block ×5, first 2 shown]
	s_and_b32 exec_lo, exec_lo, s2
	s_cbranch_execz .LBB760_2
; %bb.114:
	ds_load_b128 v[3:6], v0 offset:640
	s_add_i32 s1, s31, 10
	s_delay_alu instid0(SALU_CYCLE_1) | instskip(NEXT) | instid1(SALU_CYCLE_1)
	s_mul_i32 s0, s1, s0
	s_ashr_i32 s1, s0, 31
	s_delay_alu instid0(SALU_CYCLE_1) | instskip(NEXT) | instid1(SALU_CYCLE_1)
	s_lshl_b64 s[0:1], s[0:1], 1
	v_add_co_u32 v0, vcc_lo, v1, s0
	v_add_co_ci_u32_e32 v1, vcc_lo, s1, v2, vcc_lo
	s_waitcnt lgkmcnt(0)
	global_store_b128 v[0:1], v[3:6], off
	s_nop 0
	s_sendmsg sendmsg(MSG_DEALLOC_VGPRS)
	s_endpgm
	.section	.rodata,"a",@progbits
	.p2align	6, 0x0
	.amdhsa_kernel _Z39paged_attention_ll4mi_QKV_mfma16_kernelI14__hip_bfloat16S0_LN4vllm18Fp8KVCacheDataTypeE0ES0_Li32ELi128ELi256ELb0ELi11EL8MFMAType0EEvPKT_PKT0_S9_ifPKiSB_SB_iPKfiiiPfSE_PS4_PT2_iSD_SD_
		.amdhsa_group_segment_fixed_size 17472
		.amdhsa_private_segment_fixed_size 0
		.amdhsa_kernarg_size 400
		.amdhsa_user_sgpr_count 13
		.amdhsa_user_sgpr_dispatch_ptr 0
		.amdhsa_user_sgpr_queue_ptr 0
		.amdhsa_user_sgpr_kernarg_segment_ptr 1
		.amdhsa_user_sgpr_dispatch_id 0
		.amdhsa_user_sgpr_private_segment_size 0
		.amdhsa_wavefront_size32 1
		.amdhsa_uses_dynamic_stack 0
		.amdhsa_enable_private_segment 0
		.amdhsa_system_sgpr_workgroup_id_x 1
		.amdhsa_system_sgpr_workgroup_id_y 1
		.amdhsa_system_sgpr_workgroup_id_z 1
		.amdhsa_system_sgpr_workgroup_info 0
		.amdhsa_system_vgpr_workitem_id 0
		.amdhsa_next_free_vgpr 157
		.amdhsa_next_free_sgpr 38
		.amdhsa_reserve_vcc 1
		.amdhsa_float_round_mode_32 0
		.amdhsa_float_round_mode_16_64 0
		.amdhsa_float_denorm_mode_32 3
		.amdhsa_float_denorm_mode_16_64 3
		.amdhsa_dx10_clamp 1
		.amdhsa_ieee_mode 1
		.amdhsa_fp16_overflow 0
		.amdhsa_workgroup_processor_mode 1
		.amdhsa_memory_ordered 1
		.amdhsa_forward_progress 0
		.amdhsa_shared_vgpr_count 0
		.amdhsa_exception_fp_ieee_invalid_op 0
		.amdhsa_exception_fp_denorm_src 0
		.amdhsa_exception_fp_ieee_div_zero 0
		.amdhsa_exception_fp_ieee_overflow 0
		.amdhsa_exception_fp_ieee_underflow 0
		.amdhsa_exception_fp_ieee_inexact 0
		.amdhsa_exception_int_div_zero 0
	.end_amdhsa_kernel
	.section	.text._Z39paged_attention_ll4mi_QKV_mfma16_kernelI14__hip_bfloat16S0_LN4vllm18Fp8KVCacheDataTypeE0ES0_Li32ELi128ELi256ELb0ELi11EL8MFMAType0EEvPKT_PKT0_S9_ifPKiSB_SB_iPKfiiiPfSE_PS4_PT2_iSD_SD_,"axG",@progbits,_Z39paged_attention_ll4mi_QKV_mfma16_kernelI14__hip_bfloat16S0_LN4vllm18Fp8KVCacheDataTypeE0ES0_Li32ELi128ELi256ELb0ELi11EL8MFMAType0EEvPKT_PKT0_S9_ifPKiSB_SB_iPKfiiiPfSE_PS4_PT2_iSD_SD_,comdat
.Lfunc_end760:
	.size	_Z39paged_attention_ll4mi_QKV_mfma16_kernelI14__hip_bfloat16S0_LN4vllm18Fp8KVCacheDataTypeE0ES0_Li32ELi128ELi256ELb0ELi11EL8MFMAType0EEvPKT_PKT0_S9_ifPKiSB_SB_iPKfiiiPfSE_PS4_PT2_iSD_SD_, .Lfunc_end760-_Z39paged_attention_ll4mi_QKV_mfma16_kernelI14__hip_bfloat16S0_LN4vllm18Fp8KVCacheDataTypeE0ES0_Li32ELi128ELi256ELb0ELi11EL8MFMAType0EEvPKT_PKT0_S9_ifPKiSB_SB_iPKfiiiPfSE_PS4_PT2_iSD_SD_
                                        ; -- End function
	.section	.AMDGPU.csdata,"",@progbits
; Kernel info:
; codeLenInByte = 9908
; NumSgprs: 40
; NumVgprs: 157
; ScratchSize: 0
; MemoryBound: 0
; FloatMode: 240
; IeeeMode: 1
; LDSByteSize: 17472 bytes/workgroup (compile time only)
; SGPRBlocks: 4
; VGPRBlocks: 19
; NumSGPRsForWavesPerEU: 40
; NumVGPRsForWavesPerEU: 157
; Occupancy: 9
; WaveLimiterHint : 1
; COMPUTE_PGM_RSRC2:SCRATCH_EN: 0
; COMPUTE_PGM_RSRC2:USER_SGPR: 13
; COMPUTE_PGM_RSRC2:TRAP_HANDLER: 0
; COMPUTE_PGM_RSRC2:TGID_X_EN: 1
; COMPUTE_PGM_RSRC2:TGID_Y_EN: 1
; COMPUTE_PGM_RSRC2:TGID_Z_EN: 1
; COMPUTE_PGM_RSRC2:TIDIG_COMP_CNT: 0
	.section	.text._Z39paged_attention_ll4mi_QKV_mfma16_kernelI14__hip_bfloat16S0_LN4vllm18Fp8KVCacheDataTypeE0ES0_Li32ELi128ELi256ELb0ELi12EL8MFMAType0EEvPKT_PKT0_S9_ifPKiSB_SB_iPKfiiiPfSE_PS4_PT2_iSD_SD_,"axG",@progbits,_Z39paged_attention_ll4mi_QKV_mfma16_kernelI14__hip_bfloat16S0_LN4vllm18Fp8KVCacheDataTypeE0ES0_Li32ELi128ELi256ELb0ELi12EL8MFMAType0EEvPKT_PKT0_S9_ifPKiSB_SB_iPKfiiiPfSE_PS4_PT2_iSD_SD_,comdat
	.protected	_Z39paged_attention_ll4mi_QKV_mfma16_kernelI14__hip_bfloat16S0_LN4vllm18Fp8KVCacheDataTypeE0ES0_Li32ELi128ELi256ELb0ELi12EL8MFMAType0EEvPKT_PKT0_S9_ifPKiSB_SB_iPKfiiiPfSE_PS4_PT2_iSD_SD_ ; -- Begin function _Z39paged_attention_ll4mi_QKV_mfma16_kernelI14__hip_bfloat16S0_LN4vllm18Fp8KVCacheDataTypeE0ES0_Li32ELi128ELi256ELb0ELi12EL8MFMAType0EEvPKT_PKT0_S9_ifPKiSB_SB_iPKfiiiPfSE_PS4_PT2_iSD_SD_
	.globl	_Z39paged_attention_ll4mi_QKV_mfma16_kernelI14__hip_bfloat16S0_LN4vllm18Fp8KVCacheDataTypeE0ES0_Li32ELi128ELi256ELb0ELi12EL8MFMAType0EEvPKT_PKT0_S9_ifPKiSB_SB_iPKfiiiPfSE_PS4_PT2_iSD_SD_
	.p2align	8
	.type	_Z39paged_attention_ll4mi_QKV_mfma16_kernelI14__hip_bfloat16S0_LN4vllm18Fp8KVCacheDataTypeE0ES0_Li32ELi128ELi256ELb0ELi12EL8MFMAType0EEvPKT_PKT0_S9_ifPKiSB_SB_iPKfiiiPfSE_PS4_PT2_iSD_SD_,@function
_Z39paged_attention_ll4mi_QKV_mfma16_kernelI14__hip_bfloat16S0_LN4vllm18Fp8KVCacheDataTypeE0ES0_Li32ELi128ELi256ELb0ELi12EL8MFMAType0EEvPKT_PKT0_S9_ifPKiSB_SB_iPKfiiiPfSE_PS4_PT2_iSD_SD_: ; @_Z39paged_attention_ll4mi_QKV_mfma16_kernelI14__hip_bfloat16S0_LN4vllm18Fp8KVCacheDataTypeE0ES0_Li32ELi128ELi256ELb0ELi12EL8MFMAType0EEvPKT_PKT0_S9_ifPKiSB_SB_iPKfiiiPfSE_PS4_PT2_iSD_SD_
; %bb.0:
	s_load_b64 s[2:3], s[0:1], 0x30
	s_mov_b32 s30, s13
	s_waitcnt lgkmcnt(0)
	s_cmp_lg_u64 s[2:3], 0
	s_cselect_b32 s6, -1, 0
	s_ashr_i32 s31, s13, 31
	s_cmp_eq_u64 s[2:3], 0
	s_cbranch_scc1 .LBB761_3
; %bb.1:
	s_lshl_b64 s[4:5], s[30:31], 2
	s_delay_alu instid0(SALU_CYCLE_1) | instskip(SKIP_4) | instid1(SALU_CYCLE_1)
	s_add_u32 s4, s2, s4
	s_addc_u32 s5, s3, s5
	s_load_b64 s[4:5], s[4:5], 0x0
	s_waitcnt lgkmcnt(0)
	s_sub_i32 s4, s5, s4
	s_cmp_eq_u32 s4, 1
	s_cselect_b32 s4, -1, 0
	s_delay_alu instid0(SALU_CYCLE_1)
	s_and_not1_b32 vcc_lo, exec_lo, s4
	s_cbranch_vccz .LBB761_4
.LBB761_2:
	s_endpgm
.LBB761_3:
.LBB761_4:
	s_load_b64 s[8:9], s[0:1], 0x28
	s_lshl_b64 s[4:5], s[30:31], 2
	s_waitcnt lgkmcnt(0)
	s_add_u32 s8, s8, s4
	s_addc_u32 s9, s9, s5
	s_lshl_b32 s12, s14, 8
	s_load_b32 s17, s[8:9], 0x0
	s_waitcnt lgkmcnt(0)
	s_cmp_ge_i32 s12, s17
	s_cbranch_scc1 .LBB761_2
; %bb.5:
	s_and_not1_b32 vcc_lo, exec_lo, s6
	s_cbranch_vccnz .LBB761_7
; %bb.6:
	s_add_u32 s2, s2, s4
	s_addc_u32 s3, s3, s5
	s_load_b32 s13, s[2:3], 0x0
	s_branch .LBB761_8
.LBB761_7:
	s_mov_b32 s13, s30
.LBB761_8:
	s_clause 0x2
	s_load_b128 s[8:11], s[0:1], 0x8
	s_load_b64 s[2:3], s[0:1], 0x20
	s_load_b128 s[4:7], s[0:1], 0x48
	v_and_b32_e32 v73, 15, v0
	s_waitcnt lgkmcnt(0)
	s_mov_b32 s7, exec_lo
	s_delay_alu instid0(VALU_DEP_1)
	v_lshlrev_b32_e32 v1, 3, v73
	v_cmpx_lt_u32_e32 0xbf, v0
	s_xor_b32 s7, exec_lo, s7
; %bb.9:
	v_mov_b32_e32 v2, 0
; %bb.10:
	s_or_saveexec_b32 s7, s7
	v_lshrrev_b32_e32 v74, 5, v0
	v_and_b32_e32 v75, 31, v0
	v_and_b32_e32 v84, 1, v0
	v_bfe_u32 v83, v0, 4, 1
	s_mul_i32 s29, s15, 12
	s_xor_b32 exec_lo, exec_lo, s7
	s_cbranch_execz .LBB761_12
; %bb.11:
	s_load_b64 s[18:19], s[0:1], 0x0
	v_lshl_or_b32 v7, v74, 1, v83
	s_mul_hi_i32 s21, s13, s4
	s_mul_i32 s20, s13, s4
	v_lshlrev_b32_e32 v4, 1, v1
	s_lshl_b64 s[20:21], s[20:21], 1
	v_add_lshl_u32 v2, v7, s29, 7
	v_lshlrev_b32_e32 v7, 6, v7
	v_lshlrev_b32_e32 v8, 10, v84
	s_delay_alu instid0(VALU_DEP_3) | instskip(NEXT) | instid1(VALU_DEP_1)
	v_ashrrev_i32_e32 v3, 31, v2
	v_lshlrev_b64 v[2:3], 1, v[2:3]
	s_waitcnt lgkmcnt(0)
	s_add_u32 s4, s18, s20
	s_addc_u32 s13, s19, s21
	s_delay_alu instid0(VALU_DEP_1) | instskip(NEXT) | instid1(VALU_DEP_2)
	v_add_co_u32 v2, vcc_lo, s4, v2
	v_add_co_ci_u32_e32 v3, vcc_lo, s13, v3, vcc_lo
	s_delay_alu instid0(VALU_DEP_2) | instskip(NEXT) | instid1(VALU_DEP_2)
	v_add_co_u32 v2, vcc_lo, v2, v4
	v_add_co_ci_u32_e32 v3, vcc_lo, 0, v3, vcc_lo
	global_load_b128 v[3:6], v[2:3], off
	v_lshlrev_b32_e32 v2, 10, v73
	s_delay_alu instid0(VALU_DEP_1) | instskip(NEXT) | instid1(VALU_DEP_1)
	v_and_b32_e32 v2, 0x3800, v2
	v_or3_b32 v7, v2, v8, v7
	v_mov_b32_e32 v2, 0
	s_waitcnt vmcnt(0)
	ds_store_b128 v7, v[3:6]
.LBB761_12:
	s_or_b32 exec_lo, exec_lo, s7
	v_add_nc_u32_e32 v80, -12, v73
	v_and_b32_e32 v3, 0xef, v0
	s_add_i32 s4, s17, 31
	s_clause 0x1
	s_load_b32 s7, s[0:1], 0x38
	s_load_b32 s18, s[0:1], 0x1c
	s_ashr_i32 s13, s4, 31
	v_add_nc_u32_e32 v3, s12, v3
	s_lshr_b32 s13, s13, 27
	s_waitcnt lgkmcnt(0)
	s_add_i32 s4, s4, s13
	s_barrier
	v_ashrrev_i32_e32 v4, 31, v3
	v_cmp_gt_i32_e32 vcc_lo, s17, v3
	s_ashr_i32 s4, s4, 5
	buffer_gl0_inv
	s_add_i32 s4, s4, -1
	v_lshrrev_b32_e32 v5, 27, v4
	v_or_b32_e32 v4, 16, v3
	v_lshlrev_b64 v[81:82], 1, v[1:2]
	s_delay_alu instid0(VALU_DEP_3) | instskip(NEXT) | instid1(VALU_DEP_3)
	v_add_nc_u32_e32 v6, v3, v5
	v_add_nc_u32_e32 v5, v4, v5
	s_mul_i32 s20, s30, s7
	s_delay_alu instid0(SALU_CYCLE_1) | instskip(NEXT) | instid1(VALU_DEP_2)
	s_ashr_i32 s21, s20, 31
	v_ashrrev_i32_e32 v6, 5, v6
	s_delay_alu instid0(VALU_DEP_2) | instskip(SKIP_1) | instid1(SALU_CYCLE_1)
	v_ashrrev_i32_e32 v5, 5, v5
	s_lshl_b64 s[20:21], s[20:21], 2
	s_add_u32 s7, s2, s20
	s_delay_alu instid0(VALU_DEP_2) | instskip(SKIP_3) | instid1(VALU_DEP_2)
	v_cndmask_b32_e32 v3, s4, v6, vcc_lo
	v_cmp_gt_i32_e32 vcc_lo, s17, v4
	s_addc_u32 s13, s3, s21
	s_mul_i32 s2, s15, s6
	v_ashrrev_i32_e32 v4, 31, v3
	v_cndmask_b32_e32 v5, s4, v5, vcc_lo
	s_ashr_i32 s3, s2, 31
	s_delay_alu instid0(SALU_CYCLE_1) | instskip(NEXT) | instid1(VALU_DEP_2)
	s_lshl_b64 s[2:3], s[2:3], 1
	v_lshlrev_b64 v[3:4], 2, v[3:4]
	s_delay_alu instid0(VALU_DEP_2) | instskip(SKIP_3) | instid1(VALU_DEP_1)
	v_ashrrev_i32_e32 v6, 31, v5
	s_add_u32 s6, s8, s2
	s_addc_u32 s15, s9, s3
	s_lshl_b32 s8, s14, 3
	v_lshlrev_b64 v[5:6], 2, v[5:6]
	v_add_co_u32 v3, vcc_lo, s7, v3
	v_add_co_ci_u32_e32 v4, vcc_lo, s13, v4, vcc_lo
	s_ashr_i32 s9, s8, 31
	s_delay_alu instid0(VALU_DEP_3) | instskip(NEXT) | instid1(VALU_DEP_4)
	v_add_co_u32 v5, vcc_lo, s7, v5
	v_add_co_ci_u32_e32 v6, vcc_lo, s13, v6, vcc_lo
	s_clause 0x1
	global_load_b32 v7, v[3:4], off
	global_load_b32 v8, v[5:6], off
	s_lshl_b64 s[8:9], s[8:9], 2
	s_delay_alu instid0(SALU_CYCLE_1) | instskip(SKIP_2) | instid1(SALU_CYCLE_1)
	s_add_u32 s8, s7, s8
	s_addc_u32 s9, s13, s9
	s_or_b32 s16, s12, 32
	s_ashr_i32 s19, s16, 5
	s_cmp_lt_i32 s16, s17
	s_cselect_b32 s20, s19, s4
	s_delay_alu instid0(SALU_CYCLE_1) | instskip(NEXT) | instid1(SALU_CYCLE_1)
	s_ashr_i32 s21, s20, 31
	s_lshl_b64 s[20:21], s[20:21], 2
	s_delay_alu instid0(SALU_CYCLE_1) | instskip(SKIP_2) | instid1(SALU_CYCLE_1)
	s_add_u32 s20, s7, s20
	s_addc_u32 s21, s13, s21
	s_or_b32 s16, s12, 64
	s_ashr_i32 s19, s16, 5
	s_cmp_lt_i32 s16, s17
	s_cselect_b32 s22, s19, s4
	s_delay_alu instid0(SALU_CYCLE_1) | instskip(NEXT) | instid1(SALU_CYCLE_1)
	s_ashr_i32 s23, s22, 31
	s_lshl_b64 s[22:23], s[22:23], 2
	s_delay_alu instid0(SALU_CYCLE_1) | instskip(SKIP_2) | instid1(SALU_CYCLE_1)
	s_add_u32 s22, s7, s22
	s_addc_u32 s23, s13, s23
	s_or_b32 s16, s12, 0x60
	s_ashr_i32 s19, s16, 5
	s_cmp_lt_i32 s16, s17
	s_cselect_b32 s24, s19, s4
	s_delay_alu instid0(SALU_CYCLE_1) | instskip(NEXT) | instid1(SALU_CYCLE_1)
	s_ashr_i32 s25, s24, 31
	s_lshl_b64 s[24:25], s[24:25], 2
	s_delay_alu instid0(SALU_CYCLE_1) | instskip(SKIP_2) | instid1(SALU_CYCLE_1)
	s_add_u32 s24, s7, s24
	s_addc_u32 s25, s13, s25
	s_or_b32 s16, s12, 0x80
	s_ashr_i32 s19, s16, 5
	s_cmp_lt_i32 s16, s17
	s_cselect_b32 s26, s19, s4
	s_delay_alu instid0(SALU_CYCLE_1) | instskip(NEXT) | instid1(SALU_CYCLE_1)
	s_ashr_i32 s27, s26, 31
	s_lshl_b64 s[26:27], s[26:27], 2
	s_delay_alu instid0(SALU_CYCLE_1) | instskip(SKIP_2) | instid1(SALU_CYCLE_1)
	s_add_u32 s26, s7, s26
	s_addc_u32 s27, s13, s27
	s_or_b32 s16, s12, 0xa0
	s_ashr_i32 s19, s16, 5
	s_cmp_lt_i32 s16, s17
	s_cselect_b32 s34, s19, s4
	s_delay_alu instid0(SALU_CYCLE_1) | instskip(NEXT) | instid1(SALU_CYCLE_1)
	s_ashr_i32 s35, s34, 31
	s_lshl_b64 s[34:35], s[34:35], 2
	s_delay_alu instid0(SALU_CYCLE_1)
	s_add_u32 s34, s7, s34
	s_addc_u32 s35, s13, s35
	s_clause 0x5
	s_load_b32 s16, s[8:9], 0x0
	s_load_b32 s19, s[20:21], 0x0
	;; [unrolled: 1-line block ×6, first 2 shown]
	s_mov_b32 s20, 0
	s_delay_alu instid0(SALU_CYCLE_1)
	s_mov_b32 s27, s20
	s_mov_b32 s24, s20
	;; [unrolled: 1-line block ×7, first 2 shown]
	v_dual_mov_b32 v108, s27 :: v_dual_mov_b32 v105, s24
	v_dual_mov_b32 v107, s26 :: v_dual_mov_b32 v106, s25
	v_dual_mov_b32 v104, s23 :: v_dual_mov_b32 v103, s22
	v_dual_mov_b32 v102, s21 :: v_dual_mov_b32 v101, s20
	s_waitcnt lgkmcnt(0)
	s_mul_hi_i32 s21, s16, s5
	s_mul_i32 s20, s16, s5
	s_mul_hi_i32 s23, s19, s5
	s_mul_i32 s22, s19, s5
	;; [unrolled: 2-line block ×5, first 2 shown]
	s_waitcnt vmcnt(1)
	v_mad_i64_i32 v[3:4], null, v7, s5, 0
	s_waitcnt vmcnt(0)
	v_mad_i64_i32 v[5:6], null, v8, s5, 0
	s_delay_alu instid0(VALU_DEP_2) | instskip(NEXT) | instid1(VALU_DEP_2)
	v_lshlrev_b64 v[3:4], 1, v[3:4]
	v_lshlrev_b64 v[1:2], 1, v[5:6]
	s_delay_alu instid0(VALU_DEP_2) | instskip(NEXT) | instid1(VALU_DEP_3)
	v_add_co_u32 v3, vcc_lo, s6, v3
	v_add_co_ci_u32_e32 v4, vcc_lo, s15, v4, vcc_lo
	s_delay_alu instid0(VALU_DEP_3) | instskip(NEXT) | instid1(VALU_DEP_4)
	v_add_co_u32 v1, vcc_lo, s6, v1
	v_add_co_ci_u32_e32 v2, vcc_lo, s15, v2, vcc_lo
	s_delay_alu instid0(VALU_DEP_4) | instskip(NEXT) | instid1(VALU_DEP_4)
	v_add_co_u32 v65, vcc_lo, v3, v81
	v_add_co_ci_u32_e32 v66, vcc_lo, v4, v82, vcc_lo
	s_delay_alu instid0(VALU_DEP_4) | instskip(NEXT) | instid1(VALU_DEP_4)
	v_add_co_u32 v76, vcc_lo, v1, v81
	v_add_co_ci_u32_e32 v77, vcc_lo, v2, v82, vcc_lo
	s_clause 0xf
	global_load_b128 v[1:4], v[65:66], off
	global_load_b128 v[5:8], v[65:66], off offset:512
	global_load_b128 v[9:12], v[76:77], off offset:256
	;; [unrolled: 1-line block ×15, first 2 shown]
	v_add_co_u32 v78, vcc_lo, 0x1000, v65
	v_add_co_ci_u32_e32 v79, vcc_lo, 0, v66, vcc_lo
	v_cmp_gt_u32_e32 vcc_lo, 12, v73
	s_clause 0x1
	global_load_b128 v[65:68], v[78:79], off
	global_load_b128 v[69:72], v[78:79], off offset:512
	s_or_b32 s6, s12, 0xc0
	v_cndmask_b32_e32 v80, v80, v73, vcc_lo
	v_add_co_u32 v76, vcc_lo, 0x1000, v76
	v_add_co_ci_u32_e32 v77, vcc_lo, 0, v77, vcc_lo
	s_delay_alu instid0(VALU_DEP_3)
	v_lshlrev_b32_e32 v80, 6, v80
	ds_load_b128 v[85:88], v80
	ds_load_b128 v[89:92], v80 offset:1024
	s_clause 0x1
	global_load_b128 v[93:96], v[76:77], off offset:256
	global_load_b128 v[97:100], v[76:77], off offset:768
	ds_load_b128 v[109:112], v80 offset:2048
	ds_load_b128 v[113:116], v80 offset:3072
	s_ashr_i32 s8, s6, 5
	s_cmp_lt_i32 s6, s17
	s_cselect_b32 s8, s8, s4
	s_delay_alu instid0(SALU_CYCLE_1) | instskip(NEXT) | instid1(SALU_CYCLE_1)
	s_ashr_i32 s9, s8, 31
	s_lshl_b64 s[8:9], s[8:9], 2
	s_delay_alu instid0(SALU_CYCLE_1) | instskip(SKIP_2) | instid1(SALU_CYCLE_1)
	s_add_u32 s8, s7, s8
	s_addc_u32 s9, s13, s9
	s_or_b32 s6, s12, 0xe0
	s_ashr_i32 s15, s6, 5
	s_cmp_lt_i32 s6, s17
	s_cselect_b32 s24, s15, s4
	s_delay_alu instid0(SALU_CYCLE_1) | instskip(NEXT) | instid1(SALU_CYCLE_1)
	s_ashr_i32 s25, s24, 31
	s_lshl_b64 s[24:25], s[24:25], 2
	s_delay_alu instid0(SALU_CYCLE_1) | instskip(SKIP_2) | instid1(SALU_CYCLE_1)
	s_add_u32 s24, s7, s24
	s_addc_u32 s25, s13, s25
	s_add_i32 s6, s12, 0x100
	s_ashr_i32 s15, s6, 5
	s_cmp_lt_i32 s6, s17
	s_cselect_b32 s36, s15, s4
	s_delay_alu instid0(SALU_CYCLE_1) | instskip(NEXT) | instid1(SALU_CYCLE_1)
	s_ashr_i32 s37, s36, 31
	s_lshl_b64 s[36:37], s[36:37], 2
	s_delay_alu instid0(SALU_CYCLE_1)
	s_add_u32 s6, s7, s36
	s_addc_u32 s7, s13, s37
	s_add_u32 s4, s10, s2
	s_addc_u32 s19, s11, s3
	s_lshl_b64 s[2:3], s[20:21], 1
	s_lshl_b64 s[10:11], s[26:27], 1
	;; [unrolled: 1-line block ×3, first 2 shown]
	s_waitcnt vmcnt(18) lgkmcnt(2)
	v_wmma_f32_16x16x16_bf16 v[117:124], v[1:8], v[85:92], v[101:108]
	s_waitcnt vmcnt(16)
	v_wmma_f32_16x16x16_bf16 v[101:108], v[9:16], v[85:92], v[101:108]
	s_clause 0x3
	global_load_b128 v[1:4], v[78:79], off offset:1024
	global_load_b128 v[5:8], v[78:79], off offset:1536
	;; [unrolled: 1-line block ×4, first 2 shown]
	s_waitcnt vmcnt(18) lgkmcnt(0)
	v_wmma_f32_16x16x16_bf16 v[117:124], v[17:24], v[109:116], v[117:124]
	s_clause 0x1
	global_load_b128 v[17:20], v[78:79], off offset:2048
	global_load_b128 v[21:24], v[78:79], off offset:2560
	s_waitcnt vmcnt(18)
	v_wmma_f32_16x16x16_bf16 v[101:108], v[25:32], v[109:116], v[101:108]
	ds_load_b128 v[25:28], v80 offset:4096
	ds_load_b128 v[29:32], v80 offset:5120
	s_clause 0x5
	global_load_b128 v[109:112], v[76:77], off offset:2304
	global_load_b128 v[113:116], v[76:77], off offset:2816
	;; [unrolled: 1-line block ×6, first 2 shown]
	s_waitcnt vmcnt(22) lgkmcnt(0)
	v_wmma_f32_16x16x16_bf16 v[117:124], v[33:40], v[25:32], v[117:124]
	s_waitcnt vmcnt(20)
	v_wmma_f32_16x16x16_bf16 v[101:108], v[41:48], v[25:32], v[101:108]
	ds_load_b128 v[25:28], v80 offset:6144
	ds_load_b128 v[29:32], v80 offset:7168
	;; [unrolled: 1-line block ×4, first 2 shown]
	s_waitcnt vmcnt(18) lgkmcnt(2)
	v_wmma_f32_16x16x16_bf16 v[117:124], v[49:56], v[25:32], v[117:124]
	s_waitcnt vmcnt(16)
	v_wmma_f32_16x16x16_bf16 v[101:108], v[57:64], v[25:32], v[101:108]
	ds_load_b128 v[25:28], v80 offset:10240
	ds_load_b128 v[29:32], v80 offset:11264
	ds_load_b128 v[141:144], v80 offset:12288
	ds_load_b128 v[145:148], v80 offset:13312
	ds_load_b128 v[149:152], v80 offset:14336
	ds_load_b128 v[153:156], v80 offset:15360
	s_waitcnt vmcnt(14) lgkmcnt(6)
	v_wmma_f32_16x16x16_bf16 v[117:124], v[65:72], v[33:40], v[117:124]
	s_waitcnt vmcnt(12)
	v_wmma_f32_16x16x16_bf16 v[101:108], v[93:100], v[33:40], v[101:108]
	s_clause 0x2
	s_load_b32 s16, s[8:9], 0x0
	s_load_b32 s13, s[24:25], 0x0
	;; [unrolled: 1-line block ×3, first 2 shown]
	s_lshl_b64 s[6:7], s[22:23], 1
	s_mul_hi_i32 s9, s33, s5
	s_mul_i32 s8, s33, s5
	s_lshl_b64 s[22:23], s[38:39], 1
	s_lshl_b64 s[8:9], s[8:9], 1
	s_waitcnt lgkmcnt(0)
	s_mul_hi_i32 s25, s16, s5
	s_mul_i32 s24, s16, s5
	s_waitcnt vmcnt(10)
	v_wmma_f32_16x16x16_bf16 v[117:124], v[1:8], v[25:32], v[117:124]
	s_waitcnt vmcnt(8)
	v_wmma_f32_16x16x16_bf16 v[101:108], v[9:16], v[25:32], v[101:108]
	s_waitcnt vmcnt(6)
	s_delay_alu instid0(VALU_DEP_2) | instskip(SKIP_1) | instid1(VALU_DEP_2)
	v_wmma_f32_16x16x16_bf16 v[117:124], v[17:24], v[141:148], v[117:124]
	s_waitcnt vmcnt(4)
	v_wmma_f32_16x16x16_bf16 v[101:108], v[109:116], v[141:148], v[101:108]
	s_waitcnt vmcnt(2)
	s_delay_alu instid0(VALU_DEP_2) | instskip(SKIP_3) | instid1(VALU_DEP_3)
	v_wmma_f32_16x16x16_bf16 v[117:124], v[125:132], v[149:156], v[117:124]
	v_lshlrev_b32_e32 v85, 6, v73
	s_waitcnt vmcnt(0)
	v_wmma_f32_16x16x16_bf16 v[101:108], v[133:140], v[149:156], v[101:108]
	v_mul_f32_e32 v100, s18, v124
	s_delay_alu instid0(VALU_DEP_3) | instskip(SKIP_2) | instid1(VALU_DEP_3)
	v_lshl_or_b32 v41, v74, 10, v85
	v_mul_f32_e32 v99, s18, v118
	v_mul_f32_e32 v97, s18, v117
	v_add_co_u32 v76, s4, s4, v41
	s_delay_alu instid0(VALU_DEP_1) | instskip(NEXT) | instid1(VALU_DEP_2)
	v_add_co_ci_u32_e64 v77, null, s19, 0, s4
	v_add_co_u32 v41, vcc_lo, v76, s2
	s_delay_alu instid0(VALU_DEP_2)
	v_add_co_ci_u32_e32 v42, vcc_lo, s3, v77, vcc_lo
	v_add_co_u32 v33, vcc_lo, v76, s6
	v_add_co_ci_u32_e32 v34, vcc_lo, s7, v77, vcc_lo
	v_add_co_u32 v35, vcc_lo, v76, s10
	;; [unrolled: 2-line block ×5, first 2 shown]
	s_lshl_b64 s[2:3], s[24:25], 1
	v_add_co_ci_u32_e32 v6, vcc_lo, s23, v77, vcc_lo
	s_mul_hi_i32 s7, s13, s5
	s_mul_i32 s6, s13, s5
	v_add_co_u32 v17, vcc_lo, v76, s2
	v_add_co_ci_u32_e32 v18, vcc_lo, s3, v77, vcc_lo
	s_lshl_b64 s[2:3], s[6:7], 1
	s_mul_hi_i32 s7, s15, s5
	s_mul_i32 s6, s15, s5
	v_add_co_u32 v19, vcc_lo, v76, s2
	v_add_co_ci_u32_e32 v20, vcc_lo, s3, v77, vcc_lo
	s_lshl_b64 s[2:3], s[6:7], 1
	s_clause 0x1
	global_load_b128 v[65:68], v[41:42], off
	global_load_b128 v[69:72], v[41:42], off offset:16
	v_add_co_u32 v21, vcc_lo, v76, s2
	v_add_co_ci_u32_e32 v22, vcc_lo, s3, v77, vcc_lo
	s_clause 0xf
	global_load_b128 v[57:60], v[33:34], off
	global_load_b128 v[61:64], v[33:34], off offset:16
	global_load_b128 v[49:52], v[35:36], off
	global_load_b128 v[53:56], v[35:36], off offset:16
	;; [unrolled: 2-line block ×8, first 2 shown]
	v_mbcnt_lo_u32_b32 v77, -1, 0
	s_waitcnt vmcnt(0)
	s_barrier
	buffer_gl0_inv
	v_xor_b32_e32 v78, 16, v77
	s_delay_alu instid0(VALU_DEP_1) | instskip(SKIP_1) | instid1(VALU_DEP_1)
	v_cmp_gt_i32_e32 vcc_lo, 32, v78
	v_dual_cndmask_b32 v77, v77, v78 :: v_dual_and_b32 v76, 0xe0, v0
	v_add_nc_u32_e32 v76, s12, v76
	s_delay_alu instid0(VALU_DEP_1) | instskip(NEXT) | instid1(VALU_DEP_1)
	v_or_b32_e32 v76, v76, v83
	v_or_b32_e32 v78, 2, v76
	;; [unrolled: 1-line block ×4, first 2 shown]
	v_cmp_gt_i32_e32 vcc_lo, s17, v76
	v_or_b32_e32 v86, 8, v76
	v_cmp_gt_i32_e64 s2, s17, v78
	v_or_b32_e32 v87, 10, v76
	v_or_b32_e32 v88, 12, v76
	;; [unrolled: 1-line block ×11, first 2 shown]
	v_cndmask_b32_e32 v76, 0xff7fffff, v97, vcc_lo
	v_cmp_gt_i32_e64 s3, s17, v80
	v_mul_f32_e32 v80, s18, v119
	v_cndmask_b32_e64 v78, 0xff7fffff, v99, s2
	v_mul_f32_e32 v99, s18, v120
	v_cmp_gt_i32_e64 s4, s17, v79
	v_mul_f32_e32 v97, s18, v123
	v_mul_f32_e32 v79, s18, v122
	v_max3_f32 v76, v76, 0xff7fffff, v78
	v_mul_f32_e32 v78, s18, v121
	v_cndmask_b32_e64 v80, 0xff7fffff, v80, s4
	v_cmp_gt_i32_e64 s5, s17, v86
	v_cmp_gt_i32_e64 s6, s17, v87
	v_mul_f32_e32 v86, s18, v107
	v_cndmask_b32_e64 v99, 0xff7fffff, v99, s3
	v_cmp_gt_i32_e64 s7, s17, v89
	v_cndmask_b32_e64 v78, 0xff7fffff, v78, s5
	v_cmp_gt_i32_e64 s8, s17, v88
	v_mul_f32_e32 v89, s18, v101
	v_max3_f32 v76, v76, v80, v99
	v_mul_f32_e32 v80, s18, v108
	v_cndmask_b32_e64 v79, 0xff7fffff, v79, s6
	v_dual_mul_f32 v99, s18, v105 :: v_dual_mul_f32 v88, s18, v102
	v_cndmask_b32_e64 v97, 0xff7fffff, v97, s8
	v_cndmask_b32_e64 v100, 0xff7fffff, v100, s7
	s_delay_alu instid0(VALU_DEP_4) | instskip(SKIP_4) | instid1(VALU_DEP_4)
	v_max3_f32 v76, v76, v78, v79
	v_cmp_gt_i32_e64 s9, s17, v90
	v_cmp_gt_i32_e64 s10, s17, v91
	v_dual_mul_f32 v87, s18, v106 :: v_dual_mul_f32 v78, s18, v104
	v_mul_f32_e32 v79, s18, v103
	v_cndmask_b32_e64 v89, 0xff7fffff, v89, s9
	s_delay_alu instid0(VALU_DEP_4)
	v_cndmask_b32_e64 v88, 0xff7fffff, v88, s10
	v_max3_f32 v76, v76, v97, v100
	v_cmp_gt_i32_e64 s11, s17, v92
	v_cmp_gt_i32_e64 s12, s17, v93
	;; [unrolled: 1-line block ×4, first 2 shown]
	v_max3_f32 v76, v76, v89, v88
	v_cndmask_b32_e64 v79, 0xff7fffff, v79, s11
	v_cndmask_b32_e64 v78, 0xff7fffff, v78, s12
	;; [unrolled: 1-line block ×4, first 2 shown]
	v_cmp_gt_i32_e64 s16, s17, v96
	v_cmp_gt_i32_e64 s17, s17, v98
	v_max3_f32 v76, v76, v79, v78
	v_lshlrev_b32_e32 v99, 2, v77
	s_delay_alu instid0(VALU_DEP_4) | instskip(NEXT) | instid1(VALU_DEP_4)
	v_cndmask_b32_e64 v78, 0xff7fffff, v86, s16
	v_cndmask_b32_e64 v79, 0xff7fffff, v80, s17
	s_delay_alu instid0(VALU_DEP_4) | instskip(NEXT) | instid1(VALU_DEP_1)
	v_max3_f32 v76, v76, v88, v87
	v_max3_f32 v76, v76, v78, v79
	ds_bpermute_b32 v77, v99, v76
	s_waitcnt lgkmcnt(0)
	v_max_f32_e32 v77, v77, v77
	s_delay_alu instid0(VALU_DEP_1) | instskip(NEXT) | instid1(VALU_DEP_1)
	v_max_f32_e32 v76, v76, v77
	v_fma_f32 v78, s18, v118, -v76
	v_fma_f32 v77, s18, v117, -v76
	;; [unrolled: 1-line block ×5, first 2 shown]
	v_mul_f32_e32 v78, 0x3fb8aa3b, v78
	v_fma_f32 v87, s18, v123, -v76
	v_fma_f32 v88, s18, v105, -v76
	v_mul_f32_e32 v80, 0x3fb8aa3b, v80
	v_mul_f32_e32 v86, 0x3fb8aa3b, v86
	v_exp_f32_e32 v78, v78
	v_fma_f32 v90, s18, v107, -v76
	v_fma_f32 v100, s18, v108, -v76
	v_exp_f32_e32 v80, v80
	v_exp_f32_e32 v86, v86
	v_mul_f32_e32 v88, 0x3fb8aa3b, v88
	s_delay_alu instid0(VALU_DEP_2) | instskip(NEXT) | instid1(TRANS32_DEP_3)
	v_mul_f32_e32 v100, 0x3fb8aa3b, v100
	v_cndmask_b32_e64 v91, 0, v78, s2
	v_mul_f32_e32 v77, 0x3fb8aa3b, v77
	s_delay_alu instid0(VALU_DEP_4) | instskip(NEXT) | instid1(TRANS32_DEP_3)
	v_exp_f32_e32 v88, v88
	v_cndmask_b32_e64 v95, 0, v80, s3
	v_fma_f32 v80, s18, v101, -v76
	s_delay_alu instid0(TRANS32_DEP_2)
	v_cndmask_b32_e64 v96, 0, v86, s5
	v_exp_f32_e32 v77, v77
	v_mul_f32_e32 v79, 0x3fb8aa3b, v79
	v_fma_f32 v86, s18, v102, -v76
	v_mul_f32_e32 v80, 0x3fb8aa3b, v80
	s_mov_b32 s2, exec_lo
	v_exp_f32_e32 v100, v100
	s_delay_alu instid0(VALU_DEP_1) | instskip(NEXT) | instid1(TRANS32_DEP_3)
	v_exp_f32_e32 v80, v80
	v_cndmask_b32_e32 v92, 0, v77, vcc_lo
	v_exp_f32_e32 v79, v79
	v_fma_f32 v77, s18, v122, -v76
	s_delay_alu instid0(VALU_DEP_2) | instskip(NEXT) | instid1(VALU_DEP_1)
	v_add_f32_e32 v78, 0, v92
	v_add_f32_e32 v78, v78, v91
	s_waitcnt_depctr 0xfff
	v_cndmask_b32_e64 v93, 0, v79, s4
	v_mul_f32_e32 v87, 0x3fb8aa3b, v87
	v_fma_f32 v79, s18, v124, -v76
	s_delay_alu instid0(VALU_DEP_3) | instskip(SKIP_1) | instid1(VALU_DEP_3)
	v_add_f32_e32 v78, v78, v93
	v_mul_f32_e32 v77, 0x3fb8aa3b, v77
	v_mul_f32_e32 v79, 0x3fb8aa3b, v79
	v_exp_f32_e32 v87, v87
	s_delay_alu instid0(VALU_DEP_3) | instskip(NEXT) | instid1(VALU_DEP_3)
	v_add_f32_e32 v78, v78, v95
	v_exp_f32_e32 v77, v77
	s_delay_alu instid0(VALU_DEP_2) | instskip(NEXT) | instid1(TRANS32_DEP_3)
	v_exp_f32_e32 v79, v79
	v_cndmask_b32_e64 v94, 0, v87, s8
	v_fma_f32 v87, s18, v104, -v76
	s_waitcnt_depctr 0xfff
	v_cndmask_b32_e64 v97, 0, v77, s6
	v_add_f32_e32 v77, v78, v96
	v_fma_f32 v78, s18, v103, -v76
	v_mul_f32_e32 v86, 0x3fb8aa3b, v86
	v_cndmask_b32_e64 v98, 0, v79, s7
	v_mul_f32_e32 v87, 0x3fb8aa3b, v87
	s_delay_alu instid0(VALU_DEP_4) | instskip(NEXT) | instid1(VALU_DEP_4)
	v_dual_add_f32 v77, v77, v97 :: v_dual_mul_f32 v78, 0x3fb8aa3b, v78
	v_exp_f32_e32 v86, v86
	s_delay_alu instid0(VALU_DEP_2) | instskip(NEXT) | instid1(VALU_DEP_1)
	v_exp_f32_e32 v87, v87
	v_add_f32_e32 v79, v77, v94
	s_delay_alu instid0(VALU_DEP_2) | instskip(SKIP_2) | instid1(VALU_DEP_3)
	v_exp_f32_e32 v89, v78
	v_cndmask_b32_e64 v77, 0, v80, s9
	v_fma_f32 v80, s18, v106, -v76
	v_add_f32_e32 v79, v79, v98
	s_delay_alu instid0(TRANS32_DEP_3) | instskip(NEXT) | instid1(VALU_DEP_3)
	v_cndmask_b32_e64 v78, 0, v86, s10
	v_mul_f32_e32 v80, 0x3fb8aa3b, v80
	s_delay_alu instid0(VALU_DEP_3) | instskip(NEXT) | instid1(TRANS32_DEP_1)
	v_add_f32_e32 v86, v79, v77
	v_cndmask_b32_e64 v79, 0, v89, s11
	v_mul_f32_e32 v89, 0x3fb8aa3b, v90
	s_delay_alu instid0(VALU_DEP_4) | instskip(SKIP_2) | instid1(VALU_DEP_3)
	v_exp_f32_e32 v90, v80
	v_cndmask_b32_e64 v80, 0, v87, s12
	v_add_f32_e32 v86, v86, v78
	v_exp_f32_e32 v89, v89
	s_delay_alu instid0(VALU_DEP_1) | instskip(SKIP_1) | instid1(VALU_DEP_2)
	v_add_f32_e32 v87, v86, v79
	v_cndmask_b32_e64 v86, 0, v88, s13
	v_add_f32_e32 v88, v87, v80
	s_delay_alu instid0(TRANS32_DEP_2) | instskip(NEXT) | instid1(VALU_DEP_2)
	v_cndmask_b32_e64 v87, 0, v90, s15
	v_add_f32_e32 v90, v88, v86
	s_waitcnt_depctr 0xfff
	v_cndmask_b32_e64 v88, 0, v89, s16
	v_add_f32_e32 v89, v90, v87
	s_delay_alu instid0(VALU_DEP_1) | instskip(SKIP_1) | instid1(VALU_DEP_1)
	v_add_f32_e32 v90, v89, v88
	v_cndmask_b32_e64 v89, 0, v100, s17
	v_add_f32_e32 v90, v90, v89
	ds_bpermute_b32 v99, v99, v90
	v_cmpx_gt_u32_e32 16, v75
	s_cbranch_execz .LBB761_14
; %bb.13:
	v_mul_u32_u24_e32 v75, 0x44, v74
	s_waitcnt lgkmcnt(0)
	v_add_f32_e32 v90, v90, v99
	s_delay_alu instid0(VALU_DEP_2) | instskip(NEXT) | instid1(VALU_DEP_1)
	v_lshl_add_u32 v75, v73, 2, v75
	v_add_nc_u32_e32 v75, 0x4000, v75
	ds_store_2addr_b32 v75, v76, v90 offset1:136
.LBB761_14:
	s_or_b32 exec_lo, exec_lo, s2
	v_lshlrev_b32_e32 v75, 2, v73
	s_waitcnt lgkmcnt(0)
	s_barrier
	buffer_gl0_inv
	v_cmp_eq_u32_e64 s2, 1, v74
	v_add_nc_u32_e32 v90, 0x4000, v75
	ds_load_2addr_b32 v[99:100], v90 offset1:17
	ds_load_2addr_b32 v[101:102], v90 offset0:34 offset1:51
	ds_load_2addr_b32 v[103:104], v90 offset0:68 offset1:85
	;; [unrolled: 1-line block ×4, first 2 shown]
	s_waitcnt lgkmcnt(4)
	v_max3_f32 v75, v99, 0xff7fffff, v100
	s_waitcnt lgkmcnt(3)
	s_delay_alu instid0(VALU_DEP_1) | instskip(SKIP_1) | instid1(VALU_DEP_1)
	v_max3_f32 v75, v75, v101, v102
	s_waitcnt lgkmcnt(2)
	v_max3_f32 v75, v75, v103, v104
	s_waitcnt lgkmcnt(1)
	s_delay_alu instid0(VALU_DEP_1) | instskip(NEXT) | instid1(VALU_DEP_1)
	v_max3_f32 v75, v75, v105, v106
	v_sub_f32_e32 v109, v100, v75
	v_sub_f32_e32 v76, v99, v75
	ds_load_2addr_b32 v[99:100], v90 offset0:170 offset1:187
	v_sub_f32_e32 v101, v101, v75
	v_dual_mul_f32 v109, 0x3fb8aa3b, v109 :: v_dual_mul_f32 v76, 0x3fb8aa3b, v76
	s_delay_alu instid0(VALU_DEP_2) | instskip(NEXT) | instid1(VALU_DEP_2)
	v_mul_f32_e32 v111, 0x3fb8aa3b, v101
	v_exp_f32_e32 v109, v109
	s_delay_alu instid0(VALU_DEP_2)
	v_exp_f32_e32 v110, v76
	v_sub_f32_e32 v76, v102, v75
	ds_load_2addr_b32 v[101:102], v90 offset0:204 offset1:221
	v_exp_f32_e32 v111, v111
	v_mul_f32_e32 v112, 0x3fb8aa3b, v76
	s_waitcnt lgkmcnt(2)
	v_fma_f32 v76, v110, v107, 0
	v_sub_f32_e32 v103, v103, v75
	s_delay_alu instid0(VALU_DEP_3) | instskip(NEXT) | instid1(VALU_DEP_2)
	v_exp_f32_e32 v112, v112
	v_dual_sub_f32 v107, v104, v75 :: v_dual_fmac_f32 v76, v109, v108
	s_waitcnt lgkmcnt(1)
	s_waitcnt_depctr 0xfff
	v_fmac_f32_e32 v76, v111, v99
	v_mul_f32_e32 v113, 0x3fb8aa3b, v103
	ds_load_2addr_b32 v[103:104], v90 offset0:238 offset1:255
	v_sub_f32_e32 v90, v105, v75
	v_dual_sub_f32 v99, v106, v75 :: v_dual_fmac_f32 v76, v112, v100
	v_mul_f32_e32 v105, 0x3fb8aa3b, v107
	v_exp_f32_e32 v107, v113
	s_delay_alu instid0(VALU_DEP_2)
	v_dual_mul_f32 v90, 0x3fb8aa3b, v90 :: v_dual_mul_f32 v99, 0x3fb8aa3b, v99
	s_waitcnt lgkmcnt(0)
	s_barrier
	buffer_gl0_inv
	v_exp_f32_e32 v90, v90
	v_exp_f32_e32 v99, v99
	v_fmac_f32_e32 v76, v107, v101
	v_exp_f32_e32 v105, v105
	s_waitcnt_depctr 0xfff
	v_fmac_f32_e32 v76, v105, v102
	s_delay_alu instid0(VALU_DEP_1) | instskip(NEXT) | instid1(VALU_DEP_1)
	v_fmac_f32_e32 v76, v90, v103
	v_fmac_f32_e32 v76, v99, v104
	s_delay_alu instid0(VALU_DEP_1) | instskip(NEXT) | instid1(VALU_DEP_1)
	v_add_f32_e32 v100, 0x358637bd, v76
	v_div_scale_f32 v101, null, v100, v100, 1.0
	v_div_scale_f32 v104, vcc_lo, 1.0, v100, 1.0
	s_delay_alu instid0(VALU_DEP_2) | instskip(SKIP_2) | instid1(VALU_DEP_1)
	v_rcp_f32_e32 v102, v101
	s_waitcnt_depctr 0xfff
	v_fma_f32 v103, -v101, v102, 1.0
	v_fmac_f32_e32 v102, v103, v102
	v_cndmask_b32_e64 v103, v110, v109, s2
	v_cmp_eq_u32_e64 s2, 2, v74
	s_delay_alu instid0(VALU_DEP_3) | instskip(NEXT) | instid1(VALU_DEP_2)
	v_mul_f32_e32 v106, v104, v102
	v_cndmask_b32_e64 v103, v103, v111, s2
	v_cmp_eq_u32_e64 s2, 3, v74
	s_delay_alu instid0(VALU_DEP_3) | instskip(NEXT) | instid1(VALU_DEP_2)
	v_fma_f32 v108, -v101, v106, v104
	v_cndmask_b32_e64 v103, v103, v112, s2
	v_cmp_eq_u32_e64 s2, 4, v74
	s_delay_alu instid0(VALU_DEP_3) | instskip(NEXT) | instid1(VALU_DEP_2)
	v_fmac_f32_e32 v106, v108, v102
	v_cndmask_b32_e64 v103, v103, v107, s2
	s_delay_alu instid0(VALU_DEP_2) | instskip(SKIP_1) | instid1(VALU_DEP_2)
	v_fma_f32 v101, -v101, v106, v104
	v_cmp_eq_u32_e64 s2, 5, v74
	v_div_fmas_f32 v101, v101, v102, v106
	s_delay_alu instid0(VALU_DEP_2) | instskip(SKIP_2) | instid1(VALU_DEP_3)
	v_cndmask_b32_e64 v103, v103, v105, s2
	v_cmp_eq_u32_e32 vcc_lo, 6, v74
	s_mov_b32 s2, exec_lo
	v_div_fixup_f32 v100, v101, v100, 1.0
	s_delay_alu instid0(VALU_DEP_3) | instskip(SKIP_1) | instid1(VALU_DEP_2)
	v_cndmask_b32_e32 v90, v103, v90, vcc_lo
	v_cmp_eq_u32_e32 vcc_lo, 7, v74
	v_cndmask_b32_e32 v90, v90, v99, vcc_lo
	s_delay_alu instid0(VALU_DEP_1) | instskip(NEXT) | instid1(VALU_DEP_1)
	v_mul_f32_e32 v90, v90, v100
	v_mul_f32_e32 v100, v90, v92
	;; [unrolled: 1-line block ×6, first 2 shown]
	v_and_b32_e32 v101, 0x7f800000, v100
	v_mul_f32_e32 v99, v90, v95
	v_mul_f32_e32 v95, v90, v91
	;; [unrolled: 1-line block ×3, first 2 shown]
                                        ; implicit-def: $vgpr91
	s_delay_alu instid0(VALU_DEP_4)
	v_cmpx_ne_u32_e32 0x7f800000, v101
	s_xor_b32 s2, exec_lo, s2
; %bb.15:
	v_bfe_u32 v91, v100, 16, 1
	s_delay_alu instid0(VALU_DEP_1)
	v_add3_u32 v91, v100, v91, 0x7fff
                                        ; implicit-def: $vgpr100
; %bb.16:
	s_and_not1_saveexec_b32 s2, s2
; %bb.17:
	v_and_b32_e32 v91, 0xffff, v100
	v_or_b32_e32 v93, 0x10000, v100
	s_delay_alu instid0(VALU_DEP_2) | instskip(NEXT) | instid1(VALU_DEP_2)
	v_cmp_eq_u32_e32 vcc_lo, 0, v91
	v_cndmask_b32_e32 v91, v93, v100, vcc_lo
; %bb.18:
	s_or_b32 exec_lo, exec_lo, s2
	v_and_b32_e32 v93, 0x7f800000, v95
	s_delay_alu instid0(VALU_DEP_1) | instskip(SKIP_1) | instid1(SALU_CYCLE_1)
	v_cmp_ne_u32_e32 vcc_lo, 0x7f800000, v93
                                        ; implicit-def: $vgpr93
	s_and_saveexec_b32 s2, vcc_lo
	s_xor_b32 s2, exec_lo, s2
; %bb.19:
	v_bfe_u32 v93, v95, 16, 1
	s_delay_alu instid0(VALU_DEP_1)
	v_add3_u32 v93, v95, v93, 0x7fff
                                        ; implicit-def: $vgpr95
; %bb.20:
	s_and_not1_saveexec_b32 s2, s2
; %bb.21:
	v_and_b32_e32 v93, 0xffff, v95
	v_or_b32_e32 v100, 0x10000, v95
	s_delay_alu instid0(VALU_DEP_2) | instskip(NEXT) | instid1(VALU_DEP_2)
	v_cmp_eq_u32_e32 vcc_lo, 0, v93
	v_cndmask_b32_e32 v93, v100, v95, vcc_lo
; %bb.22:
	s_or_b32 exec_lo, exec_lo, s2
	v_and_b32_e32 v95, 0x7f800000, v96
	s_delay_alu instid0(VALU_DEP_1) | instskip(SKIP_1) | instid1(SALU_CYCLE_1)
	v_cmp_ne_u32_e32 vcc_lo, 0x7f800000, v95
                                        ; implicit-def: $vgpr95
	s_and_saveexec_b32 s2, vcc_lo
	s_xor_b32 s2, exec_lo, s2
; %bb.23:
	v_bfe_u32 v95, v96, 16, 1
	s_delay_alu instid0(VALU_DEP_1)
	v_add3_u32 v95, v96, v95, 0x7fff
                                        ; implicit-def: $vgpr96
; %bb.24:
	s_and_not1_saveexec_b32 s2, s2
; %bb.25:
	v_and_b32_e32 v95, 0xffff, v96
	v_or_b32_e32 v100, 0x10000, v96
	s_delay_alu instid0(VALU_DEP_2) | instskip(NEXT) | instid1(VALU_DEP_2)
	v_cmp_eq_u32_e32 vcc_lo, 0, v95
	v_cndmask_b32_e32 v95, v100, v96, vcc_lo
; %bb.26:
	s_or_b32 exec_lo, exec_lo, s2
	v_and_b32_e32 v96, 0x7f800000, v99
	s_delay_alu instid0(VALU_DEP_1) | instskip(SKIP_1) | instid1(SALU_CYCLE_1)
	v_cmp_ne_u32_e32 vcc_lo, 0x7f800000, v96
                                        ; implicit-def: $vgpr96
	s_and_saveexec_b32 s2, vcc_lo
	s_xor_b32 s2, exec_lo, s2
; %bb.27:
	v_bfe_u32 v96, v99, 16, 1
	s_delay_alu instid0(VALU_DEP_1)
	v_add3_u32 v96, v99, v96, 0x7fff
                                        ; implicit-def: $vgpr99
; %bb.28:
	s_and_not1_saveexec_b32 s2, s2
; %bb.29:
	v_and_b32_e32 v96, 0xffff, v99
	v_or_b32_e32 v100, 0x10000, v99
	s_delay_alu instid0(VALU_DEP_2) | instskip(NEXT) | instid1(VALU_DEP_2)
	v_cmp_eq_u32_e32 vcc_lo, 0, v96
	v_cndmask_b32_e32 v96, v100, v99, vcc_lo
; %bb.30:
	s_or_b32 exec_lo, exec_lo, s2
	v_and_b32_e32 v99, 0x7f800000, v98
	s_delay_alu instid0(VALU_DEP_1) | instskip(SKIP_1) | instid1(SALU_CYCLE_1)
	v_cmp_ne_u32_e32 vcc_lo, 0x7f800000, v99
                                        ; implicit-def: $vgpr99
	s_and_saveexec_b32 s2, vcc_lo
	s_xor_b32 s2, exec_lo, s2
; %bb.31:
	v_bfe_u32 v99, v98, 16, 1
	s_delay_alu instid0(VALU_DEP_1)
	v_add3_u32 v99, v98, v99, 0x7fff
                                        ; implicit-def: $vgpr98
; %bb.32:
	s_and_not1_saveexec_b32 s2, s2
; %bb.33:
	v_and_b32_e32 v99, 0xffff, v98
	v_or_b32_e32 v100, 0x10000, v98
	s_delay_alu instid0(VALU_DEP_2) | instskip(NEXT) | instid1(VALU_DEP_2)
	v_cmp_eq_u32_e32 vcc_lo, 0, v99
	v_cndmask_b32_e32 v99, v100, v98, vcc_lo
; %bb.34:
	s_or_b32 exec_lo, exec_lo, s2
	v_and_b32_e32 v98, 0x7f800000, v97
	s_delay_alu instid0(VALU_DEP_1) | instskip(SKIP_1) | instid1(SALU_CYCLE_1)
	v_cmp_ne_u32_e32 vcc_lo, 0x7f800000, v98
                                        ; implicit-def: $vgpr98
	s_and_saveexec_b32 s2, vcc_lo
	s_xor_b32 s2, exec_lo, s2
; %bb.35:
	v_bfe_u32 v98, v97, 16, 1
	s_delay_alu instid0(VALU_DEP_1)
	v_add3_u32 v98, v97, v98, 0x7fff
                                        ; implicit-def: $vgpr97
; %bb.36:
	s_and_not1_saveexec_b32 s2, s2
; %bb.37:
	v_and_b32_e32 v98, 0xffff, v97
	v_or_b32_e32 v100, 0x10000, v97
	s_delay_alu instid0(VALU_DEP_2) | instskip(NEXT) | instid1(VALU_DEP_2)
	v_cmp_eq_u32_e32 vcc_lo, 0, v98
	v_cndmask_b32_e32 v98, v100, v97, vcc_lo
; %bb.38:
	s_or_b32 exec_lo, exec_lo, s2
	v_and_b32_e32 v97, 0x7f800000, v94
	s_delay_alu instid0(VALU_DEP_1) | instskip(SKIP_1) | instid1(SALU_CYCLE_1)
	v_cmp_ne_u32_e32 vcc_lo, 0x7f800000, v97
                                        ; implicit-def: $vgpr97
	s_and_saveexec_b32 s2, vcc_lo
	s_xor_b32 s2, exec_lo, s2
; %bb.39:
	v_bfe_u32 v97, v94, 16, 1
	s_delay_alu instid0(VALU_DEP_1)
	v_add3_u32 v97, v94, v97, 0x7fff
                                        ; implicit-def: $vgpr94
; %bb.40:
	s_and_not1_saveexec_b32 s2, s2
; %bb.41:
	v_and_b32_e32 v97, 0xffff, v94
	v_or_b32_e32 v100, 0x10000, v94
	s_delay_alu instid0(VALU_DEP_2) | instskip(NEXT) | instid1(VALU_DEP_2)
	v_cmp_eq_u32_e32 vcc_lo, 0, v97
	v_cndmask_b32_e32 v97, v100, v94, vcc_lo
; %bb.42:
	s_or_b32 exec_lo, exec_lo, s2
	v_and_b32_e32 v94, 0x7f800000, v92
	s_delay_alu instid0(VALU_DEP_1) | instskip(SKIP_1) | instid1(SALU_CYCLE_1)
	v_cmp_ne_u32_e32 vcc_lo, 0x7f800000, v94
                                        ; implicit-def: $vgpr94
	s_and_saveexec_b32 s2, vcc_lo
	s_xor_b32 s2, exec_lo, s2
; %bb.43:
	v_bfe_u32 v94, v92, 16, 1
	s_delay_alu instid0(VALU_DEP_1)
	v_add3_u32 v94, v92, v94, 0x7fff
                                        ; implicit-def: $vgpr92
; %bb.44:
	s_and_not1_saveexec_b32 s2, s2
; %bb.45:
	v_and_b32_e32 v94, 0xffff, v92
	v_or_b32_e32 v100, 0x10000, v92
	s_delay_alu instid0(VALU_DEP_2) | instskip(NEXT) | instid1(VALU_DEP_2)
	v_cmp_eq_u32_e32 vcc_lo, 0, v94
	v_cndmask_b32_e32 v94, v100, v92, vcc_lo
; %bb.46:
	s_or_b32 exec_lo, exec_lo, s2
	s_load_b64 s[34:35], s[0:1], 0x94
	v_lshlrev_b32_e32 v92, 4, v83
	s_delay_alu instid0(VALU_DEP_2)
	v_perm_b32 v100, v94, v97, 0x7060302
	v_dual_mul_f32 v89, v90, v89 :: v_dual_lshlrev_b32 v94, 11, v74
	v_perm_b32 v97, v93, v91, 0x7060302
	v_mul_f32_e32 v93, v90, v77
	v_perm_b32 v99, v98, v99, 0x7060302
	v_perm_b32 v98, v96, v95, 0x7060302
	v_or3_b32 v77, v92, v94, v85
	v_mul_f32_e32 v88, v90, v88
	v_dual_mul_f32 v87, v90, v87 :: v_dual_and_b32 v94, 0x7f800000, v93
	v_mul_f32_e32 v86, v90, v86
	v_mul_f32_e32 v91, v90, v80
	;; [unrolled: 1-line block ×4, first 2 shown]
	s_mov_b32 s2, exec_lo
	ds_store_b128 v77, v[97:100]
                                        ; implicit-def: $vgpr78
	v_cmpx_ne_u32_e32 0x7f800000, v94
	s_xor_b32 s2, exec_lo, s2
; %bb.47:
	v_bfe_u32 v78, v93, 16, 1
	s_delay_alu instid0(VALU_DEP_1)
	v_add3_u32 v78, v93, v78, 0x7fff
                                        ; implicit-def: $vgpr93
; %bb.48:
	s_and_not1_saveexec_b32 s2, s2
; %bb.49:
	v_and_b32_e32 v78, 0xffff, v93
	v_or_b32_e32 v79, 0x10000, v93
	s_delay_alu instid0(VALU_DEP_2) | instskip(NEXT) | instid1(VALU_DEP_2)
	v_cmp_eq_u32_e32 vcc_lo, 0, v78
	v_cndmask_b32_e32 v78, v79, v93, vcc_lo
; %bb.50:
	s_or_b32 exec_lo, exec_lo, s2
	v_and_b32_e32 v79, 0x7f800000, v80
	s_delay_alu instid0(VALU_DEP_1) | instskip(SKIP_1) | instid1(SALU_CYCLE_1)
	v_cmp_ne_u32_e32 vcc_lo, 0x7f800000, v79
                                        ; implicit-def: $vgpr79
	s_and_saveexec_b32 s2, vcc_lo
	s_xor_b32 s2, exec_lo, s2
; %bb.51:
	v_bfe_u32 v79, v80, 16, 1
	s_delay_alu instid0(VALU_DEP_1)
	v_add3_u32 v79, v80, v79, 0x7fff
                                        ; implicit-def: $vgpr80
; %bb.52:
	s_and_not1_saveexec_b32 s2, s2
; %bb.53:
	v_and_b32_e32 v79, 0xffff, v80
	v_or_b32_e32 v90, 0x10000, v80
	s_delay_alu instid0(VALU_DEP_2) | instskip(NEXT) | instid1(VALU_DEP_2)
	v_cmp_eq_u32_e32 vcc_lo, 0, v79
	v_cndmask_b32_e32 v79, v90, v80, vcc_lo
; %bb.54:
	s_or_b32 exec_lo, exec_lo, s2
	v_and_b32_e32 v80, 0x7f800000, v92
	s_delay_alu instid0(VALU_DEP_1) | instskip(SKIP_1) | instid1(SALU_CYCLE_1)
	v_cmp_ne_u32_e32 vcc_lo, 0x7f800000, v80
                                        ; implicit-def: $vgpr80
	s_and_saveexec_b32 s2, vcc_lo
	s_xor_b32 s2, exec_lo, s2
; %bb.55:
	v_bfe_u32 v80, v92, 16, 1
	s_delay_alu instid0(VALU_DEP_1)
	v_add3_u32 v80, v92, v80, 0x7fff
                                        ; implicit-def: $vgpr92
; %bb.56:
	s_and_not1_saveexec_b32 s2, s2
; %bb.57:
	v_and_b32_e32 v80, 0xffff, v92
	v_or_b32_e32 v90, 0x10000, v92
	s_delay_alu instid0(VALU_DEP_2) | instskip(NEXT) | instid1(VALU_DEP_2)
	v_cmp_eq_u32_e32 vcc_lo, 0, v80
	v_cndmask_b32_e32 v80, v90, v92, vcc_lo
; %bb.58:
	s_or_b32 exec_lo, exec_lo, s2
	v_and_b32_e32 v90, 0x7f800000, v91
	s_delay_alu instid0(VALU_DEP_1) | instskip(SKIP_1) | instid1(SALU_CYCLE_1)
	v_cmp_ne_u32_e32 vcc_lo, 0x7f800000, v90
                                        ; implicit-def: $vgpr90
	s_and_saveexec_b32 s2, vcc_lo
	s_xor_b32 s2, exec_lo, s2
; %bb.59:
	v_bfe_u32 v90, v91, 16, 1
	s_delay_alu instid0(VALU_DEP_1)
	v_add3_u32 v90, v91, v90, 0x7fff
                                        ; implicit-def: $vgpr91
; %bb.60:
	s_and_not1_saveexec_b32 s2, s2
; %bb.61:
	v_and_b32_e32 v90, 0xffff, v91
	v_or_b32_e32 v92, 0x10000, v91
	s_delay_alu instid0(VALU_DEP_2) | instskip(NEXT) | instid1(VALU_DEP_2)
	v_cmp_eq_u32_e32 vcc_lo, 0, v90
	v_cndmask_b32_e32 v90, v92, v91, vcc_lo
; %bb.62:
	s_or_b32 exec_lo, exec_lo, s2
	v_and_b32_e32 v91, 0x7f800000, v86
	s_delay_alu instid0(VALU_DEP_1) | instskip(SKIP_1) | instid1(SALU_CYCLE_1)
	v_cmp_ne_u32_e32 vcc_lo, 0x7f800000, v91
                                        ; implicit-def: $vgpr91
	s_and_saveexec_b32 s2, vcc_lo
	s_xor_b32 s2, exec_lo, s2
; %bb.63:
	v_bfe_u32 v91, v86, 16, 1
	s_delay_alu instid0(VALU_DEP_1)
	v_add3_u32 v91, v86, v91, 0x7fff
                                        ; implicit-def: $vgpr86
; %bb.64:
	s_and_not1_saveexec_b32 s2, s2
; %bb.65:
	v_and_b32_e32 v91, 0xffff, v86
	v_or_b32_e32 v92, 0x10000, v86
	s_delay_alu instid0(VALU_DEP_2) | instskip(NEXT) | instid1(VALU_DEP_2)
	v_cmp_eq_u32_e32 vcc_lo, 0, v91
	v_cndmask_b32_e32 v91, v92, v86, vcc_lo
; %bb.66:
	s_or_b32 exec_lo, exec_lo, s2
	v_and_b32_e32 v86, 0x7f800000, v87
	s_delay_alu instid0(VALU_DEP_1) | instskip(SKIP_1) | instid1(SALU_CYCLE_1)
	v_cmp_ne_u32_e32 vcc_lo, 0x7f800000, v86
                                        ; implicit-def: $vgpr86
	s_and_saveexec_b32 s2, vcc_lo
	s_xor_b32 s2, exec_lo, s2
; %bb.67:
	v_bfe_u32 v86, v87, 16, 1
	s_delay_alu instid0(VALU_DEP_1)
	v_add3_u32 v86, v87, v86, 0x7fff
                                        ; implicit-def: $vgpr87
; %bb.68:
	s_and_not1_saveexec_b32 s2, s2
; %bb.69:
	v_and_b32_e32 v86, 0xffff, v87
	v_or_b32_e32 v92, 0x10000, v87
	s_delay_alu instid0(VALU_DEP_2) | instskip(NEXT) | instid1(VALU_DEP_2)
	v_cmp_eq_u32_e32 vcc_lo, 0, v86
	v_cndmask_b32_e32 v86, v92, v87, vcc_lo
; %bb.70:
	s_or_b32 exec_lo, exec_lo, s2
	v_and_b32_e32 v87, 0x7f800000, v88
	s_delay_alu instid0(VALU_DEP_1) | instskip(SKIP_1) | instid1(SALU_CYCLE_1)
	v_cmp_ne_u32_e32 vcc_lo, 0x7f800000, v87
                                        ; implicit-def: $vgpr87
	s_and_saveexec_b32 s2, vcc_lo
	s_xor_b32 s2, exec_lo, s2
; %bb.71:
	v_bfe_u32 v87, v88, 16, 1
	s_delay_alu instid0(VALU_DEP_1)
	v_add3_u32 v87, v88, v87, 0x7fff
                                        ; implicit-def: $vgpr88
; %bb.72:
	s_and_not1_saveexec_b32 s2, s2
; %bb.73:
	v_and_b32_e32 v87, 0xffff, v88
	v_or_b32_e32 v92, 0x10000, v88
	s_delay_alu instid0(VALU_DEP_2) | instskip(NEXT) | instid1(VALU_DEP_2)
	v_cmp_eq_u32_e32 vcc_lo, 0, v87
	v_cndmask_b32_e32 v87, v92, v88, vcc_lo
; %bb.74:
	s_or_b32 exec_lo, exec_lo, s2
	v_and_b32_e32 v88, 0x7f800000, v89
	s_delay_alu instid0(VALU_DEP_1) | instskip(SKIP_1) | instid1(SALU_CYCLE_1)
	v_cmp_ne_u32_e32 vcc_lo, 0x7f800000, v88
                                        ; implicit-def: $vgpr88
	s_and_saveexec_b32 s2, vcc_lo
	s_xor_b32 s2, exec_lo, s2
; %bb.75:
	v_bfe_u32 v88, v89, 16, 1
	s_delay_alu instid0(VALU_DEP_1)
	v_add3_u32 v88, v89, v88, 0x7fff
                                        ; implicit-def: $vgpr89
; %bb.76:
	s_and_not1_saveexec_b32 s2, s2
; %bb.77:
	v_and_b32_e32 v88, 0xffff, v89
	v_or_b32_e32 v92, 0x10000, v89
	s_delay_alu instid0(VALU_DEP_2) | instskip(NEXT) | instid1(VALU_DEP_2)
	v_cmp_eq_u32_e32 vcc_lo, 0, v88
	v_cndmask_b32_e32 v88, v92, v89, vcc_lo
; %bb.78:
	s_or_b32 exec_lo, exec_lo, s2
	s_delay_alu instid0(VALU_DEP_1)
	v_perm_b32 v89, v88, v87, 0x7060302
	v_perm_b32 v88, v86, v91, 0x7060302
	;; [unrolled: 1-line block ×4, first 2 shown]
	v_lshl_or_b32 v90, v74, 11, v85
	ds_store_b128 v77, v[86:89] offset:1024
	s_waitcnt lgkmcnt(0)
	s_barrier
	buffer_gl0_inv
	ds_load_b128 v[91:94], v90
	ds_load_b128 v[95:98], v90 offset:16
	v_lshlrev_b32_e32 v87, 2, v83
	s_delay_alu instid0(VALU_DEP_1)
	v_or_b32_e32 v88, 1, v87
	v_cmp_eq_u32_e32 vcc_lo, 1, v87
	v_cmp_eq_u32_e64 s3, 2, v87
	v_cmp_eq_u32_e64 s6, 3, v87
	;; [unrolled: 1-line block ×6, first 2 shown]
	v_or_b32_e32 v86, 2, v87
	v_cmp_eq_u32_e64 s9, 5, v87
	v_cmp_eq_u32_e64 s10, 4, v88
	;; [unrolled: 1-line block ×4, first 2 shown]
	s_waitcnt lgkmcnt(1)
	v_lshrrev_b32_e32 v74, 16, v91
	s_waitcnt lgkmcnt(0)
	v_lshrrev_b32_e32 v103, 16, v95
	v_lshrrev_b32_e32 v80, 16, v94
	;; [unrolled: 1-line block ×4, first 2 shown]
	v_cndmask_b32_e32 v89, v91, v74, vcc_lo
	v_cndmask_b32_e32 v99, v95, v103, vcc_lo
	v_cndmask_b32_e64 v100, v91, v74, s2
	v_lshrrev_b32_e32 v79, 16, v93
	v_lshrrev_b32_e32 v108, 16, v97
	v_cndmask_b32_e64 v89, v89, v92, s3
	v_cndmask_b32_e64 v99, v99, v96, s3
	;; [unrolled: 1-line block ×4, first 2 shown]
	v_cmp_eq_u32_e64 s4, 1, v86
	v_cndmask_b32_e64 v89, v89, v78, s6
	v_cndmask_b32_e64 v99, v99, v107, s6
	;; [unrolled: 1-line block ×4, first 2 shown]
	v_lshrrev_b32_e32 v109, 16, v98
	v_cndmask_b32_e64 v89, v89, v93, s8
	v_cndmask_b32_e64 v99, v99, v97, s8
	;; [unrolled: 1-line block ×8, first 2 shown]
	v_cmp_eq_u32_e64 s13, 7, v87
	v_cmp_eq_u32_e64 s15, 6, v88
	v_cndmask_b32_e64 v89, v89, v94, s11
	v_cndmask_b32_e64 v99, v99, v98, s11
	v_cmp_eq_u32_e64 s16, 2, v86
	v_cndmask_b32_e64 v101, v101, v97, s10
	v_cndmask_b32_e64 v100, v100, v94, s15
	;; [unrolled: 1-line block ×6, first 2 shown]
	v_cmp_eq_u32_e64 s17, 7, v88
	v_cmp_eq_u32_e64 s18, 3, v86
	;; [unrolled: 1-line block ×4, first 2 shown]
	v_cndmask_b32_e64 v99, v99, v96, s16
	v_cndmask_b32_e64 v112, v100, v80, s17
	;; [unrolled: 1-line block ×4, first 2 shown]
	v_or_b32_e32 v89, 3, v87
	v_cndmask_b32_e64 v105, v99, v107, s18
	v_cmp_eq_u32_e64 s23, 6, v86
	v_cndmask_b32_e64 v113, v100, v98, s15
	v_cndmask_b32_e64 v104, v101, v93, s19
	ds_load_b128 v[99:102], v90 offset:1024
	v_cmp_eq_u32_e64 s20, 1, v89
	v_cmp_eq_u32_e64 s22, 2, v89
	v_cmp_eq_u32_e64 s24, 3, v89
	v_cndmask_b32_e64 v114, v104, v79, s21
	v_cmp_eq_u32_e64 s25, 4, v89
	v_cndmask_b32_e64 v74, v91, v74, s20
	v_cndmask_b32_e64 v91, v105, v97, s19
	;; [unrolled: 1-line block ×3, first 2 shown]
	ds_load_b128 v[103:106], v90 offset:1040
	v_cmp_eq_u32_e64 s27, 5, v89
	v_cndmask_b32_e64 v74, v74, v92, s22
	v_cndmask_b32_e64 v91, v91, v108, s21
	v_cndmask_b32_e64 v92, v95, v96, s22
	v_cmp_eq_u32_e64 s28, 6, v89
	v_cndmask_b32_e64 v95, v113, v109, s17
	v_cndmask_b32_e64 v74, v74, v78, s24
	;; [unrolled: 1-line block ×5, first 2 shown]
	s_waitcnt lgkmcnt(1)
	v_lshrrev_b32_e32 v96, 16, v99
	v_cndmask_b32_e64 v74, v74, v93, s25
	v_lshrrev_b32_e32 v107, 16, v100
	v_cndmask_b32_e64 v92, v92, v97, s25
	v_cmp_eq_u32_e64 s26, 7, v86
	v_cndmask_b32_e32 v93, v99, v96, vcc_lo
	v_cndmask_b32_e64 v74, v74, v79, s27
	s_delay_alu instid0(VALU_DEP_4)
	v_cndmask_b32_e64 v79, v92, v108, s27
	s_waitcnt lgkmcnt(0)
	v_lshrrev_b32_e32 v97, 16, v103
	v_cndmask_b32_e64 v92, v93, v100, s3
	v_cndmask_b32_e64 v93, v99, v96, s2
	v_cndmask_b32_e64 v74, v74, v94, s28
	v_cndmask_b32_e64 v79, v79, v98, s28
	v_cndmask_b32_e32 v108, v103, v97, vcc_lo
	v_cndmask_b32_e64 v92, v92, v107, s6
	v_cndmask_b32_e64 v93, v93, v100, s5
	v_lshrrev_b32_e32 v98, 16, v104
	v_cmp_eq_u32_e32 vcc_lo, 7, v89
	v_cndmask_b32_e64 v94, v108, v104, s3
	v_cndmask_b32_e64 v92, v92, v101, s8
	v_lshrrev_b32_e32 v108, 16, v101
	v_cndmask_b32_e64 v93, v93, v107, s7
	v_cndmask_b32_e32 v74, v74, v80, vcc_lo
	v_cndmask_b32_e64 v94, v94, v98, s6
	v_cndmask_b32_e32 v79, v79, v109, vcc_lo
	v_cndmask_b32_e64 v92, v92, v108, s9
	v_cndmask_b32_e64 v78, v78, v80, s26
	;; [unrolled: 1-line block ×4, first 2 shown]
	v_perm_b32 v94, v79, v74, 0x5040100
	v_cndmask_b32_e64 v79, v92, v102, s11
	v_perm_b32 v92, v95, v112, 0x5040100
	v_cndmask_b32_e64 v95, v99, v96, s4
	v_cndmask_b32_e64 v96, v99, v96, s20
	;; [unrolled: 1-line block ×16, first 2 shown]
	v_lshrrev_b32_e32 v109, 16, v105
	v_cndmask_b32_e64 v95, v95, v101, s19
	v_cndmask_b32_e64 v96, v96, v101, s25
	;; [unrolled: 1-line block ×6, first 2 shown]
	v_lshrrev_b32_e32 v80, 16, v102
	v_cndmask_b32_e64 v113, v93, v109, s9
	v_cndmask_b32_e64 v95, v95, v108, s21
	;; [unrolled: 1-line block ×6, first 2 shown]
	v_perm_b32 v93, v91, v78, 0x5040100
	v_cndmask_b32_e64 v74, v74, v102, s15
	v_cndmask_b32_e64 v78, v79, v80, s13
	;; [unrolled: 1-line block ×3, first 2 shown]
	v_lshrrev_b32_e32 v91, 16, v106
	v_cndmask_b32_e64 v95, v95, v102, s23
	v_cndmask_b32_e64 v96, v96, v102, s28
	;; [unrolled: 1-line block ×7, first 2 shown]
	v_cndmask_b32_e32 v80, v96, v80, vcc_lo
	v_cndmask_b32_e32 v96, v98, v91, vcc_lo
	v_cndmask_b32_e64 v99, v99, v91, s26
	v_cndmask_b32_e64 v100, v97, v91, s17
	;; [unrolled: 1-line block ×3, first 2 shown]
	v_perm_b32 v91, v111, v110, 0x5040100
	v_perm_b32 v98, v96, v80, 0x5040100
	;; [unrolled: 1-line block ×5, first 2 shown]
	s_mul_i32 s7, s35, 12
	s_mov_b32 s2, exec_lo
	ds_store_b128 v77, v[91:94]
	ds_store_b128 v77, v[95:98] offset:1024
	v_cmpx_gt_u32_e32 12, v0
	s_cbranch_execz .LBB761_80
; %bb.79:
	s_mul_i32 s3, s7, s30
	s_load_b128 s[8:11], s[0:1], 0x58
	v_add3_u32 v77, s3, s29, v73
	s_delay_alu instid0(VALU_DEP_1) | instskip(NEXT) | instid1(VALU_DEP_1)
	v_mad_u64_u32 v[73:74], null, v77, s34, s[14:15]
	v_ashrrev_i32_e32 v74, 31, v73
	s_delay_alu instid0(VALU_DEP_1) | instskip(SKIP_1) | instid1(VALU_DEP_1)
	v_lshlrev_b64 v[73:74], 2, v[73:74]
	s_waitcnt lgkmcnt(0)
	v_add_co_u32 v77, vcc_lo, s10, v73
	s_delay_alu instid0(VALU_DEP_2)
	v_add_co_ci_u32_e32 v78, vcc_lo, s11, v74, vcc_lo
	v_add_co_u32 v73, vcc_lo, s8, v73
	v_add_co_ci_u32_e32 v74, vcc_lo, s9, v74, vcc_lo
	global_store_b32 v[77:78], v75, off
	global_store_b32 v[73:74], v76, off
.LBB761_80:
	s_or_b32 exec_lo, exec_lo, s2
	s_waitcnt lgkmcnt(0)
	s_waitcnt_vscnt null, 0x0
	s_barrier
	buffer_gl0_inv
	ds_load_b128 v[91:94], v85
	ds_load_b128 v[95:98], v85 offset:16
	ds_load_b128 v[103:106], v85 offset:1040
	;; [unrolled: 1-line block ×3, first 2 shown]
	v_mov_b32_e32 v73, 0
	ds_load_b128 v[111:114], v85 offset:2064
	ds_load_b128 v[107:110], v85 offset:2048
	;; [unrolled: 1-line block ×6, first 2 shown]
	v_mov_b32_e32 v74, v73
	v_mov_b32_e32 v75, v73
	;; [unrolled: 1-line block ×7, first 2 shown]
	s_waitcnt lgkmcnt(8)
	s_delay_alu instid0(VALU_DEP_1)
	v_wmma_f32_16x16x16_bf16 v[73:80], v[65:72], v[91:98], v[73:80]
	ds_load_b128 v[69:72], v85 offset:5136
	ds_load_b128 v[65:68], v85 offset:5120
	;; [unrolled: 1-line block ×4, first 2 shown]
	s_waitcnt lgkmcnt(10)
	v_wmma_f32_16x16x16_bf16 v[73:80], v[57:64], v[99:106], v[73:80]
	s_waitcnt lgkmcnt(8)
	s_delay_alu instid0(VALU_DEP_1)
	v_wmma_f32_16x16x16_bf16 v[73:80], v[57:64], v[107:114], v[73:80]
	ds_load_b128 v[61:64], v85 offset:7184
	ds_load_b128 v[57:60], v85 offset:7168
	;; [unrolled: 1-line block ×4, first 2 shown]
	s_waitcnt lgkmcnt(10)
	v_wmma_f32_16x16x16_bf16 v[73:80], v[49:56], v[115:122], v[73:80]
	s_waitcnt lgkmcnt(8)
	s_delay_alu instid0(VALU_DEP_1)
	v_wmma_f32_16x16x16_bf16 v[73:80], v[49:56], v[123:130], v[73:80]
	ds_load_b128 v[53:56], v85 offset:9232
	ds_load_b128 v[49:52], v85 offset:9216
	s_waitcnt lgkmcnt(8)
	v_wmma_f32_16x16x16_bf16 v[73:80], v[41:48], v[65:72], v[73:80]
	ds_load_b128 v[69:72], v85 offset:10256
	ds_load_b128 v[65:68], v85 offset:10240
	s_waitcnt lgkmcnt(8)
	;; [unrolled: 4-line block ×3, first 2 shown]
	v_wmma_f32_16x16x16_bf16 v[73:80], v[9:16], v[57:64], v[73:80]
	s_waitcnt lgkmcnt(6)
	s_delay_alu instid0(VALU_DEP_1)
	v_wmma_f32_16x16x16_bf16 v[73:80], v[9:16], v[99:106], v[73:80]
	ds_load_b128 v[13:16], v85 offset:12304
	ds_load_b128 v[9:12], v85 offset:12288
	s_waitcnt lgkmcnt(6)
	v_wmma_f32_16x16x16_bf16 v[73:80], v[1:8], v[49:56], v[73:80]
	ds_load_b128 v[53:56], v85 offset:13328
	ds_load_b128 v[49:52], v85 offset:13312
	s_waitcnt lgkmcnt(6)
	;; [unrolled: 4-line block ×4, first 2 shown]
	v_wmma_f32_16x16x16_bf16 v[73:80], v[33:40], v[9:16], v[73:80]
	s_waitcnt lgkmcnt(4)
	s_delay_alu instid0(VALU_DEP_1) | instskip(SKIP_1) | instid1(VALU_DEP_1)
	v_wmma_f32_16x16x16_bf16 v[73:80], v[25:32], v[49:56], v[73:80]
	s_waitcnt lgkmcnt(2)
	v_wmma_f32_16x16x16_bf16 v[73:80], v[25:32], v[1:8], v[73:80]
	s_waitcnt lgkmcnt(0)
	s_delay_alu instid0(VALU_DEP_1) | instskip(NEXT) | instid1(VALU_DEP_1)
	v_wmma_f32_16x16x16_bf16 v[73:80], v[17:24], v[41:48], v[73:80]
	v_and_b32_e32 v1, 0x7f800000, v73
	s_delay_alu instid0(VALU_DEP_1) | instskip(SKIP_1) | instid1(SALU_CYCLE_1)
	v_cmp_ne_u32_e32 vcc_lo, 0x7f800000, v1
                                        ; implicit-def: $vgpr1
	s_and_saveexec_b32 s2, vcc_lo
	s_xor_b32 s2, exec_lo, s2
; %bb.81:
	v_bfe_u32 v1, v73, 16, 1
	s_delay_alu instid0(VALU_DEP_1)
	v_add3_u32 v1, v73, v1, 0x7fff
; %bb.82:
	s_and_not1_saveexec_b32 s2, s2
; %bb.83:
	v_and_b32_e32 v1, 0xffff, v73
	v_or_b32_e32 v2, 0x10000, v73
	s_delay_alu instid0(VALU_DEP_2) | instskip(NEXT) | instid1(VALU_DEP_2)
	v_cmp_eq_u32_e32 vcc_lo, 0, v1
	v_cndmask_b32_e32 v1, v2, v73, vcc_lo
; %bb.84:
	s_or_b32 exec_lo, exec_lo, s2
	v_and_b32_e32 v2, 0x7f800000, v74
	s_delay_alu instid0(VALU_DEP_1) | instskip(SKIP_1) | instid1(SALU_CYCLE_1)
	v_cmp_ne_u32_e32 vcc_lo, 0x7f800000, v2
                                        ; implicit-def: $vgpr2
	s_and_saveexec_b32 s2, vcc_lo
	s_xor_b32 s2, exec_lo, s2
; %bb.85:
	v_bfe_u32 v2, v74, 16, 1
	s_delay_alu instid0(VALU_DEP_1)
	v_add3_u32 v2, v74, v2, 0x7fff
; %bb.86:
	s_and_not1_saveexec_b32 s2, s2
; %bb.87:
	v_and_b32_e32 v2, 0xffff, v74
	v_or_b32_e32 v3, 0x10000, v74
	s_delay_alu instid0(VALU_DEP_2) | instskip(NEXT) | instid1(VALU_DEP_2)
	v_cmp_eq_u32_e32 vcc_lo, 0, v2
	v_cndmask_b32_e32 v2, v3, v74, vcc_lo
; %bb.88:
	s_or_b32 exec_lo, exec_lo, s2
	v_and_b32_e32 v3, 0x7f800000, v75
	s_delay_alu instid0(VALU_DEP_1) | instskip(SKIP_1) | instid1(SALU_CYCLE_1)
	v_cmp_ne_u32_e32 vcc_lo, 0x7f800000, v3
                                        ; implicit-def: $vgpr3
	s_and_saveexec_b32 s2, vcc_lo
	s_xor_b32 s2, exec_lo, s2
; %bb.89:
	v_bfe_u32 v3, v75, 16, 1
	s_delay_alu instid0(VALU_DEP_1)
	v_add3_u32 v3, v75, v3, 0x7fff
; %bb.90:
	s_and_not1_saveexec_b32 s2, s2
; %bb.91:
	v_and_b32_e32 v3, 0xffff, v75
	v_or_b32_e32 v4, 0x10000, v75
	s_delay_alu instid0(VALU_DEP_2) | instskip(NEXT) | instid1(VALU_DEP_2)
	v_cmp_eq_u32_e32 vcc_lo, 0, v3
	v_cndmask_b32_e32 v3, v4, v75, vcc_lo
; %bb.92:
	s_or_b32 exec_lo, exec_lo, s2
	v_and_b32_e32 v4, 0x7f800000, v76
	s_delay_alu instid0(VALU_DEP_1) | instskip(SKIP_1) | instid1(SALU_CYCLE_1)
	v_cmp_ne_u32_e32 vcc_lo, 0x7f800000, v4
                                        ; implicit-def: $vgpr4
	s_and_saveexec_b32 s2, vcc_lo
	s_xor_b32 s2, exec_lo, s2
; %bb.93:
	v_bfe_u32 v4, v76, 16, 1
	s_delay_alu instid0(VALU_DEP_1)
	v_add3_u32 v4, v76, v4, 0x7fff
; %bb.94:
	s_and_not1_saveexec_b32 s2, s2
; %bb.95:
	v_and_b32_e32 v4, 0xffff, v76
	v_or_b32_e32 v5, 0x10000, v76
	s_delay_alu instid0(VALU_DEP_2) | instskip(NEXT) | instid1(VALU_DEP_2)
	v_cmp_eq_u32_e32 vcc_lo, 0, v4
	v_cndmask_b32_e32 v4, v5, v76, vcc_lo
; %bb.96:
	s_or_b32 exec_lo, exec_lo, s2
	v_and_b32_e32 v5, 0x7f800000, v77
	s_delay_alu instid0(VALU_DEP_1) | instskip(SKIP_1) | instid1(SALU_CYCLE_1)
	v_cmp_ne_u32_e32 vcc_lo, 0x7f800000, v5
                                        ; implicit-def: $vgpr5
	s_and_saveexec_b32 s2, vcc_lo
	s_xor_b32 s2, exec_lo, s2
; %bb.97:
	v_bfe_u32 v5, v77, 16, 1
	s_delay_alu instid0(VALU_DEP_1)
	v_add3_u32 v5, v77, v5, 0x7fff
; %bb.98:
	s_and_not1_saveexec_b32 s2, s2
; %bb.99:
	v_and_b32_e32 v5, 0xffff, v77
	v_or_b32_e32 v6, 0x10000, v77
	s_delay_alu instid0(VALU_DEP_2) | instskip(NEXT) | instid1(VALU_DEP_2)
	v_cmp_eq_u32_e32 vcc_lo, 0, v5
	v_cndmask_b32_e32 v5, v6, v77, vcc_lo
; %bb.100:
	s_or_b32 exec_lo, exec_lo, s2
	v_and_b32_e32 v6, 0x7f800000, v78
	s_delay_alu instid0(VALU_DEP_1) | instskip(SKIP_1) | instid1(SALU_CYCLE_1)
	v_cmp_ne_u32_e32 vcc_lo, 0x7f800000, v6
                                        ; implicit-def: $vgpr6
	s_and_saveexec_b32 s2, vcc_lo
	s_xor_b32 s2, exec_lo, s2
; %bb.101:
	v_bfe_u32 v6, v78, 16, 1
	s_delay_alu instid0(VALU_DEP_1)
	v_add3_u32 v6, v78, v6, 0x7fff
; %bb.102:
	s_and_not1_saveexec_b32 s2, s2
; %bb.103:
	v_and_b32_e32 v6, 0xffff, v78
	v_or_b32_e32 v7, 0x10000, v78
	s_delay_alu instid0(VALU_DEP_2) | instskip(NEXT) | instid1(VALU_DEP_2)
	v_cmp_eq_u32_e32 vcc_lo, 0, v6
	v_cndmask_b32_e32 v6, v7, v78, vcc_lo
; %bb.104:
	s_or_b32 exec_lo, exec_lo, s2
	v_and_b32_e32 v7, 0x7f800000, v79
	s_delay_alu instid0(VALU_DEP_1) | instskip(SKIP_1) | instid1(SALU_CYCLE_1)
	v_cmp_ne_u32_e32 vcc_lo, 0x7f800000, v7
                                        ; implicit-def: $vgpr7
	s_and_saveexec_b32 s2, vcc_lo
	s_xor_b32 s2, exec_lo, s2
; %bb.105:
	v_bfe_u32 v7, v79, 16, 1
	s_delay_alu instid0(VALU_DEP_1)
	v_add3_u32 v7, v79, v7, 0x7fff
; %bb.106:
	s_and_not1_saveexec_b32 s2, s2
; %bb.107:
	v_and_b32_e32 v7, 0xffff, v79
	v_or_b32_e32 v8, 0x10000, v79
	s_delay_alu instid0(VALU_DEP_2) | instskip(NEXT) | instid1(VALU_DEP_2)
	v_cmp_eq_u32_e32 vcc_lo, 0, v7
	v_cndmask_b32_e32 v7, v8, v79, vcc_lo
; %bb.108:
	s_or_b32 exec_lo, exec_lo, s2
	v_and_b32_e32 v8, 0x7f800000, v80
	s_delay_alu instid0(VALU_DEP_1) | instskip(SKIP_1) | instid1(SALU_CYCLE_1)
	v_cmp_ne_u32_e32 vcc_lo, 0x7f800000, v8
                                        ; implicit-def: $vgpr8
	s_and_saveexec_b32 s2, vcc_lo
	s_xor_b32 s2, exec_lo, s2
; %bb.109:
	v_bfe_u32 v8, v80, 16, 1
	s_delay_alu instid0(VALU_DEP_1)
	v_add3_u32 v8, v80, v8, 0x7fff
                                        ; implicit-def: $vgpr73_vgpr74_vgpr75_vgpr76_vgpr77_vgpr78_vgpr79_vgpr80
; %bb.110:
	s_and_not1_saveexec_b32 s2, s2
; %bb.111:
	v_and_b32_e32 v8, 0xffff, v80
	v_or_b32_e32 v9, 0x10000, v80
	s_delay_alu instid0(VALU_DEP_2) | instskip(NEXT) | instid1(VALU_DEP_2)
	v_cmp_eq_u32_e32 vcc_lo, 0, v8
	v_cndmask_b32_e32 v8, v9, v80, vcc_lo
; %bb.112:
	s_or_b32 exec_lo, exec_lo, s2
	s_delay_alu instid0(VALU_DEP_1)
	v_perm_b32 v7, v8, v7, 0x7060302
	v_perm_b32 v6, v6, v5, 0x7060302
	;; [unrolled: 1-line block ×4, first 2 shown]
	v_lshl_or_b32 v9, v83, 4, v90
	s_barrier
	buffer_gl0_inv
	v_cmp_eq_u32_e32 vcc_lo, 1, v87
	ds_store_b128 v9, v[4:7]
	s_waitcnt lgkmcnt(0)
	s_barrier
	buffer_gl0_inv
	ds_load_b128 v[1:4], v90
	ds_load_b128 v[5:8], v90 offset:16
	v_cmp_eq_u32_e64 s3, 2, v87
	v_cmp_eq_u32_e64 s2, 1, v88
	;; [unrolled: 1-line block ×5, first 2 shown]
	s_waitcnt lgkmcnt(1)
	v_lshrrev_b32_e32 v10, 16, v1
	s_waitcnt lgkmcnt(0)
	v_lshrrev_b32_e32 v14, 16, v5
	v_lshrrev_b32_e32 v15, 16, v6
	;; [unrolled: 1-line block ×4, first 2 shown]
	v_cndmask_b32_e64 v20, v1, v10, s2
	v_cndmask_b32_e32 v19, v5, v14, vcc_lo
	v_cndmask_b32_e64 v21, v5, v14, s2
	v_lshrrev_b32_e32 v16, 16, v7
	v_cmp_eq_u32_e64 s2, 1, v86
	v_lshrrev_b32_e32 v13, 16, v4
	v_cndmask_b32_e64 v19, v19, v6, s3
	v_lshrrev_b32_e32 v17, 16, v8
	s_delay_alu instid0(VALU_DEP_4) | instskip(SKIP_1) | instid1(VALU_DEP_4)
	v_cndmask_b32_e64 v22, v1, v10, s2
	v_cndmask_b32_e64 v23, v5, v14, s2
	;; [unrolled: 1-line block ×3, first 2 shown]
	v_cndmask_b32_e32 v18, v1, v10, vcc_lo
	v_cmp_eq_u32_e32 vcc_lo, 2, v88
	v_cmp_eq_u32_e64 s2, 2, v89
	v_cndmask_b32_e64 v22, v22, v2, s6
	v_cndmask_b32_e32 v20, v20, v2, vcc_lo
	v_cndmask_b32_e32 v21, v21, v6, vcc_lo
	v_cmp_eq_u32_e32 vcc_lo, 4, v87
	v_cndmask_b32_e32 v19, v19, v7, vcc_lo
	v_cndmask_b32_e64 v18, v18, v2, s3
	v_cmp_eq_u32_e64 s3, 3, v88
	s_delay_alu instid0(VALU_DEP_2) | instskip(NEXT) | instid1(VALU_DEP_2)
	v_cndmask_b32_e64 v18, v18, v11, s4
	v_cndmask_b32_e64 v21, v21, v15, s3
	v_cmp_eq_u32_e64 s4, 5, v87
	s_delay_alu instid0(VALU_DEP_3) | instskip(SKIP_1) | instid1(VALU_DEP_3)
	v_cndmask_b32_e32 v18, v18, v3, vcc_lo
	v_cmp_eq_u32_e32 vcc_lo, 4, v88
	v_cndmask_b32_e64 v19, v19, v16, s4
	s_delay_alu instid0(VALU_DEP_3) | instskip(SKIP_4) | instid1(VALU_DEP_3)
	v_cndmask_b32_e64 v18, v18, v12, s4
	v_cndmask_b32_e32 v21, v21, v7, vcc_lo
	v_cndmask_b32_e64 v20, v20, v11, s3
	v_cmp_eq_u32_e64 s3, 5, v88
	v_cmp_eq_u32_e64 s4, 6, v87
	v_cndmask_b32_e32 v20, v20, v3, vcc_lo
	s_delay_alu instid0(VALU_DEP_3) | instskip(SKIP_1) | instid1(VALU_DEP_4)
	v_cndmask_b32_e64 v21, v21, v16, s3
	v_cmp_eq_u32_e32 vcc_lo, 6, v88
	v_cndmask_b32_e64 v18, v18, v4, s4
	v_cndmask_b32_e64 v19, v19, v8, s4
	;; [unrolled: 1-line block ×3, first 2 shown]
	v_cmp_eq_u32_e64 s3, 1, v89
	v_cmp_eq_u32_e64 s4, 7, v87
	s_delay_alu instid0(VALU_DEP_3) | instskip(NEXT) | instid1(VALU_DEP_3)
	v_cndmask_b32_e32 v20, v20, v4, vcc_lo
	v_cndmask_b32_e64 v1, v1, v10, s3
	v_cndmask_b32_e64 v5, v5, v14, s3
	v_cmp_eq_u32_e64 s3, 3, v86
	v_cndmask_b32_e64 v14, v23, v6, s6
	v_cmp_eq_u32_e64 s6, 3, v89
	v_cndmask_b32_e64 v1, v1, v2, s2
	v_cndmask_b32_e64 v2, v5, v6, s2
	;; [unrolled: 1-line block ×3, first 2 shown]
	v_cmp_eq_u32_e64 s2, 4, v86
	v_cndmask_b32_e64 v6, v14, v15, s3
	v_cndmask_b32_e64 v1, v1, v11, s6
	v_cmp_eq_u32_e64 s3, 4, v89
	v_cndmask_b32_e64 v2, v2, v15, s6
	v_cndmask_b32_e64 v5, v10, v3, s2
	;; [unrolled: 3-line block ×3, first 2 shown]
	v_cndmask_b32_e64 v2, v2, v7, s3
	v_cmp_eq_u32_e64 s2, 5, v89
	v_cndmask_b32_e64 v5, v5, v12, s6
	v_cmp_eq_u32_e64 s3, 6, v86
	;; [unrolled: 2-line block ×3, first 2 shown]
	v_cndmask_b32_e64 v1, v1, v12, s2
	v_cndmask_b32_e64 v2, v2, v16, s2
	;; [unrolled: 1-line block ×4, first 2 shown]
	v_cmp_eq_u32_e64 s2, 7, v89
	v_cndmask_b32_e64 v1, v1, v4, s6
	v_cndmask_b32_e64 v2, v2, v8, s6
	v_cmp_eq_u32_e64 s3, 7, v86
	v_cndmask_b32_e32 v4, v21, v8, vcc_lo
	v_cndmask_b32_e64 v18, v18, v13, s4
	v_cndmask_b32_e64 v20, v20, v13, s5
	;; [unrolled: 1-line block ×8, first 2 shown]
	s_mov_b32 s2, exec_lo
	v_perm_b32 v4, v2, v1, 0x5040100
	v_perm_b32 v3, v3, v5, 0x5040100
	;; [unrolled: 1-line block ×4, first 2 shown]
	ds_store_b128 v9, v[1:4]
	s_waitcnt lgkmcnt(0)
	s_barrier
	buffer_gl0_inv
	v_cmpx_gt_u32_e32 32, v0
	s_cbranch_execz .LBB761_2
; %bb.113:
	s_load_b64 s[0:1], s[0:1], 0x68
	v_lshlrev_b32_e32 v0, 10, v0
	s_lshl_b32 s4, s34, 7
	v_or_b32_e32 v3, s29, v83
	s_mul_i32 s2, s4, s30
	v_lshlrev_b32_e32 v1, 4, v84
	s_mul_i32 s2, s2, s7
	v_lshlrev_b32_e32 v2, 6, v83
	v_and_b32_e32 v0, 0x3800, v0
	s_ashr_i32 s3, s2, 31
	v_mul_lo_u32 v4, v3, s4
	s_lshl_b64 s[2:3], s[2:3], 1
	s_delay_alu instid0(VALU_DEP_2) | instskip(NEXT) | instid1(VALU_DEP_2)
	v_or3_b32 v16, v0, v1, v2
	v_ashrrev_i32_e32 v5, 31, v4
	ds_load_b128 v[0:3], v16
	s_waitcnt lgkmcnt(0)
	s_add_u32 s2, s0, s2
	s_addc_u32 s3, s1, s3
	s_lshl_b32 s0, s14, 7
	v_lshlrev_b64 v[5:6], 1, v[4:5]
	s_ashr_i32 s1, s0, 31
	s_delay_alu instid0(SALU_CYCLE_1) | instskip(NEXT) | instid1(SALU_CYCLE_1)
	s_lshl_b64 s[0:1], s[0:1], 1
	s_add_u32 s0, s2, s0
	s_addc_u32 s1, s3, s1
	s_lshl_b32 s2, s34, 8
	v_add_co_u32 v30, vcc_lo, s0, v81
	v_add_nc_u32_e32 v8, s2, v4
	v_add_co_ci_u32_e32 v31, vcc_lo, s1, v82, vcc_lo
	s_delay_alu instid0(VALU_DEP_3) | instskip(NEXT) | instid1(VALU_DEP_3)
	v_add_co_u32 v12, vcc_lo, v30, v5
	v_add_nc_u32_e32 v10, s2, v8
	v_ashrrev_i32_e32 v9, 31, v8
	s_delay_alu instid0(VALU_DEP_4)
	v_add_co_ci_u32_e32 v13, vcc_lo, v31, v6, vcc_lo
	ds_load_b128 v[4:7], v16 offset:128
	v_ashrrev_i32_e32 v11, 31, v10
	v_lshlrev_b64 v[8:9], 1, v[8:9]
	v_add_nc_u32_e32 v14, s2, v10
	global_store_b128 v[12:13], v[0:3], off
	v_lshlrev_b64 v[0:1], 1, v[10:11]
	v_ashrrev_i32_e32 v15, 31, v14
	v_add_co_u32 v22, vcc_lo, v30, v8
	v_add_nc_u32_e32 v20, s2, v14
	v_add_co_ci_u32_e32 v23, vcc_lo, v31, v9, vcc_lo
	v_add_co_u32 v26, vcc_lo, v30, v0
	v_lshlrev_b64 v[24:25], 1, v[14:15]
	v_add_co_ci_u32_e32 v27, vcc_lo, v31, v1, vcc_lo
	ds_load_b128 v[0:3], v16 offset:256
	ds_load_b128 v[8:11], v16 offset:384
	;; [unrolled: 1-line block ×4, first 2 shown]
	v_add_nc_u32_e32 v28, s2, v20
	v_ashrrev_i32_e32 v21, 31, v20
	v_add_co_u32 v24, vcc_lo, v30, v24
	v_add_co_ci_u32_e32 v25, vcc_lo, v31, v25, vcc_lo
	s_delay_alu instid0(VALU_DEP_4) | instskip(NEXT) | instid1(VALU_DEP_4)
	v_ashrrev_i32_e32 v29, 31, v28
	v_lshlrev_b64 v[20:21], 1, v[20:21]
	s_delay_alu instid0(VALU_DEP_2) | instskip(NEXT) | instid1(VALU_DEP_2)
	v_lshlrev_b64 v[28:29], 1, v[28:29]
	v_add_co_u32 v20, vcc_lo, v30, v20
	s_delay_alu instid0(VALU_DEP_3) | instskip(NEXT) | instid1(VALU_DEP_3)
	v_add_co_ci_u32_e32 v21, vcc_lo, v31, v21, vcc_lo
	v_add_co_u32 v28, vcc_lo, v30, v28
	s_delay_alu instid0(VALU_DEP_4)
	v_add_co_ci_u32_e32 v29, vcc_lo, v31, v29, vcc_lo
	s_waitcnt lgkmcnt(4)
	global_store_b128 v[22:23], v[4:7], off
	s_waitcnt lgkmcnt(3)
	global_store_b128 v[26:27], v[0:3], off
	;; [unrolled: 2-line block ×5, first 2 shown]
	s_nop 0
	s_sendmsg sendmsg(MSG_DEALLOC_VGPRS)
	s_endpgm
	.section	.rodata,"a",@progbits
	.p2align	6, 0x0
	.amdhsa_kernel _Z39paged_attention_ll4mi_QKV_mfma16_kernelI14__hip_bfloat16S0_LN4vllm18Fp8KVCacheDataTypeE0ES0_Li32ELi128ELi256ELb0ELi12EL8MFMAType0EEvPKT_PKT0_S9_ifPKiSB_SB_iPKfiiiPfSE_PS4_PT2_iSD_SD_
		.amdhsa_group_segment_fixed_size 17472
		.amdhsa_private_segment_fixed_size 0
		.amdhsa_kernarg_size 400
		.amdhsa_user_sgpr_count 13
		.amdhsa_user_sgpr_dispatch_ptr 0
		.amdhsa_user_sgpr_queue_ptr 0
		.amdhsa_user_sgpr_kernarg_segment_ptr 1
		.amdhsa_user_sgpr_dispatch_id 0
		.amdhsa_user_sgpr_private_segment_size 0
		.amdhsa_wavefront_size32 1
		.amdhsa_uses_dynamic_stack 0
		.amdhsa_enable_private_segment 0
		.amdhsa_system_sgpr_workgroup_id_x 1
		.amdhsa_system_sgpr_workgroup_id_y 1
		.amdhsa_system_sgpr_workgroup_id_z 1
		.amdhsa_system_sgpr_workgroup_info 0
		.amdhsa_system_vgpr_workitem_id 0
		.amdhsa_next_free_vgpr 157
		.amdhsa_next_free_sgpr 40
		.amdhsa_reserve_vcc 1
		.amdhsa_float_round_mode_32 0
		.amdhsa_float_round_mode_16_64 0
		.amdhsa_float_denorm_mode_32 3
		.amdhsa_float_denorm_mode_16_64 3
		.amdhsa_dx10_clamp 1
		.amdhsa_ieee_mode 1
		.amdhsa_fp16_overflow 0
		.amdhsa_workgroup_processor_mode 1
		.amdhsa_memory_ordered 1
		.amdhsa_forward_progress 0
		.amdhsa_shared_vgpr_count 0
		.amdhsa_exception_fp_ieee_invalid_op 0
		.amdhsa_exception_fp_denorm_src 0
		.amdhsa_exception_fp_ieee_div_zero 0
		.amdhsa_exception_fp_ieee_overflow 0
		.amdhsa_exception_fp_ieee_underflow 0
		.amdhsa_exception_fp_ieee_inexact 0
		.amdhsa_exception_int_div_zero 0
	.end_amdhsa_kernel
	.section	.text._Z39paged_attention_ll4mi_QKV_mfma16_kernelI14__hip_bfloat16S0_LN4vllm18Fp8KVCacheDataTypeE0ES0_Li32ELi128ELi256ELb0ELi12EL8MFMAType0EEvPKT_PKT0_S9_ifPKiSB_SB_iPKfiiiPfSE_PS4_PT2_iSD_SD_,"axG",@progbits,_Z39paged_attention_ll4mi_QKV_mfma16_kernelI14__hip_bfloat16S0_LN4vllm18Fp8KVCacheDataTypeE0ES0_Li32ELi128ELi256ELb0ELi12EL8MFMAType0EEvPKT_PKT0_S9_ifPKiSB_SB_iPKfiiiPfSE_PS4_PT2_iSD_SD_,comdat
.Lfunc_end761:
	.size	_Z39paged_attention_ll4mi_QKV_mfma16_kernelI14__hip_bfloat16S0_LN4vllm18Fp8KVCacheDataTypeE0ES0_Li32ELi128ELi256ELb0ELi12EL8MFMAType0EEvPKT_PKT0_S9_ifPKiSB_SB_iPKfiiiPfSE_PS4_PT2_iSD_SD_, .Lfunc_end761-_Z39paged_attention_ll4mi_QKV_mfma16_kernelI14__hip_bfloat16S0_LN4vllm18Fp8KVCacheDataTypeE0ES0_Li32ELi128ELi256ELb0ELi12EL8MFMAType0EEvPKT_PKT0_S9_ifPKiSB_SB_iPKfiiiPfSE_PS4_PT2_iSD_SD_
                                        ; -- End function
	.section	.AMDGPU.csdata,"",@progbits
; Kernel info:
; codeLenInByte = 9864
; NumSgprs: 42
; NumVgprs: 157
; ScratchSize: 0
; MemoryBound: 0
; FloatMode: 240
; IeeeMode: 1
; LDSByteSize: 17472 bytes/workgroup (compile time only)
; SGPRBlocks: 5
; VGPRBlocks: 19
; NumSGPRsForWavesPerEU: 42
; NumVGPRsForWavesPerEU: 157
; Occupancy: 9
; WaveLimiterHint : 1
; COMPUTE_PGM_RSRC2:SCRATCH_EN: 0
; COMPUTE_PGM_RSRC2:USER_SGPR: 13
; COMPUTE_PGM_RSRC2:TRAP_HANDLER: 0
; COMPUTE_PGM_RSRC2:TGID_X_EN: 1
; COMPUTE_PGM_RSRC2:TGID_Y_EN: 1
; COMPUTE_PGM_RSRC2:TGID_Z_EN: 1
; COMPUTE_PGM_RSRC2:TIDIG_COMP_CNT: 0
	.section	.text._Z39paged_attention_ll4mi_QKV_mfma16_kernelI14__hip_bfloat16S0_LN4vllm18Fp8KVCacheDataTypeE0ES0_Li32ELi128ELi256ELb0ELi13EL8MFMAType0EEvPKT_PKT0_S9_ifPKiSB_SB_iPKfiiiPfSE_PS4_PT2_iSD_SD_,"axG",@progbits,_Z39paged_attention_ll4mi_QKV_mfma16_kernelI14__hip_bfloat16S0_LN4vllm18Fp8KVCacheDataTypeE0ES0_Li32ELi128ELi256ELb0ELi13EL8MFMAType0EEvPKT_PKT0_S9_ifPKiSB_SB_iPKfiiiPfSE_PS4_PT2_iSD_SD_,comdat
	.protected	_Z39paged_attention_ll4mi_QKV_mfma16_kernelI14__hip_bfloat16S0_LN4vllm18Fp8KVCacheDataTypeE0ES0_Li32ELi128ELi256ELb0ELi13EL8MFMAType0EEvPKT_PKT0_S9_ifPKiSB_SB_iPKfiiiPfSE_PS4_PT2_iSD_SD_ ; -- Begin function _Z39paged_attention_ll4mi_QKV_mfma16_kernelI14__hip_bfloat16S0_LN4vllm18Fp8KVCacheDataTypeE0ES0_Li32ELi128ELi256ELb0ELi13EL8MFMAType0EEvPKT_PKT0_S9_ifPKiSB_SB_iPKfiiiPfSE_PS4_PT2_iSD_SD_
	.globl	_Z39paged_attention_ll4mi_QKV_mfma16_kernelI14__hip_bfloat16S0_LN4vllm18Fp8KVCacheDataTypeE0ES0_Li32ELi128ELi256ELb0ELi13EL8MFMAType0EEvPKT_PKT0_S9_ifPKiSB_SB_iPKfiiiPfSE_PS4_PT2_iSD_SD_
	.p2align	8
	.type	_Z39paged_attention_ll4mi_QKV_mfma16_kernelI14__hip_bfloat16S0_LN4vllm18Fp8KVCacheDataTypeE0ES0_Li32ELi128ELi256ELb0ELi13EL8MFMAType0EEvPKT_PKT0_S9_ifPKiSB_SB_iPKfiiiPfSE_PS4_PT2_iSD_SD_,@function
_Z39paged_attention_ll4mi_QKV_mfma16_kernelI14__hip_bfloat16S0_LN4vllm18Fp8KVCacheDataTypeE0ES0_Li32ELi128ELi256ELb0ELi13EL8MFMAType0EEvPKT_PKT0_S9_ifPKiSB_SB_iPKfiiiPfSE_PS4_PT2_iSD_SD_: ; @_Z39paged_attention_ll4mi_QKV_mfma16_kernelI14__hip_bfloat16S0_LN4vllm18Fp8KVCacheDataTypeE0ES0_Li32ELi128ELi256ELb0ELi13EL8MFMAType0EEvPKT_PKT0_S9_ifPKiSB_SB_iPKfiiiPfSE_PS4_PT2_iSD_SD_
; %bb.0:
	s_load_b64 s[2:3], s[0:1], 0x30
	s_mov_b32 s30, s13
	s_waitcnt lgkmcnt(0)
	s_cmp_lg_u64 s[2:3], 0
	s_cselect_b32 s6, -1, 0
	s_ashr_i32 s31, s13, 31
	s_cmp_eq_u64 s[2:3], 0
	s_cbranch_scc1 .LBB762_3
; %bb.1:
	s_lshl_b64 s[4:5], s[30:31], 2
	s_delay_alu instid0(SALU_CYCLE_1) | instskip(SKIP_4) | instid1(SALU_CYCLE_1)
	s_add_u32 s4, s2, s4
	s_addc_u32 s5, s3, s5
	s_load_b64 s[4:5], s[4:5], 0x0
	s_waitcnt lgkmcnt(0)
	s_sub_i32 s4, s5, s4
	s_cmp_eq_u32 s4, 1
	s_cselect_b32 s4, -1, 0
	s_delay_alu instid0(SALU_CYCLE_1)
	s_and_not1_b32 vcc_lo, exec_lo, s4
	s_cbranch_vccz .LBB762_4
.LBB762_2:
	s_nop 0
	s_sendmsg sendmsg(MSG_DEALLOC_VGPRS)
	s_endpgm
.LBB762_3:
.LBB762_4:
	s_load_b64 s[8:9], s[0:1], 0x28
	s_lshl_b64 s[4:5], s[30:31], 2
	s_waitcnt lgkmcnt(0)
	s_add_u32 s8, s8, s4
	s_addc_u32 s9, s9, s5
	s_lshl_b32 s12, s14, 8
	s_load_b32 s17, s[8:9], 0x0
	s_waitcnt lgkmcnt(0)
	s_cmp_ge_i32 s12, s17
	s_cbranch_scc1 .LBB762_2
; %bb.5:
	s_and_not1_b32 vcc_lo, exec_lo, s6
	s_cbranch_vccnz .LBB762_7
; %bb.6:
	s_add_u32 s2, s2, s4
	s_addc_u32 s3, s3, s5
	s_load_b32 s13, s[2:3], 0x0
	s_branch .LBB762_8
.LBB762_7:
	s_mov_b32 s13, s30
.LBB762_8:
	s_clause 0x2
	s_load_b128 s[8:11], s[0:1], 0x8
	s_load_b64 s[2:3], s[0:1], 0x20
	s_load_b128 s[4:7], s[0:1], 0x48
	v_lshrrev_b32_e32 v74, 5, v0
	v_bfe_u32 v83, v0, 4, 1
	v_and_b32_e32 v73, 15, v0
	s_waitcnt lgkmcnt(0)
	s_mov_b32 s7, exec_lo
	s_delay_alu instid0(VALU_DEP_2) | instskip(NEXT) | instid1(VALU_DEP_2)
	v_lshl_or_b32 v3, v74, 1, v83
	v_lshlrev_b32_e32 v1, 3, v73
	s_delay_alu instid0(VALU_DEP_2)
	v_cmpx_lt_u32_e32 12, v3
	s_xor_b32 s7, exec_lo, s7
; %bb.9:
	v_mov_b32_e32 v2, 0
                                        ; implicit-def: $vgpr3
; %bb.10:
	s_or_saveexec_b32 s7, s7
	v_and_b32_e32 v75, 31, v0
	v_and_b32_e32 v84, 1, v0
	s_mul_i32 s31, s15, 13
	s_xor_b32 exec_lo, exec_lo, s7
	s_cbranch_execz .LBB762_12
; %bb.11:
	s_load_b64 s[18:19], s[0:1], 0x0
	v_add_lshl_u32 v4, v3, s31, 7
	s_mul_hi_i32 s21, s13, s4
	s_mul_i32 s20, s13, s4
	v_lshlrev_b32_e32 v2, 1, v1
	s_lshl_b64 s[20:21], s[20:21], 1
	v_ashrrev_i32_e32 v5, 31, v4
	v_lshlrev_b32_e32 v3, 6, v3
	v_lshlrev_b32_e32 v8, 10, v84
	s_delay_alu instid0(VALU_DEP_3) | instskip(SKIP_3) | instid1(VALU_DEP_1)
	v_lshlrev_b64 v[4:5], 1, v[4:5]
	s_waitcnt lgkmcnt(0)
	s_add_u32 s4, s18, s20
	s_addc_u32 s13, s19, s21
	v_add_co_u32 v4, vcc_lo, s4, v4
	s_delay_alu instid0(VALU_DEP_2) | instskip(NEXT) | instid1(VALU_DEP_2)
	v_add_co_ci_u32_e32 v5, vcc_lo, s13, v5, vcc_lo
	v_add_co_u32 v4, vcc_lo, v4, v2
	s_delay_alu instid0(VALU_DEP_2) | instskip(SKIP_3) | instid1(VALU_DEP_1)
	v_add_co_ci_u32_e32 v5, vcc_lo, 0, v5, vcc_lo
	v_lshlrev_b32_e32 v2, 10, v73
	global_load_b128 v[4:7], v[4:5], off
	v_and_b32_e32 v2, 0x3800, v2
	v_or3_b32 v3, v2, v8, v3
	v_mov_b32_e32 v2, 0
	s_waitcnt vmcnt(0)
	ds_store_b128 v3, v[4:7]
.LBB762_12:
	s_or_b32 exec_lo, exec_lo, s7
	v_add_nc_u32_e32 v80, -13, v73
	v_and_b32_e32 v3, 0xef, v0
	s_add_i32 s4, s17, 31
	s_clause 0x1
	s_load_b32 s7, s[0:1], 0x38
	s_load_b32 s18, s[0:1], 0x1c
	s_ashr_i32 s13, s4, 31
	v_add_nc_u32_e32 v3, s12, v3
	s_lshr_b32 s13, s13, 27
	s_waitcnt lgkmcnt(0)
	s_add_i32 s4, s4, s13
	s_barrier
	v_ashrrev_i32_e32 v4, 31, v3
	v_cmp_gt_i32_e32 vcc_lo, s17, v3
	s_ashr_i32 s4, s4, 5
	buffer_gl0_inv
	s_add_i32 s4, s4, -1
	v_lshrrev_b32_e32 v5, 27, v4
	v_or_b32_e32 v4, 16, v3
	v_lshlrev_b64 v[81:82], 1, v[1:2]
	s_delay_alu instid0(VALU_DEP_3) | instskip(NEXT) | instid1(VALU_DEP_3)
	v_add_nc_u32_e32 v6, v3, v5
	v_add_nc_u32_e32 v5, v4, v5
	s_mul_i32 s20, s30, s7
	s_delay_alu instid0(SALU_CYCLE_1) | instskip(NEXT) | instid1(VALU_DEP_2)
	s_ashr_i32 s21, s20, 31
	v_ashrrev_i32_e32 v6, 5, v6
	s_delay_alu instid0(VALU_DEP_2) | instskip(SKIP_1) | instid1(SALU_CYCLE_1)
	v_ashrrev_i32_e32 v5, 5, v5
	s_lshl_b64 s[20:21], s[20:21], 2
	s_add_u32 s7, s2, s20
	s_delay_alu instid0(VALU_DEP_2) | instskip(SKIP_3) | instid1(VALU_DEP_2)
	v_cndmask_b32_e32 v3, s4, v6, vcc_lo
	v_cmp_gt_i32_e32 vcc_lo, s17, v4
	s_addc_u32 s13, s3, s21
	s_mul_i32 s2, s15, s6
	v_ashrrev_i32_e32 v4, 31, v3
	v_cndmask_b32_e32 v5, s4, v5, vcc_lo
	s_ashr_i32 s3, s2, 31
	s_delay_alu instid0(SALU_CYCLE_1) | instskip(NEXT) | instid1(VALU_DEP_2)
	s_lshl_b64 s[2:3], s[2:3], 1
	v_lshlrev_b64 v[3:4], 2, v[3:4]
	s_delay_alu instid0(VALU_DEP_2) | instskip(SKIP_3) | instid1(VALU_DEP_1)
	v_ashrrev_i32_e32 v6, 31, v5
	s_add_u32 s6, s8, s2
	s_addc_u32 s15, s9, s3
	s_lshl_b32 s8, s14, 3
	v_lshlrev_b64 v[5:6], 2, v[5:6]
	v_add_co_u32 v3, vcc_lo, s7, v3
	v_add_co_ci_u32_e32 v4, vcc_lo, s13, v4, vcc_lo
	s_ashr_i32 s9, s8, 31
	s_delay_alu instid0(VALU_DEP_3) | instskip(NEXT) | instid1(VALU_DEP_4)
	v_add_co_u32 v5, vcc_lo, s7, v5
	v_add_co_ci_u32_e32 v6, vcc_lo, s13, v6, vcc_lo
	s_clause 0x1
	global_load_b32 v7, v[3:4], off
	global_load_b32 v8, v[5:6], off
	s_lshl_b64 s[8:9], s[8:9], 2
	s_delay_alu instid0(SALU_CYCLE_1) | instskip(SKIP_2) | instid1(SALU_CYCLE_1)
	s_add_u32 s8, s7, s8
	s_addc_u32 s9, s13, s9
	s_or_b32 s16, s12, 32
	s_ashr_i32 s19, s16, 5
	s_cmp_lt_i32 s16, s17
	s_cselect_b32 s20, s19, s4
	s_delay_alu instid0(SALU_CYCLE_1) | instskip(NEXT) | instid1(SALU_CYCLE_1)
	s_ashr_i32 s21, s20, 31
	s_lshl_b64 s[20:21], s[20:21], 2
	s_delay_alu instid0(SALU_CYCLE_1) | instskip(SKIP_2) | instid1(SALU_CYCLE_1)
	s_add_u32 s20, s7, s20
	s_addc_u32 s21, s13, s21
	s_or_b32 s16, s12, 64
	s_ashr_i32 s19, s16, 5
	s_cmp_lt_i32 s16, s17
	s_cselect_b32 s22, s19, s4
	s_delay_alu instid0(SALU_CYCLE_1) | instskip(NEXT) | instid1(SALU_CYCLE_1)
	s_ashr_i32 s23, s22, 31
	s_lshl_b64 s[22:23], s[22:23], 2
	s_delay_alu instid0(SALU_CYCLE_1) | instskip(SKIP_2) | instid1(SALU_CYCLE_1)
	s_add_u32 s22, s7, s22
	s_addc_u32 s23, s13, s23
	s_or_b32 s16, s12, 0x60
	s_ashr_i32 s19, s16, 5
	s_cmp_lt_i32 s16, s17
	s_cselect_b32 s24, s19, s4
	s_delay_alu instid0(SALU_CYCLE_1) | instskip(NEXT) | instid1(SALU_CYCLE_1)
	s_ashr_i32 s25, s24, 31
	s_lshl_b64 s[24:25], s[24:25], 2
	s_delay_alu instid0(SALU_CYCLE_1) | instskip(SKIP_2) | instid1(SALU_CYCLE_1)
	s_add_u32 s24, s7, s24
	s_addc_u32 s25, s13, s25
	s_or_b32 s16, s12, 0x80
	s_ashr_i32 s19, s16, 5
	s_cmp_lt_i32 s16, s17
	s_cselect_b32 s26, s19, s4
	s_delay_alu instid0(SALU_CYCLE_1) | instskip(NEXT) | instid1(SALU_CYCLE_1)
	s_ashr_i32 s27, s26, 31
	s_lshl_b64 s[26:27], s[26:27], 2
	s_delay_alu instid0(SALU_CYCLE_1) | instskip(SKIP_2) | instid1(SALU_CYCLE_1)
	s_add_u32 s26, s7, s26
	s_addc_u32 s27, s13, s27
	s_or_b32 s16, s12, 0xa0
	s_ashr_i32 s19, s16, 5
	s_cmp_lt_i32 s16, s17
	s_cselect_b32 s28, s19, s4
	s_delay_alu instid0(SALU_CYCLE_1) | instskip(NEXT) | instid1(SALU_CYCLE_1)
	s_ashr_i32 s29, s28, 31
	s_lshl_b64 s[28:29], s[28:29], 2
	s_delay_alu instid0(SALU_CYCLE_1)
	s_add_u32 s28, s7, s28
	s_addc_u32 s29, s13, s29
	s_clause 0x5
	s_load_b32 s16, s[8:9], 0x0
	s_load_b32 s19, s[20:21], 0x0
	;; [unrolled: 1-line block ×6, first 2 shown]
	s_mov_b32 s20, 0
	s_delay_alu instid0(SALU_CYCLE_1)
	s_mov_b32 s27, s20
	s_mov_b32 s24, s20
	;; [unrolled: 1-line block ×7, first 2 shown]
	v_dual_mov_b32 v108, s27 :: v_dual_mov_b32 v105, s24
	v_dual_mov_b32 v107, s26 :: v_dual_mov_b32 v106, s25
	;; [unrolled: 1-line block ×4, first 2 shown]
	s_waitcnt lgkmcnt(0)
	s_mul_hi_i32 s29, s34, s5
	s_mul_i32 s28, s34, s5
	s_mul_hi_i32 s21, s16, s5
	s_mul_i32 s20, s16, s5
	;; [unrolled: 2-line block ×5, first 2 shown]
	s_waitcnt vmcnt(1)
	v_mad_i64_i32 v[3:4], null, v7, s5, 0
	s_waitcnt vmcnt(0)
	v_mad_i64_i32 v[5:6], null, v8, s5, 0
	s_delay_alu instid0(VALU_DEP_2) | instskip(NEXT) | instid1(VALU_DEP_2)
	v_lshlrev_b64 v[3:4], 1, v[3:4]
	v_lshlrev_b64 v[1:2], 1, v[5:6]
	s_delay_alu instid0(VALU_DEP_2) | instskip(NEXT) | instid1(VALU_DEP_3)
	v_add_co_u32 v3, vcc_lo, s6, v3
	v_add_co_ci_u32_e32 v4, vcc_lo, s15, v4, vcc_lo
	s_delay_alu instid0(VALU_DEP_3) | instskip(NEXT) | instid1(VALU_DEP_4)
	v_add_co_u32 v1, vcc_lo, s6, v1
	v_add_co_ci_u32_e32 v2, vcc_lo, s15, v2, vcc_lo
	s_delay_alu instid0(VALU_DEP_4) | instskip(NEXT) | instid1(VALU_DEP_4)
	v_add_co_u32 v65, vcc_lo, v3, v81
	v_add_co_ci_u32_e32 v66, vcc_lo, v4, v82, vcc_lo
	s_delay_alu instid0(VALU_DEP_4) | instskip(NEXT) | instid1(VALU_DEP_4)
	v_add_co_u32 v76, vcc_lo, v1, v81
	v_add_co_ci_u32_e32 v77, vcc_lo, v2, v82, vcc_lo
	s_clause 0xf
	global_load_b128 v[1:4], v[65:66], off
	global_load_b128 v[5:8], v[65:66], off offset:512
	global_load_b128 v[9:12], v[76:77], off offset:256
	global_load_b128 v[13:16], v[76:77], off offset:768
	global_load_b128 v[17:20], v[65:66], off offset:1024
	global_load_b128 v[21:24], v[65:66], off offset:1536
	global_load_b128 v[25:28], v[76:77], off offset:1280
	global_load_b128 v[29:32], v[76:77], off offset:1792
	global_load_b128 v[33:36], v[65:66], off offset:2048
	global_load_b128 v[37:40], v[65:66], off offset:2560
	global_load_b128 v[41:44], v[76:77], off offset:2304
	global_load_b128 v[45:48], v[76:77], off offset:2816
	global_load_b128 v[49:52], v[65:66], off offset:3072
	global_load_b128 v[53:56], v[65:66], off offset:3584
	global_load_b128 v[57:60], v[76:77], off offset:3328
	global_load_b128 v[61:64], v[76:77], off offset:3840
	v_add_co_u32 v78, vcc_lo, 0x1000, v65
	v_add_co_ci_u32_e32 v79, vcc_lo, 0, v66, vcc_lo
	v_cmp_gt_u32_e32 vcc_lo, 13, v73
	s_clause 0x1
	global_load_b128 v[65:68], v[78:79], off
	global_load_b128 v[69:72], v[78:79], off offset:512
	s_or_b32 s6, s12, 0xc0
	v_cndmask_b32_e32 v80, v80, v73, vcc_lo
	v_add_co_u32 v76, vcc_lo, 0x1000, v76
	v_add_co_ci_u32_e32 v77, vcc_lo, 0, v77, vcc_lo
	s_delay_alu instid0(VALU_DEP_3)
	v_lshlrev_b32_e32 v80, 6, v80
	ds_load_b128 v[85:88], v80
	ds_load_b128 v[89:92], v80 offset:1024
	s_clause 0x1
	global_load_b128 v[93:96], v[76:77], off offset:256
	global_load_b128 v[97:100], v[76:77], off offset:768
	ds_load_b128 v[109:112], v80 offset:2048
	ds_load_b128 v[113:116], v80 offset:3072
	s_ashr_i32 s8, s6, 5
	s_cmp_lt_i32 s6, s17
	s_cselect_b32 s8, s8, s4
	s_delay_alu instid0(SALU_CYCLE_1) | instskip(NEXT) | instid1(SALU_CYCLE_1)
	s_ashr_i32 s9, s8, 31
	s_lshl_b64 s[8:9], s[8:9], 2
	s_delay_alu instid0(SALU_CYCLE_1) | instskip(SKIP_2) | instid1(SALU_CYCLE_1)
	s_add_u32 s8, s7, s8
	s_addc_u32 s9, s13, s9
	s_or_b32 s6, s12, 0xe0
	s_ashr_i32 s15, s6, 5
	s_cmp_lt_i32 s6, s17
	s_cselect_b32 s24, s15, s4
	s_delay_alu instid0(SALU_CYCLE_1) | instskip(NEXT) | instid1(SALU_CYCLE_1)
	s_ashr_i32 s25, s24, 31
	s_lshl_b64 s[24:25], s[24:25], 2
	s_delay_alu instid0(SALU_CYCLE_1) | instskip(SKIP_2) | instid1(SALU_CYCLE_1)
	s_add_u32 s24, s7, s24
	s_addc_u32 s25, s13, s25
	s_add_i32 s6, s12, 0x100
	s_ashr_i32 s15, s6, 5
	s_cmp_lt_i32 s6, s17
	s_cselect_b32 s34, s15, s4
	s_waitcnt vmcnt(18) lgkmcnt(2)
	v_wmma_f32_16x16x16_bf16 v[117:124], v[1:8], v[85:92], v[101:108]
	s_waitcnt vmcnt(16)
	v_wmma_f32_16x16x16_bf16 v[101:108], v[9:16], v[85:92], v[101:108]
	s_clause 0x3
	global_load_b128 v[1:4], v[78:79], off offset:1024
	global_load_b128 v[5:8], v[78:79], off offset:1536
	global_load_b128 v[9:12], v[76:77], off offset:1280
	global_load_b128 v[13:16], v[76:77], off offset:1792
	s_waitcnt vmcnt(18) lgkmcnt(0)
	v_wmma_f32_16x16x16_bf16 v[117:124], v[17:24], v[109:116], v[117:124]
	s_clause 0x1
	global_load_b128 v[17:20], v[78:79], off offset:2048
	global_load_b128 v[21:24], v[78:79], off offset:2560
	s_waitcnt vmcnt(18)
	v_wmma_f32_16x16x16_bf16 v[101:108], v[25:32], v[109:116], v[101:108]
	ds_load_b128 v[25:28], v80 offset:4096
	ds_load_b128 v[29:32], v80 offset:5120
	s_clause 0x5
	global_load_b128 v[109:112], v[76:77], off offset:2304
	global_load_b128 v[113:116], v[76:77], off offset:2816
	;; [unrolled: 1-line block ×6, first 2 shown]
	s_waitcnt vmcnt(22) lgkmcnt(0)
	v_wmma_f32_16x16x16_bf16 v[117:124], v[33:40], v[25:32], v[117:124]
	s_waitcnt vmcnt(20)
	v_wmma_f32_16x16x16_bf16 v[101:108], v[41:48], v[25:32], v[101:108]
	ds_load_b128 v[25:28], v80 offset:6144
	ds_load_b128 v[29:32], v80 offset:7168
	;; [unrolled: 1-line block ×4, first 2 shown]
	s_waitcnt vmcnt(18) lgkmcnt(2)
	v_wmma_f32_16x16x16_bf16 v[117:124], v[49:56], v[25:32], v[117:124]
	s_waitcnt vmcnt(16)
	v_wmma_f32_16x16x16_bf16 v[101:108], v[57:64], v[25:32], v[101:108]
	ds_load_b128 v[25:28], v80 offset:10240
	ds_load_b128 v[29:32], v80 offset:11264
	;; [unrolled: 1-line block ×6, first 2 shown]
	s_waitcnt vmcnt(14) lgkmcnt(6)
	v_wmma_f32_16x16x16_bf16 v[117:124], v[65:72], v[33:40], v[117:124]
	s_load_b32 s16, s[8:9], 0x0
	s_mul_hi_i32 s9, s35, s5
	s_mul_i32 s8, s35, s5
	s_ashr_i32 s35, s34, 31
	s_waitcnt vmcnt(12)
	v_wmma_f32_16x16x16_bf16 v[101:108], v[93:100], v[33:40], v[101:108]
	s_lshl_b64 s[34:35], s[34:35], 2
	s_delay_alu instid0(SALU_CYCLE_1)
	s_add_u32 s6, s7, s34
	s_addc_u32 s7, s13, s35
	s_add_u32 s4, s10, s2
	s_addc_u32 s19, s11, s3
	s_lshl_b64 s[2:3], s[20:21], 1
	s_clause 0x1
	s_load_b32 s13, s[24:25], 0x0
	s_load_b32 s15, s[6:7], 0x0
	s_lshl_b64 s[6:7], s[22:23], 1
	s_lshl_b64 s[10:11], s[26:27], 1
	;; [unrolled: 1-line block ×5, first 2 shown]
	s_waitcnt lgkmcnt(0)
	s_mul_hi_i32 s25, s16, s5
	s_mul_i32 s24, s16, s5
	s_waitcnt vmcnt(10)
	v_wmma_f32_16x16x16_bf16 v[117:124], v[1:8], v[25:32], v[117:124]
	s_waitcnt vmcnt(8)
	v_wmma_f32_16x16x16_bf16 v[101:108], v[9:16], v[25:32], v[101:108]
	s_waitcnt vmcnt(6)
	s_delay_alu instid0(VALU_DEP_2) | instskip(SKIP_1) | instid1(VALU_DEP_2)
	v_wmma_f32_16x16x16_bf16 v[117:124], v[17:24], v[141:148], v[117:124]
	s_waitcnt vmcnt(4)
	v_wmma_f32_16x16x16_bf16 v[101:108], v[109:116], v[141:148], v[101:108]
	s_waitcnt vmcnt(2)
	s_delay_alu instid0(VALU_DEP_2) | instskip(SKIP_3) | instid1(VALU_DEP_3)
	v_wmma_f32_16x16x16_bf16 v[117:124], v[125:132], v[149:156], v[117:124]
	v_lshlrev_b32_e32 v85, 6, v73
	s_waitcnt vmcnt(0)
	v_wmma_f32_16x16x16_bf16 v[101:108], v[133:140], v[149:156], v[101:108]
	v_mul_f32_e32 v100, s18, v124
	s_delay_alu instid0(VALU_DEP_3) | instskip(SKIP_2) | instid1(VALU_DEP_3)
	v_lshl_or_b32 v41, v74, 10, v85
	v_mul_f32_e32 v99, s18, v118
	v_mul_f32_e32 v97, s18, v117
	v_add_co_u32 v76, s4, s4, v41
	s_delay_alu instid0(VALU_DEP_1) | instskip(NEXT) | instid1(VALU_DEP_2)
	v_add_co_ci_u32_e64 v77, null, s19, 0, s4
	v_add_co_u32 v41, vcc_lo, v76, s2
	s_delay_alu instid0(VALU_DEP_2)
	v_add_co_ci_u32_e32 v42, vcc_lo, s3, v77, vcc_lo
	v_add_co_u32 v33, vcc_lo, v76, s6
	v_add_co_ci_u32_e32 v34, vcc_lo, s7, v77, vcc_lo
	v_add_co_u32 v35, vcc_lo, v76, s10
	;; [unrolled: 2-line block ×5, first 2 shown]
	s_lshl_b64 s[2:3], s[24:25], 1
	v_add_co_ci_u32_e32 v6, vcc_lo, s23, v77, vcc_lo
	s_mul_hi_i32 s7, s13, s5
	s_mul_i32 s6, s13, s5
	v_add_co_u32 v17, vcc_lo, v76, s2
	v_add_co_ci_u32_e32 v18, vcc_lo, s3, v77, vcc_lo
	s_lshl_b64 s[2:3], s[6:7], 1
	s_mul_hi_i32 s7, s15, s5
	s_mul_i32 s6, s15, s5
	v_add_co_u32 v19, vcc_lo, v76, s2
	v_add_co_ci_u32_e32 v20, vcc_lo, s3, v77, vcc_lo
	s_lshl_b64 s[2:3], s[6:7], 1
	s_clause 0x1
	global_load_b128 v[65:68], v[41:42], off
	global_load_b128 v[69:72], v[41:42], off offset:16
	v_add_co_u32 v21, vcc_lo, v76, s2
	v_add_co_ci_u32_e32 v22, vcc_lo, s3, v77, vcc_lo
	s_clause 0xf
	global_load_b128 v[57:60], v[33:34], off
	global_load_b128 v[61:64], v[33:34], off offset:16
	global_load_b128 v[49:52], v[35:36], off
	global_load_b128 v[53:56], v[35:36], off offset:16
	;; [unrolled: 2-line block ×8, first 2 shown]
	v_mbcnt_lo_u32_b32 v77, -1, 0
	s_waitcnt vmcnt(0)
	s_barrier
	buffer_gl0_inv
	v_xor_b32_e32 v78, 16, v77
	s_delay_alu instid0(VALU_DEP_1) | instskip(SKIP_1) | instid1(VALU_DEP_1)
	v_cmp_gt_i32_e32 vcc_lo, 32, v78
	v_dual_cndmask_b32 v77, v77, v78 :: v_dual_and_b32 v76, 0xe0, v0
	v_add_nc_u32_e32 v76, s12, v76
	s_delay_alu instid0(VALU_DEP_1) | instskip(NEXT) | instid1(VALU_DEP_1)
	v_or_b32_e32 v76, v76, v83
	v_or_b32_e32 v78, 2, v76
	;; [unrolled: 1-line block ×4, first 2 shown]
	v_cmp_gt_i32_e32 vcc_lo, s17, v76
	v_or_b32_e32 v86, 8, v76
	v_cmp_gt_i32_e64 s2, s17, v78
	v_or_b32_e32 v87, 10, v76
	v_or_b32_e32 v88, 12, v76
	;; [unrolled: 1-line block ×11, first 2 shown]
	v_cndmask_b32_e32 v76, 0xff7fffff, v97, vcc_lo
	v_cmp_gt_i32_e64 s3, s17, v80
	v_mul_f32_e32 v80, s18, v119
	v_cndmask_b32_e64 v78, 0xff7fffff, v99, s2
	v_mul_f32_e32 v99, s18, v120
	v_cmp_gt_i32_e64 s4, s17, v79
	v_mul_f32_e32 v97, s18, v123
	v_mul_f32_e32 v79, s18, v122
	v_max3_f32 v76, v76, 0xff7fffff, v78
	v_mul_f32_e32 v78, s18, v121
	v_cndmask_b32_e64 v80, 0xff7fffff, v80, s4
	v_cmp_gt_i32_e64 s5, s17, v86
	v_cmp_gt_i32_e64 s6, s17, v87
	v_mul_f32_e32 v86, s18, v107
	v_cndmask_b32_e64 v99, 0xff7fffff, v99, s3
	v_cmp_gt_i32_e64 s7, s17, v89
	v_cndmask_b32_e64 v78, 0xff7fffff, v78, s5
	v_cmp_gt_i32_e64 s8, s17, v88
	v_mul_f32_e32 v89, s18, v101
	v_max3_f32 v76, v76, v80, v99
	v_mul_f32_e32 v80, s18, v108
	v_cndmask_b32_e64 v79, 0xff7fffff, v79, s6
	v_dual_mul_f32 v99, s18, v105 :: v_dual_mul_f32 v88, s18, v102
	v_cndmask_b32_e64 v97, 0xff7fffff, v97, s8
	v_cndmask_b32_e64 v100, 0xff7fffff, v100, s7
	s_delay_alu instid0(VALU_DEP_4) | instskip(SKIP_4) | instid1(VALU_DEP_4)
	v_max3_f32 v76, v76, v78, v79
	v_cmp_gt_i32_e64 s9, s17, v90
	v_cmp_gt_i32_e64 s10, s17, v91
	v_dual_mul_f32 v87, s18, v106 :: v_dual_mul_f32 v78, s18, v104
	v_mul_f32_e32 v79, s18, v103
	v_cndmask_b32_e64 v89, 0xff7fffff, v89, s9
	s_delay_alu instid0(VALU_DEP_4)
	v_cndmask_b32_e64 v88, 0xff7fffff, v88, s10
	v_max3_f32 v76, v76, v97, v100
	v_cmp_gt_i32_e64 s11, s17, v92
	v_cmp_gt_i32_e64 s12, s17, v93
	;; [unrolled: 1-line block ×4, first 2 shown]
	v_max3_f32 v76, v76, v89, v88
	v_cndmask_b32_e64 v79, 0xff7fffff, v79, s11
	v_cndmask_b32_e64 v78, 0xff7fffff, v78, s12
	;; [unrolled: 1-line block ×4, first 2 shown]
	v_cmp_gt_i32_e64 s16, s17, v96
	v_cmp_gt_i32_e64 s17, s17, v98
	v_max3_f32 v76, v76, v79, v78
	v_lshlrev_b32_e32 v99, 2, v77
	s_delay_alu instid0(VALU_DEP_4) | instskip(NEXT) | instid1(VALU_DEP_4)
	v_cndmask_b32_e64 v78, 0xff7fffff, v86, s16
	v_cndmask_b32_e64 v79, 0xff7fffff, v80, s17
	s_delay_alu instid0(VALU_DEP_4) | instskip(NEXT) | instid1(VALU_DEP_1)
	v_max3_f32 v76, v76, v88, v87
	v_max3_f32 v76, v76, v78, v79
	ds_bpermute_b32 v77, v99, v76
	s_waitcnt lgkmcnt(0)
	v_max_f32_e32 v77, v77, v77
	s_delay_alu instid0(VALU_DEP_1) | instskip(NEXT) | instid1(VALU_DEP_1)
	v_max_f32_e32 v76, v76, v77
	v_fma_f32 v78, s18, v118, -v76
	v_fma_f32 v77, s18, v117, -v76
	;; [unrolled: 1-line block ×5, first 2 shown]
	v_mul_f32_e32 v78, 0x3fb8aa3b, v78
	v_fma_f32 v87, s18, v123, -v76
	v_fma_f32 v88, s18, v105, -v76
	v_mul_f32_e32 v80, 0x3fb8aa3b, v80
	v_mul_f32_e32 v86, 0x3fb8aa3b, v86
	v_exp_f32_e32 v78, v78
	v_fma_f32 v90, s18, v107, -v76
	v_fma_f32 v100, s18, v108, -v76
	v_exp_f32_e32 v80, v80
	v_exp_f32_e32 v86, v86
	v_mul_f32_e32 v88, 0x3fb8aa3b, v88
	s_delay_alu instid0(VALU_DEP_2) | instskip(NEXT) | instid1(TRANS32_DEP_3)
	v_mul_f32_e32 v100, 0x3fb8aa3b, v100
	v_cndmask_b32_e64 v91, 0, v78, s2
	v_mul_f32_e32 v77, 0x3fb8aa3b, v77
	s_delay_alu instid0(VALU_DEP_4) | instskip(NEXT) | instid1(TRANS32_DEP_3)
	v_exp_f32_e32 v88, v88
	v_cndmask_b32_e64 v95, 0, v80, s3
	v_fma_f32 v80, s18, v101, -v76
	s_delay_alu instid0(TRANS32_DEP_2)
	v_cndmask_b32_e64 v96, 0, v86, s5
	v_exp_f32_e32 v77, v77
	v_mul_f32_e32 v79, 0x3fb8aa3b, v79
	v_fma_f32 v86, s18, v102, -v76
	v_mul_f32_e32 v80, 0x3fb8aa3b, v80
	v_cmp_gt_u32_e64 s2, 16, v75
	v_exp_f32_e32 v100, v100
	s_delay_alu instid0(VALU_DEP_2) | instskip(NEXT) | instid1(TRANS32_DEP_3)
	v_exp_f32_e32 v80, v80
	v_cndmask_b32_e32 v92, 0, v77, vcc_lo
	v_exp_f32_e32 v79, v79
	v_fma_f32 v77, s18, v122, -v76
	s_delay_alu instid0(VALU_DEP_2) | instskip(NEXT) | instid1(VALU_DEP_1)
	v_add_f32_e32 v78, 0, v92
	v_add_f32_e32 v78, v78, v91
	s_waitcnt_depctr 0xfff
	v_cndmask_b32_e64 v93, 0, v79, s4
	v_mul_f32_e32 v87, 0x3fb8aa3b, v87
	v_fma_f32 v79, s18, v124, -v76
	s_delay_alu instid0(VALU_DEP_3) | instskip(SKIP_1) | instid1(VALU_DEP_3)
	v_add_f32_e32 v78, v78, v93
	v_mul_f32_e32 v77, 0x3fb8aa3b, v77
	v_mul_f32_e32 v79, 0x3fb8aa3b, v79
	v_exp_f32_e32 v87, v87
	s_delay_alu instid0(VALU_DEP_3) | instskip(NEXT) | instid1(VALU_DEP_3)
	v_add_f32_e32 v78, v78, v95
	v_exp_f32_e32 v77, v77
	s_delay_alu instid0(VALU_DEP_2) | instskip(NEXT) | instid1(TRANS32_DEP_3)
	v_exp_f32_e32 v79, v79
	v_cndmask_b32_e64 v94, 0, v87, s8
	v_fma_f32 v87, s18, v104, -v76
	s_waitcnt_depctr 0xfff
	v_cndmask_b32_e64 v97, 0, v77, s6
	v_add_f32_e32 v77, v78, v96
	v_fma_f32 v78, s18, v103, -v76
	v_mul_f32_e32 v86, 0x3fb8aa3b, v86
	v_cndmask_b32_e64 v98, 0, v79, s7
	v_mul_f32_e32 v87, 0x3fb8aa3b, v87
	s_delay_alu instid0(VALU_DEP_4) | instskip(NEXT) | instid1(VALU_DEP_4)
	v_dual_add_f32 v77, v77, v97 :: v_dual_mul_f32 v78, 0x3fb8aa3b, v78
	v_exp_f32_e32 v86, v86
	s_delay_alu instid0(VALU_DEP_2) | instskip(NEXT) | instid1(VALU_DEP_1)
	v_exp_f32_e32 v87, v87
	v_add_f32_e32 v79, v77, v94
	s_delay_alu instid0(VALU_DEP_2) | instskip(SKIP_2) | instid1(VALU_DEP_3)
	v_exp_f32_e32 v89, v78
	v_cndmask_b32_e64 v77, 0, v80, s9
	v_fma_f32 v80, s18, v106, -v76
	v_add_f32_e32 v79, v79, v98
	s_delay_alu instid0(TRANS32_DEP_3) | instskip(NEXT) | instid1(VALU_DEP_3)
	v_cndmask_b32_e64 v78, 0, v86, s10
	v_mul_f32_e32 v80, 0x3fb8aa3b, v80
	s_delay_alu instid0(VALU_DEP_3) | instskip(NEXT) | instid1(TRANS32_DEP_1)
	v_add_f32_e32 v86, v79, v77
	v_cndmask_b32_e64 v79, 0, v89, s11
	v_mul_f32_e32 v89, 0x3fb8aa3b, v90
	s_delay_alu instid0(VALU_DEP_4) | instskip(SKIP_2) | instid1(VALU_DEP_3)
	v_exp_f32_e32 v90, v80
	v_cndmask_b32_e64 v80, 0, v87, s12
	v_add_f32_e32 v86, v86, v78
	v_exp_f32_e32 v89, v89
	s_delay_alu instid0(VALU_DEP_1) | instskip(SKIP_1) | instid1(VALU_DEP_2)
	v_add_f32_e32 v87, v86, v79
	v_cndmask_b32_e64 v86, 0, v88, s13
	v_add_f32_e32 v88, v87, v80
	s_delay_alu instid0(TRANS32_DEP_2) | instskip(NEXT) | instid1(VALU_DEP_2)
	v_cndmask_b32_e64 v87, 0, v90, s15
	v_add_f32_e32 v90, v88, v86
	s_waitcnt_depctr 0xfff
	v_cndmask_b32_e64 v88, 0, v89, s16
	v_add_f32_e32 v89, v90, v87
	s_delay_alu instid0(VALU_DEP_1) | instskip(SKIP_1) | instid1(VALU_DEP_1)
	v_add_f32_e32 v90, v89, v88
	v_cndmask_b32_e64 v89, 0, v100, s17
	v_add_f32_e32 v90, v90, v89
	ds_bpermute_b32 v99, v99, v90
	s_and_saveexec_b32 s3, s2
	s_cbranch_execz .LBB762_14
; %bb.13:
	v_mul_u32_u24_e32 v75, 0x44, v74
	s_waitcnt lgkmcnt(0)
	v_add_f32_e32 v90, v90, v99
	s_delay_alu instid0(VALU_DEP_2) | instskip(NEXT) | instid1(VALU_DEP_1)
	v_lshl_add_u32 v75, v73, 2, v75
	v_add_nc_u32_e32 v75, 0x4000, v75
	ds_store_2addr_b32 v75, v76, v90 offset1:136
.LBB762_14:
	s_or_b32 exec_lo, exec_lo, s3
	v_lshlrev_b32_e32 v75, 2, v73
	s_waitcnt lgkmcnt(0)
	s_barrier
	buffer_gl0_inv
	v_cmp_eq_u32_e64 s3, 1, v74
	v_add_nc_u32_e32 v90, 0x4000, v75
	ds_load_2addr_b32 v[99:100], v90 offset1:17
	ds_load_2addr_b32 v[101:102], v90 offset0:34 offset1:51
	ds_load_2addr_b32 v[103:104], v90 offset0:68 offset1:85
	;; [unrolled: 1-line block ×4, first 2 shown]
	s_waitcnt lgkmcnt(4)
	v_max3_f32 v75, v99, 0xff7fffff, v100
	s_waitcnt lgkmcnt(3)
	s_delay_alu instid0(VALU_DEP_1) | instskip(SKIP_1) | instid1(VALU_DEP_1)
	v_max3_f32 v75, v75, v101, v102
	s_waitcnt lgkmcnt(2)
	v_max3_f32 v75, v75, v103, v104
	s_waitcnt lgkmcnt(1)
	s_delay_alu instid0(VALU_DEP_1) | instskip(NEXT) | instid1(VALU_DEP_1)
	v_max3_f32 v75, v75, v105, v106
	v_sub_f32_e32 v109, v100, v75
	v_sub_f32_e32 v76, v99, v75
	ds_load_2addr_b32 v[99:100], v90 offset0:170 offset1:187
	v_sub_f32_e32 v101, v101, v75
	v_dual_mul_f32 v109, 0x3fb8aa3b, v109 :: v_dual_mul_f32 v76, 0x3fb8aa3b, v76
	s_delay_alu instid0(VALU_DEP_2) | instskip(NEXT) | instid1(VALU_DEP_2)
	v_mul_f32_e32 v111, 0x3fb8aa3b, v101
	v_exp_f32_e32 v109, v109
	s_delay_alu instid0(VALU_DEP_2)
	v_exp_f32_e32 v110, v76
	v_sub_f32_e32 v76, v102, v75
	ds_load_2addr_b32 v[101:102], v90 offset0:204 offset1:221
	v_exp_f32_e32 v111, v111
	v_mul_f32_e32 v112, 0x3fb8aa3b, v76
	s_waitcnt lgkmcnt(2)
	v_fma_f32 v76, v110, v107, 0
	v_sub_f32_e32 v103, v103, v75
	s_delay_alu instid0(VALU_DEP_3) | instskip(NEXT) | instid1(VALU_DEP_2)
	v_exp_f32_e32 v112, v112
	v_dual_sub_f32 v107, v104, v75 :: v_dual_fmac_f32 v76, v109, v108
	s_waitcnt lgkmcnt(1)
	s_waitcnt_depctr 0xfff
	v_fmac_f32_e32 v76, v111, v99
	v_mul_f32_e32 v113, 0x3fb8aa3b, v103
	ds_load_2addr_b32 v[103:104], v90 offset0:238 offset1:255
	v_sub_f32_e32 v90, v105, v75
	v_dual_sub_f32 v99, v106, v75 :: v_dual_fmac_f32 v76, v112, v100
	v_mul_f32_e32 v105, 0x3fb8aa3b, v107
	v_exp_f32_e32 v107, v113
	s_delay_alu instid0(VALU_DEP_2)
	v_dual_mul_f32 v90, 0x3fb8aa3b, v90 :: v_dual_mul_f32 v99, 0x3fb8aa3b, v99
	s_waitcnt lgkmcnt(0)
	s_barrier
	buffer_gl0_inv
	v_exp_f32_e32 v90, v90
	v_exp_f32_e32 v99, v99
	v_fmac_f32_e32 v76, v107, v101
	v_exp_f32_e32 v105, v105
	s_waitcnt_depctr 0xfff
	v_fmac_f32_e32 v76, v105, v102
	s_delay_alu instid0(VALU_DEP_1) | instskip(NEXT) | instid1(VALU_DEP_1)
	v_fmac_f32_e32 v76, v90, v103
	v_fmac_f32_e32 v76, v99, v104
	s_delay_alu instid0(VALU_DEP_1) | instskip(NEXT) | instid1(VALU_DEP_1)
	v_add_f32_e32 v100, 0x358637bd, v76
	v_div_scale_f32 v101, null, v100, v100, 1.0
	v_div_scale_f32 v104, vcc_lo, 1.0, v100, 1.0
	s_delay_alu instid0(VALU_DEP_2) | instskip(SKIP_2) | instid1(VALU_DEP_1)
	v_rcp_f32_e32 v102, v101
	s_waitcnt_depctr 0xfff
	v_fma_f32 v103, -v101, v102, 1.0
	v_fmac_f32_e32 v102, v103, v102
	v_cndmask_b32_e64 v103, v110, v109, s3
	v_cmp_eq_u32_e64 s3, 2, v74
	s_delay_alu instid0(VALU_DEP_3) | instskip(NEXT) | instid1(VALU_DEP_2)
	v_mul_f32_e32 v106, v104, v102
	v_cndmask_b32_e64 v103, v103, v111, s3
	v_cmp_eq_u32_e64 s3, 3, v74
	s_delay_alu instid0(VALU_DEP_3) | instskip(NEXT) | instid1(VALU_DEP_2)
	v_fma_f32 v108, -v101, v106, v104
	v_cndmask_b32_e64 v103, v103, v112, s3
	v_cmp_eq_u32_e64 s3, 4, v74
	s_delay_alu instid0(VALU_DEP_3) | instskip(NEXT) | instid1(VALU_DEP_2)
	v_fmac_f32_e32 v106, v108, v102
	v_cndmask_b32_e64 v103, v103, v107, s3
	s_delay_alu instid0(VALU_DEP_2) | instskip(SKIP_1) | instid1(VALU_DEP_2)
	v_fma_f32 v101, -v101, v106, v104
	v_cmp_eq_u32_e64 s3, 5, v74
	v_div_fmas_f32 v101, v101, v102, v106
	s_delay_alu instid0(VALU_DEP_2) | instskip(SKIP_2) | instid1(VALU_DEP_3)
	v_cndmask_b32_e64 v103, v103, v105, s3
	v_cmp_eq_u32_e32 vcc_lo, 6, v74
	s_mov_b32 s3, exec_lo
	v_div_fixup_f32 v100, v101, v100, 1.0
	s_delay_alu instid0(VALU_DEP_3) | instskip(SKIP_1) | instid1(VALU_DEP_2)
	v_cndmask_b32_e32 v90, v103, v90, vcc_lo
	v_cmp_eq_u32_e32 vcc_lo, 7, v74
	v_cndmask_b32_e32 v90, v90, v99, vcc_lo
	s_delay_alu instid0(VALU_DEP_1) | instskip(NEXT) | instid1(VALU_DEP_1)
	v_mul_f32_e32 v90, v90, v100
	v_mul_f32_e32 v100, v90, v92
	;; [unrolled: 1-line block ×6, first 2 shown]
	v_and_b32_e32 v101, 0x7f800000, v100
	v_mul_f32_e32 v99, v90, v95
	v_mul_f32_e32 v95, v90, v91
	;; [unrolled: 1-line block ×3, first 2 shown]
                                        ; implicit-def: $vgpr91
	s_delay_alu instid0(VALU_DEP_4)
	v_cmpx_ne_u32_e32 0x7f800000, v101
	s_xor_b32 s3, exec_lo, s3
; %bb.15:
	v_bfe_u32 v91, v100, 16, 1
	s_delay_alu instid0(VALU_DEP_1)
	v_add3_u32 v91, v100, v91, 0x7fff
                                        ; implicit-def: $vgpr100
; %bb.16:
	s_and_not1_saveexec_b32 s3, s3
; %bb.17:
	v_and_b32_e32 v91, 0xffff, v100
	v_or_b32_e32 v93, 0x10000, v100
	s_delay_alu instid0(VALU_DEP_2) | instskip(NEXT) | instid1(VALU_DEP_2)
	v_cmp_eq_u32_e32 vcc_lo, 0, v91
	v_cndmask_b32_e32 v91, v93, v100, vcc_lo
; %bb.18:
	s_or_b32 exec_lo, exec_lo, s3
	v_and_b32_e32 v93, 0x7f800000, v95
	s_delay_alu instid0(VALU_DEP_1) | instskip(SKIP_1) | instid1(SALU_CYCLE_1)
	v_cmp_ne_u32_e32 vcc_lo, 0x7f800000, v93
                                        ; implicit-def: $vgpr93
	s_and_saveexec_b32 s3, vcc_lo
	s_xor_b32 s3, exec_lo, s3
; %bb.19:
	v_bfe_u32 v93, v95, 16, 1
	s_delay_alu instid0(VALU_DEP_1)
	v_add3_u32 v93, v95, v93, 0x7fff
                                        ; implicit-def: $vgpr95
; %bb.20:
	s_and_not1_saveexec_b32 s3, s3
; %bb.21:
	v_and_b32_e32 v93, 0xffff, v95
	v_or_b32_e32 v100, 0x10000, v95
	s_delay_alu instid0(VALU_DEP_2) | instskip(NEXT) | instid1(VALU_DEP_2)
	v_cmp_eq_u32_e32 vcc_lo, 0, v93
	v_cndmask_b32_e32 v93, v100, v95, vcc_lo
; %bb.22:
	s_or_b32 exec_lo, exec_lo, s3
	v_and_b32_e32 v95, 0x7f800000, v96
	s_delay_alu instid0(VALU_DEP_1) | instskip(SKIP_1) | instid1(SALU_CYCLE_1)
	v_cmp_ne_u32_e32 vcc_lo, 0x7f800000, v95
                                        ; implicit-def: $vgpr95
	s_and_saveexec_b32 s3, vcc_lo
	s_xor_b32 s3, exec_lo, s3
; %bb.23:
	v_bfe_u32 v95, v96, 16, 1
	s_delay_alu instid0(VALU_DEP_1)
	v_add3_u32 v95, v96, v95, 0x7fff
                                        ; implicit-def: $vgpr96
; %bb.24:
	s_and_not1_saveexec_b32 s3, s3
; %bb.25:
	v_and_b32_e32 v95, 0xffff, v96
	v_or_b32_e32 v100, 0x10000, v96
	s_delay_alu instid0(VALU_DEP_2) | instskip(NEXT) | instid1(VALU_DEP_2)
	v_cmp_eq_u32_e32 vcc_lo, 0, v95
	v_cndmask_b32_e32 v95, v100, v96, vcc_lo
; %bb.26:
	s_or_b32 exec_lo, exec_lo, s3
	v_and_b32_e32 v96, 0x7f800000, v99
	s_delay_alu instid0(VALU_DEP_1) | instskip(SKIP_1) | instid1(SALU_CYCLE_1)
	v_cmp_ne_u32_e32 vcc_lo, 0x7f800000, v96
                                        ; implicit-def: $vgpr96
	s_and_saveexec_b32 s3, vcc_lo
	s_xor_b32 s3, exec_lo, s3
; %bb.27:
	v_bfe_u32 v96, v99, 16, 1
	s_delay_alu instid0(VALU_DEP_1)
	v_add3_u32 v96, v99, v96, 0x7fff
                                        ; implicit-def: $vgpr99
; %bb.28:
	s_and_not1_saveexec_b32 s3, s3
; %bb.29:
	v_and_b32_e32 v96, 0xffff, v99
	v_or_b32_e32 v100, 0x10000, v99
	s_delay_alu instid0(VALU_DEP_2) | instskip(NEXT) | instid1(VALU_DEP_2)
	v_cmp_eq_u32_e32 vcc_lo, 0, v96
	v_cndmask_b32_e32 v96, v100, v99, vcc_lo
; %bb.30:
	s_or_b32 exec_lo, exec_lo, s3
	v_and_b32_e32 v99, 0x7f800000, v98
	s_delay_alu instid0(VALU_DEP_1) | instskip(SKIP_1) | instid1(SALU_CYCLE_1)
	v_cmp_ne_u32_e32 vcc_lo, 0x7f800000, v99
                                        ; implicit-def: $vgpr99
	s_and_saveexec_b32 s3, vcc_lo
	s_xor_b32 s3, exec_lo, s3
; %bb.31:
	v_bfe_u32 v99, v98, 16, 1
	s_delay_alu instid0(VALU_DEP_1)
	v_add3_u32 v99, v98, v99, 0x7fff
                                        ; implicit-def: $vgpr98
; %bb.32:
	s_and_not1_saveexec_b32 s3, s3
; %bb.33:
	v_and_b32_e32 v99, 0xffff, v98
	v_or_b32_e32 v100, 0x10000, v98
	s_delay_alu instid0(VALU_DEP_2) | instskip(NEXT) | instid1(VALU_DEP_2)
	v_cmp_eq_u32_e32 vcc_lo, 0, v99
	v_cndmask_b32_e32 v99, v100, v98, vcc_lo
; %bb.34:
	s_or_b32 exec_lo, exec_lo, s3
	v_and_b32_e32 v98, 0x7f800000, v97
	s_delay_alu instid0(VALU_DEP_1) | instskip(SKIP_1) | instid1(SALU_CYCLE_1)
	v_cmp_ne_u32_e32 vcc_lo, 0x7f800000, v98
                                        ; implicit-def: $vgpr98
	s_and_saveexec_b32 s3, vcc_lo
	s_xor_b32 s3, exec_lo, s3
; %bb.35:
	v_bfe_u32 v98, v97, 16, 1
	s_delay_alu instid0(VALU_DEP_1)
	v_add3_u32 v98, v97, v98, 0x7fff
                                        ; implicit-def: $vgpr97
; %bb.36:
	s_and_not1_saveexec_b32 s3, s3
; %bb.37:
	v_and_b32_e32 v98, 0xffff, v97
	v_or_b32_e32 v100, 0x10000, v97
	s_delay_alu instid0(VALU_DEP_2) | instskip(NEXT) | instid1(VALU_DEP_2)
	v_cmp_eq_u32_e32 vcc_lo, 0, v98
	v_cndmask_b32_e32 v98, v100, v97, vcc_lo
; %bb.38:
	s_or_b32 exec_lo, exec_lo, s3
	v_and_b32_e32 v97, 0x7f800000, v94
	s_delay_alu instid0(VALU_DEP_1) | instskip(SKIP_1) | instid1(SALU_CYCLE_1)
	v_cmp_ne_u32_e32 vcc_lo, 0x7f800000, v97
                                        ; implicit-def: $vgpr97
	s_and_saveexec_b32 s3, vcc_lo
	s_xor_b32 s3, exec_lo, s3
; %bb.39:
	v_bfe_u32 v97, v94, 16, 1
	s_delay_alu instid0(VALU_DEP_1)
	v_add3_u32 v97, v94, v97, 0x7fff
                                        ; implicit-def: $vgpr94
; %bb.40:
	s_and_not1_saveexec_b32 s3, s3
; %bb.41:
	v_and_b32_e32 v97, 0xffff, v94
	v_or_b32_e32 v100, 0x10000, v94
	s_delay_alu instid0(VALU_DEP_2) | instskip(NEXT) | instid1(VALU_DEP_2)
	v_cmp_eq_u32_e32 vcc_lo, 0, v97
	v_cndmask_b32_e32 v97, v100, v94, vcc_lo
; %bb.42:
	s_or_b32 exec_lo, exec_lo, s3
	v_and_b32_e32 v94, 0x7f800000, v92
	s_delay_alu instid0(VALU_DEP_1) | instskip(SKIP_1) | instid1(SALU_CYCLE_1)
	v_cmp_ne_u32_e32 vcc_lo, 0x7f800000, v94
                                        ; implicit-def: $vgpr94
	s_and_saveexec_b32 s3, vcc_lo
	s_xor_b32 s3, exec_lo, s3
; %bb.43:
	v_bfe_u32 v94, v92, 16, 1
	s_delay_alu instid0(VALU_DEP_1)
	v_add3_u32 v94, v92, v94, 0x7fff
                                        ; implicit-def: $vgpr92
; %bb.44:
	s_and_not1_saveexec_b32 s3, s3
; %bb.45:
	v_and_b32_e32 v94, 0xffff, v92
	v_or_b32_e32 v100, 0x10000, v92
	s_delay_alu instid0(VALU_DEP_2) | instskip(NEXT) | instid1(VALU_DEP_2)
	v_cmp_eq_u32_e32 vcc_lo, 0, v94
	v_cndmask_b32_e32 v94, v100, v92, vcc_lo
; %bb.46:
	s_or_b32 exec_lo, exec_lo, s3
	s_load_b64 s[34:35], s[0:1], 0x94
	v_lshlrev_b32_e32 v92, 4, v83
	s_delay_alu instid0(VALU_DEP_2)
	v_perm_b32 v100, v94, v97, 0x7060302
	v_dual_mul_f32 v89, v90, v89 :: v_dual_lshlrev_b32 v94, 11, v74
	v_perm_b32 v97, v93, v91, 0x7060302
	v_mul_f32_e32 v93, v90, v77
	v_perm_b32 v99, v98, v99, 0x7060302
	v_perm_b32 v98, v96, v95, 0x7060302
	v_or3_b32 v77, v92, v94, v85
	v_mul_f32_e32 v88, v90, v88
	v_dual_mul_f32 v87, v90, v87 :: v_dual_and_b32 v94, 0x7f800000, v93
	v_mul_f32_e32 v86, v90, v86
	v_mul_f32_e32 v91, v90, v80
	;; [unrolled: 1-line block ×4, first 2 shown]
	s_mov_b32 s3, exec_lo
	ds_store_b128 v77, v[97:100]
                                        ; implicit-def: $vgpr78
	v_cmpx_ne_u32_e32 0x7f800000, v94
	s_xor_b32 s3, exec_lo, s3
; %bb.47:
	v_bfe_u32 v78, v93, 16, 1
	s_delay_alu instid0(VALU_DEP_1)
	v_add3_u32 v78, v93, v78, 0x7fff
                                        ; implicit-def: $vgpr93
; %bb.48:
	s_and_not1_saveexec_b32 s3, s3
; %bb.49:
	v_and_b32_e32 v78, 0xffff, v93
	v_or_b32_e32 v79, 0x10000, v93
	s_delay_alu instid0(VALU_DEP_2) | instskip(NEXT) | instid1(VALU_DEP_2)
	v_cmp_eq_u32_e32 vcc_lo, 0, v78
	v_cndmask_b32_e32 v78, v79, v93, vcc_lo
; %bb.50:
	s_or_b32 exec_lo, exec_lo, s3
	v_and_b32_e32 v79, 0x7f800000, v80
	s_delay_alu instid0(VALU_DEP_1) | instskip(SKIP_1) | instid1(SALU_CYCLE_1)
	v_cmp_ne_u32_e32 vcc_lo, 0x7f800000, v79
                                        ; implicit-def: $vgpr79
	s_and_saveexec_b32 s3, vcc_lo
	s_xor_b32 s3, exec_lo, s3
; %bb.51:
	v_bfe_u32 v79, v80, 16, 1
	s_delay_alu instid0(VALU_DEP_1)
	v_add3_u32 v79, v80, v79, 0x7fff
                                        ; implicit-def: $vgpr80
; %bb.52:
	s_and_not1_saveexec_b32 s3, s3
; %bb.53:
	v_and_b32_e32 v79, 0xffff, v80
	v_or_b32_e32 v90, 0x10000, v80
	s_delay_alu instid0(VALU_DEP_2) | instskip(NEXT) | instid1(VALU_DEP_2)
	v_cmp_eq_u32_e32 vcc_lo, 0, v79
	v_cndmask_b32_e32 v79, v90, v80, vcc_lo
; %bb.54:
	s_or_b32 exec_lo, exec_lo, s3
	v_and_b32_e32 v80, 0x7f800000, v92
	s_delay_alu instid0(VALU_DEP_1) | instskip(SKIP_1) | instid1(SALU_CYCLE_1)
	v_cmp_ne_u32_e32 vcc_lo, 0x7f800000, v80
                                        ; implicit-def: $vgpr80
	s_and_saveexec_b32 s3, vcc_lo
	s_xor_b32 s3, exec_lo, s3
; %bb.55:
	v_bfe_u32 v80, v92, 16, 1
	s_delay_alu instid0(VALU_DEP_1)
	v_add3_u32 v80, v92, v80, 0x7fff
                                        ; implicit-def: $vgpr92
; %bb.56:
	s_and_not1_saveexec_b32 s3, s3
; %bb.57:
	v_and_b32_e32 v80, 0xffff, v92
	v_or_b32_e32 v90, 0x10000, v92
	s_delay_alu instid0(VALU_DEP_2) | instskip(NEXT) | instid1(VALU_DEP_2)
	v_cmp_eq_u32_e32 vcc_lo, 0, v80
	v_cndmask_b32_e32 v80, v90, v92, vcc_lo
; %bb.58:
	s_or_b32 exec_lo, exec_lo, s3
	v_and_b32_e32 v90, 0x7f800000, v91
	s_delay_alu instid0(VALU_DEP_1) | instskip(SKIP_1) | instid1(SALU_CYCLE_1)
	v_cmp_ne_u32_e32 vcc_lo, 0x7f800000, v90
                                        ; implicit-def: $vgpr90
	s_and_saveexec_b32 s3, vcc_lo
	s_xor_b32 s3, exec_lo, s3
; %bb.59:
	v_bfe_u32 v90, v91, 16, 1
	s_delay_alu instid0(VALU_DEP_1)
	v_add3_u32 v90, v91, v90, 0x7fff
                                        ; implicit-def: $vgpr91
; %bb.60:
	s_and_not1_saveexec_b32 s3, s3
; %bb.61:
	v_and_b32_e32 v90, 0xffff, v91
	v_or_b32_e32 v92, 0x10000, v91
	s_delay_alu instid0(VALU_DEP_2) | instskip(NEXT) | instid1(VALU_DEP_2)
	v_cmp_eq_u32_e32 vcc_lo, 0, v90
	v_cndmask_b32_e32 v90, v92, v91, vcc_lo
; %bb.62:
	s_or_b32 exec_lo, exec_lo, s3
	v_and_b32_e32 v91, 0x7f800000, v86
	s_delay_alu instid0(VALU_DEP_1) | instskip(SKIP_1) | instid1(SALU_CYCLE_1)
	v_cmp_ne_u32_e32 vcc_lo, 0x7f800000, v91
                                        ; implicit-def: $vgpr91
	s_and_saveexec_b32 s3, vcc_lo
	s_xor_b32 s3, exec_lo, s3
; %bb.63:
	v_bfe_u32 v91, v86, 16, 1
	s_delay_alu instid0(VALU_DEP_1)
	v_add3_u32 v91, v86, v91, 0x7fff
                                        ; implicit-def: $vgpr86
; %bb.64:
	s_and_not1_saveexec_b32 s3, s3
; %bb.65:
	v_and_b32_e32 v91, 0xffff, v86
	v_or_b32_e32 v92, 0x10000, v86
	s_delay_alu instid0(VALU_DEP_2) | instskip(NEXT) | instid1(VALU_DEP_2)
	v_cmp_eq_u32_e32 vcc_lo, 0, v91
	v_cndmask_b32_e32 v91, v92, v86, vcc_lo
; %bb.66:
	s_or_b32 exec_lo, exec_lo, s3
	v_and_b32_e32 v86, 0x7f800000, v87
	s_delay_alu instid0(VALU_DEP_1) | instskip(SKIP_1) | instid1(SALU_CYCLE_1)
	v_cmp_ne_u32_e32 vcc_lo, 0x7f800000, v86
                                        ; implicit-def: $vgpr86
	s_and_saveexec_b32 s3, vcc_lo
	s_xor_b32 s3, exec_lo, s3
; %bb.67:
	v_bfe_u32 v86, v87, 16, 1
	s_delay_alu instid0(VALU_DEP_1)
	v_add3_u32 v86, v87, v86, 0x7fff
                                        ; implicit-def: $vgpr87
; %bb.68:
	s_and_not1_saveexec_b32 s3, s3
; %bb.69:
	v_and_b32_e32 v86, 0xffff, v87
	v_or_b32_e32 v92, 0x10000, v87
	s_delay_alu instid0(VALU_DEP_2) | instskip(NEXT) | instid1(VALU_DEP_2)
	v_cmp_eq_u32_e32 vcc_lo, 0, v86
	v_cndmask_b32_e32 v86, v92, v87, vcc_lo
; %bb.70:
	s_or_b32 exec_lo, exec_lo, s3
	v_and_b32_e32 v87, 0x7f800000, v88
	s_delay_alu instid0(VALU_DEP_1) | instskip(SKIP_1) | instid1(SALU_CYCLE_1)
	v_cmp_ne_u32_e32 vcc_lo, 0x7f800000, v87
                                        ; implicit-def: $vgpr87
	s_and_saveexec_b32 s3, vcc_lo
	s_xor_b32 s3, exec_lo, s3
; %bb.71:
	v_bfe_u32 v87, v88, 16, 1
	s_delay_alu instid0(VALU_DEP_1)
	v_add3_u32 v87, v88, v87, 0x7fff
                                        ; implicit-def: $vgpr88
; %bb.72:
	s_and_not1_saveexec_b32 s3, s3
; %bb.73:
	v_and_b32_e32 v87, 0xffff, v88
	v_or_b32_e32 v92, 0x10000, v88
	s_delay_alu instid0(VALU_DEP_2) | instskip(NEXT) | instid1(VALU_DEP_2)
	v_cmp_eq_u32_e32 vcc_lo, 0, v87
	v_cndmask_b32_e32 v87, v92, v88, vcc_lo
; %bb.74:
	s_or_b32 exec_lo, exec_lo, s3
	v_and_b32_e32 v88, 0x7f800000, v89
	s_delay_alu instid0(VALU_DEP_1) | instskip(SKIP_1) | instid1(SALU_CYCLE_1)
	v_cmp_ne_u32_e32 vcc_lo, 0x7f800000, v88
                                        ; implicit-def: $vgpr88
	s_and_saveexec_b32 s3, vcc_lo
	s_xor_b32 s3, exec_lo, s3
; %bb.75:
	v_bfe_u32 v88, v89, 16, 1
	s_delay_alu instid0(VALU_DEP_1)
	v_add3_u32 v88, v89, v88, 0x7fff
                                        ; implicit-def: $vgpr89
; %bb.76:
	s_and_not1_saveexec_b32 s3, s3
; %bb.77:
	v_and_b32_e32 v88, 0xffff, v89
	v_or_b32_e32 v92, 0x10000, v89
	s_delay_alu instid0(VALU_DEP_2) | instskip(NEXT) | instid1(VALU_DEP_2)
	v_cmp_eq_u32_e32 vcc_lo, 0, v88
	v_cndmask_b32_e32 v88, v92, v89, vcc_lo
; %bb.78:
	s_or_b32 exec_lo, exec_lo, s3
	s_delay_alu instid0(VALU_DEP_1)
	v_perm_b32 v89, v88, v87, 0x7060302
	v_perm_b32 v88, v86, v91, 0x7060302
	;; [unrolled: 1-line block ×4, first 2 shown]
	v_lshl_or_b32 v90, v74, 11, v85
	ds_store_b128 v77, v[86:89] offset:1024
	s_waitcnt lgkmcnt(0)
	s_barrier
	buffer_gl0_inv
	ds_load_b128 v[91:94], v90
	ds_load_b128 v[95:98], v90 offset:16
	v_lshlrev_b32_e32 v87, 2, v83
	s_delay_alu instid0(VALU_DEP_1)
	v_or_b32_e32 v88, 1, v87
	v_cmp_eq_u32_e32 vcc_lo, 1, v87
	v_cmp_eq_u32_e64 s4, 2, v87
	v_cmp_eq_u32_e64 s7, 3, v87
	;; [unrolled: 1-line block ×6, first 2 shown]
	v_or_b32_e32 v86, 2, v87
	v_cmp_eq_u32_e64 s10, 5, v87
	v_cmp_eq_u32_e64 s11, 4, v88
	;; [unrolled: 1-line block ×4, first 2 shown]
	s_waitcnt lgkmcnt(1)
	v_lshrrev_b32_e32 v74, 16, v91
	s_waitcnt lgkmcnt(0)
	v_lshrrev_b32_e32 v103, 16, v95
	v_lshrrev_b32_e32 v80, 16, v94
	;; [unrolled: 1-line block ×4, first 2 shown]
	v_cndmask_b32_e32 v89, v91, v74, vcc_lo
	v_cndmask_b32_e32 v99, v95, v103, vcc_lo
	v_cndmask_b32_e64 v100, v91, v74, s3
	v_lshrrev_b32_e32 v79, 16, v93
	v_lshrrev_b32_e32 v108, 16, v97
	v_cndmask_b32_e64 v89, v89, v92, s4
	v_cndmask_b32_e64 v99, v99, v96, s4
	v_cndmask_b32_e64 v100, v100, v92, s6
	v_cndmask_b32_e64 v101, v95, v103, s3
	v_cmp_eq_u32_e64 s5, 1, v86
	v_cndmask_b32_e64 v89, v89, v78, s7
	v_cndmask_b32_e64 v99, v99, v107, s7
	;; [unrolled: 1-line block ×4, first 2 shown]
	v_lshrrev_b32_e32 v109, 16, v98
	v_cndmask_b32_e64 v89, v89, v93, s9
	v_cndmask_b32_e64 v99, v99, v97, s9
	;; [unrolled: 1-line block ×8, first 2 shown]
	v_cmp_eq_u32_e64 s15, 7, v87
	v_cmp_eq_u32_e64 s16, 6, v88
	v_cndmask_b32_e64 v89, v89, v94, s12
	v_cndmask_b32_e64 v99, v99, v98, s12
	v_cmp_eq_u32_e64 s17, 2, v86
	v_cndmask_b32_e64 v101, v101, v97, s11
	v_cndmask_b32_e64 v100, v100, v94, s16
	;; [unrolled: 1-line block ×6, first 2 shown]
	v_cmp_eq_u32_e64 s18, 7, v88
	v_cmp_eq_u32_e64 s19, 3, v86
	;; [unrolled: 1-line block ×4, first 2 shown]
	v_cndmask_b32_e64 v99, v99, v96, s17
	v_cndmask_b32_e64 v112, v100, v80, s18
	;; [unrolled: 1-line block ×4, first 2 shown]
	v_or_b32_e32 v89, 3, v87
	v_cndmask_b32_e64 v105, v99, v107, s19
	v_cmp_eq_u32_e64 s24, 6, v86
	v_cndmask_b32_e64 v113, v100, v98, s16
	v_cndmask_b32_e64 v104, v101, v93, s20
	ds_load_b128 v[99:102], v90 offset:1024
	v_cmp_eq_u32_e64 s21, 1, v89
	v_cmp_eq_u32_e64 s23, 2, v89
	;; [unrolled: 1-line block ×3, first 2 shown]
	v_cndmask_b32_e64 v114, v104, v79, s22
	v_cmp_eq_u32_e64 s26, 4, v89
	v_cndmask_b32_e64 v74, v91, v74, s21
	v_cndmask_b32_e64 v91, v105, v97, s20
	;; [unrolled: 1-line block ×3, first 2 shown]
	ds_load_b128 v[103:106], v90 offset:1040
	v_cmp_eq_u32_e64 s28, 5, v89
	v_cndmask_b32_e64 v74, v74, v92, s23
	v_cndmask_b32_e64 v91, v91, v108, s22
	;; [unrolled: 1-line block ×3, first 2 shown]
	v_cmp_eq_u32_e64 s29, 6, v89
	v_cndmask_b32_e64 v95, v113, v109, s18
	v_cndmask_b32_e64 v74, v74, v78, s25
	;; [unrolled: 1-line block ×5, first 2 shown]
	s_waitcnt lgkmcnt(1)
	v_lshrrev_b32_e32 v96, 16, v99
	v_cndmask_b32_e64 v74, v74, v93, s26
	v_lshrrev_b32_e32 v107, 16, v100
	v_cndmask_b32_e64 v92, v92, v97, s26
	v_cmp_eq_u32_e64 s27, 7, v86
	v_cndmask_b32_e32 v93, v99, v96, vcc_lo
	v_cndmask_b32_e64 v74, v74, v79, s28
	s_delay_alu instid0(VALU_DEP_4)
	v_cndmask_b32_e64 v79, v92, v108, s28
	s_waitcnt lgkmcnt(0)
	v_lshrrev_b32_e32 v97, 16, v103
	v_cndmask_b32_e64 v92, v93, v100, s4
	v_cndmask_b32_e64 v93, v99, v96, s3
	v_cndmask_b32_e64 v74, v74, v94, s29
	v_cndmask_b32_e64 v79, v79, v98, s29
	v_cndmask_b32_e32 v108, v103, v97, vcc_lo
	v_cndmask_b32_e64 v92, v92, v107, s7
	v_cndmask_b32_e64 v93, v93, v100, s6
	v_lshrrev_b32_e32 v98, 16, v104
	v_cmp_eq_u32_e32 vcc_lo, 7, v89
	v_cndmask_b32_e64 v94, v108, v104, s4
	v_cndmask_b32_e64 v92, v92, v101, s9
	v_lshrrev_b32_e32 v108, 16, v101
	v_cndmask_b32_e64 v93, v93, v107, s8
	v_cndmask_b32_e32 v74, v74, v80, vcc_lo
	v_cndmask_b32_e64 v94, v94, v98, s7
	v_cndmask_b32_e32 v79, v79, v109, vcc_lo
	v_cndmask_b32_e64 v92, v92, v108, s10
	v_cndmask_b32_e64 v78, v78, v80, s27
	;; [unrolled: 1-line block ×4, first 2 shown]
	v_perm_b32 v94, v79, v74, 0x5040100
	v_cndmask_b32_e64 v79, v92, v102, s12
	v_perm_b32 v92, v95, v112, 0x5040100
	v_cndmask_b32_e64 v95, v99, v96, s5
	v_cndmask_b32_e64 v96, v99, v96, s21
	v_cndmask_b32_e64 v99, v103, v97, s21
	v_cndmask_b32_e64 v112, v103, v97, s5
	v_cndmask_b32_e64 v97, v103, v97, s3
	v_cndmask_b32_e64 v95, v95, v100, s17
	v_cndmask_b32_e64 v96, v96, v100, s23
	v_cndmask_b32_e64 v99, v99, v104, s23
	v_cndmask_b32_e64 v100, v112, v104, s17
	v_cndmask_b32_e64 v97, v97, v104, s6
	v_cndmask_b32_e64 v95, v95, v107, s19
	v_cndmask_b32_e64 v96, v96, v107, s25
	v_cndmask_b32_e64 v99, v99, v98, s25
	v_cndmask_b32_e64 v100, v100, v98, s19
	v_cndmask_b32_e64 v97, v97, v98, s8
	v_cndmask_b32_e64 v91, v91, v109, s27
	v_lshrrev_b32_e32 v109, 16, v105
	v_cndmask_b32_e64 v95, v95, v101, s20
	v_cndmask_b32_e64 v96, v96, v101, s26
	;; [unrolled: 1-line block ×6, first 2 shown]
	v_lshrrev_b32_e32 v80, 16, v102
	v_cndmask_b32_e64 v113, v93, v109, s10
	v_cndmask_b32_e64 v95, v95, v108, s22
	;; [unrolled: 1-line block ×6, first 2 shown]
	v_perm_b32 v93, v91, v78, 0x5040100
	v_cndmask_b32_e64 v74, v74, v102, s16
	v_cndmask_b32_e64 v78, v79, v80, s15
	;; [unrolled: 1-line block ×3, first 2 shown]
	v_lshrrev_b32_e32 v91, 16, v106
	v_cndmask_b32_e64 v95, v95, v102, s24
	v_cndmask_b32_e64 v96, v96, v102, s29
	;; [unrolled: 1-line block ×7, first 2 shown]
	v_cndmask_b32_e32 v80, v96, v80, vcc_lo
	v_cndmask_b32_e32 v96, v98, v91, vcc_lo
	v_cndmask_b32_e64 v99, v99, v91, s27
	v_cndmask_b32_e64 v100, v97, v91, s18
	;; [unrolled: 1-line block ×3, first 2 shown]
	v_perm_b32 v91, v111, v110, 0x5040100
	v_perm_b32 v98, v96, v80, 0x5040100
	;; [unrolled: 1-line block ×5, first 2 shown]
	s_mul_i32 s8, s35, 13
	s_mov_b32 s3, exec_lo
	ds_store_b128 v77, v[91:94]
	ds_store_b128 v77, v[95:98] offset:1024
	v_cmpx_gt_u32_e32 13, v0
	s_cbranch_execz .LBB762_80
; %bb.79:
	s_mul_i32 s4, s8, s30
	s_delay_alu instid0(SALU_CYCLE_1) | instskip(SKIP_1) | instid1(VALU_DEP_1)
	v_add3_u32 v77, s4, s31, v73
	s_load_b128 s[4:7], s[0:1], 0x58
	v_mad_u64_u32 v[73:74], null, v77, s34, s[14:15]
	s_delay_alu instid0(VALU_DEP_1) | instskip(NEXT) | instid1(VALU_DEP_1)
	v_ashrrev_i32_e32 v74, 31, v73
	v_lshlrev_b64 v[73:74], 2, v[73:74]
	s_waitcnt lgkmcnt(0)
	s_delay_alu instid0(VALU_DEP_1) | instskip(NEXT) | instid1(VALU_DEP_2)
	v_add_co_u32 v77, vcc_lo, s6, v73
	v_add_co_ci_u32_e32 v78, vcc_lo, s7, v74, vcc_lo
	v_add_co_u32 v73, vcc_lo, s4, v73
	v_add_co_ci_u32_e32 v74, vcc_lo, s5, v74, vcc_lo
	global_store_b32 v[77:78], v75, off
	global_store_b32 v[73:74], v76, off
.LBB762_80:
	s_or_b32 exec_lo, exec_lo, s3
	s_waitcnt lgkmcnt(0)
	s_waitcnt_vscnt null, 0x0
	s_barrier
	buffer_gl0_inv
	ds_load_b128 v[91:94], v85
	ds_load_b128 v[95:98], v85 offset:16
	ds_load_b128 v[103:106], v85 offset:1040
	;; [unrolled: 1-line block ×3, first 2 shown]
	v_mov_b32_e32 v73, 0
	ds_load_b128 v[111:114], v85 offset:2064
	ds_load_b128 v[107:110], v85 offset:2048
	;; [unrolled: 1-line block ×6, first 2 shown]
	v_mov_b32_e32 v74, v73
	v_mov_b32_e32 v75, v73
	;; [unrolled: 1-line block ×7, first 2 shown]
	s_waitcnt lgkmcnt(8)
	s_delay_alu instid0(VALU_DEP_1)
	v_wmma_f32_16x16x16_bf16 v[73:80], v[65:72], v[91:98], v[73:80]
	ds_load_b128 v[69:72], v85 offset:5136
	ds_load_b128 v[65:68], v85 offset:5120
	ds_load_b128 v[95:98], v85 offset:6160
	ds_load_b128 v[91:94], v85 offset:6144
	s_waitcnt lgkmcnt(10)
	v_wmma_f32_16x16x16_bf16 v[73:80], v[57:64], v[99:106], v[73:80]
	s_waitcnt lgkmcnt(8)
	s_delay_alu instid0(VALU_DEP_1)
	v_wmma_f32_16x16x16_bf16 v[73:80], v[57:64], v[107:114], v[73:80]
	ds_load_b128 v[61:64], v85 offset:7184
	ds_load_b128 v[57:60], v85 offset:7168
	ds_load_b128 v[103:106], v85 offset:8208
	ds_load_b128 v[99:102], v85 offset:8192
	s_waitcnt lgkmcnt(10)
	v_wmma_f32_16x16x16_bf16 v[73:80], v[49:56], v[115:122], v[73:80]
	s_waitcnt lgkmcnt(8)
	s_delay_alu instid0(VALU_DEP_1)
	v_wmma_f32_16x16x16_bf16 v[73:80], v[49:56], v[123:130], v[73:80]
	ds_load_b128 v[53:56], v85 offset:9232
	ds_load_b128 v[49:52], v85 offset:9216
	s_waitcnt lgkmcnt(8)
	v_wmma_f32_16x16x16_bf16 v[73:80], v[41:48], v[65:72], v[73:80]
	ds_load_b128 v[69:72], v85 offset:10256
	ds_load_b128 v[65:68], v85 offset:10240
	s_waitcnt lgkmcnt(8)
	;; [unrolled: 4-line block ×3, first 2 shown]
	v_wmma_f32_16x16x16_bf16 v[73:80], v[9:16], v[57:64], v[73:80]
	s_waitcnt lgkmcnt(6)
	s_delay_alu instid0(VALU_DEP_1)
	v_wmma_f32_16x16x16_bf16 v[73:80], v[9:16], v[99:106], v[73:80]
	ds_load_b128 v[13:16], v85 offset:12304
	ds_load_b128 v[9:12], v85 offset:12288
	s_waitcnt lgkmcnt(6)
	v_wmma_f32_16x16x16_bf16 v[73:80], v[1:8], v[49:56], v[73:80]
	ds_load_b128 v[53:56], v85 offset:13328
	ds_load_b128 v[49:52], v85 offset:13312
	s_waitcnt lgkmcnt(6)
	;; [unrolled: 4-line block ×4, first 2 shown]
	v_wmma_f32_16x16x16_bf16 v[73:80], v[33:40], v[9:16], v[73:80]
	s_waitcnt lgkmcnt(4)
	s_delay_alu instid0(VALU_DEP_1) | instskip(SKIP_1) | instid1(VALU_DEP_1)
	v_wmma_f32_16x16x16_bf16 v[73:80], v[25:32], v[49:56], v[73:80]
	s_waitcnt lgkmcnt(2)
	v_wmma_f32_16x16x16_bf16 v[73:80], v[25:32], v[1:8], v[73:80]
	s_waitcnt lgkmcnt(0)
	s_delay_alu instid0(VALU_DEP_1) | instskip(NEXT) | instid1(VALU_DEP_1)
	v_wmma_f32_16x16x16_bf16 v[73:80], v[17:24], v[41:48], v[73:80]
	v_and_b32_e32 v1, 0x7f800000, v73
	s_delay_alu instid0(VALU_DEP_1) | instskip(SKIP_1) | instid1(SALU_CYCLE_1)
	v_cmp_ne_u32_e32 vcc_lo, 0x7f800000, v1
                                        ; implicit-def: $vgpr1
	s_and_saveexec_b32 s3, vcc_lo
	s_xor_b32 s3, exec_lo, s3
; %bb.81:
	v_bfe_u32 v1, v73, 16, 1
	s_delay_alu instid0(VALU_DEP_1)
	v_add3_u32 v1, v73, v1, 0x7fff
; %bb.82:
	s_and_not1_saveexec_b32 s3, s3
; %bb.83:
	v_and_b32_e32 v1, 0xffff, v73
	v_or_b32_e32 v2, 0x10000, v73
	s_delay_alu instid0(VALU_DEP_2) | instskip(NEXT) | instid1(VALU_DEP_2)
	v_cmp_eq_u32_e32 vcc_lo, 0, v1
	v_cndmask_b32_e32 v1, v2, v73, vcc_lo
; %bb.84:
	s_or_b32 exec_lo, exec_lo, s3
	v_and_b32_e32 v2, 0x7f800000, v74
	s_delay_alu instid0(VALU_DEP_1) | instskip(SKIP_1) | instid1(SALU_CYCLE_1)
	v_cmp_ne_u32_e32 vcc_lo, 0x7f800000, v2
                                        ; implicit-def: $vgpr2
	s_and_saveexec_b32 s3, vcc_lo
	s_xor_b32 s3, exec_lo, s3
; %bb.85:
	v_bfe_u32 v2, v74, 16, 1
	s_delay_alu instid0(VALU_DEP_1)
	v_add3_u32 v2, v74, v2, 0x7fff
; %bb.86:
	s_and_not1_saveexec_b32 s3, s3
; %bb.87:
	v_and_b32_e32 v2, 0xffff, v74
	v_or_b32_e32 v3, 0x10000, v74
	s_delay_alu instid0(VALU_DEP_2) | instskip(NEXT) | instid1(VALU_DEP_2)
	v_cmp_eq_u32_e32 vcc_lo, 0, v2
	v_cndmask_b32_e32 v2, v3, v74, vcc_lo
; %bb.88:
	s_or_b32 exec_lo, exec_lo, s3
	v_and_b32_e32 v3, 0x7f800000, v75
	s_delay_alu instid0(VALU_DEP_1) | instskip(SKIP_1) | instid1(SALU_CYCLE_1)
	v_cmp_ne_u32_e32 vcc_lo, 0x7f800000, v3
                                        ; implicit-def: $vgpr3
	s_and_saveexec_b32 s3, vcc_lo
	s_xor_b32 s3, exec_lo, s3
; %bb.89:
	v_bfe_u32 v3, v75, 16, 1
	s_delay_alu instid0(VALU_DEP_1)
	v_add3_u32 v3, v75, v3, 0x7fff
; %bb.90:
	s_and_not1_saveexec_b32 s3, s3
; %bb.91:
	v_and_b32_e32 v3, 0xffff, v75
	v_or_b32_e32 v4, 0x10000, v75
	s_delay_alu instid0(VALU_DEP_2) | instskip(NEXT) | instid1(VALU_DEP_2)
	v_cmp_eq_u32_e32 vcc_lo, 0, v3
	v_cndmask_b32_e32 v3, v4, v75, vcc_lo
; %bb.92:
	s_or_b32 exec_lo, exec_lo, s3
	v_and_b32_e32 v4, 0x7f800000, v76
	s_delay_alu instid0(VALU_DEP_1) | instskip(SKIP_1) | instid1(SALU_CYCLE_1)
	v_cmp_ne_u32_e32 vcc_lo, 0x7f800000, v4
                                        ; implicit-def: $vgpr4
	s_and_saveexec_b32 s3, vcc_lo
	s_xor_b32 s3, exec_lo, s3
; %bb.93:
	v_bfe_u32 v4, v76, 16, 1
	s_delay_alu instid0(VALU_DEP_1)
	v_add3_u32 v4, v76, v4, 0x7fff
; %bb.94:
	s_and_not1_saveexec_b32 s3, s3
; %bb.95:
	v_and_b32_e32 v4, 0xffff, v76
	v_or_b32_e32 v5, 0x10000, v76
	s_delay_alu instid0(VALU_DEP_2) | instskip(NEXT) | instid1(VALU_DEP_2)
	v_cmp_eq_u32_e32 vcc_lo, 0, v4
	v_cndmask_b32_e32 v4, v5, v76, vcc_lo
; %bb.96:
	s_or_b32 exec_lo, exec_lo, s3
	v_and_b32_e32 v5, 0x7f800000, v77
	s_delay_alu instid0(VALU_DEP_1) | instskip(SKIP_1) | instid1(SALU_CYCLE_1)
	v_cmp_ne_u32_e32 vcc_lo, 0x7f800000, v5
                                        ; implicit-def: $vgpr5
	s_and_saveexec_b32 s3, vcc_lo
	s_xor_b32 s3, exec_lo, s3
; %bb.97:
	v_bfe_u32 v5, v77, 16, 1
	s_delay_alu instid0(VALU_DEP_1)
	v_add3_u32 v5, v77, v5, 0x7fff
; %bb.98:
	s_and_not1_saveexec_b32 s3, s3
; %bb.99:
	v_and_b32_e32 v5, 0xffff, v77
	v_or_b32_e32 v6, 0x10000, v77
	s_delay_alu instid0(VALU_DEP_2) | instskip(NEXT) | instid1(VALU_DEP_2)
	v_cmp_eq_u32_e32 vcc_lo, 0, v5
	v_cndmask_b32_e32 v5, v6, v77, vcc_lo
; %bb.100:
	s_or_b32 exec_lo, exec_lo, s3
	v_and_b32_e32 v6, 0x7f800000, v78
	s_delay_alu instid0(VALU_DEP_1) | instskip(SKIP_1) | instid1(SALU_CYCLE_1)
	v_cmp_ne_u32_e32 vcc_lo, 0x7f800000, v6
                                        ; implicit-def: $vgpr6
	s_and_saveexec_b32 s3, vcc_lo
	s_xor_b32 s3, exec_lo, s3
; %bb.101:
	v_bfe_u32 v6, v78, 16, 1
	s_delay_alu instid0(VALU_DEP_1)
	v_add3_u32 v6, v78, v6, 0x7fff
; %bb.102:
	s_and_not1_saveexec_b32 s3, s3
; %bb.103:
	v_and_b32_e32 v6, 0xffff, v78
	v_or_b32_e32 v7, 0x10000, v78
	s_delay_alu instid0(VALU_DEP_2) | instskip(NEXT) | instid1(VALU_DEP_2)
	v_cmp_eq_u32_e32 vcc_lo, 0, v6
	v_cndmask_b32_e32 v6, v7, v78, vcc_lo
; %bb.104:
	s_or_b32 exec_lo, exec_lo, s3
	v_and_b32_e32 v7, 0x7f800000, v79
	s_delay_alu instid0(VALU_DEP_1) | instskip(SKIP_1) | instid1(SALU_CYCLE_1)
	v_cmp_ne_u32_e32 vcc_lo, 0x7f800000, v7
                                        ; implicit-def: $vgpr7
	s_and_saveexec_b32 s3, vcc_lo
	s_xor_b32 s3, exec_lo, s3
; %bb.105:
	v_bfe_u32 v7, v79, 16, 1
	s_delay_alu instid0(VALU_DEP_1)
	v_add3_u32 v7, v79, v7, 0x7fff
; %bb.106:
	s_and_not1_saveexec_b32 s3, s3
; %bb.107:
	v_and_b32_e32 v7, 0xffff, v79
	v_or_b32_e32 v8, 0x10000, v79
	s_delay_alu instid0(VALU_DEP_2) | instskip(NEXT) | instid1(VALU_DEP_2)
	v_cmp_eq_u32_e32 vcc_lo, 0, v7
	v_cndmask_b32_e32 v7, v8, v79, vcc_lo
; %bb.108:
	s_or_b32 exec_lo, exec_lo, s3
	v_and_b32_e32 v8, 0x7f800000, v80
	s_delay_alu instid0(VALU_DEP_1) | instskip(SKIP_1) | instid1(SALU_CYCLE_1)
	v_cmp_ne_u32_e32 vcc_lo, 0x7f800000, v8
                                        ; implicit-def: $vgpr8
	s_and_saveexec_b32 s3, vcc_lo
	s_xor_b32 s3, exec_lo, s3
; %bb.109:
	v_bfe_u32 v8, v80, 16, 1
	s_delay_alu instid0(VALU_DEP_1)
	v_add3_u32 v8, v80, v8, 0x7fff
                                        ; implicit-def: $vgpr73_vgpr74_vgpr75_vgpr76_vgpr77_vgpr78_vgpr79_vgpr80
; %bb.110:
	s_and_not1_saveexec_b32 s3, s3
; %bb.111:
	v_and_b32_e32 v8, 0xffff, v80
	v_or_b32_e32 v9, 0x10000, v80
	s_delay_alu instid0(VALU_DEP_2) | instskip(NEXT) | instid1(VALU_DEP_2)
	v_cmp_eq_u32_e32 vcc_lo, 0, v8
	v_cndmask_b32_e32 v8, v9, v80, vcc_lo
; %bb.112:
	s_or_b32 exec_lo, exec_lo, s3
	s_delay_alu instid0(VALU_DEP_1)
	v_perm_b32 v7, v8, v7, 0x7060302
	v_perm_b32 v6, v6, v5, 0x7060302
	;; [unrolled: 1-line block ×4, first 2 shown]
	v_lshl_or_b32 v9, v83, 4, v90
	s_barrier
	buffer_gl0_inv
	v_cmp_eq_u32_e32 vcc_lo, 1, v87
	ds_store_b128 v9, v[4:7]
	s_waitcnt lgkmcnt(0)
	s_barrier
	buffer_gl0_inv
	ds_load_b128 v[1:4], v90
	ds_load_b128 v[5:8], v90 offset:16
	v_cmp_eq_u32_e64 s4, 2, v87
	v_cmp_eq_u32_e64 s3, 1, v88
	v_cmp_eq_u32_e64 s5, 3, v87
	v_cmp_eq_u32_e64 s7, 2, v86
	v_cmp_eq_u32_e64 s6, 7, v88
	s_waitcnt lgkmcnt(1)
	v_lshrrev_b32_e32 v10, 16, v1
	s_waitcnt lgkmcnt(0)
	v_lshrrev_b32_e32 v14, 16, v5
	v_lshrrev_b32_e32 v15, 16, v6
	;; [unrolled: 1-line block ×4, first 2 shown]
	v_cndmask_b32_e64 v20, v1, v10, s3
	v_cndmask_b32_e32 v19, v5, v14, vcc_lo
	v_cndmask_b32_e64 v21, v5, v14, s3
	v_lshrrev_b32_e32 v16, 16, v7
	v_cmp_eq_u32_e64 s3, 1, v86
	v_lshrrev_b32_e32 v13, 16, v4
	v_cndmask_b32_e64 v19, v19, v6, s4
	v_lshrrev_b32_e32 v17, 16, v8
	s_delay_alu instid0(VALU_DEP_4) | instskip(SKIP_1) | instid1(VALU_DEP_4)
	v_cndmask_b32_e64 v22, v1, v10, s3
	v_cndmask_b32_e64 v23, v5, v14, s3
	;; [unrolled: 1-line block ×3, first 2 shown]
	v_cndmask_b32_e32 v18, v1, v10, vcc_lo
	v_cmp_eq_u32_e32 vcc_lo, 2, v88
	v_cmp_eq_u32_e64 s3, 2, v89
	v_cndmask_b32_e64 v22, v22, v2, s7
	v_cndmask_b32_e32 v20, v20, v2, vcc_lo
	v_cndmask_b32_e32 v21, v21, v6, vcc_lo
	v_cmp_eq_u32_e32 vcc_lo, 4, v87
	v_cndmask_b32_e32 v19, v19, v7, vcc_lo
	v_cndmask_b32_e64 v18, v18, v2, s4
	v_cmp_eq_u32_e64 s4, 3, v88
	s_delay_alu instid0(VALU_DEP_2) | instskip(NEXT) | instid1(VALU_DEP_2)
	v_cndmask_b32_e64 v18, v18, v11, s5
	v_cndmask_b32_e64 v21, v21, v15, s4
	v_cmp_eq_u32_e64 s5, 5, v87
	s_delay_alu instid0(VALU_DEP_3) | instskip(SKIP_1) | instid1(VALU_DEP_3)
	v_cndmask_b32_e32 v18, v18, v3, vcc_lo
	v_cmp_eq_u32_e32 vcc_lo, 4, v88
	v_cndmask_b32_e64 v19, v19, v16, s5
	s_delay_alu instid0(VALU_DEP_3) | instskip(SKIP_4) | instid1(VALU_DEP_3)
	v_cndmask_b32_e64 v18, v18, v12, s5
	v_cndmask_b32_e32 v21, v21, v7, vcc_lo
	v_cndmask_b32_e64 v20, v20, v11, s4
	v_cmp_eq_u32_e64 s4, 5, v88
	v_cmp_eq_u32_e64 s5, 6, v87
	v_cndmask_b32_e32 v20, v20, v3, vcc_lo
	s_delay_alu instid0(VALU_DEP_3) | instskip(SKIP_1) | instid1(VALU_DEP_4)
	v_cndmask_b32_e64 v21, v21, v16, s4
	v_cmp_eq_u32_e32 vcc_lo, 6, v88
	v_cndmask_b32_e64 v18, v18, v4, s5
	v_cndmask_b32_e64 v19, v19, v8, s5
	;; [unrolled: 1-line block ×3, first 2 shown]
	v_cmp_eq_u32_e64 s4, 1, v89
	v_cmp_eq_u32_e64 s5, 7, v87
	s_delay_alu instid0(VALU_DEP_3) | instskip(NEXT) | instid1(VALU_DEP_3)
	v_cndmask_b32_e32 v20, v20, v4, vcc_lo
	v_cndmask_b32_e64 v1, v1, v10, s4
	v_cndmask_b32_e64 v5, v5, v14, s4
	v_cmp_eq_u32_e64 s4, 3, v86
	v_cndmask_b32_e64 v14, v23, v6, s7
	v_cmp_eq_u32_e64 s7, 3, v89
	v_cndmask_b32_e64 v1, v1, v2, s3
	v_cndmask_b32_e64 v2, v5, v6, s3
	;; [unrolled: 1-line block ×3, first 2 shown]
	v_cmp_eq_u32_e64 s3, 4, v86
	v_cndmask_b32_e64 v6, v14, v15, s4
	v_cndmask_b32_e64 v1, v1, v11, s7
	v_cmp_eq_u32_e64 s4, 4, v89
	v_cndmask_b32_e64 v2, v2, v15, s7
	v_cndmask_b32_e64 v5, v10, v3, s3
	;; [unrolled: 3-line block ×3, first 2 shown]
	v_cndmask_b32_e64 v2, v2, v7, s4
	v_cmp_eq_u32_e64 s3, 5, v89
	v_cndmask_b32_e64 v5, v5, v12, s7
	v_cmp_eq_u32_e64 s4, 6, v86
	;; [unrolled: 2-line block ×3, first 2 shown]
	v_cndmask_b32_e64 v1, v1, v12, s3
	v_cndmask_b32_e64 v2, v2, v16, s3
	;; [unrolled: 1-line block ×4, first 2 shown]
	v_cmp_eq_u32_e64 s3, 7, v89
	v_cndmask_b32_e64 v1, v1, v4, s7
	v_cndmask_b32_e64 v2, v2, v8, s7
	v_cmp_eq_u32_e64 s4, 7, v86
	v_cndmask_b32_e32 v4, v21, v8, vcc_lo
	v_cndmask_b32_e64 v18, v18, v13, s5
	v_cndmask_b32_e64 v20, v20, v13, s6
	v_cndmask_b32_e64 v1, v1, v13, s3
	v_cndmask_b32_e64 v5, v5, v13, s4
	v_cndmask_b32_e64 v2, v2, v17, s3
	v_cndmask_b32_e64 v3, v3, v17, s4
	v_cndmask_b32_e64 v6, v4, v17, s6
	v_cndmask_b32_e64 v7, v19, v17, s5
	s_mov_b32 s3, exec_lo
	v_perm_b32 v4, v2, v1, 0x5040100
	v_perm_b32 v3, v3, v5, 0x5040100
	;; [unrolled: 1-line block ×4, first 2 shown]
	ds_store_b128 v9, v[1:4]
	s_waitcnt lgkmcnt(0)
	s_barrier
	buffer_gl0_inv
	v_cmpx_gt_u32_e32 32, v0
	s_cbranch_execz .LBB762_2
; %bb.113:
	s_load_b64 s[4:5], s[0:1], 0x68
	v_lshlrev_b32_e32 v0, 10, v0
	v_lshlrev_b32_e32 v1, 4, v84
	s_lshl_b32 s0, s34, 7
	v_add_nc_u32_e32 v18, s31, v83
	s_mul_i32 s1, s0, s30
	s_delay_alu instid0(VALU_DEP_2) | instskip(SKIP_1) | instid1(VALU_DEP_2)
	v_and_or_b32 v0, 0x3800, v0, v1
	s_mul_i32 s6, s1, s8
	v_mul_lo_u32 v1, v18, s0
	s_ashr_i32 s7, s6, 31
	v_add_nc_u32_e32 v2, 2, v18
	v_lshl_or_b32 v19, v83, 6, v0
	s_lshl_b64 s[6:7], s[6:7], 1
	v_add_nc_u32_e32 v8, 4, v18
	v_add_nc_u32_e32 v15, 6, v18
	v_mul_lo_u32 v7, v2, s0
	ds_load_b128 v[3:6], v19
	v_ashrrev_i32_e32 v2, 31, v1
	v_mul_lo_u32 v11, v8, s0
	s_waitcnt lgkmcnt(0)
	s_add_u32 s1, s4, s6
	s_addc_u32 s3, s5, s7
	s_lshl_b32 s4, s14, 7
	v_lshlrev_b64 v[9:10], 1, v[1:2]
	s_ashr_i32 s5, s4, 31
	v_ashrrev_i32_e32 v8, 31, v7
	s_lshl_b64 s[4:5], s[4:5], 1
	v_ashrrev_i32_e32 v12, 31, v11
	s_add_u32 s1, s1, s4
	s_addc_u32 s3, s3, s5
	v_add_co_u32 v1, vcc_lo, s1, v81
	v_add_co_ci_u32_e32 v2, vcc_lo, s3, v82, vcc_lo
	v_mul_lo_u32 v15, v15, s0
	s_delay_alu instid0(VALU_DEP_3) | instskip(NEXT) | instid1(VALU_DEP_3)
	v_add_co_u32 v13, vcc_lo, v1, v9
	v_add_co_ci_u32_e32 v14, vcc_lo, v2, v10, vcc_lo
	v_lshlrev_b64 v[16:17], 1, v[7:8]
	ds_load_b128 v[7:10], v19 offset:128
	global_store_b128 v[13:14], v[3:6], off
	v_add_nc_u32_e32 v5, 8, v18
	v_lshlrev_b64 v[3:4], 1, v[11:12]
	v_add_co_u32 v23, vcc_lo, v1, v16
	v_ashrrev_i32_e32 v16, 31, v15
	s_delay_alu instid0(VALU_DEP_4) | instskip(SKIP_3) | instid1(VALU_DEP_3)
	v_mul_lo_u32 v25, v5, s0
	v_add_nc_u32_e32 v5, 10, v18
	v_add_co_ci_u32_e32 v24, vcc_lo, v2, v17, vcc_lo
	v_add_co_u32 v27, vcc_lo, v1, v3
	v_mul_lo_u32 v29, v5, s0
	v_add_co_ci_u32_e32 v28, vcc_lo, v2, v4, vcc_lo
	v_lshlrev_b64 v[31:32], 1, v[15:16]
	ds_load_b128 v[3:6], v19 offset:256
	ds_load_b128 v[11:14], v19 offset:384
	;; [unrolled: 1-line block ×4, first 2 shown]
	v_ashrrev_i32_e32 v26, 31, v25
	v_ashrrev_i32_e32 v30, 31, v29
	v_add_co_u32 v31, vcc_lo, v1, v31
	s_delay_alu instid0(VALU_DEP_3) | instskip(SKIP_1) | instid1(VALU_DEP_4)
	v_lshlrev_b64 v[25:26], 1, v[25:26]
	v_add_co_ci_u32_e32 v32, vcc_lo, v2, v32, vcc_lo
	v_lshlrev_b64 v[29:30], 1, v[29:30]
	s_delay_alu instid0(VALU_DEP_3) | instskip(NEXT) | instid1(VALU_DEP_4)
	v_add_co_u32 v25, vcc_lo, v1, v25
	v_add_co_ci_u32_e32 v26, vcc_lo, v2, v26, vcc_lo
	s_delay_alu instid0(VALU_DEP_3) | instskip(NEXT) | instid1(VALU_DEP_4)
	v_add_co_u32 v29, vcc_lo, v1, v29
	v_add_co_ci_u32_e32 v30, vcc_lo, v2, v30, vcc_lo
	s_waitcnt lgkmcnt(4)
	global_store_b128 v[23:24], v[7:10], off
	s_waitcnt lgkmcnt(3)
	global_store_b128 v[27:28], v[3:6], off
	;; [unrolled: 2-line block ×5, first 2 shown]
	s_and_b32 exec_lo, exec_lo, s2
	s_cbranch_execz .LBB762_2
; %bb.114:
	ds_load_b128 v[3:6], v0 offset:768
	s_add_i32 s1, s31, 12
	s_delay_alu instid0(SALU_CYCLE_1) | instskip(NEXT) | instid1(SALU_CYCLE_1)
	s_mul_i32 s0, s1, s0
	s_ashr_i32 s1, s0, 31
	s_delay_alu instid0(SALU_CYCLE_1) | instskip(NEXT) | instid1(SALU_CYCLE_1)
	s_lshl_b64 s[0:1], s[0:1], 1
	v_add_co_u32 v0, vcc_lo, v1, s0
	v_add_co_ci_u32_e32 v1, vcc_lo, s1, v2, vcc_lo
	s_waitcnt lgkmcnt(0)
	global_store_b128 v[0:1], v[3:6], off
	s_nop 0
	s_sendmsg sendmsg(MSG_DEALLOC_VGPRS)
	s_endpgm
	.section	.rodata,"a",@progbits
	.p2align	6, 0x0
	.amdhsa_kernel _Z39paged_attention_ll4mi_QKV_mfma16_kernelI14__hip_bfloat16S0_LN4vllm18Fp8KVCacheDataTypeE0ES0_Li32ELi128ELi256ELb0ELi13EL8MFMAType0EEvPKT_PKT0_S9_ifPKiSB_SB_iPKfiiiPfSE_PS4_PT2_iSD_SD_
		.amdhsa_group_segment_fixed_size 17472
		.amdhsa_private_segment_fixed_size 0
		.amdhsa_kernarg_size 400
		.amdhsa_user_sgpr_count 13
		.amdhsa_user_sgpr_dispatch_ptr 0
		.amdhsa_user_sgpr_queue_ptr 0
		.amdhsa_user_sgpr_kernarg_segment_ptr 1
		.amdhsa_user_sgpr_dispatch_id 0
		.amdhsa_user_sgpr_private_segment_size 0
		.amdhsa_wavefront_size32 1
		.amdhsa_uses_dynamic_stack 0
		.amdhsa_enable_private_segment 0
		.amdhsa_system_sgpr_workgroup_id_x 1
		.amdhsa_system_sgpr_workgroup_id_y 1
		.amdhsa_system_sgpr_workgroup_id_z 1
		.amdhsa_system_sgpr_workgroup_info 0
		.amdhsa_system_vgpr_workitem_id 0
		.amdhsa_next_free_vgpr 157
		.amdhsa_next_free_sgpr 38
		.amdhsa_reserve_vcc 1
		.amdhsa_float_round_mode_32 0
		.amdhsa_float_round_mode_16_64 0
		.amdhsa_float_denorm_mode_32 3
		.amdhsa_float_denorm_mode_16_64 3
		.amdhsa_dx10_clamp 1
		.amdhsa_ieee_mode 1
		.amdhsa_fp16_overflow 0
		.amdhsa_workgroup_processor_mode 1
		.amdhsa_memory_ordered 1
		.amdhsa_forward_progress 0
		.amdhsa_shared_vgpr_count 0
		.amdhsa_exception_fp_ieee_invalid_op 0
		.amdhsa_exception_fp_denorm_src 0
		.amdhsa_exception_fp_ieee_div_zero 0
		.amdhsa_exception_fp_ieee_overflow 0
		.amdhsa_exception_fp_ieee_underflow 0
		.amdhsa_exception_fp_ieee_inexact 0
		.amdhsa_exception_int_div_zero 0
	.end_amdhsa_kernel
	.section	.text._Z39paged_attention_ll4mi_QKV_mfma16_kernelI14__hip_bfloat16S0_LN4vllm18Fp8KVCacheDataTypeE0ES0_Li32ELi128ELi256ELb0ELi13EL8MFMAType0EEvPKT_PKT0_S9_ifPKiSB_SB_iPKfiiiPfSE_PS4_PT2_iSD_SD_,"axG",@progbits,_Z39paged_attention_ll4mi_QKV_mfma16_kernelI14__hip_bfloat16S0_LN4vllm18Fp8KVCacheDataTypeE0ES0_Li32ELi128ELi256ELb0ELi13EL8MFMAType0EEvPKT_PKT0_S9_ifPKiSB_SB_iPKfiiiPfSE_PS4_PT2_iSD_SD_,comdat
.Lfunc_end762:
	.size	_Z39paged_attention_ll4mi_QKV_mfma16_kernelI14__hip_bfloat16S0_LN4vllm18Fp8KVCacheDataTypeE0ES0_Li32ELi128ELi256ELb0ELi13EL8MFMAType0EEvPKT_PKT0_S9_ifPKiSB_SB_iPKfiiiPfSE_PS4_PT2_iSD_SD_, .Lfunc_end762-_Z39paged_attention_ll4mi_QKV_mfma16_kernelI14__hip_bfloat16S0_LN4vllm18Fp8KVCacheDataTypeE0ES0_Li32ELi128ELi256ELb0ELi13EL8MFMAType0EEvPKT_PKT0_S9_ifPKiSB_SB_iPKfiiiPfSE_PS4_PT2_iSD_SD_
                                        ; -- End function
	.section	.AMDGPU.csdata,"",@progbits
; Kernel info:
; codeLenInByte = 9960
; NumSgprs: 40
; NumVgprs: 157
; ScratchSize: 0
; MemoryBound: 0
; FloatMode: 240
; IeeeMode: 1
; LDSByteSize: 17472 bytes/workgroup (compile time only)
; SGPRBlocks: 4
; VGPRBlocks: 19
; NumSGPRsForWavesPerEU: 40
; NumVGPRsForWavesPerEU: 157
; Occupancy: 9
; WaveLimiterHint : 1
; COMPUTE_PGM_RSRC2:SCRATCH_EN: 0
; COMPUTE_PGM_RSRC2:USER_SGPR: 13
; COMPUTE_PGM_RSRC2:TRAP_HANDLER: 0
; COMPUTE_PGM_RSRC2:TGID_X_EN: 1
; COMPUTE_PGM_RSRC2:TGID_Y_EN: 1
; COMPUTE_PGM_RSRC2:TGID_Z_EN: 1
; COMPUTE_PGM_RSRC2:TIDIG_COMP_CNT: 0
	.section	.text._Z39paged_attention_ll4mi_QKV_mfma16_kernelI14__hip_bfloat16S0_LN4vllm18Fp8KVCacheDataTypeE0ES0_Li32ELi128ELi256ELb0ELi14EL8MFMAType0EEvPKT_PKT0_S9_ifPKiSB_SB_iPKfiiiPfSE_PS4_PT2_iSD_SD_,"axG",@progbits,_Z39paged_attention_ll4mi_QKV_mfma16_kernelI14__hip_bfloat16S0_LN4vllm18Fp8KVCacheDataTypeE0ES0_Li32ELi128ELi256ELb0ELi14EL8MFMAType0EEvPKT_PKT0_S9_ifPKiSB_SB_iPKfiiiPfSE_PS4_PT2_iSD_SD_,comdat
	.protected	_Z39paged_attention_ll4mi_QKV_mfma16_kernelI14__hip_bfloat16S0_LN4vllm18Fp8KVCacheDataTypeE0ES0_Li32ELi128ELi256ELb0ELi14EL8MFMAType0EEvPKT_PKT0_S9_ifPKiSB_SB_iPKfiiiPfSE_PS4_PT2_iSD_SD_ ; -- Begin function _Z39paged_attention_ll4mi_QKV_mfma16_kernelI14__hip_bfloat16S0_LN4vllm18Fp8KVCacheDataTypeE0ES0_Li32ELi128ELi256ELb0ELi14EL8MFMAType0EEvPKT_PKT0_S9_ifPKiSB_SB_iPKfiiiPfSE_PS4_PT2_iSD_SD_
	.globl	_Z39paged_attention_ll4mi_QKV_mfma16_kernelI14__hip_bfloat16S0_LN4vllm18Fp8KVCacheDataTypeE0ES0_Li32ELi128ELi256ELb0ELi14EL8MFMAType0EEvPKT_PKT0_S9_ifPKiSB_SB_iPKfiiiPfSE_PS4_PT2_iSD_SD_
	.p2align	8
	.type	_Z39paged_attention_ll4mi_QKV_mfma16_kernelI14__hip_bfloat16S0_LN4vllm18Fp8KVCacheDataTypeE0ES0_Li32ELi128ELi256ELb0ELi14EL8MFMAType0EEvPKT_PKT0_S9_ifPKiSB_SB_iPKfiiiPfSE_PS4_PT2_iSD_SD_,@function
_Z39paged_attention_ll4mi_QKV_mfma16_kernelI14__hip_bfloat16S0_LN4vllm18Fp8KVCacheDataTypeE0ES0_Li32ELi128ELi256ELb0ELi14EL8MFMAType0EEvPKT_PKT0_S9_ifPKiSB_SB_iPKfiiiPfSE_PS4_PT2_iSD_SD_: ; @_Z39paged_attention_ll4mi_QKV_mfma16_kernelI14__hip_bfloat16S0_LN4vllm18Fp8KVCacheDataTypeE0ES0_Li32ELi128ELi256ELb0ELi14EL8MFMAType0EEvPKT_PKT0_S9_ifPKiSB_SB_iPKfiiiPfSE_PS4_PT2_iSD_SD_
; %bb.0:
	s_load_b64 s[2:3], s[0:1], 0x30
	s_mov_b32 s30, s13
	s_waitcnt lgkmcnt(0)
	s_cmp_lg_u64 s[2:3], 0
	s_cselect_b32 s6, -1, 0
	s_ashr_i32 s31, s13, 31
	s_cmp_eq_u64 s[2:3], 0
	s_cbranch_scc1 .LBB763_3
; %bb.1:
	s_lshl_b64 s[4:5], s[30:31], 2
	s_delay_alu instid0(SALU_CYCLE_1) | instskip(SKIP_4) | instid1(SALU_CYCLE_1)
	s_add_u32 s4, s2, s4
	s_addc_u32 s5, s3, s5
	s_load_b64 s[4:5], s[4:5], 0x0
	s_waitcnt lgkmcnt(0)
	s_sub_i32 s4, s5, s4
	s_cmp_eq_u32 s4, 1
	s_cselect_b32 s4, -1, 0
	s_delay_alu instid0(SALU_CYCLE_1)
	s_and_not1_b32 vcc_lo, exec_lo, s4
	s_cbranch_vccz .LBB763_4
.LBB763_2:
	s_endpgm
.LBB763_3:
.LBB763_4:
	s_load_b64 s[8:9], s[0:1], 0x28
	s_lshl_b64 s[4:5], s[30:31], 2
	s_waitcnt lgkmcnt(0)
	s_add_u32 s8, s8, s4
	s_addc_u32 s9, s9, s5
	s_lshl_b32 s12, s14, 8
	s_load_b32 s17, s[8:9], 0x0
	s_waitcnt lgkmcnt(0)
	s_cmp_ge_i32 s12, s17
	s_cbranch_scc1 .LBB763_2
; %bb.5:
	s_and_not1_b32 vcc_lo, exec_lo, s6
	s_cbranch_vccnz .LBB763_7
; %bb.6:
	s_add_u32 s2, s2, s4
	s_addc_u32 s3, s3, s5
	s_load_b32 s13, s[2:3], 0x0
	s_branch .LBB763_8
.LBB763_7:
	s_mov_b32 s13, s30
.LBB763_8:
	s_clause 0x2
	s_load_b128 s[8:11], s[0:1], 0x8
	s_load_b64 s[2:3], s[0:1], 0x20
	s_load_b128 s[4:7], s[0:1], 0x48
	v_and_b32_e32 v73, 15, v0
	s_waitcnt lgkmcnt(0)
	s_mov_b32 s7, exec_lo
	s_delay_alu instid0(VALU_DEP_1)
	v_lshlrev_b32_e32 v1, 3, v73
	v_cmpx_lt_u32_e32 0xdf, v0
	s_xor_b32 s7, exec_lo, s7
; %bb.9:
	v_mov_b32_e32 v2, 0
; %bb.10:
	s_or_saveexec_b32 s7, s7
	v_lshrrev_b32_e32 v74, 5, v0
	v_and_b32_e32 v75, 31, v0
	v_and_b32_e32 v84, 1, v0
	v_bfe_u32 v83, v0, 4, 1
	s_mul_i32 s29, s15, 14
	s_xor_b32 exec_lo, exec_lo, s7
	s_cbranch_execz .LBB763_12
; %bb.11:
	s_load_b64 s[18:19], s[0:1], 0x0
	v_lshl_or_b32 v7, v74, 1, v83
	s_mul_hi_i32 s21, s13, s4
	s_mul_i32 s20, s13, s4
	v_lshlrev_b32_e32 v4, 1, v1
	s_lshl_b64 s[20:21], s[20:21], 1
	v_add_lshl_u32 v2, v7, s29, 7
	v_lshlrev_b32_e32 v7, 6, v7
	v_lshlrev_b32_e32 v8, 10, v84
	s_delay_alu instid0(VALU_DEP_3) | instskip(NEXT) | instid1(VALU_DEP_1)
	v_ashrrev_i32_e32 v3, 31, v2
	v_lshlrev_b64 v[2:3], 1, v[2:3]
	s_waitcnt lgkmcnt(0)
	s_add_u32 s4, s18, s20
	s_addc_u32 s13, s19, s21
	s_delay_alu instid0(VALU_DEP_1) | instskip(NEXT) | instid1(VALU_DEP_2)
	v_add_co_u32 v2, vcc_lo, s4, v2
	v_add_co_ci_u32_e32 v3, vcc_lo, s13, v3, vcc_lo
	s_delay_alu instid0(VALU_DEP_2) | instskip(NEXT) | instid1(VALU_DEP_2)
	v_add_co_u32 v2, vcc_lo, v2, v4
	v_add_co_ci_u32_e32 v3, vcc_lo, 0, v3, vcc_lo
	global_load_b128 v[3:6], v[2:3], off
	v_lshlrev_b32_e32 v2, 10, v73
	s_delay_alu instid0(VALU_DEP_1) | instskip(NEXT) | instid1(VALU_DEP_1)
	v_and_b32_e32 v2, 0x3800, v2
	v_or3_b32 v7, v2, v8, v7
	v_mov_b32_e32 v2, 0
	s_waitcnt vmcnt(0)
	ds_store_b128 v7, v[3:6]
.LBB763_12:
	s_or_b32 exec_lo, exec_lo, s7
	v_add_nc_u32_e32 v80, -14, v73
	v_and_b32_e32 v3, 0xef, v0
	s_add_i32 s4, s17, 31
	s_clause 0x1
	s_load_b32 s7, s[0:1], 0x38
	s_load_b32 s18, s[0:1], 0x1c
	s_ashr_i32 s13, s4, 31
	v_add_nc_u32_e32 v3, s12, v3
	s_lshr_b32 s13, s13, 27
	s_waitcnt lgkmcnt(0)
	s_add_i32 s4, s4, s13
	s_barrier
	v_ashrrev_i32_e32 v4, 31, v3
	v_cmp_gt_i32_e32 vcc_lo, s17, v3
	s_ashr_i32 s4, s4, 5
	buffer_gl0_inv
	s_add_i32 s4, s4, -1
	v_lshrrev_b32_e32 v5, 27, v4
	v_or_b32_e32 v4, 16, v3
	v_lshlrev_b64 v[81:82], 1, v[1:2]
	s_delay_alu instid0(VALU_DEP_3) | instskip(NEXT) | instid1(VALU_DEP_3)
	v_add_nc_u32_e32 v6, v3, v5
	v_add_nc_u32_e32 v5, v4, v5
	s_mul_i32 s20, s30, s7
	s_delay_alu instid0(SALU_CYCLE_1) | instskip(NEXT) | instid1(VALU_DEP_2)
	s_ashr_i32 s21, s20, 31
	v_ashrrev_i32_e32 v6, 5, v6
	s_delay_alu instid0(VALU_DEP_2) | instskip(SKIP_1) | instid1(SALU_CYCLE_1)
	v_ashrrev_i32_e32 v5, 5, v5
	s_lshl_b64 s[20:21], s[20:21], 2
	s_add_u32 s7, s2, s20
	s_delay_alu instid0(VALU_DEP_2) | instskip(SKIP_3) | instid1(VALU_DEP_2)
	v_cndmask_b32_e32 v3, s4, v6, vcc_lo
	v_cmp_gt_i32_e32 vcc_lo, s17, v4
	s_addc_u32 s13, s3, s21
	s_mul_i32 s2, s15, s6
	v_ashrrev_i32_e32 v4, 31, v3
	v_cndmask_b32_e32 v5, s4, v5, vcc_lo
	s_ashr_i32 s3, s2, 31
	s_delay_alu instid0(SALU_CYCLE_1) | instskip(NEXT) | instid1(VALU_DEP_2)
	s_lshl_b64 s[2:3], s[2:3], 1
	v_lshlrev_b64 v[3:4], 2, v[3:4]
	s_delay_alu instid0(VALU_DEP_2) | instskip(SKIP_3) | instid1(VALU_DEP_1)
	v_ashrrev_i32_e32 v6, 31, v5
	s_add_u32 s6, s8, s2
	s_addc_u32 s15, s9, s3
	s_lshl_b32 s8, s14, 3
	v_lshlrev_b64 v[5:6], 2, v[5:6]
	v_add_co_u32 v3, vcc_lo, s7, v3
	v_add_co_ci_u32_e32 v4, vcc_lo, s13, v4, vcc_lo
	s_ashr_i32 s9, s8, 31
	s_delay_alu instid0(VALU_DEP_3) | instskip(NEXT) | instid1(VALU_DEP_4)
	v_add_co_u32 v5, vcc_lo, s7, v5
	v_add_co_ci_u32_e32 v6, vcc_lo, s13, v6, vcc_lo
	s_clause 0x1
	global_load_b32 v7, v[3:4], off
	global_load_b32 v8, v[5:6], off
	s_lshl_b64 s[8:9], s[8:9], 2
	s_delay_alu instid0(SALU_CYCLE_1) | instskip(SKIP_2) | instid1(SALU_CYCLE_1)
	s_add_u32 s8, s7, s8
	s_addc_u32 s9, s13, s9
	s_or_b32 s16, s12, 32
	s_ashr_i32 s19, s16, 5
	s_cmp_lt_i32 s16, s17
	s_cselect_b32 s20, s19, s4
	s_delay_alu instid0(SALU_CYCLE_1) | instskip(NEXT) | instid1(SALU_CYCLE_1)
	s_ashr_i32 s21, s20, 31
	s_lshl_b64 s[20:21], s[20:21], 2
	s_delay_alu instid0(SALU_CYCLE_1) | instskip(SKIP_2) | instid1(SALU_CYCLE_1)
	s_add_u32 s20, s7, s20
	s_addc_u32 s21, s13, s21
	s_or_b32 s16, s12, 64
	s_ashr_i32 s19, s16, 5
	s_cmp_lt_i32 s16, s17
	s_cselect_b32 s22, s19, s4
	s_delay_alu instid0(SALU_CYCLE_1) | instskip(NEXT) | instid1(SALU_CYCLE_1)
	s_ashr_i32 s23, s22, 31
	;; [unrolled: 10-line block ×5, first 2 shown]
	s_lshl_b64 s[34:35], s[34:35], 2
	s_delay_alu instid0(SALU_CYCLE_1)
	s_add_u32 s34, s7, s34
	s_addc_u32 s35, s13, s35
	s_clause 0x5
	s_load_b32 s16, s[8:9], 0x0
	s_load_b32 s19, s[20:21], 0x0
	;; [unrolled: 1-line block ×6, first 2 shown]
	s_mov_b32 s20, 0
	s_delay_alu instid0(SALU_CYCLE_1)
	s_mov_b32 s27, s20
	s_mov_b32 s24, s20
	s_mov_b32 s21, s20
	s_mov_b32 s22, s20
	s_mov_b32 s23, s20
	s_mov_b32 s25, s20
	s_mov_b32 s26, s20
	v_dual_mov_b32 v108, s27 :: v_dual_mov_b32 v105, s24
	v_dual_mov_b32 v107, s26 :: v_dual_mov_b32 v106, s25
	;; [unrolled: 1-line block ×4, first 2 shown]
	s_waitcnt lgkmcnt(0)
	s_mul_hi_i32 s21, s16, s5
	s_mul_i32 s20, s16, s5
	s_mul_hi_i32 s23, s19, s5
	s_mul_i32 s22, s19, s5
	;; [unrolled: 2-line block ×5, first 2 shown]
	s_waitcnt vmcnt(1)
	v_mad_i64_i32 v[3:4], null, v7, s5, 0
	s_waitcnt vmcnt(0)
	v_mad_i64_i32 v[5:6], null, v8, s5, 0
	s_delay_alu instid0(VALU_DEP_2) | instskip(NEXT) | instid1(VALU_DEP_2)
	v_lshlrev_b64 v[3:4], 1, v[3:4]
	v_lshlrev_b64 v[1:2], 1, v[5:6]
	s_delay_alu instid0(VALU_DEP_2) | instskip(NEXT) | instid1(VALU_DEP_3)
	v_add_co_u32 v3, vcc_lo, s6, v3
	v_add_co_ci_u32_e32 v4, vcc_lo, s15, v4, vcc_lo
	s_delay_alu instid0(VALU_DEP_3) | instskip(NEXT) | instid1(VALU_DEP_4)
	v_add_co_u32 v1, vcc_lo, s6, v1
	v_add_co_ci_u32_e32 v2, vcc_lo, s15, v2, vcc_lo
	s_delay_alu instid0(VALU_DEP_4) | instskip(NEXT) | instid1(VALU_DEP_4)
	v_add_co_u32 v65, vcc_lo, v3, v81
	v_add_co_ci_u32_e32 v66, vcc_lo, v4, v82, vcc_lo
	s_delay_alu instid0(VALU_DEP_4) | instskip(NEXT) | instid1(VALU_DEP_4)
	v_add_co_u32 v76, vcc_lo, v1, v81
	v_add_co_ci_u32_e32 v77, vcc_lo, v2, v82, vcc_lo
	s_clause 0xf
	global_load_b128 v[1:4], v[65:66], off
	global_load_b128 v[5:8], v[65:66], off offset:512
	global_load_b128 v[9:12], v[76:77], off offset:256
	;; [unrolled: 1-line block ×15, first 2 shown]
	v_add_co_u32 v78, vcc_lo, 0x1000, v65
	v_add_co_ci_u32_e32 v79, vcc_lo, 0, v66, vcc_lo
	v_cmp_gt_u32_e32 vcc_lo, 14, v73
	s_clause 0x1
	global_load_b128 v[65:68], v[78:79], off
	global_load_b128 v[69:72], v[78:79], off offset:512
	s_or_b32 s6, s12, 0xc0
	v_cndmask_b32_e32 v80, v80, v73, vcc_lo
	v_add_co_u32 v76, vcc_lo, 0x1000, v76
	v_add_co_ci_u32_e32 v77, vcc_lo, 0, v77, vcc_lo
	s_delay_alu instid0(VALU_DEP_3)
	v_lshlrev_b32_e32 v80, 6, v80
	ds_load_b128 v[85:88], v80
	ds_load_b128 v[89:92], v80 offset:1024
	s_clause 0x1
	global_load_b128 v[93:96], v[76:77], off offset:256
	global_load_b128 v[97:100], v[76:77], off offset:768
	ds_load_b128 v[109:112], v80 offset:2048
	ds_load_b128 v[113:116], v80 offset:3072
	s_ashr_i32 s8, s6, 5
	s_cmp_lt_i32 s6, s17
	s_cselect_b32 s8, s8, s4
	s_delay_alu instid0(SALU_CYCLE_1) | instskip(NEXT) | instid1(SALU_CYCLE_1)
	s_ashr_i32 s9, s8, 31
	s_lshl_b64 s[8:9], s[8:9], 2
	s_delay_alu instid0(SALU_CYCLE_1) | instskip(SKIP_2) | instid1(SALU_CYCLE_1)
	s_add_u32 s8, s7, s8
	s_addc_u32 s9, s13, s9
	s_or_b32 s6, s12, 0xe0
	s_ashr_i32 s15, s6, 5
	s_cmp_lt_i32 s6, s17
	s_cselect_b32 s24, s15, s4
	s_delay_alu instid0(SALU_CYCLE_1) | instskip(NEXT) | instid1(SALU_CYCLE_1)
	s_ashr_i32 s25, s24, 31
	s_lshl_b64 s[24:25], s[24:25], 2
	s_delay_alu instid0(SALU_CYCLE_1) | instskip(SKIP_2) | instid1(SALU_CYCLE_1)
	s_add_u32 s24, s7, s24
	s_addc_u32 s25, s13, s25
	s_add_i32 s6, s12, 0x100
	s_ashr_i32 s15, s6, 5
	s_cmp_lt_i32 s6, s17
	s_cselect_b32 s36, s15, s4
	s_delay_alu instid0(SALU_CYCLE_1) | instskip(NEXT) | instid1(SALU_CYCLE_1)
	s_ashr_i32 s37, s36, 31
	s_lshl_b64 s[36:37], s[36:37], 2
	s_delay_alu instid0(SALU_CYCLE_1)
	s_add_u32 s6, s7, s36
	s_addc_u32 s7, s13, s37
	s_add_u32 s4, s10, s2
	s_addc_u32 s19, s11, s3
	s_lshl_b64 s[2:3], s[20:21], 1
	s_lshl_b64 s[10:11], s[26:27], 1
	;; [unrolled: 1-line block ×3, first 2 shown]
	s_waitcnt vmcnt(18) lgkmcnt(2)
	v_wmma_f32_16x16x16_bf16 v[117:124], v[1:8], v[85:92], v[101:108]
	s_waitcnt vmcnt(16)
	v_wmma_f32_16x16x16_bf16 v[101:108], v[9:16], v[85:92], v[101:108]
	s_clause 0x3
	global_load_b128 v[1:4], v[78:79], off offset:1024
	global_load_b128 v[5:8], v[78:79], off offset:1536
	;; [unrolled: 1-line block ×4, first 2 shown]
	s_waitcnt vmcnt(18) lgkmcnt(0)
	v_wmma_f32_16x16x16_bf16 v[117:124], v[17:24], v[109:116], v[117:124]
	s_clause 0x1
	global_load_b128 v[17:20], v[78:79], off offset:2048
	global_load_b128 v[21:24], v[78:79], off offset:2560
	s_waitcnt vmcnt(18)
	v_wmma_f32_16x16x16_bf16 v[101:108], v[25:32], v[109:116], v[101:108]
	ds_load_b128 v[25:28], v80 offset:4096
	ds_load_b128 v[29:32], v80 offset:5120
	s_clause 0x5
	global_load_b128 v[109:112], v[76:77], off offset:2304
	global_load_b128 v[113:116], v[76:77], off offset:2816
	global_load_b128 v[125:128], v[78:79], off offset:3072
	global_load_b128 v[129:132], v[78:79], off offset:3584
	global_load_b128 v[133:136], v[76:77], off offset:3328
	global_load_b128 v[137:140], v[76:77], off offset:3840
	s_waitcnt vmcnt(22) lgkmcnt(0)
	v_wmma_f32_16x16x16_bf16 v[117:124], v[33:40], v[25:32], v[117:124]
	s_waitcnt vmcnt(20)
	v_wmma_f32_16x16x16_bf16 v[101:108], v[41:48], v[25:32], v[101:108]
	ds_load_b128 v[25:28], v80 offset:6144
	ds_load_b128 v[29:32], v80 offset:7168
	;; [unrolled: 1-line block ×4, first 2 shown]
	s_waitcnt vmcnt(18) lgkmcnt(2)
	v_wmma_f32_16x16x16_bf16 v[117:124], v[49:56], v[25:32], v[117:124]
	s_waitcnt vmcnt(16)
	v_wmma_f32_16x16x16_bf16 v[101:108], v[57:64], v[25:32], v[101:108]
	ds_load_b128 v[25:28], v80 offset:10240
	ds_load_b128 v[29:32], v80 offset:11264
	;; [unrolled: 1-line block ×6, first 2 shown]
	s_waitcnt vmcnt(14) lgkmcnt(6)
	v_wmma_f32_16x16x16_bf16 v[117:124], v[65:72], v[33:40], v[117:124]
	s_waitcnt vmcnt(12)
	v_wmma_f32_16x16x16_bf16 v[101:108], v[93:100], v[33:40], v[101:108]
	s_clause 0x2
	s_load_b32 s16, s[8:9], 0x0
	s_load_b32 s13, s[24:25], 0x0
	;; [unrolled: 1-line block ×3, first 2 shown]
	s_lshl_b64 s[6:7], s[22:23], 1
	s_mul_hi_i32 s9, s33, s5
	s_mul_i32 s8, s33, s5
	s_lshl_b64 s[22:23], s[38:39], 1
	s_lshl_b64 s[8:9], s[8:9], 1
	s_waitcnt lgkmcnt(0)
	s_mul_hi_i32 s25, s16, s5
	s_mul_i32 s24, s16, s5
	s_waitcnt vmcnt(10)
	v_wmma_f32_16x16x16_bf16 v[117:124], v[1:8], v[25:32], v[117:124]
	s_waitcnt vmcnt(8)
	v_wmma_f32_16x16x16_bf16 v[101:108], v[9:16], v[25:32], v[101:108]
	s_waitcnt vmcnt(6)
	s_delay_alu instid0(VALU_DEP_2) | instskip(SKIP_1) | instid1(VALU_DEP_2)
	v_wmma_f32_16x16x16_bf16 v[117:124], v[17:24], v[141:148], v[117:124]
	s_waitcnt vmcnt(4)
	v_wmma_f32_16x16x16_bf16 v[101:108], v[109:116], v[141:148], v[101:108]
	s_waitcnt vmcnt(2)
	s_delay_alu instid0(VALU_DEP_2) | instskip(SKIP_3) | instid1(VALU_DEP_3)
	v_wmma_f32_16x16x16_bf16 v[117:124], v[125:132], v[149:156], v[117:124]
	v_lshlrev_b32_e32 v85, 6, v73
	s_waitcnt vmcnt(0)
	v_wmma_f32_16x16x16_bf16 v[101:108], v[133:140], v[149:156], v[101:108]
	v_mul_f32_e32 v100, s18, v124
	s_delay_alu instid0(VALU_DEP_3) | instskip(SKIP_2) | instid1(VALU_DEP_3)
	v_lshl_or_b32 v41, v74, 10, v85
	v_mul_f32_e32 v99, s18, v118
	v_mul_f32_e32 v97, s18, v117
	v_add_co_u32 v76, s4, s4, v41
	s_delay_alu instid0(VALU_DEP_1) | instskip(NEXT) | instid1(VALU_DEP_2)
	v_add_co_ci_u32_e64 v77, null, s19, 0, s4
	v_add_co_u32 v41, vcc_lo, v76, s2
	s_delay_alu instid0(VALU_DEP_2)
	v_add_co_ci_u32_e32 v42, vcc_lo, s3, v77, vcc_lo
	v_add_co_u32 v33, vcc_lo, v76, s6
	v_add_co_ci_u32_e32 v34, vcc_lo, s7, v77, vcc_lo
	v_add_co_u32 v35, vcc_lo, v76, s10
	;; [unrolled: 2-line block ×5, first 2 shown]
	s_lshl_b64 s[2:3], s[24:25], 1
	v_add_co_ci_u32_e32 v6, vcc_lo, s23, v77, vcc_lo
	s_mul_hi_i32 s7, s13, s5
	s_mul_i32 s6, s13, s5
	v_add_co_u32 v17, vcc_lo, v76, s2
	v_add_co_ci_u32_e32 v18, vcc_lo, s3, v77, vcc_lo
	s_lshl_b64 s[2:3], s[6:7], 1
	s_mul_hi_i32 s7, s15, s5
	s_mul_i32 s6, s15, s5
	v_add_co_u32 v19, vcc_lo, v76, s2
	v_add_co_ci_u32_e32 v20, vcc_lo, s3, v77, vcc_lo
	s_lshl_b64 s[2:3], s[6:7], 1
	s_clause 0x1
	global_load_b128 v[65:68], v[41:42], off
	global_load_b128 v[69:72], v[41:42], off offset:16
	v_add_co_u32 v21, vcc_lo, v76, s2
	v_add_co_ci_u32_e32 v22, vcc_lo, s3, v77, vcc_lo
	s_clause 0xf
	global_load_b128 v[57:60], v[33:34], off
	global_load_b128 v[61:64], v[33:34], off offset:16
	global_load_b128 v[49:52], v[35:36], off
	global_load_b128 v[53:56], v[35:36], off offset:16
	;; [unrolled: 2-line block ×8, first 2 shown]
	v_mbcnt_lo_u32_b32 v77, -1, 0
	s_waitcnt vmcnt(0)
	s_barrier
	buffer_gl0_inv
	v_xor_b32_e32 v78, 16, v77
	s_delay_alu instid0(VALU_DEP_1) | instskip(SKIP_1) | instid1(VALU_DEP_1)
	v_cmp_gt_i32_e32 vcc_lo, 32, v78
	v_dual_cndmask_b32 v77, v77, v78 :: v_dual_and_b32 v76, 0xe0, v0
	v_add_nc_u32_e32 v76, s12, v76
	s_delay_alu instid0(VALU_DEP_1) | instskip(NEXT) | instid1(VALU_DEP_1)
	v_or_b32_e32 v76, v76, v83
	v_or_b32_e32 v78, 2, v76
	;; [unrolled: 1-line block ×4, first 2 shown]
	v_cmp_gt_i32_e32 vcc_lo, s17, v76
	v_or_b32_e32 v86, 8, v76
	v_cmp_gt_i32_e64 s2, s17, v78
	v_or_b32_e32 v87, 10, v76
	v_or_b32_e32 v88, 12, v76
	;; [unrolled: 1-line block ×11, first 2 shown]
	v_cndmask_b32_e32 v76, 0xff7fffff, v97, vcc_lo
	v_cmp_gt_i32_e64 s3, s17, v80
	v_mul_f32_e32 v80, s18, v119
	v_cndmask_b32_e64 v78, 0xff7fffff, v99, s2
	v_mul_f32_e32 v99, s18, v120
	v_cmp_gt_i32_e64 s4, s17, v79
	v_mul_f32_e32 v97, s18, v123
	v_mul_f32_e32 v79, s18, v122
	v_max3_f32 v76, v76, 0xff7fffff, v78
	v_mul_f32_e32 v78, s18, v121
	v_cndmask_b32_e64 v80, 0xff7fffff, v80, s4
	v_cmp_gt_i32_e64 s5, s17, v86
	v_cmp_gt_i32_e64 s6, s17, v87
	v_mul_f32_e32 v86, s18, v107
	v_cndmask_b32_e64 v99, 0xff7fffff, v99, s3
	v_cmp_gt_i32_e64 s7, s17, v89
	v_cndmask_b32_e64 v78, 0xff7fffff, v78, s5
	v_cmp_gt_i32_e64 s8, s17, v88
	v_mul_f32_e32 v89, s18, v101
	v_max3_f32 v76, v76, v80, v99
	v_mul_f32_e32 v80, s18, v108
	v_cndmask_b32_e64 v79, 0xff7fffff, v79, s6
	v_dual_mul_f32 v99, s18, v105 :: v_dual_mul_f32 v88, s18, v102
	v_cndmask_b32_e64 v97, 0xff7fffff, v97, s8
	v_cndmask_b32_e64 v100, 0xff7fffff, v100, s7
	s_delay_alu instid0(VALU_DEP_4) | instskip(SKIP_4) | instid1(VALU_DEP_4)
	v_max3_f32 v76, v76, v78, v79
	v_cmp_gt_i32_e64 s9, s17, v90
	v_cmp_gt_i32_e64 s10, s17, v91
	v_dual_mul_f32 v87, s18, v106 :: v_dual_mul_f32 v78, s18, v104
	v_mul_f32_e32 v79, s18, v103
	v_cndmask_b32_e64 v89, 0xff7fffff, v89, s9
	s_delay_alu instid0(VALU_DEP_4)
	v_cndmask_b32_e64 v88, 0xff7fffff, v88, s10
	v_max3_f32 v76, v76, v97, v100
	v_cmp_gt_i32_e64 s11, s17, v92
	v_cmp_gt_i32_e64 s12, s17, v93
	;; [unrolled: 1-line block ×4, first 2 shown]
	v_max3_f32 v76, v76, v89, v88
	v_cndmask_b32_e64 v79, 0xff7fffff, v79, s11
	v_cndmask_b32_e64 v78, 0xff7fffff, v78, s12
	v_cndmask_b32_e64 v88, 0xff7fffff, v99, s13
	v_cndmask_b32_e64 v87, 0xff7fffff, v87, s15
	v_cmp_gt_i32_e64 s16, s17, v96
	v_cmp_gt_i32_e64 s17, s17, v98
	v_max3_f32 v76, v76, v79, v78
	v_lshlrev_b32_e32 v99, 2, v77
	s_delay_alu instid0(VALU_DEP_4) | instskip(NEXT) | instid1(VALU_DEP_4)
	v_cndmask_b32_e64 v78, 0xff7fffff, v86, s16
	v_cndmask_b32_e64 v79, 0xff7fffff, v80, s17
	s_delay_alu instid0(VALU_DEP_4) | instskip(NEXT) | instid1(VALU_DEP_1)
	v_max3_f32 v76, v76, v88, v87
	v_max3_f32 v76, v76, v78, v79
	ds_bpermute_b32 v77, v99, v76
	s_waitcnt lgkmcnt(0)
	v_max_f32_e32 v77, v77, v77
	s_delay_alu instid0(VALU_DEP_1) | instskip(NEXT) | instid1(VALU_DEP_1)
	v_max_f32_e32 v76, v76, v77
	v_fma_f32 v78, s18, v118, -v76
	v_fma_f32 v77, s18, v117, -v76
	;; [unrolled: 1-line block ×5, first 2 shown]
	v_mul_f32_e32 v78, 0x3fb8aa3b, v78
	v_fma_f32 v87, s18, v123, -v76
	v_fma_f32 v88, s18, v105, -v76
	v_mul_f32_e32 v80, 0x3fb8aa3b, v80
	v_mul_f32_e32 v86, 0x3fb8aa3b, v86
	v_exp_f32_e32 v78, v78
	v_fma_f32 v90, s18, v107, -v76
	v_fma_f32 v100, s18, v108, -v76
	v_exp_f32_e32 v80, v80
	v_exp_f32_e32 v86, v86
	v_mul_f32_e32 v88, 0x3fb8aa3b, v88
	s_delay_alu instid0(VALU_DEP_2) | instskip(NEXT) | instid1(TRANS32_DEP_3)
	v_mul_f32_e32 v100, 0x3fb8aa3b, v100
	v_cndmask_b32_e64 v91, 0, v78, s2
	v_mul_f32_e32 v77, 0x3fb8aa3b, v77
	s_delay_alu instid0(VALU_DEP_4) | instskip(NEXT) | instid1(TRANS32_DEP_3)
	v_exp_f32_e32 v88, v88
	v_cndmask_b32_e64 v95, 0, v80, s3
	v_fma_f32 v80, s18, v101, -v76
	s_delay_alu instid0(TRANS32_DEP_2)
	v_cndmask_b32_e64 v96, 0, v86, s5
	v_exp_f32_e32 v77, v77
	v_mul_f32_e32 v79, 0x3fb8aa3b, v79
	v_fma_f32 v86, s18, v102, -v76
	v_mul_f32_e32 v80, 0x3fb8aa3b, v80
	s_mov_b32 s2, exec_lo
	v_exp_f32_e32 v100, v100
	s_delay_alu instid0(VALU_DEP_1) | instskip(NEXT) | instid1(TRANS32_DEP_3)
	v_exp_f32_e32 v80, v80
	v_cndmask_b32_e32 v92, 0, v77, vcc_lo
	v_exp_f32_e32 v79, v79
	v_fma_f32 v77, s18, v122, -v76
	s_delay_alu instid0(VALU_DEP_2) | instskip(NEXT) | instid1(VALU_DEP_1)
	v_add_f32_e32 v78, 0, v92
	v_add_f32_e32 v78, v78, v91
	s_waitcnt_depctr 0xfff
	v_cndmask_b32_e64 v93, 0, v79, s4
	v_mul_f32_e32 v87, 0x3fb8aa3b, v87
	v_fma_f32 v79, s18, v124, -v76
	s_delay_alu instid0(VALU_DEP_3) | instskip(SKIP_1) | instid1(VALU_DEP_3)
	v_add_f32_e32 v78, v78, v93
	v_mul_f32_e32 v77, 0x3fb8aa3b, v77
	v_mul_f32_e32 v79, 0x3fb8aa3b, v79
	v_exp_f32_e32 v87, v87
	s_delay_alu instid0(VALU_DEP_3) | instskip(NEXT) | instid1(VALU_DEP_3)
	v_add_f32_e32 v78, v78, v95
	v_exp_f32_e32 v77, v77
	s_delay_alu instid0(VALU_DEP_2) | instskip(NEXT) | instid1(TRANS32_DEP_3)
	v_exp_f32_e32 v79, v79
	v_cndmask_b32_e64 v94, 0, v87, s8
	v_fma_f32 v87, s18, v104, -v76
	s_waitcnt_depctr 0xfff
	v_cndmask_b32_e64 v97, 0, v77, s6
	v_add_f32_e32 v77, v78, v96
	v_fma_f32 v78, s18, v103, -v76
	v_mul_f32_e32 v86, 0x3fb8aa3b, v86
	v_cndmask_b32_e64 v98, 0, v79, s7
	v_mul_f32_e32 v87, 0x3fb8aa3b, v87
	s_delay_alu instid0(VALU_DEP_4) | instskip(NEXT) | instid1(VALU_DEP_4)
	v_dual_add_f32 v77, v77, v97 :: v_dual_mul_f32 v78, 0x3fb8aa3b, v78
	v_exp_f32_e32 v86, v86
	s_delay_alu instid0(VALU_DEP_2) | instskip(NEXT) | instid1(VALU_DEP_1)
	v_exp_f32_e32 v87, v87
	v_add_f32_e32 v79, v77, v94
	s_delay_alu instid0(VALU_DEP_2) | instskip(SKIP_2) | instid1(VALU_DEP_3)
	v_exp_f32_e32 v89, v78
	v_cndmask_b32_e64 v77, 0, v80, s9
	v_fma_f32 v80, s18, v106, -v76
	v_add_f32_e32 v79, v79, v98
	s_delay_alu instid0(TRANS32_DEP_3) | instskip(NEXT) | instid1(VALU_DEP_3)
	v_cndmask_b32_e64 v78, 0, v86, s10
	v_mul_f32_e32 v80, 0x3fb8aa3b, v80
	s_delay_alu instid0(VALU_DEP_3) | instskip(NEXT) | instid1(TRANS32_DEP_1)
	v_add_f32_e32 v86, v79, v77
	v_cndmask_b32_e64 v79, 0, v89, s11
	v_mul_f32_e32 v89, 0x3fb8aa3b, v90
	s_delay_alu instid0(VALU_DEP_4) | instskip(SKIP_2) | instid1(VALU_DEP_3)
	v_exp_f32_e32 v90, v80
	v_cndmask_b32_e64 v80, 0, v87, s12
	v_add_f32_e32 v86, v86, v78
	v_exp_f32_e32 v89, v89
	s_delay_alu instid0(VALU_DEP_1) | instskip(SKIP_1) | instid1(VALU_DEP_2)
	v_add_f32_e32 v87, v86, v79
	v_cndmask_b32_e64 v86, 0, v88, s13
	v_add_f32_e32 v88, v87, v80
	s_delay_alu instid0(TRANS32_DEP_2) | instskip(NEXT) | instid1(VALU_DEP_2)
	v_cndmask_b32_e64 v87, 0, v90, s15
	v_add_f32_e32 v90, v88, v86
	s_waitcnt_depctr 0xfff
	v_cndmask_b32_e64 v88, 0, v89, s16
	v_add_f32_e32 v89, v90, v87
	s_delay_alu instid0(VALU_DEP_1) | instskip(SKIP_1) | instid1(VALU_DEP_1)
	v_add_f32_e32 v90, v89, v88
	v_cndmask_b32_e64 v89, 0, v100, s17
	v_add_f32_e32 v90, v90, v89
	ds_bpermute_b32 v99, v99, v90
	v_cmpx_gt_u32_e32 16, v75
	s_cbranch_execz .LBB763_14
; %bb.13:
	v_mul_u32_u24_e32 v75, 0x44, v74
	s_waitcnt lgkmcnt(0)
	v_add_f32_e32 v90, v90, v99
	s_delay_alu instid0(VALU_DEP_2) | instskip(NEXT) | instid1(VALU_DEP_1)
	v_lshl_add_u32 v75, v73, 2, v75
	v_add_nc_u32_e32 v75, 0x4000, v75
	ds_store_2addr_b32 v75, v76, v90 offset1:136
.LBB763_14:
	s_or_b32 exec_lo, exec_lo, s2
	v_lshlrev_b32_e32 v75, 2, v73
	s_waitcnt lgkmcnt(0)
	s_barrier
	buffer_gl0_inv
	v_cmp_eq_u32_e64 s2, 1, v74
	v_add_nc_u32_e32 v90, 0x4000, v75
	ds_load_2addr_b32 v[99:100], v90 offset1:17
	ds_load_2addr_b32 v[101:102], v90 offset0:34 offset1:51
	ds_load_2addr_b32 v[103:104], v90 offset0:68 offset1:85
	;; [unrolled: 1-line block ×4, first 2 shown]
	s_waitcnt lgkmcnt(4)
	v_max3_f32 v75, v99, 0xff7fffff, v100
	s_waitcnt lgkmcnt(3)
	s_delay_alu instid0(VALU_DEP_1) | instskip(SKIP_1) | instid1(VALU_DEP_1)
	v_max3_f32 v75, v75, v101, v102
	s_waitcnt lgkmcnt(2)
	v_max3_f32 v75, v75, v103, v104
	s_waitcnt lgkmcnt(1)
	s_delay_alu instid0(VALU_DEP_1) | instskip(NEXT) | instid1(VALU_DEP_1)
	v_max3_f32 v75, v75, v105, v106
	v_sub_f32_e32 v109, v100, v75
	v_sub_f32_e32 v76, v99, v75
	ds_load_2addr_b32 v[99:100], v90 offset0:170 offset1:187
	v_sub_f32_e32 v101, v101, v75
	v_dual_mul_f32 v109, 0x3fb8aa3b, v109 :: v_dual_mul_f32 v76, 0x3fb8aa3b, v76
	s_delay_alu instid0(VALU_DEP_2) | instskip(NEXT) | instid1(VALU_DEP_2)
	v_mul_f32_e32 v111, 0x3fb8aa3b, v101
	v_exp_f32_e32 v109, v109
	s_delay_alu instid0(VALU_DEP_2)
	v_exp_f32_e32 v110, v76
	v_sub_f32_e32 v76, v102, v75
	ds_load_2addr_b32 v[101:102], v90 offset0:204 offset1:221
	v_exp_f32_e32 v111, v111
	v_mul_f32_e32 v112, 0x3fb8aa3b, v76
	s_waitcnt lgkmcnt(2)
	v_fma_f32 v76, v110, v107, 0
	v_sub_f32_e32 v103, v103, v75
	s_delay_alu instid0(VALU_DEP_3) | instskip(NEXT) | instid1(VALU_DEP_2)
	v_exp_f32_e32 v112, v112
	v_dual_sub_f32 v107, v104, v75 :: v_dual_fmac_f32 v76, v109, v108
	s_waitcnt lgkmcnt(1)
	s_waitcnt_depctr 0xfff
	v_fmac_f32_e32 v76, v111, v99
	v_mul_f32_e32 v113, 0x3fb8aa3b, v103
	ds_load_2addr_b32 v[103:104], v90 offset0:238 offset1:255
	v_sub_f32_e32 v90, v105, v75
	v_dual_sub_f32 v99, v106, v75 :: v_dual_fmac_f32 v76, v112, v100
	v_mul_f32_e32 v105, 0x3fb8aa3b, v107
	v_exp_f32_e32 v107, v113
	s_delay_alu instid0(VALU_DEP_2)
	v_dual_mul_f32 v90, 0x3fb8aa3b, v90 :: v_dual_mul_f32 v99, 0x3fb8aa3b, v99
	s_waitcnt lgkmcnt(0)
	s_barrier
	buffer_gl0_inv
	v_exp_f32_e32 v90, v90
	v_exp_f32_e32 v99, v99
	v_fmac_f32_e32 v76, v107, v101
	v_exp_f32_e32 v105, v105
	s_waitcnt_depctr 0xfff
	v_fmac_f32_e32 v76, v105, v102
	s_delay_alu instid0(VALU_DEP_1) | instskip(NEXT) | instid1(VALU_DEP_1)
	v_fmac_f32_e32 v76, v90, v103
	v_fmac_f32_e32 v76, v99, v104
	s_delay_alu instid0(VALU_DEP_1) | instskip(NEXT) | instid1(VALU_DEP_1)
	v_add_f32_e32 v100, 0x358637bd, v76
	v_div_scale_f32 v101, null, v100, v100, 1.0
	v_div_scale_f32 v104, vcc_lo, 1.0, v100, 1.0
	s_delay_alu instid0(VALU_DEP_2) | instskip(SKIP_2) | instid1(VALU_DEP_1)
	v_rcp_f32_e32 v102, v101
	s_waitcnt_depctr 0xfff
	v_fma_f32 v103, -v101, v102, 1.0
	v_fmac_f32_e32 v102, v103, v102
	v_cndmask_b32_e64 v103, v110, v109, s2
	v_cmp_eq_u32_e64 s2, 2, v74
	s_delay_alu instid0(VALU_DEP_3) | instskip(NEXT) | instid1(VALU_DEP_2)
	v_mul_f32_e32 v106, v104, v102
	v_cndmask_b32_e64 v103, v103, v111, s2
	v_cmp_eq_u32_e64 s2, 3, v74
	s_delay_alu instid0(VALU_DEP_3) | instskip(NEXT) | instid1(VALU_DEP_2)
	v_fma_f32 v108, -v101, v106, v104
	v_cndmask_b32_e64 v103, v103, v112, s2
	v_cmp_eq_u32_e64 s2, 4, v74
	s_delay_alu instid0(VALU_DEP_3) | instskip(NEXT) | instid1(VALU_DEP_2)
	v_fmac_f32_e32 v106, v108, v102
	v_cndmask_b32_e64 v103, v103, v107, s2
	s_delay_alu instid0(VALU_DEP_2) | instskip(SKIP_1) | instid1(VALU_DEP_2)
	v_fma_f32 v101, -v101, v106, v104
	v_cmp_eq_u32_e64 s2, 5, v74
	v_div_fmas_f32 v101, v101, v102, v106
	s_delay_alu instid0(VALU_DEP_2) | instskip(SKIP_2) | instid1(VALU_DEP_3)
	v_cndmask_b32_e64 v103, v103, v105, s2
	v_cmp_eq_u32_e32 vcc_lo, 6, v74
	s_mov_b32 s2, exec_lo
	v_div_fixup_f32 v100, v101, v100, 1.0
	s_delay_alu instid0(VALU_DEP_3) | instskip(SKIP_1) | instid1(VALU_DEP_2)
	v_cndmask_b32_e32 v90, v103, v90, vcc_lo
	v_cmp_eq_u32_e32 vcc_lo, 7, v74
	v_cndmask_b32_e32 v90, v90, v99, vcc_lo
	s_delay_alu instid0(VALU_DEP_1) | instskip(NEXT) | instid1(VALU_DEP_1)
	v_mul_f32_e32 v90, v90, v100
	v_mul_f32_e32 v100, v90, v92
	;; [unrolled: 1-line block ×6, first 2 shown]
	v_and_b32_e32 v101, 0x7f800000, v100
	v_mul_f32_e32 v99, v90, v95
	v_mul_f32_e32 v95, v90, v91
	;; [unrolled: 1-line block ×3, first 2 shown]
                                        ; implicit-def: $vgpr91
	s_delay_alu instid0(VALU_DEP_4)
	v_cmpx_ne_u32_e32 0x7f800000, v101
	s_xor_b32 s2, exec_lo, s2
; %bb.15:
	v_bfe_u32 v91, v100, 16, 1
	s_delay_alu instid0(VALU_DEP_1)
	v_add3_u32 v91, v100, v91, 0x7fff
                                        ; implicit-def: $vgpr100
; %bb.16:
	s_and_not1_saveexec_b32 s2, s2
; %bb.17:
	v_and_b32_e32 v91, 0xffff, v100
	v_or_b32_e32 v93, 0x10000, v100
	s_delay_alu instid0(VALU_DEP_2) | instskip(NEXT) | instid1(VALU_DEP_2)
	v_cmp_eq_u32_e32 vcc_lo, 0, v91
	v_cndmask_b32_e32 v91, v93, v100, vcc_lo
; %bb.18:
	s_or_b32 exec_lo, exec_lo, s2
	v_and_b32_e32 v93, 0x7f800000, v95
	s_delay_alu instid0(VALU_DEP_1) | instskip(SKIP_1) | instid1(SALU_CYCLE_1)
	v_cmp_ne_u32_e32 vcc_lo, 0x7f800000, v93
                                        ; implicit-def: $vgpr93
	s_and_saveexec_b32 s2, vcc_lo
	s_xor_b32 s2, exec_lo, s2
; %bb.19:
	v_bfe_u32 v93, v95, 16, 1
	s_delay_alu instid0(VALU_DEP_1)
	v_add3_u32 v93, v95, v93, 0x7fff
                                        ; implicit-def: $vgpr95
; %bb.20:
	s_and_not1_saveexec_b32 s2, s2
; %bb.21:
	v_and_b32_e32 v93, 0xffff, v95
	v_or_b32_e32 v100, 0x10000, v95
	s_delay_alu instid0(VALU_DEP_2) | instskip(NEXT) | instid1(VALU_DEP_2)
	v_cmp_eq_u32_e32 vcc_lo, 0, v93
	v_cndmask_b32_e32 v93, v100, v95, vcc_lo
; %bb.22:
	s_or_b32 exec_lo, exec_lo, s2
	v_and_b32_e32 v95, 0x7f800000, v96
	s_delay_alu instid0(VALU_DEP_1) | instskip(SKIP_1) | instid1(SALU_CYCLE_1)
	v_cmp_ne_u32_e32 vcc_lo, 0x7f800000, v95
                                        ; implicit-def: $vgpr95
	s_and_saveexec_b32 s2, vcc_lo
	s_xor_b32 s2, exec_lo, s2
; %bb.23:
	v_bfe_u32 v95, v96, 16, 1
	s_delay_alu instid0(VALU_DEP_1)
	v_add3_u32 v95, v96, v95, 0x7fff
                                        ; implicit-def: $vgpr96
; %bb.24:
	s_and_not1_saveexec_b32 s2, s2
; %bb.25:
	v_and_b32_e32 v95, 0xffff, v96
	v_or_b32_e32 v100, 0x10000, v96
	s_delay_alu instid0(VALU_DEP_2) | instskip(NEXT) | instid1(VALU_DEP_2)
	v_cmp_eq_u32_e32 vcc_lo, 0, v95
	v_cndmask_b32_e32 v95, v100, v96, vcc_lo
; %bb.26:
	s_or_b32 exec_lo, exec_lo, s2
	v_and_b32_e32 v96, 0x7f800000, v99
	s_delay_alu instid0(VALU_DEP_1) | instskip(SKIP_1) | instid1(SALU_CYCLE_1)
	v_cmp_ne_u32_e32 vcc_lo, 0x7f800000, v96
                                        ; implicit-def: $vgpr96
	s_and_saveexec_b32 s2, vcc_lo
	s_xor_b32 s2, exec_lo, s2
; %bb.27:
	v_bfe_u32 v96, v99, 16, 1
	s_delay_alu instid0(VALU_DEP_1)
	v_add3_u32 v96, v99, v96, 0x7fff
                                        ; implicit-def: $vgpr99
; %bb.28:
	s_and_not1_saveexec_b32 s2, s2
; %bb.29:
	v_and_b32_e32 v96, 0xffff, v99
	v_or_b32_e32 v100, 0x10000, v99
	s_delay_alu instid0(VALU_DEP_2) | instskip(NEXT) | instid1(VALU_DEP_2)
	v_cmp_eq_u32_e32 vcc_lo, 0, v96
	v_cndmask_b32_e32 v96, v100, v99, vcc_lo
; %bb.30:
	s_or_b32 exec_lo, exec_lo, s2
	v_and_b32_e32 v99, 0x7f800000, v98
	s_delay_alu instid0(VALU_DEP_1) | instskip(SKIP_1) | instid1(SALU_CYCLE_1)
	v_cmp_ne_u32_e32 vcc_lo, 0x7f800000, v99
                                        ; implicit-def: $vgpr99
	s_and_saveexec_b32 s2, vcc_lo
	s_xor_b32 s2, exec_lo, s2
; %bb.31:
	v_bfe_u32 v99, v98, 16, 1
	s_delay_alu instid0(VALU_DEP_1)
	v_add3_u32 v99, v98, v99, 0x7fff
                                        ; implicit-def: $vgpr98
; %bb.32:
	s_and_not1_saveexec_b32 s2, s2
; %bb.33:
	v_and_b32_e32 v99, 0xffff, v98
	v_or_b32_e32 v100, 0x10000, v98
	s_delay_alu instid0(VALU_DEP_2) | instskip(NEXT) | instid1(VALU_DEP_2)
	v_cmp_eq_u32_e32 vcc_lo, 0, v99
	v_cndmask_b32_e32 v99, v100, v98, vcc_lo
; %bb.34:
	s_or_b32 exec_lo, exec_lo, s2
	v_and_b32_e32 v98, 0x7f800000, v97
	s_delay_alu instid0(VALU_DEP_1) | instskip(SKIP_1) | instid1(SALU_CYCLE_1)
	v_cmp_ne_u32_e32 vcc_lo, 0x7f800000, v98
                                        ; implicit-def: $vgpr98
	s_and_saveexec_b32 s2, vcc_lo
	s_xor_b32 s2, exec_lo, s2
; %bb.35:
	v_bfe_u32 v98, v97, 16, 1
	s_delay_alu instid0(VALU_DEP_1)
	v_add3_u32 v98, v97, v98, 0x7fff
                                        ; implicit-def: $vgpr97
; %bb.36:
	s_and_not1_saveexec_b32 s2, s2
; %bb.37:
	v_and_b32_e32 v98, 0xffff, v97
	v_or_b32_e32 v100, 0x10000, v97
	s_delay_alu instid0(VALU_DEP_2) | instskip(NEXT) | instid1(VALU_DEP_2)
	v_cmp_eq_u32_e32 vcc_lo, 0, v98
	v_cndmask_b32_e32 v98, v100, v97, vcc_lo
; %bb.38:
	s_or_b32 exec_lo, exec_lo, s2
	v_and_b32_e32 v97, 0x7f800000, v94
	s_delay_alu instid0(VALU_DEP_1) | instskip(SKIP_1) | instid1(SALU_CYCLE_1)
	v_cmp_ne_u32_e32 vcc_lo, 0x7f800000, v97
                                        ; implicit-def: $vgpr97
	s_and_saveexec_b32 s2, vcc_lo
	s_xor_b32 s2, exec_lo, s2
; %bb.39:
	v_bfe_u32 v97, v94, 16, 1
	s_delay_alu instid0(VALU_DEP_1)
	v_add3_u32 v97, v94, v97, 0x7fff
                                        ; implicit-def: $vgpr94
; %bb.40:
	s_and_not1_saveexec_b32 s2, s2
; %bb.41:
	v_and_b32_e32 v97, 0xffff, v94
	v_or_b32_e32 v100, 0x10000, v94
	s_delay_alu instid0(VALU_DEP_2) | instskip(NEXT) | instid1(VALU_DEP_2)
	v_cmp_eq_u32_e32 vcc_lo, 0, v97
	v_cndmask_b32_e32 v97, v100, v94, vcc_lo
; %bb.42:
	s_or_b32 exec_lo, exec_lo, s2
	v_and_b32_e32 v94, 0x7f800000, v92
	s_delay_alu instid0(VALU_DEP_1) | instskip(SKIP_1) | instid1(SALU_CYCLE_1)
	v_cmp_ne_u32_e32 vcc_lo, 0x7f800000, v94
                                        ; implicit-def: $vgpr94
	s_and_saveexec_b32 s2, vcc_lo
	s_xor_b32 s2, exec_lo, s2
; %bb.43:
	v_bfe_u32 v94, v92, 16, 1
	s_delay_alu instid0(VALU_DEP_1)
	v_add3_u32 v94, v92, v94, 0x7fff
                                        ; implicit-def: $vgpr92
; %bb.44:
	s_and_not1_saveexec_b32 s2, s2
; %bb.45:
	v_and_b32_e32 v94, 0xffff, v92
	v_or_b32_e32 v100, 0x10000, v92
	s_delay_alu instid0(VALU_DEP_2) | instskip(NEXT) | instid1(VALU_DEP_2)
	v_cmp_eq_u32_e32 vcc_lo, 0, v94
	v_cndmask_b32_e32 v94, v100, v92, vcc_lo
; %bb.46:
	s_or_b32 exec_lo, exec_lo, s2
	s_load_b64 s[34:35], s[0:1], 0x94
	v_lshlrev_b32_e32 v92, 4, v83
	s_delay_alu instid0(VALU_DEP_2)
	v_perm_b32 v100, v94, v97, 0x7060302
	v_dual_mul_f32 v89, v90, v89 :: v_dual_lshlrev_b32 v94, 11, v74
	v_perm_b32 v97, v93, v91, 0x7060302
	v_mul_f32_e32 v93, v90, v77
	v_perm_b32 v99, v98, v99, 0x7060302
	v_perm_b32 v98, v96, v95, 0x7060302
	v_or3_b32 v77, v92, v94, v85
	v_mul_f32_e32 v88, v90, v88
	v_dual_mul_f32 v87, v90, v87 :: v_dual_and_b32 v94, 0x7f800000, v93
	v_mul_f32_e32 v86, v90, v86
	v_mul_f32_e32 v91, v90, v80
	;; [unrolled: 1-line block ×4, first 2 shown]
	s_mov_b32 s2, exec_lo
	ds_store_b128 v77, v[97:100]
                                        ; implicit-def: $vgpr78
	v_cmpx_ne_u32_e32 0x7f800000, v94
	s_xor_b32 s2, exec_lo, s2
; %bb.47:
	v_bfe_u32 v78, v93, 16, 1
	s_delay_alu instid0(VALU_DEP_1)
	v_add3_u32 v78, v93, v78, 0x7fff
                                        ; implicit-def: $vgpr93
; %bb.48:
	s_and_not1_saveexec_b32 s2, s2
; %bb.49:
	v_and_b32_e32 v78, 0xffff, v93
	v_or_b32_e32 v79, 0x10000, v93
	s_delay_alu instid0(VALU_DEP_2) | instskip(NEXT) | instid1(VALU_DEP_2)
	v_cmp_eq_u32_e32 vcc_lo, 0, v78
	v_cndmask_b32_e32 v78, v79, v93, vcc_lo
; %bb.50:
	s_or_b32 exec_lo, exec_lo, s2
	v_and_b32_e32 v79, 0x7f800000, v80
	s_delay_alu instid0(VALU_DEP_1) | instskip(SKIP_1) | instid1(SALU_CYCLE_1)
	v_cmp_ne_u32_e32 vcc_lo, 0x7f800000, v79
                                        ; implicit-def: $vgpr79
	s_and_saveexec_b32 s2, vcc_lo
	s_xor_b32 s2, exec_lo, s2
; %bb.51:
	v_bfe_u32 v79, v80, 16, 1
	s_delay_alu instid0(VALU_DEP_1)
	v_add3_u32 v79, v80, v79, 0x7fff
                                        ; implicit-def: $vgpr80
; %bb.52:
	s_and_not1_saveexec_b32 s2, s2
; %bb.53:
	v_and_b32_e32 v79, 0xffff, v80
	v_or_b32_e32 v90, 0x10000, v80
	s_delay_alu instid0(VALU_DEP_2) | instskip(NEXT) | instid1(VALU_DEP_2)
	v_cmp_eq_u32_e32 vcc_lo, 0, v79
	v_cndmask_b32_e32 v79, v90, v80, vcc_lo
; %bb.54:
	s_or_b32 exec_lo, exec_lo, s2
	v_and_b32_e32 v80, 0x7f800000, v92
	s_delay_alu instid0(VALU_DEP_1) | instskip(SKIP_1) | instid1(SALU_CYCLE_1)
	v_cmp_ne_u32_e32 vcc_lo, 0x7f800000, v80
                                        ; implicit-def: $vgpr80
	s_and_saveexec_b32 s2, vcc_lo
	s_xor_b32 s2, exec_lo, s2
; %bb.55:
	v_bfe_u32 v80, v92, 16, 1
	s_delay_alu instid0(VALU_DEP_1)
	v_add3_u32 v80, v92, v80, 0x7fff
                                        ; implicit-def: $vgpr92
; %bb.56:
	s_and_not1_saveexec_b32 s2, s2
; %bb.57:
	v_and_b32_e32 v80, 0xffff, v92
	v_or_b32_e32 v90, 0x10000, v92
	s_delay_alu instid0(VALU_DEP_2) | instskip(NEXT) | instid1(VALU_DEP_2)
	v_cmp_eq_u32_e32 vcc_lo, 0, v80
	v_cndmask_b32_e32 v80, v90, v92, vcc_lo
; %bb.58:
	s_or_b32 exec_lo, exec_lo, s2
	v_and_b32_e32 v90, 0x7f800000, v91
	s_delay_alu instid0(VALU_DEP_1) | instskip(SKIP_1) | instid1(SALU_CYCLE_1)
	v_cmp_ne_u32_e32 vcc_lo, 0x7f800000, v90
                                        ; implicit-def: $vgpr90
	s_and_saveexec_b32 s2, vcc_lo
	s_xor_b32 s2, exec_lo, s2
; %bb.59:
	v_bfe_u32 v90, v91, 16, 1
	s_delay_alu instid0(VALU_DEP_1)
	v_add3_u32 v90, v91, v90, 0x7fff
                                        ; implicit-def: $vgpr91
; %bb.60:
	s_and_not1_saveexec_b32 s2, s2
; %bb.61:
	v_and_b32_e32 v90, 0xffff, v91
	v_or_b32_e32 v92, 0x10000, v91
	s_delay_alu instid0(VALU_DEP_2) | instskip(NEXT) | instid1(VALU_DEP_2)
	v_cmp_eq_u32_e32 vcc_lo, 0, v90
	v_cndmask_b32_e32 v90, v92, v91, vcc_lo
; %bb.62:
	s_or_b32 exec_lo, exec_lo, s2
	v_and_b32_e32 v91, 0x7f800000, v86
	s_delay_alu instid0(VALU_DEP_1) | instskip(SKIP_1) | instid1(SALU_CYCLE_1)
	v_cmp_ne_u32_e32 vcc_lo, 0x7f800000, v91
                                        ; implicit-def: $vgpr91
	s_and_saveexec_b32 s2, vcc_lo
	s_xor_b32 s2, exec_lo, s2
; %bb.63:
	v_bfe_u32 v91, v86, 16, 1
	s_delay_alu instid0(VALU_DEP_1)
	v_add3_u32 v91, v86, v91, 0x7fff
                                        ; implicit-def: $vgpr86
; %bb.64:
	s_and_not1_saveexec_b32 s2, s2
; %bb.65:
	v_and_b32_e32 v91, 0xffff, v86
	v_or_b32_e32 v92, 0x10000, v86
	s_delay_alu instid0(VALU_DEP_2) | instskip(NEXT) | instid1(VALU_DEP_2)
	v_cmp_eq_u32_e32 vcc_lo, 0, v91
	v_cndmask_b32_e32 v91, v92, v86, vcc_lo
; %bb.66:
	s_or_b32 exec_lo, exec_lo, s2
	v_and_b32_e32 v86, 0x7f800000, v87
	s_delay_alu instid0(VALU_DEP_1) | instskip(SKIP_1) | instid1(SALU_CYCLE_1)
	v_cmp_ne_u32_e32 vcc_lo, 0x7f800000, v86
                                        ; implicit-def: $vgpr86
	s_and_saveexec_b32 s2, vcc_lo
	s_xor_b32 s2, exec_lo, s2
; %bb.67:
	v_bfe_u32 v86, v87, 16, 1
	s_delay_alu instid0(VALU_DEP_1)
	v_add3_u32 v86, v87, v86, 0x7fff
                                        ; implicit-def: $vgpr87
; %bb.68:
	s_and_not1_saveexec_b32 s2, s2
; %bb.69:
	v_and_b32_e32 v86, 0xffff, v87
	v_or_b32_e32 v92, 0x10000, v87
	s_delay_alu instid0(VALU_DEP_2) | instskip(NEXT) | instid1(VALU_DEP_2)
	v_cmp_eq_u32_e32 vcc_lo, 0, v86
	v_cndmask_b32_e32 v86, v92, v87, vcc_lo
; %bb.70:
	s_or_b32 exec_lo, exec_lo, s2
	v_and_b32_e32 v87, 0x7f800000, v88
	s_delay_alu instid0(VALU_DEP_1) | instskip(SKIP_1) | instid1(SALU_CYCLE_1)
	v_cmp_ne_u32_e32 vcc_lo, 0x7f800000, v87
                                        ; implicit-def: $vgpr87
	s_and_saveexec_b32 s2, vcc_lo
	s_xor_b32 s2, exec_lo, s2
; %bb.71:
	v_bfe_u32 v87, v88, 16, 1
	s_delay_alu instid0(VALU_DEP_1)
	v_add3_u32 v87, v88, v87, 0x7fff
                                        ; implicit-def: $vgpr88
; %bb.72:
	s_and_not1_saveexec_b32 s2, s2
; %bb.73:
	v_and_b32_e32 v87, 0xffff, v88
	v_or_b32_e32 v92, 0x10000, v88
	s_delay_alu instid0(VALU_DEP_2) | instskip(NEXT) | instid1(VALU_DEP_2)
	v_cmp_eq_u32_e32 vcc_lo, 0, v87
	v_cndmask_b32_e32 v87, v92, v88, vcc_lo
; %bb.74:
	s_or_b32 exec_lo, exec_lo, s2
	v_and_b32_e32 v88, 0x7f800000, v89
	s_delay_alu instid0(VALU_DEP_1) | instskip(SKIP_1) | instid1(SALU_CYCLE_1)
	v_cmp_ne_u32_e32 vcc_lo, 0x7f800000, v88
                                        ; implicit-def: $vgpr88
	s_and_saveexec_b32 s2, vcc_lo
	s_xor_b32 s2, exec_lo, s2
; %bb.75:
	v_bfe_u32 v88, v89, 16, 1
	s_delay_alu instid0(VALU_DEP_1)
	v_add3_u32 v88, v89, v88, 0x7fff
                                        ; implicit-def: $vgpr89
; %bb.76:
	s_and_not1_saveexec_b32 s2, s2
; %bb.77:
	v_and_b32_e32 v88, 0xffff, v89
	v_or_b32_e32 v92, 0x10000, v89
	s_delay_alu instid0(VALU_DEP_2) | instskip(NEXT) | instid1(VALU_DEP_2)
	v_cmp_eq_u32_e32 vcc_lo, 0, v88
	v_cndmask_b32_e32 v88, v92, v89, vcc_lo
; %bb.78:
	s_or_b32 exec_lo, exec_lo, s2
	s_delay_alu instid0(VALU_DEP_1)
	v_perm_b32 v89, v88, v87, 0x7060302
	v_perm_b32 v88, v86, v91, 0x7060302
	;; [unrolled: 1-line block ×4, first 2 shown]
	v_lshl_or_b32 v90, v74, 11, v85
	ds_store_b128 v77, v[86:89] offset:1024
	s_waitcnt lgkmcnt(0)
	s_barrier
	buffer_gl0_inv
	ds_load_b128 v[91:94], v90
	ds_load_b128 v[95:98], v90 offset:16
	v_lshlrev_b32_e32 v87, 2, v83
	s_delay_alu instid0(VALU_DEP_1)
	v_or_b32_e32 v88, 1, v87
	v_cmp_eq_u32_e32 vcc_lo, 1, v87
	v_cmp_eq_u32_e64 s3, 2, v87
	v_cmp_eq_u32_e64 s6, 3, v87
	;; [unrolled: 1-line block ×6, first 2 shown]
	v_or_b32_e32 v86, 2, v87
	v_cmp_eq_u32_e64 s9, 5, v87
	v_cmp_eq_u32_e64 s10, 4, v88
	;; [unrolled: 1-line block ×4, first 2 shown]
	s_waitcnt lgkmcnt(1)
	v_lshrrev_b32_e32 v74, 16, v91
	s_waitcnt lgkmcnt(0)
	v_lshrrev_b32_e32 v103, 16, v95
	v_lshrrev_b32_e32 v80, 16, v94
	v_lshrrev_b32_e32 v78, 16, v92
	v_lshrrev_b32_e32 v107, 16, v96
	v_cndmask_b32_e32 v89, v91, v74, vcc_lo
	v_cndmask_b32_e32 v99, v95, v103, vcc_lo
	v_cndmask_b32_e64 v100, v91, v74, s2
	v_lshrrev_b32_e32 v79, 16, v93
	v_lshrrev_b32_e32 v108, 16, v97
	v_cndmask_b32_e64 v89, v89, v92, s3
	v_cndmask_b32_e64 v99, v99, v96, s3
	;; [unrolled: 1-line block ×4, first 2 shown]
	v_cmp_eq_u32_e64 s4, 1, v86
	v_cndmask_b32_e64 v89, v89, v78, s6
	v_cndmask_b32_e64 v99, v99, v107, s6
	;; [unrolled: 1-line block ×4, first 2 shown]
	v_lshrrev_b32_e32 v109, 16, v98
	v_cndmask_b32_e64 v89, v89, v93, s8
	v_cndmask_b32_e64 v99, v99, v97, s8
	;; [unrolled: 1-line block ×8, first 2 shown]
	v_cmp_eq_u32_e64 s13, 7, v87
	v_cmp_eq_u32_e64 s15, 6, v88
	v_cndmask_b32_e64 v89, v89, v94, s11
	v_cndmask_b32_e64 v99, v99, v98, s11
	v_cmp_eq_u32_e64 s16, 2, v86
	v_cndmask_b32_e64 v101, v101, v97, s10
	v_cndmask_b32_e64 v100, v100, v94, s15
	;; [unrolled: 1-line block ×6, first 2 shown]
	v_cmp_eq_u32_e64 s17, 7, v88
	v_cmp_eq_u32_e64 s18, 3, v86
	;; [unrolled: 1-line block ×4, first 2 shown]
	v_cndmask_b32_e64 v99, v99, v96, s16
	v_cndmask_b32_e64 v112, v100, v80, s17
	;; [unrolled: 1-line block ×4, first 2 shown]
	v_or_b32_e32 v89, 3, v87
	v_cndmask_b32_e64 v105, v99, v107, s18
	v_cmp_eq_u32_e64 s23, 6, v86
	v_cndmask_b32_e64 v113, v100, v98, s15
	v_cndmask_b32_e64 v104, v101, v93, s19
	ds_load_b128 v[99:102], v90 offset:1024
	v_cmp_eq_u32_e64 s20, 1, v89
	v_cmp_eq_u32_e64 s22, 2, v89
	;; [unrolled: 1-line block ×3, first 2 shown]
	v_cndmask_b32_e64 v114, v104, v79, s21
	v_cmp_eq_u32_e64 s25, 4, v89
	v_cndmask_b32_e64 v74, v91, v74, s20
	v_cndmask_b32_e64 v91, v105, v97, s19
	;; [unrolled: 1-line block ×3, first 2 shown]
	ds_load_b128 v[103:106], v90 offset:1040
	v_cmp_eq_u32_e64 s27, 5, v89
	v_cndmask_b32_e64 v74, v74, v92, s22
	v_cndmask_b32_e64 v91, v91, v108, s21
	;; [unrolled: 1-line block ×3, first 2 shown]
	v_cmp_eq_u32_e64 s28, 6, v89
	v_cndmask_b32_e64 v95, v113, v109, s17
	v_cndmask_b32_e64 v74, v74, v78, s24
	v_cndmask_b32_e64 v78, v114, v94, s23
	v_cndmask_b32_e64 v92, v92, v107, s24
	v_cndmask_b32_e64 v91, v91, v98, s23
	s_waitcnt lgkmcnt(1)
	v_lshrrev_b32_e32 v96, 16, v99
	v_cndmask_b32_e64 v74, v74, v93, s25
	v_lshrrev_b32_e32 v107, 16, v100
	v_cndmask_b32_e64 v92, v92, v97, s25
	v_cmp_eq_u32_e64 s26, 7, v86
	v_cndmask_b32_e32 v93, v99, v96, vcc_lo
	v_cndmask_b32_e64 v74, v74, v79, s27
	s_delay_alu instid0(VALU_DEP_4)
	v_cndmask_b32_e64 v79, v92, v108, s27
	s_waitcnt lgkmcnt(0)
	v_lshrrev_b32_e32 v97, 16, v103
	v_cndmask_b32_e64 v92, v93, v100, s3
	v_cndmask_b32_e64 v93, v99, v96, s2
	;; [unrolled: 1-line block ×4, first 2 shown]
	v_cndmask_b32_e32 v108, v103, v97, vcc_lo
	v_cndmask_b32_e64 v92, v92, v107, s6
	v_cndmask_b32_e64 v93, v93, v100, s5
	v_lshrrev_b32_e32 v98, 16, v104
	v_cmp_eq_u32_e32 vcc_lo, 7, v89
	v_cndmask_b32_e64 v94, v108, v104, s3
	v_cndmask_b32_e64 v92, v92, v101, s8
	v_lshrrev_b32_e32 v108, 16, v101
	v_cndmask_b32_e64 v93, v93, v107, s7
	v_cndmask_b32_e32 v74, v74, v80, vcc_lo
	v_cndmask_b32_e64 v94, v94, v98, s6
	v_cndmask_b32_e32 v79, v79, v109, vcc_lo
	v_cndmask_b32_e64 v92, v92, v108, s9
	v_cndmask_b32_e64 v78, v78, v80, s26
	;; [unrolled: 1-line block ×4, first 2 shown]
	v_perm_b32 v94, v79, v74, 0x5040100
	v_cndmask_b32_e64 v79, v92, v102, s11
	v_perm_b32 v92, v95, v112, 0x5040100
	v_cndmask_b32_e64 v95, v99, v96, s4
	v_cndmask_b32_e64 v96, v99, v96, s20
	;; [unrolled: 1-line block ×16, first 2 shown]
	v_lshrrev_b32_e32 v109, 16, v105
	v_cndmask_b32_e64 v95, v95, v101, s19
	v_cndmask_b32_e64 v96, v96, v101, s25
	;; [unrolled: 1-line block ×6, first 2 shown]
	v_lshrrev_b32_e32 v80, 16, v102
	v_cndmask_b32_e64 v113, v93, v109, s9
	v_cndmask_b32_e64 v95, v95, v108, s21
	;; [unrolled: 1-line block ×6, first 2 shown]
	v_perm_b32 v93, v91, v78, 0x5040100
	v_cndmask_b32_e64 v74, v74, v102, s15
	v_cndmask_b32_e64 v78, v79, v80, s13
	;; [unrolled: 1-line block ×3, first 2 shown]
	v_lshrrev_b32_e32 v91, 16, v106
	v_cndmask_b32_e64 v95, v95, v102, s23
	v_cndmask_b32_e64 v96, v96, v102, s28
	;; [unrolled: 1-line block ×7, first 2 shown]
	v_cndmask_b32_e32 v80, v96, v80, vcc_lo
	v_cndmask_b32_e32 v96, v98, v91, vcc_lo
	v_cndmask_b32_e64 v99, v99, v91, s26
	v_cndmask_b32_e64 v100, v97, v91, s17
	;; [unrolled: 1-line block ×3, first 2 shown]
	v_perm_b32 v91, v111, v110, 0x5040100
	v_perm_b32 v98, v96, v80, 0x5040100
	;; [unrolled: 1-line block ×5, first 2 shown]
	s_mul_i32 s7, s35, 14
	s_mov_b32 s2, exec_lo
	ds_store_b128 v77, v[91:94]
	ds_store_b128 v77, v[95:98] offset:1024
	v_cmpx_gt_u32_e32 14, v0
	s_cbranch_execz .LBB763_80
; %bb.79:
	s_mul_i32 s3, s7, s30
	s_load_b128 s[8:11], s[0:1], 0x58
	v_add3_u32 v77, s3, s29, v73
	s_delay_alu instid0(VALU_DEP_1) | instskip(NEXT) | instid1(VALU_DEP_1)
	v_mad_u64_u32 v[73:74], null, v77, s34, s[14:15]
	v_ashrrev_i32_e32 v74, 31, v73
	s_delay_alu instid0(VALU_DEP_1) | instskip(SKIP_1) | instid1(VALU_DEP_1)
	v_lshlrev_b64 v[73:74], 2, v[73:74]
	s_waitcnt lgkmcnt(0)
	v_add_co_u32 v77, vcc_lo, s10, v73
	s_delay_alu instid0(VALU_DEP_2)
	v_add_co_ci_u32_e32 v78, vcc_lo, s11, v74, vcc_lo
	v_add_co_u32 v73, vcc_lo, s8, v73
	v_add_co_ci_u32_e32 v74, vcc_lo, s9, v74, vcc_lo
	global_store_b32 v[77:78], v75, off
	global_store_b32 v[73:74], v76, off
.LBB763_80:
	s_or_b32 exec_lo, exec_lo, s2
	s_waitcnt lgkmcnt(0)
	s_waitcnt_vscnt null, 0x0
	s_barrier
	buffer_gl0_inv
	ds_load_b128 v[91:94], v85
	ds_load_b128 v[95:98], v85 offset:16
	ds_load_b128 v[103:106], v85 offset:1040
	;; [unrolled: 1-line block ×3, first 2 shown]
	v_mov_b32_e32 v73, 0
	ds_load_b128 v[111:114], v85 offset:2064
	ds_load_b128 v[107:110], v85 offset:2048
	;; [unrolled: 1-line block ×6, first 2 shown]
	v_mov_b32_e32 v74, v73
	v_mov_b32_e32 v75, v73
	;; [unrolled: 1-line block ×7, first 2 shown]
	s_waitcnt lgkmcnt(8)
	s_delay_alu instid0(VALU_DEP_1)
	v_wmma_f32_16x16x16_bf16 v[73:80], v[65:72], v[91:98], v[73:80]
	ds_load_b128 v[69:72], v85 offset:5136
	ds_load_b128 v[65:68], v85 offset:5120
	;; [unrolled: 1-line block ×4, first 2 shown]
	s_waitcnt lgkmcnt(10)
	v_wmma_f32_16x16x16_bf16 v[73:80], v[57:64], v[99:106], v[73:80]
	s_waitcnt lgkmcnt(8)
	s_delay_alu instid0(VALU_DEP_1)
	v_wmma_f32_16x16x16_bf16 v[73:80], v[57:64], v[107:114], v[73:80]
	ds_load_b128 v[61:64], v85 offset:7184
	ds_load_b128 v[57:60], v85 offset:7168
	;; [unrolled: 1-line block ×4, first 2 shown]
	s_waitcnt lgkmcnt(10)
	v_wmma_f32_16x16x16_bf16 v[73:80], v[49:56], v[115:122], v[73:80]
	s_waitcnt lgkmcnt(8)
	s_delay_alu instid0(VALU_DEP_1)
	v_wmma_f32_16x16x16_bf16 v[73:80], v[49:56], v[123:130], v[73:80]
	ds_load_b128 v[53:56], v85 offset:9232
	ds_load_b128 v[49:52], v85 offset:9216
	s_waitcnt lgkmcnt(8)
	v_wmma_f32_16x16x16_bf16 v[73:80], v[41:48], v[65:72], v[73:80]
	ds_load_b128 v[69:72], v85 offset:10256
	ds_load_b128 v[65:68], v85 offset:10240
	s_waitcnt lgkmcnt(8)
	;; [unrolled: 4-line block ×3, first 2 shown]
	v_wmma_f32_16x16x16_bf16 v[73:80], v[9:16], v[57:64], v[73:80]
	s_waitcnt lgkmcnt(6)
	s_delay_alu instid0(VALU_DEP_1)
	v_wmma_f32_16x16x16_bf16 v[73:80], v[9:16], v[99:106], v[73:80]
	ds_load_b128 v[13:16], v85 offset:12304
	ds_load_b128 v[9:12], v85 offset:12288
	s_waitcnt lgkmcnt(6)
	v_wmma_f32_16x16x16_bf16 v[73:80], v[1:8], v[49:56], v[73:80]
	ds_load_b128 v[53:56], v85 offset:13328
	ds_load_b128 v[49:52], v85 offset:13312
	s_waitcnt lgkmcnt(6)
	;; [unrolled: 4-line block ×4, first 2 shown]
	v_wmma_f32_16x16x16_bf16 v[73:80], v[33:40], v[9:16], v[73:80]
	s_waitcnt lgkmcnt(4)
	s_delay_alu instid0(VALU_DEP_1) | instskip(SKIP_1) | instid1(VALU_DEP_1)
	v_wmma_f32_16x16x16_bf16 v[73:80], v[25:32], v[49:56], v[73:80]
	s_waitcnt lgkmcnt(2)
	v_wmma_f32_16x16x16_bf16 v[73:80], v[25:32], v[1:8], v[73:80]
	s_waitcnt lgkmcnt(0)
	s_delay_alu instid0(VALU_DEP_1) | instskip(NEXT) | instid1(VALU_DEP_1)
	v_wmma_f32_16x16x16_bf16 v[73:80], v[17:24], v[41:48], v[73:80]
	v_and_b32_e32 v1, 0x7f800000, v73
	s_delay_alu instid0(VALU_DEP_1) | instskip(SKIP_1) | instid1(SALU_CYCLE_1)
	v_cmp_ne_u32_e32 vcc_lo, 0x7f800000, v1
                                        ; implicit-def: $vgpr1
	s_and_saveexec_b32 s2, vcc_lo
	s_xor_b32 s2, exec_lo, s2
; %bb.81:
	v_bfe_u32 v1, v73, 16, 1
	s_delay_alu instid0(VALU_DEP_1)
	v_add3_u32 v1, v73, v1, 0x7fff
; %bb.82:
	s_and_not1_saveexec_b32 s2, s2
; %bb.83:
	v_and_b32_e32 v1, 0xffff, v73
	v_or_b32_e32 v2, 0x10000, v73
	s_delay_alu instid0(VALU_DEP_2) | instskip(NEXT) | instid1(VALU_DEP_2)
	v_cmp_eq_u32_e32 vcc_lo, 0, v1
	v_cndmask_b32_e32 v1, v2, v73, vcc_lo
; %bb.84:
	s_or_b32 exec_lo, exec_lo, s2
	v_and_b32_e32 v2, 0x7f800000, v74
	s_delay_alu instid0(VALU_DEP_1) | instskip(SKIP_1) | instid1(SALU_CYCLE_1)
	v_cmp_ne_u32_e32 vcc_lo, 0x7f800000, v2
                                        ; implicit-def: $vgpr2
	s_and_saveexec_b32 s2, vcc_lo
	s_xor_b32 s2, exec_lo, s2
; %bb.85:
	v_bfe_u32 v2, v74, 16, 1
	s_delay_alu instid0(VALU_DEP_1)
	v_add3_u32 v2, v74, v2, 0x7fff
; %bb.86:
	s_and_not1_saveexec_b32 s2, s2
; %bb.87:
	v_and_b32_e32 v2, 0xffff, v74
	v_or_b32_e32 v3, 0x10000, v74
	s_delay_alu instid0(VALU_DEP_2) | instskip(NEXT) | instid1(VALU_DEP_2)
	v_cmp_eq_u32_e32 vcc_lo, 0, v2
	v_cndmask_b32_e32 v2, v3, v74, vcc_lo
; %bb.88:
	s_or_b32 exec_lo, exec_lo, s2
	v_and_b32_e32 v3, 0x7f800000, v75
	s_delay_alu instid0(VALU_DEP_1) | instskip(SKIP_1) | instid1(SALU_CYCLE_1)
	v_cmp_ne_u32_e32 vcc_lo, 0x7f800000, v3
                                        ; implicit-def: $vgpr3
	s_and_saveexec_b32 s2, vcc_lo
	s_xor_b32 s2, exec_lo, s2
; %bb.89:
	v_bfe_u32 v3, v75, 16, 1
	s_delay_alu instid0(VALU_DEP_1)
	v_add3_u32 v3, v75, v3, 0x7fff
; %bb.90:
	s_and_not1_saveexec_b32 s2, s2
; %bb.91:
	v_and_b32_e32 v3, 0xffff, v75
	v_or_b32_e32 v4, 0x10000, v75
	s_delay_alu instid0(VALU_DEP_2) | instskip(NEXT) | instid1(VALU_DEP_2)
	v_cmp_eq_u32_e32 vcc_lo, 0, v3
	v_cndmask_b32_e32 v3, v4, v75, vcc_lo
; %bb.92:
	s_or_b32 exec_lo, exec_lo, s2
	v_and_b32_e32 v4, 0x7f800000, v76
	s_delay_alu instid0(VALU_DEP_1) | instskip(SKIP_1) | instid1(SALU_CYCLE_1)
	v_cmp_ne_u32_e32 vcc_lo, 0x7f800000, v4
                                        ; implicit-def: $vgpr4
	s_and_saveexec_b32 s2, vcc_lo
	s_xor_b32 s2, exec_lo, s2
; %bb.93:
	v_bfe_u32 v4, v76, 16, 1
	s_delay_alu instid0(VALU_DEP_1)
	v_add3_u32 v4, v76, v4, 0x7fff
; %bb.94:
	s_and_not1_saveexec_b32 s2, s2
; %bb.95:
	v_and_b32_e32 v4, 0xffff, v76
	v_or_b32_e32 v5, 0x10000, v76
	s_delay_alu instid0(VALU_DEP_2) | instskip(NEXT) | instid1(VALU_DEP_2)
	v_cmp_eq_u32_e32 vcc_lo, 0, v4
	v_cndmask_b32_e32 v4, v5, v76, vcc_lo
; %bb.96:
	s_or_b32 exec_lo, exec_lo, s2
	v_and_b32_e32 v5, 0x7f800000, v77
	s_delay_alu instid0(VALU_DEP_1) | instskip(SKIP_1) | instid1(SALU_CYCLE_1)
	v_cmp_ne_u32_e32 vcc_lo, 0x7f800000, v5
                                        ; implicit-def: $vgpr5
	s_and_saveexec_b32 s2, vcc_lo
	s_xor_b32 s2, exec_lo, s2
; %bb.97:
	v_bfe_u32 v5, v77, 16, 1
	s_delay_alu instid0(VALU_DEP_1)
	v_add3_u32 v5, v77, v5, 0x7fff
; %bb.98:
	s_and_not1_saveexec_b32 s2, s2
; %bb.99:
	v_and_b32_e32 v5, 0xffff, v77
	v_or_b32_e32 v6, 0x10000, v77
	s_delay_alu instid0(VALU_DEP_2) | instskip(NEXT) | instid1(VALU_DEP_2)
	v_cmp_eq_u32_e32 vcc_lo, 0, v5
	v_cndmask_b32_e32 v5, v6, v77, vcc_lo
; %bb.100:
	s_or_b32 exec_lo, exec_lo, s2
	v_and_b32_e32 v6, 0x7f800000, v78
	s_delay_alu instid0(VALU_DEP_1) | instskip(SKIP_1) | instid1(SALU_CYCLE_1)
	v_cmp_ne_u32_e32 vcc_lo, 0x7f800000, v6
                                        ; implicit-def: $vgpr6
	s_and_saveexec_b32 s2, vcc_lo
	s_xor_b32 s2, exec_lo, s2
; %bb.101:
	v_bfe_u32 v6, v78, 16, 1
	s_delay_alu instid0(VALU_DEP_1)
	v_add3_u32 v6, v78, v6, 0x7fff
; %bb.102:
	s_and_not1_saveexec_b32 s2, s2
; %bb.103:
	v_and_b32_e32 v6, 0xffff, v78
	v_or_b32_e32 v7, 0x10000, v78
	s_delay_alu instid0(VALU_DEP_2) | instskip(NEXT) | instid1(VALU_DEP_2)
	v_cmp_eq_u32_e32 vcc_lo, 0, v6
	v_cndmask_b32_e32 v6, v7, v78, vcc_lo
; %bb.104:
	s_or_b32 exec_lo, exec_lo, s2
	v_and_b32_e32 v7, 0x7f800000, v79
	s_delay_alu instid0(VALU_DEP_1) | instskip(SKIP_1) | instid1(SALU_CYCLE_1)
	v_cmp_ne_u32_e32 vcc_lo, 0x7f800000, v7
                                        ; implicit-def: $vgpr7
	s_and_saveexec_b32 s2, vcc_lo
	s_xor_b32 s2, exec_lo, s2
; %bb.105:
	v_bfe_u32 v7, v79, 16, 1
	s_delay_alu instid0(VALU_DEP_1)
	v_add3_u32 v7, v79, v7, 0x7fff
; %bb.106:
	s_and_not1_saveexec_b32 s2, s2
; %bb.107:
	v_and_b32_e32 v7, 0xffff, v79
	v_or_b32_e32 v8, 0x10000, v79
	s_delay_alu instid0(VALU_DEP_2) | instskip(NEXT) | instid1(VALU_DEP_2)
	v_cmp_eq_u32_e32 vcc_lo, 0, v7
	v_cndmask_b32_e32 v7, v8, v79, vcc_lo
; %bb.108:
	s_or_b32 exec_lo, exec_lo, s2
	v_and_b32_e32 v8, 0x7f800000, v80
	s_delay_alu instid0(VALU_DEP_1) | instskip(SKIP_1) | instid1(SALU_CYCLE_1)
	v_cmp_ne_u32_e32 vcc_lo, 0x7f800000, v8
                                        ; implicit-def: $vgpr8
	s_and_saveexec_b32 s2, vcc_lo
	s_xor_b32 s2, exec_lo, s2
; %bb.109:
	v_bfe_u32 v8, v80, 16, 1
	s_delay_alu instid0(VALU_DEP_1)
	v_add3_u32 v8, v80, v8, 0x7fff
                                        ; implicit-def: $vgpr73_vgpr74_vgpr75_vgpr76_vgpr77_vgpr78_vgpr79_vgpr80
; %bb.110:
	s_and_not1_saveexec_b32 s2, s2
; %bb.111:
	v_and_b32_e32 v8, 0xffff, v80
	v_or_b32_e32 v9, 0x10000, v80
	s_delay_alu instid0(VALU_DEP_2) | instskip(NEXT) | instid1(VALU_DEP_2)
	v_cmp_eq_u32_e32 vcc_lo, 0, v8
	v_cndmask_b32_e32 v8, v9, v80, vcc_lo
; %bb.112:
	s_or_b32 exec_lo, exec_lo, s2
	s_delay_alu instid0(VALU_DEP_1)
	v_perm_b32 v7, v8, v7, 0x7060302
	v_perm_b32 v6, v6, v5, 0x7060302
	;; [unrolled: 1-line block ×4, first 2 shown]
	v_lshl_or_b32 v9, v83, 4, v90
	s_barrier
	buffer_gl0_inv
	v_cmp_eq_u32_e32 vcc_lo, 1, v87
	ds_store_b128 v9, v[4:7]
	s_waitcnt lgkmcnt(0)
	s_barrier
	buffer_gl0_inv
	ds_load_b128 v[1:4], v90
	ds_load_b128 v[5:8], v90 offset:16
	v_cmp_eq_u32_e64 s3, 2, v87
	v_cmp_eq_u32_e64 s2, 1, v88
	;; [unrolled: 1-line block ×5, first 2 shown]
	s_waitcnt lgkmcnt(1)
	v_lshrrev_b32_e32 v10, 16, v1
	s_waitcnt lgkmcnt(0)
	v_lshrrev_b32_e32 v14, 16, v5
	v_lshrrev_b32_e32 v15, 16, v6
	v_lshrrev_b32_e32 v11, 16, v2
	v_lshrrev_b32_e32 v12, 16, v3
	v_cndmask_b32_e64 v20, v1, v10, s2
	v_cndmask_b32_e32 v19, v5, v14, vcc_lo
	v_cndmask_b32_e64 v21, v5, v14, s2
	v_lshrrev_b32_e32 v16, 16, v7
	v_cmp_eq_u32_e64 s2, 1, v86
	v_lshrrev_b32_e32 v13, 16, v4
	v_cndmask_b32_e64 v19, v19, v6, s3
	v_lshrrev_b32_e32 v17, 16, v8
	s_delay_alu instid0(VALU_DEP_4) | instskip(SKIP_1) | instid1(VALU_DEP_4)
	v_cndmask_b32_e64 v22, v1, v10, s2
	v_cndmask_b32_e64 v23, v5, v14, s2
	v_cndmask_b32_e64 v19, v19, v15, s4
	v_cndmask_b32_e32 v18, v1, v10, vcc_lo
	v_cmp_eq_u32_e32 vcc_lo, 2, v88
	v_cmp_eq_u32_e64 s2, 2, v89
	v_cndmask_b32_e64 v22, v22, v2, s6
	v_cndmask_b32_e32 v20, v20, v2, vcc_lo
	v_cndmask_b32_e32 v21, v21, v6, vcc_lo
	v_cmp_eq_u32_e32 vcc_lo, 4, v87
	v_cndmask_b32_e32 v19, v19, v7, vcc_lo
	v_cndmask_b32_e64 v18, v18, v2, s3
	v_cmp_eq_u32_e64 s3, 3, v88
	s_delay_alu instid0(VALU_DEP_2) | instskip(NEXT) | instid1(VALU_DEP_2)
	v_cndmask_b32_e64 v18, v18, v11, s4
	v_cndmask_b32_e64 v21, v21, v15, s3
	v_cmp_eq_u32_e64 s4, 5, v87
	s_delay_alu instid0(VALU_DEP_3) | instskip(SKIP_1) | instid1(VALU_DEP_3)
	v_cndmask_b32_e32 v18, v18, v3, vcc_lo
	v_cmp_eq_u32_e32 vcc_lo, 4, v88
	v_cndmask_b32_e64 v19, v19, v16, s4
	s_delay_alu instid0(VALU_DEP_3) | instskip(SKIP_4) | instid1(VALU_DEP_3)
	v_cndmask_b32_e64 v18, v18, v12, s4
	v_cndmask_b32_e32 v21, v21, v7, vcc_lo
	v_cndmask_b32_e64 v20, v20, v11, s3
	v_cmp_eq_u32_e64 s3, 5, v88
	v_cmp_eq_u32_e64 s4, 6, v87
	v_cndmask_b32_e32 v20, v20, v3, vcc_lo
	s_delay_alu instid0(VALU_DEP_3) | instskip(SKIP_1) | instid1(VALU_DEP_4)
	v_cndmask_b32_e64 v21, v21, v16, s3
	v_cmp_eq_u32_e32 vcc_lo, 6, v88
	v_cndmask_b32_e64 v18, v18, v4, s4
	v_cndmask_b32_e64 v19, v19, v8, s4
	;; [unrolled: 1-line block ×3, first 2 shown]
	v_cmp_eq_u32_e64 s3, 1, v89
	v_cmp_eq_u32_e64 s4, 7, v87
	s_delay_alu instid0(VALU_DEP_3) | instskip(NEXT) | instid1(VALU_DEP_3)
	v_cndmask_b32_e32 v20, v20, v4, vcc_lo
	v_cndmask_b32_e64 v1, v1, v10, s3
	v_cndmask_b32_e64 v5, v5, v14, s3
	v_cmp_eq_u32_e64 s3, 3, v86
	v_cndmask_b32_e64 v14, v23, v6, s6
	v_cmp_eq_u32_e64 s6, 3, v89
	v_cndmask_b32_e64 v1, v1, v2, s2
	v_cndmask_b32_e64 v2, v5, v6, s2
	;; [unrolled: 1-line block ×3, first 2 shown]
	v_cmp_eq_u32_e64 s2, 4, v86
	v_cndmask_b32_e64 v6, v14, v15, s3
	v_cndmask_b32_e64 v1, v1, v11, s6
	v_cmp_eq_u32_e64 s3, 4, v89
	v_cndmask_b32_e64 v2, v2, v15, s6
	v_cndmask_b32_e64 v5, v10, v3, s2
	;; [unrolled: 3-line block ×3, first 2 shown]
	v_cndmask_b32_e64 v2, v2, v7, s3
	v_cmp_eq_u32_e64 s2, 5, v89
	v_cndmask_b32_e64 v5, v5, v12, s6
	v_cmp_eq_u32_e64 s3, 6, v86
	v_cndmask_b32_e64 v3, v6, v16, s6
	v_cmp_eq_u32_e64 s6, 6, v89
	v_cndmask_b32_e64 v1, v1, v12, s2
	v_cndmask_b32_e64 v2, v2, v16, s2
	;; [unrolled: 1-line block ×4, first 2 shown]
	v_cmp_eq_u32_e64 s2, 7, v89
	v_cndmask_b32_e64 v1, v1, v4, s6
	v_cndmask_b32_e64 v2, v2, v8, s6
	v_cmp_eq_u32_e64 s3, 7, v86
	v_cndmask_b32_e32 v4, v21, v8, vcc_lo
	v_cndmask_b32_e64 v18, v18, v13, s4
	v_cndmask_b32_e64 v20, v20, v13, s5
	v_cndmask_b32_e64 v1, v1, v13, s2
	v_cndmask_b32_e64 v5, v5, v13, s3
	v_cndmask_b32_e64 v2, v2, v17, s2
	v_cndmask_b32_e64 v3, v3, v17, s3
	v_cndmask_b32_e64 v6, v4, v17, s5
	v_cndmask_b32_e64 v7, v19, v17, s4
	s_mov_b32 s2, exec_lo
	v_perm_b32 v4, v2, v1, 0x5040100
	v_perm_b32 v3, v3, v5, 0x5040100
	;; [unrolled: 1-line block ×4, first 2 shown]
	ds_store_b128 v9, v[1:4]
	s_waitcnt lgkmcnt(0)
	s_barrier
	buffer_gl0_inv
	v_cmpx_gt_u32_e32 32, v0
	s_cbranch_execz .LBB763_2
; %bb.113:
	s_load_b64 s[0:1], s[0:1], 0x68
	v_lshlrev_b32_e32 v0, 10, v0
	s_lshl_b32 s4, s34, 7
	v_or_b32_e32 v3, s29, v83
	s_mul_i32 s2, s4, s30
	v_lshlrev_b32_e32 v1, 4, v84
	v_lshlrev_b32_e32 v2, 6, v83
	v_and_b32_e32 v0, 0x3800, v0
	s_mul_i32 s2, s2, s7
	v_mul_lo_u32 v8, v3, s4
	s_ashr_i32 s3, s2, 31
	s_delay_alu instid0(SALU_CYCLE_1)
	s_lshl_b64 s[2:3], s[2:3], 1
	v_or3_b32 v16, v0, v1, v2
	ds_load_b128 v[0:3], v16
	ds_load_b128 v[4:7], v16 offset:128
	v_ashrrev_i32_e32 v9, 31, v8
	s_waitcnt lgkmcnt(0)
	s_add_u32 s2, s0, s2
	s_addc_u32 s3, s1, s3
	s_lshl_b32 s0, s14, 7
	s_delay_alu instid0(SALU_CYCLE_1) | instskip(SKIP_2) | instid1(SALU_CYCLE_1)
	s_ashr_i32 s1, s0, 31
	v_lshlrev_b64 v[9:10], 1, v[8:9]
	s_lshl_b64 s[0:1], s[0:1], 1
	s_add_u32 s0, s2, s0
	s_addc_u32 s1, s3, s1
	s_lshl_b32 s2, s34, 8
	v_add_co_u32 v30, vcc_lo, s0, v81
	v_add_nc_u32_e32 v11, s2, v8
	v_add_co_ci_u32_e32 v31, vcc_lo, s1, v82, vcc_lo
	s_delay_alu instid0(VALU_DEP_3) | instskip(NEXT) | instid1(VALU_DEP_3)
	v_add_co_u32 v9, vcc_lo, v30, v9
	v_add_nc_u32_e32 v8, s2, v11
	s_delay_alu instid0(VALU_DEP_3) | instskip(SKIP_1) | instid1(VALU_DEP_3)
	v_add_co_ci_u32_e32 v10, vcc_lo, v31, v10, vcc_lo
	v_ashrrev_i32_e32 v12, 31, v11
	v_add_nc_u32_e32 v13, s2, v8
	global_store_b128 v[9:10], v[0:3], off
	v_ashrrev_i32_e32 v9, 31, v8
	v_lshlrev_b64 v[11:12], 1, v[11:12]
	v_ashrrev_i32_e32 v14, 31, v13
	v_add_nc_u32_e32 v10, s2, v13
	s_delay_alu instid0(VALU_DEP_4) | instskip(NEXT) | instid1(VALU_DEP_4)
	v_lshlrev_b64 v[2:3], 1, v[8:9]
	v_add_co_u32 v0, vcc_lo, v30, v11
	s_delay_alu instid0(VALU_DEP_4)
	v_lshlrev_b64 v[8:9], 1, v[13:14]
	v_add_co_ci_u32_e32 v1, vcc_lo, v31, v12, vcc_lo
	v_ashrrev_i32_e32 v11, 31, v10
	v_add_co_u32 v22, vcc_lo, v30, v2
	v_add_nc_u32_e32 v20, s2, v10
	v_add_co_ci_u32_e32 v23, vcc_lo, v31, v3, vcc_lo
	v_add_co_u32 v24, vcc_lo, v30, v8
	global_store_b128 v[0:1], v[4:7], off
	v_add_co_ci_u32_e32 v25, vcc_lo, v31, v9, vcc_lo
	ds_load_b128 v[0:3], v16 offset:256
	ds_load_b128 v[4:7], v16 offset:384
	v_lshlrev_b64 v[26:27], 1, v[10:11]
	ds_load_b128 v[8:11], v16 offset:512
	ds_load_b128 v[12:15], v16 offset:640
	;; [unrolled: 1-line block ×3, first 2 shown]
	v_add_nc_u32_e32 v28, s2, v20
	v_ashrrev_i32_e32 v21, 31, v20
	v_add_co_u32 v26, vcc_lo, v30, v26
	s_delay_alu instid0(VALU_DEP_3) | instskip(NEXT) | instid1(VALU_DEP_3)
	v_ashrrev_i32_e32 v29, 31, v28
	v_lshlrev_b64 v[20:21], 1, v[20:21]
	v_add_co_ci_u32_e32 v27, vcc_lo, v31, v27, vcc_lo
	s_delay_alu instid0(VALU_DEP_3) | instskip(NEXT) | instid1(VALU_DEP_3)
	v_lshlrev_b64 v[28:29], 1, v[28:29]
	v_add_co_u32 v20, vcc_lo, v30, v20
	s_delay_alu instid0(VALU_DEP_4) | instskip(NEXT) | instid1(VALU_DEP_3)
	v_add_co_ci_u32_e32 v21, vcc_lo, v31, v21, vcc_lo
	v_add_co_u32 v28, vcc_lo, v30, v28
	s_delay_alu instid0(VALU_DEP_4)
	v_add_co_ci_u32_e32 v29, vcc_lo, v31, v29, vcc_lo
	s_waitcnt lgkmcnt(4)
	global_store_b128 v[22:23], v[0:3], off
	s_waitcnt lgkmcnt(3)
	global_store_b128 v[24:25], v[4:7], off
	;; [unrolled: 2-line block ×5, first 2 shown]
	s_nop 0
	s_sendmsg sendmsg(MSG_DEALLOC_VGPRS)
	s_endpgm
	.section	.rodata,"a",@progbits
	.p2align	6, 0x0
	.amdhsa_kernel _Z39paged_attention_ll4mi_QKV_mfma16_kernelI14__hip_bfloat16S0_LN4vllm18Fp8KVCacheDataTypeE0ES0_Li32ELi128ELi256ELb0ELi14EL8MFMAType0EEvPKT_PKT0_S9_ifPKiSB_SB_iPKfiiiPfSE_PS4_PT2_iSD_SD_
		.amdhsa_group_segment_fixed_size 17472
		.amdhsa_private_segment_fixed_size 0
		.amdhsa_kernarg_size 400
		.amdhsa_user_sgpr_count 13
		.amdhsa_user_sgpr_dispatch_ptr 0
		.amdhsa_user_sgpr_queue_ptr 0
		.amdhsa_user_sgpr_kernarg_segment_ptr 1
		.amdhsa_user_sgpr_dispatch_id 0
		.amdhsa_user_sgpr_private_segment_size 0
		.amdhsa_wavefront_size32 1
		.amdhsa_uses_dynamic_stack 0
		.amdhsa_enable_private_segment 0
		.amdhsa_system_sgpr_workgroup_id_x 1
		.amdhsa_system_sgpr_workgroup_id_y 1
		.amdhsa_system_sgpr_workgroup_id_z 1
		.amdhsa_system_sgpr_workgroup_info 0
		.amdhsa_system_vgpr_workitem_id 0
		.amdhsa_next_free_vgpr 157
		.amdhsa_next_free_sgpr 40
		.amdhsa_reserve_vcc 1
		.amdhsa_float_round_mode_32 0
		.amdhsa_float_round_mode_16_64 0
		.amdhsa_float_denorm_mode_32 3
		.amdhsa_float_denorm_mode_16_64 3
		.amdhsa_dx10_clamp 1
		.amdhsa_ieee_mode 1
		.amdhsa_fp16_overflow 0
		.amdhsa_workgroup_processor_mode 1
		.amdhsa_memory_ordered 1
		.amdhsa_forward_progress 0
		.amdhsa_shared_vgpr_count 0
		.amdhsa_exception_fp_ieee_invalid_op 0
		.amdhsa_exception_fp_denorm_src 0
		.amdhsa_exception_fp_ieee_div_zero 0
		.amdhsa_exception_fp_ieee_overflow 0
		.amdhsa_exception_fp_ieee_underflow 0
		.amdhsa_exception_fp_ieee_inexact 0
		.amdhsa_exception_int_div_zero 0
	.end_amdhsa_kernel
	.section	.text._Z39paged_attention_ll4mi_QKV_mfma16_kernelI14__hip_bfloat16S0_LN4vllm18Fp8KVCacheDataTypeE0ES0_Li32ELi128ELi256ELb0ELi14EL8MFMAType0EEvPKT_PKT0_S9_ifPKiSB_SB_iPKfiiiPfSE_PS4_PT2_iSD_SD_,"axG",@progbits,_Z39paged_attention_ll4mi_QKV_mfma16_kernelI14__hip_bfloat16S0_LN4vllm18Fp8KVCacheDataTypeE0ES0_Li32ELi128ELi256ELb0ELi14EL8MFMAType0EEvPKT_PKT0_S9_ifPKiSB_SB_iPKfiiiPfSE_PS4_PT2_iSD_SD_,comdat
.Lfunc_end763:
	.size	_Z39paged_attention_ll4mi_QKV_mfma16_kernelI14__hip_bfloat16S0_LN4vllm18Fp8KVCacheDataTypeE0ES0_Li32ELi128ELi256ELb0ELi14EL8MFMAType0EEvPKT_PKT0_S9_ifPKiSB_SB_iPKfiiiPfSE_PS4_PT2_iSD_SD_, .Lfunc_end763-_Z39paged_attention_ll4mi_QKV_mfma16_kernelI14__hip_bfloat16S0_LN4vllm18Fp8KVCacheDataTypeE0ES0_Li32ELi128ELi256ELb0ELi14EL8MFMAType0EEvPKT_PKT0_S9_ifPKiSB_SB_iPKfiiiPfSE_PS4_PT2_iSD_SD_
                                        ; -- End function
	.section	.AMDGPU.csdata,"",@progbits
; Kernel info:
; codeLenInByte = 9916
; NumSgprs: 42
; NumVgprs: 157
; ScratchSize: 0
; MemoryBound: 0
; FloatMode: 240
; IeeeMode: 1
; LDSByteSize: 17472 bytes/workgroup (compile time only)
; SGPRBlocks: 5
; VGPRBlocks: 19
; NumSGPRsForWavesPerEU: 42
; NumVGPRsForWavesPerEU: 157
; Occupancy: 9
; WaveLimiterHint : 1
; COMPUTE_PGM_RSRC2:SCRATCH_EN: 0
; COMPUTE_PGM_RSRC2:USER_SGPR: 13
; COMPUTE_PGM_RSRC2:TRAP_HANDLER: 0
; COMPUTE_PGM_RSRC2:TGID_X_EN: 1
; COMPUTE_PGM_RSRC2:TGID_Y_EN: 1
; COMPUTE_PGM_RSRC2:TGID_Z_EN: 1
; COMPUTE_PGM_RSRC2:TIDIG_COMP_CNT: 0
	.section	.text._Z39paged_attention_ll4mi_QKV_mfma16_kernelI14__hip_bfloat16S0_LN4vllm18Fp8KVCacheDataTypeE0ES0_Li32ELi128ELi256ELb0ELi15EL8MFMAType0EEvPKT_PKT0_S9_ifPKiSB_SB_iPKfiiiPfSE_PS4_PT2_iSD_SD_,"axG",@progbits,_Z39paged_attention_ll4mi_QKV_mfma16_kernelI14__hip_bfloat16S0_LN4vllm18Fp8KVCacheDataTypeE0ES0_Li32ELi128ELi256ELb0ELi15EL8MFMAType0EEvPKT_PKT0_S9_ifPKiSB_SB_iPKfiiiPfSE_PS4_PT2_iSD_SD_,comdat
	.protected	_Z39paged_attention_ll4mi_QKV_mfma16_kernelI14__hip_bfloat16S0_LN4vllm18Fp8KVCacheDataTypeE0ES0_Li32ELi128ELi256ELb0ELi15EL8MFMAType0EEvPKT_PKT0_S9_ifPKiSB_SB_iPKfiiiPfSE_PS4_PT2_iSD_SD_ ; -- Begin function _Z39paged_attention_ll4mi_QKV_mfma16_kernelI14__hip_bfloat16S0_LN4vllm18Fp8KVCacheDataTypeE0ES0_Li32ELi128ELi256ELb0ELi15EL8MFMAType0EEvPKT_PKT0_S9_ifPKiSB_SB_iPKfiiiPfSE_PS4_PT2_iSD_SD_
	.globl	_Z39paged_attention_ll4mi_QKV_mfma16_kernelI14__hip_bfloat16S0_LN4vllm18Fp8KVCacheDataTypeE0ES0_Li32ELi128ELi256ELb0ELi15EL8MFMAType0EEvPKT_PKT0_S9_ifPKiSB_SB_iPKfiiiPfSE_PS4_PT2_iSD_SD_
	.p2align	8
	.type	_Z39paged_attention_ll4mi_QKV_mfma16_kernelI14__hip_bfloat16S0_LN4vllm18Fp8KVCacheDataTypeE0ES0_Li32ELi128ELi256ELb0ELi15EL8MFMAType0EEvPKT_PKT0_S9_ifPKiSB_SB_iPKfiiiPfSE_PS4_PT2_iSD_SD_,@function
_Z39paged_attention_ll4mi_QKV_mfma16_kernelI14__hip_bfloat16S0_LN4vllm18Fp8KVCacheDataTypeE0ES0_Li32ELi128ELi256ELb0ELi15EL8MFMAType0EEvPKT_PKT0_S9_ifPKiSB_SB_iPKfiiiPfSE_PS4_PT2_iSD_SD_: ; @_Z39paged_attention_ll4mi_QKV_mfma16_kernelI14__hip_bfloat16S0_LN4vllm18Fp8KVCacheDataTypeE0ES0_Li32ELi128ELi256ELb0ELi15EL8MFMAType0EEvPKT_PKT0_S9_ifPKiSB_SB_iPKfiiiPfSE_PS4_PT2_iSD_SD_
; %bb.0:
	s_load_b64 s[2:3], s[0:1], 0x30
	s_mov_b32 s30, s13
	s_waitcnt lgkmcnt(0)
	s_cmp_lg_u64 s[2:3], 0
	s_cselect_b32 s6, -1, 0
	s_ashr_i32 s31, s13, 31
	s_cmp_eq_u64 s[2:3], 0
	s_cbranch_scc1 .LBB764_3
; %bb.1:
	s_lshl_b64 s[4:5], s[30:31], 2
	s_delay_alu instid0(SALU_CYCLE_1) | instskip(SKIP_4) | instid1(SALU_CYCLE_1)
	s_add_u32 s4, s2, s4
	s_addc_u32 s5, s3, s5
	s_load_b64 s[4:5], s[4:5], 0x0
	s_waitcnt lgkmcnt(0)
	s_sub_i32 s4, s5, s4
	s_cmp_eq_u32 s4, 1
	s_cselect_b32 s4, -1, 0
	s_delay_alu instid0(SALU_CYCLE_1)
	s_and_not1_b32 vcc_lo, exec_lo, s4
	s_cbranch_vccz .LBB764_4
.LBB764_2:
	s_nop 0
	s_sendmsg sendmsg(MSG_DEALLOC_VGPRS)
	s_endpgm
.LBB764_3:
.LBB764_4:
	s_load_b64 s[8:9], s[0:1], 0x28
	s_lshl_b64 s[4:5], s[30:31], 2
	s_waitcnt lgkmcnt(0)
	s_add_u32 s8, s8, s4
	s_addc_u32 s9, s9, s5
	s_lshl_b32 s12, s14, 8
	s_load_b32 s17, s[8:9], 0x0
	s_waitcnt lgkmcnt(0)
	s_cmp_ge_i32 s12, s17
	s_cbranch_scc1 .LBB764_2
; %bb.5:
	s_and_not1_b32 vcc_lo, exec_lo, s6
	s_cbranch_vccnz .LBB764_7
; %bb.6:
	s_add_u32 s2, s2, s4
	s_addc_u32 s3, s3, s5
	s_load_b32 s13, s[2:3], 0x0
	s_branch .LBB764_8
.LBB764_7:
	s_mov_b32 s13, s30
.LBB764_8:
	s_clause 0x2
	s_load_b128 s[8:11], s[0:1], 0x8
	s_load_b64 s[2:3], s[0:1], 0x20
	s_load_b128 s[4:7], s[0:1], 0x48
	v_lshrrev_b32_e32 v74, 5, v0
	v_bfe_u32 v83, v0, 4, 1
	v_and_b32_e32 v73, 15, v0
	s_waitcnt lgkmcnt(0)
	s_mov_b32 s7, exec_lo
	s_delay_alu instid0(VALU_DEP_2) | instskip(NEXT) | instid1(VALU_DEP_2)
	v_lshl_or_b32 v3, v74, 1, v83
	v_lshlrev_b32_e32 v1, 3, v73
	s_delay_alu instid0(VALU_DEP_2)
	v_cmpx_lt_u32_e32 14, v3
	s_xor_b32 s7, exec_lo, s7
; %bb.9:
	v_mov_b32_e32 v2, 0
                                        ; implicit-def: $vgpr3
; %bb.10:
	s_or_saveexec_b32 s7, s7
	v_and_b32_e32 v75, 31, v0
	v_and_b32_e32 v84, 1, v0
	s_mul_i32 s31, s15, 15
	s_xor_b32 exec_lo, exec_lo, s7
	s_cbranch_execz .LBB764_12
; %bb.11:
	s_load_b64 s[18:19], s[0:1], 0x0
	v_add_lshl_u32 v4, v3, s31, 7
	s_mul_hi_i32 s21, s13, s4
	s_mul_i32 s20, s13, s4
	v_lshlrev_b32_e32 v2, 1, v1
	s_lshl_b64 s[20:21], s[20:21], 1
	v_ashrrev_i32_e32 v5, 31, v4
	v_lshlrev_b32_e32 v3, 6, v3
	v_lshlrev_b32_e32 v8, 10, v84
	s_delay_alu instid0(VALU_DEP_3) | instskip(SKIP_3) | instid1(VALU_DEP_1)
	v_lshlrev_b64 v[4:5], 1, v[4:5]
	s_waitcnt lgkmcnt(0)
	s_add_u32 s4, s18, s20
	s_addc_u32 s13, s19, s21
	v_add_co_u32 v4, vcc_lo, s4, v4
	s_delay_alu instid0(VALU_DEP_2) | instskip(NEXT) | instid1(VALU_DEP_2)
	v_add_co_ci_u32_e32 v5, vcc_lo, s13, v5, vcc_lo
	v_add_co_u32 v4, vcc_lo, v4, v2
	s_delay_alu instid0(VALU_DEP_2) | instskip(SKIP_3) | instid1(VALU_DEP_1)
	v_add_co_ci_u32_e32 v5, vcc_lo, 0, v5, vcc_lo
	v_lshlrev_b32_e32 v2, 10, v73
	global_load_b128 v[4:7], v[4:5], off
	v_and_b32_e32 v2, 0x3800, v2
	v_or3_b32 v3, v2, v8, v3
	v_mov_b32_e32 v2, 0
	s_waitcnt vmcnt(0)
	ds_store_b128 v3, v[4:7]
.LBB764_12:
	s_or_b32 exec_lo, exec_lo, s7
	v_and_b32_e32 v3, 0xef, v0
	s_add_i32 s4, s17, 31
	s_clause 0x1
	s_load_b32 s7, s[0:1], 0x38
	s_load_b32 s18, s[0:1], 0x1c
	s_ashr_i32 s13, s4, 31
	v_add_nc_u32_e32 v3, s12, v3
	s_lshr_b32 s13, s13, 27
	s_waitcnt lgkmcnt(0)
	s_add_i32 s4, s4, s13
	s_barrier
	v_ashrrev_i32_e32 v4, 31, v3
	v_cmp_gt_i32_e32 vcc_lo, s17, v3
	s_ashr_i32 s4, s4, 5
	buffer_gl0_inv
	s_add_i32 s4, s4, -1
	v_lshrrev_b32_e32 v5, 27, v4
	v_or_b32_e32 v4, 16, v3
	v_lshlrev_b64 v[81:82], 1, v[1:2]
	s_delay_alu instid0(VALU_DEP_3) | instskip(NEXT) | instid1(VALU_DEP_3)
	v_add_nc_u32_e32 v6, v3, v5
	v_add_nc_u32_e32 v5, v4, v5
	s_mul_i32 s20, s30, s7
	s_delay_alu instid0(SALU_CYCLE_1) | instskip(NEXT) | instid1(VALU_DEP_2)
	s_ashr_i32 s21, s20, 31
	v_ashrrev_i32_e32 v6, 5, v6
	s_delay_alu instid0(VALU_DEP_2) | instskip(SKIP_1) | instid1(SALU_CYCLE_1)
	v_ashrrev_i32_e32 v5, 5, v5
	s_lshl_b64 s[20:21], s[20:21], 2
	s_add_u32 s7, s2, s20
	s_delay_alu instid0(VALU_DEP_2) | instskip(SKIP_3) | instid1(SALU_CYCLE_1)
	v_cndmask_b32_e32 v3, s4, v6, vcc_lo
	v_cmp_gt_i32_e32 vcc_lo, s17, v4
	s_addc_u32 s13, s3, s21
	s_mul_i32 s2, s15, s6
	s_ashr_i32 s3, s2, 31
	v_cndmask_b32_e32 v5, s4, v5, vcc_lo
	v_ashrrev_i32_e32 v4, 31, v3
	s_lshl_b64 s[2:3], s[2:3], 1
	s_delay_alu instid0(SALU_CYCLE_1) | instskip(NEXT) | instid1(VALU_DEP_2)
	s_add_u32 s6, s8, s2
	v_ashrrev_i32_e32 v6, 31, v5
	s_delay_alu instid0(VALU_DEP_2) | instskip(SKIP_2) | instid1(VALU_DEP_2)
	v_lshlrev_b64 v[3:4], 2, v[3:4]
	s_addc_u32 s15, s9, s3
	s_lshl_b32 s8, s14, 3
	v_lshlrev_b64 v[5:6], 2, v[5:6]
	s_ashr_i32 s9, s8, 31
	s_delay_alu instid0(VALU_DEP_2) | instskip(SKIP_1) | instid1(VALU_DEP_3)
	v_add_co_u32 v3, vcc_lo, s7, v3
	v_add_co_ci_u32_e32 v4, vcc_lo, s13, v4, vcc_lo
	v_add_co_u32 v5, vcc_lo, s7, v5
	s_delay_alu instid0(VALU_DEP_4)
	v_add_co_ci_u32_e32 v6, vcc_lo, s13, v6, vcc_lo
	s_lshl_b64 s[8:9], s[8:9], 2
	s_clause 0x1
	global_load_b32 v7, v[3:4], off
	global_load_b32 v8, v[5:6], off
	s_add_u32 s8, s7, s8
	s_addc_u32 s9, s13, s9
	s_or_b32 s16, s12, 32
	s_delay_alu instid0(SALU_CYCLE_1) | instskip(SKIP_2) | instid1(SALU_CYCLE_1)
	s_ashr_i32 s19, s16, 5
	s_cmp_lt_i32 s16, s17
	s_cselect_b32 s20, s19, s4
	s_ashr_i32 s21, s20, 31
	s_delay_alu instid0(SALU_CYCLE_1) | instskip(NEXT) | instid1(SALU_CYCLE_1)
	s_lshl_b64 s[20:21], s[20:21], 2
	s_add_u32 s20, s7, s20
	s_addc_u32 s21, s13, s21
	s_or_b32 s16, s12, 64
	s_delay_alu instid0(SALU_CYCLE_1) | instskip(SKIP_2) | instid1(SALU_CYCLE_1)
	s_ashr_i32 s19, s16, 5
	s_cmp_lt_i32 s16, s17
	s_cselect_b32 s22, s19, s4
	s_ashr_i32 s23, s22, 31
	s_delay_alu instid0(SALU_CYCLE_1) | instskip(NEXT) | instid1(SALU_CYCLE_1)
	s_lshl_b64 s[22:23], s[22:23], 2
	;; [unrolled: 10-line block ×5, first 2 shown]
	s_add_u32 s28, s7, s28
	s_addc_u32 s29, s13, s29
	s_clause 0x5
	s_load_b32 s16, s[8:9], 0x0
	s_load_b32 s19, s[20:21], 0x0
	s_load_b32 s33, s[22:23], 0x0
	s_load_b32 s34, s[24:25], 0x0
	s_load_b32 s35, s[26:27], 0x0
	s_load_b32 s36, s[28:29], 0x0
	s_mov_b32 s20, 0
	s_delay_alu instid0(SALU_CYCLE_1)
	s_mov_b32 s27, s20
	s_mov_b32 s21, s20
	;; [unrolled: 1-line block ×7, first 2 shown]
	s_delay_alu instid0(SALU_CYCLE_1)
	v_dual_mov_b32 v108, s27 :: v_dual_mov_b32 v107, s26
	v_dual_mov_b32 v106, s25 :: v_dual_mov_b32 v105, s24
	;; [unrolled: 1-line block ×4, first 2 shown]
	s_waitcnt lgkmcnt(0)
	s_mul_hi_i32 s29, s34, s5
	s_mul_i32 s28, s34, s5
	s_mul_hi_i32 s21, s16, s5
	s_mul_i32 s20, s16, s5
	;; [unrolled: 2-line block ×5, first 2 shown]
	s_waitcnt vmcnt(1)
	v_mad_i64_i32 v[3:4], null, v7, s5, 0
	s_waitcnt vmcnt(0)
	v_mad_i64_i32 v[5:6], null, v8, s5, 0
	s_delay_alu instid0(VALU_DEP_2) | instskip(NEXT) | instid1(VALU_DEP_2)
	v_lshlrev_b64 v[3:4], 1, v[3:4]
	v_lshlrev_b64 v[1:2], 1, v[5:6]
	s_delay_alu instid0(VALU_DEP_2) | instskip(NEXT) | instid1(VALU_DEP_3)
	v_add_co_u32 v3, vcc_lo, s6, v3
	v_add_co_ci_u32_e32 v4, vcc_lo, s15, v4, vcc_lo
	s_delay_alu instid0(VALU_DEP_3) | instskip(NEXT) | instid1(VALU_DEP_4)
	v_add_co_u32 v1, vcc_lo, s6, v1
	v_add_co_ci_u32_e32 v2, vcc_lo, s15, v2, vcc_lo
	s_delay_alu instid0(VALU_DEP_4) | instskip(NEXT) | instid1(VALU_DEP_4)
	v_add_co_u32 v65, vcc_lo, v3, v81
	v_add_co_ci_u32_e32 v66, vcc_lo, v4, v82, vcc_lo
	s_delay_alu instid0(VALU_DEP_4) | instskip(NEXT) | instid1(VALU_DEP_4)
	v_add_co_u32 v76, vcc_lo, v1, v81
	v_add_co_ci_u32_e32 v77, vcc_lo, v2, v82, vcc_lo
	s_clause 0xf
	global_load_b128 v[1:4], v[65:66], off
	global_load_b128 v[5:8], v[65:66], off offset:512
	global_load_b128 v[9:12], v[76:77], off offset:256
	;; [unrolled: 1-line block ×15, first 2 shown]
	v_add_co_u32 v78, vcc_lo, 0x1000, v65
	v_add_co_ci_u32_e32 v79, vcc_lo, 0, v66, vcc_lo
	v_cmp_ne_u32_e32 vcc_lo, 15, v73
	s_clause 0x1
	global_load_b128 v[65:68], v[78:79], off
	global_load_b128 v[69:72], v[78:79], off offset:512
	s_or_b32 s6, s12, 0xc0
	v_cndmask_b32_e32 v80, 0, v73, vcc_lo
	v_add_co_u32 v76, vcc_lo, 0x1000, v76
	v_add_co_ci_u32_e32 v77, vcc_lo, 0, v77, vcc_lo
	s_delay_alu instid0(VALU_DEP_3)
	v_lshlrev_b32_e32 v80, 6, v80
	ds_load_b128 v[85:88], v80
	ds_load_b128 v[89:92], v80 offset:1024
	s_clause 0x1
	global_load_b128 v[93:96], v[76:77], off offset:256
	global_load_b128 v[97:100], v[76:77], off offset:768
	ds_load_b128 v[109:112], v80 offset:2048
	ds_load_b128 v[113:116], v80 offset:3072
	s_ashr_i32 s8, s6, 5
	s_cmp_lt_i32 s6, s17
	s_cselect_b32 s8, s8, s4
	s_delay_alu instid0(SALU_CYCLE_1) | instskip(NEXT) | instid1(SALU_CYCLE_1)
	s_ashr_i32 s9, s8, 31
	s_lshl_b64 s[8:9], s[8:9], 2
	s_delay_alu instid0(SALU_CYCLE_1) | instskip(SKIP_2) | instid1(SALU_CYCLE_1)
	s_add_u32 s8, s7, s8
	s_addc_u32 s9, s13, s9
	s_or_b32 s6, s12, 0xe0
	s_ashr_i32 s15, s6, 5
	s_cmp_lt_i32 s6, s17
	s_cselect_b32 s24, s15, s4
	s_delay_alu instid0(SALU_CYCLE_1) | instskip(NEXT) | instid1(SALU_CYCLE_1)
	s_ashr_i32 s25, s24, 31
	s_lshl_b64 s[24:25], s[24:25], 2
	s_delay_alu instid0(SALU_CYCLE_1) | instskip(SKIP_2) | instid1(SALU_CYCLE_1)
	s_add_u32 s24, s7, s24
	s_addc_u32 s25, s13, s25
	s_add_i32 s6, s12, 0x100
	s_ashr_i32 s15, s6, 5
	s_cmp_lt_i32 s6, s17
	s_cselect_b32 s34, s15, s4
	s_waitcnt vmcnt(18) lgkmcnt(2)
	v_wmma_f32_16x16x16_bf16 v[117:124], v[1:8], v[85:92], v[101:108]
	s_waitcnt vmcnt(16)
	v_wmma_f32_16x16x16_bf16 v[101:108], v[9:16], v[85:92], v[101:108]
	s_clause 0x3
	global_load_b128 v[1:4], v[78:79], off offset:1024
	global_load_b128 v[5:8], v[78:79], off offset:1536
	;; [unrolled: 1-line block ×4, first 2 shown]
	s_waitcnt vmcnt(18) lgkmcnt(0)
	v_wmma_f32_16x16x16_bf16 v[117:124], v[17:24], v[109:116], v[117:124]
	s_clause 0x1
	global_load_b128 v[17:20], v[78:79], off offset:2048
	global_load_b128 v[21:24], v[78:79], off offset:2560
	s_waitcnt vmcnt(18)
	v_wmma_f32_16x16x16_bf16 v[101:108], v[25:32], v[109:116], v[101:108]
	ds_load_b128 v[25:28], v80 offset:4096
	ds_load_b128 v[29:32], v80 offset:5120
	s_clause 0x5
	global_load_b128 v[109:112], v[76:77], off offset:2304
	global_load_b128 v[113:116], v[76:77], off offset:2816
	;; [unrolled: 1-line block ×6, first 2 shown]
	s_waitcnt vmcnt(22) lgkmcnt(0)
	v_wmma_f32_16x16x16_bf16 v[117:124], v[33:40], v[25:32], v[117:124]
	s_waitcnt vmcnt(20)
	v_wmma_f32_16x16x16_bf16 v[101:108], v[41:48], v[25:32], v[101:108]
	ds_load_b128 v[25:28], v80 offset:6144
	ds_load_b128 v[29:32], v80 offset:7168
	;; [unrolled: 1-line block ×4, first 2 shown]
	s_waitcnt vmcnt(18) lgkmcnt(2)
	v_wmma_f32_16x16x16_bf16 v[117:124], v[49:56], v[25:32], v[117:124]
	s_waitcnt vmcnt(16)
	v_wmma_f32_16x16x16_bf16 v[101:108], v[57:64], v[25:32], v[101:108]
	ds_load_b128 v[25:28], v80 offset:10240
	ds_load_b128 v[29:32], v80 offset:11264
	;; [unrolled: 1-line block ×6, first 2 shown]
	s_waitcnt vmcnt(14) lgkmcnt(6)
	v_wmma_f32_16x16x16_bf16 v[117:124], v[65:72], v[33:40], v[117:124]
	s_load_b32 s16, s[8:9], 0x0
	s_mul_hi_i32 s9, s35, s5
	s_mul_i32 s8, s35, s5
	s_ashr_i32 s35, s34, 31
	s_waitcnt vmcnt(12)
	v_wmma_f32_16x16x16_bf16 v[101:108], v[93:100], v[33:40], v[101:108]
	s_lshl_b64 s[34:35], s[34:35], 2
	s_delay_alu instid0(SALU_CYCLE_1)
	s_add_u32 s6, s7, s34
	s_addc_u32 s7, s13, s35
	s_add_u32 s4, s10, s2
	s_addc_u32 s19, s11, s3
	s_lshl_b64 s[2:3], s[20:21], 1
	s_clause 0x1
	s_load_b32 s13, s[24:25], 0x0
	s_load_b32 s15, s[6:7], 0x0
	s_lshl_b64 s[6:7], s[22:23], 1
	s_lshl_b64 s[10:11], s[26:27], 1
	;; [unrolled: 1-line block ×5, first 2 shown]
	s_waitcnt lgkmcnt(0)
	s_mul_hi_i32 s25, s16, s5
	s_mul_i32 s24, s16, s5
	s_waitcnt vmcnt(10)
	v_wmma_f32_16x16x16_bf16 v[117:124], v[1:8], v[25:32], v[117:124]
	s_waitcnt vmcnt(8)
	v_wmma_f32_16x16x16_bf16 v[101:108], v[9:16], v[25:32], v[101:108]
	s_waitcnt vmcnt(6)
	s_delay_alu instid0(VALU_DEP_2) | instskip(SKIP_1) | instid1(VALU_DEP_2)
	v_wmma_f32_16x16x16_bf16 v[117:124], v[17:24], v[141:148], v[117:124]
	s_waitcnt vmcnt(4)
	v_wmma_f32_16x16x16_bf16 v[101:108], v[109:116], v[141:148], v[101:108]
	s_waitcnt vmcnt(2)
	s_delay_alu instid0(VALU_DEP_2) | instskip(SKIP_3) | instid1(VALU_DEP_3)
	v_wmma_f32_16x16x16_bf16 v[117:124], v[125:132], v[149:156], v[117:124]
	v_lshlrev_b32_e32 v85, 6, v73
	s_waitcnt vmcnt(0)
	v_wmma_f32_16x16x16_bf16 v[101:108], v[133:140], v[149:156], v[101:108]
	v_mul_f32_e32 v100, s18, v124
	s_delay_alu instid0(VALU_DEP_3) | instskip(SKIP_2) | instid1(VALU_DEP_3)
	v_lshl_or_b32 v41, v74, 10, v85
	v_mul_f32_e32 v97, s18, v117
	v_mul_f32_e32 v99, s18, v118
	v_add_co_u32 v76, s4, s4, v41
	s_delay_alu instid0(VALU_DEP_1) | instskip(NEXT) | instid1(VALU_DEP_2)
	v_add_co_ci_u32_e64 v77, null, s19, 0, s4
	v_add_co_u32 v41, vcc_lo, v76, s2
	s_delay_alu instid0(VALU_DEP_2)
	v_add_co_ci_u32_e32 v42, vcc_lo, s3, v77, vcc_lo
	v_add_co_u32 v33, vcc_lo, v76, s6
	v_add_co_ci_u32_e32 v34, vcc_lo, s7, v77, vcc_lo
	v_add_co_u32 v35, vcc_lo, v76, s10
	;; [unrolled: 2-line block ×5, first 2 shown]
	s_lshl_b64 s[2:3], s[24:25], 1
	v_add_co_ci_u32_e32 v6, vcc_lo, s23, v77, vcc_lo
	s_mul_hi_i32 s7, s13, s5
	s_mul_i32 s6, s13, s5
	v_add_co_u32 v17, vcc_lo, v76, s2
	v_add_co_ci_u32_e32 v18, vcc_lo, s3, v77, vcc_lo
	s_lshl_b64 s[2:3], s[6:7], 1
	s_mul_hi_i32 s7, s15, s5
	s_mul_i32 s6, s15, s5
	v_add_co_u32 v19, vcc_lo, v76, s2
	v_add_co_ci_u32_e32 v20, vcc_lo, s3, v77, vcc_lo
	s_lshl_b64 s[2:3], s[6:7], 1
	s_clause 0x1
	global_load_b128 v[65:68], v[41:42], off
	global_load_b128 v[69:72], v[41:42], off offset:16
	v_add_co_u32 v21, vcc_lo, v76, s2
	v_add_co_ci_u32_e32 v22, vcc_lo, s3, v77, vcc_lo
	s_clause 0xf
	global_load_b128 v[57:60], v[33:34], off
	global_load_b128 v[61:64], v[33:34], off offset:16
	global_load_b128 v[49:52], v[35:36], off
	global_load_b128 v[53:56], v[35:36], off offset:16
	;; [unrolled: 2-line block ×8, first 2 shown]
	v_mbcnt_lo_u32_b32 v77, -1, 0
	v_and_b32_e32 v76, 0xe0, v0
	s_waitcnt vmcnt(0)
	s_barrier
	buffer_gl0_inv
	v_xor_b32_e32 v78, 16, v77
	s_delay_alu instid0(VALU_DEP_1) | instskip(SKIP_1) | instid1(VALU_DEP_1)
	v_cmp_gt_i32_e32 vcc_lo, 32, v78
	v_dual_cndmask_b32 v77, v77, v78 :: v_dual_add_nc_u32 v76, s12, v76
	v_or_b32_e32 v76, v76, v83
	s_delay_alu instid0(VALU_DEP_1)
	v_or_b32_e32 v78, 2, v76
	v_or_b32_e32 v79, 4, v76
	;; [unrolled: 1-line block ×3, first 2 shown]
	v_cmp_gt_i32_e32 vcc_lo, s17, v76
	v_or_b32_e32 v86, 8, v76
	v_cmp_gt_i32_e64 s2, s17, v78
	v_or_b32_e32 v87, 10, v76
	v_or_b32_e32 v88, 12, v76
	;; [unrolled: 1-line block ×11, first 2 shown]
	v_cndmask_b32_e64 v78, 0xff7fffff, v99, s2
	v_mul_f32_e32 v99, s18, v120
	v_cmp_gt_i32_e64 s3, s17, v80
	v_mul_f32_e32 v80, s18, v119
	v_cndmask_b32_e32 v76, 0xff7fffff, v97, vcc_lo
	v_cmp_gt_i32_e64 s4, s17, v79
	v_mul_f32_e32 v79, s18, v122
	v_cmp_gt_i32_e64 s5, s17, v86
	v_cmp_gt_i32_e64 s6, s17, v87
	v_max3_f32 v76, v76, 0xff7fffff, v78
	v_mul_f32_e32 v78, s18, v121
	v_cndmask_b32_e64 v80, 0xff7fffff, v80, s4
	v_mul_f32_e32 v86, s18, v107
	v_cndmask_b32_e64 v99, 0xff7fffff, v99, s3
	v_mul_f32_e32 v97, s18, v123
	v_cndmask_b32_e64 v78, 0xff7fffff, v78, s5
	v_cndmask_b32_e64 v79, 0xff7fffff, v79, s6
	v_cmp_gt_i32_e64 s7, s17, v89
	v_max3_f32 v76, v76, v80, v99
	v_mul_f32_e32 v80, s18, v108
	v_cmp_gt_i32_e64 s8, s17, v88
	v_dual_mul_f32 v99, s18, v105 :: v_dual_mul_f32 v88, s18, v102
	s_delay_alu instid0(VALU_DEP_4) | instskip(SKIP_1) | instid1(VALU_DEP_4)
	v_max3_f32 v76, v76, v78, v79
	v_mul_f32_e32 v89, s18, v101
	v_cndmask_b32_e64 v97, 0xff7fffff, v97, s8
	v_cndmask_b32_e64 v100, 0xff7fffff, v100, s7
	v_cmp_gt_i32_e64 s9, s17, v90
	v_cmp_gt_i32_e64 s10, s17, v91
	v_dual_mul_f32 v78, s18, v104 :: v_dual_mul_f32 v79, s18, v103
	s_delay_alu instid0(VALU_DEP_4) | instskip(NEXT) | instid1(VALU_DEP_4)
	v_max3_f32 v76, v76, v97, v100
	v_cndmask_b32_e64 v89, 0xff7fffff, v89, s9
	s_delay_alu instid0(VALU_DEP_4)
	v_cndmask_b32_e64 v88, 0xff7fffff, v88, s10
	v_cmp_gt_i32_e64 s11, s17, v92
	v_cmp_gt_i32_e64 s12, s17, v93
	v_mul_f32_e32 v87, s18, v106
	v_cmp_gt_i32_e64 s13, s17, v94
	v_max3_f32 v76, v76, v89, v88
	v_cndmask_b32_e64 v79, 0xff7fffff, v79, s11
	v_cndmask_b32_e64 v78, 0xff7fffff, v78, s12
	v_cmp_gt_i32_e64 s15, s17, v95
	v_cndmask_b32_e64 v88, 0xff7fffff, v99, s13
	v_cmp_gt_i32_e64 s16, s17, v96
	v_cmp_gt_i32_e64 s17, s17, v98
	v_max3_f32 v76, v76, v79, v78
	v_cndmask_b32_e64 v87, 0xff7fffff, v87, s15
	v_lshlrev_b32_e32 v99, 2, v77
	v_cndmask_b32_e64 v78, 0xff7fffff, v86, s16
	v_cndmask_b32_e64 v79, 0xff7fffff, v80, s17
	s_delay_alu instid0(VALU_DEP_4) | instskip(NEXT) | instid1(VALU_DEP_1)
	v_max3_f32 v76, v76, v88, v87
	v_max3_f32 v76, v76, v78, v79
	ds_bpermute_b32 v77, v99, v76
	s_waitcnt lgkmcnt(0)
	v_max_f32_e32 v77, v77, v77
	s_delay_alu instid0(VALU_DEP_1) | instskip(NEXT) | instid1(VALU_DEP_1)
	v_max_f32_e32 v76, v76, v77
	v_fma_f32 v80, s18, v120, -v76
	v_fma_f32 v77, s18, v117, -v76
	;; [unrolled: 1-line block ×5, first 2 shown]
	v_mul_f32_e32 v80, 0x3fb8aa3b, v80
	v_fma_f32 v87, s18, v123, -v76
	v_mul_f32_e32 v78, 0x3fb8aa3b, v78
	v_fma_f32 v88, s18, v105, -v76
	v_mul_f32_e32 v86, 0x3fb8aa3b, v86
	v_exp_f32_e32 v80, v80
	v_fma_f32 v90, s18, v107, -v76
	v_exp_f32_e32 v78, v78
	v_fma_f32 v100, s18, v108, -v76
	v_exp_f32_e32 v86, v86
	v_mul_f32_e32 v88, 0x3fb8aa3b, v88
	s_delay_alu instid0(VALU_DEP_2) | instskip(NEXT) | instid1(TRANS32_DEP_3)
	v_mul_f32_e32 v100, 0x3fb8aa3b, v100
	v_cndmask_b32_e64 v95, 0, v80, s3
	v_mul_f32_e32 v77, 0x3fb8aa3b, v77
	s_delay_alu instid0(TRANS32_DEP_2) | instskip(SKIP_1) | instid1(TRANS32_DEP_1)
	v_cndmask_b32_e64 v91, 0, v78, s2
	v_fma_f32 v80, s18, v101, -v76
	v_cndmask_b32_e64 v96, 0, v86, s5
	v_fma_f32 v86, s18, v102, -v76
	v_exp_f32_e32 v77, v77
	s_delay_alu instid0(VALU_DEP_3) | instskip(SKIP_1) | instid1(VALU_DEP_2)
	v_dual_mul_f32 v79, 0x3fb8aa3b, v79 :: v_dual_mul_f32 v80, 0x3fb8aa3b, v80
	v_exp_f32_e32 v88, v88
	v_mul_f32_e32 v86, 0x3fb8aa3b, v86
	v_cmp_gt_u32_e64 s2, 16, v75
	v_exp_f32_e32 v100, v100
	v_exp_f32_e32 v80, v80
	s_delay_alu instid0(VALU_DEP_2) | instskip(SKIP_3) | instid1(VALU_DEP_1)
	v_exp_f32_e32 v86, v86
	v_cndmask_b32_e32 v92, 0, v77, vcc_lo
	v_exp_f32_e32 v79, v79
	v_fma_f32 v77, s18, v122, -v76
	v_dual_add_f32 v78, 0, v92 :: v_dual_mul_f32 v77, 0x3fb8aa3b, v77
	s_delay_alu instid0(VALU_DEP_1)
	v_add_f32_e32 v78, v78, v91
	s_waitcnt_depctr 0xfff
	v_cndmask_b32_e64 v93, 0, v79, s4
	v_fma_f32 v79, s18, v124, -v76
	v_mul_f32_e32 v87, 0x3fb8aa3b, v87
	v_exp_f32_e32 v77, v77
	s_delay_alu instid0(VALU_DEP_2) | instskip(NEXT) | instid1(VALU_DEP_2)
	v_dual_add_f32 v78, v78, v93 :: v_dual_mul_f32 v79, 0x3fb8aa3b, v79
	v_exp_f32_e32 v87, v87
	s_delay_alu instid0(VALU_DEP_1) | instskip(NEXT) | instid1(VALU_DEP_2)
	v_add_f32_e32 v78, v78, v95
	v_exp_f32_e32 v79, v79
	s_delay_alu instid0(TRANS32_DEP_3) | instskip(NEXT) | instid1(VALU_DEP_2)
	v_cndmask_b32_e64 v97, 0, v77, s6
	v_add_f32_e32 v77, v78, v96
	v_fma_f32 v78, s18, v103, -v76
	s_waitcnt_depctr 0xfff
	v_cndmask_b32_e64 v94, 0, v87, s8
	v_fma_f32 v87, s18, v104, -v76
	v_dual_add_f32 v77, v77, v97 :: v_dual_mul_f32 v78, 0x3fb8aa3b, v78
	v_cndmask_b32_e64 v98, 0, v79, s7
	s_delay_alu instid0(VALU_DEP_2) | instskip(SKIP_4) | instid1(VALU_DEP_2)
	v_add_f32_e32 v79, v77, v94
	v_cndmask_b32_e64 v77, 0, v80, s9
	v_fma_f32 v80, s18, v106, -v76
	v_exp_f32_e32 v89, v78
	v_cndmask_b32_e64 v78, 0, v86, s10
	v_dual_add_f32 v79, v79, v98 :: v_dual_mul_f32 v80, 0x3fb8aa3b, v80
	s_delay_alu instid0(VALU_DEP_1) | instskip(NEXT) | instid1(VALU_DEP_1)
	v_dual_mul_f32 v87, 0x3fb8aa3b, v87 :: v_dual_add_f32 v86, v79, v77
	v_exp_f32_e32 v87, v87
	s_waitcnt_depctr 0xfff
	v_cndmask_b32_e64 v79, 0, v89, s11
	v_add_f32_e32 v86, v86, v78
	v_mul_f32_e32 v89, 0x3fb8aa3b, v90
	v_exp_f32_e32 v90, v80
	v_cndmask_b32_e64 v80, 0, v87, s12
	s_delay_alu instid0(VALU_DEP_3) | instskip(SKIP_1) | instid1(VALU_DEP_2)
	v_add_f32_e32 v87, v86, v79
	v_cndmask_b32_e64 v86, 0, v88, s13
	v_add_f32_e32 v88, v87, v80
	v_exp_f32_e32 v89, v89
	s_waitcnt_depctr 0xfff
	v_cndmask_b32_e64 v87, 0, v90, s15
	v_add_f32_e32 v90, v88, v86
	v_cndmask_b32_e64 v88, 0, v89, s16
	s_delay_alu instid0(VALU_DEP_2) | instskip(NEXT) | instid1(VALU_DEP_1)
	v_add_f32_e32 v89, v90, v87
	v_add_f32_e32 v90, v89, v88
	v_cndmask_b32_e64 v89, 0, v100, s17
	s_delay_alu instid0(VALU_DEP_1)
	v_add_f32_e32 v90, v90, v89
	ds_bpermute_b32 v99, v99, v90
	s_and_saveexec_b32 s3, s2
	s_cbranch_execz .LBB764_14
; %bb.13:
	v_mul_u32_u24_e32 v75, 0x44, v74
	s_waitcnt lgkmcnt(0)
	v_add_f32_e32 v90, v90, v99
	s_delay_alu instid0(VALU_DEP_2) | instskip(NEXT) | instid1(VALU_DEP_1)
	v_lshl_add_u32 v75, v73, 2, v75
	v_add_nc_u32_e32 v75, 0x4000, v75
	ds_store_2addr_b32 v75, v76, v90 offset1:136
.LBB764_14:
	s_or_b32 exec_lo, exec_lo, s3
	v_lshlrev_b32_e32 v75, 2, v73
	s_waitcnt lgkmcnt(0)
	s_barrier
	buffer_gl0_inv
	v_cmp_eq_u32_e64 s3, 1, v74
	v_add_nc_u32_e32 v90, 0x4000, v75
	ds_load_2addr_b32 v[99:100], v90 offset1:17
	ds_load_2addr_b32 v[101:102], v90 offset0:34 offset1:51
	ds_load_2addr_b32 v[103:104], v90 offset0:68 offset1:85
	;; [unrolled: 1-line block ×4, first 2 shown]
	s_waitcnt lgkmcnt(4)
	v_max3_f32 v75, v99, 0xff7fffff, v100
	s_waitcnt lgkmcnt(3)
	s_delay_alu instid0(VALU_DEP_1) | instskip(SKIP_1) | instid1(VALU_DEP_1)
	v_max3_f32 v75, v75, v101, v102
	s_waitcnt lgkmcnt(2)
	v_max3_f32 v75, v75, v103, v104
	s_waitcnt lgkmcnt(1)
	s_delay_alu instid0(VALU_DEP_1) | instskip(NEXT) | instid1(VALU_DEP_1)
	v_max3_f32 v75, v75, v105, v106
	v_sub_f32_e32 v109, v100, v75
	v_sub_f32_e32 v76, v99, v75
	ds_load_2addr_b32 v[99:100], v90 offset0:170 offset1:187
	v_sub_f32_e32 v101, v101, v75
	v_dual_mul_f32 v109, 0x3fb8aa3b, v109 :: v_dual_mul_f32 v76, 0x3fb8aa3b, v76
	s_delay_alu instid0(VALU_DEP_2) | instskip(NEXT) | instid1(VALU_DEP_2)
	v_mul_f32_e32 v111, 0x3fb8aa3b, v101
	v_exp_f32_e32 v109, v109
	s_delay_alu instid0(VALU_DEP_2)
	v_exp_f32_e32 v110, v76
	v_sub_f32_e32 v76, v102, v75
	ds_load_2addr_b32 v[101:102], v90 offset0:204 offset1:221
	v_exp_f32_e32 v111, v111
	v_mul_f32_e32 v112, 0x3fb8aa3b, v76
	s_waitcnt lgkmcnt(2)
	v_fma_f32 v76, v110, v107, 0
	v_sub_f32_e32 v103, v103, v75
	s_delay_alu instid0(VALU_DEP_3) | instskip(NEXT) | instid1(VALU_DEP_2)
	v_exp_f32_e32 v112, v112
	v_dual_sub_f32 v107, v104, v75 :: v_dual_fmac_f32 v76, v109, v108
	s_waitcnt lgkmcnt(1)
	s_waitcnt_depctr 0xfff
	v_fmac_f32_e32 v76, v111, v99
	v_mul_f32_e32 v113, 0x3fb8aa3b, v103
	ds_load_2addr_b32 v[103:104], v90 offset0:238 offset1:255
	v_sub_f32_e32 v90, v105, v75
	v_dual_sub_f32 v99, v106, v75 :: v_dual_fmac_f32 v76, v112, v100
	v_mul_f32_e32 v105, 0x3fb8aa3b, v107
	v_exp_f32_e32 v107, v113
	s_delay_alu instid0(VALU_DEP_2)
	v_dual_mul_f32 v90, 0x3fb8aa3b, v90 :: v_dual_mul_f32 v99, 0x3fb8aa3b, v99
	s_waitcnt lgkmcnt(0)
	s_barrier
	buffer_gl0_inv
	v_exp_f32_e32 v90, v90
	v_exp_f32_e32 v99, v99
	v_fmac_f32_e32 v76, v107, v101
	v_exp_f32_e32 v105, v105
	s_waitcnt_depctr 0xfff
	v_fmac_f32_e32 v76, v105, v102
	s_delay_alu instid0(VALU_DEP_1) | instskip(NEXT) | instid1(VALU_DEP_1)
	v_fmac_f32_e32 v76, v90, v103
	v_fmac_f32_e32 v76, v99, v104
	s_delay_alu instid0(VALU_DEP_1) | instskip(NEXT) | instid1(VALU_DEP_1)
	v_add_f32_e32 v100, 0x358637bd, v76
	v_div_scale_f32 v101, null, v100, v100, 1.0
	v_div_scale_f32 v104, vcc_lo, 1.0, v100, 1.0
	s_delay_alu instid0(VALU_DEP_2) | instskip(SKIP_2) | instid1(VALU_DEP_1)
	v_rcp_f32_e32 v102, v101
	s_waitcnt_depctr 0xfff
	v_fma_f32 v103, -v101, v102, 1.0
	v_fmac_f32_e32 v102, v103, v102
	v_cndmask_b32_e64 v103, v110, v109, s3
	v_cmp_eq_u32_e64 s3, 2, v74
	s_delay_alu instid0(VALU_DEP_3) | instskip(NEXT) | instid1(VALU_DEP_2)
	v_mul_f32_e32 v106, v104, v102
	v_cndmask_b32_e64 v103, v103, v111, s3
	v_cmp_eq_u32_e64 s3, 3, v74
	s_delay_alu instid0(VALU_DEP_3) | instskip(NEXT) | instid1(VALU_DEP_2)
	v_fma_f32 v108, -v101, v106, v104
	v_cndmask_b32_e64 v103, v103, v112, s3
	v_cmp_eq_u32_e64 s3, 4, v74
	s_delay_alu instid0(VALU_DEP_3) | instskip(NEXT) | instid1(VALU_DEP_2)
	v_fmac_f32_e32 v106, v108, v102
	v_cndmask_b32_e64 v103, v103, v107, s3
	s_delay_alu instid0(VALU_DEP_2) | instskip(SKIP_1) | instid1(VALU_DEP_2)
	v_fma_f32 v101, -v101, v106, v104
	v_cmp_eq_u32_e64 s3, 5, v74
	v_div_fmas_f32 v101, v101, v102, v106
	s_delay_alu instid0(VALU_DEP_2) | instskip(SKIP_2) | instid1(VALU_DEP_3)
	v_cndmask_b32_e64 v103, v103, v105, s3
	v_cmp_eq_u32_e32 vcc_lo, 6, v74
	s_mov_b32 s3, exec_lo
	v_div_fixup_f32 v100, v101, v100, 1.0
	s_delay_alu instid0(VALU_DEP_3) | instskip(SKIP_1) | instid1(VALU_DEP_2)
	v_cndmask_b32_e32 v90, v103, v90, vcc_lo
	v_cmp_eq_u32_e32 vcc_lo, 7, v74
	v_cndmask_b32_e32 v90, v90, v99, vcc_lo
	s_delay_alu instid0(VALU_DEP_1) | instskip(NEXT) | instid1(VALU_DEP_1)
	v_mul_f32_e32 v90, v90, v100
	v_mul_f32_e32 v100, v90, v92
	;; [unrolled: 1-line block ×6, first 2 shown]
	v_and_b32_e32 v101, 0x7f800000, v100
	v_mul_f32_e32 v99, v90, v95
	v_mul_f32_e32 v95, v90, v91
	;; [unrolled: 1-line block ×3, first 2 shown]
                                        ; implicit-def: $vgpr91
	s_delay_alu instid0(VALU_DEP_4)
	v_cmpx_ne_u32_e32 0x7f800000, v101
	s_xor_b32 s3, exec_lo, s3
; %bb.15:
	v_bfe_u32 v91, v100, 16, 1
	s_delay_alu instid0(VALU_DEP_1)
	v_add3_u32 v91, v100, v91, 0x7fff
                                        ; implicit-def: $vgpr100
; %bb.16:
	s_and_not1_saveexec_b32 s3, s3
; %bb.17:
	v_and_b32_e32 v91, 0xffff, v100
	v_or_b32_e32 v93, 0x10000, v100
	s_delay_alu instid0(VALU_DEP_2) | instskip(NEXT) | instid1(VALU_DEP_2)
	v_cmp_eq_u32_e32 vcc_lo, 0, v91
	v_cndmask_b32_e32 v91, v93, v100, vcc_lo
; %bb.18:
	s_or_b32 exec_lo, exec_lo, s3
	v_and_b32_e32 v93, 0x7f800000, v95
	s_delay_alu instid0(VALU_DEP_1) | instskip(SKIP_1) | instid1(SALU_CYCLE_1)
	v_cmp_ne_u32_e32 vcc_lo, 0x7f800000, v93
                                        ; implicit-def: $vgpr93
	s_and_saveexec_b32 s3, vcc_lo
	s_xor_b32 s3, exec_lo, s3
; %bb.19:
	v_bfe_u32 v93, v95, 16, 1
	s_delay_alu instid0(VALU_DEP_1)
	v_add3_u32 v93, v95, v93, 0x7fff
                                        ; implicit-def: $vgpr95
; %bb.20:
	s_and_not1_saveexec_b32 s3, s3
; %bb.21:
	v_and_b32_e32 v93, 0xffff, v95
	v_or_b32_e32 v100, 0x10000, v95
	s_delay_alu instid0(VALU_DEP_2) | instskip(NEXT) | instid1(VALU_DEP_2)
	v_cmp_eq_u32_e32 vcc_lo, 0, v93
	v_cndmask_b32_e32 v93, v100, v95, vcc_lo
; %bb.22:
	s_or_b32 exec_lo, exec_lo, s3
	v_and_b32_e32 v95, 0x7f800000, v96
	s_delay_alu instid0(VALU_DEP_1) | instskip(SKIP_1) | instid1(SALU_CYCLE_1)
	v_cmp_ne_u32_e32 vcc_lo, 0x7f800000, v95
                                        ; implicit-def: $vgpr95
	s_and_saveexec_b32 s3, vcc_lo
	s_xor_b32 s3, exec_lo, s3
; %bb.23:
	v_bfe_u32 v95, v96, 16, 1
	s_delay_alu instid0(VALU_DEP_1)
	v_add3_u32 v95, v96, v95, 0x7fff
                                        ; implicit-def: $vgpr96
; %bb.24:
	s_and_not1_saveexec_b32 s3, s3
; %bb.25:
	v_and_b32_e32 v95, 0xffff, v96
	v_or_b32_e32 v100, 0x10000, v96
	s_delay_alu instid0(VALU_DEP_2) | instskip(NEXT) | instid1(VALU_DEP_2)
	v_cmp_eq_u32_e32 vcc_lo, 0, v95
	v_cndmask_b32_e32 v95, v100, v96, vcc_lo
; %bb.26:
	s_or_b32 exec_lo, exec_lo, s3
	v_and_b32_e32 v96, 0x7f800000, v99
	s_delay_alu instid0(VALU_DEP_1) | instskip(SKIP_1) | instid1(SALU_CYCLE_1)
	v_cmp_ne_u32_e32 vcc_lo, 0x7f800000, v96
                                        ; implicit-def: $vgpr96
	s_and_saveexec_b32 s3, vcc_lo
	s_xor_b32 s3, exec_lo, s3
; %bb.27:
	v_bfe_u32 v96, v99, 16, 1
	s_delay_alu instid0(VALU_DEP_1)
	v_add3_u32 v96, v99, v96, 0x7fff
                                        ; implicit-def: $vgpr99
; %bb.28:
	s_and_not1_saveexec_b32 s3, s3
; %bb.29:
	v_and_b32_e32 v96, 0xffff, v99
	v_or_b32_e32 v100, 0x10000, v99
	s_delay_alu instid0(VALU_DEP_2) | instskip(NEXT) | instid1(VALU_DEP_2)
	v_cmp_eq_u32_e32 vcc_lo, 0, v96
	v_cndmask_b32_e32 v96, v100, v99, vcc_lo
; %bb.30:
	s_or_b32 exec_lo, exec_lo, s3
	v_and_b32_e32 v99, 0x7f800000, v98
	s_delay_alu instid0(VALU_DEP_1) | instskip(SKIP_1) | instid1(SALU_CYCLE_1)
	v_cmp_ne_u32_e32 vcc_lo, 0x7f800000, v99
                                        ; implicit-def: $vgpr99
	s_and_saveexec_b32 s3, vcc_lo
	s_xor_b32 s3, exec_lo, s3
; %bb.31:
	v_bfe_u32 v99, v98, 16, 1
	s_delay_alu instid0(VALU_DEP_1)
	v_add3_u32 v99, v98, v99, 0x7fff
                                        ; implicit-def: $vgpr98
; %bb.32:
	s_and_not1_saveexec_b32 s3, s3
; %bb.33:
	v_and_b32_e32 v99, 0xffff, v98
	v_or_b32_e32 v100, 0x10000, v98
	s_delay_alu instid0(VALU_DEP_2) | instskip(NEXT) | instid1(VALU_DEP_2)
	v_cmp_eq_u32_e32 vcc_lo, 0, v99
	v_cndmask_b32_e32 v99, v100, v98, vcc_lo
; %bb.34:
	s_or_b32 exec_lo, exec_lo, s3
	v_and_b32_e32 v98, 0x7f800000, v97
	s_delay_alu instid0(VALU_DEP_1) | instskip(SKIP_1) | instid1(SALU_CYCLE_1)
	v_cmp_ne_u32_e32 vcc_lo, 0x7f800000, v98
                                        ; implicit-def: $vgpr98
	s_and_saveexec_b32 s3, vcc_lo
	s_xor_b32 s3, exec_lo, s3
; %bb.35:
	v_bfe_u32 v98, v97, 16, 1
	s_delay_alu instid0(VALU_DEP_1)
	v_add3_u32 v98, v97, v98, 0x7fff
                                        ; implicit-def: $vgpr97
; %bb.36:
	s_and_not1_saveexec_b32 s3, s3
; %bb.37:
	v_and_b32_e32 v98, 0xffff, v97
	v_or_b32_e32 v100, 0x10000, v97
	s_delay_alu instid0(VALU_DEP_2) | instskip(NEXT) | instid1(VALU_DEP_2)
	v_cmp_eq_u32_e32 vcc_lo, 0, v98
	v_cndmask_b32_e32 v98, v100, v97, vcc_lo
; %bb.38:
	s_or_b32 exec_lo, exec_lo, s3
	v_and_b32_e32 v97, 0x7f800000, v94
	s_delay_alu instid0(VALU_DEP_1) | instskip(SKIP_1) | instid1(SALU_CYCLE_1)
	v_cmp_ne_u32_e32 vcc_lo, 0x7f800000, v97
                                        ; implicit-def: $vgpr97
	s_and_saveexec_b32 s3, vcc_lo
	s_xor_b32 s3, exec_lo, s3
; %bb.39:
	v_bfe_u32 v97, v94, 16, 1
	s_delay_alu instid0(VALU_DEP_1)
	v_add3_u32 v97, v94, v97, 0x7fff
                                        ; implicit-def: $vgpr94
; %bb.40:
	s_and_not1_saveexec_b32 s3, s3
; %bb.41:
	v_and_b32_e32 v97, 0xffff, v94
	v_or_b32_e32 v100, 0x10000, v94
	s_delay_alu instid0(VALU_DEP_2) | instskip(NEXT) | instid1(VALU_DEP_2)
	v_cmp_eq_u32_e32 vcc_lo, 0, v97
	v_cndmask_b32_e32 v97, v100, v94, vcc_lo
; %bb.42:
	s_or_b32 exec_lo, exec_lo, s3
	v_and_b32_e32 v94, 0x7f800000, v92
	s_delay_alu instid0(VALU_DEP_1) | instskip(SKIP_1) | instid1(SALU_CYCLE_1)
	v_cmp_ne_u32_e32 vcc_lo, 0x7f800000, v94
                                        ; implicit-def: $vgpr94
	s_and_saveexec_b32 s3, vcc_lo
	s_xor_b32 s3, exec_lo, s3
; %bb.43:
	v_bfe_u32 v94, v92, 16, 1
	s_delay_alu instid0(VALU_DEP_1)
	v_add3_u32 v94, v92, v94, 0x7fff
                                        ; implicit-def: $vgpr92
; %bb.44:
	s_and_not1_saveexec_b32 s3, s3
; %bb.45:
	v_and_b32_e32 v94, 0xffff, v92
	v_or_b32_e32 v100, 0x10000, v92
	s_delay_alu instid0(VALU_DEP_2) | instskip(NEXT) | instid1(VALU_DEP_2)
	v_cmp_eq_u32_e32 vcc_lo, 0, v94
	v_cndmask_b32_e32 v94, v100, v92, vcc_lo
; %bb.46:
	s_or_b32 exec_lo, exec_lo, s3
	s_load_b64 s[34:35], s[0:1], 0x94
	v_lshlrev_b32_e32 v92, 4, v83
	s_delay_alu instid0(VALU_DEP_2)
	v_perm_b32 v100, v94, v97, 0x7060302
	v_dual_mul_f32 v89, v90, v89 :: v_dual_lshlrev_b32 v94, 11, v74
	v_perm_b32 v97, v93, v91, 0x7060302
	v_mul_f32_e32 v93, v90, v77
	v_perm_b32 v99, v98, v99, 0x7060302
	v_perm_b32 v98, v96, v95, 0x7060302
	v_or3_b32 v77, v92, v94, v85
	v_mul_f32_e32 v88, v90, v88
	v_dual_mul_f32 v87, v90, v87 :: v_dual_and_b32 v94, 0x7f800000, v93
	v_mul_f32_e32 v86, v90, v86
	v_mul_f32_e32 v91, v90, v80
	;; [unrolled: 1-line block ×4, first 2 shown]
	s_mov_b32 s3, exec_lo
	ds_store_b128 v77, v[97:100]
                                        ; implicit-def: $vgpr78
	v_cmpx_ne_u32_e32 0x7f800000, v94
	s_xor_b32 s3, exec_lo, s3
; %bb.47:
	v_bfe_u32 v78, v93, 16, 1
	s_delay_alu instid0(VALU_DEP_1)
	v_add3_u32 v78, v93, v78, 0x7fff
                                        ; implicit-def: $vgpr93
; %bb.48:
	s_and_not1_saveexec_b32 s3, s3
; %bb.49:
	v_and_b32_e32 v78, 0xffff, v93
	v_or_b32_e32 v79, 0x10000, v93
	s_delay_alu instid0(VALU_DEP_2) | instskip(NEXT) | instid1(VALU_DEP_2)
	v_cmp_eq_u32_e32 vcc_lo, 0, v78
	v_cndmask_b32_e32 v78, v79, v93, vcc_lo
; %bb.50:
	s_or_b32 exec_lo, exec_lo, s3
	v_and_b32_e32 v79, 0x7f800000, v80
	s_delay_alu instid0(VALU_DEP_1) | instskip(SKIP_1) | instid1(SALU_CYCLE_1)
	v_cmp_ne_u32_e32 vcc_lo, 0x7f800000, v79
                                        ; implicit-def: $vgpr79
	s_and_saveexec_b32 s3, vcc_lo
	s_xor_b32 s3, exec_lo, s3
; %bb.51:
	v_bfe_u32 v79, v80, 16, 1
	s_delay_alu instid0(VALU_DEP_1)
	v_add3_u32 v79, v80, v79, 0x7fff
                                        ; implicit-def: $vgpr80
; %bb.52:
	s_and_not1_saveexec_b32 s3, s3
; %bb.53:
	v_and_b32_e32 v79, 0xffff, v80
	v_or_b32_e32 v90, 0x10000, v80
	s_delay_alu instid0(VALU_DEP_2) | instskip(NEXT) | instid1(VALU_DEP_2)
	v_cmp_eq_u32_e32 vcc_lo, 0, v79
	v_cndmask_b32_e32 v79, v90, v80, vcc_lo
; %bb.54:
	s_or_b32 exec_lo, exec_lo, s3
	v_and_b32_e32 v80, 0x7f800000, v92
	s_delay_alu instid0(VALU_DEP_1) | instskip(SKIP_1) | instid1(SALU_CYCLE_1)
	v_cmp_ne_u32_e32 vcc_lo, 0x7f800000, v80
                                        ; implicit-def: $vgpr80
	s_and_saveexec_b32 s3, vcc_lo
	s_xor_b32 s3, exec_lo, s3
; %bb.55:
	v_bfe_u32 v80, v92, 16, 1
	s_delay_alu instid0(VALU_DEP_1)
	v_add3_u32 v80, v92, v80, 0x7fff
                                        ; implicit-def: $vgpr92
; %bb.56:
	s_and_not1_saveexec_b32 s3, s3
; %bb.57:
	v_and_b32_e32 v80, 0xffff, v92
	v_or_b32_e32 v90, 0x10000, v92
	s_delay_alu instid0(VALU_DEP_2) | instskip(NEXT) | instid1(VALU_DEP_2)
	v_cmp_eq_u32_e32 vcc_lo, 0, v80
	v_cndmask_b32_e32 v80, v90, v92, vcc_lo
; %bb.58:
	s_or_b32 exec_lo, exec_lo, s3
	v_and_b32_e32 v90, 0x7f800000, v91
	s_delay_alu instid0(VALU_DEP_1) | instskip(SKIP_1) | instid1(SALU_CYCLE_1)
	v_cmp_ne_u32_e32 vcc_lo, 0x7f800000, v90
                                        ; implicit-def: $vgpr90
	s_and_saveexec_b32 s3, vcc_lo
	s_xor_b32 s3, exec_lo, s3
; %bb.59:
	v_bfe_u32 v90, v91, 16, 1
	s_delay_alu instid0(VALU_DEP_1)
	v_add3_u32 v90, v91, v90, 0x7fff
                                        ; implicit-def: $vgpr91
; %bb.60:
	s_and_not1_saveexec_b32 s3, s3
; %bb.61:
	v_and_b32_e32 v90, 0xffff, v91
	v_or_b32_e32 v92, 0x10000, v91
	s_delay_alu instid0(VALU_DEP_2) | instskip(NEXT) | instid1(VALU_DEP_2)
	v_cmp_eq_u32_e32 vcc_lo, 0, v90
	v_cndmask_b32_e32 v90, v92, v91, vcc_lo
; %bb.62:
	s_or_b32 exec_lo, exec_lo, s3
	v_and_b32_e32 v91, 0x7f800000, v86
	s_delay_alu instid0(VALU_DEP_1) | instskip(SKIP_1) | instid1(SALU_CYCLE_1)
	v_cmp_ne_u32_e32 vcc_lo, 0x7f800000, v91
                                        ; implicit-def: $vgpr91
	s_and_saveexec_b32 s3, vcc_lo
	s_xor_b32 s3, exec_lo, s3
; %bb.63:
	v_bfe_u32 v91, v86, 16, 1
	s_delay_alu instid0(VALU_DEP_1)
	v_add3_u32 v91, v86, v91, 0x7fff
                                        ; implicit-def: $vgpr86
; %bb.64:
	s_and_not1_saveexec_b32 s3, s3
; %bb.65:
	v_and_b32_e32 v91, 0xffff, v86
	v_or_b32_e32 v92, 0x10000, v86
	s_delay_alu instid0(VALU_DEP_2) | instskip(NEXT) | instid1(VALU_DEP_2)
	v_cmp_eq_u32_e32 vcc_lo, 0, v91
	v_cndmask_b32_e32 v91, v92, v86, vcc_lo
; %bb.66:
	s_or_b32 exec_lo, exec_lo, s3
	v_and_b32_e32 v86, 0x7f800000, v87
	s_delay_alu instid0(VALU_DEP_1) | instskip(SKIP_1) | instid1(SALU_CYCLE_1)
	v_cmp_ne_u32_e32 vcc_lo, 0x7f800000, v86
                                        ; implicit-def: $vgpr86
	s_and_saveexec_b32 s3, vcc_lo
	s_xor_b32 s3, exec_lo, s3
; %bb.67:
	v_bfe_u32 v86, v87, 16, 1
	s_delay_alu instid0(VALU_DEP_1)
	v_add3_u32 v86, v87, v86, 0x7fff
                                        ; implicit-def: $vgpr87
; %bb.68:
	s_and_not1_saveexec_b32 s3, s3
; %bb.69:
	v_and_b32_e32 v86, 0xffff, v87
	v_or_b32_e32 v92, 0x10000, v87
	s_delay_alu instid0(VALU_DEP_2) | instskip(NEXT) | instid1(VALU_DEP_2)
	v_cmp_eq_u32_e32 vcc_lo, 0, v86
	v_cndmask_b32_e32 v86, v92, v87, vcc_lo
; %bb.70:
	s_or_b32 exec_lo, exec_lo, s3
	v_and_b32_e32 v87, 0x7f800000, v88
	s_delay_alu instid0(VALU_DEP_1) | instskip(SKIP_1) | instid1(SALU_CYCLE_1)
	v_cmp_ne_u32_e32 vcc_lo, 0x7f800000, v87
                                        ; implicit-def: $vgpr87
	s_and_saveexec_b32 s3, vcc_lo
	s_xor_b32 s3, exec_lo, s3
; %bb.71:
	v_bfe_u32 v87, v88, 16, 1
	s_delay_alu instid0(VALU_DEP_1)
	v_add3_u32 v87, v88, v87, 0x7fff
                                        ; implicit-def: $vgpr88
; %bb.72:
	s_and_not1_saveexec_b32 s3, s3
; %bb.73:
	v_and_b32_e32 v87, 0xffff, v88
	v_or_b32_e32 v92, 0x10000, v88
	s_delay_alu instid0(VALU_DEP_2) | instskip(NEXT) | instid1(VALU_DEP_2)
	v_cmp_eq_u32_e32 vcc_lo, 0, v87
	v_cndmask_b32_e32 v87, v92, v88, vcc_lo
; %bb.74:
	s_or_b32 exec_lo, exec_lo, s3
	v_and_b32_e32 v88, 0x7f800000, v89
	s_delay_alu instid0(VALU_DEP_1) | instskip(SKIP_1) | instid1(SALU_CYCLE_1)
	v_cmp_ne_u32_e32 vcc_lo, 0x7f800000, v88
                                        ; implicit-def: $vgpr88
	s_and_saveexec_b32 s3, vcc_lo
	s_xor_b32 s3, exec_lo, s3
; %bb.75:
	v_bfe_u32 v88, v89, 16, 1
	s_delay_alu instid0(VALU_DEP_1)
	v_add3_u32 v88, v89, v88, 0x7fff
                                        ; implicit-def: $vgpr89
; %bb.76:
	s_and_not1_saveexec_b32 s3, s3
; %bb.77:
	v_and_b32_e32 v88, 0xffff, v89
	v_or_b32_e32 v92, 0x10000, v89
	s_delay_alu instid0(VALU_DEP_2) | instskip(NEXT) | instid1(VALU_DEP_2)
	v_cmp_eq_u32_e32 vcc_lo, 0, v88
	v_cndmask_b32_e32 v88, v92, v89, vcc_lo
; %bb.78:
	s_or_b32 exec_lo, exec_lo, s3
	s_delay_alu instid0(VALU_DEP_1)
	v_perm_b32 v89, v88, v87, 0x7060302
	v_perm_b32 v88, v86, v91, 0x7060302
	;; [unrolled: 1-line block ×4, first 2 shown]
	v_lshl_or_b32 v90, v74, 11, v85
	ds_store_b128 v77, v[86:89] offset:1024
	s_waitcnt lgkmcnt(0)
	s_barrier
	buffer_gl0_inv
	ds_load_b128 v[91:94], v90
	ds_load_b128 v[95:98], v90 offset:16
	v_lshlrev_b32_e32 v87, 2, v83
	s_delay_alu instid0(VALU_DEP_1)
	v_or_b32_e32 v88, 1, v87
	v_cmp_eq_u32_e32 vcc_lo, 1, v87
	v_cmp_eq_u32_e64 s4, 2, v87
	v_cmp_eq_u32_e64 s7, 3, v87
	;; [unrolled: 1-line block ×6, first 2 shown]
	v_or_b32_e32 v86, 2, v87
	v_cmp_eq_u32_e64 s10, 5, v87
	v_cmp_eq_u32_e64 s11, 4, v88
	;; [unrolled: 1-line block ×4, first 2 shown]
	s_waitcnt lgkmcnt(1)
	v_lshrrev_b32_e32 v74, 16, v91
	s_waitcnt lgkmcnt(0)
	v_lshrrev_b32_e32 v103, 16, v95
	v_lshrrev_b32_e32 v80, 16, v94
	;; [unrolled: 1-line block ×4, first 2 shown]
	v_cndmask_b32_e32 v89, v91, v74, vcc_lo
	v_cndmask_b32_e32 v99, v95, v103, vcc_lo
	v_cndmask_b32_e64 v100, v91, v74, s3
	v_lshrrev_b32_e32 v79, 16, v93
	v_lshrrev_b32_e32 v108, 16, v97
	v_cndmask_b32_e64 v89, v89, v92, s4
	v_cndmask_b32_e64 v99, v99, v96, s4
	;; [unrolled: 1-line block ×4, first 2 shown]
	v_cmp_eq_u32_e64 s5, 1, v86
	v_cndmask_b32_e64 v89, v89, v78, s7
	v_cndmask_b32_e64 v99, v99, v107, s7
	;; [unrolled: 1-line block ×4, first 2 shown]
	v_lshrrev_b32_e32 v109, 16, v98
	v_cndmask_b32_e64 v89, v89, v93, s9
	v_cndmask_b32_e64 v99, v99, v97, s9
	;; [unrolled: 1-line block ×8, first 2 shown]
	v_cmp_eq_u32_e64 s15, 7, v87
	v_cmp_eq_u32_e64 s16, 6, v88
	v_cndmask_b32_e64 v89, v89, v94, s12
	v_cndmask_b32_e64 v99, v99, v98, s12
	v_cmp_eq_u32_e64 s17, 2, v86
	v_cndmask_b32_e64 v101, v101, v97, s11
	v_cndmask_b32_e64 v100, v100, v94, s16
	;; [unrolled: 1-line block ×6, first 2 shown]
	v_cmp_eq_u32_e64 s18, 7, v88
	v_cmp_eq_u32_e64 s19, 3, v86
	;; [unrolled: 1-line block ×4, first 2 shown]
	v_cndmask_b32_e64 v99, v99, v96, s17
	v_cndmask_b32_e64 v112, v100, v80, s18
	;; [unrolled: 1-line block ×4, first 2 shown]
	v_or_b32_e32 v89, 3, v87
	v_cndmask_b32_e64 v105, v99, v107, s19
	v_cmp_eq_u32_e64 s24, 6, v86
	v_cndmask_b32_e64 v113, v100, v98, s16
	v_cndmask_b32_e64 v104, v101, v93, s20
	ds_load_b128 v[99:102], v90 offset:1024
	v_cmp_eq_u32_e64 s21, 1, v89
	v_cmp_eq_u32_e64 s23, 2, v89
	;; [unrolled: 1-line block ×3, first 2 shown]
	v_cndmask_b32_e64 v114, v104, v79, s22
	v_cmp_eq_u32_e64 s26, 4, v89
	v_cndmask_b32_e64 v74, v91, v74, s21
	v_cndmask_b32_e64 v91, v105, v97, s20
	;; [unrolled: 1-line block ×3, first 2 shown]
	ds_load_b128 v[103:106], v90 offset:1040
	v_cmp_eq_u32_e64 s28, 5, v89
	v_cndmask_b32_e64 v74, v74, v92, s23
	v_cndmask_b32_e64 v91, v91, v108, s22
	;; [unrolled: 1-line block ×3, first 2 shown]
	v_cmp_eq_u32_e64 s29, 6, v89
	v_cndmask_b32_e64 v95, v113, v109, s18
	v_cndmask_b32_e64 v74, v74, v78, s25
	;; [unrolled: 1-line block ×5, first 2 shown]
	s_waitcnt lgkmcnt(1)
	v_lshrrev_b32_e32 v96, 16, v99
	v_cndmask_b32_e64 v74, v74, v93, s26
	v_lshrrev_b32_e32 v107, 16, v100
	v_cndmask_b32_e64 v92, v92, v97, s26
	v_cmp_eq_u32_e64 s27, 7, v86
	v_cndmask_b32_e32 v93, v99, v96, vcc_lo
	v_cndmask_b32_e64 v74, v74, v79, s28
	s_delay_alu instid0(VALU_DEP_4)
	v_cndmask_b32_e64 v79, v92, v108, s28
	s_waitcnt lgkmcnt(0)
	v_lshrrev_b32_e32 v97, 16, v103
	v_cndmask_b32_e64 v92, v93, v100, s4
	v_cndmask_b32_e64 v93, v99, v96, s3
	;; [unrolled: 1-line block ×4, first 2 shown]
	v_cndmask_b32_e32 v108, v103, v97, vcc_lo
	v_cndmask_b32_e64 v92, v92, v107, s7
	v_cndmask_b32_e64 v93, v93, v100, s6
	v_lshrrev_b32_e32 v98, 16, v104
	v_cmp_eq_u32_e32 vcc_lo, 7, v89
	v_cndmask_b32_e64 v94, v108, v104, s4
	v_cndmask_b32_e64 v92, v92, v101, s9
	v_lshrrev_b32_e32 v108, 16, v101
	v_cndmask_b32_e64 v93, v93, v107, s8
	v_cndmask_b32_e32 v74, v74, v80, vcc_lo
	v_cndmask_b32_e64 v94, v94, v98, s7
	v_cndmask_b32_e32 v79, v79, v109, vcc_lo
	v_cndmask_b32_e64 v92, v92, v108, s10
	v_cndmask_b32_e64 v78, v78, v80, s27
	;; [unrolled: 1-line block ×4, first 2 shown]
	v_perm_b32 v94, v79, v74, 0x5040100
	v_cndmask_b32_e64 v79, v92, v102, s12
	v_perm_b32 v92, v95, v112, 0x5040100
	v_cndmask_b32_e64 v95, v99, v96, s5
	v_cndmask_b32_e64 v96, v99, v96, s21
	;; [unrolled: 1-line block ×16, first 2 shown]
	v_lshrrev_b32_e32 v109, 16, v105
	v_cndmask_b32_e64 v95, v95, v101, s20
	v_cndmask_b32_e64 v96, v96, v101, s26
	;; [unrolled: 1-line block ×6, first 2 shown]
	v_lshrrev_b32_e32 v80, 16, v102
	v_cndmask_b32_e64 v113, v93, v109, s10
	v_cndmask_b32_e64 v95, v95, v108, s22
	;; [unrolled: 1-line block ×6, first 2 shown]
	v_perm_b32 v93, v91, v78, 0x5040100
	v_cndmask_b32_e64 v74, v74, v102, s16
	v_cndmask_b32_e64 v78, v79, v80, s15
	;; [unrolled: 1-line block ×3, first 2 shown]
	v_lshrrev_b32_e32 v91, 16, v106
	v_cndmask_b32_e64 v95, v95, v102, s24
	v_cndmask_b32_e64 v96, v96, v102, s29
	v_cndmask_b32_e64 v98, v98, v106, s29
	v_cndmask_b32_e64 v99, v99, v106, s24
	v_cndmask_b32_e64 v97, v97, v106, s16
	v_cndmask_b32_e64 v74, v74, v80, s18
	v_cndmask_b32_e64 v95, v95, v80, s27
	v_cndmask_b32_e32 v80, v96, v80, vcc_lo
	v_cndmask_b32_e32 v96, v98, v91, vcc_lo
	v_cndmask_b32_e64 v99, v99, v91, s27
	v_cndmask_b32_e64 v100, v97, v91, s18
	;; [unrolled: 1-line block ×3, first 2 shown]
	v_perm_b32 v91, v111, v110, 0x5040100
	v_perm_b32 v98, v96, v80, 0x5040100
	;; [unrolled: 1-line block ×5, first 2 shown]
	s_mul_i32 s8, s35, 15
	s_mov_b32 s3, exec_lo
	ds_store_b128 v77, v[91:94]
	ds_store_b128 v77, v[95:98] offset:1024
	v_cmpx_gt_u32_e32 15, v0
	s_cbranch_execz .LBB764_80
; %bb.79:
	s_mul_i32 s4, s8, s30
	s_delay_alu instid0(SALU_CYCLE_1) | instskip(SKIP_1) | instid1(VALU_DEP_1)
	v_add3_u32 v77, s4, s31, v73
	s_load_b128 s[4:7], s[0:1], 0x58
	v_mad_u64_u32 v[73:74], null, v77, s34, s[14:15]
	s_delay_alu instid0(VALU_DEP_1) | instskip(NEXT) | instid1(VALU_DEP_1)
	v_ashrrev_i32_e32 v74, 31, v73
	v_lshlrev_b64 v[73:74], 2, v[73:74]
	s_waitcnt lgkmcnt(0)
	s_delay_alu instid0(VALU_DEP_1) | instskip(NEXT) | instid1(VALU_DEP_2)
	v_add_co_u32 v77, vcc_lo, s6, v73
	v_add_co_ci_u32_e32 v78, vcc_lo, s7, v74, vcc_lo
	v_add_co_u32 v73, vcc_lo, s4, v73
	v_add_co_ci_u32_e32 v74, vcc_lo, s5, v74, vcc_lo
	global_store_b32 v[77:78], v75, off
	global_store_b32 v[73:74], v76, off
.LBB764_80:
	s_or_b32 exec_lo, exec_lo, s3
	s_waitcnt lgkmcnt(0)
	s_waitcnt_vscnt null, 0x0
	s_barrier
	buffer_gl0_inv
	ds_load_b128 v[91:94], v85
	ds_load_b128 v[95:98], v85 offset:16
	ds_load_b128 v[103:106], v85 offset:1040
	;; [unrolled: 1-line block ×3, first 2 shown]
	v_mov_b32_e32 v73, 0
	ds_load_b128 v[111:114], v85 offset:2064
	ds_load_b128 v[107:110], v85 offset:2048
	;; [unrolled: 1-line block ×6, first 2 shown]
	v_mov_b32_e32 v74, v73
	v_mov_b32_e32 v75, v73
	;; [unrolled: 1-line block ×7, first 2 shown]
	s_waitcnt lgkmcnt(8)
	s_delay_alu instid0(VALU_DEP_1)
	v_wmma_f32_16x16x16_bf16 v[73:80], v[65:72], v[91:98], v[73:80]
	ds_load_b128 v[69:72], v85 offset:5136
	ds_load_b128 v[65:68], v85 offset:5120
	;; [unrolled: 1-line block ×4, first 2 shown]
	s_waitcnt lgkmcnt(10)
	v_wmma_f32_16x16x16_bf16 v[73:80], v[57:64], v[99:106], v[73:80]
	s_waitcnt lgkmcnt(8)
	s_delay_alu instid0(VALU_DEP_1)
	v_wmma_f32_16x16x16_bf16 v[73:80], v[57:64], v[107:114], v[73:80]
	ds_load_b128 v[61:64], v85 offset:7184
	ds_load_b128 v[57:60], v85 offset:7168
	;; [unrolled: 1-line block ×4, first 2 shown]
	s_waitcnt lgkmcnt(10)
	v_wmma_f32_16x16x16_bf16 v[73:80], v[49:56], v[115:122], v[73:80]
	s_waitcnt lgkmcnt(8)
	s_delay_alu instid0(VALU_DEP_1)
	v_wmma_f32_16x16x16_bf16 v[73:80], v[49:56], v[123:130], v[73:80]
	ds_load_b128 v[53:56], v85 offset:9232
	ds_load_b128 v[49:52], v85 offset:9216
	s_waitcnt lgkmcnt(8)
	v_wmma_f32_16x16x16_bf16 v[73:80], v[41:48], v[65:72], v[73:80]
	ds_load_b128 v[69:72], v85 offset:10256
	ds_load_b128 v[65:68], v85 offset:10240
	s_waitcnt lgkmcnt(8)
	;; [unrolled: 4-line block ×3, first 2 shown]
	v_wmma_f32_16x16x16_bf16 v[73:80], v[9:16], v[57:64], v[73:80]
	s_waitcnt lgkmcnt(6)
	s_delay_alu instid0(VALU_DEP_1)
	v_wmma_f32_16x16x16_bf16 v[73:80], v[9:16], v[99:106], v[73:80]
	ds_load_b128 v[13:16], v85 offset:12304
	ds_load_b128 v[9:12], v85 offset:12288
	s_waitcnt lgkmcnt(6)
	v_wmma_f32_16x16x16_bf16 v[73:80], v[1:8], v[49:56], v[73:80]
	ds_load_b128 v[53:56], v85 offset:13328
	ds_load_b128 v[49:52], v85 offset:13312
	s_waitcnt lgkmcnt(6)
	;; [unrolled: 4-line block ×4, first 2 shown]
	v_wmma_f32_16x16x16_bf16 v[73:80], v[33:40], v[9:16], v[73:80]
	s_waitcnt lgkmcnt(4)
	s_delay_alu instid0(VALU_DEP_1) | instskip(SKIP_1) | instid1(VALU_DEP_1)
	v_wmma_f32_16x16x16_bf16 v[73:80], v[25:32], v[49:56], v[73:80]
	s_waitcnt lgkmcnt(2)
	v_wmma_f32_16x16x16_bf16 v[73:80], v[25:32], v[1:8], v[73:80]
	s_waitcnt lgkmcnt(0)
	s_delay_alu instid0(VALU_DEP_1) | instskip(NEXT) | instid1(VALU_DEP_1)
	v_wmma_f32_16x16x16_bf16 v[73:80], v[17:24], v[41:48], v[73:80]
	v_and_b32_e32 v1, 0x7f800000, v73
	s_delay_alu instid0(VALU_DEP_1) | instskip(SKIP_1) | instid1(SALU_CYCLE_1)
	v_cmp_ne_u32_e32 vcc_lo, 0x7f800000, v1
                                        ; implicit-def: $vgpr1
	s_and_saveexec_b32 s3, vcc_lo
	s_xor_b32 s3, exec_lo, s3
; %bb.81:
	v_bfe_u32 v1, v73, 16, 1
	s_delay_alu instid0(VALU_DEP_1)
	v_add3_u32 v1, v73, v1, 0x7fff
; %bb.82:
	s_and_not1_saveexec_b32 s3, s3
; %bb.83:
	v_and_b32_e32 v1, 0xffff, v73
	v_or_b32_e32 v2, 0x10000, v73
	s_delay_alu instid0(VALU_DEP_2) | instskip(NEXT) | instid1(VALU_DEP_2)
	v_cmp_eq_u32_e32 vcc_lo, 0, v1
	v_cndmask_b32_e32 v1, v2, v73, vcc_lo
; %bb.84:
	s_or_b32 exec_lo, exec_lo, s3
	v_and_b32_e32 v2, 0x7f800000, v74
	s_delay_alu instid0(VALU_DEP_1) | instskip(SKIP_1) | instid1(SALU_CYCLE_1)
	v_cmp_ne_u32_e32 vcc_lo, 0x7f800000, v2
                                        ; implicit-def: $vgpr2
	s_and_saveexec_b32 s3, vcc_lo
	s_xor_b32 s3, exec_lo, s3
; %bb.85:
	v_bfe_u32 v2, v74, 16, 1
	s_delay_alu instid0(VALU_DEP_1)
	v_add3_u32 v2, v74, v2, 0x7fff
; %bb.86:
	s_and_not1_saveexec_b32 s3, s3
; %bb.87:
	v_and_b32_e32 v2, 0xffff, v74
	v_or_b32_e32 v3, 0x10000, v74
	s_delay_alu instid0(VALU_DEP_2) | instskip(NEXT) | instid1(VALU_DEP_2)
	v_cmp_eq_u32_e32 vcc_lo, 0, v2
	v_cndmask_b32_e32 v2, v3, v74, vcc_lo
; %bb.88:
	s_or_b32 exec_lo, exec_lo, s3
	v_and_b32_e32 v3, 0x7f800000, v75
	s_delay_alu instid0(VALU_DEP_1) | instskip(SKIP_1) | instid1(SALU_CYCLE_1)
	v_cmp_ne_u32_e32 vcc_lo, 0x7f800000, v3
                                        ; implicit-def: $vgpr3
	s_and_saveexec_b32 s3, vcc_lo
	s_xor_b32 s3, exec_lo, s3
; %bb.89:
	v_bfe_u32 v3, v75, 16, 1
	s_delay_alu instid0(VALU_DEP_1)
	v_add3_u32 v3, v75, v3, 0x7fff
; %bb.90:
	s_and_not1_saveexec_b32 s3, s3
; %bb.91:
	v_and_b32_e32 v3, 0xffff, v75
	v_or_b32_e32 v4, 0x10000, v75
	s_delay_alu instid0(VALU_DEP_2) | instskip(NEXT) | instid1(VALU_DEP_2)
	v_cmp_eq_u32_e32 vcc_lo, 0, v3
	v_cndmask_b32_e32 v3, v4, v75, vcc_lo
; %bb.92:
	s_or_b32 exec_lo, exec_lo, s3
	v_and_b32_e32 v4, 0x7f800000, v76
	s_delay_alu instid0(VALU_DEP_1) | instskip(SKIP_1) | instid1(SALU_CYCLE_1)
	v_cmp_ne_u32_e32 vcc_lo, 0x7f800000, v4
                                        ; implicit-def: $vgpr4
	s_and_saveexec_b32 s3, vcc_lo
	s_xor_b32 s3, exec_lo, s3
; %bb.93:
	v_bfe_u32 v4, v76, 16, 1
	s_delay_alu instid0(VALU_DEP_1)
	v_add3_u32 v4, v76, v4, 0x7fff
; %bb.94:
	s_and_not1_saveexec_b32 s3, s3
; %bb.95:
	v_and_b32_e32 v4, 0xffff, v76
	v_or_b32_e32 v5, 0x10000, v76
	s_delay_alu instid0(VALU_DEP_2) | instskip(NEXT) | instid1(VALU_DEP_2)
	v_cmp_eq_u32_e32 vcc_lo, 0, v4
	v_cndmask_b32_e32 v4, v5, v76, vcc_lo
; %bb.96:
	s_or_b32 exec_lo, exec_lo, s3
	v_and_b32_e32 v5, 0x7f800000, v77
	s_delay_alu instid0(VALU_DEP_1) | instskip(SKIP_1) | instid1(SALU_CYCLE_1)
	v_cmp_ne_u32_e32 vcc_lo, 0x7f800000, v5
                                        ; implicit-def: $vgpr5
	s_and_saveexec_b32 s3, vcc_lo
	s_xor_b32 s3, exec_lo, s3
; %bb.97:
	v_bfe_u32 v5, v77, 16, 1
	s_delay_alu instid0(VALU_DEP_1)
	v_add3_u32 v5, v77, v5, 0x7fff
; %bb.98:
	s_and_not1_saveexec_b32 s3, s3
; %bb.99:
	v_and_b32_e32 v5, 0xffff, v77
	v_or_b32_e32 v6, 0x10000, v77
	s_delay_alu instid0(VALU_DEP_2) | instskip(NEXT) | instid1(VALU_DEP_2)
	v_cmp_eq_u32_e32 vcc_lo, 0, v5
	v_cndmask_b32_e32 v5, v6, v77, vcc_lo
; %bb.100:
	s_or_b32 exec_lo, exec_lo, s3
	v_and_b32_e32 v6, 0x7f800000, v78
	s_delay_alu instid0(VALU_DEP_1) | instskip(SKIP_1) | instid1(SALU_CYCLE_1)
	v_cmp_ne_u32_e32 vcc_lo, 0x7f800000, v6
                                        ; implicit-def: $vgpr6
	s_and_saveexec_b32 s3, vcc_lo
	s_xor_b32 s3, exec_lo, s3
; %bb.101:
	v_bfe_u32 v6, v78, 16, 1
	s_delay_alu instid0(VALU_DEP_1)
	v_add3_u32 v6, v78, v6, 0x7fff
; %bb.102:
	s_and_not1_saveexec_b32 s3, s3
; %bb.103:
	v_and_b32_e32 v6, 0xffff, v78
	v_or_b32_e32 v7, 0x10000, v78
	s_delay_alu instid0(VALU_DEP_2) | instskip(NEXT) | instid1(VALU_DEP_2)
	v_cmp_eq_u32_e32 vcc_lo, 0, v6
	v_cndmask_b32_e32 v6, v7, v78, vcc_lo
; %bb.104:
	s_or_b32 exec_lo, exec_lo, s3
	v_and_b32_e32 v7, 0x7f800000, v79
	s_delay_alu instid0(VALU_DEP_1) | instskip(SKIP_1) | instid1(SALU_CYCLE_1)
	v_cmp_ne_u32_e32 vcc_lo, 0x7f800000, v7
                                        ; implicit-def: $vgpr7
	s_and_saveexec_b32 s3, vcc_lo
	s_xor_b32 s3, exec_lo, s3
; %bb.105:
	v_bfe_u32 v7, v79, 16, 1
	s_delay_alu instid0(VALU_DEP_1)
	v_add3_u32 v7, v79, v7, 0x7fff
; %bb.106:
	s_and_not1_saveexec_b32 s3, s3
; %bb.107:
	v_and_b32_e32 v7, 0xffff, v79
	v_or_b32_e32 v8, 0x10000, v79
	s_delay_alu instid0(VALU_DEP_2) | instskip(NEXT) | instid1(VALU_DEP_2)
	v_cmp_eq_u32_e32 vcc_lo, 0, v7
	v_cndmask_b32_e32 v7, v8, v79, vcc_lo
; %bb.108:
	s_or_b32 exec_lo, exec_lo, s3
	v_and_b32_e32 v8, 0x7f800000, v80
	s_delay_alu instid0(VALU_DEP_1) | instskip(SKIP_1) | instid1(SALU_CYCLE_1)
	v_cmp_ne_u32_e32 vcc_lo, 0x7f800000, v8
                                        ; implicit-def: $vgpr8
	s_and_saveexec_b32 s3, vcc_lo
	s_xor_b32 s3, exec_lo, s3
; %bb.109:
	v_bfe_u32 v8, v80, 16, 1
	s_delay_alu instid0(VALU_DEP_1)
	v_add3_u32 v8, v80, v8, 0x7fff
                                        ; implicit-def: $vgpr73_vgpr74_vgpr75_vgpr76_vgpr77_vgpr78_vgpr79_vgpr80
; %bb.110:
	s_and_not1_saveexec_b32 s3, s3
; %bb.111:
	v_and_b32_e32 v8, 0xffff, v80
	v_or_b32_e32 v9, 0x10000, v80
	s_delay_alu instid0(VALU_DEP_2) | instskip(NEXT) | instid1(VALU_DEP_2)
	v_cmp_eq_u32_e32 vcc_lo, 0, v8
	v_cndmask_b32_e32 v8, v9, v80, vcc_lo
; %bb.112:
	s_or_b32 exec_lo, exec_lo, s3
	s_delay_alu instid0(VALU_DEP_1)
	v_perm_b32 v7, v8, v7, 0x7060302
	v_perm_b32 v6, v6, v5, 0x7060302
	v_perm_b32 v5, v4, v3, 0x7060302
	v_perm_b32 v4, v2, v1, 0x7060302
	v_lshl_or_b32 v9, v83, 4, v90
	s_barrier
	buffer_gl0_inv
	v_cmp_eq_u32_e32 vcc_lo, 1, v87
	ds_store_b128 v9, v[4:7]
	s_waitcnt lgkmcnt(0)
	s_barrier
	buffer_gl0_inv
	ds_load_b128 v[1:4], v90
	ds_load_b128 v[5:8], v90 offset:16
	v_cmp_eq_u32_e64 s4, 2, v87
	v_cmp_eq_u32_e64 s3, 1, v88
	;; [unrolled: 1-line block ×5, first 2 shown]
	s_waitcnt lgkmcnt(1)
	v_lshrrev_b32_e32 v10, 16, v1
	s_waitcnt lgkmcnt(0)
	v_lshrrev_b32_e32 v14, 16, v5
	v_lshrrev_b32_e32 v15, 16, v6
	;; [unrolled: 1-line block ×4, first 2 shown]
	v_cndmask_b32_e64 v20, v1, v10, s3
	v_cndmask_b32_e32 v19, v5, v14, vcc_lo
	v_cndmask_b32_e64 v21, v5, v14, s3
	v_lshrrev_b32_e32 v16, 16, v7
	v_cmp_eq_u32_e64 s3, 1, v86
	v_lshrrev_b32_e32 v13, 16, v4
	v_cndmask_b32_e64 v19, v19, v6, s4
	v_lshrrev_b32_e32 v17, 16, v8
	s_delay_alu instid0(VALU_DEP_4) | instskip(SKIP_1) | instid1(VALU_DEP_4)
	v_cndmask_b32_e64 v22, v1, v10, s3
	v_cndmask_b32_e64 v23, v5, v14, s3
	;; [unrolled: 1-line block ×3, first 2 shown]
	v_cndmask_b32_e32 v18, v1, v10, vcc_lo
	v_cmp_eq_u32_e32 vcc_lo, 2, v88
	v_cmp_eq_u32_e64 s3, 2, v89
	v_cndmask_b32_e64 v22, v22, v2, s7
	v_cndmask_b32_e32 v20, v20, v2, vcc_lo
	v_cndmask_b32_e32 v21, v21, v6, vcc_lo
	v_cmp_eq_u32_e32 vcc_lo, 4, v87
	v_cndmask_b32_e32 v19, v19, v7, vcc_lo
	v_cndmask_b32_e64 v18, v18, v2, s4
	v_cmp_eq_u32_e64 s4, 3, v88
	s_delay_alu instid0(VALU_DEP_2) | instskip(NEXT) | instid1(VALU_DEP_2)
	v_cndmask_b32_e64 v18, v18, v11, s5
	v_cndmask_b32_e64 v21, v21, v15, s4
	v_cmp_eq_u32_e64 s5, 5, v87
	s_delay_alu instid0(VALU_DEP_3) | instskip(SKIP_1) | instid1(VALU_DEP_3)
	v_cndmask_b32_e32 v18, v18, v3, vcc_lo
	v_cmp_eq_u32_e32 vcc_lo, 4, v88
	v_cndmask_b32_e64 v19, v19, v16, s5
	s_delay_alu instid0(VALU_DEP_3) | instskip(SKIP_4) | instid1(VALU_DEP_3)
	v_cndmask_b32_e64 v18, v18, v12, s5
	v_cndmask_b32_e32 v21, v21, v7, vcc_lo
	v_cndmask_b32_e64 v20, v20, v11, s4
	v_cmp_eq_u32_e64 s4, 5, v88
	v_cmp_eq_u32_e64 s5, 6, v87
	v_cndmask_b32_e32 v20, v20, v3, vcc_lo
	s_delay_alu instid0(VALU_DEP_3) | instskip(SKIP_1) | instid1(VALU_DEP_4)
	v_cndmask_b32_e64 v21, v21, v16, s4
	v_cmp_eq_u32_e32 vcc_lo, 6, v88
	v_cndmask_b32_e64 v18, v18, v4, s5
	v_cndmask_b32_e64 v19, v19, v8, s5
	;; [unrolled: 1-line block ×3, first 2 shown]
	v_cmp_eq_u32_e64 s4, 1, v89
	v_cmp_eq_u32_e64 s5, 7, v87
	s_delay_alu instid0(VALU_DEP_3) | instskip(NEXT) | instid1(VALU_DEP_3)
	v_cndmask_b32_e32 v20, v20, v4, vcc_lo
	v_cndmask_b32_e64 v1, v1, v10, s4
	v_cndmask_b32_e64 v5, v5, v14, s4
	v_cmp_eq_u32_e64 s4, 3, v86
	v_cndmask_b32_e64 v14, v23, v6, s7
	v_cmp_eq_u32_e64 s7, 3, v89
	v_cndmask_b32_e64 v1, v1, v2, s3
	v_cndmask_b32_e64 v2, v5, v6, s3
	;; [unrolled: 1-line block ×3, first 2 shown]
	v_cmp_eq_u32_e64 s3, 4, v86
	v_cndmask_b32_e64 v6, v14, v15, s4
	v_cndmask_b32_e64 v1, v1, v11, s7
	v_cmp_eq_u32_e64 s4, 4, v89
	v_cndmask_b32_e64 v2, v2, v15, s7
	v_cndmask_b32_e64 v5, v10, v3, s3
	;; [unrolled: 3-line block ×3, first 2 shown]
	v_cndmask_b32_e64 v2, v2, v7, s4
	v_cmp_eq_u32_e64 s3, 5, v89
	v_cndmask_b32_e64 v5, v5, v12, s7
	v_cmp_eq_u32_e64 s4, 6, v86
	;; [unrolled: 2-line block ×3, first 2 shown]
	v_cndmask_b32_e64 v1, v1, v12, s3
	v_cndmask_b32_e64 v2, v2, v16, s3
	;; [unrolled: 1-line block ×4, first 2 shown]
	v_cmp_eq_u32_e64 s3, 7, v89
	v_cndmask_b32_e64 v1, v1, v4, s7
	v_cndmask_b32_e64 v2, v2, v8, s7
	v_cmp_eq_u32_e64 s4, 7, v86
	v_cndmask_b32_e32 v4, v21, v8, vcc_lo
	v_cndmask_b32_e64 v18, v18, v13, s5
	v_cndmask_b32_e64 v20, v20, v13, s6
	;; [unrolled: 1-line block ×8, first 2 shown]
	s_mov_b32 s3, exec_lo
	v_perm_b32 v4, v2, v1, 0x5040100
	v_perm_b32 v3, v3, v5, 0x5040100
	;; [unrolled: 1-line block ×4, first 2 shown]
	ds_store_b128 v9, v[1:4]
	s_waitcnt lgkmcnt(0)
	s_barrier
	buffer_gl0_inv
	v_cmpx_gt_u32_e32 32, v0
	s_cbranch_execz .LBB764_2
; %bb.113:
	s_load_b64 s[4:5], s[0:1], 0x68
	v_add_nc_u32_e32 v20, s31, v83
	v_lshlrev_b32_e32 v0, 10, v0
	v_lshlrev_b32_e32 v1, 4, v84
	s_lshl_b32 s0, s34, 7
	s_delay_alu instid0(SALU_CYCLE_1)
	s_mul_i32 s1, s0, s30
	v_add_nc_u32_e32 v2, 2, v20
	s_mul_i32 s6, s1, s8
	v_and_or_b32 v0, 0x3800, v0, v1
	v_mul_lo_u32 v1, v20, s0
	s_ashr_i32 s7, s6, 31
	v_mul_lo_u32 v11, v2, s0
	s_lshl_b64 s[6:7], s[6:7], 1
	v_add_nc_u32_e32 v3, 4, v20
	v_lshl_or_b32 v21, v83, 6, v0
	v_add_nc_u32_e32 v16, 6, v20
	v_ashrrev_i32_e32 v2, 31, v1
	s_delay_alu instid0(VALU_DEP_4)
	v_mul_lo_u32 v13, v3, s0
	s_waitcnt lgkmcnt(0)
	s_add_u32 s1, s4, s6
	s_addc_u32 s3, s5, s7
	s_lshl_b32 s4, s14, 7
	ds_load_b128 v[3:6], v21
	ds_load_b128 v[7:10], v21 offset:128
	s_ashr_i32 s5, s4, 31
	v_ashrrev_i32_e32 v12, 31, v11
	s_lshl_b64 s[4:5], s[4:5], 1
	v_lshlrev_b64 v[14:15], 1, v[1:2]
	s_add_u32 s1, s1, s4
	s_addc_u32 s3, s3, s5
	v_add_co_u32 v1, vcc_lo, s1, v81
	v_add_co_ci_u32_e32 v2, vcc_lo, s3, v82, vcc_lo
	v_lshlrev_b64 v[11:12], 1, v[11:12]
	s_delay_alu instid0(VALU_DEP_3) | instskip(SKIP_1) | instid1(VALU_DEP_4)
	v_add_co_u32 v18, vcc_lo, v1, v14
	v_mul_lo_u32 v16, v16, s0
	v_add_co_ci_u32_e32 v19, vcc_lo, v2, v15, vcc_lo
	s_delay_alu instid0(VALU_DEP_4)
	v_add_co_u32 v11, vcc_lo, v1, v11
	v_ashrrev_i32_e32 v14, 31, v13
	v_add_co_ci_u32_e32 v12, vcc_lo, v2, v12, vcc_lo
	v_add_nc_u32_e32 v15, 8, v20
	v_ashrrev_i32_e32 v17, 31, v16
	s_waitcnt lgkmcnt(1)
	global_store_b128 v[18:19], v[3:6], off
	v_lshlrev_b64 v[3:4], 1, v[13:14]
	s_waitcnt lgkmcnt(0)
	global_store_b128 v[11:12], v[7:10], off
	v_mul_lo_u32 v11, v15, s0
	v_add_nc_u32_e32 v7, 10, v20
	v_lshlrev_b64 v[5:6], 1, v[16:17]
	v_add_co_u32 v23, vcc_lo, v1, v3
	v_add_nc_u32_e32 v3, 12, v20
	s_delay_alu instid0(VALU_DEP_4)
	v_mul_lo_u32 v25, v7, s0
	v_ashrrev_i32_e32 v12, 31, v11
	v_add_co_ci_u32_e32 v24, vcc_lo, v2, v4, vcc_lo
	v_add_co_u32 v27, vcc_lo, v1, v5
	v_mul_lo_u32 v29, v3, s0
	v_add_co_ci_u32_e32 v28, vcc_lo, v2, v6, vcc_lo
	ds_load_b128 v[3:6], v21 offset:256
	ds_load_b128 v[7:10], v21 offset:384
	v_lshlrev_b64 v[31:32], 1, v[11:12]
	ds_load_b128 v[11:14], v21 offset:512
	ds_load_b128 v[15:18], v21 offset:640
	;; [unrolled: 1-line block ×3, first 2 shown]
	v_ashrrev_i32_e32 v26, 31, v25
	v_ashrrev_i32_e32 v30, 31, v29
	v_add_co_u32 v31, vcc_lo, v1, v31
	s_delay_alu instid0(VALU_DEP_3) | instskip(NEXT) | instid1(VALU_DEP_3)
	v_lshlrev_b64 v[25:26], 1, v[25:26]
	v_lshlrev_b64 v[29:30], 1, v[29:30]
	v_add_co_ci_u32_e32 v32, vcc_lo, v2, v32, vcc_lo
	s_delay_alu instid0(VALU_DEP_3) | instskip(NEXT) | instid1(VALU_DEP_4)
	v_add_co_u32 v25, vcc_lo, v1, v25
	v_add_co_ci_u32_e32 v26, vcc_lo, v2, v26, vcc_lo
	s_delay_alu instid0(VALU_DEP_4)
	v_add_co_u32 v29, vcc_lo, v1, v29
	v_add_co_ci_u32_e32 v30, vcc_lo, v2, v30, vcc_lo
	s_waitcnt lgkmcnt(4)
	global_store_b128 v[23:24], v[3:6], off
	s_waitcnt lgkmcnt(3)
	global_store_b128 v[27:28], v[7:10], off
	;; [unrolled: 2-line block ×5, first 2 shown]
	s_and_b32 exec_lo, exec_lo, s2
	s_cbranch_execz .LBB764_2
; %bb.114:
	ds_load_b128 v[3:6], v0 offset:896
	s_add_i32 s1, s31, 14
	s_delay_alu instid0(SALU_CYCLE_1) | instskip(NEXT) | instid1(SALU_CYCLE_1)
	s_mul_i32 s0, s1, s0
	s_ashr_i32 s1, s0, 31
	s_delay_alu instid0(SALU_CYCLE_1) | instskip(NEXT) | instid1(SALU_CYCLE_1)
	s_lshl_b64 s[0:1], s[0:1], 1
	v_add_co_u32 v0, vcc_lo, v1, s0
	v_add_co_ci_u32_e32 v1, vcc_lo, s1, v2, vcc_lo
	s_waitcnt lgkmcnt(0)
	global_store_b128 v[0:1], v[3:6], off
	s_nop 0
	s_sendmsg sendmsg(MSG_DEALLOC_VGPRS)
	s_endpgm
	.section	.rodata,"a",@progbits
	.p2align	6, 0x0
	.amdhsa_kernel _Z39paged_attention_ll4mi_QKV_mfma16_kernelI14__hip_bfloat16S0_LN4vllm18Fp8KVCacheDataTypeE0ES0_Li32ELi128ELi256ELb0ELi15EL8MFMAType0EEvPKT_PKT0_S9_ifPKiSB_SB_iPKfiiiPfSE_PS4_PT2_iSD_SD_
		.amdhsa_group_segment_fixed_size 17472
		.amdhsa_private_segment_fixed_size 0
		.amdhsa_kernarg_size 400
		.amdhsa_user_sgpr_count 13
		.amdhsa_user_sgpr_dispatch_ptr 0
		.amdhsa_user_sgpr_queue_ptr 0
		.amdhsa_user_sgpr_kernarg_segment_ptr 1
		.amdhsa_user_sgpr_dispatch_id 0
		.amdhsa_user_sgpr_private_segment_size 0
		.amdhsa_wavefront_size32 1
		.amdhsa_uses_dynamic_stack 0
		.amdhsa_enable_private_segment 0
		.amdhsa_system_sgpr_workgroup_id_x 1
		.amdhsa_system_sgpr_workgroup_id_y 1
		.amdhsa_system_sgpr_workgroup_id_z 1
		.amdhsa_system_sgpr_workgroup_info 0
		.amdhsa_system_vgpr_workitem_id 0
		.amdhsa_next_free_vgpr 157
		.amdhsa_next_free_sgpr 38
		.amdhsa_reserve_vcc 1
		.amdhsa_float_round_mode_32 0
		.amdhsa_float_round_mode_16_64 0
		.amdhsa_float_denorm_mode_32 3
		.amdhsa_float_denorm_mode_16_64 3
		.amdhsa_dx10_clamp 1
		.amdhsa_ieee_mode 1
		.amdhsa_fp16_overflow 0
		.amdhsa_workgroup_processor_mode 1
		.amdhsa_memory_ordered 1
		.amdhsa_forward_progress 0
		.amdhsa_shared_vgpr_count 0
		.amdhsa_exception_fp_ieee_invalid_op 0
		.amdhsa_exception_fp_denorm_src 0
		.amdhsa_exception_fp_ieee_div_zero 0
		.amdhsa_exception_fp_ieee_overflow 0
		.amdhsa_exception_fp_ieee_underflow 0
		.amdhsa_exception_fp_ieee_inexact 0
		.amdhsa_exception_int_div_zero 0
	.end_amdhsa_kernel
	.section	.text._Z39paged_attention_ll4mi_QKV_mfma16_kernelI14__hip_bfloat16S0_LN4vllm18Fp8KVCacheDataTypeE0ES0_Li32ELi128ELi256ELb0ELi15EL8MFMAType0EEvPKT_PKT0_S9_ifPKiSB_SB_iPKfiiiPfSE_PS4_PT2_iSD_SD_,"axG",@progbits,_Z39paged_attention_ll4mi_QKV_mfma16_kernelI14__hip_bfloat16S0_LN4vllm18Fp8KVCacheDataTypeE0ES0_Li32ELi128ELi256ELb0ELi15EL8MFMAType0EEvPKT_PKT0_S9_ifPKiSB_SB_iPKfiiiPfSE_PS4_PT2_iSD_SD_,comdat
.Lfunc_end764:
	.size	_Z39paged_attention_ll4mi_QKV_mfma16_kernelI14__hip_bfloat16S0_LN4vllm18Fp8KVCacheDataTypeE0ES0_Li32ELi128ELi256ELb0ELi15EL8MFMAType0EEvPKT_PKT0_S9_ifPKiSB_SB_iPKfiiiPfSE_PS4_PT2_iSD_SD_, .Lfunc_end764-_Z39paged_attention_ll4mi_QKV_mfma16_kernelI14__hip_bfloat16S0_LN4vllm18Fp8KVCacheDataTypeE0ES0_Li32ELi128ELi256ELb0ELi15EL8MFMAType0EEvPKT_PKT0_S9_ifPKiSB_SB_iPKfiiiPfSE_PS4_PT2_iSD_SD_
                                        ; -- End function
	.section	.AMDGPU.csdata,"",@progbits
; Kernel info:
; codeLenInByte = 10012
; NumSgprs: 40
; NumVgprs: 157
; ScratchSize: 0
; MemoryBound: 0
; FloatMode: 240
; IeeeMode: 1
; LDSByteSize: 17472 bytes/workgroup (compile time only)
; SGPRBlocks: 4
; VGPRBlocks: 19
; NumSGPRsForWavesPerEU: 40
; NumVGPRsForWavesPerEU: 157
; Occupancy: 9
; WaveLimiterHint : 1
; COMPUTE_PGM_RSRC2:SCRATCH_EN: 0
; COMPUTE_PGM_RSRC2:USER_SGPR: 13
; COMPUTE_PGM_RSRC2:TRAP_HANDLER: 0
; COMPUTE_PGM_RSRC2:TGID_X_EN: 1
; COMPUTE_PGM_RSRC2:TGID_Y_EN: 1
; COMPUTE_PGM_RSRC2:TGID_Z_EN: 1
; COMPUTE_PGM_RSRC2:TIDIG_COMP_CNT: 0
	.section	.text._Z39paged_attention_ll4mi_QKV_mfma16_kernelI14__hip_bfloat16S0_LN4vllm18Fp8KVCacheDataTypeE0ES0_Li32ELi128ELi256ELb0ELi16EL8MFMAType0EEvPKT_PKT0_S9_ifPKiSB_SB_iPKfiiiPfSE_PS4_PT2_iSD_SD_,"axG",@progbits,_Z39paged_attention_ll4mi_QKV_mfma16_kernelI14__hip_bfloat16S0_LN4vllm18Fp8KVCacheDataTypeE0ES0_Li32ELi128ELi256ELb0ELi16EL8MFMAType0EEvPKT_PKT0_S9_ifPKiSB_SB_iPKfiiiPfSE_PS4_PT2_iSD_SD_,comdat
	.protected	_Z39paged_attention_ll4mi_QKV_mfma16_kernelI14__hip_bfloat16S0_LN4vllm18Fp8KVCacheDataTypeE0ES0_Li32ELi128ELi256ELb0ELi16EL8MFMAType0EEvPKT_PKT0_S9_ifPKiSB_SB_iPKfiiiPfSE_PS4_PT2_iSD_SD_ ; -- Begin function _Z39paged_attention_ll4mi_QKV_mfma16_kernelI14__hip_bfloat16S0_LN4vllm18Fp8KVCacheDataTypeE0ES0_Li32ELi128ELi256ELb0ELi16EL8MFMAType0EEvPKT_PKT0_S9_ifPKiSB_SB_iPKfiiiPfSE_PS4_PT2_iSD_SD_
	.globl	_Z39paged_attention_ll4mi_QKV_mfma16_kernelI14__hip_bfloat16S0_LN4vllm18Fp8KVCacheDataTypeE0ES0_Li32ELi128ELi256ELb0ELi16EL8MFMAType0EEvPKT_PKT0_S9_ifPKiSB_SB_iPKfiiiPfSE_PS4_PT2_iSD_SD_
	.p2align	8
	.type	_Z39paged_attention_ll4mi_QKV_mfma16_kernelI14__hip_bfloat16S0_LN4vllm18Fp8KVCacheDataTypeE0ES0_Li32ELi128ELi256ELb0ELi16EL8MFMAType0EEvPKT_PKT0_S9_ifPKiSB_SB_iPKfiiiPfSE_PS4_PT2_iSD_SD_,@function
_Z39paged_attention_ll4mi_QKV_mfma16_kernelI14__hip_bfloat16S0_LN4vllm18Fp8KVCacheDataTypeE0ES0_Li32ELi128ELi256ELb0ELi16EL8MFMAType0EEvPKT_PKT0_S9_ifPKiSB_SB_iPKfiiiPfSE_PS4_PT2_iSD_SD_: ; @_Z39paged_attention_ll4mi_QKV_mfma16_kernelI14__hip_bfloat16S0_LN4vllm18Fp8KVCacheDataTypeE0ES0_Li32ELi128ELi256ELb0ELi16EL8MFMAType0EEvPKT_PKT0_S9_ifPKiSB_SB_iPKfiiiPfSE_PS4_PT2_iSD_SD_
; %bb.0:
	s_load_b64 s[2:3], s[0:1], 0x30
	s_mov_b32 s30, s13
	s_waitcnt lgkmcnt(0)
	s_cmp_lg_u64 s[2:3], 0
	s_cselect_b32 s6, -1, 0
	s_ashr_i32 s31, s13, 31
	s_cmp_eq_u64 s[2:3], 0
	s_cbranch_scc1 .LBB765_3
; %bb.1:
	s_lshl_b64 s[4:5], s[30:31], 2
	s_delay_alu instid0(SALU_CYCLE_1) | instskip(SKIP_4) | instid1(SALU_CYCLE_1)
	s_add_u32 s4, s2, s4
	s_addc_u32 s5, s3, s5
	s_load_b64 s[4:5], s[4:5], 0x0
	s_waitcnt lgkmcnt(0)
	s_sub_i32 s4, s5, s4
	s_cmp_eq_u32 s4, 1
	s_cselect_b32 s4, -1, 0
	s_delay_alu instid0(SALU_CYCLE_1)
	s_and_not1_b32 vcc_lo, exec_lo, s4
	s_cbranch_vccz .LBB765_4
.LBB765_2:
	s_endpgm
.LBB765_3:
.LBB765_4:
	s_load_b64 s[8:9], s[0:1], 0x28
	s_lshl_b64 s[4:5], s[30:31], 2
	s_waitcnt lgkmcnt(0)
	s_add_u32 s8, s8, s4
	s_addc_u32 s9, s9, s5
	s_lshl_b32 s12, s14, 8
	s_load_b32 s17, s[8:9], 0x0
	s_waitcnt lgkmcnt(0)
	s_cmp_ge_i32 s12, s17
	s_cbranch_scc1 .LBB765_2
; %bb.5:
	s_and_not1_b32 vcc_lo, exec_lo, s6
	s_cbranch_vccnz .LBB765_7
; %bb.6:
	s_add_u32 s2, s2, s4
	s_addc_u32 s3, s3, s5
	s_load_b32 s13, s[2:3], 0x0
	s_branch .LBB765_8
.LBB765_7:
	s_mov_b32 s13, s30
.LBB765_8:
	s_clause 0x2
	s_load_b128 s[8:11], s[0:1], 0x8
	s_load_b64 s[2:3], s[0:1], 0x20
	s_load_b128 s[4:7], s[0:1], 0x48
	v_and_b32_e32 v74, 15, v0
	s_waitcnt lgkmcnt(0)
	s_mov_b32 s7, exec_lo
	s_delay_alu instid0(VALU_DEP_1)
	v_lshlrev_b32_e32 v1, 3, v74
	v_cmpx_lt_u32_e32 0xff, v0
	s_xor_b32 s7, exec_lo, s7
; %bb.9:
	v_mov_b32_e32 v2, 0
; %bb.10:
	s_or_saveexec_b32 s7, s7
	v_lshrrev_b32_e32 v73, 5, v0
	v_and_b32_e32 v75, 31, v0
	v_and_b32_e32 v84, 1, v0
	v_bfe_u32 v83, v0, 4, 1
	s_lshl_b32 s29, s15, 4
	s_xor_b32 exec_lo, exec_lo, s7
	s_cbranch_execz .LBB765_12
; %bb.11:
	s_delay_alu instid0(VALU_DEP_1)
	v_lshl_or_b32 v7, v73, 1, v83
	s_load_b64 s[18:19], s[0:1], 0x0
	s_mul_hi_i32 s21, s13, s4
	s_mul_i32 s20, s13, s4
	v_lshlrev_b32_e32 v4, 1, v1
	v_or_b32_e32 v2, s29, v7
	s_lshl_b64 s[20:21], s[20:21], 1
	v_lshlrev_b32_e32 v7, 6, v7
	v_lshlrev_b32_e32 v8, 10, v84
	s_delay_alu instid0(VALU_DEP_3) | instskip(NEXT) | instid1(VALU_DEP_1)
	v_lshlrev_b32_e32 v2, 7, v2
	v_ashrrev_i32_e32 v3, 31, v2
	s_delay_alu instid0(VALU_DEP_1) | instskip(SKIP_3) | instid1(VALU_DEP_1)
	v_lshlrev_b64 v[2:3], 1, v[2:3]
	s_waitcnt lgkmcnt(0)
	s_add_u32 s4, s18, s20
	s_addc_u32 s13, s19, s21
	v_add_co_u32 v2, vcc_lo, s4, v2
	s_delay_alu instid0(VALU_DEP_2) | instskip(NEXT) | instid1(VALU_DEP_2)
	v_add_co_ci_u32_e32 v3, vcc_lo, s13, v3, vcc_lo
	v_add_co_u32 v2, vcc_lo, v2, v4
	s_delay_alu instid0(VALU_DEP_2) | instskip(SKIP_2) | instid1(VALU_DEP_1)
	v_add_co_ci_u32_e32 v3, vcc_lo, 0, v3, vcc_lo
	global_load_b128 v[3:6], v[2:3], off
	v_lshlrev_b32_e32 v2, 10, v74
	v_and_b32_e32 v2, 0x3800, v2
	s_delay_alu instid0(VALU_DEP_1)
	v_or3_b32 v7, v2, v8, v7
	v_mov_b32_e32 v2, 0
	s_waitcnt vmcnt(0)
	ds_store_b128 v7, v[3:6]
.LBB765_12:
	s_or_b32 exec_lo, exec_lo, s7
	v_and_b32_e32 v3, 0xef, v0
	s_add_i32 s4, s17, 31
	s_clause 0x1
	s_load_b32 s7, s[0:1], 0x38
	s_load_b32 s18, s[0:1], 0x1c
	s_ashr_i32 s13, s4, 31
	v_add_nc_u32_e32 v3, s12, v3
	s_lshr_b32 s13, s13, 27
	s_waitcnt lgkmcnt(0)
	s_add_i32 s4, s4, s13
	s_barrier
	v_ashrrev_i32_e32 v4, 31, v3
	v_cmp_gt_i32_e32 vcc_lo, s17, v3
	s_ashr_i32 s4, s4, 5
	buffer_gl0_inv
	s_add_i32 s4, s4, -1
	v_lshrrev_b32_e32 v5, 27, v4
	v_or_b32_e32 v4, 16, v3
	v_lshlrev_b64 v[81:82], 1, v[1:2]
	s_delay_alu instid0(VALU_DEP_3) | instskip(NEXT) | instid1(VALU_DEP_3)
	v_add_nc_u32_e32 v6, v3, v5
	v_add_nc_u32_e32 v5, v4, v5
	s_mul_i32 s20, s30, s7
	s_delay_alu instid0(SALU_CYCLE_1) | instskip(NEXT) | instid1(VALU_DEP_2)
	s_ashr_i32 s21, s20, 31
	v_ashrrev_i32_e32 v6, 5, v6
	s_delay_alu instid0(VALU_DEP_2) | instskip(SKIP_1) | instid1(SALU_CYCLE_1)
	v_ashrrev_i32_e32 v5, 5, v5
	s_lshl_b64 s[20:21], s[20:21], 2
	s_add_u32 s13, s2, s20
	s_delay_alu instid0(VALU_DEP_2) | instskip(SKIP_3) | instid1(SALU_CYCLE_1)
	v_cndmask_b32_e32 v3, s4, v6, vcc_lo
	v_cmp_gt_i32_e32 vcc_lo, s17, v4
	s_addc_u32 s16, s3, s21
	s_mul_i32 s2, s15, s6
	s_ashr_i32 s3, s2, 31
	v_cndmask_b32_e32 v5, s4, v5, vcc_lo
	v_ashrrev_i32_e32 v4, 31, v3
	s_lshl_b64 s[2:3], s[2:3], 1
	s_delay_alu instid0(SALU_CYCLE_1) | instskip(NEXT) | instid1(VALU_DEP_2)
	s_add_u32 s15, s8, s2
	v_ashrrev_i32_e32 v6, 31, v5
	s_delay_alu instid0(VALU_DEP_2) | instskip(SKIP_2) | instid1(VALU_DEP_2)
	v_lshlrev_b64 v[3:4], 2, v[3:4]
	s_addc_u32 s19, s9, s3
	s_lshl_b32 s6, s14, 3
	v_lshlrev_b64 v[5:6], 2, v[5:6]
	s_ashr_i32 s7, s6, 31
	s_delay_alu instid0(VALU_DEP_2) | instskip(SKIP_1) | instid1(VALU_DEP_3)
	v_add_co_u32 v3, vcc_lo, s13, v3
	v_add_co_ci_u32_e32 v4, vcc_lo, s16, v4, vcc_lo
	v_add_co_u32 v5, vcc_lo, s13, v5
	s_delay_alu instid0(VALU_DEP_4)
	v_add_co_ci_u32_e32 v6, vcc_lo, s16, v6, vcc_lo
	s_lshl_b64 s[6:7], s[6:7], 2
	s_clause 0x1
	global_load_b32 v7, v[3:4], off
	global_load_b32 v8, v[5:6], off
	s_add_u32 s6, s13, s6
	s_addc_u32 s7, s16, s7
	s_or_b32 s8, s12, 32
	s_delay_alu instid0(SALU_CYCLE_1) | instskip(SKIP_2) | instid1(SALU_CYCLE_1)
	s_ashr_i32 s9, s8, 5
	s_cmp_lt_i32 s8, s17
	s_cselect_b32 s8, s9, s4
	s_ashr_i32 s9, s8, 31
	s_delay_alu instid0(SALU_CYCLE_1) | instskip(NEXT) | instid1(SALU_CYCLE_1)
	s_lshl_b64 s[8:9], s[8:9], 2
	s_add_u32 s8, s13, s8
	s_addc_u32 s9, s16, s9
	s_or_b32 s20, s12, 64
	s_delay_alu instid0(SALU_CYCLE_1) | instskip(SKIP_2) | instid1(SALU_CYCLE_1)
	s_ashr_i32 s21, s20, 5
	s_cmp_lt_i32 s20, s17
	s_cselect_b32 s20, s21, s4
	s_ashr_i32 s21, s20, 31
	s_delay_alu instid0(SALU_CYCLE_1) | instskip(NEXT) | instid1(SALU_CYCLE_1)
	s_lshl_b64 s[20:21], s[20:21], 2
	;; [unrolled: 10-line block ×5, first 2 shown]
	s_add_u32 s26, s13, s26
	s_addc_u32 s27, s16, s27
	s_clause 0x5
	s_load_b32 s28, s[6:7], 0x0
	s_load_b32 s31, s[8:9], 0x0
	;; [unrolled: 1-line block ×6, first 2 shown]
	s_mov_b32 s20, 0
	s_or_b32 s6, s12, 0xc0
	s_mov_b32 s21, s20
	s_mov_b32 s22, s20
	;; [unrolled: 1-line block ×7, first 2 shown]
	v_lshlrev_b32_e32 v85, 6, v74
	v_dual_mov_b32 v109, s27 :: v_dual_mov_b32 v102, s20
	v_dual_mov_b32 v108, s26 :: v_dual_mov_b32 v107, s25
	;; [unrolled: 1-line block ×4, first 2 shown]
	s_ashr_i32 s7, s6, 5
	s_cmp_lt_i32 s6, s17
	s_waitcnt lgkmcnt(0)
	s_mul_hi_i32 s27, s34, s5
	s_cselect_b32 s6, s7, s4
	s_mul_i32 s26, s34, s5
	s_ashr_i32 s7, s6, 31
	s_mul_hi_i32 s9, s28, s5
	s_lshl_b64 s[6:7], s[6:7], 2
	s_mul_i32 s8, s28, s5
	s_add_u32 s6, s13, s6
	s_addc_u32 s7, s16, s7
	s_mul_hi_i32 s21, s31, s5
	s_mul_i32 s20, s31, s5
	s_mul_hi_i32 s25, s33, s5
	s_mul_i32 s24, s33, s5
	;; [unrolled: 2-line block ×3, first 2 shown]
	s_waitcnt vmcnt(1)
	v_mad_i64_i32 v[3:4], null, v7, s5, 0
	s_waitcnt vmcnt(0)
	v_mad_i64_i32 v[5:6], null, v8, s5, 0
	s_delay_alu instid0(VALU_DEP_2) | instskip(NEXT) | instid1(VALU_DEP_2)
	v_lshlrev_b64 v[3:4], 1, v[3:4]
	v_lshlrev_b64 v[1:2], 1, v[5:6]
	s_delay_alu instid0(VALU_DEP_2) | instskip(NEXT) | instid1(VALU_DEP_3)
	v_add_co_u32 v3, vcc_lo, s15, v3
	v_add_co_ci_u32_e32 v4, vcc_lo, s19, v4, vcc_lo
	s_delay_alu instid0(VALU_DEP_3) | instskip(NEXT) | instid1(VALU_DEP_4)
	v_add_co_u32 v1, vcc_lo, s15, v1
	v_add_co_ci_u32_e32 v2, vcc_lo, s19, v2, vcc_lo
	s_delay_alu instid0(VALU_DEP_4) | instskip(NEXT) | instid1(VALU_DEP_4)
	v_add_co_u32 v65, vcc_lo, v3, v81
	v_add_co_ci_u32_e32 v66, vcc_lo, v4, v82, vcc_lo
	s_delay_alu instid0(VALU_DEP_4) | instskip(NEXT) | instid1(VALU_DEP_4)
	v_add_co_u32 v76, vcc_lo, v1, v81
	v_add_co_ci_u32_e32 v77, vcc_lo, v2, v82, vcc_lo
	s_clause 0xf
	global_load_b128 v[1:4], v[65:66], off
	global_load_b128 v[5:8], v[65:66], off offset:512
	global_load_b128 v[9:12], v[76:77], off offset:256
	;; [unrolled: 1-line block ×15, first 2 shown]
	v_add_co_u32 v78, vcc_lo, 0x1000, v65
	v_add_co_ci_u32_e32 v79, vcc_lo, 0, v66, vcc_lo
	v_add_co_u32 v76, vcc_lo, 0x1000, v76
	s_clause 0x1
	global_load_b128 v[65:68], v[78:79], off
	global_load_b128 v[69:72], v[78:79], off offset:512
	v_add_co_ci_u32_e32 v77, vcc_lo, 0, v77, vcc_lo
	ds_load_b128 v[86:89], v85
	ds_load_b128 v[90:93], v85 offset:1024
	s_clause 0x1
	global_load_b128 v[94:97], v[76:77], off offset:256
	global_load_b128 v[98:101], v[76:77], off offset:768
	ds_load_b128 v[110:113], v85 offset:2048
	ds_load_b128 v[114:117], v85 offset:3072
	s_or_b32 s15, s12, 0xe0
	s_delay_alu instid0(SALU_CYCLE_1) | instskip(SKIP_2) | instid1(SALU_CYCLE_1)
	s_ashr_i32 s19, s15, 5
	s_cmp_lt_i32 s15, s17
	s_cselect_b32 s22, s19, s4
	s_ashr_i32 s23, s22, 31
	s_delay_alu instid0(SALU_CYCLE_1) | instskip(NEXT) | instid1(SALU_CYCLE_1)
	s_lshl_b64 s[22:23], s[22:23], 2
	s_add_u32 s22, s13, s22
	s_addc_u32 s23, s16, s23
	s_add_i32 s15, s12, 0x100
	s_delay_alu instid0(SALU_CYCLE_1)
	s_ashr_i32 s19, s15, 5
	s_cmp_lt_i32 s15, s17
	s_cselect_b32 s34, s19, s4
	s_waitcnt vmcnt(18) lgkmcnt(2)
	v_wmma_f32_16x16x16_bf16 v[118:125], v[1:8], v[86:93], v[102:109]
	s_waitcnt vmcnt(16)
	v_wmma_f32_16x16x16_bf16 v[102:109], v[9:16], v[86:93], v[102:109]
	s_clause 0x3
	global_load_b128 v[1:4], v[78:79], off offset:1024
	global_load_b128 v[5:8], v[78:79], off offset:1536
	;; [unrolled: 1-line block ×4, first 2 shown]
	s_waitcnt vmcnt(18) lgkmcnt(0)
	v_wmma_f32_16x16x16_bf16 v[118:125], v[17:24], v[110:117], v[118:125]
	s_clause 0x1
	global_load_b128 v[17:20], v[78:79], off offset:2048
	global_load_b128 v[21:24], v[78:79], off offset:2560
	s_waitcnt vmcnt(18)
	v_wmma_f32_16x16x16_bf16 v[102:109], v[25:32], v[110:117], v[102:109]
	ds_load_b128 v[25:28], v85 offset:4096
	ds_load_b128 v[29:32], v85 offset:5120
	s_clause 0x5
	global_load_b128 v[86:89], v[76:77], off offset:2304
	global_load_b128 v[90:93], v[76:77], off offset:2816
	;; [unrolled: 1-line block ×6, first 2 shown]
	s_waitcnt vmcnt(22) lgkmcnt(0)
	v_wmma_f32_16x16x16_bf16 v[118:125], v[33:40], v[25:32], v[118:125]
	s_waitcnt vmcnt(20)
	v_wmma_f32_16x16x16_bf16 v[102:109], v[41:48], v[25:32], v[102:109]
	ds_load_b128 v[25:28], v85 offset:6144
	ds_load_b128 v[29:32], v85 offset:7168
	ds_load_b128 v[33:36], v85 offset:8192
	ds_load_b128 v[37:40], v85 offset:9216
	v_lshl_or_b32 v41, v73, 10, v85
	s_waitcnt vmcnt(18) lgkmcnt(2)
	v_wmma_f32_16x16x16_bf16 v[118:125], v[49:56], v[25:32], v[118:125]
	s_waitcnt vmcnt(16)
	v_wmma_f32_16x16x16_bf16 v[102:109], v[57:64], v[25:32], v[102:109]
	ds_load_b128 v[25:28], v85 offset:10240
	ds_load_b128 v[29:32], v85 offset:11264
	;; [unrolled: 1-line block ×6, first 2 shown]
	s_load_b32 s15, s[6:7], 0x0
	s_mul_hi_i32 s7, s35, s5
	s_mul_i32 s6, s35, s5
	s_ashr_i32 s35, s34, 31
	s_waitcnt vmcnt(14) lgkmcnt(0)
	v_wmma_f32_16x16x16_bf16 v[118:125], v[65:72], v[33:40], v[118:125]
	s_lshl_b64 s[34:35], s[34:35], 2
	s_waitcnt vmcnt(12)
	v_wmma_f32_16x16x16_bf16 v[102:109], v[94:101], v[33:40], v[102:109]
	s_add_u32 s34, s13, s34
	s_addc_u32 s35, s16, s35
	s_add_u32 s4, s10, s2
	s_addc_u32 s19, s11, s3
	v_add_co_u32 v76, s4, s4, v41
	s_delay_alu instid0(VALU_DEP_1)
	v_add_co_ci_u32_e64 v77, null, s19, 0, s4
	s_lshl_b64 s[2:3], s[8:9], 1
	s_clause 0x1
	s_load_b32 s13, s[22:23], 0x0
	s_load_b32 s16, s[34:35], 0x0
	v_add_co_u32 v41, vcc_lo, v76, s2
	s_lshl_b64 s[8:9], s[20:21], 1
	v_add_co_ci_u32_e32 v42, vcc_lo, s3, v77, vcc_lo
	v_add_co_u32 v33, vcc_lo, v76, s8
	s_lshl_b64 s[10:11], s[24:25], 1
	v_add_co_ci_u32_e32 v34, vcc_lo, s9, v77, vcc_lo
	;; [unrolled: 3-line block ×4, first 2 shown]
	v_add_co_u32 v39, vcc_lo, v76, s6
	s_lshl_b64 s[22:23], s[36:37], 1
	s_mul_hi_i32 s25, s15, s5
	s_mul_i32 s24, s15, s5
	v_add_co_ci_u32_e32 v40, vcc_lo, s7, v77, vcc_lo
	s_lshl_b64 s[2:3], s[24:25], 1
	s_waitcnt lgkmcnt(0)
	s_mul_hi_i32 s7, s13, s5
	s_mul_i32 s6, s13, s5
	s_clause 0x3
	global_load_b128 v[65:68], v[41:42], off
	global_load_b128 v[69:72], v[41:42], off offset:16
	global_load_b128 v[57:60], v[33:34], off
	global_load_b128 v[61:64], v[33:34], off offset:16
	s_waitcnt vmcnt(14)
	v_wmma_f32_16x16x16_bf16 v[118:125], v[1:8], v[25:32], v[118:125]
	v_add_co_u32 v5, vcc_lo, v76, s22
	v_add_co_ci_u32_e32 v6, vcc_lo, s23, v77, vcc_lo
	s_waitcnt vmcnt(10)
	s_delay_alu instid0(VALU_DEP_3)
	v_wmma_f32_16x16x16_bf16 v[118:125], v[17:24], v[134:141], v[118:125]
	v_add_co_u32 v17, vcc_lo, v76, s2
	v_add_co_ci_u32_e32 v18, vcc_lo, s3, v77, vcc_lo
	s_lshl_b64 s[2:3], s[6:7], 1
	s_mul_hi_i32 s7, s16, s5
	s_mul_i32 s6, s16, s5
	v_add_co_u32 v19, vcc_lo, v76, s2
	v_add_co_ci_u32_e32 v20, vcc_lo, s3, v77, vcc_lo
	s_lshl_b64 s[2:3], s[6:7], 1
	v_wmma_f32_16x16x16_bf16 v[102:109], v[9:16], v[25:32], v[102:109]
	v_add_co_u32 v21, vcc_lo, v76, s2
	v_add_co_ci_u32_e32 v22, vcc_lo, s3, v77, vcc_lo
	s_clause 0xd
	global_load_b128 v[49:52], v[35:36], off
	global_load_b128 v[53:56], v[35:36], off offset:16
	global_load_b128 v[41:44], v[37:38], off
	global_load_b128 v[45:48], v[37:38], off offset:16
	;; [unrolled: 2-line block ×7, first 2 shown]
	v_and_b32_e32 v76, 0xe0, v0
	v_mbcnt_lo_u32_b32 v77, -1, 0
	s_waitcnt vmcnt(22)
	v_wmma_f32_16x16x16_bf16 v[102:109], v[86:93], v[134:141], v[102:109]
	s_waitcnt vmcnt(20)
	v_wmma_f32_16x16x16_bf16 v[118:125], v[110:117], v[142:149], v[118:125]
	s_waitcnt vmcnt(0)
	v_add_nc_u32_e32 v76, s12, v76
	v_xor_b32_e32 v78, 16, v77
	v_wmma_f32_16x16x16_bf16 v[102:109], v[126:133], v[142:149], v[102:109]
	v_dual_mul_f32 v100, s18, v125 :: v_dual_mul_f32 v97, s18, v118
	s_delay_alu instid0(VALU_DEP_4) | instskip(NEXT) | instid1(VALU_DEP_4)
	v_or_b32_e32 v76, v76, v83
	v_cmp_gt_i32_e32 vcc_lo, 32, v78
	v_mul_f32_e32 v99, s18, v119
	s_barrier
	buffer_gl0_inv
	v_or_b32_e32 v79, 4, v76
	v_cndmask_b32_e32 v77, v77, v78, vcc_lo
	v_or_b32_e32 v78, 2, v76
	v_or_b32_e32 v80, 6, v76
	v_cmp_gt_i32_e32 vcc_lo, s17, v76
	v_or_b32_e32 v86, 8, v76
	v_or_b32_e32 v87, 10, v76
	v_cmp_gt_i32_e64 s2, s17, v78
	v_or_b32_e32 v88, 12, v76
	v_or_b32_e32 v89, 14, v76
	;; [unrolled: 1-line block ×10, first 2 shown]
	v_cndmask_b32_e32 v76, 0xff7fffff, v97, vcc_lo
	v_cndmask_b32_e64 v78, 0xff7fffff, v99, s2
	v_mul_f32_e32 v99, s18, v121
	v_cmp_gt_i32_e64 s3, s17, v80
	v_mul_f32_e32 v80, s18, v120
	v_cmp_gt_i32_e64 s4, s17, v79
	v_max3_f32 v76, v76, 0xff7fffff, v78
	v_dual_mul_f32 v78, s18, v122 :: v_dual_mul_f32 v79, s18, v123
	v_cmp_gt_i32_e64 s5, s17, v86
	s_delay_alu instid0(VALU_DEP_4)
	v_cndmask_b32_e64 v80, 0xff7fffff, v80, s4
	v_cmp_gt_i32_e64 s6, s17, v87
	v_mul_f32_e32 v86, s18, v108
	v_cndmask_b32_e64 v99, 0xff7fffff, v99, s3
	v_mul_f32_e32 v97, s18, v124
	v_cndmask_b32_e64 v78, 0xff7fffff, v78, s5
	v_cndmask_b32_e64 v79, 0xff7fffff, v79, s6
	v_cmp_gt_i32_e64 s7, s17, v89
	v_max3_f32 v76, v76, v80, v99
	v_cmp_gt_i32_e64 s8, s17, v88
	v_dual_mul_f32 v99, s18, v106 :: v_dual_mul_f32 v88, s18, v103
	v_mul_f32_e32 v89, s18, v102
	s_delay_alu instid0(VALU_DEP_4)
	v_max3_f32 v76, v76, v78, v79
	v_mul_f32_e32 v78, s18, v105
	v_cndmask_b32_e64 v97, 0xff7fffff, v97, s8
	v_cndmask_b32_e64 v100, 0xff7fffff, v100, s7
	v_cmp_gt_i32_e64 s9, s17, v90
	v_cmp_gt_i32_e64 s10, s17, v91
	v_mul_f32_e32 v79, s18, v104
	v_cmp_gt_i32_e64 s11, s17, v92
	v_max3_f32 v76, v76, v97, v100
	v_cndmask_b32_e64 v89, 0xff7fffff, v89, s9
	v_cndmask_b32_e64 v88, 0xff7fffff, v88, s10
	v_cmp_gt_i32_e64 s12, s17, v93
	v_mul_f32_e32 v87, s18, v107
	v_cndmask_b32_e64 v79, 0xff7fffff, v79, s11
	v_cmp_gt_i32_e64 s13, s17, v94
	v_max3_f32 v76, v76, v89, v88
	v_cndmask_b32_e64 v78, 0xff7fffff, v78, s12
	v_cmp_gt_i32_e64 s15, s17, v95
	v_mul_f32_e32 v80, s18, v109
	v_cndmask_b32_e64 v88, 0xff7fffff, v99, s13
	v_cmp_gt_i32_e64 s16, s17, v96
	v_max3_f32 v76, v76, v79, v78
	v_cndmask_b32_e64 v87, 0xff7fffff, v87, s15
	v_cmp_gt_i32_e64 s17, s17, v98
	v_lshlrev_b32_e32 v99, 2, v77
	v_cndmask_b32_e64 v78, 0xff7fffff, v86, s16
	s_delay_alu instid0(VALU_DEP_4) | instskip(NEXT) | instid1(VALU_DEP_4)
	v_max3_f32 v76, v76, v88, v87
	v_cndmask_b32_e64 v79, 0xff7fffff, v80, s17
	s_delay_alu instid0(VALU_DEP_1) | instskip(SKIP_3) | instid1(VALU_DEP_1)
	v_max3_f32 v76, v76, v78, v79
	ds_bpermute_b32 v77, v99, v76
	s_waitcnt lgkmcnt(0)
	v_max_f32_e32 v77, v77, v77
	v_max_f32_e32 v89, v76, v77
	s_delay_alu instid0(VALU_DEP_1) | instskip(NEXT) | instid1(VALU_DEP_1)
	v_fma_f32 v80, s18, v122, -v89
	v_mul_f32_e32 v80, 0x3fb8aa3b, v80
	s_delay_alu instid0(VALU_DEP_1) | instskip(SKIP_3) | instid1(VALU_DEP_1)
	v_exp_f32_e32 v80, v80
	s_waitcnt_depctr 0xfff
	v_cndmask_b32_e64 v95, 0, v80, s5
	v_fma_f32 v80, s18, v103, -v89
	v_mul_f32_e32 v80, 0x3fb8aa3b, v80
	v_fma_f32 v78, s18, v120, -v89
	v_fma_f32 v86, s18, v124, -v89
	;; [unrolled: 1-line block ×5, first 2 shown]
	v_mul_f32_e32 v78, 0x3fb8aa3b, v78
	v_mul_f32_e32 v86, 0x3fb8aa3b, v86
	;; [unrolled: 1-line block ×3, first 2 shown]
	v_fma_f32 v98, s18, v108, -v89
	v_fma_f32 v100, s18, v109, -v89
	v_exp_f32_e32 v78, v78
	v_exp_f32_e32 v86, v86
	;; [unrolled: 1-line block ×4, first 2 shown]
	v_fma_f32 v87, s18, v106, -v89
	s_delay_alu instid0(VALU_DEP_1) | instskip(SKIP_2) | instid1(TRANS32_DEP_3)
	v_dual_mul_f32 v100, 0x3fb8aa3b, v100 :: v_dual_mul_f32 v87, 0x3fb8aa3b, v87
	v_cndmask_b32_e64 v92, 0, v78, s4
	v_fma_f32 v78, s18, v125, -v89
	v_cndmask_b32_e64 v93, 0, v86, s8
	v_fma_f32 v86, s18, v105, -v89
	v_mul_f32_e32 v77, 0x3fb8aa3b, v77
	s_delay_alu instid0(VALU_DEP_4) | instskip(SKIP_1) | instid1(VALU_DEP_3)
	v_dual_mul_f32 v79, 0x3fb8aa3b, v79 :: v_dual_mul_f32 v78, 0x3fb8aa3b, v78
	v_exp_f32_e32 v87, v87
	v_mul_f32_e32 v86, 0x3fb8aa3b, v86
	s_delay_alu instid0(VALU_DEP_3) | instskip(NEXT) | instid1(VALU_DEP_2)
	v_exp_f32_e32 v77, v77
	v_exp_f32_e32 v79, v79
	;; [unrolled: 1-line block ×5, first 2 shown]
	v_cndmask_b32_e64 v90, 0, v77, s2
	v_cndmask_b32_e64 v94, 0, v79, s3
	s_delay_alu instid0(TRANS32_DEP_3) | instskip(SKIP_4) | instid1(VALU_DEP_2)
	v_cndmask_b32_e64 v97, 0, v78, s7
	v_cndmask_b32_e32 v91, 0, v76, vcc_lo
	v_fma_f32 v76, s18, v123, -v89
	v_fma_f32 v79, s18, v102, -v89
	s_mov_b32 s2, exec_lo
	v_dual_add_f32 v77, 0, v91 :: v_dual_mul_f32 v76, 0x3fb8aa3b, v76
	s_delay_alu instid0(VALU_DEP_1) | instskip(NEXT) | instid1(VALU_DEP_2)
	v_add_f32_e32 v77, v77, v90
	v_exp_f32_e32 v76, v76
	s_delay_alu instid0(VALU_DEP_1) | instskip(NEXT) | instid1(VALU_DEP_1)
	v_add_f32_e32 v77, v77, v92
	v_add_f32_e32 v77, v77, v94
	s_waitcnt_depctr 0xfff
	v_cndmask_b32_e64 v96, 0, v76, s6
	v_add_f32_e32 v76, v77, v95
	v_fma_f32 v77, s18, v104, -v89
	s_delay_alu instid0(VALU_DEP_1) | instskip(NEXT) | instid1(VALU_DEP_1)
	v_dual_add_f32 v76, v76, v96 :: v_dual_mul_f32 v77, 0x3fb8aa3b, v77
	v_add_f32_e32 v78, v76, v93
	s_delay_alu instid0(VALU_DEP_2) | instskip(SKIP_1) | instid1(VALU_DEP_2)
	v_exp_f32_e32 v88, v77
	v_cndmask_b32_e64 v77, 0, v80, s10
	v_dual_mul_f32 v79, 0x3fb8aa3b, v79 :: v_dual_add_f32 v78, v78, v97
	s_delay_alu instid0(VALU_DEP_1) | instskip(SKIP_3) | instid1(VALU_DEP_1)
	v_exp_f32_e32 v79, v79
	s_waitcnt_depctr 0xfff
	v_cndmask_b32_e64 v76, 0, v79, s9
	v_fma_f32 v79, s18, v107, -v89
	v_dual_add_f32 v80, v78, v76 :: v_dual_mul_f32 v79, 0x3fb8aa3b, v79
	v_cndmask_b32_e64 v78, 0, v88, s11
	v_mul_f32_e32 v88, 0x3fb8aa3b, v98
	s_delay_alu instid0(VALU_DEP_3) | instskip(NEXT) | instid1(VALU_DEP_4)
	v_add_f32_e32 v80, v80, v77
	v_exp_f32_e32 v98, v79
	v_cndmask_b32_e64 v79, 0, v86, s12
	s_delay_alu instid0(VALU_DEP_3) | instskip(NEXT) | instid1(VALU_DEP_2)
	v_exp_f32_e32 v88, v88
	v_add_f32_e32 v86, v80, v78
	v_cndmask_b32_e64 v80, 0, v87, s13
	s_delay_alu instid0(VALU_DEP_2) | instskip(SKIP_4) | instid1(VALU_DEP_2)
	v_add_f32_e32 v87, v86, v79
	s_waitcnt_depctr 0xfff
	v_cndmask_b32_e64 v86, 0, v98, s15
	v_add_f32_e32 v98, v87, v80
	v_cndmask_b32_e64 v87, 0, v88, s16
	v_add_f32_e32 v88, v98, v86
	s_delay_alu instid0(VALU_DEP_1) | instskip(SKIP_1) | instid1(VALU_DEP_1)
	v_add_f32_e32 v98, v88, v87
	v_cndmask_b32_e64 v88, 0, v100, s17
	v_add_f32_e32 v98, v98, v88
	ds_bpermute_b32 v99, v99, v98
	v_cmpx_gt_u32_e32 16, v75
	s_cbranch_execz .LBB765_14
; %bb.13:
	v_mul_u32_u24_e32 v75, 0x44, v73
	s_waitcnt lgkmcnt(0)
	v_add_f32_e32 v98, v98, v99
	s_delay_alu instid0(VALU_DEP_2) | instskip(NEXT) | instid1(VALU_DEP_1)
	v_lshl_add_u32 v75, v74, 2, v75
	v_add_nc_u32_e32 v75, 0x4000, v75
	ds_store_2addr_b32 v75, v89, v98 offset1:136
.LBB765_14:
	s_or_b32 exec_lo, exec_lo, s2
	v_lshlrev_b32_e32 v74, 2, v74
	s_waitcnt lgkmcnt(0)
	s_barrier
	buffer_gl0_inv
	v_cmp_eq_u32_e64 s2, 1, v73
	v_add_nc_u32_e32 v89, 0x4000, v74
	ds_load_2addr_b32 v[98:99], v89 offset1:17
	ds_load_2addr_b32 v[100:101], v89 offset0:34 offset1:51
	ds_load_2addr_b32 v[102:103], v89 offset0:68 offset1:85
	;; [unrolled: 1-line block ×4, first 2 shown]
	s_waitcnt lgkmcnt(4)
	v_max3_f32 v74, v98, 0xff7fffff, v99
	s_waitcnt lgkmcnt(3)
	s_delay_alu instid0(VALU_DEP_1) | instskip(SKIP_1) | instid1(VALU_DEP_1)
	v_max3_f32 v74, v74, v100, v101
	s_waitcnt lgkmcnt(2)
	v_max3_f32 v74, v74, v102, v103
	s_waitcnt lgkmcnt(1)
	s_delay_alu instid0(VALU_DEP_1) | instskip(NEXT) | instid1(VALU_DEP_1)
	v_max3_f32 v74, v74, v104, v105
	v_sub_f32_e32 v108, v99, v74
	v_sub_f32_e32 v75, v98, v74
	ds_load_2addr_b32 v[98:99], v89 offset0:170 offset1:187
	v_sub_f32_e32 v100, v100, v74
	v_dual_mul_f32 v108, 0x3fb8aa3b, v108 :: v_dual_mul_f32 v75, 0x3fb8aa3b, v75
	s_delay_alu instid0(VALU_DEP_2) | instskip(NEXT) | instid1(VALU_DEP_2)
	v_mul_f32_e32 v110, 0x3fb8aa3b, v100
	v_exp_f32_e32 v108, v108
	s_delay_alu instid0(VALU_DEP_2)
	v_exp_f32_e32 v109, v75
	v_sub_f32_e32 v75, v101, v74
	ds_load_2addr_b32 v[100:101], v89 offset0:204 offset1:221
	v_exp_f32_e32 v110, v110
	v_mul_f32_e32 v111, 0x3fb8aa3b, v75
	s_waitcnt lgkmcnt(2)
	v_fma_f32 v75, v109, v106, 0
	v_sub_f32_e32 v102, v102, v74
	s_delay_alu instid0(VALU_DEP_3) | instskip(NEXT) | instid1(VALU_DEP_2)
	v_exp_f32_e32 v111, v111
	v_dual_sub_f32 v106, v103, v74 :: v_dual_fmac_f32 v75, v108, v107
	s_waitcnt lgkmcnt(1)
	s_waitcnt_depctr 0xfff
	v_fmac_f32_e32 v75, v110, v98
	v_mul_f32_e32 v112, 0x3fb8aa3b, v102
	ds_load_2addr_b32 v[102:103], v89 offset0:238 offset1:255
	v_sub_f32_e32 v89, v104, v74
	v_dual_sub_f32 v98, v105, v74 :: v_dual_fmac_f32 v75, v111, v99
	v_mul_f32_e32 v104, 0x3fb8aa3b, v106
	v_exp_f32_e32 v106, v112
	s_delay_alu instid0(VALU_DEP_2)
	v_dual_mul_f32 v89, 0x3fb8aa3b, v89 :: v_dual_mul_f32 v98, 0x3fb8aa3b, v98
	s_waitcnt lgkmcnt(0)
	s_barrier
	buffer_gl0_inv
	v_exp_f32_e32 v89, v89
	v_exp_f32_e32 v98, v98
	v_fmac_f32_e32 v75, v106, v100
	v_exp_f32_e32 v104, v104
	s_waitcnt_depctr 0xfff
	v_fmac_f32_e32 v75, v104, v101
	s_delay_alu instid0(VALU_DEP_1) | instskip(NEXT) | instid1(VALU_DEP_1)
	v_fmac_f32_e32 v75, v89, v102
	v_fmac_f32_e32 v75, v98, v103
	s_delay_alu instid0(VALU_DEP_1) | instskip(NEXT) | instid1(VALU_DEP_1)
	v_add_f32_e32 v99, 0x358637bd, v75
	v_div_scale_f32 v100, null, v99, v99, 1.0
	v_div_scale_f32 v103, vcc_lo, 1.0, v99, 1.0
	s_delay_alu instid0(VALU_DEP_2) | instskip(SKIP_2) | instid1(VALU_DEP_1)
	v_rcp_f32_e32 v101, v100
	s_waitcnt_depctr 0xfff
	v_fma_f32 v102, -v100, v101, 1.0
	v_fmac_f32_e32 v101, v102, v101
	v_cndmask_b32_e64 v102, v109, v108, s2
	v_cmp_eq_u32_e64 s2, 2, v73
	s_delay_alu instid0(VALU_DEP_3) | instskip(NEXT) | instid1(VALU_DEP_2)
	v_mul_f32_e32 v105, v103, v101
	v_cndmask_b32_e64 v102, v102, v110, s2
	v_cmp_eq_u32_e64 s2, 3, v73
	s_delay_alu instid0(VALU_DEP_3) | instskip(NEXT) | instid1(VALU_DEP_2)
	v_fma_f32 v107, -v100, v105, v103
	v_cndmask_b32_e64 v102, v102, v111, s2
	v_cmp_eq_u32_e64 s2, 4, v73
	s_delay_alu instid0(VALU_DEP_3) | instskip(NEXT) | instid1(VALU_DEP_2)
	v_fmac_f32_e32 v105, v107, v101
	v_cndmask_b32_e64 v102, v102, v106, s2
	s_delay_alu instid0(VALU_DEP_2) | instskip(SKIP_1) | instid1(VALU_DEP_2)
	v_fma_f32 v100, -v100, v105, v103
	v_cmp_eq_u32_e64 s2, 5, v73
	v_div_fmas_f32 v100, v100, v101, v105
	s_delay_alu instid0(VALU_DEP_2) | instskip(SKIP_2) | instid1(VALU_DEP_3)
	v_cndmask_b32_e64 v102, v102, v104, s2
	v_cmp_eq_u32_e32 vcc_lo, 6, v73
	s_mov_b32 s2, exec_lo
	v_div_fixup_f32 v99, v100, v99, 1.0
	s_delay_alu instid0(VALU_DEP_3) | instskip(SKIP_1) | instid1(VALU_DEP_2)
	v_cndmask_b32_e32 v89, v102, v89, vcc_lo
	v_cmp_eq_u32_e32 vcc_lo, 7, v73
	v_cndmask_b32_e32 v89, v89, v98, vcc_lo
	s_delay_alu instid0(VALU_DEP_1) | instskip(NEXT) | instid1(VALU_DEP_1)
	v_mul_f32_e32 v89, v89, v99
	v_mul_f32_e32 v99, v89, v91
	;; [unrolled: 1-line block ×6, first 2 shown]
	v_and_b32_e32 v100, 0x7f800000, v99
	v_mul_f32_e32 v98, v89, v94
	v_mul_f32_e32 v94, v89, v90
	;; [unrolled: 1-line block ×3, first 2 shown]
                                        ; implicit-def: $vgpr90
	s_delay_alu instid0(VALU_DEP_4)
	v_cmpx_ne_u32_e32 0x7f800000, v100
	s_xor_b32 s2, exec_lo, s2
; %bb.15:
	v_bfe_u32 v90, v99, 16, 1
	s_delay_alu instid0(VALU_DEP_1)
	v_add3_u32 v90, v99, v90, 0x7fff
                                        ; implicit-def: $vgpr99
; %bb.16:
	s_and_not1_saveexec_b32 s2, s2
; %bb.17:
	v_and_b32_e32 v90, 0xffff, v99
	v_or_b32_e32 v92, 0x10000, v99
	s_delay_alu instid0(VALU_DEP_2) | instskip(NEXT) | instid1(VALU_DEP_2)
	v_cmp_eq_u32_e32 vcc_lo, 0, v90
	v_cndmask_b32_e32 v90, v92, v99, vcc_lo
; %bb.18:
	s_or_b32 exec_lo, exec_lo, s2
	v_and_b32_e32 v92, 0x7f800000, v94
	s_delay_alu instid0(VALU_DEP_1) | instskip(SKIP_1) | instid1(SALU_CYCLE_1)
	v_cmp_ne_u32_e32 vcc_lo, 0x7f800000, v92
                                        ; implicit-def: $vgpr92
	s_and_saveexec_b32 s2, vcc_lo
	s_xor_b32 s2, exec_lo, s2
; %bb.19:
	v_bfe_u32 v92, v94, 16, 1
	s_delay_alu instid0(VALU_DEP_1)
	v_add3_u32 v92, v94, v92, 0x7fff
                                        ; implicit-def: $vgpr94
; %bb.20:
	s_and_not1_saveexec_b32 s2, s2
; %bb.21:
	v_and_b32_e32 v92, 0xffff, v94
	v_or_b32_e32 v99, 0x10000, v94
	s_delay_alu instid0(VALU_DEP_2) | instskip(NEXT) | instid1(VALU_DEP_2)
	v_cmp_eq_u32_e32 vcc_lo, 0, v92
	v_cndmask_b32_e32 v92, v99, v94, vcc_lo
; %bb.22:
	s_or_b32 exec_lo, exec_lo, s2
	v_and_b32_e32 v94, 0x7f800000, v95
	s_delay_alu instid0(VALU_DEP_1) | instskip(SKIP_1) | instid1(SALU_CYCLE_1)
	v_cmp_ne_u32_e32 vcc_lo, 0x7f800000, v94
                                        ; implicit-def: $vgpr94
	s_and_saveexec_b32 s2, vcc_lo
	s_xor_b32 s2, exec_lo, s2
; %bb.23:
	v_bfe_u32 v94, v95, 16, 1
	s_delay_alu instid0(VALU_DEP_1)
	v_add3_u32 v94, v95, v94, 0x7fff
                                        ; implicit-def: $vgpr95
; %bb.24:
	s_and_not1_saveexec_b32 s2, s2
; %bb.25:
	v_and_b32_e32 v94, 0xffff, v95
	v_or_b32_e32 v99, 0x10000, v95
	s_delay_alu instid0(VALU_DEP_2) | instskip(NEXT) | instid1(VALU_DEP_2)
	v_cmp_eq_u32_e32 vcc_lo, 0, v94
	v_cndmask_b32_e32 v94, v99, v95, vcc_lo
; %bb.26:
	s_or_b32 exec_lo, exec_lo, s2
	v_and_b32_e32 v95, 0x7f800000, v98
	s_delay_alu instid0(VALU_DEP_1) | instskip(SKIP_1) | instid1(SALU_CYCLE_1)
	v_cmp_ne_u32_e32 vcc_lo, 0x7f800000, v95
                                        ; implicit-def: $vgpr95
	s_and_saveexec_b32 s2, vcc_lo
	s_xor_b32 s2, exec_lo, s2
; %bb.27:
	v_bfe_u32 v95, v98, 16, 1
	s_delay_alu instid0(VALU_DEP_1)
	v_add3_u32 v95, v98, v95, 0x7fff
                                        ; implicit-def: $vgpr98
; %bb.28:
	s_and_not1_saveexec_b32 s2, s2
; %bb.29:
	v_and_b32_e32 v95, 0xffff, v98
	v_or_b32_e32 v99, 0x10000, v98
	s_delay_alu instid0(VALU_DEP_2) | instskip(NEXT) | instid1(VALU_DEP_2)
	v_cmp_eq_u32_e32 vcc_lo, 0, v95
	v_cndmask_b32_e32 v95, v99, v98, vcc_lo
; %bb.30:
	s_or_b32 exec_lo, exec_lo, s2
	v_and_b32_e32 v98, 0x7f800000, v97
	s_delay_alu instid0(VALU_DEP_1) | instskip(SKIP_1) | instid1(SALU_CYCLE_1)
	v_cmp_ne_u32_e32 vcc_lo, 0x7f800000, v98
                                        ; implicit-def: $vgpr98
	s_and_saveexec_b32 s2, vcc_lo
	s_xor_b32 s2, exec_lo, s2
; %bb.31:
	v_bfe_u32 v98, v97, 16, 1
	s_delay_alu instid0(VALU_DEP_1)
	v_add3_u32 v98, v97, v98, 0x7fff
                                        ; implicit-def: $vgpr97
; %bb.32:
	s_and_not1_saveexec_b32 s2, s2
; %bb.33:
	v_and_b32_e32 v98, 0xffff, v97
	v_or_b32_e32 v99, 0x10000, v97
	s_delay_alu instid0(VALU_DEP_2) | instskip(NEXT) | instid1(VALU_DEP_2)
	v_cmp_eq_u32_e32 vcc_lo, 0, v98
	v_cndmask_b32_e32 v98, v99, v97, vcc_lo
; %bb.34:
	s_or_b32 exec_lo, exec_lo, s2
	v_and_b32_e32 v97, 0x7f800000, v96
	s_delay_alu instid0(VALU_DEP_1) | instskip(SKIP_1) | instid1(SALU_CYCLE_1)
	v_cmp_ne_u32_e32 vcc_lo, 0x7f800000, v97
                                        ; implicit-def: $vgpr97
	s_and_saveexec_b32 s2, vcc_lo
	s_xor_b32 s2, exec_lo, s2
; %bb.35:
	v_bfe_u32 v97, v96, 16, 1
	s_delay_alu instid0(VALU_DEP_1)
	v_add3_u32 v97, v96, v97, 0x7fff
                                        ; implicit-def: $vgpr96
; %bb.36:
	s_and_not1_saveexec_b32 s2, s2
; %bb.37:
	v_and_b32_e32 v97, 0xffff, v96
	v_or_b32_e32 v99, 0x10000, v96
	s_delay_alu instid0(VALU_DEP_2) | instskip(NEXT) | instid1(VALU_DEP_2)
	v_cmp_eq_u32_e32 vcc_lo, 0, v97
	v_cndmask_b32_e32 v97, v99, v96, vcc_lo
; %bb.38:
	s_or_b32 exec_lo, exec_lo, s2
	v_and_b32_e32 v96, 0x7f800000, v93
	s_delay_alu instid0(VALU_DEP_1) | instskip(SKIP_1) | instid1(SALU_CYCLE_1)
	v_cmp_ne_u32_e32 vcc_lo, 0x7f800000, v96
                                        ; implicit-def: $vgpr96
	s_and_saveexec_b32 s2, vcc_lo
	s_xor_b32 s2, exec_lo, s2
; %bb.39:
	v_bfe_u32 v96, v93, 16, 1
	s_delay_alu instid0(VALU_DEP_1)
	v_add3_u32 v96, v93, v96, 0x7fff
                                        ; implicit-def: $vgpr93
; %bb.40:
	s_and_not1_saveexec_b32 s2, s2
; %bb.41:
	v_and_b32_e32 v96, 0xffff, v93
	v_or_b32_e32 v99, 0x10000, v93
	s_delay_alu instid0(VALU_DEP_2) | instskip(NEXT) | instid1(VALU_DEP_2)
	v_cmp_eq_u32_e32 vcc_lo, 0, v96
	v_cndmask_b32_e32 v96, v99, v93, vcc_lo
; %bb.42:
	s_or_b32 exec_lo, exec_lo, s2
	v_and_b32_e32 v93, 0x7f800000, v91
	s_delay_alu instid0(VALU_DEP_1) | instskip(SKIP_1) | instid1(SALU_CYCLE_1)
	v_cmp_ne_u32_e32 vcc_lo, 0x7f800000, v93
                                        ; implicit-def: $vgpr93
	s_and_saveexec_b32 s2, vcc_lo
	s_xor_b32 s2, exec_lo, s2
; %bb.43:
	v_bfe_u32 v93, v91, 16, 1
	s_delay_alu instid0(VALU_DEP_1)
	v_add3_u32 v93, v91, v93, 0x7fff
                                        ; implicit-def: $vgpr91
; %bb.44:
	s_and_not1_saveexec_b32 s2, s2
; %bb.45:
	v_and_b32_e32 v93, 0xffff, v91
	v_or_b32_e32 v99, 0x10000, v91
	s_delay_alu instid0(VALU_DEP_2) | instskip(NEXT) | instid1(VALU_DEP_2)
	v_cmp_eq_u32_e32 vcc_lo, 0, v93
	v_cndmask_b32_e32 v93, v99, v91, vcc_lo
; %bb.46:
	s_or_b32 exec_lo, exec_lo, s2
	s_load_b64 s[34:35], s[0:1], 0x94
	v_lshlrev_b32_e32 v91, 4, v83
	s_delay_alu instid0(VALU_DEP_2)
	v_perm_b32 v99, v93, v96, 0x7060302
	v_dual_mul_f32 v88, v89, v88 :: v_dual_lshlrev_b32 v93, 11, v73
	v_perm_b32 v96, v92, v90, 0x7060302
	v_mul_f32_e32 v92, v89, v76
	v_perm_b32 v98, v97, v98, 0x7060302
	v_perm_b32 v97, v95, v94, 0x7060302
	v_or3_b32 v76, v91, v93, v85
	v_mul_f32_e32 v87, v89, v87
	v_dual_mul_f32 v86, v89, v86 :: v_dual_and_b32 v93, 0x7f800000, v92
	v_mul_f32_e32 v80, v89, v80
	v_mul_f32_e32 v90, v89, v79
	;; [unrolled: 1-line block ×4, first 2 shown]
	s_mov_b32 s2, exec_lo
	ds_store_b128 v76, v[96:99]
                                        ; implicit-def: $vgpr77
	v_cmpx_ne_u32_e32 0x7f800000, v93
	s_xor_b32 s2, exec_lo, s2
; %bb.47:
	v_bfe_u32 v77, v92, 16, 1
	s_delay_alu instid0(VALU_DEP_1)
	v_add3_u32 v77, v92, v77, 0x7fff
                                        ; implicit-def: $vgpr92
; %bb.48:
	s_and_not1_saveexec_b32 s2, s2
; %bb.49:
	v_and_b32_e32 v77, 0xffff, v92
	v_or_b32_e32 v78, 0x10000, v92
	s_delay_alu instid0(VALU_DEP_2) | instskip(NEXT) | instid1(VALU_DEP_2)
	v_cmp_eq_u32_e32 vcc_lo, 0, v77
	v_cndmask_b32_e32 v77, v78, v92, vcc_lo
; %bb.50:
	s_or_b32 exec_lo, exec_lo, s2
	v_and_b32_e32 v78, 0x7f800000, v79
	s_delay_alu instid0(VALU_DEP_1) | instskip(SKIP_1) | instid1(SALU_CYCLE_1)
	v_cmp_ne_u32_e32 vcc_lo, 0x7f800000, v78
                                        ; implicit-def: $vgpr78
	s_and_saveexec_b32 s2, vcc_lo
	s_xor_b32 s2, exec_lo, s2
; %bb.51:
	v_bfe_u32 v78, v79, 16, 1
	s_delay_alu instid0(VALU_DEP_1)
	v_add3_u32 v78, v79, v78, 0x7fff
                                        ; implicit-def: $vgpr79
; %bb.52:
	s_and_not1_saveexec_b32 s2, s2
; %bb.53:
	v_and_b32_e32 v78, 0xffff, v79
	v_or_b32_e32 v89, 0x10000, v79
	s_delay_alu instid0(VALU_DEP_2) | instskip(NEXT) | instid1(VALU_DEP_2)
	v_cmp_eq_u32_e32 vcc_lo, 0, v78
	v_cndmask_b32_e32 v78, v89, v79, vcc_lo
; %bb.54:
	s_or_b32 exec_lo, exec_lo, s2
	v_and_b32_e32 v79, 0x7f800000, v91
	s_delay_alu instid0(VALU_DEP_1) | instskip(SKIP_1) | instid1(SALU_CYCLE_1)
	v_cmp_ne_u32_e32 vcc_lo, 0x7f800000, v79
                                        ; implicit-def: $vgpr79
	s_and_saveexec_b32 s2, vcc_lo
	s_xor_b32 s2, exec_lo, s2
; %bb.55:
	v_bfe_u32 v79, v91, 16, 1
	s_delay_alu instid0(VALU_DEP_1)
	v_add3_u32 v79, v91, v79, 0x7fff
                                        ; implicit-def: $vgpr91
; %bb.56:
	s_and_not1_saveexec_b32 s2, s2
; %bb.57:
	v_and_b32_e32 v79, 0xffff, v91
	v_or_b32_e32 v89, 0x10000, v91
	s_delay_alu instid0(VALU_DEP_2) | instskip(NEXT) | instid1(VALU_DEP_2)
	v_cmp_eq_u32_e32 vcc_lo, 0, v79
	v_cndmask_b32_e32 v79, v89, v91, vcc_lo
; %bb.58:
	s_or_b32 exec_lo, exec_lo, s2
	v_and_b32_e32 v89, 0x7f800000, v90
	s_delay_alu instid0(VALU_DEP_1) | instskip(SKIP_1) | instid1(SALU_CYCLE_1)
	v_cmp_ne_u32_e32 vcc_lo, 0x7f800000, v89
                                        ; implicit-def: $vgpr89
	s_and_saveexec_b32 s2, vcc_lo
	s_xor_b32 s2, exec_lo, s2
; %bb.59:
	v_bfe_u32 v89, v90, 16, 1
	s_delay_alu instid0(VALU_DEP_1)
	v_add3_u32 v89, v90, v89, 0x7fff
                                        ; implicit-def: $vgpr90
; %bb.60:
	s_and_not1_saveexec_b32 s2, s2
; %bb.61:
	v_and_b32_e32 v89, 0xffff, v90
	v_or_b32_e32 v91, 0x10000, v90
	s_delay_alu instid0(VALU_DEP_2) | instskip(NEXT) | instid1(VALU_DEP_2)
	v_cmp_eq_u32_e32 vcc_lo, 0, v89
	v_cndmask_b32_e32 v89, v91, v90, vcc_lo
; %bb.62:
	s_or_b32 exec_lo, exec_lo, s2
	v_and_b32_e32 v90, 0x7f800000, v80
	s_delay_alu instid0(VALU_DEP_1) | instskip(SKIP_1) | instid1(SALU_CYCLE_1)
	v_cmp_ne_u32_e32 vcc_lo, 0x7f800000, v90
                                        ; implicit-def: $vgpr90
	s_and_saveexec_b32 s2, vcc_lo
	s_xor_b32 s2, exec_lo, s2
; %bb.63:
	v_bfe_u32 v90, v80, 16, 1
	s_delay_alu instid0(VALU_DEP_1)
	v_add3_u32 v90, v80, v90, 0x7fff
                                        ; implicit-def: $vgpr80
; %bb.64:
	s_and_not1_saveexec_b32 s2, s2
; %bb.65:
	v_and_b32_e32 v90, 0xffff, v80
	v_or_b32_e32 v91, 0x10000, v80
	s_delay_alu instid0(VALU_DEP_2) | instskip(NEXT) | instid1(VALU_DEP_2)
	v_cmp_eq_u32_e32 vcc_lo, 0, v90
	v_cndmask_b32_e32 v90, v91, v80, vcc_lo
; %bb.66:
	s_or_b32 exec_lo, exec_lo, s2
	v_and_b32_e32 v80, 0x7f800000, v86
	s_delay_alu instid0(VALU_DEP_1) | instskip(SKIP_1) | instid1(SALU_CYCLE_1)
	v_cmp_ne_u32_e32 vcc_lo, 0x7f800000, v80
                                        ; implicit-def: $vgpr80
	s_and_saveexec_b32 s2, vcc_lo
	s_xor_b32 s2, exec_lo, s2
; %bb.67:
	v_bfe_u32 v80, v86, 16, 1
	s_delay_alu instid0(VALU_DEP_1)
	v_add3_u32 v80, v86, v80, 0x7fff
                                        ; implicit-def: $vgpr86
; %bb.68:
	s_and_not1_saveexec_b32 s2, s2
; %bb.69:
	v_and_b32_e32 v80, 0xffff, v86
	v_or_b32_e32 v91, 0x10000, v86
	s_delay_alu instid0(VALU_DEP_2) | instskip(NEXT) | instid1(VALU_DEP_2)
	v_cmp_eq_u32_e32 vcc_lo, 0, v80
	v_cndmask_b32_e32 v80, v91, v86, vcc_lo
; %bb.70:
	s_or_b32 exec_lo, exec_lo, s2
	v_and_b32_e32 v86, 0x7f800000, v87
	s_delay_alu instid0(VALU_DEP_1) | instskip(SKIP_1) | instid1(SALU_CYCLE_1)
	v_cmp_ne_u32_e32 vcc_lo, 0x7f800000, v86
                                        ; implicit-def: $vgpr86
	s_and_saveexec_b32 s2, vcc_lo
	s_xor_b32 s2, exec_lo, s2
; %bb.71:
	v_bfe_u32 v86, v87, 16, 1
	s_delay_alu instid0(VALU_DEP_1)
	v_add3_u32 v86, v87, v86, 0x7fff
                                        ; implicit-def: $vgpr87
; %bb.72:
	s_and_not1_saveexec_b32 s2, s2
; %bb.73:
	v_and_b32_e32 v86, 0xffff, v87
	v_or_b32_e32 v91, 0x10000, v87
	s_delay_alu instid0(VALU_DEP_2) | instskip(NEXT) | instid1(VALU_DEP_2)
	v_cmp_eq_u32_e32 vcc_lo, 0, v86
	v_cndmask_b32_e32 v86, v91, v87, vcc_lo
; %bb.74:
	s_or_b32 exec_lo, exec_lo, s2
	v_and_b32_e32 v87, 0x7f800000, v88
	s_delay_alu instid0(VALU_DEP_1) | instskip(SKIP_1) | instid1(SALU_CYCLE_1)
	v_cmp_ne_u32_e32 vcc_lo, 0x7f800000, v87
                                        ; implicit-def: $vgpr87
	s_and_saveexec_b32 s2, vcc_lo
	s_xor_b32 s2, exec_lo, s2
; %bb.75:
	v_bfe_u32 v87, v88, 16, 1
	s_delay_alu instid0(VALU_DEP_1)
	v_add3_u32 v87, v88, v87, 0x7fff
                                        ; implicit-def: $vgpr88
; %bb.76:
	s_and_not1_saveexec_b32 s2, s2
; %bb.77:
	v_and_b32_e32 v87, 0xffff, v88
	v_or_b32_e32 v91, 0x10000, v88
	s_delay_alu instid0(VALU_DEP_2) | instskip(NEXT) | instid1(VALU_DEP_2)
	v_cmp_eq_u32_e32 vcc_lo, 0, v87
	v_cndmask_b32_e32 v87, v91, v88, vcc_lo
; %bb.78:
	s_or_b32 exec_lo, exec_lo, s2
	s_delay_alu instid0(VALU_DEP_1)
	v_perm_b32 v94, v87, v86, 0x7060302
	v_perm_b32 v93, v80, v90, 0x7060302
	;; [unrolled: 1-line block ×4, first 2 shown]
	v_lshl_or_b32 v90, v73, 11, v85
	ds_store_b128 v76, v[91:94] offset:1024
	s_waitcnt lgkmcnt(0)
	s_barrier
	buffer_gl0_inv
	ds_load_b128 v[77:80], v90
	ds_load_b128 v[91:94], v90 offset:16
	s_waitcnt lgkmcnt(1)
	v_lshrrev_b32_e32 v73, 16, v77
	s_waitcnt lgkmcnt(0)
	v_lshrrev_b32_e32 v108, 16, v94
	v_lshlrev_b32_e32 v87, 2, v83
	v_lshrrev_b32_e32 v99, 16, v91
	v_lshrrev_b32_e32 v103, 16, v78
	;; [unrolled: 1-line block ×4, first 2 shown]
	v_or_b32_e32 v88, 1, v87
	v_cmp_eq_u32_e32 vcc_lo, 1, v87
	v_cmp_eq_u32_e64 s3, 2, v87
	v_cmp_eq_u32_e64 s6, 3, v87
	;; [unrolled: 1-line block ×4, first 2 shown]
	v_cndmask_b32_e32 v89, v77, v73, vcc_lo
	v_cndmask_b32_e32 v95, v91, v99, vcc_lo
	v_cmp_eq_u32_e64 s5, 2, v88
	v_cmp_eq_u32_e64 s7, 3, v88
	v_cndmask_b32_e64 v96, v77, v73, s2
	v_cndmask_b32_e64 v89, v89, v78, s3
	;; [unrolled: 1-line block ×3, first 2 shown]
	v_or_b32_e32 v86, 2, v87
	v_lshrrev_b32_e32 v107, 16, v93
	v_cndmask_b32_e64 v96, v96, v78, s5
	v_cndmask_b32_e64 v89, v89, v103, s6
	;; [unrolled: 1-line block ×4, first 2 shown]
	v_cmp_eq_u32_e64 s9, 5, v87
	v_cndmask_b32_e64 v96, v96, v103, s7
	v_cndmask_b32_e64 v89, v89, v79, s8
	;; [unrolled: 1-line block ×3, first 2 shown]
	v_cmp_eq_u32_e64 s10, 4, v88
	v_cmp_eq_u32_e64 s4, 1, v86
	v_cndmask_b32_e64 v97, v97, v92, s5
	v_cndmask_b32_e64 v89, v89, v104, s9
	v_cmp_eq_u32_e64 s11, 6, v87
	v_cndmask_b32_e64 v96, v96, v79, s10
	v_cndmask_b32_e64 v95, v95, v107, s9
	v_cmp_eq_u32_e64 s12, 5, v88
	v_lshrrev_b32_e32 v105, 16, v80
	v_cndmask_b32_e64 v98, v77, v73, s4
	v_cndmask_b32_e64 v97, v97, v106, s7
	;; [unrolled: 1-line block ×4, first 2 shown]
	v_cmp_eq_u32_e64 s13, 7, v87
	v_cndmask_b32_e64 v95, v95, v94, s11
	v_cmp_eq_u32_e64 s15, 6, v88
	v_cmp_eq_u32_e64 s16, 2, v86
	v_cndmask_b32_e64 v97, v97, v93, s10
	v_cndmask_b32_e64 v109, v89, v105, s13
	;; [unrolled: 1-line block ×6, first 2 shown]
	v_cmp_eq_u32_e64 s17, 7, v88
	v_cmp_eq_u32_e64 s18, 3, v86
	;; [unrolled: 1-line block ×4, first 2 shown]
	v_cndmask_b32_e64 v95, v95, v92, s16
	v_cndmask_b32_e64 v111, v96, v105, s17
	;; [unrolled: 1-line block ×4, first 2 shown]
	v_or_b32_e32 v89, 3, v87
	v_cndmask_b32_e64 v101, v95, v106, s18
	v_cmp_eq_u32_e64 s23, 6, v86
	v_cndmask_b32_e64 v112, v96, v94, s15
	v_cndmask_b32_e64 v100, v97, v79, s19
	v_cmp_eq_u32_e64 s20, 1, v89
	ds_load_b128 v[95:98], v90 offset:1024
	v_cmp_eq_u32_e64 s22, 2, v89
	v_cmp_eq_u32_e64 s24, 3, v89
	v_cndmask_b32_e64 v113, v100, v104, s21
	v_cndmask_b32_e64 v73, v77, v73, s20
	;; [unrolled: 1-line block ×4, first 2 shown]
	ds_load_b128 v[99:102], v90 offset:1040
	v_cmp_eq_u32_e64 s25, 4, v89
	v_cndmask_b32_e64 v73, v73, v78, s22
	v_cmp_eq_u32_e64 s26, 7, v86
	v_cndmask_b32_e64 v78, v91, v92, s22
	v_cndmask_b32_e64 v92, v113, v80, s23
	v_cmp_eq_u32_e64 s27, 5, v89
	v_cndmask_b32_e64 v73, v73, v103, s24
	v_cndmask_b32_e64 v77, v77, v107, s21
	;; [unrolled: 1-line block ×3, first 2 shown]
	v_cmp_eq_u32_e64 s28, 6, v89
	v_cndmask_b32_e64 v91, v112, v108, s17
	v_cndmask_b32_e64 v73, v73, v79, s25
	s_waitcnt lgkmcnt(1)
	v_lshrrev_b32_e32 v103, 16, v95
	v_cndmask_b32_e64 v78, v78, v93, s25
	v_cndmask_b32_e64 v79, v92, v105, s26
	;; [unrolled: 1-line block ×4, first 2 shown]
	v_cndmask_b32_e32 v92, v95, v103, vcc_lo
	v_cndmask_b32_e64 v78, v78, v107, s27
	s_waitcnt lgkmcnt(0)
	v_lshrrev_b32_e32 v93, 16, v99
	v_lshrrev_b32_e32 v104, 16, v96
	v_cndmask_b32_e64 v106, v95, v103, s2
	v_cndmask_b32_e64 v92, v92, v96, s3
	v_cndmask_b32_e64 v73, v73, v80, s28
	v_cndmask_b32_e32 v107, v99, v93, vcc_lo
	v_cndmask_b32_e64 v78, v78, v94, s28
	v_cmp_eq_u32_e32 vcc_lo, 7, v89
	v_cndmask_b32_e64 v80, v92, v104, s6
	v_cndmask_b32_e64 v92, v106, v96, s5
	;; [unrolled: 1-line block ×3, first 2 shown]
	v_lshrrev_b32_e32 v106, 16, v100
	v_cndmask_b32_e64 v77, v77, v108, s26
	v_cndmask_b32_e32 v78, v78, v108, vcc_lo
	v_lshrrev_b32_e32 v108, 16, v101
	v_cndmask_b32_e64 v80, v80, v97, s8
	v_cndmask_b32_e64 v94, v94, v106, s6
	v_lshrrev_b32_e32 v107, 16, v97
	v_cndmask_b32_e32 v73, v73, v105, vcc_lo
	v_perm_b32 v79, v77, v79, 0x5040100
	v_cndmask_b32_e64 v92, v92, v104, s7
	v_cndmask_b32_e64 v94, v94, v101, s8
	;; [unrolled: 1-line block ×3, first 2 shown]
	v_perm_b32 v80, v78, v73, 0x5040100
	v_perm_b32 v78, v91, v111, 0x5040100
	v_cndmask_b32_e64 v111, v99, v93, s4
	v_cndmask_b32_e64 v94, v94, v108, s9
	v_cndmask_b32_e64 v92, v92, v97, s10
	s_delay_alu instid0(VALU_DEP_2)
	v_cndmask_b32_e64 v77, v94, v102, s11
	v_cndmask_b32_e64 v94, v95, v103, s4
	;; [unrolled: 1-line block ×22, first 2 shown]
	v_lshrrev_b32_e32 v105, 16, v98
	v_cndmask_b32_e64 v94, v94, v107, s21
	v_cndmask_b32_e64 v95, v95, v107, s27
	;; [unrolled: 1-line block ×7, first 2 shown]
	v_lshrrev_b32_e32 v92, 16, v102
	v_cndmask_b32_e64 v94, v94, v98, s23
	v_cndmask_b32_e64 v95, v95, v98, s28
	;; [unrolled: 1-line block ×7, first 2 shown]
	v_dual_cndmask_b32 v94, v95, v105 :: v_dual_cndmask_b32 v95, v96, v92
	v_cndmask_b32_e64 v96, v97, v92, s26
	v_cndmask_b32_e64 v97, v93, v92, s17
	;; [unrolled: 1-line block ×3, first 2 shown]
	v_perm_b32 v77, v110, v109, 0x5040100
	v_perm_b32 v94, v95, v94, 0x5040100
	;; [unrolled: 1-line block ×5, first 2 shown]
	s_lshl_b32 s7, s35, 4
	s_mov_b32 s2, exec_lo
	ds_store_b128 v76, v[77:80]
	ds_store_b128 v76, v[91:94] offset:1024
	v_cmpx_gt_u32_e32 16, v0
	s_cbranch_execz .LBB765_80
; %bb.79:
	v_or_b32_e32 v73, s29, v0
	s_load_b128 s[8:11], s[0:1], 0x58
	s_delay_alu instid0(VALU_DEP_1) | instskip(NEXT) | instid1(VALU_DEP_1)
	v_mad_u64_u32 v[76:77], null, s7, s30, v[73:74]
	v_mad_u64_u32 v[77:78], null, v76, s34, s[14:15]
	s_delay_alu instid0(VALU_DEP_1) | instskip(NEXT) | instid1(VALU_DEP_1)
	v_ashrrev_i32_e32 v78, 31, v77
	v_lshlrev_b64 v[76:77], 2, v[77:78]
	s_waitcnt lgkmcnt(0)
	s_delay_alu instid0(VALU_DEP_1) | instskip(NEXT) | instid1(VALU_DEP_2)
	v_add_co_u32 v78, vcc_lo, s10, v76
	v_add_co_ci_u32_e32 v79, vcc_lo, s11, v77, vcc_lo
	v_add_co_u32 v76, vcc_lo, s8, v76
	v_add_co_ci_u32_e32 v77, vcc_lo, s9, v77, vcc_lo
	global_store_b32 v[78:79], v74, off
	global_store_b32 v[76:77], v75, off
.LBB765_80:
	s_or_b32 exec_lo, exec_lo, s2
	s_waitcnt lgkmcnt(0)
	s_waitcnt_vscnt null, 0x0
	s_barrier
	buffer_gl0_inv
	ds_load_b128 v[91:94], v85
	ds_load_b128 v[95:98], v85 offset:16
	ds_load_b128 v[103:106], v85 offset:1040
	;; [unrolled: 1-line block ×3, first 2 shown]
	v_mov_b32_e32 v73, 0
	ds_load_b128 v[111:114], v85 offset:2064
	ds_load_b128 v[107:110], v85 offset:2048
	;; [unrolled: 1-line block ×6, first 2 shown]
	v_mov_b32_e32 v74, v73
	v_mov_b32_e32 v75, v73
	;; [unrolled: 1-line block ×7, first 2 shown]
	s_waitcnt lgkmcnt(8)
	s_delay_alu instid0(VALU_DEP_1)
	v_wmma_f32_16x16x16_bf16 v[73:80], v[65:72], v[91:98], v[73:80]
	ds_load_b128 v[69:72], v85 offset:5136
	ds_load_b128 v[65:68], v85 offset:5120
	;; [unrolled: 1-line block ×4, first 2 shown]
	s_waitcnt lgkmcnt(10)
	v_wmma_f32_16x16x16_bf16 v[73:80], v[57:64], v[99:106], v[73:80]
	s_waitcnt lgkmcnt(8)
	s_delay_alu instid0(VALU_DEP_1)
	v_wmma_f32_16x16x16_bf16 v[73:80], v[57:64], v[107:114], v[73:80]
	ds_load_b128 v[61:64], v85 offset:7184
	ds_load_b128 v[57:60], v85 offset:7168
	;; [unrolled: 1-line block ×4, first 2 shown]
	s_waitcnt lgkmcnt(10)
	v_wmma_f32_16x16x16_bf16 v[73:80], v[49:56], v[115:122], v[73:80]
	s_waitcnt lgkmcnt(8)
	s_delay_alu instid0(VALU_DEP_1)
	v_wmma_f32_16x16x16_bf16 v[73:80], v[49:56], v[123:130], v[73:80]
	ds_load_b128 v[53:56], v85 offset:9232
	ds_load_b128 v[49:52], v85 offset:9216
	s_waitcnt lgkmcnt(8)
	v_wmma_f32_16x16x16_bf16 v[73:80], v[41:48], v[65:72], v[73:80]
	ds_load_b128 v[69:72], v85 offset:10256
	ds_load_b128 v[65:68], v85 offset:10240
	s_waitcnt lgkmcnt(8)
	;; [unrolled: 4-line block ×3, first 2 shown]
	v_wmma_f32_16x16x16_bf16 v[73:80], v[9:16], v[57:64], v[73:80]
	s_waitcnt lgkmcnt(6)
	s_delay_alu instid0(VALU_DEP_1)
	v_wmma_f32_16x16x16_bf16 v[73:80], v[9:16], v[99:106], v[73:80]
	ds_load_b128 v[13:16], v85 offset:12304
	ds_load_b128 v[9:12], v85 offset:12288
	s_waitcnt lgkmcnt(6)
	v_wmma_f32_16x16x16_bf16 v[73:80], v[1:8], v[49:56], v[73:80]
	ds_load_b128 v[53:56], v85 offset:13328
	ds_load_b128 v[49:52], v85 offset:13312
	s_waitcnt lgkmcnt(6)
	;; [unrolled: 4-line block ×4, first 2 shown]
	v_wmma_f32_16x16x16_bf16 v[73:80], v[33:40], v[9:16], v[73:80]
	s_waitcnt lgkmcnt(4)
	s_delay_alu instid0(VALU_DEP_1) | instskip(SKIP_1) | instid1(VALU_DEP_1)
	v_wmma_f32_16x16x16_bf16 v[73:80], v[25:32], v[49:56], v[73:80]
	s_waitcnt lgkmcnt(2)
	v_wmma_f32_16x16x16_bf16 v[73:80], v[25:32], v[1:8], v[73:80]
	s_waitcnt lgkmcnt(0)
	s_delay_alu instid0(VALU_DEP_1) | instskip(NEXT) | instid1(VALU_DEP_1)
	v_wmma_f32_16x16x16_bf16 v[73:80], v[17:24], v[41:48], v[73:80]
	v_and_b32_e32 v1, 0x7f800000, v73
	s_delay_alu instid0(VALU_DEP_1) | instskip(SKIP_1) | instid1(SALU_CYCLE_1)
	v_cmp_ne_u32_e32 vcc_lo, 0x7f800000, v1
                                        ; implicit-def: $vgpr1
	s_and_saveexec_b32 s2, vcc_lo
	s_xor_b32 s2, exec_lo, s2
; %bb.81:
	v_bfe_u32 v1, v73, 16, 1
	s_delay_alu instid0(VALU_DEP_1)
	v_add3_u32 v1, v73, v1, 0x7fff
; %bb.82:
	s_and_not1_saveexec_b32 s2, s2
; %bb.83:
	v_and_b32_e32 v1, 0xffff, v73
	v_or_b32_e32 v2, 0x10000, v73
	s_delay_alu instid0(VALU_DEP_2) | instskip(NEXT) | instid1(VALU_DEP_2)
	v_cmp_eq_u32_e32 vcc_lo, 0, v1
	v_cndmask_b32_e32 v1, v2, v73, vcc_lo
; %bb.84:
	s_or_b32 exec_lo, exec_lo, s2
	v_and_b32_e32 v2, 0x7f800000, v74
	s_delay_alu instid0(VALU_DEP_1) | instskip(SKIP_1) | instid1(SALU_CYCLE_1)
	v_cmp_ne_u32_e32 vcc_lo, 0x7f800000, v2
                                        ; implicit-def: $vgpr2
	s_and_saveexec_b32 s2, vcc_lo
	s_xor_b32 s2, exec_lo, s2
; %bb.85:
	v_bfe_u32 v2, v74, 16, 1
	s_delay_alu instid0(VALU_DEP_1)
	v_add3_u32 v2, v74, v2, 0x7fff
; %bb.86:
	s_and_not1_saveexec_b32 s2, s2
; %bb.87:
	v_and_b32_e32 v2, 0xffff, v74
	v_or_b32_e32 v3, 0x10000, v74
	s_delay_alu instid0(VALU_DEP_2) | instskip(NEXT) | instid1(VALU_DEP_2)
	v_cmp_eq_u32_e32 vcc_lo, 0, v2
	v_cndmask_b32_e32 v2, v3, v74, vcc_lo
; %bb.88:
	s_or_b32 exec_lo, exec_lo, s2
	v_and_b32_e32 v3, 0x7f800000, v75
	s_delay_alu instid0(VALU_DEP_1) | instskip(SKIP_1) | instid1(SALU_CYCLE_1)
	v_cmp_ne_u32_e32 vcc_lo, 0x7f800000, v3
                                        ; implicit-def: $vgpr3
	s_and_saveexec_b32 s2, vcc_lo
	s_xor_b32 s2, exec_lo, s2
; %bb.89:
	v_bfe_u32 v3, v75, 16, 1
	s_delay_alu instid0(VALU_DEP_1)
	v_add3_u32 v3, v75, v3, 0x7fff
; %bb.90:
	s_and_not1_saveexec_b32 s2, s2
; %bb.91:
	v_and_b32_e32 v3, 0xffff, v75
	v_or_b32_e32 v4, 0x10000, v75
	s_delay_alu instid0(VALU_DEP_2) | instskip(NEXT) | instid1(VALU_DEP_2)
	v_cmp_eq_u32_e32 vcc_lo, 0, v3
	v_cndmask_b32_e32 v3, v4, v75, vcc_lo
; %bb.92:
	s_or_b32 exec_lo, exec_lo, s2
	v_and_b32_e32 v4, 0x7f800000, v76
	s_delay_alu instid0(VALU_DEP_1) | instskip(SKIP_1) | instid1(SALU_CYCLE_1)
	v_cmp_ne_u32_e32 vcc_lo, 0x7f800000, v4
                                        ; implicit-def: $vgpr4
	s_and_saveexec_b32 s2, vcc_lo
	s_xor_b32 s2, exec_lo, s2
; %bb.93:
	v_bfe_u32 v4, v76, 16, 1
	s_delay_alu instid0(VALU_DEP_1)
	v_add3_u32 v4, v76, v4, 0x7fff
; %bb.94:
	s_and_not1_saveexec_b32 s2, s2
; %bb.95:
	v_and_b32_e32 v4, 0xffff, v76
	v_or_b32_e32 v5, 0x10000, v76
	s_delay_alu instid0(VALU_DEP_2) | instskip(NEXT) | instid1(VALU_DEP_2)
	v_cmp_eq_u32_e32 vcc_lo, 0, v4
	v_cndmask_b32_e32 v4, v5, v76, vcc_lo
; %bb.96:
	s_or_b32 exec_lo, exec_lo, s2
	v_and_b32_e32 v5, 0x7f800000, v77
	s_delay_alu instid0(VALU_DEP_1) | instskip(SKIP_1) | instid1(SALU_CYCLE_1)
	v_cmp_ne_u32_e32 vcc_lo, 0x7f800000, v5
                                        ; implicit-def: $vgpr5
	s_and_saveexec_b32 s2, vcc_lo
	s_xor_b32 s2, exec_lo, s2
; %bb.97:
	v_bfe_u32 v5, v77, 16, 1
	s_delay_alu instid0(VALU_DEP_1)
	v_add3_u32 v5, v77, v5, 0x7fff
; %bb.98:
	s_and_not1_saveexec_b32 s2, s2
; %bb.99:
	v_and_b32_e32 v5, 0xffff, v77
	v_or_b32_e32 v6, 0x10000, v77
	s_delay_alu instid0(VALU_DEP_2) | instskip(NEXT) | instid1(VALU_DEP_2)
	v_cmp_eq_u32_e32 vcc_lo, 0, v5
	v_cndmask_b32_e32 v5, v6, v77, vcc_lo
; %bb.100:
	s_or_b32 exec_lo, exec_lo, s2
	v_and_b32_e32 v6, 0x7f800000, v78
	s_delay_alu instid0(VALU_DEP_1) | instskip(SKIP_1) | instid1(SALU_CYCLE_1)
	v_cmp_ne_u32_e32 vcc_lo, 0x7f800000, v6
                                        ; implicit-def: $vgpr6
	s_and_saveexec_b32 s2, vcc_lo
	s_xor_b32 s2, exec_lo, s2
; %bb.101:
	v_bfe_u32 v6, v78, 16, 1
	s_delay_alu instid0(VALU_DEP_1)
	v_add3_u32 v6, v78, v6, 0x7fff
; %bb.102:
	s_and_not1_saveexec_b32 s2, s2
; %bb.103:
	v_and_b32_e32 v6, 0xffff, v78
	v_or_b32_e32 v7, 0x10000, v78
	s_delay_alu instid0(VALU_DEP_2) | instskip(NEXT) | instid1(VALU_DEP_2)
	v_cmp_eq_u32_e32 vcc_lo, 0, v6
	v_cndmask_b32_e32 v6, v7, v78, vcc_lo
; %bb.104:
	s_or_b32 exec_lo, exec_lo, s2
	v_and_b32_e32 v7, 0x7f800000, v79
	s_delay_alu instid0(VALU_DEP_1) | instskip(SKIP_1) | instid1(SALU_CYCLE_1)
	v_cmp_ne_u32_e32 vcc_lo, 0x7f800000, v7
                                        ; implicit-def: $vgpr7
	s_and_saveexec_b32 s2, vcc_lo
	s_xor_b32 s2, exec_lo, s2
; %bb.105:
	v_bfe_u32 v7, v79, 16, 1
	s_delay_alu instid0(VALU_DEP_1)
	v_add3_u32 v7, v79, v7, 0x7fff
; %bb.106:
	s_and_not1_saveexec_b32 s2, s2
; %bb.107:
	v_and_b32_e32 v7, 0xffff, v79
	v_or_b32_e32 v8, 0x10000, v79
	s_delay_alu instid0(VALU_DEP_2) | instskip(NEXT) | instid1(VALU_DEP_2)
	v_cmp_eq_u32_e32 vcc_lo, 0, v7
	v_cndmask_b32_e32 v7, v8, v79, vcc_lo
; %bb.108:
	s_or_b32 exec_lo, exec_lo, s2
	v_and_b32_e32 v8, 0x7f800000, v80
	s_delay_alu instid0(VALU_DEP_1) | instskip(SKIP_1) | instid1(SALU_CYCLE_1)
	v_cmp_ne_u32_e32 vcc_lo, 0x7f800000, v8
                                        ; implicit-def: $vgpr8
	s_and_saveexec_b32 s2, vcc_lo
	s_xor_b32 s2, exec_lo, s2
; %bb.109:
	v_bfe_u32 v8, v80, 16, 1
	s_delay_alu instid0(VALU_DEP_1)
	v_add3_u32 v8, v80, v8, 0x7fff
                                        ; implicit-def: $vgpr73_vgpr74_vgpr75_vgpr76_vgpr77_vgpr78_vgpr79_vgpr80
; %bb.110:
	s_and_not1_saveexec_b32 s2, s2
; %bb.111:
	v_and_b32_e32 v8, 0xffff, v80
	v_or_b32_e32 v9, 0x10000, v80
	s_delay_alu instid0(VALU_DEP_2) | instskip(NEXT) | instid1(VALU_DEP_2)
	v_cmp_eq_u32_e32 vcc_lo, 0, v8
	v_cndmask_b32_e32 v8, v9, v80, vcc_lo
; %bb.112:
	s_or_b32 exec_lo, exec_lo, s2
	s_delay_alu instid0(VALU_DEP_1)
	v_perm_b32 v7, v8, v7, 0x7060302
	v_perm_b32 v6, v6, v5, 0x7060302
	;; [unrolled: 1-line block ×4, first 2 shown]
	v_lshl_or_b32 v9, v83, 4, v90
	s_barrier
	buffer_gl0_inv
	v_cmp_eq_u32_e32 vcc_lo, 1, v87
	ds_store_b128 v9, v[4:7]
	s_waitcnt lgkmcnt(0)
	s_barrier
	buffer_gl0_inv
	ds_load_b128 v[1:4], v90
	ds_load_b128 v[5:8], v90 offset:16
	v_cmp_eq_u32_e64 s3, 2, v87
	v_cmp_eq_u32_e64 s2, 1, v88
	;; [unrolled: 1-line block ×5, first 2 shown]
	s_waitcnt lgkmcnt(1)
	v_lshrrev_b32_e32 v10, 16, v1
	s_waitcnt lgkmcnt(0)
	v_lshrrev_b32_e32 v14, 16, v5
	v_lshrrev_b32_e32 v15, 16, v6
	;; [unrolled: 1-line block ×4, first 2 shown]
	v_cndmask_b32_e64 v20, v1, v10, s2
	v_cndmask_b32_e32 v19, v5, v14, vcc_lo
	v_cndmask_b32_e64 v21, v5, v14, s2
	v_lshrrev_b32_e32 v16, 16, v7
	v_cmp_eq_u32_e64 s2, 1, v86
	v_lshrrev_b32_e32 v13, 16, v4
	v_cndmask_b32_e64 v19, v19, v6, s3
	v_lshrrev_b32_e32 v17, 16, v8
	s_delay_alu instid0(VALU_DEP_4) | instskip(SKIP_1) | instid1(VALU_DEP_4)
	v_cndmask_b32_e64 v22, v1, v10, s2
	v_cndmask_b32_e64 v23, v5, v14, s2
	;; [unrolled: 1-line block ×3, first 2 shown]
	v_cndmask_b32_e32 v18, v1, v10, vcc_lo
	v_cmp_eq_u32_e32 vcc_lo, 2, v88
	v_cmp_eq_u32_e64 s2, 2, v89
	v_cndmask_b32_e64 v22, v22, v2, s6
	v_cndmask_b32_e32 v20, v20, v2, vcc_lo
	v_cndmask_b32_e32 v21, v21, v6, vcc_lo
	v_cmp_eq_u32_e32 vcc_lo, 4, v87
	v_cndmask_b32_e32 v19, v19, v7, vcc_lo
	v_cndmask_b32_e64 v18, v18, v2, s3
	v_cmp_eq_u32_e64 s3, 3, v88
	s_delay_alu instid0(VALU_DEP_2) | instskip(NEXT) | instid1(VALU_DEP_2)
	v_cndmask_b32_e64 v18, v18, v11, s4
	v_cndmask_b32_e64 v21, v21, v15, s3
	v_cmp_eq_u32_e64 s4, 5, v87
	s_delay_alu instid0(VALU_DEP_3) | instskip(SKIP_1) | instid1(VALU_DEP_3)
	v_cndmask_b32_e32 v18, v18, v3, vcc_lo
	v_cmp_eq_u32_e32 vcc_lo, 4, v88
	v_cndmask_b32_e64 v19, v19, v16, s4
	s_delay_alu instid0(VALU_DEP_3) | instskip(SKIP_4) | instid1(VALU_DEP_3)
	v_cndmask_b32_e64 v18, v18, v12, s4
	v_cndmask_b32_e32 v21, v21, v7, vcc_lo
	v_cndmask_b32_e64 v20, v20, v11, s3
	v_cmp_eq_u32_e64 s3, 5, v88
	v_cmp_eq_u32_e64 s4, 6, v87
	v_cndmask_b32_e32 v20, v20, v3, vcc_lo
	s_delay_alu instid0(VALU_DEP_3) | instskip(SKIP_1) | instid1(VALU_DEP_4)
	v_cndmask_b32_e64 v21, v21, v16, s3
	v_cmp_eq_u32_e32 vcc_lo, 6, v88
	v_cndmask_b32_e64 v18, v18, v4, s4
	v_cndmask_b32_e64 v19, v19, v8, s4
	;; [unrolled: 1-line block ×3, first 2 shown]
	v_cmp_eq_u32_e64 s3, 1, v89
	v_cmp_eq_u32_e64 s4, 7, v87
	s_delay_alu instid0(VALU_DEP_3) | instskip(NEXT) | instid1(VALU_DEP_3)
	v_cndmask_b32_e32 v20, v20, v4, vcc_lo
	v_cndmask_b32_e64 v1, v1, v10, s3
	v_cndmask_b32_e64 v5, v5, v14, s3
	v_cmp_eq_u32_e64 s3, 3, v86
	v_cndmask_b32_e64 v14, v23, v6, s6
	v_cmp_eq_u32_e64 s6, 3, v89
	v_cndmask_b32_e64 v1, v1, v2, s2
	v_cndmask_b32_e64 v2, v5, v6, s2
	;; [unrolled: 1-line block ×3, first 2 shown]
	v_cmp_eq_u32_e64 s2, 4, v86
	v_cndmask_b32_e64 v6, v14, v15, s3
	v_cndmask_b32_e64 v1, v1, v11, s6
	v_cmp_eq_u32_e64 s3, 4, v89
	v_cndmask_b32_e64 v2, v2, v15, s6
	v_cndmask_b32_e64 v5, v10, v3, s2
	;; [unrolled: 3-line block ×3, first 2 shown]
	v_cndmask_b32_e64 v2, v2, v7, s3
	v_cmp_eq_u32_e64 s2, 5, v89
	v_cndmask_b32_e64 v5, v5, v12, s6
	v_cmp_eq_u32_e64 s3, 6, v86
	;; [unrolled: 2-line block ×3, first 2 shown]
	v_cndmask_b32_e64 v1, v1, v12, s2
	v_cndmask_b32_e64 v2, v2, v16, s2
	;; [unrolled: 1-line block ×4, first 2 shown]
	v_cmp_eq_u32_e64 s2, 7, v89
	v_cndmask_b32_e64 v1, v1, v4, s6
	v_cndmask_b32_e64 v2, v2, v8, s6
	v_cmp_eq_u32_e64 s3, 7, v86
	v_cndmask_b32_e32 v4, v21, v8, vcc_lo
	v_cndmask_b32_e64 v18, v18, v13, s4
	v_cndmask_b32_e64 v20, v20, v13, s5
	v_cndmask_b32_e64 v1, v1, v13, s2
	v_cndmask_b32_e64 v5, v5, v13, s3
	v_cndmask_b32_e64 v2, v2, v17, s2
	v_cndmask_b32_e64 v3, v3, v17, s3
	v_cndmask_b32_e64 v6, v4, v17, s5
	v_cndmask_b32_e64 v7, v19, v17, s4
	s_mov_b32 s2, exec_lo
	v_perm_b32 v4, v2, v1, 0x5040100
	v_perm_b32 v3, v3, v5, 0x5040100
	;; [unrolled: 1-line block ×4, first 2 shown]
	ds_store_b128 v9, v[1:4]
	s_waitcnt lgkmcnt(0)
	s_barrier
	buffer_gl0_inv
	v_cmpx_gt_u32_e32 32, v0
	s_cbranch_execz .LBB765_2
; %bb.113:
	s_load_b64 s[0:1], s[0:1], 0x68
	v_lshlrev_b32_e32 v0, 10, v0
	s_lshl_b32 s4, s34, 7
	v_or_b32_e32 v23, s29, v83
	s_mul_i32 s2, s4, s30
	v_lshlrev_b32_e32 v1, 4, v84
	v_lshlrev_b32_e32 v2, 6, v83
	s_mul_i32 s2, s2, s7
	v_and_b32_e32 v0, 0x3800, v0
	v_mul_lo_u32 v8, v23, s4
	s_ashr_i32 s3, s2, 31
	v_or_b32_e32 v3, 2, v23
	s_lshl_b64 s[2:3], s[2:3], 1
	v_or3_b32 v27, v0, v1, v2
	v_or_b32_e32 v11, 4, v23
	v_or_b32_e32 v18, 6, v23
	v_mul_lo_u32 v10, v3, s4
	v_ashrrev_i32_e32 v9, 31, v8
	ds_load_b128 v[0:3], v27
	ds_load_b128 v[4:7], v27 offset:128
	v_mul_lo_u32 v12, v11, s4
	s_waitcnt lgkmcnt(0)
	s_add_u32 s2, s0, s2
	s_addc_u32 s3, s1, s3
	s_lshl_b32 s0, s14, 7
	v_lshlrev_b64 v[8:9], 1, v[8:9]
	s_ashr_i32 s1, s0, 31
	v_ashrrev_i32_e32 v11, 31, v10
	s_lshl_b64 s[0:1], s[0:1], 1
	v_ashrrev_i32_e32 v13, 31, v12
	s_add_u32 s0, s2, s0
	s_addc_u32 s1, s3, s1
	v_add_co_u32 v30, vcc_lo, s0, v81
	v_add_co_ci_u32_e32 v31, vcc_lo, s1, v82, vcc_lo
	v_lshlrev_b64 v[16:17], 1, v[10:11]
	s_delay_alu instid0(VALU_DEP_3) | instskip(NEXT) | instid1(VALU_DEP_3)
	v_add_co_u32 v14, vcc_lo, v30, v8
	v_add_co_ci_u32_e32 v15, vcc_lo, v31, v9, vcc_lo
	ds_load_b128 v[8:11], v27 offset:256
	v_mul_lo_u32 v18, v18, s4
	v_or_b32_e32 v19, 8, v23
	v_add_co_u32 v16, vcc_lo, v30, v16
	global_store_b128 v[14:15], v[0:3], off
	v_lshlrev_b64 v[0:1], 1, v[12:13]
	v_add_co_ci_u32_e32 v17, vcc_lo, v31, v17, vcc_lo
	v_mul_lo_u32 v12, v19, s4
	v_ashrrev_i32_e32 v19, 31, v18
	v_or_b32_e32 v14, 10, v23
	global_store_b128 v[16:17], v[4:7], off
	v_add_co_u32 v4, vcc_lo, v30, v0
	v_add_co_ci_u32_e32 v5, vcc_lo, v31, v1, vcc_lo
	ds_load_b128 v[0:3], v27 offset:384
	v_ashrrev_i32_e32 v13, 31, v12
	v_lshlrev_b64 v[6:7], 1, v[18:19]
	v_mul_lo_u32 v14, v14, s4
	s_waitcnt lgkmcnt(1)
	global_store_b128 v[4:5], v[8:11], off
	v_or_b32_e32 v8, 12, v23
	v_lshlrev_b64 v[4:5], 1, v[12:13]
	v_add_co_u32 v20, vcc_lo, v30, v6
	v_or_b32_e32 v6, 14, v23
	v_ashrrev_i32_e32 v15, 31, v14
	v_mul_lo_u32 v22, v8, s4
	v_add_co_ci_u32_e32 v21, vcc_lo, v31, v7, vcc_lo
	v_add_co_u32 v24, vcc_lo, v30, v4
	v_mul_lo_u32 v26, v6, s4
	v_add_co_ci_u32_e32 v25, vcc_lo, v31, v5, vcc_lo
	v_lshlrev_b64 v[28:29], 1, v[14:15]
	ds_load_b128 v[4:7], v27 offset:512
	ds_load_b128 v[8:11], v27 offset:640
	ds_load_b128 v[12:15], v27 offset:768
	ds_load_b128 v[16:19], v27 offset:896
	v_ashrrev_i32_e32 v23, 31, v22
	v_ashrrev_i32_e32 v27, 31, v26
	v_add_co_u32 v28, vcc_lo, v30, v28
	s_delay_alu instid0(VALU_DEP_3) | instskip(SKIP_1) | instid1(VALU_DEP_4)
	v_lshlrev_b64 v[22:23], 1, v[22:23]
	v_add_co_ci_u32_e32 v29, vcc_lo, v31, v29, vcc_lo
	v_lshlrev_b64 v[26:27], 1, v[26:27]
	s_delay_alu instid0(VALU_DEP_3) | instskip(NEXT) | instid1(VALU_DEP_4)
	v_add_co_u32 v22, vcc_lo, v30, v22
	v_add_co_ci_u32_e32 v23, vcc_lo, v31, v23, vcc_lo
	s_delay_alu instid0(VALU_DEP_3) | instskip(NEXT) | instid1(VALU_DEP_4)
	v_add_co_u32 v26, vcc_lo, v30, v26
	v_add_co_ci_u32_e32 v27, vcc_lo, v31, v27, vcc_lo
	s_waitcnt lgkmcnt(4)
	global_store_b128 v[20:21], v[0:3], off
	s_waitcnt lgkmcnt(3)
	global_store_b128 v[24:25], v[4:7], off
	s_waitcnt lgkmcnt(2)
	global_store_b128 v[28:29], v[8:11], off
	s_waitcnt lgkmcnt(1)
	global_store_b128 v[22:23], v[12:15], off
	s_waitcnt lgkmcnt(0)
	global_store_b128 v[26:27], v[16:19], off
	s_nop 0
	s_sendmsg sendmsg(MSG_DEALLOC_VGPRS)
	s_endpgm
	.section	.rodata,"a",@progbits
	.p2align	6, 0x0
	.amdhsa_kernel _Z39paged_attention_ll4mi_QKV_mfma16_kernelI14__hip_bfloat16S0_LN4vllm18Fp8KVCacheDataTypeE0ES0_Li32ELi128ELi256ELb0ELi16EL8MFMAType0EEvPKT_PKT0_S9_ifPKiSB_SB_iPKfiiiPfSE_PS4_PT2_iSD_SD_
		.amdhsa_group_segment_fixed_size 17472
		.amdhsa_private_segment_fixed_size 0
		.amdhsa_kernarg_size 400
		.amdhsa_user_sgpr_count 13
		.amdhsa_user_sgpr_dispatch_ptr 0
		.amdhsa_user_sgpr_queue_ptr 0
		.amdhsa_user_sgpr_kernarg_segment_ptr 1
		.amdhsa_user_sgpr_dispatch_id 0
		.amdhsa_user_sgpr_private_segment_size 0
		.amdhsa_wavefront_size32 1
		.amdhsa_uses_dynamic_stack 0
		.amdhsa_enable_private_segment 0
		.amdhsa_system_sgpr_workgroup_id_x 1
		.amdhsa_system_sgpr_workgroup_id_y 1
		.amdhsa_system_sgpr_workgroup_id_z 1
		.amdhsa_system_sgpr_workgroup_info 0
		.amdhsa_system_vgpr_workitem_id 0
		.amdhsa_next_free_vgpr 150
		.amdhsa_next_free_sgpr 38
		.amdhsa_reserve_vcc 1
		.amdhsa_float_round_mode_32 0
		.amdhsa_float_round_mode_16_64 0
		.amdhsa_float_denorm_mode_32 3
		.amdhsa_float_denorm_mode_16_64 3
		.amdhsa_dx10_clamp 1
		.amdhsa_ieee_mode 1
		.amdhsa_fp16_overflow 0
		.amdhsa_workgroup_processor_mode 1
		.amdhsa_memory_ordered 1
		.amdhsa_forward_progress 0
		.amdhsa_shared_vgpr_count 0
		.amdhsa_exception_fp_ieee_invalid_op 0
		.amdhsa_exception_fp_denorm_src 0
		.amdhsa_exception_fp_ieee_div_zero 0
		.amdhsa_exception_fp_ieee_overflow 0
		.amdhsa_exception_fp_ieee_underflow 0
		.amdhsa_exception_fp_ieee_inexact 0
		.amdhsa_exception_int_div_zero 0
	.end_amdhsa_kernel
	.section	.text._Z39paged_attention_ll4mi_QKV_mfma16_kernelI14__hip_bfloat16S0_LN4vllm18Fp8KVCacheDataTypeE0ES0_Li32ELi128ELi256ELb0ELi16EL8MFMAType0EEvPKT_PKT0_S9_ifPKiSB_SB_iPKfiiiPfSE_PS4_PT2_iSD_SD_,"axG",@progbits,_Z39paged_attention_ll4mi_QKV_mfma16_kernelI14__hip_bfloat16S0_LN4vllm18Fp8KVCacheDataTypeE0ES0_Li32ELi128ELi256ELb0ELi16EL8MFMAType0EEvPKT_PKT0_S9_ifPKiSB_SB_iPKfiiiPfSE_PS4_PT2_iSD_SD_,comdat
.Lfunc_end765:
	.size	_Z39paged_attention_ll4mi_QKV_mfma16_kernelI14__hip_bfloat16S0_LN4vllm18Fp8KVCacheDataTypeE0ES0_Li32ELi128ELi256ELb0ELi16EL8MFMAType0EEvPKT_PKT0_S9_ifPKiSB_SB_iPKfiiiPfSE_PS4_PT2_iSD_SD_, .Lfunc_end765-_Z39paged_attention_ll4mi_QKV_mfma16_kernelI14__hip_bfloat16S0_LN4vllm18Fp8KVCacheDataTypeE0ES0_Li32ELi128ELi256ELb0ELi16EL8MFMAType0EEvPKT_PKT0_S9_ifPKiSB_SB_iPKfiiiPfSE_PS4_PT2_iSD_SD_
                                        ; -- End function
	.section	.AMDGPU.csdata,"",@progbits
; Kernel info:
; codeLenInByte = 9920
; NumSgprs: 40
; NumVgprs: 150
; ScratchSize: 0
; MemoryBound: 0
; FloatMode: 240
; IeeeMode: 1
; LDSByteSize: 17472 bytes/workgroup (compile time only)
; SGPRBlocks: 4
; VGPRBlocks: 18
; NumSGPRsForWavesPerEU: 40
; NumVGPRsForWavesPerEU: 150
; Occupancy: 9
; WaveLimiterHint : 1
; COMPUTE_PGM_RSRC2:SCRATCH_EN: 0
; COMPUTE_PGM_RSRC2:USER_SGPR: 13
; COMPUTE_PGM_RSRC2:TRAP_HANDLER: 0
; COMPUTE_PGM_RSRC2:TGID_X_EN: 1
; COMPUTE_PGM_RSRC2:TGID_Y_EN: 1
; COMPUTE_PGM_RSRC2:TGID_Z_EN: 1
; COMPUTE_PGM_RSRC2:TIDIG_COMP_CNT: 0
	.section	.text._Z39paged_attention_ll4mi_QKV_mfma16_kernelI14__hip_bfloat16S0_LN4vllm18Fp8KVCacheDataTypeE0ES0_Li32ELi128ELi256ELb0ELi1EL8MFMAType0EEvPKT_PKT0_S9_ifPKiSB_SB_iPKfiiiPfSE_PS4_PT2_iSD_SD_,"axG",@progbits,_Z39paged_attention_ll4mi_QKV_mfma16_kernelI14__hip_bfloat16S0_LN4vllm18Fp8KVCacheDataTypeE0ES0_Li32ELi128ELi256ELb0ELi1EL8MFMAType0EEvPKT_PKT0_S9_ifPKiSB_SB_iPKfiiiPfSE_PS4_PT2_iSD_SD_,comdat
	.protected	_Z39paged_attention_ll4mi_QKV_mfma16_kernelI14__hip_bfloat16S0_LN4vllm18Fp8KVCacheDataTypeE0ES0_Li32ELi128ELi256ELb0ELi1EL8MFMAType0EEvPKT_PKT0_S9_ifPKiSB_SB_iPKfiiiPfSE_PS4_PT2_iSD_SD_ ; -- Begin function _Z39paged_attention_ll4mi_QKV_mfma16_kernelI14__hip_bfloat16S0_LN4vllm18Fp8KVCacheDataTypeE0ES0_Li32ELi128ELi256ELb0ELi1EL8MFMAType0EEvPKT_PKT0_S9_ifPKiSB_SB_iPKfiiiPfSE_PS4_PT2_iSD_SD_
	.globl	_Z39paged_attention_ll4mi_QKV_mfma16_kernelI14__hip_bfloat16S0_LN4vllm18Fp8KVCacheDataTypeE0ES0_Li32ELi128ELi256ELb0ELi1EL8MFMAType0EEvPKT_PKT0_S9_ifPKiSB_SB_iPKfiiiPfSE_PS4_PT2_iSD_SD_
	.p2align	8
	.type	_Z39paged_attention_ll4mi_QKV_mfma16_kernelI14__hip_bfloat16S0_LN4vllm18Fp8KVCacheDataTypeE0ES0_Li32ELi128ELi256ELb0ELi1EL8MFMAType0EEvPKT_PKT0_S9_ifPKiSB_SB_iPKfiiiPfSE_PS4_PT2_iSD_SD_,@function
_Z39paged_attention_ll4mi_QKV_mfma16_kernelI14__hip_bfloat16S0_LN4vllm18Fp8KVCacheDataTypeE0ES0_Li32ELi128ELi256ELb0ELi1EL8MFMAType0EEvPKT_PKT0_S9_ifPKiSB_SB_iPKfiiiPfSE_PS4_PT2_iSD_SD_: ; @_Z39paged_attention_ll4mi_QKV_mfma16_kernelI14__hip_bfloat16S0_LN4vllm18Fp8KVCacheDataTypeE0ES0_Li32ELi128ELi256ELb0ELi1EL8MFMAType0EEvPKT_PKT0_S9_ifPKiSB_SB_iPKfiiiPfSE_PS4_PT2_iSD_SD_
; %bb.0:
	s_load_b64 s[4:5], s[0:1], 0x30
	s_mov_b32 s34, s13
	s_waitcnt lgkmcnt(0)
	s_cmp_lg_u64 s[4:5], 0
	s_cselect_b32 s6, -1, 0
	s_ashr_i32 s35, s13, 31
	s_cmp_eq_u64 s[4:5], 0
	s_cbranch_scc1 .LBB766_3
; %bb.1:
	s_lshl_b64 s[2:3], s[34:35], 2
	s_delay_alu instid0(SALU_CYCLE_1) | instskip(SKIP_4) | instid1(SALU_CYCLE_1)
	s_add_u32 s2, s4, s2
	s_addc_u32 s3, s5, s3
	s_load_b64 s[2:3], s[2:3], 0x0
	s_waitcnt lgkmcnt(0)
	s_sub_i32 s2, s3, s2
	s_cmp_eq_u32 s2, 1
	s_cselect_b32 s2, -1, 0
	s_delay_alu instid0(SALU_CYCLE_1)
	s_and_not1_b32 vcc_lo, exec_lo, s2
	s_cbranch_vccz .LBB766_4
.LBB766_2:
	s_endpgm
.LBB766_3:
.LBB766_4:
	s_load_b64 s[2:3], s[0:1], 0x28
	s_lshl_b64 s[8:9], s[34:35], 2
	s_waitcnt lgkmcnt(0)
	s_add_u32 s2, s2, s8
	s_addc_u32 s3, s3, s9
	s_lshl_b32 s84, s14, 8
	s_load_b32 s33, s[2:3], 0x0
	s_waitcnt lgkmcnt(0)
	s_cmp_ge_i32 s84, s33
	s_cbranch_scc1 .LBB766_2
; %bb.5:
	s_clause 0x1
	s_load_b128 s[80:83], s[0:1], 0x8
	s_load_b64 s[2:3], s[0:1], 0x20
	s_and_not1_b32 vcc_lo, exec_lo, s6
	s_mov_b64 s[6:7], s[34:35]
	s_cbranch_vccnz .LBB766_7
; %bb.6:
	s_add_u32 s4, s4, s8
	s_addc_u32 s5, s5, s9
	s_load_b32 s6, s[4:5], 0x0
.LBB766_7:
	s_load_b128 s[76:79], s[0:1], 0x48
	v_and_b32_e32 v89, 15, v0
	s_mov_b32 s12, exec_lo
                                        ; implicit-def: $sgpr36
                                        ; implicit-def: $sgpr52
                                        ; implicit-def: $sgpr44
                                        ; implicit-def: $sgpr60
                                        ; implicit-def: $sgpr68
                                        ; implicit-def: $sgpr24
                                        ; implicit-def: $sgpr16
                                        ; implicit-def: $sgpr4
	s_delay_alu instid0(VALU_DEP_1)
	v_cmpx_eq_u32_e32 0, v89
	s_cbranch_execz .LBB766_9
; %bb.8:
	s_load_b64 s[4:5], s[0:1], 0x0
	s_waitcnt lgkmcnt(0)
	s_mul_hi_i32 s7, s6, s76
	s_mul_i32 s6, s6, s76
	s_delay_alu instid0(SALU_CYCLE_1) | instskip(NEXT) | instid1(SALU_CYCLE_1)
	s_lshl_b64 s[6:7], s[6:7], 1
	s_add_u32 s6, s4, s6
	s_addc_u32 s7, s5, s7
	s_lshl_b32 s4, s15, 7
	s_delay_alu instid0(SALU_CYCLE_1) | instskip(NEXT) | instid1(SALU_CYCLE_1)
	s_ashr_i32 s5, s4, 31
	s_lshl_b64 s[4:5], s[4:5], 1
	s_delay_alu instid0(SALU_CYCLE_1)
	s_add_u32 s4, s6, s4
	s_addc_u32 s5, s7, s5
	s_clause 0x7
	s_load_b256 s[36:43], s[4:5], 0x0
	s_load_b256 s[52:59], s[4:5], 0x20
	;; [unrolled: 1-line block ×8, first 2 shown]
.LBB766_9:
	s_or_b32 exec_lo, exec_lo, s12
	s_waitcnt lgkmcnt(0)
	v_dual_mov_b32 v108, s43 :: v_dual_and_b32 v1, 0xef, v0
	s_clause 0x1
	s_load_b32 s13, s[0:1], 0x38
	s_load_b32 s76, s[0:1], 0x1c
	s_add_i32 s35, s33, 31
	v_dual_mov_b32 v107, s42 :: v_dual_add_nc_u32 v2, s84, v1
	s_mul_i32 s12, s15, s78
	s_ashr_i32 s78, s35, 31
	v_lshrrev_b32_e32 v92, 5, v0
	s_delay_alu instid0(VALU_DEP_2)
	v_ashrrev_i32_e32 v1, 31, v2
	v_cmp_gt_i32_e32 vcc_lo, s33, v2
	s_lshr_b32 s79, s78, 27
	v_mov_b32_e32 v106, s41
	s_add_i32 s35, s35, s79
	v_lshrrev_b32_e32 v3, 27, v1
	v_mov_b32_e32 v104, s39
	v_mov_b32_e32 v102, s37
	v_dual_mov_b32 v140, s23 :: v_dual_mov_b32 v139, s22
	s_delay_alu instid0(VALU_DEP_4)
	v_add_nc_u32_e32 v1, v2, v3
	v_or_b32_e32 v2, 16, v2
	s_waitcnt lgkmcnt(0)
	s_mul_i32 s78, s34, s13
	s_ashr_i32 s13, s35, 5
	s_ashr_i32 s79, s78, 31
	v_ashrrev_i32_e32 v1, 5, v1
	v_add_nc_u32_e32 v3, v2, v3
	s_lshl_b64 s[86:87], s[78:79], 2
	s_add_i32 s79, s13, -1
	s_add_u32 s35, s2, s86
	v_cndmask_b32_e32 v1, s79, v1, vcc_lo
	v_ashrrev_i32_e32 v3, 5, v3
	v_cmp_gt_i32_e32 vcc_lo, s33, v2
	s_addc_u32 s78, s3, s87
	s_ashr_i32 s13, s12, 31
	v_ashrrev_i32_e32 v2, 31, v1
	s_lshl_b64 s[2:3], s[12:13], 1
	v_cndmask_b32_e32 v3, s79, v3, vcc_lo
	s_add_u32 s85, s80, s2
	s_addc_u32 s94, s81, s3
	v_lshlrev_b64 v[1:2], 2, v[1:2]
	s_lshl_b32 s12, s14, 3
	v_ashrrev_i32_e32 v4, 31, v3
	s_ashr_i32 s13, s12, 31
	v_mov_b32_e32 v138, s21
	s_lshl_b64 s[12:13], s[12:13], 2
	v_add_co_u32 v1, vcc_lo, s35, v1
	v_lshlrev_b64 v[3:4], 2, v[3:4]
	v_add_co_ci_u32_e32 v2, vcc_lo, s78, v2, vcc_lo
	s_add_u32 s12, s35, s12
	s_addc_u32 s13, s78, s13
	s_or_b32 s80, s84, 32
	s_delay_alu instid0(VALU_DEP_2)
	v_add_co_u32 v3, vcc_lo, s35, v3
	v_add_co_ci_u32_e32 v4, vcc_lo, s78, v4, vcc_lo
	s_clause 0x1
	global_load_b32 v5, v[1:2], off
	global_load_b32 v6, v[3:4], off
	s_ashr_i32 s81, s80, 5
	s_cmp_lt_i32 s80, s33
	v_mov_b32_e32 v137, s20
	s_cselect_b32 s80, s81, s79
	v_mov_b32_e32 v136, s19
	s_ashr_i32 s81, s80, 31
	v_mov_b32_e32 v135, s18
	s_lshl_b64 s[80:81], s[80:81], 2
	v_mov_b32_e32 v134, s17
	s_add_u32 s80, s35, s80
	s_addc_u32 s81, s78, s81
	s_or_b32 s86, s84, 64
	v_mov_b32_e32 v133, s16
	s_ashr_i32 s87, s86, 5
	s_cmp_lt_i32 s86, s33
	s_cselect_b32 s86, s87, s79
	s_delay_alu instid0(SALU_CYCLE_1) | instskip(NEXT) | instid1(SALU_CYCLE_1)
	s_ashr_i32 s87, s86, 31
	s_lshl_b64 s[86:87], s[86:87], 2
	s_delay_alu instid0(SALU_CYCLE_1) | instskip(SKIP_2) | instid1(SALU_CYCLE_1)
	s_add_u32 s86, s35, s86
	s_addc_u32 s87, s78, s87
	s_or_b32 s88, s84, 0x60
	s_ashr_i32 s89, s88, 5
	s_cmp_lt_i32 s88, s33
	s_cselect_b32 s88, s89, s79
	s_delay_alu instid0(SALU_CYCLE_1) | instskip(NEXT) | instid1(SALU_CYCLE_1)
	s_ashr_i32 s89, s88, 31
	s_lshl_b64 s[88:89], s[88:89], 2
	s_delay_alu instid0(SALU_CYCLE_1) | instskip(SKIP_2) | instid1(SALU_CYCLE_1)
	s_add_u32 s88, s35, s88
	s_addc_u32 s89, s78, s89
	s_or_b32 s90, s84, 0x80
	;; [unrolled: 10-line block ×3, first 2 shown]
	s_ashr_i32 s93, s92, 5
	s_cmp_lt_i32 s92, s33
	s_cselect_b32 s92, s93, s79
	s_delay_alu instid0(SALU_CYCLE_1) | instskip(NEXT) | instid1(SALU_CYCLE_1)
	s_ashr_i32 s93, s92, 31
	s_lshl_b64 s[92:93], s[92:93], 2
	s_delay_alu instid0(SALU_CYCLE_1)
	s_add_u32 s92, s35, s92
	s_addc_u32 s93, s78, s93
	s_clause 0x5
	s_load_b32 s96, s[12:13], 0x0
	s_load_b32 s80, s[80:81], 0x0
	;; [unrolled: 1-line block ×6, first 2 shown]
	s_mov_b32 s88, 0
	s_delay_alu instid0(SALU_CYCLE_1)
	s_mov_b32 s89, s88
	s_mov_b32 s90, s88
	;; [unrolled: 1-line block ×6, first 2 shown]
	s_waitcnt lgkmcnt(0)
	s_mul_hi_i32 s19, s96, s77
	s_mul_i32 s18, s96, s77
	s_mul_hi_i32 s21, s80, s77
	s_waitcnt vmcnt(1)
	v_mad_i64_i32 v[1:2], null, v5, s77, 0
	s_waitcnt vmcnt(0)
	v_mad_i64_i32 v[3:4], null, v6, s77, 0
	v_lshlrev_b32_e32 v5, 4, v89
	s_delay_alu instid0(VALU_DEP_3) | instskip(NEXT) | instid1(VALU_DEP_3)
	v_lshlrev_b64 v[1:2], 1, v[1:2]
	v_lshlrev_b64 v[3:4], 1, v[3:4]
	s_delay_alu instid0(VALU_DEP_2) | instskip(NEXT) | instid1(VALU_DEP_3)
	v_add_co_u32 v1, vcc_lo, s85, v1
	v_add_co_ci_u32_e32 v2, vcc_lo, s94, v2, vcc_lo
	s_delay_alu instid0(VALU_DEP_3) | instskip(NEXT) | instid1(VALU_DEP_4)
	v_add_co_u32 v3, vcc_lo, s85, v3
	v_add_co_ci_u32_e32 v4, vcc_lo, s94, v4, vcc_lo
	s_delay_alu instid0(VALU_DEP_4) | instskip(NEXT) | instid1(VALU_DEP_4)
	v_add_co_u32 v65, vcc_lo, v1, v5
	v_add_co_ci_u32_e32 v66, vcc_lo, 0, v2, vcc_lo
	s_delay_alu instid0(VALU_DEP_4) | instskip(NEXT) | instid1(VALU_DEP_4)
	v_add_co_u32 v73, vcc_lo, v3, v5
	v_add_co_ci_u32_e32 v74, vcc_lo, 0, v4, vcc_lo
	s_clause 0xf
	global_load_b128 v[1:4], v[65:66], off
	global_load_b128 v[5:8], v[65:66], off offset:512
	global_load_b128 v[9:12], v[73:74], off offset:256
	;; [unrolled: 1-line block ×15, first 2 shown]
	v_add_co_u32 v90, vcc_lo, 0x1000, v65
	v_add_co_ci_u32_e32 v91, vcc_lo, 0, v66, vcc_lo
	v_add_co_u32 v129, vcc_lo, 0x1000, v73
	v_add_co_ci_u32_e32 v130, vcc_lo, 0, v74, vcc_lo
	s_mov_b32 s94, s88
	s_clause 0x1
	global_load_b128 v[65:68], v[90:91], off
	global_load_b128 v[69:72], v[90:91], off offset:512
	v_dual_mov_b32 v73, s88 :: v_dual_mov_b32 v80, s95
	s_clause 0x1
	global_load_b128 v[93:96], v[129:130], off offset:256
	global_load_b128 v[97:100], v[129:130], off offset:768
	v_dual_mov_b32 v105, s40 :: v_dual_mov_b32 v74, s89
	v_dual_mov_b32 v103, s38 :: v_dual_mov_b32 v76, s91
	;; [unrolled: 1-line block ×3, first 2 shown]
	v_mov_b32_e32 v75, s90
	v_mov_b32_e32 v77, s92
	v_mov_b32_e32 v79, s94
	s_clause 0x1
	global_load_b128 v[109:112], v[90:91], off offset:1024
	global_load_b128 v[113:116], v[90:91], off offset:1536
	s_waitcnt vmcnt(20)
	v_wmma_f32_16x16x16_bf16 v[81:88], v[1:8], v[101:108], v[73:80]
	s_clause 0x1
	global_load_b128 v[1:4], v[129:130], off offset:1280
	global_load_b128 v[5:8], v[129:130], off offset:1792
	s_waitcnt vmcnt(20)
	v_wmma_f32_16x16x16_bf16 v[73:80], v[9:16], v[101:108], v[73:80]
	v_dual_mov_b32 v9, s52 :: v_dual_mov_b32 v16, s59
	v_dual_mov_b32 v10, s53 :: v_dual_mov_b32 v11, s54
	;; [unrolled: 1-line block ×4, first 2 shown]
	s_clause 0x1
	global_load_b128 v[101:104], v[90:91], off offset:2048
	global_load_b128 v[105:108], v[90:91], off offset:2560
	s_waitcnt vmcnt(18)
	v_wmma_f32_16x16x16_bf16 v[73:80], v[25:32], v[9:16], v[73:80]
	s_clause 0x5
	global_load_b128 v[25:28], v[129:130], off offset:2304
	global_load_b128 v[29:32], v[129:130], off offset:2816
	;; [unrolled: 1-line block ×6, first 2 shown]
	v_wmma_f32_16x16x16_bf16 v[81:88], v[17:24], v[9:16], v[81:88]
	v_dual_mov_b32 v9, s44 :: v_dual_mov_b32 v16, s51
	v_dual_mov_b32 v10, s45 :: v_dual_mov_b32 v11, s46
	;; [unrolled: 1-line block ×5, first 2 shown]
	v_mov_b32_e32 v19, s70
	v_mov_b32_e32 v21, s72
	s_waitcnt vmcnt(22)
	v_wmma_f32_16x16x16_bf16 v[81:88], v[33:40], v[9:16], v[81:88]
	v_mov_b32_e32 v40, s31
	v_dual_mov_b32 v38, s29 :: v_dual_mov_b32 v23, s74
	v_dual_mov_b32 v36, s27 :: v_dual_mov_b32 v39, s30
	;; [unrolled: 1-line block ×3, first 2 shown]
	v_mov_b32_e32 v35, s26
	v_mov_b32_e32 v33, s24
	s_or_b32 s24, s84, 0xc0
	v_lshlrev_b32_e32 v91, 6, v89
	s_ashr_i32 s25, s24, 5
	s_cmp_lt_i32 s24, s33
	s_waitcnt vmcnt(20)
	v_wmma_f32_16x16x16_bf16 v[73:80], v[41:48], v[9:16], v[73:80]
	s_cselect_b32 s16, s25, s79
	v_dual_mov_b32 v9, s60 :: v_dual_mov_b32 v16, s67
	s_ashr_i32 s17, s16, 31
	v_mov_b32_e32 v10, s61
	s_lshl_b64 s[16:17], s[16:17], 2
	v_dual_mov_b32 v11, s62 :: v_dual_mov_b32 v18, s69
	s_add_u32 s16, s35, s16
	s_addc_u32 s17, s78, s17
	s_or_b32 s20, s84, 0xe0
	v_mov_b32_e32 v12, s63
	s_ashr_i32 s22, s20, 5
	s_cmp_lt_i32 s20, s33
	v_dual_mov_b32 v13, s64 :: v_dual_mov_b32 v20, s71
	s_cselect_b32 s22, s22, s79
	v_mov_b32_e32 v14, s65
	s_ashr_i32 s23, s22, 31
	v_dual_mov_b32 v15, s66 :: v_dual_mov_b32 v22, s73
	s_lshl_b64 s[22:23], s[22:23], 2
	s_mul_hi_i32 s27, s86, s77
	s_add_u32 s22, s35, s22
	s_addc_u32 s23, s78, s23
	s_add_i32 s28, s84, 0x100
	s_waitcnt vmcnt(18)
	v_wmma_f32_16x16x16_bf16 v[81:88], v[49:56], v[9:16], v[81:88]
	s_ashr_i32 s29, s28, 5
	s_cmp_lt_i32 s28, s33
	s_waitcnt vmcnt(16)
	v_wmma_f32_16x16x16_bf16 v[73:80], v[57:64], v[9:16], v[73:80]
	s_cselect_b32 s28, s29, s79
	v_lshl_or_b32 v9, v92, 10, v91
	s_ashr_i32 s29, s28, 31
	s_mul_i32 s26, s86, s77
	s_lshl_b64 s[28:29], s[28:29], 2
	s_load_b32 s30, s[16:17], 0x0
	s_add_u32 s28, s35, s28
	s_addc_u32 s29, s78, s29
	s_add_u32 s31, s82, s2
	s_clause 0x1
	s_load_b32 s35, s[22:23], 0x0
	s_load_b32 s28, s[28:29], 0x0
	s_addc_u32 s29, s83, s3
	s_lshl_b64 s[22:23], s[26:27], 1
	v_add_co_u32 v90, s26, s31, v9
	s_delay_alu instid0(VALU_DEP_1) | instskip(SKIP_2) | instid1(VALU_DEP_2)
	v_add_co_ci_u32_e64 v143, null, s29, 0, s26
	s_lshl_b64 s[2:3], s[18:19], 1
	s_mul_i32 s20, s80, s77
	v_add_co_u32 v9, vcc_lo, v90, s2
	s_lshl_b64 s[18:19], s[20:21], 1
	s_mul_hi_i32 s25, s81, s77
	s_mul_i32 s24, s81, s77
	v_add_co_ci_u32_e32 v10, vcc_lo, s3, v143, vcc_lo
	v_add_co_u32 v11, vcc_lo, v90, s18
	s_lshl_b64 s[20:21], s[24:25], 1
	v_add_co_ci_u32_e32 v12, vcc_lo, s19, v143, vcc_lo
	v_add_co_u32 v13, vcc_lo, v90, s20
	s_mul_hi_i32 s17, s13, s77
	s_mul_i32 s16, s13, s77
	v_add_co_ci_u32_e32 v14, vcc_lo, s21, v143, vcc_lo
	v_add_co_u32 v15, vcc_lo, v90, s22
	s_lshl_b64 s[16:17], s[16:17], 1
	s_mul_hi_i32 s13, s12, s77
	s_mul_i32 s12, s12, s77
	v_add_co_ci_u32_e32 v16, vcc_lo, s23, v143, vcc_lo
	v_add_co_u32 v141, vcc_lo, v90, s16
	s_lshl_b64 s[12:13], s[12:13], 1
	s_waitcnt lgkmcnt(0)
	s_mul_hi_i32 s25, s30, s77
	s_mul_i32 s24, s30, s77
	v_add_co_ci_u32_e32 v142, vcc_lo, s17, v143, vcc_lo
	s_waitcnt vmcnt(14)
	v_wmma_f32_16x16x16_bf16 v[81:88], v[65:72], v[17:24], v[81:88]
	s_clause 0x5
	global_load_b128 v[65:68], v[9:10], off
	global_load_b128 v[69:72], v[9:10], off offset:16
	global_load_b128 v[57:60], v[11:12], off
	global_load_b128 v[61:64], v[11:12], off offset:16
	;; [unrolled: 2-line block ×3, first 2 shown]
	v_add_co_u32 v13, vcc_lo, v90, s12
	s_lshl_b64 s[24:25], s[24:25], 1
	s_waitcnt vmcnt(18)
	v_wmma_f32_16x16x16_bf16 v[73:80], v[93:100], v[17:24], v[73:80]
	v_add_co_ci_u32_e32 v14, vcc_lo, s13, v143, vcc_lo
	s_mul_hi_i32 s3, s35, s77
	s_mul_i32 s2, s35, s77
	v_add_co_u32 v93, vcc_lo, v90, s24
	s_lshl_b64 s[2:3], s[2:3], 1
	v_add_co_ci_u32_e32 v94, vcc_lo, s25, v143, vcc_lo
	s_waitcnt vmcnt(16)
	v_wmma_f32_16x16x16_bf16 v[81:88], v[109:116], v[33:40], v[81:88]
	s_mul_hi_i32 s13, s28, s77
	s_mul_i32 s12, s28, s77
	s_clause 0x5
	global_load_b128 v[41:44], v[15:16], off
	global_load_b128 v[45:48], v[15:16], off offset:16
	global_load_b128 v[17:20], v[141:142], off
	global_load_b128 v[21:24], v[141:142], off offset:16
	;; [unrolled: 2-line block ×3, first 2 shown]
	s_waitcnt vmcnt(20)
	v_wmma_f32_16x16x16_bf16 v[73:80], v[1:8], v[33:40], v[73:80]
	v_add_co_u32 v37, vcc_lo, v90, s2
	v_add_co_ci_u32_e32 v38, vcc_lo, s3, v143, vcc_lo
	s_lshl_b64 s[2:3], s[12:13], 1
	s_clause 0x1
	global_load_b128 v[1:4], v[93:94], off
	global_load_b128 v[5:8], v[93:94], off offset:16
	v_add_co_u32 v95, vcc_lo, v90, s2
	v_add_co_ci_u32_e32 v96, vcc_lo, s3, v143, vcc_lo
	v_bfe_u32 v90, v0, 4, 1
	s_waitcnt vmcnt(18)
	v_wmma_f32_16x16x16_bf16 v[73:80], v[25:32], v[133:140], v[73:80]
	s_clause 0x3
	global_load_b128 v[33:36], v[37:38], off
	global_load_b128 v[37:40], v[37:38], off offset:16
	global_load_b128 v[25:28], v[95:96], off
	global_load_b128 v[29:32], v[95:96], off offset:16
	v_mov_b32_e32 v100, s11
	v_mov_b32_e32 v98, s9
	;; [unrolled: 1-line block ×4, first 2 shown]
	v_wmma_f32_16x16x16_bf16 v[81:88], v[101:108], v[133:140], v[81:88]
	v_mbcnt_lo_u32_b32 v102, -1, 0
	v_mov_b32_e32 v97, s8
	v_mov_b32_e32 v95, s6
	;; [unrolled: 1-line block ×3, first 2 shown]
	s_waitcnt vmcnt(0)
	v_xor_b32_e32 v103, 16, v102
	s_barrier
	buffer_gl0_inv
	v_cmp_gt_i32_e32 vcc_lo, 32, v103
	v_dual_mov_b32 v99, s10 :: v_dual_cndmask_b32 v102, v102, v103
	s_delay_alu instid0(VALU_DEP_1) | instskip(NEXT) | instid1(VALU_DEP_1)
	v_wmma_f32_16x16x16_bf16 v[81:88], v[117:124], v[93:100], v[81:88]
	v_mul_f32_e32 v110, s76, v88
	s_delay_alu instid0(VALU_DEP_2) | instskip(NEXT) | instid1(VALU_DEP_3)
	v_mul_f32_e32 v112, s76, v86
	v_mul_f32_e32 v114, s76, v84
	v_wmma_f32_16x16x16_bf16 v[73:80], v[125:132], v[93:100], v[73:80]
	v_and_b32_e32 v101, 0xe0, v0
	v_mul_f32_e32 v113, s76, v81
	v_mul_f32_e32 v115, s76, v82
	;; [unrolled: 1-line block ×3, first 2 shown]
	s_delay_alu instid0(VALU_DEP_4) | instskip(NEXT) | instid1(VALU_DEP_1)
	v_add_nc_u32_e32 v101, s84, v101
	v_or_b32_e32 v101, v101, v90
	s_delay_alu instid0(VALU_DEP_1)
	v_or_b32_e32 v103, 2, v101
	v_or_b32_e32 v104, 4, v101
	;; [unrolled: 1-line block ×3, first 2 shown]
	v_cmp_gt_i32_e32 vcc_lo, s33, v101
	v_or_b32_e32 v106, 8, v101
	v_cmp_gt_i32_e64 s2, s33, v103
	v_or_b32_e32 v107, 10, v101
	v_or_b32_e32 v93, 12, v101
	;; [unrolled: 1-line block ×11, first 2 shown]
	v_mul_f32_e32 v101, s76, v83
	v_cndmask_b32_e32 v113, 0xff7fffff, v113, vcc_lo
	v_cndmask_b32_e64 v103, 0xff7fffff, v115, s2
	v_cmp_gt_i32_e64 s3, s33, v104
	v_cmp_gt_i32_e64 s4, s33, v105
	v_mul_f32_e32 v105, s76, v85
	v_cmp_gt_i32_e64 s5, s33, v107
	v_max3_f32 v103, v113, 0xff7fffff, v103
	v_cndmask_b32_e64 v101, 0xff7fffff, v101, s3
	v_cndmask_b32_e64 v104, 0xff7fffff, v114, s4
	v_cmp_gt_i32_e64 s6, s33, v106
	v_cndmask_b32_e64 v112, 0xff7fffff, v112, s5
	v_cmp_gt_i32_e64 s7, s33, v93
	v_cmp_gt_i32_e64 s8, s33, v94
	v_max3_f32 v101, v103, v101, v104
	v_cndmask_b32_e64 v105, 0xff7fffff, v105, s6
	v_dual_mul_f32 v106, s76, v74 :: v_dual_mul_f32 v93, s76, v73
	v_cndmask_b32_e64 v111, 0xff7fffff, v111, s7
	v_cndmask_b32_e64 v94, 0xff7fffff, v110, s8
	s_delay_alu instid0(VALU_DEP_4) | instskip(SKIP_3) | instid1(VALU_DEP_4)
	v_max3_f32 v101, v101, v105, v112
	v_cmp_gt_i32_e64 s9, s33, v95
	v_cmp_gt_i32_e64 s10, s33, v96
	v_dual_mul_f32 v104, s76, v76 :: v_dual_mul_f32 v107, s76, v75
	v_max3_f32 v94, v101, v111, v94
	s_delay_alu instid0(VALU_DEP_4) | instskip(NEXT) | instid1(VALU_DEP_4)
	v_cndmask_b32_e64 v93, 0xff7fffff, v93, s9
	v_cndmask_b32_e64 v95, 0xff7fffff, v106, s10
	v_cmp_gt_i32_e64 s11, s33, v97
	v_cmp_gt_i32_e64 s12, s33, v98
	v_mul_f32_e32 v115, s76, v78
	v_mul_f32_e32 v103, s76, v77
	v_max3_f32 v93, v94, v93, v95
	v_cndmask_b32_e64 v96, 0xff7fffff, v107, s11
	v_cndmask_b32_e64 v97, 0xff7fffff, v104, s12
	v_cmp_gt_i32_e64 s13, s33, v99
	v_cmp_gt_i32_e64 s16, s33, v100
	v_dual_mul_f32 v113, s76, v80 :: v_dual_mul_f32 v114, s76, v79
	s_delay_alu instid0(VALU_DEP_4) | instskip(NEXT) | instid1(VALU_DEP_4)
	v_max3_f32 v93, v93, v96, v97
	v_cndmask_b32_e64 v94, 0xff7fffff, v103, s13
	s_delay_alu instid0(VALU_DEP_4) | instskip(SKIP_3) | instid1(VALU_DEP_4)
	v_cndmask_b32_e64 v95, 0xff7fffff, v115, s16
	v_cmp_gt_i32_e64 s17, s33, v108
	v_cmp_gt_i32_e64 s18, s33, v109
	v_lshlrev_b32_e32 v98, 2, v102
	v_max3_f32 v93, v93, v94, v95
	s_delay_alu instid0(VALU_DEP_4) | instskip(NEXT) | instid1(VALU_DEP_4)
	v_cndmask_b32_e64 v96, 0xff7fffff, v114, s17
	v_cndmask_b32_e64 v97, 0xff7fffff, v113, s18
	s_delay_alu instid0(VALU_DEP_1) | instskip(SKIP_3) | instid1(VALU_DEP_1)
	v_max3_f32 v93, v93, v96, v97
	ds_bpermute_b32 v94, v98, v93
	s_waitcnt lgkmcnt(0)
	v_max_f32_e32 v94, v94, v94
	v_max_f32_e32 v96, v93, v94
	s_delay_alu instid0(VALU_DEP_1) | instskip(SKIP_4) | instid1(VALU_DEP_4)
	v_fma_f32 v81, s76, v81, -v96
	v_fma_f32 v82, s76, v82, -v96
	;; [unrolled: 1-line block ×5, first 2 shown]
	v_dual_mul_f32 v81, 0x3fb8aa3b, v81 :: v_dual_mul_f32 v82, 0x3fb8aa3b, v82
	s_delay_alu instid0(VALU_DEP_3) | instskip(SKIP_1) | instid1(VALU_DEP_3)
	v_dual_mul_f32 v78, 0x3fb8aa3b, v78 :: v_dual_mul_f32 v83, 0x3fb8aa3b, v83
	v_fma_f32 v93, s76, v85, -v96
	v_exp_f32_e32 v81, v81
	s_delay_alu instid0(VALU_DEP_3)
	v_exp_f32_e32 v82, v82
	v_mul_f32_e32 v84, 0x3fb8aa3b, v84
	v_exp_f32_e32 v83, v83
	v_fma_f32 v87, s76, v87, -v96
	v_fma_f32 v73, s76, v73, -v96
	;; [unrolled: 1-line block ×5, first 2 shown]
	v_mul_f32_e32 v87, 0x3fb8aa3b, v87
	v_cndmask_b32_e32 v85, 0, v81, vcc_lo
	v_fma_f32 v81, s76, v86, -v96
	v_mul_f32_e32 v86, 0x3fb8aa3b, v93
	v_exp_f32_e32 v93, v84
	v_cndmask_b32_e64 v84, 0, v82, s2
	v_add_f32_e32 v82, 0, v85
	v_mul_f32_e32 v81, 0x3fb8aa3b, v81
	v_exp_f32_e32 v94, v86
	v_cndmask_b32_e64 v86, 0, v83, s3
	v_fma_f32 v83, s76, v88, -v96
	v_add_f32_e32 v82, v82, v84
	v_exp_f32_e32 v81, v81
	v_exp_f32_e32 v87, v87
	v_cndmask_b32_e64 v88, 0, v93, s4
	s_delay_alu instid0(VALU_DEP_2) | instskip(SKIP_1) | instid1(TRANS32_DEP_3)
	v_dual_mul_f32 v83, 0x3fb8aa3b, v83 :: v_dual_add_f32 v82, v82, v86
	v_mul_f32_e32 v73, 0x3fb8aa3b, v73
	v_cndmask_b32_e64 v93, 0, v94, s6
	v_mul_f32_e32 v74, 0x3fb8aa3b, v74
	s_delay_alu instid0(VALU_DEP_4) | instskip(SKIP_1) | instid1(TRANS32_DEP_3)
	v_exp_f32_e32 v83, v83
	v_add_f32_e32 v82, v82, v88
	v_cndmask_b32_e64 v94, 0, v81, s5
	v_exp_f32_e32 v73, v73
	v_cndmask_b32_e64 v87, 0, v87, s7
	v_mul_f32_e32 v75, 0x3fb8aa3b, v75
	v_add_f32_e32 v81, v82, v93
	v_exp_f32_e32 v74, v74
	v_fma_f32 v77, s76, v77, -v96
	v_mul_f32_e32 v76, 0x3fb8aa3b, v76
	v_cndmask_b32_e64 v95, 0, v83, s8
	v_add_f32_e32 v81, v81, v94
	v_exp_f32_e32 v82, v75
	v_cndmask_b32_e64 v75, 0, v73, s9
	v_mul_f32_e32 v77, 0x3fb8aa3b, v77
	v_fma_f32 v80, s76, v80, -v96
	v_add_f32_e32 v81, v81, v87
	v_and_b32_e32 v83, 31, v0
	s_mov_b32 s3, exec_lo
	s_delay_alu instid0(VALU_DEP_2)
	v_add_f32_e32 v73, v81, v95
	v_exp_f32_e32 v81, v76
	v_cndmask_b32_e64 v76, 0, v74, s10
	v_fma_f32 v74, s76, v79, -v96
	v_exp_f32_e32 v79, v77
	v_add_f32_e32 v73, v73, v75
	v_cndmask_b32_e64 v77, 0, v82, s11
	v_exp_f32_e32 v82, v78
	v_mul_f32_e32 v74, 0x3fb8aa3b, v74
	v_cmp_lt_u32_e64 s2, 15, v83
	v_add_f32_e32 v73, v73, v76
	v_cndmask_b32_e64 v78, 0, v81, s12
	v_mul_f32_e32 v81, 0x3fb8aa3b, v80
	v_exp_f32_e32 v74, v74
	v_cndmask_b32_e64 v79, 0, v79, s13
	v_add_f32_e32 v73, v73, v77
	s_delay_alu instid0(TRANS32_DEP_2) | instskip(SKIP_1) | instid1(VALU_DEP_2)
	v_cndmask_b32_e64 v80, 0, v82, s16
	v_exp_f32_e32 v82, v81
	v_add_f32_e32 v73, v73, v78
	s_waitcnt_depctr 0xfff
	v_cndmask_b32_e64 v81, 0, v74, s17
	v_add_f32_e32 v73, v73, v79
	v_cndmask_b32_e64 v82, 0, v82, s18
	s_delay_alu instid0(VALU_DEP_2) | instskip(NEXT) | instid1(VALU_DEP_1)
	v_add_f32_e32 v73, v73, v80
	v_add_f32_e32 v73, v73, v81
	s_delay_alu instid0(VALU_DEP_1)
	v_add_f32_e32 v73, v73, v82
	ds_bpermute_b32 v74, v98, v73
	v_cmpx_gt_u32_e32 16, v83
	s_cbranch_execz .LBB766_11
; %bb.10:
	v_mul_u32_u24_e32 v83, 0x44, v92
	s_delay_alu instid0(VALU_DEP_1) | instskip(SKIP_1) | instid1(VALU_DEP_1)
	v_lshl_add_u32 v83, v89, 2, v83
	s_waitcnt lgkmcnt(0)
	v_dual_add_f32 v73, v73, v74 :: v_dual_add_nc_u32 v74, 0x4000, v83
	ds_store_2addr_b32 v74, v96, v73 offset1:136
.LBB766_11:
	s_or_b32 exec_lo, exec_lo, s3
	v_lshlrev_b32_e32 v73, 2, v89
	s_waitcnt lgkmcnt(0)
	s_barrier
	buffer_gl0_inv
	v_cmp_eq_u32_e64 s3, 1, v92
	v_add_nc_u32_e32 v83, 0x4000, v73
	ds_load_2addr_b32 v[96:97], v83 offset1:17
	ds_load_2addr_b32 v[98:99], v83 offset0:34 offset1:51
	ds_load_2addr_b32 v[100:101], v83 offset0:68 offset1:85
	;; [unrolled: 1-line block ×4, first 2 shown]
	s_waitcnt lgkmcnt(4)
	v_max3_f32 v73, v96, 0xff7fffff, v97
	s_waitcnt lgkmcnt(3)
	s_delay_alu instid0(VALU_DEP_1) | instskip(SKIP_1) | instid1(VALU_DEP_1)
	v_max3_f32 v73, v73, v98, v99
	s_waitcnt lgkmcnt(2)
	v_max3_f32 v73, v73, v100, v101
	s_waitcnt lgkmcnt(1)
	s_delay_alu instid0(VALU_DEP_1) | instskip(NEXT) | instid1(VALU_DEP_1)
	v_max3_f32 v73, v73, v102, v103
	v_sub_f32_e32 v74, v96, v73
	v_sub_f32_e32 v98, v98, v73
	;; [unrolled: 1-line block ×3, first 2 shown]
	s_delay_alu instid0(VALU_DEP_3) | instskip(NEXT) | instid1(VALU_DEP_3)
	v_mul_f32_e32 v74, 0x3fb8aa3b, v74
	v_mul_f32_e32 v108, 0x3fb8aa3b, v98
	s_delay_alu instid0(VALU_DEP_3) | instskip(NEXT) | instid1(VALU_DEP_3)
	v_mul_f32_e32 v110, 0x3fb8aa3b, v100
	v_exp_f32_e32 v107, v74
	v_sub_f32_e32 v74, v99, v73
	v_sub_f32_e32 v106, v97, v73
	ds_load_2addr_b32 v[96:97], v83 offset0:170 offset1:187
	v_exp_f32_e32 v108, v108
	v_mul_f32_e32 v109, 0x3fb8aa3b, v74
	v_mul_f32_e32 v106, 0x3fb8aa3b, v106
	s_waitcnt lgkmcnt(1)
	v_fma_f32 v74, v107, v104, 0
	v_sub_f32_e32 v104, v101, v73
	s_delay_alu instid0(VALU_DEP_3) | instskip(SKIP_4) | instid1(VALU_DEP_1)
	v_exp_f32_e32 v106, v106
	v_exp_f32_e32 v109, v109
	s_waitcnt_depctr 0xfff
	v_fmac_f32_e32 v74, v106, v105
	s_waitcnt lgkmcnt(0)
	v_fmac_f32_e32 v74, v108, v96
	ds_load_2addr_b32 v[98:99], v83 offset0:204 offset1:221
	ds_load_2addr_b32 v[100:101], v83 offset0:238 offset1:255
	v_dual_sub_f32 v83, v102, v73 :: v_dual_mul_f32 v102, 0x3fb8aa3b, v104
	v_exp_f32_e32 v104, v110
	v_sub_f32_e32 v96, v103, v73
	s_delay_alu instid0(VALU_DEP_2) | instskip(NEXT) | instid1(VALU_DEP_3)
	v_dual_fmac_f32 v74, v109, v97 :: v_dual_mul_f32 v83, 0x3fb8aa3b, v83
	v_exp_f32_e32 v102, v102
	s_waitcnt lgkmcnt(0)
	s_delay_alu instid0(VALU_DEP_2)
	v_mul_f32_e32 v96, 0x3fb8aa3b, v96
	s_barrier
	v_exp_f32_e32 v83, v83
	buffer_gl0_inv
	v_exp_f32_e32 v96, v96
	v_fmac_f32_e32 v74, v104, v98
	s_delay_alu instid0(VALU_DEP_1) | instskip(NEXT) | instid1(VALU_DEP_1)
	v_fmac_f32_e32 v74, v102, v99
	v_fmac_f32_e32 v74, v83, v100
	s_waitcnt_depctr 0xfff
	v_fmac_f32_e32 v74, v96, v101
	s_delay_alu instid0(VALU_DEP_1) | instskip(NEXT) | instid1(VALU_DEP_1)
	v_add_f32_e32 v97, 0x358637bd, v74
	v_div_scale_f32 v98, null, v97, v97, 1.0
	v_div_scale_f32 v101, vcc_lo, 1.0, v97, 1.0
	s_delay_alu instid0(VALU_DEP_2) | instskip(SKIP_2) | instid1(VALU_DEP_1)
	v_rcp_f32_e32 v99, v98
	s_waitcnt_depctr 0xfff
	v_fma_f32 v100, -v98, v99, 1.0
	v_fmac_f32_e32 v99, v100, v99
	v_cndmask_b32_e64 v100, v107, v106, s3
	v_cmp_eq_u32_e64 s3, 2, v92
	s_delay_alu instid0(VALU_DEP_3) | instskip(NEXT) | instid1(VALU_DEP_2)
	v_mul_f32_e32 v103, v101, v99
	v_cndmask_b32_e64 v100, v100, v108, s3
	v_cmp_eq_u32_e64 s3, 3, v92
	s_delay_alu instid0(VALU_DEP_3) | instskip(NEXT) | instid1(VALU_DEP_2)
	v_fma_f32 v105, -v98, v103, v101
	v_cndmask_b32_e64 v100, v100, v109, s3
	v_cmp_eq_u32_e64 s3, 4, v92
	s_delay_alu instid0(VALU_DEP_3) | instskip(NEXT) | instid1(VALU_DEP_2)
	v_fmac_f32_e32 v103, v105, v99
	v_cndmask_b32_e64 v100, v100, v104, s3
	s_delay_alu instid0(VALU_DEP_2) | instskip(SKIP_1) | instid1(VALU_DEP_2)
	v_fma_f32 v98, -v98, v103, v101
	v_cmp_eq_u32_e64 s3, 5, v92
	v_div_fmas_f32 v98, v98, v99, v103
	s_delay_alu instid0(VALU_DEP_2) | instskip(SKIP_2) | instid1(VALU_DEP_3)
	v_cndmask_b32_e64 v100, v100, v102, s3
	v_cmp_eq_u32_e32 vcc_lo, 6, v92
	s_mov_b32 s3, exec_lo
	v_div_fixup_f32 v97, v98, v97, 1.0
	s_delay_alu instid0(VALU_DEP_3) | instskip(SKIP_1) | instid1(VALU_DEP_2)
	v_cndmask_b32_e32 v83, v100, v83, vcc_lo
	v_cmp_eq_u32_e32 vcc_lo, 7, v92
	v_cndmask_b32_e32 v83, v83, v96, vcc_lo
	s_delay_alu instid0(VALU_DEP_1) | instskip(NEXT) | instid1(VALU_DEP_1)
	v_mul_f32_e32 v83, v83, v97
	v_mul_f32_e32 v97, v83, v85
	;; [unrolled: 1-line block ×6, first 2 shown]
	v_dual_mul_f32 v93, v83, v86 :: v_dual_and_b32 v98, 0x7f800000, v97
	v_mul_f32_e32 v96, v83, v88
	v_mul_f32_e32 v88, v83, v84
                                        ; implicit-def: $vgpr84
	s_delay_alu instid0(VALU_DEP_3)
	v_cmpx_ne_u32_e32 0x7f800000, v98
	s_xor_b32 s3, exec_lo, s3
; %bb.12:
	v_bfe_u32 v84, v97, 16, 1
	s_delay_alu instid0(VALU_DEP_1)
	v_add3_u32 v84, v97, v84, 0x7fff
                                        ; implicit-def: $vgpr97
; %bb.13:
	s_and_not1_saveexec_b32 s3, s3
; %bb.14:
	v_and_b32_e32 v84, 0xffff, v97
	v_or_b32_e32 v86, 0x10000, v97
	s_delay_alu instid0(VALU_DEP_2) | instskip(NEXT) | instid1(VALU_DEP_2)
	v_cmp_eq_u32_e32 vcc_lo, 0, v84
	v_cndmask_b32_e32 v84, v86, v97, vcc_lo
; %bb.15:
	s_or_b32 exec_lo, exec_lo, s3
	v_and_b32_e32 v86, 0x7f800000, v88
	s_delay_alu instid0(VALU_DEP_1) | instskip(SKIP_1) | instid1(SALU_CYCLE_1)
	v_cmp_ne_u32_e32 vcc_lo, 0x7f800000, v86
                                        ; implicit-def: $vgpr86
	s_and_saveexec_b32 s3, vcc_lo
	s_xor_b32 s3, exec_lo, s3
; %bb.16:
	v_bfe_u32 v86, v88, 16, 1
	s_delay_alu instid0(VALU_DEP_1)
	v_add3_u32 v86, v88, v86, 0x7fff
                                        ; implicit-def: $vgpr88
; %bb.17:
	s_and_not1_saveexec_b32 s3, s3
; %bb.18:
	v_and_b32_e32 v86, 0xffff, v88
	v_or_b32_e32 v97, 0x10000, v88
	s_delay_alu instid0(VALU_DEP_2) | instskip(NEXT) | instid1(VALU_DEP_2)
	v_cmp_eq_u32_e32 vcc_lo, 0, v86
	v_cndmask_b32_e32 v86, v97, v88, vcc_lo
; %bb.19:
	s_or_b32 exec_lo, exec_lo, s3
	v_and_b32_e32 v88, 0x7f800000, v93
	s_delay_alu instid0(VALU_DEP_1) | instskip(SKIP_1) | instid1(SALU_CYCLE_1)
	v_cmp_ne_u32_e32 vcc_lo, 0x7f800000, v88
                                        ; implicit-def: $vgpr88
	s_and_saveexec_b32 s3, vcc_lo
	s_xor_b32 s3, exec_lo, s3
; %bb.20:
	v_bfe_u32 v88, v93, 16, 1
	s_delay_alu instid0(VALU_DEP_1)
	v_add3_u32 v88, v93, v88, 0x7fff
                                        ; implicit-def: $vgpr93
; %bb.21:
	s_and_not1_saveexec_b32 s3, s3
; %bb.22:
	v_and_b32_e32 v88, 0xffff, v93
	v_or_b32_e32 v97, 0x10000, v93
	s_delay_alu instid0(VALU_DEP_2) | instskip(NEXT) | instid1(VALU_DEP_2)
	v_cmp_eq_u32_e32 vcc_lo, 0, v88
	v_cndmask_b32_e32 v88, v97, v93, vcc_lo
; %bb.23:
	s_or_b32 exec_lo, exec_lo, s3
	v_and_b32_e32 v93, 0x7f800000, v96
	s_delay_alu instid0(VALU_DEP_1) | instskip(SKIP_1) | instid1(SALU_CYCLE_1)
	v_cmp_ne_u32_e32 vcc_lo, 0x7f800000, v93
                                        ; implicit-def: $vgpr93
	s_and_saveexec_b32 s3, vcc_lo
	s_xor_b32 s3, exec_lo, s3
; %bb.24:
	v_bfe_u32 v93, v96, 16, 1
	s_delay_alu instid0(VALU_DEP_1)
	v_add3_u32 v93, v96, v93, 0x7fff
                                        ; implicit-def: $vgpr96
; %bb.25:
	s_and_not1_saveexec_b32 s3, s3
; %bb.26:
	v_and_b32_e32 v93, 0xffff, v96
	v_or_b32_e32 v97, 0x10000, v96
	s_delay_alu instid0(VALU_DEP_2) | instskip(NEXT) | instid1(VALU_DEP_2)
	v_cmp_eq_u32_e32 vcc_lo, 0, v93
	v_cndmask_b32_e32 v93, v97, v96, vcc_lo
; %bb.27:
	s_or_b32 exec_lo, exec_lo, s3
	v_and_b32_e32 v96, 0x7f800000, v95
	s_delay_alu instid0(VALU_DEP_1) | instskip(SKIP_1) | instid1(SALU_CYCLE_1)
	v_cmp_ne_u32_e32 vcc_lo, 0x7f800000, v96
                                        ; implicit-def: $vgpr96
	s_and_saveexec_b32 s3, vcc_lo
	s_xor_b32 s3, exec_lo, s3
; %bb.28:
	v_bfe_u32 v96, v95, 16, 1
	s_delay_alu instid0(VALU_DEP_1)
	v_add3_u32 v96, v95, v96, 0x7fff
                                        ; implicit-def: $vgpr95
; %bb.29:
	s_and_not1_saveexec_b32 s3, s3
; %bb.30:
	v_and_b32_e32 v96, 0xffff, v95
	v_or_b32_e32 v97, 0x10000, v95
	s_delay_alu instid0(VALU_DEP_2) | instskip(NEXT) | instid1(VALU_DEP_2)
	v_cmp_eq_u32_e32 vcc_lo, 0, v96
	v_cndmask_b32_e32 v96, v97, v95, vcc_lo
; %bb.31:
	s_or_b32 exec_lo, exec_lo, s3
	v_and_b32_e32 v95, 0x7f800000, v94
	s_delay_alu instid0(VALU_DEP_1) | instskip(SKIP_1) | instid1(SALU_CYCLE_1)
	v_cmp_ne_u32_e32 vcc_lo, 0x7f800000, v95
                                        ; implicit-def: $vgpr95
	s_and_saveexec_b32 s3, vcc_lo
	s_xor_b32 s3, exec_lo, s3
; %bb.32:
	v_bfe_u32 v95, v94, 16, 1
	s_delay_alu instid0(VALU_DEP_1)
	v_add3_u32 v95, v94, v95, 0x7fff
                                        ; implicit-def: $vgpr94
; %bb.33:
	s_and_not1_saveexec_b32 s3, s3
; %bb.34:
	v_and_b32_e32 v95, 0xffff, v94
	v_or_b32_e32 v97, 0x10000, v94
	s_delay_alu instid0(VALU_DEP_2) | instskip(NEXT) | instid1(VALU_DEP_2)
	v_cmp_eq_u32_e32 vcc_lo, 0, v95
	v_cndmask_b32_e32 v95, v97, v94, vcc_lo
; %bb.35:
	s_or_b32 exec_lo, exec_lo, s3
	v_and_b32_e32 v94, 0x7f800000, v87
	s_delay_alu instid0(VALU_DEP_1) | instskip(SKIP_1) | instid1(SALU_CYCLE_1)
	v_cmp_ne_u32_e32 vcc_lo, 0x7f800000, v94
                                        ; implicit-def: $vgpr94
	s_and_saveexec_b32 s3, vcc_lo
	s_xor_b32 s3, exec_lo, s3
; %bb.36:
	v_bfe_u32 v94, v87, 16, 1
	s_delay_alu instid0(VALU_DEP_1)
	v_add3_u32 v94, v87, v94, 0x7fff
                                        ; implicit-def: $vgpr87
; %bb.37:
	s_and_not1_saveexec_b32 s3, s3
; %bb.38:
	v_and_b32_e32 v94, 0xffff, v87
	v_or_b32_e32 v97, 0x10000, v87
	s_delay_alu instid0(VALU_DEP_2) | instskip(NEXT) | instid1(VALU_DEP_2)
	v_cmp_eq_u32_e32 vcc_lo, 0, v94
	v_cndmask_b32_e32 v94, v97, v87, vcc_lo
; %bb.39:
	s_or_b32 exec_lo, exec_lo, s3
	v_and_b32_e32 v87, 0x7f800000, v85
	s_delay_alu instid0(VALU_DEP_1) | instskip(SKIP_1) | instid1(SALU_CYCLE_1)
	v_cmp_ne_u32_e32 vcc_lo, 0x7f800000, v87
                                        ; implicit-def: $vgpr87
	s_and_saveexec_b32 s3, vcc_lo
	s_xor_b32 s3, exec_lo, s3
; %bb.40:
	v_bfe_u32 v87, v85, 16, 1
	s_delay_alu instid0(VALU_DEP_1)
	v_add3_u32 v87, v85, v87, 0x7fff
                                        ; implicit-def: $vgpr85
; %bb.41:
	s_and_not1_saveexec_b32 s3, s3
; %bb.42:
	v_and_b32_e32 v87, 0xffff, v85
	v_or_b32_e32 v97, 0x10000, v85
	s_delay_alu instid0(VALU_DEP_2) | instskip(NEXT) | instid1(VALU_DEP_2)
	v_cmp_eq_u32_e32 vcc_lo, 0, v87
	v_cndmask_b32_e32 v87, v97, v85, vcc_lo
; %bb.43:
	s_or_b32 exec_lo, exec_lo, s3
	s_load_b64 s[36:37], s[0:1], 0x94
	v_lshlrev_b32_e32 v85, 4, v90
	s_delay_alu instid0(VALU_DEP_2)
	v_perm_b32 v97, v87, v94, 0x7060302
	v_dual_mul_f32 v82, v83, v82 :: v_dual_lshlrev_b32 v87, 11, v92
	v_perm_b32 v94, v86, v84, 0x7060302
	v_mul_f32_e32 v86, v83, v75
	v_perm_b32 v96, v95, v96, 0x7060302
	v_perm_b32 v95, v93, v88, 0x7060302
	v_or3_b32 v75, v85, v87, v91
	v_mul_f32_e32 v81, v83, v81
	v_dual_mul_f32 v80, v83, v80 :: v_dual_and_b32 v87, 0x7f800000, v86
	v_mul_f32_e32 v79, v83, v79
	v_mul_f32_e32 v84, v83, v78
	;; [unrolled: 1-line block ×4, first 2 shown]
	s_mov_b32 s3, exec_lo
	ds_store_b128 v75, v[94:97]
                                        ; implicit-def: $vgpr76
	v_cmpx_ne_u32_e32 0x7f800000, v87
	s_xor_b32 s3, exec_lo, s3
; %bb.44:
	v_bfe_u32 v76, v86, 16, 1
	s_delay_alu instid0(VALU_DEP_1)
	v_add3_u32 v76, v86, v76, 0x7fff
                                        ; implicit-def: $vgpr86
; %bb.45:
	s_and_not1_saveexec_b32 s3, s3
; %bb.46:
	v_and_b32_e32 v76, 0xffff, v86
	v_or_b32_e32 v77, 0x10000, v86
	s_delay_alu instid0(VALU_DEP_2) | instskip(NEXT) | instid1(VALU_DEP_2)
	v_cmp_eq_u32_e32 vcc_lo, 0, v76
	v_cndmask_b32_e32 v76, v77, v86, vcc_lo
; %bb.47:
	s_or_b32 exec_lo, exec_lo, s3
	v_and_b32_e32 v77, 0x7f800000, v78
	s_delay_alu instid0(VALU_DEP_1) | instskip(SKIP_1) | instid1(SALU_CYCLE_1)
	v_cmp_ne_u32_e32 vcc_lo, 0x7f800000, v77
                                        ; implicit-def: $vgpr77
	s_and_saveexec_b32 s3, vcc_lo
	s_xor_b32 s3, exec_lo, s3
; %bb.48:
	v_bfe_u32 v77, v78, 16, 1
	s_delay_alu instid0(VALU_DEP_1)
	v_add3_u32 v77, v78, v77, 0x7fff
                                        ; implicit-def: $vgpr78
; %bb.49:
	s_and_not1_saveexec_b32 s3, s3
; %bb.50:
	v_and_b32_e32 v77, 0xffff, v78
	v_or_b32_e32 v83, 0x10000, v78
	s_delay_alu instid0(VALU_DEP_2) | instskip(NEXT) | instid1(VALU_DEP_2)
	v_cmp_eq_u32_e32 vcc_lo, 0, v77
	v_cndmask_b32_e32 v77, v83, v78, vcc_lo
; %bb.51:
	s_or_b32 exec_lo, exec_lo, s3
	v_and_b32_e32 v78, 0x7f800000, v85
	s_delay_alu instid0(VALU_DEP_1) | instskip(SKIP_1) | instid1(SALU_CYCLE_1)
	v_cmp_ne_u32_e32 vcc_lo, 0x7f800000, v78
                                        ; implicit-def: $vgpr78
	s_and_saveexec_b32 s3, vcc_lo
	s_xor_b32 s3, exec_lo, s3
; %bb.52:
	v_bfe_u32 v78, v85, 16, 1
	s_delay_alu instid0(VALU_DEP_1)
	v_add3_u32 v78, v85, v78, 0x7fff
                                        ; implicit-def: $vgpr85
; %bb.53:
	s_and_not1_saveexec_b32 s3, s3
; %bb.54:
	v_and_b32_e32 v78, 0xffff, v85
	v_or_b32_e32 v83, 0x10000, v85
	s_delay_alu instid0(VALU_DEP_2) | instskip(NEXT) | instid1(VALU_DEP_2)
	v_cmp_eq_u32_e32 vcc_lo, 0, v78
	v_cndmask_b32_e32 v78, v83, v85, vcc_lo
; %bb.55:
	s_or_b32 exec_lo, exec_lo, s3
	v_and_b32_e32 v83, 0x7f800000, v84
	s_delay_alu instid0(VALU_DEP_1) | instskip(SKIP_1) | instid1(SALU_CYCLE_1)
	v_cmp_ne_u32_e32 vcc_lo, 0x7f800000, v83
                                        ; implicit-def: $vgpr83
	s_and_saveexec_b32 s3, vcc_lo
	s_xor_b32 s3, exec_lo, s3
; %bb.56:
	v_bfe_u32 v83, v84, 16, 1
	s_delay_alu instid0(VALU_DEP_1)
	v_add3_u32 v83, v84, v83, 0x7fff
                                        ; implicit-def: $vgpr84
; %bb.57:
	s_and_not1_saveexec_b32 s3, s3
; %bb.58:
	v_and_b32_e32 v83, 0xffff, v84
	v_or_b32_e32 v85, 0x10000, v84
	s_delay_alu instid0(VALU_DEP_2) | instskip(NEXT) | instid1(VALU_DEP_2)
	v_cmp_eq_u32_e32 vcc_lo, 0, v83
	v_cndmask_b32_e32 v83, v85, v84, vcc_lo
; %bb.59:
	s_or_b32 exec_lo, exec_lo, s3
	v_and_b32_e32 v84, 0x7f800000, v79
	s_delay_alu instid0(VALU_DEP_1) | instskip(SKIP_1) | instid1(SALU_CYCLE_1)
	v_cmp_ne_u32_e32 vcc_lo, 0x7f800000, v84
                                        ; implicit-def: $vgpr84
	s_and_saveexec_b32 s3, vcc_lo
	s_xor_b32 s3, exec_lo, s3
; %bb.60:
	v_bfe_u32 v84, v79, 16, 1
	s_delay_alu instid0(VALU_DEP_1)
	v_add3_u32 v84, v79, v84, 0x7fff
                                        ; implicit-def: $vgpr79
; %bb.61:
	s_and_not1_saveexec_b32 s3, s3
; %bb.62:
	v_and_b32_e32 v84, 0xffff, v79
	v_or_b32_e32 v85, 0x10000, v79
	s_delay_alu instid0(VALU_DEP_2) | instskip(NEXT) | instid1(VALU_DEP_2)
	v_cmp_eq_u32_e32 vcc_lo, 0, v84
	v_cndmask_b32_e32 v84, v85, v79, vcc_lo
; %bb.63:
	s_or_b32 exec_lo, exec_lo, s3
	v_and_b32_e32 v79, 0x7f800000, v80
	s_delay_alu instid0(VALU_DEP_1) | instskip(SKIP_1) | instid1(SALU_CYCLE_1)
	v_cmp_ne_u32_e32 vcc_lo, 0x7f800000, v79
                                        ; implicit-def: $vgpr79
	s_and_saveexec_b32 s3, vcc_lo
	s_xor_b32 s3, exec_lo, s3
; %bb.64:
	v_bfe_u32 v79, v80, 16, 1
	s_delay_alu instid0(VALU_DEP_1)
	v_add3_u32 v79, v80, v79, 0x7fff
                                        ; implicit-def: $vgpr80
; %bb.65:
	s_and_not1_saveexec_b32 s3, s3
; %bb.66:
	v_and_b32_e32 v79, 0xffff, v80
	v_or_b32_e32 v85, 0x10000, v80
	s_delay_alu instid0(VALU_DEP_2) | instskip(NEXT) | instid1(VALU_DEP_2)
	v_cmp_eq_u32_e32 vcc_lo, 0, v79
	v_cndmask_b32_e32 v79, v85, v80, vcc_lo
; %bb.67:
	s_or_b32 exec_lo, exec_lo, s3
	v_and_b32_e32 v80, 0x7f800000, v81
	s_delay_alu instid0(VALU_DEP_1) | instskip(SKIP_1) | instid1(SALU_CYCLE_1)
	v_cmp_ne_u32_e32 vcc_lo, 0x7f800000, v80
                                        ; implicit-def: $vgpr80
	s_and_saveexec_b32 s3, vcc_lo
	s_xor_b32 s3, exec_lo, s3
; %bb.68:
	v_bfe_u32 v80, v81, 16, 1
	s_delay_alu instid0(VALU_DEP_1)
	v_add3_u32 v80, v81, v80, 0x7fff
                                        ; implicit-def: $vgpr81
; %bb.69:
	s_and_not1_saveexec_b32 s3, s3
; %bb.70:
	v_and_b32_e32 v80, 0xffff, v81
	v_or_b32_e32 v85, 0x10000, v81
	s_delay_alu instid0(VALU_DEP_2) | instskip(NEXT) | instid1(VALU_DEP_2)
	v_cmp_eq_u32_e32 vcc_lo, 0, v80
	v_cndmask_b32_e32 v80, v85, v81, vcc_lo
; %bb.71:
	s_or_b32 exec_lo, exec_lo, s3
	v_and_b32_e32 v81, 0x7f800000, v82
	s_delay_alu instid0(VALU_DEP_1) | instskip(SKIP_1) | instid1(SALU_CYCLE_1)
	v_cmp_ne_u32_e32 vcc_lo, 0x7f800000, v81
                                        ; implicit-def: $vgpr81
	s_and_saveexec_b32 s3, vcc_lo
	s_xor_b32 s3, exec_lo, s3
; %bb.72:
	v_bfe_u32 v81, v82, 16, 1
	s_delay_alu instid0(VALU_DEP_1)
	v_add3_u32 v81, v82, v81, 0x7fff
                                        ; implicit-def: $vgpr82
; %bb.73:
	s_and_not1_saveexec_b32 s3, s3
; %bb.74:
	v_and_b32_e32 v81, 0xffff, v82
	v_or_b32_e32 v85, 0x10000, v82
	s_delay_alu instid0(VALU_DEP_2) | instskip(NEXT) | instid1(VALU_DEP_2)
	v_cmp_eq_u32_e32 vcc_lo, 0, v81
	v_cndmask_b32_e32 v81, v85, v82, vcc_lo
; %bb.75:
	s_or_b32 exec_lo, exec_lo, s3
	s_delay_alu instid0(VALU_DEP_1)
	v_perm_b32 v80, v81, v80, 0x7060302
	v_perm_b32 v79, v79, v84, 0x7060302
	;; [unrolled: 1-line block ×4, first 2 shown]
	v_lshl_or_b32 v85, v92, 11, v91
	v_lshlrev_b32_e32 v82, 2, v90
	ds_store_b128 v75, v[77:80] offset:1024
	s_waitcnt lgkmcnt(0)
	s_barrier
	buffer_gl0_inv
	ds_load_b128 v[76:79], v85
	ds_load_b128 v[92:95], v85 offset:16
	v_or_b32_e32 v83, 1, v82
	v_cmp_eq_u32_e32 vcc_lo, 1, v82
	v_cmp_eq_u32_e64 s4, 2, v82
	v_cmp_eq_u32_e64 s7, 3, v82
	;; [unrolled: 1-line block ×6, first 2 shown]
	v_or_b32_e32 v81, 2, v82
	v_cmp_eq_u32_e64 s10, 5, v82
	v_cmp_eq_u32_e64 s11, 4, v83
	;; [unrolled: 1-line block ×9, first 2 shown]
	s_waitcnt lgkmcnt(1)
	v_lshrrev_b32_e32 v80, 16, v76
	s_waitcnt lgkmcnt(0)
	v_lshrrev_b32_e32 v100, 16, v92
	v_lshrrev_b32_e32 v86, 16, v77
	;; [unrolled: 1-line block ×4, first 2 shown]
	v_cndmask_b32_e32 v84, v76, v80, vcc_lo
	v_cndmask_b32_e32 v96, v92, v100, vcc_lo
	v_cndmask_b32_e64 v97, v76, v80, s3
	v_lshrrev_b32_e32 v105, 16, v94
	v_cndmask_b32_e64 v98, v92, v100, s3
	v_cndmask_b32_e64 v84, v84, v77, s4
	v_cndmask_b32_e64 v96, v96, v93, s4
	v_cndmask_b32_e64 v97, v97, v77, s6
	v_lshrrev_b32_e32 v88, 16, v79
	v_cndmask_b32_e64 v98, v98, v93, s6
	v_cndmask_b32_e64 v84, v84, v86, s7
	v_cndmask_b32_e64 v96, v96, v104, s7
	;; [unrolled: 5-line block ×3, first 2 shown]
	v_cndmask_b32_e64 v97, v97, v78, s11
	v_cndmask_b32_e64 v98, v98, v104, s8
	v_cmp_eq_u32_e64 s20, 3, v81
	v_cndmask_b32_e64 v84, v84, v87, s10
	v_cndmask_b32_e64 v96, v96, v105, s10
	v_cndmask_b32_e64 v97, v97, v87, s13
	v_cndmask_b32_e64 v98, v98, v94, s11
	v_cmp_eq_u32_e64 s21, 4, v81
	v_cndmask_b32_e64 v84, v84, v79, s12
	v_cndmask_b32_e64 v96, v96, v95, s12
	;; [unrolled: 1-line block ×3, first 2 shown]
	v_cmp_eq_u32_e64 s23, 5, v81
	v_cmp_eq_u32_e64 s25, 6, v81
	v_cndmask_b32_e64 v107, v84, v88, s16
	v_cndmask_b32_e64 v108, v96, v106, s16
	;; [unrolled: 1-line block ×6, first 2 shown]
	v_cmp_eq_u32_e64 s28, 7, v81
	v_cndmask_b32_e64 v98, v84, v86, s20
	v_cndmask_b32_e64 v96, v96, v93, s18
	v_or_b32_e32 v84, 3, v82
	v_cndmask_b32_e64 v110, v97, v95, s17
	s_delay_alu instid0(VALU_DEP_4) | instskip(NEXT) | instid1(VALU_DEP_4)
	v_cndmask_b32_e64 v101, v98, v78, s21
	v_cndmask_b32_e64 v102, v96, v104, s20
	ds_load_b128 v[96:99], v85 offset:1024
	v_cmp_eq_u32_e64 s22, 1, v84
	v_cmp_eq_u32_e64 s24, 2, v84
	v_cndmask_b32_e64 v111, v101, v87, s23
	v_cmp_eq_u32_e64 s26, 3, v84
	v_cmp_eq_u32_e64 s27, 4, v84
	v_cndmask_b32_e64 v76, v76, v80, s22
	v_cndmask_b32_e64 v80, v102, v94, s21
	;; [unrolled: 1-line block ×3, first 2 shown]
	ds_load_b128 v[100:103], v85 offset:1040
	v_cmp_eq_u32_e64 s29, 5, v84
	v_cndmask_b32_e64 v76, v76, v77, s24
	v_cndmask_b32_e64 v77, v80, v105, s23
	;; [unrolled: 1-line block ×3, first 2 shown]
	v_cmp_eq_u32_e64 s30, 6, v84
	v_cndmask_b32_e64 v92, v110, v106, s19
	v_cndmask_b32_e64 v76, v76, v86, s26
	v_cndmask_b32_e64 v86, v111, v79, s25
	v_cndmask_b32_e64 v80, v80, v104, s26
	v_cndmask_b32_e64 v77, v77, v95, s25
	s_waitcnt lgkmcnt(1)
	v_lshrrev_b32_e32 v93, 16, v96
	v_cndmask_b32_e64 v76, v76, v78, s27
	v_cndmask_b32_e64 v78, v80, v94, s27
	;; [unrolled: 1-line block ×3, first 2 shown]
	s_delay_alu instid0(VALU_DEP_4) | instskip(NEXT) | instid1(VALU_DEP_4)
	v_cndmask_b32_e32 v86, v96, v93, vcc_lo
	v_cndmask_b32_e64 v76, v76, v87, s29
	v_lshrrev_b32_e32 v94, 16, v97
	v_cndmask_b32_e64 v104, v96, v93, s3
	s_waitcnt lgkmcnt(0)
	v_lshrrev_b32_e32 v87, 16, v100
	v_cndmask_b32_e64 v86, v86, v97, s4
	v_cndmask_b32_e64 v78, v78, v105, s29
	;; [unrolled: 1-line block ×4, first 2 shown]
	v_cndmask_b32_e32 v105, v100, v87, vcc_lo
	v_cndmask_b32_e64 v79, v86, v94, s7
	v_cndmask_b32_e64 v86, v104, v97, s6
	;; [unrolled: 1-line block ×3, first 2 shown]
	v_lshrrev_b32_e32 v104, 16, v101
	v_cndmask_b32_e64 v95, v105, v101, s4
	v_cmp_eq_u32_e32 vcc_lo, 7, v84
	v_cndmask_b32_e64 v86, v86, v94, s8
	v_cndmask_b32_e64 v79, v79, v98, s9
	v_lshrrev_b32_e32 v105, 16, v98
	v_cndmask_b32_e64 v95, v95, v104, s7
	v_cndmask_b32_e32 v76, v76, v88, vcc_lo
	v_cndmask_b32_e32 v78, v78, v106, vcc_lo
	v_cndmask_b32_e64 v86, v86, v98, s11
	v_cndmask_b32_e64 v88, v79, v105, s10
	;; [unrolled: 1-line block ×3, first 2 shown]
	v_lshrrev_b32_e32 v106, 16, v102
	v_perm_b32 v79, v78, v76, 0x5040100
	v_cndmask_b32_e64 v76, v86, v105, s13
	v_cndmask_b32_e64 v86, v88, v99, s12
	v_lshrrev_b32_e32 v88, 16, v99
	v_cndmask_b32_e64 v95, v95, v106, s10
	v_perm_b32 v78, v77, v80, 0x5040100
	v_cndmask_b32_e64 v76, v76, v99, s17
	v_perm_b32 v77, v92, v109, 0x5040100
	v_cndmask_b32_e64 v80, v86, v88, s16
	v_cndmask_b32_e64 v86, v95, v103, s12
	v_cndmask_b32_e64 v95, v100, v87, s22
	v_cndmask_b32_e64 v109, v76, v88, s19
	v_cndmask_b32_e64 v76, v96, v93, s5
	v_cndmask_b32_e64 v93, v96, v93, s22
	v_cndmask_b32_e64 v96, v100, v87, s5
	v_cndmask_b32_e64 v87, v100, v87, s3
	v_cndmask_b32_e64 v95, v95, v101, s24
	v_cndmask_b32_e64 v76, v76, v97, s18
	v_cndmask_b32_e64 v93, v93, v97, s24
	v_cndmask_b32_e64 v96, v96, v101, s18
	v_cndmask_b32_e64 v87, v87, v101, s6
	v_lshrrev_b32_e32 v92, 16, v103
	v_cndmask_b32_e64 v76, v76, v94, s20
	v_cndmask_b32_e64 v93, v93, v94, s26
	;; [unrolled: 1-line block ×21, first 2 shown]
	v_cndmask_b32_e32 v88, v93, v88, vcc_lo
	v_cndmask_b32_e32 v93, v94, v92, vcc_lo
	v_cndmask_b32_e64 v94, v95, v92, s28
	v_cndmask_b32_e64 v87, v87, v92, s19
	;; [unrolled: 1-line block ×3, first 2 shown]
	v_perm_b32 v76, v108, v107, 0x5040100
	v_perm_b32 v95, v93, v88, 0x5040100
	;; [unrolled: 1-line block ×5, first 2 shown]
	s_mov_b32 s3, exec_lo
	ds_store_b128 v75, v[76:79]
	ds_store_b128 v75, v[92:95] offset:1024
	v_cmpx_eq_u32_e32 0, v0
	s_cbranch_execz .LBB766_77
; %bb.76:
	s_load_b128 s[4:7], s[0:1], 0x58
	s_mul_i32 s8, s37, s34
	v_mov_b32_e32 v75, 0
	s_add_i32 s8, s8, s15
	s_delay_alu instid0(SALU_CYCLE_1) | instskip(NEXT) | instid1(SALU_CYCLE_1)
	s_mul_i32 s8, s8, s36
	s_add_i32 s8, s8, s14
	s_delay_alu instid0(SALU_CYCLE_1) | instskip(NEXT) | instid1(SALU_CYCLE_1)
	s_ashr_i32 s9, s8, 31
	s_lshl_b64 s[8:9], s[8:9], 2
	s_waitcnt lgkmcnt(0)
	s_add_u32 s6, s6, s8
	s_addc_u32 s7, s7, s9
	s_add_u32 s4, s4, s8
	s_addc_u32 s5, s5, s9
	s_clause 0x1
	global_store_b32 v75, v73, s[6:7]
	global_store_b32 v75, v74, s[4:5]
.LBB766_77:
	s_or_b32 exec_lo, exec_lo, s3
	s_waitcnt lgkmcnt(0)
	s_waitcnt_vscnt null, 0x0
	s_barrier
	buffer_gl0_inv
	ds_load_b128 v[92:95], v91
	ds_load_b128 v[96:99], v91 offset:16
	ds_load_b128 v[104:107], v91 offset:1040
	;; [unrolled: 1-line block ×3, first 2 shown]
	v_mov_b32_e32 v73, 0
	ds_load_b128 v[112:115], v91 offset:2064
	ds_load_b128 v[108:111], v91 offset:2048
	;; [unrolled: 1-line block ×4, first 2 shown]
	v_mov_b32_e32 v74, v73
	v_mov_b32_e32 v75, v73
	;; [unrolled: 1-line block ×7, first 2 shown]
	s_waitcnt lgkmcnt(6)
	s_delay_alu instid0(VALU_DEP_1)
	v_wmma_f32_16x16x16_bf16 v[73:80], v[65:72], v[92:99], v[73:80]
	ds_load_b128 v[69:72], v91 offset:4112
	ds_load_b128 v[65:68], v91 offset:4096
	;; [unrolled: 1-line block ×4, first 2 shown]
	s_waitcnt lgkmcnt(8)
	v_wmma_f32_16x16x16_bf16 v[73:80], v[57:64], v[100:107], v[73:80]
	ds_load_b128 v[104:107], v91 offset:6160
	ds_load_b128 v[100:103], v91 offset:6144
	s_waitcnt lgkmcnt(8)
	v_wmma_f32_16x16x16_bf16 v[73:80], v[57:64], v[108:115], v[73:80]
	ds_load_b128 v[61:64], v91 offset:7184
	ds_load_b128 v[57:60], v91 offset:7168
	;; [unrolled: 1-line block ×4, first 2 shown]
	s_waitcnt lgkmcnt(10)
	v_wmma_f32_16x16x16_bf16 v[73:80], v[49:56], v[116:123], v[73:80]
	s_waitcnt lgkmcnt(8)
	s_delay_alu instid0(VALU_DEP_1)
	v_wmma_f32_16x16x16_bf16 v[73:80], v[49:56], v[65:72], v[73:80]
	ds_load_b128 v[53:56], v91 offset:9232
	ds_load_b128 v[49:52], v91 offset:9216
	;; [unrolled: 1-line block ×4, first 2 shown]
	s_waitcnt lgkmcnt(10)
	v_wmma_f32_16x16x16_bf16 v[73:80], v[41:48], v[92:99], v[73:80]
	s_waitcnt lgkmcnt(8)
	s_delay_alu instid0(VALU_DEP_1)
	v_wmma_f32_16x16x16_bf16 v[73:80], v[41:48], v[100:107], v[73:80]
	ds_load_b128 v[45:48], v91 offset:11280
	ds_load_b128 v[41:44], v91 offset:11264
	s_waitcnt lgkmcnt(8)
	v_wmma_f32_16x16x16_bf16 v[73:80], v[17:24], v[57:64], v[73:80]
	s_waitcnt lgkmcnt(6)
	s_delay_alu instid0(VALU_DEP_1)
	v_wmma_f32_16x16x16_bf16 v[73:80], v[17:24], v[108:115], v[73:80]
	ds_load_b128 v[21:24], v91 offset:12304
	ds_load_b128 v[17:20], v91 offset:12288
	s_waitcnt lgkmcnt(6)
	v_wmma_f32_16x16x16_bf16 v[73:80], v[9:16], v[49:56], v[73:80]
	ds_load_b128 v[53:56], v91 offset:13328
	ds_load_b128 v[49:52], v91 offset:13312
	s_waitcnt lgkmcnt(6)
	;; [unrolled: 4-line block ×4, first 2 shown]
	v_wmma_f32_16x16x16_bf16 v[73:80], v[1:8], v[17:24], v[73:80]
	s_waitcnt lgkmcnt(4)
	s_delay_alu instid0(VALU_DEP_1) | instskip(SKIP_1) | instid1(VALU_DEP_1)
	v_wmma_f32_16x16x16_bf16 v[73:80], v[33:40], v[49:56], v[73:80]
	s_waitcnt lgkmcnt(2)
	v_wmma_f32_16x16x16_bf16 v[73:80], v[33:40], v[9:16], v[73:80]
	s_waitcnt lgkmcnt(0)
	s_delay_alu instid0(VALU_DEP_1) | instskip(NEXT) | instid1(VALU_DEP_1)
	v_wmma_f32_16x16x16_bf16 v[73:80], v[25:32], v[41:48], v[73:80]
	v_and_b32_e32 v1, 0x7f800000, v73
	s_delay_alu instid0(VALU_DEP_1) | instskip(SKIP_1) | instid1(SALU_CYCLE_1)
	v_cmp_ne_u32_e32 vcc_lo, 0x7f800000, v1
                                        ; implicit-def: $vgpr1
	s_and_saveexec_b32 s3, vcc_lo
	s_xor_b32 s3, exec_lo, s3
; %bb.78:
	v_bfe_u32 v1, v73, 16, 1
	s_delay_alu instid0(VALU_DEP_1)
	v_add3_u32 v1, v73, v1, 0x7fff
; %bb.79:
	s_and_not1_saveexec_b32 s3, s3
; %bb.80:
	v_and_b32_e32 v1, 0xffff, v73
	v_or_b32_e32 v2, 0x10000, v73
	s_delay_alu instid0(VALU_DEP_2) | instskip(NEXT) | instid1(VALU_DEP_2)
	v_cmp_eq_u32_e32 vcc_lo, 0, v1
	v_cndmask_b32_e32 v1, v2, v73, vcc_lo
; %bb.81:
	s_or_b32 exec_lo, exec_lo, s3
	v_and_b32_e32 v2, 0x7f800000, v74
	s_delay_alu instid0(VALU_DEP_1) | instskip(SKIP_1) | instid1(SALU_CYCLE_1)
	v_cmp_ne_u32_e32 vcc_lo, 0x7f800000, v2
                                        ; implicit-def: $vgpr2
	s_and_saveexec_b32 s3, vcc_lo
	s_xor_b32 s3, exec_lo, s3
; %bb.82:
	v_bfe_u32 v2, v74, 16, 1
	s_delay_alu instid0(VALU_DEP_1)
	v_add3_u32 v2, v74, v2, 0x7fff
; %bb.83:
	s_and_not1_saveexec_b32 s3, s3
; %bb.84:
	v_and_b32_e32 v2, 0xffff, v74
	v_or_b32_e32 v3, 0x10000, v74
	s_delay_alu instid0(VALU_DEP_2) | instskip(NEXT) | instid1(VALU_DEP_2)
	v_cmp_eq_u32_e32 vcc_lo, 0, v2
	v_cndmask_b32_e32 v2, v3, v74, vcc_lo
; %bb.85:
	s_or_b32 exec_lo, exec_lo, s3
	v_and_b32_e32 v3, 0x7f800000, v75
	s_delay_alu instid0(VALU_DEP_1) | instskip(SKIP_1) | instid1(SALU_CYCLE_1)
	v_cmp_ne_u32_e32 vcc_lo, 0x7f800000, v3
                                        ; implicit-def: $vgpr3
	s_and_saveexec_b32 s3, vcc_lo
	s_xor_b32 s3, exec_lo, s3
; %bb.86:
	v_bfe_u32 v3, v75, 16, 1
	s_delay_alu instid0(VALU_DEP_1)
	v_add3_u32 v3, v75, v3, 0x7fff
; %bb.87:
	s_and_not1_saveexec_b32 s3, s3
; %bb.88:
	v_and_b32_e32 v3, 0xffff, v75
	v_or_b32_e32 v4, 0x10000, v75
	s_delay_alu instid0(VALU_DEP_2) | instskip(NEXT) | instid1(VALU_DEP_2)
	v_cmp_eq_u32_e32 vcc_lo, 0, v3
	v_cndmask_b32_e32 v3, v4, v75, vcc_lo
; %bb.89:
	s_or_b32 exec_lo, exec_lo, s3
	v_and_b32_e32 v4, 0x7f800000, v76
	s_delay_alu instid0(VALU_DEP_1) | instskip(SKIP_1) | instid1(SALU_CYCLE_1)
	v_cmp_ne_u32_e32 vcc_lo, 0x7f800000, v4
                                        ; implicit-def: $vgpr4
	s_and_saveexec_b32 s3, vcc_lo
	s_xor_b32 s3, exec_lo, s3
; %bb.90:
	v_bfe_u32 v4, v76, 16, 1
	s_delay_alu instid0(VALU_DEP_1)
	v_add3_u32 v4, v76, v4, 0x7fff
; %bb.91:
	s_and_not1_saveexec_b32 s3, s3
; %bb.92:
	v_and_b32_e32 v4, 0xffff, v76
	v_or_b32_e32 v5, 0x10000, v76
	s_delay_alu instid0(VALU_DEP_2) | instskip(NEXT) | instid1(VALU_DEP_2)
	v_cmp_eq_u32_e32 vcc_lo, 0, v4
	v_cndmask_b32_e32 v4, v5, v76, vcc_lo
; %bb.93:
	s_or_b32 exec_lo, exec_lo, s3
	v_and_b32_e32 v5, 0x7f800000, v77
	s_delay_alu instid0(VALU_DEP_1) | instskip(SKIP_1) | instid1(SALU_CYCLE_1)
	v_cmp_ne_u32_e32 vcc_lo, 0x7f800000, v5
                                        ; implicit-def: $vgpr5
	s_and_saveexec_b32 s3, vcc_lo
	s_xor_b32 s3, exec_lo, s3
; %bb.94:
	v_bfe_u32 v5, v77, 16, 1
	s_delay_alu instid0(VALU_DEP_1)
	v_add3_u32 v5, v77, v5, 0x7fff
; %bb.95:
	s_and_not1_saveexec_b32 s3, s3
; %bb.96:
	v_and_b32_e32 v5, 0xffff, v77
	v_or_b32_e32 v6, 0x10000, v77
	s_delay_alu instid0(VALU_DEP_2) | instskip(NEXT) | instid1(VALU_DEP_2)
	v_cmp_eq_u32_e32 vcc_lo, 0, v5
	v_cndmask_b32_e32 v5, v6, v77, vcc_lo
; %bb.97:
	s_or_b32 exec_lo, exec_lo, s3
	v_and_b32_e32 v6, 0x7f800000, v78
	s_delay_alu instid0(VALU_DEP_1) | instskip(SKIP_1) | instid1(SALU_CYCLE_1)
	v_cmp_ne_u32_e32 vcc_lo, 0x7f800000, v6
                                        ; implicit-def: $vgpr6
	s_and_saveexec_b32 s3, vcc_lo
	s_xor_b32 s3, exec_lo, s3
; %bb.98:
	v_bfe_u32 v6, v78, 16, 1
	s_delay_alu instid0(VALU_DEP_1)
	v_add3_u32 v6, v78, v6, 0x7fff
; %bb.99:
	s_and_not1_saveexec_b32 s3, s3
; %bb.100:
	v_and_b32_e32 v6, 0xffff, v78
	v_or_b32_e32 v7, 0x10000, v78
	s_delay_alu instid0(VALU_DEP_2) | instskip(NEXT) | instid1(VALU_DEP_2)
	v_cmp_eq_u32_e32 vcc_lo, 0, v6
	v_cndmask_b32_e32 v6, v7, v78, vcc_lo
; %bb.101:
	s_or_b32 exec_lo, exec_lo, s3
	v_and_b32_e32 v7, 0x7f800000, v79
	s_delay_alu instid0(VALU_DEP_1) | instskip(SKIP_1) | instid1(SALU_CYCLE_1)
	v_cmp_ne_u32_e32 vcc_lo, 0x7f800000, v7
                                        ; implicit-def: $vgpr7
	s_and_saveexec_b32 s3, vcc_lo
	s_xor_b32 s3, exec_lo, s3
; %bb.102:
	v_bfe_u32 v7, v79, 16, 1
	s_delay_alu instid0(VALU_DEP_1)
	v_add3_u32 v7, v79, v7, 0x7fff
; %bb.103:
	s_and_not1_saveexec_b32 s3, s3
; %bb.104:
	v_and_b32_e32 v7, 0xffff, v79
	v_or_b32_e32 v8, 0x10000, v79
	s_delay_alu instid0(VALU_DEP_2) | instskip(NEXT) | instid1(VALU_DEP_2)
	v_cmp_eq_u32_e32 vcc_lo, 0, v7
	v_cndmask_b32_e32 v7, v8, v79, vcc_lo
; %bb.105:
	s_or_b32 exec_lo, exec_lo, s3
	v_and_b32_e32 v8, 0x7f800000, v80
	s_delay_alu instid0(VALU_DEP_1) | instskip(SKIP_1) | instid1(SALU_CYCLE_1)
	v_cmp_ne_u32_e32 vcc_lo, 0x7f800000, v8
                                        ; implicit-def: $vgpr8
	s_and_saveexec_b32 s3, vcc_lo
	s_xor_b32 s3, exec_lo, s3
; %bb.106:
	v_bfe_u32 v8, v80, 16, 1
	s_delay_alu instid0(VALU_DEP_1)
	v_add3_u32 v8, v80, v8, 0x7fff
                                        ; implicit-def: $vgpr73_vgpr74_vgpr75_vgpr76_vgpr77_vgpr78_vgpr79_vgpr80
; %bb.107:
	s_and_not1_saveexec_b32 s3, s3
; %bb.108:
	v_and_b32_e32 v8, 0xffff, v80
	v_or_b32_e32 v9, 0x10000, v80
	s_delay_alu instid0(VALU_DEP_2) | instskip(NEXT) | instid1(VALU_DEP_2)
	v_cmp_eq_u32_e32 vcc_lo, 0, v8
	v_cndmask_b32_e32 v8, v9, v80, vcc_lo
; %bb.109:
	s_or_b32 exec_lo, exec_lo, s3
	s_delay_alu instid0(VALU_DEP_1)
	v_perm_b32 v7, v8, v7, 0x7060302
	v_perm_b32 v6, v6, v5, 0x7060302
	v_perm_b32 v5, v4, v3, 0x7060302
	v_perm_b32 v4, v2, v1, 0x7060302
	v_lshl_or_b32 v9, v90, 4, v85
	s_barrier
	buffer_gl0_inv
	v_cmp_eq_u32_e32 vcc_lo, 1, v82
	ds_store_b128 v9, v[4:7]
	s_waitcnt lgkmcnt(0)
	s_barrier
	buffer_gl0_inv
	ds_load_b128 v[1:4], v85
	ds_load_b128 v[5:8], v85 offset:16
	v_cmp_eq_u32_e64 s4, 2, v82
	v_cmp_eq_u32_e64 s3, 1, v83
	;; [unrolled: 1-line block ×5, first 2 shown]
	s_xor_b32 s2, s2, -1
	s_waitcnt lgkmcnt(1)
	v_lshrrev_b32_e32 v10, 16, v1
	s_waitcnt lgkmcnt(0)
	v_lshrrev_b32_e32 v14, 16, v5
	v_lshrrev_b32_e32 v15, 16, v6
	;; [unrolled: 1-line block ×4, first 2 shown]
	v_cndmask_b32_e64 v20, v1, v10, s3
	v_cndmask_b32_e32 v19, v5, v14, vcc_lo
	v_cndmask_b32_e64 v21, v5, v14, s3
	v_lshrrev_b32_e32 v16, 16, v7
	v_cmp_eq_u32_e64 s3, 1, v81
	v_lshrrev_b32_e32 v13, 16, v4
	v_cndmask_b32_e64 v19, v19, v6, s4
	v_lshrrev_b32_e32 v17, 16, v8
	s_delay_alu instid0(VALU_DEP_4) | instskip(SKIP_1) | instid1(VALU_DEP_4)
	v_cndmask_b32_e64 v22, v1, v10, s3
	v_cndmask_b32_e64 v23, v5, v14, s3
	;; [unrolled: 1-line block ×3, first 2 shown]
	v_cndmask_b32_e32 v18, v1, v10, vcc_lo
	v_cmp_eq_u32_e32 vcc_lo, 2, v83
	v_cmp_eq_u32_e64 s3, 2, v84
	v_cndmask_b32_e64 v22, v22, v2, s7
	v_cndmask_b32_e32 v20, v20, v2, vcc_lo
	v_cndmask_b32_e32 v21, v21, v6, vcc_lo
	v_cmp_eq_u32_e32 vcc_lo, 4, v82
	v_cndmask_b32_e32 v19, v19, v7, vcc_lo
	v_cndmask_b32_e64 v18, v18, v2, s4
	v_cmp_eq_u32_e64 s4, 3, v83
	s_delay_alu instid0(VALU_DEP_2) | instskip(NEXT) | instid1(VALU_DEP_2)
	v_cndmask_b32_e64 v18, v18, v11, s5
	v_cndmask_b32_e64 v21, v21, v15, s4
	v_cmp_eq_u32_e64 s5, 5, v82
	s_delay_alu instid0(VALU_DEP_3) | instskip(SKIP_1) | instid1(VALU_DEP_3)
	v_cndmask_b32_e32 v18, v18, v3, vcc_lo
	v_cmp_eq_u32_e32 vcc_lo, 4, v83
	v_cndmask_b32_e64 v19, v19, v16, s5
	s_delay_alu instid0(VALU_DEP_3) | instskip(SKIP_4) | instid1(VALU_DEP_3)
	v_cndmask_b32_e64 v18, v18, v12, s5
	v_cndmask_b32_e32 v21, v21, v7, vcc_lo
	v_cndmask_b32_e64 v20, v20, v11, s4
	v_cmp_eq_u32_e64 s4, 5, v83
	v_cmp_eq_u32_e64 s5, 6, v82
	v_cndmask_b32_e32 v20, v20, v3, vcc_lo
	s_delay_alu instid0(VALU_DEP_3) | instskip(SKIP_1) | instid1(VALU_DEP_4)
	v_cndmask_b32_e64 v21, v21, v16, s4
	v_cmp_eq_u32_e32 vcc_lo, 6, v83
	v_cndmask_b32_e64 v18, v18, v4, s5
	v_cndmask_b32_e64 v19, v19, v8, s5
	;; [unrolled: 1-line block ×3, first 2 shown]
	v_cmp_eq_u32_e64 s4, 1, v84
	v_cmp_eq_u32_e64 s5, 7, v82
	s_delay_alu instid0(VALU_DEP_3) | instskip(NEXT) | instid1(VALU_DEP_3)
	v_cndmask_b32_e32 v20, v20, v4, vcc_lo
	v_cndmask_b32_e64 v1, v1, v10, s4
	v_cndmask_b32_e64 v5, v5, v14, s4
	v_cmp_eq_u32_e64 s4, 3, v81
	v_cndmask_b32_e64 v14, v23, v6, s7
	v_cmp_eq_u32_e64 s7, 3, v84
	v_cndmask_b32_e64 v1, v1, v2, s3
	v_cndmask_b32_e64 v2, v5, v6, s3
	;; [unrolled: 1-line block ×3, first 2 shown]
	v_cmp_eq_u32_e64 s3, 4, v81
	v_cndmask_b32_e64 v6, v14, v15, s4
	v_cndmask_b32_e64 v1, v1, v11, s7
	v_cmp_eq_u32_e64 s4, 4, v84
	v_cndmask_b32_e64 v2, v2, v15, s7
	v_cndmask_b32_e64 v5, v10, v3, s3
	;; [unrolled: 3-line block ×3, first 2 shown]
	v_cndmask_b32_e64 v2, v2, v7, s4
	v_cmp_eq_u32_e64 s3, 5, v84
	v_cndmask_b32_e64 v5, v5, v12, s7
	v_cmp_eq_u32_e64 s4, 6, v81
	;; [unrolled: 2-line block ×3, first 2 shown]
	v_cndmask_b32_e64 v1, v1, v12, s3
	v_cndmask_b32_e64 v2, v2, v16, s3
	v_cndmask_b32_e64 v5, v5, v4, s4
	v_cndmask_b32_e64 v3, v3, v8, s4
	v_cmp_eq_u32_e64 s3, 7, v84
	v_cndmask_b32_e64 v1, v1, v4, s7
	v_cndmask_b32_e64 v2, v2, v8, s7
	v_cmp_eq_u32_e64 s4, 7, v81
	v_cndmask_b32_e32 v4, v21, v8, vcc_lo
	v_cndmask_b32_e64 v18, v18, v13, s5
	v_cndmask_b32_e64 v20, v20, v13, s6
	;; [unrolled: 1-line block ×8, first 2 shown]
	v_cmp_gt_u32_e32 vcc_lo, 32, v0
	v_perm_b32 v4, v2, v1, 0x5040100
	v_perm_b32 v3, v3, v5, 0x5040100
	;; [unrolled: 1-line block ×4, first 2 shown]
	s_and_b32 s2, vcc_lo, s2
	ds_store_b128 v9, v[1:4]
	s_waitcnt lgkmcnt(0)
	s_barrier
	buffer_gl0_inv
	s_and_saveexec_b32 s3, s2
	s_cbranch_execz .LBB766_2
; %bb.110:
	s_load_b64 s[0:1], s[0:1], 0x68
	v_lshlrev_b32_e32 v1, 10, v0
	v_and_b32_e32 v0, 1, v0
	v_lshlrev_b32_e32 v2, 6, v90
	s_lshl_b32 s4, s36, 7
	v_lshlrev_b32_e32 v4, 3, v89
	v_and_b32_e32 v1, 0x3800, v1
	v_lshlrev_b32_e32 v0, 4, v0
	s_mul_i32 s2, s4, s34
	s_delay_alu instid0(SALU_CYCLE_1) | instskip(SKIP_1) | instid1(VALU_DEP_2)
	s_mul_i32 s2, s2, s37
	v_lshlrev_b32_e32 v4, 1, v4
	v_or3_b32 v0, v1, v2, v0
	s_ashr_i32 s3, s2, 31
	s_delay_alu instid0(SALU_CYCLE_1)
	s_lshl_b64 s[2:3], s[2:3], 1
	ds_load_b128 v[0:3], v0
	s_waitcnt lgkmcnt(0)
	s_add_u32 s5, s0, s2
	s_addc_u32 s3, s1, s3
	s_lshl_b32 s0, s14, 7
	s_mul_i32 s2, s4, s15
	s_ashr_i32 s1, s0, 31
	s_delay_alu instid0(SALU_CYCLE_1) | instskip(NEXT) | instid1(SALU_CYCLE_1)
	s_lshl_b64 s[0:1], s[0:1], 1
	s_add_u32 s4, s5, s0
	s_addc_u32 s5, s3, s1
	s_ashr_i32 s3, s2, 31
	s_delay_alu instid0(SALU_CYCLE_1) | instskip(NEXT) | instid1(SALU_CYCLE_1)
	s_lshl_b64 s[0:1], s[2:3], 1
	s_add_u32 s0, s4, s0
	s_addc_u32 s1, s5, s1
	global_store_b128 v4, v[0:3], s[0:1]
	s_nop 0
	s_sendmsg sendmsg(MSG_DEALLOC_VGPRS)
	s_endpgm
	.section	.rodata,"a",@progbits
	.p2align	6, 0x0
	.amdhsa_kernel _Z39paged_attention_ll4mi_QKV_mfma16_kernelI14__hip_bfloat16S0_LN4vllm18Fp8KVCacheDataTypeE0ES0_Li32ELi128ELi256ELb0ELi1EL8MFMAType0EEvPKT_PKT0_S9_ifPKiSB_SB_iPKfiiiPfSE_PS4_PT2_iSD_SD_
		.amdhsa_group_segment_fixed_size 17472
		.amdhsa_private_segment_fixed_size 0
		.amdhsa_kernarg_size 400
		.amdhsa_user_sgpr_count 13
		.amdhsa_user_sgpr_dispatch_ptr 0
		.amdhsa_user_sgpr_queue_ptr 0
		.amdhsa_user_sgpr_kernarg_segment_ptr 1
		.amdhsa_user_sgpr_dispatch_id 0
		.amdhsa_user_sgpr_private_segment_size 0
		.amdhsa_wavefront_size32 1
		.amdhsa_uses_dynamic_stack 0
		.amdhsa_enable_private_segment 0
		.amdhsa_system_sgpr_workgroup_id_x 1
		.amdhsa_system_sgpr_workgroup_id_y 1
		.amdhsa_system_sgpr_workgroup_id_z 1
		.amdhsa_system_sgpr_workgroup_info 0
		.amdhsa_system_vgpr_workitem_id 0
		.amdhsa_next_free_vgpr 144
		.amdhsa_next_free_sgpr 97
		.amdhsa_reserve_vcc 1
		.amdhsa_float_round_mode_32 0
		.amdhsa_float_round_mode_16_64 0
		.amdhsa_float_denorm_mode_32 3
		.amdhsa_float_denorm_mode_16_64 3
		.amdhsa_dx10_clamp 1
		.amdhsa_ieee_mode 1
		.amdhsa_fp16_overflow 0
		.amdhsa_workgroup_processor_mode 1
		.amdhsa_memory_ordered 1
		.amdhsa_forward_progress 0
		.amdhsa_shared_vgpr_count 0
		.amdhsa_exception_fp_ieee_invalid_op 0
		.amdhsa_exception_fp_denorm_src 0
		.amdhsa_exception_fp_ieee_div_zero 0
		.amdhsa_exception_fp_ieee_overflow 0
		.amdhsa_exception_fp_ieee_underflow 0
		.amdhsa_exception_fp_ieee_inexact 0
		.amdhsa_exception_int_div_zero 0
	.end_amdhsa_kernel
	.section	.text._Z39paged_attention_ll4mi_QKV_mfma16_kernelI14__hip_bfloat16S0_LN4vllm18Fp8KVCacheDataTypeE0ES0_Li32ELi128ELi256ELb0ELi1EL8MFMAType0EEvPKT_PKT0_S9_ifPKiSB_SB_iPKfiiiPfSE_PS4_PT2_iSD_SD_,"axG",@progbits,_Z39paged_attention_ll4mi_QKV_mfma16_kernelI14__hip_bfloat16S0_LN4vllm18Fp8KVCacheDataTypeE0ES0_Li32ELi128ELi256ELb0ELi1EL8MFMAType0EEvPKT_PKT0_S9_ifPKiSB_SB_iPKfiiiPfSE_PS4_PT2_iSD_SD_,comdat
.Lfunc_end766:
	.size	_Z39paged_attention_ll4mi_QKV_mfma16_kernelI14__hip_bfloat16S0_LN4vllm18Fp8KVCacheDataTypeE0ES0_Li32ELi128ELi256ELb0ELi1EL8MFMAType0EEvPKT_PKT0_S9_ifPKiSB_SB_iPKfiiiPfSE_PS4_PT2_iSD_SD_, .Lfunc_end766-_Z39paged_attention_ll4mi_QKV_mfma16_kernelI14__hip_bfloat16S0_LN4vllm18Fp8KVCacheDataTypeE0ES0_Li32ELi128ELi256ELb0ELi1EL8MFMAType0EEvPKT_PKT0_S9_ifPKiSB_SB_iPKfiiiPfSE_PS4_PT2_iSD_SD_
                                        ; -- End function
	.section	.AMDGPU.csdata,"",@progbits
; Kernel info:
; codeLenInByte = 9524
; NumSgprs: 99
; NumVgprs: 144
; ScratchSize: 0
; MemoryBound: 1
; FloatMode: 240
; IeeeMode: 1
; LDSByteSize: 17472 bytes/workgroup (compile time only)
; SGPRBlocks: 12
; VGPRBlocks: 17
; NumSGPRsForWavesPerEU: 99
; NumVGPRsForWavesPerEU: 144
; Occupancy: 10
; WaveLimiterHint : 1
; COMPUTE_PGM_RSRC2:SCRATCH_EN: 0
; COMPUTE_PGM_RSRC2:USER_SGPR: 13
; COMPUTE_PGM_RSRC2:TRAP_HANDLER: 0
; COMPUTE_PGM_RSRC2:TGID_X_EN: 1
; COMPUTE_PGM_RSRC2:TGID_Y_EN: 1
; COMPUTE_PGM_RSRC2:TGID_Z_EN: 1
; COMPUTE_PGM_RSRC2:TIDIG_COMP_CNT: 0
	.section	.text._Z39paged_attention_ll4mi_QKV_mfma16_kernelI14__hip_bfloat16S0_LN4vllm18Fp8KVCacheDataTypeE0ES0_Li32ELi128ELi256ELb0ELi2EL8MFMAType0EEvPKT_PKT0_S9_ifPKiSB_SB_iPKfiiiPfSE_PS4_PT2_iSD_SD_,"axG",@progbits,_Z39paged_attention_ll4mi_QKV_mfma16_kernelI14__hip_bfloat16S0_LN4vllm18Fp8KVCacheDataTypeE0ES0_Li32ELi128ELi256ELb0ELi2EL8MFMAType0EEvPKT_PKT0_S9_ifPKiSB_SB_iPKfiiiPfSE_PS4_PT2_iSD_SD_,comdat
	.protected	_Z39paged_attention_ll4mi_QKV_mfma16_kernelI14__hip_bfloat16S0_LN4vllm18Fp8KVCacheDataTypeE0ES0_Li32ELi128ELi256ELb0ELi2EL8MFMAType0EEvPKT_PKT0_S9_ifPKiSB_SB_iPKfiiiPfSE_PS4_PT2_iSD_SD_ ; -- Begin function _Z39paged_attention_ll4mi_QKV_mfma16_kernelI14__hip_bfloat16S0_LN4vllm18Fp8KVCacheDataTypeE0ES0_Li32ELi128ELi256ELb0ELi2EL8MFMAType0EEvPKT_PKT0_S9_ifPKiSB_SB_iPKfiiiPfSE_PS4_PT2_iSD_SD_
	.globl	_Z39paged_attention_ll4mi_QKV_mfma16_kernelI14__hip_bfloat16S0_LN4vllm18Fp8KVCacheDataTypeE0ES0_Li32ELi128ELi256ELb0ELi2EL8MFMAType0EEvPKT_PKT0_S9_ifPKiSB_SB_iPKfiiiPfSE_PS4_PT2_iSD_SD_
	.p2align	8
	.type	_Z39paged_attention_ll4mi_QKV_mfma16_kernelI14__hip_bfloat16S0_LN4vllm18Fp8KVCacheDataTypeE0ES0_Li32ELi128ELi256ELb0ELi2EL8MFMAType0EEvPKT_PKT0_S9_ifPKiSB_SB_iPKfiiiPfSE_PS4_PT2_iSD_SD_,@function
_Z39paged_attention_ll4mi_QKV_mfma16_kernelI14__hip_bfloat16S0_LN4vllm18Fp8KVCacheDataTypeE0ES0_Li32ELi128ELi256ELb0ELi2EL8MFMAType0EEvPKT_PKT0_S9_ifPKiSB_SB_iPKfiiiPfSE_PS4_PT2_iSD_SD_: ; @_Z39paged_attention_ll4mi_QKV_mfma16_kernelI14__hip_bfloat16S0_LN4vllm18Fp8KVCacheDataTypeE0ES0_Li32ELi128ELi256ELb0ELi2EL8MFMAType0EEvPKT_PKT0_S9_ifPKiSB_SB_iPKfiiiPfSE_PS4_PT2_iSD_SD_
; %bb.0:
	s_load_b64 s[2:3], s[0:1], 0x30
	s_mov_b32 s30, s13
	s_waitcnt lgkmcnt(0)
	s_cmp_lg_u64 s[2:3], 0
	s_cselect_b32 s6, -1, 0
	s_ashr_i32 s31, s13, 31
	s_cmp_eq_u64 s[2:3], 0
	s_cbranch_scc1 .LBB767_3
; %bb.1:
	s_lshl_b64 s[4:5], s[30:31], 2
	s_delay_alu instid0(SALU_CYCLE_1) | instskip(SKIP_4) | instid1(SALU_CYCLE_1)
	s_add_u32 s4, s2, s4
	s_addc_u32 s5, s3, s5
	s_load_b64 s[4:5], s[4:5], 0x0
	s_waitcnt lgkmcnt(0)
	s_sub_i32 s4, s5, s4
	s_cmp_eq_u32 s4, 1
	s_cselect_b32 s4, -1, 0
	s_delay_alu instid0(SALU_CYCLE_1)
	s_and_not1_b32 vcc_lo, exec_lo, s4
	s_cbranch_vccz .LBB767_4
.LBB767_2:
	s_endpgm
.LBB767_3:
.LBB767_4:
	s_load_b64 s[8:9], s[0:1], 0x28
	s_lshl_b64 s[4:5], s[30:31], 2
	s_waitcnt lgkmcnt(0)
	s_add_u32 s8, s8, s4
	s_addc_u32 s9, s9, s5
	s_lshl_b32 s16, s14, 8
	s_load_b32 s18, s[8:9], 0x0
	s_waitcnt lgkmcnt(0)
	s_cmp_ge_i32 s16, s18
	s_cbranch_scc1 .LBB767_2
; %bb.5:
	s_and_not1_b32 vcc_lo, exec_lo, s6
	s_cbranch_vccnz .LBB767_7
; %bb.6:
	s_add_u32 s2, s2, s4
	s_addc_u32 s3, s3, s5
	s_load_b32 s3, s[2:3], 0x0
	s_branch .LBB767_8
.LBB767_7:
	s_mov_b32 s3, s30
.LBB767_8:
	s_clause 0x2
	s_load_b128 s[8:11], s[0:1], 0x8
	s_load_b64 s[12:13], s[0:1], 0x20
	s_load_b128 s[4:7], s[0:1], 0x48
	v_and_b32_e32 v73, 15, v0
	v_bfe_u32 v86, v0, 4, 1
	v_cmp_gt_u32_e64 s2, 32, v0
	s_lshl_b32 s31, s15, 1
	s_waitcnt lgkmcnt(0)
	s_mov_b32 s7, exec_lo
	v_lshlrev_b32_e32 v1, 3, v73
	v_cmpx_lt_u32_e32 31, v0
	s_xor_b32 s7, exec_lo, s7
; %bb.9:
	v_mov_b32_e32 v2, 0
; %bb.10:
	s_or_saveexec_b32 s7, s7
	v_and_b32_e32 v74, 31, v0
	v_and_b32_e32 v85, 1, v0
	v_or_b32_e32 v84, s31, v86
	v_lshlrev_b32_e32 v83, 6, v86
	s_xor_b32 exec_lo, exec_lo, s7
	s_cbranch_execz .LBB767_12
; %bb.11:
	s_load_b64 s[20:21], s[0:1], 0x0
	v_lshlrev_b32_e32 v2, 7, v84
	s_mul_hi_i32 s23, s3, s4
	s_mul_i32 s22, s3, s4
	v_lshlrev_b32_e32 v4, 1, v1
	s_lshl_b64 s[22:23], s[22:23], 1
	v_ashrrev_i32_e32 v3, 31, v2
	v_lshlrev_b32_e32 v7, 10, v85
	s_delay_alu instid0(VALU_DEP_2) | instskip(SKIP_3) | instid1(VALU_DEP_1)
	v_lshlrev_b64 v[2:3], 1, v[2:3]
	s_waitcnt lgkmcnt(0)
	s_add_u32 s3, s20, s22
	s_addc_u32 s4, s21, s23
	v_add_co_u32 v2, vcc_lo, s3, v2
	s_delay_alu instid0(VALU_DEP_2) | instskip(NEXT) | instid1(VALU_DEP_2)
	v_add_co_ci_u32_e32 v3, vcc_lo, s4, v3, vcc_lo
	v_add_co_u32 v2, vcc_lo, v2, v4
	s_delay_alu instid0(VALU_DEP_2) | instskip(SKIP_2) | instid1(VALU_DEP_1)
	v_add_co_ci_u32_e32 v3, vcc_lo, 0, v3, vcc_lo
	global_load_b128 v[3:6], v[2:3], off
	v_lshlrev_b32_e32 v2, 10, v73
	v_and_b32_e32 v2, 0x3800, v2
	s_delay_alu instid0(VALU_DEP_1)
	v_or3_b32 v7, v2, v7, v83
	v_mov_b32_e32 v2, 0
	s_waitcnt vmcnt(0)
	ds_store_b128 v7, v[3:6]
.LBB767_12:
	s_or_b32 exec_lo, exec_lo, s7
	v_and_b32_e32 v3, 0xef, v0
	s_add_i32 s3, s18, 31
	s_clause 0x1
	s_load_b32 s4, s[0:1], 0x38
	s_load_b32 s19, s[0:1], 0x1c
	s_ashr_i32 s7, s3, 31
	v_add_nc_u32_e32 v3, s16, v3
	s_lshr_b32 s7, s7, 27
	s_waitcnt lgkmcnt(0)
	s_add_i32 s3, s3, s7
	s_barrier
	v_ashrrev_i32_e32 v4, 31, v3
	v_cmp_gt_i32_e32 vcc_lo, s18, v3
	s_ashr_i32 s3, s3, 5
	buffer_gl0_inv
	s_add_i32 s3, s3, -1
	v_lshrrev_b32_e32 v5, 27, v4
	v_or_b32_e32 v4, 16, v3
	s_mul_i32 s6, s15, s6
	v_lshlrev_b64 v[81:82], 1, v[1:2]
	v_lshlrev_b32_e32 v80, 6, v85
	v_add_nc_u32_e32 v6, v3, v5
	v_add_nc_u32_e32 v5, v4, v5
	s_mul_i32 s20, s30, s4
	s_delay_alu instid0(SALU_CYCLE_1) | instskip(NEXT) | instid1(VALU_DEP_2)
	s_ashr_i32 s21, s20, 31
	v_ashrrev_i32_e32 v6, 5, v6
	s_delay_alu instid0(VALU_DEP_2) | instskip(SKIP_1) | instid1(SALU_CYCLE_1)
	v_ashrrev_i32_e32 v5, 5, v5
	s_lshl_b64 s[20:21], s[20:21], 2
	s_add_u32 s4, s12, s20
	s_delay_alu instid0(VALU_DEP_2) | instskip(SKIP_3) | instid1(SALU_CYCLE_1)
	v_cndmask_b32_e32 v3, s3, v6, vcc_lo
	v_cmp_gt_i32_e32 vcc_lo, s18, v4
	s_addc_u32 s17, s13, s21
	s_ashr_i32 s7, s6, 31
	s_lshl_b64 s[6:7], s[6:7], 1
	v_cndmask_b32_e32 v5, s3, v5, vcc_lo
	v_ashrrev_i32_e32 v4, 31, v3
	s_add_u32 s15, s8, s6
	s_addc_u32 s28, s9, s7
	s_lshl_b32 s8, s14, 3
	v_ashrrev_i32_e32 v6, 31, v5
	v_lshlrev_b64 v[3:4], 2, v[3:4]
	s_ashr_i32 s9, s8, 31
	s_delay_alu instid0(SALU_CYCLE_1) | instskip(NEXT) | instid1(VALU_DEP_2)
	s_lshl_b64 s[8:9], s[8:9], 2
	v_lshlrev_b64 v[5:6], 2, v[5:6]
	s_add_u32 s8, s4, s8
	s_delay_alu instid0(VALU_DEP_2) | instskip(SKIP_1) | instid1(VALU_DEP_3)
	v_add_co_u32 v3, vcc_lo, s4, v3
	v_add_co_ci_u32_e32 v4, vcc_lo, s17, v4, vcc_lo
	v_add_co_u32 v5, vcc_lo, s4, v5
	s_delay_alu instid0(VALU_DEP_4)
	v_add_co_ci_u32_e32 v6, vcc_lo, s17, v6, vcc_lo
	s_addc_u32 s9, s17, s9
	s_clause 0x1
	global_load_b32 v7, v[3:4], off
	global_load_b32 v8, v[5:6], off
	s_or_b32 s12, s16, 32
	s_delay_alu instid0(SALU_CYCLE_1) | instskip(SKIP_2) | instid1(SALU_CYCLE_1)
	s_ashr_i32 s13, s12, 5
	s_cmp_lt_i32 s12, s18
	s_cselect_b32 s12, s13, s3
	s_ashr_i32 s13, s12, 31
	s_delay_alu instid0(SALU_CYCLE_1) | instskip(NEXT) | instid1(SALU_CYCLE_1)
	s_lshl_b64 s[12:13], s[12:13], 2
	s_add_u32 s12, s4, s12
	s_addc_u32 s13, s17, s13
	s_or_b32 s20, s16, 64
	s_delay_alu instid0(SALU_CYCLE_1) | instskip(SKIP_2) | instid1(SALU_CYCLE_1)
	s_ashr_i32 s21, s20, 5
	s_cmp_lt_i32 s20, s18
	s_cselect_b32 s20, s21, s3
	s_ashr_i32 s21, s20, 31
	s_delay_alu instid0(SALU_CYCLE_1) | instskip(NEXT) | instid1(SALU_CYCLE_1)
	s_lshl_b64 s[20:21], s[20:21], 2
	s_add_u32 s20, s4, s20
	s_addc_u32 s21, s17, s21
	;; [unrolled: 10-line block ×5, first 2 shown]
	s_clause 0x5
	s_load_b32 s29, s[8:9], 0x0
	s_load_b32 s33, s[12:13], 0x0
	;; [unrolled: 1-line block ×6, first 2 shown]
	s_mov_b32 s20, 0
	s_or_b32 s8, s16, 0xc0
	s_mov_b32 s27, s20
	s_mov_b32 s21, s20
	;; [unrolled: 1-line block ×7, first 2 shown]
	s_delay_alu instid0(SALU_CYCLE_1)
	v_dual_mov_b32 v110, s27 :: v_dual_mov_b32 v109, s26
	v_dual_mov_b32 v108, s25 :: v_dual_mov_b32 v107, s24
	v_mov_b32_e32 v104, s21
	v_dual_mov_b32 v106, s23 :: v_dual_mov_b32 v105, s22
	v_mov_b32_e32 v103, s20
	s_ashr_i32 s9, s8, 5
	s_cmp_lt_i32 s8, s18
	s_waitcnt lgkmcnt(0)
	s_mul_hi_i32 s13, s29, s5
	s_cselect_b32 s8, s9, s3
	s_mul_i32 s12, s29, s5
	s_ashr_i32 s9, s8, 31
	s_mul_hi_i32 s21, s33, s5
	s_lshl_b64 s[8:9], s[8:9], 2
	s_mul_i32 s20, s33, s5
	s_add_u32 s8, s4, s8
	s_addc_u32 s9, s17, s9
	s_mul_hi_i32 s25, s34, s5
	s_mul_i32 s24, s34, s5
	s_mul_hi_i32 s27, s35, s5
	s_mul_i32 s26, s35, s5
	;; [unrolled: 2-line block ×3, first 2 shown]
	s_waitcnt vmcnt(1)
	v_mad_i64_i32 v[3:4], null, v7, s5, 0
	s_waitcnt vmcnt(0)
	v_mad_i64_i32 v[5:6], null, v8, s5, 0
	s_delay_alu instid0(VALU_DEP_2) | instskip(NEXT) | instid1(VALU_DEP_2)
	v_lshlrev_b64 v[3:4], 1, v[3:4]
	v_lshlrev_b64 v[1:2], 1, v[5:6]
	s_delay_alu instid0(VALU_DEP_2) | instskip(NEXT) | instid1(VALU_DEP_3)
	v_add_co_u32 v3, vcc_lo, s15, v3
	v_add_co_ci_u32_e32 v4, vcc_lo, s28, v4, vcc_lo
	s_delay_alu instid0(VALU_DEP_3) | instskip(NEXT) | instid1(VALU_DEP_4)
	v_add_co_u32 v1, vcc_lo, s15, v1
	v_add_co_ci_u32_e32 v2, vcc_lo, s28, v2, vcc_lo
	s_delay_alu instid0(VALU_DEP_4) | instskip(NEXT) | instid1(VALU_DEP_4)
	v_add_co_u32 v65, vcc_lo, v3, v81
	v_add_co_ci_u32_e32 v66, vcc_lo, v4, v82, vcc_lo
	s_delay_alu instid0(VALU_DEP_4) | instskip(NEXT) | instid1(VALU_DEP_4)
	v_add_co_u32 v75, vcc_lo, v1, v81
	v_add_co_ci_u32_e32 v76, vcc_lo, v2, v82, vcc_lo
	s_clause 0xf
	global_load_b128 v[1:4], v[65:66], off
	global_load_b128 v[5:8], v[65:66], off offset:512
	global_load_b128 v[9:12], v[75:76], off offset:256
	;; [unrolled: 1-line block ×15, first 2 shown]
	v_add_co_u32 v77, vcc_lo, 0x1000, v65
	v_add_co_ci_u32_e32 v78, vcc_lo, 0, v66, vcc_lo
	v_add_co_u32 v75, vcc_lo, 0x1000, v75
	s_clause 0x1
	global_load_b128 v[65:68], v[77:78], off
	global_load_b128 v[69:72], v[77:78], off offset:512
	ds_load_b128 v[87:90], v80
	ds_load_b128 v[91:94], v80 offset:1024
	v_add_co_ci_u32_e32 v76, vcc_lo, 0, v76, vcc_lo
	s_clause 0x1
	global_load_b128 v[95:98], v[75:76], off offset:256
	global_load_b128 v[99:102], v[75:76], off offset:768
	ds_load_b128 v[111:114], v80 offset:2048
	ds_load_b128 v[115:118], v80 offset:3072
	s_or_b32 s15, s16, 0xe0
	s_delay_alu instid0(SALU_CYCLE_1) | instskip(SKIP_2) | instid1(SALU_CYCLE_1)
	s_ashr_i32 s22, s15, 5
	s_cmp_lt_i32 s15, s18
	s_cselect_b32 s22, s22, s3
	s_ashr_i32 s23, s22, 31
	s_delay_alu instid0(SALU_CYCLE_1) | instskip(NEXT) | instid1(SALU_CYCLE_1)
	s_lshl_b64 s[22:23], s[22:23], 2
	s_add_u32 s22, s4, s22
	s_addc_u32 s23, s17, s23
	s_add_i32 s15, s16, 0x100
	s_delay_alu instid0(SALU_CYCLE_1) | instskip(SKIP_2) | instid1(SALU_CYCLE_1)
	s_ashr_i32 s28, s15, 5
	s_cmp_lt_i32 s15, s18
	s_cselect_b32 s28, s28, s3
	s_ashr_i32 s29, s28, 31
	s_delay_alu instid0(SALU_CYCLE_1) | instskip(NEXT) | instid1(SALU_CYCLE_1)
	s_lshl_b64 s[28:29], s[28:29], 2
	s_add_u32 s28, s4, s28
	s_addc_u32 s29, s17, s29
	s_add_u32 s3, s10, s6
	s_waitcnt vmcnt(18) lgkmcnt(2)
	v_wmma_f32_16x16x16_bf16 v[119:126], v[1:8], v[87:94], v[103:110]
	s_waitcnt vmcnt(16)
	v_wmma_f32_16x16x16_bf16 v[103:110], v[9:16], v[87:94], v[103:110]
	s_clause 0x3
	global_load_b128 v[1:4], v[77:78], off offset:1024
	global_load_b128 v[5:8], v[77:78], off offset:1536
	;; [unrolled: 1-line block ×4, first 2 shown]
	s_waitcnt vmcnt(18) lgkmcnt(0)
	v_wmma_f32_16x16x16_bf16 v[119:126], v[17:24], v[111:118], v[119:126]
	s_clause 0x1
	global_load_b128 v[17:20], v[77:78], off offset:2048
	global_load_b128 v[21:24], v[77:78], off offset:2560
	s_waitcnt vmcnt(18)
	v_wmma_f32_16x16x16_bf16 v[103:110], v[25:32], v[111:118], v[103:110]
	s_clause 0x1
	global_load_b128 v[25:28], v[75:76], off offset:2304
	global_load_b128 v[29:32], v[75:76], off offset:2816
	ds_load_b128 v[87:90], v80 offset:4096
	ds_load_b128 v[91:94], v80 offset:5120
	s_clause 0x3
	global_load_b128 v[111:114], v[77:78], off offset:3072
	global_load_b128 v[115:118], v[77:78], off offset:3584
	;; [unrolled: 1-line block ×4, first 2 shown]
	v_lshrrev_b32_e32 v75, 5, v0
	s_waitcnt vmcnt(22) lgkmcnt(0)
	v_wmma_f32_16x16x16_bf16 v[119:126], v[33:40], v[87:94], v[119:126]
	ds_load_b128 v[33:36], v80 offset:6144
	ds_load_b128 v[37:40], v80 offset:7168
	s_waitcnt vmcnt(20)
	v_wmma_f32_16x16x16_bf16 v[103:110], v[41:48], v[87:94], v[103:110]
	v_lshlrev_b32_e32 v87, 6, v73
	ds_load_b128 v[41:44], v80 offset:8192
	ds_load_b128 v[45:48], v80 offset:9216
	s_waitcnt vmcnt(18) lgkmcnt(2)
	v_wmma_f32_16x16x16_bf16 v[119:126], v[49:56], v[33:40], v[119:126]
	v_lshl_or_b32 v49, v75, 10, v87
	s_waitcnt vmcnt(16)
	v_wmma_f32_16x16x16_bf16 v[103:110], v[57:64], v[33:40], v[103:110]
	ds_load_b128 v[33:36], v80 offset:10240
	ds_load_b128 v[37:40], v80 offset:11264
	;; [unrolled: 1-line block ×4, first 2 shown]
	s_clause 0x2
	s_load_b32 s15, s[8:9], 0x0
	s_load_b32 s4, s[22:23], 0x0
	;; [unrolled: 1-line block ×3, first 2 shown]
	s_addc_u32 s28, s11, s7
	v_add_co_u32 v143, s3, s3, v49
	s_delay_alu instid0(VALU_DEP_1) | instskip(SKIP_2) | instid1(VALU_DEP_2)
	v_add_co_ci_u32_e64 v144, null, s28, 0, s3
	s_lshl_b64 s[6:7], s[12:13], 1
	s_lshl_b64 s[10:11], s[20:21], 1
	v_add_co_u32 v49, vcc_lo, v143, s6
	s_delay_alu instid0(VALU_DEP_2)
	v_add_co_ci_u32_e32 v50, vcc_lo, s7, v144, vcc_lo
	v_add_co_u32 v51, vcc_lo, v143, s10
	s_lshl_b64 s[12:13], s[24:25], 1
	v_add_co_ci_u32_e32 v52, vcc_lo, s11, v144, vcc_lo
	v_add_co_u32 v53, vcc_lo, v143, s12
	s_lshl_b64 s[20:21], s[26:27], 1
	s_mul_hi_i32 s9, s36, s5
	s_mul_i32 s8, s36, s5
	v_add_co_ci_u32_e32 v54, vcc_lo, s13, v144, vcc_lo
	v_add_co_u32 v76, vcc_lo, v143, s20
	s_lshl_b64 s[8:9], s[8:9], 1
	v_add_co_ci_u32_e32 v77, vcc_lo, s21, v144, vcc_lo
	v_add_co_u32 v78, vcc_lo, v143, s8
	s_lshl_b64 s[22:23], s[34:35], 1
	s_waitcnt lgkmcnt(0)
	s_mul_hi_i32 s25, s15, s5
	s_mul_i32 s24, s15, s5
	v_add_co_ci_u32_e32 v79, vcc_lo, s9, v144, vcc_lo
	v_add_co_u32 v88, vcc_lo, v143, s22
	s_lshl_b64 s[24:25], s[24:25], 1
	s_waitcnt vmcnt(12)
	v_wmma_f32_16x16x16_bf16 v[103:110], v[95:102], v[41:48], v[103:110]
	v_wmma_f32_16x16x16_bf16 v[119:126], v[65:72], v[41:48], v[119:126]
	v_add_co_ci_u32_e32 v89, vcc_lo, s23, v144, vcc_lo
	s_mul_hi_i32 s7, s4, s5
	s_mul_i32 s6, s4, s5
	v_add_co_u32 v90, vcc_lo, v143, s24
	s_lshl_b64 s[6:7], s[6:7], 1
	v_add_co_ci_u32_e32 v91, vcc_lo, s25, v144, vcc_lo
	s_clause 0x5
	global_load_b128 v[65:68], v[49:50], off
	global_load_b128 v[69:72], v[49:50], off offset:16
	global_load_b128 v[57:60], v[51:52], off
	global_load_b128 v[61:64], v[51:52], off offset:16
	global_load_b128 v[49:52], v[53:54], off
	global_load_b128 v[53:56], v[53:54], off offset:16
	s_waitcnt vmcnt(16)
	v_wmma_f32_16x16x16_bf16 v[119:126], v[1:8], v[33:40], v[119:126]
	s_waitcnt vmcnt(14)
	v_wmma_f32_16x16x16_bf16 v[103:110], v[9:16], v[33:40], v[103:110]
	s_clause 0x3
	global_load_b128 v[41:44], v[76:77], off
	global_load_b128 v[45:48], v[76:77], off offset:16
	global_load_b128 v[9:12], v[78:79], off
	global_load_b128 v[13:16], v[78:79], off offset:16
	v_add_co_u32 v76, vcc_lo, v143, s6
	v_add_co_ci_u32_e32 v77, vcc_lo, s7, v144, vcc_lo
	s_mul_hi_i32 s7, s17, s5
	s_mul_i32 s6, s17, s5
	s_waitcnt vmcnt(16)
	v_wmma_f32_16x16x16_bf16 v[119:126], v[17:24], v[135:142], v[119:126]
	s_lshl_b64 s[4:5], s[6:7], 1
	s_clause 0x1
	global_load_b128 v[1:4], v[88:89], off
	global_load_b128 v[5:8], v[88:89], off offset:16
	v_add_co_u32 v21, vcc_lo, v143, s4
	v_add_co_ci_u32_e32 v22, vcc_lo, s5, v144, vcc_lo
	s_waitcnt vmcnt(16)
	v_wmma_f32_16x16x16_bf16 v[103:110], v[25:32], v[135:142], v[103:110]
	s_clause 0x3
	global_load_b128 v[33:36], v[90:91], off
	global_load_b128 v[37:40], v[90:91], off offset:16
	global_load_b128 v[25:28], v[76:77], off
	global_load_b128 v[29:32], v[76:77], off offset:16
	ds_load_b128 v[88:91], v80 offset:14336
	ds_load_b128 v[92:95], v80 offset:15360
	s_clause 0x1
	global_load_b128 v[17:20], v[21:22], off
	global_load_b128 v[21:24], v[21:22], off offset:16
	v_and_b32_e32 v76, 0xe0, v0
	v_mbcnt_lo_u32_b32 v77, -1, 0
	s_waitcnt vmcnt(0) lgkmcnt(0)
	s_barrier
	buffer_gl0_inv
	v_add_nc_u32_e32 v76, s16, v76
	v_xor_b32_e32 v78, 16, v77
	s_delay_alu instid0(VALU_DEP_2) | instskip(NEXT) | instid1(VALU_DEP_2)
	v_or_b32_e32 v76, v76, v86
	v_cmp_gt_i32_e32 vcc_lo, 32, v78
	s_delay_alu instid0(VALU_DEP_2)
	v_or_b32_e32 v79, 4, v76
	v_or_b32_e32 v80, 6, v76
	;; [unrolled: 1-line block ×3, first 2 shown]
	v_wmma_f32_16x16x16_bf16 v[119:126], v[111:118], v[88:95], v[119:126]
	v_cndmask_b32_e32 v77, v77, v78, vcc_lo
	v_or_b32_e32 v78, 2, v76
	v_cmp_gt_i32_e32 vcc_lo, s18, v76
	v_wmma_f32_16x16x16_bf16 v[103:110], v[127:134], v[88:95], v[103:110]
	v_mul_f32_e32 v100, s19, v120
	v_mul_f32_e32 v98, s19, v119
	v_cmp_gt_i32_e64 s3, s18, v78
	v_or_b32_e32 v88, 8, v76
	v_or_b32_e32 v89, 10, v76
	;; [unrolled: 1-line block ×11, first 2 shown]
	v_cndmask_b32_e32 v76, 0xff7fffff, v98, vcc_lo
	v_cndmask_b32_e64 v78, 0xff7fffff, v100, s3
	v_mul_f32_e32 v100, s19, v122
	v_cmp_gt_i32_e64 s4, s18, v80
	v_mul_f32_e32 v80, s19, v121
	v_cmp_gt_i32_e64 s5, s18, v79
	v_dual_mul_f32 v98, s19, v126 :: v_dual_mul_f32 v79, s19, v124
	v_cmp_gt_i32_e64 s6, s18, v88
	v_cmp_gt_i32_e64 s7, s18, v89
	s_delay_alu instid0(VALU_DEP_4)
	v_cndmask_b32_e64 v80, 0xff7fffff, v80, s5
	v_mul_f32_e32 v89, s19, v109
	v_cndmask_b32_e64 v100, 0xff7fffff, v100, s4
	v_cmp_gt_i32_e64 s8, s18, v91
	v_cmp_gt_i32_e64 s9, s18, v90
	;; [unrolled: 1-line block ×10, first 2 shown]
	v_lshlrev_b32_e32 v101, 2, v77
	v_max3_f32 v76, v76, 0xff7fffff, v78
	v_dual_mul_f32 v78, s19, v123 :: v_dual_mul_f32 v91, s19, v104
	v_cndmask_b32_e64 v79, 0xff7fffff, v79, s7
	v_mul_f32_e32 v90, s19, v103
	s_delay_alu instid0(VALU_DEP_4) | instskip(NEXT) | instid1(VALU_DEP_4)
	v_max3_f32 v76, v76, v80, v100
	v_cndmask_b32_e64 v78, 0xff7fffff, v78, s6
	v_mul_f32_e32 v80, s19, v125
	v_cndmask_b32_e64 v98, 0xff7fffff, v98, s8
	v_mul_f32_e32 v92, s19, v105
	v_cndmask_b32_e64 v90, 0xff7fffff, v90, s10
	v_max3_f32 v76, v76, v78, v79
	v_cndmask_b32_e64 v80, 0xff7fffff, v80, s9
	v_mul_f32_e32 v79, s19, v106
	v_cndmask_b32_e64 v91, 0xff7fffff, v91, s11
	v_mul_f32_e32 v100, s19, v108
	v_mul_f32_e32 v78, s19, v107
	v_max3_f32 v76, v76, v80, v98
	v_cndmask_b32_e64 v80, 0xff7fffff, v92, s12
	v_cndmask_b32_e64 v79, 0xff7fffff, v79, s13
	v_mul_f32_e32 v88, s19, v110
	v_cndmask_b32_e64 v78, 0xff7fffff, v78, s15
	v_max3_f32 v76, v76, v90, v91
	v_cndmask_b32_e64 v90, 0xff7fffff, v100, s16
	s_delay_alu instid0(VALU_DEP_2) | instskip(SKIP_2) | instid1(VALU_DEP_3)
	v_max3_f32 v76, v76, v80, v79
	v_cndmask_b32_e64 v79, 0xff7fffff, v89, s17
	v_cndmask_b32_e64 v80, 0xff7fffff, v88, s18
	v_max3_f32 v76, v76, v78, v90
	s_delay_alu instid0(VALU_DEP_1) | instskip(SKIP_3) | instid1(VALU_DEP_1)
	v_max3_f32 v76, v76, v79, v80
	ds_bpermute_b32 v77, v101, v76
	s_waitcnt lgkmcnt(0)
	v_max_f32_e32 v77, v77, v77
	v_max_f32_e32 v91, v76, v77
	s_delay_alu instid0(VALU_DEP_1) | instskip(SKIP_4) | instid1(VALU_DEP_4)
	v_fma_f32 v76, s19, v119, -v91
	v_fma_f32 v77, s19, v120, -v91
	;; [unrolled: 1-line block ×5, first 2 shown]
	v_dual_mul_f32 v76, 0x3fb8aa3b, v76 :: v_dual_mul_f32 v77, 0x3fb8aa3b, v77
	s_delay_alu instid0(VALU_DEP_4) | instskip(SKIP_2) | instid1(VALU_DEP_4)
	v_mul_f32_e32 v79, 0x3fb8aa3b, v79
	v_fma_f32 v88, s19, v125, -v91
	v_fma_f32 v89, s19, v107, -v91
	v_exp_f32_e32 v76, v76
	v_exp_f32_e32 v77, v77
	;; [unrolled: 1-line block ×3, first 2 shown]
	s_delay_alu instid0(VALU_DEP_1) | instskip(SKIP_2) | instid1(VALU_DEP_3)
	v_dual_mul_f32 v88, 0x3fb8aa3b, v88 :: v_dual_mul_f32 v89, 0x3fb8aa3b, v89
	v_fma_f32 v100, s19, v109, -v91
	v_fma_f32 v102, s19, v110, -v91
	v_exp_f32_e32 v88, v88
	s_delay_alu instid0(VALU_DEP_3) | instskip(SKIP_3) | instid1(TRANS32_DEP_3)
	v_exp_f32_e32 v89, v89
	v_cndmask_b32_e32 v93, 0, v76, vcc_lo
	v_cndmask_b32_e64 v92, 0, v77, s3
	v_fma_f32 v76, s19, v124, -v91
	v_cndmask_b32_e64 v96, 0, v79, s4
	v_fma_f32 v79, s19, v103, -v91
	v_dual_add_f32 v77, 0, v93 :: v_dual_mul_f32 v78, 0x3fb8aa3b, v78
	v_mul_f32_e32 v80, 0x3fb8aa3b, v80
	s_delay_alu instid0(VALU_DEP_3) | instskip(NEXT) | instid1(VALU_DEP_3)
	v_dual_mul_f32 v76, 0x3fb8aa3b, v76 :: v_dual_mul_f32 v79, 0x3fb8aa3b, v79
	v_add_f32_e32 v77, v77, v92
	s_delay_alu instid0(VALU_DEP_4) | instskip(NEXT) | instid1(VALU_DEP_3)
	v_exp_f32_e32 v78, v78
	v_exp_f32_e32 v80, v80
	s_delay_alu instid0(VALU_DEP_2)
	v_exp_f32_e32 v76, v76
	v_exp_f32_e32 v79, v79
	v_cndmask_b32_e64 v95, 0, v88, s9
	v_fma_f32 v88, s19, v106, -v91
	v_mul_f32_e32 v102, 0x3fb8aa3b, v102
	s_mov_b32 s3, exec_lo
	v_cndmask_b32_e64 v94, 0, v78, s5
	v_fma_f32 v78, s19, v126, -v91
	s_delay_alu instid0(TRANS32_DEP_3)
	v_cndmask_b32_e64 v97, 0, v80, s6
	v_fma_f32 v80, s19, v104, -v91
	v_cndmask_b32_e64 v98, 0, v76, s7
	v_add_f32_e32 v77, v77, v94
	v_mul_f32_e32 v78, 0x3fb8aa3b, v78
	v_mul_f32_e32 v88, 0x3fb8aa3b, v88
	;; [unrolled: 1-line block ×3, first 2 shown]
	v_exp_f32_e32 v102, v102
	v_add_f32_e32 v77, v77, v96
	v_exp_f32_e32 v78, v78
	v_exp_f32_e32 v88, v88
	;; [unrolled: 1-line block ×3, first 2 shown]
	s_delay_alu instid0(VALU_DEP_1) | instskip(SKIP_1) | instid1(VALU_DEP_1)
	v_add_f32_e32 v76, v77, v97
	v_fma_f32 v77, s19, v105, -v91
	v_dual_add_f32 v76, v76, v98 :: v_dual_mul_f32 v77, 0x3fb8aa3b, v77
	s_delay_alu instid0(TRANS32_DEP_3) | instskip(NEXT) | instid1(VALU_DEP_2)
	v_cndmask_b32_e64 v99, 0, v78, s8
	v_add_f32_e32 v78, v76, v95
	s_delay_alu instid0(VALU_DEP_3) | instskip(SKIP_2) | instid1(TRANS32_DEP_2)
	v_exp_f32_e32 v90, v77
	v_cndmask_b32_e64 v76, 0, v79, s10
	v_fma_f32 v79, s19, v108, -v91
	v_cndmask_b32_e64 v77, 0, v80, s11
	v_add_f32_e32 v78, v78, v99
	s_delay_alu instid0(VALU_DEP_1)
	v_dual_mul_f32 v79, 0x3fb8aa3b, v79 :: v_dual_add_f32 v80, v78, v76
	s_waitcnt_depctr 0xfff
	v_cndmask_b32_e64 v78, 0, v90, s12
	v_mul_f32_e32 v90, 0x3fb8aa3b, v100
	v_exp_f32_e32 v100, v79
	v_cndmask_b32_e64 v79, 0, v88, s13
	v_add_f32_e32 v80, v80, v77
	s_delay_alu instid0(VALU_DEP_3) | instskip(NEXT) | instid1(VALU_DEP_1)
	v_exp_f32_e32 v90, v90
	v_add_f32_e32 v88, v80, v78
	v_cndmask_b32_e64 v80, 0, v89, s15
	s_delay_alu instid0(VALU_DEP_2) | instskip(NEXT) | instid1(TRANS32_DEP_2)
	v_add_f32_e32 v89, v88, v79
	v_cndmask_b32_e64 v88, 0, v100, s16
	s_delay_alu instid0(VALU_DEP_2) | instskip(SKIP_3) | instid1(VALU_DEP_1)
	v_add_f32_e32 v100, v89, v80
	s_waitcnt_depctr 0xfff
	v_cndmask_b32_e64 v89, 0, v90, s17
	v_add_f32_e32 v90, v100, v88
	v_add_f32_e32 v100, v90, v89
	v_cndmask_b32_e64 v90, 0, v102, s18
	s_delay_alu instid0(VALU_DEP_1)
	v_add_f32_e32 v100, v100, v90
	ds_bpermute_b32 v101, v101, v100
	v_cmpx_gt_u32_e32 16, v74
	s_cbranch_execz .LBB767_14
; %bb.13:
	v_mul_u32_u24_e32 v74, 0x44, v75
	s_waitcnt lgkmcnt(0)
	v_add_f32_e32 v100, v100, v101
	s_delay_alu instid0(VALU_DEP_2) | instskip(NEXT) | instid1(VALU_DEP_1)
	v_lshl_add_u32 v74, v73, 2, v74
	v_add_nc_u32_e32 v74, 0x4000, v74
	ds_store_2addr_b32 v74, v91, v100 offset1:136
.LBB767_14:
	s_or_b32 exec_lo, exec_lo, s3
	v_lshlrev_b32_e32 v73, 2, v73
	s_waitcnt lgkmcnt(0)
	s_barrier
	buffer_gl0_inv
	v_cmp_eq_u32_e64 s3, 1, v75
	v_add_nc_u32_e32 v91, 0x4000, v73
	ds_load_2addr_b32 v[100:101], v91 offset1:17
	ds_load_2addr_b32 v[102:103], v91 offset0:34 offset1:51
	ds_load_2addr_b32 v[104:105], v91 offset0:68 offset1:85
	;; [unrolled: 1-line block ×4, first 2 shown]
	s_waitcnt lgkmcnt(4)
	v_max3_f32 v73, v100, 0xff7fffff, v101
	s_waitcnt lgkmcnt(3)
	s_delay_alu instid0(VALU_DEP_1) | instskip(SKIP_1) | instid1(VALU_DEP_1)
	v_max3_f32 v73, v73, v102, v103
	s_waitcnt lgkmcnt(2)
	v_max3_f32 v73, v73, v104, v105
	s_waitcnt lgkmcnt(1)
	s_delay_alu instid0(VALU_DEP_1) | instskip(NEXT) | instid1(VALU_DEP_1)
	v_max3_f32 v73, v73, v106, v107
	v_sub_f32_e32 v74, v100, v73
	v_sub_f32_e32 v102, v102, v73
	;; [unrolled: 1-line block ×3, first 2 shown]
	s_delay_alu instid0(VALU_DEP_3) | instskip(NEXT) | instid1(VALU_DEP_3)
	v_mul_f32_e32 v74, 0x3fb8aa3b, v74
	v_mul_f32_e32 v112, 0x3fb8aa3b, v102
	s_delay_alu instid0(VALU_DEP_3) | instskip(NEXT) | instid1(VALU_DEP_3)
	v_mul_f32_e32 v114, 0x3fb8aa3b, v104
	v_exp_f32_e32 v111, v74
	v_sub_f32_e32 v74, v103, v73
	v_sub_f32_e32 v110, v101, v73
	ds_load_2addr_b32 v[100:101], v91 offset0:170 offset1:187
	v_exp_f32_e32 v112, v112
	v_mul_f32_e32 v113, 0x3fb8aa3b, v74
	v_mul_f32_e32 v110, 0x3fb8aa3b, v110
	s_waitcnt lgkmcnt(1)
	v_fma_f32 v74, v111, v108, 0
	v_sub_f32_e32 v108, v105, v73
	s_delay_alu instid0(VALU_DEP_3) | instskip(SKIP_4) | instid1(VALU_DEP_1)
	v_exp_f32_e32 v110, v110
	v_exp_f32_e32 v113, v113
	s_waitcnt_depctr 0xfff
	v_fmac_f32_e32 v74, v110, v109
	s_waitcnt lgkmcnt(0)
	v_fmac_f32_e32 v74, v112, v100
	ds_load_2addr_b32 v[102:103], v91 offset0:204 offset1:221
	ds_load_2addr_b32 v[104:105], v91 offset0:238 offset1:255
	v_dual_sub_f32 v91, v106, v73 :: v_dual_mul_f32 v106, 0x3fb8aa3b, v108
	v_exp_f32_e32 v108, v114
	v_sub_f32_e32 v100, v107, v73
	s_delay_alu instid0(VALU_DEP_2) | instskip(NEXT) | instid1(VALU_DEP_3)
	v_dual_fmac_f32 v74, v113, v101 :: v_dual_mul_f32 v91, 0x3fb8aa3b, v91
	v_exp_f32_e32 v106, v106
	s_waitcnt lgkmcnt(0)
	s_delay_alu instid0(VALU_DEP_2)
	v_mul_f32_e32 v100, 0x3fb8aa3b, v100
	s_barrier
	v_exp_f32_e32 v91, v91
	buffer_gl0_inv
	v_exp_f32_e32 v100, v100
	v_fmac_f32_e32 v74, v108, v102
	s_delay_alu instid0(VALU_DEP_1) | instskip(NEXT) | instid1(VALU_DEP_1)
	v_fmac_f32_e32 v74, v106, v103
	v_fmac_f32_e32 v74, v91, v104
	s_waitcnt_depctr 0xfff
	v_fmac_f32_e32 v74, v100, v105
	s_delay_alu instid0(VALU_DEP_1) | instskip(NEXT) | instid1(VALU_DEP_1)
	v_add_f32_e32 v101, 0x358637bd, v74
	v_div_scale_f32 v102, null, v101, v101, 1.0
	v_div_scale_f32 v105, vcc_lo, 1.0, v101, 1.0
	s_delay_alu instid0(VALU_DEP_2) | instskip(SKIP_2) | instid1(VALU_DEP_1)
	v_rcp_f32_e32 v103, v102
	s_waitcnt_depctr 0xfff
	v_fma_f32 v104, -v102, v103, 1.0
	v_fmac_f32_e32 v103, v104, v103
	v_cndmask_b32_e64 v104, v111, v110, s3
	v_cmp_eq_u32_e64 s3, 2, v75
	s_delay_alu instid0(VALU_DEP_3) | instskip(NEXT) | instid1(VALU_DEP_2)
	v_mul_f32_e32 v107, v105, v103
	v_cndmask_b32_e64 v104, v104, v112, s3
	v_cmp_eq_u32_e64 s3, 3, v75
	s_delay_alu instid0(VALU_DEP_3) | instskip(NEXT) | instid1(VALU_DEP_2)
	v_fma_f32 v109, -v102, v107, v105
	v_cndmask_b32_e64 v104, v104, v113, s3
	v_cmp_eq_u32_e64 s3, 4, v75
	s_delay_alu instid0(VALU_DEP_3) | instskip(NEXT) | instid1(VALU_DEP_2)
	v_fmac_f32_e32 v107, v109, v103
	v_cndmask_b32_e64 v104, v104, v108, s3
	s_delay_alu instid0(VALU_DEP_2) | instskip(SKIP_1) | instid1(VALU_DEP_2)
	v_fma_f32 v102, -v102, v107, v105
	v_cmp_eq_u32_e64 s3, 5, v75
	v_div_fmas_f32 v102, v102, v103, v107
	s_delay_alu instid0(VALU_DEP_2) | instskip(SKIP_2) | instid1(VALU_DEP_3)
	v_cndmask_b32_e64 v104, v104, v106, s3
	v_cmp_eq_u32_e32 vcc_lo, 6, v75
	s_mov_b32 s3, exec_lo
	v_div_fixup_f32 v101, v102, v101, 1.0
	s_delay_alu instid0(VALU_DEP_3) | instskip(SKIP_1) | instid1(VALU_DEP_2)
	v_cndmask_b32_e32 v91, v104, v91, vcc_lo
	v_cmp_eq_u32_e32 vcc_lo, 7, v75
	v_cndmask_b32_e32 v91, v91, v100, vcc_lo
	s_delay_alu instid0(VALU_DEP_1) | instskip(NEXT) | instid1(VALU_DEP_1)
	v_mul_f32_e32 v91, v91, v101
	v_mul_f32_e32 v101, v91, v93
	v_mul_f32_e32 v93, v91, v99
	v_mul_f32_e32 v95, v91, v95
	v_mul_f32_e32 v98, v91, v98
	v_mul_f32_e32 v99, v91, v97
	v_dual_mul_f32 v97, v91, v94 :: v_dual_and_b32 v102, 0x7f800000, v101
	v_mul_f32_e32 v100, v91, v96
	v_mul_f32_e32 v96, v91, v92
                                        ; implicit-def: $vgpr92
	s_delay_alu instid0(VALU_DEP_3)
	v_cmpx_ne_u32_e32 0x7f800000, v102
	s_xor_b32 s3, exec_lo, s3
; %bb.15:
	v_bfe_u32 v92, v101, 16, 1
	s_delay_alu instid0(VALU_DEP_1)
	v_add3_u32 v92, v101, v92, 0x7fff
                                        ; implicit-def: $vgpr101
; %bb.16:
	s_and_not1_saveexec_b32 s3, s3
; %bb.17:
	v_and_b32_e32 v92, 0xffff, v101
	v_or_b32_e32 v94, 0x10000, v101
	s_delay_alu instid0(VALU_DEP_2) | instskip(NEXT) | instid1(VALU_DEP_2)
	v_cmp_eq_u32_e32 vcc_lo, 0, v92
	v_cndmask_b32_e32 v92, v94, v101, vcc_lo
; %bb.18:
	s_or_b32 exec_lo, exec_lo, s3
	v_and_b32_e32 v94, 0x7f800000, v96
	s_delay_alu instid0(VALU_DEP_1) | instskip(SKIP_1) | instid1(SALU_CYCLE_1)
	v_cmp_ne_u32_e32 vcc_lo, 0x7f800000, v94
                                        ; implicit-def: $vgpr94
	s_and_saveexec_b32 s3, vcc_lo
	s_xor_b32 s3, exec_lo, s3
; %bb.19:
	v_bfe_u32 v94, v96, 16, 1
	s_delay_alu instid0(VALU_DEP_1)
	v_add3_u32 v94, v96, v94, 0x7fff
                                        ; implicit-def: $vgpr96
; %bb.20:
	s_and_not1_saveexec_b32 s3, s3
; %bb.21:
	v_and_b32_e32 v94, 0xffff, v96
	v_or_b32_e32 v101, 0x10000, v96
	s_delay_alu instid0(VALU_DEP_2) | instskip(NEXT) | instid1(VALU_DEP_2)
	v_cmp_eq_u32_e32 vcc_lo, 0, v94
	v_cndmask_b32_e32 v94, v101, v96, vcc_lo
; %bb.22:
	s_or_b32 exec_lo, exec_lo, s3
	v_and_b32_e32 v96, 0x7f800000, v97
	s_delay_alu instid0(VALU_DEP_1) | instskip(SKIP_1) | instid1(SALU_CYCLE_1)
	v_cmp_ne_u32_e32 vcc_lo, 0x7f800000, v96
                                        ; implicit-def: $vgpr96
	s_and_saveexec_b32 s3, vcc_lo
	s_xor_b32 s3, exec_lo, s3
; %bb.23:
	v_bfe_u32 v96, v97, 16, 1
	s_delay_alu instid0(VALU_DEP_1)
	v_add3_u32 v96, v97, v96, 0x7fff
                                        ; implicit-def: $vgpr97
; %bb.24:
	s_and_not1_saveexec_b32 s3, s3
; %bb.25:
	v_and_b32_e32 v96, 0xffff, v97
	v_or_b32_e32 v101, 0x10000, v97
	s_delay_alu instid0(VALU_DEP_2) | instskip(NEXT) | instid1(VALU_DEP_2)
	v_cmp_eq_u32_e32 vcc_lo, 0, v96
	v_cndmask_b32_e32 v96, v101, v97, vcc_lo
; %bb.26:
	s_or_b32 exec_lo, exec_lo, s3
	v_and_b32_e32 v97, 0x7f800000, v100
	s_delay_alu instid0(VALU_DEP_1) | instskip(SKIP_1) | instid1(SALU_CYCLE_1)
	v_cmp_ne_u32_e32 vcc_lo, 0x7f800000, v97
                                        ; implicit-def: $vgpr97
	s_and_saveexec_b32 s3, vcc_lo
	s_xor_b32 s3, exec_lo, s3
; %bb.27:
	v_bfe_u32 v97, v100, 16, 1
	s_delay_alu instid0(VALU_DEP_1)
	v_add3_u32 v97, v100, v97, 0x7fff
                                        ; implicit-def: $vgpr100
; %bb.28:
	s_and_not1_saveexec_b32 s3, s3
; %bb.29:
	v_and_b32_e32 v97, 0xffff, v100
	v_or_b32_e32 v101, 0x10000, v100
	s_delay_alu instid0(VALU_DEP_2) | instskip(NEXT) | instid1(VALU_DEP_2)
	v_cmp_eq_u32_e32 vcc_lo, 0, v97
	v_cndmask_b32_e32 v97, v101, v100, vcc_lo
; %bb.30:
	s_or_b32 exec_lo, exec_lo, s3
	v_and_b32_e32 v100, 0x7f800000, v99
	s_delay_alu instid0(VALU_DEP_1) | instskip(SKIP_1) | instid1(SALU_CYCLE_1)
	v_cmp_ne_u32_e32 vcc_lo, 0x7f800000, v100
                                        ; implicit-def: $vgpr100
	s_and_saveexec_b32 s3, vcc_lo
	s_xor_b32 s3, exec_lo, s3
; %bb.31:
	v_bfe_u32 v100, v99, 16, 1
	s_delay_alu instid0(VALU_DEP_1)
	v_add3_u32 v100, v99, v100, 0x7fff
                                        ; implicit-def: $vgpr99
; %bb.32:
	s_and_not1_saveexec_b32 s3, s3
; %bb.33:
	v_and_b32_e32 v100, 0xffff, v99
	v_or_b32_e32 v101, 0x10000, v99
	s_delay_alu instid0(VALU_DEP_2) | instskip(NEXT) | instid1(VALU_DEP_2)
	v_cmp_eq_u32_e32 vcc_lo, 0, v100
	v_cndmask_b32_e32 v100, v101, v99, vcc_lo
; %bb.34:
	s_or_b32 exec_lo, exec_lo, s3
	v_and_b32_e32 v99, 0x7f800000, v98
	s_delay_alu instid0(VALU_DEP_1) | instskip(SKIP_1) | instid1(SALU_CYCLE_1)
	v_cmp_ne_u32_e32 vcc_lo, 0x7f800000, v99
                                        ; implicit-def: $vgpr99
	s_and_saveexec_b32 s3, vcc_lo
	s_xor_b32 s3, exec_lo, s3
; %bb.35:
	v_bfe_u32 v99, v98, 16, 1
	s_delay_alu instid0(VALU_DEP_1)
	v_add3_u32 v99, v98, v99, 0x7fff
                                        ; implicit-def: $vgpr98
; %bb.36:
	s_and_not1_saveexec_b32 s3, s3
; %bb.37:
	v_and_b32_e32 v99, 0xffff, v98
	v_or_b32_e32 v101, 0x10000, v98
	s_delay_alu instid0(VALU_DEP_2) | instskip(NEXT) | instid1(VALU_DEP_2)
	v_cmp_eq_u32_e32 vcc_lo, 0, v99
	v_cndmask_b32_e32 v99, v101, v98, vcc_lo
; %bb.38:
	s_or_b32 exec_lo, exec_lo, s3
	v_and_b32_e32 v98, 0x7f800000, v95
	s_delay_alu instid0(VALU_DEP_1) | instskip(SKIP_1) | instid1(SALU_CYCLE_1)
	v_cmp_ne_u32_e32 vcc_lo, 0x7f800000, v98
                                        ; implicit-def: $vgpr98
	s_and_saveexec_b32 s3, vcc_lo
	s_xor_b32 s3, exec_lo, s3
; %bb.39:
	v_bfe_u32 v98, v95, 16, 1
	s_delay_alu instid0(VALU_DEP_1)
	v_add3_u32 v98, v95, v98, 0x7fff
                                        ; implicit-def: $vgpr95
; %bb.40:
	s_and_not1_saveexec_b32 s3, s3
; %bb.41:
	v_and_b32_e32 v98, 0xffff, v95
	v_or_b32_e32 v101, 0x10000, v95
	s_delay_alu instid0(VALU_DEP_2) | instskip(NEXT) | instid1(VALU_DEP_2)
	v_cmp_eq_u32_e32 vcc_lo, 0, v98
	v_cndmask_b32_e32 v98, v101, v95, vcc_lo
; %bb.42:
	s_or_b32 exec_lo, exec_lo, s3
	v_and_b32_e32 v95, 0x7f800000, v93
	s_delay_alu instid0(VALU_DEP_1) | instskip(SKIP_1) | instid1(SALU_CYCLE_1)
	v_cmp_ne_u32_e32 vcc_lo, 0x7f800000, v95
                                        ; implicit-def: $vgpr95
	s_and_saveexec_b32 s3, vcc_lo
	s_xor_b32 s3, exec_lo, s3
; %bb.43:
	v_bfe_u32 v95, v93, 16, 1
	s_delay_alu instid0(VALU_DEP_1)
	v_add3_u32 v95, v93, v95, 0x7fff
                                        ; implicit-def: $vgpr93
; %bb.44:
	s_and_not1_saveexec_b32 s3, s3
; %bb.45:
	v_and_b32_e32 v95, 0xffff, v93
	v_or_b32_e32 v101, 0x10000, v93
	s_delay_alu instid0(VALU_DEP_2) | instskip(NEXT) | instid1(VALU_DEP_2)
	v_cmp_eq_u32_e32 vcc_lo, 0, v95
	v_cndmask_b32_e32 v95, v101, v93, vcc_lo
; %bb.46:
	s_or_b32 exec_lo, exec_lo, s3
	s_load_b64 s[34:35], s[0:1], 0x94
	v_lshlrev_b32_e32 v93, 4, v86
	s_delay_alu instid0(VALU_DEP_2)
	v_perm_b32 v101, v95, v98, 0x7060302
	v_dual_mul_f32 v90, v91, v90 :: v_dual_lshlrev_b32 v95, 11, v75
	v_perm_b32 v98, v94, v92, 0x7060302
	v_mul_f32_e32 v94, v91, v76
	v_perm_b32 v100, v99, v100, 0x7060302
	v_perm_b32 v99, v97, v96, 0x7060302
	v_or3_b32 v76, v93, v95, v87
	v_mul_f32_e32 v89, v91, v89
	v_dual_mul_f32 v88, v91, v88 :: v_dual_and_b32 v95, 0x7f800000, v94
	v_mul_f32_e32 v80, v91, v80
	v_mul_f32_e32 v92, v91, v79
	;; [unrolled: 1-line block ×4, first 2 shown]
	s_mov_b32 s3, exec_lo
	ds_store_b128 v76, v[98:101]
                                        ; implicit-def: $vgpr77
	v_cmpx_ne_u32_e32 0x7f800000, v95
	s_xor_b32 s3, exec_lo, s3
; %bb.47:
	v_bfe_u32 v77, v94, 16, 1
	s_delay_alu instid0(VALU_DEP_1)
	v_add3_u32 v77, v94, v77, 0x7fff
                                        ; implicit-def: $vgpr94
; %bb.48:
	s_and_not1_saveexec_b32 s3, s3
; %bb.49:
	v_and_b32_e32 v77, 0xffff, v94
	v_or_b32_e32 v78, 0x10000, v94
	s_delay_alu instid0(VALU_DEP_2) | instskip(NEXT) | instid1(VALU_DEP_2)
	v_cmp_eq_u32_e32 vcc_lo, 0, v77
	v_cndmask_b32_e32 v77, v78, v94, vcc_lo
; %bb.50:
	s_or_b32 exec_lo, exec_lo, s3
	v_and_b32_e32 v78, 0x7f800000, v79
	s_delay_alu instid0(VALU_DEP_1) | instskip(SKIP_1) | instid1(SALU_CYCLE_1)
	v_cmp_ne_u32_e32 vcc_lo, 0x7f800000, v78
                                        ; implicit-def: $vgpr78
	s_and_saveexec_b32 s3, vcc_lo
	s_xor_b32 s3, exec_lo, s3
; %bb.51:
	v_bfe_u32 v78, v79, 16, 1
	s_delay_alu instid0(VALU_DEP_1)
	v_add3_u32 v78, v79, v78, 0x7fff
                                        ; implicit-def: $vgpr79
; %bb.52:
	s_and_not1_saveexec_b32 s3, s3
; %bb.53:
	v_and_b32_e32 v78, 0xffff, v79
	v_or_b32_e32 v91, 0x10000, v79
	s_delay_alu instid0(VALU_DEP_2) | instskip(NEXT) | instid1(VALU_DEP_2)
	v_cmp_eq_u32_e32 vcc_lo, 0, v78
	v_cndmask_b32_e32 v78, v91, v79, vcc_lo
; %bb.54:
	s_or_b32 exec_lo, exec_lo, s3
	v_and_b32_e32 v79, 0x7f800000, v93
	s_delay_alu instid0(VALU_DEP_1) | instskip(SKIP_1) | instid1(SALU_CYCLE_1)
	v_cmp_ne_u32_e32 vcc_lo, 0x7f800000, v79
                                        ; implicit-def: $vgpr79
	s_and_saveexec_b32 s3, vcc_lo
	s_xor_b32 s3, exec_lo, s3
; %bb.55:
	v_bfe_u32 v79, v93, 16, 1
	s_delay_alu instid0(VALU_DEP_1)
	v_add3_u32 v79, v93, v79, 0x7fff
                                        ; implicit-def: $vgpr93
; %bb.56:
	s_and_not1_saveexec_b32 s3, s3
; %bb.57:
	v_and_b32_e32 v79, 0xffff, v93
	v_or_b32_e32 v91, 0x10000, v93
	s_delay_alu instid0(VALU_DEP_2) | instskip(NEXT) | instid1(VALU_DEP_2)
	v_cmp_eq_u32_e32 vcc_lo, 0, v79
	v_cndmask_b32_e32 v79, v91, v93, vcc_lo
; %bb.58:
	s_or_b32 exec_lo, exec_lo, s3
	v_and_b32_e32 v91, 0x7f800000, v92
	s_delay_alu instid0(VALU_DEP_1) | instskip(SKIP_1) | instid1(SALU_CYCLE_1)
	v_cmp_ne_u32_e32 vcc_lo, 0x7f800000, v91
                                        ; implicit-def: $vgpr91
	s_and_saveexec_b32 s3, vcc_lo
	s_xor_b32 s3, exec_lo, s3
; %bb.59:
	v_bfe_u32 v91, v92, 16, 1
	s_delay_alu instid0(VALU_DEP_1)
	v_add3_u32 v91, v92, v91, 0x7fff
                                        ; implicit-def: $vgpr92
; %bb.60:
	s_and_not1_saveexec_b32 s3, s3
; %bb.61:
	v_and_b32_e32 v91, 0xffff, v92
	v_or_b32_e32 v93, 0x10000, v92
	s_delay_alu instid0(VALU_DEP_2) | instskip(NEXT) | instid1(VALU_DEP_2)
	v_cmp_eq_u32_e32 vcc_lo, 0, v91
	v_cndmask_b32_e32 v91, v93, v92, vcc_lo
; %bb.62:
	s_or_b32 exec_lo, exec_lo, s3
	v_and_b32_e32 v92, 0x7f800000, v80
	s_delay_alu instid0(VALU_DEP_1) | instskip(SKIP_1) | instid1(SALU_CYCLE_1)
	v_cmp_ne_u32_e32 vcc_lo, 0x7f800000, v92
                                        ; implicit-def: $vgpr92
	s_and_saveexec_b32 s3, vcc_lo
	s_xor_b32 s3, exec_lo, s3
; %bb.63:
	v_bfe_u32 v92, v80, 16, 1
	s_delay_alu instid0(VALU_DEP_1)
	v_add3_u32 v92, v80, v92, 0x7fff
                                        ; implicit-def: $vgpr80
; %bb.64:
	s_and_not1_saveexec_b32 s3, s3
; %bb.65:
	v_and_b32_e32 v92, 0xffff, v80
	v_or_b32_e32 v93, 0x10000, v80
	s_delay_alu instid0(VALU_DEP_2) | instskip(NEXT) | instid1(VALU_DEP_2)
	v_cmp_eq_u32_e32 vcc_lo, 0, v92
	v_cndmask_b32_e32 v92, v93, v80, vcc_lo
; %bb.66:
	s_or_b32 exec_lo, exec_lo, s3
	v_and_b32_e32 v80, 0x7f800000, v88
	s_delay_alu instid0(VALU_DEP_1) | instskip(SKIP_1) | instid1(SALU_CYCLE_1)
	v_cmp_ne_u32_e32 vcc_lo, 0x7f800000, v80
                                        ; implicit-def: $vgpr80
	s_and_saveexec_b32 s3, vcc_lo
	s_xor_b32 s3, exec_lo, s3
; %bb.67:
	v_bfe_u32 v80, v88, 16, 1
	s_delay_alu instid0(VALU_DEP_1)
	v_add3_u32 v80, v88, v80, 0x7fff
                                        ; implicit-def: $vgpr88
; %bb.68:
	s_and_not1_saveexec_b32 s3, s3
; %bb.69:
	v_and_b32_e32 v80, 0xffff, v88
	v_or_b32_e32 v93, 0x10000, v88
	s_delay_alu instid0(VALU_DEP_2) | instskip(NEXT) | instid1(VALU_DEP_2)
	v_cmp_eq_u32_e32 vcc_lo, 0, v80
	v_cndmask_b32_e32 v80, v93, v88, vcc_lo
; %bb.70:
	s_or_b32 exec_lo, exec_lo, s3
	v_and_b32_e32 v88, 0x7f800000, v89
	s_delay_alu instid0(VALU_DEP_1) | instskip(SKIP_1) | instid1(SALU_CYCLE_1)
	v_cmp_ne_u32_e32 vcc_lo, 0x7f800000, v88
                                        ; implicit-def: $vgpr88
	s_and_saveexec_b32 s3, vcc_lo
	s_xor_b32 s3, exec_lo, s3
; %bb.71:
	v_bfe_u32 v88, v89, 16, 1
	s_delay_alu instid0(VALU_DEP_1)
	v_add3_u32 v88, v89, v88, 0x7fff
                                        ; implicit-def: $vgpr89
; %bb.72:
	s_and_not1_saveexec_b32 s3, s3
; %bb.73:
	v_and_b32_e32 v88, 0xffff, v89
	v_or_b32_e32 v93, 0x10000, v89
	s_delay_alu instid0(VALU_DEP_2) | instskip(NEXT) | instid1(VALU_DEP_2)
	v_cmp_eq_u32_e32 vcc_lo, 0, v88
	v_cndmask_b32_e32 v88, v93, v89, vcc_lo
; %bb.74:
	s_or_b32 exec_lo, exec_lo, s3
	v_and_b32_e32 v89, 0x7f800000, v90
	s_delay_alu instid0(VALU_DEP_1) | instskip(SKIP_1) | instid1(SALU_CYCLE_1)
	v_cmp_ne_u32_e32 vcc_lo, 0x7f800000, v89
                                        ; implicit-def: $vgpr89
	s_and_saveexec_b32 s3, vcc_lo
	s_xor_b32 s3, exec_lo, s3
; %bb.75:
	v_bfe_u32 v89, v90, 16, 1
	s_delay_alu instid0(VALU_DEP_1)
	v_add3_u32 v89, v90, v89, 0x7fff
                                        ; implicit-def: $vgpr90
; %bb.76:
	s_and_not1_saveexec_b32 s3, s3
; %bb.77:
	v_and_b32_e32 v89, 0xffff, v90
	v_or_b32_e32 v93, 0x10000, v90
	s_delay_alu instid0(VALU_DEP_2) | instskip(NEXT) | instid1(VALU_DEP_2)
	v_cmp_eq_u32_e32 vcc_lo, 0, v89
	v_cndmask_b32_e32 v89, v93, v90, vcc_lo
; %bb.78:
	s_or_b32 exec_lo, exec_lo, s3
	s_delay_alu instid0(VALU_DEP_1)
	v_perm_b32 v96, v89, v88, 0x7060302
	v_perm_b32 v95, v80, v92, 0x7060302
	;; [unrolled: 1-line block ×4, first 2 shown]
	v_lshl_or_b32 v92, v75, 11, v87
	v_lshlrev_b32_e32 v89, 2, v86
	ds_store_b128 v76, v[93:96] offset:1024
	s_waitcnt lgkmcnt(0)
	s_barrier
	buffer_gl0_inv
	ds_load_b128 v[77:80], v92
	ds_load_b128 v[93:96], v92 offset:16
	v_or_b32_e32 v90, 1, v89
	v_cmp_eq_u32_e32 vcc_lo, 1, v89
	v_cmp_eq_u32_e64 s4, 2, v89
	v_cmp_eq_u32_e64 s7, 3, v89
	;; [unrolled: 1-line block ×6, first 2 shown]
	v_or_b32_e32 v88, 2, v89
	v_cmp_eq_u32_e64 s10, 5, v89
	v_cmp_eq_u32_e64 s11, 4, v90
	;; [unrolled: 1-line block ×9, first 2 shown]
	s_waitcnt lgkmcnt(1)
	v_lshrrev_b32_e32 v75, 16, v77
	s_waitcnt lgkmcnt(0)
	v_lshrrev_b32_e32 v101, 16, v93
	v_lshrrev_b32_e32 v110, 16, v96
	;; [unrolled: 1-line block ×4, first 2 shown]
	v_cndmask_b32_e32 v91, v77, v75, vcc_lo
	v_cndmask_b32_e32 v97, v93, v101, vcc_lo
	v_cndmask_b32_e64 v98, v77, v75, s3
	v_lshrrev_b32_e32 v106, 16, v79
	v_lshrrev_b32_e32 v109, 16, v95
	v_cndmask_b32_e64 v91, v91, v78, s4
	v_cndmask_b32_e64 v97, v97, v94, s4
	v_cndmask_b32_e64 v98, v98, v78, s6
	v_cndmask_b32_e64 v99, v93, v101, s3
	v_lshrrev_b32_e32 v107, 16, v80
	v_cndmask_b32_e64 v91, v91, v105, s7
	v_cndmask_b32_e64 v97, v97, v108, s7
	;; [unrolled: 1-line block ×9, first 2 shown]
	v_cmp_eq_u32_e64 s19, 3, v88
	v_cndmask_b32_e64 v91, v91, v106, s10
	v_cndmask_b32_e64 v97, v97, v109, s10
	;; [unrolled: 1-line block ×4, first 2 shown]
	v_cmp_eq_u32_e64 s20, 4, v88
	v_cndmask_b32_e64 v91, v91, v80, s12
	v_cndmask_b32_e64 v97, v97, v96, s12
	;; [unrolled: 1-line block ×3, first 2 shown]
	v_cmp_eq_u32_e64 s22, 5, v88
	v_cmp_eq_u32_e64 s24, 6, v88
	v_cndmask_b32_e64 v111, v91, v107, s15
	v_cndmask_b32_e64 v112, v97, v110, s15
	;; [unrolled: 1-line block ×6, first 2 shown]
	v_cmp_eq_u32_e64 s27, 7, v88
	v_cndmask_b32_e64 v99, v91, v105, s19
	v_cndmask_b32_e64 v97, v97, v94, s17
	v_or_b32_e32 v91, 3, v89
	v_cndmask_b32_e64 v114, v98, v96, s16
	s_delay_alu instid0(VALU_DEP_4) | instskip(NEXT) | instid1(VALU_DEP_4)
	v_cndmask_b32_e64 v102, v99, v79, s20
	v_cndmask_b32_e64 v103, v97, v108, s19
	s_delay_alu instid0(VALU_DEP_4)
	v_cmp_eq_u32_e64 s21, 1, v91
	ds_load_b128 v[97:100], v92 offset:1024
	v_cmp_eq_u32_e64 s23, 2, v91
	v_cndmask_b32_e64 v115, v102, v106, s22
	v_cmp_eq_u32_e64 s25, 3, v91
	v_cndmask_b32_e64 v75, v77, v75, s21
	v_cndmask_b32_e64 v77, v103, v95, s20
	;; [unrolled: 1-line block ×3, first 2 shown]
	ds_load_b128 v[101:104], v92 offset:1040
	v_cmp_eq_u32_e64 s26, 4, v91
	v_cndmask_b32_e64 v75, v75, v78, s23
	v_cmp_eq_u32_e64 s28, 5, v91
	v_cndmask_b32_e64 v78, v93, v94, s23
	v_cndmask_b32_e64 v94, v115, v80, s24
	;; [unrolled: 1-line block ×4, first 2 shown]
	v_cmp_eq_u32_e64 s29, 6, v91
	v_cndmask_b32_e64 v78, v78, v108, s25
	v_cndmask_b32_e64 v93, v114, v110, s18
	;; [unrolled: 1-line block ×4, first 2 shown]
	s_waitcnt lgkmcnt(1)
	v_lshrrev_b32_e32 v105, 16, v97
	v_cndmask_b32_e64 v78, v78, v95, s26
	v_cndmask_b32_e64 v79, v94, v107, s27
	;; [unrolled: 1-line block ×4, first 2 shown]
	v_cndmask_b32_e32 v94, v97, v105, vcc_lo
	v_cndmask_b32_e64 v78, v78, v109, s28
	s_waitcnt lgkmcnt(0)
	v_lshrrev_b32_e32 v95, 16, v101
	v_lshrrev_b32_e32 v106, 16, v98
	v_cndmask_b32_e64 v108, v97, v105, s3
	v_cndmask_b32_e64 v94, v94, v98, s4
	;; [unrolled: 1-line block ×3, first 2 shown]
	v_cndmask_b32_e32 v109, v101, v95, vcc_lo
	v_cndmask_b32_e64 v78, v78, v96, s29
	v_cmp_eq_u32_e32 vcc_lo, 7, v91
	v_cndmask_b32_e64 v80, v94, v106, s7
	v_cndmask_b32_e64 v94, v108, v98, s6
	;; [unrolled: 1-line block ×3, first 2 shown]
	v_lshrrev_b32_e32 v108, 16, v102
	v_cndmask_b32_e32 v78, v78, v110, vcc_lo
	v_lshrrev_b32_e32 v110, 16, v103
	v_cndmask_b32_e64 v80, v80, v99, s9
	v_lshrrev_b32_e32 v109, 16, v99
	v_cndmask_b32_e64 v96, v96, v108, s7
	v_cndmask_b32_e32 v75, v75, v107, vcc_lo
	v_perm_b32 v79, v77, v79, 0x5040100
	v_cndmask_b32_e64 v94, v94, v106, s8
	v_cndmask_b32_e64 v107, v80, v109, s10
	;; [unrolled: 1-line block ×3, first 2 shown]
	v_perm_b32 v80, v78, v75, 0x5040100
	v_perm_b32 v78, v93, v113, 0x5040100
	v_cndmask_b32_e64 v113, v101, v95, s5
	v_cndmask_b32_e64 v94, v94, v99, s11
	;; [unrolled: 1-line block ×3, first 2 shown]
	s_delay_alu instid0(VALU_DEP_2) | instskip(NEXT) | instid1(VALU_DEP_2)
	v_cndmask_b32_e64 v75, v94, v109, s13
	v_cndmask_b32_e64 v77, v96, v104, s12
	;; [unrolled: 1-line block ×22, first 2 shown]
	v_lshrrev_b32_e32 v107, 16, v100
	v_cndmask_b32_e64 v96, v96, v109, s22
	v_cndmask_b32_e64 v97, v97, v109, s28
	;; [unrolled: 1-line block ×7, first 2 shown]
	v_lshrrev_b32_e32 v94, 16, v104
	v_cndmask_b32_e64 v96, v96, v100, s24
	v_cndmask_b32_e64 v97, v97, v100, s29
	v_cndmask_b32_e64 v98, v98, v104, s29
	v_cndmask_b32_e64 v99, v99, v104, s24
	v_cndmask_b32_e64 v95, v95, v104, s16
	v_cndmask_b32_e64 v75, v75, v107, s18
	v_cndmask_b32_e64 v100, v96, v107, s27
	v_dual_cndmask_b32 v96, v97, v107 :: v_dual_cndmask_b32 v97, v98, v94
	v_cndmask_b32_e64 v98, v99, v94, s27
	v_cndmask_b32_e64 v99, v95, v94, s18
	;; [unrolled: 1-line block ×3, first 2 shown]
	v_perm_b32 v77, v112, v111, 0x5040100
	v_perm_b32 v96, v97, v96, 0x5040100
	;; [unrolled: 1-line block ×5, first 2 shown]
	s_lshl_b32 s8, s35, 1
	s_mov_b32 s3, exec_lo
	ds_store_b128 v76, v[77:80]
	ds_store_b128 v76, v[93:96] offset:1024
	v_cmpx_gt_u32_e32 2, v0
	s_cbranch_execz .LBB767_80
; %bb.79:
	v_or_b32_e32 v75, s31, v0
	s_load_b128 s[4:7], s[0:1], 0x58
	s_delay_alu instid0(VALU_DEP_1) | instskip(NEXT) | instid1(VALU_DEP_1)
	v_mad_u64_u32 v[76:77], null, s8, s30, v[75:76]
	v_mad_u64_u32 v[77:78], null, v76, s34, s[14:15]
	s_delay_alu instid0(VALU_DEP_1) | instskip(NEXT) | instid1(VALU_DEP_1)
	v_ashrrev_i32_e32 v78, 31, v77
	v_lshlrev_b64 v[75:76], 2, v[77:78]
	s_waitcnt lgkmcnt(0)
	s_delay_alu instid0(VALU_DEP_1) | instskip(NEXT) | instid1(VALU_DEP_2)
	v_add_co_u32 v77, vcc_lo, s6, v75
	v_add_co_ci_u32_e32 v78, vcc_lo, s7, v76, vcc_lo
	v_add_co_u32 v75, vcc_lo, s4, v75
	v_add_co_ci_u32_e32 v76, vcc_lo, s5, v76, vcc_lo
	global_store_b32 v[77:78], v73, off
	global_store_b32 v[75:76], v74, off
.LBB767_80:
	s_or_b32 exec_lo, exec_lo, s3
	s_waitcnt lgkmcnt(0)
	s_waitcnt_vscnt null, 0x0
	s_barrier
	buffer_gl0_inv
	ds_load_b128 v[93:96], v87
	ds_load_b128 v[97:100], v87 offset:16
	ds_load_b128 v[105:108], v87 offset:1040
	;; [unrolled: 1-line block ×3, first 2 shown]
	v_mov_b32_e32 v73, 0
	ds_load_b128 v[113:116], v87 offset:2064
	ds_load_b128 v[109:112], v87 offset:2048
	;; [unrolled: 1-line block ×6, first 2 shown]
	v_mov_b32_e32 v74, v73
	v_mov_b32_e32 v75, v73
	;; [unrolled: 1-line block ×7, first 2 shown]
	s_waitcnt lgkmcnt(8)
	s_delay_alu instid0(VALU_DEP_1)
	v_wmma_f32_16x16x16_bf16 v[73:80], v[65:72], v[93:100], v[73:80]
	ds_load_b128 v[69:72], v87 offset:5136
	ds_load_b128 v[65:68], v87 offset:5120
	;; [unrolled: 1-line block ×4, first 2 shown]
	s_waitcnt lgkmcnt(10)
	v_wmma_f32_16x16x16_bf16 v[73:80], v[57:64], v[101:108], v[73:80]
	s_waitcnt lgkmcnt(8)
	s_delay_alu instid0(VALU_DEP_1)
	v_wmma_f32_16x16x16_bf16 v[73:80], v[57:64], v[109:116], v[73:80]
	ds_load_b128 v[61:64], v87 offset:7184
	ds_load_b128 v[57:60], v87 offset:7168
	;; [unrolled: 1-line block ×4, first 2 shown]
	s_waitcnt lgkmcnt(10)
	v_wmma_f32_16x16x16_bf16 v[73:80], v[49:56], v[117:124], v[73:80]
	s_waitcnt lgkmcnt(8)
	s_delay_alu instid0(VALU_DEP_1)
	v_wmma_f32_16x16x16_bf16 v[73:80], v[49:56], v[125:132], v[73:80]
	ds_load_b128 v[53:56], v87 offset:9232
	ds_load_b128 v[49:52], v87 offset:9216
	s_waitcnt lgkmcnt(8)
	v_wmma_f32_16x16x16_bf16 v[73:80], v[41:48], v[65:72], v[73:80]
	ds_load_b128 v[69:72], v87 offset:10256
	ds_load_b128 v[65:68], v87 offset:10240
	s_waitcnt lgkmcnt(8)
	;; [unrolled: 4-line block ×3, first 2 shown]
	v_wmma_f32_16x16x16_bf16 v[73:80], v[9:16], v[57:64], v[73:80]
	s_waitcnt lgkmcnt(6)
	s_delay_alu instid0(VALU_DEP_1)
	v_wmma_f32_16x16x16_bf16 v[73:80], v[9:16], v[101:108], v[73:80]
	ds_load_b128 v[13:16], v87 offset:12304
	ds_load_b128 v[9:12], v87 offset:12288
	s_waitcnt lgkmcnt(6)
	v_wmma_f32_16x16x16_bf16 v[73:80], v[1:8], v[49:56], v[73:80]
	ds_load_b128 v[53:56], v87 offset:13328
	ds_load_b128 v[49:52], v87 offset:13312
	s_waitcnt lgkmcnt(6)
	;; [unrolled: 4-line block ×4, first 2 shown]
	v_wmma_f32_16x16x16_bf16 v[73:80], v[33:40], v[9:16], v[73:80]
	s_waitcnt lgkmcnt(4)
	s_delay_alu instid0(VALU_DEP_1) | instskip(SKIP_1) | instid1(VALU_DEP_1)
	v_wmma_f32_16x16x16_bf16 v[73:80], v[25:32], v[49:56], v[73:80]
	s_waitcnt lgkmcnt(2)
	v_wmma_f32_16x16x16_bf16 v[73:80], v[25:32], v[1:8], v[73:80]
	s_waitcnt lgkmcnt(0)
	s_delay_alu instid0(VALU_DEP_1) | instskip(NEXT) | instid1(VALU_DEP_1)
	v_wmma_f32_16x16x16_bf16 v[73:80], v[17:24], v[41:48], v[73:80]
	v_and_b32_e32 v1, 0x7f800000, v73
	s_delay_alu instid0(VALU_DEP_1) | instskip(SKIP_1) | instid1(SALU_CYCLE_1)
	v_cmp_ne_u32_e32 vcc_lo, 0x7f800000, v1
                                        ; implicit-def: $vgpr1
	s_and_saveexec_b32 s3, vcc_lo
	s_xor_b32 s3, exec_lo, s3
; %bb.81:
	v_bfe_u32 v1, v73, 16, 1
	s_delay_alu instid0(VALU_DEP_1)
	v_add3_u32 v1, v73, v1, 0x7fff
; %bb.82:
	s_and_not1_saveexec_b32 s3, s3
; %bb.83:
	v_and_b32_e32 v1, 0xffff, v73
	v_or_b32_e32 v2, 0x10000, v73
	s_delay_alu instid0(VALU_DEP_2) | instskip(NEXT) | instid1(VALU_DEP_2)
	v_cmp_eq_u32_e32 vcc_lo, 0, v1
	v_cndmask_b32_e32 v1, v2, v73, vcc_lo
; %bb.84:
	s_or_b32 exec_lo, exec_lo, s3
	v_and_b32_e32 v2, 0x7f800000, v74
	s_delay_alu instid0(VALU_DEP_1) | instskip(SKIP_1) | instid1(SALU_CYCLE_1)
	v_cmp_ne_u32_e32 vcc_lo, 0x7f800000, v2
                                        ; implicit-def: $vgpr2
	s_and_saveexec_b32 s3, vcc_lo
	s_xor_b32 s3, exec_lo, s3
; %bb.85:
	v_bfe_u32 v2, v74, 16, 1
	s_delay_alu instid0(VALU_DEP_1)
	v_add3_u32 v2, v74, v2, 0x7fff
; %bb.86:
	s_and_not1_saveexec_b32 s3, s3
; %bb.87:
	v_and_b32_e32 v2, 0xffff, v74
	v_or_b32_e32 v3, 0x10000, v74
	s_delay_alu instid0(VALU_DEP_2) | instskip(NEXT) | instid1(VALU_DEP_2)
	v_cmp_eq_u32_e32 vcc_lo, 0, v2
	v_cndmask_b32_e32 v2, v3, v74, vcc_lo
; %bb.88:
	s_or_b32 exec_lo, exec_lo, s3
	v_and_b32_e32 v3, 0x7f800000, v75
	s_delay_alu instid0(VALU_DEP_1) | instskip(SKIP_1) | instid1(SALU_CYCLE_1)
	v_cmp_ne_u32_e32 vcc_lo, 0x7f800000, v3
                                        ; implicit-def: $vgpr3
	s_and_saveexec_b32 s3, vcc_lo
	s_xor_b32 s3, exec_lo, s3
; %bb.89:
	v_bfe_u32 v3, v75, 16, 1
	s_delay_alu instid0(VALU_DEP_1)
	v_add3_u32 v3, v75, v3, 0x7fff
; %bb.90:
	s_and_not1_saveexec_b32 s3, s3
; %bb.91:
	v_and_b32_e32 v3, 0xffff, v75
	v_or_b32_e32 v4, 0x10000, v75
	s_delay_alu instid0(VALU_DEP_2) | instskip(NEXT) | instid1(VALU_DEP_2)
	v_cmp_eq_u32_e32 vcc_lo, 0, v3
	v_cndmask_b32_e32 v3, v4, v75, vcc_lo
; %bb.92:
	s_or_b32 exec_lo, exec_lo, s3
	v_and_b32_e32 v4, 0x7f800000, v76
	s_delay_alu instid0(VALU_DEP_1) | instskip(SKIP_1) | instid1(SALU_CYCLE_1)
	v_cmp_ne_u32_e32 vcc_lo, 0x7f800000, v4
                                        ; implicit-def: $vgpr4
	s_and_saveexec_b32 s3, vcc_lo
	s_xor_b32 s3, exec_lo, s3
; %bb.93:
	v_bfe_u32 v4, v76, 16, 1
	s_delay_alu instid0(VALU_DEP_1)
	v_add3_u32 v4, v76, v4, 0x7fff
; %bb.94:
	s_and_not1_saveexec_b32 s3, s3
; %bb.95:
	v_and_b32_e32 v4, 0xffff, v76
	v_or_b32_e32 v5, 0x10000, v76
	s_delay_alu instid0(VALU_DEP_2) | instskip(NEXT) | instid1(VALU_DEP_2)
	v_cmp_eq_u32_e32 vcc_lo, 0, v4
	v_cndmask_b32_e32 v4, v5, v76, vcc_lo
; %bb.96:
	s_or_b32 exec_lo, exec_lo, s3
	v_and_b32_e32 v5, 0x7f800000, v77
	s_delay_alu instid0(VALU_DEP_1) | instskip(SKIP_1) | instid1(SALU_CYCLE_1)
	v_cmp_ne_u32_e32 vcc_lo, 0x7f800000, v5
                                        ; implicit-def: $vgpr5
	s_and_saveexec_b32 s3, vcc_lo
	s_xor_b32 s3, exec_lo, s3
; %bb.97:
	v_bfe_u32 v5, v77, 16, 1
	s_delay_alu instid0(VALU_DEP_1)
	v_add3_u32 v5, v77, v5, 0x7fff
; %bb.98:
	s_and_not1_saveexec_b32 s3, s3
; %bb.99:
	v_and_b32_e32 v5, 0xffff, v77
	v_or_b32_e32 v6, 0x10000, v77
	s_delay_alu instid0(VALU_DEP_2) | instskip(NEXT) | instid1(VALU_DEP_2)
	v_cmp_eq_u32_e32 vcc_lo, 0, v5
	v_cndmask_b32_e32 v5, v6, v77, vcc_lo
; %bb.100:
	s_or_b32 exec_lo, exec_lo, s3
	v_and_b32_e32 v6, 0x7f800000, v78
	s_delay_alu instid0(VALU_DEP_1) | instskip(SKIP_1) | instid1(SALU_CYCLE_1)
	v_cmp_ne_u32_e32 vcc_lo, 0x7f800000, v6
                                        ; implicit-def: $vgpr6
	s_and_saveexec_b32 s3, vcc_lo
	s_xor_b32 s3, exec_lo, s3
; %bb.101:
	v_bfe_u32 v6, v78, 16, 1
	s_delay_alu instid0(VALU_DEP_1)
	v_add3_u32 v6, v78, v6, 0x7fff
; %bb.102:
	s_and_not1_saveexec_b32 s3, s3
; %bb.103:
	v_and_b32_e32 v6, 0xffff, v78
	v_or_b32_e32 v7, 0x10000, v78
	s_delay_alu instid0(VALU_DEP_2) | instskip(NEXT) | instid1(VALU_DEP_2)
	v_cmp_eq_u32_e32 vcc_lo, 0, v6
	v_cndmask_b32_e32 v6, v7, v78, vcc_lo
; %bb.104:
	s_or_b32 exec_lo, exec_lo, s3
	v_and_b32_e32 v7, 0x7f800000, v79
	s_delay_alu instid0(VALU_DEP_1) | instskip(SKIP_1) | instid1(SALU_CYCLE_1)
	v_cmp_ne_u32_e32 vcc_lo, 0x7f800000, v7
                                        ; implicit-def: $vgpr7
	s_and_saveexec_b32 s3, vcc_lo
	s_xor_b32 s3, exec_lo, s3
; %bb.105:
	v_bfe_u32 v7, v79, 16, 1
	s_delay_alu instid0(VALU_DEP_1)
	v_add3_u32 v7, v79, v7, 0x7fff
; %bb.106:
	s_and_not1_saveexec_b32 s3, s3
; %bb.107:
	v_and_b32_e32 v7, 0xffff, v79
	v_or_b32_e32 v8, 0x10000, v79
	s_delay_alu instid0(VALU_DEP_2) | instskip(NEXT) | instid1(VALU_DEP_2)
	v_cmp_eq_u32_e32 vcc_lo, 0, v7
	v_cndmask_b32_e32 v7, v8, v79, vcc_lo
; %bb.108:
	s_or_b32 exec_lo, exec_lo, s3
	v_and_b32_e32 v8, 0x7f800000, v80
	s_delay_alu instid0(VALU_DEP_1) | instskip(SKIP_1) | instid1(SALU_CYCLE_1)
	v_cmp_ne_u32_e32 vcc_lo, 0x7f800000, v8
                                        ; implicit-def: $vgpr8
	s_and_saveexec_b32 s3, vcc_lo
	s_xor_b32 s3, exec_lo, s3
; %bb.109:
	v_bfe_u32 v8, v80, 16, 1
	s_delay_alu instid0(VALU_DEP_1)
	v_add3_u32 v8, v80, v8, 0x7fff
                                        ; implicit-def: $vgpr73_vgpr74_vgpr75_vgpr76_vgpr77_vgpr78_vgpr79_vgpr80
; %bb.110:
	s_and_not1_saveexec_b32 s3, s3
; %bb.111:
	v_and_b32_e32 v8, 0xffff, v80
	v_or_b32_e32 v9, 0x10000, v80
	s_delay_alu instid0(VALU_DEP_2) | instskip(NEXT) | instid1(VALU_DEP_2)
	v_cmp_eq_u32_e32 vcc_lo, 0, v8
	v_cndmask_b32_e32 v8, v9, v80, vcc_lo
; %bb.112:
	s_or_b32 exec_lo, exec_lo, s3
	s_delay_alu instid0(VALU_DEP_1)
	v_perm_b32 v7, v8, v7, 0x7060302
	v_perm_b32 v6, v6, v5, 0x7060302
	v_perm_b32 v5, v4, v3, 0x7060302
	v_perm_b32 v4, v2, v1, 0x7060302
	v_lshl_or_b32 v9, v86, 4, v92
	s_barrier
	buffer_gl0_inv
	v_cmp_eq_u32_e32 vcc_lo, 1, v89
	ds_store_b128 v9, v[4:7]
	s_waitcnt lgkmcnt(0)
	s_barrier
	buffer_gl0_inv
	ds_load_b128 v[1:4], v92
	ds_load_b128 v[5:8], v92 offset:16
	v_cmp_eq_u32_e64 s4, 2, v89
	v_cmp_eq_u32_e64 s3, 1, v90
	;; [unrolled: 1-line block ×5, first 2 shown]
	s_waitcnt lgkmcnt(1)
	v_lshrrev_b32_e32 v10, 16, v1
	s_waitcnt lgkmcnt(0)
	v_lshrrev_b32_e32 v14, 16, v5
	v_lshrrev_b32_e32 v15, 16, v6
	;; [unrolled: 1-line block ×4, first 2 shown]
	v_cndmask_b32_e64 v20, v1, v10, s3
	v_cndmask_b32_e32 v19, v5, v14, vcc_lo
	v_cndmask_b32_e64 v21, v5, v14, s3
	v_lshrrev_b32_e32 v16, 16, v7
	v_cmp_eq_u32_e64 s3, 1, v88
	v_lshrrev_b32_e32 v13, 16, v4
	v_cndmask_b32_e64 v19, v19, v6, s4
	v_lshrrev_b32_e32 v17, 16, v8
	s_delay_alu instid0(VALU_DEP_4) | instskip(SKIP_1) | instid1(VALU_DEP_4)
	v_cndmask_b32_e64 v22, v1, v10, s3
	v_cndmask_b32_e64 v23, v5, v14, s3
	;; [unrolled: 1-line block ×3, first 2 shown]
	v_cndmask_b32_e32 v18, v1, v10, vcc_lo
	v_cmp_eq_u32_e32 vcc_lo, 2, v90
	v_cmp_eq_u32_e64 s3, 2, v91
	v_cndmask_b32_e64 v22, v22, v2, s7
	v_cndmask_b32_e32 v20, v20, v2, vcc_lo
	v_cndmask_b32_e32 v21, v21, v6, vcc_lo
	v_cmp_eq_u32_e32 vcc_lo, 4, v89
	v_cndmask_b32_e32 v19, v19, v7, vcc_lo
	v_cndmask_b32_e64 v18, v18, v2, s4
	v_cmp_eq_u32_e64 s4, 3, v90
	s_delay_alu instid0(VALU_DEP_2) | instskip(NEXT) | instid1(VALU_DEP_2)
	v_cndmask_b32_e64 v18, v18, v11, s5
	v_cndmask_b32_e64 v21, v21, v15, s4
	v_cmp_eq_u32_e64 s5, 5, v89
	s_delay_alu instid0(VALU_DEP_3) | instskip(SKIP_1) | instid1(VALU_DEP_3)
	v_cndmask_b32_e32 v18, v18, v3, vcc_lo
	v_cmp_eq_u32_e32 vcc_lo, 4, v90
	v_cndmask_b32_e64 v19, v19, v16, s5
	s_delay_alu instid0(VALU_DEP_3) | instskip(SKIP_4) | instid1(VALU_DEP_3)
	v_cndmask_b32_e64 v18, v18, v12, s5
	v_cndmask_b32_e32 v21, v21, v7, vcc_lo
	v_cndmask_b32_e64 v20, v20, v11, s4
	v_cmp_eq_u32_e64 s4, 5, v90
	v_cmp_eq_u32_e64 s5, 6, v89
	v_cndmask_b32_e32 v20, v20, v3, vcc_lo
	s_delay_alu instid0(VALU_DEP_3) | instskip(SKIP_1) | instid1(VALU_DEP_4)
	v_cndmask_b32_e64 v21, v21, v16, s4
	v_cmp_eq_u32_e32 vcc_lo, 6, v90
	v_cndmask_b32_e64 v18, v18, v4, s5
	v_cndmask_b32_e64 v19, v19, v8, s5
	;; [unrolled: 1-line block ×3, first 2 shown]
	v_cmp_eq_u32_e64 s4, 1, v91
	v_cmp_eq_u32_e64 s5, 7, v89
	s_delay_alu instid0(VALU_DEP_3) | instskip(NEXT) | instid1(VALU_DEP_3)
	v_cndmask_b32_e32 v20, v20, v4, vcc_lo
	v_cndmask_b32_e64 v1, v1, v10, s4
	v_cndmask_b32_e64 v5, v5, v14, s4
	v_cmp_eq_u32_e64 s4, 3, v88
	v_cndmask_b32_e64 v14, v23, v6, s7
	v_cmp_eq_u32_e64 s7, 3, v91
	v_cndmask_b32_e64 v1, v1, v2, s3
	v_cndmask_b32_e64 v2, v5, v6, s3
	;; [unrolled: 1-line block ×3, first 2 shown]
	v_cmp_eq_u32_e64 s3, 4, v88
	v_cndmask_b32_e64 v6, v14, v15, s4
	v_cndmask_b32_e64 v1, v1, v11, s7
	v_cmp_eq_u32_e64 s4, 4, v91
	v_cndmask_b32_e64 v2, v2, v15, s7
	v_cndmask_b32_e64 v5, v10, v3, s3
	;; [unrolled: 3-line block ×3, first 2 shown]
	v_cndmask_b32_e64 v2, v2, v7, s4
	v_cmp_eq_u32_e64 s3, 5, v91
	v_cndmask_b32_e64 v5, v5, v12, s7
	v_cmp_eq_u32_e64 s4, 6, v88
	;; [unrolled: 2-line block ×3, first 2 shown]
	v_cndmask_b32_e64 v1, v1, v12, s3
	v_cndmask_b32_e64 v2, v2, v16, s3
	;; [unrolled: 1-line block ×4, first 2 shown]
	v_cmp_eq_u32_e64 s3, 7, v91
	v_cndmask_b32_e64 v1, v1, v4, s7
	v_cndmask_b32_e64 v2, v2, v8, s7
	v_cmp_eq_u32_e64 s4, 7, v88
	v_cndmask_b32_e32 v4, v21, v8, vcc_lo
	v_cndmask_b32_e64 v18, v18, v13, s5
	v_cndmask_b32_e64 v20, v20, v13, s6
	;; [unrolled: 1-line block ×8, first 2 shown]
	s_delay_alu instid0(VALU_DEP_4) | instskip(NEXT) | instid1(VALU_DEP_4)
	v_perm_b32 v4, v2, v1, 0x5040100
	v_perm_b32 v3, v3, v5, 0x5040100
	s_delay_alu instid0(VALU_DEP_4) | instskip(NEXT) | instid1(VALU_DEP_4)
	v_perm_b32 v2, v6, v20, 0x5040100
	v_perm_b32 v1, v7, v18, 0x5040100
	ds_store_b128 v9, v[1:4]
	s_waitcnt lgkmcnt(0)
	s_barrier
	buffer_gl0_inv
	s_and_saveexec_b32 s3, s2
	s_cbranch_execz .LBB767_2
; %bb.113:
	s_load_b64 s[0:1], s[0:1], 0x68
	v_lshlrev_b32_e32 v0, 10, v0
	s_lshl_b32 s2, s34, 7
	v_lshlrev_b32_e32 v1, 4, v85
	v_mul_lo_u32 v4, s2, v84
	s_mul_i32 s3, s2, s30
	v_and_b32_e32 v0, 0x3800, v0
	s_mul_i32 s2, s3, s8
	s_delay_alu instid0(SALU_CYCLE_1) | instskip(NEXT) | instid1(VALU_DEP_1)
	s_ashr_i32 s3, s2, 31
	v_or3_b32 v0, v0, v83, v1
	s_lshl_b64 s[2:3], s[2:3], 1
	s_delay_alu instid0(VALU_DEP_3)
	v_ashrrev_i32_e32 v5, 31, v4
	ds_load_b128 v[0:3], v0
	v_lshlrev_b64 v[4:5], 1, v[4:5]
	s_waitcnt lgkmcnt(0)
	s_add_u32 s2, s0, s2
	s_addc_u32 s3, s1, s3
	s_lshl_b32 s0, s14, 7
	s_delay_alu instid0(SALU_CYCLE_1) | instskip(NEXT) | instid1(SALU_CYCLE_1)
	s_ashr_i32 s1, s0, 31
	s_lshl_b64 s[0:1], s[0:1], 1
	s_delay_alu instid0(SALU_CYCLE_1) | instskip(SKIP_3) | instid1(VALU_DEP_2)
	s_add_u32 s0, s2, s0
	s_addc_u32 s1, s3, s1
	v_add_co_u32 v4, vcc_lo, s0, v4
	v_add_co_ci_u32_e32 v5, vcc_lo, s1, v5, vcc_lo
	v_add_co_u32 v4, vcc_lo, v4, v81
	s_delay_alu instid0(VALU_DEP_2)
	v_add_co_ci_u32_e32 v5, vcc_lo, v5, v82, vcc_lo
	global_store_b128 v[4:5], v[0:3], off
	s_nop 0
	s_sendmsg sendmsg(MSG_DEALLOC_VGPRS)
	s_endpgm
	.section	.rodata,"a",@progbits
	.p2align	6, 0x0
	.amdhsa_kernel _Z39paged_attention_ll4mi_QKV_mfma16_kernelI14__hip_bfloat16S0_LN4vllm18Fp8KVCacheDataTypeE0ES0_Li32ELi128ELi256ELb0ELi2EL8MFMAType0EEvPKT_PKT0_S9_ifPKiSB_SB_iPKfiiiPfSE_PS4_PT2_iSD_SD_
		.amdhsa_group_segment_fixed_size 17472
		.amdhsa_private_segment_fixed_size 0
		.amdhsa_kernarg_size 400
		.amdhsa_user_sgpr_count 13
		.amdhsa_user_sgpr_dispatch_ptr 0
		.amdhsa_user_sgpr_queue_ptr 0
		.amdhsa_user_sgpr_kernarg_segment_ptr 1
		.amdhsa_user_sgpr_dispatch_id 0
		.amdhsa_user_sgpr_private_segment_size 0
		.amdhsa_wavefront_size32 1
		.amdhsa_uses_dynamic_stack 0
		.amdhsa_enable_private_segment 0
		.amdhsa_system_sgpr_workgroup_id_x 1
		.amdhsa_system_sgpr_workgroup_id_y 1
		.amdhsa_system_sgpr_workgroup_id_z 1
		.amdhsa_system_sgpr_workgroup_info 0
		.amdhsa_system_vgpr_workitem_id 0
		.amdhsa_next_free_vgpr 145
		.amdhsa_next_free_sgpr 38
		.amdhsa_reserve_vcc 1
		.amdhsa_float_round_mode_32 0
		.amdhsa_float_round_mode_16_64 0
		.amdhsa_float_denorm_mode_32 3
		.amdhsa_float_denorm_mode_16_64 3
		.amdhsa_dx10_clamp 1
		.amdhsa_ieee_mode 1
		.amdhsa_fp16_overflow 0
		.amdhsa_workgroup_processor_mode 1
		.amdhsa_memory_ordered 1
		.amdhsa_forward_progress 0
		.amdhsa_shared_vgpr_count 0
		.amdhsa_exception_fp_ieee_invalid_op 0
		.amdhsa_exception_fp_denorm_src 0
		.amdhsa_exception_fp_ieee_div_zero 0
		.amdhsa_exception_fp_ieee_overflow 0
		.amdhsa_exception_fp_ieee_underflow 0
		.amdhsa_exception_fp_ieee_inexact 0
		.amdhsa_exception_int_div_zero 0
	.end_amdhsa_kernel
	.section	.text._Z39paged_attention_ll4mi_QKV_mfma16_kernelI14__hip_bfloat16S0_LN4vllm18Fp8KVCacheDataTypeE0ES0_Li32ELi128ELi256ELb0ELi2EL8MFMAType0EEvPKT_PKT0_S9_ifPKiSB_SB_iPKfiiiPfSE_PS4_PT2_iSD_SD_,"axG",@progbits,_Z39paged_attention_ll4mi_QKV_mfma16_kernelI14__hip_bfloat16S0_LN4vllm18Fp8KVCacheDataTypeE0ES0_Li32ELi128ELi256ELb0ELi2EL8MFMAType0EEvPKT_PKT0_S9_ifPKiSB_SB_iPKfiiiPfSE_PS4_PT2_iSD_SD_,comdat
.Lfunc_end767:
	.size	_Z39paged_attention_ll4mi_QKV_mfma16_kernelI14__hip_bfloat16S0_LN4vllm18Fp8KVCacheDataTypeE0ES0_Li32ELi128ELi256ELb0ELi2EL8MFMAType0EEvPKT_PKT0_S9_ifPKiSB_SB_iPKfiiiPfSE_PS4_PT2_iSD_SD_, .Lfunc_end767-_Z39paged_attention_ll4mi_QKV_mfma16_kernelI14__hip_bfloat16S0_LN4vllm18Fp8KVCacheDataTypeE0ES0_Li32ELi128ELi256ELb0ELi2EL8MFMAType0EEvPKT_PKT0_S9_ifPKiSB_SB_iPKfiiiPfSE_PS4_PT2_iSD_SD_
                                        ; -- End function
	.section	.AMDGPU.csdata,"",@progbits
; Kernel info:
; codeLenInByte = 9548
; NumSgprs: 40
; NumVgprs: 145
; ScratchSize: 0
; MemoryBound: 0
; FloatMode: 240
; IeeeMode: 1
; LDSByteSize: 17472 bytes/workgroup (compile time only)
; SGPRBlocks: 4
; VGPRBlocks: 18
; NumSGPRsForWavesPerEU: 40
; NumVGPRsForWavesPerEU: 145
; Occupancy: 9
; WaveLimiterHint : 1
; COMPUTE_PGM_RSRC2:SCRATCH_EN: 0
; COMPUTE_PGM_RSRC2:USER_SGPR: 13
; COMPUTE_PGM_RSRC2:TRAP_HANDLER: 0
; COMPUTE_PGM_RSRC2:TGID_X_EN: 1
; COMPUTE_PGM_RSRC2:TGID_Y_EN: 1
; COMPUTE_PGM_RSRC2:TGID_Z_EN: 1
; COMPUTE_PGM_RSRC2:TIDIG_COMP_CNT: 0
	.section	.text._Z39paged_attention_ll4mi_QKV_mfma16_kernelI14__hip_bfloat16S0_LN4vllm18Fp8KVCacheDataTypeE0ES0_Li32ELi128ELi256ELb0ELi3EL8MFMAType0EEvPKT_PKT0_S9_ifPKiSB_SB_iPKfiiiPfSE_PS4_PT2_iSD_SD_,"axG",@progbits,_Z39paged_attention_ll4mi_QKV_mfma16_kernelI14__hip_bfloat16S0_LN4vllm18Fp8KVCacheDataTypeE0ES0_Li32ELi128ELi256ELb0ELi3EL8MFMAType0EEvPKT_PKT0_S9_ifPKiSB_SB_iPKfiiiPfSE_PS4_PT2_iSD_SD_,comdat
	.protected	_Z39paged_attention_ll4mi_QKV_mfma16_kernelI14__hip_bfloat16S0_LN4vllm18Fp8KVCacheDataTypeE0ES0_Li32ELi128ELi256ELb0ELi3EL8MFMAType0EEvPKT_PKT0_S9_ifPKiSB_SB_iPKfiiiPfSE_PS4_PT2_iSD_SD_ ; -- Begin function _Z39paged_attention_ll4mi_QKV_mfma16_kernelI14__hip_bfloat16S0_LN4vllm18Fp8KVCacheDataTypeE0ES0_Li32ELi128ELi256ELb0ELi3EL8MFMAType0EEvPKT_PKT0_S9_ifPKiSB_SB_iPKfiiiPfSE_PS4_PT2_iSD_SD_
	.globl	_Z39paged_attention_ll4mi_QKV_mfma16_kernelI14__hip_bfloat16S0_LN4vllm18Fp8KVCacheDataTypeE0ES0_Li32ELi128ELi256ELb0ELi3EL8MFMAType0EEvPKT_PKT0_S9_ifPKiSB_SB_iPKfiiiPfSE_PS4_PT2_iSD_SD_
	.p2align	8
	.type	_Z39paged_attention_ll4mi_QKV_mfma16_kernelI14__hip_bfloat16S0_LN4vllm18Fp8KVCacheDataTypeE0ES0_Li32ELi128ELi256ELb0ELi3EL8MFMAType0EEvPKT_PKT0_S9_ifPKiSB_SB_iPKfiiiPfSE_PS4_PT2_iSD_SD_,@function
_Z39paged_attention_ll4mi_QKV_mfma16_kernelI14__hip_bfloat16S0_LN4vllm18Fp8KVCacheDataTypeE0ES0_Li32ELi128ELi256ELb0ELi3EL8MFMAType0EEvPKT_PKT0_S9_ifPKiSB_SB_iPKfiiiPfSE_PS4_PT2_iSD_SD_: ; @_Z39paged_attention_ll4mi_QKV_mfma16_kernelI14__hip_bfloat16S0_LN4vllm18Fp8KVCacheDataTypeE0ES0_Li32ELi128ELi256ELb0ELi3EL8MFMAType0EEvPKT_PKT0_S9_ifPKiSB_SB_iPKfiiiPfSE_PS4_PT2_iSD_SD_
; %bb.0:
	s_load_b64 s[2:3], s[0:1], 0x30
	s_mov_b32 s30, s13
	s_waitcnt lgkmcnt(0)
	s_cmp_lg_u64 s[2:3], 0
	s_cselect_b32 s6, -1, 0
	s_ashr_i32 s31, s13, 31
	s_cmp_eq_u64 s[2:3], 0
	s_cbranch_scc1 .LBB768_3
; %bb.1:
	s_lshl_b64 s[4:5], s[30:31], 2
	s_delay_alu instid0(SALU_CYCLE_1) | instskip(SKIP_4) | instid1(SALU_CYCLE_1)
	s_add_u32 s4, s2, s4
	s_addc_u32 s5, s3, s5
	s_load_b64 s[4:5], s[4:5], 0x0
	s_waitcnt lgkmcnt(0)
	s_sub_i32 s4, s5, s4
	s_cmp_eq_u32 s4, 1
	s_cselect_b32 s4, -1, 0
	s_delay_alu instid0(SALU_CYCLE_1)
	s_and_not1_b32 vcc_lo, exec_lo, s4
	s_cbranch_vccz .LBB768_4
.LBB768_2:
	s_nop 0
	s_sendmsg sendmsg(MSG_DEALLOC_VGPRS)
	s_endpgm
.LBB768_3:
.LBB768_4:
	s_load_b64 s[8:9], s[0:1], 0x28
	s_lshl_b64 s[4:5], s[30:31], 2
	s_waitcnt lgkmcnt(0)
	s_add_u32 s8, s8, s4
	s_addc_u32 s9, s9, s5
	s_lshl_b32 s12, s14, 8
	s_load_b32 s17, s[8:9], 0x0
	s_waitcnt lgkmcnt(0)
	s_cmp_ge_i32 s12, s17
	s_cbranch_scc1 .LBB768_2
; %bb.5:
	s_and_not1_b32 vcc_lo, exec_lo, s6
	s_cbranch_vccnz .LBB768_7
; %bb.6:
	s_add_u32 s2, s2, s4
	s_addc_u32 s3, s3, s5
	s_load_b32 s13, s[2:3], 0x0
	s_branch .LBB768_8
.LBB768_7:
	s_mov_b32 s13, s30
.LBB768_8:
	s_clause 0x2
	s_load_b128 s[8:11], s[0:1], 0x8
	s_load_b64 s[2:3], s[0:1], 0x20
	s_load_b128 s[4:7], s[0:1], 0x48
	v_lshrrev_b32_e32 v74, 5, v0
	v_bfe_u32 v83, v0, 4, 1
	v_and_b32_e32 v73, 15, v0
	s_waitcnt lgkmcnt(0)
	s_mov_b32 s7, exec_lo
	s_delay_alu instid0(VALU_DEP_2) | instskip(NEXT) | instid1(VALU_DEP_2)
	v_lshl_or_b32 v3, v74, 1, v83
	v_lshlrev_b32_e32 v1, 3, v73
	s_delay_alu instid0(VALU_DEP_2)
	v_cmpx_lt_u32_e32 2, v3
	s_xor_b32 s7, exec_lo, s7
; %bb.9:
	v_mov_b32_e32 v2, 0
                                        ; implicit-def: $vgpr3
; %bb.10:
	s_or_saveexec_b32 s7, s7
	v_and_b32_e32 v75, 31, v0
	v_and_b32_e32 v84, 1, v0
	s_mul_i32 s31, s15, 3
	s_xor_b32 exec_lo, exec_lo, s7
	s_cbranch_execz .LBB768_12
; %bb.11:
	s_load_b64 s[18:19], s[0:1], 0x0
	v_add_lshl_u32 v4, v3, s31, 7
	s_mul_hi_i32 s21, s13, s4
	s_mul_i32 s20, s13, s4
	v_lshlrev_b32_e32 v2, 1, v1
	s_lshl_b64 s[20:21], s[20:21], 1
	v_ashrrev_i32_e32 v5, 31, v4
	v_lshlrev_b32_e32 v3, 6, v3
	v_lshlrev_b32_e32 v8, 10, v84
	s_delay_alu instid0(VALU_DEP_3) | instskip(SKIP_3) | instid1(VALU_DEP_1)
	v_lshlrev_b64 v[4:5], 1, v[4:5]
	s_waitcnt lgkmcnt(0)
	s_add_u32 s4, s18, s20
	s_addc_u32 s13, s19, s21
	v_add_co_u32 v4, vcc_lo, s4, v4
	s_delay_alu instid0(VALU_DEP_2) | instskip(NEXT) | instid1(VALU_DEP_2)
	v_add_co_ci_u32_e32 v5, vcc_lo, s13, v5, vcc_lo
	v_add_co_u32 v4, vcc_lo, v4, v2
	s_delay_alu instid0(VALU_DEP_2) | instskip(SKIP_3) | instid1(VALU_DEP_1)
	v_add_co_ci_u32_e32 v5, vcc_lo, 0, v5, vcc_lo
	v_lshlrev_b32_e32 v2, 10, v73
	global_load_b128 v[4:7], v[4:5], off
	v_and_b32_e32 v2, 0x3800, v2
	v_or3_b32 v3, v2, v8, v3
	v_mov_b32_e32 v2, 0
	s_waitcnt vmcnt(0)
	ds_store_b128 v3, v[4:7]
.LBB768_12:
	s_or_b32 exec_lo, exec_lo, s7
	v_and_b32_e32 v3, 0xef, v0
	v_mul_lo_u16 v80, 0x56, v73
	s_add_i32 s4, s17, 31
	s_clause 0x1
	s_load_b32 s7, s[0:1], 0x38
	s_load_b32 s18, s[0:1], 0x1c
	v_add_nc_u32_e32 v3, s12, v3
	v_lshrrev_b16 v80, 8, v80
	s_ashr_i32 s13, s4, 31
	s_waitcnt lgkmcnt(0)
	s_lshr_b32 s13, s13, 27
	v_ashrrev_i32_e32 v4, 31, v3
	v_mul_lo_u16 v80, v80, 3
	s_add_i32 s4, s4, s13
	v_cmp_gt_i32_e32 vcc_lo, s17, v3
	s_ashr_i32 s4, s4, 5
	v_lshrrev_b32_e32 v5, 27, v4
	v_or_b32_e32 v4, 16, v3
	v_sub_nc_u16 v80, v73, v80
	s_add_i32 s4, s4, -1
	s_barrier
	v_add_nc_u32_e32 v6, v3, v5
	v_add_nc_u32_e32 v5, v4, v5
	v_and_b32_e32 v80, 0xff, v80
	s_mul_i32 s20, s30, s7
	buffer_gl0_inv
	v_ashrrev_i32_e32 v6, 5, v6
	v_ashrrev_i32_e32 v5, 5, v5
	s_ashr_i32 s21, s20, 31
	v_lshlrev_b64 v[81:82], 1, v[1:2]
	s_lshl_b64 s[20:21], s[20:21], 2
	v_dual_cndmask_b32 v3, s4, v6 :: v_dual_lshlrev_b32 v80, 6, v80
	v_cmp_gt_i32_e32 vcc_lo, s17, v4
	s_add_u32 s13, s2, s20
	s_addc_u32 s16, s3, s21
	s_delay_alu instid0(VALU_DEP_2) | instskip(SKIP_3) | instid1(SALU_CYCLE_1)
	v_ashrrev_i32_e32 v4, 31, v3
	s_mul_i32 s2, s15, s6
	v_cndmask_b32_e32 v5, s4, v5, vcc_lo
	s_ashr_i32 s3, s2, 31
	s_lshl_b64 s[2:3], s[2:3], 1
	v_lshlrev_b64 v[3:4], 2, v[3:4]
	s_delay_alu instid0(VALU_DEP_2) | instskip(SKIP_3) | instid1(VALU_DEP_1)
	v_ashrrev_i32_e32 v6, 31, v5
	s_add_u32 s15, s8, s2
	s_addc_u32 s19, s9, s3
	s_lshl_b32 s6, s14, 3
	v_lshlrev_b64 v[5:6], 2, v[5:6]
	v_add_co_u32 v3, vcc_lo, s13, v3
	v_add_co_ci_u32_e32 v4, vcc_lo, s16, v4, vcc_lo
	s_ashr_i32 s7, s6, 31
	s_delay_alu instid0(VALU_DEP_3) | instskip(NEXT) | instid1(VALU_DEP_4)
	v_add_co_u32 v5, vcc_lo, s13, v5
	v_add_co_ci_u32_e32 v6, vcc_lo, s16, v6, vcc_lo
	s_clause 0x1
	global_load_b32 v7, v[3:4], off
	global_load_b32 v8, v[5:6], off
	s_lshl_b64 s[6:7], s[6:7], 2
	s_delay_alu instid0(SALU_CYCLE_1) | instskip(SKIP_2) | instid1(SALU_CYCLE_1)
	s_add_u32 s6, s13, s6
	s_addc_u32 s7, s16, s7
	s_or_b32 s8, s12, 32
	s_ashr_i32 s9, s8, 5
	s_cmp_lt_i32 s8, s17
	s_cselect_b32 s8, s9, s4
	s_delay_alu instid0(SALU_CYCLE_1) | instskip(NEXT) | instid1(SALU_CYCLE_1)
	s_ashr_i32 s9, s8, 31
	s_lshl_b64 s[8:9], s[8:9], 2
	s_delay_alu instid0(SALU_CYCLE_1) | instskip(SKIP_2) | instid1(SALU_CYCLE_1)
	s_add_u32 s8, s13, s8
	s_addc_u32 s9, s16, s9
	s_or_b32 s20, s12, 64
	s_ashr_i32 s21, s20, 5
	s_cmp_lt_i32 s20, s17
	s_cselect_b32 s20, s21, s4
	s_delay_alu instid0(SALU_CYCLE_1) | instskip(NEXT) | instid1(SALU_CYCLE_1)
	s_ashr_i32 s21, s20, 31
	;; [unrolled: 10-line block ×5, first 2 shown]
	s_lshl_b64 s[26:27], s[26:27], 2
	s_delay_alu instid0(SALU_CYCLE_1)
	s_add_u32 s26, s13, s26
	s_addc_u32 s27, s16, s27
	s_clause 0x5
	s_load_b32 s28, s[6:7], 0x0
	s_load_b32 s29, s[8:9], 0x0
	;; [unrolled: 1-line block ×6, first 2 shown]
	s_mov_b32 s20, 0
	s_or_b32 s6, s12, 0xc0
	s_mov_b32 s27, s20
	s_mov_b32 s21, s20
	;; [unrolled: 1-line block ×7, first 2 shown]
	s_delay_alu instid0(SALU_CYCLE_1)
	v_dual_mov_b32 v108, s27 :: v_dual_mov_b32 v107, s26
	v_dual_mov_b32 v106, s25 :: v_dual_mov_b32 v105, s24
	;; [unrolled: 1-line block ×4, first 2 shown]
	s_ashr_i32 s7, s6, 5
	s_cmp_lt_i32 s6, s17
	s_waitcnt lgkmcnt(0)
	s_mul_hi_i32 s9, s28, s5
	s_cselect_b32 s6, s7, s4
	s_mul_i32 s8, s28, s5
	s_ashr_i32 s7, s6, 31
	s_mul_hi_i32 s21, s29, s5
	s_lshl_b64 s[6:7], s[6:7], 2
	s_mul_i32 s20, s29, s5
	s_add_u32 s6, s13, s6
	s_addc_u32 s7, s16, s7
	s_mul_hi_i32 s25, s33, s5
	s_mul_i32 s24, s33, s5
	s_mul_hi_i32 s27, s34, s5
	s_mul_i32 s26, s34, s5
	s_mul_i32 s34, s36, s5
	s_waitcnt vmcnt(1)
	v_mad_i64_i32 v[3:4], null, v7, s5, 0
	s_waitcnt vmcnt(0)
	v_mad_i64_i32 v[5:6], null, v8, s5, 0
	s_delay_alu instid0(VALU_DEP_2) | instskip(NEXT) | instid1(VALU_DEP_2)
	v_lshlrev_b64 v[3:4], 1, v[3:4]
	v_lshlrev_b64 v[1:2], 1, v[5:6]
	s_delay_alu instid0(VALU_DEP_2) | instskip(NEXT) | instid1(VALU_DEP_3)
	v_add_co_u32 v3, vcc_lo, s15, v3
	v_add_co_ci_u32_e32 v4, vcc_lo, s19, v4, vcc_lo
	s_delay_alu instid0(VALU_DEP_3) | instskip(NEXT) | instid1(VALU_DEP_4)
	v_add_co_u32 v1, vcc_lo, s15, v1
	v_add_co_ci_u32_e32 v2, vcc_lo, s19, v2, vcc_lo
	s_delay_alu instid0(VALU_DEP_4) | instskip(NEXT) | instid1(VALU_DEP_4)
	v_add_co_u32 v65, vcc_lo, v3, v81
	v_add_co_ci_u32_e32 v66, vcc_lo, v4, v82, vcc_lo
	s_delay_alu instid0(VALU_DEP_4) | instskip(NEXT) | instid1(VALU_DEP_4)
	v_add_co_u32 v76, vcc_lo, v1, v81
	v_add_co_ci_u32_e32 v77, vcc_lo, v2, v82, vcc_lo
	s_clause 0xf
	global_load_b128 v[1:4], v[65:66], off
	global_load_b128 v[5:8], v[65:66], off offset:512
	global_load_b128 v[9:12], v[76:77], off offset:256
	;; [unrolled: 1-line block ×15, first 2 shown]
	v_add_co_u32 v78, vcc_lo, 0x1000, v65
	v_add_co_ci_u32_e32 v79, vcc_lo, 0, v66, vcc_lo
	v_add_co_u32 v76, vcc_lo, 0x1000, v76
	s_clause 0x1
	global_load_b128 v[65:68], v[78:79], off
	global_load_b128 v[69:72], v[78:79], off offset:512
	v_add_co_ci_u32_e32 v77, vcc_lo, 0, v77, vcc_lo
	ds_load_b128 v[85:88], v80
	ds_load_b128 v[89:92], v80 offset:1024
	s_clause 0x1
	global_load_b128 v[93:96], v[76:77], off offset:256
	global_load_b128 v[97:100], v[76:77], off offset:768
	ds_load_b128 v[109:112], v80 offset:2048
	ds_load_b128 v[113:116], v80 offset:3072
	s_or_b32 s15, s12, 0xe0
	s_delay_alu instid0(SALU_CYCLE_1) | instskip(SKIP_2) | instid1(SALU_CYCLE_1)
	s_ashr_i32 s19, s15, 5
	s_cmp_lt_i32 s15, s17
	s_cselect_b32 s22, s19, s4
	s_ashr_i32 s23, s22, 31
	s_delay_alu instid0(SALU_CYCLE_1) | instskip(NEXT) | instid1(SALU_CYCLE_1)
	s_lshl_b64 s[22:23], s[22:23], 2
	s_add_u32 s22, s13, s22
	s_addc_u32 s23, s16, s23
	s_add_i32 s15, s12, 0x100
	s_delay_alu instid0(SALU_CYCLE_1) | instskip(SKIP_2) | instid1(SALU_CYCLE_1)
	s_ashr_i32 s19, s15, 5
	s_cmp_lt_i32 s15, s17
	s_cselect_b32 s28, s19, s4
	s_ashr_i32 s29, s28, 31
	s_delay_alu instid0(SALU_CYCLE_1) | instskip(NEXT) | instid1(SALU_CYCLE_1)
	s_lshl_b64 s[28:29], s[28:29], 2
	s_add_u32 s28, s13, s28
	s_addc_u32 s29, s16, s29
	s_add_u32 s4, s10, s2
	s_addc_u32 s19, s11, s3
	s_lshl_b64 s[2:3], s[8:9], 1
	s_lshl_b64 s[8:9], s[20:21], 1
	;; [unrolled: 1-line block ×4, first 2 shown]
	s_waitcnt vmcnt(18) lgkmcnt(2)
	v_wmma_f32_16x16x16_bf16 v[117:124], v[1:8], v[85:92], v[101:108]
	s_waitcnt vmcnt(16)
	v_wmma_f32_16x16x16_bf16 v[101:108], v[9:16], v[85:92], v[101:108]
	s_clause 0x3
	global_load_b128 v[1:4], v[78:79], off offset:1024
	global_load_b128 v[5:8], v[78:79], off offset:1536
	;; [unrolled: 1-line block ×4, first 2 shown]
	s_waitcnt vmcnt(18) lgkmcnt(0)
	v_wmma_f32_16x16x16_bf16 v[117:124], v[17:24], v[109:116], v[117:124]
	s_clause 0x1
	global_load_b128 v[17:20], v[78:79], off offset:2048
	global_load_b128 v[21:24], v[78:79], off offset:2560
	s_waitcnt vmcnt(18)
	v_wmma_f32_16x16x16_bf16 v[101:108], v[25:32], v[109:116], v[101:108]
	ds_load_b128 v[25:28], v80 offset:4096
	ds_load_b128 v[29:32], v80 offset:5120
	s_clause 0x5
	global_load_b128 v[109:112], v[76:77], off offset:2304
	global_load_b128 v[113:116], v[76:77], off offset:2816
	global_load_b128 v[125:128], v[78:79], off offset:3072
	global_load_b128 v[129:132], v[78:79], off offset:3584
	global_load_b128 v[133:136], v[76:77], off offset:3328
	global_load_b128 v[137:140], v[76:77], off offset:3840
	s_waitcnt vmcnt(22) lgkmcnt(0)
	v_wmma_f32_16x16x16_bf16 v[117:124], v[33:40], v[25:32], v[117:124]
	s_waitcnt vmcnt(20)
	v_wmma_f32_16x16x16_bf16 v[101:108], v[41:48], v[25:32], v[101:108]
	ds_load_b128 v[25:28], v80 offset:6144
	ds_load_b128 v[29:32], v80 offset:7168
	;; [unrolled: 1-line block ×4, first 2 shown]
	s_waitcnt vmcnt(18) lgkmcnt(2)
	v_wmma_f32_16x16x16_bf16 v[117:124], v[49:56], v[25:32], v[117:124]
	s_waitcnt vmcnt(16)
	v_wmma_f32_16x16x16_bf16 v[101:108], v[57:64], v[25:32], v[101:108]
	ds_load_b128 v[25:28], v80 offset:10240
	ds_load_b128 v[29:32], v80 offset:11264
	;; [unrolled: 1-line block ×6, first 2 shown]
	s_waitcnt vmcnt(14) lgkmcnt(6)
	v_wmma_f32_16x16x16_bf16 v[117:124], v[65:72], v[33:40], v[117:124]
	s_waitcnt vmcnt(12)
	v_wmma_f32_16x16x16_bf16 v[101:108], v[93:100], v[33:40], v[101:108]
	s_clause 0x2
	s_load_b32 s15, s[6:7], 0x0
	s_load_b32 s13, s[22:23], 0x0
	;; [unrolled: 1-line block ×3, first 2 shown]
	s_mul_hi_i32 s7, s35, s5
	s_mul_i32 s6, s35, s5
	s_mul_hi_i32 s35, s36, s5
	s_lshl_b64 s[6:7], s[6:7], 1
	s_lshl_b64 s[22:23], s[34:35], 1
	s_waitcnt lgkmcnt(0)
	s_mul_hi_i32 s25, s15, s5
	s_mul_i32 s24, s15, s5
	s_waitcnt vmcnt(10)
	v_wmma_f32_16x16x16_bf16 v[117:124], v[1:8], v[25:32], v[117:124]
	s_waitcnt vmcnt(8)
	v_wmma_f32_16x16x16_bf16 v[101:108], v[9:16], v[25:32], v[101:108]
	s_waitcnt vmcnt(6)
	s_delay_alu instid0(VALU_DEP_2) | instskip(SKIP_1) | instid1(VALU_DEP_2)
	v_wmma_f32_16x16x16_bf16 v[117:124], v[17:24], v[141:148], v[117:124]
	s_waitcnt vmcnt(4)
	v_wmma_f32_16x16x16_bf16 v[101:108], v[109:116], v[141:148], v[101:108]
	s_waitcnt vmcnt(2)
	s_delay_alu instid0(VALU_DEP_2) | instskip(SKIP_3) | instid1(VALU_DEP_3)
	v_wmma_f32_16x16x16_bf16 v[117:124], v[125:132], v[149:156], v[117:124]
	v_lshlrev_b32_e32 v85, 6, v73
	s_waitcnt vmcnt(0)
	v_wmma_f32_16x16x16_bf16 v[101:108], v[133:140], v[149:156], v[101:108]
	v_mul_f32_e32 v100, s18, v124
	s_delay_alu instid0(VALU_DEP_3) | instskip(SKIP_2) | instid1(VALU_DEP_3)
	v_lshl_or_b32 v41, v74, 10, v85
	v_mul_f32_e32 v97, s18, v117
	v_mul_f32_e32 v99, s18, v118
	v_add_co_u32 v76, s4, s4, v41
	s_delay_alu instid0(VALU_DEP_1) | instskip(NEXT) | instid1(VALU_DEP_2)
	v_add_co_ci_u32_e64 v77, null, s19, 0, s4
	v_add_co_u32 v41, vcc_lo, v76, s2
	s_delay_alu instid0(VALU_DEP_2)
	v_add_co_ci_u32_e32 v42, vcc_lo, s3, v77, vcc_lo
	v_add_co_u32 v33, vcc_lo, v76, s8
	v_add_co_ci_u32_e32 v34, vcc_lo, s9, v77, vcc_lo
	v_add_co_u32 v35, vcc_lo, v76, s10
	;; [unrolled: 2-line block ×5, first 2 shown]
	s_lshl_b64 s[2:3], s[24:25], 1
	v_add_co_ci_u32_e32 v6, vcc_lo, s23, v77, vcc_lo
	s_mul_hi_i32 s7, s13, s5
	s_mul_i32 s6, s13, s5
	v_add_co_u32 v17, vcc_lo, v76, s2
	v_add_co_ci_u32_e32 v18, vcc_lo, s3, v77, vcc_lo
	s_lshl_b64 s[2:3], s[6:7], 1
	s_mul_hi_i32 s7, s16, s5
	s_mul_i32 s6, s16, s5
	v_add_co_u32 v19, vcc_lo, v76, s2
	v_add_co_ci_u32_e32 v20, vcc_lo, s3, v77, vcc_lo
	s_lshl_b64 s[2:3], s[6:7], 1
	s_clause 0x1
	global_load_b128 v[65:68], v[41:42], off
	global_load_b128 v[69:72], v[41:42], off offset:16
	v_add_co_u32 v21, vcc_lo, v76, s2
	v_add_co_ci_u32_e32 v22, vcc_lo, s3, v77, vcc_lo
	s_clause 0xf
	global_load_b128 v[57:60], v[33:34], off
	global_load_b128 v[61:64], v[33:34], off offset:16
	global_load_b128 v[49:52], v[35:36], off
	global_load_b128 v[53:56], v[35:36], off offset:16
	;; [unrolled: 2-line block ×8, first 2 shown]
	v_mbcnt_lo_u32_b32 v77, -1, 0
	v_and_b32_e32 v76, 0xe0, v0
	s_waitcnt vmcnt(0)
	s_barrier
	buffer_gl0_inv
	v_xor_b32_e32 v78, 16, v77
	s_delay_alu instid0(VALU_DEP_1) | instskip(SKIP_1) | instid1(VALU_DEP_1)
	v_cmp_gt_i32_e32 vcc_lo, 32, v78
	v_dual_cndmask_b32 v77, v77, v78 :: v_dual_add_nc_u32 v76, s12, v76
	v_or_b32_e32 v76, v76, v83
	s_delay_alu instid0(VALU_DEP_1)
	v_or_b32_e32 v78, 2, v76
	v_or_b32_e32 v79, 4, v76
	;; [unrolled: 1-line block ×3, first 2 shown]
	v_cmp_gt_i32_e32 vcc_lo, s17, v76
	v_or_b32_e32 v86, 8, v76
	v_cmp_gt_i32_e64 s2, s17, v78
	v_or_b32_e32 v87, 10, v76
	v_or_b32_e32 v88, 12, v76
	;; [unrolled: 1-line block ×11, first 2 shown]
	v_cndmask_b32_e64 v78, 0xff7fffff, v99, s2
	v_mul_f32_e32 v99, s18, v120
	v_cmp_gt_i32_e64 s3, s17, v80
	v_mul_f32_e32 v80, s18, v119
	v_cndmask_b32_e32 v76, 0xff7fffff, v97, vcc_lo
	v_cmp_gt_i32_e64 s4, s17, v79
	v_mul_f32_e32 v79, s18, v122
	v_cmp_gt_i32_e64 s5, s17, v86
	v_cmp_gt_i32_e64 s6, s17, v87
	v_max3_f32 v76, v76, 0xff7fffff, v78
	v_mul_f32_e32 v78, s18, v121
	v_cndmask_b32_e64 v80, 0xff7fffff, v80, s4
	v_mul_f32_e32 v86, s18, v107
	v_cndmask_b32_e64 v99, 0xff7fffff, v99, s3
	;; [unrolled: 2-line block ×3, first 2 shown]
	v_cndmask_b32_e64 v79, 0xff7fffff, v79, s6
	v_cmp_gt_i32_e64 s7, s17, v89
	v_max3_f32 v76, v76, v80, v99
	v_mul_f32_e32 v80, s18, v108
	v_cmp_gt_i32_e64 s8, s17, v88
	v_dual_mul_f32 v99, s18, v105 :: v_dual_mul_f32 v88, s18, v102
	s_delay_alu instid0(VALU_DEP_4) | instskip(SKIP_1) | instid1(VALU_DEP_4)
	v_max3_f32 v76, v76, v78, v79
	v_mul_f32_e32 v89, s18, v101
	v_cndmask_b32_e64 v97, 0xff7fffff, v97, s8
	v_cndmask_b32_e64 v100, 0xff7fffff, v100, s7
	v_cmp_gt_i32_e64 s9, s17, v90
	v_cmp_gt_i32_e64 s10, s17, v91
	v_dual_mul_f32 v78, s18, v104 :: v_dual_mul_f32 v79, s18, v103
	s_delay_alu instid0(VALU_DEP_4) | instskip(NEXT) | instid1(VALU_DEP_4)
	v_max3_f32 v76, v76, v97, v100
	v_cndmask_b32_e64 v89, 0xff7fffff, v89, s9
	s_delay_alu instid0(VALU_DEP_4)
	v_cndmask_b32_e64 v88, 0xff7fffff, v88, s10
	v_cmp_gt_i32_e64 s11, s17, v92
	v_cmp_gt_i32_e64 s12, s17, v93
	v_mul_f32_e32 v87, s18, v106
	v_cmp_gt_i32_e64 s13, s17, v94
	v_max3_f32 v76, v76, v89, v88
	v_cndmask_b32_e64 v79, 0xff7fffff, v79, s11
	v_cndmask_b32_e64 v78, 0xff7fffff, v78, s12
	v_cmp_gt_i32_e64 s15, s17, v95
	v_cndmask_b32_e64 v88, 0xff7fffff, v99, s13
	v_cmp_gt_i32_e64 s16, s17, v96
	v_cmp_gt_i32_e64 s17, s17, v98
	v_max3_f32 v76, v76, v79, v78
	v_cndmask_b32_e64 v87, 0xff7fffff, v87, s15
	v_lshlrev_b32_e32 v99, 2, v77
	v_cndmask_b32_e64 v78, 0xff7fffff, v86, s16
	v_cndmask_b32_e64 v79, 0xff7fffff, v80, s17
	s_delay_alu instid0(VALU_DEP_4) | instskip(NEXT) | instid1(VALU_DEP_1)
	v_max3_f32 v76, v76, v88, v87
	v_max3_f32 v76, v76, v78, v79
	ds_bpermute_b32 v77, v99, v76
	s_waitcnt lgkmcnt(0)
	v_max_f32_e32 v77, v77, v77
	s_delay_alu instid0(VALU_DEP_1) | instskip(NEXT) | instid1(VALU_DEP_1)
	v_max_f32_e32 v76, v76, v77
	v_fma_f32 v80, s18, v120, -v76
	v_fma_f32 v77, s18, v117, -v76
	;; [unrolled: 1-line block ×5, first 2 shown]
	v_mul_f32_e32 v80, 0x3fb8aa3b, v80
	v_fma_f32 v87, s18, v123, -v76
	v_mul_f32_e32 v78, 0x3fb8aa3b, v78
	v_fma_f32 v88, s18, v105, -v76
	v_mul_f32_e32 v86, 0x3fb8aa3b, v86
	v_exp_f32_e32 v80, v80
	v_fma_f32 v90, s18, v107, -v76
	v_exp_f32_e32 v78, v78
	v_fma_f32 v100, s18, v108, -v76
	v_exp_f32_e32 v86, v86
	v_mul_f32_e32 v88, 0x3fb8aa3b, v88
	s_delay_alu instid0(VALU_DEP_2) | instskip(NEXT) | instid1(TRANS32_DEP_3)
	v_mul_f32_e32 v100, 0x3fb8aa3b, v100
	v_cndmask_b32_e64 v95, 0, v80, s3
	v_mul_f32_e32 v77, 0x3fb8aa3b, v77
	s_delay_alu instid0(TRANS32_DEP_2) | instskip(SKIP_1) | instid1(TRANS32_DEP_1)
	v_cndmask_b32_e64 v91, 0, v78, s2
	v_fma_f32 v80, s18, v101, -v76
	v_cndmask_b32_e64 v96, 0, v86, s5
	v_fma_f32 v86, s18, v102, -v76
	v_exp_f32_e32 v77, v77
	s_delay_alu instid0(VALU_DEP_3) | instskip(SKIP_1) | instid1(VALU_DEP_2)
	v_dual_mul_f32 v79, 0x3fb8aa3b, v79 :: v_dual_mul_f32 v80, 0x3fb8aa3b, v80
	v_exp_f32_e32 v88, v88
	v_mul_f32_e32 v86, 0x3fb8aa3b, v86
	v_cmp_gt_u32_e64 s2, 16, v75
	v_exp_f32_e32 v100, v100
	v_exp_f32_e32 v80, v80
	s_delay_alu instid0(VALU_DEP_2) | instskip(SKIP_3) | instid1(VALU_DEP_1)
	v_exp_f32_e32 v86, v86
	v_cndmask_b32_e32 v92, 0, v77, vcc_lo
	v_exp_f32_e32 v79, v79
	v_fma_f32 v77, s18, v122, -v76
	v_dual_add_f32 v78, 0, v92 :: v_dual_mul_f32 v77, 0x3fb8aa3b, v77
	s_delay_alu instid0(VALU_DEP_1)
	v_add_f32_e32 v78, v78, v91
	s_waitcnt_depctr 0xfff
	v_cndmask_b32_e64 v93, 0, v79, s4
	v_fma_f32 v79, s18, v124, -v76
	v_mul_f32_e32 v87, 0x3fb8aa3b, v87
	v_exp_f32_e32 v77, v77
	s_delay_alu instid0(VALU_DEP_2) | instskip(NEXT) | instid1(VALU_DEP_2)
	v_dual_add_f32 v78, v78, v93 :: v_dual_mul_f32 v79, 0x3fb8aa3b, v79
	v_exp_f32_e32 v87, v87
	s_delay_alu instid0(VALU_DEP_1) | instskip(NEXT) | instid1(VALU_DEP_2)
	v_add_f32_e32 v78, v78, v95
	v_exp_f32_e32 v79, v79
	s_delay_alu instid0(TRANS32_DEP_3) | instskip(NEXT) | instid1(VALU_DEP_2)
	v_cndmask_b32_e64 v97, 0, v77, s6
	v_add_f32_e32 v77, v78, v96
	v_fma_f32 v78, s18, v103, -v76
	s_waitcnt_depctr 0xfff
	v_cndmask_b32_e64 v94, 0, v87, s8
	v_fma_f32 v87, s18, v104, -v76
	v_dual_add_f32 v77, v77, v97 :: v_dual_mul_f32 v78, 0x3fb8aa3b, v78
	v_cndmask_b32_e64 v98, 0, v79, s7
	s_delay_alu instid0(VALU_DEP_2) | instskip(SKIP_4) | instid1(VALU_DEP_2)
	v_add_f32_e32 v79, v77, v94
	v_cndmask_b32_e64 v77, 0, v80, s9
	v_fma_f32 v80, s18, v106, -v76
	v_exp_f32_e32 v89, v78
	v_cndmask_b32_e64 v78, 0, v86, s10
	v_dual_add_f32 v79, v79, v98 :: v_dual_mul_f32 v80, 0x3fb8aa3b, v80
	s_delay_alu instid0(VALU_DEP_1) | instskip(NEXT) | instid1(VALU_DEP_1)
	v_dual_mul_f32 v87, 0x3fb8aa3b, v87 :: v_dual_add_f32 v86, v79, v77
	v_exp_f32_e32 v87, v87
	s_waitcnt_depctr 0xfff
	v_cndmask_b32_e64 v79, 0, v89, s11
	v_add_f32_e32 v86, v86, v78
	v_mul_f32_e32 v89, 0x3fb8aa3b, v90
	v_exp_f32_e32 v90, v80
	v_cndmask_b32_e64 v80, 0, v87, s12
	s_delay_alu instid0(VALU_DEP_3) | instskip(SKIP_1) | instid1(VALU_DEP_2)
	v_add_f32_e32 v87, v86, v79
	v_cndmask_b32_e64 v86, 0, v88, s13
	v_add_f32_e32 v88, v87, v80
	v_exp_f32_e32 v89, v89
	s_waitcnt_depctr 0xfff
	v_cndmask_b32_e64 v87, 0, v90, s15
	v_add_f32_e32 v90, v88, v86
	v_cndmask_b32_e64 v88, 0, v89, s16
	s_delay_alu instid0(VALU_DEP_2) | instskip(NEXT) | instid1(VALU_DEP_1)
	v_add_f32_e32 v89, v90, v87
	v_add_f32_e32 v90, v89, v88
	v_cndmask_b32_e64 v89, 0, v100, s17
	s_delay_alu instid0(VALU_DEP_1)
	v_add_f32_e32 v90, v90, v89
	ds_bpermute_b32 v99, v99, v90
	s_and_saveexec_b32 s3, s2
	s_cbranch_execz .LBB768_14
; %bb.13:
	v_mul_u32_u24_e32 v75, 0x44, v74
	s_waitcnt lgkmcnt(0)
	v_add_f32_e32 v90, v90, v99
	s_delay_alu instid0(VALU_DEP_2) | instskip(NEXT) | instid1(VALU_DEP_1)
	v_lshl_add_u32 v75, v73, 2, v75
	v_add_nc_u32_e32 v75, 0x4000, v75
	ds_store_2addr_b32 v75, v76, v90 offset1:136
.LBB768_14:
	s_or_b32 exec_lo, exec_lo, s3
	v_lshlrev_b32_e32 v75, 2, v73
	s_waitcnt lgkmcnt(0)
	s_barrier
	buffer_gl0_inv
	v_cmp_eq_u32_e64 s3, 1, v74
	v_add_nc_u32_e32 v90, 0x4000, v75
	ds_load_2addr_b32 v[99:100], v90 offset1:17
	ds_load_2addr_b32 v[101:102], v90 offset0:34 offset1:51
	ds_load_2addr_b32 v[103:104], v90 offset0:68 offset1:85
	;; [unrolled: 1-line block ×4, first 2 shown]
	s_waitcnt lgkmcnt(4)
	v_max3_f32 v75, v99, 0xff7fffff, v100
	s_waitcnt lgkmcnt(3)
	s_delay_alu instid0(VALU_DEP_1) | instskip(SKIP_1) | instid1(VALU_DEP_1)
	v_max3_f32 v75, v75, v101, v102
	s_waitcnt lgkmcnt(2)
	v_max3_f32 v75, v75, v103, v104
	s_waitcnt lgkmcnt(1)
	s_delay_alu instid0(VALU_DEP_1) | instskip(NEXT) | instid1(VALU_DEP_1)
	v_max3_f32 v75, v75, v105, v106
	v_sub_f32_e32 v109, v100, v75
	v_sub_f32_e32 v76, v99, v75
	ds_load_2addr_b32 v[99:100], v90 offset0:170 offset1:187
	v_sub_f32_e32 v101, v101, v75
	v_dual_mul_f32 v109, 0x3fb8aa3b, v109 :: v_dual_mul_f32 v76, 0x3fb8aa3b, v76
	s_delay_alu instid0(VALU_DEP_2) | instskip(NEXT) | instid1(VALU_DEP_2)
	v_mul_f32_e32 v111, 0x3fb8aa3b, v101
	v_exp_f32_e32 v109, v109
	s_delay_alu instid0(VALU_DEP_2)
	v_exp_f32_e32 v110, v76
	v_sub_f32_e32 v76, v102, v75
	ds_load_2addr_b32 v[101:102], v90 offset0:204 offset1:221
	v_exp_f32_e32 v111, v111
	v_mul_f32_e32 v112, 0x3fb8aa3b, v76
	s_waitcnt lgkmcnt(2)
	v_fma_f32 v76, v110, v107, 0
	v_sub_f32_e32 v103, v103, v75
	s_delay_alu instid0(VALU_DEP_3) | instskip(NEXT) | instid1(VALU_DEP_2)
	v_exp_f32_e32 v112, v112
	v_dual_sub_f32 v107, v104, v75 :: v_dual_fmac_f32 v76, v109, v108
	s_waitcnt lgkmcnt(1)
	s_waitcnt_depctr 0xfff
	v_fmac_f32_e32 v76, v111, v99
	v_mul_f32_e32 v113, 0x3fb8aa3b, v103
	ds_load_2addr_b32 v[103:104], v90 offset0:238 offset1:255
	v_sub_f32_e32 v90, v105, v75
	v_dual_sub_f32 v99, v106, v75 :: v_dual_fmac_f32 v76, v112, v100
	v_mul_f32_e32 v105, 0x3fb8aa3b, v107
	v_exp_f32_e32 v107, v113
	s_delay_alu instid0(VALU_DEP_2)
	v_dual_mul_f32 v90, 0x3fb8aa3b, v90 :: v_dual_mul_f32 v99, 0x3fb8aa3b, v99
	s_waitcnt lgkmcnt(0)
	s_barrier
	buffer_gl0_inv
	v_exp_f32_e32 v90, v90
	v_exp_f32_e32 v99, v99
	v_fmac_f32_e32 v76, v107, v101
	v_exp_f32_e32 v105, v105
	s_waitcnt_depctr 0xfff
	v_fmac_f32_e32 v76, v105, v102
	s_delay_alu instid0(VALU_DEP_1) | instskip(NEXT) | instid1(VALU_DEP_1)
	v_fmac_f32_e32 v76, v90, v103
	v_fmac_f32_e32 v76, v99, v104
	s_delay_alu instid0(VALU_DEP_1) | instskip(NEXT) | instid1(VALU_DEP_1)
	v_add_f32_e32 v100, 0x358637bd, v76
	v_div_scale_f32 v101, null, v100, v100, 1.0
	v_div_scale_f32 v104, vcc_lo, 1.0, v100, 1.0
	s_delay_alu instid0(VALU_DEP_2) | instskip(SKIP_2) | instid1(VALU_DEP_1)
	v_rcp_f32_e32 v102, v101
	s_waitcnt_depctr 0xfff
	v_fma_f32 v103, -v101, v102, 1.0
	v_fmac_f32_e32 v102, v103, v102
	v_cndmask_b32_e64 v103, v110, v109, s3
	v_cmp_eq_u32_e64 s3, 2, v74
	s_delay_alu instid0(VALU_DEP_3) | instskip(NEXT) | instid1(VALU_DEP_2)
	v_mul_f32_e32 v106, v104, v102
	v_cndmask_b32_e64 v103, v103, v111, s3
	v_cmp_eq_u32_e64 s3, 3, v74
	s_delay_alu instid0(VALU_DEP_3) | instskip(NEXT) | instid1(VALU_DEP_2)
	v_fma_f32 v108, -v101, v106, v104
	v_cndmask_b32_e64 v103, v103, v112, s3
	v_cmp_eq_u32_e64 s3, 4, v74
	s_delay_alu instid0(VALU_DEP_3) | instskip(NEXT) | instid1(VALU_DEP_2)
	v_fmac_f32_e32 v106, v108, v102
	v_cndmask_b32_e64 v103, v103, v107, s3
	s_delay_alu instid0(VALU_DEP_2) | instskip(SKIP_1) | instid1(VALU_DEP_2)
	v_fma_f32 v101, -v101, v106, v104
	v_cmp_eq_u32_e64 s3, 5, v74
	v_div_fmas_f32 v101, v101, v102, v106
	s_delay_alu instid0(VALU_DEP_2) | instskip(SKIP_2) | instid1(VALU_DEP_3)
	v_cndmask_b32_e64 v103, v103, v105, s3
	v_cmp_eq_u32_e32 vcc_lo, 6, v74
	s_mov_b32 s3, exec_lo
	v_div_fixup_f32 v100, v101, v100, 1.0
	s_delay_alu instid0(VALU_DEP_3) | instskip(SKIP_1) | instid1(VALU_DEP_2)
	v_cndmask_b32_e32 v90, v103, v90, vcc_lo
	v_cmp_eq_u32_e32 vcc_lo, 7, v74
	v_cndmask_b32_e32 v90, v90, v99, vcc_lo
	s_delay_alu instid0(VALU_DEP_1) | instskip(NEXT) | instid1(VALU_DEP_1)
	v_mul_f32_e32 v90, v90, v100
	v_mul_f32_e32 v100, v90, v92
	;; [unrolled: 1-line block ×6, first 2 shown]
	v_and_b32_e32 v101, 0x7f800000, v100
	v_mul_f32_e32 v99, v90, v95
	v_mul_f32_e32 v95, v90, v91
	;; [unrolled: 1-line block ×3, first 2 shown]
                                        ; implicit-def: $vgpr91
	s_delay_alu instid0(VALU_DEP_4)
	v_cmpx_ne_u32_e32 0x7f800000, v101
	s_xor_b32 s3, exec_lo, s3
; %bb.15:
	v_bfe_u32 v91, v100, 16, 1
	s_delay_alu instid0(VALU_DEP_1)
	v_add3_u32 v91, v100, v91, 0x7fff
                                        ; implicit-def: $vgpr100
; %bb.16:
	s_and_not1_saveexec_b32 s3, s3
; %bb.17:
	v_and_b32_e32 v91, 0xffff, v100
	v_or_b32_e32 v93, 0x10000, v100
	s_delay_alu instid0(VALU_DEP_2) | instskip(NEXT) | instid1(VALU_DEP_2)
	v_cmp_eq_u32_e32 vcc_lo, 0, v91
	v_cndmask_b32_e32 v91, v93, v100, vcc_lo
; %bb.18:
	s_or_b32 exec_lo, exec_lo, s3
	v_and_b32_e32 v93, 0x7f800000, v95
	s_delay_alu instid0(VALU_DEP_1) | instskip(SKIP_1) | instid1(SALU_CYCLE_1)
	v_cmp_ne_u32_e32 vcc_lo, 0x7f800000, v93
                                        ; implicit-def: $vgpr93
	s_and_saveexec_b32 s3, vcc_lo
	s_xor_b32 s3, exec_lo, s3
; %bb.19:
	v_bfe_u32 v93, v95, 16, 1
	s_delay_alu instid0(VALU_DEP_1)
	v_add3_u32 v93, v95, v93, 0x7fff
                                        ; implicit-def: $vgpr95
; %bb.20:
	s_and_not1_saveexec_b32 s3, s3
; %bb.21:
	v_and_b32_e32 v93, 0xffff, v95
	v_or_b32_e32 v100, 0x10000, v95
	s_delay_alu instid0(VALU_DEP_2) | instskip(NEXT) | instid1(VALU_DEP_2)
	v_cmp_eq_u32_e32 vcc_lo, 0, v93
	v_cndmask_b32_e32 v93, v100, v95, vcc_lo
; %bb.22:
	s_or_b32 exec_lo, exec_lo, s3
	v_and_b32_e32 v95, 0x7f800000, v96
	s_delay_alu instid0(VALU_DEP_1) | instskip(SKIP_1) | instid1(SALU_CYCLE_1)
	v_cmp_ne_u32_e32 vcc_lo, 0x7f800000, v95
                                        ; implicit-def: $vgpr95
	s_and_saveexec_b32 s3, vcc_lo
	s_xor_b32 s3, exec_lo, s3
; %bb.23:
	v_bfe_u32 v95, v96, 16, 1
	s_delay_alu instid0(VALU_DEP_1)
	v_add3_u32 v95, v96, v95, 0x7fff
                                        ; implicit-def: $vgpr96
; %bb.24:
	s_and_not1_saveexec_b32 s3, s3
; %bb.25:
	v_and_b32_e32 v95, 0xffff, v96
	v_or_b32_e32 v100, 0x10000, v96
	s_delay_alu instid0(VALU_DEP_2) | instskip(NEXT) | instid1(VALU_DEP_2)
	v_cmp_eq_u32_e32 vcc_lo, 0, v95
	v_cndmask_b32_e32 v95, v100, v96, vcc_lo
; %bb.26:
	s_or_b32 exec_lo, exec_lo, s3
	v_and_b32_e32 v96, 0x7f800000, v99
	s_delay_alu instid0(VALU_DEP_1) | instskip(SKIP_1) | instid1(SALU_CYCLE_1)
	v_cmp_ne_u32_e32 vcc_lo, 0x7f800000, v96
                                        ; implicit-def: $vgpr96
	s_and_saveexec_b32 s3, vcc_lo
	s_xor_b32 s3, exec_lo, s3
; %bb.27:
	v_bfe_u32 v96, v99, 16, 1
	s_delay_alu instid0(VALU_DEP_1)
	v_add3_u32 v96, v99, v96, 0x7fff
                                        ; implicit-def: $vgpr99
; %bb.28:
	s_and_not1_saveexec_b32 s3, s3
; %bb.29:
	v_and_b32_e32 v96, 0xffff, v99
	v_or_b32_e32 v100, 0x10000, v99
	s_delay_alu instid0(VALU_DEP_2) | instskip(NEXT) | instid1(VALU_DEP_2)
	v_cmp_eq_u32_e32 vcc_lo, 0, v96
	v_cndmask_b32_e32 v96, v100, v99, vcc_lo
; %bb.30:
	s_or_b32 exec_lo, exec_lo, s3
	v_and_b32_e32 v99, 0x7f800000, v98
	s_delay_alu instid0(VALU_DEP_1) | instskip(SKIP_1) | instid1(SALU_CYCLE_1)
	v_cmp_ne_u32_e32 vcc_lo, 0x7f800000, v99
                                        ; implicit-def: $vgpr99
	s_and_saveexec_b32 s3, vcc_lo
	s_xor_b32 s3, exec_lo, s3
; %bb.31:
	v_bfe_u32 v99, v98, 16, 1
	s_delay_alu instid0(VALU_DEP_1)
	v_add3_u32 v99, v98, v99, 0x7fff
                                        ; implicit-def: $vgpr98
; %bb.32:
	s_and_not1_saveexec_b32 s3, s3
; %bb.33:
	v_and_b32_e32 v99, 0xffff, v98
	v_or_b32_e32 v100, 0x10000, v98
	s_delay_alu instid0(VALU_DEP_2) | instskip(NEXT) | instid1(VALU_DEP_2)
	v_cmp_eq_u32_e32 vcc_lo, 0, v99
	v_cndmask_b32_e32 v99, v100, v98, vcc_lo
; %bb.34:
	s_or_b32 exec_lo, exec_lo, s3
	v_and_b32_e32 v98, 0x7f800000, v97
	s_delay_alu instid0(VALU_DEP_1) | instskip(SKIP_1) | instid1(SALU_CYCLE_1)
	v_cmp_ne_u32_e32 vcc_lo, 0x7f800000, v98
                                        ; implicit-def: $vgpr98
	s_and_saveexec_b32 s3, vcc_lo
	s_xor_b32 s3, exec_lo, s3
; %bb.35:
	v_bfe_u32 v98, v97, 16, 1
	s_delay_alu instid0(VALU_DEP_1)
	v_add3_u32 v98, v97, v98, 0x7fff
                                        ; implicit-def: $vgpr97
; %bb.36:
	s_and_not1_saveexec_b32 s3, s3
; %bb.37:
	v_and_b32_e32 v98, 0xffff, v97
	v_or_b32_e32 v100, 0x10000, v97
	s_delay_alu instid0(VALU_DEP_2) | instskip(NEXT) | instid1(VALU_DEP_2)
	v_cmp_eq_u32_e32 vcc_lo, 0, v98
	v_cndmask_b32_e32 v98, v100, v97, vcc_lo
; %bb.38:
	s_or_b32 exec_lo, exec_lo, s3
	v_and_b32_e32 v97, 0x7f800000, v94
	s_delay_alu instid0(VALU_DEP_1) | instskip(SKIP_1) | instid1(SALU_CYCLE_1)
	v_cmp_ne_u32_e32 vcc_lo, 0x7f800000, v97
                                        ; implicit-def: $vgpr97
	s_and_saveexec_b32 s3, vcc_lo
	s_xor_b32 s3, exec_lo, s3
; %bb.39:
	v_bfe_u32 v97, v94, 16, 1
	s_delay_alu instid0(VALU_DEP_1)
	v_add3_u32 v97, v94, v97, 0x7fff
                                        ; implicit-def: $vgpr94
; %bb.40:
	s_and_not1_saveexec_b32 s3, s3
; %bb.41:
	v_and_b32_e32 v97, 0xffff, v94
	v_or_b32_e32 v100, 0x10000, v94
	s_delay_alu instid0(VALU_DEP_2) | instskip(NEXT) | instid1(VALU_DEP_2)
	v_cmp_eq_u32_e32 vcc_lo, 0, v97
	v_cndmask_b32_e32 v97, v100, v94, vcc_lo
; %bb.42:
	s_or_b32 exec_lo, exec_lo, s3
	v_and_b32_e32 v94, 0x7f800000, v92
	s_delay_alu instid0(VALU_DEP_1) | instskip(SKIP_1) | instid1(SALU_CYCLE_1)
	v_cmp_ne_u32_e32 vcc_lo, 0x7f800000, v94
                                        ; implicit-def: $vgpr94
	s_and_saveexec_b32 s3, vcc_lo
	s_xor_b32 s3, exec_lo, s3
; %bb.43:
	v_bfe_u32 v94, v92, 16, 1
	s_delay_alu instid0(VALU_DEP_1)
	v_add3_u32 v94, v92, v94, 0x7fff
                                        ; implicit-def: $vgpr92
; %bb.44:
	s_and_not1_saveexec_b32 s3, s3
; %bb.45:
	v_and_b32_e32 v94, 0xffff, v92
	v_or_b32_e32 v100, 0x10000, v92
	s_delay_alu instid0(VALU_DEP_2) | instskip(NEXT) | instid1(VALU_DEP_2)
	v_cmp_eq_u32_e32 vcc_lo, 0, v94
	v_cndmask_b32_e32 v94, v100, v92, vcc_lo
; %bb.46:
	s_or_b32 exec_lo, exec_lo, s3
	s_load_b64 s[34:35], s[0:1], 0x94
	v_lshlrev_b32_e32 v92, 4, v83
	s_delay_alu instid0(VALU_DEP_2)
	v_perm_b32 v100, v94, v97, 0x7060302
	v_dual_mul_f32 v89, v90, v89 :: v_dual_lshlrev_b32 v94, 11, v74
	v_perm_b32 v97, v93, v91, 0x7060302
	v_mul_f32_e32 v93, v90, v77
	v_perm_b32 v99, v98, v99, 0x7060302
	v_perm_b32 v98, v96, v95, 0x7060302
	v_or3_b32 v77, v92, v94, v85
	v_mul_f32_e32 v88, v90, v88
	v_dual_mul_f32 v87, v90, v87 :: v_dual_and_b32 v94, 0x7f800000, v93
	v_mul_f32_e32 v86, v90, v86
	v_mul_f32_e32 v91, v90, v80
	;; [unrolled: 1-line block ×4, first 2 shown]
	s_mov_b32 s3, exec_lo
	ds_store_b128 v77, v[97:100]
                                        ; implicit-def: $vgpr78
	v_cmpx_ne_u32_e32 0x7f800000, v94
	s_xor_b32 s3, exec_lo, s3
; %bb.47:
	v_bfe_u32 v78, v93, 16, 1
	s_delay_alu instid0(VALU_DEP_1)
	v_add3_u32 v78, v93, v78, 0x7fff
                                        ; implicit-def: $vgpr93
; %bb.48:
	s_and_not1_saveexec_b32 s3, s3
; %bb.49:
	v_and_b32_e32 v78, 0xffff, v93
	v_or_b32_e32 v79, 0x10000, v93
	s_delay_alu instid0(VALU_DEP_2) | instskip(NEXT) | instid1(VALU_DEP_2)
	v_cmp_eq_u32_e32 vcc_lo, 0, v78
	v_cndmask_b32_e32 v78, v79, v93, vcc_lo
; %bb.50:
	s_or_b32 exec_lo, exec_lo, s3
	v_and_b32_e32 v79, 0x7f800000, v80
	s_delay_alu instid0(VALU_DEP_1) | instskip(SKIP_1) | instid1(SALU_CYCLE_1)
	v_cmp_ne_u32_e32 vcc_lo, 0x7f800000, v79
                                        ; implicit-def: $vgpr79
	s_and_saveexec_b32 s3, vcc_lo
	s_xor_b32 s3, exec_lo, s3
; %bb.51:
	v_bfe_u32 v79, v80, 16, 1
	s_delay_alu instid0(VALU_DEP_1)
	v_add3_u32 v79, v80, v79, 0x7fff
                                        ; implicit-def: $vgpr80
; %bb.52:
	s_and_not1_saveexec_b32 s3, s3
; %bb.53:
	v_and_b32_e32 v79, 0xffff, v80
	v_or_b32_e32 v90, 0x10000, v80
	s_delay_alu instid0(VALU_DEP_2) | instskip(NEXT) | instid1(VALU_DEP_2)
	v_cmp_eq_u32_e32 vcc_lo, 0, v79
	v_cndmask_b32_e32 v79, v90, v80, vcc_lo
; %bb.54:
	s_or_b32 exec_lo, exec_lo, s3
	v_and_b32_e32 v80, 0x7f800000, v92
	s_delay_alu instid0(VALU_DEP_1) | instskip(SKIP_1) | instid1(SALU_CYCLE_1)
	v_cmp_ne_u32_e32 vcc_lo, 0x7f800000, v80
                                        ; implicit-def: $vgpr80
	s_and_saveexec_b32 s3, vcc_lo
	s_xor_b32 s3, exec_lo, s3
; %bb.55:
	v_bfe_u32 v80, v92, 16, 1
	s_delay_alu instid0(VALU_DEP_1)
	v_add3_u32 v80, v92, v80, 0x7fff
                                        ; implicit-def: $vgpr92
; %bb.56:
	s_and_not1_saveexec_b32 s3, s3
; %bb.57:
	v_and_b32_e32 v80, 0xffff, v92
	v_or_b32_e32 v90, 0x10000, v92
	s_delay_alu instid0(VALU_DEP_2) | instskip(NEXT) | instid1(VALU_DEP_2)
	v_cmp_eq_u32_e32 vcc_lo, 0, v80
	v_cndmask_b32_e32 v80, v90, v92, vcc_lo
; %bb.58:
	s_or_b32 exec_lo, exec_lo, s3
	v_and_b32_e32 v90, 0x7f800000, v91
	s_delay_alu instid0(VALU_DEP_1) | instskip(SKIP_1) | instid1(SALU_CYCLE_1)
	v_cmp_ne_u32_e32 vcc_lo, 0x7f800000, v90
                                        ; implicit-def: $vgpr90
	s_and_saveexec_b32 s3, vcc_lo
	s_xor_b32 s3, exec_lo, s3
; %bb.59:
	v_bfe_u32 v90, v91, 16, 1
	s_delay_alu instid0(VALU_DEP_1)
	v_add3_u32 v90, v91, v90, 0x7fff
                                        ; implicit-def: $vgpr91
; %bb.60:
	s_and_not1_saveexec_b32 s3, s3
; %bb.61:
	v_and_b32_e32 v90, 0xffff, v91
	v_or_b32_e32 v92, 0x10000, v91
	s_delay_alu instid0(VALU_DEP_2) | instskip(NEXT) | instid1(VALU_DEP_2)
	v_cmp_eq_u32_e32 vcc_lo, 0, v90
	v_cndmask_b32_e32 v90, v92, v91, vcc_lo
; %bb.62:
	s_or_b32 exec_lo, exec_lo, s3
	v_and_b32_e32 v91, 0x7f800000, v86
	s_delay_alu instid0(VALU_DEP_1) | instskip(SKIP_1) | instid1(SALU_CYCLE_1)
	v_cmp_ne_u32_e32 vcc_lo, 0x7f800000, v91
                                        ; implicit-def: $vgpr91
	s_and_saveexec_b32 s3, vcc_lo
	s_xor_b32 s3, exec_lo, s3
; %bb.63:
	v_bfe_u32 v91, v86, 16, 1
	s_delay_alu instid0(VALU_DEP_1)
	v_add3_u32 v91, v86, v91, 0x7fff
                                        ; implicit-def: $vgpr86
; %bb.64:
	s_and_not1_saveexec_b32 s3, s3
; %bb.65:
	v_and_b32_e32 v91, 0xffff, v86
	v_or_b32_e32 v92, 0x10000, v86
	s_delay_alu instid0(VALU_DEP_2) | instskip(NEXT) | instid1(VALU_DEP_2)
	v_cmp_eq_u32_e32 vcc_lo, 0, v91
	v_cndmask_b32_e32 v91, v92, v86, vcc_lo
; %bb.66:
	s_or_b32 exec_lo, exec_lo, s3
	v_and_b32_e32 v86, 0x7f800000, v87
	s_delay_alu instid0(VALU_DEP_1) | instskip(SKIP_1) | instid1(SALU_CYCLE_1)
	v_cmp_ne_u32_e32 vcc_lo, 0x7f800000, v86
                                        ; implicit-def: $vgpr86
	s_and_saveexec_b32 s3, vcc_lo
	s_xor_b32 s3, exec_lo, s3
; %bb.67:
	v_bfe_u32 v86, v87, 16, 1
	s_delay_alu instid0(VALU_DEP_1)
	v_add3_u32 v86, v87, v86, 0x7fff
                                        ; implicit-def: $vgpr87
; %bb.68:
	s_and_not1_saveexec_b32 s3, s3
; %bb.69:
	v_and_b32_e32 v86, 0xffff, v87
	v_or_b32_e32 v92, 0x10000, v87
	s_delay_alu instid0(VALU_DEP_2) | instskip(NEXT) | instid1(VALU_DEP_2)
	v_cmp_eq_u32_e32 vcc_lo, 0, v86
	v_cndmask_b32_e32 v86, v92, v87, vcc_lo
; %bb.70:
	s_or_b32 exec_lo, exec_lo, s3
	v_and_b32_e32 v87, 0x7f800000, v88
	s_delay_alu instid0(VALU_DEP_1) | instskip(SKIP_1) | instid1(SALU_CYCLE_1)
	v_cmp_ne_u32_e32 vcc_lo, 0x7f800000, v87
                                        ; implicit-def: $vgpr87
	s_and_saveexec_b32 s3, vcc_lo
	s_xor_b32 s3, exec_lo, s3
; %bb.71:
	v_bfe_u32 v87, v88, 16, 1
	s_delay_alu instid0(VALU_DEP_1)
	v_add3_u32 v87, v88, v87, 0x7fff
                                        ; implicit-def: $vgpr88
; %bb.72:
	s_and_not1_saveexec_b32 s3, s3
; %bb.73:
	v_and_b32_e32 v87, 0xffff, v88
	v_or_b32_e32 v92, 0x10000, v88
	s_delay_alu instid0(VALU_DEP_2) | instskip(NEXT) | instid1(VALU_DEP_2)
	v_cmp_eq_u32_e32 vcc_lo, 0, v87
	v_cndmask_b32_e32 v87, v92, v88, vcc_lo
; %bb.74:
	s_or_b32 exec_lo, exec_lo, s3
	v_and_b32_e32 v88, 0x7f800000, v89
	s_delay_alu instid0(VALU_DEP_1) | instskip(SKIP_1) | instid1(SALU_CYCLE_1)
	v_cmp_ne_u32_e32 vcc_lo, 0x7f800000, v88
                                        ; implicit-def: $vgpr88
	s_and_saveexec_b32 s3, vcc_lo
	s_xor_b32 s3, exec_lo, s3
; %bb.75:
	v_bfe_u32 v88, v89, 16, 1
	s_delay_alu instid0(VALU_DEP_1)
	v_add3_u32 v88, v89, v88, 0x7fff
                                        ; implicit-def: $vgpr89
; %bb.76:
	s_and_not1_saveexec_b32 s3, s3
; %bb.77:
	v_and_b32_e32 v88, 0xffff, v89
	v_or_b32_e32 v92, 0x10000, v89
	s_delay_alu instid0(VALU_DEP_2) | instskip(NEXT) | instid1(VALU_DEP_2)
	v_cmp_eq_u32_e32 vcc_lo, 0, v88
	v_cndmask_b32_e32 v88, v92, v89, vcc_lo
; %bb.78:
	s_or_b32 exec_lo, exec_lo, s3
	s_delay_alu instid0(VALU_DEP_1)
	v_perm_b32 v89, v88, v87, 0x7060302
	v_perm_b32 v88, v86, v91, 0x7060302
	;; [unrolled: 1-line block ×4, first 2 shown]
	v_lshl_or_b32 v90, v74, 11, v85
	ds_store_b128 v77, v[86:89] offset:1024
	s_waitcnt lgkmcnt(0)
	s_barrier
	buffer_gl0_inv
	ds_load_b128 v[91:94], v90
	ds_load_b128 v[95:98], v90 offset:16
	v_lshlrev_b32_e32 v87, 2, v83
	s_delay_alu instid0(VALU_DEP_1)
	v_or_b32_e32 v88, 1, v87
	v_cmp_eq_u32_e32 vcc_lo, 1, v87
	v_cmp_eq_u32_e64 s4, 2, v87
	v_cmp_eq_u32_e64 s7, 3, v87
	;; [unrolled: 1-line block ×6, first 2 shown]
	v_or_b32_e32 v86, 2, v87
	v_cmp_eq_u32_e64 s10, 5, v87
	v_cmp_eq_u32_e64 s11, 4, v88
	;; [unrolled: 1-line block ×4, first 2 shown]
	s_waitcnt lgkmcnt(1)
	v_lshrrev_b32_e32 v74, 16, v91
	s_waitcnt lgkmcnt(0)
	v_lshrrev_b32_e32 v103, 16, v95
	v_lshrrev_b32_e32 v80, 16, v94
	;; [unrolled: 1-line block ×4, first 2 shown]
	v_cndmask_b32_e32 v89, v91, v74, vcc_lo
	v_cndmask_b32_e32 v99, v95, v103, vcc_lo
	v_cndmask_b32_e64 v100, v91, v74, s3
	v_lshrrev_b32_e32 v79, 16, v93
	v_lshrrev_b32_e32 v108, 16, v97
	v_cndmask_b32_e64 v89, v89, v92, s4
	v_cndmask_b32_e64 v99, v99, v96, s4
	;; [unrolled: 1-line block ×4, first 2 shown]
	v_cmp_eq_u32_e64 s5, 1, v86
	v_cndmask_b32_e64 v89, v89, v78, s7
	v_cndmask_b32_e64 v99, v99, v107, s7
	;; [unrolled: 1-line block ×4, first 2 shown]
	v_lshrrev_b32_e32 v109, 16, v98
	v_cndmask_b32_e64 v89, v89, v93, s9
	v_cndmask_b32_e64 v99, v99, v97, s9
	;; [unrolled: 1-line block ×8, first 2 shown]
	v_cmp_eq_u32_e64 s15, 7, v87
	v_cmp_eq_u32_e64 s16, 6, v88
	v_cndmask_b32_e64 v89, v89, v94, s12
	v_cndmask_b32_e64 v99, v99, v98, s12
	v_cmp_eq_u32_e64 s17, 2, v86
	v_cndmask_b32_e64 v101, v101, v97, s11
	v_cndmask_b32_e64 v100, v100, v94, s16
	;; [unrolled: 1-line block ×6, first 2 shown]
	v_cmp_eq_u32_e64 s18, 7, v88
	v_cmp_eq_u32_e64 s19, 3, v86
	;; [unrolled: 1-line block ×4, first 2 shown]
	v_cndmask_b32_e64 v99, v99, v96, s17
	v_cndmask_b32_e64 v112, v100, v80, s18
	v_cndmask_b32_e64 v100, v101, v108, s13
	v_cndmask_b32_e64 v101, v89, v78, s19
	v_or_b32_e32 v89, 3, v87
	v_cndmask_b32_e64 v105, v99, v107, s19
	v_cmp_eq_u32_e64 s24, 6, v86
	v_cndmask_b32_e64 v113, v100, v98, s16
	v_cndmask_b32_e64 v104, v101, v93, s20
	ds_load_b128 v[99:102], v90 offset:1024
	v_cmp_eq_u32_e64 s21, 1, v89
	v_cmp_eq_u32_e64 s23, 2, v89
	;; [unrolled: 1-line block ×3, first 2 shown]
	v_cndmask_b32_e64 v114, v104, v79, s22
	v_cmp_eq_u32_e64 s26, 4, v89
	v_cndmask_b32_e64 v74, v91, v74, s21
	v_cndmask_b32_e64 v91, v105, v97, s20
	;; [unrolled: 1-line block ×3, first 2 shown]
	ds_load_b128 v[103:106], v90 offset:1040
	v_cmp_eq_u32_e64 s28, 5, v89
	v_cndmask_b32_e64 v74, v74, v92, s23
	v_cndmask_b32_e64 v91, v91, v108, s22
	;; [unrolled: 1-line block ×3, first 2 shown]
	v_cmp_eq_u32_e64 s29, 6, v89
	v_cndmask_b32_e64 v95, v113, v109, s18
	v_cndmask_b32_e64 v74, v74, v78, s25
	;; [unrolled: 1-line block ×5, first 2 shown]
	s_waitcnt lgkmcnt(1)
	v_lshrrev_b32_e32 v96, 16, v99
	v_cndmask_b32_e64 v74, v74, v93, s26
	v_lshrrev_b32_e32 v107, 16, v100
	v_cndmask_b32_e64 v92, v92, v97, s26
	v_cmp_eq_u32_e64 s27, 7, v86
	v_cndmask_b32_e32 v93, v99, v96, vcc_lo
	v_cndmask_b32_e64 v74, v74, v79, s28
	s_delay_alu instid0(VALU_DEP_4)
	v_cndmask_b32_e64 v79, v92, v108, s28
	s_waitcnt lgkmcnt(0)
	v_lshrrev_b32_e32 v97, 16, v103
	v_cndmask_b32_e64 v92, v93, v100, s4
	v_cndmask_b32_e64 v93, v99, v96, s3
	;; [unrolled: 1-line block ×4, first 2 shown]
	v_cndmask_b32_e32 v108, v103, v97, vcc_lo
	v_cndmask_b32_e64 v92, v92, v107, s7
	v_cndmask_b32_e64 v93, v93, v100, s6
	v_lshrrev_b32_e32 v98, 16, v104
	v_cmp_eq_u32_e32 vcc_lo, 7, v89
	v_cndmask_b32_e64 v94, v108, v104, s4
	v_cndmask_b32_e64 v92, v92, v101, s9
	v_lshrrev_b32_e32 v108, 16, v101
	v_cndmask_b32_e64 v93, v93, v107, s8
	v_cndmask_b32_e32 v74, v74, v80, vcc_lo
	v_cndmask_b32_e64 v94, v94, v98, s7
	v_cndmask_b32_e32 v79, v79, v109, vcc_lo
	v_cndmask_b32_e64 v92, v92, v108, s10
	v_cndmask_b32_e64 v78, v78, v80, s27
	;; [unrolled: 1-line block ×4, first 2 shown]
	v_perm_b32 v94, v79, v74, 0x5040100
	v_cndmask_b32_e64 v79, v92, v102, s12
	v_perm_b32 v92, v95, v112, 0x5040100
	v_cndmask_b32_e64 v95, v99, v96, s5
	v_cndmask_b32_e64 v96, v99, v96, s21
	;; [unrolled: 1-line block ×16, first 2 shown]
	v_lshrrev_b32_e32 v109, 16, v105
	v_cndmask_b32_e64 v95, v95, v101, s20
	v_cndmask_b32_e64 v96, v96, v101, s26
	;; [unrolled: 1-line block ×6, first 2 shown]
	v_lshrrev_b32_e32 v80, 16, v102
	v_cndmask_b32_e64 v113, v93, v109, s10
	v_cndmask_b32_e64 v95, v95, v108, s22
	;; [unrolled: 1-line block ×6, first 2 shown]
	v_perm_b32 v93, v91, v78, 0x5040100
	v_cndmask_b32_e64 v74, v74, v102, s16
	v_cndmask_b32_e64 v78, v79, v80, s15
	;; [unrolled: 1-line block ×3, first 2 shown]
	v_lshrrev_b32_e32 v91, 16, v106
	v_cndmask_b32_e64 v95, v95, v102, s24
	v_cndmask_b32_e64 v96, v96, v102, s29
	;; [unrolled: 1-line block ×7, first 2 shown]
	v_cndmask_b32_e32 v80, v96, v80, vcc_lo
	v_cndmask_b32_e32 v96, v98, v91, vcc_lo
	v_cndmask_b32_e64 v99, v99, v91, s27
	v_cndmask_b32_e64 v100, v97, v91, s18
	;; [unrolled: 1-line block ×3, first 2 shown]
	v_perm_b32 v91, v111, v110, 0x5040100
	v_perm_b32 v98, v96, v80, 0x5040100
	;; [unrolled: 1-line block ×5, first 2 shown]
	s_mul_i32 s8, s35, 3
	s_mov_b32 s3, exec_lo
	ds_store_b128 v77, v[91:94]
	ds_store_b128 v77, v[95:98] offset:1024
	v_cmpx_gt_u32_e32 3, v0
	s_cbranch_execz .LBB768_80
; %bb.79:
	s_mul_i32 s4, s8, s30
	s_delay_alu instid0(SALU_CYCLE_1) | instskip(SKIP_1) | instid1(VALU_DEP_1)
	v_add3_u32 v77, s4, s31, v73
	s_load_b128 s[4:7], s[0:1], 0x58
	v_mad_u64_u32 v[73:74], null, v77, s34, s[14:15]
	s_delay_alu instid0(VALU_DEP_1) | instskip(NEXT) | instid1(VALU_DEP_1)
	v_ashrrev_i32_e32 v74, 31, v73
	v_lshlrev_b64 v[73:74], 2, v[73:74]
	s_waitcnt lgkmcnt(0)
	s_delay_alu instid0(VALU_DEP_1) | instskip(NEXT) | instid1(VALU_DEP_2)
	v_add_co_u32 v77, vcc_lo, s6, v73
	v_add_co_ci_u32_e32 v78, vcc_lo, s7, v74, vcc_lo
	v_add_co_u32 v73, vcc_lo, s4, v73
	v_add_co_ci_u32_e32 v74, vcc_lo, s5, v74, vcc_lo
	global_store_b32 v[77:78], v75, off
	global_store_b32 v[73:74], v76, off
.LBB768_80:
	s_or_b32 exec_lo, exec_lo, s3
	s_waitcnt lgkmcnt(0)
	s_waitcnt_vscnt null, 0x0
	s_barrier
	buffer_gl0_inv
	ds_load_b128 v[91:94], v85
	ds_load_b128 v[95:98], v85 offset:16
	ds_load_b128 v[103:106], v85 offset:1040
	;; [unrolled: 1-line block ×3, first 2 shown]
	v_mov_b32_e32 v73, 0
	ds_load_b128 v[111:114], v85 offset:2064
	ds_load_b128 v[107:110], v85 offset:2048
	;; [unrolled: 1-line block ×6, first 2 shown]
	v_mov_b32_e32 v74, v73
	v_mov_b32_e32 v75, v73
	;; [unrolled: 1-line block ×7, first 2 shown]
	s_waitcnt lgkmcnt(8)
	s_delay_alu instid0(VALU_DEP_1)
	v_wmma_f32_16x16x16_bf16 v[73:80], v[65:72], v[91:98], v[73:80]
	ds_load_b128 v[69:72], v85 offset:5136
	ds_load_b128 v[65:68], v85 offset:5120
	;; [unrolled: 1-line block ×4, first 2 shown]
	s_waitcnt lgkmcnt(10)
	v_wmma_f32_16x16x16_bf16 v[73:80], v[57:64], v[99:106], v[73:80]
	s_waitcnt lgkmcnt(8)
	s_delay_alu instid0(VALU_DEP_1)
	v_wmma_f32_16x16x16_bf16 v[73:80], v[57:64], v[107:114], v[73:80]
	ds_load_b128 v[61:64], v85 offset:7184
	ds_load_b128 v[57:60], v85 offset:7168
	;; [unrolled: 1-line block ×4, first 2 shown]
	s_waitcnt lgkmcnt(10)
	v_wmma_f32_16x16x16_bf16 v[73:80], v[49:56], v[115:122], v[73:80]
	s_waitcnt lgkmcnt(8)
	s_delay_alu instid0(VALU_DEP_1)
	v_wmma_f32_16x16x16_bf16 v[73:80], v[49:56], v[123:130], v[73:80]
	ds_load_b128 v[53:56], v85 offset:9232
	ds_load_b128 v[49:52], v85 offset:9216
	s_waitcnt lgkmcnt(8)
	v_wmma_f32_16x16x16_bf16 v[73:80], v[41:48], v[65:72], v[73:80]
	ds_load_b128 v[69:72], v85 offset:10256
	ds_load_b128 v[65:68], v85 offset:10240
	s_waitcnt lgkmcnt(8)
	;; [unrolled: 4-line block ×3, first 2 shown]
	v_wmma_f32_16x16x16_bf16 v[73:80], v[9:16], v[57:64], v[73:80]
	s_waitcnt lgkmcnt(6)
	s_delay_alu instid0(VALU_DEP_1)
	v_wmma_f32_16x16x16_bf16 v[73:80], v[9:16], v[99:106], v[73:80]
	ds_load_b128 v[13:16], v85 offset:12304
	ds_load_b128 v[9:12], v85 offset:12288
	s_waitcnt lgkmcnt(6)
	v_wmma_f32_16x16x16_bf16 v[73:80], v[1:8], v[49:56], v[73:80]
	ds_load_b128 v[53:56], v85 offset:13328
	ds_load_b128 v[49:52], v85 offset:13312
	s_waitcnt lgkmcnt(6)
	;; [unrolled: 4-line block ×4, first 2 shown]
	v_wmma_f32_16x16x16_bf16 v[73:80], v[33:40], v[9:16], v[73:80]
	s_waitcnt lgkmcnt(4)
	s_delay_alu instid0(VALU_DEP_1) | instskip(SKIP_1) | instid1(VALU_DEP_1)
	v_wmma_f32_16x16x16_bf16 v[73:80], v[25:32], v[49:56], v[73:80]
	s_waitcnt lgkmcnt(2)
	v_wmma_f32_16x16x16_bf16 v[73:80], v[25:32], v[1:8], v[73:80]
	s_waitcnt lgkmcnt(0)
	s_delay_alu instid0(VALU_DEP_1) | instskip(NEXT) | instid1(VALU_DEP_1)
	v_wmma_f32_16x16x16_bf16 v[73:80], v[17:24], v[41:48], v[73:80]
	v_and_b32_e32 v1, 0x7f800000, v73
	s_delay_alu instid0(VALU_DEP_1) | instskip(SKIP_1) | instid1(SALU_CYCLE_1)
	v_cmp_ne_u32_e32 vcc_lo, 0x7f800000, v1
                                        ; implicit-def: $vgpr1
	s_and_saveexec_b32 s3, vcc_lo
	s_xor_b32 s3, exec_lo, s3
; %bb.81:
	v_bfe_u32 v1, v73, 16, 1
	s_delay_alu instid0(VALU_DEP_1)
	v_add3_u32 v1, v73, v1, 0x7fff
; %bb.82:
	s_and_not1_saveexec_b32 s3, s3
; %bb.83:
	v_and_b32_e32 v1, 0xffff, v73
	v_or_b32_e32 v2, 0x10000, v73
	s_delay_alu instid0(VALU_DEP_2) | instskip(NEXT) | instid1(VALU_DEP_2)
	v_cmp_eq_u32_e32 vcc_lo, 0, v1
	v_cndmask_b32_e32 v1, v2, v73, vcc_lo
; %bb.84:
	s_or_b32 exec_lo, exec_lo, s3
	v_and_b32_e32 v2, 0x7f800000, v74
	s_delay_alu instid0(VALU_DEP_1) | instskip(SKIP_1) | instid1(SALU_CYCLE_1)
	v_cmp_ne_u32_e32 vcc_lo, 0x7f800000, v2
                                        ; implicit-def: $vgpr2
	s_and_saveexec_b32 s3, vcc_lo
	s_xor_b32 s3, exec_lo, s3
; %bb.85:
	v_bfe_u32 v2, v74, 16, 1
	s_delay_alu instid0(VALU_DEP_1)
	v_add3_u32 v2, v74, v2, 0x7fff
; %bb.86:
	s_and_not1_saveexec_b32 s3, s3
; %bb.87:
	v_and_b32_e32 v2, 0xffff, v74
	v_or_b32_e32 v3, 0x10000, v74
	s_delay_alu instid0(VALU_DEP_2) | instskip(NEXT) | instid1(VALU_DEP_2)
	v_cmp_eq_u32_e32 vcc_lo, 0, v2
	v_cndmask_b32_e32 v2, v3, v74, vcc_lo
; %bb.88:
	s_or_b32 exec_lo, exec_lo, s3
	v_and_b32_e32 v3, 0x7f800000, v75
	s_delay_alu instid0(VALU_DEP_1) | instskip(SKIP_1) | instid1(SALU_CYCLE_1)
	v_cmp_ne_u32_e32 vcc_lo, 0x7f800000, v3
                                        ; implicit-def: $vgpr3
	s_and_saveexec_b32 s3, vcc_lo
	s_xor_b32 s3, exec_lo, s3
; %bb.89:
	v_bfe_u32 v3, v75, 16, 1
	s_delay_alu instid0(VALU_DEP_1)
	v_add3_u32 v3, v75, v3, 0x7fff
; %bb.90:
	s_and_not1_saveexec_b32 s3, s3
; %bb.91:
	v_and_b32_e32 v3, 0xffff, v75
	v_or_b32_e32 v4, 0x10000, v75
	s_delay_alu instid0(VALU_DEP_2) | instskip(NEXT) | instid1(VALU_DEP_2)
	v_cmp_eq_u32_e32 vcc_lo, 0, v3
	v_cndmask_b32_e32 v3, v4, v75, vcc_lo
; %bb.92:
	s_or_b32 exec_lo, exec_lo, s3
	v_and_b32_e32 v4, 0x7f800000, v76
	s_delay_alu instid0(VALU_DEP_1) | instskip(SKIP_1) | instid1(SALU_CYCLE_1)
	v_cmp_ne_u32_e32 vcc_lo, 0x7f800000, v4
                                        ; implicit-def: $vgpr4
	s_and_saveexec_b32 s3, vcc_lo
	s_xor_b32 s3, exec_lo, s3
; %bb.93:
	v_bfe_u32 v4, v76, 16, 1
	s_delay_alu instid0(VALU_DEP_1)
	v_add3_u32 v4, v76, v4, 0x7fff
; %bb.94:
	s_and_not1_saveexec_b32 s3, s3
; %bb.95:
	v_and_b32_e32 v4, 0xffff, v76
	v_or_b32_e32 v5, 0x10000, v76
	s_delay_alu instid0(VALU_DEP_2) | instskip(NEXT) | instid1(VALU_DEP_2)
	v_cmp_eq_u32_e32 vcc_lo, 0, v4
	v_cndmask_b32_e32 v4, v5, v76, vcc_lo
; %bb.96:
	s_or_b32 exec_lo, exec_lo, s3
	v_and_b32_e32 v5, 0x7f800000, v77
	s_delay_alu instid0(VALU_DEP_1) | instskip(SKIP_1) | instid1(SALU_CYCLE_1)
	v_cmp_ne_u32_e32 vcc_lo, 0x7f800000, v5
                                        ; implicit-def: $vgpr5
	s_and_saveexec_b32 s3, vcc_lo
	s_xor_b32 s3, exec_lo, s3
; %bb.97:
	v_bfe_u32 v5, v77, 16, 1
	s_delay_alu instid0(VALU_DEP_1)
	v_add3_u32 v5, v77, v5, 0x7fff
; %bb.98:
	s_and_not1_saveexec_b32 s3, s3
; %bb.99:
	v_and_b32_e32 v5, 0xffff, v77
	v_or_b32_e32 v6, 0x10000, v77
	s_delay_alu instid0(VALU_DEP_2) | instskip(NEXT) | instid1(VALU_DEP_2)
	v_cmp_eq_u32_e32 vcc_lo, 0, v5
	v_cndmask_b32_e32 v5, v6, v77, vcc_lo
; %bb.100:
	s_or_b32 exec_lo, exec_lo, s3
	v_and_b32_e32 v6, 0x7f800000, v78
	s_delay_alu instid0(VALU_DEP_1) | instskip(SKIP_1) | instid1(SALU_CYCLE_1)
	v_cmp_ne_u32_e32 vcc_lo, 0x7f800000, v6
                                        ; implicit-def: $vgpr6
	s_and_saveexec_b32 s3, vcc_lo
	s_xor_b32 s3, exec_lo, s3
; %bb.101:
	v_bfe_u32 v6, v78, 16, 1
	s_delay_alu instid0(VALU_DEP_1)
	v_add3_u32 v6, v78, v6, 0x7fff
; %bb.102:
	s_and_not1_saveexec_b32 s3, s3
; %bb.103:
	v_and_b32_e32 v6, 0xffff, v78
	v_or_b32_e32 v7, 0x10000, v78
	s_delay_alu instid0(VALU_DEP_2) | instskip(NEXT) | instid1(VALU_DEP_2)
	v_cmp_eq_u32_e32 vcc_lo, 0, v6
	v_cndmask_b32_e32 v6, v7, v78, vcc_lo
; %bb.104:
	s_or_b32 exec_lo, exec_lo, s3
	v_and_b32_e32 v7, 0x7f800000, v79
	s_delay_alu instid0(VALU_DEP_1) | instskip(SKIP_1) | instid1(SALU_CYCLE_1)
	v_cmp_ne_u32_e32 vcc_lo, 0x7f800000, v7
                                        ; implicit-def: $vgpr7
	s_and_saveexec_b32 s3, vcc_lo
	s_xor_b32 s3, exec_lo, s3
; %bb.105:
	v_bfe_u32 v7, v79, 16, 1
	s_delay_alu instid0(VALU_DEP_1)
	v_add3_u32 v7, v79, v7, 0x7fff
; %bb.106:
	s_and_not1_saveexec_b32 s3, s3
; %bb.107:
	v_and_b32_e32 v7, 0xffff, v79
	v_or_b32_e32 v8, 0x10000, v79
	s_delay_alu instid0(VALU_DEP_2) | instskip(NEXT) | instid1(VALU_DEP_2)
	v_cmp_eq_u32_e32 vcc_lo, 0, v7
	v_cndmask_b32_e32 v7, v8, v79, vcc_lo
; %bb.108:
	s_or_b32 exec_lo, exec_lo, s3
	v_and_b32_e32 v8, 0x7f800000, v80
	s_delay_alu instid0(VALU_DEP_1) | instskip(SKIP_1) | instid1(SALU_CYCLE_1)
	v_cmp_ne_u32_e32 vcc_lo, 0x7f800000, v8
                                        ; implicit-def: $vgpr8
	s_and_saveexec_b32 s3, vcc_lo
	s_xor_b32 s3, exec_lo, s3
; %bb.109:
	v_bfe_u32 v8, v80, 16, 1
	s_delay_alu instid0(VALU_DEP_1)
	v_add3_u32 v8, v80, v8, 0x7fff
                                        ; implicit-def: $vgpr73_vgpr74_vgpr75_vgpr76_vgpr77_vgpr78_vgpr79_vgpr80
; %bb.110:
	s_and_not1_saveexec_b32 s3, s3
; %bb.111:
	v_and_b32_e32 v8, 0xffff, v80
	v_or_b32_e32 v9, 0x10000, v80
	s_delay_alu instid0(VALU_DEP_2) | instskip(NEXT) | instid1(VALU_DEP_2)
	v_cmp_eq_u32_e32 vcc_lo, 0, v8
	v_cndmask_b32_e32 v8, v9, v80, vcc_lo
; %bb.112:
	s_or_b32 exec_lo, exec_lo, s3
	s_delay_alu instid0(VALU_DEP_1)
	v_perm_b32 v7, v8, v7, 0x7060302
	v_perm_b32 v6, v6, v5, 0x7060302
	;; [unrolled: 1-line block ×4, first 2 shown]
	v_lshl_or_b32 v9, v83, 4, v90
	s_barrier
	buffer_gl0_inv
	v_cmp_eq_u32_e32 vcc_lo, 1, v87
	ds_store_b128 v9, v[4:7]
	s_waitcnt lgkmcnt(0)
	s_barrier
	buffer_gl0_inv
	ds_load_b128 v[1:4], v90
	ds_load_b128 v[5:8], v90 offset:16
	v_cmp_eq_u32_e64 s4, 2, v87
	v_cmp_eq_u32_e64 s3, 1, v88
	;; [unrolled: 1-line block ×5, first 2 shown]
	s_waitcnt lgkmcnt(1)
	v_lshrrev_b32_e32 v10, 16, v1
	s_waitcnt lgkmcnt(0)
	v_lshrrev_b32_e32 v14, 16, v5
	v_lshrrev_b32_e32 v15, 16, v6
	;; [unrolled: 1-line block ×4, first 2 shown]
	v_cndmask_b32_e64 v20, v1, v10, s3
	v_cndmask_b32_e32 v19, v5, v14, vcc_lo
	v_cndmask_b32_e64 v21, v5, v14, s3
	v_lshrrev_b32_e32 v16, 16, v7
	v_cmp_eq_u32_e64 s3, 1, v86
	v_lshrrev_b32_e32 v13, 16, v4
	v_cndmask_b32_e64 v19, v19, v6, s4
	v_lshrrev_b32_e32 v17, 16, v8
	s_delay_alu instid0(VALU_DEP_4) | instskip(SKIP_1) | instid1(VALU_DEP_4)
	v_cndmask_b32_e64 v22, v1, v10, s3
	v_cndmask_b32_e64 v23, v5, v14, s3
	;; [unrolled: 1-line block ×3, first 2 shown]
	v_cndmask_b32_e32 v18, v1, v10, vcc_lo
	v_cmp_eq_u32_e32 vcc_lo, 2, v88
	v_cmp_eq_u32_e64 s3, 2, v89
	v_cndmask_b32_e64 v22, v22, v2, s7
	v_cndmask_b32_e32 v20, v20, v2, vcc_lo
	v_cndmask_b32_e32 v21, v21, v6, vcc_lo
	v_cmp_eq_u32_e32 vcc_lo, 4, v87
	v_cndmask_b32_e32 v19, v19, v7, vcc_lo
	v_cndmask_b32_e64 v18, v18, v2, s4
	v_cmp_eq_u32_e64 s4, 3, v88
	s_delay_alu instid0(VALU_DEP_2) | instskip(NEXT) | instid1(VALU_DEP_2)
	v_cndmask_b32_e64 v18, v18, v11, s5
	v_cndmask_b32_e64 v21, v21, v15, s4
	v_cmp_eq_u32_e64 s5, 5, v87
	s_delay_alu instid0(VALU_DEP_3) | instskip(SKIP_1) | instid1(VALU_DEP_3)
	v_cndmask_b32_e32 v18, v18, v3, vcc_lo
	v_cmp_eq_u32_e32 vcc_lo, 4, v88
	v_cndmask_b32_e64 v19, v19, v16, s5
	s_delay_alu instid0(VALU_DEP_3) | instskip(SKIP_4) | instid1(VALU_DEP_3)
	v_cndmask_b32_e64 v18, v18, v12, s5
	v_cndmask_b32_e32 v21, v21, v7, vcc_lo
	v_cndmask_b32_e64 v20, v20, v11, s4
	v_cmp_eq_u32_e64 s4, 5, v88
	v_cmp_eq_u32_e64 s5, 6, v87
	v_cndmask_b32_e32 v20, v20, v3, vcc_lo
	s_delay_alu instid0(VALU_DEP_3) | instskip(SKIP_1) | instid1(VALU_DEP_4)
	v_cndmask_b32_e64 v21, v21, v16, s4
	v_cmp_eq_u32_e32 vcc_lo, 6, v88
	v_cndmask_b32_e64 v18, v18, v4, s5
	v_cndmask_b32_e64 v19, v19, v8, s5
	v_cndmask_b32_e64 v20, v20, v12, s4
	v_cmp_eq_u32_e64 s4, 1, v89
	v_cmp_eq_u32_e64 s5, 7, v87
	s_delay_alu instid0(VALU_DEP_3) | instskip(NEXT) | instid1(VALU_DEP_3)
	v_cndmask_b32_e32 v20, v20, v4, vcc_lo
	v_cndmask_b32_e64 v1, v1, v10, s4
	v_cndmask_b32_e64 v5, v5, v14, s4
	v_cmp_eq_u32_e64 s4, 3, v86
	v_cndmask_b32_e64 v14, v23, v6, s7
	v_cmp_eq_u32_e64 s7, 3, v89
	v_cndmask_b32_e64 v1, v1, v2, s3
	v_cndmask_b32_e64 v2, v5, v6, s3
	;; [unrolled: 1-line block ×3, first 2 shown]
	v_cmp_eq_u32_e64 s3, 4, v86
	v_cndmask_b32_e64 v6, v14, v15, s4
	v_cndmask_b32_e64 v1, v1, v11, s7
	v_cmp_eq_u32_e64 s4, 4, v89
	v_cndmask_b32_e64 v2, v2, v15, s7
	v_cndmask_b32_e64 v5, v10, v3, s3
	;; [unrolled: 3-line block ×3, first 2 shown]
	v_cndmask_b32_e64 v2, v2, v7, s4
	v_cmp_eq_u32_e64 s3, 5, v89
	v_cndmask_b32_e64 v5, v5, v12, s7
	v_cmp_eq_u32_e64 s4, 6, v86
	;; [unrolled: 2-line block ×3, first 2 shown]
	v_cndmask_b32_e64 v1, v1, v12, s3
	v_cndmask_b32_e64 v2, v2, v16, s3
	;; [unrolled: 1-line block ×4, first 2 shown]
	v_cmp_eq_u32_e64 s3, 7, v89
	v_cndmask_b32_e64 v1, v1, v4, s7
	v_cndmask_b32_e64 v2, v2, v8, s7
	v_cmp_eq_u32_e64 s4, 7, v86
	v_cndmask_b32_e32 v4, v21, v8, vcc_lo
	v_cndmask_b32_e64 v18, v18, v13, s5
	v_cndmask_b32_e64 v20, v20, v13, s6
	;; [unrolled: 1-line block ×8, first 2 shown]
	s_mov_b32 s3, exec_lo
	v_perm_b32 v4, v2, v1, 0x5040100
	v_perm_b32 v3, v3, v5, 0x5040100
	;; [unrolled: 1-line block ×4, first 2 shown]
	ds_store_b128 v9, v[1:4]
	s_waitcnt lgkmcnt(0)
	s_barrier
	buffer_gl0_inv
	v_cmpx_gt_u32_e32 32, v0
	s_cbranch_execz .LBB768_2
; %bb.113:
	s_load_b64 s[4:5], s[0:1], 0x68
	v_lshlrev_b32_e32 v0, 10, v0
	v_lshlrev_b32_e32 v2, 4, v84
	v_add_nc_u32_e32 v1, s31, v83
	s_lshl_b32 s0, s34, 7
	s_delay_alu instid0(SALU_CYCLE_1) | instskip(NEXT) | instid1(VALU_DEP_2)
	s_mul_i32 s1, s0, s30
	v_and_or_b32 v0, 0x3800, v0, v2
	s_mul_i32 s6, s1, s8
	v_mul_lo_u32 v1, v1, s0
	s_ashr_i32 s7, s6, 31
	s_delay_alu instid0(VALU_DEP_2) | instskip(SKIP_1) | instid1(VALU_DEP_2)
	v_lshl_or_b32 v3, v83, 6, v0
	s_lshl_b64 s[6:7], s[6:7], 1
	v_ashrrev_i32_e32 v2, 31, v1
	ds_load_b128 v[3:6], v3
	s_waitcnt lgkmcnt(0)
	s_add_u32 s1, s4, s6
	s_addc_u32 s3, s5, s7
	s_lshl_b32 s4, s14, 7
	v_lshlrev_b64 v[7:8], 1, v[1:2]
	s_ashr_i32 s5, s4, 31
	s_delay_alu instid0(SALU_CYCLE_1) | instskip(NEXT) | instid1(SALU_CYCLE_1)
	s_lshl_b64 s[4:5], s[4:5], 1
	s_add_u32 s1, s1, s4
	s_addc_u32 s3, s3, s5
	v_add_co_u32 v1, vcc_lo, s1, v81
	v_add_co_ci_u32_e32 v2, vcc_lo, s3, v82, vcc_lo
	s_delay_alu instid0(VALU_DEP_2) | instskip(NEXT) | instid1(VALU_DEP_2)
	v_add_co_u32 v7, vcc_lo, v1, v7
	v_add_co_ci_u32_e32 v8, vcc_lo, v2, v8, vcc_lo
	global_store_b128 v[7:8], v[3:6], off
	s_and_b32 exec_lo, exec_lo, s2
	s_cbranch_execz .LBB768_2
; %bb.114:
	ds_load_b128 v[3:6], v0 offset:128
	s_add_i32 s1, s31, 2
	s_delay_alu instid0(SALU_CYCLE_1) | instskip(NEXT) | instid1(SALU_CYCLE_1)
	s_mul_i32 s0, s1, s0
	s_ashr_i32 s1, s0, 31
	s_delay_alu instid0(SALU_CYCLE_1) | instskip(NEXT) | instid1(SALU_CYCLE_1)
	s_lshl_b64 s[0:1], s[0:1], 1
	v_add_co_u32 v0, vcc_lo, v1, s0
	v_add_co_ci_u32_e32 v1, vcc_lo, s1, v2, vcc_lo
	s_waitcnt lgkmcnt(0)
	global_store_b128 v[0:1], v[3:6], off
	s_nop 0
	s_sendmsg sendmsg(MSG_DEALLOC_VGPRS)
	s_endpgm
	.section	.rodata,"a",@progbits
	.p2align	6, 0x0
	.amdhsa_kernel _Z39paged_attention_ll4mi_QKV_mfma16_kernelI14__hip_bfloat16S0_LN4vllm18Fp8KVCacheDataTypeE0ES0_Li32ELi128ELi256ELb0ELi3EL8MFMAType0EEvPKT_PKT0_S9_ifPKiSB_SB_iPKfiiiPfSE_PS4_PT2_iSD_SD_
		.amdhsa_group_segment_fixed_size 17472
		.amdhsa_private_segment_fixed_size 0
		.amdhsa_kernarg_size 400
		.amdhsa_user_sgpr_count 13
		.amdhsa_user_sgpr_dispatch_ptr 0
		.amdhsa_user_sgpr_queue_ptr 0
		.amdhsa_user_sgpr_kernarg_segment_ptr 1
		.amdhsa_user_sgpr_dispatch_id 0
		.amdhsa_user_sgpr_private_segment_size 0
		.amdhsa_wavefront_size32 1
		.amdhsa_uses_dynamic_stack 0
		.amdhsa_enable_private_segment 0
		.amdhsa_system_sgpr_workgroup_id_x 1
		.amdhsa_system_sgpr_workgroup_id_y 1
		.amdhsa_system_sgpr_workgroup_id_z 1
		.amdhsa_system_sgpr_workgroup_info 0
		.amdhsa_system_vgpr_workitem_id 0
		.amdhsa_next_free_vgpr 157
		.amdhsa_next_free_sgpr 37
		.amdhsa_reserve_vcc 1
		.amdhsa_float_round_mode_32 0
		.amdhsa_float_round_mode_16_64 0
		.amdhsa_float_denorm_mode_32 3
		.amdhsa_float_denorm_mode_16_64 3
		.amdhsa_dx10_clamp 1
		.amdhsa_ieee_mode 1
		.amdhsa_fp16_overflow 0
		.amdhsa_workgroup_processor_mode 1
		.amdhsa_memory_ordered 1
		.amdhsa_forward_progress 0
		.amdhsa_shared_vgpr_count 0
		.amdhsa_exception_fp_ieee_invalid_op 0
		.amdhsa_exception_fp_denorm_src 0
		.amdhsa_exception_fp_ieee_div_zero 0
		.amdhsa_exception_fp_ieee_overflow 0
		.amdhsa_exception_fp_ieee_underflow 0
		.amdhsa_exception_fp_ieee_inexact 0
		.amdhsa_exception_int_div_zero 0
	.end_amdhsa_kernel
	.section	.text._Z39paged_attention_ll4mi_QKV_mfma16_kernelI14__hip_bfloat16S0_LN4vllm18Fp8KVCacheDataTypeE0ES0_Li32ELi128ELi256ELb0ELi3EL8MFMAType0EEvPKT_PKT0_S9_ifPKiSB_SB_iPKfiiiPfSE_PS4_PT2_iSD_SD_,"axG",@progbits,_Z39paged_attention_ll4mi_QKV_mfma16_kernelI14__hip_bfloat16S0_LN4vllm18Fp8KVCacheDataTypeE0ES0_Li32ELi128ELi256ELb0ELi3EL8MFMAType0EEvPKT_PKT0_S9_ifPKiSB_SB_iPKfiiiPfSE_PS4_PT2_iSD_SD_,comdat
.Lfunc_end768:
	.size	_Z39paged_attention_ll4mi_QKV_mfma16_kernelI14__hip_bfloat16S0_LN4vllm18Fp8KVCacheDataTypeE0ES0_Li32ELi128ELi256ELb0ELi3EL8MFMAType0EEvPKT_PKT0_S9_ifPKiSB_SB_iPKfiiiPfSE_PS4_PT2_iSD_SD_, .Lfunc_end768-_Z39paged_attention_ll4mi_QKV_mfma16_kernelI14__hip_bfloat16S0_LN4vllm18Fp8KVCacheDataTypeE0ES0_Li32ELi128ELi256ELb0ELi3EL8MFMAType0EEvPKT_PKT0_S9_ifPKiSB_SB_iPKfiiiPfSE_PS4_PT2_iSD_SD_
                                        ; -- End function
	.section	.AMDGPU.csdata,"",@progbits
; Kernel info:
; codeLenInByte = 9664
; NumSgprs: 39
; NumVgprs: 157
; ScratchSize: 0
; MemoryBound: 0
; FloatMode: 240
; IeeeMode: 1
; LDSByteSize: 17472 bytes/workgroup (compile time only)
; SGPRBlocks: 4
; VGPRBlocks: 19
; NumSGPRsForWavesPerEU: 39
; NumVGPRsForWavesPerEU: 157
; Occupancy: 9
; WaveLimiterHint : 1
; COMPUTE_PGM_RSRC2:SCRATCH_EN: 0
; COMPUTE_PGM_RSRC2:USER_SGPR: 13
; COMPUTE_PGM_RSRC2:TRAP_HANDLER: 0
; COMPUTE_PGM_RSRC2:TGID_X_EN: 1
; COMPUTE_PGM_RSRC2:TGID_Y_EN: 1
; COMPUTE_PGM_RSRC2:TGID_Z_EN: 1
; COMPUTE_PGM_RSRC2:TIDIG_COMP_CNT: 0
	.section	.text._Z39paged_attention_ll4mi_QKV_mfma16_kernelI14__hip_bfloat16S0_LN4vllm18Fp8KVCacheDataTypeE0ES0_Li32ELi128ELi256ELb0ELi4EL8MFMAType0EEvPKT_PKT0_S9_ifPKiSB_SB_iPKfiiiPfSE_PS4_PT2_iSD_SD_,"axG",@progbits,_Z39paged_attention_ll4mi_QKV_mfma16_kernelI14__hip_bfloat16S0_LN4vllm18Fp8KVCacheDataTypeE0ES0_Li32ELi128ELi256ELb0ELi4EL8MFMAType0EEvPKT_PKT0_S9_ifPKiSB_SB_iPKfiiiPfSE_PS4_PT2_iSD_SD_,comdat
	.protected	_Z39paged_attention_ll4mi_QKV_mfma16_kernelI14__hip_bfloat16S0_LN4vllm18Fp8KVCacheDataTypeE0ES0_Li32ELi128ELi256ELb0ELi4EL8MFMAType0EEvPKT_PKT0_S9_ifPKiSB_SB_iPKfiiiPfSE_PS4_PT2_iSD_SD_ ; -- Begin function _Z39paged_attention_ll4mi_QKV_mfma16_kernelI14__hip_bfloat16S0_LN4vllm18Fp8KVCacheDataTypeE0ES0_Li32ELi128ELi256ELb0ELi4EL8MFMAType0EEvPKT_PKT0_S9_ifPKiSB_SB_iPKfiiiPfSE_PS4_PT2_iSD_SD_
	.globl	_Z39paged_attention_ll4mi_QKV_mfma16_kernelI14__hip_bfloat16S0_LN4vllm18Fp8KVCacheDataTypeE0ES0_Li32ELi128ELi256ELb0ELi4EL8MFMAType0EEvPKT_PKT0_S9_ifPKiSB_SB_iPKfiiiPfSE_PS4_PT2_iSD_SD_
	.p2align	8
	.type	_Z39paged_attention_ll4mi_QKV_mfma16_kernelI14__hip_bfloat16S0_LN4vllm18Fp8KVCacheDataTypeE0ES0_Li32ELi128ELi256ELb0ELi4EL8MFMAType0EEvPKT_PKT0_S9_ifPKiSB_SB_iPKfiiiPfSE_PS4_PT2_iSD_SD_,@function
_Z39paged_attention_ll4mi_QKV_mfma16_kernelI14__hip_bfloat16S0_LN4vllm18Fp8KVCacheDataTypeE0ES0_Li32ELi128ELi256ELb0ELi4EL8MFMAType0EEvPKT_PKT0_S9_ifPKiSB_SB_iPKfiiiPfSE_PS4_PT2_iSD_SD_: ; @_Z39paged_attention_ll4mi_QKV_mfma16_kernelI14__hip_bfloat16S0_LN4vllm18Fp8KVCacheDataTypeE0ES0_Li32ELi128ELi256ELb0ELi4EL8MFMAType0EEvPKT_PKT0_S9_ifPKiSB_SB_iPKfiiiPfSE_PS4_PT2_iSD_SD_
; %bb.0:
	s_load_b64 s[2:3], s[0:1], 0x30
	s_mov_b32 s30, s13
	s_waitcnt lgkmcnt(0)
	s_cmp_lg_u64 s[2:3], 0
	s_cselect_b32 s6, -1, 0
	s_ashr_i32 s31, s13, 31
	s_cmp_eq_u64 s[2:3], 0
	s_cbranch_scc1 .LBB769_3
; %bb.1:
	s_lshl_b64 s[4:5], s[30:31], 2
	s_delay_alu instid0(SALU_CYCLE_1) | instskip(SKIP_4) | instid1(SALU_CYCLE_1)
	s_add_u32 s4, s2, s4
	s_addc_u32 s5, s3, s5
	s_load_b64 s[4:5], s[4:5], 0x0
	s_waitcnt lgkmcnt(0)
	s_sub_i32 s4, s5, s4
	s_cmp_eq_u32 s4, 1
	s_cselect_b32 s4, -1, 0
	s_delay_alu instid0(SALU_CYCLE_1)
	s_and_not1_b32 vcc_lo, exec_lo, s4
	s_cbranch_vccz .LBB769_4
.LBB769_2:
	s_endpgm
.LBB769_3:
.LBB769_4:
	s_load_b64 s[8:9], s[0:1], 0x28
	s_lshl_b64 s[4:5], s[30:31], 2
	s_waitcnt lgkmcnt(0)
	s_add_u32 s8, s8, s4
	s_addc_u32 s9, s9, s5
	s_lshl_b32 s12, s14, 8
	s_load_b32 s17, s[8:9], 0x0
	s_waitcnt lgkmcnt(0)
	s_cmp_ge_i32 s12, s17
	s_cbranch_scc1 .LBB769_2
; %bb.5:
	s_and_not1_b32 vcc_lo, exec_lo, s6
	s_cbranch_vccnz .LBB769_7
; %bb.6:
	s_add_u32 s2, s2, s4
	s_addc_u32 s3, s3, s5
	s_load_b32 s13, s[2:3], 0x0
	s_branch .LBB769_8
.LBB769_7:
	s_mov_b32 s13, s30
.LBB769_8:
	s_clause 0x2
	s_load_b128 s[8:11], s[0:1], 0x8
	s_load_b64 s[2:3], s[0:1], 0x20
	s_load_b128 s[4:7], s[0:1], 0x48
	v_and_b32_e32 v74, 15, v0
	s_waitcnt lgkmcnt(0)
	s_mov_b32 s7, exec_lo
	s_delay_alu instid0(VALU_DEP_1)
	v_lshlrev_b32_e32 v1, 3, v74
	v_cmpx_lt_u32_e32 63, v0
	s_xor_b32 s7, exec_lo, s7
; %bb.9:
	v_mov_b32_e32 v2, 0
; %bb.10:
	s_or_saveexec_b32 s7, s7
	v_lshrrev_b32_e32 v73, 5, v0
	v_and_b32_e32 v75, 31, v0
	v_and_b32_e32 v84, 1, v0
	v_bfe_u32 v83, v0, 4, 1
	s_lshl_b32 s29, s15, 2
	s_xor_b32 exec_lo, exec_lo, s7
	s_cbranch_execz .LBB769_12
; %bb.11:
	s_delay_alu instid0(VALU_DEP_1)
	v_lshl_or_b32 v7, v73, 1, v83
	s_load_b64 s[18:19], s[0:1], 0x0
	s_mul_hi_i32 s21, s13, s4
	s_mul_i32 s20, s13, s4
	v_lshlrev_b32_e32 v4, 1, v1
	v_or_b32_e32 v2, s29, v7
	s_lshl_b64 s[20:21], s[20:21], 1
	v_lshlrev_b32_e32 v7, 6, v7
	v_lshlrev_b32_e32 v8, 10, v84
	s_delay_alu instid0(VALU_DEP_3) | instskip(NEXT) | instid1(VALU_DEP_1)
	v_lshlrev_b32_e32 v2, 7, v2
	v_ashrrev_i32_e32 v3, 31, v2
	s_delay_alu instid0(VALU_DEP_1) | instskip(SKIP_3) | instid1(VALU_DEP_1)
	v_lshlrev_b64 v[2:3], 1, v[2:3]
	s_waitcnt lgkmcnt(0)
	s_add_u32 s4, s18, s20
	s_addc_u32 s13, s19, s21
	v_add_co_u32 v2, vcc_lo, s4, v2
	s_delay_alu instid0(VALU_DEP_2) | instskip(NEXT) | instid1(VALU_DEP_2)
	v_add_co_ci_u32_e32 v3, vcc_lo, s13, v3, vcc_lo
	v_add_co_u32 v2, vcc_lo, v2, v4
	s_delay_alu instid0(VALU_DEP_2) | instskip(SKIP_2) | instid1(VALU_DEP_1)
	v_add_co_ci_u32_e32 v3, vcc_lo, 0, v3, vcc_lo
	global_load_b128 v[3:6], v[2:3], off
	v_lshlrev_b32_e32 v2, 10, v74
	v_and_b32_e32 v2, 0x3800, v2
	s_delay_alu instid0(VALU_DEP_1)
	v_or3_b32 v7, v2, v8, v7
	v_mov_b32_e32 v2, 0
	s_waitcnt vmcnt(0)
	ds_store_b128 v7, v[3:6]
.LBB769_12:
	s_or_b32 exec_lo, exec_lo, s7
	v_and_b32_e32 v3, 0xef, v0
	s_add_i32 s4, s17, 31
	s_clause 0x1
	s_load_b32 s7, s[0:1], 0x38
	s_load_b32 s18, s[0:1], 0x1c
	s_ashr_i32 s13, s4, 31
	v_add_nc_u32_e32 v3, s12, v3
	s_lshr_b32 s13, s13, 27
	s_waitcnt lgkmcnt(0)
	s_add_i32 s4, s4, s13
	s_barrier
	v_ashrrev_i32_e32 v4, 31, v3
	v_cmp_gt_i32_e32 vcc_lo, s17, v3
	s_ashr_i32 s4, s4, 5
	buffer_gl0_inv
	s_add_i32 s4, s4, -1
	v_lshrrev_b32_e32 v5, 27, v4
	v_or_b32_e32 v4, 16, v3
	v_lshlrev_b64 v[81:82], 1, v[1:2]
	v_and_b32_e32 v80, 3, v0
	s_delay_alu instid0(VALU_DEP_4) | instskip(NEXT) | instid1(VALU_DEP_4)
	v_add_nc_u32_e32 v6, v3, v5
	v_add_nc_u32_e32 v5, v4, v5
	s_mul_i32 s20, s30, s7
	s_delay_alu instid0(VALU_DEP_3) | instskip(SKIP_4) | instid1(SALU_CYCLE_1)
	v_lshlrev_b32_e32 v80, 6, v80
	s_ashr_i32 s21, s20, 31
	v_ashrrev_i32_e32 v6, 5, v6
	v_ashrrev_i32_e32 v5, 5, v5
	s_lshl_b64 s[20:21], s[20:21], 2
	s_add_u32 s7, s2, s20
	s_delay_alu instid0(VALU_DEP_2) | instskip(SKIP_3) | instid1(VALU_DEP_2)
	v_cndmask_b32_e32 v3, s4, v6, vcc_lo
	v_cmp_gt_i32_e32 vcc_lo, s17, v4
	s_addc_u32 s13, s3, s21
	s_mul_i32 s2, s15, s6
	v_ashrrev_i32_e32 v4, 31, v3
	v_cndmask_b32_e32 v5, s4, v5, vcc_lo
	s_ashr_i32 s3, s2, 31
	s_delay_alu instid0(SALU_CYCLE_1) | instskip(NEXT) | instid1(VALU_DEP_2)
	s_lshl_b64 s[2:3], s[2:3], 1
	v_lshlrev_b64 v[3:4], 2, v[3:4]
	s_delay_alu instid0(VALU_DEP_2) | instskip(SKIP_3) | instid1(VALU_DEP_1)
	v_ashrrev_i32_e32 v6, 31, v5
	s_add_u32 s6, s8, s2
	s_addc_u32 s15, s9, s3
	s_lshl_b32 s8, s14, 3
	v_lshlrev_b64 v[5:6], 2, v[5:6]
	v_add_co_u32 v3, vcc_lo, s7, v3
	v_add_co_ci_u32_e32 v4, vcc_lo, s13, v4, vcc_lo
	s_ashr_i32 s9, s8, 31
	s_delay_alu instid0(VALU_DEP_3) | instskip(NEXT) | instid1(VALU_DEP_4)
	v_add_co_u32 v5, vcc_lo, s7, v5
	v_add_co_ci_u32_e32 v6, vcc_lo, s13, v6, vcc_lo
	s_lshl_b64 s[8:9], s[8:9], 2
	s_clause 0x1
	global_load_b32 v7, v[3:4], off
	global_load_b32 v8, v[5:6], off
	s_add_u32 s8, s7, s8
	s_addc_u32 s9, s13, s9
	s_or_b32 s16, s12, 32
	s_delay_alu instid0(SALU_CYCLE_1) | instskip(SKIP_2) | instid1(SALU_CYCLE_1)
	s_ashr_i32 s19, s16, 5
	s_cmp_lt_i32 s16, s17
	s_cselect_b32 s20, s19, s4
	s_ashr_i32 s21, s20, 31
	s_delay_alu instid0(SALU_CYCLE_1) | instskip(NEXT) | instid1(SALU_CYCLE_1)
	s_lshl_b64 s[20:21], s[20:21], 2
	s_add_u32 s20, s7, s20
	s_addc_u32 s21, s13, s21
	s_or_b32 s16, s12, 64
	s_delay_alu instid0(SALU_CYCLE_1) | instskip(SKIP_2) | instid1(SALU_CYCLE_1)
	s_ashr_i32 s19, s16, 5
	s_cmp_lt_i32 s16, s17
	s_cselect_b32 s22, s19, s4
	s_ashr_i32 s23, s22, 31
	s_delay_alu instid0(SALU_CYCLE_1) | instskip(NEXT) | instid1(SALU_CYCLE_1)
	s_lshl_b64 s[22:23], s[22:23], 2
	;; [unrolled: 10-line block ×5, first 2 shown]
	s_add_u32 s34, s7, s34
	s_addc_u32 s35, s13, s35
	s_clause 0x5
	s_load_b32 s16, s[8:9], 0x0
	s_load_b32 s19, s[20:21], 0x0
	;; [unrolled: 1-line block ×6, first 2 shown]
	s_mov_b32 s20, 0
	s_delay_alu instid0(SALU_CYCLE_1)
	s_mov_b32 s27, s20
	s_mov_b32 s21, s20
	;; [unrolled: 1-line block ×7, first 2 shown]
	s_delay_alu instid0(SALU_CYCLE_1)
	v_dual_mov_b32 v108, s27 :: v_dual_mov_b32 v107, s26
	v_dual_mov_b32 v106, s25 :: v_dual_mov_b32 v105, s24
	v_mov_b32_e32 v102, s21
	v_dual_mov_b32 v104, s23 :: v_dual_mov_b32 v103, s22
	v_mov_b32_e32 v101, s20
	s_waitcnt lgkmcnt(0)
	s_mul_hi_i32 s21, s16, s5
	s_mul_i32 s20, s16, s5
	s_mul_hi_i32 s23, s19, s5
	s_mul_i32 s22, s19, s5
	;; [unrolled: 2-line block ×5, first 2 shown]
	s_waitcnt vmcnt(1)
	v_mad_i64_i32 v[3:4], null, v7, s5, 0
	s_waitcnt vmcnt(0)
	v_mad_i64_i32 v[5:6], null, v8, s5, 0
	s_delay_alu instid0(VALU_DEP_2) | instskip(NEXT) | instid1(VALU_DEP_2)
	v_lshlrev_b64 v[3:4], 1, v[3:4]
	v_lshlrev_b64 v[1:2], 1, v[5:6]
	s_delay_alu instid0(VALU_DEP_2) | instskip(NEXT) | instid1(VALU_DEP_3)
	v_add_co_u32 v3, vcc_lo, s6, v3
	v_add_co_ci_u32_e32 v4, vcc_lo, s15, v4, vcc_lo
	s_delay_alu instid0(VALU_DEP_3) | instskip(NEXT) | instid1(VALU_DEP_4)
	v_add_co_u32 v1, vcc_lo, s6, v1
	v_add_co_ci_u32_e32 v2, vcc_lo, s15, v2, vcc_lo
	s_delay_alu instid0(VALU_DEP_4) | instskip(NEXT) | instid1(VALU_DEP_4)
	v_add_co_u32 v65, vcc_lo, v3, v81
	v_add_co_ci_u32_e32 v66, vcc_lo, v4, v82, vcc_lo
	s_delay_alu instid0(VALU_DEP_4) | instskip(NEXT) | instid1(VALU_DEP_4)
	v_add_co_u32 v76, vcc_lo, v1, v81
	v_add_co_ci_u32_e32 v77, vcc_lo, v2, v82, vcc_lo
	s_clause 0xf
	global_load_b128 v[1:4], v[65:66], off
	global_load_b128 v[5:8], v[65:66], off offset:512
	global_load_b128 v[9:12], v[76:77], off offset:256
	global_load_b128 v[13:16], v[76:77], off offset:768
	global_load_b128 v[17:20], v[65:66], off offset:1024
	global_load_b128 v[21:24], v[65:66], off offset:1536
	global_load_b128 v[25:28], v[76:77], off offset:1280
	global_load_b128 v[29:32], v[76:77], off offset:1792
	global_load_b128 v[33:36], v[65:66], off offset:2048
	global_load_b128 v[37:40], v[65:66], off offset:2560
	global_load_b128 v[41:44], v[76:77], off offset:2304
	global_load_b128 v[45:48], v[76:77], off offset:2816
	global_load_b128 v[49:52], v[65:66], off offset:3072
	global_load_b128 v[53:56], v[65:66], off offset:3584
	global_load_b128 v[57:60], v[76:77], off offset:3328
	global_load_b128 v[61:64], v[76:77], off offset:3840
	v_add_co_u32 v78, vcc_lo, 0x1000, v65
	v_add_co_ci_u32_e32 v79, vcc_lo, 0, v66, vcc_lo
	v_add_co_u32 v76, vcc_lo, 0x1000, v76
	s_clause 0x1
	global_load_b128 v[65:68], v[78:79], off
	global_load_b128 v[69:72], v[78:79], off offset:512
	v_add_co_ci_u32_e32 v77, vcc_lo, 0, v77, vcc_lo
	ds_load_b128 v[85:88], v80
	ds_load_b128 v[89:92], v80 offset:1024
	s_clause 0x1
	global_load_b128 v[93:96], v[76:77], off offset:256
	global_load_b128 v[97:100], v[76:77], off offset:768
	ds_load_b128 v[109:112], v80 offset:2048
	ds_load_b128 v[113:116], v80 offset:3072
	s_or_b32 s6, s12, 0xc0
	s_delay_alu instid0(SALU_CYCLE_1) | instskip(SKIP_2) | instid1(SALU_CYCLE_1)
	s_ashr_i32 s8, s6, 5
	s_cmp_lt_i32 s6, s17
	s_cselect_b32 s8, s8, s4
	s_ashr_i32 s9, s8, 31
	s_delay_alu instid0(SALU_CYCLE_1) | instskip(NEXT) | instid1(SALU_CYCLE_1)
	s_lshl_b64 s[8:9], s[8:9], 2
	s_add_u32 s8, s7, s8
	s_addc_u32 s9, s13, s9
	s_or_b32 s6, s12, 0xe0
	s_delay_alu instid0(SALU_CYCLE_1) | instskip(SKIP_2) | instid1(SALU_CYCLE_1)
	s_ashr_i32 s15, s6, 5
	s_cmp_lt_i32 s6, s17
	s_cselect_b32 s24, s15, s4
	s_ashr_i32 s25, s24, 31
	s_delay_alu instid0(SALU_CYCLE_1) | instskip(NEXT) | instid1(SALU_CYCLE_1)
	s_lshl_b64 s[24:25], s[24:25], 2
	s_add_u32 s24, s7, s24
	s_addc_u32 s25, s13, s25
	s_add_i32 s6, s12, 0x100
	s_delay_alu instid0(SALU_CYCLE_1) | instskip(SKIP_2) | instid1(SALU_CYCLE_1)
	s_ashr_i32 s15, s6, 5
	s_cmp_lt_i32 s6, s17
	s_cselect_b32 s36, s15, s4
	s_ashr_i32 s37, s36, 31
	s_delay_alu instid0(SALU_CYCLE_1) | instskip(NEXT) | instid1(SALU_CYCLE_1)
	s_lshl_b64 s[36:37], s[36:37], 2
	s_add_u32 s6, s7, s36
	s_addc_u32 s7, s13, s37
	s_add_u32 s4, s10, s2
	s_addc_u32 s19, s11, s3
	s_lshl_b64 s[2:3], s[20:21], 1
	s_lshl_b64 s[10:11], s[26:27], 1
	;; [unrolled: 1-line block ×3, first 2 shown]
	s_waitcnt vmcnt(18) lgkmcnt(2)
	v_wmma_f32_16x16x16_bf16 v[117:124], v[1:8], v[85:92], v[101:108]
	s_waitcnt vmcnt(16)
	v_wmma_f32_16x16x16_bf16 v[101:108], v[9:16], v[85:92], v[101:108]
	s_clause 0x3
	global_load_b128 v[1:4], v[78:79], off offset:1024
	global_load_b128 v[5:8], v[78:79], off offset:1536
	global_load_b128 v[9:12], v[76:77], off offset:1280
	global_load_b128 v[13:16], v[76:77], off offset:1792
	s_waitcnt vmcnt(18) lgkmcnt(0)
	v_wmma_f32_16x16x16_bf16 v[117:124], v[17:24], v[109:116], v[117:124]
	s_clause 0x1
	global_load_b128 v[17:20], v[78:79], off offset:2048
	global_load_b128 v[21:24], v[78:79], off offset:2560
	s_waitcnt vmcnt(18)
	v_wmma_f32_16x16x16_bf16 v[101:108], v[25:32], v[109:116], v[101:108]
	ds_load_b128 v[25:28], v80 offset:4096
	ds_load_b128 v[29:32], v80 offset:5120
	s_clause 0x5
	global_load_b128 v[109:112], v[76:77], off offset:2304
	global_load_b128 v[113:116], v[76:77], off offset:2816
	;; [unrolled: 1-line block ×6, first 2 shown]
	s_waitcnt vmcnt(22) lgkmcnt(0)
	v_wmma_f32_16x16x16_bf16 v[117:124], v[33:40], v[25:32], v[117:124]
	s_waitcnt vmcnt(20)
	v_wmma_f32_16x16x16_bf16 v[101:108], v[41:48], v[25:32], v[101:108]
	ds_load_b128 v[25:28], v80 offset:6144
	ds_load_b128 v[29:32], v80 offset:7168
	;; [unrolled: 1-line block ×4, first 2 shown]
	s_waitcnt vmcnt(18) lgkmcnt(2)
	v_wmma_f32_16x16x16_bf16 v[117:124], v[49:56], v[25:32], v[117:124]
	s_waitcnt vmcnt(16)
	v_wmma_f32_16x16x16_bf16 v[101:108], v[57:64], v[25:32], v[101:108]
	ds_load_b128 v[25:28], v80 offset:10240
	ds_load_b128 v[29:32], v80 offset:11264
	;; [unrolled: 1-line block ×6, first 2 shown]
	s_waitcnt vmcnt(14) lgkmcnt(6)
	v_wmma_f32_16x16x16_bf16 v[117:124], v[65:72], v[33:40], v[117:124]
	s_waitcnt vmcnt(12)
	v_wmma_f32_16x16x16_bf16 v[101:108], v[93:100], v[33:40], v[101:108]
	s_clause 0x2
	s_load_b32 s16, s[8:9], 0x0
	s_load_b32 s13, s[24:25], 0x0
	;; [unrolled: 1-line block ×3, first 2 shown]
	s_lshl_b64 s[6:7], s[22:23], 1
	s_mul_hi_i32 s9, s33, s5
	s_mul_i32 s8, s33, s5
	s_lshl_b64 s[22:23], s[38:39], 1
	s_lshl_b64 s[8:9], s[8:9], 1
	s_waitcnt lgkmcnt(0)
	s_mul_hi_i32 s25, s16, s5
	s_mul_i32 s24, s16, s5
	s_waitcnt vmcnt(10)
	v_wmma_f32_16x16x16_bf16 v[117:124], v[1:8], v[25:32], v[117:124]
	s_waitcnt vmcnt(8)
	v_wmma_f32_16x16x16_bf16 v[101:108], v[9:16], v[25:32], v[101:108]
	s_waitcnt vmcnt(6)
	s_delay_alu instid0(VALU_DEP_2) | instskip(SKIP_1) | instid1(VALU_DEP_2)
	v_wmma_f32_16x16x16_bf16 v[117:124], v[17:24], v[141:148], v[117:124]
	s_waitcnt vmcnt(4)
	v_wmma_f32_16x16x16_bf16 v[101:108], v[109:116], v[141:148], v[101:108]
	s_waitcnt vmcnt(2)
	s_delay_alu instid0(VALU_DEP_2) | instskip(SKIP_3) | instid1(VALU_DEP_3)
	v_wmma_f32_16x16x16_bf16 v[117:124], v[125:132], v[149:156], v[117:124]
	v_lshlrev_b32_e32 v85, 6, v74
	s_waitcnt vmcnt(0)
	v_wmma_f32_16x16x16_bf16 v[101:108], v[133:140], v[149:156], v[101:108]
	v_mul_f32_e32 v100, s18, v124
	s_delay_alu instid0(VALU_DEP_3) | instskip(SKIP_2) | instid1(VALU_DEP_3)
	v_lshl_or_b32 v41, v73, 10, v85
	v_mul_f32_e32 v97, s18, v117
	v_mul_f32_e32 v99, s18, v118
	v_add_co_u32 v76, s4, s4, v41
	s_delay_alu instid0(VALU_DEP_1) | instskip(NEXT) | instid1(VALU_DEP_2)
	v_add_co_ci_u32_e64 v77, null, s19, 0, s4
	v_add_co_u32 v41, vcc_lo, v76, s2
	s_delay_alu instid0(VALU_DEP_2)
	v_add_co_ci_u32_e32 v42, vcc_lo, s3, v77, vcc_lo
	v_add_co_u32 v33, vcc_lo, v76, s6
	v_add_co_ci_u32_e32 v34, vcc_lo, s7, v77, vcc_lo
	v_add_co_u32 v35, vcc_lo, v76, s10
	;; [unrolled: 2-line block ×5, first 2 shown]
	s_lshl_b64 s[2:3], s[24:25], 1
	v_add_co_ci_u32_e32 v6, vcc_lo, s23, v77, vcc_lo
	s_mul_hi_i32 s7, s13, s5
	s_mul_i32 s6, s13, s5
	v_add_co_u32 v17, vcc_lo, v76, s2
	v_add_co_ci_u32_e32 v18, vcc_lo, s3, v77, vcc_lo
	s_lshl_b64 s[2:3], s[6:7], 1
	s_mul_hi_i32 s7, s15, s5
	s_mul_i32 s6, s15, s5
	v_add_co_u32 v19, vcc_lo, v76, s2
	v_add_co_ci_u32_e32 v20, vcc_lo, s3, v77, vcc_lo
	s_lshl_b64 s[2:3], s[6:7], 1
	s_clause 0x1
	global_load_b128 v[65:68], v[41:42], off
	global_load_b128 v[69:72], v[41:42], off offset:16
	v_add_co_u32 v21, vcc_lo, v76, s2
	v_add_co_ci_u32_e32 v22, vcc_lo, s3, v77, vcc_lo
	s_clause 0xf
	global_load_b128 v[57:60], v[33:34], off
	global_load_b128 v[61:64], v[33:34], off offset:16
	global_load_b128 v[49:52], v[35:36], off
	global_load_b128 v[53:56], v[35:36], off offset:16
	;; [unrolled: 2-line block ×8, first 2 shown]
	v_and_b32_e32 v76, 0xe0, v0
	v_mbcnt_lo_u32_b32 v77, -1, 0
	s_waitcnt vmcnt(0)
	s_barrier
	buffer_gl0_inv
	v_add_nc_u32_e32 v76, s12, v76
	v_xor_b32_e32 v78, 16, v77
	s_delay_alu instid0(VALU_DEP_2) | instskip(NEXT) | instid1(VALU_DEP_2)
	v_or_b32_e32 v76, v76, v83
	v_cmp_gt_i32_e32 vcc_lo, 32, v78
	s_delay_alu instid0(VALU_DEP_2)
	v_or_b32_e32 v79, 4, v76
	v_cndmask_b32_e32 v77, v77, v78, vcc_lo
	v_or_b32_e32 v78, 2, v76
	v_or_b32_e32 v80, 6, v76
	v_cmp_gt_i32_e32 vcc_lo, s17, v76
	v_or_b32_e32 v86, 8, v76
	v_or_b32_e32 v87, 10, v76
	v_cmp_gt_i32_e64 s2, s17, v78
	v_or_b32_e32 v88, 12, v76
	v_or_b32_e32 v89, 14, v76
	;; [unrolled: 1-line block ×10, first 2 shown]
	v_cndmask_b32_e32 v76, 0xff7fffff, v97, vcc_lo
	v_cndmask_b32_e64 v78, 0xff7fffff, v99, s2
	v_mul_f32_e32 v99, s18, v120
	v_cmp_gt_i32_e64 s3, s17, v80
	v_mul_f32_e32 v80, s18, v119
	v_cmp_gt_i32_e64 s4, s17, v79
	v_max3_f32 v76, v76, 0xff7fffff, v78
	v_dual_mul_f32 v78, s18, v121 :: v_dual_mul_f32 v79, s18, v122
	v_cmp_gt_i32_e64 s5, s17, v86
	s_delay_alu instid0(VALU_DEP_4)
	v_cndmask_b32_e64 v80, 0xff7fffff, v80, s4
	v_cmp_gt_i32_e64 s6, s17, v87
	v_mul_f32_e32 v86, s18, v107
	v_cndmask_b32_e64 v99, 0xff7fffff, v99, s3
	v_mul_f32_e32 v97, s18, v123
	v_cndmask_b32_e64 v78, 0xff7fffff, v78, s5
	v_cndmask_b32_e64 v79, 0xff7fffff, v79, s6
	v_cmp_gt_i32_e64 s7, s17, v89
	v_max3_f32 v76, v76, v80, v99
	v_cmp_gt_i32_e64 s8, s17, v88
	v_dual_mul_f32 v99, s18, v105 :: v_dual_mul_f32 v88, s18, v102
	v_mul_f32_e32 v89, s18, v101
	s_delay_alu instid0(VALU_DEP_4)
	v_max3_f32 v76, v76, v78, v79
	v_mul_f32_e32 v78, s18, v104
	v_cndmask_b32_e64 v97, 0xff7fffff, v97, s8
	v_cndmask_b32_e64 v100, 0xff7fffff, v100, s7
	v_cmp_gt_i32_e64 s9, s17, v90
	v_cmp_gt_i32_e64 s10, s17, v91
	v_mul_f32_e32 v79, s18, v103
	v_cmp_gt_i32_e64 s11, s17, v92
	v_max3_f32 v76, v76, v97, v100
	v_cndmask_b32_e64 v89, 0xff7fffff, v89, s9
	v_cndmask_b32_e64 v88, 0xff7fffff, v88, s10
	v_cmp_gt_i32_e64 s12, s17, v93
	v_mul_f32_e32 v87, s18, v106
	v_cndmask_b32_e64 v79, 0xff7fffff, v79, s11
	v_cmp_gt_i32_e64 s13, s17, v94
	v_max3_f32 v76, v76, v89, v88
	v_cndmask_b32_e64 v78, 0xff7fffff, v78, s12
	v_cmp_gt_i32_e64 s15, s17, v95
	v_mul_f32_e32 v80, s18, v108
	v_cndmask_b32_e64 v88, 0xff7fffff, v99, s13
	v_cmp_gt_i32_e64 s16, s17, v96
	v_max3_f32 v76, v76, v79, v78
	v_cndmask_b32_e64 v87, 0xff7fffff, v87, s15
	v_cmp_gt_i32_e64 s17, s17, v98
	v_lshlrev_b32_e32 v99, 2, v77
	v_cndmask_b32_e64 v78, 0xff7fffff, v86, s16
	s_delay_alu instid0(VALU_DEP_4) | instskip(NEXT) | instid1(VALU_DEP_4)
	v_max3_f32 v76, v76, v88, v87
	v_cndmask_b32_e64 v79, 0xff7fffff, v80, s17
	s_delay_alu instid0(VALU_DEP_1) | instskip(SKIP_3) | instid1(VALU_DEP_1)
	v_max3_f32 v76, v76, v78, v79
	ds_bpermute_b32 v77, v99, v76
	s_waitcnt lgkmcnt(0)
	v_max_f32_e32 v77, v77, v77
	v_max_f32_e32 v89, v76, v77
	s_delay_alu instid0(VALU_DEP_1) | instskip(SKIP_4) | instid1(VALU_DEP_4)
	v_fma_f32 v76, s18, v117, -v89
	v_fma_f32 v77, s18, v118, -v89
	;; [unrolled: 1-line block ×5, first 2 shown]
	v_dual_mul_f32 v76, 0x3fb8aa3b, v76 :: v_dual_mul_f32 v77, 0x3fb8aa3b, v77
	s_delay_alu instid0(VALU_DEP_4) | instskip(NEXT) | instid1(VALU_DEP_3)
	v_mul_f32_e32 v78, 0x3fb8aa3b, v78
	v_mul_f32_e32 v80, 0x3fb8aa3b, v80
	s_delay_alu instid0(VALU_DEP_3) | instskip(NEXT) | instid1(VALU_DEP_3)
	v_exp_f32_e32 v76, v76
	v_exp_f32_e32 v77, v77
	s_delay_alu instid0(VALU_DEP_2) | instskip(NEXT) | instid1(VALU_DEP_1)
	v_exp_f32_e32 v78, v78
	v_exp_f32_e32 v80, v80
	v_cndmask_b32_e32 v91, 0, v76, vcc_lo
	v_fma_f32 v76, s18, v122, -v89
	s_delay_alu instid0(TRANS32_DEP_3)
	v_cndmask_b32_e64 v90, 0, v77, s2
	s_waitcnt_depctr 0xfff
	v_cndmask_b32_e64 v92, 0, v78, s4
	v_cndmask_b32_e64 v95, 0, v80, s5
	v_dual_add_f32 v77, 0, v91 :: v_dual_mul_f32 v76, 0x3fb8aa3b, v76
	s_mov_b32 s2, exec_lo
	s_delay_alu instid0(VALU_DEP_1) | instskip(NEXT) | instid1(VALU_DEP_2)
	v_add_f32_e32 v77, v77, v90
	v_exp_f32_e32 v76, v76
	s_delay_alu instid0(VALU_DEP_1) | instskip(SKIP_3) | instid1(VALU_DEP_1)
	v_add_f32_e32 v77, v77, v92
	s_waitcnt_depctr 0xfff
	v_cndmask_b32_e64 v96, 0, v76, s6
	v_mul_f32_e32 v79, 0x3fb8aa3b, v79
	v_exp_f32_e32 v79, v79
	s_waitcnt_depctr 0xfff
	v_cndmask_b32_e64 v94, 0, v79, s3
	s_delay_alu instid0(VALU_DEP_1) | instskip(NEXT) | instid1(VALU_DEP_1)
	v_add_f32_e32 v77, v77, v94
	v_add_f32_e32 v76, v77, v95
	v_fma_f32 v80, s18, v102, -v89
	v_fma_f32 v86, s18, v123, -v89
	;; [unrolled: 1-line block ×5, first 2 shown]
	v_mul_f32_e32 v80, 0x3fb8aa3b, v80
	v_mul_f32_e32 v86, 0x3fb8aa3b, v86
	;; [unrolled: 1-line block ×3, first 2 shown]
	v_fma_f32 v98, s18, v107, -v89
	v_mul_f32_e32 v77, 0x3fb8aa3b, v77
	v_exp_f32_e32 v80, v80
	v_exp_f32_e32 v86, v86
	;; [unrolled: 1-line block ×3, first 2 shown]
	v_add_f32_e32 v76, v76, v96
	v_exp_f32_e32 v88, v77
	v_fma_f32 v87, s18, v105, -v89
	v_fma_f32 v100, s18, v108, -v89
	v_cndmask_b32_e64 v77, 0, v80, s10
	v_mul_f32_e32 v79, 0x3fb8aa3b, v79
	s_delay_alu instid0(TRANS32_DEP_3) | instskip(SKIP_1) | instid1(TRANS32_DEP_2)
	v_cndmask_b32_e64 v93, 0, v86, s8
	v_fma_f32 v86, s18, v104, -v89
	v_cndmask_b32_e64 v97, 0, v78, s7
	v_mul_f32_e32 v100, 0x3fb8aa3b, v100
	v_exp_f32_e32 v79, v79
	v_add_f32_e32 v78, v76, v93
	v_mul_f32_e32 v86, 0x3fb8aa3b, v86
	s_delay_alu instid0(VALU_DEP_3) | instskip(NEXT) | instid1(VALU_DEP_2)
	v_exp_f32_e32 v100, v100
	v_add_f32_e32 v78, v78, v97
	s_delay_alu instid0(VALU_DEP_2) | instskip(NEXT) | instid1(TRANS32_DEP_3)
	v_exp_f32_e32 v86, v86
	v_cndmask_b32_e64 v76, 0, v79, s9
	v_fma_f32 v79, s18, v106, -v89
	s_delay_alu instid0(VALU_DEP_1) | instskip(SKIP_2) | instid1(VALU_DEP_3)
	v_dual_add_f32 v80, v78, v76 :: v_dual_mul_f32 v79, 0x3fb8aa3b, v79
	v_cndmask_b32_e64 v78, 0, v88, s11
	v_mul_f32_e32 v88, 0x3fb8aa3b, v98
	v_dual_add_f32 v80, v80, v77 :: v_dual_mul_f32 v87, 0x3fb8aa3b, v87
	s_delay_alu instid0(VALU_DEP_4) | instskip(NEXT) | instid1(TRANS32_DEP_2)
	v_exp_f32_e32 v98, v79
	v_cndmask_b32_e64 v79, 0, v86, s12
	s_delay_alu instid0(VALU_DEP_3) | instskip(NEXT) | instid1(VALU_DEP_2)
	v_exp_f32_e32 v88, v88
	v_add_f32_e32 v86, v80, v78
	v_exp_f32_e32 v87, v87
	s_waitcnt_depctr 0xfff
	v_cndmask_b32_e64 v80, 0, v87, s13
	v_add_f32_e32 v87, v86, v79
	v_cndmask_b32_e64 v86, 0, v98, s15
	s_delay_alu instid0(VALU_DEP_2) | instskip(SKIP_1) | instid1(VALU_DEP_2)
	v_add_f32_e32 v98, v87, v80
	v_cndmask_b32_e64 v87, 0, v88, s16
	v_add_f32_e32 v88, v98, v86
	s_delay_alu instid0(VALU_DEP_1) | instskip(SKIP_1) | instid1(VALU_DEP_1)
	v_add_f32_e32 v98, v88, v87
	v_cndmask_b32_e64 v88, 0, v100, s17
	v_add_f32_e32 v98, v98, v88
	ds_bpermute_b32 v99, v99, v98
	v_cmpx_gt_u32_e32 16, v75
	s_cbranch_execz .LBB769_14
; %bb.13:
	v_mul_u32_u24_e32 v75, 0x44, v73
	s_waitcnt lgkmcnt(0)
	v_add_f32_e32 v98, v98, v99
	s_delay_alu instid0(VALU_DEP_2) | instskip(NEXT) | instid1(VALU_DEP_1)
	v_lshl_add_u32 v75, v74, 2, v75
	v_add_nc_u32_e32 v75, 0x4000, v75
	ds_store_2addr_b32 v75, v89, v98 offset1:136
.LBB769_14:
	s_or_b32 exec_lo, exec_lo, s2
	v_lshlrev_b32_e32 v74, 2, v74
	s_waitcnt lgkmcnt(0)
	s_barrier
	buffer_gl0_inv
	v_cmp_eq_u32_e64 s2, 1, v73
	v_add_nc_u32_e32 v89, 0x4000, v74
	ds_load_2addr_b32 v[98:99], v89 offset1:17
	ds_load_2addr_b32 v[100:101], v89 offset0:34 offset1:51
	ds_load_2addr_b32 v[102:103], v89 offset0:68 offset1:85
	;; [unrolled: 1-line block ×4, first 2 shown]
	s_waitcnt lgkmcnt(4)
	v_max3_f32 v74, v98, 0xff7fffff, v99
	s_waitcnt lgkmcnt(3)
	s_delay_alu instid0(VALU_DEP_1) | instskip(SKIP_1) | instid1(VALU_DEP_1)
	v_max3_f32 v74, v74, v100, v101
	s_waitcnt lgkmcnt(2)
	v_max3_f32 v74, v74, v102, v103
	s_waitcnt lgkmcnt(1)
	s_delay_alu instid0(VALU_DEP_1) | instskip(NEXT) | instid1(VALU_DEP_1)
	v_max3_f32 v74, v74, v104, v105
	v_sub_f32_e32 v108, v99, v74
	v_sub_f32_e32 v75, v98, v74
	ds_load_2addr_b32 v[98:99], v89 offset0:170 offset1:187
	v_sub_f32_e32 v100, v100, v74
	v_dual_mul_f32 v108, 0x3fb8aa3b, v108 :: v_dual_mul_f32 v75, 0x3fb8aa3b, v75
	s_delay_alu instid0(VALU_DEP_2) | instskip(NEXT) | instid1(VALU_DEP_2)
	v_mul_f32_e32 v110, 0x3fb8aa3b, v100
	v_exp_f32_e32 v108, v108
	s_delay_alu instid0(VALU_DEP_2)
	v_exp_f32_e32 v109, v75
	v_sub_f32_e32 v75, v101, v74
	ds_load_2addr_b32 v[100:101], v89 offset0:204 offset1:221
	v_exp_f32_e32 v110, v110
	v_mul_f32_e32 v111, 0x3fb8aa3b, v75
	s_waitcnt lgkmcnt(2)
	v_fma_f32 v75, v109, v106, 0
	v_sub_f32_e32 v102, v102, v74
	s_delay_alu instid0(VALU_DEP_3) | instskip(NEXT) | instid1(VALU_DEP_2)
	v_exp_f32_e32 v111, v111
	v_dual_sub_f32 v106, v103, v74 :: v_dual_fmac_f32 v75, v108, v107
	s_waitcnt lgkmcnt(1)
	s_waitcnt_depctr 0xfff
	v_fmac_f32_e32 v75, v110, v98
	v_mul_f32_e32 v112, 0x3fb8aa3b, v102
	ds_load_2addr_b32 v[102:103], v89 offset0:238 offset1:255
	v_sub_f32_e32 v89, v104, v74
	v_dual_sub_f32 v98, v105, v74 :: v_dual_fmac_f32 v75, v111, v99
	v_mul_f32_e32 v104, 0x3fb8aa3b, v106
	v_exp_f32_e32 v106, v112
	s_delay_alu instid0(VALU_DEP_2)
	v_dual_mul_f32 v89, 0x3fb8aa3b, v89 :: v_dual_mul_f32 v98, 0x3fb8aa3b, v98
	s_waitcnt lgkmcnt(0)
	s_barrier
	buffer_gl0_inv
	v_exp_f32_e32 v89, v89
	v_exp_f32_e32 v98, v98
	v_fmac_f32_e32 v75, v106, v100
	v_exp_f32_e32 v104, v104
	s_waitcnt_depctr 0xfff
	v_fmac_f32_e32 v75, v104, v101
	s_delay_alu instid0(VALU_DEP_1) | instskip(NEXT) | instid1(VALU_DEP_1)
	v_fmac_f32_e32 v75, v89, v102
	v_fmac_f32_e32 v75, v98, v103
	s_delay_alu instid0(VALU_DEP_1) | instskip(NEXT) | instid1(VALU_DEP_1)
	v_add_f32_e32 v99, 0x358637bd, v75
	v_div_scale_f32 v100, null, v99, v99, 1.0
	v_div_scale_f32 v103, vcc_lo, 1.0, v99, 1.0
	s_delay_alu instid0(VALU_DEP_2) | instskip(SKIP_2) | instid1(VALU_DEP_1)
	v_rcp_f32_e32 v101, v100
	s_waitcnt_depctr 0xfff
	v_fma_f32 v102, -v100, v101, 1.0
	v_fmac_f32_e32 v101, v102, v101
	v_cndmask_b32_e64 v102, v109, v108, s2
	v_cmp_eq_u32_e64 s2, 2, v73
	s_delay_alu instid0(VALU_DEP_3) | instskip(NEXT) | instid1(VALU_DEP_2)
	v_mul_f32_e32 v105, v103, v101
	v_cndmask_b32_e64 v102, v102, v110, s2
	v_cmp_eq_u32_e64 s2, 3, v73
	s_delay_alu instid0(VALU_DEP_3) | instskip(NEXT) | instid1(VALU_DEP_2)
	v_fma_f32 v107, -v100, v105, v103
	v_cndmask_b32_e64 v102, v102, v111, s2
	v_cmp_eq_u32_e64 s2, 4, v73
	s_delay_alu instid0(VALU_DEP_3) | instskip(NEXT) | instid1(VALU_DEP_2)
	v_fmac_f32_e32 v105, v107, v101
	v_cndmask_b32_e64 v102, v102, v106, s2
	s_delay_alu instid0(VALU_DEP_2) | instskip(SKIP_1) | instid1(VALU_DEP_2)
	v_fma_f32 v100, -v100, v105, v103
	v_cmp_eq_u32_e64 s2, 5, v73
	v_div_fmas_f32 v100, v100, v101, v105
	s_delay_alu instid0(VALU_DEP_2) | instskip(SKIP_2) | instid1(VALU_DEP_3)
	v_cndmask_b32_e64 v102, v102, v104, s2
	v_cmp_eq_u32_e32 vcc_lo, 6, v73
	s_mov_b32 s2, exec_lo
	v_div_fixup_f32 v99, v100, v99, 1.0
	s_delay_alu instid0(VALU_DEP_3) | instskip(SKIP_1) | instid1(VALU_DEP_2)
	v_cndmask_b32_e32 v89, v102, v89, vcc_lo
	v_cmp_eq_u32_e32 vcc_lo, 7, v73
	v_cndmask_b32_e32 v89, v89, v98, vcc_lo
	s_delay_alu instid0(VALU_DEP_1) | instskip(NEXT) | instid1(VALU_DEP_1)
	v_mul_f32_e32 v89, v89, v99
	v_mul_f32_e32 v99, v89, v91
	v_mul_f32_e32 v91, v89, v97
	v_mul_f32_e32 v93, v89, v93
	v_mul_f32_e32 v96, v89, v96
	v_mul_f32_e32 v97, v89, v95
	v_and_b32_e32 v100, 0x7f800000, v99
	v_mul_f32_e32 v98, v89, v94
	v_mul_f32_e32 v94, v89, v90
	;; [unrolled: 1-line block ×3, first 2 shown]
                                        ; implicit-def: $vgpr90
	s_delay_alu instid0(VALU_DEP_4)
	v_cmpx_ne_u32_e32 0x7f800000, v100
	s_xor_b32 s2, exec_lo, s2
; %bb.15:
	v_bfe_u32 v90, v99, 16, 1
	s_delay_alu instid0(VALU_DEP_1)
	v_add3_u32 v90, v99, v90, 0x7fff
                                        ; implicit-def: $vgpr99
; %bb.16:
	s_and_not1_saveexec_b32 s2, s2
; %bb.17:
	v_and_b32_e32 v90, 0xffff, v99
	v_or_b32_e32 v92, 0x10000, v99
	s_delay_alu instid0(VALU_DEP_2) | instskip(NEXT) | instid1(VALU_DEP_2)
	v_cmp_eq_u32_e32 vcc_lo, 0, v90
	v_cndmask_b32_e32 v90, v92, v99, vcc_lo
; %bb.18:
	s_or_b32 exec_lo, exec_lo, s2
	v_and_b32_e32 v92, 0x7f800000, v94
	s_delay_alu instid0(VALU_DEP_1) | instskip(SKIP_1) | instid1(SALU_CYCLE_1)
	v_cmp_ne_u32_e32 vcc_lo, 0x7f800000, v92
                                        ; implicit-def: $vgpr92
	s_and_saveexec_b32 s2, vcc_lo
	s_xor_b32 s2, exec_lo, s2
; %bb.19:
	v_bfe_u32 v92, v94, 16, 1
	s_delay_alu instid0(VALU_DEP_1)
	v_add3_u32 v92, v94, v92, 0x7fff
                                        ; implicit-def: $vgpr94
; %bb.20:
	s_and_not1_saveexec_b32 s2, s2
; %bb.21:
	v_and_b32_e32 v92, 0xffff, v94
	v_or_b32_e32 v99, 0x10000, v94
	s_delay_alu instid0(VALU_DEP_2) | instskip(NEXT) | instid1(VALU_DEP_2)
	v_cmp_eq_u32_e32 vcc_lo, 0, v92
	v_cndmask_b32_e32 v92, v99, v94, vcc_lo
; %bb.22:
	s_or_b32 exec_lo, exec_lo, s2
	v_and_b32_e32 v94, 0x7f800000, v95
	s_delay_alu instid0(VALU_DEP_1) | instskip(SKIP_1) | instid1(SALU_CYCLE_1)
	v_cmp_ne_u32_e32 vcc_lo, 0x7f800000, v94
                                        ; implicit-def: $vgpr94
	s_and_saveexec_b32 s2, vcc_lo
	s_xor_b32 s2, exec_lo, s2
; %bb.23:
	v_bfe_u32 v94, v95, 16, 1
	s_delay_alu instid0(VALU_DEP_1)
	v_add3_u32 v94, v95, v94, 0x7fff
                                        ; implicit-def: $vgpr95
; %bb.24:
	s_and_not1_saveexec_b32 s2, s2
; %bb.25:
	v_and_b32_e32 v94, 0xffff, v95
	v_or_b32_e32 v99, 0x10000, v95
	s_delay_alu instid0(VALU_DEP_2) | instskip(NEXT) | instid1(VALU_DEP_2)
	v_cmp_eq_u32_e32 vcc_lo, 0, v94
	v_cndmask_b32_e32 v94, v99, v95, vcc_lo
; %bb.26:
	s_or_b32 exec_lo, exec_lo, s2
	v_and_b32_e32 v95, 0x7f800000, v98
	s_delay_alu instid0(VALU_DEP_1) | instskip(SKIP_1) | instid1(SALU_CYCLE_1)
	v_cmp_ne_u32_e32 vcc_lo, 0x7f800000, v95
                                        ; implicit-def: $vgpr95
	s_and_saveexec_b32 s2, vcc_lo
	s_xor_b32 s2, exec_lo, s2
; %bb.27:
	v_bfe_u32 v95, v98, 16, 1
	s_delay_alu instid0(VALU_DEP_1)
	v_add3_u32 v95, v98, v95, 0x7fff
                                        ; implicit-def: $vgpr98
; %bb.28:
	s_and_not1_saveexec_b32 s2, s2
; %bb.29:
	v_and_b32_e32 v95, 0xffff, v98
	v_or_b32_e32 v99, 0x10000, v98
	s_delay_alu instid0(VALU_DEP_2) | instskip(NEXT) | instid1(VALU_DEP_2)
	v_cmp_eq_u32_e32 vcc_lo, 0, v95
	v_cndmask_b32_e32 v95, v99, v98, vcc_lo
; %bb.30:
	s_or_b32 exec_lo, exec_lo, s2
	v_and_b32_e32 v98, 0x7f800000, v97
	s_delay_alu instid0(VALU_DEP_1) | instskip(SKIP_1) | instid1(SALU_CYCLE_1)
	v_cmp_ne_u32_e32 vcc_lo, 0x7f800000, v98
                                        ; implicit-def: $vgpr98
	s_and_saveexec_b32 s2, vcc_lo
	s_xor_b32 s2, exec_lo, s2
; %bb.31:
	v_bfe_u32 v98, v97, 16, 1
	s_delay_alu instid0(VALU_DEP_1)
	v_add3_u32 v98, v97, v98, 0x7fff
                                        ; implicit-def: $vgpr97
; %bb.32:
	s_and_not1_saveexec_b32 s2, s2
; %bb.33:
	v_and_b32_e32 v98, 0xffff, v97
	v_or_b32_e32 v99, 0x10000, v97
	s_delay_alu instid0(VALU_DEP_2) | instskip(NEXT) | instid1(VALU_DEP_2)
	v_cmp_eq_u32_e32 vcc_lo, 0, v98
	v_cndmask_b32_e32 v98, v99, v97, vcc_lo
; %bb.34:
	s_or_b32 exec_lo, exec_lo, s2
	v_and_b32_e32 v97, 0x7f800000, v96
	s_delay_alu instid0(VALU_DEP_1) | instskip(SKIP_1) | instid1(SALU_CYCLE_1)
	v_cmp_ne_u32_e32 vcc_lo, 0x7f800000, v97
                                        ; implicit-def: $vgpr97
	s_and_saveexec_b32 s2, vcc_lo
	s_xor_b32 s2, exec_lo, s2
; %bb.35:
	v_bfe_u32 v97, v96, 16, 1
	s_delay_alu instid0(VALU_DEP_1)
	v_add3_u32 v97, v96, v97, 0x7fff
                                        ; implicit-def: $vgpr96
; %bb.36:
	s_and_not1_saveexec_b32 s2, s2
; %bb.37:
	v_and_b32_e32 v97, 0xffff, v96
	v_or_b32_e32 v99, 0x10000, v96
	s_delay_alu instid0(VALU_DEP_2) | instskip(NEXT) | instid1(VALU_DEP_2)
	v_cmp_eq_u32_e32 vcc_lo, 0, v97
	v_cndmask_b32_e32 v97, v99, v96, vcc_lo
; %bb.38:
	s_or_b32 exec_lo, exec_lo, s2
	v_and_b32_e32 v96, 0x7f800000, v93
	s_delay_alu instid0(VALU_DEP_1) | instskip(SKIP_1) | instid1(SALU_CYCLE_1)
	v_cmp_ne_u32_e32 vcc_lo, 0x7f800000, v96
                                        ; implicit-def: $vgpr96
	s_and_saveexec_b32 s2, vcc_lo
	s_xor_b32 s2, exec_lo, s2
; %bb.39:
	v_bfe_u32 v96, v93, 16, 1
	s_delay_alu instid0(VALU_DEP_1)
	v_add3_u32 v96, v93, v96, 0x7fff
                                        ; implicit-def: $vgpr93
; %bb.40:
	s_and_not1_saveexec_b32 s2, s2
; %bb.41:
	v_and_b32_e32 v96, 0xffff, v93
	v_or_b32_e32 v99, 0x10000, v93
	s_delay_alu instid0(VALU_DEP_2) | instskip(NEXT) | instid1(VALU_DEP_2)
	v_cmp_eq_u32_e32 vcc_lo, 0, v96
	v_cndmask_b32_e32 v96, v99, v93, vcc_lo
; %bb.42:
	s_or_b32 exec_lo, exec_lo, s2
	v_and_b32_e32 v93, 0x7f800000, v91
	s_delay_alu instid0(VALU_DEP_1) | instskip(SKIP_1) | instid1(SALU_CYCLE_1)
	v_cmp_ne_u32_e32 vcc_lo, 0x7f800000, v93
                                        ; implicit-def: $vgpr93
	s_and_saveexec_b32 s2, vcc_lo
	s_xor_b32 s2, exec_lo, s2
; %bb.43:
	v_bfe_u32 v93, v91, 16, 1
	s_delay_alu instid0(VALU_DEP_1)
	v_add3_u32 v93, v91, v93, 0x7fff
                                        ; implicit-def: $vgpr91
; %bb.44:
	s_and_not1_saveexec_b32 s2, s2
; %bb.45:
	v_and_b32_e32 v93, 0xffff, v91
	v_or_b32_e32 v99, 0x10000, v91
	s_delay_alu instid0(VALU_DEP_2) | instskip(NEXT) | instid1(VALU_DEP_2)
	v_cmp_eq_u32_e32 vcc_lo, 0, v93
	v_cndmask_b32_e32 v93, v99, v91, vcc_lo
; %bb.46:
	s_or_b32 exec_lo, exec_lo, s2
	s_load_b64 s[34:35], s[0:1], 0x94
	v_lshlrev_b32_e32 v91, 4, v83
	s_delay_alu instid0(VALU_DEP_2)
	v_perm_b32 v99, v93, v96, 0x7060302
	v_dual_mul_f32 v88, v89, v88 :: v_dual_lshlrev_b32 v93, 11, v73
	v_perm_b32 v96, v92, v90, 0x7060302
	v_mul_f32_e32 v92, v89, v76
	v_perm_b32 v98, v97, v98, 0x7060302
	v_perm_b32 v97, v95, v94, 0x7060302
	v_or3_b32 v76, v91, v93, v85
	v_mul_f32_e32 v87, v89, v87
	v_dual_mul_f32 v86, v89, v86 :: v_dual_and_b32 v93, 0x7f800000, v92
	v_mul_f32_e32 v80, v89, v80
	v_mul_f32_e32 v90, v89, v79
	;; [unrolled: 1-line block ×4, first 2 shown]
	s_mov_b32 s2, exec_lo
	ds_store_b128 v76, v[96:99]
                                        ; implicit-def: $vgpr77
	v_cmpx_ne_u32_e32 0x7f800000, v93
	s_xor_b32 s2, exec_lo, s2
; %bb.47:
	v_bfe_u32 v77, v92, 16, 1
	s_delay_alu instid0(VALU_DEP_1)
	v_add3_u32 v77, v92, v77, 0x7fff
                                        ; implicit-def: $vgpr92
; %bb.48:
	s_and_not1_saveexec_b32 s2, s2
; %bb.49:
	v_and_b32_e32 v77, 0xffff, v92
	v_or_b32_e32 v78, 0x10000, v92
	s_delay_alu instid0(VALU_DEP_2) | instskip(NEXT) | instid1(VALU_DEP_2)
	v_cmp_eq_u32_e32 vcc_lo, 0, v77
	v_cndmask_b32_e32 v77, v78, v92, vcc_lo
; %bb.50:
	s_or_b32 exec_lo, exec_lo, s2
	v_and_b32_e32 v78, 0x7f800000, v79
	s_delay_alu instid0(VALU_DEP_1) | instskip(SKIP_1) | instid1(SALU_CYCLE_1)
	v_cmp_ne_u32_e32 vcc_lo, 0x7f800000, v78
                                        ; implicit-def: $vgpr78
	s_and_saveexec_b32 s2, vcc_lo
	s_xor_b32 s2, exec_lo, s2
; %bb.51:
	v_bfe_u32 v78, v79, 16, 1
	s_delay_alu instid0(VALU_DEP_1)
	v_add3_u32 v78, v79, v78, 0x7fff
                                        ; implicit-def: $vgpr79
; %bb.52:
	s_and_not1_saveexec_b32 s2, s2
; %bb.53:
	v_and_b32_e32 v78, 0xffff, v79
	v_or_b32_e32 v89, 0x10000, v79
	s_delay_alu instid0(VALU_DEP_2) | instskip(NEXT) | instid1(VALU_DEP_2)
	v_cmp_eq_u32_e32 vcc_lo, 0, v78
	v_cndmask_b32_e32 v78, v89, v79, vcc_lo
; %bb.54:
	s_or_b32 exec_lo, exec_lo, s2
	v_and_b32_e32 v79, 0x7f800000, v91
	s_delay_alu instid0(VALU_DEP_1) | instskip(SKIP_1) | instid1(SALU_CYCLE_1)
	v_cmp_ne_u32_e32 vcc_lo, 0x7f800000, v79
                                        ; implicit-def: $vgpr79
	s_and_saveexec_b32 s2, vcc_lo
	s_xor_b32 s2, exec_lo, s2
; %bb.55:
	v_bfe_u32 v79, v91, 16, 1
	s_delay_alu instid0(VALU_DEP_1)
	v_add3_u32 v79, v91, v79, 0x7fff
                                        ; implicit-def: $vgpr91
; %bb.56:
	s_and_not1_saveexec_b32 s2, s2
; %bb.57:
	v_and_b32_e32 v79, 0xffff, v91
	v_or_b32_e32 v89, 0x10000, v91
	s_delay_alu instid0(VALU_DEP_2) | instskip(NEXT) | instid1(VALU_DEP_2)
	v_cmp_eq_u32_e32 vcc_lo, 0, v79
	v_cndmask_b32_e32 v79, v89, v91, vcc_lo
; %bb.58:
	s_or_b32 exec_lo, exec_lo, s2
	v_and_b32_e32 v89, 0x7f800000, v90
	s_delay_alu instid0(VALU_DEP_1) | instskip(SKIP_1) | instid1(SALU_CYCLE_1)
	v_cmp_ne_u32_e32 vcc_lo, 0x7f800000, v89
                                        ; implicit-def: $vgpr89
	s_and_saveexec_b32 s2, vcc_lo
	s_xor_b32 s2, exec_lo, s2
; %bb.59:
	v_bfe_u32 v89, v90, 16, 1
	s_delay_alu instid0(VALU_DEP_1)
	v_add3_u32 v89, v90, v89, 0x7fff
                                        ; implicit-def: $vgpr90
; %bb.60:
	s_and_not1_saveexec_b32 s2, s2
; %bb.61:
	v_and_b32_e32 v89, 0xffff, v90
	v_or_b32_e32 v91, 0x10000, v90
	s_delay_alu instid0(VALU_DEP_2) | instskip(NEXT) | instid1(VALU_DEP_2)
	v_cmp_eq_u32_e32 vcc_lo, 0, v89
	v_cndmask_b32_e32 v89, v91, v90, vcc_lo
; %bb.62:
	s_or_b32 exec_lo, exec_lo, s2
	v_and_b32_e32 v90, 0x7f800000, v80
	s_delay_alu instid0(VALU_DEP_1) | instskip(SKIP_1) | instid1(SALU_CYCLE_1)
	v_cmp_ne_u32_e32 vcc_lo, 0x7f800000, v90
                                        ; implicit-def: $vgpr90
	s_and_saveexec_b32 s2, vcc_lo
	s_xor_b32 s2, exec_lo, s2
; %bb.63:
	v_bfe_u32 v90, v80, 16, 1
	s_delay_alu instid0(VALU_DEP_1)
	v_add3_u32 v90, v80, v90, 0x7fff
                                        ; implicit-def: $vgpr80
; %bb.64:
	s_and_not1_saveexec_b32 s2, s2
; %bb.65:
	v_and_b32_e32 v90, 0xffff, v80
	v_or_b32_e32 v91, 0x10000, v80
	s_delay_alu instid0(VALU_DEP_2) | instskip(NEXT) | instid1(VALU_DEP_2)
	v_cmp_eq_u32_e32 vcc_lo, 0, v90
	v_cndmask_b32_e32 v90, v91, v80, vcc_lo
; %bb.66:
	s_or_b32 exec_lo, exec_lo, s2
	v_and_b32_e32 v80, 0x7f800000, v86
	s_delay_alu instid0(VALU_DEP_1) | instskip(SKIP_1) | instid1(SALU_CYCLE_1)
	v_cmp_ne_u32_e32 vcc_lo, 0x7f800000, v80
                                        ; implicit-def: $vgpr80
	s_and_saveexec_b32 s2, vcc_lo
	s_xor_b32 s2, exec_lo, s2
; %bb.67:
	v_bfe_u32 v80, v86, 16, 1
	s_delay_alu instid0(VALU_DEP_1)
	v_add3_u32 v80, v86, v80, 0x7fff
                                        ; implicit-def: $vgpr86
; %bb.68:
	s_and_not1_saveexec_b32 s2, s2
; %bb.69:
	v_and_b32_e32 v80, 0xffff, v86
	v_or_b32_e32 v91, 0x10000, v86
	s_delay_alu instid0(VALU_DEP_2) | instskip(NEXT) | instid1(VALU_DEP_2)
	v_cmp_eq_u32_e32 vcc_lo, 0, v80
	v_cndmask_b32_e32 v80, v91, v86, vcc_lo
; %bb.70:
	s_or_b32 exec_lo, exec_lo, s2
	v_and_b32_e32 v86, 0x7f800000, v87
	s_delay_alu instid0(VALU_DEP_1) | instskip(SKIP_1) | instid1(SALU_CYCLE_1)
	v_cmp_ne_u32_e32 vcc_lo, 0x7f800000, v86
                                        ; implicit-def: $vgpr86
	s_and_saveexec_b32 s2, vcc_lo
	s_xor_b32 s2, exec_lo, s2
; %bb.71:
	v_bfe_u32 v86, v87, 16, 1
	s_delay_alu instid0(VALU_DEP_1)
	v_add3_u32 v86, v87, v86, 0x7fff
                                        ; implicit-def: $vgpr87
; %bb.72:
	s_and_not1_saveexec_b32 s2, s2
; %bb.73:
	v_and_b32_e32 v86, 0xffff, v87
	v_or_b32_e32 v91, 0x10000, v87
	s_delay_alu instid0(VALU_DEP_2) | instskip(NEXT) | instid1(VALU_DEP_2)
	v_cmp_eq_u32_e32 vcc_lo, 0, v86
	v_cndmask_b32_e32 v86, v91, v87, vcc_lo
; %bb.74:
	s_or_b32 exec_lo, exec_lo, s2
	v_and_b32_e32 v87, 0x7f800000, v88
	s_delay_alu instid0(VALU_DEP_1) | instskip(SKIP_1) | instid1(SALU_CYCLE_1)
	v_cmp_ne_u32_e32 vcc_lo, 0x7f800000, v87
                                        ; implicit-def: $vgpr87
	s_and_saveexec_b32 s2, vcc_lo
	s_xor_b32 s2, exec_lo, s2
; %bb.75:
	v_bfe_u32 v87, v88, 16, 1
	s_delay_alu instid0(VALU_DEP_1)
	v_add3_u32 v87, v88, v87, 0x7fff
                                        ; implicit-def: $vgpr88
; %bb.76:
	s_and_not1_saveexec_b32 s2, s2
; %bb.77:
	v_and_b32_e32 v87, 0xffff, v88
	v_or_b32_e32 v91, 0x10000, v88
	s_delay_alu instid0(VALU_DEP_2) | instskip(NEXT) | instid1(VALU_DEP_2)
	v_cmp_eq_u32_e32 vcc_lo, 0, v87
	v_cndmask_b32_e32 v87, v91, v88, vcc_lo
; %bb.78:
	s_or_b32 exec_lo, exec_lo, s2
	s_delay_alu instid0(VALU_DEP_1)
	v_perm_b32 v94, v87, v86, 0x7060302
	v_perm_b32 v93, v80, v90, 0x7060302
	;; [unrolled: 1-line block ×4, first 2 shown]
	v_lshl_or_b32 v90, v73, 11, v85
	ds_store_b128 v76, v[91:94] offset:1024
	s_waitcnt lgkmcnt(0)
	s_barrier
	buffer_gl0_inv
	ds_load_b128 v[77:80], v90
	ds_load_b128 v[91:94], v90 offset:16
	s_waitcnt lgkmcnt(1)
	v_lshrrev_b32_e32 v73, 16, v77
	s_waitcnt lgkmcnt(0)
	v_lshrrev_b32_e32 v108, 16, v94
	v_lshlrev_b32_e32 v87, 2, v83
	v_lshrrev_b32_e32 v99, 16, v91
	v_lshrrev_b32_e32 v103, 16, v78
	v_lshrrev_b32_e32 v106, 16, v92
	v_lshrrev_b32_e32 v104, 16, v79
	v_or_b32_e32 v88, 1, v87
	v_cmp_eq_u32_e32 vcc_lo, 1, v87
	v_cmp_eq_u32_e64 s3, 2, v87
	v_cmp_eq_u32_e64 s6, 3, v87
	v_cmp_eq_u32_e64 s8, 4, v87
	v_cmp_eq_u32_e64 s2, 1, v88
	v_cndmask_b32_e32 v89, v77, v73, vcc_lo
	v_cndmask_b32_e32 v95, v91, v99, vcc_lo
	v_cmp_eq_u32_e64 s5, 2, v88
	v_cmp_eq_u32_e64 s7, 3, v88
	v_cndmask_b32_e64 v96, v77, v73, s2
	v_cndmask_b32_e64 v89, v89, v78, s3
	;; [unrolled: 1-line block ×3, first 2 shown]
	v_or_b32_e32 v86, 2, v87
	v_lshrrev_b32_e32 v107, 16, v93
	v_cndmask_b32_e64 v96, v96, v78, s5
	v_cndmask_b32_e64 v89, v89, v103, s6
	;; [unrolled: 1-line block ×4, first 2 shown]
	v_cmp_eq_u32_e64 s9, 5, v87
	v_cndmask_b32_e64 v96, v96, v103, s7
	v_cndmask_b32_e64 v89, v89, v79, s8
	;; [unrolled: 1-line block ×3, first 2 shown]
	v_cmp_eq_u32_e64 s10, 4, v88
	v_cmp_eq_u32_e64 s4, 1, v86
	v_cndmask_b32_e64 v97, v97, v92, s5
	v_cndmask_b32_e64 v89, v89, v104, s9
	v_cmp_eq_u32_e64 s11, 6, v87
	v_cndmask_b32_e64 v96, v96, v79, s10
	v_cndmask_b32_e64 v95, v95, v107, s9
	v_cmp_eq_u32_e64 s12, 5, v88
	v_lshrrev_b32_e32 v105, 16, v80
	v_cndmask_b32_e64 v98, v77, v73, s4
	v_cndmask_b32_e64 v97, v97, v106, s7
	;; [unrolled: 1-line block ×4, first 2 shown]
	v_cmp_eq_u32_e64 s13, 7, v87
	v_cndmask_b32_e64 v95, v95, v94, s11
	v_cmp_eq_u32_e64 s15, 6, v88
	v_cmp_eq_u32_e64 s16, 2, v86
	v_cndmask_b32_e64 v97, v97, v93, s10
	v_cndmask_b32_e64 v109, v89, v105, s13
	;; [unrolled: 1-line block ×6, first 2 shown]
	v_cmp_eq_u32_e64 s17, 7, v88
	v_cmp_eq_u32_e64 s18, 3, v86
	;; [unrolled: 1-line block ×4, first 2 shown]
	v_cndmask_b32_e64 v95, v95, v92, s16
	v_cndmask_b32_e64 v111, v96, v105, s17
	v_cndmask_b32_e64 v96, v97, v107, s12
	v_cndmask_b32_e64 v97, v89, v103, s18
	v_or_b32_e32 v89, 3, v87
	v_cndmask_b32_e64 v101, v95, v106, s18
	v_cmp_eq_u32_e64 s23, 6, v86
	v_cndmask_b32_e64 v112, v96, v94, s15
	v_cndmask_b32_e64 v100, v97, v79, s19
	v_cmp_eq_u32_e64 s20, 1, v89
	ds_load_b128 v[95:98], v90 offset:1024
	v_cmp_eq_u32_e64 s22, 2, v89
	v_cmp_eq_u32_e64 s24, 3, v89
	v_cndmask_b32_e64 v113, v100, v104, s21
	v_cndmask_b32_e64 v73, v77, v73, s20
	;; [unrolled: 1-line block ×4, first 2 shown]
	ds_load_b128 v[99:102], v90 offset:1040
	v_cmp_eq_u32_e64 s25, 4, v89
	v_cndmask_b32_e64 v73, v73, v78, s22
	v_cmp_eq_u32_e64 s26, 7, v86
	v_cndmask_b32_e64 v78, v91, v92, s22
	v_cndmask_b32_e64 v92, v113, v80, s23
	v_cmp_eq_u32_e64 s27, 5, v89
	v_cndmask_b32_e64 v73, v73, v103, s24
	v_cndmask_b32_e64 v77, v77, v107, s21
	;; [unrolled: 1-line block ×3, first 2 shown]
	v_cmp_eq_u32_e64 s28, 6, v89
	v_cndmask_b32_e64 v91, v112, v108, s17
	v_cndmask_b32_e64 v73, v73, v79, s25
	s_waitcnt lgkmcnt(1)
	v_lshrrev_b32_e32 v103, 16, v95
	v_cndmask_b32_e64 v78, v78, v93, s25
	v_cndmask_b32_e64 v79, v92, v105, s26
	;; [unrolled: 1-line block ×4, first 2 shown]
	v_cndmask_b32_e32 v92, v95, v103, vcc_lo
	v_cndmask_b32_e64 v78, v78, v107, s27
	s_waitcnt lgkmcnt(0)
	v_lshrrev_b32_e32 v93, 16, v99
	v_lshrrev_b32_e32 v104, 16, v96
	v_cndmask_b32_e64 v106, v95, v103, s2
	v_cndmask_b32_e64 v92, v92, v96, s3
	;; [unrolled: 1-line block ×3, first 2 shown]
	v_cndmask_b32_e32 v107, v99, v93, vcc_lo
	v_cndmask_b32_e64 v78, v78, v94, s28
	v_cmp_eq_u32_e32 vcc_lo, 7, v89
	v_cndmask_b32_e64 v80, v92, v104, s6
	v_cndmask_b32_e64 v92, v106, v96, s5
	;; [unrolled: 1-line block ×3, first 2 shown]
	v_lshrrev_b32_e32 v106, 16, v100
	v_cndmask_b32_e64 v77, v77, v108, s26
	v_cndmask_b32_e32 v78, v78, v108, vcc_lo
	v_lshrrev_b32_e32 v108, 16, v101
	v_cndmask_b32_e64 v80, v80, v97, s8
	v_cndmask_b32_e64 v94, v94, v106, s6
	v_lshrrev_b32_e32 v107, 16, v97
	v_cndmask_b32_e32 v73, v73, v105, vcc_lo
	v_perm_b32 v79, v77, v79, 0x5040100
	v_cndmask_b32_e64 v92, v92, v104, s7
	v_cndmask_b32_e64 v94, v94, v101, s8
	;; [unrolled: 1-line block ×3, first 2 shown]
	v_perm_b32 v80, v78, v73, 0x5040100
	v_perm_b32 v78, v91, v111, 0x5040100
	v_cndmask_b32_e64 v111, v99, v93, s4
	v_cndmask_b32_e64 v94, v94, v108, s9
	;; [unrolled: 1-line block ×3, first 2 shown]
	s_delay_alu instid0(VALU_DEP_2)
	v_cndmask_b32_e64 v77, v94, v102, s11
	v_cndmask_b32_e64 v94, v95, v103, s4
	;; [unrolled: 1-line block ×22, first 2 shown]
	v_lshrrev_b32_e32 v105, 16, v98
	v_cndmask_b32_e64 v94, v94, v107, s21
	v_cndmask_b32_e64 v95, v95, v107, s27
	;; [unrolled: 1-line block ×7, first 2 shown]
	v_lshrrev_b32_e32 v92, 16, v102
	v_cndmask_b32_e64 v94, v94, v98, s23
	v_cndmask_b32_e64 v95, v95, v98, s28
	;; [unrolled: 1-line block ×7, first 2 shown]
	v_dual_cndmask_b32 v94, v95, v105 :: v_dual_cndmask_b32 v95, v96, v92
	v_cndmask_b32_e64 v96, v97, v92, s26
	v_cndmask_b32_e64 v97, v93, v92, s17
	;; [unrolled: 1-line block ×3, first 2 shown]
	v_perm_b32 v77, v110, v109, 0x5040100
	v_perm_b32 v94, v95, v94, 0x5040100
	;; [unrolled: 1-line block ×5, first 2 shown]
	s_lshl_b32 s7, s35, 2
	s_mov_b32 s2, exec_lo
	ds_store_b128 v76, v[77:80]
	ds_store_b128 v76, v[91:94] offset:1024
	v_cmpx_gt_u32_e32 4, v0
	s_cbranch_execz .LBB769_80
; %bb.79:
	v_or_b32_e32 v73, s29, v0
	s_load_b128 s[8:11], s[0:1], 0x58
	s_delay_alu instid0(VALU_DEP_1) | instskip(NEXT) | instid1(VALU_DEP_1)
	v_mad_u64_u32 v[76:77], null, s7, s30, v[73:74]
	v_mad_u64_u32 v[77:78], null, v76, s34, s[14:15]
	s_delay_alu instid0(VALU_DEP_1) | instskip(NEXT) | instid1(VALU_DEP_1)
	v_ashrrev_i32_e32 v78, 31, v77
	v_lshlrev_b64 v[76:77], 2, v[77:78]
	s_waitcnt lgkmcnt(0)
	s_delay_alu instid0(VALU_DEP_1) | instskip(NEXT) | instid1(VALU_DEP_2)
	v_add_co_u32 v78, vcc_lo, s10, v76
	v_add_co_ci_u32_e32 v79, vcc_lo, s11, v77, vcc_lo
	v_add_co_u32 v76, vcc_lo, s8, v76
	v_add_co_ci_u32_e32 v77, vcc_lo, s9, v77, vcc_lo
	global_store_b32 v[78:79], v74, off
	global_store_b32 v[76:77], v75, off
.LBB769_80:
	s_or_b32 exec_lo, exec_lo, s2
	s_waitcnt lgkmcnt(0)
	s_waitcnt_vscnt null, 0x0
	s_barrier
	buffer_gl0_inv
	ds_load_b128 v[91:94], v85
	ds_load_b128 v[95:98], v85 offset:16
	ds_load_b128 v[103:106], v85 offset:1040
	;; [unrolled: 1-line block ×3, first 2 shown]
	v_mov_b32_e32 v73, 0
	ds_load_b128 v[111:114], v85 offset:2064
	ds_load_b128 v[107:110], v85 offset:2048
	;; [unrolled: 1-line block ×6, first 2 shown]
	v_mov_b32_e32 v74, v73
	v_mov_b32_e32 v75, v73
	;; [unrolled: 1-line block ×7, first 2 shown]
	s_waitcnt lgkmcnt(8)
	s_delay_alu instid0(VALU_DEP_1)
	v_wmma_f32_16x16x16_bf16 v[73:80], v[65:72], v[91:98], v[73:80]
	ds_load_b128 v[69:72], v85 offset:5136
	ds_load_b128 v[65:68], v85 offset:5120
	;; [unrolled: 1-line block ×4, first 2 shown]
	s_waitcnt lgkmcnt(10)
	v_wmma_f32_16x16x16_bf16 v[73:80], v[57:64], v[99:106], v[73:80]
	s_waitcnt lgkmcnt(8)
	s_delay_alu instid0(VALU_DEP_1)
	v_wmma_f32_16x16x16_bf16 v[73:80], v[57:64], v[107:114], v[73:80]
	ds_load_b128 v[61:64], v85 offset:7184
	ds_load_b128 v[57:60], v85 offset:7168
	;; [unrolled: 1-line block ×4, first 2 shown]
	s_waitcnt lgkmcnt(10)
	v_wmma_f32_16x16x16_bf16 v[73:80], v[49:56], v[115:122], v[73:80]
	s_waitcnt lgkmcnt(8)
	s_delay_alu instid0(VALU_DEP_1)
	v_wmma_f32_16x16x16_bf16 v[73:80], v[49:56], v[123:130], v[73:80]
	ds_load_b128 v[53:56], v85 offset:9232
	ds_load_b128 v[49:52], v85 offset:9216
	s_waitcnt lgkmcnt(8)
	v_wmma_f32_16x16x16_bf16 v[73:80], v[41:48], v[65:72], v[73:80]
	ds_load_b128 v[69:72], v85 offset:10256
	ds_load_b128 v[65:68], v85 offset:10240
	s_waitcnt lgkmcnt(8)
	;; [unrolled: 4-line block ×3, first 2 shown]
	v_wmma_f32_16x16x16_bf16 v[73:80], v[9:16], v[57:64], v[73:80]
	s_waitcnt lgkmcnt(6)
	s_delay_alu instid0(VALU_DEP_1)
	v_wmma_f32_16x16x16_bf16 v[73:80], v[9:16], v[99:106], v[73:80]
	ds_load_b128 v[13:16], v85 offset:12304
	ds_load_b128 v[9:12], v85 offset:12288
	s_waitcnt lgkmcnt(6)
	v_wmma_f32_16x16x16_bf16 v[73:80], v[1:8], v[49:56], v[73:80]
	ds_load_b128 v[53:56], v85 offset:13328
	ds_load_b128 v[49:52], v85 offset:13312
	s_waitcnt lgkmcnt(6)
	;; [unrolled: 4-line block ×4, first 2 shown]
	v_wmma_f32_16x16x16_bf16 v[73:80], v[33:40], v[9:16], v[73:80]
	s_waitcnt lgkmcnt(4)
	s_delay_alu instid0(VALU_DEP_1) | instskip(SKIP_1) | instid1(VALU_DEP_1)
	v_wmma_f32_16x16x16_bf16 v[73:80], v[25:32], v[49:56], v[73:80]
	s_waitcnt lgkmcnt(2)
	v_wmma_f32_16x16x16_bf16 v[73:80], v[25:32], v[1:8], v[73:80]
	s_waitcnt lgkmcnt(0)
	s_delay_alu instid0(VALU_DEP_1) | instskip(NEXT) | instid1(VALU_DEP_1)
	v_wmma_f32_16x16x16_bf16 v[73:80], v[17:24], v[41:48], v[73:80]
	v_and_b32_e32 v1, 0x7f800000, v73
	s_delay_alu instid0(VALU_DEP_1) | instskip(SKIP_1) | instid1(SALU_CYCLE_1)
	v_cmp_ne_u32_e32 vcc_lo, 0x7f800000, v1
                                        ; implicit-def: $vgpr1
	s_and_saveexec_b32 s2, vcc_lo
	s_xor_b32 s2, exec_lo, s2
; %bb.81:
	v_bfe_u32 v1, v73, 16, 1
	s_delay_alu instid0(VALU_DEP_1)
	v_add3_u32 v1, v73, v1, 0x7fff
; %bb.82:
	s_and_not1_saveexec_b32 s2, s2
; %bb.83:
	v_and_b32_e32 v1, 0xffff, v73
	v_or_b32_e32 v2, 0x10000, v73
	s_delay_alu instid0(VALU_DEP_2) | instskip(NEXT) | instid1(VALU_DEP_2)
	v_cmp_eq_u32_e32 vcc_lo, 0, v1
	v_cndmask_b32_e32 v1, v2, v73, vcc_lo
; %bb.84:
	s_or_b32 exec_lo, exec_lo, s2
	v_and_b32_e32 v2, 0x7f800000, v74
	s_delay_alu instid0(VALU_DEP_1) | instskip(SKIP_1) | instid1(SALU_CYCLE_1)
	v_cmp_ne_u32_e32 vcc_lo, 0x7f800000, v2
                                        ; implicit-def: $vgpr2
	s_and_saveexec_b32 s2, vcc_lo
	s_xor_b32 s2, exec_lo, s2
; %bb.85:
	v_bfe_u32 v2, v74, 16, 1
	s_delay_alu instid0(VALU_DEP_1)
	v_add3_u32 v2, v74, v2, 0x7fff
; %bb.86:
	s_and_not1_saveexec_b32 s2, s2
; %bb.87:
	v_and_b32_e32 v2, 0xffff, v74
	v_or_b32_e32 v3, 0x10000, v74
	s_delay_alu instid0(VALU_DEP_2) | instskip(NEXT) | instid1(VALU_DEP_2)
	v_cmp_eq_u32_e32 vcc_lo, 0, v2
	v_cndmask_b32_e32 v2, v3, v74, vcc_lo
; %bb.88:
	s_or_b32 exec_lo, exec_lo, s2
	v_and_b32_e32 v3, 0x7f800000, v75
	s_delay_alu instid0(VALU_DEP_1) | instskip(SKIP_1) | instid1(SALU_CYCLE_1)
	v_cmp_ne_u32_e32 vcc_lo, 0x7f800000, v3
                                        ; implicit-def: $vgpr3
	s_and_saveexec_b32 s2, vcc_lo
	s_xor_b32 s2, exec_lo, s2
; %bb.89:
	v_bfe_u32 v3, v75, 16, 1
	s_delay_alu instid0(VALU_DEP_1)
	v_add3_u32 v3, v75, v3, 0x7fff
; %bb.90:
	s_and_not1_saveexec_b32 s2, s2
; %bb.91:
	v_and_b32_e32 v3, 0xffff, v75
	v_or_b32_e32 v4, 0x10000, v75
	s_delay_alu instid0(VALU_DEP_2) | instskip(NEXT) | instid1(VALU_DEP_2)
	v_cmp_eq_u32_e32 vcc_lo, 0, v3
	v_cndmask_b32_e32 v3, v4, v75, vcc_lo
; %bb.92:
	s_or_b32 exec_lo, exec_lo, s2
	v_and_b32_e32 v4, 0x7f800000, v76
	s_delay_alu instid0(VALU_DEP_1) | instskip(SKIP_1) | instid1(SALU_CYCLE_1)
	v_cmp_ne_u32_e32 vcc_lo, 0x7f800000, v4
                                        ; implicit-def: $vgpr4
	s_and_saveexec_b32 s2, vcc_lo
	s_xor_b32 s2, exec_lo, s2
; %bb.93:
	v_bfe_u32 v4, v76, 16, 1
	s_delay_alu instid0(VALU_DEP_1)
	v_add3_u32 v4, v76, v4, 0x7fff
; %bb.94:
	s_and_not1_saveexec_b32 s2, s2
; %bb.95:
	v_and_b32_e32 v4, 0xffff, v76
	v_or_b32_e32 v5, 0x10000, v76
	s_delay_alu instid0(VALU_DEP_2) | instskip(NEXT) | instid1(VALU_DEP_2)
	v_cmp_eq_u32_e32 vcc_lo, 0, v4
	v_cndmask_b32_e32 v4, v5, v76, vcc_lo
; %bb.96:
	s_or_b32 exec_lo, exec_lo, s2
	v_and_b32_e32 v5, 0x7f800000, v77
	s_delay_alu instid0(VALU_DEP_1) | instskip(SKIP_1) | instid1(SALU_CYCLE_1)
	v_cmp_ne_u32_e32 vcc_lo, 0x7f800000, v5
                                        ; implicit-def: $vgpr5
	s_and_saveexec_b32 s2, vcc_lo
	s_xor_b32 s2, exec_lo, s2
; %bb.97:
	v_bfe_u32 v5, v77, 16, 1
	s_delay_alu instid0(VALU_DEP_1)
	v_add3_u32 v5, v77, v5, 0x7fff
; %bb.98:
	s_and_not1_saveexec_b32 s2, s2
; %bb.99:
	v_and_b32_e32 v5, 0xffff, v77
	v_or_b32_e32 v6, 0x10000, v77
	s_delay_alu instid0(VALU_DEP_2) | instskip(NEXT) | instid1(VALU_DEP_2)
	v_cmp_eq_u32_e32 vcc_lo, 0, v5
	v_cndmask_b32_e32 v5, v6, v77, vcc_lo
; %bb.100:
	s_or_b32 exec_lo, exec_lo, s2
	v_and_b32_e32 v6, 0x7f800000, v78
	s_delay_alu instid0(VALU_DEP_1) | instskip(SKIP_1) | instid1(SALU_CYCLE_1)
	v_cmp_ne_u32_e32 vcc_lo, 0x7f800000, v6
                                        ; implicit-def: $vgpr6
	s_and_saveexec_b32 s2, vcc_lo
	s_xor_b32 s2, exec_lo, s2
; %bb.101:
	v_bfe_u32 v6, v78, 16, 1
	s_delay_alu instid0(VALU_DEP_1)
	v_add3_u32 v6, v78, v6, 0x7fff
; %bb.102:
	s_and_not1_saveexec_b32 s2, s2
; %bb.103:
	v_and_b32_e32 v6, 0xffff, v78
	v_or_b32_e32 v7, 0x10000, v78
	s_delay_alu instid0(VALU_DEP_2) | instskip(NEXT) | instid1(VALU_DEP_2)
	v_cmp_eq_u32_e32 vcc_lo, 0, v6
	v_cndmask_b32_e32 v6, v7, v78, vcc_lo
; %bb.104:
	s_or_b32 exec_lo, exec_lo, s2
	v_and_b32_e32 v7, 0x7f800000, v79
	s_delay_alu instid0(VALU_DEP_1) | instskip(SKIP_1) | instid1(SALU_CYCLE_1)
	v_cmp_ne_u32_e32 vcc_lo, 0x7f800000, v7
                                        ; implicit-def: $vgpr7
	s_and_saveexec_b32 s2, vcc_lo
	s_xor_b32 s2, exec_lo, s2
; %bb.105:
	v_bfe_u32 v7, v79, 16, 1
	s_delay_alu instid0(VALU_DEP_1)
	v_add3_u32 v7, v79, v7, 0x7fff
; %bb.106:
	s_and_not1_saveexec_b32 s2, s2
; %bb.107:
	v_and_b32_e32 v7, 0xffff, v79
	v_or_b32_e32 v8, 0x10000, v79
	s_delay_alu instid0(VALU_DEP_2) | instskip(NEXT) | instid1(VALU_DEP_2)
	v_cmp_eq_u32_e32 vcc_lo, 0, v7
	v_cndmask_b32_e32 v7, v8, v79, vcc_lo
; %bb.108:
	s_or_b32 exec_lo, exec_lo, s2
	v_and_b32_e32 v8, 0x7f800000, v80
	s_delay_alu instid0(VALU_DEP_1) | instskip(SKIP_1) | instid1(SALU_CYCLE_1)
	v_cmp_ne_u32_e32 vcc_lo, 0x7f800000, v8
                                        ; implicit-def: $vgpr8
	s_and_saveexec_b32 s2, vcc_lo
	s_xor_b32 s2, exec_lo, s2
; %bb.109:
	v_bfe_u32 v8, v80, 16, 1
	s_delay_alu instid0(VALU_DEP_1)
	v_add3_u32 v8, v80, v8, 0x7fff
                                        ; implicit-def: $vgpr73_vgpr74_vgpr75_vgpr76_vgpr77_vgpr78_vgpr79_vgpr80
; %bb.110:
	s_and_not1_saveexec_b32 s2, s2
; %bb.111:
	v_and_b32_e32 v8, 0xffff, v80
	v_or_b32_e32 v9, 0x10000, v80
	s_delay_alu instid0(VALU_DEP_2) | instskip(NEXT) | instid1(VALU_DEP_2)
	v_cmp_eq_u32_e32 vcc_lo, 0, v8
	v_cndmask_b32_e32 v8, v9, v80, vcc_lo
; %bb.112:
	s_or_b32 exec_lo, exec_lo, s2
	s_delay_alu instid0(VALU_DEP_1)
	v_perm_b32 v7, v8, v7, 0x7060302
	v_perm_b32 v6, v6, v5, 0x7060302
	;; [unrolled: 1-line block ×4, first 2 shown]
	v_lshl_or_b32 v9, v83, 4, v90
	s_barrier
	buffer_gl0_inv
	v_cmp_eq_u32_e32 vcc_lo, 1, v87
	ds_store_b128 v9, v[4:7]
	s_waitcnt lgkmcnt(0)
	s_barrier
	buffer_gl0_inv
	ds_load_b128 v[1:4], v90
	ds_load_b128 v[5:8], v90 offset:16
	v_cmp_eq_u32_e64 s3, 2, v87
	v_cmp_eq_u32_e64 s2, 1, v88
	;; [unrolled: 1-line block ×5, first 2 shown]
	s_waitcnt lgkmcnt(1)
	v_lshrrev_b32_e32 v10, 16, v1
	s_waitcnt lgkmcnt(0)
	v_lshrrev_b32_e32 v14, 16, v5
	v_lshrrev_b32_e32 v15, 16, v6
	;; [unrolled: 1-line block ×4, first 2 shown]
	v_cndmask_b32_e64 v20, v1, v10, s2
	v_cndmask_b32_e32 v19, v5, v14, vcc_lo
	v_cndmask_b32_e64 v21, v5, v14, s2
	v_lshrrev_b32_e32 v16, 16, v7
	v_cmp_eq_u32_e64 s2, 1, v86
	v_lshrrev_b32_e32 v13, 16, v4
	v_cndmask_b32_e64 v19, v19, v6, s3
	v_lshrrev_b32_e32 v17, 16, v8
	s_delay_alu instid0(VALU_DEP_4) | instskip(SKIP_1) | instid1(VALU_DEP_4)
	v_cndmask_b32_e64 v22, v1, v10, s2
	v_cndmask_b32_e64 v23, v5, v14, s2
	;; [unrolled: 1-line block ×3, first 2 shown]
	v_cndmask_b32_e32 v18, v1, v10, vcc_lo
	v_cmp_eq_u32_e32 vcc_lo, 2, v88
	v_cmp_eq_u32_e64 s2, 2, v89
	v_cndmask_b32_e64 v22, v22, v2, s6
	v_cndmask_b32_e32 v20, v20, v2, vcc_lo
	v_cndmask_b32_e32 v21, v21, v6, vcc_lo
	v_cmp_eq_u32_e32 vcc_lo, 4, v87
	v_cndmask_b32_e32 v19, v19, v7, vcc_lo
	v_cndmask_b32_e64 v18, v18, v2, s3
	v_cmp_eq_u32_e64 s3, 3, v88
	s_delay_alu instid0(VALU_DEP_2) | instskip(NEXT) | instid1(VALU_DEP_2)
	v_cndmask_b32_e64 v18, v18, v11, s4
	v_cndmask_b32_e64 v21, v21, v15, s3
	v_cmp_eq_u32_e64 s4, 5, v87
	s_delay_alu instid0(VALU_DEP_3) | instskip(SKIP_1) | instid1(VALU_DEP_3)
	v_cndmask_b32_e32 v18, v18, v3, vcc_lo
	v_cmp_eq_u32_e32 vcc_lo, 4, v88
	v_cndmask_b32_e64 v19, v19, v16, s4
	s_delay_alu instid0(VALU_DEP_3) | instskip(SKIP_4) | instid1(VALU_DEP_3)
	v_cndmask_b32_e64 v18, v18, v12, s4
	v_cndmask_b32_e32 v21, v21, v7, vcc_lo
	v_cndmask_b32_e64 v20, v20, v11, s3
	v_cmp_eq_u32_e64 s3, 5, v88
	v_cmp_eq_u32_e64 s4, 6, v87
	v_cndmask_b32_e32 v20, v20, v3, vcc_lo
	s_delay_alu instid0(VALU_DEP_3) | instskip(SKIP_1) | instid1(VALU_DEP_4)
	v_cndmask_b32_e64 v21, v21, v16, s3
	v_cmp_eq_u32_e32 vcc_lo, 6, v88
	v_cndmask_b32_e64 v18, v18, v4, s4
	v_cndmask_b32_e64 v19, v19, v8, s4
	;; [unrolled: 1-line block ×3, first 2 shown]
	v_cmp_eq_u32_e64 s3, 1, v89
	v_cmp_eq_u32_e64 s4, 7, v87
	s_delay_alu instid0(VALU_DEP_3) | instskip(NEXT) | instid1(VALU_DEP_3)
	v_cndmask_b32_e32 v20, v20, v4, vcc_lo
	v_cndmask_b32_e64 v1, v1, v10, s3
	v_cndmask_b32_e64 v5, v5, v14, s3
	v_cmp_eq_u32_e64 s3, 3, v86
	v_cndmask_b32_e64 v14, v23, v6, s6
	v_cmp_eq_u32_e64 s6, 3, v89
	v_cndmask_b32_e64 v1, v1, v2, s2
	v_cndmask_b32_e64 v2, v5, v6, s2
	;; [unrolled: 1-line block ×3, first 2 shown]
	v_cmp_eq_u32_e64 s2, 4, v86
	v_cndmask_b32_e64 v6, v14, v15, s3
	v_cndmask_b32_e64 v1, v1, v11, s6
	v_cmp_eq_u32_e64 s3, 4, v89
	v_cndmask_b32_e64 v2, v2, v15, s6
	v_cndmask_b32_e64 v5, v10, v3, s2
	;; [unrolled: 3-line block ×3, first 2 shown]
	v_cndmask_b32_e64 v2, v2, v7, s3
	v_cmp_eq_u32_e64 s2, 5, v89
	v_cndmask_b32_e64 v5, v5, v12, s6
	v_cmp_eq_u32_e64 s3, 6, v86
	;; [unrolled: 2-line block ×3, first 2 shown]
	v_cndmask_b32_e64 v1, v1, v12, s2
	v_cndmask_b32_e64 v2, v2, v16, s2
	;; [unrolled: 1-line block ×4, first 2 shown]
	v_cmp_eq_u32_e64 s2, 7, v89
	v_cndmask_b32_e64 v1, v1, v4, s6
	v_cndmask_b32_e64 v2, v2, v8, s6
	v_cmp_eq_u32_e64 s3, 7, v86
	v_cndmask_b32_e32 v4, v21, v8, vcc_lo
	v_cndmask_b32_e64 v18, v18, v13, s4
	v_cndmask_b32_e64 v20, v20, v13, s5
	;; [unrolled: 1-line block ×8, first 2 shown]
	s_mov_b32 s2, exec_lo
	v_perm_b32 v4, v2, v1, 0x5040100
	v_perm_b32 v3, v3, v5, 0x5040100
	;; [unrolled: 1-line block ×4, first 2 shown]
	ds_store_b128 v9, v[1:4]
	s_waitcnt lgkmcnt(0)
	s_barrier
	buffer_gl0_inv
	v_cmpx_gt_u32_e32 32, v0
	s_cbranch_execz .LBB769_2
; %bb.113:
	s_load_b64 s[0:1], s[0:1], 0x68
	v_lshlrev_b32_e32 v0, 10, v0
	v_or_b32_e32 v1, s29, v83
	s_lshl_b32 s4, s34, 7
	v_lshlrev_b32_e32 v2, 4, v84
	s_mul_i32 s2, s4, s30
	v_lshlrev_b32_e32 v3, 6, v83
	v_mul_lo_u32 v8, v1, s4
	v_and_b32_e32 v0, 0x3800, v0
	v_or_b32_e32 v1, 2, v1
	s_mul_i32 s2, s2, s7
	s_delay_alu instid0(SALU_CYCLE_1) | instskip(NEXT) | instid1(VALU_DEP_2)
	s_ashr_i32 s3, s2, 31
	v_or3_b32 v4, v0, v2, v3
	s_lshl_b64 s[2:3], s[2:3], 1
	v_mul_lo_u32 v10, v1, s4
	v_ashrrev_i32_e32 v9, 31, v8
	ds_load_b128 v[0:3], v4
	ds_load_b128 v[4:7], v4 offset:128
	s_waitcnt lgkmcnt(0)
	s_add_u32 s2, s0, s2
	s_addc_u32 s3, s1, s3
	s_lshl_b32 s0, s14, 7
	v_ashrrev_i32_e32 v11, 31, v10
	s_ashr_i32 s1, s0, 31
	v_lshlrev_b64 v[8:9], 1, v[8:9]
	s_lshl_b64 s[0:1], s[0:1], 1
	s_delay_alu instid0(SALU_CYCLE_1) | instskip(SKIP_4) | instid1(VALU_DEP_3)
	s_add_u32 s0, s2, s0
	s_addc_u32 s1, s3, s1
	v_add_co_u32 v12, vcc_lo, s0, v81
	v_add_co_ci_u32_e32 v13, vcc_lo, s1, v82, vcc_lo
	v_lshlrev_b64 v[10:11], 1, v[10:11]
	v_add_co_u32 v8, vcc_lo, v12, v8
	s_delay_alu instid0(VALU_DEP_3) | instskip(NEXT) | instid1(VALU_DEP_3)
	v_add_co_ci_u32_e32 v9, vcc_lo, v13, v9, vcc_lo
	v_add_co_u32 v10, vcc_lo, v12, v10
	s_delay_alu instid0(VALU_DEP_4)
	v_add_co_ci_u32_e32 v11, vcc_lo, v13, v11, vcc_lo
	s_clause 0x1
	global_store_b128 v[8:9], v[0:3], off
	global_store_b128 v[10:11], v[4:7], off
	s_nop 0
	s_sendmsg sendmsg(MSG_DEALLOC_VGPRS)
	s_endpgm
	.section	.rodata,"a",@progbits
	.p2align	6, 0x0
	.amdhsa_kernel _Z39paged_attention_ll4mi_QKV_mfma16_kernelI14__hip_bfloat16S0_LN4vllm18Fp8KVCacheDataTypeE0ES0_Li32ELi128ELi256ELb0ELi4EL8MFMAType0EEvPKT_PKT0_S9_ifPKiSB_SB_iPKfiiiPfSE_PS4_PT2_iSD_SD_
		.amdhsa_group_segment_fixed_size 17472
		.amdhsa_private_segment_fixed_size 0
		.amdhsa_kernarg_size 400
		.amdhsa_user_sgpr_count 13
		.amdhsa_user_sgpr_dispatch_ptr 0
		.amdhsa_user_sgpr_queue_ptr 0
		.amdhsa_user_sgpr_kernarg_segment_ptr 1
		.amdhsa_user_sgpr_dispatch_id 0
		.amdhsa_user_sgpr_private_segment_size 0
		.amdhsa_wavefront_size32 1
		.amdhsa_uses_dynamic_stack 0
		.amdhsa_enable_private_segment 0
		.amdhsa_system_sgpr_workgroup_id_x 1
		.amdhsa_system_sgpr_workgroup_id_y 1
		.amdhsa_system_sgpr_workgroup_id_z 1
		.amdhsa_system_sgpr_workgroup_info 0
		.amdhsa_system_vgpr_workitem_id 0
		.amdhsa_next_free_vgpr 157
		.amdhsa_next_free_sgpr 40
		.amdhsa_reserve_vcc 1
		.amdhsa_float_round_mode_32 0
		.amdhsa_float_round_mode_16_64 0
		.amdhsa_float_denorm_mode_32 3
		.amdhsa_float_denorm_mode_16_64 3
		.amdhsa_dx10_clamp 1
		.amdhsa_ieee_mode 1
		.amdhsa_fp16_overflow 0
		.amdhsa_workgroup_processor_mode 1
		.amdhsa_memory_ordered 1
		.amdhsa_forward_progress 0
		.amdhsa_shared_vgpr_count 0
		.amdhsa_exception_fp_ieee_invalid_op 0
		.amdhsa_exception_fp_denorm_src 0
		.amdhsa_exception_fp_ieee_div_zero 0
		.amdhsa_exception_fp_ieee_overflow 0
		.amdhsa_exception_fp_ieee_underflow 0
		.amdhsa_exception_fp_ieee_inexact 0
		.amdhsa_exception_int_div_zero 0
	.end_amdhsa_kernel
	.section	.text._Z39paged_attention_ll4mi_QKV_mfma16_kernelI14__hip_bfloat16S0_LN4vllm18Fp8KVCacheDataTypeE0ES0_Li32ELi128ELi256ELb0ELi4EL8MFMAType0EEvPKT_PKT0_S9_ifPKiSB_SB_iPKfiiiPfSE_PS4_PT2_iSD_SD_,"axG",@progbits,_Z39paged_attention_ll4mi_QKV_mfma16_kernelI14__hip_bfloat16S0_LN4vllm18Fp8KVCacheDataTypeE0ES0_Li32ELi128ELi256ELb0ELi4EL8MFMAType0EEvPKT_PKT0_S9_ifPKiSB_SB_iPKfiiiPfSE_PS4_PT2_iSD_SD_,comdat
.Lfunc_end769:
	.size	_Z39paged_attention_ll4mi_QKV_mfma16_kernelI14__hip_bfloat16S0_LN4vllm18Fp8KVCacheDataTypeE0ES0_Li32ELi128ELi256ELb0ELi4EL8MFMAType0EEvPKT_PKT0_S9_ifPKiSB_SB_iPKfiiiPfSE_PS4_PT2_iSD_SD_, .Lfunc_end769-_Z39paged_attention_ll4mi_QKV_mfma16_kernelI14__hip_bfloat16S0_LN4vllm18Fp8KVCacheDataTypeE0ES0_Li32ELi128ELi256ELb0ELi4EL8MFMAType0EEvPKT_PKT0_S9_ifPKiSB_SB_iPKfiiiPfSE_PS4_PT2_iSD_SD_
                                        ; -- End function
	.section	.AMDGPU.csdata,"",@progbits
; Kernel info:
; codeLenInByte = 9636
; NumSgprs: 42
; NumVgprs: 157
; ScratchSize: 0
; MemoryBound: 0
; FloatMode: 240
; IeeeMode: 1
; LDSByteSize: 17472 bytes/workgroup (compile time only)
; SGPRBlocks: 5
; VGPRBlocks: 19
; NumSGPRsForWavesPerEU: 42
; NumVGPRsForWavesPerEU: 157
; Occupancy: 9
; WaveLimiterHint : 1
; COMPUTE_PGM_RSRC2:SCRATCH_EN: 0
; COMPUTE_PGM_RSRC2:USER_SGPR: 13
; COMPUTE_PGM_RSRC2:TRAP_HANDLER: 0
; COMPUTE_PGM_RSRC2:TGID_X_EN: 1
; COMPUTE_PGM_RSRC2:TGID_Y_EN: 1
; COMPUTE_PGM_RSRC2:TGID_Z_EN: 1
; COMPUTE_PGM_RSRC2:TIDIG_COMP_CNT: 0
	.section	.text._Z38paged_attention_ll4mi_QKV_mfma4_kernelIDF16_hLN4vllm18Fp8KVCacheDataTypeE1EhLi16ELi64ELi256ELb1ELi1EEvPKT_PKT0_S7_ifPKiS9_S9_iPKfiiiPfSC_PS2_PT2_iSB_SB_,"axG",@progbits,_Z38paged_attention_ll4mi_QKV_mfma4_kernelIDF16_hLN4vllm18Fp8KVCacheDataTypeE1EhLi16ELi64ELi256ELb1ELi1EEvPKT_PKT0_S7_ifPKiS9_S9_iPKfiiiPfSC_PS2_PT2_iSB_SB_,comdat
	.protected	_Z38paged_attention_ll4mi_QKV_mfma4_kernelIDF16_hLN4vllm18Fp8KVCacheDataTypeE1EhLi16ELi64ELi256ELb1ELi1EEvPKT_PKT0_S7_ifPKiS9_S9_iPKfiiiPfSC_PS2_PT2_iSB_SB_ ; -- Begin function _Z38paged_attention_ll4mi_QKV_mfma4_kernelIDF16_hLN4vllm18Fp8KVCacheDataTypeE1EhLi16ELi64ELi256ELb1ELi1EEvPKT_PKT0_S7_ifPKiS9_S9_iPKfiiiPfSC_PS2_PT2_iSB_SB_
	.globl	_Z38paged_attention_ll4mi_QKV_mfma4_kernelIDF16_hLN4vllm18Fp8KVCacheDataTypeE1EhLi16ELi64ELi256ELb1ELi1EEvPKT_PKT0_S7_ifPKiS9_S9_iPKfiiiPfSC_PS2_PT2_iSB_SB_
	.p2align	8
	.type	_Z38paged_attention_ll4mi_QKV_mfma4_kernelIDF16_hLN4vllm18Fp8KVCacheDataTypeE1EhLi16ELi64ELi256ELb1ELi1EEvPKT_PKT0_S7_ifPKiS9_S9_iPKfiiiPfSC_PS2_PT2_iSB_SB_,@function
_Z38paged_attention_ll4mi_QKV_mfma4_kernelIDF16_hLN4vllm18Fp8KVCacheDataTypeE1EhLi16ELi64ELi256ELb1ELi1EEvPKT_PKT0_S7_ifPKiS9_S9_iPKfiiiPfSC_PS2_PT2_iSB_SB_: ; @_Z38paged_attention_ll4mi_QKV_mfma4_kernelIDF16_hLN4vllm18Fp8KVCacheDataTypeE1EhLi16ELi64ELi256ELb1ELi1EEvPKT_PKT0_S7_ifPKiS9_S9_iPKfiiiPfSC_PS2_PT2_iSB_SB_
; %bb.0:
	s_add_u32 s8, s0, 0x90
	s_addc_u32 s9, s1, 0
	s_getpc_b64 s[0:1]
	s_add_u32 s0, s0, __PRETTY_FUNCTION__._Z38paged_attention_ll4mi_QKV_mfma4_kernelIDF16_hLN4vllm18Fp8KVCacheDataTypeE1EhLi16ELi64ELi256ELb1ELi1EEvPKT_PKT0_S7_ifPKiS9_S9_iPKfiiiPfSC_PS2_PT2_iSB_SB_@rel32@lo+4
	s_addc_u32 s1, s1, __PRETTY_FUNCTION__._Z38paged_attention_ll4mi_QKV_mfma4_kernelIDF16_hLN4vllm18Fp8KVCacheDataTypeE1EhLi16ELi64ELi256ELb1ELi1EEvPKT_PKT0_S7_ifPKiS9_S9_iPKfiiiPfSC_PS2_PT2_iSB_SB_@rel32@hi+12
	s_delay_alu instid0(SALU_CYCLE_1) | instskip(SKIP_4) | instid1(SALU_CYCLE_1)
	v_dual_mov_b32 v0, s0 :: v_dual_mov_b32 v1, s1
	s_mov_b32 s32, 0
	s_getpc_b64 s[2:3]
	s_add_u32 s2, s2, __assert_fail@rel32@lo+4
	s_addc_u32 s3, s3, __assert_fail@rel32@hi+12
	s_swappc_b64 s[30:31], s[2:3]
	.section	.rodata,"a",@progbits
	.p2align	6, 0x0
	.amdhsa_kernel _Z38paged_attention_ll4mi_QKV_mfma4_kernelIDF16_hLN4vllm18Fp8KVCacheDataTypeE1EhLi16ELi64ELi256ELb1ELi1EEvPKT_PKT0_S7_ifPKiS9_S9_iPKfiiiPfSC_PS2_PT2_iSB_SB_
		.amdhsa_group_segment_fixed_size 0
		.amdhsa_private_segment_fixed_size 64
		.amdhsa_kernarg_size 400
		.amdhsa_user_sgpr_count 15
		.amdhsa_user_sgpr_dispatch_ptr 0
		.amdhsa_user_sgpr_queue_ptr 0
		.amdhsa_user_sgpr_kernarg_segment_ptr 1
		.amdhsa_user_sgpr_dispatch_id 0
		.amdhsa_user_sgpr_private_segment_size 0
		.amdhsa_wavefront_size32 1
		.amdhsa_uses_dynamic_stack 0
		.amdhsa_enable_private_segment 1
		.amdhsa_system_sgpr_workgroup_id_x 1
		.amdhsa_system_sgpr_workgroup_id_y 0
		.amdhsa_system_sgpr_workgroup_id_z 0
		.amdhsa_system_sgpr_workgroup_info 0
		.amdhsa_system_vgpr_workitem_id 0
		.amdhsa_next_free_vgpr 41
		.amdhsa_next_free_sgpr 34
		.amdhsa_reserve_vcc 1
		.amdhsa_float_round_mode_32 0
		.amdhsa_float_round_mode_16_64 0
		.amdhsa_float_denorm_mode_32 3
		.amdhsa_float_denorm_mode_16_64 3
		.amdhsa_dx10_clamp 1
		.amdhsa_ieee_mode 1
		.amdhsa_fp16_overflow 0
		.amdhsa_workgroup_processor_mode 1
		.amdhsa_memory_ordered 1
		.amdhsa_forward_progress 0
		.amdhsa_shared_vgpr_count 0
		.amdhsa_exception_fp_ieee_invalid_op 0
		.amdhsa_exception_fp_denorm_src 0
		.amdhsa_exception_fp_ieee_div_zero 0
		.amdhsa_exception_fp_ieee_overflow 0
		.amdhsa_exception_fp_ieee_underflow 0
		.amdhsa_exception_fp_ieee_inexact 0
		.amdhsa_exception_int_div_zero 0
	.end_amdhsa_kernel
	.section	.text._Z38paged_attention_ll4mi_QKV_mfma4_kernelIDF16_hLN4vllm18Fp8KVCacheDataTypeE1EhLi16ELi64ELi256ELb1ELi1EEvPKT_PKT0_S7_ifPKiS9_S9_iPKfiiiPfSC_PS2_PT2_iSB_SB_,"axG",@progbits,_Z38paged_attention_ll4mi_QKV_mfma4_kernelIDF16_hLN4vllm18Fp8KVCacheDataTypeE1EhLi16ELi64ELi256ELb1ELi1EEvPKT_PKT0_S7_ifPKiS9_S9_iPKfiiiPfSC_PS2_PT2_iSB_SB_,comdat
.Lfunc_end770:
	.size	_Z38paged_attention_ll4mi_QKV_mfma4_kernelIDF16_hLN4vllm18Fp8KVCacheDataTypeE1EhLi16ELi64ELi256ELb1ELi1EEvPKT_PKT0_S7_ifPKiS9_S9_iPKfiiiPfSC_PS2_PT2_iSB_SB_, .Lfunc_end770-_Z38paged_attention_ll4mi_QKV_mfma4_kernelIDF16_hLN4vllm18Fp8KVCacheDataTypeE1EhLi16ELi64ELi256ELb1ELi1EEvPKT_PKT0_S7_ifPKiS9_S9_iPKfiiiPfSC_PS2_PT2_iSB_SB_
                                        ; -- End function
	.section	.AMDGPU.csdata,"",@progbits
; Kernel info:
; codeLenInByte = 72
; NumSgprs: 36
; NumVgprs: 41
; ScratchSize: 64
; MemoryBound: 0
; FloatMode: 240
; IeeeMode: 1
; LDSByteSize: 0 bytes/workgroup (compile time only)
; SGPRBlocks: 4
; VGPRBlocks: 5
; NumSGPRsForWavesPerEU: 36
; NumVGPRsForWavesPerEU: 41
; Occupancy: 16
; WaveLimiterHint : 1
; COMPUTE_PGM_RSRC2:SCRATCH_EN: 1
; COMPUTE_PGM_RSRC2:USER_SGPR: 15
; COMPUTE_PGM_RSRC2:TRAP_HANDLER: 0
; COMPUTE_PGM_RSRC2:TGID_X_EN: 1
; COMPUTE_PGM_RSRC2:TGID_Y_EN: 0
; COMPUTE_PGM_RSRC2:TGID_Z_EN: 0
; COMPUTE_PGM_RSRC2:TIDIG_COMP_CNT: 0
	.section	.text._Z38paged_attention_ll4mi_QKV_mfma4_kernelIDF16_hLN4vllm18Fp8KVCacheDataTypeE1EhLi16ELi64ELi256ELb1ELi2EEvPKT_PKT0_S7_ifPKiS9_S9_iPKfiiiPfSC_PS2_PT2_iSB_SB_,"axG",@progbits,_Z38paged_attention_ll4mi_QKV_mfma4_kernelIDF16_hLN4vllm18Fp8KVCacheDataTypeE1EhLi16ELi64ELi256ELb1ELi2EEvPKT_PKT0_S7_ifPKiS9_S9_iPKfiiiPfSC_PS2_PT2_iSB_SB_,comdat
	.protected	_Z38paged_attention_ll4mi_QKV_mfma4_kernelIDF16_hLN4vllm18Fp8KVCacheDataTypeE1EhLi16ELi64ELi256ELb1ELi2EEvPKT_PKT0_S7_ifPKiS9_S9_iPKfiiiPfSC_PS2_PT2_iSB_SB_ ; -- Begin function _Z38paged_attention_ll4mi_QKV_mfma4_kernelIDF16_hLN4vllm18Fp8KVCacheDataTypeE1EhLi16ELi64ELi256ELb1ELi2EEvPKT_PKT0_S7_ifPKiS9_S9_iPKfiiiPfSC_PS2_PT2_iSB_SB_
	.globl	_Z38paged_attention_ll4mi_QKV_mfma4_kernelIDF16_hLN4vllm18Fp8KVCacheDataTypeE1EhLi16ELi64ELi256ELb1ELi2EEvPKT_PKT0_S7_ifPKiS9_S9_iPKfiiiPfSC_PS2_PT2_iSB_SB_
	.p2align	8
	.type	_Z38paged_attention_ll4mi_QKV_mfma4_kernelIDF16_hLN4vllm18Fp8KVCacheDataTypeE1EhLi16ELi64ELi256ELb1ELi2EEvPKT_PKT0_S7_ifPKiS9_S9_iPKfiiiPfSC_PS2_PT2_iSB_SB_,@function
_Z38paged_attention_ll4mi_QKV_mfma4_kernelIDF16_hLN4vllm18Fp8KVCacheDataTypeE1EhLi16ELi64ELi256ELb1ELi2EEvPKT_PKT0_S7_ifPKiS9_S9_iPKfiiiPfSC_PS2_PT2_iSB_SB_: ; @_Z38paged_attention_ll4mi_QKV_mfma4_kernelIDF16_hLN4vllm18Fp8KVCacheDataTypeE1EhLi16ELi64ELi256ELb1ELi2EEvPKT_PKT0_S7_ifPKiS9_S9_iPKfiiiPfSC_PS2_PT2_iSB_SB_
; %bb.0:
	s_add_u32 s8, s0, 0x90
	s_addc_u32 s9, s1, 0
	s_getpc_b64 s[0:1]
	s_add_u32 s0, s0, __PRETTY_FUNCTION__._Z38paged_attention_ll4mi_QKV_mfma4_kernelIDF16_hLN4vllm18Fp8KVCacheDataTypeE1EhLi16ELi64ELi256ELb1ELi2EEvPKT_PKT0_S7_ifPKiS9_S9_iPKfiiiPfSC_PS2_PT2_iSB_SB_@rel32@lo+4
	s_addc_u32 s1, s1, __PRETTY_FUNCTION__._Z38paged_attention_ll4mi_QKV_mfma4_kernelIDF16_hLN4vllm18Fp8KVCacheDataTypeE1EhLi16ELi64ELi256ELb1ELi2EEvPKT_PKT0_S7_ifPKiS9_S9_iPKfiiiPfSC_PS2_PT2_iSB_SB_@rel32@hi+12
	s_delay_alu instid0(SALU_CYCLE_1) | instskip(SKIP_4) | instid1(SALU_CYCLE_1)
	v_dual_mov_b32 v0, s0 :: v_dual_mov_b32 v1, s1
	s_mov_b32 s32, 0
	s_getpc_b64 s[2:3]
	s_add_u32 s2, s2, __assert_fail@rel32@lo+4
	s_addc_u32 s3, s3, __assert_fail@rel32@hi+12
	s_swappc_b64 s[30:31], s[2:3]
	.section	.rodata,"a",@progbits
	.p2align	6, 0x0
	.amdhsa_kernel _Z38paged_attention_ll4mi_QKV_mfma4_kernelIDF16_hLN4vllm18Fp8KVCacheDataTypeE1EhLi16ELi64ELi256ELb1ELi2EEvPKT_PKT0_S7_ifPKiS9_S9_iPKfiiiPfSC_PS2_PT2_iSB_SB_
		.amdhsa_group_segment_fixed_size 0
		.amdhsa_private_segment_fixed_size 64
		.amdhsa_kernarg_size 400
		.amdhsa_user_sgpr_count 15
		.amdhsa_user_sgpr_dispatch_ptr 0
		.amdhsa_user_sgpr_queue_ptr 0
		.amdhsa_user_sgpr_kernarg_segment_ptr 1
		.amdhsa_user_sgpr_dispatch_id 0
		.amdhsa_user_sgpr_private_segment_size 0
		.amdhsa_wavefront_size32 1
		.amdhsa_uses_dynamic_stack 0
		.amdhsa_enable_private_segment 1
		.amdhsa_system_sgpr_workgroup_id_x 1
		.amdhsa_system_sgpr_workgroup_id_y 0
		.amdhsa_system_sgpr_workgroup_id_z 0
		.amdhsa_system_sgpr_workgroup_info 0
		.amdhsa_system_vgpr_workitem_id 0
		.amdhsa_next_free_vgpr 41
		.amdhsa_next_free_sgpr 34
		.amdhsa_reserve_vcc 1
		.amdhsa_float_round_mode_32 0
		.amdhsa_float_round_mode_16_64 0
		.amdhsa_float_denorm_mode_32 3
		.amdhsa_float_denorm_mode_16_64 3
		.amdhsa_dx10_clamp 1
		.amdhsa_ieee_mode 1
		.amdhsa_fp16_overflow 0
		.amdhsa_workgroup_processor_mode 1
		.amdhsa_memory_ordered 1
		.amdhsa_forward_progress 0
		.amdhsa_shared_vgpr_count 0
		.amdhsa_exception_fp_ieee_invalid_op 0
		.amdhsa_exception_fp_denorm_src 0
		.amdhsa_exception_fp_ieee_div_zero 0
		.amdhsa_exception_fp_ieee_overflow 0
		.amdhsa_exception_fp_ieee_underflow 0
		.amdhsa_exception_fp_ieee_inexact 0
		.amdhsa_exception_int_div_zero 0
	.end_amdhsa_kernel
	.section	.text._Z38paged_attention_ll4mi_QKV_mfma4_kernelIDF16_hLN4vllm18Fp8KVCacheDataTypeE1EhLi16ELi64ELi256ELb1ELi2EEvPKT_PKT0_S7_ifPKiS9_S9_iPKfiiiPfSC_PS2_PT2_iSB_SB_,"axG",@progbits,_Z38paged_attention_ll4mi_QKV_mfma4_kernelIDF16_hLN4vllm18Fp8KVCacheDataTypeE1EhLi16ELi64ELi256ELb1ELi2EEvPKT_PKT0_S7_ifPKiS9_S9_iPKfiiiPfSC_PS2_PT2_iSB_SB_,comdat
.Lfunc_end771:
	.size	_Z38paged_attention_ll4mi_QKV_mfma4_kernelIDF16_hLN4vllm18Fp8KVCacheDataTypeE1EhLi16ELi64ELi256ELb1ELi2EEvPKT_PKT0_S7_ifPKiS9_S9_iPKfiiiPfSC_PS2_PT2_iSB_SB_, .Lfunc_end771-_Z38paged_attention_ll4mi_QKV_mfma4_kernelIDF16_hLN4vllm18Fp8KVCacheDataTypeE1EhLi16ELi64ELi256ELb1ELi2EEvPKT_PKT0_S7_ifPKiS9_S9_iPKfiiiPfSC_PS2_PT2_iSB_SB_
                                        ; -- End function
	.section	.AMDGPU.csdata,"",@progbits
; Kernel info:
; codeLenInByte = 72
; NumSgprs: 36
; NumVgprs: 41
; ScratchSize: 64
; MemoryBound: 0
; FloatMode: 240
; IeeeMode: 1
; LDSByteSize: 0 bytes/workgroup (compile time only)
; SGPRBlocks: 4
; VGPRBlocks: 5
; NumSGPRsForWavesPerEU: 36
; NumVGPRsForWavesPerEU: 41
; Occupancy: 16
; WaveLimiterHint : 1
; COMPUTE_PGM_RSRC2:SCRATCH_EN: 1
; COMPUTE_PGM_RSRC2:USER_SGPR: 15
; COMPUTE_PGM_RSRC2:TRAP_HANDLER: 0
; COMPUTE_PGM_RSRC2:TGID_X_EN: 1
; COMPUTE_PGM_RSRC2:TGID_Y_EN: 0
; COMPUTE_PGM_RSRC2:TGID_Z_EN: 0
; COMPUTE_PGM_RSRC2:TIDIG_COMP_CNT: 0
	.section	.text._Z38paged_attention_ll4mi_QKV_mfma4_kernelIDF16_hLN4vllm18Fp8KVCacheDataTypeE1EhLi16ELi64ELi256ELb1ELi3EEvPKT_PKT0_S7_ifPKiS9_S9_iPKfiiiPfSC_PS2_PT2_iSB_SB_,"axG",@progbits,_Z38paged_attention_ll4mi_QKV_mfma4_kernelIDF16_hLN4vllm18Fp8KVCacheDataTypeE1EhLi16ELi64ELi256ELb1ELi3EEvPKT_PKT0_S7_ifPKiS9_S9_iPKfiiiPfSC_PS2_PT2_iSB_SB_,comdat
	.protected	_Z38paged_attention_ll4mi_QKV_mfma4_kernelIDF16_hLN4vllm18Fp8KVCacheDataTypeE1EhLi16ELi64ELi256ELb1ELi3EEvPKT_PKT0_S7_ifPKiS9_S9_iPKfiiiPfSC_PS2_PT2_iSB_SB_ ; -- Begin function _Z38paged_attention_ll4mi_QKV_mfma4_kernelIDF16_hLN4vllm18Fp8KVCacheDataTypeE1EhLi16ELi64ELi256ELb1ELi3EEvPKT_PKT0_S7_ifPKiS9_S9_iPKfiiiPfSC_PS2_PT2_iSB_SB_
	.globl	_Z38paged_attention_ll4mi_QKV_mfma4_kernelIDF16_hLN4vllm18Fp8KVCacheDataTypeE1EhLi16ELi64ELi256ELb1ELi3EEvPKT_PKT0_S7_ifPKiS9_S9_iPKfiiiPfSC_PS2_PT2_iSB_SB_
	.p2align	8
	.type	_Z38paged_attention_ll4mi_QKV_mfma4_kernelIDF16_hLN4vllm18Fp8KVCacheDataTypeE1EhLi16ELi64ELi256ELb1ELi3EEvPKT_PKT0_S7_ifPKiS9_S9_iPKfiiiPfSC_PS2_PT2_iSB_SB_,@function
_Z38paged_attention_ll4mi_QKV_mfma4_kernelIDF16_hLN4vllm18Fp8KVCacheDataTypeE1EhLi16ELi64ELi256ELb1ELi3EEvPKT_PKT0_S7_ifPKiS9_S9_iPKfiiiPfSC_PS2_PT2_iSB_SB_: ; @_Z38paged_attention_ll4mi_QKV_mfma4_kernelIDF16_hLN4vllm18Fp8KVCacheDataTypeE1EhLi16ELi64ELi256ELb1ELi3EEvPKT_PKT0_S7_ifPKiS9_S9_iPKfiiiPfSC_PS2_PT2_iSB_SB_
; %bb.0:
	s_add_u32 s8, s0, 0x90
	s_addc_u32 s9, s1, 0
	s_getpc_b64 s[0:1]
	s_add_u32 s0, s0, __PRETTY_FUNCTION__._Z38paged_attention_ll4mi_QKV_mfma4_kernelIDF16_hLN4vllm18Fp8KVCacheDataTypeE1EhLi16ELi64ELi256ELb1ELi3EEvPKT_PKT0_S7_ifPKiS9_S9_iPKfiiiPfSC_PS2_PT2_iSB_SB_@rel32@lo+4
	s_addc_u32 s1, s1, __PRETTY_FUNCTION__._Z38paged_attention_ll4mi_QKV_mfma4_kernelIDF16_hLN4vllm18Fp8KVCacheDataTypeE1EhLi16ELi64ELi256ELb1ELi3EEvPKT_PKT0_S7_ifPKiS9_S9_iPKfiiiPfSC_PS2_PT2_iSB_SB_@rel32@hi+12
	s_delay_alu instid0(SALU_CYCLE_1) | instskip(SKIP_4) | instid1(SALU_CYCLE_1)
	v_dual_mov_b32 v0, s0 :: v_dual_mov_b32 v1, s1
	s_mov_b32 s32, 0
	s_getpc_b64 s[2:3]
	s_add_u32 s2, s2, __assert_fail@rel32@lo+4
	s_addc_u32 s3, s3, __assert_fail@rel32@hi+12
	s_swappc_b64 s[30:31], s[2:3]
	.section	.rodata,"a",@progbits
	.p2align	6, 0x0
	.amdhsa_kernel _Z38paged_attention_ll4mi_QKV_mfma4_kernelIDF16_hLN4vllm18Fp8KVCacheDataTypeE1EhLi16ELi64ELi256ELb1ELi3EEvPKT_PKT0_S7_ifPKiS9_S9_iPKfiiiPfSC_PS2_PT2_iSB_SB_
		.amdhsa_group_segment_fixed_size 0
		.amdhsa_private_segment_fixed_size 64
		.amdhsa_kernarg_size 400
		.amdhsa_user_sgpr_count 15
		.amdhsa_user_sgpr_dispatch_ptr 0
		.amdhsa_user_sgpr_queue_ptr 0
		.amdhsa_user_sgpr_kernarg_segment_ptr 1
		.amdhsa_user_sgpr_dispatch_id 0
		.amdhsa_user_sgpr_private_segment_size 0
		.amdhsa_wavefront_size32 1
		.amdhsa_uses_dynamic_stack 0
		.amdhsa_enable_private_segment 1
		.amdhsa_system_sgpr_workgroup_id_x 1
		.amdhsa_system_sgpr_workgroup_id_y 0
		.amdhsa_system_sgpr_workgroup_id_z 0
		.amdhsa_system_sgpr_workgroup_info 0
		.amdhsa_system_vgpr_workitem_id 0
		.amdhsa_next_free_vgpr 41
		.amdhsa_next_free_sgpr 34
		.amdhsa_reserve_vcc 1
		.amdhsa_float_round_mode_32 0
		.amdhsa_float_round_mode_16_64 0
		.amdhsa_float_denorm_mode_32 3
		.amdhsa_float_denorm_mode_16_64 3
		.amdhsa_dx10_clamp 1
		.amdhsa_ieee_mode 1
		.amdhsa_fp16_overflow 0
		.amdhsa_workgroup_processor_mode 1
		.amdhsa_memory_ordered 1
		.amdhsa_forward_progress 0
		.amdhsa_shared_vgpr_count 0
		.amdhsa_exception_fp_ieee_invalid_op 0
		.amdhsa_exception_fp_denorm_src 0
		.amdhsa_exception_fp_ieee_div_zero 0
		.amdhsa_exception_fp_ieee_overflow 0
		.amdhsa_exception_fp_ieee_underflow 0
		.amdhsa_exception_fp_ieee_inexact 0
		.amdhsa_exception_int_div_zero 0
	.end_amdhsa_kernel
	.section	.text._Z38paged_attention_ll4mi_QKV_mfma4_kernelIDF16_hLN4vllm18Fp8KVCacheDataTypeE1EhLi16ELi64ELi256ELb1ELi3EEvPKT_PKT0_S7_ifPKiS9_S9_iPKfiiiPfSC_PS2_PT2_iSB_SB_,"axG",@progbits,_Z38paged_attention_ll4mi_QKV_mfma4_kernelIDF16_hLN4vllm18Fp8KVCacheDataTypeE1EhLi16ELi64ELi256ELb1ELi3EEvPKT_PKT0_S7_ifPKiS9_S9_iPKfiiiPfSC_PS2_PT2_iSB_SB_,comdat
.Lfunc_end772:
	.size	_Z38paged_attention_ll4mi_QKV_mfma4_kernelIDF16_hLN4vllm18Fp8KVCacheDataTypeE1EhLi16ELi64ELi256ELb1ELi3EEvPKT_PKT0_S7_ifPKiS9_S9_iPKfiiiPfSC_PS2_PT2_iSB_SB_, .Lfunc_end772-_Z38paged_attention_ll4mi_QKV_mfma4_kernelIDF16_hLN4vllm18Fp8KVCacheDataTypeE1EhLi16ELi64ELi256ELb1ELi3EEvPKT_PKT0_S7_ifPKiS9_S9_iPKfiiiPfSC_PS2_PT2_iSB_SB_
                                        ; -- End function
	.section	.AMDGPU.csdata,"",@progbits
; Kernel info:
; codeLenInByte = 72
; NumSgprs: 36
; NumVgprs: 41
; ScratchSize: 64
; MemoryBound: 0
; FloatMode: 240
; IeeeMode: 1
; LDSByteSize: 0 bytes/workgroup (compile time only)
; SGPRBlocks: 4
; VGPRBlocks: 5
; NumSGPRsForWavesPerEU: 36
; NumVGPRsForWavesPerEU: 41
; Occupancy: 16
; WaveLimiterHint : 1
; COMPUTE_PGM_RSRC2:SCRATCH_EN: 1
; COMPUTE_PGM_RSRC2:USER_SGPR: 15
; COMPUTE_PGM_RSRC2:TRAP_HANDLER: 0
; COMPUTE_PGM_RSRC2:TGID_X_EN: 1
; COMPUTE_PGM_RSRC2:TGID_Y_EN: 0
; COMPUTE_PGM_RSRC2:TGID_Z_EN: 0
; COMPUTE_PGM_RSRC2:TIDIG_COMP_CNT: 0
	.section	.text._Z38paged_attention_ll4mi_QKV_mfma4_kernelIDF16_hLN4vllm18Fp8KVCacheDataTypeE1EhLi16ELi64ELi256ELb1ELi4EEvPKT_PKT0_S7_ifPKiS9_S9_iPKfiiiPfSC_PS2_PT2_iSB_SB_,"axG",@progbits,_Z38paged_attention_ll4mi_QKV_mfma4_kernelIDF16_hLN4vllm18Fp8KVCacheDataTypeE1EhLi16ELi64ELi256ELb1ELi4EEvPKT_PKT0_S7_ifPKiS9_S9_iPKfiiiPfSC_PS2_PT2_iSB_SB_,comdat
	.protected	_Z38paged_attention_ll4mi_QKV_mfma4_kernelIDF16_hLN4vllm18Fp8KVCacheDataTypeE1EhLi16ELi64ELi256ELb1ELi4EEvPKT_PKT0_S7_ifPKiS9_S9_iPKfiiiPfSC_PS2_PT2_iSB_SB_ ; -- Begin function _Z38paged_attention_ll4mi_QKV_mfma4_kernelIDF16_hLN4vllm18Fp8KVCacheDataTypeE1EhLi16ELi64ELi256ELb1ELi4EEvPKT_PKT0_S7_ifPKiS9_S9_iPKfiiiPfSC_PS2_PT2_iSB_SB_
	.globl	_Z38paged_attention_ll4mi_QKV_mfma4_kernelIDF16_hLN4vllm18Fp8KVCacheDataTypeE1EhLi16ELi64ELi256ELb1ELi4EEvPKT_PKT0_S7_ifPKiS9_S9_iPKfiiiPfSC_PS2_PT2_iSB_SB_
	.p2align	8
	.type	_Z38paged_attention_ll4mi_QKV_mfma4_kernelIDF16_hLN4vllm18Fp8KVCacheDataTypeE1EhLi16ELi64ELi256ELb1ELi4EEvPKT_PKT0_S7_ifPKiS9_S9_iPKfiiiPfSC_PS2_PT2_iSB_SB_,@function
_Z38paged_attention_ll4mi_QKV_mfma4_kernelIDF16_hLN4vllm18Fp8KVCacheDataTypeE1EhLi16ELi64ELi256ELb1ELi4EEvPKT_PKT0_S7_ifPKiS9_S9_iPKfiiiPfSC_PS2_PT2_iSB_SB_: ; @_Z38paged_attention_ll4mi_QKV_mfma4_kernelIDF16_hLN4vllm18Fp8KVCacheDataTypeE1EhLi16ELi64ELi256ELb1ELi4EEvPKT_PKT0_S7_ifPKiS9_S9_iPKfiiiPfSC_PS2_PT2_iSB_SB_
; %bb.0:
	s_add_u32 s8, s0, 0x90
	s_addc_u32 s9, s1, 0
	s_getpc_b64 s[0:1]
	s_add_u32 s0, s0, __PRETTY_FUNCTION__._Z38paged_attention_ll4mi_QKV_mfma4_kernelIDF16_hLN4vllm18Fp8KVCacheDataTypeE1EhLi16ELi64ELi256ELb1ELi4EEvPKT_PKT0_S7_ifPKiS9_S9_iPKfiiiPfSC_PS2_PT2_iSB_SB_@rel32@lo+4
	s_addc_u32 s1, s1, __PRETTY_FUNCTION__._Z38paged_attention_ll4mi_QKV_mfma4_kernelIDF16_hLN4vllm18Fp8KVCacheDataTypeE1EhLi16ELi64ELi256ELb1ELi4EEvPKT_PKT0_S7_ifPKiS9_S9_iPKfiiiPfSC_PS2_PT2_iSB_SB_@rel32@hi+12
	s_delay_alu instid0(SALU_CYCLE_1) | instskip(SKIP_4) | instid1(SALU_CYCLE_1)
	v_dual_mov_b32 v0, s0 :: v_dual_mov_b32 v1, s1
	s_mov_b32 s32, 0
	s_getpc_b64 s[2:3]
	s_add_u32 s2, s2, __assert_fail@rel32@lo+4
	s_addc_u32 s3, s3, __assert_fail@rel32@hi+12
	s_swappc_b64 s[30:31], s[2:3]
	.section	.rodata,"a",@progbits
	.p2align	6, 0x0
	.amdhsa_kernel _Z38paged_attention_ll4mi_QKV_mfma4_kernelIDF16_hLN4vllm18Fp8KVCacheDataTypeE1EhLi16ELi64ELi256ELb1ELi4EEvPKT_PKT0_S7_ifPKiS9_S9_iPKfiiiPfSC_PS2_PT2_iSB_SB_
		.amdhsa_group_segment_fixed_size 0
		.amdhsa_private_segment_fixed_size 64
		.amdhsa_kernarg_size 400
		.amdhsa_user_sgpr_count 15
		.amdhsa_user_sgpr_dispatch_ptr 0
		.amdhsa_user_sgpr_queue_ptr 0
		.amdhsa_user_sgpr_kernarg_segment_ptr 1
		.amdhsa_user_sgpr_dispatch_id 0
		.amdhsa_user_sgpr_private_segment_size 0
		.amdhsa_wavefront_size32 1
		.amdhsa_uses_dynamic_stack 0
		.amdhsa_enable_private_segment 1
		.amdhsa_system_sgpr_workgroup_id_x 1
		.amdhsa_system_sgpr_workgroup_id_y 0
		.amdhsa_system_sgpr_workgroup_id_z 0
		.amdhsa_system_sgpr_workgroup_info 0
		.amdhsa_system_vgpr_workitem_id 0
		.amdhsa_next_free_vgpr 41
		.amdhsa_next_free_sgpr 34
		.amdhsa_reserve_vcc 1
		.amdhsa_float_round_mode_32 0
		.amdhsa_float_round_mode_16_64 0
		.amdhsa_float_denorm_mode_32 3
		.amdhsa_float_denorm_mode_16_64 3
		.amdhsa_dx10_clamp 1
		.amdhsa_ieee_mode 1
		.amdhsa_fp16_overflow 0
		.amdhsa_workgroup_processor_mode 1
		.amdhsa_memory_ordered 1
		.amdhsa_forward_progress 0
		.amdhsa_shared_vgpr_count 0
		.amdhsa_exception_fp_ieee_invalid_op 0
		.amdhsa_exception_fp_denorm_src 0
		.amdhsa_exception_fp_ieee_div_zero 0
		.amdhsa_exception_fp_ieee_overflow 0
		.amdhsa_exception_fp_ieee_underflow 0
		.amdhsa_exception_fp_ieee_inexact 0
		.amdhsa_exception_int_div_zero 0
	.end_amdhsa_kernel
	.section	.text._Z38paged_attention_ll4mi_QKV_mfma4_kernelIDF16_hLN4vllm18Fp8KVCacheDataTypeE1EhLi16ELi64ELi256ELb1ELi4EEvPKT_PKT0_S7_ifPKiS9_S9_iPKfiiiPfSC_PS2_PT2_iSB_SB_,"axG",@progbits,_Z38paged_attention_ll4mi_QKV_mfma4_kernelIDF16_hLN4vllm18Fp8KVCacheDataTypeE1EhLi16ELi64ELi256ELb1ELi4EEvPKT_PKT0_S7_ifPKiS9_S9_iPKfiiiPfSC_PS2_PT2_iSB_SB_,comdat
.Lfunc_end773:
	.size	_Z38paged_attention_ll4mi_QKV_mfma4_kernelIDF16_hLN4vllm18Fp8KVCacheDataTypeE1EhLi16ELi64ELi256ELb1ELi4EEvPKT_PKT0_S7_ifPKiS9_S9_iPKfiiiPfSC_PS2_PT2_iSB_SB_, .Lfunc_end773-_Z38paged_attention_ll4mi_QKV_mfma4_kernelIDF16_hLN4vllm18Fp8KVCacheDataTypeE1EhLi16ELi64ELi256ELb1ELi4EEvPKT_PKT0_S7_ifPKiS9_S9_iPKfiiiPfSC_PS2_PT2_iSB_SB_
                                        ; -- End function
	.section	.AMDGPU.csdata,"",@progbits
; Kernel info:
; codeLenInByte = 72
; NumSgprs: 36
; NumVgprs: 41
; ScratchSize: 64
; MemoryBound: 0
; FloatMode: 240
; IeeeMode: 1
; LDSByteSize: 0 bytes/workgroup (compile time only)
; SGPRBlocks: 4
; VGPRBlocks: 5
; NumSGPRsForWavesPerEU: 36
; NumVGPRsForWavesPerEU: 41
; Occupancy: 16
; WaveLimiterHint : 1
; COMPUTE_PGM_RSRC2:SCRATCH_EN: 1
; COMPUTE_PGM_RSRC2:USER_SGPR: 15
; COMPUTE_PGM_RSRC2:TRAP_HANDLER: 0
; COMPUTE_PGM_RSRC2:TGID_X_EN: 1
; COMPUTE_PGM_RSRC2:TGID_Y_EN: 0
; COMPUTE_PGM_RSRC2:TGID_Z_EN: 0
; COMPUTE_PGM_RSRC2:TIDIG_COMP_CNT: 0
	.section	.text._Z39paged_attention_ll4mi_QKV_mfma16_kernelIDF16_hLN4vllm18Fp8KVCacheDataTypeE1EhLi16ELi64ELi256ELb1ELi5EL8MFMAType1EEvPKT_PKT0_S8_ifPKiSA_SA_iPKfiiiPfSD_PS3_PT2_iSC_SC_,"axG",@progbits,_Z39paged_attention_ll4mi_QKV_mfma16_kernelIDF16_hLN4vllm18Fp8KVCacheDataTypeE1EhLi16ELi64ELi256ELb1ELi5EL8MFMAType1EEvPKT_PKT0_S8_ifPKiSA_SA_iPKfiiiPfSD_PS3_PT2_iSC_SC_,comdat
	.protected	_Z39paged_attention_ll4mi_QKV_mfma16_kernelIDF16_hLN4vllm18Fp8KVCacheDataTypeE1EhLi16ELi64ELi256ELb1ELi5EL8MFMAType1EEvPKT_PKT0_S8_ifPKiSA_SA_iPKfiiiPfSD_PS3_PT2_iSC_SC_ ; -- Begin function _Z39paged_attention_ll4mi_QKV_mfma16_kernelIDF16_hLN4vllm18Fp8KVCacheDataTypeE1EhLi16ELi64ELi256ELb1ELi5EL8MFMAType1EEvPKT_PKT0_S8_ifPKiSA_SA_iPKfiiiPfSD_PS3_PT2_iSC_SC_
	.globl	_Z39paged_attention_ll4mi_QKV_mfma16_kernelIDF16_hLN4vllm18Fp8KVCacheDataTypeE1EhLi16ELi64ELi256ELb1ELi5EL8MFMAType1EEvPKT_PKT0_S8_ifPKiSA_SA_iPKfiiiPfSD_PS3_PT2_iSC_SC_
	.p2align	8
	.type	_Z39paged_attention_ll4mi_QKV_mfma16_kernelIDF16_hLN4vllm18Fp8KVCacheDataTypeE1EhLi16ELi64ELi256ELb1ELi5EL8MFMAType1EEvPKT_PKT0_S8_ifPKiSA_SA_iPKfiiiPfSD_PS3_PT2_iSC_SC_,@function
_Z39paged_attention_ll4mi_QKV_mfma16_kernelIDF16_hLN4vllm18Fp8KVCacheDataTypeE1EhLi16ELi64ELi256ELb1ELi5EL8MFMAType1EEvPKT_PKT0_S8_ifPKiSA_SA_iPKfiiiPfSD_PS3_PT2_iSC_SC_: ; @_Z39paged_attention_ll4mi_QKV_mfma16_kernelIDF16_hLN4vllm18Fp8KVCacheDataTypeE1EhLi16ELi64ELi256ELb1ELi5EL8MFMAType1EEvPKT_PKT0_S8_ifPKiSA_SA_iPKfiiiPfSD_PS3_PT2_iSC_SC_
; %bb.0:
	s_load_b64 s[2:3], s[0:1], 0x30
	s_mov_b32 s34, s13
	s_waitcnt lgkmcnt(0)
	s_cmp_lg_u64 s[2:3], 0
	s_cselect_b32 s6, -1, 0
	s_ashr_i32 s35, s13, 31
	s_cmp_eq_u64 s[2:3], 0
	s_cbranch_scc1 .LBB774_3
; %bb.1:
	s_lshl_b64 s[4:5], s[34:35], 2
	s_delay_alu instid0(SALU_CYCLE_1) | instskip(SKIP_4) | instid1(SALU_CYCLE_1)
	s_add_u32 s4, s2, s4
	s_addc_u32 s5, s3, s5
	s_load_b64 s[4:5], s[4:5], 0x0
	s_waitcnt lgkmcnt(0)
	s_sub_i32 s4, s5, s4
	s_cmp_eq_u32 s4, 1
	s_cselect_b32 s4, -1, 0
	s_delay_alu instid0(SALU_CYCLE_1)
	s_and_not1_b32 vcc_lo, exec_lo, s4
	s_cbranch_vccz .LBB774_4
.LBB774_2:
	s_nop 0
	s_sendmsg sendmsg(MSG_DEALLOC_VGPRS)
	s_endpgm
.LBB774_3:
.LBB774_4:
	s_load_b64 s[8:9], s[0:1], 0x28
	s_lshl_b64 s[4:5], s[34:35], 2
	s_waitcnt lgkmcnt(0)
	s_add_u32 s8, s8, s4
	s_addc_u32 s9, s9, s5
	s_lshl_b32 s16, s14, 8
	s_load_b32 s18, s[8:9], 0x0
	s_waitcnt lgkmcnt(0)
	s_cmp_ge_i32 s16, s18
	s_cbranch_scc1 .LBB774_2
; %bb.5:
	s_clause 0x1
	s_load_b128 s[8:11], s[0:1], 0x8
	s_load_b64 s[12:13], s[0:1], 0x20
	s_and_not1_b32 vcc_lo, exec_lo, s6
	s_cbranch_vccnz .LBB774_7
; %bb.6:
	s_add_u32 s2, s2, s4
	s_addc_u32 s3, s3, s5
	s_load_b32 s3, s[2:3], 0x0
	s_branch .LBB774_8
.LBB774_7:
	s_mov_b32 s3, s34
.LBB774_8:
	s_load_b128 s[4:7], s[0:1], 0x48
	v_lshrrev_b32_e32 v69, 5, v0
	v_bfe_u32 v66, v0, 4, 1
	v_and_b32_e32 v68, 15, v0
	v_and_b32_e32 v70, 31, v0
	;; [unrolled: 1-line block ×3, first 2 shown]
	s_mul_i32 s33, s15, 5
	v_lshl_or_b32 v1, v69, 1, v66
	v_lshlrev_b32_e32 v2, 3, v68
	v_cmp_gt_u32_e64 s2, 8, v68
	s_delay_alu instid0(VALU_DEP_3) | instskip(NEXT) | instid1(VALU_DEP_3)
	v_cmp_gt_u32_e32 vcc_lo, 5, v1
	v_lshlrev_b32_e32 v65, 1, v2
	s_delay_alu instid0(VALU_DEP_3)
	s_and_b32 s17, s2, vcc_lo
	s_waitcnt lgkmcnt(0)
	s_and_saveexec_b32 s7, s17
	s_cbranch_execz .LBB774_10
; %bb.9:
	s_load_b64 s[20:21], s[0:1], 0x0
	v_add_lshl_u32 v2, v1, s33, 6
	s_mul_hi_i32 s23, s3, s4
	s_mul_i32 s22, s3, s4
	v_lshlrev_b32_e32 v6, 10, v68
	s_lshl_b64 s[22:23], s[22:23], 1
	v_ashrrev_i32_e32 v3, 31, v2
	v_lshlrev_b32_e32 v1, 6, v1
	v_lshlrev_b32_e32 v7, 10, v67
	v_and_b32_e32 v6, 0x3800, v6
	s_delay_alu instid0(VALU_DEP_4) | instskip(NEXT) | instid1(VALU_DEP_2)
	v_lshlrev_b64 v[2:3], 1, v[2:3]
	v_or3_b32 v1, v6, v7, v1
	s_waitcnt lgkmcnt(0)
	s_add_u32 s3, s20, s22
	s_addc_u32 s4, s21, s23
	s_delay_alu instid0(VALU_DEP_2) | instskip(SKIP_1) | instid1(VALU_DEP_2)
	v_add_co_u32 v2, vcc_lo, s3, v2
	v_add_co_ci_u32_e32 v3, vcc_lo, s4, v3, vcc_lo
	v_add_co_u32 v2, vcc_lo, v2, v65
	s_delay_alu instid0(VALU_DEP_2)
	v_add_co_ci_u32_e32 v3, vcc_lo, 0, v3, vcc_lo
	global_load_b128 v[2:5], v[2:3], off
	s_waitcnt vmcnt(0)
	ds_store_b128 v1, v[2:5]
.LBB774_10:
	s_or_b32 exec_lo, exec_lo, s7
	v_and_b32_e32 v1, 0xef, v0
	s_add_i32 s3, s18, 15
	s_clause 0x1
	s_load_b32 s4, s[0:1], 0x38
	s_load_b32 s35, s[0:1], 0x98
	s_ashr_i32 s7, s3, 31
	v_add_nc_u32_e32 v1, s16, v1
	s_lshr_b32 s7, s7, 28
	s_load_b32 s19, s[0:1], 0x1c
	s_add_i32 s3, s3, s7
	s_waitcnt lgkmcnt(0)
	v_ashrrev_i32_e32 v2, 31, v1
	v_or_b32_e32 v3, 16, v1
	s_ashr_i32 s3, s3, 4
	v_cmp_gt_i32_e32 vcc_lo, s18, v1
	s_add_i32 s3, s3, -1
	v_lshrrev_b32_e32 v2, 28, v2
	s_barrier
	buffer_gl0_inv
	s_mul_i32 s15, s15, s6
	v_mul_lo_u16 v103, v68, 52
	v_add_nc_u32_e32 v4, v1, v2
	v_mbcnt_lo_u32_b32 v127, -1, 0
	s_mul_i32 s20, s34, s4
	s_delay_alu instid0(SALU_CYCLE_1) | instskip(NEXT) | instid1(VALU_DEP_2)
	s_ashr_i32 s21, s20, 31
	v_ashrrev_i32_e32 v4, 4, v4
	v_add_nc_u32_e32 v2, v3, v2
	s_lshl_b64 s[20:21], s[20:21], 2
	v_lshrrev_b16 v103, 8, v103
	s_add_u32 s17, s12, s20
	v_cndmask_b32_e32 v1, s3, v4, vcc_lo
	v_ashrrev_i32_e32 v2, 4, v2
	v_cmp_gt_i32_e32 vcc_lo, s18, v3
	s_addc_u32 s13, s13, s21
	s_ashr_i32 s20, s15, 31
	s_add_u32 s4, s8, s15
	s_addc_u32 s12, s9, s20
	v_cndmask_b32_e32 v3, s3, v2, vcc_lo
	v_ashrrev_i32_e32 v2, 31, v1
	s_lshl_b32 s6, s14, 4
	v_mul_lo_u16 v103, v103, 5
	s_ashr_i32 s7, s6, 31
	v_ashrrev_i32_e32 v4, 31, v3
	v_lshlrev_b64 v[1:2], 2, v[1:2]
	s_lshl_b64 s[6:7], s[6:7], 2
	v_sub_nc_u16 v103, v68, v103
	s_add_u32 s6, s17, s6
	v_lshlrev_b64 v[3:4], 2, v[3:4]
	s_addc_u32 s7, s13, s7
	v_add_co_u32 v1, vcc_lo, s17, v1
	v_add_co_ci_u32_e32 v2, vcc_lo, s13, v2, vcc_lo
	s_delay_alu instid0(VALU_DEP_3) | instskip(NEXT) | instid1(VALU_DEP_4)
	v_add_co_u32 v3, vcc_lo, s17, v3
	v_add_co_ci_u32_e32 v4, vcc_lo, s13, v4, vcc_lo
	s_clause 0x1
	global_load_b32 v5, v[1:2], off
	global_load_b32 v7, v[3:4], off
	s_or_b32 s8, s16, 32
	v_lshlrev_b32_e32 v1, 4, v0
	s_ashr_i32 s9, s8, 4
	s_cmp_lt_i32 s8, s18
	v_xor_b32_e32 v128, 16, v127
	s_cselect_b32 s8, s9, s3
	v_and_b32_e32 v1, 0xf0, v1
	s_ashr_i32 s9, s8, 31
	s_delay_alu instid0(SALU_CYCLE_1)
	s_lshl_b64 s[8:9], s[8:9], 2
	v_cmp_gt_i32_e32 vcc_lo, 32, v128
	s_add_u32 s8, s17, s8
	s_addc_u32 s9, s13, s9
	s_or_b32 s21, s16, 64
	v_add_co_u32 v1, s4, s4, v1
	s_ashr_i32 s22, s21, 4
	s_cmp_lt_i32 s21, s18
	v_add_co_ci_u32_e64 v2, null, s12, 0, s4
	s_cselect_b32 s22, s22, s3
	v_dual_cndmask_b32 v136, v127, v128 :: v_dual_and_b32 v103, 0xff, v103
	s_ashr_i32 s23, s22, 31
	s_delay_alu instid0(SALU_CYCLE_1) | instskip(NEXT) | instid1(VALU_DEP_1)
	s_lshl_b64 s[22:23], s[22:23], 2
	v_lshlrev_b32_e32 v115, 6, v103
	s_add_u32 s22, s17, s22
	s_addc_u32 s23, s13, s23
	s_or_b32 s21, s16, 0x60
	s_delay_alu instid0(SALU_CYCLE_1) | instskip(SKIP_2) | instid1(SALU_CYCLE_1)
	s_ashr_i32 s24, s21, 4
	s_cmp_lt_i32 s21, s18
	s_cselect_b32 s24, s24, s3
	s_ashr_i32 s25, s24, 31
	s_delay_alu instid0(SALU_CYCLE_1) | instskip(NEXT) | instid1(SALU_CYCLE_1)
	s_lshl_b64 s[24:25], s[24:25], 2
	s_add_u32 s24, s17, s24
	s_addc_u32 s25, s13, s25
	s_or_b32 s21, s16, 0x80
	s_delay_alu instid0(SALU_CYCLE_1) | instskip(SKIP_2) | instid1(SALU_CYCLE_1)
	s_ashr_i32 s26, s21, 4
	s_cmp_lt_i32 s21, s18
	s_cselect_b32 s26, s26, s3
	s_ashr_i32 s27, s26, 31
	s_delay_alu instid0(SALU_CYCLE_1) | instskip(NEXT) | instid1(SALU_CYCLE_1)
	s_lshl_b64 s[26:27], s[26:27], 2
	s_add_u32 s26, s17, s26
	s_addc_u32 s27, s13, s27
	s_or_b32 s21, s16, 0xa0
	s_delay_alu instid0(SALU_CYCLE_1) | instskip(SKIP_2) | instid1(SALU_CYCLE_1)
	s_ashr_i32 s28, s21, 4
	s_cmp_lt_i32 s21, s18
	s_cselect_b32 s28, s28, s3
	s_ashr_i32 s29, s28, 31
	s_delay_alu instid0(SALU_CYCLE_1) | instskip(NEXT) | instid1(SALU_CYCLE_1)
	s_lshl_b64 s[28:29], s[28:29], 2
	s_add_u32 s28, s17, s28
	s_addc_u32 s29, s13, s29
	s_clause 0x5
	s_load_b32 s12, s[6:7], 0x0
	s_load_b32 s4, s[8:9], 0x0
	;; [unrolled: 1-line block ×6, first 2 shown]
	s_or_b32 s21, s16, 0xc0
	s_delay_alu instid0(SALU_CYCLE_1) | instskip(SKIP_2) | instid1(SALU_CYCLE_1)
	s_ashr_i32 s22, s21, 4
	s_cmp_lt_i32 s21, s18
	s_cselect_b32 s22, s22, s3
	s_ashr_i32 s23, s22, 31
	s_delay_alu instid0(SALU_CYCLE_1) | instskip(NEXT) | instid1(SALU_CYCLE_1)
	s_lshl_b64 s[22:23], s[22:23], 2
	s_add_u32 s22, s17, s22
	s_addc_u32 s23, s13, s23
	s_or_b32 s21, s16, 0xe0
	s_delay_alu instid0(SALU_CYCLE_1) | instskip(SKIP_2) | instid1(SALU_CYCLE_1)
	s_ashr_i32 s24, s21, 4
	s_cmp_lt_i32 s21, s18
	s_cselect_b32 s24, s24, s3
	s_ashr_i32 s25, s24, 31
	s_delay_alu instid0(SALU_CYCLE_1)
	s_lshl_b64 s[24:25], s[24:25], 2
	s_waitcnt vmcnt(1)
	v_mad_i64_i32 v[3:4], null, v5, s5, v[1:2]
	s_waitcnt vmcnt(0)
	v_mad_i64_i32 v[5:6], null, v7, s5, v[1:2]
	v_lshlrev_b32_e32 v1, 4, v68
	s_clause 0x7
	global_load_b128 v[71:74], v[3:4], off
	global_load_b128 v[75:78], v[3:4], off offset:256
	global_load_b128 v[79:82], v[5:6], off
	global_load_b128 v[83:86], v[5:6], off offset:256
	global_load_b128 v[87:90], v[3:4], off offset:512
	;; [unrolled: 1-line block ×5, first 2 shown]
	v_lshl_or_b32 v1, v69, 8, v1
	s_load_b32 s3, s[22:23], 0x0
	s_add_u32 s22, s17, s24
	s_addc_u32 s23, s13, s25
	s_add_u32 s10, s10, s15
	s_addc_u32 s11, s11, s20
	v_add_co_u32 v1, s10, s10, v1
	s_delay_alu instid0(VALU_DEP_1) | instskip(SKIP_2) | instid1(VALU_DEP_1)
	v_add_co_ci_u32_e64 v2, null, s11, 0, s10
	s_load_b32 s10, s[22:23], 0x0
	s_waitcnt lgkmcnt(0)
	v_mad_i64_i32 v[3:4], null, s12, s5, v[1:2]
	v_mad_i64_i32 v[9:10], null, s7, s5, v[1:2]
	;; [unrolled: 1-line block ×7, first 2 shown]
	s_clause 0x5
	global_load_b128 v[49:52], v[3:4], off
	global_load_b128 v[53:56], v[3:4], off offset:16
	global_load_b128 v[41:44], v[5:6], off
	global_load_b128 v[45:48], v[5:6], off offset:16
	;; [unrolled: 2-line block ×3, first 2 shown]
	s_mov_b32 s4, 0
	v_mad_i64_i32 v[61:62], null, s10, s5, v[1:2]
	s_clause 0x9
	global_load_b128 v[1:4], v[9:10], off
	global_load_b128 v[5:8], v[9:10], off offset:16
	global_load_b128 v[9:12], v[13:14], off
	global_load_b128 v[13:16], v[13:14], off offset:16
	;; [unrolled: 2-line block ×5, first 2 shown]
	s_mov_b32 s5, s4
	s_mov_b32 s6, s4
	s_mov_b32 s7, s4
	s_mov_b32 s8, s4
	s_mov_b32 s9, s4
	s_mov_b32 s10, s4
	s_mov_b32 s11, s4
	v_and_b32_e32 v104, 0xe0, v0
	v_dual_mov_b32 v126, s11 :: v_dual_mov_b32 v123, s8
	v_dual_mov_b32 v125, s10 :: v_dual_mov_b32 v124, s9
	s_delay_alu instid0(VALU_DEP_3)
	v_add_nc_u32_e32 v111, s16, v104
	ds_load_b128 v[103:106], v115
	ds_load_b128 v[107:110], v115 offset:1024
	v_dual_mov_b32 v122, s7 :: v_dual_mov_b32 v121, s6
	v_mov_b32_e32 v120, s5
	v_or_b32_e32 v135, v111, v66
	ds_load_b128 v[111:114], v115 offset:2048
	ds_load_b128 v[115:118], v115 offset:3072
	v_mov_b32_e32 v119, s4
	s_waitcnt vmcnt(0) lgkmcnt(0)
	s_barrier
	v_or_b32_e32 v137, 2, v135
	v_or_b32_e32 v138, 4, v135
	;; [unrolled: 1-line block ×3, first 2 shown]
	v_cmp_gt_i32_e32 vcc_lo, s18, v135
	v_or_b32_e32 v140, 8, v135
	v_cmp_gt_i32_e64 s3, s18, v137
	v_or_b32_e32 v141, 10, v135
	v_cmp_gt_i32_e64 s4, s18, v138
	v_cmp_gt_i32_e64 s5, s18, v139
	v_or_b32_e32 v142, 12, v135
	v_or_b32_e32 v143, 14, v135
	v_cmp_gt_i32_e64 s6, s18, v140
	v_cmp_gt_i32_e64 s7, s18, v141
	v_or_b32_e32 v144, 16, v135
	v_or_b32_e32 v145, 18, v135
	v_cmp_gt_i32_e64 s8, s18, v142
	v_cmp_gt_i32_e64 s9, s18, v143
	buffer_gl0_inv
	v_cmp_gt_i32_e64 s10, s18, v144
	v_cmp_gt_i32_e64 s11, s18, v145
	v_wmma_f32_16x16x16_f16 v[127:134], v[71:78], v[103:110], v[119:126]
	v_wmma_f32_16x16x16_f16 v[119:126], v[79:86], v[103:110], v[119:126]
	v_or_b32_e32 v71, 20, v135
	v_or_b32_e32 v72, 22, v135
	s_delay_alu instid0(VALU_DEP_4)
	v_wmma_f32_16x16x16_f16 v[127:134], v[87:94], v[111:118], v[127:134]
	v_or_b32_e32 v73, 24, v135
	v_wmma_f32_16x16x16_f16 v[119:126], v[95:102], v[111:118], v[119:126]
	v_or_b32_e32 v74, 26, v135
	v_cmp_gt_i32_e64 s12, s18, v71
	v_dual_mul_f32 v83, s19, v128 :: v_dual_mul_f32 v84, s19, v127
	s_delay_alu instid0(VALU_DEP_4) | instskip(SKIP_1) | instid1(VALU_DEP_3)
	v_dual_mul_f32 v81, s19, v130 :: v_dual_mul_f32 v92, s19, v119
	v_mul_f32_e32 v82, s19, v129
	v_cndmask_b32_e64 v83, 0xff7fffff, v83, s3
	s_delay_alu instid0(VALU_DEP_4)
	v_cndmask_b32_e32 v84, 0xff7fffff, v84, vcc_lo
	v_dual_mul_f32 v79, s19, v132 :: v_dual_mul_f32 v90, s19, v121
	v_mul_f32_e32 v80, s19, v131
	v_cndmask_b32_e64 v82, 0xff7fffff, v82, s4
	v_cndmask_b32_e64 v81, 0xff7fffff, v81, s5
	v_max3_f32 v83, v84, 0xff7fffff, v83
	v_dual_mul_f32 v77, s19, v134 :: v_dual_mul_f32 v88, s19, v123
	v_mul_f32_e32 v78, s19, v133
	v_cndmask_b32_e64 v80, 0xff7fffff, v80, s6
	v_cndmask_b32_e64 v79, 0xff7fffff, v79, s7
	v_max3_f32 v81, v83, v82, v81
	v_mul_f32_e32 v91, s19, v120
	v_cndmask_b32_e64 v78, 0xff7fffff, v78, s8
	v_cndmask_b32_e64 v77, 0xff7fffff, v77, s9
	v_mul_f32_e32 v89, s19, v122
	v_max3_f32 v79, v81, v80, v79
	v_cndmask_b32_e64 v80, 0xff7fffff, v92, s10
	v_cndmask_b32_e64 v81, 0xff7fffff, v91, s11
	v_cmp_gt_i32_e64 s13, s18, v72
	v_or_b32_e32 v75, 28, v135
	v_max3_f32 v77, v79, v78, v77
	v_or_b32_e32 v76, 30, v135
	v_mul_f32_e32 v87, s19, v124
	v_cndmask_b32_e64 v71, 0xff7fffff, v90, s12
	v_cndmask_b32_e64 v72, 0xff7fffff, v89, s13
	v_max3_f32 v77, v77, v80, v81
	v_cmp_gt_i32_e64 s15, s18, v73
	v_cmp_gt_i32_e64 s16, s18, v74
	v_dual_mul_f32 v85, s19, v126 :: v_dual_mul_f32 v86, s19, v125
	s_delay_alu instid0(VALU_DEP_4) | instskip(NEXT) | instid1(VALU_DEP_4)
	v_max3_f32 v71, v77, v71, v72
	v_cndmask_b32_e64 v73, 0xff7fffff, v88, s15
	s_delay_alu instid0(VALU_DEP_4) | instskip(SKIP_2) | instid1(VALU_DEP_3)
	v_cndmask_b32_e64 v74, 0xff7fffff, v87, s16
	v_cmp_gt_i32_e64 s17, s18, v75
	v_cmp_gt_i32_e64 s18, s18, v76
	v_max3_f32 v71, v71, v73, v74
	s_delay_alu instid0(VALU_DEP_3) | instskip(NEXT) | instid1(VALU_DEP_3)
	v_cndmask_b32_e64 v72, 0xff7fffff, v86, s17
	v_cndmask_b32_e64 v75, 0xff7fffff, v85, s18
	v_lshlrev_b32_e32 v73, 2, v136
	s_delay_alu instid0(VALU_DEP_2) | instskip(SKIP_3) | instid1(VALU_DEP_1)
	v_max3_f32 v71, v71, v72, v75
	ds_bpermute_b32 v72, v73, v71
	s_waitcnt lgkmcnt(0)
	v_max_f32_e32 v72, v72, v72
	v_max_f32_e32 v71, v71, v72
	s_delay_alu instid0(VALU_DEP_1)
	v_fma_f32 v72, s19, v127, -v71
	v_fma_f32 v74, s19, v128, -v71
	;; [unrolled: 1-line block ×5, first 2 shown]
	v_mul_f32_e32 v72, 0x3fb8aa3b, v72
	v_mul_f32_e32 v74, 0x3fb8aa3b, v74
	v_fma_f32 v80, s19, v133, -v71
	s_delay_alu instid0(VALU_DEP_4) | instskip(NEXT) | instid1(VALU_DEP_4)
	v_dual_mul_f32 v76, 0x3fb8aa3b, v76 :: v_dual_mul_f32 v77, 0x3fb8aa3b, v77
	v_exp_f32_e32 v72, v72
	s_delay_alu instid0(VALU_DEP_3) | instskip(NEXT) | instid1(VALU_DEP_2)
	v_exp_f32_e32 v74, v74
	v_mul_f32_e32 v82, 0x3fb8aa3b, v80
	s_delay_alu instid0(VALU_DEP_2) | instskip(SKIP_1) | instid1(VALU_DEP_1)
	v_exp_f32_e32 v76, v76
	v_exp_f32_e32 v77, v77
	v_exp_f32_e32 v84, v82
	v_cndmask_b32_e32 v79, 0, v72, vcc_lo
	v_fma_f32 v72, s19, v132, -v71
	v_mul_f32_e32 v75, 0x3fb8aa3b, v75
	v_cndmask_b32_e64 v78, 0, v74, s3
	s_delay_alu instid0(TRANS32_DEP_3)
	v_cndmask_b32_e64 v80, 0, v76, s5
	v_add_f32_e32 v74, 0, v79
	v_mul_f32_e32 v72, 0x3fb8aa3b, v72
	v_exp_f32_e32 v75, v75
	v_cndmask_b32_e64 v83, 0, v77, s6
	v_cndmask_b32_e64 v85, 0, v84, s8
	v_add_f32_e32 v74, v74, v78
	v_exp_f32_e32 v72, v72
	v_cmp_gt_u32_e64 s3, 16, v70
	s_waitcnt_depctr 0xfff
	v_cndmask_b32_e64 v81, 0, v75, s4
	v_cndmask_b32_e64 v82, 0, v72, s7
	s_delay_alu instid0(VALU_DEP_2) | instskip(NEXT) | instid1(VALU_DEP_1)
	v_add_f32_e32 v74, v74, v81
	v_add_f32_e32 v74, v74, v80
	s_delay_alu instid0(VALU_DEP_1) | instskip(SKIP_4) | instid1(VALU_DEP_4)
	v_add_f32_e32 v72, v74, v83
	v_fma_f32 v75, s19, v134, -v71
	v_fma_f32 v76, s19, v119, -v71
	;; [unrolled: 1-line block ×4, first 2 shown]
	v_dual_add_f32 v72, v72, v82 :: v_dual_mul_f32 v75, 0x3fb8aa3b, v75
	s_delay_alu instid0(VALU_DEP_3) | instskip(SKIP_1) | instid1(VALU_DEP_3)
	v_dual_mul_f32 v76, 0x3fb8aa3b, v76 :: v_dual_mul_f32 v77, 0x3fb8aa3b, v77
	v_fma_f32 v86, s19, v122, -v71
	v_add_f32_e32 v72, v72, v85
	s_delay_alu instid0(VALU_DEP_4) | instskip(NEXT) | instid1(VALU_DEP_3)
	v_exp_f32_e32 v75, v75
	v_exp_f32_e32 v76, v76
	;; [unrolled: 1-line block ×3, first 2 shown]
	v_mul_f32_e32 v86, 0x3fb8aa3b, v86
	s_delay_alu instid0(VALU_DEP_1) | instskip(SKIP_3) | instid1(TRANS32_DEP_3)
	v_exp_f32_e32 v88, v86
	v_cndmask_b32_e64 v84, 0, v75, s9
	v_fma_f32 v75, s19, v123, -v71
	v_mul_f32_e32 v74, 0x3fb8aa3b, v74
	v_cndmask_b32_e64 v87, 0, v76, s10
	v_fma_f32 v76, s19, v124, -v71
	s_delay_alu instid0(VALU_DEP_4) | instskip(NEXT) | instid1(VALU_DEP_4)
	v_dual_add_f32 v72, v72, v84 :: v_dual_mul_f32 v75, 0x3fb8aa3b, v75
	v_exp_f32_e32 v74, v74
	v_cndmask_b32_e64 v86, 0, v77, s11
	v_fma_f32 v77, s19, v125, -v71
	s_delay_alu instid0(VALU_DEP_3) | instskip(SKIP_3) | instid1(VALU_DEP_3)
	v_add_f32_e32 v72, v72, v87
	v_mul_f32_e32 v76, 0x3fb8aa3b, v76
	v_exp_f32_e32 v75, v75
	v_cndmask_b32_e64 v88, 0, v88, s13
	v_add_f32_e32 v72, v72, v86
	s_delay_alu instid0(VALU_DEP_3) | instskip(NEXT) | instid1(TRANS32_DEP_3)
	v_exp_f32_e32 v76, v76
	v_cndmask_b32_e64 v89, 0, v74, s12
	v_mul_f32_e32 v74, 0x3fb8aa3b, v77
	v_fma_f32 v77, s19, v126, -v71
	s_delay_alu instid0(VALU_DEP_3) | instskip(NEXT) | instid1(VALU_DEP_3)
	v_add_f32_e32 v72, v72, v89
	v_exp_f32_e32 v74, v74
	s_delay_alu instid0(TRANS32_DEP_3) | instskip(NEXT) | instid1(VALU_DEP_3)
	v_cndmask_b32_e64 v91, 0, v75, s15
	v_mul_f32_e32 v75, 0x3fb8aa3b, v77
	s_delay_alu instid0(TRANS32_DEP_2) | instskip(SKIP_1) | instid1(VALU_DEP_3)
	v_cndmask_b32_e64 v90, 0, v76, s16
	v_add_f32_e32 v72, v72, v88
	v_exp_f32_e32 v75, v75
	s_delay_alu instid0(VALU_DEP_1) | instskip(NEXT) | instid1(TRANS32_DEP_2)
	v_add_f32_e32 v72, v72, v91
	v_cndmask_b32_e64 v93, 0, v74, s17
	s_delay_alu instid0(VALU_DEP_2) | instskip(SKIP_3) | instid1(VALU_DEP_1)
	v_add_f32_e32 v72, v72, v90
	s_waitcnt_depctr 0xfff
	v_cndmask_b32_e64 v92, 0, v75, s18
	v_add_f32_e32 v72, v72, v93
	v_add_f32_e32 v72, v72, v92
	ds_bpermute_b32 v73, v73, v72
	s_and_saveexec_b32 s4, s3
	s_cbranch_execz .LBB774_12
; %bb.11:
	v_mul_u32_u24_e32 v70, 0x44, v69
	s_waitcnt lgkmcnt(0)
	v_add_f32_e32 v72, v72, v73
	s_delay_alu instid0(VALU_DEP_2) | instskip(NEXT) | instid1(VALU_DEP_1)
	v_lshl_add_u32 v70, v68, 2, v70
	v_add_nc_u32_e32 v70, 0x4000, v70
	ds_store_2addr_b32 v70, v71, v72 offset1:136
.LBB774_12:
	s_or_b32 exec_lo, exec_lo, s4
	v_lshlrev_b32_e32 v70, 2, v68
	s_load_b32 s36, s[0:1], 0x94
	s_waitcnt lgkmcnt(0)
	s_barrier
	buffer_gl0_inv
	v_add_nc_u32_e32 v98, 0x4000, v70
	v_cmp_eq_u32_e32 vcc_lo, 1, v69
	v_cmp_eq_u32_e64 s4, 2, v69
	v_cmp_eq_u32_e64 s5, 3, v69
	;; [unrolled: 1-line block ×3, first 2 shown]
	ds_load_2addr_b32 v[70:71], v98 offset1:17
	ds_load_2addr_b32 v[72:73], v98 offset0:34 offset1:51
	ds_load_2addr_b32 v[74:75], v98 offset0:68 offset1:85
	ds_load_2addr_b32 v[94:95], v98 offset0:102 offset1:119
	v_cmp_eq_u32_e64 s7, 5, v69
	v_cmp_eq_u32_e64 s8, 7, v69
	s_waitcnt lgkmcnt(3)
	v_max3_f32 v76, v70, 0xff7fffff, v71
	s_waitcnt lgkmcnt(2)
	s_delay_alu instid0(VALU_DEP_1) | instskip(SKIP_1) | instid1(VALU_DEP_1)
	v_max3_f32 v76, v76, v72, v73
	s_waitcnt lgkmcnt(1)
	v_max3_f32 v76, v76, v74, v75
	s_waitcnt lgkmcnt(0)
	s_delay_alu instid0(VALU_DEP_1) | instskip(NEXT) | instid1(VALU_DEP_1)
	v_max3_f32 v76, v76, v94, v95
	v_sub_f32_e32 v77, v71, v76
	ds_load_2addr_b32 v[96:97], v98 offset0:136 offset1:153
	v_sub_f32_e32 v74, v74, v76
	v_sub_f32_e32 v70, v70, v76
	;; [unrolled: 1-line block ×3, first 2 shown]
	v_dual_sub_f32 v72, v72, v76 :: v_dual_mul_f32 v77, 0x3fb8aa3b, v77
	s_delay_alu instid0(VALU_DEP_4) | instskip(NEXT) | instid1(VALU_DEP_4)
	v_mul_f32_e32 v103, 0x3fb8aa3b, v74
	v_mul_f32_e32 v99, 0x3fb8aa3b, v70
	ds_load_2addr_b32 v[70:71], v98 offset0:170 offset1:187
	v_dual_mul_f32 v101, 0x3fb8aa3b, v72 :: v_dual_mul_f32 v94, 0x3fb8aa3b, v94
	v_exp_f32_e32 v102, v77
	v_exp_f32_e32 v99, v99
	s_delay_alu instid0(VALU_DEP_1) | instskip(NEXT) | instid1(VALU_DEP_1)
	v_exp_f32_e32 v101, v101
	v_exp_f32_e32 v94, v94
	s_waitcnt lgkmcnt(1)
	s_delay_alu instid0(TRANS32_DEP_3)
	v_fma_f32 v77, v99, v96, 0
	v_sub_f32_e32 v100, v73, v76
	ds_load_2addr_b32 v[72:73], v98 offset0:204 offset1:221
	v_fmac_f32_e32 v77, v102, v97
	v_exp_f32_e32 v97, v103
	s_waitcnt lgkmcnt(1)
	s_delay_alu instid0(VALU_DEP_1)
	v_dual_fmac_f32 v77, v101, v70 :: v_dual_sub_f32 v96, v75, v76
	ds_load_2addr_b32 v[74:75], v98 offset0:238 offset1:255
	v_sub_f32_e32 v70, v95, v76
	s_waitcnt lgkmcnt(0)
	s_barrier
	v_mul_f32_e32 v96, 0x3fb8aa3b, v96
	buffer_gl0_inv
	v_exp_f32_e32 v95, v96
	v_mul_f32_e32 v100, 0x3fb8aa3b, v100
	s_delay_alu instid0(VALU_DEP_1) | instskip(SKIP_3) | instid1(VALU_DEP_2)
	v_exp_f32_e32 v100, v100
	s_waitcnt_depctr 0xfff
	v_dual_fmac_f32 v77, v100, v71 :: v_dual_mul_f32 v70, 0x3fb8aa3b, v70
	v_cndmask_b32_e32 v71, v99, v102, vcc_lo
	v_fmac_f32_e32 v77, v97, v72
	s_delay_alu instid0(VALU_DEP_3) | instskip(NEXT) | instid1(VALU_DEP_1)
	v_exp_f32_e32 v96, v70
	v_fmac_f32_e32 v77, v95, v73
	s_delay_alu instid0(VALU_DEP_1) | instskip(SKIP_2) | instid1(VALU_DEP_1)
	v_fmac_f32_e32 v77, v94, v74
	s_waitcnt_depctr 0xfff
	v_fmac_f32_e32 v77, v96, v75
	v_add_f32_e32 v74, 0x358637bd, v77
	s_delay_alu instid0(VALU_DEP_1) | instskip(SKIP_1) | instid1(VALU_DEP_2)
	v_div_scale_f32 v98, null, v74, v74, 1.0
	v_div_scale_f32 v99, vcc_lo, 1.0, v74, 1.0
	v_rcp_f32_e32 v103, v98
	s_waitcnt_depctr 0xfff
	v_fma_f32 v70, -v98, v103, 1.0
	s_delay_alu instid0(VALU_DEP_1) | instskip(SKIP_2) | instid1(VALU_DEP_2)
	v_fmac_f32_e32 v103, v70, v103
	v_cndmask_b32_e64 v70, v71, v101, s4
	v_cmp_eq_u32_e64 s4, 6, v69
	v_cndmask_b32_e64 v71, v70, v100, s5
	s_delay_alu instid0(VALU_DEP_4) | instskip(NEXT) | instid1(VALU_DEP_2)
	v_dual_mul_f32 v101, v99, v103 :: v_dual_lshlrev_b32 v70, 2, v66
	v_cndmask_b32_e64 v71, v71, v97, s6
	s_delay_alu instid0(VALU_DEP_2) | instskip(NEXT) | instid1(VALU_DEP_3)
	v_or_b32_e32 v72, 1, v70
	v_fma_f32 v100, -v98, v101, v99
	v_cmp_eq_u32_e64 s5, 1, v70
	v_cmp_eq_u32_e64 s6, 2, v70
	v_cndmask_b32_e64 v95, v71, v95, s7
	v_or_b32_e32 v71, 3, v70
	v_fmac_f32_e32 v101, v100, v103
	v_cmp_eq_u32_e64 s10, 1, v72
	v_cmp_eq_u32_e64 s13, 2, v72
	v_cndmask_b32_e64 v94, v95, v94, s4
	v_cmp_eq_u32_e64 s12, 1, v71
	v_fma_f32 v97, -v98, v101, v99
	v_cmp_eq_u32_e64 s17, 2, v71
	v_cmp_eq_u32_e64 s15, 3, v72
	v_cndmask_b32_e64 v94, v94, v96, s8
	v_cmp_eq_u32_e64 s19, 3, v71
	v_div_fmas_f32 v95, v97, v103, v101
	v_cmp_eq_u32_e32 vcc_lo, 3, v70
	v_cmp_eq_u32_e64 s4, 4, v70
	v_cmp_eq_u32_e64 s20, 4, v72
	;; [unrolled: 1-line block ×3, first 2 shown]
	v_div_fixup_f32 v95, v95, v74, 1.0
	v_lshlrev_b32_e32 v73, 6, v68
	v_cmp_eq_u32_e64 s7, 5, v70
	v_cmp_eq_u32_e64 s21, 5, v72
	;; [unrolled: 1-line block ×3, first 2 shown]
	v_mul_f32_e32 v102, v94, v95
	v_lshl_or_b32 v75, v69, 11, v73
	v_or_b32_e32 v69, 2, v70
	v_cmp_eq_u32_e64 s26, 6, v72
	v_cmp_eq_u32_e64 s28, 6, v71
	v_fma_mixlo_f16 v94, v102, v79, 0
	v_fma_mixlo_f16 v95, v102, v81, 0
	;; [unrolled: 1-line block ×8, first 2 shown]
	v_lshl_or_b32 v74, v66, 4, v75
	v_fma_mixhi_f16 v94, v102, v78, 0
	v_fma_mixhi_f16 v95, v102, v80, 0
	;; [unrolled: 1-line block ×8, first 2 shown]
	ds_store_b128 v74, v[94:97]
	ds_store_b128 v74, v[98:101] offset:1024
	s_waitcnt lgkmcnt(0)
	s_barrier
	buffer_gl0_inv
	ds_load_b128 v[78:81], v75
	ds_load_b128 v[82:85], v75 offset:16
	ds_load_b128 v[86:89], v75 offset:1024
	;; [unrolled: 1-line block ×3, first 2 shown]
	v_cmp_eq_u32_e64 s11, 1, v69
	v_cmp_eq_u32_e64 s16, 2, v69
	;; [unrolled: 1-line block ×11, first 2 shown]
	s_waitcnt lgkmcnt(3)
	v_lshrrev_b32_e32 v94, 16, v78
	s_waitcnt lgkmcnt(2)
	v_lshrrev_b32_e32 v98, 16, v82
	;; [unrolled: 2-line block ×4, first 2 shown]
	v_lshrrev_b32_e32 v95, 16, v79
	v_cndmask_b32_e64 v110, v78, v94, s5
	v_cndmask_b32_e64 v111, v82, v98, s5
	;; [unrolled: 1-line block ×8, first 2 shown]
	v_lshrrev_b32_e32 v99, 16, v83
	v_cndmask_b32_e64 v94, v86, v102, s5
	v_cndmask_b32_e64 v98, v90, v106, s5
	;; [unrolled: 1-line block ×15, first 2 shown]
	v_lshrrev_b32_e32 v103, 16, v87
	v_lshrrev_b32_e32 v107, 16, v91
	v_cndmask_b32_e64 v113, v115, v83, s16
	v_cndmask_b32_e64 v82, v94, v87, s6
	;; [unrolled: 1-line block ×7, first 2 shown]
	v_cndmask_b32_e32 v90, v102, v95, vcc_lo
	v_cndmask_b32_e32 v102, v106, v99, vcc_lo
	v_cndmask_b32_e64 v106, v110, v95, s15
	v_cndmask_b32_e64 v110, v111, v99, s15
	;; [unrolled: 1-line block ×4, first 2 shown]
	v_lshrrev_b32_e32 v96, 16, v80
	v_lshrrev_b32_e32 v100, 16, v84
	v_cndmask_b32_e64 v111, v112, v95, s18
	v_cndmask_b32_e64 v112, v113, v99, s18
	v_cndmask_b32_e32 v82, v82, v103, vcc_lo
	v_cndmask_b32_e32 v83, v83, v107, vcc_lo
	v_cndmask_b32_e64 v94, v94, v103, s15
	v_cndmask_b32_e64 v90, v90, v80, s4
	;; [unrolled: 1-line block ×7, first 2 shown]
	v_lshrrev_b32_e32 v104, 16, v88
	v_cndmask_b32_e64 v106, v111, v80, s22
	v_cndmask_b32_e64 v110, v112, v84, s22
	;; [unrolled: 1-line block ×11, first 2 shown]
	v_lshrrev_b32_e32 v97, 16, v81
	v_lshrrev_b32_e32 v101, 16, v85
	v_cndmask_b32_e64 v99, v106, v96, s24
	v_cndmask_b32_e64 v102, v110, v100, s24
	;; [unrolled: 1-line block ×7, first 2 shown]
	v_lshrrev_b32_e32 v105, 16, v89
	v_cndmask_b32_e64 v80, v80, v104, s7
	v_cndmask_b32_e64 v84, v84, v81, s8
	;; [unrolled: 1-line block ×16, first 2 shown]
	v_perm_b32 v81, v79, v78, 0x5040100
	v_perm_b32 v79, v95, v85, 0x5040100
	v_cndmask_b32_e64 v78, v119, v91, s16
	v_cndmask_b32_e64 v85, v117, v91, s13
	;; [unrolled: 1-line block ×3, first 2 shown]
	v_perm_b32 v80, v94, v90, 0x5040100
	v_cndmask_b32_e64 v90, v98, v103, s18
	v_cndmask_b32_e64 v86, v86, v103, s19
	;; [unrolled: 1-line block ×5, first 2 shown]
	v_lshrrev_b32_e32 v108, 16, v92
	v_cndmask_b32_e64 v90, v90, v88, s22
	v_cndmask_b32_e64 v86, v86, v88, s23
	;; [unrolled: 1-line block ×11, first 2 shown]
	v_lshrrev_b32_e32 v109, 16, v93
	v_cndmask_b32_e64 v82, v82, v93, s8
	v_cndmask_b32_e64 v88, v88, v89, s27
	;; [unrolled: 1-line block ×12, first 2 shown]
	v_perm_b32 v78, v84, v83, 0x5040100
	v_perm_b32 v85, v87, v86, 0x5040100
	;; [unrolled: 1-line block ×5, first 2 shown]
	s_mul_i32 s9, s35, 5
	s_mov_b32 s4, exec_lo
	ds_store_b128 v74, v[78:81]
	ds_store_b128 v74, v[82:85] offset:1024
	v_cmpx_gt_u32_e32 5, v0
	s_cbranch_execz .LBB774_14
; %bb.13:
	s_mul_i32 s5, s9, s34
	s_load_b128 s[16:19], s[0:1], 0x58
	v_add3_u32 v68, s5, s33, v68
	s_delay_alu instid0(VALU_DEP_1) | instskip(NEXT) | instid1(VALU_DEP_1)
	v_mad_u64_u32 v[78:79], null, v68, s36, s[14:15]
	v_ashrrev_i32_e32 v79, 31, v78
	s_delay_alu instid0(VALU_DEP_1) | instskip(SKIP_1) | instid1(VALU_DEP_1)
	v_lshlrev_b64 v[78:79], 2, v[78:79]
	s_waitcnt lgkmcnt(0)
	v_add_co_u32 v80, vcc_lo, s18, v78
	s_delay_alu instid0(VALU_DEP_2)
	v_add_co_ci_u32_e32 v81, vcc_lo, s19, v79, vcc_lo
	v_add_co_u32 v78, vcc_lo, s16, v78
	v_add_co_ci_u32_e32 v79, vcc_lo, s17, v79, vcc_lo
	global_store_b32 v[80:81], v76, off
	global_store_b32 v[78:79], v77, off
.LBB774_14:
	s_or_b32 exec_lo, exec_lo, s4
	s_waitcnt lgkmcnt(0)
	s_waitcnt_vscnt null, 0x0
	s_barrier
	buffer_gl0_inv
	ds_load_b128 v[84:87], v73
	ds_load_b128 v[88:91], v73 offset:16
	ds_load_b128 v[96:99], v73 offset:2064
	;; [unrolled: 1-line block ×5, first 2 shown]
	v_cmp_eq_u32_e32 vcc_lo, 1, v70
	v_mov_b32_e32 v76, 0
	ds_load_b128 v[112:115], v73 offset:6160
	ds_load_b128 v[108:111], v73 offset:6144
	;; [unrolled: 1-line block ×4, first 2 shown]
	v_cmp_eq_u32_e64 s5, 1, v69
	v_cmp_eq_u32_e64 s4, 1, v72
	;; [unrolled: 1-line block ×3, first 2 shown]
	v_mov_b32_e32 v77, v76
	v_mov_b32_e32 v78, v76
	;; [unrolled: 1-line block ×7, first 2 shown]
	v_cmp_eq_u32_e64 s7, 3, v72
	v_cmp_eq_u32_e64 s8, 7, v72
	s_waitcnt lgkmcnt(8)
	s_delay_alu instid0(VALU_DEP_3)
	v_wmma_f32_16x16x16_f16 v[76:83], v[49:56], v[84:91], v[76:83]
	ds_load_b128 v[53:56], v73 offset:10256
	ds_load_b128 v[49:52], v73 offset:10240
	s_waitcnt lgkmcnt(8)
	v_wmma_f32_16x16x16_f16 v[76:83], v[41:48], v[92:99], v[76:83]
	ds_load_b128 v[45:48], v73 offset:12304
	ds_load_b128 v[41:44], v73 offset:12288
	s_waitcnt lgkmcnt(8)
	;; [unrolled: 4-line block ×3, first 2 shown]
	s_barrier
	buffer_gl0_inv
	v_wmma_f32_16x16x16_f16 v[76:83], v[1:8], v[108:115], v[76:83]
	s_delay_alu instid0(VALU_DEP_1) | instskip(NEXT) | instid1(VALU_DEP_1)
	v_wmma_f32_16x16x16_f16 v[76:83], v[9:16], v[116:123], v[76:83]
	v_wmma_f32_16x16x16_f16 v[76:83], v[17:24], v[49:56], v[76:83]
	s_delay_alu instid0(VALU_DEP_1) | instskip(NEXT) | instid1(VALU_DEP_1)
	v_wmma_f32_16x16x16_f16 v[76:83], v[25:32], v[41:48], v[76:83]
	v_wmma_f32_16x16x16_f16 v[76:83], v[57:64], v[33:40], v[76:83]
	s_delay_alu instid0(VALU_DEP_1) | instskip(NEXT) | instid1(VALU_DEP_2)
	v_cvt_f16_f32_e32 v1, v76
	v_cvt_f16_f32_e32 v2, v77
	s_delay_alu instid0(VALU_DEP_3) | instskip(NEXT) | instid1(VALU_DEP_4)
	v_cvt_f16_f32_e32 v3, v78
	v_cvt_f16_f32_e32 v4, v79
	;; [unrolled: 1-line block ×6, first 2 shown]
	v_pack_b32_f16 v1, v1, v2
	v_pack_b32_f16 v2, v3, v4
	;; [unrolled: 1-line block ×3, first 2 shown]
	s_delay_alu instid0(VALU_DEP_4)
	v_pack_b32_f16 v4, v7, v8
	ds_store_b128 v74, v[1:4]
	s_waitcnt lgkmcnt(0)
	s_barrier
	buffer_gl0_inv
	ds_load_b128 v[1:4], v75
	ds_load_b128 v[5:8], v75 offset:16
	s_waitcnt lgkmcnt(1)
	v_lshrrev_b32_e32 v9, 16, v1
	s_waitcnt lgkmcnt(0)
	v_lshrrev_b32_e32 v13, 16, v5
	v_lshrrev_b32_e32 v10, 16, v2
	;; [unrolled: 1-line block ×4, first 2 shown]
	v_cndmask_b32_e32 v17, v1, v9, vcc_lo
	v_cndmask_b32_e32 v18, v5, v13, vcc_lo
	v_cndmask_b32_e64 v21, v1, v9, s5
	v_cmp_eq_u32_e32 vcc_lo, 1, v71
	v_cndmask_b32_e64 v22, v5, v13, s5
	v_cmp_eq_u32_e64 s5, 2, v70
	v_cndmask_b32_e64 v19, v1, v9, s4
	v_cndmask_b32_e64 v20, v5, v13, s4
	v_cndmask_b32_e32 v1, v1, v9, vcc_lo
	v_cmp_eq_u32_e64 s4, 2, v71
	v_cndmask_b32_e32 v5, v5, v13, vcc_lo
	v_cndmask_b32_e64 v9, v17, v2, s5
	v_cmp_eq_u32_e32 vcc_lo, 3, v70
	v_cndmask_b32_e64 v13, v18, v6, s5
	v_cmp_eq_u32_e64 s5, 2, v69
	v_cndmask_b32_e64 v17, v19, v2, s6
	v_cndmask_b32_e64 v18, v20, v6, s6
	v_cmp_eq_u32_e64 s6, 3, v69
	v_cndmask_b32_e64 v1, v1, v2, s4
	v_cndmask_b32_e64 v19, v21, v2, s5
	v_cndmask_b32_e64 v20, v22, v6, s5
	v_cndmask_b32_e64 v2, v5, v6, s4
	v_cndmask_b32_e32 v5, v9, v10, vcc_lo
	v_cndmask_b32_e32 v6, v13, v14, vcc_lo
	v_cmp_eq_u32_e32 vcc_lo, 3, v71
	v_cndmask_b32_e64 v9, v17, v10, s7
	v_cndmask_b32_e64 v13, v18, v14, s7
	;; [unrolled: 1-line block ×3, first 2 shown]
	v_cmp_eq_u32_e64 s5, 4, v70
	v_cndmask_b32_e32 v1, v1, v10, vcc_lo
	v_cndmask_b32_e32 v2, v2, v14, vcc_lo
	v_cmp_eq_u32_e32 vcc_lo, 4, v72
	v_lshrrev_b32_e32 v15, 16, v7
	v_lshrrev_b32_e32 v16, 16, v8
	v_cndmask_b32_e64 v17, v19, v10, s6
	v_cmp_eq_u32_e64 s4, 4, v71
	v_cndmask_b32_e64 v5, v5, v3, s5
	v_cndmask_b32_e64 v6, v6, v7, s5
	v_cndmask_b32_e32 v9, v9, v3, vcc_lo
	v_cmp_eq_u32_e64 s5, 5, v72
	v_cndmask_b32_e32 v10, v13, v7, vcc_lo
	v_cmp_eq_u32_e32 vcc_lo, 4, v69
	v_cmp_eq_u32_e64 s6, 5, v70
	v_cndmask_b32_e64 v2, v2, v7, s4
	v_cndmask_b32_e64 v9, v9, v11, s5
	v_cndmask_b32_e64 v10, v10, v15, s5
	v_cndmask_b32_e32 v13, v17, v3, vcc_lo
	v_cmp_eq_u32_e64 s5, 5, v69
	v_cndmask_b32_e32 v14, v18, v7, vcc_lo
	v_cndmask_b32_e64 v1, v1, v3, s4
	v_cmp_eq_u32_e32 vcc_lo, 5, v71
	v_lshrrev_b32_e32 v12, 16, v4
	v_cndmask_b32_e64 v13, v13, v11, s5
	v_cndmask_b32_e64 v3, v14, v15, s5
	v_cmp_eq_u32_e64 s5, 6, v71
	v_cndmask_b32_e32 v1, v1, v11, vcc_lo
	v_cndmask_b32_e64 v5, v5, v11, s6
	v_cmp_eq_u32_e64 s7, 6, v70
	v_cndmask_b32_e64 v6, v6, v15, s6
	v_cmp_eq_u32_e64 s6, 6, v72
	v_cmp_eq_u32_e64 s4, 6, v69
	v_cndmask_b32_e64 v1, v1, v4, s5
	v_cndmask_b32_e32 v2, v2, v15, vcc_lo
	v_cmp_eq_u32_e32 vcc_lo, 7, v71
	v_cndmask_b32_e64 v5, v5, v4, s7
	v_cndmask_b32_e64 v9, v9, v4, s6
	;; [unrolled: 1-line block ×3, first 2 shown]
	v_cmp_eq_u32_e64 s7, 7, v70
	v_cndmask_b32_e32 v1, v1, v12, vcc_lo
	v_cndmask_b32_e64 v7, v13, v4, s4
	v_cndmask_b32_e64 v3, v3, v8, s4
	;; [unrolled: 1-line block ×3, first 2 shown]
	v_cmp_eq_u32_e64 s4, 7, v69
	v_cndmask_b32_e64 v4, v10, v8, s6
	v_cndmask_b32_e64 v5, v5, v12, s7
	;; [unrolled: 1-line block ×3, first 2 shown]
	v_cndmask_b32_e32 v2, v2, v16, vcc_lo
	v_cndmask_b32_e64 v7, v7, v12, s4
	v_cndmask_b32_e64 v3, v3, v16, s4
	;; [unrolled: 1-line block ×4, first 2 shown]
	v_cmp_gt_u32_e32 vcc_lo, 32, v0
	v_perm_b32 v4, v2, v1, 0x5040100
	v_perm_b32 v3, v3, v7, 0x5040100
	;; [unrolled: 1-line block ×4, first 2 shown]
	s_and_b32 s2, vcc_lo, s2
	ds_store_b128 v74, v[1:4]
	s_waitcnt lgkmcnt(0)
	s_barrier
	buffer_gl0_inv
	s_and_saveexec_b32 s4, s2
	s_cbranch_execz .LBB774_2
; %bb.15:
	s_load_b64 s[4:5], s[0:1], 0x68
	v_lshlrev_b32_e32 v0, 10, v0
	v_add_nc_u32_e32 v2, s33, v66
	v_lshlrev_b32_e32 v3, 4, v67
	s_lshl_b32 s0, s36, 6
	s_delay_alu instid0(SALU_CYCLE_1) | instskip(NEXT) | instid1(VALU_DEP_2)
	s_mul_i32 s1, s0, s34
	v_mul_lo_u32 v1, v2, s0
	s_delay_alu instid0(VALU_DEP_2) | instskip(SKIP_2) | instid1(SALU_CYCLE_1)
	v_and_or_b32 v0, 0x3800, v0, v3
	v_add_nc_u32_e32 v2, 2, v2
	s_mul_i32 s6, s1, s9
	s_ashr_i32 s7, s6, 31
	s_delay_alu instid0(VALU_DEP_2)
	v_lshl_or_b32 v7, v66, 6, v0
	s_lshl_b64 s[6:7], s[6:7], 1
	v_mul_lo_u32 v11, v2, s0
	v_ashrrev_i32_e32 v2, 31, v1
	ds_load_b128 v[3:6], v7
	ds_load_b128 v[7:10], v7 offset:128
	s_waitcnt lgkmcnt(0)
	s_add_u32 s1, s4, s6
	s_addc_u32 s2, s5, s7
	s_lshl_b32 s4, s14, 6
	v_ashrrev_i32_e32 v12, 31, v11
	s_ashr_i32 s5, s4, 31
	v_lshlrev_b64 v[13:14], 1, v[1:2]
	s_lshl_b64 s[4:5], s[4:5], 1
	s_delay_alu instid0(SALU_CYCLE_1) | instskip(SKIP_2) | instid1(VALU_DEP_1)
	s_add_u32 s1, s1, s4
	s_addc_u32 s2, s2, s5
	v_add_co_u32 v1, s1, s1, v65
	v_add_co_ci_u32_e64 v2, null, s2, 0, s1
	v_lshlrev_b64 v[11:12], 1, v[11:12]
	s_delay_alu instid0(VALU_DEP_3) | instskip(NEXT) | instid1(VALU_DEP_3)
	v_add_co_u32 v13, vcc_lo, v1, v13
	v_add_co_ci_u32_e32 v14, vcc_lo, v2, v14, vcc_lo
	s_delay_alu instid0(VALU_DEP_3) | instskip(NEXT) | instid1(VALU_DEP_4)
	v_add_co_u32 v11, vcc_lo, v1, v11
	v_add_co_ci_u32_e32 v12, vcc_lo, v2, v12, vcc_lo
	s_clause 0x1
	global_store_b128 v[13:14], v[3:6], off
	global_store_b128 v[11:12], v[7:10], off
	s_and_b32 exec_lo, exec_lo, s3
	s_cbranch_execz .LBB774_2
; %bb.16:
	ds_load_b128 v[3:6], v0 offset:256
	s_add_i32 s1, s33, 4
	s_delay_alu instid0(SALU_CYCLE_1) | instskip(NEXT) | instid1(SALU_CYCLE_1)
	s_mul_i32 s0, s1, s0
	s_ashr_i32 s1, s0, 31
	s_delay_alu instid0(SALU_CYCLE_1) | instskip(NEXT) | instid1(SALU_CYCLE_1)
	s_lshl_b64 s[0:1], s[0:1], 1
	v_add_co_u32 v0, vcc_lo, v1, s0
	v_add_co_ci_u32_e32 v1, vcc_lo, s1, v2, vcc_lo
	s_waitcnt lgkmcnt(0)
	global_store_b128 v[0:1], v[3:6], off
	s_nop 0
	s_sendmsg sendmsg(MSG_DEALLOC_VGPRS)
	s_endpgm
	.section	.rodata,"a",@progbits
	.p2align	6, 0x0
	.amdhsa_kernel _Z39paged_attention_ll4mi_QKV_mfma16_kernelIDF16_hLN4vllm18Fp8KVCacheDataTypeE1EhLi16ELi64ELi256ELb1ELi5EL8MFMAType1EEvPKT_PKT0_S8_ifPKiSA_SA_iPKfiiiPfSD_PS3_PT2_iSC_SC_
		.amdhsa_group_segment_fixed_size 17472
		.amdhsa_private_segment_fixed_size 0
		.amdhsa_kernarg_size 400
		.amdhsa_user_sgpr_count 13
		.amdhsa_user_sgpr_dispatch_ptr 0
		.amdhsa_user_sgpr_queue_ptr 0
		.amdhsa_user_sgpr_kernarg_segment_ptr 1
		.amdhsa_user_sgpr_dispatch_id 0
		.amdhsa_user_sgpr_private_segment_size 0
		.amdhsa_wavefront_size32 1
		.amdhsa_uses_dynamic_stack 0
		.amdhsa_enable_private_segment 0
		.amdhsa_system_sgpr_workgroup_id_x 1
		.amdhsa_system_sgpr_workgroup_id_y 1
		.amdhsa_system_sgpr_workgroup_id_z 1
		.amdhsa_system_sgpr_workgroup_info 0
		.amdhsa_system_vgpr_workitem_id 0
		.amdhsa_next_free_vgpr 146
		.amdhsa_next_free_sgpr 37
		.amdhsa_reserve_vcc 1
		.amdhsa_float_round_mode_32 0
		.amdhsa_float_round_mode_16_64 0
		.amdhsa_float_denorm_mode_32 3
		.amdhsa_float_denorm_mode_16_64 3
		.amdhsa_dx10_clamp 1
		.amdhsa_ieee_mode 1
		.amdhsa_fp16_overflow 0
		.amdhsa_workgroup_processor_mode 1
		.amdhsa_memory_ordered 1
		.amdhsa_forward_progress 0
		.amdhsa_shared_vgpr_count 0
		.amdhsa_exception_fp_ieee_invalid_op 0
		.amdhsa_exception_fp_denorm_src 0
		.amdhsa_exception_fp_ieee_div_zero 0
		.amdhsa_exception_fp_ieee_overflow 0
		.amdhsa_exception_fp_ieee_underflow 0
		.amdhsa_exception_fp_ieee_inexact 0
		.amdhsa_exception_int_div_zero 0
	.end_amdhsa_kernel
	.section	.text._Z39paged_attention_ll4mi_QKV_mfma16_kernelIDF16_hLN4vllm18Fp8KVCacheDataTypeE1EhLi16ELi64ELi256ELb1ELi5EL8MFMAType1EEvPKT_PKT0_S8_ifPKiSA_SA_iPKfiiiPfSD_PS3_PT2_iSC_SC_,"axG",@progbits,_Z39paged_attention_ll4mi_QKV_mfma16_kernelIDF16_hLN4vllm18Fp8KVCacheDataTypeE1EhLi16ELi64ELi256ELb1ELi5EL8MFMAType1EEvPKT_PKT0_S8_ifPKiSA_SA_iPKfiiiPfSD_PS3_PT2_iSC_SC_,comdat
.Lfunc_end774:
	.size	_Z39paged_attention_ll4mi_QKV_mfma16_kernelIDF16_hLN4vllm18Fp8KVCacheDataTypeE1EhLi16ELi64ELi256ELb1ELi5EL8MFMAType1EEvPKT_PKT0_S8_ifPKiSA_SA_iPKfiiiPfSD_PS3_PT2_iSC_SC_, .Lfunc_end774-_Z39paged_attention_ll4mi_QKV_mfma16_kernelIDF16_hLN4vllm18Fp8KVCacheDataTypeE1EhLi16ELi64ELi256ELb1ELi5EL8MFMAType1EEvPKT_PKT0_S8_ifPKiSA_SA_iPKfiiiPfSD_PS3_PT2_iSC_SC_
                                        ; -- End function
	.section	.AMDGPU.csdata,"",@progbits
; Kernel info:
; codeLenInByte = 6484
; NumSgprs: 39
; NumVgprs: 146
; ScratchSize: 0
; MemoryBound: 0
; FloatMode: 240
; IeeeMode: 1
; LDSByteSize: 17472 bytes/workgroup (compile time only)
; SGPRBlocks: 4
; VGPRBlocks: 18
; NumSGPRsForWavesPerEU: 39
; NumVGPRsForWavesPerEU: 146
; Occupancy: 9
; WaveLimiterHint : 1
; COMPUTE_PGM_RSRC2:SCRATCH_EN: 0
; COMPUTE_PGM_RSRC2:USER_SGPR: 13
; COMPUTE_PGM_RSRC2:TRAP_HANDLER: 0
; COMPUTE_PGM_RSRC2:TGID_X_EN: 1
; COMPUTE_PGM_RSRC2:TGID_Y_EN: 1
; COMPUTE_PGM_RSRC2:TGID_Z_EN: 1
; COMPUTE_PGM_RSRC2:TIDIG_COMP_CNT: 0
	.section	.text._Z39paged_attention_ll4mi_QKV_mfma16_kernelIDF16_hLN4vllm18Fp8KVCacheDataTypeE1EhLi16ELi64ELi256ELb1ELi6EL8MFMAType1EEvPKT_PKT0_S8_ifPKiSA_SA_iPKfiiiPfSD_PS3_PT2_iSC_SC_,"axG",@progbits,_Z39paged_attention_ll4mi_QKV_mfma16_kernelIDF16_hLN4vllm18Fp8KVCacheDataTypeE1EhLi16ELi64ELi256ELb1ELi6EL8MFMAType1EEvPKT_PKT0_S8_ifPKiSA_SA_iPKfiiiPfSD_PS3_PT2_iSC_SC_,comdat
	.protected	_Z39paged_attention_ll4mi_QKV_mfma16_kernelIDF16_hLN4vllm18Fp8KVCacheDataTypeE1EhLi16ELi64ELi256ELb1ELi6EL8MFMAType1EEvPKT_PKT0_S8_ifPKiSA_SA_iPKfiiiPfSD_PS3_PT2_iSC_SC_ ; -- Begin function _Z39paged_attention_ll4mi_QKV_mfma16_kernelIDF16_hLN4vllm18Fp8KVCacheDataTypeE1EhLi16ELi64ELi256ELb1ELi6EL8MFMAType1EEvPKT_PKT0_S8_ifPKiSA_SA_iPKfiiiPfSD_PS3_PT2_iSC_SC_
	.globl	_Z39paged_attention_ll4mi_QKV_mfma16_kernelIDF16_hLN4vllm18Fp8KVCacheDataTypeE1EhLi16ELi64ELi256ELb1ELi6EL8MFMAType1EEvPKT_PKT0_S8_ifPKiSA_SA_iPKfiiiPfSD_PS3_PT2_iSC_SC_
	.p2align	8
	.type	_Z39paged_attention_ll4mi_QKV_mfma16_kernelIDF16_hLN4vllm18Fp8KVCacheDataTypeE1EhLi16ELi64ELi256ELb1ELi6EL8MFMAType1EEvPKT_PKT0_S8_ifPKiSA_SA_iPKfiiiPfSD_PS3_PT2_iSC_SC_,@function
_Z39paged_attention_ll4mi_QKV_mfma16_kernelIDF16_hLN4vllm18Fp8KVCacheDataTypeE1EhLi16ELi64ELi256ELb1ELi6EL8MFMAType1EEvPKT_PKT0_S8_ifPKiSA_SA_iPKfiiiPfSD_PS3_PT2_iSC_SC_: ; @_Z39paged_attention_ll4mi_QKV_mfma16_kernelIDF16_hLN4vllm18Fp8KVCacheDataTypeE1EhLi16ELi64ELi256ELb1ELi6EL8MFMAType1EEvPKT_PKT0_S8_ifPKiSA_SA_iPKfiiiPfSD_PS3_PT2_iSC_SC_
; %bb.0:
	s_load_b64 s[2:3], s[0:1], 0x30
	s_mov_b32 s34, s13
	s_waitcnt lgkmcnt(0)
	s_cmp_lg_u64 s[2:3], 0
	s_cselect_b32 s6, -1, 0
	s_ashr_i32 s35, s13, 31
	s_cmp_eq_u64 s[2:3], 0
	s_cbranch_scc1 .LBB775_3
; %bb.1:
	s_lshl_b64 s[4:5], s[34:35], 2
	s_delay_alu instid0(SALU_CYCLE_1) | instskip(SKIP_4) | instid1(SALU_CYCLE_1)
	s_add_u32 s4, s2, s4
	s_addc_u32 s5, s3, s5
	s_load_b64 s[4:5], s[4:5], 0x0
	s_waitcnt lgkmcnt(0)
	s_sub_i32 s4, s5, s4
	s_cmp_eq_u32 s4, 1
	s_cselect_b32 s4, -1, 0
	s_delay_alu instid0(SALU_CYCLE_1)
	s_and_not1_b32 vcc_lo, exec_lo, s4
	s_cbranch_vccz .LBB775_4
.LBB775_2:
	s_endpgm
.LBB775_3:
.LBB775_4:
	s_load_b64 s[8:9], s[0:1], 0x28
	s_lshl_b64 s[4:5], s[34:35], 2
	s_waitcnt lgkmcnt(0)
	s_add_u32 s8, s8, s4
	s_addc_u32 s9, s9, s5
	s_lshl_b32 s16, s14, 8
	s_load_b32 s18, s[8:9], 0x0
	s_waitcnt lgkmcnt(0)
	s_cmp_ge_i32 s16, s18
	s_cbranch_scc1 .LBB775_2
; %bb.5:
	s_clause 0x1
	s_load_b128 s[8:11], s[0:1], 0x8
	s_load_b64 s[12:13], s[0:1], 0x20
	s_and_not1_b32 vcc_lo, exec_lo, s6
	s_cbranch_vccnz .LBB775_7
; %bb.6:
	s_add_u32 s2, s2, s4
	s_addc_u32 s3, s3, s5
	s_load_b32 s3, s[2:3], 0x0
	s_branch .LBB775_8
.LBB775_7:
	s_mov_b32 s3, s34
.LBB775_8:
	s_load_b128 s[4:7], s[0:1], 0x48
	v_and_b32_e32 v68, 15, v0
	v_cmp_gt_u32_e32 vcc_lo, 0x60, v0
	v_lshrrev_b32_e32 v69, 5, v0
	v_and_b32_e32 v70, 31, v0
	v_and_b32_e32 v67, 1, v0
	v_lshlrev_b32_e32 v1, 3, v68
	v_cmp_gt_u32_e64 s2, 8, v68
	v_bfe_u32 v66, v0, 4, 1
	s_mul_i32 s31, s15, 6
	s_delay_alu instid0(VALU_DEP_3) | instskip(NEXT) | instid1(VALU_DEP_3)
	v_lshlrev_b32_e32 v65, 1, v1
	s_and_b32 s17, vcc_lo, s2
	s_waitcnt lgkmcnt(0)
	s_and_saveexec_b32 s7, s17
	s_cbranch_execz .LBB775_10
; %bb.9:
	s_load_b64 s[20:21], s[0:1], 0x0
	v_lshl_or_b32 v5, v69, 1, v66
	s_mul_hi_i32 s23, s3, s4
	s_mul_i32 s22, s3, s4
	v_lshlrev_b32_e32 v6, 10, v68
	s_lshl_b64 s[22:23], s[22:23], 1
	v_add_lshl_u32 v1, v5, s31, 6
	v_lshlrev_b32_e32 v5, 6, v5
	v_lshlrev_b32_e32 v7, 10, v67
	v_and_b32_e32 v6, 0x3800, v6
	s_delay_alu instid0(VALU_DEP_4) | instskip(NEXT) | instid1(VALU_DEP_2)
	v_ashrrev_i32_e32 v2, 31, v1
	v_or3_b32 v5, v6, v7, v5
	s_delay_alu instid0(VALU_DEP_2) | instskip(SKIP_3) | instid1(VALU_DEP_1)
	v_lshlrev_b64 v[1:2], 1, v[1:2]
	s_waitcnt lgkmcnt(0)
	s_add_u32 s3, s20, s22
	s_addc_u32 s4, s21, s23
	v_add_co_u32 v1, vcc_lo, s3, v1
	s_delay_alu instid0(VALU_DEP_2) | instskip(NEXT) | instid1(VALU_DEP_2)
	v_add_co_ci_u32_e32 v2, vcc_lo, s4, v2, vcc_lo
	v_add_co_u32 v1, vcc_lo, v1, v65
	s_delay_alu instid0(VALU_DEP_2)
	v_add_co_ci_u32_e32 v2, vcc_lo, 0, v2, vcc_lo
	global_load_b128 v[1:4], v[1:2], off
	s_waitcnt vmcnt(0)
	ds_store_b128 v5, v[1:4]
.LBB775_10:
	s_or_b32 exec_lo, exec_lo, s7
	v_and_b32_e32 v1, 0xef, v0
	s_add_i32 s3, s18, 15
	s_clause 0x1
	s_load_b32 s4, s[0:1], 0x38
	s_load_b32 s33, s[0:1], 0x98
	s_ashr_i32 s7, s3, 31
	v_add_nc_u32_e32 v1, s16, v1
	s_lshr_b32 s7, s7, 28
	s_load_b32 s19, s[0:1], 0x1c
	s_add_i32 s3, s3, s7
	s_waitcnt lgkmcnt(0)
	v_ashrrev_i32_e32 v2, 31, v1
	v_or_b32_e32 v3, 16, v1
	s_ashr_i32 s3, s3, 4
	v_cmp_gt_i32_e32 vcc_lo, s18, v1
	s_add_i32 s3, s3, -1
	v_lshrrev_b32_e32 v2, 28, v2
	s_barrier
	buffer_gl0_inv
	s_mul_i32 s15, s15, s6
	v_mul_lo_u16 v103, v68, 43
	v_add_nc_u32_e32 v4, v1, v2
	v_mbcnt_lo_u32_b32 v127, -1, 0
	s_mul_i32 s20, s34, s4
	s_delay_alu instid0(SALU_CYCLE_1) | instskip(NEXT) | instid1(VALU_DEP_2)
	s_ashr_i32 s21, s20, 31
	v_ashrrev_i32_e32 v4, 4, v4
	v_add_nc_u32_e32 v2, v3, v2
	s_lshl_b64 s[20:21], s[20:21], 2
	v_lshrrev_b16 v103, 8, v103
	s_add_u32 s17, s12, s20
	v_cndmask_b32_e32 v1, s3, v4, vcc_lo
	v_ashrrev_i32_e32 v2, 4, v2
	v_cmp_gt_i32_e32 vcc_lo, s18, v3
	s_addc_u32 s13, s13, s21
	s_ashr_i32 s20, s15, 31
	s_add_u32 s4, s8, s15
	s_addc_u32 s12, s9, s20
	v_cndmask_b32_e32 v3, s3, v2, vcc_lo
	v_ashrrev_i32_e32 v2, 31, v1
	s_lshl_b32 s6, s14, 4
	v_mul_lo_u16 v103, v103, 6
	s_ashr_i32 s7, s6, 31
	v_ashrrev_i32_e32 v4, 31, v3
	v_lshlrev_b64 v[1:2], 2, v[1:2]
	s_lshl_b64 s[6:7], s[6:7], 2
	v_sub_nc_u16 v103, v68, v103
	s_add_u32 s6, s17, s6
	v_lshlrev_b64 v[3:4], 2, v[3:4]
	s_addc_u32 s7, s13, s7
	v_add_co_u32 v1, vcc_lo, s17, v1
	v_add_co_ci_u32_e32 v2, vcc_lo, s13, v2, vcc_lo
	s_delay_alu instid0(VALU_DEP_3) | instskip(NEXT) | instid1(VALU_DEP_4)
	v_add_co_u32 v3, vcc_lo, s17, v3
	v_add_co_ci_u32_e32 v4, vcc_lo, s13, v4, vcc_lo
	s_clause 0x1
	global_load_b32 v5, v[1:2], off
	global_load_b32 v7, v[3:4], off
	s_or_b32 s8, s16, 32
	v_lshlrev_b32_e32 v1, 4, v0
	s_ashr_i32 s9, s8, 4
	s_cmp_lt_i32 s8, s18
	v_xor_b32_e32 v128, 16, v127
	s_cselect_b32 s8, s9, s3
	v_and_b32_e32 v1, 0xf0, v1
	s_ashr_i32 s9, s8, 31
	s_delay_alu instid0(SALU_CYCLE_1)
	s_lshl_b64 s[8:9], s[8:9], 2
	v_cmp_gt_i32_e32 vcc_lo, 32, v128
	s_add_u32 s8, s17, s8
	s_addc_u32 s9, s13, s9
	s_or_b32 s21, s16, 64
	v_add_co_u32 v1, s4, s4, v1
	s_ashr_i32 s22, s21, 4
	s_cmp_lt_i32 s21, s18
	v_add_co_ci_u32_e64 v2, null, s12, 0, s4
	s_cselect_b32 s22, s22, s3
	v_dual_cndmask_b32 v136, v127, v128 :: v_dual_and_b32 v103, 0xff, v103
	s_ashr_i32 s23, s22, 31
	s_delay_alu instid0(SALU_CYCLE_1) | instskip(NEXT) | instid1(VALU_DEP_1)
	s_lshl_b64 s[22:23], s[22:23], 2
	v_lshlrev_b32_e32 v115, 6, v103
	s_add_u32 s22, s17, s22
	s_addc_u32 s23, s13, s23
	s_or_b32 s21, s16, 0x60
	s_delay_alu instid0(SALU_CYCLE_1) | instskip(SKIP_2) | instid1(SALU_CYCLE_1)
	s_ashr_i32 s24, s21, 4
	s_cmp_lt_i32 s21, s18
	s_cselect_b32 s24, s24, s3
	s_ashr_i32 s25, s24, 31
	s_delay_alu instid0(SALU_CYCLE_1) | instskip(NEXT) | instid1(SALU_CYCLE_1)
	s_lshl_b64 s[24:25], s[24:25], 2
	s_add_u32 s24, s17, s24
	s_addc_u32 s25, s13, s25
	s_or_b32 s21, s16, 0x80
	s_delay_alu instid0(SALU_CYCLE_1) | instskip(SKIP_2) | instid1(SALU_CYCLE_1)
	s_ashr_i32 s26, s21, 4
	s_cmp_lt_i32 s21, s18
	s_cselect_b32 s26, s26, s3
	s_ashr_i32 s27, s26, 31
	s_delay_alu instid0(SALU_CYCLE_1) | instskip(NEXT) | instid1(SALU_CYCLE_1)
	s_lshl_b64 s[26:27], s[26:27], 2
	;; [unrolled: 10-line block ×3, first 2 shown]
	s_add_u32 s28, s17, s28
	s_addc_u32 s29, s13, s29
	s_clause 0x5
	s_load_b32 s12, s[6:7], 0x0
	s_load_b32 s4, s[8:9], 0x0
	;; [unrolled: 1-line block ×6, first 2 shown]
	s_or_b32 s21, s16, 0xc0
	s_delay_alu instid0(SALU_CYCLE_1) | instskip(SKIP_2) | instid1(SALU_CYCLE_1)
	s_ashr_i32 s22, s21, 4
	s_cmp_lt_i32 s21, s18
	s_cselect_b32 s22, s22, s3
	s_ashr_i32 s23, s22, 31
	s_delay_alu instid0(SALU_CYCLE_1) | instskip(NEXT) | instid1(SALU_CYCLE_1)
	s_lshl_b64 s[22:23], s[22:23], 2
	s_add_u32 s22, s17, s22
	s_addc_u32 s23, s13, s23
	s_or_b32 s21, s16, 0xe0
	s_delay_alu instid0(SALU_CYCLE_1) | instskip(SKIP_2) | instid1(SALU_CYCLE_1)
	s_ashr_i32 s24, s21, 4
	s_cmp_lt_i32 s21, s18
	s_cselect_b32 s24, s24, s3
	s_ashr_i32 s25, s24, 31
	s_delay_alu instid0(SALU_CYCLE_1)
	s_lshl_b64 s[24:25], s[24:25], 2
	s_waitcnt vmcnt(1)
	v_mad_i64_i32 v[3:4], null, v5, s5, v[1:2]
	s_waitcnt vmcnt(0)
	v_mad_i64_i32 v[5:6], null, v7, s5, v[1:2]
	v_lshlrev_b32_e32 v1, 4, v68
	s_clause 0x7
	global_load_b128 v[71:74], v[3:4], off
	global_load_b128 v[75:78], v[3:4], off offset:256
	global_load_b128 v[79:82], v[5:6], off
	global_load_b128 v[83:86], v[5:6], off offset:256
	global_load_b128 v[87:90], v[3:4], off offset:512
	;; [unrolled: 1-line block ×5, first 2 shown]
	v_lshl_or_b32 v1, v69, 8, v1
	s_load_b32 s3, s[22:23], 0x0
	s_add_u32 s22, s17, s24
	s_addc_u32 s23, s13, s25
	s_add_u32 s10, s10, s15
	s_addc_u32 s11, s11, s20
	v_add_co_u32 v1, s10, s10, v1
	s_delay_alu instid0(VALU_DEP_1) | instskip(SKIP_2) | instid1(VALU_DEP_1)
	v_add_co_ci_u32_e64 v2, null, s11, 0, s10
	s_load_b32 s10, s[22:23], 0x0
	s_waitcnt lgkmcnt(0)
	v_mad_i64_i32 v[3:4], null, s12, s5, v[1:2]
	v_mad_i64_i32 v[9:10], null, s7, s5, v[1:2]
	;; [unrolled: 1-line block ×7, first 2 shown]
	s_clause 0x5
	global_load_b128 v[49:52], v[3:4], off
	global_load_b128 v[53:56], v[3:4], off offset:16
	global_load_b128 v[41:44], v[5:6], off
	global_load_b128 v[45:48], v[5:6], off offset:16
	;; [unrolled: 2-line block ×3, first 2 shown]
	s_mov_b32 s4, 0
	v_mad_i64_i32 v[61:62], null, s10, s5, v[1:2]
	s_clause 0x9
	global_load_b128 v[1:4], v[9:10], off
	global_load_b128 v[5:8], v[9:10], off offset:16
	global_load_b128 v[9:12], v[13:14], off
	global_load_b128 v[13:16], v[13:14], off offset:16
	;; [unrolled: 2-line block ×5, first 2 shown]
	s_mov_b32 s5, s4
	s_mov_b32 s6, s4
	;; [unrolled: 1-line block ×7, first 2 shown]
	v_and_b32_e32 v104, 0xe0, v0
	v_dual_mov_b32 v126, s11 :: v_dual_mov_b32 v123, s8
	v_dual_mov_b32 v125, s10 :: v_dual_mov_b32 v124, s9
	s_delay_alu instid0(VALU_DEP_3)
	v_add_nc_u32_e32 v111, s16, v104
	ds_load_b128 v[103:106], v115
	ds_load_b128 v[107:110], v115 offset:1024
	v_dual_mov_b32 v122, s7 :: v_dual_mov_b32 v121, s6
	v_mov_b32_e32 v120, s5
	v_or_b32_e32 v135, v111, v66
	ds_load_b128 v[111:114], v115 offset:2048
	ds_load_b128 v[115:118], v115 offset:3072
	v_mov_b32_e32 v119, s4
	s_waitcnt vmcnt(0) lgkmcnt(0)
	s_barrier
	v_or_b32_e32 v137, 2, v135
	v_or_b32_e32 v138, 4, v135
	;; [unrolled: 1-line block ×3, first 2 shown]
	v_cmp_gt_i32_e32 vcc_lo, s18, v135
	v_or_b32_e32 v140, 8, v135
	v_cmp_gt_i32_e64 s3, s18, v137
	v_or_b32_e32 v141, 10, v135
	v_cmp_gt_i32_e64 s4, s18, v138
	v_cmp_gt_i32_e64 s5, s18, v139
	v_or_b32_e32 v142, 12, v135
	v_or_b32_e32 v143, 14, v135
	v_cmp_gt_i32_e64 s6, s18, v140
	v_cmp_gt_i32_e64 s7, s18, v141
	v_or_b32_e32 v144, 16, v135
	v_or_b32_e32 v145, 18, v135
	v_cmp_gt_i32_e64 s8, s18, v142
	v_cmp_gt_i32_e64 s9, s18, v143
	buffer_gl0_inv
	v_cmp_gt_i32_e64 s10, s18, v144
	v_cmp_gt_i32_e64 s11, s18, v145
	v_wmma_f32_16x16x16_f16 v[127:134], v[71:78], v[103:110], v[119:126]
	v_wmma_f32_16x16x16_f16 v[119:126], v[79:86], v[103:110], v[119:126]
	v_or_b32_e32 v71, 20, v135
	v_or_b32_e32 v72, 22, v135
	s_delay_alu instid0(VALU_DEP_4)
	v_wmma_f32_16x16x16_f16 v[127:134], v[87:94], v[111:118], v[127:134]
	v_or_b32_e32 v73, 24, v135
	v_wmma_f32_16x16x16_f16 v[119:126], v[95:102], v[111:118], v[119:126]
	v_or_b32_e32 v74, 26, v135
	v_cmp_gt_i32_e64 s12, s18, v71
	v_dual_mul_f32 v83, s19, v128 :: v_dual_mul_f32 v84, s19, v127
	s_delay_alu instid0(VALU_DEP_4) | instskip(SKIP_1) | instid1(VALU_DEP_3)
	v_dual_mul_f32 v81, s19, v130 :: v_dual_mul_f32 v92, s19, v119
	v_mul_f32_e32 v82, s19, v129
	v_cndmask_b32_e64 v83, 0xff7fffff, v83, s3
	s_delay_alu instid0(VALU_DEP_4)
	v_cndmask_b32_e32 v84, 0xff7fffff, v84, vcc_lo
	v_dual_mul_f32 v79, s19, v132 :: v_dual_mul_f32 v90, s19, v121
	v_mul_f32_e32 v80, s19, v131
	v_cndmask_b32_e64 v82, 0xff7fffff, v82, s4
	v_cndmask_b32_e64 v81, 0xff7fffff, v81, s5
	v_max3_f32 v83, v84, 0xff7fffff, v83
	v_dual_mul_f32 v77, s19, v134 :: v_dual_mul_f32 v88, s19, v123
	v_mul_f32_e32 v78, s19, v133
	v_cndmask_b32_e64 v80, 0xff7fffff, v80, s6
	v_cndmask_b32_e64 v79, 0xff7fffff, v79, s7
	v_max3_f32 v81, v83, v82, v81
	v_mul_f32_e32 v91, s19, v120
	v_cndmask_b32_e64 v78, 0xff7fffff, v78, s8
	v_cndmask_b32_e64 v77, 0xff7fffff, v77, s9
	v_mul_f32_e32 v89, s19, v122
	v_max3_f32 v79, v81, v80, v79
	v_cndmask_b32_e64 v80, 0xff7fffff, v92, s10
	v_cndmask_b32_e64 v81, 0xff7fffff, v91, s11
	v_cmp_gt_i32_e64 s13, s18, v72
	v_or_b32_e32 v75, 28, v135
	v_max3_f32 v77, v79, v78, v77
	v_or_b32_e32 v76, 30, v135
	v_mul_f32_e32 v87, s19, v124
	v_cndmask_b32_e64 v71, 0xff7fffff, v90, s12
	v_cndmask_b32_e64 v72, 0xff7fffff, v89, s13
	v_max3_f32 v77, v77, v80, v81
	v_cmp_gt_i32_e64 s15, s18, v73
	v_cmp_gt_i32_e64 s16, s18, v74
	v_dual_mul_f32 v85, s19, v126 :: v_dual_mul_f32 v86, s19, v125
	s_delay_alu instid0(VALU_DEP_4) | instskip(NEXT) | instid1(VALU_DEP_4)
	v_max3_f32 v71, v77, v71, v72
	v_cndmask_b32_e64 v73, 0xff7fffff, v88, s15
	s_delay_alu instid0(VALU_DEP_4) | instskip(SKIP_2) | instid1(VALU_DEP_3)
	v_cndmask_b32_e64 v74, 0xff7fffff, v87, s16
	v_cmp_gt_i32_e64 s17, s18, v75
	v_cmp_gt_i32_e64 s18, s18, v76
	v_max3_f32 v71, v71, v73, v74
	s_delay_alu instid0(VALU_DEP_3) | instskip(NEXT) | instid1(VALU_DEP_3)
	v_cndmask_b32_e64 v72, 0xff7fffff, v86, s17
	v_cndmask_b32_e64 v75, 0xff7fffff, v85, s18
	v_lshlrev_b32_e32 v73, 2, v136
	s_delay_alu instid0(VALU_DEP_2) | instskip(SKIP_3) | instid1(VALU_DEP_1)
	v_max3_f32 v71, v71, v72, v75
	ds_bpermute_b32 v72, v73, v71
	s_waitcnt lgkmcnt(0)
	v_max_f32_e32 v72, v72, v72
	v_max_f32_e32 v71, v71, v72
	s_delay_alu instid0(VALU_DEP_1)
	v_fma_f32 v72, s19, v127, -v71
	v_fma_f32 v74, s19, v128, -v71
	;; [unrolled: 1-line block ×5, first 2 shown]
	v_mul_f32_e32 v72, 0x3fb8aa3b, v72
	v_mul_f32_e32 v74, 0x3fb8aa3b, v74
	v_fma_f32 v80, s19, v133, -v71
	s_delay_alu instid0(VALU_DEP_4) | instskip(NEXT) | instid1(VALU_DEP_4)
	v_dual_mul_f32 v76, 0x3fb8aa3b, v76 :: v_dual_mul_f32 v77, 0x3fb8aa3b, v77
	v_exp_f32_e32 v72, v72
	s_delay_alu instid0(VALU_DEP_3) | instskip(NEXT) | instid1(VALU_DEP_2)
	v_exp_f32_e32 v74, v74
	v_mul_f32_e32 v82, 0x3fb8aa3b, v80
	s_delay_alu instid0(VALU_DEP_2) | instskip(SKIP_1) | instid1(VALU_DEP_1)
	v_exp_f32_e32 v76, v76
	v_exp_f32_e32 v77, v77
	;; [unrolled: 1-line block ×3, first 2 shown]
	v_cndmask_b32_e32 v79, 0, v72, vcc_lo
	v_fma_f32 v72, s19, v132, -v71
	v_mul_f32_e32 v75, 0x3fb8aa3b, v75
	v_cndmask_b32_e64 v78, 0, v74, s3
	s_delay_alu instid0(TRANS32_DEP_3)
	v_cndmask_b32_e64 v80, 0, v76, s5
	v_add_f32_e32 v74, 0, v79
	v_mul_f32_e32 v72, 0x3fb8aa3b, v72
	v_exp_f32_e32 v75, v75
	v_cndmask_b32_e64 v83, 0, v77, s6
	v_cndmask_b32_e64 v85, 0, v84, s8
	v_add_f32_e32 v74, v74, v78
	v_exp_f32_e32 v72, v72
	s_mov_b32 s3, exec_lo
	s_waitcnt_depctr 0xfff
	v_cndmask_b32_e64 v81, 0, v75, s4
	v_cndmask_b32_e64 v82, 0, v72, s7
	s_delay_alu instid0(VALU_DEP_2) | instskip(NEXT) | instid1(VALU_DEP_1)
	v_add_f32_e32 v74, v74, v81
	v_add_f32_e32 v74, v74, v80
	s_delay_alu instid0(VALU_DEP_1) | instskip(SKIP_4) | instid1(VALU_DEP_4)
	v_add_f32_e32 v72, v74, v83
	v_fma_f32 v75, s19, v134, -v71
	v_fma_f32 v76, s19, v119, -v71
	;; [unrolled: 1-line block ×4, first 2 shown]
	v_dual_add_f32 v72, v72, v82 :: v_dual_mul_f32 v75, 0x3fb8aa3b, v75
	s_delay_alu instid0(VALU_DEP_3) | instskip(SKIP_1) | instid1(VALU_DEP_3)
	v_dual_mul_f32 v76, 0x3fb8aa3b, v76 :: v_dual_mul_f32 v77, 0x3fb8aa3b, v77
	v_fma_f32 v86, s19, v122, -v71
	v_add_f32_e32 v72, v72, v85
	s_delay_alu instid0(VALU_DEP_4) | instskip(NEXT) | instid1(VALU_DEP_3)
	v_exp_f32_e32 v75, v75
	v_exp_f32_e32 v76, v76
	;; [unrolled: 1-line block ×3, first 2 shown]
	v_mul_f32_e32 v86, 0x3fb8aa3b, v86
	s_delay_alu instid0(VALU_DEP_1) | instskip(SKIP_3) | instid1(TRANS32_DEP_3)
	v_exp_f32_e32 v88, v86
	v_cndmask_b32_e64 v84, 0, v75, s9
	v_fma_f32 v75, s19, v123, -v71
	v_mul_f32_e32 v74, 0x3fb8aa3b, v74
	v_cndmask_b32_e64 v87, 0, v76, s10
	v_fma_f32 v76, s19, v124, -v71
	s_delay_alu instid0(VALU_DEP_4) | instskip(NEXT) | instid1(VALU_DEP_4)
	v_dual_add_f32 v72, v72, v84 :: v_dual_mul_f32 v75, 0x3fb8aa3b, v75
	v_exp_f32_e32 v74, v74
	v_cndmask_b32_e64 v86, 0, v77, s11
	v_fma_f32 v77, s19, v125, -v71
	s_delay_alu instid0(VALU_DEP_3) | instskip(SKIP_3) | instid1(VALU_DEP_3)
	v_add_f32_e32 v72, v72, v87
	v_mul_f32_e32 v76, 0x3fb8aa3b, v76
	v_exp_f32_e32 v75, v75
	v_cndmask_b32_e64 v88, 0, v88, s13
	v_add_f32_e32 v72, v72, v86
	s_delay_alu instid0(VALU_DEP_3) | instskip(NEXT) | instid1(TRANS32_DEP_3)
	v_exp_f32_e32 v76, v76
	v_cndmask_b32_e64 v89, 0, v74, s12
	v_mul_f32_e32 v74, 0x3fb8aa3b, v77
	v_fma_f32 v77, s19, v126, -v71
	s_delay_alu instid0(VALU_DEP_3) | instskip(NEXT) | instid1(VALU_DEP_3)
	v_add_f32_e32 v72, v72, v89
	v_exp_f32_e32 v74, v74
	s_delay_alu instid0(TRANS32_DEP_3) | instskip(NEXT) | instid1(VALU_DEP_3)
	v_cndmask_b32_e64 v91, 0, v75, s15
	v_mul_f32_e32 v75, 0x3fb8aa3b, v77
	s_delay_alu instid0(TRANS32_DEP_2) | instskip(SKIP_1) | instid1(VALU_DEP_3)
	v_cndmask_b32_e64 v90, 0, v76, s16
	v_add_f32_e32 v72, v72, v88
	v_exp_f32_e32 v75, v75
	s_delay_alu instid0(VALU_DEP_1) | instskip(NEXT) | instid1(TRANS32_DEP_2)
	v_add_f32_e32 v72, v72, v91
	v_cndmask_b32_e64 v93, 0, v74, s17
	s_delay_alu instid0(VALU_DEP_2) | instskip(SKIP_3) | instid1(VALU_DEP_1)
	v_add_f32_e32 v72, v72, v90
	s_waitcnt_depctr 0xfff
	v_cndmask_b32_e64 v92, 0, v75, s18
	v_add_f32_e32 v72, v72, v93
	v_add_f32_e32 v72, v72, v92
	ds_bpermute_b32 v73, v73, v72
	v_cmpx_gt_u32_e32 16, v70
	s_cbranch_execz .LBB775_12
; %bb.11:
	v_mul_u32_u24_e32 v70, 0x44, v69
	s_waitcnt lgkmcnt(0)
	v_add_f32_e32 v72, v72, v73
	s_delay_alu instid0(VALU_DEP_2) | instskip(NEXT) | instid1(VALU_DEP_1)
	v_lshl_add_u32 v70, v68, 2, v70
	v_add_nc_u32_e32 v70, 0x4000, v70
	ds_store_2addr_b32 v70, v71, v72 offset1:136
.LBB775_12:
	s_or_b32 exec_lo, exec_lo, s3
	v_lshlrev_b32_e32 v70, 2, v68
	s_load_b32 s35, s[0:1], 0x94
	s_waitcnt lgkmcnt(0)
	s_barrier
	buffer_gl0_inv
	v_add_nc_u32_e32 v98, 0x4000, v70
	v_cmp_eq_u32_e32 vcc_lo, 1, v69
	v_cmp_eq_u32_e64 s3, 2, v69
	v_cmp_eq_u32_e64 s4, 3, v69
	;; [unrolled: 1-line block ×3, first 2 shown]
	ds_load_2addr_b32 v[70:71], v98 offset1:17
	ds_load_2addr_b32 v[72:73], v98 offset0:34 offset1:51
	ds_load_2addr_b32 v[74:75], v98 offset0:68 offset1:85
	;; [unrolled: 1-line block ×3, first 2 shown]
	v_cmp_eq_u32_e64 s6, 5, v69
	v_cmp_eq_u32_e64 s7, 7, v69
	s_waitcnt lgkmcnt(3)
	v_max3_f32 v76, v70, 0xff7fffff, v71
	s_waitcnt lgkmcnt(2)
	s_delay_alu instid0(VALU_DEP_1) | instskip(SKIP_1) | instid1(VALU_DEP_1)
	v_max3_f32 v76, v76, v72, v73
	s_waitcnt lgkmcnt(1)
	v_max3_f32 v76, v76, v74, v75
	s_waitcnt lgkmcnt(0)
	s_delay_alu instid0(VALU_DEP_1) | instskip(NEXT) | instid1(VALU_DEP_1)
	v_max3_f32 v76, v76, v94, v95
	v_sub_f32_e32 v77, v71, v76
	ds_load_2addr_b32 v[96:97], v98 offset0:136 offset1:153
	v_sub_f32_e32 v74, v74, v76
	v_sub_f32_e32 v70, v70, v76
	;; [unrolled: 1-line block ×3, first 2 shown]
	v_dual_sub_f32 v72, v72, v76 :: v_dual_mul_f32 v77, 0x3fb8aa3b, v77
	s_delay_alu instid0(VALU_DEP_4) | instskip(NEXT) | instid1(VALU_DEP_4)
	v_mul_f32_e32 v103, 0x3fb8aa3b, v74
	v_mul_f32_e32 v99, 0x3fb8aa3b, v70
	ds_load_2addr_b32 v[70:71], v98 offset0:170 offset1:187
	v_dual_mul_f32 v101, 0x3fb8aa3b, v72 :: v_dual_mul_f32 v94, 0x3fb8aa3b, v94
	v_exp_f32_e32 v102, v77
	v_exp_f32_e32 v99, v99
	s_delay_alu instid0(VALU_DEP_1) | instskip(NEXT) | instid1(VALU_DEP_1)
	v_exp_f32_e32 v101, v101
	v_exp_f32_e32 v94, v94
	s_waitcnt lgkmcnt(1)
	s_delay_alu instid0(TRANS32_DEP_3)
	v_fma_f32 v77, v99, v96, 0
	v_sub_f32_e32 v100, v73, v76
	ds_load_2addr_b32 v[72:73], v98 offset0:204 offset1:221
	v_fmac_f32_e32 v77, v102, v97
	v_exp_f32_e32 v97, v103
	s_waitcnt lgkmcnt(1)
	s_delay_alu instid0(VALU_DEP_1)
	v_dual_fmac_f32 v77, v101, v70 :: v_dual_sub_f32 v96, v75, v76
	ds_load_2addr_b32 v[74:75], v98 offset0:238 offset1:255
	v_sub_f32_e32 v70, v95, v76
	s_waitcnt lgkmcnt(0)
	s_barrier
	v_mul_f32_e32 v96, 0x3fb8aa3b, v96
	buffer_gl0_inv
	v_exp_f32_e32 v95, v96
	v_mul_f32_e32 v100, 0x3fb8aa3b, v100
	s_delay_alu instid0(VALU_DEP_1) | instskip(SKIP_3) | instid1(VALU_DEP_2)
	v_exp_f32_e32 v100, v100
	s_waitcnt_depctr 0xfff
	v_dual_fmac_f32 v77, v100, v71 :: v_dual_mul_f32 v70, 0x3fb8aa3b, v70
	v_cndmask_b32_e32 v71, v99, v102, vcc_lo
	v_fmac_f32_e32 v77, v97, v72
	s_delay_alu instid0(VALU_DEP_3) | instskip(NEXT) | instid1(VALU_DEP_1)
	v_exp_f32_e32 v96, v70
	v_fmac_f32_e32 v77, v95, v73
	s_delay_alu instid0(VALU_DEP_1) | instskip(SKIP_2) | instid1(VALU_DEP_1)
	v_fmac_f32_e32 v77, v94, v74
	s_waitcnt_depctr 0xfff
	v_fmac_f32_e32 v77, v96, v75
	v_add_f32_e32 v74, 0x358637bd, v77
	s_delay_alu instid0(VALU_DEP_1) | instskip(SKIP_1) | instid1(VALU_DEP_2)
	v_div_scale_f32 v98, null, v74, v74, 1.0
	v_div_scale_f32 v99, vcc_lo, 1.0, v74, 1.0
	v_rcp_f32_e32 v103, v98
	s_waitcnt_depctr 0xfff
	v_fma_f32 v70, -v98, v103, 1.0
	s_delay_alu instid0(VALU_DEP_1) | instskip(SKIP_2) | instid1(VALU_DEP_2)
	v_fmac_f32_e32 v103, v70, v103
	v_cndmask_b32_e64 v70, v71, v101, s3
	v_cmp_eq_u32_e64 s3, 6, v69
	v_cndmask_b32_e64 v71, v70, v100, s4
	s_delay_alu instid0(VALU_DEP_4) | instskip(NEXT) | instid1(VALU_DEP_2)
	v_dual_mul_f32 v101, v99, v103 :: v_dual_lshlrev_b32 v70, 2, v66
	v_cndmask_b32_e64 v71, v71, v97, s5
	s_delay_alu instid0(VALU_DEP_2) | instskip(NEXT) | instid1(VALU_DEP_3)
	v_or_b32_e32 v72, 1, v70
	v_fma_f32 v100, -v98, v101, v99
	v_cmp_eq_u32_e64 s4, 1, v70
	v_cmp_eq_u32_e64 s5, 2, v70
	v_cndmask_b32_e64 v95, v71, v95, s6
	v_or_b32_e32 v71, 3, v70
	v_fmac_f32_e32 v101, v100, v103
	v_cmp_eq_u32_e64 s9, 1, v72
	v_cmp_eq_u32_e64 s12, 2, v72
	v_cndmask_b32_e64 v94, v95, v94, s3
	v_cmp_eq_u32_e64 s11, 1, v71
	v_fma_f32 v97, -v98, v101, v99
	v_cmp_eq_u32_e64 s16, 2, v71
	v_cmp_eq_u32_e64 s13, 3, v72
	v_cndmask_b32_e64 v94, v94, v96, s7
	v_cmp_eq_u32_e64 s18, 3, v71
	v_div_fmas_f32 v95, v97, v103, v101
	v_cmp_eq_u32_e32 vcc_lo, 3, v70
	v_cmp_eq_u32_e64 s3, 4, v70
	v_cmp_eq_u32_e64 s19, 4, v72
	;; [unrolled: 1-line block ×3, first 2 shown]
	v_div_fixup_f32 v95, v95, v74, 1.0
	v_lshlrev_b32_e32 v73, 6, v68
	v_cmp_eq_u32_e64 s6, 5, v70
	v_cmp_eq_u32_e64 s20, 5, v72
	v_cmp_eq_u32_e64 s24, 5, v71
	v_mul_f32_e32 v102, v94, v95
	v_lshl_or_b32 v75, v69, 11, v73
	v_or_b32_e32 v69, 2, v70
	v_cmp_eq_u32_e64 s25, 6, v72
	v_cmp_eq_u32_e64 s27, 6, v71
	v_fma_mixlo_f16 v94, v102, v79, 0
	v_fma_mixlo_f16 v95, v102, v81, 0
	;; [unrolled: 1-line block ×8, first 2 shown]
	v_lshl_or_b32 v74, v66, 4, v75
	v_fma_mixhi_f16 v94, v102, v78, 0
	v_fma_mixhi_f16 v95, v102, v80, 0
	;; [unrolled: 1-line block ×8, first 2 shown]
	ds_store_b128 v74, v[94:97]
	ds_store_b128 v74, v[98:101] offset:1024
	s_waitcnt lgkmcnt(0)
	s_barrier
	buffer_gl0_inv
	ds_load_b128 v[78:81], v75
	ds_load_b128 v[82:85], v75 offset:16
	ds_load_b128 v[86:89], v75 offset:1024
	;; [unrolled: 1-line block ×3, first 2 shown]
	v_cmp_eq_u32_e64 s10, 1, v69
	v_cmp_eq_u32_e64 s15, 2, v69
	;; [unrolled: 1-line block ×11, first 2 shown]
	s_waitcnt lgkmcnt(3)
	v_lshrrev_b32_e32 v94, 16, v78
	s_waitcnt lgkmcnt(2)
	v_lshrrev_b32_e32 v98, 16, v82
	;; [unrolled: 2-line block ×4, first 2 shown]
	v_lshrrev_b32_e32 v95, 16, v79
	v_cndmask_b32_e64 v110, v78, v94, s4
	v_cndmask_b32_e64 v111, v82, v98, s4
	;; [unrolled: 1-line block ×8, first 2 shown]
	v_lshrrev_b32_e32 v99, 16, v83
	v_cndmask_b32_e64 v94, v86, v102, s4
	v_cndmask_b32_e64 v98, v90, v106, s4
	;; [unrolled: 1-line block ×15, first 2 shown]
	v_lshrrev_b32_e32 v103, 16, v87
	v_lshrrev_b32_e32 v107, 16, v91
	v_cndmask_b32_e64 v113, v115, v83, s15
	v_cndmask_b32_e64 v82, v94, v87, s5
	;; [unrolled: 1-line block ×7, first 2 shown]
	v_cndmask_b32_e32 v90, v102, v95, vcc_lo
	v_cndmask_b32_e32 v102, v106, v99, vcc_lo
	v_cndmask_b32_e64 v106, v110, v95, s13
	v_cndmask_b32_e64 v110, v111, v99, s13
	;; [unrolled: 1-line block ×4, first 2 shown]
	v_lshrrev_b32_e32 v96, 16, v80
	v_lshrrev_b32_e32 v100, 16, v84
	v_cndmask_b32_e64 v111, v112, v95, s17
	v_cndmask_b32_e64 v112, v113, v99, s17
	v_cndmask_b32_e32 v82, v82, v103, vcc_lo
	v_cndmask_b32_e32 v83, v83, v107, vcc_lo
	v_cndmask_b32_e64 v94, v94, v103, s13
	v_cndmask_b32_e64 v90, v90, v80, s3
	;; [unrolled: 1-line block ×7, first 2 shown]
	v_lshrrev_b32_e32 v104, 16, v88
	v_cndmask_b32_e64 v106, v111, v80, s21
	v_cndmask_b32_e64 v110, v112, v84, s21
	;; [unrolled: 1-line block ×11, first 2 shown]
	v_lshrrev_b32_e32 v97, 16, v81
	v_lshrrev_b32_e32 v101, 16, v85
	v_cndmask_b32_e64 v99, v106, v96, s23
	v_cndmask_b32_e64 v102, v110, v100, s23
	v_cndmask_b32_e64 v83, v83, v104, s20
	v_cndmask_b32_e64 v94, v94, v81, s25
	v_cndmask_b32_e64 v95, v95, v85, s25
	v_cndmask_b32_e64 v78, v78, v81, s27
	v_cndmask_b32_e64 v79, v79, v85, s27
	v_lshrrev_b32_e32 v105, 16, v89
	v_cndmask_b32_e64 v80, v80, v104, s6
	v_cndmask_b32_e64 v84, v84, v81, s7
	;; [unrolled: 1-line block ×16, first 2 shown]
	v_perm_b32 v81, v79, v78, 0x5040100
	v_perm_b32 v79, v95, v85, 0x5040100
	v_cndmask_b32_e64 v78, v119, v91, s15
	v_cndmask_b32_e64 v85, v117, v91, s12
	;; [unrolled: 1-line block ×3, first 2 shown]
	v_perm_b32 v80, v94, v90, 0x5040100
	v_cndmask_b32_e64 v90, v98, v103, s17
	v_cndmask_b32_e64 v86, v86, v103, s18
	;; [unrolled: 1-line block ×5, first 2 shown]
	v_lshrrev_b32_e32 v108, 16, v92
	v_cndmask_b32_e64 v90, v90, v88, s21
	v_cndmask_b32_e64 v86, v86, v88, s22
	v_cndmask_b32_e64 v87, v87, v92, s22
	v_cndmask_b32_e64 v78, v78, v92, s21
	v_cndmask_b32_e64 v85, v85, v92, s19
	v_cndmask_b32_e64 v82, v82, v108, s6
	v_cndmask_b32_e64 v88, v90, v104, s23
	v_cndmask_b32_e64 v86, v86, v104, s24
	v_cndmask_b32_e64 v87, v87, v108, s24
	v_cndmask_b32_e64 v78, v78, v108, s23
	v_cndmask_b32_e64 v85, v85, v108, s20
	v_lshrrev_b32_e32 v109, 16, v93
	v_cndmask_b32_e64 v82, v82, v93, s7
	v_cndmask_b32_e64 v88, v88, v89, s26
	;; [unrolled: 1-line block ×12, first 2 shown]
	v_perm_b32 v78, v84, v83, 0x5040100
	v_perm_b32 v85, v87, v86, 0x5040100
	;; [unrolled: 1-line block ×5, first 2 shown]
	s_mul_i32 s8, s33, 6
	s_mov_b32 s3, exec_lo
	ds_store_b128 v74, v[78:81]
	ds_store_b128 v74, v[82:85] offset:1024
	v_cmpx_gt_u32_e32 6, v0
	s_cbranch_execz .LBB775_14
; %bb.13:
	s_mul_i32 s4, s8, s34
	s_delay_alu instid0(SALU_CYCLE_1) | instskip(SKIP_1) | instid1(VALU_DEP_1)
	v_add3_u32 v68, s4, s31, v68
	s_load_b128 s[4:7], s[0:1], 0x58
	v_mad_u64_u32 v[78:79], null, v68, s35, s[14:15]
	s_delay_alu instid0(VALU_DEP_1) | instskip(NEXT) | instid1(VALU_DEP_1)
	v_ashrrev_i32_e32 v79, 31, v78
	v_lshlrev_b64 v[78:79], 2, v[78:79]
	s_waitcnt lgkmcnt(0)
	s_delay_alu instid0(VALU_DEP_1) | instskip(NEXT) | instid1(VALU_DEP_2)
	v_add_co_u32 v80, vcc_lo, s6, v78
	v_add_co_ci_u32_e32 v81, vcc_lo, s7, v79, vcc_lo
	v_add_co_u32 v78, vcc_lo, s4, v78
	v_add_co_ci_u32_e32 v79, vcc_lo, s5, v79, vcc_lo
	global_store_b32 v[80:81], v76, off
	global_store_b32 v[78:79], v77, off
.LBB775_14:
	s_or_b32 exec_lo, exec_lo, s3
	s_waitcnt lgkmcnt(0)
	s_waitcnt_vscnt null, 0x0
	s_barrier
	buffer_gl0_inv
	ds_load_b128 v[84:87], v73
	ds_load_b128 v[88:91], v73 offset:16
	ds_load_b128 v[96:99], v73 offset:2064
	;; [unrolled: 1-line block ×5, first 2 shown]
	v_cmp_eq_u32_e32 vcc_lo, 1, v70
	v_mov_b32_e32 v76, 0
	ds_load_b128 v[112:115], v73 offset:6160
	ds_load_b128 v[108:111], v73 offset:6144
	;; [unrolled: 1-line block ×4, first 2 shown]
	v_cmp_eq_u32_e64 s4, 1, v69
	v_cmp_eq_u32_e64 s3, 1, v72
	;; [unrolled: 1-line block ×3, first 2 shown]
	v_mov_b32_e32 v77, v76
	v_mov_b32_e32 v78, v76
	;; [unrolled: 1-line block ×7, first 2 shown]
	v_cmp_eq_u32_e64 s6, 3, v72
	v_cmp_eq_u32_e64 s7, 7, v72
	s_waitcnt lgkmcnt(8)
	s_delay_alu instid0(VALU_DEP_3)
	v_wmma_f32_16x16x16_f16 v[76:83], v[49:56], v[84:91], v[76:83]
	ds_load_b128 v[53:56], v73 offset:10256
	ds_load_b128 v[49:52], v73 offset:10240
	s_waitcnt lgkmcnt(8)
	v_wmma_f32_16x16x16_f16 v[76:83], v[41:48], v[92:99], v[76:83]
	ds_load_b128 v[45:48], v73 offset:12304
	ds_load_b128 v[41:44], v73 offset:12288
	s_waitcnt lgkmcnt(8)
	v_wmma_f32_16x16x16_f16 v[76:83], v[33:40], v[100:107], v[76:83]
	ds_load_b128 v[37:40], v73 offset:14352
	ds_load_b128 v[33:36], v73 offset:14336
	s_waitcnt lgkmcnt(0)
	s_barrier
	buffer_gl0_inv
	v_wmma_f32_16x16x16_f16 v[76:83], v[1:8], v[108:115], v[76:83]
	s_delay_alu instid0(VALU_DEP_1) | instskip(NEXT) | instid1(VALU_DEP_1)
	v_wmma_f32_16x16x16_f16 v[76:83], v[9:16], v[116:123], v[76:83]
	v_wmma_f32_16x16x16_f16 v[76:83], v[17:24], v[49:56], v[76:83]
	s_delay_alu instid0(VALU_DEP_1) | instskip(NEXT) | instid1(VALU_DEP_1)
	v_wmma_f32_16x16x16_f16 v[76:83], v[25:32], v[41:48], v[76:83]
	v_wmma_f32_16x16x16_f16 v[76:83], v[57:64], v[33:40], v[76:83]
	s_delay_alu instid0(VALU_DEP_1) | instskip(NEXT) | instid1(VALU_DEP_2)
	v_cvt_f16_f32_e32 v1, v76
	v_cvt_f16_f32_e32 v2, v77
	s_delay_alu instid0(VALU_DEP_3) | instskip(NEXT) | instid1(VALU_DEP_4)
	v_cvt_f16_f32_e32 v3, v78
	v_cvt_f16_f32_e32 v4, v79
	;; [unrolled: 1-line block ×6, first 2 shown]
	v_pack_b32_f16 v1, v1, v2
	v_pack_b32_f16 v2, v3, v4
	;; [unrolled: 1-line block ×3, first 2 shown]
	s_delay_alu instid0(VALU_DEP_4)
	v_pack_b32_f16 v4, v7, v8
	ds_store_b128 v74, v[1:4]
	s_waitcnt lgkmcnt(0)
	s_barrier
	buffer_gl0_inv
	ds_load_b128 v[1:4], v75
	ds_load_b128 v[5:8], v75 offset:16
	s_waitcnt lgkmcnt(1)
	v_lshrrev_b32_e32 v9, 16, v1
	s_waitcnt lgkmcnt(0)
	v_lshrrev_b32_e32 v13, 16, v5
	v_lshrrev_b32_e32 v10, 16, v2
	;; [unrolled: 1-line block ×4, first 2 shown]
	v_cndmask_b32_e32 v17, v1, v9, vcc_lo
	v_cndmask_b32_e32 v18, v5, v13, vcc_lo
	v_cndmask_b32_e64 v21, v1, v9, s4
	v_cmp_eq_u32_e32 vcc_lo, 1, v71
	v_cndmask_b32_e64 v22, v5, v13, s4
	v_cmp_eq_u32_e64 s4, 2, v70
	v_cndmask_b32_e64 v19, v1, v9, s3
	v_cndmask_b32_e64 v20, v5, v13, s3
	v_cndmask_b32_e32 v1, v1, v9, vcc_lo
	v_cmp_eq_u32_e64 s3, 2, v71
	v_cndmask_b32_e32 v5, v5, v13, vcc_lo
	v_cndmask_b32_e64 v9, v17, v2, s4
	v_cmp_eq_u32_e32 vcc_lo, 3, v70
	v_cndmask_b32_e64 v13, v18, v6, s4
	v_cmp_eq_u32_e64 s4, 2, v69
	v_cndmask_b32_e64 v17, v19, v2, s5
	v_cndmask_b32_e64 v18, v20, v6, s5
	v_cmp_eq_u32_e64 s5, 3, v69
	v_cndmask_b32_e64 v1, v1, v2, s3
	v_cndmask_b32_e64 v19, v21, v2, s4
	;; [unrolled: 1-line block ×4, first 2 shown]
	v_cndmask_b32_e32 v5, v9, v10, vcc_lo
	v_cndmask_b32_e32 v6, v13, v14, vcc_lo
	v_cmp_eq_u32_e32 vcc_lo, 3, v71
	v_cndmask_b32_e64 v9, v17, v10, s6
	v_cndmask_b32_e64 v13, v18, v14, s6
	;; [unrolled: 1-line block ×3, first 2 shown]
	v_cmp_eq_u32_e64 s4, 4, v70
	v_cndmask_b32_e32 v1, v1, v10, vcc_lo
	v_cndmask_b32_e32 v2, v2, v14, vcc_lo
	v_cmp_eq_u32_e32 vcc_lo, 4, v72
	v_lshrrev_b32_e32 v15, 16, v7
	v_lshrrev_b32_e32 v16, 16, v8
	v_cndmask_b32_e64 v17, v19, v10, s5
	v_cmp_eq_u32_e64 s3, 4, v71
	v_cndmask_b32_e64 v5, v5, v3, s4
	v_cndmask_b32_e64 v6, v6, v7, s4
	v_cndmask_b32_e32 v9, v9, v3, vcc_lo
	v_cmp_eq_u32_e64 s4, 5, v72
	v_cndmask_b32_e32 v10, v13, v7, vcc_lo
	v_cmp_eq_u32_e32 vcc_lo, 4, v69
	v_cmp_eq_u32_e64 s5, 5, v70
	v_cndmask_b32_e64 v2, v2, v7, s3
	v_cndmask_b32_e64 v9, v9, v11, s4
	v_cndmask_b32_e64 v10, v10, v15, s4
	v_cndmask_b32_e32 v13, v17, v3, vcc_lo
	v_cmp_eq_u32_e64 s4, 5, v69
	v_cndmask_b32_e32 v14, v18, v7, vcc_lo
	v_cndmask_b32_e64 v1, v1, v3, s3
	v_cmp_eq_u32_e32 vcc_lo, 5, v71
	v_lshrrev_b32_e32 v12, 16, v4
	v_cndmask_b32_e64 v13, v13, v11, s4
	v_cndmask_b32_e64 v3, v14, v15, s4
	v_cmp_eq_u32_e64 s4, 6, v71
	v_cndmask_b32_e32 v1, v1, v11, vcc_lo
	v_cndmask_b32_e64 v5, v5, v11, s5
	v_cmp_eq_u32_e64 s6, 6, v70
	v_cndmask_b32_e64 v6, v6, v15, s5
	v_cmp_eq_u32_e64 s5, 6, v72
	v_cmp_eq_u32_e64 s3, 6, v69
	v_cndmask_b32_e64 v1, v1, v4, s4
	v_cndmask_b32_e32 v2, v2, v15, vcc_lo
	v_cmp_eq_u32_e32 vcc_lo, 7, v71
	v_cndmask_b32_e64 v5, v5, v4, s6
	v_cndmask_b32_e64 v9, v9, v4, s5
	;; [unrolled: 1-line block ×3, first 2 shown]
	v_cmp_eq_u32_e64 s6, 7, v70
	v_cndmask_b32_e32 v1, v1, v12, vcc_lo
	v_cndmask_b32_e64 v7, v13, v4, s3
	v_cndmask_b32_e64 v3, v3, v8, s3
	;; [unrolled: 1-line block ×3, first 2 shown]
	v_cmp_eq_u32_e64 s3, 7, v69
	v_cndmask_b32_e64 v4, v10, v8, s5
	v_cndmask_b32_e64 v5, v5, v12, s6
	;; [unrolled: 1-line block ×3, first 2 shown]
	v_cndmask_b32_e32 v2, v2, v16, vcc_lo
	v_cndmask_b32_e64 v7, v7, v12, s3
	v_cndmask_b32_e64 v3, v3, v16, s3
	v_cndmask_b32_e64 v8, v4, v16, s7
	v_cndmask_b32_e64 v6, v6, v16, s6
	v_cmp_gt_u32_e32 vcc_lo, 32, v0
	v_perm_b32 v4, v2, v1, 0x5040100
	v_perm_b32 v3, v3, v7, 0x5040100
	;; [unrolled: 1-line block ×4, first 2 shown]
	s_and_b32 s2, vcc_lo, s2
	ds_store_b128 v74, v[1:4]
	s_waitcnt lgkmcnt(0)
	s_barrier
	buffer_gl0_inv
	s_and_saveexec_b32 s3, s2
	s_cbranch_execz .LBB775_2
; %bb.15:
	s_load_b64 s[0:1], s[0:1], 0x68
	s_lshl_b32 s4, s35, 6
	v_or_b32_e32 v3, s31, v66
	s_mul_i32 s2, s4, s34
	v_lshlrev_b32_e32 v0, 10, v0
	s_mul_i32 s2, s2, s8
	v_lshlrev_b32_e32 v1, 4, v67
	s_ashr_i32 s3, s2, 31
	v_mul_lo_u32 v12, v3, s4
	s_lshl_b64 s[2:3], s[2:3], 1
	v_lshlrev_b32_e32 v2, 6, v66
	v_and_b32_e32 v0, 0x3800, v0
	s_delay_alu instid0(VALU_DEP_1) | instskip(NEXT) | instid1(VALU_DEP_4)
	v_or3_b32 v8, v0, v1, v2
	v_ashrrev_i32_e32 v13, 31, v12
	ds_load_b128 v[0:3], v8
	ds_load_b128 v[4:7], v8 offset:128
	ds_load_b128 v[8:11], v8 offset:256
	s_waitcnt lgkmcnt(0)
	s_add_u32 s2, s0, s2
	s_addc_u32 s3, s1, s3
	s_lshl_b32 s0, s14, 6
	s_delay_alu instid0(SALU_CYCLE_1) | instskip(NEXT) | instid1(SALU_CYCLE_1)
	s_ashr_i32 s1, s0, 31
	s_lshl_b64 s[0:1], s[0:1], 1
	s_delay_alu instid0(SALU_CYCLE_1)
	s_add_u32 s0, s2, s0
	s_addc_u32 s1, s3, s1
	s_lshl_b32 s2, s35, 7
	v_add_co_u32 v18, s0, s0, v65
	v_add_nc_u32_e32 v14, s2, v12
	v_lshlrev_b64 v[12:13], 1, v[12:13]
	v_add_co_ci_u32_e64 v19, null, s1, 0, s0
	s_delay_alu instid0(VALU_DEP_3) | instskip(SKIP_1) | instid1(VALU_DEP_4)
	v_add_nc_u32_e32 v16, s2, v14
	v_ashrrev_i32_e32 v15, 31, v14
	v_add_co_u32 v12, vcc_lo, v18, v12
	s_delay_alu instid0(VALU_DEP_4) | instskip(NEXT) | instid1(VALU_DEP_4)
	v_add_co_ci_u32_e32 v13, vcc_lo, v19, v13, vcc_lo
	v_ashrrev_i32_e32 v17, 31, v16
	s_delay_alu instid0(VALU_DEP_4) | instskip(NEXT) | instid1(VALU_DEP_2)
	v_lshlrev_b64 v[14:15], 1, v[14:15]
	v_lshlrev_b64 v[16:17], 1, v[16:17]
	s_delay_alu instid0(VALU_DEP_2) | instskip(NEXT) | instid1(VALU_DEP_3)
	v_add_co_u32 v14, vcc_lo, v18, v14
	v_add_co_ci_u32_e32 v15, vcc_lo, v19, v15, vcc_lo
	s_delay_alu instid0(VALU_DEP_3) | instskip(NEXT) | instid1(VALU_DEP_4)
	v_add_co_u32 v16, vcc_lo, v18, v16
	v_add_co_ci_u32_e32 v17, vcc_lo, v19, v17, vcc_lo
	s_clause 0x2
	global_store_b128 v[12:13], v[0:3], off
	global_store_b128 v[14:15], v[4:7], off
	;; [unrolled: 1-line block ×3, first 2 shown]
	s_nop 0
	s_sendmsg sendmsg(MSG_DEALLOC_VGPRS)
	s_endpgm
	.section	.rodata,"a",@progbits
	.p2align	6, 0x0
	.amdhsa_kernel _Z39paged_attention_ll4mi_QKV_mfma16_kernelIDF16_hLN4vllm18Fp8KVCacheDataTypeE1EhLi16ELi64ELi256ELb1ELi6EL8MFMAType1EEvPKT_PKT0_S8_ifPKiSA_SA_iPKfiiiPfSD_PS3_PT2_iSC_SC_
		.amdhsa_group_segment_fixed_size 17472
		.amdhsa_private_segment_fixed_size 0
		.amdhsa_kernarg_size 400
		.amdhsa_user_sgpr_count 13
		.amdhsa_user_sgpr_dispatch_ptr 0
		.amdhsa_user_sgpr_queue_ptr 0
		.amdhsa_user_sgpr_kernarg_segment_ptr 1
		.amdhsa_user_sgpr_dispatch_id 0
		.amdhsa_user_sgpr_private_segment_size 0
		.amdhsa_wavefront_size32 1
		.amdhsa_uses_dynamic_stack 0
		.amdhsa_enable_private_segment 0
		.amdhsa_system_sgpr_workgroup_id_x 1
		.amdhsa_system_sgpr_workgroup_id_y 1
		.amdhsa_system_sgpr_workgroup_id_z 1
		.amdhsa_system_sgpr_workgroup_info 0
		.amdhsa_system_vgpr_workitem_id 0
		.amdhsa_next_free_vgpr 146
		.amdhsa_next_free_sgpr 36
		.amdhsa_reserve_vcc 1
		.amdhsa_float_round_mode_32 0
		.amdhsa_float_round_mode_16_64 0
		.amdhsa_float_denorm_mode_32 3
		.amdhsa_float_denorm_mode_16_64 3
		.amdhsa_dx10_clamp 1
		.amdhsa_ieee_mode 1
		.amdhsa_fp16_overflow 0
		.amdhsa_workgroup_processor_mode 1
		.amdhsa_memory_ordered 1
		.amdhsa_forward_progress 0
		.amdhsa_shared_vgpr_count 0
		.amdhsa_exception_fp_ieee_invalid_op 0
		.amdhsa_exception_fp_denorm_src 0
		.amdhsa_exception_fp_ieee_div_zero 0
		.amdhsa_exception_fp_ieee_overflow 0
		.amdhsa_exception_fp_ieee_underflow 0
		.amdhsa_exception_fp_ieee_inexact 0
		.amdhsa_exception_int_div_zero 0
	.end_amdhsa_kernel
	.section	.text._Z39paged_attention_ll4mi_QKV_mfma16_kernelIDF16_hLN4vllm18Fp8KVCacheDataTypeE1EhLi16ELi64ELi256ELb1ELi6EL8MFMAType1EEvPKT_PKT0_S8_ifPKiSA_SA_iPKfiiiPfSD_PS3_PT2_iSC_SC_,"axG",@progbits,_Z39paged_attention_ll4mi_QKV_mfma16_kernelIDF16_hLN4vllm18Fp8KVCacheDataTypeE1EhLi16ELi64ELi256ELb1ELi6EL8MFMAType1EEvPKT_PKT0_S8_ifPKiSA_SA_iPKfiiiPfSD_PS3_PT2_iSC_SC_,comdat
.Lfunc_end775:
	.size	_Z39paged_attention_ll4mi_QKV_mfma16_kernelIDF16_hLN4vllm18Fp8KVCacheDataTypeE1EhLi16ELi64ELi256ELb1ELi6EL8MFMAType1EEvPKT_PKT0_S8_ifPKiSA_SA_iPKfiiiPfSD_PS3_PT2_iSC_SC_, .Lfunc_end775-_Z39paged_attention_ll4mi_QKV_mfma16_kernelIDF16_hLN4vllm18Fp8KVCacheDataTypeE1EhLi16ELi64ELi256ELb1ELi6EL8MFMAType1EEvPKT_PKT0_S8_ifPKiSA_SA_iPKfiiiPfSD_PS3_PT2_iSC_SC_
                                        ; -- End function
	.section	.AMDGPU.csdata,"",@progbits
; Kernel info:
; codeLenInByte = 6460
; NumSgprs: 38
; NumVgprs: 146
; ScratchSize: 0
; MemoryBound: 0
; FloatMode: 240
; IeeeMode: 1
; LDSByteSize: 17472 bytes/workgroup (compile time only)
; SGPRBlocks: 4
; VGPRBlocks: 18
; NumSGPRsForWavesPerEU: 38
; NumVGPRsForWavesPerEU: 146
; Occupancy: 9
; WaveLimiterHint : 1
; COMPUTE_PGM_RSRC2:SCRATCH_EN: 0
; COMPUTE_PGM_RSRC2:USER_SGPR: 13
; COMPUTE_PGM_RSRC2:TRAP_HANDLER: 0
; COMPUTE_PGM_RSRC2:TGID_X_EN: 1
; COMPUTE_PGM_RSRC2:TGID_Y_EN: 1
; COMPUTE_PGM_RSRC2:TGID_Z_EN: 1
; COMPUTE_PGM_RSRC2:TIDIG_COMP_CNT: 0
	.section	.text._Z39paged_attention_ll4mi_QKV_mfma16_kernelIDF16_hLN4vllm18Fp8KVCacheDataTypeE1EhLi16ELi64ELi256ELb1ELi7EL8MFMAType1EEvPKT_PKT0_S8_ifPKiSA_SA_iPKfiiiPfSD_PS3_PT2_iSC_SC_,"axG",@progbits,_Z39paged_attention_ll4mi_QKV_mfma16_kernelIDF16_hLN4vllm18Fp8KVCacheDataTypeE1EhLi16ELi64ELi256ELb1ELi7EL8MFMAType1EEvPKT_PKT0_S8_ifPKiSA_SA_iPKfiiiPfSD_PS3_PT2_iSC_SC_,comdat
	.protected	_Z39paged_attention_ll4mi_QKV_mfma16_kernelIDF16_hLN4vllm18Fp8KVCacheDataTypeE1EhLi16ELi64ELi256ELb1ELi7EL8MFMAType1EEvPKT_PKT0_S8_ifPKiSA_SA_iPKfiiiPfSD_PS3_PT2_iSC_SC_ ; -- Begin function _Z39paged_attention_ll4mi_QKV_mfma16_kernelIDF16_hLN4vllm18Fp8KVCacheDataTypeE1EhLi16ELi64ELi256ELb1ELi7EL8MFMAType1EEvPKT_PKT0_S8_ifPKiSA_SA_iPKfiiiPfSD_PS3_PT2_iSC_SC_
	.globl	_Z39paged_attention_ll4mi_QKV_mfma16_kernelIDF16_hLN4vllm18Fp8KVCacheDataTypeE1EhLi16ELi64ELi256ELb1ELi7EL8MFMAType1EEvPKT_PKT0_S8_ifPKiSA_SA_iPKfiiiPfSD_PS3_PT2_iSC_SC_
	.p2align	8
	.type	_Z39paged_attention_ll4mi_QKV_mfma16_kernelIDF16_hLN4vllm18Fp8KVCacheDataTypeE1EhLi16ELi64ELi256ELb1ELi7EL8MFMAType1EEvPKT_PKT0_S8_ifPKiSA_SA_iPKfiiiPfSD_PS3_PT2_iSC_SC_,@function
_Z39paged_attention_ll4mi_QKV_mfma16_kernelIDF16_hLN4vllm18Fp8KVCacheDataTypeE1EhLi16ELi64ELi256ELb1ELi7EL8MFMAType1EEvPKT_PKT0_S8_ifPKiSA_SA_iPKfiiiPfSD_PS3_PT2_iSC_SC_: ; @_Z39paged_attention_ll4mi_QKV_mfma16_kernelIDF16_hLN4vllm18Fp8KVCacheDataTypeE1EhLi16ELi64ELi256ELb1ELi7EL8MFMAType1EEvPKT_PKT0_S8_ifPKiSA_SA_iPKfiiiPfSD_PS3_PT2_iSC_SC_
; %bb.0:
	s_load_b64 s[2:3], s[0:1], 0x30
	s_mov_b32 s34, s13
	s_waitcnt lgkmcnt(0)
	s_cmp_lg_u64 s[2:3], 0
	s_cselect_b32 s6, -1, 0
	s_ashr_i32 s35, s13, 31
	s_cmp_eq_u64 s[2:3], 0
	s_cbranch_scc1 .LBB776_3
; %bb.1:
	s_lshl_b64 s[4:5], s[34:35], 2
	s_delay_alu instid0(SALU_CYCLE_1) | instskip(SKIP_4) | instid1(SALU_CYCLE_1)
	s_add_u32 s4, s2, s4
	s_addc_u32 s5, s3, s5
	s_load_b64 s[4:5], s[4:5], 0x0
	s_waitcnt lgkmcnt(0)
	s_sub_i32 s4, s5, s4
	s_cmp_eq_u32 s4, 1
	s_cselect_b32 s4, -1, 0
	s_delay_alu instid0(SALU_CYCLE_1)
	s_and_not1_b32 vcc_lo, exec_lo, s4
	s_cbranch_vccz .LBB776_4
.LBB776_2:
	s_nop 0
	s_sendmsg sendmsg(MSG_DEALLOC_VGPRS)
	s_endpgm
.LBB776_3:
.LBB776_4:
	s_load_b64 s[8:9], s[0:1], 0x28
	s_lshl_b64 s[4:5], s[34:35], 2
	s_waitcnt lgkmcnt(0)
	s_add_u32 s8, s8, s4
	s_addc_u32 s9, s9, s5
	s_lshl_b32 s16, s14, 8
	s_load_b32 s18, s[8:9], 0x0
	s_waitcnt lgkmcnt(0)
	s_cmp_ge_i32 s16, s18
	s_cbranch_scc1 .LBB776_2
; %bb.5:
	s_clause 0x1
	s_load_b128 s[8:11], s[0:1], 0x8
	s_load_b64 s[12:13], s[0:1], 0x20
	s_and_not1_b32 vcc_lo, exec_lo, s6
	s_cbranch_vccnz .LBB776_7
; %bb.6:
	s_add_u32 s2, s2, s4
	s_addc_u32 s3, s3, s5
	s_load_b32 s3, s[2:3], 0x0
	s_branch .LBB776_8
.LBB776_7:
	s_mov_b32 s3, s34
.LBB776_8:
	s_load_b128 s[4:7], s[0:1], 0x48
	v_lshrrev_b32_e32 v69, 5, v0
	v_bfe_u32 v66, v0, 4, 1
	v_and_b32_e32 v68, 15, v0
	v_and_b32_e32 v70, 31, v0
	;; [unrolled: 1-line block ×3, first 2 shown]
	s_mul_i32 s33, s15, 7
	v_lshl_or_b32 v1, v69, 1, v66
	v_lshlrev_b32_e32 v2, 3, v68
	v_cmp_gt_u32_e64 s2, 8, v68
	s_delay_alu instid0(VALU_DEP_3) | instskip(NEXT) | instid1(VALU_DEP_3)
	v_cmp_gt_u32_e32 vcc_lo, 7, v1
	v_lshlrev_b32_e32 v65, 1, v2
	s_delay_alu instid0(VALU_DEP_3)
	s_and_b32 s17, s2, vcc_lo
	s_waitcnt lgkmcnt(0)
	s_and_saveexec_b32 s7, s17
	s_cbranch_execz .LBB776_10
; %bb.9:
	s_load_b64 s[20:21], s[0:1], 0x0
	v_add_lshl_u32 v2, v1, s33, 6
	s_mul_hi_i32 s23, s3, s4
	s_mul_i32 s22, s3, s4
	v_lshlrev_b32_e32 v6, 10, v68
	s_lshl_b64 s[22:23], s[22:23], 1
	v_ashrrev_i32_e32 v3, 31, v2
	v_lshlrev_b32_e32 v1, 6, v1
	v_lshlrev_b32_e32 v7, 10, v67
	v_and_b32_e32 v6, 0x3800, v6
	s_delay_alu instid0(VALU_DEP_4) | instskip(NEXT) | instid1(VALU_DEP_2)
	v_lshlrev_b64 v[2:3], 1, v[2:3]
	v_or3_b32 v1, v6, v7, v1
	s_waitcnt lgkmcnt(0)
	s_add_u32 s3, s20, s22
	s_addc_u32 s4, s21, s23
	s_delay_alu instid0(VALU_DEP_2) | instskip(SKIP_1) | instid1(VALU_DEP_2)
	v_add_co_u32 v2, vcc_lo, s3, v2
	v_add_co_ci_u32_e32 v3, vcc_lo, s4, v3, vcc_lo
	v_add_co_u32 v2, vcc_lo, v2, v65
	s_delay_alu instid0(VALU_DEP_2)
	v_add_co_ci_u32_e32 v3, vcc_lo, 0, v3, vcc_lo
	global_load_b128 v[2:5], v[2:3], off
	s_waitcnt vmcnt(0)
	ds_store_b128 v1, v[2:5]
.LBB776_10:
	s_or_b32 exec_lo, exec_lo, s7
	v_and_b32_e32 v1, 0xef, v0
	s_add_i32 s3, s18, 15
	s_clause 0x1
	s_load_b32 s4, s[0:1], 0x38
	s_load_b32 s35, s[0:1], 0x98
	s_ashr_i32 s7, s3, 31
	v_add_nc_u32_e32 v1, s16, v1
	s_lshr_b32 s7, s7, 28
	s_load_b32 s19, s[0:1], 0x1c
	s_add_i32 s3, s3, s7
	s_waitcnt lgkmcnt(0)
	v_ashrrev_i32_e32 v2, 31, v1
	v_or_b32_e32 v3, 16, v1
	s_ashr_i32 s3, s3, 4
	v_cmp_gt_i32_e32 vcc_lo, s18, v1
	s_add_i32 s3, s3, -1
	v_lshrrev_b32_e32 v2, 28, v2
	s_barrier
	buffer_gl0_inv
	s_mul_i32 s15, s15, s6
	v_mul_lo_u16 v103, v68, 37
	v_add_nc_u32_e32 v4, v1, v2
	v_mbcnt_lo_u32_b32 v127, -1, 0
	s_mul_i32 s20, s34, s4
	s_delay_alu instid0(SALU_CYCLE_1) | instskip(NEXT) | instid1(VALU_DEP_2)
	s_ashr_i32 s21, s20, 31
	v_ashrrev_i32_e32 v4, 4, v4
	v_add_nc_u32_e32 v2, v3, v2
	s_lshl_b64 s[20:21], s[20:21], 2
	v_lshrrev_b16 v103, 8, v103
	s_add_u32 s17, s12, s20
	v_cndmask_b32_e32 v1, s3, v4, vcc_lo
	v_ashrrev_i32_e32 v2, 4, v2
	v_cmp_gt_i32_e32 vcc_lo, s18, v3
	s_addc_u32 s13, s13, s21
	s_ashr_i32 s20, s15, 31
	s_add_u32 s4, s8, s15
	s_addc_u32 s12, s9, s20
	v_cndmask_b32_e32 v3, s3, v2, vcc_lo
	v_ashrrev_i32_e32 v2, 31, v1
	s_lshl_b32 s6, s14, 4
	v_mul_lo_u16 v103, v103, 7
	s_ashr_i32 s7, s6, 31
	v_ashrrev_i32_e32 v4, 31, v3
	v_lshlrev_b64 v[1:2], 2, v[1:2]
	s_lshl_b64 s[6:7], s[6:7], 2
	v_sub_nc_u16 v103, v68, v103
	s_add_u32 s6, s17, s6
	v_lshlrev_b64 v[3:4], 2, v[3:4]
	s_addc_u32 s7, s13, s7
	v_add_co_u32 v1, vcc_lo, s17, v1
	v_add_co_ci_u32_e32 v2, vcc_lo, s13, v2, vcc_lo
	s_delay_alu instid0(VALU_DEP_3) | instskip(NEXT) | instid1(VALU_DEP_4)
	v_add_co_u32 v3, vcc_lo, s17, v3
	v_add_co_ci_u32_e32 v4, vcc_lo, s13, v4, vcc_lo
	s_clause 0x1
	global_load_b32 v5, v[1:2], off
	global_load_b32 v7, v[3:4], off
	s_or_b32 s8, s16, 32
	v_lshlrev_b32_e32 v1, 4, v0
	s_ashr_i32 s9, s8, 4
	s_cmp_lt_i32 s8, s18
	v_xor_b32_e32 v128, 16, v127
	s_cselect_b32 s8, s9, s3
	v_and_b32_e32 v1, 0xf0, v1
	s_ashr_i32 s9, s8, 31
	s_delay_alu instid0(SALU_CYCLE_1)
	s_lshl_b64 s[8:9], s[8:9], 2
	v_cmp_gt_i32_e32 vcc_lo, 32, v128
	s_add_u32 s8, s17, s8
	s_addc_u32 s9, s13, s9
	s_or_b32 s21, s16, 64
	v_add_co_u32 v1, s4, s4, v1
	s_ashr_i32 s22, s21, 4
	s_cmp_lt_i32 s21, s18
	v_add_co_ci_u32_e64 v2, null, s12, 0, s4
	s_cselect_b32 s22, s22, s3
	v_dual_cndmask_b32 v136, v127, v128 :: v_dual_and_b32 v103, 0xff, v103
	s_ashr_i32 s23, s22, 31
	s_delay_alu instid0(SALU_CYCLE_1) | instskip(NEXT) | instid1(VALU_DEP_1)
	s_lshl_b64 s[22:23], s[22:23], 2
	v_lshlrev_b32_e32 v115, 6, v103
	s_add_u32 s22, s17, s22
	s_addc_u32 s23, s13, s23
	s_or_b32 s21, s16, 0x60
	s_delay_alu instid0(SALU_CYCLE_1) | instskip(SKIP_2) | instid1(SALU_CYCLE_1)
	s_ashr_i32 s24, s21, 4
	s_cmp_lt_i32 s21, s18
	s_cselect_b32 s24, s24, s3
	s_ashr_i32 s25, s24, 31
	s_delay_alu instid0(SALU_CYCLE_1) | instskip(NEXT) | instid1(SALU_CYCLE_1)
	s_lshl_b64 s[24:25], s[24:25], 2
	s_add_u32 s24, s17, s24
	s_addc_u32 s25, s13, s25
	s_or_b32 s21, s16, 0x80
	s_delay_alu instid0(SALU_CYCLE_1) | instskip(SKIP_2) | instid1(SALU_CYCLE_1)
	s_ashr_i32 s26, s21, 4
	s_cmp_lt_i32 s21, s18
	s_cselect_b32 s26, s26, s3
	s_ashr_i32 s27, s26, 31
	s_delay_alu instid0(SALU_CYCLE_1) | instskip(NEXT) | instid1(SALU_CYCLE_1)
	s_lshl_b64 s[26:27], s[26:27], 2
	;; [unrolled: 10-line block ×3, first 2 shown]
	s_add_u32 s28, s17, s28
	s_addc_u32 s29, s13, s29
	s_clause 0x5
	s_load_b32 s12, s[6:7], 0x0
	s_load_b32 s4, s[8:9], 0x0
	;; [unrolled: 1-line block ×6, first 2 shown]
	s_or_b32 s21, s16, 0xc0
	s_delay_alu instid0(SALU_CYCLE_1) | instskip(SKIP_2) | instid1(SALU_CYCLE_1)
	s_ashr_i32 s22, s21, 4
	s_cmp_lt_i32 s21, s18
	s_cselect_b32 s22, s22, s3
	s_ashr_i32 s23, s22, 31
	s_delay_alu instid0(SALU_CYCLE_1) | instskip(NEXT) | instid1(SALU_CYCLE_1)
	s_lshl_b64 s[22:23], s[22:23], 2
	s_add_u32 s22, s17, s22
	s_addc_u32 s23, s13, s23
	s_or_b32 s21, s16, 0xe0
	s_delay_alu instid0(SALU_CYCLE_1) | instskip(SKIP_2) | instid1(SALU_CYCLE_1)
	s_ashr_i32 s24, s21, 4
	s_cmp_lt_i32 s21, s18
	s_cselect_b32 s24, s24, s3
	s_ashr_i32 s25, s24, 31
	s_delay_alu instid0(SALU_CYCLE_1)
	s_lshl_b64 s[24:25], s[24:25], 2
	s_waitcnt vmcnt(1)
	v_mad_i64_i32 v[3:4], null, v5, s5, v[1:2]
	s_waitcnt vmcnt(0)
	v_mad_i64_i32 v[5:6], null, v7, s5, v[1:2]
	v_lshlrev_b32_e32 v1, 4, v68
	s_clause 0x7
	global_load_b128 v[71:74], v[3:4], off
	global_load_b128 v[75:78], v[3:4], off offset:256
	global_load_b128 v[79:82], v[5:6], off
	global_load_b128 v[83:86], v[5:6], off offset:256
	global_load_b128 v[87:90], v[3:4], off offset:512
	;; [unrolled: 1-line block ×5, first 2 shown]
	v_lshl_or_b32 v1, v69, 8, v1
	s_load_b32 s3, s[22:23], 0x0
	s_add_u32 s22, s17, s24
	s_addc_u32 s23, s13, s25
	s_add_u32 s10, s10, s15
	s_addc_u32 s11, s11, s20
	v_add_co_u32 v1, s10, s10, v1
	s_delay_alu instid0(VALU_DEP_1) | instskip(SKIP_2) | instid1(VALU_DEP_1)
	v_add_co_ci_u32_e64 v2, null, s11, 0, s10
	s_load_b32 s10, s[22:23], 0x0
	s_waitcnt lgkmcnt(0)
	v_mad_i64_i32 v[3:4], null, s12, s5, v[1:2]
	v_mad_i64_i32 v[9:10], null, s7, s5, v[1:2]
	;; [unrolled: 1-line block ×7, first 2 shown]
	s_clause 0x5
	global_load_b128 v[49:52], v[3:4], off
	global_load_b128 v[53:56], v[3:4], off offset:16
	global_load_b128 v[41:44], v[5:6], off
	global_load_b128 v[45:48], v[5:6], off offset:16
	;; [unrolled: 2-line block ×3, first 2 shown]
	s_mov_b32 s4, 0
	v_mad_i64_i32 v[61:62], null, s10, s5, v[1:2]
	s_clause 0x9
	global_load_b128 v[1:4], v[9:10], off
	global_load_b128 v[5:8], v[9:10], off offset:16
	global_load_b128 v[9:12], v[13:14], off
	global_load_b128 v[13:16], v[13:14], off offset:16
	;; [unrolled: 2-line block ×5, first 2 shown]
	s_mov_b32 s5, s4
	s_mov_b32 s6, s4
	s_mov_b32 s7, s4
	s_mov_b32 s8, s4
	s_mov_b32 s9, s4
	s_mov_b32 s10, s4
	s_mov_b32 s11, s4
	v_and_b32_e32 v104, 0xe0, v0
	v_dual_mov_b32 v126, s11 :: v_dual_mov_b32 v123, s8
	v_dual_mov_b32 v125, s10 :: v_dual_mov_b32 v124, s9
	s_delay_alu instid0(VALU_DEP_3)
	v_add_nc_u32_e32 v111, s16, v104
	ds_load_b128 v[103:106], v115
	ds_load_b128 v[107:110], v115 offset:1024
	v_dual_mov_b32 v122, s7 :: v_dual_mov_b32 v121, s6
	v_mov_b32_e32 v120, s5
	v_or_b32_e32 v135, v111, v66
	ds_load_b128 v[111:114], v115 offset:2048
	ds_load_b128 v[115:118], v115 offset:3072
	v_mov_b32_e32 v119, s4
	s_waitcnt vmcnt(0) lgkmcnt(0)
	s_barrier
	v_or_b32_e32 v137, 2, v135
	v_or_b32_e32 v138, 4, v135
	v_or_b32_e32 v139, 6, v135
	v_cmp_gt_i32_e32 vcc_lo, s18, v135
	v_or_b32_e32 v140, 8, v135
	v_cmp_gt_i32_e64 s3, s18, v137
	v_or_b32_e32 v141, 10, v135
	v_cmp_gt_i32_e64 s4, s18, v138
	v_cmp_gt_i32_e64 s5, s18, v139
	v_or_b32_e32 v142, 12, v135
	v_or_b32_e32 v143, 14, v135
	v_cmp_gt_i32_e64 s6, s18, v140
	v_cmp_gt_i32_e64 s7, s18, v141
	v_or_b32_e32 v144, 16, v135
	v_or_b32_e32 v145, 18, v135
	v_cmp_gt_i32_e64 s8, s18, v142
	v_cmp_gt_i32_e64 s9, s18, v143
	buffer_gl0_inv
	v_cmp_gt_i32_e64 s10, s18, v144
	v_cmp_gt_i32_e64 s11, s18, v145
	v_wmma_f32_16x16x16_f16 v[127:134], v[71:78], v[103:110], v[119:126]
	v_wmma_f32_16x16x16_f16 v[119:126], v[79:86], v[103:110], v[119:126]
	v_or_b32_e32 v71, 20, v135
	v_or_b32_e32 v72, 22, v135
	s_delay_alu instid0(VALU_DEP_4)
	v_wmma_f32_16x16x16_f16 v[127:134], v[87:94], v[111:118], v[127:134]
	v_or_b32_e32 v73, 24, v135
	v_wmma_f32_16x16x16_f16 v[119:126], v[95:102], v[111:118], v[119:126]
	v_or_b32_e32 v74, 26, v135
	v_cmp_gt_i32_e64 s12, s18, v71
	v_dual_mul_f32 v83, s19, v128 :: v_dual_mul_f32 v84, s19, v127
	s_delay_alu instid0(VALU_DEP_4) | instskip(SKIP_1) | instid1(VALU_DEP_3)
	v_dual_mul_f32 v81, s19, v130 :: v_dual_mul_f32 v92, s19, v119
	v_mul_f32_e32 v82, s19, v129
	v_cndmask_b32_e64 v83, 0xff7fffff, v83, s3
	s_delay_alu instid0(VALU_DEP_4)
	v_cndmask_b32_e32 v84, 0xff7fffff, v84, vcc_lo
	v_dual_mul_f32 v79, s19, v132 :: v_dual_mul_f32 v90, s19, v121
	v_mul_f32_e32 v80, s19, v131
	v_cndmask_b32_e64 v82, 0xff7fffff, v82, s4
	v_cndmask_b32_e64 v81, 0xff7fffff, v81, s5
	v_max3_f32 v83, v84, 0xff7fffff, v83
	v_dual_mul_f32 v77, s19, v134 :: v_dual_mul_f32 v88, s19, v123
	v_mul_f32_e32 v78, s19, v133
	v_cndmask_b32_e64 v80, 0xff7fffff, v80, s6
	v_cndmask_b32_e64 v79, 0xff7fffff, v79, s7
	v_max3_f32 v81, v83, v82, v81
	v_mul_f32_e32 v91, s19, v120
	v_cndmask_b32_e64 v78, 0xff7fffff, v78, s8
	v_cndmask_b32_e64 v77, 0xff7fffff, v77, s9
	v_mul_f32_e32 v89, s19, v122
	v_max3_f32 v79, v81, v80, v79
	v_cndmask_b32_e64 v80, 0xff7fffff, v92, s10
	v_cndmask_b32_e64 v81, 0xff7fffff, v91, s11
	v_cmp_gt_i32_e64 s13, s18, v72
	v_or_b32_e32 v75, 28, v135
	v_max3_f32 v77, v79, v78, v77
	v_or_b32_e32 v76, 30, v135
	v_mul_f32_e32 v87, s19, v124
	v_cndmask_b32_e64 v71, 0xff7fffff, v90, s12
	v_cndmask_b32_e64 v72, 0xff7fffff, v89, s13
	v_max3_f32 v77, v77, v80, v81
	v_cmp_gt_i32_e64 s15, s18, v73
	v_cmp_gt_i32_e64 s16, s18, v74
	v_dual_mul_f32 v85, s19, v126 :: v_dual_mul_f32 v86, s19, v125
	s_delay_alu instid0(VALU_DEP_4) | instskip(NEXT) | instid1(VALU_DEP_4)
	v_max3_f32 v71, v77, v71, v72
	v_cndmask_b32_e64 v73, 0xff7fffff, v88, s15
	s_delay_alu instid0(VALU_DEP_4) | instskip(SKIP_2) | instid1(VALU_DEP_3)
	v_cndmask_b32_e64 v74, 0xff7fffff, v87, s16
	v_cmp_gt_i32_e64 s17, s18, v75
	v_cmp_gt_i32_e64 s18, s18, v76
	v_max3_f32 v71, v71, v73, v74
	s_delay_alu instid0(VALU_DEP_3) | instskip(NEXT) | instid1(VALU_DEP_3)
	v_cndmask_b32_e64 v72, 0xff7fffff, v86, s17
	v_cndmask_b32_e64 v75, 0xff7fffff, v85, s18
	v_lshlrev_b32_e32 v73, 2, v136
	s_delay_alu instid0(VALU_DEP_2) | instskip(SKIP_3) | instid1(VALU_DEP_1)
	v_max3_f32 v71, v71, v72, v75
	ds_bpermute_b32 v72, v73, v71
	s_waitcnt lgkmcnt(0)
	v_max_f32_e32 v72, v72, v72
	v_max_f32_e32 v71, v71, v72
	s_delay_alu instid0(VALU_DEP_1)
	v_fma_f32 v72, s19, v127, -v71
	v_fma_f32 v74, s19, v128, -v71
	;; [unrolled: 1-line block ×5, first 2 shown]
	v_mul_f32_e32 v72, 0x3fb8aa3b, v72
	v_mul_f32_e32 v74, 0x3fb8aa3b, v74
	v_fma_f32 v80, s19, v133, -v71
	s_delay_alu instid0(VALU_DEP_4) | instskip(NEXT) | instid1(VALU_DEP_4)
	v_dual_mul_f32 v76, 0x3fb8aa3b, v76 :: v_dual_mul_f32 v77, 0x3fb8aa3b, v77
	v_exp_f32_e32 v72, v72
	s_delay_alu instid0(VALU_DEP_3) | instskip(NEXT) | instid1(VALU_DEP_2)
	v_exp_f32_e32 v74, v74
	v_mul_f32_e32 v82, 0x3fb8aa3b, v80
	s_delay_alu instid0(VALU_DEP_2) | instskip(SKIP_1) | instid1(VALU_DEP_1)
	v_exp_f32_e32 v76, v76
	v_exp_f32_e32 v77, v77
	v_exp_f32_e32 v84, v82
	v_cndmask_b32_e32 v79, 0, v72, vcc_lo
	v_fma_f32 v72, s19, v132, -v71
	v_mul_f32_e32 v75, 0x3fb8aa3b, v75
	v_cndmask_b32_e64 v78, 0, v74, s3
	s_delay_alu instid0(TRANS32_DEP_3)
	v_cndmask_b32_e64 v80, 0, v76, s5
	v_add_f32_e32 v74, 0, v79
	v_mul_f32_e32 v72, 0x3fb8aa3b, v72
	v_exp_f32_e32 v75, v75
	v_cndmask_b32_e64 v83, 0, v77, s6
	v_cndmask_b32_e64 v85, 0, v84, s8
	v_add_f32_e32 v74, v74, v78
	v_exp_f32_e32 v72, v72
	v_cmp_gt_u32_e64 s3, 16, v70
	s_waitcnt_depctr 0xfff
	v_cndmask_b32_e64 v81, 0, v75, s4
	v_cndmask_b32_e64 v82, 0, v72, s7
	s_delay_alu instid0(VALU_DEP_2) | instskip(NEXT) | instid1(VALU_DEP_1)
	v_add_f32_e32 v74, v74, v81
	v_add_f32_e32 v74, v74, v80
	s_delay_alu instid0(VALU_DEP_1) | instskip(SKIP_4) | instid1(VALU_DEP_4)
	v_add_f32_e32 v72, v74, v83
	v_fma_f32 v75, s19, v134, -v71
	v_fma_f32 v76, s19, v119, -v71
	;; [unrolled: 1-line block ×4, first 2 shown]
	v_dual_add_f32 v72, v72, v82 :: v_dual_mul_f32 v75, 0x3fb8aa3b, v75
	s_delay_alu instid0(VALU_DEP_3) | instskip(SKIP_1) | instid1(VALU_DEP_3)
	v_dual_mul_f32 v76, 0x3fb8aa3b, v76 :: v_dual_mul_f32 v77, 0x3fb8aa3b, v77
	v_fma_f32 v86, s19, v122, -v71
	v_add_f32_e32 v72, v72, v85
	s_delay_alu instid0(VALU_DEP_4) | instskip(NEXT) | instid1(VALU_DEP_3)
	v_exp_f32_e32 v75, v75
	v_exp_f32_e32 v76, v76
	;; [unrolled: 1-line block ×3, first 2 shown]
	v_mul_f32_e32 v86, 0x3fb8aa3b, v86
	s_delay_alu instid0(VALU_DEP_1) | instskip(SKIP_3) | instid1(TRANS32_DEP_3)
	v_exp_f32_e32 v88, v86
	v_cndmask_b32_e64 v84, 0, v75, s9
	v_fma_f32 v75, s19, v123, -v71
	v_mul_f32_e32 v74, 0x3fb8aa3b, v74
	v_cndmask_b32_e64 v87, 0, v76, s10
	v_fma_f32 v76, s19, v124, -v71
	s_delay_alu instid0(VALU_DEP_4) | instskip(NEXT) | instid1(VALU_DEP_4)
	v_dual_add_f32 v72, v72, v84 :: v_dual_mul_f32 v75, 0x3fb8aa3b, v75
	v_exp_f32_e32 v74, v74
	v_cndmask_b32_e64 v86, 0, v77, s11
	v_fma_f32 v77, s19, v125, -v71
	s_delay_alu instid0(VALU_DEP_3) | instskip(SKIP_3) | instid1(VALU_DEP_3)
	v_add_f32_e32 v72, v72, v87
	v_mul_f32_e32 v76, 0x3fb8aa3b, v76
	v_exp_f32_e32 v75, v75
	v_cndmask_b32_e64 v88, 0, v88, s13
	v_add_f32_e32 v72, v72, v86
	s_delay_alu instid0(VALU_DEP_3) | instskip(NEXT) | instid1(TRANS32_DEP_3)
	v_exp_f32_e32 v76, v76
	v_cndmask_b32_e64 v89, 0, v74, s12
	v_mul_f32_e32 v74, 0x3fb8aa3b, v77
	v_fma_f32 v77, s19, v126, -v71
	s_delay_alu instid0(VALU_DEP_3) | instskip(NEXT) | instid1(VALU_DEP_3)
	v_add_f32_e32 v72, v72, v89
	v_exp_f32_e32 v74, v74
	s_delay_alu instid0(TRANS32_DEP_3) | instskip(NEXT) | instid1(VALU_DEP_3)
	v_cndmask_b32_e64 v91, 0, v75, s15
	v_mul_f32_e32 v75, 0x3fb8aa3b, v77
	s_delay_alu instid0(TRANS32_DEP_2) | instskip(SKIP_1) | instid1(VALU_DEP_3)
	v_cndmask_b32_e64 v90, 0, v76, s16
	v_add_f32_e32 v72, v72, v88
	v_exp_f32_e32 v75, v75
	s_delay_alu instid0(VALU_DEP_1) | instskip(NEXT) | instid1(TRANS32_DEP_2)
	v_add_f32_e32 v72, v72, v91
	v_cndmask_b32_e64 v93, 0, v74, s17
	s_delay_alu instid0(VALU_DEP_2) | instskip(SKIP_3) | instid1(VALU_DEP_1)
	v_add_f32_e32 v72, v72, v90
	s_waitcnt_depctr 0xfff
	v_cndmask_b32_e64 v92, 0, v75, s18
	v_add_f32_e32 v72, v72, v93
	v_add_f32_e32 v72, v72, v92
	ds_bpermute_b32 v73, v73, v72
	s_and_saveexec_b32 s4, s3
	s_cbranch_execz .LBB776_12
; %bb.11:
	v_mul_u32_u24_e32 v70, 0x44, v69
	s_waitcnt lgkmcnt(0)
	v_add_f32_e32 v72, v72, v73
	s_delay_alu instid0(VALU_DEP_2) | instskip(NEXT) | instid1(VALU_DEP_1)
	v_lshl_add_u32 v70, v68, 2, v70
	v_add_nc_u32_e32 v70, 0x4000, v70
	ds_store_2addr_b32 v70, v71, v72 offset1:136
.LBB776_12:
	s_or_b32 exec_lo, exec_lo, s4
	v_lshlrev_b32_e32 v70, 2, v68
	s_load_b32 s36, s[0:1], 0x94
	s_waitcnt lgkmcnt(0)
	s_barrier
	buffer_gl0_inv
	v_add_nc_u32_e32 v98, 0x4000, v70
	v_cmp_eq_u32_e32 vcc_lo, 1, v69
	v_cmp_eq_u32_e64 s4, 2, v69
	v_cmp_eq_u32_e64 s5, 3, v69
	;; [unrolled: 1-line block ×3, first 2 shown]
	ds_load_2addr_b32 v[70:71], v98 offset1:17
	ds_load_2addr_b32 v[72:73], v98 offset0:34 offset1:51
	ds_load_2addr_b32 v[74:75], v98 offset0:68 offset1:85
	;; [unrolled: 1-line block ×3, first 2 shown]
	v_cmp_eq_u32_e64 s7, 5, v69
	v_cmp_eq_u32_e64 s8, 7, v69
	s_waitcnt lgkmcnt(3)
	v_max3_f32 v76, v70, 0xff7fffff, v71
	s_waitcnt lgkmcnt(2)
	s_delay_alu instid0(VALU_DEP_1) | instskip(SKIP_1) | instid1(VALU_DEP_1)
	v_max3_f32 v76, v76, v72, v73
	s_waitcnt lgkmcnt(1)
	v_max3_f32 v76, v76, v74, v75
	s_waitcnt lgkmcnt(0)
	s_delay_alu instid0(VALU_DEP_1) | instskip(NEXT) | instid1(VALU_DEP_1)
	v_max3_f32 v76, v76, v94, v95
	v_sub_f32_e32 v77, v71, v76
	ds_load_2addr_b32 v[96:97], v98 offset0:136 offset1:153
	v_sub_f32_e32 v74, v74, v76
	v_sub_f32_e32 v70, v70, v76
	;; [unrolled: 1-line block ×3, first 2 shown]
	v_dual_sub_f32 v72, v72, v76 :: v_dual_mul_f32 v77, 0x3fb8aa3b, v77
	s_delay_alu instid0(VALU_DEP_4) | instskip(NEXT) | instid1(VALU_DEP_4)
	v_mul_f32_e32 v103, 0x3fb8aa3b, v74
	v_mul_f32_e32 v99, 0x3fb8aa3b, v70
	ds_load_2addr_b32 v[70:71], v98 offset0:170 offset1:187
	v_dual_mul_f32 v101, 0x3fb8aa3b, v72 :: v_dual_mul_f32 v94, 0x3fb8aa3b, v94
	v_exp_f32_e32 v102, v77
	v_exp_f32_e32 v99, v99
	s_delay_alu instid0(VALU_DEP_1) | instskip(NEXT) | instid1(VALU_DEP_1)
	v_exp_f32_e32 v101, v101
	v_exp_f32_e32 v94, v94
	s_waitcnt lgkmcnt(1)
	s_delay_alu instid0(TRANS32_DEP_3)
	v_fma_f32 v77, v99, v96, 0
	v_sub_f32_e32 v100, v73, v76
	ds_load_2addr_b32 v[72:73], v98 offset0:204 offset1:221
	v_fmac_f32_e32 v77, v102, v97
	v_exp_f32_e32 v97, v103
	s_waitcnt lgkmcnt(1)
	s_delay_alu instid0(VALU_DEP_1)
	v_dual_fmac_f32 v77, v101, v70 :: v_dual_sub_f32 v96, v75, v76
	ds_load_2addr_b32 v[74:75], v98 offset0:238 offset1:255
	v_sub_f32_e32 v70, v95, v76
	s_waitcnt lgkmcnt(0)
	s_barrier
	v_mul_f32_e32 v96, 0x3fb8aa3b, v96
	buffer_gl0_inv
	v_exp_f32_e32 v95, v96
	v_mul_f32_e32 v100, 0x3fb8aa3b, v100
	s_delay_alu instid0(VALU_DEP_1) | instskip(SKIP_3) | instid1(VALU_DEP_2)
	v_exp_f32_e32 v100, v100
	s_waitcnt_depctr 0xfff
	v_dual_fmac_f32 v77, v100, v71 :: v_dual_mul_f32 v70, 0x3fb8aa3b, v70
	v_cndmask_b32_e32 v71, v99, v102, vcc_lo
	v_fmac_f32_e32 v77, v97, v72
	s_delay_alu instid0(VALU_DEP_3) | instskip(NEXT) | instid1(VALU_DEP_1)
	v_exp_f32_e32 v96, v70
	v_fmac_f32_e32 v77, v95, v73
	s_delay_alu instid0(VALU_DEP_1) | instskip(SKIP_2) | instid1(VALU_DEP_1)
	v_fmac_f32_e32 v77, v94, v74
	s_waitcnt_depctr 0xfff
	v_fmac_f32_e32 v77, v96, v75
	v_add_f32_e32 v74, 0x358637bd, v77
	s_delay_alu instid0(VALU_DEP_1) | instskip(SKIP_1) | instid1(VALU_DEP_2)
	v_div_scale_f32 v98, null, v74, v74, 1.0
	v_div_scale_f32 v99, vcc_lo, 1.0, v74, 1.0
	v_rcp_f32_e32 v103, v98
	s_waitcnt_depctr 0xfff
	v_fma_f32 v70, -v98, v103, 1.0
	s_delay_alu instid0(VALU_DEP_1) | instskip(SKIP_2) | instid1(VALU_DEP_2)
	v_fmac_f32_e32 v103, v70, v103
	v_cndmask_b32_e64 v70, v71, v101, s4
	v_cmp_eq_u32_e64 s4, 6, v69
	v_cndmask_b32_e64 v71, v70, v100, s5
	s_delay_alu instid0(VALU_DEP_4) | instskip(NEXT) | instid1(VALU_DEP_2)
	v_dual_mul_f32 v101, v99, v103 :: v_dual_lshlrev_b32 v70, 2, v66
	v_cndmask_b32_e64 v71, v71, v97, s6
	s_delay_alu instid0(VALU_DEP_2) | instskip(NEXT) | instid1(VALU_DEP_3)
	v_or_b32_e32 v72, 1, v70
	v_fma_f32 v100, -v98, v101, v99
	v_cmp_eq_u32_e64 s5, 1, v70
	v_cmp_eq_u32_e64 s6, 2, v70
	v_cndmask_b32_e64 v95, v71, v95, s7
	v_or_b32_e32 v71, 3, v70
	v_fmac_f32_e32 v101, v100, v103
	v_cmp_eq_u32_e64 s10, 1, v72
	v_cmp_eq_u32_e64 s13, 2, v72
	v_cndmask_b32_e64 v94, v95, v94, s4
	v_cmp_eq_u32_e64 s12, 1, v71
	v_fma_f32 v97, -v98, v101, v99
	v_cmp_eq_u32_e64 s17, 2, v71
	v_cmp_eq_u32_e64 s15, 3, v72
	v_cndmask_b32_e64 v94, v94, v96, s8
	v_cmp_eq_u32_e64 s19, 3, v71
	v_div_fmas_f32 v95, v97, v103, v101
	v_cmp_eq_u32_e32 vcc_lo, 3, v70
	v_cmp_eq_u32_e64 s4, 4, v70
	v_cmp_eq_u32_e64 s20, 4, v72
	;; [unrolled: 1-line block ×3, first 2 shown]
	v_div_fixup_f32 v95, v95, v74, 1.0
	v_lshlrev_b32_e32 v73, 6, v68
	v_cmp_eq_u32_e64 s7, 5, v70
	v_cmp_eq_u32_e64 s21, 5, v72
	;; [unrolled: 1-line block ×3, first 2 shown]
	v_mul_f32_e32 v102, v94, v95
	v_lshl_or_b32 v75, v69, 11, v73
	v_or_b32_e32 v69, 2, v70
	v_cmp_eq_u32_e64 s26, 6, v72
	v_cmp_eq_u32_e64 s28, 6, v71
	v_fma_mixlo_f16 v94, v102, v79, 0
	v_fma_mixlo_f16 v95, v102, v81, 0
	;; [unrolled: 1-line block ×8, first 2 shown]
	v_lshl_or_b32 v74, v66, 4, v75
	v_fma_mixhi_f16 v94, v102, v78, 0
	v_fma_mixhi_f16 v95, v102, v80, 0
	;; [unrolled: 1-line block ×8, first 2 shown]
	ds_store_b128 v74, v[94:97]
	ds_store_b128 v74, v[98:101] offset:1024
	s_waitcnt lgkmcnt(0)
	s_barrier
	buffer_gl0_inv
	ds_load_b128 v[78:81], v75
	ds_load_b128 v[82:85], v75 offset:16
	ds_load_b128 v[86:89], v75 offset:1024
	;; [unrolled: 1-line block ×3, first 2 shown]
	v_cmp_eq_u32_e64 s11, 1, v69
	v_cmp_eq_u32_e64 s16, 2, v69
	;; [unrolled: 1-line block ×11, first 2 shown]
	s_waitcnt lgkmcnt(3)
	v_lshrrev_b32_e32 v94, 16, v78
	s_waitcnt lgkmcnt(2)
	v_lshrrev_b32_e32 v98, 16, v82
	;; [unrolled: 2-line block ×4, first 2 shown]
	v_lshrrev_b32_e32 v95, 16, v79
	v_cndmask_b32_e64 v110, v78, v94, s5
	v_cndmask_b32_e64 v111, v82, v98, s5
	;; [unrolled: 1-line block ×8, first 2 shown]
	v_lshrrev_b32_e32 v99, 16, v83
	v_cndmask_b32_e64 v94, v86, v102, s5
	v_cndmask_b32_e64 v98, v90, v106, s5
	v_cndmask_b32_e64 v116, v86, v102, s10
	v_cndmask_b32_e64 v117, v90, v106, s10
	v_cndmask_b32_e64 v118, v86, v102, s11
	v_cndmask_b32_e64 v119, v90, v106, s11
	v_cndmask_b32_e64 v86, v86, v102, s12
	v_cndmask_b32_e64 v90, v90, v106, s12
	v_cndmask_b32_e64 v102, v110, v79, s6
	v_cndmask_b32_e64 v106, v111, v83, s6
	v_cndmask_b32_e64 v110, v112, v79, s13
	v_cndmask_b32_e64 v111, v113, v83, s13
	v_cndmask_b32_e64 v112, v114, v79, s16
	v_cndmask_b32_e64 v78, v78, v79, s17
	v_cndmask_b32_e64 v79, v82, v83, s17
	v_lshrrev_b32_e32 v103, 16, v87
	v_lshrrev_b32_e32 v107, 16, v91
	v_cndmask_b32_e64 v113, v115, v83, s16
	v_cndmask_b32_e64 v82, v94, v87, s6
	;; [unrolled: 1-line block ×7, first 2 shown]
	v_cndmask_b32_e32 v90, v102, v95, vcc_lo
	v_cndmask_b32_e32 v102, v106, v99, vcc_lo
	v_cndmask_b32_e64 v106, v110, v95, s15
	v_cndmask_b32_e64 v110, v111, v99, s15
	;; [unrolled: 1-line block ×4, first 2 shown]
	v_lshrrev_b32_e32 v96, 16, v80
	v_lshrrev_b32_e32 v100, 16, v84
	v_cndmask_b32_e64 v111, v112, v95, s18
	v_cndmask_b32_e64 v112, v113, v99, s18
	v_cndmask_b32_e32 v82, v82, v103, vcc_lo
	v_cndmask_b32_e32 v83, v83, v107, vcc_lo
	v_cndmask_b32_e64 v94, v94, v103, s15
	v_cndmask_b32_e64 v90, v90, v80, s4
	;; [unrolled: 1-line block ×7, first 2 shown]
	v_lshrrev_b32_e32 v104, 16, v88
	v_cndmask_b32_e64 v106, v111, v80, s22
	v_cndmask_b32_e64 v110, v112, v84, s22
	;; [unrolled: 1-line block ×11, first 2 shown]
	v_lshrrev_b32_e32 v97, 16, v81
	v_lshrrev_b32_e32 v101, 16, v85
	v_cndmask_b32_e64 v99, v106, v96, s24
	v_cndmask_b32_e64 v102, v110, v100, s24
	;; [unrolled: 1-line block ×7, first 2 shown]
	v_lshrrev_b32_e32 v105, 16, v89
	v_cndmask_b32_e64 v80, v80, v104, s7
	v_cndmask_b32_e64 v84, v84, v81, s8
	;; [unrolled: 1-line block ×16, first 2 shown]
	v_perm_b32 v81, v79, v78, 0x5040100
	v_perm_b32 v79, v95, v85, 0x5040100
	v_cndmask_b32_e64 v78, v119, v91, s16
	v_cndmask_b32_e64 v85, v117, v91, s13
	;; [unrolled: 1-line block ×3, first 2 shown]
	v_perm_b32 v80, v94, v90, 0x5040100
	v_cndmask_b32_e64 v90, v98, v103, s18
	v_cndmask_b32_e64 v86, v86, v103, s19
	;; [unrolled: 1-line block ×5, first 2 shown]
	v_lshrrev_b32_e32 v108, 16, v92
	v_cndmask_b32_e64 v90, v90, v88, s22
	v_cndmask_b32_e64 v86, v86, v88, s23
	;; [unrolled: 1-line block ×11, first 2 shown]
	v_lshrrev_b32_e32 v109, 16, v93
	v_cndmask_b32_e64 v82, v82, v93, s8
	v_cndmask_b32_e64 v88, v88, v89, s27
	;; [unrolled: 1-line block ×12, first 2 shown]
	v_perm_b32 v78, v84, v83, 0x5040100
	v_perm_b32 v85, v87, v86, 0x5040100
	;; [unrolled: 1-line block ×5, first 2 shown]
	s_mul_i32 s9, s35, 7
	s_mov_b32 s4, exec_lo
	ds_store_b128 v74, v[78:81]
	ds_store_b128 v74, v[82:85] offset:1024
	v_cmpx_gt_u32_e32 7, v0
	s_cbranch_execz .LBB776_14
; %bb.13:
	s_mul_i32 s5, s9, s34
	s_load_b128 s[16:19], s[0:1], 0x58
	v_add3_u32 v68, s5, s33, v68
	s_delay_alu instid0(VALU_DEP_1) | instskip(NEXT) | instid1(VALU_DEP_1)
	v_mad_u64_u32 v[78:79], null, v68, s36, s[14:15]
	v_ashrrev_i32_e32 v79, 31, v78
	s_delay_alu instid0(VALU_DEP_1) | instskip(SKIP_1) | instid1(VALU_DEP_1)
	v_lshlrev_b64 v[78:79], 2, v[78:79]
	s_waitcnt lgkmcnt(0)
	v_add_co_u32 v80, vcc_lo, s18, v78
	s_delay_alu instid0(VALU_DEP_2)
	v_add_co_ci_u32_e32 v81, vcc_lo, s19, v79, vcc_lo
	v_add_co_u32 v78, vcc_lo, s16, v78
	v_add_co_ci_u32_e32 v79, vcc_lo, s17, v79, vcc_lo
	global_store_b32 v[80:81], v76, off
	global_store_b32 v[78:79], v77, off
.LBB776_14:
	s_or_b32 exec_lo, exec_lo, s4
	s_waitcnt lgkmcnt(0)
	s_waitcnt_vscnt null, 0x0
	s_barrier
	buffer_gl0_inv
	ds_load_b128 v[84:87], v73
	ds_load_b128 v[88:91], v73 offset:16
	ds_load_b128 v[96:99], v73 offset:2064
	;; [unrolled: 1-line block ×5, first 2 shown]
	v_cmp_eq_u32_e32 vcc_lo, 1, v70
	v_mov_b32_e32 v76, 0
	ds_load_b128 v[112:115], v73 offset:6160
	ds_load_b128 v[108:111], v73 offset:6144
	;; [unrolled: 1-line block ×4, first 2 shown]
	v_cmp_eq_u32_e64 s5, 1, v69
	v_cmp_eq_u32_e64 s4, 1, v72
	;; [unrolled: 1-line block ×3, first 2 shown]
	v_mov_b32_e32 v77, v76
	v_mov_b32_e32 v78, v76
	;; [unrolled: 1-line block ×7, first 2 shown]
	v_cmp_eq_u32_e64 s7, 3, v72
	v_cmp_eq_u32_e64 s8, 7, v72
	s_waitcnt lgkmcnt(8)
	s_delay_alu instid0(VALU_DEP_3)
	v_wmma_f32_16x16x16_f16 v[76:83], v[49:56], v[84:91], v[76:83]
	ds_load_b128 v[53:56], v73 offset:10256
	ds_load_b128 v[49:52], v73 offset:10240
	s_waitcnt lgkmcnt(8)
	v_wmma_f32_16x16x16_f16 v[76:83], v[41:48], v[92:99], v[76:83]
	ds_load_b128 v[45:48], v73 offset:12304
	ds_load_b128 v[41:44], v73 offset:12288
	s_waitcnt lgkmcnt(8)
	;; [unrolled: 4-line block ×3, first 2 shown]
	s_barrier
	buffer_gl0_inv
	v_wmma_f32_16x16x16_f16 v[76:83], v[1:8], v[108:115], v[76:83]
	s_delay_alu instid0(VALU_DEP_1) | instskip(NEXT) | instid1(VALU_DEP_1)
	v_wmma_f32_16x16x16_f16 v[76:83], v[9:16], v[116:123], v[76:83]
	v_wmma_f32_16x16x16_f16 v[76:83], v[17:24], v[49:56], v[76:83]
	s_delay_alu instid0(VALU_DEP_1) | instskip(NEXT) | instid1(VALU_DEP_1)
	v_wmma_f32_16x16x16_f16 v[76:83], v[25:32], v[41:48], v[76:83]
	v_wmma_f32_16x16x16_f16 v[76:83], v[57:64], v[33:40], v[76:83]
	s_delay_alu instid0(VALU_DEP_1) | instskip(NEXT) | instid1(VALU_DEP_2)
	v_cvt_f16_f32_e32 v1, v76
	v_cvt_f16_f32_e32 v2, v77
	s_delay_alu instid0(VALU_DEP_3) | instskip(NEXT) | instid1(VALU_DEP_4)
	v_cvt_f16_f32_e32 v3, v78
	v_cvt_f16_f32_e32 v4, v79
	;; [unrolled: 1-line block ×6, first 2 shown]
	v_pack_b32_f16 v1, v1, v2
	v_pack_b32_f16 v2, v3, v4
	v_pack_b32_f16 v3, v5, v6
	s_delay_alu instid0(VALU_DEP_4)
	v_pack_b32_f16 v4, v7, v8
	ds_store_b128 v74, v[1:4]
	s_waitcnt lgkmcnt(0)
	s_barrier
	buffer_gl0_inv
	ds_load_b128 v[1:4], v75
	ds_load_b128 v[5:8], v75 offset:16
	s_waitcnt lgkmcnt(1)
	v_lshrrev_b32_e32 v9, 16, v1
	s_waitcnt lgkmcnt(0)
	v_lshrrev_b32_e32 v13, 16, v5
	v_lshrrev_b32_e32 v10, 16, v2
	;; [unrolled: 1-line block ×4, first 2 shown]
	v_cndmask_b32_e32 v17, v1, v9, vcc_lo
	v_cndmask_b32_e32 v18, v5, v13, vcc_lo
	v_cndmask_b32_e64 v21, v1, v9, s5
	v_cmp_eq_u32_e32 vcc_lo, 1, v71
	v_cndmask_b32_e64 v22, v5, v13, s5
	v_cmp_eq_u32_e64 s5, 2, v70
	v_cndmask_b32_e64 v19, v1, v9, s4
	v_cndmask_b32_e64 v20, v5, v13, s4
	v_cndmask_b32_e32 v1, v1, v9, vcc_lo
	v_cmp_eq_u32_e64 s4, 2, v71
	v_cndmask_b32_e32 v5, v5, v13, vcc_lo
	v_cndmask_b32_e64 v9, v17, v2, s5
	v_cmp_eq_u32_e32 vcc_lo, 3, v70
	v_cndmask_b32_e64 v13, v18, v6, s5
	v_cmp_eq_u32_e64 s5, 2, v69
	v_cndmask_b32_e64 v17, v19, v2, s6
	v_cndmask_b32_e64 v18, v20, v6, s6
	v_cmp_eq_u32_e64 s6, 3, v69
	v_cndmask_b32_e64 v1, v1, v2, s4
	v_cndmask_b32_e64 v19, v21, v2, s5
	;; [unrolled: 1-line block ×4, first 2 shown]
	v_cndmask_b32_e32 v5, v9, v10, vcc_lo
	v_cndmask_b32_e32 v6, v13, v14, vcc_lo
	v_cmp_eq_u32_e32 vcc_lo, 3, v71
	v_cndmask_b32_e64 v9, v17, v10, s7
	v_cndmask_b32_e64 v13, v18, v14, s7
	v_cndmask_b32_e64 v18, v20, v14, s6
	v_cmp_eq_u32_e64 s5, 4, v70
	v_cndmask_b32_e32 v1, v1, v10, vcc_lo
	v_cndmask_b32_e32 v2, v2, v14, vcc_lo
	v_cmp_eq_u32_e32 vcc_lo, 4, v72
	v_lshrrev_b32_e32 v15, 16, v7
	v_lshrrev_b32_e32 v16, 16, v8
	v_cndmask_b32_e64 v17, v19, v10, s6
	v_cmp_eq_u32_e64 s4, 4, v71
	v_cndmask_b32_e64 v5, v5, v3, s5
	v_cndmask_b32_e64 v6, v6, v7, s5
	v_cndmask_b32_e32 v9, v9, v3, vcc_lo
	v_cmp_eq_u32_e64 s5, 5, v72
	v_cndmask_b32_e32 v10, v13, v7, vcc_lo
	v_cmp_eq_u32_e32 vcc_lo, 4, v69
	v_cmp_eq_u32_e64 s6, 5, v70
	v_cndmask_b32_e64 v2, v2, v7, s4
	v_cndmask_b32_e64 v9, v9, v11, s5
	;; [unrolled: 1-line block ×3, first 2 shown]
	v_cndmask_b32_e32 v13, v17, v3, vcc_lo
	v_cmp_eq_u32_e64 s5, 5, v69
	v_cndmask_b32_e32 v14, v18, v7, vcc_lo
	v_cndmask_b32_e64 v1, v1, v3, s4
	v_cmp_eq_u32_e32 vcc_lo, 5, v71
	v_lshrrev_b32_e32 v12, 16, v4
	v_cndmask_b32_e64 v13, v13, v11, s5
	v_cndmask_b32_e64 v3, v14, v15, s5
	v_cmp_eq_u32_e64 s5, 6, v71
	v_cndmask_b32_e32 v1, v1, v11, vcc_lo
	v_cndmask_b32_e64 v5, v5, v11, s6
	v_cmp_eq_u32_e64 s7, 6, v70
	v_cndmask_b32_e64 v6, v6, v15, s6
	v_cmp_eq_u32_e64 s6, 6, v72
	v_cmp_eq_u32_e64 s4, 6, v69
	v_cndmask_b32_e64 v1, v1, v4, s5
	v_cndmask_b32_e32 v2, v2, v15, vcc_lo
	v_cmp_eq_u32_e32 vcc_lo, 7, v71
	v_cndmask_b32_e64 v5, v5, v4, s7
	v_cndmask_b32_e64 v9, v9, v4, s6
	;; [unrolled: 1-line block ×3, first 2 shown]
	v_cmp_eq_u32_e64 s7, 7, v70
	v_cndmask_b32_e32 v1, v1, v12, vcc_lo
	v_cndmask_b32_e64 v7, v13, v4, s4
	v_cndmask_b32_e64 v3, v3, v8, s4
	;; [unrolled: 1-line block ×3, first 2 shown]
	v_cmp_eq_u32_e64 s4, 7, v69
	v_cndmask_b32_e64 v4, v10, v8, s6
	v_cndmask_b32_e64 v5, v5, v12, s7
	;; [unrolled: 1-line block ×3, first 2 shown]
	v_cndmask_b32_e32 v2, v2, v16, vcc_lo
	v_cndmask_b32_e64 v7, v7, v12, s4
	v_cndmask_b32_e64 v3, v3, v16, s4
	;; [unrolled: 1-line block ×4, first 2 shown]
	v_cmp_gt_u32_e32 vcc_lo, 32, v0
	v_perm_b32 v4, v2, v1, 0x5040100
	v_perm_b32 v3, v3, v7, 0x5040100
	;; [unrolled: 1-line block ×4, first 2 shown]
	s_and_b32 s2, vcc_lo, s2
	ds_store_b128 v74, v[1:4]
	s_waitcnt lgkmcnt(0)
	s_barrier
	buffer_gl0_inv
	s_and_saveexec_b32 s4, s2
	s_cbranch_execz .LBB776_2
; %bb.15:
	s_load_b64 s[4:5], s[0:1], 0x68
	v_lshlrev_b32_e32 v0, 10, v0
	v_add_nc_u32_e32 v2, s33, v66
	v_lshlrev_b32_e32 v3, 4, v67
	s_lshl_b32 s0, s36, 6
	s_delay_alu instid0(SALU_CYCLE_1) | instskip(NEXT) | instid1(VALU_DEP_2)
	s_mul_i32 s1, s0, s34
	v_mul_lo_u32 v1, v2, s0
	s_delay_alu instid0(VALU_DEP_2)
	v_and_or_b32 v0, 0x3800, v0, v3
	v_add_nc_u32_e32 v3, 2, v2
	s_mul_i32 s6, s1, s9
	v_add_nc_u32_e32 v4, 4, v2
	s_ashr_i32 s7, s6, 31
	v_lshl_or_b32 v11, v66, 6, v0
	s_lshl_b64 s[6:7], s[6:7], 1
	v_mul_lo_u32 v15, v3, s0
	v_mul_lo_u32 v17, v4, s0
	v_ashrrev_i32_e32 v2, 31, v1
	ds_load_b128 v[3:6], v11
	ds_load_b128 v[7:10], v11 offset:128
	ds_load_b128 v[11:14], v11 offset:256
	s_waitcnt lgkmcnt(0)
	s_add_u32 s1, s4, s6
	s_addc_u32 s2, s5, s7
	s_lshl_b32 s4, s14, 6
	v_ashrrev_i32_e32 v16, 31, v15
	s_ashr_i32 s5, s4, 31
	v_lshlrev_b64 v[19:20], 1, v[1:2]
	s_lshl_b64 s[4:5], s[4:5], 1
	v_ashrrev_i32_e32 v18, 31, v17
	s_add_u32 s1, s1, s4
	s_addc_u32 s2, s2, s5
	v_add_co_u32 v1, s1, s1, v65
	s_delay_alu instid0(VALU_DEP_1) | instskip(SKIP_1) | instid1(VALU_DEP_3)
	v_add_co_ci_u32_e64 v2, null, s2, 0, s1
	v_lshlrev_b64 v[15:16], 1, v[15:16]
	v_add_co_u32 v19, vcc_lo, v1, v19
	v_lshlrev_b64 v[17:18], 1, v[17:18]
	s_delay_alu instid0(VALU_DEP_4) | instskip(NEXT) | instid1(VALU_DEP_4)
	v_add_co_ci_u32_e32 v20, vcc_lo, v2, v20, vcc_lo
	v_add_co_u32 v15, vcc_lo, v1, v15
	v_add_co_ci_u32_e32 v16, vcc_lo, v2, v16, vcc_lo
	s_delay_alu instid0(VALU_DEP_4)
	v_add_co_u32 v17, vcc_lo, v1, v17
	v_add_co_ci_u32_e32 v18, vcc_lo, v2, v18, vcc_lo
	s_clause 0x2
	global_store_b128 v[19:20], v[3:6], off
	global_store_b128 v[15:16], v[7:10], off
	;; [unrolled: 1-line block ×3, first 2 shown]
	s_and_b32 exec_lo, exec_lo, s3
	s_cbranch_execz .LBB776_2
; %bb.16:
	ds_load_b128 v[3:6], v0 offset:384
	s_add_i32 s1, s33, 6
	s_delay_alu instid0(SALU_CYCLE_1) | instskip(NEXT) | instid1(SALU_CYCLE_1)
	s_mul_i32 s0, s1, s0
	s_ashr_i32 s1, s0, 31
	s_delay_alu instid0(SALU_CYCLE_1) | instskip(NEXT) | instid1(SALU_CYCLE_1)
	s_lshl_b64 s[0:1], s[0:1], 1
	v_add_co_u32 v0, vcc_lo, v1, s0
	v_add_co_ci_u32_e32 v1, vcc_lo, s1, v2, vcc_lo
	s_waitcnt lgkmcnt(0)
	global_store_b128 v[0:1], v[3:6], off
	s_nop 0
	s_sendmsg sendmsg(MSG_DEALLOC_VGPRS)
	s_endpgm
	.section	.rodata,"a",@progbits
	.p2align	6, 0x0
	.amdhsa_kernel _Z39paged_attention_ll4mi_QKV_mfma16_kernelIDF16_hLN4vllm18Fp8KVCacheDataTypeE1EhLi16ELi64ELi256ELb1ELi7EL8MFMAType1EEvPKT_PKT0_S8_ifPKiSA_SA_iPKfiiiPfSD_PS3_PT2_iSC_SC_
		.amdhsa_group_segment_fixed_size 17472
		.amdhsa_private_segment_fixed_size 0
		.amdhsa_kernarg_size 400
		.amdhsa_user_sgpr_count 13
		.amdhsa_user_sgpr_dispatch_ptr 0
		.amdhsa_user_sgpr_queue_ptr 0
		.amdhsa_user_sgpr_kernarg_segment_ptr 1
		.amdhsa_user_sgpr_dispatch_id 0
		.amdhsa_user_sgpr_private_segment_size 0
		.amdhsa_wavefront_size32 1
		.amdhsa_uses_dynamic_stack 0
		.amdhsa_enable_private_segment 0
		.amdhsa_system_sgpr_workgroup_id_x 1
		.amdhsa_system_sgpr_workgroup_id_y 1
		.amdhsa_system_sgpr_workgroup_id_z 1
		.amdhsa_system_sgpr_workgroup_info 0
		.amdhsa_system_vgpr_workitem_id 0
		.amdhsa_next_free_vgpr 146
		.amdhsa_next_free_sgpr 37
		.amdhsa_reserve_vcc 1
		.amdhsa_float_round_mode_32 0
		.amdhsa_float_round_mode_16_64 0
		.amdhsa_float_denorm_mode_32 3
		.amdhsa_float_denorm_mode_16_64 3
		.amdhsa_dx10_clamp 1
		.amdhsa_ieee_mode 1
		.amdhsa_fp16_overflow 0
		.amdhsa_workgroup_processor_mode 1
		.amdhsa_memory_ordered 1
		.amdhsa_forward_progress 0
		.amdhsa_shared_vgpr_count 0
		.amdhsa_exception_fp_ieee_invalid_op 0
		.amdhsa_exception_fp_denorm_src 0
		.amdhsa_exception_fp_ieee_div_zero 0
		.amdhsa_exception_fp_ieee_overflow 0
		.amdhsa_exception_fp_ieee_underflow 0
		.amdhsa_exception_fp_ieee_inexact 0
		.amdhsa_exception_int_div_zero 0
	.end_amdhsa_kernel
	.section	.text._Z39paged_attention_ll4mi_QKV_mfma16_kernelIDF16_hLN4vllm18Fp8KVCacheDataTypeE1EhLi16ELi64ELi256ELb1ELi7EL8MFMAType1EEvPKT_PKT0_S8_ifPKiSA_SA_iPKfiiiPfSD_PS3_PT2_iSC_SC_,"axG",@progbits,_Z39paged_attention_ll4mi_QKV_mfma16_kernelIDF16_hLN4vllm18Fp8KVCacheDataTypeE1EhLi16ELi64ELi256ELb1ELi7EL8MFMAType1EEvPKT_PKT0_S8_ifPKiSA_SA_iPKfiiiPfSD_PS3_PT2_iSC_SC_,comdat
.Lfunc_end776:
	.size	_Z39paged_attention_ll4mi_QKV_mfma16_kernelIDF16_hLN4vllm18Fp8KVCacheDataTypeE1EhLi16ELi64ELi256ELb1ELi7EL8MFMAType1EEvPKT_PKT0_S8_ifPKiSA_SA_iPKfiiiPfSD_PS3_PT2_iSC_SC_, .Lfunc_end776-_Z39paged_attention_ll4mi_QKV_mfma16_kernelIDF16_hLN4vllm18Fp8KVCacheDataTypeE1EhLi16ELi64ELi256ELb1ELi7EL8MFMAType1EEvPKT_PKT0_S8_ifPKiSA_SA_iPKfiiiPfSD_PS3_PT2_iSC_SC_
                                        ; -- End function
	.section	.AMDGPU.csdata,"",@progbits
; Kernel info:
; codeLenInByte = 6532
; NumSgprs: 39
; NumVgprs: 146
; ScratchSize: 0
; MemoryBound: 0
; FloatMode: 240
; IeeeMode: 1
; LDSByteSize: 17472 bytes/workgroup (compile time only)
; SGPRBlocks: 4
; VGPRBlocks: 18
; NumSGPRsForWavesPerEU: 39
; NumVGPRsForWavesPerEU: 146
; Occupancy: 9
; WaveLimiterHint : 1
; COMPUTE_PGM_RSRC2:SCRATCH_EN: 0
; COMPUTE_PGM_RSRC2:USER_SGPR: 13
; COMPUTE_PGM_RSRC2:TRAP_HANDLER: 0
; COMPUTE_PGM_RSRC2:TGID_X_EN: 1
; COMPUTE_PGM_RSRC2:TGID_Y_EN: 1
; COMPUTE_PGM_RSRC2:TGID_Z_EN: 1
; COMPUTE_PGM_RSRC2:TIDIG_COMP_CNT: 0
	.section	.text._Z39paged_attention_ll4mi_QKV_mfma16_kernelIDF16_hLN4vllm18Fp8KVCacheDataTypeE1EhLi16ELi64ELi256ELb1ELi8EL8MFMAType1EEvPKT_PKT0_S8_ifPKiSA_SA_iPKfiiiPfSD_PS3_PT2_iSC_SC_,"axG",@progbits,_Z39paged_attention_ll4mi_QKV_mfma16_kernelIDF16_hLN4vllm18Fp8KVCacheDataTypeE1EhLi16ELi64ELi256ELb1ELi8EL8MFMAType1EEvPKT_PKT0_S8_ifPKiSA_SA_iPKfiiiPfSD_PS3_PT2_iSC_SC_,comdat
	.protected	_Z39paged_attention_ll4mi_QKV_mfma16_kernelIDF16_hLN4vllm18Fp8KVCacheDataTypeE1EhLi16ELi64ELi256ELb1ELi8EL8MFMAType1EEvPKT_PKT0_S8_ifPKiSA_SA_iPKfiiiPfSD_PS3_PT2_iSC_SC_ ; -- Begin function _Z39paged_attention_ll4mi_QKV_mfma16_kernelIDF16_hLN4vllm18Fp8KVCacheDataTypeE1EhLi16ELi64ELi256ELb1ELi8EL8MFMAType1EEvPKT_PKT0_S8_ifPKiSA_SA_iPKfiiiPfSD_PS3_PT2_iSC_SC_
	.globl	_Z39paged_attention_ll4mi_QKV_mfma16_kernelIDF16_hLN4vllm18Fp8KVCacheDataTypeE1EhLi16ELi64ELi256ELb1ELi8EL8MFMAType1EEvPKT_PKT0_S8_ifPKiSA_SA_iPKfiiiPfSD_PS3_PT2_iSC_SC_
	.p2align	8
	.type	_Z39paged_attention_ll4mi_QKV_mfma16_kernelIDF16_hLN4vllm18Fp8KVCacheDataTypeE1EhLi16ELi64ELi256ELb1ELi8EL8MFMAType1EEvPKT_PKT0_S8_ifPKiSA_SA_iPKfiiiPfSD_PS3_PT2_iSC_SC_,@function
_Z39paged_attention_ll4mi_QKV_mfma16_kernelIDF16_hLN4vllm18Fp8KVCacheDataTypeE1EhLi16ELi64ELi256ELb1ELi8EL8MFMAType1EEvPKT_PKT0_S8_ifPKiSA_SA_iPKfiiiPfSD_PS3_PT2_iSC_SC_: ; @_Z39paged_attention_ll4mi_QKV_mfma16_kernelIDF16_hLN4vllm18Fp8KVCacheDataTypeE1EhLi16ELi64ELi256ELb1ELi8EL8MFMAType1EEvPKT_PKT0_S8_ifPKiSA_SA_iPKfiiiPfSD_PS3_PT2_iSC_SC_
; %bb.0:
	s_load_b64 s[2:3], s[0:1], 0x30
	s_mov_b32 s34, s13
	s_waitcnt lgkmcnt(0)
	s_cmp_lg_u64 s[2:3], 0
	s_cselect_b32 s8, -1, 0
	s_ashr_i32 s35, s13, 31
	s_cmp_eq_u64 s[2:3], 0
	s_cbranch_scc1 .LBB777_3
; %bb.1:
	s_lshl_b64 s[4:5], s[34:35], 2
	s_delay_alu instid0(SALU_CYCLE_1) | instskip(SKIP_4) | instid1(SALU_CYCLE_1)
	s_add_u32 s4, s2, s4
	s_addc_u32 s5, s3, s5
	s_load_b64 s[4:5], s[4:5], 0x0
	s_waitcnt lgkmcnt(0)
	s_sub_i32 s4, s5, s4
	s_cmp_eq_u32 s4, 1
	s_cselect_b32 s4, -1, 0
	s_delay_alu instid0(SALU_CYCLE_1)
	s_and_not1_b32 vcc_lo, exec_lo, s4
	s_cbranch_vccz .LBB777_4
.LBB777_2:
	s_endpgm
.LBB777_3:
.LBB777_4:
	s_load_b64 s[4:5], s[0:1], 0x28
	s_lshl_b64 s[6:7], s[34:35], 2
	s_waitcnt lgkmcnt(0)
	s_add_u32 s4, s4, s6
	s_addc_u32 s5, s5, s7
	s_lshl_b32 s12, s14, 8
	s_load_b32 s24, s[4:5], 0x0
	s_waitcnt lgkmcnt(0)
	s_cmp_ge_i32 s12, s24
	s_cbranch_scc1 .LBB777_2
; %bb.5:
	s_clause 0x1
	s_load_b128 s[20:23], s[0:1], 0x8
	s_load_b64 s[4:5], s[0:1], 0x20
	s_and_not1_b32 vcc_lo, exec_lo, s8
	s_cbranch_vccnz .LBB777_7
; %bb.6:
	s_add_u32 s2, s2, s6
	s_addc_u32 s3, s3, s7
	s_load_b32 s3, s[2:3], 0x0
	s_branch .LBB777_8
.LBB777_7:
	s_mov_b32 s3, s34
.LBB777_8:
	s_load_b128 s[16:19], s[0:1], 0x48
	v_and_b32_e32 v69, 15, v0
	v_cmp_gt_u32_e32 vcc_lo, 0x80, v0
	v_lshrrev_b32_e32 v68, 5, v0
	v_and_b32_e32 v70, 31, v0
	v_and_b32_e32 v66, 1, v0
	v_lshlrev_b32_e32 v1, 3, v69
	v_cmp_gt_u32_e64 s2, 8, v69
	v_bfe_u32 v67, v0, 4, 1
	s_lshl_b32 s31, s15, 3
	s_delay_alu instid0(VALU_DEP_3) | instskip(NEXT) | instid1(VALU_DEP_3)
	v_lshlrev_b32_e32 v65, 1, v1
	s_and_b32 s7, vcc_lo, s2
	s_delay_alu instid0(SALU_CYCLE_1)
	s_and_saveexec_b32 s6, s7
	s_cbranch_execz .LBB777_10
; %bb.9:
	v_lshl_or_b32 v5, v68, 1, v67
	s_load_b64 s[8:9], s[0:1], 0x0
	s_waitcnt lgkmcnt(0)
	s_mul_hi_i32 s11, s3, s16
	s_mul_i32 s10, s3, s16
	v_lshlrev_b32_e32 v6, 10, v69
	v_or_b32_e32 v1, s31, v5
	s_lshl_b64 s[10:11], s[10:11], 1
	v_lshlrev_b32_e32 v5, 6, v5
	v_lshlrev_b32_e32 v7, 10, v66
	v_and_b32_e32 v6, 0x3800, v6
	v_lshlrev_b32_e32 v1, 6, v1
	s_delay_alu instid0(VALU_DEP_2) | instskip(NEXT) | instid1(VALU_DEP_2)
	v_or3_b32 v5, v6, v7, v5
	v_ashrrev_i32_e32 v2, 31, v1
	s_delay_alu instid0(VALU_DEP_1) | instskip(SKIP_2) | instid1(VALU_DEP_1)
	v_lshlrev_b64 v[1:2], 1, v[1:2]
	s_add_u32 s3, s8, s10
	s_addc_u32 s7, s9, s11
	v_add_co_u32 v1, vcc_lo, s3, v1
	s_delay_alu instid0(VALU_DEP_2) | instskip(NEXT) | instid1(VALU_DEP_2)
	v_add_co_ci_u32_e32 v2, vcc_lo, s7, v2, vcc_lo
	v_add_co_u32 v1, vcc_lo, v1, v65
	s_delay_alu instid0(VALU_DEP_2)
	v_add_co_ci_u32_e32 v2, vcc_lo, 0, v2, vcc_lo
	global_load_b128 v[1:4], v[1:2], off
	s_waitcnt vmcnt(0)
	ds_store_b128 v5, v[1:4]
.LBB777_10:
	s_or_b32 exec_lo, exec_lo, s6
	v_and_b32_e32 v1, 0xef, v0
	s_waitcnt lgkmcnt(0)
	s_add_i32 s3, s24, 15
	s_clause 0x1
	s_load_b32 s6, s[0:1], 0x38
	s_load_b32 s33, s[0:1], 0x98
	s_ashr_i32 s7, s3, 31
	v_add_nc_u32_e32 v1, s12, v1
	s_lshr_b32 s7, s7, 28
	s_load_b32 s19, s[0:1], 0x1c
	s_add_i32 s3, s3, s7
	s_waitcnt lgkmcnt(0)
	v_ashrrev_i32_e32 v2, 31, v1
	v_or_b32_e32 v3, 16, v1
	s_ashr_i32 s3, s3, 4
	v_cmp_gt_i32_e32 vcc_lo, s24, v1
	s_add_i32 s3, s3, -1
	v_lshrrev_b32_e32 v2, 28, v2
	s_barrier
	buffer_gl0_inv
	s_mul_i32 s27, s15, s18
	v_add_nc_u32_e32 v4, v1, v2
	s_mul_i32 s6, s34, s6
	s_delay_alu instid0(SALU_CYCLE_1) | instskip(NEXT) | instid1(VALU_DEP_1)
	s_ashr_i32 s7, s6, 31
	v_ashrrev_i32_e32 v4, 4, v4
	v_add_nc_u32_e32 v2, v3, v2
	s_lshl_b64 s[6:7], s[6:7], 2
	s_delay_alu instid0(SALU_CYCLE_1) | instskip(NEXT) | instid1(VALU_DEP_2)
	s_add_u32 s26, s4, s6
	v_cndmask_b32_e32 v1, s3, v4, vcc_lo
	s_delay_alu instid0(VALU_DEP_2)
	v_ashrrev_i32_e32 v2, 4, v2
	v_cmp_gt_i32_e32 vcc_lo, s24, v3
	s_addc_u32 s25, s5, s7
	s_ashr_i32 s28, s27, 31
	s_add_u32 s13, s20, s27
	s_addc_u32 s15, s21, s28
	v_cndmask_b32_e32 v3, s3, v2, vcc_lo
	v_ashrrev_i32_e32 v2, 31, v1
	s_lshl_b32 s4, s14, 4
	s_delay_alu instid0(SALU_CYCLE_1) | instskip(NEXT) | instid1(VALU_DEP_2)
	s_ashr_i32 s5, s4, 31
	v_ashrrev_i32_e32 v4, 31, v3
	s_delay_alu instid0(VALU_DEP_2) | instskip(SKIP_1) | instid1(SALU_CYCLE_1)
	v_lshlrev_b64 v[1:2], 2, v[1:2]
	s_lshl_b64 s[4:5], s[4:5], 2
	s_add_u32 s4, s26, s4
	s_delay_alu instid0(VALU_DEP_2) | instskip(SKIP_1) | instid1(VALU_DEP_2)
	v_lshlrev_b64 v[3:4], 2, v[3:4]
	s_addc_u32 s5, s25, s5
	v_add_co_u32 v1, vcc_lo, s26, v1
	v_add_co_ci_u32_e32 v2, vcc_lo, s25, v2, vcc_lo
	s_delay_alu instid0(VALU_DEP_3) | instskip(NEXT) | instid1(VALU_DEP_4)
	v_add_co_u32 v3, vcc_lo, s26, v3
	v_add_co_ci_u32_e32 v4, vcc_lo, s25, v4, vcc_lo
	s_clause 0x1
	global_load_b32 v5, v[1:2], off
	global_load_b32 v7, v[3:4], off
	s_or_b32 s6, s12, 32
	v_lshlrev_b32_e32 v1, 4, v0
	s_ashr_i32 s7, s6, 4
	s_cmp_lt_i32 s6, s24
	s_cselect_b32 s6, s7, s3
	s_delay_alu instid0(VALU_DEP_1) | instskip(SKIP_1) | instid1(SALU_CYCLE_1)
	v_and_b32_e32 v1, 0xf0, v1
	s_ashr_i32 s7, s6, 31
	s_lshl_b64 s[6:7], s[6:7], 2
	s_delay_alu instid0(SALU_CYCLE_1)
	s_add_u32 s6, s26, s6
	s_addc_u32 s7, s25, s7
	s_or_b32 s8, s12, 64
	v_add_co_u32 v1, s13, s13, v1
	s_ashr_i32 s9, s8, 4
	s_cmp_lt_i32 s8, s24
	v_add_co_ci_u32_e64 v2, null, s15, 0, s13
	s_cselect_b32 s8, s9, s3
	s_delay_alu instid0(SALU_CYCLE_1) | instskip(NEXT) | instid1(SALU_CYCLE_1)
	s_ashr_i32 s9, s8, 31
	s_lshl_b64 s[8:9], s[8:9], 2
	s_delay_alu instid0(SALU_CYCLE_1) | instskip(SKIP_2) | instid1(SALU_CYCLE_1)
	s_add_u32 s8, s26, s8
	s_addc_u32 s9, s25, s9
	s_or_b32 s10, s12, 0x60
	s_ashr_i32 s11, s10, 4
	s_cmp_lt_i32 s10, s24
	s_cselect_b32 s10, s11, s3
	s_delay_alu instid0(SALU_CYCLE_1) | instskip(NEXT) | instid1(SALU_CYCLE_1)
	s_ashr_i32 s11, s10, 31
	s_lshl_b64 s[10:11], s[10:11], 2
	s_delay_alu instid0(SALU_CYCLE_1) | instskip(SKIP_2) | instid1(SALU_CYCLE_1)
	s_add_u32 s10, s26, s10
	s_addc_u32 s11, s25, s11
	s_or_b32 s16, s12, 0x80
	s_ashr_i32 s18, s16, 4
	s_cmp_lt_i32 s16, s24
	;; [unrolled: 10-line block ×3, first 2 shown]
	s_cselect_b32 s20, s18, s3
	s_delay_alu instid0(SALU_CYCLE_1) | instskip(NEXT) | instid1(SALU_CYCLE_1)
	s_ashr_i32 s21, s20, 31
	s_lshl_b64 s[20:21], s[20:21], 2
	s_delay_alu instid0(SALU_CYCLE_1)
	s_add_u32 s38, s26, s20
	s_addc_u32 s39, s25, s21
	s_clause 0x5
	s_load_b32 s21, s[4:5], 0x0
	s_load_b32 s13, s[6:7], 0x0
	;; [unrolled: 1-line block ×6, first 2 shown]
	s_or_b32 s7, s12, 0xc0
	s_mov_b32 s4, 0
	s_ashr_i32 s8, s7, 4
	s_cmp_lt_i32 s7, s24
	s_mov_b32 s5, s4
	s_cselect_b32 s10, s8, s3
	s_mov_b32 s6, s4
	s_ashr_i32 s11, s10, 31
	s_mov_b32 s7, s4
	s_lshl_b64 s[36:37], s[10:11], 2
	s_mov_b32 s11, s4
	s_add_u32 s36, s26, s36
	s_addc_u32 s37, s25, s37
	s_or_b32 s29, s12, 0xe0
	s_mov_b32 s8, s4
	s_ashr_i32 s30, s29, 4
	s_mov_b32 s9, s4
	s_mov_b32 s10, s4
	s_cmp_lt_i32 s29, s24
	v_mov_b32_e32 v102, s11
	v_dual_mov_b32 v96, s5 :: v_dual_mov_b32 v101, s10
	v_dual_mov_b32 v100, s9 :: v_dual_mov_b32 v99, s8
	;; [unrolled: 1-line block ×3, first 2 shown]
	v_mov_b32_e32 v95, s4
	s_cselect_b32 s4, s30, s3
	s_delay_alu instid0(SALU_CYCLE_1) | instskip(NEXT) | instid1(SALU_CYCLE_1)
	s_ashr_i32 s5, s4, 31
	s_lshl_b64 s[4:5], s[4:5], 2
	s_delay_alu instid0(SALU_CYCLE_1)
	s_add_u32 s4, s26, s4
	s_addc_u32 s5, s25, s5
	s_add_u32 s6, s22, s27
	s_addc_u32 s7, s23, s28
	s_waitcnt vmcnt(1)
	v_mad_i64_i32 v[3:4], null, v5, s17, v[1:2]
	s_waitcnt vmcnt(0)
	v_mad_i64_i32 v[5:6], null, v7, s17, v[1:2]
	v_and_b32_e32 v1, 7, v0
	v_lshlrev_b32_e32 v2, 4, v69
	s_clause 0x7
	global_load_b128 v[57:60], v[3:4], off
	global_load_b128 v[61:64], v[3:4], off offset:256
	global_load_b128 v[71:74], v[5:6], off
	global_load_b128 v[75:78], v[5:6], off offset:256
	global_load_b128 v[79:82], v[3:4], off offset:512
	;; [unrolled: 1-line block ×5, first 2 shown]
	v_lshlrev_b32_e32 v121, 6, v1
	v_lshl_or_b32 v1, v68, 8, v2
	s_load_b32 s3, s[36:37], 0x0
	ds_load_b128 v[103:106], v121
	ds_load_b128 v[107:110], v121 offset:1024
	s_load_b32 s4, s[4:5], 0x0
	v_add_co_u32 v17, s6, s6, v1
	s_delay_alu instid0(VALU_DEP_1) | instskip(SKIP_1) | instid1(VALU_DEP_1)
	v_add_co_ci_u32_e64 v18, null, s7, 0, s6
	s_waitcnt lgkmcnt(0)
	v_mad_i64_i32 v[1:2], null, s21, s17, v[17:18]
	v_mad_i64_i32 v[3:4], null, s13, s17, v[17:18]
	;; [unrolled: 1-line block ×7, first 2 shown]
	s_clause 0x9
	global_load_b128 v[49:52], v[1:2], off
	global_load_b128 v[53:56], v[1:2], off offset:16
	global_load_b128 v[41:44], v[3:4], off
	global_load_b128 v[45:48], v[3:4], off offset:16
	;; [unrolled: 2-line block ×5, first 2 shown]
	v_mad_i64_i32 v[119:120], null, s4, s17, v[17:18]
	s_clause 0x3
	global_load_b128 v[17:20], v[21:22], off
	global_load_b128 v[21:24], v[21:22], off offset:16
	global_load_b128 v[25:28], v[29:30], off
	global_load_b128 v[29:32], v[29:30], off offset:16
	s_waitcnt vmcnt(20)
	v_wmma_f32_16x16x16_f16 v[111:118], v[57:64], v[103:110], v[95:102]
	s_clause 0x1
	global_load_b128 v[57:60], v[119:120], off
	global_load_b128 v[61:64], v[119:120], off offset:16
	s_waitcnt vmcnt(20)
	v_wmma_f32_16x16x16_f16 v[95:102], v[71:78], v[103:110], v[95:102]
	ds_load_b128 v[71:74], v121 offset:2048
	ds_load_b128 v[75:78], v121 offset:3072
	v_mbcnt_lo_u32_b32 v104, -1, 0
	s_waitcnt vmcnt(0) lgkmcnt(0)
	s_barrier
	buffer_gl0_inv
	v_xor_b32_e32 v105, 16, v104
	s_delay_alu instid0(VALU_DEP_1) | instskip(SKIP_4) | instid1(VALU_DEP_2)
	v_cmp_gt_i32_e32 vcc_lo, 32, v105
	v_cndmask_b32_e32 v104, v104, v105, vcc_lo
	v_wmma_f32_16x16x16_f16 v[95:102], v[87:94], v[71:78], v[95:102]
	v_and_b32_e32 v103, 0xe0, v0
	v_wmma_f32_16x16x16_f16 v[111:118], v[79:86], v[71:78], v[111:118]
	v_dual_mul_f32 v90, s19, v101 :: v_dual_add_nc_u32 v103, s12, v103
	s_delay_alu instid0(VALU_DEP_2) | instskip(NEXT) | instid1(VALU_DEP_3)
	v_dual_mul_f32 v94, s19, v97 :: v_dual_mul_f32 v87, s19, v112
	v_dual_mul_f32 v88, s19, v111 :: v_dual_mul_f32 v77, s19, v114
	s_delay_alu instid0(VALU_DEP_3) | instskip(SKIP_3) | instid1(VALU_DEP_4)
	v_or_b32_e32 v103, v103, v67
	v_dual_mul_f32 v78, s19, v113 :: v_dual_mul_f32 v75, s19, v116
	v_dual_mul_f32 v76, s19, v115 :: v_dual_mul_f32 v73, s19, v118
	v_mul_f32_e32 v92, s19, v99
	v_or_b32_e32 v105, 2, v103
	v_or_b32_e32 v106, 4, v103
	v_or_b32_e32 v107, 6, v103
	v_cmp_gt_i32_e64 s3, s24, v103
	v_or_b32_e32 v108, 8, v103
	v_cmp_gt_i32_e32 vcc_lo, s24, v105
	v_or_b32_e32 v109, 10, v103
	v_cmp_gt_i32_e64 s4, s24, v106
	v_cndmask_b32_e64 v88, 0xff7fffff, v88, s3
	v_cmp_gt_i32_e64 s5, s24, v107
	v_cndmask_b32_e32 v87, 0xff7fffff, v87, vcc_lo
	v_or_b32_e32 v79, 12, v103
	v_or_b32_e32 v80, 14, v103
	v_cndmask_b32_e64 v78, 0xff7fffff, v78, s4
	v_cndmask_b32_e64 v77, 0xff7fffff, v77, s5
	v_max3_f32 v87, v88, 0xff7fffff, v87
	v_cmp_gt_i32_e64 s6, s24, v108
	v_cmp_gt_i32_e64 s7, s24, v109
	v_or_b32_e32 v81, 16, v103
	v_or_b32_e32 v82, 18, v103
	v_mul_f32_e32 v74, s19, v117
	v_cndmask_b32_e64 v76, 0xff7fffff, v76, s6
	v_cndmask_b32_e64 v75, 0xff7fffff, v75, s7
	v_max3_f32 v77, v87, v78, v77
	v_cmp_gt_i32_e64 s8, s24, v79
	v_cmp_gt_i32_e64 s9, s24, v80
	v_or_b32_e32 v83, 20, v103
	v_or_b32_e32 v84, 22, v103
	;; [unrolled: 1-line block ×6, first 2 shown]
	v_mul_f32_e32 v105, s19, v96
	v_mul_f32_e32 v103, s19, v95
	v_cndmask_b32_e64 v74, 0xff7fffff, v74, s8
	v_cndmask_b32_e64 v73, 0xff7fffff, v73, s9
	v_max3_f32 v75, v77, v76, v75
	v_cmp_gt_i32_e64 s10, s24, v81
	v_cmp_gt_i32_e64 s11, s24, v82
	v_mul_f32_e32 v93, s19, v98
	v_cmp_gt_i32_e64 s12, s24, v83
	v_max3_f32 v73, v75, v74, v73
	v_cndmask_b32_e64 v76, 0xff7fffff, v103, s10
	v_cndmask_b32_e64 v77, 0xff7fffff, v105, s11
	v_cmp_gt_i32_e64 s13, s24, v84
	v_mul_f32_e32 v91, s19, v100
	v_cndmask_b32_e64 v74, 0xff7fffff, v94, s12
	v_cmp_gt_i32_e64 s15, s24, v85
	v_max3_f32 v73, v73, v76, v77
	v_cndmask_b32_e64 v75, 0xff7fffff, v93, s13
	v_cmp_gt_i32_e64 s16, s24, v86
	v_mul_f32_e32 v89, s19, v102
	v_cndmask_b32_e64 v76, 0xff7fffff, v92, s15
	v_cmp_gt_i32_e64 s17, s24, v71
	v_max3_f32 v73, v73, v74, v75
	v_cndmask_b32_e64 v77, 0xff7fffff, v91, s16
	v_cmp_gt_i32_e64 s18, s24, v72
	v_lshlrev_b32_e32 v74, 2, v104
	v_cndmask_b32_e64 v71, 0xff7fffff, v90, s17
	s_delay_alu instid0(VALU_DEP_4) | instskip(NEXT) | instid1(VALU_DEP_4)
	v_max3_f32 v73, v73, v76, v77
	v_cndmask_b32_e64 v72, 0xff7fffff, v89, s18
	s_delay_alu instid0(VALU_DEP_1) | instskip(SKIP_3) | instid1(VALU_DEP_1)
	v_max3_f32 v71, v73, v71, v72
	ds_bpermute_b32 v72, v74, v71
	s_waitcnt lgkmcnt(0)
	v_max_f32_e32 v72, v72, v72
	v_max_f32_e32 v71, v71, v72
	s_delay_alu instid0(VALU_DEP_1)
	v_fma_f32 v72, s19, v111, -v71
	v_fma_f32 v76, s19, v114, -v71
	;; [unrolled: 1-line block ×5, first 2 shown]
	v_mul_f32_e32 v72, 0x3fb8aa3b, v72
	v_mul_f32_e32 v76, 0x3fb8aa3b, v76
	v_fma_f32 v75, s19, v113, -v71
	v_mul_f32_e32 v79, 0x3fb8aa3b, v77
	v_mul_f32_e32 v87, 0x3fb8aa3b, v86
	v_exp_f32_e32 v72, v72
	v_exp_f32_e32 v76, v76
	v_fma_f32 v81, s19, v117, -v71
	v_exp_f32_e32 v82, v79
	v_exp_f32_e32 v87, v87
	v_fma_f32 v84, s19, v96, -v71
	s_delay_alu instid0(VALU_DEP_2) | instskip(SKIP_3) | instid1(TRANS32_DEP_3)
	v_mul_f32_e32 v81, 0x3fb8aa3b, v81
	v_cndmask_b32_e64 v78, 0, v72, s3
	v_fma_f32 v72, s19, v116, -v71
	v_mul_f32_e32 v73, 0x3fb8aa3b, v73
	v_cndmask_b32_e64 v79, 0, v76, s5
	v_fma_f32 v76, s19, v95, -v71
	s_delay_alu instid0(VALU_DEP_4) | instskip(NEXT) | instid1(VALU_DEP_4)
	v_dual_mul_f32 v75, 0x3fb8aa3b, v75 :: v_dual_mul_f32 v72, 0x3fb8aa3b, v72
	v_exp_f32_e32 v73, v73
	v_cndmask_b32_e64 v87, 0, v87, s13
	s_delay_alu instid0(VALU_DEP_3) | instskip(NEXT) | instid1(VALU_DEP_3)
	v_mul_f32_e32 v76, 0x3fb8aa3b, v76
	v_exp_f32_e32 v75, v75
	v_exp_f32_e32 v72, v72
	;; [unrolled: 1-line block ×3, first 2 shown]
	v_cndmask_b32_e64 v82, 0, v82, s6
	v_mul_f32_e32 v85, 0x3fb8aa3b, v84
	v_exp_f32_e32 v76, v76
	s_mov_b32 s3, exec_lo
	v_cndmask_b32_e32 v77, 0, v73, vcc_lo
	v_add_f32_e32 v73, 0, v78
	v_exp_f32_e32 v85, v85
	v_cndmask_b32_e64 v80, 0, v75, s4
	v_fma_f32 v75, s19, v118, -v71
	v_cndmask_b32_e64 v81, 0, v72, s7
	v_add_f32_e32 v73, v73, v77
	v_cndmask_b32_e64 v84, 0, v83, s8
	v_cndmask_b32_e64 v86, 0, v76, s10
	v_mul_f32_e32 v75, 0x3fb8aa3b, v75
	s_delay_alu instid0(VALU_DEP_4) | instskip(NEXT) | instid1(TRANS32_DEP_1)
	v_add_f32_e32 v73, v73, v80
	v_cndmask_b32_e64 v85, 0, v85, s11
	s_delay_alu instid0(VALU_DEP_3) | instskip(NEXT) | instid1(VALU_DEP_2)
	v_exp_f32_e32 v75, v75
	v_add_f32_e32 v73, v73, v79
	s_delay_alu instid0(VALU_DEP_1) | instskip(SKIP_3) | instid1(VALU_DEP_1)
	v_add_f32_e32 v72, v73, v82
	s_waitcnt_depctr 0xfff
	v_cndmask_b32_e64 v83, 0, v75, s9
	v_add_f32_e32 v72, v72, v81
	v_add_f32_e32 v72, v72, v84
	s_delay_alu instid0(VALU_DEP_1) | instskip(NEXT) | instid1(VALU_DEP_1)
	v_add_f32_e32 v72, v72, v83
	v_add_f32_e32 v72, v72, v86
	s_delay_alu instid0(VALU_DEP_1) | instskip(SKIP_4) | instid1(VALU_DEP_4)
	v_add_f32_e32 v72, v72, v85
	v_fma_f32 v73, s19, v97, -v71
	v_fma_f32 v75, s19, v99, -v71
	;; [unrolled: 1-line block ×4, first 2 shown]
	v_mul_f32_e32 v73, 0x3fb8aa3b, v73
	s_delay_alu instid0(VALU_DEP_3) | instskip(NEXT) | instid1(VALU_DEP_2)
	v_dual_mul_f32 v75, 0x3fb8aa3b, v75 :: v_dual_mul_f32 v76, 0x3fb8aa3b, v76
	v_exp_f32_e32 v73, v73
	s_delay_alu instid0(VALU_DEP_1) | instskip(NEXT) | instid1(VALU_DEP_1)
	v_exp_f32_e32 v75, v75
	v_exp_f32_e32 v76, v76
	s_delay_alu instid0(TRANS32_DEP_3)
	v_cndmask_b32_e64 v88, 0, v73, s12
	v_mul_f32_e32 v73, 0x3fb8aa3b, v89
	v_fma_f32 v89, s19, v102, -v71
	s_waitcnt_depctr 0xfff
	v_cndmask_b32_e64 v90, 0, v75, s15
	v_add_f32_e32 v72, v72, v88
	v_exp_f32_e32 v73, v73
	v_mul_f32_e32 v75, 0x3fb8aa3b, v89
	v_cndmask_b32_e64 v89, 0, v76, s16
	s_delay_alu instid0(VALU_DEP_3) | instskip(NEXT) | instid1(VALU_DEP_3)
	v_add_f32_e32 v72, v72, v87
	v_exp_f32_e32 v75, v75
	s_delay_alu instid0(VALU_DEP_1) | instskip(SKIP_4) | instid1(VALU_DEP_2)
	v_add_f32_e32 v72, v72, v90
	s_waitcnt_depctr 0xfff
	v_cndmask_b32_e64 v92, 0, v73, s17
	v_add_f32_e32 v72, v72, v89
	v_cndmask_b32_e64 v91, 0, v75, s18
	v_add_f32_e32 v72, v72, v92
	s_delay_alu instid0(VALU_DEP_1)
	v_add_f32_e32 v72, v72, v91
	ds_bpermute_b32 v73, v74, v72
	v_cmpx_gt_u32_e32 16, v70
	s_cbranch_execz .LBB777_12
; %bb.11:
	v_mul_u32_u24_e32 v70, 0x44, v68
	s_waitcnt lgkmcnt(0)
	v_add_f32_e32 v72, v72, v73
	s_delay_alu instid0(VALU_DEP_2) | instskip(NEXT) | instid1(VALU_DEP_1)
	v_lshl_add_u32 v70, v69, 2, v70
	v_add_nc_u32_e32 v70, 0x4000, v70
	ds_store_2addr_b32 v70, v71, v72 offset1:136
.LBB777_12:
	s_or_b32 exec_lo, exec_lo, s3
	v_lshlrev_b32_e32 v70, 2, v69
	s_load_b32 s35, s[0:1], 0x94
	s_waitcnt lgkmcnt(0)
	s_barrier
	buffer_gl0_inv
	v_add_nc_u32_e32 v74, 0x4000, v70
	v_cmp_eq_u32_e32 vcc_lo, 1, v68
	v_cmp_eq_u32_e64 s3, 2, v68
	v_cmp_eq_u32_e64 s4, 3, v68
	;; [unrolled: 1-line block ×3, first 2 shown]
	ds_load_2addr_b32 v[70:71], v74 offset1:17
	ds_load_2addr_b32 v[72:73], v74 offset0:34 offset1:51
	ds_load_2addr_b32 v[93:94], v74 offset0:68 offset1:85
	;; [unrolled: 1-line block ×3, first 2 shown]
	v_cmp_eq_u32_e64 s6, 5, v68
	v_cmp_eq_u32_e64 s7, 7, v68
	s_waitcnt lgkmcnt(3)
	v_max3_f32 v75, v70, 0xff7fffff, v71
	s_waitcnt lgkmcnt(2)
	s_delay_alu instid0(VALU_DEP_1) | instskip(SKIP_1) | instid1(VALU_DEP_1)
	v_max3_f32 v75, v75, v72, v73
	s_waitcnt lgkmcnt(1)
	v_max3_f32 v75, v75, v93, v94
	s_waitcnt lgkmcnt(0)
	s_delay_alu instid0(VALU_DEP_1) | instskip(NEXT) | instid1(VALU_DEP_1)
	v_max3_f32 v75, v75, v95, v96
	v_sub_f32_e32 v93, v93, v75
	ds_load_2addr_b32 v[97:98], v74 offset0:136 offset1:153
	v_sub_f32_e32 v70, v70, v75
	v_dual_sub_f32 v100, v73, v75 :: v_dual_mul_f32 v103, 0x3fb8aa3b, v93
	s_delay_alu instid0(VALU_DEP_2) | instskip(SKIP_3) | instid1(VALU_DEP_1)
	v_dual_sub_f32 v76, v71, v75 :: v_dual_mul_f32 v99, 0x3fb8aa3b, v70
	ds_load_2addr_b32 v[70:71], v74 offset0:170 offset1:187
	v_mul_f32_e32 v76, 0x3fb8aa3b, v76
	v_exp_f32_e32 v99, v99
	v_exp_f32_e32 v102, v76
	v_mul_f32_e32 v100, 0x3fb8aa3b, v100
	s_waitcnt lgkmcnt(1)
	s_waitcnt_depctr 0xfff
	v_fma_f32 v76, v99, v97, 0
	v_sub_f32_e32 v97, v94, v75
	v_sub_f32_e32 v72, v72, v75
	v_exp_f32_e32 v100, v100
	ds_load_2addr_b32 v[93:94], v74 offset0:238 offset1:255
	v_dual_fmac_f32 v76, v102, v98 :: v_dual_mul_f32 v101, 0x3fb8aa3b, v72
	ds_load_2addr_b32 v[72:73], v74 offset0:204 offset1:221
	v_dual_sub_f32 v74, v95, v75 :: v_dual_mul_f32 v95, 0x3fb8aa3b, v97
	v_exp_f32_e32 v97, v103
	v_exp_f32_e32 v101, v101
	s_waitcnt lgkmcnt(0)
	s_delay_alu instid0(VALU_DEP_1)
	v_mul_f32_e32 v74, 0x3fb8aa3b, v74
	v_exp_f32_e32 v95, v95
	s_barrier
	buffer_gl0_inv
	v_fmac_f32_e32 v76, v101, v70
	v_sub_f32_e32 v70, v96, v75
	v_exp_f32_e32 v96, v74
	s_delay_alu instid0(VALU_DEP_2) | instskip(NEXT) | instid1(VALU_DEP_2)
	v_fmac_f32_e32 v76, v100, v71
	v_mul_f32_e32 v70, 0x3fb8aa3b, v70
	s_delay_alu instid0(VALU_DEP_2) | instskip(NEXT) | instid1(VALU_DEP_2)
	v_dual_cndmask_b32 v71, v99, v102 :: v_dual_fmac_f32 v76, v97, v72
	v_exp_f32_e32 v98, v70
	v_lshlrev_b32_e32 v72, 6, v69
	s_delay_alu instid0(VALU_DEP_2) | instskip(NEXT) | instid1(VALU_DEP_2)
	v_dual_fmac_f32 v76, v95, v73 :: v_dual_lshlrev_b32 v69, 2, v67
	v_lshl_or_b32 v74, v68, 11, v72
	s_delay_alu instid0(VALU_DEP_2)
	v_cmp_eq_u32_e64 s8, 7, v69
	s_delay_alu instid0(TRANS32_DEP_2) | instid1(VALU_DEP_3)
	v_fmac_f32_e32 v76, v96, v93
	s_waitcnt_depctr 0xfff
	v_fmac_f32_e32 v76, v98, v94
	s_delay_alu instid0(VALU_DEP_1) | instskip(NEXT) | instid1(VALU_DEP_1)
	v_add_f32_e32 v73, 0x358637bd, v76
	v_div_scale_f32 v93, null, v73, v73, 1.0
	v_div_scale_f32 v99, vcc_lo, 1.0, v73, 1.0
	s_delay_alu instid0(VALU_DEP_2) | instskip(SKIP_2) | instid1(VALU_DEP_1)
	v_rcp_f32_e32 v94, v93
	s_waitcnt_depctr 0xfff
	v_fma_f32 v70, -v93, v94, 1.0
	v_fmac_f32_e32 v94, v70, v94
	v_cndmask_b32_e64 v70, v71, v101, s3
	v_cmp_eq_u32_e64 s3, 6, v68
	v_or_b32_e32 v71, 1, v69
	v_or_b32_e32 v68, 2, v69
	v_mul_f32_e32 v101, v99, v94
	v_cndmask_b32_e64 v70, v70, v100, s4
	v_cmp_eq_u32_e64 s4, 1, v69
	v_cmp_eq_u32_e64 s9, 1, v71
	;; [unrolled: 1-line block ×3, first 2 shown]
	v_fma_f32 v100, -v93, v101, v99
	v_cndmask_b32_e64 v70, v70, v97, s5
	v_cmp_eq_u32_e64 s5, 2, v69
	v_cmp_eq_u32_e64 s12, 2, v71
	;; [unrolled: 1-line block ×3, first 2 shown]
	v_fmac_f32_e32 v101, v100, v94
	v_cndmask_b32_e64 v95, v70, v95, s6
	v_or_b32_e32 v70, 3, v69
	v_cmp_eq_u32_e64 s13, 3, v71
	v_cmp_eq_u32_e64 s17, 3, v68
	v_fma_f32 v93, -v93, v101, v99
	v_cndmask_b32_e64 v95, v95, v96, s3
	v_cmp_eq_u32_e64 s11, 1, v70
	v_cmp_eq_u32_e64 s16, 2, v70
	;; [unrolled: 1-line block ×3, first 2 shown]
	v_div_fmas_f32 v93, v93, v94, v101
	v_cndmask_b32_e64 v94, v95, v98, s7
	v_cmp_eq_u32_e32 vcc_lo, 3, v69
	v_cmp_eq_u32_e64 s3, 4, v69
	v_cmp_eq_u32_e64 s19, 4, v71
	v_div_fixup_f32 v93, v93, v73, 1.0
	v_lshl_or_b32 v73, v67, 4, v74
	v_cmp_eq_u32_e64 s22, 4, v70
	v_cmp_eq_u32_e64 s6, 5, v69
	;; [unrolled: 1-line block ×3, first 2 shown]
	v_mul_f32_e32 v101, v94, v93
	v_cmp_eq_u32_e64 s21, 4, v68
	v_cmp_eq_u32_e64 s24, 5, v70
	;; [unrolled: 1-line block ×4, first 2 shown]
	v_fma_mixlo_f16 v93, v101, v78, 0
	v_fma_mixlo_f16 v94, v101, v80, 0
	v_fma_mixlo_f16 v95, v101, v82, 0
	v_fma_mixlo_f16 v96, v101, v84, 0
	v_fma_mixlo_f16 v97, v101, v86, 0
	v_fma_mixlo_f16 v98, v101, v88, 0
	v_fma_mixlo_f16 v99, v101, v90, 0
	v_fma_mixlo_f16 v100, v101, v92, 0
	v_fma_mixhi_f16 v93, v101, v77, 0
	v_fma_mixhi_f16 v94, v101, v79, 0
	v_fma_mixhi_f16 v95, v101, v81, 0
	v_fma_mixhi_f16 v96, v101, v83, 0
	v_fma_mixhi_f16 v97, v101, v85, 0
	v_fma_mixhi_f16 v98, v101, v87, 0
	v_fma_mixhi_f16 v99, v101, v89, 0
	v_fma_mixhi_f16 v100, v101, v91, 0
	ds_store_b128 v73, v[93:96]
	ds_store_b128 v73, v[97:100] offset:1024
	s_waitcnt lgkmcnt(0)
	s_barrier
	buffer_gl0_inv
	ds_load_b128 v[77:80], v74
	ds_load_b128 v[81:84], v74 offset:16
	ds_load_b128 v[85:88], v74 offset:1024
	;; [unrolled: 1-line block ×3, first 2 shown]
	v_cmp_eq_u32_e64 s27, 6, v70
	v_cmp_eq_u32_e64 s7, 6, v69
	;; [unrolled: 1-line block ×6, first 2 shown]
	s_waitcnt lgkmcnt(3)
	v_lshrrev_b32_e32 v93, 16, v77
	s_waitcnt lgkmcnt(2)
	v_lshrrev_b32_e32 v97, 16, v81
	;; [unrolled: 2-line block ×4, first 2 shown]
	v_lshrrev_b32_e32 v94, 16, v78
	v_cndmask_b32_e64 v109, v77, v93, s4
	v_cndmask_b32_e64 v110, v81, v97, s4
	;; [unrolled: 1-line block ×8, first 2 shown]
	v_lshrrev_b32_e32 v98, 16, v82
	v_cndmask_b32_e64 v93, v85, v101, s4
	v_cndmask_b32_e64 v97, v89, v105, s4
	;; [unrolled: 1-line block ×15, first 2 shown]
	v_lshrrev_b32_e32 v102, 16, v86
	v_lshrrev_b32_e32 v106, 16, v90
	v_cndmask_b32_e64 v112, v114, v82, s15
	v_cndmask_b32_e64 v81, v93, v86, s5
	;; [unrolled: 1-line block ×7, first 2 shown]
	v_cndmask_b32_e32 v89, v101, v94, vcc_lo
	v_cndmask_b32_e32 v101, v105, v98, vcc_lo
	v_cndmask_b32_e64 v105, v109, v94, s13
	v_cndmask_b32_e64 v109, v110, v98, s13
	;; [unrolled: 1-line block ×4, first 2 shown]
	v_lshrrev_b32_e32 v95, 16, v79
	v_lshrrev_b32_e32 v99, 16, v83
	v_cndmask_b32_e64 v110, v111, v94, s17
	v_cndmask_b32_e64 v111, v112, v98, s17
	v_cndmask_b32_e32 v81, v81, v102, vcc_lo
	v_cndmask_b32_e32 v82, v82, v106, vcc_lo
	v_cndmask_b32_e64 v93, v93, v102, s13
	v_cndmask_b32_e64 v89, v89, v79, s3
	;; [unrolled: 1-line block ×7, first 2 shown]
	v_lshrrev_b32_e32 v103, 16, v87
	v_cndmask_b32_e64 v105, v110, v79, s21
	v_cndmask_b32_e64 v109, v111, v83, s21
	;; [unrolled: 1-line block ×11, first 2 shown]
	v_lshrrev_b32_e32 v96, 16, v80
	v_lshrrev_b32_e32 v100, 16, v84
	v_cndmask_b32_e64 v98, v105, v95, s23
	v_cndmask_b32_e64 v101, v109, v99, s23
	v_cndmask_b32_e64 v82, v82, v103, s20
	v_cndmask_b32_e64 v93, v93, v80, s25
	v_cndmask_b32_e64 v94, v94, v84, s25
	v_cndmask_b32_e64 v77, v77, v80, s27
	v_cndmask_b32_e64 v78, v78, v84, s27
	v_lshrrev_b32_e32 v104, 16, v88
	v_cndmask_b32_e64 v79, v79, v103, s6
	v_cndmask_b32_e64 v83, v83, v80, s7
	;; [unrolled: 1-line block ×16, first 2 shown]
	v_perm_b32 v80, v78, v77, 0x5040100
	v_perm_b32 v78, v94, v84, 0x5040100
	v_cndmask_b32_e64 v77, v118, v90, s15
	v_cndmask_b32_e64 v84, v116, v90, s12
	;; [unrolled: 1-line block ×3, first 2 shown]
	v_perm_b32 v79, v93, v89, 0x5040100
	v_cndmask_b32_e64 v89, v97, v102, s17
	v_cndmask_b32_e64 v85, v85, v102, s18
	;; [unrolled: 1-line block ×5, first 2 shown]
	v_lshrrev_b32_e32 v107, 16, v91
	v_cndmask_b32_e64 v89, v89, v87, s21
	v_cndmask_b32_e64 v85, v85, v87, s22
	;; [unrolled: 1-line block ×11, first 2 shown]
	v_lshrrev_b32_e32 v108, 16, v92
	v_cndmask_b32_e64 v81, v81, v92, s7
	v_cndmask_b32_e64 v87, v87, v88, s26
	;; [unrolled: 1-line block ×12, first 2 shown]
	v_perm_b32 v77, v83, v82, 0x5040100
	v_perm_b32 v84, v86, v85, 0x5040100
	;; [unrolled: 1-line block ×5, first 2 shown]
	s_lshl_b32 s8, s33, 3
	s_mov_b32 s3, exec_lo
	ds_store_b128 v73, v[77:80]
	ds_store_b128 v73, v[81:84] offset:1024
	v_cmpx_gt_u32_e32 8, v0
	s_cbranch_execz .LBB777_14
; %bb.13:
	v_or_b32_e32 v77, s31, v0
	s_load_b128 s[4:7], s[0:1], 0x58
	s_delay_alu instid0(VALU_DEP_1) | instskip(NEXT) | instid1(VALU_DEP_1)
	v_mad_u64_u32 v[78:79], null, s8, s34, v[77:78]
	v_mad_u64_u32 v[79:80], null, v78, s35, s[14:15]
	s_delay_alu instid0(VALU_DEP_1) | instskip(NEXT) | instid1(VALU_DEP_1)
	v_ashrrev_i32_e32 v80, 31, v79
	v_lshlrev_b64 v[77:78], 2, v[79:80]
	s_waitcnt lgkmcnt(0)
	s_delay_alu instid0(VALU_DEP_1) | instskip(NEXT) | instid1(VALU_DEP_2)
	v_add_co_u32 v79, vcc_lo, s6, v77
	v_add_co_ci_u32_e32 v80, vcc_lo, s7, v78, vcc_lo
	v_add_co_u32 v77, vcc_lo, s4, v77
	v_add_co_ci_u32_e32 v78, vcc_lo, s5, v78, vcc_lo
	global_store_b32 v[79:80], v75, off
	global_store_b32 v[77:78], v76, off
.LBB777_14:
	s_or_b32 exec_lo, exec_lo, s3
	s_waitcnt lgkmcnt(0)
	s_waitcnt_vscnt null, 0x0
	s_barrier
	buffer_gl0_inv
	ds_load_b128 v[83:86], v72
	ds_load_b128 v[87:90], v72 offset:16
	ds_load_b128 v[95:98], v72 offset:2064
	;; [unrolled: 1-line block ×5, first 2 shown]
	v_cmp_eq_u32_e32 vcc_lo, 1, v69
	v_mov_b32_e32 v75, 0
	ds_load_b128 v[111:114], v72 offset:6160
	ds_load_b128 v[107:110], v72 offset:6144
	;; [unrolled: 1-line block ×4, first 2 shown]
	v_cmp_eq_u32_e64 s4, 1, v68
	v_cmp_eq_u32_e64 s3, 1, v71
	;; [unrolled: 1-line block ×3, first 2 shown]
	v_mov_b32_e32 v76, v75
	v_mov_b32_e32 v77, v75
	v_mov_b32_e32 v78, v75
	v_mov_b32_e32 v79, v75
	v_mov_b32_e32 v80, v75
	v_mov_b32_e32 v81, v75
	v_mov_b32_e32 v82, v75
	v_cmp_eq_u32_e64 s6, 3, v71
	v_cmp_eq_u32_e64 s7, 7, v71
	s_waitcnt lgkmcnt(8)
	s_delay_alu instid0(VALU_DEP_3)
	v_wmma_f32_16x16x16_f16 v[75:82], v[49:56], v[83:90], v[75:82]
	ds_load_b128 v[53:56], v72 offset:10256
	ds_load_b128 v[49:52], v72 offset:10240
	s_waitcnt lgkmcnt(8)
	v_wmma_f32_16x16x16_f16 v[75:82], v[41:48], v[91:98], v[75:82]
	ds_load_b128 v[45:48], v72 offset:12304
	ds_load_b128 v[41:44], v72 offset:12288
	s_waitcnt lgkmcnt(8)
	;; [unrolled: 4-line block ×3, first 2 shown]
	s_barrier
	buffer_gl0_inv
	v_wmma_f32_16x16x16_f16 v[75:82], v[1:8], v[107:114], v[75:82]
	s_delay_alu instid0(VALU_DEP_1) | instskip(NEXT) | instid1(VALU_DEP_1)
	v_wmma_f32_16x16x16_f16 v[75:82], v[9:16], v[115:122], v[75:82]
	v_wmma_f32_16x16x16_f16 v[75:82], v[17:24], v[49:56], v[75:82]
	s_delay_alu instid0(VALU_DEP_1) | instskip(NEXT) | instid1(VALU_DEP_1)
	v_wmma_f32_16x16x16_f16 v[75:82], v[25:32], v[41:48], v[75:82]
	v_wmma_f32_16x16x16_f16 v[75:82], v[57:64], v[33:40], v[75:82]
	s_delay_alu instid0(VALU_DEP_1) | instskip(NEXT) | instid1(VALU_DEP_2)
	v_cvt_f16_f32_e32 v1, v75
	v_cvt_f16_f32_e32 v2, v76
	s_delay_alu instid0(VALU_DEP_3) | instskip(NEXT) | instid1(VALU_DEP_4)
	v_cvt_f16_f32_e32 v3, v77
	v_cvt_f16_f32_e32 v4, v78
	;; [unrolled: 1-line block ×6, first 2 shown]
	v_pack_b32_f16 v1, v1, v2
	v_pack_b32_f16 v2, v3, v4
	;; [unrolled: 1-line block ×3, first 2 shown]
	s_delay_alu instid0(VALU_DEP_4)
	v_pack_b32_f16 v4, v7, v8
	ds_store_b128 v73, v[1:4]
	s_waitcnt lgkmcnt(0)
	s_barrier
	buffer_gl0_inv
	ds_load_b128 v[1:4], v74
	ds_load_b128 v[5:8], v74 offset:16
	s_waitcnt lgkmcnt(1)
	v_lshrrev_b32_e32 v9, 16, v1
	s_waitcnt lgkmcnt(0)
	v_lshrrev_b32_e32 v13, 16, v5
	v_lshrrev_b32_e32 v10, 16, v2
	v_lshrrev_b32_e32 v14, 16, v6
	v_lshrrev_b32_e32 v11, 16, v3
	v_cndmask_b32_e32 v17, v1, v9, vcc_lo
	v_cndmask_b32_e32 v18, v5, v13, vcc_lo
	v_cndmask_b32_e64 v21, v1, v9, s4
	v_cmp_eq_u32_e32 vcc_lo, 1, v70
	v_cndmask_b32_e64 v22, v5, v13, s4
	v_cmp_eq_u32_e64 s4, 2, v69
	v_cndmask_b32_e64 v19, v1, v9, s3
	v_cndmask_b32_e64 v20, v5, v13, s3
	v_cndmask_b32_e32 v1, v1, v9, vcc_lo
	v_cmp_eq_u32_e64 s3, 2, v70
	v_cndmask_b32_e32 v5, v5, v13, vcc_lo
	v_cndmask_b32_e64 v9, v17, v2, s4
	v_cmp_eq_u32_e32 vcc_lo, 3, v69
	v_cndmask_b32_e64 v13, v18, v6, s4
	v_cmp_eq_u32_e64 s4, 2, v68
	v_cndmask_b32_e64 v17, v19, v2, s5
	v_cndmask_b32_e64 v18, v20, v6, s5
	v_cmp_eq_u32_e64 s5, 3, v68
	v_cndmask_b32_e64 v1, v1, v2, s3
	v_cndmask_b32_e64 v19, v21, v2, s4
	;; [unrolled: 1-line block ×4, first 2 shown]
	v_cndmask_b32_e32 v5, v9, v10, vcc_lo
	v_cndmask_b32_e32 v6, v13, v14, vcc_lo
	v_cmp_eq_u32_e32 vcc_lo, 3, v70
	v_cndmask_b32_e64 v9, v17, v10, s6
	v_cndmask_b32_e64 v13, v18, v14, s6
	;; [unrolled: 1-line block ×3, first 2 shown]
	v_cmp_eq_u32_e64 s4, 4, v69
	v_cndmask_b32_e32 v1, v1, v10, vcc_lo
	v_cndmask_b32_e32 v2, v2, v14, vcc_lo
	v_cmp_eq_u32_e32 vcc_lo, 4, v71
	v_lshrrev_b32_e32 v15, 16, v7
	v_lshrrev_b32_e32 v16, 16, v8
	v_cndmask_b32_e64 v17, v19, v10, s5
	v_cmp_eq_u32_e64 s3, 4, v70
	v_cndmask_b32_e64 v5, v5, v3, s4
	v_cndmask_b32_e64 v6, v6, v7, s4
	v_cndmask_b32_e32 v9, v9, v3, vcc_lo
	v_cmp_eq_u32_e64 s4, 5, v71
	v_cndmask_b32_e32 v10, v13, v7, vcc_lo
	v_cmp_eq_u32_e32 vcc_lo, 4, v68
	v_cmp_eq_u32_e64 s5, 5, v69
	v_cndmask_b32_e64 v2, v2, v7, s3
	v_cndmask_b32_e64 v9, v9, v11, s4
	;; [unrolled: 1-line block ×3, first 2 shown]
	v_cndmask_b32_e32 v13, v17, v3, vcc_lo
	v_cmp_eq_u32_e64 s4, 5, v68
	v_cndmask_b32_e32 v14, v18, v7, vcc_lo
	v_cndmask_b32_e64 v1, v1, v3, s3
	v_cmp_eq_u32_e32 vcc_lo, 5, v70
	v_lshrrev_b32_e32 v12, 16, v4
	v_cndmask_b32_e64 v13, v13, v11, s4
	v_cndmask_b32_e64 v3, v14, v15, s4
	v_cmp_eq_u32_e64 s4, 6, v70
	v_cndmask_b32_e32 v1, v1, v11, vcc_lo
	v_cndmask_b32_e64 v5, v5, v11, s5
	v_cmp_eq_u32_e64 s6, 6, v69
	v_cndmask_b32_e64 v6, v6, v15, s5
	v_cmp_eq_u32_e64 s5, 6, v71
	v_cmp_eq_u32_e64 s3, 6, v68
	v_cndmask_b32_e64 v1, v1, v4, s4
	v_cndmask_b32_e32 v2, v2, v15, vcc_lo
	v_cmp_eq_u32_e32 vcc_lo, 7, v70
	v_cndmask_b32_e64 v5, v5, v4, s6
	v_cndmask_b32_e64 v9, v9, v4, s5
	;; [unrolled: 1-line block ×3, first 2 shown]
	v_cmp_eq_u32_e64 s6, 7, v69
	v_cndmask_b32_e32 v1, v1, v12, vcc_lo
	v_cndmask_b32_e64 v7, v13, v4, s3
	v_cndmask_b32_e64 v3, v3, v8, s3
	;; [unrolled: 1-line block ×3, first 2 shown]
	v_cmp_eq_u32_e64 s3, 7, v68
	v_cndmask_b32_e64 v4, v10, v8, s5
	v_cndmask_b32_e64 v5, v5, v12, s6
	v_cndmask_b32_e64 v9, v9, v12, s7
	v_cndmask_b32_e32 v2, v2, v16, vcc_lo
	v_cndmask_b32_e64 v7, v7, v12, s3
	v_cndmask_b32_e64 v3, v3, v16, s3
	v_cndmask_b32_e64 v8, v4, v16, s7
	v_cndmask_b32_e64 v6, v6, v16, s6
	v_cmp_gt_u32_e32 vcc_lo, 32, v0
	v_perm_b32 v4, v2, v1, 0x5040100
	v_perm_b32 v3, v3, v7, 0x5040100
	;; [unrolled: 1-line block ×4, first 2 shown]
	s_and_b32 s2, vcc_lo, s2
	ds_store_b128 v73, v[1:4]
	s_waitcnt lgkmcnt(0)
	s_barrier
	buffer_gl0_inv
	s_and_saveexec_b32 s3, s2
	s_cbranch_execz .LBB777_2
; %bb.15:
	s_load_b64 s[0:1], s[0:1], 0x68
	s_lshl_b32 s4, s35, 6
	v_or_b32_e32 v2, s31, v67
	s_mul_i32 s2, s4, s34
	v_lshlrev_b32_e32 v1, 10, v0
	s_mul_i32 s2, s2, s8
	v_lshlrev_b32_e32 v3, 4, v66
	v_mul_lo_u32 v0, v2, s4
	s_ashr_i32 s3, s2, 31
	v_lshlrev_b32_e32 v4, 6, v67
	v_and_b32_e32 v1, 0x3800, v1
	v_or_b32_e32 v5, 2, v2
	s_lshl_b64 s[2:3], s[2:3], 1
	v_or_b32_e32 v6, 4, v2
	v_or_b32_e32 v7, 6, v2
	v_or3_b32 v12, v1, v3, v4
	v_ashrrev_i32_e32 v1, 31, v0
	v_mul_lo_u32 v2, v5, s4
	v_mul_lo_u32 v16, v6, s4
	;; [unrolled: 1-line block ×3, first 2 shown]
	s_waitcnt lgkmcnt(0)
	s_add_u32 s2, s0, s2
	s_addc_u32 s3, s1, s3
	s_lshl_b32 s0, s14, 6
	v_lshlrev_b64 v[0:1], 1, v[0:1]
	s_ashr_i32 s1, s0, 31
	v_ashrrev_i32_e32 v3, 31, v2
	s_lshl_b64 s[0:1], s[0:1], 1
	v_ashrrev_i32_e32 v17, 31, v16
	s_add_u32 s0, s2, s0
	s_addc_u32 s1, s3, s1
	v_add_co_u32 v24, s0, s0, v65
	s_delay_alu instid0(VALU_DEP_1) | instskip(SKIP_1) | instid1(VALU_DEP_3)
	v_add_co_ci_u32_e64 v25, null, s1, 0, s0
	v_lshlrev_b64 v[22:23], 1, v[2:3]
	v_add_co_u32 v18, vcc_lo, v24, v0
	s_delay_alu instid0(VALU_DEP_3)
	v_add_co_ci_u32_e32 v19, vcc_lo, v25, v1, vcc_lo
	ds_load_b128 v[0:3], v12
	ds_load_b128 v[4:7], v12 offset:128
	ds_load_b128 v[8:11], v12 offset:256
	;; [unrolled: 1-line block ×3, first 2 shown]
	v_ashrrev_i32_e32 v21, 31, v20
	v_lshlrev_b64 v[16:17], 1, v[16:17]
	v_add_co_u32 v22, vcc_lo, v24, v22
	v_add_co_ci_u32_e32 v23, vcc_lo, v25, v23, vcc_lo
	s_delay_alu instid0(VALU_DEP_4) | instskip(NEXT) | instid1(VALU_DEP_4)
	v_lshlrev_b64 v[20:21], 1, v[20:21]
	v_add_co_u32 v16, vcc_lo, v24, v16
	v_add_co_ci_u32_e32 v17, vcc_lo, v25, v17, vcc_lo
	s_delay_alu instid0(VALU_DEP_3) | instskip(NEXT) | instid1(VALU_DEP_4)
	v_add_co_u32 v20, vcc_lo, v24, v20
	v_add_co_ci_u32_e32 v21, vcc_lo, v25, v21, vcc_lo
	s_waitcnt lgkmcnt(3)
	global_store_b128 v[18:19], v[0:3], off
	s_waitcnt lgkmcnt(2)
	global_store_b128 v[22:23], v[4:7], off
	;; [unrolled: 2-line block ×4, first 2 shown]
	s_nop 0
	s_sendmsg sendmsg(MSG_DEALLOC_VGPRS)
	s_endpgm
	.section	.rodata,"a",@progbits
	.p2align	6, 0x0
	.amdhsa_kernel _Z39paged_attention_ll4mi_QKV_mfma16_kernelIDF16_hLN4vllm18Fp8KVCacheDataTypeE1EhLi16ELi64ELi256ELb1ELi8EL8MFMAType1EEvPKT_PKT0_S8_ifPKiSA_SA_iPKfiiiPfSD_PS3_PT2_iSC_SC_
		.amdhsa_group_segment_fixed_size 17472
		.amdhsa_private_segment_fixed_size 0
		.amdhsa_kernarg_size 400
		.amdhsa_user_sgpr_count 13
		.amdhsa_user_sgpr_dispatch_ptr 0
		.amdhsa_user_sgpr_queue_ptr 0
		.amdhsa_user_sgpr_kernarg_segment_ptr 1
		.amdhsa_user_sgpr_dispatch_id 0
		.amdhsa_user_sgpr_private_segment_size 0
		.amdhsa_wavefront_size32 1
		.amdhsa_uses_dynamic_stack 0
		.amdhsa_enable_private_segment 0
		.amdhsa_system_sgpr_workgroup_id_x 1
		.amdhsa_system_sgpr_workgroup_id_y 1
		.amdhsa_system_sgpr_workgroup_id_z 1
		.amdhsa_system_sgpr_workgroup_info 0
		.amdhsa_system_vgpr_workitem_id 0
		.amdhsa_next_free_vgpr 123
		.amdhsa_next_free_sgpr 40
		.amdhsa_reserve_vcc 1
		.amdhsa_float_round_mode_32 0
		.amdhsa_float_round_mode_16_64 0
		.amdhsa_float_denorm_mode_32 3
		.amdhsa_float_denorm_mode_16_64 3
		.amdhsa_dx10_clamp 1
		.amdhsa_ieee_mode 1
		.amdhsa_fp16_overflow 0
		.amdhsa_workgroup_processor_mode 1
		.amdhsa_memory_ordered 1
		.amdhsa_forward_progress 0
		.amdhsa_shared_vgpr_count 0
		.amdhsa_exception_fp_ieee_invalid_op 0
		.amdhsa_exception_fp_denorm_src 0
		.amdhsa_exception_fp_ieee_div_zero 0
		.amdhsa_exception_fp_ieee_overflow 0
		.amdhsa_exception_fp_ieee_underflow 0
		.amdhsa_exception_fp_ieee_inexact 0
		.amdhsa_exception_int_div_zero 0
	.end_amdhsa_kernel
	.section	.text._Z39paged_attention_ll4mi_QKV_mfma16_kernelIDF16_hLN4vllm18Fp8KVCacheDataTypeE1EhLi16ELi64ELi256ELb1ELi8EL8MFMAType1EEvPKT_PKT0_S8_ifPKiSA_SA_iPKfiiiPfSD_PS3_PT2_iSC_SC_,"axG",@progbits,_Z39paged_attention_ll4mi_QKV_mfma16_kernelIDF16_hLN4vllm18Fp8KVCacheDataTypeE1EhLi16ELi64ELi256ELb1ELi8EL8MFMAType1EEvPKT_PKT0_S8_ifPKiSA_SA_iPKfiiiPfSD_PS3_PT2_iSC_SC_,comdat
.Lfunc_end777:
	.size	_Z39paged_attention_ll4mi_QKV_mfma16_kernelIDF16_hLN4vllm18Fp8KVCacheDataTypeE1EhLi16ELi64ELi256ELb1ELi8EL8MFMAType1EEvPKT_PKT0_S8_ifPKiSA_SA_iPKfiiiPfSD_PS3_PT2_iSC_SC_, .Lfunc_end777-_Z39paged_attention_ll4mi_QKV_mfma16_kernelIDF16_hLN4vllm18Fp8KVCacheDataTypeE1EhLi16ELi64ELi256ELb1ELi8EL8MFMAType1EEvPKT_PKT0_S8_ifPKiSA_SA_iPKfiiiPfSD_PS3_PT2_iSC_SC_
                                        ; -- End function
	.section	.AMDGPU.csdata,"",@progbits
; Kernel info:
; codeLenInByte = 6492
; NumSgprs: 42
; NumVgprs: 123
; ScratchSize: 0
; MemoryBound: 0
; FloatMode: 240
; IeeeMode: 1
; LDSByteSize: 17472 bytes/workgroup (compile time only)
; SGPRBlocks: 5
; VGPRBlocks: 15
; NumSGPRsForWavesPerEU: 42
; NumVGPRsForWavesPerEU: 123
; Occupancy: 10
; WaveLimiterHint : 1
; COMPUTE_PGM_RSRC2:SCRATCH_EN: 0
; COMPUTE_PGM_RSRC2:USER_SGPR: 13
; COMPUTE_PGM_RSRC2:TRAP_HANDLER: 0
; COMPUTE_PGM_RSRC2:TGID_X_EN: 1
; COMPUTE_PGM_RSRC2:TGID_Y_EN: 1
; COMPUTE_PGM_RSRC2:TGID_Z_EN: 1
; COMPUTE_PGM_RSRC2:TIDIG_COMP_CNT: 0
	.section	.text._Z39paged_attention_ll4mi_QKV_mfma16_kernelIDF16_hLN4vllm18Fp8KVCacheDataTypeE1EhLi16ELi64ELi256ELb1ELi9EL8MFMAType1EEvPKT_PKT0_S8_ifPKiSA_SA_iPKfiiiPfSD_PS3_PT2_iSC_SC_,"axG",@progbits,_Z39paged_attention_ll4mi_QKV_mfma16_kernelIDF16_hLN4vllm18Fp8KVCacheDataTypeE1EhLi16ELi64ELi256ELb1ELi9EL8MFMAType1EEvPKT_PKT0_S8_ifPKiSA_SA_iPKfiiiPfSD_PS3_PT2_iSC_SC_,comdat
	.protected	_Z39paged_attention_ll4mi_QKV_mfma16_kernelIDF16_hLN4vllm18Fp8KVCacheDataTypeE1EhLi16ELi64ELi256ELb1ELi9EL8MFMAType1EEvPKT_PKT0_S8_ifPKiSA_SA_iPKfiiiPfSD_PS3_PT2_iSC_SC_ ; -- Begin function _Z39paged_attention_ll4mi_QKV_mfma16_kernelIDF16_hLN4vllm18Fp8KVCacheDataTypeE1EhLi16ELi64ELi256ELb1ELi9EL8MFMAType1EEvPKT_PKT0_S8_ifPKiSA_SA_iPKfiiiPfSD_PS3_PT2_iSC_SC_
	.globl	_Z39paged_attention_ll4mi_QKV_mfma16_kernelIDF16_hLN4vllm18Fp8KVCacheDataTypeE1EhLi16ELi64ELi256ELb1ELi9EL8MFMAType1EEvPKT_PKT0_S8_ifPKiSA_SA_iPKfiiiPfSD_PS3_PT2_iSC_SC_
	.p2align	8
	.type	_Z39paged_attention_ll4mi_QKV_mfma16_kernelIDF16_hLN4vllm18Fp8KVCacheDataTypeE1EhLi16ELi64ELi256ELb1ELi9EL8MFMAType1EEvPKT_PKT0_S8_ifPKiSA_SA_iPKfiiiPfSD_PS3_PT2_iSC_SC_,@function
_Z39paged_attention_ll4mi_QKV_mfma16_kernelIDF16_hLN4vllm18Fp8KVCacheDataTypeE1EhLi16ELi64ELi256ELb1ELi9EL8MFMAType1EEvPKT_PKT0_S8_ifPKiSA_SA_iPKfiiiPfSD_PS3_PT2_iSC_SC_: ; @_Z39paged_attention_ll4mi_QKV_mfma16_kernelIDF16_hLN4vllm18Fp8KVCacheDataTypeE1EhLi16ELi64ELi256ELb1ELi9EL8MFMAType1EEvPKT_PKT0_S8_ifPKiSA_SA_iPKfiiiPfSD_PS3_PT2_iSC_SC_
; %bb.0:
	s_load_b64 s[2:3], s[0:1], 0x30
	s_mov_b32 s34, s13
	s_waitcnt lgkmcnt(0)
	s_cmp_lg_u64 s[2:3], 0
	s_cselect_b32 s6, -1, 0
	s_ashr_i32 s35, s13, 31
	s_cmp_eq_u64 s[2:3], 0
	s_cbranch_scc1 .LBB778_3
; %bb.1:
	s_lshl_b64 s[4:5], s[34:35], 2
	s_delay_alu instid0(SALU_CYCLE_1) | instskip(SKIP_4) | instid1(SALU_CYCLE_1)
	s_add_u32 s4, s2, s4
	s_addc_u32 s5, s3, s5
	s_load_b64 s[4:5], s[4:5], 0x0
	s_waitcnt lgkmcnt(0)
	s_sub_i32 s4, s5, s4
	s_cmp_eq_u32 s4, 1
	s_cselect_b32 s4, -1, 0
	s_delay_alu instid0(SALU_CYCLE_1)
	s_and_not1_b32 vcc_lo, exec_lo, s4
	s_cbranch_vccz .LBB778_4
.LBB778_2:
	s_nop 0
	s_sendmsg sendmsg(MSG_DEALLOC_VGPRS)
	s_endpgm
.LBB778_3:
.LBB778_4:
	s_load_b64 s[8:9], s[0:1], 0x28
	s_lshl_b64 s[4:5], s[34:35], 2
	s_waitcnt lgkmcnt(0)
	s_add_u32 s8, s8, s4
	s_addc_u32 s9, s9, s5
	s_lshl_b32 s16, s14, 8
	s_load_b32 s18, s[8:9], 0x0
	s_waitcnt lgkmcnt(0)
	s_cmp_ge_i32 s16, s18
	s_cbranch_scc1 .LBB778_2
; %bb.5:
	s_clause 0x1
	s_load_b128 s[8:11], s[0:1], 0x8
	s_load_b64 s[12:13], s[0:1], 0x20
	s_and_not1_b32 vcc_lo, exec_lo, s6
	s_cbranch_vccnz .LBB778_7
; %bb.6:
	s_add_u32 s2, s2, s4
	s_addc_u32 s3, s3, s5
	s_load_b32 s3, s[2:3], 0x0
	s_branch .LBB778_8
.LBB778_7:
	s_mov_b32 s3, s34
.LBB778_8:
	s_load_b128 s[4:7], s[0:1], 0x48
	v_lshrrev_b32_e32 v69, 5, v0
	v_bfe_u32 v66, v0, 4, 1
	v_and_b32_e32 v68, 15, v0
	v_and_b32_e32 v70, 31, v0
	;; [unrolled: 1-line block ×3, first 2 shown]
	s_mul_i32 s33, s15, 9
	v_lshl_or_b32 v1, v69, 1, v66
	v_lshlrev_b32_e32 v2, 3, v68
	v_cmp_gt_u32_e64 s2, 8, v68
	s_delay_alu instid0(VALU_DEP_3) | instskip(NEXT) | instid1(VALU_DEP_3)
	v_cmp_gt_u32_e32 vcc_lo, 9, v1
	v_lshlrev_b32_e32 v65, 1, v2
	s_delay_alu instid0(VALU_DEP_3)
	s_and_b32 s17, s2, vcc_lo
	s_waitcnt lgkmcnt(0)
	s_and_saveexec_b32 s7, s17
	s_cbranch_execz .LBB778_10
; %bb.9:
	s_load_b64 s[20:21], s[0:1], 0x0
	v_add_lshl_u32 v2, v1, s33, 6
	s_mul_hi_i32 s23, s3, s4
	s_mul_i32 s22, s3, s4
	v_lshlrev_b32_e32 v6, 10, v68
	s_lshl_b64 s[22:23], s[22:23], 1
	v_ashrrev_i32_e32 v3, 31, v2
	v_lshlrev_b32_e32 v1, 6, v1
	v_lshlrev_b32_e32 v7, 10, v67
	v_and_b32_e32 v6, 0x3800, v6
	s_delay_alu instid0(VALU_DEP_4) | instskip(NEXT) | instid1(VALU_DEP_2)
	v_lshlrev_b64 v[2:3], 1, v[2:3]
	v_or3_b32 v1, v6, v7, v1
	s_waitcnt lgkmcnt(0)
	s_add_u32 s3, s20, s22
	s_addc_u32 s4, s21, s23
	s_delay_alu instid0(VALU_DEP_2) | instskip(SKIP_1) | instid1(VALU_DEP_2)
	v_add_co_u32 v2, vcc_lo, s3, v2
	v_add_co_ci_u32_e32 v3, vcc_lo, s4, v3, vcc_lo
	v_add_co_u32 v2, vcc_lo, v2, v65
	s_delay_alu instid0(VALU_DEP_2)
	v_add_co_ci_u32_e32 v3, vcc_lo, 0, v3, vcc_lo
	global_load_b128 v[2:5], v[2:3], off
	s_waitcnt vmcnt(0)
	ds_store_b128 v1, v[2:5]
.LBB778_10:
	s_or_b32 exec_lo, exec_lo, s7
	v_and_b32_e32 v1, 0xef, v0
	s_add_i32 s3, s18, 15
	s_clause 0x1
	s_load_b32 s4, s[0:1], 0x38
	s_load_b32 s35, s[0:1], 0x98
	s_ashr_i32 s7, s3, 31
	v_add_nc_u32_e32 v1, s16, v1
	s_lshr_b32 s7, s7, 28
	s_load_b32 s19, s[0:1], 0x1c
	v_add_nc_u32_e32 v103, -9, v68
	s_add_i32 s3, s3, s7
	v_ashrrev_i32_e32 v2, 31, v1
	v_or_b32_e32 v3, 16, v1
	s_ashr_i32 s3, s3, 4
	v_cmp_gt_i32_e32 vcc_lo, s18, v1
	s_add_i32 s3, s3, -1
	v_lshrrev_b32_e32 v2, 28, v2
	s_waitcnt lgkmcnt(0)
	s_barrier
	buffer_gl0_inv
	s_mul_i32 s15, s15, s6
	v_add_nc_u32_e32 v4, v1, v2
	v_mbcnt_lo_u32_b32 v127, -1, 0
	s_mul_i32 s20, s34, s4
	s_delay_alu instid0(SALU_CYCLE_1) | instskip(NEXT) | instid1(VALU_DEP_2)
	s_ashr_i32 s21, s20, 31
	v_ashrrev_i32_e32 v4, 4, v4
	v_add_nc_u32_e32 v2, v3, v2
	s_lshl_b64 s[20:21], s[20:21], 2
	v_xor_b32_e32 v128, 16, v127
	s_add_u32 s17, s12, s20
	v_cndmask_b32_e32 v1, s3, v4, vcc_lo
	v_ashrrev_i32_e32 v2, 4, v2
	v_cmp_gt_i32_e32 vcc_lo, s18, v3
	s_addc_u32 s13, s13, s21
	s_ashr_i32 s20, s15, 31
	s_add_u32 s4, s8, s15
	s_addc_u32 s12, s9, s20
	v_cndmask_b32_e32 v3, s3, v2, vcc_lo
	v_ashrrev_i32_e32 v2, 31, v1
	s_lshl_b32 s6, s14, 4
	s_delay_alu instid0(SALU_CYCLE_1) | instskip(NEXT) | instid1(VALU_DEP_2)
	s_ashr_i32 s7, s6, 31
	v_ashrrev_i32_e32 v4, 31, v3
	s_delay_alu instid0(VALU_DEP_2) | instskip(SKIP_1) | instid1(SALU_CYCLE_1)
	v_lshlrev_b64 v[1:2], 2, v[1:2]
	s_lshl_b64 s[6:7], s[6:7], 2
	s_add_u32 s6, s17, s6
	s_delay_alu instid0(VALU_DEP_2) | instskip(SKIP_1) | instid1(VALU_DEP_2)
	v_lshlrev_b64 v[3:4], 2, v[3:4]
	s_addc_u32 s7, s13, s7
	v_add_co_u32 v1, vcc_lo, s17, v1
	v_add_co_ci_u32_e32 v2, vcc_lo, s13, v2, vcc_lo
	s_delay_alu instid0(VALU_DEP_3) | instskip(NEXT) | instid1(VALU_DEP_4)
	v_add_co_u32 v3, vcc_lo, s17, v3
	v_add_co_ci_u32_e32 v4, vcc_lo, s13, v4, vcc_lo
	s_clause 0x1
	global_load_b32 v5, v[1:2], off
	global_load_b32 v7, v[3:4], off
	s_or_b32 s8, s16, 32
	v_lshlrev_b32_e32 v1, 4, v0
	s_ashr_i32 s9, s8, 4
	s_cmp_lt_i32 s8, s18
	v_cmp_gt_u32_e32 vcc_lo, 9, v68
	s_cselect_b32 s8, s9, s3
	v_and_b32_e32 v1, 0xf0, v1
	s_ashr_i32 s9, s8, 31
	s_delay_alu instid0(SALU_CYCLE_1)
	s_lshl_b64 s[8:9], s[8:9], 2
	v_cndmask_b32_e32 v103, v103, v68, vcc_lo
	s_add_u32 s8, s17, s8
	s_addc_u32 s9, s13, s9
	s_or_b32 s21, s16, 64
	v_add_co_u32 v1, s4, s4, v1
	s_ashr_i32 s22, s21, 4
	s_cmp_lt_i32 s21, s18
	v_add_co_ci_u32_e64 v2, null, s12, 0, s4
	s_cselect_b32 s22, s22, s3
	v_cmp_gt_i32_e32 vcc_lo, 32, v128
	s_ashr_i32 s23, s22, 31
	v_lshlrev_b32_e32 v115, 6, v103
	s_lshl_b64 s[22:23], s[22:23], 2
	v_cndmask_b32_e32 v136, v127, v128, vcc_lo
	s_add_u32 s22, s17, s22
	s_addc_u32 s23, s13, s23
	s_or_b32 s21, s16, 0x60
	s_delay_alu instid0(SALU_CYCLE_1) | instskip(SKIP_2) | instid1(SALU_CYCLE_1)
	s_ashr_i32 s24, s21, 4
	s_cmp_lt_i32 s21, s18
	s_cselect_b32 s24, s24, s3
	s_ashr_i32 s25, s24, 31
	s_delay_alu instid0(SALU_CYCLE_1) | instskip(NEXT) | instid1(SALU_CYCLE_1)
	s_lshl_b64 s[24:25], s[24:25], 2
	s_add_u32 s24, s17, s24
	s_addc_u32 s25, s13, s25
	s_or_b32 s21, s16, 0x80
	s_delay_alu instid0(SALU_CYCLE_1) | instskip(SKIP_2) | instid1(SALU_CYCLE_1)
	s_ashr_i32 s26, s21, 4
	s_cmp_lt_i32 s21, s18
	s_cselect_b32 s26, s26, s3
	s_ashr_i32 s27, s26, 31
	s_delay_alu instid0(SALU_CYCLE_1) | instskip(NEXT) | instid1(SALU_CYCLE_1)
	s_lshl_b64 s[26:27], s[26:27], 2
	;; [unrolled: 10-line block ×3, first 2 shown]
	s_add_u32 s28, s17, s28
	s_addc_u32 s29, s13, s29
	s_clause 0x5
	s_load_b32 s12, s[6:7], 0x0
	s_load_b32 s4, s[8:9], 0x0
	s_load_b32 s6, s[22:23], 0x0
	s_load_b32 s7, s[24:25], 0x0
	s_load_b32 s8, s[26:27], 0x0
	s_load_b32 s9, s[28:29], 0x0
	s_or_b32 s21, s16, 0xc0
	s_delay_alu instid0(SALU_CYCLE_1) | instskip(SKIP_2) | instid1(SALU_CYCLE_1)
	s_ashr_i32 s22, s21, 4
	s_cmp_lt_i32 s21, s18
	s_cselect_b32 s22, s22, s3
	s_ashr_i32 s23, s22, 31
	s_delay_alu instid0(SALU_CYCLE_1) | instskip(NEXT) | instid1(SALU_CYCLE_1)
	s_lshl_b64 s[22:23], s[22:23], 2
	s_add_u32 s22, s17, s22
	s_addc_u32 s23, s13, s23
	s_or_b32 s21, s16, 0xe0
	s_delay_alu instid0(SALU_CYCLE_1) | instskip(SKIP_2) | instid1(SALU_CYCLE_1)
	s_ashr_i32 s24, s21, 4
	s_cmp_lt_i32 s21, s18
	s_cselect_b32 s24, s24, s3
	s_ashr_i32 s25, s24, 31
	s_delay_alu instid0(SALU_CYCLE_1)
	s_lshl_b64 s[24:25], s[24:25], 2
	s_waitcnt vmcnt(1)
	v_mad_i64_i32 v[3:4], null, v5, s5, v[1:2]
	s_waitcnt vmcnt(0)
	v_mad_i64_i32 v[5:6], null, v7, s5, v[1:2]
	v_lshlrev_b32_e32 v1, 4, v68
	s_clause 0x7
	global_load_b128 v[71:74], v[3:4], off
	global_load_b128 v[75:78], v[3:4], off offset:256
	global_load_b128 v[79:82], v[5:6], off
	global_load_b128 v[83:86], v[5:6], off offset:256
	global_load_b128 v[87:90], v[3:4], off offset:512
	;; [unrolled: 1-line block ×5, first 2 shown]
	v_lshl_or_b32 v1, v69, 8, v1
	s_load_b32 s3, s[22:23], 0x0
	s_add_u32 s22, s17, s24
	s_addc_u32 s23, s13, s25
	s_add_u32 s10, s10, s15
	s_addc_u32 s11, s11, s20
	v_add_co_u32 v1, s10, s10, v1
	s_delay_alu instid0(VALU_DEP_1) | instskip(SKIP_2) | instid1(VALU_DEP_1)
	v_add_co_ci_u32_e64 v2, null, s11, 0, s10
	s_load_b32 s10, s[22:23], 0x0
	s_waitcnt lgkmcnt(0)
	v_mad_i64_i32 v[3:4], null, s12, s5, v[1:2]
	v_mad_i64_i32 v[9:10], null, s7, s5, v[1:2]
	v_mad_i64_i32 v[5:6], null, s4, s5, v[1:2]
	v_mad_i64_i32 v[13:14], null, s8, s5, v[1:2]
	v_mad_i64_i32 v[7:8], null, s6, s5, v[1:2]
	v_mad_i64_i32 v[21:22], null, s9, s5, v[1:2]
	v_mad_i64_i32 v[29:30], null, s3, s5, v[1:2]
	s_clause 0x5
	global_load_b128 v[49:52], v[3:4], off
	global_load_b128 v[53:56], v[3:4], off offset:16
	global_load_b128 v[41:44], v[5:6], off
	global_load_b128 v[45:48], v[5:6], off offset:16
	;; [unrolled: 2-line block ×3, first 2 shown]
	s_mov_b32 s4, 0
	v_mad_i64_i32 v[61:62], null, s10, s5, v[1:2]
	s_clause 0x9
	global_load_b128 v[1:4], v[9:10], off
	global_load_b128 v[5:8], v[9:10], off offset:16
	global_load_b128 v[9:12], v[13:14], off
	global_load_b128 v[13:16], v[13:14], off offset:16
	;; [unrolled: 2-line block ×5, first 2 shown]
	s_mov_b32 s5, s4
	s_mov_b32 s6, s4
	;; [unrolled: 1-line block ×7, first 2 shown]
	v_and_b32_e32 v104, 0xe0, v0
	v_dual_mov_b32 v126, s11 :: v_dual_mov_b32 v125, s10
	v_dual_mov_b32 v124, s9 :: v_dual_mov_b32 v123, s8
	s_delay_alu instid0(VALU_DEP_3)
	v_add_nc_u32_e32 v111, s16, v104
	ds_load_b128 v[103:106], v115
	ds_load_b128 v[107:110], v115 offset:1024
	v_dual_mov_b32 v122, s7 :: v_dual_mov_b32 v121, s6
	v_mov_b32_e32 v120, s5
	v_or_b32_e32 v135, v111, v66
	ds_load_b128 v[111:114], v115 offset:2048
	ds_load_b128 v[115:118], v115 offset:3072
	v_mov_b32_e32 v119, s4
	s_waitcnt vmcnt(0) lgkmcnt(0)
	s_barrier
	v_or_b32_e32 v137, 2, v135
	v_or_b32_e32 v138, 4, v135
	;; [unrolled: 1-line block ×3, first 2 shown]
	v_cmp_gt_i32_e32 vcc_lo, s18, v135
	v_or_b32_e32 v140, 8, v135
	v_cmp_gt_i32_e64 s3, s18, v137
	v_or_b32_e32 v141, 10, v135
	v_cmp_gt_i32_e64 s4, s18, v138
	v_cmp_gt_i32_e64 s5, s18, v139
	v_or_b32_e32 v142, 12, v135
	v_or_b32_e32 v143, 14, v135
	v_cmp_gt_i32_e64 s6, s18, v140
	v_cmp_gt_i32_e64 s7, s18, v141
	v_or_b32_e32 v144, 16, v135
	v_or_b32_e32 v145, 18, v135
	v_cmp_gt_i32_e64 s8, s18, v142
	v_cmp_gt_i32_e64 s9, s18, v143
	buffer_gl0_inv
	v_cmp_gt_i32_e64 s10, s18, v144
	v_cmp_gt_i32_e64 s11, s18, v145
	v_wmma_f32_16x16x16_f16 v[127:134], v[71:78], v[103:110], v[119:126]
	v_wmma_f32_16x16x16_f16 v[119:126], v[79:86], v[103:110], v[119:126]
	v_or_b32_e32 v71, 20, v135
	v_or_b32_e32 v72, 22, v135
	s_delay_alu instid0(VALU_DEP_4)
	v_wmma_f32_16x16x16_f16 v[127:134], v[87:94], v[111:118], v[127:134]
	v_or_b32_e32 v73, 24, v135
	v_wmma_f32_16x16x16_f16 v[119:126], v[95:102], v[111:118], v[119:126]
	v_or_b32_e32 v74, 26, v135
	v_cmp_gt_i32_e64 s12, s18, v71
	v_dual_mul_f32 v83, s19, v128 :: v_dual_mul_f32 v84, s19, v127
	v_dual_mul_f32 v81, s19, v130 :: v_dual_mul_f32 v82, s19, v129
	;; [unrolled: 1-line block ×3, first 2 shown]
	s_delay_alu instid0(VALU_DEP_3) | instskip(NEXT) | instid1(VALU_DEP_4)
	v_cndmask_b32_e32 v84, 0xff7fffff, v84, vcc_lo
	v_cndmask_b32_e64 v83, 0xff7fffff, v83, s3
	v_mul_f32_e32 v80, s19, v131
	v_cndmask_b32_e64 v82, 0xff7fffff, v82, s4
	v_cndmask_b32_e64 v81, 0xff7fffff, v81, s5
	v_dual_mul_f32 v77, s19, v134 :: v_dual_mul_f32 v90, s19, v121
	v_max3_f32 v83, v84, 0xff7fffff, v83
	v_mul_f32_e32 v78, s19, v133
	v_cndmask_b32_e64 v80, 0xff7fffff, v80, s6
	v_cndmask_b32_e64 v79, 0xff7fffff, v79, s7
	v_mul_f32_e32 v91, s19, v120
	v_max3_f32 v81, v83, v82, v81
	v_cndmask_b32_e64 v78, 0xff7fffff, v78, s8
	v_cndmask_b32_e64 v77, 0xff7fffff, v77, s9
	v_mul_f32_e32 v89, s19, v122
	v_cmp_gt_i32_e64 s13, s18, v72
	v_max3_f32 v79, v81, v80, v79
	v_cndmask_b32_e64 v80, 0xff7fffff, v92, s10
	v_cndmask_b32_e64 v81, 0xff7fffff, v91, s11
	v_or_b32_e32 v75, 28, v135
	v_or_b32_e32 v76, 30, v135
	v_max3_f32 v77, v79, v78, v77
	v_dual_mul_f32 v87, s19, v124 :: v_dual_mul_f32 v88, s19, v123
	v_cndmask_b32_e64 v71, 0xff7fffff, v90, s12
	v_cndmask_b32_e64 v72, 0xff7fffff, v89, s13
	s_delay_alu instid0(VALU_DEP_4) | instskip(SKIP_3) | instid1(VALU_DEP_4)
	v_max3_f32 v77, v77, v80, v81
	v_cmp_gt_i32_e64 s15, s18, v73
	v_cmp_gt_i32_e64 s16, s18, v74
	v_dual_mul_f32 v85, s19, v126 :: v_dual_mul_f32 v86, s19, v125
	v_max3_f32 v71, v77, v71, v72
	s_delay_alu instid0(VALU_DEP_4) | instskip(NEXT) | instid1(VALU_DEP_4)
	v_cndmask_b32_e64 v73, 0xff7fffff, v88, s15
	v_cndmask_b32_e64 v74, 0xff7fffff, v87, s16
	v_cmp_gt_i32_e64 s17, s18, v75
	v_cmp_gt_i32_e64 s18, s18, v76
	s_delay_alu instid0(VALU_DEP_3) | instskip(NEXT) | instid1(VALU_DEP_3)
	v_max3_f32 v71, v71, v73, v74
	v_cndmask_b32_e64 v72, 0xff7fffff, v86, s17
	s_delay_alu instid0(VALU_DEP_3) | instskip(SKIP_1) | instid1(VALU_DEP_2)
	v_cndmask_b32_e64 v75, 0xff7fffff, v85, s18
	v_lshlrev_b32_e32 v73, 2, v136
	v_max3_f32 v71, v71, v72, v75
	ds_bpermute_b32 v72, v73, v71
	s_waitcnt lgkmcnt(0)
	v_max_f32_e32 v72, v72, v72
	s_delay_alu instid0(VALU_DEP_1) | instskip(NEXT) | instid1(VALU_DEP_1)
	v_max_f32_e32 v71, v71, v72
	v_fma_f32 v72, s19, v127, -v71
	v_fma_f32 v74, s19, v128, -v71
	;; [unrolled: 1-line block ×5, first 2 shown]
	v_mul_f32_e32 v72, 0x3fb8aa3b, v72
	s_delay_alu instid0(VALU_DEP_4) | instskip(NEXT) | instid1(VALU_DEP_4)
	v_dual_mul_f32 v74, 0x3fb8aa3b, v74 :: v_dual_mul_f32 v75, 0x3fb8aa3b, v75
	v_mul_f32_e32 v76, 0x3fb8aa3b, v76
	s_delay_alu instid0(VALU_DEP_4) | instskip(NEXT) | instid1(VALU_DEP_4)
	v_mul_f32_e32 v82, 0x3fb8aa3b, v80
	v_exp_f32_e32 v72, v72
	s_delay_alu instid0(VALU_DEP_3)
	v_exp_f32_e32 v74, v74
	v_exp_f32_e32 v75, v75
	;; [unrolled: 1-line block ×3, first 2 shown]
	v_fma_f32 v77, s19, v131, -v71
	v_exp_f32_e32 v84, v82
	v_cndmask_b32_e32 v79, 0, v72, vcc_lo
	v_cndmask_b32_e64 v78, 0, v74, s3
	s_delay_alu instid0(TRANS32_DEP_3) | instskip(SKIP_1) | instid1(TRANS32_DEP_2)
	v_cndmask_b32_e64 v81, 0, v75, s4
	v_fma_f32 v72, s19, v132, -v71
	v_cndmask_b32_e64 v80, 0, v76, s5
	v_add_f32_e32 v74, 0, v79
	s_delay_alu instid0(TRANS32_DEP_1) | instskip(SKIP_2) | instid1(VALU_DEP_4)
	v_cndmask_b32_e64 v85, 0, v84, s8
	v_cmp_gt_u32_e64 s3, 16, v70
	v_mul_f32_e32 v72, 0x3fb8aa3b, v72
	v_add_f32_e32 v74, v74, v78
	s_delay_alu instid0(VALU_DEP_2) | instskip(NEXT) | instid1(VALU_DEP_1)
	v_exp_f32_e32 v72, v72
	v_add_f32_e32 v74, v74, v81
	s_delay_alu instid0(VALU_DEP_1) | instskip(NEXT) | instid1(VALU_DEP_1)
	v_dual_mul_f32 v77, 0x3fb8aa3b, v77 :: v_dual_add_f32 v74, v74, v80
	v_exp_f32_e32 v77, v77
	s_waitcnt_depctr 0xfff
	v_cndmask_b32_e64 v82, 0, v72, s7
	v_cndmask_b32_e64 v83, 0, v77, s6
	s_delay_alu instid0(VALU_DEP_1) | instskip(SKIP_4) | instid1(VALU_DEP_4)
	v_add_f32_e32 v72, v74, v83
	v_fma_f32 v75, s19, v134, -v71
	v_fma_f32 v76, s19, v119, -v71
	;; [unrolled: 1-line block ×4, first 2 shown]
	v_dual_add_f32 v72, v72, v82 :: v_dual_mul_f32 v75, 0x3fb8aa3b, v75
	s_delay_alu instid0(VALU_DEP_3) | instskip(NEXT) | instid1(VALU_DEP_3)
	v_dual_mul_f32 v76, 0x3fb8aa3b, v76 :: v_dual_mul_f32 v77, 0x3fb8aa3b, v77
	v_mul_f32_e32 v74, 0x3fb8aa3b, v74
	v_fma_f32 v86, s19, v122, -v71
	s_delay_alu instid0(VALU_DEP_4) | instskip(NEXT) | instid1(VALU_DEP_3)
	v_exp_f32_e32 v75, v75
	v_exp_f32_e32 v76, v76
	;; [unrolled: 1-line block ×4, first 2 shown]
	v_mul_f32_e32 v86, 0x3fb8aa3b, v86
	s_delay_alu instid0(VALU_DEP_1)
	v_exp_f32_e32 v88, v86
	v_cndmask_b32_e64 v84, 0, v75, s9
	v_fma_f32 v75, s19, v123, -v71
	v_add_f32_e32 v72, v72, v85
	v_cndmask_b32_e64 v87, 0, v76, s10
	v_fma_f32 v76, s19, v124, -v71
	s_delay_alu instid0(TRANS32_DEP_3) | instskip(NEXT) | instid1(VALU_DEP_4)
	v_cndmask_b32_e64 v86, 0, v77, s11
	v_dual_mul_f32 v75, 0x3fb8aa3b, v75 :: v_dual_add_f32 v72, v72, v84
	v_fma_f32 v77, s19, v125, -v71
	s_delay_alu instid0(VALU_DEP_4) | instskip(SKIP_1) | instid1(VALU_DEP_4)
	v_mul_f32_e32 v76, 0x3fb8aa3b, v76
	v_cndmask_b32_e64 v89, 0, v74, s12
	v_exp_f32_e32 v75, v75
	v_add_f32_e32 v72, v72, v87
	v_mul_f32_e32 v74, 0x3fb8aa3b, v77
	v_exp_f32_e32 v76, v76
	v_cndmask_b32_e64 v88, 0, v88, s13
	v_fma_f32 v77, s19, v126, -v71
	v_add_f32_e32 v72, v72, v86
	v_exp_f32_e32 v74, v74
	s_delay_alu instid0(TRANS32_DEP_3) | instskip(NEXT) | instid1(VALU_DEP_2)
	v_cndmask_b32_e64 v91, 0, v75, s15
	v_add_f32_e32 v72, v72, v89
	v_mul_f32_e32 v75, 0x3fb8aa3b, v77
	s_delay_alu instid0(TRANS32_DEP_2) | instskip(NEXT) | instid1(VALU_DEP_3)
	v_cndmask_b32_e64 v90, 0, v76, s16
	v_add_f32_e32 v72, v72, v88
	s_delay_alu instid0(VALU_DEP_3) | instskip(NEXT) | instid1(TRANS32_DEP_2)
	v_exp_f32_e32 v75, v75
	v_cndmask_b32_e64 v93, 0, v74, s17
	s_delay_alu instid0(VALU_DEP_2) | instskip(NEXT) | instid1(VALU_DEP_1)
	v_add_f32_e32 v72, v72, v91
	v_add_f32_e32 v72, v72, v90
	s_waitcnt_depctr 0xfff
	v_cndmask_b32_e64 v92, 0, v75, s18
	v_add_f32_e32 v72, v72, v93
	s_delay_alu instid0(VALU_DEP_1)
	v_add_f32_e32 v72, v72, v92
	ds_bpermute_b32 v73, v73, v72
	s_and_saveexec_b32 s4, s3
	s_cbranch_execz .LBB778_12
; %bb.11:
	v_mul_u32_u24_e32 v70, 0x44, v69
	s_waitcnt lgkmcnt(0)
	v_add_f32_e32 v72, v72, v73
	s_delay_alu instid0(VALU_DEP_2) | instskip(NEXT) | instid1(VALU_DEP_1)
	v_lshl_add_u32 v70, v68, 2, v70
	v_add_nc_u32_e32 v70, 0x4000, v70
	ds_store_2addr_b32 v70, v71, v72 offset1:136
.LBB778_12:
	s_or_b32 exec_lo, exec_lo, s4
	v_lshlrev_b32_e32 v70, 2, v68
	s_load_b32 s36, s[0:1], 0x94
	s_waitcnt lgkmcnt(0)
	s_barrier
	buffer_gl0_inv
	v_add_nc_u32_e32 v98, 0x4000, v70
	v_cmp_eq_u32_e32 vcc_lo, 1, v69
	v_cmp_eq_u32_e64 s4, 2, v69
	v_cmp_eq_u32_e64 s5, 3, v69
	;; [unrolled: 1-line block ×3, first 2 shown]
	ds_load_2addr_b32 v[70:71], v98 offset1:17
	ds_load_2addr_b32 v[72:73], v98 offset0:34 offset1:51
	ds_load_2addr_b32 v[74:75], v98 offset0:68 offset1:85
	;; [unrolled: 1-line block ×3, first 2 shown]
	v_cmp_eq_u32_e64 s7, 5, v69
	v_cmp_eq_u32_e64 s8, 7, v69
	s_waitcnt lgkmcnt(3)
	v_max3_f32 v76, v70, 0xff7fffff, v71
	s_waitcnt lgkmcnt(2)
	s_delay_alu instid0(VALU_DEP_1) | instskip(SKIP_1) | instid1(VALU_DEP_1)
	v_max3_f32 v76, v76, v72, v73
	s_waitcnt lgkmcnt(1)
	v_max3_f32 v76, v76, v74, v75
	s_waitcnt lgkmcnt(0)
	s_delay_alu instid0(VALU_DEP_1) | instskip(NEXT) | instid1(VALU_DEP_1)
	v_max3_f32 v76, v76, v94, v95
	v_sub_f32_e32 v77, v71, v76
	ds_load_2addr_b32 v[96:97], v98 offset0:136 offset1:153
	v_sub_f32_e32 v74, v74, v76
	v_sub_f32_e32 v70, v70, v76
	;; [unrolled: 1-line block ×3, first 2 shown]
	v_dual_sub_f32 v72, v72, v76 :: v_dual_mul_f32 v77, 0x3fb8aa3b, v77
	s_delay_alu instid0(VALU_DEP_4) | instskip(NEXT) | instid1(VALU_DEP_4)
	v_mul_f32_e32 v103, 0x3fb8aa3b, v74
	v_mul_f32_e32 v99, 0x3fb8aa3b, v70
	ds_load_2addr_b32 v[70:71], v98 offset0:170 offset1:187
	v_dual_mul_f32 v101, 0x3fb8aa3b, v72 :: v_dual_mul_f32 v94, 0x3fb8aa3b, v94
	v_exp_f32_e32 v102, v77
	v_exp_f32_e32 v99, v99
	s_delay_alu instid0(VALU_DEP_1) | instskip(NEXT) | instid1(VALU_DEP_1)
	v_exp_f32_e32 v101, v101
	v_exp_f32_e32 v94, v94
	s_waitcnt lgkmcnt(1)
	s_delay_alu instid0(TRANS32_DEP_3)
	v_fma_f32 v77, v99, v96, 0
	v_sub_f32_e32 v100, v73, v76
	ds_load_2addr_b32 v[72:73], v98 offset0:204 offset1:221
	v_fmac_f32_e32 v77, v102, v97
	v_exp_f32_e32 v97, v103
	s_waitcnt lgkmcnt(1)
	s_delay_alu instid0(VALU_DEP_1)
	v_dual_fmac_f32 v77, v101, v70 :: v_dual_sub_f32 v96, v75, v76
	ds_load_2addr_b32 v[74:75], v98 offset0:238 offset1:255
	v_sub_f32_e32 v70, v95, v76
	s_waitcnt lgkmcnt(0)
	s_barrier
	v_mul_f32_e32 v96, 0x3fb8aa3b, v96
	buffer_gl0_inv
	v_exp_f32_e32 v95, v96
	v_mul_f32_e32 v100, 0x3fb8aa3b, v100
	s_delay_alu instid0(VALU_DEP_1) | instskip(SKIP_3) | instid1(VALU_DEP_2)
	v_exp_f32_e32 v100, v100
	s_waitcnt_depctr 0xfff
	v_dual_fmac_f32 v77, v100, v71 :: v_dual_mul_f32 v70, 0x3fb8aa3b, v70
	v_cndmask_b32_e32 v71, v99, v102, vcc_lo
	v_fmac_f32_e32 v77, v97, v72
	s_delay_alu instid0(VALU_DEP_3) | instskip(NEXT) | instid1(VALU_DEP_1)
	v_exp_f32_e32 v96, v70
	v_fmac_f32_e32 v77, v95, v73
	s_delay_alu instid0(VALU_DEP_1) | instskip(SKIP_2) | instid1(VALU_DEP_1)
	v_fmac_f32_e32 v77, v94, v74
	s_waitcnt_depctr 0xfff
	v_fmac_f32_e32 v77, v96, v75
	v_add_f32_e32 v74, 0x358637bd, v77
	s_delay_alu instid0(VALU_DEP_1) | instskip(SKIP_1) | instid1(VALU_DEP_2)
	v_div_scale_f32 v98, null, v74, v74, 1.0
	v_div_scale_f32 v99, vcc_lo, 1.0, v74, 1.0
	v_rcp_f32_e32 v103, v98
	s_waitcnt_depctr 0xfff
	v_fma_f32 v70, -v98, v103, 1.0
	s_delay_alu instid0(VALU_DEP_1) | instskip(SKIP_2) | instid1(VALU_DEP_2)
	v_fmac_f32_e32 v103, v70, v103
	v_cndmask_b32_e64 v70, v71, v101, s4
	v_cmp_eq_u32_e64 s4, 6, v69
	v_cndmask_b32_e64 v71, v70, v100, s5
	s_delay_alu instid0(VALU_DEP_4) | instskip(NEXT) | instid1(VALU_DEP_2)
	v_dual_mul_f32 v101, v99, v103 :: v_dual_lshlrev_b32 v70, 2, v66
	v_cndmask_b32_e64 v71, v71, v97, s6
	s_delay_alu instid0(VALU_DEP_2) | instskip(NEXT) | instid1(VALU_DEP_3)
	v_or_b32_e32 v72, 1, v70
	v_fma_f32 v100, -v98, v101, v99
	v_cmp_eq_u32_e64 s5, 1, v70
	v_cmp_eq_u32_e64 s6, 2, v70
	v_cndmask_b32_e64 v95, v71, v95, s7
	v_or_b32_e32 v71, 3, v70
	v_fmac_f32_e32 v101, v100, v103
	v_cmp_eq_u32_e64 s10, 1, v72
	v_cmp_eq_u32_e64 s13, 2, v72
	v_cndmask_b32_e64 v94, v95, v94, s4
	v_cmp_eq_u32_e64 s12, 1, v71
	v_fma_f32 v97, -v98, v101, v99
	v_cmp_eq_u32_e64 s17, 2, v71
	v_cmp_eq_u32_e64 s15, 3, v72
	v_cndmask_b32_e64 v94, v94, v96, s8
	v_cmp_eq_u32_e64 s19, 3, v71
	v_div_fmas_f32 v95, v97, v103, v101
	v_cmp_eq_u32_e32 vcc_lo, 3, v70
	v_cmp_eq_u32_e64 s4, 4, v70
	v_cmp_eq_u32_e64 s20, 4, v72
	;; [unrolled: 1-line block ×3, first 2 shown]
	v_div_fixup_f32 v95, v95, v74, 1.0
	v_lshlrev_b32_e32 v73, 6, v68
	v_cmp_eq_u32_e64 s7, 5, v70
	v_cmp_eq_u32_e64 s21, 5, v72
	;; [unrolled: 1-line block ×3, first 2 shown]
	v_mul_f32_e32 v102, v94, v95
	v_lshl_or_b32 v75, v69, 11, v73
	v_or_b32_e32 v69, 2, v70
	v_cmp_eq_u32_e64 s26, 6, v72
	v_cmp_eq_u32_e64 s28, 6, v71
	v_fma_mixlo_f16 v94, v102, v79, 0
	v_fma_mixlo_f16 v95, v102, v81, 0
	;; [unrolled: 1-line block ×8, first 2 shown]
	v_lshl_or_b32 v74, v66, 4, v75
	v_fma_mixhi_f16 v94, v102, v78, 0
	v_fma_mixhi_f16 v95, v102, v80, 0
	;; [unrolled: 1-line block ×8, first 2 shown]
	ds_store_b128 v74, v[94:97]
	ds_store_b128 v74, v[98:101] offset:1024
	s_waitcnt lgkmcnt(0)
	s_barrier
	buffer_gl0_inv
	ds_load_b128 v[78:81], v75
	ds_load_b128 v[82:85], v75 offset:16
	ds_load_b128 v[86:89], v75 offset:1024
	;; [unrolled: 1-line block ×3, first 2 shown]
	v_cmp_eq_u32_e64 s11, 1, v69
	v_cmp_eq_u32_e64 s16, 2, v69
	;; [unrolled: 1-line block ×11, first 2 shown]
	s_waitcnt lgkmcnt(3)
	v_lshrrev_b32_e32 v94, 16, v78
	s_waitcnt lgkmcnt(2)
	v_lshrrev_b32_e32 v98, 16, v82
	s_waitcnt lgkmcnt(1)
	v_lshrrev_b32_e32 v102, 16, v86
	s_waitcnt lgkmcnt(0)
	v_lshrrev_b32_e32 v106, 16, v90
	v_lshrrev_b32_e32 v95, 16, v79
	v_cndmask_b32_e64 v110, v78, v94, s5
	v_cndmask_b32_e64 v111, v82, v98, s5
	;; [unrolled: 1-line block ×8, first 2 shown]
	v_lshrrev_b32_e32 v99, 16, v83
	v_cndmask_b32_e64 v94, v86, v102, s5
	v_cndmask_b32_e64 v98, v90, v106, s5
	;; [unrolled: 1-line block ×15, first 2 shown]
	v_lshrrev_b32_e32 v103, 16, v87
	v_lshrrev_b32_e32 v107, 16, v91
	v_cndmask_b32_e64 v113, v115, v83, s16
	v_cndmask_b32_e64 v82, v94, v87, s6
	;; [unrolled: 1-line block ×7, first 2 shown]
	v_cndmask_b32_e32 v90, v102, v95, vcc_lo
	v_cndmask_b32_e32 v102, v106, v99, vcc_lo
	v_cndmask_b32_e64 v106, v110, v95, s15
	v_cndmask_b32_e64 v110, v111, v99, s15
	;; [unrolled: 1-line block ×4, first 2 shown]
	v_lshrrev_b32_e32 v96, 16, v80
	v_lshrrev_b32_e32 v100, 16, v84
	v_cndmask_b32_e64 v111, v112, v95, s18
	v_cndmask_b32_e64 v112, v113, v99, s18
	v_cndmask_b32_e32 v82, v82, v103, vcc_lo
	v_cndmask_b32_e32 v83, v83, v107, vcc_lo
	v_cndmask_b32_e64 v94, v94, v103, s15
	v_cndmask_b32_e64 v90, v90, v80, s4
	v_cndmask_b32_e64 v95, v102, v84, s4
	v_cndmask_b32_e64 v99, v106, v80, s20
	v_cndmask_b32_e64 v102, v110, v84, s20
	v_cndmask_b32_e64 v78, v78, v80, s23
	v_cndmask_b32_e64 v79, v79, v84, s23
	v_lshrrev_b32_e32 v104, 16, v88
	v_cndmask_b32_e64 v106, v111, v80, s22
	v_cndmask_b32_e64 v110, v112, v84, s22
	;; [unrolled: 1-line block ×11, first 2 shown]
	v_lshrrev_b32_e32 v97, 16, v81
	v_lshrrev_b32_e32 v101, 16, v85
	v_cndmask_b32_e64 v99, v106, v96, s24
	v_cndmask_b32_e64 v102, v110, v100, s24
	;; [unrolled: 1-line block ×7, first 2 shown]
	v_lshrrev_b32_e32 v105, 16, v89
	v_cndmask_b32_e64 v80, v80, v104, s7
	v_cndmask_b32_e64 v84, v84, v81, s8
	;; [unrolled: 1-line block ×16, first 2 shown]
	v_perm_b32 v81, v79, v78, 0x5040100
	v_perm_b32 v79, v95, v85, 0x5040100
	v_cndmask_b32_e64 v78, v119, v91, s16
	v_cndmask_b32_e64 v85, v117, v91, s13
	;; [unrolled: 1-line block ×3, first 2 shown]
	v_perm_b32 v80, v94, v90, 0x5040100
	v_cndmask_b32_e64 v90, v98, v103, s18
	v_cndmask_b32_e64 v86, v86, v103, s19
	;; [unrolled: 1-line block ×5, first 2 shown]
	v_lshrrev_b32_e32 v108, 16, v92
	v_cndmask_b32_e64 v90, v90, v88, s22
	v_cndmask_b32_e64 v86, v86, v88, s23
	v_cndmask_b32_e64 v87, v87, v92, s23
	v_cndmask_b32_e64 v78, v78, v92, s22
	v_cndmask_b32_e64 v85, v85, v92, s20
	v_cndmask_b32_e64 v82, v82, v108, s7
	v_cndmask_b32_e64 v88, v90, v104, s24
	v_cndmask_b32_e64 v86, v86, v104, s25
	v_cndmask_b32_e64 v87, v87, v108, s25
	v_cndmask_b32_e64 v78, v78, v108, s24
	v_cndmask_b32_e64 v85, v85, v108, s21
	v_lshrrev_b32_e32 v109, 16, v93
	v_cndmask_b32_e64 v82, v82, v93, s8
	v_cndmask_b32_e64 v88, v88, v89, s27
	;; [unrolled: 1-line block ×12, first 2 shown]
	v_perm_b32 v78, v84, v83, 0x5040100
	v_perm_b32 v85, v87, v86, 0x5040100
	;; [unrolled: 1-line block ×5, first 2 shown]
	s_mul_i32 s9, s35, 9
	s_mov_b32 s4, exec_lo
	ds_store_b128 v74, v[78:81]
	ds_store_b128 v74, v[82:85] offset:1024
	v_cmpx_gt_u32_e32 9, v0
	s_cbranch_execz .LBB778_14
; %bb.13:
	s_mul_i32 s5, s9, s34
	s_load_b128 s[16:19], s[0:1], 0x58
	v_add3_u32 v68, s5, s33, v68
	s_delay_alu instid0(VALU_DEP_1) | instskip(NEXT) | instid1(VALU_DEP_1)
	v_mad_u64_u32 v[78:79], null, v68, s36, s[14:15]
	v_ashrrev_i32_e32 v79, 31, v78
	s_delay_alu instid0(VALU_DEP_1) | instskip(SKIP_1) | instid1(VALU_DEP_1)
	v_lshlrev_b64 v[78:79], 2, v[78:79]
	s_waitcnt lgkmcnt(0)
	v_add_co_u32 v80, vcc_lo, s18, v78
	s_delay_alu instid0(VALU_DEP_2)
	v_add_co_ci_u32_e32 v81, vcc_lo, s19, v79, vcc_lo
	v_add_co_u32 v78, vcc_lo, s16, v78
	v_add_co_ci_u32_e32 v79, vcc_lo, s17, v79, vcc_lo
	global_store_b32 v[80:81], v76, off
	global_store_b32 v[78:79], v77, off
.LBB778_14:
	s_or_b32 exec_lo, exec_lo, s4
	s_waitcnt lgkmcnt(0)
	s_waitcnt_vscnt null, 0x0
	s_barrier
	buffer_gl0_inv
	ds_load_b128 v[84:87], v73
	ds_load_b128 v[88:91], v73 offset:16
	ds_load_b128 v[96:99], v73 offset:2064
	;; [unrolled: 1-line block ×5, first 2 shown]
	v_cmp_eq_u32_e32 vcc_lo, 1, v70
	v_mov_b32_e32 v76, 0
	ds_load_b128 v[112:115], v73 offset:6160
	ds_load_b128 v[108:111], v73 offset:6144
	;; [unrolled: 1-line block ×4, first 2 shown]
	v_cmp_eq_u32_e64 s5, 1, v69
	v_cmp_eq_u32_e64 s4, 1, v72
	;; [unrolled: 1-line block ×3, first 2 shown]
	v_mov_b32_e32 v77, v76
	v_mov_b32_e32 v78, v76
	;; [unrolled: 1-line block ×7, first 2 shown]
	v_cmp_eq_u32_e64 s7, 3, v72
	v_cmp_eq_u32_e64 s8, 7, v72
	s_waitcnt lgkmcnt(8)
	s_delay_alu instid0(VALU_DEP_3)
	v_wmma_f32_16x16x16_f16 v[76:83], v[49:56], v[84:91], v[76:83]
	ds_load_b128 v[53:56], v73 offset:10256
	ds_load_b128 v[49:52], v73 offset:10240
	s_waitcnt lgkmcnt(8)
	v_wmma_f32_16x16x16_f16 v[76:83], v[41:48], v[92:99], v[76:83]
	ds_load_b128 v[45:48], v73 offset:12304
	ds_load_b128 v[41:44], v73 offset:12288
	s_waitcnt lgkmcnt(8)
	;; [unrolled: 4-line block ×3, first 2 shown]
	s_barrier
	buffer_gl0_inv
	v_wmma_f32_16x16x16_f16 v[76:83], v[1:8], v[108:115], v[76:83]
	s_delay_alu instid0(VALU_DEP_1) | instskip(NEXT) | instid1(VALU_DEP_1)
	v_wmma_f32_16x16x16_f16 v[76:83], v[9:16], v[116:123], v[76:83]
	v_wmma_f32_16x16x16_f16 v[76:83], v[17:24], v[49:56], v[76:83]
	s_delay_alu instid0(VALU_DEP_1) | instskip(NEXT) | instid1(VALU_DEP_1)
	v_wmma_f32_16x16x16_f16 v[76:83], v[25:32], v[41:48], v[76:83]
	v_wmma_f32_16x16x16_f16 v[76:83], v[57:64], v[33:40], v[76:83]
	s_delay_alu instid0(VALU_DEP_1) | instskip(NEXT) | instid1(VALU_DEP_2)
	v_cvt_f16_f32_e32 v1, v76
	v_cvt_f16_f32_e32 v2, v77
	s_delay_alu instid0(VALU_DEP_3) | instskip(NEXT) | instid1(VALU_DEP_4)
	v_cvt_f16_f32_e32 v3, v78
	v_cvt_f16_f32_e32 v4, v79
	;; [unrolled: 1-line block ×6, first 2 shown]
	v_pack_b32_f16 v1, v1, v2
	v_pack_b32_f16 v2, v3, v4
	;; [unrolled: 1-line block ×3, first 2 shown]
	s_delay_alu instid0(VALU_DEP_4)
	v_pack_b32_f16 v4, v7, v8
	ds_store_b128 v74, v[1:4]
	s_waitcnt lgkmcnt(0)
	s_barrier
	buffer_gl0_inv
	ds_load_b128 v[1:4], v75
	ds_load_b128 v[5:8], v75 offset:16
	s_waitcnt lgkmcnt(1)
	v_lshrrev_b32_e32 v9, 16, v1
	s_waitcnt lgkmcnt(0)
	v_lshrrev_b32_e32 v13, 16, v5
	v_lshrrev_b32_e32 v10, 16, v2
	;; [unrolled: 1-line block ×4, first 2 shown]
	v_cndmask_b32_e32 v17, v1, v9, vcc_lo
	v_cndmask_b32_e32 v18, v5, v13, vcc_lo
	v_cndmask_b32_e64 v21, v1, v9, s5
	v_cmp_eq_u32_e32 vcc_lo, 1, v71
	v_cndmask_b32_e64 v22, v5, v13, s5
	v_cmp_eq_u32_e64 s5, 2, v70
	v_cndmask_b32_e64 v19, v1, v9, s4
	v_cndmask_b32_e64 v20, v5, v13, s4
	v_cndmask_b32_e32 v1, v1, v9, vcc_lo
	v_cmp_eq_u32_e64 s4, 2, v71
	v_cndmask_b32_e32 v5, v5, v13, vcc_lo
	v_cndmask_b32_e64 v9, v17, v2, s5
	v_cmp_eq_u32_e32 vcc_lo, 3, v70
	v_cndmask_b32_e64 v13, v18, v6, s5
	v_cmp_eq_u32_e64 s5, 2, v69
	v_cndmask_b32_e64 v17, v19, v2, s6
	v_cndmask_b32_e64 v18, v20, v6, s6
	v_cmp_eq_u32_e64 s6, 3, v69
	v_cndmask_b32_e64 v1, v1, v2, s4
	v_cndmask_b32_e64 v19, v21, v2, s5
	v_cndmask_b32_e64 v20, v22, v6, s5
	v_cndmask_b32_e64 v2, v5, v6, s4
	v_cndmask_b32_e32 v5, v9, v10, vcc_lo
	v_cndmask_b32_e32 v6, v13, v14, vcc_lo
	v_cmp_eq_u32_e32 vcc_lo, 3, v71
	v_cndmask_b32_e64 v9, v17, v10, s7
	v_cndmask_b32_e64 v13, v18, v14, s7
	;; [unrolled: 1-line block ×3, first 2 shown]
	v_cmp_eq_u32_e64 s5, 4, v70
	v_cndmask_b32_e32 v1, v1, v10, vcc_lo
	v_cndmask_b32_e32 v2, v2, v14, vcc_lo
	v_cmp_eq_u32_e32 vcc_lo, 4, v72
	v_lshrrev_b32_e32 v15, 16, v7
	v_lshrrev_b32_e32 v16, 16, v8
	v_cndmask_b32_e64 v17, v19, v10, s6
	v_cmp_eq_u32_e64 s4, 4, v71
	v_cndmask_b32_e64 v5, v5, v3, s5
	v_cndmask_b32_e64 v6, v6, v7, s5
	v_cndmask_b32_e32 v9, v9, v3, vcc_lo
	v_cmp_eq_u32_e64 s5, 5, v72
	v_cndmask_b32_e32 v10, v13, v7, vcc_lo
	v_cmp_eq_u32_e32 vcc_lo, 4, v69
	v_cmp_eq_u32_e64 s6, 5, v70
	v_cndmask_b32_e64 v2, v2, v7, s4
	v_cndmask_b32_e64 v9, v9, v11, s5
	;; [unrolled: 1-line block ×3, first 2 shown]
	v_cndmask_b32_e32 v13, v17, v3, vcc_lo
	v_cmp_eq_u32_e64 s5, 5, v69
	v_cndmask_b32_e32 v14, v18, v7, vcc_lo
	v_cndmask_b32_e64 v1, v1, v3, s4
	v_cmp_eq_u32_e32 vcc_lo, 5, v71
	v_lshrrev_b32_e32 v12, 16, v4
	v_cndmask_b32_e64 v13, v13, v11, s5
	v_cndmask_b32_e64 v3, v14, v15, s5
	v_cmp_eq_u32_e64 s5, 6, v71
	v_cndmask_b32_e32 v1, v1, v11, vcc_lo
	v_cndmask_b32_e64 v5, v5, v11, s6
	v_cmp_eq_u32_e64 s7, 6, v70
	v_cndmask_b32_e64 v6, v6, v15, s6
	v_cmp_eq_u32_e64 s6, 6, v72
	v_cmp_eq_u32_e64 s4, 6, v69
	v_cndmask_b32_e64 v1, v1, v4, s5
	v_cndmask_b32_e32 v2, v2, v15, vcc_lo
	v_cmp_eq_u32_e32 vcc_lo, 7, v71
	v_cndmask_b32_e64 v5, v5, v4, s7
	v_cndmask_b32_e64 v9, v9, v4, s6
	;; [unrolled: 1-line block ×3, first 2 shown]
	v_cmp_eq_u32_e64 s7, 7, v70
	v_cndmask_b32_e32 v1, v1, v12, vcc_lo
	v_cndmask_b32_e64 v7, v13, v4, s4
	v_cndmask_b32_e64 v3, v3, v8, s4
	;; [unrolled: 1-line block ×3, first 2 shown]
	v_cmp_eq_u32_e64 s4, 7, v69
	v_cndmask_b32_e64 v4, v10, v8, s6
	v_cndmask_b32_e64 v5, v5, v12, s7
	;; [unrolled: 1-line block ×3, first 2 shown]
	v_cndmask_b32_e32 v2, v2, v16, vcc_lo
	v_cndmask_b32_e64 v7, v7, v12, s4
	v_cndmask_b32_e64 v3, v3, v16, s4
	;; [unrolled: 1-line block ×4, first 2 shown]
	v_cmp_gt_u32_e32 vcc_lo, 32, v0
	v_perm_b32 v4, v2, v1, 0x5040100
	v_perm_b32 v3, v3, v7, 0x5040100
	;; [unrolled: 1-line block ×4, first 2 shown]
	s_and_b32 s2, vcc_lo, s2
	ds_store_b128 v74, v[1:4]
	s_waitcnt lgkmcnt(0)
	s_barrier
	buffer_gl0_inv
	s_and_saveexec_b32 s4, s2
	s_cbranch_execz .LBB778_2
; %bb.15:
	s_load_b64 s[4:5], s[0:1], 0x68
	v_lshlrev_b32_e32 v0, 10, v0
	v_lshlrev_b32_e32 v1, 4, v67
	s_lshl_b32 s0, s36, 6
	v_add_nc_u32_e32 v2, s33, v66
	s_mul_i32 s1, s0, s34
	s_delay_alu instid0(SALU_CYCLE_1) | instskip(SKIP_1) | instid1(VALU_DEP_2)
	s_mul_i32 s6, s1, s9
	v_and_or_b32 v0, 0x3800, v0, v1
	v_mul_lo_u32 v1, v2, s0
	s_ashr_i32 s7, s6, 31
	v_add_nc_u32_e32 v3, 2, v2
	s_lshl_b64 s[6:7], s[6:7], 1
	v_add_nc_u32_e32 v4, 4, v2
	v_add_nc_u32_e32 v5, 6, v2
	v_lshl_or_b32 v15, v66, 6, v0
	v_mul_lo_u32 v3, v3, s0
	v_ashrrev_i32_e32 v2, 31, v1
	v_mul_lo_u32 v19, v4, s0
	v_mul_lo_u32 v21, v5, s0
	s_waitcnt lgkmcnt(0)
	s_add_u32 s1, s4, s6
	s_addc_u32 s2, s5, s7
	s_lshl_b32 s4, s14, 6
	v_lshlrev_b64 v[5:6], 1, v[1:2]
	s_ashr_i32 s5, s4, 31
	v_ashrrev_i32_e32 v4, 31, v3
	s_lshl_b64 s[4:5], s[4:5], 1
	v_ashrrev_i32_e32 v20, 31, v19
	s_add_u32 s1, s1, s4
	s_addc_u32 s2, s2, s5
	v_add_co_u32 v1, s1, s1, v65
	s_delay_alu instid0(VALU_DEP_1) | instskip(SKIP_1) | instid1(VALU_DEP_3)
	v_add_co_ci_u32_e64 v2, null, s2, 0, s1
	v_lshlrev_b64 v[25:26], 1, v[3:4]
	v_add_co_u32 v23, vcc_lo, v1, v5
	s_delay_alu instid0(VALU_DEP_3)
	v_add_co_ci_u32_e32 v24, vcc_lo, v2, v6, vcc_lo
	ds_load_b128 v[3:6], v15
	ds_load_b128 v[7:10], v15 offset:128
	ds_load_b128 v[11:14], v15 offset:256
	;; [unrolled: 1-line block ×3, first 2 shown]
	v_ashrrev_i32_e32 v22, 31, v21
	v_lshlrev_b64 v[19:20], 1, v[19:20]
	v_add_co_u32 v25, vcc_lo, v1, v25
	v_add_co_ci_u32_e32 v26, vcc_lo, v2, v26, vcc_lo
	s_delay_alu instid0(VALU_DEP_4) | instskip(NEXT) | instid1(VALU_DEP_4)
	v_lshlrev_b64 v[21:22], 1, v[21:22]
	v_add_co_u32 v19, vcc_lo, v1, v19
	v_add_co_ci_u32_e32 v20, vcc_lo, v2, v20, vcc_lo
	s_delay_alu instid0(VALU_DEP_3) | instskip(NEXT) | instid1(VALU_DEP_4)
	v_add_co_u32 v21, vcc_lo, v1, v21
	v_add_co_ci_u32_e32 v22, vcc_lo, v2, v22, vcc_lo
	s_waitcnt lgkmcnt(3)
	global_store_b128 v[23:24], v[3:6], off
	s_waitcnt lgkmcnt(2)
	global_store_b128 v[25:26], v[7:10], off
	;; [unrolled: 2-line block ×4, first 2 shown]
	s_and_b32 exec_lo, exec_lo, s3
	s_cbranch_execz .LBB778_2
; %bb.16:
	ds_load_b128 v[3:6], v0 offset:512
	s_add_i32 s1, s33, 8
	s_delay_alu instid0(SALU_CYCLE_1) | instskip(NEXT) | instid1(SALU_CYCLE_1)
	s_mul_i32 s0, s1, s0
	s_ashr_i32 s1, s0, 31
	s_delay_alu instid0(SALU_CYCLE_1) | instskip(NEXT) | instid1(SALU_CYCLE_1)
	s_lshl_b64 s[0:1], s[0:1], 1
	v_add_co_u32 v0, vcc_lo, v1, s0
	v_add_co_ci_u32_e32 v1, vcc_lo, s1, v2, vcc_lo
	s_waitcnt lgkmcnt(0)
	global_store_b128 v[0:1], v[3:6], off
	s_nop 0
	s_sendmsg sendmsg(MSG_DEALLOC_VGPRS)
	s_endpgm
	.section	.rodata,"a",@progbits
	.p2align	6, 0x0
	.amdhsa_kernel _Z39paged_attention_ll4mi_QKV_mfma16_kernelIDF16_hLN4vllm18Fp8KVCacheDataTypeE1EhLi16ELi64ELi256ELb1ELi9EL8MFMAType1EEvPKT_PKT0_S8_ifPKiSA_SA_iPKfiiiPfSD_PS3_PT2_iSC_SC_
		.amdhsa_group_segment_fixed_size 17472
		.amdhsa_private_segment_fixed_size 0
		.amdhsa_kernarg_size 400
		.amdhsa_user_sgpr_count 13
		.amdhsa_user_sgpr_dispatch_ptr 0
		.amdhsa_user_sgpr_queue_ptr 0
		.amdhsa_user_sgpr_kernarg_segment_ptr 1
		.amdhsa_user_sgpr_dispatch_id 0
		.amdhsa_user_sgpr_private_segment_size 0
		.amdhsa_wavefront_size32 1
		.amdhsa_uses_dynamic_stack 0
		.amdhsa_enable_private_segment 0
		.amdhsa_system_sgpr_workgroup_id_x 1
		.amdhsa_system_sgpr_workgroup_id_y 1
		.amdhsa_system_sgpr_workgroup_id_z 1
		.amdhsa_system_sgpr_workgroup_info 0
		.amdhsa_system_vgpr_workitem_id 0
		.amdhsa_next_free_vgpr 146
		.amdhsa_next_free_sgpr 37
		.amdhsa_reserve_vcc 1
		.amdhsa_float_round_mode_32 0
		.amdhsa_float_round_mode_16_64 0
		.amdhsa_float_denorm_mode_32 3
		.amdhsa_float_denorm_mode_16_64 3
		.amdhsa_dx10_clamp 1
		.amdhsa_ieee_mode 1
		.amdhsa_fp16_overflow 0
		.amdhsa_workgroup_processor_mode 1
		.amdhsa_memory_ordered 1
		.amdhsa_forward_progress 0
		.amdhsa_shared_vgpr_count 0
		.amdhsa_exception_fp_ieee_invalid_op 0
		.amdhsa_exception_fp_denorm_src 0
		.amdhsa_exception_fp_ieee_div_zero 0
		.amdhsa_exception_fp_ieee_overflow 0
		.amdhsa_exception_fp_ieee_underflow 0
		.amdhsa_exception_fp_ieee_inexact 0
		.amdhsa_exception_int_div_zero 0
	.end_amdhsa_kernel
	.section	.text._Z39paged_attention_ll4mi_QKV_mfma16_kernelIDF16_hLN4vllm18Fp8KVCacheDataTypeE1EhLi16ELi64ELi256ELb1ELi9EL8MFMAType1EEvPKT_PKT0_S8_ifPKiSA_SA_iPKfiiiPfSD_PS3_PT2_iSC_SC_,"axG",@progbits,_Z39paged_attention_ll4mi_QKV_mfma16_kernelIDF16_hLN4vllm18Fp8KVCacheDataTypeE1EhLi16ELi64ELi256ELb1ELi9EL8MFMAType1EEvPKT_PKT0_S8_ifPKiSA_SA_iPKfiiiPfSD_PS3_PT2_iSC_SC_,comdat
.Lfunc_end778:
	.size	_Z39paged_attention_ll4mi_QKV_mfma16_kernelIDF16_hLN4vllm18Fp8KVCacheDataTypeE1EhLi16ELi64ELi256ELb1ELi9EL8MFMAType1EEvPKT_PKT0_S8_ifPKiSA_SA_iPKfiiiPfSD_PS3_PT2_iSC_SC_, .Lfunc_end778-_Z39paged_attention_ll4mi_QKV_mfma16_kernelIDF16_hLN4vllm18Fp8KVCacheDataTypeE1EhLi16ELi64ELi256ELb1ELi9EL8MFMAType1EEvPKT_PKT0_S8_ifPKiSA_SA_iPKfiiiPfSD_PS3_PT2_iSC_SC_
                                        ; -- End function
	.section	.AMDGPU.csdata,"",@progbits
; Kernel info:
; codeLenInByte = 6576
; NumSgprs: 39
; NumVgprs: 146
; ScratchSize: 0
; MemoryBound: 0
; FloatMode: 240
; IeeeMode: 1
; LDSByteSize: 17472 bytes/workgroup (compile time only)
; SGPRBlocks: 4
; VGPRBlocks: 18
; NumSGPRsForWavesPerEU: 39
; NumVGPRsForWavesPerEU: 146
; Occupancy: 9
; WaveLimiterHint : 1
; COMPUTE_PGM_RSRC2:SCRATCH_EN: 0
; COMPUTE_PGM_RSRC2:USER_SGPR: 13
; COMPUTE_PGM_RSRC2:TRAP_HANDLER: 0
; COMPUTE_PGM_RSRC2:TGID_X_EN: 1
; COMPUTE_PGM_RSRC2:TGID_Y_EN: 1
; COMPUTE_PGM_RSRC2:TGID_Z_EN: 1
; COMPUTE_PGM_RSRC2:TIDIG_COMP_CNT: 0
	.section	.text._Z39paged_attention_ll4mi_QKV_mfma16_kernelIDF16_hLN4vllm18Fp8KVCacheDataTypeE1EhLi16ELi64ELi256ELb1ELi10EL8MFMAType1EEvPKT_PKT0_S8_ifPKiSA_SA_iPKfiiiPfSD_PS3_PT2_iSC_SC_,"axG",@progbits,_Z39paged_attention_ll4mi_QKV_mfma16_kernelIDF16_hLN4vllm18Fp8KVCacheDataTypeE1EhLi16ELi64ELi256ELb1ELi10EL8MFMAType1EEvPKT_PKT0_S8_ifPKiSA_SA_iPKfiiiPfSD_PS3_PT2_iSC_SC_,comdat
	.protected	_Z39paged_attention_ll4mi_QKV_mfma16_kernelIDF16_hLN4vllm18Fp8KVCacheDataTypeE1EhLi16ELi64ELi256ELb1ELi10EL8MFMAType1EEvPKT_PKT0_S8_ifPKiSA_SA_iPKfiiiPfSD_PS3_PT2_iSC_SC_ ; -- Begin function _Z39paged_attention_ll4mi_QKV_mfma16_kernelIDF16_hLN4vllm18Fp8KVCacheDataTypeE1EhLi16ELi64ELi256ELb1ELi10EL8MFMAType1EEvPKT_PKT0_S8_ifPKiSA_SA_iPKfiiiPfSD_PS3_PT2_iSC_SC_
	.globl	_Z39paged_attention_ll4mi_QKV_mfma16_kernelIDF16_hLN4vllm18Fp8KVCacheDataTypeE1EhLi16ELi64ELi256ELb1ELi10EL8MFMAType1EEvPKT_PKT0_S8_ifPKiSA_SA_iPKfiiiPfSD_PS3_PT2_iSC_SC_
	.p2align	8
	.type	_Z39paged_attention_ll4mi_QKV_mfma16_kernelIDF16_hLN4vllm18Fp8KVCacheDataTypeE1EhLi16ELi64ELi256ELb1ELi10EL8MFMAType1EEvPKT_PKT0_S8_ifPKiSA_SA_iPKfiiiPfSD_PS3_PT2_iSC_SC_,@function
_Z39paged_attention_ll4mi_QKV_mfma16_kernelIDF16_hLN4vllm18Fp8KVCacheDataTypeE1EhLi16ELi64ELi256ELb1ELi10EL8MFMAType1EEvPKT_PKT0_S8_ifPKiSA_SA_iPKfiiiPfSD_PS3_PT2_iSC_SC_: ; @_Z39paged_attention_ll4mi_QKV_mfma16_kernelIDF16_hLN4vllm18Fp8KVCacheDataTypeE1EhLi16ELi64ELi256ELb1ELi10EL8MFMAType1EEvPKT_PKT0_S8_ifPKiSA_SA_iPKfiiiPfSD_PS3_PT2_iSC_SC_
; %bb.0:
	s_load_b64 s[2:3], s[0:1], 0x30
	s_mov_b32 s34, s13
	s_waitcnt lgkmcnt(0)
	s_cmp_lg_u64 s[2:3], 0
	s_cselect_b32 s6, -1, 0
	s_ashr_i32 s35, s13, 31
	s_cmp_eq_u64 s[2:3], 0
	s_cbranch_scc1 .LBB779_3
; %bb.1:
	s_lshl_b64 s[4:5], s[34:35], 2
	s_delay_alu instid0(SALU_CYCLE_1) | instskip(SKIP_4) | instid1(SALU_CYCLE_1)
	s_add_u32 s4, s2, s4
	s_addc_u32 s5, s3, s5
	s_load_b64 s[4:5], s[4:5], 0x0
	s_waitcnt lgkmcnt(0)
	s_sub_i32 s4, s5, s4
	s_cmp_eq_u32 s4, 1
	s_cselect_b32 s4, -1, 0
	s_delay_alu instid0(SALU_CYCLE_1)
	s_and_not1_b32 vcc_lo, exec_lo, s4
	s_cbranch_vccz .LBB779_4
.LBB779_2:
	s_endpgm
.LBB779_3:
.LBB779_4:
	s_load_b64 s[8:9], s[0:1], 0x28
	s_lshl_b64 s[4:5], s[34:35], 2
	s_waitcnt lgkmcnt(0)
	s_add_u32 s8, s8, s4
	s_addc_u32 s9, s9, s5
	s_lshl_b32 s16, s14, 8
	s_load_b32 s18, s[8:9], 0x0
	s_waitcnt lgkmcnt(0)
	s_cmp_ge_i32 s16, s18
	s_cbranch_scc1 .LBB779_2
; %bb.5:
	s_clause 0x1
	s_load_b128 s[8:11], s[0:1], 0x8
	s_load_b64 s[12:13], s[0:1], 0x20
	s_and_not1_b32 vcc_lo, exec_lo, s6
	s_cbranch_vccnz .LBB779_7
; %bb.6:
	s_add_u32 s2, s2, s4
	s_addc_u32 s3, s3, s5
	s_load_b32 s3, s[2:3], 0x0
	s_branch .LBB779_8
.LBB779_7:
	s_mov_b32 s3, s34
.LBB779_8:
	s_load_b128 s[4:7], s[0:1], 0x48
	v_and_b32_e32 v68, 15, v0
	v_cmp_gt_u32_e32 vcc_lo, 0xa0, v0
	v_lshrrev_b32_e32 v69, 5, v0
	v_and_b32_e32 v70, 31, v0
	v_and_b32_e32 v67, 1, v0
	v_lshlrev_b32_e32 v1, 3, v68
	v_cmp_gt_u32_e64 s2, 8, v68
	v_bfe_u32 v66, v0, 4, 1
	s_mul_i32 s31, s15, 10
	s_delay_alu instid0(VALU_DEP_3) | instskip(NEXT) | instid1(VALU_DEP_3)
	v_lshlrev_b32_e32 v65, 1, v1
	s_and_b32 s17, vcc_lo, s2
	s_waitcnt lgkmcnt(0)
	s_and_saveexec_b32 s7, s17
	s_cbranch_execz .LBB779_10
; %bb.9:
	s_load_b64 s[20:21], s[0:1], 0x0
	v_lshl_or_b32 v5, v69, 1, v66
	s_mul_hi_i32 s23, s3, s4
	s_mul_i32 s22, s3, s4
	v_lshlrev_b32_e32 v6, 10, v68
	s_lshl_b64 s[22:23], s[22:23], 1
	v_add_lshl_u32 v1, v5, s31, 6
	v_lshlrev_b32_e32 v5, 6, v5
	v_lshlrev_b32_e32 v7, 10, v67
	v_and_b32_e32 v6, 0x3800, v6
	s_delay_alu instid0(VALU_DEP_4) | instskip(NEXT) | instid1(VALU_DEP_2)
	v_ashrrev_i32_e32 v2, 31, v1
	v_or3_b32 v5, v6, v7, v5
	s_delay_alu instid0(VALU_DEP_2) | instskip(SKIP_3) | instid1(VALU_DEP_1)
	v_lshlrev_b64 v[1:2], 1, v[1:2]
	s_waitcnt lgkmcnt(0)
	s_add_u32 s3, s20, s22
	s_addc_u32 s4, s21, s23
	v_add_co_u32 v1, vcc_lo, s3, v1
	s_delay_alu instid0(VALU_DEP_2) | instskip(NEXT) | instid1(VALU_DEP_2)
	v_add_co_ci_u32_e32 v2, vcc_lo, s4, v2, vcc_lo
	v_add_co_u32 v1, vcc_lo, v1, v65
	s_delay_alu instid0(VALU_DEP_2)
	v_add_co_ci_u32_e32 v2, vcc_lo, 0, v2, vcc_lo
	global_load_b128 v[1:4], v[1:2], off
	s_waitcnt vmcnt(0)
	ds_store_b128 v5, v[1:4]
.LBB779_10:
	s_or_b32 exec_lo, exec_lo, s7
	v_and_b32_e32 v1, 0xef, v0
	s_add_i32 s3, s18, 15
	s_clause 0x1
	s_load_b32 s4, s[0:1], 0x38
	s_load_b32 s33, s[0:1], 0x98
	s_ashr_i32 s7, s3, 31
	v_add_nc_u32_e32 v1, s16, v1
	s_lshr_b32 s7, s7, 28
	s_load_b32 s19, s[0:1], 0x1c
	v_add_nc_u32_e32 v103, -10, v68
	s_add_i32 s3, s3, s7
	v_ashrrev_i32_e32 v2, 31, v1
	v_or_b32_e32 v3, 16, v1
	s_ashr_i32 s3, s3, 4
	v_cmp_gt_i32_e32 vcc_lo, s18, v1
	s_add_i32 s3, s3, -1
	v_lshrrev_b32_e32 v2, 28, v2
	s_waitcnt lgkmcnt(0)
	s_barrier
	buffer_gl0_inv
	s_mul_i32 s15, s15, s6
	v_add_nc_u32_e32 v4, v1, v2
	v_mbcnt_lo_u32_b32 v127, -1, 0
	s_mul_i32 s20, s34, s4
	s_delay_alu instid0(SALU_CYCLE_1) | instskip(NEXT) | instid1(VALU_DEP_2)
	s_ashr_i32 s21, s20, 31
	v_ashrrev_i32_e32 v4, 4, v4
	v_add_nc_u32_e32 v2, v3, v2
	s_lshl_b64 s[20:21], s[20:21], 2
	v_xor_b32_e32 v128, 16, v127
	s_add_u32 s17, s12, s20
	v_cndmask_b32_e32 v1, s3, v4, vcc_lo
	v_ashrrev_i32_e32 v2, 4, v2
	v_cmp_gt_i32_e32 vcc_lo, s18, v3
	s_addc_u32 s13, s13, s21
	s_ashr_i32 s20, s15, 31
	s_add_u32 s4, s8, s15
	s_addc_u32 s12, s9, s20
	v_cndmask_b32_e32 v3, s3, v2, vcc_lo
	v_ashrrev_i32_e32 v2, 31, v1
	s_lshl_b32 s6, s14, 4
	s_delay_alu instid0(SALU_CYCLE_1) | instskip(NEXT) | instid1(VALU_DEP_2)
	s_ashr_i32 s7, s6, 31
	v_ashrrev_i32_e32 v4, 31, v3
	s_delay_alu instid0(VALU_DEP_2) | instskip(SKIP_1) | instid1(SALU_CYCLE_1)
	v_lshlrev_b64 v[1:2], 2, v[1:2]
	s_lshl_b64 s[6:7], s[6:7], 2
	s_add_u32 s6, s17, s6
	s_delay_alu instid0(VALU_DEP_2) | instskip(SKIP_1) | instid1(VALU_DEP_2)
	v_lshlrev_b64 v[3:4], 2, v[3:4]
	s_addc_u32 s7, s13, s7
	v_add_co_u32 v1, vcc_lo, s17, v1
	v_add_co_ci_u32_e32 v2, vcc_lo, s13, v2, vcc_lo
	s_delay_alu instid0(VALU_DEP_3) | instskip(NEXT) | instid1(VALU_DEP_4)
	v_add_co_u32 v3, vcc_lo, s17, v3
	v_add_co_ci_u32_e32 v4, vcc_lo, s13, v4, vcc_lo
	s_clause 0x1
	global_load_b32 v5, v[1:2], off
	global_load_b32 v7, v[3:4], off
	s_or_b32 s8, s16, 32
	v_lshlrev_b32_e32 v1, 4, v0
	s_ashr_i32 s9, s8, 4
	s_cmp_lt_i32 s8, s18
	v_cmp_gt_u32_e32 vcc_lo, 10, v68
	s_cselect_b32 s8, s9, s3
	v_and_b32_e32 v1, 0xf0, v1
	s_ashr_i32 s9, s8, 31
	s_delay_alu instid0(SALU_CYCLE_1)
	s_lshl_b64 s[8:9], s[8:9], 2
	v_cndmask_b32_e32 v103, v103, v68, vcc_lo
	s_add_u32 s8, s17, s8
	s_addc_u32 s9, s13, s9
	s_or_b32 s21, s16, 64
	v_add_co_u32 v1, s4, s4, v1
	s_ashr_i32 s22, s21, 4
	s_cmp_lt_i32 s21, s18
	v_add_co_ci_u32_e64 v2, null, s12, 0, s4
	s_cselect_b32 s22, s22, s3
	v_cmp_gt_i32_e32 vcc_lo, 32, v128
	s_ashr_i32 s23, s22, 31
	v_lshlrev_b32_e32 v115, 6, v103
	s_lshl_b64 s[22:23], s[22:23], 2
	v_cndmask_b32_e32 v136, v127, v128, vcc_lo
	s_add_u32 s22, s17, s22
	s_addc_u32 s23, s13, s23
	s_or_b32 s21, s16, 0x60
	s_delay_alu instid0(SALU_CYCLE_1) | instskip(SKIP_2) | instid1(SALU_CYCLE_1)
	s_ashr_i32 s24, s21, 4
	s_cmp_lt_i32 s21, s18
	s_cselect_b32 s24, s24, s3
	s_ashr_i32 s25, s24, 31
	s_delay_alu instid0(SALU_CYCLE_1) | instskip(NEXT) | instid1(SALU_CYCLE_1)
	s_lshl_b64 s[24:25], s[24:25], 2
	s_add_u32 s24, s17, s24
	s_addc_u32 s25, s13, s25
	s_or_b32 s21, s16, 0x80
	s_delay_alu instid0(SALU_CYCLE_1) | instskip(SKIP_2) | instid1(SALU_CYCLE_1)
	s_ashr_i32 s26, s21, 4
	s_cmp_lt_i32 s21, s18
	s_cselect_b32 s26, s26, s3
	s_ashr_i32 s27, s26, 31
	s_delay_alu instid0(SALU_CYCLE_1) | instskip(NEXT) | instid1(SALU_CYCLE_1)
	s_lshl_b64 s[26:27], s[26:27], 2
	;; [unrolled: 10-line block ×3, first 2 shown]
	s_add_u32 s28, s17, s28
	s_addc_u32 s29, s13, s29
	s_clause 0x5
	s_load_b32 s12, s[6:7], 0x0
	s_load_b32 s4, s[8:9], 0x0
	;; [unrolled: 1-line block ×6, first 2 shown]
	s_or_b32 s21, s16, 0xc0
	s_delay_alu instid0(SALU_CYCLE_1) | instskip(SKIP_2) | instid1(SALU_CYCLE_1)
	s_ashr_i32 s22, s21, 4
	s_cmp_lt_i32 s21, s18
	s_cselect_b32 s22, s22, s3
	s_ashr_i32 s23, s22, 31
	s_delay_alu instid0(SALU_CYCLE_1) | instskip(NEXT) | instid1(SALU_CYCLE_1)
	s_lshl_b64 s[22:23], s[22:23], 2
	s_add_u32 s22, s17, s22
	s_addc_u32 s23, s13, s23
	s_or_b32 s21, s16, 0xe0
	s_delay_alu instid0(SALU_CYCLE_1) | instskip(SKIP_2) | instid1(SALU_CYCLE_1)
	s_ashr_i32 s24, s21, 4
	s_cmp_lt_i32 s21, s18
	s_cselect_b32 s24, s24, s3
	s_ashr_i32 s25, s24, 31
	s_delay_alu instid0(SALU_CYCLE_1)
	s_lshl_b64 s[24:25], s[24:25], 2
	s_waitcnt vmcnt(1)
	v_mad_i64_i32 v[3:4], null, v5, s5, v[1:2]
	s_waitcnt vmcnt(0)
	v_mad_i64_i32 v[5:6], null, v7, s5, v[1:2]
	v_lshlrev_b32_e32 v1, 4, v68
	s_clause 0x7
	global_load_b128 v[71:74], v[3:4], off
	global_load_b128 v[75:78], v[3:4], off offset:256
	global_load_b128 v[79:82], v[5:6], off
	global_load_b128 v[83:86], v[5:6], off offset:256
	global_load_b128 v[87:90], v[3:4], off offset:512
	;; [unrolled: 1-line block ×5, first 2 shown]
	v_lshl_or_b32 v1, v69, 8, v1
	s_load_b32 s3, s[22:23], 0x0
	s_add_u32 s22, s17, s24
	s_addc_u32 s23, s13, s25
	s_add_u32 s10, s10, s15
	s_addc_u32 s11, s11, s20
	v_add_co_u32 v1, s10, s10, v1
	s_delay_alu instid0(VALU_DEP_1) | instskip(SKIP_2) | instid1(VALU_DEP_1)
	v_add_co_ci_u32_e64 v2, null, s11, 0, s10
	s_load_b32 s10, s[22:23], 0x0
	s_waitcnt lgkmcnt(0)
	v_mad_i64_i32 v[3:4], null, s12, s5, v[1:2]
	v_mad_i64_i32 v[9:10], null, s7, s5, v[1:2]
	;; [unrolled: 1-line block ×7, first 2 shown]
	s_clause 0x5
	global_load_b128 v[49:52], v[3:4], off
	global_load_b128 v[53:56], v[3:4], off offset:16
	global_load_b128 v[41:44], v[5:6], off
	global_load_b128 v[45:48], v[5:6], off offset:16
	global_load_b128 v[33:36], v[7:8], off
	global_load_b128 v[37:40], v[7:8], off offset:16
	s_mov_b32 s4, 0
	v_mad_i64_i32 v[61:62], null, s10, s5, v[1:2]
	s_clause 0x9
	global_load_b128 v[1:4], v[9:10], off
	global_load_b128 v[5:8], v[9:10], off offset:16
	global_load_b128 v[9:12], v[13:14], off
	global_load_b128 v[13:16], v[13:14], off offset:16
	;; [unrolled: 2-line block ×5, first 2 shown]
	s_mov_b32 s5, s4
	s_mov_b32 s6, s4
	;; [unrolled: 1-line block ×7, first 2 shown]
	v_and_b32_e32 v104, 0xe0, v0
	v_dual_mov_b32 v126, s11 :: v_dual_mov_b32 v125, s10
	v_dual_mov_b32 v124, s9 :: v_dual_mov_b32 v123, s8
	s_delay_alu instid0(VALU_DEP_3)
	v_add_nc_u32_e32 v111, s16, v104
	ds_load_b128 v[103:106], v115
	ds_load_b128 v[107:110], v115 offset:1024
	v_dual_mov_b32 v122, s7 :: v_dual_mov_b32 v121, s6
	v_mov_b32_e32 v120, s5
	v_or_b32_e32 v135, v111, v66
	ds_load_b128 v[111:114], v115 offset:2048
	ds_load_b128 v[115:118], v115 offset:3072
	v_mov_b32_e32 v119, s4
	s_waitcnt vmcnt(0) lgkmcnt(0)
	s_barrier
	v_or_b32_e32 v137, 2, v135
	v_or_b32_e32 v138, 4, v135
	v_or_b32_e32 v139, 6, v135
	v_cmp_gt_i32_e32 vcc_lo, s18, v135
	v_or_b32_e32 v140, 8, v135
	v_cmp_gt_i32_e64 s3, s18, v137
	v_or_b32_e32 v141, 10, v135
	v_cmp_gt_i32_e64 s4, s18, v138
	v_cmp_gt_i32_e64 s5, s18, v139
	v_or_b32_e32 v142, 12, v135
	v_or_b32_e32 v143, 14, v135
	v_cmp_gt_i32_e64 s6, s18, v140
	v_cmp_gt_i32_e64 s7, s18, v141
	v_or_b32_e32 v144, 16, v135
	v_or_b32_e32 v145, 18, v135
	v_cmp_gt_i32_e64 s8, s18, v142
	v_cmp_gt_i32_e64 s9, s18, v143
	buffer_gl0_inv
	v_cmp_gt_i32_e64 s10, s18, v144
	v_cmp_gt_i32_e64 s11, s18, v145
	v_wmma_f32_16x16x16_f16 v[127:134], v[71:78], v[103:110], v[119:126]
	v_wmma_f32_16x16x16_f16 v[119:126], v[79:86], v[103:110], v[119:126]
	v_or_b32_e32 v71, 20, v135
	v_or_b32_e32 v72, 22, v135
	s_delay_alu instid0(VALU_DEP_4)
	v_wmma_f32_16x16x16_f16 v[127:134], v[87:94], v[111:118], v[127:134]
	v_or_b32_e32 v73, 24, v135
	v_wmma_f32_16x16x16_f16 v[119:126], v[95:102], v[111:118], v[119:126]
	v_or_b32_e32 v74, 26, v135
	v_cmp_gt_i32_e64 s12, s18, v71
	v_dual_mul_f32 v83, s19, v128 :: v_dual_mul_f32 v84, s19, v127
	v_dual_mul_f32 v81, s19, v130 :: v_dual_mul_f32 v82, s19, v129
	;; [unrolled: 1-line block ×3, first 2 shown]
	s_delay_alu instid0(VALU_DEP_3) | instskip(NEXT) | instid1(VALU_DEP_4)
	v_cndmask_b32_e32 v84, 0xff7fffff, v84, vcc_lo
	v_cndmask_b32_e64 v83, 0xff7fffff, v83, s3
	v_mul_f32_e32 v80, s19, v131
	v_cndmask_b32_e64 v82, 0xff7fffff, v82, s4
	v_cndmask_b32_e64 v81, 0xff7fffff, v81, s5
	v_dual_mul_f32 v77, s19, v134 :: v_dual_mul_f32 v90, s19, v121
	v_max3_f32 v83, v84, 0xff7fffff, v83
	v_mul_f32_e32 v78, s19, v133
	v_cndmask_b32_e64 v80, 0xff7fffff, v80, s6
	v_cndmask_b32_e64 v79, 0xff7fffff, v79, s7
	v_mul_f32_e32 v91, s19, v120
	v_max3_f32 v81, v83, v82, v81
	v_cndmask_b32_e64 v78, 0xff7fffff, v78, s8
	v_cndmask_b32_e64 v77, 0xff7fffff, v77, s9
	v_mul_f32_e32 v89, s19, v122
	v_cmp_gt_i32_e64 s13, s18, v72
	v_max3_f32 v79, v81, v80, v79
	v_cndmask_b32_e64 v80, 0xff7fffff, v92, s10
	v_cndmask_b32_e64 v81, 0xff7fffff, v91, s11
	v_or_b32_e32 v75, 28, v135
	v_or_b32_e32 v76, 30, v135
	v_max3_f32 v77, v79, v78, v77
	v_dual_mul_f32 v87, s19, v124 :: v_dual_mul_f32 v88, s19, v123
	v_cndmask_b32_e64 v71, 0xff7fffff, v90, s12
	v_cndmask_b32_e64 v72, 0xff7fffff, v89, s13
	s_delay_alu instid0(VALU_DEP_4) | instskip(SKIP_3) | instid1(VALU_DEP_4)
	v_max3_f32 v77, v77, v80, v81
	v_cmp_gt_i32_e64 s15, s18, v73
	v_cmp_gt_i32_e64 s16, s18, v74
	v_dual_mul_f32 v85, s19, v126 :: v_dual_mul_f32 v86, s19, v125
	v_max3_f32 v71, v77, v71, v72
	s_delay_alu instid0(VALU_DEP_4) | instskip(NEXT) | instid1(VALU_DEP_4)
	v_cndmask_b32_e64 v73, 0xff7fffff, v88, s15
	v_cndmask_b32_e64 v74, 0xff7fffff, v87, s16
	v_cmp_gt_i32_e64 s17, s18, v75
	v_cmp_gt_i32_e64 s18, s18, v76
	s_delay_alu instid0(VALU_DEP_3) | instskip(NEXT) | instid1(VALU_DEP_3)
	v_max3_f32 v71, v71, v73, v74
	v_cndmask_b32_e64 v72, 0xff7fffff, v86, s17
	s_delay_alu instid0(VALU_DEP_3) | instskip(SKIP_1) | instid1(VALU_DEP_2)
	v_cndmask_b32_e64 v75, 0xff7fffff, v85, s18
	v_lshlrev_b32_e32 v73, 2, v136
	v_max3_f32 v71, v71, v72, v75
	ds_bpermute_b32 v72, v73, v71
	s_waitcnt lgkmcnt(0)
	v_max_f32_e32 v72, v72, v72
	s_delay_alu instid0(VALU_DEP_1) | instskip(NEXT) | instid1(VALU_DEP_1)
	v_max_f32_e32 v71, v71, v72
	v_fma_f32 v72, s19, v127, -v71
	v_fma_f32 v74, s19, v128, -v71
	;; [unrolled: 1-line block ×5, first 2 shown]
	v_mul_f32_e32 v72, 0x3fb8aa3b, v72
	s_delay_alu instid0(VALU_DEP_4) | instskip(NEXT) | instid1(VALU_DEP_4)
	v_dual_mul_f32 v74, 0x3fb8aa3b, v74 :: v_dual_mul_f32 v75, 0x3fb8aa3b, v75
	v_mul_f32_e32 v76, 0x3fb8aa3b, v76
	s_delay_alu instid0(VALU_DEP_4) | instskip(NEXT) | instid1(VALU_DEP_4)
	v_mul_f32_e32 v82, 0x3fb8aa3b, v80
	v_exp_f32_e32 v72, v72
	s_delay_alu instid0(VALU_DEP_3)
	v_exp_f32_e32 v74, v74
	v_exp_f32_e32 v75, v75
	;; [unrolled: 1-line block ×3, first 2 shown]
	v_fma_f32 v77, s19, v131, -v71
	v_exp_f32_e32 v84, v82
	v_cndmask_b32_e32 v79, 0, v72, vcc_lo
	v_cndmask_b32_e64 v78, 0, v74, s3
	s_delay_alu instid0(TRANS32_DEP_3) | instskip(SKIP_1) | instid1(TRANS32_DEP_2)
	v_cndmask_b32_e64 v81, 0, v75, s4
	v_fma_f32 v72, s19, v132, -v71
	v_cndmask_b32_e64 v80, 0, v76, s5
	v_add_f32_e32 v74, 0, v79
	s_delay_alu instid0(TRANS32_DEP_1) | instskip(SKIP_2) | instid1(VALU_DEP_3)
	v_cndmask_b32_e64 v85, 0, v84, s8
	s_mov_b32 s3, exec_lo
	v_mul_f32_e32 v72, 0x3fb8aa3b, v72
	v_add_f32_e32 v74, v74, v78
	s_delay_alu instid0(VALU_DEP_2) | instskip(NEXT) | instid1(VALU_DEP_1)
	v_exp_f32_e32 v72, v72
	v_add_f32_e32 v74, v74, v81
	s_delay_alu instid0(VALU_DEP_1) | instskip(NEXT) | instid1(VALU_DEP_1)
	v_dual_mul_f32 v77, 0x3fb8aa3b, v77 :: v_dual_add_f32 v74, v74, v80
	v_exp_f32_e32 v77, v77
	s_waitcnt_depctr 0xfff
	v_cndmask_b32_e64 v82, 0, v72, s7
	v_cndmask_b32_e64 v83, 0, v77, s6
	s_delay_alu instid0(VALU_DEP_1) | instskip(SKIP_4) | instid1(VALU_DEP_4)
	v_add_f32_e32 v72, v74, v83
	v_fma_f32 v75, s19, v134, -v71
	v_fma_f32 v76, s19, v119, -v71
	;; [unrolled: 1-line block ×4, first 2 shown]
	v_dual_add_f32 v72, v72, v82 :: v_dual_mul_f32 v75, 0x3fb8aa3b, v75
	s_delay_alu instid0(VALU_DEP_3) | instskip(NEXT) | instid1(VALU_DEP_3)
	v_dual_mul_f32 v76, 0x3fb8aa3b, v76 :: v_dual_mul_f32 v77, 0x3fb8aa3b, v77
	v_mul_f32_e32 v74, 0x3fb8aa3b, v74
	v_fma_f32 v86, s19, v122, -v71
	s_delay_alu instid0(VALU_DEP_4) | instskip(NEXT) | instid1(VALU_DEP_3)
	v_exp_f32_e32 v75, v75
	v_exp_f32_e32 v76, v76
	;; [unrolled: 1-line block ×4, first 2 shown]
	v_mul_f32_e32 v86, 0x3fb8aa3b, v86
	s_delay_alu instid0(VALU_DEP_1)
	v_exp_f32_e32 v88, v86
	v_cndmask_b32_e64 v84, 0, v75, s9
	v_fma_f32 v75, s19, v123, -v71
	v_add_f32_e32 v72, v72, v85
	v_cndmask_b32_e64 v87, 0, v76, s10
	v_fma_f32 v76, s19, v124, -v71
	s_delay_alu instid0(TRANS32_DEP_3) | instskip(NEXT) | instid1(VALU_DEP_4)
	v_cndmask_b32_e64 v86, 0, v77, s11
	v_dual_mul_f32 v75, 0x3fb8aa3b, v75 :: v_dual_add_f32 v72, v72, v84
	v_fma_f32 v77, s19, v125, -v71
	s_delay_alu instid0(VALU_DEP_4) | instskip(SKIP_1) | instid1(VALU_DEP_4)
	v_mul_f32_e32 v76, 0x3fb8aa3b, v76
	v_cndmask_b32_e64 v89, 0, v74, s12
	v_exp_f32_e32 v75, v75
	v_add_f32_e32 v72, v72, v87
	v_mul_f32_e32 v74, 0x3fb8aa3b, v77
	v_exp_f32_e32 v76, v76
	v_cndmask_b32_e64 v88, 0, v88, s13
	v_fma_f32 v77, s19, v126, -v71
	v_add_f32_e32 v72, v72, v86
	v_exp_f32_e32 v74, v74
	s_delay_alu instid0(TRANS32_DEP_3) | instskip(NEXT) | instid1(VALU_DEP_2)
	v_cndmask_b32_e64 v91, 0, v75, s15
	v_add_f32_e32 v72, v72, v89
	v_mul_f32_e32 v75, 0x3fb8aa3b, v77
	s_delay_alu instid0(TRANS32_DEP_2) | instskip(NEXT) | instid1(VALU_DEP_3)
	v_cndmask_b32_e64 v90, 0, v76, s16
	v_add_f32_e32 v72, v72, v88
	s_delay_alu instid0(VALU_DEP_3) | instskip(NEXT) | instid1(TRANS32_DEP_2)
	v_exp_f32_e32 v75, v75
	v_cndmask_b32_e64 v93, 0, v74, s17
	s_delay_alu instid0(VALU_DEP_2) | instskip(NEXT) | instid1(VALU_DEP_1)
	v_add_f32_e32 v72, v72, v91
	v_add_f32_e32 v72, v72, v90
	s_waitcnt_depctr 0xfff
	v_cndmask_b32_e64 v92, 0, v75, s18
	v_add_f32_e32 v72, v72, v93
	s_delay_alu instid0(VALU_DEP_1)
	v_add_f32_e32 v72, v72, v92
	ds_bpermute_b32 v73, v73, v72
	v_cmpx_gt_u32_e32 16, v70
	s_cbranch_execz .LBB779_12
; %bb.11:
	v_mul_u32_u24_e32 v70, 0x44, v69
	s_waitcnt lgkmcnt(0)
	v_add_f32_e32 v72, v72, v73
	s_delay_alu instid0(VALU_DEP_2) | instskip(NEXT) | instid1(VALU_DEP_1)
	v_lshl_add_u32 v70, v68, 2, v70
	v_add_nc_u32_e32 v70, 0x4000, v70
	ds_store_2addr_b32 v70, v71, v72 offset1:136
.LBB779_12:
	s_or_b32 exec_lo, exec_lo, s3
	v_lshlrev_b32_e32 v70, 2, v68
	s_load_b32 s35, s[0:1], 0x94
	s_waitcnt lgkmcnt(0)
	s_barrier
	buffer_gl0_inv
	v_add_nc_u32_e32 v98, 0x4000, v70
	v_cmp_eq_u32_e32 vcc_lo, 1, v69
	v_cmp_eq_u32_e64 s3, 2, v69
	v_cmp_eq_u32_e64 s4, 3, v69
	;; [unrolled: 1-line block ×3, first 2 shown]
	ds_load_2addr_b32 v[70:71], v98 offset1:17
	ds_load_2addr_b32 v[72:73], v98 offset0:34 offset1:51
	ds_load_2addr_b32 v[74:75], v98 offset0:68 offset1:85
	;; [unrolled: 1-line block ×3, first 2 shown]
	v_cmp_eq_u32_e64 s6, 5, v69
	v_cmp_eq_u32_e64 s7, 7, v69
	s_waitcnt lgkmcnt(3)
	v_max3_f32 v76, v70, 0xff7fffff, v71
	s_waitcnt lgkmcnt(2)
	s_delay_alu instid0(VALU_DEP_1) | instskip(SKIP_1) | instid1(VALU_DEP_1)
	v_max3_f32 v76, v76, v72, v73
	s_waitcnt lgkmcnt(1)
	v_max3_f32 v76, v76, v74, v75
	s_waitcnt lgkmcnt(0)
	s_delay_alu instid0(VALU_DEP_1) | instskip(NEXT) | instid1(VALU_DEP_1)
	v_max3_f32 v76, v76, v94, v95
	v_sub_f32_e32 v77, v71, v76
	ds_load_2addr_b32 v[96:97], v98 offset0:136 offset1:153
	v_sub_f32_e32 v74, v74, v76
	v_sub_f32_e32 v70, v70, v76
	;; [unrolled: 1-line block ×3, first 2 shown]
	v_dual_sub_f32 v72, v72, v76 :: v_dual_mul_f32 v77, 0x3fb8aa3b, v77
	s_delay_alu instid0(VALU_DEP_4) | instskip(NEXT) | instid1(VALU_DEP_4)
	v_mul_f32_e32 v103, 0x3fb8aa3b, v74
	v_mul_f32_e32 v99, 0x3fb8aa3b, v70
	ds_load_2addr_b32 v[70:71], v98 offset0:170 offset1:187
	v_dual_mul_f32 v101, 0x3fb8aa3b, v72 :: v_dual_mul_f32 v94, 0x3fb8aa3b, v94
	v_exp_f32_e32 v102, v77
	v_exp_f32_e32 v99, v99
	s_delay_alu instid0(VALU_DEP_1) | instskip(NEXT) | instid1(VALU_DEP_1)
	v_exp_f32_e32 v101, v101
	v_exp_f32_e32 v94, v94
	s_waitcnt lgkmcnt(1)
	s_delay_alu instid0(TRANS32_DEP_3)
	v_fma_f32 v77, v99, v96, 0
	v_sub_f32_e32 v100, v73, v76
	ds_load_2addr_b32 v[72:73], v98 offset0:204 offset1:221
	v_fmac_f32_e32 v77, v102, v97
	v_exp_f32_e32 v97, v103
	s_waitcnt lgkmcnt(1)
	s_delay_alu instid0(VALU_DEP_1)
	v_dual_fmac_f32 v77, v101, v70 :: v_dual_sub_f32 v96, v75, v76
	ds_load_2addr_b32 v[74:75], v98 offset0:238 offset1:255
	v_sub_f32_e32 v70, v95, v76
	s_waitcnt lgkmcnt(0)
	s_barrier
	v_mul_f32_e32 v96, 0x3fb8aa3b, v96
	buffer_gl0_inv
	v_exp_f32_e32 v95, v96
	v_mul_f32_e32 v100, 0x3fb8aa3b, v100
	s_delay_alu instid0(VALU_DEP_1) | instskip(SKIP_3) | instid1(VALU_DEP_2)
	v_exp_f32_e32 v100, v100
	s_waitcnt_depctr 0xfff
	v_dual_fmac_f32 v77, v100, v71 :: v_dual_mul_f32 v70, 0x3fb8aa3b, v70
	v_cndmask_b32_e32 v71, v99, v102, vcc_lo
	v_fmac_f32_e32 v77, v97, v72
	s_delay_alu instid0(VALU_DEP_3) | instskip(NEXT) | instid1(VALU_DEP_1)
	v_exp_f32_e32 v96, v70
	v_fmac_f32_e32 v77, v95, v73
	s_delay_alu instid0(VALU_DEP_1) | instskip(SKIP_2) | instid1(VALU_DEP_1)
	v_fmac_f32_e32 v77, v94, v74
	s_waitcnt_depctr 0xfff
	v_fmac_f32_e32 v77, v96, v75
	v_add_f32_e32 v74, 0x358637bd, v77
	s_delay_alu instid0(VALU_DEP_1) | instskip(SKIP_1) | instid1(VALU_DEP_2)
	v_div_scale_f32 v98, null, v74, v74, 1.0
	v_div_scale_f32 v99, vcc_lo, 1.0, v74, 1.0
	v_rcp_f32_e32 v103, v98
	s_waitcnt_depctr 0xfff
	v_fma_f32 v70, -v98, v103, 1.0
	s_delay_alu instid0(VALU_DEP_1) | instskip(SKIP_2) | instid1(VALU_DEP_2)
	v_fmac_f32_e32 v103, v70, v103
	v_cndmask_b32_e64 v70, v71, v101, s3
	v_cmp_eq_u32_e64 s3, 6, v69
	v_cndmask_b32_e64 v71, v70, v100, s4
	s_delay_alu instid0(VALU_DEP_4) | instskip(NEXT) | instid1(VALU_DEP_2)
	v_dual_mul_f32 v101, v99, v103 :: v_dual_lshlrev_b32 v70, 2, v66
	v_cndmask_b32_e64 v71, v71, v97, s5
	s_delay_alu instid0(VALU_DEP_2) | instskip(NEXT) | instid1(VALU_DEP_3)
	v_or_b32_e32 v72, 1, v70
	v_fma_f32 v100, -v98, v101, v99
	v_cmp_eq_u32_e64 s4, 1, v70
	v_cmp_eq_u32_e64 s5, 2, v70
	v_cndmask_b32_e64 v95, v71, v95, s6
	v_or_b32_e32 v71, 3, v70
	v_fmac_f32_e32 v101, v100, v103
	v_cmp_eq_u32_e64 s9, 1, v72
	v_cmp_eq_u32_e64 s12, 2, v72
	v_cndmask_b32_e64 v94, v95, v94, s3
	v_cmp_eq_u32_e64 s11, 1, v71
	v_fma_f32 v97, -v98, v101, v99
	v_cmp_eq_u32_e64 s16, 2, v71
	v_cmp_eq_u32_e64 s13, 3, v72
	v_cndmask_b32_e64 v94, v94, v96, s7
	v_cmp_eq_u32_e64 s18, 3, v71
	v_div_fmas_f32 v95, v97, v103, v101
	v_cmp_eq_u32_e32 vcc_lo, 3, v70
	v_cmp_eq_u32_e64 s3, 4, v70
	v_cmp_eq_u32_e64 s19, 4, v72
	v_cmp_eq_u32_e64 s22, 4, v71
	v_div_fixup_f32 v95, v95, v74, 1.0
	v_lshlrev_b32_e32 v73, 6, v68
	v_cmp_eq_u32_e64 s6, 5, v70
	v_cmp_eq_u32_e64 s20, 5, v72
	;; [unrolled: 1-line block ×3, first 2 shown]
	v_mul_f32_e32 v102, v94, v95
	v_lshl_or_b32 v75, v69, 11, v73
	v_or_b32_e32 v69, 2, v70
	v_cmp_eq_u32_e64 s25, 6, v72
	v_cmp_eq_u32_e64 s27, 6, v71
	v_fma_mixlo_f16 v94, v102, v79, 0
	v_fma_mixlo_f16 v95, v102, v81, 0
	;; [unrolled: 1-line block ×8, first 2 shown]
	v_lshl_or_b32 v74, v66, 4, v75
	v_fma_mixhi_f16 v94, v102, v78, 0
	v_fma_mixhi_f16 v95, v102, v80, 0
	;; [unrolled: 1-line block ×8, first 2 shown]
	ds_store_b128 v74, v[94:97]
	ds_store_b128 v74, v[98:101] offset:1024
	s_waitcnt lgkmcnt(0)
	s_barrier
	buffer_gl0_inv
	ds_load_b128 v[78:81], v75
	ds_load_b128 v[82:85], v75 offset:16
	ds_load_b128 v[86:89], v75 offset:1024
	;; [unrolled: 1-line block ×3, first 2 shown]
	v_cmp_eq_u32_e64 s10, 1, v69
	v_cmp_eq_u32_e64 s15, 2, v69
	;; [unrolled: 1-line block ×11, first 2 shown]
	s_waitcnt lgkmcnt(3)
	v_lshrrev_b32_e32 v94, 16, v78
	s_waitcnt lgkmcnt(2)
	v_lshrrev_b32_e32 v98, 16, v82
	;; [unrolled: 2-line block ×4, first 2 shown]
	v_lshrrev_b32_e32 v95, 16, v79
	v_cndmask_b32_e64 v110, v78, v94, s4
	v_cndmask_b32_e64 v111, v82, v98, s4
	;; [unrolled: 1-line block ×8, first 2 shown]
	v_lshrrev_b32_e32 v99, 16, v83
	v_cndmask_b32_e64 v94, v86, v102, s4
	v_cndmask_b32_e64 v98, v90, v106, s4
	;; [unrolled: 1-line block ×15, first 2 shown]
	v_lshrrev_b32_e32 v103, 16, v87
	v_lshrrev_b32_e32 v107, 16, v91
	v_cndmask_b32_e64 v113, v115, v83, s15
	v_cndmask_b32_e64 v82, v94, v87, s5
	;; [unrolled: 1-line block ×7, first 2 shown]
	v_cndmask_b32_e32 v90, v102, v95, vcc_lo
	v_cndmask_b32_e32 v102, v106, v99, vcc_lo
	v_cndmask_b32_e64 v106, v110, v95, s13
	v_cndmask_b32_e64 v110, v111, v99, s13
	;; [unrolled: 1-line block ×4, first 2 shown]
	v_lshrrev_b32_e32 v96, 16, v80
	v_lshrrev_b32_e32 v100, 16, v84
	v_cndmask_b32_e64 v111, v112, v95, s17
	v_cndmask_b32_e64 v112, v113, v99, s17
	v_cndmask_b32_e32 v82, v82, v103, vcc_lo
	v_cndmask_b32_e32 v83, v83, v107, vcc_lo
	v_cndmask_b32_e64 v94, v94, v103, s13
	v_cndmask_b32_e64 v90, v90, v80, s3
	;; [unrolled: 1-line block ×7, first 2 shown]
	v_lshrrev_b32_e32 v104, 16, v88
	v_cndmask_b32_e64 v106, v111, v80, s21
	v_cndmask_b32_e64 v110, v112, v84, s21
	;; [unrolled: 1-line block ×11, first 2 shown]
	v_lshrrev_b32_e32 v97, 16, v81
	v_lshrrev_b32_e32 v101, 16, v85
	v_cndmask_b32_e64 v99, v106, v96, s23
	v_cndmask_b32_e64 v102, v110, v100, s23
	v_cndmask_b32_e64 v83, v83, v104, s20
	v_cndmask_b32_e64 v94, v94, v81, s25
	v_cndmask_b32_e64 v95, v95, v85, s25
	v_cndmask_b32_e64 v78, v78, v81, s27
	v_cndmask_b32_e64 v79, v79, v85, s27
	v_lshrrev_b32_e32 v105, 16, v89
	v_cndmask_b32_e64 v80, v80, v104, s6
	v_cndmask_b32_e64 v84, v84, v81, s7
	;; [unrolled: 1-line block ×16, first 2 shown]
	v_perm_b32 v81, v79, v78, 0x5040100
	v_perm_b32 v79, v95, v85, 0x5040100
	v_cndmask_b32_e64 v78, v119, v91, s15
	v_cndmask_b32_e64 v85, v117, v91, s12
	v_cndmask_b32_e64 v96, v80, v105, s8
	v_perm_b32 v80, v94, v90, 0x5040100
	v_cndmask_b32_e64 v90, v98, v103, s17
	v_cndmask_b32_e64 v86, v86, v103, s18
	;; [unrolled: 1-line block ×5, first 2 shown]
	v_lshrrev_b32_e32 v108, 16, v92
	v_cndmask_b32_e64 v90, v90, v88, s21
	v_cndmask_b32_e64 v86, v86, v88, s22
	;; [unrolled: 1-line block ×11, first 2 shown]
	v_lshrrev_b32_e32 v109, 16, v93
	v_cndmask_b32_e64 v82, v82, v93, s7
	v_cndmask_b32_e64 v88, v88, v89, s26
	;; [unrolled: 1-line block ×12, first 2 shown]
	v_perm_b32 v78, v84, v83, 0x5040100
	v_perm_b32 v85, v87, v86, 0x5040100
	;; [unrolled: 1-line block ×5, first 2 shown]
	s_mul_i32 s8, s33, 10
	s_mov_b32 s3, exec_lo
	ds_store_b128 v74, v[78:81]
	ds_store_b128 v74, v[82:85] offset:1024
	v_cmpx_gt_u32_e32 10, v0
	s_cbranch_execz .LBB779_14
; %bb.13:
	s_mul_i32 s4, s8, s34
	s_delay_alu instid0(SALU_CYCLE_1) | instskip(SKIP_1) | instid1(VALU_DEP_1)
	v_add3_u32 v68, s4, s31, v68
	s_load_b128 s[4:7], s[0:1], 0x58
	v_mad_u64_u32 v[78:79], null, v68, s35, s[14:15]
	s_delay_alu instid0(VALU_DEP_1) | instskip(NEXT) | instid1(VALU_DEP_1)
	v_ashrrev_i32_e32 v79, 31, v78
	v_lshlrev_b64 v[78:79], 2, v[78:79]
	s_waitcnt lgkmcnt(0)
	s_delay_alu instid0(VALU_DEP_1) | instskip(NEXT) | instid1(VALU_DEP_2)
	v_add_co_u32 v80, vcc_lo, s6, v78
	v_add_co_ci_u32_e32 v81, vcc_lo, s7, v79, vcc_lo
	v_add_co_u32 v78, vcc_lo, s4, v78
	v_add_co_ci_u32_e32 v79, vcc_lo, s5, v79, vcc_lo
	global_store_b32 v[80:81], v76, off
	global_store_b32 v[78:79], v77, off
.LBB779_14:
	s_or_b32 exec_lo, exec_lo, s3
	s_waitcnt lgkmcnt(0)
	s_waitcnt_vscnt null, 0x0
	s_barrier
	buffer_gl0_inv
	ds_load_b128 v[84:87], v73
	ds_load_b128 v[88:91], v73 offset:16
	ds_load_b128 v[96:99], v73 offset:2064
	;; [unrolled: 1-line block ×5, first 2 shown]
	v_cmp_eq_u32_e32 vcc_lo, 1, v70
	v_mov_b32_e32 v76, 0
	ds_load_b128 v[112:115], v73 offset:6160
	ds_load_b128 v[108:111], v73 offset:6144
	;; [unrolled: 1-line block ×4, first 2 shown]
	v_cmp_eq_u32_e64 s4, 1, v69
	v_cmp_eq_u32_e64 s3, 1, v72
	;; [unrolled: 1-line block ×3, first 2 shown]
	v_mov_b32_e32 v77, v76
	v_mov_b32_e32 v78, v76
	;; [unrolled: 1-line block ×7, first 2 shown]
	v_cmp_eq_u32_e64 s6, 3, v72
	v_cmp_eq_u32_e64 s7, 7, v72
	s_waitcnt lgkmcnt(8)
	s_delay_alu instid0(VALU_DEP_3)
	v_wmma_f32_16x16x16_f16 v[76:83], v[49:56], v[84:91], v[76:83]
	ds_load_b128 v[53:56], v73 offset:10256
	ds_load_b128 v[49:52], v73 offset:10240
	s_waitcnt lgkmcnt(8)
	v_wmma_f32_16x16x16_f16 v[76:83], v[41:48], v[92:99], v[76:83]
	ds_load_b128 v[45:48], v73 offset:12304
	ds_load_b128 v[41:44], v73 offset:12288
	s_waitcnt lgkmcnt(8)
	;; [unrolled: 4-line block ×3, first 2 shown]
	s_barrier
	buffer_gl0_inv
	v_wmma_f32_16x16x16_f16 v[76:83], v[1:8], v[108:115], v[76:83]
	s_delay_alu instid0(VALU_DEP_1) | instskip(NEXT) | instid1(VALU_DEP_1)
	v_wmma_f32_16x16x16_f16 v[76:83], v[9:16], v[116:123], v[76:83]
	v_wmma_f32_16x16x16_f16 v[76:83], v[17:24], v[49:56], v[76:83]
	s_delay_alu instid0(VALU_DEP_1) | instskip(NEXT) | instid1(VALU_DEP_1)
	v_wmma_f32_16x16x16_f16 v[76:83], v[25:32], v[41:48], v[76:83]
	v_wmma_f32_16x16x16_f16 v[76:83], v[57:64], v[33:40], v[76:83]
	s_delay_alu instid0(VALU_DEP_1) | instskip(NEXT) | instid1(VALU_DEP_2)
	v_cvt_f16_f32_e32 v1, v76
	v_cvt_f16_f32_e32 v2, v77
	s_delay_alu instid0(VALU_DEP_3) | instskip(NEXT) | instid1(VALU_DEP_4)
	v_cvt_f16_f32_e32 v3, v78
	v_cvt_f16_f32_e32 v4, v79
	;; [unrolled: 1-line block ×6, first 2 shown]
	v_pack_b32_f16 v1, v1, v2
	v_pack_b32_f16 v2, v3, v4
	;; [unrolled: 1-line block ×3, first 2 shown]
	s_delay_alu instid0(VALU_DEP_4)
	v_pack_b32_f16 v4, v7, v8
	ds_store_b128 v74, v[1:4]
	s_waitcnt lgkmcnt(0)
	s_barrier
	buffer_gl0_inv
	ds_load_b128 v[1:4], v75
	ds_load_b128 v[5:8], v75 offset:16
	s_waitcnt lgkmcnt(1)
	v_lshrrev_b32_e32 v9, 16, v1
	s_waitcnt lgkmcnt(0)
	v_lshrrev_b32_e32 v13, 16, v5
	v_lshrrev_b32_e32 v10, 16, v2
	;; [unrolled: 1-line block ×4, first 2 shown]
	v_cndmask_b32_e32 v17, v1, v9, vcc_lo
	v_cndmask_b32_e32 v18, v5, v13, vcc_lo
	v_cndmask_b32_e64 v21, v1, v9, s4
	v_cmp_eq_u32_e32 vcc_lo, 1, v71
	v_cndmask_b32_e64 v22, v5, v13, s4
	v_cmp_eq_u32_e64 s4, 2, v70
	v_cndmask_b32_e64 v19, v1, v9, s3
	v_cndmask_b32_e64 v20, v5, v13, s3
	v_cndmask_b32_e32 v1, v1, v9, vcc_lo
	v_cmp_eq_u32_e64 s3, 2, v71
	v_cndmask_b32_e32 v5, v5, v13, vcc_lo
	v_cndmask_b32_e64 v9, v17, v2, s4
	v_cmp_eq_u32_e32 vcc_lo, 3, v70
	v_cndmask_b32_e64 v13, v18, v6, s4
	v_cmp_eq_u32_e64 s4, 2, v69
	v_cndmask_b32_e64 v17, v19, v2, s5
	v_cndmask_b32_e64 v18, v20, v6, s5
	v_cmp_eq_u32_e64 s5, 3, v69
	v_cndmask_b32_e64 v1, v1, v2, s3
	v_cndmask_b32_e64 v19, v21, v2, s4
	;; [unrolled: 1-line block ×4, first 2 shown]
	v_cndmask_b32_e32 v5, v9, v10, vcc_lo
	v_cndmask_b32_e32 v6, v13, v14, vcc_lo
	v_cmp_eq_u32_e32 vcc_lo, 3, v71
	v_cndmask_b32_e64 v9, v17, v10, s6
	v_cndmask_b32_e64 v13, v18, v14, s6
	;; [unrolled: 1-line block ×3, first 2 shown]
	v_cmp_eq_u32_e64 s4, 4, v70
	v_cndmask_b32_e32 v1, v1, v10, vcc_lo
	v_cndmask_b32_e32 v2, v2, v14, vcc_lo
	v_cmp_eq_u32_e32 vcc_lo, 4, v72
	v_lshrrev_b32_e32 v15, 16, v7
	v_lshrrev_b32_e32 v16, 16, v8
	v_cndmask_b32_e64 v17, v19, v10, s5
	v_cmp_eq_u32_e64 s3, 4, v71
	v_cndmask_b32_e64 v5, v5, v3, s4
	v_cndmask_b32_e64 v6, v6, v7, s4
	v_cndmask_b32_e32 v9, v9, v3, vcc_lo
	v_cmp_eq_u32_e64 s4, 5, v72
	v_cndmask_b32_e32 v10, v13, v7, vcc_lo
	v_cmp_eq_u32_e32 vcc_lo, 4, v69
	v_cmp_eq_u32_e64 s5, 5, v70
	v_cndmask_b32_e64 v2, v2, v7, s3
	v_cndmask_b32_e64 v9, v9, v11, s4
	;; [unrolled: 1-line block ×3, first 2 shown]
	v_cndmask_b32_e32 v13, v17, v3, vcc_lo
	v_cmp_eq_u32_e64 s4, 5, v69
	v_cndmask_b32_e32 v14, v18, v7, vcc_lo
	v_cndmask_b32_e64 v1, v1, v3, s3
	v_cmp_eq_u32_e32 vcc_lo, 5, v71
	v_lshrrev_b32_e32 v12, 16, v4
	v_cndmask_b32_e64 v13, v13, v11, s4
	v_cndmask_b32_e64 v3, v14, v15, s4
	v_cmp_eq_u32_e64 s4, 6, v71
	v_cndmask_b32_e32 v1, v1, v11, vcc_lo
	v_cndmask_b32_e64 v5, v5, v11, s5
	v_cmp_eq_u32_e64 s6, 6, v70
	v_cndmask_b32_e64 v6, v6, v15, s5
	v_cmp_eq_u32_e64 s5, 6, v72
	v_cmp_eq_u32_e64 s3, 6, v69
	v_cndmask_b32_e64 v1, v1, v4, s4
	v_cndmask_b32_e32 v2, v2, v15, vcc_lo
	v_cmp_eq_u32_e32 vcc_lo, 7, v71
	v_cndmask_b32_e64 v5, v5, v4, s6
	v_cndmask_b32_e64 v9, v9, v4, s5
	;; [unrolled: 1-line block ×3, first 2 shown]
	v_cmp_eq_u32_e64 s6, 7, v70
	v_cndmask_b32_e32 v1, v1, v12, vcc_lo
	v_cndmask_b32_e64 v7, v13, v4, s3
	v_cndmask_b32_e64 v3, v3, v8, s3
	v_cndmask_b32_e64 v2, v2, v8, s4
	v_cmp_eq_u32_e64 s3, 7, v69
	v_cndmask_b32_e64 v4, v10, v8, s5
	v_cndmask_b32_e64 v5, v5, v12, s6
	;; [unrolled: 1-line block ×3, first 2 shown]
	v_cndmask_b32_e32 v2, v2, v16, vcc_lo
	v_cndmask_b32_e64 v7, v7, v12, s3
	v_cndmask_b32_e64 v3, v3, v16, s3
	;; [unrolled: 1-line block ×4, first 2 shown]
	v_cmp_gt_u32_e32 vcc_lo, 32, v0
	v_perm_b32 v4, v2, v1, 0x5040100
	v_perm_b32 v3, v3, v7, 0x5040100
	;; [unrolled: 1-line block ×4, first 2 shown]
	s_and_b32 s2, vcc_lo, s2
	ds_store_b128 v74, v[1:4]
	s_waitcnt lgkmcnt(0)
	s_barrier
	buffer_gl0_inv
	s_and_saveexec_b32 s3, s2
	s_cbranch_execz .LBB779_2
; %bb.15:
	s_load_b64 s[0:1], s[0:1], 0x68
	s_lshl_b32 s4, s35, 6
	v_or_b32_e32 v2, s31, v66
	s_mul_i32 s2, s4, s34
	v_lshlrev_b32_e32 v0, 10, v0
	s_mul_i32 s2, s2, s8
	v_lshlrev_b32_e32 v1, 4, v67
	s_ashr_i32 s3, s2, 31
	v_mul_lo_u32 v20, v2, s4
	s_lshl_b64 s[2:3], s[2:3], 1
	v_lshlrev_b32_e32 v3, 6, v66
	v_and_b32_e32 v0, 0x3800, v0
	s_delay_alu instid0(VALU_DEP_1) | instskip(NEXT) | instid1(VALU_DEP_4)
	v_or3_b32 v16, v0, v1, v3
	v_ashrrev_i32_e32 v21, 31, v20
	ds_load_b128 v[0:3], v16
	ds_load_b128 v[4:7], v16 offset:128
	s_waitcnt lgkmcnt(0)
	s_add_u32 s2, s0, s2
	s_addc_u32 s3, s1, s3
	s_lshl_b32 s0, s14, 6
	ds_load_b128 v[8:11], v16 offset:256
	ds_load_b128 v[12:15], v16 offset:384
	;; [unrolled: 1-line block ×3, first 2 shown]
	s_ashr_i32 s1, s0, 31
	s_delay_alu instid0(SALU_CYCLE_1) | instskip(NEXT) | instid1(SALU_CYCLE_1)
	s_lshl_b64 s[0:1], s[0:1], 1
	s_add_u32 s0, s2, s0
	s_addc_u32 s1, s3, s1
	s_lshl_b32 s2, s35, 7
	v_add_co_u32 v30, s0, s0, v65
	v_add_nc_u32_e32 v22, s2, v20
	v_lshlrev_b64 v[20:21], 1, v[20:21]
	v_add_co_ci_u32_e64 v31, null, s1, 0, s0
	s_delay_alu instid0(VALU_DEP_3) | instskip(SKIP_1) | instid1(VALU_DEP_4)
	v_add_nc_u32_e32 v24, s2, v22
	v_ashrrev_i32_e32 v23, 31, v22
	v_add_co_u32 v20, vcc_lo, v30, v20
	s_delay_alu instid0(VALU_DEP_4) | instskip(NEXT) | instid1(VALU_DEP_4)
	v_add_co_ci_u32_e32 v21, vcc_lo, v31, v21, vcc_lo
	v_add_nc_u32_e32 v26, s2, v24
	v_ashrrev_i32_e32 v25, 31, v24
	v_lshlrev_b64 v[22:23], 1, v[22:23]
	s_delay_alu instid0(VALU_DEP_3) | instskip(SKIP_1) | instid1(VALU_DEP_4)
	v_add_nc_u32_e32 v28, s2, v26
	v_ashrrev_i32_e32 v27, 31, v26
	v_lshlrev_b64 v[24:25], 1, v[24:25]
	s_delay_alu instid0(VALU_DEP_4) | instskip(NEXT) | instid1(VALU_DEP_4)
	v_add_co_u32 v22, vcc_lo, v30, v22
	v_ashrrev_i32_e32 v29, 31, v28
	s_delay_alu instid0(VALU_DEP_4) | instskip(SKIP_2) | instid1(VALU_DEP_4)
	v_lshlrev_b64 v[26:27], 1, v[26:27]
	v_add_co_ci_u32_e32 v23, vcc_lo, v31, v23, vcc_lo
	v_add_co_u32 v24, vcc_lo, v30, v24
	v_lshlrev_b64 v[28:29], 1, v[28:29]
	v_add_co_ci_u32_e32 v25, vcc_lo, v31, v25, vcc_lo
	v_add_co_u32 v26, vcc_lo, v30, v26
	v_add_co_ci_u32_e32 v27, vcc_lo, v31, v27, vcc_lo
	s_delay_alu instid0(VALU_DEP_4)
	v_add_co_u32 v28, vcc_lo, v30, v28
	v_add_co_ci_u32_e32 v29, vcc_lo, v31, v29, vcc_lo
	s_clause 0x1
	global_store_b128 v[20:21], v[0:3], off
	global_store_b128 v[22:23], v[4:7], off
	s_waitcnt lgkmcnt(2)
	global_store_b128 v[24:25], v[8:11], off
	s_waitcnt lgkmcnt(1)
	;; [unrolled: 2-line block ×3, first 2 shown]
	global_store_b128 v[28:29], v[16:19], off
	s_nop 0
	s_sendmsg sendmsg(MSG_DEALLOC_VGPRS)
	s_endpgm
	.section	.rodata,"a",@progbits
	.p2align	6, 0x0
	.amdhsa_kernel _Z39paged_attention_ll4mi_QKV_mfma16_kernelIDF16_hLN4vllm18Fp8KVCacheDataTypeE1EhLi16ELi64ELi256ELb1ELi10EL8MFMAType1EEvPKT_PKT0_S8_ifPKiSA_SA_iPKfiiiPfSD_PS3_PT2_iSC_SC_
		.amdhsa_group_segment_fixed_size 17472
		.amdhsa_private_segment_fixed_size 0
		.amdhsa_kernarg_size 400
		.amdhsa_user_sgpr_count 13
		.amdhsa_user_sgpr_dispatch_ptr 0
		.amdhsa_user_sgpr_queue_ptr 0
		.amdhsa_user_sgpr_kernarg_segment_ptr 1
		.amdhsa_user_sgpr_dispatch_id 0
		.amdhsa_user_sgpr_private_segment_size 0
		.amdhsa_wavefront_size32 1
		.amdhsa_uses_dynamic_stack 0
		.amdhsa_enable_private_segment 0
		.amdhsa_system_sgpr_workgroup_id_x 1
		.amdhsa_system_sgpr_workgroup_id_y 1
		.amdhsa_system_sgpr_workgroup_id_z 1
		.amdhsa_system_sgpr_workgroup_info 0
		.amdhsa_system_vgpr_workitem_id 0
		.amdhsa_next_free_vgpr 146
		.amdhsa_next_free_sgpr 36
		.amdhsa_reserve_vcc 1
		.amdhsa_float_round_mode_32 0
		.amdhsa_float_round_mode_16_64 0
		.amdhsa_float_denorm_mode_32 3
		.amdhsa_float_denorm_mode_16_64 3
		.amdhsa_dx10_clamp 1
		.amdhsa_ieee_mode 1
		.amdhsa_fp16_overflow 0
		.amdhsa_workgroup_processor_mode 1
		.amdhsa_memory_ordered 1
		.amdhsa_forward_progress 0
		.amdhsa_shared_vgpr_count 0
		.amdhsa_exception_fp_ieee_invalid_op 0
		.amdhsa_exception_fp_denorm_src 0
		.amdhsa_exception_fp_ieee_div_zero 0
		.amdhsa_exception_fp_ieee_overflow 0
		.amdhsa_exception_fp_ieee_underflow 0
		.amdhsa_exception_fp_ieee_inexact 0
		.amdhsa_exception_int_div_zero 0
	.end_amdhsa_kernel
	.section	.text._Z39paged_attention_ll4mi_QKV_mfma16_kernelIDF16_hLN4vllm18Fp8KVCacheDataTypeE1EhLi16ELi64ELi256ELb1ELi10EL8MFMAType1EEvPKT_PKT0_S8_ifPKiSA_SA_iPKfiiiPfSD_PS3_PT2_iSC_SC_,"axG",@progbits,_Z39paged_attention_ll4mi_QKV_mfma16_kernelIDF16_hLN4vllm18Fp8KVCacheDataTypeE1EhLi16ELi64ELi256ELb1ELi10EL8MFMAType1EEvPKT_PKT0_S8_ifPKiSA_SA_iPKfiiiPfSD_PS3_PT2_iSC_SC_,comdat
.Lfunc_end779:
	.size	_Z39paged_attention_ll4mi_QKV_mfma16_kernelIDF16_hLN4vllm18Fp8KVCacheDataTypeE1EhLi16ELi64ELi256ELb1ELi10EL8MFMAType1EEvPKT_PKT0_S8_ifPKiSA_SA_iPKfiiiPfSD_PS3_PT2_iSC_SC_, .Lfunc_end779-_Z39paged_attention_ll4mi_QKV_mfma16_kernelIDF16_hLN4vllm18Fp8KVCacheDataTypeE1EhLi16ELi64ELi256ELb1ELi10EL8MFMAType1EEvPKT_PKT0_S8_ifPKiSA_SA_iPKfiiiPfSD_PS3_PT2_iSC_SC_
                                        ; -- End function
	.section	.AMDGPU.csdata,"",@progbits
; Kernel info:
; codeLenInByte = 6540
; NumSgprs: 38
; NumVgprs: 146
; ScratchSize: 0
; MemoryBound: 0
; FloatMode: 240
; IeeeMode: 1
; LDSByteSize: 17472 bytes/workgroup (compile time only)
; SGPRBlocks: 4
; VGPRBlocks: 18
; NumSGPRsForWavesPerEU: 38
; NumVGPRsForWavesPerEU: 146
; Occupancy: 9
; WaveLimiterHint : 1
; COMPUTE_PGM_RSRC2:SCRATCH_EN: 0
; COMPUTE_PGM_RSRC2:USER_SGPR: 13
; COMPUTE_PGM_RSRC2:TRAP_HANDLER: 0
; COMPUTE_PGM_RSRC2:TGID_X_EN: 1
; COMPUTE_PGM_RSRC2:TGID_Y_EN: 1
; COMPUTE_PGM_RSRC2:TGID_Z_EN: 1
; COMPUTE_PGM_RSRC2:TIDIG_COMP_CNT: 0
	.section	.text._Z39paged_attention_ll4mi_QKV_mfma16_kernelIDF16_hLN4vllm18Fp8KVCacheDataTypeE1EhLi16ELi64ELi256ELb1ELi11EL8MFMAType1EEvPKT_PKT0_S8_ifPKiSA_SA_iPKfiiiPfSD_PS3_PT2_iSC_SC_,"axG",@progbits,_Z39paged_attention_ll4mi_QKV_mfma16_kernelIDF16_hLN4vllm18Fp8KVCacheDataTypeE1EhLi16ELi64ELi256ELb1ELi11EL8MFMAType1EEvPKT_PKT0_S8_ifPKiSA_SA_iPKfiiiPfSD_PS3_PT2_iSC_SC_,comdat
	.protected	_Z39paged_attention_ll4mi_QKV_mfma16_kernelIDF16_hLN4vllm18Fp8KVCacheDataTypeE1EhLi16ELi64ELi256ELb1ELi11EL8MFMAType1EEvPKT_PKT0_S8_ifPKiSA_SA_iPKfiiiPfSD_PS3_PT2_iSC_SC_ ; -- Begin function _Z39paged_attention_ll4mi_QKV_mfma16_kernelIDF16_hLN4vllm18Fp8KVCacheDataTypeE1EhLi16ELi64ELi256ELb1ELi11EL8MFMAType1EEvPKT_PKT0_S8_ifPKiSA_SA_iPKfiiiPfSD_PS3_PT2_iSC_SC_
	.globl	_Z39paged_attention_ll4mi_QKV_mfma16_kernelIDF16_hLN4vllm18Fp8KVCacheDataTypeE1EhLi16ELi64ELi256ELb1ELi11EL8MFMAType1EEvPKT_PKT0_S8_ifPKiSA_SA_iPKfiiiPfSD_PS3_PT2_iSC_SC_
	.p2align	8
	.type	_Z39paged_attention_ll4mi_QKV_mfma16_kernelIDF16_hLN4vllm18Fp8KVCacheDataTypeE1EhLi16ELi64ELi256ELb1ELi11EL8MFMAType1EEvPKT_PKT0_S8_ifPKiSA_SA_iPKfiiiPfSD_PS3_PT2_iSC_SC_,@function
_Z39paged_attention_ll4mi_QKV_mfma16_kernelIDF16_hLN4vllm18Fp8KVCacheDataTypeE1EhLi16ELi64ELi256ELb1ELi11EL8MFMAType1EEvPKT_PKT0_S8_ifPKiSA_SA_iPKfiiiPfSD_PS3_PT2_iSC_SC_: ; @_Z39paged_attention_ll4mi_QKV_mfma16_kernelIDF16_hLN4vllm18Fp8KVCacheDataTypeE1EhLi16ELi64ELi256ELb1ELi11EL8MFMAType1EEvPKT_PKT0_S8_ifPKiSA_SA_iPKfiiiPfSD_PS3_PT2_iSC_SC_
; %bb.0:
	s_load_b64 s[2:3], s[0:1], 0x30
	s_mov_b32 s34, s13
	s_waitcnt lgkmcnt(0)
	s_cmp_lg_u64 s[2:3], 0
	s_cselect_b32 s6, -1, 0
	s_ashr_i32 s35, s13, 31
	s_cmp_eq_u64 s[2:3], 0
	s_cbranch_scc1 .LBB780_3
; %bb.1:
	s_lshl_b64 s[4:5], s[34:35], 2
	s_delay_alu instid0(SALU_CYCLE_1) | instskip(SKIP_4) | instid1(SALU_CYCLE_1)
	s_add_u32 s4, s2, s4
	s_addc_u32 s5, s3, s5
	s_load_b64 s[4:5], s[4:5], 0x0
	s_waitcnt lgkmcnt(0)
	s_sub_i32 s4, s5, s4
	s_cmp_eq_u32 s4, 1
	s_cselect_b32 s4, -1, 0
	s_delay_alu instid0(SALU_CYCLE_1)
	s_and_not1_b32 vcc_lo, exec_lo, s4
	s_cbranch_vccz .LBB780_4
.LBB780_2:
	s_nop 0
	s_sendmsg sendmsg(MSG_DEALLOC_VGPRS)
	s_endpgm
.LBB780_3:
.LBB780_4:
	s_load_b64 s[8:9], s[0:1], 0x28
	s_lshl_b64 s[4:5], s[34:35], 2
	s_waitcnt lgkmcnt(0)
	s_add_u32 s8, s8, s4
	s_addc_u32 s9, s9, s5
	s_lshl_b32 s16, s14, 8
	s_load_b32 s18, s[8:9], 0x0
	s_waitcnt lgkmcnt(0)
	s_cmp_ge_i32 s16, s18
	s_cbranch_scc1 .LBB780_2
; %bb.5:
	s_clause 0x1
	s_load_b128 s[8:11], s[0:1], 0x8
	s_load_b64 s[12:13], s[0:1], 0x20
	s_and_not1_b32 vcc_lo, exec_lo, s6
	s_cbranch_vccnz .LBB780_7
; %bb.6:
	s_add_u32 s2, s2, s4
	s_addc_u32 s3, s3, s5
	s_load_b32 s3, s[2:3], 0x0
	s_branch .LBB780_8
.LBB780_7:
	s_mov_b32 s3, s34
.LBB780_8:
	s_load_b128 s[4:7], s[0:1], 0x48
	v_lshrrev_b32_e32 v69, 5, v0
	v_bfe_u32 v66, v0, 4, 1
	v_and_b32_e32 v68, 15, v0
	v_and_b32_e32 v70, 31, v0
	;; [unrolled: 1-line block ×3, first 2 shown]
	s_mul_i32 s33, s15, 11
	v_lshl_or_b32 v1, v69, 1, v66
	v_lshlrev_b32_e32 v2, 3, v68
	v_cmp_gt_u32_e64 s2, 8, v68
	s_delay_alu instid0(VALU_DEP_3) | instskip(NEXT) | instid1(VALU_DEP_3)
	v_cmp_gt_u32_e32 vcc_lo, 11, v1
	v_lshlrev_b32_e32 v65, 1, v2
	s_delay_alu instid0(VALU_DEP_3)
	s_and_b32 s17, s2, vcc_lo
	s_waitcnt lgkmcnt(0)
	s_and_saveexec_b32 s7, s17
	s_cbranch_execz .LBB780_10
; %bb.9:
	s_load_b64 s[20:21], s[0:1], 0x0
	v_add_lshl_u32 v2, v1, s33, 6
	s_mul_hi_i32 s23, s3, s4
	s_mul_i32 s22, s3, s4
	v_lshlrev_b32_e32 v6, 10, v68
	s_lshl_b64 s[22:23], s[22:23], 1
	v_ashrrev_i32_e32 v3, 31, v2
	v_lshlrev_b32_e32 v1, 6, v1
	v_lshlrev_b32_e32 v7, 10, v67
	v_and_b32_e32 v6, 0x3800, v6
	s_delay_alu instid0(VALU_DEP_4) | instskip(NEXT) | instid1(VALU_DEP_2)
	v_lshlrev_b64 v[2:3], 1, v[2:3]
	v_or3_b32 v1, v6, v7, v1
	s_waitcnt lgkmcnt(0)
	s_add_u32 s3, s20, s22
	s_addc_u32 s4, s21, s23
	s_delay_alu instid0(VALU_DEP_2) | instskip(SKIP_1) | instid1(VALU_DEP_2)
	v_add_co_u32 v2, vcc_lo, s3, v2
	v_add_co_ci_u32_e32 v3, vcc_lo, s4, v3, vcc_lo
	v_add_co_u32 v2, vcc_lo, v2, v65
	s_delay_alu instid0(VALU_DEP_2)
	v_add_co_ci_u32_e32 v3, vcc_lo, 0, v3, vcc_lo
	global_load_b128 v[2:5], v[2:3], off
	s_waitcnt vmcnt(0)
	ds_store_b128 v1, v[2:5]
.LBB780_10:
	s_or_b32 exec_lo, exec_lo, s7
	v_and_b32_e32 v1, 0xef, v0
	s_add_i32 s3, s18, 15
	s_clause 0x1
	s_load_b32 s4, s[0:1], 0x38
	s_load_b32 s35, s[0:1], 0x98
	s_ashr_i32 s7, s3, 31
	v_add_nc_u32_e32 v1, s16, v1
	s_lshr_b32 s7, s7, 28
	s_load_b32 s19, s[0:1], 0x1c
	v_add_nc_u32_e32 v103, -11, v68
	s_add_i32 s3, s3, s7
	v_ashrrev_i32_e32 v2, 31, v1
	v_or_b32_e32 v3, 16, v1
	s_ashr_i32 s3, s3, 4
	v_cmp_gt_i32_e32 vcc_lo, s18, v1
	s_add_i32 s3, s3, -1
	v_lshrrev_b32_e32 v2, 28, v2
	s_waitcnt lgkmcnt(0)
	s_barrier
	buffer_gl0_inv
	s_mul_i32 s15, s15, s6
	v_add_nc_u32_e32 v4, v1, v2
	v_mbcnt_lo_u32_b32 v127, -1, 0
	s_mul_i32 s20, s34, s4
	s_delay_alu instid0(SALU_CYCLE_1) | instskip(NEXT) | instid1(VALU_DEP_2)
	s_ashr_i32 s21, s20, 31
	v_ashrrev_i32_e32 v4, 4, v4
	v_add_nc_u32_e32 v2, v3, v2
	s_lshl_b64 s[20:21], s[20:21], 2
	v_xor_b32_e32 v128, 16, v127
	s_add_u32 s17, s12, s20
	v_cndmask_b32_e32 v1, s3, v4, vcc_lo
	v_ashrrev_i32_e32 v2, 4, v2
	v_cmp_gt_i32_e32 vcc_lo, s18, v3
	s_addc_u32 s13, s13, s21
	s_ashr_i32 s20, s15, 31
	s_add_u32 s4, s8, s15
	s_addc_u32 s12, s9, s20
	v_cndmask_b32_e32 v3, s3, v2, vcc_lo
	v_ashrrev_i32_e32 v2, 31, v1
	s_lshl_b32 s6, s14, 4
	s_delay_alu instid0(SALU_CYCLE_1) | instskip(NEXT) | instid1(VALU_DEP_2)
	s_ashr_i32 s7, s6, 31
	v_ashrrev_i32_e32 v4, 31, v3
	s_delay_alu instid0(VALU_DEP_2) | instskip(SKIP_1) | instid1(SALU_CYCLE_1)
	v_lshlrev_b64 v[1:2], 2, v[1:2]
	s_lshl_b64 s[6:7], s[6:7], 2
	s_add_u32 s6, s17, s6
	s_delay_alu instid0(VALU_DEP_2) | instskip(SKIP_1) | instid1(VALU_DEP_2)
	v_lshlrev_b64 v[3:4], 2, v[3:4]
	s_addc_u32 s7, s13, s7
	v_add_co_u32 v1, vcc_lo, s17, v1
	v_add_co_ci_u32_e32 v2, vcc_lo, s13, v2, vcc_lo
	s_delay_alu instid0(VALU_DEP_3) | instskip(NEXT) | instid1(VALU_DEP_4)
	v_add_co_u32 v3, vcc_lo, s17, v3
	v_add_co_ci_u32_e32 v4, vcc_lo, s13, v4, vcc_lo
	s_clause 0x1
	global_load_b32 v5, v[1:2], off
	global_load_b32 v7, v[3:4], off
	s_or_b32 s8, s16, 32
	v_lshlrev_b32_e32 v1, 4, v0
	s_ashr_i32 s9, s8, 4
	s_cmp_lt_i32 s8, s18
	v_cmp_gt_u32_e32 vcc_lo, 11, v68
	s_cselect_b32 s8, s9, s3
	v_and_b32_e32 v1, 0xf0, v1
	s_ashr_i32 s9, s8, 31
	s_delay_alu instid0(SALU_CYCLE_1)
	s_lshl_b64 s[8:9], s[8:9], 2
	v_cndmask_b32_e32 v103, v103, v68, vcc_lo
	s_add_u32 s8, s17, s8
	s_addc_u32 s9, s13, s9
	s_or_b32 s21, s16, 64
	v_add_co_u32 v1, s4, s4, v1
	s_ashr_i32 s22, s21, 4
	s_cmp_lt_i32 s21, s18
	v_add_co_ci_u32_e64 v2, null, s12, 0, s4
	s_cselect_b32 s22, s22, s3
	v_cmp_gt_i32_e32 vcc_lo, 32, v128
	s_ashr_i32 s23, s22, 31
	v_lshlrev_b32_e32 v115, 6, v103
	s_lshl_b64 s[22:23], s[22:23], 2
	v_cndmask_b32_e32 v136, v127, v128, vcc_lo
	s_add_u32 s22, s17, s22
	s_addc_u32 s23, s13, s23
	s_or_b32 s21, s16, 0x60
	s_delay_alu instid0(SALU_CYCLE_1) | instskip(SKIP_2) | instid1(SALU_CYCLE_1)
	s_ashr_i32 s24, s21, 4
	s_cmp_lt_i32 s21, s18
	s_cselect_b32 s24, s24, s3
	s_ashr_i32 s25, s24, 31
	s_delay_alu instid0(SALU_CYCLE_1) | instskip(NEXT) | instid1(SALU_CYCLE_1)
	s_lshl_b64 s[24:25], s[24:25], 2
	s_add_u32 s24, s17, s24
	s_addc_u32 s25, s13, s25
	s_or_b32 s21, s16, 0x80
	s_delay_alu instid0(SALU_CYCLE_1) | instskip(SKIP_2) | instid1(SALU_CYCLE_1)
	s_ashr_i32 s26, s21, 4
	s_cmp_lt_i32 s21, s18
	s_cselect_b32 s26, s26, s3
	s_ashr_i32 s27, s26, 31
	s_delay_alu instid0(SALU_CYCLE_1) | instskip(NEXT) | instid1(SALU_CYCLE_1)
	s_lshl_b64 s[26:27], s[26:27], 2
	;; [unrolled: 10-line block ×3, first 2 shown]
	s_add_u32 s28, s17, s28
	s_addc_u32 s29, s13, s29
	s_clause 0x5
	s_load_b32 s12, s[6:7], 0x0
	s_load_b32 s4, s[8:9], 0x0
	;; [unrolled: 1-line block ×6, first 2 shown]
	s_or_b32 s21, s16, 0xc0
	s_delay_alu instid0(SALU_CYCLE_1) | instskip(SKIP_2) | instid1(SALU_CYCLE_1)
	s_ashr_i32 s22, s21, 4
	s_cmp_lt_i32 s21, s18
	s_cselect_b32 s22, s22, s3
	s_ashr_i32 s23, s22, 31
	s_delay_alu instid0(SALU_CYCLE_1) | instskip(NEXT) | instid1(SALU_CYCLE_1)
	s_lshl_b64 s[22:23], s[22:23], 2
	s_add_u32 s22, s17, s22
	s_addc_u32 s23, s13, s23
	s_or_b32 s21, s16, 0xe0
	s_delay_alu instid0(SALU_CYCLE_1) | instskip(SKIP_2) | instid1(SALU_CYCLE_1)
	s_ashr_i32 s24, s21, 4
	s_cmp_lt_i32 s21, s18
	s_cselect_b32 s24, s24, s3
	s_ashr_i32 s25, s24, 31
	s_delay_alu instid0(SALU_CYCLE_1)
	s_lshl_b64 s[24:25], s[24:25], 2
	s_waitcnt vmcnt(1)
	v_mad_i64_i32 v[3:4], null, v5, s5, v[1:2]
	s_waitcnt vmcnt(0)
	v_mad_i64_i32 v[5:6], null, v7, s5, v[1:2]
	v_lshlrev_b32_e32 v1, 4, v68
	s_clause 0x7
	global_load_b128 v[71:74], v[3:4], off
	global_load_b128 v[75:78], v[3:4], off offset:256
	global_load_b128 v[79:82], v[5:6], off
	global_load_b128 v[83:86], v[5:6], off offset:256
	global_load_b128 v[87:90], v[3:4], off offset:512
	;; [unrolled: 1-line block ×5, first 2 shown]
	v_lshl_or_b32 v1, v69, 8, v1
	s_load_b32 s3, s[22:23], 0x0
	s_add_u32 s22, s17, s24
	s_addc_u32 s23, s13, s25
	s_add_u32 s10, s10, s15
	s_addc_u32 s11, s11, s20
	v_add_co_u32 v1, s10, s10, v1
	s_delay_alu instid0(VALU_DEP_1) | instskip(SKIP_2) | instid1(VALU_DEP_1)
	v_add_co_ci_u32_e64 v2, null, s11, 0, s10
	s_load_b32 s10, s[22:23], 0x0
	s_waitcnt lgkmcnt(0)
	v_mad_i64_i32 v[3:4], null, s12, s5, v[1:2]
	v_mad_i64_i32 v[9:10], null, s7, s5, v[1:2]
	;; [unrolled: 1-line block ×7, first 2 shown]
	s_clause 0x5
	global_load_b128 v[49:52], v[3:4], off
	global_load_b128 v[53:56], v[3:4], off offset:16
	global_load_b128 v[41:44], v[5:6], off
	global_load_b128 v[45:48], v[5:6], off offset:16
	;; [unrolled: 2-line block ×3, first 2 shown]
	s_mov_b32 s4, 0
	v_mad_i64_i32 v[61:62], null, s10, s5, v[1:2]
	s_clause 0x9
	global_load_b128 v[1:4], v[9:10], off
	global_load_b128 v[5:8], v[9:10], off offset:16
	global_load_b128 v[9:12], v[13:14], off
	global_load_b128 v[13:16], v[13:14], off offset:16
	;; [unrolled: 2-line block ×5, first 2 shown]
	s_mov_b32 s5, s4
	s_mov_b32 s6, s4
	;; [unrolled: 1-line block ×7, first 2 shown]
	v_and_b32_e32 v104, 0xe0, v0
	v_dual_mov_b32 v126, s11 :: v_dual_mov_b32 v125, s10
	v_dual_mov_b32 v124, s9 :: v_dual_mov_b32 v123, s8
	s_delay_alu instid0(VALU_DEP_3)
	v_add_nc_u32_e32 v111, s16, v104
	ds_load_b128 v[103:106], v115
	ds_load_b128 v[107:110], v115 offset:1024
	v_dual_mov_b32 v122, s7 :: v_dual_mov_b32 v121, s6
	v_mov_b32_e32 v120, s5
	v_or_b32_e32 v135, v111, v66
	ds_load_b128 v[111:114], v115 offset:2048
	ds_load_b128 v[115:118], v115 offset:3072
	v_mov_b32_e32 v119, s4
	s_waitcnt vmcnt(0) lgkmcnt(0)
	s_barrier
	v_or_b32_e32 v137, 2, v135
	v_or_b32_e32 v138, 4, v135
	;; [unrolled: 1-line block ×3, first 2 shown]
	v_cmp_gt_i32_e32 vcc_lo, s18, v135
	v_or_b32_e32 v140, 8, v135
	v_cmp_gt_i32_e64 s3, s18, v137
	v_or_b32_e32 v141, 10, v135
	v_cmp_gt_i32_e64 s4, s18, v138
	v_cmp_gt_i32_e64 s5, s18, v139
	v_or_b32_e32 v142, 12, v135
	v_or_b32_e32 v143, 14, v135
	v_cmp_gt_i32_e64 s6, s18, v140
	v_cmp_gt_i32_e64 s7, s18, v141
	v_or_b32_e32 v144, 16, v135
	v_or_b32_e32 v145, 18, v135
	v_cmp_gt_i32_e64 s8, s18, v142
	v_cmp_gt_i32_e64 s9, s18, v143
	buffer_gl0_inv
	v_cmp_gt_i32_e64 s10, s18, v144
	v_cmp_gt_i32_e64 s11, s18, v145
	v_wmma_f32_16x16x16_f16 v[127:134], v[71:78], v[103:110], v[119:126]
	v_wmma_f32_16x16x16_f16 v[119:126], v[79:86], v[103:110], v[119:126]
	v_or_b32_e32 v71, 20, v135
	v_or_b32_e32 v72, 22, v135
	s_delay_alu instid0(VALU_DEP_4)
	v_wmma_f32_16x16x16_f16 v[127:134], v[87:94], v[111:118], v[127:134]
	v_or_b32_e32 v73, 24, v135
	v_wmma_f32_16x16x16_f16 v[119:126], v[95:102], v[111:118], v[119:126]
	v_or_b32_e32 v74, 26, v135
	v_cmp_gt_i32_e64 s12, s18, v71
	v_dual_mul_f32 v83, s19, v128 :: v_dual_mul_f32 v84, s19, v127
	v_dual_mul_f32 v81, s19, v130 :: v_dual_mul_f32 v82, s19, v129
	;; [unrolled: 1-line block ×3, first 2 shown]
	s_delay_alu instid0(VALU_DEP_3) | instskip(NEXT) | instid1(VALU_DEP_4)
	v_cndmask_b32_e32 v84, 0xff7fffff, v84, vcc_lo
	v_cndmask_b32_e64 v83, 0xff7fffff, v83, s3
	v_mul_f32_e32 v80, s19, v131
	v_cndmask_b32_e64 v82, 0xff7fffff, v82, s4
	v_cndmask_b32_e64 v81, 0xff7fffff, v81, s5
	v_dual_mul_f32 v77, s19, v134 :: v_dual_mul_f32 v90, s19, v121
	v_max3_f32 v83, v84, 0xff7fffff, v83
	v_mul_f32_e32 v78, s19, v133
	v_cndmask_b32_e64 v80, 0xff7fffff, v80, s6
	v_cndmask_b32_e64 v79, 0xff7fffff, v79, s7
	v_mul_f32_e32 v91, s19, v120
	v_max3_f32 v81, v83, v82, v81
	v_cndmask_b32_e64 v78, 0xff7fffff, v78, s8
	v_cndmask_b32_e64 v77, 0xff7fffff, v77, s9
	v_mul_f32_e32 v89, s19, v122
	v_cmp_gt_i32_e64 s13, s18, v72
	v_max3_f32 v79, v81, v80, v79
	v_cndmask_b32_e64 v80, 0xff7fffff, v92, s10
	v_cndmask_b32_e64 v81, 0xff7fffff, v91, s11
	v_or_b32_e32 v75, 28, v135
	v_or_b32_e32 v76, 30, v135
	v_max3_f32 v77, v79, v78, v77
	v_dual_mul_f32 v87, s19, v124 :: v_dual_mul_f32 v88, s19, v123
	v_cndmask_b32_e64 v71, 0xff7fffff, v90, s12
	v_cndmask_b32_e64 v72, 0xff7fffff, v89, s13
	s_delay_alu instid0(VALU_DEP_4) | instskip(SKIP_3) | instid1(VALU_DEP_4)
	v_max3_f32 v77, v77, v80, v81
	v_cmp_gt_i32_e64 s15, s18, v73
	v_cmp_gt_i32_e64 s16, s18, v74
	v_dual_mul_f32 v85, s19, v126 :: v_dual_mul_f32 v86, s19, v125
	v_max3_f32 v71, v77, v71, v72
	s_delay_alu instid0(VALU_DEP_4) | instskip(NEXT) | instid1(VALU_DEP_4)
	v_cndmask_b32_e64 v73, 0xff7fffff, v88, s15
	v_cndmask_b32_e64 v74, 0xff7fffff, v87, s16
	v_cmp_gt_i32_e64 s17, s18, v75
	v_cmp_gt_i32_e64 s18, s18, v76
	s_delay_alu instid0(VALU_DEP_3) | instskip(NEXT) | instid1(VALU_DEP_3)
	v_max3_f32 v71, v71, v73, v74
	v_cndmask_b32_e64 v72, 0xff7fffff, v86, s17
	s_delay_alu instid0(VALU_DEP_3) | instskip(SKIP_1) | instid1(VALU_DEP_2)
	v_cndmask_b32_e64 v75, 0xff7fffff, v85, s18
	v_lshlrev_b32_e32 v73, 2, v136
	v_max3_f32 v71, v71, v72, v75
	ds_bpermute_b32 v72, v73, v71
	s_waitcnt lgkmcnt(0)
	v_max_f32_e32 v72, v72, v72
	s_delay_alu instid0(VALU_DEP_1) | instskip(NEXT) | instid1(VALU_DEP_1)
	v_max_f32_e32 v71, v71, v72
	v_fma_f32 v72, s19, v127, -v71
	v_fma_f32 v74, s19, v128, -v71
	;; [unrolled: 1-line block ×5, first 2 shown]
	v_mul_f32_e32 v72, 0x3fb8aa3b, v72
	s_delay_alu instid0(VALU_DEP_4) | instskip(NEXT) | instid1(VALU_DEP_4)
	v_dual_mul_f32 v74, 0x3fb8aa3b, v74 :: v_dual_mul_f32 v75, 0x3fb8aa3b, v75
	v_mul_f32_e32 v76, 0x3fb8aa3b, v76
	s_delay_alu instid0(VALU_DEP_4) | instskip(NEXT) | instid1(VALU_DEP_4)
	v_mul_f32_e32 v82, 0x3fb8aa3b, v80
	v_exp_f32_e32 v72, v72
	s_delay_alu instid0(VALU_DEP_3)
	v_exp_f32_e32 v74, v74
	v_exp_f32_e32 v75, v75
	;; [unrolled: 1-line block ×3, first 2 shown]
	v_fma_f32 v77, s19, v131, -v71
	v_exp_f32_e32 v84, v82
	v_cndmask_b32_e32 v79, 0, v72, vcc_lo
	v_cndmask_b32_e64 v78, 0, v74, s3
	s_delay_alu instid0(TRANS32_DEP_3) | instskip(SKIP_1) | instid1(TRANS32_DEP_2)
	v_cndmask_b32_e64 v81, 0, v75, s4
	v_fma_f32 v72, s19, v132, -v71
	v_cndmask_b32_e64 v80, 0, v76, s5
	v_add_f32_e32 v74, 0, v79
	s_delay_alu instid0(TRANS32_DEP_1) | instskip(SKIP_2) | instid1(VALU_DEP_4)
	v_cndmask_b32_e64 v85, 0, v84, s8
	v_cmp_gt_u32_e64 s3, 16, v70
	v_mul_f32_e32 v72, 0x3fb8aa3b, v72
	v_add_f32_e32 v74, v74, v78
	s_delay_alu instid0(VALU_DEP_2) | instskip(NEXT) | instid1(VALU_DEP_1)
	v_exp_f32_e32 v72, v72
	v_add_f32_e32 v74, v74, v81
	s_delay_alu instid0(VALU_DEP_1) | instskip(NEXT) | instid1(VALU_DEP_1)
	v_dual_mul_f32 v77, 0x3fb8aa3b, v77 :: v_dual_add_f32 v74, v74, v80
	v_exp_f32_e32 v77, v77
	s_waitcnt_depctr 0xfff
	v_cndmask_b32_e64 v82, 0, v72, s7
	v_cndmask_b32_e64 v83, 0, v77, s6
	s_delay_alu instid0(VALU_DEP_1) | instskip(SKIP_4) | instid1(VALU_DEP_4)
	v_add_f32_e32 v72, v74, v83
	v_fma_f32 v75, s19, v134, -v71
	v_fma_f32 v76, s19, v119, -v71
	;; [unrolled: 1-line block ×4, first 2 shown]
	v_dual_add_f32 v72, v72, v82 :: v_dual_mul_f32 v75, 0x3fb8aa3b, v75
	s_delay_alu instid0(VALU_DEP_3) | instskip(NEXT) | instid1(VALU_DEP_3)
	v_dual_mul_f32 v76, 0x3fb8aa3b, v76 :: v_dual_mul_f32 v77, 0x3fb8aa3b, v77
	v_mul_f32_e32 v74, 0x3fb8aa3b, v74
	v_fma_f32 v86, s19, v122, -v71
	s_delay_alu instid0(VALU_DEP_4) | instskip(NEXT) | instid1(VALU_DEP_3)
	v_exp_f32_e32 v75, v75
	v_exp_f32_e32 v76, v76
	;; [unrolled: 1-line block ×4, first 2 shown]
	v_mul_f32_e32 v86, 0x3fb8aa3b, v86
	s_delay_alu instid0(VALU_DEP_1)
	v_exp_f32_e32 v88, v86
	v_cndmask_b32_e64 v84, 0, v75, s9
	v_fma_f32 v75, s19, v123, -v71
	v_add_f32_e32 v72, v72, v85
	v_cndmask_b32_e64 v87, 0, v76, s10
	v_fma_f32 v76, s19, v124, -v71
	s_delay_alu instid0(TRANS32_DEP_3) | instskip(NEXT) | instid1(VALU_DEP_4)
	v_cndmask_b32_e64 v86, 0, v77, s11
	v_dual_mul_f32 v75, 0x3fb8aa3b, v75 :: v_dual_add_f32 v72, v72, v84
	v_fma_f32 v77, s19, v125, -v71
	s_delay_alu instid0(VALU_DEP_4) | instskip(SKIP_1) | instid1(VALU_DEP_4)
	v_mul_f32_e32 v76, 0x3fb8aa3b, v76
	v_cndmask_b32_e64 v89, 0, v74, s12
	v_exp_f32_e32 v75, v75
	v_add_f32_e32 v72, v72, v87
	v_mul_f32_e32 v74, 0x3fb8aa3b, v77
	v_exp_f32_e32 v76, v76
	v_cndmask_b32_e64 v88, 0, v88, s13
	v_fma_f32 v77, s19, v126, -v71
	v_add_f32_e32 v72, v72, v86
	v_exp_f32_e32 v74, v74
	s_delay_alu instid0(TRANS32_DEP_3) | instskip(NEXT) | instid1(VALU_DEP_2)
	v_cndmask_b32_e64 v91, 0, v75, s15
	v_add_f32_e32 v72, v72, v89
	v_mul_f32_e32 v75, 0x3fb8aa3b, v77
	s_delay_alu instid0(TRANS32_DEP_2) | instskip(NEXT) | instid1(VALU_DEP_3)
	v_cndmask_b32_e64 v90, 0, v76, s16
	v_add_f32_e32 v72, v72, v88
	s_delay_alu instid0(VALU_DEP_3) | instskip(NEXT) | instid1(TRANS32_DEP_2)
	v_exp_f32_e32 v75, v75
	v_cndmask_b32_e64 v93, 0, v74, s17
	s_delay_alu instid0(VALU_DEP_2) | instskip(NEXT) | instid1(VALU_DEP_1)
	v_add_f32_e32 v72, v72, v91
	v_add_f32_e32 v72, v72, v90
	s_waitcnt_depctr 0xfff
	v_cndmask_b32_e64 v92, 0, v75, s18
	v_add_f32_e32 v72, v72, v93
	s_delay_alu instid0(VALU_DEP_1)
	v_add_f32_e32 v72, v72, v92
	ds_bpermute_b32 v73, v73, v72
	s_and_saveexec_b32 s4, s3
	s_cbranch_execz .LBB780_12
; %bb.11:
	v_mul_u32_u24_e32 v70, 0x44, v69
	s_waitcnt lgkmcnt(0)
	v_add_f32_e32 v72, v72, v73
	s_delay_alu instid0(VALU_DEP_2) | instskip(NEXT) | instid1(VALU_DEP_1)
	v_lshl_add_u32 v70, v68, 2, v70
	v_add_nc_u32_e32 v70, 0x4000, v70
	ds_store_2addr_b32 v70, v71, v72 offset1:136
.LBB780_12:
	s_or_b32 exec_lo, exec_lo, s4
	v_lshlrev_b32_e32 v70, 2, v68
	s_load_b32 s36, s[0:1], 0x94
	s_waitcnt lgkmcnt(0)
	s_barrier
	buffer_gl0_inv
	v_add_nc_u32_e32 v98, 0x4000, v70
	v_cmp_eq_u32_e32 vcc_lo, 1, v69
	v_cmp_eq_u32_e64 s4, 2, v69
	v_cmp_eq_u32_e64 s5, 3, v69
	;; [unrolled: 1-line block ×3, first 2 shown]
	ds_load_2addr_b32 v[70:71], v98 offset1:17
	ds_load_2addr_b32 v[72:73], v98 offset0:34 offset1:51
	ds_load_2addr_b32 v[74:75], v98 offset0:68 offset1:85
	;; [unrolled: 1-line block ×3, first 2 shown]
	v_cmp_eq_u32_e64 s7, 5, v69
	v_cmp_eq_u32_e64 s8, 7, v69
	s_waitcnt lgkmcnt(3)
	v_max3_f32 v76, v70, 0xff7fffff, v71
	s_waitcnt lgkmcnt(2)
	s_delay_alu instid0(VALU_DEP_1) | instskip(SKIP_1) | instid1(VALU_DEP_1)
	v_max3_f32 v76, v76, v72, v73
	s_waitcnt lgkmcnt(1)
	v_max3_f32 v76, v76, v74, v75
	s_waitcnt lgkmcnt(0)
	s_delay_alu instid0(VALU_DEP_1) | instskip(NEXT) | instid1(VALU_DEP_1)
	v_max3_f32 v76, v76, v94, v95
	v_sub_f32_e32 v77, v71, v76
	ds_load_2addr_b32 v[96:97], v98 offset0:136 offset1:153
	v_sub_f32_e32 v74, v74, v76
	v_sub_f32_e32 v70, v70, v76
	;; [unrolled: 1-line block ×3, first 2 shown]
	v_dual_sub_f32 v72, v72, v76 :: v_dual_mul_f32 v77, 0x3fb8aa3b, v77
	s_delay_alu instid0(VALU_DEP_4) | instskip(NEXT) | instid1(VALU_DEP_4)
	v_mul_f32_e32 v103, 0x3fb8aa3b, v74
	v_mul_f32_e32 v99, 0x3fb8aa3b, v70
	ds_load_2addr_b32 v[70:71], v98 offset0:170 offset1:187
	v_dual_mul_f32 v101, 0x3fb8aa3b, v72 :: v_dual_mul_f32 v94, 0x3fb8aa3b, v94
	v_exp_f32_e32 v102, v77
	v_exp_f32_e32 v99, v99
	s_delay_alu instid0(VALU_DEP_1) | instskip(NEXT) | instid1(VALU_DEP_1)
	v_exp_f32_e32 v101, v101
	v_exp_f32_e32 v94, v94
	s_waitcnt lgkmcnt(1)
	s_delay_alu instid0(TRANS32_DEP_3)
	v_fma_f32 v77, v99, v96, 0
	v_sub_f32_e32 v100, v73, v76
	ds_load_2addr_b32 v[72:73], v98 offset0:204 offset1:221
	v_fmac_f32_e32 v77, v102, v97
	v_exp_f32_e32 v97, v103
	s_waitcnt lgkmcnt(1)
	s_delay_alu instid0(VALU_DEP_1)
	v_dual_fmac_f32 v77, v101, v70 :: v_dual_sub_f32 v96, v75, v76
	ds_load_2addr_b32 v[74:75], v98 offset0:238 offset1:255
	v_sub_f32_e32 v70, v95, v76
	s_waitcnt lgkmcnt(0)
	s_barrier
	v_mul_f32_e32 v96, 0x3fb8aa3b, v96
	buffer_gl0_inv
	v_exp_f32_e32 v95, v96
	v_mul_f32_e32 v100, 0x3fb8aa3b, v100
	s_delay_alu instid0(VALU_DEP_1) | instskip(SKIP_3) | instid1(VALU_DEP_2)
	v_exp_f32_e32 v100, v100
	s_waitcnt_depctr 0xfff
	v_dual_fmac_f32 v77, v100, v71 :: v_dual_mul_f32 v70, 0x3fb8aa3b, v70
	v_cndmask_b32_e32 v71, v99, v102, vcc_lo
	v_fmac_f32_e32 v77, v97, v72
	s_delay_alu instid0(VALU_DEP_3) | instskip(NEXT) | instid1(VALU_DEP_1)
	v_exp_f32_e32 v96, v70
	v_fmac_f32_e32 v77, v95, v73
	s_delay_alu instid0(VALU_DEP_1) | instskip(SKIP_2) | instid1(VALU_DEP_1)
	v_fmac_f32_e32 v77, v94, v74
	s_waitcnt_depctr 0xfff
	v_fmac_f32_e32 v77, v96, v75
	v_add_f32_e32 v74, 0x358637bd, v77
	s_delay_alu instid0(VALU_DEP_1) | instskip(SKIP_1) | instid1(VALU_DEP_2)
	v_div_scale_f32 v98, null, v74, v74, 1.0
	v_div_scale_f32 v99, vcc_lo, 1.0, v74, 1.0
	v_rcp_f32_e32 v103, v98
	s_waitcnt_depctr 0xfff
	v_fma_f32 v70, -v98, v103, 1.0
	s_delay_alu instid0(VALU_DEP_1) | instskip(SKIP_2) | instid1(VALU_DEP_2)
	v_fmac_f32_e32 v103, v70, v103
	v_cndmask_b32_e64 v70, v71, v101, s4
	v_cmp_eq_u32_e64 s4, 6, v69
	v_cndmask_b32_e64 v71, v70, v100, s5
	s_delay_alu instid0(VALU_DEP_4) | instskip(NEXT) | instid1(VALU_DEP_2)
	v_dual_mul_f32 v101, v99, v103 :: v_dual_lshlrev_b32 v70, 2, v66
	v_cndmask_b32_e64 v71, v71, v97, s6
	s_delay_alu instid0(VALU_DEP_2) | instskip(NEXT) | instid1(VALU_DEP_3)
	v_or_b32_e32 v72, 1, v70
	v_fma_f32 v100, -v98, v101, v99
	v_cmp_eq_u32_e64 s5, 1, v70
	v_cmp_eq_u32_e64 s6, 2, v70
	v_cndmask_b32_e64 v95, v71, v95, s7
	v_or_b32_e32 v71, 3, v70
	v_fmac_f32_e32 v101, v100, v103
	v_cmp_eq_u32_e64 s10, 1, v72
	v_cmp_eq_u32_e64 s13, 2, v72
	v_cndmask_b32_e64 v94, v95, v94, s4
	v_cmp_eq_u32_e64 s12, 1, v71
	v_fma_f32 v97, -v98, v101, v99
	v_cmp_eq_u32_e64 s17, 2, v71
	v_cmp_eq_u32_e64 s15, 3, v72
	v_cndmask_b32_e64 v94, v94, v96, s8
	v_cmp_eq_u32_e64 s19, 3, v71
	v_div_fmas_f32 v95, v97, v103, v101
	v_cmp_eq_u32_e32 vcc_lo, 3, v70
	v_cmp_eq_u32_e64 s4, 4, v70
	v_cmp_eq_u32_e64 s20, 4, v72
	;; [unrolled: 1-line block ×3, first 2 shown]
	v_div_fixup_f32 v95, v95, v74, 1.0
	v_lshlrev_b32_e32 v73, 6, v68
	v_cmp_eq_u32_e64 s7, 5, v70
	v_cmp_eq_u32_e64 s21, 5, v72
	;; [unrolled: 1-line block ×3, first 2 shown]
	v_mul_f32_e32 v102, v94, v95
	v_lshl_or_b32 v75, v69, 11, v73
	v_or_b32_e32 v69, 2, v70
	v_cmp_eq_u32_e64 s26, 6, v72
	v_cmp_eq_u32_e64 s28, 6, v71
	v_fma_mixlo_f16 v94, v102, v79, 0
	v_fma_mixlo_f16 v95, v102, v81, 0
	;; [unrolled: 1-line block ×8, first 2 shown]
	v_lshl_or_b32 v74, v66, 4, v75
	v_fma_mixhi_f16 v94, v102, v78, 0
	v_fma_mixhi_f16 v95, v102, v80, 0
	;; [unrolled: 1-line block ×8, first 2 shown]
	ds_store_b128 v74, v[94:97]
	ds_store_b128 v74, v[98:101] offset:1024
	s_waitcnt lgkmcnt(0)
	s_barrier
	buffer_gl0_inv
	ds_load_b128 v[78:81], v75
	ds_load_b128 v[82:85], v75 offset:16
	ds_load_b128 v[86:89], v75 offset:1024
	;; [unrolled: 1-line block ×3, first 2 shown]
	v_cmp_eq_u32_e64 s11, 1, v69
	v_cmp_eq_u32_e64 s16, 2, v69
	v_cmp_eq_u32_e64 s18, 3, v69
	v_cmp_eq_u32_e64 s22, 4, v69
	v_cmp_eq_u32_e64 s24, 5, v69
	v_cmp_eq_u32_e64 s8, 6, v70
	v_cmp_eq_u32_e64 s27, 6, v69
	v_cmp_eq_u32_e64 s30, 7, v71
	v_cmp_eq_u32_e64 s31, 7, v72
	v_cmp_eq_u32_e64 s9, 7, v70
	v_cmp_eq_u32_e64 s29, 7, v69
	s_waitcnt lgkmcnt(3)
	v_lshrrev_b32_e32 v94, 16, v78
	s_waitcnt lgkmcnt(2)
	v_lshrrev_b32_e32 v98, 16, v82
	;; [unrolled: 2-line block ×4, first 2 shown]
	v_lshrrev_b32_e32 v95, 16, v79
	v_cndmask_b32_e64 v110, v78, v94, s5
	v_cndmask_b32_e64 v111, v82, v98, s5
	;; [unrolled: 1-line block ×8, first 2 shown]
	v_lshrrev_b32_e32 v99, 16, v83
	v_cndmask_b32_e64 v94, v86, v102, s5
	v_cndmask_b32_e64 v98, v90, v106, s5
	;; [unrolled: 1-line block ×15, first 2 shown]
	v_lshrrev_b32_e32 v103, 16, v87
	v_lshrrev_b32_e32 v107, 16, v91
	v_cndmask_b32_e64 v113, v115, v83, s16
	v_cndmask_b32_e64 v82, v94, v87, s6
	;; [unrolled: 1-line block ×7, first 2 shown]
	v_cndmask_b32_e32 v90, v102, v95, vcc_lo
	v_cndmask_b32_e32 v102, v106, v99, vcc_lo
	v_cndmask_b32_e64 v106, v110, v95, s15
	v_cndmask_b32_e64 v110, v111, v99, s15
	v_cndmask_b32_e64 v78, v78, v95, s19
	v_cndmask_b32_e64 v79, v79, v99, s19
	v_lshrrev_b32_e32 v96, 16, v80
	v_lshrrev_b32_e32 v100, 16, v84
	v_cndmask_b32_e64 v111, v112, v95, s18
	v_cndmask_b32_e64 v112, v113, v99, s18
	v_cndmask_b32_e32 v82, v82, v103, vcc_lo
	v_cndmask_b32_e32 v83, v83, v107, vcc_lo
	v_cndmask_b32_e64 v94, v94, v103, s15
	v_cndmask_b32_e64 v90, v90, v80, s4
	;; [unrolled: 1-line block ×7, first 2 shown]
	v_lshrrev_b32_e32 v104, 16, v88
	v_cndmask_b32_e64 v106, v111, v80, s22
	v_cndmask_b32_e64 v110, v112, v84, s22
	;; [unrolled: 1-line block ×11, first 2 shown]
	v_lshrrev_b32_e32 v97, 16, v81
	v_lshrrev_b32_e32 v101, 16, v85
	v_cndmask_b32_e64 v99, v106, v96, s24
	v_cndmask_b32_e64 v102, v110, v100, s24
	;; [unrolled: 1-line block ×7, first 2 shown]
	v_lshrrev_b32_e32 v105, 16, v89
	v_cndmask_b32_e64 v80, v80, v104, s7
	v_cndmask_b32_e64 v84, v84, v81, s8
	;; [unrolled: 1-line block ×16, first 2 shown]
	v_perm_b32 v81, v79, v78, 0x5040100
	v_perm_b32 v79, v95, v85, 0x5040100
	v_cndmask_b32_e64 v78, v119, v91, s16
	v_cndmask_b32_e64 v85, v117, v91, s13
	;; [unrolled: 1-line block ×3, first 2 shown]
	v_perm_b32 v80, v94, v90, 0x5040100
	v_cndmask_b32_e64 v90, v98, v103, s18
	v_cndmask_b32_e64 v86, v86, v103, s19
	;; [unrolled: 1-line block ×5, first 2 shown]
	v_lshrrev_b32_e32 v108, 16, v92
	v_cndmask_b32_e64 v90, v90, v88, s22
	v_cndmask_b32_e64 v86, v86, v88, s23
	;; [unrolled: 1-line block ×11, first 2 shown]
	v_lshrrev_b32_e32 v109, 16, v93
	v_cndmask_b32_e64 v82, v82, v93, s8
	v_cndmask_b32_e64 v88, v88, v89, s27
	;; [unrolled: 1-line block ×12, first 2 shown]
	v_perm_b32 v78, v84, v83, 0x5040100
	v_perm_b32 v85, v87, v86, 0x5040100
	;; [unrolled: 1-line block ×5, first 2 shown]
	s_mul_i32 s9, s35, 11
	s_mov_b32 s4, exec_lo
	ds_store_b128 v74, v[78:81]
	ds_store_b128 v74, v[82:85] offset:1024
	v_cmpx_gt_u32_e32 11, v0
	s_cbranch_execz .LBB780_14
; %bb.13:
	s_mul_i32 s5, s9, s34
	s_load_b128 s[16:19], s[0:1], 0x58
	v_add3_u32 v68, s5, s33, v68
	s_delay_alu instid0(VALU_DEP_1) | instskip(NEXT) | instid1(VALU_DEP_1)
	v_mad_u64_u32 v[78:79], null, v68, s36, s[14:15]
	v_ashrrev_i32_e32 v79, 31, v78
	s_delay_alu instid0(VALU_DEP_1) | instskip(SKIP_1) | instid1(VALU_DEP_1)
	v_lshlrev_b64 v[78:79], 2, v[78:79]
	s_waitcnt lgkmcnt(0)
	v_add_co_u32 v80, vcc_lo, s18, v78
	s_delay_alu instid0(VALU_DEP_2)
	v_add_co_ci_u32_e32 v81, vcc_lo, s19, v79, vcc_lo
	v_add_co_u32 v78, vcc_lo, s16, v78
	v_add_co_ci_u32_e32 v79, vcc_lo, s17, v79, vcc_lo
	global_store_b32 v[80:81], v76, off
	global_store_b32 v[78:79], v77, off
.LBB780_14:
	s_or_b32 exec_lo, exec_lo, s4
	s_waitcnt lgkmcnt(0)
	s_waitcnt_vscnt null, 0x0
	s_barrier
	buffer_gl0_inv
	ds_load_b128 v[84:87], v73
	ds_load_b128 v[88:91], v73 offset:16
	ds_load_b128 v[96:99], v73 offset:2064
	;; [unrolled: 1-line block ×5, first 2 shown]
	v_cmp_eq_u32_e32 vcc_lo, 1, v70
	v_mov_b32_e32 v76, 0
	ds_load_b128 v[112:115], v73 offset:6160
	ds_load_b128 v[108:111], v73 offset:6144
	ds_load_b128 v[120:123], v73 offset:8208
	ds_load_b128 v[116:119], v73 offset:8192
	v_cmp_eq_u32_e64 s5, 1, v69
	v_cmp_eq_u32_e64 s4, 1, v72
	;; [unrolled: 1-line block ×3, first 2 shown]
	v_mov_b32_e32 v77, v76
	v_mov_b32_e32 v78, v76
	;; [unrolled: 1-line block ×7, first 2 shown]
	v_cmp_eq_u32_e64 s7, 3, v72
	v_cmp_eq_u32_e64 s8, 7, v72
	s_waitcnt lgkmcnt(8)
	s_delay_alu instid0(VALU_DEP_3)
	v_wmma_f32_16x16x16_f16 v[76:83], v[49:56], v[84:91], v[76:83]
	ds_load_b128 v[53:56], v73 offset:10256
	ds_load_b128 v[49:52], v73 offset:10240
	s_waitcnt lgkmcnt(8)
	v_wmma_f32_16x16x16_f16 v[76:83], v[41:48], v[92:99], v[76:83]
	ds_load_b128 v[45:48], v73 offset:12304
	ds_load_b128 v[41:44], v73 offset:12288
	s_waitcnt lgkmcnt(8)
	;; [unrolled: 4-line block ×3, first 2 shown]
	s_barrier
	buffer_gl0_inv
	v_wmma_f32_16x16x16_f16 v[76:83], v[1:8], v[108:115], v[76:83]
	s_delay_alu instid0(VALU_DEP_1) | instskip(NEXT) | instid1(VALU_DEP_1)
	v_wmma_f32_16x16x16_f16 v[76:83], v[9:16], v[116:123], v[76:83]
	v_wmma_f32_16x16x16_f16 v[76:83], v[17:24], v[49:56], v[76:83]
	s_delay_alu instid0(VALU_DEP_1) | instskip(NEXT) | instid1(VALU_DEP_1)
	v_wmma_f32_16x16x16_f16 v[76:83], v[25:32], v[41:48], v[76:83]
	v_wmma_f32_16x16x16_f16 v[76:83], v[57:64], v[33:40], v[76:83]
	s_delay_alu instid0(VALU_DEP_1) | instskip(NEXT) | instid1(VALU_DEP_2)
	v_cvt_f16_f32_e32 v1, v76
	v_cvt_f16_f32_e32 v2, v77
	s_delay_alu instid0(VALU_DEP_3) | instskip(NEXT) | instid1(VALU_DEP_4)
	v_cvt_f16_f32_e32 v3, v78
	v_cvt_f16_f32_e32 v4, v79
	;; [unrolled: 1-line block ×6, first 2 shown]
	v_pack_b32_f16 v1, v1, v2
	v_pack_b32_f16 v2, v3, v4
	;; [unrolled: 1-line block ×3, first 2 shown]
	s_delay_alu instid0(VALU_DEP_4)
	v_pack_b32_f16 v4, v7, v8
	ds_store_b128 v74, v[1:4]
	s_waitcnt lgkmcnt(0)
	s_barrier
	buffer_gl0_inv
	ds_load_b128 v[1:4], v75
	ds_load_b128 v[5:8], v75 offset:16
	s_waitcnt lgkmcnt(1)
	v_lshrrev_b32_e32 v9, 16, v1
	s_waitcnt lgkmcnt(0)
	v_lshrrev_b32_e32 v13, 16, v5
	v_lshrrev_b32_e32 v10, 16, v2
	v_lshrrev_b32_e32 v14, 16, v6
	v_lshrrev_b32_e32 v11, 16, v3
	v_cndmask_b32_e32 v17, v1, v9, vcc_lo
	v_cndmask_b32_e32 v18, v5, v13, vcc_lo
	v_cndmask_b32_e64 v21, v1, v9, s5
	v_cmp_eq_u32_e32 vcc_lo, 1, v71
	v_cndmask_b32_e64 v22, v5, v13, s5
	v_cmp_eq_u32_e64 s5, 2, v70
	v_cndmask_b32_e64 v19, v1, v9, s4
	v_cndmask_b32_e64 v20, v5, v13, s4
	v_cndmask_b32_e32 v1, v1, v9, vcc_lo
	v_cmp_eq_u32_e64 s4, 2, v71
	v_cndmask_b32_e32 v5, v5, v13, vcc_lo
	v_cndmask_b32_e64 v9, v17, v2, s5
	v_cmp_eq_u32_e32 vcc_lo, 3, v70
	v_cndmask_b32_e64 v13, v18, v6, s5
	v_cmp_eq_u32_e64 s5, 2, v69
	v_cndmask_b32_e64 v17, v19, v2, s6
	v_cndmask_b32_e64 v18, v20, v6, s6
	v_cmp_eq_u32_e64 s6, 3, v69
	v_cndmask_b32_e64 v1, v1, v2, s4
	v_cndmask_b32_e64 v19, v21, v2, s5
	;; [unrolled: 1-line block ×4, first 2 shown]
	v_cndmask_b32_e32 v5, v9, v10, vcc_lo
	v_cndmask_b32_e32 v6, v13, v14, vcc_lo
	v_cmp_eq_u32_e32 vcc_lo, 3, v71
	v_cndmask_b32_e64 v9, v17, v10, s7
	v_cndmask_b32_e64 v13, v18, v14, s7
	;; [unrolled: 1-line block ×3, first 2 shown]
	v_cmp_eq_u32_e64 s5, 4, v70
	v_cndmask_b32_e32 v1, v1, v10, vcc_lo
	v_cndmask_b32_e32 v2, v2, v14, vcc_lo
	v_cmp_eq_u32_e32 vcc_lo, 4, v72
	v_lshrrev_b32_e32 v15, 16, v7
	v_lshrrev_b32_e32 v16, 16, v8
	v_cndmask_b32_e64 v17, v19, v10, s6
	v_cmp_eq_u32_e64 s4, 4, v71
	v_cndmask_b32_e64 v5, v5, v3, s5
	v_cndmask_b32_e64 v6, v6, v7, s5
	v_cndmask_b32_e32 v9, v9, v3, vcc_lo
	v_cmp_eq_u32_e64 s5, 5, v72
	v_cndmask_b32_e32 v10, v13, v7, vcc_lo
	v_cmp_eq_u32_e32 vcc_lo, 4, v69
	v_cmp_eq_u32_e64 s6, 5, v70
	v_cndmask_b32_e64 v2, v2, v7, s4
	v_cndmask_b32_e64 v9, v9, v11, s5
	;; [unrolled: 1-line block ×3, first 2 shown]
	v_cndmask_b32_e32 v13, v17, v3, vcc_lo
	v_cmp_eq_u32_e64 s5, 5, v69
	v_cndmask_b32_e32 v14, v18, v7, vcc_lo
	v_cndmask_b32_e64 v1, v1, v3, s4
	v_cmp_eq_u32_e32 vcc_lo, 5, v71
	v_lshrrev_b32_e32 v12, 16, v4
	v_cndmask_b32_e64 v13, v13, v11, s5
	v_cndmask_b32_e64 v3, v14, v15, s5
	v_cmp_eq_u32_e64 s5, 6, v71
	v_cndmask_b32_e32 v1, v1, v11, vcc_lo
	v_cndmask_b32_e64 v5, v5, v11, s6
	v_cmp_eq_u32_e64 s7, 6, v70
	v_cndmask_b32_e64 v6, v6, v15, s6
	v_cmp_eq_u32_e64 s6, 6, v72
	v_cmp_eq_u32_e64 s4, 6, v69
	v_cndmask_b32_e64 v1, v1, v4, s5
	v_cndmask_b32_e32 v2, v2, v15, vcc_lo
	v_cmp_eq_u32_e32 vcc_lo, 7, v71
	v_cndmask_b32_e64 v5, v5, v4, s7
	v_cndmask_b32_e64 v9, v9, v4, s6
	;; [unrolled: 1-line block ×3, first 2 shown]
	v_cmp_eq_u32_e64 s7, 7, v70
	v_cndmask_b32_e32 v1, v1, v12, vcc_lo
	v_cndmask_b32_e64 v7, v13, v4, s4
	v_cndmask_b32_e64 v3, v3, v8, s4
	;; [unrolled: 1-line block ×3, first 2 shown]
	v_cmp_eq_u32_e64 s4, 7, v69
	v_cndmask_b32_e64 v4, v10, v8, s6
	v_cndmask_b32_e64 v5, v5, v12, s7
	;; [unrolled: 1-line block ×3, first 2 shown]
	v_cndmask_b32_e32 v2, v2, v16, vcc_lo
	v_cndmask_b32_e64 v7, v7, v12, s4
	v_cndmask_b32_e64 v3, v3, v16, s4
	;; [unrolled: 1-line block ×4, first 2 shown]
	v_cmp_gt_u32_e32 vcc_lo, 32, v0
	v_perm_b32 v4, v2, v1, 0x5040100
	v_perm_b32 v3, v3, v7, 0x5040100
	;; [unrolled: 1-line block ×4, first 2 shown]
	s_and_b32 s2, vcc_lo, s2
	ds_store_b128 v74, v[1:4]
	s_waitcnt lgkmcnt(0)
	s_barrier
	buffer_gl0_inv
	s_and_saveexec_b32 s4, s2
	s_cbranch_execz .LBB780_2
; %bb.15:
	s_load_b64 s[4:5], s[0:1], 0x68
	v_lshlrev_b32_e32 v0, 10, v0
	v_lshlrev_b32_e32 v1, 4, v67
	s_lshl_b32 s0, s36, 6
	v_add_nc_u32_e32 v7, s33, v66
	s_mul_i32 s1, s0, s34
	s_delay_alu instid0(SALU_CYCLE_1) | instskip(SKIP_1) | instid1(VALU_DEP_2)
	s_mul_i32 s6, s1, s9
	v_and_or_b32 v0, 0x3800, v0, v1
	v_mul_lo_u32 v1, v7, s0
	v_add_nc_u32_e32 v2, 2, v7
	s_ashr_i32 s7, s6, 31
	v_add_nc_u32_e32 v4, 4, v7
	s_lshl_b64 s[6:7], s[6:7], 1
	v_add_nc_u32_e32 v8, 6, v7
	v_mul_lo_u32 v3, v2, s0
	v_lshl_or_b32 v19, v66, 6, v0
	v_ashrrev_i32_e32 v2, 31, v1
	v_mul_lo_u32 v11, v4, s0
	v_mul_lo_u32 v25, v8, s0
	s_waitcnt lgkmcnt(0)
	s_add_u32 s1, s4, s6
	s_addc_u32 s2, s5, s7
	s_lshl_b32 s4, s14, 6
	v_lshlrev_b64 v[5:6], 1, v[1:2]
	s_ashr_i32 s5, s4, 31
	v_ashrrev_i32_e32 v4, 31, v3
	s_lshl_b64 s[4:5], s[4:5], 1
	v_ashrrev_i32_e32 v12, 31, v11
	s_add_u32 s1, s1, s4
	s_addc_u32 s2, s2, s5
	v_add_co_u32 v1, s1, s1, v65
	s_delay_alu instid0(VALU_DEP_1) | instskip(SKIP_1) | instid1(VALU_DEP_3)
	v_add_co_ci_u32_e64 v2, null, s2, 0, s1
	v_lshlrev_b64 v[3:4], 1, v[3:4]
	v_add_co_u32 v23, vcc_lo, v1, v5
	v_add_nc_u32_e32 v5, 8, v7
	s_delay_alu instid0(VALU_DEP_4) | instskip(NEXT) | instid1(VALU_DEP_4)
	v_add_co_ci_u32_e32 v24, vcc_lo, v2, v6, vcc_lo
	v_add_co_u32 v27, vcc_lo, v1, v3
	s_delay_alu instid0(VALU_DEP_3)
	v_mul_lo_u32 v29, v5, s0
	v_add_co_ci_u32_e32 v28, vcc_lo, v2, v4, vcc_lo
	ds_load_b128 v[3:6], v19
	ds_load_b128 v[7:10], v19 offset:128
	v_lshlrev_b64 v[31:32], 1, v[11:12]
	ds_load_b128 v[11:14], v19 offset:256
	ds_load_b128 v[15:18], v19 offset:384
	;; [unrolled: 1-line block ×3, first 2 shown]
	v_ashrrev_i32_e32 v26, 31, v25
	v_ashrrev_i32_e32 v30, 31, v29
	v_add_co_u32 v31, vcc_lo, v1, v31
	s_delay_alu instid0(VALU_DEP_3) | instskip(NEXT) | instid1(VALU_DEP_3)
	v_lshlrev_b64 v[25:26], 1, v[25:26]
	v_lshlrev_b64 v[29:30], 1, v[29:30]
	v_add_co_ci_u32_e32 v32, vcc_lo, v2, v32, vcc_lo
	s_delay_alu instid0(VALU_DEP_3) | instskip(NEXT) | instid1(VALU_DEP_4)
	v_add_co_u32 v25, vcc_lo, v1, v25
	v_add_co_ci_u32_e32 v26, vcc_lo, v2, v26, vcc_lo
	s_delay_alu instid0(VALU_DEP_4)
	v_add_co_u32 v29, vcc_lo, v1, v29
	v_add_co_ci_u32_e32 v30, vcc_lo, v2, v30, vcc_lo
	s_waitcnt lgkmcnt(4)
	global_store_b128 v[23:24], v[3:6], off
	s_waitcnt lgkmcnt(3)
	global_store_b128 v[27:28], v[7:10], off
	;; [unrolled: 2-line block ×5, first 2 shown]
	s_and_b32 exec_lo, exec_lo, s3
	s_cbranch_execz .LBB780_2
; %bb.16:
	ds_load_b128 v[3:6], v0 offset:640
	s_add_i32 s1, s33, 10
	s_delay_alu instid0(SALU_CYCLE_1) | instskip(NEXT) | instid1(SALU_CYCLE_1)
	s_mul_i32 s0, s1, s0
	s_ashr_i32 s1, s0, 31
	s_delay_alu instid0(SALU_CYCLE_1) | instskip(NEXT) | instid1(SALU_CYCLE_1)
	s_lshl_b64 s[0:1], s[0:1], 1
	v_add_co_u32 v0, vcc_lo, v1, s0
	v_add_co_ci_u32_e32 v1, vcc_lo, s1, v2, vcc_lo
	s_waitcnt lgkmcnt(0)
	global_store_b128 v[0:1], v[3:6], off
	s_nop 0
	s_sendmsg sendmsg(MSG_DEALLOC_VGPRS)
	s_endpgm
	.section	.rodata,"a",@progbits
	.p2align	6, 0x0
	.amdhsa_kernel _Z39paged_attention_ll4mi_QKV_mfma16_kernelIDF16_hLN4vllm18Fp8KVCacheDataTypeE1EhLi16ELi64ELi256ELb1ELi11EL8MFMAType1EEvPKT_PKT0_S8_ifPKiSA_SA_iPKfiiiPfSD_PS3_PT2_iSC_SC_
		.amdhsa_group_segment_fixed_size 17472
		.amdhsa_private_segment_fixed_size 0
		.amdhsa_kernarg_size 400
		.amdhsa_user_sgpr_count 13
		.amdhsa_user_sgpr_dispatch_ptr 0
		.amdhsa_user_sgpr_queue_ptr 0
		.amdhsa_user_sgpr_kernarg_segment_ptr 1
		.amdhsa_user_sgpr_dispatch_id 0
		.amdhsa_user_sgpr_private_segment_size 0
		.amdhsa_wavefront_size32 1
		.amdhsa_uses_dynamic_stack 0
		.amdhsa_enable_private_segment 0
		.amdhsa_system_sgpr_workgroup_id_x 1
		.amdhsa_system_sgpr_workgroup_id_y 1
		.amdhsa_system_sgpr_workgroup_id_z 1
		.amdhsa_system_sgpr_workgroup_info 0
		.amdhsa_system_vgpr_workitem_id 0
		.amdhsa_next_free_vgpr 146
		.amdhsa_next_free_sgpr 37
		.amdhsa_reserve_vcc 1
		.amdhsa_float_round_mode_32 0
		.amdhsa_float_round_mode_16_64 0
		.amdhsa_float_denorm_mode_32 3
		.amdhsa_float_denorm_mode_16_64 3
		.amdhsa_dx10_clamp 1
		.amdhsa_ieee_mode 1
		.amdhsa_fp16_overflow 0
		.amdhsa_workgroup_processor_mode 1
		.amdhsa_memory_ordered 1
		.amdhsa_forward_progress 0
		.amdhsa_shared_vgpr_count 0
		.amdhsa_exception_fp_ieee_invalid_op 0
		.amdhsa_exception_fp_denorm_src 0
		.amdhsa_exception_fp_ieee_div_zero 0
		.amdhsa_exception_fp_ieee_overflow 0
		.amdhsa_exception_fp_ieee_underflow 0
		.amdhsa_exception_fp_ieee_inexact 0
		.amdhsa_exception_int_div_zero 0
	.end_amdhsa_kernel
	.section	.text._Z39paged_attention_ll4mi_QKV_mfma16_kernelIDF16_hLN4vllm18Fp8KVCacheDataTypeE1EhLi16ELi64ELi256ELb1ELi11EL8MFMAType1EEvPKT_PKT0_S8_ifPKiSA_SA_iPKfiiiPfSD_PS3_PT2_iSC_SC_,"axG",@progbits,_Z39paged_attention_ll4mi_QKV_mfma16_kernelIDF16_hLN4vllm18Fp8KVCacheDataTypeE1EhLi16ELi64ELi256ELb1ELi11EL8MFMAType1EEvPKT_PKT0_S8_ifPKiSA_SA_iPKfiiiPfSD_PS3_PT2_iSC_SC_,comdat
.Lfunc_end780:
	.size	_Z39paged_attention_ll4mi_QKV_mfma16_kernelIDF16_hLN4vllm18Fp8KVCacheDataTypeE1EhLi16ELi64ELi256ELb1ELi11EL8MFMAType1EEvPKT_PKT0_S8_ifPKiSA_SA_iPKfiiiPfSD_PS3_PT2_iSC_SC_, .Lfunc_end780-_Z39paged_attention_ll4mi_QKV_mfma16_kernelIDF16_hLN4vllm18Fp8KVCacheDataTypeE1EhLi16ELi64ELi256ELb1ELi11EL8MFMAType1EEvPKT_PKT0_S8_ifPKiSA_SA_iPKfiiiPfSD_PS3_PT2_iSC_SC_
                                        ; -- End function
	.section	.AMDGPU.csdata,"",@progbits
; Kernel info:
; codeLenInByte = 6640
; NumSgprs: 39
; NumVgprs: 146
; ScratchSize: 0
; MemoryBound: 0
; FloatMode: 240
; IeeeMode: 1
; LDSByteSize: 17472 bytes/workgroup (compile time only)
; SGPRBlocks: 4
; VGPRBlocks: 18
; NumSGPRsForWavesPerEU: 39
; NumVGPRsForWavesPerEU: 146
; Occupancy: 9
; WaveLimiterHint : 1
; COMPUTE_PGM_RSRC2:SCRATCH_EN: 0
; COMPUTE_PGM_RSRC2:USER_SGPR: 13
; COMPUTE_PGM_RSRC2:TRAP_HANDLER: 0
; COMPUTE_PGM_RSRC2:TGID_X_EN: 1
; COMPUTE_PGM_RSRC2:TGID_Y_EN: 1
; COMPUTE_PGM_RSRC2:TGID_Z_EN: 1
; COMPUTE_PGM_RSRC2:TIDIG_COMP_CNT: 0
	.section	.text._Z39paged_attention_ll4mi_QKV_mfma16_kernelIDF16_hLN4vllm18Fp8KVCacheDataTypeE1EhLi16ELi64ELi256ELb1ELi12EL8MFMAType1EEvPKT_PKT0_S8_ifPKiSA_SA_iPKfiiiPfSD_PS3_PT2_iSC_SC_,"axG",@progbits,_Z39paged_attention_ll4mi_QKV_mfma16_kernelIDF16_hLN4vllm18Fp8KVCacheDataTypeE1EhLi16ELi64ELi256ELb1ELi12EL8MFMAType1EEvPKT_PKT0_S8_ifPKiSA_SA_iPKfiiiPfSD_PS3_PT2_iSC_SC_,comdat
	.protected	_Z39paged_attention_ll4mi_QKV_mfma16_kernelIDF16_hLN4vllm18Fp8KVCacheDataTypeE1EhLi16ELi64ELi256ELb1ELi12EL8MFMAType1EEvPKT_PKT0_S8_ifPKiSA_SA_iPKfiiiPfSD_PS3_PT2_iSC_SC_ ; -- Begin function _Z39paged_attention_ll4mi_QKV_mfma16_kernelIDF16_hLN4vllm18Fp8KVCacheDataTypeE1EhLi16ELi64ELi256ELb1ELi12EL8MFMAType1EEvPKT_PKT0_S8_ifPKiSA_SA_iPKfiiiPfSD_PS3_PT2_iSC_SC_
	.globl	_Z39paged_attention_ll4mi_QKV_mfma16_kernelIDF16_hLN4vllm18Fp8KVCacheDataTypeE1EhLi16ELi64ELi256ELb1ELi12EL8MFMAType1EEvPKT_PKT0_S8_ifPKiSA_SA_iPKfiiiPfSD_PS3_PT2_iSC_SC_
	.p2align	8
	.type	_Z39paged_attention_ll4mi_QKV_mfma16_kernelIDF16_hLN4vllm18Fp8KVCacheDataTypeE1EhLi16ELi64ELi256ELb1ELi12EL8MFMAType1EEvPKT_PKT0_S8_ifPKiSA_SA_iPKfiiiPfSD_PS3_PT2_iSC_SC_,@function
_Z39paged_attention_ll4mi_QKV_mfma16_kernelIDF16_hLN4vllm18Fp8KVCacheDataTypeE1EhLi16ELi64ELi256ELb1ELi12EL8MFMAType1EEvPKT_PKT0_S8_ifPKiSA_SA_iPKfiiiPfSD_PS3_PT2_iSC_SC_: ; @_Z39paged_attention_ll4mi_QKV_mfma16_kernelIDF16_hLN4vllm18Fp8KVCacheDataTypeE1EhLi16ELi64ELi256ELb1ELi12EL8MFMAType1EEvPKT_PKT0_S8_ifPKiSA_SA_iPKfiiiPfSD_PS3_PT2_iSC_SC_
; %bb.0:
	s_load_b64 s[2:3], s[0:1], 0x30
	s_mov_b32 s34, s13
	s_waitcnt lgkmcnt(0)
	s_cmp_lg_u64 s[2:3], 0
	s_cselect_b32 s6, -1, 0
	s_ashr_i32 s35, s13, 31
	s_cmp_eq_u64 s[2:3], 0
	s_cbranch_scc1 .LBB781_3
; %bb.1:
	s_lshl_b64 s[4:5], s[34:35], 2
	s_delay_alu instid0(SALU_CYCLE_1) | instskip(SKIP_4) | instid1(SALU_CYCLE_1)
	s_add_u32 s4, s2, s4
	s_addc_u32 s5, s3, s5
	s_load_b64 s[4:5], s[4:5], 0x0
	s_waitcnt lgkmcnt(0)
	s_sub_i32 s4, s5, s4
	s_cmp_eq_u32 s4, 1
	s_cselect_b32 s4, -1, 0
	s_delay_alu instid0(SALU_CYCLE_1)
	s_and_not1_b32 vcc_lo, exec_lo, s4
	s_cbranch_vccz .LBB781_4
.LBB781_2:
	s_endpgm
.LBB781_3:
.LBB781_4:
	s_load_b64 s[8:9], s[0:1], 0x28
	s_lshl_b64 s[4:5], s[34:35], 2
	s_waitcnt lgkmcnt(0)
	s_add_u32 s8, s8, s4
	s_addc_u32 s9, s9, s5
	s_lshl_b32 s16, s14, 8
	s_load_b32 s18, s[8:9], 0x0
	s_waitcnt lgkmcnt(0)
	s_cmp_ge_i32 s16, s18
	s_cbranch_scc1 .LBB781_2
; %bb.5:
	s_clause 0x1
	s_load_b128 s[8:11], s[0:1], 0x8
	s_load_b64 s[12:13], s[0:1], 0x20
	s_and_not1_b32 vcc_lo, exec_lo, s6
	s_cbranch_vccnz .LBB781_7
; %bb.6:
	s_add_u32 s2, s2, s4
	s_addc_u32 s3, s3, s5
	s_load_b32 s3, s[2:3], 0x0
	s_branch .LBB781_8
.LBB781_7:
	s_mov_b32 s3, s34
.LBB781_8:
	s_load_b128 s[4:7], s[0:1], 0x48
	v_and_b32_e32 v68, 15, v0
	v_cmp_gt_u32_e32 vcc_lo, 0xc0, v0
	v_lshrrev_b32_e32 v69, 5, v0
	v_and_b32_e32 v70, 31, v0
	v_and_b32_e32 v67, 1, v0
	v_lshlrev_b32_e32 v1, 3, v68
	v_cmp_gt_u32_e64 s2, 8, v68
	v_bfe_u32 v66, v0, 4, 1
	s_mul_i32 s31, s15, 12
	s_delay_alu instid0(VALU_DEP_3) | instskip(NEXT) | instid1(VALU_DEP_3)
	v_lshlrev_b32_e32 v65, 1, v1
	s_and_b32 s17, vcc_lo, s2
	s_waitcnt lgkmcnt(0)
	s_and_saveexec_b32 s7, s17
	s_cbranch_execz .LBB781_10
; %bb.9:
	s_load_b64 s[20:21], s[0:1], 0x0
	v_lshl_or_b32 v5, v69, 1, v66
	s_mul_hi_i32 s23, s3, s4
	s_mul_i32 s22, s3, s4
	v_lshlrev_b32_e32 v6, 10, v68
	s_lshl_b64 s[22:23], s[22:23], 1
	v_add_lshl_u32 v1, v5, s31, 6
	v_lshlrev_b32_e32 v5, 6, v5
	v_lshlrev_b32_e32 v7, 10, v67
	v_and_b32_e32 v6, 0x3800, v6
	s_delay_alu instid0(VALU_DEP_4) | instskip(NEXT) | instid1(VALU_DEP_2)
	v_ashrrev_i32_e32 v2, 31, v1
	v_or3_b32 v5, v6, v7, v5
	s_delay_alu instid0(VALU_DEP_2) | instskip(SKIP_3) | instid1(VALU_DEP_1)
	v_lshlrev_b64 v[1:2], 1, v[1:2]
	s_waitcnt lgkmcnt(0)
	s_add_u32 s3, s20, s22
	s_addc_u32 s4, s21, s23
	v_add_co_u32 v1, vcc_lo, s3, v1
	s_delay_alu instid0(VALU_DEP_2) | instskip(NEXT) | instid1(VALU_DEP_2)
	v_add_co_ci_u32_e32 v2, vcc_lo, s4, v2, vcc_lo
	v_add_co_u32 v1, vcc_lo, v1, v65
	s_delay_alu instid0(VALU_DEP_2)
	v_add_co_ci_u32_e32 v2, vcc_lo, 0, v2, vcc_lo
	global_load_b128 v[1:4], v[1:2], off
	s_waitcnt vmcnt(0)
	ds_store_b128 v5, v[1:4]
.LBB781_10:
	s_or_b32 exec_lo, exec_lo, s7
	v_and_b32_e32 v1, 0xef, v0
	s_add_i32 s3, s18, 15
	s_clause 0x1
	s_load_b32 s4, s[0:1], 0x38
	s_load_b32 s33, s[0:1], 0x98
	s_ashr_i32 s7, s3, 31
	v_add_nc_u32_e32 v1, s16, v1
	s_lshr_b32 s7, s7, 28
	s_load_b32 s19, s[0:1], 0x1c
	v_add_nc_u32_e32 v103, -12, v68
	s_add_i32 s3, s3, s7
	v_ashrrev_i32_e32 v2, 31, v1
	v_or_b32_e32 v3, 16, v1
	s_ashr_i32 s3, s3, 4
	v_cmp_gt_i32_e32 vcc_lo, s18, v1
	s_add_i32 s3, s3, -1
	v_lshrrev_b32_e32 v2, 28, v2
	s_waitcnt lgkmcnt(0)
	s_barrier
	buffer_gl0_inv
	s_mul_i32 s15, s15, s6
	v_add_nc_u32_e32 v4, v1, v2
	v_mbcnt_lo_u32_b32 v127, -1, 0
	s_mul_i32 s20, s34, s4
	s_delay_alu instid0(SALU_CYCLE_1) | instskip(NEXT) | instid1(VALU_DEP_2)
	s_ashr_i32 s21, s20, 31
	v_ashrrev_i32_e32 v4, 4, v4
	v_add_nc_u32_e32 v2, v3, v2
	s_lshl_b64 s[20:21], s[20:21], 2
	v_xor_b32_e32 v128, 16, v127
	s_add_u32 s17, s12, s20
	v_cndmask_b32_e32 v1, s3, v4, vcc_lo
	v_ashrrev_i32_e32 v2, 4, v2
	v_cmp_gt_i32_e32 vcc_lo, s18, v3
	s_addc_u32 s13, s13, s21
	s_ashr_i32 s20, s15, 31
	s_add_u32 s4, s8, s15
	s_addc_u32 s12, s9, s20
	v_cndmask_b32_e32 v3, s3, v2, vcc_lo
	v_ashrrev_i32_e32 v2, 31, v1
	s_lshl_b32 s6, s14, 4
	s_delay_alu instid0(SALU_CYCLE_1) | instskip(NEXT) | instid1(VALU_DEP_2)
	s_ashr_i32 s7, s6, 31
	v_ashrrev_i32_e32 v4, 31, v3
	s_delay_alu instid0(VALU_DEP_2) | instskip(SKIP_1) | instid1(SALU_CYCLE_1)
	v_lshlrev_b64 v[1:2], 2, v[1:2]
	s_lshl_b64 s[6:7], s[6:7], 2
	s_add_u32 s6, s17, s6
	s_delay_alu instid0(VALU_DEP_2) | instskip(SKIP_1) | instid1(VALU_DEP_2)
	v_lshlrev_b64 v[3:4], 2, v[3:4]
	s_addc_u32 s7, s13, s7
	v_add_co_u32 v1, vcc_lo, s17, v1
	v_add_co_ci_u32_e32 v2, vcc_lo, s13, v2, vcc_lo
	s_delay_alu instid0(VALU_DEP_3) | instskip(NEXT) | instid1(VALU_DEP_4)
	v_add_co_u32 v3, vcc_lo, s17, v3
	v_add_co_ci_u32_e32 v4, vcc_lo, s13, v4, vcc_lo
	s_clause 0x1
	global_load_b32 v5, v[1:2], off
	global_load_b32 v7, v[3:4], off
	s_or_b32 s8, s16, 32
	v_lshlrev_b32_e32 v1, 4, v0
	s_ashr_i32 s9, s8, 4
	s_cmp_lt_i32 s8, s18
	v_cmp_gt_u32_e32 vcc_lo, 12, v68
	s_cselect_b32 s8, s9, s3
	v_and_b32_e32 v1, 0xf0, v1
	s_ashr_i32 s9, s8, 31
	s_delay_alu instid0(SALU_CYCLE_1)
	s_lshl_b64 s[8:9], s[8:9], 2
	v_cndmask_b32_e32 v103, v103, v68, vcc_lo
	s_add_u32 s8, s17, s8
	s_addc_u32 s9, s13, s9
	s_or_b32 s21, s16, 64
	v_add_co_u32 v1, s4, s4, v1
	s_ashr_i32 s22, s21, 4
	s_cmp_lt_i32 s21, s18
	v_add_co_ci_u32_e64 v2, null, s12, 0, s4
	s_cselect_b32 s22, s22, s3
	v_cmp_gt_i32_e32 vcc_lo, 32, v128
	s_ashr_i32 s23, s22, 31
	v_lshlrev_b32_e32 v115, 6, v103
	s_lshl_b64 s[22:23], s[22:23], 2
	v_cndmask_b32_e32 v136, v127, v128, vcc_lo
	s_add_u32 s22, s17, s22
	s_addc_u32 s23, s13, s23
	s_or_b32 s21, s16, 0x60
	s_delay_alu instid0(SALU_CYCLE_1) | instskip(SKIP_2) | instid1(SALU_CYCLE_1)
	s_ashr_i32 s24, s21, 4
	s_cmp_lt_i32 s21, s18
	s_cselect_b32 s24, s24, s3
	s_ashr_i32 s25, s24, 31
	s_delay_alu instid0(SALU_CYCLE_1) | instskip(NEXT) | instid1(SALU_CYCLE_1)
	s_lshl_b64 s[24:25], s[24:25], 2
	s_add_u32 s24, s17, s24
	s_addc_u32 s25, s13, s25
	s_or_b32 s21, s16, 0x80
	s_delay_alu instid0(SALU_CYCLE_1) | instskip(SKIP_2) | instid1(SALU_CYCLE_1)
	s_ashr_i32 s26, s21, 4
	s_cmp_lt_i32 s21, s18
	s_cselect_b32 s26, s26, s3
	s_ashr_i32 s27, s26, 31
	s_delay_alu instid0(SALU_CYCLE_1) | instskip(NEXT) | instid1(SALU_CYCLE_1)
	s_lshl_b64 s[26:27], s[26:27], 2
	;; [unrolled: 10-line block ×3, first 2 shown]
	s_add_u32 s28, s17, s28
	s_addc_u32 s29, s13, s29
	s_clause 0x5
	s_load_b32 s12, s[6:7], 0x0
	s_load_b32 s4, s[8:9], 0x0
	;; [unrolled: 1-line block ×6, first 2 shown]
	s_or_b32 s21, s16, 0xc0
	s_delay_alu instid0(SALU_CYCLE_1) | instskip(SKIP_2) | instid1(SALU_CYCLE_1)
	s_ashr_i32 s22, s21, 4
	s_cmp_lt_i32 s21, s18
	s_cselect_b32 s22, s22, s3
	s_ashr_i32 s23, s22, 31
	s_delay_alu instid0(SALU_CYCLE_1) | instskip(NEXT) | instid1(SALU_CYCLE_1)
	s_lshl_b64 s[22:23], s[22:23], 2
	s_add_u32 s22, s17, s22
	s_addc_u32 s23, s13, s23
	s_or_b32 s21, s16, 0xe0
	s_delay_alu instid0(SALU_CYCLE_1) | instskip(SKIP_2) | instid1(SALU_CYCLE_1)
	s_ashr_i32 s24, s21, 4
	s_cmp_lt_i32 s21, s18
	s_cselect_b32 s24, s24, s3
	s_ashr_i32 s25, s24, 31
	s_delay_alu instid0(SALU_CYCLE_1)
	s_lshl_b64 s[24:25], s[24:25], 2
	s_waitcnt vmcnt(1)
	v_mad_i64_i32 v[3:4], null, v5, s5, v[1:2]
	s_waitcnt vmcnt(0)
	v_mad_i64_i32 v[5:6], null, v7, s5, v[1:2]
	v_lshlrev_b32_e32 v1, 4, v68
	s_clause 0x7
	global_load_b128 v[71:74], v[3:4], off
	global_load_b128 v[75:78], v[3:4], off offset:256
	global_load_b128 v[79:82], v[5:6], off
	global_load_b128 v[83:86], v[5:6], off offset:256
	global_load_b128 v[87:90], v[3:4], off offset:512
	;; [unrolled: 1-line block ×5, first 2 shown]
	v_lshl_or_b32 v1, v69, 8, v1
	s_load_b32 s3, s[22:23], 0x0
	s_add_u32 s22, s17, s24
	s_addc_u32 s23, s13, s25
	s_add_u32 s10, s10, s15
	s_addc_u32 s11, s11, s20
	v_add_co_u32 v1, s10, s10, v1
	s_delay_alu instid0(VALU_DEP_1) | instskip(SKIP_2) | instid1(VALU_DEP_1)
	v_add_co_ci_u32_e64 v2, null, s11, 0, s10
	s_load_b32 s10, s[22:23], 0x0
	s_waitcnt lgkmcnt(0)
	v_mad_i64_i32 v[3:4], null, s12, s5, v[1:2]
	v_mad_i64_i32 v[9:10], null, s7, s5, v[1:2]
	;; [unrolled: 1-line block ×7, first 2 shown]
	s_clause 0x5
	global_load_b128 v[49:52], v[3:4], off
	global_load_b128 v[53:56], v[3:4], off offset:16
	global_load_b128 v[41:44], v[5:6], off
	global_load_b128 v[45:48], v[5:6], off offset:16
	;; [unrolled: 2-line block ×3, first 2 shown]
	s_mov_b32 s4, 0
	v_mad_i64_i32 v[61:62], null, s10, s5, v[1:2]
	s_clause 0x9
	global_load_b128 v[1:4], v[9:10], off
	global_load_b128 v[5:8], v[9:10], off offset:16
	global_load_b128 v[9:12], v[13:14], off
	global_load_b128 v[13:16], v[13:14], off offset:16
	;; [unrolled: 2-line block ×5, first 2 shown]
	s_mov_b32 s5, s4
	s_mov_b32 s6, s4
	;; [unrolled: 1-line block ×7, first 2 shown]
	v_and_b32_e32 v104, 0xe0, v0
	v_dual_mov_b32 v126, s11 :: v_dual_mov_b32 v125, s10
	v_dual_mov_b32 v124, s9 :: v_dual_mov_b32 v123, s8
	s_delay_alu instid0(VALU_DEP_3)
	v_add_nc_u32_e32 v111, s16, v104
	ds_load_b128 v[103:106], v115
	ds_load_b128 v[107:110], v115 offset:1024
	v_dual_mov_b32 v122, s7 :: v_dual_mov_b32 v121, s6
	v_mov_b32_e32 v120, s5
	v_or_b32_e32 v135, v111, v66
	ds_load_b128 v[111:114], v115 offset:2048
	ds_load_b128 v[115:118], v115 offset:3072
	v_mov_b32_e32 v119, s4
	s_waitcnt vmcnt(0) lgkmcnt(0)
	s_barrier
	v_or_b32_e32 v137, 2, v135
	v_or_b32_e32 v138, 4, v135
	;; [unrolled: 1-line block ×3, first 2 shown]
	v_cmp_gt_i32_e32 vcc_lo, s18, v135
	v_or_b32_e32 v140, 8, v135
	v_cmp_gt_i32_e64 s3, s18, v137
	v_or_b32_e32 v141, 10, v135
	v_cmp_gt_i32_e64 s4, s18, v138
	v_cmp_gt_i32_e64 s5, s18, v139
	v_or_b32_e32 v142, 12, v135
	v_or_b32_e32 v143, 14, v135
	v_cmp_gt_i32_e64 s6, s18, v140
	v_cmp_gt_i32_e64 s7, s18, v141
	v_or_b32_e32 v144, 16, v135
	v_or_b32_e32 v145, 18, v135
	v_cmp_gt_i32_e64 s8, s18, v142
	v_cmp_gt_i32_e64 s9, s18, v143
	buffer_gl0_inv
	v_cmp_gt_i32_e64 s10, s18, v144
	v_cmp_gt_i32_e64 s11, s18, v145
	v_wmma_f32_16x16x16_f16 v[127:134], v[71:78], v[103:110], v[119:126]
	v_wmma_f32_16x16x16_f16 v[119:126], v[79:86], v[103:110], v[119:126]
	v_or_b32_e32 v71, 20, v135
	v_or_b32_e32 v72, 22, v135
	s_delay_alu instid0(VALU_DEP_4)
	v_wmma_f32_16x16x16_f16 v[127:134], v[87:94], v[111:118], v[127:134]
	v_or_b32_e32 v73, 24, v135
	v_wmma_f32_16x16x16_f16 v[119:126], v[95:102], v[111:118], v[119:126]
	v_or_b32_e32 v74, 26, v135
	v_cmp_gt_i32_e64 s12, s18, v71
	v_dual_mul_f32 v83, s19, v128 :: v_dual_mul_f32 v84, s19, v127
	v_dual_mul_f32 v81, s19, v130 :: v_dual_mul_f32 v82, s19, v129
	v_dual_mul_f32 v79, s19, v132 :: v_dual_mul_f32 v92, s19, v119
	s_delay_alu instid0(VALU_DEP_3) | instskip(NEXT) | instid1(VALU_DEP_4)
	v_cndmask_b32_e32 v84, 0xff7fffff, v84, vcc_lo
	v_cndmask_b32_e64 v83, 0xff7fffff, v83, s3
	v_mul_f32_e32 v80, s19, v131
	v_cndmask_b32_e64 v82, 0xff7fffff, v82, s4
	v_cndmask_b32_e64 v81, 0xff7fffff, v81, s5
	v_dual_mul_f32 v77, s19, v134 :: v_dual_mul_f32 v90, s19, v121
	v_max3_f32 v83, v84, 0xff7fffff, v83
	v_mul_f32_e32 v78, s19, v133
	v_cndmask_b32_e64 v80, 0xff7fffff, v80, s6
	v_cndmask_b32_e64 v79, 0xff7fffff, v79, s7
	v_mul_f32_e32 v91, s19, v120
	v_max3_f32 v81, v83, v82, v81
	v_cndmask_b32_e64 v78, 0xff7fffff, v78, s8
	v_cndmask_b32_e64 v77, 0xff7fffff, v77, s9
	v_mul_f32_e32 v89, s19, v122
	v_cmp_gt_i32_e64 s13, s18, v72
	v_max3_f32 v79, v81, v80, v79
	v_cndmask_b32_e64 v80, 0xff7fffff, v92, s10
	v_cndmask_b32_e64 v81, 0xff7fffff, v91, s11
	v_or_b32_e32 v75, 28, v135
	v_or_b32_e32 v76, 30, v135
	v_max3_f32 v77, v79, v78, v77
	v_dual_mul_f32 v87, s19, v124 :: v_dual_mul_f32 v88, s19, v123
	v_cndmask_b32_e64 v71, 0xff7fffff, v90, s12
	v_cndmask_b32_e64 v72, 0xff7fffff, v89, s13
	s_delay_alu instid0(VALU_DEP_4) | instskip(SKIP_3) | instid1(VALU_DEP_4)
	v_max3_f32 v77, v77, v80, v81
	v_cmp_gt_i32_e64 s15, s18, v73
	v_cmp_gt_i32_e64 s16, s18, v74
	v_dual_mul_f32 v85, s19, v126 :: v_dual_mul_f32 v86, s19, v125
	v_max3_f32 v71, v77, v71, v72
	s_delay_alu instid0(VALU_DEP_4) | instskip(NEXT) | instid1(VALU_DEP_4)
	v_cndmask_b32_e64 v73, 0xff7fffff, v88, s15
	v_cndmask_b32_e64 v74, 0xff7fffff, v87, s16
	v_cmp_gt_i32_e64 s17, s18, v75
	v_cmp_gt_i32_e64 s18, s18, v76
	s_delay_alu instid0(VALU_DEP_3) | instskip(NEXT) | instid1(VALU_DEP_3)
	v_max3_f32 v71, v71, v73, v74
	v_cndmask_b32_e64 v72, 0xff7fffff, v86, s17
	s_delay_alu instid0(VALU_DEP_3) | instskip(SKIP_1) | instid1(VALU_DEP_2)
	v_cndmask_b32_e64 v75, 0xff7fffff, v85, s18
	v_lshlrev_b32_e32 v73, 2, v136
	v_max3_f32 v71, v71, v72, v75
	ds_bpermute_b32 v72, v73, v71
	s_waitcnt lgkmcnt(0)
	v_max_f32_e32 v72, v72, v72
	s_delay_alu instid0(VALU_DEP_1) | instskip(NEXT) | instid1(VALU_DEP_1)
	v_max_f32_e32 v71, v71, v72
	v_fma_f32 v72, s19, v127, -v71
	v_fma_f32 v74, s19, v128, -v71
	;; [unrolled: 1-line block ×5, first 2 shown]
	v_mul_f32_e32 v72, 0x3fb8aa3b, v72
	s_delay_alu instid0(VALU_DEP_4) | instskip(NEXT) | instid1(VALU_DEP_4)
	v_dual_mul_f32 v74, 0x3fb8aa3b, v74 :: v_dual_mul_f32 v75, 0x3fb8aa3b, v75
	v_mul_f32_e32 v76, 0x3fb8aa3b, v76
	s_delay_alu instid0(VALU_DEP_4) | instskip(NEXT) | instid1(VALU_DEP_4)
	v_mul_f32_e32 v82, 0x3fb8aa3b, v80
	v_exp_f32_e32 v72, v72
	s_delay_alu instid0(VALU_DEP_3)
	v_exp_f32_e32 v74, v74
	v_exp_f32_e32 v75, v75
	;; [unrolled: 1-line block ×3, first 2 shown]
	v_fma_f32 v77, s19, v131, -v71
	v_exp_f32_e32 v84, v82
	v_cndmask_b32_e32 v79, 0, v72, vcc_lo
	v_cndmask_b32_e64 v78, 0, v74, s3
	s_delay_alu instid0(TRANS32_DEP_3) | instskip(SKIP_1) | instid1(TRANS32_DEP_2)
	v_cndmask_b32_e64 v81, 0, v75, s4
	v_fma_f32 v72, s19, v132, -v71
	v_cndmask_b32_e64 v80, 0, v76, s5
	v_add_f32_e32 v74, 0, v79
	s_delay_alu instid0(TRANS32_DEP_1) | instskip(SKIP_2) | instid1(VALU_DEP_3)
	v_cndmask_b32_e64 v85, 0, v84, s8
	s_mov_b32 s3, exec_lo
	v_mul_f32_e32 v72, 0x3fb8aa3b, v72
	v_add_f32_e32 v74, v74, v78
	s_delay_alu instid0(VALU_DEP_2) | instskip(NEXT) | instid1(VALU_DEP_1)
	v_exp_f32_e32 v72, v72
	v_add_f32_e32 v74, v74, v81
	s_delay_alu instid0(VALU_DEP_1) | instskip(NEXT) | instid1(VALU_DEP_1)
	v_dual_mul_f32 v77, 0x3fb8aa3b, v77 :: v_dual_add_f32 v74, v74, v80
	v_exp_f32_e32 v77, v77
	s_waitcnt_depctr 0xfff
	v_cndmask_b32_e64 v82, 0, v72, s7
	v_cndmask_b32_e64 v83, 0, v77, s6
	s_delay_alu instid0(VALU_DEP_1) | instskip(SKIP_4) | instid1(VALU_DEP_4)
	v_add_f32_e32 v72, v74, v83
	v_fma_f32 v75, s19, v134, -v71
	v_fma_f32 v76, s19, v119, -v71
	;; [unrolled: 1-line block ×4, first 2 shown]
	v_dual_add_f32 v72, v72, v82 :: v_dual_mul_f32 v75, 0x3fb8aa3b, v75
	s_delay_alu instid0(VALU_DEP_3) | instskip(NEXT) | instid1(VALU_DEP_3)
	v_dual_mul_f32 v76, 0x3fb8aa3b, v76 :: v_dual_mul_f32 v77, 0x3fb8aa3b, v77
	v_mul_f32_e32 v74, 0x3fb8aa3b, v74
	v_fma_f32 v86, s19, v122, -v71
	s_delay_alu instid0(VALU_DEP_4) | instskip(NEXT) | instid1(VALU_DEP_3)
	v_exp_f32_e32 v75, v75
	v_exp_f32_e32 v76, v76
	;; [unrolled: 1-line block ×4, first 2 shown]
	v_mul_f32_e32 v86, 0x3fb8aa3b, v86
	s_delay_alu instid0(VALU_DEP_1)
	v_exp_f32_e32 v88, v86
	v_cndmask_b32_e64 v84, 0, v75, s9
	v_fma_f32 v75, s19, v123, -v71
	v_add_f32_e32 v72, v72, v85
	v_cndmask_b32_e64 v87, 0, v76, s10
	v_fma_f32 v76, s19, v124, -v71
	s_delay_alu instid0(TRANS32_DEP_3) | instskip(NEXT) | instid1(VALU_DEP_4)
	v_cndmask_b32_e64 v86, 0, v77, s11
	v_dual_mul_f32 v75, 0x3fb8aa3b, v75 :: v_dual_add_f32 v72, v72, v84
	v_fma_f32 v77, s19, v125, -v71
	s_delay_alu instid0(VALU_DEP_4) | instskip(SKIP_1) | instid1(VALU_DEP_4)
	v_mul_f32_e32 v76, 0x3fb8aa3b, v76
	v_cndmask_b32_e64 v89, 0, v74, s12
	v_exp_f32_e32 v75, v75
	v_add_f32_e32 v72, v72, v87
	v_mul_f32_e32 v74, 0x3fb8aa3b, v77
	v_exp_f32_e32 v76, v76
	v_cndmask_b32_e64 v88, 0, v88, s13
	v_fma_f32 v77, s19, v126, -v71
	v_add_f32_e32 v72, v72, v86
	v_exp_f32_e32 v74, v74
	s_delay_alu instid0(TRANS32_DEP_3) | instskip(NEXT) | instid1(VALU_DEP_2)
	v_cndmask_b32_e64 v91, 0, v75, s15
	v_add_f32_e32 v72, v72, v89
	v_mul_f32_e32 v75, 0x3fb8aa3b, v77
	s_delay_alu instid0(TRANS32_DEP_2) | instskip(NEXT) | instid1(VALU_DEP_3)
	v_cndmask_b32_e64 v90, 0, v76, s16
	v_add_f32_e32 v72, v72, v88
	s_delay_alu instid0(VALU_DEP_3) | instskip(NEXT) | instid1(TRANS32_DEP_2)
	v_exp_f32_e32 v75, v75
	v_cndmask_b32_e64 v93, 0, v74, s17
	s_delay_alu instid0(VALU_DEP_2) | instskip(NEXT) | instid1(VALU_DEP_1)
	v_add_f32_e32 v72, v72, v91
	v_add_f32_e32 v72, v72, v90
	s_waitcnt_depctr 0xfff
	v_cndmask_b32_e64 v92, 0, v75, s18
	v_add_f32_e32 v72, v72, v93
	s_delay_alu instid0(VALU_DEP_1)
	v_add_f32_e32 v72, v72, v92
	ds_bpermute_b32 v73, v73, v72
	v_cmpx_gt_u32_e32 16, v70
	s_cbranch_execz .LBB781_12
; %bb.11:
	v_mul_u32_u24_e32 v70, 0x44, v69
	s_waitcnt lgkmcnt(0)
	v_add_f32_e32 v72, v72, v73
	s_delay_alu instid0(VALU_DEP_2) | instskip(NEXT) | instid1(VALU_DEP_1)
	v_lshl_add_u32 v70, v68, 2, v70
	v_add_nc_u32_e32 v70, 0x4000, v70
	ds_store_2addr_b32 v70, v71, v72 offset1:136
.LBB781_12:
	s_or_b32 exec_lo, exec_lo, s3
	v_lshlrev_b32_e32 v70, 2, v68
	s_load_b32 s35, s[0:1], 0x94
	s_waitcnt lgkmcnt(0)
	s_barrier
	buffer_gl0_inv
	v_add_nc_u32_e32 v98, 0x4000, v70
	v_cmp_eq_u32_e32 vcc_lo, 1, v69
	v_cmp_eq_u32_e64 s3, 2, v69
	v_cmp_eq_u32_e64 s4, 3, v69
	;; [unrolled: 1-line block ×3, first 2 shown]
	ds_load_2addr_b32 v[70:71], v98 offset1:17
	ds_load_2addr_b32 v[72:73], v98 offset0:34 offset1:51
	ds_load_2addr_b32 v[74:75], v98 offset0:68 offset1:85
	ds_load_2addr_b32 v[94:95], v98 offset0:102 offset1:119
	v_cmp_eq_u32_e64 s6, 5, v69
	v_cmp_eq_u32_e64 s7, 7, v69
	s_waitcnt lgkmcnt(3)
	v_max3_f32 v76, v70, 0xff7fffff, v71
	s_waitcnt lgkmcnt(2)
	s_delay_alu instid0(VALU_DEP_1) | instskip(SKIP_1) | instid1(VALU_DEP_1)
	v_max3_f32 v76, v76, v72, v73
	s_waitcnt lgkmcnt(1)
	v_max3_f32 v76, v76, v74, v75
	s_waitcnt lgkmcnt(0)
	s_delay_alu instid0(VALU_DEP_1) | instskip(NEXT) | instid1(VALU_DEP_1)
	v_max3_f32 v76, v76, v94, v95
	v_sub_f32_e32 v77, v71, v76
	ds_load_2addr_b32 v[96:97], v98 offset0:136 offset1:153
	v_sub_f32_e32 v74, v74, v76
	v_sub_f32_e32 v70, v70, v76
	;; [unrolled: 1-line block ×3, first 2 shown]
	v_dual_sub_f32 v72, v72, v76 :: v_dual_mul_f32 v77, 0x3fb8aa3b, v77
	s_delay_alu instid0(VALU_DEP_4) | instskip(NEXT) | instid1(VALU_DEP_4)
	v_mul_f32_e32 v103, 0x3fb8aa3b, v74
	v_mul_f32_e32 v99, 0x3fb8aa3b, v70
	ds_load_2addr_b32 v[70:71], v98 offset0:170 offset1:187
	v_dual_mul_f32 v101, 0x3fb8aa3b, v72 :: v_dual_mul_f32 v94, 0x3fb8aa3b, v94
	v_exp_f32_e32 v102, v77
	v_exp_f32_e32 v99, v99
	s_delay_alu instid0(VALU_DEP_1) | instskip(NEXT) | instid1(VALU_DEP_1)
	v_exp_f32_e32 v101, v101
	v_exp_f32_e32 v94, v94
	s_waitcnt lgkmcnt(1)
	s_delay_alu instid0(TRANS32_DEP_3)
	v_fma_f32 v77, v99, v96, 0
	v_sub_f32_e32 v100, v73, v76
	ds_load_2addr_b32 v[72:73], v98 offset0:204 offset1:221
	v_fmac_f32_e32 v77, v102, v97
	v_exp_f32_e32 v97, v103
	s_waitcnt lgkmcnt(1)
	s_delay_alu instid0(VALU_DEP_1)
	v_dual_fmac_f32 v77, v101, v70 :: v_dual_sub_f32 v96, v75, v76
	ds_load_2addr_b32 v[74:75], v98 offset0:238 offset1:255
	v_sub_f32_e32 v70, v95, v76
	s_waitcnt lgkmcnt(0)
	s_barrier
	v_mul_f32_e32 v96, 0x3fb8aa3b, v96
	buffer_gl0_inv
	v_exp_f32_e32 v95, v96
	v_mul_f32_e32 v100, 0x3fb8aa3b, v100
	s_delay_alu instid0(VALU_DEP_1) | instskip(SKIP_3) | instid1(VALU_DEP_2)
	v_exp_f32_e32 v100, v100
	s_waitcnt_depctr 0xfff
	v_dual_fmac_f32 v77, v100, v71 :: v_dual_mul_f32 v70, 0x3fb8aa3b, v70
	v_cndmask_b32_e32 v71, v99, v102, vcc_lo
	v_fmac_f32_e32 v77, v97, v72
	s_delay_alu instid0(VALU_DEP_3) | instskip(NEXT) | instid1(VALU_DEP_1)
	v_exp_f32_e32 v96, v70
	v_fmac_f32_e32 v77, v95, v73
	s_delay_alu instid0(VALU_DEP_1) | instskip(SKIP_2) | instid1(VALU_DEP_1)
	v_fmac_f32_e32 v77, v94, v74
	s_waitcnt_depctr 0xfff
	v_fmac_f32_e32 v77, v96, v75
	v_add_f32_e32 v74, 0x358637bd, v77
	s_delay_alu instid0(VALU_DEP_1) | instskip(SKIP_1) | instid1(VALU_DEP_2)
	v_div_scale_f32 v98, null, v74, v74, 1.0
	v_div_scale_f32 v99, vcc_lo, 1.0, v74, 1.0
	v_rcp_f32_e32 v103, v98
	s_waitcnt_depctr 0xfff
	v_fma_f32 v70, -v98, v103, 1.0
	s_delay_alu instid0(VALU_DEP_1) | instskip(SKIP_2) | instid1(VALU_DEP_2)
	v_fmac_f32_e32 v103, v70, v103
	v_cndmask_b32_e64 v70, v71, v101, s3
	v_cmp_eq_u32_e64 s3, 6, v69
	v_cndmask_b32_e64 v71, v70, v100, s4
	s_delay_alu instid0(VALU_DEP_4) | instskip(NEXT) | instid1(VALU_DEP_2)
	v_dual_mul_f32 v101, v99, v103 :: v_dual_lshlrev_b32 v70, 2, v66
	v_cndmask_b32_e64 v71, v71, v97, s5
	s_delay_alu instid0(VALU_DEP_2) | instskip(NEXT) | instid1(VALU_DEP_3)
	v_or_b32_e32 v72, 1, v70
	v_fma_f32 v100, -v98, v101, v99
	v_cmp_eq_u32_e64 s4, 1, v70
	v_cmp_eq_u32_e64 s5, 2, v70
	v_cndmask_b32_e64 v95, v71, v95, s6
	v_or_b32_e32 v71, 3, v70
	v_fmac_f32_e32 v101, v100, v103
	v_cmp_eq_u32_e64 s9, 1, v72
	v_cmp_eq_u32_e64 s12, 2, v72
	v_cndmask_b32_e64 v94, v95, v94, s3
	v_cmp_eq_u32_e64 s11, 1, v71
	v_fma_f32 v97, -v98, v101, v99
	v_cmp_eq_u32_e64 s16, 2, v71
	v_cmp_eq_u32_e64 s13, 3, v72
	v_cndmask_b32_e64 v94, v94, v96, s7
	v_cmp_eq_u32_e64 s18, 3, v71
	v_div_fmas_f32 v95, v97, v103, v101
	v_cmp_eq_u32_e32 vcc_lo, 3, v70
	v_cmp_eq_u32_e64 s3, 4, v70
	v_cmp_eq_u32_e64 s19, 4, v72
	;; [unrolled: 1-line block ×3, first 2 shown]
	v_div_fixup_f32 v95, v95, v74, 1.0
	v_lshlrev_b32_e32 v73, 6, v68
	v_cmp_eq_u32_e64 s6, 5, v70
	v_cmp_eq_u32_e64 s20, 5, v72
	;; [unrolled: 1-line block ×3, first 2 shown]
	v_mul_f32_e32 v102, v94, v95
	v_lshl_or_b32 v75, v69, 11, v73
	v_or_b32_e32 v69, 2, v70
	v_cmp_eq_u32_e64 s25, 6, v72
	v_cmp_eq_u32_e64 s27, 6, v71
	v_fma_mixlo_f16 v94, v102, v79, 0
	v_fma_mixlo_f16 v95, v102, v81, 0
	v_fma_mixlo_f16 v96, v102, v83, 0
	v_fma_mixlo_f16 v97, v102, v85, 0
	v_fma_mixlo_f16 v98, v102, v87, 0
	v_fma_mixlo_f16 v99, v102, v89, 0
	v_fma_mixlo_f16 v100, v102, v91, 0
	v_fma_mixlo_f16 v101, v102, v93, 0
	v_lshl_or_b32 v74, v66, 4, v75
	v_fma_mixhi_f16 v94, v102, v78, 0
	v_fma_mixhi_f16 v95, v102, v80, 0
	;; [unrolled: 1-line block ×8, first 2 shown]
	ds_store_b128 v74, v[94:97]
	ds_store_b128 v74, v[98:101] offset:1024
	s_waitcnt lgkmcnt(0)
	s_barrier
	buffer_gl0_inv
	ds_load_b128 v[78:81], v75
	ds_load_b128 v[82:85], v75 offset:16
	ds_load_b128 v[86:89], v75 offset:1024
	;; [unrolled: 1-line block ×3, first 2 shown]
	v_cmp_eq_u32_e64 s10, 1, v69
	v_cmp_eq_u32_e64 s15, 2, v69
	;; [unrolled: 1-line block ×11, first 2 shown]
	s_waitcnt lgkmcnt(3)
	v_lshrrev_b32_e32 v94, 16, v78
	s_waitcnt lgkmcnt(2)
	v_lshrrev_b32_e32 v98, 16, v82
	;; [unrolled: 2-line block ×4, first 2 shown]
	v_lshrrev_b32_e32 v95, 16, v79
	v_cndmask_b32_e64 v110, v78, v94, s4
	v_cndmask_b32_e64 v111, v82, v98, s4
	;; [unrolled: 1-line block ×8, first 2 shown]
	v_lshrrev_b32_e32 v99, 16, v83
	v_cndmask_b32_e64 v94, v86, v102, s4
	v_cndmask_b32_e64 v98, v90, v106, s4
	v_cndmask_b32_e64 v116, v86, v102, s9
	v_cndmask_b32_e64 v117, v90, v106, s9
	v_cndmask_b32_e64 v118, v86, v102, s10
	v_cndmask_b32_e64 v119, v90, v106, s10
	v_cndmask_b32_e64 v86, v86, v102, s11
	v_cndmask_b32_e64 v90, v90, v106, s11
	v_cndmask_b32_e64 v102, v110, v79, s5
	v_cndmask_b32_e64 v106, v111, v83, s5
	v_cndmask_b32_e64 v110, v112, v79, s12
	v_cndmask_b32_e64 v111, v113, v83, s12
	v_cndmask_b32_e64 v112, v114, v79, s15
	v_cndmask_b32_e64 v78, v78, v79, s16
	v_cndmask_b32_e64 v79, v82, v83, s16
	v_lshrrev_b32_e32 v103, 16, v87
	v_lshrrev_b32_e32 v107, 16, v91
	v_cndmask_b32_e64 v113, v115, v83, s15
	v_cndmask_b32_e64 v82, v94, v87, s5
	v_cndmask_b32_e64 v83, v98, v91, s5
	v_cndmask_b32_e64 v94, v116, v87, s12
	v_cndmask_b32_e64 v98, v118, v87, s15
	v_cndmask_b32_e64 v86, v86, v87, s16
	v_cndmask_b32_e64 v87, v90, v91, s16
	v_cndmask_b32_e32 v90, v102, v95, vcc_lo
	v_cndmask_b32_e32 v102, v106, v99, vcc_lo
	v_cndmask_b32_e64 v106, v110, v95, s13
	v_cndmask_b32_e64 v110, v111, v99, s13
	;; [unrolled: 1-line block ×4, first 2 shown]
	v_lshrrev_b32_e32 v96, 16, v80
	v_lshrrev_b32_e32 v100, 16, v84
	v_cndmask_b32_e64 v111, v112, v95, s17
	v_cndmask_b32_e64 v112, v113, v99, s17
	v_cndmask_b32_e32 v82, v82, v103, vcc_lo
	v_cndmask_b32_e32 v83, v83, v107, vcc_lo
	v_cndmask_b32_e64 v94, v94, v103, s13
	v_cndmask_b32_e64 v90, v90, v80, s3
	;; [unrolled: 1-line block ×7, first 2 shown]
	v_lshrrev_b32_e32 v104, 16, v88
	v_cndmask_b32_e64 v106, v111, v80, s21
	v_cndmask_b32_e64 v110, v112, v84, s21
	;; [unrolled: 1-line block ×11, first 2 shown]
	v_lshrrev_b32_e32 v97, 16, v81
	v_lshrrev_b32_e32 v101, 16, v85
	v_cndmask_b32_e64 v99, v106, v96, s23
	v_cndmask_b32_e64 v102, v110, v100, s23
	;; [unrolled: 1-line block ×7, first 2 shown]
	v_lshrrev_b32_e32 v105, 16, v89
	v_cndmask_b32_e64 v80, v80, v104, s6
	v_cndmask_b32_e64 v84, v84, v81, s7
	v_cndmask_b32_e64 v90, v90, v85, s7
	v_cndmask_b32_e64 v96, v99, v81, s26
	v_cndmask_b32_e64 v99, v102, v85, s26
	v_cndmask_b32_e64 v81, v83, v89, s25
	v_cndmask_b32_e64 v85, v94, v97, s30
	v_cndmask_b32_e64 v78, v78, v97, s29
	v_cndmask_b32_e64 v79, v79, v101, s29
	v_cndmask_b32_e64 v95, v95, v101, s30
	v_cndmask_b32_e64 v80, v80, v89, s7
	v_cndmask_b32_e64 v83, v84, v97, s8
	v_cndmask_b32_e64 v84, v90, v101, s8
	v_cndmask_b32_e64 v90, v96, v97, s28
	v_cndmask_b32_e64 v94, v99, v101, s28
	v_cndmask_b32_e64 v97, v81, v105, s30
	v_perm_b32 v81, v79, v78, 0x5040100
	v_perm_b32 v79, v95, v85, 0x5040100
	v_cndmask_b32_e64 v78, v119, v91, s15
	v_cndmask_b32_e64 v85, v117, v91, s12
	;; [unrolled: 1-line block ×3, first 2 shown]
	v_perm_b32 v80, v94, v90, 0x5040100
	v_cndmask_b32_e64 v90, v98, v103, s17
	v_cndmask_b32_e64 v86, v86, v103, s18
	;; [unrolled: 1-line block ×5, first 2 shown]
	v_lshrrev_b32_e32 v108, 16, v92
	v_cndmask_b32_e64 v90, v90, v88, s21
	v_cndmask_b32_e64 v86, v86, v88, s22
	v_cndmask_b32_e64 v87, v87, v92, s22
	v_cndmask_b32_e64 v78, v78, v92, s21
	v_cndmask_b32_e64 v85, v85, v92, s19
	v_cndmask_b32_e64 v82, v82, v108, s6
	v_cndmask_b32_e64 v88, v90, v104, s23
	v_cndmask_b32_e64 v86, v86, v104, s24
	v_cndmask_b32_e64 v87, v87, v108, s24
	v_cndmask_b32_e64 v78, v78, v108, s23
	v_cndmask_b32_e64 v85, v85, v108, s20
	v_lshrrev_b32_e32 v109, 16, v93
	v_cndmask_b32_e64 v82, v82, v93, s7
	v_cndmask_b32_e64 v88, v88, v89, s26
	;; [unrolled: 1-line block ×12, first 2 shown]
	v_perm_b32 v78, v84, v83, 0x5040100
	v_perm_b32 v85, v87, v86, 0x5040100
	;; [unrolled: 1-line block ×5, first 2 shown]
	s_mul_i32 s8, s33, 12
	s_mov_b32 s3, exec_lo
	ds_store_b128 v74, v[78:81]
	ds_store_b128 v74, v[82:85] offset:1024
	v_cmpx_gt_u32_e32 12, v0
	s_cbranch_execz .LBB781_14
; %bb.13:
	s_mul_i32 s4, s8, s34
	s_delay_alu instid0(SALU_CYCLE_1) | instskip(SKIP_1) | instid1(VALU_DEP_1)
	v_add3_u32 v68, s4, s31, v68
	s_load_b128 s[4:7], s[0:1], 0x58
	v_mad_u64_u32 v[78:79], null, v68, s35, s[14:15]
	s_delay_alu instid0(VALU_DEP_1) | instskip(NEXT) | instid1(VALU_DEP_1)
	v_ashrrev_i32_e32 v79, 31, v78
	v_lshlrev_b64 v[78:79], 2, v[78:79]
	s_waitcnt lgkmcnt(0)
	s_delay_alu instid0(VALU_DEP_1) | instskip(NEXT) | instid1(VALU_DEP_2)
	v_add_co_u32 v80, vcc_lo, s6, v78
	v_add_co_ci_u32_e32 v81, vcc_lo, s7, v79, vcc_lo
	v_add_co_u32 v78, vcc_lo, s4, v78
	v_add_co_ci_u32_e32 v79, vcc_lo, s5, v79, vcc_lo
	global_store_b32 v[80:81], v76, off
	global_store_b32 v[78:79], v77, off
.LBB781_14:
	s_or_b32 exec_lo, exec_lo, s3
	s_waitcnt lgkmcnt(0)
	s_waitcnt_vscnt null, 0x0
	s_barrier
	buffer_gl0_inv
	ds_load_b128 v[84:87], v73
	ds_load_b128 v[88:91], v73 offset:16
	ds_load_b128 v[96:99], v73 offset:2064
	;; [unrolled: 1-line block ×5, first 2 shown]
	v_cmp_eq_u32_e32 vcc_lo, 1, v70
	v_mov_b32_e32 v76, 0
	ds_load_b128 v[112:115], v73 offset:6160
	ds_load_b128 v[108:111], v73 offset:6144
	;; [unrolled: 1-line block ×4, first 2 shown]
	v_cmp_eq_u32_e64 s4, 1, v69
	v_cmp_eq_u32_e64 s3, 1, v72
	;; [unrolled: 1-line block ×3, first 2 shown]
	v_mov_b32_e32 v77, v76
	v_mov_b32_e32 v78, v76
	;; [unrolled: 1-line block ×7, first 2 shown]
	v_cmp_eq_u32_e64 s6, 3, v72
	v_cmp_eq_u32_e64 s7, 7, v72
	s_waitcnt lgkmcnt(8)
	s_delay_alu instid0(VALU_DEP_3)
	v_wmma_f32_16x16x16_f16 v[76:83], v[49:56], v[84:91], v[76:83]
	ds_load_b128 v[53:56], v73 offset:10256
	ds_load_b128 v[49:52], v73 offset:10240
	s_waitcnt lgkmcnt(8)
	v_wmma_f32_16x16x16_f16 v[76:83], v[41:48], v[92:99], v[76:83]
	ds_load_b128 v[45:48], v73 offset:12304
	ds_load_b128 v[41:44], v73 offset:12288
	s_waitcnt lgkmcnt(8)
	;; [unrolled: 4-line block ×3, first 2 shown]
	s_barrier
	buffer_gl0_inv
	v_wmma_f32_16x16x16_f16 v[76:83], v[1:8], v[108:115], v[76:83]
	s_delay_alu instid0(VALU_DEP_1) | instskip(NEXT) | instid1(VALU_DEP_1)
	v_wmma_f32_16x16x16_f16 v[76:83], v[9:16], v[116:123], v[76:83]
	v_wmma_f32_16x16x16_f16 v[76:83], v[17:24], v[49:56], v[76:83]
	s_delay_alu instid0(VALU_DEP_1) | instskip(NEXT) | instid1(VALU_DEP_1)
	v_wmma_f32_16x16x16_f16 v[76:83], v[25:32], v[41:48], v[76:83]
	v_wmma_f32_16x16x16_f16 v[76:83], v[57:64], v[33:40], v[76:83]
	s_delay_alu instid0(VALU_DEP_1) | instskip(NEXT) | instid1(VALU_DEP_2)
	v_cvt_f16_f32_e32 v1, v76
	v_cvt_f16_f32_e32 v2, v77
	s_delay_alu instid0(VALU_DEP_3) | instskip(NEXT) | instid1(VALU_DEP_4)
	v_cvt_f16_f32_e32 v3, v78
	v_cvt_f16_f32_e32 v4, v79
	;; [unrolled: 1-line block ×6, first 2 shown]
	v_pack_b32_f16 v1, v1, v2
	v_pack_b32_f16 v2, v3, v4
	;; [unrolled: 1-line block ×3, first 2 shown]
	s_delay_alu instid0(VALU_DEP_4)
	v_pack_b32_f16 v4, v7, v8
	ds_store_b128 v74, v[1:4]
	s_waitcnt lgkmcnt(0)
	s_barrier
	buffer_gl0_inv
	ds_load_b128 v[1:4], v75
	ds_load_b128 v[5:8], v75 offset:16
	s_waitcnt lgkmcnt(1)
	v_lshrrev_b32_e32 v9, 16, v1
	s_waitcnt lgkmcnt(0)
	v_lshrrev_b32_e32 v13, 16, v5
	v_lshrrev_b32_e32 v10, 16, v2
	v_lshrrev_b32_e32 v14, 16, v6
	v_lshrrev_b32_e32 v11, 16, v3
	v_cndmask_b32_e32 v17, v1, v9, vcc_lo
	v_cndmask_b32_e32 v18, v5, v13, vcc_lo
	v_cndmask_b32_e64 v21, v1, v9, s4
	v_cmp_eq_u32_e32 vcc_lo, 1, v71
	v_cndmask_b32_e64 v22, v5, v13, s4
	v_cmp_eq_u32_e64 s4, 2, v70
	v_cndmask_b32_e64 v19, v1, v9, s3
	v_cndmask_b32_e64 v20, v5, v13, s3
	v_cndmask_b32_e32 v1, v1, v9, vcc_lo
	v_cmp_eq_u32_e64 s3, 2, v71
	v_cndmask_b32_e32 v5, v5, v13, vcc_lo
	v_cndmask_b32_e64 v9, v17, v2, s4
	v_cmp_eq_u32_e32 vcc_lo, 3, v70
	v_cndmask_b32_e64 v13, v18, v6, s4
	v_cmp_eq_u32_e64 s4, 2, v69
	v_cndmask_b32_e64 v17, v19, v2, s5
	v_cndmask_b32_e64 v18, v20, v6, s5
	v_cmp_eq_u32_e64 s5, 3, v69
	v_cndmask_b32_e64 v1, v1, v2, s3
	v_cndmask_b32_e64 v19, v21, v2, s4
	;; [unrolled: 1-line block ×4, first 2 shown]
	v_cndmask_b32_e32 v5, v9, v10, vcc_lo
	v_cndmask_b32_e32 v6, v13, v14, vcc_lo
	v_cmp_eq_u32_e32 vcc_lo, 3, v71
	v_cndmask_b32_e64 v9, v17, v10, s6
	v_cndmask_b32_e64 v13, v18, v14, s6
	;; [unrolled: 1-line block ×3, first 2 shown]
	v_cmp_eq_u32_e64 s4, 4, v70
	v_cndmask_b32_e32 v1, v1, v10, vcc_lo
	v_cndmask_b32_e32 v2, v2, v14, vcc_lo
	v_cmp_eq_u32_e32 vcc_lo, 4, v72
	v_lshrrev_b32_e32 v15, 16, v7
	v_lshrrev_b32_e32 v16, 16, v8
	v_cndmask_b32_e64 v17, v19, v10, s5
	v_cmp_eq_u32_e64 s3, 4, v71
	v_cndmask_b32_e64 v5, v5, v3, s4
	v_cndmask_b32_e64 v6, v6, v7, s4
	v_cndmask_b32_e32 v9, v9, v3, vcc_lo
	v_cmp_eq_u32_e64 s4, 5, v72
	v_cndmask_b32_e32 v10, v13, v7, vcc_lo
	v_cmp_eq_u32_e32 vcc_lo, 4, v69
	v_cmp_eq_u32_e64 s5, 5, v70
	v_cndmask_b32_e64 v2, v2, v7, s3
	v_cndmask_b32_e64 v9, v9, v11, s4
	;; [unrolled: 1-line block ×3, first 2 shown]
	v_cndmask_b32_e32 v13, v17, v3, vcc_lo
	v_cmp_eq_u32_e64 s4, 5, v69
	v_cndmask_b32_e32 v14, v18, v7, vcc_lo
	v_cndmask_b32_e64 v1, v1, v3, s3
	v_cmp_eq_u32_e32 vcc_lo, 5, v71
	v_lshrrev_b32_e32 v12, 16, v4
	v_cndmask_b32_e64 v13, v13, v11, s4
	v_cndmask_b32_e64 v3, v14, v15, s4
	v_cmp_eq_u32_e64 s4, 6, v71
	v_cndmask_b32_e32 v1, v1, v11, vcc_lo
	v_cndmask_b32_e64 v5, v5, v11, s5
	v_cmp_eq_u32_e64 s6, 6, v70
	v_cndmask_b32_e64 v6, v6, v15, s5
	v_cmp_eq_u32_e64 s5, 6, v72
	v_cmp_eq_u32_e64 s3, 6, v69
	v_cndmask_b32_e64 v1, v1, v4, s4
	v_cndmask_b32_e32 v2, v2, v15, vcc_lo
	v_cmp_eq_u32_e32 vcc_lo, 7, v71
	v_cndmask_b32_e64 v5, v5, v4, s6
	v_cndmask_b32_e64 v9, v9, v4, s5
	v_cndmask_b32_e64 v6, v6, v8, s6
	v_cmp_eq_u32_e64 s6, 7, v70
	v_cndmask_b32_e32 v1, v1, v12, vcc_lo
	v_cndmask_b32_e64 v7, v13, v4, s3
	v_cndmask_b32_e64 v3, v3, v8, s3
	;; [unrolled: 1-line block ×3, first 2 shown]
	v_cmp_eq_u32_e64 s3, 7, v69
	v_cndmask_b32_e64 v4, v10, v8, s5
	v_cndmask_b32_e64 v5, v5, v12, s6
	;; [unrolled: 1-line block ×3, first 2 shown]
	v_cndmask_b32_e32 v2, v2, v16, vcc_lo
	v_cndmask_b32_e64 v7, v7, v12, s3
	v_cndmask_b32_e64 v3, v3, v16, s3
	v_cndmask_b32_e64 v8, v4, v16, s7
	v_cndmask_b32_e64 v6, v6, v16, s6
	v_cmp_gt_u32_e32 vcc_lo, 32, v0
	v_perm_b32 v4, v2, v1, 0x5040100
	v_perm_b32 v3, v3, v7, 0x5040100
	;; [unrolled: 1-line block ×4, first 2 shown]
	s_and_b32 s2, vcc_lo, s2
	ds_store_b128 v74, v[1:4]
	s_waitcnt lgkmcnt(0)
	s_barrier
	buffer_gl0_inv
	s_and_saveexec_b32 s3, s2
	s_cbranch_execz .LBB781_2
; %bb.15:
	s_load_b64 s[0:1], s[0:1], 0x68
	v_lshlrev_b32_e32 v0, 10, v0
	s_lshl_b32 s4, s35, 6
	v_or_b32_e32 v3, s31, v66
	s_mul_i32 s2, s4, s34
	v_lshlrev_b32_e32 v1, 4, v67
	s_mul_i32 s2, s2, s8
	v_lshlrev_b32_e32 v2, 6, v66
	v_and_b32_e32 v0, 0x3800, v0
	s_ashr_i32 s3, s2, 31
	v_mul_lo_u32 v4, v3, s4
	s_lshl_b64 s[2:3], s[2:3], 1
	s_delay_alu instid0(VALU_DEP_2) | instskip(NEXT) | instid1(VALU_DEP_2)
	v_or3_b32 v16, v0, v1, v2
	v_ashrrev_i32_e32 v5, 31, v4
	ds_load_b128 v[0:3], v16
	s_waitcnt lgkmcnt(0)
	s_add_u32 s2, s0, s2
	s_addc_u32 s3, s1, s3
	s_lshl_b32 s0, s14, 6
	v_lshlrev_b64 v[5:6], 1, v[4:5]
	s_ashr_i32 s1, s0, 31
	s_delay_alu instid0(SALU_CYCLE_1) | instskip(NEXT) | instid1(SALU_CYCLE_1)
	s_lshl_b64 s[0:1], s[0:1], 1
	s_add_u32 s0, s2, s0
	s_addc_u32 s1, s3, s1
	s_lshl_b32 s2, s35, 7
	v_add_co_u32 v30, s0, s0, v65
	v_add_nc_u32_e32 v8, s2, v4
	v_add_co_ci_u32_e64 v31, null, s1, 0, s0
	s_delay_alu instid0(VALU_DEP_3) | instskip(NEXT) | instid1(VALU_DEP_3)
	v_add_co_u32 v12, vcc_lo, v30, v5
	v_add_nc_u32_e32 v10, s2, v8
	v_ashrrev_i32_e32 v9, 31, v8
	s_delay_alu instid0(VALU_DEP_4)
	v_add_co_ci_u32_e32 v13, vcc_lo, v31, v6, vcc_lo
	ds_load_b128 v[4:7], v16 offset:128
	v_ashrrev_i32_e32 v11, 31, v10
	v_lshlrev_b64 v[8:9], 1, v[8:9]
	v_add_nc_u32_e32 v14, s2, v10
	global_store_b128 v[12:13], v[0:3], off
	v_lshlrev_b64 v[0:1], 1, v[10:11]
	v_ashrrev_i32_e32 v15, 31, v14
	v_add_co_u32 v22, vcc_lo, v30, v8
	v_add_nc_u32_e32 v20, s2, v14
	v_add_co_ci_u32_e32 v23, vcc_lo, v31, v9, vcc_lo
	v_add_co_u32 v26, vcc_lo, v30, v0
	v_lshlrev_b64 v[24:25], 1, v[14:15]
	v_add_co_ci_u32_e32 v27, vcc_lo, v31, v1, vcc_lo
	ds_load_b128 v[0:3], v16 offset:256
	ds_load_b128 v[8:11], v16 offset:384
	;; [unrolled: 1-line block ×4, first 2 shown]
	v_add_nc_u32_e32 v28, s2, v20
	v_ashrrev_i32_e32 v21, 31, v20
	v_add_co_u32 v24, vcc_lo, v30, v24
	v_add_co_ci_u32_e32 v25, vcc_lo, v31, v25, vcc_lo
	s_delay_alu instid0(VALU_DEP_4) | instskip(NEXT) | instid1(VALU_DEP_4)
	v_ashrrev_i32_e32 v29, 31, v28
	v_lshlrev_b64 v[20:21], 1, v[20:21]
	s_delay_alu instid0(VALU_DEP_2) | instskip(NEXT) | instid1(VALU_DEP_2)
	v_lshlrev_b64 v[28:29], 1, v[28:29]
	v_add_co_u32 v20, vcc_lo, v30, v20
	s_delay_alu instid0(VALU_DEP_3) | instskip(NEXT) | instid1(VALU_DEP_3)
	v_add_co_ci_u32_e32 v21, vcc_lo, v31, v21, vcc_lo
	v_add_co_u32 v28, vcc_lo, v30, v28
	s_delay_alu instid0(VALU_DEP_4)
	v_add_co_ci_u32_e32 v29, vcc_lo, v31, v29, vcc_lo
	s_waitcnt lgkmcnt(4)
	global_store_b128 v[22:23], v[4:7], off
	s_waitcnt lgkmcnt(3)
	global_store_b128 v[26:27], v[0:3], off
	;; [unrolled: 2-line block ×5, first 2 shown]
	s_nop 0
	s_sendmsg sendmsg(MSG_DEALLOC_VGPRS)
	s_endpgm
	.section	.rodata,"a",@progbits
	.p2align	6, 0x0
	.amdhsa_kernel _Z39paged_attention_ll4mi_QKV_mfma16_kernelIDF16_hLN4vllm18Fp8KVCacheDataTypeE1EhLi16ELi64ELi256ELb1ELi12EL8MFMAType1EEvPKT_PKT0_S8_ifPKiSA_SA_iPKfiiiPfSD_PS3_PT2_iSC_SC_
		.amdhsa_group_segment_fixed_size 17472
		.amdhsa_private_segment_fixed_size 0
		.amdhsa_kernarg_size 400
		.amdhsa_user_sgpr_count 13
		.amdhsa_user_sgpr_dispatch_ptr 0
		.amdhsa_user_sgpr_queue_ptr 0
		.amdhsa_user_sgpr_kernarg_segment_ptr 1
		.amdhsa_user_sgpr_dispatch_id 0
		.amdhsa_user_sgpr_private_segment_size 0
		.amdhsa_wavefront_size32 1
		.amdhsa_uses_dynamic_stack 0
		.amdhsa_enable_private_segment 0
		.amdhsa_system_sgpr_workgroup_id_x 1
		.amdhsa_system_sgpr_workgroup_id_y 1
		.amdhsa_system_sgpr_workgroup_id_z 1
		.amdhsa_system_sgpr_workgroup_info 0
		.amdhsa_system_vgpr_workitem_id 0
		.amdhsa_next_free_vgpr 146
		.amdhsa_next_free_sgpr 36
		.amdhsa_reserve_vcc 1
		.amdhsa_float_round_mode_32 0
		.amdhsa_float_round_mode_16_64 0
		.amdhsa_float_denorm_mode_32 3
		.amdhsa_float_denorm_mode_16_64 3
		.amdhsa_dx10_clamp 1
		.amdhsa_ieee_mode 1
		.amdhsa_fp16_overflow 0
		.amdhsa_workgroup_processor_mode 1
		.amdhsa_memory_ordered 1
		.amdhsa_forward_progress 0
		.amdhsa_shared_vgpr_count 0
		.amdhsa_exception_fp_ieee_invalid_op 0
		.amdhsa_exception_fp_denorm_src 0
		.amdhsa_exception_fp_ieee_div_zero 0
		.amdhsa_exception_fp_ieee_overflow 0
		.amdhsa_exception_fp_ieee_underflow 0
		.amdhsa_exception_fp_ieee_inexact 0
		.amdhsa_exception_int_div_zero 0
	.end_amdhsa_kernel
	.section	.text._Z39paged_attention_ll4mi_QKV_mfma16_kernelIDF16_hLN4vllm18Fp8KVCacheDataTypeE1EhLi16ELi64ELi256ELb1ELi12EL8MFMAType1EEvPKT_PKT0_S8_ifPKiSA_SA_iPKfiiiPfSD_PS3_PT2_iSC_SC_,"axG",@progbits,_Z39paged_attention_ll4mi_QKV_mfma16_kernelIDF16_hLN4vllm18Fp8KVCacheDataTypeE1EhLi16ELi64ELi256ELb1ELi12EL8MFMAType1EEvPKT_PKT0_S8_ifPKiSA_SA_iPKfiiiPfSD_PS3_PT2_iSC_SC_,comdat
.Lfunc_end781:
	.size	_Z39paged_attention_ll4mi_QKV_mfma16_kernelIDF16_hLN4vllm18Fp8KVCacheDataTypeE1EhLi16ELi64ELi256ELb1ELi12EL8MFMAType1EEvPKT_PKT0_S8_ifPKiSA_SA_iPKfiiiPfSD_PS3_PT2_iSC_SC_, .Lfunc_end781-_Z39paged_attention_ll4mi_QKV_mfma16_kernelIDF16_hLN4vllm18Fp8KVCacheDataTypeE1EhLi16ELi64ELi256ELb1ELi12EL8MFMAType1EEvPKT_PKT0_S8_ifPKiSA_SA_iPKfiiiPfSD_PS3_PT2_iSC_SC_
                                        ; -- End function
	.section	.AMDGPU.csdata,"",@progbits
; Kernel info:
; codeLenInByte = 6588
; NumSgprs: 38
; NumVgprs: 146
; ScratchSize: 0
; MemoryBound: 0
; FloatMode: 240
; IeeeMode: 1
; LDSByteSize: 17472 bytes/workgroup (compile time only)
; SGPRBlocks: 4
; VGPRBlocks: 18
; NumSGPRsForWavesPerEU: 38
; NumVGPRsForWavesPerEU: 146
; Occupancy: 9
; WaveLimiterHint : 1
; COMPUTE_PGM_RSRC2:SCRATCH_EN: 0
; COMPUTE_PGM_RSRC2:USER_SGPR: 13
; COMPUTE_PGM_RSRC2:TRAP_HANDLER: 0
; COMPUTE_PGM_RSRC2:TGID_X_EN: 1
; COMPUTE_PGM_RSRC2:TGID_Y_EN: 1
; COMPUTE_PGM_RSRC2:TGID_Z_EN: 1
; COMPUTE_PGM_RSRC2:TIDIG_COMP_CNT: 0
	.section	.text._Z39paged_attention_ll4mi_QKV_mfma16_kernelIDF16_hLN4vllm18Fp8KVCacheDataTypeE1EhLi16ELi64ELi256ELb1ELi13EL8MFMAType1EEvPKT_PKT0_S8_ifPKiSA_SA_iPKfiiiPfSD_PS3_PT2_iSC_SC_,"axG",@progbits,_Z39paged_attention_ll4mi_QKV_mfma16_kernelIDF16_hLN4vllm18Fp8KVCacheDataTypeE1EhLi16ELi64ELi256ELb1ELi13EL8MFMAType1EEvPKT_PKT0_S8_ifPKiSA_SA_iPKfiiiPfSD_PS3_PT2_iSC_SC_,comdat
	.protected	_Z39paged_attention_ll4mi_QKV_mfma16_kernelIDF16_hLN4vllm18Fp8KVCacheDataTypeE1EhLi16ELi64ELi256ELb1ELi13EL8MFMAType1EEvPKT_PKT0_S8_ifPKiSA_SA_iPKfiiiPfSD_PS3_PT2_iSC_SC_ ; -- Begin function _Z39paged_attention_ll4mi_QKV_mfma16_kernelIDF16_hLN4vllm18Fp8KVCacheDataTypeE1EhLi16ELi64ELi256ELb1ELi13EL8MFMAType1EEvPKT_PKT0_S8_ifPKiSA_SA_iPKfiiiPfSD_PS3_PT2_iSC_SC_
	.globl	_Z39paged_attention_ll4mi_QKV_mfma16_kernelIDF16_hLN4vllm18Fp8KVCacheDataTypeE1EhLi16ELi64ELi256ELb1ELi13EL8MFMAType1EEvPKT_PKT0_S8_ifPKiSA_SA_iPKfiiiPfSD_PS3_PT2_iSC_SC_
	.p2align	8
	.type	_Z39paged_attention_ll4mi_QKV_mfma16_kernelIDF16_hLN4vllm18Fp8KVCacheDataTypeE1EhLi16ELi64ELi256ELb1ELi13EL8MFMAType1EEvPKT_PKT0_S8_ifPKiSA_SA_iPKfiiiPfSD_PS3_PT2_iSC_SC_,@function
_Z39paged_attention_ll4mi_QKV_mfma16_kernelIDF16_hLN4vllm18Fp8KVCacheDataTypeE1EhLi16ELi64ELi256ELb1ELi13EL8MFMAType1EEvPKT_PKT0_S8_ifPKiSA_SA_iPKfiiiPfSD_PS3_PT2_iSC_SC_: ; @_Z39paged_attention_ll4mi_QKV_mfma16_kernelIDF16_hLN4vllm18Fp8KVCacheDataTypeE1EhLi16ELi64ELi256ELb1ELi13EL8MFMAType1EEvPKT_PKT0_S8_ifPKiSA_SA_iPKfiiiPfSD_PS3_PT2_iSC_SC_
; %bb.0:
	s_load_b64 s[2:3], s[0:1], 0x30
	s_mov_b32 s34, s13
	s_waitcnt lgkmcnt(0)
	s_cmp_lg_u64 s[2:3], 0
	s_cselect_b32 s6, -1, 0
	s_ashr_i32 s35, s13, 31
	s_cmp_eq_u64 s[2:3], 0
	s_cbranch_scc1 .LBB782_3
; %bb.1:
	s_lshl_b64 s[4:5], s[34:35], 2
	s_delay_alu instid0(SALU_CYCLE_1) | instskip(SKIP_4) | instid1(SALU_CYCLE_1)
	s_add_u32 s4, s2, s4
	s_addc_u32 s5, s3, s5
	s_load_b64 s[4:5], s[4:5], 0x0
	s_waitcnt lgkmcnt(0)
	s_sub_i32 s4, s5, s4
	s_cmp_eq_u32 s4, 1
	s_cselect_b32 s4, -1, 0
	s_delay_alu instid0(SALU_CYCLE_1)
	s_and_not1_b32 vcc_lo, exec_lo, s4
	s_cbranch_vccz .LBB782_4
.LBB782_2:
	s_nop 0
	s_sendmsg sendmsg(MSG_DEALLOC_VGPRS)
	s_endpgm
.LBB782_3:
.LBB782_4:
	s_load_b64 s[8:9], s[0:1], 0x28
	s_lshl_b64 s[4:5], s[34:35], 2
	s_waitcnt lgkmcnt(0)
	s_add_u32 s8, s8, s4
	s_addc_u32 s9, s9, s5
	s_lshl_b32 s16, s14, 8
	s_load_b32 s18, s[8:9], 0x0
	s_waitcnt lgkmcnt(0)
	s_cmp_ge_i32 s16, s18
	s_cbranch_scc1 .LBB782_2
; %bb.5:
	s_clause 0x1
	s_load_b128 s[8:11], s[0:1], 0x8
	s_load_b64 s[12:13], s[0:1], 0x20
	s_and_not1_b32 vcc_lo, exec_lo, s6
	s_cbranch_vccnz .LBB782_7
; %bb.6:
	s_add_u32 s2, s2, s4
	s_addc_u32 s3, s3, s5
	s_load_b32 s3, s[2:3], 0x0
	s_branch .LBB782_8
.LBB782_7:
	s_mov_b32 s3, s34
.LBB782_8:
	s_load_b128 s[4:7], s[0:1], 0x48
	v_lshrrev_b32_e32 v69, 5, v0
	v_bfe_u32 v66, v0, 4, 1
	v_and_b32_e32 v68, 15, v0
	v_and_b32_e32 v70, 31, v0
	;; [unrolled: 1-line block ×3, first 2 shown]
	s_mul_i32 s33, s15, 13
	v_lshl_or_b32 v1, v69, 1, v66
	v_lshlrev_b32_e32 v2, 3, v68
	v_cmp_gt_u32_e64 s2, 8, v68
	s_delay_alu instid0(VALU_DEP_3) | instskip(NEXT) | instid1(VALU_DEP_3)
	v_cmp_gt_u32_e32 vcc_lo, 13, v1
	v_lshlrev_b32_e32 v65, 1, v2
	s_delay_alu instid0(VALU_DEP_3)
	s_and_b32 s17, s2, vcc_lo
	s_waitcnt lgkmcnt(0)
	s_and_saveexec_b32 s7, s17
	s_cbranch_execz .LBB782_10
; %bb.9:
	s_load_b64 s[20:21], s[0:1], 0x0
	v_add_lshl_u32 v2, v1, s33, 6
	s_mul_hi_i32 s23, s3, s4
	s_mul_i32 s22, s3, s4
	v_lshlrev_b32_e32 v6, 10, v68
	s_lshl_b64 s[22:23], s[22:23], 1
	v_ashrrev_i32_e32 v3, 31, v2
	v_lshlrev_b32_e32 v1, 6, v1
	v_lshlrev_b32_e32 v7, 10, v67
	v_and_b32_e32 v6, 0x3800, v6
	s_delay_alu instid0(VALU_DEP_4) | instskip(NEXT) | instid1(VALU_DEP_2)
	v_lshlrev_b64 v[2:3], 1, v[2:3]
	v_or3_b32 v1, v6, v7, v1
	s_waitcnt lgkmcnt(0)
	s_add_u32 s3, s20, s22
	s_addc_u32 s4, s21, s23
	s_delay_alu instid0(VALU_DEP_2) | instskip(SKIP_1) | instid1(VALU_DEP_2)
	v_add_co_u32 v2, vcc_lo, s3, v2
	v_add_co_ci_u32_e32 v3, vcc_lo, s4, v3, vcc_lo
	v_add_co_u32 v2, vcc_lo, v2, v65
	s_delay_alu instid0(VALU_DEP_2)
	v_add_co_ci_u32_e32 v3, vcc_lo, 0, v3, vcc_lo
	global_load_b128 v[2:5], v[2:3], off
	s_waitcnt vmcnt(0)
	ds_store_b128 v1, v[2:5]
.LBB782_10:
	s_or_b32 exec_lo, exec_lo, s7
	v_and_b32_e32 v1, 0xef, v0
	s_add_i32 s3, s18, 15
	s_clause 0x1
	s_load_b32 s4, s[0:1], 0x38
	s_load_b32 s35, s[0:1], 0x98
	s_ashr_i32 s7, s3, 31
	v_add_nc_u32_e32 v1, s16, v1
	s_lshr_b32 s7, s7, 28
	s_load_b32 s19, s[0:1], 0x1c
	v_add_nc_u32_e32 v103, -13, v68
	s_add_i32 s3, s3, s7
	v_ashrrev_i32_e32 v2, 31, v1
	v_or_b32_e32 v3, 16, v1
	s_ashr_i32 s3, s3, 4
	v_cmp_gt_i32_e32 vcc_lo, s18, v1
	s_add_i32 s3, s3, -1
	v_lshrrev_b32_e32 v2, 28, v2
	s_waitcnt lgkmcnt(0)
	s_barrier
	buffer_gl0_inv
	s_mul_i32 s15, s15, s6
	v_add_nc_u32_e32 v4, v1, v2
	v_mbcnt_lo_u32_b32 v127, -1, 0
	s_mul_i32 s20, s34, s4
	s_delay_alu instid0(SALU_CYCLE_1) | instskip(NEXT) | instid1(VALU_DEP_2)
	s_ashr_i32 s21, s20, 31
	v_ashrrev_i32_e32 v4, 4, v4
	v_add_nc_u32_e32 v2, v3, v2
	s_lshl_b64 s[20:21], s[20:21], 2
	v_xor_b32_e32 v128, 16, v127
	s_add_u32 s17, s12, s20
	v_cndmask_b32_e32 v1, s3, v4, vcc_lo
	v_ashrrev_i32_e32 v2, 4, v2
	v_cmp_gt_i32_e32 vcc_lo, s18, v3
	s_addc_u32 s13, s13, s21
	s_ashr_i32 s20, s15, 31
	s_add_u32 s4, s8, s15
	s_addc_u32 s12, s9, s20
	v_cndmask_b32_e32 v3, s3, v2, vcc_lo
	v_ashrrev_i32_e32 v2, 31, v1
	s_lshl_b32 s6, s14, 4
	s_delay_alu instid0(SALU_CYCLE_1) | instskip(NEXT) | instid1(VALU_DEP_2)
	s_ashr_i32 s7, s6, 31
	v_ashrrev_i32_e32 v4, 31, v3
	s_delay_alu instid0(VALU_DEP_2) | instskip(SKIP_1) | instid1(SALU_CYCLE_1)
	v_lshlrev_b64 v[1:2], 2, v[1:2]
	s_lshl_b64 s[6:7], s[6:7], 2
	s_add_u32 s6, s17, s6
	s_delay_alu instid0(VALU_DEP_2) | instskip(SKIP_1) | instid1(VALU_DEP_2)
	v_lshlrev_b64 v[3:4], 2, v[3:4]
	s_addc_u32 s7, s13, s7
	v_add_co_u32 v1, vcc_lo, s17, v1
	v_add_co_ci_u32_e32 v2, vcc_lo, s13, v2, vcc_lo
	s_delay_alu instid0(VALU_DEP_3) | instskip(NEXT) | instid1(VALU_DEP_4)
	v_add_co_u32 v3, vcc_lo, s17, v3
	v_add_co_ci_u32_e32 v4, vcc_lo, s13, v4, vcc_lo
	s_clause 0x1
	global_load_b32 v5, v[1:2], off
	global_load_b32 v7, v[3:4], off
	s_or_b32 s8, s16, 32
	v_lshlrev_b32_e32 v1, 4, v0
	s_ashr_i32 s9, s8, 4
	s_cmp_lt_i32 s8, s18
	v_cmp_gt_u32_e32 vcc_lo, 13, v68
	s_cselect_b32 s8, s9, s3
	v_and_b32_e32 v1, 0xf0, v1
	s_ashr_i32 s9, s8, 31
	s_delay_alu instid0(SALU_CYCLE_1)
	s_lshl_b64 s[8:9], s[8:9], 2
	v_cndmask_b32_e32 v103, v103, v68, vcc_lo
	s_add_u32 s8, s17, s8
	s_addc_u32 s9, s13, s9
	s_or_b32 s21, s16, 64
	v_add_co_u32 v1, s4, s4, v1
	s_ashr_i32 s22, s21, 4
	s_cmp_lt_i32 s21, s18
	v_add_co_ci_u32_e64 v2, null, s12, 0, s4
	s_cselect_b32 s22, s22, s3
	v_cmp_gt_i32_e32 vcc_lo, 32, v128
	s_ashr_i32 s23, s22, 31
	v_lshlrev_b32_e32 v115, 6, v103
	s_lshl_b64 s[22:23], s[22:23], 2
	v_cndmask_b32_e32 v136, v127, v128, vcc_lo
	s_add_u32 s22, s17, s22
	s_addc_u32 s23, s13, s23
	s_or_b32 s21, s16, 0x60
	s_delay_alu instid0(SALU_CYCLE_1) | instskip(SKIP_2) | instid1(SALU_CYCLE_1)
	s_ashr_i32 s24, s21, 4
	s_cmp_lt_i32 s21, s18
	s_cselect_b32 s24, s24, s3
	s_ashr_i32 s25, s24, 31
	s_delay_alu instid0(SALU_CYCLE_1) | instskip(NEXT) | instid1(SALU_CYCLE_1)
	s_lshl_b64 s[24:25], s[24:25], 2
	s_add_u32 s24, s17, s24
	s_addc_u32 s25, s13, s25
	s_or_b32 s21, s16, 0x80
	s_delay_alu instid0(SALU_CYCLE_1) | instskip(SKIP_2) | instid1(SALU_CYCLE_1)
	s_ashr_i32 s26, s21, 4
	s_cmp_lt_i32 s21, s18
	s_cselect_b32 s26, s26, s3
	s_ashr_i32 s27, s26, 31
	s_delay_alu instid0(SALU_CYCLE_1) | instskip(NEXT) | instid1(SALU_CYCLE_1)
	s_lshl_b64 s[26:27], s[26:27], 2
	;; [unrolled: 10-line block ×3, first 2 shown]
	s_add_u32 s28, s17, s28
	s_addc_u32 s29, s13, s29
	s_clause 0x5
	s_load_b32 s12, s[6:7], 0x0
	s_load_b32 s4, s[8:9], 0x0
	;; [unrolled: 1-line block ×6, first 2 shown]
	s_or_b32 s21, s16, 0xc0
	s_delay_alu instid0(SALU_CYCLE_1) | instskip(SKIP_2) | instid1(SALU_CYCLE_1)
	s_ashr_i32 s22, s21, 4
	s_cmp_lt_i32 s21, s18
	s_cselect_b32 s22, s22, s3
	s_ashr_i32 s23, s22, 31
	s_delay_alu instid0(SALU_CYCLE_1) | instskip(NEXT) | instid1(SALU_CYCLE_1)
	s_lshl_b64 s[22:23], s[22:23], 2
	s_add_u32 s22, s17, s22
	s_addc_u32 s23, s13, s23
	s_or_b32 s21, s16, 0xe0
	s_delay_alu instid0(SALU_CYCLE_1) | instskip(SKIP_2) | instid1(SALU_CYCLE_1)
	s_ashr_i32 s24, s21, 4
	s_cmp_lt_i32 s21, s18
	s_cselect_b32 s24, s24, s3
	s_ashr_i32 s25, s24, 31
	s_delay_alu instid0(SALU_CYCLE_1)
	s_lshl_b64 s[24:25], s[24:25], 2
	s_waitcnt vmcnt(1)
	v_mad_i64_i32 v[3:4], null, v5, s5, v[1:2]
	s_waitcnt vmcnt(0)
	v_mad_i64_i32 v[5:6], null, v7, s5, v[1:2]
	v_lshlrev_b32_e32 v1, 4, v68
	s_clause 0x7
	global_load_b128 v[71:74], v[3:4], off
	global_load_b128 v[75:78], v[3:4], off offset:256
	global_load_b128 v[79:82], v[5:6], off
	global_load_b128 v[83:86], v[5:6], off offset:256
	global_load_b128 v[87:90], v[3:4], off offset:512
	;; [unrolled: 1-line block ×5, first 2 shown]
	v_lshl_or_b32 v1, v69, 8, v1
	s_load_b32 s3, s[22:23], 0x0
	s_add_u32 s22, s17, s24
	s_addc_u32 s23, s13, s25
	s_add_u32 s10, s10, s15
	s_addc_u32 s11, s11, s20
	v_add_co_u32 v1, s10, s10, v1
	s_delay_alu instid0(VALU_DEP_1) | instskip(SKIP_2) | instid1(VALU_DEP_1)
	v_add_co_ci_u32_e64 v2, null, s11, 0, s10
	s_load_b32 s10, s[22:23], 0x0
	s_waitcnt lgkmcnt(0)
	v_mad_i64_i32 v[3:4], null, s12, s5, v[1:2]
	v_mad_i64_i32 v[9:10], null, s7, s5, v[1:2]
	;; [unrolled: 1-line block ×7, first 2 shown]
	s_clause 0x5
	global_load_b128 v[49:52], v[3:4], off
	global_load_b128 v[53:56], v[3:4], off offset:16
	global_load_b128 v[41:44], v[5:6], off
	global_load_b128 v[45:48], v[5:6], off offset:16
	;; [unrolled: 2-line block ×3, first 2 shown]
	s_mov_b32 s4, 0
	v_mad_i64_i32 v[61:62], null, s10, s5, v[1:2]
	s_clause 0x9
	global_load_b128 v[1:4], v[9:10], off
	global_load_b128 v[5:8], v[9:10], off offset:16
	global_load_b128 v[9:12], v[13:14], off
	global_load_b128 v[13:16], v[13:14], off offset:16
	;; [unrolled: 2-line block ×5, first 2 shown]
	s_mov_b32 s5, s4
	s_mov_b32 s6, s4
	;; [unrolled: 1-line block ×7, first 2 shown]
	v_and_b32_e32 v104, 0xe0, v0
	v_dual_mov_b32 v126, s11 :: v_dual_mov_b32 v125, s10
	v_dual_mov_b32 v124, s9 :: v_dual_mov_b32 v123, s8
	s_delay_alu instid0(VALU_DEP_3)
	v_add_nc_u32_e32 v111, s16, v104
	ds_load_b128 v[103:106], v115
	ds_load_b128 v[107:110], v115 offset:1024
	v_dual_mov_b32 v122, s7 :: v_dual_mov_b32 v121, s6
	v_mov_b32_e32 v120, s5
	v_or_b32_e32 v135, v111, v66
	ds_load_b128 v[111:114], v115 offset:2048
	ds_load_b128 v[115:118], v115 offset:3072
	v_mov_b32_e32 v119, s4
	s_waitcnt vmcnt(0) lgkmcnt(0)
	s_barrier
	v_or_b32_e32 v137, 2, v135
	v_or_b32_e32 v138, 4, v135
	;; [unrolled: 1-line block ×3, first 2 shown]
	v_cmp_gt_i32_e32 vcc_lo, s18, v135
	v_or_b32_e32 v140, 8, v135
	v_cmp_gt_i32_e64 s3, s18, v137
	v_or_b32_e32 v141, 10, v135
	v_cmp_gt_i32_e64 s4, s18, v138
	v_cmp_gt_i32_e64 s5, s18, v139
	v_or_b32_e32 v142, 12, v135
	v_or_b32_e32 v143, 14, v135
	v_cmp_gt_i32_e64 s6, s18, v140
	v_cmp_gt_i32_e64 s7, s18, v141
	v_or_b32_e32 v144, 16, v135
	v_or_b32_e32 v145, 18, v135
	v_cmp_gt_i32_e64 s8, s18, v142
	v_cmp_gt_i32_e64 s9, s18, v143
	buffer_gl0_inv
	v_cmp_gt_i32_e64 s10, s18, v144
	v_cmp_gt_i32_e64 s11, s18, v145
	v_wmma_f32_16x16x16_f16 v[127:134], v[71:78], v[103:110], v[119:126]
	v_wmma_f32_16x16x16_f16 v[119:126], v[79:86], v[103:110], v[119:126]
	v_or_b32_e32 v71, 20, v135
	v_or_b32_e32 v72, 22, v135
	s_delay_alu instid0(VALU_DEP_4)
	v_wmma_f32_16x16x16_f16 v[127:134], v[87:94], v[111:118], v[127:134]
	v_or_b32_e32 v73, 24, v135
	v_wmma_f32_16x16x16_f16 v[119:126], v[95:102], v[111:118], v[119:126]
	v_or_b32_e32 v74, 26, v135
	v_cmp_gt_i32_e64 s12, s18, v71
	v_dual_mul_f32 v83, s19, v128 :: v_dual_mul_f32 v84, s19, v127
	v_dual_mul_f32 v81, s19, v130 :: v_dual_mul_f32 v82, s19, v129
	;; [unrolled: 1-line block ×3, first 2 shown]
	s_delay_alu instid0(VALU_DEP_3) | instskip(NEXT) | instid1(VALU_DEP_4)
	v_cndmask_b32_e32 v84, 0xff7fffff, v84, vcc_lo
	v_cndmask_b32_e64 v83, 0xff7fffff, v83, s3
	v_mul_f32_e32 v80, s19, v131
	v_cndmask_b32_e64 v82, 0xff7fffff, v82, s4
	v_cndmask_b32_e64 v81, 0xff7fffff, v81, s5
	v_dual_mul_f32 v77, s19, v134 :: v_dual_mul_f32 v90, s19, v121
	v_max3_f32 v83, v84, 0xff7fffff, v83
	v_mul_f32_e32 v78, s19, v133
	v_cndmask_b32_e64 v80, 0xff7fffff, v80, s6
	v_cndmask_b32_e64 v79, 0xff7fffff, v79, s7
	v_mul_f32_e32 v91, s19, v120
	v_max3_f32 v81, v83, v82, v81
	v_cndmask_b32_e64 v78, 0xff7fffff, v78, s8
	v_cndmask_b32_e64 v77, 0xff7fffff, v77, s9
	v_mul_f32_e32 v89, s19, v122
	v_cmp_gt_i32_e64 s13, s18, v72
	v_max3_f32 v79, v81, v80, v79
	v_cndmask_b32_e64 v80, 0xff7fffff, v92, s10
	v_cndmask_b32_e64 v81, 0xff7fffff, v91, s11
	v_or_b32_e32 v75, 28, v135
	v_or_b32_e32 v76, 30, v135
	v_max3_f32 v77, v79, v78, v77
	v_dual_mul_f32 v87, s19, v124 :: v_dual_mul_f32 v88, s19, v123
	v_cndmask_b32_e64 v71, 0xff7fffff, v90, s12
	v_cndmask_b32_e64 v72, 0xff7fffff, v89, s13
	s_delay_alu instid0(VALU_DEP_4) | instskip(SKIP_3) | instid1(VALU_DEP_4)
	v_max3_f32 v77, v77, v80, v81
	v_cmp_gt_i32_e64 s15, s18, v73
	v_cmp_gt_i32_e64 s16, s18, v74
	v_dual_mul_f32 v85, s19, v126 :: v_dual_mul_f32 v86, s19, v125
	v_max3_f32 v71, v77, v71, v72
	s_delay_alu instid0(VALU_DEP_4) | instskip(NEXT) | instid1(VALU_DEP_4)
	v_cndmask_b32_e64 v73, 0xff7fffff, v88, s15
	v_cndmask_b32_e64 v74, 0xff7fffff, v87, s16
	v_cmp_gt_i32_e64 s17, s18, v75
	v_cmp_gt_i32_e64 s18, s18, v76
	s_delay_alu instid0(VALU_DEP_3) | instskip(NEXT) | instid1(VALU_DEP_3)
	v_max3_f32 v71, v71, v73, v74
	v_cndmask_b32_e64 v72, 0xff7fffff, v86, s17
	s_delay_alu instid0(VALU_DEP_3) | instskip(SKIP_1) | instid1(VALU_DEP_2)
	v_cndmask_b32_e64 v75, 0xff7fffff, v85, s18
	v_lshlrev_b32_e32 v73, 2, v136
	v_max3_f32 v71, v71, v72, v75
	ds_bpermute_b32 v72, v73, v71
	s_waitcnt lgkmcnt(0)
	v_max_f32_e32 v72, v72, v72
	s_delay_alu instid0(VALU_DEP_1) | instskip(NEXT) | instid1(VALU_DEP_1)
	v_max_f32_e32 v71, v71, v72
	v_fma_f32 v72, s19, v127, -v71
	v_fma_f32 v74, s19, v128, -v71
	;; [unrolled: 1-line block ×5, first 2 shown]
	v_mul_f32_e32 v72, 0x3fb8aa3b, v72
	s_delay_alu instid0(VALU_DEP_4) | instskip(NEXT) | instid1(VALU_DEP_4)
	v_dual_mul_f32 v74, 0x3fb8aa3b, v74 :: v_dual_mul_f32 v75, 0x3fb8aa3b, v75
	v_mul_f32_e32 v76, 0x3fb8aa3b, v76
	s_delay_alu instid0(VALU_DEP_4) | instskip(NEXT) | instid1(VALU_DEP_4)
	v_mul_f32_e32 v82, 0x3fb8aa3b, v80
	v_exp_f32_e32 v72, v72
	s_delay_alu instid0(VALU_DEP_3)
	v_exp_f32_e32 v74, v74
	v_exp_f32_e32 v75, v75
	;; [unrolled: 1-line block ×3, first 2 shown]
	v_fma_f32 v77, s19, v131, -v71
	v_exp_f32_e32 v84, v82
	v_cndmask_b32_e32 v79, 0, v72, vcc_lo
	v_cndmask_b32_e64 v78, 0, v74, s3
	s_delay_alu instid0(TRANS32_DEP_3) | instskip(SKIP_1) | instid1(TRANS32_DEP_2)
	v_cndmask_b32_e64 v81, 0, v75, s4
	v_fma_f32 v72, s19, v132, -v71
	v_cndmask_b32_e64 v80, 0, v76, s5
	v_add_f32_e32 v74, 0, v79
	s_delay_alu instid0(TRANS32_DEP_1) | instskip(SKIP_2) | instid1(VALU_DEP_4)
	v_cndmask_b32_e64 v85, 0, v84, s8
	v_cmp_gt_u32_e64 s3, 16, v70
	v_mul_f32_e32 v72, 0x3fb8aa3b, v72
	v_add_f32_e32 v74, v74, v78
	s_delay_alu instid0(VALU_DEP_2) | instskip(NEXT) | instid1(VALU_DEP_1)
	v_exp_f32_e32 v72, v72
	v_add_f32_e32 v74, v74, v81
	s_delay_alu instid0(VALU_DEP_1) | instskip(NEXT) | instid1(VALU_DEP_1)
	v_dual_mul_f32 v77, 0x3fb8aa3b, v77 :: v_dual_add_f32 v74, v74, v80
	v_exp_f32_e32 v77, v77
	s_waitcnt_depctr 0xfff
	v_cndmask_b32_e64 v82, 0, v72, s7
	v_cndmask_b32_e64 v83, 0, v77, s6
	s_delay_alu instid0(VALU_DEP_1) | instskip(SKIP_4) | instid1(VALU_DEP_4)
	v_add_f32_e32 v72, v74, v83
	v_fma_f32 v75, s19, v134, -v71
	v_fma_f32 v76, s19, v119, -v71
	;; [unrolled: 1-line block ×4, first 2 shown]
	v_dual_add_f32 v72, v72, v82 :: v_dual_mul_f32 v75, 0x3fb8aa3b, v75
	s_delay_alu instid0(VALU_DEP_3) | instskip(NEXT) | instid1(VALU_DEP_3)
	v_dual_mul_f32 v76, 0x3fb8aa3b, v76 :: v_dual_mul_f32 v77, 0x3fb8aa3b, v77
	v_mul_f32_e32 v74, 0x3fb8aa3b, v74
	v_fma_f32 v86, s19, v122, -v71
	s_delay_alu instid0(VALU_DEP_4) | instskip(NEXT) | instid1(VALU_DEP_3)
	v_exp_f32_e32 v75, v75
	v_exp_f32_e32 v76, v76
	;; [unrolled: 1-line block ×4, first 2 shown]
	v_mul_f32_e32 v86, 0x3fb8aa3b, v86
	s_delay_alu instid0(VALU_DEP_1)
	v_exp_f32_e32 v88, v86
	v_cndmask_b32_e64 v84, 0, v75, s9
	v_fma_f32 v75, s19, v123, -v71
	v_add_f32_e32 v72, v72, v85
	v_cndmask_b32_e64 v87, 0, v76, s10
	v_fma_f32 v76, s19, v124, -v71
	s_delay_alu instid0(TRANS32_DEP_3) | instskip(NEXT) | instid1(VALU_DEP_4)
	v_cndmask_b32_e64 v86, 0, v77, s11
	v_dual_mul_f32 v75, 0x3fb8aa3b, v75 :: v_dual_add_f32 v72, v72, v84
	v_fma_f32 v77, s19, v125, -v71
	s_delay_alu instid0(VALU_DEP_4) | instskip(SKIP_1) | instid1(VALU_DEP_4)
	v_mul_f32_e32 v76, 0x3fb8aa3b, v76
	v_cndmask_b32_e64 v89, 0, v74, s12
	v_exp_f32_e32 v75, v75
	v_add_f32_e32 v72, v72, v87
	v_mul_f32_e32 v74, 0x3fb8aa3b, v77
	v_exp_f32_e32 v76, v76
	v_cndmask_b32_e64 v88, 0, v88, s13
	v_fma_f32 v77, s19, v126, -v71
	v_add_f32_e32 v72, v72, v86
	v_exp_f32_e32 v74, v74
	s_delay_alu instid0(TRANS32_DEP_3) | instskip(NEXT) | instid1(VALU_DEP_2)
	v_cndmask_b32_e64 v91, 0, v75, s15
	v_add_f32_e32 v72, v72, v89
	v_mul_f32_e32 v75, 0x3fb8aa3b, v77
	s_delay_alu instid0(TRANS32_DEP_2) | instskip(NEXT) | instid1(VALU_DEP_3)
	v_cndmask_b32_e64 v90, 0, v76, s16
	v_add_f32_e32 v72, v72, v88
	s_delay_alu instid0(VALU_DEP_3) | instskip(NEXT) | instid1(TRANS32_DEP_2)
	v_exp_f32_e32 v75, v75
	v_cndmask_b32_e64 v93, 0, v74, s17
	s_delay_alu instid0(VALU_DEP_2) | instskip(NEXT) | instid1(VALU_DEP_1)
	v_add_f32_e32 v72, v72, v91
	v_add_f32_e32 v72, v72, v90
	s_waitcnt_depctr 0xfff
	v_cndmask_b32_e64 v92, 0, v75, s18
	v_add_f32_e32 v72, v72, v93
	s_delay_alu instid0(VALU_DEP_1)
	v_add_f32_e32 v72, v72, v92
	ds_bpermute_b32 v73, v73, v72
	s_and_saveexec_b32 s4, s3
	s_cbranch_execz .LBB782_12
; %bb.11:
	v_mul_u32_u24_e32 v70, 0x44, v69
	s_waitcnt lgkmcnt(0)
	v_add_f32_e32 v72, v72, v73
	s_delay_alu instid0(VALU_DEP_2) | instskip(NEXT) | instid1(VALU_DEP_1)
	v_lshl_add_u32 v70, v68, 2, v70
	v_add_nc_u32_e32 v70, 0x4000, v70
	ds_store_2addr_b32 v70, v71, v72 offset1:136
.LBB782_12:
	s_or_b32 exec_lo, exec_lo, s4
	v_lshlrev_b32_e32 v70, 2, v68
	s_load_b32 s36, s[0:1], 0x94
	s_waitcnt lgkmcnt(0)
	s_barrier
	buffer_gl0_inv
	v_add_nc_u32_e32 v98, 0x4000, v70
	v_cmp_eq_u32_e32 vcc_lo, 1, v69
	v_cmp_eq_u32_e64 s4, 2, v69
	v_cmp_eq_u32_e64 s5, 3, v69
	;; [unrolled: 1-line block ×3, first 2 shown]
	ds_load_2addr_b32 v[70:71], v98 offset1:17
	ds_load_2addr_b32 v[72:73], v98 offset0:34 offset1:51
	ds_load_2addr_b32 v[74:75], v98 offset0:68 offset1:85
	ds_load_2addr_b32 v[94:95], v98 offset0:102 offset1:119
	v_cmp_eq_u32_e64 s7, 5, v69
	v_cmp_eq_u32_e64 s8, 7, v69
	s_waitcnt lgkmcnt(3)
	v_max3_f32 v76, v70, 0xff7fffff, v71
	s_waitcnt lgkmcnt(2)
	s_delay_alu instid0(VALU_DEP_1) | instskip(SKIP_1) | instid1(VALU_DEP_1)
	v_max3_f32 v76, v76, v72, v73
	s_waitcnt lgkmcnt(1)
	v_max3_f32 v76, v76, v74, v75
	s_waitcnt lgkmcnt(0)
	s_delay_alu instid0(VALU_DEP_1) | instskip(NEXT) | instid1(VALU_DEP_1)
	v_max3_f32 v76, v76, v94, v95
	v_sub_f32_e32 v77, v71, v76
	ds_load_2addr_b32 v[96:97], v98 offset0:136 offset1:153
	v_sub_f32_e32 v74, v74, v76
	v_sub_f32_e32 v70, v70, v76
	;; [unrolled: 1-line block ×3, first 2 shown]
	v_dual_sub_f32 v72, v72, v76 :: v_dual_mul_f32 v77, 0x3fb8aa3b, v77
	s_delay_alu instid0(VALU_DEP_4) | instskip(NEXT) | instid1(VALU_DEP_4)
	v_mul_f32_e32 v103, 0x3fb8aa3b, v74
	v_mul_f32_e32 v99, 0x3fb8aa3b, v70
	ds_load_2addr_b32 v[70:71], v98 offset0:170 offset1:187
	v_dual_mul_f32 v101, 0x3fb8aa3b, v72 :: v_dual_mul_f32 v94, 0x3fb8aa3b, v94
	v_exp_f32_e32 v102, v77
	v_exp_f32_e32 v99, v99
	s_delay_alu instid0(VALU_DEP_1) | instskip(NEXT) | instid1(VALU_DEP_1)
	v_exp_f32_e32 v101, v101
	v_exp_f32_e32 v94, v94
	s_waitcnt lgkmcnt(1)
	s_delay_alu instid0(TRANS32_DEP_3)
	v_fma_f32 v77, v99, v96, 0
	v_sub_f32_e32 v100, v73, v76
	ds_load_2addr_b32 v[72:73], v98 offset0:204 offset1:221
	v_fmac_f32_e32 v77, v102, v97
	v_exp_f32_e32 v97, v103
	s_waitcnt lgkmcnt(1)
	s_delay_alu instid0(VALU_DEP_1)
	v_dual_fmac_f32 v77, v101, v70 :: v_dual_sub_f32 v96, v75, v76
	ds_load_2addr_b32 v[74:75], v98 offset0:238 offset1:255
	v_sub_f32_e32 v70, v95, v76
	s_waitcnt lgkmcnt(0)
	s_barrier
	v_mul_f32_e32 v96, 0x3fb8aa3b, v96
	buffer_gl0_inv
	v_exp_f32_e32 v95, v96
	v_mul_f32_e32 v100, 0x3fb8aa3b, v100
	s_delay_alu instid0(VALU_DEP_1) | instskip(SKIP_3) | instid1(VALU_DEP_2)
	v_exp_f32_e32 v100, v100
	s_waitcnt_depctr 0xfff
	v_dual_fmac_f32 v77, v100, v71 :: v_dual_mul_f32 v70, 0x3fb8aa3b, v70
	v_cndmask_b32_e32 v71, v99, v102, vcc_lo
	v_fmac_f32_e32 v77, v97, v72
	s_delay_alu instid0(VALU_DEP_3) | instskip(NEXT) | instid1(VALU_DEP_1)
	v_exp_f32_e32 v96, v70
	v_fmac_f32_e32 v77, v95, v73
	s_delay_alu instid0(VALU_DEP_1) | instskip(SKIP_2) | instid1(VALU_DEP_1)
	v_fmac_f32_e32 v77, v94, v74
	s_waitcnt_depctr 0xfff
	v_fmac_f32_e32 v77, v96, v75
	v_add_f32_e32 v74, 0x358637bd, v77
	s_delay_alu instid0(VALU_DEP_1) | instskip(SKIP_1) | instid1(VALU_DEP_2)
	v_div_scale_f32 v98, null, v74, v74, 1.0
	v_div_scale_f32 v99, vcc_lo, 1.0, v74, 1.0
	v_rcp_f32_e32 v103, v98
	s_waitcnt_depctr 0xfff
	v_fma_f32 v70, -v98, v103, 1.0
	s_delay_alu instid0(VALU_DEP_1) | instskip(SKIP_2) | instid1(VALU_DEP_2)
	v_fmac_f32_e32 v103, v70, v103
	v_cndmask_b32_e64 v70, v71, v101, s4
	v_cmp_eq_u32_e64 s4, 6, v69
	v_cndmask_b32_e64 v71, v70, v100, s5
	s_delay_alu instid0(VALU_DEP_4) | instskip(NEXT) | instid1(VALU_DEP_2)
	v_dual_mul_f32 v101, v99, v103 :: v_dual_lshlrev_b32 v70, 2, v66
	v_cndmask_b32_e64 v71, v71, v97, s6
	s_delay_alu instid0(VALU_DEP_2) | instskip(NEXT) | instid1(VALU_DEP_3)
	v_or_b32_e32 v72, 1, v70
	v_fma_f32 v100, -v98, v101, v99
	v_cmp_eq_u32_e64 s5, 1, v70
	v_cmp_eq_u32_e64 s6, 2, v70
	v_cndmask_b32_e64 v95, v71, v95, s7
	v_or_b32_e32 v71, 3, v70
	v_fmac_f32_e32 v101, v100, v103
	v_cmp_eq_u32_e64 s10, 1, v72
	v_cmp_eq_u32_e64 s13, 2, v72
	v_cndmask_b32_e64 v94, v95, v94, s4
	v_cmp_eq_u32_e64 s12, 1, v71
	v_fma_f32 v97, -v98, v101, v99
	v_cmp_eq_u32_e64 s17, 2, v71
	v_cmp_eq_u32_e64 s15, 3, v72
	v_cndmask_b32_e64 v94, v94, v96, s8
	v_cmp_eq_u32_e64 s19, 3, v71
	v_div_fmas_f32 v95, v97, v103, v101
	v_cmp_eq_u32_e32 vcc_lo, 3, v70
	v_cmp_eq_u32_e64 s4, 4, v70
	v_cmp_eq_u32_e64 s20, 4, v72
	;; [unrolled: 1-line block ×3, first 2 shown]
	v_div_fixup_f32 v95, v95, v74, 1.0
	v_lshlrev_b32_e32 v73, 6, v68
	v_cmp_eq_u32_e64 s7, 5, v70
	v_cmp_eq_u32_e64 s21, 5, v72
	;; [unrolled: 1-line block ×3, first 2 shown]
	v_mul_f32_e32 v102, v94, v95
	v_lshl_or_b32 v75, v69, 11, v73
	v_or_b32_e32 v69, 2, v70
	v_cmp_eq_u32_e64 s26, 6, v72
	v_cmp_eq_u32_e64 s28, 6, v71
	v_fma_mixlo_f16 v94, v102, v79, 0
	v_fma_mixlo_f16 v95, v102, v81, 0
	;; [unrolled: 1-line block ×8, first 2 shown]
	v_lshl_or_b32 v74, v66, 4, v75
	v_fma_mixhi_f16 v94, v102, v78, 0
	v_fma_mixhi_f16 v95, v102, v80, 0
	v_fma_mixhi_f16 v96, v102, v82, 0
	v_fma_mixhi_f16 v97, v102, v84, 0
	v_fma_mixhi_f16 v98, v102, v86, 0
	v_fma_mixhi_f16 v99, v102, v88, 0
	v_fma_mixhi_f16 v100, v102, v90, 0
	v_fma_mixhi_f16 v101, v102, v92, 0
	ds_store_b128 v74, v[94:97]
	ds_store_b128 v74, v[98:101] offset:1024
	s_waitcnt lgkmcnt(0)
	s_barrier
	buffer_gl0_inv
	ds_load_b128 v[78:81], v75
	ds_load_b128 v[82:85], v75 offset:16
	ds_load_b128 v[86:89], v75 offset:1024
	;; [unrolled: 1-line block ×3, first 2 shown]
	v_cmp_eq_u32_e64 s11, 1, v69
	v_cmp_eq_u32_e64 s16, 2, v69
	;; [unrolled: 1-line block ×11, first 2 shown]
	s_waitcnt lgkmcnt(3)
	v_lshrrev_b32_e32 v94, 16, v78
	s_waitcnt lgkmcnt(2)
	v_lshrrev_b32_e32 v98, 16, v82
	;; [unrolled: 2-line block ×4, first 2 shown]
	v_lshrrev_b32_e32 v95, 16, v79
	v_cndmask_b32_e64 v110, v78, v94, s5
	v_cndmask_b32_e64 v111, v82, v98, s5
	;; [unrolled: 1-line block ×8, first 2 shown]
	v_lshrrev_b32_e32 v99, 16, v83
	v_cndmask_b32_e64 v94, v86, v102, s5
	v_cndmask_b32_e64 v98, v90, v106, s5
	;; [unrolled: 1-line block ×15, first 2 shown]
	v_lshrrev_b32_e32 v103, 16, v87
	v_lshrrev_b32_e32 v107, 16, v91
	v_cndmask_b32_e64 v113, v115, v83, s16
	v_cndmask_b32_e64 v82, v94, v87, s6
	;; [unrolled: 1-line block ×7, first 2 shown]
	v_cndmask_b32_e32 v90, v102, v95, vcc_lo
	v_cndmask_b32_e32 v102, v106, v99, vcc_lo
	v_cndmask_b32_e64 v106, v110, v95, s15
	v_cndmask_b32_e64 v110, v111, v99, s15
	;; [unrolled: 1-line block ×4, first 2 shown]
	v_lshrrev_b32_e32 v96, 16, v80
	v_lshrrev_b32_e32 v100, 16, v84
	v_cndmask_b32_e64 v111, v112, v95, s18
	v_cndmask_b32_e64 v112, v113, v99, s18
	v_cndmask_b32_e32 v82, v82, v103, vcc_lo
	v_cndmask_b32_e32 v83, v83, v107, vcc_lo
	v_cndmask_b32_e64 v94, v94, v103, s15
	v_cndmask_b32_e64 v90, v90, v80, s4
	;; [unrolled: 1-line block ×7, first 2 shown]
	v_lshrrev_b32_e32 v104, 16, v88
	v_cndmask_b32_e64 v106, v111, v80, s22
	v_cndmask_b32_e64 v110, v112, v84, s22
	;; [unrolled: 1-line block ×11, first 2 shown]
	v_lshrrev_b32_e32 v97, 16, v81
	v_lshrrev_b32_e32 v101, 16, v85
	v_cndmask_b32_e64 v99, v106, v96, s24
	v_cndmask_b32_e64 v102, v110, v100, s24
	v_cndmask_b32_e64 v83, v83, v104, s21
	v_cndmask_b32_e64 v94, v94, v81, s26
	v_cndmask_b32_e64 v95, v95, v85, s26
	v_cndmask_b32_e64 v78, v78, v81, s28
	v_cndmask_b32_e64 v79, v79, v85, s28
	v_lshrrev_b32_e32 v105, 16, v89
	v_cndmask_b32_e64 v80, v80, v104, s7
	v_cndmask_b32_e64 v84, v84, v81, s8
	;; [unrolled: 1-line block ×16, first 2 shown]
	v_perm_b32 v81, v79, v78, 0x5040100
	v_perm_b32 v79, v95, v85, 0x5040100
	v_cndmask_b32_e64 v78, v119, v91, s16
	v_cndmask_b32_e64 v85, v117, v91, s13
	;; [unrolled: 1-line block ×3, first 2 shown]
	v_perm_b32 v80, v94, v90, 0x5040100
	v_cndmask_b32_e64 v90, v98, v103, s18
	v_cndmask_b32_e64 v86, v86, v103, s19
	;; [unrolled: 1-line block ×5, first 2 shown]
	v_lshrrev_b32_e32 v108, 16, v92
	v_cndmask_b32_e64 v90, v90, v88, s22
	v_cndmask_b32_e64 v86, v86, v88, s23
	;; [unrolled: 1-line block ×11, first 2 shown]
	v_lshrrev_b32_e32 v109, 16, v93
	v_cndmask_b32_e64 v82, v82, v93, s8
	v_cndmask_b32_e64 v88, v88, v89, s27
	;; [unrolled: 1-line block ×12, first 2 shown]
	v_perm_b32 v78, v84, v83, 0x5040100
	v_perm_b32 v85, v87, v86, 0x5040100
	;; [unrolled: 1-line block ×5, first 2 shown]
	s_mul_i32 s9, s35, 13
	s_mov_b32 s4, exec_lo
	ds_store_b128 v74, v[78:81]
	ds_store_b128 v74, v[82:85] offset:1024
	v_cmpx_gt_u32_e32 13, v0
	s_cbranch_execz .LBB782_14
; %bb.13:
	s_mul_i32 s5, s9, s34
	s_load_b128 s[16:19], s[0:1], 0x58
	v_add3_u32 v68, s5, s33, v68
	s_delay_alu instid0(VALU_DEP_1) | instskip(NEXT) | instid1(VALU_DEP_1)
	v_mad_u64_u32 v[78:79], null, v68, s36, s[14:15]
	v_ashrrev_i32_e32 v79, 31, v78
	s_delay_alu instid0(VALU_DEP_1) | instskip(SKIP_1) | instid1(VALU_DEP_1)
	v_lshlrev_b64 v[78:79], 2, v[78:79]
	s_waitcnt lgkmcnt(0)
	v_add_co_u32 v80, vcc_lo, s18, v78
	s_delay_alu instid0(VALU_DEP_2)
	v_add_co_ci_u32_e32 v81, vcc_lo, s19, v79, vcc_lo
	v_add_co_u32 v78, vcc_lo, s16, v78
	v_add_co_ci_u32_e32 v79, vcc_lo, s17, v79, vcc_lo
	global_store_b32 v[80:81], v76, off
	global_store_b32 v[78:79], v77, off
.LBB782_14:
	s_or_b32 exec_lo, exec_lo, s4
	s_waitcnt lgkmcnt(0)
	s_waitcnt_vscnt null, 0x0
	s_barrier
	buffer_gl0_inv
	ds_load_b128 v[84:87], v73
	ds_load_b128 v[88:91], v73 offset:16
	ds_load_b128 v[96:99], v73 offset:2064
	;; [unrolled: 1-line block ×5, first 2 shown]
	v_cmp_eq_u32_e32 vcc_lo, 1, v70
	v_mov_b32_e32 v76, 0
	ds_load_b128 v[112:115], v73 offset:6160
	ds_load_b128 v[108:111], v73 offset:6144
	;; [unrolled: 1-line block ×4, first 2 shown]
	v_cmp_eq_u32_e64 s5, 1, v69
	v_cmp_eq_u32_e64 s4, 1, v72
	v_cmp_eq_u32_e64 s6, 2, v72
	v_mov_b32_e32 v77, v76
	v_mov_b32_e32 v78, v76
	;; [unrolled: 1-line block ×7, first 2 shown]
	v_cmp_eq_u32_e64 s7, 3, v72
	v_cmp_eq_u32_e64 s8, 7, v72
	s_waitcnt lgkmcnt(8)
	s_delay_alu instid0(VALU_DEP_3)
	v_wmma_f32_16x16x16_f16 v[76:83], v[49:56], v[84:91], v[76:83]
	ds_load_b128 v[53:56], v73 offset:10256
	ds_load_b128 v[49:52], v73 offset:10240
	s_waitcnt lgkmcnt(8)
	v_wmma_f32_16x16x16_f16 v[76:83], v[41:48], v[92:99], v[76:83]
	ds_load_b128 v[45:48], v73 offset:12304
	ds_load_b128 v[41:44], v73 offset:12288
	s_waitcnt lgkmcnt(8)
	;; [unrolled: 4-line block ×3, first 2 shown]
	s_barrier
	buffer_gl0_inv
	v_wmma_f32_16x16x16_f16 v[76:83], v[1:8], v[108:115], v[76:83]
	s_delay_alu instid0(VALU_DEP_1) | instskip(NEXT) | instid1(VALU_DEP_1)
	v_wmma_f32_16x16x16_f16 v[76:83], v[9:16], v[116:123], v[76:83]
	v_wmma_f32_16x16x16_f16 v[76:83], v[17:24], v[49:56], v[76:83]
	s_delay_alu instid0(VALU_DEP_1) | instskip(NEXT) | instid1(VALU_DEP_1)
	v_wmma_f32_16x16x16_f16 v[76:83], v[25:32], v[41:48], v[76:83]
	v_wmma_f32_16x16x16_f16 v[76:83], v[57:64], v[33:40], v[76:83]
	s_delay_alu instid0(VALU_DEP_1) | instskip(NEXT) | instid1(VALU_DEP_2)
	v_cvt_f16_f32_e32 v1, v76
	v_cvt_f16_f32_e32 v2, v77
	s_delay_alu instid0(VALU_DEP_3) | instskip(NEXT) | instid1(VALU_DEP_4)
	v_cvt_f16_f32_e32 v3, v78
	v_cvt_f16_f32_e32 v4, v79
	;; [unrolled: 1-line block ×6, first 2 shown]
	v_pack_b32_f16 v1, v1, v2
	v_pack_b32_f16 v2, v3, v4
	;; [unrolled: 1-line block ×3, first 2 shown]
	s_delay_alu instid0(VALU_DEP_4)
	v_pack_b32_f16 v4, v7, v8
	ds_store_b128 v74, v[1:4]
	s_waitcnt lgkmcnt(0)
	s_barrier
	buffer_gl0_inv
	ds_load_b128 v[1:4], v75
	ds_load_b128 v[5:8], v75 offset:16
	s_waitcnt lgkmcnt(1)
	v_lshrrev_b32_e32 v9, 16, v1
	s_waitcnt lgkmcnt(0)
	v_lshrrev_b32_e32 v13, 16, v5
	v_lshrrev_b32_e32 v10, 16, v2
	;; [unrolled: 1-line block ×4, first 2 shown]
	v_cndmask_b32_e32 v17, v1, v9, vcc_lo
	v_cndmask_b32_e32 v18, v5, v13, vcc_lo
	v_cndmask_b32_e64 v21, v1, v9, s5
	v_cmp_eq_u32_e32 vcc_lo, 1, v71
	v_cndmask_b32_e64 v22, v5, v13, s5
	v_cmp_eq_u32_e64 s5, 2, v70
	v_cndmask_b32_e64 v19, v1, v9, s4
	v_cndmask_b32_e64 v20, v5, v13, s4
	v_cndmask_b32_e32 v1, v1, v9, vcc_lo
	v_cmp_eq_u32_e64 s4, 2, v71
	v_cndmask_b32_e32 v5, v5, v13, vcc_lo
	v_cndmask_b32_e64 v9, v17, v2, s5
	v_cmp_eq_u32_e32 vcc_lo, 3, v70
	v_cndmask_b32_e64 v13, v18, v6, s5
	v_cmp_eq_u32_e64 s5, 2, v69
	v_cndmask_b32_e64 v17, v19, v2, s6
	v_cndmask_b32_e64 v18, v20, v6, s6
	v_cmp_eq_u32_e64 s6, 3, v69
	v_cndmask_b32_e64 v1, v1, v2, s4
	v_cndmask_b32_e64 v19, v21, v2, s5
	;; [unrolled: 1-line block ×4, first 2 shown]
	v_cndmask_b32_e32 v5, v9, v10, vcc_lo
	v_cndmask_b32_e32 v6, v13, v14, vcc_lo
	v_cmp_eq_u32_e32 vcc_lo, 3, v71
	v_cndmask_b32_e64 v9, v17, v10, s7
	v_cndmask_b32_e64 v13, v18, v14, s7
	;; [unrolled: 1-line block ×3, first 2 shown]
	v_cmp_eq_u32_e64 s5, 4, v70
	v_cndmask_b32_e32 v1, v1, v10, vcc_lo
	v_cndmask_b32_e32 v2, v2, v14, vcc_lo
	v_cmp_eq_u32_e32 vcc_lo, 4, v72
	v_lshrrev_b32_e32 v15, 16, v7
	v_lshrrev_b32_e32 v16, 16, v8
	v_cndmask_b32_e64 v17, v19, v10, s6
	v_cmp_eq_u32_e64 s4, 4, v71
	v_cndmask_b32_e64 v5, v5, v3, s5
	v_cndmask_b32_e64 v6, v6, v7, s5
	v_cndmask_b32_e32 v9, v9, v3, vcc_lo
	v_cmp_eq_u32_e64 s5, 5, v72
	v_cndmask_b32_e32 v10, v13, v7, vcc_lo
	v_cmp_eq_u32_e32 vcc_lo, 4, v69
	v_cmp_eq_u32_e64 s6, 5, v70
	v_cndmask_b32_e64 v2, v2, v7, s4
	v_cndmask_b32_e64 v9, v9, v11, s5
	;; [unrolled: 1-line block ×3, first 2 shown]
	v_cndmask_b32_e32 v13, v17, v3, vcc_lo
	v_cmp_eq_u32_e64 s5, 5, v69
	v_cndmask_b32_e32 v14, v18, v7, vcc_lo
	v_cndmask_b32_e64 v1, v1, v3, s4
	v_cmp_eq_u32_e32 vcc_lo, 5, v71
	v_lshrrev_b32_e32 v12, 16, v4
	v_cndmask_b32_e64 v13, v13, v11, s5
	v_cndmask_b32_e64 v3, v14, v15, s5
	v_cmp_eq_u32_e64 s5, 6, v71
	v_cndmask_b32_e32 v1, v1, v11, vcc_lo
	v_cndmask_b32_e64 v5, v5, v11, s6
	v_cmp_eq_u32_e64 s7, 6, v70
	v_cndmask_b32_e64 v6, v6, v15, s6
	v_cmp_eq_u32_e64 s6, 6, v72
	v_cmp_eq_u32_e64 s4, 6, v69
	v_cndmask_b32_e64 v1, v1, v4, s5
	v_cndmask_b32_e32 v2, v2, v15, vcc_lo
	v_cmp_eq_u32_e32 vcc_lo, 7, v71
	v_cndmask_b32_e64 v5, v5, v4, s7
	v_cndmask_b32_e64 v9, v9, v4, s6
	;; [unrolled: 1-line block ×3, first 2 shown]
	v_cmp_eq_u32_e64 s7, 7, v70
	v_cndmask_b32_e32 v1, v1, v12, vcc_lo
	v_cndmask_b32_e64 v7, v13, v4, s4
	v_cndmask_b32_e64 v3, v3, v8, s4
	;; [unrolled: 1-line block ×3, first 2 shown]
	v_cmp_eq_u32_e64 s4, 7, v69
	v_cndmask_b32_e64 v4, v10, v8, s6
	v_cndmask_b32_e64 v5, v5, v12, s7
	;; [unrolled: 1-line block ×3, first 2 shown]
	v_cndmask_b32_e32 v2, v2, v16, vcc_lo
	v_cndmask_b32_e64 v7, v7, v12, s4
	v_cndmask_b32_e64 v3, v3, v16, s4
	;; [unrolled: 1-line block ×4, first 2 shown]
	v_cmp_gt_u32_e32 vcc_lo, 32, v0
	v_perm_b32 v4, v2, v1, 0x5040100
	v_perm_b32 v3, v3, v7, 0x5040100
	;; [unrolled: 1-line block ×4, first 2 shown]
	s_and_b32 s2, vcc_lo, s2
	ds_store_b128 v74, v[1:4]
	s_waitcnt lgkmcnt(0)
	s_barrier
	buffer_gl0_inv
	s_and_saveexec_b32 s4, s2
	s_cbranch_execz .LBB782_2
; %bb.15:
	s_load_b64 s[4:5], s[0:1], 0x68
	v_lshlrev_b32_e32 v0, 10, v0
	v_lshlrev_b32_e32 v1, 4, v67
	s_lshl_b32 s0, s36, 6
	v_add_nc_u32_e32 v18, s33, v66
	s_mul_i32 s1, s0, s34
	s_delay_alu instid0(VALU_DEP_2) | instskip(SKIP_1) | instid1(VALU_DEP_2)
	v_and_or_b32 v0, 0x3800, v0, v1
	s_mul_i32 s6, s1, s9
	v_mul_lo_u32 v1, v18, s0
	s_ashr_i32 s7, s6, 31
	v_add_nc_u32_e32 v2, 2, v18
	v_lshl_or_b32 v19, v66, 6, v0
	s_lshl_b64 s[6:7], s[6:7], 1
	v_add_nc_u32_e32 v8, 4, v18
	v_add_nc_u32_e32 v15, 6, v18
	v_mul_lo_u32 v7, v2, s0
	ds_load_b128 v[3:6], v19
	v_ashrrev_i32_e32 v2, 31, v1
	v_mul_lo_u32 v11, v8, s0
	s_waitcnt lgkmcnt(0)
	s_add_u32 s1, s4, s6
	s_addc_u32 s2, s5, s7
	s_lshl_b32 s4, s14, 6
	v_lshlrev_b64 v[9:10], 1, v[1:2]
	s_ashr_i32 s5, s4, 31
	v_ashrrev_i32_e32 v8, 31, v7
	s_lshl_b64 s[4:5], s[4:5], 1
	v_ashrrev_i32_e32 v12, 31, v11
	s_add_u32 s1, s1, s4
	s_addc_u32 s2, s2, s5
	v_add_co_u32 v1, s1, s1, v65
	s_delay_alu instid0(VALU_DEP_1) | instskip(SKIP_1) | instid1(VALU_DEP_3)
	v_add_co_ci_u32_e64 v2, null, s2, 0, s1
	v_mul_lo_u32 v15, v15, s0
	v_add_co_u32 v13, vcc_lo, v1, v9
	s_delay_alu instid0(VALU_DEP_3)
	v_add_co_ci_u32_e32 v14, vcc_lo, v2, v10, vcc_lo
	v_lshlrev_b64 v[16:17], 1, v[7:8]
	ds_load_b128 v[7:10], v19 offset:128
	global_store_b128 v[13:14], v[3:6], off
	v_add_nc_u32_e32 v5, 8, v18
	v_lshlrev_b64 v[3:4], 1, v[11:12]
	v_add_co_u32 v23, vcc_lo, v1, v16
	v_ashrrev_i32_e32 v16, 31, v15
	s_delay_alu instid0(VALU_DEP_4) | instskip(SKIP_3) | instid1(VALU_DEP_3)
	v_mul_lo_u32 v25, v5, s0
	v_add_nc_u32_e32 v5, 10, v18
	v_add_co_ci_u32_e32 v24, vcc_lo, v2, v17, vcc_lo
	v_add_co_u32 v27, vcc_lo, v1, v3
	v_mul_lo_u32 v29, v5, s0
	v_add_co_ci_u32_e32 v28, vcc_lo, v2, v4, vcc_lo
	v_lshlrev_b64 v[31:32], 1, v[15:16]
	ds_load_b128 v[3:6], v19 offset:256
	ds_load_b128 v[11:14], v19 offset:384
	;; [unrolled: 1-line block ×4, first 2 shown]
	v_ashrrev_i32_e32 v26, 31, v25
	v_ashrrev_i32_e32 v30, 31, v29
	v_add_co_u32 v31, vcc_lo, v1, v31
	s_delay_alu instid0(VALU_DEP_3) | instskip(SKIP_1) | instid1(VALU_DEP_4)
	v_lshlrev_b64 v[25:26], 1, v[25:26]
	v_add_co_ci_u32_e32 v32, vcc_lo, v2, v32, vcc_lo
	v_lshlrev_b64 v[29:30], 1, v[29:30]
	s_delay_alu instid0(VALU_DEP_3) | instskip(NEXT) | instid1(VALU_DEP_4)
	v_add_co_u32 v25, vcc_lo, v1, v25
	v_add_co_ci_u32_e32 v26, vcc_lo, v2, v26, vcc_lo
	s_delay_alu instid0(VALU_DEP_3) | instskip(NEXT) | instid1(VALU_DEP_4)
	v_add_co_u32 v29, vcc_lo, v1, v29
	v_add_co_ci_u32_e32 v30, vcc_lo, v2, v30, vcc_lo
	s_waitcnt lgkmcnt(4)
	global_store_b128 v[23:24], v[7:10], off
	s_waitcnt lgkmcnt(3)
	global_store_b128 v[27:28], v[3:6], off
	s_waitcnt lgkmcnt(2)
	global_store_b128 v[31:32], v[11:14], off
	s_waitcnt lgkmcnt(1)
	global_store_b128 v[25:26], v[15:18], off
	s_waitcnt lgkmcnt(0)
	global_store_b128 v[29:30], v[19:22], off
	s_and_b32 exec_lo, exec_lo, s3
	s_cbranch_execz .LBB782_2
; %bb.16:
	ds_load_b128 v[3:6], v0 offset:768
	s_add_i32 s1, s33, 12
	s_delay_alu instid0(SALU_CYCLE_1) | instskip(NEXT) | instid1(SALU_CYCLE_1)
	s_mul_i32 s0, s1, s0
	s_ashr_i32 s1, s0, 31
	s_delay_alu instid0(SALU_CYCLE_1) | instskip(NEXT) | instid1(SALU_CYCLE_1)
	s_lshl_b64 s[0:1], s[0:1], 1
	v_add_co_u32 v0, vcc_lo, v1, s0
	v_add_co_ci_u32_e32 v1, vcc_lo, s1, v2, vcc_lo
	s_waitcnt lgkmcnt(0)
	global_store_b128 v[0:1], v[3:6], off
	s_nop 0
	s_sendmsg sendmsg(MSG_DEALLOC_VGPRS)
	s_endpgm
	.section	.rodata,"a",@progbits
	.p2align	6, 0x0
	.amdhsa_kernel _Z39paged_attention_ll4mi_QKV_mfma16_kernelIDF16_hLN4vllm18Fp8KVCacheDataTypeE1EhLi16ELi64ELi256ELb1ELi13EL8MFMAType1EEvPKT_PKT0_S8_ifPKiSA_SA_iPKfiiiPfSD_PS3_PT2_iSC_SC_
		.amdhsa_group_segment_fixed_size 17472
		.amdhsa_private_segment_fixed_size 0
		.amdhsa_kernarg_size 400
		.amdhsa_user_sgpr_count 13
		.amdhsa_user_sgpr_dispatch_ptr 0
		.amdhsa_user_sgpr_queue_ptr 0
		.amdhsa_user_sgpr_kernarg_segment_ptr 1
		.amdhsa_user_sgpr_dispatch_id 0
		.amdhsa_user_sgpr_private_segment_size 0
		.amdhsa_wavefront_size32 1
		.amdhsa_uses_dynamic_stack 0
		.amdhsa_enable_private_segment 0
		.amdhsa_system_sgpr_workgroup_id_x 1
		.amdhsa_system_sgpr_workgroup_id_y 1
		.amdhsa_system_sgpr_workgroup_id_z 1
		.amdhsa_system_sgpr_workgroup_info 0
		.amdhsa_system_vgpr_workitem_id 0
		.amdhsa_next_free_vgpr 146
		.amdhsa_next_free_sgpr 37
		.amdhsa_reserve_vcc 1
		.amdhsa_float_round_mode_32 0
		.amdhsa_float_round_mode_16_64 0
		.amdhsa_float_denorm_mode_32 3
		.amdhsa_float_denorm_mode_16_64 3
		.amdhsa_dx10_clamp 1
		.amdhsa_ieee_mode 1
		.amdhsa_fp16_overflow 0
		.amdhsa_workgroup_processor_mode 1
		.amdhsa_memory_ordered 1
		.amdhsa_forward_progress 0
		.amdhsa_shared_vgpr_count 0
		.amdhsa_exception_fp_ieee_invalid_op 0
		.amdhsa_exception_fp_denorm_src 0
		.amdhsa_exception_fp_ieee_div_zero 0
		.amdhsa_exception_fp_ieee_overflow 0
		.amdhsa_exception_fp_ieee_underflow 0
		.amdhsa_exception_fp_ieee_inexact 0
		.amdhsa_exception_int_div_zero 0
	.end_amdhsa_kernel
	.section	.text._Z39paged_attention_ll4mi_QKV_mfma16_kernelIDF16_hLN4vllm18Fp8KVCacheDataTypeE1EhLi16ELi64ELi256ELb1ELi13EL8MFMAType1EEvPKT_PKT0_S8_ifPKiSA_SA_iPKfiiiPfSD_PS3_PT2_iSC_SC_,"axG",@progbits,_Z39paged_attention_ll4mi_QKV_mfma16_kernelIDF16_hLN4vllm18Fp8KVCacheDataTypeE1EhLi16ELi64ELi256ELb1ELi13EL8MFMAType1EEvPKT_PKT0_S8_ifPKiSA_SA_iPKfiiiPfSD_PS3_PT2_iSC_SC_,comdat
.Lfunc_end782:
	.size	_Z39paged_attention_ll4mi_QKV_mfma16_kernelIDF16_hLN4vllm18Fp8KVCacheDataTypeE1EhLi16ELi64ELi256ELb1ELi13EL8MFMAType1EEvPKT_PKT0_S8_ifPKiSA_SA_iPKfiiiPfSD_PS3_PT2_iSC_SC_, .Lfunc_end782-_Z39paged_attention_ll4mi_QKV_mfma16_kernelIDF16_hLN4vllm18Fp8KVCacheDataTypeE1EhLi16ELi64ELi256ELb1ELi13EL8MFMAType1EEvPKT_PKT0_S8_ifPKiSA_SA_iPKfiiiPfSD_PS3_PT2_iSC_SC_
                                        ; -- End function
	.section	.AMDGPU.csdata,"",@progbits
; Kernel info:
; codeLenInByte = 6692
; NumSgprs: 39
; NumVgprs: 146
; ScratchSize: 0
; MemoryBound: 0
; FloatMode: 240
; IeeeMode: 1
; LDSByteSize: 17472 bytes/workgroup (compile time only)
; SGPRBlocks: 4
; VGPRBlocks: 18
; NumSGPRsForWavesPerEU: 39
; NumVGPRsForWavesPerEU: 146
; Occupancy: 9
; WaveLimiterHint : 1
; COMPUTE_PGM_RSRC2:SCRATCH_EN: 0
; COMPUTE_PGM_RSRC2:USER_SGPR: 13
; COMPUTE_PGM_RSRC2:TRAP_HANDLER: 0
; COMPUTE_PGM_RSRC2:TGID_X_EN: 1
; COMPUTE_PGM_RSRC2:TGID_Y_EN: 1
; COMPUTE_PGM_RSRC2:TGID_Z_EN: 1
; COMPUTE_PGM_RSRC2:TIDIG_COMP_CNT: 0
	.section	.text._Z39paged_attention_ll4mi_QKV_mfma16_kernelIDF16_hLN4vllm18Fp8KVCacheDataTypeE1EhLi16ELi64ELi256ELb1ELi14EL8MFMAType1EEvPKT_PKT0_S8_ifPKiSA_SA_iPKfiiiPfSD_PS3_PT2_iSC_SC_,"axG",@progbits,_Z39paged_attention_ll4mi_QKV_mfma16_kernelIDF16_hLN4vllm18Fp8KVCacheDataTypeE1EhLi16ELi64ELi256ELb1ELi14EL8MFMAType1EEvPKT_PKT0_S8_ifPKiSA_SA_iPKfiiiPfSD_PS3_PT2_iSC_SC_,comdat
	.protected	_Z39paged_attention_ll4mi_QKV_mfma16_kernelIDF16_hLN4vllm18Fp8KVCacheDataTypeE1EhLi16ELi64ELi256ELb1ELi14EL8MFMAType1EEvPKT_PKT0_S8_ifPKiSA_SA_iPKfiiiPfSD_PS3_PT2_iSC_SC_ ; -- Begin function _Z39paged_attention_ll4mi_QKV_mfma16_kernelIDF16_hLN4vllm18Fp8KVCacheDataTypeE1EhLi16ELi64ELi256ELb1ELi14EL8MFMAType1EEvPKT_PKT0_S8_ifPKiSA_SA_iPKfiiiPfSD_PS3_PT2_iSC_SC_
	.globl	_Z39paged_attention_ll4mi_QKV_mfma16_kernelIDF16_hLN4vllm18Fp8KVCacheDataTypeE1EhLi16ELi64ELi256ELb1ELi14EL8MFMAType1EEvPKT_PKT0_S8_ifPKiSA_SA_iPKfiiiPfSD_PS3_PT2_iSC_SC_
	.p2align	8
	.type	_Z39paged_attention_ll4mi_QKV_mfma16_kernelIDF16_hLN4vllm18Fp8KVCacheDataTypeE1EhLi16ELi64ELi256ELb1ELi14EL8MFMAType1EEvPKT_PKT0_S8_ifPKiSA_SA_iPKfiiiPfSD_PS3_PT2_iSC_SC_,@function
_Z39paged_attention_ll4mi_QKV_mfma16_kernelIDF16_hLN4vllm18Fp8KVCacheDataTypeE1EhLi16ELi64ELi256ELb1ELi14EL8MFMAType1EEvPKT_PKT0_S8_ifPKiSA_SA_iPKfiiiPfSD_PS3_PT2_iSC_SC_: ; @_Z39paged_attention_ll4mi_QKV_mfma16_kernelIDF16_hLN4vllm18Fp8KVCacheDataTypeE1EhLi16ELi64ELi256ELb1ELi14EL8MFMAType1EEvPKT_PKT0_S8_ifPKiSA_SA_iPKfiiiPfSD_PS3_PT2_iSC_SC_
; %bb.0:
	s_load_b64 s[2:3], s[0:1], 0x30
	s_mov_b32 s34, s13
	s_waitcnt lgkmcnt(0)
	s_cmp_lg_u64 s[2:3], 0
	s_cselect_b32 s6, -1, 0
	s_ashr_i32 s35, s13, 31
	s_cmp_eq_u64 s[2:3], 0
	s_cbranch_scc1 .LBB783_3
; %bb.1:
	s_lshl_b64 s[4:5], s[34:35], 2
	s_delay_alu instid0(SALU_CYCLE_1) | instskip(SKIP_4) | instid1(SALU_CYCLE_1)
	s_add_u32 s4, s2, s4
	s_addc_u32 s5, s3, s5
	s_load_b64 s[4:5], s[4:5], 0x0
	s_waitcnt lgkmcnt(0)
	s_sub_i32 s4, s5, s4
	s_cmp_eq_u32 s4, 1
	s_cselect_b32 s4, -1, 0
	s_delay_alu instid0(SALU_CYCLE_1)
	s_and_not1_b32 vcc_lo, exec_lo, s4
	s_cbranch_vccz .LBB783_4
.LBB783_2:
	s_endpgm
.LBB783_3:
.LBB783_4:
	s_load_b64 s[8:9], s[0:1], 0x28
	s_lshl_b64 s[4:5], s[34:35], 2
	s_waitcnt lgkmcnt(0)
	s_add_u32 s8, s8, s4
	s_addc_u32 s9, s9, s5
	s_lshl_b32 s16, s14, 8
	s_load_b32 s18, s[8:9], 0x0
	s_waitcnt lgkmcnt(0)
	s_cmp_ge_i32 s16, s18
	s_cbranch_scc1 .LBB783_2
; %bb.5:
	s_clause 0x1
	s_load_b128 s[8:11], s[0:1], 0x8
	s_load_b64 s[12:13], s[0:1], 0x20
	s_and_not1_b32 vcc_lo, exec_lo, s6
	s_cbranch_vccnz .LBB783_7
; %bb.6:
	s_add_u32 s2, s2, s4
	s_addc_u32 s3, s3, s5
	s_load_b32 s3, s[2:3], 0x0
	s_branch .LBB783_8
.LBB783_7:
	s_mov_b32 s3, s34
.LBB783_8:
	s_load_b128 s[4:7], s[0:1], 0x48
	v_and_b32_e32 v68, 15, v0
	v_cmp_gt_u32_e32 vcc_lo, 0xe0, v0
	v_lshrrev_b32_e32 v69, 5, v0
	v_and_b32_e32 v70, 31, v0
	v_and_b32_e32 v67, 1, v0
	v_lshlrev_b32_e32 v1, 3, v68
	v_cmp_gt_u32_e64 s2, 8, v68
	v_bfe_u32 v66, v0, 4, 1
	s_mul_i32 s31, s15, 14
	s_delay_alu instid0(VALU_DEP_3) | instskip(NEXT) | instid1(VALU_DEP_3)
	v_lshlrev_b32_e32 v65, 1, v1
	s_and_b32 s17, vcc_lo, s2
	s_waitcnt lgkmcnt(0)
	s_and_saveexec_b32 s7, s17
	s_cbranch_execz .LBB783_10
; %bb.9:
	s_load_b64 s[20:21], s[0:1], 0x0
	v_lshl_or_b32 v5, v69, 1, v66
	s_mul_hi_i32 s23, s3, s4
	s_mul_i32 s22, s3, s4
	v_lshlrev_b32_e32 v6, 10, v68
	s_lshl_b64 s[22:23], s[22:23], 1
	v_add_lshl_u32 v1, v5, s31, 6
	v_lshlrev_b32_e32 v5, 6, v5
	v_lshlrev_b32_e32 v7, 10, v67
	v_and_b32_e32 v6, 0x3800, v6
	s_delay_alu instid0(VALU_DEP_4) | instskip(NEXT) | instid1(VALU_DEP_2)
	v_ashrrev_i32_e32 v2, 31, v1
	v_or3_b32 v5, v6, v7, v5
	s_delay_alu instid0(VALU_DEP_2) | instskip(SKIP_3) | instid1(VALU_DEP_1)
	v_lshlrev_b64 v[1:2], 1, v[1:2]
	s_waitcnt lgkmcnt(0)
	s_add_u32 s3, s20, s22
	s_addc_u32 s4, s21, s23
	v_add_co_u32 v1, vcc_lo, s3, v1
	s_delay_alu instid0(VALU_DEP_2) | instskip(NEXT) | instid1(VALU_DEP_2)
	v_add_co_ci_u32_e32 v2, vcc_lo, s4, v2, vcc_lo
	v_add_co_u32 v1, vcc_lo, v1, v65
	s_delay_alu instid0(VALU_DEP_2)
	v_add_co_ci_u32_e32 v2, vcc_lo, 0, v2, vcc_lo
	global_load_b128 v[1:4], v[1:2], off
	s_waitcnt vmcnt(0)
	ds_store_b128 v5, v[1:4]
.LBB783_10:
	s_or_b32 exec_lo, exec_lo, s7
	v_and_b32_e32 v1, 0xef, v0
	s_add_i32 s3, s18, 15
	s_clause 0x1
	s_load_b32 s4, s[0:1], 0x38
	s_load_b32 s33, s[0:1], 0x98
	s_ashr_i32 s7, s3, 31
	v_add_nc_u32_e32 v1, s16, v1
	s_lshr_b32 s7, s7, 28
	s_load_b32 s19, s[0:1], 0x1c
	v_add_nc_u32_e32 v103, -14, v68
	s_add_i32 s3, s3, s7
	v_ashrrev_i32_e32 v2, 31, v1
	v_or_b32_e32 v3, 16, v1
	s_ashr_i32 s3, s3, 4
	v_cmp_gt_i32_e32 vcc_lo, s18, v1
	s_add_i32 s3, s3, -1
	v_lshrrev_b32_e32 v2, 28, v2
	s_waitcnt lgkmcnt(0)
	s_barrier
	buffer_gl0_inv
	s_mul_i32 s15, s15, s6
	v_add_nc_u32_e32 v4, v1, v2
	v_mbcnt_lo_u32_b32 v127, -1, 0
	s_mul_i32 s20, s34, s4
	s_delay_alu instid0(SALU_CYCLE_1) | instskip(NEXT) | instid1(VALU_DEP_2)
	s_ashr_i32 s21, s20, 31
	v_ashrrev_i32_e32 v4, 4, v4
	v_add_nc_u32_e32 v2, v3, v2
	s_lshl_b64 s[20:21], s[20:21], 2
	v_xor_b32_e32 v128, 16, v127
	s_add_u32 s17, s12, s20
	v_cndmask_b32_e32 v1, s3, v4, vcc_lo
	v_ashrrev_i32_e32 v2, 4, v2
	v_cmp_gt_i32_e32 vcc_lo, s18, v3
	s_addc_u32 s13, s13, s21
	s_ashr_i32 s20, s15, 31
	s_add_u32 s4, s8, s15
	s_addc_u32 s12, s9, s20
	v_cndmask_b32_e32 v3, s3, v2, vcc_lo
	v_ashrrev_i32_e32 v2, 31, v1
	s_lshl_b32 s6, s14, 4
	s_delay_alu instid0(SALU_CYCLE_1) | instskip(NEXT) | instid1(VALU_DEP_2)
	s_ashr_i32 s7, s6, 31
	v_ashrrev_i32_e32 v4, 31, v3
	s_delay_alu instid0(VALU_DEP_2) | instskip(SKIP_1) | instid1(SALU_CYCLE_1)
	v_lshlrev_b64 v[1:2], 2, v[1:2]
	s_lshl_b64 s[6:7], s[6:7], 2
	s_add_u32 s6, s17, s6
	s_delay_alu instid0(VALU_DEP_2) | instskip(SKIP_1) | instid1(VALU_DEP_2)
	v_lshlrev_b64 v[3:4], 2, v[3:4]
	s_addc_u32 s7, s13, s7
	v_add_co_u32 v1, vcc_lo, s17, v1
	v_add_co_ci_u32_e32 v2, vcc_lo, s13, v2, vcc_lo
	s_delay_alu instid0(VALU_DEP_3) | instskip(NEXT) | instid1(VALU_DEP_4)
	v_add_co_u32 v3, vcc_lo, s17, v3
	v_add_co_ci_u32_e32 v4, vcc_lo, s13, v4, vcc_lo
	s_clause 0x1
	global_load_b32 v5, v[1:2], off
	global_load_b32 v7, v[3:4], off
	s_or_b32 s8, s16, 32
	v_lshlrev_b32_e32 v1, 4, v0
	s_ashr_i32 s9, s8, 4
	s_cmp_lt_i32 s8, s18
	v_cmp_gt_u32_e32 vcc_lo, 14, v68
	s_cselect_b32 s8, s9, s3
	v_and_b32_e32 v1, 0xf0, v1
	s_ashr_i32 s9, s8, 31
	s_delay_alu instid0(SALU_CYCLE_1)
	s_lshl_b64 s[8:9], s[8:9], 2
	v_cndmask_b32_e32 v103, v103, v68, vcc_lo
	s_add_u32 s8, s17, s8
	s_addc_u32 s9, s13, s9
	s_or_b32 s21, s16, 64
	v_add_co_u32 v1, s4, s4, v1
	s_ashr_i32 s22, s21, 4
	s_cmp_lt_i32 s21, s18
	v_add_co_ci_u32_e64 v2, null, s12, 0, s4
	s_cselect_b32 s22, s22, s3
	v_cmp_gt_i32_e32 vcc_lo, 32, v128
	s_ashr_i32 s23, s22, 31
	v_lshlrev_b32_e32 v115, 6, v103
	s_lshl_b64 s[22:23], s[22:23], 2
	v_cndmask_b32_e32 v136, v127, v128, vcc_lo
	s_add_u32 s22, s17, s22
	s_addc_u32 s23, s13, s23
	s_or_b32 s21, s16, 0x60
	s_delay_alu instid0(SALU_CYCLE_1) | instskip(SKIP_2) | instid1(SALU_CYCLE_1)
	s_ashr_i32 s24, s21, 4
	s_cmp_lt_i32 s21, s18
	s_cselect_b32 s24, s24, s3
	s_ashr_i32 s25, s24, 31
	s_delay_alu instid0(SALU_CYCLE_1) | instskip(NEXT) | instid1(SALU_CYCLE_1)
	s_lshl_b64 s[24:25], s[24:25], 2
	s_add_u32 s24, s17, s24
	s_addc_u32 s25, s13, s25
	s_or_b32 s21, s16, 0x80
	s_delay_alu instid0(SALU_CYCLE_1) | instskip(SKIP_2) | instid1(SALU_CYCLE_1)
	s_ashr_i32 s26, s21, 4
	s_cmp_lt_i32 s21, s18
	s_cselect_b32 s26, s26, s3
	s_ashr_i32 s27, s26, 31
	s_delay_alu instid0(SALU_CYCLE_1) | instskip(NEXT) | instid1(SALU_CYCLE_1)
	s_lshl_b64 s[26:27], s[26:27], 2
	;; [unrolled: 10-line block ×3, first 2 shown]
	s_add_u32 s28, s17, s28
	s_addc_u32 s29, s13, s29
	s_clause 0x5
	s_load_b32 s12, s[6:7], 0x0
	s_load_b32 s4, s[8:9], 0x0
	;; [unrolled: 1-line block ×6, first 2 shown]
	s_or_b32 s21, s16, 0xc0
	s_delay_alu instid0(SALU_CYCLE_1) | instskip(SKIP_2) | instid1(SALU_CYCLE_1)
	s_ashr_i32 s22, s21, 4
	s_cmp_lt_i32 s21, s18
	s_cselect_b32 s22, s22, s3
	s_ashr_i32 s23, s22, 31
	s_delay_alu instid0(SALU_CYCLE_1) | instskip(NEXT) | instid1(SALU_CYCLE_1)
	s_lshl_b64 s[22:23], s[22:23], 2
	s_add_u32 s22, s17, s22
	s_addc_u32 s23, s13, s23
	s_or_b32 s21, s16, 0xe0
	s_delay_alu instid0(SALU_CYCLE_1) | instskip(SKIP_2) | instid1(SALU_CYCLE_1)
	s_ashr_i32 s24, s21, 4
	s_cmp_lt_i32 s21, s18
	s_cselect_b32 s24, s24, s3
	s_ashr_i32 s25, s24, 31
	s_delay_alu instid0(SALU_CYCLE_1)
	s_lshl_b64 s[24:25], s[24:25], 2
	s_waitcnt vmcnt(1)
	v_mad_i64_i32 v[3:4], null, v5, s5, v[1:2]
	s_waitcnt vmcnt(0)
	v_mad_i64_i32 v[5:6], null, v7, s5, v[1:2]
	v_lshlrev_b32_e32 v1, 4, v68
	s_clause 0x7
	global_load_b128 v[71:74], v[3:4], off
	global_load_b128 v[75:78], v[3:4], off offset:256
	global_load_b128 v[79:82], v[5:6], off
	global_load_b128 v[83:86], v[5:6], off offset:256
	global_load_b128 v[87:90], v[3:4], off offset:512
	;; [unrolled: 1-line block ×5, first 2 shown]
	v_lshl_or_b32 v1, v69, 8, v1
	s_load_b32 s3, s[22:23], 0x0
	s_add_u32 s22, s17, s24
	s_addc_u32 s23, s13, s25
	s_add_u32 s10, s10, s15
	s_addc_u32 s11, s11, s20
	v_add_co_u32 v1, s10, s10, v1
	s_delay_alu instid0(VALU_DEP_1) | instskip(SKIP_2) | instid1(VALU_DEP_1)
	v_add_co_ci_u32_e64 v2, null, s11, 0, s10
	s_load_b32 s10, s[22:23], 0x0
	s_waitcnt lgkmcnt(0)
	v_mad_i64_i32 v[3:4], null, s12, s5, v[1:2]
	v_mad_i64_i32 v[9:10], null, s7, s5, v[1:2]
	;; [unrolled: 1-line block ×7, first 2 shown]
	s_clause 0x5
	global_load_b128 v[49:52], v[3:4], off
	global_load_b128 v[53:56], v[3:4], off offset:16
	global_load_b128 v[41:44], v[5:6], off
	global_load_b128 v[45:48], v[5:6], off offset:16
	;; [unrolled: 2-line block ×3, first 2 shown]
	s_mov_b32 s4, 0
	v_mad_i64_i32 v[61:62], null, s10, s5, v[1:2]
	s_clause 0x9
	global_load_b128 v[1:4], v[9:10], off
	global_load_b128 v[5:8], v[9:10], off offset:16
	global_load_b128 v[9:12], v[13:14], off
	global_load_b128 v[13:16], v[13:14], off offset:16
	;; [unrolled: 2-line block ×5, first 2 shown]
	s_mov_b32 s5, s4
	s_mov_b32 s6, s4
	;; [unrolled: 1-line block ×7, first 2 shown]
	v_and_b32_e32 v104, 0xe0, v0
	v_dual_mov_b32 v126, s11 :: v_dual_mov_b32 v125, s10
	v_dual_mov_b32 v124, s9 :: v_dual_mov_b32 v123, s8
	s_delay_alu instid0(VALU_DEP_3)
	v_add_nc_u32_e32 v111, s16, v104
	ds_load_b128 v[103:106], v115
	ds_load_b128 v[107:110], v115 offset:1024
	v_dual_mov_b32 v122, s7 :: v_dual_mov_b32 v121, s6
	v_mov_b32_e32 v120, s5
	v_or_b32_e32 v135, v111, v66
	ds_load_b128 v[111:114], v115 offset:2048
	ds_load_b128 v[115:118], v115 offset:3072
	v_mov_b32_e32 v119, s4
	s_waitcnt vmcnt(0) lgkmcnt(0)
	s_barrier
	v_or_b32_e32 v137, 2, v135
	v_or_b32_e32 v138, 4, v135
	;; [unrolled: 1-line block ×3, first 2 shown]
	v_cmp_gt_i32_e32 vcc_lo, s18, v135
	v_or_b32_e32 v140, 8, v135
	v_cmp_gt_i32_e64 s3, s18, v137
	v_or_b32_e32 v141, 10, v135
	v_cmp_gt_i32_e64 s4, s18, v138
	v_cmp_gt_i32_e64 s5, s18, v139
	v_or_b32_e32 v142, 12, v135
	v_or_b32_e32 v143, 14, v135
	v_cmp_gt_i32_e64 s6, s18, v140
	v_cmp_gt_i32_e64 s7, s18, v141
	v_or_b32_e32 v144, 16, v135
	v_or_b32_e32 v145, 18, v135
	v_cmp_gt_i32_e64 s8, s18, v142
	v_cmp_gt_i32_e64 s9, s18, v143
	buffer_gl0_inv
	v_cmp_gt_i32_e64 s10, s18, v144
	v_cmp_gt_i32_e64 s11, s18, v145
	v_wmma_f32_16x16x16_f16 v[127:134], v[71:78], v[103:110], v[119:126]
	v_wmma_f32_16x16x16_f16 v[119:126], v[79:86], v[103:110], v[119:126]
	v_or_b32_e32 v71, 20, v135
	v_or_b32_e32 v72, 22, v135
	s_delay_alu instid0(VALU_DEP_4)
	v_wmma_f32_16x16x16_f16 v[127:134], v[87:94], v[111:118], v[127:134]
	v_or_b32_e32 v73, 24, v135
	v_wmma_f32_16x16x16_f16 v[119:126], v[95:102], v[111:118], v[119:126]
	v_or_b32_e32 v74, 26, v135
	v_cmp_gt_i32_e64 s12, s18, v71
	v_dual_mul_f32 v83, s19, v128 :: v_dual_mul_f32 v84, s19, v127
	v_dual_mul_f32 v81, s19, v130 :: v_dual_mul_f32 v82, s19, v129
	;; [unrolled: 1-line block ×3, first 2 shown]
	s_delay_alu instid0(VALU_DEP_3) | instskip(NEXT) | instid1(VALU_DEP_4)
	v_cndmask_b32_e32 v84, 0xff7fffff, v84, vcc_lo
	v_cndmask_b32_e64 v83, 0xff7fffff, v83, s3
	v_mul_f32_e32 v80, s19, v131
	v_cndmask_b32_e64 v82, 0xff7fffff, v82, s4
	v_cndmask_b32_e64 v81, 0xff7fffff, v81, s5
	v_dual_mul_f32 v77, s19, v134 :: v_dual_mul_f32 v90, s19, v121
	v_max3_f32 v83, v84, 0xff7fffff, v83
	v_mul_f32_e32 v78, s19, v133
	v_cndmask_b32_e64 v80, 0xff7fffff, v80, s6
	v_cndmask_b32_e64 v79, 0xff7fffff, v79, s7
	v_mul_f32_e32 v91, s19, v120
	v_max3_f32 v81, v83, v82, v81
	v_cndmask_b32_e64 v78, 0xff7fffff, v78, s8
	v_cndmask_b32_e64 v77, 0xff7fffff, v77, s9
	v_mul_f32_e32 v89, s19, v122
	v_cmp_gt_i32_e64 s13, s18, v72
	v_max3_f32 v79, v81, v80, v79
	v_cndmask_b32_e64 v80, 0xff7fffff, v92, s10
	v_cndmask_b32_e64 v81, 0xff7fffff, v91, s11
	v_or_b32_e32 v75, 28, v135
	v_or_b32_e32 v76, 30, v135
	v_max3_f32 v77, v79, v78, v77
	v_dual_mul_f32 v87, s19, v124 :: v_dual_mul_f32 v88, s19, v123
	v_cndmask_b32_e64 v71, 0xff7fffff, v90, s12
	v_cndmask_b32_e64 v72, 0xff7fffff, v89, s13
	s_delay_alu instid0(VALU_DEP_4) | instskip(SKIP_3) | instid1(VALU_DEP_4)
	v_max3_f32 v77, v77, v80, v81
	v_cmp_gt_i32_e64 s15, s18, v73
	v_cmp_gt_i32_e64 s16, s18, v74
	v_dual_mul_f32 v85, s19, v126 :: v_dual_mul_f32 v86, s19, v125
	v_max3_f32 v71, v77, v71, v72
	s_delay_alu instid0(VALU_DEP_4) | instskip(NEXT) | instid1(VALU_DEP_4)
	v_cndmask_b32_e64 v73, 0xff7fffff, v88, s15
	v_cndmask_b32_e64 v74, 0xff7fffff, v87, s16
	v_cmp_gt_i32_e64 s17, s18, v75
	v_cmp_gt_i32_e64 s18, s18, v76
	s_delay_alu instid0(VALU_DEP_3) | instskip(NEXT) | instid1(VALU_DEP_3)
	v_max3_f32 v71, v71, v73, v74
	v_cndmask_b32_e64 v72, 0xff7fffff, v86, s17
	s_delay_alu instid0(VALU_DEP_3) | instskip(SKIP_1) | instid1(VALU_DEP_2)
	v_cndmask_b32_e64 v75, 0xff7fffff, v85, s18
	v_lshlrev_b32_e32 v73, 2, v136
	v_max3_f32 v71, v71, v72, v75
	ds_bpermute_b32 v72, v73, v71
	s_waitcnt lgkmcnt(0)
	v_max_f32_e32 v72, v72, v72
	s_delay_alu instid0(VALU_DEP_1) | instskip(NEXT) | instid1(VALU_DEP_1)
	v_max_f32_e32 v71, v71, v72
	v_fma_f32 v72, s19, v127, -v71
	v_fma_f32 v74, s19, v128, -v71
	v_fma_f32 v75, s19, v129, -v71
	v_fma_f32 v76, s19, v130, -v71
	v_fma_f32 v80, s19, v133, -v71
	v_mul_f32_e32 v72, 0x3fb8aa3b, v72
	s_delay_alu instid0(VALU_DEP_4) | instskip(NEXT) | instid1(VALU_DEP_4)
	v_dual_mul_f32 v74, 0x3fb8aa3b, v74 :: v_dual_mul_f32 v75, 0x3fb8aa3b, v75
	v_mul_f32_e32 v76, 0x3fb8aa3b, v76
	s_delay_alu instid0(VALU_DEP_4) | instskip(NEXT) | instid1(VALU_DEP_4)
	v_mul_f32_e32 v82, 0x3fb8aa3b, v80
	v_exp_f32_e32 v72, v72
	s_delay_alu instid0(VALU_DEP_3)
	v_exp_f32_e32 v74, v74
	v_exp_f32_e32 v75, v75
	;; [unrolled: 1-line block ×3, first 2 shown]
	v_fma_f32 v77, s19, v131, -v71
	v_exp_f32_e32 v84, v82
	v_cndmask_b32_e32 v79, 0, v72, vcc_lo
	v_cndmask_b32_e64 v78, 0, v74, s3
	s_delay_alu instid0(TRANS32_DEP_3) | instskip(SKIP_1) | instid1(TRANS32_DEP_2)
	v_cndmask_b32_e64 v81, 0, v75, s4
	v_fma_f32 v72, s19, v132, -v71
	v_cndmask_b32_e64 v80, 0, v76, s5
	v_add_f32_e32 v74, 0, v79
	s_delay_alu instid0(TRANS32_DEP_1) | instskip(SKIP_2) | instid1(VALU_DEP_3)
	v_cndmask_b32_e64 v85, 0, v84, s8
	s_mov_b32 s3, exec_lo
	v_mul_f32_e32 v72, 0x3fb8aa3b, v72
	v_add_f32_e32 v74, v74, v78
	s_delay_alu instid0(VALU_DEP_2) | instskip(NEXT) | instid1(VALU_DEP_1)
	v_exp_f32_e32 v72, v72
	v_add_f32_e32 v74, v74, v81
	s_delay_alu instid0(VALU_DEP_1) | instskip(NEXT) | instid1(VALU_DEP_1)
	v_dual_mul_f32 v77, 0x3fb8aa3b, v77 :: v_dual_add_f32 v74, v74, v80
	v_exp_f32_e32 v77, v77
	s_waitcnt_depctr 0xfff
	v_cndmask_b32_e64 v82, 0, v72, s7
	v_cndmask_b32_e64 v83, 0, v77, s6
	s_delay_alu instid0(VALU_DEP_1) | instskip(SKIP_4) | instid1(VALU_DEP_4)
	v_add_f32_e32 v72, v74, v83
	v_fma_f32 v75, s19, v134, -v71
	v_fma_f32 v76, s19, v119, -v71
	;; [unrolled: 1-line block ×4, first 2 shown]
	v_dual_add_f32 v72, v72, v82 :: v_dual_mul_f32 v75, 0x3fb8aa3b, v75
	s_delay_alu instid0(VALU_DEP_3) | instskip(NEXT) | instid1(VALU_DEP_3)
	v_dual_mul_f32 v76, 0x3fb8aa3b, v76 :: v_dual_mul_f32 v77, 0x3fb8aa3b, v77
	v_mul_f32_e32 v74, 0x3fb8aa3b, v74
	v_fma_f32 v86, s19, v122, -v71
	s_delay_alu instid0(VALU_DEP_4) | instskip(NEXT) | instid1(VALU_DEP_3)
	v_exp_f32_e32 v75, v75
	v_exp_f32_e32 v76, v76
	;; [unrolled: 1-line block ×4, first 2 shown]
	v_mul_f32_e32 v86, 0x3fb8aa3b, v86
	s_delay_alu instid0(VALU_DEP_1)
	v_exp_f32_e32 v88, v86
	v_cndmask_b32_e64 v84, 0, v75, s9
	v_fma_f32 v75, s19, v123, -v71
	v_add_f32_e32 v72, v72, v85
	v_cndmask_b32_e64 v87, 0, v76, s10
	v_fma_f32 v76, s19, v124, -v71
	s_delay_alu instid0(TRANS32_DEP_3) | instskip(NEXT) | instid1(VALU_DEP_4)
	v_cndmask_b32_e64 v86, 0, v77, s11
	v_dual_mul_f32 v75, 0x3fb8aa3b, v75 :: v_dual_add_f32 v72, v72, v84
	v_fma_f32 v77, s19, v125, -v71
	s_delay_alu instid0(VALU_DEP_4) | instskip(SKIP_1) | instid1(VALU_DEP_4)
	v_mul_f32_e32 v76, 0x3fb8aa3b, v76
	v_cndmask_b32_e64 v89, 0, v74, s12
	v_exp_f32_e32 v75, v75
	v_add_f32_e32 v72, v72, v87
	v_mul_f32_e32 v74, 0x3fb8aa3b, v77
	v_exp_f32_e32 v76, v76
	v_cndmask_b32_e64 v88, 0, v88, s13
	v_fma_f32 v77, s19, v126, -v71
	v_add_f32_e32 v72, v72, v86
	v_exp_f32_e32 v74, v74
	s_delay_alu instid0(TRANS32_DEP_3) | instskip(NEXT) | instid1(VALU_DEP_2)
	v_cndmask_b32_e64 v91, 0, v75, s15
	v_add_f32_e32 v72, v72, v89
	v_mul_f32_e32 v75, 0x3fb8aa3b, v77
	s_delay_alu instid0(TRANS32_DEP_2) | instskip(NEXT) | instid1(VALU_DEP_3)
	v_cndmask_b32_e64 v90, 0, v76, s16
	v_add_f32_e32 v72, v72, v88
	s_delay_alu instid0(VALU_DEP_3) | instskip(NEXT) | instid1(TRANS32_DEP_2)
	v_exp_f32_e32 v75, v75
	v_cndmask_b32_e64 v93, 0, v74, s17
	s_delay_alu instid0(VALU_DEP_2) | instskip(NEXT) | instid1(VALU_DEP_1)
	v_add_f32_e32 v72, v72, v91
	v_add_f32_e32 v72, v72, v90
	s_waitcnt_depctr 0xfff
	v_cndmask_b32_e64 v92, 0, v75, s18
	v_add_f32_e32 v72, v72, v93
	s_delay_alu instid0(VALU_DEP_1)
	v_add_f32_e32 v72, v72, v92
	ds_bpermute_b32 v73, v73, v72
	v_cmpx_gt_u32_e32 16, v70
	s_cbranch_execz .LBB783_12
; %bb.11:
	v_mul_u32_u24_e32 v70, 0x44, v69
	s_waitcnt lgkmcnt(0)
	v_add_f32_e32 v72, v72, v73
	s_delay_alu instid0(VALU_DEP_2) | instskip(NEXT) | instid1(VALU_DEP_1)
	v_lshl_add_u32 v70, v68, 2, v70
	v_add_nc_u32_e32 v70, 0x4000, v70
	ds_store_2addr_b32 v70, v71, v72 offset1:136
.LBB783_12:
	s_or_b32 exec_lo, exec_lo, s3
	v_lshlrev_b32_e32 v70, 2, v68
	s_load_b32 s35, s[0:1], 0x94
	s_waitcnt lgkmcnt(0)
	s_barrier
	buffer_gl0_inv
	v_add_nc_u32_e32 v98, 0x4000, v70
	v_cmp_eq_u32_e32 vcc_lo, 1, v69
	v_cmp_eq_u32_e64 s3, 2, v69
	v_cmp_eq_u32_e64 s4, 3, v69
	;; [unrolled: 1-line block ×3, first 2 shown]
	ds_load_2addr_b32 v[70:71], v98 offset1:17
	ds_load_2addr_b32 v[72:73], v98 offset0:34 offset1:51
	ds_load_2addr_b32 v[74:75], v98 offset0:68 offset1:85
	;; [unrolled: 1-line block ×3, first 2 shown]
	v_cmp_eq_u32_e64 s6, 5, v69
	v_cmp_eq_u32_e64 s7, 7, v69
	s_waitcnt lgkmcnt(3)
	v_max3_f32 v76, v70, 0xff7fffff, v71
	s_waitcnt lgkmcnt(2)
	s_delay_alu instid0(VALU_DEP_1) | instskip(SKIP_1) | instid1(VALU_DEP_1)
	v_max3_f32 v76, v76, v72, v73
	s_waitcnt lgkmcnt(1)
	v_max3_f32 v76, v76, v74, v75
	s_waitcnt lgkmcnt(0)
	s_delay_alu instid0(VALU_DEP_1) | instskip(NEXT) | instid1(VALU_DEP_1)
	v_max3_f32 v76, v76, v94, v95
	v_sub_f32_e32 v77, v71, v76
	ds_load_2addr_b32 v[96:97], v98 offset0:136 offset1:153
	v_sub_f32_e32 v74, v74, v76
	v_sub_f32_e32 v70, v70, v76
	;; [unrolled: 1-line block ×3, first 2 shown]
	v_dual_sub_f32 v72, v72, v76 :: v_dual_mul_f32 v77, 0x3fb8aa3b, v77
	s_delay_alu instid0(VALU_DEP_4) | instskip(NEXT) | instid1(VALU_DEP_4)
	v_mul_f32_e32 v103, 0x3fb8aa3b, v74
	v_mul_f32_e32 v99, 0x3fb8aa3b, v70
	ds_load_2addr_b32 v[70:71], v98 offset0:170 offset1:187
	v_dual_mul_f32 v101, 0x3fb8aa3b, v72 :: v_dual_mul_f32 v94, 0x3fb8aa3b, v94
	v_exp_f32_e32 v102, v77
	v_exp_f32_e32 v99, v99
	s_delay_alu instid0(VALU_DEP_1) | instskip(NEXT) | instid1(VALU_DEP_1)
	v_exp_f32_e32 v101, v101
	v_exp_f32_e32 v94, v94
	s_waitcnt lgkmcnt(1)
	s_delay_alu instid0(TRANS32_DEP_3)
	v_fma_f32 v77, v99, v96, 0
	v_sub_f32_e32 v100, v73, v76
	ds_load_2addr_b32 v[72:73], v98 offset0:204 offset1:221
	v_fmac_f32_e32 v77, v102, v97
	v_exp_f32_e32 v97, v103
	s_waitcnt lgkmcnt(1)
	s_delay_alu instid0(VALU_DEP_1)
	v_dual_fmac_f32 v77, v101, v70 :: v_dual_sub_f32 v96, v75, v76
	ds_load_2addr_b32 v[74:75], v98 offset0:238 offset1:255
	v_sub_f32_e32 v70, v95, v76
	s_waitcnt lgkmcnt(0)
	s_barrier
	v_mul_f32_e32 v96, 0x3fb8aa3b, v96
	buffer_gl0_inv
	v_exp_f32_e32 v95, v96
	v_mul_f32_e32 v100, 0x3fb8aa3b, v100
	s_delay_alu instid0(VALU_DEP_1) | instskip(SKIP_3) | instid1(VALU_DEP_2)
	v_exp_f32_e32 v100, v100
	s_waitcnt_depctr 0xfff
	v_dual_fmac_f32 v77, v100, v71 :: v_dual_mul_f32 v70, 0x3fb8aa3b, v70
	v_cndmask_b32_e32 v71, v99, v102, vcc_lo
	v_fmac_f32_e32 v77, v97, v72
	s_delay_alu instid0(VALU_DEP_3) | instskip(NEXT) | instid1(VALU_DEP_1)
	v_exp_f32_e32 v96, v70
	v_fmac_f32_e32 v77, v95, v73
	s_delay_alu instid0(VALU_DEP_1) | instskip(SKIP_2) | instid1(VALU_DEP_1)
	v_fmac_f32_e32 v77, v94, v74
	s_waitcnt_depctr 0xfff
	v_fmac_f32_e32 v77, v96, v75
	v_add_f32_e32 v74, 0x358637bd, v77
	s_delay_alu instid0(VALU_DEP_1) | instskip(SKIP_1) | instid1(VALU_DEP_2)
	v_div_scale_f32 v98, null, v74, v74, 1.0
	v_div_scale_f32 v99, vcc_lo, 1.0, v74, 1.0
	v_rcp_f32_e32 v103, v98
	s_waitcnt_depctr 0xfff
	v_fma_f32 v70, -v98, v103, 1.0
	s_delay_alu instid0(VALU_DEP_1) | instskip(SKIP_2) | instid1(VALU_DEP_2)
	v_fmac_f32_e32 v103, v70, v103
	v_cndmask_b32_e64 v70, v71, v101, s3
	v_cmp_eq_u32_e64 s3, 6, v69
	v_cndmask_b32_e64 v71, v70, v100, s4
	s_delay_alu instid0(VALU_DEP_4) | instskip(NEXT) | instid1(VALU_DEP_2)
	v_dual_mul_f32 v101, v99, v103 :: v_dual_lshlrev_b32 v70, 2, v66
	v_cndmask_b32_e64 v71, v71, v97, s5
	s_delay_alu instid0(VALU_DEP_2) | instskip(NEXT) | instid1(VALU_DEP_3)
	v_or_b32_e32 v72, 1, v70
	v_fma_f32 v100, -v98, v101, v99
	v_cmp_eq_u32_e64 s4, 1, v70
	v_cmp_eq_u32_e64 s5, 2, v70
	v_cndmask_b32_e64 v95, v71, v95, s6
	v_or_b32_e32 v71, 3, v70
	v_fmac_f32_e32 v101, v100, v103
	v_cmp_eq_u32_e64 s9, 1, v72
	v_cmp_eq_u32_e64 s12, 2, v72
	v_cndmask_b32_e64 v94, v95, v94, s3
	v_cmp_eq_u32_e64 s11, 1, v71
	v_fma_f32 v97, -v98, v101, v99
	v_cmp_eq_u32_e64 s16, 2, v71
	v_cmp_eq_u32_e64 s13, 3, v72
	v_cndmask_b32_e64 v94, v94, v96, s7
	v_cmp_eq_u32_e64 s18, 3, v71
	v_div_fmas_f32 v95, v97, v103, v101
	v_cmp_eq_u32_e32 vcc_lo, 3, v70
	v_cmp_eq_u32_e64 s3, 4, v70
	v_cmp_eq_u32_e64 s19, 4, v72
	;; [unrolled: 1-line block ×3, first 2 shown]
	v_div_fixup_f32 v95, v95, v74, 1.0
	v_lshlrev_b32_e32 v73, 6, v68
	v_cmp_eq_u32_e64 s6, 5, v70
	v_cmp_eq_u32_e64 s20, 5, v72
	v_cmp_eq_u32_e64 s24, 5, v71
	v_mul_f32_e32 v102, v94, v95
	v_lshl_or_b32 v75, v69, 11, v73
	v_or_b32_e32 v69, 2, v70
	v_cmp_eq_u32_e64 s25, 6, v72
	v_cmp_eq_u32_e64 s27, 6, v71
	v_fma_mixlo_f16 v94, v102, v79, 0
	v_fma_mixlo_f16 v95, v102, v81, 0
	v_fma_mixlo_f16 v96, v102, v83, 0
	v_fma_mixlo_f16 v97, v102, v85, 0
	v_fma_mixlo_f16 v98, v102, v87, 0
	v_fma_mixlo_f16 v99, v102, v89, 0
	v_fma_mixlo_f16 v100, v102, v91, 0
	v_fma_mixlo_f16 v101, v102, v93, 0
	v_lshl_or_b32 v74, v66, 4, v75
	v_fma_mixhi_f16 v94, v102, v78, 0
	v_fma_mixhi_f16 v95, v102, v80, 0
	;; [unrolled: 1-line block ×8, first 2 shown]
	ds_store_b128 v74, v[94:97]
	ds_store_b128 v74, v[98:101] offset:1024
	s_waitcnt lgkmcnt(0)
	s_barrier
	buffer_gl0_inv
	ds_load_b128 v[78:81], v75
	ds_load_b128 v[82:85], v75 offset:16
	ds_load_b128 v[86:89], v75 offset:1024
	;; [unrolled: 1-line block ×3, first 2 shown]
	v_cmp_eq_u32_e64 s10, 1, v69
	v_cmp_eq_u32_e64 s15, 2, v69
	;; [unrolled: 1-line block ×11, first 2 shown]
	s_waitcnt lgkmcnt(3)
	v_lshrrev_b32_e32 v94, 16, v78
	s_waitcnt lgkmcnt(2)
	v_lshrrev_b32_e32 v98, 16, v82
	;; [unrolled: 2-line block ×4, first 2 shown]
	v_lshrrev_b32_e32 v95, 16, v79
	v_cndmask_b32_e64 v110, v78, v94, s4
	v_cndmask_b32_e64 v111, v82, v98, s4
	;; [unrolled: 1-line block ×8, first 2 shown]
	v_lshrrev_b32_e32 v99, 16, v83
	v_cndmask_b32_e64 v94, v86, v102, s4
	v_cndmask_b32_e64 v98, v90, v106, s4
	;; [unrolled: 1-line block ×15, first 2 shown]
	v_lshrrev_b32_e32 v103, 16, v87
	v_lshrrev_b32_e32 v107, 16, v91
	v_cndmask_b32_e64 v113, v115, v83, s15
	v_cndmask_b32_e64 v82, v94, v87, s5
	;; [unrolled: 1-line block ×7, first 2 shown]
	v_cndmask_b32_e32 v90, v102, v95, vcc_lo
	v_cndmask_b32_e32 v102, v106, v99, vcc_lo
	v_cndmask_b32_e64 v106, v110, v95, s13
	v_cndmask_b32_e64 v110, v111, v99, s13
	;; [unrolled: 1-line block ×4, first 2 shown]
	v_lshrrev_b32_e32 v96, 16, v80
	v_lshrrev_b32_e32 v100, 16, v84
	v_cndmask_b32_e64 v111, v112, v95, s17
	v_cndmask_b32_e64 v112, v113, v99, s17
	v_cndmask_b32_e32 v82, v82, v103, vcc_lo
	v_cndmask_b32_e32 v83, v83, v107, vcc_lo
	v_cndmask_b32_e64 v94, v94, v103, s13
	v_cndmask_b32_e64 v90, v90, v80, s3
	;; [unrolled: 1-line block ×7, first 2 shown]
	v_lshrrev_b32_e32 v104, 16, v88
	v_cndmask_b32_e64 v106, v111, v80, s21
	v_cndmask_b32_e64 v110, v112, v84, s21
	;; [unrolled: 1-line block ×11, first 2 shown]
	v_lshrrev_b32_e32 v97, 16, v81
	v_lshrrev_b32_e32 v101, 16, v85
	v_cndmask_b32_e64 v99, v106, v96, s23
	v_cndmask_b32_e64 v102, v110, v100, s23
	;; [unrolled: 1-line block ×7, first 2 shown]
	v_lshrrev_b32_e32 v105, 16, v89
	v_cndmask_b32_e64 v80, v80, v104, s6
	v_cndmask_b32_e64 v84, v84, v81, s7
	;; [unrolled: 1-line block ×16, first 2 shown]
	v_perm_b32 v81, v79, v78, 0x5040100
	v_perm_b32 v79, v95, v85, 0x5040100
	v_cndmask_b32_e64 v78, v119, v91, s15
	v_cndmask_b32_e64 v85, v117, v91, s12
	;; [unrolled: 1-line block ×3, first 2 shown]
	v_perm_b32 v80, v94, v90, 0x5040100
	v_cndmask_b32_e64 v90, v98, v103, s17
	v_cndmask_b32_e64 v86, v86, v103, s18
	v_cndmask_b32_e64 v87, v87, v107, s18
	v_cndmask_b32_e64 v78, v78, v107, s17
	v_cndmask_b32_e64 v85, v85, v107, s13
	v_lshrrev_b32_e32 v108, 16, v92
	v_cndmask_b32_e64 v90, v90, v88, s21
	v_cndmask_b32_e64 v86, v86, v88, s22
	;; [unrolled: 1-line block ×11, first 2 shown]
	v_lshrrev_b32_e32 v109, 16, v93
	v_cndmask_b32_e64 v82, v82, v93, s7
	v_cndmask_b32_e64 v88, v88, v89, s26
	;; [unrolled: 1-line block ×12, first 2 shown]
	v_perm_b32 v78, v84, v83, 0x5040100
	v_perm_b32 v85, v87, v86, 0x5040100
	;; [unrolled: 1-line block ×5, first 2 shown]
	s_mul_i32 s8, s33, 14
	s_mov_b32 s3, exec_lo
	ds_store_b128 v74, v[78:81]
	ds_store_b128 v74, v[82:85] offset:1024
	v_cmpx_gt_u32_e32 14, v0
	s_cbranch_execz .LBB783_14
; %bb.13:
	s_mul_i32 s4, s8, s34
	s_delay_alu instid0(SALU_CYCLE_1) | instskip(SKIP_1) | instid1(VALU_DEP_1)
	v_add3_u32 v68, s4, s31, v68
	s_load_b128 s[4:7], s[0:1], 0x58
	v_mad_u64_u32 v[78:79], null, v68, s35, s[14:15]
	s_delay_alu instid0(VALU_DEP_1) | instskip(NEXT) | instid1(VALU_DEP_1)
	v_ashrrev_i32_e32 v79, 31, v78
	v_lshlrev_b64 v[78:79], 2, v[78:79]
	s_waitcnt lgkmcnt(0)
	s_delay_alu instid0(VALU_DEP_1) | instskip(NEXT) | instid1(VALU_DEP_2)
	v_add_co_u32 v80, vcc_lo, s6, v78
	v_add_co_ci_u32_e32 v81, vcc_lo, s7, v79, vcc_lo
	v_add_co_u32 v78, vcc_lo, s4, v78
	v_add_co_ci_u32_e32 v79, vcc_lo, s5, v79, vcc_lo
	global_store_b32 v[80:81], v76, off
	global_store_b32 v[78:79], v77, off
.LBB783_14:
	s_or_b32 exec_lo, exec_lo, s3
	s_waitcnt lgkmcnt(0)
	s_waitcnt_vscnt null, 0x0
	s_barrier
	buffer_gl0_inv
	ds_load_b128 v[84:87], v73
	ds_load_b128 v[88:91], v73 offset:16
	ds_load_b128 v[96:99], v73 offset:2064
	;; [unrolled: 1-line block ×5, first 2 shown]
	v_cmp_eq_u32_e32 vcc_lo, 1, v70
	v_mov_b32_e32 v76, 0
	ds_load_b128 v[112:115], v73 offset:6160
	ds_load_b128 v[108:111], v73 offset:6144
	;; [unrolled: 1-line block ×4, first 2 shown]
	v_cmp_eq_u32_e64 s4, 1, v69
	v_cmp_eq_u32_e64 s3, 1, v72
	;; [unrolled: 1-line block ×3, first 2 shown]
	v_mov_b32_e32 v77, v76
	v_mov_b32_e32 v78, v76
	;; [unrolled: 1-line block ×7, first 2 shown]
	v_cmp_eq_u32_e64 s6, 3, v72
	v_cmp_eq_u32_e64 s7, 7, v72
	s_waitcnt lgkmcnt(8)
	s_delay_alu instid0(VALU_DEP_3)
	v_wmma_f32_16x16x16_f16 v[76:83], v[49:56], v[84:91], v[76:83]
	ds_load_b128 v[53:56], v73 offset:10256
	ds_load_b128 v[49:52], v73 offset:10240
	s_waitcnt lgkmcnt(8)
	v_wmma_f32_16x16x16_f16 v[76:83], v[41:48], v[92:99], v[76:83]
	ds_load_b128 v[45:48], v73 offset:12304
	ds_load_b128 v[41:44], v73 offset:12288
	s_waitcnt lgkmcnt(8)
	;; [unrolled: 4-line block ×3, first 2 shown]
	s_barrier
	buffer_gl0_inv
	v_wmma_f32_16x16x16_f16 v[76:83], v[1:8], v[108:115], v[76:83]
	s_delay_alu instid0(VALU_DEP_1) | instskip(NEXT) | instid1(VALU_DEP_1)
	v_wmma_f32_16x16x16_f16 v[76:83], v[9:16], v[116:123], v[76:83]
	v_wmma_f32_16x16x16_f16 v[76:83], v[17:24], v[49:56], v[76:83]
	s_delay_alu instid0(VALU_DEP_1) | instskip(NEXT) | instid1(VALU_DEP_1)
	v_wmma_f32_16x16x16_f16 v[76:83], v[25:32], v[41:48], v[76:83]
	v_wmma_f32_16x16x16_f16 v[76:83], v[57:64], v[33:40], v[76:83]
	s_delay_alu instid0(VALU_DEP_1) | instskip(NEXT) | instid1(VALU_DEP_2)
	v_cvt_f16_f32_e32 v1, v76
	v_cvt_f16_f32_e32 v2, v77
	s_delay_alu instid0(VALU_DEP_3) | instskip(NEXT) | instid1(VALU_DEP_4)
	v_cvt_f16_f32_e32 v3, v78
	v_cvt_f16_f32_e32 v4, v79
	;; [unrolled: 1-line block ×6, first 2 shown]
	v_pack_b32_f16 v1, v1, v2
	v_pack_b32_f16 v2, v3, v4
	;; [unrolled: 1-line block ×3, first 2 shown]
	s_delay_alu instid0(VALU_DEP_4)
	v_pack_b32_f16 v4, v7, v8
	ds_store_b128 v74, v[1:4]
	s_waitcnt lgkmcnt(0)
	s_barrier
	buffer_gl0_inv
	ds_load_b128 v[1:4], v75
	ds_load_b128 v[5:8], v75 offset:16
	s_waitcnt lgkmcnt(1)
	v_lshrrev_b32_e32 v9, 16, v1
	s_waitcnt lgkmcnt(0)
	v_lshrrev_b32_e32 v13, 16, v5
	v_lshrrev_b32_e32 v10, 16, v2
	;; [unrolled: 1-line block ×4, first 2 shown]
	v_cndmask_b32_e32 v17, v1, v9, vcc_lo
	v_cndmask_b32_e32 v18, v5, v13, vcc_lo
	v_cndmask_b32_e64 v21, v1, v9, s4
	v_cmp_eq_u32_e32 vcc_lo, 1, v71
	v_cndmask_b32_e64 v22, v5, v13, s4
	v_cmp_eq_u32_e64 s4, 2, v70
	v_cndmask_b32_e64 v19, v1, v9, s3
	v_cndmask_b32_e64 v20, v5, v13, s3
	v_cndmask_b32_e32 v1, v1, v9, vcc_lo
	v_cmp_eq_u32_e64 s3, 2, v71
	v_cndmask_b32_e32 v5, v5, v13, vcc_lo
	v_cndmask_b32_e64 v9, v17, v2, s4
	v_cmp_eq_u32_e32 vcc_lo, 3, v70
	v_cndmask_b32_e64 v13, v18, v6, s4
	v_cmp_eq_u32_e64 s4, 2, v69
	v_cndmask_b32_e64 v17, v19, v2, s5
	v_cndmask_b32_e64 v18, v20, v6, s5
	v_cmp_eq_u32_e64 s5, 3, v69
	v_cndmask_b32_e64 v1, v1, v2, s3
	v_cndmask_b32_e64 v19, v21, v2, s4
	;; [unrolled: 1-line block ×4, first 2 shown]
	v_cndmask_b32_e32 v5, v9, v10, vcc_lo
	v_cndmask_b32_e32 v6, v13, v14, vcc_lo
	v_cmp_eq_u32_e32 vcc_lo, 3, v71
	v_cndmask_b32_e64 v9, v17, v10, s6
	v_cndmask_b32_e64 v13, v18, v14, s6
	;; [unrolled: 1-line block ×3, first 2 shown]
	v_cmp_eq_u32_e64 s4, 4, v70
	v_cndmask_b32_e32 v1, v1, v10, vcc_lo
	v_cndmask_b32_e32 v2, v2, v14, vcc_lo
	v_cmp_eq_u32_e32 vcc_lo, 4, v72
	v_lshrrev_b32_e32 v15, 16, v7
	v_lshrrev_b32_e32 v16, 16, v8
	v_cndmask_b32_e64 v17, v19, v10, s5
	v_cmp_eq_u32_e64 s3, 4, v71
	v_cndmask_b32_e64 v5, v5, v3, s4
	v_cndmask_b32_e64 v6, v6, v7, s4
	v_cndmask_b32_e32 v9, v9, v3, vcc_lo
	v_cmp_eq_u32_e64 s4, 5, v72
	v_cndmask_b32_e32 v10, v13, v7, vcc_lo
	v_cmp_eq_u32_e32 vcc_lo, 4, v69
	v_cmp_eq_u32_e64 s5, 5, v70
	v_cndmask_b32_e64 v2, v2, v7, s3
	v_cndmask_b32_e64 v9, v9, v11, s4
	;; [unrolled: 1-line block ×3, first 2 shown]
	v_cndmask_b32_e32 v13, v17, v3, vcc_lo
	v_cmp_eq_u32_e64 s4, 5, v69
	v_cndmask_b32_e32 v14, v18, v7, vcc_lo
	v_cndmask_b32_e64 v1, v1, v3, s3
	v_cmp_eq_u32_e32 vcc_lo, 5, v71
	v_lshrrev_b32_e32 v12, 16, v4
	v_cndmask_b32_e64 v13, v13, v11, s4
	v_cndmask_b32_e64 v3, v14, v15, s4
	v_cmp_eq_u32_e64 s4, 6, v71
	v_cndmask_b32_e32 v1, v1, v11, vcc_lo
	v_cndmask_b32_e64 v5, v5, v11, s5
	v_cmp_eq_u32_e64 s6, 6, v70
	v_cndmask_b32_e64 v6, v6, v15, s5
	v_cmp_eq_u32_e64 s5, 6, v72
	v_cmp_eq_u32_e64 s3, 6, v69
	v_cndmask_b32_e64 v1, v1, v4, s4
	v_cndmask_b32_e32 v2, v2, v15, vcc_lo
	v_cmp_eq_u32_e32 vcc_lo, 7, v71
	v_cndmask_b32_e64 v5, v5, v4, s6
	v_cndmask_b32_e64 v9, v9, v4, s5
	;; [unrolled: 1-line block ×3, first 2 shown]
	v_cmp_eq_u32_e64 s6, 7, v70
	v_cndmask_b32_e32 v1, v1, v12, vcc_lo
	v_cndmask_b32_e64 v7, v13, v4, s3
	v_cndmask_b32_e64 v3, v3, v8, s3
	v_cndmask_b32_e64 v2, v2, v8, s4
	v_cmp_eq_u32_e64 s3, 7, v69
	v_cndmask_b32_e64 v4, v10, v8, s5
	v_cndmask_b32_e64 v5, v5, v12, s6
	v_cndmask_b32_e64 v9, v9, v12, s7
	v_cndmask_b32_e32 v2, v2, v16, vcc_lo
	v_cndmask_b32_e64 v7, v7, v12, s3
	v_cndmask_b32_e64 v3, v3, v16, s3
	;; [unrolled: 1-line block ×4, first 2 shown]
	v_cmp_gt_u32_e32 vcc_lo, 32, v0
	v_perm_b32 v4, v2, v1, 0x5040100
	v_perm_b32 v3, v3, v7, 0x5040100
	;; [unrolled: 1-line block ×4, first 2 shown]
	s_and_b32 s2, vcc_lo, s2
	ds_store_b128 v74, v[1:4]
	s_waitcnt lgkmcnt(0)
	s_barrier
	buffer_gl0_inv
	s_and_saveexec_b32 s3, s2
	s_cbranch_execz .LBB783_2
; %bb.15:
	s_load_b64 s[0:1], s[0:1], 0x68
	v_lshlrev_b32_e32 v0, 10, v0
	s_lshl_b32 s4, s35, 6
	v_or_b32_e32 v3, s31, v66
	s_mul_i32 s2, s4, s34
	v_lshlrev_b32_e32 v1, 4, v67
	v_lshlrev_b32_e32 v2, 6, v66
	v_and_b32_e32 v0, 0x3800, v0
	s_mul_i32 s2, s2, s8
	v_mul_lo_u32 v8, v3, s4
	s_ashr_i32 s3, s2, 31
	s_delay_alu instid0(SALU_CYCLE_1)
	s_lshl_b64 s[2:3], s[2:3], 1
	v_or3_b32 v16, v0, v1, v2
	ds_load_b128 v[0:3], v16
	ds_load_b128 v[4:7], v16 offset:128
	v_ashrrev_i32_e32 v9, 31, v8
	s_waitcnt lgkmcnt(0)
	s_add_u32 s2, s0, s2
	s_addc_u32 s3, s1, s3
	s_lshl_b32 s0, s14, 6
	s_delay_alu instid0(SALU_CYCLE_1) | instskip(SKIP_2) | instid1(SALU_CYCLE_1)
	s_ashr_i32 s1, s0, 31
	v_lshlrev_b64 v[9:10], 1, v[8:9]
	s_lshl_b64 s[0:1], s[0:1], 1
	s_add_u32 s0, s2, s0
	s_addc_u32 s1, s3, s1
	s_lshl_b32 s2, s35, 7
	v_add_co_u32 v30, s0, s0, v65
	v_add_nc_u32_e32 v11, s2, v8
	v_add_co_ci_u32_e64 v31, null, s1, 0, s0
	s_delay_alu instid0(VALU_DEP_3) | instskip(NEXT) | instid1(VALU_DEP_3)
	v_add_co_u32 v9, vcc_lo, v30, v9
	v_add_nc_u32_e32 v8, s2, v11
	s_delay_alu instid0(VALU_DEP_3) | instskip(SKIP_1) | instid1(VALU_DEP_3)
	v_add_co_ci_u32_e32 v10, vcc_lo, v31, v10, vcc_lo
	v_ashrrev_i32_e32 v12, 31, v11
	v_add_nc_u32_e32 v13, s2, v8
	global_store_b128 v[9:10], v[0:3], off
	v_ashrrev_i32_e32 v9, 31, v8
	v_lshlrev_b64 v[11:12], 1, v[11:12]
	v_ashrrev_i32_e32 v14, 31, v13
	v_add_nc_u32_e32 v10, s2, v13
	s_delay_alu instid0(VALU_DEP_4) | instskip(NEXT) | instid1(VALU_DEP_4)
	v_lshlrev_b64 v[2:3], 1, v[8:9]
	v_add_co_u32 v0, vcc_lo, v30, v11
	s_delay_alu instid0(VALU_DEP_4)
	v_lshlrev_b64 v[8:9], 1, v[13:14]
	v_add_co_ci_u32_e32 v1, vcc_lo, v31, v12, vcc_lo
	v_ashrrev_i32_e32 v11, 31, v10
	v_add_co_u32 v22, vcc_lo, v30, v2
	v_add_nc_u32_e32 v20, s2, v10
	v_add_co_ci_u32_e32 v23, vcc_lo, v31, v3, vcc_lo
	v_add_co_u32 v24, vcc_lo, v30, v8
	global_store_b128 v[0:1], v[4:7], off
	v_add_co_ci_u32_e32 v25, vcc_lo, v31, v9, vcc_lo
	ds_load_b128 v[0:3], v16 offset:256
	ds_load_b128 v[4:7], v16 offset:384
	v_lshlrev_b64 v[26:27], 1, v[10:11]
	ds_load_b128 v[8:11], v16 offset:512
	ds_load_b128 v[12:15], v16 offset:640
	;; [unrolled: 1-line block ×3, first 2 shown]
	v_add_nc_u32_e32 v28, s2, v20
	v_ashrrev_i32_e32 v21, 31, v20
	v_add_co_u32 v26, vcc_lo, v30, v26
	s_delay_alu instid0(VALU_DEP_3) | instskip(NEXT) | instid1(VALU_DEP_3)
	v_ashrrev_i32_e32 v29, 31, v28
	v_lshlrev_b64 v[20:21], 1, v[20:21]
	v_add_co_ci_u32_e32 v27, vcc_lo, v31, v27, vcc_lo
	s_delay_alu instid0(VALU_DEP_3) | instskip(NEXT) | instid1(VALU_DEP_3)
	v_lshlrev_b64 v[28:29], 1, v[28:29]
	v_add_co_u32 v20, vcc_lo, v30, v20
	s_delay_alu instid0(VALU_DEP_4) | instskip(NEXT) | instid1(VALU_DEP_3)
	v_add_co_ci_u32_e32 v21, vcc_lo, v31, v21, vcc_lo
	v_add_co_u32 v28, vcc_lo, v30, v28
	s_delay_alu instid0(VALU_DEP_4)
	v_add_co_ci_u32_e32 v29, vcc_lo, v31, v29, vcc_lo
	s_waitcnt lgkmcnt(4)
	global_store_b128 v[22:23], v[0:3], off
	s_waitcnt lgkmcnt(3)
	global_store_b128 v[24:25], v[4:7], off
	;; [unrolled: 2-line block ×5, first 2 shown]
	s_nop 0
	s_sendmsg sendmsg(MSG_DEALLOC_VGPRS)
	s_endpgm
	.section	.rodata,"a",@progbits
	.p2align	6, 0x0
	.amdhsa_kernel _Z39paged_attention_ll4mi_QKV_mfma16_kernelIDF16_hLN4vllm18Fp8KVCacheDataTypeE1EhLi16ELi64ELi256ELb1ELi14EL8MFMAType1EEvPKT_PKT0_S8_ifPKiSA_SA_iPKfiiiPfSD_PS3_PT2_iSC_SC_
		.amdhsa_group_segment_fixed_size 17472
		.amdhsa_private_segment_fixed_size 0
		.amdhsa_kernarg_size 400
		.amdhsa_user_sgpr_count 13
		.amdhsa_user_sgpr_dispatch_ptr 0
		.amdhsa_user_sgpr_queue_ptr 0
		.amdhsa_user_sgpr_kernarg_segment_ptr 1
		.amdhsa_user_sgpr_dispatch_id 0
		.amdhsa_user_sgpr_private_segment_size 0
		.amdhsa_wavefront_size32 1
		.amdhsa_uses_dynamic_stack 0
		.amdhsa_enable_private_segment 0
		.amdhsa_system_sgpr_workgroup_id_x 1
		.amdhsa_system_sgpr_workgroup_id_y 1
		.amdhsa_system_sgpr_workgroup_id_z 1
		.amdhsa_system_sgpr_workgroup_info 0
		.amdhsa_system_vgpr_workitem_id 0
		.amdhsa_next_free_vgpr 146
		.amdhsa_next_free_sgpr 36
		.amdhsa_reserve_vcc 1
		.amdhsa_float_round_mode_32 0
		.amdhsa_float_round_mode_16_64 0
		.amdhsa_float_denorm_mode_32 3
		.amdhsa_float_denorm_mode_16_64 3
		.amdhsa_dx10_clamp 1
		.amdhsa_ieee_mode 1
		.amdhsa_fp16_overflow 0
		.amdhsa_workgroup_processor_mode 1
		.amdhsa_memory_ordered 1
		.amdhsa_forward_progress 0
		.amdhsa_shared_vgpr_count 0
		.amdhsa_exception_fp_ieee_invalid_op 0
		.amdhsa_exception_fp_denorm_src 0
		.amdhsa_exception_fp_ieee_div_zero 0
		.amdhsa_exception_fp_ieee_overflow 0
		.amdhsa_exception_fp_ieee_underflow 0
		.amdhsa_exception_fp_ieee_inexact 0
		.amdhsa_exception_int_div_zero 0
	.end_amdhsa_kernel
	.section	.text._Z39paged_attention_ll4mi_QKV_mfma16_kernelIDF16_hLN4vllm18Fp8KVCacheDataTypeE1EhLi16ELi64ELi256ELb1ELi14EL8MFMAType1EEvPKT_PKT0_S8_ifPKiSA_SA_iPKfiiiPfSD_PS3_PT2_iSC_SC_,"axG",@progbits,_Z39paged_attention_ll4mi_QKV_mfma16_kernelIDF16_hLN4vllm18Fp8KVCacheDataTypeE1EhLi16ELi64ELi256ELb1ELi14EL8MFMAType1EEvPKT_PKT0_S8_ifPKiSA_SA_iPKfiiiPfSD_PS3_PT2_iSC_SC_,comdat
.Lfunc_end783:
	.size	_Z39paged_attention_ll4mi_QKV_mfma16_kernelIDF16_hLN4vllm18Fp8KVCacheDataTypeE1EhLi16ELi64ELi256ELb1ELi14EL8MFMAType1EEvPKT_PKT0_S8_ifPKiSA_SA_iPKfiiiPfSD_PS3_PT2_iSC_SC_, .Lfunc_end783-_Z39paged_attention_ll4mi_QKV_mfma16_kernelIDF16_hLN4vllm18Fp8KVCacheDataTypeE1EhLi16ELi64ELi256ELb1ELi14EL8MFMAType1EEvPKT_PKT0_S8_ifPKiSA_SA_iPKfiiiPfSD_PS3_PT2_iSC_SC_
                                        ; -- End function
	.section	.AMDGPU.csdata,"",@progbits
; Kernel info:
; codeLenInByte = 6640
; NumSgprs: 38
; NumVgprs: 146
; ScratchSize: 0
; MemoryBound: 0
; FloatMode: 240
; IeeeMode: 1
; LDSByteSize: 17472 bytes/workgroup (compile time only)
; SGPRBlocks: 4
; VGPRBlocks: 18
; NumSGPRsForWavesPerEU: 38
; NumVGPRsForWavesPerEU: 146
; Occupancy: 9
; WaveLimiterHint : 1
; COMPUTE_PGM_RSRC2:SCRATCH_EN: 0
; COMPUTE_PGM_RSRC2:USER_SGPR: 13
; COMPUTE_PGM_RSRC2:TRAP_HANDLER: 0
; COMPUTE_PGM_RSRC2:TGID_X_EN: 1
; COMPUTE_PGM_RSRC2:TGID_Y_EN: 1
; COMPUTE_PGM_RSRC2:TGID_Z_EN: 1
; COMPUTE_PGM_RSRC2:TIDIG_COMP_CNT: 0
	.section	.text._Z39paged_attention_ll4mi_QKV_mfma16_kernelIDF16_hLN4vllm18Fp8KVCacheDataTypeE1EhLi16ELi64ELi256ELb1ELi15EL8MFMAType1EEvPKT_PKT0_S8_ifPKiSA_SA_iPKfiiiPfSD_PS3_PT2_iSC_SC_,"axG",@progbits,_Z39paged_attention_ll4mi_QKV_mfma16_kernelIDF16_hLN4vllm18Fp8KVCacheDataTypeE1EhLi16ELi64ELi256ELb1ELi15EL8MFMAType1EEvPKT_PKT0_S8_ifPKiSA_SA_iPKfiiiPfSD_PS3_PT2_iSC_SC_,comdat
	.protected	_Z39paged_attention_ll4mi_QKV_mfma16_kernelIDF16_hLN4vllm18Fp8KVCacheDataTypeE1EhLi16ELi64ELi256ELb1ELi15EL8MFMAType1EEvPKT_PKT0_S8_ifPKiSA_SA_iPKfiiiPfSD_PS3_PT2_iSC_SC_ ; -- Begin function _Z39paged_attention_ll4mi_QKV_mfma16_kernelIDF16_hLN4vllm18Fp8KVCacheDataTypeE1EhLi16ELi64ELi256ELb1ELi15EL8MFMAType1EEvPKT_PKT0_S8_ifPKiSA_SA_iPKfiiiPfSD_PS3_PT2_iSC_SC_
	.globl	_Z39paged_attention_ll4mi_QKV_mfma16_kernelIDF16_hLN4vllm18Fp8KVCacheDataTypeE1EhLi16ELi64ELi256ELb1ELi15EL8MFMAType1EEvPKT_PKT0_S8_ifPKiSA_SA_iPKfiiiPfSD_PS3_PT2_iSC_SC_
	.p2align	8
	.type	_Z39paged_attention_ll4mi_QKV_mfma16_kernelIDF16_hLN4vllm18Fp8KVCacheDataTypeE1EhLi16ELi64ELi256ELb1ELi15EL8MFMAType1EEvPKT_PKT0_S8_ifPKiSA_SA_iPKfiiiPfSD_PS3_PT2_iSC_SC_,@function
_Z39paged_attention_ll4mi_QKV_mfma16_kernelIDF16_hLN4vllm18Fp8KVCacheDataTypeE1EhLi16ELi64ELi256ELb1ELi15EL8MFMAType1EEvPKT_PKT0_S8_ifPKiSA_SA_iPKfiiiPfSD_PS3_PT2_iSC_SC_: ; @_Z39paged_attention_ll4mi_QKV_mfma16_kernelIDF16_hLN4vllm18Fp8KVCacheDataTypeE1EhLi16ELi64ELi256ELb1ELi15EL8MFMAType1EEvPKT_PKT0_S8_ifPKiSA_SA_iPKfiiiPfSD_PS3_PT2_iSC_SC_
; %bb.0:
	s_load_b64 s[2:3], s[0:1], 0x30
	s_mov_b32 s34, s13
	s_waitcnt lgkmcnt(0)
	s_cmp_lg_u64 s[2:3], 0
	s_cselect_b32 s6, -1, 0
	s_ashr_i32 s35, s13, 31
	s_cmp_eq_u64 s[2:3], 0
	s_cbranch_scc1 .LBB784_3
; %bb.1:
	s_lshl_b64 s[4:5], s[34:35], 2
	s_delay_alu instid0(SALU_CYCLE_1) | instskip(SKIP_4) | instid1(SALU_CYCLE_1)
	s_add_u32 s4, s2, s4
	s_addc_u32 s5, s3, s5
	s_load_b64 s[4:5], s[4:5], 0x0
	s_waitcnt lgkmcnt(0)
	s_sub_i32 s4, s5, s4
	s_cmp_eq_u32 s4, 1
	s_cselect_b32 s4, -1, 0
	s_delay_alu instid0(SALU_CYCLE_1)
	s_and_not1_b32 vcc_lo, exec_lo, s4
	s_cbranch_vccz .LBB784_4
.LBB784_2:
	s_nop 0
	s_sendmsg sendmsg(MSG_DEALLOC_VGPRS)
	s_endpgm
.LBB784_3:
.LBB784_4:
	s_load_b64 s[8:9], s[0:1], 0x28
	s_lshl_b64 s[4:5], s[34:35], 2
	s_waitcnt lgkmcnt(0)
	s_add_u32 s8, s8, s4
	s_addc_u32 s9, s9, s5
	s_lshl_b32 s16, s14, 8
	s_load_b32 s18, s[8:9], 0x0
	s_waitcnt lgkmcnt(0)
	s_cmp_ge_i32 s16, s18
	s_cbranch_scc1 .LBB784_2
; %bb.5:
	s_clause 0x1
	s_load_b128 s[8:11], s[0:1], 0x8
	s_load_b64 s[12:13], s[0:1], 0x20
	s_and_not1_b32 vcc_lo, exec_lo, s6
	s_cbranch_vccnz .LBB784_7
; %bb.6:
	s_add_u32 s2, s2, s4
	s_addc_u32 s3, s3, s5
	s_load_b32 s3, s[2:3], 0x0
	s_branch .LBB784_8
.LBB784_7:
	s_mov_b32 s3, s34
.LBB784_8:
	s_load_b128 s[4:7], s[0:1], 0x48
	v_lshrrev_b32_e32 v69, 5, v0
	v_bfe_u32 v66, v0, 4, 1
	v_and_b32_e32 v68, 15, v0
	v_and_b32_e32 v70, 31, v0
	;; [unrolled: 1-line block ×3, first 2 shown]
	s_mul_i32 s33, s15, 15
	v_lshl_or_b32 v1, v69, 1, v66
	v_lshlrev_b32_e32 v2, 3, v68
	v_cmp_gt_u32_e64 s2, 8, v68
	s_delay_alu instid0(VALU_DEP_3) | instskip(NEXT) | instid1(VALU_DEP_3)
	v_cmp_gt_u32_e32 vcc_lo, 15, v1
	v_lshlrev_b32_e32 v65, 1, v2
	s_delay_alu instid0(VALU_DEP_3)
	s_and_b32 s17, s2, vcc_lo
	s_waitcnt lgkmcnt(0)
	s_and_saveexec_b32 s7, s17
	s_cbranch_execz .LBB784_10
; %bb.9:
	s_load_b64 s[20:21], s[0:1], 0x0
	v_add_lshl_u32 v2, v1, s33, 6
	s_mul_hi_i32 s23, s3, s4
	s_mul_i32 s22, s3, s4
	v_lshlrev_b32_e32 v6, 10, v68
	s_lshl_b64 s[22:23], s[22:23], 1
	v_ashrrev_i32_e32 v3, 31, v2
	v_lshlrev_b32_e32 v1, 6, v1
	v_lshlrev_b32_e32 v7, 10, v67
	v_and_b32_e32 v6, 0x3800, v6
	s_delay_alu instid0(VALU_DEP_4) | instskip(NEXT) | instid1(VALU_DEP_2)
	v_lshlrev_b64 v[2:3], 1, v[2:3]
	v_or3_b32 v1, v6, v7, v1
	s_waitcnt lgkmcnt(0)
	s_add_u32 s3, s20, s22
	s_addc_u32 s4, s21, s23
	s_delay_alu instid0(VALU_DEP_2) | instskip(SKIP_1) | instid1(VALU_DEP_2)
	v_add_co_u32 v2, vcc_lo, s3, v2
	v_add_co_ci_u32_e32 v3, vcc_lo, s4, v3, vcc_lo
	v_add_co_u32 v2, vcc_lo, v2, v65
	s_delay_alu instid0(VALU_DEP_2)
	v_add_co_ci_u32_e32 v3, vcc_lo, 0, v3, vcc_lo
	global_load_b128 v[2:5], v[2:3], off
	s_waitcnt vmcnt(0)
	ds_store_b128 v1, v[2:5]
.LBB784_10:
	s_or_b32 exec_lo, exec_lo, s7
	v_and_b32_e32 v1, 0xef, v0
	s_add_i32 s3, s18, 15
	s_clause 0x1
	s_load_b32 s4, s[0:1], 0x38
	s_load_b32 s35, s[0:1], 0x98
	s_ashr_i32 s7, s3, 31
	v_add_nc_u32_e32 v1, s16, v1
	s_lshr_b32 s7, s7, 28
	s_load_b32 s19, s[0:1], 0x1c
	s_add_i32 s3, s3, s7
	s_waitcnt lgkmcnt(0)
	v_ashrrev_i32_e32 v2, 31, v1
	v_or_b32_e32 v3, 16, v1
	s_ashr_i32 s3, s3, 4
	v_cmp_gt_i32_e32 vcc_lo, s18, v1
	s_add_i32 s3, s3, -1
	v_lshrrev_b32_e32 v2, 28, v2
	s_barrier
	buffer_gl0_inv
	s_mul_i32 s15, s15, s6
	v_mbcnt_lo_u32_b32 v127, -1, 0
	v_add_nc_u32_e32 v4, v1, v2
	s_mul_i32 s20, s34, s4
	s_delay_alu instid0(SALU_CYCLE_1) | instskip(NEXT) | instid1(VALU_DEP_1)
	s_ashr_i32 s21, s20, 31
	v_ashrrev_i32_e32 v4, 4, v4
	v_add_nc_u32_e32 v2, v3, v2
	s_lshl_b64 s[20:21], s[20:21], 2
	v_xor_b32_e32 v128, 16, v127
	s_add_u32 s17, s12, s20
	v_cndmask_b32_e32 v1, s3, v4, vcc_lo
	v_ashrrev_i32_e32 v2, 4, v2
	v_cmp_gt_i32_e32 vcc_lo, s18, v3
	s_addc_u32 s13, s13, s21
	s_ashr_i32 s20, s15, 31
	s_add_u32 s4, s8, s15
	s_addc_u32 s12, s9, s20
	v_cndmask_b32_e32 v3, s3, v2, vcc_lo
	v_ashrrev_i32_e32 v2, 31, v1
	s_lshl_b32 s6, s14, 4
	s_delay_alu instid0(SALU_CYCLE_1) | instskip(NEXT) | instid1(VALU_DEP_2)
	s_ashr_i32 s7, s6, 31
	v_ashrrev_i32_e32 v4, 31, v3
	s_delay_alu instid0(VALU_DEP_2) | instskip(SKIP_1) | instid1(SALU_CYCLE_1)
	v_lshlrev_b64 v[1:2], 2, v[1:2]
	s_lshl_b64 s[6:7], s[6:7], 2
	s_add_u32 s6, s17, s6
	s_delay_alu instid0(VALU_DEP_2) | instskip(SKIP_1) | instid1(VALU_DEP_2)
	v_lshlrev_b64 v[3:4], 2, v[3:4]
	s_addc_u32 s7, s13, s7
	v_add_co_u32 v1, vcc_lo, s17, v1
	v_add_co_ci_u32_e32 v2, vcc_lo, s13, v2, vcc_lo
	s_delay_alu instid0(VALU_DEP_3) | instskip(NEXT) | instid1(VALU_DEP_4)
	v_add_co_u32 v3, vcc_lo, s17, v3
	v_add_co_ci_u32_e32 v4, vcc_lo, s13, v4, vcc_lo
	s_clause 0x1
	global_load_b32 v5, v[1:2], off
	global_load_b32 v7, v[3:4], off
	s_or_b32 s8, s16, 32
	v_lshlrev_b32_e32 v1, 4, v0
	s_ashr_i32 s9, s8, 4
	s_cmp_lt_i32 s8, s18
	v_cmp_ne_u32_e32 vcc_lo, 15, v68
	s_cselect_b32 s8, s9, s3
	v_and_b32_e32 v1, 0xf0, v1
	s_ashr_i32 s9, s8, 31
	s_delay_alu instid0(SALU_CYCLE_1)
	s_lshl_b64 s[8:9], s[8:9], 2
	v_cndmask_b32_e32 v103, 0, v68, vcc_lo
	s_add_u32 s8, s17, s8
	s_addc_u32 s9, s13, s9
	s_or_b32 s21, s16, 64
	v_add_co_u32 v1, s4, s4, v1
	s_ashr_i32 s22, s21, 4
	s_cmp_lt_i32 s21, s18
	v_add_co_ci_u32_e64 v2, null, s12, 0, s4
	s_cselect_b32 s22, s22, s3
	v_cmp_gt_i32_e32 vcc_lo, 32, v128
	s_ashr_i32 s23, s22, 31
	v_lshlrev_b32_e32 v115, 6, v103
	s_lshl_b64 s[22:23], s[22:23], 2
	v_cndmask_b32_e32 v136, v127, v128, vcc_lo
	s_add_u32 s22, s17, s22
	s_addc_u32 s23, s13, s23
	s_or_b32 s21, s16, 0x60
	s_delay_alu instid0(SALU_CYCLE_1) | instskip(SKIP_2) | instid1(SALU_CYCLE_1)
	s_ashr_i32 s24, s21, 4
	s_cmp_lt_i32 s21, s18
	s_cselect_b32 s24, s24, s3
	s_ashr_i32 s25, s24, 31
	s_delay_alu instid0(SALU_CYCLE_1) | instskip(NEXT) | instid1(SALU_CYCLE_1)
	s_lshl_b64 s[24:25], s[24:25], 2
	s_add_u32 s24, s17, s24
	s_addc_u32 s25, s13, s25
	s_or_b32 s21, s16, 0x80
	s_delay_alu instid0(SALU_CYCLE_1) | instskip(SKIP_2) | instid1(SALU_CYCLE_1)
	s_ashr_i32 s26, s21, 4
	s_cmp_lt_i32 s21, s18
	s_cselect_b32 s26, s26, s3
	s_ashr_i32 s27, s26, 31
	s_delay_alu instid0(SALU_CYCLE_1) | instskip(NEXT) | instid1(SALU_CYCLE_1)
	s_lshl_b64 s[26:27], s[26:27], 2
	s_add_u32 s26, s17, s26
	s_addc_u32 s27, s13, s27
	s_or_b32 s21, s16, 0xa0
	s_delay_alu instid0(SALU_CYCLE_1) | instskip(SKIP_2) | instid1(SALU_CYCLE_1)
	s_ashr_i32 s28, s21, 4
	s_cmp_lt_i32 s21, s18
	s_cselect_b32 s28, s28, s3
	s_ashr_i32 s29, s28, 31
	s_delay_alu instid0(SALU_CYCLE_1) | instskip(NEXT) | instid1(SALU_CYCLE_1)
	s_lshl_b64 s[28:29], s[28:29], 2
	s_add_u32 s28, s17, s28
	s_addc_u32 s29, s13, s29
	s_clause 0x5
	s_load_b32 s12, s[6:7], 0x0
	s_load_b32 s4, s[8:9], 0x0
	;; [unrolled: 1-line block ×6, first 2 shown]
	s_or_b32 s21, s16, 0xc0
	s_delay_alu instid0(SALU_CYCLE_1) | instskip(SKIP_2) | instid1(SALU_CYCLE_1)
	s_ashr_i32 s22, s21, 4
	s_cmp_lt_i32 s21, s18
	s_cselect_b32 s22, s22, s3
	s_ashr_i32 s23, s22, 31
	s_delay_alu instid0(SALU_CYCLE_1) | instskip(NEXT) | instid1(SALU_CYCLE_1)
	s_lshl_b64 s[22:23], s[22:23], 2
	s_add_u32 s22, s17, s22
	s_addc_u32 s23, s13, s23
	s_or_b32 s21, s16, 0xe0
	s_delay_alu instid0(SALU_CYCLE_1) | instskip(SKIP_2) | instid1(SALU_CYCLE_1)
	s_ashr_i32 s24, s21, 4
	s_cmp_lt_i32 s21, s18
	s_cselect_b32 s24, s24, s3
	s_ashr_i32 s25, s24, 31
	s_delay_alu instid0(SALU_CYCLE_1)
	s_lshl_b64 s[24:25], s[24:25], 2
	s_waitcnt vmcnt(1)
	v_mad_i64_i32 v[3:4], null, v5, s5, v[1:2]
	s_waitcnt vmcnt(0)
	v_mad_i64_i32 v[5:6], null, v7, s5, v[1:2]
	v_lshlrev_b32_e32 v1, 4, v68
	s_clause 0x7
	global_load_b128 v[71:74], v[3:4], off
	global_load_b128 v[75:78], v[3:4], off offset:256
	global_load_b128 v[79:82], v[5:6], off
	global_load_b128 v[83:86], v[5:6], off offset:256
	global_load_b128 v[87:90], v[3:4], off offset:512
	;; [unrolled: 1-line block ×5, first 2 shown]
	v_lshl_or_b32 v1, v69, 8, v1
	s_load_b32 s3, s[22:23], 0x0
	s_add_u32 s22, s17, s24
	s_addc_u32 s23, s13, s25
	s_add_u32 s10, s10, s15
	s_addc_u32 s11, s11, s20
	v_add_co_u32 v1, s10, s10, v1
	s_delay_alu instid0(VALU_DEP_1) | instskip(SKIP_2) | instid1(VALU_DEP_1)
	v_add_co_ci_u32_e64 v2, null, s11, 0, s10
	s_load_b32 s10, s[22:23], 0x0
	s_waitcnt lgkmcnt(0)
	v_mad_i64_i32 v[3:4], null, s12, s5, v[1:2]
	v_mad_i64_i32 v[9:10], null, s7, s5, v[1:2]
	;; [unrolled: 1-line block ×7, first 2 shown]
	s_clause 0x5
	global_load_b128 v[49:52], v[3:4], off
	global_load_b128 v[53:56], v[3:4], off offset:16
	global_load_b128 v[41:44], v[5:6], off
	global_load_b128 v[45:48], v[5:6], off offset:16
	global_load_b128 v[33:36], v[7:8], off
	global_load_b128 v[37:40], v[7:8], off offset:16
	s_mov_b32 s4, 0
	v_mad_i64_i32 v[61:62], null, s10, s5, v[1:2]
	s_clause 0x9
	global_load_b128 v[1:4], v[9:10], off
	global_load_b128 v[5:8], v[9:10], off offset:16
	global_load_b128 v[9:12], v[13:14], off
	global_load_b128 v[13:16], v[13:14], off offset:16
	;; [unrolled: 2-line block ×5, first 2 shown]
	s_mov_b32 s5, s4
	s_mov_b32 s6, s4
	;; [unrolled: 1-line block ×7, first 2 shown]
	v_and_b32_e32 v104, 0xe0, v0
	v_dual_mov_b32 v126, s11 :: v_dual_mov_b32 v125, s10
	v_dual_mov_b32 v124, s9 :: v_dual_mov_b32 v123, s8
	s_delay_alu instid0(VALU_DEP_3)
	v_add_nc_u32_e32 v111, s16, v104
	ds_load_b128 v[103:106], v115
	ds_load_b128 v[107:110], v115 offset:1024
	v_dual_mov_b32 v122, s7 :: v_dual_mov_b32 v121, s6
	v_mov_b32_e32 v120, s5
	v_or_b32_e32 v135, v111, v66
	ds_load_b128 v[111:114], v115 offset:2048
	ds_load_b128 v[115:118], v115 offset:3072
	v_mov_b32_e32 v119, s4
	s_waitcnt vmcnt(0) lgkmcnt(0)
	s_barrier
	v_or_b32_e32 v137, 2, v135
	v_or_b32_e32 v138, 4, v135
	;; [unrolled: 1-line block ×3, first 2 shown]
	v_cmp_gt_i32_e32 vcc_lo, s18, v135
	v_or_b32_e32 v140, 8, v135
	v_cmp_gt_i32_e64 s3, s18, v137
	v_or_b32_e32 v141, 10, v135
	v_cmp_gt_i32_e64 s4, s18, v138
	v_cmp_gt_i32_e64 s5, s18, v139
	v_or_b32_e32 v142, 12, v135
	v_or_b32_e32 v143, 14, v135
	v_cmp_gt_i32_e64 s6, s18, v140
	v_cmp_gt_i32_e64 s7, s18, v141
	v_or_b32_e32 v144, 16, v135
	v_or_b32_e32 v145, 18, v135
	v_cmp_gt_i32_e64 s8, s18, v142
	v_cmp_gt_i32_e64 s9, s18, v143
	buffer_gl0_inv
	v_cmp_gt_i32_e64 s10, s18, v144
	v_cmp_gt_i32_e64 s11, s18, v145
	v_wmma_f32_16x16x16_f16 v[127:134], v[71:78], v[103:110], v[119:126]
	v_wmma_f32_16x16x16_f16 v[119:126], v[79:86], v[103:110], v[119:126]
	v_or_b32_e32 v71, 20, v135
	v_or_b32_e32 v72, 22, v135
	s_delay_alu instid0(VALU_DEP_4)
	v_wmma_f32_16x16x16_f16 v[127:134], v[87:94], v[111:118], v[127:134]
	v_or_b32_e32 v73, 24, v135
	v_wmma_f32_16x16x16_f16 v[119:126], v[95:102], v[111:118], v[119:126]
	v_or_b32_e32 v74, 26, v135
	v_cmp_gt_i32_e64 s12, s18, v71
	v_dual_mul_f32 v83, s19, v128 :: v_dual_mul_f32 v84, s19, v127
	s_delay_alu instid0(VALU_DEP_4) | instskip(SKIP_1) | instid1(VALU_DEP_3)
	v_dual_mul_f32 v81, s19, v130 :: v_dual_mul_f32 v92, s19, v119
	v_mul_f32_e32 v82, s19, v129
	v_cndmask_b32_e64 v83, 0xff7fffff, v83, s3
	s_delay_alu instid0(VALU_DEP_4)
	v_cndmask_b32_e32 v84, 0xff7fffff, v84, vcc_lo
	v_dual_mul_f32 v79, s19, v132 :: v_dual_mul_f32 v90, s19, v121
	v_mul_f32_e32 v80, s19, v131
	v_cndmask_b32_e64 v82, 0xff7fffff, v82, s4
	v_cndmask_b32_e64 v81, 0xff7fffff, v81, s5
	v_max3_f32 v83, v84, 0xff7fffff, v83
	v_dual_mul_f32 v77, s19, v134 :: v_dual_mul_f32 v88, s19, v123
	v_mul_f32_e32 v78, s19, v133
	v_cndmask_b32_e64 v80, 0xff7fffff, v80, s6
	v_cndmask_b32_e64 v79, 0xff7fffff, v79, s7
	v_max3_f32 v81, v83, v82, v81
	v_mul_f32_e32 v91, s19, v120
	v_cndmask_b32_e64 v78, 0xff7fffff, v78, s8
	v_cndmask_b32_e64 v77, 0xff7fffff, v77, s9
	v_mul_f32_e32 v89, s19, v122
	v_max3_f32 v79, v81, v80, v79
	v_cndmask_b32_e64 v80, 0xff7fffff, v92, s10
	v_cndmask_b32_e64 v81, 0xff7fffff, v91, s11
	v_cmp_gt_i32_e64 s13, s18, v72
	v_or_b32_e32 v75, 28, v135
	v_max3_f32 v77, v79, v78, v77
	v_or_b32_e32 v76, 30, v135
	v_mul_f32_e32 v87, s19, v124
	v_cndmask_b32_e64 v71, 0xff7fffff, v90, s12
	v_cndmask_b32_e64 v72, 0xff7fffff, v89, s13
	v_max3_f32 v77, v77, v80, v81
	v_cmp_gt_i32_e64 s15, s18, v73
	v_cmp_gt_i32_e64 s16, s18, v74
	v_dual_mul_f32 v85, s19, v126 :: v_dual_mul_f32 v86, s19, v125
	s_delay_alu instid0(VALU_DEP_4) | instskip(NEXT) | instid1(VALU_DEP_4)
	v_max3_f32 v71, v77, v71, v72
	v_cndmask_b32_e64 v73, 0xff7fffff, v88, s15
	s_delay_alu instid0(VALU_DEP_4) | instskip(SKIP_2) | instid1(VALU_DEP_3)
	v_cndmask_b32_e64 v74, 0xff7fffff, v87, s16
	v_cmp_gt_i32_e64 s17, s18, v75
	v_cmp_gt_i32_e64 s18, s18, v76
	v_max3_f32 v71, v71, v73, v74
	s_delay_alu instid0(VALU_DEP_3) | instskip(NEXT) | instid1(VALU_DEP_3)
	v_cndmask_b32_e64 v72, 0xff7fffff, v86, s17
	v_cndmask_b32_e64 v75, 0xff7fffff, v85, s18
	v_lshlrev_b32_e32 v73, 2, v136
	s_delay_alu instid0(VALU_DEP_2) | instskip(SKIP_3) | instid1(VALU_DEP_1)
	v_max3_f32 v71, v71, v72, v75
	ds_bpermute_b32 v72, v73, v71
	s_waitcnt lgkmcnt(0)
	v_max_f32_e32 v72, v72, v72
	v_max_f32_e32 v71, v71, v72
	s_delay_alu instid0(VALU_DEP_1)
	v_fma_f32 v72, s19, v127, -v71
	v_fma_f32 v74, s19, v128, -v71
	;; [unrolled: 1-line block ×5, first 2 shown]
	v_mul_f32_e32 v72, 0x3fb8aa3b, v72
	v_mul_f32_e32 v74, 0x3fb8aa3b, v74
	v_fma_f32 v80, s19, v133, -v71
	s_delay_alu instid0(VALU_DEP_4) | instskip(NEXT) | instid1(VALU_DEP_4)
	v_dual_mul_f32 v76, 0x3fb8aa3b, v76 :: v_dual_mul_f32 v77, 0x3fb8aa3b, v77
	v_exp_f32_e32 v72, v72
	s_delay_alu instid0(VALU_DEP_3) | instskip(NEXT) | instid1(VALU_DEP_2)
	v_exp_f32_e32 v74, v74
	v_mul_f32_e32 v82, 0x3fb8aa3b, v80
	s_delay_alu instid0(VALU_DEP_2) | instskip(SKIP_1) | instid1(VALU_DEP_1)
	v_exp_f32_e32 v76, v76
	v_exp_f32_e32 v77, v77
	;; [unrolled: 1-line block ×3, first 2 shown]
	v_cndmask_b32_e32 v79, 0, v72, vcc_lo
	v_fma_f32 v72, s19, v132, -v71
	v_mul_f32_e32 v75, 0x3fb8aa3b, v75
	v_cndmask_b32_e64 v78, 0, v74, s3
	s_delay_alu instid0(TRANS32_DEP_3)
	v_cndmask_b32_e64 v80, 0, v76, s5
	v_add_f32_e32 v74, 0, v79
	v_mul_f32_e32 v72, 0x3fb8aa3b, v72
	v_exp_f32_e32 v75, v75
	v_cndmask_b32_e64 v83, 0, v77, s6
	v_cndmask_b32_e64 v85, 0, v84, s8
	v_add_f32_e32 v74, v74, v78
	v_exp_f32_e32 v72, v72
	v_cmp_gt_u32_e64 s3, 16, v70
	s_waitcnt_depctr 0xfff
	v_cndmask_b32_e64 v81, 0, v75, s4
	v_cndmask_b32_e64 v82, 0, v72, s7
	s_delay_alu instid0(VALU_DEP_2) | instskip(NEXT) | instid1(VALU_DEP_1)
	v_add_f32_e32 v74, v74, v81
	v_add_f32_e32 v74, v74, v80
	s_delay_alu instid0(VALU_DEP_1) | instskip(SKIP_4) | instid1(VALU_DEP_4)
	v_add_f32_e32 v72, v74, v83
	v_fma_f32 v75, s19, v134, -v71
	v_fma_f32 v76, s19, v119, -v71
	;; [unrolled: 1-line block ×4, first 2 shown]
	v_dual_add_f32 v72, v72, v82 :: v_dual_mul_f32 v75, 0x3fb8aa3b, v75
	s_delay_alu instid0(VALU_DEP_3) | instskip(SKIP_1) | instid1(VALU_DEP_3)
	v_dual_mul_f32 v76, 0x3fb8aa3b, v76 :: v_dual_mul_f32 v77, 0x3fb8aa3b, v77
	v_fma_f32 v86, s19, v122, -v71
	v_add_f32_e32 v72, v72, v85
	s_delay_alu instid0(VALU_DEP_4) | instskip(NEXT) | instid1(VALU_DEP_3)
	v_exp_f32_e32 v75, v75
	v_exp_f32_e32 v76, v76
	;; [unrolled: 1-line block ×3, first 2 shown]
	v_mul_f32_e32 v86, 0x3fb8aa3b, v86
	s_delay_alu instid0(VALU_DEP_1) | instskip(SKIP_3) | instid1(TRANS32_DEP_3)
	v_exp_f32_e32 v88, v86
	v_cndmask_b32_e64 v84, 0, v75, s9
	v_fma_f32 v75, s19, v123, -v71
	v_mul_f32_e32 v74, 0x3fb8aa3b, v74
	v_cndmask_b32_e64 v87, 0, v76, s10
	v_fma_f32 v76, s19, v124, -v71
	s_delay_alu instid0(VALU_DEP_4) | instskip(NEXT) | instid1(VALU_DEP_4)
	v_dual_add_f32 v72, v72, v84 :: v_dual_mul_f32 v75, 0x3fb8aa3b, v75
	v_exp_f32_e32 v74, v74
	v_cndmask_b32_e64 v86, 0, v77, s11
	v_fma_f32 v77, s19, v125, -v71
	s_delay_alu instid0(VALU_DEP_3) | instskip(SKIP_3) | instid1(VALU_DEP_3)
	v_add_f32_e32 v72, v72, v87
	v_mul_f32_e32 v76, 0x3fb8aa3b, v76
	v_exp_f32_e32 v75, v75
	v_cndmask_b32_e64 v88, 0, v88, s13
	v_add_f32_e32 v72, v72, v86
	s_delay_alu instid0(VALU_DEP_3) | instskip(NEXT) | instid1(TRANS32_DEP_3)
	v_exp_f32_e32 v76, v76
	v_cndmask_b32_e64 v89, 0, v74, s12
	v_mul_f32_e32 v74, 0x3fb8aa3b, v77
	v_fma_f32 v77, s19, v126, -v71
	s_delay_alu instid0(VALU_DEP_3) | instskip(NEXT) | instid1(VALU_DEP_3)
	v_add_f32_e32 v72, v72, v89
	v_exp_f32_e32 v74, v74
	s_delay_alu instid0(TRANS32_DEP_3) | instskip(NEXT) | instid1(VALU_DEP_3)
	v_cndmask_b32_e64 v91, 0, v75, s15
	v_mul_f32_e32 v75, 0x3fb8aa3b, v77
	s_delay_alu instid0(TRANS32_DEP_2) | instskip(SKIP_1) | instid1(VALU_DEP_3)
	v_cndmask_b32_e64 v90, 0, v76, s16
	v_add_f32_e32 v72, v72, v88
	v_exp_f32_e32 v75, v75
	s_delay_alu instid0(VALU_DEP_1) | instskip(NEXT) | instid1(TRANS32_DEP_2)
	v_add_f32_e32 v72, v72, v91
	v_cndmask_b32_e64 v93, 0, v74, s17
	s_delay_alu instid0(VALU_DEP_2) | instskip(SKIP_3) | instid1(VALU_DEP_1)
	v_add_f32_e32 v72, v72, v90
	s_waitcnt_depctr 0xfff
	v_cndmask_b32_e64 v92, 0, v75, s18
	v_add_f32_e32 v72, v72, v93
	v_add_f32_e32 v72, v72, v92
	ds_bpermute_b32 v73, v73, v72
	s_and_saveexec_b32 s4, s3
	s_cbranch_execz .LBB784_12
; %bb.11:
	v_mul_u32_u24_e32 v70, 0x44, v69
	s_waitcnt lgkmcnt(0)
	v_add_f32_e32 v72, v72, v73
	s_delay_alu instid0(VALU_DEP_2) | instskip(NEXT) | instid1(VALU_DEP_1)
	v_lshl_add_u32 v70, v68, 2, v70
	v_add_nc_u32_e32 v70, 0x4000, v70
	ds_store_2addr_b32 v70, v71, v72 offset1:136
.LBB784_12:
	s_or_b32 exec_lo, exec_lo, s4
	v_lshlrev_b32_e32 v70, 2, v68
	s_load_b32 s36, s[0:1], 0x94
	s_waitcnt lgkmcnt(0)
	s_barrier
	buffer_gl0_inv
	v_add_nc_u32_e32 v98, 0x4000, v70
	v_cmp_eq_u32_e32 vcc_lo, 1, v69
	v_cmp_eq_u32_e64 s4, 2, v69
	v_cmp_eq_u32_e64 s5, 3, v69
	;; [unrolled: 1-line block ×3, first 2 shown]
	ds_load_2addr_b32 v[70:71], v98 offset1:17
	ds_load_2addr_b32 v[72:73], v98 offset0:34 offset1:51
	ds_load_2addr_b32 v[74:75], v98 offset0:68 offset1:85
	;; [unrolled: 1-line block ×3, first 2 shown]
	v_cmp_eq_u32_e64 s7, 5, v69
	v_cmp_eq_u32_e64 s8, 7, v69
	s_waitcnt lgkmcnt(3)
	v_max3_f32 v76, v70, 0xff7fffff, v71
	s_waitcnt lgkmcnt(2)
	s_delay_alu instid0(VALU_DEP_1) | instskip(SKIP_1) | instid1(VALU_DEP_1)
	v_max3_f32 v76, v76, v72, v73
	s_waitcnt lgkmcnt(1)
	v_max3_f32 v76, v76, v74, v75
	s_waitcnt lgkmcnt(0)
	s_delay_alu instid0(VALU_DEP_1) | instskip(NEXT) | instid1(VALU_DEP_1)
	v_max3_f32 v76, v76, v94, v95
	v_sub_f32_e32 v77, v71, v76
	ds_load_2addr_b32 v[96:97], v98 offset0:136 offset1:153
	v_sub_f32_e32 v74, v74, v76
	v_sub_f32_e32 v70, v70, v76
	;; [unrolled: 1-line block ×3, first 2 shown]
	v_dual_sub_f32 v72, v72, v76 :: v_dual_mul_f32 v77, 0x3fb8aa3b, v77
	s_delay_alu instid0(VALU_DEP_4) | instskip(NEXT) | instid1(VALU_DEP_4)
	v_mul_f32_e32 v103, 0x3fb8aa3b, v74
	v_mul_f32_e32 v99, 0x3fb8aa3b, v70
	ds_load_2addr_b32 v[70:71], v98 offset0:170 offset1:187
	v_dual_mul_f32 v101, 0x3fb8aa3b, v72 :: v_dual_mul_f32 v94, 0x3fb8aa3b, v94
	v_exp_f32_e32 v102, v77
	v_exp_f32_e32 v99, v99
	s_delay_alu instid0(VALU_DEP_1) | instskip(NEXT) | instid1(VALU_DEP_1)
	v_exp_f32_e32 v101, v101
	v_exp_f32_e32 v94, v94
	s_waitcnt lgkmcnt(1)
	s_delay_alu instid0(TRANS32_DEP_3)
	v_fma_f32 v77, v99, v96, 0
	v_sub_f32_e32 v100, v73, v76
	ds_load_2addr_b32 v[72:73], v98 offset0:204 offset1:221
	v_fmac_f32_e32 v77, v102, v97
	v_exp_f32_e32 v97, v103
	s_waitcnt lgkmcnt(1)
	s_delay_alu instid0(VALU_DEP_1)
	v_dual_fmac_f32 v77, v101, v70 :: v_dual_sub_f32 v96, v75, v76
	ds_load_2addr_b32 v[74:75], v98 offset0:238 offset1:255
	v_sub_f32_e32 v70, v95, v76
	s_waitcnt lgkmcnt(0)
	s_barrier
	v_mul_f32_e32 v96, 0x3fb8aa3b, v96
	buffer_gl0_inv
	v_exp_f32_e32 v95, v96
	v_mul_f32_e32 v100, 0x3fb8aa3b, v100
	s_delay_alu instid0(VALU_DEP_1) | instskip(SKIP_3) | instid1(VALU_DEP_2)
	v_exp_f32_e32 v100, v100
	s_waitcnt_depctr 0xfff
	v_dual_fmac_f32 v77, v100, v71 :: v_dual_mul_f32 v70, 0x3fb8aa3b, v70
	v_cndmask_b32_e32 v71, v99, v102, vcc_lo
	v_fmac_f32_e32 v77, v97, v72
	s_delay_alu instid0(VALU_DEP_3) | instskip(NEXT) | instid1(VALU_DEP_1)
	v_exp_f32_e32 v96, v70
	v_fmac_f32_e32 v77, v95, v73
	s_delay_alu instid0(VALU_DEP_1) | instskip(SKIP_2) | instid1(VALU_DEP_1)
	v_fmac_f32_e32 v77, v94, v74
	s_waitcnt_depctr 0xfff
	v_fmac_f32_e32 v77, v96, v75
	v_add_f32_e32 v74, 0x358637bd, v77
	s_delay_alu instid0(VALU_DEP_1) | instskip(SKIP_1) | instid1(VALU_DEP_2)
	v_div_scale_f32 v98, null, v74, v74, 1.0
	v_div_scale_f32 v99, vcc_lo, 1.0, v74, 1.0
	v_rcp_f32_e32 v103, v98
	s_waitcnt_depctr 0xfff
	v_fma_f32 v70, -v98, v103, 1.0
	s_delay_alu instid0(VALU_DEP_1) | instskip(SKIP_2) | instid1(VALU_DEP_2)
	v_fmac_f32_e32 v103, v70, v103
	v_cndmask_b32_e64 v70, v71, v101, s4
	v_cmp_eq_u32_e64 s4, 6, v69
	v_cndmask_b32_e64 v71, v70, v100, s5
	s_delay_alu instid0(VALU_DEP_4) | instskip(NEXT) | instid1(VALU_DEP_2)
	v_dual_mul_f32 v101, v99, v103 :: v_dual_lshlrev_b32 v70, 2, v66
	v_cndmask_b32_e64 v71, v71, v97, s6
	s_delay_alu instid0(VALU_DEP_2) | instskip(NEXT) | instid1(VALU_DEP_3)
	v_or_b32_e32 v72, 1, v70
	v_fma_f32 v100, -v98, v101, v99
	v_cmp_eq_u32_e64 s5, 1, v70
	v_cmp_eq_u32_e64 s6, 2, v70
	v_cndmask_b32_e64 v95, v71, v95, s7
	v_or_b32_e32 v71, 3, v70
	v_fmac_f32_e32 v101, v100, v103
	v_cmp_eq_u32_e64 s10, 1, v72
	v_cmp_eq_u32_e64 s13, 2, v72
	v_cndmask_b32_e64 v94, v95, v94, s4
	v_cmp_eq_u32_e64 s12, 1, v71
	v_fma_f32 v97, -v98, v101, v99
	v_cmp_eq_u32_e64 s17, 2, v71
	v_cmp_eq_u32_e64 s15, 3, v72
	v_cndmask_b32_e64 v94, v94, v96, s8
	v_cmp_eq_u32_e64 s19, 3, v71
	v_div_fmas_f32 v95, v97, v103, v101
	v_cmp_eq_u32_e32 vcc_lo, 3, v70
	v_cmp_eq_u32_e64 s4, 4, v70
	v_cmp_eq_u32_e64 s20, 4, v72
	;; [unrolled: 1-line block ×3, first 2 shown]
	v_div_fixup_f32 v95, v95, v74, 1.0
	v_lshlrev_b32_e32 v73, 6, v68
	v_cmp_eq_u32_e64 s7, 5, v70
	v_cmp_eq_u32_e64 s21, 5, v72
	;; [unrolled: 1-line block ×3, first 2 shown]
	v_mul_f32_e32 v102, v94, v95
	v_lshl_or_b32 v75, v69, 11, v73
	v_or_b32_e32 v69, 2, v70
	v_cmp_eq_u32_e64 s26, 6, v72
	v_cmp_eq_u32_e64 s28, 6, v71
	v_fma_mixlo_f16 v94, v102, v79, 0
	v_fma_mixlo_f16 v95, v102, v81, 0
	;; [unrolled: 1-line block ×8, first 2 shown]
	v_lshl_or_b32 v74, v66, 4, v75
	v_fma_mixhi_f16 v94, v102, v78, 0
	v_fma_mixhi_f16 v95, v102, v80, 0
	;; [unrolled: 1-line block ×8, first 2 shown]
	ds_store_b128 v74, v[94:97]
	ds_store_b128 v74, v[98:101] offset:1024
	s_waitcnt lgkmcnt(0)
	s_barrier
	buffer_gl0_inv
	ds_load_b128 v[78:81], v75
	ds_load_b128 v[82:85], v75 offset:16
	ds_load_b128 v[86:89], v75 offset:1024
	;; [unrolled: 1-line block ×3, first 2 shown]
	v_cmp_eq_u32_e64 s11, 1, v69
	v_cmp_eq_u32_e64 s16, 2, v69
	;; [unrolled: 1-line block ×11, first 2 shown]
	s_waitcnt lgkmcnt(3)
	v_lshrrev_b32_e32 v94, 16, v78
	s_waitcnt lgkmcnt(2)
	v_lshrrev_b32_e32 v98, 16, v82
	;; [unrolled: 2-line block ×4, first 2 shown]
	v_lshrrev_b32_e32 v95, 16, v79
	v_cndmask_b32_e64 v110, v78, v94, s5
	v_cndmask_b32_e64 v111, v82, v98, s5
	;; [unrolled: 1-line block ×8, first 2 shown]
	v_lshrrev_b32_e32 v99, 16, v83
	v_cndmask_b32_e64 v94, v86, v102, s5
	v_cndmask_b32_e64 v98, v90, v106, s5
	;; [unrolled: 1-line block ×15, first 2 shown]
	v_lshrrev_b32_e32 v103, 16, v87
	v_lshrrev_b32_e32 v107, 16, v91
	v_cndmask_b32_e64 v113, v115, v83, s16
	v_cndmask_b32_e64 v82, v94, v87, s6
	v_cndmask_b32_e64 v83, v98, v91, s6
	v_cndmask_b32_e64 v94, v116, v87, s13
	v_cndmask_b32_e64 v98, v118, v87, s16
	v_cndmask_b32_e64 v86, v86, v87, s17
	v_cndmask_b32_e64 v87, v90, v91, s17
	v_cndmask_b32_e32 v90, v102, v95, vcc_lo
	v_cndmask_b32_e32 v102, v106, v99, vcc_lo
	v_cndmask_b32_e64 v106, v110, v95, s15
	v_cndmask_b32_e64 v110, v111, v99, s15
	;; [unrolled: 1-line block ×4, first 2 shown]
	v_lshrrev_b32_e32 v96, 16, v80
	v_lshrrev_b32_e32 v100, 16, v84
	v_cndmask_b32_e64 v111, v112, v95, s18
	v_cndmask_b32_e64 v112, v113, v99, s18
	v_cndmask_b32_e32 v82, v82, v103, vcc_lo
	v_cndmask_b32_e32 v83, v83, v107, vcc_lo
	v_cndmask_b32_e64 v94, v94, v103, s15
	v_cndmask_b32_e64 v90, v90, v80, s4
	;; [unrolled: 1-line block ×7, first 2 shown]
	v_lshrrev_b32_e32 v104, 16, v88
	v_cndmask_b32_e64 v106, v111, v80, s22
	v_cndmask_b32_e64 v110, v112, v84, s22
	;; [unrolled: 1-line block ×11, first 2 shown]
	v_lshrrev_b32_e32 v97, 16, v81
	v_lshrrev_b32_e32 v101, 16, v85
	v_cndmask_b32_e64 v99, v106, v96, s24
	v_cndmask_b32_e64 v102, v110, v100, s24
	;; [unrolled: 1-line block ×7, first 2 shown]
	v_lshrrev_b32_e32 v105, 16, v89
	v_cndmask_b32_e64 v80, v80, v104, s7
	v_cndmask_b32_e64 v84, v84, v81, s8
	v_cndmask_b32_e64 v90, v90, v85, s8
	v_cndmask_b32_e64 v96, v99, v81, s27
	v_cndmask_b32_e64 v99, v102, v85, s27
	v_cndmask_b32_e64 v81, v83, v89, s26
	v_cndmask_b32_e64 v85, v94, v97, s31
	v_cndmask_b32_e64 v78, v78, v97, s30
	v_cndmask_b32_e64 v79, v79, v101, s30
	v_cndmask_b32_e64 v95, v95, v101, s31
	v_cndmask_b32_e64 v80, v80, v89, s8
	v_cndmask_b32_e64 v83, v84, v97, s9
	v_cndmask_b32_e64 v84, v90, v101, s9
	v_cndmask_b32_e64 v90, v96, v97, s29
	v_cndmask_b32_e64 v94, v99, v101, s29
	v_cndmask_b32_e64 v97, v81, v105, s31
	v_perm_b32 v81, v79, v78, 0x5040100
	v_perm_b32 v79, v95, v85, 0x5040100
	v_cndmask_b32_e64 v78, v119, v91, s16
	v_cndmask_b32_e64 v85, v117, v91, s13
	;; [unrolled: 1-line block ×3, first 2 shown]
	v_perm_b32 v80, v94, v90, 0x5040100
	v_cndmask_b32_e64 v90, v98, v103, s18
	v_cndmask_b32_e64 v86, v86, v103, s19
	v_cndmask_b32_e64 v87, v87, v107, s19
	v_cndmask_b32_e64 v78, v78, v107, s18
	v_cndmask_b32_e64 v85, v85, v107, s15
	v_lshrrev_b32_e32 v108, 16, v92
	v_cndmask_b32_e64 v90, v90, v88, s22
	v_cndmask_b32_e64 v86, v86, v88, s23
	;; [unrolled: 1-line block ×11, first 2 shown]
	v_lshrrev_b32_e32 v109, 16, v93
	v_cndmask_b32_e64 v82, v82, v93, s8
	v_cndmask_b32_e64 v88, v88, v89, s27
	v_cndmask_b32_e64 v86, v86, v89, s28
	v_cndmask_b32_e64 v87, v87, v93, s28
	v_cndmask_b32_e64 v78, v78, v93, s27
	v_cndmask_b32_e64 v85, v85, v93, s26
	v_cndmask_b32_e64 v88, v88, v105, s29
	v_cndmask_b32_e64 v86, v86, v105, s30
	v_cndmask_b32_e64 v87, v87, v109, s30
	v_cndmask_b32_e64 v89, v78, v109, s29
	v_cndmask_b32_e64 v90, v85, v109, s31
	v_cndmask_b32_e64 v82, v82, v109, s9
	v_perm_b32 v78, v84, v83, 0x5040100
	v_perm_b32 v85, v87, v86, 0x5040100
	;; [unrolled: 1-line block ×5, first 2 shown]
	s_mul_i32 s9, s35, 15
	s_mov_b32 s4, exec_lo
	ds_store_b128 v74, v[78:81]
	ds_store_b128 v74, v[82:85] offset:1024
	v_cmpx_gt_u32_e32 15, v0
	s_cbranch_execz .LBB784_14
; %bb.13:
	s_mul_i32 s5, s9, s34
	s_load_b128 s[16:19], s[0:1], 0x58
	v_add3_u32 v68, s5, s33, v68
	s_delay_alu instid0(VALU_DEP_1) | instskip(NEXT) | instid1(VALU_DEP_1)
	v_mad_u64_u32 v[78:79], null, v68, s36, s[14:15]
	v_ashrrev_i32_e32 v79, 31, v78
	s_delay_alu instid0(VALU_DEP_1) | instskip(SKIP_1) | instid1(VALU_DEP_1)
	v_lshlrev_b64 v[78:79], 2, v[78:79]
	s_waitcnt lgkmcnt(0)
	v_add_co_u32 v80, vcc_lo, s18, v78
	s_delay_alu instid0(VALU_DEP_2)
	v_add_co_ci_u32_e32 v81, vcc_lo, s19, v79, vcc_lo
	v_add_co_u32 v78, vcc_lo, s16, v78
	v_add_co_ci_u32_e32 v79, vcc_lo, s17, v79, vcc_lo
	global_store_b32 v[80:81], v76, off
	global_store_b32 v[78:79], v77, off
.LBB784_14:
	s_or_b32 exec_lo, exec_lo, s4
	s_waitcnt lgkmcnt(0)
	s_waitcnt_vscnt null, 0x0
	s_barrier
	buffer_gl0_inv
	ds_load_b128 v[84:87], v73
	ds_load_b128 v[88:91], v73 offset:16
	ds_load_b128 v[96:99], v73 offset:2064
	ds_load_b128 v[92:95], v73 offset:2048
	ds_load_b128 v[104:107], v73 offset:4112
	ds_load_b128 v[100:103], v73 offset:4096
	v_cmp_eq_u32_e32 vcc_lo, 1, v70
	v_mov_b32_e32 v76, 0
	ds_load_b128 v[112:115], v73 offset:6160
	ds_load_b128 v[108:111], v73 offset:6144
	;; [unrolled: 1-line block ×4, first 2 shown]
	v_cmp_eq_u32_e64 s5, 1, v69
	v_cmp_eq_u32_e64 s4, 1, v72
	;; [unrolled: 1-line block ×3, first 2 shown]
	v_mov_b32_e32 v77, v76
	v_mov_b32_e32 v78, v76
	;; [unrolled: 1-line block ×7, first 2 shown]
	v_cmp_eq_u32_e64 s7, 3, v72
	v_cmp_eq_u32_e64 s8, 7, v72
	s_waitcnt lgkmcnt(8)
	s_delay_alu instid0(VALU_DEP_3)
	v_wmma_f32_16x16x16_f16 v[76:83], v[49:56], v[84:91], v[76:83]
	ds_load_b128 v[53:56], v73 offset:10256
	ds_load_b128 v[49:52], v73 offset:10240
	s_waitcnt lgkmcnt(8)
	v_wmma_f32_16x16x16_f16 v[76:83], v[41:48], v[92:99], v[76:83]
	ds_load_b128 v[45:48], v73 offset:12304
	ds_load_b128 v[41:44], v73 offset:12288
	s_waitcnt lgkmcnt(8)
	;; [unrolled: 4-line block ×3, first 2 shown]
	s_barrier
	buffer_gl0_inv
	v_wmma_f32_16x16x16_f16 v[76:83], v[1:8], v[108:115], v[76:83]
	s_delay_alu instid0(VALU_DEP_1) | instskip(NEXT) | instid1(VALU_DEP_1)
	v_wmma_f32_16x16x16_f16 v[76:83], v[9:16], v[116:123], v[76:83]
	v_wmma_f32_16x16x16_f16 v[76:83], v[17:24], v[49:56], v[76:83]
	s_delay_alu instid0(VALU_DEP_1) | instskip(NEXT) | instid1(VALU_DEP_1)
	v_wmma_f32_16x16x16_f16 v[76:83], v[25:32], v[41:48], v[76:83]
	v_wmma_f32_16x16x16_f16 v[76:83], v[57:64], v[33:40], v[76:83]
	s_delay_alu instid0(VALU_DEP_1) | instskip(NEXT) | instid1(VALU_DEP_2)
	v_cvt_f16_f32_e32 v1, v76
	v_cvt_f16_f32_e32 v2, v77
	s_delay_alu instid0(VALU_DEP_3) | instskip(NEXT) | instid1(VALU_DEP_4)
	v_cvt_f16_f32_e32 v3, v78
	v_cvt_f16_f32_e32 v4, v79
	;; [unrolled: 1-line block ×6, first 2 shown]
	v_pack_b32_f16 v1, v1, v2
	v_pack_b32_f16 v2, v3, v4
	;; [unrolled: 1-line block ×3, first 2 shown]
	s_delay_alu instid0(VALU_DEP_4)
	v_pack_b32_f16 v4, v7, v8
	ds_store_b128 v74, v[1:4]
	s_waitcnt lgkmcnt(0)
	s_barrier
	buffer_gl0_inv
	ds_load_b128 v[1:4], v75
	ds_load_b128 v[5:8], v75 offset:16
	s_waitcnt lgkmcnt(1)
	v_lshrrev_b32_e32 v9, 16, v1
	s_waitcnt lgkmcnt(0)
	v_lshrrev_b32_e32 v13, 16, v5
	v_lshrrev_b32_e32 v10, 16, v2
	v_lshrrev_b32_e32 v14, 16, v6
	v_lshrrev_b32_e32 v11, 16, v3
	v_cndmask_b32_e32 v17, v1, v9, vcc_lo
	v_cndmask_b32_e32 v18, v5, v13, vcc_lo
	v_cndmask_b32_e64 v21, v1, v9, s5
	v_cmp_eq_u32_e32 vcc_lo, 1, v71
	v_cndmask_b32_e64 v22, v5, v13, s5
	v_cmp_eq_u32_e64 s5, 2, v70
	v_cndmask_b32_e64 v19, v1, v9, s4
	v_cndmask_b32_e64 v20, v5, v13, s4
	v_cndmask_b32_e32 v1, v1, v9, vcc_lo
	v_cmp_eq_u32_e64 s4, 2, v71
	v_cndmask_b32_e32 v5, v5, v13, vcc_lo
	v_cndmask_b32_e64 v9, v17, v2, s5
	v_cmp_eq_u32_e32 vcc_lo, 3, v70
	v_cndmask_b32_e64 v13, v18, v6, s5
	v_cmp_eq_u32_e64 s5, 2, v69
	v_cndmask_b32_e64 v17, v19, v2, s6
	v_cndmask_b32_e64 v18, v20, v6, s6
	v_cmp_eq_u32_e64 s6, 3, v69
	v_cndmask_b32_e64 v1, v1, v2, s4
	v_cndmask_b32_e64 v19, v21, v2, s5
	;; [unrolled: 1-line block ×4, first 2 shown]
	v_cndmask_b32_e32 v5, v9, v10, vcc_lo
	v_cndmask_b32_e32 v6, v13, v14, vcc_lo
	v_cmp_eq_u32_e32 vcc_lo, 3, v71
	v_cndmask_b32_e64 v9, v17, v10, s7
	v_cndmask_b32_e64 v13, v18, v14, s7
	;; [unrolled: 1-line block ×3, first 2 shown]
	v_cmp_eq_u32_e64 s5, 4, v70
	v_cndmask_b32_e32 v1, v1, v10, vcc_lo
	v_cndmask_b32_e32 v2, v2, v14, vcc_lo
	v_cmp_eq_u32_e32 vcc_lo, 4, v72
	v_lshrrev_b32_e32 v15, 16, v7
	v_lshrrev_b32_e32 v16, 16, v8
	v_cndmask_b32_e64 v17, v19, v10, s6
	v_cmp_eq_u32_e64 s4, 4, v71
	v_cndmask_b32_e64 v5, v5, v3, s5
	v_cndmask_b32_e64 v6, v6, v7, s5
	v_cndmask_b32_e32 v9, v9, v3, vcc_lo
	v_cmp_eq_u32_e64 s5, 5, v72
	v_cndmask_b32_e32 v10, v13, v7, vcc_lo
	v_cmp_eq_u32_e32 vcc_lo, 4, v69
	v_cmp_eq_u32_e64 s6, 5, v70
	v_cndmask_b32_e64 v2, v2, v7, s4
	v_cndmask_b32_e64 v9, v9, v11, s5
	;; [unrolled: 1-line block ×3, first 2 shown]
	v_cndmask_b32_e32 v13, v17, v3, vcc_lo
	v_cmp_eq_u32_e64 s5, 5, v69
	v_cndmask_b32_e32 v14, v18, v7, vcc_lo
	v_cndmask_b32_e64 v1, v1, v3, s4
	v_cmp_eq_u32_e32 vcc_lo, 5, v71
	v_lshrrev_b32_e32 v12, 16, v4
	v_cndmask_b32_e64 v13, v13, v11, s5
	v_cndmask_b32_e64 v3, v14, v15, s5
	v_cmp_eq_u32_e64 s5, 6, v71
	v_cndmask_b32_e32 v1, v1, v11, vcc_lo
	v_cndmask_b32_e64 v5, v5, v11, s6
	v_cmp_eq_u32_e64 s7, 6, v70
	v_cndmask_b32_e64 v6, v6, v15, s6
	v_cmp_eq_u32_e64 s6, 6, v72
	v_cmp_eq_u32_e64 s4, 6, v69
	v_cndmask_b32_e64 v1, v1, v4, s5
	v_cndmask_b32_e32 v2, v2, v15, vcc_lo
	v_cmp_eq_u32_e32 vcc_lo, 7, v71
	v_cndmask_b32_e64 v5, v5, v4, s7
	v_cndmask_b32_e64 v9, v9, v4, s6
	;; [unrolled: 1-line block ×3, first 2 shown]
	v_cmp_eq_u32_e64 s7, 7, v70
	v_cndmask_b32_e32 v1, v1, v12, vcc_lo
	v_cndmask_b32_e64 v7, v13, v4, s4
	v_cndmask_b32_e64 v3, v3, v8, s4
	v_cndmask_b32_e64 v2, v2, v8, s5
	v_cmp_eq_u32_e64 s4, 7, v69
	v_cndmask_b32_e64 v4, v10, v8, s6
	v_cndmask_b32_e64 v5, v5, v12, s7
	;; [unrolled: 1-line block ×3, first 2 shown]
	v_cndmask_b32_e32 v2, v2, v16, vcc_lo
	v_cndmask_b32_e64 v7, v7, v12, s4
	v_cndmask_b32_e64 v3, v3, v16, s4
	;; [unrolled: 1-line block ×4, first 2 shown]
	v_cmp_gt_u32_e32 vcc_lo, 32, v0
	v_perm_b32 v4, v2, v1, 0x5040100
	v_perm_b32 v3, v3, v7, 0x5040100
	;; [unrolled: 1-line block ×4, first 2 shown]
	s_and_b32 s2, vcc_lo, s2
	ds_store_b128 v74, v[1:4]
	s_waitcnt lgkmcnt(0)
	s_barrier
	buffer_gl0_inv
	s_and_saveexec_b32 s4, s2
	s_cbranch_execz .LBB784_2
; %bb.15:
	s_load_b64 s[4:5], s[0:1], 0x68
	v_add_nc_u32_e32 v20, s33, v66
	v_lshlrev_b32_e32 v0, 10, v0
	v_lshlrev_b32_e32 v1, 4, v67
	s_lshl_b32 s0, s36, 6
	s_delay_alu instid0(SALU_CYCLE_1)
	s_mul_i32 s1, s0, s34
	v_add_nc_u32_e32 v2, 2, v20
	s_mul_i32 s6, s1, s9
	v_and_or_b32 v0, 0x3800, v0, v1
	v_mul_lo_u32 v1, v20, s0
	s_ashr_i32 s7, s6, 31
	v_mul_lo_u32 v11, v2, s0
	s_lshl_b64 s[6:7], s[6:7], 1
	v_add_nc_u32_e32 v3, 4, v20
	v_lshl_or_b32 v21, v66, 6, v0
	v_add_nc_u32_e32 v16, 6, v20
	v_ashrrev_i32_e32 v2, 31, v1
	s_delay_alu instid0(VALU_DEP_4)
	v_mul_lo_u32 v13, v3, s0
	s_waitcnt lgkmcnt(0)
	s_add_u32 s1, s4, s6
	s_addc_u32 s2, s5, s7
	s_lshl_b32 s4, s14, 6
	ds_load_b128 v[3:6], v21
	ds_load_b128 v[7:10], v21 offset:128
	s_ashr_i32 s5, s4, 31
	v_ashrrev_i32_e32 v12, 31, v11
	s_lshl_b64 s[4:5], s[4:5], 1
	v_lshlrev_b64 v[14:15], 1, v[1:2]
	s_add_u32 s1, s1, s4
	s_addc_u32 s2, s2, s5
	v_add_co_u32 v1, s1, s1, v65
	s_delay_alu instid0(VALU_DEP_1) | instskip(SKIP_1) | instid1(VALU_DEP_3)
	v_add_co_ci_u32_e64 v2, null, s2, 0, s1
	v_lshlrev_b64 v[11:12], 1, v[11:12]
	v_add_co_u32 v18, vcc_lo, v1, v14
	v_mul_lo_u32 v16, v16, s0
	s_delay_alu instid0(VALU_DEP_4) | instskip(NEXT) | instid1(VALU_DEP_4)
	v_add_co_ci_u32_e32 v19, vcc_lo, v2, v15, vcc_lo
	v_add_co_u32 v11, vcc_lo, v1, v11
	v_ashrrev_i32_e32 v14, 31, v13
	v_add_co_ci_u32_e32 v12, vcc_lo, v2, v12, vcc_lo
	v_add_nc_u32_e32 v15, 8, v20
	v_ashrrev_i32_e32 v17, 31, v16
	s_waitcnt lgkmcnt(1)
	global_store_b128 v[18:19], v[3:6], off
	v_lshlrev_b64 v[3:4], 1, v[13:14]
	s_waitcnt lgkmcnt(0)
	global_store_b128 v[11:12], v[7:10], off
	v_mul_lo_u32 v11, v15, s0
	v_add_nc_u32_e32 v7, 10, v20
	v_lshlrev_b64 v[5:6], 1, v[16:17]
	v_add_co_u32 v23, vcc_lo, v1, v3
	v_add_nc_u32_e32 v3, 12, v20
	s_delay_alu instid0(VALU_DEP_4)
	v_mul_lo_u32 v25, v7, s0
	v_ashrrev_i32_e32 v12, 31, v11
	v_add_co_ci_u32_e32 v24, vcc_lo, v2, v4, vcc_lo
	v_add_co_u32 v27, vcc_lo, v1, v5
	v_mul_lo_u32 v29, v3, s0
	v_add_co_ci_u32_e32 v28, vcc_lo, v2, v6, vcc_lo
	ds_load_b128 v[3:6], v21 offset:256
	ds_load_b128 v[7:10], v21 offset:384
	v_lshlrev_b64 v[31:32], 1, v[11:12]
	ds_load_b128 v[11:14], v21 offset:512
	ds_load_b128 v[15:18], v21 offset:640
	ds_load_b128 v[19:22], v21 offset:768
	v_ashrrev_i32_e32 v26, 31, v25
	v_ashrrev_i32_e32 v30, 31, v29
	v_add_co_u32 v31, vcc_lo, v1, v31
	s_delay_alu instid0(VALU_DEP_3) | instskip(NEXT) | instid1(VALU_DEP_3)
	v_lshlrev_b64 v[25:26], 1, v[25:26]
	v_lshlrev_b64 v[29:30], 1, v[29:30]
	v_add_co_ci_u32_e32 v32, vcc_lo, v2, v32, vcc_lo
	s_delay_alu instid0(VALU_DEP_3) | instskip(NEXT) | instid1(VALU_DEP_4)
	v_add_co_u32 v25, vcc_lo, v1, v25
	v_add_co_ci_u32_e32 v26, vcc_lo, v2, v26, vcc_lo
	s_delay_alu instid0(VALU_DEP_4)
	v_add_co_u32 v29, vcc_lo, v1, v29
	v_add_co_ci_u32_e32 v30, vcc_lo, v2, v30, vcc_lo
	s_waitcnt lgkmcnt(4)
	global_store_b128 v[23:24], v[3:6], off
	s_waitcnt lgkmcnt(3)
	global_store_b128 v[27:28], v[7:10], off
	;; [unrolled: 2-line block ×5, first 2 shown]
	s_and_b32 exec_lo, exec_lo, s3
	s_cbranch_execz .LBB784_2
; %bb.16:
	ds_load_b128 v[3:6], v0 offset:896
	s_add_i32 s1, s33, 14
	s_delay_alu instid0(SALU_CYCLE_1) | instskip(NEXT) | instid1(SALU_CYCLE_1)
	s_mul_i32 s0, s1, s0
	s_ashr_i32 s1, s0, 31
	s_delay_alu instid0(SALU_CYCLE_1) | instskip(NEXT) | instid1(SALU_CYCLE_1)
	s_lshl_b64 s[0:1], s[0:1], 1
	v_add_co_u32 v0, vcc_lo, v1, s0
	v_add_co_ci_u32_e32 v1, vcc_lo, s1, v2, vcc_lo
	s_waitcnt lgkmcnt(0)
	global_store_b128 v[0:1], v[3:6], off
	s_nop 0
	s_sendmsg sendmsg(MSG_DEALLOC_VGPRS)
	s_endpgm
	.section	.rodata,"a",@progbits
	.p2align	6, 0x0
	.amdhsa_kernel _Z39paged_attention_ll4mi_QKV_mfma16_kernelIDF16_hLN4vllm18Fp8KVCacheDataTypeE1EhLi16ELi64ELi256ELb1ELi15EL8MFMAType1EEvPKT_PKT0_S8_ifPKiSA_SA_iPKfiiiPfSD_PS3_PT2_iSC_SC_
		.amdhsa_group_segment_fixed_size 17472
		.amdhsa_private_segment_fixed_size 0
		.amdhsa_kernarg_size 400
		.amdhsa_user_sgpr_count 13
		.amdhsa_user_sgpr_dispatch_ptr 0
		.amdhsa_user_sgpr_queue_ptr 0
		.amdhsa_user_sgpr_kernarg_segment_ptr 1
		.amdhsa_user_sgpr_dispatch_id 0
		.amdhsa_user_sgpr_private_segment_size 0
		.amdhsa_wavefront_size32 1
		.amdhsa_uses_dynamic_stack 0
		.amdhsa_enable_private_segment 0
		.amdhsa_system_sgpr_workgroup_id_x 1
		.amdhsa_system_sgpr_workgroup_id_y 1
		.amdhsa_system_sgpr_workgroup_id_z 1
		.amdhsa_system_sgpr_workgroup_info 0
		.amdhsa_system_vgpr_workitem_id 0
		.amdhsa_next_free_vgpr 146
		.amdhsa_next_free_sgpr 37
		.amdhsa_reserve_vcc 1
		.amdhsa_float_round_mode_32 0
		.amdhsa_float_round_mode_16_64 0
		.amdhsa_float_denorm_mode_32 3
		.amdhsa_float_denorm_mode_16_64 3
		.amdhsa_dx10_clamp 1
		.amdhsa_ieee_mode 1
		.amdhsa_fp16_overflow 0
		.amdhsa_workgroup_processor_mode 1
		.amdhsa_memory_ordered 1
		.amdhsa_forward_progress 0
		.amdhsa_shared_vgpr_count 0
		.amdhsa_exception_fp_ieee_invalid_op 0
		.amdhsa_exception_fp_denorm_src 0
		.amdhsa_exception_fp_ieee_div_zero 0
		.amdhsa_exception_fp_ieee_overflow 0
		.amdhsa_exception_fp_ieee_underflow 0
		.amdhsa_exception_fp_ieee_inexact 0
		.amdhsa_exception_int_div_zero 0
	.end_amdhsa_kernel
	.section	.text._Z39paged_attention_ll4mi_QKV_mfma16_kernelIDF16_hLN4vllm18Fp8KVCacheDataTypeE1EhLi16ELi64ELi256ELb1ELi15EL8MFMAType1EEvPKT_PKT0_S8_ifPKiSA_SA_iPKfiiiPfSD_PS3_PT2_iSC_SC_,"axG",@progbits,_Z39paged_attention_ll4mi_QKV_mfma16_kernelIDF16_hLN4vllm18Fp8KVCacheDataTypeE1EhLi16ELi64ELi256ELb1ELi15EL8MFMAType1EEvPKT_PKT0_S8_ifPKiSA_SA_iPKfiiiPfSD_PS3_PT2_iSC_SC_,comdat
.Lfunc_end784:
	.size	_Z39paged_attention_ll4mi_QKV_mfma16_kernelIDF16_hLN4vllm18Fp8KVCacheDataTypeE1EhLi16ELi64ELi256ELb1ELi15EL8MFMAType1EEvPKT_PKT0_S8_ifPKiSA_SA_iPKfiiiPfSD_PS3_PT2_iSC_SC_, .Lfunc_end784-_Z39paged_attention_ll4mi_QKV_mfma16_kernelIDF16_hLN4vllm18Fp8KVCacheDataTypeE1EhLi16ELi64ELi256ELb1ELi15EL8MFMAType1EEvPKT_PKT0_S8_ifPKiSA_SA_iPKfiiiPfSD_PS3_PT2_iSC_SC_
                                        ; -- End function
	.section	.AMDGPU.csdata,"",@progbits
; Kernel info:
; codeLenInByte = 6752
; NumSgprs: 39
; NumVgprs: 146
; ScratchSize: 0
; MemoryBound: 0
; FloatMode: 240
; IeeeMode: 1
; LDSByteSize: 17472 bytes/workgroup (compile time only)
; SGPRBlocks: 4
; VGPRBlocks: 18
; NumSGPRsForWavesPerEU: 39
; NumVGPRsForWavesPerEU: 146
; Occupancy: 9
; WaveLimiterHint : 1
; COMPUTE_PGM_RSRC2:SCRATCH_EN: 0
; COMPUTE_PGM_RSRC2:USER_SGPR: 13
; COMPUTE_PGM_RSRC2:TRAP_HANDLER: 0
; COMPUTE_PGM_RSRC2:TGID_X_EN: 1
; COMPUTE_PGM_RSRC2:TGID_Y_EN: 1
; COMPUTE_PGM_RSRC2:TGID_Z_EN: 1
; COMPUTE_PGM_RSRC2:TIDIG_COMP_CNT: 0
	.section	.text._Z39paged_attention_ll4mi_QKV_mfma16_kernelIDF16_hLN4vllm18Fp8KVCacheDataTypeE1EhLi16ELi64ELi256ELb1ELi16EL8MFMAType1EEvPKT_PKT0_S8_ifPKiSA_SA_iPKfiiiPfSD_PS3_PT2_iSC_SC_,"axG",@progbits,_Z39paged_attention_ll4mi_QKV_mfma16_kernelIDF16_hLN4vllm18Fp8KVCacheDataTypeE1EhLi16ELi64ELi256ELb1ELi16EL8MFMAType1EEvPKT_PKT0_S8_ifPKiSA_SA_iPKfiiiPfSD_PS3_PT2_iSC_SC_,comdat
	.protected	_Z39paged_attention_ll4mi_QKV_mfma16_kernelIDF16_hLN4vllm18Fp8KVCacheDataTypeE1EhLi16ELi64ELi256ELb1ELi16EL8MFMAType1EEvPKT_PKT0_S8_ifPKiSA_SA_iPKfiiiPfSD_PS3_PT2_iSC_SC_ ; -- Begin function _Z39paged_attention_ll4mi_QKV_mfma16_kernelIDF16_hLN4vllm18Fp8KVCacheDataTypeE1EhLi16ELi64ELi256ELb1ELi16EL8MFMAType1EEvPKT_PKT0_S8_ifPKiSA_SA_iPKfiiiPfSD_PS3_PT2_iSC_SC_
	.globl	_Z39paged_attention_ll4mi_QKV_mfma16_kernelIDF16_hLN4vllm18Fp8KVCacheDataTypeE1EhLi16ELi64ELi256ELb1ELi16EL8MFMAType1EEvPKT_PKT0_S8_ifPKiSA_SA_iPKfiiiPfSD_PS3_PT2_iSC_SC_
	.p2align	8
	.type	_Z39paged_attention_ll4mi_QKV_mfma16_kernelIDF16_hLN4vllm18Fp8KVCacheDataTypeE1EhLi16ELi64ELi256ELb1ELi16EL8MFMAType1EEvPKT_PKT0_S8_ifPKiSA_SA_iPKfiiiPfSD_PS3_PT2_iSC_SC_,@function
_Z39paged_attention_ll4mi_QKV_mfma16_kernelIDF16_hLN4vllm18Fp8KVCacheDataTypeE1EhLi16ELi64ELi256ELb1ELi16EL8MFMAType1EEvPKT_PKT0_S8_ifPKiSA_SA_iPKfiiiPfSD_PS3_PT2_iSC_SC_: ; @_Z39paged_attention_ll4mi_QKV_mfma16_kernelIDF16_hLN4vllm18Fp8KVCacheDataTypeE1EhLi16ELi64ELi256ELb1ELi16EL8MFMAType1EEvPKT_PKT0_S8_ifPKiSA_SA_iPKfiiiPfSD_PS3_PT2_iSC_SC_
; %bb.0:
	s_load_b64 s[2:3], s[0:1], 0x30
	s_mov_b32 s34, s13
	s_waitcnt lgkmcnt(0)
	s_cmp_lg_u64 s[2:3], 0
	s_cselect_b32 s8, -1, 0
	s_ashr_i32 s35, s13, 31
	s_cmp_eq_u64 s[2:3], 0
	s_cbranch_scc1 .LBB785_3
; %bb.1:
	s_lshl_b64 s[4:5], s[34:35], 2
	s_delay_alu instid0(SALU_CYCLE_1) | instskip(SKIP_4) | instid1(SALU_CYCLE_1)
	s_add_u32 s4, s2, s4
	s_addc_u32 s5, s3, s5
	s_load_b64 s[4:5], s[4:5], 0x0
	s_waitcnt lgkmcnt(0)
	s_sub_i32 s4, s5, s4
	s_cmp_eq_u32 s4, 1
	s_cselect_b32 s4, -1, 0
	s_delay_alu instid0(SALU_CYCLE_1)
	s_and_not1_b32 vcc_lo, exec_lo, s4
	s_cbranch_vccz .LBB785_4
.LBB785_2:
	s_endpgm
.LBB785_3:
.LBB785_4:
	s_load_b64 s[4:5], s[0:1], 0x28
	s_lshl_b64 s[6:7], s[34:35], 2
	s_waitcnt lgkmcnt(0)
	s_add_u32 s4, s4, s6
	s_addc_u32 s5, s5, s7
	s_lshl_b32 s12, s14, 8
	s_load_b32 s24, s[4:5], 0x0
	s_waitcnt lgkmcnt(0)
	s_cmp_ge_i32 s12, s24
	s_cbranch_scc1 .LBB785_2
; %bb.5:
	s_clause 0x1
	s_load_b128 s[20:23], s[0:1], 0x8
	s_load_b64 s[4:5], s[0:1], 0x20
	s_and_not1_b32 vcc_lo, exec_lo, s8
	s_cbranch_vccnz .LBB785_7
; %bb.6:
	s_add_u32 s2, s2, s6
	s_addc_u32 s3, s3, s7
	s_load_b32 s3, s[2:3], 0x0
	s_branch .LBB785_8
.LBB785_7:
	s_mov_b32 s3, s34
.LBB785_8:
	s_load_b128 s[16:19], s[0:1], 0x48
	v_and_b32_e32 v70, 15, v0
	v_cmp_gt_u32_e32 vcc_lo, 0x100, v0
	v_lshrrev_b32_e32 v69, 5, v0
	v_and_b32_e32 v71, 31, v0
	v_and_b32_e32 v67, 1, v0
	v_lshlrev_b32_e32 v1, 3, v70
	v_cmp_gt_u32_e64 s2, 8, v70
	v_bfe_u32 v66, v0, 4, 1
	s_lshl_b32 s31, s15, 4
	s_delay_alu instid0(VALU_DEP_3) | instskip(NEXT) | instid1(VALU_DEP_3)
	v_lshlrev_b32_e32 v65, 1, v1
	s_and_b32 s7, vcc_lo, s2
	s_delay_alu instid0(SALU_CYCLE_1)
	s_and_saveexec_b32 s6, s7
	s_cbranch_execz .LBB785_10
; %bb.9:
	v_lshl_or_b32 v5, v69, 1, v66
	s_load_b64 s[8:9], s[0:1], 0x0
	s_waitcnt lgkmcnt(0)
	s_mul_hi_i32 s11, s3, s16
	s_mul_i32 s10, s3, s16
	v_lshlrev_b32_e32 v6, 10, v70
	v_or_b32_e32 v1, s31, v5
	s_lshl_b64 s[10:11], s[10:11], 1
	v_lshlrev_b32_e32 v5, 6, v5
	v_lshlrev_b32_e32 v7, 10, v67
	v_and_b32_e32 v6, 0x3800, v6
	v_lshlrev_b32_e32 v1, 6, v1
	s_delay_alu instid0(VALU_DEP_2) | instskip(NEXT) | instid1(VALU_DEP_2)
	v_or3_b32 v5, v6, v7, v5
	v_ashrrev_i32_e32 v2, 31, v1
	s_delay_alu instid0(VALU_DEP_1) | instskip(SKIP_2) | instid1(VALU_DEP_1)
	v_lshlrev_b64 v[1:2], 1, v[1:2]
	s_add_u32 s3, s8, s10
	s_addc_u32 s7, s9, s11
	v_add_co_u32 v1, vcc_lo, s3, v1
	s_delay_alu instid0(VALU_DEP_2) | instskip(NEXT) | instid1(VALU_DEP_2)
	v_add_co_ci_u32_e32 v2, vcc_lo, s7, v2, vcc_lo
	v_add_co_u32 v1, vcc_lo, v1, v65
	s_delay_alu instid0(VALU_DEP_2)
	v_add_co_ci_u32_e32 v2, vcc_lo, 0, v2, vcc_lo
	global_load_b128 v[1:4], v[1:2], off
	s_waitcnt vmcnt(0)
	ds_store_b128 v5, v[1:4]
.LBB785_10:
	s_or_b32 exec_lo, exec_lo, s6
	v_and_b32_e32 v1, 0xef, v0
	s_waitcnt lgkmcnt(0)
	s_add_i32 s3, s24, 15
	s_clause 0x1
	s_load_b32 s6, s[0:1], 0x38
	s_load_b32 s33, s[0:1], 0x98
	s_ashr_i32 s7, s3, 31
	v_add_nc_u32_e32 v1, s12, v1
	s_lshr_b32 s7, s7, 28
	s_load_b32 s19, s[0:1], 0x1c
	s_add_i32 s3, s3, s7
	s_waitcnt lgkmcnt(0)
	v_ashrrev_i32_e32 v2, 31, v1
	v_or_b32_e32 v3, 16, v1
	s_ashr_i32 s3, s3, 4
	v_cmp_gt_i32_e32 vcc_lo, s24, v1
	s_add_i32 s3, s3, -1
	v_lshrrev_b32_e32 v2, 28, v2
	s_barrier
	buffer_gl0_inv
	s_mul_i32 s27, s15, s18
	v_add_nc_u32_e32 v4, v1, v2
	s_mul_i32 s6, s34, s6
	s_delay_alu instid0(SALU_CYCLE_1) | instskip(NEXT) | instid1(VALU_DEP_1)
	s_ashr_i32 s7, s6, 31
	v_ashrrev_i32_e32 v4, 4, v4
	v_add_nc_u32_e32 v2, v3, v2
	s_lshl_b64 s[6:7], s[6:7], 2
	s_delay_alu instid0(SALU_CYCLE_1) | instskip(NEXT) | instid1(VALU_DEP_2)
	s_add_u32 s26, s4, s6
	v_cndmask_b32_e32 v1, s3, v4, vcc_lo
	s_delay_alu instid0(VALU_DEP_2)
	v_ashrrev_i32_e32 v2, 4, v2
	v_cmp_gt_i32_e32 vcc_lo, s24, v3
	s_addc_u32 s25, s5, s7
	s_ashr_i32 s28, s27, 31
	s_add_u32 s13, s20, s27
	s_addc_u32 s15, s21, s28
	v_cndmask_b32_e32 v3, s3, v2, vcc_lo
	v_ashrrev_i32_e32 v2, 31, v1
	s_lshl_b32 s4, s14, 4
	s_delay_alu instid0(SALU_CYCLE_1) | instskip(NEXT) | instid1(VALU_DEP_2)
	s_ashr_i32 s5, s4, 31
	v_ashrrev_i32_e32 v4, 31, v3
	s_delay_alu instid0(VALU_DEP_2) | instskip(SKIP_1) | instid1(SALU_CYCLE_1)
	v_lshlrev_b64 v[1:2], 2, v[1:2]
	s_lshl_b64 s[4:5], s[4:5], 2
	s_add_u32 s4, s26, s4
	s_delay_alu instid0(VALU_DEP_2) | instskip(SKIP_1) | instid1(VALU_DEP_2)
	v_lshlrev_b64 v[3:4], 2, v[3:4]
	s_addc_u32 s5, s25, s5
	v_add_co_u32 v1, vcc_lo, s26, v1
	v_add_co_ci_u32_e32 v2, vcc_lo, s25, v2, vcc_lo
	s_delay_alu instid0(VALU_DEP_3) | instskip(NEXT) | instid1(VALU_DEP_4)
	v_add_co_u32 v3, vcc_lo, s26, v3
	v_add_co_ci_u32_e32 v4, vcc_lo, s25, v4, vcc_lo
	s_clause 0x1
	global_load_b32 v5, v[1:2], off
	global_load_b32 v7, v[3:4], off
	s_or_b32 s6, s12, 32
	v_lshlrev_b32_e32 v1, 4, v0
	s_ashr_i32 s7, s6, 4
	s_cmp_lt_i32 s6, s24
	s_cselect_b32 s6, s7, s3
	s_delay_alu instid0(VALU_DEP_1) | instskip(SKIP_1) | instid1(SALU_CYCLE_1)
	v_and_b32_e32 v1, 0xf0, v1
	s_ashr_i32 s7, s6, 31
	s_lshl_b64 s[6:7], s[6:7], 2
	s_delay_alu instid0(SALU_CYCLE_1)
	s_add_u32 s6, s26, s6
	s_addc_u32 s7, s25, s7
	s_or_b32 s8, s12, 64
	v_add_co_u32 v1, s13, s13, v1
	s_ashr_i32 s9, s8, 4
	s_cmp_lt_i32 s8, s24
	v_add_co_ci_u32_e64 v2, null, s15, 0, s13
	s_cselect_b32 s8, s9, s3
	s_delay_alu instid0(SALU_CYCLE_1) | instskip(NEXT) | instid1(SALU_CYCLE_1)
	s_ashr_i32 s9, s8, 31
	s_lshl_b64 s[8:9], s[8:9], 2
	s_delay_alu instid0(SALU_CYCLE_1) | instskip(SKIP_2) | instid1(SALU_CYCLE_1)
	s_add_u32 s8, s26, s8
	s_addc_u32 s9, s25, s9
	s_or_b32 s10, s12, 0x60
	s_ashr_i32 s11, s10, 4
	s_cmp_lt_i32 s10, s24
	s_cselect_b32 s10, s11, s3
	s_delay_alu instid0(SALU_CYCLE_1) | instskip(NEXT) | instid1(SALU_CYCLE_1)
	s_ashr_i32 s11, s10, 31
	s_lshl_b64 s[10:11], s[10:11], 2
	s_delay_alu instid0(SALU_CYCLE_1) | instskip(SKIP_2) | instid1(SALU_CYCLE_1)
	s_add_u32 s10, s26, s10
	s_addc_u32 s11, s25, s11
	s_or_b32 s16, s12, 0x80
	s_ashr_i32 s18, s16, 4
	s_cmp_lt_i32 s16, s24
	;; [unrolled: 10-line block ×3, first 2 shown]
	s_cselect_b32 s20, s18, s3
	s_delay_alu instid0(SALU_CYCLE_1) | instskip(NEXT) | instid1(SALU_CYCLE_1)
	s_ashr_i32 s21, s20, 31
	s_lshl_b64 s[20:21], s[20:21], 2
	s_delay_alu instid0(SALU_CYCLE_1)
	s_add_u32 s38, s26, s20
	s_addc_u32 s39, s25, s21
	s_clause 0x5
	s_load_b32 s21, s[4:5], 0x0
	s_load_b32 s13, s[6:7], 0x0
	;; [unrolled: 1-line block ×6, first 2 shown]
	s_or_b32 s6, s12, 0xc0
	s_mov_b32 s4, 0
	s_ashr_i32 s7, s6, 4
	s_cmp_lt_i32 s6, s24
	s_mov_b32 s5, s4
	s_cselect_b32 s10, s7, s3
	s_mov_b32 s6, s4
	s_ashr_i32 s11, s10, 31
	s_mov_b32 s7, s4
	s_lshl_b64 s[10:11], s[10:11], 2
	s_mov_b32 s8, s4
	s_add_u32 s36, s26, s10
	s_addc_u32 s37, s25, s11
	s_or_b32 s11, s12, 0xe0
	s_mov_b32 s9, s4
	s_ashr_i32 s29, s11, 4
	s_cmp_lt_i32 s11, s24
	s_mov_b32 s11, s4
	s_cselect_b32 s38, s29, s3
	s_mov_b32 s10, s4
	s_ashr_i32 s39, s38, 31
	v_dual_mov_b32 v103, s11 :: v_dual_mov_b32 v96, s4
	v_dual_mov_b32 v101, s9 :: v_dual_lshlrev_b32 v68, 6, v70
	v_mov_b32_e32 v102, s10
	v_dual_mov_b32 v100, s8 :: v_dual_mov_b32 v99, s7
	v_dual_mov_b32 v98, s6 :: v_dual_mov_b32 v97, s5
	s_lshl_b64 s[4:5], s[38:39], 2
	s_delay_alu instid0(SALU_CYCLE_1)
	s_add_u32 s4, s26, s4
	s_addc_u32 s5, s25, s5
	s_add_u32 s6, s22, s27
	s_addc_u32 s7, s23, s28
	s_waitcnt vmcnt(1)
	v_mad_i64_i32 v[3:4], null, v5, s17, v[1:2]
	s_waitcnt vmcnt(0)
	v_mad_i64_i32 v[5:6], null, v7, s17, v[1:2]
	v_lshlrev_b32_e32 v1, 4, v70
	s_clause 0x7
	global_load_b128 v[57:60], v[3:4], off
	global_load_b128 v[61:64], v[3:4], off offset:256
	global_load_b128 v[72:75], v[5:6], off
	global_load_b128 v[76:79], v[5:6], off offset:256
	global_load_b128 v[80:83], v[3:4], off offset:512
	;; [unrolled: 1-line block ×5, first 2 shown]
	v_lshl_or_b32 v1, v69, 8, v1
	s_load_b32 s3, s[36:37], 0x0
	ds_load_b128 v[104:107], v68
	ds_load_b128 v[108:111], v68 offset:1024
	s_load_b32 s4, s[4:5], 0x0
	v_add_co_u32 v17, s6, s6, v1
	s_delay_alu instid0(VALU_DEP_1) | instskip(SKIP_1) | instid1(VALU_DEP_1)
	v_add_co_ci_u32_e64 v18, null, s7, 0, s6
	s_waitcnt lgkmcnt(0)
	v_mad_i64_i32 v[1:2], null, s21, s17, v[17:18]
	v_mad_i64_i32 v[3:4], null, s13, s17, v[17:18]
	;; [unrolled: 1-line block ×7, first 2 shown]
	s_clause 0x9
	global_load_b128 v[49:52], v[1:2], off
	global_load_b128 v[53:56], v[1:2], off offset:16
	global_load_b128 v[41:44], v[3:4], off
	global_load_b128 v[45:48], v[3:4], off offset:16
	;; [unrolled: 2-line block ×5, first 2 shown]
	v_mad_i64_i32 v[120:121], null, s4, s17, v[17:18]
	s_clause 0x3
	global_load_b128 v[17:20], v[21:22], off
	global_load_b128 v[21:24], v[21:22], off offset:16
	global_load_b128 v[25:28], v[29:30], off
	global_load_b128 v[29:32], v[29:30], off offset:16
	s_waitcnt vmcnt(20)
	v_wmma_f32_16x16x16_f16 v[112:119], v[57:64], v[104:111], v[96:103]
	s_clause 0x1
	global_load_b128 v[57:60], v[120:121], off
	global_load_b128 v[61:64], v[120:121], off offset:16
	s_waitcnt vmcnt(20)
	v_wmma_f32_16x16x16_f16 v[96:103], v[72:79], v[104:111], v[96:103]
	ds_load_b128 v[72:75], v68 offset:2048
	ds_load_b128 v[76:79], v68 offset:3072
	v_and_b32_e32 v104, 0xe0, v0
	v_mbcnt_lo_u32_b32 v105, -1, 0
	s_waitcnt vmcnt(0) lgkmcnt(0)
	s_barrier
	buffer_gl0_inv
	v_add_nc_u32_e32 v104, s12, v104
	v_xor_b32_e32 v106, 16, v105
	s_delay_alu instid0(VALU_DEP_2) | instskip(NEXT) | instid1(VALU_DEP_2)
	v_or_b32_e32 v104, v104, v66
	v_cmp_gt_i32_e32 vcc_lo, 32, v106
	s_delay_alu instid0(VALU_DEP_2)
	v_or_b32_e32 v107, 4, v104
	v_or_b32_e32 v108, 6, v104
	v_cmp_gt_i32_e64 s3, s24, v104
	v_or_b32_e32 v109, 8, v104
	v_wmma_f32_16x16x16_f16 v[112:119], v[80:87], v[72:79], v[112:119]
	v_cndmask_b32_e32 v105, v105, v106, vcc_lo
	v_or_b32_e32 v106, 2, v104
	v_wmma_f32_16x16x16_f16 v[96:103], v[88:95], v[72:79], v[96:103]
	v_or_b32_e32 v80, 10, v104
	v_dual_mul_f32 v90, s19, v112 :: v_dual_mul_f32 v89, s19, v113
	s_delay_alu instid0(VALU_DEP_4) | instskip(NEXT) | instid1(VALU_DEP_4)
	v_cmp_gt_i32_e32 vcc_lo, s24, v106
	v_dual_mul_f32 v94, s19, v100 :: v_dual_mul_f32 v77, s19, v117
	v_dual_mul_f32 v88, s19, v114 :: v_dual_mul_f32 v79, s19, v115
	v_mul_f32_e32 v92, s19, v102
	v_cndmask_b32_e64 v90, 0xff7fffff, v90, s3
	v_cndmask_b32_e32 v89, 0xff7fffff, v89, vcc_lo
	v_cmp_gt_i32_e64 s4, s24, v107
	v_cmp_gt_i32_e64 s5, s24, v108
	v_or_b32_e32 v81, 12, v104
	v_or_b32_e32 v82, 14, v104
	v_mul_f32_e32 v78, s19, v116
	v_cndmask_b32_e64 v88, 0xff7fffff, v88, s4
	v_cndmask_b32_e64 v79, 0xff7fffff, v79, s5
	v_max3_f32 v89, v90, 0xff7fffff, v89
	v_cmp_gt_i32_e64 s6, s24, v109
	v_cmp_gt_i32_e64 s7, s24, v80
	v_or_b32_e32 v83, 16, v104
	v_or_b32_e32 v84, 18, v104
	v_dual_mul_f32 v75, s19, v119 :: v_dual_mul_f32 v76, s19, v118
	v_cndmask_b32_e64 v78, 0xff7fffff, v78, s6
	v_cndmask_b32_e64 v77, 0xff7fffff, v77, s7
	v_max3_f32 v79, v89, v88, v79
	v_cmp_gt_i32_e64 s8, s24, v81
	v_cmp_gt_i32_e64 s9, s24, v82
	v_or_b32_e32 v85, 20, v104
	v_or_b32_e32 v86, 22, v104
	;; [unrolled: 1-line block ×6, first 2 shown]
	v_dual_mul_f32 v95, s19, v99 :: v_dual_mul_f32 v104, s19, v97
	v_mul_f32_e32 v107, s19, v96
	v_cndmask_b32_e64 v76, 0xff7fffff, v76, s8
	v_cndmask_b32_e64 v75, 0xff7fffff, v75, s9
	v_max3_f32 v77, v79, v78, v77
	v_cmp_gt_i32_e64 s10, s24, v83
	v_cmp_gt_i32_e64 s11, s24, v84
	v_dual_mul_f32 v91, s19, v103 :: v_dual_mul_f32 v106, s19, v98
	s_delay_alu instid0(VALU_DEP_4) | instskip(NEXT) | instid1(VALU_DEP_4)
	v_max3_f32 v75, v77, v76, v75
	v_cndmask_b32_e64 v78, 0xff7fffff, v107, s10
	s_delay_alu instid0(VALU_DEP_4)
	v_cndmask_b32_e64 v79, 0xff7fffff, v104, s11
	v_cmp_gt_i32_e64 s12, s24, v85
	v_cmp_gt_i32_e64 s13, s24, v86
	v_mul_f32_e32 v93, s19, v101
	v_cmp_gt_i32_e64 s15, s24, v87
	v_max3_f32 v75, v75, v78, v79
	v_cndmask_b32_e64 v76, 0xff7fffff, v106, s12
	v_cndmask_b32_e64 v77, 0xff7fffff, v95, s13
	v_cmp_gt_i32_e64 s16, s24, v72
	v_cndmask_b32_e64 v78, 0xff7fffff, v94, s15
	v_cmp_gt_i32_e64 s17, s24, v73
	v_cmp_gt_i32_e64 s18, s24, v74
	v_max3_f32 v75, v75, v76, v77
	v_cndmask_b32_e64 v72, 0xff7fffff, v93, s16
	s_delay_alu instid0(VALU_DEP_4) | instskip(NEXT) | instid1(VALU_DEP_4)
	v_cndmask_b32_e64 v73, 0xff7fffff, v92, s17
	v_cndmask_b32_e64 v74, 0xff7fffff, v91, s18
	s_delay_alu instid0(VALU_DEP_3) | instskip(SKIP_1) | instid1(VALU_DEP_2)
	v_max3_f32 v72, v75, v78, v72
	v_lshlrev_b32_e32 v75, 2, v105
	v_max3_f32 v72, v72, v73, v74
	ds_bpermute_b32 v73, v75, v72
	s_waitcnt lgkmcnt(0)
	v_max_f32_e32 v73, v73, v73
	s_delay_alu instid0(VALU_DEP_1) | instskip(NEXT) | instid1(VALU_DEP_1)
	v_max_f32_e32 v72, v72, v73
	v_fma_f32 v76, s19, v114, -v72
	v_fma_f32 v73, s19, v112, -v72
	;; [unrolled: 1-line block ×5, first 2 shown]
	v_mul_f32_e32 v76, 0x3fb8aa3b, v76
	v_fma_f32 v82, s19, v118, -v72
	s_delay_alu instid0(VALU_DEP_4) | instskip(SKIP_1) | instid1(VALU_DEP_4)
	v_dual_mul_f32 v79, 0x3fb8aa3b, v79 :: v_dual_mul_f32 v74, 0x3fb8aa3b, v74
	v_fma_f32 v86, s19, v99, -v72
	v_exp_f32_e32 v76, v76
	s_delay_alu instid0(VALU_DEP_3) | instskip(NEXT) | instid1(VALU_DEP_3)
	v_mul_f32_e32 v82, 0x3fb8aa3b, v82
	v_exp_f32_e32 v83, v79
	v_exp_f32_e32 v74, v74
	v_mul_f32_e32 v88, 0x3fb8aa3b, v86
	v_fma_f32 v91, s19, v103, -v72
	v_exp_f32_e32 v84, v82
	v_fma_f32 v89, s19, v101, -v72
	s_delay_alu instid0(VALU_DEP_3)
	v_exp_f32_e32 v90, v88
	v_cndmask_b32_e64 v80, 0, v76, s4
	v_mul_f32_e32 v73, 0x3fb8aa3b, v73
	v_fma_f32 v76, s19, v119, -v72
	v_mul_f32_e32 v77, 0x3fb8aa3b, v77
	v_cndmask_b32_e64 v82, 0, v83, s6
	v_fma_f32 v83, s19, v97, -v72
	v_exp_f32_e32 v73, v73
	v_mul_f32_e32 v76, 0x3fb8aa3b, v76
	v_exp_f32_e32 v81, v77
	v_cndmask_b32_e64 v84, 0, v84, s8
	v_mul_f32_e32 v83, 0x3fb8aa3b, v83
	v_mul_f32_e32 v89, 0x3fb8aa3b, v89
	v_exp_f32_e32 v76, v76
	s_delay_alu instid0(VALU_DEP_2) | instskip(SKIP_2) | instid1(TRANS32_DEP_3)
	v_exp_f32_e32 v87, v83
	v_cndmask_b32_e64 v78, 0, v73, s3
	v_fma_f32 v73, s19, v117, -v72
	v_cndmask_b32_e64 v79, 0, v81, s5
	v_cndmask_b32_e32 v77, 0, v74, vcc_lo
	v_fma_f32 v81, s19, v96, -v72
	s_delay_alu instid0(VALU_DEP_4) | instskip(NEXT) | instid1(TRANS32_DEP_2)
	v_dual_add_f32 v74, 0, v78 :: v_dual_mul_f32 v73, 0x3fb8aa3b, v73
	v_cndmask_b32_e64 v83, 0, v76, s9
	v_fma_f32 v76, s19, v100, -v72
	s_delay_alu instid0(VALU_DEP_4) | instskip(NEXT) | instid1(VALU_DEP_4)
	v_mul_f32_e32 v85, 0x3fb8aa3b, v81
	v_add_f32_e32 v74, v74, v77
	v_exp_f32_e32 v73, v73
	v_exp_f32_e32 v89, v89
	v_mul_f32_e32 v76, 0x3fb8aa3b, v76
	v_exp_f32_e32 v85, v85
	v_add_f32_e32 v74, v74, v80
	s_mov_b32 s3, exec_lo
	s_delay_alu instid0(VALU_DEP_2) | instskip(NEXT) | instid1(VALU_DEP_1)
	v_exp_f32_e32 v76, v76
	v_add_f32_e32 v74, v74, v79
	v_cndmask_b32_e64 v81, 0, v73, s7
	s_delay_alu instid0(TRANS32_DEP_3)
	v_cndmask_b32_e64 v89, 0, v89, s16
	s_waitcnt_depctr 0xfff
	v_cndmask_b32_e64 v86, 0, v85, s10
	v_cndmask_b32_e64 v85, 0, v87, s11
	v_fma_f32 v87, s19, v102, -v72
	v_add_f32_e32 v73, v74, v82
	v_fma_f32 v74, s19, v98, -v72
	s_delay_alu instid0(VALU_DEP_1) | instskip(NEXT) | instid1(VALU_DEP_1)
	v_mul_f32_e32 v74, 0x3fb8aa3b, v74
	v_exp_f32_e32 v74, v74
	s_waitcnt_depctr 0xfff
	v_cndmask_b32_e64 v88, 0, v74, s12
	v_dual_mul_f32 v74, 0x3fb8aa3b, v87 :: v_dual_add_f32 v73, v73, v81
	v_cndmask_b32_e64 v87, 0, v90, s13
	v_cndmask_b32_e64 v90, 0, v76, s15
	v_mul_f32_e32 v76, 0x3fb8aa3b, v91
	s_delay_alu instid0(VALU_DEP_4) | instskip(SKIP_1) | instid1(VALU_DEP_2)
	v_exp_f32_e32 v74, v74
	v_add_f32_e32 v73, v73, v84
	v_exp_f32_e32 v76, v76
	s_delay_alu instid0(VALU_DEP_1) | instskip(SKIP_4) | instid1(VALU_DEP_2)
	v_add_f32_e32 v73, v73, v83
	s_waitcnt_depctr 0xfff
	v_cndmask_b32_e64 v92, 0, v74, s17
	v_add_f32_e32 v73, v73, v86
	v_cndmask_b32_e64 v91, 0, v76, s18
	v_add_f32_e32 v73, v73, v85
	s_delay_alu instid0(VALU_DEP_1) | instskip(NEXT) | instid1(VALU_DEP_1)
	v_add_f32_e32 v73, v73, v88
	v_add_f32_e32 v73, v73, v87
	s_delay_alu instid0(VALU_DEP_1) | instskip(NEXT) | instid1(VALU_DEP_1)
	v_add_f32_e32 v73, v73, v90
	;; [unrolled: 3-line block ×3, first 2 shown]
	v_add_f32_e32 v73, v73, v91
	ds_bpermute_b32 v74, v75, v73
	v_cmpx_gt_u32_e32 16, v71
	s_cbranch_execz .LBB785_12
; %bb.11:
	v_mul_u32_u24_e32 v71, 0x44, v69
	s_waitcnt lgkmcnt(0)
	v_add_f32_e32 v73, v73, v74
	s_delay_alu instid0(VALU_DEP_2) | instskip(NEXT) | instid1(VALU_DEP_1)
	v_lshl_add_u32 v71, v70, 2, v71
	v_add_nc_u32_e32 v71, 0x4000, v71
	ds_store_2addr_b32 v71, v72, v73 offset1:136
.LBB785_12:
	s_or_b32 exec_lo, exec_lo, s3
	v_lshlrev_b32_e32 v70, 2, v70
	s_load_b32 s35, s[0:1], 0x94
	s_waitcnt lgkmcnt(0)
	s_barrier
	buffer_gl0_inv
	v_add_nc_u32_e32 v74, 0x4000, v70
	v_cmp_eq_u32_e32 vcc_lo, 1, v69
	v_cmp_eq_u32_e64 s3, 2, v69
	v_cmp_eq_u32_e64 s4, 3, v69
	;; [unrolled: 1-line block ×3, first 2 shown]
	ds_load_2addr_b32 v[70:71], v74 offset1:17
	ds_load_2addr_b32 v[72:73], v74 offset0:34 offset1:51
	ds_load_2addr_b32 v[93:94], v74 offset0:68 offset1:85
	;; [unrolled: 1-line block ×3, first 2 shown]
	v_cmp_eq_u32_e64 s6, 7, v69
	s_waitcnt lgkmcnt(3)
	v_max3_f32 v75, v70, 0xff7fffff, v71
	s_waitcnt lgkmcnt(2)
	s_delay_alu instid0(VALU_DEP_1) | instskip(SKIP_1) | instid1(VALU_DEP_1)
	v_max3_f32 v75, v75, v72, v73
	s_waitcnt lgkmcnt(1)
	v_max3_f32 v75, v75, v93, v94
	s_waitcnt lgkmcnt(0)
	s_delay_alu instid0(VALU_DEP_1) | instskip(NEXT) | instid1(VALU_DEP_1)
	v_max3_f32 v75, v75, v95, v96
	v_sub_f32_e32 v93, v93, v75
	ds_load_2addr_b32 v[97:98], v74 offset0:136 offset1:153
	v_sub_f32_e32 v70, v70, v75
	v_dual_sub_f32 v100, v73, v75 :: v_dual_mul_f32 v103, 0x3fb8aa3b, v93
	s_delay_alu instid0(VALU_DEP_2) | instskip(SKIP_3) | instid1(VALU_DEP_1)
	v_dual_sub_f32 v76, v71, v75 :: v_dual_mul_f32 v99, 0x3fb8aa3b, v70
	ds_load_2addr_b32 v[70:71], v74 offset0:170 offset1:187
	v_mul_f32_e32 v76, 0x3fb8aa3b, v76
	v_exp_f32_e32 v99, v99
	v_exp_f32_e32 v102, v76
	v_mul_f32_e32 v100, 0x3fb8aa3b, v100
	s_waitcnt lgkmcnt(1)
	s_waitcnt_depctr 0xfff
	v_fma_f32 v76, v99, v97, 0
	v_sub_f32_e32 v97, v94, v75
	v_sub_f32_e32 v72, v72, v75
	v_exp_f32_e32 v100, v100
	ds_load_2addr_b32 v[93:94], v74 offset0:238 offset1:255
	v_dual_fmac_f32 v76, v102, v98 :: v_dual_mul_f32 v101, 0x3fb8aa3b, v72
	ds_load_2addr_b32 v[72:73], v74 offset0:204 offset1:221
	v_dual_sub_f32 v74, v95, v75 :: v_dual_mul_f32 v95, 0x3fb8aa3b, v97
	v_exp_f32_e32 v97, v103
	v_exp_f32_e32 v101, v101
	s_waitcnt lgkmcnt(0)
	s_delay_alu instid0(VALU_DEP_1)
	v_mul_f32_e32 v74, 0x3fb8aa3b, v74
	v_exp_f32_e32 v95, v95
	s_barrier
	buffer_gl0_inv
	v_fmac_f32_e32 v76, v101, v70
	v_sub_f32_e32 v70, v96, v75
	v_exp_f32_e32 v96, v74
	s_delay_alu instid0(VALU_DEP_2) | instskip(NEXT) | instid1(VALU_DEP_2)
	v_fmac_f32_e32 v76, v100, v71
	v_mul_f32_e32 v70, 0x3fb8aa3b, v70
	s_delay_alu instid0(VALU_DEP_2) | instskip(NEXT) | instid1(VALU_DEP_2)
	v_dual_cndmask_b32 v71, v99, v102 :: v_dual_fmac_f32 v76, v97, v72
	v_exp_f32_e32 v98, v70
	s_delay_alu instid0(VALU_DEP_1) | instskip(SKIP_2) | instid1(VALU_DEP_1)
	v_fmac_f32_e32 v76, v95, v73
	s_waitcnt_depctr 0xfff
	v_fmac_f32_e32 v76, v96, v93
	v_fmac_f32_e32 v76, v98, v94
	s_delay_alu instid0(VALU_DEP_1) | instskip(NEXT) | instid1(VALU_DEP_1)
	v_add_f32_e32 v93, 0x358637bd, v76
	v_div_scale_f32 v94, null, v93, v93, 1.0
	v_div_scale_f32 v99, vcc_lo, 1.0, v93, 1.0
	s_delay_alu instid0(VALU_DEP_2) | instskip(SKIP_2) | instid1(VALU_DEP_1)
	v_rcp_f32_e32 v103, v94
	s_waitcnt_depctr 0xfff
	v_fma_f32 v70, -v94, v103, 1.0
	v_fmac_f32_e32 v103, v70, v103
	v_cndmask_b32_e64 v70, v71, v101, s3
	v_cmp_eq_u32_e64 s3, 4, v69
	v_lshlrev_b32_e32 v71, 2, v66
	s_delay_alu instid0(VALU_DEP_4) | instskip(NEXT) | instid1(VALU_DEP_4)
	v_mul_f32_e32 v101, v99, v103
	v_cndmask_b32_e64 v72, v70, v100, s4
	v_cmp_eq_u32_e64 s4, 6, v69
	v_lshl_or_b32 v70, v69, 11, v68
	v_or_b32_e32 v74, 1, v71
	v_fma_f32 v73, -v94, v101, v99
	v_cndmask_b32_e64 v72, v72, v97, s3
	v_cmp_eq_u32_e64 s3, 1, v71
	v_lshl_or_b32 v69, v66, 4, v70
	v_cmp_eq_u32_e64 s9, 1, v74
	v_fmac_f32_e32 v101, v73, v103
	v_cndmask_b32_e64 v95, v72, v95, s5
	v_or_b32_e32 v72, 2, v71
	v_or_b32_e32 v73, 3, v71
	v_cmp_eq_u32_e64 s12, 2, v74
	v_fma_f32 v94, -v94, v101, v99
	v_cndmask_b32_e64 v95, v95, v96, s4
	v_cmp_eq_u32_e64 s10, 1, v72
	v_cmp_eq_u32_e64 s11, 1, v73
	;; [unrolled: 1-line block ×3, first 2 shown]
	v_div_fmas_f32 v94, v94, v103, v101
	v_cndmask_b32_e64 v95, v95, v98, s6
	v_cmp_eq_u32_e32 vcc_lo, 2, v71
	v_cmp_eq_u32_e64 s16, 2, v73
	v_cmp_eq_u32_e64 s18, 3, v73
	v_div_fixup_f32 v93, v94, v93, 1.0
	v_cmp_eq_u32_e64 s4, 3, v71
	v_cmp_eq_u32_e64 s13, 3, v74
	;; [unrolled: 1-line block ×4, first 2 shown]
	v_mul_f32_e32 v101, v95, v93
	v_cmp_eq_u32_e64 s5, 4, v71
	v_cmp_eq_u32_e64 s19, 4, v74
	;; [unrolled: 1-line block ×4, first 2 shown]
	v_fma_mixlo_f16 v93, v101, v78, 0
	v_fma_mixlo_f16 v94, v101, v80, 0
	;; [unrolled: 1-line block ×8, first 2 shown]
	v_fma_mixhi_f16 v93, v101, v77, 0
	v_fma_mixhi_f16 v94, v101, v79, 0
	;; [unrolled: 1-line block ×8, first 2 shown]
	ds_store_b128 v69, v[93:96]
	ds_store_b128 v69, v[97:100] offset:1024
	s_waitcnt lgkmcnt(0)
	s_barrier
	buffer_gl0_inv
	ds_load_b128 v[77:80], v70
	ds_load_b128 v[81:84], v70 offset:16
	ds_load_b128 v[85:88], v70 offset:1024
	;; [unrolled: 1-line block ×3, first 2 shown]
	v_cmp_eq_u32_e64 s6, 5, v71
	v_cmp_eq_u32_e64 s20, 5, v74
	;; [unrolled: 1-line block ×11, first 2 shown]
	s_waitcnt lgkmcnt(3)
	v_lshrrev_b32_e32 v93, 16, v77
	s_waitcnt lgkmcnt(2)
	v_lshrrev_b32_e32 v97, 16, v81
	;; [unrolled: 2-line block ×4, first 2 shown]
	v_lshrrev_b32_e32 v94, 16, v78
	v_cndmask_b32_e64 v109, v77, v93, s3
	v_cndmask_b32_e64 v110, v81, v97, s3
	;; [unrolled: 1-line block ×8, first 2 shown]
	v_lshrrev_b32_e32 v98, 16, v82
	v_cndmask_b32_e64 v93, v85, v101, s3
	v_cndmask_b32_e64 v97, v89, v105, s3
	;; [unrolled: 1-line block ×5, first 2 shown]
	v_cndmask_b32_e32 v101, v109, v78, vcc_lo
	v_cndmask_b32_e64 v109, v111, v78, s12
	v_cndmask_b32_e64 v111, v113, v78, s15
	;; [unrolled: 1-line block ×4, first 2 shown]
	v_lshrrev_b32_e32 v102, 16, v86
	v_lshrrev_b32_e32 v106, 16, v90
	v_cndmask_b32_e64 v116, v89, v105, s9
	v_cndmask_b32_e64 v118, v89, v105, s10
	;; [unrolled: 1-line block ×3, first 2 shown]
	v_cndmask_b32_e32 v105, v110, v82, vcc_lo
	v_cndmask_b32_e64 v110, v112, v82, s12
	v_cndmask_b32_e64 v112, v114, v82, s15
	v_cndmask_b32_e32 v81, v93, v86, vcc_lo
	v_cndmask_b32_e32 v82, v97, v90, vcc_lo
	v_cndmask_b32_e64 v93, v115, v86, s12
	v_cndmask_b32_e64 v77, v77, v94, s18
	;; [unrolled: 1-line block ×3, first 2 shown]
	v_lshrrev_b32_e32 v95, 16, v79
	v_lshrrev_b32_e32 v99, 16, v83
	v_cndmask_b32_e64 v97, v117, v86, s15
	v_cndmask_b32_e64 v85, v85, v86, s16
	;; [unrolled: 1-line block ×14, first 2 shown]
	v_lshrrev_b32_e32 v103, 16, v87
	v_cndmask_b32_e64 v89, v89, v79, s5
	v_cndmask_b32_e64 v94, v101, v83, s5
	;; [unrolled: 1-line block ×11, first 2 shown]
	v_lshrrev_b32_e32 v96, 16, v80
	v_lshrrev_b32_e32 v100, 16, v84
	v_cndmask_b32_e64 v83, v89, v95, s6
	v_cndmask_b32_e64 v89, v94, v99, s6
	;; [unrolled: 1-line block ×9, first 2 shown]
	v_lshrrev_b32_e32 v104, 16, v88
	v_cndmask_b32_e64 v79, v79, v103, s6
	v_cndmask_b32_e64 v83, v83, v80, s7
	;; [unrolled: 1-line block ×19, first 2 shown]
	v_perm_b32 v80, v78, v77, 0x5040100
	v_cndmask_b32_e64 v77, v116, v90, s12
	v_cndmask_b32_e64 v95, v79, v104, s8
	v_perm_b32 v79, v93, v89, 0x5040100
	v_perm_b32 v78, v94, v84, 0x5040100
	v_cndmask_b32_e64 v84, v97, v102, s17
	v_cndmask_b32_e64 v85, v85, v102, s18
	;; [unrolled: 1-line block ×5, first 2 shown]
	v_lshrrev_b32_e32 v107, 16, v91
	v_cndmask_b32_e64 v84, v84, v87, s21
	v_cndmask_b32_e64 v85, v85, v87, s22
	;; [unrolled: 1-line block ×11, first 2 shown]
	v_lshrrev_b32_e32 v108, 16, v92
	v_cndmask_b32_e64 v81, v81, v92, s7
	v_cndmask_b32_e64 v84, v84, v88, s26
	;; [unrolled: 1-line block ×12, first 2 shown]
	v_perm_b32 v77, v83, v82, 0x5040100
	v_perm_b32 v84, v85, v84, 0x5040100
	;; [unrolled: 1-line block ×5, first 2 shown]
	s_lshl_b32 s8, s33, 4
	s_mov_b32 s3, exec_lo
	ds_store_b128 v69, v[77:80]
	ds_store_b128 v69, v[81:84] offset:1024
	v_cmpx_gt_u32_e32 16, v0
	s_cbranch_execz .LBB785_14
; %bb.13:
	v_or_b32_e32 v77, s31, v0
	s_load_b128 s[4:7], s[0:1], 0x58
	s_delay_alu instid0(VALU_DEP_1) | instskip(NEXT) | instid1(VALU_DEP_1)
	v_mad_u64_u32 v[78:79], null, s8, s34, v[77:78]
	v_mad_u64_u32 v[79:80], null, v78, s35, s[14:15]
	s_delay_alu instid0(VALU_DEP_1) | instskip(NEXT) | instid1(VALU_DEP_1)
	v_ashrrev_i32_e32 v80, 31, v79
	v_lshlrev_b64 v[77:78], 2, v[79:80]
	s_waitcnt lgkmcnt(0)
	s_delay_alu instid0(VALU_DEP_1) | instskip(NEXT) | instid1(VALU_DEP_2)
	v_add_co_u32 v79, vcc_lo, s6, v77
	v_add_co_ci_u32_e32 v80, vcc_lo, s7, v78, vcc_lo
	v_add_co_u32 v77, vcc_lo, s4, v77
	v_add_co_ci_u32_e32 v78, vcc_lo, s5, v78, vcc_lo
	global_store_b32 v[79:80], v75, off
	global_store_b32 v[77:78], v76, off
.LBB785_14:
	s_or_b32 exec_lo, exec_lo, s3
	s_waitcnt lgkmcnt(0)
	s_waitcnt_vscnt null, 0x0
	s_barrier
	buffer_gl0_inv
	ds_load_b128 v[83:86], v68
	ds_load_b128 v[87:90], v68 offset:16
	ds_load_b128 v[95:98], v68 offset:2064
	;; [unrolled: 1-line block ×5, first 2 shown]
	v_cmp_eq_u32_e32 vcc_lo, 1, v71
	v_mov_b32_e32 v75, 0
	ds_load_b128 v[111:114], v68 offset:6160
	ds_load_b128 v[107:110], v68 offset:6144
	ds_load_b128 v[119:122], v68 offset:8208
	ds_load_b128 v[115:118], v68 offset:8192
	v_cmp_eq_u32_e64 s4, 1, v72
	v_cmp_eq_u32_e64 s3, 1, v74
	;; [unrolled: 1-line block ×3, first 2 shown]
	v_mov_b32_e32 v76, v75
	v_mov_b32_e32 v77, v75
	;; [unrolled: 1-line block ×7, first 2 shown]
	v_cmp_eq_u32_e64 s6, 3, v74
	v_cmp_eq_u32_e64 s7, 7, v74
	s_waitcnt lgkmcnt(8)
	s_delay_alu instid0(VALU_DEP_3)
	v_wmma_f32_16x16x16_f16 v[75:82], v[49:56], v[83:90], v[75:82]
	ds_load_b128 v[53:56], v68 offset:10256
	ds_load_b128 v[49:52], v68 offset:10240
	s_waitcnt lgkmcnt(8)
	v_wmma_f32_16x16x16_f16 v[75:82], v[41:48], v[91:98], v[75:82]
	ds_load_b128 v[45:48], v68 offset:12304
	ds_load_b128 v[41:44], v68 offset:12288
	s_waitcnt lgkmcnt(8)
	;; [unrolled: 4-line block ×3, first 2 shown]
	s_barrier
	buffer_gl0_inv
	v_wmma_f32_16x16x16_f16 v[75:82], v[1:8], v[107:114], v[75:82]
	s_delay_alu instid0(VALU_DEP_1) | instskip(NEXT) | instid1(VALU_DEP_1)
	v_wmma_f32_16x16x16_f16 v[75:82], v[9:16], v[115:122], v[75:82]
	v_wmma_f32_16x16x16_f16 v[75:82], v[17:24], v[49:56], v[75:82]
	s_delay_alu instid0(VALU_DEP_1) | instskip(NEXT) | instid1(VALU_DEP_1)
	v_wmma_f32_16x16x16_f16 v[75:82], v[25:32], v[41:48], v[75:82]
	v_wmma_f32_16x16x16_f16 v[75:82], v[57:64], v[33:40], v[75:82]
	s_delay_alu instid0(VALU_DEP_1) | instskip(NEXT) | instid1(VALU_DEP_2)
	v_cvt_f16_f32_e32 v1, v75
	v_cvt_f16_f32_e32 v2, v76
	s_delay_alu instid0(VALU_DEP_3) | instskip(NEXT) | instid1(VALU_DEP_4)
	v_cvt_f16_f32_e32 v3, v77
	v_cvt_f16_f32_e32 v4, v78
	;; [unrolled: 1-line block ×6, first 2 shown]
	v_pack_b32_f16 v1, v1, v2
	v_pack_b32_f16 v2, v3, v4
	;; [unrolled: 1-line block ×3, first 2 shown]
	s_delay_alu instid0(VALU_DEP_4)
	v_pack_b32_f16 v4, v7, v8
	ds_store_b128 v69, v[1:4]
	s_waitcnt lgkmcnt(0)
	s_barrier
	buffer_gl0_inv
	ds_load_b128 v[1:4], v70
	ds_load_b128 v[5:8], v70 offset:16
	s_waitcnt lgkmcnt(1)
	v_lshrrev_b32_e32 v9, 16, v1
	s_waitcnt lgkmcnt(0)
	v_lshrrev_b32_e32 v13, 16, v5
	v_lshrrev_b32_e32 v10, 16, v2
	v_lshrrev_b32_e32 v14, 16, v6
	v_lshrrev_b32_e32 v11, 16, v3
	v_cndmask_b32_e32 v17, v1, v9, vcc_lo
	v_cndmask_b32_e32 v18, v5, v13, vcc_lo
	v_cndmask_b32_e64 v21, v1, v9, s4
	v_cmp_eq_u32_e32 vcc_lo, 1, v73
	v_cndmask_b32_e64 v22, v5, v13, s4
	v_cmp_eq_u32_e64 s4, 2, v71
	v_cndmask_b32_e64 v19, v1, v9, s3
	v_cndmask_b32_e64 v20, v5, v13, s3
	v_cndmask_b32_e32 v1, v1, v9, vcc_lo
	v_cmp_eq_u32_e64 s3, 2, v73
	v_cndmask_b32_e32 v5, v5, v13, vcc_lo
	v_cndmask_b32_e64 v9, v17, v2, s4
	v_cmp_eq_u32_e32 vcc_lo, 3, v71
	v_cndmask_b32_e64 v13, v18, v6, s4
	v_cmp_eq_u32_e64 s4, 2, v72
	v_cndmask_b32_e64 v17, v19, v2, s5
	v_cndmask_b32_e64 v18, v20, v6, s5
	v_cmp_eq_u32_e64 s5, 3, v72
	v_cndmask_b32_e64 v1, v1, v2, s3
	v_cndmask_b32_e64 v19, v21, v2, s4
	;; [unrolled: 1-line block ×4, first 2 shown]
	v_cndmask_b32_e32 v5, v9, v10, vcc_lo
	v_cndmask_b32_e32 v6, v13, v14, vcc_lo
	v_cmp_eq_u32_e32 vcc_lo, 3, v73
	v_cndmask_b32_e64 v9, v17, v10, s6
	v_cndmask_b32_e64 v13, v18, v14, s6
	;; [unrolled: 1-line block ×3, first 2 shown]
	v_cmp_eq_u32_e64 s4, 4, v71
	v_cndmask_b32_e32 v1, v1, v10, vcc_lo
	v_cndmask_b32_e32 v2, v2, v14, vcc_lo
	v_cmp_eq_u32_e32 vcc_lo, 4, v74
	v_lshrrev_b32_e32 v15, 16, v7
	v_lshrrev_b32_e32 v16, 16, v8
	v_cndmask_b32_e64 v17, v19, v10, s5
	v_cmp_eq_u32_e64 s3, 4, v73
	v_cndmask_b32_e64 v5, v5, v3, s4
	v_cndmask_b32_e64 v6, v6, v7, s4
	v_cndmask_b32_e32 v9, v9, v3, vcc_lo
	v_cmp_eq_u32_e64 s4, 5, v74
	v_cndmask_b32_e32 v10, v13, v7, vcc_lo
	v_cmp_eq_u32_e32 vcc_lo, 4, v72
	v_cmp_eq_u32_e64 s5, 5, v71
	v_cndmask_b32_e64 v2, v2, v7, s3
	v_cndmask_b32_e64 v9, v9, v11, s4
	;; [unrolled: 1-line block ×3, first 2 shown]
	v_cndmask_b32_e32 v13, v17, v3, vcc_lo
	v_cmp_eq_u32_e64 s4, 5, v72
	v_cndmask_b32_e32 v14, v18, v7, vcc_lo
	v_cndmask_b32_e64 v1, v1, v3, s3
	v_cmp_eq_u32_e32 vcc_lo, 5, v73
	v_lshrrev_b32_e32 v12, 16, v4
	v_cndmask_b32_e64 v13, v13, v11, s4
	v_cndmask_b32_e64 v3, v14, v15, s4
	v_cmp_eq_u32_e64 s4, 6, v73
	v_cndmask_b32_e32 v1, v1, v11, vcc_lo
	v_cndmask_b32_e64 v5, v5, v11, s5
	v_cmp_eq_u32_e64 s6, 6, v71
	v_cndmask_b32_e64 v6, v6, v15, s5
	v_cmp_eq_u32_e64 s5, 6, v74
	v_cmp_eq_u32_e64 s3, 6, v72
	v_cndmask_b32_e64 v1, v1, v4, s4
	v_cndmask_b32_e32 v2, v2, v15, vcc_lo
	v_cmp_eq_u32_e32 vcc_lo, 7, v73
	v_cndmask_b32_e64 v5, v5, v4, s6
	v_cndmask_b32_e64 v9, v9, v4, s5
	;; [unrolled: 1-line block ×3, first 2 shown]
	v_cmp_eq_u32_e64 s6, 7, v71
	v_cndmask_b32_e32 v1, v1, v12, vcc_lo
	v_cndmask_b32_e64 v7, v13, v4, s3
	v_cndmask_b32_e64 v3, v3, v8, s3
	;; [unrolled: 1-line block ×3, first 2 shown]
	v_cmp_eq_u32_e64 s3, 7, v72
	v_cndmask_b32_e64 v4, v10, v8, s5
	v_cndmask_b32_e64 v5, v5, v12, s6
	;; [unrolled: 1-line block ×3, first 2 shown]
	v_cndmask_b32_e32 v2, v2, v16, vcc_lo
	v_cndmask_b32_e64 v7, v7, v12, s3
	v_cndmask_b32_e64 v3, v3, v16, s3
	;; [unrolled: 1-line block ×4, first 2 shown]
	v_cmp_gt_u32_e32 vcc_lo, 32, v0
	v_perm_b32 v4, v2, v1, 0x5040100
	v_perm_b32 v3, v3, v7, 0x5040100
	v_perm_b32 v2, v8, v9, 0x5040100
	v_perm_b32 v1, v6, v5, 0x5040100
	s_and_b32 s2, vcc_lo, s2
	ds_store_b128 v69, v[1:4]
	s_waitcnt lgkmcnt(0)
	s_barrier
	buffer_gl0_inv
	s_and_saveexec_b32 s3, s2
	s_cbranch_execz .LBB785_2
; %bb.15:
	s_load_b64 s[0:1], s[0:1], 0x68
	v_lshlrev_b32_e32 v0, 10, v0
	s_lshl_b32 s4, s35, 6
	v_or_b32_e32 v23, s31, v66
	s_mul_i32 s2, s4, s34
	v_lshlrev_b32_e32 v1, 4, v67
	v_lshlrev_b32_e32 v2, 6, v66
	s_mul_i32 s2, s2, s8
	v_and_b32_e32 v0, 0x3800, v0
	v_mul_lo_u32 v8, v23, s4
	s_ashr_i32 s3, s2, 31
	v_or_b32_e32 v3, 2, v23
	s_lshl_b64 s[2:3], s[2:3], 1
	v_or3_b32 v27, v0, v1, v2
	v_or_b32_e32 v11, 4, v23
	v_or_b32_e32 v18, 6, v23
	v_mul_lo_u32 v10, v3, s4
	v_ashrrev_i32_e32 v9, 31, v8
	ds_load_b128 v[0:3], v27
	ds_load_b128 v[4:7], v27 offset:128
	v_mul_lo_u32 v12, v11, s4
	s_waitcnt lgkmcnt(0)
	s_add_u32 s2, s0, s2
	s_addc_u32 s3, s1, s3
	s_lshl_b32 s0, s14, 6
	v_lshlrev_b64 v[8:9], 1, v[8:9]
	s_ashr_i32 s1, s0, 31
	v_ashrrev_i32_e32 v11, 31, v10
	s_lshl_b64 s[0:1], s[0:1], 1
	v_ashrrev_i32_e32 v13, 31, v12
	s_add_u32 s0, s2, s0
	s_addc_u32 s1, s3, s1
	v_add_co_u32 v30, s0, s0, v65
	s_delay_alu instid0(VALU_DEP_1) | instskip(SKIP_1) | instid1(VALU_DEP_3)
	v_add_co_ci_u32_e64 v31, null, s1, 0, s0
	v_lshlrev_b64 v[16:17], 1, v[10:11]
	v_add_co_u32 v14, vcc_lo, v30, v8
	s_delay_alu instid0(VALU_DEP_3)
	v_add_co_ci_u32_e32 v15, vcc_lo, v31, v9, vcc_lo
	ds_load_b128 v[8:11], v27 offset:256
	v_mul_lo_u32 v18, v18, s4
	v_or_b32_e32 v19, 8, v23
	v_add_co_u32 v16, vcc_lo, v30, v16
	global_store_b128 v[14:15], v[0:3], off
	v_lshlrev_b64 v[0:1], 1, v[12:13]
	v_add_co_ci_u32_e32 v17, vcc_lo, v31, v17, vcc_lo
	v_mul_lo_u32 v12, v19, s4
	v_ashrrev_i32_e32 v19, 31, v18
	v_or_b32_e32 v14, 10, v23
	global_store_b128 v[16:17], v[4:7], off
	v_add_co_u32 v4, vcc_lo, v30, v0
	v_add_co_ci_u32_e32 v5, vcc_lo, v31, v1, vcc_lo
	ds_load_b128 v[0:3], v27 offset:384
	v_ashrrev_i32_e32 v13, 31, v12
	v_lshlrev_b64 v[6:7], 1, v[18:19]
	v_mul_lo_u32 v14, v14, s4
	s_waitcnt lgkmcnt(1)
	global_store_b128 v[4:5], v[8:11], off
	v_or_b32_e32 v8, 12, v23
	v_lshlrev_b64 v[4:5], 1, v[12:13]
	v_add_co_u32 v20, vcc_lo, v30, v6
	v_or_b32_e32 v6, 14, v23
	v_ashrrev_i32_e32 v15, 31, v14
	v_mul_lo_u32 v22, v8, s4
	v_add_co_ci_u32_e32 v21, vcc_lo, v31, v7, vcc_lo
	v_add_co_u32 v24, vcc_lo, v30, v4
	v_mul_lo_u32 v26, v6, s4
	v_add_co_ci_u32_e32 v25, vcc_lo, v31, v5, vcc_lo
	v_lshlrev_b64 v[28:29], 1, v[14:15]
	ds_load_b128 v[4:7], v27 offset:512
	ds_load_b128 v[8:11], v27 offset:640
	;; [unrolled: 1-line block ×4, first 2 shown]
	v_ashrrev_i32_e32 v23, 31, v22
	v_ashrrev_i32_e32 v27, 31, v26
	v_add_co_u32 v28, vcc_lo, v30, v28
	s_delay_alu instid0(VALU_DEP_3) | instskip(SKIP_1) | instid1(VALU_DEP_4)
	v_lshlrev_b64 v[22:23], 1, v[22:23]
	v_add_co_ci_u32_e32 v29, vcc_lo, v31, v29, vcc_lo
	v_lshlrev_b64 v[26:27], 1, v[26:27]
	s_delay_alu instid0(VALU_DEP_3) | instskip(NEXT) | instid1(VALU_DEP_4)
	v_add_co_u32 v22, vcc_lo, v30, v22
	v_add_co_ci_u32_e32 v23, vcc_lo, v31, v23, vcc_lo
	s_delay_alu instid0(VALU_DEP_3) | instskip(NEXT) | instid1(VALU_DEP_4)
	v_add_co_u32 v26, vcc_lo, v30, v26
	v_add_co_ci_u32_e32 v27, vcc_lo, v31, v27, vcc_lo
	s_waitcnt lgkmcnt(4)
	global_store_b128 v[20:21], v[0:3], off
	s_waitcnt lgkmcnt(3)
	global_store_b128 v[24:25], v[4:7], off
	;; [unrolled: 2-line block ×5, first 2 shown]
	s_nop 0
	s_sendmsg sendmsg(MSG_DEALLOC_VGPRS)
	s_endpgm
	.section	.rodata,"a",@progbits
	.p2align	6, 0x0
	.amdhsa_kernel _Z39paged_attention_ll4mi_QKV_mfma16_kernelIDF16_hLN4vllm18Fp8KVCacheDataTypeE1EhLi16ELi64ELi256ELb1ELi16EL8MFMAType1EEvPKT_PKT0_S8_ifPKiSA_SA_iPKfiiiPfSD_PS3_PT2_iSC_SC_
		.amdhsa_group_segment_fixed_size 17472
		.amdhsa_private_segment_fixed_size 0
		.amdhsa_kernarg_size 400
		.amdhsa_user_sgpr_count 13
		.amdhsa_user_sgpr_dispatch_ptr 0
		.amdhsa_user_sgpr_queue_ptr 0
		.amdhsa_user_sgpr_kernarg_segment_ptr 1
		.amdhsa_user_sgpr_dispatch_id 0
		.amdhsa_user_sgpr_private_segment_size 0
		.amdhsa_wavefront_size32 1
		.amdhsa_uses_dynamic_stack 0
		.amdhsa_enable_private_segment 0
		.amdhsa_system_sgpr_workgroup_id_x 1
		.amdhsa_system_sgpr_workgroup_id_y 1
		.amdhsa_system_sgpr_workgroup_id_z 1
		.amdhsa_system_sgpr_workgroup_info 0
		.amdhsa_system_vgpr_workitem_id 0
		.amdhsa_next_free_vgpr 123
		.amdhsa_next_free_sgpr 40
		.amdhsa_reserve_vcc 1
		.amdhsa_float_round_mode_32 0
		.amdhsa_float_round_mode_16_64 0
		.amdhsa_float_denorm_mode_32 3
		.amdhsa_float_denorm_mode_16_64 3
		.amdhsa_dx10_clamp 1
		.amdhsa_ieee_mode 1
		.amdhsa_fp16_overflow 0
		.amdhsa_workgroup_processor_mode 1
		.amdhsa_memory_ordered 1
		.amdhsa_forward_progress 0
		.amdhsa_shared_vgpr_count 0
		.amdhsa_exception_fp_ieee_invalid_op 0
		.amdhsa_exception_fp_denorm_src 0
		.amdhsa_exception_fp_ieee_div_zero 0
		.amdhsa_exception_fp_ieee_overflow 0
		.amdhsa_exception_fp_ieee_underflow 0
		.amdhsa_exception_fp_ieee_inexact 0
		.amdhsa_exception_int_div_zero 0
	.end_amdhsa_kernel
	.section	.text._Z39paged_attention_ll4mi_QKV_mfma16_kernelIDF16_hLN4vllm18Fp8KVCacheDataTypeE1EhLi16ELi64ELi256ELb1ELi16EL8MFMAType1EEvPKT_PKT0_S8_ifPKiSA_SA_iPKfiiiPfSD_PS3_PT2_iSC_SC_,"axG",@progbits,_Z39paged_attention_ll4mi_QKV_mfma16_kernelIDF16_hLN4vllm18Fp8KVCacheDataTypeE1EhLi16ELi64ELi256ELb1ELi16EL8MFMAType1EEvPKT_PKT0_S8_ifPKiSA_SA_iPKfiiiPfSD_PS3_PT2_iSC_SC_,comdat
.Lfunc_end785:
	.size	_Z39paged_attention_ll4mi_QKV_mfma16_kernelIDF16_hLN4vllm18Fp8KVCacheDataTypeE1EhLi16ELi64ELi256ELb1ELi16EL8MFMAType1EEvPKT_PKT0_S8_ifPKiSA_SA_iPKfiiiPfSD_PS3_PT2_iSC_SC_, .Lfunc_end785-_Z39paged_attention_ll4mi_QKV_mfma16_kernelIDF16_hLN4vllm18Fp8KVCacheDataTypeE1EhLi16ELi64ELi256ELb1ELi16EL8MFMAType1EEvPKT_PKT0_S8_ifPKiSA_SA_iPKfiiiPfSD_PS3_PT2_iSC_SC_
                                        ; -- End function
	.section	.AMDGPU.csdata,"",@progbits
; Kernel info:
; codeLenInByte = 6708
; NumSgprs: 42
; NumVgprs: 123
; ScratchSize: 0
; MemoryBound: 0
; FloatMode: 240
; IeeeMode: 1
; LDSByteSize: 17472 bytes/workgroup (compile time only)
; SGPRBlocks: 5
; VGPRBlocks: 15
; NumSGPRsForWavesPerEU: 42
; NumVGPRsForWavesPerEU: 123
; Occupancy: 10
; WaveLimiterHint : 1
; COMPUTE_PGM_RSRC2:SCRATCH_EN: 0
; COMPUTE_PGM_RSRC2:USER_SGPR: 13
; COMPUTE_PGM_RSRC2:TRAP_HANDLER: 0
; COMPUTE_PGM_RSRC2:TGID_X_EN: 1
; COMPUTE_PGM_RSRC2:TGID_Y_EN: 1
; COMPUTE_PGM_RSRC2:TGID_Z_EN: 1
; COMPUTE_PGM_RSRC2:TIDIG_COMP_CNT: 0
	.section	.text._Z39paged_attention_ll4mi_QKV_mfma16_kernelIDF16_hLN4vllm18Fp8KVCacheDataTypeE1EhLi16ELi64ELi256ELb1ELi1EL8MFMAType1EEvPKT_PKT0_S8_ifPKiSA_SA_iPKfiiiPfSD_PS3_PT2_iSC_SC_,"axG",@progbits,_Z39paged_attention_ll4mi_QKV_mfma16_kernelIDF16_hLN4vllm18Fp8KVCacheDataTypeE1EhLi16ELi64ELi256ELb1ELi1EL8MFMAType1EEvPKT_PKT0_S8_ifPKiSA_SA_iPKfiiiPfSD_PS3_PT2_iSC_SC_,comdat
	.protected	_Z39paged_attention_ll4mi_QKV_mfma16_kernelIDF16_hLN4vllm18Fp8KVCacheDataTypeE1EhLi16ELi64ELi256ELb1ELi1EL8MFMAType1EEvPKT_PKT0_S8_ifPKiSA_SA_iPKfiiiPfSD_PS3_PT2_iSC_SC_ ; -- Begin function _Z39paged_attention_ll4mi_QKV_mfma16_kernelIDF16_hLN4vllm18Fp8KVCacheDataTypeE1EhLi16ELi64ELi256ELb1ELi1EL8MFMAType1EEvPKT_PKT0_S8_ifPKiSA_SA_iPKfiiiPfSD_PS3_PT2_iSC_SC_
	.globl	_Z39paged_attention_ll4mi_QKV_mfma16_kernelIDF16_hLN4vllm18Fp8KVCacheDataTypeE1EhLi16ELi64ELi256ELb1ELi1EL8MFMAType1EEvPKT_PKT0_S8_ifPKiSA_SA_iPKfiiiPfSD_PS3_PT2_iSC_SC_
	.p2align	8
	.type	_Z39paged_attention_ll4mi_QKV_mfma16_kernelIDF16_hLN4vllm18Fp8KVCacheDataTypeE1EhLi16ELi64ELi256ELb1ELi1EL8MFMAType1EEvPKT_PKT0_S8_ifPKiSA_SA_iPKfiiiPfSD_PS3_PT2_iSC_SC_,@function
_Z39paged_attention_ll4mi_QKV_mfma16_kernelIDF16_hLN4vllm18Fp8KVCacheDataTypeE1EhLi16ELi64ELi256ELb1ELi1EL8MFMAType1EEvPKT_PKT0_S8_ifPKiSA_SA_iPKfiiiPfSD_PS3_PT2_iSC_SC_: ; @_Z39paged_attention_ll4mi_QKV_mfma16_kernelIDF16_hLN4vllm18Fp8KVCacheDataTypeE1EhLi16ELi64ELi256ELb1ELi1EL8MFMAType1EEvPKT_PKT0_S8_ifPKiSA_SA_iPKfiiiPfSD_PS3_PT2_iSC_SC_
; %bb.0:
	s_load_b64 s[4:5], s[0:1], 0x30
	s_mov_b32 s34, s13
	s_waitcnt lgkmcnt(0)
	s_cmp_lg_u64 s[4:5], 0
	s_cselect_b32 s6, -1, 0
	s_ashr_i32 s35, s13, 31
	s_cmp_eq_u64 s[4:5], 0
	s_cbranch_scc1 .LBB786_3
; %bb.1:
	s_lshl_b64 s[2:3], s[34:35], 2
	s_delay_alu instid0(SALU_CYCLE_1) | instskip(SKIP_4) | instid1(SALU_CYCLE_1)
	s_add_u32 s2, s4, s2
	s_addc_u32 s3, s5, s3
	s_load_b64 s[2:3], s[2:3], 0x0
	s_waitcnt lgkmcnt(0)
	s_sub_i32 s2, s3, s2
	s_cmp_eq_u32 s2, 1
	s_cselect_b32 s2, -1, 0
	s_delay_alu instid0(SALU_CYCLE_1)
	s_and_not1_b32 vcc_lo, exec_lo, s2
	s_cbranch_vccz .LBB786_4
.LBB786_2:
	s_endpgm
.LBB786_3:
.LBB786_4:
	s_load_b64 s[2:3], s[0:1], 0x28
	s_lshl_b64 s[8:9], s[34:35], 2
	s_waitcnt lgkmcnt(0)
	s_add_u32 s2, s2, s8
	s_addc_u32 s3, s3, s9
	s_lshl_b32 s12, s14, 8
	s_load_b32 s33, s[2:3], 0x0
	s_waitcnt lgkmcnt(0)
	s_cmp_ge_i32 s12, s33
	s_cbranch_scc1 .LBB786_2
; %bb.5:
	s_clause 0x1
	s_load_b128 s[28:31], s[0:1], 0x8
	s_load_b64 s[2:3], s[0:1], 0x20
	s_and_not1_b32 vcc_lo, exec_lo, s6
	s_mov_b64 s[6:7], s[34:35]
	s_cbranch_vccnz .LBB786_7
; %bb.6:
	s_add_u32 s4, s4, s8
	s_addc_u32 s5, s5, s9
	s_load_b32 s6, s[4:5], 0x0
.LBB786_7:
	s_load_b128 s[24:27], s[0:1], 0x48
	v_and_b32_e32 v73, 15, v0
	s_mov_b32 s13, exec_lo
                                        ; implicit-def: $sgpr16
                                        ; implicit-def: $sgpr4
	s_delay_alu instid0(VALU_DEP_1)
	v_cmpx_eq_u32_e32 0, v73
	s_cbranch_execz .LBB786_9
; %bb.8:
	s_load_b64 s[4:5], s[0:1], 0x0
	s_waitcnt lgkmcnt(0)
	s_mul_hi_i32 s7, s6, s24
	s_mul_i32 s6, s6, s24
	s_delay_alu instid0(SALU_CYCLE_1) | instskip(NEXT) | instid1(SALU_CYCLE_1)
	s_lshl_b64 s[6:7], s[6:7], 1
	s_add_u32 s6, s4, s6
	s_addc_u32 s7, s5, s7
	s_lshl_b32 s4, s15, 6
	s_delay_alu instid0(SALU_CYCLE_1) | instskip(NEXT) | instid1(SALU_CYCLE_1)
	s_ashr_i32 s5, s4, 31
	s_lshl_b64 s[4:5], s[4:5], 1
	s_delay_alu instid0(SALU_CYCLE_1)
	s_add_u32 s4, s6, s4
	s_addc_u32 s5, s7, s5
	s_clause 0x1
	s_load_b256 s[16:23], s[4:5], 0x0
	s_load_b256 s[4:11], s[4:5], 0x40
.LBB786_9:
	s_or_b32 exec_lo, exec_lo, s13
	v_and_b32_e32 v1, 0xef, v0
	s_waitcnt lgkmcnt(0)
	v_dual_mov_b32 v115, s23 :: v_dual_mov_b32 v114, s22
	s_add_i32 s13, s33, 15
	s_load_b32 s27, s[0:1], 0x38
	v_dual_mov_b32 v112, s20 :: v_dual_add_nc_u32 v1, s12, v1
	s_ashr_i32 s24, s13, 31
	v_lshrrev_b32_e32 v66, 5, v0
	s_lshr_b32 s24, s24, 28
	s_delay_alu instid0(VALU_DEP_2)
	v_ashrrev_i32_e32 v2, 31, v1
	v_or_b32_e32 v3, 16, v1
	s_add_i32 s13, s13, s24
	v_cmp_gt_i32_e32 vcc_lo, s33, v1
	s_ashr_i32 s13, s13, 4
	v_lshrrev_b32_e32 v2, 28, v2
	s_add_i32 s13, s13, -1
	s_load_b32 s24, s[0:1], 0x1c
	v_and_b32_e32 v65, 0xe0, v0
	s_delay_alu instid0(VALU_DEP_2)
	v_dual_mov_b32 v111, s19 :: v_dual_add_nc_u32 v4, v1, v2
	v_mov_b32_e32 v113, s21
	v_mov_b32_e32 v109, s17
	v_mbcnt_lo_u32_b32 v67, -1, 0
	s_waitcnt lgkmcnt(0)
	s_mul_i32 s36, s34, s27
	v_ashrrev_i32_e32 v4, 4, v4
	v_add_nc_u32_e32 v2, v3, v2
	s_ashr_i32 s37, s36, 31
	v_bfe_u32 v75, v0, 4, 1
	s_lshl_b64 s[36:37], s[36:37], 2
	v_cndmask_b32_e32 v1, s13, v4, vcc_lo
	v_ashrrev_i32_e32 v2, 4, v2
	v_cmp_gt_i32_e32 vcc_lo, s33, v3
	s_add_u32 s36, s2, s36
	s_addc_u32 s35, s3, s37
	v_lshlrev_b32_e32 v74, 4, v73
	s_mul_i32 s37, s15, s26
	v_cndmask_b32_e32 v3, s13, v2, vcc_lo
	v_ashrrev_i32_e32 v2, 31, v1
	s_ashr_i32 s38, s37, 31
	s_add_u32 s39, s28, s37
	s_addc_u32 s46, s29, s38
	v_ashrrev_i32_e32 v4, 31, v3
	v_lshlrev_b64 v[1:2], 2, v[1:2]
	s_lshl_b32 s2, s14, 4
	v_xor_b32_e32 v68, 16, v67
	s_ashr_i32 s3, s2, 31
	v_lshlrev_b64 v[3:4], 2, v[3:4]
	s_lshl_b64 s[2:3], s[2:3], 2
	v_add_co_u32 v1, vcc_lo, s36, v1
	v_add_co_ci_u32_e32 v2, vcc_lo, s35, v2, vcc_lo
	s_delay_alu instid0(VALU_DEP_3) | instskip(NEXT) | instid1(VALU_DEP_4)
	v_add_co_u32 v3, vcc_lo, s36, v3
	v_add_co_ci_u32_e32 v4, vcc_lo, s35, v4, vcc_lo
	s_clause 0x1
	global_load_b32 v5, v[1:2], off
	global_load_b32 v7, v[3:4], off
	s_add_u32 s2, s36, s2
	s_addc_u32 s3, s35, s3
	s_or_b32 s26, s12, 32
	v_dual_mov_b32 v110, s18 :: v_dual_lshlrev_b32 v1, 4, v0
	s_ashr_i32 s27, s26, 4
	s_cmp_lt_i32 s26, s33
	v_mov_b32_e32 v108, s16
	s_cselect_b32 s26, s27, s13
	v_and_b32_e32 v1, 0xf0, v1
	s_ashr_i32 s27, s26, 31
	v_cmp_gt_i32_e32 vcc_lo, 32, v68
	s_lshl_b64 s[26:27], s[26:27], 2
	s_delay_alu instid0(SALU_CYCLE_1)
	s_add_u32 s26, s36, s26
	s_addc_u32 s27, s35, s27
	s_or_b32 s28, s12, 64
	v_add_co_u32 v1, s39, s39, v1
	s_ashr_i32 s29, s28, 4
	s_cmp_lt_i32 s28, s33
	v_add_co_ci_u32_e64 v2, null, s46, 0, s39
	s_cselect_b32 s28, s29, s13
	s_delay_alu instid0(SALU_CYCLE_1) | instskip(NEXT) | instid1(SALU_CYCLE_1)
	s_ashr_i32 s29, s28, 31
	s_lshl_b64 s[28:29], s[28:29], 2
	s_delay_alu instid0(SALU_CYCLE_1) | instskip(SKIP_2) | instid1(SALU_CYCLE_1)
	s_add_u32 s40, s36, s28
	s_addc_u32 s41, s35, s29
	s_or_b32 s28, s12, 0x60
	s_ashr_i32 s29, s28, 4
	s_cmp_lt_i32 s28, s33
	s_cselect_b32 s28, s29, s13
	s_delay_alu instid0(SALU_CYCLE_1) | instskip(NEXT) | instid1(SALU_CYCLE_1)
	s_ashr_i32 s29, s28, 31
	s_lshl_b64 s[28:29], s[28:29], 2
	s_delay_alu instid0(SALU_CYCLE_1) | instskip(SKIP_2) | instid1(SALU_CYCLE_1)
	s_add_u32 s42, s36, s28
	s_addc_u32 s43, s35, s29
	s_or_b32 s28, s12, 0x80
	s_ashr_i32 s29, s28, 4
	s_cmp_lt_i32 s28, s33
	;; [unrolled: 10-line block ×3, first 2 shown]
	s_cselect_b32 s28, s29, s13
	s_delay_alu instid0(SALU_CYCLE_1) | instskip(NEXT) | instid1(SALU_CYCLE_1)
	s_ashr_i32 s29, s28, 31
	s_lshl_b64 s[28:29], s[28:29], 2
	s_delay_alu instid0(SALU_CYCLE_1)
	s_add_u32 s46, s36, s28
	s_addc_u32 s47, s35, s29
	s_clause 0x5
	s_load_b32 s29, s[2:3], 0x0
	s_load_b32 s2, s[26:27], 0x0
	;; [unrolled: 1-line block ×6, first 2 shown]
	s_or_b32 s39, s12, 0xc0
	s_delay_alu instid0(SALU_CYCLE_1) | instskip(SKIP_2) | instid1(SALU_CYCLE_1)
	s_ashr_i32 s40, s39, 4
	s_cmp_lt_i32 s39, s33
	s_cselect_b32 s40, s40, s13
	s_ashr_i32 s41, s40, 31
	s_delay_alu instid0(SALU_CYCLE_1) | instskip(NEXT) | instid1(SALU_CYCLE_1)
	s_lshl_b64 s[40:41], s[40:41], 2
	s_add_u32 s40, s36, s40
	s_addc_u32 s41, s35, s41
	s_or_b32 s39, s12, 0xe0
	s_delay_alu instid0(SALU_CYCLE_1) | instskip(SKIP_2) | instid1(SALU_CYCLE_1)
	s_ashr_i32 s42, s39, 4
	s_cmp_lt_i32 s39, s33
	s_cselect_b32 s42, s42, s13
	s_ashr_i32 s43, s42, 31
	s_delay_alu instid0(SALU_CYCLE_1)
	s_lshl_b64 s[42:43], s[42:43], 2
	s_waitcnt vmcnt(1)
	v_mad_i64_i32 v[3:4], null, v5, s25, v[1:2]
	s_waitcnt vmcnt(0)
	v_mad_i64_i32 v[5:6], null, v7, s25, v[1:2]
	v_lshl_or_b32 v1, v66, 8, v74
	s_clause 0x7
	global_load_b128 v[76:79], v[3:4], off
	global_load_b128 v[80:83], v[3:4], off offset:256
	global_load_b128 v[84:87], v[5:6], off
	global_load_b128 v[88:91], v[5:6], off offset:256
	global_load_b128 v[92:95], v[3:4], off offset:512
	;; [unrolled: 1-line block ×5, first 2 shown]
	s_load_b32 s13, s[40:41], 0x0
	s_add_u32 s40, s36, s42
	s_addc_u32 s41, s35, s43
	s_add_u32 s30, s30, s37
	s_addc_u32 s31, s31, s38
	v_add_co_u32 v1, s30, s30, v1
	s_delay_alu instid0(VALU_DEP_1) | instskip(SKIP_3) | instid1(VALU_DEP_1)
	v_add_co_ci_u32_e64 v2, null, s31, 0, s30
	s_load_b32 s30, s[40:41], 0x0
	s_mov_b32 s36, 0
	s_waitcnt lgkmcnt(0)
	v_mad_i64_i32 v[3:4], null, s29, s25, v[1:2]
	v_mad_i64_i32 v[9:10], null, s26, s25, v[1:2]
	;; [unrolled: 1-line block ×7, first 2 shown]
	s_clause 0x5
	global_load_b128 v[49:52], v[3:4], off
	global_load_b128 v[53:56], v[3:4], off offset:16
	global_load_b128 v[41:44], v[5:6], off
	global_load_b128 v[45:48], v[5:6], off offset:16
	;; [unrolled: 2-line block ×3, first 2 shown]
	s_mov_b32 s43, s36
	s_mov_b32 s37, s36
	v_mad_i64_i32 v[61:62], null, s30, s25, v[1:2]
	s_clause 0x9
	global_load_b128 v[1:4], v[9:10], off
	global_load_b128 v[5:8], v[9:10], off offset:16
	global_load_b128 v[9:12], v[13:14], off
	global_load_b128 v[13:16], v[13:14], off offset:16
	;; [unrolled: 2-line block ×5, first 2 shown]
	s_mov_b32 s38, s36
	s_mov_b32 s39, s36
	;; [unrolled: 1-line block ×5, first 2 shown]
	v_mov_b32_e32 v123, s11
	v_mov_b32_e32 v131, s43
	v_dual_mov_b32 v121, s9 :: v_dual_mov_b32 v126, s38
	v_dual_mov_b32 v119, s7 :: v_dual_mov_b32 v124, s36
	v_dual_mov_b32 v116, s4 :: v_dual_add_nc_u32 v65, s12, v65
	v_dual_mov_b32 v130, s42 :: v_dual_mov_b32 v129, s41
	v_dual_mov_b32 v128, s40 :: v_dual_mov_b32 v127, s39
	;; [unrolled: 1-line block ×3, first 2 shown]
	v_mov_b32_e32 v120, s8
	v_dual_mov_b32 v118, s6 :: v_dual_mov_b32 v117, s5
	v_or_b32_e32 v65, v65, v75
	s_waitcnt vmcnt(0)
	s_barrier
	buffer_gl0_inv
	v_or_b32_e32 v69, 4, v65
	v_or_b32_e32 v70, 6, v65
	;; [unrolled: 1-line block ×8, first 2 shown]
	v_cmp_gt_i32_e64 s3, s33, v69
	v_cmp_gt_i32_e64 s4, s33, v70
	;; [unrolled: 1-line block ×8, first 2 shown]
	v_wmma_f32_16x16x16_f16 v[132:139], v[76:83], v[108:115], v[124:131]
	v_wmma_f32_16x16x16_f16 v[124:131], v[84:91], v[108:115], v[124:131]
	v_or_b32_e32 v76, 20, v65
	v_or_b32_e32 v77, 22, v65
	s_delay_alu instid0(VALU_DEP_4)
	v_wmma_f32_16x16x16_f16 v[132:139], v[92:99], v[116:123], v[132:139]
	v_or_b32_e32 v78, 24, v65
	v_or_b32_e32 v79, 26, v65
	;; [unrolled: 1-line block ×4, first 2 shown]
	v_mul_f32_e32 v82, s24, v139
	v_wmma_f32_16x16x16_f16 v[124:131], v[100:107], v[116:123], v[124:131]
	v_cndmask_b32_e32 v67, v67, v68, vcc_lo
	v_or_b32_e32 v68, 2, v65
	v_dual_mul_f32 v88, s24, v133 :: v_dual_mul_f32 v89, s24, v132
	v_cmp_gt_i32_e32 vcc_lo, s33, v65
	v_mul_f32_e32 v86, s24, v135
	s_delay_alu instid0(VALU_DEP_4) | instskip(SKIP_3) | instid1(VALU_DEP_4)
	v_cmp_gt_i32_e64 s2, s33, v68
	v_dual_mul_f32 v92, s24, v129 :: v_dual_mul_f32 v87, s24, v134
	v_cndmask_b32_e32 v65, 0xff7fffff, v89, vcc_lo
	v_mul_f32_e32 v84, s24, v137
	v_cndmask_b32_e64 v68, 0xff7fffff, v88, s2
	v_dual_mul_f32 v85, s24, v136 :: v_dual_mul_f32 v96, s24, v125
	v_cndmask_b32_e64 v69, 0xff7fffff, v87, s3
	v_cndmask_b32_e64 v70, 0xff7fffff, v86, s4
	s_delay_alu instid0(VALU_DEP_4) | instskip(SKIP_3) | instid1(VALU_DEP_4)
	v_max3_f32 v65, v65, 0xff7fffff, v68
	v_dual_mul_f32 v83, s24, v138 :: v_dual_mul_f32 v94, s24, v127
	v_cndmask_b32_e64 v68, 0xff7fffff, v85, s5
	v_cndmask_b32_e64 v71, 0xff7fffff, v84, s6
	v_max3_f32 v65, v65, v69, v70
	v_mul_f32_e32 v97, s24, v124
	v_cndmask_b32_e64 v69, 0xff7fffff, v83, s7
	v_cndmask_b32_e64 v70, 0xff7fffff, v82, s8
	v_mul_f32_e32 v95, s24, v126
	v_max3_f32 v65, v65, v68, v71
	v_cndmask_b32_e64 v68, 0xff7fffff, v97, s9
	v_cndmask_b32_e64 v71, 0xff7fffff, v96, s10
	v_cmp_gt_i32_e64 s11, s33, v76
	v_cmp_gt_i32_e64 s12, s33, v77
	v_max3_f32 v65, v65, v69, v70
	v_mul_f32_e32 v93, s24, v128
	v_cmp_gt_i32_e64 s13, s33, v78
	v_cndmask_b32_e64 v69, 0xff7fffff, v95, s11
	v_cndmask_b32_e64 v70, 0xff7fffff, v94, s12
	v_max3_f32 v65, v65, v68, v71
	v_cmp_gt_i32_e64 s16, s33, v79
	v_dual_mul_f32 v90, s24, v131 :: v_dual_mul_f32 v91, s24, v130
	v_cndmask_b32_e64 v68, 0xff7fffff, v93, s13
	s_delay_alu instid0(VALU_DEP_4) | instskip(NEXT) | instid1(VALU_DEP_4)
	v_max3_f32 v65, v65, v69, v70
	v_cndmask_b32_e64 v71, 0xff7fffff, v92, s16
	v_cmp_gt_i32_e64 s17, s33, v80
	v_cmp_gt_i32_e64 s18, s33, v81
	s_delay_alu instid0(VALU_DEP_3) | instskip(NEXT) | instid1(VALU_DEP_3)
	v_max3_f32 v65, v65, v68, v71
	v_cndmask_b32_e64 v69, 0xff7fffff, v91, s17
	s_delay_alu instid0(VALU_DEP_3) | instskip(SKIP_1) | instid1(VALU_DEP_2)
	v_cndmask_b32_e64 v70, 0xff7fffff, v90, s18
	v_lshlrev_b32_e32 v68, 2, v67
	v_max3_f32 v65, v65, v69, v70
	ds_bpermute_b32 v67, v68, v65
	s_waitcnt lgkmcnt(0)
	v_max_f32_e32 v67, v67, v67
	s_delay_alu instid0(VALU_DEP_1) | instskip(NEXT) | instid1(VALU_DEP_1)
	v_max_f32_e32 v65, v65, v67
	v_fma_f32 v71, s24, v135, -v65
	v_fma_f32 v67, s24, v132, -v65
	;; [unrolled: 1-line block ×5, first 2 shown]
	v_mul_f32_e32 v71, 0x3fb8aa3b, v71
	s_delay_alu instid0(VALU_DEP_3) | instskip(NEXT) | instid1(VALU_DEP_3)
	v_dual_mul_f32 v67, 0x3fb8aa3b, v67 :: v_dual_mul_f32 v70, 0x3fb8aa3b, v70
	v_mul_f32_e32 v72, 0x3fb8aa3b, v72
	s_delay_alu instid0(VALU_DEP_3) | instskip(NEXT) | instid1(VALU_DEP_2)
	v_exp_f32_e32 v71, v71
	v_exp_f32_e32 v67, v67
	s_delay_alu instid0(VALU_DEP_2) | instskip(NEXT) | instid1(VALU_DEP_1)
	v_exp_f32_e32 v76, v70
	v_exp_f32_e32 v79, v72
	v_cndmask_b32_e64 v71, 0, v71, s4
	s_delay_alu instid0(TRANS32_DEP_3)
	v_dual_mul_f32 v69, 0x3fb8aa3b, v69 :: v_dual_cndmask_b32 v70, 0, v67
	v_fma_f32 v67, s24, v137, -v65
	s_waitcnt_depctr 0xfff
	v_cndmask_b32_e64 v72, 0, v76, s3
	v_cndmask_b32_e64 v84, 0, v79, s5
	v_exp_f32_e32 v69, v69
	v_add_f32_e32 v77, 0, v70
	v_mul_f32_e32 v67, 0x3fb8aa3b, v67
	s_mov_b32 s3, exec_lo
	s_delay_alu instid0(VALU_DEP_1) | instskip(SKIP_2) | instid1(VALU_DEP_1)
	v_exp_f32_e32 v67, v67
	s_waitcnt_depctr 0xfff
	v_cndmask_b32_e64 v69, 0, v69, s2
	v_add_f32_e32 v76, v77, v69
	v_cndmask_b32_e64 v83, 0, v67, s6
	s_delay_alu instid0(VALU_DEP_2) | instskip(NEXT) | instid1(VALU_DEP_1)
	v_add_f32_e32 v76, v76, v72
	v_add_f32_e32 v76, v76, v71
	s_delay_alu instid0(VALU_DEP_1) | instskip(SKIP_1) | instid1(VALU_DEP_1)
	v_add_f32_e32 v67, v76, v84
	v_fma_f32 v76, s24, v126, -v65
	v_dual_add_f32 v67, v67, v83 :: v_dual_mul_f32 v76, 0x3fb8aa3b, v76
	v_fma_f32 v78, s24, v138, -v65
	v_fma_f32 v77, s24, v139, -v65
	;; [unrolled: 1-line block ×4, first 2 shown]
	v_exp_f32_e32 v76, v76
	s_delay_alu instid0(VALU_DEP_3) | instskip(NEXT) | instid1(VALU_DEP_2)
	v_dual_mul_f32 v78, 0x3fb8aa3b, v78 :: v_dual_mul_f32 v77, 0x3fb8aa3b, v77
	v_dual_mul_f32 v80, 0x3fb8aa3b, v80 :: v_dual_mul_f32 v79, 0x3fb8aa3b, v79
	s_delay_alu instid0(VALU_DEP_2) | instskip(NEXT) | instid1(VALU_DEP_2)
	v_exp_f32_e32 v78, v78
	v_exp_f32_e32 v77, v77
	s_delay_alu instid0(VALU_DEP_1) | instskip(NEXT) | instid1(VALU_DEP_1)
	v_exp_f32_e32 v80, v80
	v_exp_f32_e32 v79, v79
	v_cndmask_b32_e64 v90, 0, v76, s11
	v_cndmask_b32_e64 v86, 0, v78, s7
	v_fma_f32 v78, s24, v127, -v65
	s_delay_alu instid0(TRANS32_DEP_3) | instskip(SKIP_1) | instid1(TRANS32_DEP_2)
	v_cndmask_b32_e64 v85, 0, v77, s8
	v_fma_f32 v77, s24, v128, -v65
	v_cndmask_b32_e64 v88, 0, v80, s9
	v_add_f32_e32 v67, v67, v86
	v_mul_f32_e32 v78, 0x3fb8aa3b, v78
	v_fma_f32 v80, s24, v129, -v65
	v_mul_f32_e32 v77, 0x3fb8aa3b, v77
	v_cndmask_b32_e64 v87, 0, v79, s10
	v_add_f32_e32 v67, v67, v85
	v_exp_f32_e32 v78, v78
	v_fma_f32 v79, s24, v130, -v65
	v_mul_f32_e32 v80, 0x3fb8aa3b, v80
	v_exp_f32_e32 v77, v77
	s_delay_alu instid0(VALU_DEP_2) | instskip(NEXT) | instid1(VALU_DEP_2)
	v_dual_add_f32 v67, v67, v88 :: v_dual_mul_f32 v76, 0x3fb8aa3b, v79
	v_exp_f32_e32 v79, v80
	s_delay_alu instid0(VALU_DEP_1) | instskip(NEXT) | instid1(TRANS32_DEP_3)
	v_add_f32_e32 v67, v67, v87
	v_cndmask_b32_e64 v89, 0, v78, s12
	v_fma_f32 v78, s24, v131, -v65
	v_exp_f32_e32 v76, v76
	s_delay_alu instid0(TRANS32_DEP_3) | instskip(SKIP_1) | instid1(VALU_DEP_3)
	v_cndmask_b32_e64 v92, 0, v77, s13
	v_add_f32_e32 v67, v67, v90
	v_mul_f32_e32 v77, 0x3fb8aa3b, v78
	s_delay_alu instid0(TRANS32_DEP_2) | instskip(NEXT) | instid1(VALU_DEP_3)
	v_cndmask_b32_e64 v91, 0, v79, s16
	v_add_f32_e32 v67, v67, v89
	s_delay_alu instid0(VALU_DEP_3) | instskip(NEXT) | instid1(TRANS32_DEP_2)
	v_exp_f32_e32 v77, v77
	v_cndmask_b32_e64 v94, 0, v76, s17
	v_and_b32_e32 v76, 31, v0
	s_delay_alu instid0(VALU_DEP_3) | instskip(NEXT) | instid1(VALU_DEP_2)
	v_add_f32_e32 v67, v67, v92
	v_cmp_lt_u32_e64 s2, 15, v76
	s_delay_alu instid0(VALU_DEP_2) | instskip(SKIP_3) | instid1(VALU_DEP_1)
	v_add_f32_e32 v67, v67, v91
	s_waitcnt_depctr 0xfff
	v_cndmask_b32_e64 v93, 0, v77, s18
	v_add_f32_e32 v67, v67, v94
	v_add_f32_e32 v67, v67, v93
	ds_bpermute_b32 v68, v68, v67
	v_cmpx_gt_u32_e32 16, v76
	s_cbranch_execz .LBB786_11
; %bb.10:
	v_mul_u32_u24_e32 v76, 0x44, v66
	s_waitcnt lgkmcnt(0)
	v_add_f32_e32 v67, v67, v68
	s_delay_alu instid0(VALU_DEP_2) | instskip(NEXT) | instid1(VALU_DEP_1)
	v_lshl_add_u32 v76, v73, 2, v76
	v_add_nc_u32_e32 v68, 0x4000, v76
	ds_store_2addr_b32 v68, v65, v67 offset1:136
.LBB786_11:
	s_or_b32 exec_lo, exec_lo, s3
	v_lshlrev_b32_e32 v65, 2, v73
	s_load_b64 s[36:37], s[0:1], 0x94
	s_waitcnt lgkmcnt(0)
	s_barrier
	buffer_gl0_inv
	v_add_nc_u32_e32 v65, 0x4000, v65
	v_cmp_eq_u32_e32 vcc_lo, 1, v66
	v_cmp_eq_u32_e64 s3, 2, v66
	v_cmp_eq_u32_e64 s5, 3, v66
	;; [unrolled: 1-line block ×3, first 2 shown]
	ds_load_2addr_b32 v[76:77], v65 offset1:17
	ds_load_2addr_b32 v[78:79], v65 offset0:34 offset1:51
	ds_load_2addr_b32 v[80:81], v65 offset0:68 offset1:85
	;; [unrolled: 1-line block ×3, first 2 shown]
	v_cmp_eq_u32_e64 s7, 5, v66
	v_cmp_eq_u32_e64 s4, 6, v66
	s_waitcnt lgkmcnt(3)
	v_max3_f32 v67, v76, 0xff7fffff, v77
	s_waitcnt lgkmcnt(2)
	s_delay_alu instid0(VALU_DEP_1) | instskip(SKIP_1) | instid1(VALU_DEP_1)
	v_max3_f32 v67, v67, v78, v79
	s_waitcnt lgkmcnt(1)
	v_max3_f32 v67, v67, v80, v81
	s_waitcnt lgkmcnt(0)
	s_delay_alu instid0(VALU_DEP_1) | instskip(NEXT) | instid1(VALU_DEP_1)
	v_max3_f32 v67, v67, v95, v96
	v_sub_f32_e32 v82, v77, v67
	ds_load_2addr_b32 v[97:98], v65 offset0:136 offset1:153
	v_sub_f32_e32 v68, v76, v67
	ds_load_2addr_b32 v[76:77], v65 offset0:170 offset1:187
	v_sub_f32_e32 v80, v80, v67
	v_mul_f32_e32 v82, 0x3fb8aa3b, v82
	v_mul_f32_e32 v68, 0x3fb8aa3b, v68
	s_delay_alu instid0(VALU_DEP_3) | instskip(NEXT) | instid1(VALU_DEP_2)
	v_mul_f32_e32 v102, 0x3fb8aa3b, v80
	v_exp_f32_e32 v99, v68
	v_sub_f32_e32 v68, v79, v67
	s_delay_alu instid0(VALU_DEP_1) | instskip(NEXT) | instid1(VALU_DEP_1)
	v_dual_sub_f32 v78, v78, v67 :: v_dual_mul_f32 v101, 0x3fb8aa3b, v68
	v_mul_f32_e32 v100, 0x3fb8aa3b, v78
	ds_load_2addr_b32 v[78:79], v65 offset0:204 offset1:221
	s_waitcnt lgkmcnt(2)
	v_fma_f32 v68, v99, v97, 0
	v_sub_f32_e32 v97, v81, v67
	ds_load_2addr_b32 v[80:81], v65 offset0:238 offset1:255
	v_sub_f32_e32 v65, v95, v67
	v_exp_f32_e32 v82, v82
	v_exp_f32_e32 v101, v101
	v_mul_f32_e32 v95, 0x3fb8aa3b, v97
	v_exp_f32_e32 v97, v102
	v_mul_f32_e32 v65, 0x3fb8aa3b, v65
	v_exp_f32_e32 v100, v100
	s_waitcnt lgkmcnt(0)
	v_exp_f32_e32 v95, v95
	s_barrier
	buffer_gl0_inv
	v_fmac_f32_e32 v68, v82, v98
	s_delay_alu instid0(VALU_DEP_1) | instskip(SKIP_2) | instid1(VALU_DEP_2)
	v_fmac_f32_e32 v68, v100, v76
	v_sub_f32_e32 v76, v96, v67
	v_exp_f32_e32 v96, v65
	v_fmac_f32_e32 v68, v101, v77
	s_delay_alu instid0(VALU_DEP_2) | instskip(NEXT) | instid1(VALU_DEP_2)
	v_mul_f32_e32 v76, 0x3fb8aa3b, v76
	v_fmac_f32_e32 v68, v97, v78
	s_delay_alu instid0(VALU_DEP_2) | instskip(SKIP_1) | instid1(VALU_DEP_2)
	v_exp_f32_e32 v98, v76
	v_cndmask_b32_e32 v76, v99, v82, vcc_lo
	v_fmac_f32_e32 v68, v95, v79
	s_delay_alu instid0(TRANS32_DEP_2) | instid1(VALU_DEP_1)
	v_fmac_f32_e32 v68, v96, v80
	v_lshlrev_b32_e32 v80, 6, v73
	s_waitcnt_depctr 0xfff
	v_fmac_f32_e32 v68, v98, v81
	v_lshl_or_b32 v82, v66, 11, v80
	s_delay_alu instid0(VALU_DEP_2) | instskip(NEXT) | instid1(VALU_DEP_1)
	v_add_f32_e32 v81, 0x358637bd, v68
	v_div_scale_f32 v102, null, v81, v81, 1.0
	v_div_scale_f32 v99, vcc_lo, 1.0, v81, 1.0
	s_delay_alu instid0(VALU_DEP_2) | instskip(SKIP_2) | instid1(VALU_DEP_1)
	v_rcp_f32_e32 v103, v102
	s_waitcnt_depctr 0xfff
	v_fma_f32 v65, -v102, v103, 1.0
	v_fmac_f32_e32 v103, v65, v103
	v_cndmask_b32_e64 v65, v76, v100, s3
	v_cmp_eq_u32_e64 s3, 7, v66
	v_lshlrev_b32_e32 v76, 2, v75
	s_delay_alu instid0(VALU_DEP_4) | instskip(NEXT) | instid1(VALU_DEP_4)
	v_mul_f32_e32 v100, v99, v103
	v_cndmask_b32_e64 v77, v65, v101, s5
	v_mov_b32_e32 v65, 0
	s_delay_alu instid0(VALU_DEP_4)
	v_or_b32_e32 v79, 1, v76
	v_cmp_eq_u32_e64 s5, 1, v76
	v_fma_f32 v78, -v102, v100, v99
	v_cndmask_b32_e64 v97, v77, v97, s6
	v_or_b32_e32 v77, 2, v76
	v_cmp_eq_u32_e64 s9, 1, v79
	v_cmp_eq_u32_e64 s6, 2, v76
	v_fmac_f32_e32 v100, v78, v103
	v_cndmask_b32_e64 v66, v97, v95, s7
	v_or_b32_e32 v78, 3, v76
	v_cmp_eq_u32_e64 s10, 1, v77
	v_cmp_eq_u32_e64 s12, 2, v79
	v_fma_f32 v95, -v102, v100, v99
	v_cndmask_b32_e64 v66, v66, v96, s4
	v_cmp_eq_u32_e64 s11, 1, v78
	v_cmp_eq_u32_e64 s17, 2, v78
	;; [unrolled: 1-line block ×3, first 2 shown]
	v_div_fmas_f32 v95, v95, v103, v100
	v_cndmask_b32_e64 v66, v66, v98, s3
	v_cmp_eq_u32_e32 vcc_lo, 3, v76
	v_cmp_eq_u32_e64 s16, 2, v77
	v_cmp_eq_u32_e64 s19, 3, v78
	v_div_fixup_f32 v95, v95, v81, 1.0
	v_lshl_or_b32 v81, v75, 4, v82
	v_cmp_eq_u32_e64 s4, 4, v76
	v_cmp_eq_u32_e64 s18, 3, v77
	v_cmp_eq_u32_e64 s20, 4, v79
	v_mul_f32_e32 v66, v66, v95
	v_cmp_eq_u32_e64 s23, 4, v78
	v_cmp_eq_u32_e64 s7, 5, v76
	;; [unrolled: 1-line block ×4, first 2 shown]
	v_fma_mixlo_f16 v95, v66, v70, 0
	v_fma_mixlo_f16 v96, v66, v72, 0
	v_fma_mixlo_f16 v97, v66, v84, 0
	v_fma_mixlo_f16 v98, v66, v86, 0
	v_fma_mixlo_f16 v99, v66, v88, 0
	v_fma_mixlo_f16 v100, v66, v90, 0
	v_fma_mixlo_f16 v101, v66, v92, 0
	v_fma_mixlo_f16 v102, v66, v94, 0
	v_fma_mixhi_f16 v95, v66, v69, 0
	v_fma_mixhi_f16 v96, v66, v71, 0
	;; [unrolled: 1-line block ×8, first 2 shown]
	ds_store_b128 v81, v[95:98]
	ds_store_b128 v81, v[99:102] offset:1024
	s_waitcnt lgkmcnt(0)
	s_barrier
	buffer_gl0_inv
	ds_load_b128 v[69:72], v82
	ds_load_b128 v[83:86], v82 offset:16
	ds_load_b128 v[87:90], v82 offset:1024
	;; [unrolled: 1-line block ×3, first 2 shown]
	v_cmp_eq_u32_e64 s25, 5, v78
	v_cmp_eq_u32_e64 s3, 6, v76
	;; [unrolled: 1-line block ×10, first 2 shown]
	s_waitcnt lgkmcnt(3)
	v_lshrrev_b32_e32 v66, 16, v69
	s_waitcnt lgkmcnt(2)
	v_lshrrev_b32_e32 v98, 16, v83
	s_waitcnt lgkmcnt(1)
	v_lshrrev_b32_e32 v102, 16, v87
	s_waitcnt lgkmcnt(0)
	v_lshrrev_b32_e32 v106, 16, v91
	v_lshrrev_b32_e32 v95, 16, v70
	v_cndmask_b32_e64 v110, v69, v66, s5
	v_cndmask_b32_e64 v111, v83, v98, s5
	;; [unrolled: 1-line block ×7, first 2 shown]
	v_lshrrev_b32_e32 v99, 16, v84
	v_cndmask_b32_e64 v115, v83, v98, s10
	v_cndmask_b32_e64 v83, v87, v102, s5
	;; [unrolled: 1-line block ×15, first 2 shown]
	v_lshrrev_b32_e32 v103, 16, v88
	v_lshrrev_b32_e32 v107, 16, v92
	v_cndmask_b32_e64 v112, v114, v70, s16
	v_cndmask_b32_e64 v113, v115, v84, s16
	;; [unrolled: 1-line block ×7, first 2 shown]
	v_cndmask_b32_e32 v88, v102, v95, vcc_lo
	v_cndmask_b32_e32 v102, v106, v99, vcc_lo
	v_cndmask_b32_e64 v106, v110, v95, s13
	v_cndmask_b32_e64 v110, v111, v99, s13
	;; [unrolled: 1-line block ×4, first 2 shown]
	v_lshrrev_b32_e32 v96, 16, v71
	v_lshrrev_b32_e32 v100, 16, v85
	v_cndmask_b32_e64 v111, v112, v95, s18
	v_cndmask_b32_e64 v112, v113, v99, s18
	v_cndmask_b32_e32 v70, v70, v103, vcc_lo
	v_cndmask_b32_e32 v83, v83, v107, vcc_lo
	v_cndmask_b32_e64 v84, v84, v103, s13
	v_cndmask_b32_e64 v88, v88, v71, s4
	;; [unrolled: 1-line block ×7, first 2 shown]
	v_lshrrev_b32_e32 v104, 16, v89
	v_lshrrev_b32_e32 v108, 16, v93
	v_cndmask_b32_e64 v106, v111, v71, s22
	v_cndmask_b32_e64 v110, v112, v85, s22
	;; [unrolled: 1-line block ×11, first 2 shown]
	v_lshrrev_b32_e32 v97, 16, v72
	v_lshrrev_b32_e32 v101, 16, v86
	v_cndmask_b32_e64 v99, v106, v96, s24
	v_cndmask_b32_e64 v102, v110, v100, s24
	v_cndmask_b32_e64 v70, v70, v104, s7
	v_cndmask_b32_e64 v71, v71, v108, s7
	v_cndmask_b32_e64 v83, v83, v104, s21
	v_cndmask_b32_e64 v84, v84, v72, s3
	v_cndmask_b32_e64 v85, v85, v86, s3
	v_cndmask_b32_e64 v88, v88, v72, s26
	v_cndmask_b32_e64 v95, v95, v86, s26
	v_cndmask_b32_e64 v66, v66, v72, s28
	v_cndmask_b32_e64 v69, v69, v86, s28
	v_lshrrev_b32_e32 v105, 16, v90
	v_cndmask_b32_e64 v96, v99, v72, s27
	v_cndmask_b32_e64 v99, v102, v86, s27
	;; [unrolled: 1-line block ×14, first 2 shown]
	v_perm_b32 v72, v69, v66, 0x5040100
	v_perm_b32 v70, v95, v85, 0x5040100
	v_cndmask_b32_e64 v66, v91, v92, s17
	v_cndmask_b32_e64 v69, v119, v92, s16
	;; [unrolled: 1-line block ×4, first 2 shown]
	v_perm_b32 v71, v96, v88, 0x5040100
	v_cndmask_b32_e64 v88, v98, v103, s18
	v_cndmask_b32_e64 v87, v87, v103, s19
	;; [unrolled: 1-line block ×15, first 2 shown]
	v_lshrrev_b32_e32 v109, 16, v94
	v_cndmask_b32_e64 v88, v88, v90, s27
	v_cndmask_b32_e64 v87, v87, v90, s28
	;; [unrolled: 1-line block ×11, first 2 shown]
	v_perm_b32 v69, v84, v83, 0x5040100
	v_perm_b32 v86, v66, v87, 0x5040100
	;; [unrolled: 1-line block ×5, first 2 shown]
	s_mov_b32 s3, exec_lo
	ds_store_b128 v81, v[69:72]
	ds_store_b128 v81, v[83:86] offset:1024
	v_cmpx_eq_u32_e32 0, v0
	s_cbranch_execz .LBB786_13
; %bb.12:
	s_load_b128 s[4:7], s[0:1], 0x58
	s_mul_i32 s8, s37, s34
	s_delay_alu instid0(SALU_CYCLE_1) | instskip(NEXT) | instid1(SALU_CYCLE_1)
	s_add_i32 s8, s8, s15
	s_mul_i32 s8, s8, s36
	s_delay_alu instid0(SALU_CYCLE_1) | instskip(NEXT) | instid1(SALU_CYCLE_1)
	s_add_i32 s8, s8, s14
	s_ashr_i32 s9, s8, 31
	s_delay_alu instid0(SALU_CYCLE_1)
	s_lshl_b64 s[8:9], s[8:9], 2
	s_waitcnt lgkmcnt(0)
	s_add_u32 s6, s6, s8
	s_addc_u32 s7, s7, s9
	s_add_u32 s4, s4, s8
	s_addc_u32 s5, s5, s9
	s_clause 0x1
	global_store_b32 v65, v67, s[6:7]
	global_store_b32 v65, v68, s[4:5]
.LBB786_13:
	s_or_b32 exec_lo, exec_lo, s3
	s_waitcnt lgkmcnt(0)
	s_waitcnt_vscnt null, 0x0
	s_barrier
	buffer_gl0_inv
	ds_load_b128 v[83:86], v80
	ds_load_b128 v[87:90], v80 offset:16
	ds_load_b128 v[95:98], v80 offset:2064
	;; [unrolled: 1-line block ×5, first 2 shown]
	v_mov_b32_e32 v66, v65
	v_mov_b32_e32 v67, v65
	;; [unrolled: 1-line block ×7, first 2 shown]
	ds_load_b128 v[111:114], v80 offset:6160
	ds_load_b128 v[107:110], v80 offset:6144
	;; [unrolled: 1-line block ×4, first 2 shown]
	v_cmp_eq_u32_e32 vcc_lo, 1, v76
	v_cmp_eq_u32_e64 s3, 1, v79
	v_cmp_eq_u32_e64 s4, 1, v78
	;; [unrolled: 1-line block ×5, first 2 shown]
	s_waitcnt lgkmcnt(8)
	v_wmma_f32_16x16x16_f16 v[65:72], v[49:56], v[83:90], v[65:72]
	ds_load_b128 v[53:56], v80 offset:10256
	ds_load_b128 v[49:52], v80 offset:10240
	s_waitcnt lgkmcnt(8)
	v_wmma_f32_16x16x16_f16 v[65:72], v[41:48], v[91:98], v[65:72]
	ds_load_b128 v[45:48], v80 offset:12304
	ds_load_b128 v[41:44], v80 offset:12288
	;; [unrolled: 4-line block ×3, first 2 shown]
	s_waitcnt lgkmcnt(0)
	s_barrier
	buffer_gl0_inv
	v_wmma_f32_16x16x16_f16 v[65:72], v[1:8], v[107:114], v[65:72]
	s_delay_alu instid0(VALU_DEP_1) | instskip(NEXT) | instid1(VALU_DEP_1)
	v_wmma_f32_16x16x16_f16 v[65:72], v[9:16], v[115:122], v[65:72]
	v_wmma_f32_16x16x16_f16 v[65:72], v[17:24], v[49:56], v[65:72]
	s_delay_alu instid0(VALU_DEP_1) | instskip(NEXT) | instid1(VALU_DEP_1)
	v_wmma_f32_16x16x16_f16 v[65:72], v[25:32], v[41:48], v[65:72]
	v_wmma_f32_16x16x16_f16 v[65:72], v[57:64], v[33:40], v[65:72]
	s_delay_alu instid0(VALU_DEP_1) | instskip(NEXT) | instid1(VALU_DEP_2)
	v_cvt_f16_f32_e32 v1, v65
	v_cvt_f16_f32_e32 v2, v66
	s_delay_alu instid0(VALU_DEP_3) | instskip(NEXT) | instid1(VALU_DEP_4)
	v_cvt_f16_f32_e32 v3, v67
	v_cvt_f16_f32_e32 v4, v68
	;; [unrolled: 1-line block ×6, first 2 shown]
	v_pack_b32_f16 v1, v1, v2
	v_pack_b32_f16 v2, v3, v4
	;; [unrolled: 1-line block ×3, first 2 shown]
	s_delay_alu instid0(VALU_DEP_4)
	v_pack_b32_f16 v4, v7, v8
	ds_store_b128 v81, v[1:4]
	s_waitcnt lgkmcnt(0)
	s_barrier
	buffer_gl0_inv
	ds_load_b128 v[1:4], v82
	ds_load_b128 v[5:8], v82 offset:16
	s_waitcnt lgkmcnt(1)
	v_lshrrev_b32_e32 v9, 16, v1
	s_waitcnt lgkmcnt(0)
	v_lshrrev_b32_e32 v13, 16, v5
	v_lshrrev_b32_e32 v16, 16, v8
	;; [unrolled: 1-line block ×4, first 2 shown]
	v_cndmask_b32_e32 v17, v1, v9, vcc_lo
	v_cndmask_b32_e32 v18, v5, v13, vcc_lo
	v_cmp_eq_u32_e32 vcc_lo, 1, v77
	v_cndmask_b32_e64 v19, v1, v9, s3
	v_cndmask_b32_e64 v20, v5, v13, s3
	v_cmp_eq_u32_e64 s3, 2, v77
	v_lshrrev_b32_e32 v11, 16, v3
	v_cndmask_b32_e32 v21, v1, v9, vcc_lo
	v_cndmask_b32_e32 v22, v5, v13, vcc_lo
	v_cndmask_b32_e64 v1, v1, v9, s4
	v_cmp_eq_u32_e32 vcc_lo, 2, v78
	v_cndmask_b32_e64 v5, v5, v13, s4
	v_cmp_eq_u32_e64 s4, 2, v79
	v_cndmask_b32_e64 v9, v17, v2, s5
	v_cndmask_b32_e64 v13, v18, v6, s5
	v_cmp_eq_u32_e64 s5, 3, v79
	v_cndmask_b32_e32 v1, v1, v2, vcc_lo
	v_cndmask_b32_e64 v17, v19, v2, s4
	v_cndmask_b32_e64 v18, v20, v6, s4
	;; [unrolled: 1-line block ×4, first 2 shown]
	v_cndmask_b32_e32 v2, v5, v6, vcc_lo
	v_cmp_eq_u32_e32 vcc_lo, 3, v77
	v_cmp_eq_u32_e64 s4, 3, v78
	v_cndmask_b32_e64 v5, v9, v10, s6
	v_cndmask_b32_e64 v6, v13, v14, s6
	;; [unrolled: 1-line block ×4, first 2 shown]
	v_cndmask_b32_e32 v17, v19, v10, vcc_lo
	v_cmp_eq_u32_e64 s3, 4, v77
	v_cndmask_b32_e32 v18, v20, v14, vcc_lo
	v_cndmask_b32_e64 v1, v1, v10, s4
	v_cmp_eq_u32_e32 vcc_lo, 4, v78
	v_cmp_eq_u32_e64 s5, 4, v76
	v_cndmask_b32_e64 v2, v2, v14, s4
	v_cmp_eq_u32_e64 s4, 4, v79
	v_lshrrev_b32_e32 v15, 16, v7
	v_cmp_eq_u32_e64 s6, 5, v76
	v_cndmask_b32_e64 v5, v5, v3, s5
	v_cndmask_b32_e64 v6, v6, v7, s5
	v_cndmask_b32_e64 v9, v9, v3, s4
	v_cndmask_b32_e64 v10, v13, v7, s4
	v_cndmask_b32_e64 v13, v17, v3, s3
	v_cndmask_b32_e64 v14, v18, v7, s3
	v_cmp_eq_u32_e64 s4, 5, v77
	v_cndmask_b32_e32 v1, v1, v3, vcc_lo
	v_cndmask_b32_e32 v2, v2, v7, vcc_lo
	v_cmp_eq_u32_e32 vcc_lo, 5, v78
	v_cmp_eq_u32_e64 s5, 5, v79
	v_cndmask_b32_e64 v5, v5, v11, s6
	v_cmp_eq_u32_e64 s3, 6, v76
	v_cndmask_b32_e64 v6, v6, v15, s6
	v_cndmask_b32_e64 v13, v13, v11, s4
	;; [unrolled: 1-line block ×3, first 2 shown]
	v_cndmask_b32_e32 v1, v1, v11, vcc_lo
	v_cmp_eq_u32_e64 s4, 6, v78
	v_cndmask_b32_e32 v2, v2, v15, vcc_lo
	v_cndmask_b32_e64 v9, v9, v11, s5
	v_cndmask_b32_e64 v10, v10, v15, s5
	v_cmp_eq_u32_e64 s5, 6, v79
	v_lshrrev_b32_e32 v12, 16, v4
	v_cndmask_b32_e64 v5, v5, v4, s3
	v_cndmask_b32_e64 v6, v6, v8, s3
	v_cmp_eq_u32_e64 s3, 7, v76
	v_cndmask_b32_e64 v1, v1, v4, s4
	v_cmp_eq_u32_e32 vcc_lo, 7, v78
	v_cndmask_b32_e64 v2, v2, v8, s4
	v_cndmask_b32_e64 v9, v9, v4, s5
	v_cmp_eq_u32_e64 s6, 7, v79
	v_cndmask_b32_e64 v7, v13, v4, s7
	v_cndmask_b32_e64 v3, v3, v8, s7
	v_cndmask_b32_e32 v2, v2, v16, vcc_lo
	v_cmp_eq_u32_e64 s4, 7, v77
	v_cndmask_b32_e64 v4, v10, v8, s5
	v_cndmask_b32_e64 v5, v5, v12, s3
	v_cndmask_b32_e32 v1, v1, v12, vcc_lo
	v_cndmask_b32_e64 v6, v6, v16, s3
	v_cmp_lt_u32_e32 vcc_lo, 31, v0
	v_cmp_lt_u32_e64 s3, 7, v73
	v_cndmask_b32_e64 v9, v9, v12, s6
	v_cndmask_b32_e64 v7, v7, v12, s4
	;; [unrolled: 1-line block ×4, first 2 shown]
	s_or_b32 s3, vcc_lo, s3
	v_perm_b32 v4, v2, v1, 0x5040100
	v_perm_b32 v1, v6, v5, 0x5040100
	;; [unrolled: 1-line block ×4, first 2 shown]
	s_or_b32 s2, s2, s3
	s_delay_alu instid0(SALU_CYCLE_1)
	s_xor_b32 s2, s2, -1
	ds_store_b128 v81, v[1:4]
	s_waitcnt lgkmcnt(0)
	s_barrier
	buffer_gl0_inv
	s_and_saveexec_b32 s3, s2
	s_cbranch_execz .LBB786_2
; %bb.14:
	s_load_b64 s[0:1], s[0:1], 0x68
	v_lshlrev_b32_e32 v1, 10, v0
	v_and_b32_e32 v0, 1, v0
	v_lshlrev_b32_e32 v2, 6, v75
	s_lshl_b32 s4, s36, 6
	s_delay_alu instid0(VALU_DEP_3) | instskip(NEXT) | instid1(VALU_DEP_3)
	v_and_b32_e32 v1, 0x3800, v1
	v_lshlrev_b32_e32 v0, 4, v0
	s_mul_i32 s2, s4, s34
	s_delay_alu instid0(SALU_CYCLE_1) | instskip(NEXT) | instid1(VALU_DEP_1)
	s_mul_i32 s2, s2, s37
	v_or3_b32 v0, v1, v2, v0
	s_ashr_i32 s3, s2, 31
	s_delay_alu instid0(SALU_CYCLE_1)
	s_lshl_b64 s[2:3], s[2:3], 1
	ds_load_b128 v[0:3], v0
	s_waitcnt lgkmcnt(0)
	s_add_u32 s5, s0, s2
	s_addc_u32 s3, s1, s3
	s_lshl_b32 s0, s14, 6
	s_mul_i32 s2, s4, s15
	s_ashr_i32 s1, s0, 31
	s_delay_alu instid0(SALU_CYCLE_1) | instskip(NEXT) | instid1(SALU_CYCLE_1)
	s_lshl_b64 s[0:1], s[0:1], 1
	s_add_u32 s4, s5, s0
	s_addc_u32 s5, s3, s1
	s_ashr_i32 s3, s2, 31
	s_delay_alu instid0(SALU_CYCLE_1) | instskip(NEXT) | instid1(SALU_CYCLE_1)
	s_lshl_b64 s[0:1], s[2:3], 1
	s_add_u32 s0, s4, s0
	s_addc_u32 s1, s5, s1
	global_store_b128 v74, v[0:3], s[0:1]
	s_nop 0
	s_sendmsg sendmsg(MSG_DEALLOC_VGPRS)
	s_endpgm
	.section	.rodata,"a",@progbits
	.p2align	6, 0x0
	.amdhsa_kernel _Z39paged_attention_ll4mi_QKV_mfma16_kernelIDF16_hLN4vllm18Fp8KVCacheDataTypeE1EhLi16ELi64ELi256ELb1ELi1EL8MFMAType1EEvPKT_PKT0_S8_ifPKiSA_SA_iPKfiiiPfSD_PS3_PT2_iSC_SC_
		.amdhsa_group_segment_fixed_size 17472
		.amdhsa_private_segment_fixed_size 0
		.amdhsa_kernarg_size 400
		.amdhsa_user_sgpr_count 13
		.amdhsa_user_sgpr_dispatch_ptr 0
		.amdhsa_user_sgpr_queue_ptr 0
		.amdhsa_user_sgpr_kernarg_segment_ptr 1
		.amdhsa_user_sgpr_dispatch_id 0
		.amdhsa_user_sgpr_private_segment_size 0
		.amdhsa_wavefront_size32 1
		.amdhsa_uses_dynamic_stack 0
		.amdhsa_enable_private_segment 0
		.amdhsa_system_sgpr_workgroup_id_x 1
		.amdhsa_system_sgpr_workgroup_id_y 1
		.amdhsa_system_sgpr_workgroup_id_z 1
		.amdhsa_system_sgpr_workgroup_info 0
		.amdhsa_system_vgpr_workitem_id 0
		.amdhsa_next_free_vgpr 144
		.amdhsa_next_free_sgpr 48
		.amdhsa_reserve_vcc 1
		.amdhsa_float_round_mode_32 0
		.amdhsa_float_round_mode_16_64 0
		.amdhsa_float_denorm_mode_32 3
		.amdhsa_float_denorm_mode_16_64 3
		.amdhsa_dx10_clamp 1
		.amdhsa_ieee_mode 1
		.amdhsa_fp16_overflow 0
		.amdhsa_workgroup_processor_mode 1
		.amdhsa_memory_ordered 1
		.amdhsa_forward_progress 0
		.amdhsa_shared_vgpr_count 0
		.amdhsa_exception_fp_ieee_invalid_op 0
		.amdhsa_exception_fp_denorm_src 0
		.amdhsa_exception_fp_ieee_div_zero 0
		.amdhsa_exception_fp_ieee_overflow 0
		.amdhsa_exception_fp_ieee_underflow 0
		.amdhsa_exception_fp_ieee_inexact 0
		.amdhsa_exception_int_div_zero 0
	.end_amdhsa_kernel
	.section	.text._Z39paged_attention_ll4mi_QKV_mfma16_kernelIDF16_hLN4vllm18Fp8KVCacheDataTypeE1EhLi16ELi64ELi256ELb1ELi1EL8MFMAType1EEvPKT_PKT0_S8_ifPKiSA_SA_iPKfiiiPfSD_PS3_PT2_iSC_SC_,"axG",@progbits,_Z39paged_attention_ll4mi_QKV_mfma16_kernelIDF16_hLN4vllm18Fp8KVCacheDataTypeE1EhLi16ELi64ELi256ELb1ELi1EL8MFMAType1EEvPKT_PKT0_S8_ifPKiSA_SA_iPKfiiiPfSD_PS3_PT2_iSC_SC_,comdat
.Lfunc_end786:
	.size	_Z39paged_attention_ll4mi_QKV_mfma16_kernelIDF16_hLN4vllm18Fp8KVCacheDataTypeE1EhLi16ELi64ELi256ELb1ELi1EL8MFMAType1EEvPKT_PKT0_S8_ifPKiSA_SA_iPKfiiiPfSD_PS3_PT2_iSC_SC_, .Lfunc_end786-_Z39paged_attention_ll4mi_QKV_mfma16_kernelIDF16_hLN4vllm18Fp8KVCacheDataTypeE1EhLi16ELi64ELi256ELb1ELi1EL8MFMAType1EEvPKT_PKT0_S8_ifPKiSA_SA_iPKfiiiPfSD_PS3_PT2_iSC_SC_
                                        ; -- End function
	.section	.AMDGPU.csdata,"",@progbits
; Kernel info:
; codeLenInByte = 6204
; NumSgprs: 50
; NumVgprs: 144
; ScratchSize: 0
; MemoryBound: 1
; FloatMode: 240
; IeeeMode: 1
; LDSByteSize: 17472 bytes/workgroup (compile time only)
; SGPRBlocks: 6
; VGPRBlocks: 17
; NumSGPRsForWavesPerEU: 50
; NumVGPRsForWavesPerEU: 144
; Occupancy: 10
; WaveLimiterHint : 1
; COMPUTE_PGM_RSRC2:SCRATCH_EN: 0
; COMPUTE_PGM_RSRC2:USER_SGPR: 13
; COMPUTE_PGM_RSRC2:TRAP_HANDLER: 0
; COMPUTE_PGM_RSRC2:TGID_X_EN: 1
; COMPUTE_PGM_RSRC2:TGID_Y_EN: 1
; COMPUTE_PGM_RSRC2:TGID_Z_EN: 1
; COMPUTE_PGM_RSRC2:TIDIG_COMP_CNT: 0
	.section	.text._Z39paged_attention_ll4mi_QKV_mfma16_kernelIDF16_hLN4vllm18Fp8KVCacheDataTypeE1EhLi16ELi64ELi256ELb1ELi2EL8MFMAType1EEvPKT_PKT0_S8_ifPKiSA_SA_iPKfiiiPfSD_PS3_PT2_iSC_SC_,"axG",@progbits,_Z39paged_attention_ll4mi_QKV_mfma16_kernelIDF16_hLN4vllm18Fp8KVCacheDataTypeE1EhLi16ELi64ELi256ELb1ELi2EL8MFMAType1EEvPKT_PKT0_S8_ifPKiSA_SA_iPKfiiiPfSD_PS3_PT2_iSC_SC_,comdat
	.protected	_Z39paged_attention_ll4mi_QKV_mfma16_kernelIDF16_hLN4vllm18Fp8KVCacheDataTypeE1EhLi16ELi64ELi256ELb1ELi2EL8MFMAType1EEvPKT_PKT0_S8_ifPKiSA_SA_iPKfiiiPfSD_PS3_PT2_iSC_SC_ ; -- Begin function _Z39paged_attention_ll4mi_QKV_mfma16_kernelIDF16_hLN4vllm18Fp8KVCacheDataTypeE1EhLi16ELi64ELi256ELb1ELi2EL8MFMAType1EEvPKT_PKT0_S8_ifPKiSA_SA_iPKfiiiPfSD_PS3_PT2_iSC_SC_
	.globl	_Z39paged_attention_ll4mi_QKV_mfma16_kernelIDF16_hLN4vllm18Fp8KVCacheDataTypeE1EhLi16ELi64ELi256ELb1ELi2EL8MFMAType1EEvPKT_PKT0_S8_ifPKiSA_SA_iPKfiiiPfSD_PS3_PT2_iSC_SC_
	.p2align	8
	.type	_Z39paged_attention_ll4mi_QKV_mfma16_kernelIDF16_hLN4vllm18Fp8KVCacheDataTypeE1EhLi16ELi64ELi256ELb1ELi2EL8MFMAType1EEvPKT_PKT0_S8_ifPKiSA_SA_iPKfiiiPfSD_PS3_PT2_iSC_SC_,@function
_Z39paged_attention_ll4mi_QKV_mfma16_kernelIDF16_hLN4vllm18Fp8KVCacheDataTypeE1EhLi16ELi64ELi256ELb1ELi2EL8MFMAType1EEvPKT_PKT0_S8_ifPKiSA_SA_iPKfiiiPfSD_PS3_PT2_iSC_SC_: ; @_Z39paged_attention_ll4mi_QKV_mfma16_kernelIDF16_hLN4vllm18Fp8KVCacheDataTypeE1EhLi16ELi64ELi256ELb1ELi2EL8MFMAType1EEvPKT_PKT0_S8_ifPKiSA_SA_iPKfiiiPfSD_PS3_PT2_iSC_SC_
; %bb.0:
	s_load_b64 s[2:3], s[0:1], 0x30
	s_mov_b32 s30, s13
	s_waitcnt lgkmcnt(0)
	s_cmp_lg_u64 s[2:3], 0
	s_cselect_b32 s6, -1, 0
	s_ashr_i32 s31, s13, 31
	s_cmp_eq_u64 s[2:3], 0
	s_cbranch_scc1 .LBB787_3
; %bb.1:
	s_lshl_b64 s[4:5], s[30:31], 2
	s_delay_alu instid0(SALU_CYCLE_1) | instskip(SKIP_4) | instid1(SALU_CYCLE_1)
	s_add_u32 s4, s2, s4
	s_addc_u32 s5, s3, s5
	s_load_b64 s[4:5], s[4:5], 0x0
	s_waitcnt lgkmcnt(0)
	s_sub_i32 s4, s5, s4
	s_cmp_eq_u32 s4, 1
	s_cselect_b32 s4, -1, 0
	s_delay_alu instid0(SALU_CYCLE_1)
	s_and_not1_b32 vcc_lo, exec_lo, s4
	s_cbranch_vccz .LBB787_4
.LBB787_2:
	s_endpgm
.LBB787_3:
.LBB787_4:
	s_load_b64 s[8:9], s[0:1], 0x28
	s_lshl_b64 s[4:5], s[30:31], 2
	s_waitcnt lgkmcnt(0)
	s_add_u32 s8, s8, s4
	s_addc_u32 s9, s9, s5
	s_lshl_b32 s16, s14, 8
	s_load_b32 s17, s[8:9], 0x0
	s_waitcnt lgkmcnt(0)
	s_cmp_ge_i32 s16, s17
	s_cbranch_scc1 .LBB787_2
; %bb.5:
	s_clause 0x1
	s_load_b128 s[8:11], s[0:1], 0x8
	s_load_b64 s[12:13], s[0:1], 0x20
	s_and_not1_b32 vcc_lo, exec_lo, s6
	s_cbranch_vccnz .LBB787_7
; %bb.6:
	s_add_u32 s2, s2, s4
	s_addc_u32 s3, s3, s5
	s_load_b32 s3, s[2:3], 0x0
	s_branch .LBB787_8
.LBB787_7:
	s_mov_b32 s3, s30
.LBB787_8:
	s_load_b128 s[4:7], s[0:1], 0x48
	v_and_b32_e32 v70, 15, v0
	v_bfe_u32 v69, v0, 4, 1
	s_lshl_b32 s33, s15, 1
	v_cmp_gt_u32_e32 vcc_lo, 32, v0
	v_and_b32_e32 v71, 31, v0
	v_lshlrev_b32_e32 v1, 3, v70
	v_cmp_gt_u32_e64 s2, 8, v70
	v_and_b32_e32 v68, 1, v0
	v_or_b32_e32 v67, s33, v69
	v_lshlrev_b32_e32 v66, 6, v69
	v_lshlrev_b32_e32 v65, 1, v1
	s_and_b32 s31, vcc_lo, s2
	s_delay_alu instid0(SALU_CYCLE_1)
	s_and_saveexec_b32 s2, s31
	s_cbranch_execz .LBB787_10
; %bb.9:
	s_load_b64 s[18:19], s[0:1], 0x0
	v_lshlrev_b32_e32 v1, 6, v67
	s_waitcnt lgkmcnt(0)
	s_mul_hi_i32 s21, s3, s4
	s_mul_i32 s20, s3, s4
	v_lshlrev_b32_e32 v5, 10, v70
	s_lshl_b64 s[20:21], s[20:21], 1
	v_ashrrev_i32_e32 v2, 31, v1
	v_lshlrev_b32_e32 v6, 10, v68
	s_delay_alu instid0(VALU_DEP_3) | instskip(NEXT) | instid1(VALU_DEP_3)
	v_and_b32_e32 v5, 0x3800, v5
	v_lshlrev_b64 v[1:2], 1, v[1:2]
	s_delay_alu instid0(VALU_DEP_2) | instskip(SKIP_2) | instid1(VALU_DEP_2)
	v_or3_b32 v5, v5, v6, v66
	s_add_u32 s3, s18, s20
	s_addc_u32 s4, s19, s21
	v_add_co_u32 v1, vcc_lo, s3, v1
	s_delay_alu instid0(VALU_DEP_3) | instskip(NEXT) | instid1(VALU_DEP_2)
	v_add_co_ci_u32_e32 v2, vcc_lo, s4, v2, vcc_lo
	v_add_co_u32 v1, vcc_lo, v1, v65
	s_delay_alu instid0(VALU_DEP_2)
	v_add_co_ci_u32_e32 v2, vcc_lo, 0, v2, vcc_lo
	global_load_b128 v[1:4], v[1:2], off
	s_waitcnt vmcnt(0)
	ds_store_b128 v5, v[1:4]
.LBB787_10:
	s_or_b32 exec_lo, exec_lo, s2
	v_and_b32_e32 v1, 0xef, v0
	s_add_i32 s2, s17, 15
	s_waitcnt lgkmcnt(0)
	s_clause 0x1
	s_load_b32 s3, s[0:1], 0x38
	s_load_b32 s34, s[0:1], 0x98
	s_ashr_i32 s4, s2, 31
	v_add_nc_u32_e32 v1, s16, v1
	s_lshr_b32 s4, s4, 28
	s_load_b32 s18, s[0:1], 0x1c
	s_add_i32 s2, s2, s4
	s_waitcnt lgkmcnt(0)
	v_ashrrev_i32_e32 v2, 31, v1
	v_or_b32_e32 v3, 16, v1
	s_ashr_i32 s2, s2, 4
	v_cmp_gt_i32_e32 vcc_lo, s17, v1
	s_add_i32 s2, s2, -1
	v_lshrrev_b32_e32 v2, 28, v2
	s_barrier
	buffer_gl0_inv
	s_mul_i32 s15, s15, s6
	v_lshrrev_b32_e32 v72, 5, v0
	v_add_nc_u32_e32 v4, v1, v2
	v_mbcnt_lo_u32_b32 v129, -1, 0
	s_mul_i32 s20, s30, s3
	v_and_b32_e32 v105, 0xe0, v0
	s_ashr_i32 s21, s20, 31
	v_ashrrev_i32_e32 v4, 4, v4
	v_add_nc_u32_e32 v2, v3, v2
	s_lshl_b64 s[20:21], s[20:21], 2
	v_xor_b32_e32 v130, 16, v129
	s_add_u32 s19, s12, s20
	v_cndmask_b32_e32 v1, s2, v4, vcc_lo
	v_ashrrev_i32_e32 v2, 4, v2
	v_cmp_gt_i32_e32 vcc_lo, s17, v3
	s_addc_u32 s12, s13, s21
	s_ashr_i32 s13, s15, 31
	s_add_u32 s3, s8, s15
	s_addc_u32 s4, s9, s13
	v_cndmask_b32_e32 v3, s2, v2, vcc_lo
	v_ashrrev_i32_e32 v2, 31, v1
	s_lshl_b32 s6, s14, 4
	v_add_nc_u32_e32 v121, s16, v105
	s_ashr_i32 s7, s6, 31
	v_ashrrev_i32_e32 v4, 31, v3
	v_lshlrev_b64 v[1:2], 2, v[1:2]
	s_lshl_b64 s[6:7], s[6:7], 2
	v_or_b32_e32 v137, v121, v69
	s_add_u32 s6, s19, s6
	v_lshlrev_b64 v[3:4], 2, v[3:4]
	s_addc_u32 s7, s12, s7
	v_add_co_u32 v1, vcc_lo, s19, v1
	v_add_co_ci_u32_e32 v2, vcc_lo, s12, v2, vcc_lo
	s_delay_alu instid0(VALU_DEP_3) | instskip(NEXT) | instid1(VALU_DEP_4)
	v_add_co_u32 v3, vcc_lo, s19, v3
	v_add_co_ci_u32_e32 v4, vcc_lo, s12, v4, vcc_lo
	s_clause 0x1
	global_load_b32 v5, v[1:2], off
	global_load_b32 v7, v[3:4], off
	s_or_b32 s8, s16, 32
	v_lshlrev_b32_e32 v1, 4, v0
	s_ashr_i32 s9, s8, 4
	s_cmp_lt_i32 s8, s17
	v_cmp_gt_i32_e32 vcc_lo, 32, v130
	s_cselect_b32 s8, s9, s2
	v_and_b32_e32 v1, 0xf0, v1
	s_ashr_i32 s9, s8, 31
	v_dual_cndmask_b32 v138, v129, v130 :: v_dual_lshlrev_b32 v117, 6, v68
	s_lshl_b64 s[8:9], s[8:9], 2
	s_delay_alu instid0(VALU_DEP_2)
	v_add_co_u32 v1, s3, s3, v1
	s_add_u32 s20, s19, s8
	s_addc_u32 s21, s12, s9
	s_or_b32 s8, s16, 64
	v_add_co_ci_u32_e64 v2, null, s4, 0, s3
	s_ashr_i32 s9, s8, 4
	s_cmp_lt_i32 s8, s17
	v_or_b32_e32 v139, 2, v137
	s_cselect_b32 s8, s9, s2
	v_or_b32_e32 v140, 4, v137
	s_ashr_i32 s9, s8, 31
	v_or_b32_e32 v141, 6, v137
	s_lshl_b64 s[8:9], s[8:9], 2
	v_cmp_gt_i32_e32 vcc_lo, s17, v137
	s_add_u32 s22, s19, s8
	s_addc_u32 s23, s12, s9
	s_or_b32 s8, s16, 0x60
	v_or_b32_e32 v142, 8, v137
	s_ashr_i32 s9, s8, 4
	s_cmp_lt_i32 s8, s17
	v_or_b32_e32 v143, 10, v137
	s_cselect_b32 s8, s9, s2
	v_or_b32_e32 v144, 12, v137
	s_ashr_i32 s9, s8, 31
	v_or_b32_e32 v145, 14, v137
	s_lshl_b64 s[8:9], s[8:9], 2
	v_or_b32_e32 v146, 16, v137
	s_add_u32 s24, s19, s8
	s_addc_u32 s25, s12, s9
	s_or_b32 s8, s16, 0x80
	v_or_b32_e32 v147, 18, v137
	s_ashr_i32 s9, s8, 4
	s_cmp_lt_i32 s8, s17
	s_cselect_b32 s8, s9, s2
	s_delay_alu instid0(SALU_CYCLE_1) | instskip(NEXT) | instid1(SALU_CYCLE_1)
	s_ashr_i32 s9, s8, 31
	s_lshl_b64 s[8:9], s[8:9], 2
	s_delay_alu instid0(SALU_CYCLE_1) | instskip(SKIP_2) | instid1(SALU_CYCLE_1)
	s_add_u32 s26, s19, s8
	s_addc_u32 s27, s12, s9
	s_or_b32 s8, s16, 0xa0
	s_ashr_i32 s9, s8, 4
	s_cmp_lt_i32 s8, s17
	s_cselect_b32 s8, s9, s2
	s_delay_alu instid0(SALU_CYCLE_1) | instskip(NEXT) | instid1(SALU_CYCLE_1)
	s_ashr_i32 s9, s8, 31
	s_lshl_b64 s[8:9], s[8:9], 2
	s_delay_alu instid0(SALU_CYCLE_1)
	s_add_u32 s28, s19, s8
	s_addc_u32 s29, s12, s9
	s_clause 0x5
	s_load_b32 s9, s[6:7], 0x0
	s_load_b32 s3, s[20:21], 0x0
	;; [unrolled: 1-line block ×6, first 2 shown]
	s_or_b32 s20, s16, 0xc0
	s_delay_alu instid0(SALU_CYCLE_1) | instskip(SKIP_2) | instid1(SALU_CYCLE_1)
	s_ashr_i32 s21, s20, 4
	s_cmp_lt_i32 s20, s17
	s_cselect_b32 s20, s21, s2
	s_ashr_i32 s21, s20, 31
	s_delay_alu instid0(SALU_CYCLE_1) | instskip(NEXT) | instid1(SALU_CYCLE_1)
	s_lshl_b64 s[20:21], s[20:21], 2
	s_add_u32 s20, s19, s20
	s_addc_u32 s21, s12, s21
	s_or_b32 s22, s16, 0xe0
	s_delay_alu instid0(SALU_CYCLE_1) | instskip(SKIP_2) | instid1(SALU_CYCLE_1)
	s_ashr_i32 s23, s22, 4
	s_cmp_lt_i32 s22, s17
	s_cselect_b32 s22, s23, s2
	s_ashr_i32 s23, s22, 31
	s_delay_alu instid0(SALU_CYCLE_1)
	s_lshl_b64 s[22:23], s[22:23], 2
	s_waitcnt vmcnt(1)
	v_mad_i64_i32 v[3:4], null, v5, s5, v[1:2]
	s_waitcnt vmcnt(0)
	v_mad_i64_i32 v[5:6], null, v7, s5, v[1:2]
	v_lshlrev_b32_e32 v1, 4, v70
	s_clause 0x7
	global_load_b128 v[73:76], v[3:4], off
	global_load_b128 v[77:80], v[3:4], off offset:256
	global_load_b128 v[81:84], v[5:6], off
	global_load_b128 v[85:88], v[5:6], off offset:256
	global_load_b128 v[89:92], v[3:4], off offset:512
	;; [unrolled: 1-line block ×5, first 2 shown]
	v_lshl_or_b32 v1, v72, 8, v1
	s_load_b32 s2, s[20:21], 0x0
	s_add_u32 s20, s19, s22
	s_addc_u32 s21, s12, s23
	s_add_u32 s10, s10, s15
	s_addc_u32 s11, s11, s13
	v_add_co_u32 v1, s10, s10, v1
	s_delay_alu instid0(VALU_DEP_1) | instskip(SKIP_2) | instid1(VALU_DEP_1)
	v_add_co_ci_u32_e64 v2, null, s11, 0, s10
	s_load_b32 s10, s[20:21], 0x0
	s_waitcnt lgkmcnt(0)
	v_mad_i64_i32 v[3:4], null, s9, s5, v[1:2]
	v_mad_i64_i32 v[9:10], null, s6, s5, v[1:2]
	;; [unrolled: 1-line block ×7, first 2 shown]
	s_clause 0x5
	global_load_b128 v[49:52], v[3:4], off
	global_load_b128 v[53:56], v[3:4], off offset:16
	global_load_b128 v[41:44], v[5:6], off
	global_load_b128 v[45:48], v[5:6], off offset:16
	;; [unrolled: 2-line block ×3, first 2 shown]
	s_mov_b32 s4, 0
	v_cmp_gt_i32_e64 s2, s17, v139
	v_mad_i64_i32 v[61:62], null, s10, s5, v[1:2]
	s_clause 0x9
	global_load_b128 v[1:4], v[9:10], off
	global_load_b128 v[5:8], v[9:10], off offset:16
	global_load_b128 v[9:12], v[13:14], off
	global_load_b128 v[13:16], v[13:14], off offset:16
	;; [unrolled: 2-line block ×5, first 2 shown]
	ds_load_b128 v[105:108], v117
	ds_load_b128 v[109:112], v117 offset:1024
	ds_load_b128 v[113:116], v117 offset:2048
	;; [unrolled: 1-line block ×3, first 2 shown]
	s_mov_b32 s11, s4
	s_mov_b32 s5, s4
	;; [unrolled: 1-line block ×7, first 2 shown]
	s_delay_alu instid0(SALU_CYCLE_1)
	v_dual_mov_b32 v128, s11 :: v_dual_mov_b32 v127, s10
	v_dual_mov_b32 v126, s9 :: v_dual_mov_b32 v125, s8
	v_dual_mov_b32 v124, s7 :: v_dual_mov_b32 v123, s6
	v_dual_mov_b32 v122, s5 :: v_dual_mov_b32 v121, s4
	v_cmp_gt_i32_e64 s3, s17, v140
	v_cmp_gt_i32_e64 s4, s17, v141
	;; [unrolled: 1-line block ×8, first 2 shown]
	s_waitcnt vmcnt(0) lgkmcnt(0)
	s_barrier
	buffer_gl0_inv
	v_wmma_f32_16x16x16_f16 v[129:136], v[73:80], v[105:112], v[121:128]
	v_wmma_f32_16x16x16_f16 v[121:128], v[81:88], v[105:112], v[121:128]
	v_or_b32_e32 v73, 20, v137
	v_or_b32_e32 v74, 22, v137
	s_delay_alu instid0(VALU_DEP_4)
	v_wmma_f32_16x16x16_f16 v[129:136], v[89:96], v[113:120], v[129:136]
	v_or_b32_e32 v75, 24, v137
	v_wmma_f32_16x16x16_f16 v[121:128], v[97:104], v[113:120], v[121:128]
	v_or_b32_e32 v76, 26, v137
	v_cmp_gt_i32_e64 s11, s17, v73
	v_dual_mul_f32 v85, s18, v130 :: v_dual_mul_f32 v86, s18, v129
	v_dual_mul_f32 v83, s18, v132 :: v_dual_mul_f32 v84, s18, v131
	;; [unrolled: 1-line block ×3, first 2 shown]
	s_delay_alu instid0(VALU_DEP_3) | instskip(NEXT) | instid1(VALU_DEP_4)
	v_cndmask_b32_e32 v86, 0xff7fffff, v86, vcc_lo
	v_cndmask_b32_e64 v85, 0xff7fffff, v85, s2
	v_mul_f32_e32 v82, s18, v133
	v_cndmask_b32_e64 v84, 0xff7fffff, v84, s3
	v_cndmask_b32_e64 v83, 0xff7fffff, v83, s4
	v_dual_mul_f32 v79, s18, v136 :: v_dual_mul_f32 v92, s18, v123
	v_max3_f32 v85, v86, 0xff7fffff, v85
	v_mul_f32_e32 v80, s18, v135
	v_cndmask_b32_e64 v82, 0xff7fffff, v82, s5
	v_cndmask_b32_e64 v81, 0xff7fffff, v81, s6
	v_mul_f32_e32 v93, s18, v122
	v_max3_f32 v83, v85, v84, v83
	v_cndmask_b32_e64 v80, 0xff7fffff, v80, s7
	v_cndmask_b32_e64 v79, 0xff7fffff, v79, s8
	v_mul_f32_e32 v91, s18, v124
	v_cmp_gt_i32_e64 s12, s17, v74
	v_max3_f32 v81, v83, v82, v81
	v_cndmask_b32_e64 v82, 0xff7fffff, v94, s9
	v_cndmask_b32_e64 v83, 0xff7fffff, v93, s10
	v_or_b32_e32 v77, 28, v137
	v_or_b32_e32 v78, 30, v137
	v_max3_f32 v79, v81, v80, v79
	v_dual_mul_f32 v89, s18, v126 :: v_dual_mul_f32 v90, s18, v125
	v_cndmask_b32_e64 v73, 0xff7fffff, v92, s11
	v_cndmask_b32_e64 v74, 0xff7fffff, v91, s12
	s_delay_alu instid0(VALU_DEP_4) | instskip(SKIP_3) | instid1(VALU_DEP_4)
	v_max3_f32 v79, v79, v82, v83
	v_cmp_gt_i32_e64 s13, s17, v75
	v_cmp_gt_i32_e64 s15, s17, v76
	v_dual_mul_f32 v87, s18, v128 :: v_dual_mul_f32 v88, s18, v127
	v_max3_f32 v73, v79, v73, v74
	s_delay_alu instid0(VALU_DEP_4) | instskip(NEXT) | instid1(VALU_DEP_4)
	v_cndmask_b32_e64 v75, 0xff7fffff, v90, s13
	v_cndmask_b32_e64 v76, 0xff7fffff, v89, s15
	v_cmp_gt_i32_e64 s16, s17, v77
	v_cmp_gt_i32_e64 s17, s17, v78
	s_delay_alu instid0(VALU_DEP_3) | instskip(NEXT) | instid1(VALU_DEP_3)
	v_max3_f32 v73, v73, v75, v76
	v_cndmask_b32_e64 v74, 0xff7fffff, v88, s16
	s_delay_alu instid0(VALU_DEP_3) | instskip(SKIP_1) | instid1(VALU_DEP_2)
	v_cndmask_b32_e64 v77, 0xff7fffff, v87, s17
	v_lshlrev_b32_e32 v75, 2, v138
	v_max3_f32 v73, v73, v74, v77
	ds_bpermute_b32 v74, v75, v73
	s_waitcnt lgkmcnt(0)
	v_max_f32_e32 v74, v74, v74
	s_delay_alu instid0(VALU_DEP_1) | instskip(NEXT) | instid1(VALU_DEP_1)
	v_max_f32_e32 v73, v73, v74
	v_fma_f32 v74, s18, v129, -v73
	v_fma_f32 v76, s18, v130, -v73
	;; [unrolled: 1-line block ×5, first 2 shown]
	v_mul_f32_e32 v74, 0x3fb8aa3b, v74
	v_mul_f32_e32 v76, 0x3fb8aa3b, v76
	v_fma_f32 v83, s18, v135, -v73
	v_mul_f32_e32 v78, 0x3fb8aa3b, v78
	v_mul_f32_e32 v80, 0x3fb8aa3b, v80
	v_exp_f32_e32 v74, v74
	v_exp_f32_e32 v76, v76
	v_mul_f32_e32 v83, 0x3fb8aa3b, v83
	v_exp_f32_e32 v82, v78
	v_exp_f32_e32 v84, v80
	s_delay_alu instid0(VALU_DEP_1) | instskip(SKIP_4) | instid1(TRANS32_DEP_3)
	v_exp_f32_e32 v85, v83
	v_cndmask_b32_e32 v79, 0, v74, vcc_lo
	v_fma_f32 v74, s18, v134, -v73
	v_mul_f32_e32 v77, 0x3fb8aa3b, v77
	v_cndmask_b32_e64 v78, 0, v76, s2
	v_cndmask_b32_e64 v80, 0, v82, s4
	v_add_f32_e32 v76, 0, v79
	v_mul_f32_e32 v74, 0x3fb8aa3b, v74
	v_exp_f32_e32 v77, v77
	v_fma_f32 v82, s18, v121, -v73
	v_cndmask_b32_e64 v83, 0, v84, s5
	v_add_f32_e32 v76, v76, v78
	v_exp_f32_e32 v74, v74
	s_mov_b32 s2, exec_lo
	v_mul_f32_e32 v86, 0x3fb8aa3b, v82
	v_cndmask_b32_e64 v85, 0, v85, s7
	s_delay_alu instid0(TRANS32_DEP_2) | instskip(SKIP_3) | instid1(VALU_DEP_1)
	v_cndmask_b32_e64 v81, 0, v77, s3
	s_waitcnt_depctr 0xfff
	v_cndmask_b32_e64 v82, 0, v74, s6
	v_add_f32_e32 v76, v76, v81
	v_add_f32_e32 v76, v76, v80
	s_delay_alu instid0(VALU_DEP_1) | instskip(SKIP_4) | instid1(VALU_DEP_4)
	v_add_f32_e32 v74, v76, v83
	v_fma_f32 v77, s18, v136, -v73
	v_fma_f32 v84, s18, v122, -v73
	;; [unrolled: 1-line block ×4, first 2 shown]
	v_dual_add_f32 v74, v74, v82 :: v_dual_mul_f32 v77, 0x3fb8aa3b, v77
	s_delay_alu instid0(VALU_DEP_4) | instskip(SKIP_1) | instid1(VALU_DEP_4)
	v_mul_f32_e32 v84, 0x3fb8aa3b, v84
	v_fma_f32 v92, s18, v128, -v73
	v_mul_f32_e32 v89, 0x3fb8aa3b, v87
	v_exp_f32_e32 v86, v86
	v_exp_f32_e32 v77, v77
	;; [unrolled: 1-line block ×3, first 2 shown]
	v_add_f32_e32 v74, v74, v85
	v_exp_f32_e32 v91, v89
	v_fma_f32 v90, s18, v126, -v73
	v_cndmask_b32_e64 v87, 0, v86, s9
	s_delay_alu instid0(TRANS32_DEP_3) | instskip(SKIP_2) | instid1(TRANS32_DEP_2)
	v_cndmask_b32_e64 v84, 0, v77, s8
	v_fma_f32 v77, s18, v125, -v73
	v_mul_f32_e32 v76, 0x3fb8aa3b, v76
	v_cndmask_b32_e64 v86, 0, v88, s10
	v_fma_f32 v88, s18, v127, -v73
	s_delay_alu instid0(VALU_DEP_4) | instskip(NEXT) | instid1(VALU_DEP_4)
	v_dual_mul_f32 v90, 0x3fb8aa3b, v90 :: v_dual_mul_f32 v77, 0x3fb8aa3b, v77
	v_exp_f32_e32 v76, v76
	s_delay_alu instid0(VALU_DEP_1) | instskip(NEXT) | instid1(VALU_DEP_1)
	v_exp_f32_e32 v90, v90
	v_exp_f32_e32 v77, v77
	s_delay_alu instid0(TRANS32_DEP_3)
	v_cndmask_b32_e64 v89, 0, v76, s11
	v_mul_f32_e32 v76, 0x3fb8aa3b, v88
	v_cndmask_b32_e64 v88, 0, v91, s12
	s_waitcnt_depctr 0xfff
	v_cndmask_b32_e64 v90, 0, v90, s15
	v_cndmask_b32_e64 v91, 0, v77, s13
	v_mul_f32_e32 v77, 0x3fb8aa3b, v92
	v_add_f32_e32 v74, v74, v84
	v_exp_f32_e32 v76, v76
	s_delay_alu instid0(VALU_DEP_2) | instskip(NEXT) | instid1(VALU_DEP_1)
	v_exp_f32_e32 v77, v77
	v_add_f32_e32 v74, v74, v87
	s_delay_alu instid0(VALU_DEP_1) | instskip(SKIP_4) | instid1(VALU_DEP_1)
	v_add_f32_e32 v74, v74, v86
	s_waitcnt_depctr 0xfff
	v_cndmask_b32_e64 v93, 0, v76, s16
	v_cndmask_b32_e64 v92, 0, v77, s17
	v_add_f32_e32 v74, v74, v89
	v_add_f32_e32 v74, v74, v88
	s_delay_alu instid0(VALU_DEP_1) | instskip(NEXT) | instid1(VALU_DEP_1)
	v_add_f32_e32 v74, v74, v91
	v_add_f32_e32 v74, v74, v90
	s_delay_alu instid0(VALU_DEP_1) | instskip(NEXT) | instid1(VALU_DEP_1)
	v_add_f32_e32 v74, v74, v93
	v_add_f32_e32 v74, v74, v92
	ds_bpermute_b32 v75, v75, v74
	v_cmpx_gt_u32_e32 16, v71
	s_cbranch_execz .LBB787_12
; %bb.11:
	v_mul_u32_u24_e32 v71, 0x44, v72
	s_waitcnt lgkmcnt(0)
	v_add_f32_e32 v74, v74, v75
	s_delay_alu instid0(VALU_DEP_2) | instskip(NEXT) | instid1(VALU_DEP_1)
	v_lshl_add_u32 v71, v70, 2, v71
	v_add_nc_u32_e32 v71, 0x4000, v71
	ds_store_2addr_b32 v71, v73, v74 offset1:136
.LBB787_12:
	s_or_b32 exec_lo, exec_lo, s2
	v_lshlrev_b32_e32 v71, 2, v70
	s_load_b32 s35, s[0:1], 0x94
	s_waitcnt lgkmcnt(0)
	s_barrier
	buffer_gl0_inv
	v_add_nc_u32_e32 v71, 0x4000, v71
	v_cmp_eq_u32_e32 vcc_lo, 1, v72
	v_cmp_eq_u32_e64 s2, 2, v72
	v_cmp_eq_u32_e64 s3, 3, v72
	v_cmp_eq_u32_e64 s4, 4, v72
	ds_load_2addr_b32 v[73:74], v71 offset1:17
	ds_load_2addr_b32 v[94:95], v71 offset0:34 offset1:51
	ds_load_2addr_b32 v[96:97], v71 offset0:68 offset1:85
	;; [unrolled: 1-line block ×3, first 2 shown]
	v_cmp_eq_u32_e64 s5, 5, v72
	v_cmp_eq_u32_e64 s6, 7, v72
	s_waitcnt lgkmcnt(3)
	v_max3_f32 v75, v73, 0xff7fffff, v74
	s_waitcnt lgkmcnt(2)
	s_delay_alu instid0(VALU_DEP_1) | instskip(SKIP_1) | instid1(VALU_DEP_1)
	v_max3_f32 v75, v75, v94, v95
	s_waitcnt lgkmcnt(1)
	v_max3_f32 v75, v75, v96, v97
	s_waitcnt lgkmcnt(0)
	s_delay_alu instid0(VALU_DEP_1) | instskip(NEXT) | instid1(VALU_DEP_1)
	v_max3_f32 v76, v75, v98, v99
	v_sub_f32_e32 v96, v96, v76
	ds_load_2addr_b32 v[100:101], v71 offset0:136 offset1:153
	v_sub_f32_e32 v73, v73, v76
	v_sub_f32_e32 v75, v74, v76
	;; [unrolled: 1-line block ×3, first 2 shown]
	v_mul_f32_e32 v105, 0x3fb8aa3b, v96
	s_delay_alu instid0(VALU_DEP_4)
	v_mul_f32_e32 v77, 0x3fb8aa3b, v73
	ds_load_2addr_b32 v[73:74], v71 offset0:170 offset1:187
	v_mul_f32_e32 v103, 0x3fb8aa3b, v94
	v_exp_f32_e32 v102, v77
	v_sub_f32_e32 v77, v95, v76
	ds_load_2addr_b32 v[94:95], v71 offset0:204 offset1:221
	v_exp_f32_e32 v103, v103
	v_mul_f32_e32 v104, 0x3fb8aa3b, v77
	s_waitcnt lgkmcnt(2)
	v_fma_f32 v77, v102, v100, 0
	v_dual_sub_f32 v100, v97, v76 :: v_dual_mul_f32 v75, 0x3fb8aa3b, v75
	ds_load_2addr_b32 v[96:97], v71 offset0:238 offset1:255
	v_sub_f32_e32 v71, v98, v76
	v_exp_f32_e32 v104, v104
	v_mul_f32_e32 v98, 0x3fb8aa3b, v100
	v_exp_f32_e32 v75, v75
	v_exp_f32_e32 v100, v105
	v_mul_f32_e32 v71, 0x3fb8aa3b, v71
	s_waitcnt lgkmcnt(0)
	v_exp_f32_e32 v98, v98
	s_barrier
	buffer_gl0_inv
	v_fmac_f32_e32 v77, v75, v101
	s_delay_alu instid0(VALU_DEP_1) | instskip(SKIP_2) | instid1(VALU_DEP_2)
	v_fmac_f32_e32 v77, v103, v73
	v_sub_f32_e32 v73, v99, v76
	v_exp_f32_e32 v99, v71
	v_fmac_f32_e32 v77, v104, v74
	s_delay_alu instid0(VALU_DEP_2) | instskip(NEXT) | instid1(VALU_DEP_2)
	v_dual_mul_f32 v73, 0x3fb8aa3b, v73 :: v_dual_lshlrev_b32 v74, 6, v70
	v_dual_fmac_f32 v77, v100, v94 :: v_dual_lshlrev_b32 v70, 2, v69
	s_delay_alu instid0(VALU_DEP_2) | instskip(SKIP_1) | instid1(VALU_DEP_3)
	v_exp_f32_e32 v94, v73
	v_cndmask_b32_e32 v73, v102, v75, vcc_lo
	v_lshl_or_b32 v75, v72, 11, v74
	s_delay_alu instid0(VALU_DEP_3) | instskip(SKIP_1) | instid1(VALU_DEP_3)
	v_cmp_eq_u32_e64 s7, 7, v70
	v_fmac_f32_e32 v77, v98, v95
	v_lshl_or_b32 v69, v69, 4, v75
	s_delay_alu instid0(VALU_DEP_2)
	v_fmac_f32_e32 v77, v99, v96
	s_delay_alu instid0(TRANS32_DEP_1) | instid1(VALU_DEP_1)
	v_fmac_f32_e32 v77, v94, v97
	s_delay_alu instid0(VALU_DEP_1) | instskip(NEXT) | instid1(VALU_DEP_1)
	v_add_f32_e32 v95, 0x358637bd, v77
	v_div_scale_f32 v96, null, v95, v95, 1.0
	v_div_scale_f32 v101, vcc_lo, 1.0, v95, 1.0
	s_delay_alu instid0(VALU_DEP_2) | instskip(SKIP_2) | instid1(VALU_DEP_1)
	v_rcp_f32_e32 v97, v96
	s_waitcnt_depctr 0xfff
	v_fma_f32 v71, -v96, v97, 1.0
	v_fmac_f32_e32 v97, v71, v97
	v_cndmask_b32_e64 v71, v73, v103, s2
	v_cmp_eq_u32_e64 s2, 6, v72
	v_or_b32_e32 v73, 1, v70
	v_or_b32_e32 v72, 3, v70
	v_mul_f32_e32 v102, v101, v97
	v_cndmask_b32_e64 v71, v71, v104, s3
	v_cmp_eq_u32_e64 s3, 1, v70
	v_cmp_eq_u32_e64 s8, 1, v73
	;; [unrolled: 1-line block ×3, first 2 shown]
	v_fma_f32 v103, -v96, v102, v101
	v_cndmask_b32_e64 v100, v71, v100, s4
	v_or_b32_e32 v71, 2, v70
	v_cmp_eq_u32_e64 s4, 2, v70
	v_cmp_eq_u32_e64 s11, 2, v73
	v_fmac_f32_e32 v102, v103, v97
	v_cndmask_b32_e64 v98, v100, v98, s5
	v_cmp_eq_u32_e64 s9, 1, v71
	v_cmp_eq_u32_e64 s13, 2, v71
	v_cmp_eq_u32_e64 s15, 2, v72
	v_fma_f32 v96, -v96, v102, v101
	v_cndmask_b32_e64 v98, v98, v99, s2
	v_cmp_eq_u32_e64 s12, 3, v73
	v_cmp_eq_u32_e64 s17, 3, v72
	;; [unrolled: 1-line block ×3, first 2 shown]
	v_div_fmas_f32 v96, v96, v97, v102
	v_cndmask_b32_e64 v94, v98, v94, s6
	v_cmp_eq_u32_e32 vcc_lo, 3, v70
	v_cmp_eq_u32_e64 s16, 3, v71
	v_cmp_eq_u32_e64 s18, 4, v73
	v_div_fixup_f32 v95, v96, v95, 1.0
	v_cmp_eq_u32_e64 s21, 4, v72
	v_cmp_eq_u32_e64 s5, 5, v70
	;; [unrolled: 1-line block ×4, first 2 shown]
	v_mul_f32_e32 v102, v94, v95
	v_cmp_eq_u32_e64 s23, 5, v72
	v_cmp_eq_u32_e64 s22, 5, v71
	;; [unrolled: 1-line block ×4, first 2 shown]
	v_fma_mixlo_f16 v94, v102, v79, 0
	v_fma_mixlo_f16 v95, v102, v81, 0
	;; [unrolled: 1-line block ×8, first 2 shown]
	v_fma_mixhi_f16 v94, v102, v78, 0
	v_fma_mixhi_f16 v95, v102, v80, 0
	;; [unrolled: 1-line block ×8, first 2 shown]
	ds_store_b128 v69, v[94:97]
	ds_store_b128 v69, v[98:101] offset:1024
	s_waitcnt lgkmcnt(0)
	s_barrier
	buffer_gl0_inv
	ds_load_b128 v[78:81], v75
	ds_load_b128 v[82:85], v75 offset:16
	ds_load_b128 v[86:89], v75 offset:1024
	ds_load_b128 v[90:93], v75 offset:1040
	v_cmp_eq_u32_e64 s6, 6, v70
	v_cmp_eq_u32_e64 s25, 6, v71
	v_cmp_eq_u32_e64 s28, 7, v72
	v_cmp_eq_u32_e64 s29, 7, v73
	v_cmp_eq_u32_e64 s27, 7, v71
	s_waitcnt lgkmcnt(3)
	v_lshrrev_b32_e32 v94, 16, v78
	s_waitcnt lgkmcnt(2)
	v_lshrrev_b32_e32 v98, 16, v82
	;; [unrolled: 2-line block ×4, first 2 shown]
	v_lshrrev_b32_e32 v95, 16, v79
	v_cndmask_b32_e64 v110, v78, v94, s3
	v_cndmask_b32_e64 v111, v82, v98, s3
	;; [unrolled: 1-line block ×8, first 2 shown]
	v_lshrrev_b32_e32 v99, 16, v83
	v_cndmask_b32_e64 v94, v86, v102, s3
	v_cndmask_b32_e64 v98, v90, v106, s3
	;; [unrolled: 1-line block ×15, first 2 shown]
	v_lshrrev_b32_e32 v103, 16, v87
	v_lshrrev_b32_e32 v107, 16, v91
	v_cndmask_b32_e64 v113, v115, v83, s13
	v_cndmask_b32_e64 v82, v94, v87, s4
	;; [unrolled: 1-line block ×7, first 2 shown]
	v_cndmask_b32_e32 v90, v102, v95, vcc_lo
	v_cndmask_b32_e32 v102, v106, v99, vcc_lo
	v_cndmask_b32_e64 v106, v110, v95, s12
	v_cndmask_b32_e64 v110, v111, v99, s12
	;; [unrolled: 1-line block ×4, first 2 shown]
	v_lshrrev_b32_e32 v96, 16, v80
	v_lshrrev_b32_e32 v100, 16, v84
	v_cndmask_b32_e64 v111, v112, v95, s16
	v_cndmask_b32_e64 v112, v113, v99, s16
	v_cndmask_b32_e32 v82, v82, v103, vcc_lo
	v_cndmask_b32_e32 v83, v83, v107, vcc_lo
	v_cndmask_b32_e64 v94, v94, v103, s12
	v_cndmask_b32_e64 v90, v90, v80, s2
	;; [unrolled: 1-line block ×7, first 2 shown]
	v_lshrrev_b32_e32 v104, 16, v88
	v_cndmask_b32_e64 v106, v111, v80, s20
	v_cndmask_b32_e64 v110, v112, v84, s20
	;; [unrolled: 1-line block ×11, first 2 shown]
	v_lshrrev_b32_e32 v97, 16, v81
	v_lshrrev_b32_e32 v101, 16, v85
	v_cndmask_b32_e64 v99, v106, v96, s22
	v_cndmask_b32_e64 v102, v110, v100, s22
	;; [unrolled: 1-line block ×7, first 2 shown]
	v_lshrrev_b32_e32 v105, 16, v89
	v_cndmask_b32_e64 v80, v80, v104, s5
	v_cndmask_b32_e64 v84, v84, v81, s6
	;; [unrolled: 1-line block ×16, first 2 shown]
	v_perm_b32 v81, v79, v78, 0x5040100
	v_perm_b32 v79, v95, v85, 0x5040100
	v_cndmask_b32_e64 v78, v119, v91, s13
	v_cndmask_b32_e64 v85, v117, v91, s11
	;; [unrolled: 1-line block ×3, first 2 shown]
	v_perm_b32 v80, v94, v90, 0x5040100
	v_cndmask_b32_e64 v90, v98, v103, s16
	v_cndmask_b32_e64 v86, v86, v103, s17
	;; [unrolled: 1-line block ×5, first 2 shown]
	v_lshrrev_b32_e32 v108, 16, v92
	v_cndmask_b32_e64 v90, v90, v88, s20
	v_cndmask_b32_e64 v86, v86, v88, s21
	;; [unrolled: 1-line block ×11, first 2 shown]
	v_lshrrev_b32_e32 v109, 16, v93
	v_cndmask_b32_e64 v82, v82, v93, s6
	v_cndmask_b32_e64 v88, v88, v89, s25
	v_cndmask_b32_e64 v86, v86, v89, s26
	v_cndmask_b32_e64 v87, v87, v93, s26
	v_cndmask_b32_e64 v78, v78, v93, s25
	v_cndmask_b32_e64 v85, v85, v93, s24
	v_cndmask_b32_e64 v88, v88, v105, s27
	v_cndmask_b32_e64 v86, v86, v105, s28
	v_cndmask_b32_e64 v87, v87, v109, s28
	v_cndmask_b32_e64 v89, v78, v109, s27
	v_cndmask_b32_e64 v90, v85, v109, s29
	v_cndmask_b32_e64 v82, v82, v109, s7
	v_perm_b32 v78, v84, v83, 0x5040100
	v_perm_b32 v85, v87, v86, 0x5040100
	;; [unrolled: 1-line block ×5, first 2 shown]
	s_lshl_b32 s7, s34, 1
	s_mov_b32 s2, exec_lo
	ds_store_b128 v69, v[78:81]
	ds_store_b128 v69, v[82:85] offset:1024
	v_cmpx_gt_u32_e32 2, v0
	s_cbranch_execz .LBB787_14
; %bb.13:
	v_or_b32_e32 v78, s33, v0
	s_load_b128 s[8:11], s[0:1], 0x58
	s_delay_alu instid0(VALU_DEP_1) | instskip(NEXT) | instid1(VALU_DEP_1)
	v_mad_u64_u32 v[79:80], null, s7, s30, v[78:79]
	v_mad_u64_u32 v[80:81], null, v79, s35, s[14:15]
	s_delay_alu instid0(VALU_DEP_1) | instskip(NEXT) | instid1(VALU_DEP_1)
	v_ashrrev_i32_e32 v81, 31, v80
	v_lshlrev_b64 v[78:79], 2, v[80:81]
	s_waitcnt lgkmcnt(0)
	s_delay_alu instid0(VALU_DEP_1) | instskip(NEXT) | instid1(VALU_DEP_2)
	v_add_co_u32 v80, vcc_lo, s10, v78
	v_add_co_ci_u32_e32 v81, vcc_lo, s11, v79, vcc_lo
	v_add_co_u32 v78, vcc_lo, s8, v78
	v_add_co_ci_u32_e32 v79, vcc_lo, s9, v79, vcc_lo
	global_store_b32 v[80:81], v76, off
	global_store_b32 v[78:79], v77, off
.LBB787_14:
	s_or_b32 exec_lo, exec_lo, s2
	s_waitcnt lgkmcnt(0)
	s_waitcnt_vscnt null, 0x0
	s_barrier
	buffer_gl0_inv
	ds_load_b128 v[84:87], v74
	ds_load_b128 v[88:91], v74 offset:16
	ds_load_b128 v[96:99], v74 offset:2064
	;; [unrolled: 1-line block ×5, first 2 shown]
	v_cmp_eq_u32_e32 vcc_lo, 1, v70
	v_mov_b32_e32 v76, 0
	ds_load_b128 v[112:115], v74 offset:6160
	ds_load_b128 v[108:111], v74 offset:6144
	;; [unrolled: 1-line block ×4, first 2 shown]
	v_cmp_eq_u32_e64 s3, 1, v71
	v_cmp_eq_u32_e64 s2, 1, v73
	;; [unrolled: 1-line block ×3, first 2 shown]
	v_mov_b32_e32 v77, v76
	v_mov_b32_e32 v78, v76
	;; [unrolled: 1-line block ×7, first 2 shown]
	v_cmp_eq_u32_e64 s5, 3, v73
	v_cmp_eq_u32_e64 s6, 7, v73
	s_waitcnt lgkmcnt(8)
	s_delay_alu instid0(VALU_DEP_3)
	v_wmma_f32_16x16x16_f16 v[76:83], v[49:56], v[84:91], v[76:83]
	ds_load_b128 v[53:56], v74 offset:10256
	ds_load_b128 v[49:52], v74 offset:10240
	s_waitcnt lgkmcnt(8)
	v_wmma_f32_16x16x16_f16 v[76:83], v[41:48], v[92:99], v[76:83]
	ds_load_b128 v[45:48], v74 offset:12304
	ds_load_b128 v[41:44], v74 offset:12288
	s_waitcnt lgkmcnt(8)
	;; [unrolled: 4-line block ×3, first 2 shown]
	s_barrier
	buffer_gl0_inv
	v_wmma_f32_16x16x16_f16 v[76:83], v[1:8], v[108:115], v[76:83]
	s_delay_alu instid0(VALU_DEP_1) | instskip(NEXT) | instid1(VALU_DEP_1)
	v_wmma_f32_16x16x16_f16 v[76:83], v[9:16], v[116:123], v[76:83]
	v_wmma_f32_16x16x16_f16 v[76:83], v[17:24], v[49:56], v[76:83]
	s_delay_alu instid0(VALU_DEP_1) | instskip(NEXT) | instid1(VALU_DEP_1)
	v_wmma_f32_16x16x16_f16 v[76:83], v[25:32], v[41:48], v[76:83]
	v_wmma_f32_16x16x16_f16 v[76:83], v[57:64], v[33:40], v[76:83]
	s_delay_alu instid0(VALU_DEP_1) | instskip(NEXT) | instid1(VALU_DEP_2)
	v_cvt_f16_f32_e32 v1, v76
	v_cvt_f16_f32_e32 v2, v77
	s_delay_alu instid0(VALU_DEP_3) | instskip(NEXT) | instid1(VALU_DEP_4)
	v_cvt_f16_f32_e32 v3, v78
	v_cvt_f16_f32_e32 v4, v79
	;; [unrolled: 1-line block ×6, first 2 shown]
	v_pack_b32_f16 v1, v1, v2
	v_pack_b32_f16 v2, v3, v4
	;; [unrolled: 1-line block ×3, first 2 shown]
	s_delay_alu instid0(VALU_DEP_4)
	v_pack_b32_f16 v4, v7, v8
	ds_store_b128 v69, v[1:4]
	s_waitcnt lgkmcnt(0)
	s_barrier
	buffer_gl0_inv
	ds_load_b128 v[1:4], v75
	ds_load_b128 v[5:8], v75 offset:16
	s_waitcnt lgkmcnt(1)
	v_lshrrev_b32_e32 v9, 16, v1
	s_waitcnt lgkmcnt(0)
	v_lshrrev_b32_e32 v13, 16, v5
	v_lshrrev_b32_e32 v10, 16, v2
	;; [unrolled: 1-line block ×4, first 2 shown]
	v_cndmask_b32_e32 v17, v1, v9, vcc_lo
	v_cndmask_b32_e32 v18, v5, v13, vcc_lo
	v_cndmask_b32_e64 v21, v1, v9, s3
	v_cmp_eq_u32_e32 vcc_lo, 1, v72
	v_cndmask_b32_e64 v22, v5, v13, s3
	v_cmp_eq_u32_e64 s3, 2, v70
	v_cndmask_b32_e64 v19, v1, v9, s2
	v_cndmask_b32_e64 v20, v5, v13, s2
	v_cndmask_b32_e32 v1, v1, v9, vcc_lo
	v_cmp_eq_u32_e64 s2, 2, v72
	v_cndmask_b32_e32 v5, v5, v13, vcc_lo
	v_cndmask_b32_e64 v9, v17, v2, s3
	v_cmp_eq_u32_e32 vcc_lo, 3, v70
	v_cndmask_b32_e64 v13, v18, v6, s3
	v_cmp_eq_u32_e64 s3, 2, v71
	v_cndmask_b32_e64 v17, v19, v2, s4
	v_cndmask_b32_e64 v18, v20, v6, s4
	v_cmp_eq_u32_e64 s4, 3, v71
	v_cndmask_b32_e64 v1, v1, v2, s2
	v_cndmask_b32_e64 v19, v21, v2, s3
	;; [unrolled: 1-line block ×4, first 2 shown]
	v_cndmask_b32_e32 v5, v9, v10, vcc_lo
	v_cndmask_b32_e32 v6, v13, v14, vcc_lo
	v_cmp_eq_u32_e32 vcc_lo, 3, v72
	v_cndmask_b32_e64 v9, v17, v10, s5
	v_cndmask_b32_e64 v13, v18, v14, s5
	v_cndmask_b32_e64 v18, v20, v14, s4
	v_cmp_eq_u32_e64 s3, 4, v70
	v_cndmask_b32_e32 v1, v1, v10, vcc_lo
	v_cndmask_b32_e32 v2, v2, v14, vcc_lo
	v_cmp_eq_u32_e32 vcc_lo, 4, v73
	v_lshrrev_b32_e32 v15, 16, v7
	v_lshrrev_b32_e32 v16, 16, v8
	v_cndmask_b32_e64 v17, v19, v10, s4
	v_cmp_eq_u32_e64 s2, 4, v72
	v_cndmask_b32_e64 v5, v5, v3, s3
	v_cndmask_b32_e64 v6, v6, v7, s3
	v_cndmask_b32_e32 v9, v9, v3, vcc_lo
	v_cmp_eq_u32_e64 s3, 5, v73
	v_cndmask_b32_e32 v10, v13, v7, vcc_lo
	v_cmp_eq_u32_e32 vcc_lo, 4, v71
	v_cmp_eq_u32_e64 s4, 5, v70
	v_cndmask_b32_e64 v2, v2, v7, s2
	v_cndmask_b32_e64 v9, v9, v11, s3
	;; [unrolled: 1-line block ×3, first 2 shown]
	v_cndmask_b32_e32 v13, v17, v3, vcc_lo
	v_cmp_eq_u32_e64 s3, 5, v71
	v_cndmask_b32_e32 v14, v18, v7, vcc_lo
	v_cndmask_b32_e64 v1, v1, v3, s2
	v_cmp_eq_u32_e32 vcc_lo, 5, v72
	v_lshrrev_b32_e32 v12, 16, v4
	v_cndmask_b32_e64 v13, v13, v11, s3
	v_cndmask_b32_e64 v3, v14, v15, s3
	v_cmp_eq_u32_e64 s3, 6, v72
	v_cndmask_b32_e32 v1, v1, v11, vcc_lo
	v_cndmask_b32_e64 v5, v5, v11, s4
	v_cmp_eq_u32_e64 s5, 6, v70
	v_cndmask_b32_e64 v6, v6, v15, s4
	v_cmp_eq_u32_e64 s4, 6, v73
	v_cmp_eq_u32_e64 s2, 6, v71
	v_cndmask_b32_e64 v1, v1, v4, s3
	v_cndmask_b32_e32 v2, v2, v15, vcc_lo
	v_cmp_eq_u32_e32 vcc_lo, 7, v72
	v_cndmask_b32_e64 v5, v5, v4, s5
	v_cndmask_b32_e64 v9, v9, v4, s4
	v_cndmask_b32_e64 v6, v6, v8, s5
	v_cmp_eq_u32_e64 s5, 7, v70
	v_cndmask_b32_e32 v1, v1, v12, vcc_lo
	v_cndmask_b32_e64 v7, v13, v4, s2
	v_cndmask_b32_e64 v3, v3, v8, s2
	;; [unrolled: 1-line block ×3, first 2 shown]
	v_cmp_eq_u32_e64 s2, 7, v71
	v_cndmask_b32_e64 v4, v10, v8, s4
	v_cndmask_b32_e64 v5, v5, v12, s5
	;; [unrolled: 1-line block ×3, first 2 shown]
	v_cndmask_b32_e32 v2, v2, v16, vcc_lo
	v_cndmask_b32_e64 v7, v7, v12, s2
	v_cndmask_b32_e64 v3, v3, v16, s2
	;; [unrolled: 1-line block ×4, first 2 shown]
	v_perm_b32 v4, v2, v1, 0x5040100
	s_delay_alu instid0(VALU_DEP_4) | instskip(NEXT) | instid1(VALU_DEP_4)
	v_perm_b32 v3, v3, v7, 0x5040100
	v_perm_b32 v2, v8, v9, 0x5040100
	s_delay_alu instid0(VALU_DEP_4)
	v_perm_b32 v1, v6, v5, 0x5040100
	ds_store_b128 v69, v[1:4]
	s_waitcnt lgkmcnt(0)
	s_barrier
	buffer_gl0_inv
	s_and_saveexec_b32 s2, s31
	s_cbranch_execz .LBB787_2
; %bb.15:
	s_load_b64 s[0:1], s[0:1], 0x68
	v_lshlrev_b32_e32 v0, 10, v0
	s_lshl_b32 s2, s35, 6
	v_lshlrev_b32_e32 v1, 4, v68
	v_mul_lo_u32 v4, s2, v67
	s_mul_i32 s3, s2, s30
	v_and_b32_e32 v0, 0x3800, v0
	s_mul_i32 s2, s3, s7
	s_delay_alu instid0(SALU_CYCLE_1) | instskip(NEXT) | instid1(VALU_DEP_1)
	s_ashr_i32 s3, s2, 31
	v_or3_b32 v0, v0, v66, v1
	s_lshl_b64 s[2:3], s[2:3], 1
	s_delay_alu instid0(VALU_DEP_3)
	v_ashrrev_i32_e32 v5, 31, v4
	ds_load_b128 v[0:3], v0
	v_lshlrev_b64 v[4:5], 1, v[4:5]
	s_waitcnt lgkmcnt(0)
	s_add_u32 s2, s0, s2
	s_addc_u32 s3, s1, s3
	s_lshl_b32 s0, s14, 6
	s_delay_alu instid0(SALU_CYCLE_1) | instskip(NEXT) | instid1(SALU_CYCLE_1)
	s_ashr_i32 s1, s0, 31
	s_lshl_b64 s[0:1], s[0:1], 1
	s_delay_alu instid0(SALU_CYCLE_1) | instskip(SKIP_3) | instid1(VALU_DEP_2)
	s_add_u32 s0, s2, s0
	s_addc_u32 s1, s3, s1
	v_add_co_u32 v4, vcc_lo, s0, v4
	v_add_co_ci_u32_e32 v5, vcc_lo, s1, v5, vcc_lo
	v_add_co_u32 v4, vcc_lo, v4, v65
	s_delay_alu instid0(VALU_DEP_2)
	v_add_co_ci_u32_e32 v5, vcc_lo, 0, v5, vcc_lo
	global_store_b128 v[4:5], v[0:3], off
	s_nop 0
	s_sendmsg sendmsg(MSG_DEALLOC_VGPRS)
	s_endpgm
	.section	.rodata,"a",@progbits
	.p2align	6, 0x0
	.amdhsa_kernel _Z39paged_attention_ll4mi_QKV_mfma16_kernelIDF16_hLN4vllm18Fp8KVCacheDataTypeE1EhLi16ELi64ELi256ELb1ELi2EL8MFMAType1EEvPKT_PKT0_S8_ifPKiSA_SA_iPKfiiiPfSD_PS3_PT2_iSC_SC_
		.amdhsa_group_segment_fixed_size 17472
		.amdhsa_private_segment_fixed_size 0
		.amdhsa_kernarg_size 400
		.amdhsa_user_sgpr_count 13
		.amdhsa_user_sgpr_dispatch_ptr 0
		.amdhsa_user_sgpr_queue_ptr 0
		.amdhsa_user_sgpr_kernarg_segment_ptr 1
		.amdhsa_user_sgpr_dispatch_id 0
		.amdhsa_user_sgpr_private_segment_size 0
		.amdhsa_wavefront_size32 1
		.amdhsa_uses_dynamic_stack 0
		.amdhsa_enable_private_segment 0
		.amdhsa_system_sgpr_workgroup_id_x 1
		.amdhsa_system_sgpr_workgroup_id_y 1
		.amdhsa_system_sgpr_workgroup_id_z 1
		.amdhsa_system_sgpr_workgroup_info 0
		.amdhsa_system_vgpr_workitem_id 0
		.amdhsa_next_free_vgpr 148
		.amdhsa_next_free_sgpr 36
		.amdhsa_reserve_vcc 1
		.amdhsa_float_round_mode_32 0
		.amdhsa_float_round_mode_16_64 0
		.amdhsa_float_denorm_mode_32 3
		.amdhsa_float_denorm_mode_16_64 3
		.amdhsa_dx10_clamp 1
		.amdhsa_ieee_mode 1
		.amdhsa_fp16_overflow 0
		.amdhsa_workgroup_processor_mode 1
		.amdhsa_memory_ordered 1
		.amdhsa_forward_progress 0
		.amdhsa_shared_vgpr_count 0
		.amdhsa_exception_fp_ieee_invalid_op 0
		.amdhsa_exception_fp_denorm_src 0
		.amdhsa_exception_fp_ieee_div_zero 0
		.amdhsa_exception_fp_ieee_overflow 0
		.amdhsa_exception_fp_ieee_underflow 0
		.amdhsa_exception_fp_ieee_inexact 0
		.amdhsa_exception_int_div_zero 0
	.end_amdhsa_kernel
	.section	.text._Z39paged_attention_ll4mi_QKV_mfma16_kernelIDF16_hLN4vllm18Fp8KVCacheDataTypeE1EhLi16ELi64ELi256ELb1ELi2EL8MFMAType1EEvPKT_PKT0_S8_ifPKiSA_SA_iPKfiiiPfSD_PS3_PT2_iSC_SC_,"axG",@progbits,_Z39paged_attention_ll4mi_QKV_mfma16_kernelIDF16_hLN4vllm18Fp8KVCacheDataTypeE1EhLi16ELi64ELi256ELb1ELi2EL8MFMAType1EEvPKT_PKT0_S8_ifPKiSA_SA_iPKfiiiPfSD_PS3_PT2_iSC_SC_,comdat
.Lfunc_end787:
	.size	_Z39paged_attention_ll4mi_QKV_mfma16_kernelIDF16_hLN4vllm18Fp8KVCacheDataTypeE1EhLi16ELi64ELi256ELb1ELi2EL8MFMAType1EEvPKT_PKT0_S8_ifPKiSA_SA_iPKfiiiPfSD_PS3_PT2_iSC_SC_, .Lfunc_end787-_Z39paged_attention_ll4mi_QKV_mfma16_kernelIDF16_hLN4vllm18Fp8KVCacheDataTypeE1EhLi16ELi64ELi256ELb1ELi2EL8MFMAType1EEvPKT_PKT0_S8_ifPKiSA_SA_iPKfiiiPfSD_PS3_PT2_iSC_SC_
                                        ; -- End function
	.section	.AMDGPU.csdata,"",@progbits
; Kernel info:
; codeLenInByte = 6240
; NumSgprs: 38
; NumVgprs: 148
; ScratchSize: 0
; MemoryBound: 0
; FloatMode: 240
; IeeeMode: 1
; LDSByteSize: 17472 bytes/workgroup (compile time only)
; SGPRBlocks: 4
; VGPRBlocks: 18
; NumSGPRsForWavesPerEU: 38
; NumVGPRsForWavesPerEU: 148
; Occupancy: 9
; WaveLimiterHint : 1
; COMPUTE_PGM_RSRC2:SCRATCH_EN: 0
; COMPUTE_PGM_RSRC2:USER_SGPR: 13
; COMPUTE_PGM_RSRC2:TRAP_HANDLER: 0
; COMPUTE_PGM_RSRC2:TGID_X_EN: 1
; COMPUTE_PGM_RSRC2:TGID_Y_EN: 1
; COMPUTE_PGM_RSRC2:TGID_Z_EN: 1
; COMPUTE_PGM_RSRC2:TIDIG_COMP_CNT: 0
	.section	.text._Z39paged_attention_ll4mi_QKV_mfma16_kernelIDF16_hLN4vllm18Fp8KVCacheDataTypeE1EhLi16ELi64ELi256ELb1ELi3EL8MFMAType1EEvPKT_PKT0_S8_ifPKiSA_SA_iPKfiiiPfSD_PS3_PT2_iSC_SC_,"axG",@progbits,_Z39paged_attention_ll4mi_QKV_mfma16_kernelIDF16_hLN4vllm18Fp8KVCacheDataTypeE1EhLi16ELi64ELi256ELb1ELi3EL8MFMAType1EEvPKT_PKT0_S8_ifPKiSA_SA_iPKfiiiPfSD_PS3_PT2_iSC_SC_,comdat
	.protected	_Z39paged_attention_ll4mi_QKV_mfma16_kernelIDF16_hLN4vllm18Fp8KVCacheDataTypeE1EhLi16ELi64ELi256ELb1ELi3EL8MFMAType1EEvPKT_PKT0_S8_ifPKiSA_SA_iPKfiiiPfSD_PS3_PT2_iSC_SC_ ; -- Begin function _Z39paged_attention_ll4mi_QKV_mfma16_kernelIDF16_hLN4vllm18Fp8KVCacheDataTypeE1EhLi16ELi64ELi256ELb1ELi3EL8MFMAType1EEvPKT_PKT0_S8_ifPKiSA_SA_iPKfiiiPfSD_PS3_PT2_iSC_SC_
	.globl	_Z39paged_attention_ll4mi_QKV_mfma16_kernelIDF16_hLN4vllm18Fp8KVCacheDataTypeE1EhLi16ELi64ELi256ELb1ELi3EL8MFMAType1EEvPKT_PKT0_S8_ifPKiSA_SA_iPKfiiiPfSD_PS3_PT2_iSC_SC_
	.p2align	8
	.type	_Z39paged_attention_ll4mi_QKV_mfma16_kernelIDF16_hLN4vllm18Fp8KVCacheDataTypeE1EhLi16ELi64ELi256ELb1ELi3EL8MFMAType1EEvPKT_PKT0_S8_ifPKiSA_SA_iPKfiiiPfSD_PS3_PT2_iSC_SC_,@function
_Z39paged_attention_ll4mi_QKV_mfma16_kernelIDF16_hLN4vllm18Fp8KVCacheDataTypeE1EhLi16ELi64ELi256ELb1ELi3EL8MFMAType1EEvPKT_PKT0_S8_ifPKiSA_SA_iPKfiiiPfSD_PS3_PT2_iSC_SC_: ; @_Z39paged_attention_ll4mi_QKV_mfma16_kernelIDF16_hLN4vllm18Fp8KVCacheDataTypeE1EhLi16ELi64ELi256ELb1ELi3EL8MFMAType1EEvPKT_PKT0_S8_ifPKiSA_SA_iPKfiiiPfSD_PS3_PT2_iSC_SC_
; %bb.0:
	s_load_b64 s[2:3], s[0:1], 0x30
	s_mov_b32 s34, s13
	s_waitcnt lgkmcnt(0)
	s_cmp_lg_u64 s[2:3], 0
	s_cselect_b32 s6, -1, 0
	s_ashr_i32 s35, s13, 31
	s_cmp_eq_u64 s[2:3], 0
	s_cbranch_scc1 .LBB788_3
; %bb.1:
	s_lshl_b64 s[4:5], s[34:35], 2
	s_delay_alu instid0(SALU_CYCLE_1) | instskip(SKIP_4) | instid1(SALU_CYCLE_1)
	s_add_u32 s4, s2, s4
	s_addc_u32 s5, s3, s5
	s_load_b64 s[4:5], s[4:5], 0x0
	s_waitcnt lgkmcnt(0)
	s_sub_i32 s4, s5, s4
	s_cmp_eq_u32 s4, 1
	s_cselect_b32 s4, -1, 0
	s_delay_alu instid0(SALU_CYCLE_1)
	s_and_not1_b32 vcc_lo, exec_lo, s4
	s_cbranch_vccz .LBB788_4
.LBB788_2:
	s_nop 0
	s_sendmsg sendmsg(MSG_DEALLOC_VGPRS)
	s_endpgm
.LBB788_3:
.LBB788_4:
	s_load_b64 s[8:9], s[0:1], 0x28
	s_lshl_b64 s[4:5], s[34:35], 2
	s_waitcnt lgkmcnt(0)
	s_add_u32 s8, s8, s4
	s_addc_u32 s9, s9, s5
	s_lshl_b32 s16, s14, 8
	s_load_b32 s18, s[8:9], 0x0
	s_waitcnt lgkmcnt(0)
	s_cmp_ge_i32 s16, s18
	s_cbranch_scc1 .LBB788_2
; %bb.5:
	s_clause 0x1
	s_load_b128 s[8:11], s[0:1], 0x8
	s_load_b64 s[12:13], s[0:1], 0x20
	s_and_not1_b32 vcc_lo, exec_lo, s6
	s_cbranch_vccnz .LBB788_7
; %bb.6:
	s_add_u32 s2, s2, s4
	s_addc_u32 s3, s3, s5
	s_load_b32 s3, s[2:3], 0x0
	s_branch .LBB788_8
.LBB788_7:
	s_mov_b32 s3, s34
.LBB788_8:
	s_load_b128 s[4:7], s[0:1], 0x48
	v_lshrrev_b32_e32 v69, 5, v0
	v_bfe_u32 v66, v0, 4, 1
	v_and_b32_e32 v68, 15, v0
	v_and_b32_e32 v70, 31, v0
	;; [unrolled: 1-line block ×3, first 2 shown]
	s_mul_i32 s33, s15, 3
	v_lshl_or_b32 v1, v69, 1, v66
	v_lshlrev_b32_e32 v2, 3, v68
	v_cmp_gt_u32_e64 s2, 8, v68
	s_delay_alu instid0(VALU_DEP_3) | instskip(NEXT) | instid1(VALU_DEP_3)
	v_cmp_gt_u32_e32 vcc_lo, 3, v1
	v_lshlrev_b32_e32 v65, 1, v2
	s_delay_alu instid0(VALU_DEP_3)
	s_and_b32 s17, s2, vcc_lo
	s_waitcnt lgkmcnt(0)
	s_and_saveexec_b32 s7, s17
	s_cbranch_execz .LBB788_10
; %bb.9:
	s_load_b64 s[20:21], s[0:1], 0x0
	v_add_lshl_u32 v2, v1, s33, 6
	s_mul_hi_i32 s23, s3, s4
	s_mul_i32 s22, s3, s4
	v_lshlrev_b32_e32 v6, 10, v68
	s_lshl_b64 s[22:23], s[22:23], 1
	v_ashrrev_i32_e32 v3, 31, v2
	v_lshlrev_b32_e32 v1, 6, v1
	v_lshlrev_b32_e32 v7, 10, v67
	v_and_b32_e32 v6, 0x3800, v6
	s_delay_alu instid0(VALU_DEP_4) | instskip(NEXT) | instid1(VALU_DEP_2)
	v_lshlrev_b64 v[2:3], 1, v[2:3]
	v_or3_b32 v1, v6, v7, v1
	s_waitcnt lgkmcnt(0)
	s_add_u32 s3, s20, s22
	s_addc_u32 s4, s21, s23
	s_delay_alu instid0(VALU_DEP_2) | instskip(SKIP_1) | instid1(VALU_DEP_2)
	v_add_co_u32 v2, vcc_lo, s3, v2
	v_add_co_ci_u32_e32 v3, vcc_lo, s4, v3, vcc_lo
	v_add_co_u32 v2, vcc_lo, v2, v65
	s_delay_alu instid0(VALU_DEP_2)
	v_add_co_ci_u32_e32 v3, vcc_lo, 0, v3, vcc_lo
	global_load_b128 v[2:5], v[2:3], off
	s_waitcnt vmcnt(0)
	ds_store_b128 v1, v[2:5]
.LBB788_10:
	s_or_b32 exec_lo, exec_lo, s7
	v_and_b32_e32 v1, 0xef, v0
	s_add_i32 s3, s18, 15
	s_clause 0x1
	s_load_b32 s4, s[0:1], 0x38
	s_load_b32 s35, s[0:1], 0x98
	s_ashr_i32 s7, s3, 31
	v_add_nc_u32_e32 v1, s16, v1
	s_lshr_b32 s7, s7, 28
	s_load_b32 s19, s[0:1], 0x1c
	s_add_i32 s3, s3, s7
	s_waitcnt lgkmcnt(0)
	v_ashrrev_i32_e32 v2, 31, v1
	v_or_b32_e32 v3, 16, v1
	s_ashr_i32 s3, s3, 4
	v_cmp_gt_i32_e32 vcc_lo, s18, v1
	s_add_i32 s3, s3, -1
	v_lshrrev_b32_e32 v2, 28, v2
	s_barrier
	buffer_gl0_inv
	s_mul_i32 s15, s15, s6
	v_mul_lo_u16 v103, 0x56, v68
	v_add_nc_u32_e32 v4, v1, v2
	v_mbcnt_lo_u32_b32 v127, -1, 0
	s_mul_i32 s20, s34, s4
	s_delay_alu instid0(SALU_CYCLE_1) | instskip(NEXT) | instid1(VALU_DEP_2)
	s_ashr_i32 s21, s20, 31
	v_ashrrev_i32_e32 v4, 4, v4
	v_add_nc_u32_e32 v2, v3, v2
	s_lshl_b64 s[20:21], s[20:21], 2
	v_lshrrev_b16 v103, 8, v103
	s_add_u32 s17, s12, s20
	v_cndmask_b32_e32 v1, s3, v4, vcc_lo
	v_ashrrev_i32_e32 v2, 4, v2
	v_cmp_gt_i32_e32 vcc_lo, s18, v3
	s_addc_u32 s13, s13, s21
	s_ashr_i32 s20, s15, 31
	s_add_u32 s4, s8, s15
	s_addc_u32 s12, s9, s20
	v_cndmask_b32_e32 v3, s3, v2, vcc_lo
	v_ashrrev_i32_e32 v2, 31, v1
	s_lshl_b32 s6, s14, 4
	v_mul_lo_u16 v103, v103, 3
	s_ashr_i32 s7, s6, 31
	v_ashrrev_i32_e32 v4, 31, v3
	v_lshlrev_b64 v[1:2], 2, v[1:2]
	s_lshl_b64 s[6:7], s[6:7], 2
	v_sub_nc_u16 v103, v68, v103
	s_add_u32 s6, s17, s6
	v_lshlrev_b64 v[3:4], 2, v[3:4]
	s_addc_u32 s7, s13, s7
	v_add_co_u32 v1, vcc_lo, s17, v1
	v_add_co_ci_u32_e32 v2, vcc_lo, s13, v2, vcc_lo
	s_delay_alu instid0(VALU_DEP_3) | instskip(NEXT) | instid1(VALU_DEP_4)
	v_add_co_u32 v3, vcc_lo, s17, v3
	v_add_co_ci_u32_e32 v4, vcc_lo, s13, v4, vcc_lo
	s_clause 0x1
	global_load_b32 v5, v[1:2], off
	global_load_b32 v7, v[3:4], off
	s_or_b32 s8, s16, 32
	v_lshlrev_b32_e32 v1, 4, v0
	s_ashr_i32 s9, s8, 4
	s_cmp_lt_i32 s8, s18
	v_xor_b32_e32 v128, 16, v127
	s_cselect_b32 s8, s9, s3
	v_and_b32_e32 v1, 0xf0, v1
	s_ashr_i32 s9, s8, 31
	s_delay_alu instid0(SALU_CYCLE_1)
	s_lshl_b64 s[8:9], s[8:9], 2
	v_cmp_gt_i32_e32 vcc_lo, 32, v128
	s_add_u32 s8, s17, s8
	s_addc_u32 s9, s13, s9
	s_or_b32 s21, s16, 64
	v_add_co_u32 v1, s4, s4, v1
	s_ashr_i32 s22, s21, 4
	s_cmp_lt_i32 s21, s18
	v_add_co_ci_u32_e64 v2, null, s12, 0, s4
	s_cselect_b32 s22, s22, s3
	v_dual_cndmask_b32 v136, v127, v128 :: v_dual_and_b32 v103, 0xff, v103
	s_ashr_i32 s23, s22, 31
	s_delay_alu instid0(SALU_CYCLE_1) | instskip(NEXT) | instid1(VALU_DEP_1)
	s_lshl_b64 s[22:23], s[22:23], 2
	v_lshlrev_b32_e32 v115, 6, v103
	s_add_u32 s22, s17, s22
	s_addc_u32 s23, s13, s23
	s_or_b32 s21, s16, 0x60
	s_delay_alu instid0(SALU_CYCLE_1) | instskip(SKIP_2) | instid1(SALU_CYCLE_1)
	s_ashr_i32 s24, s21, 4
	s_cmp_lt_i32 s21, s18
	s_cselect_b32 s24, s24, s3
	s_ashr_i32 s25, s24, 31
	s_delay_alu instid0(SALU_CYCLE_1) | instskip(NEXT) | instid1(SALU_CYCLE_1)
	s_lshl_b64 s[24:25], s[24:25], 2
	s_add_u32 s24, s17, s24
	s_addc_u32 s25, s13, s25
	s_or_b32 s21, s16, 0x80
	s_delay_alu instid0(SALU_CYCLE_1) | instskip(SKIP_2) | instid1(SALU_CYCLE_1)
	s_ashr_i32 s26, s21, 4
	s_cmp_lt_i32 s21, s18
	s_cselect_b32 s26, s26, s3
	s_ashr_i32 s27, s26, 31
	s_delay_alu instid0(SALU_CYCLE_1) | instskip(NEXT) | instid1(SALU_CYCLE_1)
	s_lshl_b64 s[26:27], s[26:27], 2
	;; [unrolled: 10-line block ×3, first 2 shown]
	s_add_u32 s28, s17, s28
	s_addc_u32 s29, s13, s29
	s_clause 0x5
	s_load_b32 s12, s[6:7], 0x0
	s_load_b32 s4, s[8:9], 0x0
	;; [unrolled: 1-line block ×6, first 2 shown]
	s_or_b32 s21, s16, 0xc0
	s_delay_alu instid0(SALU_CYCLE_1) | instskip(SKIP_2) | instid1(SALU_CYCLE_1)
	s_ashr_i32 s22, s21, 4
	s_cmp_lt_i32 s21, s18
	s_cselect_b32 s22, s22, s3
	s_ashr_i32 s23, s22, 31
	s_delay_alu instid0(SALU_CYCLE_1) | instskip(NEXT) | instid1(SALU_CYCLE_1)
	s_lshl_b64 s[22:23], s[22:23], 2
	s_add_u32 s22, s17, s22
	s_addc_u32 s23, s13, s23
	s_or_b32 s21, s16, 0xe0
	s_delay_alu instid0(SALU_CYCLE_1) | instskip(SKIP_2) | instid1(SALU_CYCLE_1)
	s_ashr_i32 s24, s21, 4
	s_cmp_lt_i32 s21, s18
	s_cselect_b32 s24, s24, s3
	s_ashr_i32 s25, s24, 31
	s_delay_alu instid0(SALU_CYCLE_1)
	s_lshl_b64 s[24:25], s[24:25], 2
	s_waitcnt vmcnt(1)
	v_mad_i64_i32 v[3:4], null, v5, s5, v[1:2]
	s_waitcnt vmcnt(0)
	v_mad_i64_i32 v[5:6], null, v7, s5, v[1:2]
	v_lshlrev_b32_e32 v1, 4, v68
	s_clause 0x7
	global_load_b128 v[71:74], v[3:4], off
	global_load_b128 v[75:78], v[3:4], off offset:256
	global_load_b128 v[79:82], v[5:6], off
	global_load_b128 v[83:86], v[5:6], off offset:256
	global_load_b128 v[87:90], v[3:4], off offset:512
	;; [unrolled: 1-line block ×5, first 2 shown]
	v_lshl_or_b32 v1, v69, 8, v1
	s_load_b32 s3, s[22:23], 0x0
	s_add_u32 s22, s17, s24
	s_addc_u32 s23, s13, s25
	s_add_u32 s10, s10, s15
	s_addc_u32 s11, s11, s20
	v_add_co_u32 v1, s10, s10, v1
	s_delay_alu instid0(VALU_DEP_1) | instskip(SKIP_2) | instid1(VALU_DEP_1)
	v_add_co_ci_u32_e64 v2, null, s11, 0, s10
	s_load_b32 s10, s[22:23], 0x0
	s_waitcnt lgkmcnt(0)
	v_mad_i64_i32 v[3:4], null, s12, s5, v[1:2]
	v_mad_i64_i32 v[9:10], null, s7, s5, v[1:2]
	;; [unrolled: 1-line block ×7, first 2 shown]
	s_clause 0x5
	global_load_b128 v[49:52], v[3:4], off
	global_load_b128 v[53:56], v[3:4], off offset:16
	global_load_b128 v[41:44], v[5:6], off
	global_load_b128 v[45:48], v[5:6], off offset:16
	;; [unrolled: 2-line block ×3, first 2 shown]
	s_mov_b32 s4, 0
	v_mad_i64_i32 v[61:62], null, s10, s5, v[1:2]
	s_clause 0x9
	global_load_b128 v[1:4], v[9:10], off
	global_load_b128 v[5:8], v[9:10], off offset:16
	global_load_b128 v[9:12], v[13:14], off
	global_load_b128 v[13:16], v[13:14], off offset:16
	;; [unrolled: 2-line block ×5, first 2 shown]
	s_mov_b32 s5, s4
	s_mov_b32 s6, s4
	;; [unrolled: 1-line block ×7, first 2 shown]
	v_and_b32_e32 v104, 0xe0, v0
	v_dual_mov_b32 v126, s11 :: v_dual_mov_b32 v123, s8
	v_dual_mov_b32 v125, s10 :: v_dual_mov_b32 v124, s9
	s_delay_alu instid0(VALU_DEP_3)
	v_add_nc_u32_e32 v111, s16, v104
	ds_load_b128 v[103:106], v115
	ds_load_b128 v[107:110], v115 offset:1024
	v_dual_mov_b32 v122, s7 :: v_dual_mov_b32 v121, s6
	v_mov_b32_e32 v120, s5
	v_or_b32_e32 v135, v111, v66
	ds_load_b128 v[111:114], v115 offset:2048
	ds_load_b128 v[115:118], v115 offset:3072
	v_mov_b32_e32 v119, s4
	s_waitcnt vmcnt(0) lgkmcnt(0)
	s_barrier
	v_or_b32_e32 v137, 2, v135
	v_or_b32_e32 v138, 4, v135
	;; [unrolled: 1-line block ×3, first 2 shown]
	v_cmp_gt_i32_e32 vcc_lo, s18, v135
	v_or_b32_e32 v140, 8, v135
	v_cmp_gt_i32_e64 s3, s18, v137
	v_or_b32_e32 v141, 10, v135
	v_cmp_gt_i32_e64 s4, s18, v138
	v_cmp_gt_i32_e64 s5, s18, v139
	v_or_b32_e32 v142, 12, v135
	v_or_b32_e32 v143, 14, v135
	v_cmp_gt_i32_e64 s6, s18, v140
	v_cmp_gt_i32_e64 s7, s18, v141
	v_or_b32_e32 v144, 16, v135
	v_or_b32_e32 v145, 18, v135
	v_cmp_gt_i32_e64 s8, s18, v142
	v_cmp_gt_i32_e64 s9, s18, v143
	buffer_gl0_inv
	v_cmp_gt_i32_e64 s10, s18, v144
	v_cmp_gt_i32_e64 s11, s18, v145
	v_wmma_f32_16x16x16_f16 v[127:134], v[71:78], v[103:110], v[119:126]
	v_wmma_f32_16x16x16_f16 v[119:126], v[79:86], v[103:110], v[119:126]
	v_or_b32_e32 v71, 20, v135
	v_or_b32_e32 v72, 22, v135
	s_delay_alu instid0(VALU_DEP_4)
	v_wmma_f32_16x16x16_f16 v[127:134], v[87:94], v[111:118], v[127:134]
	v_or_b32_e32 v73, 24, v135
	v_wmma_f32_16x16x16_f16 v[119:126], v[95:102], v[111:118], v[119:126]
	v_or_b32_e32 v74, 26, v135
	v_cmp_gt_i32_e64 s12, s18, v71
	v_dual_mul_f32 v83, s19, v128 :: v_dual_mul_f32 v84, s19, v127
	s_delay_alu instid0(VALU_DEP_4) | instskip(SKIP_1) | instid1(VALU_DEP_3)
	v_dual_mul_f32 v81, s19, v130 :: v_dual_mul_f32 v92, s19, v119
	v_mul_f32_e32 v82, s19, v129
	v_cndmask_b32_e64 v83, 0xff7fffff, v83, s3
	s_delay_alu instid0(VALU_DEP_4)
	v_cndmask_b32_e32 v84, 0xff7fffff, v84, vcc_lo
	v_dual_mul_f32 v79, s19, v132 :: v_dual_mul_f32 v90, s19, v121
	v_mul_f32_e32 v80, s19, v131
	v_cndmask_b32_e64 v82, 0xff7fffff, v82, s4
	v_cndmask_b32_e64 v81, 0xff7fffff, v81, s5
	v_max3_f32 v83, v84, 0xff7fffff, v83
	v_dual_mul_f32 v77, s19, v134 :: v_dual_mul_f32 v88, s19, v123
	v_mul_f32_e32 v78, s19, v133
	v_cndmask_b32_e64 v80, 0xff7fffff, v80, s6
	v_cndmask_b32_e64 v79, 0xff7fffff, v79, s7
	v_max3_f32 v81, v83, v82, v81
	v_mul_f32_e32 v91, s19, v120
	v_cndmask_b32_e64 v78, 0xff7fffff, v78, s8
	v_cndmask_b32_e64 v77, 0xff7fffff, v77, s9
	v_mul_f32_e32 v89, s19, v122
	v_max3_f32 v79, v81, v80, v79
	v_cndmask_b32_e64 v80, 0xff7fffff, v92, s10
	v_cndmask_b32_e64 v81, 0xff7fffff, v91, s11
	v_cmp_gt_i32_e64 s13, s18, v72
	v_or_b32_e32 v75, 28, v135
	v_max3_f32 v77, v79, v78, v77
	v_or_b32_e32 v76, 30, v135
	v_mul_f32_e32 v87, s19, v124
	v_cndmask_b32_e64 v71, 0xff7fffff, v90, s12
	v_cndmask_b32_e64 v72, 0xff7fffff, v89, s13
	v_max3_f32 v77, v77, v80, v81
	v_cmp_gt_i32_e64 s15, s18, v73
	v_cmp_gt_i32_e64 s16, s18, v74
	v_dual_mul_f32 v85, s19, v126 :: v_dual_mul_f32 v86, s19, v125
	s_delay_alu instid0(VALU_DEP_4) | instskip(NEXT) | instid1(VALU_DEP_4)
	v_max3_f32 v71, v77, v71, v72
	v_cndmask_b32_e64 v73, 0xff7fffff, v88, s15
	s_delay_alu instid0(VALU_DEP_4) | instskip(SKIP_2) | instid1(VALU_DEP_3)
	v_cndmask_b32_e64 v74, 0xff7fffff, v87, s16
	v_cmp_gt_i32_e64 s17, s18, v75
	v_cmp_gt_i32_e64 s18, s18, v76
	v_max3_f32 v71, v71, v73, v74
	s_delay_alu instid0(VALU_DEP_3) | instskip(NEXT) | instid1(VALU_DEP_3)
	v_cndmask_b32_e64 v72, 0xff7fffff, v86, s17
	v_cndmask_b32_e64 v75, 0xff7fffff, v85, s18
	v_lshlrev_b32_e32 v73, 2, v136
	s_delay_alu instid0(VALU_DEP_2) | instskip(SKIP_3) | instid1(VALU_DEP_1)
	v_max3_f32 v71, v71, v72, v75
	ds_bpermute_b32 v72, v73, v71
	s_waitcnt lgkmcnt(0)
	v_max_f32_e32 v72, v72, v72
	v_max_f32_e32 v71, v71, v72
	s_delay_alu instid0(VALU_DEP_1)
	v_fma_f32 v72, s19, v127, -v71
	v_fma_f32 v74, s19, v128, -v71
	;; [unrolled: 1-line block ×5, first 2 shown]
	v_mul_f32_e32 v72, 0x3fb8aa3b, v72
	v_mul_f32_e32 v74, 0x3fb8aa3b, v74
	v_fma_f32 v80, s19, v133, -v71
	s_delay_alu instid0(VALU_DEP_4) | instskip(NEXT) | instid1(VALU_DEP_4)
	v_dual_mul_f32 v76, 0x3fb8aa3b, v76 :: v_dual_mul_f32 v77, 0x3fb8aa3b, v77
	v_exp_f32_e32 v72, v72
	s_delay_alu instid0(VALU_DEP_3) | instskip(NEXT) | instid1(VALU_DEP_2)
	v_exp_f32_e32 v74, v74
	v_mul_f32_e32 v82, 0x3fb8aa3b, v80
	s_delay_alu instid0(VALU_DEP_2) | instskip(SKIP_1) | instid1(VALU_DEP_1)
	v_exp_f32_e32 v76, v76
	v_exp_f32_e32 v77, v77
	;; [unrolled: 1-line block ×3, first 2 shown]
	v_cndmask_b32_e32 v79, 0, v72, vcc_lo
	v_fma_f32 v72, s19, v132, -v71
	v_mul_f32_e32 v75, 0x3fb8aa3b, v75
	v_cndmask_b32_e64 v78, 0, v74, s3
	s_delay_alu instid0(TRANS32_DEP_3)
	v_cndmask_b32_e64 v80, 0, v76, s5
	v_add_f32_e32 v74, 0, v79
	v_mul_f32_e32 v72, 0x3fb8aa3b, v72
	v_exp_f32_e32 v75, v75
	v_cndmask_b32_e64 v83, 0, v77, s6
	v_cndmask_b32_e64 v85, 0, v84, s8
	v_add_f32_e32 v74, v74, v78
	v_exp_f32_e32 v72, v72
	v_cmp_gt_u32_e64 s3, 16, v70
	s_waitcnt_depctr 0xfff
	v_cndmask_b32_e64 v81, 0, v75, s4
	v_cndmask_b32_e64 v82, 0, v72, s7
	s_delay_alu instid0(VALU_DEP_2) | instskip(NEXT) | instid1(VALU_DEP_1)
	v_add_f32_e32 v74, v74, v81
	v_add_f32_e32 v74, v74, v80
	s_delay_alu instid0(VALU_DEP_1) | instskip(SKIP_4) | instid1(VALU_DEP_4)
	v_add_f32_e32 v72, v74, v83
	v_fma_f32 v75, s19, v134, -v71
	v_fma_f32 v76, s19, v119, -v71
	v_fma_f32 v77, s19, v120, -v71
	v_fma_f32 v74, s19, v121, -v71
	v_dual_add_f32 v72, v72, v82 :: v_dual_mul_f32 v75, 0x3fb8aa3b, v75
	s_delay_alu instid0(VALU_DEP_3) | instskip(SKIP_1) | instid1(VALU_DEP_3)
	v_dual_mul_f32 v76, 0x3fb8aa3b, v76 :: v_dual_mul_f32 v77, 0x3fb8aa3b, v77
	v_fma_f32 v86, s19, v122, -v71
	v_add_f32_e32 v72, v72, v85
	s_delay_alu instid0(VALU_DEP_4) | instskip(NEXT) | instid1(VALU_DEP_3)
	v_exp_f32_e32 v75, v75
	v_exp_f32_e32 v76, v76
	;; [unrolled: 1-line block ×3, first 2 shown]
	v_mul_f32_e32 v86, 0x3fb8aa3b, v86
	s_delay_alu instid0(VALU_DEP_1) | instskip(SKIP_3) | instid1(TRANS32_DEP_3)
	v_exp_f32_e32 v88, v86
	v_cndmask_b32_e64 v84, 0, v75, s9
	v_fma_f32 v75, s19, v123, -v71
	v_mul_f32_e32 v74, 0x3fb8aa3b, v74
	v_cndmask_b32_e64 v87, 0, v76, s10
	v_fma_f32 v76, s19, v124, -v71
	s_delay_alu instid0(VALU_DEP_4) | instskip(NEXT) | instid1(VALU_DEP_4)
	v_dual_add_f32 v72, v72, v84 :: v_dual_mul_f32 v75, 0x3fb8aa3b, v75
	v_exp_f32_e32 v74, v74
	v_cndmask_b32_e64 v86, 0, v77, s11
	v_fma_f32 v77, s19, v125, -v71
	s_delay_alu instid0(VALU_DEP_3) | instskip(SKIP_3) | instid1(VALU_DEP_3)
	v_add_f32_e32 v72, v72, v87
	v_mul_f32_e32 v76, 0x3fb8aa3b, v76
	v_exp_f32_e32 v75, v75
	v_cndmask_b32_e64 v88, 0, v88, s13
	v_add_f32_e32 v72, v72, v86
	s_delay_alu instid0(VALU_DEP_3) | instskip(NEXT) | instid1(TRANS32_DEP_3)
	v_exp_f32_e32 v76, v76
	v_cndmask_b32_e64 v89, 0, v74, s12
	v_mul_f32_e32 v74, 0x3fb8aa3b, v77
	v_fma_f32 v77, s19, v126, -v71
	s_delay_alu instid0(VALU_DEP_3) | instskip(NEXT) | instid1(VALU_DEP_3)
	v_add_f32_e32 v72, v72, v89
	v_exp_f32_e32 v74, v74
	s_delay_alu instid0(TRANS32_DEP_3) | instskip(NEXT) | instid1(VALU_DEP_3)
	v_cndmask_b32_e64 v91, 0, v75, s15
	v_mul_f32_e32 v75, 0x3fb8aa3b, v77
	s_delay_alu instid0(TRANS32_DEP_2) | instskip(SKIP_1) | instid1(VALU_DEP_3)
	v_cndmask_b32_e64 v90, 0, v76, s16
	v_add_f32_e32 v72, v72, v88
	v_exp_f32_e32 v75, v75
	s_delay_alu instid0(VALU_DEP_1) | instskip(NEXT) | instid1(TRANS32_DEP_2)
	v_add_f32_e32 v72, v72, v91
	v_cndmask_b32_e64 v93, 0, v74, s17
	s_delay_alu instid0(VALU_DEP_2) | instskip(SKIP_3) | instid1(VALU_DEP_1)
	v_add_f32_e32 v72, v72, v90
	s_waitcnt_depctr 0xfff
	v_cndmask_b32_e64 v92, 0, v75, s18
	v_add_f32_e32 v72, v72, v93
	v_add_f32_e32 v72, v72, v92
	ds_bpermute_b32 v73, v73, v72
	s_and_saveexec_b32 s4, s3
	s_cbranch_execz .LBB788_12
; %bb.11:
	v_mul_u32_u24_e32 v70, 0x44, v69
	s_waitcnt lgkmcnt(0)
	v_add_f32_e32 v72, v72, v73
	s_delay_alu instid0(VALU_DEP_2) | instskip(NEXT) | instid1(VALU_DEP_1)
	v_lshl_add_u32 v70, v68, 2, v70
	v_add_nc_u32_e32 v70, 0x4000, v70
	ds_store_2addr_b32 v70, v71, v72 offset1:136
.LBB788_12:
	s_or_b32 exec_lo, exec_lo, s4
	v_lshlrev_b32_e32 v70, 2, v68
	s_load_b32 s36, s[0:1], 0x94
	s_waitcnt lgkmcnt(0)
	s_barrier
	buffer_gl0_inv
	v_add_nc_u32_e32 v98, 0x4000, v70
	v_cmp_eq_u32_e32 vcc_lo, 1, v69
	v_cmp_eq_u32_e64 s4, 2, v69
	v_cmp_eq_u32_e64 s5, 3, v69
	;; [unrolled: 1-line block ×3, first 2 shown]
	ds_load_2addr_b32 v[70:71], v98 offset1:17
	ds_load_2addr_b32 v[72:73], v98 offset0:34 offset1:51
	ds_load_2addr_b32 v[74:75], v98 offset0:68 offset1:85
	;; [unrolled: 1-line block ×3, first 2 shown]
	v_cmp_eq_u32_e64 s7, 5, v69
	v_cmp_eq_u32_e64 s8, 7, v69
	s_waitcnt lgkmcnt(3)
	v_max3_f32 v76, v70, 0xff7fffff, v71
	s_waitcnt lgkmcnt(2)
	s_delay_alu instid0(VALU_DEP_1) | instskip(SKIP_1) | instid1(VALU_DEP_1)
	v_max3_f32 v76, v76, v72, v73
	s_waitcnt lgkmcnt(1)
	v_max3_f32 v76, v76, v74, v75
	s_waitcnt lgkmcnt(0)
	s_delay_alu instid0(VALU_DEP_1) | instskip(NEXT) | instid1(VALU_DEP_1)
	v_max3_f32 v76, v76, v94, v95
	v_sub_f32_e32 v77, v71, v76
	ds_load_2addr_b32 v[96:97], v98 offset0:136 offset1:153
	v_sub_f32_e32 v74, v74, v76
	v_sub_f32_e32 v70, v70, v76
	v_sub_f32_e32 v94, v94, v76
	v_dual_sub_f32 v72, v72, v76 :: v_dual_mul_f32 v77, 0x3fb8aa3b, v77
	s_delay_alu instid0(VALU_DEP_4) | instskip(NEXT) | instid1(VALU_DEP_4)
	v_mul_f32_e32 v103, 0x3fb8aa3b, v74
	v_mul_f32_e32 v99, 0x3fb8aa3b, v70
	ds_load_2addr_b32 v[70:71], v98 offset0:170 offset1:187
	v_dual_mul_f32 v101, 0x3fb8aa3b, v72 :: v_dual_mul_f32 v94, 0x3fb8aa3b, v94
	v_exp_f32_e32 v102, v77
	v_exp_f32_e32 v99, v99
	s_delay_alu instid0(VALU_DEP_1) | instskip(NEXT) | instid1(VALU_DEP_1)
	v_exp_f32_e32 v101, v101
	v_exp_f32_e32 v94, v94
	s_waitcnt lgkmcnt(1)
	s_delay_alu instid0(TRANS32_DEP_3)
	v_fma_f32 v77, v99, v96, 0
	v_sub_f32_e32 v100, v73, v76
	ds_load_2addr_b32 v[72:73], v98 offset0:204 offset1:221
	v_fmac_f32_e32 v77, v102, v97
	v_exp_f32_e32 v97, v103
	s_waitcnt lgkmcnt(1)
	s_delay_alu instid0(VALU_DEP_1)
	v_dual_fmac_f32 v77, v101, v70 :: v_dual_sub_f32 v96, v75, v76
	ds_load_2addr_b32 v[74:75], v98 offset0:238 offset1:255
	v_sub_f32_e32 v70, v95, v76
	s_waitcnt lgkmcnt(0)
	s_barrier
	v_mul_f32_e32 v96, 0x3fb8aa3b, v96
	buffer_gl0_inv
	v_exp_f32_e32 v95, v96
	v_mul_f32_e32 v100, 0x3fb8aa3b, v100
	s_delay_alu instid0(VALU_DEP_1) | instskip(SKIP_3) | instid1(VALU_DEP_2)
	v_exp_f32_e32 v100, v100
	s_waitcnt_depctr 0xfff
	v_dual_fmac_f32 v77, v100, v71 :: v_dual_mul_f32 v70, 0x3fb8aa3b, v70
	v_cndmask_b32_e32 v71, v99, v102, vcc_lo
	v_fmac_f32_e32 v77, v97, v72
	s_delay_alu instid0(VALU_DEP_3) | instskip(NEXT) | instid1(VALU_DEP_1)
	v_exp_f32_e32 v96, v70
	v_fmac_f32_e32 v77, v95, v73
	s_delay_alu instid0(VALU_DEP_1) | instskip(SKIP_2) | instid1(VALU_DEP_1)
	v_fmac_f32_e32 v77, v94, v74
	s_waitcnt_depctr 0xfff
	v_fmac_f32_e32 v77, v96, v75
	v_add_f32_e32 v74, 0x358637bd, v77
	s_delay_alu instid0(VALU_DEP_1) | instskip(SKIP_1) | instid1(VALU_DEP_2)
	v_div_scale_f32 v98, null, v74, v74, 1.0
	v_div_scale_f32 v99, vcc_lo, 1.0, v74, 1.0
	v_rcp_f32_e32 v103, v98
	s_waitcnt_depctr 0xfff
	v_fma_f32 v70, -v98, v103, 1.0
	s_delay_alu instid0(VALU_DEP_1) | instskip(SKIP_2) | instid1(VALU_DEP_2)
	v_fmac_f32_e32 v103, v70, v103
	v_cndmask_b32_e64 v70, v71, v101, s4
	v_cmp_eq_u32_e64 s4, 6, v69
	v_cndmask_b32_e64 v71, v70, v100, s5
	s_delay_alu instid0(VALU_DEP_4) | instskip(NEXT) | instid1(VALU_DEP_2)
	v_dual_mul_f32 v101, v99, v103 :: v_dual_lshlrev_b32 v70, 2, v66
	v_cndmask_b32_e64 v71, v71, v97, s6
	s_delay_alu instid0(VALU_DEP_2) | instskip(NEXT) | instid1(VALU_DEP_3)
	v_or_b32_e32 v72, 1, v70
	v_fma_f32 v100, -v98, v101, v99
	v_cmp_eq_u32_e64 s5, 1, v70
	v_cmp_eq_u32_e64 s6, 2, v70
	v_cndmask_b32_e64 v95, v71, v95, s7
	v_or_b32_e32 v71, 3, v70
	v_fmac_f32_e32 v101, v100, v103
	v_cmp_eq_u32_e64 s10, 1, v72
	v_cmp_eq_u32_e64 s13, 2, v72
	v_cndmask_b32_e64 v94, v95, v94, s4
	v_cmp_eq_u32_e64 s12, 1, v71
	v_fma_f32 v97, -v98, v101, v99
	v_cmp_eq_u32_e64 s17, 2, v71
	v_cmp_eq_u32_e64 s15, 3, v72
	v_cndmask_b32_e64 v94, v94, v96, s8
	v_cmp_eq_u32_e64 s19, 3, v71
	v_div_fmas_f32 v95, v97, v103, v101
	v_cmp_eq_u32_e32 vcc_lo, 3, v70
	v_cmp_eq_u32_e64 s4, 4, v70
	v_cmp_eq_u32_e64 s20, 4, v72
	;; [unrolled: 1-line block ×3, first 2 shown]
	v_div_fixup_f32 v95, v95, v74, 1.0
	v_lshlrev_b32_e32 v73, 6, v68
	v_cmp_eq_u32_e64 s7, 5, v70
	v_cmp_eq_u32_e64 s21, 5, v72
	;; [unrolled: 1-line block ×3, first 2 shown]
	v_mul_f32_e32 v102, v94, v95
	v_lshl_or_b32 v75, v69, 11, v73
	v_or_b32_e32 v69, 2, v70
	v_cmp_eq_u32_e64 s26, 6, v72
	v_cmp_eq_u32_e64 s28, 6, v71
	v_fma_mixlo_f16 v94, v102, v79, 0
	v_fma_mixlo_f16 v95, v102, v81, 0
	;; [unrolled: 1-line block ×8, first 2 shown]
	v_lshl_or_b32 v74, v66, 4, v75
	v_fma_mixhi_f16 v94, v102, v78, 0
	v_fma_mixhi_f16 v95, v102, v80, 0
	;; [unrolled: 1-line block ×8, first 2 shown]
	ds_store_b128 v74, v[94:97]
	ds_store_b128 v74, v[98:101] offset:1024
	s_waitcnt lgkmcnt(0)
	s_barrier
	buffer_gl0_inv
	ds_load_b128 v[78:81], v75
	ds_load_b128 v[82:85], v75 offset:16
	ds_load_b128 v[86:89], v75 offset:1024
	;; [unrolled: 1-line block ×3, first 2 shown]
	v_cmp_eq_u32_e64 s11, 1, v69
	v_cmp_eq_u32_e64 s16, 2, v69
	;; [unrolled: 1-line block ×11, first 2 shown]
	s_waitcnt lgkmcnt(3)
	v_lshrrev_b32_e32 v94, 16, v78
	s_waitcnt lgkmcnt(2)
	v_lshrrev_b32_e32 v98, 16, v82
	s_waitcnt lgkmcnt(1)
	v_lshrrev_b32_e32 v102, 16, v86
	s_waitcnt lgkmcnt(0)
	v_lshrrev_b32_e32 v106, 16, v90
	v_lshrrev_b32_e32 v95, 16, v79
	v_cndmask_b32_e64 v110, v78, v94, s5
	v_cndmask_b32_e64 v111, v82, v98, s5
	;; [unrolled: 1-line block ×8, first 2 shown]
	v_lshrrev_b32_e32 v99, 16, v83
	v_cndmask_b32_e64 v94, v86, v102, s5
	v_cndmask_b32_e64 v98, v90, v106, s5
	;; [unrolled: 1-line block ×15, first 2 shown]
	v_lshrrev_b32_e32 v103, 16, v87
	v_lshrrev_b32_e32 v107, 16, v91
	v_cndmask_b32_e64 v113, v115, v83, s16
	v_cndmask_b32_e64 v82, v94, v87, s6
	;; [unrolled: 1-line block ×7, first 2 shown]
	v_cndmask_b32_e32 v90, v102, v95, vcc_lo
	v_cndmask_b32_e32 v102, v106, v99, vcc_lo
	v_cndmask_b32_e64 v106, v110, v95, s15
	v_cndmask_b32_e64 v110, v111, v99, s15
	;; [unrolled: 1-line block ×4, first 2 shown]
	v_lshrrev_b32_e32 v96, 16, v80
	v_lshrrev_b32_e32 v100, 16, v84
	v_cndmask_b32_e64 v111, v112, v95, s18
	v_cndmask_b32_e64 v112, v113, v99, s18
	v_cndmask_b32_e32 v82, v82, v103, vcc_lo
	v_cndmask_b32_e32 v83, v83, v107, vcc_lo
	v_cndmask_b32_e64 v94, v94, v103, s15
	v_cndmask_b32_e64 v90, v90, v80, s4
	v_cndmask_b32_e64 v95, v102, v84, s4
	v_cndmask_b32_e64 v99, v106, v80, s20
	v_cndmask_b32_e64 v102, v110, v84, s20
	v_cndmask_b32_e64 v78, v78, v80, s23
	v_cndmask_b32_e64 v79, v79, v84, s23
	v_lshrrev_b32_e32 v104, 16, v88
	v_cndmask_b32_e64 v106, v111, v80, s22
	v_cndmask_b32_e64 v110, v112, v84, s22
	;; [unrolled: 1-line block ×11, first 2 shown]
	v_lshrrev_b32_e32 v97, 16, v81
	v_lshrrev_b32_e32 v101, 16, v85
	v_cndmask_b32_e64 v99, v106, v96, s24
	v_cndmask_b32_e64 v102, v110, v100, s24
	;; [unrolled: 1-line block ×7, first 2 shown]
	v_lshrrev_b32_e32 v105, 16, v89
	v_cndmask_b32_e64 v80, v80, v104, s7
	v_cndmask_b32_e64 v84, v84, v81, s8
	;; [unrolled: 1-line block ×16, first 2 shown]
	v_perm_b32 v81, v79, v78, 0x5040100
	v_perm_b32 v79, v95, v85, 0x5040100
	v_cndmask_b32_e64 v78, v119, v91, s16
	v_cndmask_b32_e64 v85, v117, v91, s13
	;; [unrolled: 1-line block ×3, first 2 shown]
	v_perm_b32 v80, v94, v90, 0x5040100
	v_cndmask_b32_e64 v90, v98, v103, s18
	v_cndmask_b32_e64 v86, v86, v103, s19
	;; [unrolled: 1-line block ×5, first 2 shown]
	v_lshrrev_b32_e32 v108, 16, v92
	v_cndmask_b32_e64 v90, v90, v88, s22
	v_cndmask_b32_e64 v86, v86, v88, s23
	;; [unrolled: 1-line block ×11, first 2 shown]
	v_lshrrev_b32_e32 v109, 16, v93
	v_cndmask_b32_e64 v82, v82, v93, s8
	v_cndmask_b32_e64 v88, v88, v89, s27
	v_cndmask_b32_e64 v86, v86, v89, s28
	v_cndmask_b32_e64 v87, v87, v93, s28
	v_cndmask_b32_e64 v78, v78, v93, s27
	v_cndmask_b32_e64 v85, v85, v93, s26
	v_cndmask_b32_e64 v88, v88, v105, s29
	v_cndmask_b32_e64 v86, v86, v105, s30
	v_cndmask_b32_e64 v87, v87, v109, s30
	v_cndmask_b32_e64 v89, v78, v109, s29
	v_cndmask_b32_e64 v90, v85, v109, s31
	v_cndmask_b32_e64 v82, v82, v109, s9
	v_perm_b32 v78, v84, v83, 0x5040100
	v_perm_b32 v85, v87, v86, 0x5040100
	;; [unrolled: 1-line block ×5, first 2 shown]
	s_mul_i32 s9, s35, 3
	s_mov_b32 s4, exec_lo
	ds_store_b128 v74, v[78:81]
	ds_store_b128 v74, v[82:85] offset:1024
	v_cmpx_gt_u32_e32 3, v0
	s_cbranch_execz .LBB788_14
; %bb.13:
	s_mul_i32 s5, s9, s34
	s_load_b128 s[16:19], s[0:1], 0x58
	v_add3_u32 v68, s5, s33, v68
	s_delay_alu instid0(VALU_DEP_1) | instskip(NEXT) | instid1(VALU_DEP_1)
	v_mad_u64_u32 v[78:79], null, v68, s36, s[14:15]
	v_ashrrev_i32_e32 v79, 31, v78
	s_delay_alu instid0(VALU_DEP_1) | instskip(SKIP_1) | instid1(VALU_DEP_1)
	v_lshlrev_b64 v[78:79], 2, v[78:79]
	s_waitcnt lgkmcnt(0)
	v_add_co_u32 v80, vcc_lo, s18, v78
	s_delay_alu instid0(VALU_DEP_2)
	v_add_co_ci_u32_e32 v81, vcc_lo, s19, v79, vcc_lo
	v_add_co_u32 v78, vcc_lo, s16, v78
	v_add_co_ci_u32_e32 v79, vcc_lo, s17, v79, vcc_lo
	global_store_b32 v[80:81], v76, off
	global_store_b32 v[78:79], v77, off
.LBB788_14:
	s_or_b32 exec_lo, exec_lo, s4
	s_waitcnt lgkmcnt(0)
	s_waitcnt_vscnt null, 0x0
	s_barrier
	buffer_gl0_inv
	ds_load_b128 v[84:87], v73
	ds_load_b128 v[88:91], v73 offset:16
	ds_load_b128 v[96:99], v73 offset:2064
	;; [unrolled: 1-line block ×5, first 2 shown]
	v_cmp_eq_u32_e32 vcc_lo, 1, v70
	v_mov_b32_e32 v76, 0
	ds_load_b128 v[112:115], v73 offset:6160
	ds_load_b128 v[108:111], v73 offset:6144
	;; [unrolled: 1-line block ×4, first 2 shown]
	v_cmp_eq_u32_e64 s5, 1, v69
	v_cmp_eq_u32_e64 s4, 1, v72
	;; [unrolled: 1-line block ×3, first 2 shown]
	v_mov_b32_e32 v77, v76
	v_mov_b32_e32 v78, v76
	;; [unrolled: 1-line block ×7, first 2 shown]
	v_cmp_eq_u32_e64 s7, 3, v72
	v_cmp_eq_u32_e64 s8, 7, v72
	s_waitcnt lgkmcnt(8)
	s_delay_alu instid0(VALU_DEP_3)
	v_wmma_f32_16x16x16_f16 v[76:83], v[49:56], v[84:91], v[76:83]
	ds_load_b128 v[53:56], v73 offset:10256
	ds_load_b128 v[49:52], v73 offset:10240
	s_waitcnt lgkmcnt(8)
	v_wmma_f32_16x16x16_f16 v[76:83], v[41:48], v[92:99], v[76:83]
	ds_load_b128 v[45:48], v73 offset:12304
	ds_load_b128 v[41:44], v73 offset:12288
	s_waitcnt lgkmcnt(8)
	;; [unrolled: 4-line block ×3, first 2 shown]
	s_barrier
	buffer_gl0_inv
	v_wmma_f32_16x16x16_f16 v[76:83], v[1:8], v[108:115], v[76:83]
	s_delay_alu instid0(VALU_DEP_1) | instskip(NEXT) | instid1(VALU_DEP_1)
	v_wmma_f32_16x16x16_f16 v[76:83], v[9:16], v[116:123], v[76:83]
	v_wmma_f32_16x16x16_f16 v[76:83], v[17:24], v[49:56], v[76:83]
	s_delay_alu instid0(VALU_DEP_1) | instskip(NEXT) | instid1(VALU_DEP_1)
	v_wmma_f32_16x16x16_f16 v[76:83], v[25:32], v[41:48], v[76:83]
	v_wmma_f32_16x16x16_f16 v[76:83], v[57:64], v[33:40], v[76:83]
	s_delay_alu instid0(VALU_DEP_1) | instskip(NEXT) | instid1(VALU_DEP_2)
	v_cvt_f16_f32_e32 v1, v76
	v_cvt_f16_f32_e32 v2, v77
	s_delay_alu instid0(VALU_DEP_3) | instskip(NEXT) | instid1(VALU_DEP_4)
	v_cvt_f16_f32_e32 v3, v78
	v_cvt_f16_f32_e32 v4, v79
	v_cvt_f16_f32_e32 v5, v80
	v_cvt_f16_f32_e32 v6, v81
	v_cvt_f16_f32_e32 v7, v82
	v_cvt_f16_f32_e32 v8, v83
	v_pack_b32_f16 v1, v1, v2
	v_pack_b32_f16 v2, v3, v4
	;; [unrolled: 1-line block ×3, first 2 shown]
	s_delay_alu instid0(VALU_DEP_4)
	v_pack_b32_f16 v4, v7, v8
	ds_store_b128 v74, v[1:4]
	s_waitcnt lgkmcnt(0)
	s_barrier
	buffer_gl0_inv
	ds_load_b128 v[1:4], v75
	ds_load_b128 v[5:8], v75 offset:16
	s_waitcnt lgkmcnt(1)
	v_lshrrev_b32_e32 v9, 16, v1
	s_waitcnt lgkmcnt(0)
	v_lshrrev_b32_e32 v13, 16, v5
	v_lshrrev_b32_e32 v10, 16, v2
	;; [unrolled: 1-line block ×4, first 2 shown]
	v_cndmask_b32_e32 v17, v1, v9, vcc_lo
	v_cndmask_b32_e32 v18, v5, v13, vcc_lo
	v_cndmask_b32_e64 v21, v1, v9, s5
	v_cmp_eq_u32_e32 vcc_lo, 1, v71
	v_cndmask_b32_e64 v22, v5, v13, s5
	v_cmp_eq_u32_e64 s5, 2, v70
	v_cndmask_b32_e64 v19, v1, v9, s4
	v_cndmask_b32_e64 v20, v5, v13, s4
	v_cndmask_b32_e32 v1, v1, v9, vcc_lo
	v_cmp_eq_u32_e64 s4, 2, v71
	v_cndmask_b32_e32 v5, v5, v13, vcc_lo
	v_cndmask_b32_e64 v9, v17, v2, s5
	v_cmp_eq_u32_e32 vcc_lo, 3, v70
	v_cndmask_b32_e64 v13, v18, v6, s5
	v_cmp_eq_u32_e64 s5, 2, v69
	v_cndmask_b32_e64 v17, v19, v2, s6
	v_cndmask_b32_e64 v18, v20, v6, s6
	v_cmp_eq_u32_e64 s6, 3, v69
	v_cndmask_b32_e64 v1, v1, v2, s4
	v_cndmask_b32_e64 v19, v21, v2, s5
	;; [unrolled: 1-line block ×4, first 2 shown]
	v_cndmask_b32_e32 v5, v9, v10, vcc_lo
	v_cndmask_b32_e32 v6, v13, v14, vcc_lo
	v_cmp_eq_u32_e32 vcc_lo, 3, v71
	v_cndmask_b32_e64 v9, v17, v10, s7
	v_cndmask_b32_e64 v13, v18, v14, s7
	;; [unrolled: 1-line block ×3, first 2 shown]
	v_cmp_eq_u32_e64 s5, 4, v70
	v_cndmask_b32_e32 v1, v1, v10, vcc_lo
	v_cndmask_b32_e32 v2, v2, v14, vcc_lo
	v_cmp_eq_u32_e32 vcc_lo, 4, v72
	v_lshrrev_b32_e32 v15, 16, v7
	v_lshrrev_b32_e32 v16, 16, v8
	v_cndmask_b32_e64 v17, v19, v10, s6
	v_cmp_eq_u32_e64 s4, 4, v71
	v_cndmask_b32_e64 v5, v5, v3, s5
	v_cndmask_b32_e64 v6, v6, v7, s5
	v_cndmask_b32_e32 v9, v9, v3, vcc_lo
	v_cmp_eq_u32_e64 s5, 5, v72
	v_cndmask_b32_e32 v10, v13, v7, vcc_lo
	v_cmp_eq_u32_e32 vcc_lo, 4, v69
	v_cmp_eq_u32_e64 s6, 5, v70
	v_cndmask_b32_e64 v2, v2, v7, s4
	v_cndmask_b32_e64 v9, v9, v11, s5
	;; [unrolled: 1-line block ×3, first 2 shown]
	v_cndmask_b32_e32 v13, v17, v3, vcc_lo
	v_cmp_eq_u32_e64 s5, 5, v69
	v_cndmask_b32_e32 v14, v18, v7, vcc_lo
	v_cndmask_b32_e64 v1, v1, v3, s4
	v_cmp_eq_u32_e32 vcc_lo, 5, v71
	v_lshrrev_b32_e32 v12, 16, v4
	v_cndmask_b32_e64 v13, v13, v11, s5
	v_cndmask_b32_e64 v3, v14, v15, s5
	v_cmp_eq_u32_e64 s5, 6, v71
	v_cndmask_b32_e32 v1, v1, v11, vcc_lo
	v_cndmask_b32_e64 v5, v5, v11, s6
	v_cmp_eq_u32_e64 s7, 6, v70
	v_cndmask_b32_e64 v6, v6, v15, s6
	v_cmp_eq_u32_e64 s6, 6, v72
	v_cmp_eq_u32_e64 s4, 6, v69
	v_cndmask_b32_e64 v1, v1, v4, s5
	v_cndmask_b32_e32 v2, v2, v15, vcc_lo
	v_cmp_eq_u32_e32 vcc_lo, 7, v71
	v_cndmask_b32_e64 v5, v5, v4, s7
	v_cndmask_b32_e64 v9, v9, v4, s6
	;; [unrolled: 1-line block ×3, first 2 shown]
	v_cmp_eq_u32_e64 s7, 7, v70
	v_cndmask_b32_e32 v1, v1, v12, vcc_lo
	v_cndmask_b32_e64 v7, v13, v4, s4
	v_cndmask_b32_e64 v3, v3, v8, s4
	;; [unrolled: 1-line block ×3, first 2 shown]
	v_cmp_eq_u32_e64 s4, 7, v69
	v_cndmask_b32_e64 v4, v10, v8, s6
	v_cndmask_b32_e64 v5, v5, v12, s7
	;; [unrolled: 1-line block ×3, first 2 shown]
	v_cndmask_b32_e32 v2, v2, v16, vcc_lo
	v_cndmask_b32_e64 v7, v7, v12, s4
	v_cndmask_b32_e64 v3, v3, v16, s4
	;; [unrolled: 1-line block ×4, first 2 shown]
	v_cmp_gt_u32_e32 vcc_lo, 32, v0
	v_perm_b32 v4, v2, v1, 0x5040100
	v_perm_b32 v3, v3, v7, 0x5040100
	;; [unrolled: 1-line block ×4, first 2 shown]
	s_and_b32 s2, vcc_lo, s2
	ds_store_b128 v74, v[1:4]
	s_waitcnt lgkmcnt(0)
	s_barrier
	buffer_gl0_inv
	s_and_saveexec_b32 s4, s2
	s_cbranch_execz .LBB788_2
; %bb.15:
	s_load_b64 s[4:5], s[0:1], 0x68
	v_lshlrev_b32_e32 v0, 10, v0
	v_lshlrev_b32_e32 v2, 4, v67
	v_add_nc_u32_e32 v1, s33, v66
	s_lshl_b32 s0, s36, 6
	s_delay_alu instid0(SALU_CYCLE_1) | instskip(NEXT) | instid1(VALU_DEP_2)
	s_mul_i32 s1, s0, s34
	v_and_or_b32 v0, 0x3800, v0, v2
	s_mul_i32 s6, s1, s9
	v_mul_lo_u32 v1, v1, s0
	s_ashr_i32 s7, s6, 31
	s_delay_alu instid0(VALU_DEP_2) | instskip(SKIP_1) | instid1(VALU_DEP_2)
	v_lshl_or_b32 v3, v66, 6, v0
	s_lshl_b64 s[6:7], s[6:7], 1
	v_ashrrev_i32_e32 v2, 31, v1
	ds_load_b128 v[3:6], v3
	s_waitcnt lgkmcnt(0)
	s_add_u32 s1, s4, s6
	s_addc_u32 s2, s5, s7
	s_lshl_b32 s4, s14, 6
	v_lshlrev_b64 v[7:8], 1, v[1:2]
	s_ashr_i32 s5, s4, 31
	s_delay_alu instid0(SALU_CYCLE_1) | instskip(NEXT) | instid1(SALU_CYCLE_1)
	s_lshl_b64 s[4:5], s[4:5], 1
	s_add_u32 s1, s1, s4
	s_addc_u32 s2, s2, s5
	v_add_co_u32 v1, s1, s1, v65
	s_delay_alu instid0(VALU_DEP_1) | instskip(NEXT) | instid1(VALU_DEP_2)
	v_add_co_ci_u32_e64 v2, null, s2, 0, s1
	v_add_co_u32 v7, vcc_lo, v1, v7
	s_delay_alu instid0(VALU_DEP_2)
	v_add_co_ci_u32_e32 v8, vcc_lo, v2, v8, vcc_lo
	global_store_b128 v[7:8], v[3:6], off
	s_and_b32 exec_lo, exec_lo, s3
	s_cbranch_execz .LBB788_2
; %bb.16:
	ds_load_b128 v[3:6], v0 offset:128
	s_add_i32 s1, s33, 2
	s_delay_alu instid0(SALU_CYCLE_1) | instskip(NEXT) | instid1(SALU_CYCLE_1)
	s_mul_i32 s0, s1, s0
	s_ashr_i32 s1, s0, 31
	s_delay_alu instid0(SALU_CYCLE_1) | instskip(NEXT) | instid1(SALU_CYCLE_1)
	s_lshl_b64 s[0:1], s[0:1], 1
	v_add_co_u32 v0, vcc_lo, v1, s0
	v_add_co_ci_u32_e32 v1, vcc_lo, s1, v2, vcc_lo
	s_waitcnt lgkmcnt(0)
	global_store_b128 v[0:1], v[3:6], off
	s_nop 0
	s_sendmsg sendmsg(MSG_DEALLOC_VGPRS)
	s_endpgm
	.section	.rodata,"a",@progbits
	.p2align	6, 0x0
	.amdhsa_kernel _Z39paged_attention_ll4mi_QKV_mfma16_kernelIDF16_hLN4vllm18Fp8KVCacheDataTypeE1EhLi16ELi64ELi256ELb1ELi3EL8MFMAType1EEvPKT_PKT0_S8_ifPKiSA_SA_iPKfiiiPfSD_PS3_PT2_iSC_SC_
		.amdhsa_group_segment_fixed_size 17472
		.amdhsa_private_segment_fixed_size 0
		.amdhsa_kernarg_size 400
		.amdhsa_user_sgpr_count 13
		.amdhsa_user_sgpr_dispatch_ptr 0
		.amdhsa_user_sgpr_queue_ptr 0
		.amdhsa_user_sgpr_kernarg_segment_ptr 1
		.amdhsa_user_sgpr_dispatch_id 0
		.amdhsa_user_sgpr_private_segment_size 0
		.amdhsa_wavefront_size32 1
		.amdhsa_uses_dynamic_stack 0
		.amdhsa_enable_private_segment 0
		.amdhsa_system_sgpr_workgroup_id_x 1
		.amdhsa_system_sgpr_workgroup_id_y 1
		.amdhsa_system_sgpr_workgroup_id_z 1
		.amdhsa_system_sgpr_workgroup_info 0
		.amdhsa_system_vgpr_workitem_id 0
		.amdhsa_next_free_vgpr 146
		.amdhsa_next_free_sgpr 37
		.amdhsa_reserve_vcc 1
		.amdhsa_float_round_mode_32 0
		.amdhsa_float_round_mode_16_64 0
		.amdhsa_float_denorm_mode_32 3
		.amdhsa_float_denorm_mode_16_64 3
		.amdhsa_dx10_clamp 1
		.amdhsa_ieee_mode 1
		.amdhsa_fp16_overflow 0
		.amdhsa_workgroup_processor_mode 1
		.amdhsa_memory_ordered 1
		.amdhsa_forward_progress 0
		.amdhsa_shared_vgpr_count 0
		.amdhsa_exception_fp_ieee_invalid_op 0
		.amdhsa_exception_fp_denorm_src 0
		.amdhsa_exception_fp_ieee_div_zero 0
		.amdhsa_exception_fp_ieee_overflow 0
		.amdhsa_exception_fp_ieee_underflow 0
		.amdhsa_exception_fp_ieee_inexact 0
		.amdhsa_exception_int_div_zero 0
	.end_amdhsa_kernel
	.section	.text._Z39paged_attention_ll4mi_QKV_mfma16_kernelIDF16_hLN4vllm18Fp8KVCacheDataTypeE1EhLi16ELi64ELi256ELb1ELi3EL8MFMAType1EEvPKT_PKT0_S8_ifPKiSA_SA_iPKfiiiPfSD_PS3_PT2_iSC_SC_,"axG",@progbits,_Z39paged_attention_ll4mi_QKV_mfma16_kernelIDF16_hLN4vllm18Fp8KVCacheDataTypeE1EhLi16ELi64ELi256ELb1ELi3EL8MFMAType1EEvPKT_PKT0_S8_ifPKiSA_SA_iPKfiiiPfSD_PS3_PT2_iSC_SC_,comdat
.Lfunc_end788:
	.size	_Z39paged_attention_ll4mi_QKV_mfma16_kernelIDF16_hLN4vllm18Fp8KVCacheDataTypeE1EhLi16ELi64ELi256ELb1ELi3EL8MFMAType1EEvPKT_PKT0_S8_ifPKiSA_SA_iPKfiiiPfSD_PS3_PT2_iSC_SC_, .Lfunc_end788-_Z39paged_attention_ll4mi_QKV_mfma16_kernelIDF16_hLN4vllm18Fp8KVCacheDataTypeE1EhLi16ELi64ELi256ELb1ELi3EL8MFMAType1EEvPKT_PKT0_S8_ifPKiSA_SA_iPKfiiiPfSD_PS3_PT2_iSC_SC_
                                        ; -- End function
	.section	.AMDGPU.csdata,"",@progbits
; Kernel info:
; codeLenInByte = 6428
; NumSgprs: 39
; NumVgprs: 146
; ScratchSize: 0
; MemoryBound: 0
; FloatMode: 240
; IeeeMode: 1
; LDSByteSize: 17472 bytes/workgroup (compile time only)
; SGPRBlocks: 4
; VGPRBlocks: 18
; NumSGPRsForWavesPerEU: 39
; NumVGPRsForWavesPerEU: 146
; Occupancy: 9
; WaveLimiterHint : 1
; COMPUTE_PGM_RSRC2:SCRATCH_EN: 0
; COMPUTE_PGM_RSRC2:USER_SGPR: 13
; COMPUTE_PGM_RSRC2:TRAP_HANDLER: 0
; COMPUTE_PGM_RSRC2:TGID_X_EN: 1
; COMPUTE_PGM_RSRC2:TGID_Y_EN: 1
; COMPUTE_PGM_RSRC2:TGID_Z_EN: 1
; COMPUTE_PGM_RSRC2:TIDIG_COMP_CNT: 0
	.section	.text._Z39paged_attention_ll4mi_QKV_mfma16_kernelIDF16_hLN4vllm18Fp8KVCacheDataTypeE1EhLi16ELi64ELi256ELb1ELi4EL8MFMAType1EEvPKT_PKT0_S8_ifPKiSA_SA_iPKfiiiPfSD_PS3_PT2_iSC_SC_,"axG",@progbits,_Z39paged_attention_ll4mi_QKV_mfma16_kernelIDF16_hLN4vllm18Fp8KVCacheDataTypeE1EhLi16ELi64ELi256ELb1ELi4EL8MFMAType1EEvPKT_PKT0_S8_ifPKiSA_SA_iPKfiiiPfSD_PS3_PT2_iSC_SC_,comdat
	.protected	_Z39paged_attention_ll4mi_QKV_mfma16_kernelIDF16_hLN4vllm18Fp8KVCacheDataTypeE1EhLi16ELi64ELi256ELb1ELi4EL8MFMAType1EEvPKT_PKT0_S8_ifPKiSA_SA_iPKfiiiPfSD_PS3_PT2_iSC_SC_ ; -- Begin function _Z39paged_attention_ll4mi_QKV_mfma16_kernelIDF16_hLN4vllm18Fp8KVCacheDataTypeE1EhLi16ELi64ELi256ELb1ELi4EL8MFMAType1EEvPKT_PKT0_S8_ifPKiSA_SA_iPKfiiiPfSD_PS3_PT2_iSC_SC_
	.globl	_Z39paged_attention_ll4mi_QKV_mfma16_kernelIDF16_hLN4vllm18Fp8KVCacheDataTypeE1EhLi16ELi64ELi256ELb1ELi4EL8MFMAType1EEvPKT_PKT0_S8_ifPKiSA_SA_iPKfiiiPfSD_PS3_PT2_iSC_SC_
	.p2align	8
	.type	_Z39paged_attention_ll4mi_QKV_mfma16_kernelIDF16_hLN4vllm18Fp8KVCacheDataTypeE1EhLi16ELi64ELi256ELb1ELi4EL8MFMAType1EEvPKT_PKT0_S8_ifPKiSA_SA_iPKfiiiPfSD_PS3_PT2_iSC_SC_,@function
_Z39paged_attention_ll4mi_QKV_mfma16_kernelIDF16_hLN4vllm18Fp8KVCacheDataTypeE1EhLi16ELi64ELi256ELb1ELi4EL8MFMAType1EEvPKT_PKT0_S8_ifPKiSA_SA_iPKfiiiPfSD_PS3_PT2_iSC_SC_: ; @_Z39paged_attention_ll4mi_QKV_mfma16_kernelIDF16_hLN4vllm18Fp8KVCacheDataTypeE1EhLi16ELi64ELi256ELb1ELi4EL8MFMAType1EEvPKT_PKT0_S8_ifPKiSA_SA_iPKfiiiPfSD_PS3_PT2_iSC_SC_
; %bb.0:
	s_load_b64 s[2:3], s[0:1], 0x30
	s_mov_b32 s34, s13
	s_waitcnt lgkmcnt(0)
	s_cmp_lg_u64 s[2:3], 0
	s_cselect_b32 s8, -1, 0
	s_ashr_i32 s35, s13, 31
	s_cmp_eq_u64 s[2:3], 0
	s_cbranch_scc1 .LBB789_3
; %bb.1:
	s_lshl_b64 s[4:5], s[34:35], 2
	s_delay_alu instid0(SALU_CYCLE_1) | instskip(SKIP_4) | instid1(SALU_CYCLE_1)
	s_add_u32 s4, s2, s4
	s_addc_u32 s5, s3, s5
	s_load_b64 s[4:5], s[4:5], 0x0
	s_waitcnt lgkmcnt(0)
	s_sub_i32 s4, s5, s4
	s_cmp_eq_u32 s4, 1
	s_cselect_b32 s4, -1, 0
	s_delay_alu instid0(SALU_CYCLE_1)
	s_and_not1_b32 vcc_lo, exec_lo, s4
	s_cbranch_vccz .LBB789_4
.LBB789_2:
	s_endpgm
.LBB789_3:
.LBB789_4:
	s_load_b64 s[4:5], s[0:1], 0x28
	s_lshl_b64 s[6:7], s[34:35], 2
	s_waitcnt lgkmcnt(0)
	s_add_u32 s4, s4, s6
	s_addc_u32 s5, s5, s7
	s_lshl_b32 s12, s14, 8
	s_load_b32 s24, s[4:5], 0x0
	s_waitcnt lgkmcnt(0)
	s_cmp_ge_i32 s12, s24
	s_cbranch_scc1 .LBB789_2
; %bb.5:
	s_clause 0x1
	s_load_b128 s[20:23], s[0:1], 0x8
	s_load_b64 s[4:5], s[0:1], 0x20
	s_and_not1_b32 vcc_lo, exec_lo, s8
	s_cbranch_vccnz .LBB789_7
; %bb.6:
	s_add_u32 s2, s2, s6
	s_addc_u32 s3, s3, s7
	s_load_b32 s3, s[2:3], 0x0
	s_branch .LBB789_8
.LBB789_7:
	s_mov_b32 s3, s34
.LBB789_8:
	s_load_b128 s[16:19], s[0:1], 0x48
	v_and_b32_e32 v69, 15, v0
	v_cmp_gt_u32_e32 vcc_lo, 64, v0
	v_lshrrev_b32_e32 v68, 5, v0
	v_and_b32_e32 v70, 31, v0
	v_and_b32_e32 v66, 1, v0
	v_lshlrev_b32_e32 v1, 3, v69
	v_cmp_gt_u32_e64 s2, 8, v69
	v_bfe_u32 v67, v0, 4, 1
	s_lshl_b32 s31, s15, 2
	s_delay_alu instid0(VALU_DEP_3) | instskip(NEXT) | instid1(VALU_DEP_3)
	v_lshlrev_b32_e32 v65, 1, v1
	s_and_b32 s7, vcc_lo, s2
	s_delay_alu instid0(SALU_CYCLE_1)
	s_and_saveexec_b32 s6, s7
	s_cbranch_execz .LBB789_10
; %bb.9:
	v_lshl_or_b32 v5, v68, 1, v67
	s_load_b64 s[8:9], s[0:1], 0x0
	s_waitcnt lgkmcnt(0)
	s_mul_hi_i32 s11, s3, s16
	s_mul_i32 s10, s3, s16
	v_lshlrev_b32_e32 v6, 10, v69
	v_or_b32_e32 v1, s31, v5
	s_lshl_b64 s[10:11], s[10:11], 1
	v_lshlrev_b32_e32 v5, 6, v5
	v_lshlrev_b32_e32 v7, 10, v66
	v_and_b32_e32 v6, 0x3800, v6
	v_lshlrev_b32_e32 v1, 6, v1
	s_delay_alu instid0(VALU_DEP_2) | instskip(NEXT) | instid1(VALU_DEP_2)
	v_or3_b32 v5, v6, v7, v5
	v_ashrrev_i32_e32 v2, 31, v1
	s_delay_alu instid0(VALU_DEP_1) | instskip(SKIP_2) | instid1(VALU_DEP_1)
	v_lshlrev_b64 v[1:2], 1, v[1:2]
	s_add_u32 s3, s8, s10
	s_addc_u32 s7, s9, s11
	v_add_co_u32 v1, vcc_lo, s3, v1
	s_delay_alu instid0(VALU_DEP_2) | instskip(NEXT) | instid1(VALU_DEP_2)
	v_add_co_ci_u32_e32 v2, vcc_lo, s7, v2, vcc_lo
	v_add_co_u32 v1, vcc_lo, v1, v65
	s_delay_alu instid0(VALU_DEP_2)
	v_add_co_ci_u32_e32 v2, vcc_lo, 0, v2, vcc_lo
	global_load_b128 v[1:4], v[1:2], off
	s_waitcnt vmcnt(0)
	ds_store_b128 v5, v[1:4]
.LBB789_10:
	s_or_b32 exec_lo, exec_lo, s6
	v_and_b32_e32 v1, 0xef, v0
	s_waitcnt lgkmcnt(0)
	s_add_i32 s3, s24, 15
	s_clause 0x1
	s_load_b32 s6, s[0:1], 0x38
	s_load_b32 s33, s[0:1], 0x98
	s_ashr_i32 s7, s3, 31
	v_add_nc_u32_e32 v1, s12, v1
	s_lshr_b32 s7, s7, 28
	s_load_b32 s19, s[0:1], 0x1c
	s_add_i32 s3, s3, s7
	s_waitcnt lgkmcnt(0)
	v_ashrrev_i32_e32 v2, 31, v1
	v_or_b32_e32 v3, 16, v1
	s_ashr_i32 s3, s3, 4
	v_cmp_gt_i32_e32 vcc_lo, s24, v1
	s_add_i32 s3, s3, -1
	v_lshrrev_b32_e32 v2, 28, v2
	s_barrier
	buffer_gl0_inv
	s_mul_i32 s27, s15, s18
	v_add_nc_u32_e32 v4, v1, v2
	s_mul_i32 s6, s34, s6
	s_delay_alu instid0(SALU_CYCLE_1) | instskip(NEXT) | instid1(VALU_DEP_1)
	s_ashr_i32 s7, s6, 31
	v_ashrrev_i32_e32 v4, 4, v4
	v_add_nc_u32_e32 v2, v3, v2
	s_lshl_b64 s[6:7], s[6:7], 2
	s_delay_alu instid0(SALU_CYCLE_1) | instskip(NEXT) | instid1(VALU_DEP_2)
	s_add_u32 s26, s4, s6
	v_cndmask_b32_e32 v1, s3, v4, vcc_lo
	s_delay_alu instid0(VALU_DEP_2)
	v_ashrrev_i32_e32 v2, 4, v2
	v_cmp_gt_i32_e32 vcc_lo, s24, v3
	s_addc_u32 s25, s5, s7
	s_ashr_i32 s28, s27, 31
	s_add_u32 s13, s20, s27
	s_addc_u32 s15, s21, s28
	v_cndmask_b32_e32 v3, s3, v2, vcc_lo
	v_ashrrev_i32_e32 v2, 31, v1
	s_lshl_b32 s4, s14, 4
	s_delay_alu instid0(SALU_CYCLE_1) | instskip(NEXT) | instid1(VALU_DEP_2)
	s_ashr_i32 s5, s4, 31
	v_ashrrev_i32_e32 v4, 31, v3
	s_delay_alu instid0(VALU_DEP_2) | instskip(SKIP_1) | instid1(SALU_CYCLE_1)
	v_lshlrev_b64 v[1:2], 2, v[1:2]
	s_lshl_b64 s[4:5], s[4:5], 2
	s_add_u32 s4, s26, s4
	s_delay_alu instid0(VALU_DEP_2) | instskip(SKIP_1) | instid1(VALU_DEP_2)
	v_lshlrev_b64 v[3:4], 2, v[3:4]
	s_addc_u32 s5, s25, s5
	v_add_co_u32 v1, vcc_lo, s26, v1
	v_add_co_ci_u32_e32 v2, vcc_lo, s25, v2, vcc_lo
	s_delay_alu instid0(VALU_DEP_3) | instskip(NEXT) | instid1(VALU_DEP_4)
	v_add_co_u32 v3, vcc_lo, s26, v3
	v_add_co_ci_u32_e32 v4, vcc_lo, s25, v4, vcc_lo
	s_clause 0x1
	global_load_b32 v5, v[1:2], off
	global_load_b32 v7, v[3:4], off
	s_or_b32 s6, s12, 32
	v_lshlrev_b32_e32 v1, 4, v0
	s_ashr_i32 s7, s6, 4
	s_cmp_lt_i32 s6, s24
	s_cselect_b32 s6, s7, s3
	s_delay_alu instid0(VALU_DEP_1) | instskip(SKIP_1) | instid1(SALU_CYCLE_1)
	v_and_b32_e32 v1, 0xf0, v1
	s_ashr_i32 s7, s6, 31
	s_lshl_b64 s[6:7], s[6:7], 2
	s_delay_alu instid0(SALU_CYCLE_1)
	s_add_u32 s6, s26, s6
	s_addc_u32 s7, s25, s7
	s_or_b32 s8, s12, 64
	v_add_co_u32 v1, s13, s13, v1
	s_ashr_i32 s9, s8, 4
	s_cmp_lt_i32 s8, s24
	v_add_co_ci_u32_e64 v2, null, s15, 0, s13
	s_cselect_b32 s8, s9, s3
	s_delay_alu instid0(SALU_CYCLE_1) | instskip(NEXT) | instid1(SALU_CYCLE_1)
	s_ashr_i32 s9, s8, 31
	s_lshl_b64 s[8:9], s[8:9], 2
	s_delay_alu instid0(SALU_CYCLE_1) | instskip(SKIP_2) | instid1(SALU_CYCLE_1)
	s_add_u32 s8, s26, s8
	s_addc_u32 s9, s25, s9
	s_or_b32 s10, s12, 0x60
	s_ashr_i32 s11, s10, 4
	s_cmp_lt_i32 s10, s24
	s_cselect_b32 s10, s11, s3
	s_delay_alu instid0(SALU_CYCLE_1) | instskip(NEXT) | instid1(SALU_CYCLE_1)
	s_ashr_i32 s11, s10, 31
	s_lshl_b64 s[10:11], s[10:11], 2
	s_delay_alu instid0(SALU_CYCLE_1) | instskip(SKIP_2) | instid1(SALU_CYCLE_1)
	s_add_u32 s10, s26, s10
	s_addc_u32 s11, s25, s11
	s_or_b32 s16, s12, 0x80
	s_ashr_i32 s18, s16, 4
	s_cmp_lt_i32 s16, s24
	;; [unrolled: 10-line block ×3, first 2 shown]
	s_cselect_b32 s20, s18, s3
	s_delay_alu instid0(SALU_CYCLE_1) | instskip(NEXT) | instid1(SALU_CYCLE_1)
	s_ashr_i32 s21, s20, 31
	s_lshl_b64 s[20:21], s[20:21], 2
	s_delay_alu instid0(SALU_CYCLE_1)
	s_add_u32 s38, s26, s20
	s_addc_u32 s39, s25, s21
	s_clause 0x5
	s_load_b32 s21, s[4:5], 0x0
	s_load_b32 s13, s[6:7], 0x0
	;; [unrolled: 1-line block ×6, first 2 shown]
	s_or_b32 s7, s12, 0xc0
	s_mov_b32 s4, 0
	s_ashr_i32 s8, s7, 4
	s_cmp_lt_i32 s7, s24
	s_mov_b32 s5, s4
	s_cselect_b32 s10, s8, s3
	s_mov_b32 s6, s4
	s_ashr_i32 s11, s10, 31
	s_mov_b32 s7, s4
	s_lshl_b64 s[36:37], s[10:11], 2
	s_mov_b32 s11, s4
	s_add_u32 s36, s26, s36
	s_addc_u32 s37, s25, s37
	s_or_b32 s29, s12, 0xe0
	s_mov_b32 s8, s4
	s_ashr_i32 s30, s29, 4
	s_mov_b32 s9, s4
	s_mov_b32 s10, s4
	s_cmp_lt_i32 s29, s24
	v_mov_b32_e32 v102, s11
	v_dual_mov_b32 v96, s5 :: v_dual_mov_b32 v101, s10
	v_dual_mov_b32 v100, s9 :: v_dual_mov_b32 v99, s8
	;; [unrolled: 1-line block ×3, first 2 shown]
	v_mov_b32_e32 v95, s4
	s_cselect_b32 s4, s30, s3
	s_delay_alu instid0(SALU_CYCLE_1) | instskip(NEXT) | instid1(SALU_CYCLE_1)
	s_ashr_i32 s5, s4, 31
	s_lshl_b64 s[4:5], s[4:5], 2
	s_delay_alu instid0(SALU_CYCLE_1)
	s_add_u32 s4, s26, s4
	s_addc_u32 s5, s25, s5
	s_add_u32 s6, s22, s27
	s_addc_u32 s7, s23, s28
	s_waitcnt vmcnt(1)
	v_mad_i64_i32 v[3:4], null, v5, s17, v[1:2]
	s_waitcnt vmcnt(0)
	v_mad_i64_i32 v[5:6], null, v7, s17, v[1:2]
	v_and_b32_e32 v1, 3, v0
	v_lshlrev_b32_e32 v2, 4, v69
	s_clause 0x7
	global_load_b128 v[57:60], v[3:4], off
	global_load_b128 v[61:64], v[3:4], off offset:256
	global_load_b128 v[71:74], v[5:6], off
	global_load_b128 v[75:78], v[5:6], off offset:256
	global_load_b128 v[79:82], v[3:4], off offset:512
	;; [unrolled: 1-line block ×5, first 2 shown]
	v_lshlrev_b32_e32 v121, 6, v1
	v_lshl_or_b32 v1, v68, 8, v2
	s_load_b32 s3, s[36:37], 0x0
	ds_load_b128 v[103:106], v121
	ds_load_b128 v[107:110], v121 offset:1024
	s_load_b32 s4, s[4:5], 0x0
	v_add_co_u32 v17, s6, s6, v1
	s_delay_alu instid0(VALU_DEP_1) | instskip(SKIP_1) | instid1(VALU_DEP_1)
	v_add_co_ci_u32_e64 v18, null, s7, 0, s6
	s_waitcnt lgkmcnt(0)
	v_mad_i64_i32 v[1:2], null, s21, s17, v[17:18]
	v_mad_i64_i32 v[3:4], null, s13, s17, v[17:18]
	;; [unrolled: 1-line block ×7, first 2 shown]
	s_clause 0x9
	global_load_b128 v[49:52], v[1:2], off
	global_load_b128 v[53:56], v[1:2], off offset:16
	global_load_b128 v[41:44], v[3:4], off
	global_load_b128 v[45:48], v[3:4], off offset:16
	;; [unrolled: 2-line block ×5, first 2 shown]
	v_mad_i64_i32 v[119:120], null, s4, s17, v[17:18]
	s_clause 0x3
	global_load_b128 v[17:20], v[21:22], off
	global_load_b128 v[21:24], v[21:22], off offset:16
	global_load_b128 v[25:28], v[29:30], off
	global_load_b128 v[29:32], v[29:30], off offset:16
	s_waitcnt vmcnt(20)
	v_wmma_f32_16x16x16_f16 v[111:118], v[57:64], v[103:110], v[95:102]
	s_clause 0x1
	global_load_b128 v[57:60], v[119:120], off
	global_load_b128 v[61:64], v[119:120], off offset:16
	s_waitcnt vmcnt(20)
	v_wmma_f32_16x16x16_f16 v[95:102], v[71:78], v[103:110], v[95:102]
	ds_load_b128 v[71:74], v121 offset:2048
	ds_load_b128 v[75:78], v121 offset:3072
	v_mbcnt_lo_u32_b32 v104, -1, 0
	s_waitcnt vmcnt(0) lgkmcnt(0)
	s_barrier
	buffer_gl0_inv
	v_xor_b32_e32 v105, 16, v104
	s_delay_alu instid0(VALU_DEP_1) | instskip(SKIP_4) | instid1(VALU_DEP_2)
	v_cmp_gt_i32_e32 vcc_lo, 32, v105
	v_cndmask_b32_e32 v104, v104, v105, vcc_lo
	v_wmma_f32_16x16x16_f16 v[95:102], v[87:94], v[71:78], v[95:102]
	v_and_b32_e32 v103, 0xe0, v0
	v_wmma_f32_16x16x16_f16 v[111:118], v[79:86], v[71:78], v[111:118]
	v_dual_mul_f32 v90, s19, v101 :: v_dual_add_nc_u32 v103, s12, v103
	s_delay_alu instid0(VALU_DEP_2) | instskip(NEXT) | instid1(VALU_DEP_3)
	v_dual_mul_f32 v94, s19, v97 :: v_dual_mul_f32 v87, s19, v112
	v_dual_mul_f32 v88, s19, v111 :: v_dual_mul_f32 v77, s19, v114
	s_delay_alu instid0(VALU_DEP_3) | instskip(SKIP_3) | instid1(VALU_DEP_4)
	v_or_b32_e32 v103, v103, v67
	v_dual_mul_f32 v78, s19, v113 :: v_dual_mul_f32 v75, s19, v116
	v_dual_mul_f32 v76, s19, v115 :: v_dual_mul_f32 v73, s19, v118
	v_mul_f32_e32 v92, s19, v99
	v_or_b32_e32 v105, 2, v103
	v_or_b32_e32 v106, 4, v103
	;; [unrolled: 1-line block ×3, first 2 shown]
	v_cmp_gt_i32_e64 s3, s24, v103
	v_or_b32_e32 v108, 8, v103
	v_cmp_gt_i32_e32 vcc_lo, s24, v105
	v_or_b32_e32 v109, 10, v103
	v_cmp_gt_i32_e64 s4, s24, v106
	v_cndmask_b32_e64 v88, 0xff7fffff, v88, s3
	v_cmp_gt_i32_e64 s5, s24, v107
	v_cndmask_b32_e32 v87, 0xff7fffff, v87, vcc_lo
	v_or_b32_e32 v79, 12, v103
	v_or_b32_e32 v80, 14, v103
	v_cndmask_b32_e64 v78, 0xff7fffff, v78, s4
	v_cndmask_b32_e64 v77, 0xff7fffff, v77, s5
	v_max3_f32 v87, v88, 0xff7fffff, v87
	v_cmp_gt_i32_e64 s6, s24, v108
	v_cmp_gt_i32_e64 s7, s24, v109
	v_or_b32_e32 v81, 16, v103
	v_or_b32_e32 v82, 18, v103
	v_mul_f32_e32 v74, s19, v117
	v_cndmask_b32_e64 v76, 0xff7fffff, v76, s6
	v_cndmask_b32_e64 v75, 0xff7fffff, v75, s7
	v_max3_f32 v77, v87, v78, v77
	v_cmp_gt_i32_e64 s8, s24, v79
	v_cmp_gt_i32_e64 s9, s24, v80
	v_or_b32_e32 v83, 20, v103
	v_or_b32_e32 v84, 22, v103
	;; [unrolled: 1-line block ×6, first 2 shown]
	v_mul_f32_e32 v105, s19, v96
	v_mul_f32_e32 v103, s19, v95
	v_cndmask_b32_e64 v74, 0xff7fffff, v74, s8
	v_cndmask_b32_e64 v73, 0xff7fffff, v73, s9
	v_max3_f32 v75, v77, v76, v75
	v_cmp_gt_i32_e64 s10, s24, v81
	v_cmp_gt_i32_e64 s11, s24, v82
	v_mul_f32_e32 v93, s19, v98
	v_cmp_gt_i32_e64 s12, s24, v83
	v_max3_f32 v73, v75, v74, v73
	v_cndmask_b32_e64 v76, 0xff7fffff, v103, s10
	v_cndmask_b32_e64 v77, 0xff7fffff, v105, s11
	v_cmp_gt_i32_e64 s13, s24, v84
	v_mul_f32_e32 v91, s19, v100
	v_cndmask_b32_e64 v74, 0xff7fffff, v94, s12
	v_cmp_gt_i32_e64 s15, s24, v85
	v_max3_f32 v73, v73, v76, v77
	v_cndmask_b32_e64 v75, 0xff7fffff, v93, s13
	v_cmp_gt_i32_e64 s16, s24, v86
	v_mul_f32_e32 v89, s19, v102
	v_cndmask_b32_e64 v76, 0xff7fffff, v92, s15
	v_cmp_gt_i32_e64 s17, s24, v71
	v_max3_f32 v73, v73, v74, v75
	v_cndmask_b32_e64 v77, 0xff7fffff, v91, s16
	v_cmp_gt_i32_e64 s18, s24, v72
	v_lshlrev_b32_e32 v74, 2, v104
	v_cndmask_b32_e64 v71, 0xff7fffff, v90, s17
	s_delay_alu instid0(VALU_DEP_4) | instskip(NEXT) | instid1(VALU_DEP_4)
	v_max3_f32 v73, v73, v76, v77
	v_cndmask_b32_e64 v72, 0xff7fffff, v89, s18
	s_delay_alu instid0(VALU_DEP_1) | instskip(SKIP_3) | instid1(VALU_DEP_1)
	v_max3_f32 v71, v73, v71, v72
	ds_bpermute_b32 v72, v74, v71
	s_waitcnt lgkmcnt(0)
	v_max_f32_e32 v72, v72, v72
	v_max_f32_e32 v71, v71, v72
	s_delay_alu instid0(VALU_DEP_1)
	v_fma_f32 v72, s19, v111, -v71
	v_fma_f32 v76, s19, v114, -v71
	;; [unrolled: 1-line block ×5, first 2 shown]
	v_mul_f32_e32 v72, 0x3fb8aa3b, v72
	v_mul_f32_e32 v76, 0x3fb8aa3b, v76
	v_fma_f32 v75, s19, v113, -v71
	v_mul_f32_e32 v79, 0x3fb8aa3b, v77
	v_mul_f32_e32 v87, 0x3fb8aa3b, v86
	v_exp_f32_e32 v72, v72
	v_exp_f32_e32 v76, v76
	v_fma_f32 v81, s19, v117, -v71
	v_exp_f32_e32 v82, v79
	v_exp_f32_e32 v87, v87
	v_fma_f32 v84, s19, v96, -v71
	s_delay_alu instid0(VALU_DEP_2) | instskip(SKIP_3) | instid1(TRANS32_DEP_3)
	v_mul_f32_e32 v81, 0x3fb8aa3b, v81
	v_cndmask_b32_e64 v78, 0, v72, s3
	v_fma_f32 v72, s19, v116, -v71
	v_mul_f32_e32 v73, 0x3fb8aa3b, v73
	v_cndmask_b32_e64 v79, 0, v76, s5
	v_fma_f32 v76, s19, v95, -v71
	s_delay_alu instid0(VALU_DEP_4) | instskip(NEXT) | instid1(VALU_DEP_4)
	v_dual_mul_f32 v75, 0x3fb8aa3b, v75 :: v_dual_mul_f32 v72, 0x3fb8aa3b, v72
	v_exp_f32_e32 v73, v73
	v_cndmask_b32_e64 v87, 0, v87, s13
	s_delay_alu instid0(VALU_DEP_3) | instskip(NEXT) | instid1(VALU_DEP_3)
	v_mul_f32_e32 v76, 0x3fb8aa3b, v76
	v_exp_f32_e32 v75, v75
	v_exp_f32_e32 v72, v72
	;; [unrolled: 1-line block ×3, first 2 shown]
	v_cndmask_b32_e64 v82, 0, v82, s6
	v_mul_f32_e32 v85, 0x3fb8aa3b, v84
	v_exp_f32_e32 v76, v76
	s_mov_b32 s3, exec_lo
	v_cndmask_b32_e32 v77, 0, v73, vcc_lo
	v_add_f32_e32 v73, 0, v78
	v_exp_f32_e32 v85, v85
	v_cndmask_b32_e64 v80, 0, v75, s4
	v_fma_f32 v75, s19, v118, -v71
	v_cndmask_b32_e64 v81, 0, v72, s7
	v_add_f32_e32 v73, v73, v77
	v_cndmask_b32_e64 v84, 0, v83, s8
	v_cndmask_b32_e64 v86, 0, v76, s10
	v_mul_f32_e32 v75, 0x3fb8aa3b, v75
	s_delay_alu instid0(VALU_DEP_4) | instskip(NEXT) | instid1(TRANS32_DEP_1)
	v_add_f32_e32 v73, v73, v80
	v_cndmask_b32_e64 v85, 0, v85, s11
	s_delay_alu instid0(VALU_DEP_3) | instskip(NEXT) | instid1(VALU_DEP_2)
	v_exp_f32_e32 v75, v75
	v_add_f32_e32 v73, v73, v79
	s_delay_alu instid0(VALU_DEP_1) | instskip(SKIP_3) | instid1(VALU_DEP_1)
	v_add_f32_e32 v72, v73, v82
	s_waitcnt_depctr 0xfff
	v_cndmask_b32_e64 v83, 0, v75, s9
	v_add_f32_e32 v72, v72, v81
	v_add_f32_e32 v72, v72, v84
	s_delay_alu instid0(VALU_DEP_1) | instskip(NEXT) | instid1(VALU_DEP_1)
	v_add_f32_e32 v72, v72, v83
	v_add_f32_e32 v72, v72, v86
	s_delay_alu instid0(VALU_DEP_1) | instskip(SKIP_4) | instid1(VALU_DEP_4)
	v_add_f32_e32 v72, v72, v85
	v_fma_f32 v73, s19, v97, -v71
	v_fma_f32 v75, s19, v99, -v71
	;; [unrolled: 1-line block ×4, first 2 shown]
	v_mul_f32_e32 v73, 0x3fb8aa3b, v73
	s_delay_alu instid0(VALU_DEP_3) | instskip(NEXT) | instid1(VALU_DEP_2)
	v_dual_mul_f32 v75, 0x3fb8aa3b, v75 :: v_dual_mul_f32 v76, 0x3fb8aa3b, v76
	v_exp_f32_e32 v73, v73
	s_delay_alu instid0(VALU_DEP_1) | instskip(NEXT) | instid1(VALU_DEP_1)
	v_exp_f32_e32 v75, v75
	v_exp_f32_e32 v76, v76
	s_delay_alu instid0(TRANS32_DEP_3)
	v_cndmask_b32_e64 v88, 0, v73, s12
	v_mul_f32_e32 v73, 0x3fb8aa3b, v89
	v_fma_f32 v89, s19, v102, -v71
	s_waitcnt_depctr 0xfff
	v_cndmask_b32_e64 v90, 0, v75, s15
	v_add_f32_e32 v72, v72, v88
	v_exp_f32_e32 v73, v73
	v_mul_f32_e32 v75, 0x3fb8aa3b, v89
	v_cndmask_b32_e64 v89, 0, v76, s16
	s_delay_alu instid0(VALU_DEP_3) | instskip(NEXT) | instid1(VALU_DEP_3)
	v_add_f32_e32 v72, v72, v87
	v_exp_f32_e32 v75, v75
	s_delay_alu instid0(VALU_DEP_1) | instskip(SKIP_4) | instid1(VALU_DEP_2)
	v_add_f32_e32 v72, v72, v90
	s_waitcnt_depctr 0xfff
	v_cndmask_b32_e64 v92, 0, v73, s17
	v_add_f32_e32 v72, v72, v89
	v_cndmask_b32_e64 v91, 0, v75, s18
	v_add_f32_e32 v72, v72, v92
	s_delay_alu instid0(VALU_DEP_1)
	v_add_f32_e32 v72, v72, v91
	ds_bpermute_b32 v73, v74, v72
	v_cmpx_gt_u32_e32 16, v70
	s_cbranch_execz .LBB789_12
; %bb.11:
	v_mul_u32_u24_e32 v70, 0x44, v68
	s_waitcnt lgkmcnt(0)
	v_add_f32_e32 v72, v72, v73
	s_delay_alu instid0(VALU_DEP_2) | instskip(NEXT) | instid1(VALU_DEP_1)
	v_lshl_add_u32 v70, v69, 2, v70
	v_add_nc_u32_e32 v70, 0x4000, v70
	ds_store_2addr_b32 v70, v71, v72 offset1:136
.LBB789_12:
	s_or_b32 exec_lo, exec_lo, s3
	v_lshlrev_b32_e32 v70, 2, v69
	s_load_b32 s35, s[0:1], 0x94
	s_waitcnt lgkmcnt(0)
	s_barrier
	buffer_gl0_inv
	v_add_nc_u32_e32 v74, 0x4000, v70
	v_cmp_eq_u32_e32 vcc_lo, 1, v68
	v_cmp_eq_u32_e64 s3, 2, v68
	v_cmp_eq_u32_e64 s4, 3, v68
	v_cmp_eq_u32_e64 s5, 4, v68
	ds_load_2addr_b32 v[70:71], v74 offset1:17
	ds_load_2addr_b32 v[72:73], v74 offset0:34 offset1:51
	ds_load_2addr_b32 v[93:94], v74 offset0:68 offset1:85
	;; [unrolled: 1-line block ×3, first 2 shown]
	v_cmp_eq_u32_e64 s6, 5, v68
	v_cmp_eq_u32_e64 s7, 7, v68
	s_waitcnt lgkmcnt(3)
	v_max3_f32 v75, v70, 0xff7fffff, v71
	s_waitcnt lgkmcnt(2)
	s_delay_alu instid0(VALU_DEP_1) | instskip(SKIP_1) | instid1(VALU_DEP_1)
	v_max3_f32 v75, v75, v72, v73
	s_waitcnt lgkmcnt(1)
	v_max3_f32 v75, v75, v93, v94
	s_waitcnt lgkmcnt(0)
	s_delay_alu instid0(VALU_DEP_1) | instskip(NEXT) | instid1(VALU_DEP_1)
	v_max3_f32 v75, v75, v95, v96
	v_sub_f32_e32 v93, v93, v75
	ds_load_2addr_b32 v[97:98], v74 offset0:136 offset1:153
	v_sub_f32_e32 v70, v70, v75
	v_dual_sub_f32 v100, v73, v75 :: v_dual_mul_f32 v103, 0x3fb8aa3b, v93
	s_delay_alu instid0(VALU_DEP_2) | instskip(SKIP_3) | instid1(VALU_DEP_1)
	v_dual_sub_f32 v76, v71, v75 :: v_dual_mul_f32 v99, 0x3fb8aa3b, v70
	ds_load_2addr_b32 v[70:71], v74 offset0:170 offset1:187
	v_mul_f32_e32 v76, 0x3fb8aa3b, v76
	v_exp_f32_e32 v99, v99
	v_exp_f32_e32 v102, v76
	v_mul_f32_e32 v100, 0x3fb8aa3b, v100
	s_waitcnt lgkmcnt(1)
	s_waitcnt_depctr 0xfff
	v_fma_f32 v76, v99, v97, 0
	v_sub_f32_e32 v97, v94, v75
	v_sub_f32_e32 v72, v72, v75
	v_exp_f32_e32 v100, v100
	ds_load_2addr_b32 v[93:94], v74 offset0:238 offset1:255
	v_dual_fmac_f32 v76, v102, v98 :: v_dual_mul_f32 v101, 0x3fb8aa3b, v72
	ds_load_2addr_b32 v[72:73], v74 offset0:204 offset1:221
	v_dual_sub_f32 v74, v95, v75 :: v_dual_mul_f32 v95, 0x3fb8aa3b, v97
	v_exp_f32_e32 v97, v103
	v_exp_f32_e32 v101, v101
	s_waitcnt lgkmcnt(0)
	s_delay_alu instid0(VALU_DEP_1)
	v_mul_f32_e32 v74, 0x3fb8aa3b, v74
	v_exp_f32_e32 v95, v95
	s_barrier
	buffer_gl0_inv
	v_fmac_f32_e32 v76, v101, v70
	v_sub_f32_e32 v70, v96, v75
	v_exp_f32_e32 v96, v74
	s_delay_alu instid0(VALU_DEP_2) | instskip(NEXT) | instid1(VALU_DEP_2)
	v_fmac_f32_e32 v76, v100, v71
	v_mul_f32_e32 v70, 0x3fb8aa3b, v70
	s_delay_alu instid0(VALU_DEP_2) | instskip(NEXT) | instid1(VALU_DEP_2)
	v_dual_cndmask_b32 v71, v99, v102 :: v_dual_fmac_f32 v76, v97, v72
	v_exp_f32_e32 v98, v70
	v_lshlrev_b32_e32 v72, 6, v69
	s_delay_alu instid0(VALU_DEP_2) | instskip(NEXT) | instid1(VALU_DEP_2)
	v_dual_fmac_f32 v76, v95, v73 :: v_dual_lshlrev_b32 v69, 2, v67
	v_lshl_or_b32 v74, v68, 11, v72
	s_delay_alu instid0(VALU_DEP_2)
	v_cmp_eq_u32_e64 s8, 7, v69
	s_delay_alu instid0(TRANS32_DEP_2) | instid1(VALU_DEP_3)
	v_fmac_f32_e32 v76, v96, v93
	s_waitcnt_depctr 0xfff
	v_fmac_f32_e32 v76, v98, v94
	s_delay_alu instid0(VALU_DEP_1) | instskip(NEXT) | instid1(VALU_DEP_1)
	v_add_f32_e32 v73, 0x358637bd, v76
	v_div_scale_f32 v93, null, v73, v73, 1.0
	v_div_scale_f32 v99, vcc_lo, 1.0, v73, 1.0
	s_delay_alu instid0(VALU_DEP_2) | instskip(SKIP_2) | instid1(VALU_DEP_1)
	v_rcp_f32_e32 v94, v93
	s_waitcnt_depctr 0xfff
	v_fma_f32 v70, -v93, v94, 1.0
	v_fmac_f32_e32 v94, v70, v94
	v_cndmask_b32_e64 v70, v71, v101, s3
	v_cmp_eq_u32_e64 s3, 6, v68
	v_or_b32_e32 v71, 1, v69
	v_or_b32_e32 v68, 2, v69
	v_mul_f32_e32 v101, v99, v94
	v_cndmask_b32_e64 v70, v70, v100, s4
	v_cmp_eq_u32_e64 s4, 1, v69
	v_cmp_eq_u32_e64 s9, 1, v71
	;; [unrolled: 1-line block ×3, first 2 shown]
	v_fma_f32 v100, -v93, v101, v99
	v_cndmask_b32_e64 v70, v70, v97, s5
	v_cmp_eq_u32_e64 s5, 2, v69
	v_cmp_eq_u32_e64 s12, 2, v71
	;; [unrolled: 1-line block ×3, first 2 shown]
	v_fmac_f32_e32 v101, v100, v94
	v_cndmask_b32_e64 v95, v70, v95, s6
	v_or_b32_e32 v70, 3, v69
	v_cmp_eq_u32_e64 s13, 3, v71
	v_cmp_eq_u32_e64 s17, 3, v68
	v_fma_f32 v93, -v93, v101, v99
	v_cndmask_b32_e64 v95, v95, v96, s3
	v_cmp_eq_u32_e64 s11, 1, v70
	v_cmp_eq_u32_e64 s16, 2, v70
	v_cmp_eq_u32_e64 s18, 3, v70
	v_div_fmas_f32 v93, v93, v94, v101
	v_cndmask_b32_e64 v94, v95, v98, s7
	v_cmp_eq_u32_e32 vcc_lo, 3, v69
	v_cmp_eq_u32_e64 s3, 4, v69
	v_cmp_eq_u32_e64 s19, 4, v71
	v_div_fixup_f32 v93, v93, v73, 1.0
	v_lshl_or_b32 v73, v67, 4, v74
	v_cmp_eq_u32_e64 s22, 4, v70
	v_cmp_eq_u32_e64 s6, 5, v69
	;; [unrolled: 1-line block ×3, first 2 shown]
	v_mul_f32_e32 v101, v94, v93
	v_cmp_eq_u32_e64 s21, 4, v68
	v_cmp_eq_u32_e64 s24, 5, v70
	;; [unrolled: 1-line block ×4, first 2 shown]
	v_fma_mixlo_f16 v93, v101, v78, 0
	v_fma_mixlo_f16 v94, v101, v80, 0
	;; [unrolled: 1-line block ×8, first 2 shown]
	v_fma_mixhi_f16 v93, v101, v77, 0
	v_fma_mixhi_f16 v94, v101, v79, 0
	;; [unrolled: 1-line block ×8, first 2 shown]
	ds_store_b128 v73, v[93:96]
	ds_store_b128 v73, v[97:100] offset:1024
	s_waitcnt lgkmcnt(0)
	s_barrier
	buffer_gl0_inv
	ds_load_b128 v[77:80], v74
	ds_load_b128 v[81:84], v74 offset:16
	ds_load_b128 v[85:88], v74 offset:1024
	;; [unrolled: 1-line block ×3, first 2 shown]
	v_cmp_eq_u32_e64 s27, 6, v70
	v_cmp_eq_u32_e64 s7, 6, v69
	;; [unrolled: 1-line block ×6, first 2 shown]
	s_waitcnt lgkmcnt(3)
	v_lshrrev_b32_e32 v93, 16, v77
	s_waitcnt lgkmcnt(2)
	v_lshrrev_b32_e32 v97, 16, v81
	;; [unrolled: 2-line block ×4, first 2 shown]
	v_lshrrev_b32_e32 v94, 16, v78
	v_cndmask_b32_e64 v109, v77, v93, s4
	v_cndmask_b32_e64 v110, v81, v97, s4
	;; [unrolled: 1-line block ×8, first 2 shown]
	v_lshrrev_b32_e32 v98, 16, v82
	v_cndmask_b32_e64 v93, v85, v101, s4
	v_cndmask_b32_e64 v97, v89, v105, s4
	;; [unrolled: 1-line block ×15, first 2 shown]
	v_lshrrev_b32_e32 v102, 16, v86
	v_lshrrev_b32_e32 v106, 16, v90
	v_cndmask_b32_e64 v112, v114, v82, s15
	v_cndmask_b32_e64 v81, v93, v86, s5
	;; [unrolled: 1-line block ×7, first 2 shown]
	v_cndmask_b32_e32 v89, v101, v94, vcc_lo
	v_cndmask_b32_e32 v101, v105, v98, vcc_lo
	v_cndmask_b32_e64 v105, v109, v94, s13
	v_cndmask_b32_e64 v109, v110, v98, s13
	;; [unrolled: 1-line block ×4, first 2 shown]
	v_lshrrev_b32_e32 v95, 16, v79
	v_lshrrev_b32_e32 v99, 16, v83
	v_cndmask_b32_e64 v110, v111, v94, s17
	v_cndmask_b32_e64 v111, v112, v98, s17
	v_cndmask_b32_e32 v81, v81, v102, vcc_lo
	v_cndmask_b32_e32 v82, v82, v106, vcc_lo
	v_cndmask_b32_e64 v93, v93, v102, s13
	v_cndmask_b32_e64 v89, v89, v79, s3
	;; [unrolled: 1-line block ×7, first 2 shown]
	v_lshrrev_b32_e32 v103, 16, v87
	v_cndmask_b32_e64 v105, v110, v79, s21
	v_cndmask_b32_e64 v109, v111, v83, s21
	;; [unrolled: 1-line block ×11, first 2 shown]
	v_lshrrev_b32_e32 v96, 16, v80
	v_lshrrev_b32_e32 v100, 16, v84
	v_cndmask_b32_e64 v98, v105, v95, s23
	v_cndmask_b32_e64 v101, v109, v99, s23
	v_cndmask_b32_e64 v82, v82, v103, s20
	v_cndmask_b32_e64 v93, v93, v80, s25
	v_cndmask_b32_e64 v94, v94, v84, s25
	v_cndmask_b32_e64 v77, v77, v80, s27
	v_cndmask_b32_e64 v78, v78, v84, s27
	v_lshrrev_b32_e32 v104, 16, v88
	v_cndmask_b32_e64 v79, v79, v103, s6
	v_cndmask_b32_e64 v83, v83, v80, s7
	;; [unrolled: 1-line block ×16, first 2 shown]
	v_perm_b32 v80, v78, v77, 0x5040100
	v_perm_b32 v78, v94, v84, 0x5040100
	v_cndmask_b32_e64 v77, v118, v90, s15
	v_cndmask_b32_e64 v84, v116, v90, s12
	;; [unrolled: 1-line block ×3, first 2 shown]
	v_perm_b32 v79, v93, v89, 0x5040100
	v_cndmask_b32_e64 v89, v97, v102, s17
	v_cndmask_b32_e64 v85, v85, v102, s18
	;; [unrolled: 1-line block ×5, first 2 shown]
	v_lshrrev_b32_e32 v107, 16, v91
	v_cndmask_b32_e64 v89, v89, v87, s21
	v_cndmask_b32_e64 v85, v85, v87, s22
	;; [unrolled: 1-line block ×11, first 2 shown]
	v_lshrrev_b32_e32 v108, 16, v92
	v_cndmask_b32_e64 v81, v81, v92, s7
	v_cndmask_b32_e64 v87, v87, v88, s26
	v_cndmask_b32_e64 v85, v85, v88, s27
	v_cndmask_b32_e64 v86, v86, v92, s27
	v_cndmask_b32_e64 v77, v77, v92, s26
	v_cndmask_b32_e64 v84, v84, v92, s25
	v_cndmask_b32_e64 v87, v87, v104, s28
	v_cndmask_b32_e64 v85, v85, v104, s29
	v_cndmask_b32_e64 v86, v86, v108, s29
	v_cndmask_b32_e64 v88, v77, v108, s28
	v_cndmask_b32_e64 v89, v84, v108, s30
	v_cndmask_b32_e64 v81, v81, v108, s8
	v_perm_b32 v77, v83, v82, 0x5040100
	v_perm_b32 v84, v86, v85, 0x5040100
	;; [unrolled: 1-line block ×5, first 2 shown]
	s_lshl_b32 s8, s33, 2
	s_mov_b32 s3, exec_lo
	ds_store_b128 v73, v[77:80]
	ds_store_b128 v73, v[81:84] offset:1024
	v_cmpx_gt_u32_e32 4, v0
	s_cbranch_execz .LBB789_14
; %bb.13:
	v_or_b32_e32 v77, s31, v0
	s_load_b128 s[4:7], s[0:1], 0x58
	s_delay_alu instid0(VALU_DEP_1) | instskip(NEXT) | instid1(VALU_DEP_1)
	v_mad_u64_u32 v[78:79], null, s8, s34, v[77:78]
	v_mad_u64_u32 v[79:80], null, v78, s35, s[14:15]
	s_delay_alu instid0(VALU_DEP_1) | instskip(NEXT) | instid1(VALU_DEP_1)
	v_ashrrev_i32_e32 v80, 31, v79
	v_lshlrev_b64 v[77:78], 2, v[79:80]
	s_waitcnt lgkmcnt(0)
	s_delay_alu instid0(VALU_DEP_1) | instskip(NEXT) | instid1(VALU_DEP_2)
	v_add_co_u32 v79, vcc_lo, s6, v77
	v_add_co_ci_u32_e32 v80, vcc_lo, s7, v78, vcc_lo
	v_add_co_u32 v77, vcc_lo, s4, v77
	v_add_co_ci_u32_e32 v78, vcc_lo, s5, v78, vcc_lo
	global_store_b32 v[79:80], v75, off
	global_store_b32 v[77:78], v76, off
.LBB789_14:
	s_or_b32 exec_lo, exec_lo, s3
	s_waitcnt lgkmcnt(0)
	s_waitcnt_vscnt null, 0x0
	s_barrier
	buffer_gl0_inv
	ds_load_b128 v[83:86], v72
	ds_load_b128 v[87:90], v72 offset:16
	ds_load_b128 v[95:98], v72 offset:2064
	;; [unrolled: 1-line block ×5, first 2 shown]
	v_cmp_eq_u32_e32 vcc_lo, 1, v69
	v_mov_b32_e32 v75, 0
	ds_load_b128 v[111:114], v72 offset:6160
	ds_load_b128 v[107:110], v72 offset:6144
	;; [unrolled: 1-line block ×4, first 2 shown]
	v_cmp_eq_u32_e64 s4, 1, v68
	v_cmp_eq_u32_e64 s3, 1, v71
	;; [unrolled: 1-line block ×3, first 2 shown]
	v_mov_b32_e32 v76, v75
	v_mov_b32_e32 v77, v75
	;; [unrolled: 1-line block ×7, first 2 shown]
	v_cmp_eq_u32_e64 s6, 3, v71
	v_cmp_eq_u32_e64 s7, 7, v71
	s_waitcnt lgkmcnt(8)
	s_delay_alu instid0(VALU_DEP_3)
	v_wmma_f32_16x16x16_f16 v[75:82], v[49:56], v[83:90], v[75:82]
	ds_load_b128 v[53:56], v72 offset:10256
	ds_load_b128 v[49:52], v72 offset:10240
	s_waitcnt lgkmcnt(8)
	v_wmma_f32_16x16x16_f16 v[75:82], v[41:48], v[91:98], v[75:82]
	ds_load_b128 v[45:48], v72 offset:12304
	ds_load_b128 v[41:44], v72 offset:12288
	s_waitcnt lgkmcnt(8)
	;; [unrolled: 4-line block ×3, first 2 shown]
	s_barrier
	buffer_gl0_inv
	v_wmma_f32_16x16x16_f16 v[75:82], v[1:8], v[107:114], v[75:82]
	s_delay_alu instid0(VALU_DEP_1) | instskip(NEXT) | instid1(VALU_DEP_1)
	v_wmma_f32_16x16x16_f16 v[75:82], v[9:16], v[115:122], v[75:82]
	v_wmma_f32_16x16x16_f16 v[75:82], v[17:24], v[49:56], v[75:82]
	s_delay_alu instid0(VALU_DEP_1) | instskip(NEXT) | instid1(VALU_DEP_1)
	v_wmma_f32_16x16x16_f16 v[75:82], v[25:32], v[41:48], v[75:82]
	v_wmma_f32_16x16x16_f16 v[75:82], v[57:64], v[33:40], v[75:82]
	s_delay_alu instid0(VALU_DEP_1) | instskip(NEXT) | instid1(VALU_DEP_2)
	v_cvt_f16_f32_e32 v1, v75
	v_cvt_f16_f32_e32 v2, v76
	s_delay_alu instid0(VALU_DEP_3) | instskip(NEXT) | instid1(VALU_DEP_4)
	v_cvt_f16_f32_e32 v3, v77
	v_cvt_f16_f32_e32 v4, v78
	;; [unrolled: 1-line block ×6, first 2 shown]
	v_pack_b32_f16 v1, v1, v2
	v_pack_b32_f16 v2, v3, v4
	;; [unrolled: 1-line block ×3, first 2 shown]
	s_delay_alu instid0(VALU_DEP_4)
	v_pack_b32_f16 v4, v7, v8
	ds_store_b128 v73, v[1:4]
	s_waitcnt lgkmcnt(0)
	s_barrier
	buffer_gl0_inv
	ds_load_b128 v[1:4], v74
	ds_load_b128 v[5:8], v74 offset:16
	s_waitcnt lgkmcnt(1)
	v_lshrrev_b32_e32 v9, 16, v1
	s_waitcnt lgkmcnt(0)
	v_lshrrev_b32_e32 v13, 16, v5
	v_lshrrev_b32_e32 v10, 16, v2
	;; [unrolled: 1-line block ×4, first 2 shown]
	v_cndmask_b32_e32 v17, v1, v9, vcc_lo
	v_cndmask_b32_e32 v18, v5, v13, vcc_lo
	v_cndmask_b32_e64 v21, v1, v9, s4
	v_cmp_eq_u32_e32 vcc_lo, 1, v70
	v_cndmask_b32_e64 v22, v5, v13, s4
	v_cmp_eq_u32_e64 s4, 2, v69
	v_cndmask_b32_e64 v19, v1, v9, s3
	v_cndmask_b32_e64 v20, v5, v13, s3
	v_cndmask_b32_e32 v1, v1, v9, vcc_lo
	v_cmp_eq_u32_e64 s3, 2, v70
	v_cndmask_b32_e32 v5, v5, v13, vcc_lo
	v_cndmask_b32_e64 v9, v17, v2, s4
	v_cmp_eq_u32_e32 vcc_lo, 3, v69
	v_cndmask_b32_e64 v13, v18, v6, s4
	v_cmp_eq_u32_e64 s4, 2, v68
	v_cndmask_b32_e64 v17, v19, v2, s5
	v_cndmask_b32_e64 v18, v20, v6, s5
	v_cmp_eq_u32_e64 s5, 3, v68
	v_cndmask_b32_e64 v1, v1, v2, s3
	v_cndmask_b32_e64 v19, v21, v2, s4
	;; [unrolled: 1-line block ×4, first 2 shown]
	v_cndmask_b32_e32 v5, v9, v10, vcc_lo
	v_cndmask_b32_e32 v6, v13, v14, vcc_lo
	v_cmp_eq_u32_e32 vcc_lo, 3, v70
	v_cndmask_b32_e64 v9, v17, v10, s6
	v_cndmask_b32_e64 v13, v18, v14, s6
	;; [unrolled: 1-line block ×3, first 2 shown]
	v_cmp_eq_u32_e64 s4, 4, v69
	v_cndmask_b32_e32 v1, v1, v10, vcc_lo
	v_cndmask_b32_e32 v2, v2, v14, vcc_lo
	v_cmp_eq_u32_e32 vcc_lo, 4, v71
	v_lshrrev_b32_e32 v15, 16, v7
	v_lshrrev_b32_e32 v16, 16, v8
	v_cndmask_b32_e64 v17, v19, v10, s5
	v_cmp_eq_u32_e64 s3, 4, v70
	v_cndmask_b32_e64 v5, v5, v3, s4
	v_cndmask_b32_e64 v6, v6, v7, s4
	v_cndmask_b32_e32 v9, v9, v3, vcc_lo
	v_cmp_eq_u32_e64 s4, 5, v71
	v_cndmask_b32_e32 v10, v13, v7, vcc_lo
	v_cmp_eq_u32_e32 vcc_lo, 4, v68
	v_cmp_eq_u32_e64 s5, 5, v69
	v_cndmask_b32_e64 v2, v2, v7, s3
	v_cndmask_b32_e64 v9, v9, v11, s4
	;; [unrolled: 1-line block ×3, first 2 shown]
	v_cndmask_b32_e32 v13, v17, v3, vcc_lo
	v_cmp_eq_u32_e64 s4, 5, v68
	v_cndmask_b32_e32 v14, v18, v7, vcc_lo
	v_cndmask_b32_e64 v1, v1, v3, s3
	v_cmp_eq_u32_e32 vcc_lo, 5, v70
	v_lshrrev_b32_e32 v12, 16, v4
	v_cndmask_b32_e64 v13, v13, v11, s4
	v_cndmask_b32_e64 v3, v14, v15, s4
	v_cmp_eq_u32_e64 s4, 6, v70
	v_cndmask_b32_e32 v1, v1, v11, vcc_lo
	v_cndmask_b32_e64 v5, v5, v11, s5
	v_cmp_eq_u32_e64 s6, 6, v69
	v_cndmask_b32_e64 v6, v6, v15, s5
	v_cmp_eq_u32_e64 s5, 6, v71
	v_cmp_eq_u32_e64 s3, 6, v68
	v_cndmask_b32_e64 v1, v1, v4, s4
	v_cndmask_b32_e32 v2, v2, v15, vcc_lo
	v_cmp_eq_u32_e32 vcc_lo, 7, v70
	v_cndmask_b32_e64 v5, v5, v4, s6
	v_cndmask_b32_e64 v9, v9, v4, s5
	;; [unrolled: 1-line block ×3, first 2 shown]
	v_cmp_eq_u32_e64 s6, 7, v69
	v_cndmask_b32_e32 v1, v1, v12, vcc_lo
	v_cndmask_b32_e64 v7, v13, v4, s3
	v_cndmask_b32_e64 v3, v3, v8, s3
	;; [unrolled: 1-line block ×3, first 2 shown]
	v_cmp_eq_u32_e64 s3, 7, v68
	v_cndmask_b32_e64 v4, v10, v8, s5
	v_cndmask_b32_e64 v5, v5, v12, s6
	v_cndmask_b32_e64 v9, v9, v12, s7
	v_cndmask_b32_e32 v2, v2, v16, vcc_lo
	v_cndmask_b32_e64 v7, v7, v12, s3
	v_cndmask_b32_e64 v3, v3, v16, s3
	;; [unrolled: 1-line block ×4, first 2 shown]
	v_cmp_gt_u32_e32 vcc_lo, 32, v0
	v_perm_b32 v4, v2, v1, 0x5040100
	v_perm_b32 v3, v3, v7, 0x5040100
	;; [unrolled: 1-line block ×4, first 2 shown]
	s_and_b32 s2, vcc_lo, s2
	ds_store_b128 v73, v[1:4]
	s_waitcnt lgkmcnt(0)
	s_barrier
	buffer_gl0_inv
	s_and_saveexec_b32 s3, s2
	s_cbranch_execz .LBB789_2
; %bb.15:
	s_load_b64 s[0:1], s[0:1], 0x68
	v_lshlrev_b32_e32 v0, 10, v0
	v_or_b32_e32 v1, s31, v67
	s_lshl_b32 s4, s35, 6
	v_lshlrev_b32_e32 v2, 4, v66
	s_mul_i32 s2, s4, s34
	v_lshlrev_b32_e32 v3, 6, v67
	v_mul_lo_u32 v8, v1, s4
	v_and_b32_e32 v0, 0x3800, v0
	v_or_b32_e32 v1, 2, v1
	s_mul_i32 s2, s2, s8
	s_delay_alu instid0(SALU_CYCLE_1) | instskip(NEXT) | instid1(VALU_DEP_2)
	s_ashr_i32 s3, s2, 31
	v_or3_b32 v4, v0, v2, v3
	s_lshl_b64 s[2:3], s[2:3], 1
	v_mul_lo_u32 v10, v1, s4
	v_ashrrev_i32_e32 v9, 31, v8
	ds_load_b128 v[0:3], v4
	ds_load_b128 v[4:7], v4 offset:128
	s_waitcnt lgkmcnt(0)
	s_add_u32 s2, s0, s2
	s_addc_u32 s3, s1, s3
	s_lshl_b32 s0, s14, 6
	v_ashrrev_i32_e32 v11, 31, v10
	s_ashr_i32 s1, s0, 31
	v_lshlrev_b64 v[8:9], 1, v[8:9]
	s_lshl_b64 s[0:1], s[0:1], 1
	s_delay_alu instid0(SALU_CYCLE_1) | instskip(SKIP_2) | instid1(VALU_DEP_1)
	s_add_u32 s0, s2, s0
	s_addc_u32 s1, s3, s1
	v_add_co_u32 v12, s0, s0, v65
	v_add_co_ci_u32_e64 v13, null, s1, 0, s0
	v_lshlrev_b64 v[10:11], 1, v[10:11]
	s_delay_alu instid0(VALU_DEP_3) | instskip(NEXT) | instid1(VALU_DEP_3)
	v_add_co_u32 v8, vcc_lo, v12, v8
	v_add_co_ci_u32_e32 v9, vcc_lo, v13, v9, vcc_lo
	s_delay_alu instid0(VALU_DEP_3) | instskip(NEXT) | instid1(VALU_DEP_4)
	v_add_co_u32 v10, vcc_lo, v12, v10
	v_add_co_ci_u32_e32 v11, vcc_lo, v13, v11, vcc_lo
	s_clause 0x1
	global_store_b128 v[8:9], v[0:3], off
	global_store_b128 v[10:11], v[4:7], off
	s_nop 0
	s_sendmsg sendmsg(MSG_DEALLOC_VGPRS)
	s_endpgm
	.section	.rodata,"a",@progbits
	.p2align	6, 0x0
	.amdhsa_kernel _Z39paged_attention_ll4mi_QKV_mfma16_kernelIDF16_hLN4vllm18Fp8KVCacheDataTypeE1EhLi16ELi64ELi256ELb1ELi4EL8MFMAType1EEvPKT_PKT0_S8_ifPKiSA_SA_iPKfiiiPfSD_PS3_PT2_iSC_SC_
		.amdhsa_group_segment_fixed_size 17472
		.amdhsa_private_segment_fixed_size 0
		.amdhsa_kernarg_size 400
		.amdhsa_user_sgpr_count 13
		.amdhsa_user_sgpr_dispatch_ptr 0
		.amdhsa_user_sgpr_queue_ptr 0
		.amdhsa_user_sgpr_kernarg_segment_ptr 1
		.amdhsa_user_sgpr_dispatch_id 0
		.amdhsa_user_sgpr_private_segment_size 0
		.amdhsa_wavefront_size32 1
		.amdhsa_uses_dynamic_stack 0
		.amdhsa_enable_private_segment 0
		.amdhsa_system_sgpr_workgroup_id_x 1
		.amdhsa_system_sgpr_workgroup_id_y 1
		.amdhsa_system_sgpr_workgroup_id_z 1
		.amdhsa_system_sgpr_workgroup_info 0
		.amdhsa_system_vgpr_workitem_id 0
		.amdhsa_next_free_vgpr 123
		.amdhsa_next_free_sgpr 40
		.amdhsa_reserve_vcc 1
		.amdhsa_float_round_mode_32 0
		.amdhsa_float_round_mode_16_64 0
		.amdhsa_float_denorm_mode_32 3
		.amdhsa_float_denorm_mode_16_64 3
		.amdhsa_dx10_clamp 1
		.amdhsa_ieee_mode 1
		.amdhsa_fp16_overflow 0
		.amdhsa_workgroup_processor_mode 1
		.amdhsa_memory_ordered 1
		.amdhsa_forward_progress 0
		.amdhsa_shared_vgpr_count 0
		.amdhsa_exception_fp_ieee_invalid_op 0
		.amdhsa_exception_fp_denorm_src 0
		.amdhsa_exception_fp_ieee_div_zero 0
		.amdhsa_exception_fp_ieee_overflow 0
		.amdhsa_exception_fp_ieee_underflow 0
		.amdhsa_exception_fp_ieee_inexact 0
		.amdhsa_exception_int_div_zero 0
	.end_amdhsa_kernel
	.section	.text._Z39paged_attention_ll4mi_QKV_mfma16_kernelIDF16_hLN4vllm18Fp8KVCacheDataTypeE1EhLi16ELi64ELi256ELb1ELi4EL8MFMAType1EEvPKT_PKT0_S8_ifPKiSA_SA_iPKfiiiPfSD_PS3_PT2_iSC_SC_,"axG",@progbits,_Z39paged_attention_ll4mi_QKV_mfma16_kernelIDF16_hLN4vllm18Fp8KVCacheDataTypeE1EhLi16ELi64ELi256ELb1ELi4EL8MFMAType1EEvPKT_PKT0_S8_ifPKiSA_SA_iPKfiiiPfSD_PS3_PT2_iSC_SC_,comdat
.Lfunc_end789:
	.size	_Z39paged_attention_ll4mi_QKV_mfma16_kernelIDF16_hLN4vllm18Fp8KVCacheDataTypeE1EhLi16ELi64ELi256ELb1ELi4EL8MFMAType1EEvPKT_PKT0_S8_ifPKiSA_SA_iPKfiiiPfSD_PS3_PT2_iSC_SC_, .Lfunc_end789-_Z39paged_attention_ll4mi_QKV_mfma16_kernelIDF16_hLN4vllm18Fp8KVCacheDataTypeE1EhLi16ELi64ELi256ELb1ELi4EL8MFMAType1EEvPKT_PKT0_S8_ifPKiSA_SA_iPKfiiiPfSD_PS3_PT2_iSC_SC_
                                        ; -- End function
	.section	.AMDGPU.csdata,"",@progbits
; Kernel info:
; codeLenInByte = 6372
; NumSgprs: 42
; NumVgprs: 123
; ScratchSize: 0
; MemoryBound: 0
; FloatMode: 240
; IeeeMode: 1
; LDSByteSize: 17472 bytes/workgroup (compile time only)
; SGPRBlocks: 5
; VGPRBlocks: 15
; NumSGPRsForWavesPerEU: 42
; NumVGPRsForWavesPerEU: 123
; Occupancy: 10
; WaveLimiterHint : 1
; COMPUTE_PGM_RSRC2:SCRATCH_EN: 0
; COMPUTE_PGM_RSRC2:USER_SGPR: 13
; COMPUTE_PGM_RSRC2:TRAP_HANDLER: 0
; COMPUTE_PGM_RSRC2:TGID_X_EN: 1
; COMPUTE_PGM_RSRC2:TGID_Y_EN: 1
; COMPUTE_PGM_RSRC2:TGID_Z_EN: 1
; COMPUTE_PGM_RSRC2:TIDIG_COMP_CNT: 0
	.section	.text._Z38paged_attention_ll4mi_QKV_mfma4_kernelIDF16_hLN4vllm18Fp8KVCacheDataTypeE1EhLi16ELi64ELi256ELb0ELi1EEvPKT_PKT0_S7_ifPKiS9_S9_iPKfiiiPfSC_PS2_PT2_iSB_SB_,"axG",@progbits,_Z38paged_attention_ll4mi_QKV_mfma4_kernelIDF16_hLN4vllm18Fp8KVCacheDataTypeE1EhLi16ELi64ELi256ELb0ELi1EEvPKT_PKT0_S7_ifPKiS9_S9_iPKfiiiPfSC_PS2_PT2_iSB_SB_,comdat
	.protected	_Z38paged_attention_ll4mi_QKV_mfma4_kernelIDF16_hLN4vllm18Fp8KVCacheDataTypeE1EhLi16ELi64ELi256ELb0ELi1EEvPKT_PKT0_S7_ifPKiS9_S9_iPKfiiiPfSC_PS2_PT2_iSB_SB_ ; -- Begin function _Z38paged_attention_ll4mi_QKV_mfma4_kernelIDF16_hLN4vllm18Fp8KVCacheDataTypeE1EhLi16ELi64ELi256ELb0ELi1EEvPKT_PKT0_S7_ifPKiS9_S9_iPKfiiiPfSC_PS2_PT2_iSB_SB_
	.globl	_Z38paged_attention_ll4mi_QKV_mfma4_kernelIDF16_hLN4vllm18Fp8KVCacheDataTypeE1EhLi16ELi64ELi256ELb0ELi1EEvPKT_PKT0_S7_ifPKiS9_S9_iPKfiiiPfSC_PS2_PT2_iSB_SB_
	.p2align	8
	.type	_Z38paged_attention_ll4mi_QKV_mfma4_kernelIDF16_hLN4vllm18Fp8KVCacheDataTypeE1EhLi16ELi64ELi256ELb0ELi1EEvPKT_PKT0_S7_ifPKiS9_S9_iPKfiiiPfSC_PS2_PT2_iSB_SB_,@function
_Z38paged_attention_ll4mi_QKV_mfma4_kernelIDF16_hLN4vllm18Fp8KVCacheDataTypeE1EhLi16ELi64ELi256ELb0ELi1EEvPKT_PKT0_S7_ifPKiS9_S9_iPKfiiiPfSC_PS2_PT2_iSB_SB_: ; @_Z38paged_attention_ll4mi_QKV_mfma4_kernelIDF16_hLN4vllm18Fp8KVCacheDataTypeE1EhLi16ELi64ELi256ELb0ELi1EEvPKT_PKT0_S7_ifPKiS9_S9_iPKfiiiPfSC_PS2_PT2_iSB_SB_
; %bb.0:
	s_add_u32 s8, s0, 0x90
	s_addc_u32 s9, s1, 0
	s_getpc_b64 s[0:1]
	s_add_u32 s0, s0, __PRETTY_FUNCTION__._Z38paged_attention_ll4mi_QKV_mfma4_kernelIDF16_hLN4vllm18Fp8KVCacheDataTypeE1EhLi16ELi64ELi256ELb0ELi1EEvPKT_PKT0_S7_ifPKiS9_S9_iPKfiiiPfSC_PS2_PT2_iSB_SB_@rel32@lo+4
	s_addc_u32 s1, s1, __PRETTY_FUNCTION__._Z38paged_attention_ll4mi_QKV_mfma4_kernelIDF16_hLN4vllm18Fp8KVCacheDataTypeE1EhLi16ELi64ELi256ELb0ELi1EEvPKT_PKT0_S7_ifPKiS9_S9_iPKfiiiPfSC_PS2_PT2_iSB_SB_@rel32@hi+12
	s_delay_alu instid0(SALU_CYCLE_1) | instskip(SKIP_4) | instid1(SALU_CYCLE_1)
	v_dual_mov_b32 v0, s0 :: v_dual_mov_b32 v1, s1
	s_mov_b32 s32, 0
	s_getpc_b64 s[2:3]
	s_add_u32 s2, s2, __assert_fail@rel32@lo+4
	s_addc_u32 s3, s3, __assert_fail@rel32@hi+12
	s_swappc_b64 s[30:31], s[2:3]
	.section	.rodata,"a",@progbits
	.p2align	6, 0x0
	.amdhsa_kernel _Z38paged_attention_ll4mi_QKV_mfma4_kernelIDF16_hLN4vllm18Fp8KVCacheDataTypeE1EhLi16ELi64ELi256ELb0ELi1EEvPKT_PKT0_S7_ifPKiS9_S9_iPKfiiiPfSC_PS2_PT2_iSB_SB_
		.amdhsa_group_segment_fixed_size 0
		.amdhsa_private_segment_fixed_size 64
		.amdhsa_kernarg_size 400
		.amdhsa_user_sgpr_count 15
		.amdhsa_user_sgpr_dispatch_ptr 0
		.amdhsa_user_sgpr_queue_ptr 0
		.amdhsa_user_sgpr_kernarg_segment_ptr 1
		.amdhsa_user_sgpr_dispatch_id 0
		.amdhsa_user_sgpr_private_segment_size 0
		.amdhsa_wavefront_size32 1
		.amdhsa_uses_dynamic_stack 0
		.amdhsa_enable_private_segment 1
		.amdhsa_system_sgpr_workgroup_id_x 1
		.amdhsa_system_sgpr_workgroup_id_y 0
		.amdhsa_system_sgpr_workgroup_id_z 0
		.amdhsa_system_sgpr_workgroup_info 0
		.amdhsa_system_vgpr_workitem_id 0
		.amdhsa_next_free_vgpr 41
		.amdhsa_next_free_sgpr 34
		.amdhsa_reserve_vcc 1
		.amdhsa_float_round_mode_32 0
		.amdhsa_float_round_mode_16_64 0
		.amdhsa_float_denorm_mode_32 3
		.amdhsa_float_denorm_mode_16_64 3
		.amdhsa_dx10_clamp 1
		.amdhsa_ieee_mode 1
		.amdhsa_fp16_overflow 0
		.amdhsa_workgroup_processor_mode 1
		.amdhsa_memory_ordered 1
		.amdhsa_forward_progress 0
		.amdhsa_shared_vgpr_count 0
		.amdhsa_exception_fp_ieee_invalid_op 0
		.amdhsa_exception_fp_denorm_src 0
		.amdhsa_exception_fp_ieee_div_zero 0
		.amdhsa_exception_fp_ieee_overflow 0
		.amdhsa_exception_fp_ieee_underflow 0
		.amdhsa_exception_fp_ieee_inexact 0
		.amdhsa_exception_int_div_zero 0
	.end_amdhsa_kernel
	.section	.text._Z38paged_attention_ll4mi_QKV_mfma4_kernelIDF16_hLN4vllm18Fp8KVCacheDataTypeE1EhLi16ELi64ELi256ELb0ELi1EEvPKT_PKT0_S7_ifPKiS9_S9_iPKfiiiPfSC_PS2_PT2_iSB_SB_,"axG",@progbits,_Z38paged_attention_ll4mi_QKV_mfma4_kernelIDF16_hLN4vllm18Fp8KVCacheDataTypeE1EhLi16ELi64ELi256ELb0ELi1EEvPKT_PKT0_S7_ifPKiS9_S9_iPKfiiiPfSC_PS2_PT2_iSB_SB_,comdat
.Lfunc_end790:
	.size	_Z38paged_attention_ll4mi_QKV_mfma4_kernelIDF16_hLN4vllm18Fp8KVCacheDataTypeE1EhLi16ELi64ELi256ELb0ELi1EEvPKT_PKT0_S7_ifPKiS9_S9_iPKfiiiPfSC_PS2_PT2_iSB_SB_, .Lfunc_end790-_Z38paged_attention_ll4mi_QKV_mfma4_kernelIDF16_hLN4vllm18Fp8KVCacheDataTypeE1EhLi16ELi64ELi256ELb0ELi1EEvPKT_PKT0_S7_ifPKiS9_S9_iPKfiiiPfSC_PS2_PT2_iSB_SB_
                                        ; -- End function
	.section	.AMDGPU.csdata,"",@progbits
; Kernel info:
; codeLenInByte = 72
; NumSgprs: 36
; NumVgprs: 41
; ScratchSize: 64
; MemoryBound: 0
; FloatMode: 240
; IeeeMode: 1
; LDSByteSize: 0 bytes/workgroup (compile time only)
; SGPRBlocks: 4
; VGPRBlocks: 5
; NumSGPRsForWavesPerEU: 36
; NumVGPRsForWavesPerEU: 41
; Occupancy: 16
; WaveLimiterHint : 1
; COMPUTE_PGM_RSRC2:SCRATCH_EN: 1
; COMPUTE_PGM_RSRC2:USER_SGPR: 15
; COMPUTE_PGM_RSRC2:TRAP_HANDLER: 0
; COMPUTE_PGM_RSRC2:TGID_X_EN: 1
; COMPUTE_PGM_RSRC2:TGID_Y_EN: 0
; COMPUTE_PGM_RSRC2:TGID_Z_EN: 0
; COMPUTE_PGM_RSRC2:TIDIG_COMP_CNT: 0
	.section	.text._Z38paged_attention_ll4mi_QKV_mfma4_kernelIDF16_hLN4vllm18Fp8KVCacheDataTypeE1EhLi16ELi64ELi256ELb0ELi2EEvPKT_PKT0_S7_ifPKiS9_S9_iPKfiiiPfSC_PS2_PT2_iSB_SB_,"axG",@progbits,_Z38paged_attention_ll4mi_QKV_mfma4_kernelIDF16_hLN4vllm18Fp8KVCacheDataTypeE1EhLi16ELi64ELi256ELb0ELi2EEvPKT_PKT0_S7_ifPKiS9_S9_iPKfiiiPfSC_PS2_PT2_iSB_SB_,comdat
	.protected	_Z38paged_attention_ll4mi_QKV_mfma4_kernelIDF16_hLN4vllm18Fp8KVCacheDataTypeE1EhLi16ELi64ELi256ELb0ELi2EEvPKT_PKT0_S7_ifPKiS9_S9_iPKfiiiPfSC_PS2_PT2_iSB_SB_ ; -- Begin function _Z38paged_attention_ll4mi_QKV_mfma4_kernelIDF16_hLN4vllm18Fp8KVCacheDataTypeE1EhLi16ELi64ELi256ELb0ELi2EEvPKT_PKT0_S7_ifPKiS9_S9_iPKfiiiPfSC_PS2_PT2_iSB_SB_
	.globl	_Z38paged_attention_ll4mi_QKV_mfma4_kernelIDF16_hLN4vllm18Fp8KVCacheDataTypeE1EhLi16ELi64ELi256ELb0ELi2EEvPKT_PKT0_S7_ifPKiS9_S9_iPKfiiiPfSC_PS2_PT2_iSB_SB_
	.p2align	8
	.type	_Z38paged_attention_ll4mi_QKV_mfma4_kernelIDF16_hLN4vllm18Fp8KVCacheDataTypeE1EhLi16ELi64ELi256ELb0ELi2EEvPKT_PKT0_S7_ifPKiS9_S9_iPKfiiiPfSC_PS2_PT2_iSB_SB_,@function
_Z38paged_attention_ll4mi_QKV_mfma4_kernelIDF16_hLN4vllm18Fp8KVCacheDataTypeE1EhLi16ELi64ELi256ELb0ELi2EEvPKT_PKT0_S7_ifPKiS9_S9_iPKfiiiPfSC_PS2_PT2_iSB_SB_: ; @_Z38paged_attention_ll4mi_QKV_mfma4_kernelIDF16_hLN4vllm18Fp8KVCacheDataTypeE1EhLi16ELi64ELi256ELb0ELi2EEvPKT_PKT0_S7_ifPKiS9_S9_iPKfiiiPfSC_PS2_PT2_iSB_SB_
; %bb.0:
	s_add_u32 s8, s0, 0x90
	s_addc_u32 s9, s1, 0
	s_getpc_b64 s[0:1]
	s_add_u32 s0, s0, __PRETTY_FUNCTION__._Z38paged_attention_ll4mi_QKV_mfma4_kernelIDF16_hLN4vllm18Fp8KVCacheDataTypeE1EhLi16ELi64ELi256ELb0ELi2EEvPKT_PKT0_S7_ifPKiS9_S9_iPKfiiiPfSC_PS2_PT2_iSB_SB_@rel32@lo+4
	s_addc_u32 s1, s1, __PRETTY_FUNCTION__._Z38paged_attention_ll4mi_QKV_mfma4_kernelIDF16_hLN4vllm18Fp8KVCacheDataTypeE1EhLi16ELi64ELi256ELb0ELi2EEvPKT_PKT0_S7_ifPKiS9_S9_iPKfiiiPfSC_PS2_PT2_iSB_SB_@rel32@hi+12
	s_delay_alu instid0(SALU_CYCLE_1) | instskip(SKIP_4) | instid1(SALU_CYCLE_1)
	v_dual_mov_b32 v0, s0 :: v_dual_mov_b32 v1, s1
	s_mov_b32 s32, 0
	s_getpc_b64 s[2:3]
	s_add_u32 s2, s2, __assert_fail@rel32@lo+4
	s_addc_u32 s3, s3, __assert_fail@rel32@hi+12
	s_swappc_b64 s[30:31], s[2:3]
	.section	.rodata,"a",@progbits
	.p2align	6, 0x0
	.amdhsa_kernel _Z38paged_attention_ll4mi_QKV_mfma4_kernelIDF16_hLN4vllm18Fp8KVCacheDataTypeE1EhLi16ELi64ELi256ELb0ELi2EEvPKT_PKT0_S7_ifPKiS9_S9_iPKfiiiPfSC_PS2_PT2_iSB_SB_
		.amdhsa_group_segment_fixed_size 0
		.amdhsa_private_segment_fixed_size 64
		.amdhsa_kernarg_size 400
		.amdhsa_user_sgpr_count 15
		.amdhsa_user_sgpr_dispatch_ptr 0
		.amdhsa_user_sgpr_queue_ptr 0
		.amdhsa_user_sgpr_kernarg_segment_ptr 1
		.amdhsa_user_sgpr_dispatch_id 0
		.amdhsa_user_sgpr_private_segment_size 0
		.amdhsa_wavefront_size32 1
		.amdhsa_uses_dynamic_stack 0
		.amdhsa_enable_private_segment 1
		.amdhsa_system_sgpr_workgroup_id_x 1
		.amdhsa_system_sgpr_workgroup_id_y 0
		.amdhsa_system_sgpr_workgroup_id_z 0
		.amdhsa_system_sgpr_workgroup_info 0
		.amdhsa_system_vgpr_workitem_id 0
		.amdhsa_next_free_vgpr 41
		.amdhsa_next_free_sgpr 34
		.amdhsa_reserve_vcc 1
		.amdhsa_float_round_mode_32 0
		.amdhsa_float_round_mode_16_64 0
		.amdhsa_float_denorm_mode_32 3
		.amdhsa_float_denorm_mode_16_64 3
		.amdhsa_dx10_clamp 1
		.amdhsa_ieee_mode 1
		.amdhsa_fp16_overflow 0
		.amdhsa_workgroup_processor_mode 1
		.amdhsa_memory_ordered 1
		.amdhsa_forward_progress 0
		.amdhsa_shared_vgpr_count 0
		.amdhsa_exception_fp_ieee_invalid_op 0
		.amdhsa_exception_fp_denorm_src 0
		.amdhsa_exception_fp_ieee_div_zero 0
		.amdhsa_exception_fp_ieee_overflow 0
		.amdhsa_exception_fp_ieee_underflow 0
		.amdhsa_exception_fp_ieee_inexact 0
		.amdhsa_exception_int_div_zero 0
	.end_amdhsa_kernel
	.section	.text._Z38paged_attention_ll4mi_QKV_mfma4_kernelIDF16_hLN4vllm18Fp8KVCacheDataTypeE1EhLi16ELi64ELi256ELb0ELi2EEvPKT_PKT0_S7_ifPKiS9_S9_iPKfiiiPfSC_PS2_PT2_iSB_SB_,"axG",@progbits,_Z38paged_attention_ll4mi_QKV_mfma4_kernelIDF16_hLN4vllm18Fp8KVCacheDataTypeE1EhLi16ELi64ELi256ELb0ELi2EEvPKT_PKT0_S7_ifPKiS9_S9_iPKfiiiPfSC_PS2_PT2_iSB_SB_,comdat
.Lfunc_end791:
	.size	_Z38paged_attention_ll4mi_QKV_mfma4_kernelIDF16_hLN4vllm18Fp8KVCacheDataTypeE1EhLi16ELi64ELi256ELb0ELi2EEvPKT_PKT0_S7_ifPKiS9_S9_iPKfiiiPfSC_PS2_PT2_iSB_SB_, .Lfunc_end791-_Z38paged_attention_ll4mi_QKV_mfma4_kernelIDF16_hLN4vllm18Fp8KVCacheDataTypeE1EhLi16ELi64ELi256ELb0ELi2EEvPKT_PKT0_S7_ifPKiS9_S9_iPKfiiiPfSC_PS2_PT2_iSB_SB_
                                        ; -- End function
	.section	.AMDGPU.csdata,"",@progbits
; Kernel info:
; codeLenInByte = 72
; NumSgprs: 36
; NumVgprs: 41
; ScratchSize: 64
; MemoryBound: 0
; FloatMode: 240
; IeeeMode: 1
; LDSByteSize: 0 bytes/workgroup (compile time only)
; SGPRBlocks: 4
; VGPRBlocks: 5
; NumSGPRsForWavesPerEU: 36
; NumVGPRsForWavesPerEU: 41
; Occupancy: 16
; WaveLimiterHint : 1
; COMPUTE_PGM_RSRC2:SCRATCH_EN: 1
; COMPUTE_PGM_RSRC2:USER_SGPR: 15
; COMPUTE_PGM_RSRC2:TRAP_HANDLER: 0
; COMPUTE_PGM_RSRC2:TGID_X_EN: 1
; COMPUTE_PGM_RSRC2:TGID_Y_EN: 0
; COMPUTE_PGM_RSRC2:TGID_Z_EN: 0
; COMPUTE_PGM_RSRC2:TIDIG_COMP_CNT: 0
	.section	.text._Z38paged_attention_ll4mi_QKV_mfma4_kernelIDF16_hLN4vllm18Fp8KVCacheDataTypeE1EhLi16ELi64ELi256ELb0ELi3EEvPKT_PKT0_S7_ifPKiS9_S9_iPKfiiiPfSC_PS2_PT2_iSB_SB_,"axG",@progbits,_Z38paged_attention_ll4mi_QKV_mfma4_kernelIDF16_hLN4vllm18Fp8KVCacheDataTypeE1EhLi16ELi64ELi256ELb0ELi3EEvPKT_PKT0_S7_ifPKiS9_S9_iPKfiiiPfSC_PS2_PT2_iSB_SB_,comdat
	.protected	_Z38paged_attention_ll4mi_QKV_mfma4_kernelIDF16_hLN4vllm18Fp8KVCacheDataTypeE1EhLi16ELi64ELi256ELb0ELi3EEvPKT_PKT0_S7_ifPKiS9_S9_iPKfiiiPfSC_PS2_PT2_iSB_SB_ ; -- Begin function _Z38paged_attention_ll4mi_QKV_mfma4_kernelIDF16_hLN4vllm18Fp8KVCacheDataTypeE1EhLi16ELi64ELi256ELb0ELi3EEvPKT_PKT0_S7_ifPKiS9_S9_iPKfiiiPfSC_PS2_PT2_iSB_SB_
	.globl	_Z38paged_attention_ll4mi_QKV_mfma4_kernelIDF16_hLN4vllm18Fp8KVCacheDataTypeE1EhLi16ELi64ELi256ELb0ELi3EEvPKT_PKT0_S7_ifPKiS9_S9_iPKfiiiPfSC_PS2_PT2_iSB_SB_
	.p2align	8
	.type	_Z38paged_attention_ll4mi_QKV_mfma4_kernelIDF16_hLN4vllm18Fp8KVCacheDataTypeE1EhLi16ELi64ELi256ELb0ELi3EEvPKT_PKT0_S7_ifPKiS9_S9_iPKfiiiPfSC_PS2_PT2_iSB_SB_,@function
_Z38paged_attention_ll4mi_QKV_mfma4_kernelIDF16_hLN4vllm18Fp8KVCacheDataTypeE1EhLi16ELi64ELi256ELb0ELi3EEvPKT_PKT0_S7_ifPKiS9_S9_iPKfiiiPfSC_PS2_PT2_iSB_SB_: ; @_Z38paged_attention_ll4mi_QKV_mfma4_kernelIDF16_hLN4vllm18Fp8KVCacheDataTypeE1EhLi16ELi64ELi256ELb0ELi3EEvPKT_PKT0_S7_ifPKiS9_S9_iPKfiiiPfSC_PS2_PT2_iSB_SB_
; %bb.0:
	s_add_u32 s8, s0, 0x90
	s_addc_u32 s9, s1, 0
	s_getpc_b64 s[0:1]
	s_add_u32 s0, s0, __PRETTY_FUNCTION__._Z38paged_attention_ll4mi_QKV_mfma4_kernelIDF16_hLN4vllm18Fp8KVCacheDataTypeE1EhLi16ELi64ELi256ELb0ELi3EEvPKT_PKT0_S7_ifPKiS9_S9_iPKfiiiPfSC_PS2_PT2_iSB_SB_@rel32@lo+4
	s_addc_u32 s1, s1, __PRETTY_FUNCTION__._Z38paged_attention_ll4mi_QKV_mfma4_kernelIDF16_hLN4vllm18Fp8KVCacheDataTypeE1EhLi16ELi64ELi256ELb0ELi3EEvPKT_PKT0_S7_ifPKiS9_S9_iPKfiiiPfSC_PS2_PT2_iSB_SB_@rel32@hi+12
	s_delay_alu instid0(SALU_CYCLE_1) | instskip(SKIP_4) | instid1(SALU_CYCLE_1)
	v_dual_mov_b32 v0, s0 :: v_dual_mov_b32 v1, s1
	s_mov_b32 s32, 0
	s_getpc_b64 s[2:3]
	s_add_u32 s2, s2, __assert_fail@rel32@lo+4
	s_addc_u32 s3, s3, __assert_fail@rel32@hi+12
	s_swappc_b64 s[30:31], s[2:3]
	.section	.rodata,"a",@progbits
	.p2align	6, 0x0
	.amdhsa_kernel _Z38paged_attention_ll4mi_QKV_mfma4_kernelIDF16_hLN4vllm18Fp8KVCacheDataTypeE1EhLi16ELi64ELi256ELb0ELi3EEvPKT_PKT0_S7_ifPKiS9_S9_iPKfiiiPfSC_PS2_PT2_iSB_SB_
		.amdhsa_group_segment_fixed_size 0
		.amdhsa_private_segment_fixed_size 64
		.amdhsa_kernarg_size 400
		.amdhsa_user_sgpr_count 15
		.amdhsa_user_sgpr_dispatch_ptr 0
		.amdhsa_user_sgpr_queue_ptr 0
		.amdhsa_user_sgpr_kernarg_segment_ptr 1
		.amdhsa_user_sgpr_dispatch_id 0
		.amdhsa_user_sgpr_private_segment_size 0
		.amdhsa_wavefront_size32 1
		.amdhsa_uses_dynamic_stack 0
		.amdhsa_enable_private_segment 1
		.amdhsa_system_sgpr_workgroup_id_x 1
		.amdhsa_system_sgpr_workgroup_id_y 0
		.amdhsa_system_sgpr_workgroup_id_z 0
		.amdhsa_system_sgpr_workgroup_info 0
		.amdhsa_system_vgpr_workitem_id 0
		.amdhsa_next_free_vgpr 41
		.amdhsa_next_free_sgpr 34
		.amdhsa_reserve_vcc 1
		.amdhsa_float_round_mode_32 0
		.amdhsa_float_round_mode_16_64 0
		.amdhsa_float_denorm_mode_32 3
		.amdhsa_float_denorm_mode_16_64 3
		.amdhsa_dx10_clamp 1
		.amdhsa_ieee_mode 1
		.amdhsa_fp16_overflow 0
		.amdhsa_workgroup_processor_mode 1
		.amdhsa_memory_ordered 1
		.amdhsa_forward_progress 0
		.amdhsa_shared_vgpr_count 0
		.amdhsa_exception_fp_ieee_invalid_op 0
		.amdhsa_exception_fp_denorm_src 0
		.amdhsa_exception_fp_ieee_div_zero 0
		.amdhsa_exception_fp_ieee_overflow 0
		.amdhsa_exception_fp_ieee_underflow 0
		.amdhsa_exception_fp_ieee_inexact 0
		.amdhsa_exception_int_div_zero 0
	.end_amdhsa_kernel
	.section	.text._Z38paged_attention_ll4mi_QKV_mfma4_kernelIDF16_hLN4vllm18Fp8KVCacheDataTypeE1EhLi16ELi64ELi256ELb0ELi3EEvPKT_PKT0_S7_ifPKiS9_S9_iPKfiiiPfSC_PS2_PT2_iSB_SB_,"axG",@progbits,_Z38paged_attention_ll4mi_QKV_mfma4_kernelIDF16_hLN4vllm18Fp8KVCacheDataTypeE1EhLi16ELi64ELi256ELb0ELi3EEvPKT_PKT0_S7_ifPKiS9_S9_iPKfiiiPfSC_PS2_PT2_iSB_SB_,comdat
.Lfunc_end792:
	.size	_Z38paged_attention_ll4mi_QKV_mfma4_kernelIDF16_hLN4vllm18Fp8KVCacheDataTypeE1EhLi16ELi64ELi256ELb0ELi3EEvPKT_PKT0_S7_ifPKiS9_S9_iPKfiiiPfSC_PS2_PT2_iSB_SB_, .Lfunc_end792-_Z38paged_attention_ll4mi_QKV_mfma4_kernelIDF16_hLN4vllm18Fp8KVCacheDataTypeE1EhLi16ELi64ELi256ELb0ELi3EEvPKT_PKT0_S7_ifPKiS9_S9_iPKfiiiPfSC_PS2_PT2_iSB_SB_
                                        ; -- End function
	.section	.AMDGPU.csdata,"",@progbits
; Kernel info:
; codeLenInByte = 72
; NumSgprs: 36
; NumVgprs: 41
; ScratchSize: 64
; MemoryBound: 0
; FloatMode: 240
; IeeeMode: 1
; LDSByteSize: 0 bytes/workgroup (compile time only)
; SGPRBlocks: 4
; VGPRBlocks: 5
; NumSGPRsForWavesPerEU: 36
; NumVGPRsForWavesPerEU: 41
; Occupancy: 16
; WaveLimiterHint : 1
; COMPUTE_PGM_RSRC2:SCRATCH_EN: 1
; COMPUTE_PGM_RSRC2:USER_SGPR: 15
; COMPUTE_PGM_RSRC2:TRAP_HANDLER: 0
; COMPUTE_PGM_RSRC2:TGID_X_EN: 1
; COMPUTE_PGM_RSRC2:TGID_Y_EN: 0
; COMPUTE_PGM_RSRC2:TGID_Z_EN: 0
; COMPUTE_PGM_RSRC2:TIDIG_COMP_CNT: 0
	.section	.text._Z38paged_attention_ll4mi_QKV_mfma4_kernelIDF16_hLN4vllm18Fp8KVCacheDataTypeE1EhLi16ELi64ELi256ELb0ELi4EEvPKT_PKT0_S7_ifPKiS9_S9_iPKfiiiPfSC_PS2_PT2_iSB_SB_,"axG",@progbits,_Z38paged_attention_ll4mi_QKV_mfma4_kernelIDF16_hLN4vllm18Fp8KVCacheDataTypeE1EhLi16ELi64ELi256ELb0ELi4EEvPKT_PKT0_S7_ifPKiS9_S9_iPKfiiiPfSC_PS2_PT2_iSB_SB_,comdat
	.protected	_Z38paged_attention_ll4mi_QKV_mfma4_kernelIDF16_hLN4vllm18Fp8KVCacheDataTypeE1EhLi16ELi64ELi256ELb0ELi4EEvPKT_PKT0_S7_ifPKiS9_S9_iPKfiiiPfSC_PS2_PT2_iSB_SB_ ; -- Begin function _Z38paged_attention_ll4mi_QKV_mfma4_kernelIDF16_hLN4vllm18Fp8KVCacheDataTypeE1EhLi16ELi64ELi256ELb0ELi4EEvPKT_PKT0_S7_ifPKiS9_S9_iPKfiiiPfSC_PS2_PT2_iSB_SB_
	.globl	_Z38paged_attention_ll4mi_QKV_mfma4_kernelIDF16_hLN4vllm18Fp8KVCacheDataTypeE1EhLi16ELi64ELi256ELb0ELi4EEvPKT_PKT0_S7_ifPKiS9_S9_iPKfiiiPfSC_PS2_PT2_iSB_SB_
	.p2align	8
	.type	_Z38paged_attention_ll4mi_QKV_mfma4_kernelIDF16_hLN4vllm18Fp8KVCacheDataTypeE1EhLi16ELi64ELi256ELb0ELi4EEvPKT_PKT0_S7_ifPKiS9_S9_iPKfiiiPfSC_PS2_PT2_iSB_SB_,@function
_Z38paged_attention_ll4mi_QKV_mfma4_kernelIDF16_hLN4vllm18Fp8KVCacheDataTypeE1EhLi16ELi64ELi256ELb0ELi4EEvPKT_PKT0_S7_ifPKiS9_S9_iPKfiiiPfSC_PS2_PT2_iSB_SB_: ; @_Z38paged_attention_ll4mi_QKV_mfma4_kernelIDF16_hLN4vllm18Fp8KVCacheDataTypeE1EhLi16ELi64ELi256ELb0ELi4EEvPKT_PKT0_S7_ifPKiS9_S9_iPKfiiiPfSC_PS2_PT2_iSB_SB_
; %bb.0:
	s_add_u32 s8, s0, 0x90
	s_addc_u32 s9, s1, 0
	s_getpc_b64 s[0:1]
	s_add_u32 s0, s0, __PRETTY_FUNCTION__._Z38paged_attention_ll4mi_QKV_mfma4_kernelIDF16_hLN4vllm18Fp8KVCacheDataTypeE1EhLi16ELi64ELi256ELb0ELi4EEvPKT_PKT0_S7_ifPKiS9_S9_iPKfiiiPfSC_PS2_PT2_iSB_SB_@rel32@lo+4
	s_addc_u32 s1, s1, __PRETTY_FUNCTION__._Z38paged_attention_ll4mi_QKV_mfma4_kernelIDF16_hLN4vllm18Fp8KVCacheDataTypeE1EhLi16ELi64ELi256ELb0ELi4EEvPKT_PKT0_S7_ifPKiS9_S9_iPKfiiiPfSC_PS2_PT2_iSB_SB_@rel32@hi+12
	s_delay_alu instid0(SALU_CYCLE_1) | instskip(SKIP_4) | instid1(SALU_CYCLE_1)
	v_dual_mov_b32 v0, s0 :: v_dual_mov_b32 v1, s1
	s_mov_b32 s32, 0
	s_getpc_b64 s[2:3]
	s_add_u32 s2, s2, __assert_fail@rel32@lo+4
	s_addc_u32 s3, s3, __assert_fail@rel32@hi+12
	s_swappc_b64 s[30:31], s[2:3]
	.section	.rodata,"a",@progbits
	.p2align	6, 0x0
	.amdhsa_kernel _Z38paged_attention_ll4mi_QKV_mfma4_kernelIDF16_hLN4vllm18Fp8KVCacheDataTypeE1EhLi16ELi64ELi256ELb0ELi4EEvPKT_PKT0_S7_ifPKiS9_S9_iPKfiiiPfSC_PS2_PT2_iSB_SB_
		.amdhsa_group_segment_fixed_size 0
		.amdhsa_private_segment_fixed_size 64
		.amdhsa_kernarg_size 400
		.amdhsa_user_sgpr_count 15
		.amdhsa_user_sgpr_dispatch_ptr 0
		.amdhsa_user_sgpr_queue_ptr 0
		.amdhsa_user_sgpr_kernarg_segment_ptr 1
		.amdhsa_user_sgpr_dispatch_id 0
		.amdhsa_user_sgpr_private_segment_size 0
		.amdhsa_wavefront_size32 1
		.amdhsa_uses_dynamic_stack 0
		.amdhsa_enable_private_segment 1
		.amdhsa_system_sgpr_workgroup_id_x 1
		.amdhsa_system_sgpr_workgroup_id_y 0
		.amdhsa_system_sgpr_workgroup_id_z 0
		.amdhsa_system_sgpr_workgroup_info 0
		.amdhsa_system_vgpr_workitem_id 0
		.amdhsa_next_free_vgpr 41
		.amdhsa_next_free_sgpr 34
		.amdhsa_reserve_vcc 1
		.amdhsa_float_round_mode_32 0
		.amdhsa_float_round_mode_16_64 0
		.amdhsa_float_denorm_mode_32 3
		.amdhsa_float_denorm_mode_16_64 3
		.amdhsa_dx10_clamp 1
		.amdhsa_ieee_mode 1
		.amdhsa_fp16_overflow 0
		.amdhsa_workgroup_processor_mode 1
		.amdhsa_memory_ordered 1
		.amdhsa_forward_progress 0
		.amdhsa_shared_vgpr_count 0
		.amdhsa_exception_fp_ieee_invalid_op 0
		.amdhsa_exception_fp_denorm_src 0
		.amdhsa_exception_fp_ieee_div_zero 0
		.amdhsa_exception_fp_ieee_overflow 0
		.amdhsa_exception_fp_ieee_underflow 0
		.amdhsa_exception_fp_ieee_inexact 0
		.amdhsa_exception_int_div_zero 0
	.end_amdhsa_kernel
	.section	.text._Z38paged_attention_ll4mi_QKV_mfma4_kernelIDF16_hLN4vllm18Fp8KVCacheDataTypeE1EhLi16ELi64ELi256ELb0ELi4EEvPKT_PKT0_S7_ifPKiS9_S9_iPKfiiiPfSC_PS2_PT2_iSB_SB_,"axG",@progbits,_Z38paged_attention_ll4mi_QKV_mfma4_kernelIDF16_hLN4vllm18Fp8KVCacheDataTypeE1EhLi16ELi64ELi256ELb0ELi4EEvPKT_PKT0_S7_ifPKiS9_S9_iPKfiiiPfSC_PS2_PT2_iSB_SB_,comdat
.Lfunc_end793:
	.size	_Z38paged_attention_ll4mi_QKV_mfma4_kernelIDF16_hLN4vllm18Fp8KVCacheDataTypeE1EhLi16ELi64ELi256ELb0ELi4EEvPKT_PKT0_S7_ifPKiS9_S9_iPKfiiiPfSC_PS2_PT2_iSB_SB_, .Lfunc_end793-_Z38paged_attention_ll4mi_QKV_mfma4_kernelIDF16_hLN4vllm18Fp8KVCacheDataTypeE1EhLi16ELi64ELi256ELb0ELi4EEvPKT_PKT0_S7_ifPKiS9_S9_iPKfiiiPfSC_PS2_PT2_iSB_SB_
                                        ; -- End function
	.section	.AMDGPU.csdata,"",@progbits
; Kernel info:
; codeLenInByte = 72
; NumSgprs: 36
; NumVgprs: 41
; ScratchSize: 64
; MemoryBound: 0
; FloatMode: 240
; IeeeMode: 1
; LDSByteSize: 0 bytes/workgroup (compile time only)
; SGPRBlocks: 4
; VGPRBlocks: 5
; NumSGPRsForWavesPerEU: 36
; NumVGPRsForWavesPerEU: 41
; Occupancy: 16
; WaveLimiterHint : 1
; COMPUTE_PGM_RSRC2:SCRATCH_EN: 1
; COMPUTE_PGM_RSRC2:USER_SGPR: 15
; COMPUTE_PGM_RSRC2:TRAP_HANDLER: 0
; COMPUTE_PGM_RSRC2:TGID_X_EN: 1
; COMPUTE_PGM_RSRC2:TGID_Y_EN: 0
; COMPUTE_PGM_RSRC2:TGID_Z_EN: 0
; COMPUTE_PGM_RSRC2:TIDIG_COMP_CNT: 0
	.section	.text._Z39paged_attention_ll4mi_QKV_mfma16_kernelIDF16_hLN4vllm18Fp8KVCacheDataTypeE1EhLi16ELi64ELi256ELb0ELi5EL8MFMAType1EEvPKT_PKT0_S8_ifPKiSA_SA_iPKfiiiPfSD_PS3_PT2_iSC_SC_,"axG",@progbits,_Z39paged_attention_ll4mi_QKV_mfma16_kernelIDF16_hLN4vllm18Fp8KVCacheDataTypeE1EhLi16ELi64ELi256ELb0ELi5EL8MFMAType1EEvPKT_PKT0_S8_ifPKiSA_SA_iPKfiiiPfSD_PS3_PT2_iSC_SC_,comdat
	.protected	_Z39paged_attention_ll4mi_QKV_mfma16_kernelIDF16_hLN4vllm18Fp8KVCacheDataTypeE1EhLi16ELi64ELi256ELb0ELi5EL8MFMAType1EEvPKT_PKT0_S8_ifPKiSA_SA_iPKfiiiPfSD_PS3_PT2_iSC_SC_ ; -- Begin function _Z39paged_attention_ll4mi_QKV_mfma16_kernelIDF16_hLN4vllm18Fp8KVCacheDataTypeE1EhLi16ELi64ELi256ELb0ELi5EL8MFMAType1EEvPKT_PKT0_S8_ifPKiSA_SA_iPKfiiiPfSD_PS3_PT2_iSC_SC_
	.globl	_Z39paged_attention_ll4mi_QKV_mfma16_kernelIDF16_hLN4vllm18Fp8KVCacheDataTypeE1EhLi16ELi64ELi256ELb0ELi5EL8MFMAType1EEvPKT_PKT0_S8_ifPKiSA_SA_iPKfiiiPfSD_PS3_PT2_iSC_SC_
	.p2align	8
	.type	_Z39paged_attention_ll4mi_QKV_mfma16_kernelIDF16_hLN4vllm18Fp8KVCacheDataTypeE1EhLi16ELi64ELi256ELb0ELi5EL8MFMAType1EEvPKT_PKT0_S8_ifPKiSA_SA_iPKfiiiPfSD_PS3_PT2_iSC_SC_,@function
_Z39paged_attention_ll4mi_QKV_mfma16_kernelIDF16_hLN4vllm18Fp8KVCacheDataTypeE1EhLi16ELi64ELi256ELb0ELi5EL8MFMAType1EEvPKT_PKT0_S8_ifPKiSA_SA_iPKfiiiPfSD_PS3_PT2_iSC_SC_: ; @_Z39paged_attention_ll4mi_QKV_mfma16_kernelIDF16_hLN4vllm18Fp8KVCacheDataTypeE1EhLi16ELi64ELi256ELb0ELi5EL8MFMAType1EEvPKT_PKT0_S8_ifPKiSA_SA_iPKfiiiPfSD_PS3_PT2_iSC_SC_
; %bb.0:
	s_load_b64 s[2:3], s[0:1], 0x30
	s_mov_b32 s34, s13
	s_waitcnt lgkmcnt(0)
	s_cmp_lg_u64 s[2:3], 0
	s_cselect_b32 s6, -1, 0
	s_ashr_i32 s35, s13, 31
	s_cmp_eq_u64 s[2:3], 0
	s_cbranch_scc1 .LBB794_3
; %bb.1:
	s_lshl_b64 s[4:5], s[34:35], 2
	s_delay_alu instid0(SALU_CYCLE_1) | instskip(SKIP_4) | instid1(SALU_CYCLE_1)
	s_add_u32 s4, s2, s4
	s_addc_u32 s5, s3, s5
	s_load_b64 s[4:5], s[4:5], 0x0
	s_waitcnt lgkmcnt(0)
	s_sub_i32 s4, s5, s4
	s_cmp_eq_u32 s4, 1
	s_cselect_b32 s4, -1, 0
	s_delay_alu instid0(SALU_CYCLE_1)
	s_and_not1_b32 vcc_lo, exec_lo, s4
	s_cbranch_vccz .LBB794_4
.LBB794_2:
	s_nop 0
	s_sendmsg sendmsg(MSG_DEALLOC_VGPRS)
	s_endpgm
.LBB794_3:
.LBB794_4:
	s_load_b64 s[8:9], s[0:1], 0x28
	s_lshl_b64 s[4:5], s[34:35], 2
	s_waitcnt lgkmcnt(0)
	s_add_u32 s8, s8, s4
	s_addc_u32 s9, s9, s5
	s_lshl_b32 s16, s14, 8
	s_load_b32 s18, s[8:9], 0x0
	s_waitcnt lgkmcnt(0)
	s_cmp_ge_i32 s16, s18
	s_cbranch_scc1 .LBB794_2
; %bb.5:
	s_clause 0x1
	s_load_b128 s[8:11], s[0:1], 0x8
	s_load_b64 s[12:13], s[0:1], 0x20
	s_and_not1_b32 vcc_lo, exec_lo, s6
	s_cbranch_vccnz .LBB794_7
; %bb.6:
	s_add_u32 s2, s2, s4
	s_addc_u32 s3, s3, s5
	s_load_b32 s3, s[2:3], 0x0
	s_branch .LBB794_8
.LBB794_7:
	s_mov_b32 s3, s34
.LBB794_8:
	s_load_b128 s[4:7], s[0:1], 0x48
	v_lshrrev_b32_e32 v69, 5, v0
	v_bfe_u32 v66, v0, 4, 1
	v_and_b32_e32 v68, 15, v0
	v_and_b32_e32 v70, 31, v0
	;; [unrolled: 1-line block ×3, first 2 shown]
	s_mul_i32 s33, s15, 5
	v_lshl_or_b32 v1, v69, 1, v66
	v_lshlrev_b32_e32 v2, 3, v68
	v_cmp_gt_u32_e64 s2, 8, v68
	s_delay_alu instid0(VALU_DEP_3) | instskip(NEXT) | instid1(VALU_DEP_3)
	v_cmp_gt_u32_e32 vcc_lo, 5, v1
	v_lshlrev_b32_e32 v65, 1, v2
	s_delay_alu instid0(VALU_DEP_3)
	s_and_b32 s17, s2, vcc_lo
	s_waitcnt lgkmcnt(0)
	s_and_saveexec_b32 s7, s17
	s_cbranch_execz .LBB794_10
; %bb.9:
	s_load_b64 s[20:21], s[0:1], 0x0
	v_add_lshl_u32 v2, v1, s33, 6
	s_mul_hi_i32 s23, s3, s4
	s_mul_i32 s22, s3, s4
	v_lshlrev_b32_e32 v6, 10, v68
	s_lshl_b64 s[22:23], s[22:23], 1
	v_ashrrev_i32_e32 v3, 31, v2
	v_lshlrev_b32_e32 v1, 6, v1
	v_lshlrev_b32_e32 v7, 10, v67
	v_and_b32_e32 v6, 0x3800, v6
	s_delay_alu instid0(VALU_DEP_4) | instskip(NEXT) | instid1(VALU_DEP_2)
	v_lshlrev_b64 v[2:3], 1, v[2:3]
	v_or3_b32 v1, v6, v7, v1
	s_waitcnt lgkmcnt(0)
	s_add_u32 s3, s20, s22
	s_addc_u32 s4, s21, s23
	s_delay_alu instid0(VALU_DEP_2) | instskip(SKIP_1) | instid1(VALU_DEP_2)
	v_add_co_u32 v2, vcc_lo, s3, v2
	v_add_co_ci_u32_e32 v3, vcc_lo, s4, v3, vcc_lo
	v_add_co_u32 v2, vcc_lo, v2, v65
	s_delay_alu instid0(VALU_DEP_2)
	v_add_co_ci_u32_e32 v3, vcc_lo, 0, v3, vcc_lo
	global_load_b128 v[2:5], v[2:3], off
	s_waitcnt vmcnt(0)
	ds_store_b128 v1, v[2:5]
.LBB794_10:
	s_or_b32 exec_lo, exec_lo, s7
	v_and_b32_e32 v1, 0xef, v0
	s_add_i32 s3, s18, 15
	s_clause 0x1
	s_load_b32 s4, s[0:1], 0x38
	s_load_b32 s35, s[0:1], 0x98
	s_ashr_i32 s7, s3, 31
	v_add_nc_u32_e32 v1, s16, v1
	s_lshr_b32 s7, s7, 28
	s_load_b32 s19, s[0:1], 0x1c
	s_add_i32 s3, s3, s7
	s_waitcnt lgkmcnt(0)
	v_ashrrev_i32_e32 v2, 31, v1
	v_or_b32_e32 v3, 16, v1
	s_ashr_i32 s3, s3, 4
	v_cmp_gt_i32_e32 vcc_lo, s18, v1
	s_add_i32 s3, s3, -1
	v_lshrrev_b32_e32 v2, 28, v2
	s_barrier
	buffer_gl0_inv
	s_mul_i32 s15, s15, s6
	v_mul_lo_u16 v103, v68, 52
	v_add_nc_u32_e32 v4, v1, v2
	v_mbcnt_lo_u32_b32 v127, -1, 0
	s_mul_i32 s20, s34, s4
	s_delay_alu instid0(SALU_CYCLE_1) | instskip(NEXT) | instid1(VALU_DEP_2)
	s_ashr_i32 s21, s20, 31
	v_ashrrev_i32_e32 v4, 4, v4
	v_add_nc_u32_e32 v2, v3, v2
	s_lshl_b64 s[20:21], s[20:21], 2
	v_lshrrev_b16 v103, 8, v103
	s_add_u32 s17, s12, s20
	v_cndmask_b32_e32 v1, s3, v4, vcc_lo
	v_ashrrev_i32_e32 v2, 4, v2
	v_cmp_gt_i32_e32 vcc_lo, s18, v3
	s_addc_u32 s13, s13, s21
	s_ashr_i32 s20, s15, 31
	s_add_u32 s4, s8, s15
	s_addc_u32 s12, s9, s20
	v_cndmask_b32_e32 v3, s3, v2, vcc_lo
	v_ashrrev_i32_e32 v2, 31, v1
	s_lshl_b32 s6, s14, 4
	v_mul_lo_u16 v103, v103, 5
	s_ashr_i32 s7, s6, 31
	v_ashrrev_i32_e32 v4, 31, v3
	v_lshlrev_b64 v[1:2], 2, v[1:2]
	s_lshl_b64 s[6:7], s[6:7], 2
	v_sub_nc_u16 v103, v68, v103
	s_add_u32 s6, s17, s6
	v_lshlrev_b64 v[3:4], 2, v[3:4]
	s_addc_u32 s7, s13, s7
	v_add_co_u32 v1, vcc_lo, s17, v1
	v_add_co_ci_u32_e32 v2, vcc_lo, s13, v2, vcc_lo
	s_delay_alu instid0(VALU_DEP_3) | instskip(NEXT) | instid1(VALU_DEP_4)
	v_add_co_u32 v3, vcc_lo, s17, v3
	v_add_co_ci_u32_e32 v4, vcc_lo, s13, v4, vcc_lo
	s_clause 0x1
	global_load_b32 v5, v[1:2], off
	global_load_b32 v7, v[3:4], off
	s_or_b32 s8, s16, 32
	v_lshlrev_b32_e32 v1, 4, v0
	s_ashr_i32 s9, s8, 4
	s_cmp_lt_i32 s8, s18
	v_xor_b32_e32 v128, 16, v127
	s_cselect_b32 s8, s9, s3
	v_and_b32_e32 v1, 0xf0, v1
	s_ashr_i32 s9, s8, 31
	s_delay_alu instid0(SALU_CYCLE_1)
	s_lshl_b64 s[8:9], s[8:9], 2
	v_cmp_gt_i32_e32 vcc_lo, 32, v128
	s_add_u32 s8, s17, s8
	s_addc_u32 s9, s13, s9
	s_or_b32 s21, s16, 64
	v_add_co_u32 v1, s4, s4, v1
	s_ashr_i32 s22, s21, 4
	s_cmp_lt_i32 s21, s18
	v_add_co_ci_u32_e64 v2, null, s12, 0, s4
	s_cselect_b32 s22, s22, s3
	v_dual_cndmask_b32 v136, v127, v128 :: v_dual_and_b32 v103, 0xff, v103
	s_ashr_i32 s23, s22, 31
	s_delay_alu instid0(SALU_CYCLE_1) | instskip(NEXT) | instid1(VALU_DEP_1)
	s_lshl_b64 s[22:23], s[22:23], 2
	v_lshlrev_b32_e32 v115, 6, v103
	s_add_u32 s22, s17, s22
	s_addc_u32 s23, s13, s23
	s_or_b32 s21, s16, 0x60
	s_delay_alu instid0(SALU_CYCLE_1) | instskip(SKIP_2) | instid1(SALU_CYCLE_1)
	s_ashr_i32 s24, s21, 4
	s_cmp_lt_i32 s21, s18
	s_cselect_b32 s24, s24, s3
	s_ashr_i32 s25, s24, 31
	s_delay_alu instid0(SALU_CYCLE_1) | instskip(NEXT) | instid1(SALU_CYCLE_1)
	s_lshl_b64 s[24:25], s[24:25], 2
	s_add_u32 s24, s17, s24
	s_addc_u32 s25, s13, s25
	s_or_b32 s21, s16, 0x80
	s_delay_alu instid0(SALU_CYCLE_1) | instskip(SKIP_2) | instid1(SALU_CYCLE_1)
	s_ashr_i32 s26, s21, 4
	s_cmp_lt_i32 s21, s18
	s_cselect_b32 s26, s26, s3
	s_ashr_i32 s27, s26, 31
	s_delay_alu instid0(SALU_CYCLE_1) | instskip(NEXT) | instid1(SALU_CYCLE_1)
	s_lshl_b64 s[26:27], s[26:27], 2
	;; [unrolled: 10-line block ×3, first 2 shown]
	s_add_u32 s28, s17, s28
	s_addc_u32 s29, s13, s29
	s_clause 0x5
	s_load_b32 s12, s[6:7], 0x0
	s_load_b32 s4, s[8:9], 0x0
	;; [unrolled: 1-line block ×6, first 2 shown]
	s_or_b32 s21, s16, 0xc0
	s_delay_alu instid0(SALU_CYCLE_1) | instskip(SKIP_2) | instid1(SALU_CYCLE_1)
	s_ashr_i32 s22, s21, 4
	s_cmp_lt_i32 s21, s18
	s_cselect_b32 s22, s22, s3
	s_ashr_i32 s23, s22, 31
	s_delay_alu instid0(SALU_CYCLE_1) | instskip(NEXT) | instid1(SALU_CYCLE_1)
	s_lshl_b64 s[22:23], s[22:23], 2
	s_add_u32 s22, s17, s22
	s_addc_u32 s23, s13, s23
	s_or_b32 s21, s16, 0xe0
	s_delay_alu instid0(SALU_CYCLE_1) | instskip(SKIP_2) | instid1(SALU_CYCLE_1)
	s_ashr_i32 s24, s21, 4
	s_cmp_lt_i32 s21, s18
	s_cselect_b32 s24, s24, s3
	s_ashr_i32 s25, s24, 31
	s_delay_alu instid0(SALU_CYCLE_1)
	s_lshl_b64 s[24:25], s[24:25], 2
	s_waitcnt vmcnt(1)
	v_mad_i64_i32 v[3:4], null, v5, s5, v[1:2]
	s_waitcnt vmcnt(0)
	v_mad_i64_i32 v[5:6], null, v7, s5, v[1:2]
	v_lshlrev_b32_e32 v1, 4, v68
	s_clause 0x7
	global_load_b128 v[71:74], v[3:4], off
	global_load_b128 v[75:78], v[3:4], off offset:256
	global_load_b128 v[79:82], v[5:6], off
	global_load_b128 v[83:86], v[5:6], off offset:256
	global_load_b128 v[87:90], v[3:4], off offset:512
	;; [unrolled: 1-line block ×5, first 2 shown]
	v_lshl_or_b32 v1, v69, 8, v1
	s_load_b32 s3, s[22:23], 0x0
	s_add_u32 s22, s17, s24
	s_addc_u32 s23, s13, s25
	s_add_u32 s10, s10, s15
	s_addc_u32 s11, s11, s20
	v_add_co_u32 v1, s10, s10, v1
	s_delay_alu instid0(VALU_DEP_1) | instskip(SKIP_2) | instid1(VALU_DEP_1)
	v_add_co_ci_u32_e64 v2, null, s11, 0, s10
	s_load_b32 s10, s[22:23], 0x0
	s_waitcnt lgkmcnt(0)
	v_mad_i64_i32 v[3:4], null, s12, s5, v[1:2]
	v_mad_i64_i32 v[9:10], null, s7, s5, v[1:2]
	;; [unrolled: 1-line block ×7, first 2 shown]
	s_clause 0x5
	global_load_b128 v[49:52], v[3:4], off
	global_load_b128 v[53:56], v[3:4], off offset:16
	global_load_b128 v[41:44], v[5:6], off
	global_load_b128 v[45:48], v[5:6], off offset:16
	;; [unrolled: 2-line block ×3, first 2 shown]
	s_mov_b32 s4, 0
	v_mad_i64_i32 v[61:62], null, s10, s5, v[1:2]
	s_clause 0x9
	global_load_b128 v[1:4], v[9:10], off
	global_load_b128 v[5:8], v[9:10], off offset:16
	global_load_b128 v[9:12], v[13:14], off
	global_load_b128 v[13:16], v[13:14], off offset:16
	;; [unrolled: 2-line block ×5, first 2 shown]
	s_mov_b32 s5, s4
	s_mov_b32 s6, s4
	;; [unrolled: 1-line block ×7, first 2 shown]
	v_and_b32_e32 v104, 0xe0, v0
	v_dual_mov_b32 v126, s11 :: v_dual_mov_b32 v123, s8
	v_dual_mov_b32 v125, s10 :: v_dual_mov_b32 v124, s9
	s_delay_alu instid0(VALU_DEP_3)
	v_add_nc_u32_e32 v111, s16, v104
	ds_load_b128 v[103:106], v115
	ds_load_b128 v[107:110], v115 offset:1024
	v_dual_mov_b32 v122, s7 :: v_dual_mov_b32 v121, s6
	v_mov_b32_e32 v120, s5
	v_or_b32_e32 v135, v111, v66
	ds_load_b128 v[111:114], v115 offset:2048
	ds_load_b128 v[115:118], v115 offset:3072
	v_mov_b32_e32 v119, s4
	s_waitcnt vmcnt(0) lgkmcnt(0)
	s_barrier
	v_or_b32_e32 v137, 2, v135
	v_or_b32_e32 v138, 4, v135
	;; [unrolled: 1-line block ×3, first 2 shown]
	v_cmp_gt_i32_e32 vcc_lo, s18, v135
	v_or_b32_e32 v140, 8, v135
	v_cmp_gt_i32_e64 s3, s18, v137
	v_or_b32_e32 v141, 10, v135
	v_cmp_gt_i32_e64 s4, s18, v138
	v_cmp_gt_i32_e64 s5, s18, v139
	v_or_b32_e32 v142, 12, v135
	v_or_b32_e32 v143, 14, v135
	v_cmp_gt_i32_e64 s6, s18, v140
	v_cmp_gt_i32_e64 s7, s18, v141
	v_or_b32_e32 v144, 16, v135
	v_or_b32_e32 v145, 18, v135
	v_cmp_gt_i32_e64 s8, s18, v142
	v_cmp_gt_i32_e64 s9, s18, v143
	buffer_gl0_inv
	v_cmp_gt_i32_e64 s10, s18, v144
	v_cmp_gt_i32_e64 s11, s18, v145
	v_wmma_f32_16x16x16_f16 v[127:134], v[71:78], v[103:110], v[119:126]
	v_wmma_f32_16x16x16_f16 v[119:126], v[79:86], v[103:110], v[119:126]
	v_or_b32_e32 v71, 20, v135
	v_or_b32_e32 v72, 22, v135
	s_delay_alu instid0(VALU_DEP_4)
	v_wmma_f32_16x16x16_f16 v[127:134], v[87:94], v[111:118], v[127:134]
	v_or_b32_e32 v73, 24, v135
	v_wmma_f32_16x16x16_f16 v[119:126], v[95:102], v[111:118], v[119:126]
	v_or_b32_e32 v74, 26, v135
	v_cmp_gt_i32_e64 s12, s18, v71
	v_dual_mul_f32 v83, s19, v128 :: v_dual_mul_f32 v84, s19, v127
	s_delay_alu instid0(VALU_DEP_4) | instskip(SKIP_1) | instid1(VALU_DEP_3)
	v_dual_mul_f32 v81, s19, v130 :: v_dual_mul_f32 v92, s19, v119
	v_mul_f32_e32 v82, s19, v129
	v_cndmask_b32_e64 v83, 0xff7fffff, v83, s3
	s_delay_alu instid0(VALU_DEP_4)
	v_cndmask_b32_e32 v84, 0xff7fffff, v84, vcc_lo
	v_dual_mul_f32 v79, s19, v132 :: v_dual_mul_f32 v90, s19, v121
	v_mul_f32_e32 v80, s19, v131
	v_cndmask_b32_e64 v82, 0xff7fffff, v82, s4
	v_cndmask_b32_e64 v81, 0xff7fffff, v81, s5
	v_max3_f32 v83, v84, 0xff7fffff, v83
	v_dual_mul_f32 v77, s19, v134 :: v_dual_mul_f32 v88, s19, v123
	v_mul_f32_e32 v78, s19, v133
	v_cndmask_b32_e64 v80, 0xff7fffff, v80, s6
	v_cndmask_b32_e64 v79, 0xff7fffff, v79, s7
	v_max3_f32 v81, v83, v82, v81
	v_mul_f32_e32 v91, s19, v120
	v_cndmask_b32_e64 v78, 0xff7fffff, v78, s8
	v_cndmask_b32_e64 v77, 0xff7fffff, v77, s9
	v_mul_f32_e32 v89, s19, v122
	v_max3_f32 v79, v81, v80, v79
	v_cndmask_b32_e64 v80, 0xff7fffff, v92, s10
	v_cndmask_b32_e64 v81, 0xff7fffff, v91, s11
	v_cmp_gt_i32_e64 s13, s18, v72
	v_or_b32_e32 v75, 28, v135
	v_max3_f32 v77, v79, v78, v77
	v_or_b32_e32 v76, 30, v135
	v_mul_f32_e32 v87, s19, v124
	v_cndmask_b32_e64 v71, 0xff7fffff, v90, s12
	v_cndmask_b32_e64 v72, 0xff7fffff, v89, s13
	v_max3_f32 v77, v77, v80, v81
	v_cmp_gt_i32_e64 s15, s18, v73
	v_cmp_gt_i32_e64 s16, s18, v74
	v_dual_mul_f32 v85, s19, v126 :: v_dual_mul_f32 v86, s19, v125
	s_delay_alu instid0(VALU_DEP_4) | instskip(NEXT) | instid1(VALU_DEP_4)
	v_max3_f32 v71, v77, v71, v72
	v_cndmask_b32_e64 v73, 0xff7fffff, v88, s15
	s_delay_alu instid0(VALU_DEP_4) | instskip(SKIP_2) | instid1(VALU_DEP_3)
	v_cndmask_b32_e64 v74, 0xff7fffff, v87, s16
	v_cmp_gt_i32_e64 s17, s18, v75
	v_cmp_gt_i32_e64 s18, s18, v76
	v_max3_f32 v71, v71, v73, v74
	s_delay_alu instid0(VALU_DEP_3) | instskip(NEXT) | instid1(VALU_DEP_3)
	v_cndmask_b32_e64 v72, 0xff7fffff, v86, s17
	v_cndmask_b32_e64 v75, 0xff7fffff, v85, s18
	v_lshlrev_b32_e32 v73, 2, v136
	s_delay_alu instid0(VALU_DEP_2) | instskip(SKIP_3) | instid1(VALU_DEP_1)
	v_max3_f32 v71, v71, v72, v75
	ds_bpermute_b32 v72, v73, v71
	s_waitcnt lgkmcnt(0)
	v_max_f32_e32 v72, v72, v72
	v_max_f32_e32 v71, v71, v72
	s_delay_alu instid0(VALU_DEP_1)
	v_fma_f32 v72, s19, v127, -v71
	v_fma_f32 v74, s19, v128, -v71
	v_fma_f32 v75, s19, v129, -v71
	v_fma_f32 v76, s19, v130, -v71
	v_fma_f32 v77, s19, v131, -v71
	v_mul_f32_e32 v72, 0x3fb8aa3b, v72
	v_mul_f32_e32 v74, 0x3fb8aa3b, v74
	v_fma_f32 v80, s19, v133, -v71
	s_delay_alu instid0(VALU_DEP_4) | instskip(NEXT) | instid1(VALU_DEP_4)
	v_dual_mul_f32 v76, 0x3fb8aa3b, v76 :: v_dual_mul_f32 v77, 0x3fb8aa3b, v77
	v_exp_f32_e32 v72, v72
	s_delay_alu instid0(VALU_DEP_3) | instskip(NEXT) | instid1(VALU_DEP_2)
	v_exp_f32_e32 v74, v74
	v_mul_f32_e32 v82, 0x3fb8aa3b, v80
	s_delay_alu instid0(VALU_DEP_2) | instskip(SKIP_1) | instid1(VALU_DEP_1)
	v_exp_f32_e32 v76, v76
	v_exp_f32_e32 v77, v77
	;; [unrolled: 1-line block ×3, first 2 shown]
	v_cndmask_b32_e32 v79, 0, v72, vcc_lo
	v_fma_f32 v72, s19, v132, -v71
	v_mul_f32_e32 v75, 0x3fb8aa3b, v75
	v_cndmask_b32_e64 v78, 0, v74, s3
	s_delay_alu instid0(TRANS32_DEP_3)
	v_cndmask_b32_e64 v80, 0, v76, s5
	v_add_f32_e32 v74, 0, v79
	v_mul_f32_e32 v72, 0x3fb8aa3b, v72
	v_exp_f32_e32 v75, v75
	v_cndmask_b32_e64 v83, 0, v77, s6
	v_cndmask_b32_e64 v85, 0, v84, s8
	v_add_f32_e32 v74, v74, v78
	v_exp_f32_e32 v72, v72
	v_cmp_gt_u32_e64 s3, 16, v70
	s_waitcnt_depctr 0xfff
	v_cndmask_b32_e64 v81, 0, v75, s4
	v_cndmask_b32_e64 v82, 0, v72, s7
	s_delay_alu instid0(VALU_DEP_2) | instskip(NEXT) | instid1(VALU_DEP_1)
	v_add_f32_e32 v74, v74, v81
	v_add_f32_e32 v74, v74, v80
	s_delay_alu instid0(VALU_DEP_1) | instskip(SKIP_4) | instid1(VALU_DEP_4)
	v_add_f32_e32 v72, v74, v83
	v_fma_f32 v75, s19, v134, -v71
	v_fma_f32 v76, s19, v119, -v71
	;; [unrolled: 1-line block ×4, first 2 shown]
	v_dual_add_f32 v72, v72, v82 :: v_dual_mul_f32 v75, 0x3fb8aa3b, v75
	s_delay_alu instid0(VALU_DEP_3) | instskip(SKIP_1) | instid1(VALU_DEP_3)
	v_dual_mul_f32 v76, 0x3fb8aa3b, v76 :: v_dual_mul_f32 v77, 0x3fb8aa3b, v77
	v_fma_f32 v86, s19, v122, -v71
	v_add_f32_e32 v72, v72, v85
	s_delay_alu instid0(VALU_DEP_4) | instskip(NEXT) | instid1(VALU_DEP_3)
	v_exp_f32_e32 v75, v75
	v_exp_f32_e32 v76, v76
	;; [unrolled: 1-line block ×3, first 2 shown]
	v_mul_f32_e32 v86, 0x3fb8aa3b, v86
	s_delay_alu instid0(VALU_DEP_1) | instskip(SKIP_3) | instid1(TRANS32_DEP_3)
	v_exp_f32_e32 v88, v86
	v_cndmask_b32_e64 v84, 0, v75, s9
	v_fma_f32 v75, s19, v123, -v71
	v_mul_f32_e32 v74, 0x3fb8aa3b, v74
	v_cndmask_b32_e64 v87, 0, v76, s10
	v_fma_f32 v76, s19, v124, -v71
	s_delay_alu instid0(VALU_DEP_4) | instskip(NEXT) | instid1(VALU_DEP_4)
	v_dual_add_f32 v72, v72, v84 :: v_dual_mul_f32 v75, 0x3fb8aa3b, v75
	v_exp_f32_e32 v74, v74
	v_cndmask_b32_e64 v86, 0, v77, s11
	v_fma_f32 v77, s19, v125, -v71
	s_delay_alu instid0(VALU_DEP_3) | instskip(SKIP_3) | instid1(VALU_DEP_3)
	v_add_f32_e32 v72, v72, v87
	v_mul_f32_e32 v76, 0x3fb8aa3b, v76
	v_exp_f32_e32 v75, v75
	v_cndmask_b32_e64 v88, 0, v88, s13
	v_add_f32_e32 v72, v72, v86
	s_delay_alu instid0(VALU_DEP_3) | instskip(NEXT) | instid1(TRANS32_DEP_3)
	v_exp_f32_e32 v76, v76
	v_cndmask_b32_e64 v89, 0, v74, s12
	v_mul_f32_e32 v74, 0x3fb8aa3b, v77
	v_fma_f32 v77, s19, v126, -v71
	s_delay_alu instid0(VALU_DEP_3) | instskip(NEXT) | instid1(VALU_DEP_3)
	v_add_f32_e32 v72, v72, v89
	v_exp_f32_e32 v74, v74
	s_delay_alu instid0(TRANS32_DEP_3) | instskip(NEXT) | instid1(VALU_DEP_3)
	v_cndmask_b32_e64 v91, 0, v75, s15
	v_mul_f32_e32 v75, 0x3fb8aa3b, v77
	s_delay_alu instid0(TRANS32_DEP_2) | instskip(SKIP_1) | instid1(VALU_DEP_3)
	v_cndmask_b32_e64 v90, 0, v76, s16
	v_add_f32_e32 v72, v72, v88
	v_exp_f32_e32 v75, v75
	s_delay_alu instid0(VALU_DEP_1) | instskip(NEXT) | instid1(TRANS32_DEP_2)
	v_add_f32_e32 v72, v72, v91
	v_cndmask_b32_e64 v93, 0, v74, s17
	s_delay_alu instid0(VALU_DEP_2) | instskip(SKIP_3) | instid1(VALU_DEP_1)
	v_add_f32_e32 v72, v72, v90
	s_waitcnt_depctr 0xfff
	v_cndmask_b32_e64 v92, 0, v75, s18
	v_add_f32_e32 v72, v72, v93
	v_add_f32_e32 v72, v72, v92
	ds_bpermute_b32 v73, v73, v72
	s_and_saveexec_b32 s4, s3
	s_cbranch_execz .LBB794_12
; %bb.11:
	v_mul_u32_u24_e32 v70, 0x44, v69
	s_waitcnt lgkmcnt(0)
	v_add_f32_e32 v72, v72, v73
	s_delay_alu instid0(VALU_DEP_2) | instskip(NEXT) | instid1(VALU_DEP_1)
	v_lshl_add_u32 v70, v68, 2, v70
	v_add_nc_u32_e32 v70, 0x4000, v70
	ds_store_2addr_b32 v70, v71, v72 offset1:136
.LBB794_12:
	s_or_b32 exec_lo, exec_lo, s4
	v_lshlrev_b32_e32 v70, 2, v68
	s_load_b32 s36, s[0:1], 0x94
	s_waitcnt lgkmcnt(0)
	s_barrier
	buffer_gl0_inv
	v_add_nc_u32_e32 v98, 0x4000, v70
	v_cmp_eq_u32_e32 vcc_lo, 1, v69
	v_cmp_eq_u32_e64 s4, 2, v69
	v_cmp_eq_u32_e64 s5, 3, v69
	;; [unrolled: 1-line block ×3, first 2 shown]
	ds_load_2addr_b32 v[70:71], v98 offset1:17
	ds_load_2addr_b32 v[72:73], v98 offset0:34 offset1:51
	ds_load_2addr_b32 v[74:75], v98 offset0:68 offset1:85
	;; [unrolled: 1-line block ×3, first 2 shown]
	v_cmp_eq_u32_e64 s7, 5, v69
	v_cmp_eq_u32_e64 s8, 7, v69
	s_waitcnt lgkmcnt(3)
	v_max3_f32 v76, v70, 0xff7fffff, v71
	s_waitcnt lgkmcnt(2)
	s_delay_alu instid0(VALU_DEP_1) | instskip(SKIP_1) | instid1(VALU_DEP_1)
	v_max3_f32 v76, v76, v72, v73
	s_waitcnt lgkmcnt(1)
	v_max3_f32 v76, v76, v74, v75
	s_waitcnt lgkmcnt(0)
	s_delay_alu instid0(VALU_DEP_1) | instskip(NEXT) | instid1(VALU_DEP_1)
	v_max3_f32 v76, v76, v94, v95
	v_sub_f32_e32 v77, v71, v76
	ds_load_2addr_b32 v[96:97], v98 offset0:136 offset1:153
	v_sub_f32_e32 v74, v74, v76
	v_sub_f32_e32 v70, v70, v76
	;; [unrolled: 1-line block ×3, first 2 shown]
	v_dual_sub_f32 v72, v72, v76 :: v_dual_mul_f32 v77, 0x3fb8aa3b, v77
	s_delay_alu instid0(VALU_DEP_4) | instskip(NEXT) | instid1(VALU_DEP_4)
	v_mul_f32_e32 v103, 0x3fb8aa3b, v74
	v_mul_f32_e32 v99, 0x3fb8aa3b, v70
	ds_load_2addr_b32 v[70:71], v98 offset0:170 offset1:187
	v_dual_mul_f32 v101, 0x3fb8aa3b, v72 :: v_dual_mul_f32 v94, 0x3fb8aa3b, v94
	v_exp_f32_e32 v102, v77
	v_exp_f32_e32 v99, v99
	s_delay_alu instid0(VALU_DEP_1) | instskip(NEXT) | instid1(VALU_DEP_1)
	v_exp_f32_e32 v101, v101
	v_exp_f32_e32 v94, v94
	s_waitcnt lgkmcnt(1)
	s_delay_alu instid0(TRANS32_DEP_3)
	v_fma_f32 v77, v99, v96, 0
	v_sub_f32_e32 v100, v73, v76
	ds_load_2addr_b32 v[72:73], v98 offset0:204 offset1:221
	v_fmac_f32_e32 v77, v102, v97
	v_exp_f32_e32 v97, v103
	s_waitcnt lgkmcnt(1)
	s_delay_alu instid0(VALU_DEP_1)
	v_dual_fmac_f32 v77, v101, v70 :: v_dual_sub_f32 v96, v75, v76
	ds_load_2addr_b32 v[74:75], v98 offset0:238 offset1:255
	v_sub_f32_e32 v70, v95, v76
	s_waitcnt lgkmcnt(0)
	s_barrier
	v_mul_f32_e32 v96, 0x3fb8aa3b, v96
	buffer_gl0_inv
	v_exp_f32_e32 v95, v96
	v_mul_f32_e32 v100, 0x3fb8aa3b, v100
	s_delay_alu instid0(VALU_DEP_1) | instskip(SKIP_3) | instid1(VALU_DEP_2)
	v_exp_f32_e32 v100, v100
	s_waitcnt_depctr 0xfff
	v_dual_fmac_f32 v77, v100, v71 :: v_dual_mul_f32 v70, 0x3fb8aa3b, v70
	v_cndmask_b32_e32 v71, v99, v102, vcc_lo
	v_fmac_f32_e32 v77, v97, v72
	s_delay_alu instid0(VALU_DEP_3) | instskip(NEXT) | instid1(VALU_DEP_1)
	v_exp_f32_e32 v96, v70
	v_fmac_f32_e32 v77, v95, v73
	s_delay_alu instid0(VALU_DEP_1) | instskip(SKIP_2) | instid1(VALU_DEP_1)
	v_fmac_f32_e32 v77, v94, v74
	s_waitcnt_depctr 0xfff
	v_fmac_f32_e32 v77, v96, v75
	v_add_f32_e32 v74, 0x358637bd, v77
	s_delay_alu instid0(VALU_DEP_1) | instskip(SKIP_1) | instid1(VALU_DEP_2)
	v_div_scale_f32 v98, null, v74, v74, 1.0
	v_div_scale_f32 v99, vcc_lo, 1.0, v74, 1.0
	v_rcp_f32_e32 v103, v98
	s_waitcnt_depctr 0xfff
	v_fma_f32 v70, -v98, v103, 1.0
	s_delay_alu instid0(VALU_DEP_1) | instskip(SKIP_2) | instid1(VALU_DEP_2)
	v_fmac_f32_e32 v103, v70, v103
	v_cndmask_b32_e64 v70, v71, v101, s4
	v_cmp_eq_u32_e64 s4, 6, v69
	v_cndmask_b32_e64 v71, v70, v100, s5
	s_delay_alu instid0(VALU_DEP_4) | instskip(NEXT) | instid1(VALU_DEP_2)
	v_dual_mul_f32 v101, v99, v103 :: v_dual_lshlrev_b32 v70, 2, v66
	v_cndmask_b32_e64 v71, v71, v97, s6
	s_delay_alu instid0(VALU_DEP_2) | instskip(NEXT) | instid1(VALU_DEP_3)
	v_or_b32_e32 v72, 1, v70
	v_fma_f32 v100, -v98, v101, v99
	v_cmp_eq_u32_e64 s5, 1, v70
	v_cmp_eq_u32_e64 s6, 2, v70
	v_cndmask_b32_e64 v95, v71, v95, s7
	v_or_b32_e32 v71, 3, v70
	v_fmac_f32_e32 v101, v100, v103
	v_cmp_eq_u32_e64 s10, 1, v72
	v_cmp_eq_u32_e64 s13, 2, v72
	v_cndmask_b32_e64 v94, v95, v94, s4
	v_cmp_eq_u32_e64 s12, 1, v71
	v_fma_f32 v97, -v98, v101, v99
	v_cmp_eq_u32_e64 s17, 2, v71
	v_cmp_eq_u32_e64 s15, 3, v72
	v_cndmask_b32_e64 v94, v94, v96, s8
	v_cmp_eq_u32_e64 s19, 3, v71
	v_div_fmas_f32 v95, v97, v103, v101
	v_cmp_eq_u32_e32 vcc_lo, 3, v70
	v_cmp_eq_u32_e64 s4, 4, v70
	v_cmp_eq_u32_e64 s20, 4, v72
	;; [unrolled: 1-line block ×3, first 2 shown]
	v_div_fixup_f32 v95, v95, v74, 1.0
	v_lshlrev_b32_e32 v73, 6, v68
	v_cmp_eq_u32_e64 s7, 5, v70
	v_cmp_eq_u32_e64 s21, 5, v72
	;; [unrolled: 1-line block ×3, first 2 shown]
	v_mul_f32_e32 v102, v94, v95
	v_lshl_or_b32 v75, v69, 11, v73
	v_or_b32_e32 v69, 2, v70
	v_cmp_eq_u32_e64 s26, 6, v72
	v_cmp_eq_u32_e64 s28, 6, v71
	v_fma_mixlo_f16 v94, v102, v79, 0
	v_fma_mixlo_f16 v95, v102, v81, 0
	;; [unrolled: 1-line block ×8, first 2 shown]
	v_lshl_or_b32 v74, v66, 4, v75
	v_fma_mixhi_f16 v94, v102, v78, 0
	v_fma_mixhi_f16 v95, v102, v80, 0
	v_fma_mixhi_f16 v96, v102, v82, 0
	v_fma_mixhi_f16 v97, v102, v84, 0
	v_fma_mixhi_f16 v98, v102, v86, 0
	v_fma_mixhi_f16 v99, v102, v88, 0
	v_fma_mixhi_f16 v100, v102, v90, 0
	v_fma_mixhi_f16 v101, v102, v92, 0
	ds_store_b128 v74, v[94:97]
	ds_store_b128 v74, v[98:101] offset:1024
	s_waitcnt lgkmcnt(0)
	s_barrier
	buffer_gl0_inv
	ds_load_b128 v[78:81], v75
	ds_load_b128 v[82:85], v75 offset:16
	ds_load_b128 v[86:89], v75 offset:1024
	;; [unrolled: 1-line block ×3, first 2 shown]
	v_cmp_eq_u32_e64 s11, 1, v69
	v_cmp_eq_u32_e64 s16, 2, v69
	;; [unrolled: 1-line block ×11, first 2 shown]
	s_waitcnt lgkmcnt(3)
	v_lshrrev_b32_e32 v94, 16, v78
	s_waitcnt lgkmcnt(2)
	v_lshrrev_b32_e32 v98, 16, v82
	;; [unrolled: 2-line block ×4, first 2 shown]
	v_lshrrev_b32_e32 v95, 16, v79
	v_cndmask_b32_e64 v110, v78, v94, s5
	v_cndmask_b32_e64 v111, v82, v98, s5
	;; [unrolled: 1-line block ×8, first 2 shown]
	v_lshrrev_b32_e32 v99, 16, v83
	v_cndmask_b32_e64 v94, v86, v102, s5
	v_cndmask_b32_e64 v98, v90, v106, s5
	;; [unrolled: 1-line block ×15, first 2 shown]
	v_lshrrev_b32_e32 v103, 16, v87
	v_lshrrev_b32_e32 v107, 16, v91
	v_cndmask_b32_e64 v113, v115, v83, s16
	v_cndmask_b32_e64 v82, v94, v87, s6
	;; [unrolled: 1-line block ×7, first 2 shown]
	v_cndmask_b32_e32 v90, v102, v95, vcc_lo
	v_cndmask_b32_e32 v102, v106, v99, vcc_lo
	v_cndmask_b32_e64 v106, v110, v95, s15
	v_cndmask_b32_e64 v110, v111, v99, s15
	v_cndmask_b32_e64 v78, v78, v95, s19
	v_cndmask_b32_e64 v79, v79, v99, s19
	v_lshrrev_b32_e32 v96, 16, v80
	v_lshrrev_b32_e32 v100, 16, v84
	v_cndmask_b32_e64 v111, v112, v95, s18
	v_cndmask_b32_e64 v112, v113, v99, s18
	v_cndmask_b32_e32 v82, v82, v103, vcc_lo
	v_cndmask_b32_e32 v83, v83, v107, vcc_lo
	v_cndmask_b32_e64 v94, v94, v103, s15
	v_cndmask_b32_e64 v90, v90, v80, s4
	;; [unrolled: 1-line block ×7, first 2 shown]
	v_lshrrev_b32_e32 v104, 16, v88
	v_cndmask_b32_e64 v106, v111, v80, s22
	v_cndmask_b32_e64 v110, v112, v84, s22
	;; [unrolled: 1-line block ×11, first 2 shown]
	v_lshrrev_b32_e32 v97, 16, v81
	v_lshrrev_b32_e32 v101, 16, v85
	v_cndmask_b32_e64 v99, v106, v96, s24
	v_cndmask_b32_e64 v102, v110, v100, s24
	v_cndmask_b32_e64 v83, v83, v104, s21
	v_cndmask_b32_e64 v94, v94, v81, s26
	v_cndmask_b32_e64 v95, v95, v85, s26
	v_cndmask_b32_e64 v78, v78, v81, s28
	v_cndmask_b32_e64 v79, v79, v85, s28
	v_lshrrev_b32_e32 v105, 16, v89
	v_cndmask_b32_e64 v80, v80, v104, s7
	v_cndmask_b32_e64 v84, v84, v81, s8
	;; [unrolled: 1-line block ×16, first 2 shown]
	v_perm_b32 v81, v79, v78, 0x5040100
	v_perm_b32 v79, v95, v85, 0x5040100
	v_cndmask_b32_e64 v78, v119, v91, s16
	v_cndmask_b32_e64 v85, v117, v91, s13
	;; [unrolled: 1-line block ×3, first 2 shown]
	v_perm_b32 v80, v94, v90, 0x5040100
	v_cndmask_b32_e64 v90, v98, v103, s18
	v_cndmask_b32_e64 v86, v86, v103, s19
	;; [unrolled: 1-line block ×5, first 2 shown]
	v_lshrrev_b32_e32 v108, 16, v92
	v_cndmask_b32_e64 v90, v90, v88, s22
	v_cndmask_b32_e64 v86, v86, v88, s23
	;; [unrolled: 1-line block ×11, first 2 shown]
	v_lshrrev_b32_e32 v109, 16, v93
	v_cndmask_b32_e64 v82, v82, v93, s8
	v_cndmask_b32_e64 v88, v88, v89, s27
	;; [unrolled: 1-line block ×12, first 2 shown]
	v_perm_b32 v78, v84, v83, 0x5040100
	v_perm_b32 v85, v87, v86, 0x5040100
	;; [unrolled: 1-line block ×5, first 2 shown]
	s_mul_i32 s9, s35, 5
	s_mov_b32 s4, exec_lo
	ds_store_b128 v74, v[78:81]
	ds_store_b128 v74, v[82:85] offset:1024
	v_cmpx_gt_u32_e32 5, v0
	s_cbranch_execz .LBB794_14
; %bb.13:
	s_mul_i32 s5, s9, s34
	s_load_b128 s[16:19], s[0:1], 0x58
	v_add3_u32 v68, s5, s33, v68
	s_delay_alu instid0(VALU_DEP_1) | instskip(NEXT) | instid1(VALU_DEP_1)
	v_mad_u64_u32 v[78:79], null, v68, s36, s[14:15]
	v_ashrrev_i32_e32 v79, 31, v78
	s_delay_alu instid0(VALU_DEP_1) | instskip(SKIP_1) | instid1(VALU_DEP_1)
	v_lshlrev_b64 v[78:79], 2, v[78:79]
	s_waitcnt lgkmcnt(0)
	v_add_co_u32 v80, vcc_lo, s18, v78
	s_delay_alu instid0(VALU_DEP_2)
	v_add_co_ci_u32_e32 v81, vcc_lo, s19, v79, vcc_lo
	v_add_co_u32 v78, vcc_lo, s16, v78
	v_add_co_ci_u32_e32 v79, vcc_lo, s17, v79, vcc_lo
	global_store_b32 v[80:81], v76, off
	global_store_b32 v[78:79], v77, off
.LBB794_14:
	s_or_b32 exec_lo, exec_lo, s4
	s_waitcnt lgkmcnt(0)
	s_waitcnt_vscnt null, 0x0
	s_barrier
	buffer_gl0_inv
	ds_load_b128 v[84:87], v73
	ds_load_b128 v[88:91], v73 offset:16
	ds_load_b128 v[96:99], v73 offset:2064
	;; [unrolled: 1-line block ×5, first 2 shown]
	v_cmp_eq_u32_e32 vcc_lo, 1, v70
	v_mov_b32_e32 v76, 0
	ds_load_b128 v[112:115], v73 offset:6160
	ds_load_b128 v[108:111], v73 offset:6144
	;; [unrolled: 1-line block ×4, first 2 shown]
	v_cmp_eq_u32_e64 s5, 1, v69
	v_cmp_eq_u32_e64 s4, 1, v72
	;; [unrolled: 1-line block ×3, first 2 shown]
	v_mov_b32_e32 v77, v76
	v_mov_b32_e32 v78, v76
	v_mov_b32_e32 v79, v76
	v_mov_b32_e32 v80, v76
	v_mov_b32_e32 v81, v76
	v_mov_b32_e32 v82, v76
	v_mov_b32_e32 v83, v76
	v_cmp_eq_u32_e64 s7, 3, v72
	v_cmp_eq_u32_e64 s8, 7, v72
	s_waitcnt lgkmcnt(8)
	s_delay_alu instid0(VALU_DEP_3)
	v_wmma_f32_16x16x16_f16 v[76:83], v[49:56], v[84:91], v[76:83]
	ds_load_b128 v[53:56], v73 offset:10256
	ds_load_b128 v[49:52], v73 offset:10240
	s_waitcnt lgkmcnt(8)
	v_wmma_f32_16x16x16_f16 v[76:83], v[41:48], v[92:99], v[76:83]
	ds_load_b128 v[45:48], v73 offset:12304
	ds_load_b128 v[41:44], v73 offset:12288
	s_waitcnt lgkmcnt(8)
	v_wmma_f32_16x16x16_f16 v[76:83], v[33:40], v[100:107], v[76:83]
	ds_load_b128 v[37:40], v73 offset:14352
	ds_load_b128 v[33:36], v73 offset:14336
	s_waitcnt lgkmcnt(0)
	s_barrier
	buffer_gl0_inv
	v_wmma_f32_16x16x16_f16 v[76:83], v[1:8], v[108:115], v[76:83]
	s_delay_alu instid0(VALU_DEP_1) | instskip(NEXT) | instid1(VALU_DEP_1)
	v_wmma_f32_16x16x16_f16 v[76:83], v[9:16], v[116:123], v[76:83]
	v_wmma_f32_16x16x16_f16 v[76:83], v[17:24], v[49:56], v[76:83]
	s_delay_alu instid0(VALU_DEP_1) | instskip(NEXT) | instid1(VALU_DEP_1)
	v_wmma_f32_16x16x16_f16 v[76:83], v[25:32], v[41:48], v[76:83]
	v_wmma_f32_16x16x16_f16 v[76:83], v[57:64], v[33:40], v[76:83]
	s_delay_alu instid0(VALU_DEP_1) | instskip(NEXT) | instid1(VALU_DEP_2)
	v_cvt_f16_f32_e32 v1, v76
	v_cvt_f16_f32_e32 v2, v77
	s_delay_alu instid0(VALU_DEP_3) | instskip(NEXT) | instid1(VALU_DEP_4)
	v_cvt_f16_f32_e32 v3, v78
	v_cvt_f16_f32_e32 v4, v79
	;; [unrolled: 1-line block ×6, first 2 shown]
	v_pack_b32_f16 v1, v1, v2
	v_pack_b32_f16 v2, v3, v4
	;; [unrolled: 1-line block ×3, first 2 shown]
	s_delay_alu instid0(VALU_DEP_4)
	v_pack_b32_f16 v4, v7, v8
	ds_store_b128 v74, v[1:4]
	s_waitcnt lgkmcnt(0)
	s_barrier
	buffer_gl0_inv
	ds_load_b128 v[1:4], v75
	ds_load_b128 v[5:8], v75 offset:16
	s_waitcnt lgkmcnt(1)
	v_lshrrev_b32_e32 v9, 16, v1
	s_waitcnt lgkmcnt(0)
	v_lshrrev_b32_e32 v13, 16, v5
	v_lshrrev_b32_e32 v10, 16, v2
	;; [unrolled: 1-line block ×4, first 2 shown]
	v_cndmask_b32_e32 v17, v1, v9, vcc_lo
	v_cndmask_b32_e32 v18, v5, v13, vcc_lo
	v_cndmask_b32_e64 v21, v1, v9, s5
	v_cmp_eq_u32_e32 vcc_lo, 1, v71
	v_cndmask_b32_e64 v22, v5, v13, s5
	v_cmp_eq_u32_e64 s5, 2, v70
	v_cndmask_b32_e64 v19, v1, v9, s4
	v_cndmask_b32_e64 v20, v5, v13, s4
	v_cndmask_b32_e32 v1, v1, v9, vcc_lo
	v_cmp_eq_u32_e64 s4, 2, v71
	v_cndmask_b32_e32 v5, v5, v13, vcc_lo
	v_cndmask_b32_e64 v9, v17, v2, s5
	v_cmp_eq_u32_e32 vcc_lo, 3, v70
	v_cndmask_b32_e64 v13, v18, v6, s5
	v_cmp_eq_u32_e64 s5, 2, v69
	v_cndmask_b32_e64 v17, v19, v2, s6
	v_cndmask_b32_e64 v18, v20, v6, s6
	v_cmp_eq_u32_e64 s6, 3, v69
	v_cndmask_b32_e64 v1, v1, v2, s4
	v_cndmask_b32_e64 v19, v21, v2, s5
	;; [unrolled: 1-line block ×4, first 2 shown]
	v_cndmask_b32_e32 v5, v9, v10, vcc_lo
	v_cndmask_b32_e32 v6, v13, v14, vcc_lo
	v_cmp_eq_u32_e32 vcc_lo, 3, v71
	v_cndmask_b32_e64 v9, v17, v10, s7
	v_cndmask_b32_e64 v13, v18, v14, s7
	;; [unrolled: 1-line block ×3, first 2 shown]
	v_cmp_eq_u32_e64 s5, 4, v70
	v_cndmask_b32_e32 v1, v1, v10, vcc_lo
	v_cndmask_b32_e32 v2, v2, v14, vcc_lo
	v_cmp_eq_u32_e32 vcc_lo, 4, v72
	v_lshrrev_b32_e32 v15, 16, v7
	v_lshrrev_b32_e32 v16, 16, v8
	v_cndmask_b32_e64 v17, v19, v10, s6
	v_cmp_eq_u32_e64 s4, 4, v71
	v_cndmask_b32_e64 v5, v5, v3, s5
	v_cndmask_b32_e64 v6, v6, v7, s5
	v_cndmask_b32_e32 v9, v9, v3, vcc_lo
	v_cmp_eq_u32_e64 s5, 5, v72
	v_cndmask_b32_e32 v10, v13, v7, vcc_lo
	v_cmp_eq_u32_e32 vcc_lo, 4, v69
	v_cmp_eq_u32_e64 s6, 5, v70
	v_cndmask_b32_e64 v2, v2, v7, s4
	v_cndmask_b32_e64 v9, v9, v11, s5
	;; [unrolled: 1-line block ×3, first 2 shown]
	v_cndmask_b32_e32 v13, v17, v3, vcc_lo
	v_cmp_eq_u32_e64 s5, 5, v69
	v_cndmask_b32_e32 v14, v18, v7, vcc_lo
	v_cndmask_b32_e64 v1, v1, v3, s4
	v_cmp_eq_u32_e32 vcc_lo, 5, v71
	v_lshrrev_b32_e32 v12, 16, v4
	v_cndmask_b32_e64 v13, v13, v11, s5
	v_cndmask_b32_e64 v3, v14, v15, s5
	v_cmp_eq_u32_e64 s5, 6, v71
	v_cndmask_b32_e32 v1, v1, v11, vcc_lo
	v_cndmask_b32_e64 v5, v5, v11, s6
	v_cmp_eq_u32_e64 s7, 6, v70
	v_cndmask_b32_e64 v6, v6, v15, s6
	v_cmp_eq_u32_e64 s6, 6, v72
	v_cmp_eq_u32_e64 s4, 6, v69
	v_cndmask_b32_e64 v1, v1, v4, s5
	v_cndmask_b32_e32 v2, v2, v15, vcc_lo
	v_cmp_eq_u32_e32 vcc_lo, 7, v71
	v_cndmask_b32_e64 v5, v5, v4, s7
	v_cndmask_b32_e64 v9, v9, v4, s6
	;; [unrolled: 1-line block ×3, first 2 shown]
	v_cmp_eq_u32_e64 s7, 7, v70
	v_cndmask_b32_e32 v1, v1, v12, vcc_lo
	v_cndmask_b32_e64 v7, v13, v4, s4
	v_cndmask_b32_e64 v3, v3, v8, s4
	;; [unrolled: 1-line block ×3, first 2 shown]
	v_cmp_eq_u32_e64 s4, 7, v69
	v_cndmask_b32_e64 v4, v10, v8, s6
	v_cndmask_b32_e64 v5, v5, v12, s7
	;; [unrolled: 1-line block ×3, first 2 shown]
	v_cndmask_b32_e32 v2, v2, v16, vcc_lo
	v_cndmask_b32_e64 v7, v7, v12, s4
	v_cndmask_b32_e64 v3, v3, v16, s4
	;; [unrolled: 1-line block ×4, first 2 shown]
	v_cmp_gt_u32_e32 vcc_lo, 32, v0
	v_perm_b32 v4, v2, v1, 0x5040100
	v_perm_b32 v3, v3, v7, 0x5040100
	;; [unrolled: 1-line block ×4, first 2 shown]
	s_and_b32 s2, vcc_lo, s2
	ds_store_b128 v74, v[1:4]
	s_waitcnt lgkmcnt(0)
	s_barrier
	buffer_gl0_inv
	s_and_saveexec_b32 s4, s2
	s_cbranch_execz .LBB794_2
; %bb.15:
	s_load_b64 s[4:5], s[0:1], 0x68
	v_lshlrev_b32_e32 v0, 10, v0
	v_add_nc_u32_e32 v2, s33, v66
	v_lshlrev_b32_e32 v3, 4, v67
	s_lshl_b32 s0, s36, 6
	s_delay_alu instid0(SALU_CYCLE_1) | instskip(NEXT) | instid1(VALU_DEP_2)
	s_mul_i32 s1, s0, s34
	v_mul_lo_u32 v1, v2, s0
	s_delay_alu instid0(VALU_DEP_2) | instskip(SKIP_2) | instid1(SALU_CYCLE_1)
	v_and_or_b32 v0, 0x3800, v0, v3
	v_add_nc_u32_e32 v2, 2, v2
	s_mul_i32 s6, s1, s9
	s_ashr_i32 s7, s6, 31
	s_delay_alu instid0(VALU_DEP_2)
	v_lshl_or_b32 v7, v66, 6, v0
	s_lshl_b64 s[6:7], s[6:7], 1
	v_mul_lo_u32 v11, v2, s0
	v_ashrrev_i32_e32 v2, 31, v1
	ds_load_b128 v[3:6], v7
	ds_load_b128 v[7:10], v7 offset:128
	s_waitcnt lgkmcnt(0)
	s_add_u32 s1, s4, s6
	s_addc_u32 s2, s5, s7
	s_lshl_b32 s4, s14, 6
	v_ashrrev_i32_e32 v12, 31, v11
	s_ashr_i32 s5, s4, 31
	v_lshlrev_b64 v[13:14], 1, v[1:2]
	s_lshl_b64 s[4:5], s[4:5], 1
	s_delay_alu instid0(SALU_CYCLE_1) | instskip(SKIP_2) | instid1(VALU_DEP_1)
	s_add_u32 s1, s1, s4
	s_addc_u32 s2, s2, s5
	v_add_co_u32 v1, s1, s1, v65
	v_add_co_ci_u32_e64 v2, null, s2, 0, s1
	v_lshlrev_b64 v[11:12], 1, v[11:12]
	s_delay_alu instid0(VALU_DEP_3) | instskip(NEXT) | instid1(VALU_DEP_3)
	v_add_co_u32 v13, vcc_lo, v1, v13
	v_add_co_ci_u32_e32 v14, vcc_lo, v2, v14, vcc_lo
	s_delay_alu instid0(VALU_DEP_3) | instskip(NEXT) | instid1(VALU_DEP_4)
	v_add_co_u32 v11, vcc_lo, v1, v11
	v_add_co_ci_u32_e32 v12, vcc_lo, v2, v12, vcc_lo
	s_clause 0x1
	global_store_b128 v[13:14], v[3:6], off
	global_store_b128 v[11:12], v[7:10], off
	s_and_b32 exec_lo, exec_lo, s3
	s_cbranch_execz .LBB794_2
; %bb.16:
	ds_load_b128 v[3:6], v0 offset:256
	s_add_i32 s1, s33, 4
	s_delay_alu instid0(SALU_CYCLE_1) | instskip(NEXT) | instid1(SALU_CYCLE_1)
	s_mul_i32 s0, s1, s0
	s_ashr_i32 s1, s0, 31
	s_delay_alu instid0(SALU_CYCLE_1) | instskip(NEXT) | instid1(SALU_CYCLE_1)
	s_lshl_b64 s[0:1], s[0:1], 1
	v_add_co_u32 v0, vcc_lo, v1, s0
	v_add_co_ci_u32_e32 v1, vcc_lo, s1, v2, vcc_lo
	s_waitcnt lgkmcnt(0)
	global_store_b128 v[0:1], v[3:6], off
	s_nop 0
	s_sendmsg sendmsg(MSG_DEALLOC_VGPRS)
	s_endpgm
	.section	.rodata,"a",@progbits
	.p2align	6, 0x0
	.amdhsa_kernel _Z39paged_attention_ll4mi_QKV_mfma16_kernelIDF16_hLN4vllm18Fp8KVCacheDataTypeE1EhLi16ELi64ELi256ELb0ELi5EL8MFMAType1EEvPKT_PKT0_S8_ifPKiSA_SA_iPKfiiiPfSD_PS3_PT2_iSC_SC_
		.amdhsa_group_segment_fixed_size 17472
		.amdhsa_private_segment_fixed_size 0
		.amdhsa_kernarg_size 400
		.amdhsa_user_sgpr_count 13
		.amdhsa_user_sgpr_dispatch_ptr 0
		.amdhsa_user_sgpr_queue_ptr 0
		.amdhsa_user_sgpr_kernarg_segment_ptr 1
		.amdhsa_user_sgpr_dispatch_id 0
		.amdhsa_user_sgpr_private_segment_size 0
		.amdhsa_wavefront_size32 1
		.amdhsa_uses_dynamic_stack 0
		.amdhsa_enable_private_segment 0
		.amdhsa_system_sgpr_workgroup_id_x 1
		.amdhsa_system_sgpr_workgroup_id_y 1
		.amdhsa_system_sgpr_workgroup_id_z 1
		.amdhsa_system_sgpr_workgroup_info 0
		.amdhsa_system_vgpr_workitem_id 0
		.amdhsa_next_free_vgpr 146
		.amdhsa_next_free_sgpr 37
		.amdhsa_reserve_vcc 1
		.amdhsa_float_round_mode_32 0
		.amdhsa_float_round_mode_16_64 0
		.amdhsa_float_denorm_mode_32 3
		.amdhsa_float_denorm_mode_16_64 3
		.amdhsa_dx10_clamp 1
		.amdhsa_ieee_mode 1
		.amdhsa_fp16_overflow 0
		.amdhsa_workgroup_processor_mode 1
		.amdhsa_memory_ordered 1
		.amdhsa_forward_progress 0
		.amdhsa_shared_vgpr_count 0
		.amdhsa_exception_fp_ieee_invalid_op 0
		.amdhsa_exception_fp_denorm_src 0
		.amdhsa_exception_fp_ieee_div_zero 0
		.amdhsa_exception_fp_ieee_overflow 0
		.amdhsa_exception_fp_ieee_underflow 0
		.amdhsa_exception_fp_ieee_inexact 0
		.amdhsa_exception_int_div_zero 0
	.end_amdhsa_kernel
	.section	.text._Z39paged_attention_ll4mi_QKV_mfma16_kernelIDF16_hLN4vllm18Fp8KVCacheDataTypeE1EhLi16ELi64ELi256ELb0ELi5EL8MFMAType1EEvPKT_PKT0_S8_ifPKiSA_SA_iPKfiiiPfSD_PS3_PT2_iSC_SC_,"axG",@progbits,_Z39paged_attention_ll4mi_QKV_mfma16_kernelIDF16_hLN4vllm18Fp8KVCacheDataTypeE1EhLi16ELi64ELi256ELb0ELi5EL8MFMAType1EEvPKT_PKT0_S8_ifPKiSA_SA_iPKfiiiPfSD_PS3_PT2_iSC_SC_,comdat
.Lfunc_end794:
	.size	_Z39paged_attention_ll4mi_QKV_mfma16_kernelIDF16_hLN4vllm18Fp8KVCacheDataTypeE1EhLi16ELi64ELi256ELb0ELi5EL8MFMAType1EEvPKT_PKT0_S8_ifPKiSA_SA_iPKfiiiPfSD_PS3_PT2_iSC_SC_, .Lfunc_end794-_Z39paged_attention_ll4mi_QKV_mfma16_kernelIDF16_hLN4vllm18Fp8KVCacheDataTypeE1EhLi16ELi64ELi256ELb0ELi5EL8MFMAType1EEvPKT_PKT0_S8_ifPKiSA_SA_iPKfiiiPfSD_PS3_PT2_iSC_SC_
                                        ; -- End function
	.section	.AMDGPU.csdata,"",@progbits
; Kernel info:
; codeLenInByte = 6484
; NumSgprs: 39
; NumVgprs: 146
; ScratchSize: 0
; MemoryBound: 0
; FloatMode: 240
; IeeeMode: 1
; LDSByteSize: 17472 bytes/workgroup (compile time only)
; SGPRBlocks: 4
; VGPRBlocks: 18
; NumSGPRsForWavesPerEU: 39
; NumVGPRsForWavesPerEU: 146
; Occupancy: 9
; WaveLimiterHint : 1
; COMPUTE_PGM_RSRC2:SCRATCH_EN: 0
; COMPUTE_PGM_RSRC2:USER_SGPR: 13
; COMPUTE_PGM_RSRC2:TRAP_HANDLER: 0
; COMPUTE_PGM_RSRC2:TGID_X_EN: 1
; COMPUTE_PGM_RSRC2:TGID_Y_EN: 1
; COMPUTE_PGM_RSRC2:TGID_Z_EN: 1
; COMPUTE_PGM_RSRC2:TIDIG_COMP_CNT: 0
	.section	.text._Z39paged_attention_ll4mi_QKV_mfma16_kernelIDF16_hLN4vllm18Fp8KVCacheDataTypeE1EhLi16ELi64ELi256ELb0ELi6EL8MFMAType1EEvPKT_PKT0_S8_ifPKiSA_SA_iPKfiiiPfSD_PS3_PT2_iSC_SC_,"axG",@progbits,_Z39paged_attention_ll4mi_QKV_mfma16_kernelIDF16_hLN4vllm18Fp8KVCacheDataTypeE1EhLi16ELi64ELi256ELb0ELi6EL8MFMAType1EEvPKT_PKT0_S8_ifPKiSA_SA_iPKfiiiPfSD_PS3_PT2_iSC_SC_,comdat
	.protected	_Z39paged_attention_ll4mi_QKV_mfma16_kernelIDF16_hLN4vllm18Fp8KVCacheDataTypeE1EhLi16ELi64ELi256ELb0ELi6EL8MFMAType1EEvPKT_PKT0_S8_ifPKiSA_SA_iPKfiiiPfSD_PS3_PT2_iSC_SC_ ; -- Begin function _Z39paged_attention_ll4mi_QKV_mfma16_kernelIDF16_hLN4vllm18Fp8KVCacheDataTypeE1EhLi16ELi64ELi256ELb0ELi6EL8MFMAType1EEvPKT_PKT0_S8_ifPKiSA_SA_iPKfiiiPfSD_PS3_PT2_iSC_SC_
	.globl	_Z39paged_attention_ll4mi_QKV_mfma16_kernelIDF16_hLN4vllm18Fp8KVCacheDataTypeE1EhLi16ELi64ELi256ELb0ELi6EL8MFMAType1EEvPKT_PKT0_S8_ifPKiSA_SA_iPKfiiiPfSD_PS3_PT2_iSC_SC_
	.p2align	8
	.type	_Z39paged_attention_ll4mi_QKV_mfma16_kernelIDF16_hLN4vllm18Fp8KVCacheDataTypeE1EhLi16ELi64ELi256ELb0ELi6EL8MFMAType1EEvPKT_PKT0_S8_ifPKiSA_SA_iPKfiiiPfSD_PS3_PT2_iSC_SC_,@function
_Z39paged_attention_ll4mi_QKV_mfma16_kernelIDF16_hLN4vllm18Fp8KVCacheDataTypeE1EhLi16ELi64ELi256ELb0ELi6EL8MFMAType1EEvPKT_PKT0_S8_ifPKiSA_SA_iPKfiiiPfSD_PS3_PT2_iSC_SC_: ; @_Z39paged_attention_ll4mi_QKV_mfma16_kernelIDF16_hLN4vllm18Fp8KVCacheDataTypeE1EhLi16ELi64ELi256ELb0ELi6EL8MFMAType1EEvPKT_PKT0_S8_ifPKiSA_SA_iPKfiiiPfSD_PS3_PT2_iSC_SC_
; %bb.0:
	s_load_b64 s[2:3], s[0:1], 0x30
	s_mov_b32 s34, s13
	s_waitcnt lgkmcnt(0)
	s_cmp_lg_u64 s[2:3], 0
	s_cselect_b32 s6, -1, 0
	s_ashr_i32 s35, s13, 31
	s_cmp_eq_u64 s[2:3], 0
	s_cbranch_scc1 .LBB795_3
; %bb.1:
	s_lshl_b64 s[4:5], s[34:35], 2
	s_delay_alu instid0(SALU_CYCLE_1) | instskip(SKIP_4) | instid1(SALU_CYCLE_1)
	s_add_u32 s4, s2, s4
	s_addc_u32 s5, s3, s5
	s_load_b64 s[4:5], s[4:5], 0x0
	s_waitcnt lgkmcnt(0)
	s_sub_i32 s4, s5, s4
	s_cmp_eq_u32 s4, 1
	s_cselect_b32 s4, -1, 0
	s_delay_alu instid0(SALU_CYCLE_1)
	s_and_not1_b32 vcc_lo, exec_lo, s4
	s_cbranch_vccz .LBB795_4
.LBB795_2:
	s_endpgm
.LBB795_3:
.LBB795_4:
	s_load_b64 s[8:9], s[0:1], 0x28
	s_lshl_b64 s[4:5], s[34:35], 2
	s_waitcnt lgkmcnt(0)
	s_add_u32 s8, s8, s4
	s_addc_u32 s9, s9, s5
	s_lshl_b32 s16, s14, 8
	s_load_b32 s18, s[8:9], 0x0
	s_waitcnt lgkmcnt(0)
	s_cmp_ge_i32 s16, s18
	s_cbranch_scc1 .LBB795_2
; %bb.5:
	s_clause 0x1
	s_load_b128 s[8:11], s[0:1], 0x8
	s_load_b64 s[12:13], s[0:1], 0x20
	s_and_not1_b32 vcc_lo, exec_lo, s6
	s_cbranch_vccnz .LBB795_7
; %bb.6:
	s_add_u32 s2, s2, s4
	s_addc_u32 s3, s3, s5
	s_load_b32 s3, s[2:3], 0x0
	s_branch .LBB795_8
.LBB795_7:
	s_mov_b32 s3, s34
.LBB795_8:
	s_load_b128 s[4:7], s[0:1], 0x48
	v_and_b32_e32 v68, 15, v0
	v_cmp_gt_u32_e32 vcc_lo, 0x60, v0
	v_lshrrev_b32_e32 v69, 5, v0
	v_and_b32_e32 v70, 31, v0
	v_and_b32_e32 v67, 1, v0
	v_lshlrev_b32_e32 v1, 3, v68
	v_cmp_gt_u32_e64 s2, 8, v68
	v_bfe_u32 v66, v0, 4, 1
	s_mul_i32 s31, s15, 6
	s_delay_alu instid0(VALU_DEP_3) | instskip(NEXT) | instid1(VALU_DEP_3)
	v_lshlrev_b32_e32 v65, 1, v1
	s_and_b32 s17, vcc_lo, s2
	s_waitcnt lgkmcnt(0)
	s_and_saveexec_b32 s7, s17
	s_cbranch_execz .LBB795_10
; %bb.9:
	s_load_b64 s[20:21], s[0:1], 0x0
	v_lshl_or_b32 v5, v69, 1, v66
	s_mul_hi_i32 s23, s3, s4
	s_mul_i32 s22, s3, s4
	v_lshlrev_b32_e32 v6, 10, v68
	s_lshl_b64 s[22:23], s[22:23], 1
	v_add_lshl_u32 v1, v5, s31, 6
	v_lshlrev_b32_e32 v5, 6, v5
	v_lshlrev_b32_e32 v7, 10, v67
	v_and_b32_e32 v6, 0x3800, v6
	s_delay_alu instid0(VALU_DEP_4) | instskip(NEXT) | instid1(VALU_DEP_2)
	v_ashrrev_i32_e32 v2, 31, v1
	v_or3_b32 v5, v6, v7, v5
	s_delay_alu instid0(VALU_DEP_2) | instskip(SKIP_3) | instid1(VALU_DEP_1)
	v_lshlrev_b64 v[1:2], 1, v[1:2]
	s_waitcnt lgkmcnt(0)
	s_add_u32 s3, s20, s22
	s_addc_u32 s4, s21, s23
	v_add_co_u32 v1, vcc_lo, s3, v1
	s_delay_alu instid0(VALU_DEP_2) | instskip(NEXT) | instid1(VALU_DEP_2)
	v_add_co_ci_u32_e32 v2, vcc_lo, s4, v2, vcc_lo
	v_add_co_u32 v1, vcc_lo, v1, v65
	s_delay_alu instid0(VALU_DEP_2)
	v_add_co_ci_u32_e32 v2, vcc_lo, 0, v2, vcc_lo
	global_load_b128 v[1:4], v[1:2], off
	s_waitcnt vmcnt(0)
	ds_store_b128 v5, v[1:4]
.LBB795_10:
	s_or_b32 exec_lo, exec_lo, s7
	v_and_b32_e32 v1, 0xef, v0
	s_add_i32 s3, s18, 15
	s_clause 0x1
	s_load_b32 s4, s[0:1], 0x38
	s_load_b32 s33, s[0:1], 0x98
	s_ashr_i32 s7, s3, 31
	v_add_nc_u32_e32 v1, s16, v1
	s_lshr_b32 s7, s7, 28
	s_load_b32 s19, s[0:1], 0x1c
	s_add_i32 s3, s3, s7
	s_waitcnt lgkmcnt(0)
	v_ashrrev_i32_e32 v2, 31, v1
	v_or_b32_e32 v3, 16, v1
	s_ashr_i32 s3, s3, 4
	v_cmp_gt_i32_e32 vcc_lo, s18, v1
	s_add_i32 s3, s3, -1
	v_lshrrev_b32_e32 v2, 28, v2
	s_barrier
	buffer_gl0_inv
	s_mul_i32 s15, s15, s6
	v_mul_lo_u16 v103, v68, 43
	v_add_nc_u32_e32 v4, v1, v2
	v_mbcnt_lo_u32_b32 v127, -1, 0
	s_mul_i32 s20, s34, s4
	s_delay_alu instid0(SALU_CYCLE_1) | instskip(NEXT) | instid1(VALU_DEP_2)
	s_ashr_i32 s21, s20, 31
	v_ashrrev_i32_e32 v4, 4, v4
	v_add_nc_u32_e32 v2, v3, v2
	s_lshl_b64 s[20:21], s[20:21], 2
	v_lshrrev_b16 v103, 8, v103
	s_add_u32 s17, s12, s20
	v_cndmask_b32_e32 v1, s3, v4, vcc_lo
	v_ashrrev_i32_e32 v2, 4, v2
	v_cmp_gt_i32_e32 vcc_lo, s18, v3
	s_addc_u32 s13, s13, s21
	s_ashr_i32 s20, s15, 31
	s_add_u32 s4, s8, s15
	s_addc_u32 s12, s9, s20
	v_cndmask_b32_e32 v3, s3, v2, vcc_lo
	v_ashrrev_i32_e32 v2, 31, v1
	s_lshl_b32 s6, s14, 4
	v_mul_lo_u16 v103, v103, 6
	s_ashr_i32 s7, s6, 31
	v_ashrrev_i32_e32 v4, 31, v3
	v_lshlrev_b64 v[1:2], 2, v[1:2]
	s_lshl_b64 s[6:7], s[6:7], 2
	v_sub_nc_u16 v103, v68, v103
	s_add_u32 s6, s17, s6
	v_lshlrev_b64 v[3:4], 2, v[3:4]
	s_addc_u32 s7, s13, s7
	v_add_co_u32 v1, vcc_lo, s17, v1
	v_add_co_ci_u32_e32 v2, vcc_lo, s13, v2, vcc_lo
	s_delay_alu instid0(VALU_DEP_3) | instskip(NEXT) | instid1(VALU_DEP_4)
	v_add_co_u32 v3, vcc_lo, s17, v3
	v_add_co_ci_u32_e32 v4, vcc_lo, s13, v4, vcc_lo
	s_clause 0x1
	global_load_b32 v5, v[1:2], off
	global_load_b32 v7, v[3:4], off
	s_or_b32 s8, s16, 32
	v_lshlrev_b32_e32 v1, 4, v0
	s_ashr_i32 s9, s8, 4
	s_cmp_lt_i32 s8, s18
	v_xor_b32_e32 v128, 16, v127
	s_cselect_b32 s8, s9, s3
	v_and_b32_e32 v1, 0xf0, v1
	s_ashr_i32 s9, s8, 31
	s_delay_alu instid0(SALU_CYCLE_1)
	s_lshl_b64 s[8:9], s[8:9], 2
	v_cmp_gt_i32_e32 vcc_lo, 32, v128
	s_add_u32 s8, s17, s8
	s_addc_u32 s9, s13, s9
	s_or_b32 s21, s16, 64
	v_add_co_u32 v1, s4, s4, v1
	s_ashr_i32 s22, s21, 4
	s_cmp_lt_i32 s21, s18
	v_add_co_ci_u32_e64 v2, null, s12, 0, s4
	s_cselect_b32 s22, s22, s3
	v_dual_cndmask_b32 v136, v127, v128 :: v_dual_and_b32 v103, 0xff, v103
	s_ashr_i32 s23, s22, 31
	s_delay_alu instid0(SALU_CYCLE_1) | instskip(NEXT) | instid1(VALU_DEP_1)
	s_lshl_b64 s[22:23], s[22:23], 2
	v_lshlrev_b32_e32 v115, 6, v103
	s_add_u32 s22, s17, s22
	s_addc_u32 s23, s13, s23
	s_or_b32 s21, s16, 0x60
	s_delay_alu instid0(SALU_CYCLE_1) | instskip(SKIP_2) | instid1(SALU_CYCLE_1)
	s_ashr_i32 s24, s21, 4
	s_cmp_lt_i32 s21, s18
	s_cselect_b32 s24, s24, s3
	s_ashr_i32 s25, s24, 31
	s_delay_alu instid0(SALU_CYCLE_1) | instskip(NEXT) | instid1(SALU_CYCLE_1)
	s_lshl_b64 s[24:25], s[24:25], 2
	s_add_u32 s24, s17, s24
	s_addc_u32 s25, s13, s25
	s_or_b32 s21, s16, 0x80
	s_delay_alu instid0(SALU_CYCLE_1) | instskip(SKIP_2) | instid1(SALU_CYCLE_1)
	s_ashr_i32 s26, s21, 4
	s_cmp_lt_i32 s21, s18
	s_cselect_b32 s26, s26, s3
	s_ashr_i32 s27, s26, 31
	s_delay_alu instid0(SALU_CYCLE_1) | instskip(NEXT) | instid1(SALU_CYCLE_1)
	s_lshl_b64 s[26:27], s[26:27], 2
	;; [unrolled: 10-line block ×3, first 2 shown]
	s_add_u32 s28, s17, s28
	s_addc_u32 s29, s13, s29
	s_clause 0x5
	s_load_b32 s12, s[6:7], 0x0
	s_load_b32 s4, s[8:9], 0x0
	;; [unrolled: 1-line block ×6, first 2 shown]
	s_or_b32 s21, s16, 0xc0
	s_delay_alu instid0(SALU_CYCLE_1) | instskip(SKIP_2) | instid1(SALU_CYCLE_1)
	s_ashr_i32 s22, s21, 4
	s_cmp_lt_i32 s21, s18
	s_cselect_b32 s22, s22, s3
	s_ashr_i32 s23, s22, 31
	s_delay_alu instid0(SALU_CYCLE_1) | instskip(NEXT) | instid1(SALU_CYCLE_1)
	s_lshl_b64 s[22:23], s[22:23], 2
	s_add_u32 s22, s17, s22
	s_addc_u32 s23, s13, s23
	s_or_b32 s21, s16, 0xe0
	s_delay_alu instid0(SALU_CYCLE_1) | instskip(SKIP_2) | instid1(SALU_CYCLE_1)
	s_ashr_i32 s24, s21, 4
	s_cmp_lt_i32 s21, s18
	s_cselect_b32 s24, s24, s3
	s_ashr_i32 s25, s24, 31
	s_delay_alu instid0(SALU_CYCLE_1)
	s_lshl_b64 s[24:25], s[24:25], 2
	s_waitcnt vmcnt(1)
	v_mad_i64_i32 v[3:4], null, v5, s5, v[1:2]
	s_waitcnt vmcnt(0)
	v_mad_i64_i32 v[5:6], null, v7, s5, v[1:2]
	v_lshlrev_b32_e32 v1, 4, v68
	s_clause 0x7
	global_load_b128 v[71:74], v[3:4], off
	global_load_b128 v[75:78], v[3:4], off offset:256
	global_load_b128 v[79:82], v[5:6], off
	global_load_b128 v[83:86], v[5:6], off offset:256
	global_load_b128 v[87:90], v[3:4], off offset:512
	;; [unrolled: 1-line block ×5, first 2 shown]
	v_lshl_or_b32 v1, v69, 8, v1
	s_load_b32 s3, s[22:23], 0x0
	s_add_u32 s22, s17, s24
	s_addc_u32 s23, s13, s25
	s_add_u32 s10, s10, s15
	s_addc_u32 s11, s11, s20
	v_add_co_u32 v1, s10, s10, v1
	s_delay_alu instid0(VALU_DEP_1) | instskip(SKIP_2) | instid1(VALU_DEP_1)
	v_add_co_ci_u32_e64 v2, null, s11, 0, s10
	s_load_b32 s10, s[22:23], 0x0
	s_waitcnt lgkmcnt(0)
	v_mad_i64_i32 v[3:4], null, s12, s5, v[1:2]
	v_mad_i64_i32 v[9:10], null, s7, s5, v[1:2]
	v_mad_i64_i32 v[5:6], null, s4, s5, v[1:2]
	v_mad_i64_i32 v[13:14], null, s8, s5, v[1:2]
	v_mad_i64_i32 v[7:8], null, s6, s5, v[1:2]
	v_mad_i64_i32 v[21:22], null, s9, s5, v[1:2]
	v_mad_i64_i32 v[29:30], null, s3, s5, v[1:2]
	s_clause 0x5
	global_load_b128 v[49:52], v[3:4], off
	global_load_b128 v[53:56], v[3:4], off offset:16
	global_load_b128 v[41:44], v[5:6], off
	global_load_b128 v[45:48], v[5:6], off offset:16
	;; [unrolled: 2-line block ×3, first 2 shown]
	s_mov_b32 s4, 0
	v_mad_i64_i32 v[61:62], null, s10, s5, v[1:2]
	s_clause 0x9
	global_load_b128 v[1:4], v[9:10], off
	global_load_b128 v[5:8], v[9:10], off offset:16
	global_load_b128 v[9:12], v[13:14], off
	global_load_b128 v[13:16], v[13:14], off offset:16
	global_load_b128 v[17:20], v[21:22], off
	global_load_b128 v[21:24], v[21:22], off offset:16
	global_load_b128 v[25:28], v[29:30], off
	global_load_b128 v[29:32], v[29:30], off offset:16
	global_load_b128 v[57:60], v[61:62], off
	global_load_b128 v[61:64], v[61:62], off offset:16
	s_mov_b32 s5, s4
	s_mov_b32 s6, s4
	;; [unrolled: 1-line block ×7, first 2 shown]
	v_and_b32_e32 v104, 0xe0, v0
	v_dual_mov_b32 v126, s11 :: v_dual_mov_b32 v123, s8
	v_dual_mov_b32 v125, s10 :: v_dual_mov_b32 v124, s9
	s_delay_alu instid0(VALU_DEP_3)
	v_add_nc_u32_e32 v111, s16, v104
	ds_load_b128 v[103:106], v115
	ds_load_b128 v[107:110], v115 offset:1024
	v_dual_mov_b32 v122, s7 :: v_dual_mov_b32 v121, s6
	v_mov_b32_e32 v120, s5
	v_or_b32_e32 v135, v111, v66
	ds_load_b128 v[111:114], v115 offset:2048
	ds_load_b128 v[115:118], v115 offset:3072
	v_mov_b32_e32 v119, s4
	s_waitcnt vmcnt(0) lgkmcnt(0)
	s_barrier
	v_or_b32_e32 v137, 2, v135
	v_or_b32_e32 v138, 4, v135
	v_or_b32_e32 v139, 6, v135
	v_cmp_gt_i32_e32 vcc_lo, s18, v135
	v_or_b32_e32 v140, 8, v135
	v_cmp_gt_i32_e64 s3, s18, v137
	v_or_b32_e32 v141, 10, v135
	v_cmp_gt_i32_e64 s4, s18, v138
	v_cmp_gt_i32_e64 s5, s18, v139
	v_or_b32_e32 v142, 12, v135
	v_or_b32_e32 v143, 14, v135
	v_cmp_gt_i32_e64 s6, s18, v140
	v_cmp_gt_i32_e64 s7, s18, v141
	v_or_b32_e32 v144, 16, v135
	v_or_b32_e32 v145, 18, v135
	v_cmp_gt_i32_e64 s8, s18, v142
	v_cmp_gt_i32_e64 s9, s18, v143
	buffer_gl0_inv
	v_cmp_gt_i32_e64 s10, s18, v144
	v_cmp_gt_i32_e64 s11, s18, v145
	v_wmma_f32_16x16x16_f16 v[127:134], v[71:78], v[103:110], v[119:126]
	v_wmma_f32_16x16x16_f16 v[119:126], v[79:86], v[103:110], v[119:126]
	v_or_b32_e32 v71, 20, v135
	v_or_b32_e32 v72, 22, v135
	s_delay_alu instid0(VALU_DEP_4)
	v_wmma_f32_16x16x16_f16 v[127:134], v[87:94], v[111:118], v[127:134]
	v_or_b32_e32 v73, 24, v135
	v_wmma_f32_16x16x16_f16 v[119:126], v[95:102], v[111:118], v[119:126]
	v_or_b32_e32 v74, 26, v135
	v_cmp_gt_i32_e64 s12, s18, v71
	v_dual_mul_f32 v83, s19, v128 :: v_dual_mul_f32 v84, s19, v127
	s_delay_alu instid0(VALU_DEP_4) | instskip(SKIP_1) | instid1(VALU_DEP_3)
	v_dual_mul_f32 v81, s19, v130 :: v_dual_mul_f32 v92, s19, v119
	v_mul_f32_e32 v82, s19, v129
	v_cndmask_b32_e64 v83, 0xff7fffff, v83, s3
	s_delay_alu instid0(VALU_DEP_4)
	v_cndmask_b32_e32 v84, 0xff7fffff, v84, vcc_lo
	v_dual_mul_f32 v79, s19, v132 :: v_dual_mul_f32 v90, s19, v121
	v_mul_f32_e32 v80, s19, v131
	v_cndmask_b32_e64 v82, 0xff7fffff, v82, s4
	v_cndmask_b32_e64 v81, 0xff7fffff, v81, s5
	v_max3_f32 v83, v84, 0xff7fffff, v83
	v_dual_mul_f32 v77, s19, v134 :: v_dual_mul_f32 v88, s19, v123
	v_mul_f32_e32 v78, s19, v133
	v_cndmask_b32_e64 v80, 0xff7fffff, v80, s6
	v_cndmask_b32_e64 v79, 0xff7fffff, v79, s7
	v_max3_f32 v81, v83, v82, v81
	v_mul_f32_e32 v91, s19, v120
	v_cndmask_b32_e64 v78, 0xff7fffff, v78, s8
	v_cndmask_b32_e64 v77, 0xff7fffff, v77, s9
	v_mul_f32_e32 v89, s19, v122
	v_max3_f32 v79, v81, v80, v79
	v_cndmask_b32_e64 v80, 0xff7fffff, v92, s10
	v_cndmask_b32_e64 v81, 0xff7fffff, v91, s11
	v_cmp_gt_i32_e64 s13, s18, v72
	v_or_b32_e32 v75, 28, v135
	v_max3_f32 v77, v79, v78, v77
	v_or_b32_e32 v76, 30, v135
	v_mul_f32_e32 v87, s19, v124
	v_cndmask_b32_e64 v71, 0xff7fffff, v90, s12
	v_cndmask_b32_e64 v72, 0xff7fffff, v89, s13
	v_max3_f32 v77, v77, v80, v81
	v_cmp_gt_i32_e64 s15, s18, v73
	v_cmp_gt_i32_e64 s16, s18, v74
	v_dual_mul_f32 v85, s19, v126 :: v_dual_mul_f32 v86, s19, v125
	s_delay_alu instid0(VALU_DEP_4) | instskip(NEXT) | instid1(VALU_DEP_4)
	v_max3_f32 v71, v77, v71, v72
	v_cndmask_b32_e64 v73, 0xff7fffff, v88, s15
	s_delay_alu instid0(VALU_DEP_4) | instskip(SKIP_2) | instid1(VALU_DEP_3)
	v_cndmask_b32_e64 v74, 0xff7fffff, v87, s16
	v_cmp_gt_i32_e64 s17, s18, v75
	v_cmp_gt_i32_e64 s18, s18, v76
	v_max3_f32 v71, v71, v73, v74
	s_delay_alu instid0(VALU_DEP_3) | instskip(NEXT) | instid1(VALU_DEP_3)
	v_cndmask_b32_e64 v72, 0xff7fffff, v86, s17
	v_cndmask_b32_e64 v75, 0xff7fffff, v85, s18
	v_lshlrev_b32_e32 v73, 2, v136
	s_delay_alu instid0(VALU_DEP_2) | instskip(SKIP_3) | instid1(VALU_DEP_1)
	v_max3_f32 v71, v71, v72, v75
	ds_bpermute_b32 v72, v73, v71
	s_waitcnt lgkmcnt(0)
	v_max_f32_e32 v72, v72, v72
	v_max_f32_e32 v71, v71, v72
	s_delay_alu instid0(VALU_DEP_1)
	v_fma_f32 v72, s19, v127, -v71
	v_fma_f32 v74, s19, v128, -v71
	;; [unrolled: 1-line block ×5, first 2 shown]
	v_mul_f32_e32 v72, 0x3fb8aa3b, v72
	v_mul_f32_e32 v74, 0x3fb8aa3b, v74
	v_fma_f32 v80, s19, v133, -v71
	s_delay_alu instid0(VALU_DEP_4) | instskip(NEXT) | instid1(VALU_DEP_4)
	v_dual_mul_f32 v76, 0x3fb8aa3b, v76 :: v_dual_mul_f32 v77, 0x3fb8aa3b, v77
	v_exp_f32_e32 v72, v72
	s_delay_alu instid0(VALU_DEP_3) | instskip(NEXT) | instid1(VALU_DEP_2)
	v_exp_f32_e32 v74, v74
	v_mul_f32_e32 v82, 0x3fb8aa3b, v80
	s_delay_alu instid0(VALU_DEP_2) | instskip(SKIP_1) | instid1(VALU_DEP_1)
	v_exp_f32_e32 v76, v76
	v_exp_f32_e32 v77, v77
	;; [unrolled: 1-line block ×3, first 2 shown]
	v_cndmask_b32_e32 v79, 0, v72, vcc_lo
	v_fma_f32 v72, s19, v132, -v71
	v_mul_f32_e32 v75, 0x3fb8aa3b, v75
	v_cndmask_b32_e64 v78, 0, v74, s3
	s_delay_alu instid0(TRANS32_DEP_3)
	v_cndmask_b32_e64 v80, 0, v76, s5
	v_add_f32_e32 v74, 0, v79
	v_mul_f32_e32 v72, 0x3fb8aa3b, v72
	v_exp_f32_e32 v75, v75
	v_cndmask_b32_e64 v83, 0, v77, s6
	v_cndmask_b32_e64 v85, 0, v84, s8
	v_add_f32_e32 v74, v74, v78
	v_exp_f32_e32 v72, v72
	s_mov_b32 s3, exec_lo
	s_waitcnt_depctr 0xfff
	v_cndmask_b32_e64 v81, 0, v75, s4
	v_cndmask_b32_e64 v82, 0, v72, s7
	s_delay_alu instid0(VALU_DEP_2) | instskip(NEXT) | instid1(VALU_DEP_1)
	v_add_f32_e32 v74, v74, v81
	v_add_f32_e32 v74, v74, v80
	s_delay_alu instid0(VALU_DEP_1) | instskip(SKIP_4) | instid1(VALU_DEP_4)
	v_add_f32_e32 v72, v74, v83
	v_fma_f32 v75, s19, v134, -v71
	v_fma_f32 v76, s19, v119, -v71
	;; [unrolled: 1-line block ×4, first 2 shown]
	v_dual_add_f32 v72, v72, v82 :: v_dual_mul_f32 v75, 0x3fb8aa3b, v75
	s_delay_alu instid0(VALU_DEP_3) | instskip(SKIP_1) | instid1(VALU_DEP_3)
	v_dual_mul_f32 v76, 0x3fb8aa3b, v76 :: v_dual_mul_f32 v77, 0x3fb8aa3b, v77
	v_fma_f32 v86, s19, v122, -v71
	v_add_f32_e32 v72, v72, v85
	s_delay_alu instid0(VALU_DEP_4) | instskip(NEXT) | instid1(VALU_DEP_3)
	v_exp_f32_e32 v75, v75
	v_exp_f32_e32 v76, v76
	;; [unrolled: 1-line block ×3, first 2 shown]
	v_mul_f32_e32 v86, 0x3fb8aa3b, v86
	s_delay_alu instid0(VALU_DEP_1) | instskip(SKIP_3) | instid1(TRANS32_DEP_3)
	v_exp_f32_e32 v88, v86
	v_cndmask_b32_e64 v84, 0, v75, s9
	v_fma_f32 v75, s19, v123, -v71
	v_mul_f32_e32 v74, 0x3fb8aa3b, v74
	v_cndmask_b32_e64 v87, 0, v76, s10
	v_fma_f32 v76, s19, v124, -v71
	s_delay_alu instid0(VALU_DEP_4) | instskip(NEXT) | instid1(VALU_DEP_4)
	v_dual_add_f32 v72, v72, v84 :: v_dual_mul_f32 v75, 0x3fb8aa3b, v75
	v_exp_f32_e32 v74, v74
	v_cndmask_b32_e64 v86, 0, v77, s11
	v_fma_f32 v77, s19, v125, -v71
	s_delay_alu instid0(VALU_DEP_3) | instskip(SKIP_3) | instid1(VALU_DEP_3)
	v_add_f32_e32 v72, v72, v87
	v_mul_f32_e32 v76, 0x3fb8aa3b, v76
	v_exp_f32_e32 v75, v75
	v_cndmask_b32_e64 v88, 0, v88, s13
	v_add_f32_e32 v72, v72, v86
	s_delay_alu instid0(VALU_DEP_3) | instskip(NEXT) | instid1(TRANS32_DEP_3)
	v_exp_f32_e32 v76, v76
	v_cndmask_b32_e64 v89, 0, v74, s12
	v_mul_f32_e32 v74, 0x3fb8aa3b, v77
	v_fma_f32 v77, s19, v126, -v71
	s_delay_alu instid0(VALU_DEP_3) | instskip(NEXT) | instid1(VALU_DEP_3)
	v_add_f32_e32 v72, v72, v89
	v_exp_f32_e32 v74, v74
	s_delay_alu instid0(TRANS32_DEP_3) | instskip(NEXT) | instid1(VALU_DEP_3)
	v_cndmask_b32_e64 v91, 0, v75, s15
	v_mul_f32_e32 v75, 0x3fb8aa3b, v77
	s_delay_alu instid0(TRANS32_DEP_2) | instskip(SKIP_1) | instid1(VALU_DEP_3)
	v_cndmask_b32_e64 v90, 0, v76, s16
	v_add_f32_e32 v72, v72, v88
	v_exp_f32_e32 v75, v75
	s_delay_alu instid0(VALU_DEP_1) | instskip(NEXT) | instid1(TRANS32_DEP_2)
	v_add_f32_e32 v72, v72, v91
	v_cndmask_b32_e64 v93, 0, v74, s17
	s_delay_alu instid0(VALU_DEP_2) | instskip(SKIP_3) | instid1(VALU_DEP_1)
	v_add_f32_e32 v72, v72, v90
	s_waitcnt_depctr 0xfff
	v_cndmask_b32_e64 v92, 0, v75, s18
	v_add_f32_e32 v72, v72, v93
	v_add_f32_e32 v72, v72, v92
	ds_bpermute_b32 v73, v73, v72
	v_cmpx_gt_u32_e32 16, v70
	s_cbranch_execz .LBB795_12
; %bb.11:
	v_mul_u32_u24_e32 v70, 0x44, v69
	s_waitcnt lgkmcnt(0)
	v_add_f32_e32 v72, v72, v73
	s_delay_alu instid0(VALU_DEP_2) | instskip(NEXT) | instid1(VALU_DEP_1)
	v_lshl_add_u32 v70, v68, 2, v70
	v_add_nc_u32_e32 v70, 0x4000, v70
	ds_store_2addr_b32 v70, v71, v72 offset1:136
.LBB795_12:
	s_or_b32 exec_lo, exec_lo, s3
	v_lshlrev_b32_e32 v70, 2, v68
	s_load_b32 s35, s[0:1], 0x94
	s_waitcnt lgkmcnt(0)
	s_barrier
	buffer_gl0_inv
	v_add_nc_u32_e32 v98, 0x4000, v70
	v_cmp_eq_u32_e32 vcc_lo, 1, v69
	v_cmp_eq_u32_e64 s3, 2, v69
	v_cmp_eq_u32_e64 s4, 3, v69
	;; [unrolled: 1-line block ×3, first 2 shown]
	ds_load_2addr_b32 v[70:71], v98 offset1:17
	ds_load_2addr_b32 v[72:73], v98 offset0:34 offset1:51
	ds_load_2addr_b32 v[74:75], v98 offset0:68 offset1:85
	;; [unrolled: 1-line block ×3, first 2 shown]
	v_cmp_eq_u32_e64 s6, 5, v69
	v_cmp_eq_u32_e64 s7, 7, v69
	s_waitcnt lgkmcnt(3)
	v_max3_f32 v76, v70, 0xff7fffff, v71
	s_waitcnt lgkmcnt(2)
	s_delay_alu instid0(VALU_DEP_1) | instskip(SKIP_1) | instid1(VALU_DEP_1)
	v_max3_f32 v76, v76, v72, v73
	s_waitcnt lgkmcnt(1)
	v_max3_f32 v76, v76, v74, v75
	s_waitcnt lgkmcnt(0)
	s_delay_alu instid0(VALU_DEP_1) | instskip(NEXT) | instid1(VALU_DEP_1)
	v_max3_f32 v76, v76, v94, v95
	v_sub_f32_e32 v77, v71, v76
	ds_load_2addr_b32 v[96:97], v98 offset0:136 offset1:153
	v_sub_f32_e32 v74, v74, v76
	v_sub_f32_e32 v70, v70, v76
	;; [unrolled: 1-line block ×3, first 2 shown]
	v_dual_sub_f32 v72, v72, v76 :: v_dual_mul_f32 v77, 0x3fb8aa3b, v77
	s_delay_alu instid0(VALU_DEP_4) | instskip(NEXT) | instid1(VALU_DEP_4)
	v_mul_f32_e32 v103, 0x3fb8aa3b, v74
	v_mul_f32_e32 v99, 0x3fb8aa3b, v70
	ds_load_2addr_b32 v[70:71], v98 offset0:170 offset1:187
	v_dual_mul_f32 v101, 0x3fb8aa3b, v72 :: v_dual_mul_f32 v94, 0x3fb8aa3b, v94
	v_exp_f32_e32 v102, v77
	v_exp_f32_e32 v99, v99
	s_delay_alu instid0(VALU_DEP_1) | instskip(NEXT) | instid1(VALU_DEP_1)
	v_exp_f32_e32 v101, v101
	v_exp_f32_e32 v94, v94
	s_waitcnt lgkmcnt(1)
	s_delay_alu instid0(TRANS32_DEP_3)
	v_fma_f32 v77, v99, v96, 0
	v_sub_f32_e32 v100, v73, v76
	ds_load_2addr_b32 v[72:73], v98 offset0:204 offset1:221
	v_fmac_f32_e32 v77, v102, v97
	v_exp_f32_e32 v97, v103
	s_waitcnt lgkmcnt(1)
	s_delay_alu instid0(VALU_DEP_1)
	v_dual_fmac_f32 v77, v101, v70 :: v_dual_sub_f32 v96, v75, v76
	ds_load_2addr_b32 v[74:75], v98 offset0:238 offset1:255
	v_sub_f32_e32 v70, v95, v76
	s_waitcnt lgkmcnt(0)
	s_barrier
	v_mul_f32_e32 v96, 0x3fb8aa3b, v96
	buffer_gl0_inv
	v_exp_f32_e32 v95, v96
	v_mul_f32_e32 v100, 0x3fb8aa3b, v100
	s_delay_alu instid0(VALU_DEP_1) | instskip(SKIP_3) | instid1(VALU_DEP_2)
	v_exp_f32_e32 v100, v100
	s_waitcnt_depctr 0xfff
	v_dual_fmac_f32 v77, v100, v71 :: v_dual_mul_f32 v70, 0x3fb8aa3b, v70
	v_cndmask_b32_e32 v71, v99, v102, vcc_lo
	v_fmac_f32_e32 v77, v97, v72
	s_delay_alu instid0(VALU_DEP_3) | instskip(NEXT) | instid1(VALU_DEP_1)
	v_exp_f32_e32 v96, v70
	v_fmac_f32_e32 v77, v95, v73
	s_delay_alu instid0(VALU_DEP_1) | instskip(SKIP_2) | instid1(VALU_DEP_1)
	v_fmac_f32_e32 v77, v94, v74
	s_waitcnt_depctr 0xfff
	v_fmac_f32_e32 v77, v96, v75
	v_add_f32_e32 v74, 0x358637bd, v77
	s_delay_alu instid0(VALU_DEP_1) | instskip(SKIP_1) | instid1(VALU_DEP_2)
	v_div_scale_f32 v98, null, v74, v74, 1.0
	v_div_scale_f32 v99, vcc_lo, 1.0, v74, 1.0
	v_rcp_f32_e32 v103, v98
	s_waitcnt_depctr 0xfff
	v_fma_f32 v70, -v98, v103, 1.0
	s_delay_alu instid0(VALU_DEP_1) | instskip(SKIP_2) | instid1(VALU_DEP_2)
	v_fmac_f32_e32 v103, v70, v103
	v_cndmask_b32_e64 v70, v71, v101, s3
	v_cmp_eq_u32_e64 s3, 6, v69
	v_cndmask_b32_e64 v71, v70, v100, s4
	s_delay_alu instid0(VALU_DEP_4) | instskip(NEXT) | instid1(VALU_DEP_2)
	v_dual_mul_f32 v101, v99, v103 :: v_dual_lshlrev_b32 v70, 2, v66
	v_cndmask_b32_e64 v71, v71, v97, s5
	s_delay_alu instid0(VALU_DEP_2) | instskip(NEXT) | instid1(VALU_DEP_3)
	v_or_b32_e32 v72, 1, v70
	v_fma_f32 v100, -v98, v101, v99
	v_cmp_eq_u32_e64 s4, 1, v70
	v_cmp_eq_u32_e64 s5, 2, v70
	v_cndmask_b32_e64 v95, v71, v95, s6
	v_or_b32_e32 v71, 3, v70
	v_fmac_f32_e32 v101, v100, v103
	v_cmp_eq_u32_e64 s9, 1, v72
	v_cmp_eq_u32_e64 s12, 2, v72
	v_cndmask_b32_e64 v94, v95, v94, s3
	v_cmp_eq_u32_e64 s11, 1, v71
	v_fma_f32 v97, -v98, v101, v99
	v_cmp_eq_u32_e64 s16, 2, v71
	v_cmp_eq_u32_e64 s13, 3, v72
	v_cndmask_b32_e64 v94, v94, v96, s7
	v_cmp_eq_u32_e64 s18, 3, v71
	v_div_fmas_f32 v95, v97, v103, v101
	v_cmp_eq_u32_e32 vcc_lo, 3, v70
	v_cmp_eq_u32_e64 s3, 4, v70
	v_cmp_eq_u32_e64 s19, 4, v72
	;; [unrolled: 1-line block ×3, first 2 shown]
	v_div_fixup_f32 v95, v95, v74, 1.0
	v_lshlrev_b32_e32 v73, 6, v68
	v_cmp_eq_u32_e64 s6, 5, v70
	v_cmp_eq_u32_e64 s20, 5, v72
	;; [unrolled: 1-line block ×3, first 2 shown]
	v_mul_f32_e32 v102, v94, v95
	v_lshl_or_b32 v75, v69, 11, v73
	v_or_b32_e32 v69, 2, v70
	v_cmp_eq_u32_e64 s25, 6, v72
	v_cmp_eq_u32_e64 s27, 6, v71
	v_fma_mixlo_f16 v94, v102, v79, 0
	v_fma_mixlo_f16 v95, v102, v81, 0
	;; [unrolled: 1-line block ×8, first 2 shown]
	v_lshl_or_b32 v74, v66, 4, v75
	v_fma_mixhi_f16 v94, v102, v78, 0
	v_fma_mixhi_f16 v95, v102, v80, 0
	;; [unrolled: 1-line block ×8, first 2 shown]
	ds_store_b128 v74, v[94:97]
	ds_store_b128 v74, v[98:101] offset:1024
	s_waitcnt lgkmcnt(0)
	s_barrier
	buffer_gl0_inv
	ds_load_b128 v[78:81], v75
	ds_load_b128 v[82:85], v75 offset:16
	ds_load_b128 v[86:89], v75 offset:1024
	;; [unrolled: 1-line block ×3, first 2 shown]
	v_cmp_eq_u32_e64 s10, 1, v69
	v_cmp_eq_u32_e64 s15, 2, v69
	v_cmp_eq_u32_e64 s17, 3, v69
	v_cmp_eq_u32_e64 s21, 4, v69
	v_cmp_eq_u32_e64 s23, 5, v69
	v_cmp_eq_u32_e64 s7, 6, v70
	v_cmp_eq_u32_e64 s26, 6, v69
	v_cmp_eq_u32_e64 s29, 7, v71
	v_cmp_eq_u32_e64 s30, 7, v72
	v_cmp_eq_u32_e64 s8, 7, v70
	v_cmp_eq_u32_e64 s28, 7, v69
	s_waitcnt lgkmcnt(3)
	v_lshrrev_b32_e32 v94, 16, v78
	s_waitcnt lgkmcnt(2)
	v_lshrrev_b32_e32 v98, 16, v82
	;; [unrolled: 2-line block ×4, first 2 shown]
	v_lshrrev_b32_e32 v95, 16, v79
	v_cndmask_b32_e64 v110, v78, v94, s4
	v_cndmask_b32_e64 v111, v82, v98, s4
	;; [unrolled: 1-line block ×8, first 2 shown]
	v_lshrrev_b32_e32 v99, 16, v83
	v_cndmask_b32_e64 v94, v86, v102, s4
	v_cndmask_b32_e64 v98, v90, v106, s4
	;; [unrolled: 1-line block ×15, first 2 shown]
	v_lshrrev_b32_e32 v103, 16, v87
	v_lshrrev_b32_e32 v107, 16, v91
	v_cndmask_b32_e64 v113, v115, v83, s15
	v_cndmask_b32_e64 v82, v94, v87, s5
	;; [unrolled: 1-line block ×7, first 2 shown]
	v_cndmask_b32_e32 v90, v102, v95, vcc_lo
	v_cndmask_b32_e32 v102, v106, v99, vcc_lo
	v_cndmask_b32_e64 v106, v110, v95, s13
	v_cndmask_b32_e64 v110, v111, v99, s13
	v_cndmask_b32_e64 v78, v78, v95, s18
	v_cndmask_b32_e64 v79, v79, v99, s18
	v_lshrrev_b32_e32 v96, 16, v80
	v_lshrrev_b32_e32 v100, 16, v84
	v_cndmask_b32_e64 v111, v112, v95, s17
	v_cndmask_b32_e64 v112, v113, v99, s17
	v_cndmask_b32_e32 v82, v82, v103, vcc_lo
	v_cndmask_b32_e32 v83, v83, v107, vcc_lo
	v_cndmask_b32_e64 v94, v94, v103, s13
	v_cndmask_b32_e64 v90, v90, v80, s3
	;; [unrolled: 1-line block ×7, first 2 shown]
	v_lshrrev_b32_e32 v104, 16, v88
	v_cndmask_b32_e64 v106, v111, v80, s21
	v_cndmask_b32_e64 v110, v112, v84, s21
	v_cndmask_b32_e64 v80, v82, v88, s3
	v_cndmask_b32_e64 v82, v83, v92, s3
	v_cndmask_b32_e64 v83, v94, v88, s19
	v_cndmask_b32_e64 v84, v90, v96, s6
	v_cndmask_b32_e64 v90, v95, v100, s6
	v_cndmask_b32_e64 v94, v99, v96, s20
	v_cndmask_b32_e64 v95, v102, v100, s20
	v_cndmask_b32_e64 v78, v78, v96, s24
	v_cndmask_b32_e64 v79, v79, v100, s24
	v_lshrrev_b32_e32 v97, 16, v81
	v_lshrrev_b32_e32 v101, 16, v85
	v_cndmask_b32_e64 v99, v106, v96, s23
	v_cndmask_b32_e64 v102, v110, v100, s23
	;; [unrolled: 1-line block ×7, first 2 shown]
	v_lshrrev_b32_e32 v105, 16, v89
	v_cndmask_b32_e64 v80, v80, v104, s6
	v_cndmask_b32_e64 v84, v84, v81, s7
	;; [unrolled: 1-line block ×16, first 2 shown]
	v_perm_b32 v81, v79, v78, 0x5040100
	v_perm_b32 v79, v95, v85, 0x5040100
	v_cndmask_b32_e64 v78, v119, v91, s15
	v_cndmask_b32_e64 v85, v117, v91, s12
	;; [unrolled: 1-line block ×3, first 2 shown]
	v_perm_b32 v80, v94, v90, 0x5040100
	v_cndmask_b32_e64 v90, v98, v103, s17
	v_cndmask_b32_e64 v86, v86, v103, s18
	v_cndmask_b32_e64 v87, v87, v107, s18
	v_cndmask_b32_e64 v78, v78, v107, s17
	v_cndmask_b32_e64 v85, v85, v107, s13
	v_lshrrev_b32_e32 v108, 16, v92
	v_cndmask_b32_e64 v90, v90, v88, s21
	v_cndmask_b32_e64 v86, v86, v88, s22
	;; [unrolled: 1-line block ×11, first 2 shown]
	v_lshrrev_b32_e32 v109, 16, v93
	v_cndmask_b32_e64 v82, v82, v93, s7
	v_cndmask_b32_e64 v88, v88, v89, s26
	;; [unrolled: 1-line block ×12, first 2 shown]
	v_perm_b32 v78, v84, v83, 0x5040100
	v_perm_b32 v85, v87, v86, 0x5040100
	;; [unrolled: 1-line block ×5, first 2 shown]
	s_mul_i32 s8, s33, 6
	s_mov_b32 s3, exec_lo
	ds_store_b128 v74, v[78:81]
	ds_store_b128 v74, v[82:85] offset:1024
	v_cmpx_gt_u32_e32 6, v0
	s_cbranch_execz .LBB795_14
; %bb.13:
	s_mul_i32 s4, s8, s34
	s_delay_alu instid0(SALU_CYCLE_1) | instskip(SKIP_1) | instid1(VALU_DEP_1)
	v_add3_u32 v68, s4, s31, v68
	s_load_b128 s[4:7], s[0:1], 0x58
	v_mad_u64_u32 v[78:79], null, v68, s35, s[14:15]
	s_delay_alu instid0(VALU_DEP_1) | instskip(NEXT) | instid1(VALU_DEP_1)
	v_ashrrev_i32_e32 v79, 31, v78
	v_lshlrev_b64 v[78:79], 2, v[78:79]
	s_waitcnt lgkmcnt(0)
	s_delay_alu instid0(VALU_DEP_1) | instskip(NEXT) | instid1(VALU_DEP_2)
	v_add_co_u32 v80, vcc_lo, s6, v78
	v_add_co_ci_u32_e32 v81, vcc_lo, s7, v79, vcc_lo
	v_add_co_u32 v78, vcc_lo, s4, v78
	v_add_co_ci_u32_e32 v79, vcc_lo, s5, v79, vcc_lo
	global_store_b32 v[80:81], v76, off
	global_store_b32 v[78:79], v77, off
.LBB795_14:
	s_or_b32 exec_lo, exec_lo, s3
	s_waitcnt lgkmcnt(0)
	s_waitcnt_vscnt null, 0x0
	s_barrier
	buffer_gl0_inv
	ds_load_b128 v[84:87], v73
	ds_load_b128 v[88:91], v73 offset:16
	ds_load_b128 v[96:99], v73 offset:2064
	;; [unrolled: 1-line block ×5, first 2 shown]
	v_cmp_eq_u32_e32 vcc_lo, 1, v70
	v_mov_b32_e32 v76, 0
	ds_load_b128 v[112:115], v73 offset:6160
	ds_load_b128 v[108:111], v73 offset:6144
	;; [unrolled: 1-line block ×4, first 2 shown]
	v_cmp_eq_u32_e64 s4, 1, v69
	v_cmp_eq_u32_e64 s3, 1, v72
	;; [unrolled: 1-line block ×3, first 2 shown]
	v_mov_b32_e32 v77, v76
	v_mov_b32_e32 v78, v76
	;; [unrolled: 1-line block ×7, first 2 shown]
	v_cmp_eq_u32_e64 s6, 3, v72
	v_cmp_eq_u32_e64 s7, 7, v72
	s_waitcnt lgkmcnt(8)
	s_delay_alu instid0(VALU_DEP_3)
	v_wmma_f32_16x16x16_f16 v[76:83], v[49:56], v[84:91], v[76:83]
	ds_load_b128 v[53:56], v73 offset:10256
	ds_load_b128 v[49:52], v73 offset:10240
	s_waitcnt lgkmcnt(8)
	v_wmma_f32_16x16x16_f16 v[76:83], v[41:48], v[92:99], v[76:83]
	ds_load_b128 v[45:48], v73 offset:12304
	ds_load_b128 v[41:44], v73 offset:12288
	s_waitcnt lgkmcnt(8)
	;; [unrolled: 4-line block ×3, first 2 shown]
	s_barrier
	buffer_gl0_inv
	v_wmma_f32_16x16x16_f16 v[76:83], v[1:8], v[108:115], v[76:83]
	s_delay_alu instid0(VALU_DEP_1) | instskip(NEXT) | instid1(VALU_DEP_1)
	v_wmma_f32_16x16x16_f16 v[76:83], v[9:16], v[116:123], v[76:83]
	v_wmma_f32_16x16x16_f16 v[76:83], v[17:24], v[49:56], v[76:83]
	s_delay_alu instid0(VALU_DEP_1) | instskip(NEXT) | instid1(VALU_DEP_1)
	v_wmma_f32_16x16x16_f16 v[76:83], v[25:32], v[41:48], v[76:83]
	v_wmma_f32_16x16x16_f16 v[76:83], v[57:64], v[33:40], v[76:83]
	s_delay_alu instid0(VALU_DEP_1) | instskip(NEXT) | instid1(VALU_DEP_2)
	v_cvt_f16_f32_e32 v1, v76
	v_cvt_f16_f32_e32 v2, v77
	s_delay_alu instid0(VALU_DEP_3) | instskip(NEXT) | instid1(VALU_DEP_4)
	v_cvt_f16_f32_e32 v3, v78
	v_cvt_f16_f32_e32 v4, v79
	;; [unrolled: 1-line block ×6, first 2 shown]
	v_pack_b32_f16 v1, v1, v2
	v_pack_b32_f16 v2, v3, v4
	;; [unrolled: 1-line block ×3, first 2 shown]
	s_delay_alu instid0(VALU_DEP_4)
	v_pack_b32_f16 v4, v7, v8
	ds_store_b128 v74, v[1:4]
	s_waitcnt lgkmcnt(0)
	s_barrier
	buffer_gl0_inv
	ds_load_b128 v[1:4], v75
	ds_load_b128 v[5:8], v75 offset:16
	s_waitcnt lgkmcnt(1)
	v_lshrrev_b32_e32 v9, 16, v1
	s_waitcnt lgkmcnt(0)
	v_lshrrev_b32_e32 v13, 16, v5
	v_lshrrev_b32_e32 v10, 16, v2
	;; [unrolled: 1-line block ×4, first 2 shown]
	v_cndmask_b32_e32 v17, v1, v9, vcc_lo
	v_cndmask_b32_e32 v18, v5, v13, vcc_lo
	v_cndmask_b32_e64 v21, v1, v9, s4
	v_cmp_eq_u32_e32 vcc_lo, 1, v71
	v_cndmask_b32_e64 v22, v5, v13, s4
	v_cmp_eq_u32_e64 s4, 2, v70
	v_cndmask_b32_e64 v19, v1, v9, s3
	v_cndmask_b32_e64 v20, v5, v13, s3
	v_cndmask_b32_e32 v1, v1, v9, vcc_lo
	v_cmp_eq_u32_e64 s3, 2, v71
	v_cndmask_b32_e32 v5, v5, v13, vcc_lo
	v_cndmask_b32_e64 v9, v17, v2, s4
	v_cmp_eq_u32_e32 vcc_lo, 3, v70
	v_cndmask_b32_e64 v13, v18, v6, s4
	v_cmp_eq_u32_e64 s4, 2, v69
	v_cndmask_b32_e64 v17, v19, v2, s5
	v_cndmask_b32_e64 v18, v20, v6, s5
	v_cmp_eq_u32_e64 s5, 3, v69
	v_cndmask_b32_e64 v1, v1, v2, s3
	v_cndmask_b32_e64 v19, v21, v2, s4
	;; [unrolled: 1-line block ×4, first 2 shown]
	v_cndmask_b32_e32 v5, v9, v10, vcc_lo
	v_cndmask_b32_e32 v6, v13, v14, vcc_lo
	v_cmp_eq_u32_e32 vcc_lo, 3, v71
	v_cndmask_b32_e64 v9, v17, v10, s6
	v_cndmask_b32_e64 v13, v18, v14, s6
	;; [unrolled: 1-line block ×3, first 2 shown]
	v_cmp_eq_u32_e64 s4, 4, v70
	v_cndmask_b32_e32 v1, v1, v10, vcc_lo
	v_cndmask_b32_e32 v2, v2, v14, vcc_lo
	v_cmp_eq_u32_e32 vcc_lo, 4, v72
	v_lshrrev_b32_e32 v15, 16, v7
	v_lshrrev_b32_e32 v16, 16, v8
	v_cndmask_b32_e64 v17, v19, v10, s5
	v_cmp_eq_u32_e64 s3, 4, v71
	v_cndmask_b32_e64 v5, v5, v3, s4
	v_cndmask_b32_e64 v6, v6, v7, s4
	v_cndmask_b32_e32 v9, v9, v3, vcc_lo
	v_cmp_eq_u32_e64 s4, 5, v72
	v_cndmask_b32_e32 v10, v13, v7, vcc_lo
	v_cmp_eq_u32_e32 vcc_lo, 4, v69
	v_cmp_eq_u32_e64 s5, 5, v70
	v_cndmask_b32_e64 v2, v2, v7, s3
	v_cndmask_b32_e64 v9, v9, v11, s4
	;; [unrolled: 1-line block ×3, first 2 shown]
	v_cndmask_b32_e32 v13, v17, v3, vcc_lo
	v_cmp_eq_u32_e64 s4, 5, v69
	v_cndmask_b32_e32 v14, v18, v7, vcc_lo
	v_cndmask_b32_e64 v1, v1, v3, s3
	v_cmp_eq_u32_e32 vcc_lo, 5, v71
	v_lshrrev_b32_e32 v12, 16, v4
	v_cndmask_b32_e64 v13, v13, v11, s4
	v_cndmask_b32_e64 v3, v14, v15, s4
	v_cmp_eq_u32_e64 s4, 6, v71
	v_cndmask_b32_e32 v1, v1, v11, vcc_lo
	v_cndmask_b32_e64 v5, v5, v11, s5
	v_cmp_eq_u32_e64 s6, 6, v70
	v_cndmask_b32_e64 v6, v6, v15, s5
	v_cmp_eq_u32_e64 s5, 6, v72
	v_cmp_eq_u32_e64 s3, 6, v69
	v_cndmask_b32_e64 v1, v1, v4, s4
	v_cndmask_b32_e32 v2, v2, v15, vcc_lo
	v_cmp_eq_u32_e32 vcc_lo, 7, v71
	v_cndmask_b32_e64 v5, v5, v4, s6
	v_cndmask_b32_e64 v9, v9, v4, s5
	;; [unrolled: 1-line block ×3, first 2 shown]
	v_cmp_eq_u32_e64 s6, 7, v70
	v_cndmask_b32_e32 v1, v1, v12, vcc_lo
	v_cndmask_b32_e64 v7, v13, v4, s3
	v_cndmask_b32_e64 v3, v3, v8, s3
	v_cndmask_b32_e64 v2, v2, v8, s4
	v_cmp_eq_u32_e64 s3, 7, v69
	v_cndmask_b32_e64 v4, v10, v8, s5
	v_cndmask_b32_e64 v5, v5, v12, s6
	;; [unrolled: 1-line block ×3, first 2 shown]
	v_cndmask_b32_e32 v2, v2, v16, vcc_lo
	v_cndmask_b32_e64 v7, v7, v12, s3
	v_cndmask_b32_e64 v3, v3, v16, s3
	;; [unrolled: 1-line block ×4, first 2 shown]
	v_cmp_gt_u32_e32 vcc_lo, 32, v0
	v_perm_b32 v4, v2, v1, 0x5040100
	v_perm_b32 v3, v3, v7, 0x5040100
	;; [unrolled: 1-line block ×4, first 2 shown]
	s_and_b32 s2, vcc_lo, s2
	ds_store_b128 v74, v[1:4]
	s_waitcnt lgkmcnt(0)
	s_barrier
	buffer_gl0_inv
	s_and_saveexec_b32 s3, s2
	s_cbranch_execz .LBB795_2
; %bb.15:
	s_load_b64 s[0:1], s[0:1], 0x68
	s_lshl_b32 s4, s35, 6
	v_or_b32_e32 v3, s31, v66
	s_mul_i32 s2, s4, s34
	v_lshlrev_b32_e32 v0, 10, v0
	s_mul_i32 s2, s2, s8
	v_lshlrev_b32_e32 v1, 4, v67
	s_ashr_i32 s3, s2, 31
	v_mul_lo_u32 v12, v3, s4
	s_lshl_b64 s[2:3], s[2:3], 1
	v_lshlrev_b32_e32 v2, 6, v66
	v_and_b32_e32 v0, 0x3800, v0
	s_delay_alu instid0(VALU_DEP_1) | instskip(NEXT) | instid1(VALU_DEP_4)
	v_or3_b32 v8, v0, v1, v2
	v_ashrrev_i32_e32 v13, 31, v12
	ds_load_b128 v[0:3], v8
	ds_load_b128 v[4:7], v8 offset:128
	ds_load_b128 v[8:11], v8 offset:256
	s_waitcnt lgkmcnt(0)
	s_add_u32 s2, s0, s2
	s_addc_u32 s3, s1, s3
	s_lshl_b32 s0, s14, 6
	s_delay_alu instid0(SALU_CYCLE_1) | instskip(NEXT) | instid1(SALU_CYCLE_1)
	s_ashr_i32 s1, s0, 31
	s_lshl_b64 s[0:1], s[0:1], 1
	s_delay_alu instid0(SALU_CYCLE_1)
	s_add_u32 s0, s2, s0
	s_addc_u32 s1, s3, s1
	s_lshl_b32 s2, s35, 7
	v_add_co_u32 v18, s0, s0, v65
	v_add_nc_u32_e32 v14, s2, v12
	v_lshlrev_b64 v[12:13], 1, v[12:13]
	v_add_co_ci_u32_e64 v19, null, s1, 0, s0
	s_delay_alu instid0(VALU_DEP_3) | instskip(SKIP_1) | instid1(VALU_DEP_4)
	v_add_nc_u32_e32 v16, s2, v14
	v_ashrrev_i32_e32 v15, 31, v14
	v_add_co_u32 v12, vcc_lo, v18, v12
	s_delay_alu instid0(VALU_DEP_4) | instskip(NEXT) | instid1(VALU_DEP_4)
	v_add_co_ci_u32_e32 v13, vcc_lo, v19, v13, vcc_lo
	v_ashrrev_i32_e32 v17, 31, v16
	s_delay_alu instid0(VALU_DEP_4) | instskip(NEXT) | instid1(VALU_DEP_2)
	v_lshlrev_b64 v[14:15], 1, v[14:15]
	v_lshlrev_b64 v[16:17], 1, v[16:17]
	s_delay_alu instid0(VALU_DEP_2) | instskip(NEXT) | instid1(VALU_DEP_3)
	v_add_co_u32 v14, vcc_lo, v18, v14
	v_add_co_ci_u32_e32 v15, vcc_lo, v19, v15, vcc_lo
	s_delay_alu instid0(VALU_DEP_3) | instskip(NEXT) | instid1(VALU_DEP_4)
	v_add_co_u32 v16, vcc_lo, v18, v16
	v_add_co_ci_u32_e32 v17, vcc_lo, v19, v17, vcc_lo
	s_clause 0x2
	global_store_b128 v[12:13], v[0:3], off
	global_store_b128 v[14:15], v[4:7], off
	;; [unrolled: 1-line block ×3, first 2 shown]
	s_nop 0
	s_sendmsg sendmsg(MSG_DEALLOC_VGPRS)
	s_endpgm
	.section	.rodata,"a",@progbits
	.p2align	6, 0x0
	.amdhsa_kernel _Z39paged_attention_ll4mi_QKV_mfma16_kernelIDF16_hLN4vllm18Fp8KVCacheDataTypeE1EhLi16ELi64ELi256ELb0ELi6EL8MFMAType1EEvPKT_PKT0_S8_ifPKiSA_SA_iPKfiiiPfSD_PS3_PT2_iSC_SC_
		.amdhsa_group_segment_fixed_size 17472
		.amdhsa_private_segment_fixed_size 0
		.amdhsa_kernarg_size 400
		.amdhsa_user_sgpr_count 13
		.amdhsa_user_sgpr_dispatch_ptr 0
		.amdhsa_user_sgpr_queue_ptr 0
		.amdhsa_user_sgpr_kernarg_segment_ptr 1
		.amdhsa_user_sgpr_dispatch_id 0
		.amdhsa_user_sgpr_private_segment_size 0
		.amdhsa_wavefront_size32 1
		.amdhsa_uses_dynamic_stack 0
		.amdhsa_enable_private_segment 0
		.amdhsa_system_sgpr_workgroup_id_x 1
		.amdhsa_system_sgpr_workgroup_id_y 1
		.amdhsa_system_sgpr_workgroup_id_z 1
		.amdhsa_system_sgpr_workgroup_info 0
		.amdhsa_system_vgpr_workitem_id 0
		.amdhsa_next_free_vgpr 146
		.amdhsa_next_free_sgpr 36
		.amdhsa_reserve_vcc 1
		.amdhsa_float_round_mode_32 0
		.amdhsa_float_round_mode_16_64 0
		.amdhsa_float_denorm_mode_32 3
		.amdhsa_float_denorm_mode_16_64 3
		.amdhsa_dx10_clamp 1
		.amdhsa_ieee_mode 1
		.amdhsa_fp16_overflow 0
		.amdhsa_workgroup_processor_mode 1
		.amdhsa_memory_ordered 1
		.amdhsa_forward_progress 0
		.amdhsa_shared_vgpr_count 0
		.amdhsa_exception_fp_ieee_invalid_op 0
		.amdhsa_exception_fp_denorm_src 0
		.amdhsa_exception_fp_ieee_div_zero 0
		.amdhsa_exception_fp_ieee_overflow 0
		.amdhsa_exception_fp_ieee_underflow 0
		.amdhsa_exception_fp_ieee_inexact 0
		.amdhsa_exception_int_div_zero 0
	.end_amdhsa_kernel
	.section	.text._Z39paged_attention_ll4mi_QKV_mfma16_kernelIDF16_hLN4vllm18Fp8KVCacheDataTypeE1EhLi16ELi64ELi256ELb0ELi6EL8MFMAType1EEvPKT_PKT0_S8_ifPKiSA_SA_iPKfiiiPfSD_PS3_PT2_iSC_SC_,"axG",@progbits,_Z39paged_attention_ll4mi_QKV_mfma16_kernelIDF16_hLN4vllm18Fp8KVCacheDataTypeE1EhLi16ELi64ELi256ELb0ELi6EL8MFMAType1EEvPKT_PKT0_S8_ifPKiSA_SA_iPKfiiiPfSD_PS3_PT2_iSC_SC_,comdat
.Lfunc_end795:
	.size	_Z39paged_attention_ll4mi_QKV_mfma16_kernelIDF16_hLN4vllm18Fp8KVCacheDataTypeE1EhLi16ELi64ELi256ELb0ELi6EL8MFMAType1EEvPKT_PKT0_S8_ifPKiSA_SA_iPKfiiiPfSD_PS3_PT2_iSC_SC_, .Lfunc_end795-_Z39paged_attention_ll4mi_QKV_mfma16_kernelIDF16_hLN4vllm18Fp8KVCacheDataTypeE1EhLi16ELi64ELi256ELb0ELi6EL8MFMAType1EEvPKT_PKT0_S8_ifPKiSA_SA_iPKfiiiPfSD_PS3_PT2_iSC_SC_
                                        ; -- End function
	.section	.AMDGPU.csdata,"",@progbits
; Kernel info:
; codeLenInByte = 6460
; NumSgprs: 38
; NumVgprs: 146
; ScratchSize: 0
; MemoryBound: 0
; FloatMode: 240
; IeeeMode: 1
; LDSByteSize: 17472 bytes/workgroup (compile time only)
; SGPRBlocks: 4
; VGPRBlocks: 18
; NumSGPRsForWavesPerEU: 38
; NumVGPRsForWavesPerEU: 146
; Occupancy: 9
; WaveLimiterHint : 1
; COMPUTE_PGM_RSRC2:SCRATCH_EN: 0
; COMPUTE_PGM_RSRC2:USER_SGPR: 13
; COMPUTE_PGM_RSRC2:TRAP_HANDLER: 0
; COMPUTE_PGM_RSRC2:TGID_X_EN: 1
; COMPUTE_PGM_RSRC2:TGID_Y_EN: 1
; COMPUTE_PGM_RSRC2:TGID_Z_EN: 1
; COMPUTE_PGM_RSRC2:TIDIG_COMP_CNT: 0
	.section	.text._Z39paged_attention_ll4mi_QKV_mfma16_kernelIDF16_hLN4vllm18Fp8KVCacheDataTypeE1EhLi16ELi64ELi256ELb0ELi7EL8MFMAType1EEvPKT_PKT0_S8_ifPKiSA_SA_iPKfiiiPfSD_PS3_PT2_iSC_SC_,"axG",@progbits,_Z39paged_attention_ll4mi_QKV_mfma16_kernelIDF16_hLN4vllm18Fp8KVCacheDataTypeE1EhLi16ELi64ELi256ELb0ELi7EL8MFMAType1EEvPKT_PKT0_S8_ifPKiSA_SA_iPKfiiiPfSD_PS3_PT2_iSC_SC_,comdat
	.protected	_Z39paged_attention_ll4mi_QKV_mfma16_kernelIDF16_hLN4vllm18Fp8KVCacheDataTypeE1EhLi16ELi64ELi256ELb0ELi7EL8MFMAType1EEvPKT_PKT0_S8_ifPKiSA_SA_iPKfiiiPfSD_PS3_PT2_iSC_SC_ ; -- Begin function _Z39paged_attention_ll4mi_QKV_mfma16_kernelIDF16_hLN4vllm18Fp8KVCacheDataTypeE1EhLi16ELi64ELi256ELb0ELi7EL8MFMAType1EEvPKT_PKT0_S8_ifPKiSA_SA_iPKfiiiPfSD_PS3_PT2_iSC_SC_
	.globl	_Z39paged_attention_ll4mi_QKV_mfma16_kernelIDF16_hLN4vllm18Fp8KVCacheDataTypeE1EhLi16ELi64ELi256ELb0ELi7EL8MFMAType1EEvPKT_PKT0_S8_ifPKiSA_SA_iPKfiiiPfSD_PS3_PT2_iSC_SC_
	.p2align	8
	.type	_Z39paged_attention_ll4mi_QKV_mfma16_kernelIDF16_hLN4vllm18Fp8KVCacheDataTypeE1EhLi16ELi64ELi256ELb0ELi7EL8MFMAType1EEvPKT_PKT0_S8_ifPKiSA_SA_iPKfiiiPfSD_PS3_PT2_iSC_SC_,@function
_Z39paged_attention_ll4mi_QKV_mfma16_kernelIDF16_hLN4vllm18Fp8KVCacheDataTypeE1EhLi16ELi64ELi256ELb0ELi7EL8MFMAType1EEvPKT_PKT0_S8_ifPKiSA_SA_iPKfiiiPfSD_PS3_PT2_iSC_SC_: ; @_Z39paged_attention_ll4mi_QKV_mfma16_kernelIDF16_hLN4vllm18Fp8KVCacheDataTypeE1EhLi16ELi64ELi256ELb0ELi7EL8MFMAType1EEvPKT_PKT0_S8_ifPKiSA_SA_iPKfiiiPfSD_PS3_PT2_iSC_SC_
; %bb.0:
	s_load_b64 s[2:3], s[0:1], 0x30
	s_mov_b32 s34, s13
	s_waitcnt lgkmcnt(0)
	s_cmp_lg_u64 s[2:3], 0
	s_cselect_b32 s6, -1, 0
	s_ashr_i32 s35, s13, 31
	s_cmp_eq_u64 s[2:3], 0
	s_cbranch_scc1 .LBB796_3
; %bb.1:
	s_lshl_b64 s[4:5], s[34:35], 2
	s_delay_alu instid0(SALU_CYCLE_1) | instskip(SKIP_4) | instid1(SALU_CYCLE_1)
	s_add_u32 s4, s2, s4
	s_addc_u32 s5, s3, s5
	s_load_b64 s[4:5], s[4:5], 0x0
	s_waitcnt lgkmcnt(0)
	s_sub_i32 s4, s5, s4
	s_cmp_eq_u32 s4, 1
	s_cselect_b32 s4, -1, 0
	s_delay_alu instid0(SALU_CYCLE_1)
	s_and_not1_b32 vcc_lo, exec_lo, s4
	s_cbranch_vccz .LBB796_4
.LBB796_2:
	s_nop 0
	s_sendmsg sendmsg(MSG_DEALLOC_VGPRS)
	s_endpgm
.LBB796_3:
.LBB796_4:
	s_load_b64 s[8:9], s[0:1], 0x28
	s_lshl_b64 s[4:5], s[34:35], 2
	s_waitcnt lgkmcnt(0)
	s_add_u32 s8, s8, s4
	s_addc_u32 s9, s9, s5
	s_lshl_b32 s16, s14, 8
	s_load_b32 s18, s[8:9], 0x0
	s_waitcnt lgkmcnt(0)
	s_cmp_ge_i32 s16, s18
	s_cbranch_scc1 .LBB796_2
; %bb.5:
	s_clause 0x1
	s_load_b128 s[8:11], s[0:1], 0x8
	s_load_b64 s[12:13], s[0:1], 0x20
	s_and_not1_b32 vcc_lo, exec_lo, s6
	s_cbranch_vccnz .LBB796_7
; %bb.6:
	s_add_u32 s2, s2, s4
	s_addc_u32 s3, s3, s5
	s_load_b32 s3, s[2:3], 0x0
	s_branch .LBB796_8
.LBB796_7:
	s_mov_b32 s3, s34
.LBB796_8:
	s_load_b128 s[4:7], s[0:1], 0x48
	v_lshrrev_b32_e32 v69, 5, v0
	v_bfe_u32 v66, v0, 4, 1
	v_and_b32_e32 v68, 15, v0
	v_and_b32_e32 v70, 31, v0
	;; [unrolled: 1-line block ×3, first 2 shown]
	s_mul_i32 s33, s15, 7
	v_lshl_or_b32 v1, v69, 1, v66
	v_lshlrev_b32_e32 v2, 3, v68
	v_cmp_gt_u32_e64 s2, 8, v68
	s_delay_alu instid0(VALU_DEP_3) | instskip(NEXT) | instid1(VALU_DEP_3)
	v_cmp_gt_u32_e32 vcc_lo, 7, v1
	v_lshlrev_b32_e32 v65, 1, v2
	s_delay_alu instid0(VALU_DEP_3)
	s_and_b32 s17, s2, vcc_lo
	s_waitcnt lgkmcnt(0)
	s_and_saveexec_b32 s7, s17
	s_cbranch_execz .LBB796_10
; %bb.9:
	s_load_b64 s[20:21], s[0:1], 0x0
	v_add_lshl_u32 v2, v1, s33, 6
	s_mul_hi_i32 s23, s3, s4
	s_mul_i32 s22, s3, s4
	v_lshlrev_b32_e32 v6, 10, v68
	s_lshl_b64 s[22:23], s[22:23], 1
	v_ashrrev_i32_e32 v3, 31, v2
	v_lshlrev_b32_e32 v1, 6, v1
	v_lshlrev_b32_e32 v7, 10, v67
	v_and_b32_e32 v6, 0x3800, v6
	s_delay_alu instid0(VALU_DEP_4) | instskip(NEXT) | instid1(VALU_DEP_2)
	v_lshlrev_b64 v[2:3], 1, v[2:3]
	v_or3_b32 v1, v6, v7, v1
	s_waitcnt lgkmcnt(0)
	s_add_u32 s3, s20, s22
	s_addc_u32 s4, s21, s23
	s_delay_alu instid0(VALU_DEP_2) | instskip(SKIP_1) | instid1(VALU_DEP_2)
	v_add_co_u32 v2, vcc_lo, s3, v2
	v_add_co_ci_u32_e32 v3, vcc_lo, s4, v3, vcc_lo
	v_add_co_u32 v2, vcc_lo, v2, v65
	s_delay_alu instid0(VALU_DEP_2)
	v_add_co_ci_u32_e32 v3, vcc_lo, 0, v3, vcc_lo
	global_load_b128 v[2:5], v[2:3], off
	s_waitcnt vmcnt(0)
	ds_store_b128 v1, v[2:5]
.LBB796_10:
	s_or_b32 exec_lo, exec_lo, s7
	v_and_b32_e32 v1, 0xef, v0
	s_add_i32 s3, s18, 15
	s_clause 0x1
	s_load_b32 s4, s[0:1], 0x38
	s_load_b32 s35, s[0:1], 0x98
	s_ashr_i32 s7, s3, 31
	v_add_nc_u32_e32 v1, s16, v1
	s_lshr_b32 s7, s7, 28
	s_load_b32 s19, s[0:1], 0x1c
	s_add_i32 s3, s3, s7
	s_waitcnt lgkmcnt(0)
	v_ashrrev_i32_e32 v2, 31, v1
	v_or_b32_e32 v3, 16, v1
	s_ashr_i32 s3, s3, 4
	v_cmp_gt_i32_e32 vcc_lo, s18, v1
	s_add_i32 s3, s3, -1
	v_lshrrev_b32_e32 v2, 28, v2
	s_barrier
	buffer_gl0_inv
	s_mul_i32 s15, s15, s6
	v_mul_lo_u16 v103, v68, 37
	v_add_nc_u32_e32 v4, v1, v2
	v_mbcnt_lo_u32_b32 v127, -1, 0
	s_mul_i32 s20, s34, s4
	s_delay_alu instid0(SALU_CYCLE_1) | instskip(NEXT) | instid1(VALU_DEP_2)
	s_ashr_i32 s21, s20, 31
	v_ashrrev_i32_e32 v4, 4, v4
	v_add_nc_u32_e32 v2, v3, v2
	s_lshl_b64 s[20:21], s[20:21], 2
	v_lshrrev_b16 v103, 8, v103
	s_add_u32 s17, s12, s20
	v_cndmask_b32_e32 v1, s3, v4, vcc_lo
	v_ashrrev_i32_e32 v2, 4, v2
	v_cmp_gt_i32_e32 vcc_lo, s18, v3
	s_addc_u32 s13, s13, s21
	s_ashr_i32 s20, s15, 31
	s_add_u32 s4, s8, s15
	s_addc_u32 s12, s9, s20
	v_cndmask_b32_e32 v3, s3, v2, vcc_lo
	v_ashrrev_i32_e32 v2, 31, v1
	s_lshl_b32 s6, s14, 4
	v_mul_lo_u16 v103, v103, 7
	s_ashr_i32 s7, s6, 31
	v_ashrrev_i32_e32 v4, 31, v3
	v_lshlrev_b64 v[1:2], 2, v[1:2]
	s_lshl_b64 s[6:7], s[6:7], 2
	v_sub_nc_u16 v103, v68, v103
	s_add_u32 s6, s17, s6
	v_lshlrev_b64 v[3:4], 2, v[3:4]
	s_addc_u32 s7, s13, s7
	v_add_co_u32 v1, vcc_lo, s17, v1
	v_add_co_ci_u32_e32 v2, vcc_lo, s13, v2, vcc_lo
	s_delay_alu instid0(VALU_DEP_3) | instskip(NEXT) | instid1(VALU_DEP_4)
	v_add_co_u32 v3, vcc_lo, s17, v3
	v_add_co_ci_u32_e32 v4, vcc_lo, s13, v4, vcc_lo
	s_clause 0x1
	global_load_b32 v5, v[1:2], off
	global_load_b32 v7, v[3:4], off
	s_or_b32 s8, s16, 32
	v_lshlrev_b32_e32 v1, 4, v0
	s_ashr_i32 s9, s8, 4
	s_cmp_lt_i32 s8, s18
	v_xor_b32_e32 v128, 16, v127
	s_cselect_b32 s8, s9, s3
	v_and_b32_e32 v1, 0xf0, v1
	s_ashr_i32 s9, s8, 31
	s_delay_alu instid0(SALU_CYCLE_1)
	s_lshl_b64 s[8:9], s[8:9], 2
	v_cmp_gt_i32_e32 vcc_lo, 32, v128
	s_add_u32 s8, s17, s8
	s_addc_u32 s9, s13, s9
	s_or_b32 s21, s16, 64
	v_add_co_u32 v1, s4, s4, v1
	s_ashr_i32 s22, s21, 4
	s_cmp_lt_i32 s21, s18
	v_add_co_ci_u32_e64 v2, null, s12, 0, s4
	s_cselect_b32 s22, s22, s3
	v_dual_cndmask_b32 v136, v127, v128 :: v_dual_and_b32 v103, 0xff, v103
	s_ashr_i32 s23, s22, 31
	s_delay_alu instid0(SALU_CYCLE_1) | instskip(NEXT) | instid1(VALU_DEP_1)
	s_lshl_b64 s[22:23], s[22:23], 2
	v_lshlrev_b32_e32 v115, 6, v103
	s_add_u32 s22, s17, s22
	s_addc_u32 s23, s13, s23
	s_or_b32 s21, s16, 0x60
	s_delay_alu instid0(SALU_CYCLE_1) | instskip(SKIP_2) | instid1(SALU_CYCLE_1)
	s_ashr_i32 s24, s21, 4
	s_cmp_lt_i32 s21, s18
	s_cselect_b32 s24, s24, s3
	s_ashr_i32 s25, s24, 31
	s_delay_alu instid0(SALU_CYCLE_1) | instskip(NEXT) | instid1(SALU_CYCLE_1)
	s_lshl_b64 s[24:25], s[24:25], 2
	s_add_u32 s24, s17, s24
	s_addc_u32 s25, s13, s25
	s_or_b32 s21, s16, 0x80
	s_delay_alu instid0(SALU_CYCLE_1) | instskip(SKIP_2) | instid1(SALU_CYCLE_1)
	s_ashr_i32 s26, s21, 4
	s_cmp_lt_i32 s21, s18
	s_cselect_b32 s26, s26, s3
	s_ashr_i32 s27, s26, 31
	s_delay_alu instid0(SALU_CYCLE_1) | instskip(NEXT) | instid1(SALU_CYCLE_1)
	s_lshl_b64 s[26:27], s[26:27], 2
	;; [unrolled: 10-line block ×3, first 2 shown]
	s_add_u32 s28, s17, s28
	s_addc_u32 s29, s13, s29
	s_clause 0x5
	s_load_b32 s12, s[6:7], 0x0
	s_load_b32 s4, s[8:9], 0x0
	;; [unrolled: 1-line block ×6, first 2 shown]
	s_or_b32 s21, s16, 0xc0
	s_delay_alu instid0(SALU_CYCLE_1) | instskip(SKIP_2) | instid1(SALU_CYCLE_1)
	s_ashr_i32 s22, s21, 4
	s_cmp_lt_i32 s21, s18
	s_cselect_b32 s22, s22, s3
	s_ashr_i32 s23, s22, 31
	s_delay_alu instid0(SALU_CYCLE_1) | instskip(NEXT) | instid1(SALU_CYCLE_1)
	s_lshl_b64 s[22:23], s[22:23], 2
	s_add_u32 s22, s17, s22
	s_addc_u32 s23, s13, s23
	s_or_b32 s21, s16, 0xe0
	s_delay_alu instid0(SALU_CYCLE_1) | instskip(SKIP_2) | instid1(SALU_CYCLE_1)
	s_ashr_i32 s24, s21, 4
	s_cmp_lt_i32 s21, s18
	s_cselect_b32 s24, s24, s3
	s_ashr_i32 s25, s24, 31
	s_delay_alu instid0(SALU_CYCLE_1)
	s_lshl_b64 s[24:25], s[24:25], 2
	s_waitcnt vmcnt(1)
	v_mad_i64_i32 v[3:4], null, v5, s5, v[1:2]
	s_waitcnt vmcnt(0)
	v_mad_i64_i32 v[5:6], null, v7, s5, v[1:2]
	v_lshlrev_b32_e32 v1, 4, v68
	s_clause 0x7
	global_load_b128 v[71:74], v[3:4], off
	global_load_b128 v[75:78], v[3:4], off offset:256
	global_load_b128 v[79:82], v[5:6], off
	global_load_b128 v[83:86], v[5:6], off offset:256
	global_load_b128 v[87:90], v[3:4], off offset:512
	;; [unrolled: 1-line block ×5, first 2 shown]
	v_lshl_or_b32 v1, v69, 8, v1
	s_load_b32 s3, s[22:23], 0x0
	s_add_u32 s22, s17, s24
	s_addc_u32 s23, s13, s25
	s_add_u32 s10, s10, s15
	s_addc_u32 s11, s11, s20
	v_add_co_u32 v1, s10, s10, v1
	s_delay_alu instid0(VALU_DEP_1) | instskip(SKIP_2) | instid1(VALU_DEP_1)
	v_add_co_ci_u32_e64 v2, null, s11, 0, s10
	s_load_b32 s10, s[22:23], 0x0
	s_waitcnt lgkmcnt(0)
	v_mad_i64_i32 v[3:4], null, s12, s5, v[1:2]
	v_mad_i64_i32 v[9:10], null, s7, s5, v[1:2]
	;; [unrolled: 1-line block ×7, first 2 shown]
	s_clause 0x5
	global_load_b128 v[49:52], v[3:4], off
	global_load_b128 v[53:56], v[3:4], off offset:16
	global_load_b128 v[41:44], v[5:6], off
	global_load_b128 v[45:48], v[5:6], off offset:16
	global_load_b128 v[33:36], v[7:8], off
	global_load_b128 v[37:40], v[7:8], off offset:16
	s_mov_b32 s4, 0
	v_mad_i64_i32 v[61:62], null, s10, s5, v[1:2]
	s_clause 0x9
	global_load_b128 v[1:4], v[9:10], off
	global_load_b128 v[5:8], v[9:10], off offset:16
	global_load_b128 v[9:12], v[13:14], off
	global_load_b128 v[13:16], v[13:14], off offset:16
	;; [unrolled: 2-line block ×5, first 2 shown]
	s_mov_b32 s5, s4
	s_mov_b32 s6, s4
	;; [unrolled: 1-line block ×7, first 2 shown]
	v_and_b32_e32 v104, 0xe0, v0
	v_dual_mov_b32 v126, s11 :: v_dual_mov_b32 v123, s8
	v_dual_mov_b32 v125, s10 :: v_dual_mov_b32 v124, s9
	s_delay_alu instid0(VALU_DEP_3)
	v_add_nc_u32_e32 v111, s16, v104
	ds_load_b128 v[103:106], v115
	ds_load_b128 v[107:110], v115 offset:1024
	v_dual_mov_b32 v122, s7 :: v_dual_mov_b32 v121, s6
	v_mov_b32_e32 v120, s5
	v_or_b32_e32 v135, v111, v66
	ds_load_b128 v[111:114], v115 offset:2048
	ds_load_b128 v[115:118], v115 offset:3072
	v_mov_b32_e32 v119, s4
	s_waitcnt vmcnt(0) lgkmcnt(0)
	s_barrier
	v_or_b32_e32 v137, 2, v135
	v_or_b32_e32 v138, 4, v135
	;; [unrolled: 1-line block ×3, first 2 shown]
	v_cmp_gt_i32_e32 vcc_lo, s18, v135
	v_or_b32_e32 v140, 8, v135
	v_cmp_gt_i32_e64 s3, s18, v137
	v_or_b32_e32 v141, 10, v135
	v_cmp_gt_i32_e64 s4, s18, v138
	v_cmp_gt_i32_e64 s5, s18, v139
	v_or_b32_e32 v142, 12, v135
	v_or_b32_e32 v143, 14, v135
	v_cmp_gt_i32_e64 s6, s18, v140
	v_cmp_gt_i32_e64 s7, s18, v141
	v_or_b32_e32 v144, 16, v135
	v_or_b32_e32 v145, 18, v135
	v_cmp_gt_i32_e64 s8, s18, v142
	v_cmp_gt_i32_e64 s9, s18, v143
	buffer_gl0_inv
	v_cmp_gt_i32_e64 s10, s18, v144
	v_cmp_gt_i32_e64 s11, s18, v145
	v_wmma_f32_16x16x16_f16 v[127:134], v[71:78], v[103:110], v[119:126]
	v_wmma_f32_16x16x16_f16 v[119:126], v[79:86], v[103:110], v[119:126]
	v_or_b32_e32 v71, 20, v135
	v_or_b32_e32 v72, 22, v135
	s_delay_alu instid0(VALU_DEP_4)
	v_wmma_f32_16x16x16_f16 v[127:134], v[87:94], v[111:118], v[127:134]
	v_or_b32_e32 v73, 24, v135
	v_wmma_f32_16x16x16_f16 v[119:126], v[95:102], v[111:118], v[119:126]
	v_or_b32_e32 v74, 26, v135
	v_cmp_gt_i32_e64 s12, s18, v71
	v_dual_mul_f32 v83, s19, v128 :: v_dual_mul_f32 v84, s19, v127
	s_delay_alu instid0(VALU_DEP_4) | instskip(SKIP_1) | instid1(VALU_DEP_3)
	v_dual_mul_f32 v81, s19, v130 :: v_dual_mul_f32 v92, s19, v119
	v_mul_f32_e32 v82, s19, v129
	v_cndmask_b32_e64 v83, 0xff7fffff, v83, s3
	s_delay_alu instid0(VALU_DEP_4)
	v_cndmask_b32_e32 v84, 0xff7fffff, v84, vcc_lo
	v_dual_mul_f32 v79, s19, v132 :: v_dual_mul_f32 v90, s19, v121
	v_mul_f32_e32 v80, s19, v131
	v_cndmask_b32_e64 v82, 0xff7fffff, v82, s4
	v_cndmask_b32_e64 v81, 0xff7fffff, v81, s5
	v_max3_f32 v83, v84, 0xff7fffff, v83
	v_dual_mul_f32 v77, s19, v134 :: v_dual_mul_f32 v88, s19, v123
	v_mul_f32_e32 v78, s19, v133
	v_cndmask_b32_e64 v80, 0xff7fffff, v80, s6
	v_cndmask_b32_e64 v79, 0xff7fffff, v79, s7
	v_max3_f32 v81, v83, v82, v81
	v_mul_f32_e32 v91, s19, v120
	v_cndmask_b32_e64 v78, 0xff7fffff, v78, s8
	v_cndmask_b32_e64 v77, 0xff7fffff, v77, s9
	v_mul_f32_e32 v89, s19, v122
	v_max3_f32 v79, v81, v80, v79
	v_cndmask_b32_e64 v80, 0xff7fffff, v92, s10
	v_cndmask_b32_e64 v81, 0xff7fffff, v91, s11
	v_cmp_gt_i32_e64 s13, s18, v72
	v_or_b32_e32 v75, 28, v135
	v_max3_f32 v77, v79, v78, v77
	v_or_b32_e32 v76, 30, v135
	v_mul_f32_e32 v87, s19, v124
	v_cndmask_b32_e64 v71, 0xff7fffff, v90, s12
	v_cndmask_b32_e64 v72, 0xff7fffff, v89, s13
	v_max3_f32 v77, v77, v80, v81
	v_cmp_gt_i32_e64 s15, s18, v73
	v_cmp_gt_i32_e64 s16, s18, v74
	v_dual_mul_f32 v85, s19, v126 :: v_dual_mul_f32 v86, s19, v125
	s_delay_alu instid0(VALU_DEP_4) | instskip(NEXT) | instid1(VALU_DEP_4)
	v_max3_f32 v71, v77, v71, v72
	v_cndmask_b32_e64 v73, 0xff7fffff, v88, s15
	s_delay_alu instid0(VALU_DEP_4) | instskip(SKIP_2) | instid1(VALU_DEP_3)
	v_cndmask_b32_e64 v74, 0xff7fffff, v87, s16
	v_cmp_gt_i32_e64 s17, s18, v75
	v_cmp_gt_i32_e64 s18, s18, v76
	v_max3_f32 v71, v71, v73, v74
	s_delay_alu instid0(VALU_DEP_3) | instskip(NEXT) | instid1(VALU_DEP_3)
	v_cndmask_b32_e64 v72, 0xff7fffff, v86, s17
	v_cndmask_b32_e64 v75, 0xff7fffff, v85, s18
	v_lshlrev_b32_e32 v73, 2, v136
	s_delay_alu instid0(VALU_DEP_2) | instskip(SKIP_3) | instid1(VALU_DEP_1)
	v_max3_f32 v71, v71, v72, v75
	ds_bpermute_b32 v72, v73, v71
	s_waitcnt lgkmcnt(0)
	v_max_f32_e32 v72, v72, v72
	v_max_f32_e32 v71, v71, v72
	s_delay_alu instid0(VALU_DEP_1)
	v_fma_f32 v72, s19, v127, -v71
	v_fma_f32 v74, s19, v128, -v71
	;; [unrolled: 1-line block ×5, first 2 shown]
	v_mul_f32_e32 v72, 0x3fb8aa3b, v72
	v_mul_f32_e32 v74, 0x3fb8aa3b, v74
	v_fma_f32 v80, s19, v133, -v71
	s_delay_alu instid0(VALU_DEP_4) | instskip(NEXT) | instid1(VALU_DEP_4)
	v_dual_mul_f32 v76, 0x3fb8aa3b, v76 :: v_dual_mul_f32 v77, 0x3fb8aa3b, v77
	v_exp_f32_e32 v72, v72
	s_delay_alu instid0(VALU_DEP_3) | instskip(NEXT) | instid1(VALU_DEP_2)
	v_exp_f32_e32 v74, v74
	v_mul_f32_e32 v82, 0x3fb8aa3b, v80
	s_delay_alu instid0(VALU_DEP_2) | instskip(SKIP_1) | instid1(VALU_DEP_1)
	v_exp_f32_e32 v76, v76
	v_exp_f32_e32 v77, v77
	;; [unrolled: 1-line block ×3, first 2 shown]
	v_cndmask_b32_e32 v79, 0, v72, vcc_lo
	v_fma_f32 v72, s19, v132, -v71
	v_mul_f32_e32 v75, 0x3fb8aa3b, v75
	v_cndmask_b32_e64 v78, 0, v74, s3
	s_delay_alu instid0(TRANS32_DEP_3)
	v_cndmask_b32_e64 v80, 0, v76, s5
	v_add_f32_e32 v74, 0, v79
	v_mul_f32_e32 v72, 0x3fb8aa3b, v72
	v_exp_f32_e32 v75, v75
	v_cndmask_b32_e64 v83, 0, v77, s6
	v_cndmask_b32_e64 v85, 0, v84, s8
	v_add_f32_e32 v74, v74, v78
	v_exp_f32_e32 v72, v72
	v_cmp_gt_u32_e64 s3, 16, v70
	s_waitcnt_depctr 0xfff
	v_cndmask_b32_e64 v81, 0, v75, s4
	v_cndmask_b32_e64 v82, 0, v72, s7
	s_delay_alu instid0(VALU_DEP_2) | instskip(NEXT) | instid1(VALU_DEP_1)
	v_add_f32_e32 v74, v74, v81
	v_add_f32_e32 v74, v74, v80
	s_delay_alu instid0(VALU_DEP_1) | instskip(SKIP_4) | instid1(VALU_DEP_4)
	v_add_f32_e32 v72, v74, v83
	v_fma_f32 v75, s19, v134, -v71
	v_fma_f32 v76, s19, v119, -v71
	;; [unrolled: 1-line block ×4, first 2 shown]
	v_dual_add_f32 v72, v72, v82 :: v_dual_mul_f32 v75, 0x3fb8aa3b, v75
	s_delay_alu instid0(VALU_DEP_3) | instskip(SKIP_1) | instid1(VALU_DEP_3)
	v_dual_mul_f32 v76, 0x3fb8aa3b, v76 :: v_dual_mul_f32 v77, 0x3fb8aa3b, v77
	v_fma_f32 v86, s19, v122, -v71
	v_add_f32_e32 v72, v72, v85
	s_delay_alu instid0(VALU_DEP_4) | instskip(NEXT) | instid1(VALU_DEP_3)
	v_exp_f32_e32 v75, v75
	v_exp_f32_e32 v76, v76
	;; [unrolled: 1-line block ×3, first 2 shown]
	v_mul_f32_e32 v86, 0x3fb8aa3b, v86
	s_delay_alu instid0(VALU_DEP_1) | instskip(SKIP_3) | instid1(TRANS32_DEP_3)
	v_exp_f32_e32 v88, v86
	v_cndmask_b32_e64 v84, 0, v75, s9
	v_fma_f32 v75, s19, v123, -v71
	v_mul_f32_e32 v74, 0x3fb8aa3b, v74
	v_cndmask_b32_e64 v87, 0, v76, s10
	v_fma_f32 v76, s19, v124, -v71
	s_delay_alu instid0(VALU_DEP_4) | instskip(NEXT) | instid1(VALU_DEP_4)
	v_dual_add_f32 v72, v72, v84 :: v_dual_mul_f32 v75, 0x3fb8aa3b, v75
	v_exp_f32_e32 v74, v74
	v_cndmask_b32_e64 v86, 0, v77, s11
	v_fma_f32 v77, s19, v125, -v71
	s_delay_alu instid0(VALU_DEP_3) | instskip(SKIP_3) | instid1(VALU_DEP_3)
	v_add_f32_e32 v72, v72, v87
	v_mul_f32_e32 v76, 0x3fb8aa3b, v76
	v_exp_f32_e32 v75, v75
	v_cndmask_b32_e64 v88, 0, v88, s13
	v_add_f32_e32 v72, v72, v86
	s_delay_alu instid0(VALU_DEP_3) | instskip(NEXT) | instid1(TRANS32_DEP_3)
	v_exp_f32_e32 v76, v76
	v_cndmask_b32_e64 v89, 0, v74, s12
	v_mul_f32_e32 v74, 0x3fb8aa3b, v77
	v_fma_f32 v77, s19, v126, -v71
	s_delay_alu instid0(VALU_DEP_3) | instskip(NEXT) | instid1(VALU_DEP_3)
	v_add_f32_e32 v72, v72, v89
	v_exp_f32_e32 v74, v74
	s_delay_alu instid0(TRANS32_DEP_3) | instskip(NEXT) | instid1(VALU_DEP_3)
	v_cndmask_b32_e64 v91, 0, v75, s15
	v_mul_f32_e32 v75, 0x3fb8aa3b, v77
	s_delay_alu instid0(TRANS32_DEP_2) | instskip(SKIP_1) | instid1(VALU_DEP_3)
	v_cndmask_b32_e64 v90, 0, v76, s16
	v_add_f32_e32 v72, v72, v88
	v_exp_f32_e32 v75, v75
	s_delay_alu instid0(VALU_DEP_1) | instskip(NEXT) | instid1(TRANS32_DEP_2)
	v_add_f32_e32 v72, v72, v91
	v_cndmask_b32_e64 v93, 0, v74, s17
	s_delay_alu instid0(VALU_DEP_2) | instskip(SKIP_3) | instid1(VALU_DEP_1)
	v_add_f32_e32 v72, v72, v90
	s_waitcnt_depctr 0xfff
	v_cndmask_b32_e64 v92, 0, v75, s18
	v_add_f32_e32 v72, v72, v93
	v_add_f32_e32 v72, v72, v92
	ds_bpermute_b32 v73, v73, v72
	s_and_saveexec_b32 s4, s3
	s_cbranch_execz .LBB796_12
; %bb.11:
	v_mul_u32_u24_e32 v70, 0x44, v69
	s_waitcnt lgkmcnt(0)
	v_add_f32_e32 v72, v72, v73
	s_delay_alu instid0(VALU_DEP_2) | instskip(NEXT) | instid1(VALU_DEP_1)
	v_lshl_add_u32 v70, v68, 2, v70
	v_add_nc_u32_e32 v70, 0x4000, v70
	ds_store_2addr_b32 v70, v71, v72 offset1:136
.LBB796_12:
	s_or_b32 exec_lo, exec_lo, s4
	v_lshlrev_b32_e32 v70, 2, v68
	s_load_b32 s36, s[0:1], 0x94
	s_waitcnt lgkmcnt(0)
	s_barrier
	buffer_gl0_inv
	v_add_nc_u32_e32 v98, 0x4000, v70
	v_cmp_eq_u32_e32 vcc_lo, 1, v69
	v_cmp_eq_u32_e64 s4, 2, v69
	v_cmp_eq_u32_e64 s5, 3, v69
	;; [unrolled: 1-line block ×3, first 2 shown]
	ds_load_2addr_b32 v[70:71], v98 offset1:17
	ds_load_2addr_b32 v[72:73], v98 offset0:34 offset1:51
	ds_load_2addr_b32 v[74:75], v98 offset0:68 offset1:85
	;; [unrolled: 1-line block ×3, first 2 shown]
	v_cmp_eq_u32_e64 s7, 5, v69
	v_cmp_eq_u32_e64 s8, 7, v69
	s_waitcnt lgkmcnt(3)
	v_max3_f32 v76, v70, 0xff7fffff, v71
	s_waitcnt lgkmcnt(2)
	s_delay_alu instid0(VALU_DEP_1) | instskip(SKIP_1) | instid1(VALU_DEP_1)
	v_max3_f32 v76, v76, v72, v73
	s_waitcnt lgkmcnt(1)
	v_max3_f32 v76, v76, v74, v75
	s_waitcnt lgkmcnt(0)
	s_delay_alu instid0(VALU_DEP_1) | instskip(NEXT) | instid1(VALU_DEP_1)
	v_max3_f32 v76, v76, v94, v95
	v_sub_f32_e32 v77, v71, v76
	ds_load_2addr_b32 v[96:97], v98 offset0:136 offset1:153
	v_sub_f32_e32 v74, v74, v76
	v_sub_f32_e32 v70, v70, v76
	;; [unrolled: 1-line block ×3, first 2 shown]
	v_dual_sub_f32 v72, v72, v76 :: v_dual_mul_f32 v77, 0x3fb8aa3b, v77
	s_delay_alu instid0(VALU_DEP_4) | instskip(NEXT) | instid1(VALU_DEP_4)
	v_mul_f32_e32 v103, 0x3fb8aa3b, v74
	v_mul_f32_e32 v99, 0x3fb8aa3b, v70
	ds_load_2addr_b32 v[70:71], v98 offset0:170 offset1:187
	v_dual_mul_f32 v101, 0x3fb8aa3b, v72 :: v_dual_mul_f32 v94, 0x3fb8aa3b, v94
	v_exp_f32_e32 v102, v77
	v_exp_f32_e32 v99, v99
	s_delay_alu instid0(VALU_DEP_1) | instskip(NEXT) | instid1(VALU_DEP_1)
	v_exp_f32_e32 v101, v101
	v_exp_f32_e32 v94, v94
	s_waitcnt lgkmcnt(1)
	s_delay_alu instid0(TRANS32_DEP_3)
	v_fma_f32 v77, v99, v96, 0
	v_sub_f32_e32 v100, v73, v76
	ds_load_2addr_b32 v[72:73], v98 offset0:204 offset1:221
	v_fmac_f32_e32 v77, v102, v97
	v_exp_f32_e32 v97, v103
	s_waitcnt lgkmcnt(1)
	s_delay_alu instid0(VALU_DEP_1)
	v_dual_fmac_f32 v77, v101, v70 :: v_dual_sub_f32 v96, v75, v76
	ds_load_2addr_b32 v[74:75], v98 offset0:238 offset1:255
	v_sub_f32_e32 v70, v95, v76
	s_waitcnt lgkmcnt(0)
	s_barrier
	v_mul_f32_e32 v96, 0x3fb8aa3b, v96
	buffer_gl0_inv
	v_exp_f32_e32 v95, v96
	v_mul_f32_e32 v100, 0x3fb8aa3b, v100
	s_delay_alu instid0(VALU_DEP_1) | instskip(SKIP_3) | instid1(VALU_DEP_2)
	v_exp_f32_e32 v100, v100
	s_waitcnt_depctr 0xfff
	v_dual_fmac_f32 v77, v100, v71 :: v_dual_mul_f32 v70, 0x3fb8aa3b, v70
	v_cndmask_b32_e32 v71, v99, v102, vcc_lo
	v_fmac_f32_e32 v77, v97, v72
	s_delay_alu instid0(VALU_DEP_3) | instskip(NEXT) | instid1(VALU_DEP_1)
	v_exp_f32_e32 v96, v70
	v_fmac_f32_e32 v77, v95, v73
	s_delay_alu instid0(VALU_DEP_1) | instskip(SKIP_2) | instid1(VALU_DEP_1)
	v_fmac_f32_e32 v77, v94, v74
	s_waitcnt_depctr 0xfff
	v_fmac_f32_e32 v77, v96, v75
	v_add_f32_e32 v74, 0x358637bd, v77
	s_delay_alu instid0(VALU_DEP_1) | instskip(SKIP_1) | instid1(VALU_DEP_2)
	v_div_scale_f32 v98, null, v74, v74, 1.0
	v_div_scale_f32 v99, vcc_lo, 1.0, v74, 1.0
	v_rcp_f32_e32 v103, v98
	s_waitcnt_depctr 0xfff
	v_fma_f32 v70, -v98, v103, 1.0
	s_delay_alu instid0(VALU_DEP_1) | instskip(SKIP_2) | instid1(VALU_DEP_2)
	v_fmac_f32_e32 v103, v70, v103
	v_cndmask_b32_e64 v70, v71, v101, s4
	v_cmp_eq_u32_e64 s4, 6, v69
	v_cndmask_b32_e64 v71, v70, v100, s5
	s_delay_alu instid0(VALU_DEP_4) | instskip(NEXT) | instid1(VALU_DEP_2)
	v_dual_mul_f32 v101, v99, v103 :: v_dual_lshlrev_b32 v70, 2, v66
	v_cndmask_b32_e64 v71, v71, v97, s6
	s_delay_alu instid0(VALU_DEP_2) | instskip(NEXT) | instid1(VALU_DEP_3)
	v_or_b32_e32 v72, 1, v70
	v_fma_f32 v100, -v98, v101, v99
	v_cmp_eq_u32_e64 s5, 1, v70
	v_cmp_eq_u32_e64 s6, 2, v70
	v_cndmask_b32_e64 v95, v71, v95, s7
	v_or_b32_e32 v71, 3, v70
	v_fmac_f32_e32 v101, v100, v103
	v_cmp_eq_u32_e64 s10, 1, v72
	v_cmp_eq_u32_e64 s13, 2, v72
	v_cndmask_b32_e64 v94, v95, v94, s4
	v_cmp_eq_u32_e64 s12, 1, v71
	v_fma_f32 v97, -v98, v101, v99
	v_cmp_eq_u32_e64 s17, 2, v71
	v_cmp_eq_u32_e64 s15, 3, v72
	v_cndmask_b32_e64 v94, v94, v96, s8
	v_cmp_eq_u32_e64 s19, 3, v71
	v_div_fmas_f32 v95, v97, v103, v101
	v_cmp_eq_u32_e32 vcc_lo, 3, v70
	v_cmp_eq_u32_e64 s4, 4, v70
	v_cmp_eq_u32_e64 s20, 4, v72
	;; [unrolled: 1-line block ×3, first 2 shown]
	v_div_fixup_f32 v95, v95, v74, 1.0
	v_lshlrev_b32_e32 v73, 6, v68
	v_cmp_eq_u32_e64 s7, 5, v70
	v_cmp_eq_u32_e64 s21, 5, v72
	;; [unrolled: 1-line block ×3, first 2 shown]
	v_mul_f32_e32 v102, v94, v95
	v_lshl_or_b32 v75, v69, 11, v73
	v_or_b32_e32 v69, 2, v70
	v_cmp_eq_u32_e64 s26, 6, v72
	v_cmp_eq_u32_e64 s28, 6, v71
	v_fma_mixlo_f16 v94, v102, v79, 0
	v_fma_mixlo_f16 v95, v102, v81, 0
	;; [unrolled: 1-line block ×8, first 2 shown]
	v_lshl_or_b32 v74, v66, 4, v75
	v_fma_mixhi_f16 v94, v102, v78, 0
	v_fma_mixhi_f16 v95, v102, v80, 0
	;; [unrolled: 1-line block ×8, first 2 shown]
	ds_store_b128 v74, v[94:97]
	ds_store_b128 v74, v[98:101] offset:1024
	s_waitcnt lgkmcnt(0)
	s_barrier
	buffer_gl0_inv
	ds_load_b128 v[78:81], v75
	ds_load_b128 v[82:85], v75 offset:16
	ds_load_b128 v[86:89], v75 offset:1024
	;; [unrolled: 1-line block ×3, first 2 shown]
	v_cmp_eq_u32_e64 s11, 1, v69
	v_cmp_eq_u32_e64 s16, 2, v69
	;; [unrolled: 1-line block ×11, first 2 shown]
	s_waitcnt lgkmcnt(3)
	v_lshrrev_b32_e32 v94, 16, v78
	s_waitcnt lgkmcnt(2)
	v_lshrrev_b32_e32 v98, 16, v82
	;; [unrolled: 2-line block ×4, first 2 shown]
	v_lshrrev_b32_e32 v95, 16, v79
	v_cndmask_b32_e64 v110, v78, v94, s5
	v_cndmask_b32_e64 v111, v82, v98, s5
	;; [unrolled: 1-line block ×8, first 2 shown]
	v_lshrrev_b32_e32 v99, 16, v83
	v_cndmask_b32_e64 v94, v86, v102, s5
	v_cndmask_b32_e64 v98, v90, v106, s5
	;; [unrolled: 1-line block ×15, first 2 shown]
	v_lshrrev_b32_e32 v103, 16, v87
	v_lshrrev_b32_e32 v107, 16, v91
	v_cndmask_b32_e64 v113, v115, v83, s16
	v_cndmask_b32_e64 v82, v94, v87, s6
	;; [unrolled: 1-line block ×7, first 2 shown]
	v_cndmask_b32_e32 v90, v102, v95, vcc_lo
	v_cndmask_b32_e32 v102, v106, v99, vcc_lo
	v_cndmask_b32_e64 v106, v110, v95, s15
	v_cndmask_b32_e64 v110, v111, v99, s15
	;; [unrolled: 1-line block ×4, first 2 shown]
	v_lshrrev_b32_e32 v96, 16, v80
	v_lshrrev_b32_e32 v100, 16, v84
	v_cndmask_b32_e64 v111, v112, v95, s18
	v_cndmask_b32_e64 v112, v113, v99, s18
	v_cndmask_b32_e32 v82, v82, v103, vcc_lo
	v_cndmask_b32_e32 v83, v83, v107, vcc_lo
	v_cndmask_b32_e64 v94, v94, v103, s15
	v_cndmask_b32_e64 v90, v90, v80, s4
	;; [unrolled: 1-line block ×7, first 2 shown]
	v_lshrrev_b32_e32 v104, 16, v88
	v_cndmask_b32_e64 v106, v111, v80, s22
	v_cndmask_b32_e64 v110, v112, v84, s22
	;; [unrolled: 1-line block ×11, first 2 shown]
	v_lshrrev_b32_e32 v97, 16, v81
	v_lshrrev_b32_e32 v101, 16, v85
	v_cndmask_b32_e64 v99, v106, v96, s24
	v_cndmask_b32_e64 v102, v110, v100, s24
	;; [unrolled: 1-line block ×7, first 2 shown]
	v_lshrrev_b32_e32 v105, 16, v89
	v_cndmask_b32_e64 v80, v80, v104, s7
	v_cndmask_b32_e64 v84, v84, v81, s8
	;; [unrolled: 1-line block ×16, first 2 shown]
	v_perm_b32 v81, v79, v78, 0x5040100
	v_perm_b32 v79, v95, v85, 0x5040100
	v_cndmask_b32_e64 v78, v119, v91, s16
	v_cndmask_b32_e64 v85, v117, v91, s13
	;; [unrolled: 1-line block ×3, first 2 shown]
	v_perm_b32 v80, v94, v90, 0x5040100
	v_cndmask_b32_e64 v90, v98, v103, s18
	v_cndmask_b32_e64 v86, v86, v103, s19
	;; [unrolled: 1-line block ×5, first 2 shown]
	v_lshrrev_b32_e32 v108, 16, v92
	v_cndmask_b32_e64 v90, v90, v88, s22
	v_cndmask_b32_e64 v86, v86, v88, s23
	;; [unrolled: 1-line block ×11, first 2 shown]
	v_lshrrev_b32_e32 v109, 16, v93
	v_cndmask_b32_e64 v82, v82, v93, s8
	v_cndmask_b32_e64 v88, v88, v89, s27
	;; [unrolled: 1-line block ×12, first 2 shown]
	v_perm_b32 v78, v84, v83, 0x5040100
	v_perm_b32 v85, v87, v86, 0x5040100
	;; [unrolled: 1-line block ×5, first 2 shown]
	s_mul_i32 s9, s35, 7
	s_mov_b32 s4, exec_lo
	ds_store_b128 v74, v[78:81]
	ds_store_b128 v74, v[82:85] offset:1024
	v_cmpx_gt_u32_e32 7, v0
	s_cbranch_execz .LBB796_14
; %bb.13:
	s_mul_i32 s5, s9, s34
	s_load_b128 s[16:19], s[0:1], 0x58
	v_add3_u32 v68, s5, s33, v68
	s_delay_alu instid0(VALU_DEP_1) | instskip(NEXT) | instid1(VALU_DEP_1)
	v_mad_u64_u32 v[78:79], null, v68, s36, s[14:15]
	v_ashrrev_i32_e32 v79, 31, v78
	s_delay_alu instid0(VALU_DEP_1) | instskip(SKIP_1) | instid1(VALU_DEP_1)
	v_lshlrev_b64 v[78:79], 2, v[78:79]
	s_waitcnt lgkmcnt(0)
	v_add_co_u32 v80, vcc_lo, s18, v78
	s_delay_alu instid0(VALU_DEP_2)
	v_add_co_ci_u32_e32 v81, vcc_lo, s19, v79, vcc_lo
	v_add_co_u32 v78, vcc_lo, s16, v78
	v_add_co_ci_u32_e32 v79, vcc_lo, s17, v79, vcc_lo
	global_store_b32 v[80:81], v76, off
	global_store_b32 v[78:79], v77, off
.LBB796_14:
	s_or_b32 exec_lo, exec_lo, s4
	s_waitcnt lgkmcnt(0)
	s_waitcnt_vscnt null, 0x0
	s_barrier
	buffer_gl0_inv
	ds_load_b128 v[84:87], v73
	ds_load_b128 v[88:91], v73 offset:16
	ds_load_b128 v[96:99], v73 offset:2064
	;; [unrolled: 1-line block ×5, first 2 shown]
	v_cmp_eq_u32_e32 vcc_lo, 1, v70
	v_mov_b32_e32 v76, 0
	ds_load_b128 v[112:115], v73 offset:6160
	ds_load_b128 v[108:111], v73 offset:6144
	;; [unrolled: 1-line block ×4, first 2 shown]
	v_cmp_eq_u32_e64 s5, 1, v69
	v_cmp_eq_u32_e64 s4, 1, v72
	;; [unrolled: 1-line block ×3, first 2 shown]
	v_mov_b32_e32 v77, v76
	v_mov_b32_e32 v78, v76
	;; [unrolled: 1-line block ×7, first 2 shown]
	v_cmp_eq_u32_e64 s7, 3, v72
	v_cmp_eq_u32_e64 s8, 7, v72
	s_waitcnt lgkmcnt(8)
	s_delay_alu instid0(VALU_DEP_3)
	v_wmma_f32_16x16x16_f16 v[76:83], v[49:56], v[84:91], v[76:83]
	ds_load_b128 v[53:56], v73 offset:10256
	ds_load_b128 v[49:52], v73 offset:10240
	s_waitcnt lgkmcnt(8)
	v_wmma_f32_16x16x16_f16 v[76:83], v[41:48], v[92:99], v[76:83]
	ds_load_b128 v[45:48], v73 offset:12304
	ds_load_b128 v[41:44], v73 offset:12288
	s_waitcnt lgkmcnt(8)
	;; [unrolled: 4-line block ×3, first 2 shown]
	s_barrier
	buffer_gl0_inv
	v_wmma_f32_16x16x16_f16 v[76:83], v[1:8], v[108:115], v[76:83]
	s_delay_alu instid0(VALU_DEP_1) | instskip(NEXT) | instid1(VALU_DEP_1)
	v_wmma_f32_16x16x16_f16 v[76:83], v[9:16], v[116:123], v[76:83]
	v_wmma_f32_16x16x16_f16 v[76:83], v[17:24], v[49:56], v[76:83]
	s_delay_alu instid0(VALU_DEP_1) | instskip(NEXT) | instid1(VALU_DEP_1)
	v_wmma_f32_16x16x16_f16 v[76:83], v[25:32], v[41:48], v[76:83]
	v_wmma_f32_16x16x16_f16 v[76:83], v[57:64], v[33:40], v[76:83]
	s_delay_alu instid0(VALU_DEP_1) | instskip(NEXT) | instid1(VALU_DEP_2)
	v_cvt_f16_f32_e32 v1, v76
	v_cvt_f16_f32_e32 v2, v77
	s_delay_alu instid0(VALU_DEP_3) | instskip(NEXT) | instid1(VALU_DEP_4)
	v_cvt_f16_f32_e32 v3, v78
	v_cvt_f16_f32_e32 v4, v79
	;; [unrolled: 1-line block ×6, first 2 shown]
	v_pack_b32_f16 v1, v1, v2
	v_pack_b32_f16 v2, v3, v4
	;; [unrolled: 1-line block ×3, first 2 shown]
	s_delay_alu instid0(VALU_DEP_4)
	v_pack_b32_f16 v4, v7, v8
	ds_store_b128 v74, v[1:4]
	s_waitcnt lgkmcnt(0)
	s_barrier
	buffer_gl0_inv
	ds_load_b128 v[1:4], v75
	ds_load_b128 v[5:8], v75 offset:16
	s_waitcnt lgkmcnt(1)
	v_lshrrev_b32_e32 v9, 16, v1
	s_waitcnt lgkmcnt(0)
	v_lshrrev_b32_e32 v13, 16, v5
	v_lshrrev_b32_e32 v10, 16, v2
	;; [unrolled: 1-line block ×4, first 2 shown]
	v_cndmask_b32_e32 v17, v1, v9, vcc_lo
	v_cndmask_b32_e32 v18, v5, v13, vcc_lo
	v_cndmask_b32_e64 v21, v1, v9, s5
	v_cmp_eq_u32_e32 vcc_lo, 1, v71
	v_cndmask_b32_e64 v22, v5, v13, s5
	v_cmp_eq_u32_e64 s5, 2, v70
	v_cndmask_b32_e64 v19, v1, v9, s4
	v_cndmask_b32_e64 v20, v5, v13, s4
	v_cndmask_b32_e32 v1, v1, v9, vcc_lo
	v_cmp_eq_u32_e64 s4, 2, v71
	v_cndmask_b32_e32 v5, v5, v13, vcc_lo
	v_cndmask_b32_e64 v9, v17, v2, s5
	v_cmp_eq_u32_e32 vcc_lo, 3, v70
	v_cndmask_b32_e64 v13, v18, v6, s5
	v_cmp_eq_u32_e64 s5, 2, v69
	v_cndmask_b32_e64 v17, v19, v2, s6
	v_cndmask_b32_e64 v18, v20, v6, s6
	v_cmp_eq_u32_e64 s6, 3, v69
	v_cndmask_b32_e64 v1, v1, v2, s4
	v_cndmask_b32_e64 v19, v21, v2, s5
	;; [unrolled: 1-line block ×4, first 2 shown]
	v_cndmask_b32_e32 v5, v9, v10, vcc_lo
	v_cndmask_b32_e32 v6, v13, v14, vcc_lo
	v_cmp_eq_u32_e32 vcc_lo, 3, v71
	v_cndmask_b32_e64 v9, v17, v10, s7
	v_cndmask_b32_e64 v13, v18, v14, s7
	;; [unrolled: 1-line block ×3, first 2 shown]
	v_cmp_eq_u32_e64 s5, 4, v70
	v_cndmask_b32_e32 v1, v1, v10, vcc_lo
	v_cndmask_b32_e32 v2, v2, v14, vcc_lo
	v_cmp_eq_u32_e32 vcc_lo, 4, v72
	v_lshrrev_b32_e32 v15, 16, v7
	v_lshrrev_b32_e32 v16, 16, v8
	v_cndmask_b32_e64 v17, v19, v10, s6
	v_cmp_eq_u32_e64 s4, 4, v71
	v_cndmask_b32_e64 v5, v5, v3, s5
	v_cndmask_b32_e64 v6, v6, v7, s5
	v_cndmask_b32_e32 v9, v9, v3, vcc_lo
	v_cmp_eq_u32_e64 s5, 5, v72
	v_cndmask_b32_e32 v10, v13, v7, vcc_lo
	v_cmp_eq_u32_e32 vcc_lo, 4, v69
	v_cmp_eq_u32_e64 s6, 5, v70
	v_cndmask_b32_e64 v2, v2, v7, s4
	v_cndmask_b32_e64 v9, v9, v11, s5
	;; [unrolled: 1-line block ×3, first 2 shown]
	v_cndmask_b32_e32 v13, v17, v3, vcc_lo
	v_cmp_eq_u32_e64 s5, 5, v69
	v_cndmask_b32_e32 v14, v18, v7, vcc_lo
	v_cndmask_b32_e64 v1, v1, v3, s4
	v_cmp_eq_u32_e32 vcc_lo, 5, v71
	v_lshrrev_b32_e32 v12, 16, v4
	v_cndmask_b32_e64 v13, v13, v11, s5
	v_cndmask_b32_e64 v3, v14, v15, s5
	v_cmp_eq_u32_e64 s5, 6, v71
	v_cndmask_b32_e32 v1, v1, v11, vcc_lo
	v_cndmask_b32_e64 v5, v5, v11, s6
	v_cmp_eq_u32_e64 s7, 6, v70
	v_cndmask_b32_e64 v6, v6, v15, s6
	v_cmp_eq_u32_e64 s6, 6, v72
	v_cmp_eq_u32_e64 s4, 6, v69
	v_cndmask_b32_e64 v1, v1, v4, s5
	v_cndmask_b32_e32 v2, v2, v15, vcc_lo
	v_cmp_eq_u32_e32 vcc_lo, 7, v71
	v_cndmask_b32_e64 v5, v5, v4, s7
	v_cndmask_b32_e64 v9, v9, v4, s6
	;; [unrolled: 1-line block ×3, first 2 shown]
	v_cmp_eq_u32_e64 s7, 7, v70
	v_cndmask_b32_e32 v1, v1, v12, vcc_lo
	v_cndmask_b32_e64 v7, v13, v4, s4
	v_cndmask_b32_e64 v3, v3, v8, s4
	;; [unrolled: 1-line block ×3, first 2 shown]
	v_cmp_eq_u32_e64 s4, 7, v69
	v_cndmask_b32_e64 v4, v10, v8, s6
	v_cndmask_b32_e64 v5, v5, v12, s7
	;; [unrolled: 1-line block ×3, first 2 shown]
	v_cndmask_b32_e32 v2, v2, v16, vcc_lo
	v_cndmask_b32_e64 v7, v7, v12, s4
	v_cndmask_b32_e64 v3, v3, v16, s4
	;; [unrolled: 1-line block ×4, first 2 shown]
	v_cmp_gt_u32_e32 vcc_lo, 32, v0
	v_perm_b32 v4, v2, v1, 0x5040100
	v_perm_b32 v3, v3, v7, 0x5040100
	v_perm_b32 v2, v8, v9, 0x5040100
	v_perm_b32 v1, v6, v5, 0x5040100
	s_and_b32 s2, vcc_lo, s2
	ds_store_b128 v74, v[1:4]
	s_waitcnt lgkmcnt(0)
	s_barrier
	buffer_gl0_inv
	s_and_saveexec_b32 s4, s2
	s_cbranch_execz .LBB796_2
; %bb.15:
	s_load_b64 s[4:5], s[0:1], 0x68
	v_lshlrev_b32_e32 v0, 10, v0
	v_add_nc_u32_e32 v2, s33, v66
	v_lshlrev_b32_e32 v3, 4, v67
	s_lshl_b32 s0, s36, 6
	s_delay_alu instid0(SALU_CYCLE_1) | instskip(NEXT) | instid1(VALU_DEP_2)
	s_mul_i32 s1, s0, s34
	v_mul_lo_u32 v1, v2, s0
	s_delay_alu instid0(VALU_DEP_2)
	v_and_or_b32 v0, 0x3800, v0, v3
	v_add_nc_u32_e32 v3, 2, v2
	s_mul_i32 s6, s1, s9
	v_add_nc_u32_e32 v4, 4, v2
	s_ashr_i32 s7, s6, 31
	v_lshl_or_b32 v11, v66, 6, v0
	s_lshl_b64 s[6:7], s[6:7], 1
	v_mul_lo_u32 v15, v3, s0
	v_mul_lo_u32 v17, v4, s0
	v_ashrrev_i32_e32 v2, 31, v1
	ds_load_b128 v[3:6], v11
	ds_load_b128 v[7:10], v11 offset:128
	ds_load_b128 v[11:14], v11 offset:256
	s_waitcnt lgkmcnt(0)
	s_add_u32 s1, s4, s6
	s_addc_u32 s2, s5, s7
	s_lshl_b32 s4, s14, 6
	v_ashrrev_i32_e32 v16, 31, v15
	s_ashr_i32 s5, s4, 31
	v_lshlrev_b64 v[19:20], 1, v[1:2]
	s_lshl_b64 s[4:5], s[4:5], 1
	v_ashrrev_i32_e32 v18, 31, v17
	s_add_u32 s1, s1, s4
	s_addc_u32 s2, s2, s5
	v_add_co_u32 v1, s1, s1, v65
	s_delay_alu instid0(VALU_DEP_1) | instskip(SKIP_1) | instid1(VALU_DEP_3)
	v_add_co_ci_u32_e64 v2, null, s2, 0, s1
	v_lshlrev_b64 v[15:16], 1, v[15:16]
	v_add_co_u32 v19, vcc_lo, v1, v19
	v_lshlrev_b64 v[17:18], 1, v[17:18]
	s_delay_alu instid0(VALU_DEP_4) | instskip(NEXT) | instid1(VALU_DEP_4)
	v_add_co_ci_u32_e32 v20, vcc_lo, v2, v20, vcc_lo
	v_add_co_u32 v15, vcc_lo, v1, v15
	v_add_co_ci_u32_e32 v16, vcc_lo, v2, v16, vcc_lo
	s_delay_alu instid0(VALU_DEP_4)
	v_add_co_u32 v17, vcc_lo, v1, v17
	v_add_co_ci_u32_e32 v18, vcc_lo, v2, v18, vcc_lo
	s_clause 0x2
	global_store_b128 v[19:20], v[3:6], off
	global_store_b128 v[15:16], v[7:10], off
	;; [unrolled: 1-line block ×3, first 2 shown]
	s_and_b32 exec_lo, exec_lo, s3
	s_cbranch_execz .LBB796_2
; %bb.16:
	ds_load_b128 v[3:6], v0 offset:384
	s_add_i32 s1, s33, 6
	s_delay_alu instid0(SALU_CYCLE_1) | instskip(NEXT) | instid1(SALU_CYCLE_1)
	s_mul_i32 s0, s1, s0
	s_ashr_i32 s1, s0, 31
	s_delay_alu instid0(SALU_CYCLE_1) | instskip(NEXT) | instid1(SALU_CYCLE_1)
	s_lshl_b64 s[0:1], s[0:1], 1
	v_add_co_u32 v0, vcc_lo, v1, s0
	v_add_co_ci_u32_e32 v1, vcc_lo, s1, v2, vcc_lo
	s_waitcnt lgkmcnt(0)
	global_store_b128 v[0:1], v[3:6], off
	s_nop 0
	s_sendmsg sendmsg(MSG_DEALLOC_VGPRS)
	s_endpgm
	.section	.rodata,"a",@progbits
	.p2align	6, 0x0
	.amdhsa_kernel _Z39paged_attention_ll4mi_QKV_mfma16_kernelIDF16_hLN4vllm18Fp8KVCacheDataTypeE1EhLi16ELi64ELi256ELb0ELi7EL8MFMAType1EEvPKT_PKT0_S8_ifPKiSA_SA_iPKfiiiPfSD_PS3_PT2_iSC_SC_
		.amdhsa_group_segment_fixed_size 17472
		.amdhsa_private_segment_fixed_size 0
		.amdhsa_kernarg_size 400
		.amdhsa_user_sgpr_count 13
		.amdhsa_user_sgpr_dispatch_ptr 0
		.amdhsa_user_sgpr_queue_ptr 0
		.amdhsa_user_sgpr_kernarg_segment_ptr 1
		.amdhsa_user_sgpr_dispatch_id 0
		.amdhsa_user_sgpr_private_segment_size 0
		.amdhsa_wavefront_size32 1
		.amdhsa_uses_dynamic_stack 0
		.amdhsa_enable_private_segment 0
		.amdhsa_system_sgpr_workgroup_id_x 1
		.amdhsa_system_sgpr_workgroup_id_y 1
		.amdhsa_system_sgpr_workgroup_id_z 1
		.amdhsa_system_sgpr_workgroup_info 0
		.amdhsa_system_vgpr_workitem_id 0
		.amdhsa_next_free_vgpr 146
		.amdhsa_next_free_sgpr 37
		.amdhsa_reserve_vcc 1
		.amdhsa_float_round_mode_32 0
		.amdhsa_float_round_mode_16_64 0
		.amdhsa_float_denorm_mode_32 3
		.amdhsa_float_denorm_mode_16_64 3
		.amdhsa_dx10_clamp 1
		.amdhsa_ieee_mode 1
		.amdhsa_fp16_overflow 0
		.amdhsa_workgroup_processor_mode 1
		.amdhsa_memory_ordered 1
		.amdhsa_forward_progress 0
		.amdhsa_shared_vgpr_count 0
		.amdhsa_exception_fp_ieee_invalid_op 0
		.amdhsa_exception_fp_denorm_src 0
		.amdhsa_exception_fp_ieee_div_zero 0
		.amdhsa_exception_fp_ieee_overflow 0
		.amdhsa_exception_fp_ieee_underflow 0
		.amdhsa_exception_fp_ieee_inexact 0
		.amdhsa_exception_int_div_zero 0
	.end_amdhsa_kernel
	.section	.text._Z39paged_attention_ll4mi_QKV_mfma16_kernelIDF16_hLN4vllm18Fp8KVCacheDataTypeE1EhLi16ELi64ELi256ELb0ELi7EL8MFMAType1EEvPKT_PKT0_S8_ifPKiSA_SA_iPKfiiiPfSD_PS3_PT2_iSC_SC_,"axG",@progbits,_Z39paged_attention_ll4mi_QKV_mfma16_kernelIDF16_hLN4vllm18Fp8KVCacheDataTypeE1EhLi16ELi64ELi256ELb0ELi7EL8MFMAType1EEvPKT_PKT0_S8_ifPKiSA_SA_iPKfiiiPfSD_PS3_PT2_iSC_SC_,comdat
.Lfunc_end796:
	.size	_Z39paged_attention_ll4mi_QKV_mfma16_kernelIDF16_hLN4vllm18Fp8KVCacheDataTypeE1EhLi16ELi64ELi256ELb0ELi7EL8MFMAType1EEvPKT_PKT0_S8_ifPKiSA_SA_iPKfiiiPfSD_PS3_PT2_iSC_SC_, .Lfunc_end796-_Z39paged_attention_ll4mi_QKV_mfma16_kernelIDF16_hLN4vllm18Fp8KVCacheDataTypeE1EhLi16ELi64ELi256ELb0ELi7EL8MFMAType1EEvPKT_PKT0_S8_ifPKiSA_SA_iPKfiiiPfSD_PS3_PT2_iSC_SC_
                                        ; -- End function
	.section	.AMDGPU.csdata,"",@progbits
; Kernel info:
; codeLenInByte = 6532
; NumSgprs: 39
; NumVgprs: 146
; ScratchSize: 0
; MemoryBound: 0
; FloatMode: 240
; IeeeMode: 1
; LDSByteSize: 17472 bytes/workgroup (compile time only)
; SGPRBlocks: 4
; VGPRBlocks: 18
; NumSGPRsForWavesPerEU: 39
; NumVGPRsForWavesPerEU: 146
; Occupancy: 9
; WaveLimiterHint : 1
; COMPUTE_PGM_RSRC2:SCRATCH_EN: 0
; COMPUTE_PGM_RSRC2:USER_SGPR: 13
; COMPUTE_PGM_RSRC2:TRAP_HANDLER: 0
; COMPUTE_PGM_RSRC2:TGID_X_EN: 1
; COMPUTE_PGM_RSRC2:TGID_Y_EN: 1
; COMPUTE_PGM_RSRC2:TGID_Z_EN: 1
; COMPUTE_PGM_RSRC2:TIDIG_COMP_CNT: 0
	.section	.text._Z39paged_attention_ll4mi_QKV_mfma16_kernelIDF16_hLN4vllm18Fp8KVCacheDataTypeE1EhLi16ELi64ELi256ELb0ELi8EL8MFMAType1EEvPKT_PKT0_S8_ifPKiSA_SA_iPKfiiiPfSD_PS3_PT2_iSC_SC_,"axG",@progbits,_Z39paged_attention_ll4mi_QKV_mfma16_kernelIDF16_hLN4vllm18Fp8KVCacheDataTypeE1EhLi16ELi64ELi256ELb0ELi8EL8MFMAType1EEvPKT_PKT0_S8_ifPKiSA_SA_iPKfiiiPfSD_PS3_PT2_iSC_SC_,comdat
	.protected	_Z39paged_attention_ll4mi_QKV_mfma16_kernelIDF16_hLN4vllm18Fp8KVCacheDataTypeE1EhLi16ELi64ELi256ELb0ELi8EL8MFMAType1EEvPKT_PKT0_S8_ifPKiSA_SA_iPKfiiiPfSD_PS3_PT2_iSC_SC_ ; -- Begin function _Z39paged_attention_ll4mi_QKV_mfma16_kernelIDF16_hLN4vllm18Fp8KVCacheDataTypeE1EhLi16ELi64ELi256ELb0ELi8EL8MFMAType1EEvPKT_PKT0_S8_ifPKiSA_SA_iPKfiiiPfSD_PS3_PT2_iSC_SC_
	.globl	_Z39paged_attention_ll4mi_QKV_mfma16_kernelIDF16_hLN4vllm18Fp8KVCacheDataTypeE1EhLi16ELi64ELi256ELb0ELi8EL8MFMAType1EEvPKT_PKT0_S8_ifPKiSA_SA_iPKfiiiPfSD_PS3_PT2_iSC_SC_
	.p2align	8
	.type	_Z39paged_attention_ll4mi_QKV_mfma16_kernelIDF16_hLN4vllm18Fp8KVCacheDataTypeE1EhLi16ELi64ELi256ELb0ELi8EL8MFMAType1EEvPKT_PKT0_S8_ifPKiSA_SA_iPKfiiiPfSD_PS3_PT2_iSC_SC_,@function
_Z39paged_attention_ll4mi_QKV_mfma16_kernelIDF16_hLN4vllm18Fp8KVCacheDataTypeE1EhLi16ELi64ELi256ELb0ELi8EL8MFMAType1EEvPKT_PKT0_S8_ifPKiSA_SA_iPKfiiiPfSD_PS3_PT2_iSC_SC_: ; @_Z39paged_attention_ll4mi_QKV_mfma16_kernelIDF16_hLN4vllm18Fp8KVCacheDataTypeE1EhLi16ELi64ELi256ELb0ELi8EL8MFMAType1EEvPKT_PKT0_S8_ifPKiSA_SA_iPKfiiiPfSD_PS3_PT2_iSC_SC_
; %bb.0:
	s_load_b64 s[2:3], s[0:1], 0x30
	s_mov_b32 s34, s13
	s_waitcnt lgkmcnt(0)
	s_cmp_lg_u64 s[2:3], 0
	s_cselect_b32 s8, -1, 0
	s_ashr_i32 s35, s13, 31
	s_cmp_eq_u64 s[2:3], 0
	s_cbranch_scc1 .LBB797_3
; %bb.1:
	s_lshl_b64 s[4:5], s[34:35], 2
	s_delay_alu instid0(SALU_CYCLE_1) | instskip(SKIP_4) | instid1(SALU_CYCLE_1)
	s_add_u32 s4, s2, s4
	s_addc_u32 s5, s3, s5
	s_load_b64 s[4:5], s[4:5], 0x0
	s_waitcnt lgkmcnt(0)
	s_sub_i32 s4, s5, s4
	s_cmp_eq_u32 s4, 1
	s_cselect_b32 s4, -1, 0
	s_delay_alu instid0(SALU_CYCLE_1)
	s_and_not1_b32 vcc_lo, exec_lo, s4
	s_cbranch_vccz .LBB797_4
.LBB797_2:
	s_endpgm
.LBB797_3:
.LBB797_4:
	s_load_b64 s[4:5], s[0:1], 0x28
	s_lshl_b64 s[6:7], s[34:35], 2
	s_waitcnt lgkmcnt(0)
	s_add_u32 s4, s4, s6
	s_addc_u32 s5, s5, s7
	s_lshl_b32 s12, s14, 8
	s_load_b32 s24, s[4:5], 0x0
	s_waitcnt lgkmcnt(0)
	s_cmp_ge_i32 s12, s24
	s_cbranch_scc1 .LBB797_2
; %bb.5:
	s_clause 0x1
	s_load_b128 s[20:23], s[0:1], 0x8
	s_load_b64 s[4:5], s[0:1], 0x20
	s_and_not1_b32 vcc_lo, exec_lo, s8
	s_cbranch_vccnz .LBB797_7
; %bb.6:
	s_add_u32 s2, s2, s6
	s_addc_u32 s3, s3, s7
	s_load_b32 s3, s[2:3], 0x0
	s_branch .LBB797_8
.LBB797_7:
	s_mov_b32 s3, s34
.LBB797_8:
	s_load_b128 s[16:19], s[0:1], 0x48
	v_and_b32_e32 v69, 15, v0
	v_cmp_gt_u32_e32 vcc_lo, 0x80, v0
	v_lshrrev_b32_e32 v68, 5, v0
	v_and_b32_e32 v70, 31, v0
	v_and_b32_e32 v66, 1, v0
	v_lshlrev_b32_e32 v1, 3, v69
	v_cmp_gt_u32_e64 s2, 8, v69
	v_bfe_u32 v67, v0, 4, 1
	s_lshl_b32 s31, s15, 3
	s_delay_alu instid0(VALU_DEP_3) | instskip(NEXT) | instid1(VALU_DEP_3)
	v_lshlrev_b32_e32 v65, 1, v1
	s_and_b32 s7, vcc_lo, s2
	s_delay_alu instid0(SALU_CYCLE_1)
	s_and_saveexec_b32 s6, s7
	s_cbranch_execz .LBB797_10
; %bb.9:
	v_lshl_or_b32 v5, v68, 1, v67
	s_load_b64 s[8:9], s[0:1], 0x0
	s_waitcnt lgkmcnt(0)
	s_mul_hi_i32 s11, s3, s16
	s_mul_i32 s10, s3, s16
	v_lshlrev_b32_e32 v6, 10, v69
	v_or_b32_e32 v1, s31, v5
	s_lshl_b64 s[10:11], s[10:11], 1
	v_lshlrev_b32_e32 v5, 6, v5
	v_lshlrev_b32_e32 v7, 10, v66
	v_and_b32_e32 v6, 0x3800, v6
	v_lshlrev_b32_e32 v1, 6, v1
	s_delay_alu instid0(VALU_DEP_2) | instskip(NEXT) | instid1(VALU_DEP_2)
	v_or3_b32 v5, v6, v7, v5
	v_ashrrev_i32_e32 v2, 31, v1
	s_delay_alu instid0(VALU_DEP_1) | instskip(SKIP_2) | instid1(VALU_DEP_1)
	v_lshlrev_b64 v[1:2], 1, v[1:2]
	s_add_u32 s3, s8, s10
	s_addc_u32 s7, s9, s11
	v_add_co_u32 v1, vcc_lo, s3, v1
	s_delay_alu instid0(VALU_DEP_2) | instskip(NEXT) | instid1(VALU_DEP_2)
	v_add_co_ci_u32_e32 v2, vcc_lo, s7, v2, vcc_lo
	v_add_co_u32 v1, vcc_lo, v1, v65
	s_delay_alu instid0(VALU_DEP_2)
	v_add_co_ci_u32_e32 v2, vcc_lo, 0, v2, vcc_lo
	global_load_b128 v[1:4], v[1:2], off
	s_waitcnt vmcnt(0)
	ds_store_b128 v5, v[1:4]
.LBB797_10:
	s_or_b32 exec_lo, exec_lo, s6
	v_and_b32_e32 v1, 0xef, v0
	s_waitcnt lgkmcnt(0)
	s_add_i32 s3, s24, 15
	s_clause 0x1
	s_load_b32 s6, s[0:1], 0x38
	s_load_b32 s33, s[0:1], 0x98
	s_ashr_i32 s7, s3, 31
	v_add_nc_u32_e32 v1, s12, v1
	s_lshr_b32 s7, s7, 28
	s_load_b32 s19, s[0:1], 0x1c
	s_add_i32 s3, s3, s7
	s_waitcnt lgkmcnt(0)
	v_ashrrev_i32_e32 v2, 31, v1
	v_or_b32_e32 v3, 16, v1
	s_ashr_i32 s3, s3, 4
	v_cmp_gt_i32_e32 vcc_lo, s24, v1
	s_add_i32 s3, s3, -1
	v_lshrrev_b32_e32 v2, 28, v2
	s_barrier
	buffer_gl0_inv
	s_mul_i32 s27, s15, s18
	v_add_nc_u32_e32 v4, v1, v2
	s_mul_i32 s6, s34, s6
	s_delay_alu instid0(SALU_CYCLE_1) | instskip(NEXT) | instid1(VALU_DEP_1)
	s_ashr_i32 s7, s6, 31
	v_ashrrev_i32_e32 v4, 4, v4
	v_add_nc_u32_e32 v2, v3, v2
	s_lshl_b64 s[6:7], s[6:7], 2
	s_delay_alu instid0(SALU_CYCLE_1) | instskip(NEXT) | instid1(VALU_DEP_2)
	s_add_u32 s26, s4, s6
	v_cndmask_b32_e32 v1, s3, v4, vcc_lo
	s_delay_alu instid0(VALU_DEP_2)
	v_ashrrev_i32_e32 v2, 4, v2
	v_cmp_gt_i32_e32 vcc_lo, s24, v3
	s_addc_u32 s25, s5, s7
	s_ashr_i32 s28, s27, 31
	s_add_u32 s13, s20, s27
	s_addc_u32 s15, s21, s28
	v_cndmask_b32_e32 v3, s3, v2, vcc_lo
	v_ashrrev_i32_e32 v2, 31, v1
	s_lshl_b32 s4, s14, 4
	s_delay_alu instid0(SALU_CYCLE_1) | instskip(NEXT) | instid1(VALU_DEP_2)
	s_ashr_i32 s5, s4, 31
	v_ashrrev_i32_e32 v4, 31, v3
	s_delay_alu instid0(VALU_DEP_2) | instskip(SKIP_1) | instid1(SALU_CYCLE_1)
	v_lshlrev_b64 v[1:2], 2, v[1:2]
	s_lshl_b64 s[4:5], s[4:5], 2
	s_add_u32 s4, s26, s4
	s_delay_alu instid0(VALU_DEP_2) | instskip(SKIP_1) | instid1(VALU_DEP_2)
	v_lshlrev_b64 v[3:4], 2, v[3:4]
	s_addc_u32 s5, s25, s5
	v_add_co_u32 v1, vcc_lo, s26, v1
	v_add_co_ci_u32_e32 v2, vcc_lo, s25, v2, vcc_lo
	s_delay_alu instid0(VALU_DEP_3) | instskip(NEXT) | instid1(VALU_DEP_4)
	v_add_co_u32 v3, vcc_lo, s26, v3
	v_add_co_ci_u32_e32 v4, vcc_lo, s25, v4, vcc_lo
	s_clause 0x1
	global_load_b32 v5, v[1:2], off
	global_load_b32 v7, v[3:4], off
	s_or_b32 s6, s12, 32
	v_lshlrev_b32_e32 v1, 4, v0
	s_ashr_i32 s7, s6, 4
	s_cmp_lt_i32 s6, s24
	s_cselect_b32 s6, s7, s3
	s_delay_alu instid0(VALU_DEP_1) | instskip(SKIP_1) | instid1(SALU_CYCLE_1)
	v_and_b32_e32 v1, 0xf0, v1
	s_ashr_i32 s7, s6, 31
	s_lshl_b64 s[6:7], s[6:7], 2
	s_delay_alu instid0(SALU_CYCLE_1)
	s_add_u32 s6, s26, s6
	s_addc_u32 s7, s25, s7
	s_or_b32 s8, s12, 64
	v_add_co_u32 v1, s13, s13, v1
	s_ashr_i32 s9, s8, 4
	s_cmp_lt_i32 s8, s24
	v_add_co_ci_u32_e64 v2, null, s15, 0, s13
	s_cselect_b32 s8, s9, s3
	s_delay_alu instid0(SALU_CYCLE_1) | instskip(NEXT) | instid1(SALU_CYCLE_1)
	s_ashr_i32 s9, s8, 31
	s_lshl_b64 s[8:9], s[8:9], 2
	s_delay_alu instid0(SALU_CYCLE_1) | instskip(SKIP_2) | instid1(SALU_CYCLE_1)
	s_add_u32 s8, s26, s8
	s_addc_u32 s9, s25, s9
	s_or_b32 s10, s12, 0x60
	s_ashr_i32 s11, s10, 4
	s_cmp_lt_i32 s10, s24
	s_cselect_b32 s10, s11, s3
	s_delay_alu instid0(SALU_CYCLE_1) | instskip(NEXT) | instid1(SALU_CYCLE_1)
	s_ashr_i32 s11, s10, 31
	s_lshl_b64 s[10:11], s[10:11], 2
	s_delay_alu instid0(SALU_CYCLE_1) | instskip(SKIP_2) | instid1(SALU_CYCLE_1)
	s_add_u32 s10, s26, s10
	s_addc_u32 s11, s25, s11
	s_or_b32 s16, s12, 0x80
	s_ashr_i32 s18, s16, 4
	s_cmp_lt_i32 s16, s24
	;; [unrolled: 10-line block ×3, first 2 shown]
	s_cselect_b32 s20, s18, s3
	s_delay_alu instid0(SALU_CYCLE_1) | instskip(NEXT) | instid1(SALU_CYCLE_1)
	s_ashr_i32 s21, s20, 31
	s_lshl_b64 s[20:21], s[20:21], 2
	s_delay_alu instid0(SALU_CYCLE_1)
	s_add_u32 s38, s26, s20
	s_addc_u32 s39, s25, s21
	s_clause 0x5
	s_load_b32 s21, s[4:5], 0x0
	s_load_b32 s13, s[6:7], 0x0
	;; [unrolled: 1-line block ×6, first 2 shown]
	s_or_b32 s7, s12, 0xc0
	s_mov_b32 s4, 0
	s_ashr_i32 s8, s7, 4
	s_cmp_lt_i32 s7, s24
	s_mov_b32 s5, s4
	s_cselect_b32 s10, s8, s3
	s_mov_b32 s6, s4
	s_ashr_i32 s11, s10, 31
	s_mov_b32 s7, s4
	s_lshl_b64 s[36:37], s[10:11], 2
	s_mov_b32 s11, s4
	s_add_u32 s36, s26, s36
	s_addc_u32 s37, s25, s37
	s_or_b32 s29, s12, 0xe0
	s_mov_b32 s8, s4
	s_ashr_i32 s30, s29, 4
	s_mov_b32 s9, s4
	s_mov_b32 s10, s4
	s_cmp_lt_i32 s29, s24
	v_mov_b32_e32 v102, s11
	v_dual_mov_b32 v96, s5 :: v_dual_mov_b32 v101, s10
	v_dual_mov_b32 v100, s9 :: v_dual_mov_b32 v99, s8
	;; [unrolled: 1-line block ×3, first 2 shown]
	v_mov_b32_e32 v95, s4
	s_cselect_b32 s4, s30, s3
	s_delay_alu instid0(SALU_CYCLE_1) | instskip(NEXT) | instid1(SALU_CYCLE_1)
	s_ashr_i32 s5, s4, 31
	s_lshl_b64 s[4:5], s[4:5], 2
	s_delay_alu instid0(SALU_CYCLE_1)
	s_add_u32 s4, s26, s4
	s_addc_u32 s5, s25, s5
	s_add_u32 s6, s22, s27
	s_addc_u32 s7, s23, s28
	s_waitcnt vmcnt(1)
	v_mad_i64_i32 v[3:4], null, v5, s17, v[1:2]
	s_waitcnt vmcnt(0)
	v_mad_i64_i32 v[5:6], null, v7, s17, v[1:2]
	v_and_b32_e32 v1, 7, v0
	v_lshlrev_b32_e32 v2, 4, v69
	s_clause 0x7
	global_load_b128 v[57:60], v[3:4], off
	global_load_b128 v[61:64], v[3:4], off offset:256
	global_load_b128 v[71:74], v[5:6], off
	global_load_b128 v[75:78], v[5:6], off offset:256
	global_load_b128 v[79:82], v[3:4], off offset:512
	;; [unrolled: 1-line block ×5, first 2 shown]
	v_lshlrev_b32_e32 v121, 6, v1
	v_lshl_or_b32 v1, v68, 8, v2
	s_load_b32 s3, s[36:37], 0x0
	ds_load_b128 v[103:106], v121
	ds_load_b128 v[107:110], v121 offset:1024
	s_load_b32 s4, s[4:5], 0x0
	v_add_co_u32 v17, s6, s6, v1
	s_delay_alu instid0(VALU_DEP_1) | instskip(SKIP_1) | instid1(VALU_DEP_1)
	v_add_co_ci_u32_e64 v18, null, s7, 0, s6
	s_waitcnt lgkmcnt(0)
	v_mad_i64_i32 v[1:2], null, s21, s17, v[17:18]
	v_mad_i64_i32 v[3:4], null, s13, s17, v[17:18]
	v_mad_i64_i32 v[5:6], null, s15, s17, v[17:18]
	v_mad_i64_i32 v[7:8], null, s16, s17, v[17:18]
	v_mad_i64_i32 v[21:22], null, s20, s17, v[17:18]
	v_mad_i64_i32 v[13:14], null, s18, s17, v[17:18]
	v_mad_i64_i32 v[29:30], null, s3, s17, v[17:18]
	s_clause 0x9
	global_load_b128 v[49:52], v[1:2], off
	global_load_b128 v[53:56], v[1:2], off offset:16
	global_load_b128 v[41:44], v[3:4], off
	global_load_b128 v[45:48], v[3:4], off offset:16
	;; [unrolled: 2-line block ×5, first 2 shown]
	v_mad_i64_i32 v[119:120], null, s4, s17, v[17:18]
	s_clause 0x3
	global_load_b128 v[17:20], v[21:22], off
	global_load_b128 v[21:24], v[21:22], off offset:16
	global_load_b128 v[25:28], v[29:30], off
	global_load_b128 v[29:32], v[29:30], off offset:16
	s_waitcnt vmcnt(20)
	v_wmma_f32_16x16x16_f16 v[111:118], v[57:64], v[103:110], v[95:102]
	s_clause 0x1
	global_load_b128 v[57:60], v[119:120], off
	global_load_b128 v[61:64], v[119:120], off offset:16
	s_waitcnt vmcnt(20)
	v_wmma_f32_16x16x16_f16 v[95:102], v[71:78], v[103:110], v[95:102]
	ds_load_b128 v[71:74], v121 offset:2048
	ds_load_b128 v[75:78], v121 offset:3072
	v_mbcnt_lo_u32_b32 v104, -1, 0
	s_waitcnt vmcnt(0) lgkmcnt(0)
	s_barrier
	buffer_gl0_inv
	v_xor_b32_e32 v105, 16, v104
	s_delay_alu instid0(VALU_DEP_1) | instskip(SKIP_4) | instid1(VALU_DEP_2)
	v_cmp_gt_i32_e32 vcc_lo, 32, v105
	v_cndmask_b32_e32 v104, v104, v105, vcc_lo
	v_wmma_f32_16x16x16_f16 v[95:102], v[87:94], v[71:78], v[95:102]
	v_and_b32_e32 v103, 0xe0, v0
	v_wmma_f32_16x16x16_f16 v[111:118], v[79:86], v[71:78], v[111:118]
	v_dual_mul_f32 v90, s19, v101 :: v_dual_add_nc_u32 v103, s12, v103
	s_delay_alu instid0(VALU_DEP_2) | instskip(NEXT) | instid1(VALU_DEP_3)
	v_dual_mul_f32 v94, s19, v97 :: v_dual_mul_f32 v87, s19, v112
	v_dual_mul_f32 v88, s19, v111 :: v_dual_mul_f32 v77, s19, v114
	s_delay_alu instid0(VALU_DEP_3) | instskip(SKIP_3) | instid1(VALU_DEP_4)
	v_or_b32_e32 v103, v103, v67
	v_dual_mul_f32 v78, s19, v113 :: v_dual_mul_f32 v75, s19, v116
	v_dual_mul_f32 v76, s19, v115 :: v_dual_mul_f32 v73, s19, v118
	v_mul_f32_e32 v92, s19, v99
	v_or_b32_e32 v105, 2, v103
	v_or_b32_e32 v106, 4, v103
	;; [unrolled: 1-line block ×3, first 2 shown]
	v_cmp_gt_i32_e64 s3, s24, v103
	v_or_b32_e32 v108, 8, v103
	v_cmp_gt_i32_e32 vcc_lo, s24, v105
	v_or_b32_e32 v109, 10, v103
	v_cmp_gt_i32_e64 s4, s24, v106
	v_cndmask_b32_e64 v88, 0xff7fffff, v88, s3
	v_cmp_gt_i32_e64 s5, s24, v107
	v_cndmask_b32_e32 v87, 0xff7fffff, v87, vcc_lo
	v_or_b32_e32 v79, 12, v103
	v_or_b32_e32 v80, 14, v103
	v_cndmask_b32_e64 v78, 0xff7fffff, v78, s4
	v_cndmask_b32_e64 v77, 0xff7fffff, v77, s5
	v_max3_f32 v87, v88, 0xff7fffff, v87
	v_cmp_gt_i32_e64 s6, s24, v108
	v_cmp_gt_i32_e64 s7, s24, v109
	v_or_b32_e32 v81, 16, v103
	v_or_b32_e32 v82, 18, v103
	v_mul_f32_e32 v74, s19, v117
	v_cndmask_b32_e64 v76, 0xff7fffff, v76, s6
	v_cndmask_b32_e64 v75, 0xff7fffff, v75, s7
	v_max3_f32 v77, v87, v78, v77
	v_cmp_gt_i32_e64 s8, s24, v79
	v_cmp_gt_i32_e64 s9, s24, v80
	v_or_b32_e32 v83, 20, v103
	v_or_b32_e32 v84, 22, v103
	;; [unrolled: 1-line block ×6, first 2 shown]
	v_mul_f32_e32 v105, s19, v96
	v_mul_f32_e32 v103, s19, v95
	v_cndmask_b32_e64 v74, 0xff7fffff, v74, s8
	v_cndmask_b32_e64 v73, 0xff7fffff, v73, s9
	v_max3_f32 v75, v77, v76, v75
	v_cmp_gt_i32_e64 s10, s24, v81
	v_cmp_gt_i32_e64 s11, s24, v82
	v_mul_f32_e32 v93, s19, v98
	v_cmp_gt_i32_e64 s12, s24, v83
	v_max3_f32 v73, v75, v74, v73
	v_cndmask_b32_e64 v76, 0xff7fffff, v103, s10
	v_cndmask_b32_e64 v77, 0xff7fffff, v105, s11
	v_cmp_gt_i32_e64 s13, s24, v84
	v_mul_f32_e32 v91, s19, v100
	v_cndmask_b32_e64 v74, 0xff7fffff, v94, s12
	v_cmp_gt_i32_e64 s15, s24, v85
	v_max3_f32 v73, v73, v76, v77
	v_cndmask_b32_e64 v75, 0xff7fffff, v93, s13
	v_cmp_gt_i32_e64 s16, s24, v86
	v_mul_f32_e32 v89, s19, v102
	v_cndmask_b32_e64 v76, 0xff7fffff, v92, s15
	v_cmp_gt_i32_e64 s17, s24, v71
	v_max3_f32 v73, v73, v74, v75
	v_cndmask_b32_e64 v77, 0xff7fffff, v91, s16
	v_cmp_gt_i32_e64 s18, s24, v72
	v_lshlrev_b32_e32 v74, 2, v104
	v_cndmask_b32_e64 v71, 0xff7fffff, v90, s17
	s_delay_alu instid0(VALU_DEP_4) | instskip(NEXT) | instid1(VALU_DEP_4)
	v_max3_f32 v73, v73, v76, v77
	v_cndmask_b32_e64 v72, 0xff7fffff, v89, s18
	s_delay_alu instid0(VALU_DEP_1) | instskip(SKIP_3) | instid1(VALU_DEP_1)
	v_max3_f32 v71, v73, v71, v72
	ds_bpermute_b32 v72, v74, v71
	s_waitcnt lgkmcnt(0)
	v_max_f32_e32 v72, v72, v72
	v_max_f32_e32 v71, v71, v72
	s_delay_alu instid0(VALU_DEP_1)
	v_fma_f32 v72, s19, v111, -v71
	v_fma_f32 v76, s19, v114, -v71
	;; [unrolled: 1-line block ×5, first 2 shown]
	v_mul_f32_e32 v72, 0x3fb8aa3b, v72
	v_mul_f32_e32 v76, 0x3fb8aa3b, v76
	v_fma_f32 v75, s19, v113, -v71
	v_mul_f32_e32 v79, 0x3fb8aa3b, v77
	v_mul_f32_e32 v87, 0x3fb8aa3b, v86
	v_exp_f32_e32 v72, v72
	v_exp_f32_e32 v76, v76
	v_fma_f32 v81, s19, v117, -v71
	v_exp_f32_e32 v82, v79
	v_exp_f32_e32 v87, v87
	v_fma_f32 v84, s19, v96, -v71
	s_delay_alu instid0(VALU_DEP_2) | instskip(SKIP_3) | instid1(TRANS32_DEP_3)
	v_mul_f32_e32 v81, 0x3fb8aa3b, v81
	v_cndmask_b32_e64 v78, 0, v72, s3
	v_fma_f32 v72, s19, v116, -v71
	v_mul_f32_e32 v73, 0x3fb8aa3b, v73
	v_cndmask_b32_e64 v79, 0, v76, s5
	v_fma_f32 v76, s19, v95, -v71
	s_delay_alu instid0(VALU_DEP_4) | instskip(NEXT) | instid1(VALU_DEP_4)
	v_dual_mul_f32 v75, 0x3fb8aa3b, v75 :: v_dual_mul_f32 v72, 0x3fb8aa3b, v72
	v_exp_f32_e32 v73, v73
	v_cndmask_b32_e64 v87, 0, v87, s13
	s_delay_alu instid0(VALU_DEP_3) | instskip(NEXT) | instid1(VALU_DEP_3)
	v_mul_f32_e32 v76, 0x3fb8aa3b, v76
	v_exp_f32_e32 v75, v75
	v_exp_f32_e32 v72, v72
	v_exp_f32_e32 v83, v81
	v_cndmask_b32_e64 v82, 0, v82, s6
	v_mul_f32_e32 v85, 0x3fb8aa3b, v84
	v_exp_f32_e32 v76, v76
	s_mov_b32 s3, exec_lo
	v_cndmask_b32_e32 v77, 0, v73, vcc_lo
	v_add_f32_e32 v73, 0, v78
	v_exp_f32_e32 v85, v85
	v_cndmask_b32_e64 v80, 0, v75, s4
	v_fma_f32 v75, s19, v118, -v71
	v_cndmask_b32_e64 v81, 0, v72, s7
	v_add_f32_e32 v73, v73, v77
	v_cndmask_b32_e64 v84, 0, v83, s8
	v_cndmask_b32_e64 v86, 0, v76, s10
	v_mul_f32_e32 v75, 0x3fb8aa3b, v75
	s_delay_alu instid0(VALU_DEP_4) | instskip(NEXT) | instid1(TRANS32_DEP_1)
	v_add_f32_e32 v73, v73, v80
	v_cndmask_b32_e64 v85, 0, v85, s11
	s_delay_alu instid0(VALU_DEP_3) | instskip(NEXT) | instid1(VALU_DEP_2)
	v_exp_f32_e32 v75, v75
	v_add_f32_e32 v73, v73, v79
	s_delay_alu instid0(VALU_DEP_1) | instskip(SKIP_3) | instid1(VALU_DEP_1)
	v_add_f32_e32 v72, v73, v82
	s_waitcnt_depctr 0xfff
	v_cndmask_b32_e64 v83, 0, v75, s9
	v_add_f32_e32 v72, v72, v81
	v_add_f32_e32 v72, v72, v84
	s_delay_alu instid0(VALU_DEP_1) | instskip(NEXT) | instid1(VALU_DEP_1)
	v_add_f32_e32 v72, v72, v83
	v_add_f32_e32 v72, v72, v86
	s_delay_alu instid0(VALU_DEP_1) | instskip(SKIP_4) | instid1(VALU_DEP_4)
	v_add_f32_e32 v72, v72, v85
	v_fma_f32 v73, s19, v97, -v71
	v_fma_f32 v75, s19, v99, -v71
	;; [unrolled: 1-line block ×4, first 2 shown]
	v_mul_f32_e32 v73, 0x3fb8aa3b, v73
	s_delay_alu instid0(VALU_DEP_3) | instskip(NEXT) | instid1(VALU_DEP_2)
	v_dual_mul_f32 v75, 0x3fb8aa3b, v75 :: v_dual_mul_f32 v76, 0x3fb8aa3b, v76
	v_exp_f32_e32 v73, v73
	s_delay_alu instid0(VALU_DEP_1) | instskip(NEXT) | instid1(VALU_DEP_1)
	v_exp_f32_e32 v75, v75
	v_exp_f32_e32 v76, v76
	s_delay_alu instid0(TRANS32_DEP_3)
	v_cndmask_b32_e64 v88, 0, v73, s12
	v_mul_f32_e32 v73, 0x3fb8aa3b, v89
	v_fma_f32 v89, s19, v102, -v71
	s_waitcnt_depctr 0xfff
	v_cndmask_b32_e64 v90, 0, v75, s15
	v_add_f32_e32 v72, v72, v88
	v_exp_f32_e32 v73, v73
	v_mul_f32_e32 v75, 0x3fb8aa3b, v89
	v_cndmask_b32_e64 v89, 0, v76, s16
	s_delay_alu instid0(VALU_DEP_3) | instskip(NEXT) | instid1(VALU_DEP_3)
	v_add_f32_e32 v72, v72, v87
	v_exp_f32_e32 v75, v75
	s_delay_alu instid0(VALU_DEP_1) | instskip(SKIP_4) | instid1(VALU_DEP_2)
	v_add_f32_e32 v72, v72, v90
	s_waitcnt_depctr 0xfff
	v_cndmask_b32_e64 v92, 0, v73, s17
	v_add_f32_e32 v72, v72, v89
	v_cndmask_b32_e64 v91, 0, v75, s18
	v_add_f32_e32 v72, v72, v92
	s_delay_alu instid0(VALU_DEP_1)
	v_add_f32_e32 v72, v72, v91
	ds_bpermute_b32 v73, v74, v72
	v_cmpx_gt_u32_e32 16, v70
	s_cbranch_execz .LBB797_12
; %bb.11:
	v_mul_u32_u24_e32 v70, 0x44, v68
	s_waitcnt lgkmcnt(0)
	v_add_f32_e32 v72, v72, v73
	s_delay_alu instid0(VALU_DEP_2) | instskip(NEXT) | instid1(VALU_DEP_1)
	v_lshl_add_u32 v70, v69, 2, v70
	v_add_nc_u32_e32 v70, 0x4000, v70
	ds_store_2addr_b32 v70, v71, v72 offset1:136
.LBB797_12:
	s_or_b32 exec_lo, exec_lo, s3
	v_lshlrev_b32_e32 v70, 2, v69
	s_load_b32 s35, s[0:1], 0x94
	s_waitcnt lgkmcnt(0)
	s_barrier
	buffer_gl0_inv
	v_add_nc_u32_e32 v74, 0x4000, v70
	v_cmp_eq_u32_e32 vcc_lo, 1, v68
	v_cmp_eq_u32_e64 s3, 2, v68
	v_cmp_eq_u32_e64 s4, 3, v68
	;; [unrolled: 1-line block ×3, first 2 shown]
	ds_load_2addr_b32 v[70:71], v74 offset1:17
	ds_load_2addr_b32 v[72:73], v74 offset0:34 offset1:51
	ds_load_2addr_b32 v[93:94], v74 offset0:68 offset1:85
	;; [unrolled: 1-line block ×3, first 2 shown]
	v_cmp_eq_u32_e64 s6, 5, v68
	v_cmp_eq_u32_e64 s7, 7, v68
	s_waitcnt lgkmcnt(3)
	v_max3_f32 v75, v70, 0xff7fffff, v71
	s_waitcnt lgkmcnt(2)
	s_delay_alu instid0(VALU_DEP_1) | instskip(SKIP_1) | instid1(VALU_DEP_1)
	v_max3_f32 v75, v75, v72, v73
	s_waitcnt lgkmcnt(1)
	v_max3_f32 v75, v75, v93, v94
	s_waitcnt lgkmcnt(0)
	s_delay_alu instid0(VALU_DEP_1) | instskip(NEXT) | instid1(VALU_DEP_1)
	v_max3_f32 v75, v75, v95, v96
	v_sub_f32_e32 v93, v93, v75
	ds_load_2addr_b32 v[97:98], v74 offset0:136 offset1:153
	v_sub_f32_e32 v70, v70, v75
	v_dual_sub_f32 v100, v73, v75 :: v_dual_mul_f32 v103, 0x3fb8aa3b, v93
	s_delay_alu instid0(VALU_DEP_2) | instskip(SKIP_3) | instid1(VALU_DEP_1)
	v_dual_sub_f32 v76, v71, v75 :: v_dual_mul_f32 v99, 0x3fb8aa3b, v70
	ds_load_2addr_b32 v[70:71], v74 offset0:170 offset1:187
	v_mul_f32_e32 v76, 0x3fb8aa3b, v76
	v_exp_f32_e32 v99, v99
	v_exp_f32_e32 v102, v76
	v_mul_f32_e32 v100, 0x3fb8aa3b, v100
	s_waitcnt lgkmcnt(1)
	s_waitcnt_depctr 0xfff
	v_fma_f32 v76, v99, v97, 0
	v_sub_f32_e32 v97, v94, v75
	v_sub_f32_e32 v72, v72, v75
	v_exp_f32_e32 v100, v100
	ds_load_2addr_b32 v[93:94], v74 offset0:238 offset1:255
	v_dual_fmac_f32 v76, v102, v98 :: v_dual_mul_f32 v101, 0x3fb8aa3b, v72
	ds_load_2addr_b32 v[72:73], v74 offset0:204 offset1:221
	v_dual_sub_f32 v74, v95, v75 :: v_dual_mul_f32 v95, 0x3fb8aa3b, v97
	v_exp_f32_e32 v97, v103
	v_exp_f32_e32 v101, v101
	s_waitcnt lgkmcnt(0)
	s_delay_alu instid0(VALU_DEP_1)
	v_mul_f32_e32 v74, 0x3fb8aa3b, v74
	v_exp_f32_e32 v95, v95
	s_barrier
	buffer_gl0_inv
	v_fmac_f32_e32 v76, v101, v70
	v_sub_f32_e32 v70, v96, v75
	v_exp_f32_e32 v96, v74
	s_delay_alu instid0(VALU_DEP_2) | instskip(NEXT) | instid1(VALU_DEP_2)
	v_fmac_f32_e32 v76, v100, v71
	v_mul_f32_e32 v70, 0x3fb8aa3b, v70
	s_delay_alu instid0(VALU_DEP_2) | instskip(NEXT) | instid1(VALU_DEP_2)
	v_dual_cndmask_b32 v71, v99, v102 :: v_dual_fmac_f32 v76, v97, v72
	v_exp_f32_e32 v98, v70
	v_lshlrev_b32_e32 v72, 6, v69
	s_delay_alu instid0(VALU_DEP_2) | instskip(NEXT) | instid1(VALU_DEP_2)
	v_dual_fmac_f32 v76, v95, v73 :: v_dual_lshlrev_b32 v69, 2, v67
	v_lshl_or_b32 v74, v68, 11, v72
	s_delay_alu instid0(VALU_DEP_2)
	v_cmp_eq_u32_e64 s8, 7, v69
	s_delay_alu instid0(TRANS32_DEP_2) | instid1(VALU_DEP_3)
	v_fmac_f32_e32 v76, v96, v93
	s_waitcnt_depctr 0xfff
	v_fmac_f32_e32 v76, v98, v94
	s_delay_alu instid0(VALU_DEP_1) | instskip(NEXT) | instid1(VALU_DEP_1)
	v_add_f32_e32 v73, 0x358637bd, v76
	v_div_scale_f32 v93, null, v73, v73, 1.0
	v_div_scale_f32 v99, vcc_lo, 1.0, v73, 1.0
	s_delay_alu instid0(VALU_DEP_2) | instskip(SKIP_2) | instid1(VALU_DEP_1)
	v_rcp_f32_e32 v94, v93
	s_waitcnt_depctr 0xfff
	v_fma_f32 v70, -v93, v94, 1.0
	v_fmac_f32_e32 v94, v70, v94
	v_cndmask_b32_e64 v70, v71, v101, s3
	v_cmp_eq_u32_e64 s3, 6, v68
	v_or_b32_e32 v71, 1, v69
	v_or_b32_e32 v68, 2, v69
	v_mul_f32_e32 v101, v99, v94
	v_cndmask_b32_e64 v70, v70, v100, s4
	v_cmp_eq_u32_e64 s4, 1, v69
	v_cmp_eq_u32_e64 s9, 1, v71
	;; [unrolled: 1-line block ×3, first 2 shown]
	v_fma_f32 v100, -v93, v101, v99
	v_cndmask_b32_e64 v70, v70, v97, s5
	v_cmp_eq_u32_e64 s5, 2, v69
	v_cmp_eq_u32_e64 s12, 2, v71
	;; [unrolled: 1-line block ×3, first 2 shown]
	v_fmac_f32_e32 v101, v100, v94
	v_cndmask_b32_e64 v95, v70, v95, s6
	v_or_b32_e32 v70, 3, v69
	v_cmp_eq_u32_e64 s13, 3, v71
	v_cmp_eq_u32_e64 s17, 3, v68
	v_fma_f32 v93, -v93, v101, v99
	v_cndmask_b32_e64 v95, v95, v96, s3
	v_cmp_eq_u32_e64 s11, 1, v70
	v_cmp_eq_u32_e64 s16, 2, v70
	;; [unrolled: 1-line block ×3, first 2 shown]
	v_div_fmas_f32 v93, v93, v94, v101
	v_cndmask_b32_e64 v94, v95, v98, s7
	v_cmp_eq_u32_e32 vcc_lo, 3, v69
	v_cmp_eq_u32_e64 s3, 4, v69
	v_cmp_eq_u32_e64 s19, 4, v71
	v_div_fixup_f32 v93, v93, v73, 1.0
	v_lshl_or_b32 v73, v67, 4, v74
	v_cmp_eq_u32_e64 s22, 4, v70
	v_cmp_eq_u32_e64 s6, 5, v69
	v_cmp_eq_u32_e64 s20, 5, v71
	v_mul_f32_e32 v101, v94, v93
	v_cmp_eq_u32_e64 s21, 4, v68
	v_cmp_eq_u32_e64 s24, 5, v70
	;; [unrolled: 1-line block ×4, first 2 shown]
	v_fma_mixlo_f16 v93, v101, v78, 0
	v_fma_mixlo_f16 v94, v101, v80, 0
	;; [unrolled: 1-line block ×8, first 2 shown]
	v_fma_mixhi_f16 v93, v101, v77, 0
	v_fma_mixhi_f16 v94, v101, v79, 0
	v_fma_mixhi_f16 v95, v101, v81, 0
	v_fma_mixhi_f16 v96, v101, v83, 0
	v_fma_mixhi_f16 v97, v101, v85, 0
	v_fma_mixhi_f16 v98, v101, v87, 0
	v_fma_mixhi_f16 v99, v101, v89, 0
	v_fma_mixhi_f16 v100, v101, v91, 0
	ds_store_b128 v73, v[93:96]
	ds_store_b128 v73, v[97:100] offset:1024
	s_waitcnt lgkmcnt(0)
	s_barrier
	buffer_gl0_inv
	ds_load_b128 v[77:80], v74
	ds_load_b128 v[81:84], v74 offset:16
	ds_load_b128 v[85:88], v74 offset:1024
	;; [unrolled: 1-line block ×3, first 2 shown]
	v_cmp_eq_u32_e64 s27, 6, v70
	v_cmp_eq_u32_e64 s7, 6, v69
	;; [unrolled: 1-line block ×6, first 2 shown]
	s_waitcnt lgkmcnt(3)
	v_lshrrev_b32_e32 v93, 16, v77
	s_waitcnt lgkmcnt(2)
	v_lshrrev_b32_e32 v97, 16, v81
	;; [unrolled: 2-line block ×4, first 2 shown]
	v_lshrrev_b32_e32 v94, 16, v78
	v_cndmask_b32_e64 v109, v77, v93, s4
	v_cndmask_b32_e64 v110, v81, v97, s4
	;; [unrolled: 1-line block ×8, first 2 shown]
	v_lshrrev_b32_e32 v98, 16, v82
	v_cndmask_b32_e64 v93, v85, v101, s4
	v_cndmask_b32_e64 v97, v89, v105, s4
	;; [unrolled: 1-line block ×15, first 2 shown]
	v_lshrrev_b32_e32 v102, 16, v86
	v_lshrrev_b32_e32 v106, 16, v90
	v_cndmask_b32_e64 v112, v114, v82, s15
	v_cndmask_b32_e64 v81, v93, v86, s5
	;; [unrolled: 1-line block ×7, first 2 shown]
	v_cndmask_b32_e32 v89, v101, v94, vcc_lo
	v_cndmask_b32_e32 v101, v105, v98, vcc_lo
	v_cndmask_b32_e64 v105, v109, v94, s13
	v_cndmask_b32_e64 v109, v110, v98, s13
	;; [unrolled: 1-line block ×4, first 2 shown]
	v_lshrrev_b32_e32 v95, 16, v79
	v_lshrrev_b32_e32 v99, 16, v83
	v_cndmask_b32_e64 v110, v111, v94, s17
	v_cndmask_b32_e64 v111, v112, v98, s17
	v_cndmask_b32_e32 v81, v81, v102, vcc_lo
	v_cndmask_b32_e32 v82, v82, v106, vcc_lo
	v_cndmask_b32_e64 v93, v93, v102, s13
	v_cndmask_b32_e64 v89, v89, v79, s3
	;; [unrolled: 1-line block ×7, first 2 shown]
	v_lshrrev_b32_e32 v103, 16, v87
	v_cndmask_b32_e64 v105, v110, v79, s21
	v_cndmask_b32_e64 v109, v111, v83, s21
	v_cndmask_b32_e64 v79, v81, v87, s3
	v_cndmask_b32_e64 v81, v82, v91, s3
	v_cndmask_b32_e64 v82, v93, v87, s19
	v_cndmask_b32_e64 v83, v89, v95, s6
	v_cndmask_b32_e64 v89, v94, v99, s6
	v_cndmask_b32_e64 v93, v98, v95, s20
	v_cndmask_b32_e64 v94, v101, v99, s20
	v_cndmask_b32_e64 v77, v77, v95, s24
	v_cndmask_b32_e64 v78, v78, v99, s24
	v_lshrrev_b32_e32 v96, 16, v80
	v_lshrrev_b32_e32 v100, 16, v84
	v_cndmask_b32_e64 v98, v105, v95, s23
	v_cndmask_b32_e64 v101, v109, v99, s23
	;; [unrolled: 1-line block ×7, first 2 shown]
	v_lshrrev_b32_e32 v104, 16, v88
	v_cndmask_b32_e64 v79, v79, v103, s6
	v_cndmask_b32_e64 v83, v83, v80, s7
	v_cndmask_b32_e64 v89, v89, v84, s7
	v_cndmask_b32_e64 v95, v98, v80, s26
	v_cndmask_b32_e64 v98, v101, v84, s26
	v_cndmask_b32_e64 v80, v82, v88, s25
	v_cndmask_b32_e64 v84, v93, v96, s30
	v_cndmask_b32_e64 v77, v77, v96, s29
	v_cndmask_b32_e64 v78, v78, v100, s29
	v_cndmask_b32_e64 v94, v94, v100, s30
	v_cndmask_b32_e64 v79, v79, v88, s7
	v_cndmask_b32_e64 v82, v83, v96, s8
	v_cndmask_b32_e64 v83, v89, v100, s8
	v_cndmask_b32_e64 v89, v95, v96, s28
	v_cndmask_b32_e64 v93, v98, v100, s28
	v_cndmask_b32_e64 v96, v80, v104, s30
	v_perm_b32 v80, v78, v77, 0x5040100
	v_perm_b32 v78, v94, v84, 0x5040100
	v_cndmask_b32_e64 v77, v118, v90, s15
	v_cndmask_b32_e64 v84, v116, v90, s12
	;; [unrolled: 1-line block ×3, first 2 shown]
	v_perm_b32 v79, v93, v89, 0x5040100
	v_cndmask_b32_e64 v89, v97, v102, s17
	v_cndmask_b32_e64 v85, v85, v102, s18
	;; [unrolled: 1-line block ×5, first 2 shown]
	v_lshrrev_b32_e32 v107, 16, v91
	v_cndmask_b32_e64 v89, v89, v87, s21
	v_cndmask_b32_e64 v85, v85, v87, s22
	v_cndmask_b32_e64 v86, v86, v91, s22
	v_cndmask_b32_e64 v77, v77, v91, s21
	v_cndmask_b32_e64 v84, v84, v91, s19
	v_cndmask_b32_e64 v81, v81, v107, s6
	v_cndmask_b32_e64 v87, v89, v103, s23
	v_cndmask_b32_e64 v85, v85, v103, s24
	v_cndmask_b32_e64 v86, v86, v107, s24
	v_cndmask_b32_e64 v77, v77, v107, s23
	v_cndmask_b32_e64 v84, v84, v107, s20
	v_lshrrev_b32_e32 v108, 16, v92
	v_cndmask_b32_e64 v81, v81, v92, s7
	v_cndmask_b32_e64 v87, v87, v88, s26
	;; [unrolled: 1-line block ×12, first 2 shown]
	v_perm_b32 v77, v83, v82, 0x5040100
	v_perm_b32 v84, v86, v85, 0x5040100
	;; [unrolled: 1-line block ×5, first 2 shown]
	s_lshl_b32 s8, s33, 3
	s_mov_b32 s3, exec_lo
	ds_store_b128 v73, v[77:80]
	ds_store_b128 v73, v[81:84] offset:1024
	v_cmpx_gt_u32_e32 8, v0
	s_cbranch_execz .LBB797_14
; %bb.13:
	v_or_b32_e32 v77, s31, v0
	s_load_b128 s[4:7], s[0:1], 0x58
	s_delay_alu instid0(VALU_DEP_1) | instskip(NEXT) | instid1(VALU_DEP_1)
	v_mad_u64_u32 v[78:79], null, s8, s34, v[77:78]
	v_mad_u64_u32 v[79:80], null, v78, s35, s[14:15]
	s_delay_alu instid0(VALU_DEP_1) | instskip(NEXT) | instid1(VALU_DEP_1)
	v_ashrrev_i32_e32 v80, 31, v79
	v_lshlrev_b64 v[77:78], 2, v[79:80]
	s_waitcnt lgkmcnt(0)
	s_delay_alu instid0(VALU_DEP_1) | instskip(NEXT) | instid1(VALU_DEP_2)
	v_add_co_u32 v79, vcc_lo, s6, v77
	v_add_co_ci_u32_e32 v80, vcc_lo, s7, v78, vcc_lo
	v_add_co_u32 v77, vcc_lo, s4, v77
	v_add_co_ci_u32_e32 v78, vcc_lo, s5, v78, vcc_lo
	global_store_b32 v[79:80], v75, off
	global_store_b32 v[77:78], v76, off
.LBB797_14:
	s_or_b32 exec_lo, exec_lo, s3
	s_waitcnt lgkmcnt(0)
	s_waitcnt_vscnt null, 0x0
	s_barrier
	buffer_gl0_inv
	ds_load_b128 v[83:86], v72
	ds_load_b128 v[87:90], v72 offset:16
	ds_load_b128 v[95:98], v72 offset:2064
	;; [unrolled: 1-line block ×5, first 2 shown]
	v_cmp_eq_u32_e32 vcc_lo, 1, v69
	v_mov_b32_e32 v75, 0
	ds_load_b128 v[111:114], v72 offset:6160
	ds_load_b128 v[107:110], v72 offset:6144
	;; [unrolled: 1-line block ×4, first 2 shown]
	v_cmp_eq_u32_e64 s4, 1, v68
	v_cmp_eq_u32_e64 s3, 1, v71
	;; [unrolled: 1-line block ×3, first 2 shown]
	v_mov_b32_e32 v76, v75
	v_mov_b32_e32 v77, v75
	;; [unrolled: 1-line block ×7, first 2 shown]
	v_cmp_eq_u32_e64 s6, 3, v71
	v_cmp_eq_u32_e64 s7, 7, v71
	s_waitcnt lgkmcnt(8)
	s_delay_alu instid0(VALU_DEP_3)
	v_wmma_f32_16x16x16_f16 v[75:82], v[49:56], v[83:90], v[75:82]
	ds_load_b128 v[53:56], v72 offset:10256
	ds_load_b128 v[49:52], v72 offset:10240
	s_waitcnt lgkmcnt(8)
	v_wmma_f32_16x16x16_f16 v[75:82], v[41:48], v[91:98], v[75:82]
	ds_load_b128 v[45:48], v72 offset:12304
	ds_load_b128 v[41:44], v72 offset:12288
	s_waitcnt lgkmcnt(8)
	;; [unrolled: 4-line block ×3, first 2 shown]
	s_barrier
	buffer_gl0_inv
	v_wmma_f32_16x16x16_f16 v[75:82], v[1:8], v[107:114], v[75:82]
	s_delay_alu instid0(VALU_DEP_1) | instskip(NEXT) | instid1(VALU_DEP_1)
	v_wmma_f32_16x16x16_f16 v[75:82], v[9:16], v[115:122], v[75:82]
	v_wmma_f32_16x16x16_f16 v[75:82], v[17:24], v[49:56], v[75:82]
	s_delay_alu instid0(VALU_DEP_1) | instskip(NEXT) | instid1(VALU_DEP_1)
	v_wmma_f32_16x16x16_f16 v[75:82], v[25:32], v[41:48], v[75:82]
	v_wmma_f32_16x16x16_f16 v[75:82], v[57:64], v[33:40], v[75:82]
	s_delay_alu instid0(VALU_DEP_1) | instskip(NEXT) | instid1(VALU_DEP_2)
	v_cvt_f16_f32_e32 v1, v75
	v_cvt_f16_f32_e32 v2, v76
	s_delay_alu instid0(VALU_DEP_3) | instskip(NEXT) | instid1(VALU_DEP_4)
	v_cvt_f16_f32_e32 v3, v77
	v_cvt_f16_f32_e32 v4, v78
	;; [unrolled: 1-line block ×6, first 2 shown]
	v_pack_b32_f16 v1, v1, v2
	v_pack_b32_f16 v2, v3, v4
	;; [unrolled: 1-line block ×3, first 2 shown]
	s_delay_alu instid0(VALU_DEP_4)
	v_pack_b32_f16 v4, v7, v8
	ds_store_b128 v73, v[1:4]
	s_waitcnt lgkmcnt(0)
	s_barrier
	buffer_gl0_inv
	ds_load_b128 v[1:4], v74
	ds_load_b128 v[5:8], v74 offset:16
	s_waitcnt lgkmcnt(1)
	v_lshrrev_b32_e32 v9, 16, v1
	s_waitcnt lgkmcnt(0)
	v_lshrrev_b32_e32 v13, 16, v5
	v_lshrrev_b32_e32 v10, 16, v2
	;; [unrolled: 1-line block ×4, first 2 shown]
	v_cndmask_b32_e32 v17, v1, v9, vcc_lo
	v_cndmask_b32_e32 v18, v5, v13, vcc_lo
	v_cndmask_b32_e64 v21, v1, v9, s4
	v_cmp_eq_u32_e32 vcc_lo, 1, v70
	v_cndmask_b32_e64 v22, v5, v13, s4
	v_cmp_eq_u32_e64 s4, 2, v69
	v_cndmask_b32_e64 v19, v1, v9, s3
	v_cndmask_b32_e64 v20, v5, v13, s3
	v_cndmask_b32_e32 v1, v1, v9, vcc_lo
	v_cmp_eq_u32_e64 s3, 2, v70
	v_cndmask_b32_e32 v5, v5, v13, vcc_lo
	v_cndmask_b32_e64 v9, v17, v2, s4
	v_cmp_eq_u32_e32 vcc_lo, 3, v69
	v_cndmask_b32_e64 v13, v18, v6, s4
	v_cmp_eq_u32_e64 s4, 2, v68
	v_cndmask_b32_e64 v17, v19, v2, s5
	v_cndmask_b32_e64 v18, v20, v6, s5
	v_cmp_eq_u32_e64 s5, 3, v68
	v_cndmask_b32_e64 v1, v1, v2, s3
	v_cndmask_b32_e64 v19, v21, v2, s4
	;; [unrolled: 1-line block ×4, first 2 shown]
	v_cndmask_b32_e32 v5, v9, v10, vcc_lo
	v_cndmask_b32_e32 v6, v13, v14, vcc_lo
	v_cmp_eq_u32_e32 vcc_lo, 3, v70
	v_cndmask_b32_e64 v9, v17, v10, s6
	v_cndmask_b32_e64 v13, v18, v14, s6
	;; [unrolled: 1-line block ×3, first 2 shown]
	v_cmp_eq_u32_e64 s4, 4, v69
	v_cndmask_b32_e32 v1, v1, v10, vcc_lo
	v_cndmask_b32_e32 v2, v2, v14, vcc_lo
	v_cmp_eq_u32_e32 vcc_lo, 4, v71
	v_lshrrev_b32_e32 v15, 16, v7
	v_lshrrev_b32_e32 v16, 16, v8
	v_cndmask_b32_e64 v17, v19, v10, s5
	v_cmp_eq_u32_e64 s3, 4, v70
	v_cndmask_b32_e64 v5, v5, v3, s4
	v_cndmask_b32_e64 v6, v6, v7, s4
	v_cndmask_b32_e32 v9, v9, v3, vcc_lo
	v_cmp_eq_u32_e64 s4, 5, v71
	v_cndmask_b32_e32 v10, v13, v7, vcc_lo
	v_cmp_eq_u32_e32 vcc_lo, 4, v68
	v_cmp_eq_u32_e64 s5, 5, v69
	v_cndmask_b32_e64 v2, v2, v7, s3
	v_cndmask_b32_e64 v9, v9, v11, s4
	v_cndmask_b32_e64 v10, v10, v15, s4
	v_cndmask_b32_e32 v13, v17, v3, vcc_lo
	v_cmp_eq_u32_e64 s4, 5, v68
	v_cndmask_b32_e32 v14, v18, v7, vcc_lo
	v_cndmask_b32_e64 v1, v1, v3, s3
	v_cmp_eq_u32_e32 vcc_lo, 5, v70
	v_lshrrev_b32_e32 v12, 16, v4
	v_cndmask_b32_e64 v13, v13, v11, s4
	v_cndmask_b32_e64 v3, v14, v15, s4
	v_cmp_eq_u32_e64 s4, 6, v70
	v_cndmask_b32_e32 v1, v1, v11, vcc_lo
	v_cndmask_b32_e64 v5, v5, v11, s5
	v_cmp_eq_u32_e64 s6, 6, v69
	v_cndmask_b32_e64 v6, v6, v15, s5
	v_cmp_eq_u32_e64 s5, 6, v71
	v_cmp_eq_u32_e64 s3, 6, v68
	v_cndmask_b32_e64 v1, v1, v4, s4
	v_cndmask_b32_e32 v2, v2, v15, vcc_lo
	v_cmp_eq_u32_e32 vcc_lo, 7, v70
	v_cndmask_b32_e64 v5, v5, v4, s6
	v_cndmask_b32_e64 v9, v9, v4, s5
	v_cndmask_b32_e64 v6, v6, v8, s6
	v_cmp_eq_u32_e64 s6, 7, v69
	v_cndmask_b32_e32 v1, v1, v12, vcc_lo
	v_cndmask_b32_e64 v7, v13, v4, s3
	v_cndmask_b32_e64 v3, v3, v8, s3
	;; [unrolled: 1-line block ×3, first 2 shown]
	v_cmp_eq_u32_e64 s3, 7, v68
	v_cndmask_b32_e64 v4, v10, v8, s5
	v_cndmask_b32_e64 v5, v5, v12, s6
	;; [unrolled: 1-line block ×3, first 2 shown]
	v_cndmask_b32_e32 v2, v2, v16, vcc_lo
	v_cndmask_b32_e64 v7, v7, v12, s3
	v_cndmask_b32_e64 v3, v3, v16, s3
	;; [unrolled: 1-line block ×4, first 2 shown]
	v_cmp_gt_u32_e32 vcc_lo, 32, v0
	v_perm_b32 v4, v2, v1, 0x5040100
	v_perm_b32 v3, v3, v7, 0x5040100
	;; [unrolled: 1-line block ×4, first 2 shown]
	s_and_b32 s2, vcc_lo, s2
	ds_store_b128 v73, v[1:4]
	s_waitcnt lgkmcnt(0)
	s_barrier
	buffer_gl0_inv
	s_and_saveexec_b32 s3, s2
	s_cbranch_execz .LBB797_2
; %bb.15:
	s_load_b64 s[0:1], s[0:1], 0x68
	s_lshl_b32 s4, s35, 6
	v_or_b32_e32 v2, s31, v67
	s_mul_i32 s2, s4, s34
	v_lshlrev_b32_e32 v1, 10, v0
	s_mul_i32 s2, s2, s8
	v_lshlrev_b32_e32 v3, 4, v66
	v_mul_lo_u32 v0, v2, s4
	s_ashr_i32 s3, s2, 31
	v_lshlrev_b32_e32 v4, 6, v67
	v_and_b32_e32 v1, 0x3800, v1
	v_or_b32_e32 v5, 2, v2
	s_lshl_b64 s[2:3], s[2:3], 1
	v_or_b32_e32 v6, 4, v2
	v_or_b32_e32 v7, 6, v2
	v_or3_b32 v12, v1, v3, v4
	v_ashrrev_i32_e32 v1, 31, v0
	v_mul_lo_u32 v2, v5, s4
	v_mul_lo_u32 v16, v6, s4
	;; [unrolled: 1-line block ×3, first 2 shown]
	s_waitcnt lgkmcnt(0)
	s_add_u32 s2, s0, s2
	s_addc_u32 s3, s1, s3
	s_lshl_b32 s0, s14, 6
	v_lshlrev_b64 v[0:1], 1, v[0:1]
	s_ashr_i32 s1, s0, 31
	v_ashrrev_i32_e32 v3, 31, v2
	s_lshl_b64 s[0:1], s[0:1], 1
	v_ashrrev_i32_e32 v17, 31, v16
	s_add_u32 s0, s2, s0
	s_addc_u32 s1, s3, s1
	v_add_co_u32 v24, s0, s0, v65
	s_delay_alu instid0(VALU_DEP_1) | instskip(SKIP_1) | instid1(VALU_DEP_3)
	v_add_co_ci_u32_e64 v25, null, s1, 0, s0
	v_lshlrev_b64 v[22:23], 1, v[2:3]
	v_add_co_u32 v18, vcc_lo, v24, v0
	s_delay_alu instid0(VALU_DEP_3)
	v_add_co_ci_u32_e32 v19, vcc_lo, v25, v1, vcc_lo
	ds_load_b128 v[0:3], v12
	ds_load_b128 v[4:7], v12 offset:128
	ds_load_b128 v[8:11], v12 offset:256
	;; [unrolled: 1-line block ×3, first 2 shown]
	v_ashrrev_i32_e32 v21, 31, v20
	v_lshlrev_b64 v[16:17], 1, v[16:17]
	v_add_co_u32 v22, vcc_lo, v24, v22
	v_add_co_ci_u32_e32 v23, vcc_lo, v25, v23, vcc_lo
	s_delay_alu instid0(VALU_DEP_4) | instskip(NEXT) | instid1(VALU_DEP_4)
	v_lshlrev_b64 v[20:21], 1, v[20:21]
	v_add_co_u32 v16, vcc_lo, v24, v16
	v_add_co_ci_u32_e32 v17, vcc_lo, v25, v17, vcc_lo
	s_delay_alu instid0(VALU_DEP_3) | instskip(NEXT) | instid1(VALU_DEP_4)
	v_add_co_u32 v20, vcc_lo, v24, v20
	v_add_co_ci_u32_e32 v21, vcc_lo, v25, v21, vcc_lo
	s_waitcnt lgkmcnt(3)
	global_store_b128 v[18:19], v[0:3], off
	s_waitcnt lgkmcnt(2)
	global_store_b128 v[22:23], v[4:7], off
	;; [unrolled: 2-line block ×4, first 2 shown]
	s_nop 0
	s_sendmsg sendmsg(MSG_DEALLOC_VGPRS)
	s_endpgm
	.section	.rodata,"a",@progbits
	.p2align	6, 0x0
	.amdhsa_kernel _Z39paged_attention_ll4mi_QKV_mfma16_kernelIDF16_hLN4vllm18Fp8KVCacheDataTypeE1EhLi16ELi64ELi256ELb0ELi8EL8MFMAType1EEvPKT_PKT0_S8_ifPKiSA_SA_iPKfiiiPfSD_PS3_PT2_iSC_SC_
		.amdhsa_group_segment_fixed_size 17472
		.amdhsa_private_segment_fixed_size 0
		.amdhsa_kernarg_size 400
		.amdhsa_user_sgpr_count 13
		.amdhsa_user_sgpr_dispatch_ptr 0
		.amdhsa_user_sgpr_queue_ptr 0
		.amdhsa_user_sgpr_kernarg_segment_ptr 1
		.amdhsa_user_sgpr_dispatch_id 0
		.amdhsa_user_sgpr_private_segment_size 0
		.amdhsa_wavefront_size32 1
		.amdhsa_uses_dynamic_stack 0
		.amdhsa_enable_private_segment 0
		.amdhsa_system_sgpr_workgroup_id_x 1
		.amdhsa_system_sgpr_workgroup_id_y 1
		.amdhsa_system_sgpr_workgroup_id_z 1
		.amdhsa_system_sgpr_workgroup_info 0
		.amdhsa_system_vgpr_workitem_id 0
		.amdhsa_next_free_vgpr 123
		.amdhsa_next_free_sgpr 40
		.amdhsa_reserve_vcc 1
		.amdhsa_float_round_mode_32 0
		.amdhsa_float_round_mode_16_64 0
		.amdhsa_float_denorm_mode_32 3
		.amdhsa_float_denorm_mode_16_64 3
		.amdhsa_dx10_clamp 1
		.amdhsa_ieee_mode 1
		.amdhsa_fp16_overflow 0
		.amdhsa_workgroup_processor_mode 1
		.amdhsa_memory_ordered 1
		.amdhsa_forward_progress 0
		.amdhsa_shared_vgpr_count 0
		.amdhsa_exception_fp_ieee_invalid_op 0
		.amdhsa_exception_fp_denorm_src 0
		.amdhsa_exception_fp_ieee_div_zero 0
		.amdhsa_exception_fp_ieee_overflow 0
		.amdhsa_exception_fp_ieee_underflow 0
		.amdhsa_exception_fp_ieee_inexact 0
		.amdhsa_exception_int_div_zero 0
	.end_amdhsa_kernel
	.section	.text._Z39paged_attention_ll4mi_QKV_mfma16_kernelIDF16_hLN4vllm18Fp8KVCacheDataTypeE1EhLi16ELi64ELi256ELb0ELi8EL8MFMAType1EEvPKT_PKT0_S8_ifPKiSA_SA_iPKfiiiPfSD_PS3_PT2_iSC_SC_,"axG",@progbits,_Z39paged_attention_ll4mi_QKV_mfma16_kernelIDF16_hLN4vllm18Fp8KVCacheDataTypeE1EhLi16ELi64ELi256ELb0ELi8EL8MFMAType1EEvPKT_PKT0_S8_ifPKiSA_SA_iPKfiiiPfSD_PS3_PT2_iSC_SC_,comdat
.Lfunc_end797:
	.size	_Z39paged_attention_ll4mi_QKV_mfma16_kernelIDF16_hLN4vllm18Fp8KVCacheDataTypeE1EhLi16ELi64ELi256ELb0ELi8EL8MFMAType1EEvPKT_PKT0_S8_ifPKiSA_SA_iPKfiiiPfSD_PS3_PT2_iSC_SC_, .Lfunc_end797-_Z39paged_attention_ll4mi_QKV_mfma16_kernelIDF16_hLN4vllm18Fp8KVCacheDataTypeE1EhLi16ELi64ELi256ELb0ELi8EL8MFMAType1EEvPKT_PKT0_S8_ifPKiSA_SA_iPKfiiiPfSD_PS3_PT2_iSC_SC_
                                        ; -- End function
	.section	.AMDGPU.csdata,"",@progbits
; Kernel info:
; codeLenInByte = 6492
; NumSgprs: 42
; NumVgprs: 123
; ScratchSize: 0
; MemoryBound: 0
; FloatMode: 240
; IeeeMode: 1
; LDSByteSize: 17472 bytes/workgroup (compile time only)
; SGPRBlocks: 5
; VGPRBlocks: 15
; NumSGPRsForWavesPerEU: 42
; NumVGPRsForWavesPerEU: 123
; Occupancy: 10
; WaveLimiterHint : 1
; COMPUTE_PGM_RSRC2:SCRATCH_EN: 0
; COMPUTE_PGM_RSRC2:USER_SGPR: 13
; COMPUTE_PGM_RSRC2:TRAP_HANDLER: 0
; COMPUTE_PGM_RSRC2:TGID_X_EN: 1
; COMPUTE_PGM_RSRC2:TGID_Y_EN: 1
; COMPUTE_PGM_RSRC2:TGID_Z_EN: 1
; COMPUTE_PGM_RSRC2:TIDIG_COMP_CNT: 0
	.section	.text._Z39paged_attention_ll4mi_QKV_mfma16_kernelIDF16_hLN4vllm18Fp8KVCacheDataTypeE1EhLi16ELi64ELi256ELb0ELi9EL8MFMAType1EEvPKT_PKT0_S8_ifPKiSA_SA_iPKfiiiPfSD_PS3_PT2_iSC_SC_,"axG",@progbits,_Z39paged_attention_ll4mi_QKV_mfma16_kernelIDF16_hLN4vllm18Fp8KVCacheDataTypeE1EhLi16ELi64ELi256ELb0ELi9EL8MFMAType1EEvPKT_PKT0_S8_ifPKiSA_SA_iPKfiiiPfSD_PS3_PT2_iSC_SC_,comdat
	.protected	_Z39paged_attention_ll4mi_QKV_mfma16_kernelIDF16_hLN4vllm18Fp8KVCacheDataTypeE1EhLi16ELi64ELi256ELb0ELi9EL8MFMAType1EEvPKT_PKT0_S8_ifPKiSA_SA_iPKfiiiPfSD_PS3_PT2_iSC_SC_ ; -- Begin function _Z39paged_attention_ll4mi_QKV_mfma16_kernelIDF16_hLN4vllm18Fp8KVCacheDataTypeE1EhLi16ELi64ELi256ELb0ELi9EL8MFMAType1EEvPKT_PKT0_S8_ifPKiSA_SA_iPKfiiiPfSD_PS3_PT2_iSC_SC_
	.globl	_Z39paged_attention_ll4mi_QKV_mfma16_kernelIDF16_hLN4vllm18Fp8KVCacheDataTypeE1EhLi16ELi64ELi256ELb0ELi9EL8MFMAType1EEvPKT_PKT0_S8_ifPKiSA_SA_iPKfiiiPfSD_PS3_PT2_iSC_SC_
	.p2align	8
	.type	_Z39paged_attention_ll4mi_QKV_mfma16_kernelIDF16_hLN4vllm18Fp8KVCacheDataTypeE1EhLi16ELi64ELi256ELb0ELi9EL8MFMAType1EEvPKT_PKT0_S8_ifPKiSA_SA_iPKfiiiPfSD_PS3_PT2_iSC_SC_,@function
_Z39paged_attention_ll4mi_QKV_mfma16_kernelIDF16_hLN4vllm18Fp8KVCacheDataTypeE1EhLi16ELi64ELi256ELb0ELi9EL8MFMAType1EEvPKT_PKT0_S8_ifPKiSA_SA_iPKfiiiPfSD_PS3_PT2_iSC_SC_: ; @_Z39paged_attention_ll4mi_QKV_mfma16_kernelIDF16_hLN4vllm18Fp8KVCacheDataTypeE1EhLi16ELi64ELi256ELb0ELi9EL8MFMAType1EEvPKT_PKT0_S8_ifPKiSA_SA_iPKfiiiPfSD_PS3_PT2_iSC_SC_
; %bb.0:
	s_load_b64 s[2:3], s[0:1], 0x30
	s_mov_b32 s34, s13
	s_waitcnt lgkmcnt(0)
	s_cmp_lg_u64 s[2:3], 0
	s_cselect_b32 s6, -1, 0
	s_ashr_i32 s35, s13, 31
	s_cmp_eq_u64 s[2:3], 0
	s_cbranch_scc1 .LBB798_3
; %bb.1:
	s_lshl_b64 s[4:5], s[34:35], 2
	s_delay_alu instid0(SALU_CYCLE_1) | instskip(SKIP_4) | instid1(SALU_CYCLE_1)
	s_add_u32 s4, s2, s4
	s_addc_u32 s5, s3, s5
	s_load_b64 s[4:5], s[4:5], 0x0
	s_waitcnt lgkmcnt(0)
	s_sub_i32 s4, s5, s4
	s_cmp_eq_u32 s4, 1
	s_cselect_b32 s4, -1, 0
	s_delay_alu instid0(SALU_CYCLE_1)
	s_and_not1_b32 vcc_lo, exec_lo, s4
	s_cbranch_vccz .LBB798_4
.LBB798_2:
	s_nop 0
	s_sendmsg sendmsg(MSG_DEALLOC_VGPRS)
	s_endpgm
.LBB798_3:
.LBB798_4:
	s_load_b64 s[8:9], s[0:1], 0x28
	s_lshl_b64 s[4:5], s[34:35], 2
	s_waitcnt lgkmcnt(0)
	s_add_u32 s8, s8, s4
	s_addc_u32 s9, s9, s5
	s_lshl_b32 s16, s14, 8
	s_load_b32 s18, s[8:9], 0x0
	s_waitcnt lgkmcnt(0)
	s_cmp_ge_i32 s16, s18
	s_cbranch_scc1 .LBB798_2
; %bb.5:
	s_clause 0x1
	s_load_b128 s[8:11], s[0:1], 0x8
	s_load_b64 s[12:13], s[0:1], 0x20
	s_and_not1_b32 vcc_lo, exec_lo, s6
	s_cbranch_vccnz .LBB798_7
; %bb.6:
	s_add_u32 s2, s2, s4
	s_addc_u32 s3, s3, s5
	s_load_b32 s3, s[2:3], 0x0
	s_branch .LBB798_8
.LBB798_7:
	s_mov_b32 s3, s34
.LBB798_8:
	s_load_b128 s[4:7], s[0:1], 0x48
	v_lshrrev_b32_e32 v69, 5, v0
	v_bfe_u32 v66, v0, 4, 1
	v_and_b32_e32 v68, 15, v0
	v_and_b32_e32 v70, 31, v0
	;; [unrolled: 1-line block ×3, first 2 shown]
	s_mul_i32 s33, s15, 9
	v_lshl_or_b32 v1, v69, 1, v66
	v_lshlrev_b32_e32 v2, 3, v68
	v_cmp_gt_u32_e64 s2, 8, v68
	s_delay_alu instid0(VALU_DEP_3) | instskip(NEXT) | instid1(VALU_DEP_3)
	v_cmp_gt_u32_e32 vcc_lo, 9, v1
	v_lshlrev_b32_e32 v65, 1, v2
	s_delay_alu instid0(VALU_DEP_3)
	s_and_b32 s17, s2, vcc_lo
	s_waitcnt lgkmcnt(0)
	s_and_saveexec_b32 s7, s17
	s_cbranch_execz .LBB798_10
; %bb.9:
	s_load_b64 s[20:21], s[0:1], 0x0
	v_add_lshl_u32 v2, v1, s33, 6
	s_mul_hi_i32 s23, s3, s4
	s_mul_i32 s22, s3, s4
	v_lshlrev_b32_e32 v6, 10, v68
	s_lshl_b64 s[22:23], s[22:23], 1
	v_ashrrev_i32_e32 v3, 31, v2
	v_lshlrev_b32_e32 v1, 6, v1
	v_lshlrev_b32_e32 v7, 10, v67
	v_and_b32_e32 v6, 0x3800, v6
	s_delay_alu instid0(VALU_DEP_4) | instskip(NEXT) | instid1(VALU_DEP_2)
	v_lshlrev_b64 v[2:3], 1, v[2:3]
	v_or3_b32 v1, v6, v7, v1
	s_waitcnt lgkmcnt(0)
	s_add_u32 s3, s20, s22
	s_addc_u32 s4, s21, s23
	s_delay_alu instid0(VALU_DEP_2) | instskip(SKIP_1) | instid1(VALU_DEP_2)
	v_add_co_u32 v2, vcc_lo, s3, v2
	v_add_co_ci_u32_e32 v3, vcc_lo, s4, v3, vcc_lo
	v_add_co_u32 v2, vcc_lo, v2, v65
	s_delay_alu instid0(VALU_DEP_2)
	v_add_co_ci_u32_e32 v3, vcc_lo, 0, v3, vcc_lo
	global_load_b128 v[2:5], v[2:3], off
	s_waitcnt vmcnt(0)
	ds_store_b128 v1, v[2:5]
.LBB798_10:
	s_or_b32 exec_lo, exec_lo, s7
	v_and_b32_e32 v1, 0xef, v0
	s_add_i32 s3, s18, 15
	s_clause 0x1
	s_load_b32 s4, s[0:1], 0x38
	s_load_b32 s35, s[0:1], 0x98
	s_ashr_i32 s7, s3, 31
	v_add_nc_u32_e32 v1, s16, v1
	s_lshr_b32 s7, s7, 28
	s_load_b32 s19, s[0:1], 0x1c
	v_add_nc_u32_e32 v103, -9, v68
	s_add_i32 s3, s3, s7
	v_ashrrev_i32_e32 v2, 31, v1
	v_or_b32_e32 v3, 16, v1
	s_ashr_i32 s3, s3, 4
	v_cmp_gt_i32_e32 vcc_lo, s18, v1
	s_add_i32 s3, s3, -1
	v_lshrrev_b32_e32 v2, 28, v2
	s_waitcnt lgkmcnt(0)
	s_barrier
	buffer_gl0_inv
	s_mul_i32 s15, s15, s6
	v_add_nc_u32_e32 v4, v1, v2
	v_mbcnt_lo_u32_b32 v127, -1, 0
	s_mul_i32 s20, s34, s4
	s_delay_alu instid0(SALU_CYCLE_1) | instskip(NEXT) | instid1(VALU_DEP_2)
	s_ashr_i32 s21, s20, 31
	v_ashrrev_i32_e32 v4, 4, v4
	v_add_nc_u32_e32 v2, v3, v2
	s_lshl_b64 s[20:21], s[20:21], 2
	v_xor_b32_e32 v128, 16, v127
	s_add_u32 s17, s12, s20
	v_cndmask_b32_e32 v1, s3, v4, vcc_lo
	v_ashrrev_i32_e32 v2, 4, v2
	v_cmp_gt_i32_e32 vcc_lo, s18, v3
	s_addc_u32 s13, s13, s21
	s_ashr_i32 s20, s15, 31
	s_add_u32 s4, s8, s15
	s_addc_u32 s12, s9, s20
	v_cndmask_b32_e32 v3, s3, v2, vcc_lo
	v_ashrrev_i32_e32 v2, 31, v1
	s_lshl_b32 s6, s14, 4
	s_delay_alu instid0(SALU_CYCLE_1) | instskip(NEXT) | instid1(VALU_DEP_2)
	s_ashr_i32 s7, s6, 31
	v_ashrrev_i32_e32 v4, 31, v3
	s_delay_alu instid0(VALU_DEP_2) | instskip(SKIP_1) | instid1(SALU_CYCLE_1)
	v_lshlrev_b64 v[1:2], 2, v[1:2]
	s_lshl_b64 s[6:7], s[6:7], 2
	s_add_u32 s6, s17, s6
	s_delay_alu instid0(VALU_DEP_2) | instskip(SKIP_1) | instid1(VALU_DEP_2)
	v_lshlrev_b64 v[3:4], 2, v[3:4]
	s_addc_u32 s7, s13, s7
	v_add_co_u32 v1, vcc_lo, s17, v1
	v_add_co_ci_u32_e32 v2, vcc_lo, s13, v2, vcc_lo
	s_delay_alu instid0(VALU_DEP_3) | instskip(NEXT) | instid1(VALU_DEP_4)
	v_add_co_u32 v3, vcc_lo, s17, v3
	v_add_co_ci_u32_e32 v4, vcc_lo, s13, v4, vcc_lo
	s_clause 0x1
	global_load_b32 v5, v[1:2], off
	global_load_b32 v7, v[3:4], off
	s_or_b32 s8, s16, 32
	v_lshlrev_b32_e32 v1, 4, v0
	s_ashr_i32 s9, s8, 4
	s_cmp_lt_i32 s8, s18
	v_cmp_gt_u32_e32 vcc_lo, 9, v68
	s_cselect_b32 s8, s9, s3
	v_and_b32_e32 v1, 0xf0, v1
	s_ashr_i32 s9, s8, 31
	s_delay_alu instid0(SALU_CYCLE_1)
	s_lshl_b64 s[8:9], s[8:9], 2
	v_cndmask_b32_e32 v103, v103, v68, vcc_lo
	s_add_u32 s8, s17, s8
	s_addc_u32 s9, s13, s9
	s_or_b32 s21, s16, 64
	v_add_co_u32 v1, s4, s4, v1
	s_ashr_i32 s22, s21, 4
	s_cmp_lt_i32 s21, s18
	v_add_co_ci_u32_e64 v2, null, s12, 0, s4
	s_cselect_b32 s22, s22, s3
	v_cmp_gt_i32_e32 vcc_lo, 32, v128
	s_ashr_i32 s23, s22, 31
	v_lshlrev_b32_e32 v115, 6, v103
	s_lshl_b64 s[22:23], s[22:23], 2
	v_cndmask_b32_e32 v136, v127, v128, vcc_lo
	s_add_u32 s22, s17, s22
	s_addc_u32 s23, s13, s23
	s_or_b32 s21, s16, 0x60
	s_delay_alu instid0(SALU_CYCLE_1) | instskip(SKIP_2) | instid1(SALU_CYCLE_1)
	s_ashr_i32 s24, s21, 4
	s_cmp_lt_i32 s21, s18
	s_cselect_b32 s24, s24, s3
	s_ashr_i32 s25, s24, 31
	s_delay_alu instid0(SALU_CYCLE_1) | instskip(NEXT) | instid1(SALU_CYCLE_1)
	s_lshl_b64 s[24:25], s[24:25], 2
	s_add_u32 s24, s17, s24
	s_addc_u32 s25, s13, s25
	s_or_b32 s21, s16, 0x80
	s_delay_alu instid0(SALU_CYCLE_1) | instskip(SKIP_2) | instid1(SALU_CYCLE_1)
	s_ashr_i32 s26, s21, 4
	s_cmp_lt_i32 s21, s18
	s_cselect_b32 s26, s26, s3
	s_ashr_i32 s27, s26, 31
	s_delay_alu instid0(SALU_CYCLE_1) | instskip(NEXT) | instid1(SALU_CYCLE_1)
	s_lshl_b64 s[26:27], s[26:27], 2
	;; [unrolled: 10-line block ×3, first 2 shown]
	s_add_u32 s28, s17, s28
	s_addc_u32 s29, s13, s29
	s_clause 0x5
	s_load_b32 s12, s[6:7], 0x0
	s_load_b32 s4, s[8:9], 0x0
	;; [unrolled: 1-line block ×6, first 2 shown]
	s_or_b32 s21, s16, 0xc0
	s_delay_alu instid0(SALU_CYCLE_1) | instskip(SKIP_2) | instid1(SALU_CYCLE_1)
	s_ashr_i32 s22, s21, 4
	s_cmp_lt_i32 s21, s18
	s_cselect_b32 s22, s22, s3
	s_ashr_i32 s23, s22, 31
	s_delay_alu instid0(SALU_CYCLE_1) | instskip(NEXT) | instid1(SALU_CYCLE_1)
	s_lshl_b64 s[22:23], s[22:23], 2
	s_add_u32 s22, s17, s22
	s_addc_u32 s23, s13, s23
	s_or_b32 s21, s16, 0xe0
	s_delay_alu instid0(SALU_CYCLE_1) | instskip(SKIP_2) | instid1(SALU_CYCLE_1)
	s_ashr_i32 s24, s21, 4
	s_cmp_lt_i32 s21, s18
	s_cselect_b32 s24, s24, s3
	s_ashr_i32 s25, s24, 31
	s_delay_alu instid0(SALU_CYCLE_1)
	s_lshl_b64 s[24:25], s[24:25], 2
	s_waitcnt vmcnt(1)
	v_mad_i64_i32 v[3:4], null, v5, s5, v[1:2]
	s_waitcnt vmcnt(0)
	v_mad_i64_i32 v[5:6], null, v7, s5, v[1:2]
	v_lshlrev_b32_e32 v1, 4, v68
	s_clause 0x7
	global_load_b128 v[71:74], v[3:4], off
	global_load_b128 v[75:78], v[3:4], off offset:256
	global_load_b128 v[79:82], v[5:6], off
	global_load_b128 v[83:86], v[5:6], off offset:256
	global_load_b128 v[87:90], v[3:4], off offset:512
	;; [unrolled: 1-line block ×5, first 2 shown]
	v_lshl_or_b32 v1, v69, 8, v1
	s_load_b32 s3, s[22:23], 0x0
	s_add_u32 s22, s17, s24
	s_addc_u32 s23, s13, s25
	s_add_u32 s10, s10, s15
	s_addc_u32 s11, s11, s20
	v_add_co_u32 v1, s10, s10, v1
	s_delay_alu instid0(VALU_DEP_1) | instskip(SKIP_2) | instid1(VALU_DEP_1)
	v_add_co_ci_u32_e64 v2, null, s11, 0, s10
	s_load_b32 s10, s[22:23], 0x0
	s_waitcnt lgkmcnt(0)
	v_mad_i64_i32 v[3:4], null, s12, s5, v[1:2]
	v_mad_i64_i32 v[9:10], null, s7, s5, v[1:2]
	;; [unrolled: 1-line block ×7, first 2 shown]
	s_clause 0x5
	global_load_b128 v[49:52], v[3:4], off
	global_load_b128 v[53:56], v[3:4], off offset:16
	global_load_b128 v[41:44], v[5:6], off
	global_load_b128 v[45:48], v[5:6], off offset:16
	;; [unrolled: 2-line block ×3, first 2 shown]
	s_mov_b32 s4, 0
	v_mad_i64_i32 v[61:62], null, s10, s5, v[1:2]
	s_clause 0x9
	global_load_b128 v[1:4], v[9:10], off
	global_load_b128 v[5:8], v[9:10], off offset:16
	global_load_b128 v[9:12], v[13:14], off
	global_load_b128 v[13:16], v[13:14], off offset:16
	global_load_b128 v[17:20], v[21:22], off
	global_load_b128 v[21:24], v[21:22], off offset:16
	global_load_b128 v[25:28], v[29:30], off
	global_load_b128 v[29:32], v[29:30], off offset:16
	global_load_b128 v[57:60], v[61:62], off
	global_load_b128 v[61:64], v[61:62], off offset:16
	s_mov_b32 s5, s4
	s_mov_b32 s6, s4
	;; [unrolled: 1-line block ×7, first 2 shown]
	v_and_b32_e32 v104, 0xe0, v0
	v_dual_mov_b32 v126, s11 :: v_dual_mov_b32 v125, s10
	v_dual_mov_b32 v124, s9 :: v_dual_mov_b32 v123, s8
	s_delay_alu instid0(VALU_DEP_3)
	v_add_nc_u32_e32 v111, s16, v104
	ds_load_b128 v[103:106], v115
	ds_load_b128 v[107:110], v115 offset:1024
	v_dual_mov_b32 v122, s7 :: v_dual_mov_b32 v121, s6
	v_mov_b32_e32 v120, s5
	v_or_b32_e32 v135, v111, v66
	ds_load_b128 v[111:114], v115 offset:2048
	ds_load_b128 v[115:118], v115 offset:3072
	v_mov_b32_e32 v119, s4
	s_waitcnt vmcnt(0) lgkmcnt(0)
	s_barrier
	v_or_b32_e32 v137, 2, v135
	v_or_b32_e32 v138, 4, v135
	;; [unrolled: 1-line block ×3, first 2 shown]
	v_cmp_gt_i32_e32 vcc_lo, s18, v135
	v_or_b32_e32 v140, 8, v135
	v_cmp_gt_i32_e64 s3, s18, v137
	v_or_b32_e32 v141, 10, v135
	v_cmp_gt_i32_e64 s4, s18, v138
	v_cmp_gt_i32_e64 s5, s18, v139
	v_or_b32_e32 v142, 12, v135
	v_or_b32_e32 v143, 14, v135
	v_cmp_gt_i32_e64 s6, s18, v140
	v_cmp_gt_i32_e64 s7, s18, v141
	v_or_b32_e32 v144, 16, v135
	v_or_b32_e32 v145, 18, v135
	v_cmp_gt_i32_e64 s8, s18, v142
	v_cmp_gt_i32_e64 s9, s18, v143
	buffer_gl0_inv
	v_cmp_gt_i32_e64 s10, s18, v144
	v_cmp_gt_i32_e64 s11, s18, v145
	v_wmma_f32_16x16x16_f16 v[127:134], v[71:78], v[103:110], v[119:126]
	v_wmma_f32_16x16x16_f16 v[119:126], v[79:86], v[103:110], v[119:126]
	v_or_b32_e32 v71, 20, v135
	v_or_b32_e32 v72, 22, v135
	s_delay_alu instid0(VALU_DEP_4)
	v_wmma_f32_16x16x16_f16 v[127:134], v[87:94], v[111:118], v[127:134]
	v_or_b32_e32 v73, 24, v135
	v_wmma_f32_16x16x16_f16 v[119:126], v[95:102], v[111:118], v[119:126]
	v_or_b32_e32 v74, 26, v135
	v_cmp_gt_i32_e64 s12, s18, v71
	v_dual_mul_f32 v83, s19, v128 :: v_dual_mul_f32 v84, s19, v127
	v_dual_mul_f32 v81, s19, v130 :: v_dual_mul_f32 v82, s19, v129
	;; [unrolled: 1-line block ×3, first 2 shown]
	s_delay_alu instid0(VALU_DEP_3) | instskip(NEXT) | instid1(VALU_DEP_4)
	v_cndmask_b32_e32 v84, 0xff7fffff, v84, vcc_lo
	v_cndmask_b32_e64 v83, 0xff7fffff, v83, s3
	v_mul_f32_e32 v80, s19, v131
	v_cndmask_b32_e64 v82, 0xff7fffff, v82, s4
	v_cndmask_b32_e64 v81, 0xff7fffff, v81, s5
	v_dual_mul_f32 v77, s19, v134 :: v_dual_mul_f32 v90, s19, v121
	v_max3_f32 v83, v84, 0xff7fffff, v83
	v_mul_f32_e32 v78, s19, v133
	v_cndmask_b32_e64 v80, 0xff7fffff, v80, s6
	v_cndmask_b32_e64 v79, 0xff7fffff, v79, s7
	v_mul_f32_e32 v91, s19, v120
	v_max3_f32 v81, v83, v82, v81
	v_cndmask_b32_e64 v78, 0xff7fffff, v78, s8
	v_cndmask_b32_e64 v77, 0xff7fffff, v77, s9
	v_mul_f32_e32 v89, s19, v122
	v_cmp_gt_i32_e64 s13, s18, v72
	v_max3_f32 v79, v81, v80, v79
	v_cndmask_b32_e64 v80, 0xff7fffff, v92, s10
	v_cndmask_b32_e64 v81, 0xff7fffff, v91, s11
	v_or_b32_e32 v75, 28, v135
	v_or_b32_e32 v76, 30, v135
	v_max3_f32 v77, v79, v78, v77
	v_dual_mul_f32 v87, s19, v124 :: v_dual_mul_f32 v88, s19, v123
	v_cndmask_b32_e64 v71, 0xff7fffff, v90, s12
	v_cndmask_b32_e64 v72, 0xff7fffff, v89, s13
	s_delay_alu instid0(VALU_DEP_4) | instskip(SKIP_3) | instid1(VALU_DEP_4)
	v_max3_f32 v77, v77, v80, v81
	v_cmp_gt_i32_e64 s15, s18, v73
	v_cmp_gt_i32_e64 s16, s18, v74
	v_dual_mul_f32 v85, s19, v126 :: v_dual_mul_f32 v86, s19, v125
	v_max3_f32 v71, v77, v71, v72
	s_delay_alu instid0(VALU_DEP_4) | instskip(NEXT) | instid1(VALU_DEP_4)
	v_cndmask_b32_e64 v73, 0xff7fffff, v88, s15
	v_cndmask_b32_e64 v74, 0xff7fffff, v87, s16
	v_cmp_gt_i32_e64 s17, s18, v75
	v_cmp_gt_i32_e64 s18, s18, v76
	s_delay_alu instid0(VALU_DEP_3) | instskip(NEXT) | instid1(VALU_DEP_3)
	v_max3_f32 v71, v71, v73, v74
	v_cndmask_b32_e64 v72, 0xff7fffff, v86, s17
	s_delay_alu instid0(VALU_DEP_3) | instskip(SKIP_1) | instid1(VALU_DEP_2)
	v_cndmask_b32_e64 v75, 0xff7fffff, v85, s18
	v_lshlrev_b32_e32 v73, 2, v136
	v_max3_f32 v71, v71, v72, v75
	ds_bpermute_b32 v72, v73, v71
	s_waitcnt lgkmcnt(0)
	v_max_f32_e32 v72, v72, v72
	s_delay_alu instid0(VALU_DEP_1) | instskip(NEXT) | instid1(VALU_DEP_1)
	v_max_f32_e32 v71, v71, v72
	v_fma_f32 v72, s19, v127, -v71
	v_fma_f32 v74, s19, v128, -v71
	;; [unrolled: 1-line block ×5, first 2 shown]
	v_mul_f32_e32 v72, 0x3fb8aa3b, v72
	s_delay_alu instid0(VALU_DEP_4) | instskip(NEXT) | instid1(VALU_DEP_4)
	v_dual_mul_f32 v74, 0x3fb8aa3b, v74 :: v_dual_mul_f32 v75, 0x3fb8aa3b, v75
	v_mul_f32_e32 v76, 0x3fb8aa3b, v76
	s_delay_alu instid0(VALU_DEP_4) | instskip(NEXT) | instid1(VALU_DEP_4)
	v_mul_f32_e32 v82, 0x3fb8aa3b, v80
	v_exp_f32_e32 v72, v72
	s_delay_alu instid0(VALU_DEP_3)
	v_exp_f32_e32 v74, v74
	v_exp_f32_e32 v75, v75
	;; [unrolled: 1-line block ×3, first 2 shown]
	v_fma_f32 v77, s19, v131, -v71
	v_exp_f32_e32 v84, v82
	v_cndmask_b32_e32 v79, 0, v72, vcc_lo
	v_cndmask_b32_e64 v78, 0, v74, s3
	s_delay_alu instid0(TRANS32_DEP_3) | instskip(SKIP_1) | instid1(TRANS32_DEP_2)
	v_cndmask_b32_e64 v81, 0, v75, s4
	v_fma_f32 v72, s19, v132, -v71
	v_cndmask_b32_e64 v80, 0, v76, s5
	v_add_f32_e32 v74, 0, v79
	s_delay_alu instid0(TRANS32_DEP_1) | instskip(SKIP_2) | instid1(VALU_DEP_4)
	v_cndmask_b32_e64 v85, 0, v84, s8
	v_cmp_gt_u32_e64 s3, 16, v70
	v_mul_f32_e32 v72, 0x3fb8aa3b, v72
	v_add_f32_e32 v74, v74, v78
	s_delay_alu instid0(VALU_DEP_2) | instskip(NEXT) | instid1(VALU_DEP_1)
	v_exp_f32_e32 v72, v72
	v_add_f32_e32 v74, v74, v81
	s_delay_alu instid0(VALU_DEP_1) | instskip(NEXT) | instid1(VALU_DEP_1)
	v_dual_mul_f32 v77, 0x3fb8aa3b, v77 :: v_dual_add_f32 v74, v74, v80
	v_exp_f32_e32 v77, v77
	s_waitcnt_depctr 0xfff
	v_cndmask_b32_e64 v82, 0, v72, s7
	v_cndmask_b32_e64 v83, 0, v77, s6
	s_delay_alu instid0(VALU_DEP_1) | instskip(SKIP_4) | instid1(VALU_DEP_4)
	v_add_f32_e32 v72, v74, v83
	v_fma_f32 v75, s19, v134, -v71
	v_fma_f32 v76, s19, v119, -v71
	;; [unrolled: 1-line block ×4, first 2 shown]
	v_dual_add_f32 v72, v72, v82 :: v_dual_mul_f32 v75, 0x3fb8aa3b, v75
	s_delay_alu instid0(VALU_DEP_3) | instskip(NEXT) | instid1(VALU_DEP_3)
	v_dual_mul_f32 v76, 0x3fb8aa3b, v76 :: v_dual_mul_f32 v77, 0x3fb8aa3b, v77
	v_mul_f32_e32 v74, 0x3fb8aa3b, v74
	v_fma_f32 v86, s19, v122, -v71
	s_delay_alu instid0(VALU_DEP_4) | instskip(NEXT) | instid1(VALU_DEP_3)
	v_exp_f32_e32 v75, v75
	v_exp_f32_e32 v76, v76
	;; [unrolled: 1-line block ×4, first 2 shown]
	v_mul_f32_e32 v86, 0x3fb8aa3b, v86
	s_delay_alu instid0(VALU_DEP_1)
	v_exp_f32_e32 v88, v86
	v_cndmask_b32_e64 v84, 0, v75, s9
	v_fma_f32 v75, s19, v123, -v71
	v_add_f32_e32 v72, v72, v85
	v_cndmask_b32_e64 v87, 0, v76, s10
	v_fma_f32 v76, s19, v124, -v71
	s_delay_alu instid0(TRANS32_DEP_3) | instskip(NEXT) | instid1(VALU_DEP_4)
	v_cndmask_b32_e64 v86, 0, v77, s11
	v_dual_mul_f32 v75, 0x3fb8aa3b, v75 :: v_dual_add_f32 v72, v72, v84
	v_fma_f32 v77, s19, v125, -v71
	s_delay_alu instid0(VALU_DEP_4) | instskip(SKIP_1) | instid1(VALU_DEP_4)
	v_mul_f32_e32 v76, 0x3fb8aa3b, v76
	v_cndmask_b32_e64 v89, 0, v74, s12
	v_exp_f32_e32 v75, v75
	v_add_f32_e32 v72, v72, v87
	v_mul_f32_e32 v74, 0x3fb8aa3b, v77
	v_exp_f32_e32 v76, v76
	v_cndmask_b32_e64 v88, 0, v88, s13
	v_fma_f32 v77, s19, v126, -v71
	v_add_f32_e32 v72, v72, v86
	v_exp_f32_e32 v74, v74
	s_delay_alu instid0(TRANS32_DEP_3) | instskip(NEXT) | instid1(VALU_DEP_2)
	v_cndmask_b32_e64 v91, 0, v75, s15
	v_add_f32_e32 v72, v72, v89
	v_mul_f32_e32 v75, 0x3fb8aa3b, v77
	s_delay_alu instid0(TRANS32_DEP_2) | instskip(NEXT) | instid1(VALU_DEP_3)
	v_cndmask_b32_e64 v90, 0, v76, s16
	v_add_f32_e32 v72, v72, v88
	s_delay_alu instid0(VALU_DEP_3) | instskip(NEXT) | instid1(TRANS32_DEP_2)
	v_exp_f32_e32 v75, v75
	v_cndmask_b32_e64 v93, 0, v74, s17
	s_delay_alu instid0(VALU_DEP_2) | instskip(NEXT) | instid1(VALU_DEP_1)
	v_add_f32_e32 v72, v72, v91
	v_add_f32_e32 v72, v72, v90
	s_waitcnt_depctr 0xfff
	v_cndmask_b32_e64 v92, 0, v75, s18
	v_add_f32_e32 v72, v72, v93
	s_delay_alu instid0(VALU_DEP_1)
	v_add_f32_e32 v72, v72, v92
	ds_bpermute_b32 v73, v73, v72
	s_and_saveexec_b32 s4, s3
	s_cbranch_execz .LBB798_12
; %bb.11:
	v_mul_u32_u24_e32 v70, 0x44, v69
	s_waitcnt lgkmcnt(0)
	v_add_f32_e32 v72, v72, v73
	s_delay_alu instid0(VALU_DEP_2) | instskip(NEXT) | instid1(VALU_DEP_1)
	v_lshl_add_u32 v70, v68, 2, v70
	v_add_nc_u32_e32 v70, 0x4000, v70
	ds_store_2addr_b32 v70, v71, v72 offset1:136
.LBB798_12:
	s_or_b32 exec_lo, exec_lo, s4
	v_lshlrev_b32_e32 v70, 2, v68
	s_load_b32 s36, s[0:1], 0x94
	s_waitcnt lgkmcnt(0)
	s_barrier
	buffer_gl0_inv
	v_add_nc_u32_e32 v98, 0x4000, v70
	v_cmp_eq_u32_e32 vcc_lo, 1, v69
	v_cmp_eq_u32_e64 s4, 2, v69
	v_cmp_eq_u32_e64 s5, 3, v69
	;; [unrolled: 1-line block ×3, first 2 shown]
	ds_load_2addr_b32 v[70:71], v98 offset1:17
	ds_load_2addr_b32 v[72:73], v98 offset0:34 offset1:51
	ds_load_2addr_b32 v[74:75], v98 offset0:68 offset1:85
	;; [unrolled: 1-line block ×3, first 2 shown]
	v_cmp_eq_u32_e64 s7, 5, v69
	v_cmp_eq_u32_e64 s8, 7, v69
	s_waitcnt lgkmcnt(3)
	v_max3_f32 v76, v70, 0xff7fffff, v71
	s_waitcnt lgkmcnt(2)
	s_delay_alu instid0(VALU_DEP_1) | instskip(SKIP_1) | instid1(VALU_DEP_1)
	v_max3_f32 v76, v76, v72, v73
	s_waitcnt lgkmcnt(1)
	v_max3_f32 v76, v76, v74, v75
	s_waitcnt lgkmcnt(0)
	s_delay_alu instid0(VALU_DEP_1) | instskip(NEXT) | instid1(VALU_DEP_1)
	v_max3_f32 v76, v76, v94, v95
	v_sub_f32_e32 v77, v71, v76
	ds_load_2addr_b32 v[96:97], v98 offset0:136 offset1:153
	v_sub_f32_e32 v74, v74, v76
	v_sub_f32_e32 v70, v70, v76
	;; [unrolled: 1-line block ×3, first 2 shown]
	v_dual_sub_f32 v72, v72, v76 :: v_dual_mul_f32 v77, 0x3fb8aa3b, v77
	s_delay_alu instid0(VALU_DEP_4) | instskip(NEXT) | instid1(VALU_DEP_4)
	v_mul_f32_e32 v103, 0x3fb8aa3b, v74
	v_mul_f32_e32 v99, 0x3fb8aa3b, v70
	ds_load_2addr_b32 v[70:71], v98 offset0:170 offset1:187
	v_dual_mul_f32 v101, 0x3fb8aa3b, v72 :: v_dual_mul_f32 v94, 0x3fb8aa3b, v94
	v_exp_f32_e32 v102, v77
	v_exp_f32_e32 v99, v99
	s_delay_alu instid0(VALU_DEP_1) | instskip(NEXT) | instid1(VALU_DEP_1)
	v_exp_f32_e32 v101, v101
	v_exp_f32_e32 v94, v94
	s_waitcnt lgkmcnt(1)
	s_delay_alu instid0(TRANS32_DEP_3)
	v_fma_f32 v77, v99, v96, 0
	v_sub_f32_e32 v100, v73, v76
	ds_load_2addr_b32 v[72:73], v98 offset0:204 offset1:221
	v_fmac_f32_e32 v77, v102, v97
	v_exp_f32_e32 v97, v103
	s_waitcnt lgkmcnt(1)
	s_delay_alu instid0(VALU_DEP_1)
	v_dual_fmac_f32 v77, v101, v70 :: v_dual_sub_f32 v96, v75, v76
	ds_load_2addr_b32 v[74:75], v98 offset0:238 offset1:255
	v_sub_f32_e32 v70, v95, v76
	s_waitcnt lgkmcnt(0)
	s_barrier
	v_mul_f32_e32 v96, 0x3fb8aa3b, v96
	buffer_gl0_inv
	v_exp_f32_e32 v95, v96
	v_mul_f32_e32 v100, 0x3fb8aa3b, v100
	s_delay_alu instid0(VALU_DEP_1) | instskip(SKIP_3) | instid1(VALU_DEP_2)
	v_exp_f32_e32 v100, v100
	s_waitcnt_depctr 0xfff
	v_dual_fmac_f32 v77, v100, v71 :: v_dual_mul_f32 v70, 0x3fb8aa3b, v70
	v_cndmask_b32_e32 v71, v99, v102, vcc_lo
	v_fmac_f32_e32 v77, v97, v72
	s_delay_alu instid0(VALU_DEP_3) | instskip(NEXT) | instid1(VALU_DEP_1)
	v_exp_f32_e32 v96, v70
	v_fmac_f32_e32 v77, v95, v73
	s_delay_alu instid0(VALU_DEP_1) | instskip(SKIP_2) | instid1(VALU_DEP_1)
	v_fmac_f32_e32 v77, v94, v74
	s_waitcnt_depctr 0xfff
	v_fmac_f32_e32 v77, v96, v75
	v_add_f32_e32 v74, 0x358637bd, v77
	s_delay_alu instid0(VALU_DEP_1) | instskip(SKIP_1) | instid1(VALU_DEP_2)
	v_div_scale_f32 v98, null, v74, v74, 1.0
	v_div_scale_f32 v99, vcc_lo, 1.0, v74, 1.0
	v_rcp_f32_e32 v103, v98
	s_waitcnt_depctr 0xfff
	v_fma_f32 v70, -v98, v103, 1.0
	s_delay_alu instid0(VALU_DEP_1) | instskip(SKIP_2) | instid1(VALU_DEP_2)
	v_fmac_f32_e32 v103, v70, v103
	v_cndmask_b32_e64 v70, v71, v101, s4
	v_cmp_eq_u32_e64 s4, 6, v69
	v_cndmask_b32_e64 v71, v70, v100, s5
	s_delay_alu instid0(VALU_DEP_4) | instskip(NEXT) | instid1(VALU_DEP_2)
	v_dual_mul_f32 v101, v99, v103 :: v_dual_lshlrev_b32 v70, 2, v66
	v_cndmask_b32_e64 v71, v71, v97, s6
	s_delay_alu instid0(VALU_DEP_2) | instskip(NEXT) | instid1(VALU_DEP_3)
	v_or_b32_e32 v72, 1, v70
	v_fma_f32 v100, -v98, v101, v99
	v_cmp_eq_u32_e64 s5, 1, v70
	v_cmp_eq_u32_e64 s6, 2, v70
	v_cndmask_b32_e64 v95, v71, v95, s7
	v_or_b32_e32 v71, 3, v70
	v_fmac_f32_e32 v101, v100, v103
	v_cmp_eq_u32_e64 s10, 1, v72
	v_cmp_eq_u32_e64 s13, 2, v72
	v_cndmask_b32_e64 v94, v95, v94, s4
	v_cmp_eq_u32_e64 s12, 1, v71
	v_fma_f32 v97, -v98, v101, v99
	v_cmp_eq_u32_e64 s17, 2, v71
	v_cmp_eq_u32_e64 s15, 3, v72
	v_cndmask_b32_e64 v94, v94, v96, s8
	v_cmp_eq_u32_e64 s19, 3, v71
	v_div_fmas_f32 v95, v97, v103, v101
	v_cmp_eq_u32_e32 vcc_lo, 3, v70
	v_cmp_eq_u32_e64 s4, 4, v70
	v_cmp_eq_u32_e64 s20, 4, v72
	;; [unrolled: 1-line block ×3, first 2 shown]
	v_div_fixup_f32 v95, v95, v74, 1.0
	v_lshlrev_b32_e32 v73, 6, v68
	v_cmp_eq_u32_e64 s7, 5, v70
	v_cmp_eq_u32_e64 s21, 5, v72
	;; [unrolled: 1-line block ×3, first 2 shown]
	v_mul_f32_e32 v102, v94, v95
	v_lshl_or_b32 v75, v69, 11, v73
	v_or_b32_e32 v69, 2, v70
	v_cmp_eq_u32_e64 s26, 6, v72
	v_cmp_eq_u32_e64 s28, 6, v71
	v_fma_mixlo_f16 v94, v102, v79, 0
	v_fma_mixlo_f16 v95, v102, v81, 0
	;; [unrolled: 1-line block ×8, first 2 shown]
	v_lshl_or_b32 v74, v66, 4, v75
	v_fma_mixhi_f16 v94, v102, v78, 0
	v_fma_mixhi_f16 v95, v102, v80, 0
	;; [unrolled: 1-line block ×8, first 2 shown]
	ds_store_b128 v74, v[94:97]
	ds_store_b128 v74, v[98:101] offset:1024
	s_waitcnt lgkmcnt(0)
	s_barrier
	buffer_gl0_inv
	ds_load_b128 v[78:81], v75
	ds_load_b128 v[82:85], v75 offset:16
	ds_load_b128 v[86:89], v75 offset:1024
	;; [unrolled: 1-line block ×3, first 2 shown]
	v_cmp_eq_u32_e64 s11, 1, v69
	v_cmp_eq_u32_e64 s16, 2, v69
	;; [unrolled: 1-line block ×11, first 2 shown]
	s_waitcnt lgkmcnt(3)
	v_lshrrev_b32_e32 v94, 16, v78
	s_waitcnt lgkmcnt(2)
	v_lshrrev_b32_e32 v98, 16, v82
	;; [unrolled: 2-line block ×4, first 2 shown]
	v_lshrrev_b32_e32 v95, 16, v79
	v_cndmask_b32_e64 v110, v78, v94, s5
	v_cndmask_b32_e64 v111, v82, v98, s5
	;; [unrolled: 1-line block ×8, first 2 shown]
	v_lshrrev_b32_e32 v99, 16, v83
	v_cndmask_b32_e64 v94, v86, v102, s5
	v_cndmask_b32_e64 v98, v90, v106, s5
	;; [unrolled: 1-line block ×15, first 2 shown]
	v_lshrrev_b32_e32 v103, 16, v87
	v_lshrrev_b32_e32 v107, 16, v91
	v_cndmask_b32_e64 v113, v115, v83, s16
	v_cndmask_b32_e64 v82, v94, v87, s6
	;; [unrolled: 1-line block ×7, first 2 shown]
	v_cndmask_b32_e32 v90, v102, v95, vcc_lo
	v_cndmask_b32_e32 v102, v106, v99, vcc_lo
	v_cndmask_b32_e64 v106, v110, v95, s15
	v_cndmask_b32_e64 v110, v111, v99, s15
	;; [unrolled: 1-line block ×4, first 2 shown]
	v_lshrrev_b32_e32 v96, 16, v80
	v_lshrrev_b32_e32 v100, 16, v84
	v_cndmask_b32_e64 v111, v112, v95, s18
	v_cndmask_b32_e64 v112, v113, v99, s18
	v_cndmask_b32_e32 v82, v82, v103, vcc_lo
	v_cndmask_b32_e32 v83, v83, v107, vcc_lo
	v_cndmask_b32_e64 v94, v94, v103, s15
	v_cndmask_b32_e64 v90, v90, v80, s4
	;; [unrolled: 1-line block ×7, first 2 shown]
	v_lshrrev_b32_e32 v104, 16, v88
	v_cndmask_b32_e64 v106, v111, v80, s22
	v_cndmask_b32_e64 v110, v112, v84, s22
	;; [unrolled: 1-line block ×11, first 2 shown]
	v_lshrrev_b32_e32 v97, 16, v81
	v_lshrrev_b32_e32 v101, 16, v85
	v_cndmask_b32_e64 v99, v106, v96, s24
	v_cndmask_b32_e64 v102, v110, v100, s24
	;; [unrolled: 1-line block ×7, first 2 shown]
	v_lshrrev_b32_e32 v105, 16, v89
	v_cndmask_b32_e64 v80, v80, v104, s7
	v_cndmask_b32_e64 v84, v84, v81, s8
	;; [unrolled: 1-line block ×16, first 2 shown]
	v_perm_b32 v81, v79, v78, 0x5040100
	v_perm_b32 v79, v95, v85, 0x5040100
	v_cndmask_b32_e64 v78, v119, v91, s16
	v_cndmask_b32_e64 v85, v117, v91, s13
	;; [unrolled: 1-line block ×3, first 2 shown]
	v_perm_b32 v80, v94, v90, 0x5040100
	v_cndmask_b32_e64 v90, v98, v103, s18
	v_cndmask_b32_e64 v86, v86, v103, s19
	;; [unrolled: 1-line block ×5, first 2 shown]
	v_lshrrev_b32_e32 v108, 16, v92
	v_cndmask_b32_e64 v90, v90, v88, s22
	v_cndmask_b32_e64 v86, v86, v88, s23
	;; [unrolled: 1-line block ×11, first 2 shown]
	v_lshrrev_b32_e32 v109, 16, v93
	v_cndmask_b32_e64 v82, v82, v93, s8
	v_cndmask_b32_e64 v88, v88, v89, s27
	;; [unrolled: 1-line block ×12, first 2 shown]
	v_perm_b32 v78, v84, v83, 0x5040100
	v_perm_b32 v85, v87, v86, 0x5040100
	v_perm_b32 v84, v89, v88, 0x5040100
	v_perm_b32 v83, v90, v97, 0x5040100
	v_perm_b32 v82, v82, v96, 0x5040100
	s_mul_i32 s9, s35, 9
	s_mov_b32 s4, exec_lo
	ds_store_b128 v74, v[78:81]
	ds_store_b128 v74, v[82:85] offset:1024
	v_cmpx_gt_u32_e32 9, v0
	s_cbranch_execz .LBB798_14
; %bb.13:
	s_mul_i32 s5, s9, s34
	s_load_b128 s[16:19], s[0:1], 0x58
	v_add3_u32 v68, s5, s33, v68
	s_delay_alu instid0(VALU_DEP_1) | instskip(NEXT) | instid1(VALU_DEP_1)
	v_mad_u64_u32 v[78:79], null, v68, s36, s[14:15]
	v_ashrrev_i32_e32 v79, 31, v78
	s_delay_alu instid0(VALU_DEP_1) | instskip(SKIP_1) | instid1(VALU_DEP_1)
	v_lshlrev_b64 v[78:79], 2, v[78:79]
	s_waitcnt lgkmcnt(0)
	v_add_co_u32 v80, vcc_lo, s18, v78
	s_delay_alu instid0(VALU_DEP_2)
	v_add_co_ci_u32_e32 v81, vcc_lo, s19, v79, vcc_lo
	v_add_co_u32 v78, vcc_lo, s16, v78
	v_add_co_ci_u32_e32 v79, vcc_lo, s17, v79, vcc_lo
	global_store_b32 v[80:81], v76, off
	global_store_b32 v[78:79], v77, off
.LBB798_14:
	s_or_b32 exec_lo, exec_lo, s4
	s_waitcnt lgkmcnt(0)
	s_waitcnt_vscnt null, 0x0
	s_barrier
	buffer_gl0_inv
	ds_load_b128 v[84:87], v73
	ds_load_b128 v[88:91], v73 offset:16
	ds_load_b128 v[96:99], v73 offset:2064
	;; [unrolled: 1-line block ×5, first 2 shown]
	v_cmp_eq_u32_e32 vcc_lo, 1, v70
	v_mov_b32_e32 v76, 0
	ds_load_b128 v[112:115], v73 offset:6160
	ds_load_b128 v[108:111], v73 offset:6144
	;; [unrolled: 1-line block ×4, first 2 shown]
	v_cmp_eq_u32_e64 s5, 1, v69
	v_cmp_eq_u32_e64 s4, 1, v72
	;; [unrolled: 1-line block ×3, first 2 shown]
	v_mov_b32_e32 v77, v76
	v_mov_b32_e32 v78, v76
	;; [unrolled: 1-line block ×7, first 2 shown]
	v_cmp_eq_u32_e64 s7, 3, v72
	v_cmp_eq_u32_e64 s8, 7, v72
	s_waitcnt lgkmcnt(8)
	s_delay_alu instid0(VALU_DEP_3)
	v_wmma_f32_16x16x16_f16 v[76:83], v[49:56], v[84:91], v[76:83]
	ds_load_b128 v[53:56], v73 offset:10256
	ds_load_b128 v[49:52], v73 offset:10240
	s_waitcnt lgkmcnt(8)
	v_wmma_f32_16x16x16_f16 v[76:83], v[41:48], v[92:99], v[76:83]
	ds_load_b128 v[45:48], v73 offset:12304
	ds_load_b128 v[41:44], v73 offset:12288
	s_waitcnt lgkmcnt(8)
	;; [unrolled: 4-line block ×3, first 2 shown]
	s_barrier
	buffer_gl0_inv
	v_wmma_f32_16x16x16_f16 v[76:83], v[1:8], v[108:115], v[76:83]
	s_delay_alu instid0(VALU_DEP_1) | instskip(NEXT) | instid1(VALU_DEP_1)
	v_wmma_f32_16x16x16_f16 v[76:83], v[9:16], v[116:123], v[76:83]
	v_wmma_f32_16x16x16_f16 v[76:83], v[17:24], v[49:56], v[76:83]
	s_delay_alu instid0(VALU_DEP_1) | instskip(NEXT) | instid1(VALU_DEP_1)
	v_wmma_f32_16x16x16_f16 v[76:83], v[25:32], v[41:48], v[76:83]
	v_wmma_f32_16x16x16_f16 v[76:83], v[57:64], v[33:40], v[76:83]
	s_delay_alu instid0(VALU_DEP_1) | instskip(NEXT) | instid1(VALU_DEP_2)
	v_cvt_f16_f32_e32 v1, v76
	v_cvt_f16_f32_e32 v2, v77
	s_delay_alu instid0(VALU_DEP_3) | instskip(NEXT) | instid1(VALU_DEP_4)
	v_cvt_f16_f32_e32 v3, v78
	v_cvt_f16_f32_e32 v4, v79
	;; [unrolled: 1-line block ×6, first 2 shown]
	v_pack_b32_f16 v1, v1, v2
	v_pack_b32_f16 v2, v3, v4
	;; [unrolled: 1-line block ×3, first 2 shown]
	s_delay_alu instid0(VALU_DEP_4)
	v_pack_b32_f16 v4, v7, v8
	ds_store_b128 v74, v[1:4]
	s_waitcnt lgkmcnt(0)
	s_barrier
	buffer_gl0_inv
	ds_load_b128 v[1:4], v75
	ds_load_b128 v[5:8], v75 offset:16
	s_waitcnt lgkmcnt(1)
	v_lshrrev_b32_e32 v9, 16, v1
	s_waitcnt lgkmcnt(0)
	v_lshrrev_b32_e32 v13, 16, v5
	v_lshrrev_b32_e32 v10, 16, v2
	;; [unrolled: 1-line block ×4, first 2 shown]
	v_cndmask_b32_e32 v17, v1, v9, vcc_lo
	v_cndmask_b32_e32 v18, v5, v13, vcc_lo
	v_cndmask_b32_e64 v21, v1, v9, s5
	v_cmp_eq_u32_e32 vcc_lo, 1, v71
	v_cndmask_b32_e64 v22, v5, v13, s5
	v_cmp_eq_u32_e64 s5, 2, v70
	v_cndmask_b32_e64 v19, v1, v9, s4
	v_cndmask_b32_e64 v20, v5, v13, s4
	v_cndmask_b32_e32 v1, v1, v9, vcc_lo
	v_cmp_eq_u32_e64 s4, 2, v71
	v_cndmask_b32_e32 v5, v5, v13, vcc_lo
	v_cndmask_b32_e64 v9, v17, v2, s5
	v_cmp_eq_u32_e32 vcc_lo, 3, v70
	v_cndmask_b32_e64 v13, v18, v6, s5
	v_cmp_eq_u32_e64 s5, 2, v69
	v_cndmask_b32_e64 v17, v19, v2, s6
	v_cndmask_b32_e64 v18, v20, v6, s6
	v_cmp_eq_u32_e64 s6, 3, v69
	v_cndmask_b32_e64 v1, v1, v2, s4
	v_cndmask_b32_e64 v19, v21, v2, s5
	;; [unrolled: 1-line block ×4, first 2 shown]
	v_cndmask_b32_e32 v5, v9, v10, vcc_lo
	v_cndmask_b32_e32 v6, v13, v14, vcc_lo
	v_cmp_eq_u32_e32 vcc_lo, 3, v71
	v_cndmask_b32_e64 v9, v17, v10, s7
	v_cndmask_b32_e64 v13, v18, v14, s7
	;; [unrolled: 1-line block ×3, first 2 shown]
	v_cmp_eq_u32_e64 s5, 4, v70
	v_cndmask_b32_e32 v1, v1, v10, vcc_lo
	v_cndmask_b32_e32 v2, v2, v14, vcc_lo
	v_cmp_eq_u32_e32 vcc_lo, 4, v72
	v_lshrrev_b32_e32 v15, 16, v7
	v_lshrrev_b32_e32 v16, 16, v8
	v_cndmask_b32_e64 v17, v19, v10, s6
	v_cmp_eq_u32_e64 s4, 4, v71
	v_cndmask_b32_e64 v5, v5, v3, s5
	v_cndmask_b32_e64 v6, v6, v7, s5
	v_cndmask_b32_e32 v9, v9, v3, vcc_lo
	v_cmp_eq_u32_e64 s5, 5, v72
	v_cndmask_b32_e32 v10, v13, v7, vcc_lo
	v_cmp_eq_u32_e32 vcc_lo, 4, v69
	v_cmp_eq_u32_e64 s6, 5, v70
	v_cndmask_b32_e64 v2, v2, v7, s4
	v_cndmask_b32_e64 v9, v9, v11, s5
	;; [unrolled: 1-line block ×3, first 2 shown]
	v_cndmask_b32_e32 v13, v17, v3, vcc_lo
	v_cmp_eq_u32_e64 s5, 5, v69
	v_cndmask_b32_e32 v14, v18, v7, vcc_lo
	v_cndmask_b32_e64 v1, v1, v3, s4
	v_cmp_eq_u32_e32 vcc_lo, 5, v71
	v_lshrrev_b32_e32 v12, 16, v4
	v_cndmask_b32_e64 v13, v13, v11, s5
	v_cndmask_b32_e64 v3, v14, v15, s5
	v_cmp_eq_u32_e64 s5, 6, v71
	v_cndmask_b32_e32 v1, v1, v11, vcc_lo
	v_cndmask_b32_e64 v5, v5, v11, s6
	v_cmp_eq_u32_e64 s7, 6, v70
	v_cndmask_b32_e64 v6, v6, v15, s6
	v_cmp_eq_u32_e64 s6, 6, v72
	v_cmp_eq_u32_e64 s4, 6, v69
	v_cndmask_b32_e64 v1, v1, v4, s5
	v_cndmask_b32_e32 v2, v2, v15, vcc_lo
	v_cmp_eq_u32_e32 vcc_lo, 7, v71
	v_cndmask_b32_e64 v5, v5, v4, s7
	v_cndmask_b32_e64 v9, v9, v4, s6
	;; [unrolled: 1-line block ×3, first 2 shown]
	v_cmp_eq_u32_e64 s7, 7, v70
	v_cndmask_b32_e32 v1, v1, v12, vcc_lo
	v_cndmask_b32_e64 v7, v13, v4, s4
	v_cndmask_b32_e64 v3, v3, v8, s4
	;; [unrolled: 1-line block ×3, first 2 shown]
	v_cmp_eq_u32_e64 s4, 7, v69
	v_cndmask_b32_e64 v4, v10, v8, s6
	v_cndmask_b32_e64 v5, v5, v12, s7
	;; [unrolled: 1-line block ×3, first 2 shown]
	v_cndmask_b32_e32 v2, v2, v16, vcc_lo
	v_cndmask_b32_e64 v7, v7, v12, s4
	v_cndmask_b32_e64 v3, v3, v16, s4
	;; [unrolled: 1-line block ×4, first 2 shown]
	v_cmp_gt_u32_e32 vcc_lo, 32, v0
	v_perm_b32 v4, v2, v1, 0x5040100
	v_perm_b32 v3, v3, v7, 0x5040100
	;; [unrolled: 1-line block ×4, first 2 shown]
	s_and_b32 s2, vcc_lo, s2
	ds_store_b128 v74, v[1:4]
	s_waitcnt lgkmcnt(0)
	s_barrier
	buffer_gl0_inv
	s_and_saveexec_b32 s4, s2
	s_cbranch_execz .LBB798_2
; %bb.15:
	s_load_b64 s[4:5], s[0:1], 0x68
	v_lshlrev_b32_e32 v0, 10, v0
	v_lshlrev_b32_e32 v1, 4, v67
	s_lshl_b32 s0, s36, 6
	v_add_nc_u32_e32 v2, s33, v66
	s_mul_i32 s1, s0, s34
	s_delay_alu instid0(SALU_CYCLE_1) | instskip(SKIP_1) | instid1(VALU_DEP_2)
	s_mul_i32 s6, s1, s9
	v_and_or_b32 v0, 0x3800, v0, v1
	v_mul_lo_u32 v1, v2, s0
	s_ashr_i32 s7, s6, 31
	v_add_nc_u32_e32 v3, 2, v2
	s_lshl_b64 s[6:7], s[6:7], 1
	v_add_nc_u32_e32 v4, 4, v2
	v_add_nc_u32_e32 v5, 6, v2
	v_lshl_or_b32 v15, v66, 6, v0
	v_mul_lo_u32 v3, v3, s0
	v_ashrrev_i32_e32 v2, 31, v1
	v_mul_lo_u32 v19, v4, s0
	v_mul_lo_u32 v21, v5, s0
	s_waitcnt lgkmcnt(0)
	s_add_u32 s1, s4, s6
	s_addc_u32 s2, s5, s7
	s_lshl_b32 s4, s14, 6
	v_lshlrev_b64 v[5:6], 1, v[1:2]
	s_ashr_i32 s5, s4, 31
	v_ashrrev_i32_e32 v4, 31, v3
	s_lshl_b64 s[4:5], s[4:5], 1
	v_ashrrev_i32_e32 v20, 31, v19
	s_add_u32 s1, s1, s4
	s_addc_u32 s2, s2, s5
	v_add_co_u32 v1, s1, s1, v65
	s_delay_alu instid0(VALU_DEP_1) | instskip(SKIP_1) | instid1(VALU_DEP_3)
	v_add_co_ci_u32_e64 v2, null, s2, 0, s1
	v_lshlrev_b64 v[25:26], 1, v[3:4]
	v_add_co_u32 v23, vcc_lo, v1, v5
	s_delay_alu instid0(VALU_DEP_3)
	v_add_co_ci_u32_e32 v24, vcc_lo, v2, v6, vcc_lo
	ds_load_b128 v[3:6], v15
	ds_load_b128 v[7:10], v15 offset:128
	ds_load_b128 v[11:14], v15 offset:256
	ds_load_b128 v[15:18], v15 offset:384
	v_ashrrev_i32_e32 v22, 31, v21
	v_lshlrev_b64 v[19:20], 1, v[19:20]
	v_add_co_u32 v25, vcc_lo, v1, v25
	v_add_co_ci_u32_e32 v26, vcc_lo, v2, v26, vcc_lo
	s_delay_alu instid0(VALU_DEP_4) | instskip(NEXT) | instid1(VALU_DEP_4)
	v_lshlrev_b64 v[21:22], 1, v[21:22]
	v_add_co_u32 v19, vcc_lo, v1, v19
	v_add_co_ci_u32_e32 v20, vcc_lo, v2, v20, vcc_lo
	s_delay_alu instid0(VALU_DEP_3) | instskip(NEXT) | instid1(VALU_DEP_4)
	v_add_co_u32 v21, vcc_lo, v1, v21
	v_add_co_ci_u32_e32 v22, vcc_lo, v2, v22, vcc_lo
	s_waitcnt lgkmcnt(3)
	global_store_b128 v[23:24], v[3:6], off
	s_waitcnt lgkmcnt(2)
	global_store_b128 v[25:26], v[7:10], off
	;; [unrolled: 2-line block ×4, first 2 shown]
	s_and_b32 exec_lo, exec_lo, s3
	s_cbranch_execz .LBB798_2
; %bb.16:
	ds_load_b128 v[3:6], v0 offset:512
	s_add_i32 s1, s33, 8
	s_delay_alu instid0(SALU_CYCLE_1) | instskip(NEXT) | instid1(SALU_CYCLE_1)
	s_mul_i32 s0, s1, s0
	s_ashr_i32 s1, s0, 31
	s_delay_alu instid0(SALU_CYCLE_1) | instskip(NEXT) | instid1(SALU_CYCLE_1)
	s_lshl_b64 s[0:1], s[0:1], 1
	v_add_co_u32 v0, vcc_lo, v1, s0
	v_add_co_ci_u32_e32 v1, vcc_lo, s1, v2, vcc_lo
	s_waitcnt lgkmcnt(0)
	global_store_b128 v[0:1], v[3:6], off
	s_nop 0
	s_sendmsg sendmsg(MSG_DEALLOC_VGPRS)
	s_endpgm
	.section	.rodata,"a",@progbits
	.p2align	6, 0x0
	.amdhsa_kernel _Z39paged_attention_ll4mi_QKV_mfma16_kernelIDF16_hLN4vllm18Fp8KVCacheDataTypeE1EhLi16ELi64ELi256ELb0ELi9EL8MFMAType1EEvPKT_PKT0_S8_ifPKiSA_SA_iPKfiiiPfSD_PS3_PT2_iSC_SC_
		.amdhsa_group_segment_fixed_size 17472
		.amdhsa_private_segment_fixed_size 0
		.amdhsa_kernarg_size 400
		.amdhsa_user_sgpr_count 13
		.amdhsa_user_sgpr_dispatch_ptr 0
		.amdhsa_user_sgpr_queue_ptr 0
		.amdhsa_user_sgpr_kernarg_segment_ptr 1
		.amdhsa_user_sgpr_dispatch_id 0
		.amdhsa_user_sgpr_private_segment_size 0
		.amdhsa_wavefront_size32 1
		.amdhsa_uses_dynamic_stack 0
		.amdhsa_enable_private_segment 0
		.amdhsa_system_sgpr_workgroup_id_x 1
		.amdhsa_system_sgpr_workgroup_id_y 1
		.amdhsa_system_sgpr_workgroup_id_z 1
		.amdhsa_system_sgpr_workgroup_info 0
		.amdhsa_system_vgpr_workitem_id 0
		.amdhsa_next_free_vgpr 146
		.amdhsa_next_free_sgpr 37
		.amdhsa_reserve_vcc 1
		.amdhsa_float_round_mode_32 0
		.amdhsa_float_round_mode_16_64 0
		.amdhsa_float_denorm_mode_32 3
		.amdhsa_float_denorm_mode_16_64 3
		.amdhsa_dx10_clamp 1
		.amdhsa_ieee_mode 1
		.amdhsa_fp16_overflow 0
		.amdhsa_workgroup_processor_mode 1
		.amdhsa_memory_ordered 1
		.amdhsa_forward_progress 0
		.amdhsa_shared_vgpr_count 0
		.amdhsa_exception_fp_ieee_invalid_op 0
		.amdhsa_exception_fp_denorm_src 0
		.amdhsa_exception_fp_ieee_div_zero 0
		.amdhsa_exception_fp_ieee_overflow 0
		.amdhsa_exception_fp_ieee_underflow 0
		.amdhsa_exception_fp_ieee_inexact 0
		.amdhsa_exception_int_div_zero 0
	.end_amdhsa_kernel
	.section	.text._Z39paged_attention_ll4mi_QKV_mfma16_kernelIDF16_hLN4vllm18Fp8KVCacheDataTypeE1EhLi16ELi64ELi256ELb0ELi9EL8MFMAType1EEvPKT_PKT0_S8_ifPKiSA_SA_iPKfiiiPfSD_PS3_PT2_iSC_SC_,"axG",@progbits,_Z39paged_attention_ll4mi_QKV_mfma16_kernelIDF16_hLN4vllm18Fp8KVCacheDataTypeE1EhLi16ELi64ELi256ELb0ELi9EL8MFMAType1EEvPKT_PKT0_S8_ifPKiSA_SA_iPKfiiiPfSD_PS3_PT2_iSC_SC_,comdat
.Lfunc_end798:
	.size	_Z39paged_attention_ll4mi_QKV_mfma16_kernelIDF16_hLN4vllm18Fp8KVCacheDataTypeE1EhLi16ELi64ELi256ELb0ELi9EL8MFMAType1EEvPKT_PKT0_S8_ifPKiSA_SA_iPKfiiiPfSD_PS3_PT2_iSC_SC_, .Lfunc_end798-_Z39paged_attention_ll4mi_QKV_mfma16_kernelIDF16_hLN4vllm18Fp8KVCacheDataTypeE1EhLi16ELi64ELi256ELb0ELi9EL8MFMAType1EEvPKT_PKT0_S8_ifPKiSA_SA_iPKfiiiPfSD_PS3_PT2_iSC_SC_
                                        ; -- End function
	.section	.AMDGPU.csdata,"",@progbits
; Kernel info:
; codeLenInByte = 6576
; NumSgprs: 39
; NumVgprs: 146
; ScratchSize: 0
; MemoryBound: 0
; FloatMode: 240
; IeeeMode: 1
; LDSByteSize: 17472 bytes/workgroup (compile time only)
; SGPRBlocks: 4
; VGPRBlocks: 18
; NumSGPRsForWavesPerEU: 39
; NumVGPRsForWavesPerEU: 146
; Occupancy: 9
; WaveLimiterHint : 1
; COMPUTE_PGM_RSRC2:SCRATCH_EN: 0
; COMPUTE_PGM_RSRC2:USER_SGPR: 13
; COMPUTE_PGM_RSRC2:TRAP_HANDLER: 0
; COMPUTE_PGM_RSRC2:TGID_X_EN: 1
; COMPUTE_PGM_RSRC2:TGID_Y_EN: 1
; COMPUTE_PGM_RSRC2:TGID_Z_EN: 1
; COMPUTE_PGM_RSRC2:TIDIG_COMP_CNT: 0
	.section	.text._Z39paged_attention_ll4mi_QKV_mfma16_kernelIDF16_hLN4vllm18Fp8KVCacheDataTypeE1EhLi16ELi64ELi256ELb0ELi10EL8MFMAType1EEvPKT_PKT0_S8_ifPKiSA_SA_iPKfiiiPfSD_PS3_PT2_iSC_SC_,"axG",@progbits,_Z39paged_attention_ll4mi_QKV_mfma16_kernelIDF16_hLN4vllm18Fp8KVCacheDataTypeE1EhLi16ELi64ELi256ELb0ELi10EL8MFMAType1EEvPKT_PKT0_S8_ifPKiSA_SA_iPKfiiiPfSD_PS3_PT2_iSC_SC_,comdat
	.protected	_Z39paged_attention_ll4mi_QKV_mfma16_kernelIDF16_hLN4vllm18Fp8KVCacheDataTypeE1EhLi16ELi64ELi256ELb0ELi10EL8MFMAType1EEvPKT_PKT0_S8_ifPKiSA_SA_iPKfiiiPfSD_PS3_PT2_iSC_SC_ ; -- Begin function _Z39paged_attention_ll4mi_QKV_mfma16_kernelIDF16_hLN4vllm18Fp8KVCacheDataTypeE1EhLi16ELi64ELi256ELb0ELi10EL8MFMAType1EEvPKT_PKT0_S8_ifPKiSA_SA_iPKfiiiPfSD_PS3_PT2_iSC_SC_
	.globl	_Z39paged_attention_ll4mi_QKV_mfma16_kernelIDF16_hLN4vllm18Fp8KVCacheDataTypeE1EhLi16ELi64ELi256ELb0ELi10EL8MFMAType1EEvPKT_PKT0_S8_ifPKiSA_SA_iPKfiiiPfSD_PS3_PT2_iSC_SC_
	.p2align	8
	.type	_Z39paged_attention_ll4mi_QKV_mfma16_kernelIDF16_hLN4vllm18Fp8KVCacheDataTypeE1EhLi16ELi64ELi256ELb0ELi10EL8MFMAType1EEvPKT_PKT0_S8_ifPKiSA_SA_iPKfiiiPfSD_PS3_PT2_iSC_SC_,@function
_Z39paged_attention_ll4mi_QKV_mfma16_kernelIDF16_hLN4vllm18Fp8KVCacheDataTypeE1EhLi16ELi64ELi256ELb0ELi10EL8MFMAType1EEvPKT_PKT0_S8_ifPKiSA_SA_iPKfiiiPfSD_PS3_PT2_iSC_SC_: ; @_Z39paged_attention_ll4mi_QKV_mfma16_kernelIDF16_hLN4vllm18Fp8KVCacheDataTypeE1EhLi16ELi64ELi256ELb0ELi10EL8MFMAType1EEvPKT_PKT0_S8_ifPKiSA_SA_iPKfiiiPfSD_PS3_PT2_iSC_SC_
; %bb.0:
	s_load_b64 s[2:3], s[0:1], 0x30
	s_mov_b32 s34, s13
	s_waitcnt lgkmcnt(0)
	s_cmp_lg_u64 s[2:3], 0
	s_cselect_b32 s6, -1, 0
	s_ashr_i32 s35, s13, 31
	s_cmp_eq_u64 s[2:3], 0
	s_cbranch_scc1 .LBB799_3
; %bb.1:
	s_lshl_b64 s[4:5], s[34:35], 2
	s_delay_alu instid0(SALU_CYCLE_1) | instskip(SKIP_4) | instid1(SALU_CYCLE_1)
	s_add_u32 s4, s2, s4
	s_addc_u32 s5, s3, s5
	s_load_b64 s[4:5], s[4:5], 0x0
	s_waitcnt lgkmcnt(0)
	s_sub_i32 s4, s5, s4
	s_cmp_eq_u32 s4, 1
	s_cselect_b32 s4, -1, 0
	s_delay_alu instid0(SALU_CYCLE_1)
	s_and_not1_b32 vcc_lo, exec_lo, s4
	s_cbranch_vccz .LBB799_4
.LBB799_2:
	s_endpgm
.LBB799_3:
.LBB799_4:
	s_load_b64 s[8:9], s[0:1], 0x28
	s_lshl_b64 s[4:5], s[34:35], 2
	s_waitcnt lgkmcnt(0)
	s_add_u32 s8, s8, s4
	s_addc_u32 s9, s9, s5
	s_lshl_b32 s16, s14, 8
	s_load_b32 s18, s[8:9], 0x0
	s_waitcnt lgkmcnt(0)
	s_cmp_ge_i32 s16, s18
	s_cbranch_scc1 .LBB799_2
; %bb.5:
	s_clause 0x1
	s_load_b128 s[8:11], s[0:1], 0x8
	s_load_b64 s[12:13], s[0:1], 0x20
	s_and_not1_b32 vcc_lo, exec_lo, s6
	s_cbranch_vccnz .LBB799_7
; %bb.6:
	s_add_u32 s2, s2, s4
	s_addc_u32 s3, s3, s5
	s_load_b32 s3, s[2:3], 0x0
	s_branch .LBB799_8
.LBB799_7:
	s_mov_b32 s3, s34
.LBB799_8:
	s_load_b128 s[4:7], s[0:1], 0x48
	v_and_b32_e32 v68, 15, v0
	v_cmp_gt_u32_e32 vcc_lo, 0xa0, v0
	v_lshrrev_b32_e32 v69, 5, v0
	v_and_b32_e32 v70, 31, v0
	v_and_b32_e32 v67, 1, v0
	v_lshlrev_b32_e32 v1, 3, v68
	v_cmp_gt_u32_e64 s2, 8, v68
	v_bfe_u32 v66, v0, 4, 1
	s_mul_i32 s31, s15, 10
	s_delay_alu instid0(VALU_DEP_3) | instskip(NEXT) | instid1(VALU_DEP_3)
	v_lshlrev_b32_e32 v65, 1, v1
	s_and_b32 s17, vcc_lo, s2
	s_waitcnt lgkmcnt(0)
	s_and_saveexec_b32 s7, s17
	s_cbranch_execz .LBB799_10
; %bb.9:
	s_load_b64 s[20:21], s[0:1], 0x0
	v_lshl_or_b32 v5, v69, 1, v66
	s_mul_hi_i32 s23, s3, s4
	s_mul_i32 s22, s3, s4
	v_lshlrev_b32_e32 v6, 10, v68
	s_lshl_b64 s[22:23], s[22:23], 1
	v_add_lshl_u32 v1, v5, s31, 6
	v_lshlrev_b32_e32 v5, 6, v5
	v_lshlrev_b32_e32 v7, 10, v67
	v_and_b32_e32 v6, 0x3800, v6
	s_delay_alu instid0(VALU_DEP_4) | instskip(NEXT) | instid1(VALU_DEP_2)
	v_ashrrev_i32_e32 v2, 31, v1
	v_or3_b32 v5, v6, v7, v5
	s_delay_alu instid0(VALU_DEP_2) | instskip(SKIP_3) | instid1(VALU_DEP_1)
	v_lshlrev_b64 v[1:2], 1, v[1:2]
	s_waitcnt lgkmcnt(0)
	s_add_u32 s3, s20, s22
	s_addc_u32 s4, s21, s23
	v_add_co_u32 v1, vcc_lo, s3, v1
	s_delay_alu instid0(VALU_DEP_2) | instskip(NEXT) | instid1(VALU_DEP_2)
	v_add_co_ci_u32_e32 v2, vcc_lo, s4, v2, vcc_lo
	v_add_co_u32 v1, vcc_lo, v1, v65
	s_delay_alu instid0(VALU_DEP_2)
	v_add_co_ci_u32_e32 v2, vcc_lo, 0, v2, vcc_lo
	global_load_b128 v[1:4], v[1:2], off
	s_waitcnt vmcnt(0)
	ds_store_b128 v5, v[1:4]
.LBB799_10:
	s_or_b32 exec_lo, exec_lo, s7
	v_and_b32_e32 v1, 0xef, v0
	s_add_i32 s3, s18, 15
	s_clause 0x1
	s_load_b32 s4, s[0:1], 0x38
	s_load_b32 s33, s[0:1], 0x98
	s_ashr_i32 s7, s3, 31
	v_add_nc_u32_e32 v1, s16, v1
	s_lshr_b32 s7, s7, 28
	s_load_b32 s19, s[0:1], 0x1c
	v_add_nc_u32_e32 v103, -10, v68
	s_add_i32 s3, s3, s7
	v_ashrrev_i32_e32 v2, 31, v1
	v_or_b32_e32 v3, 16, v1
	s_ashr_i32 s3, s3, 4
	v_cmp_gt_i32_e32 vcc_lo, s18, v1
	s_add_i32 s3, s3, -1
	v_lshrrev_b32_e32 v2, 28, v2
	s_waitcnt lgkmcnt(0)
	s_barrier
	buffer_gl0_inv
	s_mul_i32 s15, s15, s6
	v_add_nc_u32_e32 v4, v1, v2
	v_mbcnt_lo_u32_b32 v127, -1, 0
	s_mul_i32 s20, s34, s4
	s_delay_alu instid0(SALU_CYCLE_1) | instskip(NEXT) | instid1(VALU_DEP_2)
	s_ashr_i32 s21, s20, 31
	v_ashrrev_i32_e32 v4, 4, v4
	v_add_nc_u32_e32 v2, v3, v2
	s_lshl_b64 s[20:21], s[20:21], 2
	v_xor_b32_e32 v128, 16, v127
	s_add_u32 s17, s12, s20
	v_cndmask_b32_e32 v1, s3, v4, vcc_lo
	v_ashrrev_i32_e32 v2, 4, v2
	v_cmp_gt_i32_e32 vcc_lo, s18, v3
	s_addc_u32 s13, s13, s21
	s_ashr_i32 s20, s15, 31
	s_add_u32 s4, s8, s15
	s_addc_u32 s12, s9, s20
	v_cndmask_b32_e32 v3, s3, v2, vcc_lo
	v_ashrrev_i32_e32 v2, 31, v1
	s_lshl_b32 s6, s14, 4
	s_delay_alu instid0(SALU_CYCLE_1) | instskip(NEXT) | instid1(VALU_DEP_2)
	s_ashr_i32 s7, s6, 31
	v_ashrrev_i32_e32 v4, 31, v3
	s_delay_alu instid0(VALU_DEP_2) | instskip(SKIP_1) | instid1(SALU_CYCLE_1)
	v_lshlrev_b64 v[1:2], 2, v[1:2]
	s_lshl_b64 s[6:7], s[6:7], 2
	s_add_u32 s6, s17, s6
	s_delay_alu instid0(VALU_DEP_2) | instskip(SKIP_1) | instid1(VALU_DEP_2)
	v_lshlrev_b64 v[3:4], 2, v[3:4]
	s_addc_u32 s7, s13, s7
	v_add_co_u32 v1, vcc_lo, s17, v1
	v_add_co_ci_u32_e32 v2, vcc_lo, s13, v2, vcc_lo
	s_delay_alu instid0(VALU_DEP_3) | instskip(NEXT) | instid1(VALU_DEP_4)
	v_add_co_u32 v3, vcc_lo, s17, v3
	v_add_co_ci_u32_e32 v4, vcc_lo, s13, v4, vcc_lo
	s_clause 0x1
	global_load_b32 v5, v[1:2], off
	global_load_b32 v7, v[3:4], off
	s_or_b32 s8, s16, 32
	v_lshlrev_b32_e32 v1, 4, v0
	s_ashr_i32 s9, s8, 4
	s_cmp_lt_i32 s8, s18
	v_cmp_gt_u32_e32 vcc_lo, 10, v68
	s_cselect_b32 s8, s9, s3
	v_and_b32_e32 v1, 0xf0, v1
	s_ashr_i32 s9, s8, 31
	s_delay_alu instid0(SALU_CYCLE_1)
	s_lshl_b64 s[8:9], s[8:9], 2
	v_cndmask_b32_e32 v103, v103, v68, vcc_lo
	s_add_u32 s8, s17, s8
	s_addc_u32 s9, s13, s9
	s_or_b32 s21, s16, 64
	v_add_co_u32 v1, s4, s4, v1
	s_ashr_i32 s22, s21, 4
	s_cmp_lt_i32 s21, s18
	v_add_co_ci_u32_e64 v2, null, s12, 0, s4
	s_cselect_b32 s22, s22, s3
	v_cmp_gt_i32_e32 vcc_lo, 32, v128
	s_ashr_i32 s23, s22, 31
	v_lshlrev_b32_e32 v115, 6, v103
	s_lshl_b64 s[22:23], s[22:23], 2
	v_cndmask_b32_e32 v136, v127, v128, vcc_lo
	s_add_u32 s22, s17, s22
	s_addc_u32 s23, s13, s23
	s_or_b32 s21, s16, 0x60
	s_delay_alu instid0(SALU_CYCLE_1) | instskip(SKIP_2) | instid1(SALU_CYCLE_1)
	s_ashr_i32 s24, s21, 4
	s_cmp_lt_i32 s21, s18
	s_cselect_b32 s24, s24, s3
	s_ashr_i32 s25, s24, 31
	s_delay_alu instid0(SALU_CYCLE_1) | instskip(NEXT) | instid1(SALU_CYCLE_1)
	s_lshl_b64 s[24:25], s[24:25], 2
	s_add_u32 s24, s17, s24
	s_addc_u32 s25, s13, s25
	s_or_b32 s21, s16, 0x80
	s_delay_alu instid0(SALU_CYCLE_1) | instskip(SKIP_2) | instid1(SALU_CYCLE_1)
	s_ashr_i32 s26, s21, 4
	s_cmp_lt_i32 s21, s18
	s_cselect_b32 s26, s26, s3
	s_ashr_i32 s27, s26, 31
	s_delay_alu instid0(SALU_CYCLE_1) | instskip(NEXT) | instid1(SALU_CYCLE_1)
	s_lshl_b64 s[26:27], s[26:27], 2
	;; [unrolled: 10-line block ×3, first 2 shown]
	s_add_u32 s28, s17, s28
	s_addc_u32 s29, s13, s29
	s_clause 0x5
	s_load_b32 s12, s[6:7], 0x0
	s_load_b32 s4, s[8:9], 0x0
	;; [unrolled: 1-line block ×6, first 2 shown]
	s_or_b32 s21, s16, 0xc0
	s_delay_alu instid0(SALU_CYCLE_1) | instskip(SKIP_2) | instid1(SALU_CYCLE_1)
	s_ashr_i32 s22, s21, 4
	s_cmp_lt_i32 s21, s18
	s_cselect_b32 s22, s22, s3
	s_ashr_i32 s23, s22, 31
	s_delay_alu instid0(SALU_CYCLE_1) | instskip(NEXT) | instid1(SALU_CYCLE_1)
	s_lshl_b64 s[22:23], s[22:23], 2
	s_add_u32 s22, s17, s22
	s_addc_u32 s23, s13, s23
	s_or_b32 s21, s16, 0xe0
	s_delay_alu instid0(SALU_CYCLE_1) | instskip(SKIP_2) | instid1(SALU_CYCLE_1)
	s_ashr_i32 s24, s21, 4
	s_cmp_lt_i32 s21, s18
	s_cselect_b32 s24, s24, s3
	s_ashr_i32 s25, s24, 31
	s_delay_alu instid0(SALU_CYCLE_1)
	s_lshl_b64 s[24:25], s[24:25], 2
	s_waitcnt vmcnt(1)
	v_mad_i64_i32 v[3:4], null, v5, s5, v[1:2]
	s_waitcnt vmcnt(0)
	v_mad_i64_i32 v[5:6], null, v7, s5, v[1:2]
	v_lshlrev_b32_e32 v1, 4, v68
	s_clause 0x7
	global_load_b128 v[71:74], v[3:4], off
	global_load_b128 v[75:78], v[3:4], off offset:256
	global_load_b128 v[79:82], v[5:6], off
	global_load_b128 v[83:86], v[5:6], off offset:256
	global_load_b128 v[87:90], v[3:4], off offset:512
	;; [unrolled: 1-line block ×5, first 2 shown]
	v_lshl_or_b32 v1, v69, 8, v1
	s_load_b32 s3, s[22:23], 0x0
	s_add_u32 s22, s17, s24
	s_addc_u32 s23, s13, s25
	s_add_u32 s10, s10, s15
	s_addc_u32 s11, s11, s20
	v_add_co_u32 v1, s10, s10, v1
	s_delay_alu instid0(VALU_DEP_1) | instskip(SKIP_2) | instid1(VALU_DEP_1)
	v_add_co_ci_u32_e64 v2, null, s11, 0, s10
	s_load_b32 s10, s[22:23], 0x0
	s_waitcnt lgkmcnt(0)
	v_mad_i64_i32 v[3:4], null, s12, s5, v[1:2]
	v_mad_i64_i32 v[9:10], null, s7, s5, v[1:2]
	;; [unrolled: 1-line block ×7, first 2 shown]
	s_clause 0x5
	global_load_b128 v[49:52], v[3:4], off
	global_load_b128 v[53:56], v[3:4], off offset:16
	global_load_b128 v[41:44], v[5:6], off
	global_load_b128 v[45:48], v[5:6], off offset:16
	;; [unrolled: 2-line block ×3, first 2 shown]
	s_mov_b32 s4, 0
	v_mad_i64_i32 v[61:62], null, s10, s5, v[1:2]
	s_clause 0x9
	global_load_b128 v[1:4], v[9:10], off
	global_load_b128 v[5:8], v[9:10], off offset:16
	global_load_b128 v[9:12], v[13:14], off
	global_load_b128 v[13:16], v[13:14], off offset:16
	;; [unrolled: 2-line block ×5, first 2 shown]
	s_mov_b32 s5, s4
	s_mov_b32 s6, s4
	;; [unrolled: 1-line block ×7, first 2 shown]
	v_and_b32_e32 v104, 0xe0, v0
	v_dual_mov_b32 v126, s11 :: v_dual_mov_b32 v125, s10
	v_dual_mov_b32 v124, s9 :: v_dual_mov_b32 v123, s8
	s_delay_alu instid0(VALU_DEP_3)
	v_add_nc_u32_e32 v111, s16, v104
	ds_load_b128 v[103:106], v115
	ds_load_b128 v[107:110], v115 offset:1024
	v_dual_mov_b32 v122, s7 :: v_dual_mov_b32 v121, s6
	v_mov_b32_e32 v120, s5
	v_or_b32_e32 v135, v111, v66
	ds_load_b128 v[111:114], v115 offset:2048
	ds_load_b128 v[115:118], v115 offset:3072
	v_mov_b32_e32 v119, s4
	s_waitcnt vmcnt(0) lgkmcnt(0)
	s_barrier
	v_or_b32_e32 v137, 2, v135
	v_or_b32_e32 v138, 4, v135
	;; [unrolled: 1-line block ×3, first 2 shown]
	v_cmp_gt_i32_e32 vcc_lo, s18, v135
	v_or_b32_e32 v140, 8, v135
	v_cmp_gt_i32_e64 s3, s18, v137
	v_or_b32_e32 v141, 10, v135
	v_cmp_gt_i32_e64 s4, s18, v138
	v_cmp_gt_i32_e64 s5, s18, v139
	v_or_b32_e32 v142, 12, v135
	v_or_b32_e32 v143, 14, v135
	v_cmp_gt_i32_e64 s6, s18, v140
	v_cmp_gt_i32_e64 s7, s18, v141
	v_or_b32_e32 v144, 16, v135
	v_or_b32_e32 v145, 18, v135
	v_cmp_gt_i32_e64 s8, s18, v142
	v_cmp_gt_i32_e64 s9, s18, v143
	buffer_gl0_inv
	v_cmp_gt_i32_e64 s10, s18, v144
	v_cmp_gt_i32_e64 s11, s18, v145
	v_wmma_f32_16x16x16_f16 v[127:134], v[71:78], v[103:110], v[119:126]
	v_wmma_f32_16x16x16_f16 v[119:126], v[79:86], v[103:110], v[119:126]
	v_or_b32_e32 v71, 20, v135
	v_or_b32_e32 v72, 22, v135
	s_delay_alu instid0(VALU_DEP_4)
	v_wmma_f32_16x16x16_f16 v[127:134], v[87:94], v[111:118], v[127:134]
	v_or_b32_e32 v73, 24, v135
	v_wmma_f32_16x16x16_f16 v[119:126], v[95:102], v[111:118], v[119:126]
	v_or_b32_e32 v74, 26, v135
	v_cmp_gt_i32_e64 s12, s18, v71
	v_dual_mul_f32 v83, s19, v128 :: v_dual_mul_f32 v84, s19, v127
	v_dual_mul_f32 v81, s19, v130 :: v_dual_mul_f32 v82, s19, v129
	;; [unrolled: 1-line block ×3, first 2 shown]
	s_delay_alu instid0(VALU_DEP_3) | instskip(NEXT) | instid1(VALU_DEP_4)
	v_cndmask_b32_e32 v84, 0xff7fffff, v84, vcc_lo
	v_cndmask_b32_e64 v83, 0xff7fffff, v83, s3
	v_mul_f32_e32 v80, s19, v131
	v_cndmask_b32_e64 v82, 0xff7fffff, v82, s4
	v_cndmask_b32_e64 v81, 0xff7fffff, v81, s5
	v_dual_mul_f32 v77, s19, v134 :: v_dual_mul_f32 v90, s19, v121
	v_max3_f32 v83, v84, 0xff7fffff, v83
	v_mul_f32_e32 v78, s19, v133
	v_cndmask_b32_e64 v80, 0xff7fffff, v80, s6
	v_cndmask_b32_e64 v79, 0xff7fffff, v79, s7
	v_mul_f32_e32 v91, s19, v120
	v_max3_f32 v81, v83, v82, v81
	v_cndmask_b32_e64 v78, 0xff7fffff, v78, s8
	v_cndmask_b32_e64 v77, 0xff7fffff, v77, s9
	v_mul_f32_e32 v89, s19, v122
	v_cmp_gt_i32_e64 s13, s18, v72
	v_max3_f32 v79, v81, v80, v79
	v_cndmask_b32_e64 v80, 0xff7fffff, v92, s10
	v_cndmask_b32_e64 v81, 0xff7fffff, v91, s11
	v_or_b32_e32 v75, 28, v135
	v_or_b32_e32 v76, 30, v135
	v_max3_f32 v77, v79, v78, v77
	v_dual_mul_f32 v87, s19, v124 :: v_dual_mul_f32 v88, s19, v123
	v_cndmask_b32_e64 v71, 0xff7fffff, v90, s12
	v_cndmask_b32_e64 v72, 0xff7fffff, v89, s13
	s_delay_alu instid0(VALU_DEP_4) | instskip(SKIP_3) | instid1(VALU_DEP_4)
	v_max3_f32 v77, v77, v80, v81
	v_cmp_gt_i32_e64 s15, s18, v73
	v_cmp_gt_i32_e64 s16, s18, v74
	v_dual_mul_f32 v85, s19, v126 :: v_dual_mul_f32 v86, s19, v125
	v_max3_f32 v71, v77, v71, v72
	s_delay_alu instid0(VALU_DEP_4) | instskip(NEXT) | instid1(VALU_DEP_4)
	v_cndmask_b32_e64 v73, 0xff7fffff, v88, s15
	v_cndmask_b32_e64 v74, 0xff7fffff, v87, s16
	v_cmp_gt_i32_e64 s17, s18, v75
	v_cmp_gt_i32_e64 s18, s18, v76
	s_delay_alu instid0(VALU_DEP_3) | instskip(NEXT) | instid1(VALU_DEP_3)
	v_max3_f32 v71, v71, v73, v74
	v_cndmask_b32_e64 v72, 0xff7fffff, v86, s17
	s_delay_alu instid0(VALU_DEP_3) | instskip(SKIP_1) | instid1(VALU_DEP_2)
	v_cndmask_b32_e64 v75, 0xff7fffff, v85, s18
	v_lshlrev_b32_e32 v73, 2, v136
	v_max3_f32 v71, v71, v72, v75
	ds_bpermute_b32 v72, v73, v71
	s_waitcnt lgkmcnt(0)
	v_max_f32_e32 v72, v72, v72
	s_delay_alu instid0(VALU_DEP_1) | instskip(NEXT) | instid1(VALU_DEP_1)
	v_max_f32_e32 v71, v71, v72
	v_fma_f32 v72, s19, v127, -v71
	v_fma_f32 v74, s19, v128, -v71
	;; [unrolled: 1-line block ×5, first 2 shown]
	v_mul_f32_e32 v72, 0x3fb8aa3b, v72
	s_delay_alu instid0(VALU_DEP_4) | instskip(NEXT) | instid1(VALU_DEP_4)
	v_dual_mul_f32 v74, 0x3fb8aa3b, v74 :: v_dual_mul_f32 v75, 0x3fb8aa3b, v75
	v_mul_f32_e32 v76, 0x3fb8aa3b, v76
	s_delay_alu instid0(VALU_DEP_4) | instskip(NEXT) | instid1(VALU_DEP_4)
	v_mul_f32_e32 v82, 0x3fb8aa3b, v80
	v_exp_f32_e32 v72, v72
	s_delay_alu instid0(VALU_DEP_3)
	v_exp_f32_e32 v74, v74
	v_exp_f32_e32 v75, v75
	;; [unrolled: 1-line block ×3, first 2 shown]
	v_fma_f32 v77, s19, v131, -v71
	v_exp_f32_e32 v84, v82
	v_cndmask_b32_e32 v79, 0, v72, vcc_lo
	v_cndmask_b32_e64 v78, 0, v74, s3
	s_delay_alu instid0(TRANS32_DEP_3) | instskip(SKIP_1) | instid1(TRANS32_DEP_2)
	v_cndmask_b32_e64 v81, 0, v75, s4
	v_fma_f32 v72, s19, v132, -v71
	v_cndmask_b32_e64 v80, 0, v76, s5
	v_add_f32_e32 v74, 0, v79
	s_delay_alu instid0(TRANS32_DEP_1) | instskip(SKIP_2) | instid1(VALU_DEP_3)
	v_cndmask_b32_e64 v85, 0, v84, s8
	s_mov_b32 s3, exec_lo
	v_mul_f32_e32 v72, 0x3fb8aa3b, v72
	v_add_f32_e32 v74, v74, v78
	s_delay_alu instid0(VALU_DEP_2) | instskip(NEXT) | instid1(VALU_DEP_1)
	v_exp_f32_e32 v72, v72
	v_add_f32_e32 v74, v74, v81
	s_delay_alu instid0(VALU_DEP_1) | instskip(NEXT) | instid1(VALU_DEP_1)
	v_dual_mul_f32 v77, 0x3fb8aa3b, v77 :: v_dual_add_f32 v74, v74, v80
	v_exp_f32_e32 v77, v77
	s_waitcnt_depctr 0xfff
	v_cndmask_b32_e64 v82, 0, v72, s7
	v_cndmask_b32_e64 v83, 0, v77, s6
	s_delay_alu instid0(VALU_DEP_1) | instskip(SKIP_4) | instid1(VALU_DEP_4)
	v_add_f32_e32 v72, v74, v83
	v_fma_f32 v75, s19, v134, -v71
	v_fma_f32 v76, s19, v119, -v71
	;; [unrolled: 1-line block ×4, first 2 shown]
	v_dual_add_f32 v72, v72, v82 :: v_dual_mul_f32 v75, 0x3fb8aa3b, v75
	s_delay_alu instid0(VALU_DEP_3) | instskip(NEXT) | instid1(VALU_DEP_3)
	v_dual_mul_f32 v76, 0x3fb8aa3b, v76 :: v_dual_mul_f32 v77, 0x3fb8aa3b, v77
	v_mul_f32_e32 v74, 0x3fb8aa3b, v74
	v_fma_f32 v86, s19, v122, -v71
	s_delay_alu instid0(VALU_DEP_4) | instskip(NEXT) | instid1(VALU_DEP_3)
	v_exp_f32_e32 v75, v75
	v_exp_f32_e32 v76, v76
	;; [unrolled: 1-line block ×4, first 2 shown]
	v_mul_f32_e32 v86, 0x3fb8aa3b, v86
	s_delay_alu instid0(VALU_DEP_1)
	v_exp_f32_e32 v88, v86
	v_cndmask_b32_e64 v84, 0, v75, s9
	v_fma_f32 v75, s19, v123, -v71
	v_add_f32_e32 v72, v72, v85
	v_cndmask_b32_e64 v87, 0, v76, s10
	v_fma_f32 v76, s19, v124, -v71
	s_delay_alu instid0(TRANS32_DEP_3) | instskip(NEXT) | instid1(VALU_DEP_4)
	v_cndmask_b32_e64 v86, 0, v77, s11
	v_dual_mul_f32 v75, 0x3fb8aa3b, v75 :: v_dual_add_f32 v72, v72, v84
	v_fma_f32 v77, s19, v125, -v71
	s_delay_alu instid0(VALU_DEP_4) | instskip(SKIP_1) | instid1(VALU_DEP_4)
	v_mul_f32_e32 v76, 0x3fb8aa3b, v76
	v_cndmask_b32_e64 v89, 0, v74, s12
	v_exp_f32_e32 v75, v75
	v_add_f32_e32 v72, v72, v87
	v_mul_f32_e32 v74, 0x3fb8aa3b, v77
	v_exp_f32_e32 v76, v76
	v_cndmask_b32_e64 v88, 0, v88, s13
	v_fma_f32 v77, s19, v126, -v71
	v_add_f32_e32 v72, v72, v86
	v_exp_f32_e32 v74, v74
	s_delay_alu instid0(TRANS32_DEP_3) | instskip(NEXT) | instid1(VALU_DEP_2)
	v_cndmask_b32_e64 v91, 0, v75, s15
	v_add_f32_e32 v72, v72, v89
	v_mul_f32_e32 v75, 0x3fb8aa3b, v77
	s_delay_alu instid0(TRANS32_DEP_2) | instskip(NEXT) | instid1(VALU_DEP_3)
	v_cndmask_b32_e64 v90, 0, v76, s16
	v_add_f32_e32 v72, v72, v88
	s_delay_alu instid0(VALU_DEP_3) | instskip(NEXT) | instid1(TRANS32_DEP_2)
	v_exp_f32_e32 v75, v75
	v_cndmask_b32_e64 v93, 0, v74, s17
	s_delay_alu instid0(VALU_DEP_2) | instskip(NEXT) | instid1(VALU_DEP_1)
	v_add_f32_e32 v72, v72, v91
	v_add_f32_e32 v72, v72, v90
	s_waitcnt_depctr 0xfff
	v_cndmask_b32_e64 v92, 0, v75, s18
	v_add_f32_e32 v72, v72, v93
	s_delay_alu instid0(VALU_DEP_1)
	v_add_f32_e32 v72, v72, v92
	ds_bpermute_b32 v73, v73, v72
	v_cmpx_gt_u32_e32 16, v70
	s_cbranch_execz .LBB799_12
; %bb.11:
	v_mul_u32_u24_e32 v70, 0x44, v69
	s_waitcnt lgkmcnt(0)
	v_add_f32_e32 v72, v72, v73
	s_delay_alu instid0(VALU_DEP_2) | instskip(NEXT) | instid1(VALU_DEP_1)
	v_lshl_add_u32 v70, v68, 2, v70
	v_add_nc_u32_e32 v70, 0x4000, v70
	ds_store_2addr_b32 v70, v71, v72 offset1:136
.LBB799_12:
	s_or_b32 exec_lo, exec_lo, s3
	v_lshlrev_b32_e32 v70, 2, v68
	s_load_b32 s35, s[0:1], 0x94
	s_waitcnt lgkmcnt(0)
	s_barrier
	buffer_gl0_inv
	v_add_nc_u32_e32 v98, 0x4000, v70
	v_cmp_eq_u32_e32 vcc_lo, 1, v69
	v_cmp_eq_u32_e64 s3, 2, v69
	v_cmp_eq_u32_e64 s4, 3, v69
	;; [unrolled: 1-line block ×3, first 2 shown]
	ds_load_2addr_b32 v[70:71], v98 offset1:17
	ds_load_2addr_b32 v[72:73], v98 offset0:34 offset1:51
	ds_load_2addr_b32 v[74:75], v98 offset0:68 offset1:85
	;; [unrolled: 1-line block ×3, first 2 shown]
	v_cmp_eq_u32_e64 s6, 5, v69
	v_cmp_eq_u32_e64 s7, 7, v69
	s_waitcnt lgkmcnt(3)
	v_max3_f32 v76, v70, 0xff7fffff, v71
	s_waitcnt lgkmcnt(2)
	s_delay_alu instid0(VALU_DEP_1) | instskip(SKIP_1) | instid1(VALU_DEP_1)
	v_max3_f32 v76, v76, v72, v73
	s_waitcnt lgkmcnt(1)
	v_max3_f32 v76, v76, v74, v75
	s_waitcnt lgkmcnt(0)
	s_delay_alu instid0(VALU_DEP_1) | instskip(NEXT) | instid1(VALU_DEP_1)
	v_max3_f32 v76, v76, v94, v95
	v_sub_f32_e32 v77, v71, v76
	ds_load_2addr_b32 v[96:97], v98 offset0:136 offset1:153
	v_sub_f32_e32 v74, v74, v76
	v_sub_f32_e32 v70, v70, v76
	;; [unrolled: 1-line block ×3, first 2 shown]
	v_dual_sub_f32 v72, v72, v76 :: v_dual_mul_f32 v77, 0x3fb8aa3b, v77
	s_delay_alu instid0(VALU_DEP_4) | instskip(NEXT) | instid1(VALU_DEP_4)
	v_mul_f32_e32 v103, 0x3fb8aa3b, v74
	v_mul_f32_e32 v99, 0x3fb8aa3b, v70
	ds_load_2addr_b32 v[70:71], v98 offset0:170 offset1:187
	v_dual_mul_f32 v101, 0x3fb8aa3b, v72 :: v_dual_mul_f32 v94, 0x3fb8aa3b, v94
	v_exp_f32_e32 v102, v77
	v_exp_f32_e32 v99, v99
	s_delay_alu instid0(VALU_DEP_1) | instskip(NEXT) | instid1(VALU_DEP_1)
	v_exp_f32_e32 v101, v101
	v_exp_f32_e32 v94, v94
	s_waitcnt lgkmcnt(1)
	s_delay_alu instid0(TRANS32_DEP_3)
	v_fma_f32 v77, v99, v96, 0
	v_sub_f32_e32 v100, v73, v76
	ds_load_2addr_b32 v[72:73], v98 offset0:204 offset1:221
	v_fmac_f32_e32 v77, v102, v97
	v_exp_f32_e32 v97, v103
	s_waitcnt lgkmcnt(1)
	s_delay_alu instid0(VALU_DEP_1)
	v_dual_fmac_f32 v77, v101, v70 :: v_dual_sub_f32 v96, v75, v76
	ds_load_2addr_b32 v[74:75], v98 offset0:238 offset1:255
	v_sub_f32_e32 v70, v95, v76
	s_waitcnt lgkmcnt(0)
	s_barrier
	v_mul_f32_e32 v96, 0x3fb8aa3b, v96
	buffer_gl0_inv
	v_exp_f32_e32 v95, v96
	v_mul_f32_e32 v100, 0x3fb8aa3b, v100
	s_delay_alu instid0(VALU_DEP_1) | instskip(SKIP_3) | instid1(VALU_DEP_2)
	v_exp_f32_e32 v100, v100
	s_waitcnt_depctr 0xfff
	v_dual_fmac_f32 v77, v100, v71 :: v_dual_mul_f32 v70, 0x3fb8aa3b, v70
	v_cndmask_b32_e32 v71, v99, v102, vcc_lo
	v_fmac_f32_e32 v77, v97, v72
	s_delay_alu instid0(VALU_DEP_3) | instskip(NEXT) | instid1(VALU_DEP_1)
	v_exp_f32_e32 v96, v70
	v_fmac_f32_e32 v77, v95, v73
	s_delay_alu instid0(VALU_DEP_1) | instskip(SKIP_2) | instid1(VALU_DEP_1)
	v_fmac_f32_e32 v77, v94, v74
	s_waitcnt_depctr 0xfff
	v_fmac_f32_e32 v77, v96, v75
	v_add_f32_e32 v74, 0x358637bd, v77
	s_delay_alu instid0(VALU_DEP_1) | instskip(SKIP_1) | instid1(VALU_DEP_2)
	v_div_scale_f32 v98, null, v74, v74, 1.0
	v_div_scale_f32 v99, vcc_lo, 1.0, v74, 1.0
	v_rcp_f32_e32 v103, v98
	s_waitcnt_depctr 0xfff
	v_fma_f32 v70, -v98, v103, 1.0
	s_delay_alu instid0(VALU_DEP_1) | instskip(SKIP_2) | instid1(VALU_DEP_2)
	v_fmac_f32_e32 v103, v70, v103
	v_cndmask_b32_e64 v70, v71, v101, s3
	v_cmp_eq_u32_e64 s3, 6, v69
	v_cndmask_b32_e64 v71, v70, v100, s4
	s_delay_alu instid0(VALU_DEP_4) | instskip(NEXT) | instid1(VALU_DEP_2)
	v_dual_mul_f32 v101, v99, v103 :: v_dual_lshlrev_b32 v70, 2, v66
	v_cndmask_b32_e64 v71, v71, v97, s5
	s_delay_alu instid0(VALU_DEP_2) | instskip(NEXT) | instid1(VALU_DEP_3)
	v_or_b32_e32 v72, 1, v70
	v_fma_f32 v100, -v98, v101, v99
	v_cmp_eq_u32_e64 s4, 1, v70
	v_cmp_eq_u32_e64 s5, 2, v70
	v_cndmask_b32_e64 v95, v71, v95, s6
	v_or_b32_e32 v71, 3, v70
	v_fmac_f32_e32 v101, v100, v103
	v_cmp_eq_u32_e64 s9, 1, v72
	v_cmp_eq_u32_e64 s12, 2, v72
	v_cndmask_b32_e64 v94, v95, v94, s3
	v_cmp_eq_u32_e64 s11, 1, v71
	v_fma_f32 v97, -v98, v101, v99
	v_cmp_eq_u32_e64 s16, 2, v71
	v_cmp_eq_u32_e64 s13, 3, v72
	v_cndmask_b32_e64 v94, v94, v96, s7
	v_cmp_eq_u32_e64 s18, 3, v71
	v_div_fmas_f32 v95, v97, v103, v101
	v_cmp_eq_u32_e32 vcc_lo, 3, v70
	v_cmp_eq_u32_e64 s3, 4, v70
	v_cmp_eq_u32_e64 s19, 4, v72
	v_cmp_eq_u32_e64 s22, 4, v71
	v_div_fixup_f32 v95, v95, v74, 1.0
	v_lshlrev_b32_e32 v73, 6, v68
	v_cmp_eq_u32_e64 s6, 5, v70
	v_cmp_eq_u32_e64 s20, 5, v72
	;; [unrolled: 1-line block ×3, first 2 shown]
	v_mul_f32_e32 v102, v94, v95
	v_lshl_or_b32 v75, v69, 11, v73
	v_or_b32_e32 v69, 2, v70
	v_cmp_eq_u32_e64 s25, 6, v72
	v_cmp_eq_u32_e64 s27, 6, v71
	v_fma_mixlo_f16 v94, v102, v79, 0
	v_fma_mixlo_f16 v95, v102, v81, 0
	;; [unrolled: 1-line block ×8, first 2 shown]
	v_lshl_or_b32 v74, v66, 4, v75
	v_fma_mixhi_f16 v94, v102, v78, 0
	v_fma_mixhi_f16 v95, v102, v80, 0
	;; [unrolled: 1-line block ×8, first 2 shown]
	ds_store_b128 v74, v[94:97]
	ds_store_b128 v74, v[98:101] offset:1024
	s_waitcnt lgkmcnt(0)
	s_barrier
	buffer_gl0_inv
	ds_load_b128 v[78:81], v75
	ds_load_b128 v[82:85], v75 offset:16
	ds_load_b128 v[86:89], v75 offset:1024
	;; [unrolled: 1-line block ×3, first 2 shown]
	v_cmp_eq_u32_e64 s10, 1, v69
	v_cmp_eq_u32_e64 s15, 2, v69
	;; [unrolled: 1-line block ×11, first 2 shown]
	s_waitcnt lgkmcnt(3)
	v_lshrrev_b32_e32 v94, 16, v78
	s_waitcnt lgkmcnt(2)
	v_lshrrev_b32_e32 v98, 16, v82
	;; [unrolled: 2-line block ×4, first 2 shown]
	v_lshrrev_b32_e32 v95, 16, v79
	v_cndmask_b32_e64 v110, v78, v94, s4
	v_cndmask_b32_e64 v111, v82, v98, s4
	;; [unrolled: 1-line block ×8, first 2 shown]
	v_lshrrev_b32_e32 v99, 16, v83
	v_cndmask_b32_e64 v94, v86, v102, s4
	v_cndmask_b32_e64 v98, v90, v106, s4
	;; [unrolled: 1-line block ×15, first 2 shown]
	v_lshrrev_b32_e32 v103, 16, v87
	v_lshrrev_b32_e32 v107, 16, v91
	v_cndmask_b32_e64 v113, v115, v83, s15
	v_cndmask_b32_e64 v82, v94, v87, s5
	;; [unrolled: 1-line block ×7, first 2 shown]
	v_cndmask_b32_e32 v90, v102, v95, vcc_lo
	v_cndmask_b32_e32 v102, v106, v99, vcc_lo
	v_cndmask_b32_e64 v106, v110, v95, s13
	v_cndmask_b32_e64 v110, v111, v99, s13
	;; [unrolled: 1-line block ×4, first 2 shown]
	v_lshrrev_b32_e32 v96, 16, v80
	v_lshrrev_b32_e32 v100, 16, v84
	v_cndmask_b32_e64 v111, v112, v95, s17
	v_cndmask_b32_e64 v112, v113, v99, s17
	v_cndmask_b32_e32 v82, v82, v103, vcc_lo
	v_cndmask_b32_e32 v83, v83, v107, vcc_lo
	v_cndmask_b32_e64 v94, v94, v103, s13
	v_cndmask_b32_e64 v90, v90, v80, s3
	;; [unrolled: 1-line block ×7, first 2 shown]
	v_lshrrev_b32_e32 v104, 16, v88
	v_cndmask_b32_e64 v106, v111, v80, s21
	v_cndmask_b32_e64 v110, v112, v84, s21
	;; [unrolled: 1-line block ×11, first 2 shown]
	v_lshrrev_b32_e32 v97, 16, v81
	v_lshrrev_b32_e32 v101, 16, v85
	v_cndmask_b32_e64 v99, v106, v96, s23
	v_cndmask_b32_e64 v102, v110, v100, s23
	;; [unrolled: 1-line block ×7, first 2 shown]
	v_lshrrev_b32_e32 v105, 16, v89
	v_cndmask_b32_e64 v80, v80, v104, s6
	v_cndmask_b32_e64 v84, v84, v81, s7
	;; [unrolled: 1-line block ×16, first 2 shown]
	v_perm_b32 v81, v79, v78, 0x5040100
	v_perm_b32 v79, v95, v85, 0x5040100
	v_cndmask_b32_e64 v78, v119, v91, s15
	v_cndmask_b32_e64 v85, v117, v91, s12
	;; [unrolled: 1-line block ×3, first 2 shown]
	v_perm_b32 v80, v94, v90, 0x5040100
	v_cndmask_b32_e64 v90, v98, v103, s17
	v_cndmask_b32_e64 v86, v86, v103, s18
	;; [unrolled: 1-line block ×5, first 2 shown]
	v_lshrrev_b32_e32 v108, 16, v92
	v_cndmask_b32_e64 v90, v90, v88, s21
	v_cndmask_b32_e64 v86, v86, v88, s22
	;; [unrolled: 1-line block ×11, first 2 shown]
	v_lshrrev_b32_e32 v109, 16, v93
	v_cndmask_b32_e64 v82, v82, v93, s7
	v_cndmask_b32_e64 v88, v88, v89, s26
	;; [unrolled: 1-line block ×12, first 2 shown]
	v_perm_b32 v78, v84, v83, 0x5040100
	v_perm_b32 v85, v87, v86, 0x5040100
	;; [unrolled: 1-line block ×5, first 2 shown]
	s_mul_i32 s8, s33, 10
	s_mov_b32 s3, exec_lo
	ds_store_b128 v74, v[78:81]
	ds_store_b128 v74, v[82:85] offset:1024
	v_cmpx_gt_u32_e32 10, v0
	s_cbranch_execz .LBB799_14
; %bb.13:
	s_mul_i32 s4, s8, s34
	s_delay_alu instid0(SALU_CYCLE_1) | instskip(SKIP_1) | instid1(VALU_DEP_1)
	v_add3_u32 v68, s4, s31, v68
	s_load_b128 s[4:7], s[0:1], 0x58
	v_mad_u64_u32 v[78:79], null, v68, s35, s[14:15]
	s_delay_alu instid0(VALU_DEP_1) | instskip(NEXT) | instid1(VALU_DEP_1)
	v_ashrrev_i32_e32 v79, 31, v78
	v_lshlrev_b64 v[78:79], 2, v[78:79]
	s_waitcnt lgkmcnt(0)
	s_delay_alu instid0(VALU_DEP_1) | instskip(NEXT) | instid1(VALU_DEP_2)
	v_add_co_u32 v80, vcc_lo, s6, v78
	v_add_co_ci_u32_e32 v81, vcc_lo, s7, v79, vcc_lo
	v_add_co_u32 v78, vcc_lo, s4, v78
	v_add_co_ci_u32_e32 v79, vcc_lo, s5, v79, vcc_lo
	global_store_b32 v[80:81], v76, off
	global_store_b32 v[78:79], v77, off
.LBB799_14:
	s_or_b32 exec_lo, exec_lo, s3
	s_waitcnt lgkmcnt(0)
	s_waitcnt_vscnt null, 0x0
	s_barrier
	buffer_gl0_inv
	ds_load_b128 v[84:87], v73
	ds_load_b128 v[88:91], v73 offset:16
	ds_load_b128 v[96:99], v73 offset:2064
	;; [unrolled: 1-line block ×5, first 2 shown]
	v_cmp_eq_u32_e32 vcc_lo, 1, v70
	v_mov_b32_e32 v76, 0
	ds_load_b128 v[112:115], v73 offset:6160
	ds_load_b128 v[108:111], v73 offset:6144
	;; [unrolled: 1-line block ×4, first 2 shown]
	v_cmp_eq_u32_e64 s4, 1, v69
	v_cmp_eq_u32_e64 s3, 1, v72
	;; [unrolled: 1-line block ×3, first 2 shown]
	v_mov_b32_e32 v77, v76
	v_mov_b32_e32 v78, v76
	;; [unrolled: 1-line block ×7, first 2 shown]
	v_cmp_eq_u32_e64 s6, 3, v72
	v_cmp_eq_u32_e64 s7, 7, v72
	s_waitcnt lgkmcnt(8)
	s_delay_alu instid0(VALU_DEP_3)
	v_wmma_f32_16x16x16_f16 v[76:83], v[49:56], v[84:91], v[76:83]
	ds_load_b128 v[53:56], v73 offset:10256
	ds_load_b128 v[49:52], v73 offset:10240
	s_waitcnt lgkmcnt(8)
	v_wmma_f32_16x16x16_f16 v[76:83], v[41:48], v[92:99], v[76:83]
	ds_load_b128 v[45:48], v73 offset:12304
	ds_load_b128 v[41:44], v73 offset:12288
	s_waitcnt lgkmcnt(8)
	;; [unrolled: 4-line block ×3, first 2 shown]
	s_barrier
	buffer_gl0_inv
	v_wmma_f32_16x16x16_f16 v[76:83], v[1:8], v[108:115], v[76:83]
	s_delay_alu instid0(VALU_DEP_1) | instskip(NEXT) | instid1(VALU_DEP_1)
	v_wmma_f32_16x16x16_f16 v[76:83], v[9:16], v[116:123], v[76:83]
	v_wmma_f32_16x16x16_f16 v[76:83], v[17:24], v[49:56], v[76:83]
	s_delay_alu instid0(VALU_DEP_1) | instskip(NEXT) | instid1(VALU_DEP_1)
	v_wmma_f32_16x16x16_f16 v[76:83], v[25:32], v[41:48], v[76:83]
	v_wmma_f32_16x16x16_f16 v[76:83], v[57:64], v[33:40], v[76:83]
	s_delay_alu instid0(VALU_DEP_1) | instskip(NEXT) | instid1(VALU_DEP_2)
	v_cvt_f16_f32_e32 v1, v76
	v_cvt_f16_f32_e32 v2, v77
	s_delay_alu instid0(VALU_DEP_3) | instskip(NEXT) | instid1(VALU_DEP_4)
	v_cvt_f16_f32_e32 v3, v78
	v_cvt_f16_f32_e32 v4, v79
	;; [unrolled: 1-line block ×6, first 2 shown]
	v_pack_b32_f16 v1, v1, v2
	v_pack_b32_f16 v2, v3, v4
	v_pack_b32_f16 v3, v5, v6
	s_delay_alu instid0(VALU_DEP_4)
	v_pack_b32_f16 v4, v7, v8
	ds_store_b128 v74, v[1:4]
	s_waitcnt lgkmcnt(0)
	s_barrier
	buffer_gl0_inv
	ds_load_b128 v[1:4], v75
	ds_load_b128 v[5:8], v75 offset:16
	s_waitcnt lgkmcnt(1)
	v_lshrrev_b32_e32 v9, 16, v1
	s_waitcnt lgkmcnt(0)
	v_lshrrev_b32_e32 v13, 16, v5
	v_lshrrev_b32_e32 v10, 16, v2
	;; [unrolled: 1-line block ×4, first 2 shown]
	v_cndmask_b32_e32 v17, v1, v9, vcc_lo
	v_cndmask_b32_e32 v18, v5, v13, vcc_lo
	v_cndmask_b32_e64 v21, v1, v9, s4
	v_cmp_eq_u32_e32 vcc_lo, 1, v71
	v_cndmask_b32_e64 v22, v5, v13, s4
	v_cmp_eq_u32_e64 s4, 2, v70
	v_cndmask_b32_e64 v19, v1, v9, s3
	v_cndmask_b32_e64 v20, v5, v13, s3
	v_cndmask_b32_e32 v1, v1, v9, vcc_lo
	v_cmp_eq_u32_e64 s3, 2, v71
	v_cndmask_b32_e32 v5, v5, v13, vcc_lo
	v_cndmask_b32_e64 v9, v17, v2, s4
	v_cmp_eq_u32_e32 vcc_lo, 3, v70
	v_cndmask_b32_e64 v13, v18, v6, s4
	v_cmp_eq_u32_e64 s4, 2, v69
	v_cndmask_b32_e64 v17, v19, v2, s5
	v_cndmask_b32_e64 v18, v20, v6, s5
	v_cmp_eq_u32_e64 s5, 3, v69
	v_cndmask_b32_e64 v1, v1, v2, s3
	v_cndmask_b32_e64 v19, v21, v2, s4
	;; [unrolled: 1-line block ×4, first 2 shown]
	v_cndmask_b32_e32 v5, v9, v10, vcc_lo
	v_cndmask_b32_e32 v6, v13, v14, vcc_lo
	v_cmp_eq_u32_e32 vcc_lo, 3, v71
	v_cndmask_b32_e64 v9, v17, v10, s6
	v_cndmask_b32_e64 v13, v18, v14, s6
	;; [unrolled: 1-line block ×3, first 2 shown]
	v_cmp_eq_u32_e64 s4, 4, v70
	v_cndmask_b32_e32 v1, v1, v10, vcc_lo
	v_cndmask_b32_e32 v2, v2, v14, vcc_lo
	v_cmp_eq_u32_e32 vcc_lo, 4, v72
	v_lshrrev_b32_e32 v15, 16, v7
	v_lshrrev_b32_e32 v16, 16, v8
	v_cndmask_b32_e64 v17, v19, v10, s5
	v_cmp_eq_u32_e64 s3, 4, v71
	v_cndmask_b32_e64 v5, v5, v3, s4
	v_cndmask_b32_e64 v6, v6, v7, s4
	v_cndmask_b32_e32 v9, v9, v3, vcc_lo
	v_cmp_eq_u32_e64 s4, 5, v72
	v_cndmask_b32_e32 v10, v13, v7, vcc_lo
	v_cmp_eq_u32_e32 vcc_lo, 4, v69
	v_cmp_eq_u32_e64 s5, 5, v70
	v_cndmask_b32_e64 v2, v2, v7, s3
	v_cndmask_b32_e64 v9, v9, v11, s4
	;; [unrolled: 1-line block ×3, first 2 shown]
	v_cndmask_b32_e32 v13, v17, v3, vcc_lo
	v_cmp_eq_u32_e64 s4, 5, v69
	v_cndmask_b32_e32 v14, v18, v7, vcc_lo
	v_cndmask_b32_e64 v1, v1, v3, s3
	v_cmp_eq_u32_e32 vcc_lo, 5, v71
	v_lshrrev_b32_e32 v12, 16, v4
	v_cndmask_b32_e64 v13, v13, v11, s4
	v_cndmask_b32_e64 v3, v14, v15, s4
	v_cmp_eq_u32_e64 s4, 6, v71
	v_cndmask_b32_e32 v1, v1, v11, vcc_lo
	v_cndmask_b32_e64 v5, v5, v11, s5
	v_cmp_eq_u32_e64 s6, 6, v70
	v_cndmask_b32_e64 v6, v6, v15, s5
	v_cmp_eq_u32_e64 s5, 6, v72
	v_cmp_eq_u32_e64 s3, 6, v69
	v_cndmask_b32_e64 v1, v1, v4, s4
	v_cndmask_b32_e32 v2, v2, v15, vcc_lo
	v_cmp_eq_u32_e32 vcc_lo, 7, v71
	v_cndmask_b32_e64 v5, v5, v4, s6
	v_cndmask_b32_e64 v9, v9, v4, s5
	;; [unrolled: 1-line block ×3, first 2 shown]
	v_cmp_eq_u32_e64 s6, 7, v70
	v_cndmask_b32_e32 v1, v1, v12, vcc_lo
	v_cndmask_b32_e64 v7, v13, v4, s3
	v_cndmask_b32_e64 v3, v3, v8, s3
	;; [unrolled: 1-line block ×3, first 2 shown]
	v_cmp_eq_u32_e64 s3, 7, v69
	v_cndmask_b32_e64 v4, v10, v8, s5
	v_cndmask_b32_e64 v5, v5, v12, s6
	;; [unrolled: 1-line block ×3, first 2 shown]
	v_cndmask_b32_e32 v2, v2, v16, vcc_lo
	v_cndmask_b32_e64 v7, v7, v12, s3
	v_cndmask_b32_e64 v3, v3, v16, s3
	;; [unrolled: 1-line block ×4, first 2 shown]
	v_cmp_gt_u32_e32 vcc_lo, 32, v0
	v_perm_b32 v4, v2, v1, 0x5040100
	v_perm_b32 v3, v3, v7, 0x5040100
	;; [unrolled: 1-line block ×4, first 2 shown]
	s_and_b32 s2, vcc_lo, s2
	ds_store_b128 v74, v[1:4]
	s_waitcnt lgkmcnt(0)
	s_barrier
	buffer_gl0_inv
	s_and_saveexec_b32 s3, s2
	s_cbranch_execz .LBB799_2
; %bb.15:
	s_load_b64 s[0:1], s[0:1], 0x68
	s_lshl_b32 s4, s35, 6
	v_or_b32_e32 v2, s31, v66
	s_mul_i32 s2, s4, s34
	v_lshlrev_b32_e32 v0, 10, v0
	s_mul_i32 s2, s2, s8
	v_lshlrev_b32_e32 v1, 4, v67
	s_ashr_i32 s3, s2, 31
	v_mul_lo_u32 v20, v2, s4
	s_lshl_b64 s[2:3], s[2:3], 1
	v_lshlrev_b32_e32 v3, 6, v66
	v_and_b32_e32 v0, 0x3800, v0
	s_delay_alu instid0(VALU_DEP_1) | instskip(NEXT) | instid1(VALU_DEP_4)
	v_or3_b32 v16, v0, v1, v3
	v_ashrrev_i32_e32 v21, 31, v20
	ds_load_b128 v[0:3], v16
	ds_load_b128 v[4:7], v16 offset:128
	s_waitcnt lgkmcnt(0)
	s_add_u32 s2, s0, s2
	s_addc_u32 s3, s1, s3
	s_lshl_b32 s0, s14, 6
	ds_load_b128 v[8:11], v16 offset:256
	ds_load_b128 v[12:15], v16 offset:384
	;; [unrolled: 1-line block ×3, first 2 shown]
	s_ashr_i32 s1, s0, 31
	s_delay_alu instid0(SALU_CYCLE_1) | instskip(NEXT) | instid1(SALU_CYCLE_1)
	s_lshl_b64 s[0:1], s[0:1], 1
	s_add_u32 s0, s2, s0
	s_addc_u32 s1, s3, s1
	s_lshl_b32 s2, s35, 7
	v_add_co_u32 v30, s0, s0, v65
	v_add_nc_u32_e32 v22, s2, v20
	v_lshlrev_b64 v[20:21], 1, v[20:21]
	v_add_co_ci_u32_e64 v31, null, s1, 0, s0
	s_delay_alu instid0(VALU_DEP_3) | instskip(SKIP_1) | instid1(VALU_DEP_4)
	v_add_nc_u32_e32 v24, s2, v22
	v_ashrrev_i32_e32 v23, 31, v22
	v_add_co_u32 v20, vcc_lo, v30, v20
	s_delay_alu instid0(VALU_DEP_4) | instskip(NEXT) | instid1(VALU_DEP_4)
	v_add_co_ci_u32_e32 v21, vcc_lo, v31, v21, vcc_lo
	v_add_nc_u32_e32 v26, s2, v24
	v_ashrrev_i32_e32 v25, 31, v24
	v_lshlrev_b64 v[22:23], 1, v[22:23]
	s_delay_alu instid0(VALU_DEP_3) | instskip(SKIP_1) | instid1(VALU_DEP_4)
	v_add_nc_u32_e32 v28, s2, v26
	v_ashrrev_i32_e32 v27, 31, v26
	v_lshlrev_b64 v[24:25], 1, v[24:25]
	s_delay_alu instid0(VALU_DEP_4) | instskip(NEXT) | instid1(VALU_DEP_4)
	v_add_co_u32 v22, vcc_lo, v30, v22
	v_ashrrev_i32_e32 v29, 31, v28
	s_delay_alu instid0(VALU_DEP_4) | instskip(SKIP_2) | instid1(VALU_DEP_4)
	v_lshlrev_b64 v[26:27], 1, v[26:27]
	v_add_co_ci_u32_e32 v23, vcc_lo, v31, v23, vcc_lo
	v_add_co_u32 v24, vcc_lo, v30, v24
	v_lshlrev_b64 v[28:29], 1, v[28:29]
	v_add_co_ci_u32_e32 v25, vcc_lo, v31, v25, vcc_lo
	v_add_co_u32 v26, vcc_lo, v30, v26
	v_add_co_ci_u32_e32 v27, vcc_lo, v31, v27, vcc_lo
	s_delay_alu instid0(VALU_DEP_4)
	v_add_co_u32 v28, vcc_lo, v30, v28
	v_add_co_ci_u32_e32 v29, vcc_lo, v31, v29, vcc_lo
	s_clause 0x1
	global_store_b128 v[20:21], v[0:3], off
	global_store_b128 v[22:23], v[4:7], off
	s_waitcnt lgkmcnt(2)
	global_store_b128 v[24:25], v[8:11], off
	s_waitcnt lgkmcnt(1)
	;; [unrolled: 2-line block ×3, first 2 shown]
	global_store_b128 v[28:29], v[16:19], off
	s_nop 0
	s_sendmsg sendmsg(MSG_DEALLOC_VGPRS)
	s_endpgm
	.section	.rodata,"a",@progbits
	.p2align	6, 0x0
	.amdhsa_kernel _Z39paged_attention_ll4mi_QKV_mfma16_kernelIDF16_hLN4vllm18Fp8KVCacheDataTypeE1EhLi16ELi64ELi256ELb0ELi10EL8MFMAType1EEvPKT_PKT0_S8_ifPKiSA_SA_iPKfiiiPfSD_PS3_PT2_iSC_SC_
		.amdhsa_group_segment_fixed_size 17472
		.amdhsa_private_segment_fixed_size 0
		.amdhsa_kernarg_size 400
		.amdhsa_user_sgpr_count 13
		.amdhsa_user_sgpr_dispatch_ptr 0
		.amdhsa_user_sgpr_queue_ptr 0
		.amdhsa_user_sgpr_kernarg_segment_ptr 1
		.amdhsa_user_sgpr_dispatch_id 0
		.amdhsa_user_sgpr_private_segment_size 0
		.amdhsa_wavefront_size32 1
		.amdhsa_uses_dynamic_stack 0
		.amdhsa_enable_private_segment 0
		.amdhsa_system_sgpr_workgroup_id_x 1
		.amdhsa_system_sgpr_workgroup_id_y 1
		.amdhsa_system_sgpr_workgroup_id_z 1
		.amdhsa_system_sgpr_workgroup_info 0
		.amdhsa_system_vgpr_workitem_id 0
		.amdhsa_next_free_vgpr 146
		.amdhsa_next_free_sgpr 36
		.amdhsa_reserve_vcc 1
		.amdhsa_float_round_mode_32 0
		.amdhsa_float_round_mode_16_64 0
		.amdhsa_float_denorm_mode_32 3
		.amdhsa_float_denorm_mode_16_64 3
		.amdhsa_dx10_clamp 1
		.amdhsa_ieee_mode 1
		.amdhsa_fp16_overflow 0
		.amdhsa_workgroup_processor_mode 1
		.amdhsa_memory_ordered 1
		.amdhsa_forward_progress 0
		.amdhsa_shared_vgpr_count 0
		.amdhsa_exception_fp_ieee_invalid_op 0
		.amdhsa_exception_fp_denorm_src 0
		.amdhsa_exception_fp_ieee_div_zero 0
		.amdhsa_exception_fp_ieee_overflow 0
		.amdhsa_exception_fp_ieee_underflow 0
		.amdhsa_exception_fp_ieee_inexact 0
		.amdhsa_exception_int_div_zero 0
	.end_amdhsa_kernel
	.section	.text._Z39paged_attention_ll4mi_QKV_mfma16_kernelIDF16_hLN4vllm18Fp8KVCacheDataTypeE1EhLi16ELi64ELi256ELb0ELi10EL8MFMAType1EEvPKT_PKT0_S8_ifPKiSA_SA_iPKfiiiPfSD_PS3_PT2_iSC_SC_,"axG",@progbits,_Z39paged_attention_ll4mi_QKV_mfma16_kernelIDF16_hLN4vllm18Fp8KVCacheDataTypeE1EhLi16ELi64ELi256ELb0ELi10EL8MFMAType1EEvPKT_PKT0_S8_ifPKiSA_SA_iPKfiiiPfSD_PS3_PT2_iSC_SC_,comdat
.Lfunc_end799:
	.size	_Z39paged_attention_ll4mi_QKV_mfma16_kernelIDF16_hLN4vllm18Fp8KVCacheDataTypeE1EhLi16ELi64ELi256ELb0ELi10EL8MFMAType1EEvPKT_PKT0_S8_ifPKiSA_SA_iPKfiiiPfSD_PS3_PT2_iSC_SC_, .Lfunc_end799-_Z39paged_attention_ll4mi_QKV_mfma16_kernelIDF16_hLN4vllm18Fp8KVCacheDataTypeE1EhLi16ELi64ELi256ELb0ELi10EL8MFMAType1EEvPKT_PKT0_S8_ifPKiSA_SA_iPKfiiiPfSD_PS3_PT2_iSC_SC_
                                        ; -- End function
	.section	.AMDGPU.csdata,"",@progbits
; Kernel info:
; codeLenInByte = 6540
; NumSgprs: 38
; NumVgprs: 146
; ScratchSize: 0
; MemoryBound: 0
; FloatMode: 240
; IeeeMode: 1
; LDSByteSize: 17472 bytes/workgroup (compile time only)
; SGPRBlocks: 4
; VGPRBlocks: 18
; NumSGPRsForWavesPerEU: 38
; NumVGPRsForWavesPerEU: 146
; Occupancy: 9
; WaveLimiterHint : 1
; COMPUTE_PGM_RSRC2:SCRATCH_EN: 0
; COMPUTE_PGM_RSRC2:USER_SGPR: 13
; COMPUTE_PGM_RSRC2:TRAP_HANDLER: 0
; COMPUTE_PGM_RSRC2:TGID_X_EN: 1
; COMPUTE_PGM_RSRC2:TGID_Y_EN: 1
; COMPUTE_PGM_RSRC2:TGID_Z_EN: 1
; COMPUTE_PGM_RSRC2:TIDIG_COMP_CNT: 0
	.section	.text._Z39paged_attention_ll4mi_QKV_mfma16_kernelIDF16_hLN4vllm18Fp8KVCacheDataTypeE1EhLi16ELi64ELi256ELb0ELi11EL8MFMAType1EEvPKT_PKT0_S8_ifPKiSA_SA_iPKfiiiPfSD_PS3_PT2_iSC_SC_,"axG",@progbits,_Z39paged_attention_ll4mi_QKV_mfma16_kernelIDF16_hLN4vllm18Fp8KVCacheDataTypeE1EhLi16ELi64ELi256ELb0ELi11EL8MFMAType1EEvPKT_PKT0_S8_ifPKiSA_SA_iPKfiiiPfSD_PS3_PT2_iSC_SC_,comdat
	.protected	_Z39paged_attention_ll4mi_QKV_mfma16_kernelIDF16_hLN4vllm18Fp8KVCacheDataTypeE1EhLi16ELi64ELi256ELb0ELi11EL8MFMAType1EEvPKT_PKT0_S8_ifPKiSA_SA_iPKfiiiPfSD_PS3_PT2_iSC_SC_ ; -- Begin function _Z39paged_attention_ll4mi_QKV_mfma16_kernelIDF16_hLN4vllm18Fp8KVCacheDataTypeE1EhLi16ELi64ELi256ELb0ELi11EL8MFMAType1EEvPKT_PKT0_S8_ifPKiSA_SA_iPKfiiiPfSD_PS3_PT2_iSC_SC_
	.globl	_Z39paged_attention_ll4mi_QKV_mfma16_kernelIDF16_hLN4vllm18Fp8KVCacheDataTypeE1EhLi16ELi64ELi256ELb0ELi11EL8MFMAType1EEvPKT_PKT0_S8_ifPKiSA_SA_iPKfiiiPfSD_PS3_PT2_iSC_SC_
	.p2align	8
	.type	_Z39paged_attention_ll4mi_QKV_mfma16_kernelIDF16_hLN4vllm18Fp8KVCacheDataTypeE1EhLi16ELi64ELi256ELb0ELi11EL8MFMAType1EEvPKT_PKT0_S8_ifPKiSA_SA_iPKfiiiPfSD_PS3_PT2_iSC_SC_,@function
_Z39paged_attention_ll4mi_QKV_mfma16_kernelIDF16_hLN4vllm18Fp8KVCacheDataTypeE1EhLi16ELi64ELi256ELb0ELi11EL8MFMAType1EEvPKT_PKT0_S8_ifPKiSA_SA_iPKfiiiPfSD_PS3_PT2_iSC_SC_: ; @_Z39paged_attention_ll4mi_QKV_mfma16_kernelIDF16_hLN4vllm18Fp8KVCacheDataTypeE1EhLi16ELi64ELi256ELb0ELi11EL8MFMAType1EEvPKT_PKT0_S8_ifPKiSA_SA_iPKfiiiPfSD_PS3_PT2_iSC_SC_
; %bb.0:
	s_load_b64 s[2:3], s[0:1], 0x30
	s_mov_b32 s34, s13
	s_waitcnt lgkmcnt(0)
	s_cmp_lg_u64 s[2:3], 0
	s_cselect_b32 s6, -1, 0
	s_ashr_i32 s35, s13, 31
	s_cmp_eq_u64 s[2:3], 0
	s_cbranch_scc1 .LBB800_3
; %bb.1:
	s_lshl_b64 s[4:5], s[34:35], 2
	s_delay_alu instid0(SALU_CYCLE_1) | instskip(SKIP_4) | instid1(SALU_CYCLE_1)
	s_add_u32 s4, s2, s4
	s_addc_u32 s5, s3, s5
	s_load_b64 s[4:5], s[4:5], 0x0
	s_waitcnt lgkmcnt(0)
	s_sub_i32 s4, s5, s4
	s_cmp_eq_u32 s4, 1
	s_cselect_b32 s4, -1, 0
	s_delay_alu instid0(SALU_CYCLE_1)
	s_and_not1_b32 vcc_lo, exec_lo, s4
	s_cbranch_vccz .LBB800_4
.LBB800_2:
	s_nop 0
	s_sendmsg sendmsg(MSG_DEALLOC_VGPRS)
	s_endpgm
.LBB800_3:
.LBB800_4:
	s_load_b64 s[8:9], s[0:1], 0x28
	s_lshl_b64 s[4:5], s[34:35], 2
	s_waitcnt lgkmcnt(0)
	s_add_u32 s8, s8, s4
	s_addc_u32 s9, s9, s5
	s_lshl_b32 s16, s14, 8
	s_load_b32 s18, s[8:9], 0x0
	s_waitcnt lgkmcnt(0)
	s_cmp_ge_i32 s16, s18
	s_cbranch_scc1 .LBB800_2
; %bb.5:
	s_clause 0x1
	s_load_b128 s[8:11], s[0:1], 0x8
	s_load_b64 s[12:13], s[0:1], 0x20
	s_and_not1_b32 vcc_lo, exec_lo, s6
	s_cbranch_vccnz .LBB800_7
; %bb.6:
	s_add_u32 s2, s2, s4
	s_addc_u32 s3, s3, s5
	s_load_b32 s3, s[2:3], 0x0
	s_branch .LBB800_8
.LBB800_7:
	s_mov_b32 s3, s34
.LBB800_8:
	s_load_b128 s[4:7], s[0:1], 0x48
	v_lshrrev_b32_e32 v69, 5, v0
	v_bfe_u32 v66, v0, 4, 1
	v_and_b32_e32 v68, 15, v0
	v_and_b32_e32 v70, 31, v0
	;; [unrolled: 1-line block ×3, first 2 shown]
	s_mul_i32 s33, s15, 11
	v_lshl_or_b32 v1, v69, 1, v66
	v_lshlrev_b32_e32 v2, 3, v68
	v_cmp_gt_u32_e64 s2, 8, v68
	s_delay_alu instid0(VALU_DEP_3) | instskip(NEXT) | instid1(VALU_DEP_3)
	v_cmp_gt_u32_e32 vcc_lo, 11, v1
	v_lshlrev_b32_e32 v65, 1, v2
	s_delay_alu instid0(VALU_DEP_3)
	s_and_b32 s17, s2, vcc_lo
	s_waitcnt lgkmcnt(0)
	s_and_saveexec_b32 s7, s17
	s_cbranch_execz .LBB800_10
; %bb.9:
	s_load_b64 s[20:21], s[0:1], 0x0
	v_add_lshl_u32 v2, v1, s33, 6
	s_mul_hi_i32 s23, s3, s4
	s_mul_i32 s22, s3, s4
	v_lshlrev_b32_e32 v6, 10, v68
	s_lshl_b64 s[22:23], s[22:23], 1
	v_ashrrev_i32_e32 v3, 31, v2
	v_lshlrev_b32_e32 v1, 6, v1
	v_lshlrev_b32_e32 v7, 10, v67
	v_and_b32_e32 v6, 0x3800, v6
	s_delay_alu instid0(VALU_DEP_4) | instskip(NEXT) | instid1(VALU_DEP_2)
	v_lshlrev_b64 v[2:3], 1, v[2:3]
	v_or3_b32 v1, v6, v7, v1
	s_waitcnt lgkmcnt(0)
	s_add_u32 s3, s20, s22
	s_addc_u32 s4, s21, s23
	s_delay_alu instid0(VALU_DEP_2) | instskip(SKIP_1) | instid1(VALU_DEP_2)
	v_add_co_u32 v2, vcc_lo, s3, v2
	v_add_co_ci_u32_e32 v3, vcc_lo, s4, v3, vcc_lo
	v_add_co_u32 v2, vcc_lo, v2, v65
	s_delay_alu instid0(VALU_DEP_2)
	v_add_co_ci_u32_e32 v3, vcc_lo, 0, v3, vcc_lo
	global_load_b128 v[2:5], v[2:3], off
	s_waitcnt vmcnt(0)
	ds_store_b128 v1, v[2:5]
.LBB800_10:
	s_or_b32 exec_lo, exec_lo, s7
	v_and_b32_e32 v1, 0xef, v0
	s_add_i32 s3, s18, 15
	s_clause 0x1
	s_load_b32 s4, s[0:1], 0x38
	s_load_b32 s35, s[0:1], 0x98
	s_ashr_i32 s7, s3, 31
	v_add_nc_u32_e32 v1, s16, v1
	s_lshr_b32 s7, s7, 28
	s_load_b32 s19, s[0:1], 0x1c
	v_add_nc_u32_e32 v103, -11, v68
	s_add_i32 s3, s3, s7
	v_ashrrev_i32_e32 v2, 31, v1
	v_or_b32_e32 v3, 16, v1
	s_ashr_i32 s3, s3, 4
	v_cmp_gt_i32_e32 vcc_lo, s18, v1
	s_add_i32 s3, s3, -1
	v_lshrrev_b32_e32 v2, 28, v2
	s_waitcnt lgkmcnt(0)
	s_barrier
	buffer_gl0_inv
	s_mul_i32 s15, s15, s6
	v_add_nc_u32_e32 v4, v1, v2
	v_mbcnt_lo_u32_b32 v127, -1, 0
	s_mul_i32 s20, s34, s4
	s_delay_alu instid0(SALU_CYCLE_1) | instskip(NEXT) | instid1(VALU_DEP_2)
	s_ashr_i32 s21, s20, 31
	v_ashrrev_i32_e32 v4, 4, v4
	v_add_nc_u32_e32 v2, v3, v2
	s_lshl_b64 s[20:21], s[20:21], 2
	v_xor_b32_e32 v128, 16, v127
	s_add_u32 s17, s12, s20
	v_cndmask_b32_e32 v1, s3, v4, vcc_lo
	v_ashrrev_i32_e32 v2, 4, v2
	v_cmp_gt_i32_e32 vcc_lo, s18, v3
	s_addc_u32 s13, s13, s21
	s_ashr_i32 s20, s15, 31
	s_add_u32 s4, s8, s15
	s_addc_u32 s12, s9, s20
	v_cndmask_b32_e32 v3, s3, v2, vcc_lo
	v_ashrrev_i32_e32 v2, 31, v1
	s_lshl_b32 s6, s14, 4
	s_delay_alu instid0(SALU_CYCLE_1) | instskip(NEXT) | instid1(VALU_DEP_2)
	s_ashr_i32 s7, s6, 31
	v_ashrrev_i32_e32 v4, 31, v3
	s_delay_alu instid0(VALU_DEP_2) | instskip(SKIP_1) | instid1(SALU_CYCLE_1)
	v_lshlrev_b64 v[1:2], 2, v[1:2]
	s_lshl_b64 s[6:7], s[6:7], 2
	s_add_u32 s6, s17, s6
	s_delay_alu instid0(VALU_DEP_2) | instskip(SKIP_1) | instid1(VALU_DEP_2)
	v_lshlrev_b64 v[3:4], 2, v[3:4]
	s_addc_u32 s7, s13, s7
	v_add_co_u32 v1, vcc_lo, s17, v1
	v_add_co_ci_u32_e32 v2, vcc_lo, s13, v2, vcc_lo
	s_delay_alu instid0(VALU_DEP_3) | instskip(NEXT) | instid1(VALU_DEP_4)
	v_add_co_u32 v3, vcc_lo, s17, v3
	v_add_co_ci_u32_e32 v4, vcc_lo, s13, v4, vcc_lo
	s_clause 0x1
	global_load_b32 v5, v[1:2], off
	global_load_b32 v7, v[3:4], off
	s_or_b32 s8, s16, 32
	v_lshlrev_b32_e32 v1, 4, v0
	s_ashr_i32 s9, s8, 4
	s_cmp_lt_i32 s8, s18
	v_cmp_gt_u32_e32 vcc_lo, 11, v68
	s_cselect_b32 s8, s9, s3
	v_and_b32_e32 v1, 0xf0, v1
	s_ashr_i32 s9, s8, 31
	s_delay_alu instid0(SALU_CYCLE_1)
	s_lshl_b64 s[8:9], s[8:9], 2
	v_cndmask_b32_e32 v103, v103, v68, vcc_lo
	s_add_u32 s8, s17, s8
	s_addc_u32 s9, s13, s9
	s_or_b32 s21, s16, 64
	v_add_co_u32 v1, s4, s4, v1
	s_ashr_i32 s22, s21, 4
	s_cmp_lt_i32 s21, s18
	v_add_co_ci_u32_e64 v2, null, s12, 0, s4
	s_cselect_b32 s22, s22, s3
	v_cmp_gt_i32_e32 vcc_lo, 32, v128
	s_ashr_i32 s23, s22, 31
	v_lshlrev_b32_e32 v115, 6, v103
	s_lshl_b64 s[22:23], s[22:23], 2
	v_cndmask_b32_e32 v136, v127, v128, vcc_lo
	s_add_u32 s22, s17, s22
	s_addc_u32 s23, s13, s23
	s_or_b32 s21, s16, 0x60
	s_delay_alu instid0(SALU_CYCLE_1) | instskip(SKIP_2) | instid1(SALU_CYCLE_1)
	s_ashr_i32 s24, s21, 4
	s_cmp_lt_i32 s21, s18
	s_cselect_b32 s24, s24, s3
	s_ashr_i32 s25, s24, 31
	s_delay_alu instid0(SALU_CYCLE_1) | instskip(NEXT) | instid1(SALU_CYCLE_1)
	s_lshl_b64 s[24:25], s[24:25], 2
	s_add_u32 s24, s17, s24
	s_addc_u32 s25, s13, s25
	s_or_b32 s21, s16, 0x80
	s_delay_alu instid0(SALU_CYCLE_1) | instskip(SKIP_2) | instid1(SALU_CYCLE_1)
	s_ashr_i32 s26, s21, 4
	s_cmp_lt_i32 s21, s18
	s_cselect_b32 s26, s26, s3
	s_ashr_i32 s27, s26, 31
	s_delay_alu instid0(SALU_CYCLE_1) | instskip(NEXT) | instid1(SALU_CYCLE_1)
	s_lshl_b64 s[26:27], s[26:27], 2
	;; [unrolled: 10-line block ×3, first 2 shown]
	s_add_u32 s28, s17, s28
	s_addc_u32 s29, s13, s29
	s_clause 0x5
	s_load_b32 s12, s[6:7], 0x0
	s_load_b32 s4, s[8:9], 0x0
	;; [unrolled: 1-line block ×6, first 2 shown]
	s_or_b32 s21, s16, 0xc0
	s_delay_alu instid0(SALU_CYCLE_1) | instskip(SKIP_2) | instid1(SALU_CYCLE_1)
	s_ashr_i32 s22, s21, 4
	s_cmp_lt_i32 s21, s18
	s_cselect_b32 s22, s22, s3
	s_ashr_i32 s23, s22, 31
	s_delay_alu instid0(SALU_CYCLE_1) | instskip(NEXT) | instid1(SALU_CYCLE_1)
	s_lshl_b64 s[22:23], s[22:23], 2
	s_add_u32 s22, s17, s22
	s_addc_u32 s23, s13, s23
	s_or_b32 s21, s16, 0xe0
	s_delay_alu instid0(SALU_CYCLE_1) | instskip(SKIP_2) | instid1(SALU_CYCLE_1)
	s_ashr_i32 s24, s21, 4
	s_cmp_lt_i32 s21, s18
	s_cselect_b32 s24, s24, s3
	s_ashr_i32 s25, s24, 31
	s_delay_alu instid0(SALU_CYCLE_1)
	s_lshl_b64 s[24:25], s[24:25], 2
	s_waitcnt vmcnt(1)
	v_mad_i64_i32 v[3:4], null, v5, s5, v[1:2]
	s_waitcnt vmcnt(0)
	v_mad_i64_i32 v[5:6], null, v7, s5, v[1:2]
	v_lshlrev_b32_e32 v1, 4, v68
	s_clause 0x7
	global_load_b128 v[71:74], v[3:4], off
	global_load_b128 v[75:78], v[3:4], off offset:256
	global_load_b128 v[79:82], v[5:6], off
	global_load_b128 v[83:86], v[5:6], off offset:256
	global_load_b128 v[87:90], v[3:4], off offset:512
	;; [unrolled: 1-line block ×5, first 2 shown]
	v_lshl_or_b32 v1, v69, 8, v1
	s_load_b32 s3, s[22:23], 0x0
	s_add_u32 s22, s17, s24
	s_addc_u32 s23, s13, s25
	s_add_u32 s10, s10, s15
	s_addc_u32 s11, s11, s20
	v_add_co_u32 v1, s10, s10, v1
	s_delay_alu instid0(VALU_DEP_1) | instskip(SKIP_2) | instid1(VALU_DEP_1)
	v_add_co_ci_u32_e64 v2, null, s11, 0, s10
	s_load_b32 s10, s[22:23], 0x0
	s_waitcnt lgkmcnt(0)
	v_mad_i64_i32 v[3:4], null, s12, s5, v[1:2]
	v_mad_i64_i32 v[9:10], null, s7, s5, v[1:2]
	;; [unrolled: 1-line block ×7, first 2 shown]
	s_clause 0x5
	global_load_b128 v[49:52], v[3:4], off
	global_load_b128 v[53:56], v[3:4], off offset:16
	global_load_b128 v[41:44], v[5:6], off
	global_load_b128 v[45:48], v[5:6], off offset:16
	;; [unrolled: 2-line block ×3, first 2 shown]
	s_mov_b32 s4, 0
	v_mad_i64_i32 v[61:62], null, s10, s5, v[1:2]
	s_clause 0x9
	global_load_b128 v[1:4], v[9:10], off
	global_load_b128 v[5:8], v[9:10], off offset:16
	global_load_b128 v[9:12], v[13:14], off
	global_load_b128 v[13:16], v[13:14], off offset:16
	;; [unrolled: 2-line block ×5, first 2 shown]
	s_mov_b32 s5, s4
	s_mov_b32 s6, s4
	;; [unrolled: 1-line block ×7, first 2 shown]
	v_and_b32_e32 v104, 0xe0, v0
	v_dual_mov_b32 v126, s11 :: v_dual_mov_b32 v125, s10
	v_dual_mov_b32 v124, s9 :: v_dual_mov_b32 v123, s8
	s_delay_alu instid0(VALU_DEP_3)
	v_add_nc_u32_e32 v111, s16, v104
	ds_load_b128 v[103:106], v115
	ds_load_b128 v[107:110], v115 offset:1024
	v_dual_mov_b32 v122, s7 :: v_dual_mov_b32 v121, s6
	v_mov_b32_e32 v120, s5
	v_or_b32_e32 v135, v111, v66
	ds_load_b128 v[111:114], v115 offset:2048
	ds_load_b128 v[115:118], v115 offset:3072
	v_mov_b32_e32 v119, s4
	s_waitcnt vmcnt(0) lgkmcnt(0)
	s_barrier
	v_or_b32_e32 v137, 2, v135
	v_or_b32_e32 v138, 4, v135
	;; [unrolled: 1-line block ×3, first 2 shown]
	v_cmp_gt_i32_e32 vcc_lo, s18, v135
	v_or_b32_e32 v140, 8, v135
	v_cmp_gt_i32_e64 s3, s18, v137
	v_or_b32_e32 v141, 10, v135
	v_cmp_gt_i32_e64 s4, s18, v138
	v_cmp_gt_i32_e64 s5, s18, v139
	v_or_b32_e32 v142, 12, v135
	v_or_b32_e32 v143, 14, v135
	v_cmp_gt_i32_e64 s6, s18, v140
	v_cmp_gt_i32_e64 s7, s18, v141
	v_or_b32_e32 v144, 16, v135
	v_or_b32_e32 v145, 18, v135
	v_cmp_gt_i32_e64 s8, s18, v142
	v_cmp_gt_i32_e64 s9, s18, v143
	buffer_gl0_inv
	v_cmp_gt_i32_e64 s10, s18, v144
	v_cmp_gt_i32_e64 s11, s18, v145
	v_wmma_f32_16x16x16_f16 v[127:134], v[71:78], v[103:110], v[119:126]
	v_wmma_f32_16x16x16_f16 v[119:126], v[79:86], v[103:110], v[119:126]
	v_or_b32_e32 v71, 20, v135
	v_or_b32_e32 v72, 22, v135
	s_delay_alu instid0(VALU_DEP_4)
	v_wmma_f32_16x16x16_f16 v[127:134], v[87:94], v[111:118], v[127:134]
	v_or_b32_e32 v73, 24, v135
	v_wmma_f32_16x16x16_f16 v[119:126], v[95:102], v[111:118], v[119:126]
	v_or_b32_e32 v74, 26, v135
	v_cmp_gt_i32_e64 s12, s18, v71
	v_dual_mul_f32 v83, s19, v128 :: v_dual_mul_f32 v84, s19, v127
	v_dual_mul_f32 v81, s19, v130 :: v_dual_mul_f32 v82, s19, v129
	;; [unrolled: 1-line block ×3, first 2 shown]
	s_delay_alu instid0(VALU_DEP_3) | instskip(NEXT) | instid1(VALU_DEP_4)
	v_cndmask_b32_e32 v84, 0xff7fffff, v84, vcc_lo
	v_cndmask_b32_e64 v83, 0xff7fffff, v83, s3
	v_mul_f32_e32 v80, s19, v131
	v_cndmask_b32_e64 v82, 0xff7fffff, v82, s4
	v_cndmask_b32_e64 v81, 0xff7fffff, v81, s5
	v_dual_mul_f32 v77, s19, v134 :: v_dual_mul_f32 v90, s19, v121
	v_max3_f32 v83, v84, 0xff7fffff, v83
	v_mul_f32_e32 v78, s19, v133
	v_cndmask_b32_e64 v80, 0xff7fffff, v80, s6
	v_cndmask_b32_e64 v79, 0xff7fffff, v79, s7
	v_mul_f32_e32 v91, s19, v120
	v_max3_f32 v81, v83, v82, v81
	v_cndmask_b32_e64 v78, 0xff7fffff, v78, s8
	v_cndmask_b32_e64 v77, 0xff7fffff, v77, s9
	v_mul_f32_e32 v89, s19, v122
	v_cmp_gt_i32_e64 s13, s18, v72
	v_max3_f32 v79, v81, v80, v79
	v_cndmask_b32_e64 v80, 0xff7fffff, v92, s10
	v_cndmask_b32_e64 v81, 0xff7fffff, v91, s11
	v_or_b32_e32 v75, 28, v135
	v_or_b32_e32 v76, 30, v135
	v_max3_f32 v77, v79, v78, v77
	v_dual_mul_f32 v87, s19, v124 :: v_dual_mul_f32 v88, s19, v123
	v_cndmask_b32_e64 v71, 0xff7fffff, v90, s12
	v_cndmask_b32_e64 v72, 0xff7fffff, v89, s13
	s_delay_alu instid0(VALU_DEP_4) | instskip(SKIP_3) | instid1(VALU_DEP_4)
	v_max3_f32 v77, v77, v80, v81
	v_cmp_gt_i32_e64 s15, s18, v73
	v_cmp_gt_i32_e64 s16, s18, v74
	v_dual_mul_f32 v85, s19, v126 :: v_dual_mul_f32 v86, s19, v125
	v_max3_f32 v71, v77, v71, v72
	s_delay_alu instid0(VALU_DEP_4) | instskip(NEXT) | instid1(VALU_DEP_4)
	v_cndmask_b32_e64 v73, 0xff7fffff, v88, s15
	v_cndmask_b32_e64 v74, 0xff7fffff, v87, s16
	v_cmp_gt_i32_e64 s17, s18, v75
	v_cmp_gt_i32_e64 s18, s18, v76
	s_delay_alu instid0(VALU_DEP_3) | instskip(NEXT) | instid1(VALU_DEP_3)
	v_max3_f32 v71, v71, v73, v74
	v_cndmask_b32_e64 v72, 0xff7fffff, v86, s17
	s_delay_alu instid0(VALU_DEP_3) | instskip(SKIP_1) | instid1(VALU_DEP_2)
	v_cndmask_b32_e64 v75, 0xff7fffff, v85, s18
	v_lshlrev_b32_e32 v73, 2, v136
	v_max3_f32 v71, v71, v72, v75
	ds_bpermute_b32 v72, v73, v71
	s_waitcnt lgkmcnt(0)
	v_max_f32_e32 v72, v72, v72
	s_delay_alu instid0(VALU_DEP_1) | instskip(NEXT) | instid1(VALU_DEP_1)
	v_max_f32_e32 v71, v71, v72
	v_fma_f32 v72, s19, v127, -v71
	v_fma_f32 v74, s19, v128, -v71
	;; [unrolled: 1-line block ×5, first 2 shown]
	v_mul_f32_e32 v72, 0x3fb8aa3b, v72
	s_delay_alu instid0(VALU_DEP_4) | instskip(NEXT) | instid1(VALU_DEP_4)
	v_dual_mul_f32 v74, 0x3fb8aa3b, v74 :: v_dual_mul_f32 v75, 0x3fb8aa3b, v75
	v_mul_f32_e32 v76, 0x3fb8aa3b, v76
	s_delay_alu instid0(VALU_DEP_4) | instskip(NEXT) | instid1(VALU_DEP_4)
	v_mul_f32_e32 v82, 0x3fb8aa3b, v80
	v_exp_f32_e32 v72, v72
	s_delay_alu instid0(VALU_DEP_3)
	v_exp_f32_e32 v74, v74
	v_exp_f32_e32 v75, v75
	;; [unrolled: 1-line block ×3, first 2 shown]
	v_fma_f32 v77, s19, v131, -v71
	v_exp_f32_e32 v84, v82
	v_cndmask_b32_e32 v79, 0, v72, vcc_lo
	v_cndmask_b32_e64 v78, 0, v74, s3
	s_delay_alu instid0(TRANS32_DEP_3) | instskip(SKIP_1) | instid1(TRANS32_DEP_2)
	v_cndmask_b32_e64 v81, 0, v75, s4
	v_fma_f32 v72, s19, v132, -v71
	v_cndmask_b32_e64 v80, 0, v76, s5
	v_add_f32_e32 v74, 0, v79
	s_delay_alu instid0(TRANS32_DEP_1) | instskip(SKIP_2) | instid1(VALU_DEP_4)
	v_cndmask_b32_e64 v85, 0, v84, s8
	v_cmp_gt_u32_e64 s3, 16, v70
	v_mul_f32_e32 v72, 0x3fb8aa3b, v72
	v_add_f32_e32 v74, v74, v78
	s_delay_alu instid0(VALU_DEP_2) | instskip(NEXT) | instid1(VALU_DEP_1)
	v_exp_f32_e32 v72, v72
	v_add_f32_e32 v74, v74, v81
	s_delay_alu instid0(VALU_DEP_1) | instskip(NEXT) | instid1(VALU_DEP_1)
	v_dual_mul_f32 v77, 0x3fb8aa3b, v77 :: v_dual_add_f32 v74, v74, v80
	v_exp_f32_e32 v77, v77
	s_waitcnt_depctr 0xfff
	v_cndmask_b32_e64 v82, 0, v72, s7
	v_cndmask_b32_e64 v83, 0, v77, s6
	s_delay_alu instid0(VALU_DEP_1) | instskip(SKIP_4) | instid1(VALU_DEP_4)
	v_add_f32_e32 v72, v74, v83
	v_fma_f32 v75, s19, v134, -v71
	v_fma_f32 v76, s19, v119, -v71
	;; [unrolled: 1-line block ×4, first 2 shown]
	v_dual_add_f32 v72, v72, v82 :: v_dual_mul_f32 v75, 0x3fb8aa3b, v75
	s_delay_alu instid0(VALU_DEP_3) | instskip(NEXT) | instid1(VALU_DEP_3)
	v_dual_mul_f32 v76, 0x3fb8aa3b, v76 :: v_dual_mul_f32 v77, 0x3fb8aa3b, v77
	v_mul_f32_e32 v74, 0x3fb8aa3b, v74
	v_fma_f32 v86, s19, v122, -v71
	s_delay_alu instid0(VALU_DEP_4) | instskip(NEXT) | instid1(VALU_DEP_3)
	v_exp_f32_e32 v75, v75
	v_exp_f32_e32 v76, v76
	;; [unrolled: 1-line block ×4, first 2 shown]
	v_mul_f32_e32 v86, 0x3fb8aa3b, v86
	s_delay_alu instid0(VALU_DEP_1)
	v_exp_f32_e32 v88, v86
	v_cndmask_b32_e64 v84, 0, v75, s9
	v_fma_f32 v75, s19, v123, -v71
	v_add_f32_e32 v72, v72, v85
	v_cndmask_b32_e64 v87, 0, v76, s10
	v_fma_f32 v76, s19, v124, -v71
	s_delay_alu instid0(TRANS32_DEP_3) | instskip(NEXT) | instid1(VALU_DEP_4)
	v_cndmask_b32_e64 v86, 0, v77, s11
	v_dual_mul_f32 v75, 0x3fb8aa3b, v75 :: v_dual_add_f32 v72, v72, v84
	v_fma_f32 v77, s19, v125, -v71
	s_delay_alu instid0(VALU_DEP_4) | instskip(SKIP_1) | instid1(VALU_DEP_4)
	v_mul_f32_e32 v76, 0x3fb8aa3b, v76
	v_cndmask_b32_e64 v89, 0, v74, s12
	v_exp_f32_e32 v75, v75
	v_add_f32_e32 v72, v72, v87
	v_mul_f32_e32 v74, 0x3fb8aa3b, v77
	v_exp_f32_e32 v76, v76
	v_cndmask_b32_e64 v88, 0, v88, s13
	v_fma_f32 v77, s19, v126, -v71
	v_add_f32_e32 v72, v72, v86
	v_exp_f32_e32 v74, v74
	s_delay_alu instid0(TRANS32_DEP_3) | instskip(NEXT) | instid1(VALU_DEP_2)
	v_cndmask_b32_e64 v91, 0, v75, s15
	v_add_f32_e32 v72, v72, v89
	v_mul_f32_e32 v75, 0x3fb8aa3b, v77
	s_delay_alu instid0(TRANS32_DEP_2) | instskip(NEXT) | instid1(VALU_DEP_3)
	v_cndmask_b32_e64 v90, 0, v76, s16
	v_add_f32_e32 v72, v72, v88
	s_delay_alu instid0(VALU_DEP_3) | instskip(NEXT) | instid1(TRANS32_DEP_2)
	v_exp_f32_e32 v75, v75
	v_cndmask_b32_e64 v93, 0, v74, s17
	s_delay_alu instid0(VALU_DEP_2) | instskip(NEXT) | instid1(VALU_DEP_1)
	v_add_f32_e32 v72, v72, v91
	v_add_f32_e32 v72, v72, v90
	s_waitcnt_depctr 0xfff
	v_cndmask_b32_e64 v92, 0, v75, s18
	v_add_f32_e32 v72, v72, v93
	s_delay_alu instid0(VALU_DEP_1)
	v_add_f32_e32 v72, v72, v92
	ds_bpermute_b32 v73, v73, v72
	s_and_saveexec_b32 s4, s3
	s_cbranch_execz .LBB800_12
; %bb.11:
	v_mul_u32_u24_e32 v70, 0x44, v69
	s_waitcnt lgkmcnt(0)
	v_add_f32_e32 v72, v72, v73
	s_delay_alu instid0(VALU_DEP_2) | instskip(NEXT) | instid1(VALU_DEP_1)
	v_lshl_add_u32 v70, v68, 2, v70
	v_add_nc_u32_e32 v70, 0x4000, v70
	ds_store_2addr_b32 v70, v71, v72 offset1:136
.LBB800_12:
	s_or_b32 exec_lo, exec_lo, s4
	v_lshlrev_b32_e32 v70, 2, v68
	s_load_b32 s36, s[0:1], 0x94
	s_waitcnt lgkmcnt(0)
	s_barrier
	buffer_gl0_inv
	v_add_nc_u32_e32 v98, 0x4000, v70
	v_cmp_eq_u32_e32 vcc_lo, 1, v69
	v_cmp_eq_u32_e64 s4, 2, v69
	v_cmp_eq_u32_e64 s5, 3, v69
	;; [unrolled: 1-line block ×3, first 2 shown]
	ds_load_2addr_b32 v[70:71], v98 offset1:17
	ds_load_2addr_b32 v[72:73], v98 offset0:34 offset1:51
	ds_load_2addr_b32 v[74:75], v98 offset0:68 offset1:85
	;; [unrolled: 1-line block ×3, first 2 shown]
	v_cmp_eq_u32_e64 s7, 5, v69
	v_cmp_eq_u32_e64 s8, 7, v69
	s_waitcnt lgkmcnt(3)
	v_max3_f32 v76, v70, 0xff7fffff, v71
	s_waitcnt lgkmcnt(2)
	s_delay_alu instid0(VALU_DEP_1) | instskip(SKIP_1) | instid1(VALU_DEP_1)
	v_max3_f32 v76, v76, v72, v73
	s_waitcnt lgkmcnt(1)
	v_max3_f32 v76, v76, v74, v75
	s_waitcnt lgkmcnt(0)
	s_delay_alu instid0(VALU_DEP_1) | instskip(NEXT) | instid1(VALU_DEP_1)
	v_max3_f32 v76, v76, v94, v95
	v_sub_f32_e32 v77, v71, v76
	ds_load_2addr_b32 v[96:97], v98 offset0:136 offset1:153
	v_sub_f32_e32 v74, v74, v76
	v_sub_f32_e32 v70, v70, v76
	;; [unrolled: 1-line block ×3, first 2 shown]
	v_dual_sub_f32 v72, v72, v76 :: v_dual_mul_f32 v77, 0x3fb8aa3b, v77
	s_delay_alu instid0(VALU_DEP_4) | instskip(NEXT) | instid1(VALU_DEP_4)
	v_mul_f32_e32 v103, 0x3fb8aa3b, v74
	v_mul_f32_e32 v99, 0x3fb8aa3b, v70
	ds_load_2addr_b32 v[70:71], v98 offset0:170 offset1:187
	v_dual_mul_f32 v101, 0x3fb8aa3b, v72 :: v_dual_mul_f32 v94, 0x3fb8aa3b, v94
	v_exp_f32_e32 v102, v77
	v_exp_f32_e32 v99, v99
	s_delay_alu instid0(VALU_DEP_1) | instskip(NEXT) | instid1(VALU_DEP_1)
	v_exp_f32_e32 v101, v101
	v_exp_f32_e32 v94, v94
	s_waitcnt lgkmcnt(1)
	s_delay_alu instid0(TRANS32_DEP_3)
	v_fma_f32 v77, v99, v96, 0
	v_sub_f32_e32 v100, v73, v76
	ds_load_2addr_b32 v[72:73], v98 offset0:204 offset1:221
	v_fmac_f32_e32 v77, v102, v97
	v_exp_f32_e32 v97, v103
	s_waitcnt lgkmcnt(1)
	s_delay_alu instid0(VALU_DEP_1)
	v_dual_fmac_f32 v77, v101, v70 :: v_dual_sub_f32 v96, v75, v76
	ds_load_2addr_b32 v[74:75], v98 offset0:238 offset1:255
	v_sub_f32_e32 v70, v95, v76
	s_waitcnt lgkmcnt(0)
	s_barrier
	v_mul_f32_e32 v96, 0x3fb8aa3b, v96
	buffer_gl0_inv
	v_exp_f32_e32 v95, v96
	v_mul_f32_e32 v100, 0x3fb8aa3b, v100
	s_delay_alu instid0(VALU_DEP_1) | instskip(SKIP_3) | instid1(VALU_DEP_2)
	v_exp_f32_e32 v100, v100
	s_waitcnt_depctr 0xfff
	v_dual_fmac_f32 v77, v100, v71 :: v_dual_mul_f32 v70, 0x3fb8aa3b, v70
	v_cndmask_b32_e32 v71, v99, v102, vcc_lo
	v_fmac_f32_e32 v77, v97, v72
	s_delay_alu instid0(VALU_DEP_3) | instskip(NEXT) | instid1(VALU_DEP_1)
	v_exp_f32_e32 v96, v70
	v_fmac_f32_e32 v77, v95, v73
	s_delay_alu instid0(VALU_DEP_1) | instskip(SKIP_2) | instid1(VALU_DEP_1)
	v_fmac_f32_e32 v77, v94, v74
	s_waitcnt_depctr 0xfff
	v_fmac_f32_e32 v77, v96, v75
	v_add_f32_e32 v74, 0x358637bd, v77
	s_delay_alu instid0(VALU_DEP_1) | instskip(SKIP_1) | instid1(VALU_DEP_2)
	v_div_scale_f32 v98, null, v74, v74, 1.0
	v_div_scale_f32 v99, vcc_lo, 1.0, v74, 1.0
	v_rcp_f32_e32 v103, v98
	s_waitcnt_depctr 0xfff
	v_fma_f32 v70, -v98, v103, 1.0
	s_delay_alu instid0(VALU_DEP_1) | instskip(SKIP_2) | instid1(VALU_DEP_2)
	v_fmac_f32_e32 v103, v70, v103
	v_cndmask_b32_e64 v70, v71, v101, s4
	v_cmp_eq_u32_e64 s4, 6, v69
	v_cndmask_b32_e64 v71, v70, v100, s5
	s_delay_alu instid0(VALU_DEP_4) | instskip(NEXT) | instid1(VALU_DEP_2)
	v_dual_mul_f32 v101, v99, v103 :: v_dual_lshlrev_b32 v70, 2, v66
	v_cndmask_b32_e64 v71, v71, v97, s6
	s_delay_alu instid0(VALU_DEP_2) | instskip(NEXT) | instid1(VALU_DEP_3)
	v_or_b32_e32 v72, 1, v70
	v_fma_f32 v100, -v98, v101, v99
	v_cmp_eq_u32_e64 s5, 1, v70
	v_cmp_eq_u32_e64 s6, 2, v70
	v_cndmask_b32_e64 v95, v71, v95, s7
	v_or_b32_e32 v71, 3, v70
	v_fmac_f32_e32 v101, v100, v103
	v_cmp_eq_u32_e64 s10, 1, v72
	v_cmp_eq_u32_e64 s13, 2, v72
	v_cndmask_b32_e64 v94, v95, v94, s4
	v_cmp_eq_u32_e64 s12, 1, v71
	v_fma_f32 v97, -v98, v101, v99
	v_cmp_eq_u32_e64 s17, 2, v71
	v_cmp_eq_u32_e64 s15, 3, v72
	v_cndmask_b32_e64 v94, v94, v96, s8
	v_cmp_eq_u32_e64 s19, 3, v71
	v_div_fmas_f32 v95, v97, v103, v101
	v_cmp_eq_u32_e32 vcc_lo, 3, v70
	v_cmp_eq_u32_e64 s4, 4, v70
	v_cmp_eq_u32_e64 s20, 4, v72
	;; [unrolled: 1-line block ×3, first 2 shown]
	v_div_fixup_f32 v95, v95, v74, 1.0
	v_lshlrev_b32_e32 v73, 6, v68
	v_cmp_eq_u32_e64 s7, 5, v70
	v_cmp_eq_u32_e64 s21, 5, v72
	;; [unrolled: 1-line block ×3, first 2 shown]
	v_mul_f32_e32 v102, v94, v95
	v_lshl_or_b32 v75, v69, 11, v73
	v_or_b32_e32 v69, 2, v70
	v_cmp_eq_u32_e64 s26, 6, v72
	v_cmp_eq_u32_e64 s28, 6, v71
	v_fma_mixlo_f16 v94, v102, v79, 0
	v_fma_mixlo_f16 v95, v102, v81, 0
	;; [unrolled: 1-line block ×8, first 2 shown]
	v_lshl_or_b32 v74, v66, 4, v75
	v_fma_mixhi_f16 v94, v102, v78, 0
	v_fma_mixhi_f16 v95, v102, v80, 0
	;; [unrolled: 1-line block ×8, first 2 shown]
	ds_store_b128 v74, v[94:97]
	ds_store_b128 v74, v[98:101] offset:1024
	s_waitcnt lgkmcnt(0)
	s_barrier
	buffer_gl0_inv
	ds_load_b128 v[78:81], v75
	ds_load_b128 v[82:85], v75 offset:16
	ds_load_b128 v[86:89], v75 offset:1024
	;; [unrolled: 1-line block ×3, first 2 shown]
	v_cmp_eq_u32_e64 s11, 1, v69
	v_cmp_eq_u32_e64 s16, 2, v69
	;; [unrolled: 1-line block ×11, first 2 shown]
	s_waitcnt lgkmcnt(3)
	v_lshrrev_b32_e32 v94, 16, v78
	s_waitcnt lgkmcnt(2)
	v_lshrrev_b32_e32 v98, 16, v82
	;; [unrolled: 2-line block ×4, first 2 shown]
	v_lshrrev_b32_e32 v95, 16, v79
	v_cndmask_b32_e64 v110, v78, v94, s5
	v_cndmask_b32_e64 v111, v82, v98, s5
	;; [unrolled: 1-line block ×8, first 2 shown]
	v_lshrrev_b32_e32 v99, 16, v83
	v_cndmask_b32_e64 v94, v86, v102, s5
	v_cndmask_b32_e64 v98, v90, v106, s5
	v_cndmask_b32_e64 v116, v86, v102, s10
	v_cndmask_b32_e64 v117, v90, v106, s10
	v_cndmask_b32_e64 v118, v86, v102, s11
	v_cndmask_b32_e64 v119, v90, v106, s11
	v_cndmask_b32_e64 v86, v86, v102, s12
	v_cndmask_b32_e64 v90, v90, v106, s12
	v_cndmask_b32_e64 v102, v110, v79, s6
	v_cndmask_b32_e64 v106, v111, v83, s6
	v_cndmask_b32_e64 v110, v112, v79, s13
	v_cndmask_b32_e64 v111, v113, v83, s13
	v_cndmask_b32_e64 v112, v114, v79, s16
	v_cndmask_b32_e64 v78, v78, v79, s17
	v_cndmask_b32_e64 v79, v82, v83, s17
	v_lshrrev_b32_e32 v103, 16, v87
	v_lshrrev_b32_e32 v107, 16, v91
	v_cndmask_b32_e64 v113, v115, v83, s16
	v_cndmask_b32_e64 v82, v94, v87, s6
	v_cndmask_b32_e64 v83, v98, v91, s6
	v_cndmask_b32_e64 v94, v116, v87, s13
	v_cndmask_b32_e64 v98, v118, v87, s16
	v_cndmask_b32_e64 v86, v86, v87, s17
	v_cndmask_b32_e64 v87, v90, v91, s17
	v_cndmask_b32_e32 v90, v102, v95, vcc_lo
	v_cndmask_b32_e32 v102, v106, v99, vcc_lo
	v_cndmask_b32_e64 v106, v110, v95, s15
	v_cndmask_b32_e64 v110, v111, v99, s15
	v_cndmask_b32_e64 v78, v78, v95, s19
	v_cndmask_b32_e64 v79, v79, v99, s19
	v_lshrrev_b32_e32 v96, 16, v80
	v_lshrrev_b32_e32 v100, 16, v84
	v_cndmask_b32_e64 v111, v112, v95, s18
	v_cndmask_b32_e64 v112, v113, v99, s18
	v_cndmask_b32_e32 v82, v82, v103, vcc_lo
	v_cndmask_b32_e32 v83, v83, v107, vcc_lo
	v_cndmask_b32_e64 v94, v94, v103, s15
	v_cndmask_b32_e64 v90, v90, v80, s4
	;; [unrolled: 1-line block ×7, first 2 shown]
	v_lshrrev_b32_e32 v104, 16, v88
	v_cndmask_b32_e64 v106, v111, v80, s22
	v_cndmask_b32_e64 v110, v112, v84, s22
	;; [unrolled: 1-line block ×11, first 2 shown]
	v_lshrrev_b32_e32 v97, 16, v81
	v_lshrrev_b32_e32 v101, 16, v85
	v_cndmask_b32_e64 v99, v106, v96, s24
	v_cndmask_b32_e64 v102, v110, v100, s24
	v_cndmask_b32_e64 v83, v83, v104, s21
	v_cndmask_b32_e64 v94, v94, v81, s26
	v_cndmask_b32_e64 v95, v95, v85, s26
	v_cndmask_b32_e64 v78, v78, v81, s28
	v_cndmask_b32_e64 v79, v79, v85, s28
	v_lshrrev_b32_e32 v105, 16, v89
	v_cndmask_b32_e64 v80, v80, v104, s7
	v_cndmask_b32_e64 v84, v84, v81, s8
	;; [unrolled: 1-line block ×16, first 2 shown]
	v_perm_b32 v81, v79, v78, 0x5040100
	v_perm_b32 v79, v95, v85, 0x5040100
	v_cndmask_b32_e64 v78, v119, v91, s16
	v_cndmask_b32_e64 v85, v117, v91, s13
	;; [unrolled: 1-line block ×3, first 2 shown]
	v_perm_b32 v80, v94, v90, 0x5040100
	v_cndmask_b32_e64 v90, v98, v103, s18
	v_cndmask_b32_e64 v86, v86, v103, s19
	;; [unrolled: 1-line block ×5, first 2 shown]
	v_lshrrev_b32_e32 v108, 16, v92
	v_cndmask_b32_e64 v90, v90, v88, s22
	v_cndmask_b32_e64 v86, v86, v88, s23
	;; [unrolled: 1-line block ×11, first 2 shown]
	v_lshrrev_b32_e32 v109, 16, v93
	v_cndmask_b32_e64 v82, v82, v93, s8
	v_cndmask_b32_e64 v88, v88, v89, s27
	;; [unrolled: 1-line block ×12, first 2 shown]
	v_perm_b32 v78, v84, v83, 0x5040100
	v_perm_b32 v85, v87, v86, 0x5040100
	v_perm_b32 v84, v89, v88, 0x5040100
	v_perm_b32 v83, v90, v97, 0x5040100
	v_perm_b32 v82, v82, v96, 0x5040100
	s_mul_i32 s9, s35, 11
	s_mov_b32 s4, exec_lo
	ds_store_b128 v74, v[78:81]
	ds_store_b128 v74, v[82:85] offset:1024
	v_cmpx_gt_u32_e32 11, v0
	s_cbranch_execz .LBB800_14
; %bb.13:
	s_mul_i32 s5, s9, s34
	s_load_b128 s[16:19], s[0:1], 0x58
	v_add3_u32 v68, s5, s33, v68
	s_delay_alu instid0(VALU_DEP_1) | instskip(NEXT) | instid1(VALU_DEP_1)
	v_mad_u64_u32 v[78:79], null, v68, s36, s[14:15]
	v_ashrrev_i32_e32 v79, 31, v78
	s_delay_alu instid0(VALU_DEP_1) | instskip(SKIP_1) | instid1(VALU_DEP_1)
	v_lshlrev_b64 v[78:79], 2, v[78:79]
	s_waitcnt lgkmcnt(0)
	v_add_co_u32 v80, vcc_lo, s18, v78
	s_delay_alu instid0(VALU_DEP_2)
	v_add_co_ci_u32_e32 v81, vcc_lo, s19, v79, vcc_lo
	v_add_co_u32 v78, vcc_lo, s16, v78
	v_add_co_ci_u32_e32 v79, vcc_lo, s17, v79, vcc_lo
	global_store_b32 v[80:81], v76, off
	global_store_b32 v[78:79], v77, off
.LBB800_14:
	s_or_b32 exec_lo, exec_lo, s4
	s_waitcnt lgkmcnt(0)
	s_waitcnt_vscnt null, 0x0
	s_barrier
	buffer_gl0_inv
	ds_load_b128 v[84:87], v73
	ds_load_b128 v[88:91], v73 offset:16
	ds_load_b128 v[96:99], v73 offset:2064
	;; [unrolled: 1-line block ×5, first 2 shown]
	v_cmp_eq_u32_e32 vcc_lo, 1, v70
	v_mov_b32_e32 v76, 0
	ds_load_b128 v[112:115], v73 offset:6160
	ds_load_b128 v[108:111], v73 offset:6144
	;; [unrolled: 1-line block ×4, first 2 shown]
	v_cmp_eq_u32_e64 s5, 1, v69
	v_cmp_eq_u32_e64 s4, 1, v72
	;; [unrolled: 1-line block ×3, first 2 shown]
	v_mov_b32_e32 v77, v76
	v_mov_b32_e32 v78, v76
	;; [unrolled: 1-line block ×7, first 2 shown]
	v_cmp_eq_u32_e64 s7, 3, v72
	v_cmp_eq_u32_e64 s8, 7, v72
	s_waitcnt lgkmcnt(8)
	s_delay_alu instid0(VALU_DEP_3)
	v_wmma_f32_16x16x16_f16 v[76:83], v[49:56], v[84:91], v[76:83]
	ds_load_b128 v[53:56], v73 offset:10256
	ds_load_b128 v[49:52], v73 offset:10240
	s_waitcnt lgkmcnt(8)
	v_wmma_f32_16x16x16_f16 v[76:83], v[41:48], v[92:99], v[76:83]
	ds_load_b128 v[45:48], v73 offset:12304
	ds_load_b128 v[41:44], v73 offset:12288
	s_waitcnt lgkmcnt(8)
	;; [unrolled: 4-line block ×3, first 2 shown]
	s_barrier
	buffer_gl0_inv
	v_wmma_f32_16x16x16_f16 v[76:83], v[1:8], v[108:115], v[76:83]
	s_delay_alu instid0(VALU_DEP_1) | instskip(NEXT) | instid1(VALU_DEP_1)
	v_wmma_f32_16x16x16_f16 v[76:83], v[9:16], v[116:123], v[76:83]
	v_wmma_f32_16x16x16_f16 v[76:83], v[17:24], v[49:56], v[76:83]
	s_delay_alu instid0(VALU_DEP_1) | instskip(NEXT) | instid1(VALU_DEP_1)
	v_wmma_f32_16x16x16_f16 v[76:83], v[25:32], v[41:48], v[76:83]
	v_wmma_f32_16x16x16_f16 v[76:83], v[57:64], v[33:40], v[76:83]
	s_delay_alu instid0(VALU_DEP_1) | instskip(NEXT) | instid1(VALU_DEP_2)
	v_cvt_f16_f32_e32 v1, v76
	v_cvt_f16_f32_e32 v2, v77
	s_delay_alu instid0(VALU_DEP_3) | instskip(NEXT) | instid1(VALU_DEP_4)
	v_cvt_f16_f32_e32 v3, v78
	v_cvt_f16_f32_e32 v4, v79
	;; [unrolled: 1-line block ×6, first 2 shown]
	v_pack_b32_f16 v1, v1, v2
	v_pack_b32_f16 v2, v3, v4
	;; [unrolled: 1-line block ×3, first 2 shown]
	s_delay_alu instid0(VALU_DEP_4)
	v_pack_b32_f16 v4, v7, v8
	ds_store_b128 v74, v[1:4]
	s_waitcnt lgkmcnt(0)
	s_barrier
	buffer_gl0_inv
	ds_load_b128 v[1:4], v75
	ds_load_b128 v[5:8], v75 offset:16
	s_waitcnt lgkmcnt(1)
	v_lshrrev_b32_e32 v9, 16, v1
	s_waitcnt lgkmcnt(0)
	v_lshrrev_b32_e32 v13, 16, v5
	v_lshrrev_b32_e32 v10, 16, v2
	;; [unrolled: 1-line block ×4, first 2 shown]
	v_cndmask_b32_e32 v17, v1, v9, vcc_lo
	v_cndmask_b32_e32 v18, v5, v13, vcc_lo
	v_cndmask_b32_e64 v21, v1, v9, s5
	v_cmp_eq_u32_e32 vcc_lo, 1, v71
	v_cndmask_b32_e64 v22, v5, v13, s5
	v_cmp_eq_u32_e64 s5, 2, v70
	v_cndmask_b32_e64 v19, v1, v9, s4
	v_cndmask_b32_e64 v20, v5, v13, s4
	v_cndmask_b32_e32 v1, v1, v9, vcc_lo
	v_cmp_eq_u32_e64 s4, 2, v71
	v_cndmask_b32_e32 v5, v5, v13, vcc_lo
	v_cndmask_b32_e64 v9, v17, v2, s5
	v_cmp_eq_u32_e32 vcc_lo, 3, v70
	v_cndmask_b32_e64 v13, v18, v6, s5
	v_cmp_eq_u32_e64 s5, 2, v69
	v_cndmask_b32_e64 v17, v19, v2, s6
	v_cndmask_b32_e64 v18, v20, v6, s6
	v_cmp_eq_u32_e64 s6, 3, v69
	v_cndmask_b32_e64 v1, v1, v2, s4
	v_cndmask_b32_e64 v19, v21, v2, s5
	;; [unrolled: 1-line block ×4, first 2 shown]
	v_cndmask_b32_e32 v5, v9, v10, vcc_lo
	v_cndmask_b32_e32 v6, v13, v14, vcc_lo
	v_cmp_eq_u32_e32 vcc_lo, 3, v71
	v_cndmask_b32_e64 v9, v17, v10, s7
	v_cndmask_b32_e64 v13, v18, v14, s7
	v_cndmask_b32_e64 v18, v20, v14, s6
	v_cmp_eq_u32_e64 s5, 4, v70
	v_cndmask_b32_e32 v1, v1, v10, vcc_lo
	v_cndmask_b32_e32 v2, v2, v14, vcc_lo
	v_cmp_eq_u32_e32 vcc_lo, 4, v72
	v_lshrrev_b32_e32 v15, 16, v7
	v_lshrrev_b32_e32 v16, 16, v8
	v_cndmask_b32_e64 v17, v19, v10, s6
	v_cmp_eq_u32_e64 s4, 4, v71
	v_cndmask_b32_e64 v5, v5, v3, s5
	v_cndmask_b32_e64 v6, v6, v7, s5
	v_cndmask_b32_e32 v9, v9, v3, vcc_lo
	v_cmp_eq_u32_e64 s5, 5, v72
	v_cndmask_b32_e32 v10, v13, v7, vcc_lo
	v_cmp_eq_u32_e32 vcc_lo, 4, v69
	v_cmp_eq_u32_e64 s6, 5, v70
	v_cndmask_b32_e64 v2, v2, v7, s4
	v_cndmask_b32_e64 v9, v9, v11, s5
	;; [unrolled: 1-line block ×3, first 2 shown]
	v_cndmask_b32_e32 v13, v17, v3, vcc_lo
	v_cmp_eq_u32_e64 s5, 5, v69
	v_cndmask_b32_e32 v14, v18, v7, vcc_lo
	v_cndmask_b32_e64 v1, v1, v3, s4
	v_cmp_eq_u32_e32 vcc_lo, 5, v71
	v_lshrrev_b32_e32 v12, 16, v4
	v_cndmask_b32_e64 v13, v13, v11, s5
	v_cndmask_b32_e64 v3, v14, v15, s5
	v_cmp_eq_u32_e64 s5, 6, v71
	v_cndmask_b32_e32 v1, v1, v11, vcc_lo
	v_cndmask_b32_e64 v5, v5, v11, s6
	v_cmp_eq_u32_e64 s7, 6, v70
	v_cndmask_b32_e64 v6, v6, v15, s6
	v_cmp_eq_u32_e64 s6, 6, v72
	v_cmp_eq_u32_e64 s4, 6, v69
	v_cndmask_b32_e64 v1, v1, v4, s5
	v_cndmask_b32_e32 v2, v2, v15, vcc_lo
	v_cmp_eq_u32_e32 vcc_lo, 7, v71
	v_cndmask_b32_e64 v5, v5, v4, s7
	v_cndmask_b32_e64 v9, v9, v4, s6
	v_cndmask_b32_e64 v6, v6, v8, s7
	v_cmp_eq_u32_e64 s7, 7, v70
	v_cndmask_b32_e32 v1, v1, v12, vcc_lo
	v_cndmask_b32_e64 v7, v13, v4, s4
	v_cndmask_b32_e64 v3, v3, v8, s4
	;; [unrolled: 1-line block ×3, first 2 shown]
	v_cmp_eq_u32_e64 s4, 7, v69
	v_cndmask_b32_e64 v4, v10, v8, s6
	v_cndmask_b32_e64 v5, v5, v12, s7
	;; [unrolled: 1-line block ×3, first 2 shown]
	v_cndmask_b32_e32 v2, v2, v16, vcc_lo
	v_cndmask_b32_e64 v7, v7, v12, s4
	v_cndmask_b32_e64 v3, v3, v16, s4
	;; [unrolled: 1-line block ×4, first 2 shown]
	v_cmp_gt_u32_e32 vcc_lo, 32, v0
	v_perm_b32 v4, v2, v1, 0x5040100
	v_perm_b32 v3, v3, v7, 0x5040100
	;; [unrolled: 1-line block ×4, first 2 shown]
	s_and_b32 s2, vcc_lo, s2
	ds_store_b128 v74, v[1:4]
	s_waitcnt lgkmcnt(0)
	s_barrier
	buffer_gl0_inv
	s_and_saveexec_b32 s4, s2
	s_cbranch_execz .LBB800_2
; %bb.15:
	s_load_b64 s[4:5], s[0:1], 0x68
	v_lshlrev_b32_e32 v0, 10, v0
	v_lshlrev_b32_e32 v1, 4, v67
	s_lshl_b32 s0, s36, 6
	v_add_nc_u32_e32 v7, s33, v66
	s_mul_i32 s1, s0, s34
	s_delay_alu instid0(SALU_CYCLE_1) | instskip(SKIP_1) | instid1(VALU_DEP_2)
	s_mul_i32 s6, s1, s9
	v_and_or_b32 v0, 0x3800, v0, v1
	v_mul_lo_u32 v1, v7, s0
	v_add_nc_u32_e32 v2, 2, v7
	s_ashr_i32 s7, s6, 31
	v_add_nc_u32_e32 v4, 4, v7
	s_lshl_b64 s[6:7], s[6:7], 1
	v_add_nc_u32_e32 v8, 6, v7
	v_mul_lo_u32 v3, v2, s0
	v_lshl_or_b32 v19, v66, 6, v0
	v_ashrrev_i32_e32 v2, 31, v1
	v_mul_lo_u32 v11, v4, s0
	v_mul_lo_u32 v25, v8, s0
	s_waitcnt lgkmcnt(0)
	s_add_u32 s1, s4, s6
	s_addc_u32 s2, s5, s7
	s_lshl_b32 s4, s14, 6
	v_lshlrev_b64 v[5:6], 1, v[1:2]
	s_ashr_i32 s5, s4, 31
	v_ashrrev_i32_e32 v4, 31, v3
	s_lshl_b64 s[4:5], s[4:5], 1
	v_ashrrev_i32_e32 v12, 31, v11
	s_add_u32 s1, s1, s4
	s_addc_u32 s2, s2, s5
	v_add_co_u32 v1, s1, s1, v65
	s_delay_alu instid0(VALU_DEP_1) | instskip(SKIP_1) | instid1(VALU_DEP_3)
	v_add_co_ci_u32_e64 v2, null, s2, 0, s1
	v_lshlrev_b64 v[3:4], 1, v[3:4]
	v_add_co_u32 v23, vcc_lo, v1, v5
	v_add_nc_u32_e32 v5, 8, v7
	s_delay_alu instid0(VALU_DEP_4) | instskip(NEXT) | instid1(VALU_DEP_4)
	v_add_co_ci_u32_e32 v24, vcc_lo, v2, v6, vcc_lo
	v_add_co_u32 v27, vcc_lo, v1, v3
	s_delay_alu instid0(VALU_DEP_3)
	v_mul_lo_u32 v29, v5, s0
	v_add_co_ci_u32_e32 v28, vcc_lo, v2, v4, vcc_lo
	ds_load_b128 v[3:6], v19
	ds_load_b128 v[7:10], v19 offset:128
	v_lshlrev_b64 v[31:32], 1, v[11:12]
	ds_load_b128 v[11:14], v19 offset:256
	ds_load_b128 v[15:18], v19 offset:384
	;; [unrolled: 1-line block ×3, first 2 shown]
	v_ashrrev_i32_e32 v26, 31, v25
	v_ashrrev_i32_e32 v30, 31, v29
	v_add_co_u32 v31, vcc_lo, v1, v31
	s_delay_alu instid0(VALU_DEP_3) | instskip(NEXT) | instid1(VALU_DEP_3)
	v_lshlrev_b64 v[25:26], 1, v[25:26]
	v_lshlrev_b64 v[29:30], 1, v[29:30]
	v_add_co_ci_u32_e32 v32, vcc_lo, v2, v32, vcc_lo
	s_delay_alu instid0(VALU_DEP_3) | instskip(NEXT) | instid1(VALU_DEP_4)
	v_add_co_u32 v25, vcc_lo, v1, v25
	v_add_co_ci_u32_e32 v26, vcc_lo, v2, v26, vcc_lo
	s_delay_alu instid0(VALU_DEP_4)
	v_add_co_u32 v29, vcc_lo, v1, v29
	v_add_co_ci_u32_e32 v30, vcc_lo, v2, v30, vcc_lo
	s_waitcnt lgkmcnt(4)
	global_store_b128 v[23:24], v[3:6], off
	s_waitcnt lgkmcnt(3)
	global_store_b128 v[27:28], v[7:10], off
	;; [unrolled: 2-line block ×5, first 2 shown]
	s_and_b32 exec_lo, exec_lo, s3
	s_cbranch_execz .LBB800_2
; %bb.16:
	ds_load_b128 v[3:6], v0 offset:640
	s_add_i32 s1, s33, 10
	s_delay_alu instid0(SALU_CYCLE_1) | instskip(NEXT) | instid1(SALU_CYCLE_1)
	s_mul_i32 s0, s1, s0
	s_ashr_i32 s1, s0, 31
	s_delay_alu instid0(SALU_CYCLE_1) | instskip(NEXT) | instid1(SALU_CYCLE_1)
	s_lshl_b64 s[0:1], s[0:1], 1
	v_add_co_u32 v0, vcc_lo, v1, s0
	v_add_co_ci_u32_e32 v1, vcc_lo, s1, v2, vcc_lo
	s_waitcnt lgkmcnt(0)
	global_store_b128 v[0:1], v[3:6], off
	s_nop 0
	s_sendmsg sendmsg(MSG_DEALLOC_VGPRS)
	s_endpgm
	.section	.rodata,"a",@progbits
	.p2align	6, 0x0
	.amdhsa_kernel _Z39paged_attention_ll4mi_QKV_mfma16_kernelIDF16_hLN4vllm18Fp8KVCacheDataTypeE1EhLi16ELi64ELi256ELb0ELi11EL8MFMAType1EEvPKT_PKT0_S8_ifPKiSA_SA_iPKfiiiPfSD_PS3_PT2_iSC_SC_
		.amdhsa_group_segment_fixed_size 17472
		.amdhsa_private_segment_fixed_size 0
		.amdhsa_kernarg_size 400
		.amdhsa_user_sgpr_count 13
		.amdhsa_user_sgpr_dispatch_ptr 0
		.amdhsa_user_sgpr_queue_ptr 0
		.amdhsa_user_sgpr_kernarg_segment_ptr 1
		.amdhsa_user_sgpr_dispatch_id 0
		.amdhsa_user_sgpr_private_segment_size 0
		.amdhsa_wavefront_size32 1
		.amdhsa_uses_dynamic_stack 0
		.amdhsa_enable_private_segment 0
		.amdhsa_system_sgpr_workgroup_id_x 1
		.amdhsa_system_sgpr_workgroup_id_y 1
		.amdhsa_system_sgpr_workgroup_id_z 1
		.amdhsa_system_sgpr_workgroup_info 0
		.amdhsa_system_vgpr_workitem_id 0
		.amdhsa_next_free_vgpr 146
		.amdhsa_next_free_sgpr 37
		.amdhsa_reserve_vcc 1
		.amdhsa_float_round_mode_32 0
		.amdhsa_float_round_mode_16_64 0
		.amdhsa_float_denorm_mode_32 3
		.amdhsa_float_denorm_mode_16_64 3
		.amdhsa_dx10_clamp 1
		.amdhsa_ieee_mode 1
		.amdhsa_fp16_overflow 0
		.amdhsa_workgroup_processor_mode 1
		.amdhsa_memory_ordered 1
		.amdhsa_forward_progress 0
		.amdhsa_shared_vgpr_count 0
		.amdhsa_exception_fp_ieee_invalid_op 0
		.amdhsa_exception_fp_denorm_src 0
		.amdhsa_exception_fp_ieee_div_zero 0
		.amdhsa_exception_fp_ieee_overflow 0
		.amdhsa_exception_fp_ieee_underflow 0
		.amdhsa_exception_fp_ieee_inexact 0
		.amdhsa_exception_int_div_zero 0
	.end_amdhsa_kernel
	.section	.text._Z39paged_attention_ll4mi_QKV_mfma16_kernelIDF16_hLN4vllm18Fp8KVCacheDataTypeE1EhLi16ELi64ELi256ELb0ELi11EL8MFMAType1EEvPKT_PKT0_S8_ifPKiSA_SA_iPKfiiiPfSD_PS3_PT2_iSC_SC_,"axG",@progbits,_Z39paged_attention_ll4mi_QKV_mfma16_kernelIDF16_hLN4vllm18Fp8KVCacheDataTypeE1EhLi16ELi64ELi256ELb0ELi11EL8MFMAType1EEvPKT_PKT0_S8_ifPKiSA_SA_iPKfiiiPfSD_PS3_PT2_iSC_SC_,comdat
.Lfunc_end800:
	.size	_Z39paged_attention_ll4mi_QKV_mfma16_kernelIDF16_hLN4vllm18Fp8KVCacheDataTypeE1EhLi16ELi64ELi256ELb0ELi11EL8MFMAType1EEvPKT_PKT0_S8_ifPKiSA_SA_iPKfiiiPfSD_PS3_PT2_iSC_SC_, .Lfunc_end800-_Z39paged_attention_ll4mi_QKV_mfma16_kernelIDF16_hLN4vllm18Fp8KVCacheDataTypeE1EhLi16ELi64ELi256ELb0ELi11EL8MFMAType1EEvPKT_PKT0_S8_ifPKiSA_SA_iPKfiiiPfSD_PS3_PT2_iSC_SC_
                                        ; -- End function
	.section	.AMDGPU.csdata,"",@progbits
; Kernel info:
; codeLenInByte = 6640
; NumSgprs: 39
; NumVgprs: 146
; ScratchSize: 0
; MemoryBound: 0
; FloatMode: 240
; IeeeMode: 1
; LDSByteSize: 17472 bytes/workgroup (compile time only)
; SGPRBlocks: 4
; VGPRBlocks: 18
; NumSGPRsForWavesPerEU: 39
; NumVGPRsForWavesPerEU: 146
; Occupancy: 9
; WaveLimiterHint : 1
; COMPUTE_PGM_RSRC2:SCRATCH_EN: 0
; COMPUTE_PGM_RSRC2:USER_SGPR: 13
; COMPUTE_PGM_RSRC2:TRAP_HANDLER: 0
; COMPUTE_PGM_RSRC2:TGID_X_EN: 1
; COMPUTE_PGM_RSRC2:TGID_Y_EN: 1
; COMPUTE_PGM_RSRC2:TGID_Z_EN: 1
; COMPUTE_PGM_RSRC2:TIDIG_COMP_CNT: 0
	.section	.text._Z39paged_attention_ll4mi_QKV_mfma16_kernelIDF16_hLN4vllm18Fp8KVCacheDataTypeE1EhLi16ELi64ELi256ELb0ELi12EL8MFMAType1EEvPKT_PKT0_S8_ifPKiSA_SA_iPKfiiiPfSD_PS3_PT2_iSC_SC_,"axG",@progbits,_Z39paged_attention_ll4mi_QKV_mfma16_kernelIDF16_hLN4vllm18Fp8KVCacheDataTypeE1EhLi16ELi64ELi256ELb0ELi12EL8MFMAType1EEvPKT_PKT0_S8_ifPKiSA_SA_iPKfiiiPfSD_PS3_PT2_iSC_SC_,comdat
	.protected	_Z39paged_attention_ll4mi_QKV_mfma16_kernelIDF16_hLN4vllm18Fp8KVCacheDataTypeE1EhLi16ELi64ELi256ELb0ELi12EL8MFMAType1EEvPKT_PKT0_S8_ifPKiSA_SA_iPKfiiiPfSD_PS3_PT2_iSC_SC_ ; -- Begin function _Z39paged_attention_ll4mi_QKV_mfma16_kernelIDF16_hLN4vllm18Fp8KVCacheDataTypeE1EhLi16ELi64ELi256ELb0ELi12EL8MFMAType1EEvPKT_PKT0_S8_ifPKiSA_SA_iPKfiiiPfSD_PS3_PT2_iSC_SC_
	.globl	_Z39paged_attention_ll4mi_QKV_mfma16_kernelIDF16_hLN4vllm18Fp8KVCacheDataTypeE1EhLi16ELi64ELi256ELb0ELi12EL8MFMAType1EEvPKT_PKT0_S8_ifPKiSA_SA_iPKfiiiPfSD_PS3_PT2_iSC_SC_
	.p2align	8
	.type	_Z39paged_attention_ll4mi_QKV_mfma16_kernelIDF16_hLN4vllm18Fp8KVCacheDataTypeE1EhLi16ELi64ELi256ELb0ELi12EL8MFMAType1EEvPKT_PKT0_S8_ifPKiSA_SA_iPKfiiiPfSD_PS3_PT2_iSC_SC_,@function
_Z39paged_attention_ll4mi_QKV_mfma16_kernelIDF16_hLN4vllm18Fp8KVCacheDataTypeE1EhLi16ELi64ELi256ELb0ELi12EL8MFMAType1EEvPKT_PKT0_S8_ifPKiSA_SA_iPKfiiiPfSD_PS3_PT2_iSC_SC_: ; @_Z39paged_attention_ll4mi_QKV_mfma16_kernelIDF16_hLN4vllm18Fp8KVCacheDataTypeE1EhLi16ELi64ELi256ELb0ELi12EL8MFMAType1EEvPKT_PKT0_S8_ifPKiSA_SA_iPKfiiiPfSD_PS3_PT2_iSC_SC_
; %bb.0:
	s_load_b64 s[2:3], s[0:1], 0x30
	s_mov_b32 s34, s13
	s_waitcnt lgkmcnt(0)
	s_cmp_lg_u64 s[2:3], 0
	s_cselect_b32 s6, -1, 0
	s_ashr_i32 s35, s13, 31
	s_cmp_eq_u64 s[2:3], 0
	s_cbranch_scc1 .LBB801_3
; %bb.1:
	s_lshl_b64 s[4:5], s[34:35], 2
	s_delay_alu instid0(SALU_CYCLE_1) | instskip(SKIP_4) | instid1(SALU_CYCLE_1)
	s_add_u32 s4, s2, s4
	s_addc_u32 s5, s3, s5
	s_load_b64 s[4:5], s[4:5], 0x0
	s_waitcnt lgkmcnt(0)
	s_sub_i32 s4, s5, s4
	s_cmp_eq_u32 s4, 1
	s_cselect_b32 s4, -1, 0
	s_delay_alu instid0(SALU_CYCLE_1)
	s_and_not1_b32 vcc_lo, exec_lo, s4
	s_cbranch_vccz .LBB801_4
.LBB801_2:
	s_endpgm
.LBB801_3:
.LBB801_4:
	s_load_b64 s[8:9], s[0:1], 0x28
	s_lshl_b64 s[4:5], s[34:35], 2
	s_waitcnt lgkmcnt(0)
	s_add_u32 s8, s8, s4
	s_addc_u32 s9, s9, s5
	s_lshl_b32 s16, s14, 8
	s_load_b32 s18, s[8:9], 0x0
	s_waitcnt lgkmcnt(0)
	s_cmp_ge_i32 s16, s18
	s_cbranch_scc1 .LBB801_2
; %bb.5:
	s_clause 0x1
	s_load_b128 s[8:11], s[0:1], 0x8
	s_load_b64 s[12:13], s[0:1], 0x20
	s_and_not1_b32 vcc_lo, exec_lo, s6
	s_cbranch_vccnz .LBB801_7
; %bb.6:
	s_add_u32 s2, s2, s4
	s_addc_u32 s3, s3, s5
	s_load_b32 s3, s[2:3], 0x0
	s_branch .LBB801_8
.LBB801_7:
	s_mov_b32 s3, s34
.LBB801_8:
	s_load_b128 s[4:7], s[0:1], 0x48
	v_and_b32_e32 v68, 15, v0
	v_cmp_gt_u32_e32 vcc_lo, 0xc0, v0
	v_lshrrev_b32_e32 v69, 5, v0
	v_and_b32_e32 v70, 31, v0
	v_and_b32_e32 v67, 1, v0
	v_lshlrev_b32_e32 v1, 3, v68
	v_cmp_gt_u32_e64 s2, 8, v68
	v_bfe_u32 v66, v0, 4, 1
	s_mul_i32 s31, s15, 12
	s_delay_alu instid0(VALU_DEP_3) | instskip(NEXT) | instid1(VALU_DEP_3)
	v_lshlrev_b32_e32 v65, 1, v1
	s_and_b32 s17, vcc_lo, s2
	s_waitcnt lgkmcnt(0)
	s_and_saveexec_b32 s7, s17
	s_cbranch_execz .LBB801_10
; %bb.9:
	s_load_b64 s[20:21], s[0:1], 0x0
	v_lshl_or_b32 v5, v69, 1, v66
	s_mul_hi_i32 s23, s3, s4
	s_mul_i32 s22, s3, s4
	v_lshlrev_b32_e32 v6, 10, v68
	s_lshl_b64 s[22:23], s[22:23], 1
	v_add_lshl_u32 v1, v5, s31, 6
	v_lshlrev_b32_e32 v5, 6, v5
	v_lshlrev_b32_e32 v7, 10, v67
	v_and_b32_e32 v6, 0x3800, v6
	s_delay_alu instid0(VALU_DEP_4) | instskip(NEXT) | instid1(VALU_DEP_2)
	v_ashrrev_i32_e32 v2, 31, v1
	v_or3_b32 v5, v6, v7, v5
	s_delay_alu instid0(VALU_DEP_2) | instskip(SKIP_3) | instid1(VALU_DEP_1)
	v_lshlrev_b64 v[1:2], 1, v[1:2]
	s_waitcnt lgkmcnt(0)
	s_add_u32 s3, s20, s22
	s_addc_u32 s4, s21, s23
	v_add_co_u32 v1, vcc_lo, s3, v1
	s_delay_alu instid0(VALU_DEP_2) | instskip(NEXT) | instid1(VALU_DEP_2)
	v_add_co_ci_u32_e32 v2, vcc_lo, s4, v2, vcc_lo
	v_add_co_u32 v1, vcc_lo, v1, v65
	s_delay_alu instid0(VALU_DEP_2)
	v_add_co_ci_u32_e32 v2, vcc_lo, 0, v2, vcc_lo
	global_load_b128 v[1:4], v[1:2], off
	s_waitcnt vmcnt(0)
	ds_store_b128 v5, v[1:4]
.LBB801_10:
	s_or_b32 exec_lo, exec_lo, s7
	v_and_b32_e32 v1, 0xef, v0
	s_add_i32 s3, s18, 15
	s_clause 0x1
	s_load_b32 s4, s[0:1], 0x38
	s_load_b32 s33, s[0:1], 0x98
	s_ashr_i32 s7, s3, 31
	v_add_nc_u32_e32 v1, s16, v1
	s_lshr_b32 s7, s7, 28
	s_load_b32 s19, s[0:1], 0x1c
	v_add_nc_u32_e32 v103, -12, v68
	s_add_i32 s3, s3, s7
	v_ashrrev_i32_e32 v2, 31, v1
	v_or_b32_e32 v3, 16, v1
	s_ashr_i32 s3, s3, 4
	v_cmp_gt_i32_e32 vcc_lo, s18, v1
	s_add_i32 s3, s3, -1
	v_lshrrev_b32_e32 v2, 28, v2
	s_waitcnt lgkmcnt(0)
	s_barrier
	buffer_gl0_inv
	s_mul_i32 s15, s15, s6
	v_add_nc_u32_e32 v4, v1, v2
	v_mbcnt_lo_u32_b32 v127, -1, 0
	s_mul_i32 s20, s34, s4
	s_delay_alu instid0(SALU_CYCLE_1) | instskip(NEXT) | instid1(VALU_DEP_2)
	s_ashr_i32 s21, s20, 31
	v_ashrrev_i32_e32 v4, 4, v4
	v_add_nc_u32_e32 v2, v3, v2
	s_lshl_b64 s[20:21], s[20:21], 2
	v_xor_b32_e32 v128, 16, v127
	s_add_u32 s17, s12, s20
	v_cndmask_b32_e32 v1, s3, v4, vcc_lo
	v_ashrrev_i32_e32 v2, 4, v2
	v_cmp_gt_i32_e32 vcc_lo, s18, v3
	s_addc_u32 s13, s13, s21
	s_ashr_i32 s20, s15, 31
	s_add_u32 s4, s8, s15
	s_addc_u32 s12, s9, s20
	v_cndmask_b32_e32 v3, s3, v2, vcc_lo
	v_ashrrev_i32_e32 v2, 31, v1
	s_lshl_b32 s6, s14, 4
	s_delay_alu instid0(SALU_CYCLE_1) | instskip(NEXT) | instid1(VALU_DEP_2)
	s_ashr_i32 s7, s6, 31
	v_ashrrev_i32_e32 v4, 31, v3
	s_delay_alu instid0(VALU_DEP_2) | instskip(SKIP_1) | instid1(SALU_CYCLE_1)
	v_lshlrev_b64 v[1:2], 2, v[1:2]
	s_lshl_b64 s[6:7], s[6:7], 2
	s_add_u32 s6, s17, s6
	s_delay_alu instid0(VALU_DEP_2) | instskip(SKIP_1) | instid1(VALU_DEP_2)
	v_lshlrev_b64 v[3:4], 2, v[3:4]
	s_addc_u32 s7, s13, s7
	v_add_co_u32 v1, vcc_lo, s17, v1
	v_add_co_ci_u32_e32 v2, vcc_lo, s13, v2, vcc_lo
	s_delay_alu instid0(VALU_DEP_3) | instskip(NEXT) | instid1(VALU_DEP_4)
	v_add_co_u32 v3, vcc_lo, s17, v3
	v_add_co_ci_u32_e32 v4, vcc_lo, s13, v4, vcc_lo
	s_clause 0x1
	global_load_b32 v5, v[1:2], off
	global_load_b32 v7, v[3:4], off
	s_or_b32 s8, s16, 32
	v_lshlrev_b32_e32 v1, 4, v0
	s_ashr_i32 s9, s8, 4
	s_cmp_lt_i32 s8, s18
	v_cmp_gt_u32_e32 vcc_lo, 12, v68
	s_cselect_b32 s8, s9, s3
	v_and_b32_e32 v1, 0xf0, v1
	s_ashr_i32 s9, s8, 31
	s_delay_alu instid0(SALU_CYCLE_1)
	s_lshl_b64 s[8:9], s[8:9], 2
	v_cndmask_b32_e32 v103, v103, v68, vcc_lo
	s_add_u32 s8, s17, s8
	s_addc_u32 s9, s13, s9
	s_or_b32 s21, s16, 64
	v_add_co_u32 v1, s4, s4, v1
	s_ashr_i32 s22, s21, 4
	s_cmp_lt_i32 s21, s18
	v_add_co_ci_u32_e64 v2, null, s12, 0, s4
	s_cselect_b32 s22, s22, s3
	v_cmp_gt_i32_e32 vcc_lo, 32, v128
	s_ashr_i32 s23, s22, 31
	v_lshlrev_b32_e32 v115, 6, v103
	s_lshl_b64 s[22:23], s[22:23], 2
	v_cndmask_b32_e32 v136, v127, v128, vcc_lo
	s_add_u32 s22, s17, s22
	s_addc_u32 s23, s13, s23
	s_or_b32 s21, s16, 0x60
	s_delay_alu instid0(SALU_CYCLE_1) | instskip(SKIP_2) | instid1(SALU_CYCLE_1)
	s_ashr_i32 s24, s21, 4
	s_cmp_lt_i32 s21, s18
	s_cselect_b32 s24, s24, s3
	s_ashr_i32 s25, s24, 31
	s_delay_alu instid0(SALU_CYCLE_1) | instskip(NEXT) | instid1(SALU_CYCLE_1)
	s_lshl_b64 s[24:25], s[24:25], 2
	s_add_u32 s24, s17, s24
	s_addc_u32 s25, s13, s25
	s_or_b32 s21, s16, 0x80
	s_delay_alu instid0(SALU_CYCLE_1) | instskip(SKIP_2) | instid1(SALU_CYCLE_1)
	s_ashr_i32 s26, s21, 4
	s_cmp_lt_i32 s21, s18
	s_cselect_b32 s26, s26, s3
	s_ashr_i32 s27, s26, 31
	s_delay_alu instid0(SALU_CYCLE_1) | instskip(NEXT) | instid1(SALU_CYCLE_1)
	s_lshl_b64 s[26:27], s[26:27], 2
	;; [unrolled: 10-line block ×3, first 2 shown]
	s_add_u32 s28, s17, s28
	s_addc_u32 s29, s13, s29
	s_clause 0x5
	s_load_b32 s12, s[6:7], 0x0
	s_load_b32 s4, s[8:9], 0x0
	;; [unrolled: 1-line block ×6, first 2 shown]
	s_or_b32 s21, s16, 0xc0
	s_delay_alu instid0(SALU_CYCLE_1) | instskip(SKIP_2) | instid1(SALU_CYCLE_1)
	s_ashr_i32 s22, s21, 4
	s_cmp_lt_i32 s21, s18
	s_cselect_b32 s22, s22, s3
	s_ashr_i32 s23, s22, 31
	s_delay_alu instid0(SALU_CYCLE_1) | instskip(NEXT) | instid1(SALU_CYCLE_1)
	s_lshl_b64 s[22:23], s[22:23], 2
	s_add_u32 s22, s17, s22
	s_addc_u32 s23, s13, s23
	s_or_b32 s21, s16, 0xe0
	s_delay_alu instid0(SALU_CYCLE_1) | instskip(SKIP_2) | instid1(SALU_CYCLE_1)
	s_ashr_i32 s24, s21, 4
	s_cmp_lt_i32 s21, s18
	s_cselect_b32 s24, s24, s3
	s_ashr_i32 s25, s24, 31
	s_delay_alu instid0(SALU_CYCLE_1)
	s_lshl_b64 s[24:25], s[24:25], 2
	s_waitcnt vmcnt(1)
	v_mad_i64_i32 v[3:4], null, v5, s5, v[1:2]
	s_waitcnt vmcnt(0)
	v_mad_i64_i32 v[5:6], null, v7, s5, v[1:2]
	v_lshlrev_b32_e32 v1, 4, v68
	s_clause 0x7
	global_load_b128 v[71:74], v[3:4], off
	global_load_b128 v[75:78], v[3:4], off offset:256
	global_load_b128 v[79:82], v[5:6], off
	global_load_b128 v[83:86], v[5:6], off offset:256
	global_load_b128 v[87:90], v[3:4], off offset:512
	;; [unrolled: 1-line block ×5, first 2 shown]
	v_lshl_or_b32 v1, v69, 8, v1
	s_load_b32 s3, s[22:23], 0x0
	s_add_u32 s22, s17, s24
	s_addc_u32 s23, s13, s25
	s_add_u32 s10, s10, s15
	s_addc_u32 s11, s11, s20
	v_add_co_u32 v1, s10, s10, v1
	s_delay_alu instid0(VALU_DEP_1) | instskip(SKIP_2) | instid1(VALU_DEP_1)
	v_add_co_ci_u32_e64 v2, null, s11, 0, s10
	s_load_b32 s10, s[22:23], 0x0
	s_waitcnt lgkmcnt(0)
	v_mad_i64_i32 v[3:4], null, s12, s5, v[1:2]
	v_mad_i64_i32 v[9:10], null, s7, s5, v[1:2]
	;; [unrolled: 1-line block ×7, first 2 shown]
	s_clause 0x5
	global_load_b128 v[49:52], v[3:4], off
	global_load_b128 v[53:56], v[3:4], off offset:16
	global_load_b128 v[41:44], v[5:6], off
	global_load_b128 v[45:48], v[5:6], off offset:16
	global_load_b128 v[33:36], v[7:8], off
	global_load_b128 v[37:40], v[7:8], off offset:16
	s_mov_b32 s4, 0
	v_mad_i64_i32 v[61:62], null, s10, s5, v[1:2]
	s_clause 0x9
	global_load_b128 v[1:4], v[9:10], off
	global_load_b128 v[5:8], v[9:10], off offset:16
	global_load_b128 v[9:12], v[13:14], off
	global_load_b128 v[13:16], v[13:14], off offset:16
	;; [unrolled: 2-line block ×5, first 2 shown]
	s_mov_b32 s5, s4
	s_mov_b32 s6, s4
	;; [unrolled: 1-line block ×7, first 2 shown]
	v_and_b32_e32 v104, 0xe0, v0
	v_dual_mov_b32 v126, s11 :: v_dual_mov_b32 v125, s10
	v_dual_mov_b32 v124, s9 :: v_dual_mov_b32 v123, s8
	s_delay_alu instid0(VALU_DEP_3)
	v_add_nc_u32_e32 v111, s16, v104
	ds_load_b128 v[103:106], v115
	ds_load_b128 v[107:110], v115 offset:1024
	v_dual_mov_b32 v122, s7 :: v_dual_mov_b32 v121, s6
	v_mov_b32_e32 v120, s5
	v_or_b32_e32 v135, v111, v66
	ds_load_b128 v[111:114], v115 offset:2048
	ds_load_b128 v[115:118], v115 offset:3072
	v_mov_b32_e32 v119, s4
	s_waitcnt vmcnt(0) lgkmcnt(0)
	s_barrier
	v_or_b32_e32 v137, 2, v135
	v_or_b32_e32 v138, 4, v135
	;; [unrolled: 1-line block ×3, first 2 shown]
	v_cmp_gt_i32_e32 vcc_lo, s18, v135
	v_or_b32_e32 v140, 8, v135
	v_cmp_gt_i32_e64 s3, s18, v137
	v_or_b32_e32 v141, 10, v135
	v_cmp_gt_i32_e64 s4, s18, v138
	v_cmp_gt_i32_e64 s5, s18, v139
	v_or_b32_e32 v142, 12, v135
	v_or_b32_e32 v143, 14, v135
	v_cmp_gt_i32_e64 s6, s18, v140
	v_cmp_gt_i32_e64 s7, s18, v141
	v_or_b32_e32 v144, 16, v135
	v_or_b32_e32 v145, 18, v135
	v_cmp_gt_i32_e64 s8, s18, v142
	v_cmp_gt_i32_e64 s9, s18, v143
	buffer_gl0_inv
	v_cmp_gt_i32_e64 s10, s18, v144
	v_cmp_gt_i32_e64 s11, s18, v145
	v_wmma_f32_16x16x16_f16 v[127:134], v[71:78], v[103:110], v[119:126]
	v_wmma_f32_16x16x16_f16 v[119:126], v[79:86], v[103:110], v[119:126]
	v_or_b32_e32 v71, 20, v135
	v_or_b32_e32 v72, 22, v135
	s_delay_alu instid0(VALU_DEP_4)
	v_wmma_f32_16x16x16_f16 v[127:134], v[87:94], v[111:118], v[127:134]
	v_or_b32_e32 v73, 24, v135
	v_wmma_f32_16x16x16_f16 v[119:126], v[95:102], v[111:118], v[119:126]
	v_or_b32_e32 v74, 26, v135
	v_cmp_gt_i32_e64 s12, s18, v71
	v_dual_mul_f32 v83, s19, v128 :: v_dual_mul_f32 v84, s19, v127
	v_dual_mul_f32 v81, s19, v130 :: v_dual_mul_f32 v82, s19, v129
	;; [unrolled: 1-line block ×3, first 2 shown]
	s_delay_alu instid0(VALU_DEP_3) | instskip(NEXT) | instid1(VALU_DEP_4)
	v_cndmask_b32_e32 v84, 0xff7fffff, v84, vcc_lo
	v_cndmask_b32_e64 v83, 0xff7fffff, v83, s3
	v_mul_f32_e32 v80, s19, v131
	v_cndmask_b32_e64 v82, 0xff7fffff, v82, s4
	v_cndmask_b32_e64 v81, 0xff7fffff, v81, s5
	v_dual_mul_f32 v77, s19, v134 :: v_dual_mul_f32 v90, s19, v121
	v_max3_f32 v83, v84, 0xff7fffff, v83
	v_mul_f32_e32 v78, s19, v133
	v_cndmask_b32_e64 v80, 0xff7fffff, v80, s6
	v_cndmask_b32_e64 v79, 0xff7fffff, v79, s7
	v_mul_f32_e32 v91, s19, v120
	v_max3_f32 v81, v83, v82, v81
	v_cndmask_b32_e64 v78, 0xff7fffff, v78, s8
	v_cndmask_b32_e64 v77, 0xff7fffff, v77, s9
	v_mul_f32_e32 v89, s19, v122
	v_cmp_gt_i32_e64 s13, s18, v72
	v_max3_f32 v79, v81, v80, v79
	v_cndmask_b32_e64 v80, 0xff7fffff, v92, s10
	v_cndmask_b32_e64 v81, 0xff7fffff, v91, s11
	v_or_b32_e32 v75, 28, v135
	v_or_b32_e32 v76, 30, v135
	v_max3_f32 v77, v79, v78, v77
	v_dual_mul_f32 v87, s19, v124 :: v_dual_mul_f32 v88, s19, v123
	v_cndmask_b32_e64 v71, 0xff7fffff, v90, s12
	v_cndmask_b32_e64 v72, 0xff7fffff, v89, s13
	s_delay_alu instid0(VALU_DEP_4) | instskip(SKIP_3) | instid1(VALU_DEP_4)
	v_max3_f32 v77, v77, v80, v81
	v_cmp_gt_i32_e64 s15, s18, v73
	v_cmp_gt_i32_e64 s16, s18, v74
	v_dual_mul_f32 v85, s19, v126 :: v_dual_mul_f32 v86, s19, v125
	v_max3_f32 v71, v77, v71, v72
	s_delay_alu instid0(VALU_DEP_4) | instskip(NEXT) | instid1(VALU_DEP_4)
	v_cndmask_b32_e64 v73, 0xff7fffff, v88, s15
	v_cndmask_b32_e64 v74, 0xff7fffff, v87, s16
	v_cmp_gt_i32_e64 s17, s18, v75
	v_cmp_gt_i32_e64 s18, s18, v76
	s_delay_alu instid0(VALU_DEP_3) | instskip(NEXT) | instid1(VALU_DEP_3)
	v_max3_f32 v71, v71, v73, v74
	v_cndmask_b32_e64 v72, 0xff7fffff, v86, s17
	s_delay_alu instid0(VALU_DEP_3) | instskip(SKIP_1) | instid1(VALU_DEP_2)
	v_cndmask_b32_e64 v75, 0xff7fffff, v85, s18
	v_lshlrev_b32_e32 v73, 2, v136
	v_max3_f32 v71, v71, v72, v75
	ds_bpermute_b32 v72, v73, v71
	s_waitcnt lgkmcnt(0)
	v_max_f32_e32 v72, v72, v72
	s_delay_alu instid0(VALU_DEP_1) | instskip(NEXT) | instid1(VALU_DEP_1)
	v_max_f32_e32 v71, v71, v72
	v_fma_f32 v72, s19, v127, -v71
	v_fma_f32 v74, s19, v128, -v71
	;; [unrolled: 1-line block ×5, first 2 shown]
	v_mul_f32_e32 v72, 0x3fb8aa3b, v72
	s_delay_alu instid0(VALU_DEP_4) | instskip(NEXT) | instid1(VALU_DEP_4)
	v_dual_mul_f32 v74, 0x3fb8aa3b, v74 :: v_dual_mul_f32 v75, 0x3fb8aa3b, v75
	v_mul_f32_e32 v76, 0x3fb8aa3b, v76
	s_delay_alu instid0(VALU_DEP_4) | instskip(NEXT) | instid1(VALU_DEP_4)
	v_mul_f32_e32 v82, 0x3fb8aa3b, v80
	v_exp_f32_e32 v72, v72
	s_delay_alu instid0(VALU_DEP_3)
	v_exp_f32_e32 v74, v74
	v_exp_f32_e32 v75, v75
	;; [unrolled: 1-line block ×3, first 2 shown]
	v_fma_f32 v77, s19, v131, -v71
	v_exp_f32_e32 v84, v82
	v_cndmask_b32_e32 v79, 0, v72, vcc_lo
	v_cndmask_b32_e64 v78, 0, v74, s3
	s_delay_alu instid0(TRANS32_DEP_3) | instskip(SKIP_1) | instid1(TRANS32_DEP_2)
	v_cndmask_b32_e64 v81, 0, v75, s4
	v_fma_f32 v72, s19, v132, -v71
	v_cndmask_b32_e64 v80, 0, v76, s5
	v_add_f32_e32 v74, 0, v79
	s_delay_alu instid0(TRANS32_DEP_1) | instskip(SKIP_2) | instid1(VALU_DEP_3)
	v_cndmask_b32_e64 v85, 0, v84, s8
	s_mov_b32 s3, exec_lo
	v_mul_f32_e32 v72, 0x3fb8aa3b, v72
	v_add_f32_e32 v74, v74, v78
	s_delay_alu instid0(VALU_DEP_2) | instskip(NEXT) | instid1(VALU_DEP_1)
	v_exp_f32_e32 v72, v72
	v_add_f32_e32 v74, v74, v81
	s_delay_alu instid0(VALU_DEP_1) | instskip(NEXT) | instid1(VALU_DEP_1)
	v_dual_mul_f32 v77, 0x3fb8aa3b, v77 :: v_dual_add_f32 v74, v74, v80
	v_exp_f32_e32 v77, v77
	s_waitcnt_depctr 0xfff
	v_cndmask_b32_e64 v82, 0, v72, s7
	v_cndmask_b32_e64 v83, 0, v77, s6
	s_delay_alu instid0(VALU_DEP_1) | instskip(SKIP_4) | instid1(VALU_DEP_4)
	v_add_f32_e32 v72, v74, v83
	v_fma_f32 v75, s19, v134, -v71
	v_fma_f32 v76, s19, v119, -v71
	;; [unrolled: 1-line block ×4, first 2 shown]
	v_dual_add_f32 v72, v72, v82 :: v_dual_mul_f32 v75, 0x3fb8aa3b, v75
	s_delay_alu instid0(VALU_DEP_3) | instskip(NEXT) | instid1(VALU_DEP_3)
	v_dual_mul_f32 v76, 0x3fb8aa3b, v76 :: v_dual_mul_f32 v77, 0x3fb8aa3b, v77
	v_mul_f32_e32 v74, 0x3fb8aa3b, v74
	v_fma_f32 v86, s19, v122, -v71
	s_delay_alu instid0(VALU_DEP_4) | instskip(NEXT) | instid1(VALU_DEP_3)
	v_exp_f32_e32 v75, v75
	v_exp_f32_e32 v76, v76
	;; [unrolled: 1-line block ×4, first 2 shown]
	v_mul_f32_e32 v86, 0x3fb8aa3b, v86
	s_delay_alu instid0(VALU_DEP_1)
	v_exp_f32_e32 v88, v86
	v_cndmask_b32_e64 v84, 0, v75, s9
	v_fma_f32 v75, s19, v123, -v71
	v_add_f32_e32 v72, v72, v85
	v_cndmask_b32_e64 v87, 0, v76, s10
	v_fma_f32 v76, s19, v124, -v71
	s_delay_alu instid0(TRANS32_DEP_3) | instskip(NEXT) | instid1(VALU_DEP_4)
	v_cndmask_b32_e64 v86, 0, v77, s11
	v_dual_mul_f32 v75, 0x3fb8aa3b, v75 :: v_dual_add_f32 v72, v72, v84
	v_fma_f32 v77, s19, v125, -v71
	s_delay_alu instid0(VALU_DEP_4) | instskip(SKIP_1) | instid1(VALU_DEP_4)
	v_mul_f32_e32 v76, 0x3fb8aa3b, v76
	v_cndmask_b32_e64 v89, 0, v74, s12
	v_exp_f32_e32 v75, v75
	v_add_f32_e32 v72, v72, v87
	v_mul_f32_e32 v74, 0x3fb8aa3b, v77
	v_exp_f32_e32 v76, v76
	v_cndmask_b32_e64 v88, 0, v88, s13
	v_fma_f32 v77, s19, v126, -v71
	v_add_f32_e32 v72, v72, v86
	v_exp_f32_e32 v74, v74
	s_delay_alu instid0(TRANS32_DEP_3) | instskip(NEXT) | instid1(VALU_DEP_2)
	v_cndmask_b32_e64 v91, 0, v75, s15
	v_add_f32_e32 v72, v72, v89
	v_mul_f32_e32 v75, 0x3fb8aa3b, v77
	s_delay_alu instid0(TRANS32_DEP_2) | instskip(NEXT) | instid1(VALU_DEP_3)
	v_cndmask_b32_e64 v90, 0, v76, s16
	v_add_f32_e32 v72, v72, v88
	s_delay_alu instid0(VALU_DEP_3) | instskip(NEXT) | instid1(TRANS32_DEP_2)
	v_exp_f32_e32 v75, v75
	v_cndmask_b32_e64 v93, 0, v74, s17
	s_delay_alu instid0(VALU_DEP_2) | instskip(NEXT) | instid1(VALU_DEP_1)
	v_add_f32_e32 v72, v72, v91
	v_add_f32_e32 v72, v72, v90
	s_waitcnt_depctr 0xfff
	v_cndmask_b32_e64 v92, 0, v75, s18
	v_add_f32_e32 v72, v72, v93
	s_delay_alu instid0(VALU_DEP_1)
	v_add_f32_e32 v72, v72, v92
	ds_bpermute_b32 v73, v73, v72
	v_cmpx_gt_u32_e32 16, v70
	s_cbranch_execz .LBB801_12
; %bb.11:
	v_mul_u32_u24_e32 v70, 0x44, v69
	s_waitcnt lgkmcnt(0)
	v_add_f32_e32 v72, v72, v73
	s_delay_alu instid0(VALU_DEP_2) | instskip(NEXT) | instid1(VALU_DEP_1)
	v_lshl_add_u32 v70, v68, 2, v70
	v_add_nc_u32_e32 v70, 0x4000, v70
	ds_store_2addr_b32 v70, v71, v72 offset1:136
.LBB801_12:
	s_or_b32 exec_lo, exec_lo, s3
	v_lshlrev_b32_e32 v70, 2, v68
	s_load_b32 s35, s[0:1], 0x94
	s_waitcnt lgkmcnt(0)
	s_barrier
	buffer_gl0_inv
	v_add_nc_u32_e32 v98, 0x4000, v70
	v_cmp_eq_u32_e32 vcc_lo, 1, v69
	v_cmp_eq_u32_e64 s3, 2, v69
	v_cmp_eq_u32_e64 s4, 3, v69
	;; [unrolled: 1-line block ×3, first 2 shown]
	ds_load_2addr_b32 v[70:71], v98 offset1:17
	ds_load_2addr_b32 v[72:73], v98 offset0:34 offset1:51
	ds_load_2addr_b32 v[74:75], v98 offset0:68 offset1:85
	;; [unrolled: 1-line block ×3, first 2 shown]
	v_cmp_eq_u32_e64 s6, 5, v69
	v_cmp_eq_u32_e64 s7, 7, v69
	s_waitcnt lgkmcnt(3)
	v_max3_f32 v76, v70, 0xff7fffff, v71
	s_waitcnt lgkmcnt(2)
	s_delay_alu instid0(VALU_DEP_1) | instskip(SKIP_1) | instid1(VALU_DEP_1)
	v_max3_f32 v76, v76, v72, v73
	s_waitcnt lgkmcnt(1)
	v_max3_f32 v76, v76, v74, v75
	s_waitcnt lgkmcnt(0)
	s_delay_alu instid0(VALU_DEP_1) | instskip(NEXT) | instid1(VALU_DEP_1)
	v_max3_f32 v76, v76, v94, v95
	v_sub_f32_e32 v77, v71, v76
	ds_load_2addr_b32 v[96:97], v98 offset0:136 offset1:153
	v_sub_f32_e32 v74, v74, v76
	v_sub_f32_e32 v70, v70, v76
	;; [unrolled: 1-line block ×3, first 2 shown]
	v_dual_sub_f32 v72, v72, v76 :: v_dual_mul_f32 v77, 0x3fb8aa3b, v77
	s_delay_alu instid0(VALU_DEP_4) | instskip(NEXT) | instid1(VALU_DEP_4)
	v_mul_f32_e32 v103, 0x3fb8aa3b, v74
	v_mul_f32_e32 v99, 0x3fb8aa3b, v70
	ds_load_2addr_b32 v[70:71], v98 offset0:170 offset1:187
	v_dual_mul_f32 v101, 0x3fb8aa3b, v72 :: v_dual_mul_f32 v94, 0x3fb8aa3b, v94
	v_exp_f32_e32 v102, v77
	v_exp_f32_e32 v99, v99
	s_delay_alu instid0(VALU_DEP_1) | instskip(NEXT) | instid1(VALU_DEP_1)
	v_exp_f32_e32 v101, v101
	v_exp_f32_e32 v94, v94
	s_waitcnt lgkmcnt(1)
	s_delay_alu instid0(TRANS32_DEP_3)
	v_fma_f32 v77, v99, v96, 0
	v_sub_f32_e32 v100, v73, v76
	ds_load_2addr_b32 v[72:73], v98 offset0:204 offset1:221
	v_fmac_f32_e32 v77, v102, v97
	v_exp_f32_e32 v97, v103
	s_waitcnt lgkmcnt(1)
	s_delay_alu instid0(VALU_DEP_1)
	v_dual_fmac_f32 v77, v101, v70 :: v_dual_sub_f32 v96, v75, v76
	ds_load_2addr_b32 v[74:75], v98 offset0:238 offset1:255
	v_sub_f32_e32 v70, v95, v76
	s_waitcnt lgkmcnt(0)
	s_barrier
	v_mul_f32_e32 v96, 0x3fb8aa3b, v96
	buffer_gl0_inv
	v_exp_f32_e32 v95, v96
	v_mul_f32_e32 v100, 0x3fb8aa3b, v100
	s_delay_alu instid0(VALU_DEP_1) | instskip(SKIP_3) | instid1(VALU_DEP_2)
	v_exp_f32_e32 v100, v100
	s_waitcnt_depctr 0xfff
	v_dual_fmac_f32 v77, v100, v71 :: v_dual_mul_f32 v70, 0x3fb8aa3b, v70
	v_cndmask_b32_e32 v71, v99, v102, vcc_lo
	v_fmac_f32_e32 v77, v97, v72
	s_delay_alu instid0(VALU_DEP_3) | instskip(NEXT) | instid1(VALU_DEP_1)
	v_exp_f32_e32 v96, v70
	v_fmac_f32_e32 v77, v95, v73
	s_delay_alu instid0(VALU_DEP_1) | instskip(SKIP_2) | instid1(VALU_DEP_1)
	v_fmac_f32_e32 v77, v94, v74
	s_waitcnt_depctr 0xfff
	v_fmac_f32_e32 v77, v96, v75
	v_add_f32_e32 v74, 0x358637bd, v77
	s_delay_alu instid0(VALU_DEP_1) | instskip(SKIP_1) | instid1(VALU_DEP_2)
	v_div_scale_f32 v98, null, v74, v74, 1.0
	v_div_scale_f32 v99, vcc_lo, 1.0, v74, 1.0
	v_rcp_f32_e32 v103, v98
	s_waitcnt_depctr 0xfff
	v_fma_f32 v70, -v98, v103, 1.0
	s_delay_alu instid0(VALU_DEP_1) | instskip(SKIP_2) | instid1(VALU_DEP_2)
	v_fmac_f32_e32 v103, v70, v103
	v_cndmask_b32_e64 v70, v71, v101, s3
	v_cmp_eq_u32_e64 s3, 6, v69
	v_cndmask_b32_e64 v71, v70, v100, s4
	s_delay_alu instid0(VALU_DEP_4) | instskip(NEXT) | instid1(VALU_DEP_2)
	v_dual_mul_f32 v101, v99, v103 :: v_dual_lshlrev_b32 v70, 2, v66
	v_cndmask_b32_e64 v71, v71, v97, s5
	s_delay_alu instid0(VALU_DEP_2) | instskip(NEXT) | instid1(VALU_DEP_3)
	v_or_b32_e32 v72, 1, v70
	v_fma_f32 v100, -v98, v101, v99
	v_cmp_eq_u32_e64 s4, 1, v70
	v_cmp_eq_u32_e64 s5, 2, v70
	v_cndmask_b32_e64 v95, v71, v95, s6
	v_or_b32_e32 v71, 3, v70
	v_fmac_f32_e32 v101, v100, v103
	v_cmp_eq_u32_e64 s9, 1, v72
	v_cmp_eq_u32_e64 s12, 2, v72
	v_cndmask_b32_e64 v94, v95, v94, s3
	v_cmp_eq_u32_e64 s11, 1, v71
	v_fma_f32 v97, -v98, v101, v99
	v_cmp_eq_u32_e64 s16, 2, v71
	v_cmp_eq_u32_e64 s13, 3, v72
	v_cndmask_b32_e64 v94, v94, v96, s7
	v_cmp_eq_u32_e64 s18, 3, v71
	v_div_fmas_f32 v95, v97, v103, v101
	v_cmp_eq_u32_e32 vcc_lo, 3, v70
	v_cmp_eq_u32_e64 s3, 4, v70
	v_cmp_eq_u32_e64 s19, 4, v72
	;; [unrolled: 1-line block ×3, first 2 shown]
	v_div_fixup_f32 v95, v95, v74, 1.0
	v_lshlrev_b32_e32 v73, 6, v68
	v_cmp_eq_u32_e64 s6, 5, v70
	v_cmp_eq_u32_e64 s20, 5, v72
	v_cmp_eq_u32_e64 s24, 5, v71
	v_mul_f32_e32 v102, v94, v95
	v_lshl_or_b32 v75, v69, 11, v73
	v_or_b32_e32 v69, 2, v70
	v_cmp_eq_u32_e64 s25, 6, v72
	v_cmp_eq_u32_e64 s27, 6, v71
	v_fma_mixlo_f16 v94, v102, v79, 0
	v_fma_mixlo_f16 v95, v102, v81, 0
	;; [unrolled: 1-line block ×8, first 2 shown]
	v_lshl_or_b32 v74, v66, 4, v75
	v_fma_mixhi_f16 v94, v102, v78, 0
	v_fma_mixhi_f16 v95, v102, v80, 0
	;; [unrolled: 1-line block ×8, first 2 shown]
	ds_store_b128 v74, v[94:97]
	ds_store_b128 v74, v[98:101] offset:1024
	s_waitcnt lgkmcnt(0)
	s_barrier
	buffer_gl0_inv
	ds_load_b128 v[78:81], v75
	ds_load_b128 v[82:85], v75 offset:16
	ds_load_b128 v[86:89], v75 offset:1024
	;; [unrolled: 1-line block ×3, first 2 shown]
	v_cmp_eq_u32_e64 s10, 1, v69
	v_cmp_eq_u32_e64 s15, 2, v69
	;; [unrolled: 1-line block ×11, first 2 shown]
	s_waitcnt lgkmcnt(3)
	v_lshrrev_b32_e32 v94, 16, v78
	s_waitcnt lgkmcnt(2)
	v_lshrrev_b32_e32 v98, 16, v82
	;; [unrolled: 2-line block ×4, first 2 shown]
	v_lshrrev_b32_e32 v95, 16, v79
	v_cndmask_b32_e64 v110, v78, v94, s4
	v_cndmask_b32_e64 v111, v82, v98, s4
	;; [unrolled: 1-line block ×8, first 2 shown]
	v_lshrrev_b32_e32 v99, 16, v83
	v_cndmask_b32_e64 v94, v86, v102, s4
	v_cndmask_b32_e64 v98, v90, v106, s4
	;; [unrolled: 1-line block ×15, first 2 shown]
	v_lshrrev_b32_e32 v103, 16, v87
	v_lshrrev_b32_e32 v107, 16, v91
	v_cndmask_b32_e64 v113, v115, v83, s15
	v_cndmask_b32_e64 v82, v94, v87, s5
	;; [unrolled: 1-line block ×7, first 2 shown]
	v_cndmask_b32_e32 v90, v102, v95, vcc_lo
	v_cndmask_b32_e32 v102, v106, v99, vcc_lo
	v_cndmask_b32_e64 v106, v110, v95, s13
	v_cndmask_b32_e64 v110, v111, v99, s13
	;; [unrolled: 1-line block ×4, first 2 shown]
	v_lshrrev_b32_e32 v96, 16, v80
	v_lshrrev_b32_e32 v100, 16, v84
	v_cndmask_b32_e64 v111, v112, v95, s17
	v_cndmask_b32_e64 v112, v113, v99, s17
	v_cndmask_b32_e32 v82, v82, v103, vcc_lo
	v_cndmask_b32_e32 v83, v83, v107, vcc_lo
	v_cndmask_b32_e64 v94, v94, v103, s13
	v_cndmask_b32_e64 v90, v90, v80, s3
	;; [unrolled: 1-line block ×7, first 2 shown]
	v_lshrrev_b32_e32 v104, 16, v88
	v_cndmask_b32_e64 v106, v111, v80, s21
	v_cndmask_b32_e64 v110, v112, v84, s21
	;; [unrolled: 1-line block ×11, first 2 shown]
	v_lshrrev_b32_e32 v97, 16, v81
	v_lshrrev_b32_e32 v101, 16, v85
	v_cndmask_b32_e64 v99, v106, v96, s23
	v_cndmask_b32_e64 v102, v110, v100, s23
	;; [unrolled: 1-line block ×7, first 2 shown]
	v_lshrrev_b32_e32 v105, 16, v89
	v_cndmask_b32_e64 v80, v80, v104, s6
	v_cndmask_b32_e64 v84, v84, v81, s7
	;; [unrolled: 1-line block ×16, first 2 shown]
	v_perm_b32 v81, v79, v78, 0x5040100
	v_perm_b32 v79, v95, v85, 0x5040100
	v_cndmask_b32_e64 v78, v119, v91, s15
	v_cndmask_b32_e64 v85, v117, v91, s12
	;; [unrolled: 1-line block ×3, first 2 shown]
	v_perm_b32 v80, v94, v90, 0x5040100
	v_cndmask_b32_e64 v90, v98, v103, s17
	v_cndmask_b32_e64 v86, v86, v103, s18
	;; [unrolled: 1-line block ×5, first 2 shown]
	v_lshrrev_b32_e32 v108, 16, v92
	v_cndmask_b32_e64 v90, v90, v88, s21
	v_cndmask_b32_e64 v86, v86, v88, s22
	;; [unrolled: 1-line block ×11, first 2 shown]
	v_lshrrev_b32_e32 v109, 16, v93
	v_cndmask_b32_e64 v82, v82, v93, s7
	v_cndmask_b32_e64 v88, v88, v89, s26
	;; [unrolled: 1-line block ×12, first 2 shown]
	v_perm_b32 v78, v84, v83, 0x5040100
	v_perm_b32 v85, v87, v86, 0x5040100
	;; [unrolled: 1-line block ×5, first 2 shown]
	s_mul_i32 s8, s33, 12
	s_mov_b32 s3, exec_lo
	ds_store_b128 v74, v[78:81]
	ds_store_b128 v74, v[82:85] offset:1024
	v_cmpx_gt_u32_e32 12, v0
	s_cbranch_execz .LBB801_14
; %bb.13:
	s_mul_i32 s4, s8, s34
	s_delay_alu instid0(SALU_CYCLE_1) | instskip(SKIP_1) | instid1(VALU_DEP_1)
	v_add3_u32 v68, s4, s31, v68
	s_load_b128 s[4:7], s[0:1], 0x58
	v_mad_u64_u32 v[78:79], null, v68, s35, s[14:15]
	s_delay_alu instid0(VALU_DEP_1) | instskip(NEXT) | instid1(VALU_DEP_1)
	v_ashrrev_i32_e32 v79, 31, v78
	v_lshlrev_b64 v[78:79], 2, v[78:79]
	s_waitcnt lgkmcnt(0)
	s_delay_alu instid0(VALU_DEP_1) | instskip(NEXT) | instid1(VALU_DEP_2)
	v_add_co_u32 v80, vcc_lo, s6, v78
	v_add_co_ci_u32_e32 v81, vcc_lo, s7, v79, vcc_lo
	v_add_co_u32 v78, vcc_lo, s4, v78
	v_add_co_ci_u32_e32 v79, vcc_lo, s5, v79, vcc_lo
	global_store_b32 v[80:81], v76, off
	global_store_b32 v[78:79], v77, off
.LBB801_14:
	s_or_b32 exec_lo, exec_lo, s3
	s_waitcnt lgkmcnt(0)
	s_waitcnt_vscnt null, 0x0
	s_barrier
	buffer_gl0_inv
	ds_load_b128 v[84:87], v73
	ds_load_b128 v[88:91], v73 offset:16
	ds_load_b128 v[96:99], v73 offset:2064
	;; [unrolled: 1-line block ×5, first 2 shown]
	v_cmp_eq_u32_e32 vcc_lo, 1, v70
	v_mov_b32_e32 v76, 0
	ds_load_b128 v[112:115], v73 offset:6160
	ds_load_b128 v[108:111], v73 offset:6144
	ds_load_b128 v[120:123], v73 offset:8208
	ds_load_b128 v[116:119], v73 offset:8192
	v_cmp_eq_u32_e64 s4, 1, v69
	v_cmp_eq_u32_e64 s3, 1, v72
	;; [unrolled: 1-line block ×3, first 2 shown]
	v_mov_b32_e32 v77, v76
	v_mov_b32_e32 v78, v76
	;; [unrolled: 1-line block ×7, first 2 shown]
	v_cmp_eq_u32_e64 s6, 3, v72
	v_cmp_eq_u32_e64 s7, 7, v72
	s_waitcnt lgkmcnt(8)
	s_delay_alu instid0(VALU_DEP_3)
	v_wmma_f32_16x16x16_f16 v[76:83], v[49:56], v[84:91], v[76:83]
	ds_load_b128 v[53:56], v73 offset:10256
	ds_load_b128 v[49:52], v73 offset:10240
	s_waitcnt lgkmcnt(8)
	v_wmma_f32_16x16x16_f16 v[76:83], v[41:48], v[92:99], v[76:83]
	ds_load_b128 v[45:48], v73 offset:12304
	ds_load_b128 v[41:44], v73 offset:12288
	s_waitcnt lgkmcnt(8)
	;; [unrolled: 4-line block ×3, first 2 shown]
	s_barrier
	buffer_gl0_inv
	v_wmma_f32_16x16x16_f16 v[76:83], v[1:8], v[108:115], v[76:83]
	s_delay_alu instid0(VALU_DEP_1) | instskip(NEXT) | instid1(VALU_DEP_1)
	v_wmma_f32_16x16x16_f16 v[76:83], v[9:16], v[116:123], v[76:83]
	v_wmma_f32_16x16x16_f16 v[76:83], v[17:24], v[49:56], v[76:83]
	s_delay_alu instid0(VALU_DEP_1) | instskip(NEXT) | instid1(VALU_DEP_1)
	v_wmma_f32_16x16x16_f16 v[76:83], v[25:32], v[41:48], v[76:83]
	v_wmma_f32_16x16x16_f16 v[76:83], v[57:64], v[33:40], v[76:83]
	s_delay_alu instid0(VALU_DEP_1) | instskip(NEXT) | instid1(VALU_DEP_2)
	v_cvt_f16_f32_e32 v1, v76
	v_cvt_f16_f32_e32 v2, v77
	s_delay_alu instid0(VALU_DEP_3) | instskip(NEXT) | instid1(VALU_DEP_4)
	v_cvt_f16_f32_e32 v3, v78
	v_cvt_f16_f32_e32 v4, v79
	;; [unrolled: 1-line block ×6, first 2 shown]
	v_pack_b32_f16 v1, v1, v2
	v_pack_b32_f16 v2, v3, v4
	;; [unrolled: 1-line block ×3, first 2 shown]
	s_delay_alu instid0(VALU_DEP_4)
	v_pack_b32_f16 v4, v7, v8
	ds_store_b128 v74, v[1:4]
	s_waitcnt lgkmcnt(0)
	s_barrier
	buffer_gl0_inv
	ds_load_b128 v[1:4], v75
	ds_load_b128 v[5:8], v75 offset:16
	s_waitcnt lgkmcnt(1)
	v_lshrrev_b32_e32 v9, 16, v1
	s_waitcnt lgkmcnt(0)
	v_lshrrev_b32_e32 v13, 16, v5
	v_lshrrev_b32_e32 v10, 16, v2
	v_lshrrev_b32_e32 v14, 16, v6
	v_lshrrev_b32_e32 v11, 16, v3
	v_cndmask_b32_e32 v17, v1, v9, vcc_lo
	v_cndmask_b32_e32 v18, v5, v13, vcc_lo
	v_cndmask_b32_e64 v21, v1, v9, s4
	v_cmp_eq_u32_e32 vcc_lo, 1, v71
	v_cndmask_b32_e64 v22, v5, v13, s4
	v_cmp_eq_u32_e64 s4, 2, v70
	v_cndmask_b32_e64 v19, v1, v9, s3
	v_cndmask_b32_e64 v20, v5, v13, s3
	v_cndmask_b32_e32 v1, v1, v9, vcc_lo
	v_cmp_eq_u32_e64 s3, 2, v71
	v_cndmask_b32_e32 v5, v5, v13, vcc_lo
	v_cndmask_b32_e64 v9, v17, v2, s4
	v_cmp_eq_u32_e32 vcc_lo, 3, v70
	v_cndmask_b32_e64 v13, v18, v6, s4
	v_cmp_eq_u32_e64 s4, 2, v69
	v_cndmask_b32_e64 v17, v19, v2, s5
	v_cndmask_b32_e64 v18, v20, v6, s5
	v_cmp_eq_u32_e64 s5, 3, v69
	v_cndmask_b32_e64 v1, v1, v2, s3
	v_cndmask_b32_e64 v19, v21, v2, s4
	;; [unrolled: 1-line block ×4, first 2 shown]
	v_cndmask_b32_e32 v5, v9, v10, vcc_lo
	v_cndmask_b32_e32 v6, v13, v14, vcc_lo
	v_cmp_eq_u32_e32 vcc_lo, 3, v71
	v_cndmask_b32_e64 v9, v17, v10, s6
	v_cndmask_b32_e64 v13, v18, v14, s6
	v_cndmask_b32_e64 v18, v20, v14, s5
	v_cmp_eq_u32_e64 s4, 4, v70
	v_cndmask_b32_e32 v1, v1, v10, vcc_lo
	v_cndmask_b32_e32 v2, v2, v14, vcc_lo
	v_cmp_eq_u32_e32 vcc_lo, 4, v72
	v_lshrrev_b32_e32 v15, 16, v7
	v_lshrrev_b32_e32 v16, 16, v8
	v_cndmask_b32_e64 v17, v19, v10, s5
	v_cmp_eq_u32_e64 s3, 4, v71
	v_cndmask_b32_e64 v5, v5, v3, s4
	v_cndmask_b32_e64 v6, v6, v7, s4
	v_cndmask_b32_e32 v9, v9, v3, vcc_lo
	v_cmp_eq_u32_e64 s4, 5, v72
	v_cndmask_b32_e32 v10, v13, v7, vcc_lo
	v_cmp_eq_u32_e32 vcc_lo, 4, v69
	v_cmp_eq_u32_e64 s5, 5, v70
	v_cndmask_b32_e64 v2, v2, v7, s3
	v_cndmask_b32_e64 v9, v9, v11, s4
	;; [unrolled: 1-line block ×3, first 2 shown]
	v_cndmask_b32_e32 v13, v17, v3, vcc_lo
	v_cmp_eq_u32_e64 s4, 5, v69
	v_cndmask_b32_e32 v14, v18, v7, vcc_lo
	v_cndmask_b32_e64 v1, v1, v3, s3
	v_cmp_eq_u32_e32 vcc_lo, 5, v71
	v_lshrrev_b32_e32 v12, 16, v4
	v_cndmask_b32_e64 v13, v13, v11, s4
	v_cndmask_b32_e64 v3, v14, v15, s4
	v_cmp_eq_u32_e64 s4, 6, v71
	v_cndmask_b32_e32 v1, v1, v11, vcc_lo
	v_cndmask_b32_e64 v5, v5, v11, s5
	v_cmp_eq_u32_e64 s6, 6, v70
	v_cndmask_b32_e64 v6, v6, v15, s5
	v_cmp_eq_u32_e64 s5, 6, v72
	v_cmp_eq_u32_e64 s3, 6, v69
	v_cndmask_b32_e64 v1, v1, v4, s4
	v_cndmask_b32_e32 v2, v2, v15, vcc_lo
	v_cmp_eq_u32_e32 vcc_lo, 7, v71
	v_cndmask_b32_e64 v5, v5, v4, s6
	v_cndmask_b32_e64 v9, v9, v4, s5
	;; [unrolled: 1-line block ×3, first 2 shown]
	v_cmp_eq_u32_e64 s6, 7, v70
	v_cndmask_b32_e32 v1, v1, v12, vcc_lo
	v_cndmask_b32_e64 v7, v13, v4, s3
	v_cndmask_b32_e64 v3, v3, v8, s3
	;; [unrolled: 1-line block ×3, first 2 shown]
	v_cmp_eq_u32_e64 s3, 7, v69
	v_cndmask_b32_e64 v4, v10, v8, s5
	v_cndmask_b32_e64 v5, v5, v12, s6
	;; [unrolled: 1-line block ×3, first 2 shown]
	v_cndmask_b32_e32 v2, v2, v16, vcc_lo
	v_cndmask_b32_e64 v7, v7, v12, s3
	v_cndmask_b32_e64 v3, v3, v16, s3
	;; [unrolled: 1-line block ×4, first 2 shown]
	v_cmp_gt_u32_e32 vcc_lo, 32, v0
	v_perm_b32 v4, v2, v1, 0x5040100
	v_perm_b32 v3, v3, v7, 0x5040100
	;; [unrolled: 1-line block ×4, first 2 shown]
	s_and_b32 s2, vcc_lo, s2
	ds_store_b128 v74, v[1:4]
	s_waitcnt lgkmcnt(0)
	s_barrier
	buffer_gl0_inv
	s_and_saveexec_b32 s3, s2
	s_cbranch_execz .LBB801_2
; %bb.15:
	s_load_b64 s[0:1], s[0:1], 0x68
	v_lshlrev_b32_e32 v0, 10, v0
	s_lshl_b32 s4, s35, 6
	v_or_b32_e32 v3, s31, v66
	s_mul_i32 s2, s4, s34
	v_lshlrev_b32_e32 v1, 4, v67
	s_mul_i32 s2, s2, s8
	v_lshlrev_b32_e32 v2, 6, v66
	v_and_b32_e32 v0, 0x3800, v0
	s_ashr_i32 s3, s2, 31
	v_mul_lo_u32 v4, v3, s4
	s_lshl_b64 s[2:3], s[2:3], 1
	s_delay_alu instid0(VALU_DEP_2) | instskip(NEXT) | instid1(VALU_DEP_2)
	v_or3_b32 v16, v0, v1, v2
	v_ashrrev_i32_e32 v5, 31, v4
	ds_load_b128 v[0:3], v16
	s_waitcnt lgkmcnt(0)
	s_add_u32 s2, s0, s2
	s_addc_u32 s3, s1, s3
	s_lshl_b32 s0, s14, 6
	v_lshlrev_b64 v[5:6], 1, v[4:5]
	s_ashr_i32 s1, s0, 31
	s_delay_alu instid0(SALU_CYCLE_1) | instskip(NEXT) | instid1(SALU_CYCLE_1)
	s_lshl_b64 s[0:1], s[0:1], 1
	s_add_u32 s0, s2, s0
	s_addc_u32 s1, s3, s1
	s_lshl_b32 s2, s35, 7
	v_add_co_u32 v30, s0, s0, v65
	v_add_nc_u32_e32 v8, s2, v4
	v_add_co_ci_u32_e64 v31, null, s1, 0, s0
	s_delay_alu instid0(VALU_DEP_3) | instskip(NEXT) | instid1(VALU_DEP_3)
	v_add_co_u32 v12, vcc_lo, v30, v5
	v_add_nc_u32_e32 v10, s2, v8
	v_ashrrev_i32_e32 v9, 31, v8
	s_delay_alu instid0(VALU_DEP_4)
	v_add_co_ci_u32_e32 v13, vcc_lo, v31, v6, vcc_lo
	ds_load_b128 v[4:7], v16 offset:128
	v_ashrrev_i32_e32 v11, 31, v10
	v_lshlrev_b64 v[8:9], 1, v[8:9]
	v_add_nc_u32_e32 v14, s2, v10
	global_store_b128 v[12:13], v[0:3], off
	v_lshlrev_b64 v[0:1], 1, v[10:11]
	v_ashrrev_i32_e32 v15, 31, v14
	v_add_co_u32 v22, vcc_lo, v30, v8
	v_add_nc_u32_e32 v20, s2, v14
	v_add_co_ci_u32_e32 v23, vcc_lo, v31, v9, vcc_lo
	v_add_co_u32 v26, vcc_lo, v30, v0
	v_lshlrev_b64 v[24:25], 1, v[14:15]
	v_add_co_ci_u32_e32 v27, vcc_lo, v31, v1, vcc_lo
	ds_load_b128 v[0:3], v16 offset:256
	ds_load_b128 v[8:11], v16 offset:384
	;; [unrolled: 1-line block ×4, first 2 shown]
	v_add_nc_u32_e32 v28, s2, v20
	v_ashrrev_i32_e32 v21, 31, v20
	v_add_co_u32 v24, vcc_lo, v30, v24
	v_add_co_ci_u32_e32 v25, vcc_lo, v31, v25, vcc_lo
	s_delay_alu instid0(VALU_DEP_4) | instskip(NEXT) | instid1(VALU_DEP_4)
	v_ashrrev_i32_e32 v29, 31, v28
	v_lshlrev_b64 v[20:21], 1, v[20:21]
	s_delay_alu instid0(VALU_DEP_2) | instskip(NEXT) | instid1(VALU_DEP_2)
	v_lshlrev_b64 v[28:29], 1, v[28:29]
	v_add_co_u32 v20, vcc_lo, v30, v20
	s_delay_alu instid0(VALU_DEP_3) | instskip(NEXT) | instid1(VALU_DEP_3)
	v_add_co_ci_u32_e32 v21, vcc_lo, v31, v21, vcc_lo
	v_add_co_u32 v28, vcc_lo, v30, v28
	s_delay_alu instid0(VALU_DEP_4)
	v_add_co_ci_u32_e32 v29, vcc_lo, v31, v29, vcc_lo
	s_waitcnt lgkmcnt(4)
	global_store_b128 v[22:23], v[4:7], off
	s_waitcnt lgkmcnt(3)
	global_store_b128 v[26:27], v[0:3], off
	;; [unrolled: 2-line block ×5, first 2 shown]
	s_nop 0
	s_sendmsg sendmsg(MSG_DEALLOC_VGPRS)
	s_endpgm
	.section	.rodata,"a",@progbits
	.p2align	6, 0x0
	.amdhsa_kernel _Z39paged_attention_ll4mi_QKV_mfma16_kernelIDF16_hLN4vllm18Fp8KVCacheDataTypeE1EhLi16ELi64ELi256ELb0ELi12EL8MFMAType1EEvPKT_PKT0_S8_ifPKiSA_SA_iPKfiiiPfSD_PS3_PT2_iSC_SC_
		.amdhsa_group_segment_fixed_size 17472
		.amdhsa_private_segment_fixed_size 0
		.amdhsa_kernarg_size 400
		.amdhsa_user_sgpr_count 13
		.amdhsa_user_sgpr_dispatch_ptr 0
		.amdhsa_user_sgpr_queue_ptr 0
		.amdhsa_user_sgpr_kernarg_segment_ptr 1
		.amdhsa_user_sgpr_dispatch_id 0
		.amdhsa_user_sgpr_private_segment_size 0
		.amdhsa_wavefront_size32 1
		.amdhsa_uses_dynamic_stack 0
		.amdhsa_enable_private_segment 0
		.amdhsa_system_sgpr_workgroup_id_x 1
		.amdhsa_system_sgpr_workgroup_id_y 1
		.amdhsa_system_sgpr_workgroup_id_z 1
		.amdhsa_system_sgpr_workgroup_info 0
		.amdhsa_system_vgpr_workitem_id 0
		.amdhsa_next_free_vgpr 146
		.amdhsa_next_free_sgpr 36
		.amdhsa_reserve_vcc 1
		.amdhsa_float_round_mode_32 0
		.amdhsa_float_round_mode_16_64 0
		.amdhsa_float_denorm_mode_32 3
		.amdhsa_float_denorm_mode_16_64 3
		.amdhsa_dx10_clamp 1
		.amdhsa_ieee_mode 1
		.amdhsa_fp16_overflow 0
		.amdhsa_workgroup_processor_mode 1
		.amdhsa_memory_ordered 1
		.amdhsa_forward_progress 0
		.amdhsa_shared_vgpr_count 0
		.amdhsa_exception_fp_ieee_invalid_op 0
		.amdhsa_exception_fp_denorm_src 0
		.amdhsa_exception_fp_ieee_div_zero 0
		.amdhsa_exception_fp_ieee_overflow 0
		.amdhsa_exception_fp_ieee_underflow 0
		.amdhsa_exception_fp_ieee_inexact 0
		.amdhsa_exception_int_div_zero 0
	.end_amdhsa_kernel
	.section	.text._Z39paged_attention_ll4mi_QKV_mfma16_kernelIDF16_hLN4vllm18Fp8KVCacheDataTypeE1EhLi16ELi64ELi256ELb0ELi12EL8MFMAType1EEvPKT_PKT0_S8_ifPKiSA_SA_iPKfiiiPfSD_PS3_PT2_iSC_SC_,"axG",@progbits,_Z39paged_attention_ll4mi_QKV_mfma16_kernelIDF16_hLN4vllm18Fp8KVCacheDataTypeE1EhLi16ELi64ELi256ELb0ELi12EL8MFMAType1EEvPKT_PKT0_S8_ifPKiSA_SA_iPKfiiiPfSD_PS3_PT2_iSC_SC_,comdat
.Lfunc_end801:
	.size	_Z39paged_attention_ll4mi_QKV_mfma16_kernelIDF16_hLN4vllm18Fp8KVCacheDataTypeE1EhLi16ELi64ELi256ELb0ELi12EL8MFMAType1EEvPKT_PKT0_S8_ifPKiSA_SA_iPKfiiiPfSD_PS3_PT2_iSC_SC_, .Lfunc_end801-_Z39paged_attention_ll4mi_QKV_mfma16_kernelIDF16_hLN4vllm18Fp8KVCacheDataTypeE1EhLi16ELi64ELi256ELb0ELi12EL8MFMAType1EEvPKT_PKT0_S8_ifPKiSA_SA_iPKfiiiPfSD_PS3_PT2_iSC_SC_
                                        ; -- End function
	.section	.AMDGPU.csdata,"",@progbits
; Kernel info:
; codeLenInByte = 6588
; NumSgprs: 38
; NumVgprs: 146
; ScratchSize: 0
; MemoryBound: 0
; FloatMode: 240
; IeeeMode: 1
; LDSByteSize: 17472 bytes/workgroup (compile time only)
; SGPRBlocks: 4
; VGPRBlocks: 18
; NumSGPRsForWavesPerEU: 38
; NumVGPRsForWavesPerEU: 146
; Occupancy: 9
; WaveLimiterHint : 1
; COMPUTE_PGM_RSRC2:SCRATCH_EN: 0
; COMPUTE_PGM_RSRC2:USER_SGPR: 13
; COMPUTE_PGM_RSRC2:TRAP_HANDLER: 0
; COMPUTE_PGM_RSRC2:TGID_X_EN: 1
; COMPUTE_PGM_RSRC2:TGID_Y_EN: 1
; COMPUTE_PGM_RSRC2:TGID_Z_EN: 1
; COMPUTE_PGM_RSRC2:TIDIG_COMP_CNT: 0
	.section	.text._Z39paged_attention_ll4mi_QKV_mfma16_kernelIDF16_hLN4vllm18Fp8KVCacheDataTypeE1EhLi16ELi64ELi256ELb0ELi13EL8MFMAType1EEvPKT_PKT0_S8_ifPKiSA_SA_iPKfiiiPfSD_PS3_PT2_iSC_SC_,"axG",@progbits,_Z39paged_attention_ll4mi_QKV_mfma16_kernelIDF16_hLN4vllm18Fp8KVCacheDataTypeE1EhLi16ELi64ELi256ELb0ELi13EL8MFMAType1EEvPKT_PKT0_S8_ifPKiSA_SA_iPKfiiiPfSD_PS3_PT2_iSC_SC_,comdat
	.protected	_Z39paged_attention_ll4mi_QKV_mfma16_kernelIDF16_hLN4vllm18Fp8KVCacheDataTypeE1EhLi16ELi64ELi256ELb0ELi13EL8MFMAType1EEvPKT_PKT0_S8_ifPKiSA_SA_iPKfiiiPfSD_PS3_PT2_iSC_SC_ ; -- Begin function _Z39paged_attention_ll4mi_QKV_mfma16_kernelIDF16_hLN4vllm18Fp8KVCacheDataTypeE1EhLi16ELi64ELi256ELb0ELi13EL8MFMAType1EEvPKT_PKT0_S8_ifPKiSA_SA_iPKfiiiPfSD_PS3_PT2_iSC_SC_
	.globl	_Z39paged_attention_ll4mi_QKV_mfma16_kernelIDF16_hLN4vllm18Fp8KVCacheDataTypeE1EhLi16ELi64ELi256ELb0ELi13EL8MFMAType1EEvPKT_PKT0_S8_ifPKiSA_SA_iPKfiiiPfSD_PS3_PT2_iSC_SC_
	.p2align	8
	.type	_Z39paged_attention_ll4mi_QKV_mfma16_kernelIDF16_hLN4vllm18Fp8KVCacheDataTypeE1EhLi16ELi64ELi256ELb0ELi13EL8MFMAType1EEvPKT_PKT0_S8_ifPKiSA_SA_iPKfiiiPfSD_PS3_PT2_iSC_SC_,@function
_Z39paged_attention_ll4mi_QKV_mfma16_kernelIDF16_hLN4vllm18Fp8KVCacheDataTypeE1EhLi16ELi64ELi256ELb0ELi13EL8MFMAType1EEvPKT_PKT0_S8_ifPKiSA_SA_iPKfiiiPfSD_PS3_PT2_iSC_SC_: ; @_Z39paged_attention_ll4mi_QKV_mfma16_kernelIDF16_hLN4vllm18Fp8KVCacheDataTypeE1EhLi16ELi64ELi256ELb0ELi13EL8MFMAType1EEvPKT_PKT0_S8_ifPKiSA_SA_iPKfiiiPfSD_PS3_PT2_iSC_SC_
; %bb.0:
	s_load_b64 s[2:3], s[0:1], 0x30
	s_mov_b32 s34, s13
	s_waitcnt lgkmcnt(0)
	s_cmp_lg_u64 s[2:3], 0
	s_cselect_b32 s6, -1, 0
	s_ashr_i32 s35, s13, 31
	s_cmp_eq_u64 s[2:3], 0
	s_cbranch_scc1 .LBB802_3
; %bb.1:
	s_lshl_b64 s[4:5], s[34:35], 2
	s_delay_alu instid0(SALU_CYCLE_1) | instskip(SKIP_4) | instid1(SALU_CYCLE_1)
	s_add_u32 s4, s2, s4
	s_addc_u32 s5, s3, s5
	s_load_b64 s[4:5], s[4:5], 0x0
	s_waitcnt lgkmcnt(0)
	s_sub_i32 s4, s5, s4
	s_cmp_eq_u32 s4, 1
	s_cselect_b32 s4, -1, 0
	s_delay_alu instid0(SALU_CYCLE_1)
	s_and_not1_b32 vcc_lo, exec_lo, s4
	s_cbranch_vccz .LBB802_4
.LBB802_2:
	s_nop 0
	s_sendmsg sendmsg(MSG_DEALLOC_VGPRS)
	s_endpgm
.LBB802_3:
.LBB802_4:
	s_load_b64 s[8:9], s[0:1], 0x28
	s_lshl_b64 s[4:5], s[34:35], 2
	s_waitcnt lgkmcnt(0)
	s_add_u32 s8, s8, s4
	s_addc_u32 s9, s9, s5
	s_lshl_b32 s16, s14, 8
	s_load_b32 s18, s[8:9], 0x0
	s_waitcnt lgkmcnt(0)
	s_cmp_ge_i32 s16, s18
	s_cbranch_scc1 .LBB802_2
; %bb.5:
	s_clause 0x1
	s_load_b128 s[8:11], s[0:1], 0x8
	s_load_b64 s[12:13], s[0:1], 0x20
	s_and_not1_b32 vcc_lo, exec_lo, s6
	s_cbranch_vccnz .LBB802_7
; %bb.6:
	s_add_u32 s2, s2, s4
	s_addc_u32 s3, s3, s5
	s_load_b32 s3, s[2:3], 0x0
	s_branch .LBB802_8
.LBB802_7:
	s_mov_b32 s3, s34
.LBB802_8:
	s_load_b128 s[4:7], s[0:1], 0x48
	v_lshrrev_b32_e32 v69, 5, v0
	v_bfe_u32 v66, v0, 4, 1
	v_and_b32_e32 v68, 15, v0
	v_and_b32_e32 v70, 31, v0
	;; [unrolled: 1-line block ×3, first 2 shown]
	s_mul_i32 s33, s15, 13
	v_lshl_or_b32 v1, v69, 1, v66
	v_lshlrev_b32_e32 v2, 3, v68
	v_cmp_gt_u32_e64 s2, 8, v68
	s_delay_alu instid0(VALU_DEP_3) | instskip(NEXT) | instid1(VALU_DEP_3)
	v_cmp_gt_u32_e32 vcc_lo, 13, v1
	v_lshlrev_b32_e32 v65, 1, v2
	s_delay_alu instid0(VALU_DEP_3)
	s_and_b32 s17, s2, vcc_lo
	s_waitcnt lgkmcnt(0)
	s_and_saveexec_b32 s7, s17
	s_cbranch_execz .LBB802_10
; %bb.9:
	s_load_b64 s[20:21], s[0:1], 0x0
	v_add_lshl_u32 v2, v1, s33, 6
	s_mul_hi_i32 s23, s3, s4
	s_mul_i32 s22, s3, s4
	v_lshlrev_b32_e32 v6, 10, v68
	s_lshl_b64 s[22:23], s[22:23], 1
	v_ashrrev_i32_e32 v3, 31, v2
	v_lshlrev_b32_e32 v1, 6, v1
	v_lshlrev_b32_e32 v7, 10, v67
	v_and_b32_e32 v6, 0x3800, v6
	s_delay_alu instid0(VALU_DEP_4) | instskip(NEXT) | instid1(VALU_DEP_2)
	v_lshlrev_b64 v[2:3], 1, v[2:3]
	v_or3_b32 v1, v6, v7, v1
	s_waitcnt lgkmcnt(0)
	s_add_u32 s3, s20, s22
	s_addc_u32 s4, s21, s23
	s_delay_alu instid0(VALU_DEP_2) | instskip(SKIP_1) | instid1(VALU_DEP_2)
	v_add_co_u32 v2, vcc_lo, s3, v2
	v_add_co_ci_u32_e32 v3, vcc_lo, s4, v3, vcc_lo
	v_add_co_u32 v2, vcc_lo, v2, v65
	s_delay_alu instid0(VALU_DEP_2)
	v_add_co_ci_u32_e32 v3, vcc_lo, 0, v3, vcc_lo
	global_load_b128 v[2:5], v[2:3], off
	s_waitcnt vmcnt(0)
	ds_store_b128 v1, v[2:5]
.LBB802_10:
	s_or_b32 exec_lo, exec_lo, s7
	v_and_b32_e32 v1, 0xef, v0
	s_add_i32 s3, s18, 15
	s_clause 0x1
	s_load_b32 s4, s[0:1], 0x38
	s_load_b32 s35, s[0:1], 0x98
	s_ashr_i32 s7, s3, 31
	v_add_nc_u32_e32 v1, s16, v1
	s_lshr_b32 s7, s7, 28
	s_load_b32 s19, s[0:1], 0x1c
	v_add_nc_u32_e32 v103, -13, v68
	s_add_i32 s3, s3, s7
	v_ashrrev_i32_e32 v2, 31, v1
	v_or_b32_e32 v3, 16, v1
	s_ashr_i32 s3, s3, 4
	v_cmp_gt_i32_e32 vcc_lo, s18, v1
	s_add_i32 s3, s3, -1
	v_lshrrev_b32_e32 v2, 28, v2
	s_waitcnt lgkmcnt(0)
	s_barrier
	buffer_gl0_inv
	s_mul_i32 s15, s15, s6
	v_add_nc_u32_e32 v4, v1, v2
	v_mbcnt_lo_u32_b32 v127, -1, 0
	s_mul_i32 s20, s34, s4
	s_delay_alu instid0(SALU_CYCLE_1) | instskip(NEXT) | instid1(VALU_DEP_2)
	s_ashr_i32 s21, s20, 31
	v_ashrrev_i32_e32 v4, 4, v4
	v_add_nc_u32_e32 v2, v3, v2
	s_lshl_b64 s[20:21], s[20:21], 2
	v_xor_b32_e32 v128, 16, v127
	s_add_u32 s17, s12, s20
	v_cndmask_b32_e32 v1, s3, v4, vcc_lo
	v_ashrrev_i32_e32 v2, 4, v2
	v_cmp_gt_i32_e32 vcc_lo, s18, v3
	s_addc_u32 s13, s13, s21
	s_ashr_i32 s20, s15, 31
	s_add_u32 s4, s8, s15
	s_addc_u32 s12, s9, s20
	v_cndmask_b32_e32 v3, s3, v2, vcc_lo
	v_ashrrev_i32_e32 v2, 31, v1
	s_lshl_b32 s6, s14, 4
	s_delay_alu instid0(SALU_CYCLE_1) | instskip(NEXT) | instid1(VALU_DEP_2)
	s_ashr_i32 s7, s6, 31
	v_ashrrev_i32_e32 v4, 31, v3
	s_delay_alu instid0(VALU_DEP_2) | instskip(SKIP_1) | instid1(SALU_CYCLE_1)
	v_lshlrev_b64 v[1:2], 2, v[1:2]
	s_lshl_b64 s[6:7], s[6:7], 2
	s_add_u32 s6, s17, s6
	s_delay_alu instid0(VALU_DEP_2) | instskip(SKIP_1) | instid1(VALU_DEP_2)
	v_lshlrev_b64 v[3:4], 2, v[3:4]
	s_addc_u32 s7, s13, s7
	v_add_co_u32 v1, vcc_lo, s17, v1
	v_add_co_ci_u32_e32 v2, vcc_lo, s13, v2, vcc_lo
	s_delay_alu instid0(VALU_DEP_3) | instskip(NEXT) | instid1(VALU_DEP_4)
	v_add_co_u32 v3, vcc_lo, s17, v3
	v_add_co_ci_u32_e32 v4, vcc_lo, s13, v4, vcc_lo
	s_clause 0x1
	global_load_b32 v5, v[1:2], off
	global_load_b32 v7, v[3:4], off
	s_or_b32 s8, s16, 32
	v_lshlrev_b32_e32 v1, 4, v0
	s_ashr_i32 s9, s8, 4
	s_cmp_lt_i32 s8, s18
	v_cmp_gt_u32_e32 vcc_lo, 13, v68
	s_cselect_b32 s8, s9, s3
	v_and_b32_e32 v1, 0xf0, v1
	s_ashr_i32 s9, s8, 31
	s_delay_alu instid0(SALU_CYCLE_1)
	s_lshl_b64 s[8:9], s[8:9], 2
	v_cndmask_b32_e32 v103, v103, v68, vcc_lo
	s_add_u32 s8, s17, s8
	s_addc_u32 s9, s13, s9
	s_or_b32 s21, s16, 64
	v_add_co_u32 v1, s4, s4, v1
	s_ashr_i32 s22, s21, 4
	s_cmp_lt_i32 s21, s18
	v_add_co_ci_u32_e64 v2, null, s12, 0, s4
	s_cselect_b32 s22, s22, s3
	v_cmp_gt_i32_e32 vcc_lo, 32, v128
	s_ashr_i32 s23, s22, 31
	v_lshlrev_b32_e32 v115, 6, v103
	s_lshl_b64 s[22:23], s[22:23], 2
	v_cndmask_b32_e32 v136, v127, v128, vcc_lo
	s_add_u32 s22, s17, s22
	s_addc_u32 s23, s13, s23
	s_or_b32 s21, s16, 0x60
	s_delay_alu instid0(SALU_CYCLE_1) | instskip(SKIP_2) | instid1(SALU_CYCLE_1)
	s_ashr_i32 s24, s21, 4
	s_cmp_lt_i32 s21, s18
	s_cselect_b32 s24, s24, s3
	s_ashr_i32 s25, s24, 31
	s_delay_alu instid0(SALU_CYCLE_1) | instskip(NEXT) | instid1(SALU_CYCLE_1)
	s_lshl_b64 s[24:25], s[24:25], 2
	s_add_u32 s24, s17, s24
	s_addc_u32 s25, s13, s25
	s_or_b32 s21, s16, 0x80
	s_delay_alu instid0(SALU_CYCLE_1) | instskip(SKIP_2) | instid1(SALU_CYCLE_1)
	s_ashr_i32 s26, s21, 4
	s_cmp_lt_i32 s21, s18
	s_cselect_b32 s26, s26, s3
	s_ashr_i32 s27, s26, 31
	s_delay_alu instid0(SALU_CYCLE_1) | instskip(NEXT) | instid1(SALU_CYCLE_1)
	s_lshl_b64 s[26:27], s[26:27], 2
	;; [unrolled: 10-line block ×3, first 2 shown]
	s_add_u32 s28, s17, s28
	s_addc_u32 s29, s13, s29
	s_clause 0x5
	s_load_b32 s12, s[6:7], 0x0
	s_load_b32 s4, s[8:9], 0x0
	;; [unrolled: 1-line block ×6, first 2 shown]
	s_or_b32 s21, s16, 0xc0
	s_delay_alu instid0(SALU_CYCLE_1) | instskip(SKIP_2) | instid1(SALU_CYCLE_1)
	s_ashr_i32 s22, s21, 4
	s_cmp_lt_i32 s21, s18
	s_cselect_b32 s22, s22, s3
	s_ashr_i32 s23, s22, 31
	s_delay_alu instid0(SALU_CYCLE_1) | instskip(NEXT) | instid1(SALU_CYCLE_1)
	s_lshl_b64 s[22:23], s[22:23], 2
	s_add_u32 s22, s17, s22
	s_addc_u32 s23, s13, s23
	s_or_b32 s21, s16, 0xe0
	s_delay_alu instid0(SALU_CYCLE_1) | instskip(SKIP_2) | instid1(SALU_CYCLE_1)
	s_ashr_i32 s24, s21, 4
	s_cmp_lt_i32 s21, s18
	s_cselect_b32 s24, s24, s3
	s_ashr_i32 s25, s24, 31
	s_delay_alu instid0(SALU_CYCLE_1)
	s_lshl_b64 s[24:25], s[24:25], 2
	s_waitcnt vmcnt(1)
	v_mad_i64_i32 v[3:4], null, v5, s5, v[1:2]
	s_waitcnt vmcnt(0)
	v_mad_i64_i32 v[5:6], null, v7, s5, v[1:2]
	v_lshlrev_b32_e32 v1, 4, v68
	s_clause 0x7
	global_load_b128 v[71:74], v[3:4], off
	global_load_b128 v[75:78], v[3:4], off offset:256
	global_load_b128 v[79:82], v[5:6], off
	global_load_b128 v[83:86], v[5:6], off offset:256
	global_load_b128 v[87:90], v[3:4], off offset:512
	;; [unrolled: 1-line block ×5, first 2 shown]
	v_lshl_or_b32 v1, v69, 8, v1
	s_load_b32 s3, s[22:23], 0x0
	s_add_u32 s22, s17, s24
	s_addc_u32 s23, s13, s25
	s_add_u32 s10, s10, s15
	s_addc_u32 s11, s11, s20
	v_add_co_u32 v1, s10, s10, v1
	s_delay_alu instid0(VALU_DEP_1) | instskip(SKIP_2) | instid1(VALU_DEP_1)
	v_add_co_ci_u32_e64 v2, null, s11, 0, s10
	s_load_b32 s10, s[22:23], 0x0
	s_waitcnt lgkmcnt(0)
	v_mad_i64_i32 v[3:4], null, s12, s5, v[1:2]
	v_mad_i64_i32 v[9:10], null, s7, s5, v[1:2]
	;; [unrolled: 1-line block ×7, first 2 shown]
	s_clause 0x5
	global_load_b128 v[49:52], v[3:4], off
	global_load_b128 v[53:56], v[3:4], off offset:16
	global_load_b128 v[41:44], v[5:6], off
	global_load_b128 v[45:48], v[5:6], off offset:16
	;; [unrolled: 2-line block ×3, first 2 shown]
	s_mov_b32 s4, 0
	v_mad_i64_i32 v[61:62], null, s10, s5, v[1:2]
	s_clause 0x9
	global_load_b128 v[1:4], v[9:10], off
	global_load_b128 v[5:8], v[9:10], off offset:16
	global_load_b128 v[9:12], v[13:14], off
	global_load_b128 v[13:16], v[13:14], off offset:16
	;; [unrolled: 2-line block ×5, first 2 shown]
	s_mov_b32 s5, s4
	s_mov_b32 s6, s4
	;; [unrolled: 1-line block ×7, first 2 shown]
	v_and_b32_e32 v104, 0xe0, v0
	v_dual_mov_b32 v126, s11 :: v_dual_mov_b32 v125, s10
	v_dual_mov_b32 v124, s9 :: v_dual_mov_b32 v123, s8
	s_delay_alu instid0(VALU_DEP_3)
	v_add_nc_u32_e32 v111, s16, v104
	ds_load_b128 v[103:106], v115
	ds_load_b128 v[107:110], v115 offset:1024
	v_dual_mov_b32 v122, s7 :: v_dual_mov_b32 v121, s6
	v_mov_b32_e32 v120, s5
	v_or_b32_e32 v135, v111, v66
	ds_load_b128 v[111:114], v115 offset:2048
	ds_load_b128 v[115:118], v115 offset:3072
	v_mov_b32_e32 v119, s4
	s_waitcnt vmcnt(0) lgkmcnt(0)
	s_barrier
	v_or_b32_e32 v137, 2, v135
	v_or_b32_e32 v138, 4, v135
	v_or_b32_e32 v139, 6, v135
	v_cmp_gt_i32_e32 vcc_lo, s18, v135
	v_or_b32_e32 v140, 8, v135
	v_cmp_gt_i32_e64 s3, s18, v137
	v_or_b32_e32 v141, 10, v135
	v_cmp_gt_i32_e64 s4, s18, v138
	v_cmp_gt_i32_e64 s5, s18, v139
	v_or_b32_e32 v142, 12, v135
	v_or_b32_e32 v143, 14, v135
	v_cmp_gt_i32_e64 s6, s18, v140
	v_cmp_gt_i32_e64 s7, s18, v141
	v_or_b32_e32 v144, 16, v135
	v_or_b32_e32 v145, 18, v135
	v_cmp_gt_i32_e64 s8, s18, v142
	v_cmp_gt_i32_e64 s9, s18, v143
	buffer_gl0_inv
	v_cmp_gt_i32_e64 s10, s18, v144
	v_cmp_gt_i32_e64 s11, s18, v145
	v_wmma_f32_16x16x16_f16 v[127:134], v[71:78], v[103:110], v[119:126]
	v_wmma_f32_16x16x16_f16 v[119:126], v[79:86], v[103:110], v[119:126]
	v_or_b32_e32 v71, 20, v135
	v_or_b32_e32 v72, 22, v135
	s_delay_alu instid0(VALU_DEP_4)
	v_wmma_f32_16x16x16_f16 v[127:134], v[87:94], v[111:118], v[127:134]
	v_or_b32_e32 v73, 24, v135
	v_wmma_f32_16x16x16_f16 v[119:126], v[95:102], v[111:118], v[119:126]
	v_or_b32_e32 v74, 26, v135
	v_cmp_gt_i32_e64 s12, s18, v71
	v_dual_mul_f32 v83, s19, v128 :: v_dual_mul_f32 v84, s19, v127
	v_dual_mul_f32 v81, s19, v130 :: v_dual_mul_f32 v82, s19, v129
	;; [unrolled: 1-line block ×3, first 2 shown]
	s_delay_alu instid0(VALU_DEP_3) | instskip(NEXT) | instid1(VALU_DEP_4)
	v_cndmask_b32_e32 v84, 0xff7fffff, v84, vcc_lo
	v_cndmask_b32_e64 v83, 0xff7fffff, v83, s3
	v_mul_f32_e32 v80, s19, v131
	v_cndmask_b32_e64 v82, 0xff7fffff, v82, s4
	v_cndmask_b32_e64 v81, 0xff7fffff, v81, s5
	v_dual_mul_f32 v77, s19, v134 :: v_dual_mul_f32 v90, s19, v121
	v_max3_f32 v83, v84, 0xff7fffff, v83
	v_mul_f32_e32 v78, s19, v133
	v_cndmask_b32_e64 v80, 0xff7fffff, v80, s6
	v_cndmask_b32_e64 v79, 0xff7fffff, v79, s7
	v_mul_f32_e32 v91, s19, v120
	v_max3_f32 v81, v83, v82, v81
	v_cndmask_b32_e64 v78, 0xff7fffff, v78, s8
	v_cndmask_b32_e64 v77, 0xff7fffff, v77, s9
	v_mul_f32_e32 v89, s19, v122
	v_cmp_gt_i32_e64 s13, s18, v72
	v_max3_f32 v79, v81, v80, v79
	v_cndmask_b32_e64 v80, 0xff7fffff, v92, s10
	v_cndmask_b32_e64 v81, 0xff7fffff, v91, s11
	v_or_b32_e32 v75, 28, v135
	v_or_b32_e32 v76, 30, v135
	v_max3_f32 v77, v79, v78, v77
	v_dual_mul_f32 v87, s19, v124 :: v_dual_mul_f32 v88, s19, v123
	v_cndmask_b32_e64 v71, 0xff7fffff, v90, s12
	v_cndmask_b32_e64 v72, 0xff7fffff, v89, s13
	s_delay_alu instid0(VALU_DEP_4) | instskip(SKIP_3) | instid1(VALU_DEP_4)
	v_max3_f32 v77, v77, v80, v81
	v_cmp_gt_i32_e64 s15, s18, v73
	v_cmp_gt_i32_e64 s16, s18, v74
	v_dual_mul_f32 v85, s19, v126 :: v_dual_mul_f32 v86, s19, v125
	v_max3_f32 v71, v77, v71, v72
	s_delay_alu instid0(VALU_DEP_4) | instskip(NEXT) | instid1(VALU_DEP_4)
	v_cndmask_b32_e64 v73, 0xff7fffff, v88, s15
	v_cndmask_b32_e64 v74, 0xff7fffff, v87, s16
	v_cmp_gt_i32_e64 s17, s18, v75
	v_cmp_gt_i32_e64 s18, s18, v76
	s_delay_alu instid0(VALU_DEP_3) | instskip(NEXT) | instid1(VALU_DEP_3)
	v_max3_f32 v71, v71, v73, v74
	v_cndmask_b32_e64 v72, 0xff7fffff, v86, s17
	s_delay_alu instid0(VALU_DEP_3) | instskip(SKIP_1) | instid1(VALU_DEP_2)
	v_cndmask_b32_e64 v75, 0xff7fffff, v85, s18
	v_lshlrev_b32_e32 v73, 2, v136
	v_max3_f32 v71, v71, v72, v75
	ds_bpermute_b32 v72, v73, v71
	s_waitcnt lgkmcnt(0)
	v_max_f32_e32 v72, v72, v72
	s_delay_alu instid0(VALU_DEP_1) | instskip(NEXT) | instid1(VALU_DEP_1)
	v_max_f32_e32 v71, v71, v72
	v_fma_f32 v72, s19, v127, -v71
	v_fma_f32 v74, s19, v128, -v71
	;; [unrolled: 1-line block ×5, first 2 shown]
	v_mul_f32_e32 v72, 0x3fb8aa3b, v72
	s_delay_alu instid0(VALU_DEP_4) | instskip(NEXT) | instid1(VALU_DEP_4)
	v_dual_mul_f32 v74, 0x3fb8aa3b, v74 :: v_dual_mul_f32 v75, 0x3fb8aa3b, v75
	v_mul_f32_e32 v76, 0x3fb8aa3b, v76
	s_delay_alu instid0(VALU_DEP_4) | instskip(NEXT) | instid1(VALU_DEP_4)
	v_mul_f32_e32 v82, 0x3fb8aa3b, v80
	v_exp_f32_e32 v72, v72
	s_delay_alu instid0(VALU_DEP_3)
	v_exp_f32_e32 v74, v74
	v_exp_f32_e32 v75, v75
	;; [unrolled: 1-line block ×3, first 2 shown]
	v_fma_f32 v77, s19, v131, -v71
	v_exp_f32_e32 v84, v82
	v_cndmask_b32_e32 v79, 0, v72, vcc_lo
	v_cndmask_b32_e64 v78, 0, v74, s3
	s_delay_alu instid0(TRANS32_DEP_3) | instskip(SKIP_1) | instid1(TRANS32_DEP_2)
	v_cndmask_b32_e64 v81, 0, v75, s4
	v_fma_f32 v72, s19, v132, -v71
	v_cndmask_b32_e64 v80, 0, v76, s5
	v_add_f32_e32 v74, 0, v79
	s_delay_alu instid0(TRANS32_DEP_1) | instskip(SKIP_2) | instid1(VALU_DEP_4)
	v_cndmask_b32_e64 v85, 0, v84, s8
	v_cmp_gt_u32_e64 s3, 16, v70
	v_mul_f32_e32 v72, 0x3fb8aa3b, v72
	v_add_f32_e32 v74, v74, v78
	s_delay_alu instid0(VALU_DEP_2) | instskip(NEXT) | instid1(VALU_DEP_1)
	v_exp_f32_e32 v72, v72
	v_add_f32_e32 v74, v74, v81
	s_delay_alu instid0(VALU_DEP_1) | instskip(NEXT) | instid1(VALU_DEP_1)
	v_dual_mul_f32 v77, 0x3fb8aa3b, v77 :: v_dual_add_f32 v74, v74, v80
	v_exp_f32_e32 v77, v77
	s_waitcnt_depctr 0xfff
	v_cndmask_b32_e64 v82, 0, v72, s7
	v_cndmask_b32_e64 v83, 0, v77, s6
	s_delay_alu instid0(VALU_DEP_1) | instskip(SKIP_4) | instid1(VALU_DEP_4)
	v_add_f32_e32 v72, v74, v83
	v_fma_f32 v75, s19, v134, -v71
	v_fma_f32 v76, s19, v119, -v71
	;; [unrolled: 1-line block ×4, first 2 shown]
	v_dual_add_f32 v72, v72, v82 :: v_dual_mul_f32 v75, 0x3fb8aa3b, v75
	s_delay_alu instid0(VALU_DEP_3) | instskip(NEXT) | instid1(VALU_DEP_3)
	v_dual_mul_f32 v76, 0x3fb8aa3b, v76 :: v_dual_mul_f32 v77, 0x3fb8aa3b, v77
	v_mul_f32_e32 v74, 0x3fb8aa3b, v74
	v_fma_f32 v86, s19, v122, -v71
	s_delay_alu instid0(VALU_DEP_4) | instskip(NEXT) | instid1(VALU_DEP_3)
	v_exp_f32_e32 v75, v75
	v_exp_f32_e32 v76, v76
	;; [unrolled: 1-line block ×4, first 2 shown]
	v_mul_f32_e32 v86, 0x3fb8aa3b, v86
	s_delay_alu instid0(VALU_DEP_1)
	v_exp_f32_e32 v88, v86
	v_cndmask_b32_e64 v84, 0, v75, s9
	v_fma_f32 v75, s19, v123, -v71
	v_add_f32_e32 v72, v72, v85
	v_cndmask_b32_e64 v87, 0, v76, s10
	v_fma_f32 v76, s19, v124, -v71
	s_delay_alu instid0(TRANS32_DEP_3) | instskip(NEXT) | instid1(VALU_DEP_4)
	v_cndmask_b32_e64 v86, 0, v77, s11
	v_dual_mul_f32 v75, 0x3fb8aa3b, v75 :: v_dual_add_f32 v72, v72, v84
	v_fma_f32 v77, s19, v125, -v71
	s_delay_alu instid0(VALU_DEP_4) | instskip(SKIP_1) | instid1(VALU_DEP_4)
	v_mul_f32_e32 v76, 0x3fb8aa3b, v76
	v_cndmask_b32_e64 v89, 0, v74, s12
	v_exp_f32_e32 v75, v75
	v_add_f32_e32 v72, v72, v87
	v_mul_f32_e32 v74, 0x3fb8aa3b, v77
	v_exp_f32_e32 v76, v76
	v_cndmask_b32_e64 v88, 0, v88, s13
	v_fma_f32 v77, s19, v126, -v71
	v_add_f32_e32 v72, v72, v86
	v_exp_f32_e32 v74, v74
	s_delay_alu instid0(TRANS32_DEP_3) | instskip(NEXT) | instid1(VALU_DEP_2)
	v_cndmask_b32_e64 v91, 0, v75, s15
	v_add_f32_e32 v72, v72, v89
	v_mul_f32_e32 v75, 0x3fb8aa3b, v77
	s_delay_alu instid0(TRANS32_DEP_2) | instskip(NEXT) | instid1(VALU_DEP_3)
	v_cndmask_b32_e64 v90, 0, v76, s16
	v_add_f32_e32 v72, v72, v88
	s_delay_alu instid0(VALU_DEP_3) | instskip(NEXT) | instid1(TRANS32_DEP_2)
	v_exp_f32_e32 v75, v75
	v_cndmask_b32_e64 v93, 0, v74, s17
	s_delay_alu instid0(VALU_DEP_2) | instskip(NEXT) | instid1(VALU_DEP_1)
	v_add_f32_e32 v72, v72, v91
	v_add_f32_e32 v72, v72, v90
	s_waitcnt_depctr 0xfff
	v_cndmask_b32_e64 v92, 0, v75, s18
	v_add_f32_e32 v72, v72, v93
	s_delay_alu instid0(VALU_DEP_1)
	v_add_f32_e32 v72, v72, v92
	ds_bpermute_b32 v73, v73, v72
	s_and_saveexec_b32 s4, s3
	s_cbranch_execz .LBB802_12
; %bb.11:
	v_mul_u32_u24_e32 v70, 0x44, v69
	s_waitcnt lgkmcnt(0)
	v_add_f32_e32 v72, v72, v73
	s_delay_alu instid0(VALU_DEP_2) | instskip(NEXT) | instid1(VALU_DEP_1)
	v_lshl_add_u32 v70, v68, 2, v70
	v_add_nc_u32_e32 v70, 0x4000, v70
	ds_store_2addr_b32 v70, v71, v72 offset1:136
.LBB802_12:
	s_or_b32 exec_lo, exec_lo, s4
	v_lshlrev_b32_e32 v70, 2, v68
	s_load_b32 s36, s[0:1], 0x94
	s_waitcnt lgkmcnt(0)
	s_barrier
	buffer_gl0_inv
	v_add_nc_u32_e32 v98, 0x4000, v70
	v_cmp_eq_u32_e32 vcc_lo, 1, v69
	v_cmp_eq_u32_e64 s4, 2, v69
	v_cmp_eq_u32_e64 s5, 3, v69
	;; [unrolled: 1-line block ×3, first 2 shown]
	ds_load_2addr_b32 v[70:71], v98 offset1:17
	ds_load_2addr_b32 v[72:73], v98 offset0:34 offset1:51
	ds_load_2addr_b32 v[74:75], v98 offset0:68 offset1:85
	;; [unrolled: 1-line block ×3, first 2 shown]
	v_cmp_eq_u32_e64 s7, 5, v69
	v_cmp_eq_u32_e64 s8, 7, v69
	s_waitcnt lgkmcnt(3)
	v_max3_f32 v76, v70, 0xff7fffff, v71
	s_waitcnt lgkmcnt(2)
	s_delay_alu instid0(VALU_DEP_1) | instskip(SKIP_1) | instid1(VALU_DEP_1)
	v_max3_f32 v76, v76, v72, v73
	s_waitcnt lgkmcnt(1)
	v_max3_f32 v76, v76, v74, v75
	s_waitcnt lgkmcnt(0)
	s_delay_alu instid0(VALU_DEP_1) | instskip(NEXT) | instid1(VALU_DEP_1)
	v_max3_f32 v76, v76, v94, v95
	v_sub_f32_e32 v77, v71, v76
	ds_load_2addr_b32 v[96:97], v98 offset0:136 offset1:153
	v_sub_f32_e32 v74, v74, v76
	v_sub_f32_e32 v70, v70, v76
	v_sub_f32_e32 v94, v94, v76
	v_dual_sub_f32 v72, v72, v76 :: v_dual_mul_f32 v77, 0x3fb8aa3b, v77
	s_delay_alu instid0(VALU_DEP_4) | instskip(NEXT) | instid1(VALU_DEP_4)
	v_mul_f32_e32 v103, 0x3fb8aa3b, v74
	v_mul_f32_e32 v99, 0x3fb8aa3b, v70
	ds_load_2addr_b32 v[70:71], v98 offset0:170 offset1:187
	v_dual_mul_f32 v101, 0x3fb8aa3b, v72 :: v_dual_mul_f32 v94, 0x3fb8aa3b, v94
	v_exp_f32_e32 v102, v77
	v_exp_f32_e32 v99, v99
	s_delay_alu instid0(VALU_DEP_1) | instskip(NEXT) | instid1(VALU_DEP_1)
	v_exp_f32_e32 v101, v101
	v_exp_f32_e32 v94, v94
	s_waitcnt lgkmcnt(1)
	s_delay_alu instid0(TRANS32_DEP_3)
	v_fma_f32 v77, v99, v96, 0
	v_sub_f32_e32 v100, v73, v76
	ds_load_2addr_b32 v[72:73], v98 offset0:204 offset1:221
	v_fmac_f32_e32 v77, v102, v97
	v_exp_f32_e32 v97, v103
	s_waitcnt lgkmcnt(1)
	s_delay_alu instid0(VALU_DEP_1)
	v_dual_fmac_f32 v77, v101, v70 :: v_dual_sub_f32 v96, v75, v76
	ds_load_2addr_b32 v[74:75], v98 offset0:238 offset1:255
	v_sub_f32_e32 v70, v95, v76
	s_waitcnt lgkmcnt(0)
	s_barrier
	v_mul_f32_e32 v96, 0x3fb8aa3b, v96
	buffer_gl0_inv
	v_exp_f32_e32 v95, v96
	v_mul_f32_e32 v100, 0x3fb8aa3b, v100
	s_delay_alu instid0(VALU_DEP_1) | instskip(SKIP_3) | instid1(VALU_DEP_2)
	v_exp_f32_e32 v100, v100
	s_waitcnt_depctr 0xfff
	v_dual_fmac_f32 v77, v100, v71 :: v_dual_mul_f32 v70, 0x3fb8aa3b, v70
	v_cndmask_b32_e32 v71, v99, v102, vcc_lo
	v_fmac_f32_e32 v77, v97, v72
	s_delay_alu instid0(VALU_DEP_3) | instskip(NEXT) | instid1(VALU_DEP_1)
	v_exp_f32_e32 v96, v70
	v_fmac_f32_e32 v77, v95, v73
	s_delay_alu instid0(VALU_DEP_1) | instskip(SKIP_2) | instid1(VALU_DEP_1)
	v_fmac_f32_e32 v77, v94, v74
	s_waitcnt_depctr 0xfff
	v_fmac_f32_e32 v77, v96, v75
	v_add_f32_e32 v74, 0x358637bd, v77
	s_delay_alu instid0(VALU_DEP_1) | instskip(SKIP_1) | instid1(VALU_DEP_2)
	v_div_scale_f32 v98, null, v74, v74, 1.0
	v_div_scale_f32 v99, vcc_lo, 1.0, v74, 1.0
	v_rcp_f32_e32 v103, v98
	s_waitcnt_depctr 0xfff
	v_fma_f32 v70, -v98, v103, 1.0
	s_delay_alu instid0(VALU_DEP_1) | instskip(SKIP_2) | instid1(VALU_DEP_2)
	v_fmac_f32_e32 v103, v70, v103
	v_cndmask_b32_e64 v70, v71, v101, s4
	v_cmp_eq_u32_e64 s4, 6, v69
	v_cndmask_b32_e64 v71, v70, v100, s5
	s_delay_alu instid0(VALU_DEP_4) | instskip(NEXT) | instid1(VALU_DEP_2)
	v_dual_mul_f32 v101, v99, v103 :: v_dual_lshlrev_b32 v70, 2, v66
	v_cndmask_b32_e64 v71, v71, v97, s6
	s_delay_alu instid0(VALU_DEP_2) | instskip(NEXT) | instid1(VALU_DEP_3)
	v_or_b32_e32 v72, 1, v70
	v_fma_f32 v100, -v98, v101, v99
	v_cmp_eq_u32_e64 s5, 1, v70
	v_cmp_eq_u32_e64 s6, 2, v70
	v_cndmask_b32_e64 v95, v71, v95, s7
	v_or_b32_e32 v71, 3, v70
	v_fmac_f32_e32 v101, v100, v103
	v_cmp_eq_u32_e64 s10, 1, v72
	v_cmp_eq_u32_e64 s13, 2, v72
	v_cndmask_b32_e64 v94, v95, v94, s4
	v_cmp_eq_u32_e64 s12, 1, v71
	v_fma_f32 v97, -v98, v101, v99
	v_cmp_eq_u32_e64 s17, 2, v71
	v_cmp_eq_u32_e64 s15, 3, v72
	v_cndmask_b32_e64 v94, v94, v96, s8
	v_cmp_eq_u32_e64 s19, 3, v71
	v_div_fmas_f32 v95, v97, v103, v101
	v_cmp_eq_u32_e32 vcc_lo, 3, v70
	v_cmp_eq_u32_e64 s4, 4, v70
	v_cmp_eq_u32_e64 s20, 4, v72
	;; [unrolled: 1-line block ×3, first 2 shown]
	v_div_fixup_f32 v95, v95, v74, 1.0
	v_lshlrev_b32_e32 v73, 6, v68
	v_cmp_eq_u32_e64 s7, 5, v70
	v_cmp_eq_u32_e64 s21, 5, v72
	;; [unrolled: 1-line block ×3, first 2 shown]
	v_mul_f32_e32 v102, v94, v95
	v_lshl_or_b32 v75, v69, 11, v73
	v_or_b32_e32 v69, 2, v70
	v_cmp_eq_u32_e64 s26, 6, v72
	v_cmp_eq_u32_e64 s28, 6, v71
	v_fma_mixlo_f16 v94, v102, v79, 0
	v_fma_mixlo_f16 v95, v102, v81, 0
	;; [unrolled: 1-line block ×8, first 2 shown]
	v_lshl_or_b32 v74, v66, 4, v75
	v_fma_mixhi_f16 v94, v102, v78, 0
	v_fma_mixhi_f16 v95, v102, v80, 0
	;; [unrolled: 1-line block ×8, first 2 shown]
	ds_store_b128 v74, v[94:97]
	ds_store_b128 v74, v[98:101] offset:1024
	s_waitcnt lgkmcnt(0)
	s_barrier
	buffer_gl0_inv
	ds_load_b128 v[78:81], v75
	ds_load_b128 v[82:85], v75 offset:16
	ds_load_b128 v[86:89], v75 offset:1024
	;; [unrolled: 1-line block ×3, first 2 shown]
	v_cmp_eq_u32_e64 s11, 1, v69
	v_cmp_eq_u32_e64 s16, 2, v69
	;; [unrolled: 1-line block ×11, first 2 shown]
	s_waitcnt lgkmcnt(3)
	v_lshrrev_b32_e32 v94, 16, v78
	s_waitcnt lgkmcnt(2)
	v_lshrrev_b32_e32 v98, 16, v82
	;; [unrolled: 2-line block ×4, first 2 shown]
	v_lshrrev_b32_e32 v95, 16, v79
	v_cndmask_b32_e64 v110, v78, v94, s5
	v_cndmask_b32_e64 v111, v82, v98, s5
	;; [unrolled: 1-line block ×8, first 2 shown]
	v_lshrrev_b32_e32 v99, 16, v83
	v_cndmask_b32_e64 v94, v86, v102, s5
	v_cndmask_b32_e64 v98, v90, v106, s5
	;; [unrolled: 1-line block ×15, first 2 shown]
	v_lshrrev_b32_e32 v103, 16, v87
	v_lshrrev_b32_e32 v107, 16, v91
	v_cndmask_b32_e64 v113, v115, v83, s16
	v_cndmask_b32_e64 v82, v94, v87, s6
	;; [unrolled: 1-line block ×7, first 2 shown]
	v_cndmask_b32_e32 v90, v102, v95, vcc_lo
	v_cndmask_b32_e32 v102, v106, v99, vcc_lo
	v_cndmask_b32_e64 v106, v110, v95, s15
	v_cndmask_b32_e64 v110, v111, v99, s15
	;; [unrolled: 1-line block ×4, first 2 shown]
	v_lshrrev_b32_e32 v96, 16, v80
	v_lshrrev_b32_e32 v100, 16, v84
	v_cndmask_b32_e64 v111, v112, v95, s18
	v_cndmask_b32_e64 v112, v113, v99, s18
	v_cndmask_b32_e32 v82, v82, v103, vcc_lo
	v_cndmask_b32_e32 v83, v83, v107, vcc_lo
	v_cndmask_b32_e64 v94, v94, v103, s15
	v_cndmask_b32_e64 v90, v90, v80, s4
	v_cndmask_b32_e64 v95, v102, v84, s4
	v_cndmask_b32_e64 v99, v106, v80, s20
	v_cndmask_b32_e64 v102, v110, v84, s20
	v_cndmask_b32_e64 v78, v78, v80, s23
	v_cndmask_b32_e64 v79, v79, v84, s23
	v_lshrrev_b32_e32 v104, 16, v88
	v_cndmask_b32_e64 v106, v111, v80, s22
	v_cndmask_b32_e64 v110, v112, v84, s22
	;; [unrolled: 1-line block ×11, first 2 shown]
	v_lshrrev_b32_e32 v97, 16, v81
	v_lshrrev_b32_e32 v101, 16, v85
	v_cndmask_b32_e64 v99, v106, v96, s24
	v_cndmask_b32_e64 v102, v110, v100, s24
	v_cndmask_b32_e64 v83, v83, v104, s21
	v_cndmask_b32_e64 v94, v94, v81, s26
	v_cndmask_b32_e64 v95, v95, v85, s26
	v_cndmask_b32_e64 v78, v78, v81, s28
	v_cndmask_b32_e64 v79, v79, v85, s28
	v_lshrrev_b32_e32 v105, 16, v89
	v_cndmask_b32_e64 v80, v80, v104, s7
	v_cndmask_b32_e64 v84, v84, v81, s8
	;; [unrolled: 1-line block ×16, first 2 shown]
	v_perm_b32 v81, v79, v78, 0x5040100
	v_perm_b32 v79, v95, v85, 0x5040100
	v_cndmask_b32_e64 v78, v119, v91, s16
	v_cndmask_b32_e64 v85, v117, v91, s13
	;; [unrolled: 1-line block ×3, first 2 shown]
	v_perm_b32 v80, v94, v90, 0x5040100
	v_cndmask_b32_e64 v90, v98, v103, s18
	v_cndmask_b32_e64 v86, v86, v103, s19
	;; [unrolled: 1-line block ×5, first 2 shown]
	v_lshrrev_b32_e32 v108, 16, v92
	v_cndmask_b32_e64 v90, v90, v88, s22
	v_cndmask_b32_e64 v86, v86, v88, s23
	;; [unrolled: 1-line block ×11, first 2 shown]
	v_lshrrev_b32_e32 v109, 16, v93
	v_cndmask_b32_e64 v82, v82, v93, s8
	v_cndmask_b32_e64 v88, v88, v89, s27
	v_cndmask_b32_e64 v86, v86, v89, s28
	v_cndmask_b32_e64 v87, v87, v93, s28
	v_cndmask_b32_e64 v78, v78, v93, s27
	v_cndmask_b32_e64 v85, v85, v93, s26
	v_cndmask_b32_e64 v88, v88, v105, s29
	v_cndmask_b32_e64 v86, v86, v105, s30
	v_cndmask_b32_e64 v87, v87, v109, s30
	v_cndmask_b32_e64 v89, v78, v109, s29
	v_cndmask_b32_e64 v90, v85, v109, s31
	v_cndmask_b32_e64 v82, v82, v109, s9
	v_perm_b32 v78, v84, v83, 0x5040100
	v_perm_b32 v85, v87, v86, 0x5040100
	;; [unrolled: 1-line block ×5, first 2 shown]
	s_mul_i32 s9, s35, 13
	s_mov_b32 s4, exec_lo
	ds_store_b128 v74, v[78:81]
	ds_store_b128 v74, v[82:85] offset:1024
	v_cmpx_gt_u32_e32 13, v0
	s_cbranch_execz .LBB802_14
; %bb.13:
	s_mul_i32 s5, s9, s34
	s_load_b128 s[16:19], s[0:1], 0x58
	v_add3_u32 v68, s5, s33, v68
	s_delay_alu instid0(VALU_DEP_1) | instskip(NEXT) | instid1(VALU_DEP_1)
	v_mad_u64_u32 v[78:79], null, v68, s36, s[14:15]
	v_ashrrev_i32_e32 v79, 31, v78
	s_delay_alu instid0(VALU_DEP_1) | instskip(SKIP_1) | instid1(VALU_DEP_1)
	v_lshlrev_b64 v[78:79], 2, v[78:79]
	s_waitcnt lgkmcnt(0)
	v_add_co_u32 v80, vcc_lo, s18, v78
	s_delay_alu instid0(VALU_DEP_2)
	v_add_co_ci_u32_e32 v81, vcc_lo, s19, v79, vcc_lo
	v_add_co_u32 v78, vcc_lo, s16, v78
	v_add_co_ci_u32_e32 v79, vcc_lo, s17, v79, vcc_lo
	global_store_b32 v[80:81], v76, off
	global_store_b32 v[78:79], v77, off
.LBB802_14:
	s_or_b32 exec_lo, exec_lo, s4
	s_waitcnt lgkmcnt(0)
	s_waitcnt_vscnt null, 0x0
	s_barrier
	buffer_gl0_inv
	ds_load_b128 v[84:87], v73
	ds_load_b128 v[88:91], v73 offset:16
	ds_load_b128 v[96:99], v73 offset:2064
	;; [unrolled: 1-line block ×5, first 2 shown]
	v_cmp_eq_u32_e32 vcc_lo, 1, v70
	v_mov_b32_e32 v76, 0
	ds_load_b128 v[112:115], v73 offset:6160
	ds_load_b128 v[108:111], v73 offset:6144
	;; [unrolled: 1-line block ×4, first 2 shown]
	v_cmp_eq_u32_e64 s5, 1, v69
	v_cmp_eq_u32_e64 s4, 1, v72
	;; [unrolled: 1-line block ×3, first 2 shown]
	v_mov_b32_e32 v77, v76
	v_mov_b32_e32 v78, v76
	;; [unrolled: 1-line block ×7, first 2 shown]
	v_cmp_eq_u32_e64 s7, 3, v72
	v_cmp_eq_u32_e64 s8, 7, v72
	s_waitcnt lgkmcnt(8)
	s_delay_alu instid0(VALU_DEP_3)
	v_wmma_f32_16x16x16_f16 v[76:83], v[49:56], v[84:91], v[76:83]
	ds_load_b128 v[53:56], v73 offset:10256
	ds_load_b128 v[49:52], v73 offset:10240
	s_waitcnt lgkmcnt(8)
	v_wmma_f32_16x16x16_f16 v[76:83], v[41:48], v[92:99], v[76:83]
	ds_load_b128 v[45:48], v73 offset:12304
	ds_load_b128 v[41:44], v73 offset:12288
	s_waitcnt lgkmcnt(8)
	;; [unrolled: 4-line block ×3, first 2 shown]
	s_barrier
	buffer_gl0_inv
	v_wmma_f32_16x16x16_f16 v[76:83], v[1:8], v[108:115], v[76:83]
	s_delay_alu instid0(VALU_DEP_1) | instskip(NEXT) | instid1(VALU_DEP_1)
	v_wmma_f32_16x16x16_f16 v[76:83], v[9:16], v[116:123], v[76:83]
	v_wmma_f32_16x16x16_f16 v[76:83], v[17:24], v[49:56], v[76:83]
	s_delay_alu instid0(VALU_DEP_1) | instskip(NEXT) | instid1(VALU_DEP_1)
	v_wmma_f32_16x16x16_f16 v[76:83], v[25:32], v[41:48], v[76:83]
	v_wmma_f32_16x16x16_f16 v[76:83], v[57:64], v[33:40], v[76:83]
	s_delay_alu instid0(VALU_DEP_1) | instskip(NEXT) | instid1(VALU_DEP_2)
	v_cvt_f16_f32_e32 v1, v76
	v_cvt_f16_f32_e32 v2, v77
	s_delay_alu instid0(VALU_DEP_3) | instskip(NEXT) | instid1(VALU_DEP_4)
	v_cvt_f16_f32_e32 v3, v78
	v_cvt_f16_f32_e32 v4, v79
	;; [unrolled: 1-line block ×6, first 2 shown]
	v_pack_b32_f16 v1, v1, v2
	v_pack_b32_f16 v2, v3, v4
	v_pack_b32_f16 v3, v5, v6
	s_delay_alu instid0(VALU_DEP_4)
	v_pack_b32_f16 v4, v7, v8
	ds_store_b128 v74, v[1:4]
	s_waitcnt lgkmcnt(0)
	s_barrier
	buffer_gl0_inv
	ds_load_b128 v[1:4], v75
	ds_load_b128 v[5:8], v75 offset:16
	s_waitcnt lgkmcnt(1)
	v_lshrrev_b32_e32 v9, 16, v1
	s_waitcnt lgkmcnt(0)
	v_lshrrev_b32_e32 v13, 16, v5
	v_lshrrev_b32_e32 v10, 16, v2
	;; [unrolled: 1-line block ×4, first 2 shown]
	v_cndmask_b32_e32 v17, v1, v9, vcc_lo
	v_cndmask_b32_e32 v18, v5, v13, vcc_lo
	v_cndmask_b32_e64 v21, v1, v9, s5
	v_cmp_eq_u32_e32 vcc_lo, 1, v71
	v_cndmask_b32_e64 v22, v5, v13, s5
	v_cmp_eq_u32_e64 s5, 2, v70
	v_cndmask_b32_e64 v19, v1, v9, s4
	v_cndmask_b32_e64 v20, v5, v13, s4
	v_cndmask_b32_e32 v1, v1, v9, vcc_lo
	v_cmp_eq_u32_e64 s4, 2, v71
	v_cndmask_b32_e32 v5, v5, v13, vcc_lo
	v_cndmask_b32_e64 v9, v17, v2, s5
	v_cmp_eq_u32_e32 vcc_lo, 3, v70
	v_cndmask_b32_e64 v13, v18, v6, s5
	v_cmp_eq_u32_e64 s5, 2, v69
	v_cndmask_b32_e64 v17, v19, v2, s6
	v_cndmask_b32_e64 v18, v20, v6, s6
	v_cmp_eq_u32_e64 s6, 3, v69
	v_cndmask_b32_e64 v1, v1, v2, s4
	v_cndmask_b32_e64 v19, v21, v2, s5
	;; [unrolled: 1-line block ×4, first 2 shown]
	v_cndmask_b32_e32 v5, v9, v10, vcc_lo
	v_cndmask_b32_e32 v6, v13, v14, vcc_lo
	v_cmp_eq_u32_e32 vcc_lo, 3, v71
	v_cndmask_b32_e64 v9, v17, v10, s7
	v_cndmask_b32_e64 v13, v18, v14, s7
	;; [unrolled: 1-line block ×3, first 2 shown]
	v_cmp_eq_u32_e64 s5, 4, v70
	v_cndmask_b32_e32 v1, v1, v10, vcc_lo
	v_cndmask_b32_e32 v2, v2, v14, vcc_lo
	v_cmp_eq_u32_e32 vcc_lo, 4, v72
	v_lshrrev_b32_e32 v15, 16, v7
	v_lshrrev_b32_e32 v16, 16, v8
	v_cndmask_b32_e64 v17, v19, v10, s6
	v_cmp_eq_u32_e64 s4, 4, v71
	v_cndmask_b32_e64 v5, v5, v3, s5
	v_cndmask_b32_e64 v6, v6, v7, s5
	v_cndmask_b32_e32 v9, v9, v3, vcc_lo
	v_cmp_eq_u32_e64 s5, 5, v72
	v_cndmask_b32_e32 v10, v13, v7, vcc_lo
	v_cmp_eq_u32_e32 vcc_lo, 4, v69
	v_cmp_eq_u32_e64 s6, 5, v70
	v_cndmask_b32_e64 v2, v2, v7, s4
	v_cndmask_b32_e64 v9, v9, v11, s5
	;; [unrolled: 1-line block ×3, first 2 shown]
	v_cndmask_b32_e32 v13, v17, v3, vcc_lo
	v_cmp_eq_u32_e64 s5, 5, v69
	v_cndmask_b32_e32 v14, v18, v7, vcc_lo
	v_cndmask_b32_e64 v1, v1, v3, s4
	v_cmp_eq_u32_e32 vcc_lo, 5, v71
	v_lshrrev_b32_e32 v12, 16, v4
	v_cndmask_b32_e64 v13, v13, v11, s5
	v_cndmask_b32_e64 v3, v14, v15, s5
	v_cmp_eq_u32_e64 s5, 6, v71
	v_cndmask_b32_e32 v1, v1, v11, vcc_lo
	v_cndmask_b32_e64 v5, v5, v11, s6
	v_cmp_eq_u32_e64 s7, 6, v70
	v_cndmask_b32_e64 v6, v6, v15, s6
	v_cmp_eq_u32_e64 s6, 6, v72
	v_cmp_eq_u32_e64 s4, 6, v69
	v_cndmask_b32_e64 v1, v1, v4, s5
	v_cndmask_b32_e32 v2, v2, v15, vcc_lo
	v_cmp_eq_u32_e32 vcc_lo, 7, v71
	v_cndmask_b32_e64 v5, v5, v4, s7
	v_cndmask_b32_e64 v9, v9, v4, s6
	;; [unrolled: 1-line block ×3, first 2 shown]
	v_cmp_eq_u32_e64 s7, 7, v70
	v_cndmask_b32_e32 v1, v1, v12, vcc_lo
	v_cndmask_b32_e64 v7, v13, v4, s4
	v_cndmask_b32_e64 v3, v3, v8, s4
	;; [unrolled: 1-line block ×3, first 2 shown]
	v_cmp_eq_u32_e64 s4, 7, v69
	v_cndmask_b32_e64 v4, v10, v8, s6
	v_cndmask_b32_e64 v5, v5, v12, s7
	;; [unrolled: 1-line block ×3, first 2 shown]
	v_cndmask_b32_e32 v2, v2, v16, vcc_lo
	v_cndmask_b32_e64 v7, v7, v12, s4
	v_cndmask_b32_e64 v3, v3, v16, s4
	;; [unrolled: 1-line block ×4, first 2 shown]
	v_cmp_gt_u32_e32 vcc_lo, 32, v0
	v_perm_b32 v4, v2, v1, 0x5040100
	v_perm_b32 v3, v3, v7, 0x5040100
	;; [unrolled: 1-line block ×4, first 2 shown]
	s_and_b32 s2, vcc_lo, s2
	ds_store_b128 v74, v[1:4]
	s_waitcnt lgkmcnt(0)
	s_barrier
	buffer_gl0_inv
	s_and_saveexec_b32 s4, s2
	s_cbranch_execz .LBB802_2
; %bb.15:
	s_load_b64 s[4:5], s[0:1], 0x68
	v_lshlrev_b32_e32 v0, 10, v0
	v_lshlrev_b32_e32 v1, 4, v67
	s_lshl_b32 s0, s36, 6
	v_add_nc_u32_e32 v18, s33, v66
	s_mul_i32 s1, s0, s34
	s_delay_alu instid0(VALU_DEP_2) | instskip(SKIP_1) | instid1(VALU_DEP_2)
	v_and_or_b32 v0, 0x3800, v0, v1
	s_mul_i32 s6, s1, s9
	v_mul_lo_u32 v1, v18, s0
	s_ashr_i32 s7, s6, 31
	v_add_nc_u32_e32 v2, 2, v18
	v_lshl_or_b32 v19, v66, 6, v0
	s_lshl_b64 s[6:7], s[6:7], 1
	v_add_nc_u32_e32 v8, 4, v18
	v_add_nc_u32_e32 v15, 6, v18
	v_mul_lo_u32 v7, v2, s0
	ds_load_b128 v[3:6], v19
	v_ashrrev_i32_e32 v2, 31, v1
	v_mul_lo_u32 v11, v8, s0
	s_waitcnt lgkmcnt(0)
	s_add_u32 s1, s4, s6
	s_addc_u32 s2, s5, s7
	s_lshl_b32 s4, s14, 6
	v_lshlrev_b64 v[9:10], 1, v[1:2]
	s_ashr_i32 s5, s4, 31
	v_ashrrev_i32_e32 v8, 31, v7
	s_lshl_b64 s[4:5], s[4:5], 1
	v_ashrrev_i32_e32 v12, 31, v11
	s_add_u32 s1, s1, s4
	s_addc_u32 s2, s2, s5
	v_add_co_u32 v1, s1, s1, v65
	s_delay_alu instid0(VALU_DEP_1) | instskip(SKIP_1) | instid1(VALU_DEP_3)
	v_add_co_ci_u32_e64 v2, null, s2, 0, s1
	v_mul_lo_u32 v15, v15, s0
	v_add_co_u32 v13, vcc_lo, v1, v9
	s_delay_alu instid0(VALU_DEP_3)
	v_add_co_ci_u32_e32 v14, vcc_lo, v2, v10, vcc_lo
	v_lshlrev_b64 v[16:17], 1, v[7:8]
	ds_load_b128 v[7:10], v19 offset:128
	global_store_b128 v[13:14], v[3:6], off
	v_add_nc_u32_e32 v5, 8, v18
	v_lshlrev_b64 v[3:4], 1, v[11:12]
	v_add_co_u32 v23, vcc_lo, v1, v16
	v_ashrrev_i32_e32 v16, 31, v15
	s_delay_alu instid0(VALU_DEP_4) | instskip(SKIP_3) | instid1(VALU_DEP_3)
	v_mul_lo_u32 v25, v5, s0
	v_add_nc_u32_e32 v5, 10, v18
	v_add_co_ci_u32_e32 v24, vcc_lo, v2, v17, vcc_lo
	v_add_co_u32 v27, vcc_lo, v1, v3
	v_mul_lo_u32 v29, v5, s0
	v_add_co_ci_u32_e32 v28, vcc_lo, v2, v4, vcc_lo
	v_lshlrev_b64 v[31:32], 1, v[15:16]
	ds_load_b128 v[3:6], v19 offset:256
	ds_load_b128 v[11:14], v19 offset:384
	;; [unrolled: 1-line block ×4, first 2 shown]
	v_ashrrev_i32_e32 v26, 31, v25
	v_ashrrev_i32_e32 v30, 31, v29
	v_add_co_u32 v31, vcc_lo, v1, v31
	s_delay_alu instid0(VALU_DEP_3) | instskip(SKIP_1) | instid1(VALU_DEP_4)
	v_lshlrev_b64 v[25:26], 1, v[25:26]
	v_add_co_ci_u32_e32 v32, vcc_lo, v2, v32, vcc_lo
	v_lshlrev_b64 v[29:30], 1, v[29:30]
	s_delay_alu instid0(VALU_DEP_3) | instskip(NEXT) | instid1(VALU_DEP_4)
	v_add_co_u32 v25, vcc_lo, v1, v25
	v_add_co_ci_u32_e32 v26, vcc_lo, v2, v26, vcc_lo
	s_delay_alu instid0(VALU_DEP_3) | instskip(NEXT) | instid1(VALU_DEP_4)
	v_add_co_u32 v29, vcc_lo, v1, v29
	v_add_co_ci_u32_e32 v30, vcc_lo, v2, v30, vcc_lo
	s_waitcnt lgkmcnt(4)
	global_store_b128 v[23:24], v[7:10], off
	s_waitcnt lgkmcnt(3)
	global_store_b128 v[27:28], v[3:6], off
	;; [unrolled: 2-line block ×5, first 2 shown]
	s_and_b32 exec_lo, exec_lo, s3
	s_cbranch_execz .LBB802_2
; %bb.16:
	ds_load_b128 v[3:6], v0 offset:768
	s_add_i32 s1, s33, 12
	s_delay_alu instid0(SALU_CYCLE_1) | instskip(NEXT) | instid1(SALU_CYCLE_1)
	s_mul_i32 s0, s1, s0
	s_ashr_i32 s1, s0, 31
	s_delay_alu instid0(SALU_CYCLE_1) | instskip(NEXT) | instid1(SALU_CYCLE_1)
	s_lshl_b64 s[0:1], s[0:1], 1
	v_add_co_u32 v0, vcc_lo, v1, s0
	v_add_co_ci_u32_e32 v1, vcc_lo, s1, v2, vcc_lo
	s_waitcnt lgkmcnt(0)
	global_store_b128 v[0:1], v[3:6], off
	s_nop 0
	s_sendmsg sendmsg(MSG_DEALLOC_VGPRS)
	s_endpgm
	.section	.rodata,"a",@progbits
	.p2align	6, 0x0
	.amdhsa_kernel _Z39paged_attention_ll4mi_QKV_mfma16_kernelIDF16_hLN4vllm18Fp8KVCacheDataTypeE1EhLi16ELi64ELi256ELb0ELi13EL8MFMAType1EEvPKT_PKT0_S8_ifPKiSA_SA_iPKfiiiPfSD_PS3_PT2_iSC_SC_
		.amdhsa_group_segment_fixed_size 17472
		.amdhsa_private_segment_fixed_size 0
		.amdhsa_kernarg_size 400
		.amdhsa_user_sgpr_count 13
		.amdhsa_user_sgpr_dispatch_ptr 0
		.amdhsa_user_sgpr_queue_ptr 0
		.amdhsa_user_sgpr_kernarg_segment_ptr 1
		.amdhsa_user_sgpr_dispatch_id 0
		.amdhsa_user_sgpr_private_segment_size 0
		.amdhsa_wavefront_size32 1
		.amdhsa_uses_dynamic_stack 0
		.amdhsa_enable_private_segment 0
		.amdhsa_system_sgpr_workgroup_id_x 1
		.amdhsa_system_sgpr_workgroup_id_y 1
		.amdhsa_system_sgpr_workgroup_id_z 1
		.amdhsa_system_sgpr_workgroup_info 0
		.amdhsa_system_vgpr_workitem_id 0
		.amdhsa_next_free_vgpr 146
		.amdhsa_next_free_sgpr 37
		.amdhsa_reserve_vcc 1
		.amdhsa_float_round_mode_32 0
		.amdhsa_float_round_mode_16_64 0
		.amdhsa_float_denorm_mode_32 3
		.amdhsa_float_denorm_mode_16_64 3
		.amdhsa_dx10_clamp 1
		.amdhsa_ieee_mode 1
		.amdhsa_fp16_overflow 0
		.amdhsa_workgroup_processor_mode 1
		.amdhsa_memory_ordered 1
		.amdhsa_forward_progress 0
		.amdhsa_shared_vgpr_count 0
		.amdhsa_exception_fp_ieee_invalid_op 0
		.amdhsa_exception_fp_denorm_src 0
		.amdhsa_exception_fp_ieee_div_zero 0
		.amdhsa_exception_fp_ieee_overflow 0
		.amdhsa_exception_fp_ieee_underflow 0
		.amdhsa_exception_fp_ieee_inexact 0
		.amdhsa_exception_int_div_zero 0
	.end_amdhsa_kernel
	.section	.text._Z39paged_attention_ll4mi_QKV_mfma16_kernelIDF16_hLN4vllm18Fp8KVCacheDataTypeE1EhLi16ELi64ELi256ELb0ELi13EL8MFMAType1EEvPKT_PKT0_S8_ifPKiSA_SA_iPKfiiiPfSD_PS3_PT2_iSC_SC_,"axG",@progbits,_Z39paged_attention_ll4mi_QKV_mfma16_kernelIDF16_hLN4vllm18Fp8KVCacheDataTypeE1EhLi16ELi64ELi256ELb0ELi13EL8MFMAType1EEvPKT_PKT0_S8_ifPKiSA_SA_iPKfiiiPfSD_PS3_PT2_iSC_SC_,comdat
.Lfunc_end802:
	.size	_Z39paged_attention_ll4mi_QKV_mfma16_kernelIDF16_hLN4vllm18Fp8KVCacheDataTypeE1EhLi16ELi64ELi256ELb0ELi13EL8MFMAType1EEvPKT_PKT0_S8_ifPKiSA_SA_iPKfiiiPfSD_PS3_PT2_iSC_SC_, .Lfunc_end802-_Z39paged_attention_ll4mi_QKV_mfma16_kernelIDF16_hLN4vllm18Fp8KVCacheDataTypeE1EhLi16ELi64ELi256ELb0ELi13EL8MFMAType1EEvPKT_PKT0_S8_ifPKiSA_SA_iPKfiiiPfSD_PS3_PT2_iSC_SC_
                                        ; -- End function
	.section	.AMDGPU.csdata,"",@progbits
; Kernel info:
; codeLenInByte = 6692
; NumSgprs: 39
; NumVgprs: 146
; ScratchSize: 0
; MemoryBound: 0
; FloatMode: 240
; IeeeMode: 1
; LDSByteSize: 17472 bytes/workgroup (compile time only)
; SGPRBlocks: 4
; VGPRBlocks: 18
; NumSGPRsForWavesPerEU: 39
; NumVGPRsForWavesPerEU: 146
; Occupancy: 9
; WaveLimiterHint : 1
; COMPUTE_PGM_RSRC2:SCRATCH_EN: 0
; COMPUTE_PGM_RSRC2:USER_SGPR: 13
; COMPUTE_PGM_RSRC2:TRAP_HANDLER: 0
; COMPUTE_PGM_RSRC2:TGID_X_EN: 1
; COMPUTE_PGM_RSRC2:TGID_Y_EN: 1
; COMPUTE_PGM_RSRC2:TGID_Z_EN: 1
; COMPUTE_PGM_RSRC2:TIDIG_COMP_CNT: 0
	.section	.text._Z39paged_attention_ll4mi_QKV_mfma16_kernelIDF16_hLN4vllm18Fp8KVCacheDataTypeE1EhLi16ELi64ELi256ELb0ELi14EL8MFMAType1EEvPKT_PKT0_S8_ifPKiSA_SA_iPKfiiiPfSD_PS3_PT2_iSC_SC_,"axG",@progbits,_Z39paged_attention_ll4mi_QKV_mfma16_kernelIDF16_hLN4vllm18Fp8KVCacheDataTypeE1EhLi16ELi64ELi256ELb0ELi14EL8MFMAType1EEvPKT_PKT0_S8_ifPKiSA_SA_iPKfiiiPfSD_PS3_PT2_iSC_SC_,comdat
	.protected	_Z39paged_attention_ll4mi_QKV_mfma16_kernelIDF16_hLN4vllm18Fp8KVCacheDataTypeE1EhLi16ELi64ELi256ELb0ELi14EL8MFMAType1EEvPKT_PKT0_S8_ifPKiSA_SA_iPKfiiiPfSD_PS3_PT2_iSC_SC_ ; -- Begin function _Z39paged_attention_ll4mi_QKV_mfma16_kernelIDF16_hLN4vllm18Fp8KVCacheDataTypeE1EhLi16ELi64ELi256ELb0ELi14EL8MFMAType1EEvPKT_PKT0_S8_ifPKiSA_SA_iPKfiiiPfSD_PS3_PT2_iSC_SC_
	.globl	_Z39paged_attention_ll4mi_QKV_mfma16_kernelIDF16_hLN4vllm18Fp8KVCacheDataTypeE1EhLi16ELi64ELi256ELb0ELi14EL8MFMAType1EEvPKT_PKT0_S8_ifPKiSA_SA_iPKfiiiPfSD_PS3_PT2_iSC_SC_
	.p2align	8
	.type	_Z39paged_attention_ll4mi_QKV_mfma16_kernelIDF16_hLN4vllm18Fp8KVCacheDataTypeE1EhLi16ELi64ELi256ELb0ELi14EL8MFMAType1EEvPKT_PKT0_S8_ifPKiSA_SA_iPKfiiiPfSD_PS3_PT2_iSC_SC_,@function
_Z39paged_attention_ll4mi_QKV_mfma16_kernelIDF16_hLN4vllm18Fp8KVCacheDataTypeE1EhLi16ELi64ELi256ELb0ELi14EL8MFMAType1EEvPKT_PKT0_S8_ifPKiSA_SA_iPKfiiiPfSD_PS3_PT2_iSC_SC_: ; @_Z39paged_attention_ll4mi_QKV_mfma16_kernelIDF16_hLN4vllm18Fp8KVCacheDataTypeE1EhLi16ELi64ELi256ELb0ELi14EL8MFMAType1EEvPKT_PKT0_S8_ifPKiSA_SA_iPKfiiiPfSD_PS3_PT2_iSC_SC_
; %bb.0:
	s_load_b64 s[2:3], s[0:1], 0x30
	s_mov_b32 s34, s13
	s_waitcnt lgkmcnt(0)
	s_cmp_lg_u64 s[2:3], 0
	s_cselect_b32 s6, -1, 0
	s_ashr_i32 s35, s13, 31
	s_cmp_eq_u64 s[2:3], 0
	s_cbranch_scc1 .LBB803_3
; %bb.1:
	s_lshl_b64 s[4:5], s[34:35], 2
	s_delay_alu instid0(SALU_CYCLE_1) | instskip(SKIP_4) | instid1(SALU_CYCLE_1)
	s_add_u32 s4, s2, s4
	s_addc_u32 s5, s3, s5
	s_load_b64 s[4:5], s[4:5], 0x0
	s_waitcnt lgkmcnt(0)
	s_sub_i32 s4, s5, s4
	s_cmp_eq_u32 s4, 1
	s_cselect_b32 s4, -1, 0
	s_delay_alu instid0(SALU_CYCLE_1)
	s_and_not1_b32 vcc_lo, exec_lo, s4
	s_cbranch_vccz .LBB803_4
.LBB803_2:
	s_endpgm
.LBB803_3:
.LBB803_4:
	s_load_b64 s[8:9], s[0:1], 0x28
	s_lshl_b64 s[4:5], s[34:35], 2
	s_waitcnt lgkmcnt(0)
	s_add_u32 s8, s8, s4
	s_addc_u32 s9, s9, s5
	s_lshl_b32 s16, s14, 8
	s_load_b32 s18, s[8:9], 0x0
	s_waitcnt lgkmcnt(0)
	s_cmp_ge_i32 s16, s18
	s_cbranch_scc1 .LBB803_2
; %bb.5:
	s_clause 0x1
	s_load_b128 s[8:11], s[0:1], 0x8
	s_load_b64 s[12:13], s[0:1], 0x20
	s_and_not1_b32 vcc_lo, exec_lo, s6
	s_cbranch_vccnz .LBB803_7
; %bb.6:
	s_add_u32 s2, s2, s4
	s_addc_u32 s3, s3, s5
	s_load_b32 s3, s[2:3], 0x0
	s_branch .LBB803_8
.LBB803_7:
	s_mov_b32 s3, s34
.LBB803_8:
	s_load_b128 s[4:7], s[0:1], 0x48
	v_and_b32_e32 v68, 15, v0
	v_cmp_gt_u32_e32 vcc_lo, 0xe0, v0
	v_lshrrev_b32_e32 v69, 5, v0
	v_and_b32_e32 v70, 31, v0
	v_and_b32_e32 v67, 1, v0
	v_lshlrev_b32_e32 v1, 3, v68
	v_cmp_gt_u32_e64 s2, 8, v68
	v_bfe_u32 v66, v0, 4, 1
	s_mul_i32 s31, s15, 14
	s_delay_alu instid0(VALU_DEP_3) | instskip(NEXT) | instid1(VALU_DEP_3)
	v_lshlrev_b32_e32 v65, 1, v1
	s_and_b32 s17, vcc_lo, s2
	s_waitcnt lgkmcnt(0)
	s_and_saveexec_b32 s7, s17
	s_cbranch_execz .LBB803_10
; %bb.9:
	s_load_b64 s[20:21], s[0:1], 0x0
	v_lshl_or_b32 v5, v69, 1, v66
	s_mul_hi_i32 s23, s3, s4
	s_mul_i32 s22, s3, s4
	v_lshlrev_b32_e32 v6, 10, v68
	s_lshl_b64 s[22:23], s[22:23], 1
	v_add_lshl_u32 v1, v5, s31, 6
	v_lshlrev_b32_e32 v5, 6, v5
	v_lshlrev_b32_e32 v7, 10, v67
	v_and_b32_e32 v6, 0x3800, v6
	s_delay_alu instid0(VALU_DEP_4) | instskip(NEXT) | instid1(VALU_DEP_2)
	v_ashrrev_i32_e32 v2, 31, v1
	v_or3_b32 v5, v6, v7, v5
	s_delay_alu instid0(VALU_DEP_2) | instskip(SKIP_3) | instid1(VALU_DEP_1)
	v_lshlrev_b64 v[1:2], 1, v[1:2]
	s_waitcnt lgkmcnt(0)
	s_add_u32 s3, s20, s22
	s_addc_u32 s4, s21, s23
	v_add_co_u32 v1, vcc_lo, s3, v1
	s_delay_alu instid0(VALU_DEP_2) | instskip(NEXT) | instid1(VALU_DEP_2)
	v_add_co_ci_u32_e32 v2, vcc_lo, s4, v2, vcc_lo
	v_add_co_u32 v1, vcc_lo, v1, v65
	s_delay_alu instid0(VALU_DEP_2)
	v_add_co_ci_u32_e32 v2, vcc_lo, 0, v2, vcc_lo
	global_load_b128 v[1:4], v[1:2], off
	s_waitcnt vmcnt(0)
	ds_store_b128 v5, v[1:4]
.LBB803_10:
	s_or_b32 exec_lo, exec_lo, s7
	v_and_b32_e32 v1, 0xef, v0
	s_add_i32 s3, s18, 15
	s_clause 0x1
	s_load_b32 s4, s[0:1], 0x38
	s_load_b32 s33, s[0:1], 0x98
	s_ashr_i32 s7, s3, 31
	v_add_nc_u32_e32 v1, s16, v1
	s_lshr_b32 s7, s7, 28
	s_load_b32 s19, s[0:1], 0x1c
	v_add_nc_u32_e32 v103, -14, v68
	s_add_i32 s3, s3, s7
	v_ashrrev_i32_e32 v2, 31, v1
	v_or_b32_e32 v3, 16, v1
	s_ashr_i32 s3, s3, 4
	v_cmp_gt_i32_e32 vcc_lo, s18, v1
	s_add_i32 s3, s3, -1
	v_lshrrev_b32_e32 v2, 28, v2
	s_waitcnt lgkmcnt(0)
	s_barrier
	buffer_gl0_inv
	s_mul_i32 s15, s15, s6
	v_add_nc_u32_e32 v4, v1, v2
	v_mbcnt_lo_u32_b32 v127, -1, 0
	s_mul_i32 s20, s34, s4
	s_delay_alu instid0(SALU_CYCLE_1) | instskip(NEXT) | instid1(VALU_DEP_2)
	s_ashr_i32 s21, s20, 31
	v_ashrrev_i32_e32 v4, 4, v4
	v_add_nc_u32_e32 v2, v3, v2
	s_lshl_b64 s[20:21], s[20:21], 2
	v_xor_b32_e32 v128, 16, v127
	s_add_u32 s17, s12, s20
	v_cndmask_b32_e32 v1, s3, v4, vcc_lo
	v_ashrrev_i32_e32 v2, 4, v2
	v_cmp_gt_i32_e32 vcc_lo, s18, v3
	s_addc_u32 s13, s13, s21
	s_ashr_i32 s20, s15, 31
	s_add_u32 s4, s8, s15
	s_addc_u32 s12, s9, s20
	v_cndmask_b32_e32 v3, s3, v2, vcc_lo
	v_ashrrev_i32_e32 v2, 31, v1
	s_lshl_b32 s6, s14, 4
	s_delay_alu instid0(SALU_CYCLE_1) | instskip(NEXT) | instid1(VALU_DEP_2)
	s_ashr_i32 s7, s6, 31
	v_ashrrev_i32_e32 v4, 31, v3
	s_delay_alu instid0(VALU_DEP_2) | instskip(SKIP_1) | instid1(SALU_CYCLE_1)
	v_lshlrev_b64 v[1:2], 2, v[1:2]
	s_lshl_b64 s[6:7], s[6:7], 2
	s_add_u32 s6, s17, s6
	s_delay_alu instid0(VALU_DEP_2) | instskip(SKIP_1) | instid1(VALU_DEP_2)
	v_lshlrev_b64 v[3:4], 2, v[3:4]
	s_addc_u32 s7, s13, s7
	v_add_co_u32 v1, vcc_lo, s17, v1
	v_add_co_ci_u32_e32 v2, vcc_lo, s13, v2, vcc_lo
	s_delay_alu instid0(VALU_DEP_3) | instskip(NEXT) | instid1(VALU_DEP_4)
	v_add_co_u32 v3, vcc_lo, s17, v3
	v_add_co_ci_u32_e32 v4, vcc_lo, s13, v4, vcc_lo
	s_clause 0x1
	global_load_b32 v5, v[1:2], off
	global_load_b32 v7, v[3:4], off
	s_or_b32 s8, s16, 32
	v_lshlrev_b32_e32 v1, 4, v0
	s_ashr_i32 s9, s8, 4
	s_cmp_lt_i32 s8, s18
	v_cmp_gt_u32_e32 vcc_lo, 14, v68
	s_cselect_b32 s8, s9, s3
	v_and_b32_e32 v1, 0xf0, v1
	s_ashr_i32 s9, s8, 31
	s_delay_alu instid0(SALU_CYCLE_1)
	s_lshl_b64 s[8:9], s[8:9], 2
	v_cndmask_b32_e32 v103, v103, v68, vcc_lo
	s_add_u32 s8, s17, s8
	s_addc_u32 s9, s13, s9
	s_or_b32 s21, s16, 64
	v_add_co_u32 v1, s4, s4, v1
	s_ashr_i32 s22, s21, 4
	s_cmp_lt_i32 s21, s18
	v_add_co_ci_u32_e64 v2, null, s12, 0, s4
	s_cselect_b32 s22, s22, s3
	v_cmp_gt_i32_e32 vcc_lo, 32, v128
	s_ashr_i32 s23, s22, 31
	v_lshlrev_b32_e32 v115, 6, v103
	s_lshl_b64 s[22:23], s[22:23], 2
	v_cndmask_b32_e32 v136, v127, v128, vcc_lo
	s_add_u32 s22, s17, s22
	s_addc_u32 s23, s13, s23
	s_or_b32 s21, s16, 0x60
	s_delay_alu instid0(SALU_CYCLE_1) | instskip(SKIP_2) | instid1(SALU_CYCLE_1)
	s_ashr_i32 s24, s21, 4
	s_cmp_lt_i32 s21, s18
	s_cselect_b32 s24, s24, s3
	s_ashr_i32 s25, s24, 31
	s_delay_alu instid0(SALU_CYCLE_1) | instskip(NEXT) | instid1(SALU_CYCLE_1)
	s_lshl_b64 s[24:25], s[24:25], 2
	s_add_u32 s24, s17, s24
	s_addc_u32 s25, s13, s25
	s_or_b32 s21, s16, 0x80
	s_delay_alu instid0(SALU_CYCLE_1) | instskip(SKIP_2) | instid1(SALU_CYCLE_1)
	s_ashr_i32 s26, s21, 4
	s_cmp_lt_i32 s21, s18
	s_cselect_b32 s26, s26, s3
	s_ashr_i32 s27, s26, 31
	s_delay_alu instid0(SALU_CYCLE_1) | instskip(NEXT) | instid1(SALU_CYCLE_1)
	s_lshl_b64 s[26:27], s[26:27], 2
	;; [unrolled: 10-line block ×3, first 2 shown]
	s_add_u32 s28, s17, s28
	s_addc_u32 s29, s13, s29
	s_clause 0x5
	s_load_b32 s12, s[6:7], 0x0
	s_load_b32 s4, s[8:9], 0x0
	;; [unrolled: 1-line block ×6, first 2 shown]
	s_or_b32 s21, s16, 0xc0
	s_delay_alu instid0(SALU_CYCLE_1) | instskip(SKIP_2) | instid1(SALU_CYCLE_1)
	s_ashr_i32 s22, s21, 4
	s_cmp_lt_i32 s21, s18
	s_cselect_b32 s22, s22, s3
	s_ashr_i32 s23, s22, 31
	s_delay_alu instid0(SALU_CYCLE_1) | instskip(NEXT) | instid1(SALU_CYCLE_1)
	s_lshl_b64 s[22:23], s[22:23], 2
	s_add_u32 s22, s17, s22
	s_addc_u32 s23, s13, s23
	s_or_b32 s21, s16, 0xe0
	s_delay_alu instid0(SALU_CYCLE_1) | instskip(SKIP_2) | instid1(SALU_CYCLE_1)
	s_ashr_i32 s24, s21, 4
	s_cmp_lt_i32 s21, s18
	s_cselect_b32 s24, s24, s3
	s_ashr_i32 s25, s24, 31
	s_delay_alu instid0(SALU_CYCLE_1)
	s_lshl_b64 s[24:25], s[24:25], 2
	s_waitcnt vmcnt(1)
	v_mad_i64_i32 v[3:4], null, v5, s5, v[1:2]
	s_waitcnt vmcnt(0)
	v_mad_i64_i32 v[5:6], null, v7, s5, v[1:2]
	v_lshlrev_b32_e32 v1, 4, v68
	s_clause 0x7
	global_load_b128 v[71:74], v[3:4], off
	global_load_b128 v[75:78], v[3:4], off offset:256
	global_load_b128 v[79:82], v[5:6], off
	global_load_b128 v[83:86], v[5:6], off offset:256
	global_load_b128 v[87:90], v[3:4], off offset:512
	;; [unrolled: 1-line block ×5, first 2 shown]
	v_lshl_or_b32 v1, v69, 8, v1
	s_load_b32 s3, s[22:23], 0x0
	s_add_u32 s22, s17, s24
	s_addc_u32 s23, s13, s25
	s_add_u32 s10, s10, s15
	s_addc_u32 s11, s11, s20
	v_add_co_u32 v1, s10, s10, v1
	s_delay_alu instid0(VALU_DEP_1) | instskip(SKIP_2) | instid1(VALU_DEP_1)
	v_add_co_ci_u32_e64 v2, null, s11, 0, s10
	s_load_b32 s10, s[22:23], 0x0
	s_waitcnt lgkmcnt(0)
	v_mad_i64_i32 v[3:4], null, s12, s5, v[1:2]
	v_mad_i64_i32 v[9:10], null, s7, s5, v[1:2]
	;; [unrolled: 1-line block ×7, first 2 shown]
	s_clause 0x5
	global_load_b128 v[49:52], v[3:4], off
	global_load_b128 v[53:56], v[3:4], off offset:16
	global_load_b128 v[41:44], v[5:6], off
	global_load_b128 v[45:48], v[5:6], off offset:16
	global_load_b128 v[33:36], v[7:8], off
	global_load_b128 v[37:40], v[7:8], off offset:16
	s_mov_b32 s4, 0
	v_mad_i64_i32 v[61:62], null, s10, s5, v[1:2]
	s_clause 0x9
	global_load_b128 v[1:4], v[9:10], off
	global_load_b128 v[5:8], v[9:10], off offset:16
	global_load_b128 v[9:12], v[13:14], off
	global_load_b128 v[13:16], v[13:14], off offset:16
	global_load_b128 v[17:20], v[21:22], off
	global_load_b128 v[21:24], v[21:22], off offset:16
	global_load_b128 v[25:28], v[29:30], off
	global_load_b128 v[29:32], v[29:30], off offset:16
	global_load_b128 v[57:60], v[61:62], off
	global_load_b128 v[61:64], v[61:62], off offset:16
	s_mov_b32 s5, s4
	s_mov_b32 s6, s4
	;; [unrolled: 1-line block ×7, first 2 shown]
	v_and_b32_e32 v104, 0xe0, v0
	v_dual_mov_b32 v126, s11 :: v_dual_mov_b32 v125, s10
	v_dual_mov_b32 v124, s9 :: v_dual_mov_b32 v123, s8
	s_delay_alu instid0(VALU_DEP_3)
	v_add_nc_u32_e32 v111, s16, v104
	ds_load_b128 v[103:106], v115
	ds_load_b128 v[107:110], v115 offset:1024
	v_dual_mov_b32 v122, s7 :: v_dual_mov_b32 v121, s6
	v_mov_b32_e32 v120, s5
	v_or_b32_e32 v135, v111, v66
	ds_load_b128 v[111:114], v115 offset:2048
	ds_load_b128 v[115:118], v115 offset:3072
	v_mov_b32_e32 v119, s4
	s_waitcnt vmcnt(0) lgkmcnt(0)
	s_barrier
	v_or_b32_e32 v137, 2, v135
	v_or_b32_e32 v138, 4, v135
	;; [unrolled: 1-line block ×3, first 2 shown]
	v_cmp_gt_i32_e32 vcc_lo, s18, v135
	v_or_b32_e32 v140, 8, v135
	v_cmp_gt_i32_e64 s3, s18, v137
	v_or_b32_e32 v141, 10, v135
	v_cmp_gt_i32_e64 s4, s18, v138
	v_cmp_gt_i32_e64 s5, s18, v139
	v_or_b32_e32 v142, 12, v135
	v_or_b32_e32 v143, 14, v135
	v_cmp_gt_i32_e64 s6, s18, v140
	v_cmp_gt_i32_e64 s7, s18, v141
	v_or_b32_e32 v144, 16, v135
	v_or_b32_e32 v145, 18, v135
	v_cmp_gt_i32_e64 s8, s18, v142
	v_cmp_gt_i32_e64 s9, s18, v143
	buffer_gl0_inv
	v_cmp_gt_i32_e64 s10, s18, v144
	v_cmp_gt_i32_e64 s11, s18, v145
	v_wmma_f32_16x16x16_f16 v[127:134], v[71:78], v[103:110], v[119:126]
	v_wmma_f32_16x16x16_f16 v[119:126], v[79:86], v[103:110], v[119:126]
	v_or_b32_e32 v71, 20, v135
	v_or_b32_e32 v72, 22, v135
	s_delay_alu instid0(VALU_DEP_4)
	v_wmma_f32_16x16x16_f16 v[127:134], v[87:94], v[111:118], v[127:134]
	v_or_b32_e32 v73, 24, v135
	v_wmma_f32_16x16x16_f16 v[119:126], v[95:102], v[111:118], v[119:126]
	v_or_b32_e32 v74, 26, v135
	v_cmp_gt_i32_e64 s12, s18, v71
	v_dual_mul_f32 v83, s19, v128 :: v_dual_mul_f32 v84, s19, v127
	v_dual_mul_f32 v81, s19, v130 :: v_dual_mul_f32 v82, s19, v129
	;; [unrolled: 1-line block ×3, first 2 shown]
	s_delay_alu instid0(VALU_DEP_3) | instskip(NEXT) | instid1(VALU_DEP_4)
	v_cndmask_b32_e32 v84, 0xff7fffff, v84, vcc_lo
	v_cndmask_b32_e64 v83, 0xff7fffff, v83, s3
	v_mul_f32_e32 v80, s19, v131
	v_cndmask_b32_e64 v82, 0xff7fffff, v82, s4
	v_cndmask_b32_e64 v81, 0xff7fffff, v81, s5
	v_dual_mul_f32 v77, s19, v134 :: v_dual_mul_f32 v90, s19, v121
	v_max3_f32 v83, v84, 0xff7fffff, v83
	v_mul_f32_e32 v78, s19, v133
	v_cndmask_b32_e64 v80, 0xff7fffff, v80, s6
	v_cndmask_b32_e64 v79, 0xff7fffff, v79, s7
	v_mul_f32_e32 v91, s19, v120
	v_max3_f32 v81, v83, v82, v81
	v_cndmask_b32_e64 v78, 0xff7fffff, v78, s8
	v_cndmask_b32_e64 v77, 0xff7fffff, v77, s9
	v_mul_f32_e32 v89, s19, v122
	v_cmp_gt_i32_e64 s13, s18, v72
	v_max3_f32 v79, v81, v80, v79
	v_cndmask_b32_e64 v80, 0xff7fffff, v92, s10
	v_cndmask_b32_e64 v81, 0xff7fffff, v91, s11
	v_or_b32_e32 v75, 28, v135
	v_or_b32_e32 v76, 30, v135
	v_max3_f32 v77, v79, v78, v77
	v_dual_mul_f32 v87, s19, v124 :: v_dual_mul_f32 v88, s19, v123
	v_cndmask_b32_e64 v71, 0xff7fffff, v90, s12
	v_cndmask_b32_e64 v72, 0xff7fffff, v89, s13
	s_delay_alu instid0(VALU_DEP_4) | instskip(SKIP_3) | instid1(VALU_DEP_4)
	v_max3_f32 v77, v77, v80, v81
	v_cmp_gt_i32_e64 s15, s18, v73
	v_cmp_gt_i32_e64 s16, s18, v74
	v_dual_mul_f32 v85, s19, v126 :: v_dual_mul_f32 v86, s19, v125
	v_max3_f32 v71, v77, v71, v72
	s_delay_alu instid0(VALU_DEP_4) | instskip(NEXT) | instid1(VALU_DEP_4)
	v_cndmask_b32_e64 v73, 0xff7fffff, v88, s15
	v_cndmask_b32_e64 v74, 0xff7fffff, v87, s16
	v_cmp_gt_i32_e64 s17, s18, v75
	v_cmp_gt_i32_e64 s18, s18, v76
	s_delay_alu instid0(VALU_DEP_3) | instskip(NEXT) | instid1(VALU_DEP_3)
	v_max3_f32 v71, v71, v73, v74
	v_cndmask_b32_e64 v72, 0xff7fffff, v86, s17
	s_delay_alu instid0(VALU_DEP_3) | instskip(SKIP_1) | instid1(VALU_DEP_2)
	v_cndmask_b32_e64 v75, 0xff7fffff, v85, s18
	v_lshlrev_b32_e32 v73, 2, v136
	v_max3_f32 v71, v71, v72, v75
	ds_bpermute_b32 v72, v73, v71
	s_waitcnt lgkmcnt(0)
	v_max_f32_e32 v72, v72, v72
	s_delay_alu instid0(VALU_DEP_1) | instskip(NEXT) | instid1(VALU_DEP_1)
	v_max_f32_e32 v71, v71, v72
	v_fma_f32 v72, s19, v127, -v71
	v_fma_f32 v74, s19, v128, -v71
	;; [unrolled: 1-line block ×5, first 2 shown]
	v_mul_f32_e32 v72, 0x3fb8aa3b, v72
	s_delay_alu instid0(VALU_DEP_4) | instskip(NEXT) | instid1(VALU_DEP_4)
	v_dual_mul_f32 v74, 0x3fb8aa3b, v74 :: v_dual_mul_f32 v75, 0x3fb8aa3b, v75
	v_mul_f32_e32 v76, 0x3fb8aa3b, v76
	s_delay_alu instid0(VALU_DEP_4) | instskip(NEXT) | instid1(VALU_DEP_4)
	v_mul_f32_e32 v82, 0x3fb8aa3b, v80
	v_exp_f32_e32 v72, v72
	s_delay_alu instid0(VALU_DEP_3)
	v_exp_f32_e32 v74, v74
	v_exp_f32_e32 v75, v75
	;; [unrolled: 1-line block ×3, first 2 shown]
	v_fma_f32 v77, s19, v131, -v71
	v_exp_f32_e32 v84, v82
	v_cndmask_b32_e32 v79, 0, v72, vcc_lo
	v_cndmask_b32_e64 v78, 0, v74, s3
	s_delay_alu instid0(TRANS32_DEP_3) | instskip(SKIP_1) | instid1(TRANS32_DEP_2)
	v_cndmask_b32_e64 v81, 0, v75, s4
	v_fma_f32 v72, s19, v132, -v71
	v_cndmask_b32_e64 v80, 0, v76, s5
	v_add_f32_e32 v74, 0, v79
	s_delay_alu instid0(TRANS32_DEP_1) | instskip(SKIP_2) | instid1(VALU_DEP_3)
	v_cndmask_b32_e64 v85, 0, v84, s8
	s_mov_b32 s3, exec_lo
	v_mul_f32_e32 v72, 0x3fb8aa3b, v72
	v_add_f32_e32 v74, v74, v78
	s_delay_alu instid0(VALU_DEP_2) | instskip(NEXT) | instid1(VALU_DEP_1)
	v_exp_f32_e32 v72, v72
	v_add_f32_e32 v74, v74, v81
	s_delay_alu instid0(VALU_DEP_1) | instskip(NEXT) | instid1(VALU_DEP_1)
	v_dual_mul_f32 v77, 0x3fb8aa3b, v77 :: v_dual_add_f32 v74, v74, v80
	v_exp_f32_e32 v77, v77
	s_waitcnt_depctr 0xfff
	v_cndmask_b32_e64 v82, 0, v72, s7
	v_cndmask_b32_e64 v83, 0, v77, s6
	s_delay_alu instid0(VALU_DEP_1) | instskip(SKIP_4) | instid1(VALU_DEP_4)
	v_add_f32_e32 v72, v74, v83
	v_fma_f32 v75, s19, v134, -v71
	v_fma_f32 v76, s19, v119, -v71
	;; [unrolled: 1-line block ×4, first 2 shown]
	v_dual_add_f32 v72, v72, v82 :: v_dual_mul_f32 v75, 0x3fb8aa3b, v75
	s_delay_alu instid0(VALU_DEP_3) | instskip(NEXT) | instid1(VALU_DEP_3)
	v_dual_mul_f32 v76, 0x3fb8aa3b, v76 :: v_dual_mul_f32 v77, 0x3fb8aa3b, v77
	v_mul_f32_e32 v74, 0x3fb8aa3b, v74
	v_fma_f32 v86, s19, v122, -v71
	s_delay_alu instid0(VALU_DEP_4) | instskip(NEXT) | instid1(VALU_DEP_3)
	v_exp_f32_e32 v75, v75
	v_exp_f32_e32 v76, v76
	;; [unrolled: 1-line block ×4, first 2 shown]
	v_mul_f32_e32 v86, 0x3fb8aa3b, v86
	s_delay_alu instid0(VALU_DEP_1)
	v_exp_f32_e32 v88, v86
	v_cndmask_b32_e64 v84, 0, v75, s9
	v_fma_f32 v75, s19, v123, -v71
	v_add_f32_e32 v72, v72, v85
	v_cndmask_b32_e64 v87, 0, v76, s10
	v_fma_f32 v76, s19, v124, -v71
	s_delay_alu instid0(TRANS32_DEP_3) | instskip(NEXT) | instid1(VALU_DEP_4)
	v_cndmask_b32_e64 v86, 0, v77, s11
	v_dual_mul_f32 v75, 0x3fb8aa3b, v75 :: v_dual_add_f32 v72, v72, v84
	v_fma_f32 v77, s19, v125, -v71
	s_delay_alu instid0(VALU_DEP_4) | instskip(SKIP_1) | instid1(VALU_DEP_4)
	v_mul_f32_e32 v76, 0x3fb8aa3b, v76
	v_cndmask_b32_e64 v89, 0, v74, s12
	v_exp_f32_e32 v75, v75
	v_add_f32_e32 v72, v72, v87
	v_mul_f32_e32 v74, 0x3fb8aa3b, v77
	v_exp_f32_e32 v76, v76
	v_cndmask_b32_e64 v88, 0, v88, s13
	v_fma_f32 v77, s19, v126, -v71
	v_add_f32_e32 v72, v72, v86
	v_exp_f32_e32 v74, v74
	s_delay_alu instid0(TRANS32_DEP_3) | instskip(NEXT) | instid1(VALU_DEP_2)
	v_cndmask_b32_e64 v91, 0, v75, s15
	v_add_f32_e32 v72, v72, v89
	v_mul_f32_e32 v75, 0x3fb8aa3b, v77
	s_delay_alu instid0(TRANS32_DEP_2) | instskip(NEXT) | instid1(VALU_DEP_3)
	v_cndmask_b32_e64 v90, 0, v76, s16
	v_add_f32_e32 v72, v72, v88
	s_delay_alu instid0(VALU_DEP_3) | instskip(NEXT) | instid1(TRANS32_DEP_2)
	v_exp_f32_e32 v75, v75
	v_cndmask_b32_e64 v93, 0, v74, s17
	s_delay_alu instid0(VALU_DEP_2) | instskip(NEXT) | instid1(VALU_DEP_1)
	v_add_f32_e32 v72, v72, v91
	v_add_f32_e32 v72, v72, v90
	s_waitcnt_depctr 0xfff
	v_cndmask_b32_e64 v92, 0, v75, s18
	v_add_f32_e32 v72, v72, v93
	s_delay_alu instid0(VALU_DEP_1)
	v_add_f32_e32 v72, v72, v92
	ds_bpermute_b32 v73, v73, v72
	v_cmpx_gt_u32_e32 16, v70
	s_cbranch_execz .LBB803_12
; %bb.11:
	v_mul_u32_u24_e32 v70, 0x44, v69
	s_waitcnt lgkmcnt(0)
	v_add_f32_e32 v72, v72, v73
	s_delay_alu instid0(VALU_DEP_2) | instskip(NEXT) | instid1(VALU_DEP_1)
	v_lshl_add_u32 v70, v68, 2, v70
	v_add_nc_u32_e32 v70, 0x4000, v70
	ds_store_2addr_b32 v70, v71, v72 offset1:136
.LBB803_12:
	s_or_b32 exec_lo, exec_lo, s3
	v_lshlrev_b32_e32 v70, 2, v68
	s_load_b32 s35, s[0:1], 0x94
	s_waitcnt lgkmcnt(0)
	s_barrier
	buffer_gl0_inv
	v_add_nc_u32_e32 v98, 0x4000, v70
	v_cmp_eq_u32_e32 vcc_lo, 1, v69
	v_cmp_eq_u32_e64 s3, 2, v69
	v_cmp_eq_u32_e64 s4, 3, v69
	;; [unrolled: 1-line block ×3, first 2 shown]
	ds_load_2addr_b32 v[70:71], v98 offset1:17
	ds_load_2addr_b32 v[72:73], v98 offset0:34 offset1:51
	ds_load_2addr_b32 v[74:75], v98 offset0:68 offset1:85
	;; [unrolled: 1-line block ×3, first 2 shown]
	v_cmp_eq_u32_e64 s6, 5, v69
	v_cmp_eq_u32_e64 s7, 7, v69
	s_waitcnt lgkmcnt(3)
	v_max3_f32 v76, v70, 0xff7fffff, v71
	s_waitcnt lgkmcnt(2)
	s_delay_alu instid0(VALU_DEP_1) | instskip(SKIP_1) | instid1(VALU_DEP_1)
	v_max3_f32 v76, v76, v72, v73
	s_waitcnt lgkmcnt(1)
	v_max3_f32 v76, v76, v74, v75
	s_waitcnt lgkmcnt(0)
	s_delay_alu instid0(VALU_DEP_1) | instskip(NEXT) | instid1(VALU_DEP_1)
	v_max3_f32 v76, v76, v94, v95
	v_sub_f32_e32 v77, v71, v76
	ds_load_2addr_b32 v[96:97], v98 offset0:136 offset1:153
	v_sub_f32_e32 v74, v74, v76
	v_sub_f32_e32 v70, v70, v76
	;; [unrolled: 1-line block ×3, first 2 shown]
	v_dual_sub_f32 v72, v72, v76 :: v_dual_mul_f32 v77, 0x3fb8aa3b, v77
	s_delay_alu instid0(VALU_DEP_4) | instskip(NEXT) | instid1(VALU_DEP_4)
	v_mul_f32_e32 v103, 0x3fb8aa3b, v74
	v_mul_f32_e32 v99, 0x3fb8aa3b, v70
	ds_load_2addr_b32 v[70:71], v98 offset0:170 offset1:187
	v_dual_mul_f32 v101, 0x3fb8aa3b, v72 :: v_dual_mul_f32 v94, 0x3fb8aa3b, v94
	v_exp_f32_e32 v102, v77
	v_exp_f32_e32 v99, v99
	s_delay_alu instid0(VALU_DEP_1) | instskip(NEXT) | instid1(VALU_DEP_1)
	v_exp_f32_e32 v101, v101
	v_exp_f32_e32 v94, v94
	s_waitcnt lgkmcnt(1)
	s_delay_alu instid0(TRANS32_DEP_3)
	v_fma_f32 v77, v99, v96, 0
	v_sub_f32_e32 v100, v73, v76
	ds_load_2addr_b32 v[72:73], v98 offset0:204 offset1:221
	v_fmac_f32_e32 v77, v102, v97
	v_exp_f32_e32 v97, v103
	s_waitcnt lgkmcnt(1)
	s_delay_alu instid0(VALU_DEP_1)
	v_dual_fmac_f32 v77, v101, v70 :: v_dual_sub_f32 v96, v75, v76
	ds_load_2addr_b32 v[74:75], v98 offset0:238 offset1:255
	v_sub_f32_e32 v70, v95, v76
	s_waitcnt lgkmcnt(0)
	s_barrier
	v_mul_f32_e32 v96, 0x3fb8aa3b, v96
	buffer_gl0_inv
	v_exp_f32_e32 v95, v96
	v_mul_f32_e32 v100, 0x3fb8aa3b, v100
	s_delay_alu instid0(VALU_DEP_1) | instskip(SKIP_3) | instid1(VALU_DEP_2)
	v_exp_f32_e32 v100, v100
	s_waitcnt_depctr 0xfff
	v_dual_fmac_f32 v77, v100, v71 :: v_dual_mul_f32 v70, 0x3fb8aa3b, v70
	v_cndmask_b32_e32 v71, v99, v102, vcc_lo
	v_fmac_f32_e32 v77, v97, v72
	s_delay_alu instid0(VALU_DEP_3) | instskip(NEXT) | instid1(VALU_DEP_1)
	v_exp_f32_e32 v96, v70
	v_fmac_f32_e32 v77, v95, v73
	s_delay_alu instid0(VALU_DEP_1) | instskip(SKIP_2) | instid1(VALU_DEP_1)
	v_fmac_f32_e32 v77, v94, v74
	s_waitcnt_depctr 0xfff
	v_fmac_f32_e32 v77, v96, v75
	v_add_f32_e32 v74, 0x358637bd, v77
	s_delay_alu instid0(VALU_DEP_1) | instskip(SKIP_1) | instid1(VALU_DEP_2)
	v_div_scale_f32 v98, null, v74, v74, 1.0
	v_div_scale_f32 v99, vcc_lo, 1.0, v74, 1.0
	v_rcp_f32_e32 v103, v98
	s_waitcnt_depctr 0xfff
	v_fma_f32 v70, -v98, v103, 1.0
	s_delay_alu instid0(VALU_DEP_1) | instskip(SKIP_2) | instid1(VALU_DEP_2)
	v_fmac_f32_e32 v103, v70, v103
	v_cndmask_b32_e64 v70, v71, v101, s3
	v_cmp_eq_u32_e64 s3, 6, v69
	v_cndmask_b32_e64 v71, v70, v100, s4
	s_delay_alu instid0(VALU_DEP_4) | instskip(NEXT) | instid1(VALU_DEP_2)
	v_dual_mul_f32 v101, v99, v103 :: v_dual_lshlrev_b32 v70, 2, v66
	v_cndmask_b32_e64 v71, v71, v97, s5
	s_delay_alu instid0(VALU_DEP_2) | instskip(NEXT) | instid1(VALU_DEP_3)
	v_or_b32_e32 v72, 1, v70
	v_fma_f32 v100, -v98, v101, v99
	v_cmp_eq_u32_e64 s4, 1, v70
	v_cmp_eq_u32_e64 s5, 2, v70
	v_cndmask_b32_e64 v95, v71, v95, s6
	v_or_b32_e32 v71, 3, v70
	v_fmac_f32_e32 v101, v100, v103
	v_cmp_eq_u32_e64 s9, 1, v72
	v_cmp_eq_u32_e64 s12, 2, v72
	v_cndmask_b32_e64 v94, v95, v94, s3
	v_cmp_eq_u32_e64 s11, 1, v71
	v_fma_f32 v97, -v98, v101, v99
	v_cmp_eq_u32_e64 s16, 2, v71
	v_cmp_eq_u32_e64 s13, 3, v72
	v_cndmask_b32_e64 v94, v94, v96, s7
	v_cmp_eq_u32_e64 s18, 3, v71
	v_div_fmas_f32 v95, v97, v103, v101
	v_cmp_eq_u32_e32 vcc_lo, 3, v70
	v_cmp_eq_u32_e64 s3, 4, v70
	v_cmp_eq_u32_e64 s19, 4, v72
	;; [unrolled: 1-line block ×3, first 2 shown]
	v_div_fixup_f32 v95, v95, v74, 1.0
	v_lshlrev_b32_e32 v73, 6, v68
	v_cmp_eq_u32_e64 s6, 5, v70
	v_cmp_eq_u32_e64 s20, 5, v72
	;; [unrolled: 1-line block ×3, first 2 shown]
	v_mul_f32_e32 v102, v94, v95
	v_lshl_or_b32 v75, v69, 11, v73
	v_or_b32_e32 v69, 2, v70
	v_cmp_eq_u32_e64 s25, 6, v72
	v_cmp_eq_u32_e64 s27, 6, v71
	v_fma_mixlo_f16 v94, v102, v79, 0
	v_fma_mixlo_f16 v95, v102, v81, 0
	;; [unrolled: 1-line block ×8, first 2 shown]
	v_lshl_or_b32 v74, v66, 4, v75
	v_fma_mixhi_f16 v94, v102, v78, 0
	v_fma_mixhi_f16 v95, v102, v80, 0
	;; [unrolled: 1-line block ×8, first 2 shown]
	ds_store_b128 v74, v[94:97]
	ds_store_b128 v74, v[98:101] offset:1024
	s_waitcnt lgkmcnt(0)
	s_barrier
	buffer_gl0_inv
	ds_load_b128 v[78:81], v75
	ds_load_b128 v[82:85], v75 offset:16
	ds_load_b128 v[86:89], v75 offset:1024
	;; [unrolled: 1-line block ×3, first 2 shown]
	v_cmp_eq_u32_e64 s10, 1, v69
	v_cmp_eq_u32_e64 s15, 2, v69
	;; [unrolled: 1-line block ×11, first 2 shown]
	s_waitcnt lgkmcnt(3)
	v_lshrrev_b32_e32 v94, 16, v78
	s_waitcnt lgkmcnt(2)
	v_lshrrev_b32_e32 v98, 16, v82
	;; [unrolled: 2-line block ×4, first 2 shown]
	v_lshrrev_b32_e32 v95, 16, v79
	v_cndmask_b32_e64 v110, v78, v94, s4
	v_cndmask_b32_e64 v111, v82, v98, s4
	v_cndmask_b32_e64 v112, v78, v94, s9
	v_cndmask_b32_e64 v113, v82, v98, s9
	v_cndmask_b32_e64 v114, v78, v94, s10
	v_cndmask_b32_e64 v115, v82, v98, s10
	v_cndmask_b32_e64 v78, v78, v94, s11
	v_cndmask_b32_e64 v82, v82, v98, s11
	v_lshrrev_b32_e32 v99, 16, v83
	v_cndmask_b32_e64 v94, v86, v102, s4
	v_cndmask_b32_e64 v98, v90, v106, s4
	;; [unrolled: 1-line block ×15, first 2 shown]
	v_lshrrev_b32_e32 v103, 16, v87
	v_lshrrev_b32_e32 v107, 16, v91
	v_cndmask_b32_e64 v113, v115, v83, s15
	v_cndmask_b32_e64 v82, v94, v87, s5
	;; [unrolled: 1-line block ×7, first 2 shown]
	v_cndmask_b32_e32 v90, v102, v95, vcc_lo
	v_cndmask_b32_e32 v102, v106, v99, vcc_lo
	v_cndmask_b32_e64 v106, v110, v95, s13
	v_cndmask_b32_e64 v110, v111, v99, s13
	;; [unrolled: 1-line block ×4, first 2 shown]
	v_lshrrev_b32_e32 v96, 16, v80
	v_lshrrev_b32_e32 v100, 16, v84
	v_cndmask_b32_e64 v111, v112, v95, s17
	v_cndmask_b32_e64 v112, v113, v99, s17
	v_cndmask_b32_e32 v82, v82, v103, vcc_lo
	v_cndmask_b32_e32 v83, v83, v107, vcc_lo
	v_cndmask_b32_e64 v94, v94, v103, s13
	v_cndmask_b32_e64 v90, v90, v80, s3
	;; [unrolled: 1-line block ×7, first 2 shown]
	v_lshrrev_b32_e32 v104, 16, v88
	v_cndmask_b32_e64 v106, v111, v80, s21
	v_cndmask_b32_e64 v110, v112, v84, s21
	v_cndmask_b32_e64 v80, v82, v88, s3
	v_cndmask_b32_e64 v82, v83, v92, s3
	v_cndmask_b32_e64 v83, v94, v88, s19
	v_cndmask_b32_e64 v84, v90, v96, s6
	v_cndmask_b32_e64 v90, v95, v100, s6
	v_cndmask_b32_e64 v94, v99, v96, s20
	v_cndmask_b32_e64 v95, v102, v100, s20
	v_cndmask_b32_e64 v78, v78, v96, s24
	v_cndmask_b32_e64 v79, v79, v100, s24
	v_lshrrev_b32_e32 v97, 16, v81
	v_lshrrev_b32_e32 v101, 16, v85
	v_cndmask_b32_e64 v99, v106, v96, s23
	v_cndmask_b32_e64 v102, v110, v100, s23
	;; [unrolled: 1-line block ×7, first 2 shown]
	v_lshrrev_b32_e32 v105, 16, v89
	v_cndmask_b32_e64 v80, v80, v104, s6
	v_cndmask_b32_e64 v84, v84, v81, s7
	;; [unrolled: 1-line block ×16, first 2 shown]
	v_perm_b32 v81, v79, v78, 0x5040100
	v_perm_b32 v79, v95, v85, 0x5040100
	v_cndmask_b32_e64 v78, v119, v91, s15
	v_cndmask_b32_e64 v85, v117, v91, s12
	;; [unrolled: 1-line block ×3, first 2 shown]
	v_perm_b32 v80, v94, v90, 0x5040100
	v_cndmask_b32_e64 v90, v98, v103, s17
	v_cndmask_b32_e64 v86, v86, v103, s18
	;; [unrolled: 1-line block ×5, first 2 shown]
	v_lshrrev_b32_e32 v108, 16, v92
	v_cndmask_b32_e64 v90, v90, v88, s21
	v_cndmask_b32_e64 v86, v86, v88, s22
	;; [unrolled: 1-line block ×11, first 2 shown]
	v_lshrrev_b32_e32 v109, 16, v93
	v_cndmask_b32_e64 v82, v82, v93, s7
	v_cndmask_b32_e64 v88, v88, v89, s26
	;; [unrolled: 1-line block ×12, first 2 shown]
	v_perm_b32 v78, v84, v83, 0x5040100
	v_perm_b32 v85, v87, v86, 0x5040100
	;; [unrolled: 1-line block ×5, first 2 shown]
	s_mul_i32 s8, s33, 14
	s_mov_b32 s3, exec_lo
	ds_store_b128 v74, v[78:81]
	ds_store_b128 v74, v[82:85] offset:1024
	v_cmpx_gt_u32_e32 14, v0
	s_cbranch_execz .LBB803_14
; %bb.13:
	s_mul_i32 s4, s8, s34
	s_delay_alu instid0(SALU_CYCLE_1) | instskip(SKIP_1) | instid1(VALU_DEP_1)
	v_add3_u32 v68, s4, s31, v68
	s_load_b128 s[4:7], s[0:1], 0x58
	v_mad_u64_u32 v[78:79], null, v68, s35, s[14:15]
	s_delay_alu instid0(VALU_DEP_1) | instskip(NEXT) | instid1(VALU_DEP_1)
	v_ashrrev_i32_e32 v79, 31, v78
	v_lshlrev_b64 v[78:79], 2, v[78:79]
	s_waitcnt lgkmcnt(0)
	s_delay_alu instid0(VALU_DEP_1) | instskip(NEXT) | instid1(VALU_DEP_2)
	v_add_co_u32 v80, vcc_lo, s6, v78
	v_add_co_ci_u32_e32 v81, vcc_lo, s7, v79, vcc_lo
	v_add_co_u32 v78, vcc_lo, s4, v78
	v_add_co_ci_u32_e32 v79, vcc_lo, s5, v79, vcc_lo
	global_store_b32 v[80:81], v76, off
	global_store_b32 v[78:79], v77, off
.LBB803_14:
	s_or_b32 exec_lo, exec_lo, s3
	s_waitcnt lgkmcnt(0)
	s_waitcnt_vscnt null, 0x0
	s_barrier
	buffer_gl0_inv
	ds_load_b128 v[84:87], v73
	ds_load_b128 v[88:91], v73 offset:16
	ds_load_b128 v[96:99], v73 offset:2064
	;; [unrolled: 1-line block ×5, first 2 shown]
	v_cmp_eq_u32_e32 vcc_lo, 1, v70
	v_mov_b32_e32 v76, 0
	ds_load_b128 v[112:115], v73 offset:6160
	ds_load_b128 v[108:111], v73 offset:6144
	;; [unrolled: 1-line block ×4, first 2 shown]
	v_cmp_eq_u32_e64 s4, 1, v69
	v_cmp_eq_u32_e64 s3, 1, v72
	;; [unrolled: 1-line block ×3, first 2 shown]
	v_mov_b32_e32 v77, v76
	v_mov_b32_e32 v78, v76
	v_mov_b32_e32 v79, v76
	v_mov_b32_e32 v80, v76
	v_mov_b32_e32 v81, v76
	v_mov_b32_e32 v82, v76
	v_mov_b32_e32 v83, v76
	v_cmp_eq_u32_e64 s6, 3, v72
	v_cmp_eq_u32_e64 s7, 7, v72
	s_waitcnt lgkmcnt(8)
	s_delay_alu instid0(VALU_DEP_3)
	v_wmma_f32_16x16x16_f16 v[76:83], v[49:56], v[84:91], v[76:83]
	ds_load_b128 v[53:56], v73 offset:10256
	ds_load_b128 v[49:52], v73 offset:10240
	s_waitcnt lgkmcnt(8)
	v_wmma_f32_16x16x16_f16 v[76:83], v[41:48], v[92:99], v[76:83]
	ds_load_b128 v[45:48], v73 offset:12304
	ds_load_b128 v[41:44], v73 offset:12288
	s_waitcnt lgkmcnt(8)
	;; [unrolled: 4-line block ×3, first 2 shown]
	s_barrier
	buffer_gl0_inv
	v_wmma_f32_16x16x16_f16 v[76:83], v[1:8], v[108:115], v[76:83]
	s_delay_alu instid0(VALU_DEP_1) | instskip(NEXT) | instid1(VALU_DEP_1)
	v_wmma_f32_16x16x16_f16 v[76:83], v[9:16], v[116:123], v[76:83]
	v_wmma_f32_16x16x16_f16 v[76:83], v[17:24], v[49:56], v[76:83]
	s_delay_alu instid0(VALU_DEP_1) | instskip(NEXT) | instid1(VALU_DEP_1)
	v_wmma_f32_16x16x16_f16 v[76:83], v[25:32], v[41:48], v[76:83]
	v_wmma_f32_16x16x16_f16 v[76:83], v[57:64], v[33:40], v[76:83]
	s_delay_alu instid0(VALU_DEP_1) | instskip(NEXT) | instid1(VALU_DEP_2)
	v_cvt_f16_f32_e32 v1, v76
	v_cvt_f16_f32_e32 v2, v77
	s_delay_alu instid0(VALU_DEP_3) | instskip(NEXT) | instid1(VALU_DEP_4)
	v_cvt_f16_f32_e32 v3, v78
	v_cvt_f16_f32_e32 v4, v79
	;; [unrolled: 1-line block ×6, first 2 shown]
	v_pack_b32_f16 v1, v1, v2
	v_pack_b32_f16 v2, v3, v4
	;; [unrolled: 1-line block ×3, first 2 shown]
	s_delay_alu instid0(VALU_DEP_4)
	v_pack_b32_f16 v4, v7, v8
	ds_store_b128 v74, v[1:4]
	s_waitcnt lgkmcnt(0)
	s_barrier
	buffer_gl0_inv
	ds_load_b128 v[1:4], v75
	ds_load_b128 v[5:8], v75 offset:16
	s_waitcnt lgkmcnt(1)
	v_lshrrev_b32_e32 v9, 16, v1
	s_waitcnt lgkmcnt(0)
	v_lshrrev_b32_e32 v13, 16, v5
	v_lshrrev_b32_e32 v10, 16, v2
	;; [unrolled: 1-line block ×4, first 2 shown]
	v_cndmask_b32_e32 v17, v1, v9, vcc_lo
	v_cndmask_b32_e32 v18, v5, v13, vcc_lo
	v_cndmask_b32_e64 v21, v1, v9, s4
	v_cmp_eq_u32_e32 vcc_lo, 1, v71
	v_cndmask_b32_e64 v22, v5, v13, s4
	v_cmp_eq_u32_e64 s4, 2, v70
	v_cndmask_b32_e64 v19, v1, v9, s3
	v_cndmask_b32_e64 v20, v5, v13, s3
	v_cndmask_b32_e32 v1, v1, v9, vcc_lo
	v_cmp_eq_u32_e64 s3, 2, v71
	v_cndmask_b32_e32 v5, v5, v13, vcc_lo
	v_cndmask_b32_e64 v9, v17, v2, s4
	v_cmp_eq_u32_e32 vcc_lo, 3, v70
	v_cndmask_b32_e64 v13, v18, v6, s4
	v_cmp_eq_u32_e64 s4, 2, v69
	v_cndmask_b32_e64 v17, v19, v2, s5
	v_cndmask_b32_e64 v18, v20, v6, s5
	v_cmp_eq_u32_e64 s5, 3, v69
	v_cndmask_b32_e64 v1, v1, v2, s3
	v_cndmask_b32_e64 v19, v21, v2, s4
	;; [unrolled: 1-line block ×4, first 2 shown]
	v_cndmask_b32_e32 v5, v9, v10, vcc_lo
	v_cndmask_b32_e32 v6, v13, v14, vcc_lo
	v_cmp_eq_u32_e32 vcc_lo, 3, v71
	v_cndmask_b32_e64 v9, v17, v10, s6
	v_cndmask_b32_e64 v13, v18, v14, s6
	;; [unrolled: 1-line block ×3, first 2 shown]
	v_cmp_eq_u32_e64 s4, 4, v70
	v_cndmask_b32_e32 v1, v1, v10, vcc_lo
	v_cndmask_b32_e32 v2, v2, v14, vcc_lo
	v_cmp_eq_u32_e32 vcc_lo, 4, v72
	v_lshrrev_b32_e32 v15, 16, v7
	v_lshrrev_b32_e32 v16, 16, v8
	v_cndmask_b32_e64 v17, v19, v10, s5
	v_cmp_eq_u32_e64 s3, 4, v71
	v_cndmask_b32_e64 v5, v5, v3, s4
	v_cndmask_b32_e64 v6, v6, v7, s4
	v_cndmask_b32_e32 v9, v9, v3, vcc_lo
	v_cmp_eq_u32_e64 s4, 5, v72
	v_cndmask_b32_e32 v10, v13, v7, vcc_lo
	v_cmp_eq_u32_e32 vcc_lo, 4, v69
	v_cmp_eq_u32_e64 s5, 5, v70
	v_cndmask_b32_e64 v2, v2, v7, s3
	v_cndmask_b32_e64 v9, v9, v11, s4
	;; [unrolled: 1-line block ×3, first 2 shown]
	v_cndmask_b32_e32 v13, v17, v3, vcc_lo
	v_cmp_eq_u32_e64 s4, 5, v69
	v_cndmask_b32_e32 v14, v18, v7, vcc_lo
	v_cndmask_b32_e64 v1, v1, v3, s3
	v_cmp_eq_u32_e32 vcc_lo, 5, v71
	v_lshrrev_b32_e32 v12, 16, v4
	v_cndmask_b32_e64 v13, v13, v11, s4
	v_cndmask_b32_e64 v3, v14, v15, s4
	v_cmp_eq_u32_e64 s4, 6, v71
	v_cndmask_b32_e32 v1, v1, v11, vcc_lo
	v_cndmask_b32_e64 v5, v5, v11, s5
	v_cmp_eq_u32_e64 s6, 6, v70
	v_cndmask_b32_e64 v6, v6, v15, s5
	v_cmp_eq_u32_e64 s5, 6, v72
	v_cmp_eq_u32_e64 s3, 6, v69
	v_cndmask_b32_e64 v1, v1, v4, s4
	v_cndmask_b32_e32 v2, v2, v15, vcc_lo
	v_cmp_eq_u32_e32 vcc_lo, 7, v71
	v_cndmask_b32_e64 v5, v5, v4, s6
	v_cndmask_b32_e64 v9, v9, v4, s5
	;; [unrolled: 1-line block ×3, first 2 shown]
	v_cmp_eq_u32_e64 s6, 7, v70
	v_cndmask_b32_e32 v1, v1, v12, vcc_lo
	v_cndmask_b32_e64 v7, v13, v4, s3
	v_cndmask_b32_e64 v3, v3, v8, s3
	;; [unrolled: 1-line block ×3, first 2 shown]
	v_cmp_eq_u32_e64 s3, 7, v69
	v_cndmask_b32_e64 v4, v10, v8, s5
	v_cndmask_b32_e64 v5, v5, v12, s6
	;; [unrolled: 1-line block ×3, first 2 shown]
	v_cndmask_b32_e32 v2, v2, v16, vcc_lo
	v_cndmask_b32_e64 v7, v7, v12, s3
	v_cndmask_b32_e64 v3, v3, v16, s3
	;; [unrolled: 1-line block ×4, first 2 shown]
	v_cmp_gt_u32_e32 vcc_lo, 32, v0
	v_perm_b32 v4, v2, v1, 0x5040100
	v_perm_b32 v3, v3, v7, 0x5040100
	;; [unrolled: 1-line block ×4, first 2 shown]
	s_and_b32 s2, vcc_lo, s2
	ds_store_b128 v74, v[1:4]
	s_waitcnt lgkmcnt(0)
	s_barrier
	buffer_gl0_inv
	s_and_saveexec_b32 s3, s2
	s_cbranch_execz .LBB803_2
; %bb.15:
	s_load_b64 s[0:1], s[0:1], 0x68
	v_lshlrev_b32_e32 v0, 10, v0
	s_lshl_b32 s4, s35, 6
	v_or_b32_e32 v3, s31, v66
	s_mul_i32 s2, s4, s34
	v_lshlrev_b32_e32 v1, 4, v67
	v_lshlrev_b32_e32 v2, 6, v66
	v_and_b32_e32 v0, 0x3800, v0
	s_mul_i32 s2, s2, s8
	v_mul_lo_u32 v8, v3, s4
	s_ashr_i32 s3, s2, 31
	s_delay_alu instid0(SALU_CYCLE_1)
	s_lshl_b64 s[2:3], s[2:3], 1
	v_or3_b32 v16, v0, v1, v2
	ds_load_b128 v[0:3], v16
	ds_load_b128 v[4:7], v16 offset:128
	v_ashrrev_i32_e32 v9, 31, v8
	s_waitcnt lgkmcnt(0)
	s_add_u32 s2, s0, s2
	s_addc_u32 s3, s1, s3
	s_lshl_b32 s0, s14, 6
	s_delay_alu instid0(SALU_CYCLE_1) | instskip(SKIP_2) | instid1(SALU_CYCLE_1)
	s_ashr_i32 s1, s0, 31
	v_lshlrev_b64 v[9:10], 1, v[8:9]
	s_lshl_b64 s[0:1], s[0:1], 1
	s_add_u32 s0, s2, s0
	s_addc_u32 s1, s3, s1
	s_lshl_b32 s2, s35, 7
	v_add_co_u32 v30, s0, s0, v65
	v_add_nc_u32_e32 v11, s2, v8
	v_add_co_ci_u32_e64 v31, null, s1, 0, s0
	s_delay_alu instid0(VALU_DEP_3) | instskip(NEXT) | instid1(VALU_DEP_3)
	v_add_co_u32 v9, vcc_lo, v30, v9
	v_add_nc_u32_e32 v8, s2, v11
	s_delay_alu instid0(VALU_DEP_3) | instskip(SKIP_1) | instid1(VALU_DEP_3)
	v_add_co_ci_u32_e32 v10, vcc_lo, v31, v10, vcc_lo
	v_ashrrev_i32_e32 v12, 31, v11
	v_add_nc_u32_e32 v13, s2, v8
	global_store_b128 v[9:10], v[0:3], off
	v_ashrrev_i32_e32 v9, 31, v8
	v_lshlrev_b64 v[11:12], 1, v[11:12]
	v_ashrrev_i32_e32 v14, 31, v13
	v_add_nc_u32_e32 v10, s2, v13
	s_delay_alu instid0(VALU_DEP_4) | instskip(NEXT) | instid1(VALU_DEP_4)
	v_lshlrev_b64 v[2:3], 1, v[8:9]
	v_add_co_u32 v0, vcc_lo, v30, v11
	s_delay_alu instid0(VALU_DEP_4)
	v_lshlrev_b64 v[8:9], 1, v[13:14]
	v_add_co_ci_u32_e32 v1, vcc_lo, v31, v12, vcc_lo
	v_ashrrev_i32_e32 v11, 31, v10
	v_add_co_u32 v22, vcc_lo, v30, v2
	v_add_nc_u32_e32 v20, s2, v10
	v_add_co_ci_u32_e32 v23, vcc_lo, v31, v3, vcc_lo
	v_add_co_u32 v24, vcc_lo, v30, v8
	global_store_b128 v[0:1], v[4:7], off
	v_add_co_ci_u32_e32 v25, vcc_lo, v31, v9, vcc_lo
	ds_load_b128 v[0:3], v16 offset:256
	ds_load_b128 v[4:7], v16 offset:384
	v_lshlrev_b64 v[26:27], 1, v[10:11]
	ds_load_b128 v[8:11], v16 offset:512
	ds_load_b128 v[12:15], v16 offset:640
	;; [unrolled: 1-line block ×3, first 2 shown]
	v_add_nc_u32_e32 v28, s2, v20
	v_ashrrev_i32_e32 v21, 31, v20
	v_add_co_u32 v26, vcc_lo, v30, v26
	s_delay_alu instid0(VALU_DEP_3) | instskip(NEXT) | instid1(VALU_DEP_3)
	v_ashrrev_i32_e32 v29, 31, v28
	v_lshlrev_b64 v[20:21], 1, v[20:21]
	v_add_co_ci_u32_e32 v27, vcc_lo, v31, v27, vcc_lo
	s_delay_alu instid0(VALU_DEP_3) | instskip(NEXT) | instid1(VALU_DEP_3)
	v_lshlrev_b64 v[28:29], 1, v[28:29]
	v_add_co_u32 v20, vcc_lo, v30, v20
	s_delay_alu instid0(VALU_DEP_4) | instskip(NEXT) | instid1(VALU_DEP_3)
	v_add_co_ci_u32_e32 v21, vcc_lo, v31, v21, vcc_lo
	v_add_co_u32 v28, vcc_lo, v30, v28
	s_delay_alu instid0(VALU_DEP_4)
	v_add_co_ci_u32_e32 v29, vcc_lo, v31, v29, vcc_lo
	s_waitcnt lgkmcnt(4)
	global_store_b128 v[22:23], v[0:3], off
	s_waitcnt lgkmcnt(3)
	global_store_b128 v[24:25], v[4:7], off
	;; [unrolled: 2-line block ×5, first 2 shown]
	s_nop 0
	s_sendmsg sendmsg(MSG_DEALLOC_VGPRS)
	s_endpgm
	.section	.rodata,"a",@progbits
	.p2align	6, 0x0
	.amdhsa_kernel _Z39paged_attention_ll4mi_QKV_mfma16_kernelIDF16_hLN4vllm18Fp8KVCacheDataTypeE1EhLi16ELi64ELi256ELb0ELi14EL8MFMAType1EEvPKT_PKT0_S8_ifPKiSA_SA_iPKfiiiPfSD_PS3_PT2_iSC_SC_
		.amdhsa_group_segment_fixed_size 17472
		.amdhsa_private_segment_fixed_size 0
		.amdhsa_kernarg_size 400
		.amdhsa_user_sgpr_count 13
		.amdhsa_user_sgpr_dispatch_ptr 0
		.amdhsa_user_sgpr_queue_ptr 0
		.amdhsa_user_sgpr_kernarg_segment_ptr 1
		.amdhsa_user_sgpr_dispatch_id 0
		.amdhsa_user_sgpr_private_segment_size 0
		.amdhsa_wavefront_size32 1
		.amdhsa_uses_dynamic_stack 0
		.amdhsa_enable_private_segment 0
		.amdhsa_system_sgpr_workgroup_id_x 1
		.amdhsa_system_sgpr_workgroup_id_y 1
		.amdhsa_system_sgpr_workgroup_id_z 1
		.amdhsa_system_sgpr_workgroup_info 0
		.amdhsa_system_vgpr_workitem_id 0
		.amdhsa_next_free_vgpr 146
		.amdhsa_next_free_sgpr 36
		.amdhsa_reserve_vcc 1
		.amdhsa_float_round_mode_32 0
		.amdhsa_float_round_mode_16_64 0
		.amdhsa_float_denorm_mode_32 3
		.amdhsa_float_denorm_mode_16_64 3
		.amdhsa_dx10_clamp 1
		.amdhsa_ieee_mode 1
		.amdhsa_fp16_overflow 0
		.amdhsa_workgroup_processor_mode 1
		.amdhsa_memory_ordered 1
		.amdhsa_forward_progress 0
		.amdhsa_shared_vgpr_count 0
		.amdhsa_exception_fp_ieee_invalid_op 0
		.amdhsa_exception_fp_denorm_src 0
		.amdhsa_exception_fp_ieee_div_zero 0
		.amdhsa_exception_fp_ieee_overflow 0
		.amdhsa_exception_fp_ieee_underflow 0
		.amdhsa_exception_fp_ieee_inexact 0
		.amdhsa_exception_int_div_zero 0
	.end_amdhsa_kernel
	.section	.text._Z39paged_attention_ll4mi_QKV_mfma16_kernelIDF16_hLN4vllm18Fp8KVCacheDataTypeE1EhLi16ELi64ELi256ELb0ELi14EL8MFMAType1EEvPKT_PKT0_S8_ifPKiSA_SA_iPKfiiiPfSD_PS3_PT2_iSC_SC_,"axG",@progbits,_Z39paged_attention_ll4mi_QKV_mfma16_kernelIDF16_hLN4vllm18Fp8KVCacheDataTypeE1EhLi16ELi64ELi256ELb0ELi14EL8MFMAType1EEvPKT_PKT0_S8_ifPKiSA_SA_iPKfiiiPfSD_PS3_PT2_iSC_SC_,comdat
.Lfunc_end803:
	.size	_Z39paged_attention_ll4mi_QKV_mfma16_kernelIDF16_hLN4vllm18Fp8KVCacheDataTypeE1EhLi16ELi64ELi256ELb0ELi14EL8MFMAType1EEvPKT_PKT0_S8_ifPKiSA_SA_iPKfiiiPfSD_PS3_PT2_iSC_SC_, .Lfunc_end803-_Z39paged_attention_ll4mi_QKV_mfma16_kernelIDF16_hLN4vllm18Fp8KVCacheDataTypeE1EhLi16ELi64ELi256ELb0ELi14EL8MFMAType1EEvPKT_PKT0_S8_ifPKiSA_SA_iPKfiiiPfSD_PS3_PT2_iSC_SC_
                                        ; -- End function
	.section	.AMDGPU.csdata,"",@progbits
; Kernel info:
; codeLenInByte = 6640
; NumSgprs: 38
; NumVgprs: 146
; ScratchSize: 0
; MemoryBound: 0
; FloatMode: 240
; IeeeMode: 1
; LDSByteSize: 17472 bytes/workgroup (compile time only)
; SGPRBlocks: 4
; VGPRBlocks: 18
; NumSGPRsForWavesPerEU: 38
; NumVGPRsForWavesPerEU: 146
; Occupancy: 9
; WaveLimiterHint : 1
; COMPUTE_PGM_RSRC2:SCRATCH_EN: 0
; COMPUTE_PGM_RSRC2:USER_SGPR: 13
; COMPUTE_PGM_RSRC2:TRAP_HANDLER: 0
; COMPUTE_PGM_RSRC2:TGID_X_EN: 1
; COMPUTE_PGM_RSRC2:TGID_Y_EN: 1
; COMPUTE_PGM_RSRC2:TGID_Z_EN: 1
; COMPUTE_PGM_RSRC2:TIDIG_COMP_CNT: 0
	.section	.text._Z39paged_attention_ll4mi_QKV_mfma16_kernelIDF16_hLN4vllm18Fp8KVCacheDataTypeE1EhLi16ELi64ELi256ELb0ELi15EL8MFMAType1EEvPKT_PKT0_S8_ifPKiSA_SA_iPKfiiiPfSD_PS3_PT2_iSC_SC_,"axG",@progbits,_Z39paged_attention_ll4mi_QKV_mfma16_kernelIDF16_hLN4vllm18Fp8KVCacheDataTypeE1EhLi16ELi64ELi256ELb0ELi15EL8MFMAType1EEvPKT_PKT0_S8_ifPKiSA_SA_iPKfiiiPfSD_PS3_PT2_iSC_SC_,comdat
	.protected	_Z39paged_attention_ll4mi_QKV_mfma16_kernelIDF16_hLN4vllm18Fp8KVCacheDataTypeE1EhLi16ELi64ELi256ELb0ELi15EL8MFMAType1EEvPKT_PKT0_S8_ifPKiSA_SA_iPKfiiiPfSD_PS3_PT2_iSC_SC_ ; -- Begin function _Z39paged_attention_ll4mi_QKV_mfma16_kernelIDF16_hLN4vllm18Fp8KVCacheDataTypeE1EhLi16ELi64ELi256ELb0ELi15EL8MFMAType1EEvPKT_PKT0_S8_ifPKiSA_SA_iPKfiiiPfSD_PS3_PT2_iSC_SC_
	.globl	_Z39paged_attention_ll4mi_QKV_mfma16_kernelIDF16_hLN4vllm18Fp8KVCacheDataTypeE1EhLi16ELi64ELi256ELb0ELi15EL8MFMAType1EEvPKT_PKT0_S8_ifPKiSA_SA_iPKfiiiPfSD_PS3_PT2_iSC_SC_
	.p2align	8
	.type	_Z39paged_attention_ll4mi_QKV_mfma16_kernelIDF16_hLN4vllm18Fp8KVCacheDataTypeE1EhLi16ELi64ELi256ELb0ELi15EL8MFMAType1EEvPKT_PKT0_S8_ifPKiSA_SA_iPKfiiiPfSD_PS3_PT2_iSC_SC_,@function
_Z39paged_attention_ll4mi_QKV_mfma16_kernelIDF16_hLN4vllm18Fp8KVCacheDataTypeE1EhLi16ELi64ELi256ELb0ELi15EL8MFMAType1EEvPKT_PKT0_S8_ifPKiSA_SA_iPKfiiiPfSD_PS3_PT2_iSC_SC_: ; @_Z39paged_attention_ll4mi_QKV_mfma16_kernelIDF16_hLN4vllm18Fp8KVCacheDataTypeE1EhLi16ELi64ELi256ELb0ELi15EL8MFMAType1EEvPKT_PKT0_S8_ifPKiSA_SA_iPKfiiiPfSD_PS3_PT2_iSC_SC_
; %bb.0:
	s_load_b64 s[2:3], s[0:1], 0x30
	s_mov_b32 s34, s13
	s_waitcnt lgkmcnt(0)
	s_cmp_lg_u64 s[2:3], 0
	s_cselect_b32 s6, -1, 0
	s_ashr_i32 s35, s13, 31
	s_cmp_eq_u64 s[2:3], 0
	s_cbranch_scc1 .LBB804_3
; %bb.1:
	s_lshl_b64 s[4:5], s[34:35], 2
	s_delay_alu instid0(SALU_CYCLE_1) | instskip(SKIP_4) | instid1(SALU_CYCLE_1)
	s_add_u32 s4, s2, s4
	s_addc_u32 s5, s3, s5
	s_load_b64 s[4:5], s[4:5], 0x0
	s_waitcnt lgkmcnt(0)
	s_sub_i32 s4, s5, s4
	s_cmp_eq_u32 s4, 1
	s_cselect_b32 s4, -1, 0
	s_delay_alu instid0(SALU_CYCLE_1)
	s_and_not1_b32 vcc_lo, exec_lo, s4
	s_cbranch_vccz .LBB804_4
.LBB804_2:
	s_nop 0
	s_sendmsg sendmsg(MSG_DEALLOC_VGPRS)
	s_endpgm
.LBB804_3:
.LBB804_4:
	s_load_b64 s[8:9], s[0:1], 0x28
	s_lshl_b64 s[4:5], s[34:35], 2
	s_waitcnt lgkmcnt(0)
	s_add_u32 s8, s8, s4
	s_addc_u32 s9, s9, s5
	s_lshl_b32 s16, s14, 8
	s_load_b32 s18, s[8:9], 0x0
	s_waitcnt lgkmcnt(0)
	s_cmp_ge_i32 s16, s18
	s_cbranch_scc1 .LBB804_2
; %bb.5:
	s_clause 0x1
	s_load_b128 s[8:11], s[0:1], 0x8
	s_load_b64 s[12:13], s[0:1], 0x20
	s_and_not1_b32 vcc_lo, exec_lo, s6
	s_cbranch_vccnz .LBB804_7
; %bb.6:
	s_add_u32 s2, s2, s4
	s_addc_u32 s3, s3, s5
	s_load_b32 s3, s[2:3], 0x0
	s_branch .LBB804_8
.LBB804_7:
	s_mov_b32 s3, s34
.LBB804_8:
	s_load_b128 s[4:7], s[0:1], 0x48
	v_lshrrev_b32_e32 v69, 5, v0
	v_bfe_u32 v66, v0, 4, 1
	v_and_b32_e32 v68, 15, v0
	v_and_b32_e32 v70, 31, v0
	;; [unrolled: 1-line block ×3, first 2 shown]
	s_mul_i32 s33, s15, 15
	v_lshl_or_b32 v1, v69, 1, v66
	v_lshlrev_b32_e32 v2, 3, v68
	v_cmp_gt_u32_e64 s2, 8, v68
	s_delay_alu instid0(VALU_DEP_3) | instskip(NEXT) | instid1(VALU_DEP_3)
	v_cmp_gt_u32_e32 vcc_lo, 15, v1
	v_lshlrev_b32_e32 v65, 1, v2
	s_delay_alu instid0(VALU_DEP_3)
	s_and_b32 s17, s2, vcc_lo
	s_waitcnt lgkmcnt(0)
	s_and_saveexec_b32 s7, s17
	s_cbranch_execz .LBB804_10
; %bb.9:
	s_load_b64 s[20:21], s[0:1], 0x0
	v_add_lshl_u32 v2, v1, s33, 6
	s_mul_hi_i32 s23, s3, s4
	s_mul_i32 s22, s3, s4
	v_lshlrev_b32_e32 v6, 10, v68
	s_lshl_b64 s[22:23], s[22:23], 1
	v_ashrrev_i32_e32 v3, 31, v2
	v_lshlrev_b32_e32 v1, 6, v1
	v_lshlrev_b32_e32 v7, 10, v67
	v_and_b32_e32 v6, 0x3800, v6
	s_delay_alu instid0(VALU_DEP_4) | instskip(NEXT) | instid1(VALU_DEP_2)
	v_lshlrev_b64 v[2:3], 1, v[2:3]
	v_or3_b32 v1, v6, v7, v1
	s_waitcnt lgkmcnt(0)
	s_add_u32 s3, s20, s22
	s_addc_u32 s4, s21, s23
	s_delay_alu instid0(VALU_DEP_2) | instskip(SKIP_1) | instid1(VALU_DEP_2)
	v_add_co_u32 v2, vcc_lo, s3, v2
	v_add_co_ci_u32_e32 v3, vcc_lo, s4, v3, vcc_lo
	v_add_co_u32 v2, vcc_lo, v2, v65
	s_delay_alu instid0(VALU_DEP_2)
	v_add_co_ci_u32_e32 v3, vcc_lo, 0, v3, vcc_lo
	global_load_b128 v[2:5], v[2:3], off
	s_waitcnt vmcnt(0)
	ds_store_b128 v1, v[2:5]
.LBB804_10:
	s_or_b32 exec_lo, exec_lo, s7
	v_and_b32_e32 v1, 0xef, v0
	s_add_i32 s3, s18, 15
	s_clause 0x1
	s_load_b32 s4, s[0:1], 0x38
	s_load_b32 s35, s[0:1], 0x98
	s_ashr_i32 s7, s3, 31
	v_add_nc_u32_e32 v1, s16, v1
	s_lshr_b32 s7, s7, 28
	s_load_b32 s19, s[0:1], 0x1c
	s_add_i32 s3, s3, s7
	s_waitcnt lgkmcnt(0)
	v_ashrrev_i32_e32 v2, 31, v1
	v_or_b32_e32 v3, 16, v1
	s_ashr_i32 s3, s3, 4
	v_cmp_gt_i32_e32 vcc_lo, s18, v1
	s_add_i32 s3, s3, -1
	v_lshrrev_b32_e32 v2, 28, v2
	s_barrier
	buffer_gl0_inv
	s_mul_i32 s15, s15, s6
	v_mbcnt_lo_u32_b32 v127, -1, 0
	v_add_nc_u32_e32 v4, v1, v2
	s_mul_i32 s20, s34, s4
	s_delay_alu instid0(SALU_CYCLE_1) | instskip(NEXT) | instid1(VALU_DEP_1)
	s_ashr_i32 s21, s20, 31
	v_ashrrev_i32_e32 v4, 4, v4
	v_add_nc_u32_e32 v2, v3, v2
	s_lshl_b64 s[20:21], s[20:21], 2
	v_xor_b32_e32 v128, 16, v127
	s_add_u32 s17, s12, s20
	v_cndmask_b32_e32 v1, s3, v4, vcc_lo
	v_ashrrev_i32_e32 v2, 4, v2
	v_cmp_gt_i32_e32 vcc_lo, s18, v3
	s_addc_u32 s13, s13, s21
	s_ashr_i32 s20, s15, 31
	s_add_u32 s4, s8, s15
	s_addc_u32 s12, s9, s20
	v_cndmask_b32_e32 v3, s3, v2, vcc_lo
	v_ashrrev_i32_e32 v2, 31, v1
	s_lshl_b32 s6, s14, 4
	s_delay_alu instid0(SALU_CYCLE_1) | instskip(NEXT) | instid1(VALU_DEP_2)
	s_ashr_i32 s7, s6, 31
	v_ashrrev_i32_e32 v4, 31, v3
	s_delay_alu instid0(VALU_DEP_2) | instskip(SKIP_1) | instid1(SALU_CYCLE_1)
	v_lshlrev_b64 v[1:2], 2, v[1:2]
	s_lshl_b64 s[6:7], s[6:7], 2
	s_add_u32 s6, s17, s6
	s_delay_alu instid0(VALU_DEP_2) | instskip(SKIP_1) | instid1(VALU_DEP_2)
	v_lshlrev_b64 v[3:4], 2, v[3:4]
	s_addc_u32 s7, s13, s7
	v_add_co_u32 v1, vcc_lo, s17, v1
	v_add_co_ci_u32_e32 v2, vcc_lo, s13, v2, vcc_lo
	s_delay_alu instid0(VALU_DEP_3) | instskip(NEXT) | instid1(VALU_DEP_4)
	v_add_co_u32 v3, vcc_lo, s17, v3
	v_add_co_ci_u32_e32 v4, vcc_lo, s13, v4, vcc_lo
	s_clause 0x1
	global_load_b32 v5, v[1:2], off
	global_load_b32 v7, v[3:4], off
	s_or_b32 s8, s16, 32
	v_lshlrev_b32_e32 v1, 4, v0
	s_ashr_i32 s9, s8, 4
	s_cmp_lt_i32 s8, s18
	v_cmp_ne_u32_e32 vcc_lo, 15, v68
	s_cselect_b32 s8, s9, s3
	v_and_b32_e32 v1, 0xf0, v1
	s_ashr_i32 s9, s8, 31
	s_delay_alu instid0(SALU_CYCLE_1)
	s_lshl_b64 s[8:9], s[8:9], 2
	v_cndmask_b32_e32 v103, 0, v68, vcc_lo
	s_add_u32 s8, s17, s8
	s_addc_u32 s9, s13, s9
	s_or_b32 s21, s16, 64
	v_add_co_u32 v1, s4, s4, v1
	s_ashr_i32 s22, s21, 4
	s_cmp_lt_i32 s21, s18
	v_add_co_ci_u32_e64 v2, null, s12, 0, s4
	s_cselect_b32 s22, s22, s3
	v_cmp_gt_i32_e32 vcc_lo, 32, v128
	s_ashr_i32 s23, s22, 31
	v_lshlrev_b32_e32 v115, 6, v103
	s_lshl_b64 s[22:23], s[22:23], 2
	v_cndmask_b32_e32 v136, v127, v128, vcc_lo
	s_add_u32 s22, s17, s22
	s_addc_u32 s23, s13, s23
	s_or_b32 s21, s16, 0x60
	s_delay_alu instid0(SALU_CYCLE_1) | instskip(SKIP_2) | instid1(SALU_CYCLE_1)
	s_ashr_i32 s24, s21, 4
	s_cmp_lt_i32 s21, s18
	s_cselect_b32 s24, s24, s3
	s_ashr_i32 s25, s24, 31
	s_delay_alu instid0(SALU_CYCLE_1) | instskip(NEXT) | instid1(SALU_CYCLE_1)
	s_lshl_b64 s[24:25], s[24:25], 2
	s_add_u32 s24, s17, s24
	s_addc_u32 s25, s13, s25
	s_or_b32 s21, s16, 0x80
	s_delay_alu instid0(SALU_CYCLE_1) | instskip(SKIP_2) | instid1(SALU_CYCLE_1)
	s_ashr_i32 s26, s21, 4
	s_cmp_lt_i32 s21, s18
	s_cselect_b32 s26, s26, s3
	s_ashr_i32 s27, s26, 31
	s_delay_alu instid0(SALU_CYCLE_1) | instskip(NEXT) | instid1(SALU_CYCLE_1)
	s_lshl_b64 s[26:27], s[26:27], 2
	;; [unrolled: 10-line block ×3, first 2 shown]
	s_add_u32 s28, s17, s28
	s_addc_u32 s29, s13, s29
	s_clause 0x5
	s_load_b32 s12, s[6:7], 0x0
	s_load_b32 s4, s[8:9], 0x0
	;; [unrolled: 1-line block ×6, first 2 shown]
	s_or_b32 s21, s16, 0xc0
	s_delay_alu instid0(SALU_CYCLE_1) | instskip(SKIP_2) | instid1(SALU_CYCLE_1)
	s_ashr_i32 s22, s21, 4
	s_cmp_lt_i32 s21, s18
	s_cselect_b32 s22, s22, s3
	s_ashr_i32 s23, s22, 31
	s_delay_alu instid0(SALU_CYCLE_1) | instskip(NEXT) | instid1(SALU_CYCLE_1)
	s_lshl_b64 s[22:23], s[22:23], 2
	s_add_u32 s22, s17, s22
	s_addc_u32 s23, s13, s23
	s_or_b32 s21, s16, 0xe0
	s_delay_alu instid0(SALU_CYCLE_1) | instskip(SKIP_2) | instid1(SALU_CYCLE_1)
	s_ashr_i32 s24, s21, 4
	s_cmp_lt_i32 s21, s18
	s_cselect_b32 s24, s24, s3
	s_ashr_i32 s25, s24, 31
	s_delay_alu instid0(SALU_CYCLE_1)
	s_lshl_b64 s[24:25], s[24:25], 2
	s_waitcnt vmcnt(1)
	v_mad_i64_i32 v[3:4], null, v5, s5, v[1:2]
	s_waitcnt vmcnt(0)
	v_mad_i64_i32 v[5:6], null, v7, s5, v[1:2]
	v_lshlrev_b32_e32 v1, 4, v68
	s_clause 0x7
	global_load_b128 v[71:74], v[3:4], off
	global_load_b128 v[75:78], v[3:4], off offset:256
	global_load_b128 v[79:82], v[5:6], off
	global_load_b128 v[83:86], v[5:6], off offset:256
	global_load_b128 v[87:90], v[3:4], off offset:512
	;; [unrolled: 1-line block ×5, first 2 shown]
	v_lshl_or_b32 v1, v69, 8, v1
	s_load_b32 s3, s[22:23], 0x0
	s_add_u32 s22, s17, s24
	s_addc_u32 s23, s13, s25
	s_add_u32 s10, s10, s15
	s_addc_u32 s11, s11, s20
	v_add_co_u32 v1, s10, s10, v1
	s_delay_alu instid0(VALU_DEP_1) | instskip(SKIP_2) | instid1(VALU_DEP_1)
	v_add_co_ci_u32_e64 v2, null, s11, 0, s10
	s_load_b32 s10, s[22:23], 0x0
	s_waitcnt lgkmcnt(0)
	v_mad_i64_i32 v[3:4], null, s12, s5, v[1:2]
	v_mad_i64_i32 v[9:10], null, s7, s5, v[1:2]
	;; [unrolled: 1-line block ×7, first 2 shown]
	s_clause 0x5
	global_load_b128 v[49:52], v[3:4], off
	global_load_b128 v[53:56], v[3:4], off offset:16
	global_load_b128 v[41:44], v[5:6], off
	global_load_b128 v[45:48], v[5:6], off offset:16
	;; [unrolled: 2-line block ×3, first 2 shown]
	s_mov_b32 s4, 0
	v_mad_i64_i32 v[61:62], null, s10, s5, v[1:2]
	s_clause 0x9
	global_load_b128 v[1:4], v[9:10], off
	global_load_b128 v[5:8], v[9:10], off offset:16
	global_load_b128 v[9:12], v[13:14], off
	global_load_b128 v[13:16], v[13:14], off offset:16
	;; [unrolled: 2-line block ×5, first 2 shown]
	s_mov_b32 s5, s4
	s_mov_b32 s6, s4
	;; [unrolled: 1-line block ×7, first 2 shown]
	v_and_b32_e32 v104, 0xe0, v0
	v_dual_mov_b32 v126, s11 :: v_dual_mov_b32 v125, s10
	v_dual_mov_b32 v124, s9 :: v_dual_mov_b32 v123, s8
	s_delay_alu instid0(VALU_DEP_3)
	v_add_nc_u32_e32 v111, s16, v104
	ds_load_b128 v[103:106], v115
	ds_load_b128 v[107:110], v115 offset:1024
	v_dual_mov_b32 v122, s7 :: v_dual_mov_b32 v121, s6
	v_mov_b32_e32 v120, s5
	v_or_b32_e32 v135, v111, v66
	ds_load_b128 v[111:114], v115 offset:2048
	ds_load_b128 v[115:118], v115 offset:3072
	v_mov_b32_e32 v119, s4
	s_waitcnt vmcnt(0) lgkmcnt(0)
	s_barrier
	v_or_b32_e32 v137, 2, v135
	v_or_b32_e32 v138, 4, v135
	;; [unrolled: 1-line block ×3, first 2 shown]
	v_cmp_gt_i32_e32 vcc_lo, s18, v135
	v_or_b32_e32 v140, 8, v135
	v_cmp_gt_i32_e64 s3, s18, v137
	v_or_b32_e32 v141, 10, v135
	v_cmp_gt_i32_e64 s4, s18, v138
	v_cmp_gt_i32_e64 s5, s18, v139
	v_or_b32_e32 v142, 12, v135
	v_or_b32_e32 v143, 14, v135
	v_cmp_gt_i32_e64 s6, s18, v140
	v_cmp_gt_i32_e64 s7, s18, v141
	v_or_b32_e32 v144, 16, v135
	v_or_b32_e32 v145, 18, v135
	v_cmp_gt_i32_e64 s8, s18, v142
	v_cmp_gt_i32_e64 s9, s18, v143
	buffer_gl0_inv
	v_cmp_gt_i32_e64 s10, s18, v144
	v_cmp_gt_i32_e64 s11, s18, v145
	v_wmma_f32_16x16x16_f16 v[127:134], v[71:78], v[103:110], v[119:126]
	v_wmma_f32_16x16x16_f16 v[119:126], v[79:86], v[103:110], v[119:126]
	v_or_b32_e32 v71, 20, v135
	v_or_b32_e32 v72, 22, v135
	s_delay_alu instid0(VALU_DEP_4)
	v_wmma_f32_16x16x16_f16 v[127:134], v[87:94], v[111:118], v[127:134]
	v_or_b32_e32 v73, 24, v135
	v_wmma_f32_16x16x16_f16 v[119:126], v[95:102], v[111:118], v[119:126]
	v_or_b32_e32 v74, 26, v135
	v_cmp_gt_i32_e64 s12, s18, v71
	v_dual_mul_f32 v83, s19, v128 :: v_dual_mul_f32 v84, s19, v127
	s_delay_alu instid0(VALU_DEP_4) | instskip(SKIP_1) | instid1(VALU_DEP_3)
	v_dual_mul_f32 v81, s19, v130 :: v_dual_mul_f32 v92, s19, v119
	v_mul_f32_e32 v82, s19, v129
	v_cndmask_b32_e64 v83, 0xff7fffff, v83, s3
	s_delay_alu instid0(VALU_DEP_4)
	v_cndmask_b32_e32 v84, 0xff7fffff, v84, vcc_lo
	v_dual_mul_f32 v79, s19, v132 :: v_dual_mul_f32 v90, s19, v121
	v_mul_f32_e32 v80, s19, v131
	v_cndmask_b32_e64 v82, 0xff7fffff, v82, s4
	v_cndmask_b32_e64 v81, 0xff7fffff, v81, s5
	v_max3_f32 v83, v84, 0xff7fffff, v83
	v_dual_mul_f32 v77, s19, v134 :: v_dual_mul_f32 v88, s19, v123
	v_mul_f32_e32 v78, s19, v133
	v_cndmask_b32_e64 v80, 0xff7fffff, v80, s6
	v_cndmask_b32_e64 v79, 0xff7fffff, v79, s7
	v_max3_f32 v81, v83, v82, v81
	v_mul_f32_e32 v91, s19, v120
	v_cndmask_b32_e64 v78, 0xff7fffff, v78, s8
	v_cndmask_b32_e64 v77, 0xff7fffff, v77, s9
	v_mul_f32_e32 v89, s19, v122
	v_max3_f32 v79, v81, v80, v79
	v_cndmask_b32_e64 v80, 0xff7fffff, v92, s10
	v_cndmask_b32_e64 v81, 0xff7fffff, v91, s11
	v_cmp_gt_i32_e64 s13, s18, v72
	v_or_b32_e32 v75, 28, v135
	v_max3_f32 v77, v79, v78, v77
	v_or_b32_e32 v76, 30, v135
	v_mul_f32_e32 v87, s19, v124
	v_cndmask_b32_e64 v71, 0xff7fffff, v90, s12
	v_cndmask_b32_e64 v72, 0xff7fffff, v89, s13
	v_max3_f32 v77, v77, v80, v81
	v_cmp_gt_i32_e64 s15, s18, v73
	v_cmp_gt_i32_e64 s16, s18, v74
	v_dual_mul_f32 v85, s19, v126 :: v_dual_mul_f32 v86, s19, v125
	s_delay_alu instid0(VALU_DEP_4) | instskip(NEXT) | instid1(VALU_DEP_4)
	v_max3_f32 v71, v77, v71, v72
	v_cndmask_b32_e64 v73, 0xff7fffff, v88, s15
	s_delay_alu instid0(VALU_DEP_4) | instskip(SKIP_2) | instid1(VALU_DEP_3)
	v_cndmask_b32_e64 v74, 0xff7fffff, v87, s16
	v_cmp_gt_i32_e64 s17, s18, v75
	v_cmp_gt_i32_e64 s18, s18, v76
	v_max3_f32 v71, v71, v73, v74
	s_delay_alu instid0(VALU_DEP_3) | instskip(NEXT) | instid1(VALU_DEP_3)
	v_cndmask_b32_e64 v72, 0xff7fffff, v86, s17
	v_cndmask_b32_e64 v75, 0xff7fffff, v85, s18
	v_lshlrev_b32_e32 v73, 2, v136
	s_delay_alu instid0(VALU_DEP_2) | instskip(SKIP_3) | instid1(VALU_DEP_1)
	v_max3_f32 v71, v71, v72, v75
	ds_bpermute_b32 v72, v73, v71
	s_waitcnt lgkmcnt(0)
	v_max_f32_e32 v72, v72, v72
	v_max_f32_e32 v71, v71, v72
	s_delay_alu instid0(VALU_DEP_1)
	v_fma_f32 v72, s19, v127, -v71
	v_fma_f32 v74, s19, v128, -v71
	;; [unrolled: 1-line block ×5, first 2 shown]
	v_mul_f32_e32 v72, 0x3fb8aa3b, v72
	v_mul_f32_e32 v74, 0x3fb8aa3b, v74
	v_fma_f32 v80, s19, v133, -v71
	s_delay_alu instid0(VALU_DEP_4) | instskip(NEXT) | instid1(VALU_DEP_4)
	v_dual_mul_f32 v76, 0x3fb8aa3b, v76 :: v_dual_mul_f32 v77, 0x3fb8aa3b, v77
	v_exp_f32_e32 v72, v72
	s_delay_alu instid0(VALU_DEP_3) | instskip(NEXT) | instid1(VALU_DEP_2)
	v_exp_f32_e32 v74, v74
	v_mul_f32_e32 v82, 0x3fb8aa3b, v80
	s_delay_alu instid0(VALU_DEP_2) | instskip(SKIP_1) | instid1(VALU_DEP_1)
	v_exp_f32_e32 v76, v76
	v_exp_f32_e32 v77, v77
	v_exp_f32_e32 v84, v82
	v_cndmask_b32_e32 v79, 0, v72, vcc_lo
	v_fma_f32 v72, s19, v132, -v71
	v_mul_f32_e32 v75, 0x3fb8aa3b, v75
	v_cndmask_b32_e64 v78, 0, v74, s3
	s_delay_alu instid0(TRANS32_DEP_3)
	v_cndmask_b32_e64 v80, 0, v76, s5
	v_add_f32_e32 v74, 0, v79
	v_mul_f32_e32 v72, 0x3fb8aa3b, v72
	v_exp_f32_e32 v75, v75
	v_cndmask_b32_e64 v83, 0, v77, s6
	v_cndmask_b32_e64 v85, 0, v84, s8
	v_add_f32_e32 v74, v74, v78
	v_exp_f32_e32 v72, v72
	v_cmp_gt_u32_e64 s3, 16, v70
	s_waitcnt_depctr 0xfff
	v_cndmask_b32_e64 v81, 0, v75, s4
	v_cndmask_b32_e64 v82, 0, v72, s7
	s_delay_alu instid0(VALU_DEP_2) | instskip(NEXT) | instid1(VALU_DEP_1)
	v_add_f32_e32 v74, v74, v81
	v_add_f32_e32 v74, v74, v80
	s_delay_alu instid0(VALU_DEP_1) | instskip(SKIP_4) | instid1(VALU_DEP_4)
	v_add_f32_e32 v72, v74, v83
	v_fma_f32 v75, s19, v134, -v71
	v_fma_f32 v76, s19, v119, -v71
	;; [unrolled: 1-line block ×4, first 2 shown]
	v_dual_add_f32 v72, v72, v82 :: v_dual_mul_f32 v75, 0x3fb8aa3b, v75
	s_delay_alu instid0(VALU_DEP_3) | instskip(SKIP_1) | instid1(VALU_DEP_3)
	v_dual_mul_f32 v76, 0x3fb8aa3b, v76 :: v_dual_mul_f32 v77, 0x3fb8aa3b, v77
	v_fma_f32 v86, s19, v122, -v71
	v_add_f32_e32 v72, v72, v85
	s_delay_alu instid0(VALU_DEP_4) | instskip(NEXT) | instid1(VALU_DEP_3)
	v_exp_f32_e32 v75, v75
	v_exp_f32_e32 v76, v76
	;; [unrolled: 1-line block ×3, first 2 shown]
	v_mul_f32_e32 v86, 0x3fb8aa3b, v86
	s_delay_alu instid0(VALU_DEP_1) | instskip(SKIP_3) | instid1(TRANS32_DEP_3)
	v_exp_f32_e32 v88, v86
	v_cndmask_b32_e64 v84, 0, v75, s9
	v_fma_f32 v75, s19, v123, -v71
	v_mul_f32_e32 v74, 0x3fb8aa3b, v74
	v_cndmask_b32_e64 v87, 0, v76, s10
	v_fma_f32 v76, s19, v124, -v71
	s_delay_alu instid0(VALU_DEP_4) | instskip(NEXT) | instid1(VALU_DEP_4)
	v_dual_add_f32 v72, v72, v84 :: v_dual_mul_f32 v75, 0x3fb8aa3b, v75
	v_exp_f32_e32 v74, v74
	v_cndmask_b32_e64 v86, 0, v77, s11
	v_fma_f32 v77, s19, v125, -v71
	s_delay_alu instid0(VALU_DEP_3) | instskip(SKIP_3) | instid1(VALU_DEP_3)
	v_add_f32_e32 v72, v72, v87
	v_mul_f32_e32 v76, 0x3fb8aa3b, v76
	v_exp_f32_e32 v75, v75
	v_cndmask_b32_e64 v88, 0, v88, s13
	v_add_f32_e32 v72, v72, v86
	s_delay_alu instid0(VALU_DEP_3) | instskip(NEXT) | instid1(TRANS32_DEP_3)
	v_exp_f32_e32 v76, v76
	v_cndmask_b32_e64 v89, 0, v74, s12
	v_mul_f32_e32 v74, 0x3fb8aa3b, v77
	v_fma_f32 v77, s19, v126, -v71
	s_delay_alu instid0(VALU_DEP_3) | instskip(NEXT) | instid1(VALU_DEP_3)
	v_add_f32_e32 v72, v72, v89
	v_exp_f32_e32 v74, v74
	s_delay_alu instid0(TRANS32_DEP_3) | instskip(NEXT) | instid1(VALU_DEP_3)
	v_cndmask_b32_e64 v91, 0, v75, s15
	v_mul_f32_e32 v75, 0x3fb8aa3b, v77
	s_delay_alu instid0(TRANS32_DEP_2) | instskip(SKIP_1) | instid1(VALU_DEP_3)
	v_cndmask_b32_e64 v90, 0, v76, s16
	v_add_f32_e32 v72, v72, v88
	v_exp_f32_e32 v75, v75
	s_delay_alu instid0(VALU_DEP_1) | instskip(NEXT) | instid1(TRANS32_DEP_2)
	v_add_f32_e32 v72, v72, v91
	v_cndmask_b32_e64 v93, 0, v74, s17
	s_delay_alu instid0(VALU_DEP_2) | instskip(SKIP_3) | instid1(VALU_DEP_1)
	v_add_f32_e32 v72, v72, v90
	s_waitcnt_depctr 0xfff
	v_cndmask_b32_e64 v92, 0, v75, s18
	v_add_f32_e32 v72, v72, v93
	v_add_f32_e32 v72, v72, v92
	ds_bpermute_b32 v73, v73, v72
	s_and_saveexec_b32 s4, s3
	s_cbranch_execz .LBB804_12
; %bb.11:
	v_mul_u32_u24_e32 v70, 0x44, v69
	s_waitcnt lgkmcnt(0)
	v_add_f32_e32 v72, v72, v73
	s_delay_alu instid0(VALU_DEP_2) | instskip(NEXT) | instid1(VALU_DEP_1)
	v_lshl_add_u32 v70, v68, 2, v70
	v_add_nc_u32_e32 v70, 0x4000, v70
	ds_store_2addr_b32 v70, v71, v72 offset1:136
.LBB804_12:
	s_or_b32 exec_lo, exec_lo, s4
	v_lshlrev_b32_e32 v70, 2, v68
	s_load_b32 s36, s[0:1], 0x94
	s_waitcnt lgkmcnt(0)
	s_barrier
	buffer_gl0_inv
	v_add_nc_u32_e32 v98, 0x4000, v70
	v_cmp_eq_u32_e32 vcc_lo, 1, v69
	v_cmp_eq_u32_e64 s4, 2, v69
	v_cmp_eq_u32_e64 s5, 3, v69
	;; [unrolled: 1-line block ×3, first 2 shown]
	ds_load_2addr_b32 v[70:71], v98 offset1:17
	ds_load_2addr_b32 v[72:73], v98 offset0:34 offset1:51
	ds_load_2addr_b32 v[74:75], v98 offset0:68 offset1:85
	;; [unrolled: 1-line block ×3, first 2 shown]
	v_cmp_eq_u32_e64 s7, 5, v69
	v_cmp_eq_u32_e64 s8, 7, v69
	s_waitcnt lgkmcnt(3)
	v_max3_f32 v76, v70, 0xff7fffff, v71
	s_waitcnt lgkmcnt(2)
	s_delay_alu instid0(VALU_DEP_1) | instskip(SKIP_1) | instid1(VALU_DEP_1)
	v_max3_f32 v76, v76, v72, v73
	s_waitcnt lgkmcnt(1)
	v_max3_f32 v76, v76, v74, v75
	s_waitcnt lgkmcnt(0)
	s_delay_alu instid0(VALU_DEP_1) | instskip(NEXT) | instid1(VALU_DEP_1)
	v_max3_f32 v76, v76, v94, v95
	v_sub_f32_e32 v77, v71, v76
	ds_load_2addr_b32 v[96:97], v98 offset0:136 offset1:153
	v_sub_f32_e32 v74, v74, v76
	v_sub_f32_e32 v70, v70, v76
	;; [unrolled: 1-line block ×3, first 2 shown]
	v_dual_sub_f32 v72, v72, v76 :: v_dual_mul_f32 v77, 0x3fb8aa3b, v77
	s_delay_alu instid0(VALU_DEP_4) | instskip(NEXT) | instid1(VALU_DEP_4)
	v_mul_f32_e32 v103, 0x3fb8aa3b, v74
	v_mul_f32_e32 v99, 0x3fb8aa3b, v70
	ds_load_2addr_b32 v[70:71], v98 offset0:170 offset1:187
	v_dual_mul_f32 v101, 0x3fb8aa3b, v72 :: v_dual_mul_f32 v94, 0x3fb8aa3b, v94
	v_exp_f32_e32 v102, v77
	v_exp_f32_e32 v99, v99
	s_delay_alu instid0(VALU_DEP_1) | instskip(NEXT) | instid1(VALU_DEP_1)
	v_exp_f32_e32 v101, v101
	v_exp_f32_e32 v94, v94
	s_waitcnt lgkmcnt(1)
	s_delay_alu instid0(TRANS32_DEP_3)
	v_fma_f32 v77, v99, v96, 0
	v_sub_f32_e32 v100, v73, v76
	ds_load_2addr_b32 v[72:73], v98 offset0:204 offset1:221
	v_fmac_f32_e32 v77, v102, v97
	v_exp_f32_e32 v97, v103
	s_waitcnt lgkmcnt(1)
	s_delay_alu instid0(VALU_DEP_1)
	v_dual_fmac_f32 v77, v101, v70 :: v_dual_sub_f32 v96, v75, v76
	ds_load_2addr_b32 v[74:75], v98 offset0:238 offset1:255
	v_sub_f32_e32 v70, v95, v76
	s_waitcnt lgkmcnt(0)
	s_barrier
	v_mul_f32_e32 v96, 0x3fb8aa3b, v96
	buffer_gl0_inv
	v_exp_f32_e32 v95, v96
	v_mul_f32_e32 v100, 0x3fb8aa3b, v100
	s_delay_alu instid0(VALU_DEP_1) | instskip(SKIP_3) | instid1(VALU_DEP_2)
	v_exp_f32_e32 v100, v100
	s_waitcnt_depctr 0xfff
	v_dual_fmac_f32 v77, v100, v71 :: v_dual_mul_f32 v70, 0x3fb8aa3b, v70
	v_cndmask_b32_e32 v71, v99, v102, vcc_lo
	v_fmac_f32_e32 v77, v97, v72
	s_delay_alu instid0(VALU_DEP_3) | instskip(NEXT) | instid1(VALU_DEP_1)
	v_exp_f32_e32 v96, v70
	v_fmac_f32_e32 v77, v95, v73
	s_delay_alu instid0(VALU_DEP_1) | instskip(SKIP_2) | instid1(VALU_DEP_1)
	v_fmac_f32_e32 v77, v94, v74
	s_waitcnt_depctr 0xfff
	v_fmac_f32_e32 v77, v96, v75
	v_add_f32_e32 v74, 0x358637bd, v77
	s_delay_alu instid0(VALU_DEP_1) | instskip(SKIP_1) | instid1(VALU_DEP_2)
	v_div_scale_f32 v98, null, v74, v74, 1.0
	v_div_scale_f32 v99, vcc_lo, 1.0, v74, 1.0
	v_rcp_f32_e32 v103, v98
	s_waitcnt_depctr 0xfff
	v_fma_f32 v70, -v98, v103, 1.0
	s_delay_alu instid0(VALU_DEP_1) | instskip(SKIP_2) | instid1(VALU_DEP_2)
	v_fmac_f32_e32 v103, v70, v103
	v_cndmask_b32_e64 v70, v71, v101, s4
	v_cmp_eq_u32_e64 s4, 6, v69
	v_cndmask_b32_e64 v71, v70, v100, s5
	s_delay_alu instid0(VALU_DEP_4) | instskip(NEXT) | instid1(VALU_DEP_2)
	v_dual_mul_f32 v101, v99, v103 :: v_dual_lshlrev_b32 v70, 2, v66
	v_cndmask_b32_e64 v71, v71, v97, s6
	s_delay_alu instid0(VALU_DEP_2) | instskip(NEXT) | instid1(VALU_DEP_3)
	v_or_b32_e32 v72, 1, v70
	v_fma_f32 v100, -v98, v101, v99
	v_cmp_eq_u32_e64 s5, 1, v70
	v_cmp_eq_u32_e64 s6, 2, v70
	v_cndmask_b32_e64 v95, v71, v95, s7
	v_or_b32_e32 v71, 3, v70
	v_fmac_f32_e32 v101, v100, v103
	v_cmp_eq_u32_e64 s10, 1, v72
	v_cmp_eq_u32_e64 s13, 2, v72
	v_cndmask_b32_e64 v94, v95, v94, s4
	v_cmp_eq_u32_e64 s12, 1, v71
	v_fma_f32 v97, -v98, v101, v99
	v_cmp_eq_u32_e64 s17, 2, v71
	v_cmp_eq_u32_e64 s15, 3, v72
	v_cndmask_b32_e64 v94, v94, v96, s8
	v_cmp_eq_u32_e64 s19, 3, v71
	v_div_fmas_f32 v95, v97, v103, v101
	v_cmp_eq_u32_e32 vcc_lo, 3, v70
	v_cmp_eq_u32_e64 s4, 4, v70
	v_cmp_eq_u32_e64 s20, 4, v72
	;; [unrolled: 1-line block ×3, first 2 shown]
	v_div_fixup_f32 v95, v95, v74, 1.0
	v_lshlrev_b32_e32 v73, 6, v68
	v_cmp_eq_u32_e64 s7, 5, v70
	v_cmp_eq_u32_e64 s21, 5, v72
	;; [unrolled: 1-line block ×3, first 2 shown]
	v_mul_f32_e32 v102, v94, v95
	v_lshl_or_b32 v75, v69, 11, v73
	v_or_b32_e32 v69, 2, v70
	v_cmp_eq_u32_e64 s26, 6, v72
	v_cmp_eq_u32_e64 s28, 6, v71
	v_fma_mixlo_f16 v94, v102, v79, 0
	v_fma_mixlo_f16 v95, v102, v81, 0
	;; [unrolled: 1-line block ×8, first 2 shown]
	v_lshl_or_b32 v74, v66, 4, v75
	v_fma_mixhi_f16 v94, v102, v78, 0
	v_fma_mixhi_f16 v95, v102, v80, 0
	;; [unrolled: 1-line block ×8, first 2 shown]
	ds_store_b128 v74, v[94:97]
	ds_store_b128 v74, v[98:101] offset:1024
	s_waitcnt lgkmcnt(0)
	s_barrier
	buffer_gl0_inv
	ds_load_b128 v[78:81], v75
	ds_load_b128 v[82:85], v75 offset:16
	ds_load_b128 v[86:89], v75 offset:1024
	;; [unrolled: 1-line block ×3, first 2 shown]
	v_cmp_eq_u32_e64 s11, 1, v69
	v_cmp_eq_u32_e64 s16, 2, v69
	;; [unrolled: 1-line block ×11, first 2 shown]
	s_waitcnt lgkmcnt(3)
	v_lshrrev_b32_e32 v94, 16, v78
	s_waitcnt lgkmcnt(2)
	v_lshrrev_b32_e32 v98, 16, v82
	;; [unrolled: 2-line block ×4, first 2 shown]
	v_lshrrev_b32_e32 v95, 16, v79
	v_cndmask_b32_e64 v110, v78, v94, s5
	v_cndmask_b32_e64 v111, v82, v98, s5
	;; [unrolled: 1-line block ×8, first 2 shown]
	v_lshrrev_b32_e32 v99, 16, v83
	v_cndmask_b32_e64 v94, v86, v102, s5
	v_cndmask_b32_e64 v98, v90, v106, s5
	;; [unrolled: 1-line block ×15, first 2 shown]
	v_lshrrev_b32_e32 v103, 16, v87
	v_lshrrev_b32_e32 v107, 16, v91
	v_cndmask_b32_e64 v113, v115, v83, s16
	v_cndmask_b32_e64 v82, v94, v87, s6
	;; [unrolled: 1-line block ×7, first 2 shown]
	v_cndmask_b32_e32 v90, v102, v95, vcc_lo
	v_cndmask_b32_e32 v102, v106, v99, vcc_lo
	v_cndmask_b32_e64 v106, v110, v95, s15
	v_cndmask_b32_e64 v110, v111, v99, s15
	;; [unrolled: 1-line block ×4, first 2 shown]
	v_lshrrev_b32_e32 v96, 16, v80
	v_lshrrev_b32_e32 v100, 16, v84
	v_cndmask_b32_e64 v111, v112, v95, s18
	v_cndmask_b32_e64 v112, v113, v99, s18
	v_cndmask_b32_e32 v82, v82, v103, vcc_lo
	v_cndmask_b32_e32 v83, v83, v107, vcc_lo
	v_cndmask_b32_e64 v94, v94, v103, s15
	v_cndmask_b32_e64 v90, v90, v80, s4
	v_cndmask_b32_e64 v95, v102, v84, s4
	v_cndmask_b32_e64 v99, v106, v80, s20
	v_cndmask_b32_e64 v102, v110, v84, s20
	v_cndmask_b32_e64 v78, v78, v80, s23
	v_cndmask_b32_e64 v79, v79, v84, s23
	v_lshrrev_b32_e32 v104, 16, v88
	v_cndmask_b32_e64 v106, v111, v80, s22
	v_cndmask_b32_e64 v110, v112, v84, s22
	;; [unrolled: 1-line block ×11, first 2 shown]
	v_lshrrev_b32_e32 v97, 16, v81
	v_lshrrev_b32_e32 v101, 16, v85
	v_cndmask_b32_e64 v99, v106, v96, s24
	v_cndmask_b32_e64 v102, v110, v100, s24
	;; [unrolled: 1-line block ×7, first 2 shown]
	v_lshrrev_b32_e32 v105, 16, v89
	v_cndmask_b32_e64 v80, v80, v104, s7
	v_cndmask_b32_e64 v84, v84, v81, s8
	;; [unrolled: 1-line block ×16, first 2 shown]
	v_perm_b32 v81, v79, v78, 0x5040100
	v_perm_b32 v79, v95, v85, 0x5040100
	v_cndmask_b32_e64 v78, v119, v91, s16
	v_cndmask_b32_e64 v85, v117, v91, s13
	;; [unrolled: 1-line block ×3, first 2 shown]
	v_perm_b32 v80, v94, v90, 0x5040100
	v_cndmask_b32_e64 v90, v98, v103, s18
	v_cndmask_b32_e64 v86, v86, v103, s19
	;; [unrolled: 1-line block ×5, first 2 shown]
	v_lshrrev_b32_e32 v108, 16, v92
	v_cndmask_b32_e64 v90, v90, v88, s22
	v_cndmask_b32_e64 v86, v86, v88, s23
	;; [unrolled: 1-line block ×11, first 2 shown]
	v_lshrrev_b32_e32 v109, 16, v93
	v_cndmask_b32_e64 v82, v82, v93, s8
	v_cndmask_b32_e64 v88, v88, v89, s27
	;; [unrolled: 1-line block ×12, first 2 shown]
	v_perm_b32 v78, v84, v83, 0x5040100
	v_perm_b32 v85, v87, v86, 0x5040100
	;; [unrolled: 1-line block ×5, first 2 shown]
	s_mul_i32 s9, s35, 15
	s_mov_b32 s4, exec_lo
	ds_store_b128 v74, v[78:81]
	ds_store_b128 v74, v[82:85] offset:1024
	v_cmpx_gt_u32_e32 15, v0
	s_cbranch_execz .LBB804_14
; %bb.13:
	s_mul_i32 s5, s9, s34
	s_load_b128 s[16:19], s[0:1], 0x58
	v_add3_u32 v68, s5, s33, v68
	s_delay_alu instid0(VALU_DEP_1) | instskip(NEXT) | instid1(VALU_DEP_1)
	v_mad_u64_u32 v[78:79], null, v68, s36, s[14:15]
	v_ashrrev_i32_e32 v79, 31, v78
	s_delay_alu instid0(VALU_DEP_1) | instskip(SKIP_1) | instid1(VALU_DEP_1)
	v_lshlrev_b64 v[78:79], 2, v[78:79]
	s_waitcnt lgkmcnt(0)
	v_add_co_u32 v80, vcc_lo, s18, v78
	s_delay_alu instid0(VALU_DEP_2)
	v_add_co_ci_u32_e32 v81, vcc_lo, s19, v79, vcc_lo
	v_add_co_u32 v78, vcc_lo, s16, v78
	v_add_co_ci_u32_e32 v79, vcc_lo, s17, v79, vcc_lo
	global_store_b32 v[80:81], v76, off
	global_store_b32 v[78:79], v77, off
.LBB804_14:
	s_or_b32 exec_lo, exec_lo, s4
	s_waitcnt lgkmcnt(0)
	s_waitcnt_vscnt null, 0x0
	s_barrier
	buffer_gl0_inv
	ds_load_b128 v[84:87], v73
	ds_load_b128 v[88:91], v73 offset:16
	ds_load_b128 v[96:99], v73 offset:2064
	;; [unrolled: 1-line block ×5, first 2 shown]
	v_cmp_eq_u32_e32 vcc_lo, 1, v70
	v_mov_b32_e32 v76, 0
	ds_load_b128 v[112:115], v73 offset:6160
	ds_load_b128 v[108:111], v73 offset:6144
	;; [unrolled: 1-line block ×4, first 2 shown]
	v_cmp_eq_u32_e64 s5, 1, v69
	v_cmp_eq_u32_e64 s4, 1, v72
	;; [unrolled: 1-line block ×3, first 2 shown]
	v_mov_b32_e32 v77, v76
	v_mov_b32_e32 v78, v76
	;; [unrolled: 1-line block ×7, first 2 shown]
	v_cmp_eq_u32_e64 s7, 3, v72
	v_cmp_eq_u32_e64 s8, 7, v72
	s_waitcnt lgkmcnt(8)
	s_delay_alu instid0(VALU_DEP_3)
	v_wmma_f32_16x16x16_f16 v[76:83], v[49:56], v[84:91], v[76:83]
	ds_load_b128 v[53:56], v73 offset:10256
	ds_load_b128 v[49:52], v73 offset:10240
	s_waitcnt lgkmcnt(8)
	v_wmma_f32_16x16x16_f16 v[76:83], v[41:48], v[92:99], v[76:83]
	ds_load_b128 v[45:48], v73 offset:12304
	ds_load_b128 v[41:44], v73 offset:12288
	s_waitcnt lgkmcnt(8)
	v_wmma_f32_16x16x16_f16 v[76:83], v[33:40], v[100:107], v[76:83]
	ds_load_b128 v[37:40], v73 offset:14352
	ds_load_b128 v[33:36], v73 offset:14336
	s_waitcnt lgkmcnt(0)
	s_barrier
	buffer_gl0_inv
	v_wmma_f32_16x16x16_f16 v[76:83], v[1:8], v[108:115], v[76:83]
	s_delay_alu instid0(VALU_DEP_1) | instskip(NEXT) | instid1(VALU_DEP_1)
	v_wmma_f32_16x16x16_f16 v[76:83], v[9:16], v[116:123], v[76:83]
	v_wmma_f32_16x16x16_f16 v[76:83], v[17:24], v[49:56], v[76:83]
	s_delay_alu instid0(VALU_DEP_1) | instskip(NEXT) | instid1(VALU_DEP_1)
	v_wmma_f32_16x16x16_f16 v[76:83], v[25:32], v[41:48], v[76:83]
	v_wmma_f32_16x16x16_f16 v[76:83], v[57:64], v[33:40], v[76:83]
	s_delay_alu instid0(VALU_DEP_1) | instskip(NEXT) | instid1(VALU_DEP_2)
	v_cvt_f16_f32_e32 v1, v76
	v_cvt_f16_f32_e32 v2, v77
	s_delay_alu instid0(VALU_DEP_3) | instskip(NEXT) | instid1(VALU_DEP_4)
	v_cvt_f16_f32_e32 v3, v78
	v_cvt_f16_f32_e32 v4, v79
	v_cvt_f16_f32_e32 v5, v80
	v_cvt_f16_f32_e32 v6, v81
	v_cvt_f16_f32_e32 v7, v82
	v_cvt_f16_f32_e32 v8, v83
	v_pack_b32_f16 v1, v1, v2
	v_pack_b32_f16 v2, v3, v4
	v_pack_b32_f16 v3, v5, v6
	s_delay_alu instid0(VALU_DEP_4)
	v_pack_b32_f16 v4, v7, v8
	ds_store_b128 v74, v[1:4]
	s_waitcnt lgkmcnt(0)
	s_barrier
	buffer_gl0_inv
	ds_load_b128 v[1:4], v75
	ds_load_b128 v[5:8], v75 offset:16
	s_waitcnt lgkmcnt(1)
	v_lshrrev_b32_e32 v9, 16, v1
	s_waitcnt lgkmcnt(0)
	v_lshrrev_b32_e32 v13, 16, v5
	v_lshrrev_b32_e32 v10, 16, v2
	;; [unrolled: 1-line block ×4, first 2 shown]
	v_cndmask_b32_e32 v17, v1, v9, vcc_lo
	v_cndmask_b32_e32 v18, v5, v13, vcc_lo
	v_cndmask_b32_e64 v21, v1, v9, s5
	v_cmp_eq_u32_e32 vcc_lo, 1, v71
	v_cndmask_b32_e64 v22, v5, v13, s5
	v_cmp_eq_u32_e64 s5, 2, v70
	v_cndmask_b32_e64 v19, v1, v9, s4
	v_cndmask_b32_e64 v20, v5, v13, s4
	v_cndmask_b32_e32 v1, v1, v9, vcc_lo
	v_cmp_eq_u32_e64 s4, 2, v71
	v_cndmask_b32_e32 v5, v5, v13, vcc_lo
	v_cndmask_b32_e64 v9, v17, v2, s5
	v_cmp_eq_u32_e32 vcc_lo, 3, v70
	v_cndmask_b32_e64 v13, v18, v6, s5
	v_cmp_eq_u32_e64 s5, 2, v69
	v_cndmask_b32_e64 v17, v19, v2, s6
	v_cndmask_b32_e64 v18, v20, v6, s6
	v_cmp_eq_u32_e64 s6, 3, v69
	v_cndmask_b32_e64 v1, v1, v2, s4
	v_cndmask_b32_e64 v19, v21, v2, s5
	;; [unrolled: 1-line block ×4, first 2 shown]
	v_cndmask_b32_e32 v5, v9, v10, vcc_lo
	v_cndmask_b32_e32 v6, v13, v14, vcc_lo
	v_cmp_eq_u32_e32 vcc_lo, 3, v71
	v_cndmask_b32_e64 v9, v17, v10, s7
	v_cndmask_b32_e64 v13, v18, v14, s7
	;; [unrolled: 1-line block ×3, first 2 shown]
	v_cmp_eq_u32_e64 s5, 4, v70
	v_cndmask_b32_e32 v1, v1, v10, vcc_lo
	v_cndmask_b32_e32 v2, v2, v14, vcc_lo
	v_cmp_eq_u32_e32 vcc_lo, 4, v72
	v_lshrrev_b32_e32 v15, 16, v7
	v_lshrrev_b32_e32 v16, 16, v8
	v_cndmask_b32_e64 v17, v19, v10, s6
	v_cmp_eq_u32_e64 s4, 4, v71
	v_cndmask_b32_e64 v5, v5, v3, s5
	v_cndmask_b32_e64 v6, v6, v7, s5
	v_cndmask_b32_e32 v9, v9, v3, vcc_lo
	v_cmp_eq_u32_e64 s5, 5, v72
	v_cndmask_b32_e32 v10, v13, v7, vcc_lo
	v_cmp_eq_u32_e32 vcc_lo, 4, v69
	v_cmp_eq_u32_e64 s6, 5, v70
	v_cndmask_b32_e64 v2, v2, v7, s4
	v_cndmask_b32_e64 v9, v9, v11, s5
	;; [unrolled: 1-line block ×3, first 2 shown]
	v_cndmask_b32_e32 v13, v17, v3, vcc_lo
	v_cmp_eq_u32_e64 s5, 5, v69
	v_cndmask_b32_e32 v14, v18, v7, vcc_lo
	v_cndmask_b32_e64 v1, v1, v3, s4
	v_cmp_eq_u32_e32 vcc_lo, 5, v71
	v_lshrrev_b32_e32 v12, 16, v4
	v_cndmask_b32_e64 v13, v13, v11, s5
	v_cndmask_b32_e64 v3, v14, v15, s5
	v_cmp_eq_u32_e64 s5, 6, v71
	v_cndmask_b32_e32 v1, v1, v11, vcc_lo
	v_cndmask_b32_e64 v5, v5, v11, s6
	v_cmp_eq_u32_e64 s7, 6, v70
	v_cndmask_b32_e64 v6, v6, v15, s6
	v_cmp_eq_u32_e64 s6, 6, v72
	v_cmp_eq_u32_e64 s4, 6, v69
	v_cndmask_b32_e64 v1, v1, v4, s5
	v_cndmask_b32_e32 v2, v2, v15, vcc_lo
	v_cmp_eq_u32_e32 vcc_lo, 7, v71
	v_cndmask_b32_e64 v5, v5, v4, s7
	v_cndmask_b32_e64 v9, v9, v4, s6
	;; [unrolled: 1-line block ×3, first 2 shown]
	v_cmp_eq_u32_e64 s7, 7, v70
	v_cndmask_b32_e32 v1, v1, v12, vcc_lo
	v_cndmask_b32_e64 v7, v13, v4, s4
	v_cndmask_b32_e64 v3, v3, v8, s4
	;; [unrolled: 1-line block ×3, first 2 shown]
	v_cmp_eq_u32_e64 s4, 7, v69
	v_cndmask_b32_e64 v4, v10, v8, s6
	v_cndmask_b32_e64 v5, v5, v12, s7
	;; [unrolled: 1-line block ×3, first 2 shown]
	v_cndmask_b32_e32 v2, v2, v16, vcc_lo
	v_cndmask_b32_e64 v7, v7, v12, s4
	v_cndmask_b32_e64 v3, v3, v16, s4
	;; [unrolled: 1-line block ×4, first 2 shown]
	v_cmp_gt_u32_e32 vcc_lo, 32, v0
	v_perm_b32 v4, v2, v1, 0x5040100
	v_perm_b32 v3, v3, v7, 0x5040100
	;; [unrolled: 1-line block ×4, first 2 shown]
	s_and_b32 s2, vcc_lo, s2
	ds_store_b128 v74, v[1:4]
	s_waitcnt lgkmcnt(0)
	s_barrier
	buffer_gl0_inv
	s_and_saveexec_b32 s4, s2
	s_cbranch_execz .LBB804_2
; %bb.15:
	s_load_b64 s[4:5], s[0:1], 0x68
	v_add_nc_u32_e32 v20, s33, v66
	v_lshlrev_b32_e32 v0, 10, v0
	v_lshlrev_b32_e32 v1, 4, v67
	s_lshl_b32 s0, s36, 6
	s_delay_alu instid0(SALU_CYCLE_1)
	s_mul_i32 s1, s0, s34
	v_add_nc_u32_e32 v2, 2, v20
	s_mul_i32 s6, s1, s9
	v_and_or_b32 v0, 0x3800, v0, v1
	v_mul_lo_u32 v1, v20, s0
	s_ashr_i32 s7, s6, 31
	v_mul_lo_u32 v11, v2, s0
	s_lshl_b64 s[6:7], s[6:7], 1
	v_add_nc_u32_e32 v3, 4, v20
	v_lshl_or_b32 v21, v66, 6, v0
	v_add_nc_u32_e32 v16, 6, v20
	v_ashrrev_i32_e32 v2, 31, v1
	s_delay_alu instid0(VALU_DEP_4)
	v_mul_lo_u32 v13, v3, s0
	s_waitcnt lgkmcnt(0)
	s_add_u32 s1, s4, s6
	s_addc_u32 s2, s5, s7
	s_lshl_b32 s4, s14, 6
	ds_load_b128 v[3:6], v21
	ds_load_b128 v[7:10], v21 offset:128
	s_ashr_i32 s5, s4, 31
	v_ashrrev_i32_e32 v12, 31, v11
	s_lshl_b64 s[4:5], s[4:5], 1
	v_lshlrev_b64 v[14:15], 1, v[1:2]
	s_add_u32 s1, s1, s4
	s_addc_u32 s2, s2, s5
	v_add_co_u32 v1, s1, s1, v65
	s_delay_alu instid0(VALU_DEP_1) | instskip(SKIP_1) | instid1(VALU_DEP_3)
	v_add_co_ci_u32_e64 v2, null, s2, 0, s1
	v_lshlrev_b64 v[11:12], 1, v[11:12]
	v_add_co_u32 v18, vcc_lo, v1, v14
	v_mul_lo_u32 v16, v16, s0
	s_delay_alu instid0(VALU_DEP_4) | instskip(NEXT) | instid1(VALU_DEP_4)
	v_add_co_ci_u32_e32 v19, vcc_lo, v2, v15, vcc_lo
	v_add_co_u32 v11, vcc_lo, v1, v11
	v_ashrrev_i32_e32 v14, 31, v13
	v_add_co_ci_u32_e32 v12, vcc_lo, v2, v12, vcc_lo
	v_add_nc_u32_e32 v15, 8, v20
	v_ashrrev_i32_e32 v17, 31, v16
	s_waitcnt lgkmcnt(1)
	global_store_b128 v[18:19], v[3:6], off
	v_lshlrev_b64 v[3:4], 1, v[13:14]
	s_waitcnt lgkmcnt(0)
	global_store_b128 v[11:12], v[7:10], off
	v_mul_lo_u32 v11, v15, s0
	v_add_nc_u32_e32 v7, 10, v20
	v_lshlrev_b64 v[5:6], 1, v[16:17]
	v_add_co_u32 v23, vcc_lo, v1, v3
	v_add_nc_u32_e32 v3, 12, v20
	s_delay_alu instid0(VALU_DEP_4)
	v_mul_lo_u32 v25, v7, s0
	v_ashrrev_i32_e32 v12, 31, v11
	v_add_co_ci_u32_e32 v24, vcc_lo, v2, v4, vcc_lo
	v_add_co_u32 v27, vcc_lo, v1, v5
	v_mul_lo_u32 v29, v3, s0
	v_add_co_ci_u32_e32 v28, vcc_lo, v2, v6, vcc_lo
	ds_load_b128 v[3:6], v21 offset:256
	ds_load_b128 v[7:10], v21 offset:384
	v_lshlrev_b64 v[31:32], 1, v[11:12]
	ds_load_b128 v[11:14], v21 offset:512
	ds_load_b128 v[15:18], v21 offset:640
	ds_load_b128 v[19:22], v21 offset:768
	v_ashrrev_i32_e32 v26, 31, v25
	v_ashrrev_i32_e32 v30, 31, v29
	v_add_co_u32 v31, vcc_lo, v1, v31
	s_delay_alu instid0(VALU_DEP_3) | instskip(NEXT) | instid1(VALU_DEP_3)
	v_lshlrev_b64 v[25:26], 1, v[25:26]
	v_lshlrev_b64 v[29:30], 1, v[29:30]
	v_add_co_ci_u32_e32 v32, vcc_lo, v2, v32, vcc_lo
	s_delay_alu instid0(VALU_DEP_3) | instskip(NEXT) | instid1(VALU_DEP_4)
	v_add_co_u32 v25, vcc_lo, v1, v25
	v_add_co_ci_u32_e32 v26, vcc_lo, v2, v26, vcc_lo
	s_delay_alu instid0(VALU_DEP_4)
	v_add_co_u32 v29, vcc_lo, v1, v29
	v_add_co_ci_u32_e32 v30, vcc_lo, v2, v30, vcc_lo
	s_waitcnt lgkmcnt(4)
	global_store_b128 v[23:24], v[3:6], off
	s_waitcnt lgkmcnt(3)
	global_store_b128 v[27:28], v[7:10], off
	;; [unrolled: 2-line block ×5, first 2 shown]
	s_and_b32 exec_lo, exec_lo, s3
	s_cbranch_execz .LBB804_2
; %bb.16:
	ds_load_b128 v[3:6], v0 offset:896
	s_add_i32 s1, s33, 14
	s_delay_alu instid0(SALU_CYCLE_1) | instskip(NEXT) | instid1(SALU_CYCLE_1)
	s_mul_i32 s0, s1, s0
	s_ashr_i32 s1, s0, 31
	s_delay_alu instid0(SALU_CYCLE_1) | instskip(NEXT) | instid1(SALU_CYCLE_1)
	s_lshl_b64 s[0:1], s[0:1], 1
	v_add_co_u32 v0, vcc_lo, v1, s0
	v_add_co_ci_u32_e32 v1, vcc_lo, s1, v2, vcc_lo
	s_waitcnt lgkmcnt(0)
	global_store_b128 v[0:1], v[3:6], off
	s_nop 0
	s_sendmsg sendmsg(MSG_DEALLOC_VGPRS)
	s_endpgm
	.section	.rodata,"a",@progbits
	.p2align	6, 0x0
	.amdhsa_kernel _Z39paged_attention_ll4mi_QKV_mfma16_kernelIDF16_hLN4vllm18Fp8KVCacheDataTypeE1EhLi16ELi64ELi256ELb0ELi15EL8MFMAType1EEvPKT_PKT0_S8_ifPKiSA_SA_iPKfiiiPfSD_PS3_PT2_iSC_SC_
		.amdhsa_group_segment_fixed_size 17472
		.amdhsa_private_segment_fixed_size 0
		.amdhsa_kernarg_size 400
		.amdhsa_user_sgpr_count 13
		.amdhsa_user_sgpr_dispatch_ptr 0
		.amdhsa_user_sgpr_queue_ptr 0
		.amdhsa_user_sgpr_kernarg_segment_ptr 1
		.amdhsa_user_sgpr_dispatch_id 0
		.amdhsa_user_sgpr_private_segment_size 0
		.amdhsa_wavefront_size32 1
		.amdhsa_uses_dynamic_stack 0
		.amdhsa_enable_private_segment 0
		.amdhsa_system_sgpr_workgroup_id_x 1
		.amdhsa_system_sgpr_workgroup_id_y 1
		.amdhsa_system_sgpr_workgroup_id_z 1
		.amdhsa_system_sgpr_workgroup_info 0
		.amdhsa_system_vgpr_workitem_id 0
		.amdhsa_next_free_vgpr 146
		.amdhsa_next_free_sgpr 37
		.amdhsa_reserve_vcc 1
		.amdhsa_float_round_mode_32 0
		.amdhsa_float_round_mode_16_64 0
		.amdhsa_float_denorm_mode_32 3
		.amdhsa_float_denorm_mode_16_64 3
		.amdhsa_dx10_clamp 1
		.amdhsa_ieee_mode 1
		.amdhsa_fp16_overflow 0
		.amdhsa_workgroup_processor_mode 1
		.amdhsa_memory_ordered 1
		.amdhsa_forward_progress 0
		.amdhsa_shared_vgpr_count 0
		.amdhsa_exception_fp_ieee_invalid_op 0
		.amdhsa_exception_fp_denorm_src 0
		.amdhsa_exception_fp_ieee_div_zero 0
		.amdhsa_exception_fp_ieee_overflow 0
		.amdhsa_exception_fp_ieee_underflow 0
		.amdhsa_exception_fp_ieee_inexact 0
		.amdhsa_exception_int_div_zero 0
	.end_amdhsa_kernel
	.section	.text._Z39paged_attention_ll4mi_QKV_mfma16_kernelIDF16_hLN4vllm18Fp8KVCacheDataTypeE1EhLi16ELi64ELi256ELb0ELi15EL8MFMAType1EEvPKT_PKT0_S8_ifPKiSA_SA_iPKfiiiPfSD_PS3_PT2_iSC_SC_,"axG",@progbits,_Z39paged_attention_ll4mi_QKV_mfma16_kernelIDF16_hLN4vllm18Fp8KVCacheDataTypeE1EhLi16ELi64ELi256ELb0ELi15EL8MFMAType1EEvPKT_PKT0_S8_ifPKiSA_SA_iPKfiiiPfSD_PS3_PT2_iSC_SC_,comdat
.Lfunc_end804:
	.size	_Z39paged_attention_ll4mi_QKV_mfma16_kernelIDF16_hLN4vllm18Fp8KVCacheDataTypeE1EhLi16ELi64ELi256ELb0ELi15EL8MFMAType1EEvPKT_PKT0_S8_ifPKiSA_SA_iPKfiiiPfSD_PS3_PT2_iSC_SC_, .Lfunc_end804-_Z39paged_attention_ll4mi_QKV_mfma16_kernelIDF16_hLN4vllm18Fp8KVCacheDataTypeE1EhLi16ELi64ELi256ELb0ELi15EL8MFMAType1EEvPKT_PKT0_S8_ifPKiSA_SA_iPKfiiiPfSD_PS3_PT2_iSC_SC_
                                        ; -- End function
	.section	.AMDGPU.csdata,"",@progbits
; Kernel info:
; codeLenInByte = 6752
; NumSgprs: 39
; NumVgprs: 146
; ScratchSize: 0
; MemoryBound: 0
; FloatMode: 240
; IeeeMode: 1
; LDSByteSize: 17472 bytes/workgroup (compile time only)
; SGPRBlocks: 4
; VGPRBlocks: 18
; NumSGPRsForWavesPerEU: 39
; NumVGPRsForWavesPerEU: 146
; Occupancy: 9
; WaveLimiterHint : 1
; COMPUTE_PGM_RSRC2:SCRATCH_EN: 0
; COMPUTE_PGM_RSRC2:USER_SGPR: 13
; COMPUTE_PGM_RSRC2:TRAP_HANDLER: 0
; COMPUTE_PGM_RSRC2:TGID_X_EN: 1
; COMPUTE_PGM_RSRC2:TGID_Y_EN: 1
; COMPUTE_PGM_RSRC2:TGID_Z_EN: 1
; COMPUTE_PGM_RSRC2:TIDIG_COMP_CNT: 0
	.section	.text._Z39paged_attention_ll4mi_QKV_mfma16_kernelIDF16_hLN4vllm18Fp8KVCacheDataTypeE1EhLi16ELi64ELi256ELb0ELi16EL8MFMAType1EEvPKT_PKT0_S8_ifPKiSA_SA_iPKfiiiPfSD_PS3_PT2_iSC_SC_,"axG",@progbits,_Z39paged_attention_ll4mi_QKV_mfma16_kernelIDF16_hLN4vllm18Fp8KVCacheDataTypeE1EhLi16ELi64ELi256ELb0ELi16EL8MFMAType1EEvPKT_PKT0_S8_ifPKiSA_SA_iPKfiiiPfSD_PS3_PT2_iSC_SC_,comdat
	.protected	_Z39paged_attention_ll4mi_QKV_mfma16_kernelIDF16_hLN4vllm18Fp8KVCacheDataTypeE1EhLi16ELi64ELi256ELb0ELi16EL8MFMAType1EEvPKT_PKT0_S8_ifPKiSA_SA_iPKfiiiPfSD_PS3_PT2_iSC_SC_ ; -- Begin function _Z39paged_attention_ll4mi_QKV_mfma16_kernelIDF16_hLN4vllm18Fp8KVCacheDataTypeE1EhLi16ELi64ELi256ELb0ELi16EL8MFMAType1EEvPKT_PKT0_S8_ifPKiSA_SA_iPKfiiiPfSD_PS3_PT2_iSC_SC_
	.globl	_Z39paged_attention_ll4mi_QKV_mfma16_kernelIDF16_hLN4vllm18Fp8KVCacheDataTypeE1EhLi16ELi64ELi256ELb0ELi16EL8MFMAType1EEvPKT_PKT0_S8_ifPKiSA_SA_iPKfiiiPfSD_PS3_PT2_iSC_SC_
	.p2align	8
	.type	_Z39paged_attention_ll4mi_QKV_mfma16_kernelIDF16_hLN4vllm18Fp8KVCacheDataTypeE1EhLi16ELi64ELi256ELb0ELi16EL8MFMAType1EEvPKT_PKT0_S8_ifPKiSA_SA_iPKfiiiPfSD_PS3_PT2_iSC_SC_,@function
_Z39paged_attention_ll4mi_QKV_mfma16_kernelIDF16_hLN4vllm18Fp8KVCacheDataTypeE1EhLi16ELi64ELi256ELb0ELi16EL8MFMAType1EEvPKT_PKT0_S8_ifPKiSA_SA_iPKfiiiPfSD_PS3_PT2_iSC_SC_: ; @_Z39paged_attention_ll4mi_QKV_mfma16_kernelIDF16_hLN4vllm18Fp8KVCacheDataTypeE1EhLi16ELi64ELi256ELb0ELi16EL8MFMAType1EEvPKT_PKT0_S8_ifPKiSA_SA_iPKfiiiPfSD_PS3_PT2_iSC_SC_
; %bb.0:
	s_load_b64 s[2:3], s[0:1], 0x30
	s_mov_b32 s34, s13
	s_waitcnt lgkmcnt(0)
	s_cmp_lg_u64 s[2:3], 0
	s_cselect_b32 s8, -1, 0
	s_ashr_i32 s35, s13, 31
	s_cmp_eq_u64 s[2:3], 0
	s_cbranch_scc1 .LBB805_3
; %bb.1:
	s_lshl_b64 s[4:5], s[34:35], 2
	s_delay_alu instid0(SALU_CYCLE_1) | instskip(SKIP_4) | instid1(SALU_CYCLE_1)
	s_add_u32 s4, s2, s4
	s_addc_u32 s5, s3, s5
	s_load_b64 s[4:5], s[4:5], 0x0
	s_waitcnt lgkmcnt(0)
	s_sub_i32 s4, s5, s4
	s_cmp_eq_u32 s4, 1
	s_cselect_b32 s4, -1, 0
	s_delay_alu instid0(SALU_CYCLE_1)
	s_and_not1_b32 vcc_lo, exec_lo, s4
	s_cbranch_vccz .LBB805_4
.LBB805_2:
	s_endpgm
.LBB805_3:
.LBB805_4:
	s_load_b64 s[4:5], s[0:1], 0x28
	s_lshl_b64 s[6:7], s[34:35], 2
	s_waitcnt lgkmcnt(0)
	s_add_u32 s4, s4, s6
	s_addc_u32 s5, s5, s7
	s_lshl_b32 s12, s14, 8
	s_load_b32 s24, s[4:5], 0x0
	s_waitcnt lgkmcnt(0)
	s_cmp_ge_i32 s12, s24
	s_cbranch_scc1 .LBB805_2
; %bb.5:
	s_clause 0x1
	s_load_b128 s[20:23], s[0:1], 0x8
	s_load_b64 s[4:5], s[0:1], 0x20
	s_and_not1_b32 vcc_lo, exec_lo, s8
	s_cbranch_vccnz .LBB805_7
; %bb.6:
	s_add_u32 s2, s2, s6
	s_addc_u32 s3, s3, s7
	s_load_b32 s3, s[2:3], 0x0
	s_branch .LBB805_8
.LBB805_7:
	s_mov_b32 s3, s34
.LBB805_8:
	s_load_b128 s[16:19], s[0:1], 0x48
	v_and_b32_e32 v70, 15, v0
	v_cmp_gt_u32_e32 vcc_lo, 0x100, v0
	v_lshrrev_b32_e32 v69, 5, v0
	v_and_b32_e32 v71, 31, v0
	v_and_b32_e32 v67, 1, v0
	v_lshlrev_b32_e32 v1, 3, v70
	v_cmp_gt_u32_e64 s2, 8, v70
	v_bfe_u32 v66, v0, 4, 1
	s_lshl_b32 s31, s15, 4
	s_delay_alu instid0(VALU_DEP_3) | instskip(NEXT) | instid1(VALU_DEP_3)
	v_lshlrev_b32_e32 v65, 1, v1
	s_and_b32 s7, vcc_lo, s2
	s_delay_alu instid0(SALU_CYCLE_1)
	s_and_saveexec_b32 s6, s7
	s_cbranch_execz .LBB805_10
; %bb.9:
	v_lshl_or_b32 v5, v69, 1, v66
	s_load_b64 s[8:9], s[0:1], 0x0
	s_waitcnt lgkmcnt(0)
	s_mul_hi_i32 s11, s3, s16
	s_mul_i32 s10, s3, s16
	v_lshlrev_b32_e32 v6, 10, v70
	v_or_b32_e32 v1, s31, v5
	s_lshl_b64 s[10:11], s[10:11], 1
	v_lshlrev_b32_e32 v5, 6, v5
	v_lshlrev_b32_e32 v7, 10, v67
	v_and_b32_e32 v6, 0x3800, v6
	v_lshlrev_b32_e32 v1, 6, v1
	s_delay_alu instid0(VALU_DEP_2) | instskip(NEXT) | instid1(VALU_DEP_2)
	v_or3_b32 v5, v6, v7, v5
	v_ashrrev_i32_e32 v2, 31, v1
	s_delay_alu instid0(VALU_DEP_1) | instskip(SKIP_2) | instid1(VALU_DEP_1)
	v_lshlrev_b64 v[1:2], 1, v[1:2]
	s_add_u32 s3, s8, s10
	s_addc_u32 s7, s9, s11
	v_add_co_u32 v1, vcc_lo, s3, v1
	s_delay_alu instid0(VALU_DEP_2) | instskip(NEXT) | instid1(VALU_DEP_2)
	v_add_co_ci_u32_e32 v2, vcc_lo, s7, v2, vcc_lo
	v_add_co_u32 v1, vcc_lo, v1, v65
	s_delay_alu instid0(VALU_DEP_2)
	v_add_co_ci_u32_e32 v2, vcc_lo, 0, v2, vcc_lo
	global_load_b128 v[1:4], v[1:2], off
	s_waitcnt vmcnt(0)
	ds_store_b128 v5, v[1:4]
.LBB805_10:
	s_or_b32 exec_lo, exec_lo, s6
	v_and_b32_e32 v1, 0xef, v0
	s_waitcnt lgkmcnt(0)
	s_add_i32 s3, s24, 15
	s_clause 0x1
	s_load_b32 s6, s[0:1], 0x38
	s_load_b32 s33, s[0:1], 0x98
	s_ashr_i32 s7, s3, 31
	v_add_nc_u32_e32 v1, s12, v1
	s_lshr_b32 s7, s7, 28
	s_load_b32 s19, s[0:1], 0x1c
	s_add_i32 s3, s3, s7
	s_waitcnt lgkmcnt(0)
	v_ashrrev_i32_e32 v2, 31, v1
	v_or_b32_e32 v3, 16, v1
	s_ashr_i32 s3, s3, 4
	v_cmp_gt_i32_e32 vcc_lo, s24, v1
	s_add_i32 s3, s3, -1
	v_lshrrev_b32_e32 v2, 28, v2
	s_barrier
	buffer_gl0_inv
	s_mul_i32 s27, s15, s18
	v_add_nc_u32_e32 v4, v1, v2
	s_mul_i32 s6, s34, s6
	s_delay_alu instid0(SALU_CYCLE_1) | instskip(NEXT) | instid1(VALU_DEP_1)
	s_ashr_i32 s7, s6, 31
	v_ashrrev_i32_e32 v4, 4, v4
	v_add_nc_u32_e32 v2, v3, v2
	s_lshl_b64 s[6:7], s[6:7], 2
	s_delay_alu instid0(SALU_CYCLE_1) | instskip(NEXT) | instid1(VALU_DEP_2)
	s_add_u32 s26, s4, s6
	v_cndmask_b32_e32 v1, s3, v4, vcc_lo
	s_delay_alu instid0(VALU_DEP_2)
	v_ashrrev_i32_e32 v2, 4, v2
	v_cmp_gt_i32_e32 vcc_lo, s24, v3
	s_addc_u32 s25, s5, s7
	s_ashr_i32 s28, s27, 31
	s_add_u32 s13, s20, s27
	s_addc_u32 s15, s21, s28
	v_cndmask_b32_e32 v3, s3, v2, vcc_lo
	v_ashrrev_i32_e32 v2, 31, v1
	s_lshl_b32 s4, s14, 4
	s_delay_alu instid0(SALU_CYCLE_1) | instskip(NEXT) | instid1(VALU_DEP_2)
	s_ashr_i32 s5, s4, 31
	v_ashrrev_i32_e32 v4, 31, v3
	s_delay_alu instid0(VALU_DEP_2) | instskip(SKIP_1) | instid1(SALU_CYCLE_1)
	v_lshlrev_b64 v[1:2], 2, v[1:2]
	s_lshl_b64 s[4:5], s[4:5], 2
	s_add_u32 s4, s26, s4
	s_delay_alu instid0(VALU_DEP_2) | instskip(SKIP_1) | instid1(VALU_DEP_2)
	v_lshlrev_b64 v[3:4], 2, v[3:4]
	s_addc_u32 s5, s25, s5
	v_add_co_u32 v1, vcc_lo, s26, v1
	v_add_co_ci_u32_e32 v2, vcc_lo, s25, v2, vcc_lo
	s_delay_alu instid0(VALU_DEP_3) | instskip(NEXT) | instid1(VALU_DEP_4)
	v_add_co_u32 v3, vcc_lo, s26, v3
	v_add_co_ci_u32_e32 v4, vcc_lo, s25, v4, vcc_lo
	s_clause 0x1
	global_load_b32 v5, v[1:2], off
	global_load_b32 v7, v[3:4], off
	s_or_b32 s6, s12, 32
	v_lshlrev_b32_e32 v1, 4, v0
	s_ashr_i32 s7, s6, 4
	s_cmp_lt_i32 s6, s24
	s_cselect_b32 s6, s7, s3
	s_delay_alu instid0(VALU_DEP_1) | instskip(SKIP_1) | instid1(SALU_CYCLE_1)
	v_and_b32_e32 v1, 0xf0, v1
	s_ashr_i32 s7, s6, 31
	s_lshl_b64 s[6:7], s[6:7], 2
	s_delay_alu instid0(SALU_CYCLE_1)
	s_add_u32 s6, s26, s6
	s_addc_u32 s7, s25, s7
	s_or_b32 s8, s12, 64
	v_add_co_u32 v1, s13, s13, v1
	s_ashr_i32 s9, s8, 4
	s_cmp_lt_i32 s8, s24
	v_add_co_ci_u32_e64 v2, null, s15, 0, s13
	s_cselect_b32 s8, s9, s3
	s_delay_alu instid0(SALU_CYCLE_1) | instskip(NEXT) | instid1(SALU_CYCLE_1)
	s_ashr_i32 s9, s8, 31
	s_lshl_b64 s[8:9], s[8:9], 2
	s_delay_alu instid0(SALU_CYCLE_1) | instskip(SKIP_2) | instid1(SALU_CYCLE_1)
	s_add_u32 s8, s26, s8
	s_addc_u32 s9, s25, s9
	s_or_b32 s10, s12, 0x60
	s_ashr_i32 s11, s10, 4
	s_cmp_lt_i32 s10, s24
	s_cselect_b32 s10, s11, s3
	s_delay_alu instid0(SALU_CYCLE_1) | instskip(NEXT) | instid1(SALU_CYCLE_1)
	s_ashr_i32 s11, s10, 31
	s_lshl_b64 s[10:11], s[10:11], 2
	s_delay_alu instid0(SALU_CYCLE_1) | instskip(SKIP_2) | instid1(SALU_CYCLE_1)
	s_add_u32 s10, s26, s10
	s_addc_u32 s11, s25, s11
	s_or_b32 s16, s12, 0x80
	s_ashr_i32 s18, s16, 4
	s_cmp_lt_i32 s16, s24
	;; [unrolled: 10-line block ×3, first 2 shown]
	s_cselect_b32 s20, s18, s3
	s_delay_alu instid0(SALU_CYCLE_1) | instskip(NEXT) | instid1(SALU_CYCLE_1)
	s_ashr_i32 s21, s20, 31
	s_lshl_b64 s[20:21], s[20:21], 2
	s_delay_alu instid0(SALU_CYCLE_1)
	s_add_u32 s38, s26, s20
	s_addc_u32 s39, s25, s21
	s_clause 0x5
	s_load_b32 s21, s[4:5], 0x0
	s_load_b32 s13, s[6:7], 0x0
	s_load_b32 s15, s[8:9], 0x0
	s_load_b32 s16, s[10:11], 0x0
	s_load_b32 s18, s[36:37], 0x0
	s_load_b32 s20, s[38:39], 0x0
	s_or_b32 s6, s12, 0xc0
	s_mov_b32 s4, 0
	s_ashr_i32 s7, s6, 4
	s_cmp_lt_i32 s6, s24
	s_mov_b32 s5, s4
	s_cselect_b32 s10, s7, s3
	s_mov_b32 s6, s4
	s_ashr_i32 s11, s10, 31
	s_mov_b32 s7, s4
	s_lshl_b64 s[10:11], s[10:11], 2
	s_mov_b32 s8, s4
	s_add_u32 s36, s26, s10
	s_addc_u32 s37, s25, s11
	s_or_b32 s11, s12, 0xe0
	s_mov_b32 s9, s4
	s_ashr_i32 s29, s11, 4
	s_cmp_lt_i32 s11, s24
	s_mov_b32 s11, s4
	s_cselect_b32 s38, s29, s3
	s_mov_b32 s10, s4
	s_ashr_i32 s39, s38, 31
	v_dual_mov_b32 v103, s11 :: v_dual_mov_b32 v96, s4
	v_dual_mov_b32 v101, s9 :: v_dual_lshlrev_b32 v68, 6, v70
	v_mov_b32_e32 v102, s10
	v_dual_mov_b32 v100, s8 :: v_dual_mov_b32 v99, s7
	v_dual_mov_b32 v98, s6 :: v_dual_mov_b32 v97, s5
	s_lshl_b64 s[4:5], s[38:39], 2
	s_delay_alu instid0(SALU_CYCLE_1)
	s_add_u32 s4, s26, s4
	s_addc_u32 s5, s25, s5
	s_add_u32 s6, s22, s27
	s_addc_u32 s7, s23, s28
	s_waitcnt vmcnt(1)
	v_mad_i64_i32 v[3:4], null, v5, s17, v[1:2]
	s_waitcnt vmcnt(0)
	v_mad_i64_i32 v[5:6], null, v7, s17, v[1:2]
	v_lshlrev_b32_e32 v1, 4, v70
	s_clause 0x7
	global_load_b128 v[57:60], v[3:4], off
	global_load_b128 v[61:64], v[3:4], off offset:256
	global_load_b128 v[72:75], v[5:6], off
	global_load_b128 v[76:79], v[5:6], off offset:256
	global_load_b128 v[80:83], v[3:4], off offset:512
	;; [unrolled: 1-line block ×5, first 2 shown]
	v_lshl_or_b32 v1, v69, 8, v1
	s_load_b32 s3, s[36:37], 0x0
	ds_load_b128 v[104:107], v68
	ds_load_b128 v[108:111], v68 offset:1024
	s_load_b32 s4, s[4:5], 0x0
	v_add_co_u32 v17, s6, s6, v1
	s_delay_alu instid0(VALU_DEP_1) | instskip(SKIP_1) | instid1(VALU_DEP_1)
	v_add_co_ci_u32_e64 v18, null, s7, 0, s6
	s_waitcnt lgkmcnt(0)
	v_mad_i64_i32 v[1:2], null, s21, s17, v[17:18]
	v_mad_i64_i32 v[3:4], null, s13, s17, v[17:18]
	;; [unrolled: 1-line block ×7, first 2 shown]
	s_clause 0x9
	global_load_b128 v[49:52], v[1:2], off
	global_load_b128 v[53:56], v[1:2], off offset:16
	global_load_b128 v[41:44], v[3:4], off
	global_load_b128 v[45:48], v[3:4], off offset:16
	;; [unrolled: 2-line block ×5, first 2 shown]
	v_mad_i64_i32 v[120:121], null, s4, s17, v[17:18]
	s_clause 0x3
	global_load_b128 v[17:20], v[21:22], off
	global_load_b128 v[21:24], v[21:22], off offset:16
	global_load_b128 v[25:28], v[29:30], off
	global_load_b128 v[29:32], v[29:30], off offset:16
	s_waitcnt vmcnt(20)
	v_wmma_f32_16x16x16_f16 v[112:119], v[57:64], v[104:111], v[96:103]
	s_clause 0x1
	global_load_b128 v[57:60], v[120:121], off
	global_load_b128 v[61:64], v[120:121], off offset:16
	s_waitcnt vmcnt(20)
	v_wmma_f32_16x16x16_f16 v[96:103], v[72:79], v[104:111], v[96:103]
	ds_load_b128 v[72:75], v68 offset:2048
	ds_load_b128 v[76:79], v68 offset:3072
	v_and_b32_e32 v104, 0xe0, v0
	v_mbcnt_lo_u32_b32 v105, -1, 0
	s_waitcnt vmcnt(0) lgkmcnt(0)
	s_barrier
	buffer_gl0_inv
	v_add_nc_u32_e32 v104, s12, v104
	v_xor_b32_e32 v106, 16, v105
	s_delay_alu instid0(VALU_DEP_2) | instskip(NEXT) | instid1(VALU_DEP_2)
	v_or_b32_e32 v104, v104, v66
	v_cmp_gt_i32_e32 vcc_lo, 32, v106
	s_delay_alu instid0(VALU_DEP_2)
	v_or_b32_e32 v107, 4, v104
	v_or_b32_e32 v108, 6, v104
	v_cmp_gt_i32_e64 s3, s24, v104
	v_or_b32_e32 v109, 8, v104
	v_wmma_f32_16x16x16_f16 v[112:119], v[80:87], v[72:79], v[112:119]
	v_cndmask_b32_e32 v105, v105, v106, vcc_lo
	v_or_b32_e32 v106, 2, v104
	v_wmma_f32_16x16x16_f16 v[96:103], v[88:95], v[72:79], v[96:103]
	v_or_b32_e32 v80, 10, v104
	v_dual_mul_f32 v90, s19, v112 :: v_dual_mul_f32 v89, s19, v113
	s_delay_alu instid0(VALU_DEP_4) | instskip(NEXT) | instid1(VALU_DEP_4)
	v_cmp_gt_i32_e32 vcc_lo, s24, v106
	v_dual_mul_f32 v94, s19, v100 :: v_dual_mul_f32 v77, s19, v117
	v_dual_mul_f32 v88, s19, v114 :: v_dual_mul_f32 v79, s19, v115
	v_mul_f32_e32 v92, s19, v102
	v_cndmask_b32_e64 v90, 0xff7fffff, v90, s3
	v_cndmask_b32_e32 v89, 0xff7fffff, v89, vcc_lo
	v_cmp_gt_i32_e64 s4, s24, v107
	v_cmp_gt_i32_e64 s5, s24, v108
	v_or_b32_e32 v81, 12, v104
	v_or_b32_e32 v82, 14, v104
	v_mul_f32_e32 v78, s19, v116
	v_cndmask_b32_e64 v88, 0xff7fffff, v88, s4
	v_cndmask_b32_e64 v79, 0xff7fffff, v79, s5
	v_max3_f32 v89, v90, 0xff7fffff, v89
	v_cmp_gt_i32_e64 s6, s24, v109
	v_cmp_gt_i32_e64 s7, s24, v80
	v_or_b32_e32 v83, 16, v104
	v_or_b32_e32 v84, 18, v104
	v_dual_mul_f32 v75, s19, v119 :: v_dual_mul_f32 v76, s19, v118
	v_cndmask_b32_e64 v78, 0xff7fffff, v78, s6
	v_cndmask_b32_e64 v77, 0xff7fffff, v77, s7
	v_max3_f32 v79, v89, v88, v79
	v_cmp_gt_i32_e64 s8, s24, v81
	v_cmp_gt_i32_e64 s9, s24, v82
	v_or_b32_e32 v85, 20, v104
	v_or_b32_e32 v86, 22, v104
	;; [unrolled: 1-line block ×6, first 2 shown]
	v_dual_mul_f32 v95, s19, v99 :: v_dual_mul_f32 v104, s19, v97
	v_mul_f32_e32 v107, s19, v96
	v_cndmask_b32_e64 v76, 0xff7fffff, v76, s8
	v_cndmask_b32_e64 v75, 0xff7fffff, v75, s9
	v_max3_f32 v77, v79, v78, v77
	v_cmp_gt_i32_e64 s10, s24, v83
	v_cmp_gt_i32_e64 s11, s24, v84
	v_dual_mul_f32 v91, s19, v103 :: v_dual_mul_f32 v106, s19, v98
	s_delay_alu instid0(VALU_DEP_4) | instskip(NEXT) | instid1(VALU_DEP_4)
	v_max3_f32 v75, v77, v76, v75
	v_cndmask_b32_e64 v78, 0xff7fffff, v107, s10
	s_delay_alu instid0(VALU_DEP_4)
	v_cndmask_b32_e64 v79, 0xff7fffff, v104, s11
	v_cmp_gt_i32_e64 s12, s24, v85
	v_cmp_gt_i32_e64 s13, s24, v86
	v_mul_f32_e32 v93, s19, v101
	v_cmp_gt_i32_e64 s15, s24, v87
	v_max3_f32 v75, v75, v78, v79
	v_cndmask_b32_e64 v76, 0xff7fffff, v106, s12
	v_cndmask_b32_e64 v77, 0xff7fffff, v95, s13
	v_cmp_gt_i32_e64 s16, s24, v72
	v_cndmask_b32_e64 v78, 0xff7fffff, v94, s15
	v_cmp_gt_i32_e64 s17, s24, v73
	v_cmp_gt_i32_e64 s18, s24, v74
	v_max3_f32 v75, v75, v76, v77
	v_cndmask_b32_e64 v72, 0xff7fffff, v93, s16
	s_delay_alu instid0(VALU_DEP_4) | instskip(NEXT) | instid1(VALU_DEP_4)
	v_cndmask_b32_e64 v73, 0xff7fffff, v92, s17
	v_cndmask_b32_e64 v74, 0xff7fffff, v91, s18
	s_delay_alu instid0(VALU_DEP_3) | instskip(SKIP_1) | instid1(VALU_DEP_2)
	v_max3_f32 v72, v75, v78, v72
	v_lshlrev_b32_e32 v75, 2, v105
	v_max3_f32 v72, v72, v73, v74
	ds_bpermute_b32 v73, v75, v72
	s_waitcnt lgkmcnt(0)
	v_max_f32_e32 v73, v73, v73
	s_delay_alu instid0(VALU_DEP_1) | instskip(NEXT) | instid1(VALU_DEP_1)
	v_max_f32_e32 v72, v72, v73
	v_fma_f32 v76, s19, v114, -v72
	v_fma_f32 v73, s19, v112, -v72
	;; [unrolled: 1-line block ×5, first 2 shown]
	v_mul_f32_e32 v76, 0x3fb8aa3b, v76
	v_fma_f32 v82, s19, v118, -v72
	s_delay_alu instid0(VALU_DEP_4) | instskip(SKIP_1) | instid1(VALU_DEP_4)
	v_dual_mul_f32 v79, 0x3fb8aa3b, v79 :: v_dual_mul_f32 v74, 0x3fb8aa3b, v74
	v_fma_f32 v86, s19, v99, -v72
	v_exp_f32_e32 v76, v76
	s_delay_alu instid0(VALU_DEP_3) | instskip(NEXT) | instid1(VALU_DEP_3)
	v_mul_f32_e32 v82, 0x3fb8aa3b, v82
	v_exp_f32_e32 v83, v79
	v_exp_f32_e32 v74, v74
	v_mul_f32_e32 v88, 0x3fb8aa3b, v86
	v_fma_f32 v91, s19, v103, -v72
	v_exp_f32_e32 v84, v82
	v_fma_f32 v89, s19, v101, -v72
	s_delay_alu instid0(VALU_DEP_3)
	v_exp_f32_e32 v90, v88
	v_cndmask_b32_e64 v80, 0, v76, s4
	v_mul_f32_e32 v73, 0x3fb8aa3b, v73
	v_fma_f32 v76, s19, v119, -v72
	v_mul_f32_e32 v77, 0x3fb8aa3b, v77
	v_cndmask_b32_e64 v82, 0, v83, s6
	v_fma_f32 v83, s19, v97, -v72
	v_exp_f32_e32 v73, v73
	v_mul_f32_e32 v76, 0x3fb8aa3b, v76
	v_exp_f32_e32 v81, v77
	v_cndmask_b32_e64 v84, 0, v84, s8
	v_mul_f32_e32 v83, 0x3fb8aa3b, v83
	v_mul_f32_e32 v89, 0x3fb8aa3b, v89
	v_exp_f32_e32 v76, v76
	s_delay_alu instid0(VALU_DEP_2) | instskip(SKIP_2) | instid1(TRANS32_DEP_3)
	v_exp_f32_e32 v87, v83
	v_cndmask_b32_e64 v78, 0, v73, s3
	v_fma_f32 v73, s19, v117, -v72
	v_cndmask_b32_e64 v79, 0, v81, s5
	v_cndmask_b32_e32 v77, 0, v74, vcc_lo
	v_fma_f32 v81, s19, v96, -v72
	s_delay_alu instid0(VALU_DEP_4) | instskip(NEXT) | instid1(TRANS32_DEP_2)
	v_dual_add_f32 v74, 0, v78 :: v_dual_mul_f32 v73, 0x3fb8aa3b, v73
	v_cndmask_b32_e64 v83, 0, v76, s9
	v_fma_f32 v76, s19, v100, -v72
	s_delay_alu instid0(VALU_DEP_4) | instskip(NEXT) | instid1(VALU_DEP_4)
	v_mul_f32_e32 v85, 0x3fb8aa3b, v81
	v_add_f32_e32 v74, v74, v77
	v_exp_f32_e32 v73, v73
	v_exp_f32_e32 v89, v89
	v_mul_f32_e32 v76, 0x3fb8aa3b, v76
	v_exp_f32_e32 v85, v85
	v_add_f32_e32 v74, v74, v80
	s_mov_b32 s3, exec_lo
	s_delay_alu instid0(VALU_DEP_2) | instskip(NEXT) | instid1(VALU_DEP_1)
	v_exp_f32_e32 v76, v76
	v_add_f32_e32 v74, v74, v79
	v_cndmask_b32_e64 v81, 0, v73, s7
	s_delay_alu instid0(TRANS32_DEP_3)
	v_cndmask_b32_e64 v89, 0, v89, s16
	s_waitcnt_depctr 0xfff
	v_cndmask_b32_e64 v86, 0, v85, s10
	v_cndmask_b32_e64 v85, 0, v87, s11
	v_fma_f32 v87, s19, v102, -v72
	v_add_f32_e32 v73, v74, v82
	v_fma_f32 v74, s19, v98, -v72
	s_delay_alu instid0(VALU_DEP_1) | instskip(NEXT) | instid1(VALU_DEP_1)
	v_mul_f32_e32 v74, 0x3fb8aa3b, v74
	v_exp_f32_e32 v74, v74
	s_waitcnt_depctr 0xfff
	v_cndmask_b32_e64 v88, 0, v74, s12
	v_dual_mul_f32 v74, 0x3fb8aa3b, v87 :: v_dual_add_f32 v73, v73, v81
	v_cndmask_b32_e64 v87, 0, v90, s13
	v_cndmask_b32_e64 v90, 0, v76, s15
	v_mul_f32_e32 v76, 0x3fb8aa3b, v91
	s_delay_alu instid0(VALU_DEP_4) | instskip(SKIP_1) | instid1(VALU_DEP_2)
	v_exp_f32_e32 v74, v74
	v_add_f32_e32 v73, v73, v84
	v_exp_f32_e32 v76, v76
	s_delay_alu instid0(VALU_DEP_1) | instskip(SKIP_4) | instid1(VALU_DEP_2)
	v_add_f32_e32 v73, v73, v83
	s_waitcnt_depctr 0xfff
	v_cndmask_b32_e64 v92, 0, v74, s17
	v_add_f32_e32 v73, v73, v86
	v_cndmask_b32_e64 v91, 0, v76, s18
	v_add_f32_e32 v73, v73, v85
	s_delay_alu instid0(VALU_DEP_1) | instskip(NEXT) | instid1(VALU_DEP_1)
	v_add_f32_e32 v73, v73, v88
	v_add_f32_e32 v73, v73, v87
	s_delay_alu instid0(VALU_DEP_1) | instskip(NEXT) | instid1(VALU_DEP_1)
	v_add_f32_e32 v73, v73, v90
	;; [unrolled: 3-line block ×3, first 2 shown]
	v_add_f32_e32 v73, v73, v91
	ds_bpermute_b32 v74, v75, v73
	v_cmpx_gt_u32_e32 16, v71
	s_cbranch_execz .LBB805_12
; %bb.11:
	v_mul_u32_u24_e32 v71, 0x44, v69
	s_waitcnt lgkmcnt(0)
	v_add_f32_e32 v73, v73, v74
	s_delay_alu instid0(VALU_DEP_2) | instskip(NEXT) | instid1(VALU_DEP_1)
	v_lshl_add_u32 v71, v70, 2, v71
	v_add_nc_u32_e32 v71, 0x4000, v71
	ds_store_2addr_b32 v71, v72, v73 offset1:136
.LBB805_12:
	s_or_b32 exec_lo, exec_lo, s3
	v_lshlrev_b32_e32 v70, 2, v70
	s_load_b32 s35, s[0:1], 0x94
	s_waitcnt lgkmcnt(0)
	s_barrier
	buffer_gl0_inv
	v_add_nc_u32_e32 v74, 0x4000, v70
	v_cmp_eq_u32_e32 vcc_lo, 1, v69
	v_cmp_eq_u32_e64 s3, 2, v69
	v_cmp_eq_u32_e64 s4, 3, v69
	v_cmp_eq_u32_e64 s5, 5, v69
	ds_load_2addr_b32 v[70:71], v74 offset1:17
	ds_load_2addr_b32 v[72:73], v74 offset0:34 offset1:51
	ds_load_2addr_b32 v[93:94], v74 offset0:68 offset1:85
	;; [unrolled: 1-line block ×3, first 2 shown]
	v_cmp_eq_u32_e64 s6, 7, v69
	s_waitcnt lgkmcnt(3)
	v_max3_f32 v75, v70, 0xff7fffff, v71
	s_waitcnt lgkmcnt(2)
	s_delay_alu instid0(VALU_DEP_1) | instskip(SKIP_1) | instid1(VALU_DEP_1)
	v_max3_f32 v75, v75, v72, v73
	s_waitcnt lgkmcnt(1)
	v_max3_f32 v75, v75, v93, v94
	s_waitcnt lgkmcnt(0)
	s_delay_alu instid0(VALU_DEP_1) | instskip(NEXT) | instid1(VALU_DEP_1)
	v_max3_f32 v75, v75, v95, v96
	v_sub_f32_e32 v93, v93, v75
	ds_load_2addr_b32 v[97:98], v74 offset0:136 offset1:153
	v_sub_f32_e32 v70, v70, v75
	v_dual_sub_f32 v100, v73, v75 :: v_dual_mul_f32 v103, 0x3fb8aa3b, v93
	s_delay_alu instid0(VALU_DEP_2) | instskip(SKIP_3) | instid1(VALU_DEP_1)
	v_dual_sub_f32 v76, v71, v75 :: v_dual_mul_f32 v99, 0x3fb8aa3b, v70
	ds_load_2addr_b32 v[70:71], v74 offset0:170 offset1:187
	v_mul_f32_e32 v76, 0x3fb8aa3b, v76
	v_exp_f32_e32 v99, v99
	v_exp_f32_e32 v102, v76
	v_mul_f32_e32 v100, 0x3fb8aa3b, v100
	s_waitcnt lgkmcnt(1)
	s_waitcnt_depctr 0xfff
	v_fma_f32 v76, v99, v97, 0
	v_sub_f32_e32 v97, v94, v75
	v_sub_f32_e32 v72, v72, v75
	v_exp_f32_e32 v100, v100
	ds_load_2addr_b32 v[93:94], v74 offset0:238 offset1:255
	v_dual_fmac_f32 v76, v102, v98 :: v_dual_mul_f32 v101, 0x3fb8aa3b, v72
	ds_load_2addr_b32 v[72:73], v74 offset0:204 offset1:221
	v_dual_sub_f32 v74, v95, v75 :: v_dual_mul_f32 v95, 0x3fb8aa3b, v97
	v_exp_f32_e32 v97, v103
	v_exp_f32_e32 v101, v101
	s_waitcnt lgkmcnt(0)
	s_delay_alu instid0(VALU_DEP_1)
	v_mul_f32_e32 v74, 0x3fb8aa3b, v74
	v_exp_f32_e32 v95, v95
	s_barrier
	buffer_gl0_inv
	v_fmac_f32_e32 v76, v101, v70
	v_sub_f32_e32 v70, v96, v75
	v_exp_f32_e32 v96, v74
	s_delay_alu instid0(VALU_DEP_2) | instskip(NEXT) | instid1(VALU_DEP_2)
	v_fmac_f32_e32 v76, v100, v71
	v_mul_f32_e32 v70, 0x3fb8aa3b, v70
	s_delay_alu instid0(VALU_DEP_2) | instskip(NEXT) | instid1(VALU_DEP_2)
	v_dual_cndmask_b32 v71, v99, v102 :: v_dual_fmac_f32 v76, v97, v72
	v_exp_f32_e32 v98, v70
	s_delay_alu instid0(VALU_DEP_1) | instskip(SKIP_2) | instid1(VALU_DEP_1)
	v_fmac_f32_e32 v76, v95, v73
	s_waitcnt_depctr 0xfff
	v_fmac_f32_e32 v76, v96, v93
	v_fmac_f32_e32 v76, v98, v94
	s_delay_alu instid0(VALU_DEP_1) | instskip(NEXT) | instid1(VALU_DEP_1)
	v_add_f32_e32 v93, 0x358637bd, v76
	v_div_scale_f32 v94, null, v93, v93, 1.0
	v_div_scale_f32 v99, vcc_lo, 1.0, v93, 1.0
	s_delay_alu instid0(VALU_DEP_2) | instskip(SKIP_2) | instid1(VALU_DEP_1)
	v_rcp_f32_e32 v103, v94
	s_waitcnt_depctr 0xfff
	v_fma_f32 v70, -v94, v103, 1.0
	v_fmac_f32_e32 v103, v70, v103
	v_cndmask_b32_e64 v70, v71, v101, s3
	v_cmp_eq_u32_e64 s3, 4, v69
	v_lshlrev_b32_e32 v71, 2, v66
	s_delay_alu instid0(VALU_DEP_4) | instskip(NEXT) | instid1(VALU_DEP_4)
	v_mul_f32_e32 v101, v99, v103
	v_cndmask_b32_e64 v72, v70, v100, s4
	v_cmp_eq_u32_e64 s4, 6, v69
	v_lshl_or_b32 v70, v69, 11, v68
	v_or_b32_e32 v74, 1, v71
	v_fma_f32 v73, -v94, v101, v99
	v_cndmask_b32_e64 v72, v72, v97, s3
	v_cmp_eq_u32_e64 s3, 1, v71
	v_lshl_or_b32 v69, v66, 4, v70
	v_cmp_eq_u32_e64 s9, 1, v74
	v_fmac_f32_e32 v101, v73, v103
	v_cndmask_b32_e64 v95, v72, v95, s5
	v_or_b32_e32 v72, 2, v71
	v_or_b32_e32 v73, 3, v71
	v_cmp_eq_u32_e64 s12, 2, v74
	v_fma_f32 v94, -v94, v101, v99
	v_cndmask_b32_e64 v95, v95, v96, s4
	v_cmp_eq_u32_e64 s10, 1, v72
	v_cmp_eq_u32_e64 s11, 1, v73
	;; [unrolled: 1-line block ×3, first 2 shown]
	v_div_fmas_f32 v94, v94, v103, v101
	v_cndmask_b32_e64 v95, v95, v98, s6
	v_cmp_eq_u32_e32 vcc_lo, 2, v71
	v_cmp_eq_u32_e64 s16, 2, v73
	v_cmp_eq_u32_e64 s18, 3, v73
	v_div_fixup_f32 v93, v94, v93, 1.0
	v_cmp_eq_u32_e64 s4, 3, v71
	v_cmp_eq_u32_e64 s13, 3, v74
	;; [unrolled: 1-line block ×4, first 2 shown]
	v_mul_f32_e32 v101, v95, v93
	v_cmp_eq_u32_e64 s5, 4, v71
	v_cmp_eq_u32_e64 s19, 4, v74
	;; [unrolled: 1-line block ×4, first 2 shown]
	v_fma_mixlo_f16 v93, v101, v78, 0
	v_fma_mixlo_f16 v94, v101, v80, 0
	v_fma_mixlo_f16 v95, v101, v82, 0
	v_fma_mixlo_f16 v96, v101, v84, 0
	v_fma_mixlo_f16 v97, v101, v86, 0
	v_fma_mixlo_f16 v98, v101, v88, 0
	v_fma_mixlo_f16 v99, v101, v90, 0
	v_fma_mixlo_f16 v100, v101, v92, 0
	v_fma_mixhi_f16 v93, v101, v77, 0
	v_fma_mixhi_f16 v94, v101, v79, 0
	;; [unrolled: 1-line block ×8, first 2 shown]
	ds_store_b128 v69, v[93:96]
	ds_store_b128 v69, v[97:100] offset:1024
	s_waitcnt lgkmcnt(0)
	s_barrier
	buffer_gl0_inv
	ds_load_b128 v[77:80], v70
	ds_load_b128 v[81:84], v70 offset:16
	ds_load_b128 v[85:88], v70 offset:1024
	;; [unrolled: 1-line block ×3, first 2 shown]
	v_cmp_eq_u32_e64 s6, 5, v71
	v_cmp_eq_u32_e64 s20, 5, v74
	;; [unrolled: 1-line block ×11, first 2 shown]
	s_waitcnt lgkmcnt(3)
	v_lshrrev_b32_e32 v93, 16, v77
	s_waitcnt lgkmcnt(2)
	v_lshrrev_b32_e32 v97, 16, v81
	;; [unrolled: 2-line block ×4, first 2 shown]
	v_lshrrev_b32_e32 v94, 16, v78
	v_cndmask_b32_e64 v109, v77, v93, s3
	v_cndmask_b32_e64 v110, v81, v97, s3
	;; [unrolled: 1-line block ×8, first 2 shown]
	v_lshrrev_b32_e32 v98, 16, v82
	v_cndmask_b32_e64 v93, v85, v101, s3
	v_cndmask_b32_e64 v97, v89, v105, s3
	;; [unrolled: 1-line block ×5, first 2 shown]
	v_cndmask_b32_e32 v101, v109, v78, vcc_lo
	v_cndmask_b32_e64 v109, v111, v78, s12
	v_cndmask_b32_e64 v111, v113, v78, s15
	;; [unrolled: 1-line block ×4, first 2 shown]
	v_lshrrev_b32_e32 v102, 16, v86
	v_lshrrev_b32_e32 v106, 16, v90
	v_cndmask_b32_e64 v116, v89, v105, s9
	v_cndmask_b32_e64 v118, v89, v105, s10
	;; [unrolled: 1-line block ×3, first 2 shown]
	v_cndmask_b32_e32 v105, v110, v82, vcc_lo
	v_cndmask_b32_e64 v110, v112, v82, s12
	v_cndmask_b32_e64 v112, v114, v82, s15
	v_cndmask_b32_e32 v81, v93, v86, vcc_lo
	v_cndmask_b32_e32 v82, v97, v90, vcc_lo
	v_cndmask_b32_e64 v93, v115, v86, s12
	v_cndmask_b32_e64 v77, v77, v94, s18
	;; [unrolled: 1-line block ×3, first 2 shown]
	v_lshrrev_b32_e32 v95, 16, v79
	v_lshrrev_b32_e32 v99, 16, v83
	v_cndmask_b32_e64 v97, v117, v86, s15
	v_cndmask_b32_e64 v85, v85, v86, s16
	;; [unrolled: 1-line block ×14, first 2 shown]
	v_lshrrev_b32_e32 v103, 16, v87
	v_cndmask_b32_e64 v89, v89, v79, s5
	v_cndmask_b32_e64 v94, v101, v83, s5
	;; [unrolled: 1-line block ×11, first 2 shown]
	v_lshrrev_b32_e32 v96, 16, v80
	v_lshrrev_b32_e32 v100, 16, v84
	v_cndmask_b32_e64 v83, v89, v95, s6
	v_cndmask_b32_e64 v89, v94, v99, s6
	;; [unrolled: 1-line block ×9, first 2 shown]
	v_lshrrev_b32_e32 v104, 16, v88
	v_cndmask_b32_e64 v79, v79, v103, s6
	v_cndmask_b32_e64 v83, v83, v80, s7
	;; [unrolled: 1-line block ×19, first 2 shown]
	v_perm_b32 v80, v78, v77, 0x5040100
	v_cndmask_b32_e64 v77, v116, v90, s12
	v_cndmask_b32_e64 v95, v79, v104, s8
	v_perm_b32 v79, v93, v89, 0x5040100
	v_perm_b32 v78, v94, v84, 0x5040100
	v_cndmask_b32_e64 v84, v97, v102, s17
	v_cndmask_b32_e64 v85, v85, v102, s18
	;; [unrolled: 1-line block ×5, first 2 shown]
	v_lshrrev_b32_e32 v107, 16, v91
	v_cndmask_b32_e64 v84, v84, v87, s21
	v_cndmask_b32_e64 v85, v85, v87, s22
	v_cndmask_b32_e64 v86, v86, v91, s22
	v_cndmask_b32_e64 v87, v89, v91, s21
	v_cndmask_b32_e64 v77, v77, v91, s19
	v_cndmask_b32_e64 v81, v81, v107, s6
	v_cndmask_b32_e64 v84, v84, v103, s23
	v_cndmask_b32_e64 v85, v85, v103, s24
	v_cndmask_b32_e64 v86, v86, v107, s24
	v_cndmask_b32_e64 v87, v87, v107, s23
	v_cndmask_b32_e64 v77, v77, v107, s20
	v_lshrrev_b32_e32 v108, 16, v92
	v_cndmask_b32_e64 v81, v81, v92, s7
	v_cndmask_b32_e64 v84, v84, v88, s26
	;; [unrolled: 1-line block ×12, first 2 shown]
	v_perm_b32 v77, v83, v82, 0x5040100
	v_perm_b32 v84, v85, v84, 0x5040100
	v_perm_b32 v83, v86, v88, 0x5040100
	v_perm_b32 v82, v87, v96, 0x5040100
	v_perm_b32 v81, v81, v95, 0x5040100
	s_lshl_b32 s8, s33, 4
	s_mov_b32 s3, exec_lo
	ds_store_b128 v69, v[77:80]
	ds_store_b128 v69, v[81:84] offset:1024
	v_cmpx_gt_u32_e32 16, v0
	s_cbranch_execz .LBB805_14
; %bb.13:
	v_or_b32_e32 v77, s31, v0
	s_load_b128 s[4:7], s[0:1], 0x58
	s_delay_alu instid0(VALU_DEP_1) | instskip(NEXT) | instid1(VALU_DEP_1)
	v_mad_u64_u32 v[78:79], null, s8, s34, v[77:78]
	v_mad_u64_u32 v[79:80], null, v78, s35, s[14:15]
	s_delay_alu instid0(VALU_DEP_1) | instskip(NEXT) | instid1(VALU_DEP_1)
	v_ashrrev_i32_e32 v80, 31, v79
	v_lshlrev_b64 v[77:78], 2, v[79:80]
	s_waitcnt lgkmcnt(0)
	s_delay_alu instid0(VALU_DEP_1) | instskip(NEXT) | instid1(VALU_DEP_2)
	v_add_co_u32 v79, vcc_lo, s6, v77
	v_add_co_ci_u32_e32 v80, vcc_lo, s7, v78, vcc_lo
	v_add_co_u32 v77, vcc_lo, s4, v77
	v_add_co_ci_u32_e32 v78, vcc_lo, s5, v78, vcc_lo
	global_store_b32 v[79:80], v75, off
	global_store_b32 v[77:78], v76, off
.LBB805_14:
	s_or_b32 exec_lo, exec_lo, s3
	s_waitcnt lgkmcnt(0)
	s_waitcnt_vscnt null, 0x0
	s_barrier
	buffer_gl0_inv
	ds_load_b128 v[83:86], v68
	ds_load_b128 v[87:90], v68 offset:16
	ds_load_b128 v[95:98], v68 offset:2064
	;; [unrolled: 1-line block ×5, first 2 shown]
	v_cmp_eq_u32_e32 vcc_lo, 1, v71
	v_mov_b32_e32 v75, 0
	ds_load_b128 v[111:114], v68 offset:6160
	ds_load_b128 v[107:110], v68 offset:6144
	;; [unrolled: 1-line block ×4, first 2 shown]
	v_cmp_eq_u32_e64 s4, 1, v72
	v_cmp_eq_u32_e64 s3, 1, v74
	;; [unrolled: 1-line block ×3, first 2 shown]
	v_mov_b32_e32 v76, v75
	v_mov_b32_e32 v77, v75
	v_mov_b32_e32 v78, v75
	v_mov_b32_e32 v79, v75
	v_mov_b32_e32 v80, v75
	v_mov_b32_e32 v81, v75
	v_mov_b32_e32 v82, v75
	v_cmp_eq_u32_e64 s6, 3, v74
	v_cmp_eq_u32_e64 s7, 7, v74
	s_waitcnt lgkmcnt(8)
	s_delay_alu instid0(VALU_DEP_3)
	v_wmma_f32_16x16x16_f16 v[75:82], v[49:56], v[83:90], v[75:82]
	ds_load_b128 v[53:56], v68 offset:10256
	ds_load_b128 v[49:52], v68 offset:10240
	s_waitcnt lgkmcnt(8)
	v_wmma_f32_16x16x16_f16 v[75:82], v[41:48], v[91:98], v[75:82]
	ds_load_b128 v[45:48], v68 offset:12304
	ds_load_b128 v[41:44], v68 offset:12288
	s_waitcnt lgkmcnt(8)
	;; [unrolled: 4-line block ×3, first 2 shown]
	s_barrier
	buffer_gl0_inv
	v_wmma_f32_16x16x16_f16 v[75:82], v[1:8], v[107:114], v[75:82]
	s_delay_alu instid0(VALU_DEP_1) | instskip(NEXT) | instid1(VALU_DEP_1)
	v_wmma_f32_16x16x16_f16 v[75:82], v[9:16], v[115:122], v[75:82]
	v_wmma_f32_16x16x16_f16 v[75:82], v[17:24], v[49:56], v[75:82]
	s_delay_alu instid0(VALU_DEP_1) | instskip(NEXT) | instid1(VALU_DEP_1)
	v_wmma_f32_16x16x16_f16 v[75:82], v[25:32], v[41:48], v[75:82]
	v_wmma_f32_16x16x16_f16 v[75:82], v[57:64], v[33:40], v[75:82]
	s_delay_alu instid0(VALU_DEP_1) | instskip(NEXT) | instid1(VALU_DEP_2)
	v_cvt_f16_f32_e32 v1, v75
	v_cvt_f16_f32_e32 v2, v76
	s_delay_alu instid0(VALU_DEP_3) | instskip(NEXT) | instid1(VALU_DEP_4)
	v_cvt_f16_f32_e32 v3, v77
	v_cvt_f16_f32_e32 v4, v78
	;; [unrolled: 1-line block ×6, first 2 shown]
	v_pack_b32_f16 v1, v1, v2
	v_pack_b32_f16 v2, v3, v4
	;; [unrolled: 1-line block ×3, first 2 shown]
	s_delay_alu instid0(VALU_DEP_4)
	v_pack_b32_f16 v4, v7, v8
	ds_store_b128 v69, v[1:4]
	s_waitcnt lgkmcnt(0)
	s_barrier
	buffer_gl0_inv
	ds_load_b128 v[1:4], v70
	ds_load_b128 v[5:8], v70 offset:16
	s_waitcnt lgkmcnt(1)
	v_lshrrev_b32_e32 v9, 16, v1
	s_waitcnt lgkmcnt(0)
	v_lshrrev_b32_e32 v13, 16, v5
	v_lshrrev_b32_e32 v10, 16, v2
	v_lshrrev_b32_e32 v14, 16, v6
	v_lshrrev_b32_e32 v11, 16, v3
	v_cndmask_b32_e32 v17, v1, v9, vcc_lo
	v_cndmask_b32_e32 v18, v5, v13, vcc_lo
	v_cndmask_b32_e64 v21, v1, v9, s4
	v_cmp_eq_u32_e32 vcc_lo, 1, v73
	v_cndmask_b32_e64 v22, v5, v13, s4
	v_cmp_eq_u32_e64 s4, 2, v71
	v_cndmask_b32_e64 v19, v1, v9, s3
	v_cndmask_b32_e64 v20, v5, v13, s3
	v_cndmask_b32_e32 v1, v1, v9, vcc_lo
	v_cmp_eq_u32_e64 s3, 2, v73
	v_cndmask_b32_e32 v5, v5, v13, vcc_lo
	v_cndmask_b32_e64 v9, v17, v2, s4
	v_cmp_eq_u32_e32 vcc_lo, 3, v71
	v_cndmask_b32_e64 v13, v18, v6, s4
	v_cmp_eq_u32_e64 s4, 2, v72
	v_cndmask_b32_e64 v17, v19, v2, s5
	v_cndmask_b32_e64 v18, v20, v6, s5
	v_cmp_eq_u32_e64 s5, 3, v72
	v_cndmask_b32_e64 v1, v1, v2, s3
	v_cndmask_b32_e64 v19, v21, v2, s4
	;; [unrolled: 1-line block ×4, first 2 shown]
	v_cndmask_b32_e32 v5, v9, v10, vcc_lo
	v_cndmask_b32_e32 v6, v13, v14, vcc_lo
	v_cmp_eq_u32_e32 vcc_lo, 3, v73
	v_cndmask_b32_e64 v9, v17, v10, s6
	v_cndmask_b32_e64 v13, v18, v14, s6
	;; [unrolled: 1-line block ×3, first 2 shown]
	v_cmp_eq_u32_e64 s4, 4, v71
	v_cndmask_b32_e32 v1, v1, v10, vcc_lo
	v_cndmask_b32_e32 v2, v2, v14, vcc_lo
	v_cmp_eq_u32_e32 vcc_lo, 4, v74
	v_lshrrev_b32_e32 v15, 16, v7
	v_lshrrev_b32_e32 v16, 16, v8
	v_cndmask_b32_e64 v17, v19, v10, s5
	v_cmp_eq_u32_e64 s3, 4, v73
	v_cndmask_b32_e64 v5, v5, v3, s4
	v_cndmask_b32_e64 v6, v6, v7, s4
	v_cndmask_b32_e32 v9, v9, v3, vcc_lo
	v_cmp_eq_u32_e64 s4, 5, v74
	v_cndmask_b32_e32 v10, v13, v7, vcc_lo
	v_cmp_eq_u32_e32 vcc_lo, 4, v72
	v_cmp_eq_u32_e64 s5, 5, v71
	v_cndmask_b32_e64 v2, v2, v7, s3
	v_cndmask_b32_e64 v9, v9, v11, s4
	;; [unrolled: 1-line block ×3, first 2 shown]
	v_cndmask_b32_e32 v13, v17, v3, vcc_lo
	v_cmp_eq_u32_e64 s4, 5, v72
	v_cndmask_b32_e32 v14, v18, v7, vcc_lo
	v_cndmask_b32_e64 v1, v1, v3, s3
	v_cmp_eq_u32_e32 vcc_lo, 5, v73
	v_lshrrev_b32_e32 v12, 16, v4
	v_cndmask_b32_e64 v13, v13, v11, s4
	v_cndmask_b32_e64 v3, v14, v15, s4
	v_cmp_eq_u32_e64 s4, 6, v73
	v_cndmask_b32_e32 v1, v1, v11, vcc_lo
	v_cndmask_b32_e64 v5, v5, v11, s5
	v_cmp_eq_u32_e64 s6, 6, v71
	v_cndmask_b32_e64 v6, v6, v15, s5
	v_cmp_eq_u32_e64 s5, 6, v74
	v_cmp_eq_u32_e64 s3, 6, v72
	v_cndmask_b32_e64 v1, v1, v4, s4
	v_cndmask_b32_e32 v2, v2, v15, vcc_lo
	v_cmp_eq_u32_e32 vcc_lo, 7, v73
	v_cndmask_b32_e64 v5, v5, v4, s6
	v_cndmask_b32_e64 v9, v9, v4, s5
	;; [unrolled: 1-line block ×3, first 2 shown]
	v_cmp_eq_u32_e64 s6, 7, v71
	v_cndmask_b32_e32 v1, v1, v12, vcc_lo
	v_cndmask_b32_e64 v7, v13, v4, s3
	v_cndmask_b32_e64 v3, v3, v8, s3
	v_cndmask_b32_e64 v2, v2, v8, s4
	v_cmp_eq_u32_e64 s3, 7, v72
	v_cndmask_b32_e64 v4, v10, v8, s5
	v_cndmask_b32_e64 v5, v5, v12, s6
	v_cndmask_b32_e64 v9, v9, v12, s7
	v_cndmask_b32_e32 v2, v2, v16, vcc_lo
	v_cndmask_b32_e64 v7, v7, v12, s3
	v_cndmask_b32_e64 v3, v3, v16, s3
	;; [unrolled: 1-line block ×4, first 2 shown]
	v_cmp_gt_u32_e32 vcc_lo, 32, v0
	v_perm_b32 v4, v2, v1, 0x5040100
	v_perm_b32 v3, v3, v7, 0x5040100
	;; [unrolled: 1-line block ×4, first 2 shown]
	s_and_b32 s2, vcc_lo, s2
	ds_store_b128 v69, v[1:4]
	s_waitcnt lgkmcnt(0)
	s_barrier
	buffer_gl0_inv
	s_and_saveexec_b32 s3, s2
	s_cbranch_execz .LBB805_2
; %bb.15:
	s_load_b64 s[0:1], s[0:1], 0x68
	v_lshlrev_b32_e32 v0, 10, v0
	s_lshl_b32 s4, s35, 6
	v_or_b32_e32 v23, s31, v66
	s_mul_i32 s2, s4, s34
	v_lshlrev_b32_e32 v1, 4, v67
	v_lshlrev_b32_e32 v2, 6, v66
	s_mul_i32 s2, s2, s8
	v_and_b32_e32 v0, 0x3800, v0
	v_mul_lo_u32 v8, v23, s4
	s_ashr_i32 s3, s2, 31
	v_or_b32_e32 v3, 2, v23
	s_lshl_b64 s[2:3], s[2:3], 1
	v_or3_b32 v27, v0, v1, v2
	v_or_b32_e32 v11, 4, v23
	v_or_b32_e32 v18, 6, v23
	v_mul_lo_u32 v10, v3, s4
	v_ashrrev_i32_e32 v9, 31, v8
	ds_load_b128 v[0:3], v27
	ds_load_b128 v[4:7], v27 offset:128
	v_mul_lo_u32 v12, v11, s4
	s_waitcnt lgkmcnt(0)
	s_add_u32 s2, s0, s2
	s_addc_u32 s3, s1, s3
	s_lshl_b32 s0, s14, 6
	v_lshlrev_b64 v[8:9], 1, v[8:9]
	s_ashr_i32 s1, s0, 31
	v_ashrrev_i32_e32 v11, 31, v10
	s_lshl_b64 s[0:1], s[0:1], 1
	v_ashrrev_i32_e32 v13, 31, v12
	s_add_u32 s0, s2, s0
	s_addc_u32 s1, s3, s1
	v_add_co_u32 v30, s0, s0, v65
	s_delay_alu instid0(VALU_DEP_1) | instskip(SKIP_1) | instid1(VALU_DEP_3)
	v_add_co_ci_u32_e64 v31, null, s1, 0, s0
	v_lshlrev_b64 v[16:17], 1, v[10:11]
	v_add_co_u32 v14, vcc_lo, v30, v8
	s_delay_alu instid0(VALU_DEP_3)
	v_add_co_ci_u32_e32 v15, vcc_lo, v31, v9, vcc_lo
	ds_load_b128 v[8:11], v27 offset:256
	v_mul_lo_u32 v18, v18, s4
	v_or_b32_e32 v19, 8, v23
	v_add_co_u32 v16, vcc_lo, v30, v16
	global_store_b128 v[14:15], v[0:3], off
	v_lshlrev_b64 v[0:1], 1, v[12:13]
	v_add_co_ci_u32_e32 v17, vcc_lo, v31, v17, vcc_lo
	v_mul_lo_u32 v12, v19, s4
	v_ashrrev_i32_e32 v19, 31, v18
	v_or_b32_e32 v14, 10, v23
	global_store_b128 v[16:17], v[4:7], off
	v_add_co_u32 v4, vcc_lo, v30, v0
	v_add_co_ci_u32_e32 v5, vcc_lo, v31, v1, vcc_lo
	ds_load_b128 v[0:3], v27 offset:384
	v_ashrrev_i32_e32 v13, 31, v12
	v_lshlrev_b64 v[6:7], 1, v[18:19]
	v_mul_lo_u32 v14, v14, s4
	s_waitcnt lgkmcnt(1)
	global_store_b128 v[4:5], v[8:11], off
	v_or_b32_e32 v8, 12, v23
	v_lshlrev_b64 v[4:5], 1, v[12:13]
	v_add_co_u32 v20, vcc_lo, v30, v6
	v_or_b32_e32 v6, 14, v23
	v_ashrrev_i32_e32 v15, 31, v14
	v_mul_lo_u32 v22, v8, s4
	v_add_co_ci_u32_e32 v21, vcc_lo, v31, v7, vcc_lo
	v_add_co_u32 v24, vcc_lo, v30, v4
	v_mul_lo_u32 v26, v6, s4
	v_add_co_ci_u32_e32 v25, vcc_lo, v31, v5, vcc_lo
	v_lshlrev_b64 v[28:29], 1, v[14:15]
	ds_load_b128 v[4:7], v27 offset:512
	ds_load_b128 v[8:11], v27 offset:640
	;; [unrolled: 1-line block ×4, first 2 shown]
	v_ashrrev_i32_e32 v23, 31, v22
	v_ashrrev_i32_e32 v27, 31, v26
	v_add_co_u32 v28, vcc_lo, v30, v28
	s_delay_alu instid0(VALU_DEP_3) | instskip(SKIP_1) | instid1(VALU_DEP_4)
	v_lshlrev_b64 v[22:23], 1, v[22:23]
	v_add_co_ci_u32_e32 v29, vcc_lo, v31, v29, vcc_lo
	v_lshlrev_b64 v[26:27], 1, v[26:27]
	s_delay_alu instid0(VALU_DEP_3) | instskip(NEXT) | instid1(VALU_DEP_4)
	v_add_co_u32 v22, vcc_lo, v30, v22
	v_add_co_ci_u32_e32 v23, vcc_lo, v31, v23, vcc_lo
	s_delay_alu instid0(VALU_DEP_3) | instskip(NEXT) | instid1(VALU_DEP_4)
	v_add_co_u32 v26, vcc_lo, v30, v26
	v_add_co_ci_u32_e32 v27, vcc_lo, v31, v27, vcc_lo
	s_waitcnt lgkmcnt(4)
	global_store_b128 v[20:21], v[0:3], off
	s_waitcnt lgkmcnt(3)
	global_store_b128 v[24:25], v[4:7], off
	;; [unrolled: 2-line block ×5, first 2 shown]
	s_nop 0
	s_sendmsg sendmsg(MSG_DEALLOC_VGPRS)
	s_endpgm
	.section	.rodata,"a",@progbits
	.p2align	6, 0x0
	.amdhsa_kernel _Z39paged_attention_ll4mi_QKV_mfma16_kernelIDF16_hLN4vllm18Fp8KVCacheDataTypeE1EhLi16ELi64ELi256ELb0ELi16EL8MFMAType1EEvPKT_PKT0_S8_ifPKiSA_SA_iPKfiiiPfSD_PS3_PT2_iSC_SC_
		.amdhsa_group_segment_fixed_size 17472
		.amdhsa_private_segment_fixed_size 0
		.amdhsa_kernarg_size 400
		.amdhsa_user_sgpr_count 13
		.amdhsa_user_sgpr_dispatch_ptr 0
		.amdhsa_user_sgpr_queue_ptr 0
		.amdhsa_user_sgpr_kernarg_segment_ptr 1
		.amdhsa_user_sgpr_dispatch_id 0
		.amdhsa_user_sgpr_private_segment_size 0
		.amdhsa_wavefront_size32 1
		.amdhsa_uses_dynamic_stack 0
		.amdhsa_enable_private_segment 0
		.amdhsa_system_sgpr_workgroup_id_x 1
		.amdhsa_system_sgpr_workgroup_id_y 1
		.amdhsa_system_sgpr_workgroup_id_z 1
		.amdhsa_system_sgpr_workgroup_info 0
		.amdhsa_system_vgpr_workitem_id 0
		.amdhsa_next_free_vgpr 123
		.amdhsa_next_free_sgpr 40
		.amdhsa_reserve_vcc 1
		.amdhsa_float_round_mode_32 0
		.amdhsa_float_round_mode_16_64 0
		.amdhsa_float_denorm_mode_32 3
		.amdhsa_float_denorm_mode_16_64 3
		.amdhsa_dx10_clamp 1
		.amdhsa_ieee_mode 1
		.amdhsa_fp16_overflow 0
		.amdhsa_workgroup_processor_mode 1
		.amdhsa_memory_ordered 1
		.amdhsa_forward_progress 0
		.amdhsa_shared_vgpr_count 0
		.amdhsa_exception_fp_ieee_invalid_op 0
		.amdhsa_exception_fp_denorm_src 0
		.amdhsa_exception_fp_ieee_div_zero 0
		.amdhsa_exception_fp_ieee_overflow 0
		.amdhsa_exception_fp_ieee_underflow 0
		.amdhsa_exception_fp_ieee_inexact 0
		.amdhsa_exception_int_div_zero 0
	.end_amdhsa_kernel
	.section	.text._Z39paged_attention_ll4mi_QKV_mfma16_kernelIDF16_hLN4vllm18Fp8KVCacheDataTypeE1EhLi16ELi64ELi256ELb0ELi16EL8MFMAType1EEvPKT_PKT0_S8_ifPKiSA_SA_iPKfiiiPfSD_PS3_PT2_iSC_SC_,"axG",@progbits,_Z39paged_attention_ll4mi_QKV_mfma16_kernelIDF16_hLN4vllm18Fp8KVCacheDataTypeE1EhLi16ELi64ELi256ELb0ELi16EL8MFMAType1EEvPKT_PKT0_S8_ifPKiSA_SA_iPKfiiiPfSD_PS3_PT2_iSC_SC_,comdat
.Lfunc_end805:
	.size	_Z39paged_attention_ll4mi_QKV_mfma16_kernelIDF16_hLN4vllm18Fp8KVCacheDataTypeE1EhLi16ELi64ELi256ELb0ELi16EL8MFMAType1EEvPKT_PKT0_S8_ifPKiSA_SA_iPKfiiiPfSD_PS3_PT2_iSC_SC_, .Lfunc_end805-_Z39paged_attention_ll4mi_QKV_mfma16_kernelIDF16_hLN4vllm18Fp8KVCacheDataTypeE1EhLi16ELi64ELi256ELb0ELi16EL8MFMAType1EEvPKT_PKT0_S8_ifPKiSA_SA_iPKfiiiPfSD_PS3_PT2_iSC_SC_
                                        ; -- End function
	.section	.AMDGPU.csdata,"",@progbits
; Kernel info:
; codeLenInByte = 6708
; NumSgprs: 42
; NumVgprs: 123
; ScratchSize: 0
; MemoryBound: 0
; FloatMode: 240
; IeeeMode: 1
; LDSByteSize: 17472 bytes/workgroup (compile time only)
; SGPRBlocks: 5
; VGPRBlocks: 15
; NumSGPRsForWavesPerEU: 42
; NumVGPRsForWavesPerEU: 123
; Occupancy: 10
; WaveLimiterHint : 1
; COMPUTE_PGM_RSRC2:SCRATCH_EN: 0
; COMPUTE_PGM_RSRC2:USER_SGPR: 13
; COMPUTE_PGM_RSRC2:TRAP_HANDLER: 0
; COMPUTE_PGM_RSRC2:TGID_X_EN: 1
; COMPUTE_PGM_RSRC2:TGID_Y_EN: 1
; COMPUTE_PGM_RSRC2:TGID_Z_EN: 1
; COMPUTE_PGM_RSRC2:TIDIG_COMP_CNT: 0
	.section	.text._Z39paged_attention_ll4mi_QKV_mfma16_kernelIDF16_hLN4vllm18Fp8KVCacheDataTypeE1EhLi16ELi64ELi256ELb0ELi1EL8MFMAType1EEvPKT_PKT0_S8_ifPKiSA_SA_iPKfiiiPfSD_PS3_PT2_iSC_SC_,"axG",@progbits,_Z39paged_attention_ll4mi_QKV_mfma16_kernelIDF16_hLN4vllm18Fp8KVCacheDataTypeE1EhLi16ELi64ELi256ELb0ELi1EL8MFMAType1EEvPKT_PKT0_S8_ifPKiSA_SA_iPKfiiiPfSD_PS3_PT2_iSC_SC_,comdat
	.protected	_Z39paged_attention_ll4mi_QKV_mfma16_kernelIDF16_hLN4vllm18Fp8KVCacheDataTypeE1EhLi16ELi64ELi256ELb0ELi1EL8MFMAType1EEvPKT_PKT0_S8_ifPKiSA_SA_iPKfiiiPfSD_PS3_PT2_iSC_SC_ ; -- Begin function _Z39paged_attention_ll4mi_QKV_mfma16_kernelIDF16_hLN4vllm18Fp8KVCacheDataTypeE1EhLi16ELi64ELi256ELb0ELi1EL8MFMAType1EEvPKT_PKT0_S8_ifPKiSA_SA_iPKfiiiPfSD_PS3_PT2_iSC_SC_
	.globl	_Z39paged_attention_ll4mi_QKV_mfma16_kernelIDF16_hLN4vllm18Fp8KVCacheDataTypeE1EhLi16ELi64ELi256ELb0ELi1EL8MFMAType1EEvPKT_PKT0_S8_ifPKiSA_SA_iPKfiiiPfSD_PS3_PT2_iSC_SC_
	.p2align	8
	.type	_Z39paged_attention_ll4mi_QKV_mfma16_kernelIDF16_hLN4vllm18Fp8KVCacheDataTypeE1EhLi16ELi64ELi256ELb0ELi1EL8MFMAType1EEvPKT_PKT0_S8_ifPKiSA_SA_iPKfiiiPfSD_PS3_PT2_iSC_SC_,@function
_Z39paged_attention_ll4mi_QKV_mfma16_kernelIDF16_hLN4vllm18Fp8KVCacheDataTypeE1EhLi16ELi64ELi256ELb0ELi1EL8MFMAType1EEvPKT_PKT0_S8_ifPKiSA_SA_iPKfiiiPfSD_PS3_PT2_iSC_SC_: ; @_Z39paged_attention_ll4mi_QKV_mfma16_kernelIDF16_hLN4vllm18Fp8KVCacheDataTypeE1EhLi16ELi64ELi256ELb0ELi1EL8MFMAType1EEvPKT_PKT0_S8_ifPKiSA_SA_iPKfiiiPfSD_PS3_PT2_iSC_SC_
; %bb.0:
	s_load_b64 s[4:5], s[0:1], 0x30
	s_mov_b32 s34, s13
	s_waitcnt lgkmcnt(0)
	s_cmp_lg_u64 s[4:5], 0
	s_cselect_b32 s6, -1, 0
	s_ashr_i32 s35, s13, 31
	s_cmp_eq_u64 s[4:5], 0
	s_cbranch_scc1 .LBB806_3
; %bb.1:
	s_lshl_b64 s[2:3], s[34:35], 2
	s_delay_alu instid0(SALU_CYCLE_1) | instskip(SKIP_4) | instid1(SALU_CYCLE_1)
	s_add_u32 s2, s4, s2
	s_addc_u32 s3, s5, s3
	s_load_b64 s[2:3], s[2:3], 0x0
	s_waitcnt lgkmcnt(0)
	s_sub_i32 s2, s3, s2
	s_cmp_eq_u32 s2, 1
	s_cselect_b32 s2, -1, 0
	s_delay_alu instid0(SALU_CYCLE_1)
	s_and_not1_b32 vcc_lo, exec_lo, s2
	s_cbranch_vccz .LBB806_4
.LBB806_2:
	s_endpgm
.LBB806_3:
.LBB806_4:
	s_load_b64 s[2:3], s[0:1], 0x28
	s_lshl_b64 s[8:9], s[34:35], 2
	s_waitcnt lgkmcnt(0)
	s_add_u32 s2, s2, s8
	s_addc_u32 s3, s3, s9
	s_lshl_b32 s12, s14, 8
	s_load_b32 s33, s[2:3], 0x0
	s_waitcnt lgkmcnt(0)
	s_cmp_ge_i32 s12, s33
	s_cbranch_scc1 .LBB806_2
; %bb.5:
	s_clause 0x1
	s_load_b128 s[28:31], s[0:1], 0x8
	s_load_b64 s[2:3], s[0:1], 0x20
	s_and_not1_b32 vcc_lo, exec_lo, s6
	s_mov_b64 s[6:7], s[34:35]
	s_cbranch_vccnz .LBB806_7
; %bb.6:
	s_add_u32 s4, s4, s8
	s_addc_u32 s5, s5, s9
	s_load_b32 s6, s[4:5], 0x0
.LBB806_7:
	s_load_b128 s[24:27], s[0:1], 0x48
	v_and_b32_e32 v73, 15, v0
	s_mov_b32 s13, exec_lo
                                        ; implicit-def: $sgpr16
                                        ; implicit-def: $sgpr4
	s_delay_alu instid0(VALU_DEP_1)
	v_cmpx_eq_u32_e32 0, v73
	s_cbranch_execz .LBB806_9
; %bb.8:
	s_load_b64 s[4:5], s[0:1], 0x0
	s_waitcnt lgkmcnt(0)
	s_mul_hi_i32 s7, s6, s24
	s_mul_i32 s6, s6, s24
	s_delay_alu instid0(SALU_CYCLE_1) | instskip(NEXT) | instid1(SALU_CYCLE_1)
	s_lshl_b64 s[6:7], s[6:7], 1
	s_add_u32 s6, s4, s6
	s_addc_u32 s7, s5, s7
	s_lshl_b32 s4, s15, 6
	s_delay_alu instid0(SALU_CYCLE_1) | instskip(NEXT) | instid1(SALU_CYCLE_1)
	s_ashr_i32 s5, s4, 31
	s_lshl_b64 s[4:5], s[4:5], 1
	s_delay_alu instid0(SALU_CYCLE_1)
	s_add_u32 s4, s6, s4
	s_addc_u32 s5, s7, s5
	s_clause 0x1
	s_load_b256 s[16:23], s[4:5], 0x0
	s_load_b256 s[4:11], s[4:5], 0x40
.LBB806_9:
	s_or_b32 exec_lo, exec_lo, s13
	v_and_b32_e32 v1, 0xef, v0
	s_waitcnt lgkmcnt(0)
	v_dual_mov_b32 v115, s23 :: v_dual_mov_b32 v114, s22
	s_add_i32 s13, s33, 15
	s_load_b32 s27, s[0:1], 0x38
	v_dual_mov_b32 v112, s20 :: v_dual_add_nc_u32 v1, s12, v1
	s_ashr_i32 s24, s13, 31
	v_lshrrev_b32_e32 v66, 5, v0
	s_lshr_b32 s24, s24, 28
	s_delay_alu instid0(VALU_DEP_2)
	v_ashrrev_i32_e32 v2, 31, v1
	v_or_b32_e32 v3, 16, v1
	s_add_i32 s13, s13, s24
	v_cmp_gt_i32_e32 vcc_lo, s33, v1
	s_ashr_i32 s13, s13, 4
	v_lshrrev_b32_e32 v2, 28, v2
	s_add_i32 s13, s13, -1
	s_load_b32 s24, s[0:1], 0x1c
	v_and_b32_e32 v65, 0xe0, v0
	s_delay_alu instid0(VALU_DEP_2)
	v_dual_mov_b32 v111, s19 :: v_dual_add_nc_u32 v4, v1, v2
	v_mov_b32_e32 v113, s21
	v_mov_b32_e32 v109, s17
	v_mbcnt_lo_u32_b32 v67, -1, 0
	s_waitcnt lgkmcnt(0)
	s_mul_i32 s36, s34, s27
	v_ashrrev_i32_e32 v4, 4, v4
	v_add_nc_u32_e32 v2, v3, v2
	s_ashr_i32 s37, s36, 31
	v_bfe_u32 v75, v0, 4, 1
	s_lshl_b64 s[36:37], s[36:37], 2
	v_cndmask_b32_e32 v1, s13, v4, vcc_lo
	v_ashrrev_i32_e32 v2, 4, v2
	v_cmp_gt_i32_e32 vcc_lo, s33, v3
	s_add_u32 s36, s2, s36
	s_addc_u32 s35, s3, s37
	v_lshlrev_b32_e32 v74, 4, v73
	s_mul_i32 s37, s15, s26
	v_cndmask_b32_e32 v3, s13, v2, vcc_lo
	v_ashrrev_i32_e32 v2, 31, v1
	s_ashr_i32 s38, s37, 31
	s_add_u32 s39, s28, s37
	s_addc_u32 s46, s29, s38
	v_ashrrev_i32_e32 v4, 31, v3
	v_lshlrev_b64 v[1:2], 2, v[1:2]
	s_lshl_b32 s2, s14, 4
	v_xor_b32_e32 v68, 16, v67
	s_ashr_i32 s3, s2, 31
	v_lshlrev_b64 v[3:4], 2, v[3:4]
	s_lshl_b64 s[2:3], s[2:3], 2
	v_add_co_u32 v1, vcc_lo, s36, v1
	v_add_co_ci_u32_e32 v2, vcc_lo, s35, v2, vcc_lo
	s_delay_alu instid0(VALU_DEP_3) | instskip(NEXT) | instid1(VALU_DEP_4)
	v_add_co_u32 v3, vcc_lo, s36, v3
	v_add_co_ci_u32_e32 v4, vcc_lo, s35, v4, vcc_lo
	s_clause 0x1
	global_load_b32 v5, v[1:2], off
	global_load_b32 v7, v[3:4], off
	s_add_u32 s2, s36, s2
	s_addc_u32 s3, s35, s3
	s_or_b32 s26, s12, 32
	v_dual_mov_b32 v110, s18 :: v_dual_lshlrev_b32 v1, 4, v0
	s_ashr_i32 s27, s26, 4
	s_cmp_lt_i32 s26, s33
	v_mov_b32_e32 v108, s16
	s_cselect_b32 s26, s27, s13
	v_and_b32_e32 v1, 0xf0, v1
	s_ashr_i32 s27, s26, 31
	v_cmp_gt_i32_e32 vcc_lo, 32, v68
	s_lshl_b64 s[26:27], s[26:27], 2
	s_delay_alu instid0(SALU_CYCLE_1)
	s_add_u32 s26, s36, s26
	s_addc_u32 s27, s35, s27
	s_or_b32 s28, s12, 64
	v_add_co_u32 v1, s39, s39, v1
	s_ashr_i32 s29, s28, 4
	s_cmp_lt_i32 s28, s33
	v_add_co_ci_u32_e64 v2, null, s46, 0, s39
	s_cselect_b32 s28, s29, s13
	s_delay_alu instid0(SALU_CYCLE_1) | instskip(NEXT) | instid1(SALU_CYCLE_1)
	s_ashr_i32 s29, s28, 31
	s_lshl_b64 s[28:29], s[28:29], 2
	s_delay_alu instid0(SALU_CYCLE_1) | instskip(SKIP_2) | instid1(SALU_CYCLE_1)
	s_add_u32 s40, s36, s28
	s_addc_u32 s41, s35, s29
	s_or_b32 s28, s12, 0x60
	s_ashr_i32 s29, s28, 4
	s_cmp_lt_i32 s28, s33
	s_cselect_b32 s28, s29, s13
	s_delay_alu instid0(SALU_CYCLE_1) | instskip(NEXT) | instid1(SALU_CYCLE_1)
	s_ashr_i32 s29, s28, 31
	s_lshl_b64 s[28:29], s[28:29], 2
	s_delay_alu instid0(SALU_CYCLE_1) | instskip(SKIP_2) | instid1(SALU_CYCLE_1)
	s_add_u32 s42, s36, s28
	s_addc_u32 s43, s35, s29
	s_or_b32 s28, s12, 0x80
	s_ashr_i32 s29, s28, 4
	s_cmp_lt_i32 s28, s33
	;; [unrolled: 10-line block ×3, first 2 shown]
	s_cselect_b32 s28, s29, s13
	s_delay_alu instid0(SALU_CYCLE_1) | instskip(NEXT) | instid1(SALU_CYCLE_1)
	s_ashr_i32 s29, s28, 31
	s_lshl_b64 s[28:29], s[28:29], 2
	s_delay_alu instid0(SALU_CYCLE_1)
	s_add_u32 s46, s36, s28
	s_addc_u32 s47, s35, s29
	s_clause 0x5
	s_load_b32 s29, s[2:3], 0x0
	s_load_b32 s2, s[26:27], 0x0
	;; [unrolled: 1-line block ×6, first 2 shown]
	s_or_b32 s39, s12, 0xc0
	s_delay_alu instid0(SALU_CYCLE_1) | instskip(SKIP_2) | instid1(SALU_CYCLE_1)
	s_ashr_i32 s40, s39, 4
	s_cmp_lt_i32 s39, s33
	s_cselect_b32 s40, s40, s13
	s_ashr_i32 s41, s40, 31
	s_delay_alu instid0(SALU_CYCLE_1) | instskip(NEXT) | instid1(SALU_CYCLE_1)
	s_lshl_b64 s[40:41], s[40:41], 2
	s_add_u32 s40, s36, s40
	s_addc_u32 s41, s35, s41
	s_or_b32 s39, s12, 0xe0
	s_delay_alu instid0(SALU_CYCLE_1) | instskip(SKIP_2) | instid1(SALU_CYCLE_1)
	s_ashr_i32 s42, s39, 4
	s_cmp_lt_i32 s39, s33
	s_cselect_b32 s42, s42, s13
	s_ashr_i32 s43, s42, 31
	s_delay_alu instid0(SALU_CYCLE_1)
	s_lshl_b64 s[42:43], s[42:43], 2
	s_waitcnt vmcnt(1)
	v_mad_i64_i32 v[3:4], null, v5, s25, v[1:2]
	s_waitcnt vmcnt(0)
	v_mad_i64_i32 v[5:6], null, v7, s25, v[1:2]
	v_lshl_or_b32 v1, v66, 8, v74
	s_clause 0x7
	global_load_b128 v[76:79], v[3:4], off
	global_load_b128 v[80:83], v[3:4], off offset:256
	global_load_b128 v[84:87], v[5:6], off
	global_load_b128 v[88:91], v[5:6], off offset:256
	global_load_b128 v[92:95], v[3:4], off offset:512
	;; [unrolled: 1-line block ×5, first 2 shown]
	s_load_b32 s13, s[40:41], 0x0
	s_add_u32 s40, s36, s42
	s_addc_u32 s41, s35, s43
	s_add_u32 s30, s30, s37
	s_addc_u32 s31, s31, s38
	v_add_co_u32 v1, s30, s30, v1
	s_delay_alu instid0(VALU_DEP_1) | instskip(SKIP_3) | instid1(VALU_DEP_1)
	v_add_co_ci_u32_e64 v2, null, s31, 0, s30
	s_load_b32 s30, s[40:41], 0x0
	s_mov_b32 s36, 0
	s_waitcnt lgkmcnt(0)
	v_mad_i64_i32 v[3:4], null, s29, s25, v[1:2]
	v_mad_i64_i32 v[9:10], null, s26, s25, v[1:2]
	;; [unrolled: 1-line block ×7, first 2 shown]
	s_clause 0x5
	global_load_b128 v[49:52], v[3:4], off
	global_load_b128 v[53:56], v[3:4], off offset:16
	global_load_b128 v[41:44], v[5:6], off
	global_load_b128 v[45:48], v[5:6], off offset:16
	;; [unrolled: 2-line block ×3, first 2 shown]
	s_mov_b32 s43, s36
	s_mov_b32 s37, s36
	v_mad_i64_i32 v[61:62], null, s30, s25, v[1:2]
	s_clause 0x9
	global_load_b128 v[1:4], v[9:10], off
	global_load_b128 v[5:8], v[9:10], off offset:16
	global_load_b128 v[9:12], v[13:14], off
	global_load_b128 v[13:16], v[13:14], off offset:16
	;; [unrolled: 2-line block ×5, first 2 shown]
	s_mov_b32 s38, s36
	s_mov_b32 s39, s36
	;; [unrolled: 1-line block ×5, first 2 shown]
	v_mov_b32_e32 v123, s11
	v_mov_b32_e32 v131, s43
	v_dual_mov_b32 v121, s9 :: v_dual_mov_b32 v126, s38
	v_dual_mov_b32 v119, s7 :: v_dual_mov_b32 v124, s36
	v_dual_mov_b32 v116, s4 :: v_dual_add_nc_u32 v65, s12, v65
	v_dual_mov_b32 v130, s42 :: v_dual_mov_b32 v129, s41
	v_dual_mov_b32 v128, s40 :: v_dual_mov_b32 v127, s39
	;; [unrolled: 1-line block ×3, first 2 shown]
	v_mov_b32_e32 v120, s8
	v_dual_mov_b32 v118, s6 :: v_dual_mov_b32 v117, s5
	v_or_b32_e32 v65, v65, v75
	s_waitcnt vmcnt(0)
	s_barrier
	buffer_gl0_inv
	v_or_b32_e32 v69, 4, v65
	v_or_b32_e32 v70, 6, v65
	;; [unrolled: 1-line block ×8, first 2 shown]
	v_cmp_gt_i32_e64 s3, s33, v69
	v_cmp_gt_i32_e64 s4, s33, v70
	;; [unrolled: 1-line block ×8, first 2 shown]
	v_wmma_f32_16x16x16_f16 v[132:139], v[76:83], v[108:115], v[124:131]
	v_wmma_f32_16x16x16_f16 v[124:131], v[84:91], v[108:115], v[124:131]
	v_or_b32_e32 v76, 20, v65
	v_or_b32_e32 v77, 22, v65
	s_delay_alu instid0(VALU_DEP_4)
	v_wmma_f32_16x16x16_f16 v[132:139], v[92:99], v[116:123], v[132:139]
	v_or_b32_e32 v78, 24, v65
	v_or_b32_e32 v79, 26, v65
	;; [unrolled: 1-line block ×4, first 2 shown]
	v_mul_f32_e32 v82, s24, v139
	v_wmma_f32_16x16x16_f16 v[124:131], v[100:107], v[116:123], v[124:131]
	v_cndmask_b32_e32 v67, v67, v68, vcc_lo
	v_or_b32_e32 v68, 2, v65
	v_dual_mul_f32 v88, s24, v133 :: v_dual_mul_f32 v89, s24, v132
	v_cmp_gt_i32_e32 vcc_lo, s33, v65
	v_mul_f32_e32 v86, s24, v135
	s_delay_alu instid0(VALU_DEP_4) | instskip(SKIP_3) | instid1(VALU_DEP_4)
	v_cmp_gt_i32_e64 s2, s33, v68
	v_dual_mul_f32 v92, s24, v129 :: v_dual_mul_f32 v87, s24, v134
	v_cndmask_b32_e32 v65, 0xff7fffff, v89, vcc_lo
	v_mul_f32_e32 v84, s24, v137
	v_cndmask_b32_e64 v68, 0xff7fffff, v88, s2
	v_dual_mul_f32 v85, s24, v136 :: v_dual_mul_f32 v96, s24, v125
	v_cndmask_b32_e64 v69, 0xff7fffff, v87, s3
	v_cndmask_b32_e64 v70, 0xff7fffff, v86, s4
	s_delay_alu instid0(VALU_DEP_4) | instskip(SKIP_3) | instid1(VALU_DEP_4)
	v_max3_f32 v65, v65, 0xff7fffff, v68
	v_dual_mul_f32 v83, s24, v138 :: v_dual_mul_f32 v94, s24, v127
	v_cndmask_b32_e64 v68, 0xff7fffff, v85, s5
	v_cndmask_b32_e64 v71, 0xff7fffff, v84, s6
	v_max3_f32 v65, v65, v69, v70
	v_mul_f32_e32 v97, s24, v124
	v_cndmask_b32_e64 v69, 0xff7fffff, v83, s7
	v_cndmask_b32_e64 v70, 0xff7fffff, v82, s8
	v_mul_f32_e32 v95, s24, v126
	v_max3_f32 v65, v65, v68, v71
	v_cndmask_b32_e64 v68, 0xff7fffff, v97, s9
	v_cndmask_b32_e64 v71, 0xff7fffff, v96, s10
	v_cmp_gt_i32_e64 s11, s33, v76
	v_cmp_gt_i32_e64 s12, s33, v77
	v_max3_f32 v65, v65, v69, v70
	v_mul_f32_e32 v93, s24, v128
	v_cmp_gt_i32_e64 s13, s33, v78
	v_cndmask_b32_e64 v69, 0xff7fffff, v95, s11
	v_cndmask_b32_e64 v70, 0xff7fffff, v94, s12
	v_max3_f32 v65, v65, v68, v71
	v_cmp_gt_i32_e64 s16, s33, v79
	v_dual_mul_f32 v90, s24, v131 :: v_dual_mul_f32 v91, s24, v130
	v_cndmask_b32_e64 v68, 0xff7fffff, v93, s13
	s_delay_alu instid0(VALU_DEP_4) | instskip(NEXT) | instid1(VALU_DEP_4)
	v_max3_f32 v65, v65, v69, v70
	v_cndmask_b32_e64 v71, 0xff7fffff, v92, s16
	v_cmp_gt_i32_e64 s17, s33, v80
	v_cmp_gt_i32_e64 s18, s33, v81
	s_delay_alu instid0(VALU_DEP_3) | instskip(NEXT) | instid1(VALU_DEP_3)
	v_max3_f32 v65, v65, v68, v71
	v_cndmask_b32_e64 v69, 0xff7fffff, v91, s17
	s_delay_alu instid0(VALU_DEP_3) | instskip(SKIP_1) | instid1(VALU_DEP_2)
	v_cndmask_b32_e64 v70, 0xff7fffff, v90, s18
	v_lshlrev_b32_e32 v68, 2, v67
	v_max3_f32 v65, v65, v69, v70
	ds_bpermute_b32 v67, v68, v65
	s_waitcnt lgkmcnt(0)
	v_max_f32_e32 v67, v67, v67
	s_delay_alu instid0(VALU_DEP_1) | instskip(NEXT) | instid1(VALU_DEP_1)
	v_max_f32_e32 v65, v65, v67
	v_fma_f32 v71, s24, v135, -v65
	v_fma_f32 v67, s24, v132, -v65
	v_fma_f32 v69, s24, v133, -v65
	v_fma_f32 v70, s24, v134, -v65
	v_fma_f32 v72, s24, v136, -v65
	v_mul_f32_e32 v71, 0x3fb8aa3b, v71
	s_delay_alu instid0(VALU_DEP_3) | instskip(NEXT) | instid1(VALU_DEP_3)
	v_dual_mul_f32 v67, 0x3fb8aa3b, v67 :: v_dual_mul_f32 v70, 0x3fb8aa3b, v70
	v_mul_f32_e32 v72, 0x3fb8aa3b, v72
	s_delay_alu instid0(VALU_DEP_3) | instskip(NEXT) | instid1(VALU_DEP_2)
	v_exp_f32_e32 v71, v71
	v_exp_f32_e32 v67, v67
	s_delay_alu instid0(VALU_DEP_2) | instskip(NEXT) | instid1(VALU_DEP_1)
	v_exp_f32_e32 v76, v70
	v_exp_f32_e32 v79, v72
	v_cndmask_b32_e64 v71, 0, v71, s4
	s_delay_alu instid0(TRANS32_DEP_3)
	v_dual_mul_f32 v69, 0x3fb8aa3b, v69 :: v_dual_cndmask_b32 v70, 0, v67
	v_fma_f32 v67, s24, v137, -v65
	s_waitcnt_depctr 0xfff
	v_cndmask_b32_e64 v72, 0, v76, s3
	v_cndmask_b32_e64 v84, 0, v79, s5
	v_exp_f32_e32 v69, v69
	v_add_f32_e32 v77, 0, v70
	v_mul_f32_e32 v67, 0x3fb8aa3b, v67
	s_mov_b32 s3, exec_lo
	s_delay_alu instid0(VALU_DEP_1) | instskip(SKIP_2) | instid1(VALU_DEP_1)
	v_exp_f32_e32 v67, v67
	s_waitcnt_depctr 0xfff
	v_cndmask_b32_e64 v69, 0, v69, s2
	v_add_f32_e32 v76, v77, v69
	v_cndmask_b32_e64 v83, 0, v67, s6
	s_delay_alu instid0(VALU_DEP_2) | instskip(NEXT) | instid1(VALU_DEP_1)
	v_add_f32_e32 v76, v76, v72
	v_add_f32_e32 v76, v76, v71
	s_delay_alu instid0(VALU_DEP_1) | instskip(SKIP_1) | instid1(VALU_DEP_1)
	v_add_f32_e32 v67, v76, v84
	v_fma_f32 v76, s24, v126, -v65
	v_dual_add_f32 v67, v67, v83 :: v_dual_mul_f32 v76, 0x3fb8aa3b, v76
	v_fma_f32 v78, s24, v138, -v65
	v_fma_f32 v77, s24, v139, -v65
	;; [unrolled: 1-line block ×4, first 2 shown]
	v_exp_f32_e32 v76, v76
	s_delay_alu instid0(VALU_DEP_3) | instskip(NEXT) | instid1(VALU_DEP_2)
	v_dual_mul_f32 v78, 0x3fb8aa3b, v78 :: v_dual_mul_f32 v77, 0x3fb8aa3b, v77
	v_dual_mul_f32 v80, 0x3fb8aa3b, v80 :: v_dual_mul_f32 v79, 0x3fb8aa3b, v79
	s_delay_alu instid0(VALU_DEP_2) | instskip(NEXT) | instid1(VALU_DEP_2)
	v_exp_f32_e32 v78, v78
	v_exp_f32_e32 v77, v77
	s_delay_alu instid0(VALU_DEP_1) | instskip(NEXT) | instid1(VALU_DEP_1)
	v_exp_f32_e32 v80, v80
	v_exp_f32_e32 v79, v79
	v_cndmask_b32_e64 v90, 0, v76, s11
	v_cndmask_b32_e64 v86, 0, v78, s7
	v_fma_f32 v78, s24, v127, -v65
	s_delay_alu instid0(TRANS32_DEP_3) | instskip(SKIP_1) | instid1(TRANS32_DEP_2)
	v_cndmask_b32_e64 v85, 0, v77, s8
	v_fma_f32 v77, s24, v128, -v65
	v_cndmask_b32_e64 v88, 0, v80, s9
	v_add_f32_e32 v67, v67, v86
	v_mul_f32_e32 v78, 0x3fb8aa3b, v78
	v_fma_f32 v80, s24, v129, -v65
	v_mul_f32_e32 v77, 0x3fb8aa3b, v77
	v_cndmask_b32_e64 v87, 0, v79, s10
	v_add_f32_e32 v67, v67, v85
	v_exp_f32_e32 v78, v78
	v_fma_f32 v79, s24, v130, -v65
	v_mul_f32_e32 v80, 0x3fb8aa3b, v80
	v_exp_f32_e32 v77, v77
	s_delay_alu instid0(VALU_DEP_2) | instskip(NEXT) | instid1(VALU_DEP_2)
	v_dual_add_f32 v67, v67, v88 :: v_dual_mul_f32 v76, 0x3fb8aa3b, v79
	v_exp_f32_e32 v79, v80
	s_delay_alu instid0(VALU_DEP_1) | instskip(NEXT) | instid1(TRANS32_DEP_3)
	v_add_f32_e32 v67, v67, v87
	v_cndmask_b32_e64 v89, 0, v78, s12
	v_fma_f32 v78, s24, v131, -v65
	v_exp_f32_e32 v76, v76
	s_delay_alu instid0(TRANS32_DEP_3) | instskip(SKIP_1) | instid1(VALU_DEP_3)
	v_cndmask_b32_e64 v92, 0, v77, s13
	v_add_f32_e32 v67, v67, v90
	v_mul_f32_e32 v77, 0x3fb8aa3b, v78
	s_delay_alu instid0(TRANS32_DEP_2) | instskip(NEXT) | instid1(VALU_DEP_3)
	v_cndmask_b32_e64 v91, 0, v79, s16
	v_add_f32_e32 v67, v67, v89
	s_delay_alu instid0(VALU_DEP_3) | instskip(NEXT) | instid1(TRANS32_DEP_2)
	v_exp_f32_e32 v77, v77
	v_cndmask_b32_e64 v94, 0, v76, s17
	v_and_b32_e32 v76, 31, v0
	s_delay_alu instid0(VALU_DEP_3) | instskip(NEXT) | instid1(VALU_DEP_2)
	v_add_f32_e32 v67, v67, v92
	v_cmp_lt_u32_e64 s2, 15, v76
	s_delay_alu instid0(VALU_DEP_2) | instskip(SKIP_3) | instid1(VALU_DEP_1)
	v_add_f32_e32 v67, v67, v91
	s_waitcnt_depctr 0xfff
	v_cndmask_b32_e64 v93, 0, v77, s18
	v_add_f32_e32 v67, v67, v94
	v_add_f32_e32 v67, v67, v93
	ds_bpermute_b32 v68, v68, v67
	v_cmpx_gt_u32_e32 16, v76
	s_cbranch_execz .LBB806_11
; %bb.10:
	v_mul_u32_u24_e32 v76, 0x44, v66
	s_waitcnt lgkmcnt(0)
	v_add_f32_e32 v67, v67, v68
	s_delay_alu instid0(VALU_DEP_2) | instskip(NEXT) | instid1(VALU_DEP_1)
	v_lshl_add_u32 v76, v73, 2, v76
	v_add_nc_u32_e32 v68, 0x4000, v76
	ds_store_2addr_b32 v68, v65, v67 offset1:136
.LBB806_11:
	s_or_b32 exec_lo, exec_lo, s3
	v_lshlrev_b32_e32 v65, 2, v73
	s_load_b64 s[36:37], s[0:1], 0x94
	s_waitcnt lgkmcnt(0)
	s_barrier
	buffer_gl0_inv
	v_add_nc_u32_e32 v65, 0x4000, v65
	v_cmp_eq_u32_e32 vcc_lo, 1, v66
	v_cmp_eq_u32_e64 s3, 2, v66
	v_cmp_eq_u32_e64 s5, 3, v66
	;; [unrolled: 1-line block ×3, first 2 shown]
	ds_load_2addr_b32 v[76:77], v65 offset1:17
	ds_load_2addr_b32 v[78:79], v65 offset0:34 offset1:51
	ds_load_2addr_b32 v[80:81], v65 offset0:68 offset1:85
	;; [unrolled: 1-line block ×3, first 2 shown]
	v_cmp_eq_u32_e64 s7, 5, v66
	v_cmp_eq_u32_e64 s4, 6, v66
	s_waitcnt lgkmcnt(3)
	v_max3_f32 v67, v76, 0xff7fffff, v77
	s_waitcnt lgkmcnt(2)
	s_delay_alu instid0(VALU_DEP_1) | instskip(SKIP_1) | instid1(VALU_DEP_1)
	v_max3_f32 v67, v67, v78, v79
	s_waitcnt lgkmcnt(1)
	v_max3_f32 v67, v67, v80, v81
	s_waitcnt lgkmcnt(0)
	s_delay_alu instid0(VALU_DEP_1) | instskip(NEXT) | instid1(VALU_DEP_1)
	v_max3_f32 v67, v67, v95, v96
	v_sub_f32_e32 v82, v77, v67
	ds_load_2addr_b32 v[97:98], v65 offset0:136 offset1:153
	v_sub_f32_e32 v68, v76, v67
	ds_load_2addr_b32 v[76:77], v65 offset0:170 offset1:187
	v_sub_f32_e32 v80, v80, v67
	v_mul_f32_e32 v82, 0x3fb8aa3b, v82
	v_mul_f32_e32 v68, 0x3fb8aa3b, v68
	s_delay_alu instid0(VALU_DEP_3) | instskip(NEXT) | instid1(VALU_DEP_2)
	v_mul_f32_e32 v102, 0x3fb8aa3b, v80
	v_exp_f32_e32 v99, v68
	v_sub_f32_e32 v68, v79, v67
	s_delay_alu instid0(VALU_DEP_1) | instskip(NEXT) | instid1(VALU_DEP_1)
	v_dual_sub_f32 v78, v78, v67 :: v_dual_mul_f32 v101, 0x3fb8aa3b, v68
	v_mul_f32_e32 v100, 0x3fb8aa3b, v78
	ds_load_2addr_b32 v[78:79], v65 offset0:204 offset1:221
	s_waitcnt lgkmcnt(2)
	v_fma_f32 v68, v99, v97, 0
	v_sub_f32_e32 v97, v81, v67
	ds_load_2addr_b32 v[80:81], v65 offset0:238 offset1:255
	v_sub_f32_e32 v65, v95, v67
	v_exp_f32_e32 v82, v82
	v_exp_f32_e32 v101, v101
	v_mul_f32_e32 v95, 0x3fb8aa3b, v97
	v_exp_f32_e32 v97, v102
	v_mul_f32_e32 v65, 0x3fb8aa3b, v65
	v_exp_f32_e32 v100, v100
	s_waitcnt lgkmcnt(0)
	v_exp_f32_e32 v95, v95
	s_barrier
	buffer_gl0_inv
	v_fmac_f32_e32 v68, v82, v98
	s_delay_alu instid0(VALU_DEP_1) | instskip(SKIP_2) | instid1(VALU_DEP_2)
	v_fmac_f32_e32 v68, v100, v76
	v_sub_f32_e32 v76, v96, v67
	v_exp_f32_e32 v96, v65
	v_fmac_f32_e32 v68, v101, v77
	s_delay_alu instid0(VALU_DEP_2) | instskip(NEXT) | instid1(VALU_DEP_2)
	v_mul_f32_e32 v76, 0x3fb8aa3b, v76
	v_fmac_f32_e32 v68, v97, v78
	s_delay_alu instid0(VALU_DEP_2) | instskip(SKIP_1) | instid1(VALU_DEP_2)
	v_exp_f32_e32 v98, v76
	v_cndmask_b32_e32 v76, v99, v82, vcc_lo
	v_fmac_f32_e32 v68, v95, v79
	s_delay_alu instid0(TRANS32_DEP_2) | instid1(VALU_DEP_1)
	v_fmac_f32_e32 v68, v96, v80
	v_lshlrev_b32_e32 v80, 6, v73
	s_waitcnt_depctr 0xfff
	v_fmac_f32_e32 v68, v98, v81
	v_lshl_or_b32 v82, v66, 11, v80
	s_delay_alu instid0(VALU_DEP_2) | instskip(NEXT) | instid1(VALU_DEP_1)
	v_add_f32_e32 v81, 0x358637bd, v68
	v_div_scale_f32 v102, null, v81, v81, 1.0
	v_div_scale_f32 v99, vcc_lo, 1.0, v81, 1.0
	s_delay_alu instid0(VALU_DEP_2) | instskip(SKIP_2) | instid1(VALU_DEP_1)
	v_rcp_f32_e32 v103, v102
	s_waitcnt_depctr 0xfff
	v_fma_f32 v65, -v102, v103, 1.0
	v_fmac_f32_e32 v103, v65, v103
	v_cndmask_b32_e64 v65, v76, v100, s3
	v_cmp_eq_u32_e64 s3, 7, v66
	v_lshlrev_b32_e32 v76, 2, v75
	s_delay_alu instid0(VALU_DEP_4) | instskip(NEXT) | instid1(VALU_DEP_4)
	v_mul_f32_e32 v100, v99, v103
	v_cndmask_b32_e64 v77, v65, v101, s5
	v_mov_b32_e32 v65, 0
	s_delay_alu instid0(VALU_DEP_4)
	v_or_b32_e32 v79, 1, v76
	v_cmp_eq_u32_e64 s5, 1, v76
	v_fma_f32 v78, -v102, v100, v99
	v_cndmask_b32_e64 v97, v77, v97, s6
	v_or_b32_e32 v77, 2, v76
	v_cmp_eq_u32_e64 s9, 1, v79
	v_cmp_eq_u32_e64 s6, 2, v76
	v_fmac_f32_e32 v100, v78, v103
	v_cndmask_b32_e64 v66, v97, v95, s7
	v_or_b32_e32 v78, 3, v76
	v_cmp_eq_u32_e64 s10, 1, v77
	v_cmp_eq_u32_e64 s12, 2, v79
	v_fma_f32 v95, -v102, v100, v99
	v_cndmask_b32_e64 v66, v66, v96, s4
	v_cmp_eq_u32_e64 s11, 1, v78
	v_cmp_eq_u32_e64 s17, 2, v78
	;; [unrolled: 1-line block ×3, first 2 shown]
	v_div_fmas_f32 v95, v95, v103, v100
	v_cndmask_b32_e64 v66, v66, v98, s3
	v_cmp_eq_u32_e32 vcc_lo, 3, v76
	v_cmp_eq_u32_e64 s16, 2, v77
	v_cmp_eq_u32_e64 s19, 3, v78
	v_div_fixup_f32 v95, v95, v81, 1.0
	v_lshl_or_b32 v81, v75, 4, v82
	v_cmp_eq_u32_e64 s4, 4, v76
	v_cmp_eq_u32_e64 s18, 3, v77
	;; [unrolled: 1-line block ×3, first 2 shown]
	v_mul_f32_e32 v66, v66, v95
	v_cmp_eq_u32_e64 s23, 4, v78
	v_cmp_eq_u32_e64 s7, 5, v76
	;; [unrolled: 1-line block ×4, first 2 shown]
	v_fma_mixlo_f16 v95, v66, v70, 0
	v_fma_mixlo_f16 v96, v66, v72, 0
	;; [unrolled: 1-line block ×8, first 2 shown]
	v_fma_mixhi_f16 v95, v66, v69, 0
	v_fma_mixhi_f16 v96, v66, v71, 0
	;; [unrolled: 1-line block ×8, first 2 shown]
	ds_store_b128 v81, v[95:98]
	ds_store_b128 v81, v[99:102] offset:1024
	s_waitcnt lgkmcnt(0)
	s_barrier
	buffer_gl0_inv
	ds_load_b128 v[69:72], v82
	ds_load_b128 v[83:86], v82 offset:16
	ds_load_b128 v[87:90], v82 offset:1024
	;; [unrolled: 1-line block ×3, first 2 shown]
	v_cmp_eq_u32_e64 s25, 5, v78
	v_cmp_eq_u32_e64 s3, 6, v76
	;; [unrolled: 1-line block ×10, first 2 shown]
	s_waitcnt lgkmcnt(3)
	v_lshrrev_b32_e32 v66, 16, v69
	s_waitcnt lgkmcnt(2)
	v_lshrrev_b32_e32 v98, 16, v83
	;; [unrolled: 2-line block ×4, first 2 shown]
	v_lshrrev_b32_e32 v95, 16, v70
	v_cndmask_b32_e64 v110, v69, v66, s5
	v_cndmask_b32_e64 v111, v83, v98, s5
	v_cndmask_b32_e64 v112, v69, v66, s9
	v_cndmask_b32_e64 v113, v83, v98, s9
	v_cndmask_b32_e64 v114, v69, v66, s10
	v_cndmask_b32_e64 v66, v69, v66, s11
	v_cndmask_b32_e64 v69, v83, v98, s11
	v_lshrrev_b32_e32 v99, 16, v84
	v_cndmask_b32_e64 v115, v83, v98, s10
	v_cndmask_b32_e64 v83, v87, v102, s5
	;; [unrolled: 1-line block ×15, first 2 shown]
	v_lshrrev_b32_e32 v103, 16, v88
	v_lshrrev_b32_e32 v107, 16, v92
	v_cndmask_b32_e64 v112, v114, v70, s16
	v_cndmask_b32_e64 v113, v115, v84, s16
	;; [unrolled: 1-line block ×7, first 2 shown]
	v_cndmask_b32_e32 v88, v102, v95, vcc_lo
	v_cndmask_b32_e32 v102, v106, v99, vcc_lo
	v_cndmask_b32_e64 v106, v110, v95, s13
	v_cndmask_b32_e64 v110, v111, v99, s13
	;; [unrolled: 1-line block ×4, first 2 shown]
	v_lshrrev_b32_e32 v96, 16, v71
	v_lshrrev_b32_e32 v100, 16, v85
	v_cndmask_b32_e64 v111, v112, v95, s18
	v_cndmask_b32_e64 v112, v113, v99, s18
	v_cndmask_b32_e32 v70, v70, v103, vcc_lo
	v_cndmask_b32_e32 v83, v83, v107, vcc_lo
	v_cndmask_b32_e64 v84, v84, v103, s13
	v_cndmask_b32_e64 v88, v88, v71, s4
	;; [unrolled: 1-line block ×7, first 2 shown]
	v_lshrrev_b32_e32 v104, 16, v89
	v_lshrrev_b32_e32 v108, 16, v93
	v_cndmask_b32_e64 v106, v111, v71, s22
	v_cndmask_b32_e64 v110, v112, v85, s22
	;; [unrolled: 1-line block ×11, first 2 shown]
	v_lshrrev_b32_e32 v97, 16, v72
	v_lshrrev_b32_e32 v101, 16, v86
	v_cndmask_b32_e64 v99, v106, v96, s24
	v_cndmask_b32_e64 v102, v110, v100, s24
	;; [unrolled: 1-line block ×11, first 2 shown]
	v_lshrrev_b32_e32 v105, 16, v90
	v_cndmask_b32_e64 v96, v99, v72, s27
	v_cndmask_b32_e64 v99, v102, v86, s27
	;; [unrolled: 1-line block ×14, first 2 shown]
	v_perm_b32 v72, v69, v66, 0x5040100
	v_perm_b32 v70, v95, v85, 0x5040100
	v_cndmask_b32_e64 v66, v91, v92, s17
	v_cndmask_b32_e64 v69, v119, v92, s16
	;; [unrolled: 1-line block ×4, first 2 shown]
	v_perm_b32 v71, v96, v88, 0x5040100
	v_cndmask_b32_e64 v88, v98, v103, s18
	v_cndmask_b32_e64 v87, v87, v103, s19
	;; [unrolled: 1-line block ×15, first 2 shown]
	v_lshrrev_b32_e32 v109, 16, v94
	v_cndmask_b32_e64 v88, v88, v90, s27
	v_cndmask_b32_e64 v87, v87, v90, s28
	;; [unrolled: 1-line block ×11, first 2 shown]
	v_perm_b32 v69, v84, v83, 0x5040100
	v_perm_b32 v86, v66, v87, 0x5040100
	;; [unrolled: 1-line block ×5, first 2 shown]
	s_mov_b32 s3, exec_lo
	ds_store_b128 v81, v[69:72]
	ds_store_b128 v81, v[83:86] offset:1024
	v_cmpx_eq_u32_e32 0, v0
	s_cbranch_execz .LBB806_13
; %bb.12:
	s_load_b128 s[4:7], s[0:1], 0x58
	s_mul_i32 s8, s37, s34
	s_delay_alu instid0(SALU_CYCLE_1) | instskip(NEXT) | instid1(SALU_CYCLE_1)
	s_add_i32 s8, s8, s15
	s_mul_i32 s8, s8, s36
	s_delay_alu instid0(SALU_CYCLE_1) | instskip(NEXT) | instid1(SALU_CYCLE_1)
	s_add_i32 s8, s8, s14
	s_ashr_i32 s9, s8, 31
	s_delay_alu instid0(SALU_CYCLE_1)
	s_lshl_b64 s[8:9], s[8:9], 2
	s_waitcnt lgkmcnt(0)
	s_add_u32 s6, s6, s8
	s_addc_u32 s7, s7, s9
	s_add_u32 s4, s4, s8
	s_addc_u32 s5, s5, s9
	s_clause 0x1
	global_store_b32 v65, v67, s[6:7]
	global_store_b32 v65, v68, s[4:5]
.LBB806_13:
	s_or_b32 exec_lo, exec_lo, s3
	s_waitcnt lgkmcnt(0)
	s_waitcnt_vscnt null, 0x0
	s_barrier
	buffer_gl0_inv
	ds_load_b128 v[83:86], v80
	ds_load_b128 v[87:90], v80 offset:16
	ds_load_b128 v[95:98], v80 offset:2064
	;; [unrolled: 1-line block ×5, first 2 shown]
	v_mov_b32_e32 v66, v65
	v_mov_b32_e32 v67, v65
	v_mov_b32_e32 v68, v65
	v_mov_b32_e32 v69, v65
	v_mov_b32_e32 v70, v65
	v_mov_b32_e32 v71, v65
	v_mov_b32_e32 v72, v65
	ds_load_b128 v[111:114], v80 offset:6160
	ds_load_b128 v[107:110], v80 offset:6144
	;; [unrolled: 1-line block ×4, first 2 shown]
	v_cmp_eq_u32_e32 vcc_lo, 1, v76
	v_cmp_eq_u32_e64 s3, 1, v79
	v_cmp_eq_u32_e64 s4, 1, v78
	v_cmp_eq_u32_e64 s5, 2, v76
	v_cmp_eq_u32_e64 s6, 3, v76
	v_cmp_eq_u32_e64 s7, 6, v77
	s_waitcnt lgkmcnt(8)
	v_wmma_f32_16x16x16_f16 v[65:72], v[49:56], v[83:90], v[65:72]
	ds_load_b128 v[53:56], v80 offset:10256
	ds_load_b128 v[49:52], v80 offset:10240
	s_waitcnt lgkmcnt(8)
	v_wmma_f32_16x16x16_f16 v[65:72], v[41:48], v[91:98], v[65:72]
	ds_load_b128 v[45:48], v80 offset:12304
	ds_load_b128 v[41:44], v80 offset:12288
	;; [unrolled: 4-line block ×3, first 2 shown]
	s_waitcnt lgkmcnt(0)
	s_barrier
	buffer_gl0_inv
	v_wmma_f32_16x16x16_f16 v[65:72], v[1:8], v[107:114], v[65:72]
	s_delay_alu instid0(VALU_DEP_1) | instskip(NEXT) | instid1(VALU_DEP_1)
	v_wmma_f32_16x16x16_f16 v[65:72], v[9:16], v[115:122], v[65:72]
	v_wmma_f32_16x16x16_f16 v[65:72], v[17:24], v[49:56], v[65:72]
	s_delay_alu instid0(VALU_DEP_1) | instskip(NEXT) | instid1(VALU_DEP_1)
	v_wmma_f32_16x16x16_f16 v[65:72], v[25:32], v[41:48], v[65:72]
	v_wmma_f32_16x16x16_f16 v[65:72], v[57:64], v[33:40], v[65:72]
	s_delay_alu instid0(VALU_DEP_1) | instskip(NEXT) | instid1(VALU_DEP_2)
	v_cvt_f16_f32_e32 v1, v65
	v_cvt_f16_f32_e32 v2, v66
	s_delay_alu instid0(VALU_DEP_3) | instskip(NEXT) | instid1(VALU_DEP_4)
	v_cvt_f16_f32_e32 v3, v67
	v_cvt_f16_f32_e32 v4, v68
	v_cvt_f16_f32_e32 v5, v69
	v_cvt_f16_f32_e32 v6, v70
	v_cvt_f16_f32_e32 v7, v71
	v_cvt_f16_f32_e32 v8, v72
	v_pack_b32_f16 v1, v1, v2
	v_pack_b32_f16 v2, v3, v4
	;; [unrolled: 1-line block ×3, first 2 shown]
	s_delay_alu instid0(VALU_DEP_4)
	v_pack_b32_f16 v4, v7, v8
	ds_store_b128 v81, v[1:4]
	s_waitcnt lgkmcnt(0)
	s_barrier
	buffer_gl0_inv
	ds_load_b128 v[1:4], v82
	ds_load_b128 v[5:8], v82 offset:16
	s_waitcnt lgkmcnt(1)
	v_lshrrev_b32_e32 v9, 16, v1
	s_waitcnt lgkmcnt(0)
	v_lshrrev_b32_e32 v13, 16, v5
	v_lshrrev_b32_e32 v16, 16, v8
	v_lshrrev_b32_e32 v10, 16, v2
	v_lshrrev_b32_e32 v14, 16, v6
	v_cndmask_b32_e32 v17, v1, v9, vcc_lo
	v_cndmask_b32_e32 v18, v5, v13, vcc_lo
	v_cmp_eq_u32_e32 vcc_lo, 1, v77
	v_cndmask_b32_e64 v19, v1, v9, s3
	v_cndmask_b32_e64 v20, v5, v13, s3
	v_cmp_eq_u32_e64 s3, 2, v77
	v_lshrrev_b32_e32 v11, 16, v3
	v_cndmask_b32_e32 v21, v1, v9, vcc_lo
	v_cndmask_b32_e32 v22, v5, v13, vcc_lo
	v_cndmask_b32_e64 v1, v1, v9, s4
	v_cmp_eq_u32_e32 vcc_lo, 2, v78
	v_cndmask_b32_e64 v5, v5, v13, s4
	v_cmp_eq_u32_e64 s4, 2, v79
	v_cndmask_b32_e64 v9, v17, v2, s5
	v_cndmask_b32_e64 v13, v18, v6, s5
	v_cmp_eq_u32_e64 s5, 3, v79
	v_cndmask_b32_e32 v1, v1, v2, vcc_lo
	v_cndmask_b32_e64 v17, v19, v2, s4
	v_cndmask_b32_e64 v18, v20, v6, s4
	;; [unrolled: 1-line block ×4, first 2 shown]
	v_cndmask_b32_e32 v2, v5, v6, vcc_lo
	v_cmp_eq_u32_e32 vcc_lo, 3, v77
	v_cmp_eq_u32_e64 s4, 3, v78
	v_cndmask_b32_e64 v5, v9, v10, s6
	v_cndmask_b32_e64 v6, v13, v14, s6
	;; [unrolled: 1-line block ×4, first 2 shown]
	v_cndmask_b32_e32 v17, v19, v10, vcc_lo
	v_cmp_eq_u32_e64 s3, 4, v77
	v_cndmask_b32_e32 v18, v20, v14, vcc_lo
	v_cndmask_b32_e64 v1, v1, v10, s4
	v_cmp_eq_u32_e32 vcc_lo, 4, v78
	v_cmp_eq_u32_e64 s5, 4, v76
	v_cndmask_b32_e64 v2, v2, v14, s4
	v_cmp_eq_u32_e64 s4, 4, v79
	v_lshrrev_b32_e32 v15, 16, v7
	v_cmp_eq_u32_e64 s6, 5, v76
	v_cndmask_b32_e64 v5, v5, v3, s5
	v_cndmask_b32_e64 v6, v6, v7, s5
	;; [unrolled: 1-line block ×6, first 2 shown]
	v_cmp_eq_u32_e64 s4, 5, v77
	v_cndmask_b32_e32 v1, v1, v3, vcc_lo
	v_cndmask_b32_e32 v2, v2, v7, vcc_lo
	v_cmp_eq_u32_e32 vcc_lo, 5, v78
	v_cmp_eq_u32_e64 s5, 5, v79
	v_cndmask_b32_e64 v5, v5, v11, s6
	v_cmp_eq_u32_e64 s3, 6, v76
	v_cndmask_b32_e64 v6, v6, v15, s6
	v_cndmask_b32_e64 v13, v13, v11, s4
	;; [unrolled: 1-line block ×3, first 2 shown]
	v_cndmask_b32_e32 v1, v1, v11, vcc_lo
	v_cmp_eq_u32_e64 s4, 6, v78
	v_cndmask_b32_e32 v2, v2, v15, vcc_lo
	v_cndmask_b32_e64 v9, v9, v11, s5
	v_cndmask_b32_e64 v10, v10, v15, s5
	v_cmp_eq_u32_e64 s5, 6, v79
	v_lshrrev_b32_e32 v12, 16, v4
	v_cndmask_b32_e64 v5, v5, v4, s3
	v_cndmask_b32_e64 v6, v6, v8, s3
	v_cmp_eq_u32_e64 s3, 7, v76
	v_cndmask_b32_e64 v1, v1, v4, s4
	v_cmp_eq_u32_e32 vcc_lo, 7, v78
	v_cndmask_b32_e64 v2, v2, v8, s4
	v_cndmask_b32_e64 v9, v9, v4, s5
	v_cmp_eq_u32_e64 s6, 7, v79
	v_cndmask_b32_e64 v7, v13, v4, s7
	v_cndmask_b32_e64 v3, v3, v8, s7
	v_cndmask_b32_e32 v2, v2, v16, vcc_lo
	v_cmp_eq_u32_e64 s4, 7, v77
	v_cndmask_b32_e64 v4, v10, v8, s5
	v_cndmask_b32_e64 v5, v5, v12, s3
	v_cndmask_b32_e32 v1, v1, v12, vcc_lo
	v_cndmask_b32_e64 v6, v6, v16, s3
	v_cmp_lt_u32_e32 vcc_lo, 31, v0
	v_cmp_lt_u32_e64 s3, 7, v73
	v_cndmask_b32_e64 v9, v9, v12, s6
	v_cndmask_b32_e64 v7, v7, v12, s4
	;; [unrolled: 1-line block ×4, first 2 shown]
	s_or_b32 s3, vcc_lo, s3
	v_perm_b32 v4, v2, v1, 0x5040100
	v_perm_b32 v1, v6, v5, 0x5040100
	v_perm_b32 v3, v3, v7, 0x5040100
	v_perm_b32 v2, v8, v9, 0x5040100
	s_or_b32 s2, s2, s3
	s_delay_alu instid0(SALU_CYCLE_1)
	s_xor_b32 s2, s2, -1
	ds_store_b128 v81, v[1:4]
	s_waitcnt lgkmcnt(0)
	s_barrier
	buffer_gl0_inv
	s_and_saveexec_b32 s3, s2
	s_cbranch_execz .LBB806_2
; %bb.14:
	s_load_b64 s[0:1], s[0:1], 0x68
	v_lshlrev_b32_e32 v1, 10, v0
	v_and_b32_e32 v0, 1, v0
	v_lshlrev_b32_e32 v2, 6, v75
	s_lshl_b32 s4, s36, 6
	s_delay_alu instid0(VALU_DEP_3) | instskip(NEXT) | instid1(VALU_DEP_3)
	v_and_b32_e32 v1, 0x3800, v1
	v_lshlrev_b32_e32 v0, 4, v0
	s_mul_i32 s2, s4, s34
	s_delay_alu instid0(SALU_CYCLE_1) | instskip(NEXT) | instid1(VALU_DEP_1)
	s_mul_i32 s2, s2, s37
	v_or3_b32 v0, v1, v2, v0
	s_ashr_i32 s3, s2, 31
	s_delay_alu instid0(SALU_CYCLE_1)
	s_lshl_b64 s[2:3], s[2:3], 1
	ds_load_b128 v[0:3], v0
	s_waitcnt lgkmcnt(0)
	s_add_u32 s5, s0, s2
	s_addc_u32 s3, s1, s3
	s_lshl_b32 s0, s14, 6
	s_mul_i32 s2, s4, s15
	s_ashr_i32 s1, s0, 31
	s_delay_alu instid0(SALU_CYCLE_1) | instskip(NEXT) | instid1(SALU_CYCLE_1)
	s_lshl_b64 s[0:1], s[0:1], 1
	s_add_u32 s4, s5, s0
	s_addc_u32 s5, s3, s1
	s_ashr_i32 s3, s2, 31
	s_delay_alu instid0(SALU_CYCLE_1) | instskip(NEXT) | instid1(SALU_CYCLE_1)
	s_lshl_b64 s[0:1], s[2:3], 1
	s_add_u32 s0, s4, s0
	s_addc_u32 s1, s5, s1
	global_store_b128 v74, v[0:3], s[0:1]
	s_nop 0
	s_sendmsg sendmsg(MSG_DEALLOC_VGPRS)
	s_endpgm
	.section	.rodata,"a",@progbits
	.p2align	6, 0x0
	.amdhsa_kernel _Z39paged_attention_ll4mi_QKV_mfma16_kernelIDF16_hLN4vllm18Fp8KVCacheDataTypeE1EhLi16ELi64ELi256ELb0ELi1EL8MFMAType1EEvPKT_PKT0_S8_ifPKiSA_SA_iPKfiiiPfSD_PS3_PT2_iSC_SC_
		.amdhsa_group_segment_fixed_size 17472
		.amdhsa_private_segment_fixed_size 0
		.amdhsa_kernarg_size 400
		.amdhsa_user_sgpr_count 13
		.amdhsa_user_sgpr_dispatch_ptr 0
		.amdhsa_user_sgpr_queue_ptr 0
		.amdhsa_user_sgpr_kernarg_segment_ptr 1
		.amdhsa_user_sgpr_dispatch_id 0
		.amdhsa_user_sgpr_private_segment_size 0
		.amdhsa_wavefront_size32 1
		.amdhsa_uses_dynamic_stack 0
		.amdhsa_enable_private_segment 0
		.amdhsa_system_sgpr_workgroup_id_x 1
		.amdhsa_system_sgpr_workgroup_id_y 1
		.amdhsa_system_sgpr_workgroup_id_z 1
		.amdhsa_system_sgpr_workgroup_info 0
		.amdhsa_system_vgpr_workitem_id 0
		.amdhsa_next_free_vgpr 144
		.amdhsa_next_free_sgpr 48
		.amdhsa_reserve_vcc 1
		.amdhsa_float_round_mode_32 0
		.amdhsa_float_round_mode_16_64 0
		.amdhsa_float_denorm_mode_32 3
		.amdhsa_float_denorm_mode_16_64 3
		.amdhsa_dx10_clamp 1
		.amdhsa_ieee_mode 1
		.amdhsa_fp16_overflow 0
		.amdhsa_workgroup_processor_mode 1
		.amdhsa_memory_ordered 1
		.amdhsa_forward_progress 0
		.amdhsa_shared_vgpr_count 0
		.amdhsa_exception_fp_ieee_invalid_op 0
		.amdhsa_exception_fp_denorm_src 0
		.amdhsa_exception_fp_ieee_div_zero 0
		.amdhsa_exception_fp_ieee_overflow 0
		.amdhsa_exception_fp_ieee_underflow 0
		.amdhsa_exception_fp_ieee_inexact 0
		.amdhsa_exception_int_div_zero 0
	.end_amdhsa_kernel
	.section	.text._Z39paged_attention_ll4mi_QKV_mfma16_kernelIDF16_hLN4vllm18Fp8KVCacheDataTypeE1EhLi16ELi64ELi256ELb0ELi1EL8MFMAType1EEvPKT_PKT0_S8_ifPKiSA_SA_iPKfiiiPfSD_PS3_PT2_iSC_SC_,"axG",@progbits,_Z39paged_attention_ll4mi_QKV_mfma16_kernelIDF16_hLN4vllm18Fp8KVCacheDataTypeE1EhLi16ELi64ELi256ELb0ELi1EL8MFMAType1EEvPKT_PKT0_S8_ifPKiSA_SA_iPKfiiiPfSD_PS3_PT2_iSC_SC_,comdat
.Lfunc_end806:
	.size	_Z39paged_attention_ll4mi_QKV_mfma16_kernelIDF16_hLN4vllm18Fp8KVCacheDataTypeE1EhLi16ELi64ELi256ELb0ELi1EL8MFMAType1EEvPKT_PKT0_S8_ifPKiSA_SA_iPKfiiiPfSD_PS3_PT2_iSC_SC_, .Lfunc_end806-_Z39paged_attention_ll4mi_QKV_mfma16_kernelIDF16_hLN4vllm18Fp8KVCacheDataTypeE1EhLi16ELi64ELi256ELb0ELi1EL8MFMAType1EEvPKT_PKT0_S8_ifPKiSA_SA_iPKfiiiPfSD_PS3_PT2_iSC_SC_
                                        ; -- End function
	.section	.AMDGPU.csdata,"",@progbits
; Kernel info:
; codeLenInByte = 6204
; NumSgprs: 50
; NumVgprs: 144
; ScratchSize: 0
; MemoryBound: 1
; FloatMode: 240
; IeeeMode: 1
; LDSByteSize: 17472 bytes/workgroup (compile time only)
; SGPRBlocks: 6
; VGPRBlocks: 17
; NumSGPRsForWavesPerEU: 50
; NumVGPRsForWavesPerEU: 144
; Occupancy: 10
; WaveLimiterHint : 1
; COMPUTE_PGM_RSRC2:SCRATCH_EN: 0
; COMPUTE_PGM_RSRC2:USER_SGPR: 13
; COMPUTE_PGM_RSRC2:TRAP_HANDLER: 0
; COMPUTE_PGM_RSRC2:TGID_X_EN: 1
; COMPUTE_PGM_RSRC2:TGID_Y_EN: 1
; COMPUTE_PGM_RSRC2:TGID_Z_EN: 1
; COMPUTE_PGM_RSRC2:TIDIG_COMP_CNT: 0
	.section	.text._Z39paged_attention_ll4mi_QKV_mfma16_kernelIDF16_hLN4vllm18Fp8KVCacheDataTypeE1EhLi16ELi64ELi256ELb0ELi2EL8MFMAType1EEvPKT_PKT0_S8_ifPKiSA_SA_iPKfiiiPfSD_PS3_PT2_iSC_SC_,"axG",@progbits,_Z39paged_attention_ll4mi_QKV_mfma16_kernelIDF16_hLN4vllm18Fp8KVCacheDataTypeE1EhLi16ELi64ELi256ELb0ELi2EL8MFMAType1EEvPKT_PKT0_S8_ifPKiSA_SA_iPKfiiiPfSD_PS3_PT2_iSC_SC_,comdat
	.protected	_Z39paged_attention_ll4mi_QKV_mfma16_kernelIDF16_hLN4vllm18Fp8KVCacheDataTypeE1EhLi16ELi64ELi256ELb0ELi2EL8MFMAType1EEvPKT_PKT0_S8_ifPKiSA_SA_iPKfiiiPfSD_PS3_PT2_iSC_SC_ ; -- Begin function _Z39paged_attention_ll4mi_QKV_mfma16_kernelIDF16_hLN4vllm18Fp8KVCacheDataTypeE1EhLi16ELi64ELi256ELb0ELi2EL8MFMAType1EEvPKT_PKT0_S8_ifPKiSA_SA_iPKfiiiPfSD_PS3_PT2_iSC_SC_
	.globl	_Z39paged_attention_ll4mi_QKV_mfma16_kernelIDF16_hLN4vllm18Fp8KVCacheDataTypeE1EhLi16ELi64ELi256ELb0ELi2EL8MFMAType1EEvPKT_PKT0_S8_ifPKiSA_SA_iPKfiiiPfSD_PS3_PT2_iSC_SC_
	.p2align	8
	.type	_Z39paged_attention_ll4mi_QKV_mfma16_kernelIDF16_hLN4vllm18Fp8KVCacheDataTypeE1EhLi16ELi64ELi256ELb0ELi2EL8MFMAType1EEvPKT_PKT0_S8_ifPKiSA_SA_iPKfiiiPfSD_PS3_PT2_iSC_SC_,@function
_Z39paged_attention_ll4mi_QKV_mfma16_kernelIDF16_hLN4vllm18Fp8KVCacheDataTypeE1EhLi16ELi64ELi256ELb0ELi2EL8MFMAType1EEvPKT_PKT0_S8_ifPKiSA_SA_iPKfiiiPfSD_PS3_PT2_iSC_SC_: ; @_Z39paged_attention_ll4mi_QKV_mfma16_kernelIDF16_hLN4vllm18Fp8KVCacheDataTypeE1EhLi16ELi64ELi256ELb0ELi2EL8MFMAType1EEvPKT_PKT0_S8_ifPKiSA_SA_iPKfiiiPfSD_PS3_PT2_iSC_SC_
; %bb.0:
	s_load_b64 s[2:3], s[0:1], 0x30
	s_mov_b32 s30, s13
	s_waitcnt lgkmcnt(0)
	s_cmp_lg_u64 s[2:3], 0
	s_cselect_b32 s6, -1, 0
	s_ashr_i32 s31, s13, 31
	s_cmp_eq_u64 s[2:3], 0
	s_cbranch_scc1 .LBB807_3
; %bb.1:
	s_lshl_b64 s[4:5], s[30:31], 2
	s_delay_alu instid0(SALU_CYCLE_1) | instskip(SKIP_4) | instid1(SALU_CYCLE_1)
	s_add_u32 s4, s2, s4
	s_addc_u32 s5, s3, s5
	s_load_b64 s[4:5], s[4:5], 0x0
	s_waitcnt lgkmcnt(0)
	s_sub_i32 s4, s5, s4
	s_cmp_eq_u32 s4, 1
	s_cselect_b32 s4, -1, 0
	s_delay_alu instid0(SALU_CYCLE_1)
	s_and_not1_b32 vcc_lo, exec_lo, s4
	s_cbranch_vccz .LBB807_4
.LBB807_2:
	s_endpgm
.LBB807_3:
.LBB807_4:
	s_load_b64 s[8:9], s[0:1], 0x28
	s_lshl_b64 s[4:5], s[30:31], 2
	s_waitcnt lgkmcnt(0)
	s_add_u32 s8, s8, s4
	s_addc_u32 s9, s9, s5
	s_lshl_b32 s16, s14, 8
	s_load_b32 s17, s[8:9], 0x0
	s_waitcnt lgkmcnt(0)
	s_cmp_ge_i32 s16, s17
	s_cbranch_scc1 .LBB807_2
; %bb.5:
	s_clause 0x1
	s_load_b128 s[8:11], s[0:1], 0x8
	s_load_b64 s[12:13], s[0:1], 0x20
	s_and_not1_b32 vcc_lo, exec_lo, s6
	s_cbranch_vccnz .LBB807_7
; %bb.6:
	s_add_u32 s2, s2, s4
	s_addc_u32 s3, s3, s5
	s_load_b32 s3, s[2:3], 0x0
	s_branch .LBB807_8
.LBB807_7:
	s_mov_b32 s3, s30
.LBB807_8:
	s_load_b128 s[4:7], s[0:1], 0x48
	v_and_b32_e32 v70, 15, v0
	v_bfe_u32 v69, v0, 4, 1
	s_lshl_b32 s33, s15, 1
	v_cmp_gt_u32_e32 vcc_lo, 32, v0
	v_and_b32_e32 v71, 31, v0
	v_lshlrev_b32_e32 v1, 3, v70
	v_cmp_gt_u32_e64 s2, 8, v70
	v_and_b32_e32 v68, 1, v0
	v_or_b32_e32 v67, s33, v69
	v_lshlrev_b32_e32 v66, 6, v69
	v_lshlrev_b32_e32 v65, 1, v1
	s_and_b32 s31, vcc_lo, s2
	s_delay_alu instid0(SALU_CYCLE_1)
	s_and_saveexec_b32 s2, s31
	s_cbranch_execz .LBB807_10
; %bb.9:
	s_load_b64 s[18:19], s[0:1], 0x0
	v_lshlrev_b32_e32 v1, 6, v67
	s_waitcnt lgkmcnt(0)
	s_mul_hi_i32 s21, s3, s4
	s_mul_i32 s20, s3, s4
	v_lshlrev_b32_e32 v5, 10, v70
	s_lshl_b64 s[20:21], s[20:21], 1
	v_ashrrev_i32_e32 v2, 31, v1
	v_lshlrev_b32_e32 v6, 10, v68
	s_delay_alu instid0(VALU_DEP_3) | instskip(NEXT) | instid1(VALU_DEP_3)
	v_and_b32_e32 v5, 0x3800, v5
	v_lshlrev_b64 v[1:2], 1, v[1:2]
	s_delay_alu instid0(VALU_DEP_2) | instskip(SKIP_2) | instid1(VALU_DEP_2)
	v_or3_b32 v5, v5, v6, v66
	s_add_u32 s3, s18, s20
	s_addc_u32 s4, s19, s21
	v_add_co_u32 v1, vcc_lo, s3, v1
	s_delay_alu instid0(VALU_DEP_3) | instskip(NEXT) | instid1(VALU_DEP_2)
	v_add_co_ci_u32_e32 v2, vcc_lo, s4, v2, vcc_lo
	v_add_co_u32 v1, vcc_lo, v1, v65
	s_delay_alu instid0(VALU_DEP_2)
	v_add_co_ci_u32_e32 v2, vcc_lo, 0, v2, vcc_lo
	global_load_b128 v[1:4], v[1:2], off
	s_waitcnt vmcnt(0)
	ds_store_b128 v5, v[1:4]
.LBB807_10:
	s_or_b32 exec_lo, exec_lo, s2
	v_and_b32_e32 v1, 0xef, v0
	s_add_i32 s2, s17, 15
	s_waitcnt lgkmcnt(0)
	s_clause 0x1
	s_load_b32 s3, s[0:1], 0x38
	s_load_b32 s34, s[0:1], 0x98
	s_ashr_i32 s4, s2, 31
	v_add_nc_u32_e32 v1, s16, v1
	s_lshr_b32 s4, s4, 28
	s_load_b32 s18, s[0:1], 0x1c
	s_add_i32 s2, s2, s4
	s_waitcnt lgkmcnt(0)
	v_ashrrev_i32_e32 v2, 31, v1
	v_or_b32_e32 v3, 16, v1
	s_ashr_i32 s2, s2, 4
	v_cmp_gt_i32_e32 vcc_lo, s17, v1
	s_add_i32 s2, s2, -1
	v_lshrrev_b32_e32 v2, 28, v2
	s_barrier
	buffer_gl0_inv
	s_mul_i32 s15, s15, s6
	v_lshrrev_b32_e32 v72, 5, v0
	v_add_nc_u32_e32 v4, v1, v2
	v_mbcnt_lo_u32_b32 v129, -1, 0
	s_mul_i32 s20, s30, s3
	v_and_b32_e32 v105, 0xe0, v0
	s_ashr_i32 s21, s20, 31
	v_ashrrev_i32_e32 v4, 4, v4
	v_add_nc_u32_e32 v2, v3, v2
	s_lshl_b64 s[20:21], s[20:21], 2
	v_xor_b32_e32 v130, 16, v129
	s_add_u32 s19, s12, s20
	v_cndmask_b32_e32 v1, s2, v4, vcc_lo
	v_ashrrev_i32_e32 v2, 4, v2
	v_cmp_gt_i32_e32 vcc_lo, s17, v3
	s_addc_u32 s12, s13, s21
	s_ashr_i32 s13, s15, 31
	s_add_u32 s3, s8, s15
	s_addc_u32 s4, s9, s13
	v_cndmask_b32_e32 v3, s2, v2, vcc_lo
	v_ashrrev_i32_e32 v2, 31, v1
	s_lshl_b32 s6, s14, 4
	v_add_nc_u32_e32 v121, s16, v105
	s_ashr_i32 s7, s6, 31
	v_ashrrev_i32_e32 v4, 31, v3
	v_lshlrev_b64 v[1:2], 2, v[1:2]
	s_lshl_b64 s[6:7], s[6:7], 2
	v_or_b32_e32 v137, v121, v69
	s_add_u32 s6, s19, s6
	v_lshlrev_b64 v[3:4], 2, v[3:4]
	s_addc_u32 s7, s12, s7
	v_add_co_u32 v1, vcc_lo, s19, v1
	v_add_co_ci_u32_e32 v2, vcc_lo, s12, v2, vcc_lo
	s_delay_alu instid0(VALU_DEP_3) | instskip(NEXT) | instid1(VALU_DEP_4)
	v_add_co_u32 v3, vcc_lo, s19, v3
	v_add_co_ci_u32_e32 v4, vcc_lo, s12, v4, vcc_lo
	s_clause 0x1
	global_load_b32 v5, v[1:2], off
	global_load_b32 v7, v[3:4], off
	s_or_b32 s8, s16, 32
	v_lshlrev_b32_e32 v1, 4, v0
	s_ashr_i32 s9, s8, 4
	s_cmp_lt_i32 s8, s17
	v_cmp_gt_i32_e32 vcc_lo, 32, v130
	s_cselect_b32 s8, s9, s2
	v_and_b32_e32 v1, 0xf0, v1
	s_ashr_i32 s9, s8, 31
	v_dual_cndmask_b32 v138, v129, v130 :: v_dual_lshlrev_b32 v117, 6, v68
	s_lshl_b64 s[8:9], s[8:9], 2
	s_delay_alu instid0(VALU_DEP_2)
	v_add_co_u32 v1, s3, s3, v1
	s_add_u32 s20, s19, s8
	s_addc_u32 s21, s12, s9
	s_or_b32 s8, s16, 64
	v_add_co_ci_u32_e64 v2, null, s4, 0, s3
	s_ashr_i32 s9, s8, 4
	s_cmp_lt_i32 s8, s17
	v_or_b32_e32 v139, 2, v137
	s_cselect_b32 s8, s9, s2
	v_or_b32_e32 v140, 4, v137
	s_ashr_i32 s9, s8, 31
	v_or_b32_e32 v141, 6, v137
	s_lshl_b64 s[8:9], s[8:9], 2
	v_cmp_gt_i32_e32 vcc_lo, s17, v137
	s_add_u32 s22, s19, s8
	s_addc_u32 s23, s12, s9
	s_or_b32 s8, s16, 0x60
	v_or_b32_e32 v142, 8, v137
	s_ashr_i32 s9, s8, 4
	s_cmp_lt_i32 s8, s17
	v_or_b32_e32 v143, 10, v137
	s_cselect_b32 s8, s9, s2
	v_or_b32_e32 v144, 12, v137
	s_ashr_i32 s9, s8, 31
	v_or_b32_e32 v145, 14, v137
	s_lshl_b64 s[8:9], s[8:9], 2
	v_or_b32_e32 v146, 16, v137
	s_add_u32 s24, s19, s8
	s_addc_u32 s25, s12, s9
	s_or_b32 s8, s16, 0x80
	v_or_b32_e32 v147, 18, v137
	s_ashr_i32 s9, s8, 4
	s_cmp_lt_i32 s8, s17
	s_cselect_b32 s8, s9, s2
	s_delay_alu instid0(SALU_CYCLE_1) | instskip(NEXT) | instid1(SALU_CYCLE_1)
	s_ashr_i32 s9, s8, 31
	s_lshl_b64 s[8:9], s[8:9], 2
	s_delay_alu instid0(SALU_CYCLE_1) | instskip(SKIP_2) | instid1(SALU_CYCLE_1)
	s_add_u32 s26, s19, s8
	s_addc_u32 s27, s12, s9
	s_or_b32 s8, s16, 0xa0
	s_ashr_i32 s9, s8, 4
	s_cmp_lt_i32 s8, s17
	s_cselect_b32 s8, s9, s2
	s_delay_alu instid0(SALU_CYCLE_1) | instskip(NEXT) | instid1(SALU_CYCLE_1)
	s_ashr_i32 s9, s8, 31
	s_lshl_b64 s[8:9], s[8:9], 2
	s_delay_alu instid0(SALU_CYCLE_1)
	s_add_u32 s28, s19, s8
	s_addc_u32 s29, s12, s9
	s_clause 0x5
	s_load_b32 s9, s[6:7], 0x0
	s_load_b32 s3, s[20:21], 0x0
	;; [unrolled: 1-line block ×6, first 2 shown]
	s_or_b32 s20, s16, 0xc0
	s_delay_alu instid0(SALU_CYCLE_1) | instskip(SKIP_2) | instid1(SALU_CYCLE_1)
	s_ashr_i32 s21, s20, 4
	s_cmp_lt_i32 s20, s17
	s_cselect_b32 s20, s21, s2
	s_ashr_i32 s21, s20, 31
	s_delay_alu instid0(SALU_CYCLE_1) | instskip(NEXT) | instid1(SALU_CYCLE_1)
	s_lshl_b64 s[20:21], s[20:21], 2
	s_add_u32 s20, s19, s20
	s_addc_u32 s21, s12, s21
	s_or_b32 s22, s16, 0xe0
	s_delay_alu instid0(SALU_CYCLE_1) | instskip(SKIP_2) | instid1(SALU_CYCLE_1)
	s_ashr_i32 s23, s22, 4
	s_cmp_lt_i32 s22, s17
	s_cselect_b32 s22, s23, s2
	s_ashr_i32 s23, s22, 31
	s_delay_alu instid0(SALU_CYCLE_1)
	s_lshl_b64 s[22:23], s[22:23], 2
	s_waitcnt vmcnt(1)
	v_mad_i64_i32 v[3:4], null, v5, s5, v[1:2]
	s_waitcnt vmcnt(0)
	v_mad_i64_i32 v[5:6], null, v7, s5, v[1:2]
	v_lshlrev_b32_e32 v1, 4, v70
	s_clause 0x7
	global_load_b128 v[73:76], v[3:4], off
	global_load_b128 v[77:80], v[3:4], off offset:256
	global_load_b128 v[81:84], v[5:6], off
	global_load_b128 v[85:88], v[5:6], off offset:256
	global_load_b128 v[89:92], v[3:4], off offset:512
	;; [unrolled: 1-line block ×5, first 2 shown]
	v_lshl_or_b32 v1, v72, 8, v1
	s_load_b32 s2, s[20:21], 0x0
	s_add_u32 s20, s19, s22
	s_addc_u32 s21, s12, s23
	s_add_u32 s10, s10, s15
	s_addc_u32 s11, s11, s13
	v_add_co_u32 v1, s10, s10, v1
	s_delay_alu instid0(VALU_DEP_1) | instskip(SKIP_2) | instid1(VALU_DEP_1)
	v_add_co_ci_u32_e64 v2, null, s11, 0, s10
	s_load_b32 s10, s[20:21], 0x0
	s_waitcnt lgkmcnt(0)
	v_mad_i64_i32 v[3:4], null, s9, s5, v[1:2]
	v_mad_i64_i32 v[9:10], null, s6, s5, v[1:2]
	;; [unrolled: 1-line block ×7, first 2 shown]
	s_clause 0x5
	global_load_b128 v[49:52], v[3:4], off
	global_load_b128 v[53:56], v[3:4], off offset:16
	global_load_b128 v[41:44], v[5:6], off
	global_load_b128 v[45:48], v[5:6], off offset:16
	global_load_b128 v[33:36], v[7:8], off
	global_load_b128 v[37:40], v[7:8], off offset:16
	s_mov_b32 s4, 0
	v_cmp_gt_i32_e64 s2, s17, v139
	v_mad_i64_i32 v[61:62], null, s10, s5, v[1:2]
	s_clause 0x9
	global_load_b128 v[1:4], v[9:10], off
	global_load_b128 v[5:8], v[9:10], off offset:16
	global_load_b128 v[9:12], v[13:14], off
	global_load_b128 v[13:16], v[13:14], off offset:16
	;; [unrolled: 2-line block ×5, first 2 shown]
	ds_load_b128 v[105:108], v117
	ds_load_b128 v[109:112], v117 offset:1024
	ds_load_b128 v[113:116], v117 offset:2048
	;; [unrolled: 1-line block ×3, first 2 shown]
	s_mov_b32 s11, s4
	s_mov_b32 s5, s4
	;; [unrolled: 1-line block ×7, first 2 shown]
	s_delay_alu instid0(SALU_CYCLE_1)
	v_dual_mov_b32 v128, s11 :: v_dual_mov_b32 v127, s10
	v_dual_mov_b32 v126, s9 :: v_dual_mov_b32 v125, s8
	;; [unrolled: 1-line block ×4, first 2 shown]
	v_cmp_gt_i32_e64 s3, s17, v140
	v_cmp_gt_i32_e64 s4, s17, v141
	v_cmp_gt_i32_e64 s5, s17, v142
	v_cmp_gt_i32_e64 s6, s17, v143
	v_cmp_gt_i32_e64 s7, s17, v144
	v_cmp_gt_i32_e64 s8, s17, v145
	v_cmp_gt_i32_e64 s9, s17, v146
	v_cmp_gt_i32_e64 s10, s17, v147
	s_waitcnt vmcnt(0) lgkmcnt(0)
	s_barrier
	buffer_gl0_inv
	v_wmma_f32_16x16x16_f16 v[129:136], v[73:80], v[105:112], v[121:128]
	v_wmma_f32_16x16x16_f16 v[121:128], v[81:88], v[105:112], v[121:128]
	v_or_b32_e32 v73, 20, v137
	v_or_b32_e32 v74, 22, v137
	s_delay_alu instid0(VALU_DEP_4)
	v_wmma_f32_16x16x16_f16 v[129:136], v[89:96], v[113:120], v[129:136]
	v_or_b32_e32 v75, 24, v137
	v_wmma_f32_16x16x16_f16 v[121:128], v[97:104], v[113:120], v[121:128]
	v_or_b32_e32 v76, 26, v137
	v_cmp_gt_i32_e64 s11, s17, v73
	v_dual_mul_f32 v85, s18, v130 :: v_dual_mul_f32 v86, s18, v129
	v_dual_mul_f32 v83, s18, v132 :: v_dual_mul_f32 v84, s18, v131
	;; [unrolled: 1-line block ×3, first 2 shown]
	s_delay_alu instid0(VALU_DEP_3) | instskip(NEXT) | instid1(VALU_DEP_4)
	v_cndmask_b32_e32 v86, 0xff7fffff, v86, vcc_lo
	v_cndmask_b32_e64 v85, 0xff7fffff, v85, s2
	v_mul_f32_e32 v82, s18, v133
	v_cndmask_b32_e64 v84, 0xff7fffff, v84, s3
	v_cndmask_b32_e64 v83, 0xff7fffff, v83, s4
	v_dual_mul_f32 v79, s18, v136 :: v_dual_mul_f32 v92, s18, v123
	v_max3_f32 v85, v86, 0xff7fffff, v85
	v_mul_f32_e32 v80, s18, v135
	v_cndmask_b32_e64 v82, 0xff7fffff, v82, s5
	v_cndmask_b32_e64 v81, 0xff7fffff, v81, s6
	v_mul_f32_e32 v93, s18, v122
	v_max3_f32 v83, v85, v84, v83
	v_cndmask_b32_e64 v80, 0xff7fffff, v80, s7
	v_cndmask_b32_e64 v79, 0xff7fffff, v79, s8
	v_mul_f32_e32 v91, s18, v124
	v_cmp_gt_i32_e64 s12, s17, v74
	v_max3_f32 v81, v83, v82, v81
	v_cndmask_b32_e64 v82, 0xff7fffff, v94, s9
	v_cndmask_b32_e64 v83, 0xff7fffff, v93, s10
	v_or_b32_e32 v77, 28, v137
	v_or_b32_e32 v78, 30, v137
	v_max3_f32 v79, v81, v80, v79
	v_dual_mul_f32 v89, s18, v126 :: v_dual_mul_f32 v90, s18, v125
	v_cndmask_b32_e64 v73, 0xff7fffff, v92, s11
	v_cndmask_b32_e64 v74, 0xff7fffff, v91, s12
	s_delay_alu instid0(VALU_DEP_4) | instskip(SKIP_3) | instid1(VALU_DEP_4)
	v_max3_f32 v79, v79, v82, v83
	v_cmp_gt_i32_e64 s13, s17, v75
	v_cmp_gt_i32_e64 s15, s17, v76
	v_dual_mul_f32 v87, s18, v128 :: v_dual_mul_f32 v88, s18, v127
	v_max3_f32 v73, v79, v73, v74
	s_delay_alu instid0(VALU_DEP_4) | instskip(NEXT) | instid1(VALU_DEP_4)
	v_cndmask_b32_e64 v75, 0xff7fffff, v90, s13
	v_cndmask_b32_e64 v76, 0xff7fffff, v89, s15
	v_cmp_gt_i32_e64 s16, s17, v77
	v_cmp_gt_i32_e64 s17, s17, v78
	s_delay_alu instid0(VALU_DEP_3) | instskip(NEXT) | instid1(VALU_DEP_3)
	v_max3_f32 v73, v73, v75, v76
	v_cndmask_b32_e64 v74, 0xff7fffff, v88, s16
	s_delay_alu instid0(VALU_DEP_3) | instskip(SKIP_1) | instid1(VALU_DEP_2)
	v_cndmask_b32_e64 v77, 0xff7fffff, v87, s17
	v_lshlrev_b32_e32 v75, 2, v138
	v_max3_f32 v73, v73, v74, v77
	ds_bpermute_b32 v74, v75, v73
	s_waitcnt lgkmcnt(0)
	v_max_f32_e32 v74, v74, v74
	s_delay_alu instid0(VALU_DEP_1) | instskip(NEXT) | instid1(VALU_DEP_1)
	v_max_f32_e32 v73, v73, v74
	v_fma_f32 v74, s18, v129, -v73
	v_fma_f32 v76, s18, v130, -v73
	;; [unrolled: 1-line block ×5, first 2 shown]
	v_mul_f32_e32 v74, 0x3fb8aa3b, v74
	v_mul_f32_e32 v76, 0x3fb8aa3b, v76
	v_fma_f32 v83, s18, v135, -v73
	v_mul_f32_e32 v78, 0x3fb8aa3b, v78
	v_mul_f32_e32 v80, 0x3fb8aa3b, v80
	v_exp_f32_e32 v74, v74
	v_exp_f32_e32 v76, v76
	v_mul_f32_e32 v83, 0x3fb8aa3b, v83
	v_exp_f32_e32 v82, v78
	v_exp_f32_e32 v84, v80
	s_delay_alu instid0(VALU_DEP_1) | instskip(SKIP_4) | instid1(TRANS32_DEP_3)
	v_exp_f32_e32 v85, v83
	v_cndmask_b32_e32 v79, 0, v74, vcc_lo
	v_fma_f32 v74, s18, v134, -v73
	v_mul_f32_e32 v77, 0x3fb8aa3b, v77
	v_cndmask_b32_e64 v78, 0, v76, s2
	v_cndmask_b32_e64 v80, 0, v82, s4
	v_add_f32_e32 v76, 0, v79
	v_mul_f32_e32 v74, 0x3fb8aa3b, v74
	v_exp_f32_e32 v77, v77
	v_fma_f32 v82, s18, v121, -v73
	v_cndmask_b32_e64 v83, 0, v84, s5
	v_add_f32_e32 v76, v76, v78
	v_exp_f32_e32 v74, v74
	s_mov_b32 s2, exec_lo
	v_mul_f32_e32 v86, 0x3fb8aa3b, v82
	v_cndmask_b32_e64 v85, 0, v85, s7
	s_delay_alu instid0(TRANS32_DEP_2) | instskip(SKIP_3) | instid1(VALU_DEP_1)
	v_cndmask_b32_e64 v81, 0, v77, s3
	s_waitcnt_depctr 0xfff
	v_cndmask_b32_e64 v82, 0, v74, s6
	v_add_f32_e32 v76, v76, v81
	v_add_f32_e32 v76, v76, v80
	s_delay_alu instid0(VALU_DEP_1) | instskip(SKIP_4) | instid1(VALU_DEP_4)
	v_add_f32_e32 v74, v76, v83
	v_fma_f32 v77, s18, v136, -v73
	v_fma_f32 v84, s18, v122, -v73
	;; [unrolled: 1-line block ×4, first 2 shown]
	v_dual_add_f32 v74, v74, v82 :: v_dual_mul_f32 v77, 0x3fb8aa3b, v77
	s_delay_alu instid0(VALU_DEP_4) | instskip(SKIP_1) | instid1(VALU_DEP_4)
	v_mul_f32_e32 v84, 0x3fb8aa3b, v84
	v_fma_f32 v92, s18, v128, -v73
	v_mul_f32_e32 v89, 0x3fb8aa3b, v87
	v_exp_f32_e32 v86, v86
	v_exp_f32_e32 v77, v77
	;; [unrolled: 1-line block ×3, first 2 shown]
	v_add_f32_e32 v74, v74, v85
	v_exp_f32_e32 v91, v89
	v_fma_f32 v90, s18, v126, -v73
	v_cndmask_b32_e64 v87, 0, v86, s9
	s_delay_alu instid0(TRANS32_DEP_3) | instskip(SKIP_2) | instid1(TRANS32_DEP_2)
	v_cndmask_b32_e64 v84, 0, v77, s8
	v_fma_f32 v77, s18, v125, -v73
	v_mul_f32_e32 v76, 0x3fb8aa3b, v76
	v_cndmask_b32_e64 v86, 0, v88, s10
	v_fma_f32 v88, s18, v127, -v73
	s_delay_alu instid0(VALU_DEP_4) | instskip(NEXT) | instid1(VALU_DEP_4)
	v_dual_mul_f32 v90, 0x3fb8aa3b, v90 :: v_dual_mul_f32 v77, 0x3fb8aa3b, v77
	v_exp_f32_e32 v76, v76
	s_delay_alu instid0(VALU_DEP_1) | instskip(NEXT) | instid1(VALU_DEP_1)
	v_exp_f32_e32 v90, v90
	v_exp_f32_e32 v77, v77
	s_delay_alu instid0(TRANS32_DEP_3)
	v_cndmask_b32_e64 v89, 0, v76, s11
	v_mul_f32_e32 v76, 0x3fb8aa3b, v88
	v_cndmask_b32_e64 v88, 0, v91, s12
	s_waitcnt_depctr 0xfff
	v_cndmask_b32_e64 v90, 0, v90, s15
	v_cndmask_b32_e64 v91, 0, v77, s13
	v_mul_f32_e32 v77, 0x3fb8aa3b, v92
	v_add_f32_e32 v74, v74, v84
	v_exp_f32_e32 v76, v76
	s_delay_alu instid0(VALU_DEP_2) | instskip(NEXT) | instid1(VALU_DEP_1)
	v_exp_f32_e32 v77, v77
	v_add_f32_e32 v74, v74, v87
	s_delay_alu instid0(VALU_DEP_1) | instskip(SKIP_4) | instid1(VALU_DEP_1)
	v_add_f32_e32 v74, v74, v86
	s_waitcnt_depctr 0xfff
	v_cndmask_b32_e64 v93, 0, v76, s16
	v_cndmask_b32_e64 v92, 0, v77, s17
	v_add_f32_e32 v74, v74, v89
	v_add_f32_e32 v74, v74, v88
	s_delay_alu instid0(VALU_DEP_1) | instskip(NEXT) | instid1(VALU_DEP_1)
	v_add_f32_e32 v74, v74, v91
	v_add_f32_e32 v74, v74, v90
	s_delay_alu instid0(VALU_DEP_1) | instskip(NEXT) | instid1(VALU_DEP_1)
	v_add_f32_e32 v74, v74, v93
	v_add_f32_e32 v74, v74, v92
	ds_bpermute_b32 v75, v75, v74
	v_cmpx_gt_u32_e32 16, v71
	s_cbranch_execz .LBB807_12
; %bb.11:
	v_mul_u32_u24_e32 v71, 0x44, v72
	s_waitcnt lgkmcnt(0)
	v_add_f32_e32 v74, v74, v75
	s_delay_alu instid0(VALU_DEP_2) | instskip(NEXT) | instid1(VALU_DEP_1)
	v_lshl_add_u32 v71, v70, 2, v71
	v_add_nc_u32_e32 v71, 0x4000, v71
	ds_store_2addr_b32 v71, v73, v74 offset1:136
.LBB807_12:
	s_or_b32 exec_lo, exec_lo, s2
	v_lshlrev_b32_e32 v71, 2, v70
	s_load_b32 s35, s[0:1], 0x94
	s_waitcnt lgkmcnt(0)
	s_barrier
	buffer_gl0_inv
	v_add_nc_u32_e32 v71, 0x4000, v71
	v_cmp_eq_u32_e32 vcc_lo, 1, v72
	v_cmp_eq_u32_e64 s2, 2, v72
	v_cmp_eq_u32_e64 s3, 3, v72
	v_cmp_eq_u32_e64 s4, 4, v72
	ds_load_2addr_b32 v[73:74], v71 offset1:17
	ds_load_2addr_b32 v[94:95], v71 offset0:34 offset1:51
	ds_load_2addr_b32 v[96:97], v71 offset0:68 offset1:85
	;; [unrolled: 1-line block ×3, first 2 shown]
	v_cmp_eq_u32_e64 s5, 5, v72
	v_cmp_eq_u32_e64 s6, 7, v72
	s_waitcnt lgkmcnt(3)
	v_max3_f32 v75, v73, 0xff7fffff, v74
	s_waitcnt lgkmcnt(2)
	s_delay_alu instid0(VALU_DEP_1) | instskip(SKIP_1) | instid1(VALU_DEP_1)
	v_max3_f32 v75, v75, v94, v95
	s_waitcnt lgkmcnt(1)
	v_max3_f32 v75, v75, v96, v97
	s_waitcnt lgkmcnt(0)
	s_delay_alu instid0(VALU_DEP_1) | instskip(NEXT) | instid1(VALU_DEP_1)
	v_max3_f32 v76, v75, v98, v99
	v_sub_f32_e32 v96, v96, v76
	ds_load_2addr_b32 v[100:101], v71 offset0:136 offset1:153
	v_sub_f32_e32 v73, v73, v76
	v_sub_f32_e32 v75, v74, v76
	v_sub_f32_e32 v94, v94, v76
	v_mul_f32_e32 v105, 0x3fb8aa3b, v96
	s_delay_alu instid0(VALU_DEP_4)
	v_mul_f32_e32 v77, 0x3fb8aa3b, v73
	ds_load_2addr_b32 v[73:74], v71 offset0:170 offset1:187
	v_mul_f32_e32 v103, 0x3fb8aa3b, v94
	v_exp_f32_e32 v102, v77
	v_sub_f32_e32 v77, v95, v76
	ds_load_2addr_b32 v[94:95], v71 offset0:204 offset1:221
	v_exp_f32_e32 v103, v103
	v_mul_f32_e32 v104, 0x3fb8aa3b, v77
	s_waitcnt lgkmcnt(2)
	v_fma_f32 v77, v102, v100, 0
	v_dual_sub_f32 v100, v97, v76 :: v_dual_mul_f32 v75, 0x3fb8aa3b, v75
	ds_load_2addr_b32 v[96:97], v71 offset0:238 offset1:255
	v_sub_f32_e32 v71, v98, v76
	v_exp_f32_e32 v104, v104
	v_mul_f32_e32 v98, 0x3fb8aa3b, v100
	v_exp_f32_e32 v75, v75
	v_exp_f32_e32 v100, v105
	v_mul_f32_e32 v71, 0x3fb8aa3b, v71
	s_waitcnt lgkmcnt(0)
	v_exp_f32_e32 v98, v98
	s_barrier
	buffer_gl0_inv
	v_fmac_f32_e32 v77, v75, v101
	s_delay_alu instid0(VALU_DEP_1) | instskip(SKIP_2) | instid1(VALU_DEP_2)
	v_fmac_f32_e32 v77, v103, v73
	v_sub_f32_e32 v73, v99, v76
	v_exp_f32_e32 v99, v71
	v_fmac_f32_e32 v77, v104, v74
	s_delay_alu instid0(VALU_DEP_2) | instskip(NEXT) | instid1(VALU_DEP_2)
	v_dual_mul_f32 v73, 0x3fb8aa3b, v73 :: v_dual_lshlrev_b32 v74, 6, v70
	v_dual_fmac_f32 v77, v100, v94 :: v_dual_lshlrev_b32 v70, 2, v69
	s_delay_alu instid0(VALU_DEP_2) | instskip(SKIP_1) | instid1(VALU_DEP_3)
	v_exp_f32_e32 v94, v73
	v_cndmask_b32_e32 v73, v102, v75, vcc_lo
	v_lshl_or_b32 v75, v72, 11, v74
	s_delay_alu instid0(VALU_DEP_3) | instskip(SKIP_1) | instid1(VALU_DEP_3)
	v_cmp_eq_u32_e64 s7, 7, v70
	v_fmac_f32_e32 v77, v98, v95
	v_lshl_or_b32 v69, v69, 4, v75
	s_delay_alu instid0(VALU_DEP_2)
	v_fmac_f32_e32 v77, v99, v96
	s_delay_alu instid0(TRANS32_DEP_1) | instid1(VALU_DEP_1)
	v_fmac_f32_e32 v77, v94, v97
	s_delay_alu instid0(VALU_DEP_1) | instskip(NEXT) | instid1(VALU_DEP_1)
	v_add_f32_e32 v95, 0x358637bd, v77
	v_div_scale_f32 v96, null, v95, v95, 1.0
	v_div_scale_f32 v101, vcc_lo, 1.0, v95, 1.0
	s_delay_alu instid0(VALU_DEP_2) | instskip(SKIP_2) | instid1(VALU_DEP_1)
	v_rcp_f32_e32 v97, v96
	s_waitcnt_depctr 0xfff
	v_fma_f32 v71, -v96, v97, 1.0
	v_fmac_f32_e32 v97, v71, v97
	v_cndmask_b32_e64 v71, v73, v103, s2
	v_cmp_eq_u32_e64 s2, 6, v72
	v_or_b32_e32 v73, 1, v70
	v_or_b32_e32 v72, 3, v70
	v_mul_f32_e32 v102, v101, v97
	v_cndmask_b32_e64 v71, v71, v104, s3
	v_cmp_eq_u32_e64 s3, 1, v70
	v_cmp_eq_u32_e64 s8, 1, v73
	;; [unrolled: 1-line block ×3, first 2 shown]
	v_fma_f32 v103, -v96, v102, v101
	v_cndmask_b32_e64 v100, v71, v100, s4
	v_or_b32_e32 v71, 2, v70
	v_cmp_eq_u32_e64 s4, 2, v70
	v_cmp_eq_u32_e64 s11, 2, v73
	v_fmac_f32_e32 v102, v103, v97
	v_cndmask_b32_e64 v98, v100, v98, s5
	v_cmp_eq_u32_e64 s9, 1, v71
	v_cmp_eq_u32_e64 s13, 2, v71
	;; [unrolled: 1-line block ×3, first 2 shown]
	v_fma_f32 v96, -v96, v102, v101
	v_cndmask_b32_e64 v98, v98, v99, s2
	v_cmp_eq_u32_e64 s12, 3, v73
	v_cmp_eq_u32_e64 s17, 3, v72
	v_cmp_eq_u32_e64 s2, 4, v70
	v_div_fmas_f32 v96, v96, v97, v102
	v_cndmask_b32_e64 v94, v98, v94, s6
	v_cmp_eq_u32_e32 vcc_lo, 3, v70
	v_cmp_eq_u32_e64 s16, 3, v71
	v_cmp_eq_u32_e64 s18, 4, v73
	v_div_fixup_f32 v95, v96, v95, 1.0
	v_cmp_eq_u32_e64 s21, 4, v72
	v_cmp_eq_u32_e64 s5, 5, v70
	;; [unrolled: 1-line block ×4, first 2 shown]
	v_mul_f32_e32 v102, v94, v95
	v_cmp_eq_u32_e64 s23, 5, v72
	v_cmp_eq_u32_e64 s22, 5, v71
	;; [unrolled: 1-line block ×4, first 2 shown]
	v_fma_mixlo_f16 v94, v102, v79, 0
	v_fma_mixlo_f16 v95, v102, v81, 0
	;; [unrolled: 1-line block ×8, first 2 shown]
	v_fma_mixhi_f16 v94, v102, v78, 0
	v_fma_mixhi_f16 v95, v102, v80, 0
	;; [unrolled: 1-line block ×8, first 2 shown]
	ds_store_b128 v69, v[94:97]
	ds_store_b128 v69, v[98:101] offset:1024
	s_waitcnt lgkmcnt(0)
	s_barrier
	buffer_gl0_inv
	ds_load_b128 v[78:81], v75
	ds_load_b128 v[82:85], v75 offset:16
	ds_load_b128 v[86:89], v75 offset:1024
	;; [unrolled: 1-line block ×3, first 2 shown]
	v_cmp_eq_u32_e64 s6, 6, v70
	v_cmp_eq_u32_e64 s25, 6, v71
	;; [unrolled: 1-line block ×5, first 2 shown]
	s_waitcnt lgkmcnt(3)
	v_lshrrev_b32_e32 v94, 16, v78
	s_waitcnt lgkmcnt(2)
	v_lshrrev_b32_e32 v98, 16, v82
	;; [unrolled: 2-line block ×4, first 2 shown]
	v_lshrrev_b32_e32 v95, 16, v79
	v_cndmask_b32_e64 v110, v78, v94, s3
	v_cndmask_b32_e64 v111, v82, v98, s3
	;; [unrolled: 1-line block ×8, first 2 shown]
	v_lshrrev_b32_e32 v99, 16, v83
	v_cndmask_b32_e64 v94, v86, v102, s3
	v_cndmask_b32_e64 v98, v90, v106, s3
	;; [unrolled: 1-line block ×15, first 2 shown]
	v_lshrrev_b32_e32 v103, 16, v87
	v_lshrrev_b32_e32 v107, 16, v91
	v_cndmask_b32_e64 v113, v115, v83, s13
	v_cndmask_b32_e64 v82, v94, v87, s4
	;; [unrolled: 1-line block ×7, first 2 shown]
	v_cndmask_b32_e32 v90, v102, v95, vcc_lo
	v_cndmask_b32_e32 v102, v106, v99, vcc_lo
	v_cndmask_b32_e64 v106, v110, v95, s12
	v_cndmask_b32_e64 v110, v111, v99, s12
	;; [unrolled: 1-line block ×4, first 2 shown]
	v_lshrrev_b32_e32 v96, 16, v80
	v_lshrrev_b32_e32 v100, 16, v84
	v_cndmask_b32_e64 v111, v112, v95, s16
	v_cndmask_b32_e64 v112, v113, v99, s16
	v_cndmask_b32_e32 v82, v82, v103, vcc_lo
	v_cndmask_b32_e32 v83, v83, v107, vcc_lo
	v_cndmask_b32_e64 v94, v94, v103, s12
	v_cndmask_b32_e64 v90, v90, v80, s2
	v_cndmask_b32_e64 v95, v102, v84, s2
	v_cndmask_b32_e64 v99, v106, v80, s18
	v_cndmask_b32_e64 v102, v110, v84, s18
	v_cndmask_b32_e64 v78, v78, v80, s21
	v_cndmask_b32_e64 v79, v79, v84, s21
	v_lshrrev_b32_e32 v104, 16, v88
	v_cndmask_b32_e64 v106, v111, v80, s20
	v_cndmask_b32_e64 v110, v112, v84, s20
	;; [unrolled: 1-line block ×11, first 2 shown]
	v_lshrrev_b32_e32 v97, 16, v81
	v_lshrrev_b32_e32 v101, 16, v85
	v_cndmask_b32_e64 v99, v106, v96, s22
	v_cndmask_b32_e64 v102, v110, v100, s22
	;; [unrolled: 1-line block ×7, first 2 shown]
	v_lshrrev_b32_e32 v105, 16, v89
	v_cndmask_b32_e64 v80, v80, v104, s5
	v_cndmask_b32_e64 v84, v84, v81, s6
	;; [unrolled: 1-line block ×16, first 2 shown]
	v_perm_b32 v81, v79, v78, 0x5040100
	v_perm_b32 v79, v95, v85, 0x5040100
	v_cndmask_b32_e64 v78, v119, v91, s13
	v_cndmask_b32_e64 v85, v117, v91, s11
	;; [unrolled: 1-line block ×3, first 2 shown]
	v_perm_b32 v80, v94, v90, 0x5040100
	v_cndmask_b32_e64 v90, v98, v103, s16
	v_cndmask_b32_e64 v86, v86, v103, s17
	;; [unrolled: 1-line block ×5, first 2 shown]
	v_lshrrev_b32_e32 v108, 16, v92
	v_cndmask_b32_e64 v90, v90, v88, s20
	v_cndmask_b32_e64 v86, v86, v88, s21
	;; [unrolled: 1-line block ×11, first 2 shown]
	v_lshrrev_b32_e32 v109, 16, v93
	v_cndmask_b32_e64 v82, v82, v93, s6
	v_cndmask_b32_e64 v88, v88, v89, s25
	v_cndmask_b32_e64 v86, v86, v89, s26
	v_cndmask_b32_e64 v87, v87, v93, s26
	v_cndmask_b32_e64 v78, v78, v93, s25
	v_cndmask_b32_e64 v85, v85, v93, s24
	v_cndmask_b32_e64 v88, v88, v105, s27
	v_cndmask_b32_e64 v86, v86, v105, s28
	v_cndmask_b32_e64 v87, v87, v109, s28
	v_cndmask_b32_e64 v89, v78, v109, s27
	v_cndmask_b32_e64 v90, v85, v109, s29
	v_cndmask_b32_e64 v82, v82, v109, s7
	v_perm_b32 v78, v84, v83, 0x5040100
	v_perm_b32 v85, v87, v86, 0x5040100
	;; [unrolled: 1-line block ×5, first 2 shown]
	s_lshl_b32 s7, s34, 1
	s_mov_b32 s2, exec_lo
	ds_store_b128 v69, v[78:81]
	ds_store_b128 v69, v[82:85] offset:1024
	v_cmpx_gt_u32_e32 2, v0
	s_cbranch_execz .LBB807_14
; %bb.13:
	v_or_b32_e32 v78, s33, v0
	s_load_b128 s[8:11], s[0:1], 0x58
	s_delay_alu instid0(VALU_DEP_1) | instskip(NEXT) | instid1(VALU_DEP_1)
	v_mad_u64_u32 v[79:80], null, s7, s30, v[78:79]
	v_mad_u64_u32 v[80:81], null, v79, s35, s[14:15]
	s_delay_alu instid0(VALU_DEP_1) | instskip(NEXT) | instid1(VALU_DEP_1)
	v_ashrrev_i32_e32 v81, 31, v80
	v_lshlrev_b64 v[78:79], 2, v[80:81]
	s_waitcnt lgkmcnt(0)
	s_delay_alu instid0(VALU_DEP_1) | instskip(NEXT) | instid1(VALU_DEP_2)
	v_add_co_u32 v80, vcc_lo, s10, v78
	v_add_co_ci_u32_e32 v81, vcc_lo, s11, v79, vcc_lo
	v_add_co_u32 v78, vcc_lo, s8, v78
	v_add_co_ci_u32_e32 v79, vcc_lo, s9, v79, vcc_lo
	global_store_b32 v[80:81], v76, off
	global_store_b32 v[78:79], v77, off
.LBB807_14:
	s_or_b32 exec_lo, exec_lo, s2
	s_waitcnt lgkmcnt(0)
	s_waitcnt_vscnt null, 0x0
	s_barrier
	buffer_gl0_inv
	ds_load_b128 v[84:87], v74
	ds_load_b128 v[88:91], v74 offset:16
	ds_load_b128 v[96:99], v74 offset:2064
	;; [unrolled: 1-line block ×5, first 2 shown]
	v_cmp_eq_u32_e32 vcc_lo, 1, v70
	v_mov_b32_e32 v76, 0
	ds_load_b128 v[112:115], v74 offset:6160
	ds_load_b128 v[108:111], v74 offset:6144
	;; [unrolled: 1-line block ×4, first 2 shown]
	v_cmp_eq_u32_e64 s3, 1, v71
	v_cmp_eq_u32_e64 s2, 1, v73
	;; [unrolled: 1-line block ×3, first 2 shown]
	v_mov_b32_e32 v77, v76
	v_mov_b32_e32 v78, v76
	;; [unrolled: 1-line block ×7, first 2 shown]
	v_cmp_eq_u32_e64 s5, 3, v73
	v_cmp_eq_u32_e64 s6, 7, v73
	s_waitcnt lgkmcnt(8)
	s_delay_alu instid0(VALU_DEP_3)
	v_wmma_f32_16x16x16_f16 v[76:83], v[49:56], v[84:91], v[76:83]
	ds_load_b128 v[53:56], v74 offset:10256
	ds_load_b128 v[49:52], v74 offset:10240
	s_waitcnt lgkmcnt(8)
	v_wmma_f32_16x16x16_f16 v[76:83], v[41:48], v[92:99], v[76:83]
	ds_load_b128 v[45:48], v74 offset:12304
	ds_load_b128 v[41:44], v74 offset:12288
	s_waitcnt lgkmcnt(8)
	;; [unrolled: 4-line block ×3, first 2 shown]
	s_barrier
	buffer_gl0_inv
	v_wmma_f32_16x16x16_f16 v[76:83], v[1:8], v[108:115], v[76:83]
	s_delay_alu instid0(VALU_DEP_1) | instskip(NEXT) | instid1(VALU_DEP_1)
	v_wmma_f32_16x16x16_f16 v[76:83], v[9:16], v[116:123], v[76:83]
	v_wmma_f32_16x16x16_f16 v[76:83], v[17:24], v[49:56], v[76:83]
	s_delay_alu instid0(VALU_DEP_1) | instskip(NEXT) | instid1(VALU_DEP_1)
	v_wmma_f32_16x16x16_f16 v[76:83], v[25:32], v[41:48], v[76:83]
	v_wmma_f32_16x16x16_f16 v[76:83], v[57:64], v[33:40], v[76:83]
	s_delay_alu instid0(VALU_DEP_1) | instskip(NEXT) | instid1(VALU_DEP_2)
	v_cvt_f16_f32_e32 v1, v76
	v_cvt_f16_f32_e32 v2, v77
	s_delay_alu instid0(VALU_DEP_3) | instskip(NEXT) | instid1(VALU_DEP_4)
	v_cvt_f16_f32_e32 v3, v78
	v_cvt_f16_f32_e32 v4, v79
	;; [unrolled: 1-line block ×6, first 2 shown]
	v_pack_b32_f16 v1, v1, v2
	v_pack_b32_f16 v2, v3, v4
	;; [unrolled: 1-line block ×3, first 2 shown]
	s_delay_alu instid0(VALU_DEP_4)
	v_pack_b32_f16 v4, v7, v8
	ds_store_b128 v69, v[1:4]
	s_waitcnt lgkmcnt(0)
	s_barrier
	buffer_gl0_inv
	ds_load_b128 v[1:4], v75
	ds_load_b128 v[5:8], v75 offset:16
	s_waitcnt lgkmcnt(1)
	v_lshrrev_b32_e32 v9, 16, v1
	s_waitcnt lgkmcnt(0)
	v_lshrrev_b32_e32 v13, 16, v5
	v_lshrrev_b32_e32 v10, 16, v2
	;; [unrolled: 1-line block ×4, first 2 shown]
	v_cndmask_b32_e32 v17, v1, v9, vcc_lo
	v_cndmask_b32_e32 v18, v5, v13, vcc_lo
	v_cndmask_b32_e64 v21, v1, v9, s3
	v_cmp_eq_u32_e32 vcc_lo, 1, v72
	v_cndmask_b32_e64 v22, v5, v13, s3
	v_cmp_eq_u32_e64 s3, 2, v70
	v_cndmask_b32_e64 v19, v1, v9, s2
	v_cndmask_b32_e64 v20, v5, v13, s2
	v_cndmask_b32_e32 v1, v1, v9, vcc_lo
	v_cmp_eq_u32_e64 s2, 2, v72
	v_cndmask_b32_e32 v5, v5, v13, vcc_lo
	v_cndmask_b32_e64 v9, v17, v2, s3
	v_cmp_eq_u32_e32 vcc_lo, 3, v70
	v_cndmask_b32_e64 v13, v18, v6, s3
	v_cmp_eq_u32_e64 s3, 2, v71
	v_cndmask_b32_e64 v17, v19, v2, s4
	v_cndmask_b32_e64 v18, v20, v6, s4
	v_cmp_eq_u32_e64 s4, 3, v71
	v_cndmask_b32_e64 v1, v1, v2, s2
	v_cndmask_b32_e64 v19, v21, v2, s3
	;; [unrolled: 1-line block ×4, first 2 shown]
	v_cndmask_b32_e32 v5, v9, v10, vcc_lo
	v_cndmask_b32_e32 v6, v13, v14, vcc_lo
	v_cmp_eq_u32_e32 vcc_lo, 3, v72
	v_cndmask_b32_e64 v9, v17, v10, s5
	v_cndmask_b32_e64 v13, v18, v14, s5
	;; [unrolled: 1-line block ×3, first 2 shown]
	v_cmp_eq_u32_e64 s3, 4, v70
	v_cndmask_b32_e32 v1, v1, v10, vcc_lo
	v_cndmask_b32_e32 v2, v2, v14, vcc_lo
	v_cmp_eq_u32_e32 vcc_lo, 4, v73
	v_lshrrev_b32_e32 v15, 16, v7
	v_lshrrev_b32_e32 v16, 16, v8
	v_cndmask_b32_e64 v17, v19, v10, s4
	v_cmp_eq_u32_e64 s2, 4, v72
	v_cndmask_b32_e64 v5, v5, v3, s3
	v_cndmask_b32_e64 v6, v6, v7, s3
	v_cndmask_b32_e32 v9, v9, v3, vcc_lo
	v_cmp_eq_u32_e64 s3, 5, v73
	v_cndmask_b32_e32 v10, v13, v7, vcc_lo
	v_cmp_eq_u32_e32 vcc_lo, 4, v71
	v_cmp_eq_u32_e64 s4, 5, v70
	v_cndmask_b32_e64 v2, v2, v7, s2
	v_cndmask_b32_e64 v9, v9, v11, s3
	;; [unrolled: 1-line block ×3, first 2 shown]
	v_cndmask_b32_e32 v13, v17, v3, vcc_lo
	v_cmp_eq_u32_e64 s3, 5, v71
	v_cndmask_b32_e32 v14, v18, v7, vcc_lo
	v_cndmask_b32_e64 v1, v1, v3, s2
	v_cmp_eq_u32_e32 vcc_lo, 5, v72
	v_lshrrev_b32_e32 v12, 16, v4
	v_cndmask_b32_e64 v13, v13, v11, s3
	v_cndmask_b32_e64 v3, v14, v15, s3
	v_cmp_eq_u32_e64 s3, 6, v72
	v_cndmask_b32_e32 v1, v1, v11, vcc_lo
	v_cndmask_b32_e64 v5, v5, v11, s4
	v_cmp_eq_u32_e64 s5, 6, v70
	v_cndmask_b32_e64 v6, v6, v15, s4
	v_cmp_eq_u32_e64 s4, 6, v73
	v_cmp_eq_u32_e64 s2, 6, v71
	v_cndmask_b32_e64 v1, v1, v4, s3
	v_cndmask_b32_e32 v2, v2, v15, vcc_lo
	v_cmp_eq_u32_e32 vcc_lo, 7, v72
	v_cndmask_b32_e64 v5, v5, v4, s5
	v_cndmask_b32_e64 v9, v9, v4, s4
	;; [unrolled: 1-line block ×3, first 2 shown]
	v_cmp_eq_u32_e64 s5, 7, v70
	v_cndmask_b32_e32 v1, v1, v12, vcc_lo
	v_cndmask_b32_e64 v7, v13, v4, s2
	v_cndmask_b32_e64 v3, v3, v8, s2
	v_cndmask_b32_e64 v2, v2, v8, s3
	v_cmp_eq_u32_e64 s2, 7, v71
	v_cndmask_b32_e64 v4, v10, v8, s4
	v_cndmask_b32_e64 v5, v5, v12, s5
	;; [unrolled: 1-line block ×3, first 2 shown]
	v_cndmask_b32_e32 v2, v2, v16, vcc_lo
	v_cndmask_b32_e64 v7, v7, v12, s2
	v_cndmask_b32_e64 v3, v3, v16, s2
	;; [unrolled: 1-line block ×4, first 2 shown]
	v_perm_b32 v4, v2, v1, 0x5040100
	s_delay_alu instid0(VALU_DEP_4) | instskip(NEXT) | instid1(VALU_DEP_4)
	v_perm_b32 v3, v3, v7, 0x5040100
	v_perm_b32 v2, v8, v9, 0x5040100
	s_delay_alu instid0(VALU_DEP_4)
	v_perm_b32 v1, v6, v5, 0x5040100
	ds_store_b128 v69, v[1:4]
	s_waitcnt lgkmcnt(0)
	s_barrier
	buffer_gl0_inv
	s_and_saveexec_b32 s2, s31
	s_cbranch_execz .LBB807_2
; %bb.15:
	s_load_b64 s[0:1], s[0:1], 0x68
	v_lshlrev_b32_e32 v0, 10, v0
	s_lshl_b32 s2, s35, 6
	v_lshlrev_b32_e32 v1, 4, v68
	v_mul_lo_u32 v4, s2, v67
	s_mul_i32 s3, s2, s30
	v_and_b32_e32 v0, 0x3800, v0
	s_mul_i32 s2, s3, s7
	s_delay_alu instid0(SALU_CYCLE_1) | instskip(NEXT) | instid1(VALU_DEP_1)
	s_ashr_i32 s3, s2, 31
	v_or3_b32 v0, v0, v66, v1
	s_lshl_b64 s[2:3], s[2:3], 1
	s_delay_alu instid0(VALU_DEP_3)
	v_ashrrev_i32_e32 v5, 31, v4
	ds_load_b128 v[0:3], v0
	v_lshlrev_b64 v[4:5], 1, v[4:5]
	s_waitcnt lgkmcnt(0)
	s_add_u32 s2, s0, s2
	s_addc_u32 s3, s1, s3
	s_lshl_b32 s0, s14, 6
	s_delay_alu instid0(SALU_CYCLE_1) | instskip(NEXT) | instid1(SALU_CYCLE_1)
	s_ashr_i32 s1, s0, 31
	s_lshl_b64 s[0:1], s[0:1], 1
	s_delay_alu instid0(SALU_CYCLE_1) | instskip(SKIP_3) | instid1(VALU_DEP_2)
	s_add_u32 s0, s2, s0
	s_addc_u32 s1, s3, s1
	v_add_co_u32 v4, vcc_lo, s0, v4
	v_add_co_ci_u32_e32 v5, vcc_lo, s1, v5, vcc_lo
	v_add_co_u32 v4, vcc_lo, v4, v65
	s_delay_alu instid0(VALU_DEP_2)
	v_add_co_ci_u32_e32 v5, vcc_lo, 0, v5, vcc_lo
	global_store_b128 v[4:5], v[0:3], off
	s_nop 0
	s_sendmsg sendmsg(MSG_DEALLOC_VGPRS)
	s_endpgm
	.section	.rodata,"a",@progbits
	.p2align	6, 0x0
	.amdhsa_kernel _Z39paged_attention_ll4mi_QKV_mfma16_kernelIDF16_hLN4vllm18Fp8KVCacheDataTypeE1EhLi16ELi64ELi256ELb0ELi2EL8MFMAType1EEvPKT_PKT0_S8_ifPKiSA_SA_iPKfiiiPfSD_PS3_PT2_iSC_SC_
		.amdhsa_group_segment_fixed_size 17472
		.amdhsa_private_segment_fixed_size 0
		.amdhsa_kernarg_size 400
		.amdhsa_user_sgpr_count 13
		.amdhsa_user_sgpr_dispatch_ptr 0
		.amdhsa_user_sgpr_queue_ptr 0
		.amdhsa_user_sgpr_kernarg_segment_ptr 1
		.amdhsa_user_sgpr_dispatch_id 0
		.amdhsa_user_sgpr_private_segment_size 0
		.amdhsa_wavefront_size32 1
		.amdhsa_uses_dynamic_stack 0
		.amdhsa_enable_private_segment 0
		.amdhsa_system_sgpr_workgroup_id_x 1
		.amdhsa_system_sgpr_workgroup_id_y 1
		.amdhsa_system_sgpr_workgroup_id_z 1
		.amdhsa_system_sgpr_workgroup_info 0
		.amdhsa_system_vgpr_workitem_id 0
		.amdhsa_next_free_vgpr 148
		.amdhsa_next_free_sgpr 36
		.amdhsa_reserve_vcc 1
		.amdhsa_float_round_mode_32 0
		.amdhsa_float_round_mode_16_64 0
		.amdhsa_float_denorm_mode_32 3
		.amdhsa_float_denorm_mode_16_64 3
		.amdhsa_dx10_clamp 1
		.amdhsa_ieee_mode 1
		.amdhsa_fp16_overflow 0
		.amdhsa_workgroup_processor_mode 1
		.amdhsa_memory_ordered 1
		.amdhsa_forward_progress 0
		.amdhsa_shared_vgpr_count 0
		.amdhsa_exception_fp_ieee_invalid_op 0
		.amdhsa_exception_fp_denorm_src 0
		.amdhsa_exception_fp_ieee_div_zero 0
		.amdhsa_exception_fp_ieee_overflow 0
		.amdhsa_exception_fp_ieee_underflow 0
		.amdhsa_exception_fp_ieee_inexact 0
		.amdhsa_exception_int_div_zero 0
	.end_amdhsa_kernel
	.section	.text._Z39paged_attention_ll4mi_QKV_mfma16_kernelIDF16_hLN4vllm18Fp8KVCacheDataTypeE1EhLi16ELi64ELi256ELb0ELi2EL8MFMAType1EEvPKT_PKT0_S8_ifPKiSA_SA_iPKfiiiPfSD_PS3_PT2_iSC_SC_,"axG",@progbits,_Z39paged_attention_ll4mi_QKV_mfma16_kernelIDF16_hLN4vllm18Fp8KVCacheDataTypeE1EhLi16ELi64ELi256ELb0ELi2EL8MFMAType1EEvPKT_PKT0_S8_ifPKiSA_SA_iPKfiiiPfSD_PS3_PT2_iSC_SC_,comdat
.Lfunc_end807:
	.size	_Z39paged_attention_ll4mi_QKV_mfma16_kernelIDF16_hLN4vllm18Fp8KVCacheDataTypeE1EhLi16ELi64ELi256ELb0ELi2EL8MFMAType1EEvPKT_PKT0_S8_ifPKiSA_SA_iPKfiiiPfSD_PS3_PT2_iSC_SC_, .Lfunc_end807-_Z39paged_attention_ll4mi_QKV_mfma16_kernelIDF16_hLN4vllm18Fp8KVCacheDataTypeE1EhLi16ELi64ELi256ELb0ELi2EL8MFMAType1EEvPKT_PKT0_S8_ifPKiSA_SA_iPKfiiiPfSD_PS3_PT2_iSC_SC_
                                        ; -- End function
	.section	.AMDGPU.csdata,"",@progbits
; Kernel info:
; codeLenInByte = 6240
; NumSgprs: 38
; NumVgprs: 148
; ScratchSize: 0
; MemoryBound: 0
; FloatMode: 240
; IeeeMode: 1
; LDSByteSize: 17472 bytes/workgroup (compile time only)
; SGPRBlocks: 4
; VGPRBlocks: 18
; NumSGPRsForWavesPerEU: 38
; NumVGPRsForWavesPerEU: 148
; Occupancy: 9
; WaveLimiterHint : 1
; COMPUTE_PGM_RSRC2:SCRATCH_EN: 0
; COMPUTE_PGM_RSRC2:USER_SGPR: 13
; COMPUTE_PGM_RSRC2:TRAP_HANDLER: 0
; COMPUTE_PGM_RSRC2:TGID_X_EN: 1
; COMPUTE_PGM_RSRC2:TGID_Y_EN: 1
; COMPUTE_PGM_RSRC2:TGID_Z_EN: 1
; COMPUTE_PGM_RSRC2:TIDIG_COMP_CNT: 0
	.section	.text._Z39paged_attention_ll4mi_QKV_mfma16_kernelIDF16_hLN4vllm18Fp8KVCacheDataTypeE1EhLi16ELi64ELi256ELb0ELi3EL8MFMAType1EEvPKT_PKT0_S8_ifPKiSA_SA_iPKfiiiPfSD_PS3_PT2_iSC_SC_,"axG",@progbits,_Z39paged_attention_ll4mi_QKV_mfma16_kernelIDF16_hLN4vllm18Fp8KVCacheDataTypeE1EhLi16ELi64ELi256ELb0ELi3EL8MFMAType1EEvPKT_PKT0_S8_ifPKiSA_SA_iPKfiiiPfSD_PS3_PT2_iSC_SC_,comdat
	.protected	_Z39paged_attention_ll4mi_QKV_mfma16_kernelIDF16_hLN4vllm18Fp8KVCacheDataTypeE1EhLi16ELi64ELi256ELb0ELi3EL8MFMAType1EEvPKT_PKT0_S8_ifPKiSA_SA_iPKfiiiPfSD_PS3_PT2_iSC_SC_ ; -- Begin function _Z39paged_attention_ll4mi_QKV_mfma16_kernelIDF16_hLN4vllm18Fp8KVCacheDataTypeE1EhLi16ELi64ELi256ELb0ELi3EL8MFMAType1EEvPKT_PKT0_S8_ifPKiSA_SA_iPKfiiiPfSD_PS3_PT2_iSC_SC_
	.globl	_Z39paged_attention_ll4mi_QKV_mfma16_kernelIDF16_hLN4vllm18Fp8KVCacheDataTypeE1EhLi16ELi64ELi256ELb0ELi3EL8MFMAType1EEvPKT_PKT0_S8_ifPKiSA_SA_iPKfiiiPfSD_PS3_PT2_iSC_SC_
	.p2align	8
	.type	_Z39paged_attention_ll4mi_QKV_mfma16_kernelIDF16_hLN4vllm18Fp8KVCacheDataTypeE1EhLi16ELi64ELi256ELb0ELi3EL8MFMAType1EEvPKT_PKT0_S8_ifPKiSA_SA_iPKfiiiPfSD_PS3_PT2_iSC_SC_,@function
_Z39paged_attention_ll4mi_QKV_mfma16_kernelIDF16_hLN4vllm18Fp8KVCacheDataTypeE1EhLi16ELi64ELi256ELb0ELi3EL8MFMAType1EEvPKT_PKT0_S8_ifPKiSA_SA_iPKfiiiPfSD_PS3_PT2_iSC_SC_: ; @_Z39paged_attention_ll4mi_QKV_mfma16_kernelIDF16_hLN4vllm18Fp8KVCacheDataTypeE1EhLi16ELi64ELi256ELb0ELi3EL8MFMAType1EEvPKT_PKT0_S8_ifPKiSA_SA_iPKfiiiPfSD_PS3_PT2_iSC_SC_
; %bb.0:
	s_load_b64 s[2:3], s[0:1], 0x30
	s_mov_b32 s34, s13
	s_waitcnt lgkmcnt(0)
	s_cmp_lg_u64 s[2:3], 0
	s_cselect_b32 s6, -1, 0
	s_ashr_i32 s35, s13, 31
	s_cmp_eq_u64 s[2:3], 0
	s_cbranch_scc1 .LBB808_3
; %bb.1:
	s_lshl_b64 s[4:5], s[34:35], 2
	s_delay_alu instid0(SALU_CYCLE_1) | instskip(SKIP_4) | instid1(SALU_CYCLE_1)
	s_add_u32 s4, s2, s4
	s_addc_u32 s5, s3, s5
	s_load_b64 s[4:5], s[4:5], 0x0
	s_waitcnt lgkmcnt(0)
	s_sub_i32 s4, s5, s4
	s_cmp_eq_u32 s4, 1
	s_cselect_b32 s4, -1, 0
	s_delay_alu instid0(SALU_CYCLE_1)
	s_and_not1_b32 vcc_lo, exec_lo, s4
	s_cbranch_vccz .LBB808_4
.LBB808_2:
	s_nop 0
	s_sendmsg sendmsg(MSG_DEALLOC_VGPRS)
	s_endpgm
.LBB808_3:
.LBB808_4:
	s_load_b64 s[8:9], s[0:1], 0x28
	s_lshl_b64 s[4:5], s[34:35], 2
	s_waitcnt lgkmcnt(0)
	s_add_u32 s8, s8, s4
	s_addc_u32 s9, s9, s5
	s_lshl_b32 s16, s14, 8
	s_load_b32 s18, s[8:9], 0x0
	s_waitcnt lgkmcnt(0)
	s_cmp_ge_i32 s16, s18
	s_cbranch_scc1 .LBB808_2
; %bb.5:
	s_clause 0x1
	s_load_b128 s[8:11], s[0:1], 0x8
	s_load_b64 s[12:13], s[0:1], 0x20
	s_and_not1_b32 vcc_lo, exec_lo, s6
	s_cbranch_vccnz .LBB808_7
; %bb.6:
	s_add_u32 s2, s2, s4
	s_addc_u32 s3, s3, s5
	s_load_b32 s3, s[2:3], 0x0
	s_branch .LBB808_8
.LBB808_7:
	s_mov_b32 s3, s34
.LBB808_8:
	s_load_b128 s[4:7], s[0:1], 0x48
	v_lshrrev_b32_e32 v69, 5, v0
	v_bfe_u32 v66, v0, 4, 1
	v_and_b32_e32 v68, 15, v0
	v_and_b32_e32 v70, 31, v0
	;; [unrolled: 1-line block ×3, first 2 shown]
	s_mul_i32 s33, s15, 3
	v_lshl_or_b32 v1, v69, 1, v66
	v_lshlrev_b32_e32 v2, 3, v68
	v_cmp_gt_u32_e64 s2, 8, v68
	s_delay_alu instid0(VALU_DEP_3) | instskip(NEXT) | instid1(VALU_DEP_3)
	v_cmp_gt_u32_e32 vcc_lo, 3, v1
	v_lshlrev_b32_e32 v65, 1, v2
	s_delay_alu instid0(VALU_DEP_3)
	s_and_b32 s17, s2, vcc_lo
	s_waitcnt lgkmcnt(0)
	s_and_saveexec_b32 s7, s17
	s_cbranch_execz .LBB808_10
; %bb.9:
	s_load_b64 s[20:21], s[0:1], 0x0
	v_add_lshl_u32 v2, v1, s33, 6
	s_mul_hi_i32 s23, s3, s4
	s_mul_i32 s22, s3, s4
	v_lshlrev_b32_e32 v6, 10, v68
	s_lshl_b64 s[22:23], s[22:23], 1
	v_ashrrev_i32_e32 v3, 31, v2
	v_lshlrev_b32_e32 v1, 6, v1
	v_lshlrev_b32_e32 v7, 10, v67
	v_and_b32_e32 v6, 0x3800, v6
	s_delay_alu instid0(VALU_DEP_4) | instskip(NEXT) | instid1(VALU_DEP_2)
	v_lshlrev_b64 v[2:3], 1, v[2:3]
	v_or3_b32 v1, v6, v7, v1
	s_waitcnt lgkmcnt(0)
	s_add_u32 s3, s20, s22
	s_addc_u32 s4, s21, s23
	s_delay_alu instid0(VALU_DEP_2) | instskip(SKIP_1) | instid1(VALU_DEP_2)
	v_add_co_u32 v2, vcc_lo, s3, v2
	v_add_co_ci_u32_e32 v3, vcc_lo, s4, v3, vcc_lo
	v_add_co_u32 v2, vcc_lo, v2, v65
	s_delay_alu instid0(VALU_DEP_2)
	v_add_co_ci_u32_e32 v3, vcc_lo, 0, v3, vcc_lo
	global_load_b128 v[2:5], v[2:3], off
	s_waitcnt vmcnt(0)
	ds_store_b128 v1, v[2:5]
.LBB808_10:
	s_or_b32 exec_lo, exec_lo, s7
	v_and_b32_e32 v1, 0xef, v0
	s_add_i32 s3, s18, 15
	s_clause 0x1
	s_load_b32 s4, s[0:1], 0x38
	s_load_b32 s35, s[0:1], 0x98
	s_ashr_i32 s7, s3, 31
	v_add_nc_u32_e32 v1, s16, v1
	s_lshr_b32 s7, s7, 28
	s_load_b32 s19, s[0:1], 0x1c
	s_add_i32 s3, s3, s7
	s_waitcnt lgkmcnt(0)
	v_ashrrev_i32_e32 v2, 31, v1
	v_or_b32_e32 v3, 16, v1
	s_ashr_i32 s3, s3, 4
	v_cmp_gt_i32_e32 vcc_lo, s18, v1
	s_add_i32 s3, s3, -1
	v_lshrrev_b32_e32 v2, 28, v2
	s_barrier
	buffer_gl0_inv
	s_mul_i32 s15, s15, s6
	v_mul_lo_u16 v103, 0x56, v68
	v_add_nc_u32_e32 v4, v1, v2
	v_mbcnt_lo_u32_b32 v127, -1, 0
	s_mul_i32 s20, s34, s4
	s_delay_alu instid0(SALU_CYCLE_1) | instskip(NEXT) | instid1(VALU_DEP_2)
	s_ashr_i32 s21, s20, 31
	v_ashrrev_i32_e32 v4, 4, v4
	v_add_nc_u32_e32 v2, v3, v2
	s_lshl_b64 s[20:21], s[20:21], 2
	v_lshrrev_b16 v103, 8, v103
	s_add_u32 s17, s12, s20
	v_cndmask_b32_e32 v1, s3, v4, vcc_lo
	v_ashrrev_i32_e32 v2, 4, v2
	v_cmp_gt_i32_e32 vcc_lo, s18, v3
	s_addc_u32 s13, s13, s21
	s_ashr_i32 s20, s15, 31
	s_add_u32 s4, s8, s15
	s_addc_u32 s12, s9, s20
	v_cndmask_b32_e32 v3, s3, v2, vcc_lo
	v_ashrrev_i32_e32 v2, 31, v1
	s_lshl_b32 s6, s14, 4
	v_mul_lo_u16 v103, v103, 3
	s_ashr_i32 s7, s6, 31
	v_ashrrev_i32_e32 v4, 31, v3
	v_lshlrev_b64 v[1:2], 2, v[1:2]
	s_lshl_b64 s[6:7], s[6:7], 2
	v_sub_nc_u16 v103, v68, v103
	s_add_u32 s6, s17, s6
	v_lshlrev_b64 v[3:4], 2, v[3:4]
	s_addc_u32 s7, s13, s7
	v_add_co_u32 v1, vcc_lo, s17, v1
	v_add_co_ci_u32_e32 v2, vcc_lo, s13, v2, vcc_lo
	s_delay_alu instid0(VALU_DEP_3) | instskip(NEXT) | instid1(VALU_DEP_4)
	v_add_co_u32 v3, vcc_lo, s17, v3
	v_add_co_ci_u32_e32 v4, vcc_lo, s13, v4, vcc_lo
	s_clause 0x1
	global_load_b32 v5, v[1:2], off
	global_load_b32 v7, v[3:4], off
	s_or_b32 s8, s16, 32
	v_lshlrev_b32_e32 v1, 4, v0
	s_ashr_i32 s9, s8, 4
	s_cmp_lt_i32 s8, s18
	v_xor_b32_e32 v128, 16, v127
	s_cselect_b32 s8, s9, s3
	v_and_b32_e32 v1, 0xf0, v1
	s_ashr_i32 s9, s8, 31
	s_delay_alu instid0(SALU_CYCLE_1)
	s_lshl_b64 s[8:9], s[8:9], 2
	v_cmp_gt_i32_e32 vcc_lo, 32, v128
	s_add_u32 s8, s17, s8
	s_addc_u32 s9, s13, s9
	s_or_b32 s21, s16, 64
	v_add_co_u32 v1, s4, s4, v1
	s_ashr_i32 s22, s21, 4
	s_cmp_lt_i32 s21, s18
	v_add_co_ci_u32_e64 v2, null, s12, 0, s4
	s_cselect_b32 s22, s22, s3
	v_dual_cndmask_b32 v136, v127, v128 :: v_dual_and_b32 v103, 0xff, v103
	s_ashr_i32 s23, s22, 31
	s_delay_alu instid0(SALU_CYCLE_1) | instskip(NEXT) | instid1(VALU_DEP_1)
	s_lshl_b64 s[22:23], s[22:23], 2
	v_lshlrev_b32_e32 v115, 6, v103
	s_add_u32 s22, s17, s22
	s_addc_u32 s23, s13, s23
	s_or_b32 s21, s16, 0x60
	s_delay_alu instid0(SALU_CYCLE_1) | instskip(SKIP_2) | instid1(SALU_CYCLE_1)
	s_ashr_i32 s24, s21, 4
	s_cmp_lt_i32 s21, s18
	s_cselect_b32 s24, s24, s3
	s_ashr_i32 s25, s24, 31
	s_delay_alu instid0(SALU_CYCLE_1) | instskip(NEXT) | instid1(SALU_CYCLE_1)
	s_lshl_b64 s[24:25], s[24:25], 2
	s_add_u32 s24, s17, s24
	s_addc_u32 s25, s13, s25
	s_or_b32 s21, s16, 0x80
	s_delay_alu instid0(SALU_CYCLE_1) | instskip(SKIP_2) | instid1(SALU_CYCLE_1)
	s_ashr_i32 s26, s21, 4
	s_cmp_lt_i32 s21, s18
	s_cselect_b32 s26, s26, s3
	s_ashr_i32 s27, s26, 31
	s_delay_alu instid0(SALU_CYCLE_1) | instskip(NEXT) | instid1(SALU_CYCLE_1)
	s_lshl_b64 s[26:27], s[26:27], 2
	;; [unrolled: 10-line block ×3, first 2 shown]
	s_add_u32 s28, s17, s28
	s_addc_u32 s29, s13, s29
	s_clause 0x5
	s_load_b32 s12, s[6:7], 0x0
	s_load_b32 s4, s[8:9], 0x0
	;; [unrolled: 1-line block ×6, first 2 shown]
	s_or_b32 s21, s16, 0xc0
	s_delay_alu instid0(SALU_CYCLE_1) | instskip(SKIP_2) | instid1(SALU_CYCLE_1)
	s_ashr_i32 s22, s21, 4
	s_cmp_lt_i32 s21, s18
	s_cselect_b32 s22, s22, s3
	s_ashr_i32 s23, s22, 31
	s_delay_alu instid0(SALU_CYCLE_1) | instskip(NEXT) | instid1(SALU_CYCLE_1)
	s_lshl_b64 s[22:23], s[22:23], 2
	s_add_u32 s22, s17, s22
	s_addc_u32 s23, s13, s23
	s_or_b32 s21, s16, 0xe0
	s_delay_alu instid0(SALU_CYCLE_1) | instskip(SKIP_2) | instid1(SALU_CYCLE_1)
	s_ashr_i32 s24, s21, 4
	s_cmp_lt_i32 s21, s18
	s_cselect_b32 s24, s24, s3
	s_ashr_i32 s25, s24, 31
	s_delay_alu instid0(SALU_CYCLE_1)
	s_lshl_b64 s[24:25], s[24:25], 2
	s_waitcnt vmcnt(1)
	v_mad_i64_i32 v[3:4], null, v5, s5, v[1:2]
	s_waitcnt vmcnt(0)
	v_mad_i64_i32 v[5:6], null, v7, s5, v[1:2]
	v_lshlrev_b32_e32 v1, 4, v68
	s_clause 0x7
	global_load_b128 v[71:74], v[3:4], off
	global_load_b128 v[75:78], v[3:4], off offset:256
	global_load_b128 v[79:82], v[5:6], off
	global_load_b128 v[83:86], v[5:6], off offset:256
	global_load_b128 v[87:90], v[3:4], off offset:512
	;; [unrolled: 1-line block ×5, first 2 shown]
	v_lshl_or_b32 v1, v69, 8, v1
	s_load_b32 s3, s[22:23], 0x0
	s_add_u32 s22, s17, s24
	s_addc_u32 s23, s13, s25
	s_add_u32 s10, s10, s15
	s_addc_u32 s11, s11, s20
	v_add_co_u32 v1, s10, s10, v1
	s_delay_alu instid0(VALU_DEP_1) | instskip(SKIP_2) | instid1(VALU_DEP_1)
	v_add_co_ci_u32_e64 v2, null, s11, 0, s10
	s_load_b32 s10, s[22:23], 0x0
	s_waitcnt lgkmcnt(0)
	v_mad_i64_i32 v[3:4], null, s12, s5, v[1:2]
	v_mad_i64_i32 v[9:10], null, s7, s5, v[1:2]
	;; [unrolled: 1-line block ×7, first 2 shown]
	s_clause 0x5
	global_load_b128 v[49:52], v[3:4], off
	global_load_b128 v[53:56], v[3:4], off offset:16
	global_load_b128 v[41:44], v[5:6], off
	global_load_b128 v[45:48], v[5:6], off offset:16
	;; [unrolled: 2-line block ×3, first 2 shown]
	s_mov_b32 s4, 0
	v_mad_i64_i32 v[61:62], null, s10, s5, v[1:2]
	s_clause 0x9
	global_load_b128 v[1:4], v[9:10], off
	global_load_b128 v[5:8], v[9:10], off offset:16
	global_load_b128 v[9:12], v[13:14], off
	global_load_b128 v[13:16], v[13:14], off offset:16
	;; [unrolled: 2-line block ×5, first 2 shown]
	s_mov_b32 s5, s4
	s_mov_b32 s6, s4
	;; [unrolled: 1-line block ×7, first 2 shown]
	v_and_b32_e32 v104, 0xe0, v0
	v_dual_mov_b32 v126, s11 :: v_dual_mov_b32 v123, s8
	v_dual_mov_b32 v125, s10 :: v_dual_mov_b32 v124, s9
	s_delay_alu instid0(VALU_DEP_3)
	v_add_nc_u32_e32 v111, s16, v104
	ds_load_b128 v[103:106], v115
	ds_load_b128 v[107:110], v115 offset:1024
	v_dual_mov_b32 v122, s7 :: v_dual_mov_b32 v121, s6
	v_mov_b32_e32 v120, s5
	v_or_b32_e32 v135, v111, v66
	ds_load_b128 v[111:114], v115 offset:2048
	ds_load_b128 v[115:118], v115 offset:3072
	v_mov_b32_e32 v119, s4
	s_waitcnt vmcnt(0) lgkmcnt(0)
	s_barrier
	v_or_b32_e32 v137, 2, v135
	v_or_b32_e32 v138, 4, v135
	;; [unrolled: 1-line block ×3, first 2 shown]
	v_cmp_gt_i32_e32 vcc_lo, s18, v135
	v_or_b32_e32 v140, 8, v135
	v_cmp_gt_i32_e64 s3, s18, v137
	v_or_b32_e32 v141, 10, v135
	v_cmp_gt_i32_e64 s4, s18, v138
	v_cmp_gt_i32_e64 s5, s18, v139
	v_or_b32_e32 v142, 12, v135
	v_or_b32_e32 v143, 14, v135
	v_cmp_gt_i32_e64 s6, s18, v140
	v_cmp_gt_i32_e64 s7, s18, v141
	v_or_b32_e32 v144, 16, v135
	v_or_b32_e32 v145, 18, v135
	v_cmp_gt_i32_e64 s8, s18, v142
	v_cmp_gt_i32_e64 s9, s18, v143
	buffer_gl0_inv
	v_cmp_gt_i32_e64 s10, s18, v144
	v_cmp_gt_i32_e64 s11, s18, v145
	v_wmma_f32_16x16x16_f16 v[127:134], v[71:78], v[103:110], v[119:126]
	v_wmma_f32_16x16x16_f16 v[119:126], v[79:86], v[103:110], v[119:126]
	v_or_b32_e32 v71, 20, v135
	v_or_b32_e32 v72, 22, v135
	s_delay_alu instid0(VALU_DEP_4)
	v_wmma_f32_16x16x16_f16 v[127:134], v[87:94], v[111:118], v[127:134]
	v_or_b32_e32 v73, 24, v135
	v_wmma_f32_16x16x16_f16 v[119:126], v[95:102], v[111:118], v[119:126]
	v_or_b32_e32 v74, 26, v135
	v_cmp_gt_i32_e64 s12, s18, v71
	v_dual_mul_f32 v83, s19, v128 :: v_dual_mul_f32 v84, s19, v127
	s_delay_alu instid0(VALU_DEP_4) | instskip(SKIP_1) | instid1(VALU_DEP_3)
	v_dual_mul_f32 v81, s19, v130 :: v_dual_mul_f32 v92, s19, v119
	v_mul_f32_e32 v82, s19, v129
	v_cndmask_b32_e64 v83, 0xff7fffff, v83, s3
	s_delay_alu instid0(VALU_DEP_4)
	v_cndmask_b32_e32 v84, 0xff7fffff, v84, vcc_lo
	v_dual_mul_f32 v79, s19, v132 :: v_dual_mul_f32 v90, s19, v121
	v_mul_f32_e32 v80, s19, v131
	v_cndmask_b32_e64 v82, 0xff7fffff, v82, s4
	v_cndmask_b32_e64 v81, 0xff7fffff, v81, s5
	v_max3_f32 v83, v84, 0xff7fffff, v83
	v_dual_mul_f32 v77, s19, v134 :: v_dual_mul_f32 v88, s19, v123
	v_mul_f32_e32 v78, s19, v133
	v_cndmask_b32_e64 v80, 0xff7fffff, v80, s6
	v_cndmask_b32_e64 v79, 0xff7fffff, v79, s7
	v_max3_f32 v81, v83, v82, v81
	v_mul_f32_e32 v91, s19, v120
	v_cndmask_b32_e64 v78, 0xff7fffff, v78, s8
	v_cndmask_b32_e64 v77, 0xff7fffff, v77, s9
	v_mul_f32_e32 v89, s19, v122
	v_max3_f32 v79, v81, v80, v79
	v_cndmask_b32_e64 v80, 0xff7fffff, v92, s10
	v_cndmask_b32_e64 v81, 0xff7fffff, v91, s11
	v_cmp_gt_i32_e64 s13, s18, v72
	v_or_b32_e32 v75, 28, v135
	v_max3_f32 v77, v79, v78, v77
	v_or_b32_e32 v76, 30, v135
	v_mul_f32_e32 v87, s19, v124
	v_cndmask_b32_e64 v71, 0xff7fffff, v90, s12
	v_cndmask_b32_e64 v72, 0xff7fffff, v89, s13
	v_max3_f32 v77, v77, v80, v81
	v_cmp_gt_i32_e64 s15, s18, v73
	v_cmp_gt_i32_e64 s16, s18, v74
	v_dual_mul_f32 v85, s19, v126 :: v_dual_mul_f32 v86, s19, v125
	s_delay_alu instid0(VALU_DEP_4) | instskip(NEXT) | instid1(VALU_DEP_4)
	v_max3_f32 v71, v77, v71, v72
	v_cndmask_b32_e64 v73, 0xff7fffff, v88, s15
	s_delay_alu instid0(VALU_DEP_4) | instskip(SKIP_2) | instid1(VALU_DEP_3)
	v_cndmask_b32_e64 v74, 0xff7fffff, v87, s16
	v_cmp_gt_i32_e64 s17, s18, v75
	v_cmp_gt_i32_e64 s18, s18, v76
	v_max3_f32 v71, v71, v73, v74
	s_delay_alu instid0(VALU_DEP_3) | instskip(NEXT) | instid1(VALU_DEP_3)
	v_cndmask_b32_e64 v72, 0xff7fffff, v86, s17
	v_cndmask_b32_e64 v75, 0xff7fffff, v85, s18
	v_lshlrev_b32_e32 v73, 2, v136
	s_delay_alu instid0(VALU_DEP_2) | instskip(SKIP_3) | instid1(VALU_DEP_1)
	v_max3_f32 v71, v71, v72, v75
	ds_bpermute_b32 v72, v73, v71
	s_waitcnt lgkmcnt(0)
	v_max_f32_e32 v72, v72, v72
	v_max_f32_e32 v71, v71, v72
	s_delay_alu instid0(VALU_DEP_1)
	v_fma_f32 v72, s19, v127, -v71
	v_fma_f32 v74, s19, v128, -v71
	;; [unrolled: 1-line block ×5, first 2 shown]
	v_mul_f32_e32 v72, 0x3fb8aa3b, v72
	v_mul_f32_e32 v74, 0x3fb8aa3b, v74
	v_fma_f32 v80, s19, v133, -v71
	s_delay_alu instid0(VALU_DEP_4) | instskip(NEXT) | instid1(VALU_DEP_4)
	v_dual_mul_f32 v76, 0x3fb8aa3b, v76 :: v_dual_mul_f32 v77, 0x3fb8aa3b, v77
	v_exp_f32_e32 v72, v72
	s_delay_alu instid0(VALU_DEP_3) | instskip(NEXT) | instid1(VALU_DEP_2)
	v_exp_f32_e32 v74, v74
	v_mul_f32_e32 v82, 0x3fb8aa3b, v80
	s_delay_alu instid0(VALU_DEP_2) | instskip(SKIP_1) | instid1(VALU_DEP_1)
	v_exp_f32_e32 v76, v76
	v_exp_f32_e32 v77, v77
	;; [unrolled: 1-line block ×3, first 2 shown]
	v_cndmask_b32_e32 v79, 0, v72, vcc_lo
	v_fma_f32 v72, s19, v132, -v71
	v_mul_f32_e32 v75, 0x3fb8aa3b, v75
	v_cndmask_b32_e64 v78, 0, v74, s3
	s_delay_alu instid0(TRANS32_DEP_3)
	v_cndmask_b32_e64 v80, 0, v76, s5
	v_add_f32_e32 v74, 0, v79
	v_mul_f32_e32 v72, 0x3fb8aa3b, v72
	v_exp_f32_e32 v75, v75
	v_cndmask_b32_e64 v83, 0, v77, s6
	v_cndmask_b32_e64 v85, 0, v84, s8
	v_add_f32_e32 v74, v74, v78
	v_exp_f32_e32 v72, v72
	v_cmp_gt_u32_e64 s3, 16, v70
	s_waitcnt_depctr 0xfff
	v_cndmask_b32_e64 v81, 0, v75, s4
	v_cndmask_b32_e64 v82, 0, v72, s7
	s_delay_alu instid0(VALU_DEP_2) | instskip(NEXT) | instid1(VALU_DEP_1)
	v_add_f32_e32 v74, v74, v81
	v_add_f32_e32 v74, v74, v80
	s_delay_alu instid0(VALU_DEP_1) | instskip(SKIP_4) | instid1(VALU_DEP_4)
	v_add_f32_e32 v72, v74, v83
	v_fma_f32 v75, s19, v134, -v71
	v_fma_f32 v76, s19, v119, -v71
	;; [unrolled: 1-line block ×4, first 2 shown]
	v_dual_add_f32 v72, v72, v82 :: v_dual_mul_f32 v75, 0x3fb8aa3b, v75
	s_delay_alu instid0(VALU_DEP_3) | instskip(SKIP_1) | instid1(VALU_DEP_3)
	v_dual_mul_f32 v76, 0x3fb8aa3b, v76 :: v_dual_mul_f32 v77, 0x3fb8aa3b, v77
	v_fma_f32 v86, s19, v122, -v71
	v_add_f32_e32 v72, v72, v85
	s_delay_alu instid0(VALU_DEP_4) | instskip(NEXT) | instid1(VALU_DEP_3)
	v_exp_f32_e32 v75, v75
	v_exp_f32_e32 v76, v76
	;; [unrolled: 1-line block ×3, first 2 shown]
	v_mul_f32_e32 v86, 0x3fb8aa3b, v86
	s_delay_alu instid0(VALU_DEP_1) | instskip(SKIP_3) | instid1(TRANS32_DEP_3)
	v_exp_f32_e32 v88, v86
	v_cndmask_b32_e64 v84, 0, v75, s9
	v_fma_f32 v75, s19, v123, -v71
	v_mul_f32_e32 v74, 0x3fb8aa3b, v74
	v_cndmask_b32_e64 v87, 0, v76, s10
	v_fma_f32 v76, s19, v124, -v71
	s_delay_alu instid0(VALU_DEP_4) | instskip(NEXT) | instid1(VALU_DEP_4)
	v_dual_add_f32 v72, v72, v84 :: v_dual_mul_f32 v75, 0x3fb8aa3b, v75
	v_exp_f32_e32 v74, v74
	v_cndmask_b32_e64 v86, 0, v77, s11
	v_fma_f32 v77, s19, v125, -v71
	s_delay_alu instid0(VALU_DEP_3) | instskip(SKIP_3) | instid1(VALU_DEP_3)
	v_add_f32_e32 v72, v72, v87
	v_mul_f32_e32 v76, 0x3fb8aa3b, v76
	v_exp_f32_e32 v75, v75
	v_cndmask_b32_e64 v88, 0, v88, s13
	v_add_f32_e32 v72, v72, v86
	s_delay_alu instid0(VALU_DEP_3) | instskip(NEXT) | instid1(TRANS32_DEP_3)
	v_exp_f32_e32 v76, v76
	v_cndmask_b32_e64 v89, 0, v74, s12
	v_mul_f32_e32 v74, 0x3fb8aa3b, v77
	v_fma_f32 v77, s19, v126, -v71
	s_delay_alu instid0(VALU_DEP_3) | instskip(NEXT) | instid1(VALU_DEP_3)
	v_add_f32_e32 v72, v72, v89
	v_exp_f32_e32 v74, v74
	s_delay_alu instid0(TRANS32_DEP_3) | instskip(NEXT) | instid1(VALU_DEP_3)
	v_cndmask_b32_e64 v91, 0, v75, s15
	v_mul_f32_e32 v75, 0x3fb8aa3b, v77
	s_delay_alu instid0(TRANS32_DEP_2) | instskip(SKIP_1) | instid1(VALU_DEP_3)
	v_cndmask_b32_e64 v90, 0, v76, s16
	v_add_f32_e32 v72, v72, v88
	v_exp_f32_e32 v75, v75
	s_delay_alu instid0(VALU_DEP_1) | instskip(NEXT) | instid1(TRANS32_DEP_2)
	v_add_f32_e32 v72, v72, v91
	v_cndmask_b32_e64 v93, 0, v74, s17
	s_delay_alu instid0(VALU_DEP_2) | instskip(SKIP_3) | instid1(VALU_DEP_1)
	v_add_f32_e32 v72, v72, v90
	s_waitcnt_depctr 0xfff
	v_cndmask_b32_e64 v92, 0, v75, s18
	v_add_f32_e32 v72, v72, v93
	v_add_f32_e32 v72, v72, v92
	ds_bpermute_b32 v73, v73, v72
	s_and_saveexec_b32 s4, s3
	s_cbranch_execz .LBB808_12
; %bb.11:
	v_mul_u32_u24_e32 v70, 0x44, v69
	s_waitcnt lgkmcnt(0)
	v_add_f32_e32 v72, v72, v73
	s_delay_alu instid0(VALU_DEP_2) | instskip(NEXT) | instid1(VALU_DEP_1)
	v_lshl_add_u32 v70, v68, 2, v70
	v_add_nc_u32_e32 v70, 0x4000, v70
	ds_store_2addr_b32 v70, v71, v72 offset1:136
.LBB808_12:
	s_or_b32 exec_lo, exec_lo, s4
	v_lshlrev_b32_e32 v70, 2, v68
	s_load_b32 s36, s[0:1], 0x94
	s_waitcnt lgkmcnt(0)
	s_barrier
	buffer_gl0_inv
	v_add_nc_u32_e32 v98, 0x4000, v70
	v_cmp_eq_u32_e32 vcc_lo, 1, v69
	v_cmp_eq_u32_e64 s4, 2, v69
	v_cmp_eq_u32_e64 s5, 3, v69
	;; [unrolled: 1-line block ×3, first 2 shown]
	ds_load_2addr_b32 v[70:71], v98 offset1:17
	ds_load_2addr_b32 v[72:73], v98 offset0:34 offset1:51
	ds_load_2addr_b32 v[74:75], v98 offset0:68 offset1:85
	;; [unrolled: 1-line block ×3, first 2 shown]
	v_cmp_eq_u32_e64 s7, 5, v69
	v_cmp_eq_u32_e64 s8, 7, v69
	s_waitcnt lgkmcnt(3)
	v_max3_f32 v76, v70, 0xff7fffff, v71
	s_waitcnt lgkmcnt(2)
	s_delay_alu instid0(VALU_DEP_1) | instskip(SKIP_1) | instid1(VALU_DEP_1)
	v_max3_f32 v76, v76, v72, v73
	s_waitcnt lgkmcnt(1)
	v_max3_f32 v76, v76, v74, v75
	s_waitcnt lgkmcnt(0)
	s_delay_alu instid0(VALU_DEP_1) | instskip(NEXT) | instid1(VALU_DEP_1)
	v_max3_f32 v76, v76, v94, v95
	v_sub_f32_e32 v77, v71, v76
	ds_load_2addr_b32 v[96:97], v98 offset0:136 offset1:153
	v_sub_f32_e32 v74, v74, v76
	v_sub_f32_e32 v70, v70, v76
	;; [unrolled: 1-line block ×3, first 2 shown]
	v_dual_sub_f32 v72, v72, v76 :: v_dual_mul_f32 v77, 0x3fb8aa3b, v77
	s_delay_alu instid0(VALU_DEP_4) | instskip(NEXT) | instid1(VALU_DEP_4)
	v_mul_f32_e32 v103, 0x3fb8aa3b, v74
	v_mul_f32_e32 v99, 0x3fb8aa3b, v70
	ds_load_2addr_b32 v[70:71], v98 offset0:170 offset1:187
	v_dual_mul_f32 v101, 0x3fb8aa3b, v72 :: v_dual_mul_f32 v94, 0x3fb8aa3b, v94
	v_exp_f32_e32 v102, v77
	v_exp_f32_e32 v99, v99
	s_delay_alu instid0(VALU_DEP_1) | instskip(NEXT) | instid1(VALU_DEP_1)
	v_exp_f32_e32 v101, v101
	v_exp_f32_e32 v94, v94
	s_waitcnt lgkmcnt(1)
	s_delay_alu instid0(TRANS32_DEP_3)
	v_fma_f32 v77, v99, v96, 0
	v_sub_f32_e32 v100, v73, v76
	ds_load_2addr_b32 v[72:73], v98 offset0:204 offset1:221
	v_fmac_f32_e32 v77, v102, v97
	v_exp_f32_e32 v97, v103
	s_waitcnt lgkmcnt(1)
	s_delay_alu instid0(VALU_DEP_1)
	v_dual_fmac_f32 v77, v101, v70 :: v_dual_sub_f32 v96, v75, v76
	ds_load_2addr_b32 v[74:75], v98 offset0:238 offset1:255
	v_sub_f32_e32 v70, v95, v76
	s_waitcnt lgkmcnt(0)
	s_barrier
	v_mul_f32_e32 v96, 0x3fb8aa3b, v96
	buffer_gl0_inv
	v_exp_f32_e32 v95, v96
	v_mul_f32_e32 v100, 0x3fb8aa3b, v100
	s_delay_alu instid0(VALU_DEP_1) | instskip(SKIP_3) | instid1(VALU_DEP_2)
	v_exp_f32_e32 v100, v100
	s_waitcnt_depctr 0xfff
	v_dual_fmac_f32 v77, v100, v71 :: v_dual_mul_f32 v70, 0x3fb8aa3b, v70
	v_cndmask_b32_e32 v71, v99, v102, vcc_lo
	v_fmac_f32_e32 v77, v97, v72
	s_delay_alu instid0(VALU_DEP_3) | instskip(NEXT) | instid1(VALU_DEP_1)
	v_exp_f32_e32 v96, v70
	v_fmac_f32_e32 v77, v95, v73
	s_delay_alu instid0(VALU_DEP_1) | instskip(SKIP_2) | instid1(VALU_DEP_1)
	v_fmac_f32_e32 v77, v94, v74
	s_waitcnt_depctr 0xfff
	v_fmac_f32_e32 v77, v96, v75
	v_add_f32_e32 v74, 0x358637bd, v77
	s_delay_alu instid0(VALU_DEP_1) | instskip(SKIP_1) | instid1(VALU_DEP_2)
	v_div_scale_f32 v98, null, v74, v74, 1.0
	v_div_scale_f32 v99, vcc_lo, 1.0, v74, 1.0
	v_rcp_f32_e32 v103, v98
	s_waitcnt_depctr 0xfff
	v_fma_f32 v70, -v98, v103, 1.0
	s_delay_alu instid0(VALU_DEP_1) | instskip(SKIP_2) | instid1(VALU_DEP_2)
	v_fmac_f32_e32 v103, v70, v103
	v_cndmask_b32_e64 v70, v71, v101, s4
	v_cmp_eq_u32_e64 s4, 6, v69
	v_cndmask_b32_e64 v71, v70, v100, s5
	s_delay_alu instid0(VALU_DEP_4) | instskip(NEXT) | instid1(VALU_DEP_2)
	v_dual_mul_f32 v101, v99, v103 :: v_dual_lshlrev_b32 v70, 2, v66
	v_cndmask_b32_e64 v71, v71, v97, s6
	s_delay_alu instid0(VALU_DEP_2) | instskip(NEXT) | instid1(VALU_DEP_3)
	v_or_b32_e32 v72, 1, v70
	v_fma_f32 v100, -v98, v101, v99
	v_cmp_eq_u32_e64 s5, 1, v70
	v_cmp_eq_u32_e64 s6, 2, v70
	v_cndmask_b32_e64 v95, v71, v95, s7
	v_or_b32_e32 v71, 3, v70
	v_fmac_f32_e32 v101, v100, v103
	v_cmp_eq_u32_e64 s10, 1, v72
	v_cmp_eq_u32_e64 s13, 2, v72
	v_cndmask_b32_e64 v94, v95, v94, s4
	v_cmp_eq_u32_e64 s12, 1, v71
	v_fma_f32 v97, -v98, v101, v99
	v_cmp_eq_u32_e64 s17, 2, v71
	v_cmp_eq_u32_e64 s15, 3, v72
	v_cndmask_b32_e64 v94, v94, v96, s8
	v_cmp_eq_u32_e64 s19, 3, v71
	v_div_fmas_f32 v95, v97, v103, v101
	v_cmp_eq_u32_e32 vcc_lo, 3, v70
	v_cmp_eq_u32_e64 s4, 4, v70
	v_cmp_eq_u32_e64 s20, 4, v72
	;; [unrolled: 1-line block ×3, first 2 shown]
	v_div_fixup_f32 v95, v95, v74, 1.0
	v_lshlrev_b32_e32 v73, 6, v68
	v_cmp_eq_u32_e64 s7, 5, v70
	v_cmp_eq_u32_e64 s21, 5, v72
	;; [unrolled: 1-line block ×3, first 2 shown]
	v_mul_f32_e32 v102, v94, v95
	v_lshl_or_b32 v75, v69, 11, v73
	v_or_b32_e32 v69, 2, v70
	v_cmp_eq_u32_e64 s26, 6, v72
	v_cmp_eq_u32_e64 s28, 6, v71
	v_fma_mixlo_f16 v94, v102, v79, 0
	v_fma_mixlo_f16 v95, v102, v81, 0
	;; [unrolled: 1-line block ×8, first 2 shown]
	v_lshl_or_b32 v74, v66, 4, v75
	v_fma_mixhi_f16 v94, v102, v78, 0
	v_fma_mixhi_f16 v95, v102, v80, 0
	;; [unrolled: 1-line block ×8, first 2 shown]
	ds_store_b128 v74, v[94:97]
	ds_store_b128 v74, v[98:101] offset:1024
	s_waitcnt lgkmcnt(0)
	s_barrier
	buffer_gl0_inv
	ds_load_b128 v[78:81], v75
	ds_load_b128 v[82:85], v75 offset:16
	ds_load_b128 v[86:89], v75 offset:1024
	;; [unrolled: 1-line block ×3, first 2 shown]
	v_cmp_eq_u32_e64 s11, 1, v69
	v_cmp_eq_u32_e64 s16, 2, v69
	;; [unrolled: 1-line block ×11, first 2 shown]
	s_waitcnt lgkmcnt(3)
	v_lshrrev_b32_e32 v94, 16, v78
	s_waitcnt lgkmcnt(2)
	v_lshrrev_b32_e32 v98, 16, v82
	;; [unrolled: 2-line block ×4, first 2 shown]
	v_lshrrev_b32_e32 v95, 16, v79
	v_cndmask_b32_e64 v110, v78, v94, s5
	v_cndmask_b32_e64 v111, v82, v98, s5
	;; [unrolled: 1-line block ×8, first 2 shown]
	v_lshrrev_b32_e32 v99, 16, v83
	v_cndmask_b32_e64 v94, v86, v102, s5
	v_cndmask_b32_e64 v98, v90, v106, s5
	;; [unrolled: 1-line block ×15, first 2 shown]
	v_lshrrev_b32_e32 v103, 16, v87
	v_lshrrev_b32_e32 v107, 16, v91
	v_cndmask_b32_e64 v113, v115, v83, s16
	v_cndmask_b32_e64 v82, v94, v87, s6
	;; [unrolled: 1-line block ×7, first 2 shown]
	v_cndmask_b32_e32 v90, v102, v95, vcc_lo
	v_cndmask_b32_e32 v102, v106, v99, vcc_lo
	v_cndmask_b32_e64 v106, v110, v95, s15
	v_cndmask_b32_e64 v110, v111, v99, s15
	;; [unrolled: 1-line block ×4, first 2 shown]
	v_lshrrev_b32_e32 v96, 16, v80
	v_lshrrev_b32_e32 v100, 16, v84
	v_cndmask_b32_e64 v111, v112, v95, s18
	v_cndmask_b32_e64 v112, v113, v99, s18
	v_cndmask_b32_e32 v82, v82, v103, vcc_lo
	v_cndmask_b32_e32 v83, v83, v107, vcc_lo
	v_cndmask_b32_e64 v94, v94, v103, s15
	v_cndmask_b32_e64 v90, v90, v80, s4
	v_cndmask_b32_e64 v95, v102, v84, s4
	v_cndmask_b32_e64 v99, v106, v80, s20
	v_cndmask_b32_e64 v102, v110, v84, s20
	v_cndmask_b32_e64 v78, v78, v80, s23
	v_cndmask_b32_e64 v79, v79, v84, s23
	v_lshrrev_b32_e32 v104, 16, v88
	v_cndmask_b32_e64 v106, v111, v80, s22
	v_cndmask_b32_e64 v110, v112, v84, s22
	;; [unrolled: 1-line block ×11, first 2 shown]
	v_lshrrev_b32_e32 v97, 16, v81
	v_lshrrev_b32_e32 v101, 16, v85
	v_cndmask_b32_e64 v99, v106, v96, s24
	v_cndmask_b32_e64 v102, v110, v100, s24
	;; [unrolled: 1-line block ×7, first 2 shown]
	v_lshrrev_b32_e32 v105, 16, v89
	v_cndmask_b32_e64 v80, v80, v104, s7
	v_cndmask_b32_e64 v84, v84, v81, s8
	;; [unrolled: 1-line block ×16, first 2 shown]
	v_perm_b32 v81, v79, v78, 0x5040100
	v_perm_b32 v79, v95, v85, 0x5040100
	v_cndmask_b32_e64 v78, v119, v91, s16
	v_cndmask_b32_e64 v85, v117, v91, s13
	;; [unrolled: 1-line block ×3, first 2 shown]
	v_perm_b32 v80, v94, v90, 0x5040100
	v_cndmask_b32_e64 v90, v98, v103, s18
	v_cndmask_b32_e64 v86, v86, v103, s19
	;; [unrolled: 1-line block ×5, first 2 shown]
	v_lshrrev_b32_e32 v108, 16, v92
	v_cndmask_b32_e64 v90, v90, v88, s22
	v_cndmask_b32_e64 v86, v86, v88, s23
	;; [unrolled: 1-line block ×11, first 2 shown]
	v_lshrrev_b32_e32 v109, 16, v93
	v_cndmask_b32_e64 v82, v82, v93, s8
	v_cndmask_b32_e64 v88, v88, v89, s27
	;; [unrolled: 1-line block ×12, first 2 shown]
	v_perm_b32 v78, v84, v83, 0x5040100
	v_perm_b32 v85, v87, v86, 0x5040100
	;; [unrolled: 1-line block ×5, first 2 shown]
	s_mul_i32 s9, s35, 3
	s_mov_b32 s4, exec_lo
	ds_store_b128 v74, v[78:81]
	ds_store_b128 v74, v[82:85] offset:1024
	v_cmpx_gt_u32_e32 3, v0
	s_cbranch_execz .LBB808_14
; %bb.13:
	s_mul_i32 s5, s9, s34
	s_load_b128 s[16:19], s[0:1], 0x58
	v_add3_u32 v68, s5, s33, v68
	s_delay_alu instid0(VALU_DEP_1) | instskip(NEXT) | instid1(VALU_DEP_1)
	v_mad_u64_u32 v[78:79], null, v68, s36, s[14:15]
	v_ashrrev_i32_e32 v79, 31, v78
	s_delay_alu instid0(VALU_DEP_1) | instskip(SKIP_1) | instid1(VALU_DEP_1)
	v_lshlrev_b64 v[78:79], 2, v[78:79]
	s_waitcnt lgkmcnt(0)
	v_add_co_u32 v80, vcc_lo, s18, v78
	s_delay_alu instid0(VALU_DEP_2)
	v_add_co_ci_u32_e32 v81, vcc_lo, s19, v79, vcc_lo
	v_add_co_u32 v78, vcc_lo, s16, v78
	v_add_co_ci_u32_e32 v79, vcc_lo, s17, v79, vcc_lo
	global_store_b32 v[80:81], v76, off
	global_store_b32 v[78:79], v77, off
.LBB808_14:
	s_or_b32 exec_lo, exec_lo, s4
	s_waitcnt lgkmcnt(0)
	s_waitcnt_vscnt null, 0x0
	s_barrier
	buffer_gl0_inv
	ds_load_b128 v[84:87], v73
	ds_load_b128 v[88:91], v73 offset:16
	ds_load_b128 v[96:99], v73 offset:2064
	;; [unrolled: 1-line block ×5, first 2 shown]
	v_cmp_eq_u32_e32 vcc_lo, 1, v70
	v_mov_b32_e32 v76, 0
	ds_load_b128 v[112:115], v73 offset:6160
	ds_load_b128 v[108:111], v73 offset:6144
	;; [unrolled: 1-line block ×4, first 2 shown]
	v_cmp_eq_u32_e64 s5, 1, v69
	v_cmp_eq_u32_e64 s4, 1, v72
	;; [unrolled: 1-line block ×3, first 2 shown]
	v_mov_b32_e32 v77, v76
	v_mov_b32_e32 v78, v76
	;; [unrolled: 1-line block ×7, first 2 shown]
	v_cmp_eq_u32_e64 s7, 3, v72
	v_cmp_eq_u32_e64 s8, 7, v72
	s_waitcnt lgkmcnt(8)
	s_delay_alu instid0(VALU_DEP_3)
	v_wmma_f32_16x16x16_f16 v[76:83], v[49:56], v[84:91], v[76:83]
	ds_load_b128 v[53:56], v73 offset:10256
	ds_load_b128 v[49:52], v73 offset:10240
	s_waitcnt lgkmcnt(8)
	v_wmma_f32_16x16x16_f16 v[76:83], v[41:48], v[92:99], v[76:83]
	ds_load_b128 v[45:48], v73 offset:12304
	ds_load_b128 v[41:44], v73 offset:12288
	s_waitcnt lgkmcnt(8)
	;; [unrolled: 4-line block ×3, first 2 shown]
	s_barrier
	buffer_gl0_inv
	v_wmma_f32_16x16x16_f16 v[76:83], v[1:8], v[108:115], v[76:83]
	s_delay_alu instid0(VALU_DEP_1) | instskip(NEXT) | instid1(VALU_DEP_1)
	v_wmma_f32_16x16x16_f16 v[76:83], v[9:16], v[116:123], v[76:83]
	v_wmma_f32_16x16x16_f16 v[76:83], v[17:24], v[49:56], v[76:83]
	s_delay_alu instid0(VALU_DEP_1) | instskip(NEXT) | instid1(VALU_DEP_1)
	v_wmma_f32_16x16x16_f16 v[76:83], v[25:32], v[41:48], v[76:83]
	v_wmma_f32_16x16x16_f16 v[76:83], v[57:64], v[33:40], v[76:83]
	s_delay_alu instid0(VALU_DEP_1) | instskip(NEXT) | instid1(VALU_DEP_2)
	v_cvt_f16_f32_e32 v1, v76
	v_cvt_f16_f32_e32 v2, v77
	s_delay_alu instid0(VALU_DEP_3) | instskip(NEXT) | instid1(VALU_DEP_4)
	v_cvt_f16_f32_e32 v3, v78
	v_cvt_f16_f32_e32 v4, v79
	;; [unrolled: 1-line block ×6, first 2 shown]
	v_pack_b32_f16 v1, v1, v2
	v_pack_b32_f16 v2, v3, v4
	;; [unrolled: 1-line block ×3, first 2 shown]
	s_delay_alu instid0(VALU_DEP_4)
	v_pack_b32_f16 v4, v7, v8
	ds_store_b128 v74, v[1:4]
	s_waitcnt lgkmcnt(0)
	s_barrier
	buffer_gl0_inv
	ds_load_b128 v[1:4], v75
	ds_load_b128 v[5:8], v75 offset:16
	s_waitcnt lgkmcnt(1)
	v_lshrrev_b32_e32 v9, 16, v1
	s_waitcnt lgkmcnt(0)
	v_lshrrev_b32_e32 v13, 16, v5
	v_lshrrev_b32_e32 v10, 16, v2
	;; [unrolled: 1-line block ×4, first 2 shown]
	v_cndmask_b32_e32 v17, v1, v9, vcc_lo
	v_cndmask_b32_e32 v18, v5, v13, vcc_lo
	v_cndmask_b32_e64 v21, v1, v9, s5
	v_cmp_eq_u32_e32 vcc_lo, 1, v71
	v_cndmask_b32_e64 v22, v5, v13, s5
	v_cmp_eq_u32_e64 s5, 2, v70
	v_cndmask_b32_e64 v19, v1, v9, s4
	v_cndmask_b32_e64 v20, v5, v13, s4
	v_cndmask_b32_e32 v1, v1, v9, vcc_lo
	v_cmp_eq_u32_e64 s4, 2, v71
	v_cndmask_b32_e32 v5, v5, v13, vcc_lo
	v_cndmask_b32_e64 v9, v17, v2, s5
	v_cmp_eq_u32_e32 vcc_lo, 3, v70
	v_cndmask_b32_e64 v13, v18, v6, s5
	v_cmp_eq_u32_e64 s5, 2, v69
	v_cndmask_b32_e64 v17, v19, v2, s6
	v_cndmask_b32_e64 v18, v20, v6, s6
	v_cmp_eq_u32_e64 s6, 3, v69
	v_cndmask_b32_e64 v1, v1, v2, s4
	v_cndmask_b32_e64 v19, v21, v2, s5
	;; [unrolled: 1-line block ×4, first 2 shown]
	v_cndmask_b32_e32 v5, v9, v10, vcc_lo
	v_cndmask_b32_e32 v6, v13, v14, vcc_lo
	v_cmp_eq_u32_e32 vcc_lo, 3, v71
	v_cndmask_b32_e64 v9, v17, v10, s7
	v_cndmask_b32_e64 v13, v18, v14, s7
	;; [unrolled: 1-line block ×3, first 2 shown]
	v_cmp_eq_u32_e64 s5, 4, v70
	v_cndmask_b32_e32 v1, v1, v10, vcc_lo
	v_cndmask_b32_e32 v2, v2, v14, vcc_lo
	v_cmp_eq_u32_e32 vcc_lo, 4, v72
	v_lshrrev_b32_e32 v15, 16, v7
	v_lshrrev_b32_e32 v16, 16, v8
	v_cndmask_b32_e64 v17, v19, v10, s6
	v_cmp_eq_u32_e64 s4, 4, v71
	v_cndmask_b32_e64 v5, v5, v3, s5
	v_cndmask_b32_e64 v6, v6, v7, s5
	v_cndmask_b32_e32 v9, v9, v3, vcc_lo
	v_cmp_eq_u32_e64 s5, 5, v72
	v_cndmask_b32_e32 v10, v13, v7, vcc_lo
	v_cmp_eq_u32_e32 vcc_lo, 4, v69
	v_cmp_eq_u32_e64 s6, 5, v70
	v_cndmask_b32_e64 v2, v2, v7, s4
	v_cndmask_b32_e64 v9, v9, v11, s5
	;; [unrolled: 1-line block ×3, first 2 shown]
	v_cndmask_b32_e32 v13, v17, v3, vcc_lo
	v_cmp_eq_u32_e64 s5, 5, v69
	v_cndmask_b32_e32 v14, v18, v7, vcc_lo
	v_cndmask_b32_e64 v1, v1, v3, s4
	v_cmp_eq_u32_e32 vcc_lo, 5, v71
	v_lshrrev_b32_e32 v12, 16, v4
	v_cndmask_b32_e64 v13, v13, v11, s5
	v_cndmask_b32_e64 v3, v14, v15, s5
	v_cmp_eq_u32_e64 s5, 6, v71
	v_cndmask_b32_e32 v1, v1, v11, vcc_lo
	v_cndmask_b32_e64 v5, v5, v11, s6
	v_cmp_eq_u32_e64 s7, 6, v70
	v_cndmask_b32_e64 v6, v6, v15, s6
	v_cmp_eq_u32_e64 s6, 6, v72
	v_cmp_eq_u32_e64 s4, 6, v69
	v_cndmask_b32_e64 v1, v1, v4, s5
	v_cndmask_b32_e32 v2, v2, v15, vcc_lo
	v_cmp_eq_u32_e32 vcc_lo, 7, v71
	v_cndmask_b32_e64 v5, v5, v4, s7
	v_cndmask_b32_e64 v9, v9, v4, s6
	;; [unrolled: 1-line block ×3, first 2 shown]
	v_cmp_eq_u32_e64 s7, 7, v70
	v_cndmask_b32_e32 v1, v1, v12, vcc_lo
	v_cndmask_b32_e64 v7, v13, v4, s4
	v_cndmask_b32_e64 v3, v3, v8, s4
	;; [unrolled: 1-line block ×3, first 2 shown]
	v_cmp_eq_u32_e64 s4, 7, v69
	v_cndmask_b32_e64 v4, v10, v8, s6
	v_cndmask_b32_e64 v5, v5, v12, s7
	;; [unrolled: 1-line block ×3, first 2 shown]
	v_cndmask_b32_e32 v2, v2, v16, vcc_lo
	v_cndmask_b32_e64 v7, v7, v12, s4
	v_cndmask_b32_e64 v3, v3, v16, s4
	;; [unrolled: 1-line block ×4, first 2 shown]
	v_cmp_gt_u32_e32 vcc_lo, 32, v0
	v_perm_b32 v4, v2, v1, 0x5040100
	v_perm_b32 v3, v3, v7, 0x5040100
	;; [unrolled: 1-line block ×4, first 2 shown]
	s_and_b32 s2, vcc_lo, s2
	ds_store_b128 v74, v[1:4]
	s_waitcnt lgkmcnt(0)
	s_barrier
	buffer_gl0_inv
	s_and_saveexec_b32 s4, s2
	s_cbranch_execz .LBB808_2
; %bb.15:
	s_load_b64 s[4:5], s[0:1], 0x68
	v_lshlrev_b32_e32 v0, 10, v0
	v_lshlrev_b32_e32 v2, 4, v67
	v_add_nc_u32_e32 v1, s33, v66
	s_lshl_b32 s0, s36, 6
	s_delay_alu instid0(SALU_CYCLE_1) | instskip(NEXT) | instid1(VALU_DEP_2)
	s_mul_i32 s1, s0, s34
	v_and_or_b32 v0, 0x3800, v0, v2
	s_mul_i32 s6, s1, s9
	v_mul_lo_u32 v1, v1, s0
	s_ashr_i32 s7, s6, 31
	s_delay_alu instid0(VALU_DEP_2) | instskip(SKIP_1) | instid1(VALU_DEP_2)
	v_lshl_or_b32 v3, v66, 6, v0
	s_lshl_b64 s[6:7], s[6:7], 1
	v_ashrrev_i32_e32 v2, 31, v1
	ds_load_b128 v[3:6], v3
	s_waitcnt lgkmcnt(0)
	s_add_u32 s1, s4, s6
	s_addc_u32 s2, s5, s7
	s_lshl_b32 s4, s14, 6
	v_lshlrev_b64 v[7:8], 1, v[1:2]
	s_ashr_i32 s5, s4, 31
	s_delay_alu instid0(SALU_CYCLE_1) | instskip(NEXT) | instid1(SALU_CYCLE_1)
	s_lshl_b64 s[4:5], s[4:5], 1
	s_add_u32 s1, s1, s4
	s_addc_u32 s2, s2, s5
	v_add_co_u32 v1, s1, s1, v65
	s_delay_alu instid0(VALU_DEP_1) | instskip(NEXT) | instid1(VALU_DEP_2)
	v_add_co_ci_u32_e64 v2, null, s2, 0, s1
	v_add_co_u32 v7, vcc_lo, v1, v7
	s_delay_alu instid0(VALU_DEP_2)
	v_add_co_ci_u32_e32 v8, vcc_lo, v2, v8, vcc_lo
	global_store_b128 v[7:8], v[3:6], off
	s_and_b32 exec_lo, exec_lo, s3
	s_cbranch_execz .LBB808_2
; %bb.16:
	ds_load_b128 v[3:6], v0 offset:128
	s_add_i32 s1, s33, 2
	s_delay_alu instid0(SALU_CYCLE_1) | instskip(NEXT) | instid1(SALU_CYCLE_1)
	s_mul_i32 s0, s1, s0
	s_ashr_i32 s1, s0, 31
	s_delay_alu instid0(SALU_CYCLE_1) | instskip(NEXT) | instid1(SALU_CYCLE_1)
	s_lshl_b64 s[0:1], s[0:1], 1
	v_add_co_u32 v0, vcc_lo, v1, s0
	v_add_co_ci_u32_e32 v1, vcc_lo, s1, v2, vcc_lo
	s_waitcnt lgkmcnt(0)
	global_store_b128 v[0:1], v[3:6], off
	s_nop 0
	s_sendmsg sendmsg(MSG_DEALLOC_VGPRS)
	s_endpgm
	.section	.rodata,"a",@progbits
	.p2align	6, 0x0
	.amdhsa_kernel _Z39paged_attention_ll4mi_QKV_mfma16_kernelIDF16_hLN4vllm18Fp8KVCacheDataTypeE1EhLi16ELi64ELi256ELb0ELi3EL8MFMAType1EEvPKT_PKT0_S8_ifPKiSA_SA_iPKfiiiPfSD_PS3_PT2_iSC_SC_
		.amdhsa_group_segment_fixed_size 17472
		.amdhsa_private_segment_fixed_size 0
		.amdhsa_kernarg_size 400
		.amdhsa_user_sgpr_count 13
		.amdhsa_user_sgpr_dispatch_ptr 0
		.amdhsa_user_sgpr_queue_ptr 0
		.amdhsa_user_sgpr_kernarg_segment_ptr 1
		.amdhsa_user_sgpr_dispatch_id 0
		.amdhsa_user_sgpr_private_segment_size 0
		.amdhsa_wavefront_size32 1
		.amdhsa_uses_dynamic_stack 0
		.amdhsa_enable_private_segment 0
		.amdhsa_system_sgpr_workgroup_id_x 1
		.amdhsa_system_sgpr_workgroup_id_y 1
		.amdhsa_system_sgpr_workgroup_id_z 1
		.amdhsa_system_sgpr_workgroup_info 0
		.amdhsa_system_vgpr_workitem_id 0
		.amdhsa_next_free_vgpr 146
		.amdhsa_next_free_sgpr 37
		.amdhsa_reserve_vcc 1
		.amdhsa_float_round_mode_32 0
		.amdhsa_float_round_mode_16_64 0
		.amdhsa_float_denorm_mode_32 3
		.amdhsa_float_denorm_mode_16_64 3
		.amdhsa_dx10_clamp 1
		.amdhsa_ieee_mode 1
		.amdhsa_fp16_overflow 0
		.amdhsa_workgroup_processor_mode 1
		.amdhsa_memory_ordered 1
		.amdhsa_forward_progress 0
		.amdhsa_shared_vgpr_count 0
		.amdhsa_exception_fp_ieee_invalid_op 0
		.amdhsa_exception_fp_denorm_src 0
		.amdhsa_exception_fp_ieee_div_zero 0
		.amdhsa_exception_fp_ieee_overflow 0
		.amdhsa_exception_fp_ieee_underflow 0
		.amdhsa_exception_fp_ieee_inexact 0
		.amdhsa_exception_int_div_zero 0
	.end_amdhsa_kernel
	.section	.text._Z39paged_attention_ll4mi_QKV_mfma16_kernelIDF16_hLN4vllm18Fp8KVCacheDataTypeE1EhLi16ELi64ELi256ELb0ELi3EL8MFMAType1EEvPKT_PKT0_S8_ifPKiSA_SA_iPKfiiiPfSD_PS3_PT2_iSC_SC_,"axG",@progbits,_Z39paged_attention_ll4mi_QKV_mfma16_kernelIDF16_hLN4vllm18Fp8KVCacheDataTypeE1EhLi16ELi64ELi256ELb0ELi3EL8MFMAType1EEvPKT_PKT0_S8_ifPKiSA_SA_iPKfiiiPfSD_PS3_PT2_iSC_SC_,comdat
.Lfunc_end808:
	.size	_Z39paged_attention_ll4mi_QKV_mfma16_kernelIDF16_hLN4vllm18Fp8KVCacheDataTypeE1EhLi16ELi64ELi256ELb0ELi3EL8MFMAType1EEvPKT_PKT0_S8_ifPKiSA_SA_iPKfiiiPfSD_PS3_PT2_iSC_SC_, .Lfunc_end808-_Z39paged_attention_ll4mi_QKV_mfma16_kernelIDF16_hLN4vllm18Fp8KVCacheDataTypeE1EhLi16ELi64ELi256ELb0ELi3EL8MFMAType1EEvPKT_PKT0_S8_ifPKiSA_SA_iPKfiiiPfSD_PS3_PT2_iSC_SC_
                                        ; -- End function
	.section	.AMDGPU.csdata,"",@progbits
; Kernel info:
; codeLenInByte = 6428
; NumSgprs: 39
; NumVgprs: 146
; ScratchSize: 0
; MemoryBound: 0
; FloatMode: 240
; IeeeMode: 1
; LDSByteSize: 17472 bytes/workgroup (compile time only)
; SGPRBlocks: 4
; VGPRBlocks: 18
; NumSGPRsForWavesPerEU: 39
; NumVGPRsForWavesPerEU: 146
; Occupancy: 9
; WaveLimiterHint : 1
; COMPUTE_PGM_RSRC2:SCRATCH_EN: 0
; COMPUTE_PGM_RSRC2:USER_SGPR: 13
; COMPUTE_PGM_RSRC2:TRAP_HANDLER: 0
; COMPUTE_PGM_RSRC2:TGID_X_EN: 1
; COMPUTE_PGM_RSRC2:TGID_Y_EN: 1
; COMPUTE_PGM_RSRC2:TGID_Z_EN: 1
; COMPUTE_PGM_RSRC2:TIDIG_COMP_CNT: 0
	.section	.text._Z39paged_attention_ll4mi_QKV_mfma16_kernelIDF16_hLN4vllm18Fp8KVCacheDataTypeE1EhLi16ELi64ELi256ELb0ELi4EL8MFMAType1EEvPKT_PKT0_S8_ifPKiSA_SA_iPKfiiiPfSD_PS3_PT2_iSC_SC_,"axG",@progbits,_Z39paged_attention_ll4mi_QKV_mfma16_kernelIDF16_hLN4vllm18Fp8KVCacheDataTypeE1EhLi16ELi64ELi256ELb0ELi4EL8MFMAType1EEvPKT_PKT0_S8_ifPKiSA_SA_iPKfiiiPfSD_PS3_PT2_iSC_SC_,comdat
	.protected	_Z39paged_attention_ll4mi_QKV_mfma16_kernelIDF16_hLN4vllm18Fp8KVCacheDataTypeE1EhLi16ELi64ELi256ELb0ELi4EL8MFMAType1EEvPKT_PKT0_S8_ifPKiSA_SA_iPKfiiiPfSD_PS3_PT2_iSC_SC_ ; -- Begin function _Z39paged_attention_ll4mi_QKV_mfma16_kernelIDF16_hLN4vllm18Fp8KVCacheDataTypeE1EhLi16ELi64ELi256ELb0ELi4EL8MFMAType1EEvPKT_PKT0_S8_ifPKiSA_SA_iPKfiiiPfSD_PS3_PT2_iSC_SC_
	.globl	_Z39paged_attention_ll4mi_QKV_mfma16_kernelIDF16_hLN4vllm18Fp8KVCacheDataTypeE1EhLi16ELi64ELi256ELb0ELi4EL8MFMAType1EEvPKT_PKT0_S8_ifPKiSA_SA_iPKfiiiPfSD_PS3_PT2_iSC_SC_
	.p2align	8
	.type	_Z39paged_attention_ll4mi_QKV_mfma16_kernelIDF16_hLN4vllm18Fp8KVCacheDataTypeE1EhLi16ELi64ELi256ELb0ELi4EL8MFMAType1EEvPKT_PKT0_S8_ifPKiSA_SA_iPKfiiiPfSD_PS3_PT2_iSC_SC_,@function
_Z39paged_attention_ll4mi_QKV_mfma16_kernelIDF16_hLN4vllm18Fp8KVCacheDataTypeE1EhLi16ELi64ELi256ELb0ELi4EL8MFMAType1EEvPKT_PKT0_S8_ifPKiSA_SA_iPKfiiiPfSD_PS3_PT2_iSC_SC_: ; @_Z39paged_attention_ll4mi_QKV_mfma16_kernelIDF16_hLN4vllm18Fp8KVCacheDataTypeE1EhLi16ELi64ELi256ELb0ELi4EL8MFMAType1EEvPKT_PKT0_S8_ifPKiSA_SA_iPKfiiiPfSD_PS3_PT2_iSC_SC_
; %bb.0:
	s_load_b64 s[2:3], s[0:1], 0x30
	s_mov_b32 s34, s13
	s_waitcnt lgkmcnt(0)
	s_cmp_lg_u64 s[2:3], 0
	s_cselect_b32 s8, -1, 0
	s_ashr_i32 s35, s13, 31
	s_cmp_eq_u64 s[2:3], 0
	s_cbranch_scc1 .LBB809_3
; %bb.1:
	s_lshl_b64 s[4:5], s[34:35], 2
	s_delay_alu instid0(SALU_CYCLE_1) | instskip(SKIP_4) | instid1(SALU_CYCLE_1)
	s_add_u32 s4, s2, s4
	s_addc_u32 s5, s3, s5
	s_load_b64 s[4:5], s[4:5], 0x0
	s_waitcnt lgkmcnt(0)
	s_sub_i32 s4, s5, s4
	s_cmp_eq_u32 s4, 1
	s_cselect_b32 s4, -1, 0
	s_delay_alu instid0(SALU_CYCLE_1)
	s_and_not1_b32 vcc_lo, exec_lo, s4
	s_cbranch_vccz .LBB809_4
.LBB809_2:
	s_endpgm
.LBB809_3:
.LBB809_4:
	s_load_b64 s[4:5], s[0:1], 0x28
	s_lshl_b64 s[6:7], s[34:35], 2
	s_waitcnt lgkmcnt(0)
	s_add_u32 s4, s4, s6
	s_addc_u32 s5, s5, s7
	s_lshl_b32 s12, s14, 8
	s_load_b32 s24, s[4:5], 0x0
	s_waitcnt lgkmcnt(0)
	s_cmp_ge_i32 s12, s24
	s_cbranch_scc1 .LBB809_2
; %bb.5:
	s_clause 0x1
	s_load_b128 s[20:23], s[0:1], 0x8
	s_load_b64 s[4:5], s[0:1], 0x20
	s_and_not1_b32 vcc_lo, exec_lo, s8
	s_cbranch_vccnz .LBB809_7
; %bb.6:
	s_add_u32 s2, s2, s6
	s_addc_u32 s3, s3, s7
	s_load_b32 s3, s[2:3], 0x0
	s_branch .LBB809_8
.LBB809_7:
	s_mov_b32 s3, s34
.LBB809_8:
	s_load_b128 s[16:19], s[0:1], 0x48
	v_and_b32_e32 v69, 15, v0
	v_cmp_gt_u32_e32 vcc_lo, 64, v0
	v_lshrrev_b32_e32 v68, 5, v0
	v_and_b32_e32 v70, 31, v0
	v_and_b32_e32 v66, 1, v0
	v_lshlrev_b32_e32 v1, 3, v69
	v_cmp_gt_u32_e64 s2, 8, v69
	v_bfe_u32 v67, v0, 4, 1
	s_lshl_b32 s31, s15, 2
	s_delay_alu instid0(VALU_DEP_3) | instskip(NEXT) | instid1(VALU_DEP_3)
	v_lshlrev_b32_e32 v65, 1, v1
	s_and_b32 s7, vcc_lo, s2
	s_delay_alu instid0(SALU_CYCLE_1)
	s_and_saveexec_b32 s6, s7
	s_cbranch_execz .LBB809_10
; %bb.9:
	v_lshl_or_b32 v5, v68, 1, v67
	s_load_b64 s[8:9], s[0:1], 0x0
	s_waitcnt lgkmcnt(0)
	s_mul_hi_i32 s11, s3, s16
	s_mul_i32 s10, s3, s16
	v_lshlrev_b32_e32 v6, 10, v69
	v_or_b32_e32 v1, s31, v5
	s_lshl_b64 s[10:11], s[10:11], 1
	v_lshlrev_b32_e32 v5, 6, v5
	v_lshlrev_b32_e32 v7, 10, v66
	v_and_b32_e32 v6, 0x3800, v6
	v_lshlrev_b32_e32 v1, 6, v1
	s_delay_alu instid0(VALU_DEP_2) | instskip(NEXT) | instid1(VALU_DEP_2)
	v_or3_b32 v5, v6, v7, v5
	v_ashrrev_i32_e32 v2, 31, v1
	s_delay_alu instid0(VALU_DEP_1) | instskip(SKIP_2) | instid1(VALU_DEP_1)
	v_lshlrev_b64 v[1:2], 1, v[1:2]
	s_add_u32 s3, s8, s10
	s_addc_u32 s7, s9, s11
	v_add_co_u32 v1, vcc_lo, s3, v1
	s_delay_alu instid0(VALU_DEP_2) | instskip(NEXT) | instid1(VALU_DEP_2)
	v_add_co_ci_u32_e32 v2, vcc_lo, s7, v2, vcc_lo
	v_add_co_u32 v1, vcc_lo, v1, v65
	s_delay_alu instid0(VALU_DEP_2)
	v_add_co_ci_u32_e32 v2, vcc_lo, 0, v2, vcc_lo
	global_load_b128 v[1:4], v[1:2], off
	s_waitcnt vmcnt(0)
	ds_store_b128 v5, v[1:4]
.LBB809_10:
	s_or_b32 exec_lo, exec_lo, s6
	v_and_b32_e32 v1, 0xef, v0
	s_waitcnt lgkmcnt(0)
	s_add_i32 s3, s24, 15
	s_clause 0x1
	s_load_b32 s6, s[0:1], 0x38
	s_load_b32 s33, s[0:1], 0x98
	s_ashr_i32 s7, s3, 31
	v_add_nc_u32_e32 v1, s12, v1
	s_lshr_b32 s7, s7, 28
	s_load_b32 s19, s[0:1], 0x1c
	s_add_i32 s3, s3, s7
	s_waitcnt lgkmcnt(0)
	v_ashrrev_i32_e32 v2, 31, v1
	v_or_b32_e32 v3, 16, v1
	s_ashr_i32 s3, s3, 4
	v_cmp_gt_i32_e32 vcc_lo, s24, v1
	s_add_i32 s3, s3, -1
	v_lshrrev_b32_e32 v2, 28, v2
	s_barrier
	buffer_gl0_inv
	s_mul_i32 s27, s15, s18
	v_add_nc_u32_e32 v4, v1, v2
	s_mul_i32 s6, s34, s6
	s_delay_alu instid0(SALU_CYCLE_1) | instskip(NEXT) | instid1(VALU_DEP_1)
	s_ashr_i32 s7, s6, 31
	v_ashrrev_i32_e32 v4, 4, v4
	v_add_nc_u32_e32 v2, v3, v2
	s_lshl_b64 s[6:7], s[6:7], 2
	s_delay_alu instid0(SALU_CYCLE_1) | instskip(NEXT) | instid1(VALU_DEP_2)
	s_add_u32 s26, s4, s6
	v_cndmask_b32_e32 v1, s3, v4, vcc_lo
	s_delay_alu instid0(VALU_DEP_2)
	v_ashrrev_i32_e32 v2, 4, v2
	v_cmp_gt_i32_e32 vcc_lo, s24, v3
	s_addc_u32 s25, s5, s7
	s_ashr_i32 s28, s27, 31
	s_add_u32 s13, s20, s27
	s_addc_u32 s15, s21, s28
	v_cndmask_b32_e32 v3, s3, v2, vcc_lo
	v_ashrrev_i32_e32 v2, 31, v1
	s_lshl_b32 s4, s14, 4
	s_delay_alu instid0(SALU_CYCLE_1) | instskip(NEXT) | instid1(VALU_DEP_2)
	s_ashr_i32 s5, s4, 31
	v_ashrrev_i32_e32 v4, 31, v3
	s_delay_alu instid0(VALU_DEP_2) | instskip(SKIP_1) | instid1(SALU_CYCLE_1)
	v_lshlrev_b64 v[1:2], 2, v[1:2]
	s_lshl_b64 s[4:5], s[4:5], 2
	s_add_u32 s4, s26, s4
	s_delay_alu instid0(VALU_DEP_2) | instskip(SKIP_1) | instid1(VALU_DEP_2)
	v_lshlrev_b64 v[3:4], 2, v[3:4]
	s_addc_u32 s5, s25, s5
	v_add_co_u32 v1, vcc_lo, s26, v1
	v_add_co_ci_u32_e32 v2, vcc_lo, s25, v2, vcc_lo
	s_delay_alu instid0(VALU_DEP_3) | instskip(NEXT) | instid1(VALU_DEP_4)
	v_add_co_u32 v3, vcc_lo, s26, v3
	v_add_co_ci_u32_e32 v4, vcc_lo, s25, v4, vcc_lo
	s_clause 0x1
	global_load_b32 v5, v[1:2], off
	global_load_b32 v7, v[3:4], off
	s_or_b32 s6, s12, 32
	v_lshlrev_b32_e32 v1, 4, v0
	s_ashr_i32 s7, s6, 4
	s_cmp_lt_i32 s6, s24
	s_cselect_b32 s6, s7, s3
	s_delay_alu instid0(VALU_DEP_1) | instskip(SKIP_1) | instid1(SALU_CYCLE_1)
	v_and_b32_e32 v1, 0xf0, v1
	s_ashr_i32 s7, s6, 31
	s_lshl_b64 s[6:7], s[6:7], 2
	s_delay_alu instid0(SALU_CYCLE_1)
	s_add_u32 s6, s26, s6
	s_addc_u32 s7, s25, s7
	s_or_b32 s8, s12, 64
	v_add_co_u32 v1, s13, s13, v1
	s_ashr_i32 s9, s8, 4
	s_cmp_lt_i32 s8, s24
	v_add_co_ci_u32_e64 v2, null, s15, 0, s13
	s_cselect_b32 s8, s9, s3
	s_delay_alu instid0(SALU_CYCLE_1) | instskip(NEXT) | instid1(SALU_CYCLE_1)
	s_ashr_i32 s9, s8, 31
	s_lshl_b64 s[8:9], s[8:9], 2
	s_delay_alu instid0(SALU_CYCLE_1) | instskip(SKIP_2) | instid1(SALU_CYCLE_1)
	s_add_u32 s8, s26, s8
	s_addc_u32 s9, s25, s9
	s_or_b32 s10, s12, 0x60
	s_ashr_i32 s11, s10, 4
	s_cmp_lt_i32 s10, s24
	s_cselect_b32 s10, s11, s3
	s_delay_alu instid0(SALU_CYCLE_1) | instskip(NEXT) | instid1(SALU_CYCLE_1)
	s_ashr_i32 s11, s10, 31
	s_lshl_b64 s[10:11], s[10:11], 2
	s_delay_alu instid0(SALU_CYCLE_1) | instskip(SKIP_2) | instid1(SALU_CYCLE_1)
	s_add_u32 s10, s26, s10
	s_addc_u32 s11, s25, s11
	s_or_b32 s16, s12, 0x80
	s_ashr_i32 s18, s16, 4
	s_cmp_lt_i32 s16, s24
	;; [unrolled: 10-line block ×3, first 2 shown]
	s_cselect_b32 s20, s18, s3
	s_delay_alu instid0(SALU_CYCLE_1) | instskip(NEXT) | instid1(SALU_CYCLE_1)
	s_ashr_i32 s21, s20, 31
	s_lshl_b64 s[20:21], s[20:21], 2
	s_delay_alu instid0(SALU_CYCLE_1)
	s_add_u32 s38, s26, s20
	s_addc_u32 s39, s25, s21
	s_clause 0x5
	s_load_b32 s21, s[4:5], 0x0
	s_load_b32 s13, s[6:7], 0x0
	s_load_b32 s15, s[8:9], 0x0
	s_load_b32 s16, s[10:11], 0x0
	s_load_b32 s18, s[36:37], 0x0
	s_load_b32 s20, s[38:39], 0x0
	s_or_b32 s7, s12, 0xc0
	s_mov_b32 s4, 0
	s_ashr_i32 s8, s7, 4
	s_cmp_lt_i32 s7, s24
	s_mov_b32 s5, s4
	s_cselect_b32 s10, s8, s3
	s_mov_b32 s6, s4
	s_ashr_i32 s11, s10, 31
	s_mov_b32 s7, s4
	s_lshl_b64 s[36:37], s[10:11], 2
	s_mov_b32 s11, s4
	s_add_u32 s36, s26, s36
	s_addc_u32 s37, s25, s37
	s_or_b32 s29, s12, 0xe0
	s_mov_b32 s8, s4
	s_ashr_i32 s30, s29, 4
	s_mov_b32 s9, s4
	s_mov_b32 s10, s4
	s_cmp_lt_i32 s29, s24
	v_mov_b32_e32 v102, s11
	v_dual_mov_b32 v96, s5 :: v_dual_mov_b32 v101, s10
	v_dual_mov_b32 v100, s9 :: v_dual_mov_b32 v99, s8
	;; [unrolled: 1-line block ×3, first 2 shown]
	v_mov_b32_e32 v95, s4
	s_cselect_b32 s4, s30, s3
	s_delay_alu instid0(SALU_CYCLE_1) | instskip(NEXT) | instid1(SALU_CYCLE_1)
	s_ashr_i32 s5, s4, 31
	s_lshl_b64 s[4:5], s[4:5], 2
	s_delay_alu instid0(SALU_CYCLE_1)
	s_add_u32 s4, s26, s4
	s_addc_u32 s5, s25, s5
	s_add_u32 s6, s22, s27
	s_addc_u32 s7, s23, s28
	s_waitcnt vmcnt(1)
	v_mad_i64_i32 v[3:4], null, v5, s17, v[1:2]
	s_waitcnt vmcnt(0)
	v_mad_i64_i32 v[5:6], null, v7, s17, v[1:2]
	v_and_b32_e32 v1, 3, v0
	v_lshlrev_b32_e32 v2, 4, v69
	s_clause 0x7
	global_load_b128 v[57:60], v[3:4], off
	global_load_b128 v[61:64], v[3:4], off offset:256
	global_load_b128 v[71:74], v[5:6], off
	global_load_b128 v[75:78], v[5:6], off offset:256
	global_load_b128 v[79:82], v[3:4], off offset:512
	;; [unrolled: 1-line block ×5, first 2 shown]
	v_lshlrev_b32_e32 v121, 6, v1
	v_lshl_or_b32 v1, v68, 8, v2
	s_load_b32 s3, s[36:37], 0x0
	ds_load_b128 v[103:106], v121
	ds_load_b128 v[107:110], v121 offset:1024
	s_load_b32 s4, s[4:5], 0x0
	v_add_co_u32 v17, s6, s6, v1
	s_delay_alu instid0(VALU_DEP_1) | instskip(SKIP_1) | instid1(VALU_DEP_1)
	v_add_co_ci_u32_e64 v18, null, s7, 0, s6
	s_waitcnt lgkmcnt(0)
	v_mad_i64_i32 v[1:2], null, s21, s17, v[17:18]
	v_mad_i64_i32 v[3:4], null, s13, s17, v[17:18]
	;; [unrolled: 1-line block ×7, first 2 shown]
	s_clause 0x9
	global_load_b128 v[49:52], v[1:2], off
	global_load_b128 v[53:56], v[1:2], off offset:16
	global_load_b128 v[41:44], v[3:4], off
	global_load_b128 v[45:48], v[3:4], off offset:16
	;; [unrolled: 2-line block ×5, first 2 shown]
	v_mad_i64_i32 v[119:120], null, s4, s17, v[17:18]
	s_clause 0x3
	global_load_b128 v[17:20], v[21:22], off
	global_load_b128 v[21:24], v[21:22], off offset:16
	global_load_b128 v[25:28], v[29:30], off
	global_load_b128 v[29:32], v[29:30], off offset:16
	s_waitcnt vmcnt(20)
	v_wmma_f32_16x16x16_f16 v[111:118], v[57:64], v[103:110], v[95:102]
	s_clause 0x1
	global_load_b128 v[57:60], v[119:120], off
	global_load_b128 v[61:64], v[119:120], off offset:16
	s_waitcnt vmcnt(20)
	v_wmma_f32_16x16x16_f16 v[95:102], v[71:78], v[103:110], v[95:102]
	ds_load_b128 v[71:74], v121 offset:2048
	ds_load_b128 v[75:78], v121 offset:3072
	v_mbcnt_lo_u32_b32 v104, -1, 0
	s_waitcnt vmcnt(0) lgkmcnt(0)
	s_barrier
	buffer_gl0_inv
	v_xor_b32_e32 v105, 16, v104
	s_delay_alu instid0(VALU_DEP_1) | instskip(SKIP_4) | instid1(VALU_DEP_2)
	v_cmp_gt_i32_e32 vcc_lo, 32, v105
	v_cndmask_b32_e32 v104, v104, v105, vcc_lo
	v_wmma_f32_16x16x16_f16 v[95:102], v[87:94], v[71:78], v[95:102]
	v_and_b32_e32 v103, 0xe0, v0
	v_wmma_f32_16x16x16_f16 v[111:118], v[79:86], v[71:78], v[111:118]
	v_dual_mul_f32 v90, s19, v101 :: v_dual_add_nc_u32 v103, s12, v103
	s_delay_alu instid0(VALU_DEP_2) | instskip(NEXT) | instid1(VALU_DEP_3)
	v_dual_mul_f32 v94, s19, v97 :: v_dual_mul_f32 v87, s19, v112
	v_dual_mul_f32 v88, s19, v111 :: v_dual_mul_f32 v77, s19, v114
	s_delay_alu instid0(VALU_DEP_3) | instskip(SKIP_3) | instid1(VALU_DEP_4)
	v_or_b32_e32 v103, v103, v67
	v_dual_mul_f32 v78, s19, v113 :: v_dual_mul_f32 v75, s19, v116
	v_dual_mul_f32 v76, s19, v115 :: v_dual_mul_f32 v73, s19, v118
	v_mul_f32_e32 v92, s19, v99
	v_or_b32_e32 v105, 2, v103
	v_or_b32_e32 v106, 4, v103
	;; [unrolled: 1-line block ×3, first 2 shown]
	v_cmp_gt_i32_e64 s3, s24, v103
	v_or_b32_e32 v108, 8, v103
	v_cmp_gt_i32_e32 vcc_lo, s24, v105
	v_or_b32_e32 v109, 10, v103
	v_cmp_gt_i32_e64 s4, s24, v106
	v_cndmask_b32_e64 v88, 0xff7fffff, v88, s3
	v_cmp_gt_i32_e64 s5, s24, v107
	v_cndmask_b32_e32 v87, 0xff7fffff, v87, vcc_lo
	v_or_b32_e32 v79, 12, v103
	v_or_b32_e32 v80, 14, v103
	v_cndmask_b32_e64 v78, 0xff7fffff, v78, s4
	v_cndmask_b32_e64 v77, 0xff7fffff, v77, s5
	v_max3_f32 v87, v88, 0xff7fffff, v87
	v_cmp_gt_i32_e64 s6, s24, v108
	v_cmp_gt_i32_e64 s7, s24, v109
	v_or_b32_e32 v81, 16, v103
	v_or_b32_e32 v82, 18, v103
	v_mul_f32_e32 v74, s19, v117
	v_cndmask_b32_e64 v76, 0xff7fffff, v76, s6
	v_cndmask_b32_e64 v75, 0xff7fffff, v75, s7
	v_max3_f32 v77, v87, v78, v77
	v_cmp_gt_i32_e64 s8, s24, v79
	v_cmp_gt_i32_e64 s9, s24, v80
	v_or_b32_e32 v83, 20, v103
	v_or_b32_e32 v84, 22, v103
	;; [unrolled: 1-line block ×6, first 2 shown]
	v_mul_f32_e32 v105, s19, v96
	v_mul_f32_e32 v103, s19, v95
	v_cndmask_b32_e64 v74, 0xff7fffff, v74, s8
	v_cndmask_b32_e64 v73, 0xff7fffff, v73, s9
	v_max3_f32 v75, v77, v76, v75
	v_cmp_gt_i32_e64 s10, s24, v81
	v_cmp_gt_i32_e64 s11, s24, v82
	v_mul_f32_e32 v93, s19, v98
	v_cmp_gt_i32_e64 s12, s24, v83
	v_max3_f32 v73, v75, v74, v73
	v_cndmask_b32_e64 v76, 0xff7fffff, v103, s10
	v_cndmask_b32_e64 v77, 0xff7fffff, v105, s11
	v_cmp_gt_i32_e64 s13, s24, v84
	v_mul_f32_e32 v91, s19, v100
	v_cndmask_b32_e64 v74, 0xff7fffff, v94, s12
	v_cmp_gt_i32_e64 s15, s24, v85
	v_max3_f32 v73, v73, v76, v77
	v_cndmask_b32_e64 v75, 0xff7fffff, v93, s13
	v_cmp_gt_i32_e64 s16, s24, v86
	v_mul_f32_e32 v89, s19, v102
	v_cndmask_b32_e64 v76, 0xff7fffff, v92, s15
	v_cmp_gt_i32_e64 s17, s24, v71
	v_max3_f32 v73, v73, v74, v75
	v_cndmask_b32_e64 v77, 0xff7fffff, v91, s16
	v_cmp_gt_i32_e64 s18, s24, v72
	v_lshlrev_b32_e32 v74, 2, v104
	v_cndmask_b32_e64 v71, 0xff7fffff, v90, s17
	s_delay_alu instid0(VALU_DEP_4) | instskip(NEXT) | instid1(VALU_DEP_4)
	v_max3_f32 v73, v73, v76, v77
	v_cndmask_b32_e64 v72, 0xff7fffff, v89, s18
	s_delay_alu instid0(VALU_DEP_1) | instskip(SKIP_3) | instid1(VALU_DEP_1)
	v_max3_f32 v71, v73, v71, v72
	ds_bpermute_b32 v72, v74, v71
	s_waitcnt lgkmcnt(0)
	v_max_f32_e32 v72, v72, v72
	v_max_f32_e32 v71, v71, v72
	s_delay_alu instid0(VALU_DEP_1)
	v_fma_f32 v72, s19, v111, -v71
	v_fma_f32 v76, s19, v114, -v71
	;; [unrolled: 1-line block ×5, first 2 shown]
	v_mul_f32_e32 v72, 0x3fb8aa3b, v72
	v_mul_f32_e32 v76, 0x3fb8aa3b, v76
	v_fma_f32 v75, s19, v113, -v71
	v_mul_f32_e32 v79, 0x3fb8aa3b, v77
	v_mul_f32_e32 v87, 0x3fb8aa3b, v86
	v_exp_f32_e32 v72, v72
	v_exp_f32_e32 v76, v76
	v_fma_f32 v81, s19, v117, -v71
	v_exp_f32_e32 v82, v79
	v_exp_f32_e32 v87, v87
	v_fma_f32 v84, s19, v96, -v71
	s_delay_alu instid0(VALU_DEP_2) | instskip(SKIP_3) | instid1(TRANS32_DEP_3)
	v_mul_f32_e32 v81, 0x3fb8aa3b, v81
	v_cndmask_b32_e64 v78, 0, v72, s3
	v_fma_f32 v72, s19, v116, -v71
	v_mul_f32_e32 v73, 0x3fb8aa3b, v73
	v_cndmask_b32_e64 v79, 0, v76, s5
	v_fma_f32 v76, s19, v95, -v71
	s_delay_alu instid0(VALU_DEP_4) | instskip(NEXT) | instid1(VALU_DEP_4)
	v_dual_mul_f32 v75, 0x3fb8aa3b, v75 :: v_dual_mul_f32 v72, 0x3fb8aa3b, v72
	v_exp_f32_e32 v73, v73
	v_cndmask_b32_e64 v87, 0, v87, s13
	s_delay_alu instid0(VALU_DEP_3) | instskip(NEXT) | instid1(VALU_DEP_3)
	v_mul_f32_e32 v76, 0x3fb8aa3b, v76
	v_exp_f32_e32 v75, v75
	v_exp_f32_e32 v72, v72
	;; [unrolled: 1-line block ×3, first 2 shown]
	v_cndmask_b32_e64 v82, 0, v82, s6
	v_mul_f32_e32 v85, 0x3fb8aa3b, v84
	v_exp_f32_e32 v76, v76
	s_mov_b32 s3, exec_lo
	v_cndmask_b32_e32 v77, 0, v73, vcc_lo
	v_add_f32_e32 v73, 0, v78
	v_exp_f32_e32 v85, v85
	v_cndmask_b32_e64 v80, 0, v75, s4
	v_fma_f32 v75, s19, v118, -v71
	v_cndmask_b32_e64 v81, 0, v72, s7
	v_add_f32_e32 v73, v73, v77
	v_cndmask_b32_e64 v84, 0, v83, s8
	v_cndmask_b32_e64 v86, 0, v76, s10
	v_mul_f32_e32 v75, 0x3fb8aa3b, v75
	s_delay_alu instid0(VALU_DEP_4) | instskip(NEXT) | instid1(TRANS32_DEP_1)
	v_add_f32_e32 v73, v73, v80
	v_cndmask_b32_e64 v85, 0, v85, s11
	s_delay_alu instid0(VALU_DEP_3) | instskip(NEXT) | instid1(VALU_DEP_2)
	v_exp_f32_e32 v75, v75
	v_add_f32_e32 v73, v73, v79
	s_delay_alu instid0(VALU_DEP_1) | instskip(SKIP_3) | instid1(VALU_DEP_1)
	v_add_f32_e32 v72, v73, v82
	s_waitcnt_depctr 0xfff
	v_cndmask_b32_e64 v83, 0, v75, s9
	v_add_f32_e32 v72, v72, v81
	v_add_f32_e32 v72, v72, v84
	s_delay_alu instid0(VALU_DEP_1) | instskip(NEXT) | instid1(VALU_DEP_1)
	v_add_f32_e32 v72, v72, v83
	v_add_f32_e32 v72, v72, v86
	s_delay_alu instid0(VALU_DEP_1) | instskip(SKIP_4) | instid1(VALU_DEP_4)
	v_add_f32_e32 v72, v72, v85
	v_fma_f32 v73, s19, v97, -v71
	v_fma_f32 v75, s19, v99, -v71
	;; [unrolled: 1-line block ×4, first 2 shown]
	v_mul_f32_e32 v73, 0x3fb8aa3b, v73
	s_delay_alu instid0(VALU_DEP_3) | instskip(NEXT) | instid1(VALU_DEP_2)
	v_dual_mul_f32 v75, 0x3fb8aa3b, v75 :: v_dual_mul_f32 v76, 0x3fb8aa3b, v76
	v_exp_f32_e32 v73, v73
	s_delay_alu instid0(VALU_DEP_1) | instskip(NEXT) | instid1(VALU_DEP_1)
	v_exp_f32_e32 v75, v75
	v_exp_f32_e32 v76, v76
	s_delay_alu instid0(TRANS32_DEP_3)
	v_cndmask_b32_e64 v88, 0, v73, s12
	v_mul_f32_e32 v73, 0x3fb8aa3b, v89
	v_fma_f32 v89, s19, v102, -v71
	s_waitcnt_depctr 0xfff
	v_cndmask_b32_e64 v90, 0, v75, s15
	v_add_f32_e32 v72, v72, v88
	v_exp_f32_e32 v73, v73
	v_mul_f32_e32 v75, 0x3fb8aa3b, v89
	v_cndmask_b32_e64 v89, 0, v76, s16
	s_delay_alu instid0(VALU_DEP_3) | instskip(NEXT) | instid1(VALU_DEP_3)
	v_add_f32_e32 v72, v72, v87
	v_exp_f32_e32 v75, v75
	s_delay_alu instid0(VALU_DEP_1) | instskip(SKIP_4) | instid1(VALU_DEP_2)
	v_add_f32_e32 v72, v72, v90
	s_waitcnt_depctr 0xfff
	v_cndmask_b32_e64 v92, 0, v73, s17
	v_add_f32_e32 v72, v72, v89
	v_cndmask_b32_e64 v91, 0, v75, s18
	v_add_f32_e32 v72, v72, v92
	s_delay_alu instid0(VALU_DEP_1)
	v_add_f32_e32 v72, v72, v91
	ds_bpermute_b32 v73, v74, v72
	v_cmpx_gt_u32_e32 16, v70
	s_cbranch_execz .LBB809_12
; %bb.11:
	v_mul_u32_u24_e32 v70, 0x44, v68
	s_waitcnt lgkmcnt(0)
	v_add_f32_e32 v72, v72, v73
	s_delay_alu instid0(VALU_DEP_2) | instskip(NEXT) | instid1(VALU_DEP_1)
	v_lshl_add_u32 v70, v69, 2, v70
	v_add_nc_u32_e32 v70, 0x4000, v70
	ds_store_2addr_b32 v70, v71, v72 offset1:136
.LBB809_12:
	s_or_b32 exec_lo, exec_lo, s3
	v_lshlrev_b32_e32 v70, 2, v69
	s_load_b32 s35, s[0:1], 0x94
	s_waitcnt lgkmcnt(0)
	s_barrier
	buffer_gl0_inv
	v_add_nc_u32_e32 v74, 0x4000, v70
	v_cmp_eq_u32_e32 vcc_lo, 1, v68
	v_cmp_eq_u32_e64 s3, 2, v68
	v_cmp_eq_u32_e64 s4, 3, v68
	;; [unrolled: 1-line block ×3, first 2 shown]
	ds_load_2addr_b32 v[70:71], v74 offset1:17
	ds_load_2addr_b32 v[72:73], v74 offset0:34 offset1:51
	ds_load_2addr_b32 v[93:94], v74 offset0:68 offset1:85
	;; [unrolled: 1-line block ×3, first 2 shown]
	v_cmp_eq_u32_e64 s6, 5, v68
	v_cmp_eq_u32_e64 s7, 7, v68
	s_waitcnt lgkmcnt(3)
	v_max3_f32 v75, v70, 0xff7fffff, v71
	s_waitcnt lgkmcnt(2)
	s_delay_alu instid0(VALU_DEP_1) | instskip(SKIP_1) | instid1(VALU_DEP_1)
	v_max3_f32 v75, v75, v72, v73
	s_waitcnt lgkmcnt(1)
	v_max3_f32 v75, v75, v93, v94
	s_waitcnt lgkmcnt(0)
	s_delay_alu instid0(VALU_DEP_1) | instskip(NEXT) | instid1(VALU_DEP_1)
	v_max3_f32 v75, v75, v95, v96
	v_sub_f32_e32 v93, v93, v75
	ds_load_2addr_b32 v[97:98], v74 offset0:136 offset1:153
	v_sub_f32_e32 v70, v70, v75
	v_dual_sub_f32 v100, v73, v75 :: v_dual_mul_f32 v103, 0x3fb8aa3b, v93
	s_delay_alu instid0(VALU_DEP_2) | instskip(SKIP_3) | instid1(VALU_DEP_1)
	v_dual_sub_f32 v76, v71, v75 :: v_dual_mul_f32 v99, 0x3fb8aa3b, v70
	ds_load_2addr_b32 v[70:71], v74 offset0:170 offset1:187
	v_mul_f32_e32 v76, 0x3fb8aa3b, v76
	v_exp_f32_e32 v99, v99
	v_exp_f32_e32 v102, v76
	v_mul_f32_e32 v100, 0x3fb8aa3b, v100
	s_waitcnt lgkmcnt(1)
	s_waitcnt_depctr 0xfff
	v_fma_f32 v76, v99, v97, 0
	v_sub_f32_e32 v97, v94, v75
	v_sub_f32_e32 v72, v72, v75
	v_exp_f32_e32 v100, v100
	ds_load_2addr_b32 v[93:94], v74 offset0:238 offset1:255
	v_dual_fmac_f32 v76, v102, v98 :: v_dual_mul_f32 v101, 0x3fb8aa3b, v72
	ds_load_2addr_b32 v[72:73], v74 offset0:204 offset1:221
	v_dual_sub_f32 v74, v95, v75 :: v_dual_mul_f32 v95, 0x3fb8aa3b, v97
	v_exp_f32_e32 v97, v103
	v_exp_f32_e32 v101, v101
	s_waitcnt lgkmcnt(0)
	s_delay_alu instid0(VALU_DEP_1)
	v_mul_f32_e32 v74, 0x3fb8aa3b, v74
	v_exp_f32_e32 v95, v95
	s_barrier
	buffer_gl0_inv
	v_fmac_f32_e32 v76, v101, v70
	v_sub_f32_e32 v70, v96, v75
	v_exp_f32_e32 v96, v74
	s_delay_alu instid0(VALU_DEP_2) | instskip(NEXT) | instid1(VALU_DEP_2)
	v_fmac_f32_e32 v76, v100, v71
	v_mul_f32_e32 v70, 0x3fb8aa3b, v70
	s_delay_alu instid0(VALU_DEP_2) | instskip(NEXT) | instid1(VALU_DEP_2)
	v_dual_cndmask_b32 v71, v99, v102 :: v_dual_fmac_f32 v76, v97, v72
	v_exp_f32_e32 v98, v70
	v_lshlrev_b32_e32 v72, 6, v69
	s_delay_alu instid0(VALU_DEP_2) | instskip(NEXT) | instid1(VALU_DEP_2)
	v_dual_fmac_f32 v76, v95, v73 :: v_dual_lshlrev_b32 v69, 2, v67
	v_lshl_or_b32 v74, v68, 11, v72
	s_delay_alu instid0(VALU_DEP_2)
	v_cmp_eq_u32_e64 s8, 7, v69
	s_delay_alu instid0(TRANS32_DEP_2) | instid1(VALU_DEP_3)
	v_fmac_f32_e32 v76, v96, v93
	s_waitcnt_depctr 0xfff
	v_fmac_f32_e32 v76, v98, v94
	s_delay_alu instid0(VALU_DEP_1) | instskip(NEXT) | instid1(VALU_DEP_1)
	v_add_f32_e32 v73, 0x358637bd, v76
	v_div_scale_f32 v93, null, v73, v73, 1.0
	v_div_scale_f32 v99, vcc_lo, 1.0, v73, 1.0
	s_delay_alu instid0(VALU_DEP_2) | instskip(SKIP_2) | instid1(VALU_DEP_1)
	v_rcp_f32_e32 v94, v93
	s_waitcnt_depctr 0xfff
	v_fma_f32 v70, -v93, v94, 1.0
	v_fmac_f32_e32 v94, v70, v94
	v_cndmask_b32_e64 v70, v71, v101, s3
	v_cmp_eq_u32_e64 s3, 6, v68
	v_or_b32_e32 v71, 1, v69
	v_or_b32_e32 v68, 2, v69
	v_mul_f32_e32 v101, v99, v94
	v_cndmask_b32_e64 v70, v70, v100, s4
	v_cmp_eq_u32_e64 s4, 1, v69
	v_cmp_eq_u32_e64 s9, 1, v71
	;; [unrolled: 1-line block ×3, first 2 shown]
	v_fma_f32 v100, -v93, v101, v99
	v_cndmask_b32_e64 v70, v70, v97, s5
	v_cmp_eq_u32_e64 s5, 2, v69
	v_cmp_eq_u32_e64 s12, 2, v71
	v_cmp_eq_u32_e64 s15, 2, v68
	v_fmac_f32_e32 v101, v100, v94
	v_cndmask_b32_e64 v95, v70, v95, s6
	v_or_b32_e32 v70, 3, v69
	v_cmp_eq_u32_e64 s13, 3, v71
	v_cmp_eq_u32_e64 s17, 3, v68
	v_fma_f32 v93, -v93, v101, v99
	v_cndmask_b32_e64 v95, v95, v96, s3
	v_cmp_eq_u32_e64 s11, 1, v70
	v_cmp_eq_u32_e64 s16, 2, v70
	;; [unrolled: 1-line block ×3, first 2 shown]
	v_div_fmas_f32 v93, v93, v94, v101
	v_cndmask_b32_e64 v94, v95, v98, s7
	v_cmp_eq_u32_e32 vcc_lo, 3, v69
	v_cmp_eq_u32_e64 s3, 4, v69
	v_cmp_eq_u32_e64 s19, 4, v71
	v_div_fixup_f32 v93, v93, v73, 1.0
	v_lshl_or_b32 v73, v67, 4, v74
	v_cmp_eq_u32_e64 s22, 4, v70
	v_cmp_eq_u32_e64 s6, 5, v69
	;; [unrolled: 1-line block ×3, first 2 shown]
	v_mul_f32_e32 v101, v94, v93
	v_cmp_eq_u32_e64 s21, 4, v68
	v_cmp_eq_u32_e64 s24, 5, v70
	;; [unrolled: 1-line block ×4, first 2 shown]
	v_fma_mixlo_f16 v93, v101, v78, 0
	v_fma_mixlo_f16 v94, v101, v80, 0
	;; [unrolled: 1-line block ×8, first 2 shown]
	v_fma_mixhi_f16 v93, v101, v77, 0
	v_fma_mixhi_f16 v94, v101, v79, 0
	;; [unrolled: 1-line block ×8, first 2 shown]
	ds_store_b128 v73, v[93:96]
	ds_store_b128 v73, v[97:100] offset:1024
	s_waitcnt lgkmcnt(0)
	s_barrier
	buffer_gl0_inv
	ds_load_b128 v[77:80], v74
	ds_load_b128 v[81:84], v74 offset:16
	ds_load_b128 v[85:88], v74 offset:1024
	;; [unrolled: 1-line block ×3, first 2 shown]
	v_cmp_eq_u32_e64 s27, 6, v70
	v_cmp_eq_u32_e64 s7, 6, v69
	;; [unrolled: 1-line block ×6, first 2 shown]
	s_waitcnt lgkmcnt(3)
	v_lshrrev_b32_e32 v93, 16, v77
	s_waitcnt lgkmcnt(2)
	v_lshrrev_b32_e32 v97, 16, v81
	;; [unrolled: 2-line block ×4, first 2 shown]
	v_lshrrev_b32_e32 v94, 16, v78
	v_cndmask_b32_e64 v109, v77, v93, s4
	v_cndmask_b32_e64 v110, v81, v97, s4
	;; [unrolled: 1-line block ×8, first 2 shown]
	v_lshrrev_b32_e32 v98, 16, v82
	v_cndmask_b32_e64 v93, v85, v101, s4
	v_cndmask_b32_e64 v97, v89, v105, s4
	;; [unrolled: 1-line block ×15, first 2 shown]
	v_lshrrev_b32_e32 v102, 16, v86
	v_lshrrev_b32_e32 v106, 16, v90
	v_cndmask_b32_e64 v112, v114, v82, s15
	v_cndmask_b32_e64 v81, v93, v86, s5
	;; [unrolled: 1-line block ×7, first 2 shown]
	v_cndmask_b32_e32 v89, v101, v94, vcc_lo
	v_cndmask_b32_e32 v101, v105, v98, vcc_lo
	v_cndmask_b32_e64 v105, v109, v94, s13
	v_cndmask_b32_e64 v109, v110, v98, s13
	;; [unrolled: 1-line block ×4, first 2 shown]
	v_lshrrev_b32_e32 v95, 16, v79
	v_lshrrev_b32_e32 v99, 16, v83
	v_cndmask_b32_e64 v110, v111, v94, s17
	v_cndmask_b32_e64 v111, v112, v98, s17
	v_cndmask_b32_e32 v81, v81, v102, vcc_lo
	v_cndmask_b32_e32 v82, v82, v106, vcc_lo
	v_cndmask_b32_e64 v93, v93, v102, s13
	v_cndmask_b32_e64 v89, v89, v79, s3
	;; [unrolled: 1-line block ×7, first 2 shown]
	v_lshrrev_b32_e32 v103, 16, v87
	v_cndmask_b32_e64 v105, v110, v79, s21
	v_cndmask_b32_e64 v109, v111, v83, s21
	;; [unrolled: 1-line block ×11, first 2 shown]
	v_lshrrev_b32_e32 v96, 16, v80
	v_lshrrev_b32_e32 v100, 16, v84
	v_cndmask_b32_e64 v98, v105, v95, s23
	v_cndmask_b32_e64 v101, v109, v99, s23
	v_cndmask_b32_e64 v82, v82, v103, s20
	v_cndmask_b32_e64 v93, v93, v80, s25
	v_cndmask_b32_e64 v94, v94, v84, s25
	v_cndmask_b32_e64 v77, v77, v80, s27
	v_cndmask_b32_e64 v78, v78, v84, s27
	v_lshrrev_b32_e32 v104, 16, v88
	v_cndmask_b32_e64 v79, v79, v103, s6
	v_cndmask_b32_e64 v83, v83, v80, s7
	v_cndmask_b32_e64 v89, v89, v84, s7
	v_cndmask_b32_e64 v95, v98, v80, s26
	v_cndmask_b32_e64 v98, v101, v84, s26
	v_cndmask_b32_e64 v80, v82, v88, s25
	v_cndmask_b32_e64 v84, v93, v96, s30
	v_cndmask_b32_e64 v77, v77, v96, s29
	v_cndmask_b32_e64 v78, v78, v100, s29
	v_cndmask_b32_e64 v94, v94, v100, s30
	v_cndmask_b32_e64 v79, v79, v88, s7
	v_cndmask_b32_e64 v82, v83, v96, s8
	v_cndmask_b32_e64 v83, v89, v100, s8
	v_cndmask_b32_e64 v89, v95, v96, s28
	v_cndmask_b32_e64 v93, v98, v100, s28
	v_cndmask_b32_e64 v96, v80, v104, s30
	v_perm_b32 v80, v78, v77, 0x5040100
	v_perm_b32 v78, v94, v84, 0x5040100
	v_cndmask_b32_e64 v77, v118, v90, s15
	v_cndmask_b32_e64 v84, v116, v90, s12
	v_cndmask_b32_e64 v95, v79, v104, s8
	v_perm_b32 v79, v93, v89, 0x5040100
	v_cndmask_b32_e64 v89, v97, v102, s17
	v_cndmask_b32_e64 v85, v85, v102, s18
	;; [unrolled: 1-line block ×5, first 2 shown]
	v_lshrrev_b32_e32 v107, 16, v91
	v_cndmask_b32_e64 v89, v89, v87, s21
	v_cndmask_b32_e64 v85, v85, v87, s22
	;; [unrolled: 1-line block ×11, first 2 shown]
	v_lshrrev_b32_e32 v108, 16, v92
	v_cndmask_b32_e64 v81, v81, v92, s7
	v_cndmask_b32_e64 v87, v87, v88, s26
	;; [unrolled: 1-line block ×12, first 2 shown]
	v_perm_b32 v77, v83, v82, 0x5040100
	v_perm_b32 v84, v86, v85, 0x5040100
	;; [unrolled: 1-line block ×5, first 2 shown]
	s_lshl_b32 s8, s33, 2
	s_mov_b32 s3, exec_lo
	ds_store_b128 v73, v[77:80]
	ds_store_b128 v73, v[81:84] offset:1024
	v_cmpx_gt_u32_e32 4, v0
	s_cbranch_execz .LBB809_14
; %bb.13:
	v_or_b32_e32 v77, s31, v0
	s_load_b128 s[4:7], s[0:1], 0x58
	s_delay_alu instid0(VALU_DEP_1) | instskip(NEXT) | instid1(VALU_DEP_1)
	v_mad_u64_u32 v[78:79], null, s8, s34, v[77:78]
	v_mad_u64_u32 v[79:80], null, v78, s35, s[14:15]
	s_delay_alu instid0(VALU_DEP_1) | instskip(NEXT) | instid1(VALU_DEP_1)
	v_ashrrev_i32_e32 v80, 31, v79
	v_lshlrev_b64 v[77:78], 2, v[79:80]
	s_waitcnt lgkmcnt(0)
	s_delay_alu instid0(VALU_DEP_1) | instskip(NEXT) | instid1(VALU_DEP_2)
	v_add_co_u32 v79, vcc_lo, s6, v77
	v_add_co_ci_u32_e32 v80, vcc_lo, s7, v78, vcc_lo
	v_add_co_u32 v77, vcc_lo, s4, v77
	v_add_co_ci_u32_e32 v78, vcc_lo, s5, v78, vcc_lo
	global_store_b32 v[79:80], v75, off
	global_store_b32 v[77:78], v76, off
.LBB809_14:
	s_or_b32 exec_lo, exec_lo, s3
	s_waitcnt lgkmcnt(0)
	s_waitcnt_vscnt null, 0x0
	s_barrier
	buffer_gl0_inv
	ds_load_b128 v[83:86], v72
	ds_load_b128 v[87:90], v72 offset:16
	ds_load_b128 v[95:98], v72 offset:2064
	;; [unrolled: 1-line block ×5, first 2 shown]
	v_cmp_eq_u32_e32 vcc_lo, 1, v69
	v_mov_b32_e32 v75, 0
	ds_load_b128 v[111:114], v72 offset:6160
	ds_load_b128 v[107:110], v72 offset:6144
	ds_load_b128 v[119:122], v72 offset:8208
	ds_load_b128 v[115:118], v72 offset:8192
	v_cmp_eq_u32_e64 s4, 1, v68
	v_cmp_eq_u32_e64 s3, 1, v71
	;; [unrolled: 1-line block ×3, first 2 shown]
	v_mov_b32_e32 v76, v75
	v_mov_b32_e32 v77, v75
	;; [unrolled: 1-line block ×7, first 2 shown]
	v_cmp_eq_u32_e64 s6, 3, v71
	v_cmp_eq_u32_e64 s7, 7, v71
	s_waitcnt lgkmcnt(8)
	s_delay_alu instid0(VALU_DEP_3)
	v_wmma_f32_16x16x16_f16 v[75:82], v[49:56], v[83:90], v[75:82]
	ds_load_b128 v[53:56], v72 offset:10256
	ds_load_b128 v[49:52], v72 offset:10240
	s_waitcnt lgkmcnt(8)
	v_wmma_f32_16x16x16_f16 v[75:82], v[41:48], v[91:98], v[75:82]
	ds_load_b128 v[45:48], v72 offset:12304
	ds_load_b128 v[41:44], v72 offset:12288
	s_waitcnt lgkmcnt(8)
	;; [unrolled: 4-line block ×3, first 2 shown]
	s_barrier
	buffer_gl0_inv
	v_wmma_f32_16x16x16_f16 v[75:82], v[1:8], v[107:114], v[75:82]
	s_delay_alu instid0(VALU_DEP_1) | instskip(NEXT) | instid1(VALU_DEP_1)
	v_wmma_f32_16x16x16_f16 v[75:82], v[9:16], v[115:122], v[75:82]
	v_wmma_f32_16x16x16_f16 v[75:82], v[17:24], v[49:56], v[75:82]
	s_delay_alu instid0(VALU_DEP_1) | instskip(NEXT) | instid1(VALU_DEP_1)
	v_wmma_f32_16x16x16_f16 v[75:82], v[25:32], v[41:48], v[75:82]
	v_wmma_f32_16x16x16_f16 v[75:82], v[57:64], v[33:40], v[75:82]
	s_delay_alu instid0(VALU_DEP_1) | instskip(NEXT) | instid1(VALU_DEP_2)
	v_cvt_f16_f32_e32 v1, v75
	v_cvt_f16_f32_e32 v2, v76
	s_delay_alu instid0(VALU_DEP_3) | instskip(NEXT) | instid1(VALU_DEP_4)
	v_cvt_f16_f32_e32 v3, v77
	v_cvt_f16_f32_e32 v4, v78
	;; [unrolled: 1-line block ×6, first 2 shown]
	v_pack_b32_f16 v1, v1, v2
	v_pack_b32_f16 v2, v3, v4
	;; [unrolled: 1-line block ×3, first 2 shown]
	s_delay_alu instid0(VALU_DEP_4)
	v_pack_b32_f16 v4, v7, v8
	ds_store_b128 v73, v[1:4]
	s_waitcnt lgkmcnt(0)
	s_barrier
	buffer_gl0_inv
	ds_load_b128 v[1:4], v74
	ds_load_b128 v[5:8], v74 offset:16
	s_waitcnt lgkmcnt(1)
	v_lshrrev_b32_e32 v9, 16, v1
	s_waitcnt lgkmcnt(0)
	v_lshrrev_b32_e32 v13, 16, v5
	v_lshrrev_b32_e32 v10, 16, v2
	;; [unrolled: 1-line block ×4, first 2 shown]
	v_cndmask_b32_e32 v17, v1, v9, vcc_lo
	v_cndmask_b32_e32 v18, v5, v13, vcc_lo
	v_cndmask_b32_e64 v21, v1, v9, s4
	v_cmp_eq_u32_e32 vcc_lo, 1, v70
	v_cndmask_b32_e64 v22, v5, v13, s4
	v_cmp_eq_u32_e64 s4, 2, v69
	v_cndmask_b32_e64 v19, v1, v9, s3
	v_cndmask_b32_e64 v20, v5, v13, s3
	v_cndmask_b32_e32 v1, v1, v9, vcc_lo
	v_cmp_eq_u32_e64 s3, 2, v70
	v_cndmask_b32_e32 v5, v5, v13, vcc_lo
	v_cndmask_b32_e64 v9, v17, v2, s4
	v_cmp_eq_u32_e32 vcc_lo, 3, v69
	v_cndmask_b32_e64 v13, v18, v6, s4
	v_cmp_eq_u32_e64 s4, 2, v68
	v_cndmask_b32_e64 v17, v19, v2, s5
	v_cndmask_b32_e64 v18, v20, v6, s5
	v_cmp_eq_u32_e64 s5, 3, v68
	v_cndmask_b32_e64 v1, v1, v2, s3
	v_cndmask_b32_e64 v19, v21, v2, s4
	;; [unrolled: 1-line block ×4, first 2 shown]
	v_cndmask_b32_e32 v5, v9, v10, vcc_lo
	v_cndmask_b32_e32 v6, v13, v14, vcc_lo
	v_cmp_eq_u32_e32 vcc_lo, 3, v70
	v_cndmask_b32_e64 v9, v17, v10, s6
	v_cndmask_b32_e64 v13, v18, v14, s6
	;; [unrolled: 1-line block ×3, first 2 shown]
	v_cmp_eq_u32_e64 s4, 4, v69
	v_cndmask_b32_e32 v1, v1, v10, vcc_lo
	v_cndmask_b32_e32 v2, v2, v14, vcc_lo
	v_cmp_eq_u32_e32 vcc_lo, 4, v71
	v_lshrrev_b32_e32 v15, 16, v7
	v_lshrrev_b32_e32 v16, 16, v8
	v_cndmask_b32_e64 v17, v19, v10, s5
	v_cmp_eq_u32_e64 s3, 4, v70
	v_cndmask_b32_e64 v5, v5, v3, s4
	v_cndmask_b32_e64 v6, v6, v7, s4
	v_cndmask_b32_e32 v9, v9, v3, vcc_lo
	v_cmp_eq_u32_e64 s4, 5, v71
	v_cndmask_b32_e32 v10, v13, v7, vcc_lo
	v_cmp_eq_u32_e32 vcc_lo, 4, v68
	v_cmp_eq_u32_e64 s5, 5, v69
	v_cndmask_b32_e64 v2, v2, v7, s3
	v_cndmask_b32_e64 v9, v9, v11, s4
	v_cndmask_b32_e64 v10, v10, v15, s4
	v_cndmask_b32_e32 v13, v17, v3, vcc_lo
	v_cmp_eq_u32_e64 s4, 5, v68
	v_cndmask_b32_e32 v14, v18, v7, vcc_lo
	v_cndmask_b32_e64 v1, v1, v3, s3
	v_cmp_eq_u32_e32 vcc_lo, 5, v70
	v_lshrrev_b32_e32 v12, 16, v4
	v_cndmask_b32_e64 v13, v13, v11, s4
	v_cndmask_b32_e64 v3, v14, v15, s4
	v_cmp_eq_u32_e64 s4, 6, v70
	v_cndmask_b32_e32 v1, v1, v11, vcc_lo
	v_cndmask_b32_e64 v5, v5, v11, s5
	v_cmp_eq_u32_e64 s6, 6, v69
	v_cndmask_b32_e64 v6, v6, v15, s5
	v_cmp_eq_u32_e64 s5, 6, v71
	v_cmp_eq_u32_e64 s3, 6, v68
	v_cndmask_b32_e64 v1, v1, v4, s4
	v_cndmask_b32_e32 v2, v2, v15, vcc_lo
	v_cmp_eq_u32_e32 vcc_lo, 7, v70
	v_cndmask_b32_e64 v5, v5, v4, s6
	v_cndmask_b32_e64 v9, v9, v4, s5
	;; [unrolled: 1-line block ×3, first 2 shown]
	v_cmp_eq_u32_e64 s6, 7, v69
	v_cndmask_b32_e32 v1, v1, v12, vcc_lo
	v_cndmask_b32_e64 v7, v13, v4, s3
	v_cndmask_b32_e64 v3, v3, v8, s3
	;; [unrolled: 1-line block ×3, first 2 shown]
	v_cmp_eq_u32_e64 s3, 7, v68
	v_cndmask_b32_e64 v4, v10, v8, s5
	v_cndmask_b32_e64 v5, v5, v12, s6
	;; [unrolled: 1-line block ×3, first 2 shown]
	v_cndmask_b32_e32 v2, v2, v16, vcc_lo
	v_cndmask_b32_e64 v7, v7, v12, s3
	v_cndmask_b32_e64 v3, v3, v16, s3
	;; [unrolled: 1-line block ×4, first 2 shown]
	v_cmp_gt_u32_e32 vcc_lo, 32, v0
	v_perm_b32 v4, v2, v1, 0x5040100
	v_perm_b32 v3, v3, v7, 0x5040100
	;; [unrolled: 1-line block ×4, first 2 shown]
	s_and_b32 s2, vcc_lo, s2
	ds_store_b128 v73, v[1:4]
	s_waitcnt lgkmcnt(0)
	s_barrier
	buffer_gl0_inv
	s_and_saveexec_b32 s3, s2
	s_cbranch_execz .LBB809_2
; %bb.15:
	s_load_b64 s[0:1], s[0:1], 0x68
	v_lshlrev_b32_e32 v0, 10, v0
	v_or_b32_e32 v1, s31, v67
	s_lshl_b32 s4, s35, 6
	v_lshlrev_b32_e32 v2, 4, v66
	s_mul_i32 s2, s4, s34
	v_lshlrev_b32_e32 v3, 6, v67
	v_mul_lo_u32 v8, v1, s4
	v_and_b32_e32 v0, 0x3800, v0
	v_or_b32_e32 v1, 2, v1
	s_mul_i32 s2, s2, s8
	s_delay_alu instid0(SALU_CYCLE_1) | instskip(NEXT) | instid1(VALU_DEP_2)
	s_ashr_i32 s3, s2, 31
	v_or3_b32 v4, v0, v2, v3
	s_lshl_b64 s[2:3], s[2:3], 1
	v_mul_lo_u32 v10, v1, s4
	v_ashrrev_i32_e32 v9, 31, v8
	ds_load_b128 v[0:3], v4
	ds_load_b128 v[4:7], v4 offset:128
	s_waitcnt lgkmcnt(0)
	s_add_u32 s2, s0, s2
	s_addc_u32 s3, s1, s3
	s_lshl_b32 s0, s14, 6
	v_ashrrev_i32_e32 v11, 31, v10
	s_ashr_i32 s1, s0, 31
	v_lshlrev_b64 v[8:9], 1, v[8:9]
	s_lshl_b64 s[0:1], s[0:1], 1
	s_delay_alu instid0(SALU_CYCLE_1) | instskip(SKIP_2) | instid1(VALU_DEP_1)
	s_add_u32 s0, s2, s0
	s_addc_u32 s1, s3, s1
	v_add_co_u32 v12, s0, s0, v65
	v_add_co_ci_u32_e64 v13, null, s1, 0, s0
	v_lshlrev_b64 v[10:11], 1, v[10:11]
	s_delay_alu instid0(VALU_DEP_3) | instskip(NEXT) | instid1(VALU_DEP_3)
	v_add_co_u32 v8, vcc_lo, v12, v8
	v_add_co_ci_u32_e32 v9, vcc_lo, v13, v9, vcc_lo
	s_delay_alu instid0(VALU_DEP_3) | instskip(NEXT) | instid1(VALU_DEP_4)
	v_add_co_u32 v10, vcc_lo, v12, v10
	v_add_co_ci_u32_e32 v11, vcc_lo, v13, v11, vcc_lo
	s_clause 0x1
	global_store_b128 v[8:9], v[0:3], off
	global_store_b128 v[10:11], v[4:7], off
	s_nop 0
	s_sendmsg sendmsg(MSG_DEALLOC_VGPRS)
	s_endpgm
	.section	.rodata,"a",@progbits
	.p2align	6, 0x0
	.amdhsa_kernel _Z39paged_attention_ll4mi_QKV_mfma16_kernelIDF16_hLN4vllm18Fp8KVCacheDataTypeE1EhLi16ELi64ELi256ELb0ELi4EL8MFMAType1EEvPKT_PKT0_S8_ifPKiSA_SA_iPKfiiiPfSD_PS3_PT2_iSC_SC_
		.amdhsa_group_segment_fixed_size 17472
		.amdhsa_private_segment_fixed_size 0
		.amdhsa_kernarg_size 400
		.amdhsa_user_sgpr_count 13
		.amdhsa_user_sgpr_dispatch_ptr 0
		.amdhsa_user_sgpr_queue_ptr 0
		.amdhsa_user_sgpr_kernarg_segment_ptr 1
		.amdhsa_user_sgpr_dispatch_id 0
		.amdhsa_user_sgpr_private_segment_size 0
		.amdhsa_wavefront_size32 1
		.amdhsa_uses_dynamic_stack 0
		.amdhsa_enable_private_segment 0
		.amdhsa_system_sgpr_workgroup_id_x 1
		.amdhsa_system_sgpr_workgroup_id_y 1
		.amdhsa_system_sgpr_workgroup_id_z 1
		.amdhsa_system_sgpr_workgroup_info 0
		.amdhsa_system_vgpr_workitem_id 0
		.amdhsa_next_free_vgpr 123
		.amdhsa_next_free_sgpr 40
		.amdhsa_reserve_vcc 1
		.amdhsa_float_round_mode_32 0
		.amdhsa_float_round_mode_16_64 0
		.amdhsa_float_denorm_mode_32 3
		.amdhsa_float_denorm_mode_16_64 3
		.amdhsa_dx10_clamp 1
		.amdhsa_ieee_mode 1
		.amdhsa_fp16_overflow 0
		.amdhsa_workgroup_processor_mode 1
		.amdhsa_memory_ordered 1
		.amdhsa_forward_progress 0
		.amdhsa_shared_vgpr_count 0
		.amdhsa_exception_fp_ieee_invalid_op 0
		.amdhsa_exception_fp_denorm_src 0
		.amdhsa_exception_fp_ieee_div_zero 0
		.amdhsa_exception_fp_ieee_overflow 0
		.amdhsa_exception_fp_ieee_underflow 0
		.amdhsa_exception_fp_ieee_inexact 0
		.amdhsa_exception_int_div_zero 0
	.end_amdhsa_kernel
	.section	.text._Z39paged_attention_ll4mi_QKV_mfma16_kernelIDF16_hLN4vllm18Fp8KVCacheDataTypeE1EhLi16ELi64ELi256ELb0ELi4EL8MFMAType1EEvPKT_PKT0_S8_ifPKiSA_SA_iPKfiiiPfSD_PS3_PT2_iSC_SC_,"axG",@progbits,_Z39paged_attention_ll4mi_QKV_mfma16_kernelIDF16_hLN4vllm18Fp8KVCacheDataTypeE1EhLi16ELi64ELi256ELb0ELi4EL8MFMAType1EEvPKT_PKT0_S8_ifPKiSA_SA_iPKfiiiPfSD_PS3_PT2_iSC_SC_,comdat
.Lfunc_end809:
	.size	_Z39paged_attention_ll4mi_QKV_mfma16_kernelIDF16_hLN4vllm18Fp8KVCacheDataTypeE1EhLi16ELi64ELi256ELb0ELi4EL8MFMAType1EEvPKT_PKT0_S8_ifPKiSA_SA_iPKfiiiPfSD_PS3_PT2_iSC_SC_, .Lfunc_end809-_Z39paged_attention_ll4mi_QKV_mfma16_kernelIDF16_hLN4vllm18Fp8KVCacheDataTypeE1EhLi16ELi64ELi256ELb0ELi4EL8MFMAType1EEvPKT_PKT0_S8_ifPKiSA_SA_iPKfiiiPfSD_PS3_PT2_iSC_SC_
                                        ; -- End function
	.section	.AMDGPU.csdata,"",@progbits
; Kernel info:
; codeLenInByte = 6372
; NumSgprs: 42
; NumVgprs: 123
; ScratchSize: 0
; MemoryBound: 0
; FloatMode: 240
; IeeeMode: 1
; LDSByteSize: 17472 bytes/workgroup (compile time only)
; SGPRBlocks: 5
; VGPRBlocks: 15
; NumSGPRsForWavesPerEU: 42
; NumVGPRsForWavesPerEU: 123
; Occupancy: 10
; WaveLimiterHint : 1
; COMPUTE_PGM_RSRC2:SCRATCH_EN: 0
; COMPUTE_PGM_RSRC2:USER_SGPR: 13
; COMPUTE_PGM_RSRC2:TRAP_HANDLER: 0
; COMPUTE_PGM_RSRC2:TGID_X_EN: 1
; COMPUTE_PGM_RSRC2:TGID_Y_EN: 1
; COMPUTE_PGM_RSRC2:TGID_Z_EN: 1
; COMPUTE_PGM_RSRC2:TIDIG_COMP_CNT: 0
	.section	.text._Z38paged_attention_ll4mi_QKV_mfma4_kernelIDF16_hLN4vllm18Fp8KVCacheDataTypeE1EDF16_Li16ELi64ELi256ELb1ELi1EEvPKT_PKT0_S7_ifPKiS9_S9_iPKfiiiPfSC_PS2_PT2_iSB_SB_,"axG",@progbits,_Z38paged_attention_ll4mi_QKV_mfma4_kernelIDF16_hLN4vllm18Fp8KVCacheDataTypeE1EDF16_Li16ELi64ELi256ELb1ELi1EEvPKT_PKT0_S7_ifPKiS9_S9_iPKfiiiPfSC_PS2_PT2_iSB_SB_,comdat
	.protected	_Z38paged_attention_ll4mi_QKV_mfma4_kernelIDF16_hLN4vllm18Fp8KVCacheDataTypeE1EDF16_Li16ELi64ELi256ELb1ELi1EEvPKT_PKT0_S7_ifPKiS9_S9_iPKfiiiPfSC_PS2_PT2_iSB_SB_ ; -- Begin function _Z38paged_attention_ll4mi_QKV_mfma4_kernelIDF16_hLN4vllm18Fp8KVCacheDataTypeE1EDF16_Li16ELi64ELi256ELb1ELi1EEvPKT_PKT0_S7_ifPKiS9_S9_iPKfiiiPfSC_PS2_PT2_iSB_SB_
	.globl	_Z38paged_attention_ll4mi_QKV_mfma4_kernelIDF16_hLN4vllm18Fp8KVCacheDataTypeE1EDF16_Li16ELi64ELi256ELb1ELi1EEvPKT_PKT0_S7_ifPKiS9_S9_iPKfiiiPfSC_PS2_PT2_iSB_SB_
	.p2align	8
	.type	_Z38paged_attention_ll4mi_QKV_mfma4_kernelIDF16_hLN4vllm18Fp8KVCacheDataTypeE1EDF16_Li16ELi64ELi256ELb1ELi1EEvPKT_PKT0_S7_ifPKiS9_S9_iPKfiiiPfSC_PS2_PT2_iSB_SB_,@function
_Z38paged_attention_ll4mi_QKV_mfma4_kernelIDF16_hLN4vllm18Fp8KVCacheDataTypeE1EDF16_Li16ELi64ELi256ELb1ELi1EEvPKT_PKT0_S7_ifPKiS9_S9_iPKfiiiPfSC_PS2_PT2_iSB_SB_: ; @_Z38paged_attention_ll4mi_QKV_mfma4_kernelIDF16_hLN4vllm18Fp8KVCacheDataTypeE1EDF16_Li16ELi64ELi256ELb1ELi1EEvPKT_PKT0_S7_ifPKiS9_S9_iPKfiiiPfSC_PS2_PT2_iSB_SB_
; %bb.0:
	s_add_u32 s8, s0, 0x90
	s_addc_u32 s9, s1, 0
	s_getpc_b64 s[0:1]
	s_add_u32 s0, s0, __PRETTY_FUNCTION__._Z38paged_attention_ll4mi_QKV_mfma4_kernelIDF16_hLN4vllm18Fp8KVCacheDataTypeE1EDF16_Li16ELi64ELi256ELb1ELi1EEvPKT_PKT0_S7_ifPKiS9_S9_iPKfiiiPfSC_PS2_PT2_iSB_SB_@rel32@lo+4
	s_addc_u32 s1, s1, __PRETTY_FUNCTION__._Z38paged_attention_ll4mi_QKV_mfma4_kernelIDF16_hLN4vllm18Fp8KVCacheDataTypeE1EDF16_Li16ELi64ELi256ELb1ELi1EEvPKT_PKT0_S7_ifPKiS9_S9_iPKfiiiPfSC_PS2_PT2_iSB_SB_@rel32@hi+12
	s_delay_alu instid0(SALU_CYCLE_1) | instskip(SKIP_4) | instid1(SALU_CYCLE_1)
	v_dual_mov_b32 v0, s0 :: v_dual_mov_b32 v1, s1
	s_mov_b32 s32, 0
	s_getpc_b64 s[2:3]
	s_add_u32 s2, s2, __assert_fail@rel32@lo+4
	s_addc_u32 s3, s3, __assert_fail@rel32@hi+12
	s_swappc_b64 s[30:31], s[2:3]
	.section	.rodata,"a",@progbits
	.p2align	6, 0x0
	.amdhsa_kernel _Z38paged_attention_ll4mi_QKV_mfma4_kernelIDF16_hLN4vllm18Fp8KVCacheDataTypeE1EDF16_Li16ELi64ELi256ELb1ELi1EEvPKT_PKT0_S7_ifPKiS9_S9_iPKfiiiPfSC_PS2_PT2_iSB_SB_
		.amdhsa_group_segment_fixed_size 0
		.amdhsa_private_segment_fixed_size 64
		.amdhsa_kernarg_size 400
		.amdhsa_user_sgpr_count 15
		.amdhsa_user_sgpr_dispatch_ptr 0
		.amdhsa_user_sgpr_queue_ptr 0
		.amdhsa_user_sgpr_kernarg_segment_ptr 1
		.amdhsa_user_sgpr_dispatch_id 0
		.amdhsa_user_sgpr_private_segment_size 0
		.amdhsa_wavefront_size32 1
		.amdhsa_uses_dynamic_stack 0
		.amdhsa_enable_private_segment 1
		.amdhsa_system_sgpr_workgroup_id_x 1
		.amdhsa_system_sgpr_workgroup_id_y 0
		.amdhsa_system_sgpr_workgroup_id_z 0
		.amdhsa_system_sgpr_workgroup_info 0
		.amdhsa_system_vgpr_workitem_id 0
		.amdhsa_next_free_vgpr 41
		.amdhsa_next_free_sgpr 34
		.amdhsa_reserve_vcc 1
		.amdhsa_float_round_mode_32 0
		.amdhsa_float_round_mode_16_64 0
		.amdhsa_float_denorm_mode_32 3
		.amdhsa_float_denorm_mode_16_64 3
		.amdhsa_dx10_clamp 1
		.amdhsa_ieee_mode 1
		.amdhsa_fp16_overflow 0
		.amdhsa_workgroup_processor_mode 1
		.amdhsa_memory_ordered 1
		.amdhsa_forward_progress 0
		.amdhsa_shared_vgpr_count 0
		.amdhsa_exception_fp_ieee_invalid_op 0
		.amdhsa_exception_fp_denorm_src 0
		.amdhsa_exception_fp_ieee_div_zero 0
		.amdhsa_exception_fp_ieee_overflow 0
		.amdhsa_exception_fp_ieee_underflow 0
		.amdhsa_exception_fp_ieee_inexact 0
		.amdhsa_exception_int_div_zero 0
	.end_amdhsa_kernel
	.section	.text._Z38paged_attention_ll4mi_QKV_mfma4_kernelIDF16_hLN4vllm18Fp8KVCacheDataTypeE1EDF16_Li16ELi64ELi256ELb1ELi1EEvPKT_PKT0_S7_ifPKiS9_S9_iPKfiiiPfSC_PS2_PT2_iSB_SB_,"axG",@progbits,_Z38paged_attention_ll4mi_QKV_mfma4_kernelIDF16_hLN4vllm18Fp8KVCacheDataTypeE1EDF16_Li16ELi64ELi256ELb1ELi1EEvPKT_PKT0_S7_ifPKiS9_S9_iPKfiiiPfSC_PS2_PT2_iSB_SB_,comdat
.Lfunc_end810:
	.size	_Z38paged_attention_ll4mi_QKV_mfma4_kernelIDF16_hLN4vllm18Fp8KVCacheDataTypeE1EDF16_Li16ELi64ELi256ELb1ELi1EEvPKT_PKT0_S7_ifPKiS9_S9_iPKfiiiPfSC_PS2_PT2_iSB_SB_, .Lfunc_end810-_Z38paged_attention_ll4mi_QKV_mfma4_kernelIDF16_hLN4vllm18Fp8KVCacheDataTypeE1EDF16_Li16ELi64ELi256ELb1ELi1EEvPKT_PKT0_S7_ifPKiS9_S9_iPKfiiiPfSC_PS2_PT2_iSB_SB_
                                        ; -- End function
	.section	.AMDGPU.csdata,"",@progbits
; Kernel info:
; codeLenInByte = 72
; NumSgprs: 36
; NumVgprs: 41
; ScratchSize: 64
; MemoryBound: 0
; FloatMode: 240
; IeeeMode: 1
; LDSByteSize: 0 bytes/workgroup (compile time only)
; SGPRBlocks: 4
; VGPRBlocks: 5
; NumSGPRsForWavesPerEU: 36
; NumVGPRsForWavesPerEU: 41
; Occupancy: 16
; WaveLimiterHint : 1
; COMPUTE_PGM_RSRC2:SCRATCH_EN: 1
; COMPUTE_PGM_RSRC2:USER_SGPR: 15
; COMPUTE_PGM_RSRC2:TRAP_HANDLER: 0
; COMPUTE_PGM_RSRC2:TGID_X_EN: 1
; COMPUTE_PGM_RSRC2:TGID_Y_EN: 0
; COMPUTE_PGM_RSRC2:TGID_Z_EN: 0
; COMPUTE_PGM_RSRC2:TIDIG_COMP_CNT: 0
	.section	.text._Z38paged_attention_ll4mi_QKV_mfma4_kernelIDF16_hLN4vllm18Fp8KVCacheDataTypeE1EDF16_Li16ELi64ELi256ELb1ELi2EEvPKT_PKT0_S7_ifPKiS9_S9_iPKfiiiPfSC_PS2_PT2_iSB_SB_,"axG",@progbits,_Z38paged_attention_ll4mi_QKV_mfma4_kernelIDF16_hLN4vllm18Fp8KVCacheDataTypeE1EDF16_Li16ELi64ELi256ELb1ELi2EEvPKT_PKT0_S7_ifPKiS9_S9_iPKfiiiPfSC_PS2_PT2_iSB_SB_,comdat
	.protected	_Z38paged_attention_ll4mi_QKV_mfma4_kernelIDF16_hLN4vllm18Fp8KVCacheDataTypeE1EDF16_Li16ELi64ELi256ELb1ELi2EEvPKT_PKT0_S7_ifPKiS9_S9_iPKfiiiPfSC_PS2_PT2_iSB_SB_ ; -- Begin function _Z38paged_attention_ll4mi_QKV_mfma4_kernelIDF16_hLN4vllm18Fp8KVCacheDataTypeE1EDF16_Li16ELi64ELi256ELb1ELi2EEvPKT_PKT0_S7_ifPKiS9_S9_iPKfiiiPfSC_PS2_PT2_iSB_SB_
	.globl	_Z38paged_attention_ll4mi_QKV_mfma4_kernelIDF16_hLN4vllm18Fp8KVCacheDataTypeE1EDF16_Li16ELi64ELi256ELb1ELi2EEvPKT_PKT0_S7_ifPKiS9_S9_iPKfiiiPfSC_PS2_PT2_iSB_SB_
	.p2align	8
	.type	_Z38paged_attention_ll4mi_QKV_mfma4_kernelIDF16_hLN4vllm18Fp8KVCacheDataTypeE1EDF16_Li16ELi64ELi256ELb1ELi2EEvPKT_PKT0_S7_ifPKiS9_S9_iPKfiiiPfSC_PS2_PT2_iSB_SB_,@function
_Z38paged_attention_ll4mi_QKV_mfma4_kernelIDF16_hLN4vllm18Fp8KVCacheDataTypeE1EDF16_Li16ELi64ELi256ELb1ELi2EEvPKT_PKT0_S7_ifPKiS9_S9_iPKfiiiPfSC_PS2_PT2_iSB_SB_: ; @_Z38paged_attention_ll4mi_QKV_mfma4_kernelIDF16_hLN4vllm18Fp8KVCacheDataTypeE1EDF16_Li16ELi64ELi256ELb1ELi2EEvPKT_PKT0_S7_ifPKiS9_S9_iPKfiiiPfSC_PS2_PT2_iSB_SB_
; %bb.0:
	s_add_u32 s8, s0, 0x90
	s_addc_u32 s9, s1, 0
	s_getpc_b64 s[0:1]
	s_add_u32 s0, s0, __PRETTY_FUNCTION__._Z38paged_attention_ll4mi_QKV_mfma4_kernelIDF16_hLN4vllm18Fp8KVCacheDataTypeE1EDF16_Li16ELi64ELi256ELb1ELi2EEvPKT_PKT0_S7_ifPKiS9_S9_iPKfiiiPfSC_PS2_PT2_iSB_SB_@rel32@lo+4
	s_addc_u32 s1, s1, __PRETTY_FUNCTION__._Z38paged_attention_ll4mi_QKV_mfma4_kernelIDF16_hLN4vllm18Fp8KVCacheDataTypeE1EDF16_Li16ELi64ELi256ELb1ELi2EEvPKT_PKT0_S7_ifPKiS9_S9_iPKfiiiPfSC_PS2_PT2_iSB_SB_@rel32@hi+12
	s_delay_alu instid0(SALU_CYCLE_1) | instskip(SKIP_4) | instid1(SALU_CYCLE_1)
	v_dual_mov_b32 v0, s0 :: v_dual_mov_b32 v1, s1
	s_mov_b32 s32, 0
	s_getpc_b64 s[2:3]
	s_add_u32 s2, s2, __assert_fail@rel32@lo+4
	s_addc_u32 s3, s3, __assert_fail@rel32@hi+12
	s_swappc_b64 s[30:31], s[2:3]
	.section	.rodata,"a",@progbits
	.p2align	6, 0x0
	.amdhsa_kernel _Z38paged_attention_ll4mi_QKV_mfma4_kernelIDF16_hLN4vllm18Fp8KVCacheDataTypeE1EDF16_Li16ELi64ELi256ELb1ELi2EEvPKT_PKT0_S7_ifPKiS9_S9_iPKfiiiPfSC_PS2_PT2_iSB_SB_
		.amdhsa_group_segment_fixed_size 0
		.amdhsa_private_segment_fixed_size 64
		.amdhsa_kernarg_size 400
		.amdhsa_user_sgpr_count 15
		.amdhsa_user_sgpr_dispatch_ptr 0
		.amdhsa_user_sgpr_queue_ptr 0
		.amdhsa_user_sgpr_kernarg_segment_ptr 1
		.amdhsa_user_sgpr_dispatch_id 0
		.amdhsa_user_sgpr_private_segment_size 0
		.amdhsa_wavefront_size32 1
		.amdhsa_uses_dynamic_stack 0
		.amdhsa_enable_private_segment 1
		.amdhsa_system_sgpr_workgroup_id_x 1
		.amdhsa_system_sgpr_workgroup_id_y 0
		.amdhsa_system_sgpr_workgroup_id_z 0
		.amdhsa_system_sgpr_workgroup_info 0
		.amdhsa_system_vgpr_workitem_id 0
		.amdhsa_next_free_vgpr 41
		.amdhsa_next_free_sgpr 34
		.amdhsa_reserve_vcc 1
		.amdhsa_float_round_mode_32 0
		.amdhsa_float_round_mode_16_64 0
		.amdhsa_float_denorm_mode_32 3
		.amdhsa_float_denorm_mode_16_64 3
		.amdhsa_dx10_clamp 1
		.amdhsa_ieee_mode 1
		.amdhsa_fp16_overflow 0
		.amdhsa_workgroup_processor_mode 1
		.amdhsa_memory_ordered 1
		.amdhsa_forward_progress 0
		.amdhsa_shared_vgpr_count 0
		.amdhsa_exception_fp_ieee_invalid_op 0
		.amdhsa_exception_fp_denorm_src 0
		.amdhsa_exception_fp_ieee_div_zero 0
		.amdhsa_exception_fp_ieee_overflow 0
		.amdhsa_exception_fp_ieee_underflow 0
		.amdhsa_exception_fp_ieee_inexact 0
		.amdhsa_exception_int_div_zero 0
	.end_amdhsa_kernel
	.section	.text._Z38paged_attention_ll4mi_QKV_mfma4_kernelIDF16_hLN4vllm18Fp8KVCacheDataTypeE1EDF16_Li16ELi64ELi256ELb1ELi2EEvPKT_PKT0_S7_ifPKiS9_S9_iPKfiiiPfSC_PS2_PT2_iSB_SB_,"axG",@progbits,_Z38paged_attention_ll4mi_QKV_mfma4_kernelIDF16_hLN4vllm18Fp8KVCacheDataTypeE1EDF16_Li16ELi64ELi256ELb1ELi2EEvPKT_PKT0_S7_ifPKiS9_S9_iPKfiiiPfSC_PS2_PT2_iSB_SB_,comdat
.Lfunc_end811:
	.size	_Z38paged_attention_ll4mi_QKV_mfma4_kernelIDF16_hLN4vllm18Fp8KVCacheDataTypeE1EDF16_Li16ELi64ELi256ELb1ELi2EEvPKT_PKT0_S7_ifPKiS9_S9_iPKfiiiPfSC_PS2_PT2_iSB_SB_, .Lfunc_end811-_Z38paged_attention_ll4mi_QKV_mfma4_kernelIDF16_hLN4vllm18Fp8KVCacheDataTypeE1EDF16_Li16ELi64ELi256ELb1ELi2EEvPKT_PKT0_S7_ifPKiS9_S9_iPKfiiiPfSC_PS2_PT2_iSB_SB_
                                        ; -- End function
	.section	.AMDGPU.csdata,"",@progbits
; Kernel info:
; codeLenInByte = 72
; NumSgprs: 36
; NumVgprs: 41
; ScratchSize: 64
; MemoryBound: 0
; FloatMode: 240
; IeeeMode: 1
; LDSByteSize: 0 bytes/workgroup (compile time only)
; SGPRBlocks: 4
; VGPRBlocks: 5
; NumSGPRsForWavesPerEU: 36
; NumVGPRsForWavesPerEU: 41
; Occupancy: 16
; WaveLimiterHint : 1
; COMPUTE_PGM_RSRC2:SCRATCH_EN: 1
; COMPUTE_PGM_RSRC2:USER_SGPR: 15
; COMPUTE_PGM_RSRC2:TRAP_HANDLER: 0
; COMPUTE_PGM_RSRC2:TGID_X_EN: 1
; COMPUTE_PGM_RSRC2:TGID_Y_EN: 0
; COMPUTE_PGM_RSRC2:TGID_Z_EN: 0
; COMPUTE_PGM_RSRC2:TIDIG_COMP_CNT: 0
	.section	.text._Z38paged_attention_ll4mi_QKV_mfma4_kernelIDF16_hLN4vllm18Fp8KVCacheDataTypeE1EDF16_Li16ELi64ELi256ELb1ELi3EEvPKT_PKT0_S7_ifPKiS9_S9_iPKfiiiPfSC_PS2_PT2_iSB_SB_,"axG",@progbits,_Z38paged_attention_ll4mi_QKV_mfma4_kernelIDF16_hLN4vllm18Fp8KVCacheDataTypeE1EDF16_Li16ELi64ELi256ELb1ELi3EEvPKT_PKT0_S7_ifPKiS9_S9_iPKfiiiPfSC_PS2_PT2_iSB_SB_,comdat
	.protected	_Z38paged_attention_ll4mi_QKV_mfma4_kernelIDF16_hLN4vllm18Fp8KVCacheDataTypeE1EDF16_Li16ELi64ELi256ELb1ELi3EEvPKT_PKT0_S7_ifPKiS9_S9_iPKfiiiPfSC_PS2_PT2_iSB_SB_ ; -- Begin function _Z38paged_attention_ll4mi_QKV_mfma4_kernelIDF16_hLN4vllm18Fp8KVCacheDataTypeE1EDF16_Li16ELi64ELi256ELb1ELi3EEvPKT_PKT0_S7_ifPKiS9_S9_iPKfiiiPfSC_PS2_PT2_iSB_SB_
	.globl	_Z38paged_attention_ll4mi_QKV_mfma4_kernelIDF16_hLN4vllm18Fp8KVCacheDataTypeE1EDF16_Li16ELi64ELi256ELb1ELi3EEvPKT_PKT0_S7_ifPKiS9_S9_iPKfiiiPfSC_PS2_PT2_iSB_SB_
	.p2align	8
	.type	_Z38paged_attention_ll4mi_QKV_mfma4_kernelIDF16_hLN4vllm18Fp8KVCacheDataTypeE1EDF16_Li16ELi64ELi256ELb1ELi3EEvPKT_PKT0_S7_ifPKiS9_S9_iPKfiiiPfSC_PS2_PT2_iSB_SB_,@function
_Z38paged_attention_ll4mi_QKV_mfma4_kernelIDF16_hLN4vllm18Fp8KVCacheDataTypeE1EDF16_Li16ELi64ELi256ELb1ELi3EEvPKT_PKT0_S7_ifPKiS9_S9_iPKfiiiPfSC_PS2_PT2_iSB_SB_: ; @_Z38paged_attention_ll4mi_QKV_mfma4_kernelIDF16_hLN4vllm18Fp8KVCacheDataTypeE1EDF16_Li16ELi64ELi256ELb1ELi3EEvPKT_PKT0_S7_ifPKiS9_S9_iPKfiiiPfSC_PS2_PT2_iSB_SB_
; %bb.0:
	s_add_u32 s8, s0, 0x90
	s_addc_u32 s9, s1, 0
	s_getpc_b64 s[0:1]
	s_add_u32 s0, s0, __PRETTY_FUNCTION__._Z38paged_attention_ll4mi_QKV_mfma4_kernelIDF16_hLN4vllm18Fp8KVCacheDataTypeE1EDF16_Li16ELi64ELi256ELb1ELi3EEvPKT_PKT0_S7_ifPKiS9_S9_iPKfiiiPfSC_PS2_PT2_iSB_SB_@rel32@lo+4
	s_addc_u32 s1, s1, __PRETTY_FUNCTION__._Z38paged_attention_ll4mi_QKV_mfma4_kernelIDF16_hLN4vllm18Fp8KVCacheDataTypeE1EDF16_Li16ELi64ELi256ELb1ELi3EEvPKT_PKT0_S7_ifPKiS9_S9_iPKfiiiPfSC_PS2_PT2_iSB_SB_@rel32@hi+12
	s_delay_alu instid0(SALU_CYCLE_1) | instskip(SKIP_4) | instid1(SALU_CYCLE_1)
	v_dual_mov_b32 v0, s0 :: v_dual_mov_b32 v1, s1
	s_mov_b32 s32, 0
	s_getpc_b64 s[2:3]
	s_add_u32 s2, s2, __assert_fail@rel32@lo+4
	s_addc_u32 s3, s3, __assert_fail@rel32@hi+12
	s_swappc_b64 s[30:31], s[2:3]
	.section	.rodata,"a",@progbits
	.p2align	6, 0x0
	.amdhsa_kernel _Z38paged_attention_ll4mi_QKV_mfma4_kernelIDF16_hLN4vllm18Fp8KVCacheDataTypeE1EDF16_Li16ELi64ELi256ELb1ELi3EEvPKT_PKT0_S7_ifPKiS9_S9_iPKfiiiPfSC_PS2_PT2_iSB_SB_
		.amdhsa_group_segment_fixed_size 0
		.amdhsa_private_segment_fixed_size 64
		.amdhsa_kernarg_size 400
		.amdhsa_user_sgpr_count 15
		.amdhsa_user_sgpr_dispatch_ptr 0
		.amdhsa_user_sgpr_queue_ptr 0
		.amdhsa_user_sgpr_kernarg_segment_ptr 1
		.amdhsa_user_sgpr_dispatch_id 0
		.amdhsa_user_sgpr_private_segment_size 0
		.amdhsa_wavefront_size32 1
		.amdhsa_uses_dynamic_stack 0
		.amdhsa_enable_private_segment 1
		.amdhsa_system_sgpr_workgroup_id_x 1
		.amdhsa_system_sgpr_workgroup_id_y 0
		.amdhsa_system_sgpr_workgroup_id_z 0
		.amdhsa_system_sgpr_workgroup_info 0
		.amdhsa_system_vgpr_workitem_id 0
		.amdhsa_next_free_vgpr 41
		.amdhsa_next_free_sgpr 34
		.amdhsa_reserve_vcc 1
		.amdhsa_float_round_mode_32 0
		.amdhsa_float_round_mode_16_64 0
		.amdhsa_float_denorm_mode_32 3
		.amdhsa_float_denorm_mode_16_64 3
		.amdhsa_dx10_clamp 1
		.amdhsa_ieee_mode 1
		.amdhsa_fp16_overflow 0
		.amdhsa_workgroup_processor_mode 1
		.amdhsa_memory_ordered 1
		.amdhsa_forward_progress 0
		.amdhsa_shared_vgpr_count 0
		.amdhsa_exception_fp_ieee_invalid_op 0
		.amdhsa_exception_fp_denorm_src 0
		.amdhsa_exception_fp_ieee_div_zero 0
		.amdhsa_exception_fp_ieee_overflow 0
		.amdhsa_exception_fp_ieee_underflow 0
		.amdhsa_exception_fp_ieee_inexact 0
		.amdhsa_exception_int_div_zero 0
	.end_amdhsa_kernel
	.section	.text._Z38paged_attention_ll4mi_QKV_mfma4_kernelIDF16_hLN4vllm18Fp8KVCacheDataTypeE1EDF16_Li16ELi64ELi256ELb1ELi3EEvPKT_PKT0_S7_ifPKiS9_S9_iPKfiiiPfSC_PS2_PT2_iSB_SB_,"axG",@progbits,_Z38paged_attention_ll4mi_QKV_mfma4_kernelIDF16_hLN4vllm18Fp8KVCacheDataTypeE1EDF16_Li16ELi64ELi256ELb1ELi3EEvPKT_PKT0_S7_ifPKiS9_S9_iPKfiiiPfSC_PS2_PT2_iSB_SB_,comdat
.Lfunc_end812:
	.size	_Z38paged_attention_ll4mi_QKV_mfma4_kernelIDF16_hLN4vllm18Fp8KVCacheDataTypeE1EDF16_Li16ELi64ELi256ELb1ELi3EEvPKT_PKT0_S7_ifPKiS9_S9_iPKfiiiPfSC_PS2_PT2_iSB_SB_, .Lfunc_end812-_Z38paged_attention_ll4mi_QKV_mfma4_kernelIDF16_hLN4vllm18Fp8KVCacheDataTypeE1EDF16_Li16ELi64ELi256ELb1ELi3EEvPKT_PKT0_S7_ifPKiS9_S9_iPKfiiiPfSC_PS2_PT2_iSB_SB_
                                        ; -- End function
	.section	.AMDGPU.csdata,"",@progbits
; Kernel info:
; codeLenInByte = 72
; NumSgprs: 36
; NumVgprs: 41
; ScratchSize: 64
; MemoryBound: 0
; FloatMode: 240
; IeeeMode: 1
; LDSByteSize: 0 bytes/workgroup (compile time only)
; SGPRBlocks: 4
; VGPRBlocks: 5
; NumSGPRsForWavesPerEU: 36
; NumVGPRsForWavesPerEU: 41
; Occupancy: 16
; WaveLimiterHint : 1
; COMPUTE_PGM_RSRC2:SCRATCH_EN: 1
; COMPUTE_PGM_RSRC2:USER_SGPR: 15
; COMPUTE_PGM_RSRC2:TRAP_HANDLER: 0
; COMPUTE_PGM_RSRC2:TGID_X_EN: 1
; COMPUTE_PGM_RSRC2:TGID_Y_EN: 0
; COMPUTE_PGM_RSRC2:TGID_Z_EN: 0
; COMPUTE_PGM_RSRC2:TIDIG_COMP_CNT: 0
	.section	.text._Z38paged_attention_ll4mi_QKV_mfma4_kernelIDF16_hLN4vllm18Fp8KVCacheDataTypeE1EDF16_Li16ELi64ELi256ELb1ELi4EEvPKT_PKT0_S7_ifPKiS9_S9_iPKfiiiPfSC_PS2_PT2_iSB_SB_,"axG",@progbits,_Z38paged_attention_ll4mi_QKV_mfma4_kernelIDF16_hLN4vllm18Fp8KVCacheDataTypeE1EDF16_Li16ELi64ELi256ELb1ELi4EEvPKT_PKT0_S7_ifPKiS9_S9_iPKfiiiPfSC_PS2_PT2_iSB_SB_,comdat
	.protected	_Z38paged_attention_ll4mi_QKV_mfma4_kernelIDF16_hLN4vllm18Fp8KVCacheDataTypeE1EDF16_Li16ELi64ELi256ELb1ELi4EEvPKT_PKT0_S7_ifPKiS9_S9_iPKfiiiPfSC_PS2_PT2_iSB_SB_ ; -- Begin function _Z38paged_attention_ll4mi_QKV_mfma4_kernelIDF16_hLN4vllm18Fp8KVCacheDataTypeE1EDF16_Li16ELi64ELi256ELb1ELi4EEvPKT_PKT0_S7_ifPKiS9_S9_iPKfiiiPfSC_PS2_PT2_iSB_SB_
	.globl	_Z38paged_attention_ll4mi_QKV_mfma4_kernelIDF16_hLN4vllm18Fp8KVCacheDataTypeE1EDF16_Li16ELi64ELi256ELb1ELi4EEvPKT_PKT0_S7_ifPKiS9_S9_iPKfiiiPfSC_PS2_PT2_iSB_SB_
	.p2align	8
	.type	_Z38paged_attention_ll4mi_QKV_mfma4_kernelIDF16_hLN4vllm18Fp8KVCacheDataTypeE1EDF16_Li16ELi64ELi256ELb1ELi4EEvPKT_PKT0_S7_ifPKiS9_S9_iPKfiiiPfSC_PS2_PT2_iSB_SB_,@function
_Z38paged_attention_ll4mi_QKV_mfma4_kernelIDF16_hLN4vllm18Fp8KVCacheDataTypeE1EDF16_Li16ELi64ELi256ELb1ELi4EEvPKT_PKT0_S7_ifPKiS9_S9_iPKfiiiPfSC_PS2_PT2_iSB_SB_: ; @_Z38paged_attention_ll4mi_QKV_mfma4_kernelIDF16_hLN4vllm18Fp8KVCacheDataTypeE1EDF16_Li16ELi64ELi256ELb1ELi4EEvPKT_PKT0_S7_ifPKiS9_S9_iPKfiiiPfSC_PS2_PT2_iSB_SB_
; %bb.0:
	s_add_u32 s8, s0, 0x90
	s_addc_u32 s9, s1, 0
	s_getpc_b64 s[0:1]
	s_add_u32 s0, s0, __PRETTY_FUNCTION__._Z38paged_attention_ll4mi_QKV_mfma4_kernelIDF16_hLN4vllm18Fp8KVCacheDataTypeE1EDF16_Li16ELi64ELi256ELb1ELi4EEvPKT_PKT0_S7_ifPKiS9_S9_iPKfiiiPfSC_PS2_PT2_iSB_SB_@rel32@lo+4
	s_addc_u32 s1, s1, __PRETTY_FUNCTION__._Z38paged_attention_ll4mi_QKV_mfma4_kernelIDF16_hLN4vllm18Fp8KVCacheDataTypeE1EDF16_Li16ELi64ELi256ELb1ELi4EEvPKT_PKT0_S7_ifPKiS9_S9_iPKfiiiPfSC_PS2_PT2_iSB_SB_@rel32@hi+12
	s_delay_alu instid0(SALU_CYCLE_1) | instskip(SKIP_4) | instid1(SALU_CYCLE_1)
	v_dual_mov_b32 v0, s0 :: v_dual_mov_b32 v1, s1
	s_mov_b32 s32, 0
	s_getpc_b64 s[2:3]
	s_add_u32 s2, s2, __assert_fail@rel32@lo+4
	s_addc_u32 s3, s3, __assert_fail@rel32@hi+12
	s_swappc_b64 s[30:31], s[2:3]
	.section	.rodata,"a",@progbits
	.p2align	6, 0x0
	.amdhsa_kernel _Z38paged_attention_ll4mi_QKV_mfma4_kernelIDF16_hLN4vllm18Fp8KVCacheDataTypeE1EDF16_Li16ELi64ELi256ELb1ELi4EEvPKT_PKT0_S7_ifPKiS9_S9_iPKfiiiPfSC_PS2_PT2_iSB_SB_
		.amdhsa_group_segment_fixed_size 0
		.amdhsa_private_segment_fixed_size 64
		.amdhsa_kernarg_size 400
		.amdhsa_user_sgpr_count 15
		.amdhsa_user_sgpr_dispatch_ptr 0
		.amdhsa_user_sgpr_queue_ptr 0
		.amdhsa_user_sgpr_kernarg_segment_ptr 1
		.amdhsa_user_sgpr_dispatch_id 0
		.amdhsa_user_sgpr_private_segment_size 0
		.amdhsa_wavefront_size32 1
		.amdhsa_uses_dynamic_stack 0
		.amdhsa_enable_private_segment 1
		.amdhsa_system_sgpr_workgroup_id_x 1
		.amdhsa_system_sgpr_workgroup_id_y 0
		.amdhsa_system_sgpr_workgroup_id_z 0
		.amdhsa_system_sgpr_workgroup_info 0
		.amdhsa_system_vgpr_workitem_id 0
		.amdhsa_next_free_vgpr 41
		.amdhsa_next_free_sgpr 34
		.amdhsa_reserve_vcc 1
		.amdhsa_float_round_mode_32 0
		.amdhsa_float_round_mode_16_64 0
		.amdhsa_float_denorm_mode_32 3
		.amdhsa_float_denorm_mode_16_64 3
		.amdhsa_dx10_clamp 1
		.amdhsa_ieee_mode 1
		.amdhsa_fp16_overflow 0
		.amdhsa_workgroup_processor_mode 1
		.amdhsa_memory_ordered 1
		.amdhsa_forward_progress 0
		.amdhsa_shared_vgpr_count 0
		.amdhsa_exception_fp_ieee_invalid_op 0
		.amdhsa_exception_fp_denorm_src 0
		.amdhsa_exception_fp_ieee_div_zero 0
		.amdhsa_exception_fp_ieee_overflow 0
		.amdhsa_exception_fp_ieee_underflow 0
		.amdhsa_exception_fp_ieee_inexact 0
		.amdhsa_exception_int_div_zero 0
	.end_amdhsa_kernel
	.section	.text._Z38paged_attention_ll4mi_QKV_mfma4_kernelIDF16_hLN4vllm18Fp8KVCacheDataTypeE1EDF16_Li16ELi64ELi256ELb1ELi4EEvPKT_PKT0_S7_ifPKiS9_S9_iPKfiiiPfSC_PS2_PT2_iSB_SB_,"axG",@progbits,_Z38paged_attention_ll4mi_QKV_mfma4_kernelIDF16_hLN4vllm18Fp8KVCacheDataTypeE1EDF16_Li16ELi64ELi256ELb1ELi4EEvPKT_PKT0_S7_ifPKiS9_S9_iPKfiiiPfSC_PS2_PT2_iSB_SB_,comdat
.Lfunc_end813:
	.size	_Z38paged_attention_ll4mi_QKV_mfma4_kernelIDF16_hLN4vllm18Fp8KVCacheDataTypeE1EDF16_Li16ELi64ELi256ELb1ELi4EEvPKT_PKT0_S7_ifPKiS9_S9_iPKfiiiPfSC_PS2_PT2_iSB_SB_, .Lfunc_end813-_Z38paged_attention_ll4mi_QKV_mfma4_kernelIDF16_hLN4vllm18Fp8KVCacheDataTypeE1EDF16_Li16ELi64ELi256ELb1ELi4EEvPKT_PKT0_S7_ifPKiS9_S9_iPKfiiiPfSC_PS2_PT2_iSB_SB_
                                        ; -- End function
	.section	.AMDGPU.csdata,"",@progbits
; Kernel info:
; codeLenInByte = 72
; NumSgprs: 36
; NumVgprs: 41
; ScratchSize: 64
; MemoryBound: 0
; FloatMode: 240
; IeeeMode: 1
; LDSByteSize: 0 bytes/workgroup (compile time only)
; SGPRBlocks: 4
; VGPRBlocks: 5
; NumSGPRsForWavesPerEU: 36
; NumVGPRsForWavesPerEU: 41
; Occupancy: 16
; WaveLimiterHint : 1
; COMPUTE_PGM_RSRC2:SCRATCH_EN: 1
; COMPUTE_PGM_RSRC2:USER_SGPR: 15
; COMPUTE_PGM_RSRC2:TRAP_HANDLER: 0
; COMPUTE_PGM_RSRC2:TGID_X_EN: 1
; COMPUTE_PGM_RSRC2:TGID_Y_EN: 0
; COMPUTE_PGM_RSRC2:TGID_Z_EN: 0
; COMPUTE_PGM_RSRC2:TIDIG_COMP_CNT: 0
	.section	.text._Z39paged_attention_ll4mi_QKV_mfma16_kernelIDF16_hLN4vllm18Fp8KVCacheDataTypeE1EDF16_Li16ELi64ELi256ELb1ELi5EL8MFMAType1EEvPKT_PKT0_S8_ifPKiSA_SA_iPKfiiiPfSD_PS3_PT2_iSC_SC_,"axG",@progbits,_Z39paged_attention_ll4mi_QKV_mfma16_kernelIDF16_hLN4vllm18Fp8KVCacheDataTypeE1EDF16_Li16ELi64ELi256ELb1ELi5EL8MFMAType1EEvPKT_PKT0_S8_ifPKiSA_SA_iPKfiiiPfSD_PS3_PT2_iSC_SC_,comdat
	.protected	_Z39paged_attention_ll4mi_QKV_mfma16_kernelIDF16_hLN4vllm18Fp8KVCacheDataTypeE1EDF16_Li16ELi64ELi256ELb1ELi5EL8MFMAType1EEvPKT_PKT0_S8_ifPKiSA_SA_iPKfiiiPfSD_PS3_PT2_iSC_SC_ ; -- Begin function _Z39paged_attention_ll4mi_QKV_mfma16_kernelIDF16_hLN4vllm18Fp8KVCacheDataTypeE1EDF16_Li16ELi64ELi256ELb1ELi5EL8MFMAType1EEvPKT_PKT0_S8_ifPKiSA_SA_iPKfiiiPfSD_PS3_PT2_iSC_SC_
	.globl	_Z39paged_attention_ll4mi_QKV_mfma16_kernelIDF16_hLN4vllm18Fp8KVCacheDataTypeE1EDF16_Li16ELi64ELi256ELb1ELi5EL8MFMAType1EEvPKT_PKT0_S8_ifPKiSA_SA_iPKfiiiPfSD_PS3_PT2_iSC_SC_
	.p2align	8
	.type	_Z39paged_attention_ll4mi_QKV_mfma16_kernelIDF16_hLN4vllm18Fp8KVCacheDataTypeE1EDF16_Li16ELi64ELi256ELb1ELi5EL8MFMAType1EEvPKT_PKT0_S8_ifPKiSA_SA_iPKfiiiPfSD_PS3_PT2_iSC_SC_,@function
_Z39paged_attention_ll4mi_QKV_mfma16_kernelIDF16_hLN4vllm18Fp8KVCacheDataTypeE1EDF16_Li16ELi64ELi256ELb1ELi5EL8MFMAType1EEvPKT_PKT0_S8_ifPKiSA_SA_iPKfiiiPfSD_PS3_PT2_iSC_SC_: ; @_Z39paged_attention_ll4mi_QKV_mfma16_kernelIDF16_hLN4vllm18Fp8KVCacheDataTypeE1EDF16_Li16ELi64ELi256ELb1ELi5EL8MFMAType1EEvPKT_PKT0_S8_ifPKiSA_SA_iPKfiiiPfSD_PS3_PT2_iSC_SC_
; %bb.0:
	s_load_b64 s[2:3], s[0:1], 0x30
	s_mov_b32 s34, s13
	s_waitcnt lgkmcnt(0)
	s_cmp_lg_u64 s[2:3], 0
	s_cselect_b32 s6, -1, 0
	s_ashr_i32 s35, s13, 31
	s_cmp_eq_u64 s[2:3], 0
	s_cbranch_scc1 .LBB814_3
; %bb.1:
	s_lshl_b64 s[4:5], s[34:35], 2
	s_delay_alu instid0(SALU_CYCLE_1) | instskip(SKIP_4) | instid1(SALU_CYCLE_1)
	s_add_u32 s4, s2, s4
	s_addc_u32 s5, s3, s5
	s_load_b64 s[4:5], s[4:5], 0x0
	s_waitcnt lgkmcnt(0)
	s_sub_i32 s4, s5, s4
	s_cmp_eq_u32 s4, 1
	s_cselect_b32 s4, -1, 0
	s_delay_alu instid0(SALU_CYCLE_1)
	s_and_not1_b32 vcc_lo, exec_lo, s4
	s_cbranch_vccz .LBB814_4
.LBB814_2:
	s_nop 0
	s_sendmsg sendmsg(MSG_DEALLOC_VGPRS)
	s_endpgm
.LBB814_3:
.LBB814_4:
	s_load_b64 s[8:9], s[0:1], 0x28
	s_lshl_b64 s[4:5], s[34:35], 2
	s_waitcnt lgkmcnt(0)
	s_add_u32 s8, s8, s4
	s_addc_u32 s9, s9, s5
	s_lshl_b32 s16, s14, 8
	s_load_b32 s18, s[8:9], 0x0
	s_waitcnt lgkmcnt(0)
	s_cmp_ge_i32 s16, s18
	s_cbranch_scc1 .LBB814_2
; %bb.5:
	s_clause 0x1
	s_load_b128 s[8:11], s[0:1], 0x8
	s_load_b64 s[12:13], s[0:1], 0x20
	s_and_not1_b32 vcc_lo, exec_lo, s6
	s_cbranch_vccnz .LBB814_7
; %bb.6:
	s_add_u32 s2, s2, s4
	s_addc_u32 s3, s3, s5
	s_load_b32 s3, s[2:3], 0x0
	s_branch .LBB814_8
.LBB814_7:
	s_mov_b32 s3, s34
.LBB814_8:
	s_load_b128 s[4:7], s[0:1], 0x48
	v_lshrrev_b32_e32 v69, 5, v0
	v_bfe_u32 v66, v0, 4, 1
	v_and_b32_e32 v68, 15, v0
	v_and_b32_e32 v70, 31, v0
	;; [unrolled: 1-line block ×3, first 2 shown]
	s_mul_i32 s33, s15, 5
	v_lshl_or_b32 v1, v69, 1, v66
	v_lshlrev_b32_e32 v2, 3, v68
	v_cmp_gt_u32_e64 s2, 8, v68
	s_delay_alu instid0(VALU_DEP_3) | instskip(NEXT) | instid1(VALU_DEP_3)
	v_cmp_gt_u32_e32 vcc_lo, 5, v1
	v_lshlrev_b32_e32 v65, 1, v2
	s_delay_alu instid0(VALU_DEP_3)
	s_and_b32 s17, s2, vcc_lo
	s_waitcnt lgkmcnt(0)
	s_and_saveexec_b32 s7, s17
	s_cbranch_execz .LBB814_10
; %bb.9:
	s_load_b64 s[20:21], s[0:1], 0x0
	v_add_lshl_u32 v2, v1, s33, 6
	s_mul_hi_i32 s23, s3, s4
	s_mul_i32 s22, s3, s4
	v_lshlrev_b32_e32 v6, 10, v68
	s_lshl_b64 s[22:23], s[22:23], 1
	v_ashrrev_i32_e32 v3, 31, v2
	v_lshlrev_b32_e32 v1, 6, v1
	v_lshlrev_b32_e32 v7, 10, v67
	v_and_b32_e32 v6, 0x3800, v6
	s_delay_alu instid0(VALU_DEP_4) | instskip(NEXT) | instid1(VALU_DEP_2)
	v_lshlrev_b64 v[2:3], 1, v[2:3]
	v_or3_b32 v1, v6, v7, v1
	s_waitcnt lgkmcnt(0)
	s_add_u32 s3, s20, s22
	s_addc_u32 s4, s21, s23
	s_delay_alu instid0(VALU_DEP_2) | instskip(SKIP_1) | instid1(VALU_DEP_2)
	v_add_co_u32 v2, vcc_lo, s3, v2
	v_add_co_ci_u32_e32 v3, vcc_lo, s4, v3, vcc_lo
	v_add_co_u32 v2, vcc_lo, v2, v65
	s_delay_alu instid0(VALU_DEP_2)
	v_add_co_ci_u32_e32 v3, vcc_lo, 0, v3, vcc_lo
	global_load_b128 v[2:5], v[2:3], off
	s_waitcnt vmcnt(0)
	ds_store_b128 v1, v[2:5]
.LBB814_10:
	s_or_b32 exec_lo, exec_lo, s7
	v_and_b32_e32 v1, 0xef, v0
	s_add_i32 s3, s18, 15
	s_clause 0x1
	s_load_b32 s4, s[0:1], 0x38
	s_load_b32 s35, s[0:1], 0x98
	s_ashr_i32 s7, s3, 31
	v_add_nc_u32_e32 v1, s16, v1
	s_lshr_b32 s7, s7, 28
	s_load_b32 s19, s[0:1], 0x1c
	s_add_i32 s3, s3, s7
	s_waitcnt lgkmcnt(0)
	v_ashrrev_i32_e32 v2, 31, v1
	v_or_b32_e32 v3, 16, v1
	s_ashr_i32 s3, s3, 4
	v_cmp_gt_i32_e32 vcc_lo, s18, v1
	s_add_i32 s3, s3, -1
	v_lshrrev_b32_e32 v2, 28, v2
	s_barrier
	buffer_gl0_inv
	s_mul_i32 s15, s15, s6
	v_mul_lo_u16 v103, v68, 52
	v_add_nc_u32_e32 v4, v1, v2
	v_mbcnt_lo_u32_b32 v127, -1, 0
	s_mul_i32 s20, s34, s4
	s_delay_alu instid0(SALU_CYCLE_1) | instskip(NEXT) | instid1(VALU_DEP_2)
	s_ashr_i32 s21, s20, 31
	v_ashrrev_i32_e32 v4, 4, v4
	v_add_nc_u32_e32 v2, v3, v2
	s_lshl_b64 s[20:21], s[20:21], 2
	v_lshrrev_b16 v103, 8, v103
	s_add_u32 s17, s12, s20
	v_cndmask_b32_e32 v1, s3, v4, vcc_lo
	v_ashrrev_i32_e32 v2, 4, v2
	v_cmp_gt_i32_e32 vcc_lo, s18, v3
	s_addc_u32 s13, s13, s21
	s_ashr_i32 s20, s15, 31
	s_add_u32 s4, s8, s15
	s_addc_u32 s12, s9, s20
	v_cndmask_b32_e32 v3, s3, v2, vcc_lo
	v_ashrrev_i32_e32 v2, 31, v1
	s_lshl_b32 s6, s14, 4
	v_mul_lo_u16 v103, v103, 5
	s_ashr_i32 s7, s6, 31
	v_ashrrev_i32_e32 v4, 31, v3
	v_lshlrev_b64 v[1:2], 2, v[1:2]
	s_lshl_b64 s[6:7], s[6:7], 2
	v_sub_nc_u16 v103, v68, v103
	s_add_u32 s6, s17, s6
	v_lshlrev_b64 v[3:4], 2, v[3:4]
	s_addc_u32 s7, s13, s7
	v_add_co_u32 v1, vcc_lo, s17, v1
	v_add_co_ci_u32_e32 v2, vcc_lo, s13, v2, vcc_lo
	s_delay_alu instid0(VALU_DEP_3) | instskip(NEXT) | instid1(VALU_DEP_4)
	v_add_co_u32 v3, vcc_lo, s17, v3
	v_add_co_ci_u32_e32 v4, vcc_lo, s13, v4, vcc_lo
	s_clause 0x1
	global_load_b32 v5, v[1:2], off
	global_load_b32 v7, v[3:4], off
	s_or_b32 s8, s16, 32
	v_lshlrev_b32_e32 v1, 4, v0
	s_ashr_i32 s9, s8, 4
	s_cmp_lt_i32 s8, s18
	v_xor_b32_e32 v128, 16, v127
	s_cselect_b32 s8, s9, s3
	v_and_b32_e32 v1, 0xf0, v1
	s_ashr_i32 s9, s8, 31
	s_delay_alu instid0(SALU_CYCLE_1)
	s_lshl_b64 s[8:9], s[8:9], 2
	v_cmp_gt_i32_e32 vcc_lo, 32, v128
	s_add_u32 s8, s17, s8
	s_addc_u32 s9, s13, s9
	s_or_b32 s21, s16, 64
	v_add_co_u32 v1, s4, s4, v1
	s_ashr_i32 s22, s21, 4
	s_cmp_lt_i32 s21, s18
	v_add_co_ci_u32_e64 v2, null, s12, 0, s4
	s_cselect_b32 s22, s22, s3
	v_dual_cndmask_b32 v136, v127, v128 :: v_dual_and_b32 v103, 0xff, v103
	s_ashr_i32 s23, s22, 31
	s_delay_alu instid0(SALU_CYCLE_1) | instskip(NEXT) | instid1(VALU_DEP_1)
	s_lshl_b64 s[22:23], s[22:23], 2
	v_lshlrev_b32_e32 v115, 6, v103
	s_add_u32 s22, s17, s22
	s_addc_u32 s23, s13, s23
	s_or_b32 s21, s16, 0x60
	s_delay_alu instid0(SALU_CYCLE_1) | instskip(SKIP_2) | instid1(SALU_CYCLE_1)
	s_ashr_i32 s24, s21, 4
	s_cmp_lt_i32 s21, s18
	s_cselect_b32 s24, s24, s3
	s_ashr_i32 s25, s24, 31
	s_delay_alu instid0(SALU_CYCLE_1) | instskip(NEXT) | instid1(SALU_CYCLE_1)
	s_lshl_b64 s[24:25], s[24:25], 2
	s_add_u32 s24, s17, s24
	s_addc_u32 s25, s13, s25
	s_or_b32 s21, s16, 0x80
	s_delay_alu instid0(SALU_CYCLE_1) | instskip(SKIP_2) | instid1(SALU_CYCLE_1)
	s_ashr_i32 s26, s21, 4
	s_cmp_lt_i32 s21, s18
	s_cselect_b32 s26, s26, s3
	s_ashr_i32 s27, s26, 31
	s_delay_alu instid0(SALU_CYCLE_1) | instskip(NEXT) | instid1(SALU_CYCLE_1)
	s_lshl_b64 s[26:27], s[26:27], 2
	;; [unrolled: 10-line block ×3, first 2 shown]
	s_add_u32 s28, s17, s28
	s_addc_u32 s29, s13, s29
	s_clause 0x5
	s_load_b32 s12, s[6:7], 0x0
	s_load_b32 s4, s[8:9], 0x0
	;; [unrolled: 1-line block ×6, first 2 shown]
	s_or_b32 s21, s16, 0xc0
	s_delay_alu instid0(SALU_CYCLE_1) | instskip(SKIP_2) | instid1(SALU_CYCLE_1)
	s_ashr_i32 s22, s21, 4
	s_cmp_lt_i32 s21, s18
	s_cselect_b32 s22, s22, s3
	s_ashr_i32 s23, s22, 31
	s_delay_alu instid0(SALU_CYCLE_1) | instskip(NEXT) | instid1(SALU_CYCLE_1)
	s_lshl_b64 s[22:23], s[22:23], 2
	s_add_u32 s22, s17, s22
	s_addc_u32 s23, s13, s23
	s_or_b32 s21, s16, 0xe0
	s_delay_alu instid0(SALU_CYCLE_1) | instskip(SKIP_2) | instid1(SALU_CYCLE_1)
	s_ashr_i32 s24, s21, 4
	s_cmp_lt_i32 s21, s18
	s_cselect_b32 s24, s24, s3
	s_ashr_i32 s25, s24, 31
	s_delay_alu instid0(SALU_CYCLE_1)
	s_lshl_b64 s[24:25], s[24:25], 2
	s_waitcnt vmcnt(1)
	v_mad_i64_i32 v[3:4], null, v5, s5, v[1:2]
	s_waitcnt vmcnt(0)
	v_mad_i64_i32 v[5:6], null, v7, s5, v[1:2]
	v_lshlrev_b32_e32 v1, 4, v68
	s_clause 0x7
	global_load_b128 v[71:74], v[3:4], off
	global_load_b128 v[75:78], v[3:4], off offset:256
	global_load_b128 v[79:82], v[5:6], off
	global_load_b128 v[83:86], v[5:6], off offset:256
	global_load_b128 v[87:90], v[3:4], off offset:512
	;; [unrolled: 1-line block ×5, first 2 shown]
	v_lshl_or_b32 v1, v69, 8, v1
	s_load_b32 s3, s[22:23], 0x0
	s_add_u32 s22, s17, s24
	s_addc_u32 s23, s13, s25
	s_add_u32 s10, s10, s15
	s_addc_u32 s11, s11, s20
	v_add_co_u32 v1, s10, s10, v1
	s_delay_alu instid0(VALU_DEP_1) | instskip(SKIP_2) | instid1(VALU_DEP_1)
	v_add_co_ci_u32_e64 v2, null, s11, 0, s10
	s_load_b32 s10, s[22:23], 0x0
	s_waitcnt lgkmcnt(0)
	v_mad_i64_i32 v[3:4], null, s12, s5, v[1:2]
	v_mad_i64_i32 v[9:10], null, s7, s5, v[1:2]
	;; [unrolled: 1-line block ×7, first 2 shown]
	s_clause 0x5
	global_load_b128 v[49:52], v[3:4], off
	global_load_b128 v[53:56], v[3:4], off offset:16
	global_load_b128 v[41:44], v[5:6], off
	global_load_b128 v[45:48], v[5:6], off offset:16
	;; [unrolled: 2-line block ×3, first 2 shown]
	s_mov_b32 s4, 0
	v_mad_i64_i32 v[61:62], null, s10, s5, v[1:2]
	s_clause 0x9
	global_load_b128 v[1:4], v[9:10], off
	global_load_b128 v[5:8], v[9:10], off offset:16
	global_load_b128 v[9:12], v[13:14], off
	global_load_b128 v[13:16], v[13:14], off offset:16
	;; [unrolled: 2-line block ×5, first 2 shown]
	s_mov_b32 s5, s4
	s_mov_b32 s6, s4
	;; [unrolled: 1-line block ×7, first 2 shown]
	v_and_b32_e32 v104, 0xe0, v0
	v_dual_mov_b32 v126, s11 :: v_dual_mov_b32 v123, s8
	v_dual_mov_b32 v125, s10 :: v_dual_mov_b32 v124, s9
	s_delay_alu instid0(VALU_DEP_3)
	v_add_nc_u32_e32 v111, s16, v104
	ds_load_b128 v[103:106], v115
	ds_load_b128 v[107:110], v115 offset:1024
	v_dual_mov_b32 v122, s7 :: v_dual_mov_b32 v121, s6
	v_mov_b32_e32 v120, s5
	v_or_b32_e32 v135, v111, v66
	ds_load_b128 v[111:114], v115 offset:2048
	ds_load_b128 v[115:118], v115 offset:3072
	v_mov_b32_e32 v119, s4
	s_waitcnt vmcnt(0) lgkmcnt(0)
	s_barrier
	v_or_b32_e32 v137, 2, v135
	v_or_b32_e32 v138, 4, v135
	;; [unrolled: 1-line block ×3, first 2 shown]
	v_cmp_gt_i32_e32 vcc_lo, s18, v135
	v_or_b32_e32 v140, 8, v135
	v_cmp_gt_i32_e64 s3, s18, v137
	v_or_b32_e32 v141, 10, v135
	v_cmp_gt_i32_e64 s4, s18, v138
	v_cmp_gt_i32_e64 s5, s18, v139
	v_or_b32_e32 v142, 12, v135
	v_or_b32_e32 v143, 14, v135
	v_cmp_gt_i32_e64 s6, s18, v140
	v_cmp_gt_i32_e64 s7, s18, v141
	v_or_b32_e32 v144, 16, v135
	v_or_b32_e32 v145, 18, v135
	v_cmp_gt_i32_e64 s8, s18, v142
	v_cmp_gt_i32_e64 s9, s18, v143
	buffer_gl0_inv
	v_cmp_gt_i32_e64 s10, s18, v144
	v_cmp_gt_i32_e64 s11, s18, v145
	v_wmma_f32_16x16x16_f16 v[127:134], v[71:78], v[103:110], v[119:126]
	v_wmma_f32_16x16x16_f16 v[119:126], v[79:86], v[103:110], v[119:126]
	v_or_b32_e32 v71, 20, v135
	v_or_b32_e32 v72, 22, v135
	s_delay_alu instid0(VALU_DEP_4)
	v_wmma_f32_16x16x16_f16 v[127:134], v[87:94], v[111:118], v[127:134]
	v_or_b32_e32 v73, 24, v135
	v_wmma_f32_16x16x16_f16 v[119:126], v[95:102], v[111:118], v[119:126]
	v_or_b32_e32 v74, 26, v135
	v_cmp_gt_i32_e64 s12, s18, v71
	v_dual_mul_f32 v83, s19, v128 :: v_dual_mul_f32 v84, s19, v127
	s_delay_alu instid0(VALU_DEP_4) | instskip(SKIP_1) | instid1(VALU_DEP_3)
	v_dual_mul_f32 v81, s19, v130 :: v_dual_mul_f32 v92, s19, v119
	v_mul_f32_e32 v82, s19, v129
	v_cndmask_b32_e64 v83, 0xff7fffff, v83, s3
	s_delay_alu instid0(VALU_DEP_4)
	v_cndmask_b32_e32 v84, 0xff7fffff, v84, vcc_lo
	v_dual_mul_f32 v79, s19, v132 :: v_dual_mul_f32 v90, s19, v121
	v_mul_f32_e32 v80, s19, v131
	v_cndmask_b32_e64 v82, 0xff7fffff, v82, s4
	v_cndmask_b32_e64 v81, 0xff7fffff, v81, s5
	v_max3_f32 v83, v84, 0xff7fffff, v83
	v_dual_mul_f32 v77, s19, v134 :: v_dual_mul_f32 v88, s19, v123
	v_mul_f32_e32 v78, s19, v133
	v_cndmask_b32_e64 v80, 0xff7fffff, v80, s6
	v_cndmask_b32_e64 v79, 0xff7fffff, v79, s7
	v_max3_f32 v81, v83, v82, v81
	v_mul_f32_e32 v91, s19, v120
	v_cndmask_b32_e64 v78, 0xff7fffff, v78, s8
	v_cndmask_b32_e64 v77, 0xff7fffff, v77, s9
	v_mul_f32_e32 v89, s19, v122
	v_max3_f32 v79, v81, v80, v79
	v_cndmask_b32_e64 v80, 0xff7fffff, v92, s10
	v_cndmask_b32_e64 v81, 0xff7fffff, v91, s11
	v_cmp_gt_i32_e64 s13, s18, v72
	v_or_b32_e32 v75, 28, v135
	v_max3_f32 v77, v79, v78, v77
	v_or_b32_e32 v76, 30, v135
	v_mul_f32_e32 v87, s19, v124
	v_cndmask_b32_e64 v71, 0xff7fffff, v90, s12
	v_cndmask_b32_e64 v72, 0xff7fffff, v89, s13
	v_max3_f32 v77, v77, v80, v81
	v_cmp_gt_i32_e64 s15, s18, v73
	v_cmp_gt_i32_e64 s16, s18, v74
	v_dual_mul_f32 v85, s19, v126 :: v_dual_mul_f32 v86, s19, v125
	s_delay_alu instid0(VALU_DEP_4) | instskip(NEXT) | instid1(VALU_DEP_4)
	v_max3_f32 v71, v77, v71, v72
	v_cndmask_b32_e64 v73, 0xff7fffff, v88, s15
	s_delay_alu instid0(VALU_DEP_4) | instskip(SKIP_2) | instid1(VALU_DEP_3)
	v_cndmask_b32_e64 v74, 0xff7fffff, v87, s16
	v_cmp_gt_i32_e64 s17, s18, v75
	v_cmp_gt_i32_e64 s18, s18, v76
	v_max3_f32 v71, v71, v73, v74
	s_delay_alu instid0(VALU_DEP_3) | instskip(NEXT) | instid1(VALU_DEP_3)
	v_cndmask_b32_e64 v72, 0xff7fffff, v86, s17
	v_cndmask_b32_e64 v75, 0xff7fffff, v85, s18
	v_lshlrev_b32_e32 v73, 2, v136
	s_delay_alu instid0(VALU_DEP_2) | instskip(SKIP_3) | instid1(VALU_DEP_1)
	v_max3_f32 v71, v71, v72, v75
	ds_bpermute_b32 v72, v73, v71
	s_waitcnt lgkmcnt(0)
	v_max_f32_e32 v72, v72, v72
	v_max_f32_e32 v71, v71, v72
	s_delay_alu instid0(VALU_DEP_1)
	v_fma_f32 v72, s19, v127, -v71
	v_fma_f32 v74, s19, v128, -v71
	;; [unrolled: 1-line block ×5, first 2 shown]
	v_mul_f32_e32 v72, 0x3fb8aa3b, v72
	v_mul_f32_e32 v74, 0x3fb8aa3b, v74
	v_fma_f32 v80, s19, v133, -v71
	s_delay_alu instid0(VALU_DEP_4) | instskip(NEXT) | instid1(VALU_DEP_4)
	v_dual_mul_f32 v76, 0x3fb8aa3b, v76 :: v_dual_mul_f32 v77, 0x3fb8aa3b, v77
	v_exp_f32_e32 v72, v72
	s_delay_alu instid0(VALU_DEP_3) | instskip(NEXT) | instid1(VALU_DEP_2)
	v_exp_f32_e32 v74, v74
	v_mul_f32_e32 v82, 0x3fb8aa3b, v80
	s_delay_alu instid0(VALU_DEP_2) | instskip(SKIP_1) | instid1(VALU_DEP_1)
	v_exp_f32_e32 v76, v76
	v_exp_f32_e32 v77, v77
	;; [unrolled: 1-line block ×3, first 2 shown]
	v_cndmask_b32_e32 v79, 0, v72, vcc_lo
	v_fma_f32 v72, s19, v132, -v71
	v_mul_f32_e32 v75, 0x3fb8aa3b, v75
	v_cndmask_b32_e64 v78, 0, v74, s3
	s_delay_alu instid0(TRANS32_DEP_3)
	v_cndmask_b32_e64 v80, 0, v76, s5
	v_add_f32_e32 v74, 0, v79
	v_mul_f32_e32 v72, 0x3fb8aa3b, v72
	v_exp_f32_e32 v75, v75
	v_cndmask_b32_e64 v83, 0, v77, s6
	v_cndmask_b32_e64 v85, 0, v84, s8
	v_add_f32_e32 v74, v74, v78
	v_exp_f32_e32 v72, v72
	v_cmp_gt_u32_e64 s3, 16, v70
	s_waitcnt_depctr 0xfff
	v_cndmask_b32_e64 v81, 0, v75, s4
	v_cndmask_b32_e64 v82, 0, v72, s7
	s_delay_alu instid0(VALU_DEP_2) | instskip(NEXT) | instid1(VALU_DEP_1)
	v_add_f32_e32 v74, v74, v81
	v_add_f32_e32 v74, v74, v80
	s_delay_alu instid0(VALU_DEP_1) | instskip(SKIP_4) | instid1(VALU_DEP_4)
	v_add_f32_e32 v72, v74, v83
	v_fma_f32 v75, s19, v134, -v71
	v_fma_f32 v76, s19, v119, -v71
	;; [unrolled: 1-line block ×4, first 2 shown]
	v_dual_add_f32 v72, v72, v82 :: v_dual_mul_f32 v75, 0x3fb8aa3b, v75
	s_delay_alu instid0(VALU_DEP_3) | instskip(SKIP_1) | instid1(VALU_DEP_3)
	v_dual_mul_f32 v76, 0x3fb8aa3b, v76 :: v_dual_mul_f32 v77, 0x3fb8aa3b, v77
	v_fma_f32 v86, s19, v122, -v71
	v_add_f32_e32 v72, v72, v85
	s_delay_alu instid0(VALU_DEP_4) | instskip(NEXT) | instid1(VALU_DEP_3)
	v_exp_f32_e32 v75, v75
	v_exp_f32_e32 v76, v76
	v_exp_f32_e32 v77, v77
	v_mul_f32_e32 v86, 0x3fb8aa3b, v86
	s_delay_alu instid0(VALU_DEP_1) | instskip(SKIP_3) | instid1(TRANS32_DEP_3)
	v_exp_f32_e32 v88, v86
	v_cndmask_b32_e64 v84, 0, v75, s9
	v_fma_f32 v75, s19, v123, -v71
	v_mul_f32_e32 v74, 0x3fb8aa3b, v74
	v_cndmask_b32_e64 v87, 0, v76, s10
	v_fma_f32 v76, s19, v124, -v71
	s_delay_alu instid0(VALU_DEP_4) | instskip(NEXT) | instid1(VALU_DEP_4)
	v_dual_add_f32 v72, v72, v84 :: v_dual_mul_f32 v75, 0x3fb8aa3b, v75
	v_exp_f32_e32 v74, v74
	v_cndmask_b32_e64 v86, 0, v77, s11
	v_fma_f32 v77, s19, v125, -v71
	s_delay_alu instid0(VALU_DEP_3) | instskip(SKIP_3) | instid1(VALU_DEP_3)
	v_add_f32_e32 v72, v72, v87
	v_mul_f32_e32 v76, 0x3fb8aa3b, v76
	v_exp_f32_e32 v75, v75
	v_cndmask_b32_e64 v88, 0, v88, s13
	v_add_f32_e32 v72, v72, v86
	s_delay_alu instid0(VALU_DEP_3) | instskip(NEXT) | instid1(TRANS32_DEP_3)
	v_exp_f32_e32 v76, v76
	v_cndmask_b32_e64 v89, 0, v74, s12
	v_mul_f32_e32 v74, 0x3fb8aa3b, v77
	v_fma_f32 v77, s19, v126, -v71
	s_delay_alu instid0(VALU_DEP_3) | instskip(NEXT) | instid1(VALU_DEP_3)
	v_add_f32_e32 v72, v72, v89
	v_exp_f32_e32 v74, v74
	s_delay_alu instid0(TRANS32_DEP_3) | instskip(NEXT) | instid1(VALU_DEP_3)
	v_cndmask_b32_e64 v91, 0, v75, s15
	v_mul_f32_e32 v75, 0x3fb8aa3b, v77
	s_delay_alu instid0(TRANS32_DEP_2) | instskip(SKIP_1) | instid1(VALU_DEP_3)
	v_cndmask_b32_e64 v90, 0, v76, s16
	v_add_f32_e32 v72, v72, v88
	v_exp_f32_e32 v75, v75
	s_delay_alu instid0(VALU_DEP_1) | instskip(NEXT) | instid1(TRANS32_DEP_2)
	v_add_f32_e32 v72, v72, v91
	v_cndmask_b32_e64 v93, 0, v74, s17
	s_delay_alu instid0(VALU_DEP_2) | instskip(SKIP_3) | instid1(VALU_DEP_1)
	v_add_f32_e32 v72, v72, v90
	s_waitcnt_depctr 0xfff
	v_cndmask_b32_e64 v92, 0, v75, s18
	v_add_f32_e32 v72, v72, v93
	v_add_f32_e32 v72, v72, v92
	ds_bpermute_b32 v73, v73, v72
	s_and_saveexec_b32 s4, s3
	s_cbranch_execz .LBB814_12
; %bb.11:
	v_mul_u32_u24_e32 v70, 0x44, v69
	s_waitcnt lgkmcnt(0)
	v_add_f32_e32 v72, v72, v73
	s_delay_alu instid0(VALU_DEP_2) | instskip(NEXT) | instid1(VALU_DEP_1)
	v_lshl_add_u32 v70, v68, 2, v70
	v_add_nc_u32_e32 v70, 0x4000, v70
	ds_store_2addr_b32 v70, v71, v72 offset1:136
.LBB814_12:
	s_or_b32 exec_lo, exec_lo, s4
	v_lshlrev_b32_e32 v70, 2, v68
	s_load_b32 s36, s[0:1], 0x94
	s_waitcnt lgkmcnt(0)
	s_barrier
	buffer_gl0_inv
	v_add_nc_u32_e32 v98, 0x4000, v70
	v_cmp_eq_u32_e32 vcc_lo, 1, v69
	v_cmp_eq_u32_e64 s4, 2, v69
	v_cmp_eq_u32_e64 s5, 3, v69
	;; [unrolled: 1-line block ×3, first 2 shown]
	ds_load_2addr_b32 v[70:71], v98 offset1:17
	ds_load_2addr_b32 v[72:73], v98 offset0:34 offset1:51
	ds_load_2addr_b32 v[74:75], v98 offset0:68 offset1:85
	;; [unrolled: 1-line block ×3, first 2 shown]
	v_cmp_eq_u32_e64 s7, 5, v69
	v_cmp_eq_u32_e64 s8, 7, v69
	s_waitcnt lgkmcnt(3)
	v_max3_f32 v76, v70, 0xff7fffff, v71
	s_waitcnt lgkmcnt(2)
	s_delay_alu instid0(VALU_DEP_1) | instskip(SKIP_1) | instid1(VALU_DEP_1)
	v_max3_f32 v76, v76, v72, v73
	s_waitcnt lgkmcnt(1)
	v_max3_f32 v76, v76, v74, v75
	s_waitcnt lgkmcnt(0)
	s_delay_alu instid0(VALU_DEP_1) | instskip(NEXT) | instid1(VALU_DEP_1)
	v_max3_f32 v76, v76, v94, v95
	v_sub_f32_e32 v77, v71, v76
	ds_load_2addr_b32 v[96:97], v98 offset0:136 offset1:153
	v_sub_f32_e32 v74, v74, v76
	v_sub_f32_e32 v70, v70, v76
	v_sub_f32_e32 v94, v94, v76
	v_dual_sub_f32 v72, v72, v76 :: v_dual_mul_f32 v77, 0x3fb8aa3b, v77
	s_delay_alu instid0(VALU_DEP_4) | instskip(NEXT) | instid1(VALU_DEP_4)
	v_mul_f32_e32 v103, 0x3fb8aa3b, v74
	v_mul_f32_e32 v99, 0x3fb8aa3b, v70
	ds_load_2addr_b32 v[70:71], v98 offset0:170 offset1:187
	v_dual_mul_f32 v101, 0x3fb8aa3b, v72 :: v_dual_mul_f32 v94, 0x3fb8aa3b, v94
	v_exp_f32_e32 v102, v77
	v_exp_f32_e32 v99, v99
	s_delay_alu instid0(VALU_DEP_1) | instskip(NEXT) | instid1(VALU_DEP_1)
	v_exp_f32_e32 v101, v101
	v_exp_f32_e32 v94, v94
	s_waitcnt lgkmcnt(1)
	s_delay_alu instid0(TRANS32_DEP_3)
	v_fma_f32 v77, v99, v96, 0
	v_sub_f32_e32 v100, v73, v76
	ds_load_2addr_b32 v[72:73], v98 offset0:204 offset1:221
	v_fmac_f32_e32 v77, v102, v97
	v_exp_f32_e32 v97, v103
	s_waitcnt lgkmcnt(1)
	s_delay_alu instid0(VALU_DEP_1)
	v_dual_fmac_f32 v77, v101, v70 :: v_dual_sub_f32 v96, v75, v76
	ds_load_2addr_b32 v[74:75], v98 offset0:238 offset1:255
	v_sub_f32_e32 v70, v95, v76
	s_waitcnt lgkmcnt(0)
	s_barrier
	v_mul_f32_e32 v96, 0x3fb8aa3b, v96
	buffer_gl0_inv
	v_exp_f32_e32 v95, v96
	v_mul_f32_e32 v100, 0x3fb8aa3b, v100
	s_delay_alu instid0(VALU_DEP_1) | instskip(SKIP_3) | instid1(VALU_DEP_2)
	v_exp_f32_e32 v100, v100
	s_waitcnt_depctr 0xfff
	v_dual_fmac_f32 v77, v100, v71 :: v_dual_mul_f32 v70, 0x3fb8aa3b, v70
	v_cndmask_b32_e32 v71, v99, v102, vcc_lo
	v_fmac_f32_e32 v77, v97, v72
	s_delay_alu instid0(VALU_DEP_3) | instskip(NEXT) | instid1(VALU_DEP_1)
	v_exp_f32_e32 v96, v70
	v_fmac_f32_e32 v77, v95, v73
	s_delay_alu instid0(VALU_DEP_1) | instskip(SKIP_2) | instid1(VALU_DEP_1)
	v_fmac_f32_e32 v77, v94, v74
	s_waitcnt_depctr 0xfff
	v_fmac_f32_e32 v77, v96, v75
	v_add_f32_e32 v74, 0x358637bd, v77
	s_delay_alu instid0(VALU_DEP_1) | instskip(SKIP_1) | instid1(VALU_DEP_2)
	v_div_scale_f32 v98, null, v74, v74, 1.0
	v_div_scale_f32 v99, vcc_lo, 1.0, v74, 1.0
	v_rcp_f32_e32 v103, v98
	s_waitcnt_depctr 0xfff
	v_fma_f32 v70, -v98, v103, 1.0
	s_delay_alu instid0(VALU_DEP_1) | instskip(SKIP_2) | instid1(VALU_DEP_2)
	v_fmac_f32_e32 v103, v70, v103
	v_cndmask_b32_e64 v70, v71, v101, s4
	v_cmp_eq_u32_e64 s4, 6, v69
	v_cndmask_b32_e64 v71, v70, v100, s5
	s_delay_alu instid0(VALU_DEP_4) | instskip(NEXT) | instid1(VALU_DEP_2)
	v_dual_mul_f32 v101, v99, v103 :: v_dual_lshlrev_b32 v70, 2, v66
	v_cndmask_b32_e64 v71, v71, v97, s6
	s_delay_alu instid0(VALU_DEP_2) | instskip(NEXT) | instid1(VALU_DEP_3)
	v_or_b32_e32 v72, 1, v70
	v_fma_f32 v100, -v98, v101, v99
	v_cmp_eq_u32_e64 s5, 1, v70
	v_cmp_eq_u32_e64 s6, 2, v70
	v_cndmask_b32_e64 v95, v71, v95, s7
	v_or_b32_e32 v71, 3, v70
	v_fmac_f32_e32 v101, v100, v103
	v_cmp_eq_u32_e64 s10, 1, v72
	v_cmp_eq_u32_e64 s13, 2, v72
	v_cndmask_b32_e64 v94, v95, v94, s4
	v_cmp_eq_u32_e64 s12, 1, v71
	v_fma_f32 v97, -v98, v101, v99
	v_cmp_eq_u32_e64 s17, 2, v71
	v_cmp_eq_u32_e64 s15, 3, v72
	v_cndmask_b32_e64 v94, v94, v96, s8
	v_cmp_eq_u32_e64 s19, 3, v71
	v_div_fmas_f32 v95, v97, v103, v101
	v_cmp_eq_u32_e32 vcc_lo, 3, v70
	v_cmp_eq_u32_e64 s4, 4, v70
	v_cmp_eq_u32_e64 s20, 4, v72
	;; [unrolled: 1-line block ×3, first 2 shown]
	v_div_fixup_f32 v95, v95, v74, 1.0
	v_lshlrev_b32_e32 v73, 6, v68
	v_cmp_eq_u32_e64 s7, 5, v70
	v_cmp_eq_u32_e64 s21, 5, v72
	;; [unrolled: 1-line block ×3, first 2 shown]
	v_mul_f32_e32 v102, v94, v95
	v_lshl_or_b32 v75, v69, 11, v73
	v_or_b32_e32 v69, 2, v70
	v_cmp_eq_u32_e64 s26, 6, v72
	v_cmp_eq_u32_e64 s28, 6, v71
	v_fma_mixlo_f16 v94, v102, v79, 0
	v_fma_mixlo_f16 v95, v102, v81, 0
	;; [unrolled: 1-line block ×8, first 2 shown]
	v_lshl_or_b32 v74, v66, 4, v75
	v_fma_mixhi_f16 v94, v102, v78, 0
	v_fma_mixhi_f16 v95, v102, v80, 0
	v_fma_mixhi_f16 v96, v102, v82, 0
	v_fma_mixhi_f16 v97, v102, v84, 0
	v_fma_mixhi_f16 v98, v102, v86, 0
	v_fma_mixhi_f16 v99, v102, v88, 0
	v_fma_mixhi_f16 v100, v102, v90, 0
	v_fma_mixhi_f16 v101, v102, v92, 0
	ds_store_b128 v74, v[94:97]
	ds_store_b128 v74, v[98:101] offset:1024
	s_waitcnt lgkmcnt(0)
	s_barrier
	buffer_gl0_inv
	ds_load_b128 v[78:81], v75
	ds_load_b128 v[82:85], v75 offset:16
	ds_load_b128 v[86:89], v75 offset:1024
	;; [unrolled: 1-line block ×3, first 2 shown]
	v_cmp_eq_u32_e64 s11, 1, v69
	v_cmp_eq_u32_e64 s16, 2, v69
	;; [unrolled: 1-line block ×11, first 2 shown]
	s_waitcnt lgkmcnt(3)
	v_lshrrev_b32_e32 v94, 16, v78
	s_waitcnt lgkmcnt(2)
	v_lshrrev_b32_e32 v98, 16, v82
	;; [unrolled: 2-line block ×4, first 2 shown]
	v_lshrrev_b32_e32 v95, 16, v79
	v_cndmask_b32_e64 v110, v78, v94, s5
	v_cndmask_b32_e64 v111, v82, v98, s5
	;; [unrolled: 1-line block ×8, first 2 shown]
	v_lshrrev_b32_e32 v99, 16, v83
	v_cndmask_b32_e64 v94, v86, v102, s5
	v_cndmask_b32_e64 v98, v90, v106, s5
	;; [unrolled: 1-line block ×15, first 2 shown]
	v_lshrrev_b32_e32 v103, 16, v87
	v_lshrrev_b32_e32 v107, 16, v91
	v_cndmask_b32_e64 v113, v115, v83, s16
	v_cndmask_b32_e64 v82, v94, v87, s6
	;; [unrolled: 1-line block ×7, first 2 shown]
	v_cndmask_b32_e32 v90, v102, v95, vcc_lo
	v_cndmask_b32_e32 v102, v106, v99, vcc_lo
	v_cndmask_b32_e64 v106, v110, v95, s15
	v_cndmask_b32_e64 v110, v111, v99, s15
	;; [unrolled: 1-line block ×4, first 2 shown]
	v_lshrrev_b32_e32 v96, 16, v80
	v_lshrrev_b32_e32 v100, 16, v84
	v_cndmask_b32_e64 v111, v112, v95, s18
	v_cndmask_b32_e64 v112, v113, v99, s18
	v_cndmask_b32_e32 v82, v82, v103, vcc_lo
	v_cndmask_b32_e32 v83, v83, v107, vcc_lo
	v_cndmask_b32_e64 v94, v94, v103, s15
	v_cndmask_b32_e64 v90, v90, v80, s4
	;; [unrolled: 1-line block ×7, first 2 shown]
	v_lshrrev_b32_e32 v104, 16, v88
	v_cndmask_b32_e64 v106, v111, v80, s22
	v_cndmask_b32_e64 v110, v112, v84, s22
	v_cndmask_b32_e64 v80, v82, v88, s4
	v_cndmask_b32_e64 v82, v83, v92, s4
	v_cndmask_b32_e64 v83, v94, v88, s20
	v_cndmask_b32_e64 v84, v90, v96, s7
	v_cndmask_b32_e64 v90, v95, v100, s7
	v_cndmask_b32_e64 v94, v99, v96, s21
	v_cndmask_b32_e64 v95, v102, v100, s21
	v_cndmask_b32_e64 v78, v78, v96, s25
	v_cndmask_b32_e64 v79, v79, v100, s25
	v_lshrrev_b32_e32 v97, 16, v81
	v_lshrrev_b32_e32 v101, 16, v85
	v_cndmask_b32_e64 v99, v106, v96, s24
	v_cndmask_b32_e64 v102, v110, v100, s24
	;; [unrolled: 1-line block ×7, first 2 shown]
	v_lshrrev_b32_e32 v105, 16, v89
	v_cndmask_b32_e64 v80, v80, v104, s7
	v_cndmask_b32_e64 v84, v84, v81, s8
	;; [unrolled: 1-line block ×16, first 2 shown]
	v_perm_b32 v81, v79, v78, 0x5040100
	v_perm_b32 v79, v95, v85, 0x5040100
	v_cndmask_b32_e64 v78, v119, v91, s16
	v_cndmask_b32_e64 v85, v117, v91, s13
	;; [unrolled: 1-line block ×3, first 2 shown]
	v_perm_b32 v80, v94, v90, 0x5040100
	v_cndmask_b32_e64 v90, v98, v103, s18
	v_cndmask_b32_e64 v86, v86, v103, s19
	;; [unrolled: 1-line block ×5, first 2 shown]
	v_lshrrev_b32_e32 v108, 16, v92
	v_cndmask_b32_e64 v90, v90, v88, s22
	v_cndmask_b32_e64 v86, v86, v88, s23
	v_cndmask_b32_e64 v87, v87, v92, s23
	v_cndmask_b32_e64 v78, v78, v92, s22
	v_cndmask_b32_e64 v85, v85, v92, s20
	v_cndmask_b32_e64 v82, v82, v108, s7
	v_cndmask_b32_e64 v88, v90, v104, s24
	v_cndmask_b32_e64 v86, v86, v104, s25
	v_cndmask_b32_e64 v87, v87, v108, s25
	v_cndmask_b32_e64 v78, v78, v108, s24
	v_cndmask_b32_e64 v85, v85, v108, s21
	v_lshrrev_b32_e32 v109, 16, v93
	v_cndmask_b32_e64 v82, v82, v93, s8
	v_cndmask_b32_e64 v88, v88, v89, s27
	;; [unrolled: 1-line block ×12, first 2 shown]
	v_perm_b32 v78, v84, v83, 0x5040100
	v_perm_b32 v85, v87, v86, 0x5040100
	;; [unrolled: 1-line block ×5, first 2 shown]
	s_mul_i32 s9, s35, 5
	s_mov_b32 s4, exec_lo
	ds_store_b128 v74, v[78:81]
	ds_store_b128 v74, v[82:85] offset:1024
	v_cmpx_gt_u32_e32 5, v0
	s_cbranch_execz .LBB814_14
; %bb.13:
	s_mul_i32 s5, s9, s34
	s_load_b128 s[16:19], s[0:1], 0x58
	v_add3_u32 v68, s5, s33, v68
	s_delay_alu instid0(VALU_DEP_1) | instskip(NEXT) | instid1(VALU_DEP_1)
	v_mad_u64_u32 v[78:79], null, v68, s36, s[14:15]
	v_ashrrev_i32_e32 v79, 31, v78
	s_delay_alu instid0(VALU_DEP_1) | instskip(SKIP_1) | instid1(VALU_DEP_1)
	v_lshlrev_b64 v[78:79], 2, v[78:79]
	s_waitcnt lgkmcnt(0)
	v_add_co_u32 v80, vcc_lo, s18, v78
	s_delay_alu instid0(VALU_DEP_2)
	v_add_co_ci_u32_e32 v81, vcc_lo, s19, v79, vcc_lo
	v_add_co_u32 v78, vcc_lo, s16, v78
	v_add_co_ci_u32_e32 v79, vcc_lo, s17, v79, vcc_lo
	global_store_b32 v[80:81], v76, off
	global_store_b32 v[78:79], v77, off
.LBB814_14:
	s_or_b32 exec_lo, exec_lo, s4
	s_waitcnt lgkmcnt(0)
	s_waitcnt_vscnt null, 0x0
	s_barrier
	buffer_gl0_inv
	ds_load_b128 v[84:87], v73
	ds_load_b128 v[88:91], v73 offset:16
	ds_load_b128 v[96:99], v73 offset:2064
	;; [unrolled: 1-line block ×5, first 2 shown]
	v_cmp_eq_u32_e32 vcc_lo, 1, v70
	v_mov_b32_e32 v76, 0
	ds_load_b128 v[112:115], v73 offset:6160
	ds_load_b128 v[108:111], v73 offset:6144
	;; [unrolled: 1-line block ×4, first 2 shown]
	v_cmp_eq_u32_e64 s5, 1, v69
	v_cmp_eq_u32_e64 s4, 1, v72
	;; [unrolled: 1-line block ×3, first 2 shown]
	v_mov_b32_e32 v77, v76
	v_mov_b32_e32 v78, v76
	;; [unrolled: 1-line block ×7, first 2 shown]
	v_cmp_eq_u32_e64 s7, 3, v72
	v_cmp_eq_u32_e64 s8, 7, v72
	s_waitcnt lgkmcnt(8)
	s_delay_alu instid0(VALU_DEP_3)
	v_wmma_f32_16x16x16_f16 v[76:83], v[49:56], v[84:91], v[76:83]
	ds_load_b128 v[53:56], v73 offset:10256
	ds_load_b128 v[49:52], v73 offset:10240
	s_waitcnt lgkmcnt(8)
	v_wmma_f32_16x16x16_f16 v[76:83], v[41:48], v[92:99], v[76:83]
	ds_load_b128 v[45:48], v73 offset:12304
	ds_load_b128 v[41:44], v73 offset:12288
	s_waitcnt lgkmcnt(8)
	;; [unrolled: 4-line block ×3, first 2 shown]
	s_barrier
	buffer_gl0_inv
	v_wmma_f32_16x16x16_f16 v[76:83], v[1:8], v[108:115], v[76:83]
	s_delay_alu instid0(VALU_DEP_1) | instskip(NEXT) | instid1(VALU_DEP_1)
	v_wmma_f32_16x16x16_f16 v[76:83], v[9:16], v[116:123], v[76:83]
	v_wmma_f32_16x16x16_f16 v[76:83], v[17:24], v[49:56], v[76:83]
	s_delay_alu instid0(VALU_DEP_1) | instskip(NEXT) | instid1(VALU_DEP_1)
	v_wmma_f32_16x16x16_f16 v[76:83], v[25:32], v[41:48], v[76:83]
	v_wmma_f32_16x16x16_f16 v[76:83], v[57:64], v[33:40], v[76:83]
	s_delay_alu instid0(VALU_DEP_1) | instskip(NEXT) | instid1(VALU_DEP_2)
	v_cvt_f16_f32_e32 v1, v76
	v_cvt_f16_f32_e32 v2, v77
	s_delay_alu instid0(VALU_DEP_3) | instskip(NEXT) | instid1(VALU_DEP_4)
	v_cvt_f16_f32_e32 v3, v78
	v_cvt_f16_f32_e32 v4, v79
	;; [unrolled: 1-line block ×6, first 2 shown]
	v_pack_b32_f16 v1, v1, v2
	v_pack_b32_f16 v2, v3, v4
	;; [unrolled: 1-line block ×3, first 2 shown]
	s_delay_alu instid0(VALU_DEP_4)
	v_pack_b32_f16 v4, v7, v8
	ds_store_b128 v74, v[1:4]
	s_waitcnt lgkmcnt(0)
	s_barrier
	buffer_gl0_inv
	ds_load_b128 v[1:4], v75
	ds_load_b128 v[5:8], v75 offset:16
	s_waitcnt lgkmcnt(1)
	v_lshrrev_b32_e32 v9, 16, v1
	s_waitcnt lgkmcnt(0)
	v_lshrrev_b32_e32 v13, 16, v5
	v_lshrrev_b32_e32 v10, 16, v2
	;; [unrolled: 1-line block ×4, first 2 shown]
	v_cndmask_b32_e32 v17, v1, v9, vcc_lo
	v_cndmask_b32_e32 v18, v5, v13, vcc_lo
	v_cndmask_b32_e64 v21, v1, v9, s5
	v_cmp_eq_u32_e32 vcc_lo, 1, v71
	v_cndmask_b32_e64 v22, v5, v13, s5
	v_cmp_eq_u32_e64 s5, 2, v70
	v_cndmask_b32_e64 v19, v1, v9, s4
	v_cndmask_b32_e64 v20, v5, v13, s4
	v_cndmask_b32_e32 v1, v1, v9, vcc_lo
	v_cmp_eq_u32_e64 s4, 2, v71
	v_cndmask_b32_e32 v5, v5, v13, vcc_lo
	v_cndmask_b32_e64 v9, v17, v2, s5
	v_cmp_eq_u32_e32 vcc_lo, 3, v70
	v_cndmask_b32_e64 v13, v18, v6, s5
	v_cmp_eq_u32_e64 s5, 2, v69
	v_cndmask_b32_e64 v17, v19, v2, s6
	v_cndmask_b32_e64 v18, v20, v6, s6
	v_cmp_eq_u32_e64 s6, 3, v69
	v_cndmask_b32_e64 v1, v1, v2, s4
	v_cndmask_b32_e64 v19, v21, v2, s5
	;; [unrolled: 1-line block ×4, first 2 shown]
	v_cndmask_b32_e32 v5, v9, v10, vcc_lo
	v_cndmask_b32_e32 v6, v13, v14, vcc_lo
	v_cmp_eq_u32_e32 vcc_lo, 3, v71
	v_cndmask_b32_e64 v9, v17, v10, s7
	v_cndmask_b32_e64 v13, v18, v14, s7
	;; [unrolled: 1-line block ×3, first 2 shown]
	v_cmp_eq_u32_e64 s5, 4, v70
	v_cndmask_b32_e32 v1, v1, v10, vcc_lo
	v_cndmask_b32_e32 v2, v2, v14, vcc_lo
	v_cmp_eq_u32_e32 vcc_lo, 4, v72
	v_lshrrev_b32_e32 v15, 16, v7
	v_lshrrev_b32_e32 v16, 16, v8
	v_cndmask_b32_e64 v17, v19, v10, s6
	v_cmp_eq_u32_e64 s4, 4, v71
	v_cndmask_b32_e64 v5, v5, v3, s5
	v_cndmask_b32_e64 v6, v6, v7, s5
	v_cndmask_b32_e32 v9, v9, v3, vcc_lo
	v_cmp_eq_u32_e64 s5, 5, v72
	v_cndmask_b32_e32 v10, v13, v7, vcc_lo
	v_cmp_eq_u32_e32 vcc_lo, 4, v69
	v_cmp_eq_u32_e64 s6, 5, v70
	v_cndmask_b32_e64 v2, v2, v7, s4
	v_cndmask_b32_e64 v9, v9, v11, s5
	v_cndmask_b32_e64 v10, v10, v15, s5
	v_cndmask_b32_e32 v13, v17, v3, vcc_lo
	v_cmp_eq_u32_e64 s5, 5, v69
	v_cndmask_b32_e32 v14, v18, v7, vcc_lo
	v_cndmask_b32_e64 v1, v1, v3, s4
	v_cmp_eq_u32_e32 vcc_lo, 5, v71
	v_lshrrev_b32_e32 v12, 16, v4
	v_cndmask_b32_e64 v13, v13, v11, s5
	v_cndmask_b32_e64 v3, v14, v15, s5
	v_cmp_eq_u32_e64 s5, 6, v71
	v_cndmask_b32_e32 v1, v1, v11, vcc_lo
	v_cndmask_b32_e64 v5, v5, v11, s6
	v_cmp_eq_u32_e64 s7, 6, v70
	v_cndmask_b32_e64 v6, v6, v15, s6
	v_cmp_eq_u32_e64 s6, 6, v72
	v_cmp_eq_u32_e64 s4, 6, v69
	v_cndmask_b32_e64 v1, v1, v4, s5
	v_cndmask_b32_e32 v2, v2, v15, vcc_lo
	v_cmp_eq_u32_e32 vcc_lo, 7, v71
	v_cndmask_b32_e64 v5, v5, v4, s7
	v_cndmask_b32_e64 v9, v9, v4, s6
	v_cndmask_b32_e64 v6, v6, v8, s7
	v_cmp_eq_u32_e64 s7, 7, v70
	v_cndmask_b32_e32 v1, v1, v12, vcc_lo
	v_cndmask_b32_e64 v7, v13, v4, s4
	v_cndmask_b32_e64 v3, v3, v8, s4
	;; [unrolled: 1-line block ×3, first 2 shown]
	v_cmp_eq_u32_e64 s4, 7, v69
	v_cndmask_b32_e64 v4, v10, v8, s6
	v_cndmask_b32_e64 v5, v5, v12, s7
	;; [unrolled: 1-line block ×3, first 2 shown]
	v_cndmask_b32_e32 v2, v2, v16, vcc_lo
	v_cndmask_b32_e64 v7, v7, v12, s4
	v_cndmask_b32_e64 v3, v3, v16, s4
	;; [unrolled: 1-line block ×4, first 2 shown]
	v_cmp_gt_u32_e32 vcc_lo, 32, v0
	v_perm_b32 v4, v2, v1, 0x5040100
	v_perm_b32 v3, v3, v7, 0x5040100
	;; [unrolled: 1-line block ×4, first 2 shown]
	s_and_b32 s2, vcc_lo, s2
	ds_store_b128 v74, v[1:4]
	s_waitcnt lgkmcnt(0)
	s_barrier
	buffer_gl0_inv
	s_and_saveexec_b32 s4, s2
	s_cbranch_execz .LBB814_2
; %bb.15:
	s_load_b64 s[4:5], s[0:1], 0x68
	v_lshlrev_b32_e32 v0, 10, v0
	v_add_nc_u32_e32 v2, s33, v66
	v_lshlrev_b32_e32 v3, 4, v67
	s_lshl_b32 s0, s36, 6
	s_delay_alu instid0(SALU_CYCLE_1) | instskip(NEXT) | instid1(VALU_DEP_2)
	s_mul_i32 s1, s0, s34
	v_mul_lo_u32 v1, v2, s0
	s_delay_alu instid0(VALU_DEP_2) | instskip(SKIP_2) | instid1(SALU_CYCLE_1)
	v_and_or_b32 v0, 0x3800, v0, v3
	v_add_nc_u32_e32 v2, 2, v2
	s_mul_i32 s6, s1, s9
	s_ashr_i32 s7, s6, 31
	s_delay_alu instid0(VALU_DEP_2)
	v_lshl_or_b32 v7, v66, 6, v0
	s_lshl_b64 s[6:7], s[6:7], 1
	v_mul_lo_u32 v11, v2, s0
	v_ashrrev_i32_e32 v2, 31, v1
	ds_load_b128 v[3:6], v7
	ds_load_b128 v[7:10], v7 offset:128
	s_waitcnt lgkmcnt(0)
	s_add_u32 s1, s4, s6
	s_addc_u32 s2, s5, s7
	s_lshl_b32 s4, s14, 6
	v_ashrrev_i32_e32 v12, 31, v11
	s_ashr_i32 s5, s4, 31
	v_lshlrev_b64 v[13:14], 1, v[1:2]
	s_lshl_b64 s[4:5], s[4:5], 1
	s_delay_alu instid0(SALU_CYCLE_1) | instskip(SKIP_2) | instid1(VALU_DEP_1)
	s_add_u32 s1, s1, s4
	s_addc_u32 s2, s2, s5
	v_add_co_u32 v1, s1, s1, v65
	v_add_co_ci_u32_e64 v2, null, s2, 0, s1
	v_lshlrev_b64 v[11:12], 1, v[11:12]
	s_delay_alu instid0(VALU_DEP_3) | instskip(NEXT) | instid1(VALU_DEP_3)
	v_add_co_u32 v13, vcc_lo, v1, v13
	v_add_co_ci_u32_e32 v14, vcc_lo, v2, v14, vcc_lo
	s_delay_alu instid0(VALU_DEP_3) | instskip(NEXT) | instid1(VALU_DEP_4)
	v_add_co_u32 v11, vcc_lo, v1, v11
	v_add_co_ci_u32_e32 v12, vcc_lo, v2, v12, vcc_lo
	s_clause 0x1
	global_store_b128 v[13:14], v[3:6], off
	global_store_b128 v[11:12], v[7:10], off
	s_and_b32 exec_lo, exec_lo, s3
	s_cbranch_execz .LBB814_2
; %bb.16:
	ds_load_b128 v[3:6], v0 offset:256
	s_add_i32 s1, s33, 4
	s_delay_alu instid0(SALU_CYCLE_1) | instskip(NEXT) | instid1(SALU_CYCLE_1)
	s_mul_i32 s0, s1, s0
	s_ashr_i32 s1, s0, 31
	s_delay_alu instid0(SALU_CYCLE_1) | instskip(NEXT) | instid1(SALU_CYCLE_1)
	s_lshl_b64 s[0:1], s[0:1], 1
	v_add_co_u32 v0, vcc_lo, v1, s0
	v_add_co_ci_u32_e32 v1, vcc_lo, s1, v2, vcc_lo
	s_waitcnt lgkmcnt(0)
	global_store_b128 v[0:1], v[3:6], off
	s_nop 0
	s_sendmsg sendmsg(MSG_DEALLOC_VGPRS)
	s_endpgm
	.section	.rodata,"a",@progbits
	.p2align	6, 0x0
	.amdhsa_kernel _Z39paged_attention_ll4mi_QKV_mfma16_kernelIDF16_hLN4vllm18Fp8KVCacheDataTypeE1EDF16_Li16ELi64ELi256ELb1ELi5EL8MFMAType1EEvPKT_PKT0_S8_ifPKiSA_SA_iPKfiiiPfSD_PS3_PT2_iSC_SC_
		.amdhsa_group_segment_fixed_size 17472
		.amdhsa_private_segment_fixed_size 0
		.amdhsa_kernarg_size 400
		.amdhsa_user_sgpr_count 13
		.amdhsa_user_sgpr_dispatch_ptr 0
		.amdhsa_user_sgpr_queue_ptr 0
		.amdhsa_user_sgpr_kernarg_segment_ptr 1
		.amdhsa_user_sgpr_dispatch_id 0
		.amdhsa_user_sgpr_private_segment_size 0
		.amdhsa_wavefront_size32 1
		.amdhsa_uses_dynamic_stack 0
		.amdhsa_enable_private_segment 0
		.amdhsa_system_sgpr_workgroup_id_x 1
		.amdhsa_system_sgpr_workgroup_id_y 1
		.amdhsa_system_sgpr_workgroup_id_z 1
		.amdhsa_system_sgpr_workgroup_info 0
		.amdhsa_system_vgpr_workitem_id 0
		.amdhsa_next_free_vgpr 146
		.amdhsa_next_free_sgpr 37
		.amdhsa_reserve_vcc 1
		.amdhsa_float_round_mode_32 0
		.amdhsa_float_round_mode_16_64 0
		.amdhsa_float_denorm_mode_32 3
		.amdhsa_float_denorm_mode_16_64 3
		.amdhsa_dx10_clamp 1
		.amdhsa_ieee_mode 1
		.amdhsa_fp16_overflow 0
		.amdhsa_workgroup_processor_mode 1
		.amdhsa_memory_ordered 1
		.amdhsa_forward_progress 0
		.amdhsa_shared_vgpr_count 0
		.amdhsa_exception_fp_ieee_invalid_op 0
		.amdhsa_exception_fp_denorm_src 0
		.amdhsa_exception_fp_ieee_div_zero 0
		.amdhsa_exception_fp_ieee_overflow 0
		.amdhsa_exception_fp_ieee_underflow 0
		.amdhsa_exception_fp_ieee_inexact 0
		.amdhsa_exception_int_div_zero 0
	.end_amdhsa_kernel
	.section	.text._Z39paged_attention_ll4mi_QKV_mfma16_kernelIDF16_hLN4vllm18Fp8KVCacheDataTypeE1EDF16_Li16ELi64ELi256ELb1ELi5EL8MFMAType1EEvPKT_PKT0_S8_ifPKiSA_SA_iPKfiiiPfSD_PS3_PT2_iSC_SC_,"axG",@progbits,_Z39paged_attention_ll4mi_QKV_mfma16_kernelIDF16_hLN4vllm18Fp8KVCacheDataTypeE1EDF16_Li16ELi64ELi256ELb1ELi5EL8MFMAType1EEvPKT_PKT0_S8_ifPKiSA_SA_iPKfiiiPfSD_PS3_PT2_iSC_SC_,comdat
.Lfunc_end814:
	.size	_Z39paged_attention_ll4mi_QKV_mfma16_kernelIDF16_hLN4vllm18Fp8KVCacheDataTypeE1EDF16_Li16ELi64ELi256ELb1ELi5EL8MFMAType1EEvPKT_PKT0_S8_ifPKiSA_SA_iPKfiiiPfSD_PS3_PT2_iSC_SC_, .Lfunc_end814-_Z39paged_attention_ll4mi_QKV_mfma16_kernelIDF16_hLN4vllm18Fp8KVCacheDataTypeE1EDF16_Li16ELi64ELi256ELb1ELi5EL8MFMAType1EEvPKT_PKT0_S8_ifPKiSA_SA_iPKfiiiPfSD_PS3_PT2_iSC_SC_
                                        ; -- End function
	.section	.AMDGPU.csdata,"",@progbits
; Kernel info:
; codeLenInByte = 6484
; NumSgprs: 39
; NumVgprs: 146
; ScratchSize: 0
; MemoryBound: 0
; FloatMode: 240
; IeeeMode: 1
; LDSByteSize: 17472 bytes/workgroup (compile time only)
; SGPRBlocks: 4
; VGPRBlocks: 18
; NumSGPRsForWavesPerEU: 39
; NumVGPRsForWavesPerEU: 146
; Occupancy: 9
; WaveLimiterHint : 1
; COMPUTE_PGM_RSRC2:SCRATCH_EN: 0
; COMPUTE_PGM_RSRC2:USER_SGPR: 13
; COMPUTE_PGM_RSRC2:TRAP_HANDLER: 0
; COMPUTE_PGM_RSRC2:TGID_X_EN: 1
; COMPUTE_PGM_RSRC2:TGID_Y_EN: 1
; COMPUTE_PGM_RSRC2:TGID_Z_EN: 1
; COMPUTE_PGM_RSRC2:TIDIG_COMP_CNT: 0
	.section	.text._Z39paged_attention_ll4mi_QKV_mfma16_kernelIDF16_hLN4vllm18Fp8KVCacheDataTypeE1EDF16_Li16ELi64ELi256ELb1ELi6EL8MFMAType1EEvPKT_PKT0_S8_ifPKiSA_SA_iPKfiiiPfSD_PS3_PT2_iSC_SC_,"axG",@progbits,_Z39paged_attention_ll4mi_QKV_mfma16_kernelIDF16_hLN4vllm18Fp8KVCacheDataTypeE1EDF16_Li16ELi64ELi256ELb1ELi6EL8MFMAType1EEvPKT_PKT0_S8_ifPKiSA_SA_iPKfiiiPfSD_PS3_PT2_iSC_SC_,comdat
	.protected	_Z39paged_attention_ll4mi_QKV_mfma16_kernelIDF16_hLN4vllm18Fp8KVCacheDataTypeE1EDF16_Li16ELi64ELi256ELb1ELi6EL8MFMAType1EEvPKT_PKT0_S8_ifPKiSA_SA_iPKfiiiPfSD_PS3_PT2_iSC_SC_ ; -- Begin function _Z39paged_attention_ll4mi_QKV_mfma16_kernelIDF16_hLN4vllm18Fp8KVCacheDataTypeE1EDF16_Li16ELi64ELi256ELb1ELi6EL8MFMAType1EEvPKT_PKT0_S8_ifPKiSA_SA_iPKfiiiPfSD_PS3_PT2_iSC_SC_
	.globl	_Z39paged_attention_ll4mi_QKV_mfma16_kernelIDF16_hLN4vllm18Fp8KVCacheDataTypeE1EDF16_Li16ELi64ELi256ELb1ELi6EL8MFMAType1EEvPKT_PKT0_S8_ifPKiSA_SA_iPKfiiiPfSD_PS3_PT2_iSC_SC_
	.p2align	8
	.type	_Z39paged_attention_ll4mi_QKV_mfma16_kernelIDF16_hLN4vllm18Fp8KVCacheDataTypeE1EDF16_Li16ELi64ELi256ELb1ELi6EL8MFMAType1EEvPKT_PKT0_S8_ifPKiSA_SA_iPKfiiiPfSD_PS3_PT2_iSC_SC_,@function
_Z39paged_attention_ll4mi_QKV_mfma16_kernelIDF16_hLN4vllm18Fp8KVCacheDataTypeE1EDF16_Li16ELi64ELi256ELb1ELi6EL8MFMAType1EEvPKT_PKT0_S8_ifPKiSA_SA_iPKfiiiPfSD_PS3_PT2_iSC_SC_: ; @_Z39paged_attention_ll4mi_QKV_mfma16_kernelIDF16_hLN4vllm18Fp8KVCacheDataTypeE1EDF16_Li16ELi64ELi256ELb1ELi6EL8MFMAType1EEvPKT_PKT0_S8_ifPKiSA_SA_iPKfiiiPfSD_PS3_PT2_iSC_SC_
; %bb.0:
	s_load_b64 s[2:3], s[0:1], 0x30
	s_mov_b32 s34, s13
	s_waitcnt lgkmcnt(0)
	s_cmp_lg_u64 s[2:3], 0
	s_cselect_b32 s6, -1, 0
	s_ashr_i32 s35, s13, 31
	s_cmp_eq_u64 s[2:3], 0
	s_cbranch_scc1 .LBB815_3
; %bb.1:
	s_lshl_b64 s[4:5], s[34:35], 2
	s_delay_alu instid0(SALU_CYCLE_1) | instskip(SKIP_4) | instid1(SALU_CYCLE_1)
	s_add_u32 s4, s2, s4
	s_addc_u32 s5, s3, s5
	s_load_b64 s[4:5], s[4:5], 0x0
	s_waitcnt lgkmcnt(0)
	s_sub_i32 s4, s5, s4
	s_cmp_eq_u32 s4, 1
	s_cselect_b32 s4, -1, 0
	s_delay_alu instid0(SALU_CYCLE_1)
	s_and_not1_b32 vcc_lo, exec_lo, s4
	s_cbranch_vccz .LBB815_4
.LBB815_2:
	s_endpgm
.LBB815_3:
.LBB815_4:
	s_load_b64 s[8:9], s[0:1], 0x28
	s_lshl_b64 s[4:5], s[34:35], 2
	s_waitcnt lgkmcnt(0)
	s_add_u32 s8, s8, s4
	s_addc_u32 s9, s9, s5
	s_lshl_b32 s16, s14, 8
	s_load_b32 s18, s[8:9], 0x0
	s_waitcnt lgkmcnt(0)
	s_cmp_ge_i32 s16, s18
	s_cbranch_scc1 .LBB815_2
; %bb.5:
	s_clause 0x1
	s_load_b128 s[8:11], s[0:1], 0x8
	s_load_b64 s[12:13], s[0:1], 0x20
	s_and_not1_b32 vcc_lo, exec_lo, s6
	s_cbranch_vccnz .LBB815_7
; %bb.6:
	s_add_u32 s2, s2, s4
	s_addc_u32 s3, s3, s5
	s_load_b32 s3, s[2:3], 0x0
	s_branch .LBB815_8
.LBB815_7:
	s_mov_b32 s3, s34
.LBB815_8:
	s_load_b128 s[4:7], s[0:1], 0x48
	v_and_b32_e32 v68, 15, v0
	v_cmp_gt_u32_e32 vcc_lo, 0x60, v0
	v_lshrrev_b32_e32 v69, 5, v0
	v_and_b32_e32 v70, 31, v0
	v_and_b32_e32 v67, 1, v0
	v_lshlrev_b32_e32 v1, 3, v68
	v_cmp_gt_u32_e64 s2, 8, v68
	v_bfe_u32 v66, v0, 4, 1
	s_mul_i32 s31, s15, 6
	s_delay_alu instid0(VALU_DEP_3) | instskip(NEXT) | instid1(VALU_DEP_3)
	v_lshlrev_b32_e32 v65, 1, v1
	s_and_b32 s17, vcc_lo, s2
	s_waitcnt lgkmcnt(0)
	s_and_saveexec_b32 s7, s17
	s_cbranch_execz .LBB815_10
; %bb.9:
	s_load_b64 s[20:21], s[0:1], 0x0
	v_lshl_or_b32 v5, v69, 1, v66
	s_mul_hi_i32 s23, s3, s4
	s_mul_i32 s22, s3, s4
	v_lshlrev_b32_e32 v6, 10, v68
	s_lshl_b64 s[22:23], s[22:23], 1
	v_add_lshl_u32 v1, v5, s31, 6
	v_lshlrev_b32_e32 v5, 6, v5
	v_lshlrev_b32_e32 v7, 10, v67
	v_and_b32_e32 v6, 0x3800, v6
	s_delay_alu instid0(VALU_DEP_4) | instskip(NEXT) | instid1(VALU_DEP_2)
	v_ashrrev_i32_e32 v2, 31, v1
	v_or3_b32 v5, v6, v7, v5
	s_delay_alu instid0(VALU_DEP_2) | instskip(SKIP_3) | instid1(VALU_DEP_1)
	v_lshlrev_b64 v[1:2], 1, v[1:2]
	s_waitcnt lgkmcnt(0)
	s_add_u32 s3, s20, s22
	s_addc_u32 s4, s21, s23
	v_add_co_u32 v1, vcc_lo, s3, v1
	s_delay_alu instid0(VALU_DEP_2) | instskip(NEXT) | instid1(VALU_DEP_2)
	v_add_co_ci_u32_e32 v2, vcc_lo, s4, v2, vcc_lo
	v_add_co_u32 v1, vcc_lo, v1, v65
	s_delay_alu instid0(VALU_DEP_2)
	v_add_co_ci_u32_e32 v2, vcc_lo, 0, v2, vcc_lo
	global_load_b128 v[1:4], v[1:2], off
	s_waitcnt vmcnt(0)
	ds_store_b128 v5, v[1:4]
.LBB815_10:
	s_or_b32 exec_lo, exec_lo, s7
	v_and_b32_e32 v1, 0xef, v0
	s_add_i32 s3, s18, 15
	s_clause 0x1
	s_load_b32 s4, s[0:1], 0x38
	s_load_b32 s33, s[0:1], 0x98
	s_ashr_i32 s7, s3, 31
	v_add_nc_u32_e32 v1, s16, v1
	s_lshr_b32 s7, s7, 28
	s_load_b32 s19, s[0:1], 0x1c
	s_add_i32 s3, s3, s7
	s_waitcnt lgkmcnt(0)
	v_ashrrev_i32_e32 v2, 31, v1
	v_or_b32_e32 v3, 16, v1
	s_ashr_i32 s3, s3, 4
	v_cmp_gt_i32_e32 vcc_lo, s18, v1
	s_add_i32 s3, s3, -1
	v_lshrrev_b32_e32 v2, 28, v2
	s_barrier
	buffer_gl0_inv
	s_mul_i32 s15, s15, s6
	v_mul_lo_u16 v103, v68, 43
	v_add_nc_u32_e32 v4, v1, v2
	v_mbcnt_lo_u32_b32 v127, -1, 0
	s_mul_i32 s20, s34, s4
	s_delay_alu instid0(SALU_CYCLE_1) | instskip(NEXT) | instid1(VALU_DEP_2)
	s_ashr_i32 s21, s20, 31
	v_ashrrev_i32_e32 v4, 4, v4
	v_add_nc_u32_e32 v2, v3, v2
	s_lshl_b64 s[20:21], s[20:21], 2
	v_lshrrev_b16 v103, 8, v103
	s_add_u32 s17, s12, s20
	v_cndmask_b32_e32 v1, s3, v4, vcc_lo
	v_ashrrev_i32_e32 v2, 4, v2
	v_cmp_gt_i32_e32 vcc_lo, s18, v3
	s_addc_u32 s13, s13, s21
	s_ashr_i32 s20, s15, 31
	s_add_u32 s4, s8, s15
	s_addc_u32 s12, s9, s20
	v_cndmask_b32_e32 v3, s3, v2, vcc_lo
	v_ashrrev_i32_e32 v2, 31, v1
	s_lshl_b32 s6, s14, 4
	v_mul_lo_u16 v103, v103, 6
	s_ashr_i32 s7, s6, 31
	v_ashrrev_i32_e32 v4, 31, v3
	v_lshlrev_b64 v[1:2], 2, v[1:2]
	s_lshl_b64 s[6:7], s[6:7], 2
	v_sub_nc_u16 v103, v68, v103
	s_add_u32 s6, s17, s6
	v_lshlrev_b64 v[3:4], 2, v[3:4]
	s_addc_u32 s7, s13, s7
	v_add_co_u32 v1, vcc_lo, s17, v1
	v_add_co_ci_u32_e32 v2, vcc_lo, s13, v2, vcc_lo
	s_delay_alu instid0(VALU_DEP_3) | instskip(NEXT) | instid1(VALU_DEP_4)
	v_add_co_u32 v3, vcc_lo, s17, v3
	v_add_co_ci_u32_e32 v4, vcc_lo, s13, v4, vcc_lo
	s_clause 0x1
	global_load_b32 v5, v[1:2], off
	global_load_b32 v7, v[3:4], off
	s_or_b32 s8, s16, 32
	v_lshlrev_b32_e32 v1, 4, v0
	s_ashr_i32 s9, s8, 4
	s_cmp_lt_i32 s8, s18
	v_xor_b32_e32 v128, 16, v127
	s_cselect_b32 s8, s9, s3
	v_and_b32_e32 v1, 0xf0, v1
	s_ashr_i32 s9, s8, 31
	s_delay_alu instid0(SALU_CYCLE_1)
	s_lshl_b64 s[8:9], s[8:9], 2
	v_cmp_gt_i32_e32 vcc_lo, 32, v128
	s_add_u32 s8, s17, s8
	s_addc_u32 s9, s13, s9
	s_or_b32 s21, s16, 64
	v_add_co_u32 v1, s4, s4, v1
	s_ashr_i32 s22, s21, 4
	s_cmp_lt_i32 s21, s18
	v_add_co_ci_u32_e64 v2, null, s12, 0, s4
	s_cselect_b32 s22, s22, s3
	v_dual_cndmask_b32 v136, v127, v128 :: v_dual_and_b32 v103, 0xff, v103
	s_ashr_i32 s23, s22, 31
	s_delay_alu instid0(SALU_CYCLE_1) | instskip(NEXT) | instid1(VALU_DEP_1)
	s_lshl_b64 s[22:23], s[22:23], 2
	v_lshlrev_b32_e32 v115, 6, v103
	s_add_u32 s22, s17, s22
	s_addc_u32 s23, s13, s23
	s_or_b32 s21, s16, 0x60
	s_delay_alu instid0(SALU_CYCLE_1) | instskip(SKIP_2) | instid1(SALU_CYCLE_1)
	s_ashr_i32 s24, s21, 4
	s_cmp_lt_i32 s21, s18
	s_cselect_b32 s24, s24, s3
	s_ashr_i32 s25, s24, 31
	s_delay_alu instid0(SALU_CYCLE_1) | instskip(NEXT) | instid1(SALU_CYCLE_1)
	s_lshl_b64 s[24:25], s[24:25], 2
	s_add_u32 s24, s17, s24
	s_addc_u32 s25, s13, s25
	s_or_b32 s21, s16, 0x80
	s_delay_alu instid0(SALU_CYCLE_1) | instskip(SKIP_2) | instid1(SALU_CYCLE_1)
	s_ashr_i32 s26, s21, 4
	s_cmp_lt_i32 s21, s18
	s_cselect_b32 s26, s26, s3
	s_ashr_i32 s27, s26, 31
	s_delay_alu instid0(SALU_CYCLE_1) | instskip(NEXT) | instid1(SALU_CYCLE_1)
	s_lshl_b64 s[26:27], s[26:27], 2
	s_add_u32 s26, s17, s26
	s_addc_u32 s27, s13, s27
	s_or_b32 s21, s16, 0xa0
	s_delay_alu instid0(SALU_CYCLE_1) | instskip(SKIP_2) | instid1(SALU_CYCLE_1)
	s_ashr_i32 s28, s21, 4
	s_cmp_lt_i32 s21, s18
	s_cselect_b32 s28, s28, s3
	s_ashr_i32 s29, s28, 31
	s_delay_alu instid0(SALU_CYCLE_1) | instskip(NEXT) | instid1(SALU_CYCLE_1)
	s_lshl_b64 s[28:29], s[28:29], 2
	s_add_u32 s28, s17, s28
	s_addc_u32 s29, s13, s29
	s_clause 0x5
	s_load_b32 s12, s[6:7], 0x0
	s_load_b32 s4, s[8:9], 0x0
	;; [unrolled: 1-line block ×6, first 2 shown]
	s_or_b32 s21, s16, 0xc0
	s_delay_alu instid0(SALU_CYCLE_1) | instskip(SKIP_2) | instid1(SALU_CYCLE_1)
	s_ashr_i32 s22, s21, 4
	s_cmp_lt_i32 s21, s18
	s_cselect_b32 s22, s22, s3
	s_ashr_i32 s23, s22, 31
	s_delay_alu instid0(SALU_CYCLE_1) | instskip(NEXT) | instid1(SALU_CYCLE_1)
	s_lshl_b64 s[22:23], s[22:23], 2
	s_add_u32 s22, s17, s22
	s_addc_u32 s23, s13, s23
	s_or_b32 s21, s16, 0xe0
	s_delay_alu instid0(SALU_CYCLE_1) | instskip(SKIP_2) | instid1(SALU_CYCLE_1)
	s_ashr_i32 s24, s21, 4
	s_cmp_lt_i32 s21, s18
	s_cselect_b32 s24, s24, s3
	s_ashr_i32 s25, s24, 31
	s_delay_alu instid0(SALU_CYCLE_1)
	s_lshl_b64 s[24:25], s[24:25], 2
	s_waitcnt vmcnt(1)
	v_mad_i64_i32 v[3:4], null, v5, s5, v[1:2]
	s_waitcnt vmcnt(0)
	v_mad_i64_i32 v[5:6], null, v7, s5, v[1:2]
	v_lshlrev_b32_e32 v1, 4, v68
	s_clause 0x7
	global_load_b128 v[71:74], v[3:4], off
	global_load_b128 v[75:78], v[3:4], off offset:256
	global_load_b128 v[79:82], v[5:6], off
	global_load_b128 v[83:86], v[5:6], off offset:256
	global_load_b128 v[87:90], v[3:4], off offset:512
	;; [unrolled: 1-line block ×5, first 2 shown]
	v_lshl_or_b32 v1, v69, 8, v1
	s_load_b32 s3, s[22:23], 0x0
	s_add_u32 s22, s17, s24
	s_addc_u32 s23, s13, s25
	s_add_u32 s10, s10, s15
	s_addc_u32 s11, s11, s20
	v_add_co_u32 v1, s10, s10, v1
	s_delay_alu instid0(VALU_DEP_1) | instskip(SKIP_2) | instid1(VALU_DEP_1)
	v_add_co_ci_u32_e64 v2, null, s11, 0, s10
	s_load_b32 s10, s[22:23], 0x0
	s_waitcnt lgkmcnt(0)
	v_mad_i64_i32 v[3:4], null, s12, s5, v[1:2]
	v_mad_i64_i32 v[9:10], null, s7, s5, v[1:2]
	;; [unrolled: 1-line block ×7, first 2 shown]
	s_clause 0x5
	global_load_b128 v[49:52], v[3:4], off
	global_load_b128 v[53:56], v[3:4], off offset:16
	global_load_b128 v[41:44], v[5:6], off
	global_load_b128 v[45:48], v[5:6], off offset:16
	;; [unrolled: 2-line block ×3, first 2 shown]
	s_mov_b32 s4, 0
	v_mad_i64_i32 v[61:62], null, s10, s5, v[1:2]
	s_clause 0x9
	global_load_b128 v[1:4], v[9:10], off
	global_load_b128 v[5:8], v[9:10], off offset:16
	global_load_b128 v[9:12], v[13:14], off
	global_load_b128 v[13:16], v[13:14], off offset:16
	;; [unrolled: 2-line block ×5, first 2 shown]
	s_mov_b32 s5, s4
	s_mov_b32 s6, s4
	;; [unrolled: 1-line block ×7, first 2 shown]
	v_and_b32_e32 v104, 0xe0, v0
	v_dual_mov_b32 v126, s11 :: v_dual_mov_b32 v123, s8
	v_dual_mov_b32 v125, s10 :: v_dual_mov_b32 v124, s9
	s_delay_alu instid0(VALU_DEP_3)
	v_add_nc_u32_e32 v111, s16, v104
	ds_load_b128 v[103:106], v115
	ds_load_b128 v[107:110], v115 offset:1024
	v_dual_mov_b32 v122, s7 :: v_dual_mov_b32 v121, s6
	v_mov_b32_e32 v120, s5
	v_or_b32_e32 v135, v111, v66
	ds_load_b128 v[111:114], v115 offset:2048
	ds_load_b128 v[115:118], v115 offset:3072
	v_mov_b32_e32 v119, s4
	s_waitcnt vmcnt(0) lgkmcnt(0)
	s_barrier
	v_or_b32_e32 v137, 2, v135
	v_or_b32_e32 v138, 4, v135
	;; [unrolled: 1-line block ×3, first 2 shown]
	v_cmp_gt_i32_e32 vcc_lo, s18, v135
	v_or_b32_e32 v140, 8, v135
	v_cmp_gt_i32_e64 s3, s18, v137
	v_or_b32_e32 v141, 10, v135
	v_cmp_gt_i32_e64 s4, s18, v138
	v_cmp_gt_i32_e64 s5, s18, v139
	v_or_b32_e32 v142, 12, v135
	v_or_b32_e32 v143, 14, v135
	v_cmp_gt_i32_e64 s6, s18, v140
	v_cmp_gt_i32_e64 s7, s18, v141
	v_or_b32_e32 v144, 16, v135
	v_or_b32_e32 v145, 18, v135
	v_cmp_gt_i32_e64 s8, s18, v142
	v_cmp_gt_i32_e64 s9, s18, v143
	buffer_gl0_inv
	v_cmp_gt_i32_e64 s10, s18, v144
	v_cmp_gt_i32_e64 s11, s18, v145
	v_wmma_f32_16x16x16_f16 v[127:134], v[71:78], v[103:110], v[119:126]
	v_wmma_f32_16x16x16_f16 v[119:126], v[79:86], v[103:110], v[119:126]
	v_or_b32_e32 v71, 20, v135
	v_or_b32_e32 v72, 22, v135
	s_delay_alu instid0(VALU_DEP_4)
	v_wmma_f32_16x16x16_f16 v[127:134], v[87:94], v[111:118], v[127:134]
	v_or_b32_e32 v73, 24, v135
	v_wmma_f32_16x16x16_f16 v[119:126], v[95:102], v[111:118], v[119:126]
	v_or_b32_e32 v74, 26, v135
	v_cmp_gt_i32_e64 s12, s18, v71
	v_dual_mul_f32 v83, s19, v128 :: v_dual_mul_f32 v84, s19, v127
	s_delay_alu instid0(VALU_DEP_4) | instskip(SKIP_1) | instid1(VALU_DEP_3)
	v_dual_mul_f32 v81, s19, v130 :: v_dual_mul_f32 v92, s19, v119
	v_mul_f32_e32 v82, s19, v129
	v_cndmask_b32_e64 v83, 0xff7fffff, v83, s3
	s_delay_alu instid0(VALU_DEP_4)
	v_cndmask_b32_e32 v84, 0xff7fffff, v84, vcc_lo
	v_dual_mul_f32 v79, s19, v132 :: v_dual_mul_f32 v90, s19, v121
	v_mul_f32_e32 v80, s19, v131
	v_cndmask_b32_e64 v82, 0xff7fffff, v82, s4
	v_cndmask_b32_e64 v81, 0xff7fffff, v81, s5
	v_max3_f32 v83, v84, 0xff7fffff, v83
	v_dual_mul_f32 v77, s19, v134 :: v_dual_mul_f32 v88, s19, v123
	v_mul_f32_e32 v78, s19, v133
	v_cndmask_b32_e64 v80, 0xff7fffff, v80, s6
	v_cndmask_b32_e64 v79, 0xff7fffff, v79, s7
	v_max3_f32 v81, v83, v82, v81
	v_mul_f32_e32 v91, s19, v120
	v_cndmask_b32_e64 v78, 0xff7fffff, v78, s8
	v_cndmask_b32_e64 v77, 0xff7fffff, v77, s9
	v_mul_f32_e32 v89, s19, v122
	v_max3_f32 v79, v81, v80, v79
	v_cndmask_b32_e64 v80, 0xff7fffff, v92, s10
	v_cndmask_b32_e64 v81, 0xff7fffff, v91, s11
	v_cmp_gt_i32_e64 s13, s18, v72
	v_or_b32_e32 v75, 28, v135
	v_max3_f32 v77, v79, v78, v77
	v_or_b32_e32 v76, 30, v135
	v_mul_f32_e32 v87, s19, v124
	v_cndmask_b32_e64 v71, 0xff7fffff, v90, s12
	v_cndmask_b32_e64 v72, 0xff7fffff, v89, s13
	v_max3_f32 v77, v77, v80, v81
	v_cmp_gt_i32_e64 s15, s18, v73
	v_cmp_gt_i32_e64 s16, s18, v74
	v_dual_mul_f32 v85, s19, v126 :: v_dual_mul_f32 v86, s19, v125
	s_delay_alu instid0(VALU_DEP_4) | instskip(NEXT) | instid1(VALU_DEP_4)
	v_max3_f32 v71, v77, v71, v72
	v_cndmask_b32_e64 v73, 0xff7fffff, v88, s15
	s_delay_alu instid0(VALU_DEP_4) | instskip(SKIP_2) | instid1(VALU_DEP_3)
	v_cndmask_b32_e64 v74, 0xff7fffff, v87, s16
	v_cmp_gt_i32_e64 s17, s18, v75
	v_cmp_gt_i32_e64 s18, s18, v76
	v_max3_f32 v71, v71, v73, v74
	s_delay_alu instid0(VALU_DEP_3) | instskip(NEXT) | instid1(VALU_DEP_3)
	v_cndmask_b32_e64 v72, 0xff7fffff, v86, s17
	v_cndmask_b32_e64 v75, 0xff7fffff, v85, s18
	v_lshlrev_b32_e32 v73, 2, v136
	s_delay_alu instid0(VALU_DEP_2) | instskip(SKIP_3) | instid1(VALU_DEP_1)
	v_max3_f32 v71, v71, v72, v75
	ds_bpermute_b32 v72, v73, v71
	s_waitcnt lgkmcnt(0)
	v_max_f32_e32 v72, v72, v72
	v_max_f32_e32 v71, v71, v72
	s_delay_alu instid0(VALU_DEP_1)
	v_fma_f32 v72, s19, v127, -v71
	v_fma_f32 v74, s19, v128, -v71
	;; [unrolled: 1-line block ×5, first 2 shown]
	v_mul_f32_e32 v72, 0x3fb8aa3b, v72
	v_mul_f32_e32 v74, 0x3fb8aa3b, v74
	v_fma_f32 v80, s19, v133, -v71
	s_delay_alu instid0(VALU_DEP_4) | instskip(NEXT) | instid1(VALU_DEP_4)
	v_dual_mul_f32 v76, 0x3fb8aa3b, v76 :: v_dual_mul_f32 v77, 0x3fb8aa3b, v77
	v_exp_f32_e32 v72, v72
	s_delay_alu instid0(VALU_DEP_3) | instskip(NEXT) | instid1(VALU_DEP_2)
	v_exp_f32_e32 v74, v74
	v_mul_f32_e32 v82, 0x3fb8aa3b, v80
	s_delay_alu instid0(VALU_DEP_2) | instskip(SKIP_1) | instid1(VALU_DEP_1)
	v_exp_f32_e32 v76, v76
	v_exp_f32_e32 v77, v77
	;; [unrolled: 1-line block ×3, first 2 shown]
	v_cndmask_b32_e32 v79, 0, v72, vcc_lo
	v_fma_f32 v72, s19, v132, -v71
	v_mul_f32_e32 v75, 0x3fb8aa3b, v75
	v_cndmask_b32_e64 v78, 0, v74, s3
	s_delay_alu instid0(TRANS32_DEP_3)
	v_cndmask_b32_e64 v80, 0, v76, s5
	v_add_f32_e32 v74, 0, v79
	v_mul_f32_e32 v72, 0x3fb8aa3b, v72
	v_exp_f32_e32 v75, v75
	v_cndmask_b32_e64 v83, 0, v77, s6
	v_cndmask_b32_e64 v85, 0, v84, s8
	v_add_f32_e32 v74, v74, v78
	v_exp_f32_e32 v72, v72
	s_mov_b32 s3, exec_lo
	s_waitcnt_depctr 0xfff
	v_cndmask_b32_e64 v81, 0, v75, s4
	v_cndmask_b32_e64 v82, 0, v72, s7
	s_delay_alu instid0(VALU_DEP_2) | instskip(NEXT) | instid1(VALU_DEP_1)
	v_add_f32_e32 v74, v74, v81
	v_add_f32_e32 v74, v74, v80
	s_delay_alu instid0(VALU_DEP_1) | instskip(SKIP_4) | instid1(VALU_DEP_4)
	v_add_f32_e32 v72, v74, v83
	v_fma_f32 v75, s19, v134, -v71
	v_fma_f32 v76, s19, v119, -v71
	v_fma_f32 v77, s19, v120, -v71
	v_fma_f32 v74, s19, v121, -v71
	v_dual_add_f32 v72, v72, v82 :: v_dual_mul_f32 v75, 0x3fb8aa3b, v75
	s_delay_alu instid0(VALU_DEP_3) | instskip(SKIP_1) | instid1(VALU_DEP_3)
	v_dual_mul_f32 v76, 0x3fb8aa3b, v76 :: v_dual_mul_f32 v77, 0x3fb8aa3b, v77
	v_fma_f32 v86, s19, v122, -v71
	v_add_f32_e32 v72, v72, v85
	s_delay_alu instid0(VALU_DEP_4) | instskip(NEXT) | instid1(VALU_DEP_3)
	v_exp_f32_e32 v75, v75
	v_exp_f32_e32 v76, v76
	;; [unrolled: 1-line block ×3, first 2 shown]
	v_mul_f32_e32 v86, 0x3fb8aa3b, v86
	s_delay_alu instid0(VALU_DEP_1) | instskip(SKIP_3) | instid1(TRANS32_DEP_3)
	v_exp_f32_e32 v88, v86
	v_cndmask_b32_e64 v84, 0, v75, s9
	v_fma_f32 v75, s19, v123, -v71
	v_mul_f32_e32 v74, 0x3fb8aa3b, v74
	v_cndmask_b32_e64 v87, 0, v76, s10
	v_fma_f32 v76, s19, v124, -v71
	s_delay_alu instid0(VALU_DEP_4) | instskip(NEXT) | instid1(VALU_DEP_4)
	v_dual_add_f32 v72, v72, v84 :: v_dual_mul_f32 v75, 0x3fb8aa3b, v75
	v_exp_f32_e32 v74, v74
	v_cndmask_b32_e64 v86, 0, v77, s11
	v_fma_f32 v77, s19, v125, -v71
	s_delay_alu instid0(VALU_DEP_3) | instskip(SKIP_3) | instid1(VALU_DEP_3)
	v_add_f32_e32 v72, v72, v87
	v_mul_f32_e32 v76, 0x3fb8aa3b, v76
	v_exp_f32_e32 v75, v75
	v_cndmask_b32_e64 v88, 0, v88, s13
	v_add_f32_e32 v72, v72, v86
	s_delay_alu instid0(VALU_DEP_3) | instskip(NEXT) | instid1(TRANS32_DEP_3)
	v_exp_f32_e32 v76, v76
	v_cndmask_b32_e64 v89, 0, v74, s12
	v_mul_f32_e32 v74, 0x3fb8aa3b, v77
	v_fma_f32 v77, s19, v126, -v71
	s_delay_alu instid0(VALU_DEP_3) | instskip(NEXT) | instid1(VALU_DEP_3)
	v_add_f32_e32 v72, v72, v89
	v_exp_f32_e32 v74, v74
	s_delay_alu instid0(TRANS32_DEP_3) | instskip(NEXT) | instid1(VALU_DEP_3)
	v_cndmask_b32_e64 v91, 0, v75, s15
	v_mul_f32_e32 v75, 0x3fb8aa3b, v77
	s_delay_alu instid0(TRANS32_DEP_2) | instskip(SKIP_1) | instid1(VALU_DEP_3)
	v_cndmask_b32_e64 v90, 0, v76, s16
	v_add_f32_e32 v72, v72, v88
	v_exp_f32_e32 v75, v75
	s_delay_alu instid0(VALU_DEP_1) | instskip(NEXT) | instid1(TRANS32_DEP_2)
	v_add_f32_e32 v72, v72, v91
	v_cndmask_b32_e64 v93, 0, v74, s17
	s_delay_alu instid0(VALU_DEP_2) | instskip(SKIP_3) | instid1(VALU_DEP_1)
	v_add_f32_e32 v72, v72, v90
	s_waitcnt_depctr 0xfff
	v_cndmask_b32_e64 v92, 0, v75, s18
	v_add_f32_e32 v72, v72, v93
	v_add_f32_e32 v72, v72, v92
	ds_bpermute_b32 v73, v73, v72
	v_cmpx_gt_u32_e32 16, v70
	s_cbranch_execz .LBB815_12
; %bb.11:
	v_mul_u32_u24_e32 v70, 0x44, v69
	s_waitcnt lgkmcnt(0)
	v_add_f32_e32 v72, v72, v73
	s_delay_alu instid0(VALU_DEP_2) | instskip(NEXT) | instid1(VALU_DEP_1)
	v_lshl_add_u32 v70, v68, 2, v70
	v_add_nc_u32_e32 v70, 0x4000, v70
	ds_store_2addr_b32 v70, v71, v72 offset1:136
.LBB815_12:
	s_or_b32 exec_lo, exec_lo, s3
	v_lshlrev_b32_e32 v70, 2, v68
	s_load_b32 s35, s[0:1], 0x94
	s_waitcnt lgkmcnt(0)
	s_barrier
	buffer_gl0_inv
	v_add_nc_u32_e32 v98, 0x4000, v70
	v_cmp_eq_u32_e32 vcc_lo, 1, v69
	v_cmp_eq_u32_e64 s3, 2, v69
	v_cmp_eq_u32_e64 s4, 3, v69
	;; [unrolled: 1-line block ×3, first 2 shown]
	ds_load_2addr_b32 v[70:71], v98 offset1:17
	ds_load_2addr_b32 v[72:73], v98 offset0:34 offset1:51
	ds_load_2addr_b32 v[74:75], v98 offset0:68 offset1:85
	;; [unrolled: 1-line block ×3, first 2 shown]
	v_cmp_eq_u32_e64 s6, 5, v69
	v_cmp_eq_u32_e64 s7, 7, v69
	s_waitcnt lgkmcnt(3)
	v_max3_f32 v76, v70, 0xff7fffff, v71
	s_waitcnt lgkmcnt(2)
	s_delay_alu instid0(VALU_DEP_1) | instskip(SKIP_1) | instid1(VALU_DEP_1)
	v_max3_f32 v76, v76, v72, v73
	s_waitcnt lgkmcnt(1)
	v_max3_f32 v76, v76, v74, v75
	s_waitcnt lgkmcnt(0)
	s_delay_alu instid0(VALU_DEP_1) | instskip(NEXT) | instid1(VALU_DEP_1)
	v_max3_f32 v76, v76, v94, v95
	v_sub_f32_e32 v77, v71, v76
	ds_load_2addr_b32 v[96:97], v98 offset0:136 offset1:153
	v_sub_f32_e32 v74, v74, v76
	v_sub_f32_e32 v70, v70, v76
	;; [unrolled: 1-line block ×3, first 2 shown]
	v_dual_sub_f32 v72, v72, v76 :: v_dual_mul_f32 v77, 0x3fb8aa3b, v77
	s_delay_alu instid0(VALU_DEP_4) | instskip(NEXT) | instid1(VALU_DEP_4)
	v_mul_f32_e32 v103, 0x3fb8aa3b, v74
	v_mul_f32_e32 v99, 0x3fb8aa3b, v70
	ds_load_2addr_b32 v[70:71], v98 offset0:170 offset1:187
	v_dual_mul_f32 v101, 0x3fb8aa3b, v72 :: v_dual_mul_f32 v94, 0x3fb8aa3b, v94
	v_exp_f32_e32 v102, v77
	v_exp_f32_e32 v99, v99
	s_delay_alu instid0(VALU_DEP_1) | instskip(NEXT) | instid1(VALU_DEP_1)
	v_exp_f32_e32 v101, v101
	v_exp_f32_e32 v94, v94
	s_waitcnt lgkmcnt(1)
	s_delay_alu instid0(TRANS32_DEP_3)
	v_fma_f32 v77, v99, v96, 0
	v_sub_f32_e32 v100, v73, v76
	ds_load_2addr_b32 v[72:73], v98 offset0:204 offset1:221
	v_fmac_f32_e32 v77, v102, v97
	v_exp_f32_e32 v97, v103
	s_waitcnt lgkmcnt(1)
	s_delay_alu instid0(VALU_DEP_1)
	v_dual_fmac_f32 v77, v101, v70 :: v_dual_sub_f32 v96, v75, v76
	ds_load_2addr_b32 v[74:75], v98 offset0:238 offset1:255
	v_sub_f32_e32 v70, v95, v76
	s_waitcnt lgkmcnt(0)
	s_barrier
	v_mul_f32_e32 v96, 0x3fb8aa3b, v96
	buffer_gl0_inv
	v_exp_f32_e32 v95, v96
	v_mul_f32_e32 v100, 0x3fb8aa3b, v100
	s_delay_alu instid0(VALU_DEP_1) | instskip(SKIP_3) | instid1(VALU_DEP_2)
	v_exp_f32_e32 v100, v100
	s_waitcnt_depctr 0xfff
	v_dual_fmac_f32 v77, v100, v71 :: v_dual_mul_f32 v70, 0x3fb8aa3b, v70
	v_cndmask_b32_e32 v71, v99, v102, vcc_lo
	v_fmac_f32_e32 v77, v97, v72
	s_delay_alu instid0(VALU_DEP_3) | instskip(NEXT) | instid1(VALU_DEP_1)
	v_exp_f32_e32 v96, v70
	v_fmac_f32_e32 v77, v95, v73
	s_delay_alu instid0(VALU_DEP_1) | instskip(SKIP_2) | instid1(VALU_DEP_1)
	v_fmac_f32_e32 v77, v94, v74
	s_waitcnt_depctr 0xfff
	v_fmac_f32_e32 v77, v96, v75
	v_add_f32_e32 v74, 0x358637bd, v77
	s_delay_alu instid0(VALU_DEP_1) | instskip(SKIP_1) | instid1(VALU_DEP_2)
	v_div_scale_f32 v98, null, v74, v74, 1.0
	v_div_scale_f32 v99, vcc_lo, 1.0, v74, 1.0
	v_rcp_f32_e32 v103, v98
	s_waitcnt_depctr 0xfff
	v_fma_f32 v70, -v98, v103, 1.0
	s_delay_alu instid0(VALU_DEP_1) | instskip(SKIP_2) | instid1(VALU_DEP_2)
	v_fmac_f32_e32 v103, v70, v103
	v_cndmask_b32_e64 v70, v71, v101, s3
	v_cmp_eq_u32_e64 s3, 6, v69
	v_cndmask_b32_e64 v71, v70, v100, s4
	s_delay_alu instid0(VALU_DEP_4) | instskip(NEXT) | instid1(VALU_DEP_2)
	v_dual_mul_f32 v101, v99, v103 :: v_dual_lshlrev_b32 v70, 2, v66
	v_cndmask_b32_e64 v71, v71, v97, s5
	s_delay_alu instid0(VALU_DEP_2) | instskip(NEXT) | instid1(VALU_DEP_3)
	v_or_b32_e32 v72, 1, v70
	v_fma_f32 v100, -v98, v101, v99
	v_cmp_eq_u32_e64 s4, 1, v70
	v_cmp_eq_u32_e64 s5, 2, v70
	v_cndmask_b32_e64 v95, v71, v95, s6
	v_or_b32_e32 v71, 3, v70
	v_fmac_f32_e32 v101, v100, v103
	v_cmp_eq_u32_e64 s9, 1, v72
	v_cmp_eq_u32_e64 s12, 2, v72
	v_cndmask_b32_e64 v94, v95, v94, s3
	v_cmp_eq_u32_e64 s11, 1, v71
	v_fma_f32 v97, -v98, v101, v99
	v_cmp_eq_u32_e64 s16, 2, v71
	v_cmp_eq_u32_e64 s13, 3, v72
	v_cndmask_b32_e64 v94, v94, v96, s7
	v_cmp_eq_u32_e64 s18, 3, v71
	v_div_fmas_f32 v95, v97, v103, v101
	v_cmp_eq_u32_e32 vcc_lo, 3, v70
	v_cmp_eq_u32_e64 s3, 4, v70
	v_cmp_eq_u32_e64 s19, 4, v72
	;; [unrolled: 1-line block ×3, first 2 shown]
	v_div_fixup_f32 v95, v95, v74, 1.0
	v_lshlrev_b32_e32 v73, 6, v68
	v_cmp_eq_u32_e64 s6, 5, v70
	v_cmp_eq_u32_e64 s20, 5, v72
	;; [unrolled: 1-line block ×3, first 2 shown]
	v_mul_f32_e32 v102, v94, v95
	v_lshl_or_b32 v75, v69, 11, v73
	v_or_b32_e32 v69, 2, v70
	v_cmp_eq_u32_e64 s25, 6, v72
	v_cmp_eq_u32_e64 s27, 6, v71
	v_fma_mixlo_f16 v94, v102, v79, 0
	v_fma_mixlo_f16 v95, v102, v81, 0
	;; [unrolled: 1-line block ×8, first 2 shown]
	v_lshl_or_b32 v74, v66, 4, v75
	v_fma_mixhi_f16 v94, v102, v78, 0
	v_fma_mixhi_f16 v95, v102, v80, 0
	;; [unrolled: 1-line block ×8, first 2 shown]
	ds_store_b128 v74, v[94:97]
	ds_store_b128 v74, v[98:101] offset:1024
	s_waitcnt lgkmcnt(0)
	s_barrier
	buffer_gl0_inv
	ds_load_b128 v[78:81], v75
	ds_load_b128 v[82:85], v75 offset:16
	ds_load_b128 v[86:89], v75 offset:1024
	;; [unrolled: 1-line block ×3, first 2 shown]
	v_cmp_eq_u32_e64 s10, 1, v69
	v_cmp_eq_u32_e64 s15, 2, v69
	v_cmp_eq_u32_e64 s17, 3, v69
	v_cmp_eq_u32_e64 s21, 4, v69
	v_cmp_eq_u32_e64 s23, 5, v69
	v_cmp_eq_u32_e64 s7, 6, v70
	v_cmp_eq_u32_e64 s26, 6, v69
	v_cmp_eq_u32_e64 s29, 7, v71
	v_cmp_eq_u32_e64 s30, 7, v72
	v_cmp_eq_u32_e64 s8, 7, v70
	v_cmp_eq_u32_e64 s28, 7, v69
	s_waitcnt lgkmcnt(3)
	v_lshrrev_b32_e32 v94, 16, v78
	s_waitcnt lgkmcnt(2)
	v_lshrrev_b32_e32 v98, 16, v82
	;; [unrolled: 2-line block ×4, first 2 shown]
	v_lshrrev_b32_e32 v95, 16, v79
	v_cndmask_b32_e64 v110, v78, v94, s4
	v_cndmask_b32_e64 v111, v82, v98, s4
	;; [unrolled: 1-line block ×8, first 2 shown]
	v_lshrrev_b32_e32 v99, 16, v83
	v_cndmask_b32_e64 v94, v86, v102, s4
	v_cndmask_b32_e64 v98, v90, v106, s4
	;; [unrolled: 1-line block ×15, first 2 shown]
	v_lshrrev_b32_e32 v103, 16, v87
	v_lshrrev_b32_e32 v107, 16, v91
	v_cndmask_b32_e64 v113, v115, v83, s15
	v_cndmask_b32_e64 v82, v94, v87, s5
	;; [unrolled: 1-line block ×7, first 2 shown]
	v_cndmask_b32_e32 v90, v102, v95, vcc_lo
	v_cndmask_b32_e32 v102, v106, v99, vcc_lo
	v_cndmask_b32_e64 v106, v110, v95, s13
	v_cndmask_b32_e64 v110, v111, v99, s13
	;; [unrolled: 1-line block ×4, first 2 shown]
	v_lshrrev_b32_e32 v96, 16, v80
	v_lshrrev_b32_e32 v100, 16, v84
	v_cndmask_b32_e64 v111, v112, v95, s17
	v_cndmask_b32_e64 v112, v113, v99, s17
	v_cndmask_b32_e32 v82, v82, v103, vcc_lo
	v_cndmask_b32_e32 v83, v83, v107, vcc_lo
	v_cndmask_b32_e64 v94, v94, v103, s13
	v_cndmask_b32_e64 v90, v90, v80, s3
	;; [unrolled: 1-line block ×7, first 2 shown]
	v_lshrrev_b32_e32 v104, 16, v88
	v_cndmask_b32_e64 v106, v111, v80, s21
	v_cndmask_b32_e64 v110, v112, v84, s21
	;; [unrolled: 1-line block ×11, first 2 shown]
	v_lshrrev_b32_e32 v97, 16, v81
	v_lshrrev_b32_e32 v101, 16, v85
	v_cndmask_b32_e64 v99, v106, v96, s23
	v_cndmask_b32_e64 v102, v110, v100, s23
	;; [unrolled: 1-line block ×7, first 2 shown]
	v_lshrrev_b32_e32 v105, 16, v89
	v_cndmask_b32_e64 v80, v80, v104, s6
	v_cndmask_b32_e64 v84, v84, v81, s7
	;; [unrolled: 1-line block ×16, first 2 shown]
	v_perm_b32 v81, v79, v78, 0x5040100
	v_perm_b32 v79, v95, v85, 0x5040100
	v_cndmask_b32_e64 v78, v119, v91, s15
	v_cndmask_b32_e64 v85, v117, v91, s12
	;; [unrolled: 1-line block ×3, first 2 shown]
	v_perm_b32 v80, v94, v90, 0x5040100
	v_cndmask_b32_e64 v90, v98, v103, s17
	v_cndmask_b32_e64 v86, v86, v103, s18
	;; [unrolled: 1-line block ×5, first 2 shown]
	v_lshrrev_b32_e32 v108, 16, v92
	v_cndmask_b32_e64 v90, v90, v88, s21
	v_cndmask_b32_e64 v86, v86, v88, s22
	;; [unrolled: 1-line block ×11, first 2 shown]
	v_lshrrev_b32_e32 v109, 16, v93
	v_cndmask_b32_e64 v82, v82, v93, s7
	v_cndmask_b32_e64 v88, v88, v89, s26
	;; [unrolled: 1-line block ×12, first 2 shown]
	v_perm_b32 v78, v84, v83, 0x5040100
	v_perm_b32 v85, v87, v86, 0x5040100
	;; [unrolled: 1-line block ×5, first 2 shown]
	s_mul_i32 s8, s33, 6
	s_mov_b32 s3, exec_lo
	ds_store_b128 v74, v[78:81]
	ds_store_b128 v74, v[82:85] offset:1024
	v_cmpx_gt_u32_e32 6, v0
	s_cbranch_execz .LBB815_14
; %bb.13:
	s_mul_i32 s4, s8, s34
	s_delay_alu instid0(SALU_CYCLE_1) | instskip(SKIP_1) | instid1(VALU_DEP_1)
	v_add3_u32 v68, s4, s31, v68
	s_load_b128 s[4:7], s[0:1], 0x58
	v_mad_u64_u32 v[78:79], null, v68, s35, s[14:15]
	s_delay_alu instid0(VALU_DEP_1) | instskip(NEXT) | instid1(VALU_DEP_1)
	v_ashrrev_i32_e32 v79, 31, v78
	v_lshlrev_b64 v[78:79], 2, v[78:79]
	s_waitcnt lgkmcnt(0)
	s_delay_alu instid0(VALU_DEP_1) | instskip(NEXT) | instid1(VALU_DEP_2)
	v_add_co_u32 v80, vcc_lo, s6, v78
	v_add_co_ci_u32_e32 v81, vcc_lo, s7, v79, vcc_lo
	v_add_co_u32 v78, vcc_lo, s4, v78
	v_add_co_ci_u32_e32 v79, vcc_lo, s5, v79, vcc_lo
	global_store_b32 v[80:81], v76, off
	global_store_b32 v[78:79], v77, off
.LBB815_14:
	s_or_b32 exec_lo, exec_lo, s3
	s_waitcnt lgkmcnt(0)
	s_waitcnt_vscnt null, 0x0
	s_barrier
	buffer_gl0_inv
	ds_load_b128 v[84:87], v73
	ds_load_b128 v[88:91], v73 offset:16
	ds_load_b128 v[96:99], v73 offset:2064
	;; [unrolled: 1-line block ×5, first 2 shown]
	v_cmp_eq_u32_e32 vcc_lo, 1, v70
	v_mov_b32_e32 v76, 0
	ds_load_b128 v[112:115], v73 offset:6160
	ds_load_b128 v[108:111], v73 offset:6144
	;; [unrolled: 1-line block ×4, first 2 shown]
	v_cmp_eq_u32_e64 s4, 1, v69
	v_cmp_eq_u32_e64 s3, 1, v72
	;; [unrolled: 1-line block ×3, first 2 shown]
	v_mov_b32_e32 v77, v76
	v_mov_b32_e32 v78, v76
	;; [unrolled: 1-line block ×7, first 2 shown]
	v_cmp_eq_u32_e64 s6, 3, v72
	v_cmp_eq_u32_e64 s7, 7, v72
	s_waitcnt lgkmcnt(8)
	s_delay_alu instid0(VALU_DEP_3)
	v_wmma_f32_16x16x16_f16 v[76:83], v[49:56], v[84:91], v[76:83]
	ds_load_b128 v[53:56], v73 offset:10256
	ds_load_b128 v[49:52], v73 offset:10240
	s_waitcnt lgkmcnt(8)
	v_wmma_f32_16x16x16_f16 v[76:83], v[41:48], v[92:99], v[76:83]
	ds_load_b128 v[45:48], v73 offset:12304
	ds_load_b128 v[41:44], v73 offset:12288
	s_waitcnt lgkmcnt(8)
	;; [unrolled: 4-line block ×3, first 2 shown]
	s_barrier
	buffer_gl0_inv
	v_wmma_f32_16x16x16_f16 v[76:83], v[1:8], v[108:115], v[76:83]
	s_delay_alu instid0(VALU_DEP_1) | instskip(NEXT) | instid1(VALU_DEP_1)
	v_wmma_f32_16x16x16_f16 v[76:83], v[9:16], v[116:123], v[76:83]
	v_wmma_f32_16x16x16_f16 v[76:83], v[17:24], v[49:56], v[76:83]
	s_delay_alu instid0(VALU_DEP_1) | instskip(NEXT) | instid1(VALU_DEP_1)
	v_wmma_f32_16x16x16_f16 v[76:83], v[25:32], v[41:48], v[76:83]
	v_wmma_f32_16x16x16_f16 v[76:83], v[57:64], v[33:40], v[76:83]
	s_delay_alu instid0(VALU_DEP_1) | instskip(NEXT) | instid1(VALU_DEP_2)
	v_cvt_f16_f32_e32 v1, v76
	v_cvt_f16_f32_e32 v2, v77
	s_delay_alu instid0(VALU_DEP_3) | instskip(NEXT) | instid1(VALU_DEP_4)
	v_cvt_f16_f32_e32 v3, v78
	v_cvt_f16_f32_e32 v4, v79
	;; [unrolled: 1-line block ×6, first 2 shown]
	v_pack_b32_f16 v1, v1, v2
	v_pack_b32_f16 v2, v3, v4
	;; [unrolled: 1-line block ×3, first 2 shown]
	s_delay_alu instid0(VALU_DEP_4)
	v_pack_b32_f16 v4, v7, v8
	ds_store_b128 v74, v[1:4]
	s_waitcnt lgkmcnt(0)
	s_barrier
	buffer_gl0_inv
	ds_load_b128 v[1:4], v75
	ds_load_b128 v[5:8], v75 offset:16
	s_waitcnt lgkmcnt(1)
	v_lshrrev_b32_e32 v9, 16, v1
	s_waitcnt lgkmcnt(0)
	v_lshrrev_b32_e32 v13, 16, v5
	v_lshrrev_b32_e32 v10, 16, v2
	;; [unrolled: 1-line block ×4, first 2 shown]
	v_cndmask_b32_e32 v17, v1, v9, vcc_lo
	v_cndmask_b32_e32 v18, v5, v13, vcc_lo
	v_cndmask_b32_e64 v21, v1, v9, s4
	v_cmp_eq_u32_e32 vcc_lo, 1, v71
	v_cndmask_b32_e64 v22, v5, v13, s4
	v_cmp_eq_u32_e64 s4, 2, v70
	v_cndmask_b32_e64 v19, v1, v9, s3
	v_cndmask_b32_e64 v20, v5, v13, s3
	v_cndmask_b32_e32 v1, v1, v9, vcc_lo
	v_cmp_eq_u32_e64 s3, 2, v71
	v_cndmask_b32_e32 v5, v5, v13, vcc_lo
	v_cndmask_b32_e64 v9, v17, v2, s4
	v_cmp_eq_u32_e32 vcc_lo, 3, v70
	v_cndmask_b32_e64 v13, v18, v6, s4
	v_cmp_eq_u32_e64 s4, 2, v69
	v_cndmask_b32_e64 v17, v19, v2, s5
	v_cndmask_b32_e64 v18, v20, v6, s5
	v_cmp_eq_u32_e64 s5, 3, v69
	v_cndmask_b32_e64 v1, v1, v2, s3
	v_cndmask_b32_e64 v19, v21, v2, s4
	;; [unrolled: 1-line block ×4, first 2 shown]
	v_cndmask_b32_e32 v5, v9, v10, vcc_lo
	v_cndmask_b32_e32 v6, v13, v14, vcc_lo
	v_cmp_eq_u32_e32 vcc_lo, 3, v71
	v_cndmask_b32_e64 v9, v17, v10, s6
	v_cndmask_b32_e64 v13, v18, v14, s6
	;; [unrolled: 1-line block ×3, first 2 shown]
	v_cmp_eq_u32_e64 s4, 4, v70
	v_cndmask_b32_e32 v1, v1, v10, vcc_lo
	v_cndmask_b32_e32 v2, v2, v14, vcc_lo
	v_cmp_eq_u32_e32 vcc_lo, 4, v72
	v_lshrrev_b32_e32 v15, 16, v7
	v_lshrrev_b32_e32 v16, 16, v8
	v_cndmask_b32_e64 v17, v19, v10, s5
	v_cmp_eq_u32_e64 s3, 4, v71
	v_cndmask_b32_e64 v5, v5, v3, s4
	v_cndmask_b32_e64 v6, v6, v7, s4
	v_cndmask_b32_e32 v9, v9, v3, vcc_lo
	v_cmp_eq_u32_e64 s4, 5, v72
	v_cndmask_b32_e32 v10, v13, v7, vcc_lo
	v_cmp_eq_u32_e32 vcc_lo, 4, v69
	v_cmp_eq_u32_e64 s5, 5, v70
	v_cndmask_b32_e64 v2, v2, v7, s3
	v_cndmask_b32_e64 v9, v9, v11, s4
	;; [unrolled: 1-line block ×3, first 2 shown]
	v_cndmask_b32_e32 v13, v17, v3, vcc_lo
	v_cmp_eq_u32_e64 s4, 5, v69
	v_cndmask_b32_e32 v14, v18, v7, vcc_lo
	v_cndmask_b32_e64 v1, v1, v3, s3
	v_cmp_eq_u32_e32 vcc_lo, 5, v71
	v_lshrrev_b32_e32 v12, 16, v4
	v_cndmask_b32_e64 v13, v13, v11, s4
	v_cndmask_b32_e64 v3, v14, v15, s4
	v_cmp_eq_u32_e64 s4, 6, v71
	v_cndmask_b32_e32 v1, v1, v11, vcc_lo
	v_cndmask_b32_e64 v5, v5, v11, s5
	v_cmp_eq_u32_e64 s6, 6, v70
	v_cndmask_b32_e64 v6, v6, v15, s5
	v_cmp_eq_u32_e64 s5, 6, v72
	v_cmp_eq_u32_e64 s3, 6, v69
	v_cndmask_b32_e64 v1, v1, v4, s4
	v_cndmask_b32_e32 v2, v2, v15, vcc_lo
	v_cmp_eq_u32_e32 vcc_lo, 7, v71
	v_cndmask_b32_e64 v5, v5, v4, s6
	v_cndmask_b32_e64 v9, v9, v4, s5
	v_cndmask_b32_e64 v6, v6, v8, s6
	v_cmp_eq_u32_e64 s6, 7, v70
	v_cndmask_b32_e32 v1, v1, v12, vcc_lo
	v_cndmask_b32_e64 v7, v13, v4, s3
	v_cndmask_b32_e64 v3, v3, v8, s3
	;; [unrolled: 1-line block ×3, first 2 shown]
	v_cmp_eq_u32_e64 s3, 7, v69
	v_cndmask_b32_e64 v4, v10, v8, s5
	v_cndmask_b32_e64 v5, v5, v12, s6
	;; [unrolled: 1-line block ×3, first 2 shown]
	v_cndmask_b32_e32 v2, v2, v16, vcc_lo
	v_cndmask_b32_e64 v7, v7, v12, s3
	v_cndmask_b32_e64 v3, v3, v16, s3
	;; [unrolled: 1-line block ×4, first 2 shown]
	v_cmp_gt_u32_e32 vcc_lo, 32, v0
	v_perm_b32 v4, v2, v1, 0x5040100
	v_perm_b32 v3, v3, v7, 0x5040100
	;; [unrolled: 1-line block ×4, first 2 shown]
	s_and_b32 s2, vcc_lo, s2
	ds_store_b128 v74, v[1:4]
	s_waitcnt lgkmcnt(0)
	s_barrier
	buffer_gl0_inv
	s_and_saveexec_b32 s3, s2
	s_cbranch_execz .LBB815_2
; %bb.15:
	s_load_b64 s[0:1], s[0:1], 0x68
	s_lshl_b32 s4, s35, 6
	v_or_b32_e32 v3, s31, v66
	s_mul_i32 s2, s4, s34
	v_lshlrev_b32_e32 v0, 10, v0
	s_mul_i32 s2, s2, s8
	v_lshlrev_b32_e32 v1, 4, v67
	s_ashr_i32 s3, s2, 31
	v_mul_lo_u32 v12, v3, s4
	s_lshl_b64 s[2:3], s[2:3], 1
	v_lshlrev_b32_e32 v2, 6, v66
	v_and_b32_e32 v0, 0x3800, v0
	s_delay_alu instid0(VALU_DEP_1) | instskip(NEXT) | instid1(VALU_DEP_4)
	v_or3_b32 v8, v0, v1, v2
	v_ashrrev_i32_e32 v13, 31, v12
	ds_load_b128 v[0:3], v8
	ds_load_b128 v[4:7], v8 offset:128
	ds_load_b128 v[8:11], v8 offset:256
	s_waitcnt lgkmcnt(0)
	s_add_u32 s2, s0, s2
	s_addc_u32 s3, s1, s3
	s_lshl_b32 s0, s14, 6
	s_delay_alu instid0(SALU_CYCLE_1) | instskip(NEXT) | instid1(SALU_CYCLE_1)
	s_ashr_i32 s1, s0, 31
	s_lshl_b64 s[0:1], s[0:1], 1
	s_delay_alu instid0(SALU_CYCLE_1)
	s_add_u32 s0, s2, s0
	s_addc_u32 s1, s3, s1
	s_lshl_b32 s2, s35, 7
	v_add_co_u32 v18, s0, s0, v65
	v_add_nc_u32_e32 v14, s2, v12
	v_lshlrev_b64 v[12:13], 1, v[12:13]
	v_add_co_ci_u32_e64 v19, null, s1, 0, s0
	s_delay_alu instid0(VALU_DEP_3) | instskip(SKIP_1) | instid1(VALU_DEP_4)
	v_add_nc_u32_e32 v16, s2, v14
	v_ashrrev_i32_e32 v15, 31, v14
	v_add_co_u32 v12, vcc_lo, v18, v12
	s_delay_alu instid0(VALU_DEP_4) | instskip(NEXT) | instid1(VALU_DEP_4)
	v_add_co_ci_u32_e32 v13, vcc_lo, v19, v13, vcc_lo
	v_ashrrev_i32_e32 v17, 31, v16
	s_delay_alu instid0(VALU_DEP_4) | instskip(NEXT) | instid1(VALU_DEP_2)
	v_lshlrev_b64 v[14:15], 1, v[14:15]
	v_lshlrev_b64 v[16:17], 1, v[16:17]
	s_delay_alu instid0(VALU_DEP_2) | instskip(NEXT) | instid1(VALU_DEP_3)
	v_add_co_u32 v14, vcc_lo, v18, v14
	v_add_co_ci_u32_e32 v15, vcc_lo, v19, v15, vcc_lo
	s_delay_alu instid0(VALU_DEP_3) | instskip(NEXT) | instid1(VALU_DEP_4)
	v_add_co_u32 v16, vcc_lo, v18, v16
	v_add_co_ci_u32_e32 v17, vcc_lo, v19, v17, vcc_lo
	s_clause 0x2
	global_store_b128 v[12:13], v[0:3], off
	global_store_b128 v[14:15], v[4:7], off
	global_store_b128 v[16:17], v[8:11], off
	s_nop 0
	s_sendmsg sendmsg(MSG_DEALLOC_VGPRS)
	s_endpgm
	.section	.rodata,"a",@progbits
	.p2align	6, 0x0
	.amdhsa_kernel _Z39paged_attention_ll4mi_QKV_mfma16_kernelIDF16_hLN4vllm18Fp8KVCacheDataTypeE1EDF16_Li16ELi64ELi256ELb1ELi6EL8MFMAType1EEvPKT_PKT0_S8_ifPKiSA_SA_iPKfiiiPfSD_PS3_PT2_iSC_SC_
		.amdhsa_group_segment_fixed_size 17472
		.amdhsa_private_segment_fixed_size 0
		.amdhsa_kernarg_size 400
		.amdhsa_user_sgpr_count 13
		.amdhsa_user_sgpr_dispatch_ptr 0
		.amdhsa_user_sgpr_queue_ptr 0
		.amdhsa_user_sgpr_kernarg_segment_ptr 1
		.amdhsa_user_sgpr_dispatch_id 0
		.amdhsa_user_sgpr_private_segment_size 0
		.amdhsa_wavefront_size32 1
		.amdhsa_uses_dynamic_stack 0
		.amdhsa_enable_private_segment 0
		.amdhsa_system_sgpr_workgroup_id_x 1
		.amdhsa_system_sgpr_workgroup_id_y 1
		.amdhsa_system_sgpr_workgroup_id_z 1
		.amdhsa_system_sgpr_workgroup_info 0
		.amdhsa_system_vgpr_workitem_id 0
		.amdhsa_next_free_vgpr 146
		.amdhsa_next_free_sgpr 36
		.amdhsa_reserve_vcc 1
		.amdhsa_float_round_mode_32 0
		.amdhsa_float_round_mode_16_64 0
		.amdhsa_float_denorm_mode_32 3
		.amdhsa_float_denorm_mode_16_64 3
		.amdhsa_dx10_clamp 1
		.amdhsa_ieee_mode 1
		.amdhsa_fp16_overflow 0
		.amdhsa_workgroup_processor_mode 1
		.amdhsa_memory_ordered 1
		.amdhsa_forward_progress 0
		.amdhsa_shared_vgpr_count 0
		.amdhsa_exception_fp_ieee_invalid_op 0
		.amdhsa_exception_fp_denorm_src 0
		.amdhsa_exception_fp_ieee_div_zero 0
		.amdhsa_exception_fp_ieee_overflow 0
		.amdhsa_exception_fp_ieee_underflow 0
		.amdhsa_exception_fp_ieee_inexact 0
		.amdhsa_exception_int_div_zero 0
	.end_amdhsa_kernel
	.section	.text._Z39paged_attention_ll4mi_QKV_mfma16_kernelIDF16_hLN4vllm18Fp8KVCacheDataTypeE1EDF16_Li16ELi64ELi256ELb1ELi6EL8MFMAType1EEvPKT_PKT0_S8_ifPKiSA_SA_iPKfiiiPfSD_PS3_PT2_iSC_SC_,"axG",@progbits,_Z39paged_attention_ll4mi_QKV_mfma16_kernelIDF16_hLN4vllm18Fp8KVCacheDataTypeE1EDF16_Li16ELi64ELi256ELb1ELi6EL8MFMAType1EEvPKT_PKT0_S8_ifPKiSA_SA_iPKfiiiPfSD_PS3_PT2_iSC_SC_,comdat
.Lfunc_end815:
	.size	_Z39paged_attention_ll4mi_QKV_mfma16_kernelIDF16_hLN4vllm18Fp8KVCacheDataTypeE1EDF16_Li16ELi64ELi256ELb1ELi6EL8MFMAType1EEvPKT_PKT0_S8_ifPKiSA_SA_iPKfiiiPfSD_PS3_PT2_iSC_SC_, .Lfunc_end815-_Z39paged_attention_ll4mi_QKV_mfma16_kernelIDF16_hLN4vllm18Fp8KVCacheDataTypeE1EDF16_Li16ELi64ELi256ELb1ELi6EL8MFMAType1EEvPKT_PKT0_S8_ifPKiSA_SA_iPKfiiiPfSD_PS3_PT2_iSC_SC_
                                        ; -- End function
	.section	.AMDGPU.csdata,"",@progbits
; Kernel info:
; codeLenInByte = 6460
; NumSgprs: 38
; NumVgprs: 146
; ScratchSize: 0
; MemoryBound: 0
; FloatMode: 240
; IeeeMode: 1
; LDSByteSize: 17472 bytes/workgroup (compile time only)
; SGPRBlocks: 4
; VGPRBlocks: 18
; NumSGPRsForWavesPerEU: 38
; NumVGPRsForWavesPerEU: 146
; Occupancy: 9
; WaveLimiterHint : 1
; COMPUTE_PGM_RSRC2:SCRATCH_EN: 0
; COMPUTE_PGM_RSRC2:USER_SGPR: 13
; COMPUTE_PGM_RSRC2:TRAP_HANDLER: 0
; COMPUTE_PGM_RSRC2:TGID_X_EN: 1
; COMPUTE_PGM_RSRC2:TGID_Y_EN: 1
; COMPUTE_PGM_RSRC2:TGID_Z_EN: 1
; COMPUTE_PGM_RSRC2:TIDIG_COMP_CNT: 0
	.section	.text._Z39paged_attention_ll4mi_QKV_mfma16_kernelIDF16_hLN4vllm18Fp8KVCacheDataTypeE1EDF16_Li16ELi64ELi256ELb1ELi7EL8MFMAType1EEvPKT_PKT0_S8_ifPKiSA_SA_iPKfiiiPfSD_PS3_PT2_iSC_SC_,"axG",@progbits,_Z39paged_attention_ll4mi_QKV_mfma16_kernelIDF16_hLN4vllm18Fp8KVCacheDataTypeE1EDF16_Li16ELi64ELi256ELb1ELi7EL8MFMAType1EEvPKT_PKT0_S8_ifPKiSA_SA_iPKfiiiPfSD_PS3_PT2_iSC_SC_,comdat
	.protected	_Z39paged_attention_ll4mi_QKV_mfma16_kernelIDF16_hLN4vllm18Fp8KVCacheDataTypeE1EDF16_Li16ELi64ELi256ELb1ELi7EL8MFMAType1EEvPKT_PKT0_S8_ifPKiSA_SA_iPKfiiiPfSD_PS3_PT2_iSC_SC_ ; -- Begin function _Z39paged_attention_ll4mi_QKV_mfma16_kernelIDF16_hLN4vllm18Fp8KVCacheDataTypeE1EDF16_Li16ELi64ELi256ELb1ELi7EL8MFMAType1EEvPKT_PKT0_S8_ifPKiSA_SA_iPKfiiiPfSD_PS3_PT2_iSC_SC_
	.globl	_Z39paged_attention_ll4mi_QKV_mfma16_kernelIDF16_hLN4vllm18Fp8KVCacheDataTypeE1EDF16_Li16ELi64ELi256ELb1ELi7EL8MFMAType1EEvPKT_PKT0_S8_ifPKiSA_SA_iPKfiiiPfSD_PS3_PT2_iSC_SC_
	.p2align	8
	.type	_Z39paged_attention_ll4mi_QKV_mfma16_kernelIDF16_hLN4vllm18Fp8KVCacheDataTypeE1EDF16_Li16ELi64ELi256ELb1ELi7EL8MFMAType1EEvPKT_PKT0_S8_ifPKiSA_SA_iPKfiiiPfSD_PS3_PT2_iSC_SC_,@function
_Z39paged_attention_ll4mi_QKV_mfma16_kernelIDF16_hLN4vllm18Fp8KVCacheDataTypeE1EDF16_Li16ELi64ELi256ELb1ELi7EL8MFMAType1EEvPKT_PKT0_S8_ifPKiSA_SA_iPKfiiiPfSD_PS3_PT2_iSC_SC_: ; @_Z39paged_attention_ll4mi_QKV_mfma16_kernelIDF16_hLN4vllm18Fp8KVCacheDataTypeE1EDF16_Li16ELi64ELi256ELb1ELi7EL8MFMAType1EEvPKT_PKT0_S8_ifPKiSA_SA_iPKfiiiPfSD_PS3_PT2_iSC_SC_
; %bb.0:
	s_load_b64 s[2:3], s[0:1], 0x30
	s_mov_b32 s34, s13
	s_waitcnt lgkmcnt(0)
	s_cmp_lg_u64 s[2:3], 0
	s_cselect_b32 s6, -1, 0
	s_ashr_i32 s35, s13, 31
	s_cmp_eq_u64 s[2:3], 0
	s_cbranch_scc1 .LBB816_3
; %bb.1:
	s_lshl_b64 s[4:5], s[34:35], 2
	s_delay_alu instid0(SALU_CYCLE_1) | instskip(SKIP_4) | instid1(SALU_CYCLE_1)
	s_add_u32 s4, s2, s4
	s_addc_u32 s5, s3, s5
	s_load_b64 s[4:5], s[4:5], 0x0
	s_waitcnt lgkmcnt(0)
	s_sub_i32 s4, s5, s4
	s_cmp_eq_u32 s4, 1
	s_cselect_b32 s4, -1, 0
	s_delay_alu instid0(SALU_CYCLE_1)
	s_and_not1_b32 vcc_lo, exec_lo, s4
	s_cbranch_vccz .LBB816_4
.LBB816_2:
	s_nop 0
	s_sendmsg sendmsg(MSG_DEALLOC_VGPRS)
	s_endpgm
.LBB816_3:
.LBB816_4:
	s_load_b64 s[8:9], s[0:1], 0x28
	s_lshl_b64 s[4:5], s[34:35], 2
	s_waitcnt lgkmcnt(0)
	s_add_u32 s8, s8, s4
	s_addc_u32 s9, s9, s5
	s_lshl_b32 s16, s14, 8
	s_load_b32 s18, s[8:9], 0x0
	s_waitcnt lgkmcnt(0)
	s_cmp_ge_i32 s16, s18
	s_cbranch_scc1 .LBB816_2
; %bb.5:
	s_clause 0x1
	s_load_b128 s[8:11], s[0:1], 0x8
	s_load_b64 s[12:13], s[0:1], 0x20
	s_and_not1_b32 vcc_lo, exec_lo, s6
	s_cbranch_vccnz .LBB816_7
; %bb.6:
	s_add_u32 s2, s2, s4
	s_addc_u32 s3, s3, s5
	s_load_b32 s3, s[2:3], 0x0
	s_branch .LBB816_8
.LBB816_7:
	s_mov_b32 s3, s34
.LBB816_8:
	s_load_b128 s[4:7], s[0:1], 0x48
	v_lshrrev_b32_e32 v69, 5, v0
	v_bfe_u32 v66, v0, 4, 1
	v_and_b32_e32 v68, 15, v0
	v_and_b32_e32 v70, 31, v0
	;; [unrolled: 1-line block ×3, first 2 shown]
	s_mul_i32 s33, s15, 7
	v_lshl_or_b32 v1, v69, 1, v66
	v_lshlrev_b32_e32 v2, 3, v68
	v_cmp_gt_u32_e64 s2, 8, v68
	s_delay_alu instid0(VALU_DEP_3) | instskip(NEXT) | instid1(VALU_DEP_3)
	v_cmp_gt_u32_e32 vcc_lo, 7, v1
	v_lshlrev_b32_e32 v65, 1, v2
	s_delay_alu instid0(VALU_DEP_3)
	s_and_b32 s17, s2, vcc_lo
	s_waitcnt lgkmcnt(0)
	s_and_saveexec_b32 s7, s17
	s_cbranch_execz .LBB816_10
; %bb.9:
	s_load_b64 s[20:21], s[0:1], 0x0
	v_add_lshl_u32 v2, v1, s33, 6
	s_mul_hi_i32 s23, s3, s4
	s_mul_i32 s22, s3, s4
	v_lshlrev_b32_e32 v6, 10, v68
	s_lshl_b64 s[22:23], s[22:23], 1
	v_ashrrev_i32_e32 v3, 31, v2
	v_lshlrev_b32_e32 v1, 6, v1
	v_lshlrev_b32_e32 v7, 10, v67
	v_and_b32_e32 v6, 0x3800, v6
	s_delay_alu instid0(VALU_DEP_4) | instskip(NEXT) | instid1(VALU_DEP_2)
	v_lshlrev_b64 v[2:3], 1, v[2:3]
	v_or3_b32 v1, v6, v7, v1
	s_waitcnt lgkmcnt(0)
	s_add_u32 s3, s20, s22
	s_addc_u32 s4, s21, s23
	s_delay_alu instid0(VALU_DEP_2) | instskip(SKIP_1) | instid1(VALU_DEP_2)
	v_add_co_u32 v2, vcc_lo, s3, v2
	v_add_co_ci_u32_e32 v3, vcc_lo, s4, v3, vcc_lo
	v_add_co_u32 v2, vcc_lo, v2, v65
	s_delay_alu instid0(VALU_DEP_2)
	v_add_co_ci_u32_e32 v3, vcc_lo, 0, v3, vcc_lo
	global_load_b128 v[2:5], v[2:3], off
	s_waitcnt vmcnt(0)
	ds_store_b128 v1, v[2:5]
.LBB816_10:
	s_or_b32 exec_lo, exec_lo, s7
	v_and_b32_e32 v1, 0xef, v0
	s_add_i32 s3, s18, 15
	s_clause 0x1
	s_load_b32 s4, s[0:1], 0x38
	s_load_b32 s35, s[0:1], 0x98
	s_ashr_i32 s7, s3, 31
	v_add_nc_u32_e32 v1, s16, v1
	s_lshr_b32 s7, s7, 28
	s_load_b32 s19, s[0:1], 0x1c
	s_add_i32 s3, s3, s7
	s_waitcnt lgkmcnt(0)
	v_ashrrev_i32_e32 v2, 31, v1
	v_or_b32_e32 v3, 16, v1
	s_ashr_i32 s3, s3, 4
	v_cmp_gt_i32_e32 vcc_lo, s18, v1
	s_add_i32 s3, s3, -1
	v_lshrrev_b32_e32 v2, 28, v2
	s_barrier
	buffer_gl0_inv
	s_mul_i32 s15, s15, s6
	v_mul_lo_u16 v103, v68, 37
	v_add_nc_u32_e32 v4, v1, v2
	v_mbcnt_lo_u32_b32 v127, -1, 0
	s_mul_i32 s20, s34, s4
	s_delay_alu instid0(SALU_CYCLE_1) | instskip(NEXT) | instid1(VALU_DEP_2)
	s_ashr_i32 s21, s20, 31
	v_ashrrev_i32_e32 v4, 4, v4
	v_add_nc_u32_e32 v2, v3, v2
	s_lshl_b64 s[20:21], s[20:21], 2
	v_lshrrev_b16 v103, 8, v103
	s_add_u32 s17, s12, s20
	v_cndmask_b32_e32 v1, s3, v4, vcc_lo
	v_ashrrev_i32_e32 v2, 4, v2
	v_cmp_gt_i32_e32 vcc_lo, s18, v3
	s_addc_u32 s13, s13, s21
	s_ashr_i32 s20, s15, 31
	s_add_u32 s4, s8, s15
	s_addc_u32 s12, s9, s20
	v_cndmask_b32_e32 v3, s3, v2, vcc_lo
	v_ashrrev_i32_e32 v2, 31, v1
	s_lshl_b32 s6, s14, 4
	v_mul_lo_u16 v103, v103, 7
	s_ashr_i32 s7, s6, 31
	v_ashrrev_i32_e32 v4, 31, v3
	v_lshlrev_b64 v[1:2], 2, v[1:2]
	s_lshl_b64 s[6:7], s[6:7], 2
	v_sub_nc_u16 v103, v68, v103
	s_add_u32 s6, s17, s6
	v_lshlrev_b64 v[3:4], 2, v[3:4]
	s_addc_u32 s7, s13, s7
	v_add_co_u32 v1, vcc_lo, s17, v1
	v_add_co_ci_u32_e32 v2, vcc_lo, s13, v2, vcc_lo
	s_delay_alu instid0(VALU_DEP_3) | instskip(NEXT) | instid1(VALU_DEP_4)
	v_add_co_u32 v3, vcc_lo, s17, v3
	v_add_co_ci_u32_e32 v4, vcc_lo, s13, v4, vcc_lo
	s_clause 0x1
	global_load_b32 v5, v[1:2], off
	global_load_b32 v7, v[3:4], off
	s_or_b32 s8, s16, 32
	v_lshlrev_b32_e32 v1, 4, v0
	s_ashr_i32 s9, s8, 4
	s_cmp_lt_i32 s8, s18
	v_xor_b32_e32 v128, 16, v127
	s_cselect_b32 s8, s9, s3
	v_and_b32_e32 v1, 0xf0, v1
	s_ashr_i32 s9, s8, 31
	s_delay_alu instid0(SALU_CYCLE_1)
	s_lshl_b64 s[8:9], s[8:9], 2
	v_cmp_gt_i32_e32 vcc_lo, 32, v128
	s_add_u32 s8, s17, s8
	s_addc_u32 s9, s13, s9
	s_or_b32 s21, s16, 64
	v_add_co_u32 v1, s4, s4, v1
	s_ashr_i32 s22, s21, 4
	s_cmp_lt_i32 s21, s18
	v_add_co_ci_u32_e64 v2, null, s12, 0, s4
	s_cselect_b32 s22, s22, s3
	v_dual_cndmask_b32 v136, v127, v128 :: v_dual_and_b32 v103, 0xff, v103
	s_ashr_i32 s23, s22, 31
	s_delay_alu instid0(SALU_CYCLE_1) | instskip(NEXT) | instid1(VALU_DEP_1)
	s_lshl_b64 s[22:23], s[22:23], 2
	v_lshlrev_b32_e32 v115, 6, v103
	s_add_u32 s22, s17, s22
	s_addc_u32 s23, s13, s23
	s_or_b32 s21, s16, 0x60
	s_delay_alu instid0(SALU_CYCLE_1) | instskip(SKIP_2) | instid1(SALU_CYCLE_1)
	s_ashr_i32 s24, s21, 4
	s_cmp_lt_i32 s21, s18
	s_cselect_b32 s24, s24, s3
	s_ashr_i32 s25, s24, 31
	s_delay_alu instid0(SALU_CYCLE_1) | instskip(NEXT) | instid1(SALU_CYCLE_1)
	s_lshl_b64 s[24:25], s[24:25], 2
	s_add_u32 s24, s17, s24
	s_addc_u32 s25, s13, s25
	s_or_b32 s21, s16, 0x80
	s_delay_alu instid0(SALU_CYCLE_1) | instskip(SKIP_2) | instid1(SALU_CYCLE_1)
	s_ashr_i32 s26, s21, 4
	s_cmp_lt_i32 s21, s18
	s_cselect_b32 s26, s26, s3
	s_ashr_i32 s27, s26, 31
	s_delay_alu instid0(SALU_CYCLE_1) | instskip(NEXT) | instid1(SALU_CYCLE_1)
	s_lshl_b64 s[26:27], s[26:27], 2
	;; [unrolled: 10-line block ×3, first 2 shown]
	s_add_u32 s28, s17, s28
	s_addc_u32 s29, s13, s29
	s_clause 0x5
	s_load_b32 s12, s[6:7], 0x0
	s_load_b32 s4, s[8:9], 0x0
	;; [unrolled: 1-line block ×6, first 2 shown]
	s_or_b32 s21, s16, 0xc0
	s_delay_alu instid0(SALU_CYCLE_1) | instskip(SKIP_2) | instid1(SALU_CYCLE_1)
	s_ashr_i32 s22, s21, 4
	s_cmp_lt_i32 s21, s18
	s_cselect_b32 s22, s22, s3
	s_ashr_i32 s23, s22, 31
	s_delay_alu instid0(SALU_CYCLE_1) | instskip(NEXT) | instid1(SALU_CYCLE_1)
	s_lshl_b64 s[22:23], s[22:23], 2
	s_add_u32 s22, s17, s22
	s_addc_u32 s23, s13, s23
	s_or_b32 s21, s16, 0xe0
	s_delay_alu instid0(SALU_CYCLE_1) | instskip(SKIP_2) | instid1(SALU_CYCLE_1)
	s_ashr_i32 s24, s21, 4
	s_cmp_lt_i32 s21, s18
	s_cselect_b32 s24, s24, s3
	s_ashr_i32 s25, s24, 31
	s_delay_alu instid0(SALU_CYCLE_1)
	s_lshl_b64 s[24:25], s[24:25], 2
	s_waitcnt vmcnt(1)
	v_mad_i64_i32 v[3:4], null, v5, s5, v[1:2]
	s_waitcnt vmcnt(0)
	v_mad_i64_i32 v[5:6], null, v7, s5, v[1:2]
	v_lshlrev_b32_e32 v1, 4, v68
	s_clause 0x7
	global_load_b128 v[71:74], v[3:4], off
	global_load_b128 v[75:78], v[3:4], off offset:256
	global_load_b128 v[79:82], v[5:6], off
	global_load_b128 v[83:86], v[5:6], off offset:256
	global_load_b128 v[87:90], v[3:4], off offset:512
	;; [unrolled: 1-line block ×5, first 2 shown]
	v_lshl_or_b32 v1, v69, 8, v1
	s_load_b32 s3, s[22:23], 0x0
	s_add_u32 s22, s17, s24
	s_addc_u32 s23, s13, s25
	s_add_u32 s10, s10, s15
	s_addc_u32 s11, s11, s20
	v_add_co_u32 v1, s10, s10, v1
	s_delay_alu instid0(VALU_DEP_1) | instskip(SKIP_2) | instid1(VALU_DEP_1)
	v_add_co_ci_u32_e64 v2, null, s11, 0, s10
	s_load_b32 s10, s[22:23], 0x0
	s_waitcnt lgkmcnt(0)
	v_mad_i64_i32 v[3:4], null, s12, s5, v[1:2]
	v_mad_i64_i32 v[9:10], null, s7, s5, v[1:2]
	;; [unrolled: 1-line block ×7, first 2 shown]
	s_clause 0x5
	global_load_b128 v[49:52], v[3:4], off
	global_load_b128 v[53:56], v[3:4], off offset:16
	global_load_b128 v[41:44], v[5:6], off
	global_load_b128 v[45:48], v[5:6], off offset:16
	;; [unrolled: 2-line block ×3, first 2 shown]
	s_mov_b32 s4, 0
	v_mad_i64_i32 v[61:62], null, s10, s5, v[1:2]
	s_clause 0x9
	global_load_b128 v[1:4], v[9:10], off
	global_load_b128 v[5:8], v[9:10], off offset:16
	global_load_b128 v[9:12], v[13:14], off
	global_load_b128 v[13:16], v[13:14], off offset:16
	;; [unrolled: 2-line block ×5, first 2 shown]
	s_mov_b32 s5, s4
	s_mov_b32 s6, s4
	;; [unrolled: 1-line block ×7, first 2 shown]
	v_and_b32_e32 v104, 0xe0, v0
	v_dual_mov_b32 v126, s11 :: v_dual_mov_b32 v123, s8
	v_dual_mov_b32 v125, s10 :: v_dual_mov_b32 v124, s9
	s_delay_alu instid0(VALU_DEP_3)
	v_add_nc_u32_e32 v111, s16, v104
	ds_load_b128 v[103:106], v115
	ds_load_b128 v[107:110], v115 offset:1024
	v_dual_mov_b32 v122, s7 :: v_dual_mov_b32 v121, s6
	v_mov_b32_e32 v120, s5
	v_or_b32_e32 v135, v111, v66
	ds_load_b128 v[111:114], v115 offset:2048
	ds_load_b128 v[115:118], v115 offset:3072
	v_mov_b32_e32 v119, s4
	s_waitcnt vmcnt(0) lgkmcnt(0)
	s_barrier
	v_or_b32_e32 v137, 2, v135
	v_or_b32_e32 v138, 4, v135
	;; [unrolled: 1-line block ×3, first 2 shown]
	v_cmp_gt_i32_e32 vcc_lo, s18, v135
	v_or_b32_e32 v140, 8, v135
	v_cmp_gt_i32_e64 s3, s18, v137
	v_or_b32_e32 v141, 10, v135
	v_cmp_gt_i32_e64 s4, s18, v138
	v_cmp_gt_i32_e64 s5, s18, v139
	v_or_b32_e32 v142, 12, v135
	v_or_b32_e32 v143, 14, v135
	v_cmp_gt_i32_e64 s6, s18, v140
	v_cmp_gt_i32_e64 s7, s18, v141
	v_or_b32_e32 v144, 16, v135
	v_or_b32_e32 v145, 18, v135
	v_cmp_gt_i32_e64 s8, s18, v142
	v_cmp_gt_i32_e64 s9, s18, v143
	buffer_gl0_inv
	v_cmp_gt_i32_e64 s10, s18, v144
	v_cmp_gt_i32_e64 s11, s18, v145
	v_wmma_f32_16x16x16_f16 v[127:134], v[71:78], v[103:110], v[119:126]
	v_wmma_f32_16x16x16_f16 v[119:126], v[79:86], v[103:110], v[119:126]
	v_or_b32_e32 v71, 20, v135
	v_or_b32_e32 v72, 22, v135
	s_delay_alu instid0(VALU_DEP_4)
	v_wmma_f32_16x16x16_f16 v[127:134], v[87:94], v[111:118], v[127:134]
	v_or_b32_e32 v73, 24, v135
	v_wmma_f32_16x16x16_f16 v[119:126], v[95:102], v[111:118], v[119:126]
	v_or_b32_e32 v74, 26, v135
	v_cmp_gt_i32_e64 s12, s18, v71
	v_dual_mul_f32 v83, s19, v128 :: v_dual_mul_f32 v84, s19, v127
	s_delay_alu instid0(VALU_DEP_4) | instskip(SKIP_1) | instid1(VALU_DEP_3)
	v_dual_mul_f32 v81, s19, v130 :: v_dual_mul_f32 v92, s19, v119
	v_mul_f32_e32 v82, s19, v129
	v_cndmask_b32_e64 v83, 0xff7fffff, v83, s3
	s_delay_alu instid0(VALU_DEP_4)
	v_cndmask_b32_e32 v84, 0xff7fffff, v84, vcc_lo
	v_dual_mul_f32 v79, s19, v132 :: v_dual_mul_f32 v90, s19, v121
	v_mul_f32_e32 v80, s19, v131
	v_cndmask_b32_e64 v82, 0xff7fffff, v82, s4
	v_cndmask_b32_e64 v81, 0xff7fffff, v81, s5
	v_max3_f32 v83, v84, 0xff7fffff, v83
	v_dual_mul_f32 v77, s19, v134 :: v_dual_mul_f32 v88, s19, v123
	v_mul_f32_e32 v78, s19, v133
	v_cndmask_b32_e64 v80, 0xff7fffff, v80, s6
	v_cndmask_b32_e64 v79, 0xff7fffff, v79, s7
	v_max3_f32 v81, v83, v82, v81
	v_mul_f32_e32 v91, s19, v120
	v_cndmask_b32_e64 v78, 0xff7fffff, v78, s8
	v_cndmask_b32_e64 v77, 0xff7fffff, v77, s9
	v_mul_f32_e32 v89, s19, v122
	v_max3_f32 v79, v81, v80, v79
	v_cndmask_b32_e64 v80, 0xff7fffff, v92, s10
	v_cndmask_b32_e64 v81, 0xff7fffff, v91, s11
	v_cmp_gt_i32_e64 s13, s18, v72
	v_or_b32_e32 v75, 28, v135
	v_max3_f32 v77, v79, v78, v77
	v_or_b32_e32 v76, 30, v135
	v_mul_f32_e32 v87, s19, v124
	v_cndmask_b32_e64 v71, 0xff7fffff, v90, s12
	v_cndmask_b32_e64 v72, 0xff7fffff, v89, s13
	v_max3_f32 v77, v77, v80, v81
	v_cmp_gt_i32_e64 s15, s18, v73
	v_cmp_gt_i32_e64 s16, s18, v74
	v_dual_mul_f32 v85, s19, v126 :: v_dual_mul_f32 v86, s19, v125
	s_delay_alu instid0(VALU_DEP_4) | instskip(NEXT) | instid1(VALU_DEP_4)
	v_max3_f32 v71, v77, v71, v72
	v_cndmask_b32_e64 v73, 0xff7fffff, v88, s15
	s_delay_alu instid0(VALU_DEP_4) | instskip(SKIP_2) | instid1(VALU_DEP_3)
	v_cndmask_b32_e64 v74, 0xff7fffff, v87, s16
	v_cmp_gt_i32_e64 s17, s18, v75
	v_cmp_gt_i32_e64 s18, s18, v76
	v_max3_f32 v71, v71, v73, v74
	s_delay_alu instid0(VALU_DEP_3) | instskip(NEXT) | instid1(VALU_DEP_3)
	v_cndmask_b32_e64 v72, 0xff7fffff, v86, s17
	v_cndmask_b32_e64 v75, 0xff7fffff, v85, s18
	v_lshlrev_b32_e32 v73, 2, v136
	s_delay_alu instid0(VALU_DEP_2) | instskip(SKIP_3) | instid1(VALU_DEP_1)
	v_max3_f32 v71, v71, v72, v75
	ds_bpermute_b32 v72, v73, v71
	s_waitcnt lgkmcnt(0)
	v_max_f32_e32 v72, v72, v72
	v_max_f32_e32 v71, v71, v72
	s_delay_alu instid0(VALU_DEP_1)
	v_fma_f32 v72, s19, v127, -v71
	v_fma_f32 v74, s19, v128, -v71
	;; [unrolled: 1-line block ×5, first 2 shown]
	v_mul_f32_e32 v72, 0x3fb8aa3b, v72
	v_mul_f32_e32 v74, 0x3fb8aa3b, v74
	v_fma_f32 v80, s19, v133, -v71
	s_delay_alu instid0(VALU_DEP_4) | instskip(NEXT) | instid1(VALU_DEP_4)
	v_dual_mul_f32 v76, 0x3fb8aa3b, v76 :: v_dual_mul_f32 v77, 0x3fb8aa3b, v77
	v_exp_f32_e32 v72, v72
	s_delay_alu instid0(VALU_DEP_3) | instskip(NEXT) | instid1(VALU_DEP_2)
	v_exp_f32_e32 v74, v74
	v_mul_f32_e32 v82, 0x3fb8aa3b, v80
	s_delay_alu instid0(VALU_DEP_2) | instskip(SKIP_1) | instid1(VALU_DEP_1)
	v_exp_f32_e32 v76, v76
	v_exp_f32_e32 v77, v77
	;; [unrolled: 1-line block ×3, first 2 shown]
	v_cndmask_b32_e32 v79, 0, v72, vcc_lo
	v_fma_f32 v72, s19, v132, -v71
	v_mul_f32_e32 v75, 0x3fb8aa3b, v75
	v_cndmask_b32_e64 v78, 0, v74, s3
	s_delay_alu instid0(TRANS32_DEP_3)
	v_cndmask_b32_e64 v80, 0, v76, s5
	v_add_f32_e32 v74, 0, v79
	v_mul_f32_e32 v72, 0x3fb8aa3b, v72
	v_exp_f32_e32 v75, v75
	v_cndmask_b32_e64 v83, 0, v77, s6
	v_cndmask_b32_e64 v85, 0, v84, s8
	v_add_f32_e32 v74, v74, v78
	v_exp_f32_e32 v72, v72
	v_cmp_gt_u32_e64 s3, 16, v70
	s_waitcnt_depctr 0xfff
	v_cndmask_b32_e64 v81, 0, v75, s4
	v_cndmask_b32_e64 v82, 0, v72, s7
	s_delay_alu instid0(VALU_DEP_2) | instskip(NEXT) | instid1(VALU_DEP_1)
	v_add_f32_e32 v74, v74, v81
	v_add_f32_e32 v74, v74, v80
	s_delay_alu instid0(VALU_DEP_1) | instskip(SKIP_4) | instid1(VALU_DEP_4)
	v_add_f32_e32 v72, v74, v83
	v_fma_f32 v75, s19, v134, -v71
	v_fma_f32 v76, s19, v119, -v71
	;; [unrolled: 1-line block ×4, first 2 shown]
	v_dual_add_f32 v72, v72, v82 :: v_dual_mul_f32 v75, 0x3fb8aa3b, v75
	s_delay_alu instid0(VALU_DEP_3) | instskip(SKIP_1) | instid1(VALU_DEP_3)
	v_dual_mul_f32 v76, 0x3fb8aa3b, v76 :: v_dual_mul_f32 v77, 0x3fb8aa3b, v77
	v_fma_f32 v86, s19, v122, -v71
	v_add_f32_e32 v72, v72, v85
	s_delay_alu instid0(VALU_DEP_4) | instskip(NEXT) | instid1(VALU_DEP_3)
	v_exp_f32_e32 v75, v75
	v_exp_f32_e32 v76, v76
	;; [unrolled: 1-line block ×3, first 2 shown]
	v_mul_f32_e32 v86, 0x3fb8aa3b, v86
	s_delay_alu instid0(VALU_DEP_1) | instskip(SKIP_3) | instid1(TRANS32_DEP_3)
	v_exp_f32_e32 v88, v86
	v_cndmask_b32_e64 v84, 0, v75, s9
	v_fma_f32 v75, s19, v123, -v71
	v_mul_f32_e32 v74, 0x3fb8aa3b, v74
	v_cndmask_b32_e64 v87, 0, v76, s10
	v_fma_f32 v76, s19, v124, -v71
	s_delay_alu instid0(VALU_DEP_4) | instskip(NEXT) | instid1(VALU_DEP_4)
	v_dual_add_f32 v72, v72, v84 :: v_dual_mul_f32 v75, 0x3fb8aa3b, v75
	v_exp_f32_e32 v74, v74
	v_cndmask_b32_e64 v86, 0, v77, s11
	v_fma_f32 v77, s19, v125, -v71
	s_delay_alu instid0(VALU_DEP_3) | instskip(SKIP_3) | instid1(VALU_DEP_3)
	v_add_f32_e32 v72, v72, v87
	v_mul_f32_e32 v76, 0x3fb8aa3b, v76
	v_exp_f32_e32 v75, v75
	v_cndmask_b32_e64 v88, 0, v88, s13
	v_add_f32_e32 v72, v72, v86
	s_delay_alu instid0(VALU_DEP_3) | instskip(NEXT) | instid1(TRANS32_DEP_3)
	v_exp_f32_e32 v76, v76
	v_cndmask_b32_e64 v89, 0, v74, s12
	v_mul_f32_e32 v74, 0x3fb8aa3b, v77
	v_fma_f32 v77, s19, v126, -v71
	s_delay_alu instid0(VALU_DEP_3) | instskip(NEXT) | instid1(VALU_DEP_3)
	v_add_f32_e32 v72, v72, v89
	v_exp_f32_e32 v74, v74
	s_delay_alu instid0(TRANS32_DEP_3) | instskip(NEXT) | instid1(VALU_DEP_3)
	v_cndmask_b32_e64 v91, 0, v75, s15
	v_mul_f32_e32 v75, 0x3fb8aa3b, v77
	s_delay_alu instid0(TRANS32_DEP_2) | instskip(SKIP_1) | instid1(VALU_DEP_3)
	v_cndmask_b32_e64 v90, 0, v76, s16
	v_add_f32_e32 v72, v72, v88
	v_exp_f32_e32 v75, v75
	s_delay_alu instid0(VALU_DEP_1) | instskip(NEXT) | instid1(TRANS32_DEP_2)
	v_add_f32_e32 v72, v72, v91
	v_cndmask_b32_e64 v93, 0, v74, s17
	s_delay_alu instid0(VALU_DEP_2) | instskip(SKIP_3) | instid1(VALU_DEP_1)
	v_add_f32_e32 v72, v72, v90
	s_waitcnt_depctr 0xfff
	v_cndmask_b32_e64 v92, 0, v75, s18
	v_add_f32_e32 v72, v72, v93
	v_add_f32_e32 v72, v72, v92
	ds_bpermute_b32 v73, v73, v72
	s_and_saveexec_b32 s4, s3
	s_cbranch_execz .LBB816_12
; %bb.11:
	v_mul_u32_u24_e32 v70, 0x44, v69
	s_waitcnt lgkmcnt(0)
	v_add_f32_e32 v72, v72, v73
	s_delay_alu instid0(VALU_DEP_2) | instskip(NEXT) | instid1(VALU_DEP_1)
	v_lshl_add_u32 v70, v68, 2, v70
	v_add_nc_u32_e32 v70, 0x4000, v70
	ds_store_2addr_b32 v70, v71, v72 offset1:136
.LBB816_12:
	s_or_b32 exec_lo, exec_lo, s4
	v_lshlrev_b32_e32 v70, 2, v68
	s_load_b32 s36, s[0:1], 0x94
	s_waitcnt lgkmcnt(0)
	s_barrier
	buffer_gl0_inv
	v_add_nc_u32_e32 v98, 0x4000, v70
	v_cmp_eq_u32_e32 vcc_lo, 1, v69
	v_cmp_eq_u32_e64 s4, 2, v69
	v_cmp_eq_u32_e64 s5, 3, v69
	;; [unrolled: 1-line block ×3, first 2 shown]
	ds_load_2addr_b32 v[70:71], v98 offset1:17
	ds_load_2addr_b32 v[72:73], v98 offset0:34 offset1:51
	ds_load_2addr_b32 v[74:75], v98 offset0:68 offset1:85
	;; [unrolled: 1-line block ×3, first 2 shown]
	v_cmp_eq_u32_e64 s7, 5, v69
	v_cmp_eq_u32_e64 s8, 7, v69
	s_waitcnt lgkmcnt(3)
	v_max3_f32 v76, v70, 0xff7fffff, v71
	s_waitcnt lgkmcnt(2)
	s_delay_alu instid0(VALU_DEP_1) | instskip(SKIP_1) | instid1(VALU_DEP_1)
	v_max3_f32 v76, v76, v72, v73
	s_waitcnt lgkmcnt(1)
	v_max3_f32 v76, v76, v74, v75
	s_waitcnt lgkmcnt(0)
	s_delay_alu instid0(VALU_DEP_1) | instskip(NEXT) | instid1(VALU_DEP_1)
	v_max3_f32 v76, v76, v94, v95
	v_sub_f32_e32 v77, v71, v76
	ds_load_2addr_b32 v[96:97], v98 offset0:136 offset1:153
	v_sub_f32_e32 v74, v74, v76
	v_sub_f32_e32 v70, v70, v76
	;; [unrolled: 1-line block ×3, first 2 shown]
	v_dual_sub_f32 v72, v72, v76 :: v_dual_mul_f32 v77, 0x3fb8aa3b, v77
	s_delay_alu instid0(VALU_DEP_4) | instskip(NEXT) | instid1(VALU_DEP_4)
	v_mul_f32_e32 v103, 0x3fb8aa3b, v74
	v_mul_f32_e32 v99, 0x3fb8aa3b, v70
	ds_load_2addr_b32 v[70:71], v98 offset0:170 offset1:187
	v_dual_mul_f32 v101, 0x3fb8aa3b, v72 :: v_dual_mul_f32 v94, 0x3fb8aa3b, v94
	v_exp_f32_e32 v102, v77
	v_exp_f32_e32 v99, v99
	s_delay_alu instid0(VALU_DEP_1) | instskip(NEXT) | instid1(VALU_DEP_1)
	v_exp_f32_e32 v101, v101
	v_exp_f32_e32 v94, v94
	s_waitcnt lgkmcnt(1)
	s_delay_alu instid0(TRANS32_DEP_3)
	v_fma_f32 v77, v99, v96, 0
	v_sub_f32_e32 v100, v73, v76
	ds_load_2addr_b32 v[72:73], v98 offset0:204 offset1:221
	v_fmac_f32_e32 v77, v102, v97
	v_exp_f32_e32 v97, v103
	s_waitcnt lgkmcnt(1)
	s_delay_alu instid0(VALU_DEP_1)
	v_dual_fmac_f32 v77, v101, v70 :: v_dual_sub_f32 v96, v75, v76
	ds_load_2addr_b32 v[74:75], v98 offset0:238 offset1:255
	v_sub_f32_e32 v70, v95, v76
	s_waitcnt lgkmcnt(0)
	s_barrier
	v_mul_f32_e32 v96, 0x3fb8aa3b, v96
	buffer_gl0_inv
	v_exp_f32_e32 v95, v96
	v_mul_f32_e32 v100, 0x3fb8aa3b, v100
	s_delay_alu instid0(VALU_DEP_1) | instskip(SKIP_3) | instid1(VALU_DEP_2)
	v_exp_f32_e32 v100, v100
	s_waitcnt_depctr 0xfff
	v_dual_fmac_f32 v77, v100, v71 :: v_dual_mul_f32 v70, 0x3fb8aa3b, v70
	v_cndmask_b32_e32 v71, v99, v102, vcc_lo
	v_fmac_f32_e32 v77, v97, v72
	s_delay_alu instid0(VALU_DEP_3) | instskip(NEXT) | instid1(VALU_DEP_1)
	v_exp_f32_e32 v96, v70
	v_fmac_f32_e32 v77, v95, v73
	s_delay_alu instid0(VALU_DEP_1) | instskip(SKIP_2) | instid1(VALU_DEP_1)
	v_fmac_f32_e32 v77, v94, v74
	s_waitcnt_depctr 0xfff
	v_fmac_f32_e32 v77, v96, v75
	v_add_f32_e32 v74, 0x358637bd, v77
	s_delay_alu instid0(VALU_DEP_1) | instskip(SKIP_1) | instid1(VALU_DEP_2)
	v_div_scale_f32 v98, null, v74, v74, 1.0
	v_div_scale_f32 v99, vcc_lo, 1.0, v74, 1.0
	v_rcp_f32_e32 v103, v98
	s_waitcnt_depctr 0xfff
	v_fma_f32 v70, -v98, v103, 1.0
	s_delay_alu instid0(VALU_DEP_1) | instskip(SKIP_2) | instid1(VALU_DEP_2)
	v_fmac_f32_e32 v103, v70, v103
	v_cndmask_b32_e64 v70, v71, v101, s4
	v_cmp_eq_u32_e64 s4, 6, v69
	v_cndmask_b32_e64 v71, v70, v100, s5
	s_delay_alu instid0(VALU_DEP_4) | instskip(NEXT) | instid1(VALU_DEP_2)
	v_dual_mul_f32 v101, v99, v103 :: v_dual_lshlrev_b32 v70, 2, v66
	v_cndmask_b32_e64 v71, v71, v97, s6
	s_delay_alu instid0(VALU_DEP_2) | instskip(NEXT) | instid1(VALU_DEP_3)
	v_or_b32_e32 v72, 1, v70
	v_fma_f32 v100, -v98, v101, v99
	v_cmp_eq_u32_e64 s5, 1, v70
	v_cmp_eq_u32_e64 s6, 2, v70
	v_cndmask_b32_e64 v95, v71, v95, s7
	v_or_b32_e32 v71, 3, v70
	v_fmac_f32_e32 v101, v100, v103
	v_cmp_eq_u32_e64 s10, 1, v72
	v_cmp_eq_u32_e64 s13, 2, v72
	v_cndmask_b32_e64 v94, v95, v94, s4
	v_cmp_eq_u32_e64 s12, 1, v71
	v_fma_f32 v97, -v98, v101, v99
	v_cmp_eq_u32_e64 s17, 2, v71
	v_cmp_eq_u32_e64 s15, 3, v72
	v_cndmask_b32_e64 v94, v94, v96, s8
	v_cmp_eq_u32_e64 s19, 3, v71
	v_div_fmas_f32 v95, v97, v103, v101
	v_cmp_eq_u32_e32 vcc_lo, 3, v70
	v_cmp_eq_u32_e64 s4, 4, v70
	v_cmp_eq_u32_e64 s20, 4, v72
	;; [unrolled: 1-line block ×3, first 2 shown]
	v_div_fixup_f32 v95, v95, v74, 1.0
	v_lshlrev_b32_e32 v73, 6, v68
	v_cmp_eq_u32_e64 s7, 5, v70
	v_cmp_eq_u32_e64 s21, 5, v72
	;; [unrolled: 1-line block ×3, first 2 shown]
	v_mul_f32_e32 v102, v94, v95
	v_lshl_or_b32 v75, v69, 11, v73
	v_or_b32_e32 v69, 2, v70
	v_cmp_eq_u32_e64 s26, 6, v72
	v_cmp_eq_u32_e64 s28, 6, v71
	v_fma_mixlo_f16 v94, v102, v79, 0
	v_fma_mixlo_f16 v95, v102, v81, 0
	;; [unrolled: 1-line block ×8, first 2 shown]
	v_lshl_or_b32 v74, v66, 4, v75
	v_fma_mixhi_f16 v94, v102, v78, 0
	v_fma_mixhi_f16 v95, v102, v80, 0
	;; [unrolled: 1-line block ×8, first 2 shown]
	ds_store_b128 v74, v[94:97]
	ds_store_b128 v74, v[98:101] offset:1024
	s_waitcnt lgkmcnt(0)
	s_barrier
	buffer_gl0_inv
	ds_load_b128 v[78:81], v75
	ds_load_b128 v[82:85], v75 offset:16
	ds_load_b128 v[86:89], v75 offset:1024
	;; [unrolled: 1-line block ×3, first 2 shown]
	v_cmp_eq_u32_e64 s11, 1, v69
	v_cmp_eq_u32_e64 s16, 2, v69
	;; [unrolled: 1-line block ×11, first 2 shown]
	s_waitcnt lgkmcnt(3)
	v_lshrrev_b32_e32 v94, 16, v78
	s_waitcnt lgkmcnt(2)
	v_lshrrev_b32_e32 v98, 16, v82
	;; [unrolled: 2-line block ×4, first 2 shown]
	v_lshrrev_b32_e32 v95, 16, v79
	v_cndmask_b32_e64 v110, v78, v94, s5
	v_cndmask_b32_e64 v111, v82, v98, s5
	;; [unrolled: 1-line block ×8, first 2 shown]
	v_lshrrev_b32_e32 v99, 16, v83
	v_cndmask_b32_e64 v94, v86, v102, s5
	v_cndmask_b32_e64 v98, v90, v106, s5
	v_cndmask_b32_e64 v116, v86, v102, s10
	v_cndmask_b32_e64 v117, v90, v106, s10
	v_cndmask_b32_e64 v118, v86, v102, s11
	v_cndmask_b32_e64 v119, v90, v106, s11
	v_cndmask_b32_e64 v86, v86, v102, s12
	v_cndmask_b32_e64 v90, v90, v106, s12
	v_cndmask_b32_e64 v102, v110, v79, s6
	v_cndmask_b32_e64 v106, v111, v83, s6
	v_cndmask_b32_e64 v110, v112, v79, s13
	v_cndmask_b32_e64 v111, v113, v83, s13
	v_cndmask_b32_e64 v112, v114, v79, s16
	v_cndmask_b32_e64 v78, v78, v79, s17
	v_cndmask_b32_e64 v79, v82, v83, s17
	v_lshrrev_b32_e32 v103, 16, v87
	v_lshrrev_b32_e32 v107, 16, v91
	v_cndmask_b32_e64 v113, v115, v83, s16
	v_cndmask_b32_e64 v82, v94, v87, s6
	;; [unrolled: 1-line block ×7, first 2 shown]
	v_cndmask_b32_e32 v90, v102, v95, vcc_lo
	v_cndmask_b32_e32 v102, v106, v99, vcc_lo
	v_cndmask_b32_e64 v106, v110, v95, s15
	v_cndmask_b32_e64 v110, v111, v99, s15
	;; [unrolled: 1-line block ×4, first 2 shown]
	v_lshrrev_b32_e32 v96, 16, v80
	v_lshrrev_b32_e32 v100, 16, v84
	v_cndmask_b32_e64 v111, v112, v95, s18
	v_cndmask_b32_e64 v112, v113, v99, s18
	v_cndmask_b32_e32 v82, v82, v103, vcc_lo
	v_cndmask_b32_e32 v83, v83, v107, vcc_lo
	v_cndmask_b32_e64 v94, v94, v103, s15
	v_cndmask_b32_e64 v90, v90, v80, s4
	v_cndmask_b32_e64 v95, v102, v84, s4
	v_cndmask_b32_e64 v99, v106, v80, s20
	v_cndmask_b32_e64 v102, v110, v84, s20
	v_cndmask_b32_e64 v78, v78, v80, s23
	v_cndmask_b32_e64 v79, v79, v84, s23
	v_lshrrev_b32_e32 v104, 16, v88
	v_cndmask_b32_e64 v106, v111, v80, s22
	v_cndmask_b32_e64 v110, v112, v84, s22
	;; [unrolled: 1-line block ×11, first 2 shown]
	v_lshrrev_b32_e32 v97, 16, v81
	v_lshrrev_b32_e32 v101, 16, v85
	v_cndmask_b32_e64 v99, v106, v96, s24
	v_cndmask_b32_e64 v102, v110, v100, s24
	;; [unrolled: 1-line block ×7, first 2 shown]
	v_lshrrev_b32_e32 v105, 16, v89
	v_cndmask_b32_e64 v80, v80, v104, s7
	v_cndmask_b32_e64 v84, v84, v81, s8
	;; [unrolled: 1-line block ×16, first 2 shown]
	v_perm_b32 v81, v79, v78, 0x5040100
	v_perm_b32 v79, v95, v85, 0x5040100
	v_cndmask_b32_e64 v78, v119, v91, s16
	v_cndmask_b32_e64 v85, v117, v91, s13
	;; [unrolled: 1-line block ×3, first 2 shown]
	v_perm_b32 v80, v94, v90, 0x5040100
	v_cndmask_b32_e64 v90, v98, v103, s18
	v_cndmask_b32_e64 v86, v86, v103, s19
	;; [unrolled: 1-line block ×5, first 2 shown]
	v_lshrrev_b32_e32 v108, 16, v92
	v_cndmask_b32_e64 v90, v90, v88, s22
	v_cndmask_b32_e64 v86, v86, v88, s23
	;; [unrolled: 1-line block ×11, first 2 shown]
	v_lshrrev_b32_e32 v109, 16, v93
	v_cndmask_b32_e64 v82, v82, v93, s8
	v_cndmask_b32_e64 v88, v88, v89, s27
	;; [unrolled: 1-line block ×12, first 2 shown]
	v_perm_b32 v78, v84, v83, 0x5040100
	v_perm_b32 v85, v87, v86, 0x5040100
	;; [unrolled: 1-line block ×5, first 2 shown]
	s_mul_i32 s9, s35, 7
	s_mov_b32 s4, exec_lo
	ds_store_b128 v74, v[78:81]
	ds_store_b128 v74, v[82:85] offset:1024
	v_cmpx_gt_u32_e32 7, v0
	s_cbranch_execz .LBB816_14
; %bb.13:
	s_mul_i32 s5, s9, s34
	s_load_b128 s[16:19], s[0:1], 0x58
	v_add3_u32 v68, s5, s33, v68
	s_delay_alu instid0(VALU_DEP_1) | instskip(NEXT) | instid1(VALU_DEP_1)
	v_mad_u64_u32 v[78:79], null, v68, s36, s[14:15]
	v_ashrrev_i32_e32 v79, 31, v78
	s_delay_alu instid0(VALU_DEP_1) | instskip(SKIP_1) | instid1(VALU_DEP_1)
	v_lshlrev_b64 v[78:79], 2, v[78:79]
	s_waitcnt lgkmcnt(0)
	v_add_co_u32 v80, vcc_lo, s18, v78
	s_delay_alu instid0(VALU_DEP_2)
	v_add_co_ci_u32_e32 v81, vcc_lo, s19, v79, vcc_lo
	v_add_co_u32 v78, vcc_lo, s16, v78
	v_add_co_ci_u32_e32 v79, vcc_lo, s17, v79, vcc_lo
	global_store_b32 v[80:81], v76, off
	global_store_b32 v[78:79], v77, off
.LBB816_14:
	s_or_b32 exec_lo, exec_lo, s4
	s_waitcnt lgkmcnt(0)
	s_waitcnt_vscnt null, 0x0
	s_barrier
	buffer_gl0_inv
	ds_load_b128 v[84:87], v73
	ds_load_b128 v[88:91], v73 offset:16
	ds_load_b128 v[96:99], v73 offset:2064
	;; [unrolled: 1-line block ×5, first 2 shown]
	v_cmp_eq_u32_e32 vcc_lo, 1, v70
	v_mov_b32_e32 v76, 0
	ds_load_b128 v[112:115], v73 offset:6160
	ds_load_b128 v[108:111], v73 offset:6144
	;; [unrolled: 1-line block ×4, first 2 shown]
	v_cmp_eq_u32_e64 s5, 1, v69
	v_cmp_eq_u32_e64 s4, 1, v72
	;; [unrolled: 1-line block ×3, first 2 shown]
	v_mov_b32_e32 v77, v76
	v_mov_b32_e32 v78, v76
	v_mov_b32_e32 v79, v76
	v_mov_b32_e32 v80, v76
	v_mov_b32_e32 v81, v76
	v_mov_b32_e32 v82, v76
	v_mov_b32_e32 v83, v76
	v_cmp_eq_u32_e64 s7, 3, v72
	v_cmp_eq_u32_e64 s8, 7, v72
	s_waitcnt lgkmcnt(8)
	s_delay_alu instid0(VALU_DEP_3)
	v_wmma_f32_16x16x16_f16 v[76:83], v[49:56], v[84:91], v[76:83]
	ds_load_b128 v[53:56], v73 offset:10256
	ds_load_b128 v[49:52], v73 offset:10240
	s_waitcnt lgkmcnt(8)
	v_wmma_f32_16x16x16_f16 v[76:83], v[41:48], v[92:99], v[76:83]
	ds_load_b128 v[45:48], v73 offset:12304
	ds_load_b128 v[41:44], v73 offset:12288
	s_waitcnt lgkmcnt(8)
	;; [unrolled: 4-line block ×3, first 2 shown]
	s_barrier
	buffer_gl0_inv
	v_wmma_f32_16x16x16_f16 v[76:83], v[1:8], v[108:115], v[76:83]
	s_delay_alu instid0(VALU_DEP_1) | instskip(NEXT) | instid1(VALU_DEP_1)
	v_wmma_f32_16x16x16_f16 v[76:83], v[9:16], v[116:123], v[76:83]
	v_wmma_f32_16x16x16_f16 v[76:83], v[17:24], v[49:56], v[76:83]
	s_delay_alu instid0(VALU_DEP_1) | instskip(NEXT) | instid1(VALU_DEP_1)
	v_wmma_f32_16x16x16_f16 v[76:83], v[25:32], v[41:48], v[76:83]
	v_wmma_f32_16x16x16_f16 v[76:83], v[57:64], v[33:40], v[76:83]
	s_delay_alu instid0(VALU_DEP_1) | instskip(NEXT) | instid1(VALU_DEP_2)
	v_cvt_f16_f32_e32 v1, v76
	v_cvt_f16_f32_e32 v2, v77
	s_delay_alu instid0(VALU_DEP_3) | instskip(NEXT) | instid1(VALU_DEP_4)
	v_cvt_f16_f32_e32 v3, v78
	v_cvt_f16_f32_e32 v4, v79
	;; [unrolled: 1-line block ×6, first 2 shown]
	v_pack_b32_f16 v1, v1, v2
	v_pack_b32_f16 v2, v3, v4
	;; [unrolled: 1-line block ×3, first 2 shown]
	s_delay_alu instid0(VALU_DEP_4)
	v_pack_b32_f16 v4, v7, v8
	ds_store_b128 v74, v[1:4]
	s_waitcnt lgkmcnt(0)
	s_barrier
	buffer_gl0_inv
	ds_load_b128 v[1:4], v75
	ds_load_b128 v[5:8], v75 offset:16
	s_waitcnt lgkmcnt(1)
	v_lshrrev_b32_e32 v9, 16, v1
	s_waitcnt lgkmcnt(0)
	v_lshrrev_b32_e32 v13, 16, v5
	v_lshrrev_b32_e32 v10, 16, v2
	;; [unrolled: 1-line block ×4, first 2 shown]
	v_cndmask_b32_e32 v17, v1, v9, vcc_lo
	v_cndmask_b32_e32 v18, v5, v13, vcc_lo
	v_cndmask_b32_e64 v21, v1, v9, s5
	v_cmp_eq_u32_e32 vcc_lo, 1, v71
	v_cndmask_b32_e64 v22, v5, v13, s5
	v_cmp_eq_u32_e64 s5, 2, v70
	v_cndmask_b32_e64 v19, v1, v9, s4
	v_cndmask_b32_e64 v20, v5, v13, s4
	v_cndmask_b32_e32 v1, v1, v9, vcc_lo
	v_cmp_eq_u32_e64 s4, 2, v71
	v_cndmask_b32_e32 v5, v5, v13, vcc_lo
	v_cndmask_b32_e64 v9, v17, v2, s5
	v_cmp_eq_u32_e32 vcc_lo, 3, v70
	v_cndmask_b32_e64 v13, v18, v6, s5
	v_cmp_eq_u32_e64 s5, 2, v69
	v_cndmask_b32_e64 v17, v19, v2, s6
	v_cndmask_b32_e64 v18, v20, v6, s6
	v_cmp_eq_u32_e64 s6, 3, v69
	v_cndmask_b32_e64 v1, v1, v2, s4
	v_cndmask_b32_e64 v19, v21, v2, s5
	v_cndmask_b32_e64 v20, v22, v6, s5
	v_cndmask_b32_e64 v2, v5, v6, s4
	v_cndmask_b32_e32 v5, v9, v10, vcc_lo
	v_cndmask_b32_e32 v6, v13, v14, vcc_lo
	v_cmp_eq_u32_e32 vcc_lo, 3, v71
	v_cndmask_b32_e64 v9, v17, v10, s7
	v_cndmask_b32_e64 v13, v18, v14, s7
	;; [unrolled: 1-line block ×3, first 2 shown]
	v_cmp_eq_u32_e64 s5, 4, v70
	v_cndmask_b32_e32 v1, v1, v10, vcc_lo
	v_cndmask_b32_e32 v2, v2, v14, vcc_lo
	v_cmp_eq_u32_e32 vcc_lo, 4, v72
	v_lshrrev_b32_e32 v15, 16, v7
	v_lshrrev_b32_e32 v16, 16, v8
	v_cndmask_b32_e64 v17, v19, v10, s6
	v_cmp_eq_u32_e64 s4, 4, v71
	v_cndmask_b32_e64 v5, v5, v3, s5
	v_cndmask_b32_e64 v6, v6, v7, s5
	v_cndmask_b32_e32 v9, v9, v3, vcc_lo
	v_cmp_eq_u32_e64 s5, 5, v72
	v_cndmask_b32_e32 v10, v13, v7, vcc_lo
	v_cmp_eq_u32_e32 vcc_lo, 4, v69
	v_cmp_eq_u32_e64 s6, 5, v70
	v_cndmask_b32_e64 v2, v2, v7, s4
	v_cndmask_b32_e64 v9, v9, v11, s5
	;; [unrolled: 1-line block ×3, first 2 shown]
	v_cndmask_b32_e32 v13, v17, v3, vcc_lo
	v_cmp_eq_u32_e64 s5, 5, v69
	v_cndmask_b32_e32 v14, v18, v7, vcc_lo
	v_cndmask_b32_e64 v1, v1, v3, s4
	v_cmp_eq_u32_e32 vcc_lo, 5, v71
	v_lshrrev_b32_e32 v12, 16, v4
	v_cndmask_b32_e64 v13, v13, v11, s5
	v_cndmask_b32_e64 v3, v14, v15, s5
	v_cmp_eq_u32_e64 s5, 6, v71
	v_cndmask_b32_e32 v1, v1, v11, vcc_lo
	v_cndmask_b32_e64 v5, v5, v11, s6
	v_cmp_eq_u32_e64 s7, 6, v70
	v_cndmask_b32_e64 v6, v6, v15, s6
	v_cmp_eq_u32_e64 s6, 6, v72
	v_cmp_eq_u32_e64 s4, 6, v69
	v_cndmask_b32_e64 v1, v1, v4, s5
	v_cndmask_b32_e32 v2, v2, v15, vcc_lo
	v_cmp_eq_u32_e32 vcc_lo, 7, v71
	v_cndmask_b32_e64 v5, v5, v4, s7
	v_cndmask_b32_e64 v9, v9, v4, s6
	;; [unrolled: 1-line block ×3, first 2 shown]
	v_cmp_eq_u32_e64 s7, 7, v70
	v_cndmask_b32_e32 v1, v1, v12, vcc_lo
	v_cndmask_b32_e64 v7, v13, v4, s4
	v_cndmask_b32_e64 v3, v3, v8, s4
	;; [unrolled: 1-line block ×3, first 2 shown]
	v_cmp_eq_u32_e64 s4, 7, v69
	v_cndmask_b32_e64 v4, v10, v8, s6
	v_cndmask_b32_e64 v5, v5, v12, s7
	;; [unrolled: 1-line block ×3, first 2 shown]
	v_cndmask_b32_e32 v2, v2, v16, vcc_lo
	v_cndmask_b32_e64 v7, v7, v12, s4
	v_cndmask_b32_e64 v3, v3, v16, s4
	;; [unrolled: 1-line block ×4, first 2 shown]
	v_cmp_gt_u32_e32 vcc_lo, 32, v0
	v_perm_b32 v4, v2, v1, 0x5040100
	v_perm_b32 v3, v3, v7, 0x5040100
	;; [unrolled: 1-line block ×4, first 2 shown]
	s_and_b32 s2, vcc_lo, s2
	ds_store_b128 v74, v[1:4]
	s_waitcnt lgkmcnt(0)
	s_barrier
	buffer_gl0_inv
	s_and_saveexec_b32 s4, s2
	s_cbranch_execz .LBB816_2
; %bb.15:
	s_load_b64 s[4:5], s[0:1], 0x68
	v_lshlrev_b32_e32 v0, 10, v0
	v_add_nc_u32_e32 v2, s33, v66
	v_lshlrev_b32_e32 v3, 4, v67
	s_lshl_b32 s0, s36, 6
	s_delay_alu instid0(SALU_CYCLE_1) | instskip(NEXT) | instid1(VALU_DEP_2)
	s_mul_i32 s1, s0, s34
	v_mul_lo_u32 v1, v2, s0
	s_delay_alu instid0(VALU_DEP_2)
	v_and_or_b32 v0, 0x3800, v0, v3
	v_add_nc_u32_e32 v3, 2, v2
	s_mul_i32 s6, s1, s9
	v_add_nc_u32_e32 v4, 4, v2
	s_ashr_i32 s7, s6, 31
	v_lshl_or_b32 v11, v66, 6, v0
	s_lshl_b64 s[6:7], s[6:7], 1
	v_mul_lo_u32 v15, v3, s0
	v_mul_lo_u32 v17, v4, s0
	v_ashrrev_i32_e32 v2, 31, v1
	ds_load_b128 v[3:6], v11
	ds_load_b128 v[7:10], v11 offset:128
	ds_load_b128 v[11:14], v11 offset:256
	s_waitcnt lgkmcnt(0)
	s_add_u32 s1, s4, s6
	s_addc_u32 s2, s5, s7
	s_lshl_b32 s4, s14, 6
	v_ashrrev_i32_e32 v16, 31, v15
	s_ashr_i32 s5, s4, 31
	v_lshlrev_b64 v[19:20], 1, v[1:2]
	s_lshl_b64 s[4:5], s[4:5], 1
	v_ashrrev_i32_e32 v18, 31, v17
	s_add_u32 s1, s1, s4
	s_addc_u32 s2, s2, s5
	v_add_co_u32 v1, s1, s1, v65
	s_delay_alu instid0(VALU_DEP_1) | instskip(SKIP_1) | instid1(VALU_DEP_3)
	v_add_co_ci_u32_e64 v2, null, s2, 0, s1
	v_lshlrev_b64 v[15:16], 1, v[15:16]
	v_add_co_u32 v19, vcc_lo, v1, v19
	v_lshlrev_b64 v[17:18], 1, v[17:18]
	s_delay_alu instid0(VALU_DEP_4) | instskip(NEXT) | instid1(VALU_DEP_4)
	v_add_co_ci_u32_e32 v20, vcc_lo, v2, v20, vcc_lo
	v_add_co_u32 v15, vcc_lo, v1, v15
	v_add_co_ci_u32_e32 v16, vcc_lo, v2, v16, vcc_lo
	s_delay_alu instid0(VALU_DEP_4)
	v_add_co_u32 v17, vcc_lo, v1, v17
	v_add_co_ci_u32_e32 v18, vcc_lo, v2, v18, vcc_lo
	s_clause 0x2
	global_store_b128 v[19:20], v[3:6], off
	global_store_b128 v[15:16], v[7:10], off
	;; [unrolled: 1-line block ×3, first 2 shown]
	s_and_b32 exec_lo, exec_lo, s3
	s_cbranch_execz .LBB816_2
; %bb.16:
	ds_load_b128 v[3:6], v0 offset:384
	s_add_i32 s1, s33, 6
	s_delay_alu instid0(SALU_CYCLE_1) | instskip(NEXT) | instid1(SALU_CYCLE_1)
	s_mul_i32 s0, s1, s0
	s_ashr_i32 s1, s0, 31
	s_delay_alu instid0(SALU_CYCLE_1) | instskip(NEXT) | instid1(SALU_CYCLE_1)
	s_lshl_b64 s[0:1], s[0:1], 1
	v_add_co_u32 v0, vcc_lo, v1, s0
	v_add_co_ci_u32_e32 v1, vcc_lo, s1, v2, vcc_lo
	s_waitcnt lgkmcnt(0)
	global_store_b128 v[0:1], v[3:6], off
	s_nop 0
	s_sendmsg sendmsg(MSG_DEALLOC_VGPRS)
	s_endpgm
	.section	.rodata,"a",@progbits
	.p2align	6, 0x0
	.amdhsa_kernel _Z39paged_attention_ll4mi_QKV_mfma16_kernelIDF16_hLN4vllm18Fp8KVCacheDataTypeE1EDF16_Li16ELi64ELi256ELb1ELi7EL8MFMAType1EEvPKT_PKT0_S8_ifPKiSA_SA_iPKfiiiPfSD_PS3_PT2_iSC_SC_
		.amdhsa_group_segment_fixed_size 17472
		.amdhsa_private_segment_fixed_size 0
		.amdhsa_kernarg_size 400
		.amdhsa_user_sgpr_count 13
		.amdhsa_user_sgpr_dispatch_ptr 0
		.amdhsa_user_sgpr_queue_ptr 0
		.amdhsa_user_sgpr_kernarg_segment_ptr 1
		.amdhsa_user_sgpr_dispatch_id 0
		.amdhsa_user_sgpr_private_segment_size 0
		.amdhsa_wavefront_size32 1
		.amdhsa_uses_dynamic_stack 0
		.amdhsa_enable_private_segment 0
		.amdhsa_system_sgpr_workgroup_id_x 1
		.amdhsa_system_sgpr_workgroup_id_y 1
		.amdhsa_system_sgpr_workgroup_id_z 1
		.amdhsa_system_sgpr_workgroup_info 0
		.amdhsa_system_vgpr_workitem_id 0
		.amdhsa_next_free_vgpr 146
		.amdhsa_next_free_sgpr 37
		.amdhsa_reserve_vcc 1
		.amdhsa_float_round_mode_32 0
		.amdhsa_float_round_mode_16_64 0
		.amdhsa_float_denorm_mode_32 3
		.amdhsa_float_denorm_mode_16_64 3
		.amdhsa_dx10_clamp 1
		.amdhsa_ieee_mode 1
		.amdhsa_fp16_overflow 0
		.amdhsa_workgroup_processor_mode 1
		.amdhsa_memory_ordered 1
		.amdhsa_forward_progress 0
		.amdhsa_shared_vgpr_count 0
		.amdhsa_exception_fp_ieee_invalid_op 0
		.amdhsa_exception_fp_denorm_src 0
		.amdhsa_exception_fp_ieee_div_zero 0
		.amdhsa_exception_fp_ieee_overflow 0
		.amdhsa_exception_fp_ieee_underflow 0
		.amdhsa_exception_fp_ieee_inexact 0
		.amdhsa_exception_int_div_zero 0
	.end_amdhsa_kernel
	.section	.text._Z39paged_attention_ll4mi_QKV_mfma16_kernelIDF16_hLN4vllm18Fp8KVCacheDataTypeE1EDF16_Li16ELi64ELi256ELb1ELi7EL8MFMAType1EEvPKT_PKT0_S8_ifPKiSA_SA_iPKfiiiPfSD_PS3_PT2_iSC_SC_,"axG",@progbits,_Z39paged_attention_ll4mi_QKV_mfma16_kernelIDF16_hLN4vllm18Fp8KVCacheDataTypeE1EDF16_Li16ELi64ELi256ELb1ELi7EL8MFMAType1EEvPKT_PKT0_S8_ifPKiSA_SA_iPKfiiiPfSD_PS3_PT2_iSC_SC_,comdat
.Lfunc_end816:
	.size	_Z39paged_attention_ll4mi_QKV_mfma16_kernelIDF16_hLN4vllm18Fp8KVCacheDataTypeE1EDF16_Li16ELi64ELi256ELb1ELi7EL8MFMAType1EEvPKT_PKT0_S8_ifPKiSA_SA_iPKfiiiPfSD_PS3_PT2_iSC_SC_, .Lfunc_end816-_Z39paged_attention_ll4mi_QKV_mfma16_kernelIDF16_hLN4vllm18Fp8KVCacheDataTypeE1EDF16_Li16ELi64ELi256ELb1ELi7EL8MFMAType1EEvPKT_PKT0_S8_ifPKiSA_SA_iPKfiiiPfSD_PS3_PT2_iSC_SC_
                                        ; -- End function
	.section	.AMDGPU.csdata,"",@progbits
; Kernel info:
; codeLenInByte = 6532
; NumSgprs: 39
; NumVgprs: 146
; ScratchSize: 0
; MemoryBound: 0
; FloatMode: 240
; IeeeMode: 1
; LDSByteSize: 17472 bytes/workgroup (compile time only)
; SGPRBlocks: 4
; VGPRBlocks: 18
; NumSGPRsForWavesPerEU: 39
; NumVGPRsForWavesPerEU: 146
; Occupancy: 9
; WaveLimiterHint : 1
; COMPUTE_PGM_RSRC2:SCRATCH_EN: 0
; COMPUTE_PGM_RSRC2:USER_SGPR: 13
; COMPUTE_PGM_RSRC2:TRAP_HANDLER: 0
; COMPUTE_PGM_RSRC2:TGID_X_EN: 1
; COMPUTE_PGM_RSRC2:TGID_Y_EN: 1
; COMPUTE_PGM_RSRC2:TGID_Z_EN: 1
; COMPUTE_PGM_RSRC2:TIDIG_COMP_CNT: 0
	.section	.text._Z39paged_attention_ll4mi_QKV_mfma16_kernelIDF16_hLN4vllm18Fp8KVCacheDataTypeE1EDF16_Li16ELi64ELi256ELb1ELi8EL8MFMAType1EEvPKT_PKT0_S8_ifPKiSA_SA_iPKfiiiPfSD_PS3_PT2_iSC_SC_,"axG",@progbits,_Z39paged_attention_ll4mi_QKV_mfma16_kernelIDF16_hLN4vllm18Fp8KVCacheDataTypeE1EDF16_Li16ELi64ELi256ELb1ELi8EL8MFMAType1EEvPKT_PKT0_S8_ifPKiSA_SA_iPKfiiiPfSD_PS3_PT2_iSC_SC_,comdat
	.protected	_Z39paged_attention_ll4mi_QKV_mfma16_kernelIDF16_hLN4vllm18Fp8KVCacheDataTypeE1EDF16_Li16ELi64ELi256ELb1ELi8EL8MFMAType1EEvPKT_PKT0_S8_ifPKiSA_SA_iPKfiiiPfSD_PS3_PT2_iSC_SC_ ; -- Begin function _Z39paged_attention_ll4mi_QKV_mfma16_kernelIDF16_hLN4vllm18Fp8KVCacheDataTypeE1EDF16_Li16ELi64ELi256ELb1ELi8EL8MFMAType1EEvPKT_PKT0_S8_ifPKiSA_SA_iPKfiiiPfSD_PS3_PT2_iSC_SC_
	.globl	_Z39paged_attention_ll4mi_QKV_mfma16_kernelIDF16_hLN4vllm18Fp8KVCacheDataTypeE1EDF16_Li16ELi64ELi256ELb1ELi8EL8MFMAType1EEvPKT_PKT0_S8_ifPKiSA_SA_iPKfiiiPfSD_PS3_PT2_iSC_SC_
	.p2align	8
	.type	_Z39paged_attention_ll4mi_QKV_mfma16_kernelIDF16_hLN4vllm18Fp8KVCacheDataTypeE1EDF16_Li16ELi64ELi256ELb1ELi8EL8MFMAType1EEvPKT_PKT0_S8_ifPKiSA_SA_iPKfiiiPfSD_PS3_PT2_iSC_SC_,@function
_Z39paged_attention_ll4mi_QKV_mfma16_kernelIDF16_hLN4vllm18Fp8KVCacheDataTypeE1EDF16_Li16ELi64ELi256ELb1ELi8EL8MFMAType1EEvPKT_PKT0_S8_ifPKiSA_SA_iPKfiiiPfSD_PS3_PT2_iSC_SC_: ; @_Z39paged_attention_ll4mi_QKV_mfma16_kernelIDF16_hLN4vllm18Fp8KVCacheDataTypeE1EDF16_Li16ELi64ELi256ELb1ELi8EL8MFMAType1EEvPKT_PKT0_S8_ifPKiSA_SA_iPKfiiiPfSD_PS3_PT2_iSC_SC_
; %bb.0:
	s_load_b64 s[2:3], s[0:1], 0x30
	s_mov_b32 s34, s13
	s_waitcnt lgkmcnt(0)
	s_cmp_lg_u64 s[2:3], 0
	s_cselect_b32 s8, -1, 0
	s_ashr_i32 s35, s13, 31
	s_cmp_eq_u64 s[2:3], 0
	s_cbranch_scc1 .LBB817_3
; %bb.1:
	s_lshl_b64 s[4:5], s[34:35], 2
	s_delay_alu instid0(SALU_CYCLE_1) | instskip(SKIP_4) | instid1(SALU_CYCLE_1)
	s_add_u32 s4, s2, s4
	s_addc_u32 s5, s3, s5
	s_load_b64 s[4:5], s[4:5], 0x0
	s_waitcnt lgkmcnt(0)
	s_sub_i32 s4, s5, s4
	s_cmp_eq_u32 s4, 1
	s_cselect_b32 s4, -1, 0
	s_delay_alu instid0(SALU_CYCLE_1)
	s_and_not1_b32 vcc_lo, exec_lo, s4
	s_cbranch_vccz .LBB817_4
.LBB817_2:
	s_endpgm
.LBB817_3:
.LBB817_4:
	s_load_b64 s[4:5], s[0:1], 0x28
	s_lshl_b64 s[6:7], s[34:35], 2
	s_waitcnt lgkmcnt(0)
	s_add_u32 s4, s4, s6
	s_addc_u32 s5, s5, s7
	s_lshl_b32 s12, s14, 8
	s_load_b32 s24, s[4:5], 0x0
	s_waitcnt lgkmcnt(0)
	s_cmp_ge_i32 s12, s24
	s_cbranch_scc1 .LBB817_2
; %bb.5:
	s_clause 0x1
	s_load_b128 s[20:23], s[0:1], 0x8
	s_load_b64 s[4:5], s[0:1], 0x20
	s_and_not1_b32 vcc_lo, exec_lo, s8
	s_cbranch_vccnz .LBB817_7
; %bb.6:
	s_add_u32 s2, s2, s6
	s_addc_u32 s3, s3, s7
	s_load_b32 s3, s[2:3], 0x0
	s_branch .LBB817_8
.LBB817_7:
	s_mov_b32 s3, s34
.LBB817_8:
	s_load_b128 s[16:19], s[0:1], 0x48
	v_and_b32_e32 v69, 15, v0
	v_cmp_gt_u32_e32 vcc_lo, 0x80, v0
	v_lshrrev_b32_e32 v68, 5, v0
	v_and_b32_e32 v70, 31, v0
	v_and_b32_e32 v66, 1, v0
	v_lshlrev_b32_e32 v1, 3, v69
	v_cmp_gt_u32_e64 s2, 8, v69
	v_bfe_u32 v67, v0, 4, 1
	s_lshl_b32 s31, s15, 3
	s_delay_alu instid0(VALU_DEP_3) | instskip(NEXT) | instid1(VALU_DEP_3)
	v_lshlrev_b32_e32 v65, 1, v1
	s_and_b32 s7, vcc_lo, s2
	s_delay_alu instid0(SALU_CYCLE_1)
	s_and_saveexec_b32 s6, s7
	s_cbranch_execz .LBB817_10
; %bb.9:
	v_lshl_or_b32 v5, v68, 1, v67
	s_load_b64 s[8:9], s[0:1], 0x0
	s_waitcnt lgkmcnt(0)
	s_mul_hi_i32 s11, s3, s16
	s_mul_i32 s10, s3, s16
	v_lshlrev_b32_e32 v6, 10, v69
	v_or_b32_e32 v1, s31, v5
	s_lshl_b64 s[10:11], s[10:11], 1
	v_lshlrev_b32_e32 v5, 6, v5
	v_lshlrev_b32_e32 v7, 10, v66
	v_and_b32_e32 v6, 0x3800, v6
	v_lshlrev_b32_e32 v1, 6, v1
	s_delay_alu instid0(VALU_DEP_2) | instskip(NEXT) | instid1(VALU_DEP_2)
	v_or3_b32 v5, v6, v7, v5
	v_ashrrev_i32_e32 v2, 31, v1
	s_delay_alu instid0(VALU_DEP_1) | instskip(SKIP_2) | instid1(VALU_DEP_1)
	v_lshlrev_b64 v[1:2], 1, v[1:2]
	s_add_u32 s3, s8, s10
	s_addc_u32 s7, s9, s11
	v_add_co_u32 v1, vcc_lo, s3, v1
	s_delay_alu instid0(VALU_DEP_2) | instskip(NEXT) | instid1(VALU_DEP_2)
	v_add_co_ci_u32_e32 v2, vcc_lo, s7, v2, vcc_lo
	v_add_co_u32 v1, vcc_lo, v1, v65
	s_delay_alu instid0(VALU_DEP_2)
	v_add_co_ci_u32_e32 v2, vcc_lo, 0, v2, vcc_lo
	global_load_b128 v[1:4], v[1:2], off
	s_waitcnt vmcnt(0)
	ds_store_b128 v5, v[1:4]
.LBB817_10:
	s_or_b32 exec_lo, exec_lo, s6
	v_and_b32_e32 v1, 0xef, v0
	s_waitcnt lgkmcnt(0)
	s_add_i32 s3, s24, 15
	s_clause 0x1
	s_load_b32 s6, s[0:1], 0x38
	s_load_b32 s33, s[0:1], 0x98
	s_ashr_i32 s7, s3, 31
	v_add_nc_u32_e32 v1, s12, v1
	s_lshr_b32 s7, s7, 28
	s_load_b32 s19, s[0:1], 0x1c
	s_add_i32 s3, s3, s7
	s_waitcnt lgkmcnt(0)
	v_ashrrev_i32_e32 v2, 31, v1
	v_or_b32_e32 v3, 16, v1
	s_ashr_i32 s3, s3, 4
	v_cmp_gt_i32_e32 vcc_lo, s24, v1
	s_add_i32 s3, s3, -1
	v_lshrrev_b32_e32 v2, 28, v2
	s_barrier
	buffer_gl0_inv
	s_mul_i32 s27, s15, s18
	v_add_nc_u32_e32 v4, v1, v2
	s_mul_i32 s6, s34, s6
	s_delay_alu instid0(SALU_CYCLE_1) | instskip(NEXT) | instid1(VALU_DEP_1)
	s_ashr_i32 s7, s6, 31
	v_ashrrev_i32_e32 v4, 4, v4
	v_add_nc_u32_e32 v2, v3, v2
	s_lshl_b64 s[6:7], s[6:7], 2
	s_delay_alu instid0(SALU_CYCLE_1) | instskip(NEXT) | instid1(VALU_DEP_2)
	s_add_u32 s26, s4, s6
	v_cndmask_b32_e32 v1, s3, v4, vcc_lo
	s_delay_alu instid0(VALU_DEP_2)
	v_ashrrev_i32_e32 v2, 4, v2
	v_cmp_gt_i32_e32 vcc_lo, s24, v3
	s_addc_u32 s25, s5, s7
	s_ashr_i32 s28, s27, 31
	s_add_u32 s13, s20, s27
	s_addc_u32 s15, s21, s28
	v_cndmask_b32_e32 v3, s3, v2, vcc_lo
	v_ashrrev_i32_e32 v2, 31, v1
	s_lshl_b32 s4, s14, 4
	s_delay_alu instid0(SALU_CYCLE_1) | instskip(NEXT) | instid1(VALU_DEP_2)
	s_ashr_i32 s5, s4, 31
	v_ashrrev_i32_e32 v4, 31, v3
	s_delay_alu instid0(VALU_DEP_2) | instskip(SKIP_1) | instid1(SALU_CYCLE_1)
	v_lshlrev_b64 v[1:2], 2, v[1:2]
	s_lshl_b64 s[4:5], s[4:5], 2
	s_add_u32 s4, s26, s4
	s_delay_alu instid0(VALU_DEP_2) | instskip(SKIP_1) | instid1(VALU_DEP_2)
	v_lshlrev_b64 v[3:4], 2, v[3:4]
	s_addc_u32 s5, s25, s5
	v_add_co_u32 v1, vcc_lo, s26, v1
	v_add_co_ci_u32_e32 v2, vcc_lo, s25, v2, vcc_lo
	s_delay_alu instid0(VALU_DEP_3) | instskip(NEXT) | instid1(VALU_DEP_4)
	v_add_co_u32 v3, vcc_lo, s26, v3
	v_add_co_ci_u32_e32 v4, vcc_lo, s25, v4, vcc_lo
	s_clause 0x1
	global_load_b32 v5, v[1:2], off
	global_load_b32 v7, v[3:4], off
	s_or_b32 s6, s12, 32
	v_lshlrev_b32_e32 v1, 4, v0
	s_ashr_i32 s7, s6, 4
	s_cmp_lt_i32 s6, s24
	s_cselect_b32 s6, s7, s3
	s_delay_alu instid0(VALU_DEP_1) | instskip(SKIP_1) | instid1(SALU_CYCLE_1)
	v_and_b32_e32 v1, 0xf0, v1
	s_ashr_i32 s7, s6, 31
	s_lshl_b64 s[6:7], s[6:7], 2
	s_delay_alu instid0(SALU_CYCLE_1)
	s_add_u32 s6, s26, s6
	s_addc_u32 s7, s25, s7
	s_or_b32 s8, s12, 64
	v_add_co_u32 v1, s13, s13, v1
	s_ashr_i32 s9, s8, 4
	s_cmp_lt_i32 s8, s24
	v_add_co_ci_u32_e64 v2, null, s15, 0, s13
	s_cselect_b32 s8, s9, s3
	s_delay_alu instid0(SALU_CYCLE_1) | instskip(NEXT) | instid1(SALU_CYCLE_1)
	s_ashr_i32 s9, s8, 31
	s_lshl_b64 s[8:9], s[8:9], 2
	s_delay_alu instid0(SALU_CYCLE_1) | instskip(SKIP_2) | instid1(SALU_CYCLE_1)
	s_add_u32 s8, s26, s8
	s_addc_u32 s9, s25, s9
	s_or_b32 s10, s12, 0x60
	s_ashr_i32 s11, s10, 4
	s_cmp_lt_i32 s10, s24
	s_cselect_b32 s10, s11, s3
	s_delay_alu instid0(SALU_CYCLE_1) | instskip(NEXT) | instid1(SALU_CYCLE_1)
	s_ashr_i32 s11, s10, 31
	s_lshl_b64 s[10:11], s[10:11], 2
	s_delay_alu instid0(SALU_CYCLE_1) | instskip(SKIP_2) | instid1(SALU_CYCLE_1)
	s_add_u32 s10, s26, s10
	s_addc_u32 s11, s25, s11
	s_or_b32 s16, s12, 0x80
	s_ashr_i32 s18, s16, 4
	s_cmp_lt_i32 s16, s24
	;; [unrolled: 10-line block ×3, first 2 shown]
	s_cselect_b32 s20, s18, s3
	s_delay_alu instid0(SALU_CYCLE_1) | instskip(NEXT) | instid1(SALU_CYCLE_1)
	s_ashr_i32 s21, s20, 31
	s_lshl_b64 s[20:21], s[20:21], 2
	s_delay_alu instid0(SALU_CYCLE_1)
	s_add_u32 s38, s26, s20
	s_addc_u32 s39, s25, s21
	s_clause 0x5
	s_load_b32 s21, s[4:5], 0x0
	s_load_b32 s13, s[6:7], 0x0
	;; [unrolled: 1-line block ×6, first 2 shown]
	s_or_b32 s7, s12, 0xc0
	s_mov_b32 s4, 0
	s_ashr_i32 s8, s7, 4
	s_cmp_lt_i32 s7, s24
	s_mov_b32 s5, s4
	s_cselect_b32 s10, s8, s3
	s_mov_b32 s6, s4
	s_ashr_i32 s11, s10, 31
	s_mov_b32 s7, s4
	s_lshl_b64 s[36:37], s[10:11], 2
	s_mov_b32 s11, s4
	s_add_u32 s36, s26, s36
	s_addc_u32 s37, s25, s37
	s_or_b32 s29, s12, 0xe0
	s_mov_b32 s8, s4
	s_ashr_i32 s30, s29, 4
	s_mov_b32 s9, s4
	s_mov_b32 s10, s4
	s_cmp_lt_i32 s29, s24
	v_mov_b32_e32 v102, s11
	v_dual_mov_b32 v96, s5 :: v_dual_mov_b32 v101, s10
	v_dual_mov_b32 v100, s9 :: v_dual_mov_b32 v99, s8
	;; [unrolled: 1-line block ×3, first 2 shown]
	v_mov_b32_e32 v95, s4
	s_cselect_b32 s4, s30, s3
	s_delay_alu instid0(SALU_CYCLE_1) | instskip(NEXT) | instid1(SALU_CYCLE_1)
	s_ashr_i32 s5, s4, 31
	s_lshl_b64 s[4:5], s[4:5], 2
	s_delay_alu instid0(SALU_CYCLE_1)
	s_add_u32 s4, s26, s4
	s_addc_u32 s5, s25, s5
	s_add_u32 s6, s22, s27
	s_addc_u32 s7, s23, s28
	s_waitcnt vmcnt(1)
	v_mad_i64_i32 v[3:4], null, v5, s17, v[1:2]
	s_waitcnt vmcnt(0)
	v_mad_i64_i32 v[5:6], null, v7, s17, v[1:2]
	v_and_b32_e32 v1, 7, v0
	v_lshlrev_b32_e32 v2, 4, v69
	s_clause 0x7
	global_load_b128 v[57:60], v[3:4], off
	global_load_b128 v[61:64], v[3:4], off offset:256
	global_load_b128 v[71:74], v[5:6], off
	global_load_b128 v[75:78], v[5:6], off offset:256
	global_load_b128 v[79:82], v[3:4], off offset:512
	;; [unrolled: 1-line block ×5, first 2 shown]
	v_lshlrev_b32_e32 v121, 6, v1
	v_lshl_or_b32 v1, v68, 8, v2
	s_load_b32 s3, s[36:37], 0x0
	ds_load_b128 v[103:106], v121
	ds_load_b128 v[107:110], v121 offset:1024
	s_load_b32 s4, s[4:5], 0x0
	v_add_co_u32 v17, s6, s6, v1
	s_delay_alu instid0(VALU_DEP_1) | instskip(SKIP_1) | instid1(VALU_DEP_1)
	v_add_co_ci_u32_e64 v18, null, s7, 0, s6
	s_waitcnt lgkmcnt(0)
	v_mad_i64_i32 v[1:2], null, s21, s17, v[17:18]
	v_mad_i64_i32 v[3:4], null, s13, s17, v[17:18]
	;; [unrolled: 1-line block ×7, first 2 shown]
	s_clause 0x9
	global_load_b128 v[49:52], v[1:2], off
	global_load_b128 v[53:56], v[1:2], off offset:16
	global_load_b128 v[41:44], v[3:4], off
	global_load_b128 v[45:48], v[3:4], off offset:16
	;; [unrolled: 2-line block ×5, first 2 shown]
	v_mad_i64_i32 v[119:120], null, s4, s17, v[17:18]
	s_clause 0x3
	global_load_b128 v[17:20], v[21:22], off
	global_load_b128 v[21:24], v[21:22], off offset:16
	global_load_b128 v[25:28], v[29:30], off
	global_load_b128 v[29:32], v[29:30], off offset:16
	s_waitcnt vmcnt(20)
	v_wmma_f32_16x16x16_f16 v[111:118], v[57:64], v[103:110], v[95:102]
	s_clause 0x1
	global_load_b128 v[57:60], v[119:120], off
	global_load_b128 v[61:64], v[119:120], off offset:16
	s_waitcnt vmcnt(20)
	v_wmma_f32_16x16x16_f16 v[95:102], v[71:78], v[103:110], v[95:102]
	ds_load_b128 v[71:74], v121 offset:2048
	ds_load_b128 v[75:78], v121 offset:3072
	v_mbcnt_lo_u32_b32 v104, -1, 0
	s_waitcnt vmcnt(0) lgkmcnt(0)
	s_barrier
	buffer_gl0_inv
	v_xor_b32_e32 v105, 16, v104
	s_delay_alu instid0(VALU_DEP_1) | instskip(SKIP_4) | instid1(VALU_DEP_2)
	v_cmp_gt_i32_e32 vcc_lo, 32, v105
	v_cndmask_b32_e32 v104, v104, v105, vcc_lo
	v_wmma_f32_16x16x16_f16 v[95:102], v[87:94], v[71:78], v[95:102]
	v_and_b32_e32 v103, 0xe0, v0
	v_wmma_f32_16x16x16_f16 v[111:118], v[79:86], v[71:78], v[111:118]
	v_dual_mul_f32 v90, s19, v101 :: v_dual_add_nc_u32 v103, s12, v103
	s_delay_alu instid0(VALU_DEP_2) | instskip(NEXT) | instid1(VALU_DEP_3)
	v_dual_mul_f32 v94, s19, v97 :: v_dual_mul_f32 v87, s19, v112
	v_dual_mul_f32 v88, s19, v111 :: v_dual_mul_f32 v77, s19, v114
	s_delay_alu instid0(VALU_DEP_3) | instskip(SKIP_3) | instid1(VALU_DEP_4)
	v_or_b32_e32 v103, v103, v67
	v_dual_mul_f32 v78, s19, v113 :: v_dual_mul_f32 v75, s19, v116
	v_dual_mul_f32 v76, s19, v115 :: v_dual_mul_f32 v73, s19, v118
	v_mul_f32_e32 v92, s19, v99
	v_or_b32_e32 v105, 2, v103
	v_or_b32_e32 v106, 4, v103
	;; [unrolled: 1-line block ×3, first 2 shown]
	v_cmp_gt_i32_e64 s3, s24, v103
	v_or_b32_e32 v108, 8, v103
	v_cmp_gt_i32_e32 vcc_lo, s24, v105
	v_or_b32_e32 v109, 10, v103
	v_cmp_gt_i32_e64 s4, s24, v106
	v_cndmask_b32_e64 v88, 0xff7fffff, v88, s3
	v_cmp_gt_i32_e64 s5, s24, v107
	v_cndmask_b32_e32 v87, 0xff7fffff, v87, vcc_lo
	v_or_b32_e32 v79, 12, v103
	v_or_b32_e32 v80, 14, v103
	v_cndmask_b32_e64 v78, 0xff7fffff, v78, s4
	v_cndmask_b32_e64 v77, 0xff7fffff, v77, s5
	v_max3_f32 v87, v88, 0xff7fffff, v87
	v_cmp_gt_i32_e64 s6, s24, v108
	v_cmp_gt_i32_e64 s7, s24, v109
	v_or_b32_e32 v81, 16, v103
	v_or_b32_e32 v82, 18, v103
	v_mul_f32_e32 v74, s19, v117
	v_cndmask_b32_e64 v76, 0xff7fffff, v76, s6
	v_cndmask_b32_e64 v75, 0xff7fffff, v75, s7
	v_max3_f32 v77, v87, v78, v77
	v_cmp_gt_i32_e64 s8, s24, v79
	v_cmp_gt_i32_e64 s9, s24, v80
	v_or_b32_e32 v83, 20, v103
	v_or_b32_e32 v84, 22, v103
	;; [unrolled: 1-line block ×6, first 2 shown]
	v_mul_f32_e32 v105, s19, v96
	v_mul_f32_e32 v103, s19, v95
	v_cndmask_b32_e64 v74, 0xff7fffff, v74, s8
	v_cndmask_b32_e64 v73, 0xff7fffff, v73, s9
	v_max3_f32 v75, v77, v76, v75
	v_cmp_gt_i32_e64 s10, s24, v81
	v_cmp_gt_i32_e64 s11, s24, v82
	v_mul_f32_e32 v93, s19, v98
	v_cmp_gt_i32_e64 s12, s24, v83
	v_max3_f32 v73, v75, v74, v73
	v_cndmask_b32_e64 v76, 0xff7fffff, v103, s10
	v_cndmask_b32_e64 v77, 0xff7fffff, v105, s11
	v_cmp_gt_i32_e64 s13, s24, v84
	v_mul_f32_e32 v91, s19, v100
	v_cndmask_b32_e64 v74, 0xff7fffff, v94, s12
	v_cmp_gt_i32_e64 s15, s24, v85
	v_max3_f32 v73, v73, v76, v77
	v_cndmask_b32_e64 v75, 0xff7fffff, v93, s13
	v_cmp_gt_i32_e64 s16, s24, v86
	v_mul_f32_e32 v89, s19, v102
	v_cndmask_b32_e64 v76, 0xff7fffff, v92, s15
	v_cmp_gt_i32_e64 s17, s24, v71
	v_max3_f32 v73, v73, v74, v75
	v_cndmask_b32_e64 v77, 0xff7fffff, v91, s16
	v_cmp_gt_i32_e64 s18, s24, v72
	v_lshlrev_b32_e32 v74, 2, v104
	v_cndmask_b32_e64 v71, 0xff7fffff, v90, s17
	s_delay_alu instid0(VALU_DEP_4) | instskip(NEXT) | instid1(VALU_DEP_4)
	v_max3_f32 v73, v73, v76, v77
	v_cndmask_b32_e64 v72, 0xff7fffff, v89, s18
	s_delay_alu instid0(VALU_DEP_1) | instskip(SKIP_3) | instid1(VALU_DEP_1)
	v_max3_f32 v71, v73, v71, v72
	ds_bpermute_b32 v72, v74, v71
	s_waitcnt lgkmcnt(0)
	v_max_f32_e32 v72, v72, v72
	v_max_f32_e32 v71, v71, v72
	s_delay_alu instid0(VALU_DEP_1)
	v_fma_f32 v72, s19, v111, -v71
	v_fma_f32 v76, s19, v114, -v71
	;; [unrolled: 1-line block ×5, first 2 shown]
	v_mul_f32_e32 v72, 0x3fb8aa3b, v72
	v_mul_f32_e32 v76, 0x3fb8aa3b, v76
	v_fma_f32 v75, s19, v113, -v71
	v_mul_f32_e32 v79, 0x3fb8aa3b, v77
	v_mul_f32_e32 v87, 0x3fb8aa3b, v86
	v_exp_f32_e32 v72, v72
	v_exp_f32_e32 v76, v76
	v_fma_f32 v81, s19, v117, -v71
	v_exp_f32_e32 v82, v79
	v_exp_f32_e32 v87, v87
	v_fma_f32 v84, s19, v96, -v71
	s_delay_alu instid0(VALU_DEP_2) | instskip(SKIP_3) | instid1(TRANS32_DEP_3)
	v_mul_f32_e32 v81, 0x3fb8aa3b, v81
	v_cndmask_b32_e64 v78, 0, v72, s3
	v_fma_f32 v72, s19, v116, -v71
	v_mul_f32_e32 v73, 0x3fb8aa3b, v73
	v_cndmask_b32_e64 v79, 0, v76, s5
	v_fma_f32 v76, s19, v95, -v71
	s_delay_alu instid0(VALU_DEP_4) | instskip(NEXT) | instid1(VALU_DEP_4)
	v_dual_mul_f32 v75, 0x3fb8aa3b, v75 :: v_dual_mul_f32 v72, 0x3fb8aa3b, v72
	v_exp_f32_e32 v73, v73
	v_cndmask_b32_e64 v87, 0, v87, s13
	s_delay_alu instid0(VALU_DEP_3) | instskip(NEXT) | instid1(VALU_DEP_3)
	v_mul_f32_e32 v76, 0x3fb8aa3b, v76
	v_exp_f32_e32 v75, v75
	v_exp_f32_e32 v72, v72
	;; [unrolled: 1-line block ×3, first 2 shown]
	v_cndmask_b32_e64 v82, 0, v82, s6
	v_mul_f32_e32 v85, 0x3fb8aa3b, v84
	v_exp_f32_e32 v76, v76
	s_mov_b32 s3, exec_lo
	v_cndmask_b32_e32 v77, 0, v73, vcc_lo
	v_add_f32_e32 v73, 0, v78
	v_exp_f32_e32 v85, v85
	v_cndmask_b32_e64 v80, 0, v75, s4
	v_fma_f32 v75, s19, v118, -v71
	v_cndmask_b32_e64 v81, 0, v72, s7
	v_add_f32_e32 v73, v73, v77
	v_cndmask_b32_e64 v84, 0, v83, s8
	v_cndmask_b32_e64 v86, 0, v76, s10
	v_mul_f32_e32 v75, 0x3fb8aa3b, v75
	s_delay_alu instid0(VALU_DEP_4) | instskip(NEXT) | instid1(TRANS32_DEP_1)
	v_add_f32_e32 v73, v73, v80
	v_cndmask_b32_e64 v85, 0, v85, s11
	s_delay_alu instid0(VALU_DEP_3) | instskip(NEXT) | instid1(VALU_DEP_2)
	v_exp_f32_e32 v75, v75
	v_add_f32_e32 v73, v73, v79
	s_delay_alu instid0(VALU_DEP_1) | instskip(SKIP_3) | instid1(VALU_DEP_1)
	v_add_f32_e32 v72, v73, v82
	s_waitcnt_depctr 0xfff
	v_cndmask_b32_e64 v83, 0, v75, s9
	v_add_f32_e32 v72, v72, v81
	v_add_f32_e32 v72, v72, v84
	s_delay_alu instid0(VALU_DEP_1) | instskip(NEXT) | instid1(VALU_DEP_1)
	v_add_f32_e32 v72, v72, v83
	v_add_f32_e32 v72, v72, v86
	s_delay_alu instid0(VALU_DEP_1) | instskip(SKIP_4) | instid1(VALU_DEP_4)
	v_add_f32_e32 v72, v72, v85
	v_fma_f32 v73, s19, v97, -v71
	v_fma_f32 v75, s19, v99, -v71
	;; [unrolled: 1-line block ×4, first 2 shown]
	v_mul_f32_e32 v73, 0x3fb8aa3b, v73
	s_delay_alu instid0(VALU_DEP_3) | instskip(NEXT) | instid1(VALU_DEP_2)
	v_dual_mul_f32 v75, 0x3fb8aa3b, v75 :: v_dual_mul_f32 v76, 0x3fb8aa3b, v76
	v_exp_f32_e32 v73, v73
	s_delay_alu instid0(VALU_DEP_1) | instskip(NEXT) | instid1(VALU_DEP_1)
	v_exp_f32_e32 v75, v75
	v_exp_f32_e32 v76, v76
	s_delay_alu instid0(TRANS32_DEP_3)
	v_cndmask_b32_e64 v88, 0, v73, s12
	v_mul_f32_e32 v73, 0x3fb8aa3b, v89
	v_fma_f32 v89, s19, v102, -v71
	s_waitcnt_depctr 0xfff
	v_cndmask_b32_e64 v90, 0, v75, s15
	v_add_f32_e32 v72, v72, v88
	v_exp_f32_e32 v73, v73
	v_mul_f32_e32 v75, 0x3fb8aa3b, v89
	v_cndmask_b32_e64 v89, 0, v76, s16
	s_delay_alu instid0(VALU_DEP_3) | instskip(NEXT) | instid1(VALU_DEP_3)
	v_add_f32_e32 v72, v72, v87
	v_exp_f32_e32 v75, v75
	s_delay_alu instid0(VALU_DEP_1) | instskip(SKIP_4) | instid1(VALU_DEP_2)
	v_add_f32_e32 v72, v72, v90
	s_waitcnt_depctr 0xfff
	v_cndmask_b32_e64 v92, 0, v73, s17
	v_add_f32_e32 v72, v72, v89
	v_cndmask_b32_e64 v91, 0, v75, s18
	v_add_f32_e32 v72, v72, v92
	s_delay_alu instid0(VALU_DEP_1)
	v_add_f32_e32 v72, v72, v91
	ds_bpermute_b32 v73, v74, v72
	v_cmpx_gt_u32_e32 16, v70
	s_cbranch_execz .LBB817_12
; %bb.11:
	v_mul_u32_u24_e32 v70, 0x44, v68
	s_waitcnt lgkmcnt(0)
	v_add_f32_e32 v72, v72, v73
	s_delay_alu instid0(VALU_DEP_2) | instskip(NEXT) | instid1(VALU_DEP_1)
	v_lshl_add_u32 v70, v69, 2, v70
	v_add_nc_u32_e32 v70, 0x4000, v70
	ds_store_2addr_b32 v70, v71, v72 offset1:136
.LBB817_12:
	s_or_b32 exec_lo, exec_lo, s3
	v_lshlrev_b32_e32 v70, 2, v69
	s_load_b32 s35, s[0:1], 0x94
	s_waitcnt lgkmcnt(0)
	s_barrier
	buffer_gl0_inv
	v_add_nc_u32_e32 v74, 0x4000, v70
	v_cmp_eq_u32_e32 vcc_lo, 1, v68
	v_cmp_eq_u32_e64 s3, 2, v68
	v_cmp_eq_u32_e64 s4, 3, v68
	v_cmp_eq_u32_e64 s5, 4, v68
	ds_load_2addr_b32 v[70:71], v74 offset1:17
	ds_load_2addr_b32 v[72:73], v74 offset0:34 offset1:51
	ds_load_2addr_b32 v[93:94], v74 offset0:68 offset1:85
	;; [unrolled: 1-line block ×3, first 2 shown]
	v_cmp_eq_u32_e64 s6, 5, v68
	v_cmp_eq_u32_e64 s7, 7, v68
	s_waitcnt lgkmcnt(3)
	v_max3_f32 v75, v70, 0xff7fffff, v71
	s_waitcnt lgkmcnt(2)
	s_delay_alu instid0(VALU_DEP_1) | instskip(SKIP_1) | instid1(VALU_DEP_1)
	v_max3_f32 v75, v75, v72, v73
	s_waitcnt lgkmcnt(1)
	v_max3_f32 v75, v75, v93, v94
	s_waitcnt lgkmcnt(0)
	s_delay_alu instid0(VALU_DEP_1) | instskip(NEXT) | instid1(VALU_DEP_1)
	v_max3_f32 v75, v75, v95, v96
	v_sub_f32_e32 v93, v93, v75
	ds_load_2addr_b32 v[97:98], v74 offset0:136 offset1:153
	v_sub_f32_e32 v70, v70, v75
	v_dual_sub_f32 v100, v73, v75 :: v_dual_mul_f32 v103, 0x3fb8aa3b, v93
	s_delay_alu instid0(VALU_DEP_2) | instskip(SKIP_3) | instid1(VALU_DEP_1)
	v_dual_sub_f32 v76, v71, v75 :: v_dual_mul_f32 v99, 0x3fb8aa3b, v70
	ds_load_2addr_b32 v[70:71], v74 offset0:170 offset1:187
	v_mul_f32_e32 v76, 0x3fb8aa3b, v76
	v_exp_f32_e32 v99, v99
	v_exp_f32_e32 v102, v76
	v_mul_f32_e32 v100, 0x3fb8aa3b, v100
	s_waitcnt lgkmcnt(1)
	s_waitcnt_depctr 0xfff
	v_fma_f32 v76, v99, v97, 0
	v_sub_f32_e32 v97, v94, v75
	v_sub_f32_e32 v72, v72, v75
	v_exp_f32_e32 v100, v100
	ds_load_2addr_b32 v[93:94], v74 offset0:238 offset1:255
	v_dual_fmac_f32 v76, v102, v98 :: v_dual_mul_f32 v101, 0x3fb8aa3b, v72
	ds_load_2addr_b32 v[72:73], v74 offset0:204 offset1:221
	v_dual_sub_f32 v74, v95, v75 :: v_dual_mul_f32 v95, 0x3fb8aa3b, v97
	v_exp_f32_e32 v97, v103
	v_exp_f32_e32 v101, v101
	s_waitcnt lgkmcnt(0)
	s_delay_alu instid0(VALU_DEP_1)
	v_mul_f32_e32 v74, 0x3fb8aa3b, v74
	v_exp_f32_e32 v95, v95
	s_barrier
	buffer_gl0_inv
	v_fmac_f32_e32 v76, v101, v70
	v_sub_f32_e32 v70, v96, v75
	v_exp_f32_e32 v96, v74
	s_delay_alu instid0(VALU_DEP_2) | instskip(NEXT) | instid1(VALU_DEP_2)
	v_fmac_f32_e32 v76, v100, v71
	v_mul_f32_e32 v70, 0x3fb8aa3b, v70
	s_delay_alu instid0(VALU_DEP_2) | instskip(NEXT) | instid1(VALU_DEP_2)
	v_dual_cndmask_b32 v71, v99, v102 :: v_dual_fmac_f32 v76, v97, v72
	v_exp_f32_e32 v98, v70
	v_lshlrev_b32_e32 v72, 6, v69
	s_delay_alu instid0(VALU_DEP_2) | instskip(NEXT) | instid1(VALU_DEP_2)
	v_dual_fmac_f32 v76, v95, v73 :: v_dual_lshlrev_b32 v69, 2, v67
	v_lshl_or_b32 v74, v68, 11, v72
	s_delay_alu instid0(VALU_DEP_2)
	v_cmp_eq_u32_e64 s8, 7, v69
	s_delay_alu instid0(TRANS32_DEP_2) | instid1(VALU_DEP_3)
	v_fmac_f32_e32 v76, v96, v93
	s_waitcnt_depctr 0xfff
	v_fmac_f32_e32 v76, v98, v94
	s_delay_alu instid0(VALU_DEP_1) | instskip(NEXT) | instid1(VALU_DEP_1)
	v_add_f32_e32 v73, 0x358637bd, v76
	v_div_scale_f32 v93, null, v73, v73, 1.0
	v_div_scale_f32 v99, vcc_lo, 1.0, v73, 1.0
	s_delay_alu instid0(VALU_DEP_2) | instskip(SKIP_2) | instid1(VALU_DEP_1)
	v_rcp_f32_e32 v94, v93
	s_waitcnt_depctr 0xfff
	v_fma_f32 v70, -v93, v94, 1.0
	v_fmac_f32_e32 v94, v70, v94
	v_cndmask_b32_e64 v70, v71, v101, s3
	v_cmp_eq_u32_e64 s3, 6, v68
	v_or_b32_e32 v71, 1, v69
	v_or_b32_e32 v68, 2, v69
	v_mul_f32_e32 v101, v99, v94
	v_cndmask_b32_e64 v70, v70, v100, s4
	v_cmp_eq_u32_e64 s4, 1, v69
	v_cmp_eq_u32_e64 s9, 1, v71
	;; [unrolled: 1-line block ×3, first 2 shown]
	v_fma_f32 v100, -v93, v101, v99
	v_cndmask_b32_e64 v70, v70, v97, s5
	v_cmp_eq_u32_e64 s5, 2, v69
	v_cmp_eq_u32_e64 s12, 2, v71
	;; [unrolled: 1-line block ×3, first 2 shown]
	v_fmac_f32_e32 v101, v100, v94
	v_cndmask_b32_e64 v95, v70, v95, s6
	v_or_b32_e32 v70, 3, v69
	v_cmp_eq_u32_e64 s13, 3, v71
	v_cmp_eq_u32_e64 s17, 3, v68
	v_fma_f32 v93, -v93, v101, v99
	v_cndmask_b32_e64 v95, v95, v96, s3
	v_cmp_eq_u32_e64 s11, 1, v70
	v_cmp_eq_u32_e64 s16, 2, v70
	;; [unrolled: 1-line block ×3, first 2 shown]
	v_div_fmas_f32 v93, v93, v94, v101
	v_cndmask_b32_e64 v94, v95, v98, s7
	v_cmp_eq_u32_e32 vcc_lo, 3, v69
	v_cmp_eq_u32_e64 s3, 4, v69
	v_cmp_eq_u32_e64 s19, 4, v71
	v_div_fixup_f32 v93, v93, v73, 1.0
	v_lshl_or_b32 v73, v67, 4, v74
	v_cmp_eq_u32_e64 s22, 4, v70
	v_cmp_eq_u32_e64 s6, 5, v69
	;; [unrolled: 1-line block ×3, first 2 shown]
	v_mul_f32_e32 v101, v94, v93
	v_cmp_eq_u32_e64 s21, 4, v68
	v_cmp_eq_u32_e64 s24, 5, v70
	;; [unrolled: 1-line block ×4, first 2 shown]
	v_fma_mixlo_f16 v93, v101, v78, 0
	v_fma_mixlo_f16 v94, v101, v80, 0
	;; [unrolled: 1-line block ×8, first 2 shown]
	v_fma_mixhi_f16 v93, v101, v77, 0
	v_fma_mixhi_f16 v94, v101, v79, 0
	;; [unrolled: 1-line block ×8, first 2 shown]
	ds_store_b128 v73, v[93:96]
	ds_store_b128 v73, v[97:100] offset:1024
	s_waitcnt lgkmcnt(0)
	s_barrier
	buffer_gl0_inv
	ds_load_b128 v[77:80], v74
	ds_load_b128 v[81:84], v74 offset:16
	ds_load_b128 v[85:88], v74 offset:1024
	ds_load_b128 v[89:92], v74 offset:1040
	v_cmp_eq_u32_e64 s27, 6, v70
	v_cmp_eq_u32_e64 s7, 6, v69
	;; [unrolled: 1-line block ×6, first 2 shown]
	s_waitcnt lgkmcnt(3)
	v_lshrrev_b32_e32 v93, 16, v77
	s_waitcnt lgkmcnt(2)
	v_lshrrev_b32_e32 v97, 16, v81
	;; [unrolled: 2-line block ×4, first 2 shown]
	v_lshrrev_b32_e32 v94, 16, v78
	v_cndmask_b32_e64 v109, v77, v93, s4
	v_cndmask_b32_e64 v110, v81, v97, s4
	;; [unrolled: 1-line block ×8, first 2 shown]
	v_lshrrev_b32_e32 v98, 16, v82
	v_cndmask_b32_e64 v93, v85, v101, s4
	v_cndmask_b32_e64 v97, v89, v105, s4
	;; [unrolled: 1-line block ×15, first 2 shown]
	v_lshrrev_b32_e32 v102, 16, v86
	v_lshrrev_b32_e32 v106, 16, v90
	v_cndmask_b32_e64 v112, v114, v82, s15
	v_cndmask_b32_e64 v81, v93, v86, s5
	v_cndmask_b32_e64 v82, v97, v90, s5
	v_cndmask_b32_e64 v93, v115, v86, s12
	v_cndmask_b32_e64 v97, v117, v86, s15
	v_cndmask_b32_e64 v85, v85, v86, s16
	v_cndmask_b32_e64 v86, v89, v90, s16
	v_cndmask_b32_e32 v89, v101, v94, vcc_lo
	v_cndmask_b32_e32 v101, v105, v98, vcc_lo
	v_cndmask_b32_e64 v105, v109, v94, s13
	v_cndmask_b32_e64 v109, v110, v98, s13
	;; [unrolled: 1-line block ×4, first 2 shown]
	v_lshrrev_b32_e32 v95, 16, v79
	v_lshrrev_b32_e32 v99, 16, v83
	v_cndmask_b32_e64 v110, v111, v94, s17
	v_cndmask_b32_e64 v111, v112, v98, s17
	v_cndmask_b32_e32 v81, v81, v102, vcc_lo
	v_cndmask_b32_e32 v82, v82, v106, vcc_lo
	v_cndmask_b32_e64 v93, v93, v102, s13
	v_cndmask_b32_e64 v89, v89, v79, s3
	;; [unrolled: 1-line block ×7, first 2 shown]
	v_lshrrev_b32_e32 v103, 16, v87
	v_cndmask_b32_e64 v105, v110, v79, s21
	v_cndmask_b32_e64 v109, v111, v83, s21
	;; [unrolled: 1-line block ×11, first 2 shown]
	v_lshrrev_b32_e32 v96, 16, v80
	v_lshrrev_b32_e32 v100, 16, v84
	v_cndmask_b32_e64 v98, v105, v95, s23
	v_cndmask_b32_e64 v101, v109, v99, s23
	;; [unrolled: 1-line block ×7, first 2 shown]
	v_lshrrev_b32_e32 v104, 16, v88
	v_cndmask_b32_e64 v79, v79, v103, s6
	v_cndmask_b32_e64 v83, v83, v80, s7
	;; [unrolled: 1-line block ×16, first 2 shown]
	v_perm_b32 v80, v78, v77, 0x5040100
	v_perm_b32 v78, v94, v84, 0x5040100
	v_cndmask_b32_e64 v77, v118, v90, s15
	v_cndmask_b32_e64 v84, v116, v90, s12
	;; [unrolled: 1-line block ×3, first 2 shown]
	v_perm_b32 v79, v93, v89, 0x5040100
	v_cndmask_b32_e64 v89, v97, v102, s17
	v_cndmask_b32_e64 v85, v85, v102, s18
	;; [unrolled: 1-line block ×5, first 2 shown]
	v_lshrrev_b32_e32 v107, 16, v91
	v_cndmask_b32_e64 v89, v89, v87, s21
	v_cndmask_b32_e64 v85, v85, v87, s22
	;; [unrolled: 1-line block ×11, first 2 shown]
	v_lshrrev_b32_e32 v108, 16, v92
	v_cndmask_b32_e64 v81, v81, v92, s7
	v_cndmask_b32_e64 v87, v87, v88, s26
	;; [unrolled: 1-line block ×12, first 2 shown]
	v_perm_b32 v77, v83, v82, 0x5040100
	v_perm_b32 v84, v86, v85, 0x5040100
	;; [unrolled: 1-line block ×5, first 2 shown]
	s_lshl_b32 s8, s33, 3
	s_mov_b32 s3, exec_lo
	ds_store_b128 v73, v[77:80]
	ds_store_b128 v73, v[81:84] offset:1024
	v_cmpx_gt_u32_e32 8, v0
	s_cbranch_execz .LBB817_14
; %bb.13:
	v_or_b32_e32 v77, s31, v0
	s_load_b128 s[4:7], s[0:1], 0x58
	s_delay_alu instid0(VALU_DEP_1) | instskip(NEXT) | instid1(VALU_DEP_1)
	v_mad_u64_u32 v[78:79], null, s8, s34, v[77:78]
	v_mad_u64_u32 v[79:80], null, v78, s35, s[14:15]
	s_delay_alu instid0(VALU_DEP_1) | instskip(NEXT) | instid1(VALU_DEP_1)
	v_ashrrev_i32_e32 v80, 31, v79
	v_lshlrev_b64 v[77:78], 2, v[79:80]
	s_waitcnt lgkmcnt(0)
	s_delay_alu instid0(VALU_DEP_1) | instskip(NEXT) | instid1(VALU_DEP_2)
	v_add_co_u32 v79, vcc_lo, s6, v77
	v_add_co_ci_u32_e32 v80, vcc_lo, s7, v78, vcc_lo
	v_add_co_u32 v77, vcc_lo, s4, v77
	v_add_co_ci_u32_e32 v78, vcc_lo, s5, v78, vcc_lo
	global_store_b32 v[79:80], v75, off
	global_store_b32 v[77:78], v76, off
.LBB817_14:
	s_or_b32 exec_lo, exec_lo, s3
	s_waitcnt lgkmcnt(0)
	s_waitcnt_vscnt null, 0x0
	s_barrier
	buffer_gl0_inv
	ds_load_b128 v[83:86], v72
	ds_load_b128 v[87:90], v72 offset:16
	ds_load_b128 v[95:98], v72 offset:2064
	;; [unrolled: 1-line block ×5, first 2 shown]
	v_cmp_eq_u32_e32 vcc_lo, 1, v69
	v_mov_b32_e32 v75, 0
	ds_load_b128 v[111:114], v72 offset:6160
	ds_load_b128 v[107:110], v72 offset:6144
	;; [unrolled: 1-line block ×4, first 2 shown]
	v_cmp_eq_u32_e64 s4, 1, v68
	v_cmp_eq_u32_e64 s3, 1, v71
	;; [unrolled: 1-line block ×3, first 2 shown]
	v_mov_b32_e32 v76, v75
	v_mov_b32_e32 v77, v75
	;; [unrolled: 1-line block ×7, first 2 shown]
	v_cmp_eq_u32_e64 s6, 3, v71
	v_cmp_eq_u32_e64 s7, 7, v71
	s_waitcnt lgkmcnt(8)
	s_delay_alu instid0(VALU_DEP_3)
	v_wmma_f32_16x16x16_f16 v[75:82], v[49:56], v[83:90], v[75:82]
	ds_load_b128 v[53:56], v72 offset:10256
	ds_load_b128 v[49:52], v72 offset:10240
	s_waitcnt lgkmcnt(8)
	v_wmma_f32_16x16x16_f16 v[75:82], v[41:48], v[91:98], v[75:82]
	ds_load_b128 v[45:48], v72 offset:12304
	ds_load_b128 v[41:44], v72 offset:12288
	s_waitcnt lgkmcnt(8)
	;; [unrolled: 4-line block ×3, first 2 shown]
	s_barrier
	buffer_gl0_inv
	v_wmma_f32_16x16x16_f16 v[75:82], v[1:8], v[107:114], v[75:82]
	s_delay_alu instid0(VALU_DEP_1) | instskip(NEXT) | instid1(VALU_DEP_1)
	v_wmma_f32_16x16x16_f16 v[75:82], v[9:16], v[115:122], v[75:82]
	v_wmma_f32_16x16x16_f16 v[75:82], v[17:24], v[49:56], v[75:82]
	s_delay_alu instid0(VALU_DEP_1) | instskip(NEXT) | instid1(VALU_DEP_1)
	v_wmma_f32_16x16x16_f16 v[75:82], v[25:32], v[41:48], v[75:82]
	v_wmma_f32_16x16x16_f16 v[75:82], v[57:64], v[33:40], v[75:82]
	s_delay_alu instid0(VALU_DEP_1) | instskip(NEXT) | instid1(VALU_DEP_2)
	v_cvt_f16_f32_e32 v1, v75
	v_cvt_f16_f32_e32 v2, v76
	s_delay_alu instid0(VALU_DEP_3) | instskip(NEXT) | instid1(VALU_DEP_4)
	v_cvt_f16_f32_e32 v3, v77
	v_cvt_f16_f32_e32 v4, v78
	;; [unrolled: 1-line block ×6, first 2 shown]
	v_pack_b32_f16 v1, v1, v2
	v_pack_b32_f16 v2, v3, v4
	;; [unrolled: 1-line block ×3, first 2 shown]
	s_delay_alu instid0(VALU_DEP_4)
	v_pack_b32_f16 v4, v7, v8
	ds_store_b128 v73, v[1:4]
	s_waitcnt lgkmcnt(0)
	s_barrier
	buffer_gl0_inv
	ds_load_b128 v[1:4], v74
	ds_load_b128 v[5:8], v74 offset:16
	s_waitcnt lgkmcnt(1)
	v_lshrrev_b32_e32 v9, 16, v1
	s_waitcnt lgkmcnt(0)
	v_lshrrev_b32_e32 v13, 16, v5
	v_lshrrev_b32_e32 v10, 16, v2
	;; [unrolled: 1-line block ×4, first 2 shown]
	v_cndmask_b32_e32 v17, v1, v9, vcc_lo
	v_cndmask_b32_e32 v18, v5, v13, vcc_lo
	v_cndmask_b32_e64 v21, v1, v9, s4
	v_cmp_eq_u32_e32 vcc_lo, 1, v70
	v_cndmask_b32_e64 v22, v5, v13, s4
	v_cmp_eq_u32_e64 s4, 2, v69
	v_cndmask_b32_e64 v19, v1, v9, s3
	v_cndmask_b32_e64 v20, v5, v13, s3
	v_cndmask_b32_e32 v1, v1, v9, vcc_lo
	v_cmp_eq_u32_e64 s3, 2, v70
	v_cndmask_b32_e32 v5, v5, v13, vcc_lo
	v_cndmask_b32_e64 v9, v17, v2, s4
	v_cmp_eq_u32_e32 vcc_lo, 3, v69
	v_cndmask_b32_e64 v13, v18, v6, s4
	v_cmp_eq_u32_e64 s4, 2, v68
	v_cndmask_b32_e64 v17, v19, v2, s5
	v_cndmask_b32_e64 v18, v20, v6, s5
	v_cmp_eq_u32_e64 s5, 3, v68
	v_cndmask_b32_e64 v1, v1, v2, s3
	v_cndmask_b32_e64 v19, v21, v2, s4
	;; [unrolled: 1-line block ×4, first 2 shown]
	v_cndmask_b32_e32 v5, v9, v10, vcc_lo
	v_cndmask_b32_e32 v6, v13, v14, vcc_lo
	v_cmp_eq_u32_e32 vcc_lo, 3, v70
	v_cndmask_b32_e64 v9, v17, v10, s6
	v_cndmask_b32_e64 v13, v18, v14, s6
	;; [unrolled: 1-line block ×3, first 2 shown]
	v_cmp_eq_u32_e64 s4, 4, v69
	v_cndmask_b32_e32 v1, v1, v10, vcc_lo
	v_cndmask_b32_e32 v2, v2, v14, vcc_lo
	v_cmp_eq_u32_e32 vcc_lo, 4, v71
	v_lshrrev_b32_e32 v15, 16, v7
	v_lshrrev_b32_e32 v16, 16, v8
	v_cndmask_b32_e64 v17, v19, v10, s5
	v_cmp_eq_u32_e64 s3, 4, v70
	v_cndmask_b32_e64 v5, v5, v3, s4
	v_cndmask_b32_e64 v6, v6, v7, s4
	v_cndmask_b32_e32 v9, v9, v3, vcc_lo
	v_cmp_eq_u32_e64 s4, 5, v71
	v_cndmask_b32_e32 v10, v13, v7, vcc_lo
	v_cmp_eq_u32_e32 vcc_lo, 4, v68
	v_cmp_eq_u32_e64 s5, 5, v69
	v_cndmask_b32_e64 v2, v2, v7, s3
	v_cndmask_b32_e64 v9, v9, v11, s4
	;; [unrolled: 1-line block ×3, first 2 shown]
	v_cndmask_b32_e32 v13, v17, v3, vcc_lo
	v_cmp_eq_u32_e64 s4, 5, v68
	v_cndmask_b32_e32 v14, v18, v7, vcc_lo
	v_cndmask_b32_e64 v1, v1, v3, s3
	v_cmp_eq_u32_e32 vcc_lo, 5, v70
	v_lshrrev_b32_e32 v12, 16, v4
	v_cndmask_b32_e64 v13, v13, v11, s4
	v_cndmask_b32_e64 v3, v14, v15, s4
	v_cmp_eq_u32_e64 s4, 6, v70
	v_cndmask_b32_e32 v1, v1, v11, vcc_lo
	v_cndmask_b32_e64 v5, v5, v11, s5
	v_cmp_eq_u32_e64 s6, 6, v69
	v_cndmask_b32_e64 v6, v6, v15, s5
	v_cmp_eq_u32_e64 s5, 6, v71
	v_cmp_eq_u32_e64 s3, 6, v68
	v_cndmask_b32_e64 v1, v1, v4, s4
	v_cndmask_b32_e32 v2, v2, v15, vcc_lo
	v_cmp_eq_u32_e32 vcc_lo, 7, v70
	v_cndmask_b32_e64 v5, v5, v4, s6
	v_cndmask_b32_e64 v9, v9, v4, s5
	;; [unrolled: 1-line block ×3, first 2 shown]
	v_cmp_eq_u32_e64 s6, 7, v69
	v_cndmask_b32_e32 v1, v1, v12, vcc_lo
	v_cndmask_b32_e64 v7, v13, v4, s3
	v_cndmask_b32_e64 v3, v3, v8, s3
	;; [unrolled: 1-line block ×3, first 2 shown]
	v_cmp_eq_u32_e64 s3, 7, v68
	v_cndmask_b32_e64 v4, v10, v8, s5
	v_cndmask_b32_e64 v5, v5, v12, s6
	;; [unrolled: 1-line block ×3, first 2 shown]
	v_cndmask_b32_e32 v2, v2, v16, vcc_lo
	v_cndmask_b32_e64 v7, v7, v12, s3
	v_cndmask_b32_e64 v3, v3, v16, s3
	;; [unrolled: 1-line block ×4, first 2 shown]
	v_cmp_gt_u32_e32 vcc_lo, 32, v0
	v_perm_b32 v4, v2, v1, 0x5040100
	v_perm_b32 v3, v3, v7, 0x5040100
	;; [unrolled: 1-line block ×4, first 2 shown]
	s_and_b32 s2, vcc_lo, s2
	ds_store_b128 v73, v[1:4]
	s_waitcnt lgkmcnt(0)
	s_barrier
	buffer_gl0_inv
	s_and_saveexec_b32 s3, s2
	s_cbranch_execz .LBB817_2
; %bb.15:
	s_load_b64 s[0:1], s[0:1], 0x68
	s_lshl_b32 s4, s35, 6
	v_or_b32_e32 v2, s31, v67
	s_mul_i32 s2, s4, s34
	v_lshlrev_b32_e32 v1, 10, v0
	s_mul_i32 s2, s2, s8
	v_lshlrev_b32_e32 v3, 4, v66
	v_mul_lo_u32 v0, v2, s4
	s_ashr_i32 s3, s2, 31
	v_lshlrev_b32_e32 v4, 6, v67
	v_and_b32_e32 v1, 0x3800, v1
	v_or_b32_e32 v5, 2, v2
	s_lshl_b64 s[2:3], s[2:3], 1
	v_or_b32_e32 v6, 4, v2
	v_or_b32_e32 v7, 6, v2
	v_or3_b32 v12, v1, v3, v4
	v_ashrrev_i32_e32 v1, 31, v0
	v_mul_lo_u32 v2, v5, s4
	v_mul_lo_u32 v16, v6, s4
	;; [unrolled: 1-line block ×3, first 2 shown]
	s_waitcnt lgkmcnt(0)
	s_add_u32 s2, s0, s2
	s_addc_u32 s3, s1, s3
	s_lshl_b32 s0, s14, 6
	v_lshlrev_b64 v[0:1], 1, v[0:1]
	s_ashr_i32 s1, s0, 31
	v_ashrrev_i32_e32 v3, 31, v2
	s_lshl_b64 s[0:1], s[0:1], 1
	v_ashrrev_i32_e32 v17, 31, v16
	s_add_u32 s0, s2, s0
	s_addc_u32 s1, s3, s1
	v_add_co_u32 v24, s0, s0, v65
	s_delay_alu instid0(VALU_DEP_1) | instskip(SKIP_1) | instid1(VALU_DEP_3)
	v_add_co_ci_u32_e64 v25, null, s1, 0, s0
	v_lshlrev_b64 v[22:23], 1, v[2:3]
	v_add_co_u32 v18, vcc_lo, v24, v0
	s_delay_alu instid0(VALU_DEP_3)
	v_add_co_ci_u32_e32 v19, vcc_lo, v25, v1, vcc_lo
	ds_load_b128 v[0:3], v12
	ds_load_b128 v[4:7], v12 offset:128
	ds_load_b128 v[8:11], v12 offset:256
	ds_load_b128 v[12:15], v12 offset:384
	v_ashrrev_i32_e32 v21, 31, v20
	v_lshlrev_b64 v[16:17], 1, v[16:17]
	v_add_co_u32 v22, vcc_lo, v24, v22
	v_add_co_ci_u32_e32 v23, vcc_lo, v25, v23, vcc_lo
	s_delay_alu instid0(VALU_DEP_4) | instskip(NEXT) | instid1(VALU_DEP_4)
	v_lshlrev_b64 v[20:21], 1, v[20:21]
	v_add_co_u32 v16, vcc_lo, v24, v16
	v_add_co_ci_u32_e32 v17, vcc_lo, v25, v17, vcc_lo
	s_delay_alu instid0(VALU_DEP_3) | instskip(NEXT) | instid1(VALU_DEP_4)
	v_add_co_u32 v20, vcc_lo, v24, v20
	v_add_co_ci_u32_e32 v21, vcc_lo, v25, v21, vcc_lo
	s_waitcnt lgkmcnt(3)
	global_store_b128 v[18:19], v[0:3], off
	s_waitcnt lgkmcnt(2)
	global_store_b128 v[22:23], v[4:7], off
	s_waitcnt lgkmcnt(1)
	global_store_b128 v[16:17], v[8:11], off
	s_waitcnt lgkmcnt(0)
	global_store_b128 v[20:21], v[12:15], off
	s_nop 0
	s_sendmsg sendmsg(MSG_DEALLOC_VGPRS)
	s_endpgm
	.section	.rodata,"a",@progbits
	.p2align	6, 0x0
	.amdhsa_kernel _Z39paged_attention_ll4mi_QKV_mfma16_kernelIDF16_hLN4vllm18Fp8KVCacheDataTypeE1EDF16_Li16ELi64ELi256ELb1ELi8EL8MFMAType1EEvPKT_PKT0_S8_ifPKiSA_SA_iPKfiiiPfSD_PS3_PT2_iSC_SC_
		.amdhsa_group_segment_fixed_size 17472
		.amdhsa_private_segment_fixed_size 0
		.amdhsa_kernarg_size 400
		.amdhsa_user_sgpr_count 13
		.amdhsa_user_sgpr_dispatch_ptr 0
		.amdhsa_user_sgpr_queue_ptr 0
		.amdhsa_user_sgpr_kernarg_segment_ptr 1
		.amdhsa_user_sgpr_dispatch_id 0
		.amdhsa_user_sgpr_private_segment_size 0
		.amdhsa_wavefront_size32 1
		.amdhsa_uses_dynamic_stack 0
		.amdhsa_enable_private_segment 0
		.amdhsa_system_sgpr_workgroup_id_x 1
		.amdhsa_system_sgpr_workgroup_id_y 1
		.amdhsa_system_sgpr_workgroup_id_z 1
		.amdhsa_system_sgpr_workgroup_info 0
		.amdhsa_system_vgpr_workitem_id 0
		.amdhsa_next_free_vgpr 123
		.amdhsa_next_free_sgpr 40
		.amdhsa_reserve_vcc 1
		.amdhsa_float_round_mode_32 0
		.amdhsa_float_round_mode_16_64 0
		.amdhsa_float_denorm_mode_32 3
		.amdhsa_float_denorm_mode_16_64 3
		.amdhsa_dx10_clamp 1
		.amdhsa_ieee_mode 1
		.amdhsa_fp16_overflow 0
		.amdhsa_workgroup_processor_mode 1
		.amdhsa_memory_ordered 1
		.amdhsa_forward_progress 0
		.amdhsa_shared_vgpr_count 0
		.amdhsa_exception_fp_ieee_invalid_op 0
		.amdhsa_exception_fp_denorm_src 0
		.amdhsa_exception_fp_ieee_div_zero 0
		.amdhsa_exception_fp_ieee_overflow 0
		.amdhsa_exception_fp_ieee_underflow 0
		.amdhsa_exception_fp_ieee_inexact 0
		.amdhsa_exception_int_div_zero 0
	.end_amdhsa_kernel
	.section	.text._Z39paged_attention_ll4mi_QKV_mfma16_kernelIDF16_hLN4vllm18Fp8KVCacheDataTypeE1EDF16_Li16ELi64ELi256ELb1ELi8EL8MFMAType1EEvPKT_PKT0_S8_ifPKiSA_SA_iPKfiiiPfSD_PS3_PT2_iSC_SC_,"axG",@progbits,_Z39paged_attention_ll4mi_QKV_mfma16_kernelIDF16_hLN4vllm18Fp8KVCacheDataTypeE1EDF16_Li16ELi64ELi256ELb1ELi8EL8MFMAType1EEvPKT_PKT0_S8_ifPKiSA_SA_iPKfiiiPfSD_PS3_PT2_iSC_SC_,comdat
.Lfunc_end817:
	.size	_Z39paged_attention_ll4mi_QKV_mfma16_kernelIDF16_hLN4vllm18Fp8KVCacheDataTypeE1EDF16_Li16ELi64ELi256ELb1ELi8EL8MFMAType1EEvPKT_PKT0_S8_ifPKiSA_SA_iPKfiiiPfSD_PS3_PT2_iSC_SC_, .Lfunc_end817-_Z39paged_attention_ll4mi_QKV_mfma16_kernelIDF16_hLN4vllm18Fp8KVCacheDataTypeE1EDF16_Li16ELi64ELi256ELb1ELi8EL8MFMAType1EEvPKT_PKT0_S8_ifPKiSA_SA_iPKfiiiPfSD_PS3_PT2_iSC_SC_
                                        ; -- End function
	.section	.AMDGPU.csdata,"",@progbits
; Kernel info:
; codeLenInByte = 6492
; NumSgprs: 42
; NumVgprs: 123
; ScratchSize: 0
; MemoryBound: 0
; FloatMode: 240
; IeeeMode: 1
; LDSByteSize: 17472 bytes/workgroup (compile time only)
; SGPRBlocks: 5
; VGPRBlocks: 15
; NumSGPRsForWavesPerEU: 42
; NumVGPRsForWavesPerEU: 123
; Occupancy: 10
; WaveLimiterHint : 1
; COMPUTE_PGM_RSRC2:SCRATCH_EN: 0
; COMPUTE_PGM_RSRC2:USER_SGPR: 13
; COMPUTE_PGM_RSRC2:TRAP_HANDLER: 0
; COMPUTE_PGM_RSRC2:TGID_X_EN: 1
; COMPUTE_PGM_RSRC2:TGID_Y_EN: 1
; COMPUTE_PGM_RSRC2:TGID_Z_EN: 1
; COMPUTE_PGM_RSRC2:TIDIG_COMP_CNT: 0
	.section	.text._Z39paged_attention_ll4mi_QKV_mfma16_kernelIDF16_hLN4vllm18Fp8KVCacheDataTypeE1EDF16_Li16ELi64ELi256ELb1ELi9EL8MFMAType1EEvPKT_PKT0_S8_ifPKiSA_SA_iPKfiiiPfSD_PS3_PT2_iSC_SC_,"axG",@progbits,_Z39paged_attention_ll4mi_QKV_mfma16_kernelIDF16_hLN4vllm18Fp8KVCacheDataTypeE1EDF16_Li16ELi64ELi256ELb1ELi9EL8MFMAType1EEvPKT_PKT0_S8_ifPKiSA_SA_iPKfiiiPfSD_PS3_PT2_iSC_SC_,comdat
	.protected	_Z39paged_attention_ll4mi_QKV_mfma16_kernelIDF16_hLN4vllm18Fp8KVCacheDataTypeE1EDF16_Li16ELi64ELi256ELb1ELi9EL8MFMAType1EEvPKT_PKT0_S8_ifPKiSA_SA_iPKfiiiPfSD_PS3_PT2_iSC_SC_ ; -- Begin function _Z39paged_attention_ll4mi_QKV_mfma16_kernelIDF16_hLN4vllm18Fp8KVCacheDataTypeE1EDF16_Li16ELi64ELi256ELb1ELi9EL8MFMAType1EEvPKT_PKT0_S8_ifPKiSA_SA_iPKfiiiPfSD_PS3_PT2_iSC_SC_
	.globl	_Z39paged_attention_ll4mi_QKV_mfma16_kernelIDF16_hLN4vllm18Fp8KVCacheDataTypeE1EDF16_Li16ELi64ELi256ELb1ELi9EL8MFMAType1EEvPKT_PKT0_S8_ifPKiSA_SA_iPKfiiiPfSD_PS3_PT2_iSC_SC_
	.p2align	8
	.type	_Z39paged_attention_ll4mi_QKV_mfma16_kernelIDF16_hLN4vllm18Fp8KVCacheDataTypeE1EDF16_Li16ELi64ELi256ELb1ELi9EL8MFMAType1EEvPKT_PKT0_S8_ifPKiSA_SA_iPKfiiiPfSD_PS3_PT2_iSC_SC_,@function
_Z39paged_attention_ll4mi_QKV_mfma16_kernelIDF16_hLN4vllm18Fp8KVCacheDataTypeE1EDF16_Li16ELi64ELi256ELb1ELi9EL8MFMAType1EEvPKT_PKT0_S8_ifPKiSA_SA_iPKfiiiPfSD_PS3_PT2_iSC_SC_: ; @_Z39paged_attention_ll4mi_QKV_mfma16_kernelIDF16_hLN4vllm18Fp8KVCacheDataTypeE1EDF16_Li16ELi64ELi256ELb1ELi9EL8MFMAType1EEvPKT_PKT0_S8_ifPKiSA_SA_iPKfiiiPfSD_PS3_PT2_iSC_SC_
; %bb.0:
	s_load_b64 s[2:3], s[0:1], 0x30
	s_mov_b32 s34, s13
	s_waitcnt lgkmcnt(0)
	s_cmp_lg_u64 s[2:3], 0
	s_cselect_b32 s6, -1, 0
	s_ashr_i32 s35, s13, 31
	s_cmp_eq_u64 s[2:3], 0
	s_cbranch_scc1 .LBB818_3
; %bb.1:
	s_lshl_b64 s[4:5], s[34:35], 2
	s_delay_alu instid0(SALU_CYCLE_1) | instskip(SKIP_4) | instid1(SALU_CYCLE_1)
	s_add_u32 s4, s2, s4
	s_addc_u32 s5, s3, s5
	s_load_b64 s[4:5], s[4:5], 0x0
	s_waitcnt lgkmcnt(0)
	s_sub_i32 s4, s5, s4
	s_cmp_eq_u32 s4, 1
	s_cselect_b32 s4, -1, 0
	s_delay_alu instid0(SALU_CYCLE_1)
	s_and_not1_b32 vcc_lo, exec_lo, s4
	s_cbranch_vccz .LBB818_4
.LBB818_2:
	s_nop 0
	s_sendmsg sendmsg(MSG_DEALLOC_VGPRS)
	s_endpgm
.LBB818_3:
.LBB818_4:
	s_load_b64 s[8:9], s[0:1], 0x28
	s_lshl_b64 s[4:5], s[34:35], 2
	s_waitcnt lgkmcnt(0)
	s_add_u32 s8, s8, s4
	s_addc_u32 s9, s9, s5
	s_lshl_b32 s16, s14, 8
	s_load_b32 s18, s[8:9], 0x0
	s_waitcnt lgkmcnt(0)
	s_cmp_ge_i32 s16, s18
	s_cbranch_scc1 .LBB818_2
; %bb.5:
	s_clause 0x1
	s_load_b128 s[8:11], s[0:1], 0x8
	s_load_b64 s[12:13], s[0:1], 0x20
	s_and_not1_b32 vcc_lo, exec_lo, s6
	s_cbranch_vccnz .LBB818_7
; %bb.6:
	s_add_u32 s2, s2, s4
	s_addc_u32 s3, s3, s5
	s_load_b32 s3, s[2:3], 0x0
	s_branch .LBB818_8
.LBB818_7:
	s_mov_b32 s3, s34
.LBB818_8:
	s_load_b128 s[4:7], s[0:1], 0x48
	v_lshrrev_b32_e32 v69, 5, v0
	v_bfe_u32 v66, v0, 4, 1
	v_and_b32_e32 v68, 15, v0
	v_and_b32_e32 v70, 31, v0
	;; [unrolled: 1-line block ×3, first 2 shown]
	s_mul_i32 s33, s15, 9
	v_lshl_or_b32 v1, v69, 1, v66
	v_lshlrev_b32_e32 v2, 3, v68
	v_cmp_gt_u32_e64 s2, 8, v68
	s_delay_alu instid0(VALU_DEP_3) | instskip(NEXT) | instid1(VALU_DEP_3)
	v_cmp_gt_u32_e32 vcc_lo, 9, v1
	v_lshlrev_b32_e32 v65, 1, v2
	s_delay_alu instid0(VALU_DEP_3)
	s_and_b32 s17, s2, vcc_lo
	s_waitcnt lgkmcnt(0)
	s_and_saveexec_b32 s7, s17
	s_cbranch_execz .LBB818_10
; %bb.9:
	s_load_b64 s[20:21], s[0:1], 0x0
	v_add_lshl_u32 v2, v1, s33, 6
	s_mul_hi_i32 s23, s3, s4
	s_mul_i32 s22, s3, s4
	v_lshlrev_b32_e32 v6, 10, v68
	s_lshl_b64 s[22:23], s[22:23], 1
	v_ashrrev_i32_e32 v3, 31, v2
	v_lshlrev_b32_e32 v1, 6, v1
	v_lshlrev_b32_e32 v7, 10, v67
	v_and_b32_e32 v6, 0x3800, v6
	s_delay_alu instid0(VALU_DEP_4) | instskip(NEXT) | instid1(VALU_DEP_2)
	v_lshlrev_b64 v[2:3], 1, v[2:3]
	v_or3_b32 v1, v6, v7, v1
	s_waitcnt lgkmcnt(0)
	s_add_u32 s3, s20, s22
	s_addc_u32 s4, s21, s23
	s_delay_alu instid0(VALU_DEP_2) | instskip(SKIP_1) | instid1(VALU_DEP_2)
	v_add_co_u32 v2, vcc_lo, s3, v2
	v_add_co_ci_u32_e32 v3, vcc_lo, s4, v3, vcc_lo
	v_add_co_u32 v2, vcc_lo, v2, v65
	s_delay_alu instid0(VALU_DEP_2)
	v_add_co_ci_u32_e32 v3, vcc_lo, 0, v3, vcc_lo
	global_load_b128 v[2:5], v[2:3], off
	s_waitcnt vmcnt(0)
	ds_store_b128 v1, v[2:5]
.LBB818_10:
	s_or_b32 exec_lo, exec_lo, s7
	v_and_b32_e32 v1, 0xef, v0
	s_add_i32 s3, s18, 15
	s_clause 0x1
	s_load_b32 s4, s[0:1], 0x38
	s_load_b32 s35, s[0:1], 0x98
	s_ashr_i32 s7, s3, 31
	v_add_nc_u32_e32 v1, s16, v1
	s_lshr_b32 s7, s7, 28
	s_load_b32 s19, s[0:1], 0x1c
	v_add_nc_u32_e32 v103, -9, v68
	s_add_i32 s3, s3, s7
	v_ashrrev_i32_e32 v2, 31, v1
	v_or_b32_e32 v3, 16, v1
	s_ashr_i32 s3, s3, 4
	v_cmp_gt_i32_e32 vcc_lo, s18, v1
	s_add_i32 s3, s3, -1
	v_lshrrev_b32_e32 v2, 28, v2
	s_waitcnt lgkmcnt(0)
	s_barrier
	buffer_gl0_inv
	s_mul_i32 s15, s15, s6
	v_add_nc_u32_e32 v4, v1, v2
	v_mbcnt_lo_u32_b32 v127, -1, 0
	s_mul_i32 s20, s34, s4
	s_delay_alu instid0(SALU_CYCLE_1) | instskip(NEXT) | instid1(VALU_DEP_2)
	s_ashr_i32 s21, s20, 31
	v_ashrrev_i32_e32 v4, 4, v4
	v_add_nc_u32_e32 v2, v3, v2
	s_lshl_b64 s[20:21], s[20:21], 2
	v_xor_b32_e32 v128, 16, v127
	s_add_u32 s17, s12, s20
	v_cndmask_b32_e32 v1, s3, v4, vcc_lo
	v_ashrrev_i32_e32 v2, 4, v2
	v_cmp_gt_i32_e32 vcc_lo, s18, v3
	s_addc_u32 s13, s13, s21
	s_ashr_i32 s20, s15, 31
	s_add_u32 s4, s8, s15
	s_addc_u32 s12, s9, s20
	v_cndmask_b32_e32 v3, s3, v2, vcc_lo
	v_ashrrev_i32_e32 v2, 31, v1
	s_lshl_b32 s6, s14, 4
	s_delay_alu instid0(SALU_CYCLE_1) | instskip(NEXT) | instid1(VALU_DEP_2)
	s_ashr_i32 s7, s6, 31
	v_ashrrev_i32_e32 v4, 31, v3
	s_delay_alu instid0(VALU_DEP_2) | instskip(SKIP_1) | instid1(SALU_CYCLE_1)
	v_lshlrev_b64 v[1:2], 2, v[1:2]
	s_lshl_b64 s[6:7], s[6:7], 2
	s_add_u32 s6, s17, s6
	s_delay_alu instid0(VALU_DEP_2) | instskip(SKIP_1) | instid1(VALU_DEP_2)
	v_lshlrev_b64 v[3:4], 2, v[3:4]
	s_addc_u32 s7, s13, s7
	v_add_co_u32 v1, vcc_lo, s17, v1
	v_add_co_ci_u32_e32 v2, vcc_lo, s13, v2, vcc_lo
	s_delay_alu instid0(VALU_DEP_3) | instskip(NEXT) | instid1(VALU_DEP_4)
	v_add_co_u32 v3, vcc_lo, s17, v3
	v_add_co_ci_u32_e32 v4, vcc_lo, s13, v4, vcc_lo
	s_clause 0x1
	global_load_b32 v5, v[1:2], off
	global_load_b32 v7, v[3:4], off
	s_or_b32 s8, s16, 32
	v_lshlrev_b32_e32 v1, 4, v0
	s_ashr_i32 s9, s8, 4
	s_cmp_lt_i32 s8, s18
	v_cmp_gt_u32_e32 vcc_lo, 9, v68
	s_cselect_b32 s8, s9, s3
	v_and_b32_e32 v1, 0xf0, v1
	s_ashr_i32 s9, s8, 31
	s_delay_alu instid0(SALU_CYCLE_1)
	s_lshl_b64 s[8:9], s[8:9], 2
	v_cndmask_b32_e32 v103, v103, v68, vcc_lo
	s_add_u32 s8, s17, s8
	s_addc_u32 s9, s13, s9
	s_or_b32 s21, s16, 64
	v_add_co_u32 v1, s4, s4, v1
	s_ashr_i32 s22, s21, 4
	s_cmp_lt_i32 s21, s18
	v_add_co_ci_u32_e64 v2, null, s12, 0, s4
	s_cselect_b32 s22, s22, s3
	v_cmp_gt_i32_e32 vcc_lo, 32, v128
	s_ashr_i32 s23, s22, 31
	v_lshlrev_b32_e32 v115, 6, v103
	s_lshl_b64 s[22:23], s[22:23], 2
	v_cndmask_b32_e32 v136, v127, v128, vcc_lo
	s_add_u32 s22, s17, s22
	s_addc_u32 s23, s13, s23
	s_or_b32 s21, s16, 0x60
	s_delay_alu instid0(SALU_CYCLE_1) | instskip(SKIP_2) | instid1(SALU_CYCLE_1)
	s_ashr_i32 s24, s21, 4
	s_cmp_lt_i32 s21, s18
	s_cselect_b32 s24, s24, s3
	s_ashr_i32 s25, s24, 31
	s_delay_alu instid0(SALU_CYCLE_1) | instskip(NEXT) | instid1(SALU_CYCLE_1)
	s_lshl_b64 s[24:25], s[24:25], 2
	s_add_u32 s24, s17, s24
	s_addc_u32 s25, s13, s25
	s_or_b32 s21, s16, 0x80
	s_delay_alu instid0(SALU_CYCLE_1) | instskip(SKIP_2) | instid1(SALU_CYCLE_1)
	s_ashr_i32 s26, s21, 4
	s_cmp_lt_i32 s21, s18
	s_cselect_b32 s26, s26, s3
	s_ashr_i32 s27, s26, 31
	s_delay_alu instid0(SALU_CYCLE_1) | instskip(NEXT) | instid1(SALU_CYCLE_1)
	s_lshl_b64 s[26:27], s[26:27], 2
	;; [unrolled: 10-line block ×3, first 2 shown]
	s_add_u32 s28, s17, s28
	s_addc_u32 s29, s13, s29
	s_clause 0x5
	s_load_b32 s12, s[6:7], 0x0
	s_load_b32 s4, s[8:9], 0x0
	;; [unrolled: 1-line block ×6, first 2 shown]
	s_or_b32 s21, s16, 0xc0
	s_delay_alu instid0(SALU_CYCLE_1) | instskip(SKIP_2) | instid1(SALU_CYCLE_1)
	s_ashr_i32 s22, s21, 4
	s_cmp_lt_i32 s21, s18
	s_cselect_b32 s22, s22, s3
	s_ashr_i32 s23, s22, 31
	s_delay_alu instid0(SALU_CYCLE_1) | instskip(NEXT) | instid1(SALU_CYCLE_1)
	s_lshl_b64 s[22:23], s[22:23], 2
	s_add_u32 s22, s17, s22
	s_addc_u32 s23, s13, s23
	s_or_b32 s21, s16, 0xe0
	s_delay_alu instid0(SALU_CYCLE_1) | instskip(SKIP_2) | instid1(SALU_CYCLE_1)
	s_ashr_i32 s24, s21, 4
	s_cmp_lt_i32 s21, s18
	s_cselect_b32 s24, s24, s3
	s_ashr_i32 s25, s24, 31
	s_delay_alu instid0(SALU_CYCLE_1)
	s_lshl_b64 s[24:25], s[24:25], 2
	s_waitcnt vmcnt(1)
	v_mad_i64_i32 v[3:4], null, v5, s5, v[1:2]
	s_waitcnt vmcnt(0)
	v_mad_i64_i32 v[5:6], null, v7, s5, v[1:2]
	v_lshlrev_b32_e32 v1, 4, v68
	s_clause 0x7
	global_load_b128 v[71:74], v[3:4], off
	global_load_b128 v[75:78], v[3:4], off offset:256
	global_load_b128 v[79:82], v[5:6], off
	global_load_b128 v[83:86], v[5:6], off offset:256
	global_load_b128 v[87:90], v[3:4], off offset:512
	;; [unrolled: 1-line block ×5, first 2 shown]
	v_lshl_or_b32 v1, v69, 8, v1
	s_load_b32 s3, s[22:23], 0x0
	s_add_u32 s22, s17, s24
	s_addc_u32 s23, s13, s25
	s_add_u32 s10, s10, s15
	s_addc_u32 s11, s11, s20
	v_add_co_u32 v1, s10, s10, v1
	s_delay_alu instid0(VALU_DEP_1) | instskip(SKIP_2) | instid1(VALU_DEP_1)
	v_add_co_ci_u32_e64 v2, null, s11, 0, s10
	s_load_b32 s10, s[22:23], 0x0
	s_waitcnt lgkmcnt(0)
	v_mad_i64_i32 v[3:4], null, s12, s5, v[1:2]
	v_mad_i64_i32 v[9:10], null, s7, s5, v[1:2]
	;; [unrolled: 1-line block ×7, first 2 shown]
	s_clause 0x5
	global_load_b128 v[49:52], v[3:4], off
	global_load_b128 v[53:56], v[3:4], off offset:16
	global_load_b128 v[41:44], v[5:6], off
	global_load_b128 v[45:48], v[5:6], off offset:16
	;; [unrolled: 2-line block ×3, first 2 shown]
	s_mov_b32 s4, 0
	v_mad_i64_i32 v[61:62], null, s10, s5, v[1:2]
	s_clause 0x9
	global_load_b128 v[1:4], v[9:10], off
	global_load_b128 v[5:8], v[9:10], off offset:16
	global_load_b128 v[9:12], v[13:14], off
	global_load_b128 v[13:16], v[13:14], off offset:16
	;; [unrolled: 2-line block ×5, first 2 shown]
	s_mov_b32 s5, s4
	s_mov_b32 s6, s4
	;; [unrolled: 1-line block ×7, first 2 shown]
	v_and_b32_e32 v104, 0xe0, v0
	v_dual_mov_b32 v126, s11 :: v_dual_mov_b32 v125, s10
	v_dual_mov_b32 v124, s9 :: v_dual_mov_b32 v123, s8
	s_delay_alu instid0(VALU_DEP_3)
	v_add_nc_u32_e32 v111, s16, v104
	ds_load_b128 v[103:106], v115
	ds_load_b128 v[107:110], v115 offset:1024
	v_dual_mov_b32 v122, s7 :: v_dual_mov_b32 v121, s6
	v_mov_b32_e32 v120, s5
	v_or_b32_e32 v135, v111, v66
	ds_load_b128 v[111:114], v115 offset:2048
	ds_load_b128 v[115:118], v115 offset:3072
	v_mov_b32_e32 v119, s4
	s_waitcnt vmcnt(0) lgkmcnt(0)
	s_barrier
	v_or_b32_e32 v137, 2, v135
	v_or_b32_e32 v138, 4, v135
	;; [unrolled: 1-line block ×3, first 2 shown]
	v_cmp_gt_i32_e32 vcc_lo, s18, v135
	v_or_b32_e32 v140, 8, v135
	v_cmp_gt_i32_e64 s3, s18, v137
	v_or_b32_e32 v141, 10, v135
	v_cmp_gt_i32_e64 s4, s18, v138
	v_cmp_gt_i32_e64 s5, s18, v139
	v_or_b32_e32 v142, 12, v135
	v_or_b32_e32 v143, 14, v135
	v_cmp_gt_i32_e64 s6, s18, v140
	v_cmp_gt_i32_e64 s7, s18, v141
	v_or_b32_e32 v144, 16, v135
	v_or_b32_e32 v145, 18, v135
	v_cmp_gt_i32_e64 s8, s18, v142
	v_cmp_gt_i32_e64 s9, s18, v143
	buffer_gl0_inv
	v_cmp_gt_i32_e64 s10, s18, v144
	v_cmp_gt_i32_e64 s11, s18, v145
	v_wmma_f32_16x16x16_f16 v[127:134], v[71:78], v[103:110], v[119:126]
	v_wmma_f32_16x16x16_f16 v[119:126], v[79:86], v[103:110], v[119:126]
	v_or_b32_e32 v71, 20, v135
	v_or_b32_e32 v72, 22, v135
	s_delay_alu instid0(VALU_DEP_4)
	v_wmma_f32_16x16x16_f16 v[127:134], v[87:94], v[111:118], v[127:134]
	v_or_b32_e32 v73, 24, v135
	v_wmma_f32_16x16x16_f16 v[119:126], v[95:102], v[111:118], v[119:126]
	v_or_b32_e32 v74, 26, v135
	v_cmp_gt_i32_e64 s12, s18, v71
	v_dual_mul_f32 v83, s19, v128 :: v_dual_mul_f32 v84, s19, v127
	v_dual_mul_f32 v81, s19, v130 :: v_dual_mul_f32 v82, s19, v129
	;; [unrolled: 1-line block ×3, first 2 shown]
	s_delay_alu instid0(VALU_DEP_3) | instskip(NEXT) | instid1(VALU_DEP_4)
	v_cndmask_b32_e32 v84, 0xff7fffff, v84, vcc_lo
	v_cndmask_b32_e64 v83, 0xff7fffff, v83, s3
	v_mul_f32_e32 v80, s19, v131
	v_cndmask_b32_e64 v82, 0xff7fffff, v82, s4
	v_cndmask_b32_e64 v81, 0xff7fffff, v81, s5
	v_dual_mul_f32 v77, s19, v134 :: v_dual_mul_f32 v90, s19, v121
	v_max3_f32 v83, v84, 0xff7fffff, v83
	v_mul_f32_e32 v78, s19, v133
	v_cndmask_b32_e64 v80, 0xff7fffff, v80, s6
	v_cndmask_b32_e64 v79, 0xff7fffff, v79, s7
	v_mul_f32_e32 v91, s19, v120
	v_max3_f32 v81, v83, v82, v81
	v_cndmask_b32_e64 v78, 0xff7fffff, v78, s8
	v_cndmask_b32_e64 v77, 0xff7fffff, v77, s9
	v_mul_f32_e32 v89, s19, v122
	v_cmp_gt_i32_e64 s13, s18, v72
	v_max3_f32 v79, v81, v80, v79
	v_cndmask_b32_e64 v80, 0xff7fffff, v92, s10
	v_cndmask_b32_e64 v81, 0xff7fffff, v91, s11
	v_or_b32_e32 v75, 28, v135
	v_or_b32_e32 v76, 30, v135
	v_max3_f32 v77, v79, v78, v77
	v_dual_mul_f32 v87, s19, v124 :: v_dual_mul_f32 v88, s19, v123
	v_cndmask_b32_e64 v71, 0xff7fffff, v90, s12
	v_cndmask_b32_e64 v72, 0xff7fffff, v89, s13
	s_delay_alu instid0(VALU_DEP_4) | instskip(SKIP_3) | instid1(VALU_DEP_4)
	v_max3_f32 v77, v77, v80, v81
	v_cmp_gt_i32_e64 s15, s18, v73
	v_cmp_gt_i32_e64 s16, s18, v74
	v_dual_mul_f32 v85, s19, v126 :: v_dual_mul_f32 v86, s19, v125
	v_max3_f32 v71, v77, v71, v72
	s_delay_alu instid0(VALU_DEP_4) | instskip(NEXT) | instid1(VALU_DEP_4)
	v_cndmask_b32_e64 v73, 0xff7fffff, v88, s15
	v_cndmask_b32_e64 v74, 0xff7fffff, v87, s16
	v_cmp_gt_i32_e64 s17, s18, v75
	v_cmp_gt_i32_e64 s18, s18, v76
	s_delay_alu instid0(VALU_DEP_3) | instskip(NEXT) | instid1(VALU_DEP_3)
	v_max3_f32 v71, v71, v73, v74
	v_cndmask_b32_e64 v72, 0xff7fffff, v86, s17
	s_delay_alu instid0(VALU_DEP_3) | instskip(SKIP_1) | instid1(VALU_DEP_2)
	v_cndmask_b32_e64 v75, 0xff7fffff, v85, s18
	v_lshlrev_b32_e32 v73, 2, v136
	v_max3_f32 v71, v71, v72, v75
	ds_bpermute_b32 v72, v73, v71
	s_waitcnt lgkmcnt(0)
	v_max_f32_e32 v72, v72, v72
	s_delay_alu instid0(VALU_DEP_1) | instskip(NEXT) | instid1(VALU_DEP_1)
	v_max_f32_e32 v71, v71, v72
	v_fma_f32 v72, s19, v127, -v71
	v_fma_f32 v74, s19, v128, -v71
	;; [unrolled: 1-line block ×5, first 2 shown]
	v_mul_f32_e32 v72, 0x3fb8aa3b, v72
	s_delay_alu instid0(VALU_DEP_4) | instskip(NEXT) | instid1(VALU_DEP_4)
	v_dual_mul_f32 v74, 0x3fb8aa3b, v74 :: v_dual_mul_f32 v75, 0x3fb8aa3b, v75
	v_mul_f32_e32 v76, 0x3fb8aa3b, v76
	s_delay_alu instid0(VALU_DEP_4) | instskip(NEXT) | instid1(VALU_DEP_4)
	v_mul_f32_e32 v82, 0x3fb8aa3b, v80
	v_exp_f32_e32 v72, v72
	s_delay_alu instid0(VALU_DEP_3)
	v_exp_f32_e32 v74, v74
	v_exp_f32_e32 v75, v75
	;; [unrolled: 1-line block ×3, first 2 shown]
	v_fma_f32 v77, s19, v131, -v71
	v_exp_f32_e32 v84, v82
	v_cndmask_b32_e32 v79, 0, v72, vcc_lo
	v_cndmask_b32_e64 v78, 0, v74, s3
	s_delay_alu instid0(TRANS32_DEP_3) | instskip(SKIP_1) | instid1(TRANS32_DEP_2)
	v_cndmask_b32_e64 v81, 0, v75, s4
	v_fma_f32 v72, s19, v132, -v71
	v_cndmask_b32_e64 v80, 0, v76, s5
	v_add_f32_e32 v74, 0, v79
	s_delay_alu instid0(TRANS32_DEP_1) | instskip(SKIP_2) | instid1(VALU_DEP_4)
	v_cndmask_b32_e64 v85, 0, v84, s8
	v_cmp_gt_u32_e64 s3, 16, v70
	v_mul_f32_e32 v72, 0x3fb8aa3b, v72
	v_add_f32_e32 v74, v74, v78
	s_delay_alu instid0(VALU_DEP_2) | instskip(NEXT) | instid1(VALU_DEP_1)
	v_exp_f32_e32 v72, v72
	v_add_f32_e32 v74, v74, v81
	s_delay_alu instid0(VALU_DEP_1) | instskip(NEXT) | instid1(VALU_DEP_1)
	v_dual_mul_f32 v77, 0x3fb8aa3b, v77 :: v_dual_add_f32 v74, v74, v80
	v_exp_f32_e32 v77, v77
	s_waitcnt_depctr 0xfff
	v_cndmask_b32_e64 v82, 0, v72, s7
	v_cndmask_b32_e64 v83, 0, v77, s6
	s_delay_alu instid0(VALU_DEP_1) | instskip(SKIP_4) | instid1(VALU_DEP_4)
	v_add_f32_e32 v72, v74, v83
	v_fma_f32 v75, s19, v134, -v71
	v_fma_f32 v76, s19, v119, -v71
	;; [unrolled: 1-line block ×4, first 2 shown]
	v_dual_add_f32 v72, v72, v82 :: v_dual_mul_f32 v75, 0x3fb8aa3b, v75
	s_delay_alu instid0(VALU_DEP_3) | instskip(NEXT) | instid1(VALU_DEP_3)
	v_dual_mul_f32 v76, 0x3fb8aa3b, v76 :: v_dual_mul_f32 v77, 0x3fb8aa3b, v77
	v_mul_f32_e32 v74, 0x3fb8aa3b, v74
	v_fma_f32 v86, s19, v122, -v71
	s_delay_alu instid0(VALU_DEP_4) | instskip(NEXT) | instid1(VALU_DEP_3)
	v_exp_f32_e32 v75, v75
	v_exp_f32_e32 v76, v76
	;; [unrolled: 1-line block ×4, first 2 shown]
	v_mul_f32_e32 v86, 0x3fb8aa3b, v86
	s_delay_alu instid0(VALU_DEP_1)
	v_exp_f32_e32 v88, v86
	v_cndmask_b32_e64 v84, 0, v75, s9
	v_fma_f32 v75, s19, v123, -v71
	v_add_f32_e32 v72, v72, v85
	v_cndmask_b32_e64 v87, 0, v76, s10
	v_fma_f32 v76, s19, v124, -v71
	s_delay_alu instid0(TRANS32_DEP_3) | instskip(NEXT) | instid1(VALU_DEP_4)
	v_cndmask_b32_e64 v86, 0, v77, s11
	v_dual_mul_f32 v75, 0x3fb8aa3b, v75 :: v_dual_add_f32 v72, v72, v84
	v_fma_f32 v77, s19, v125, -v71
	s_delay_alu instid0(VALU_DEP_4) | instskip(SKIP_1) | instid1(VALU_DEP_4)
	v_mul_f32_e32 v76, 0x3fb8aa3b, v76
	v_cndmask_b32_e64 v89, 0, v74, s12
	v_exp_f32_e32 v75, v75
	v_add_f32_e32 v72, v72, v87
	v_mul_f32_e32 v74, 0x3fb8aa3b, v77
	v_exp_f32_e32 v76, v76
	v_cndmask_b32_e64 v88, 0, v88, s13
	v_fma_f32 v77, s19, v126, -v71
	v_add_f32_e32 v72, v72, v86
	v_exp_f32_e32 v74, v74
	s_delay_alu instid0(TRANS32_DEP_3) | instskip(NEXT) | instid1(VALU_DEP_2)
	v_cndmask_b32_e64 v91, 0, v75, s15
	v_add_f32_e32 v72, v72, v89
	v_mul_f32_e32 v75, 0x3fb8aa3b, v77
	s_delay_alu instid0(TRANS32_DEP_2) | instskip(NEXT) | instid1(VALU_DEP_3)
	v_cndmask_b32_e64 v90, 0, v76, s16
	v_add_f32_e32 v72, v72, v88
	s_delay_alu instid0(VALU_DEP_3) | instskip(NEXT) | instid1(TRANS32_DEP_2)
	v_exp_f32_e32 v75, v75
	v_cndmask_b32_e64 v93, 0, v74, s17
	s_delay_alu instid0(VALU_DEP_2) | instskip(NEXT) | instid1(VALU_DEP_1)
	v_add_f32_e32 v72, v72, v91
	v_add_f32_e32 v72, v72, v90
	s_waitcnt_depctr 0xfff
	v_cndmask_b32_e64 v92, 0, v75, s18
	v_add_f32_e32 v72, v72, v93
	s_delay_alu instid0(VALU_DEP_1)
	v_add_f32_e32 v72, v72, v92
	ds_bpermute_b32 v73, v73, v72
	s_and_saveexec_b32 s4, s3
	s_cbranch_execz .LBB818_12
; %bb.11:
	v_mul_u32_u24_e32 v70, 0x44, v69
	s_waitcnt lgkmcnt(0)
	v_add_f32_e32 v72, v72, v73
	s_delay_alu instid0(VALU_DEP_2) | instskip(NEXT) | instid1(VALU_DEP_1)
	v_lshl_add_u32 v70, v68, 2, v70
	v_add_nc_u32_e32 v70, 0x4000, v70
	ds_store_2addr_b32 v70, v71, v72 offset1:136
.LBB818_12:
	s_or_b32 exec_lo, exec_lo, s4
	v_lshlrev_b32_e32 v70, 2, v68
	s_load_b32 s36, s[0:1], 0x94
	s_waitcnt lgkmcnt(0)
	s_barrier
	buffer_gl0_inv
	v_add_nc_u32_e32 v98, 0x4000, v70
	v_cmp_eq_u32_e32 vcc_lo, 1, v69
	v_cmp_eq_u32_e64 s4, 2, v69
	v_cmp_eq_u32_e64 s5, 3, v69
	;; [unrolled: 1-line block ×3, first 2 shown]
	ds_load_2addr_b32 v[70:71], v98 offset1:17
	ds_load_2addr_b32 v[72:73], v98 offset0:34 offset1:51
	ds_load_2addr_b32 v[74:75], v98 offset0:68 offset1:85
	;; [unrolled: 1-line block ×3, first 2 shown]
	v_cmp_eq_u32_e64 s7, 5, v69
	v_cmp_eq_u32_e64 s8, 7, v69
	s_waitcnt lgkmcnt(3)
	v_max3_f32 v76, v70, 0xff7fffff, v71
	s_waitcnt lgkmcnt(2)
	s_delay_alu instid0(VALU_DEP_1) | instskip(SKIP_1) | instid1(VALU_DEP_1)
	v_max3_f32 v76, v76, v72, v73
	s_waitcnt lgkmcnt(1)
	v_max3_f32 v76, v76, v74, v75
	s_waitcnt lgkmcnt(0)
	s_delay_alu instid0(VALU_DEP_1) | instskip(NEXT) | instid1(VALU_DEP_1)
	v_max3_f32 v76, v76, v94, v95
	v_sub_f32_e32 v77, v71, v76
	ds_load_2addr_b32 v[96:97], v98 offset0:136 offset1:153
	v_sub_f32_e32 v74, v74, v76
	v_sub_f32_e32 v70, v70, v76
	;; [unrolled: 1-line block ×3, first 2 shown]
	v_dual_sub_f32 v72, v72, v76 :: v_dual_mul_f32 v77, 0x3fb8aa3b, v77
	s_delay_alu instid0(VALU_DEP_4) | instskip(NEXT) | instid1(VALU_DEP_4)
	v_mul_f32_e32 v103, 0x3fb8aa3b, v74
	v_mul_f32_e32 v99, 0x3fb8aa3b, v70
	ds_load_2addr_b32 v[70:71], v98 offset0:170 offset1:187
	v_dual_mul_f32 v101, 0x3fb8aa3b, v72 :: v_dual_mul_f32 v94, 0x3fb8aa3b, v94
	v_exp_f32_e32 v102, v77
	v_exp_f32_e32 v99, v99
	s_delay_alu instid0(VALU_DEP_1) | instskip(NEXT) | instid1(VALU_DEP_1)
	v_exp_f32_e32 v101, v101
	v_exp_f32_e32 v94, v94
	s_waitcnt lgkmcnt(1)
	s_delay_alu instid0(TRANS32_DEP_3)
	v_fma_f32 v77, v99, v96, 0
	v_sub_f32_e32 v100, v73, v76
	ds_load_2addr_b32 v[72:73], v98 offset0:204 offset1:221
	v_fmac_f32_e32 v77, v102, v97
	v_exp_f32_e32 v97, v103
	s_waitcnt lgkmcnt(1)
	s_delay_alu instid0(VALU_DEP_1)
	v_dual_fmac_f32 v77, v101, v70 :: v_dual_sub_f32 v96, v75, v76
	ds_load_2addr_b32 v[74:75], v98 offset0:238 offset1:255
	v_sub_f32_e32 v70, v95, v76
	s_waitcnt lgkmcnt(0)
	s_barrier
	v_mul_f32_e32 v96, 0x3fb8aa3b, v96
	buffer_gl0_inv
	v_exp_f32_e32 v95, v96
	v_mul_f32_e32 v100, 0x3fb8aa3b, v100
	s_delay_alu instid0(VALU_DEP_1) | instskip(SKIP_3) | instid1(VALU_DEP_2)
	v_exp_f32_e32 v100, v100
	s_waitcnt_depctr 0xfff
	v_dual_fmac_f32 v77, v100, v71 :: v_dual_mul_f32 v70, 0x3fb8aa3b, v70
	v_cndmask_b32_e32 v71, v99, v102, vcc_lo
	v_fmac_f32_e32 v77, v97, v72
	s_delay_alu instid0(VALU_DEP_3) | instskip(NEXT) | instid1(VALU_DEP_1)
	v_exp_f32_e32 v96, v70
	v_fmac_f32_e32 v77, v95, v73
	s_delay_alu instid0(VALU_DEP_1) | instskip(SKIP_2) | instid1(VALU_DEP_1)
	v_fmac_f32_e32 v77, v94, v74
	s_waitcnt_depctr 0xfff
	v_fmac_f32_e32 v77, v96, v75
	v_add_f32_e32 v74, 0x358637bd, v77
	s_delay_alu instid0(VALU_DEP_1) | instskip(SKIP_1) | instid1(VALU_DEP_2)
	v_div_scale_f32 v98, null, v74, v74, 1.0
	v_div_scale_f32 v99, vcc_lo, 1.0, v74, 1.0
	v_rcp_f32_e32 v103, v98
	s_waitcnt_depctr 0xfff
	v_fma_f32 v70, -v98, v103, 1.0
	s_delay_alu instid0(VALU_DEP_1) | instskip(SKIP_2) | instid1(VALU_DEP_2)
	v_fmac_f32_e32 v103, v70, v103
	v_cndmask_b32_e64 v70, v71, v101, s4
	v_cmp_eq_u32_e64 s4, 6, v69
	v_cndmask_b32_e64 v71, v70, v100, s5
	s_delay_alu instid0(VALU_DEP_4) | instskip(NEXT) | instid1(VALU_DEP_2)
	v_dual_mul_f32 v101, v99, v103 :: v_dual_lshlrev_b32 v70, 2, v66
	v_cndmask_b32_e64 v71, v71, v97, s6
	s_delay_alu instid0(VALU_DEP_2) | instskip(NEXT) | instid1(VALU_DEP_3)
	v_or_b32_e32 v72, 1, v70
	v_fma_f32 v100, -v98, v101, v99
	v_cmp_eq_u32_e64 s5, 1, v70
	v_cmp_eq_u32_e64 s6, 2, v70
	v_cndmask_b32_e64 v95, v71, v95, s7
	v_or_b32_e32 v71, 3, v70
	v_fmac_f32_e32 v101, v100, v103
	v_cmp_eq_u32_e64 s10, 1, v72
	v_cmp_eq_u32_e64 s13, 2, v72
	v_cndmask_b32_e64 v94, v95, v94, s4
	v_cmp_eq_u32_e64 s12, 1, v71
	v_fma_f32 v97, -v98, v101, v99
	v_cmp_eq_u32_e64 s17, 2, v71
	v_cmp_eq_u32_e64 s15, 3, v72
	v_cndmask_b32_e64 v94, v94, v96, s8
	v_cmp_eq_u32_e64 s19, 3, v71
	v_div_fmas_f32 v95, v97, v103, v101
	v_cmp_eq_u32_e32 vcc_lo, 3, v70
	v_cmp_eq_u32_e64 s4, 4, v70
	v_cmp_eq_u32_e64 s20, 4, v72
	;; [unrolled: 1-line block ×3, first 2 shown]
	v_div_fixup_f32 v95, v95, v74, 1.0
	v_lshlrev_b32_e32 v73, 6, v68
	v_cmp_eq_u32_e64 s7, 5, v70
	v_cmp_eq_u32_e64 s21, 5, v72
	;; [unrolled: 1-line block ×3, first 2 shown]
	v_mul_f32_e32 v102, v94, v95
	v_lshl_or_b32 v75, v69, 11, v73
	v_or_b32_e32 v69, 2, v70
	v_cmp_eq_u32_e64 s26, 6, v72
	v_cmp_eq_u32_e64 s28, 6, v71
	v_fma_mixlo_f16 v94, v102, v79, 0
	v_fma_mixlo_f16 v95, v102, v81, 0
	;; [unrolled: 1-line block ×8, first 2 shown]
	v_lshl_or_b32 v74, v66, 4, v75
	v_fma_mixhi_f16 v94, v102, v78, 0
	v_fma_mixhi_f16 v95, v102, v80, 0
	;; [unrolled: 1-line block ×8, first 2 shown]
	ds_store_b128 v74, v[94:97]
	ds_store_b128 v74, v[98:101] offset:1024
	s_waitcnt lgkmcnt(0)
	s_barrier
	buffer_gl0_inv
	ds_load_b128 v[78:81], v75
	ds_load_b128 v[82:85], v75 offset:16
	ds_load_b128 v[86:89], v75 offset:1024
	;; [unrolled: 1-line block ×3, first 2 shown]
	v_cmp_eq_u32_e64 s11, 1, v69
	v_cmp_eq_u32_e64 s16, 2, v69
	;; [unrolled: 1-line block ×11, first 2 shown]
	s_waitcnt lgkmcnt(3)
	v_lshrrev_b32_e32 v94, 16, v78
	s_waitcnt lgkmcnt(2)
	v_lshrrev_b32_e32 v98, 16, v82
	s_waitcnt lgkmcnt(1)
	v_lshrrev_b32_e32 v102, 16, v86
	s_waitcnt lgkmcnt(0)
	v_lshrrev_b32_e32 v106, 16, v90
	v_lshrrev_b32_e32 v95, 16, v79
	v_cndmask_b32_e64 v110, v78, v94, s5
	v_cndmask_b32_e64 v111, v82, v98, s5
	;; [unrolled: 1-line block ×8, first 2 shown]
	v_lshrrev_b32_e32 v99, 16, v83
	v_cndmask_b32_e64 v94, v86, v102, s5
	v_cndmask_b32_e64 v98, v90, v106, s5
	v_cndmask_b32_e64 v116, v86, v102, s10
	v_cndmask_b32_e64 v117, v90, v106, s10
	v_cndmask_b32_e64 v118, v86, v102, s11
	v_cndmask_b32_e64 v119, v90, v106, s11
	v_cndmask_b32_e64 v86, v86, v102, s12
	v_cndmask_b32_e64 v90, v90, v106, s12
	v_cndmask_b32_e64 v102, v110, v79, s6
	v_cndmask_b32_e64 v106, v111, v83, s6
	v_cndmask_b32_e64 v110, v112, v79, s13
	v_cndmask_b32_e64 v111, v113, v83, s13
	v_cndmask_b32_e64 v112, v114, v79, s16
	v_cndmask_b32_e64 v78, v78, v79, s17
	v_cndmask_b32_e64 v79, v82, v83, s17
	v_lshrrev_b32_e32 v103, 16, v87
	v_lshrrev_b32_e32 v107, 16, v91
	v_cndmask_b32_e64 v113, v115, v83, s16
	v_cndmask_b32_e64 v82, v94, v87, s6
	;; [unrolled: 1-line block ×7, first 2 shown]
	v_cndmask_b32_e32 v90, v102, v95, vcc_lo
	v_cndmask_b32_e32 v102, v106, v99, vcc_lo
	v_cndmask_b32_e64 v106, v110, v95, s15
	v_cndmask_b32_e64 v110, v111, v99, s15
	;; [unrolled: 1-line block ×4, first 2 shown]
	v_lshrrev_b32_e32 v96, 16, v80
	v_lshrrev_b32_e32 v100, 16, v84
	v_cndmask_b32_e64 v111, v112, v95, s18
	v_cndmask_b32_e64 v112, v113, v99, s18
	v_cndmask_b32_e32 v82, v82, v103, vcc_lo
	v_cndmask_b32_e32 v83, v83, v107, vcc_lo
	v_cndmask_b32_e64 v94, v94, v103, s15
	v_cndmask_b32_e64 v90, v90, v80, s4
	v_cndmask_b32_e64 v95, v102, v84, s4
	v_cndmask_b32_e64 v99, v106, v80, s20
	v_cndmask_b32_e64 v102, v110, v84, s20
	v_cndmask_b32_e64 v78, v78, v80, s23
	v_cndmask_b32_e64 v79, v79, v84, s23
	v_lshrrev_b32_e32 v104, 16, v88
	v_cndmask_b32_e64 v106, v111, v80, s22
	v_cndmask_b32_e64 v110, v112, v84, s22
	;; [unrolled: 1-line block ×11, first 2 shown]
	v_lshrrev_b32_e32 v97, 16, v81
	v_lshrrev_b32_e32 v101, 16, v85
	v_cndmask_b32_e64 v99, v106, v96, s24
	v_cndmask_b32_e64 v102, v110, v100, s24
	;; [unrolled: 1-line block ×7, first 2 shown]
	v_lshrrev_b32_e32 v105, 16, v89
	v_cndmask_b32_e64 v80, v80, v104, s7
	v_cndmask_b32_e64 v84, v84, v81, s8
	;; [unrolled: 1-line block ×16, first 2 shown]
	v_perm_b32 v81, v79, v78, 0x5040100
	v_perm_b32 v79, v95, v85, 0x5040100
	v_cndmask_b32_e64 v78, v119, v91, s16
	v_cndmask_b32_e64 v85, v117, v91, s13
	;; [unrolled: 1-line block ×3, first 2 shown]
	v_perm_b32 v80, v94, v90, 0x5040100
	v_cndmask_b32_e64 v90, v98, v103, s18
	v_cndmask_b32_e64 v86, v86, v103, s19
	;; [unrolled: 1-line block ×5, first 2 shown]
	v_lshrrev_b32_e32 v108, 16, v92
	v_cndmask_b32_e64 v90, v90, v88, s22
	v_cndmask_b32_e64 v86, v86, v88, s23
	;; [unrolled: 1-line block ×11, first 2 shown]
	v_lshrrev_b32_e32 v109, 16, v93
	v_cndmask_b32_e64 v82, v82, v93, s8
	v_cndmask_b32_e64 v88, v88, v89, s27
	;; [unrolled: 1-line block ×12, first 2 shown]
	v_perm_b32 v78, v84, v83, 0x5040100
	v_perm_b32 v85, v87, v86, 0x5040100
	;; [unrolled: 1-line block ×5, first 2 shown]
	s_mul_i32 s9, s35, 9
	s_mov_b32 s4, exec_lo
	ds_store_b128 v74, v[78:81]
	ds_store_b128 v74, v[82:85] offset:1024
	v_cmpx_gt_u32_e32 9, v0
	s_cbranch_execz .LBB818_14
; %bb.13:
	s_mul_i32 s5, s9, s34
	s_load_b128 s[16:19], s[0:1], 0x58
	v_add3_u32 v68, s5, s33, v68
	s_delay_alu instid0(VALU_DEP_1) | instskip(NEXT) | instid1(VALU_DEP_1)
	v_mad_u64_u32 v[78:79], null, v68, s36, s[14:15]
	v_ashrrev_i32_e32 v79, 31, v78
	s_delay_alu instid0(VALU_DEP_1) | instskip(SKIP_1) | instid1(VALU_DEP_1)
	v_lshlrev_b64 v[78:79], 2, v[78:79]
	s_waitcnt lgkmcnt(0)
	v_add_co_u32 v80, vcc_lo, s18, v78
	s_delay_alu instid0(VALU_DEP_2)
	v_add_co_ci_u32_e32 v81, vcc_lo, s19, v79, vcc_lo
	v_add_co_u32 v78, vcc_lo, s16, v78
	v_add_co_ci_u32_e32 v79, vcc_lo, s17, v79, vcc_lo
	global_store_b32 v[80:81], v76, off
	global_store_b32 v[78:79], v77, off
.LBB818_14:
	s_or_b32 exec_lo, exec_lo, s4
	s_waitcnt lgkmcnt(0)
	s_waitcnt_vscnt null, 0x0
	s_barrier
	buffer_gl0_inv
	ds_load_b128 v[84:87], v73
	ds_load_b128 v[88:91], v73 offset:16
	ds_load_b128 v[96:99], v73 offset:2064
	;; [unrolled: 1-line block ×5, first 2 shown]
	v_cmp_eq_u32_e32 vcc_lo, 1, v70
	v_mov_b32_e32 v76, 0
	ds_load_b128 v[112:115], v73 offset:6160
	ds_load_b128 v[108:111], v73 offset:6144
	;; [unrolled: 1-line block ×4, first 2 shown]
	v_cmp_eq_u32_e64 s5, 1, v69
	v_cmp_eq_u32_e64 s4, 1, v72
	;; [unrolled: 1-line block ×3, first 2 shown]
	v_mov_b32_e32 v77, v76
	v_mov_b32_e32 v78, v76
	;; [unrolled: 1-line block ×7, first 2 shown]
	v_cmp_eq_u32_e64 s7, 3, v72
	v_cmp_eq_u32_e64 s8, 7, v72
	s_waitcnt lgkmcnt(8)
	s_delay_alu instid0(VALU_DEP_3)
	v_wmma_f32_16x16x16_f16 v[76:83], v[49:56], v[84:91], v[76:83]
	ds_load_b128 v[53:56], v73 offset:10256
	ds_load_b128 v[49:52], v73 offset:10240
	s_waitcnt lgkmcnt(8)
	v_wmma_f32_16x16x16_f16 v[76:83], v[41:48], v[92:99], v[76:83]
	ds_load_b128 v[45:48], v73 offset:12304
	ds_load_b128 v[41:44], v73 offset:12288
	s_waitcnt lgkmcnt(8)
	v_wmma_f32_16x16x16_f16 v[76:83], v[33:40], v[100:107], v[76:83]
	ds_load_b128 v[37:40], v73 offset:14352
	ds_load_b128 v[33:36], v73 offset:14336
	s_waitcnt lgkmcnt(0)
	s_barrier
	buffer_gl0_inv
	v_wmma_f32_16x16x16_f16 v[76:83], v[1:8], v[108:115], v[76:83]
	s_delay_alu instid0(VALU_DEP_1) | instskip(NEXT) | instid1(VALU_DEP_1)
	v_wmma_f32_16x16x16_f16 v[76:83], v[9:16], v[116:123], v[76:83]
	v_wmma_f32_16x16x16_f16 v[76:83], v[17:24], v[49:56], v[76:83]
	s_delay_alu instid0(VALU_DEP_1) | instskip(NEXT) | instid1(VALU_DEP_1)
	v_wmma_f32_16x16x16_f16 v[76:83], v[25:32], v[41:48], v[76:83]
	v_wmma_f32_16x16x16_f16 v[76:83], v[57:64], v[33:40], v[76:83]
	s_delay_alu instid0(VALU_DEP_1) | instskip(NEXT) | instid1(VALU_DEP_2)
	v_cvt_f16_f32_e32 v1, v76
	v_cvt_f16_f32_e32 v2, v77
	s_delay_alu instid0(VALU_DEP_3) | instskip(NEXT) | instid1(VALU_DEP_4)
	v_cvt_f16_f32_e32 v3, v78
	v_cvt_f16_f32_e32 v4, v79
	;; [unrolled: 1-line block ×6, first 2 shown]
	v_pack_b32_f16 v1, v1, v2
	v_pack_b32_f16 v2, v3, v4
	;; [unrolled: 1-line block ×3, first 2 shown]
	s_delay_alu instid0(VALU_DEP_4)
	v_pack_b32_f16 v4, v7, v8
	ds_store_b128 v74, v[1:4]
	s_waitcnt lgkmcnt(0)
	s_barrier
	buffer_gl0_inv
	ds_load_b128 v[1:4], v75
	ds_load_b128 v[5:8], v75 offset:16
	s_waitcnt lgkmcnt(1)
	v_lshrrev_b32_e32 v9, 16, v1
	s_waitcnt lgkmcnt(0)
	v_lshrrev_b32_e32 v13, 16, v5
	v_lshrrev_b32_e32 v10, 16, v2
	;; [unrolled: 1-line block ×4, first 2 shown]
	v_cndmask_b32_e32 v17, v1, v9, vcc_lo
	v_cndmask_b32_e32 v18, v5, v13, vcc_lo
	v_cndmask_b32_e64 v21, v1, v9, s5
	v_cmp_eq_u32_e32 vcc_lo, 1, v71
	v_cndmask_b32_e64 v22, v5, v13, s5
	v_cmp_eq_u32_e64 s5, 2, v70
	v_cndmask_b32_e64 v19, v1, v9, s4
	v_cndmask_b32_e64 v20, v5, v13, s4
	v_cndmask_b32_e32 v1, v1, v9, vcc_lo
	v_cmp_eq_u32_e64 s4, 2, v71
	v_cndmask_b32_e32 v5, v5, v13, vcc_lo
	v_cndmask_b32_e64 v9, v17, v2, s5
	v_cmp_eq_u32_e32 vcc_lo, 3, v70
	v_cndmask_b32_e64 v13, v18, v6, s5
	v_cmp_eq_u32_e64 s5, 2, v69
	v_cndmask_b32_e64 v17, v19, v2, s6
	v_cndmask_b32_e64 v18, v20, v6, s6
	v_cmp_eq_u32_e64 s6, 3, v69
	v_cndmask_b32_e64 v1, v1, v2, s4
	v_cndmask_b32_e64 v19, v21, v2, s5
	;; [unrolled: 1-line block ×4, first 2 shown]
	v_cndmask_b32_e32 v5, v9, v10, vcc_lo
	v_cndmask_b32_e32 v6, v13, v14, vcc_lo
	v_cmp_eq_u32_e32 vcc_lo, 3, v71
	v_cndmask_b32_e64 v9, v17, v10, s7
	v_cndmask_b32_e64 v13, v18, v14, s7
	;; [unrolled: 1-line block ×3, first 2 shown]
	v_cmp_eq_u32_e64 s5, 4, v70
	v_cndmask_b32_e32 v1, v1, v10, vcc_lo
	v_cndmask_b32_e32 v2, v2, v14, vcc_lo
	v_cmp_eq_u32_e32 vcc_lo, 4, v72
	v_lshrrev_b32_e32 v15, 16, v7
	v_lshrrev_b32_e32 v16, 16, v8
	v_cndmask_b32_e64 v17, v19, v10, s6
	v_cmp_eq_u32_e64 s4, 4, v71
	v_cndmask_b32_e64 v5, v5, v3, s5
	v_cndmask_b32_e64 v6, v6, v7, s5
	v_cndmask_b32_e32 v9, v9, v3, vcc_lo
	v_cmp_eq_u32_e64 s5, 5, v72
	v_cndmask_b32_e32 v10, v13, v7, vcc_lo
	v_cmp_eq_u32_e32 vcc_lo, 4, v69
	v_cmp_eq_u32_e64 s6, 5, v70
	v_cndmask_b32_e64 v2, v2, v7, s4
	v_cndmask_b32_e64 v9, v9, v11, s5
	;; [unrolled: 1-line block ×3, first 2 shown]
	v_cndmask_b32_e32 v13, v17, v3, vcc_lo
	v_cmp_eq_u32_e64 s5, 5, v69
	v_cndmask_b32_e32 v14, v18, v7, vcc_lo
	v_cndmask_b32_e64 v1, v1, v3, s4
	v_cmp_eq_u32_e32 vcc_lo, 5, v71
	v_lshrrev_b32_e32 v12, 16, v4
	v_cndmask_b32_e64 v13, v13, v11, s5
	v_cndmask_b32_e64 v3, v14, v15, s5
	v_cmp_eq_u32_e64 s5, 6, v71
	v_cndmask_b32_e32 v1, v1, v11, vcc_lo
	v_cndmask_b32_e64 v5, v5, v11, s6
	v_cmp_eq_u32_e64 s7, 6, v70
	v_cndmask_b32_e64 v6, v6, v15, s6
	v_cmp_eq_u32_e64 s6, 6, v72
	v_cmp_eq_u32_e64 s4, 6, v69
	v_cndmask_b32_e64 v1, v1, v4, s5
	v_cndmask_b32_e32 v2, v2, v15, vcc_lo
	v_cmp_eq_u32_e32 vcc_lo, 7, v71
	v_cndmask_b32_e64 v5, v5, v4, s7
	v_cndmask_b32_e64 v9, v9, v4, s6
	;; [unrolled: 1-line block ×3, first 2 shown]
	v_cmp_eq_u32_e64 s7, 7, v70
	v_cndmask_b32_e32 v1, v1, v12, vcc_lo
	v_cndmask_b32_e64 v7, v13, v4, s4
	v_cndmask_b32_e64 v3, v3, v8, s4
	;; [unrolled: 1-line block ×3, first 2 shown]
	v_cmp_eq_u32_e64 s4, 7, v69
	v_cndmask_b32_e64 v4, v10, v8, s6
	v_cndmask_b32_e64 v5, v5, v12, s7
	;; [unrolled: 1-line block ×3, first 2 shown]
	v_cndmask_b32_e32 v2, v2, v16, vcc_lo
	v_cndmask_b32_e64 v7, v7, v12, s4
	v_cndmask_b32_e64 v3, v3, v16, s4
	;; [unrolled: 1-line block ×4, first 2 shown]
	v_cmp_gt_u32_e32 vcc_lo, 32, v0
	v_perm_b32 v4, v2, v1, 0x5040100
	v_perm_b32 v3, v3, v7, 0x5040100
	;; [unrolled: 1-line block ×4, first 2 shown]
	s_and_b32 s2, vcc_lo, s2
	ds_store_b128 v74, v[1:4]
	s_waitcnt lgkmcnt(0)
	s_barrier
	buffer_gl0_inv
	s_and_saveexec_b32 s4, s2
	s_cbranch_execz .LBB818_2
; %bb.15:
	s_load_b64 s[4:5], s[0:1], 0x68
	v_lshlrev_b32_e32 v0, 10, v0
	v_lshlrev_b32_e32 v1, 4, v67
	s_lshl_b32 s0, s36, 6
	v_add_nc_u32_e32 v2, s33, v66
	s_mul_i32 s1, s0, s34
	s_delay_alu instid0(SALU_CYCLE_1) | instskip(SKIP_1) | instid1(VALU_DEP_2)
	s_mul_i32 s6, s1, s9
	v_and_or_b32 v0, 0x3800, v0, v1
	v_mul_lo_u32 v1, v2, s0
	s_ashr_i32 s7, s6, 31
	v_add_nc_u32_e32 v3, 2, v2
	s_lshl_b64 s[6:7], s[6:7], 1
	v_add_nc_u32_e32 v4, 4, v2
	v_add_nc_u32_e32 v5, 6, v2
	v_lshl_or_b32 v15, v66, 6, v0
	v_mul_lo_u32 v3, v3, s0
	v_ashrrev_i32_e32 v2, 31, v1
	v_mul_lo_u32 v19, v4, s0
	v_mul_lo_u32 v21, v5, s0
	s_waitcnt lgkmcnt(0)
	s_add_u32 s1, s4, s6
	s_addc_u32 s2, s5, s7
	s_lshl_b32 s4, s14, 6
	v_lshlrev_b64 v[5:6], 1, v[1:2]
	s_ashr_i32 s5, s4, 31
	v_ashrrev_i32_e32 v4, 31, v3
	s_lshl_b64 s[4:5], s[4:5], 1
	v_ashrrev_i32_e32 v20, 31, v19
	s_add_u32 s1, s1, s4
	s_addc_u32 s2, s2, s5
	v_add_co_u32 v1, s1, s1, v65
	s_delay_alu instid0(VALU_DEP_1) | instskip(SKIP_1) | instid1(VALU_DEP_3)
	v_add_co_ci_u32_e64 v2, null, s2, 0, s1
	v_lshlrev_b64 v[25:26], 1, v[3:4]
	v_add_co_u32 v23, vcc_lo, v1, v5
	s_delay_alu instid0(VALU_DEP_3)
	v_add_co_ci_u32_e32 v24, vcc_lo, v2, v6, vcc_lo
	ds_load_b128 v[3:6], v15
	ds_load_b128 v[7:10], v15 offset:128
	ds_load_b128 v[11:14], v15 offset:256
	;; [unrolled: 1-line block ×3, first 2 shown]
	v_ashrrev_i32_e32 v22, 31, v21
	v_lshlrev_b64 v[19:20], 1, v[19:20]
	v_add_co_u32 v25, vcc_lo, v1, v25
	v_add_co_ci_u32_e32 v26, vcc_lo, v2, v26, vcc_lo
	s_delay_alu instid0(VALU_DEP_4) | instskip(NEXT) | instid1(VALU_DEP_4)
	v_lshlrev_b64 v[21:22], 1, v[21:22]
	v_add_co_u32 v19, vcc_lo, v1, v19
	v_add_co_ci_u32_e32 v20, vcc_lo, v2, v20, vcc_lo
	s_delay_alu instid0(VALU_DEP_3) | instskip(NEXT) | instid1(VALU_DEP_4)
	v_add_co_u32 v21, vcc_lo, v1, v21
	v_add_co_ci_u32_e32 v22, vcc_lo, v2, v22, vcc_lo
	s_waitcnt lgkmcnt(3)
	global_store_b128 v[23:24], v[3:6], off
	s_waitcnt lgkmcnt(2)
	global_store_b128 v[25:26], v[7:10], off
	;; [unrolled: 2-line block ×4, first 2 shown]
	s_and_b32 exec_lo, exec_lo, s3
	s_cbranch_execz .LBB818_2
; %bb.16:
	ds_load_b128 v[3:6], v0 offset:512
	s_add_i32 s1, s33, 8
	s_delay_alu instid0(SALU_CYCLE_1) | instskip(NEXT) | instid1(SALU_CYCLE_1)
	s_mul_i32 s0, s1, s0
	s_ashr_i32 s1, s0, 31
	s_delay_alu instid0(SALU_CYCLE_1) | instskip(NEXT) | instid1(SALU_CYCLE_1)
	s_lshl_b64 s[0:1], s[0:1], 1
	v_add_co_u32 v0, vcc_lo, v1, s0
	v_add_co_ci_u32_e32 v1, vcc_lo, s1, v2, vcc_lo
	s_waitcnt lgkmcnt(0)
	global_store_b128 v[0:1], v[3:6], off
	s_nop 0
	s_sendmsg sendmsg(MSG_DEALLOC_VGPRS)
	s_endpgm
	.section	.rodata,"a",@progbits
	.p2align	6, 0x0
	.amdhsa_kernel _Z39paged_attention_ll4mi_QKV_mfma16_kernelIDF16_hLN4vllm18Fp8KVCacheDataTypeE1EDF16_Li16ELi64ELi256ELb1ELi9EL8MFMAType1EEvPKT_PKT0_S8_ifPKiSA_SA_iPKfiiiPfSD_PS3_PT2_iSC_SC_
		.amdhsa_group_segment_fixed_size 17472
		.amdhsa_private_segment_fixed_size 0
		.amdhsa_kernarg_size 400
		.amdhsa_user_sgpr_count 13
		.amdhsa_user_sgpr_dispatch_ptr 0
		.amdhsa_user_sgpr_queue_ptr 0
		.amdhsa_user_sgpr_kernarg_segment_ptr 1
		.amdhsa_user_sgpr_dispatch_id 0
		.amdhsa_user_sgpr_private_segment_size 0
		.amdhsa_wavefront_size32 1
		.amdhsa_uses_dynamic_stack 0
		.amdhsa_enable_private_segment 0
		.amdhsa_system_sgpr_workgroup_id_x 1
		.amdhsa_system_sgpr_workgroup_id_y 1
		.amdhsa_system_sgpr_workgroup_id_z 1
		.amdhsa_system_sgpr_workgroup_info 0
		.amdhsa_system_vgpr_workitem_id 0
		.amdhsa_next_free_vgpr 146
		.amdhsa_next_free_sgpr 37
		.amdhsa_reserve_vcc 1
		.amdhsa_float_round_mode_32 0
		.amdhsa_float_round_mode_16_64 0
		.amdhsa_float_denorm_mode_32 3
		.amdhsa_float_denorm_mode_16_64 3
		.amdhsa_dx10_clamp 1
		.amdhsa_ieee_mode 1
		.amdhsa_fp16_overflow 0
		.amdhsa_workgroup_processor_mode 1
		.amdhsa_memory_ordered 1
		.amdhsa_forward_progress 0
		.amdhsa_shared_vgpr_count 0
		.amdhsa_exception_fp_ieee_invalid_op 0
		.amdhsa_exception_fp_denorm_src 0
		.amdhsa_exception_fp_ieee_div_zero 0
		.amdhsa_exception_fp_ieee_overflow 0
		.amdhsa_exception_fp_ieee_underflow 0
		.amdhsa_exception_fp_ieee_inexact 0
		.amdhsa_exception_int_div_zero 0
	.end_amdhsa_kernel
	.section	.text._Z39paged_attention_ll4mi_QKV_mfma16_kernelIDF16_hLN4vllm18Fp8KVCacheDataTypeE1EDF16_Li16ELi64ELi256ELb1ELi9EL8MFMAType1EEvPKT_PKT0_S8_ifPKiSA_SA_iPKfiiiPfSD_PS3_PT2_iSC_SC_,"axG",@progbits,_Z39paged_attention_ll4mi_QKV_mfma16_kernelIDF16_hLN4vllm18Fp8KVCacheDataTypeE1EDF16_Li16ELi64ELi256ELb1ELi9EL8MFMAType1EEvPKT_PKT0_S8_ifPKiSA_SA_iPKfiiiPfSD_PS3_PT2_iSC_SC_,comdat
.Lfunc_end818:
	.size	_Z39paged_attention_ll4mi_QKV_mfma16_kernelIDF16_hLN4vllm18Fp8KVCacheDataTypeE1EDF16_Li16ELi64ELi256ELb1ELi9EL8MFMAType1EEvPKT_PKT0_S8_ifPKiSA_SA_iPKfiiiPfSD_PS3_PT2_iSC_SC_, .Lfunc_end818-_Z39paged_attention_ll4mi_QKV_mfma16_kernelIDF16_hLN4vllm18Fp8KVCacheDataTypeE1EDF16_Li16ELi64ELi256ELb1ELi9EL8MFMAType1EEvPKT_PKT0_S8_ifPKiSA_SA_iPKfiiiPfSD_PS3_PT2_iSC_SC_
                                        ; -- End function
	.section	.AMDGPU.csdata,"",@progbits
; Kernel info:
; codeLenInByte = 6576
; NumSgprs: 39
; NumVgprs: 146
; ScratchSize: 0
; MemoryBound: 0
; FloatMode: 240
; IeeeMode: 1
; LDSByteSize: 17472 bytes/workgroup (compile time only)
; SGPRBlocks: 4
; VGPRBlocks: 18
; NumSGPRsForWavesPerEU: 39
; NumVGPRsForWavesPerEU: 146
; Occupancy: 9
; WaveLimiterHint : 1
; COMPUTE_PGM_RSRC2:SCRATCH_EN: 0
; COMPUTE_PGM_RSRC2:USER_SGPR: 13
; COMPUTE_PGM_RSRC2:TRAP_HANDLER: 0
; COMPUTE_PGM_RSRC2:TGID_X_EN: 1
; COMPUTE_PGM_RSRC2:TGID_Y_EN: 1
; COMPUTE_PGM_RSRC2:TGID_Z_EN: 1
; COMPUTE_PGM_RSRC2:TIDIG_COMP_CNT: 0
	.section	.text._Z39paged_attention_ll4mi_QKV_mfma16_kernelIDF16_hLN4vllm18Fp8KVCacheDataTypeE1EDF16_Li16ELi64ELi256ELb1ELi10EL8MFMAType1EEvPKT_PKT0_S8_ifPKiSA_SA_iPKfiiiPfSD_PS3_PT2_iSC_SC_,"axG",@progbits,_Z39paged_attention_ll4mi_QKV_mfma16_kernelIDF16_hLN4vllm18Fp8KVCacheDataTypeE1EDF16_Li16ELi64ELi256ELb1ELi10EL8MFMAType1EEvPKT_PKT0_S8_ifPKiSA_SA_iPKfiiiPfSD_PS3_PT2_iSC_SC_,comdat
	.protected	_Z39paged_attention_ll4mi_QKV_mfma16_kernelIDF16_hLN4vllm18Fp8KVCacheDataTypeE1EDF16_Li16ELi64ELi256ELb1ELi10EL8MFMAType1EEvPKT_PKT0_S8_ifPKiSA_SA_iPKfiiiPfSD_PS3_PT2_iSC_SC_ ; -- Begin function _Z39paged_attention_ll4mi_QKV_mfma16_kernelIDF16_hLN4vllm18Fp8KVCacheDataTypeE1EDF16_Li16ELi64ELi256ELb1ELi10EL8MFMAType1EEvPKT_PKT0_S8_ifPKiSA_SA_iPKfiiiPfSD_PS3_PT2_iSC_SC_
	.globl	_Z39paged_attention_ll4mi_QKV_mfma16_kernelIDF16_hLN4vllm18Fp8KVCacheDataTypeE1EDF16_Li16ELi64ELi256ELb1ELi10EL8MFMAType1EEvPKT_PKT0_S8_ifPKiSA_SA_iPKfiiiPfSD_PS3_PT2_iSC_SC_
	.p2align	8
	.type	_Z39paged_attention_ll4mi_QKV_mfma16_kernelIDF16_hLN4vllm18Fp8KVCacheDataTypeE1EDF16_Li16ELi64ELi256ELb1ELi10EL8MFMAType1EEvPKT_PKT0_S8_ifPKiSA_SA_iPKfiiiPfSD_PS3_PT2_iSC_SC_,@function
_Z39paged_attention_ll4mi_QKV_mfma16_kernelIDF16_hLN4vllm18Fp8KVCacheDataTypeE1EDF16_Li16ELi64ELi256ELb1ELi10EL8MFMAType1EEvPKT_PKT0_S8_ifPKiSA_SA_iPKfiiiPfSD_PS3_PT2_iSC_SC_: ; @_Z39paged_attention_ll4mi_QKV_mfma16_kernelIDF16_hLN4vllm18Fp8KVCacheDataTypeE1EDF16_Li16ELi64ELi256ELb1ELi10EL8MFMAType1EEvPKT_PKT0_S8_ifPKiSA_SA_iPKfiiiPfSD_PS3_PT2_iSC_SC_
; %bb.0:
	s_load_b64 s[2:3], s[0:1], 0x30
	s_mov_b32 s34, s13
	s_waitcnt lgkmcnt(0)
	s_cmp_lg_u64 s[2:3], 0
	s_cselect_b32 s6, -1, 0
	s_ashr_i32 s35, s13, 31
	s_cmp_eq_u64 s[2:3], 0
	s_cbranch_scc1 .LBB819_3
; %bb.1:
	s_lshl_b64 s[4:5], s[34:35], 2
	s_delay_alu instid0(SALU_CYCLE_1) | instskip(SKIP_4) | instid1(SALU_CYCLE_1)
	s_add_u32 s4, s2, s4
	s_addc_u32 s5, s3, s5
	s_load_b64 s[4:5], s[4:5], 0x0
	s_waitcnt lgkmcnt(0)
	s_sub_i32 s4, s5, s4
	s_cmp_eq_u32 s4, 1
	s_cselect_b32 s4, -1, 0
	s_delay_alu instid0(SALU_CYCLE_1)
	s_and_not1_b32 vcc_lo, exec_lo, s4
	s_cbranch_vccz .LBB819_4
.LBB819_2:
	s_endpgm
.LBB819_3:
.LBB819_4:
	s_load_b64 s[8:9], s[0:1], 0x28
	s_lshl_b64 s[4:5], s[34:35], 2
	s_waitcnt lgkmcnt(0)
	s_add_u32 s8, s8, s4
	s_addc_u32 s9, s9, s5
	s_lshl_b32 s16, s14, 8
	s_load_b32 s18, s[8:9], 0x0
	s_waitcnt lgkmcnt(0)
	s_cmp_ge_i32 s16, s18
	s_cbranch_scc1 .LBB819_2
; %bb.5:
	s_clause 0x1
	s_load_b128 s[8:11], s[0:1], 0x8
	s_load_b64 s[12:13], s[0:1], 0x20
	s_and_not1_b32 vcc_lo, exec_lo, s6
	s_cbranch_vccnz .LBB819_7
; %bb.6:
	s_add_u32 s2, s2, s4
	s_addc_u32 s3, s3, s5
	s_load_b32 s3, s[2:3], 0x0
	s_branch .LBB819_8
.LBB819_7:
	s_mov_b32 s3, s34
.LBB819_8:
	s_load_b128 s[4:7], s[0:1], 0x48
	v_and_b32_e32 v68, 15, v0
	v_cmp_gt_u32_e32 vcc_lo, 0xa0, v0
	v_lshrrev_b32_e32 v69, 5, v0
	v_and_b32_e32 v70, 31, v0
	v_and_b32_e32 v67, 1, v0
	v_lshlrev_b32_e32 v1, 3, v68
	v_cmp_gt_u32_e64 s2, 8, v68
	v_bfe_u32 v66, v0, 4, 1
	s_mul_i32 s31, s15, 10
	s_delay_alu instid0(VALU_DEP_3) | instskip(NEXT) | instid1(VALU_DEP_3)
	v_lshlrev_b32_e32 v65, 1, v1
	s_and_b32 s17, vcc_lo, s2
	s_waitcnt lgkmcnt(0)
	s_and_saveexec_b32 s7, s17
	s_cbranch_execz .LBB819_10
; %bb.9:
	s_load_b64 s[20:21], s[0:1], 0x0
	v_lshl_or_b32 v5, v69, 1, v66
	s_mul_hi_i32 s23, s3, s4
	s_mul_i32 s22, s3, s4
	v_lshlrev_b32_e32 v6, 10, v68
	s_lshl_b64 s[22:23], s[22:23], 1
	v_add_lshl_u32 v1, v5, s31, 6
	v_lshlrev_b32_e32 v5, 6, v5
	v_lshlrev_b32_e32 v7, 10, v67
	v_and_b32_e32 v6, 0x3800, v6
	s_delay_alu instid0(VALU_DEP_4) | instskip(NEXT) | instid1(VALU_DEP_2)
	v_ashrrev_i32_e32 v2, 31, v1
	v_or3_b32 v5, v6, v7, v5
	s_delay_alu instid0(VALU_DEP_2) | instskip(SKIP_3) | instid1(VALU_DEP_1)
	v_lshlrev_b64 v[1:2], 1, v[1:2]
	s_waitcnt lgkmcnt(0)
	s_add_u32 s3, s20, s22
	s_addc_u32 s4, s21, s23
	v_add_co_u32 v1, vcc_lo, s3, v1
	s_delay_alu instid0(VALU_DEP_2) | instskip(NEXT) | instid1(VALU_DEP_2)
	v_add_co_ci_u32_e32 v2, vcc_lo, s4, v2, vcc_lo
	v_add_co_u32 v1, vcc_lo, v1, v65
	s_delay_alu instid0(VALU_DEP_2)
	v_add_co_ci_u32_e32 v2, vcc_lo, 0, v2, vcc_lo
	global_load_b128 v[1:4], v[1:2], off
	s_waitcnt vmcnt(0)
	ds_store_b128 v5, v[1:4]
.LBB819_10:
	s_or_b32 exec_lo, exec_lo, s7
	v_and_b32_e32 v1, 0xef, v0
	s_add_i32 s3, s18, 15
	s_clause 0x1
	s_load_b32 s4, s[0:1], 0x38
	s_load_b32 s33, s[0:1], 0x98
	s_ashr_i32 s7, s3, 31
	v_add_nc_u32_e32 v1, s16, v1
	s_lshr_b32 s7, s7, 28
	s_load_b32 s19, s[0:1], 0x1c
	v_add_nc_u32_e32 v103, -10, v68
	s_add_i32 s3, s3, s7
	v_ashrrev_i32_e32 v2, 31, v1
	v_or_b32_e32 v3, 16, v1
	s_ashr_i32 s3, s3, 4
	v_cmp_gt_i32_e32 vcc_lo, s18, v1
	s_add_i32 s3, s3, -1
	v_lshrrev_b32_e32 v2, 28, v2
	s_waitcnt lgkmcnt(0)
	s_barrier
	buffer_gl0_inv
	s_mul_i32 s15, s15, s6
	v_add_nc_u32_e32 v4, v1, v2
	v_mbcnt_lo_u32_b32 v127, -1, 0
	s_mul_i32 s20, s34, s4
	s_delay_alu instid0(SALU_CYCLE_1) | instskip(NEXT) | instid1(VALU_DEP_2)
	s_ashr_i32 s21, s20, 31
	v_ashrrev_i32_e32 v4, 4, v4
	v_add_nc_u32_e32 v2, v3, v2
	s_lshl_b64 s[20:21], s[20:21], 2
	v_xor_b32_e32 v128, 16, v127
	s_add_u32 s17, s12, s20
	v_cndmask_b32_e32 v1, s3, v4, vcc_lo
	v_ashrrev_i32_e32 v2, 4, v2
	v_cmp_gt_i32_e32 vcc_lo, s18, v3
	s_addc_u32 s13, s13, s21
	s_ashr_i32 s20, s15, 31
	s_add_u32 s4, s8, s15
	s_addc_u32 s12, s9, s20
	v_cndmask_b32_e32 v3, s3, v2, vcc_lo
	v_ashrrev_i32_e32 v2, 31, v1
	s_lshl_b32 s6, s14, 4
	s_delay_alu instid0(SALU_CYCLE_1) | instskip(NEXT) | instid1(VALU_DEP_2)
	s_ashr_i32 s7, s6, 31
	v_ashrrev_i32_e32 v4, 31, v3
	s_delay_alu instid0(VALU_DEP_2) | instskip(SKIP_1) | instid1(SALU_CYCLE_1)
	v_lshlrev_b64 v[1:2], 2, v[1:2]
	s_lshl_b64 s[6:7], s[6:7], 2
	s_add_u32 s6, s17, s6
	s_delay_alu instid0(VALU_DEP_2) | instskip(SKIP_1) | instid1(VALU_DEP_2)
	v_lshlrev_b64 v[3:4], 2, v[3:4]
	s_addc_u32 s7, s13, s7
	v_add_co_u32 v1, vcc_lo, s17, v1
	v_add_co_ci_u32_e32 v2, vcc_lo, s13, v2, vcc_lo
	s_delay_alu instid0(VALU_DEP_3) | instskip(NEXT) | instid1(VALU_DEP_4)
	v_add_co_u32 v3, vcc_lo, s17, v3
	v_add_co_ci_u32_e32 v4, vcc_lo, s13, v4, vcc_lo
	s_clause 0x1
	global_load_b32 v5, v[1:2], off
	global_load_b32 v7, v[3:4], off
	s_or_b32 s8, s16, 32
	v_lshlrev_b32_e32 v1, 4, v0
	s_ashr_i32 s9, s8, 4
	s_cmp_lt_i32 s8, s18
	v_cmp_gt_u32_e32 vcc_lo, 10, v68
	s_cselect_b32 s8, s9, s3
	v_and_b32_e32 v1, 0xf0, v1
	s_ashr_i32 s9, s8, 31
	s_delay_alu instid0(SALU_CYCLE_1)
	s_lshl_b64 s[8:9], s[8:9], 2
	v_cndmask_b32_e32 v103, v103, v68, vcc_lo
	s_add_u32 s8, s17, s8
	s_addc_u32 s9, s13, s9
	s_or_b32 s21, s16, 64
	v_add_co_u32 v1, s4, s4, v1
	s_ashr_i32 s22, s21, 4
	s_cmp_lt_i32 s21, s18
	v_add_co_ci_u32_e64 v2, null, s12, 0, s4
	s_cselect_b32 s22, s22, s3
	v_cmp_gt_i32_e32 vcc_lo, 32, v128
	s_ashr_i32 s23, s22, 31
	v_lshlrev_b32_e32 v115, 6, v103
	s_lshl_b64 s[22:23], s[22:23], 2
	v_cndmask_b32_e32 v136, v127, v128, vcc_lo
	s_add_u32 s22, s17, s22
	s_addc_u32 s23, s13, s23
	s_or_b32 s21, s16, 0x60
	s_delay_alu instid0(SALU_CYCLE_1) | instskip(SKIP_2) | instid1(SALU_CYCLE_1)
	s_ashr_i32 s24, s21, 4
	s_cmp_lt_i32 s21, s18
	s_cselect_b32 s24, s24, s3
	s_ashr_i32 s25, s24, 31
	s_delay_alu instid0(SALU_CYCLE_1) | instskip(NEXT) | instid1(SALU_CYCLE_1)
	s_lshl_b64 s[24:25], s[24:25], 2
	s_add_u32 s24, s17, s24
	s_addc_u32 s25, s13, s25
	s_or_b32 s21, s16, 0x80
	s_delay_alu instid0(SALU_CYCLE_1) | instskip(SKIP_2) | instid1(SALU_CYCLE_1)
	s_ashr_i32 s26, s21, 4
	s_cmp_lt_i32 s21, s18
	s_cselect_b32 s26, s26, s3
	s_ashr_i32 s27, s26, 31
	s_delay_alu instid0(SALU_CYCLE_1) | instskip(NEXT) | instid1(SALU_CYCLE_1)
	s_lshl_b64 s[26:27], s[26:27], 2
	;; [unrolled: 10-line block ×3, first 2 shown]
	s_add_u32 s28, s17, s28
	s_addc_u32 s29, s13, s29
	s_clause 0x5
	s_load_b32 s12, s[6:7], 0x0
	s_load_b32 s4, s[8:9], 0x0
	s_load_b32 s6, s[22:23], 0x0
	s_load_b32 s7, s[24:25], 0x0
	s_load_b32 s8, s[26:27], 0x0
	s_load_b32 s9, s[28:29], 0x0
	s_or_b32 s21, s16, 0xc0
	s_delay_alu instid0(SALU_CYCLE_1) | instskip(SKIP_2) | instid1(SALU_CYCLE_1)
	s_ashr_i32 s22, s21, 4
	s_cmp_lt_i32 s21, s18
	s_cselect_b32 s22, s22, s3
	s_ashr_i32 s23, s22, 31
	s_delay_alu instid0(SALU_CYCLE_1) | instskip(NEXT) | instid1(SALU_CYCLE_1)
	s_lshl_b64 s[22:23], s[22:23], 2
	s_add_u32 s22, s17, s22
	s_addc_u32 s23, s13, s23
	s_or_b32 s21, s16, 0xe0
	s_delay_alu instid0(SALU_CYCLE_1) | instskip(SKIP_2) | instid1(SALU_CYCLE_1)
	s_ashr_i32 s24, s21, 4
	s_cmp_lt_i32 s21, s18
	s_cselect_b32 s24, s24, s3
	s_ashr_i32 s25, s24, 31
	s_delay_alu instid0(SALU_CYCLE_1)
	s_lshl_b64 s[24:25], s[24:25], 2
	s_waitcnt vmcnt(1)
	v_mad_i64_i32 v[3:4], null, v5, s5, v[1:2]
	s_waitcnt vmcnt(0)
	v_mad_i64_i32 v[5:6], null, v7, s5, v[1:2]
	v_lshlrev_b32_e32 v1, 4, v68
	s_clause 0x7
	global_load_b128 v[71:74], v[3:4], off
	global_load_b128 v[75:78], v[3:4], off offset:256
	global_load_b128 v[79:82], v[5:6], off
	global_load_b128 v[83:86], v[5:6], off offset:256
	global_load_b128 v[87:90], v[3:4], off offset:512
	;; [unrolled: 1-line block ×5, first 2 shown]
	v_lshl_or_b32 v1, v69, 8, v1
	s_load_b32 s3, s[22:23], 0x0
	s_add_u32 s22, s17, s24
	s_addc_u32 s23, s13, s25
	s_add_u32 s10, s10, s15
	s_addc_u32 s11, s11, s20
	v_add_co_u32 v1, s10, s10, v1
	s_delay_alu instid0(VALU_DEP_1) | instskip(SKIP_2) | instid1(VALU_DEP_1)
	v_add_co_ci_u32_e64 v2, null, s11, 0, s10
	s_load_b32 s10, s[22:23], 0x0
	s_waitcnt lgkmcnt(0)
	v_mad_i64_i32 v[3:4], null, s12, s5, v[1:2]
	v_mad_i64_i32 v[9:10], null, s7, s5, v[1:2]
	;; [unrolled: 1-line block ×7, first 2 shown]
	s_clause 0x5
	global_load_b128 v[49:52], v[3:4], off
	global_load_b128 v[53:56], v[3:4], off offset:16
	global_load_b128 v[41:44], v[5:6], off
	global_load_b128 v[45:48], v[5:6], off offset:16
	;; [unrolled: 2-line block ×3, first 2 shown]
	s_mov_b32 s4, 0
	v_mad_i64_i32 v[61:62], null, s10, s5, v[1:2]
	s_clause 0x9
	global_load_b128 v[1:4], v[9:10], off
	global_load_b128 v[5:8], v[9:10], off offset:16
	global_load_b128 v[9:12], v[13:14], off
	global_load_b128 v[13:16], v[13:14], off offset:16
	;; [unrolled: 2-line block ×5, first 2 shown]
	s_mov_b32 s5, s4
	s_mov_b32 s6, s4
	;; [unrolled: 1-line block ×7, first 2 shown]
	v_and_b32_e32 v104, 0xe0, v0
	v_dual_mov_b32 v126, s11 :: v_dual_mov_b32 v125, s10
	v_dual_mov_b32 v124, s9 :: v_dual_mov_b32 v123, s8
	s_delay_alu instid0(VALU_DEP_3)
	v_add_nc_u32_e32 v111, s16, v104
	ds_load_b128 v[103:106], v115
	ds_load_b128 v[107:110], v115 offset:1024
	v_dual_mov_b32 v122, s7 :: v_dual_mov_b32 v121, s6
	v_mov_b32_e32 v120, s5
	v_or_b32_e32 v135, v111, v66
	ds_load_b128 v[111:114], v115 offset:2048
	ds_load_b128 v[115:118], v115 offset:3072
	v_mov_b32_e32 v119, s4
	s_waitcnt vmcnt(0) lgkmcnt(0)
	s_barrier
	v_or_b32_e32 v137, 2, v135
	v_or_b32_e32 v138, 4, v135
	;; [unrolled: 1-line block ×3, first 2 shown]
	v_cmp_gt_i32_e32 vcc_lo, s18, v135
	v_or_b32_e32 v140, 8, v135
	v_cmp_gt_i32_e64 s3, s18, v137
	v_or_b32_e32 v141, 10, v135
	v_cmp_gt_i32_e64 s4, s18, v138
	v_cmp_gt_i32_e64 s5, s18, v139
	v_or_b32_e32 v142, 12, v135
	v_or_b32_e32 v143, 14, v135
	v_cmp_gt_i32_e64 s6, s18, v140
	v_cmp_gt_i32_e64 s7, s18, v141
	v_or_b32_e32 v144, 16, v135
	v_or_b32_e32 v145, 18, v135
	v_cmp_gt_i32_e64 s8, s18, v142
	v_cmp_gt_i32_e64 s9, s18, v143
	buffer_gl0_inv
	v_cmp_gt_i32_e64 s10, s18, v144
	v_cmp_gt_i32_e64 s11, s18, v145
	v_wmma_f32_16x16x16_f16 v[127:134], v[71:78], v[103:110], v[119:126]
	v_wmma_f32_16x16x16_f16 v[119:126], v[79:86], v[103:110], v[119:126]
	v_or_b32_e32 v71, 20, v135
	v_or_b32_e32 v72, 22, v135
	s_delay_alu instid0(VALU_DEP_4)
	v_wmma_f32_16x16x16_f16 v[127:134], v[87:94], v[111:118], v[127:134]
	v_or_b32_e32 v73, 24, v135
	v_wmma_f32_16x16x16_f16 v[119:126], v[95:102], v[111:118], v[119:126]
	v_or_b32_e32 v74, 26, v135
	v_cmp_gt_i32_e64 s12, s18, v71
	v_dual_mul_f32 v83, s19, v128 :: v_dual_mul_f32 v84, s19, v127
	v_dual_mul_f32 v81, s19, v130 :: v_dual_mul_f32 v82, s19, v129
	;; [unrolled: 1-line block ×3, first 2 shown]
	s_delay_alu instid0(VALU_DEP_3) | instskip(NEXT) | instid1(VALU_DEP_4)
	v_cndmask_b32_e32 v84, 0xff7fffff, v84, vcc_lo
	v_cndmask_b32_e64 v83, 0xff7fffff, v83, s3
	v_mul_f32_e32 v80, s19, v131
	v_cndmask_b32_e64 v82, 0xff7fffff, v82, s4
	v_cndmask_b32_e64 v81, 0xff7fffff, v81, s5
	v_dual_mul_f32 v77, s19, v134 :: v_dual_mul_f32 v90, s19, v121
	v_max3_f32 v83, v84, 0xff7fffff, v83
	v_mul_f32_e32 v78, s19, v133
	v_cndmask_b32_e64 v80, 0xff7fffff, v80, s6
	v_cndmask_b32_e64 v79, 0xff7fffff, v79, s7
	v_mul_f32_e32 v91, s19, v120
	v_max3_f32 v81, v83, v82, v81
	v_cndmask_b32_e64 v78, 0xff7fffff, v78, s8
	v_cndmask_b32_e64 v77, 0xff7fffff, v77, s9
	v_mul_f32_e32 v89, s19, v122
	v_cmp_gt_i32_e64 s13, s18, v72
	v_max3_f32 v79, v81, v80, v79
	v_cndmask_b32_e64 v80, 0xff7fffff, v92, s10
	v_cndmask_b32_e64 v81, 0xff7fffff, v91, s11
	v_or_b32_e32 v75, 28, v135
	v_or_b32_e32 v76, 30, v135
	v_max3_f32 v77, v79, v78, v77
	v_dual_mul_f32 v87, s19, v124 :: v_dual_mul_f32 v88, s19, v123
	v_cndmask_b32_e64 v71, 0xff7fffff, v90, s12
	v_cndmask_b32_e64 v72, 0xff7fffff, v89, s13
	s_delay_alu instid0(VALU_DEP_4) | instskip(SKIP_3) | instid1(VALU_DEP_4)
	v_max3_f32 v77, v77, v80, v81
	v_cmp_gt_i32_e64 s15, s18, v73
	v_cmp_gt_i32_e64 s16, s18, v74
	v_dual_mul_f32 v85, s19, v126 :: v_dual_mul_f32 v86, s19, v125
	v_max3_f32 v71, v77, v71, v72
	s_delay_alu instid0(VALU_DEP_4) | instskip(NEXT) | instid1(VALU_DEP_4)
	v_cndmask_b32_e64 v73, 0xff7fffff, v88, s15
	v_cndmask_b32_e64 v74, 0xff7fffff, v87, s16
	v_cmp_gt_i32_e64 s17, s18, v75
	v_cmp_gt_i32_e64 s18, s18, v76
	s_delay_alu instid0(VALU_DEP_3) | instskip(NEXT) | instid1(VALU_DEP_3)
	v_max3_f32 v71, v71, v73, v74
	v_cndmask_b32_e64 v72, 0xff7fffff, v86, s17
	s_delay_alu instid0(VALU_DEP_3) | instskip(SKIP_1) | instid1(VALU_DEP_2)
	v_cndmask_b32_e64 v75, 0xff7fffff, v85, s18
	v_lshlrev_b32_e32 v73, 2, v136
	v_max3_f32 v71, v71, v72, v75
	ds_bpermute_b32 v72, v73, v71
	s_waitcnt lgkmcnt(0)
	v_max_f32_e32 v72, v72, v72
	s_delay_alu instid0(VALU_DEP_1) | instskip(NEXT) | instid1(VALU_DEP_1)
	v_max_f32_e32 v71, v71, v72
	v_fma_f32 v72, s19, v127, -v71
	v_fma_f32 v74, s19, v128, -v71
	;; [unrolled: 1-line block ×5, first 2 shown]
	v_mul_f32_e32 v72, 0x3fb8aa3b, v72
	s_delay_alu instid0(VALU_DEP_4) | instskip(NEXT) | instid1(VALU_DEP_4)
	v_dual_mul_f32 v74, 0x3fb8aa3b, v74 :: v_dual_mul_f32 v75, 0x3fb8aa3b, v75
	v_mul_f32_e32 v76, 0x3fb8aa3b, v76
	s_delay_alu instid0(VALU_DEP_4) | instskip(NEXT) | instid1(VALU_DEP_4)
	v_mul_f32_e32 v82, 0x3fb8aa3b, v80
	v_exp_f32_e32 v72, v72
	s_delay_alu instid0(VALU_DEP_3)
	v_exp_f32_e32 v74, v74
	v_exp_f32_e32 v75, v75
	;; [unrolled: 1-line block ×3, first 2 shown]
	v_fma_f32 v77, s19, v131, -v71
	v_exp_f32_e32 v84, v82
	v_cndmask_b32_e32 v79, 0, v72, vcc_lo
	v_cndmask_b32_e64 v78, 0, v74, s3
	s_delay_alu instid0(TRANS32_DEP_3) | instskip(SKIP_1) | instid1(TRANS32_DEP_2)
	v_cndmask_b32_e64 v81, 0, v75, s4
	v_fma_f32 v72, s19, v132, -v71
	v_cndmask_b32_e64 v80, 0, v76, s5
	v_add_f32_e32 v74, 0, v79
	s_delay_alu instid0(TRANS32_DEP_1) | instskip(SKIP_2) | instid1(VALU_DEP_3)
	v_cndmask_b32_e64 v85, 0, v84, s8
	s_mov_b32 s3, exec_lo
	v_mul_f32_e32 v72, 0x3fb8aa3b, v72
	v_add_f32_e32 v74, v74, v78
	s_delay_alu instid0(VALU_DEP_2) | instskip(NEXT) | instid1(VALU_DEP_1)
	v_exp_f32_e32 v72, v72
	v_add_f32_e32 v74, v74, v81
	s_delay_alu instid0(VALU_DEP_1) | instskip(NEXT) | instid1(VALU_DEP_1)
	v_dual_mul_f32 v77, 0x3fb8aa3b, v77 :: v_dual_add_f32 v74, v74, v80
	v_exp_f32_e32 v77, v77
	s_waitcnt_depctr 0xfff
	v_cndmask_b32_e64 v82, 0, v72, s7
	v_cndmask_b32_e64 v83, 0, v77, s6
	s_delay_alu instid0(VALU_DEP_1) | instskip(SKIP_4) | instid1(VALU_DEP_4)
	v_add_f32_e32 v72, v74, v83
	v_fma_f32 v75, s19, v134, -v71
	v_fma_f32 v76, s19, v119, -v71
	;; [unrolled: 1-line block ×4, first 2 shown]
	v_dual_add_f32 v72, v72, v82 :: v_dual_mul_f32 v75, 0x3fb8aa3b, v75
	s_delay_alu instid0(VALU_DEP_3) | instskip(NEXT) | instid1(VALU_DEP_3)
	v_dual_mul_f32 v76, 0x3fb8aa3b, v76 :: v_dual_mul_f32 v77, 0x3fb8aa3b, v77
	v_mul_f32_e32 v74, 0x3fb8aa3b, v74
	v_fma_f32 v86, s19, v122, -v71
	s_delay_alu instid0(VALU_DEP_4) | instskip(NEXT) | instid1(VALU_DEP_3)
	v_exp_f32_e32 v75, v75
	v_exp_f32_e32 v76, v76
	v_exp_f32_e32 v77, v77
	v_exp_f32_e32 v74, v74
	v_mul_f32_e32 v86, 0x3fb8aa3b, v86
	s_delay_alu instid0(VALU_DEP_1)
	v_exp_f32_e32 v88, v86
	v_cndmask_b32_e64 v84, 0, v75, s9
	v_fma_f32 v75, s19, v123, -v71
	v_add_f32_e32 v72, v72, v85
	v_cndmask_b32_e64 v87, 0, v76, s10
	v_fma_f32 v76, s19, v124, -v71
	s_delay_alu instid0(TRANS32_DEP_3) | instskip(NEXT) | instid1(VALU_DEP_4)
	v_cndmask_b32_e64 v86, 0, v77, s11
	v_dual_mul_f32 v75, 0x3fb8aa3b, v75 :: v_dual_add_f32 v72, v72, v84
	v_fma_f32 v77, s19, v125, -v71
	s_delay_alu instid0(VALU_DEP_4) | instskip(SKIP_1) | instid1(VALU_DEP_4)
	v_mul_f32_e32 v76, 0x3fb8aa3b, v76
	v_cndmask_b32_e64 v89, 0, v74, s12
	v_exp_f32_e32 v75, v75
	v_add_f32_e32 v72, v72, v87
	v_mul_f32_e32 v74, 0x3fb8aa3b, v77
	v_exp_f32_e32 v76, v76
	v_cndmask_b32_e64 v88, 0, v88, s13
	v_fma_f32 v77, s19, v126, -v71
	v_add_f32_e32 v72, v72, v86
	v_exp_f32_e32 v74, v74
	s_delay_alu instid0(TRANS32_DEP_3) | instskip(NEXT) | instid1(VALU_DEP_2)
	v_cndmask_b32_e64 v91, 0, v75, s15
	v_add_f32_e32 v72, v72, v89
	v_mul_f32_e32 v75, 0x3fb8aa3b, v77
	s_delay_alu instid0(TRANS32_DEP_2) | instskip(NEXT) | instid1(VALU_DEP_3)
	v_cndmask_b32_e64 v90, 0, v76, s16
	v_add_f32_e32 v72, v72, v88
	s_delay_alu instid0(VALU_DEP_3) | instskip(NEXT) | instid1(TRANS32_DEP_2)
	v_exp_f32_e32 v75, v75
	v_cndmask_b32_e64 v93, 0, v74, s17
	s_delay_alu instid0(VALU_DEP_2) | instskip(NEXT) | instid1(VALU_DEP_1)
	v_add_f32_e32 v72, v72, v91
	v_add_f32_e32 v72, v72, v90
	s_waitcnt_depctr 0xfff
	v_cndmask_b32_e64 v92, 0, v75, s18
	v_add_f32_e32 v72, v72, v93
	s_delay_alu instid0(VALU_DEP_1)
	v_add_f32_e32 v72, v72, v92
	ds_bpermute_b32 v73, v73, v72
	v_cmpx_gt_u32_e32 16, v70
	s_cbranch_execz .LBB819_12
; %bb.11:
	v_mul_u32_u24_e32 v70, 0x44, v69
	s_waitcnt lgkmcnt(0)
	v_add_f32_e32 v72, v72, v73
	s_delay_alu instid0(VALU_DEP_2) | instskip(NEXT) | instid1(VALU_DEP_1)
	v_lshl_add_u32 v70, v68, 2, v70
	v_add_nc_u32_e32 v70, 0x4000, v70
	ds_store_2addr_b32 v70, v71, v72 offset1:136
.LBB819_12:
	s_or_b32 exec_lo, exec_lo, s3
	v_lshlrev_b32_e32 v70, 2, v68
	s_load_b32 s35, s[0:1], 0x94
	s_waitcnt lgkmcnt(0)
	s_barrier
	buffer_gl0_inv
	v_add_nc_u32_e32 v98, 0x4000, v70
	v_cmp_eq_u32_e32 vcc_lo, 1, v69
	v_cmp_eq_u32_e64 s3, 2, v69
	v_cmp_eq_u32_e64 s4, 3, v69
	;; [unrolled: 1-line block ×3, first 2 shown]
	ds_load_2addr_b32 v[70:71], v98 offset1:17
	ds_load_2addr_b32 v[72:73], v98 offset0:34 offset1:51
	ds_load_2addr_b32 v[74:75], v98 offset0:68 offset1:85
	;; [unrolled: 1-line block ×3, first 2 shown]
	v_cmp_eq_u32_e64 s6, 5, v69
	v_cmp_eq_u32_e64 s7, 7, v69
	s_waitcnt lgkmcnt(3)
	v_max3_f32 v76, v70, 0xff7fffff, v71
	s_waitcnt lgkmcnt(2)
	s_delay_alu instid0(VALU_DEP_1) | instskip(SKIP_1) | instid1(VALU_DEP_1)
	v_max3_f32 v76, v76, v72, v73
	s_waitcnt lgkmcnt(1)
	v_max3_f32 v76, v76, v74, v75
	s_waitcnt lgkmcnt(0)
	s_delay_alu instid0(VALU_DEP_1) | instskip(NEXT) | instid1(VALU_DEP_1)
	v_max3_f32 v76, v76, v94, v95
	v_sub_f32_e32 v77, v71, v76
	ds_load_2addr_b32 v[96:97], v98 offset0:136 offset1:153
	v_sub_f32_e32 v74, v74, v76
	v_sub_f32_e32 v70, v70, v76
	;; [unrolled: 1-line block ×3, first 2 shown]
	v_dual_sub_f32 v72, v72, v76 :: v_dual_mul_f32 v77, 0x3fb8aa3b, v77
	s_delay_alu instid0(VALU_DEP_4) | instskip(NEXT) | instid1(VALU_DEP_4)
	v_mul_f32_e32 v103, 0x3fb8aa3b, v74
	v_mul_f32_e32 v99, 0x3fb8aa3b, v70
	ds_load_2addr_b32 v[70:71], v98 offset0:170 offset1:187
	v_dual_mul_f32 v101, 0x3fb8aa3b, v72 :: v_dual_mul_f32 v94, 0x3fb8aa3b, v94
	v_exp_f32_e32 v102, v77
	v_exp_f32_e32 v99, v99
	s_delay_alu instid0(VALU_DEP_1) | instskip(NEXT) | instid1(VALU_DEP_1)
	v_exp_f32_e32 v101, v101
	v_exp_f32_e32 v94, v94
	s_waitcnt lgkmcnt(1)
	s_delay_alu instid0(TRANS32_DEP_3)
	v_fma_f32 v77, v99, v96, 0
	v_sub_f32_e32 v100, v73, v76
	ds_load_2addr_b32 v[72:73], v98 offset0:204 offset1:221
	v_fmac_f32_e32 v77, v102, v97
	v_exp_f32_e32 v97, v103
	s_waitcnt lgkmcnt(1)
	s_delay_alu instid0(VALU_DEP_1)
	v_dual_fmac_f32 v77, v101, v70 :: v_dual_sub_f32 v96, v75, v76
	ds_load_2addr_b32 v[74:75], v98 offset0:238 offset1:255
	v_sub_f32_e32 v70, v95, v76
	s_waitcnt lgkmcnt(0)
	s_barrier
	v_mul_f32_e32 v96, 0x3fb8aa3b, v96
	buffer_gl0_inv
	v_exp_f32_e32 v95, v96
	v_mul_f32_e32 v100, 0x3fb8aa3b, v100
	s_delay_alu instid0(VALU_DEP_1) | instskip(SKIP_3) | instid1(VALU_DEP_2)
	v_exp_f32_e32 v100, v100
	s_waitcnt_depctr 0xfff
	v_dual_fmac_f32 v77, v100, v71 :: v_dual_mul_f32 v70, 0x3fb8aa3b, v70
	v_cndmask_b32_e32 v71, v99, v102, vcc_lo
	v_fmac_f32_e32 v77, v97, v72
	s_delay_alu instid0(VALU_DEP_3) | instskip(NEXT) | instid1(VALU_DEP_1)
	v_exp_f32_e32 v96, v70
	v_fmac_f32_e32 v77, v95, v73
	s_delay_alu instid0(VALU_DEP_1) | instskip(SKIP_2) | instid1(VALU_DEP_1)
	v_fmac_f32_e32 v77, v94, v74
	s_waitcnt_depctr 0xfff
	v_fmac_f32_e32 v77, v96, v75
	v_add_f32_e32 v74, 0x358637bd, v77
	s_delay_alu instid0(VALU_DEP_1) | instskip(SKIP_1) | instid1(VALU_DEP_2)
	v_div_scale_f32 v98, null, v74, v74, 1.0
	v_div_scale_f32 v99, vcc_lo, 1.0, v74, 1.0
	v_rcp_f32_e32 v103, v98
	s_waitcnt_depctr 0xfff
	v_fma_f32 v70, -v98, v103, 1.0
	s_delay_alu instid0(VALU_DEP_1) | instskip(SKIP_2) | instid1(VALU_DEP_2)
	v_fmac_f32_e32 v103, v70, v103
	v_cndmask_b32_e64 v70, v71, v101, s3
	v_cmp_eq_u32_e64 s3, 6, v69
	v_cndmask_b32_e64 v71, v70, v100, s4
	s_delay_alu instid0(VALU_DEP_4) | instskip(NEXT) | instid1(VALU_DEP_2)
	v_dual_mul_f32 v101, v99, v103 :: v_dual_lshlrev_b32 v70, 2, v66
	v_cndmask_b32_e64 v71, v71, v97, s5
	s_delay_alu instid0(VALU_DEP_2) | instskip(NEXT) | instid1(VALU_DEP_3)
	v_or_b32_e32 v72, 1, v70
	v_fma_f32 v100, -v98, v101, v99
	v_cmp_eq_u32_e64 s4, 1, v70
	v_cmp_eq_u32_e64 s5, 2, v70
	v_cndmask_b32_e64 v95, v71, v95, s6
	v_or_b32_e32 v71, 3, v70
	v_fmac_f32_e32 v101, v100, v103
	v_cmp_eq_u32_e64 s9, 1, v72
	v_cmp_eq_u32_e64 s12, 2, v72
	v_cndmask_b32_e64 v94, v95, v94, s3
	v_cmp_eq_u32_e64 s11, 1, v71
	v_fma_f32 v97, -v98, v101, v99
	v_cmp_eq_u32_e64 s16, 2, v71
	v_cmp_eq_u32_e64 s13, 3, v72
	v_cndmask_b32_e64 v94, v94, v96, s7
	v_cmp_eq_u32_e64 s18, 3, v71
	v_div_fmas_f32 v95, v97, v103, v101
	v_cmp_eq_u32_e32 vcc_lo, 3, v70
	v_cmp_eq_u32_e64 s3, 4, v70
	v_cmp_eq_u32_e64 s19, 4, v72
	;; [unrolled: 1-line block ×3, first 2 shown]
	v_div_fixup_f32 v95, v95, v74, 1.0
	v_lshlrev_b32_e32 v73, 6, v68
	v_cmp_eq_u32_e64 s6, 5, v70
	v_cmp_eq_u32_e64 s20, 5, v72
	;; [unrolled: 1-line block ×3, first 2 shown]
	v_mul_f32_e32 v102, v94, v95
	v_lshl_or_b32 v75, v69, 11, v73
	v_or_b32_e32 v69, 2, v70
	v_cmp_eq_u32_e64 s25, 6, v72
	v_cmp_eq_u32_e64 s27, 6, v71
	v_fma_mixlo_f16 v94, v102, v79, 0
	v_fma_mixlo_f16 v95, v102, v81, 0
	;; [unrolled: 1-line block ×8, first 2 shown]
	v_lshl_or_b32 v74, v66, 4, v75
	v_fma_mixhi_f16 v94, v102, v78, 0
	v_fma_mixhi_f16 v95, v102, v80, 0
	;; [unrolled: 1-line block ×8, first 2 shown]
	ds_store_b128 v74, v[94:97]
	ds_store_b128 v74, v[98:101] offset:1024
	s_waitcnt lgkmcnt(0)
	s_barrier
	buffer_gl0_inv
	ds_load_b128 v[78:81], v75
	ds_load_b128 v[82:85], v75 offset:16
	ds_load_b128 v[86:89], v75 offset:1024
	ds_load_b128 v[90:93], v75 offset:1040
	v_cmp_eq_u32_e64 s10, 1, v69
	v_cmp_eq_u32_e64 s15, 2, v69
	;; [unrolled: 1-line block ×11, first 2 shown]
	s_waitcnt lgkmcnt(3)
	v_lshrrev_b32_e32 v94, 16, v78
	s_waitcnt lgkmcnt(2)
	v_lshrrev_b32_e32 v98, 16, v82
	;; [unrolled: 2-line block ×4, first 2 shown]
	v_lshrrev_b32_e32 v95, 16, v79
	v_cndmask_b32_e64 v110, v78, v94, s4
	v_cndmask_b32_e64 v111, v82, v98, s4
	;; [unrolled: 1-line block ×8, first 2 shown]
	v_lshrrev_b32_e32 v99, 16, v83
	v_cndmask_b32_e64 v94, v86, v102, s4
	v_cndmask_b32_e64 v98, v90, v106, s4
	;; [unrolled: 1-line block ×15, first 2 shown]
	v_lshrrev_b32_e32 v103, 16, v87
	v_lshrrev_b32_e32 v107, 16, v91
	v_cndmask_b32_e64 v113, v115, v83, s15
	v_cndmask_b32_e64 v82, v94, v87, s5
	;; [unrolled: 1-line block ×7, first 2 shown]
	v_cndmask_b32_e32 v90, v102, v95, vcc_lo
	v_cndmask_b32_e32 v102, v106, v99, vcc_lo
	v_cndmask_b32_e64 v106, v110, v95, s13
	v_cndmask_b32_e64 v110, v111, v99, s13
	;; [unrolled: 1-line block ×4, first 2 shown]
	v_lshrrev_b32_e32 v96, 16, v80
	v_lshrrev_b32_e32 v100, 16, v84
	v_cndmask_b32_e64 v111, v112, v95, s17
	v_cndmask_b32_e64 v112, v113, v99, s17
	v_cndmask_b32_e32 v82, v82, v103, vcc_lo
	v_cndmask_b32_e32 v83, v83, v107, vcc_lo
	v_cndmask_b32_e64 v94, v94, v103, s13
	v_cndmask_b32_e64 v90, v90, v80, s3
	;; [unrolled: 1-line block ×7, first 2 shown]
	v_lshrrev_b32_e32 v104, 16, v88
	v_cndmask_b32_e64 v106, v111, v80, s21
	v_cndmask_b32_e64 v110, v112, v84, s21
	;; [unrolled: 1-line block ×11, first 2 shown]
	v_lshrrev_b32_e32 v97, 16, v81
	v_lshrrev_b32_e32 v101, 16, v85
	v_cndmask_b32_e64 v99, v106, v96, s23
	v_cndmask_b32_e64 v102, v110, v100, s23
	;; [unrolled: 1-line block ×7, first 2 shown]
	v_lshrrev_b32_e32 v105, 16, v89
	v_cndmask_b32_e64 v80, v80, v104, s6
	v_cndmask_b32_e64 v84, v84, v81, s7
	v_cndmask_b32_e64 v90, v90, v85, s7
	v_cndmask_b32_e64 v96, v99, v81, s26
	v_cndmask_b32_e64 v99, v102, v85, s26
	v_cndmask_b32_e64 v81, v83, v89, s25
	v_cndmask_b32_e64 v85, v94, v97, s30
	v_cndmask_b32_e64 v78, v78, v97, s29
	v_cndmask_b32_e64 v79, v79, v101, s29
	v_cndmask_b32_e64 v95, v95, v101, s30
	v_cndmask_b32_e64 v80, v80, v89, s7
	v_cndmask_b32_e64 v83, v84, v97, s8
	v_cndmask_b32_e64 v84, v90, v101, s8
	v_cndmask_b32_e64 v90, v96, v97, s28
	v_cndmask_b32_e64 v94, v99, v101, s28
	v_cndmask_b32_e64 v97, v81, v105, s30
	v_perm_b32 v81, v79, v78, 0x5040100
	v_perm_b32 v79, v95, v85, 0x5040100
	v_cndmask_b32_e64 v78, v119, v91, s15
	v_cndmask_b32_e64 v85, v117, v91, s12
	;; [unrolled: 1-line block ×3, first 2 shown]
	v_perm_b32 v80, v94, v90, 0x5040100
	v_cndmask_b32_e64 v90, v98, v103, s17
	v_cndmask_b32_e64 v86, v86, v103, s18
	;; [unrolled: 1-line block ×5, first 2 shown]
	v_lshrrev_b32_e32 v108, 16, v92
	v_cndmask_b32_e64 v90, v90, v88, s21
	v_cndmask_b32_e64 v86, v86, v88, s22
	;; [unrolled: 1-line block ×11, first 2 shown]
	v_lshrrev_b32_e32 v109, 16, v93
	v_cndmask_b32_e64 v82, v82, v93, s7
	v_cndmask_b32_e64 v88, v88, v89, s26
	;; [unrolled: 1-line block ×12, first 2 shown]
	v_perm_b32 v78, v84, v83, 0x5040100
	v_perm_b32 v85, v87, v86, 0x5040100
	;; [unrolled: 1-line block ×5, first 2 shown]
	s_mul_i32 s8, s33, 10
	s_mov_b32 s3, exec_lo
	ds_store_b128 v74, v[78:81]
	ds_store_b128 v74, v[82:85] offset:1024
	v_cmpx_gt_u32_e32 10, v0
	s_cbranch_execz .LBB819_14
; %bb.13:
	s_mul_i32 s4, s8, s34
	s_delay_alu instid0(SALU_CYCLE_1) | instskip(SKIP_1) | instid1(VALU_DEP_1)
	v_add3_u32 v68, s4, s31, v68
	s_load_b128 s[4:7], s[0:1], 0x58
	v_mad_u64_u32 v[78:79], null, v68, s35, s[14:15]
	s_delay_alu instid0(VALU_DEP_1) | instskip(NEXT) | instid1(VALU_DEP_1)
	v_ashrrev_i32_e32 v79, 31, v78
	v_lshlrev_b64 v[78:79], 2, v[78:79]
	s_waitcnt lgkmcnt(0)
	s_delay_alu instid0(VALU_DEP_1) | instskip(NEXT) | instid1(VALU_DEP_2)
	v_add_co_u32 v80, vcc_lo, s6, v78
	v_add_co_ci_u32_e32 v81, vcc_lo, s7, v79, vcc_lo
	v_add_co_u32 v78, vcc_lo, s4, v78
	v_add_co_ci_u32_e32 v79, vcc_lo, s5, v79, vcc_lo
	global_store_b32 v[80:81], v76, off
	global_store_b32 v[78:79], v77, off
.LBB819_14:
	s_or_b32 exec_lo, exec_lo, s3
	s_waitcnt lgkmcnt(0)
	s_waitcnt_vscnt null, 0x0
	s_barrier
	buffer_gl0_inv
	ds_load_b128 v[84:87], v73
	ds_load_b128 v[88:91], v73 offset:16
	ds_load_b128 v[96:99], v73 offset:2064
	;; [unrolled: 1-line block ×5, first 2 shown]
	v_cmp_eq_u32_e32 vcc_lo, 1, v70
	v_mov_b32_e32 v76, 0
	ds_load_b128 v[112:115], v73 offset:6160
	ds_load_b128 v[108:111], v73 offset:6144
	;; [unrolled: 1-line block ×4, first 2 shown]
	v_cmp_eq_u32_e64 s4, 1, v69
	v_cmp_eq_u32_e64 s3, 1, v72
	v_cmp_eq_u32_e64 s5, 2, v72
	v_mov_b32_e32 v77, v76
	v_mov_b32_e32 v78, v76
	;; [unrolled: 1-line block ×7, first 2 shown]
	v_cmp_eq_u32_e64 s6, 3, v72
	v_cmp_eq_u32_e64 s7, 7, v72
	s_waitcnt lgkmcnt(8)
	s_delay_alu instid0(VALU_DEP_3)
	v_wmma_f32_16x16x16_f16 v[76:83], v[49:56], v[84:91], v[76:83]
	ds_load_b128 v[53:56], v73 offset:10256
	ds_load_b128 v[49:52], v73 offset:10240
	s_waitcnt lgkmcnt(8)
	v_wmma_f32_16x16x16_f16 v[76:83], v[41:48], v[92:99], v[76:83]
	ds_load_b128 v[45:48], v73 offset:12304
	ds_load_b128 v[41:44], v73 offset:12288
	s_waitcnt lgkmcnt(8)
	;; [unrolled: 4-line block ×3, first 2 shown]
	s_barrier
	buffer_gl0_inv
	v_wmma_f32_16x16x16_f16 v[76:83], v[1:8], v[108:115], v[76:83]
	s_delay_alu instid0(VALU_DEP_1) | instskip(NEXT) | instid1(VALU_DEP_1)
	v_wmma_f32_16x16x16_f16 v[76:83], v[9:16], v[116:123], v[76:83]
	v_wmma_f32_16x16x16_f16 v[76:83], v[17:24], v[49:56], v[76:83]
	s_delay_alu instid0(VALU_DEP_1) | instskip(NEXT) | instid1(VALU_DEP_1)
	v_wmma_f32_16x16x16_f16 v[76:83], v[25:32], v[41:48], v[76:83]
	v_wmma_f32_16x16x16_f16 v[76:83], v[57:64], v[33:40], v[76:83]
	s_delay_alu instid0(VALU_DEP_1) | instskip(NEXT) | instid1(VALU_DEP_2)
	v_cvt_f16_f32_e32 v1, v76
	v_cvt_f16_f32_e32 v2, v77
	s_delay_alu instid0(VALU_DEP_3) | instskip(NEXT) | instid1(VALU_DEP_4)
	v_cvt_f16_f32_e32 v3, v78
	v_cvt_f16_f32_e32 v4, v79
	;; [unrolled: 1-line block ×6, first 2 shown]
	v_pack_b32_f16 v1, v1, v2
	v_pack_b32_f16 v2, v3, v4
	v_pack_b32_f16 v3, v5, v6
	s_delay_alu instid0(VALU_DEP_4)
	v_pack_b32_f16 v4, v7, v8
	ds_store_b128 v74, v[1:4]
	s_waitcnt lgkmcnt(0)
	s_barrier
	buffer_gl0_inv
	ds_load_b128 v[1:4], v75
	ds_load_b128 v[5:8], v75 offset:16
	s_waitcnt lgkmcnt(1)
	v_lshrrev_b32_e32 v9, 16, v1
	s_waitcnt lgkmcnt(0)
	v_lshrrev_b32_e32 v13, 16, v5
	v_lshrrev_b32_e32 v10, 16, v2
	;; [unrolled: 1-line block ×4, first 2 shown]
	v_cndmask_b32_e32 v17, v1, v9, vcc_lo
	v_cndmask_b32_e32 v18, v5, v13, vcc_lo
	v_cndmask_b32_e64 v21, v1, v9, s4
	v_cmp_eq_u32_e32 vcc_lo, 1, v71
	v_cndmask_b32_e64 v22, v5, v13, s4
	v_cmp_eq_u32_e64 s4, 2, v70
	v_cndmask_b32_e64 v19, v1, v9, s3
	v_cndmask_b32_e64 v20, v5, v13, s3
	v_cndmask_b32_e32 v1, v1, v9, vcc_lo
	v_cmp_eq_u32_e64 s3, 2, v71
	v_cndmask_b32_e32 v5, v5, v13, vcc_lo
	v_cndmask_b32_e64 v9, v17, v2, s4
	v_cmp_eq_u32_e32 vcc_lo, 3, v70
	v_cndmask_b32_e64 v13, v18, v6, s4
	v_cmp_eq_u32_e64 s4, 2, v69
	v_cndmask_b32_e64 v17, v19, v2, s5
	v_cndmask_b32_e64 v18, v20, v6, s5
	v_cmp_eq_u32_e64 s5, 3, v69
	v_cndmask_b32_e64 v1, v1, v2, s3
	v_cndmask_b32_e64 v19, v21, v2, s4
	;; [unrolled: 1-line block ×4, first 2 shown]
	v_cndmask_b32_e32 v5, v9, v10, vcc_lo
	v_cndmask_b32_e32 v6, v13, v14, vcc_lo
	v_cmp_eq_u32_e32 vcc_lo, 3, v71
	v_cndmask_b32_e64 v9, v17, v10, s6
	v_cndmask_b32_e64 v13, v18, v14, s6
	;; [unrolled: 1-line block ×3, first 2 shown]
	v_cmp_eq_u32_e64 s4, 4, v70
	v_cndmask_b32_e32 v1, v1, v10, vcc_lo
	v_cndmask_b32_e32 v2, v2, v14, vcc_lo
	v_cmp_eq_u32_e32 vcc_lo, 4, v72
	v_lshrrev_b32_e32 v15, 16, v7
	v_lshrrev_b32_e32 v16, 16, v8
	v_cndmask_b32_e64 v17, v19, v10, s5
	v_cmp_eq_u32_e64 s3, 4, v71
	v_cndmask_b32_e64 v5, v5, v3, s4
	v_cndmask_b32_e64 v6, v6, v7, s4
	v_cndmask_b32_e32 v9, v9, v3, vcc_lo
	v_cmp_eq_u32_e64 s4, 5, v72
	v_cndmask_b32_e32 v10, v13, v7, vcc_lo
	v_cmp_eq_u32_e32 vcc_lo, 4, v69
	v_cmp_eq_u32_e64 s5, 5, v70
	v_cndmask_b32_e64 v2, v2, v7, s3
	v_cndmask_b32_e64 v9, v9, v11, s4
	;; [unrolled: 1-line block ×3, first 2 shown]
	v_cndmask_b32_e32 v13, v17, v3, vcc_lo
	v_cmp_eq_u32_e64 s4, 5, v69
	v_cndmask_b32_e32 v14, v18, v7, vcc_lo
	v_cndmask_b32_e64 v1, v1, v3, s3
	v_cmp_eq_u32_e32 vcc_lo, 5, v71
	v_lshrrev_b32_e32 v12, 16, v4
	v_cndmask_b32_e64 v13, v13, v11, s4
	v_cndmask_b32_e64 v3, v14, v15, s4
	v_cmp_eq_u32_e64 s4, 6, v71
	v_cndmask_b32_e32 v1, v1, v11, vcc_lo
	v_cndmask_b32_e64 v5, v5, v11, s5
	v_cmp_eq_u32_e64 s6, 6, v70
	v_cndmask_b32_e64 v6, v6, v15, s5
	v_cmp_eq_u32_e64 s5, 6, v72
	v_cmp_eq_u32_e64 s3, 6, v69
	v_cndmask_b32_e64 v1, v1, v4, s4
	v_cndmask_b32_e32 v2, v2, v15, vcc_lo
	v_cmp_eq_u32_e32 vcc_lo, 7, v71
	v_cndmask_b32_e64 v5, v5, v4, s6
	v_cndmask_b32_e64 v9, v9, v4, s5
	;; [unrolled: 1-line block ×3, first 2 shown]
	v_cmp_eq_u32_e64 s6, 7, v70
	v_cndmask_b32_e32 v1, v1, v12, vcc_lo
	v_cndmask_b32_e64 v7, v13, v4, s3
	v_cndmask_b32_e64 v3, v3, v8, s3
	;; [unrolled: 1-line block ×3, first 2 shown]
	v_cmp_eq_u32_e64 s3, 7, v69
	v_cndmask_b32_e64 v4, v10, v8, s5
	v_cndmask_b32_e64 v5, v5, v12, s6
	;; [unrolled: 1-line block ×3, first 2 shown]
	v_cndmask_b32_e32 v2, v2, v16, vcc_lo
	v_cndmask_b32_e64 v7, v7, v12, s3
	v_cndmask_b32_e64 v3, v3, v16, s3
	;; [unrolled: 1-line block ×4, first 2 shown]
	v_cmp_gt_u32_e32 vcc_lo, 32, v0
	v_perm_b32 v4, v2, v1, 0x5040100
	v_perm_b32 v3, v3, v7, 0x5040100
	;; [unrolled: 1-line block ×4, first 2 shown]
	s_and_b32 s2, vcc_lo, s2
	ds_store_b128 v74, v[1:4]
	s_waitcnt lgkmcnt(0)
	s_barrier
	buffer_gl0_inv
	s_and_saveexec_b32 s3, s2
	s_cbranch_execz .LBB819_2
; %bb.15:
	s_load_b64 s[0:1], s[0:1], 0x68
	s_lshl_b32 s4, s35, 6
	v_or_b32_e32 v2, s31, v66
	s_mul_i32 s2, s4, s34
	v_lshlrev_b32_e32 v0, 10, v0
	s_mul_i32 s2, s2, s8
	v_lshlrev_b32_e32 v1, 4, v67
	s_ashr_i32 s3, s2, 31
	v_mul_lo_u32 v20, v2, s4
	s_lshl_b64 s[2:3], s[2:3], 1
	v_lshlrev_b32_e32 v3, 6, v66
	v_and_b32_e32 v0, 0x3800, v0
	s_delay_alu instid0(VALU_DEP_1) | instskip(NEXT) | instid1(VALU_DEP_4)
	v_or3_b32 v16, v0, v1, v3
	v_ashrrev_i32_e32 v21, 31, v20
	ds_load_b128 v[0:3], v16
	ds_load_b128 v[4:7], v16 offset:128
	s_waitcnt lgkmcnt(0)
	s_add_u32 s2, s0, s2
	s_addc_u32 s3, s1, s3
	s_lshl_b32 s0, s14, 6
	ds_load_b128 v[8:11], v16 offset:256
	ds_load_b128 v[12:15], v16 offset:384
	;; [unrolled: 1-line block ×3, first 2 shown]
	s_ashr_i32 s1, s0, 31
	s_delay_alu instid0(SALU_CYCLE_1) | instskip(NEXT) | instid1(SALU_CYCLE_1)
	s_lshl_b64 s[0:1], s[0:1], 1
	s_add_u32 s0, s2, s0
	s_addc_u32 s1, s3, s1
	s_lshl_b32 s2, s35, 7
	v_add_co_u32 v30, s0, s0, v65
	v_add_nc_u32_e32 v22, s2, v20
	v_lshlrev_b64 v[20:21], 1, v[20:21]
	v_add_co_ci_u32_e64 v31, null, s1, 0, s0
	s_delay_alu instid0(VALU_DEP_3) | instskip(SKIP_1) | instid1(VALU_DEP_4)
	v_add_nc_u32_e32 v24, s2, v22
	v_ashrrev_i32_e32 v23, 31, v22
	v_add_co_u32 v20, vcc_lo, v30, v20
	s_delay_alu instid0(VALU_DEP_4) | instskip(NEXT) | instid1(VALU_DEP_4)
	v_add_co_ci_u32_e32 v21, vcc_lo, v31, v21, vcc_lo
	v_add_nc_u32_e32 v26, s2, v24
	v_ashrrev_i32_e32 v25, 31, v24
	v_lshlrev_b64 v[22:23], 1, v[22:23]
	s_delay_alu instid0(VALU_DEP_3) | instskip(SKIP_1) | instid1(VALU_DEP_4)
	v_add_nc_u32_e32 v28, s2, v26
	v_ashrrev_i32_e32 v27, 31, v26
	v_lshlrev_b64 v[24:25], 1, v[24:25]
	s_delay_alu instid0(VALU_DEP_4) | instskip(NEXT) | instid1(VALU_DEP_4)
	v_add_co_u32 v22, vcc_lo, v30, v22
	v_ashrrev_i32_e32 v29, 31, v28
	s_delay_alu instid0(VALU_DEP_4) | instskip(SKIP_2) | instid1(VALU_DEP_4)
	v_lshlrev_b64 v[26:27], 1, v[26:27]
	v_add_co_ci_u32_e32 v23, vcc_lo, v31, v23, vcc_lo
	v_add_co_u32 v24, vcc_lo, v30, v24
	v_lshlrev_b64 v[28:29], 1, v[28:29]
	v_add_co_ci_u32_e32 v25, vcc_lo, v31, v25, vcc_lo
	v_add_co_u32 v26, vcc_lo, v30, v26
	v_add_co_ci_u32_e32 v27, vcc_lo, v31, v27, vcc_lo
	s_delay_alu instid0(VALU_DEP_4)
	v_add_co_u32 v28, vcc_lo, v30, v28
	v_add_co_ci_u32_e32 v29, vcc_lo, v31, v29, vcc_lo
	s_clause 0x1
	global_store_b128 v[20:21], v[0:3], off
	global_store_b128 v[22:23], v[4:7], off
	s_waitcnt lgkmcnt(2)
	global_store_b128 v[24:25], v[8:11], off
	s_waitcnt lgkmcnt(1)
	;; [unrolled: 2-line block ×3, first 2 shown]
	global_store_b128 v[28:29], v[16:19], off
	s_nop 0
	s_sendmsg sendmsg(MSG_DEALLOC_VGPRS)
	s_endpgm
	.section	.rodata,"a",@progbits
	.p2align	6, 0x0
	.amdhsa_kernel _Z39paged_attention_ll4mi_QKV_mfma16_kernelIDF16_hLN4vllm18Fp8KVCacheDataTypeE1EDF16_Li16ELi64ELi256ELb1ELi10EL8MFMAType1EEvPKT_PKT0_S8_ifPKiSA_SA_iPKfiiiPfSD_PS3_PT2_iSC_SC_
		.amdhsa_group_segment_fixed_size 17472
		.amdhsa_private_segment_fixed_size 0
		.amdhsa_kernarg_size 400
		.amdhsa_user_sgpr_count 13
		.amdhsa_user_sgpr_dispatch_ptr 0
		.amdhsa_user_sgpr_queue_ptr 0
		.amdhsa_user_sgpr_kernarg_segment_ptr 1
		.amdhsa_user_sgpr_dispatch_id 0
		.amdhsa_user_sgpr_private_segment_size 0
		.amdhsa_wavefront_size32 1
		.amdhsa_uses_dynamic_stack 0
		.amdhsa_enable_private_segment 0
		.amdhsa_system_sgpr_workgroup_id_x 1
		.amdhsa_system_sgpr_workgroup_id_y 1
		.amdhsa_system_sgpr_workgroup_id_z 1
		.amdhsa_system_sgpr_workgroup_info 0
		.amdhsa_system_vgpr_workitem_id 0
		.amdhsa_next_free_vgpr 146
		.amdhsa_next_free_sgpr 36
		.amdhsa_reserve_vcc 1
		.amdhsa_float_round_mode_32 0
		.amdhsa_float_round_mode_16_64 0
		.amdhsa_float_denorm_mode_32 3
		.amdhsa_float_denorm_mode_16_64 3
		.amdhsa_dx10_clamp 1
		.amdhsa_ieee_mode 1
		.amdhsa_fp16_overflow 0
		.amdhsa_workgroup_processor_mode 1
		.amdhsa_memory_ordered 1
		.amdhsa_forward_progress 0
		.amdhsa_shared_vgpr_count 0
		.amdhsa_exception_fp_ieee_invalid_op 0
		.amdhsa_exception_fp_denorm_src 0
		.amdhsa_exception_fp_ieee_div_zero 0
		.amdhsa_exception_fp_ieee_overflow 0
		.amdhsa_exception_fp_ieee_underflow 0
		.amdhsa_exception_fp_ieee_inexact 0
		.amdhsa_exception_int_div_zero 0
	.end_amdhsa_kernel
	.section	.text._Z39paged_attention_ll4mi_QKV_mfma16_kernelIDF16_hLN4vllm18Fp8KVCacheDataTypeE1EDF16_Li16ELi64ELi256ELb1ELi10EL8MFMAType1EEvPKT_PKT0_S8_ifPKiSA_SA_iPKfiiiPfSD_PS3_PT2_iSC_SC_,"axG",@progbits,_Z39paged_attention_ll4mi_QKV_mfma16_kernelIDF16_hLN4vllm18Fp8KVCacheDataTypeE1EDF16_Li16ELi64ELi256ELb1ELi10EL8MFMAType1EEvPKT_PKT0_S8_ifPKiSA_SA_iPKfiiiPfSD_PS3_PT2_iSC_SC_,comdat
.Lfunc_end819:
	.size	_Z39paged_attention_ll4mi_QKV_mfma16_kernelIDF16_hLN4vllm18Fp8KVCacheDataTypeE1EDF16_Li16ELi64ELi256ELb1ELi10EL8MFMAType1EEvPKT_PKT0_S8_ifPKiSA_SA_iPKfiiiPfSD_PS3_PT2_iSC_SC_, .Lfunc_end819-_Z39paged_attention_ll4mi_QKV_mfma16_kernelIDF16_hLN4vllm18Fp8KVCacheDataTypeE1EDF16_Li16ELi64ELi256ELb1ELi10EL8MFMAType1EEvPKT_PKT0_S8_ifPKiSA_SA_iPKfiiiPfSD_PS3_PT2_iSC_SC_
                                        ; -- End function
	.section	.AMDGPU.csdata,"",@progbits
; Kernel info:
; codeLenInByte = 6540
; NumSgprs: 38
; NumVgprs: 146
; ScratchSize: 0
; MemoryBound: 0
; FloatMode: 240
; IeeeMode: 1
; LDSByteSize: 17472 bytes/workgroup (compile time only)
; SGPRBlocks: 4
; VGPRBlocks: 18
; NumSGPRsForWavesPerEU: 38
; NumVGPRsForWavesPerEU: 146
; Occupancy: 9
; WaveLimiterHint : 1
; COMPUTE_PGM_RSRC2:SCRATCH_EN: 0
; COMPUTE_PGM_RSRC2:USER_SGPR: 13
; COMPUTE_PGM_RSRC2:TRAP_HANDLER: 0
; COMPUTE_PGM_RSRC2:TGID_X_EN: 1
; COMPUTE_PGM_RSRC2:TGID_Y_EN: 1
; COMPUTE_PGM_RSRC2:TGID_Z_EN: 1
; COMPUTE_PGM_RSRC2:TIDIG_COMP_CNT: 0
	.section	.text._Z39paged_attention_ll4mi_QKV_mfma16_kernelIDF16_hLN4vllm18Fp8KVCacheDataTypeE1EDF16_Li16ELi64ELi256ELb1ELi11EL8MFMAType1EEvPKT_PKT0_S8_ifPKiSA_SA_iPKfiiiPfSD_PS3_PT2_iSC_SC_,"axG",@progbits,_Z39paged_attention_ll4mi_QKV_mfma16_kernelIDF16_hLN4vllm18Fp8KVCacheDataTypeE1EDF16_Li16ELi64ELi256ELb1ELi11EL8MFMAType1EEvPKT_PKT0_S8_ifPKiSA_SA_iPKfiiiPfSD_PS3_PT2_iSC_SC_,comdat
	.protected	_Z39paged_attention_ll4mi_QKV_mfma16_kernelIDF16_hLN4vllm18Fp8KVCacheDataTypeE1EDF16_Li16ELi64ELi256ELb1ELi11EL8MFMAType1EEvPKT_PKT0_S8_ifPKiSA_SA_iPKfiiiPfSD_PS3_PT2_iSC_SC_ ; -- Begin function _Z39paged_attention_ll4mi_QKV_mfma16_kernelIDF16_hLN4vllm18Fp8KVCacheDataTypeE1EDF16_Li16ELi64ELi256ELb1ELi11EL8MFMAType1EEvPKT_PKT0_S8_ifPKiSA_SA_iPKfiiiPfSD_PS3_PT2_iSC_SC_
	.globl	_Z39paged_attention_ll4mi_QKV_mfma16_kernelIDF16_hLN4vllm18Fp8KVCacheDataTypeE1EDF16_Li16ELi64ELi256ELb1ELi11EL8MFMAType1EEvPKT_PKT0_S8_ifPKiSA_SA_iPKfiiiPfSD_PS3_PT2_iSC_SC_
	.p2align	8
	.type	_Z39paged_attention_ll4mi_QKV_mfma16_kernelIDF16_hLN4vllm18Fp8KVCacheDataTypeE1EDF16_Li16ELi64ELi256ELb1ELi11EL8MFMAType1EEvPKT_PKT0_S8_ifPKiSA_SA_iPKfiiiPfSD_PS3_PT2_iSC_SC_,@function
_Z39paged_attention_ll4mi_QKV_mfma16_kernelIDF16_hLN4vllm18Fp8KVCacheDataTypeE1EDF16_Li16ELi64ELi256ELb1ELi11EL8MFMAType1EEvPKT_PKT0_S8_ifPKiSA_SA_iPKfiiiPfSD_PS3_PT2_iSC_SC_: ; @_Z39paged_attention_ll4mi_QKV_mfma16_kernelIDF16_hLN4vllm18Fp8KVCacheDataTypeE1EDF16_Li16ELi64ELi256ELb1ELi11EL8MFMAType1EEvPKT_PKT0_S8_ifPKiSA_SA_iPKfiiiPfSD_PS3_PT2_iSC_SC_
; %bb.0:
	s_load_b64 s[2:3], s[0:1], 0x30
	s_mov_b32 s34, s13
	s_waitcnt lgkmcnt(0)
	s_cmp_lg_u64 s[2:3], 0
	s_cselect_b32 s6, -1, 0
	s_ashr_i32 s35, s13, 31
	s_cmp_eq_u64 s[2:3], 0
	s_cbranch_scc1 .LBB820_3
; %bb.1:
	s_lshl_b64 s[4:5], s[34:35], 2
	s_delay_alu instid0(SALU_CYCLE_1) | instskip(SKIP_4) | instid1(SALU_CYCLE_1)
	s_add_u32 s4, s2, s4
	s_addc_u32 s5, s3, s5
	s_load_b64 s[4:5], s[4:5], 0x0
	s_waitcnt lgkmcnt(0)
	s_sub_i32 s4, s5, s4
	s_cmp_eq_u32 s4, 1
	s_cselect_b32 s4, -1, 0
	s_delay_alu instid0(SALU_CYCLE_1)
	s_and_not1_b32 vcc_lo, exec_lo, s4
	s_cbranch_vccz .LBB820_4
.LBB820_2:
	s_nop 0
	s_sendmsg sendmsg(MSG_DEALLOC_VGPRS)
	s_endpgm
.LBB820_3:
.LBB820_4:
	s_load_b64 s[8:9], s[0:1], 0x28
	s_lshl_b64 s[4:5], s[34:35], 2
	s_waitcnt lgkmcnt(0)
	s_add_u32 s8, s8, s4
	s_addc_u32 s9, s9, s5
	s_lshl_b32 s16, s14, 8
	s_load_b32 s18, s[8:9], 0x0
	s_waitcnt lgkmcnt(0)
	s_cmp_ge_i32 s16, s18
	s_cbranch_scc1 .LBB820_2
; %bb.5:
	s_clause 0x1
	s_load_b128 s[8:11], s[0:1], 0x8
	s_load_b64 s[12:13], s[0:1], 0x20
	s_and_not1_b32 vcc_lo, exec_lo, s6
	s_cbranch_vccnz .LBB820_7
; %bb.6:
	s_add_u32 s2, s2, s4
	s_addc_u32 s3, s3, s5
	s_load_b32 s3, s[2:3], 0x0
	s_branch .LBB820_8
.LBB820_7:
	s_mov_b32 s3, s34
.LBB820_8:
	s_load_b128 s[4:7], s[0:1], 0x48
	v_lshrrev_b32_e32 v69, 5, v0
	v_bfe_u32 v66, v0, 4, 1
	v_and_b32_e32 v68, 15, v0
	v_and_b32_e32 v70, 31, v0
	v_and_b32_e32 v67, 1, v0
	s_mul_i32 s33, s15, 11
	v_lshl_or_b32 v1, v69, 1, v66
	v_lshlrev_b32_e32 v2, 3, v68
	v_cmp_gt_u32_e64 s2, 8, v68
	s_delay_alu instid0(VALU_DEP_3) | instskip(NEXT) | instid1(VALU_DEP_3)
	v_cmp_gt_u32_e32 vcc_lo, 11, v1
	v_lshlrev_b32_e32 v65, 1, v2
	s_delay_alu instid0(VALU_DEP_3)
	s_and_b32 s17, s2, vcc_lo
	s_waitcnt lgkmcnt(0)
	s_and_saveexec_b32 s7, s17
	s_cbranch_execz .LBB820_10
; %bb.9:
	s_load_b64 s[20:21], s[0:1], 0x0
	v_add_lshl_u32 v2, v1, s33, 6
	s_mul_hi_i32 s23, s3, s4
	s_mul_i32 s22, s3, s4
	v_lshlrev_b32_e32 v6, 10, v68
	s_lshl_b64 s[22:23], s[22:23], 1
	v_ashrrev_i32_e32 v3, 31, v2
	v_lshlrev_b32_e32 v1, 6, v1
	v_lshlrev_b32_e32 v7, 10, v67
	v_and_b32_e32 v6, 0x3800, v6
	s_delay_alu instid0(VALU_DEP_4) | instskip(NEXT) | instid1(VALU_DEP_2)
	v_lshlrev_b64 v[2:3], 1, v[2:3]
	v_or3_b32 v1, v6, v7, v1
	s_waitcnt lgkmcnt(0)
	s_add_u32 s3, s20, s22
	s_addc_u32 s4, s21, s23
	s_delay_alu instid0(VALU_DEP_2) | instskip(SKIP_1) | instid1(VALU_DEP_2)
	v_add_co_u32 v2, vcc_lo, s3, v2
	v_add_co_ci_u32_e32 v3, vcc_lo, s4, v3, vcc_lo
	v_add_co_u32 v2, vcc_lo, v2, v65
	s_delay_alu instid0(VALU_DEP_2)
	v_add_co_ci_u32_e32 v3, vcc_lo, 0, v3, vcc_lo
	global_load_b128 v[2:5], v[2:3], off
	s_waitcnt vmcnt(0)
	ds_store_b128 v1, v[2:5]
.LBB820_10:
	s_or_b32 exec_lo, exec_lo, s7
	v_and_b32_e32 v1, 0xef, v0
	s_add_i32 s3, s18, 15
	s_clause 0x1
	s_load_b32 s4, s[0:1], 0x38
	s_load_b32 s35, s[0:1], 0x98
	s_ashr_i32 s7, s3, 31
	v_add_nc_u32_e32 v1, s16, v1
	s_lshr_b32 s7, s7, 28
	s_load_b32 s19, s[0:1], 0x1c
	v_add_nc_u32_e32 v103, -11, v68
	s_add_i32 s3, s3, s7
	v_ashrrev_i32_e32 v2, 31, v1
	v_or_b32_e32 v3, 16, v1
	s_ashr_i32 s3, s3, 4
	v_cmp_gt_i32_e32 vcc_lo, s18, v1
	s_add_i32 s3, s3, -1
	v_lshrrev_b32_e32 v2, 28, v2
	s_waitcnt lgkmcnt(0)
	s_barrier
	buffer_gl0_inv
	s_mul_i32 s15, s15, s6
	v_add_nc_u32_e32 v4, v1, v2
	v_mbcnt_lo_u32_b32 v127, -1, 0
	s_mul_i32 s20, s34, s4
	s_delay_alu instid0(SALU_CYCLE_1) | instskip(NEXT) | instid1(VALU_DEP_2)
	s_ashr_i32 s21, s20, 31
	v_ashrrev_i32_e32 v4, 4, v4
	v_add_nc_u32_e32 v2, v3, v2
	s_lshl_b64 s[20:21], s[20:21], 2
	v_xor_b32_e32 v128, 16, v127
	s_add_u32 s17, s12, s20
	v_cndmask_b32_e32 v1, s3, v4, vcc_lo
	v_ashrrev_i32_e32 v2, 4, v2
	v_cmp_gt_i32_e32 vcc_lo, s18, v3
	s_addc_u32 s13, s13, s21
	s_ashr_i32 s20, s15, 31
	s_add_u32 s4, s8, s15
	s_addc_u32 s12, s9, s20
	v_cndmask_b32_e32 v3, s3, v2, vcc_lo
	v_ashrrev_i32_e32 v2, 31, v1
	s_lshl_b32 s6, s14, 4
	s_delay_alu instid0(SALU_CYCLE_1) | instskip(NEXT) | instid1(VALU_DEP_2)
	s_ashr_i32 s7, s6, 31
	v_ashrrev_i32_e32 v4, 31, v3
	s_delay_alu instid0(VALU_DEP_2) | instskip(SKIP_1) | instid1(SALU_CYCLE_1)
	v_lshlrev_b64 v[1:2], 2, v[1:2]
	s_lshl_b64 s[6:7], s[6:7], 2
	s_add_u32 s6, s17, s6
	s_delay_alu instid0(VALU_DEP_2) | instskip(SKIP_1) | instid1(VALU_DEP_2)
	v_lshlrev_b64 v[3:4], 2, v[3:4]
	s_addc_u32 s7, s13, s7
	v_add_co_u32 v1, vcc_lo, s17, v1
	v_add_co_ci_u32_e32 v2, vcc_lo, s13, v2, vcc_lo
	s_delay_alu instid0(VALU_DEP_3) | instskip(NEXT) | instid1(VALU_DEP_4)
	v_add_co_u32 v3, vcc_lo, s17, v3
	v_add_co_ci_u32_e32 v4, vcc_lo, s13, v4, vcc_lo
	s_clause 0x1
	global_load_b32 v5, v[1:2], off
	global_load_b32 v7, v[3:4], off
	s_or_b32 s8, s16, 32
	v_lshlrev_b32_e32 v1, 4, v0
	s_ashr_i32 s9, s8, 4
	s_cmp_lt_i32 s8, s18
	v_cmp_gt_u32_e32 vcc_lo, 11, v68
	s_cselect_b32 s8, s9, s3
	v_and_b32_e32 v1, 0xf0, v1
	s_ashr_i32 s9, s8, 31
	s_delay_alu instid0(SALU_CYCLE_1)
	s_lshl_b64 s[8:9], s[8:9], 2
	v_cndmask_b32_e32 v103, v103, v68, vcc_lo
	s_add_u32 s8, s17, s8
	s_addc_u32 s9, s13, s9
	s_or_b32 s21, s16, 64
	v_add_co_u32 v1, s4, s4, v1
	s_ashr_i32 s22, s21, 4
	s_cmp_lt_i32 s21, s18
	v_add_co_ci_u32_e64 v2, null, s12, 0, s4
	s_cselect_b32 s22, s22, s3
	v_cmp_gt_i32_e32 vcc_lo, 32, v128
	s_ashr_i32 s23, s22, 31
	v_lshlrev_b32_e32 v115, 6, v103
	s_lshl_b64 s[22:23], s[22:23], 2
	v_cndmask_b32_e32 v136, v127, v128, vcc_lo
	s_add_u32 s22, s17, s22
	s_addc_u32 s23, s13, s23
	s_or_b32 s21, s16, 0x60
	s_delay_alu instid0(SALU_CYCLE_1) | instskip(SKIP_2) | instid1(SALU_CYCLE_1)
	s_ashr_i32 s24, s21, 4
	s_cmp_lt_i32 s21, s18
	s_cselect_b32 s24, s24, s3
	s_ashr_i32 s25, s24, 31
	s_delay_alu instid0(SALU_CYCLE_1) | instskip(NEXT) | instid1(SALU_CYCLE_1)
	s_lshl_b64 s[24:25], s[24:25], 2
	s_add_u32 s24, s17, s24
	s_addc_u32 s25, s13, s25
	s_or_b32 s21, s16, 0x80
	s_delay_alu instid0(SALU_CYCLE_1) | instskip(SKIP_2) | instid1(SALU_CYCLE_1)
	s_ashr_i32 s26, s21, 4
	s_cmp_lt_i32 s21, s18
	s_cselect_b32 s26, s26, s3
	s_ashr_i32 s27, s26, 31
	s_delay_alu instid0(SALU_CYCLE_1) | instskip(NEXT) | instid1(SALU_CYCLE_1)
	s_lshl_b64 s[26:27], s[26:27], 2
	;; [unrolled: 10-line block ×3, first 2 shown]
	s_add_u32 s28, s17, s28
	s_addc_u32 s29, s13, s29
	s_clause 0x5
	s_load_b32 s12, s[6:7], 0x0
	s_load_b32 s4, s[8:9], 0x0
	;; [unrolled: 1-line block ×6, first 2 shown]
	s_or_b32 s21, s16, 0xc0
	s_delay_alu instid0(SALU_CYCLE_1) | instskip(SKIP_2) | instid1(SALU_CYCLE_1)
	s_ashr_i32 s22, s21, 4
	s_cmp_lt_i32 s21, s18
	s_cselect_b32 s22, s22, s3
	s_ashr_i32 s23, s22, 31
	s_delay_alu instid0(SALU_CYCLE_1) | instskip(NEXT) | instid1(SALU_CYCLE_1)
	s_lshl_b64 s[22:23], s[22:23], 2
	s_add_u32 s22, s17, s22
	s_addc_u32 s23, s13, s23
	s_or_b32 s21, s16, 0xe0
	s_delay_alu instid0(SALU_CYCLE_1) | instskip(SKIP_2) | instid1(SALU_CYCLE_1)
	s_ashr_i32 s24, s21, 4
	s_cmp_lt_i32 s21, s18
	s_cselect_b32 s24, s24, s3
	s_ashr_i32 s25, s24, 31
	s_delay_alu instid0(SALU_CYCLE_1)
	s_lshl_b64 s[24:25], s[24:25], 2
	s_waitcnt vmcnt(1)
	v_mad_i64_i32 v[3:4], null, v5, s5, v[1:2]
	s_waitcnt vmcnt(0)
	v_mad_i64_i32 v[5:6], null, v7, s5, v[1:2]
	v_lshlrev_b32_e32 v1, 4, v68
	s_clause 0x7
	global_load_b128 v[71:74], v[3:4], off
	global_load_b128 v[75:78], v[3:4], off offset:256
	global_load_b128 v[79:82], v[5:6], off
	global_load_b128 v[83:86], v[5:6], off offset:256
	global_load_b128 v[87:90], v[3:4], off offset:512
	global_load_b128 v[91:94], v[3:4], off offset:768
	global_load_b128 v[95:98], v[5:6], off offset:512
	global_load_b128 v[99:102], v[5:6], off offset:768
	v_lshl_or_b32 v1, v69, 8, v1
	s_load_b32 s3, s[22:23], 0x0
	s_add_u32 s22, s17, s24
	s_addc_u32 s23, s13, s25
	s_add_u32 s10, s10, s15
	s_addc_u32 s11, s11, s20
	v_add_co_u32 v1, s10, s10, v1
	s_delay_alu instid0(VALU_DEP_1) | instskip(SKIP_2) | instid1(VALU_DEP_1)
	v_add_co_ci_u32_e64 v2, null, s11, 0, s10
	s_load_b32 s10, s[22:23], 0x0
	s_waitcnt lgkmcnt(0)
	v_mad_i64_i32 v[3:4], null, s12, s5, v[1:2]
	v_mad_i64_i32 v[9:10], null, s7, s5, v[1:2]
	;; [unrolled: 1-line block ×7, first 2 shown]
	s_clause 0x5
	global_load_b128 v[49:52], v[3:4], off
	global_load_b128 v[53:56], v[3:4], off offset:16
	global_load_b128 v[41:44], v[5:6], off
	global_load_b128 v[45:48], v[5:6], off offset:16
	;; [unrolled: 2-line block ×3, first 2 shown]
	s_mov_b32 s4, 0
	v_mad_i64_i32 v[61:62], null, s10, s5, v[1:2]
	s_clause 0x9
	global_load_b128 v[1:4], v[9:10], off
	global_load_b128 v[5:8], v[9:10], off offset:16
	global_load_b128 v[9:12], v[13:14], off
	global_load_b128 v[13:16], v[13:14], off offset:16
	;; [unrolled: 2-line block ×5, first 2 shown]
	s_mov_b32 s5, s4
	s_mov_b32 s6, s4
	;; [unrolled: 1-line block ×7, first 2 shown]
	v_and_b32_e32 v104, 0xe0, v0
	v_dual_mov_b32 v126, s11 :: v_dual_mov_b32 v125, s10
	v_dual_mov_b32 v124, s9 :: v_dual_mov_b32 v123, s8
	s_delay_alu instid0(VALU_DEP_3)
	v_add_nc_u32_e32 v111, s16, v104
	ds_load_b128 v[103:106], v115
	ds_load_b128 v[107:110], v115 offset:1024
	v_dual_mov_b32 v122, s7 :: v_dual_mov_b32 v121, s6
	v_mov_b32_e32 v120, s5
	v_or_b32_e32 v135, v111, v66
	ds_load_b128 v[111:114], v115 offset:2048
	ds_load_b128 v[115:118], v115 offset:3072
	v_mov_b32_e32 v119, s4
	s_waitcnt vmcnt(0) lgkmcnt(0)
	s_barrier
	v_or_b32_e32 v137, 2, v135
	v_or_b32_e32 v138, 4, v135
	;; [unrolled: 1-line block ×3, first 2 shown]
	v_cmp_gt_i32_e32 vcc_lo, s18, v135
	v_or_b32_e32 v140, 8, v135
	v_cmp_gt_i32_e64 s3, s18, v137
	v_or_b32_e32 v141, 10, v135
	v_cmp_gt_i32_e64 s4, s18, v138
	v_cmp_gt_i32_e64 s5, s18, v139
	v_or_b32_e32 v142, 12, v135
	v_or_b32_e32 v143, 14, v135
	v_cmp_gt_i32_e64 s6, s18, v140
	v_cmp_gt_i32_e64 s7, s18, v141
	v_or_b32_e32 v144, 16, v135
	v_or_b32_e32 v145, 18, v135
	v_cmp_gt_i32_e64 s8, s18, v142
	v_cmp_gt_i32_e64 s9, s18, v143
	buffer_gl0_inv
	v_cmp_gt_i32_e64 s10, s18, v144
	v_cmp_gt_i32_e64 s11, s18, v145
	v_wmma_f32_16x16x16_f16 v[127:134], v[71:78], v[103:110], v[119:126]
	v_wmma_f32_16x16x16_f16 v[119:126], v[79:86], v[103:110], v[119:126]
	v_or_b32_e32 v71, 20, v135
	v_or_b32_e32 v72, 22, v135
	s_delay_alu instid0(VALU_DEP_4)
	v_wmma_f32_16x16x16_f16 v[127:134], v[87:94], v[111:118], v[127:134]
	v_or_b32_e32 v73, 24, v135
	v_wmma_f32_16x16x16_f16 v[119:126], v[95:102], v[111:118], v[119:126]
	v_or_b32_e32 v74, 26, v135
	v_cmp_gt_i32_e64 s12, s18, v71
	v_dual_mul_f32 v83, s19, v128 :: v_dual_mul_f32 v84, s19, v127
	v_dual_mul_f32 v81, s19, v130 :: v_dual_mul_f32 v82, s19, v129
	;; [unrolled: 1-line block ×3, first 2 shown]
	s_delay_alu instid0(VALU_DEP_3) | instskip(NEXT) | instid1(VALU_DEP_4)
	v_cndmask_b32_e32 v84, 0xff7fffff, v84, vcc_lo
	v_cndmask_b32_e64 v83, 0xff7fffff, v83, s3
	v_mul_f32_e32 v80, s19, v131
	v_cndmask_b32_e64 v82, 0xff7fffff, v82, s4
	v_cndmask_b32_e64 v81, 0xff7fffff, v81, s5
	v_dual_mul_f32 v77, s19, v134 :: v_dual_mul_f32 v90, s19, v121
	v_max3_f32 v83, v84, 0xff7fffff, v83
	v_mul_f32_e32 v78, s19, v133
	v_cndmask_b32_e64 v80, 0xff7fffff, v80, s6
	v_cndmask_b32_e64 v79, 0xff7fffff, v79, s7
	v_mul_f32_e32 v91, s19, v120
	v_max3_f32 v81, v83, v82, v81
	v_cndmask_b32_e64 v78, 0xff7fffff, v78, s8
	v_cndmask_b32_e64 v77, 0xff7fffff, v77, s9
	v_mul_f32_e32 v89, s19, v122
	v_cmp_gt_i32_e64 s13, s18, v72
	v_max3_f32 v79, v81, v80, v79
	v_cndmask_b32_e64 v80, 0xff7fffff, v92, s10
	v_cndmask_b32_e64 v81, 0xff7fffff, v91, s11
	v_or_b32_e32 v75, 28, v135
	v_or_b32_e32 v76, 30, v135
	v_max3_f32 v77, v79, v78, v77
	v_dual_mul_f32 v87, s19, v124 :: v_dual_mul_f32 v88, s19, v123
	v_cndmask_b32_e64 v71, 0xff7fffff, v90, s12
	v_cndmask_b32_e64 v72, 0xff7fffff, v89, s13
	s_delay_alu instid0(VALU_DEP_4) | instskip(SKIP_3) | instid1(VALU_DEP_4)
	v_max3_f32 v77, v77, v80, v81
	v_cmp_gt_i32_e64 s15, s18, v73
	v_cmp_gt_i32_e64 s16, s18, v74
	v_dual_mul_f32 v85, s19, v126 :: v_dual_mul_f32 v86, s19, v125
	v_max3_f32 v71, v77, v71, v72
	s_delay_alu instid0(VALU_DEP_4) | instskip(NEXT) | instid1(VALU_DEP_4)
	v_cndmask_b32_e64 v73, 0xff7fffff, v88, s15
	v_cndmask_b32_e64 v74, 0xff7fffff, v87, s16
	v_cmp_gt_i32_e64 s17, s18, v75
	v_cmp_gt_i32_e64 s18, s18, v76
	s_delay_alu instid0(VALU_DEP_3) | instskip(NEXT) | instid1(VALU_DEP_3)
	v_max3_f32 v71, v71, v73, v74
	v_cndmask_b32_e64 v72, 0xff7fffff, v86, s17
	s_delay_alu instid0(VALU_DEP_3) | instskip(SKIP_1) | instid1(VALU_DEP_2)
	v_cndmask_b32_e64 v75, 0xff7fffff, v85, s18
	v_lshlrev_b32_e32 v73, 2, v136
	v_max3_f32 v71, v71, v72, v75
	ds_bpermute_b32 v72, v73, v71
	s_waitcnt lgkmcnt(0)
	v_max_f32_e32 v72, v72, v72
	s_delay_alu instid0(VALU_DEP_1) | instskip(NEXT) | instid1(VALU_DEP_1)
	v_max_f32_e32 v71, v71, v72
	v_fma_f32 v72, s19, v127, -v71
	v_fma_f32 v74, s19, v128, -v71
	;; [unrolled: 1-line block ×5, first 2 shown]
	v_mul_f32_e32 v72, 0x3fb8aa3b, v72
	s_delay_alu instid0(VALU_DEP_4) | instskip(NEXT) | instid1(VALU_DEP_4)
	v_dual_mul_f32 v74, 0x3fb8aa3b, v74 :: v_dual_mul_f32 v75, 0x3fb8aa3b, v75
	v_mul_f32_e32 v76, 0x3fb8aa3b, v76
	s_delay_alu instid0(VALU_DEP_4) | instskip(NEXT) | instid1(VALU_DEP_4)
	v_mul_f32_e32 v82, 0x3fb8aa3b, v80
	v_exp_f32_e32 v72, v72
	s_delay_alu instid0(VALU_DEP_3)
	v_exp_f32_e32 v74, v74
	v_exp_f32_e32 v75, v75
	;; [unrolled: 1-line block ×3, first 2 shown]
	v_fma_f32 v77, s19, v131, -v71
	v_exp_f32_e32 v84, v82
	v_cndmask_b32_e32 v79, 0, v72, vcc_lo
	v_cndmask_b32_e64 v78, 0, v74, s3
	s_delay_alu instid0(TRANS32_DEP_3) | instskip(SKIP_1) | instid1(TRANS32_DEP_2)
	v_cndmask_b32_e64 v81, 0, v75, s4
	v_fma_f32 v72, s19, v132, -v71
	v_cndmask_b32_e64 v80, 0, v76, s5
	v_add_f32_e32 v74, 0, v79
	s_delay_alu instid0(TRANS32_DEP_1) | instskip(SKIP_2) | instid1(VALU_DEP_4)
	v_cndmask_b32_e64 v85, 0, v84, s8
	v_cmp_gt_u32_e64 s3, 16, v70
	v_mul_f32_e32 v72, 0x3fb8aa3b, v72
	v_add_f32_e32 v74, v74, v78
	s_delay_alu instid0(VALU_DEP_2) | instskip(NEXT) | instid1(VALU_DEP_1)
	v_exp_f32_e32 v72, v72
	v_add_f32_e32 v74, v74, v81
	s_delay_alu instid0(VALU_DEP_1) | instskip(NEXT) | instid1(VALU_DEP_1)
	v_dual_mul_f32 v77, 0x3fb8aa3b, v77 :: v_dual_add_f32 v74, v74, v80
	v_exp_f32_e32 v77, v77
	s_waitcnt_depctr 0xfff
	v_cndmask_b32_e64 v82, 0, v72, s7
	v_cndmask_b32_e64 v83, 0, v77, s6
	s_delay_alu instid0(VALU_DEP_1) | instskip(SKIP_4) | instid1(VALU_DEP_4)
	v_add_f32_e32 v72, v74, v83
	v_fma_f32 v75, s19, v134, -v71
	v_fma_f32 v76, s19, v119, -v71
	;; [unrolled: 1-line block ×4, first 2 shown]
	v_dual_add_f32 v72, v72, v82 :: v_dual_mul_f32 v75, 0x3fb8aa3b, v75
	s_delay_alu instid0(VALU_DEP_3) | instskip(NEXT) | instid1(VALU_DEP_3)
	v_dual_mul_f32 v76, 0x3fb8aa3b, v76 :: v_dual_mul_f32 v77, 0x3fb8aa3b, v77
	v_mul_f32_e32 v74, 0x3fb8aa3b, v74
	v_fma_f32 v86, s19, v122, -v71
	s_delay_alu instid0(VALU_DEP_4) | instskip(NEXT) | instid1(VALU_DEP_3)
	v_exp_f32_e32 v75, v75
	v_exp_f32_e32 v76, v76
	;; [unrolled: 1-line block ×4, first 2 shown]
	v_mul_f32_e32 v86, 0x3fb8aa3b, v86
	s_delay_alu instid0(VALU_DEP_1)
	v_exp_f32_e32 v88, v86
	v_cndmask_b32_e64 v84, 0, v75, s9
	v_fma_f32 v75, s19, v123, -v71
	v_add_f32_e32 v72, v72, v85
	v_cndmask_b32_e64 v87, 0, v76, s10
	v_fma_f32 v76, s19, v124, -v71
	s_delay_alu instid0(TRANS32_DEP_3) | instskip(NEXT) | instid1(VALU_DEP_4)
	v_cndmask_b32_e64 v86, 0, v77, s11
	v_dual_mul_f32 v75, 0x3fb8aa3b, v75 :: v_dual_add_f32 v72, v72, v84
	v_fma_f32 v77, s19, v125, -v71
	s_delay_alu instid0(VALU_DEP_4) | instskip(SKIP_1) | instid1(VALU_DEP_4)
	v_mul_f32_e32 v76, 0x3fb8aa3b, v76
	v_cndmask_b32_e64 v89, 0, v74, s12
	v_exp_f32_e32 v75, v75
	v_add_f32_e32 v72, v72, v87
	v_mul_f32_e32 v74, 0x3fb8aa3b, v77
	v_exp_f32_e32 v76, v76
	v_cndmask_b32_e64 v88, 0, v88, s13
	v_fma_f32 v77, s19, v126, -v71
	v_add_f32_e32 v72, v72, v86
	v_exp_f32_e32 v74, v74
	s_delay_alu instid0(TRANS32_DEP_3) | instskip(NEXT) | instid1(VALU_DEP_2)
	v_cndmask_b32_e64 v91, 0, v75, s15
	v_add_f32_e32 v72, v72, v89
	v_mul_f32_e32 v75, 0x3fb8aa3b, v77
	s_delay_alu instid0(TRANS32_DEP_2) | instskip(NEXT) | instid1(VALU_DEP_3)
	v_cndmask_b32_e64 v90, 0, v76, s16
	v_add_f32_e32 v72, v72, v88
	s_delay_alu instid0(VALU_DEP_3) | instskip(NEXT) | instid1(TRANS32_DEP_2)
	v_exp_f32_e32 v75, v75
	v_cndmask_b32_e64 v93, 0, v74, s17
	s_delay_alu instid0(VALU_DEP_2) | instskip(NEXT) | instid1(VALU_DEP_1)
	v_add_f32_e32 v72, v72, v91
	v_add_f32_e32 v72, v72, v90
	s_waitcnt_depctr 0xfff
	v_cndmask_b32_e64 v92, 0, v75, s18
	v_add_f32_e32 v72, v72, v93
	s_delay_alu instid0(VALU_DEP_1)
	v_add_f32_e32 v72, v72, v92
	ds_bpermute_b32 v73, v73, v72
	s_and_saveexec_b32 s4, s3
	s_cbranch_execz .LBB820_12
; %bb.11:
	v_mul_u32_u24_e32 v70, 0x44, v69
	s_waitcnt lgkmcnt(0)
	v_add_f32_e32 v72, v72, v73
	s_delay_alu instid0(VALU_DEP_2) | instskip(NEXT) | instid1(VALU_DEP_1)
	v_lshl_add_u32 v70, v68, 2, v70
	v_add_nc_u32_e32 v70, 0x4000, v70
	ds_store_2addr_b32 v70, v71, v72 offset1:136
.LBB820_12:
	s_or_b32 exec_lo, exec_lo, s4
	v_lshlrev_b32_e32 v70, 2, v68
	s_load_b32 s36, s[0:1], 0x94
	s_waitcnt lgkmcnt(0)
	s_barrier
	buffer_gl0_inv
	v_add_nc_u32_e32 v98, 0x4000, v70
	v_cmp_eq_u32_e32 vcc_lo, 1, v69
	v_cmp_eq_u32_e64 s4, 2, v69
	v_cmp_eq_u32_e64 s5, 3, v69
	;; [unrolled: 1-line block ×3, first 2 shown]
	ds_load_2addr_b32 v[70:71], v98 offset1:17
	ds_load_2addr_b32 v[72:73], v98 offset0:34 offset1:51
	ds_load_2addr_b32 v[74:75], v98 offset0:68 offset1:85
	;; [unrolled: 1-line block ×3, first 2 shown]
	v_cmp_eq_u32_e64 s7, 5, v69
	v_cmp_eq_u32_e64 s8, 7, v69
	s_waitcnt lgkmcnt(3)
	v_max3_f32 v76, v70, 0xff7fffff, v71
	s_waitcnt lgkmcnt(2)
	s_delay_alu instid0(VALU_DEP_1) | instskip(SKIP_1) | instid1(VALU_DEP_1)
	v_max3_f32 v76, v76, v72, v73
	s_waitcnt lgkmcnt(1)
	v_max3_f32 v76, v76, v74, v75
	s_waitcnt lgkmcnt(0)
	s_delay_alu instid0(VALU_DEP_1) | instskip(NEXT) | instid1(VALU_DEP_1)
	v_max3_f32 v76, v76, v94, v95
	v_sub_f32_e32 v77, v71, v76
	ds_load_2addr_b32 v[96:97], v98 offset0:136 offset1:153
	v_sub_f32_e32 v74, v74, v76
	v_sub_f32_e32 v70, v70, v76
	v_sub_f32_e32 v94, v94, v76
	v_dual_sub_f32 v72, v72, v76 :: v_dual_mul_f32 v77, 0x3fb8aa3b, v77
	s_delay_alu instid0(VALU_DEP_4) | instskip(NEXT) | instid1(VALU_DEP_4)
	v_mul_f32_e32 v103, 0x3fb8aa3b, v74
	v_mul_f32_e32 v99, 0x3fb8aa3b, v70
	ds_load_2addr_b32 v[70:71], v98 offset0:170 offset1:187
	v_dual_mul_f32 v101, 0x3fb8aa3b, v72 :: v_dual_mul_f32 v94, 0x3fb8aa3b, v94
	v_exp_f32_e32 v102, v77
	v_exp_f32_e32 v99, v99
	s_delay_alu instid0(VALU_DEP_1) | instskip(NEXT) | instid1(VALU_DEP_1)
	v_exp_f32_e32 v101, v101
	v_exp_f32_e32 v94, v94
	s_waitcnt lgkmcnt(1)
	s_delay_alu instid0(TRANS32_DEP_3)
	v_fma_f32 v77, v99, v96, 0
	v_sub_f32_e32 v100, v73, v76
	ds_load_2addr_b32 v[72:73], v98 offset0:204 offset1:221
	v_fmac_f32_e32 v77, v102, v97
	v_exp_f32_e32 v97, v103
	s_waitcnt lgkmcnt(1)
	s_delay_alu instid0(VALU_DEP_1)
	v_dual_fmac_f32 v77, v101, v70 :: v_dual_sub_f32 v96, v75, v76
	ds_load_2addr_b32 v[74:75], v98 offset0:238 offset1:255
	v_sub_f32_e32 v70, v95, v76
	s_waitcnt lgkmcnt(0)
	s_barrier
	v_mul_f32_e32 v96, 0x3fb8aa3b, v96
	buffer_gl0_inv
	v_exp_f32_e32 v95, v96
	v_mul_f32_e32 v100, 0x3fb8aa3b, v100
	s_delay_alu instid0(VALU_DEP_1) | instskip(SKIP_3) | instid1(VALU_DEP_2)
	v_exp_f32_e32 v100, v100
	s_waitcnt_depctr 0xfff
	v_dual_fmac_f32 v77, v100, v71 :: v_dual_mul_f32 v70, 0x3fb8aa3b, v70
	v_cndmask_b32_e32 v71, v99, v102, vcc_lo
	v_fmac_f32_e32 v77, v97, v72
	s_delay_alu instid0(VALU_DEP_3) | instskip(NEXT) | instid1(VALU_DEP_1)
	v_exp_f32_e32 v96, v70
	v_fmac_f32_e32 v77, v95, v73
	s_delay_alu instid0(VALU_DEP_1) | instskip(SKIP_2) | instid1(VALU_DEP_1)
	v_fmac_f32_e32 v77, v94, v74
	s_waitcnt_depctr 0xfff
	v_fmac_f32_e32 v77, v96, v75
	v_add_f32_e32 v74, 0x358637bd, v77
	s_delay_alu instid0(VALU_DEP_1) | instskip(SKIP_1) | instid1(VALU_DEP_2)
	v_div_scale_f32 v98, null, v74, v74, 1.0
	v_div_scale_f32 v99, vcc_lo, 1.0, v74, 1.0
	v_rcp_f32_e32 v103, v98
	s_waitcnt_depctr 0xfff
	v_fma_f32 v70, -v98, v103, 1.0
	s_delay_alu instid0(VALU_DEP_1) | instskip(SKIP_2) | instid1(VALU_DEP_2)
	v_fmac_f32_e32 v103, v70, v103
	v_cndmask_b32_e64 v70, v71, v101, s4
	v_cmp_eq_u32_e64 s4, 6, v69
	v_cndmask_b32_e64 v71, v70, v100, s5
	s_delay_alu instid0(VALU_DEP_4) | instskip(NEXT) | instid1(VALU_DEP_2)
	v_dual_mul_f32 v101, v99, v103 :: v_dual_lshlrev_b32 v70, 2, v66
	v_cndmask_b32_e64 v71, v71, v97, s6
	s_delay_alu instid0(VALU_DEP_2) | instskip(NEXT) | instid1(VALU_DEP_3)
	v_or_b32_e32 v72, 1, v70
	v_fma_f32 v100, -v98, v101, v99
	v_cmp_eq_u32_e64 s5, 1, v70
	v_cmp_eq_u32_e64 s6, 2, v70
	v_cndmask_b32_e64 v95, v71, v95, s7
	v_or_b32_e32 v71, 3, v70
	v_fmac_f32_e32 v101, v100, v103
	v_cmp_eq_u32_e64 s10, 1, v72
	v_cmp_eq_u32_e64 s13, 2, v72
	v_cndmask_b32_e64 v94, v95, v94, s4
	v_cmp_eq_u32_e64 s12, 1, v71
	v_fma_f32 v97, -v98, v101, v99
	v_cmp_eq_u32_e64 s17, 2, v71
	v_cmp_eq_u32_e64 s15, 3, v72
	v_cndmask_b32_e64 v94, v94, v96, s8
	v_cmp_eq_u32_e64 s19, 3, v71
	v_div_fmas_f32 v95, v97, v103, v101
	v_cmp_eq_u32_e32 vcc_lo, 3, v70
	v_cmp_eq_u32_e64 s4, 4, v70
	v_cmp_eq_u32_e64 s20, 4, v72
	v_cmp_eq_u32_e64 s23, 4, v71
	v_div_fixup_f32 v95, v95, v74, 1.0
	v_lshlrev_b32_e32 v73, 6, v68
	v_cmp_eq_u32_e64 s7, 5, v70
	v_cmp_eq_u32_e64 s21, 5, v72
	;; [unrolled: 1-line block ×3, first 2 shown]
	v_mul_f32_e32 v102, v94, v95
	v_lshl_or_b32 v75, v69, 11, v73
	v_or_b32_e32 v69, 2, v70
	v_cmp_eq_u32_e64 s26, 6, v72
	v_cmp_eq_u32_e64 s28, 6, v71
	v_fma_mixlo_f16 v94, v102, v79, 0
	v_fma_mixlo_f16 v95, v102, v81, 0
	;; [unrolled: 1-line block ×8, first 2 shown]
	v_lshl_or_b32 v74, v66, 4, v75
	v_fma_mixhi_f16 v94, v102, v78, 0
	v_fma_mixhi_f16 v95, v102, v80, 0
	;; [unrolled: 1-line block ×8, first 2 shown]
	ds_store_b128 v74, v[94:97]
	ds_store_b128 v74, v[98:101] offset:1024
	s_waitcnt lgkmcnt(0)
	s_barrier
	buffer_gl0_inv
	ds_load_b128 v[78:81], v75
	ds_load_b128 v[82:85], v75 offset:16
	ds_load_b128 v[86:89], v75 offset:1024
	;; [unrolled: 1-line block ×3, first 2 shown]
	v_cmp_eq_u32_e64 s11, 1, v69
	v_cmp_eq_u32_e64 s16, 2, v69
	;; [unrolled: 1-line block ×11, first 2 shown]
	s_waitcnt lgkmcnt(3)
	v_lshrrev_b32_e32 v94, 16, v78
	s_waitcnt lgkmcnt(2)
	v_lshrrev_b32_e32 v98, 16, v82
	;; [unrolled: 2-line block ×4, first 2 shown]
	v_lshrrev_b32_e32 v95, 16, v79
	v_cndmask_b32_e64 v110, v78, v94, s5
	v_cndmask_b32_e64 v111, v82, v98, s5
	;; [unrolled: 1-line block ×8, first 2 shown]
	v_lshrrev_b32_e32 v99, 16, v83
	v_cndmask_b32_e64 v94, v86, v102, s5
	v_cndmask_b32_e64 v98, v90, v106, s5
	;; [unrolled: 1-line block ×15, first 2 shown]
	v_lshrrev_b32_e32 v103, 16, v87
	v_lshrrev_b32_e32 v107, 16, v91
	v_cndmask_b32_e64 v113, v115, v83, s16
	v_cndmask_b32_e64 v82, v94, v87, s6
	;; [unrolled: 1-line block ×7, first 2 shown]
	v_cndmask_b32_e32 v90, v102, v95, vcc_lo
	v_cndmask_b32_e32 v102, v106, v99, vcc_lo
	v_cndmask_b32_e64 v106, v110, v95, s15
	v_cndmask_b32_e64 v110, v111, v99, s15
	;; [unrolled: 1-line block ×4, first 2 shown]
	v_lshrrev_b32_e32 v96, 16, v80
	v_lshrrev_b32_e32 v100, 16, v84
	v_cndmask_b32_e64 v111, v112, v95, s18
	v_cndmask_b32_e64 v112, v113, v99, s18
	v_cndmask_b32_e32 v82, v82, v103, vcc_lo
	v_cndmask_b32_e32 v83, v83, v107, vcc_lo
	v_cndmask_b32_e64 v94, v94, v103, s15
	v_cndmask_b32_e64 v90, v90, v80, s4
	;; [unrolled: 1-line block ×7, first 2 shown]
	v_lshrrev_b32_e32 v104, 16, v88
	v_cndmask_b32_e64 v106, v111, v80, s22
	v_cndmask_b32_e64 v110, v112, v84, s22
	;; [unrolled: 1-line block ×11, first 2 shown]
	v_lshrrev_b32_e32 v97, 16, v81
	v_lshrrev_b32_e32 v101, 16, v85
	v_cndmask_b32_e64 v99, v106, v96, s24
	v_cndmask_b32_e64 v102, v110, v100, s24
	;; [unrolled: 1-line block ×7, first 2 shown]
	v_lshrrev_b32_e32 v105, 16, v89
	v_cndmask_b32_e64 v80, v80, v104, s7
	v_cndmask_b32_e64 v84, v84, v81, s8
	;; [unrolled: 1-line block ×16, first 2 shown]
	v_perm_b32 v81, v79, v78, 0x5040100
	v_perm_b32 v79, v95, v85, 0x5040100
	v_cndmask_b32_e64 v78, v119, v91, s16
	v_cndmask_b32_e64 v85, v117, v91, s13
	;; [unrolled: 1-line block ×3, first 2 shown]
	v_perm_b32 v80, v94, v90, 0x5040100
	v_cndmask_b32_e64 v90, v98, v103, s18
	v_cndmask_b32_e64 v86, v86, v103, s19
	v_cndmask_b32_e64 v87, v87, v107, s19
	v_cndmask_b32_e64 v78, v78, v107, s18
	v_cndmask_b32_e64 v85, v85, v107, s15
	v_lshrrev_b32_e32 v108, 16, v92
	v_cndmask_b32_e64 v90, v90, v88, s22
	v_cndmask_b32_e64 v86, v86, v88, s23
	;; [unrolled: 1-line block ×11, first 2 shown]
	v_lshrrev_b32_e32 v109, 16, v93
	v_cndmask_b32_e64 v82, v82, v93, s8
	v_cndmask_b32_e64 v88, v88, v89, s27
	v_cndmask_b32_e64 v86, v86, v89, s28
	v_cndmask_b32_e64 v87, v87, v93, s28
	v_cndmask_b32_e64 v78, v78, v93, s27
	v_cndmask_b32_e64 v85, v85, v93, s26
	v_cndmask_b32_e64 v88, v88, v105, s29
	v_cndmask_b32_e64 v86, v86, v105, s30
	v_cndmask_b32_e64 v87, v87, v109, s30
	v_cndmask_b32_e64 v89, v78, v109, s29
	v_cndmask_b32_e64 v90, v85, v109, s31
	v_cndmask_b32_e64 v82, v82, v109, s9
	v_perm_b32 v78, v84, v83, 0x5040100
	v_perm_b32 v85, v87, v86, 0x5040100
	;; [unrolled: 1-line block ×5, first 2 shown]
	s_mul_i32 s9, s35, 11
	s_mov_b32 s4, exec_lo
	ds_store_b128 v74, v[78:81]
	ds_store_b128 v74, v[82:85] offset:1024
	v_cmpx_gt_u32_e32 11, v0
	s_cbranch_execz .LBB820_14
; %bb.13:
	s_mul_i32 s5, s9, s34
	s_load_b128 s[16:19], s[0:1], 0x58
	v_add3_u32 v68, s5, s33, v68
	s_delay_alu instid0(VALU_DEP_1) | instskip(NEXT) | instid1(VALU_DEP_1)
	v_mad_u64_u32 v[78:79], null, v68, s36, s[14:15]
	v_ashrrev_i32_e32 v79, 31, v78
	s_delay_alu instid0(VALU_DEP_1) | instskip(SKIP_1) | instid1(VALU_DEP_1)
	v_lshlrev_b64 v[78:79], 2, v[78:79]
	s_waitcnt lgkmcnt(0)
	v_add_co_u32 v80, vcc_lo, s18, v78
	s_delay_alu instid0(VALU_DEP_2)
	v_add_co_ci_u32_e32 v81, vcc_lo, s19, v79, vcc_lo
	v_add_co_u32 v78, vcc_lo, s16, v78
	v_add_co_ci_u32_e32 v79, vcc_lo, s17, v79, vcc_lo
	global_store_b32 v[80:81], v76, off
	global_store_b32 v[78:79], v77, off
.LBB820_14:
	s_or_b32 exec_lo, exec_lo, s4
	s_waitcnt lgkmcnt(0)
	s_waitcnt_vscnt null, 0x0
	s_barrier
	buffer_gl0_inv
	ds_load_b128 v[84:87], v73
	ds_load_b128 v[88:91], v73 offset:16
	ds_load_b128 v[96:99], v73 offset:2064
	;; [unrolled: 1-line block ×5, first 2 shown]
	v_cmp_eq_u32_e32 vcc_lo, 1, v70
	v_mov_b32_e32 v76, 0
	ds_load_b128 v[112:115], v73 offset:6160
	ds_load_b128 v[108:111], v73 offset:6144
	;; [unrolled: 1-line block ×4, first 2 shown]
	v_cmp_eq_u32_e64 s5, 1, v69
	v_cmp_eq_u32_e64 s4, 1, v72
	;; [unrolled: 1-line block ×3, first 2 shown]
	v_mov_b32_e32 v77, v76
	v_mov_b32_e32 v78, v76
	;; [unrolled: 1-line block ×7, first 2 shown]
	v_cmp_eq_u32_e64 s7, 3, v72
	v_cmp_eq_u32_e64 s8, 7, v72
	s_waitcnt lgkmcnt(8)
	s_delay_alu instid0(VALU_DEP_3)
	v_wmma_f32_16x16x16_f16 v[76:83], v[49:56], v[84:91], v[76:83]
	ds_load_b128 v[53:56], v73 offset:10256
	ds_load_b128 v[49:52], v73 offset:10240
	s_waitcnt lgkmcnt(8)
	v_wmma_f32_16x16x16_f16 v[76:83], v[41:48], v[92:99], v[76:83]
	ds_load_b128 v[45:48], v73 offset:12304
	ds_load_b128 v[41:44], v73 offset:12288
	s_waitcnt lgkmcnt(8)
	;; [unrolled: 4-line block ×3, first 2 shown]
	s_barrier
	buffer_gl0_inv
	v_wmma_f32_16x16x16_f16 v[76:83], v[1:8], v[108:115], v[76:83]
	s_delay_alu instid0(VALU_DEP_1) | instskip(NEXT) | instid1(VALU_DEP_1)
	v_wmma_f32_16x16x16_f16 v[76:83], v[9:16], v[116:123], v[76:83]
	v_wmma_f32_16x16x16_f16 v[76:83], v[17:24], v[49:56], v[76:83]
	s_delay_alu instid0(VALU_DEP_1) | instskip(NEXT) | instid1(VALU_DEP_1)
	v_wmma_f32_16x16x16_f16 v[76:83], v[25:32], v[41:48], v[76:83]
	v_wmma_f32_16x16x16_f16 v[76:83], v[57:64], v[33:40], v[76:83]
	s_delay_alu instid0(VALU_DEP_1) | instskip(NEXT) | instid1(VALU_DEP_2)
	v_cvt_f16_f32_e32 v1, v76
	v_cvt_f16_f32_e32 v2, v77
	s_delay_alu instid0(VALU_DEP_3) | instskip(NEXT) | instid1(VALU_DEP_4)
	v_cvt_f16_f32_e32 v3, v78
	v_cvt_f16_f32_e32 v4, v79
	;; [unrolled: 1-line block ×6, first 2 shown]
	v_pack_b32_f16 v1, v1, v2
	v_pack_b32_f16 v2, v3, v4
	;; [unrolled: 1-line block ×3, first 2 shown]
	s_delay_alu instid0(VALU_DEP_4)
	v_pack_b32_f16 v4, v7, v8
	ds_store_b128 v74, v[1:4]
	s_waitcnt lgkmcnt(0)
	s_barrier
	buffer_gl0_inv
	ds_load_b128 v[1:4], v75
	ds_load_b128 v[5:8], v75 offset:16
	s_waitcnt lgkmcnt(1)
	v_lshrrev_b32_e32 v9, 16, v1
	s_waitcnt lgkmcnt(0)
	v_lshrrev_b32_e32 v13, 16, v5
	v_lshrrev_b32_e32 v10, 16, v2
	;; [unrolled: 1-line block ×4, first 2 shown]
	v_cndmask_b32_e32 v17, v1, v9, vcc_lo
	v_cndmask_b32_e32 v18, v5, v13, vcc_lo
	v_cndmask_b32_e64 v21, v1, v9, s5
	v_cmp_eq_u32_e32 vcc_lo, 1, v71
	v_cndmask_b32_e64 v22, v5, v13, s5
	v_cmp_eq_u32_e64 s5, 2, v70
	v_cndmask_b32_e64 v19, v1, v9, s4
	v_cndmask_b32_e64 v20, v5, v13, s4
	v_cndmask_b32_e32 v1, v1, v9, vcc_lo
	v_cmp_eq_u32_e64 s4, 2, v71
	v_cndmask_b32_e32 v5, v5, v13, vcc_lo
	v_cndmask_b32_e64 v9, v17, v2, s5
	v_cmp_eq_u32_e32 vcc_lo, 3, v70
	v_cndmask_b32_e64 v13, v18, v6, s5
	v_cmp_eq_u32_e64 s5, 2, v69
	v_cndmask_b32_e64 v17, v19, v2, s6
	v_cndmask_b32_e64 v18, v20, v6, s6
	v_cmp_eq_u32_e64 s6, 3, v69
	v_cndmask_b32_e64 v1, v1, v2, s4
	v_cndmask_b32_e64 v19, v21, v2, s5
	;; [unrolled: 1-line block ×4, first 2 shown]
	v_cndmask_b32_e32 v5, v9, v10, vcc_lo
	v_cndmask_b32_e32 v6, v13, v14, vcc_lo
	v_cmp_eq_u32_e32 vcc_lo, 3, v71
	v_cndmask_b32_e64 v9, v17, v10, s7
	v_cndmask_b32_e64 v13, v18, v14, s7
	;; [unrolled: 1-line block ×3, first 2 shown]
	v_cmp_eq_u32_e64 s5, 4, v70
	v_cndmask_b32_e32 v1, v1, v10, vcc_lo
	v_cndmask_b32_e32 v2, v2, v14, vcc_lo
	v_cmp_eq_u32_e32 vcc_lo, 4, v72
	v_lshrrev_b32_e32 v15, 16, v7
	v_lshrrev_b32_e32 v16, 16, v8
	v_cndmask_b32_e64 v17, v19, v10, s6
	v_cmp_eq_u32_e64 s4, 4, v71
	v_cndmask_b32_e64 v5, v5, v3, s5
	v_cndmask_b32_e64 v6, v6, v7, s5
	v_cndmask_b32_e32 v9, v9, v3, vcc_lo
	v_cmp_eq_u32_e64 s5, 5, v72
	v_cndmask_b32_e32 v10, v13, v7, vcc_lo
	v_cmp_eq_u32_e32 vcc_lo, 4, v69
	v_cmp_eq_u32_e64 s6, 5, v70
	v_cndmask_b32_e64 v2, v2, v7, s4
	v_cndmask_b32_e64 v9, v9, v11, s5
	;; [unrolled: 1-line block ×3, first 2 shown]
	v_cndmask_b32_e32 v13, v17, v3, vcc_lo
	v_cmp_eq_u32_e64 s5, 5, v69
	v_cndmask_b32_e32 v14, v18, v7, vcc_lo
	v_cndmask_b32_e64 v1, v1, v3, s4
	v_cmp_eq_u32_e32 vcc_lo, 5, v71
	v_lshrrev_b32_e32 v12, 16, v4
	v_cndmask_b32_e64 v13, v13, v11, s5
	v_cndmask_b32_e64 v3, v14, v15, s5
	v_cmp_eq_u32_e64 s5, 6, v71
	v_cndmask_b32_e32 v1, v1, v11, vcc_lo
	v_cndmask_b32_e64 v5, v5, v11, s6
	v_cmp_eq_u32_e64 s7, 6, v70
	v_cndmask_b32_e64 v6, v6, v15, s6
	v_cmp_eq_u32_e64 s6, 6, v72
	v_cmp_eq_u32_e64 s4, 6, v69
	v_cndmask_b32_e64 v1, v1, v4, s5
	v_cndmask_b32_e32 v2, v2, v15, vcc_lo
	v_cmp_eq_u32_e32 vcc_lo, 7, v71
	v_cndmask_b32_e64 v5, v5, v4, s7
	v_cndmask_b32_e64 v9, v9, v4, s6
	;; [unrolled: 1-line block ×3, first 2 shown]
	v_cmp_eq_u32_e64 s7, 7, v70
	v_cndmask_b32_e32 v1, v1, v12, vcc_lo
	v_cndmask_b32_e64 v7, v13, v4, s4
	v_cndmask_b32_e64 v3, v3, v8, s4
	;; [unrolled: 1-line block ×3, first 2 shown]
	v_cmp_eq_u32_e64 s4, 7, v69
	v_cndmask_b32_e64 v4, v10, v8, s6
	v_cndmask_b32_e64 v5, v5, v12, s7
	;; [unrolled: 1-line block ×3, first 2 shown]
	v_cndmask_b32_e32 v2, v2, v16, vcc_lo
	v_cndmask_b32_e64 v7, v7, v12, s4
	v_cndmask_b32_e64 v3, v3, v16, s4
	v_cndmask_b32_e64 v8, v4, v16, s8
	v_cndmask_b32_e64 v6, v6, v16, s7
	v_cmp_gt_u32_e32 vcc_lo, 32, v0
	v_perm_b32 v4, v2, v1, 0x5040100
	v_perm_b32 v3, v3, v7, 0x5040100
	;; [unrolled: 1-line block ×4, first 2 shown]
	s_and_b32 s2, vcc_lo, s2
	ds_store_b128 v74, v[1:4]
	s_waitcnt lgkmcnt(0)
	s_barrier
	buffer_gl0_inv
	s_and_saveexec_b32 s4, s2
	s_cbranch_execz .LBB820_2
; %bb.15:
	s_load_b64 s[4:5], s[0:1], 0x68
	v_lshlrev_b32_e32 v0, 10, v0
	v_lshlrev_b32_e32 v1, 4, v67
	s_lshl_b32 s0, s36, 6
	v_add_nc_u32_e32 v7, s33, v66
	s_mul_i32 s1, s0, s34
	s_delay_alu instid0(SALU_CYCLE_1) | instskip(SKIP_1) | instid1(VALU_DEP_2)
	s_mul_i32 s6, s1, s9
	v_and_or_b32 v0, 0x3800, v0, v1
	v_mul_lo_u32 v1, v7, s0
	v_add_nc_u32_e32 v2, 2, v7
	s_ashr_i32 s7, s6, 31
	v_add_nc_u32_e32 v4, 4, v7
	s_lshl_b64 s[6:7], s[6:7], 1
	v_add_nc_u32_e32 v8, 6, v7
	v_mul_lo_u32 v3, v2, s0
	v_lshl_or_b32 v19, v66, 6, v0
	v_ashrrev_i32_e32 v2, 31, v1
	v_mul_lo_u32 v11, v4, s0
	v_mul_lo_u32 v25, v8, s0
	s_waitcnt lgkmcnt(0)
	s_add_u32 s1, s4, s6
	s_addc_u32 s2, s5, s7
	s_lshl_b32 s4, s14, 6
	v_lshlrev_b64 v[5:6], 1, v[1:2]
	s_ashr_i32 s5, s4, 31
	v_ashrrev_i32_e32 v4, 31, v3
	s_lshl_b64 s[4:5], s[4:5], 1
	v_ashrrev_i32_e32 v12, 31, v11
	s_add_u32 s1, s1, s4
	s_addc_u32 s2, s2, s5
	v_add_co_u32 v1, s1, s1, v65
	s_delay_alu instid0(VALU_DEP_1) | instskip(SKIP_1) | instid1(VALU_DEP_3)
	v_add_co_ci_u32_e64 v2, null, s2, 0, s1
	v_lshlrev_b64 v[3:4], 1, v[3:4]
	v_add_co_u32 v23, vcc_lo, v1, v5
	v_add_nc_u32_e32 v5, 8, v7
	s_delay_alu instid0(VALU_DEP_4) | instskip(NEXT) | instid1(VALU_DEP_4)
	v_add_co_ci_u32_e32 v24, vcc_lo, v2, v6, vcc_lo
	v_add_co_u32 v27, vcc_lo, v1, v3
	s_delay_alu instid0(VALU_DEP_3)
	v_mul_lo_u32 v29, v5, s0
	v_add_co_ci_u32_e32 v28, vcc_lo, v2, v4, vcc_lo
	ds_load_b128 v[3:6], v19
	ds_load_b128 v[7:10], v19 offset:128
	v_lshlrev_b64 v[31:32], 1, v[11:12]
	ds_load_b128 v[11:14], v19 offset:256
	ds_load_b128 v[15:18], v19 offset:384
	;; [unrolled: 1-line block ×3, first 2 shown]
	v_ashrrev_i32_e32 v26, 31, v25
	v_ashrrev_i32_e32 v30, 31, v29
	v_add_co_u32 v31, vcc_lo, v1, v31
	s_delay_alu instid0(VALU_DEP_3) | instskip(NEXT) | instid1(VALU_DEP_3)
	v_lshlrev_b64 v[25:26], 1, v[25:26]
	v_lshlrev_b64 v[29:30], 1, v[29:30]
	v_add_co_ci_u32_e32 v32, vcc_lo, v2, v32, vcc_lo
	s_delay_alu instid0(VALU_DEP_3) | instskip(NEXT) | instid1(VALU_DEP_4)
	v_add_co_u32 v25, vcc_lo, v1, v25
	v_add_co_ci_u32_e32 v26, vcc_lo, v2, v26, vcc_lo
	s_delay_alu instid0(VALU_DEP_4)
	v_add_co_u32 v29, vcc_lo, v1, v29
	v_add_co_ci_u32_e32 v30, vcc_lo, v2, v30, vcc_lo
	s_waitcnt lgkmcnt(4)
	global_store_b128 v[23:24], v[3:6], off
	s_waitcnt lgkmcnt(3)
	global_store_b128 v[27:28], v[7:10], off
	;; [unrolled: 2-line block ×5, first 2 shown]
	s_and_b32 exec_lo, exec_lo, s3
	s_cbranch_execz .LBB820_2
; %bb.16:
	ds_load_b128 v[3:6], v0 offset:640
	s_add_i32 s1, s33, 10
	s_delay_alu instid0(SALU_CYCLE_1) | instskip(NEXT) | instid1(SALU_CYCLE_1)
	s_mul_i32 s0, s1, s0
	s_ashr_i32 s1, s0, 31
	s_delay_alu instid0(SALU_CYCLE_1) | instskip(NEXT) | instid1(SALU_CYCLE_1)
	s_lshl_b64 s[0:1], s[0:1], 1
	v_add_co_u32 v0, vcc_lo, v1, s0
	v_add_co_ci_u32_e32 v1, vcc_lo, s1, v2, vcc_lo
	s_waitcnt lgkmcnt(0)
	global_store_b128 v[0:1], v[3:6], off
	s_nop 0
	s_sendmsg sendmsg(MSG_DEALLOC_VGPRS)
	s_endpgm
	.section	.rodata,"a",@progbits
	.p2align	6, 0x0
	.amdhsa_kernel _Z39paged_attention_ll4mi_QKV_mfma16_kernelIDF16_hLN4vllm18Fp8KVCacheDataTypeE1EDF16_Li16ELi64ELi256ELb1ELi11EL8MFMAType1EEvPKT_PKT0_S8_ifPKiSA_SA_iPKfiiiPfSD_PS3_PT2_iSC_SC_
		.amdhsa_group_segment_fixed_size 17472
		.amdhsa_private_segment_fixed_size 0
		.amdhsa_kernarg_size 400
		.amdhsa_user_sgpr_count 13
		.amdhsa_user_sgpr_dispatch_ptr 0
		.amdhsa_user_sgpr_queue_ptr 0
		.amdhsa_user_sgpr_kernarg_segment_ptr 1
		.amdhsa_user_sgpr_dispatch_id 0
		.amdhsa_user_sgpr_private_segment_size 0
		.amdhsa_wavefront_size32 1
		.amdhsa_uses_dynamic_stack 0
		.amdhsa_enable_private_segment 0
		.amdhsa_system_sgpr_workgroup_id_x 1
		.amdhsa_system_sgpr_workgroup_id_y 1
		.amdhsa_system_sgpr_workgroup_id_z 1
		.amdhsa_system_sgpr_workgroup_info 0
		.amdhsa_system_vgpr_workitem_id 0
		.amdhsa_next_free_vgpr 146
		.amdhsa_next_free_sgpr 37
		.amdhsa_reserve_vcc 1
		.amdhsa_float_round_mode_32 0
		.amdhsa_float_round_mode_16_64 0
		.amdhsa_float_denorm_mode_32 3
		.amdhsa_float_denorm_mode_16_64 3
		.amdhsa_dx10_clamp 1
		.amdhsa_ieee_mode 1
		.amdhsa_fp16_overflow 0
		.amdhsa_workgroup_processor_mode 1
		.amdhsa_memory_ordered 1
		.amdhsa_forward_progress 0
		.amdhsa_shared_vgpr_count 0
		.amdhsa_exception_fp_ieee_invalid_op 0
		.amdhsa_exception_fp_denorm_src 0
		.amdhsa_exception_fp_ieee_div_zero 0
		.amdhsa_exception_fp_ieee_overflow 0
		.amdhsa_exception_fp_ieee_underflow 0
		.amdhsa_exception_fp_ieee_inexact 0
		.amdhsa_exception_int_div_zero 0
	.end_amdhsa_kernel
	.section	.text._Z39paged_attention_ll4mi_QKV_mfma16_kernelIDF16_hLN4vllm18Fp8KVCacheDataTypeE1EDF16_Li16ELi64ELi256ELb1ELi11EL8MFMAType1EEvPKT_PKT0_S8_ifPKiSA_SA_iPKfiiiPfSD_PS3_PT2_iSC_SC_,"axG",@progbits,_Z39paged_attention_ll4mi_QKV_mfma16_kernelIDF16_hLN4vllm18Fp8KVCacheDataTypeE1EDF16_Li16ELi64ELi256ELb1ELi11EL8MFMAType1EEvPKT_PKT0_S8_ifPKiSA_SA_iPKfiiiPfSD_PS3_PT2_iSC_SC_,comdat
.Lfunc_end820:
	.size	_Z39paged_attention_ll4mi_QKV_mfma16_kernelIDF16_hLN4vllm18Fp8KVCacheDataTypeE1EDF16_Li16ELi64ELi256ELb1ELi11EL8MFMAType1EEvPKT_PKT0_S8_ifPKiSA_SA_iPKfiiiPfSD_PS3_PT2_iSC_SC_, .Lfunc_end820-_Z39paged_attention_ll4mi_QKV_mfma16_kernelIDF16_hLN4vllm18Fp8KVCacheDataTypeE1EDF16_Li16ELi64ELi256ELb1ELi11EL8MFMAType1EEvPKT_PKT0_S8_ifPKiSA_SA_iPKfiiiPfSD_PS3_PT2_iSC_SC_
                                        ; -- End function
	.section	.AMDGPU.csdata,"",@progbits
; Kernel info:
; codeLenInByte = 6640
; NumSgprs: 39
; NumVgprs: 146
; ScratchSize: 0
; MemoryBound: 0
; FloatMode: 240
; IeeeMode: 1
; LDSByteSize: 17472 bytes/workgroup (compile time only)
; SGPRBlocks: 4
; VGPRBlocks: 18
; NumSGPRsForWavesPerEU: 39
; NumVGPRsForWavesPerEU: 146
; Occupancy: 9
; WaveLimiterHint : 1
; COMPUTE_PGM_RSRC2:SCRATCH_EN: 0
; COMPUTE_PGM_RSRC2:USER_SGPR: 13
; COMPUTE_PGM_RSRC2:TRAP_HANDLER: 0
; COMPUTE_PGM_RSRC2:TGID_X_EN: 1
; COMPUTE_PGM_RSRC2:TGID_Y_EN: 1
; COMPUTE_PGM_RSRC2:TGID_Z_EN: 1
; COMPUTE_PGM_RSRC2:TIDIG_COMP_CNT: 0
	.section	.text._Z39paged_attention_ll4mi_QKV_mfma16_kernelIDF16_hLN4vllm18Fp8KVCacheDataTypeE1EDF16_Li16ELi64ELi256ELb1ELi12EL8MFMAType1EEvPKT_PKT0_S8_ifPKiSA_SA_iPKfiiiPfSD_PS3_PT2_iSC_SC_,"axG",@progbits,_Z39paged_attention_ll4mi_QKV_mfma16_kernelIDF16_hLN4vllm18Fp8KVCacheDataTypeE1EDF16_Li16ELi64ELi256ELb1ELi12EL8MFMAType1EEvPKT_PKT0_S8_ifPKiSA_SA_iPKfiiiPfSD_PS3_PT2_iSC_SC_,comdat
	.protected	_Z39paged_attention_ll4mi_QKV_mfma16_kernelIDF16_hLN4vllm18Fp8KVCacheDataTypeE1EDF16_Li16ELi64ELi256ELb1ELi12EL8MFMAType1EEvPKT_PKT0_S8_ifPKiSA_SA_iPKfiiiPfSD_PS3_PT2_iSC_SC_ ; -- Begin function _Z39paged_attention_ll4mi_QKV_mfma16_kernelIDF16_hLN4vllm18Fp8KVCacheDataTypeE1EDF16_Li16ELi64ELi256ELb1ELi12EL8MFMAType1EEvPKT_PKT0_S8_ifPKiSA_SA_iPKfiiiPfSD_PS3_PT2_iSC_SC_
	.globl	_Z39paged_attention_ll4mi_QKV_mfma16_kernelIDF16_hLN4vllm18Fp8KVCacheDataTypeE1EDF16_Li16ELi64ELi256ELb1ELi12EL8MFMAType1EEvPKT_PKT0_S8_ifPKiSA_SA_iPKfiiiPfSD_PS3_PT2_iSC_SC_
	.p2align	8
	.type	_Z39paged_attention_ll4mi_QKV_mfma16_kernelIDF16_hLN4vllm18Fp8KVCacheDataTypeE1EDF16_Li16ELi64ELi256ELb1ELi12EL8MFMAType1EEvPKT_PKT0_S8_ifPKiSA_SA_iPKfiiiPfSD_PS3_PT2_iSC_SC_,@function
_Z39paged_attention_ll4mi_QKV_mfma16_kernelIDF16_hLN4vllm18Fp8KVCacheDataTypeE1EDF16_Li16ELi64ELi256ELb1ELi12EL8MFMAType1EEvPKT_PKT0_S8_ifPKiSA_SA_iPKfiiiPfSD_PS3_PT2_iSC_SC_: ; @_Z39paged_attention_ll4mi_QKV_mfma16_kernelIDF16_hLN4vllm18Fp8KVCacheDataTypeE1EDF16_Li16ELi64ELi256ELb1ELi12EL8MFMAType1EEvPKT_PKT0_S8_ifPKiSA_SA_iPKfiiiPfSD_PS3_PT2_iSC_SC_
; %bb.0:
	s_load_b64 s[2:3], s[0:1], 0x30
	s_mov_b32 s34, s13
	s_waitcnt lgkmcnt(0)
	s_cmp_lg_u64 s[2:3], 0
	s_cselect_b32 s6, -1, 0
	s_ashr_i32 s35, s13, 31
	s_cmp_eq_u64 s[2:3], 0
	s_cbranch_scc1 .LBB821_3
; %bb.1:
	s_lshl_b64 s[4:5], s[34:35], 2
	s_delay_alu instid0(SALU_CYCLE_1) | instskip(SKIP_4) | instid1(SALU_CYCLE_1)
	s_add_u32 s4, s2, s4
	s_addc_u32 s5, s3, s5
	s_load_b64 s[4:5], s[4:5], 0x0
	s_waitcnt lgkmcnt(0)
	s_sub_i32 s4, s5, s4
	s_cmp_eq_u32 s4, 1
	s_cselect_b32 s4, -1, 0
	s_delay_alu instid0(SALU_CYCLE_1)
	s_and_not1_b32 vcc_lo, exec_lo, s4
	s_cbranch_vccz .LBB821_4
.LBB821_2:
	s_endpgm
.LBB821_3:
.LBB821_4:
	s_load_b64 s[8:9], s[0:1], 0x28
	s_lshl_b64 s[4:5], s[34:35], 2
	s_waitcnt lgkmcnt(0)
	s_add_u32 s8, s8, s4
	s_addc_u32 s9, s9, s5
	s_lshl_b32 s16, s14, 8
	s_load_b32 s18, s[8:9], 0x0
	s_waitcnt lgkmcnt(0)
	s_cmp_ge_i32 s16, s18
	s_cbranch_scc1 .LBB821_2
; %bb.5:
	s_clause 0x1
	s_load_b128 s[8:11], s[0:1], 0x8
	s_load_b64 s[12:13], s[0:1], 0x20
	s_and_not1_b32 vcc_lo, exec_lo, s6
	s_cbranch_vccnz .LBB821_7
; %bb.6:
	s_add_u32 s2, s2, s4
	s_addc_u32 s3, s3, s5
	s_load_b32 s3, s[2:3], 0x0
	s_branch .LBB821_8
.LBB821_7:
	s_mov_b32 s3, s34
.LBB821_8:
	s_load_b128 s[4:7], s[0:1], 0x48
	v_and_b32_e32 v68, 15, v0
	v_cmp_gt_u32_e32 vcc_lo, 0xc0, v0
	v_lshrrev_b32_e32 v69, 5, v0
	v_and_b32_e32 v70, 31, v0
	v_and_b32_e32 v67, 1, v0
	v_lshlrev_b32_e32 v1, 3, v68
	v_cmp_gt_u32_e64 s2, 8, v68
	v_bfe_u32 v66, v0, 4, 1
	s_mul_i32 s31, s15, 12
	s_delay_alu instid0(VALU_DEP_3) | instskip(NEXT) | instid1(VALU_DEP_3)
	v_lshlrev_b32_e32 v65, 1, v1
	s_and_b32 s17, vcc_lo, s2
	s_waitcnt lgkmcnt(0)
	s_and_saveexec_b32 s7, s17
	s_cbranch_execz .LBB821_10
; %bb.9:
	s_load_b64 s[20:21], s[0:1], 0x0
	v_lshl_or_b32 v5, v69, 1, v66
	s_mul_hi_i32 s23, s3, s4
	s_mul_i32 s22, s3, s4
	v_lshlrev_b32_e32 v6, 10, v68
	s_lshl_b64 s[22:23], s[22:23], 1
	v_add_lshl_u32 v1, v5, s31, 6
	v_lshlrev_b32_e32 v5, 6, v5
	v_lshlrev_b32_e32 v7, 10, v67
	v_and_b32_e32 v6, 0x3800, v6
	s_delay_alu instid0(VALU_DEP_4) | instskip(NEXT) | instid1(VALU_DEP_2)
	v_ashrrev_i32_e32 v2, 31, v1
	v_or3_b32 v5, v6, v7, v5
	s_delay_alu instid0(VALU_DEP_2) | instskip(SKIP_3) | instid1(VALU_DEP_1)
	v_lshlrev_b64 v[1:2], 1, v[1:2]
	s_waitcnt lgkmcnt(0)
	s_add_u32 s3, s20, s22
	s_addc_u32 s4, s21, s23
	v_add_co_u32 v1, vcc_lo, s3, v1
	s_delay_alu instid0(VALU_DEP_2) | instskip(NEXT) | instid1(VALU_DEP_2)
	v_add_co_ci_u32_e32 v2, vcc_lo, s4, v2, vcc_lo
	v_add_co_u32 v1, vcc_lo, v1, v65
	s_delay_alu instid0(VALU_DEP_2)
	v_add_co_ci_u32_e32 v2, vcc_lo, 0, v2, vcc_lo
	global_load_b128 v[1:4], v[1:2], off
	s_waitcnt vmcnt(0)
	ds_store_b128 v5, v[1:4]
.LBB821_10:
	s_or_b32 exec_lo, exec_lo, s7
	v_and_b32_e32 v1, 0xef, v0
	s_add_i32 s3, s18, 15
	s_clause 0x1
	s_load_b32 s4, s[0:1], 0x38
	s_load_b32 s33, s[0:1], 0x98
	s_ashr_i32 s7, s3, 31
	v_add_nc_u32_e32 v1, s16, v1
	s_lshr_b32 s7, s7, 28
	s_load_b32 s19, s[0:1], 0x1c
	v_add_nc_u32_e32 v103, -12, v68
	s_add_i32 s3, s3, s7
	v_ashrrev_i32_e32 v2, 31, v1
	v_or_b32_e32 v3, 16, v1
	s_ashr_i32 s3, s3, 4
	v_cmp_gt_i32_e32 vcc_lo, s18, v1
	s_add_i32 s3, s3, -1
	v_lshrrev_b32_e32 v2, 28, v2
	s_waitcnt lgkmcnt(0)
	s_barrier
	buffer_gl0_inv
	s_mul_i32 s15, s15, s6
	v_add_nc_u32_e32 v4, v1, v2
	v_mbcnt_lo_u32_b32 v127, -1, 0
	s_mul_i32 s20, s34, s4
	s_delay_alu instid0(SALU_CYCLE_1) | instskip(NEXT) | instid1(VALU_DEP_2)
	s_ashr_i32 s21, s20, 31
	v_ashrrev_i32_e32 v4, 4, v4
	v_add_nc_u32_e32 v2, v3, v2
	s_lshl_b64 s[20:21], s[20:21], 2
	v_xor_b32_e32 v128, 16, v127
	s_add_u32 s17, s12, s20
	v_cndmask_b32_e32 v1, s3, v4, vcc_lo
	v_ashrrev_i32_e32 v2, 4, v2
	v_cmp_gt_i32_e32 vcc_lo, s18, v3
	s_addc_u32 s13, s13, s21
	s_ashr_i32 s20, s15, 31
	s_add_u32 s4, s8, s15
	s_addc_u32 s12, s9, s20
	v_cndmask_b32_e32 v3, s3, v2, vcc_lo
	v_ashrrev_i32_e32 v2, 31, v1
	s_lshl_b32 s6, s14, 4
	s_delay_alu instid0(SALU_CYCLE_1) | instskip(NEXT) | instid1(VALU_DEP_2)
	s_ashr_i32 s7, s6, 31
	v_ashrrev_i32_e32 v4, 31, v3
	s_delay_alu instid0(VALU_DEP_2) | instskip(SKIP_1) | instid1(SALU_CYCLE_1)
	v_lshlrev_b64 v[1:2], 2, v[1:2]
	s_lshl_b64 s[6:7], s[6:7], 2
	s_add_u32 s6, s17, s6
	s_delay_alu instid0(VALU_DEP_2) | instskip(SKIP_1) | instid1(VALU_DEP_2)
	v_lshlrev_b64 v[3:4], 2, v[3:4]
	s_addc_u32 s7, s13, s7
	v_add_co_u32 v1, vcc_lo, s17, v1
	v_add_co_ci_u32_e32 v2, vcc_lo, s13, v2, vcc_lo
	s_delay_alu instid0(VALU_DEP_3) | instskip(NEXT) | instid1(VALU_DEP_4)
	v_add_co_u32 v3, vcc_lo, s17, v3
	v_add_co_ci_u32_e32 v4, vcc_lo, s13, v4, vcc_lo
	s_clause 0x1
	global_load_b32 v5, v[1:2], off
	global_load_b32 v7, v[3:4], off
	s_or_b32 s8, s16, 32
	v_lshlrev_b32_e32 v1, 4, v0
	s_ashr_i32 s9, s8, 4
	s_cmp_lt_i32 s8, s18
	v_cmp_gt_u32_e32 vcc_lo, 12, v68
	s_cselect_b32 s8, s9, s3
	v_and_b32_e32 v1, 0xf0, v1
	s_ashr_i32 s9, s8, 31
	s_delay_alu instid0(SALU_CYCLE_1)
	s_lshl_b64 s[8:9], s[8:9], 2
	v_cndmask_b32_e32 v103, v103, v68, vcc_lo
	s_add_u32 s8, s17, s8
	s_addc_u32 s9, s13, s9
	s_or_b32 s21, s16, 64
	v_add_co_u32 v1, s4, s4, v1
	s_ashr_i32 s22, s21, 4
	s_cmp_lt_i32 s21, s18
	v_add_co_ci_u32_e64 v2, null, s12, 0, s4
	s_cselect_b32 s22, s22, s3
	v_cmp_gt_i32_e32 vcc_lo, 32, v128
	s_ashr_i32 s23, s22, 31
	v_lshlrev_b32_e32 v115, 6, v103
	s_lshl_b64 s[22:23], s[22:23], 2
	v_cndmask_b32_e32 v136, v127, v128, vcc_lo
	s_add_u32 s22, s17, s22
	s_addc_u32 s23, s13, s23
	s_or_b32 s21, s16, 0x60
	s_delay_alu instid0(SALU_CYCLE_1) | instskip(SKIP_2) | instid1(SALU_CYCLE_1)
	s_ashr_i32 s24, s21, 4
	s_cmp_lt_i32 s21, s18
	s_cselect_b32 s24, s24, s3
	s_ashr_i32 s25, s24, 31
	s_delay_alu instid0(SALU_CYCLE_1) | instskip(NEXT) | instid1(SALU_CYCLE_1)
	s_lshl_b64 s[24:25], s[24:25], 2
	s_add_u32 s24, s17, s24
	s_addc_u32 s25, s13, s25
	s_or_b32 s21, s16, 0x80
	s_delay_alu instid0(SALU_CYCLE_1) | instskip(SKIP_2) | instid1(SALU_CYCLE_1)
	s_ashr_i32 s26, s21, 4
	s_cmp_lt_i32 s21, s18
	s_cselect_b32 s26, s26, s3
	s_ashr_i32 s27, s26, 31
	s_delay_alu instid0(SALU_CYCLE_1) | instskip(NEXT) | instid1(SALU_CYCLE_1)
	s_lshl_b64 s[26:27], s[26:27], 2
	;; [unrolled: 10-line block ×3, first 2 shown]
	s_add_u32 s28, s17, s28
	s_addc_u32 s29, s13, s29
	s_clause 0x5
	s_load_b32 s12, s[6:7], 0x0
	s_load_b32 s4, s[8:9], 0x0
	;; [unrolled: 1-line block ×6, first 2 shown]
	s_or_b32 s21, s16, 0xc0
	s_delay_alu instid0(SALU_CYCLE_1) | instskip(SKIP_2) | instid1(SALU_CYCLE_1)
	s_ashr_i32 s22, s21, 4
	s_cmp_lt_i32 s21, s18
	s_cselect_b32 s22, s22, s3
	s_ashr_i32 s23, s22, 31
	s_delay_alu instid0(SALU_CYCLE_1) | instskip(NEXT) | instid1(SALU_CYCLE_1)
	s_lshl_b64 s[22:23], s[22:23], 2
	s_add_u32 s22, s17, s22
	s_addc_u32 s23, s13, s23
	s_or_b32 s21, s16, 0xe0
	s_delay_alu instid0(SALU_CYCLE_1) | instskip(SKIP_2) | instid1(SALU_CYCLE_1)
	s_ashr_i32 s24, s21, 4
	s_cmp_lt_i32 s21, s18
	s_cselect_b32 s24, s24, s3
	s_ashr_i32 s25, s24, 31
	s_delay_alu instid0(SALU_CYCLE_1)
	s_lshl_b64 s[24:25], s[24:25], 2
	s_waitcnt vmcnt(1)
	v_mad_i64_i32 v[3:4], null, v5, s5, v[1:2]
	s_waitcnt vmcnt(0)
	v_mad_i64_i32 v[5:6], null, v7, s5, v[1:2]
	v_lshlrev_b32_e32 v1, 4, v68
	s_clause 0x7
	global_load_b128 v[71:74], v[3:4], off
	global_load_b128 v[75:78], v[3:4], off offset:256
	global_load_b128 v[79:82], v[5:6], off
	global_load_b128 v[83:86], v[5:6], off offset:256
	global_load_b128 v[87:90], v[3:4], off offset:512
	;; [unrolled: 1-line block ×5, first 2 shown]
	v_lshl_or_b32 v1, v69, 8, v1
	s_load_b32 s3, s[22:23], 0x0
	s_add_u32 s22, s17, s24
	s_addc_u32 s23, s13, s25
	s_add_u32 s10, s10, s15
	s_addc_u32 s11, s11, s20
	v_add_co_u32 v1, s10, s10, v1
	s_delay_alu instid0(VALU_DEP_1) | instskip(SKIP_2) | instid1(VALU_DEP_1)
	v_add_co_ci_u32_e64 v2, null, s11, 0, s10
	s_load_b32 s10, s[22:23], 0x0
	s_waitcnt lgkmcnt(0)
	v_mad_i64_i32 v[3:4], null, s12, s5, v[1:2]
	v_mad_i64_i32 v[9:10], null, s7, s5, v[1:2]
	;; [unrolled: 1-line block ×7, first 2 shown]
	s_clause 0x5
	global_load_b128 v[49:52], v[3:4], off
	global_load_b128 v[53:56], v[3:4], off offset:16
	global_load_b128 v[41:44], v[5:6], off
	global_load_b128 v[45:48], v[5:6], off offset:16
	;; [unrolled: 2-line block ×3, first 2 shown]
	s_mov_b32 s4, 0
	v_mad_i64_i32 v[61:62], null, s10, s5, v[1:2]
	s_clause 0x9
	global_load_b128 v[1:4], v[9:10], off
	global_load_b128 v[5:8], v[9:10], off offset:16
	global_load_b128 v[9:12], v[13:14], off
	global_load_b128 v[13:16], v[13:14], off offset:16
	;; [unrolled: 2-line block ×5, first 2 shown]
	s_mov_b32 s5, s4
	s_mov_b32 s6, s4
	;; [unrolled: 1-line block ×7, first 2 shown]
	v_and_b32_e32 v104, 0xe0, v0
	v_dual_mov_b32 v126, s11 :: v_dual_mov_b32 v125, s10
	v_dual_mov_b32 v124, s9 :: v_dual_mov_b32 v123, s8
	s_delay_alu instid0(VALU_DEP_3)
	v_add_nc_u32_e32 v111, s16, v104
	ds_load_b128 v[103:106], v115
	ds_load_b128 v[107:110], v115 offset:1024
	v_dual_mov_b32 v122, s7 :: v_dual_mov_b32 v121, s6
	v_mov_b32_e32 v120, s5
	v_or_b32_e32 v135, v111, v66
	ds_load_b128 v[111:114], v115 offset:2048
	ds_load_b128 v[115:118], v115 offset:3072
	v_mov_b32_e32 v119, s4
	s_waitcnt vmcnt(0) lgkmcnt(0)
	s_barrier
	v_or_b32_e32 v137, 2, v135
	v_or_b32_e32 v138, 4, v135
	;; [unrolled: 1-line block ×3, first 2 shown]
	v_cmp_gt_i32_e32 vcc_lo, s18, v135
	v_or_b32_e32 v140, 8, v135
	v_cmp_gt_i32_e64 s3, s18, v137
	v_or_b32_e32 v141, 10, v135
	v_cmp_gt_i32_e64 s4, s18, v138
	v_cmp_gt_i32_e64 s5, s18, v139
	v_or_b32_e32 v142, 12, v135
	v_or_b32_e32 v143, 14, v135
	v_cmp_gt_i32_e64 s6, s18, v140
	v_cmp_gt_i32_e64 s7, s18, v141
	v_or_b32_e32 v144, 16, v135
	v_or_b32_e32 v145, 18, v135
	v_cmp_gt_i32_e64 s8, s18, v142
	v_cmp_gt_i32_e64 s9, s18, v143
	buffer_gl0_inv
	v_cmp_gt_i32_e64 s10, s18, v144
	v_cmp_gt_i32_e64 s11, s18, v145
	v_wmma_f32_16x16x16_f16 v[127:134], v[71:78], v[103:110], v[119:126]
	v_wmma_f32_16x16x16_f16 v[119:126], v[79:86], v[103:110], v[119:126]
	v_or_b32_e32 v71, 20, v135
	v_or_b32_e32 v72, 22, v135
	s_delay_alu instid0(VALU_DEP_4)
	v_wmma_f32_16x16x16_f16 v[127:134], v[87:94], v[111:118], v[127:134]
	v_or_b32_e32 v73, 24, v135
	v_wmma_f32_16x16x16_f16 v[119:126], v[95:102], v[111:118], v[119:126]
	v_or_b32_e32 v74, 26, v135
	v_cmp_gt_i32_e64 s12, s18, v71
	v_dual_mul_f32 v83, s19, v128 :: v_dual_mul_f32 v84, s19, v127
	v_dual_mul_f32 v81, s19, v130 :: v_dual_mul_f32 v82, s19, v129
	;; [unrolled: 1-line block ×3, first 2 shown]
	s_delay_alu instid0(VALU_DEP_3) | instskip(NEXT) | instid1(VALU_DEP_4)
	v_cndmask_b32_e32 v84, 0xff7fffff, v84, vcc_lo
	v_cndmask_b32_e64 v83, 0xff7fffff, v83, s3
	v_mul_f32_e32 v80, s19, v131
	v_cndmask_b32_e64 v82, 0xff7fffff, v82, s4
	v_cndmask_b32_e64 v81, 0xff7fffff, v81, s5
	v_dual_mul_f32 v77, s19, v134 :: v_dual_mul_f32 v90, s19, v121
	v_max3_f32 v83, v84, 0xff7fffff, v83
	v_mul_f32_e32 v78, s19, v133
	v_cndmask_b32_e64 v80, 0xff7fffff, v80, s6
	v_cndmask_b32_e64 v79, 0xff7fffff, v79, s7
	v_mul_f32_e32 v91, s19, v120
	v_max3_f32 v81, v83, v82, v81
	v_cndmask_b32_e64 v78, 0xff7fffff, v78, s8
	v_cndmask_b32_e64 v77, 0xff7fffff, v77, s9
	v_mul_f32_e32 v89, s19, v122
	v_cmp_gt_i32_e64 s13, s18, v72
	v_max3_f32 v79, v81, v80, v79
	v_cndmask_b32_e64 v80, 0xff7fffff, v92, s10
	v_cndmask_b32_e64 v81, 0xff7fffff, v91, s11
	v_or_b32_e32 v75, 28, v135
	v_or_b32_e32 v76, 30, v135
	v_max3_f32 v77, v79, v78, v77
	v_dual_mul_f32 v87, s19, v124 :: v_dual_mul_f32 v88, s19, v123
	v_cndmask_b32_e64 v71, 0xff7fffff, v90, s12
	v_cndmask_b32_e64 v72, 0xff7fffff, v89, s13
	s_delay_alu instid0(VALU_DEP_4) | instskip(SKIP_3) | instid1(VALU_DEP_4)
	v_max3_f32 v77, v77, v80, v81
	v_cmp_gt_i32_e64 s15, s18, v73
	v_cmp_gt_i32_e64 s16, s18, v74
	v_dual_mul_f32 v85, s19, v126 :: v_dual_mul_f32 v86, s19, v125
	v_max3_f32 v71, v77, v71, v72
	s_delay_alu instid0(VALU_DEP_4) | instskip(NEXT) | instid1(VALU_DEP_4)
	v_cndmask_b32_e64 v73, 0xff7fffff, v88, s15
	v_cndmask_b32_e64 v74, 0xff7fffff, v87, s16
	v_cmp_gt_i32_e64 s17, s18, v75
	v_cmp_gt_i32_e64 s18, s18, v76
	s_delay_alu instid0(VALU_DEP_3) | instskip(NEXT) | instid1(VALU_DEP_3)
	v_max3_f32 v71, v71, v73, v74
	v_cndmask_b32_e64 v72, 0xff7fffff, v86, s17
	s_delay_alu instid0(VALU_DEP_3) | instskip(SKIP_1) | instid1(VALU_DEP_2)
	v_cndmask_b32_e64 v75, 0xff7fffff, v85, s18
	v_lshlrev_b32_e32 v73, 2, v136
	v_max3_f32 v71, v71, v72, v75
	ds_bpermute_b32 v72, v73, v71
	s_waitcnt lgkmcnt(0)
	v_max_f32_e32 v72, v72, v72
	s_delay_alu instid0(VALU_DEP_1) | instskip(NEXT) | instid1(VALU_DEP_1)
	v_max_f32_e32 v71, v71, v72
	v_fma_f32 v72, s19, v127, -v71
	v_fma_f32 v74, s19, v128, -v71
	v_fma_f32 v75, s19, v129, -v71
	v_fma_f32 v76, s19, v130, -v71
	v_fma_f32 v80, s19, v133, -v71
	v_mul_f32_e32 v72, 0x3fb8aa3b, v72
	s_delay_alu instid0(VALU_DEP_4) | instskip(NEXT) | instid1(VALU_DEP_4)
	v_dual_mul_f32 v74, 0x3fb8aa3b, v74 :: v_dual_mul_f32 v75, 0x3fb8aa3b, v75
	v_mul_f32_e32 v76, 0x3fb8aa3b, v76
	s_delay_alu instid0(VALU_DEP_4) | instskip(NEXT) | instid1(VALU_DEP_4)
	v_mul_f32_e32 v82, 0x3fb8aa3b, v80
	v_exp_f32_e32 v72, v72
	s_delay_alu instid0(VALU_DEP_3)
	v_exp_f32_e32 v74, v74
	v_exp_f32_e32 v75, v75
	;; [unrolled: 1-line block ×3, first 2 shown]
	v_fma_f32 v77, s19, v131, -v71
	v_exp_f32_e32 v84, v82
	v_cndmask_b32_e32 v79, 0, v72, vcc_lo
	v_cndmask_b32_e64 v78, 0, v74, s3
	s_delay_alu instid0(TRANS32_DEP_3) | instskip(SKIP_1) | instid1(TRANS32_DEP_2)
	v_cndmask_b32_e64 v81, 0, v75, s4
	v_fma_f32 v72, s19, v132, -v71
	v_cndmask_b32_e64 v80, 0, v76, s5
	v_add_f32_e32 v74, 0, v79
	s_delay_alu instid0(TRANS32_DEP_1) | instskip(SKIP_2) | instid1(VALU_DEP_3)
	v_cndmask_b32_e64 v85, 0, v84, s8
	s_mov_b32 s3, exec_lo
	v_mul_f32_e32 v72, 0x3fb8aa3b, v72
	v_add_f32_e32 v74, v74, v78
	s_delay_alu instid0(VALU_DEP_2) | instskip(NEXT) | instid1(VALU_DEP_1)
	v_exp_f32_e32 v72, v72
	v_add_f32_e32 v74, v74, v81
	s_delay_alu instid0(VALU_DEP_1) | instskip(NEXT) | instid1(VALU_DEP_1)
	v_dual_mul_f32 v77, 0x3fb8aa3b, v77 :: v_dual_add_f32 v74, v74, v80
	v_exp_f32_e32 v77, v77
	s_waitcnt_depctr 0xfff
	v_cndmask_b32_e64 v82, 0, v72, s7
	v_cndmask_b32_e64 v83, 0, v77, s6
	s_delay_alu instid0(VALU_DEP_1) | instskip(SKIP_4) | instid1(VALU_DEP_4)
	v_add_f32_e32 v72, v74, v83
	v_fma_f32 v75, s19, v134, -v71
	v_fma_f32 v76, s19, v119, -v71
	;; [unrolled: 1-line block ×4, first 2 shown]
	v_dual_add_f32 v72, v72, v82 :: v_dual_mul_f32 v75, 0x3fb8aa3b, v75
	s_delay_alu instid0(VALU_DEP_3) | instskip(NEXT) | instid1(VALU_DEP_3)
	v_dual_mul_f32 v76, 0x3fb8aa3b, v76 :: v_dual_mul_f32 v77, 0x3fb8aa3b, v77
	v_mul_f32_e32 v74, 0x3fb8aa3b, v74
	v_fma_f32 v86, s19, v122, -v71
	s_delay_alu instid0(VALU_DEP_4) | instskip(NEXT) | instid1(VALU_DEP_3)
	v_exp_f32_e32 v75, v75
	v_exp_f32_e32 v76, v76
	;; [unrolled: 1-line block ×4, first 2 shown]
	v_mul_f32_e32 v86, 0x3fb8aa3b, v86
	s_delay_alu instid0(VALU_DEP_1)
	v_exp_f32_e32 v88, v86
	v_cndmask_b32_e64 v84, 0, v75, s9
	v_fma_f32 v75, s19, v123, -v71
	v_add_f32_e32 v72, v72, v85
	v_cndmask_b32_e64 v87, 0, v76, s10
	v_fma_f32 v76, s19, v124, -v71
	s_delay_alu instid0(TRANS32_DEP_3) | instskip(NEXT) | instid1(VALU_DEP_4)
	v_cndmask_b32_e64 v86, 0, v77, s11
	v_dual_mul_f32 v75, 0x3fb8aa3b, v75 :: v_dual_add_f32 v72, v72, v84
	v_fma_f32 v77, s19, v125, -v71
	s_delay_alu instid0(VALU_DEP_4) | instskip(SKIP_1) | instid1(VALU_DEP_4)
	v_mul_f32_e32 v76, 0x3fb8aa3b, v76
	v_cndmask_b32_e64 v89, 0, v74, s12
	v_exp_f32_e32 v75, v75
	v_add_f32_e32 v72, v72, v87
	v_mul_f32_e32 v74, 0x3fb8aa3b, v77
	v_exp_f32_e32 v76, v76
	v_cndmask_b32_e64 v88, 0, v88, s13
	v_fma_f32 v77, s19, v126, -v71
	v_add_f32_e32 v72, v72, v86
	v_exp_f32_e32 v74, v74
	s_delay_alu instid0(TRANS32_DEP_3) | instskip(NEXT) | instid1(VALU_DEP_2)
	v_cndmask_b32_e64 v91, 0, v75, s15
	v_add_f32_e32 v72, v72, v89
	v_mul_f32_e32 v75, 0x3fb8aa3b, v77
	s_delay_alu instid0(TRANS32_DEP_2) | instskip(NEXT) | instid1(VALU_DEP_3)
	v_cndmask_b32_e64 v90, 0, v76, s16
	v_add_f32_e32 v72, v72, v88
	s_delay_alu instid0(VALU_DEP_3) | instskip(NEXT) | instid1(TRANS32_DEP_2)
	v_exp_f32_e32 v75, v75
	v_cndmask_b32_e64 v93, 0, v74, s17
	s_delay_alu instid0(VALU_DEP_2) | instskip(NEXT) | instid1(VALU_DEP_1)
	v_add_f32_e32 v72, v72, v91
	v_add_f32_e32 v72, v72, v90
	s_waitcnt_depctr 0xfff
	v_cndmask_b32_e64 v92, 0, v75, s18
	v_add_f32_e32 v72, v72, v93
	s_delay_alu instid0(VALU_DEP_1)
	v_add_f32_e32 v72, v72, v92
	ds_bpermute_b32 v73, v73, v72
	v_cmpx_gt_u32_e32 16, v70
	s_cbranch_execz .LBB821_12
; %bb.11:
	v_mul_u32_u24_e32 v70, 0x44, v69
	s_waitcnt lgkmcnt(0)
	v_add_f32_e32 v72, v72, v73
	s_delay_alu instid0(VALU_DEP_2) | instskip(NEXT) | instid1(VALU_DEP_1)
	v_lshl_add_u32 v70, v68, 2, v70
	v_add_nc_u32_e32 v70, 0x4000, v70
	ds_store_2addr_b32 v70, v71, v72 offset1:136
.LBB821_12:
	s_or_b32 exec_lo, exec_lo, s3
	v_lshlrev_b32_e32 v70, 2, v68
	s_load_b32 s35, s[0:1], 0x94
	s_waitcnt lgkmcnt(0)
	s_barrier
	buffer_gl0_inv
	v_add_nc_u32_e32 v98, 0x4000, v70
	v_cmp_eq_u32_e32 vcc_lo, 1, v69
	v_cmp_eq_u32_e64 s3, 2, v69
	v_cmp_eq_u32_e64 s4, 3, v69
	;; [unrolled: 1-line block ×3, first 2 shown]
	ds_load_2addr_b32 v[70:71], v98 offset1:17
	ds_load_2addr_b32 v[72:73], v98 offset0:34 offset1:51
	ds_load_2addr_b32 v[74:75], v98 offset0:68 offset1:85
	;; [unrolled: 1-line block ×3, first 2 shown]
	v_cmp_eq_u32_e64 s6, 5, v69
	v_cmp_eq_u32_e64 s7, 7, v69
	s_waitcnt lgkmcnt(3)
	v_max3_f32 v76, v70, 0xff7fffff, v71
	s_waitcnt lgkmcnt(2)
	s_delay_alu instid0(VALU_DEP_1) | instskip(SKIP_1) | instid1(VALU_DEP_1)
	v_max3_f32 v76, v76, v72, v73
	s_waitcnt lgkmcnt(1)
	v_max3_f32 v76, v76, v74, v75
	s_waitcnt lgkmcnt(0)
	s_delay_alu instid0(VALU_DEP_1) | instskip(NEXT) | instid1(VALU_DEP_1)
	v_max3_f32 v76, v76, v94, v95
	v_sub_f32_e32 v77, v71, v76
	ds_load_2addr_b32 v[96:97], v98 offset0:136 offset1:153
	v_sub_f32_e32 v74, v74, v76
	v_sub_f32_e32 v70, v70, v76
	;; [unrolled: 1-line block ×3, first 2 shown]
	v_dual_sub_f32 v72, v72, v76 :: v_dual_mul_f32 v77, 0x3fb8aa3b, v77
	s_delay_alu instid0(VALU_DEP_4) | instskip(NEXT) | instid1(VALU_DEP_4)
	v_mul_f32_e32 v103, 0x3fb8aa3b, v74
	v_mul_f32_e32 v99, 0x3fb8aa3b, v70
	ds_load_2addr_b32 v[70:71], v98 offset0:170 offset1:187
	v_dual_mul_f32 v101, 0x3fb8aa3b, v72 :: v_dual_mul_f32 v94, 0x3fb8aa3b, v94
	v_exp_f32_e32 v102, v77
	v_exp_f32_e32 v99, v99
	s_delay_alu instid0(VALU_DEP_1) | instskip(NEXT) | instid1(VALU_DEP_1)
	v_exp_f32_e32 v101, v101
	v_exp_f32_e32 v94, v94
	s_waitcnt lgkmcnt(1)
	s_delay_alu instid0(TRANS32_DEP_3)
	v_fma_f32 v77, v99, v96, 0
	v_sub_f32_e32 v100, v73, v76
	ds_load_2addr_b32 v[72:73], v98 offset0:204 offset1:221
	v_fmac_f32_e32 v77, v102, v97
	v_exp_f32_e32 v97, v103
	s_waitcnt lgkmcnt(1)
	s_delay_alu instid0(VALU_DEP_1)
	v_dual_fmac_f32 v77, v101, v70 :: v_dual_sub_f32 v96, v75, v76
	ds_load_2addr_b32 v[74:75], v98 offset0:238 offset1:255
	v_sub_f32_e32 v70, v95, v76
	s_waitcnt lgkmcnt(0)
	s_barrier
	v_mul_f32_e32 v96, 0x3fb8aa3b, v96
	buffer_gl0_inv
	v_exp_f32_e32 v95, v96
	v_mul_f32_e32 v100, 0x3fb8aa3b, v100
	s_delay_alu instid0(VALU_DEP_1) | instskip(SKIP_3) | instid1(VALU_DEP_2)
	v_exp_f32_e32 v100, v100
	s_waitcnt_depctr 0xfff
	v_dual_fmac_f32 v77, v100, v71 :: v_dual_mul_f32 v70, 0x3fb8aa3b, v70
	v_cndmask_b32_e32 v71, v99, v102, vcc_lo
	v_fmac_f32_e32 v77, v97, v72
	s_delay_alu instid0(VALU_DEP_3) | instskip(NEXT) | instid1(VALU_DEP_1)
	v_exp_f32_e32 v96, v70
	v_fmac_f32_e32 v77, v95, v73
	s_delay_alu instid0(VALU_DEP_1) | instskip(SKIP_2) | instid1(VALU_DEP_1)
	v_fmac_f32_e32 v77, v94, v74
	s_waitcnt_depctr 0xfff
	v_fmac_f32_e32 v77, v96, v75
	v_add_f32_e32 v74, 0x358637bd, v77
	s_delay_alu instid0(VALU_DEP_1) | instskip(SKIP_1) | instid1(VALU_DEP_2)
	v_div_scale_f32 v98, null, v74, v74, 1.0
	v_div_scale_f32 v99, vcc_lo, 1.0, v74, 1.0
	v_rcp_f32_e32 v103, v98
	s_waitcnt_depctr 0xfff
	v_fma_f32 v70, -v98, v103, 1.0
	s_delay_alu instid0(VALU_DEP_1) | instskip(SKIP_2) | instid1(VALU_DEP_2)
	v_fmac_f32_e32 v103, v70, v103
	v_cndmask_b32_e64 v70, v71, v101, s3
	v_cmp_eq_u32_e64 s3, 6, v69
	v_cndmask_b32_e64 v71, v70, v100, s4
	s_delay_alu instid0(VALU_DEP_4) | instskip(NEXT) | instid1(VALU_DEP_2)
	v_dual_mul_f32 v101, v99, v103 :: v_dual_lshlrev_b32 v70, 2, v66
	v_cndmask_b32_e64 v71, v71, v97, s5
	s_delay_alu instid0(VALU_DEP_2) | instskip(NEXT) | instid1(VALU_DEP_3)
	v_or_b32_e32 v72, 1, v70
	v_fma_f32 v100, -v98, v101, v99
	v_cmp_eq_u32_e64 s4, 1, v70
	v_cmp_eq_u32_e64 s5, 2, v70
	v_cndmask_b32_e64 v95, v71, v95, s6
	v_or_b32_e32 v71, 3, v70
	v_fmac_f32_e32 v101, v100, v103
	v_cmp_eq_u32_e64 s9, 1, v72
	v_cmp_eq_u32_e64 s12, 2, v72
	v_cndmask_b32_e64 v94, v95, v94, s3
	v_cmp_eq_u32_e64 s11, 1, v71
	v_fma_f32 v97, -v98, v101, v99
	v_cmp_eq_u32_e64 s16, 2, v71
	v_cmp_eq_u32_e64 s13, 3, v72
	v_cndmask_b32_e64 v94, v94, v96, s7
	v_cmp_eq_u32_e64 s18, 3, v71
	v_div_fmas_f32 v95, v97, v103, v101
	v_cmp_eq_u32_e32 vcc_lo, 3, v70
	v_cmp_eq_u32_e64 s3, 4, v70
	v_cmp_eq_u32_e64 s19, 4, v72
	;; [unrolled: 1-line block ×3, first 2 shown]
	v_div_fixup_f32 v95, v95, v74, 1.0
	v_lshlrev_b32_e32 v73, 6, v68
	v_cmp_eq_u32_e64 s6, 5, v70
	v_cmp_eq_u32_e64 s20, 5, v72
	;; [unrolled: 1-line block ×3, first 2 shown]
	v_mul_f32_e32 v102, v94, v95
	v_lshl_or_b32 v75, v69, 11, v73
	v_or_b32_e32 v69, 2, v70
	v_cmp_eq_u32_e64 s25, 6, v72
	v_cmp_eq_u32_e64 s27, 6, v71
	v_fma_mixlo_f16 v94, v102, v79, 0
	v_fma_mixlo_f16 v95, v102, v81, 0
	;; [unrolled: 1-line block ×8, first 2 shown]
	v_lshl_or_b32 v74, v66, 4, v75
	v_fma_mixhi_f16 v94, v102, v78, 0
	v_fma_mixhi_f16 v95, v102, v80, 0
	;; [unrolled: 1-line block ×8, first 2 shown]
	ds_store_b128 v74, v[94:97]
	ds_store_b128 v74, v[98:101] offset:1024
	s_waitcnt lgkmcnt(0)
	s_barrier
	buffer_gl0_inv
	ds_load_b128 v[78:81], v75
	ds_load_b128 v[82:85], v75 offset:16
	ds_load_b128 v[86:89], v75 offset:1024
	;; [unrolled: 1-line block ×3, first 2 shown]
	v_cmp_eq_u32_e64 s10, 1, v69
	v_cmp_eq_u32_e64 s15, 2, v69
	;; [unrolled: 1-line block ×11, first 2 shown]
	s_waitcnt lgkmcnt(3)
	v_lshrrev_b32_e32 v94, 16, v78
	s_waitcnt lgkmcnt(2)
	v_lshrrev_b32_e32 v98, 16, v82
	;; [unrolled: 2-line block ×4, first 2 shown]
	v_lshrrev_b32_e32 v95, 16, v79
	v_cndmask_b32_e64 v110, v78, v94, s4
	v_cndmask_b32_e64 v111, v82, v98, s4
	;; [unrolled: 1-line block ×8, first 2 shown]
	v_lshrrev_b32_e32 v99, 16, v83
	v_cndmask_b32_e64 v94, v86, v102, s4
	v_cndmask_b32_e64 v98, v90, v106, s4
	;; [unrolled: 1-line block ×15, first 2 shown]
	v_lshrrev_b32_e32 v103, 16, v87
	v_lshrrev_b32_e32 v107, 16, v91
	v_cndmask_b32_e64 v113, v115, v83, s15
	v_cndmask_b32_e64 v82, v94, v87, s5
	;; [unrolled: 1-line block ×7, first 2 shown]
	v_cndmask_b32_e32 v90, v102, v95, vcc_lo
	v_cndmask_b32_e32 v102, v106, v99, vcc_lo
	v_cndmask_b32_e64 v106, v110, v95, s13
	v_cndmask_b32_e64 v110, v111, v99, s13
	;; [unrolled: 1-line block ×4, first 2 shown]
	v_lshrrev_b32_e32 v96, 16, v80
	v_lshrrev_b32_e32 v100, 16, v84
	v_cndmask_b32_e64 v111, v112, v95, s17
	v_cndmask_b32_e64 v112, v113, v99, s17
	v_cndmask_b32_e32 v82, v82, v103, vcc_lo
	v_cndmask_b32_e32 v83, v83, v107, vcc_lo
	v_cndmask_b32_e64 v94, v94, v103, s13
	v_cndmask_b32_e64 v90, v90, v80, s3
	;; [unrolled: 1-line block ×7, first 2 shown]
	v_lshrrev_b32_e32 v104, 16, v88
	v_cndmask_b32_e64 v106, v111, v80, s21
	v_cndmask_b32_e64 v110, v112, v84, s21
	;; [unrolled: 1-line block ×11, first 2 shown]
	v_lshrrev_b32_e32 v97, 16, v81
	v_lshrrev_b32_e32 v101, 16, v85
	v_cndmask_b32_e64 v99, v106, v96, s23
	v_cndmask_b32_e64 v102, v110, v100, s23
	v_cndmask_b32_e64 v83, v83, v104, s20
	v_cndmask_b32_e64 v94, v94, v81, s25
	v_cndmask_b32_e64 v95, v95, v85, s25
	v_cndmask_b32_e64 v78, v78, v81, s27
	v_cndmask_b32_e64 v79, v79, v85, s27
	v_lshrrev_b32_e32 v105, 16, v89
	v_cndmask_b32_e64 v80, v80, v104, s6
	v_cndmask_b32_e64 v84, v84, v81, s7
	;; [unrolled: 1-line block ×16, first 2 shown]
	v_perm_b32 v81, v79, v78, 0x5040100
	v_perm_b32 v79, v95, v85, 0x5040100
	v_cndmask_b32_e64 v78, v119, v91, s15
	v_cndmask_b32_e64 v85, v117, v91, s12
	;; [unrolled: 1-line block ×3, first 2 shown]
	v_perm_b32 v80, v94, v90, 0x5040100
	v_cndmask_b32_e64 v90, v98, v103, s17
	v_cndmask_b32_e64 v86, v86, v103, s18
	;; [unrolled: 1-line block ×5, first 2 shown]
	v_lshrrev_b32_e32 v108, 16, v92
	v_cndmask_b32_e64 v90, v90, v88, s21
	v_cndmask_b32_e64 v86, v86, v88, s22
	;; [unrolled: 1-line block ×11, first 2 shown]
	v_lshrrev_b32_e32 v109, 16, v93
	v_cndmask_b32_e64 v82, v82, v93, s7
	v_cndmask_b32_e64 v88, v88, v89, s26
	;; [unrolled: 1-line block ×12, first 2 shown]
	v_perm_b32 v78, v84, v83, 0x5040100
	v_perm_b32 v85, v87, v86, 0x5040100
	;; [unrolled: 1-line block ×5, first 2 shown]
	s_mul_i32 s8, s33, 12
	s_mov_b32 s3, exec_lo
	ds_store_b128 v74, v[78:81]
	ds_store_b128 v74, v[82:85] offset:1024
	v_cmpx_gt_u32_e32 12, v0
	s_cbranch_execz .LBB821_14
; %bb.13:
	s_mul_i32 s4, s8, s34
	s_delay_alu instid0(SALU_CYCLE_1) | instskip(SKIP_1) | instid1(VALU_DEP_1)
	v_add3_u32 v68, s4, s31, v68
	s_load_b128 s[4:7], s[0:1], 0x58
	v_mad_u64_u32 v[78:79], null, v68, s35, s[14:15]
	s_delay_alu instid0(VALU_DEP_1) | instskip(NEXT) | instid1(VALU_DEP_1)
	v_ashrrev_i32_e32 v79, 31, v78
	v_lshlrev_b64 v[78:79], 2, v[78:79]
	s_waitcnt lgkmcnt(0)
	s_delay_alu instid0(VALU_DEP_1) | instskip(NEXT) | instid1(VALU_DEP_2)
	v_add_co_u32 v80, vcc_lo, s6, v78
	v_add_co_ci_u32_e32 v81, vcc_lo, s7, v79, vcc_lo
	v_add_co_u32 v78, vcc_lo, s4, v78
	v_add_co_ci_u32_e32 v79, vcc_lo, s5, v79, vcc_lo
	global_store_b32 v[80:81], v76, off
	global_store_b32 v[78:79], v77, off
.LBB821_14:
	s_or_b32 exec_lo, exec_lo, s3
	s_waitcnt lgkmcnt(0)
	s_waitcnt_vscnt null, 0x0
	s_barrier
	buffer_gl0_inv
	ds_load_b128 v[84:87], v73
	ds_load_b128 v[88:91], v73 offset:16
	ds_load_b128 v[96:99], v73 offset:2064
	;; [unrolled: 1-line block ×5, first 2 shown]
	v_cmp_eq_u32_e32 vcc_lo, 1, v70
	v_mov_b32_e32 v76, 0
	ds_load_b128 v[112:115], v73 offset:6160
	ds_load_b128 v[108:111], v73 offset:6144
	;; [unrolled: 1-line block ×4, first 2 shown]
	v_cmp_eq_u32_e64 s4, 1, v69
	v_cmp_eq_u32_e64 s3, 1, v72
	;; [unrolled: 1-line block ×3, first 2 shown]
	v_mov_b32_e32 v77, v76
	v_mov_b32_e32 v78, v76
	;; [unrolled: 1-line block ×7, first 2 shown]
	v_cmp_eq_u32_e64 s6, 3, v72
	v_cmp_eq_u32_e64 s7, 7, v72
	s_waitcnt lgkmcnt(8)
	s_delay_alu instid0(VALU_DEP_3)
	v_wmma_f32_16x16x16_f16 v[76:83], v[49:56], v[84:91], v[76:83]
	ds_load_b128 v[53:56], v73 offset:10256
	ds_load_b128 v[49:52], v73 offset:10240
	s_waitcnt lgkmcnt(8)
	v_wmma_f32_16x16x16_f16 v[76:83], v[41:48], v[92:99], v[76:83]
	ds_load_b128 v[45:48], v73 offset:12304
	ds_load_b128 v[41:44], v73 offset:12288
	s_waitcnt lgkmcnt(8)
	;; [unrolled: 4-line block ×3, first 2 shown]
	s_barrier
	buffer_gl0_inv
	v_wmma_f32_16x16x16_f16 v[76:83], v[1:8], v[108:115], v[76:83]
	s_delay_alu instid0(VALU_DEP_1) | instskip(NEXT) | instid1(VALU_DEP_1)
	v_wmma_f32_16x16x16_f16 v[76:83], v[9:16], v[116:123], v[76:83]
	v_wmma_f32_16x16x16_f16 v[76:83], v[17:24], v[49:56], v[76:83]
	s_delay_alu instid0(VALU_DEP_1) | instskip(NEXT) | instid1(VALU_DEP_1)
	v_wmma_f32_16x16x16_f16 v[76:83], v[25:32], v[41:48], v[76:83]
	v_wmma_f32_16x16x16_f16 v[76:83], v[57:64], v[33:40], v[76:83]
	s_delay_alu instid0(VALU_DEP_1) | instskip(NEXT) | instid1(VALU_DEP_2)
	v_cvt_f16_f32_e32 v1, v76
	v_cvt_f16_f32_e32 v2, v77
	s_delay_alu instid0(VALU_DEP_3) | instskip(NEXT) | instid1(VALU_DEP_4)
	v_cvt_f16_f32_e32 v3, v78
	v_cvt_f16_f32_e32 v4, v79
	;; [unrolled: 1-line block ×6, first 2 shown]
	v_pack_b32_f16 v1, v1, v2
	v_pack_b32_f16 v2, v3, v4
	v_pack_b32_f16 v3, v5, v6
	s_delay_alu instid0(VALU_DEP_4)
	v_pack_b32_f16 v4, v7, v8
	ds_store_b128 v74, v[1:4]
	s_waitcnt lgkmcnt(0)
	s_barrier
	buffer_gl0_inv
	ds_load_b128 v[1:4], v75
	ds_load_b128 v[5:8], v75 offset:16
	s_waitcnt lgkmcnt(1)
	v_lshrrev_b32_e32 v9, 16, v1
	s_waitcnt lgkmcnt(0)
	v_lshrrev_b32_e32 v13, 16, v5
	v_lshrrev_b32_e32 v10, 16, v2
	;; [unrolled: 1-line block ×4, first 2 shown]
	v_cndmask_b32_e32 v17, v1, v9, vcc_lo
	v_cndmask_b32_e32 v18, v5, v13, vcc_lo
	v_cndmask_b32_e64 v21, v1, v9, s4
	v_cmp_eq_u32_e32 vcc_lo, 1, v71
	v_cndmask_b32_e64 v22, v5, v13, s4
	v_cmp_eq_u32_e64 s4, 2, v70
	v_cndmask_b32_e64 v19, v1, v9, s3
	v_cndmask_b32_e64 v20, v5, v13, s3
	v_cndmask_b32_e32 v1, v1, v9, vcc_lo
	v_cmp_eq_u32_e64 s3, 2, v71
	v_cndmask_b32_e32 v5, v5, v13, vcc_lo
	v_cndmask_b32_e64 v9, v17, v2, s4
	v_cmp_eq_u32_e32 vcc_lo, 3, v70
	v_cndmask_b32_e64 v13, v18, v6, s4
	v_cmp_eq_u32_e64 s4, 2, v69
	v_cndmask_b32_e64 v17, v19, v2, s5
	v_cndmask_b32_e64 v18, v20, v6, s5
	v_cmp_eq_u32_e64 s5, 3, v69
	v_cndmask_b32_e64 v1, v1, v2, s3
	v_cndmask_b32_e64 v19, v21, v2, s4
	;; [unrolled: 1-line block ×4, first 2 shown]
	v_cndmask_b32_e32 v5, v9, v10, vcc_lo
	v_cndmask_b32_e32 v6, v13, v14, vcc_lo
	v_cmp_eq_u32_e32 vcc_lo, 3, v71
	v_cndmask_b32_e64 v9, v17, v10, s6
	v_cndmask_b32_e64 v13, v18, v14, s6
	;; [unrolled: 1-line block ×3, first 2 shown]
	v_cmp_eq_u32_e64 s4, 4, v70
	v_cndmask_b32_e32 v1, v1, v10, vcc_lo
	v_cndmask_b32_e32 v2, v2, v14, vcc_lo
	v_cmp_eq_u32_e32 vcc_lo, 4, v72
	v_lshrrev_b32_e32 v15, 16, v7
	v_lshrrev_b32_e32 v16, 16, v8
	v_cndmask_b32_e64 v17, v19, v10, s5
	v_cmp_eq_u32_e64 s3, 4, v71
	v_cndmask_b32_e64 v5, v5, v3, s4
	v_cndmask_b32_e64 v6, v6, v7, s4
	v_cndmask_b32_e32 v9, v9, v3, vcc_lo
	v_cmp_eq_u32_e64 s4, 5, v72
	v_cndmask_b32_e32 v10, v13, v7, vcc_lo
	v_cmp_eq_u32_e32 vcc_lo, 4, v69
	v_cmp_eq_u32_e64 s5, 5, v70
	v_cndmask_b32_e64 v2, v2, v7, s3
	v_cndmask_b32_e64 v9, v9, v11, s4
	;; [unrolled: 1-line block ×3, first 2 shown]
	v_cndmask_b32_e32 v13, v17, v3, vcc_lo
	v_cmp_eq_u32_e64 s4, 5, v69
	v_cndmask_b32_e32 v14, v18, v7, vcc_lo
	v_cndmask_b32_e64 v1, v1, v3, s3
	v_cmp_eq_u32_e32 vcc_lo, 5, v71
	v_lshrrev_b32_e32 v12, 16, v4
	v_cndmask_b32_e64 v13, v13, v11, s4
	v_cndmask_b32_e64 v3, v14, v15, s4
	v_cmp_eq_u32_e64 s4, 6, v71
	v_cndmask_b32_e32 v1, v1, v11, vcc_lo
	v_cndmask_b32_e64 v5, v5, v11, s5
	v_cmp_eq_u32_e64 s6, 6, v70
	v_cndmask_b32_e64 v6, v6, v15, s5
	v_cmp_eq_u32_e64 s5, 6, v72
	v_cmp_eq_u32_e64 s3, 6, v69
	v_cndmask_b32_e64 v1, v1, v4, s4
	v_cndmask_b32_e32 v2, v2, v15, vcc_lo
	v_cmp_eq_u32_e32 vcc_lo, 7, v71
	v_cndmask_b32_e64 v5, v5, v4, s6
	v_cndmask_b32_e64 v9, v9, v4, s5
	;; [unrolled: 1-line block ×3, first 2 shown]
	v_cmp_eq_u32_e64 s6, 7, v70
	v_cndmask_b32_e32 v1, v1, v12, vcc_lo
	v_cndmask_b32_e64 v7, v13, v4, s3
	v_cndmask_b32_e64 v3, v3, v8, s3
	;; [unrolled: 1-line block ×3, first 2 shown]
	v_cmp_eq_u32_e64 s3, 7, v69
	v_cndmask_b32_e64 v4, v10, v8, s5
	v_cndmask_b32_e64 v5, v5, v12, s6
	;; [unrolled: 1-line block ×3, first 2 shown]
	v_cndmask_b32_e32 v2, v2, v16, vcc_lo
	v_cndmask_b32_e64 v7, v7, v12, s3
	v_cndmask_b32_e64 v3, v3, v16, s3
	;; [unrolled: 1-line block ×4, first 2 shown]
	v_cmp_gt_u32_e32 vcc_lo, 32, v0
	v_perm_b32 v4, v2, v1, 0x5040100
	v_perm_b32 v3, v3, v7, 0x5040100
	;; [unrolled: 1-line block ×4, first 2 shown]
	s_and_b32 s2, vcc_lo, s2
	ds_store_b128 v74, v[1:4]
	s_waitcnt lgkmcnt(0)
	s_barrier
	buffer_gl0_inv
	s_and_saveexec_b32 s3, s2
	s_cbranch_execz .LBB821_2
; %bb.15:
	s_load_b64 s[0:1], s[0:1], 0x68
	v_lshlrev_b32_e32 v0, 10, v0
	s_lshl_b32 s4, s35, 6
	v_or_b32_e32 v3, s31, v66
	s_mul_i32 s2, s4, s34
	v_lshlrev_b32_e32 v1, 4, v67
	s_mul_i32 s2, s2, s8
	v_lshlrev_b32_e32 v2, 6, v66
	v_and_b32_e32 v0, 0x3800, v0
	s_ashr_i32 s3, s2, 31
	v_mul_lo_u32 v4, v3, s4
	s_lshl_b64 s[2:3], s[2:3], 1
	s_delay_alu instid0(VALU_DEP_2) | instskip(NEXT) | instid1(VALU_DEP_2)
	v_or3_b32 v16, v0, v1, v2
	v_ashrrev_i32_e32 v5, 31, v4
	ds_load_b128 v[0:3], v16
	s_waitcnt lgkmcnt(0)
	s_add_u32 s2, s0, s2
	s_addc_u32 s3, s1, s3
	s_lshl_b32 s0, s14, 6
	v_lshlrev_b64 v[5:6], 1, v[4:5]
	s_ashr_i32 s1, s0, 31
	s_delay_alu instid0(SALU_CYCLE_1) | instskip(NEXT) | instid1(SALU_CYCLE_1)
	s_lshl_b64 s[0:1], s[0:1], 1
	s_add_u32 s0, s2, s0
	s_addc_u32 s1, s3, s1
	s_lshl_b32 s2, s35, 7
	v_add_co_u32 v30, s0, s0, v65
	v_add_nc_u32_e32 v8, s2, v4
	v_add_co_ci_u32_e64 v31, null, s1, 0, s0
	s_delay_alu instid0(VALU_DEP_3) | instskip(NEXT) | instid1(VALU_DEP_3)
	v_add_co_u32 v12, vcc_lo, v30, v5
	v_add_nc_u32_e32 v10, s2, v8
	v_ashrrev_i32_e32 v9, 31, v8
	s_delay_alu instid0(VALU_DEP_4)
	v_add_co_ci_u32_e32 v13, vcc_lo, v31, v6, vcc_lo
	ds_load_b128 v[4:7], v16 offset:128
	v_ashrrev_i32_e32 v11, 31, v10
	v_lshlrev_b64 v[8:9], 1, v[8:9]
	v_add_nc_u32_e32 v14, s2, v10
	global_store_b128 v[12:13], v[0:3], off
	v_lshlrev_b64 v[0:1], 1, v[10:11]
	v_ashrrev_i32_e32 v15, 31, v14
	v_add_co_u32 v22, vcc_lo, v30, v8
	v_add_nc_u32_e32 v20, s2, v14
	v_add_co_ci_u32_e32 v23, vcc_lo, v31, v9, vcc_lo
	v_add_co_u32 v26, vcc_lo, v30, v0
	v_lshlrev_b64 v[24:25], 1, v[14:15]
	v_add_co_ci_u32_e32 v27, vcc_lo, v31, v1, vcc_lo
	ds_load_b128 v[0:3], v16 offset:256
	ds_load_b128 v[8:11], v16 offset:384
	;; [unrolled: 1-line block ×4, first 2 shown]
	v_add_nc_u32_e32 v28, s2, v20
	v_ashrrev_i32_e32 v21, 31, v20
	v_add_co_u32 v24, vcc_lo, v30, v24
	v_add_co_ci_u32_e32 v25, vcc_lo, v31, v25, vcc_lo
	s_delay_alu instid0(VALU_DEP_4) | instskip(NEXT) | instid1(VALU_DEP_4)
	v_ashrrev_i32_e32 v29, 31, v28
	v_lshlrev_b64 v[20:21], 1, v[20:21]
	s_delay_alu instid0(VALU_DEP_2) | instskip(NEXT) | instid1(VALU_DEP_2)
	v_lshlrev_b64 v[28:29], 1, v[28:29]
	v_add_co_u32 v20, vcc_lo, v30, v20
	s_delay_alu instid0(VALU_DEP_3) | instskip(NEXT) | instid1(VALU_DEP_3)
	v_add_co_ci_u32_e32 v21, vcc_lo, v31, v21, vcc_lo
	v_add_co_u32 v28, vcc_lo, v30, v28
	s_delay_alu instid0(VALU_DEP_4)
	v_add_co_ci_u32_e32 v29, vcc_lo, v31, v29, vcc_lo
	s_waitcnt lgkmcnt(4)
	global_store_b128 v[22:23], v[4:7], off
	s_waitcnt lgkmcnt(3)
	global_store_b128 v[26:27], v[0:3], off
	;; [unrolled: 2-line block ×5, first 2 shown]
	s_nop 0
	s_sendmsg sendmsg(MSG_DEALLOC_VGPRS)
	s_endpgm
	.section	.rodata,"a",@progbits
	.p2align	6, 0x0
	.amdhsa_kernel _Z39paged_attention_ll4mi_QKV_mfma16_kernelIDF16_hLN4vllm18Fp8KVCacheDataTypeE1EDF16_Li16ELi64ELi256ELb1ELi12EL8MFMAType1EEvPKT_PKT0_S8_ifPKiSA_SA_iPKfiiiPfSD_PS3_PT2_iSC_SC_
		.amdhsa_group_segment_fixed_size 17472
		.amdhsa_private_segment_fixed_size 0
		.amdhsa_kernarg_size 400
		.amdhsa_user_sgpr_count 13
		.amdhsa_user_sgpr_dispatch_ptr 0
		.amdhsa_user_sgpr_queue_ptr 0
		.amdhsa_user_sgpr_kernarg_segment_ptr 1
		.amdhsa_user_sgpr_dispatch_id 0
		.amdhsa_user_sgpr_private_segment_size 0
		.amdhsa_wavefront_size32 1
		.amdhsa_uses_dynamic_stack 0
		.amdhsa_enable_private_segment 0
		.amdhsa_system_sgpr_workgroup_id_x 1
		.amdhsa_system_sgpr_workgroup_id_y 1
		.amdhsa_system_sgpr_workgroup_id_z 1
		.amdhsa_system_sgpr_workgroup_info 0
		.amdhsa_system_vgpr_workitem_id 0
		.amdhsa_next_free_vgpr 146
		.amdhsa_next_free_sgpr 36
		.amdhsa_reserve_vcc 1
		.amdhsa_float_round_mode_32 0
		.amdhsa_float_round_mode_16_64 0
		.amdhsa_float_denorm_mode_32 3
		.amdhsa_float_denorm_mode_16_64 3
		.amdhsa_dx10_clamp 1
		.amdhsa_ieee_mode 1
		.amdhsa_fp16_overflow 0
		.amdhsa_workgroup_processor_mode 1
		.amdhsa_memory_ordered 1
		.amdhsa_forward_progress 0
		.amdhsa_shared_vgpr_count 0
		.amdhsa_exception_fp_ieee_invalid_op 0
		.amdhsa_exception_fp_denorm_src 0
		.amdhsa_exception_fp_ieee_div_zero 0
		.amdhsa_exception_fp_ieee_overflow 0
		.amdhsa_exception_fp_ieee_underflow 0
		.amdhsa_exception_fp_ieee_inexact 0
		.amdhsa_exception_int_div_zero 0
	.end_amdhsa_kernel
	.section	.text._Z39paged_attention_ll4mi_QKV_mfma16_kernelIDF16_hLN4vllm18Fp8KVCacheDataTypeE1EDF16_Li16ELi64ELi256ELb1ELi12EL8MFMAType1EEvPKT_PKT0_S8_ifPKiSA_SA_iPKfiiiPfSD_PS3_PT2_iSC_SC_,"axG",@progbits,_Z39paged_attention_ll4mi_QKV_mfma16_kernelIDF16_hLN4vllm18Fp8KVCacheDataTypeE1EDF16_Li16ELi64ELi256ELb1ELi12EL8MFMAType1EEvPKT_PKT0_S8_ifPKiSA_SA_iPKfiiiPfSD_PS3_PT2_iSC_SC_,comdat
.Lfunc_end821:
	.size	_Z39paged_attention_ll4mi_QKV_mfma16_kernelIDF16_hLN4vllm18Fp8KVCacheDataTypeE1EDF16_Li16ELi64ELi256ELb1ELi12EL8MFMAType1EEvPKT_PKT0_S8_ifPKiSA_SA_iPKfiiiPfSD_PS3_PT2_iSC_SC_, .Lfunc_end821-_Z39paged_attention_ll4mi_QKV_mfma16_kernelIDF16_hLN4vllm18Fp8KVCacheDataTypeE1EDF16_Li16ELi64ELi256ELb1ELi12EL8MFMAType1EEvPKT_PKT0_S8_ifPKiSA_SA_iPKfiiiPfSD_PS3_PT2_iSC_SC_
                                        ; -- End function
	.section	.AMDGPU.csdata,"",@progbits
; Kernel info:
; codeLenInByte = 6588
; NumSgprs: 38
; NumVgprs: 146
; ScratchSize: 0
; MemoryBound: 0
; FloatMode: 240
; IeeeMode: 1
; LDSByteSize: 17472 bytes/workgroup (compile time only)
; SGPRBlocks: 4
; VGPRBlocks: 18
; NumSGPRsForWavesPerEU: 38
; NumVGPRsForWavesPerEU: 146
; Occupancy: 9
; WaveLimiterHint : 1
; COMPUTE_PGM_RSRC2:SCRATCH_EN: 0
; COMPUTE_PGM_RSRC2:USER_SGPR: 13
; COMPUTE_PGM_RSRC2:TRAP_HANDLER: 0
; COMPUTE_PGM_RSRC2:TGID_X_EN: 1
; COMPUTE_PGM_RSRC2:TGID_Y_EN: 1
; COMPUTE_PGM_RSRC2:TGID_Z_EN: 1
; COMPUTE_PGM_RSRC2:TIDIG_COMP_CNT: 0
	.section	.text._Z39paged_attention_ll4mi_QKV_mfma16_kernelIDF16_hLN4vllm18Fp8KVCacheDataTypeE1EDF16_Li16ELi64ELi256ELb1ELi13EL8MFMAType1EEvPKT_PKT0_S8_ifPKiSA_SA_iPKfiiiPfSD_PS3_PT2_iSC_SC_,"axG",@progbits,_Z39paged_attention_ll4mi_QKV_mfma16_kernelIDF16_hLN4vllm18Fp8KVCacheDataTypeE1EDF16_Li16ELi64ELi256ELb1ELi13EL8MFMAType1EEvPKT_PKT0_S8_ifPKiSA_SA_iPKfiiiPfSD_PS3_PT2_iSC_SC_,comdat
	.protected	_Z39paged_attention_ll4mi_QKV_mfma16_kernelIDF16_hLN4vllm18Fp8KVCacheDataTypeE1EDF16_Li16ELi64ELi256ELb1ELi13EL8MFMAType1EEvPKT_PKT0_S8_ifPKiSA_SA_iPKfiiiPfSD_PS3_PT2_iSC_SC_ ; -- Begin function _Z39paged_attention_ll4mi_QKV_mfma16_kernelIDF16_hLN4vllm18Fp8KVCacheDataTypeE1EDF16_Li16ELi64ELi256ELb1ELi13EL8MFMAType1EEvPKT_PKT0_S8_ifPKiSA_SA_iPKfiiiPfSD_PS3_PT2_iSC_SC_
	.globl	_Z39paged_attention_ll4mi_QKV_mfma16_kernelIDF16_hLN4vllm18Fp8KVCacheDataTypeE1EDF16_Li16ELi64ELi256ELb1ELi13EL8MFMAType1EEvPKT_PKT0_S8_ifPKiSA_SA_iPKfiiiPfSD_PS3_PT2_iSC_SC_
	.p2align	8
	.type	_Z39paged_attention_ll4mi_QKV_mfma16_kernelIDF16_hLN4vllm18Fp8KVCacheDataTypeE1EDF16_Li16ELi64ELi256ELb1ELi13EL8MFMAType1EEvPKT_PKT0_S8_ifPKiSA_SA_iPKfiiiPfSD_PS3_PT2_iSC_SC_,@function
_Z39paged_attention_ll4mi_QKV_mfma16_kernelIDF16_hLN4vllm18Fp8KVCacheDataTypeE1EDF16_Li16ELi64ELi256ELb1ELi13EL8MFMAType1EEvPKT_PKT0_S8_ifPKiSA_SA_iPKfiiiPfSD_PS3_PT2_iSC_SC_: ; @_Z39paged_attention_ll4mi_QKV_mfma16_kernelIDF16_hLN4vllm18Fp8KVCacheDataTypeE1EDF16_Li16ELi64ELi256ELb1ELi13EL8MFMAType1EEvPKT_PKT0_S8_ifPKiSA_SA_iPKfiiiPfSD_PS3_PT2_iSC_SC_
; %bb.0:
	s_load_b64 s[2:3], s[0:1], 0x30
	s_mov_b32 s34, s13
	s_waitcnt lgkmcnt(0)
	s_cmp_lg_u64 s[2:3], 0
	s_cselect_b32 s6, -1, 0
	s_ashr_i32 s35, s13, 31
	s_cmp_eq_u64 s[2:3], 0
	s_cbranch_scc1 .LBB822_3
; %bb.1:
	s_lshl_b64 s[4:5], s[34:35], 2
	s_delay_alu instid0(SALU_CYCLE_1) | instskip(SKIP_4) | instid1(SALU_CYCLE_1)
	s_add_u32 s4, s2, s4
	s_addc_u32 s5, s3, s5
	s_load_b64 s[4:5], s[4:5], 0x0
	s_waitcnt lgkmcnt(0)
	s_sub_i32 s4, s5, s4
	s_cmp_eq_u32 s4, 1
	s_cselect_b32 s4, -1, 0
	s_delay_alu instid0(SALU_CYCLE_1)
	s_and_not1_b32 vcc_lo, exec_lo, s4
	s_cbranch_vccz .LBB822_4
.LBB822_2:
	s_nop 0
	s_sendmsg sendmsg(MSG_DEALLOC_VGPRS)
	s_endpgm
.LBB822_3:
.LBB822_4:
	s_load_b64 s[8:9], s[0:1], 0x28
	s_lshl_b64 s[4:5], s[34:35], 2
	s_waitcnt lgkmcnt(0)
	s_add_u32 s8, s8, s4
	s_addc_u32 s9, s9, s5
	s_lshl_b32 s16, s14, 8
	s_load_b32 s18, s[8:9], 0x0
	s_waitcnt lgkmcnt(0)
	s_cmp_ge_i32 s16, s18
	s_cbranch_scc1 .LBB822_2
; %bb.5:
	s_clause 0x1
	s_load_b128 s[8:11], s[0:1], 0x8
	s_load_b64 s[12:13], s[0:1], 0x20
	s_and_not1_b32 vcc_lo, exec_lo, s6
	s_cbranch_vccnz .LBB822_7
; %bb.6:
	s_add_u32 s2, s2, s4
	s_addc_u32 s3, s3, s5
	s_load_b32 s3, s[2:3], 0x0
	s_branch .LBB822_8
.LBB822_7:
	s_mov_b32 s3, s34
.LBB822_8:
	s_load_b128 s[4:7], s[0:1], 0x48
	v_lshrrev_b32_e32 v69, 5, v0
	v_bfe_u32 v66, v0, 4, 1
	v_and_b32_e32 v68, 15, v0
	v_and_b32_e32 v70, 31, v0
	;; [unrolled: 1-line block ×3, first 2 shown]
	s_mul_i32 s33, s15, 13
	v_lshl_or_b32 v1, v69, 1, v66
	v_lshlrev_b32_e32 v2, 3, v68
	v_cmp_gt_u32_e64 s2, 8, v68
	s_delay_alu instid0(VALU_DEP_3) | instskip(NEXT) | instid1(VALU_DEP_3)
	v_cmp_gt_u32_e32 vcc_lo, 13, v1
	v_lshlrev_b32_e32 v65, 1, v2
	s_delay_alu instid0(VALU_DEP_3)
	s_and_b32 s17, s2, vcc_lo
	s_waitcnt lgkmcnt(0)
	s_and_saveexec_b32 s7, s17
	s_cbranch_execz .LBB822_10
; %bb.9:
	s_load_b64 s[20:21], s[0:1], 0x0
	v_add_lshl_u32 v2, v1, s33, 6
	s_mul_hi_i32 s23, s3, s4
	s_mul_i32 s22, s3, s4
	v_lshlrev_b32_e32 v6, 10, v68
	s_lshl_b64 s[22:23], s[22:23], 1
	v_ashrrev_i32_e32 v3, 31, v2
	v_lshlrev_b32_e32 v1, 6, v1
	v_lshlrev_b32_e32 v7, 10, v67
	v_and_b32_e32 v6, 0x3800, v6
	s_delay_alu instid0(VALU_DEP_4) | instskip(NEXT) | instid1(VALU_DEP_2)
	v_lshlrev_b64 v[2:3], 1, v[2:3]
	v_or3_b32 v1, v6, v7, v1
	s_waitcnt lgkmcnt(0)
	s_add_u32 s3, s20, s22
	s_addc_u32 s4, s21, s23
	s_delay_alu instid0(VALU_DEP_2) | instskip(SKIP_1) | instid1(VALU_DEP_2)
	v_add_co_u32 v2, vcc_lo, s3, v2
	v_add_co_ci_u32_e32 v3, vcc_lo, s4, v3, vcc_lo
	v_add_co_u32 v2, vcc_lo, v2, v65
	s_delay_alu instid0(VALU_DEP_2)
	v_add_co_ci_u32_e32 v3, vcc_lo, 0, v3, vcc_lo
	global_load_b128 v[2:5], v[2:3], off
	s_waitcnt vmcnt(0)
	ds_store_b128 v1, v[2:5]
.LBB822_10:
	s_or_b32 exec_lo, exec_lo, s7
	v_and_b32_e32 v1, 0xef, v0
	s_add_i32 s3, s18, 15
	s_clause 0x1
	s_load_b32 s4, s[0:1], 0x38
	s_load_b32 s35, s[0:1], 0x98
	s_ashr_i32 s7, s3, 31
	v_add_nc_u32_e32 v1, s16, v1
	s_lshr_b32 s7, s7, 28
	s_load_b32 s19, s[0:1], 0x1c
	v_add_nc_u32_e32 v103, -13, v68
	s_add_i32 s3, s3, s7
	v_ashrrev_i32_e32 v2, 31, v1
	v_or_b32_e32 v3, 16, v1
	s_ashr_i32 s3, s3, 4
	v_cmp_gt_i32_e32 vcc_lo, s18, v1
	s_add_i32 s3, s3, -1
	v_lshrrev_b32_e32 v2, 28, v2
	s_waitcnt lgkmcnt(0)
	s_barrier
	buffer_gl0_inv
	s_mul_i32 s15, s15, s6
	v_add_nc_u32_e32 v4, v1, v2
	v_mbcnt_lo_u32_b32 v127, -1, 0
	s_mul_i32 s20, s34, s4
	s_delay_alu instid0(SALU_CYCLE_1) | instskip(NEXT) | instid1(VALU_DEP_2)
	s_ashr_i32 s21, s20, 31
	v_ashrrev_i32_e32 v4, 4, v4
	v_add_nc_u32_e32 v2, v3, v2
	s_lshl_b64 s[20:21], s[20:21], 2
	v_xor_b32_e32 v128, 16, v127
	s_add_u32 s17, s12, s20
	v_cndmask_b32_e32 v1, s3, v4, vcc_lo
	v_ashrrev_i32_e32 v2, 4, v2
	v_cmp_gt_i32_e32 vcc_lo, s18, v3
	s_addc_u32 s13, s13, s21
	s_ashr_i32 s20, s15, 31
	s_add_u32 s4, s8, s15
	s_addc_u32 s12, s9, s20
	v_cndmask_b32_e32 v3, s3, v2, vcc_lo
	v_ashrrev_i32_e32 v2, 31, v1
	s_lshl_b32 s6, s14, 4
	s_delay_alu instid0(SALU_CYCLE_1) | instskip(NEXT) | instid1(VALU_DEP_2)
	s_ashr_i32 s7, s6, 31
	v_ashrrev_i32_e32 v4, 31, v3
	s_delay_alu instid0(VALU_DEP_2) | instskip(SKIP_1) | instid1(SALU_CYCLE_1)
	v_lshlrev_b64 v[1:2], 2, v[1:2]
	s_lshl_b64 s[6:7], s[6:7], 2
	s_add_u32 s6, s17, s6
	s_delay_alu instid0(VALU_DEP_2) | instskip(SKIP_1) | instid1(VALU_DEP_2)
	v_lshlrev_b64 v[3:4], 2, v[3:4]
	s_addc_u32 s7, s13, s7
	v_add_co_u32 v1, vcc_lo, s17, v1
	v_add_co_ci_u32_e32 v2, vcc_lo, s13, v2, vcc_lo
	s_delay_alu instid0(VALU_DEP_3) | instskip(NEXT) | instid1(VALU_DEP_4)
	v_add_co_u32 v3, vcc_lo, s17, v3
	v_add_co_ci_u32_e32 v4, vcc_lo, s13, v4, vcc_lo
	s_clause 0x1
	global_load_b32 v5, v[1:2], off
	global_load_b32 v7, v[3:4], off
	s_or_b32 s8, s16, 32
	v_lshlrev_b32_e32 v1, 4, v0
	s_ashr_i32 s9, s8, 4
	s_cmp_lt_i32 s8, s18
	v_cmp_gt_u32_e32 vcc_lo, 13, v68
	s_cselect_b32 s8, s9, s3
	v_and_b32_e32 v1, 0xf0, v1
	s_ashr_i32 s9, s8, 31
	s_delay_alu instid0(SALU_CYCLE_1)
	s_lshl_b64 s[8:9], s[8:9], 2
	v_cndmask_b32_e32 v103, v103, v68, vcc_lo
	s_add_u32 s8, s17, s8
	s_addc_u32 s9, s13, s9
	s_or_b32 s21, s16, 64
	v_add_co_u32 v1, s4, s4, v1
	s_ashr_i32 s22, s21, 4
	s_cmp_lt_i32 s21, s18
	v_add_co_ci_u32_e64 v2, null, s12, 0, s4
	s_cselect_b32 s22, s22, s3
	v_cmp_gt_i32_e32 vcc_lo, 32, v128
	s_ashr_i32 s23, s22, 31
	v_lshlrev_b32_e32 v115, 6, v103
	s_lshl_b64 s[22:23], s[22:23], 2
	v_cndmask_b32_e32 v136, v127, v128, vcc_lo
	s_add_u32 s22, s17, s22
	s_addc_u32 s23, s13, s23
	s_or_b32 s21, s16, 0x60
	s_delay_alu instid0(SALU_CYCLE_1) | instskip(SKIP_2) | instid1(SALU_CYCLE_1)
	s_ashr_i32 s24, s21, 4
	s_cmp_lt_i32 s21, s18
	s_cselect_b32 s24, s24, s3
	s_ashr_i32 s25, s24, 31
	s_delay_alu instid0(SALU_CYCLE_1) | instskip(NEXT) | instid1(SALU_CYCLE_1)
	s_lshl_b64 s[24:25], s[24:25], 2
	s_add_u32 s24, s17, s24
	s_addc_u32 s25, s13, s25
	s_or_b32 s21, s16, 0x80
	s_delay_alu instid0(SALU_CYCLE_1) | instskip(SKIP_2) | instid1(SALU_CYCLE_1)
	s_ashr_i32 s26, s21, 4
	s_cmp_lt_i32 s21, s18
	s_cselect_b32 s26, s26, s3
	s_ashr_i32 s27, s26, 31
	s_delay_alu instid0(SALU_CYCLE_1) | instskip(NEXT) | instid1(SALU_CYCLE_1)
	s_lshl_b64 s[26:27], s[26:27], 2
	;; [unrolled: 10-line block ×3, first 2 shown]
	s_add_u32 s28, s17, s28
	s_addc_u32 s29, s13, s29
	s_clause 0x5
	s_load_b32 s12, s[6:7], 0x0
	s_load_b32 s4, s[8:9], 0x0
	;; [unrolled: 1-line block ×6, first 2 shown]
	s_or_b32 s21, s16, 0xc0
	s_delay_alu instid0(SALU_CYCLE_1) | instskip(SKIP_2) | instid1(SALU_CYCLE_1)
	s_ashr_i32 s22, s21, 4
	s_cmp_lt_i32 s21, s18
	s_cselect_b32 s22, s22, s3
	s_ashr_i32 s23, s22, 31
	s_delay_alu instid0(SALU_CYCLE_1) | instskip(NEXT) | instid1(SALU_CYCLE_1)
	s_lshl_b64 s[22:23], s[22:23], 2
	s_add_u32 s22, s17, s22
	s_addc_u32 s23, s13, s23
	s_or_b32 s21, s16, 0xe0
	s_delay_alu instid0(SALU_CYCLE_1) | instskip(SKIP_2) | instid1(SALU_CYCLE_1)
	s_ashr_i32 s24, s21, 4
	s_cmp_lt_i32 s21, s18
	s_cselect_b32 s24, s24, s3
	s_ashr_i32 s25, s24, 31
	s_delay_alu instid0(SALU_CYCLE_1)
	s_lshl_b64 s[24:25], s[24:25], 2
	s_waitcnt vmcnt(1)
	v_mad_i64_i32 v[3:4], null, v5, s5, v[1:2]
	s_waitcnt vmcnt(0)
	v_mad_i64_i32 v[5:6], null, v7, s5, v[1:2]
	v_lshlrev_b32_e32 v1, 4, v68
	s_clause 0x7
	global_load_b128 v[71:74], v[3:4], off
	global_load_b128 v[75:78], v[3:4], off offset:256
	global_load_b128 v[79:82], v[5:6], off
	global_load_b128 v[83:86], v[5:6], off offset:256
	global_load_b128 v[87:90], v[3:4], off offset:512
	;; [unrolled: 1-line block ×5, first 2 shown]
	v_lshl_or_b32 v1, v69, 8, v1
	s_load_b32 s3, s[22:23], 0x0
	s_add_u32 s22, s17, s24
	s_addc_u32 s23, s13, s25
	s_add_u32 s10, s10, s15
	s_addc_u32 s11, s11, s20
	v_add_co_u32 v1, s10, s10, v1
	s_delay_alu instid0(VALU_DEP_1) | instskip(SKIP_2) | instid1(VALU_DEP_1)
	v_add_co_ci_u32_e64 v2, null, s11, 0, s10
	s_load_b32 s10, s[22:23], 0x0
	s_waitcnt lgkmcnt(0)
	v_mad_i64_i32 v[3:4], null, s12, s5, v[1:2]
	v_mad_i64_i32 v[9:10], null, s7, s5, v[1:2]
	;; [unrolled: 1-line block ×7, first 2 shown]
	s_clause 0x5
	global_load_b128 v[49:52], v[3:4], off
	global_load_b128 v[53:56], v[3:4], off offset:16
	global_load_b128 v[41:44], v[5:6], off
	global_load_b128 v[45:48], v[5:6], off offset:16
	global_load_b128 v[33:36], v[7:8], off
	global_load_b128 v[37:40], v[7:8], off offset:16
	s_mov_b32 s4, 0
	v_mad_i64_i32 v[61:62], null, s10, s5, v[1:2]
	s_clause 0x9
	global_load_b128 v[1:4], v[9:10], off
	global_load_b128 v[5:8], v[9:10], off offset:16
	global_load_b128 v[9:12], v[13:14], off
	global_load_b128 v[13:16], v[13:14], off offset:16
	global_load_b128 v[17:20], v[21:22], off
	global_load_b128 v[21:24], v[21:22], off offset:16
	global_load_b128 v[25:28], v[29:30], off
	global_load_b128 v[29:32], v[29:30], off offset:16
	global_load_b128 v[57:60], v[61:62], off
	global_load_b128 v[61:64], v[61:62], off offset:16
	s_mov_b32 s5, s4
	s_mov_b32 s6, s4
	;; [unrolled: 1-line block ×7, first 2 shown]
	v_and_b32_e32 v104, 0xe0, v0
	v_dual_mov_b32 v126, s11 :: v_dual_mov_b32 v125, s10
	v_dual_mov_b32 v124, s9 :: v_dual_mov_b32 v123, s8
	s_delay_alu instid0(VALU_DEP_3)
	v_add_nc_u32_e32 v111, s16, v104
	ds_load_b128 v[103:106], v115
	ds_load_b128 v[107:110], v115 offset:1024
	v_dual_mov_b32 v122, s7 :: v_dual_mov_b32 v121, s6
	v_mov_b32_e32 v120, s5
	v_or_b32_e32 v135, v111, v66
	ds_load_b128 v[111:114], v115 offset:2048
	ds_load_b128 v[115:118], v115 offset:3072
	v_mov_b32_e32 v119, s4
	s_waitcnt vmcnt(0) lgkmcnt(0)
	s_barrier
	v_or_b32_e32 v137, 2, v135
	v_or_b32_e32 v138, 4, v135
	;; [unrolled: 1-line block ×3, first 2 shown]
	v_cmp_gt_i32_e32 vcc_lo, s18, v135
	v_or_b32_e32 v140, 8, v135
	v_cmp_gt_i32_e64 s3, s18, v137
	v_or_b32_e32 v141, 10, v135
	v_cmp_gt_i32_e64 s4, s18, v138
	v_cmp_gt_i32_e64 s5, s18, v139
	v_or_b32_e32 v142, 12, v135
	v_or_b32_e32 v143, 14, v135
	v_cmp_gt_i32_e64 s6, s18, v140
	v_cmp_gt_i32_e64 s7, s18, v141
	v_or_b32_e32 v144, 16, v135
	v_or_b32_e32 v145, 18, v135
	v_cmp_gt_i32_e64 s8, s18, v142
	v_cmp_gt_i32_e64 s9, s18, v143
	buffer_gl0_inv
	v_cmp_gt_i32_e64 s10, s18, v144
	v_cmp_gt_i32_e64 s11, s18, v145
	v_wmma_f32_16x16x16_f16 v[127:134], v[71:78], v[103:110], v[119:126]
	v_wmma_f32_16x16x16_f16 v[119:126], v[79:86], v[103:110], v[119:126]
	v_or_b32_e32 v71, 20, v135
	v_or_b32_e32 v72, 22, v135
	s_delay_alu instid0(VALU_DEP_4)
	v_wmma_f32_16x16x16_f16 v[127:134], v[87:94], v[111:118], v[127:134]
	v_or_b32_e32 v73, 24, v135
	v_wmma_f32_16x16x16_f16 v[119:126], v[95:102], v[111:118], v[119:126]
	v_or_b32_e32 v74, 26, v135
	v_cmp_gt_i32_e64 s12, s18, v71
	v_dual_mul_f32 v83, s19, v128 :: v_dual_mul_f32 v84, s19, v127
	v_dual_mul_f32 v81, s19, v130 :: v_dual_mul_f32 v82, s19, v129
	;; [unrolled: 1-line block ×3, first 2 shown]
	s_delay_alu instid0(VALU_DEP_3) | instskip(NEXT) | instid1(VALU_DEP_4)
	v_cndmask_b32_e32 v84, 0xff7fffff, v84, vcc_lo
	v_cndmask_b32_e64 v83, 0xff7fffff, v83, s3
	v_mul_f32_e32 v80, s19, v131
	v_cndmask_b32_e64 v82, 0xff7fffff, v82, s4
	v_cndmask_b32_e64 v81, 0xff7fffff, v81, s5
	v_dual_mul_f32 v77, s19, v134 :: v_dual_mul_f32 v90, s19, v121
	v_max3_f32 v83, v84, 0xff7fffff, v83
	v_mul_f32_e32 v78, s19, v133
	v_cndmask_b32_e64 v80, 0xff7fffff, v80, s6
	v_cndmask_b32_e64 v79, 0xff7fffff, v79, s7
	v_mul_f32_e32 v91, s19, v120
	v_max3_f32 v81, v83, v82, v81
	v_cndmask_b32_e64 v78, 0xff7fffff, v78, s8
	v_cndmask_b32_e64 v77, 0xff7fffff, v77, s9
	v_mul_f32_e32 v89, s19, v122
	v_cmp_gt_i32_e64 s13, s18, v72
	v_max3_f32 v79, v81, v80, v79
	v_cndmask_b32_e64 v80, 0xff7fffff, v92, s10
	v_cndmask_b32_e64 v81, 0xff7fffff, v91, s11
	v_or_b32_e32 v75, 28, v135
	v_or_b32_e32 v76, 30, v135
	v_max3_f32 v77, v79, v78, v77
	v_dual_mul_f32 v87, s19, v124 :: v_dual_mul_f32 v88, s19, v123
	v_cndmask_b32_e64 v71, 0xff7fffff, v90, s12
	v_cndmask_b32_e64 v72, 0xff7fffff, v89, s13
	s_delay_alu instid0(VALU_DEP_4) | instskip(SKIP_3) | instid1(VALU_DEP_4)
	v_max3_f32 v77, v77, v80, v81
	v_cmp_gt_i32_e64 s15, s18, v73
	v_cmp_gt_i32_e64 s16, s18, v74
	v_dual_mul_f32 v85, s19, v126 :: v_dual_mul_f32 v86, s19, v125
	v_max3_f32 v71, v77, v71, v72
	s_delay_alu instid0(VALU_DEP_4) | instskip(NEXT) | instid1(VALU_DEP_4)
	v_cndmask_b32_e64 v73, 0xff7fffff, v88, s15
	v_cndmask_b32_e64 v74, 0xff7fffff, v87, s16
	v_cmp_gt_i32_e64 s17, s18, v75
	v_cmp_gt_i32_e64 s18, s18, v76
	s_delay_alu instid0(VALU_DEP_3) | instskip(NEXT) | instid1(VALU_DEP_3)
	v_max3_f32 v71, v71, v73, v74
	v_cndmask_b32_e64 v72, 0xff7fffff, v86, s17
	s_delay_alu instid0(VALU_DEP_3) | instskip(SKIP_1) | instid1(VALU_DEP_2)
	v_cndmask_b32_e64 v75, 0xff7fffff, v85, s18
	v_lshlrev_b32_e32 v73, 2, v136
	v_max3_f32 v71, v71, v72, v75
	ds_bpermute_b32 v72, v73, v71
	s_waitcnt lgkmcnt(0)
	v_max_f32_e32 v72, v72, v72
	s_delay_alu instid0(VALU_DEP_1) | instskip(NEXT) | instid1(VALU_DEP_1)
	v_max_f32_e32 v71, v71, v72
	v_fma_f32 v72, s19, v127, -v71
	v_fma_f32 v74, s19, v128, -v71
	;; [unrolled: 1-line block ×5, first 2 shown]
	v_mul_f32_e32 v72, 0x3fb8aa3b, v72
	s_delay_alu instid0(VALU_DEP_4) | instskip(NEXT) | instid1(VALU_DEP_4)
	v_dual_mul_f32 v74, 0x3fb8aa3b, v74 :: v_dual_mul_f32 v75, 0x3fb8aa3b, v75
	v_mul_f32_e32 v76, 0x3fb8aa3b, v76
	s_delay_alu instid0(VALU_DEP_4) | instskip(NEXT) | instid1(VALU_DEP_4)
	v_mul_f32_e32 v82, 0x3fb8aa3b, v80
	v_exp_f32_e32 v72, v72
	s_delay_alu instid0(VALU_DEP_3)
	v_exp_f32_e32 v74, v74
	v_exp_f32_e32 v75, v75
	;; [unrolled: 1-line block ×3, first 2 shown]
	v_fma_f32 v77, s19, v131, -v71
	v_exp_f32_e32 v84, v82
	v_cndmask_b32_e32 v79, 0, v72, vcc_lo
	v_cndmask_b32_e64 v78, 0, v74, s3
	s_delay_alu instid0(TRANS32_DEP_3) | instskip(SKIP_1) | instid1(TRANS32_DEP_2)
	v_cndmask_b32_e64 v81, 0, v75, s4
	v_fma_f32 v72, s19, v132, -v71
	v_cndmask_b32_e64 v80, 0, v76, s5
	v_add_f32_e32 v74, 0, v79
	s_delay_alu instid0(TRANS32_DEP_1) | instskip(SKIP_2) | instid1(VALU_DEP_4)
	v_cndmask_b32_e64 v85, 0, v84, s8
	v_cmp_gt_u32_e64 s3, 16, v70
	v_mul_f32_e32 v72, 0x3fb8aa3b, v72
	v_add_f32_e32 v74, v74, v78
	s_delay_alu instid0(VALU_DEP_2) | instskip(NEXT) | instid1(VALU_DEP_1)
	v_exp_f32_e32 v72, v72
	v_add_f32_e32 v74, v74, v81
	s_delay_alu instid0(VALU_DEP_1) | instskip(NEXT) | instid1(VALU_DEP_1)
	v_dual_mul_f32 v77, 0x3fb8aa3b, v77 :: v_dual_add_f32 v74, v74, v80
	v_exp_f32_e32 v77, v77
	s_waitcnt_depctr 0xfff
	v_cndmask_b32_e64 v82, 0, v72, s7
	v_cndmask_b32_e64 v83, 0, v77, s6
	s_delay_alu instid0(VALU_DEP_1) | instskip(SKIP_4) | instid1(VALU_DEP_4)
	v_add_f32_e32 v72, v74, v83
	v_fma_f32 v75, s19, v134, -v71
	v_fma_f32 v76, s19, v119, -v71
	;; [unrolled: 1-line block ×4, first 2 shown]
	v_dual_add_f32 v72, v72, v82 :: v_dual_mul_f32 v75, 0x3fb8aa3b, v75
	s_delay_alu instid0(VALU_DEP_3) | instskip(NEXT) | instid1(VALU_DEP_3)
	v_dual_mul_f32 v76, 0x3fb8aa3b, v76 :: v_dual_mul_f32 v77, 0x3fb8aa3b, v77
	v_mul_f32_e32 v74, 0x3fb8aa3b, v74
	v_fma_f32 v86, s19, v122, -v71
	s_delay_alu instid0(VALU_DEP_4) | instskip(NEXT) | instid1(VALU_DEP_3)
	v_exp_f32_e32 v75, v75
	v_exp_f32_e32 v76, v76
	;; [unrolled: 1-line block ×4, first 2 shown]
	v_mul_f32_e32 v86, 0x3fb8aa3b, v86
	s_delay_alu instid0(VALU_DEP_1)
	v_exp_f32_e32 v88, v86
	v_cndmask_b32_e64 v84, 0, v75, s9
	v_fma_f32 v75, s19, v123, -v71
	v_add_f32_e32 v72, v72, v85
	v_cndmask_b32_e64 v87, 0, v76, s10
	v_fma_f32 v76, s19, v124, -v71
	s_delay_alu instid0(TRANS32_DEP_3) | instskip(NEXT) | instid1(VALU_DEP_4)
	v_cndmask_b32_e64 v86, 0, v77, s11
	v_dual_mul_f32 v75, 0x3fb8aa3b, v75 :: v_dual_add_f32 v72, v72, v84
	v_fma_f32 v77, s19, v125, -v71
	s_delay_alu instid0(VALU_DEP_4) | instskip(SKIP_1) | instid1(VALU_DEP_4)
	v_mul_f32_e32 v76, 0x3fb8aa3b, v76
	v_cndmask_b32_e64 v89, 0, v74, s12
	v_exp_f32_e32 v75, v75
	v_add_f32_e32 v72, v72, v87
	v_mul_f32_e32 v74, 0x3fb8aa3b, v77
	v_exp_f32_e32 v76, v76
	v_cndmask_b32_e64 v88, 0, v88, s13
	v_fma_f32 v77, s19, v126, -v71
	v_add_f32_e32 v72, v72, v86
	v_exp_f32_e32 v74, v74
	s_delay_alu instid0(TRANS32_DEP_3) | instskip(NEXT) | instid1(VALU_DEP_2)
	v_cndmask_b32_e64 v91, 0, v75, s15
	v_add_f32_e32 v72, v72, v89
	v_mul_f32_e32 v75, 0x3fb8aa3b, v77
	s_delay_alu instid0(TRANS32_DEP_2) | instskip(NEXT) | instid1(VALU_DEP_3)
	v_cndmask_b32_e64 v90, 0, v76, s16
	v_add_f32_e32 v72, v72, v88
	s_delay_alu instid0(VALU_DEP_3) | instskip(NEXT) | instid1(TRANS32_DEP_2)
	v_exp_f32_e32 v75, v75
	v_cndmask_b32_e64 v93, 0, v74, s17
	s_delay_alu instid0(VALU_DEP_2) | instskip(NEXT) | instid1(VALU_DEP_1)
	v_add_f32_e32 v72, v72, v91
	v_add_f32_e32 v72, v72, v90
	s_waitcnt_depctr 0xfff
	v_cndmask_b32_e64 v92, 0, v75, s18
	v_add_f32_e32 v72, v72, v93
	s_delay_alu instid0(VALU_DEP_1)
	v_add_f32_e32 v72, v72, v92
	ds_bpermute_b32 v73, v73, v72
	s_and_saveexec_b32 s4, s3
	s_cbranch_execz .LBB822_12
; %bb.11:
	v_mul_u32_u24_e32 v70, 0x44, v69
	s_waitcnt lgkmcnt(0)
	v_add_f32_e32 v72, v72, v73
	s_delay_alu instid0(VALU_DEP_2) | instskip(NEXT) | instid1(VALU_DEP_1)
	v_lshl_add_u32 v70, v68, 2, v70
	v_add_nc_u32_e32 v70, 0x4000, v70
	ds_store_2addr_b32 v70, v71, v72 offset1:136
.LBB822_12:
	s_or_b32 exec_lo, exec_lo, s4
	v_lshlrev_b32_e32 v70, 2, v68
	s_load_b32 s36, s[0:1], 0x94
	s_waitcnt lgkmcnt(0)
	s_barrier
	buffer_gl0_inv
	v_add_nc_u32_e32 v98, 0x4000, v70
	v_cmp_eq_u32_e32 vcc_lo, 1, v69
	v_cmp_eq_u32_e64 s4, 2, v69
	v_cmp_eq_u32_e64 s5, 3, v69
	;; [unrolled: 1-line block ×3, first 2 shown]
	ds_load_2addr_b32 v[70:71], v98 offset1:17
	ds_load_2addr_b32 v[72:73], v98 offset0:34 offset1:51
	ds_load_2addr_b32 v[74:75], v98 offset0:68 offset1:85
	ds_load_2addr_b32 v[94:95], v98 offset0:102 offset1:119
	v_cmp_eq_u32_e64 s7, 5, v69
	v_cmp_eq_u32_e64 s8, 7, v69
	s_waitcnt lgkmcnt(3)
	v_max3_f32 v76, v70, 0xff7fffff, v71
	s_waitcnt lgkmcnt(2)
	s_delay_alu instid0(VALU_DEP_1) | instskip(SKIP_1) | instid1(VALU_DEP_1)
	v_max3_f32 v76, v76, v72, v73
	s_waitcnt lgkmcnt(1)
	v_max3_f32 v76, v76, v74, v75
	s_waitcnt lgkmcnt(0)
	s_delay_alu instid0(VALU_DEP_1) | instskip(NEXT) | instid1(VALU_DEP_1)
	v_max3_f32 v76, v76, v94, v95
	v_sub_f32_e32 v77, v71, v76
	ds_load_2addr_b32 v[96:97], v98 offset0:136 offset1:153
	v_sub_f32_e32 v74, v74, v76
	v_sub_f32_e32 v70, v70, v76
	;; [unrolled: 1-line block ×3, first 2 shown]
	v_dual_sub_f32 v72, v72, v76 :: v_dual_mul_f32 v77, 0x3fb8aa3b, v77
	s_delay_alu instid0(VALU_DEP_4) | instskip(NEXT) | instid1(VALU_DEP_4)
	v_mul_f32_e32 v103, 0x3fb8aa3b, v74
	v_mul_f32_e32 v99, 0x3fb8aa3b, v70
	ds_load_2addr_b32 v[70:71], v98 offset0:170 offset1:187
	v_dual_mul_f32 v101, 0x3fb8aa3b, v72 :: v_dual_mul_f32 v94, 0x3fb8aa3b, v94
	v_exp_f32_e32 v102, v77
	v_exp_f32_e32 v99, v99
	s_delay_alu instid0(VALU_DEP_1) | instskip(NEXT) | instid1(VALU_DEP_1)
	v_exp_f32_e32 v101, v101
	v_exp_f32_e32 v94, v94
	s_waitcnt lgkmcnt(1)
	s_delay_alu instid0(TRANS32_DEP_3)
	v_fma_f32 v77, v99, v96, 0
	v_sub_f32_e32 v100, v73, v76
	ds_load_2addr_b32 v[72:73], v98 offset0:204 offset1:221
	v_fmac_f32_e32 v77, v102, v97
	v_exp_f32_e32 v97, v103
	s_waitcnt lgkmcnt(1)
	s_delay_alu instid0(VALU_DEP_1)
	v_dual_fmac_f32 v77, v101, v70 :: v_dual_sub_f32 v96, v75, v76
	ds_load_2addr_b32 v[74:75], v98 offset0:238 offset1:255
	v_sub_f32_e32 v70, v95, v76
	s_waitcnt lgkmcnt(0)
	s_barrier
	v_mul_f32_e32 v96, 0x3fb8aa3b, v96
	buffer_gl0_inv
	v_exp_f32_e32 v95, v96
	v_mul_f32_e32 v100, 0x3fb8aa3b, v100
	s_delay_alu instid0(VALU_DEP_1) | instskip(SKIP_3) | instid1(VALU_DEP_2)
	v_exp_f32_e32 v100, v100
	s_waitcnt_depctr 0xfff
	v_dual_fmac_f32 v77, v100, v71 :: v_dual_mul_f32 v70, 0x3fb8aa3b, v70
	v_cndmask_b32_e32 v71, v99, v102, vcc_lo
	v_fmac_f32_e32 v77, v97, v72
	s_delay_alu instid0(VALU_DEP_3) | instskip(NEXT) | instid1(VALU_DEP_1)
	v_exp_f32_e32 v96, v70
	v_fmac_f32_e32 v77, v95, v73
	s_delay_alu instid0(VALU_DEP_1) | instskip(SKIP_2) | instid1(VALU_DEP_1)
	v_fmac_f32_e32 v77, v94, v74
	s_waitcnt_depctr 0xfff
	v_fmac_f32_e32 v77, v96, v75
	v_add_f32_e32 v74, 0x358637bd, v77
	s_delay_alu instid0(VALU_DEP_1) | instskip(SKIP_1) | instid1(VALU_DEP_2)
	v_div_scale_f32 v98, null, v74, v74, 1.0
	v_div_scale_f32 v99, vcc_lo, 1.0, v74, 1.0
	v_rcp_f32_e32 v103, v98
	s_waitcnt_depctr 0xfff
	v_fma_f32 v70, -v98, v103, 1.0
	s_delay_alu instid0(VALU_DEP_1) | instskip(SKIP_2) | instid1(VALU_DEP_2)
	v_fmac_f32_e32 v103, v70, v103
	v_cndmask_b32_e64 v70, v71, v101, s4
	v_cmp_eq_u32_e64 s4, 6, v69
	v_cndmask_b32_e64 v71, v70, v100, s5
	s_delay_alu instid0(VALU_DEP_4) | instskip(NEXT) | instid1(VALU_DEP_2)
	v_dual_mul_f32 v101, v99, v103 :: v_dual_lshlrev_b32 v70, 2, v66
	v_cndmask_b32_e64 v71, v71, v97, s6
	s_delay_alu instid0(VALU_DEP_2) | instskip(NEXT) | instid1(VALU_DEP_3)
	v_or_b32_e32 v72, 1, v70
	v_fma_f32 v100, -v98, v101, v99
	v_cmp_eq_u32_e64 s5, 1, v70
	v_cmp_eq_u32_e64 s6, 2, v70
	v_cndmask_b32_e64 v95, v71, v95, s7
	v_or_b32_e32 v71, 3, v70
	v_fmac_f32_e32 v101, v100, v103
	v_cmp_eq_u32_e64 s10, 1, v72
	v_cmp_eq_u32_e64 s13, 2, v72
	v_cndmask_b32_e64 v94, v95, v94, s4
	v_cmp_eq_u32_e64 s12, 1, v71
	v_fma_f32 v97, -v98, v101, v99
	v_cmp_eq_u32_e64 s17, 2, v71
	v_cmp_eq_u32_e64 s15, 3, v72
	v_cndmask_b32_e64 v94, v94, v96, s8
	v_cmp_eq_u32_e64 s19, 3, v71
	v_div_fmas_f32 v95, v97, v103, v101
	v_cmp_eq_u32_e32 vcc_lo, 3, v70
	v_cmp_eq_u32_e64 s4, 4, v70
	v_cmp_eq_u32_e64 s20, 4, v72
	;; [unrolled: 1-line block ×3, first 2 shown]
	v_div_fixup_f32 v95, v95, v74, 1.0
	v_lshlrev_b32_e32 v73, 6, v68
	v_cmp_eq_u32_e64 s7, 5, v70
	v_cmp_eq_u32_e64 s21, 5, v72
	v_cmp_eq_u32_e64 s25, 5, v71
	v_mul_f32_e32 v102, v94, v95
	v_lshl_or_b32 v75, v69, 11, v73
	v_or_b32_e32 v69, 2, v70
	v_cmp_eq_u32_e64 s26, 6, v72
	v_cmp_eq_u32_e64 s28, 6, v71
	v_fma_mixlo_f16 v94, v102, v79, 0
	v_fma_mixlo_f16 v95, v102, v81, 0
	;; [unrolled: 1-line block ×8, first 2 shown]
	v_lshl_or_b32 v74, v66, 4, v75
	v_fma_mixhi_f16 v94, v102, v78, 0
	v_fma_mixhi_f16 v95, v102, v80, 0
	;; [unrolled: 1-line block ×8, first 2 shown]
	ds_store_b128 v74, v[94:97]
	ds_store_b128 v74, v[98:101] offset:1024
	s_waitcnt lgkmcnt(0)
	s_barrier
	buffer_gl0_inv
	ds_load_b128 v[78:81], v75
	ds_load_b128 v[82:85], v75 offset:16
	ds_load_b128 v[86:89], v75 offset:1024
	;; [unrolled: 1-line block ×3, first 2 shown]
	v_cmp_eq_u32_e64 s11, 1, v69
	v_cmp_eq_u32_e64 s16, 2, v69
	;; [unrolled: 1-line block ×11, first 2 shown]
	s_waitcnt lgkmcnt(3)
	v_lshrrev_b32_e32 v94, 16, v78
	s_waitcnt lgkmcnt(2)
	v_lshrrev_b32_e32 v98, 16, v82
	;; [unrolled: 2-line block ×4, first 2 shown]
	v_lshrrev_b32_e32 v95, 16, v79
	v_cndmask_b32_e64 v110, v78, v94, s5
	v_cndmask_b32_e64 v111, v82, v98, s5
	;; [unrolled: 1-line block ×8, first 2 shown]
	v_lshrrev_b32_e32 v99, 16, v83
	v_cndmask_b32_e64 v94, v86, v102, s5
	v_cndmask_b32_e64 v98, v90, v106, s5
	;; [unrolled: 1-line block ×15, first 2 shown]
	v_lshrrev_b32_e32 v103, 16, v87
	v_lshrrev_b32_e32 v107, 16, v91
	v_cndmask_b32_e64 v113, v115, v83, s16
	v_cndmask_b32_e64 v82, v94, v87, s6
	v_cndmask_b32_e64 v83, v98, v91, s6
	v_cndmask_b32_e64 v94, v116, v87, s13
	v_cndmask_b32_e64 v98, v118, v87, s16
	v_cndmask_b32_e64 v86, v86, v87, s17
	v_cndmask_b32_e64 v87, v90, v91, s17
	v_cndmask_b32_e32 v90, v102, v95, vcc_lo
	v_cndmask_b32_e32 v102, v106, v99, vcc_lo
	v_cndmask_b32_e64 v106, v110, v95, s15
	v_cndmask_b32_e64 v110, v111, v99, s15
	;; [unrolled: 1-line block ×4, first 2 shown]
	v_lshrrev_b32_e32 v96, 16, v80
	v_lshrrev_b32_e32 v100, 16, v84
	v_cndmask_b32_e64 v111, v112, v95, s18
	v_cndmask_b32_e64 v112, v113, v99, s18
	v_cndmask_b32_e32 v82, v82, v103, vcc_lo
	v_cndmask_b32_e32 v83, v83, v107, vcc_lo
	v_cndmask_b32_e64 v94, v94, v103, s15
	v_cndmask_b32_e64 v90, v90, v80, s4
	v_cndmask_b32_e64 v95, v102, v84, s4
	v_cndmask_b32_e64 v99, v106, v80, s20
	v_cndmask_b32_e64 v102, v110, v84, s20
	v_cndmask_b32_e64 v78, v78, v80, s23
	v_cndmask_b32_e64 v79, v79, v84, s23
	v_lshrrev_b32_e32 v104, 16, v88
	v_cndmask_b32_e64 v106, v111, v80, s22
	v_cndmask_b32_e64 v110, v112, v84, s22
	;; [unrolled: 1-line block ×11, first 2 shown]
	v_lshrrev_b32_e32 v97, 16, v81
	v_lshrrev_b32_e32 v101, 16, v85
	v_cndmask_b32_e64 v99, v106, v96, s24
	v_cndmask_b32_e64 v102, v110, v100, s24
	;; [unrolled: 1-line block ×7, first 2 shown]
	v_lshrrev_b32_e32 v105, 16, v89
	v_cndmask_b32_e64 v80, v80, v104, s7
	v_cndmask_b32_e64 v84, v84, v81, s8
	;; [unrolled: 1-line block ×16, first 2 shown]
	v_perm_b32 v81, v79, v78, 0x5040100
	v_perm_b32 v79, v95, v85, 0x5040100
	v_cndmask_b32_e64 v78, v119, v91, s16
	v_cndmask_b32_e64 v85, v117, v91, s13
	;; [unrolled: 1-line block ×3, first 2 shown]
	v_perm_b32 v80, v94, v90, 0x5040100
	v_cndmask_b32_e64 v90, v98, v103, s18
	v_cndmask_b32_e64 v86, v86, v103, s19
	;; [unrolled: 1-line block ×5, first 2 shown]
	v_lshrrev_b32_e32 v108, 16, v92
	v_cndmask_b32_e64 v90, v90, v88, s22
	v_cndmask_b32_e64 v86, v86, v88, s23
	;; [unrolled: 1-line block ×11, first 2 shown]
	v_lshrrev_b32_e32 v109, 16, v93
	v_cndmask_b32_e64 v82, v82, v93, s8
	v_cndmask_b32_e64 v88, v88, v89, s27
	;; [unrolled: 1-line block ×12, first 2 shown]
	v_perm_b32 v78, v84, v83, 0x5040100
	v_perm_b32 v85, v87, v86, 0x5040100
	;; [unrolled: 1-line block ×5, first 2 shown]
	s_mul_i32 s9, s35, 13
	s_mov_b32 s4, exec_lo
	ds_store_b128 v74, v[78:81]
	ds_store_b128 v74, v[82:85] offset:1024
	v_cmpx_gt_u32_e32 13, v0
	s_cbranch_execz .LBB822_14
; %bb.13:
	s_mul_i32 s5, s9, s34
	s_load_b128 s[16:19], s[0:1], 0x58
	v_add3_u32 v68, s5, s33, v68
	s_delay_alu instid0(VALU_DEP_1) | instskip(NEXT) | instid1(VALU_DEP_1)
	v_mad_u64_u32 v[78:79], null, v68, s36, s[14:15]
	v_ashrrev_i32_e32 v79, 31, v78
	s_delay_alu instid0(VALU_DEP_1) | instskip(SKIP_1) | instid1(VALU_DEP_1)
	v_lshlrev_b64 v[78:79], 2, v[78:79]
	s_waitcnt lgkmcnt(0)
	v_add_co_u32 v80, vcc_lo, s18, v78
	s_delay_alu instid0(VALU_DEP_2)
	v_add_co_ci_u32_e32 v81, vcc_lo, s19, v79, vcc_lo
	v_add_co_u32 v78, vcc_lo, s16, v78
	v_add_co_ci_u32_e32 v79, vcc_lo, s17, v79, vcc_lo
	global_store_b32 v[80:81], v76, off
	global_store_b32 v[78:79], v77, off
.LBB822_14:
	s_or_b32 exec_lo, exec_lo, s4
	s_waitcnt lgkmcnt(0)
	s_waitcnt_vscnt null, 0x0
	s_barrier
	buffer_gl0_inv
	ds_load_b128 v[84:87], v73
	ds_load_b128 v[88:91], v73 offset:16
	ds_load_b128 v[96:99], v73 offset:2064
	;; [unrolled: 1-line block ×5, first 2 shown]
	v_cmp_eq_u32_e32 vcc_lo, 1, v70
	v_mov_b32_e32 v76, 0
	ds_load_b128 v[112:115], v73 offset:6160
	ds_load_b128 v[108:111], v73 offset:6144
	;; [unrolled: 1-line block ×4, first 2 shown]
	v_cmp_eq_u32_e64 s5, 1, v69
	v_cmp_eq_u32_e64 s4, 1, v72
	;; [unrolled: 1-line block ×3, first 2 shown]
	v_mov_b32_e32 v77, v76
	v_mov_b32_e32 v78, v76
	;; [unrolled: 1-line block ×7, first 2 shown]
	v_cmp_eq_u32_e64 s7, 3, v72
	v_cmp_eq_u32_e64 s8, 7, v72
	s_waitcnt lgkmcnt(8)
	s_delay_alu instid0(VALU_DEP_3)
	v_wmma_f32_16x16x16_f16 v[76:83], v[49:56], v[84:91], v[76:83]
	ds_load_b128 v[53:56], v73 offset:10256
	ds_load_b128 v[49:52], v73 offset:10240
	s_waitcnt lgkmcnt(8)
	v_wmma_f32_16x16x16_f16 v[76:83], v[41:48], v[92:99], v[76:83]
	ds_load_b128 v[45:48], v73 offset:12304
	ds_load_b128 v[41:44], v73 offset:12288
	s_waitcnt lgkmcnt(8)
	v_wmma_f32_16x16x16_f16 v[76:83], v[33:40], v[100:107], v[76:83]
	ds_load_b128 v[37:40], v73 offset:14352
	ds_load_b128 v[33:36], v73 offset:14336
	s_waitcnt lgkmcnt(0)
	s_barrier
	buffer_gl0_inv
	v_wmma_f32_16x16x16_f16 v[76:83], v[1:8], v[108:115], v[76:83]
	s_delay_alu instid0(VALU_DEP_1) | instskip(NEXT) | instid1(VALU_DEP_1)
	v_wmma_f32_16x16x16_f16 v[76:83], v[9:16], v[116:123], v[76:83]
	v_wmma_f32_16x16x16_f16 v[76:83], v[17:24], v[49:56], v[76:83]
	s_delay_alu instid0(VALU_DEP_1) | instskip(NEXT) | instid1(VALU_DEP_1)
	v_wmma_f32_16x16x16_f16 v[76:83], v[25:32], v[41:48], v[76:83]
	v_wmma_f32_16x16x16_f16 v[76:83], v[57:64], v[33:40], v[76:83]
	s_delay_alu instid0(VALU_DEP_1) | instskip(NEXT) | instid1(VALU_DEP_2)
	v_cvt_f16_f32_e32 v1, v76
	v_cvt_f16_f32_e32 v2, v77
	s_delay_alu instid0(VALU_DEP_3) | instskip(NEXT) | instid1(VALU_DEP_4)
	v_cvt_f16_f32_e32 v3, v78
	v_cvt_f16_f32_e32 v4, v79
	;; [unrolled: 1-line block ×6, first 2 shown]
	v_pack_b32_f16 v1, v1, v2
	v_pack_b32_f16 v2, v3, v4
	;; [unrolled: 1-line block ×3, first 2 shown]
	s_delay_alu instid0(VALU_DEP_4)
	v_pack_b32_f16 v4, v7, v8
	ds_store_b128 v74, v[1:4]
	s_waitcnt lgkmcnt(0)
	s_barrier
	buffer_gl0_inv
	ds_load_b128 v[1:4], v75
	ds_load_b128 v[5:8], v75 offset:16
	s_waitcnt lgkmcnt(1)
	v_lshrrev_b32_e32 v9, 16, v1
	s_waitcnt lgkmcnt(0)
	v_lshrrev_b32_e32 v13, 16, v5
	v_lshrrev_b32_e32 v10, 16, v2
	;; [unrolled: 1-line block ×4, first 2 shown]
	v_cndmask_b32_e32 v17, v1, v9, vcc_lo
	v_cndmask_b32_e32 v18, v5, v13, vcc_lo
	v_cndmask_b32_e64 v21, v1, v9, s5
	v_cmp_eq_u32_e32 vcc_lo, 1, v71
	v_cndmask_b32_e64 v22, v5, v13, s5
	v_cmp_eq_u32_e64 s5, 2, v70
	v_cndmask_b32_e64 v19, v1, v9, s4
	v_cndmask_b32_e64 v20, v5, v13, s4
	v_cndmask_b32_e32 v1, v1, v9, vcc_lo
	v_cmp_eq_u32_e64 s4, 2, v71
	v_cndmask_b32_e32 v5, v5, v13, vcc_lo
	v_cndmask_b32_e64 v9, v17, v2, s5
	v_cmp_eq_u32_e32 vcc_lo, 3, v70
	v_cndmask_b32_e64 v13, v18, v6, s5
	v_cmp_eq_u32_e64 s5, 2, v69
	v_cndmask_b32_e64 v17, v19, v2, s6
	v_cndmask_b32_e64 v18, v20, v6, s6
	v_cmp_eq_u32_e64 s6, 3, v69
	v_cndmask_b32_e64 v1, v1, v2, s4
	v_cndmask_b32_e64 v19, v21, v2, s5
	;; [unrolled: 1-line block ×4, first 2 shown]
	v_cndmask_b32_e32 v5, v9, v10, vcc_lo
	v_cndmask_b32_e32 v6, v13, v14, vcc_lo
	v_cmp_eq_u32_e32 vcc_lo, 3, v71
	v_cndmask_b32_e64 v9, v17, v10, s7
	v_cndmask_b32_e64 v13, v18, v14, s7
	;; [unrolled: 1-line block ×3, first 2 shown]
	v_cmp_eq_u32_e64 s5, 4, v70
	v_cndmask_b32_e32 v1, v1, v10, vcc_lo
	v_cndmask_b32_e32 v2, v2, v14, vcc_lo
	v_cmp_eq_u32_e32 vcc_lo, 4, v72
	v_lshrrev_b32_e32 v15, 16, v7
	v_lshrrev_b32_e32 v16, 16, v8
	v_cndmask_b32_e64 v17, v19, v10, s6
	v_cmp_eq_u32_e64 s4, 4, v71
	v_cndmask_b32_e64 v5, v5, v3, s5
	v_cndmask_b32_e64 v6, v6, v7, s5
	v_cndmask_b32_e32 v9, v9, v3, vcc_lo
	v_cmp_eq_u32_e64 s5, 5, v72
	v_cndmask_b32_e32 v10, v13, v7, vcc_lo
	v_cmp_eq_u32_e32 vcc_lo, 4, v69
	v_cmp_eq_u32_e64 s6, 5, v70
	v_cndmask_b32_e64 v2, v2, v7, s4
	v_cndmask_b32_e64 v9, v9, v11, s5
	v_cndmask_b32_e64 v10, v10, v15, s5
	v_cndmask_b32_e32 v13, v17, v3, vcc_lo
	v_cmp_eq_u32_e64 s5, 5, v69
	v_cndmask_b32_e32 v14, v18, v7, vcc_lo
	v_cndmask_b32_e64 v1, v1, v3, s4
	v_cmp_eq_u32_e32 vcc_lo, 5, v71
	v_lshrrev_b32_e32 v12, 16, v4
	v_cndmask_b32_e64 v13, v13, v11, s5
	v_cndmask_b32_e64 v3, v14, v15, s5
	v_cmp_eq_u32_e64 s5, 6, v71
	v_cndmask_b32_e32 v1, v1, v11, vcc_lo
	v_cndmask_b32_e64 v5, v5, v11, s6
	v_cmp_eq_u32_e64 s7, 6, v70
	v_cndmask_b32_e64 v6, v6, v15, s6
	v_cmp_eq_u32_e64 s6, 6, v72
	v_cmp_eq_u32_e64 s4, 6, v69
	v_cndmask_b32_e64 v1, v1, v4, s5
	v_cndmask_b32_e32 v2, v2, v15, vcc_lo
	v_cmp_eq_u32_e32 vcc_lo, 7, v71
	v_cndmask_b32_e64 v5, v5, v4, s7
	v_cndmask_b32_e64 v9, v9, v4, s6
	;; [unrolled: 1-line block ×3, first 2 shown]
	v_cmp_eq_u32_e64 s7, 7, v70
	v_cndmask_b32_e32 v1, v1, v12, vcc_lo
	v_cndmask_b32_e64 v7, v13, v4, s4
	v_cndmask_b32_e64 v3, v3, v8, s4
	;; [unrolled: 1-line block ×3, first 2 shown]
	v_cmp_eq_u32_e64 s4, 7, v69
	v_cndmask_b32_e64 v4, v10, v8, s6
	v_cndmask_b32_e64 v5, v5, v12, s7
	;; [unrolled: 1-line block ×3, first 2 shown]
	v_cndmask_b32_e32 v2, v2, v16, vcc_lo
	v_cndmask_b32_e64 v7, v7, v12, s4
	v_cndmask_b32_e64 v3, v3, v16, s4
	v_cndmask_b32_e64 v8, v4, v16, s8
	v_cndmask_b32_e64 v6, v6, v16, s7
	v_cmp_gt_u32_e32 vcc_lo, 32, v0
	v_perm_b32 v4, v2, v1, 0x5040100
	v_perm_b32 v3, v3, v7, 0x5040100
	;; [unrolled: 1-line block ×4, first 2 shown]
	s_and_b32 s2, vcc_lo, s2
	ds_store_b128 v74, v[1:4]
	s_waitcnt lgkmcnt(0)
	s_barrier
	buffer_gl0_inv
	s_and_saveexec_b32 s4, s2
	s_cbranch_execz .LBB822_2
; %bb.15:
	s_load_b64 s[4:5], s[0:1], 0x68
	v_lshlrev_b32_e32 v0, 10, v0
	v_lshlrev_b32_e32 v1, 4, v67
	s_lshl_b32 s0, s36, 6
	v_add_nc_u32_e32 v18, s33, v66
	s_mul_i32 s1, s0, s34
	s_delay_alu instid0(VALU_DEP_2) | instskip(SKIP_1) | instid1(VALU_DEP_2)
	v_and_or_b32 v0, 0x3800, v0, v1
	s_mul_i32 s6, s1, s9
	v_mul_lo_u32 v1, v18, s0
	s_ashr_i32 s7, s6, 31
	v_add_nc_u32_e32 v2, 2, v18
	v_lshl_or_b32 v19, v66, 6, v0
	s_lshl_b64 s[6:7], s[6:7], 1
	v_add_nc_u32_e32 v8, 4, v18
	v_add_nc_u32_e32 v15, 6, v18
	v_mul_lo_u32 v7, v2, s0
	ds_load_b128 v[3:6], v19
	v_ashrrev_i32_e32 v2, 31, v1
	v_mul_lo_u32 v11, v8, s0
	s_waitcnt lgkmcnt(0)
	s_add_u32 s1, s4, s6
	s_addc_u32 s2, s5, s7
	s_lshl_b32 s4, s14, 6
	v_lshlrev_b64 v[9:10], 1, v[1:2]
	s_ashr_i32 s5, s4, 31
	v_ashrrev_i32_e32 v8, 31, v7
	s_lshl_b64 s[4:5], s[4:5], 1
	v_ashrrev_i32_e32 v12, 31, v11
	s_add_u32 s1, s1, s4
	s_addc_u32 s2, s2, s5
	v_add_co_u32 v1, s1, s1, v65
	s_delay_alu instid0(VALU_DEP_1) | instskip(SKIP_1) | instid1(VALU_DEP_3)
	v_add_co_ci_u32_e64 v2, null, s2, 0, s1
	v_mul_lo_u32 v15, v15, s0
	v_add_co_u32 v13, vcc_lo, v1, v9
	s_delay_alu instid0(VALU_DEP_3)
	v_add_co_ci_u32_e32 v14, vcc_lo, v2, v10, vcc_lo
	v_lshlrev_b64 v[16:17], 1, v[7:8]
	ds_load_b128 v[7:10], v19 offset:128
	global_store_b128 v[13:14], v[3:6], off
	v_add_nc_u32_e32 v5, 8, v18
	v_lshlrev_b64 v[3:4], 1, v[11:12]
	v_add_co_u32 v23, vcc_lo, v1, v16
	v_ashrrev_i32_e32 v16, 31, v15
	s_delay_alu instid0(VALU_DEP_4) | instskip(SKIP_3) | instid1(VALU_DEP_3)
	v_mul_lo_u32 v25, v5, s0
	v_add_nc_u32_e32 v5, 10, v18
	v_add_co_ci_u32_e32 v24, vcc_lo, v2, v17, vcc_lo
	v_add_co_u32 v27, vcc_lo, v1, v3
	v_mul_lo_u32 v29, v5, s0
	v_add_co_ci_u32_e32 v28, vcc_lo, v2, v4, vcc_lo
	v_lshlrev_b64 v[31:32], 1, v[15:16]
	ds_load_b128 v[3:6], v19 offset:256
	ds_load_b128 v[11:14], v19 offset:384
	;; [unrolled: 1-line block ×4, first 2 shown]
	v_ashrrev_i32_e32 v26, 31, v25
	v_ashrrev_i32_e32 v30, 31, v29
	v_add_co_u32 v31, vcc_lo, v1, v31
	s_delay_alu instid0(VALU_DEP_3) | instskip(SKIP_1) | instid1(VALU_DEP_4)
	v_lshlrev_b64 v[25:26], 1, v[25:26]
	v_add_co_ci_u32_e32 v32, vcc_lo, v2, v32, vcc_lo
	v_lshlrev_b64 v[29:30], 1, v[29:30]
	s_delay_alu instid0(VALU_DEP_3) | instskip(NEXT) | instid1(VALU_DEP_4)
	v_add_co_u32 v25, vcc_lo, v1, v25
	v_add_co_ci_u32_e32 v26, vcc_lo, v2, v26, vcc_lo
	s_delay_alu instid0(VALU_DEP_3) | instskip(NEXT) | instid1(VALU_DEP_4)
	v_add_co_u32 v29, vcc_lo, v1, v29
	v_add_co_ci_u32_e32 v30, vcc_lo, v2, v30, vcc_lo
	s_waitcnt lgkmcnt(4)
	global_store_b128 v[23:24], v[7:10], off
	s_waitcnt lgkmcnt(3)
	global_store_b128 v[27:28], v[3:6], off
	;; [unrolled: 2-line block ×5, first 2 shown]
	s_and_b32 exec_lo, exec_lo, s3
	s_cbranch_execz .LBB822_2
; %bb.16:
	ds_load_b128 v[3:6], v0 offset:768
	s_add_i32 s1, s33, 12
	s_delay_alu instid0(SALU_CYCLE_1) | instskip(NEXT) | instid1(SALU_CYCLE_1)
	s_mul_i32 s0, s1, s0
	s_ashr_i32 s1, s0, 31
	s_delay_alu instid0(SALU_CYCLE_1) | instskip(NEXT) | instid1(SALU_CYCLE_1)
	s_lshl_b64 s[0:1], s[0:1], 1
	v_add_co_u32 v0, vcc_lo, v1, s0
	v_add_co_ci_u32_e32 v1, vcc_lo, s1, v2, vcc_lo
	s_waitcnt lgkmcnt(0)
	global_store_b128 v[0:1], v[3:6], off
	s_nop 0
	s_sendmsg sendmsg(MSG_DEALLOC_VGPRS)
	s_endpgm
	.section	.rodata,"a",@progbits
	.p2align	6, 0x0
	.amdhsa_kernel _Z39paged_attention_ll4mi_QKV_mfma16_kernelIDF16_hLN4vllm18Fp8KVCacheDataTypeE1EDF16_Li16ELi64ELi256ELb1ELi13EL8MFMAType1EEvPKT_PKT0_S8_ifPKiSA_SA_iPKfiiiPfSD_PS3_PT2_iSC_SC_
		.amdhsa_group_segment_fixed_size 17472
		.amdhsa_private_segment_fixed_size 0
		.amdhsa_kernarg_size 400
		.amdhsa_user_sgpr_count 13
		.amdhsa_user_sgpr_dispatch_ptr 0
		.amdhsa_user_sgpr_queue_ptr 0
		.amdhsa_user_sgpr_kernarg_segment_ptr 1
		.amdhsa_user_sgpr_dispatch_id 0
		.amdhsa_user_sgpr_private_segment_size 0
		.amdhsa_wavefront_size32 1
		.amdhsa_uses_dynamic_stack 0
		.amdhsa_enable_private_segment 0
		.amdhsa_system_sgpr_workgroup_id_x 1
		.amdhsa_system_sgpr_workgroup_id_y 1
		.amdhsa_system_sgpr_workgroup_id_z 1
		.amdhsa_system_sgpr_workgroup_info 0
		.amdhsa_system_vgpr_workitem_id 0
		.amdhsa_next_free_vgpr 146
		.amdhsa_next_free_sgpr 37
		.amdhsa_reserve_vcc 1
		.amdhsa_float_round_mode_32 0
		.amdhsa_float_round_mode_16_64 0
		.amdhsa_float_denorm_mode_32 3
		.amdhsa_float_denorm_mode_16_64 3
		.amdhsa_dx10_clamp 1
		.amdhsa_ieee_mode 1
		.amdhsa_fp16_overflow 0
		.amdhsa_workgroup_processor_mode 1
		.amdhsa_memory_ordered 1
		.amdhsa_forward_progress 0
		.amdhsa_shared_vgpr_count 0
		.amdhsa_exception_fp_ieee_invalid_op 0
		.amdhsa_exception_fp_denorm_src 0
		.amdhsa_exception_fp_ieee_div_zero 0
		.amdhsa_exception_fp_ieee_overflow 0
		.amdhsa_exception_fp_ieee_underflow 0
		.amdhsa_exception_fp_ieee_inexact 0
		.amdhsa_exception_int_div_zero 0
	.end_amdhsa_kernel
	.section	.text._Z39paged_attention_ll4mi_QKV_mfma16_kernelIDF16_hLN4vllm18Fp8KVCacheDataTypeE1EDF16_Li16ELi64ELi256ELb1ELi13EL8MFMAType1EEvPKT_PKT0_S8_ifPKiSA_SA_iPKfiiiPfSD_PS3_PT2_iSC_SC_,"axG",@progbits,_Z39paged_attention_ll4mi_QKV_mfma16_kernelIDF16_hLN4vllm18Fp8KVCacheDataTypeE1EDF16_Li16ELi64ELi256ELb1ELi13EL8MFMAType1EEvPKT_PKT0_S8_ifPKiSA_SA_iPKfiiiPfSD_PS3_PT2_iSC_SC_,comdat
.Lfunc_end822:
	.size	_Z39paged_attention_ll4mi_QKV_mfma16_kernelIDF16_hLN4vllm18Fp8KVCacheDataTypeE1EDF16_Li16ELi64ELi256ELb1ELi13EL8MFMAType1EEvPKT_PKT0_S8_ifPKiSA_SA_iPKfiiiPfSD_PS3_PT2_iSC_SC_, .Lfunc_end822-_Z39paged_attention_ll4mi_QKV_mfma16_kernelIDF16_hLN4vllm18Fp8KVCacheDataTypeE1EDF16_Li16ELi64ELi256ELb1ELi13EL8MFMAType1EEvPKT_PKT0_S8_ifPKiSA_SA_iPKfiiiPfSD_PS3_PT2_iSC_SC_
                                        ; -- End function
	.section	.AMDGPU.csdata,"",@progbits
; Kernel info:
; codeLenInByte = 6692
; NumSgprs: 39
; NumVgprs: 146
; ScratchSize: 0
; MemoryBound: 0
; FloatMode: 240
; IeeeMode: 1
; LDSByteSize: 17472 bytes/workgroup (compile time only)
; SGPRBlocks: 4
; VGPRBlocks: 18
; NumSGPRsForWavesPerEU: 39
; NumVGPRsForWavesPerEU: 146
; Occupancy: 9
; WaveLimiterHint : 1
; COMPUTE_PGM_RSRC2:SCRATCH_EN: 0
; COMPUTE_PGM_RSRC2:USER_SGPR: 13
; COMPUTE_PGM_RSRC2:TRAP_HANDLER: 0
; COMPUTE_PGM_RSRC2:TGID_X_EN: 1
; COMPUTE_PGM_RSRC2:TGID_Y_EN: 1
; COMPUTE_PGM_RSRC2:TGID_Z_EN: 1
; COMPUTE_PGM_RSRC2:TIDIG_COMP_CNT: 0
	.section	.text._Z39paged_attention_ll4mi_QKV_mfma16_kernelIDF16_hLN4vllm18Fp8KVCacheDataTypeE1EDF16_Li16ELi64ELi256ELb1ELi14EL8MFMAType1EEvPKT_PKT0_S8_ifPKiSA_SA_iPKfiiiPfSD_PS3_PT2_iSC_SC_,"axG",@progbits,_Z39paged_attention_ll4mi_QKV_mfma16_kernelIDF16_hLN4vllm18Fp8KVCacheDataTypeE1EDF16_Li16ELi64ELi256ELb1ELi14EL8MFMAType1EEvPKT_PKT0_S8_ifPKiSA_SA_iPKfiiiPfSD_PS3_PT2_iSC_SC_,comdat
	.protected	_Z39paged_attention_ll4mi_QKV_mfma16_kernelIDF16_hLN4vllm18Fp8KVCacheDataTypeE1EDF16_Li16ELi64ELi256ELb1ELi14EL8MFMAType1EEvPKT_PKT0_S8_ifPKiSA_SA_iPKfiiiPfSD_PS3_PT2_iSC_SC_ ; -- Begin function _Z39paged_attention_ll4mi_QKV_mfma16_kernelIDF16_hLN4vllm18Fp8KVCacheDataTypeE1EDF16_Li16ELi64ELi256ELb1ELi14EL8MFMAType1EEvPKT_PKT0_S8_ifPKiSA_SA_iPKfiiiPfSD_PS3_PT2_iSC_SC_
	.globl	_Z39paged_attention_ll4mi_QKV_mfma16_kernelIDF16_hLN4vllm18Fp8KVCacheDataTypeE1EDF16_Li16ELi64ELi256ELb1ELi14EL8MFMAType1EEvPKT_PKT0_S8_ifPKiSA_SA_iPKfiiiPfSD_PS3_PT2_iSC_SC_
	.p2align	8
	.type	_Z39paged_attention_ll4mi_QKV_mfma16_kernelIDF16_hLN4vllm18Fp8KVCacheDataTypeE1EDF16_Li16ELi64ELi256ELb1ELi14EL8MFMAType1EEvPKT_PKT0_S8_ifPKiSA_SA_iPKfiiiPfSD_PS3_PT2_iSC_SC_,@function
_Z39paged_attention_ll4mi_QKV_mfma16_kernelIDF16_hLN4vllm18Fp8KVCacheDataTypeE1EDF16_Li16ELi64ELi256ELb1ELi14EL8MFMAType1EEvPKT_PKT0_S8_ifPKiSA_SA_iPKfiiiPfSD_PS3_PT2_iSC_SC_: ; @_Z39paged_attention_ll4mi_QKV_mfma16_kernelIDF16_hLN4vllm18Fp8KVCacheDataTypeE1EDF16_Li16ELi64ELi256ELb1ELi14EL8MFMAType1EEvPKT_PKT0_S8_ifPKiSA_SA_iPKfiiiPfSD_PS3_PT2_iSC_SC_
; %bb.0:
	s_load_b64 s[2:3], s[0:1], 0x30
	s_mov_b32 s34, s13
	s_waitcnt lgkmcnt(0)
	s_cmp_lg_u64 s[2:3], 0
	s_cselect_b32 s6, -1, 0
	s_ashr_i32 s35, s13, 31
	s_cmp_eq_u64 s[2:3], 0
	s_cbranch_scc1 .LBB823_3
; %bb.1:
	s_lshl_b64 s[4:5], s[34:35], 2
	s_delay_alu instid0(SALU_CYCLE_1) | instskip(SKIP_4) | instid1(SALU_CYCLE_1)
	s_add_u32 s4, s2, s4
	s_addc_u32 s5, s3, s5
	s_load_b64 s[4:5], s[4:5], 0x0
	s_waitcnt lgkmcnt(0)
	s_sub_i32 s4, s5, s4
	s_cmp_eq_u32 s4, 1
	s_cselect_b32 s4, -1, 0
	s_delay_alu instid0(SALU_CYCLE_1)
	s_and_not1_b32 vcc_lo, exec_lo, s4
	s_cbranch_vccz .LBB823_4
.LBB823_2:
	s_endpgm
.LBB823_3:
.LBB823_4:
	s_load_b64 s[8:9], s[0:1], 0x28
	s_lshl_b64 s[4:5], s[34:35], 2
	s_waitcnt lgkmcnt(0)
	s_add_u32 s8, s8, s4
	s_addc_u32 s9, s9, s5
	s_lshl_b32 s16, s14, 8
	s_load_b32 s18, s[8:9], 0x0
	s_waitcnt lgkmcnt(0)
	s_cmp_ge_i32 s16, s18
	s_cbranch_scc1 .LBB823_2
; %bb.5:
	s_clause 0x1
	s_load_b128 s[8:11], s[0:1], 0x8
	s_load_b64 s[12:13], s[0:1], 0x20
	s_and_not1_b32 vcc_lo, exec_lo, s6
	s_cbranch_vccnz .LBB823_7
; %bb.6:
	s_add_u32 s2, s2, s4
	s_addc_u32 s3, s3, s5
	s_load_b32 s3, s[2:3], 0x0
	s_branch .LBB823_8
.LBB823_7:
	s_mov_b32 s3, s34
.LBB823_8:
	s_load_b128 s[4:7], s[0:1], 0x48
	v_and_b32_e32 v68, 15, v0
	v_cmp_gt_u32_e32 vcc_lo, 0xe0, v0
	v_lshrrev_b32_e32 v69, 5, v0
	v_and_b32_e32 v70, 31, v0
	v_and_b32_e32 v67, 1, v0
	v_lshlrev_b32_e32 v1, 3, v68
	v_cmp_gt_u32_e64 s2, 8, v68
	v_bfe_u32 v66, v0, 4, 1
	s_mul_i32 s31, s15, 14
	s_delay_alu instid0(VALU_DEP_3) | instskip(NEXT) | instid1(VALU_DEP_3)
	v_lshlrev_b32_e32 v65, 1, v1
	s_and_b32 s17, vcc_lo, s2
	s_waitcnt lgkmcnt(0)
	s_and_saveexec_b32 s7, s17
	s_cbranch_execz .LBB823_10
; %bb.9:
	s_load_b64 s[20:21], s[0:1], 0x0
	v_lshl_or_b32 v5, v69, 1, v66
	s_mul_hi_i32 s23, s3, s4
	s_mul_i32 s22, s3, s4
	v_lshlrev_b32_e32 v6, 10, v68
	s_lshl_b64 s[22:23], s[22:23], 1
	v_add_lshl_u32 v1, v5, s31, 6
	v_lshlrev_b32_e32 v5, 6, v5
	v_lshlrev_b32_e32 v7, 10, v67
	v_and_b32_e32 v6, 0x3800, v6
	s_delay_alu instid0(VALU_DEP_4) | instskip(NEXT) | instid1(VALU_DEP_2)
	v_ashrrev_i32_e32 v2, 31, v1
	v_or3_b32 v5, v6, v7, v5
	s_delay_alu instid0(VALU_DEP_2) | instskip(SKIP_3) | instid1(VALU_DEP_1)
	v_lshlrev_b64 v[1:2], 1, v[1:2]
	s_waitcnt lgkmcnt(0)
	s_add_u32 s3, s20, s22
	s_addc_u32 s4, s21, s23
	v_add_co_u32 v1, vcc_lo, s3, v1
	s_delay_alu instid0(VALU_DEP_2) | instskip(NEXT) | instid1(VALU_DEP_2)
	v_add_co_ci_u32_e32 v2, vcc_lo, s4, v2, vcc_lo
	v_add_co_u32 v1, vcc_lo, v1, v65
	s_delay_alu instid0(VALU_DEP_2)
	v_add_co_ci_u32_e32 v2, vcc_lo, 0, v2, vcc_lo
	global_load_b128 v[1:4], v[1:2], off
	s_waitcnt vmcnt(0)
	ds_store_b128 v5, v[1:4]
.LBB823_10:
	s_or_b32 exec_lo, exec_lo, s7
	v_and_b32_e32 v1, 0xef, v0
	s_add_i32 s3, s18, 15
	s_clause 0x1
	s_load_b32 s4, s[0:1], 0x38
	s_load_b32 s33, s[0:1], 0x98
	s_ashr_i32 s7, s3, 31
	v_add_nc_u32_e32 v1, s16, v1
	s_lshr_b32 s7, s7, 28
	s_load_b32 s19, s[0:1], 0x1c
	v_add_nc_u32_e32 v103, -14, v68
	s_add_i32 s3, s3, s7
	v_ashrrev_i32_e32 v2, 31, v1
	v_or_b32_e32 v3, 16, v1
	s_ashr_i32 s3, s3, 4
	v_cmp_gt_i32_e32 vcc_lo, s18, v1
	s_add_i32 s3, s3, -1
	v_lshrrev_b32_e32 v2, 28, v2
	s_waitcnt lgkmcnt(0)
	s_barrier
	buffer_gl0_inv
	s_mul_i32 s15, s15, s6
	v_add_nc_u32_e32 v4, v1, v2
	v_mbcnt_lo_u32_b32 v127, -1, 0
	s_mul_i32 s20, s34, s4
	s_delay_alu instid0(SALU_CYCLE_1) | instskip(NEXT) | instid1(VALU_DEP_2)
	s_ashr_i32 s21, s20, 31
	v_ashrrev_i32_e32 v4, 4, v4
	v_add_nc_u32_e32 v2, v3, v2
	s_lshl_b64 s[20:21], s[20:21], 2
	v_xor_b32_e32 v128, 16, v127
	s_add_u32 s17, s12, s20
	v_cndmask_b32_e32 v1, s3, v4, vcc_lo
	v_ashrrev_i32_e32 v2, 4, v2
	v_cmp_gt_i32_e32 vcc_lo, s18, v3
	s_addc_u32 s13, s13, s21
	s_ashr_i32 s20, s15, 31
	s_add_u32 s4, s8, s15
	s_addc_u32 s12, s9, s20
	v_cndmask_b32_e32 v3, s3, v2, vcc_lo
	v_ashrrev_i32_e32 v2, 31, v1
	s_lshl_b32 s6, s14, 4
	s_delay_alu instid0(SALU_CYCLE_1) | instskip(NEXT) | instid1(VALU_DEP_2)
	s_ashr_i32 s7, s6, 31
	v_ashrrev_i32_e32 v4, 31, v3
	s_delay_alu instid0(VALU_DEP_2) | instskip(SKIP_1) | instid1(SALU_CYCLE_1)
	v_lshlrev_b64 v[1:2], 2, v[1:2]
	s_lshl_b64 s[6:7], s[6:7], 2
	s_add_u32 s6, s17, s6
	s_delay_alu instid0(VALU_DEP_2) | instskip(SKIP_1) | instid1(VALU_DEP_2)
	v_lshlrev_b64 v[3:4], 2, v[3:4]
	s_addc_u32 s7, s13, s7
	v_add_co_u32 v1, vcc_lo, s17, v1
	v_add_co_ci_u32_e32 v2, vcc_lo, s13, v2, vcc_lo
	s_delay_alu instid0(VALU_DEP_3) | instskip(NEXT) | instid1(VALU_DEP_4)
	v_add_co_u32 v3, vcc_lo, s17, v3
	v_add_co_ci_u32_e32 v4, vcc_lo, s13, v4, vcc_lo
	s_clause 0x1
	global_load_b32 v5, v[1:2], off
	global_load_b32 v7, v[3:4], off
	s_or_b32 s8, s16, 32
	v_lshlrev_b32_e32 v1, 4, v0
	s_ashr_i32 s9, s8, 4
	s_cmp_lt_i32 s8, s18
	v_cmp_gt_u32_e32 vcc_lo, 14, v68
	s_cselect_b32 s8, s9, s3
	v_and_b32_e32 v1, 0xf0, v1
	s_ashr_i32 s9, s8, 31
	s_delay_alu instid0(SALU_CYCLE_1)
	s_lshl_b64 s[8:9], s[8:9], 2
	v_cndmask_b32_e32 v103, v103, v68, vcc_lo
	s_add_u32 s8, s17, s8
	s_addc_u32 s9, s13, s9
	s_or_b32 s21, s16, 64
	v_add_co_u32 v1, s4, s4, v1
	s_ashr_i32 s22, s21, 4
	s_cmp_lt_i32 s21, s18
	v_add_co_ci_u32_e64 v2, null, s12, 0, s4
	s_cselect_b32 s22, s22, s3
	v_cmp_gt_i32_e32 vcc_lo, 32, v128
	s_ashr_i32 s23, s22, 31
	v_lshlrev_b32_e32 v115, 6, v103
	s_lshl_b64 s[22:23], s[22:23], 2
	v_cndmask_b32_e32 v136, v127, v128, vcc_lo
	s_add_u32 s22, s17, s22
	s_addc_u32 s23, s13, s23
	s_or_b32 s21, s16, 0x60
	s_delay_alu instid0(SALU_CYCLE_1) | instskip(SKIP_2) | instid1(SALU_CYCLE_1)
	s_ashr_i32 s24, s21, 4
	s_cmp_lt_i32 s21, s18
	s_cselect_b32 s24, s24, s3
	s_ashr_i32 s25, s24, 31
	s_delay_alu instid0(SALU_CYCLE_1) | instskip(NEXT) | instid1(SALU_CYCLE_1)
	s_lshl_b64 s[24:25], s[24:25], 2
	s_add_u32 s24, s17, s24
	s_addc_u32 s25, s13, s25
	s_or_b32 s21, s16, 0x80
	s_delay_alu instid0(SALU_CYCLE_1) | instskip(SKIP_2) | instid1(SALU_CYCLE_1)
	s_ashr_i32 s26, s21, 4
	s_cmp_lt_i32 s21, s18
	s_cselect_b32 s26, s26, s3
	s_ashr_i32 s27, s26, 31
	s_delay_alu instid0(SALU_CYCLE_1) | instskip(NEXT) | instid1(SALU_CYCLE_1)
	s_lshl_b64 s[26:27], s[26:27], 2
	;; [unrolled: 10-line block ×3, first 2 shown]
	s_add_u32 s28, s17, s28
	s_addc_u32 s29, s13, s29
	s_clause 0x5
	s_load_b32 s12, s[6:7], 0x0
	s_load_b32 s4, s[8:9], 0x0
	s_load_b32 s6, s[22:23], 0x0
	s_load_b32 s7, s[24:25], 0x0
	s_load_b32 s8, s[26:27], 0x0
	s_load_b32 s9, s[28:29], 0x0
	s_or_b32 s21, s16, 0xc0
	s_delay_alu instid0(SALU_CYCLE_1) | instskip(SKIP_2) | instid1(SALU_CYCLE_1)
	s_ashr_i32 s22, s21, 4
	s_cmp_lt_i32 s21, s18
	s_cselect_b32 s22, s22, s3
	s_ashr_i32 s23, s22, 31
	s_delay_alu instid0(SALU_CYCLE_1) | instskip(NEXT) | instid1(SALU_CYCLE_1)
	s_lshl_b64 s[22:23], s[22:23], 2
	s_add_u32 s22, s17, s22
	s_addc_u32 s23, s13, s23
	s_or_b32 s21, s16, 0xe0
	s_delay_alu instid0(SALU_CYCLE_1) | instskip(SKIP_2) | instid1(SALU_CYCLE_1)
	s_ashr_i32 s24, s21, 4
	s_cmp_lt_i32 s21, s18
	s_cselect_b32 s24, s24, s3
	s_ashr_i32 s25, s24, 31
	s_delay_alu instid0(SALU_CYCLE_1)
	s_lshl_b64 s[24:25], s[24:25], 2
	s_waitcnt vmcnt(1)
	v_mad_i64_i32 v[3:4], null, v5, s5, v[1:2]
	s_waitcnt vmcnt(0)
	v_mad_i64_i32 v[5:6], null, v7, s5, v[1:2]
	v_lshlrev_b32_e32 v1, 4, v68
	s_clause 0x7
	global_load_b128 v[71:74], v[3:4], off
	global_load_b128 v[75:78], v[3:4], off offset:256
	global_load_b128 v[79:82], v[5:6], off
	global_load_b128 v[83:86], v[5:6], off offset:256
	global_load_b128 v[87:90], v[3:4], off offset:512
	;; [unrolled: 1-line block ×5, first 2 shown]
	v_lshl_or_b32 v1, v69, 8, v1
	s_load_b32 s3, s[22:23], 0x0
	s_add_u32 s22, s17, s24
	s_addc_u32 s23, s13, s25
	s_add_u32 s10, s10, s15
	s_addc_u32 s11, s11, s20
	v_add_co_u32 v1, s10, s10, v1
	s_delay_alu instid0(VALU_DEP_1) | instskip(SKIP_2) | instid1(VALU_DEP_1)
	v_add_co_ci_u32_e64 v2, null, s11, 0, s10
	s_load_b32 s10, s[22:23], 0x0
	s_waitcnt lgkmcnt(0)
	v_mad_i64_i32 v[3:4], null, s12, s5, v[1:2]
	v_mad_i64_i32 v[9:10], null, s7, s5, v[1:2]
	v_mad_i64_i32 v[5:6], null, s4, s5, v[1:2]
	v_mad_i64_i32 v[13:14], null, s8, s5, v[1:2]
	v_mad_i64_i32 v[7:8], null, s6, s5, v[1:2]
	v_mad_i64_i32 v[21:22], null, s9, s5, v[1:2]
	v_mad_i64_i32 v[29:30], null, s3, s5, v[1:2]
	s_clause 0x5
	global_load_b128 v[49:52], v[3:4], off
	global_load_b128 v[53:56], v[3:4], off offset:16
	global_load_b128 v[41:44], v[5:6], off
	global_load_b128 v[45:48], v[5:6], off offset:16
	;; [unrolled: 2-line block ×3, first 2 shown]
	s_mov_b32 s4, 0
	v_mad_i64_i32 v[61:62], null, s10, s5, v[1:2]
	s_clause 0x9
	global_load_b128 v[1:4], v[9:10], off
	global_load_b128 v[5:8], v[9:10], off offset:16
	global_load_b128 v[9:12], v[13:14], off
	global_load_b128 v[13:16], v[13:14], off offset:16
	;; [unrolled: 2-line block ×5, first 2 shown]
	s_mov_b32 s5, s4
	s_mov_b32 s6, s4
	;; [unrolled: 1-line block ×7, first 2 shown]
	v_and_b32_e32 v104, 0xe0, v0
	v_dual_mov_b32 v126, s11 :: v_dual_mov_b32 v125, s10
	v_dual_mov_b32 v124, s9 :: v_dual_mov_b32 v123, s8
	s_delay_alu instid0(VALU_DEP_3)
	v_add_nc_u32_e32 v111, s16, v104
	ds_load_b128 v[103:106], v115
	ds_load_b128 v[107:110], v115 offset:1024
	v_dual_mov_b32 v122, s7 :: v_dual_mov_b32 v121, s6
	v_mov_b32_e32 v120, s5
	v_or_b32_e32 v135, v111, v66
	ds_load_b128 v[111:114], v115 offset:2048
	ds_load_b128 v[115:118], v115 offset:3072
	v_mov_b32_e32 v119, s4
	s_waitcnt vmcnt(0) lgkmcnt(0)
	s_barrier
	v_or_b32_e32 v137, 2, v135
	v_or_b32_e32 v138, 4, v135
	;; [unrolled: 1-line block ×3, first 2 shown]
	v_cmp_gt_i32_e32 vcc_lo, s18, v135
	v_or_b32_e32 v140, 8, v135
	v_cmp_gt_i32_e64 s3, s18, v137
	v_or_b32_e32 v141, 10, v135
	v_cmp_gt_i32_e64 s4, s18, v138
	v_cmp_gt_i32_e64 s5, s18, v139
	v_or_b32_e32 v142, 12, v135
	v_or_b32_e32 v143, 14, v135
	v_cmp_gt_i32_e64 s6, s18, v140
	v_cmp_gt_i32_e64 s7, s18, v141
	v_or_b32_e32 v144, 16, v135
	v_or_b32_e32 v145, 18, v135
	v_cmp_gt_i32_e64 s8, s18, v142
	v_cmp_gt_i32_e64 s9, s18, v143
	buffer_gl0_inv
	v_cmp_gt_i32_e64 s10, s18, v144
	v_cmp_gt_i32_e64 s11, s18, v145
	v_wmma_f32_16x16x16_f16 v[127:134], v[71:78], v[103:110], v[119:126]
	v_wmma_f32_16x16x16_f16 v[119:126], v[79:86], v[103:110], v[119:126]
	v_or_b32_e32 v71, 20, v135
	v_or_b32_e32 v72, 22, v135
	s_delay_alu instid0(VALU_DEP_4)
	v_wmma_f32_16x16x16_f16 v[127:134], v[87:94], v[111:118], v[127:134]
	v_or_b32_e32 v73, 24, v135
	v_wmma_f32_16x16x16_f16 v[119:126], v[95:102], v[111:118], v[119:126]
	v_or_b32_e32 v74, 26, v135
	v_cmp_gt_i32_e64 s12, s18, v71
	v_dual_mul_f32 v83, s19, v128 :: v_dual_mul_f32 v84, s19, v127
	v_dual_mul_f32 v81, s19, v130 :: v_dual_mul_f32 v82, s19, v129
	;; [unrolled: 1-line block ×3, first 2 shown]
	s_delay_alu instid0(VALU_DEP_3) | instskip(NEXT) | instid1(VALU_DEP_4)
	v_cndmask_b32_e32 v84, 0xff7fffff, v84, vcc_lo
	v_cndmask_b32_e64 v83, 0xff7fffff, v83, s3
	v_mul_f32_e32 v80, s19, v131
	v_cndmask_b32_e64 v82, 0xff7fffff, v82, s4
	v_cndmask_b32_e64 v81, 0xff7fffff, v81, s5
	v_dual_mul_f32 v77, s19, v134 :: v_dual_mul_f32 v90, s19, v121
	v_max3_f32 v83, v84, 0xff7fffff, v83
	v_mul_f32_e32 v78, s19, v133
	v_cndmask_b32_e64 v80, 0xff7fffff, v80, s6
	v_cndmask_b32_e64 v79, 0xff7fffff, v79, s7
	v_mul_f32_e32 v91, s19, v120
	v_max3_f32 v81, v83, v82, v81
	v_cndmask_b32_e64 v78, 0xff7fffff, v78, s8
	v_cndmask_b32_e64 v77, 0xff7fffff, v77, s9
	v_mul_f32_e32 v89, s19, v122
	v_cmp_gt_i32_e64 s13, s18, v72
	v_max3_f32 v79, v81, v80, v79
	v_cndmask_b32_e64 v80, 0xff7fffff, v92, s10
	v_cndmask_b32_e64 v81, 0xff7fffff, v91, s11
	v_or_b32_e32 v75, 28, v135
	v_or_b32_e32 v76, 30, v135
	v_max3_f32 v77, v79, v78, v77
	v_dual_mul_f32 v87, s19, v124 :: v_dual_mul_f32 v88, s19, v123
	v_cndmask_b32_e64 v71, 0xff7fffff, v90, s12
	v_cndmask_b32_e64 v72, 0xff7fffff, v89, s13
	s_delay_alu instid0(VALU_DEP_4) | instskip(SKIP_3) | instid1(VALU_DEP_4)
	v_max3_f32 v77, v77, v80, v81
	v_cmp_gt_i32_e64 s15, s18, v73
	v_cmp_gt_i32_e64 s16, s18, v74
	v_dual_mul_f32 v85, s19, v126 :: v_dual_mul_f32 v86, s19, v125
	v_max3_f32 v71, v77, v71, v72
	s_delay_alu instid0(VALU_DEP_4) | instskip(NEXT) | instid1(VALU_DEP_4)
	v_cndmask_b32_e64 v73, 0xff7fffff, v88, s15
	v_cndmask_b32_e64 v74, 0xff7fffff, v87, s16
	v_cmp_gt_i32_e64 s17, s18, v75
	v_cmp_gt_i32_e64 s18, s18, v76
	s_delay_alu instid0(VALU_DEP_3) | instskip(NEXT) | instid1(VALU_DEP_3)
	v_max3_f32 v71, v71, v73, v74
	v_cndmask_b32_e64 v72, 0xff7fffff, v86, s17
	s_delay_alu instid0(VALU_DEP_3) | instskip(SKIP_1) | instid1(VALU_DEP_2)
	v_cndmask_b32_e64 v75, 0xff7fffff, v85, s18
	v_lshlrev_b32_e32 v73, 2, v136
	v_max3_f32 v71, v71, v72, v75
	ds_bpermute_b32 v72, v73, v71
	s_waitcnt lgkmcnt(0)
	v_max_f32_e32 v72, v72, v72
	s_delay_alu instid0(VALU_DEP_1) | instskip(NEXT) | instid1(VALU_DEP_1)
	v_max_f32_e32 v71, v71, v72
	v_fma_f32 v72, s19, v127, -v71
	v_fma_f32 v74, s19, v128, -v71
	;; [unrolled: 1-line block ×5, first 2 shown]
	v_mul_f32_e32 v72, 0x3fb8aa3b, v72
	s_delay_alu instid0(VALU_DEP_4) | instskip(NEXT) | instid1(VALU_DEP_4)
	v_dual_mul_f32 v74, 0x3fb8aa3b, v74 :: v_dual_mul_f32 v75, 0x3fb8aa3b, v75
	v_mul_f32_e32 v76, 0x3fb8aa3b, v76
	s_delay_alu instid0(VALU_DEP_4) | instskip(NEXT) | instid1(VALU_DEP_4)
	v_mul_f32_e32 v82, 0x3fb8aa3b, v80
	v_exp_f32_e32 v72, v72
	s_delay_alu instid0(VALU_DEP_3)
	v_exp_f32_e32 v74, v74
	v_exp_f32_e32 v75, v75
	;; [unrolled: 1-line block ×3, first 2 shown]
	v_fma_f32 v77, s19, v131, -v71
	v_exp_f32_e32 v84, v82
	v_cndmask_b32_e32 v79, 0, v72, vcc_lo
	v_cndmask_b32_e64 v78, 0, v74, s3
	s_delay_alu instid0(TRANS32_DEP_3) | instskip(SKIP_1) | instid1(TRANS32_DEP_2)
	v_cndmask_b32_e64 v81, 0, v75, s4
	v_fma_f32 v72, s19, v132, -v71
	v_cndmask_b32_e64 v80, 0, v76, s5
	v_add_f32_e32 v74, 0, v79
	s_delay_alu instid0(TRANS32_DEP_1) | instskip(SKIP_2) | instid1(VALU_DEP_3)
	v_cndmask_b32_e64 v85, 0, v84, s8
	s_mov_b32 s3, exec_lo
	v_mul_f32_e32 v72, 0x3fb8aa3b, v72
	v_add_f32_e32 v74, v74, v78
	s_delay_alu instid0(VALU_DEP_2) | instskip(NEXT) | instid1(VALU_DEP_1)
	v_exp_f32_e32 v72, v72
	v_add_f32_e32 v74, v74, v81
	s_delay_alu instid0(VALU_DEP_1) | instskip(NEXT) | instid1(VALU_DEP_1)
	v_dual_mul_f32 v77, 0x3fb8aa3b, v77 :: v_dual_add_f32 v74, v74, v80
	v_exp_f32_e32 v77, v77
	s_waitcnt_depctr 0xfff
	v_cndmask_b32_e64 v82, 0, v72, s7
	v_cndmask_b32_e64 v83, 0, v77, s6
	s_delay_alu instid0(VALU_DEP_1) | instskip(SKIP_4) | instid1(VALU_DEP_4)
	v_add_f32_e32 v72, v74, v83
	v_fma_f32 v75, s19, v134, -v71
	v_fma_f32 v76, s19, v119, -v71
	;; [unrolled: 1-line block ×4, first 2 shown]
	v_dual_add_f32 v72, v72, v82 :: v_dual_mul_f32 v75, 0x3fb8aa3b, v75
	s_delay_alu instid0(VALU_DEP_3) | instskip(NEXT) | instid1(VALU_DEP_3)
	v_dual_mul_f32 v76, 0x3fb8aa3b, v76 :: v_dual_mul_f32 v77, 0x3fb8aa3b, v77
	v_mul_f32_e32 v74, 0x3fb8aa3b, v74
	v_fma_f32 v86, s19, v122, -v71
	s_delay_alu instid0(VALU_DEP_4) | instskip(NEXT) | instid1(VALU_DEP_3)
	v_exp_f32_e32 v75, v75
	v_exp_f32_e32 v76, v76
	;; [unrolled: 1-line block ×4, first 2 shown]
	v_mul_f32_e32 v86, 0x3fb8aa3b, v86
	s_delay_alu instid0(VALU_DEP_1)
	v_exp_f32_e32 v88, v86
	v_cndmask_b32_e64 v84, 0, v75, s9
	v_fma_f32 v75, s19, v123, -v71
	v_add_f32_e32 v72, v72, v85
	v_cndmask_b32_e64 v87, 0, v76, s10
	v_fma_f32 v76, s19, v124, -v71
	s_delay_alu instid0(TRANS32_DEP_3) | instskip(NEXT) | instid1(VALU_DEP_4)
	v_cndmask_b32_e64 v86, 0, v77, s11
	v_dual_mul_f32 v75, 0x3fb8aa3b, v75 :: v_dual_add_f32 v72, v72, v84
	v_fma_f32 v77, s19, v125, -v71
	s_delay_alu instid0(VALU_DEP_4) | instskip(SKIP_1) | instid1(VALU_DEP_4)
	v_mul_f32_e32 v76, 0x3fb8aa3b, v76
	v_cndmask_b32_e64 v89, 0, v74, s12
	v_exp_f32_e32 v75, v75
	v_add_f32_e32 v72, v72, v87
	v_mul_f32_e32 v74, 0x3fb8aa3b, v77
	v_exp_f32_e32 v76, v76
	v_cndmask_b32_e64 v88, 0, v88, s13
	v_fma_f32 v77, s19, v126, -v71
	v_add_f32_e32 v72, v72, v86
	v_exp_f32_e32 v74, v74
	s_delay_alu instid0(TRANS32_DEP_3) | instskip(NEXT) | instid1(VALU_DEP_2)
	v_cndmask_b32_e64 v91, 0, v75, s15
	v_add_f32_e32 v72, v72, v89
	v_mul_f32_e32 v75, 0x3fb8aa3b, v77
	s_delay_alu instid0(TRANS32_DEP_2) | instskip(NEXT) | instid1(VALU_DEP_3)
	v_cndmask_b32_e64 v90, 0, v76, s16
	v_add_f32_e32 v72, v72, v88
	s_delay_alu instid0(VALU_DEP_3) | instskip(NEXT) | instid1(TRANS32_DEP_2)
	v_exp_f32_e32 v75, v75
	v_cndmask_b32_e64 v93, 0, v74, s17
	s_delay_alu instid0(VALU_DEP_2) | instskip(NEXT) | instid1(VALU_DEP_1)
	v_add_f32_e32 v72, v72, v91
	v_add_f32_e32 v72, v72, v90
	s_waitcnt_depctr 0xfff
	v_cndmask_b32_e64 v92, 0, v75, s18
	v_add_f32_e32 v72, v72, v93
	s_delay_alu instid0(VALU_DEP_1)
	v_add_f32_e32 v72, v72, v92
	ds_bpermute_b32 v73, v73, v72
	v_cmpx_gt_u32_e32 16, v70
	s_cbranch_execz .LBB823_12
; %bb.11:
	v_mul_u32_u24_e32 v70, 0x44, v69
	s_waitcnt lgkmcnt(0)
	v_add_f32_e32 v72, v72, v73
	s_delay_alu instid0(VALU_DEP_2) | instskip(NEXT) | instid1(VALU_DEP_1)
	v_lshl_add_u32 v70, v68, 2, v70
	v_add_nc_u32_e32 v70, 0x4000, v70
	ds_store_2addr_b32 v70, v71, v72 offset1:136
.LBB823_12:
	s_or_b32 exec_lo, exec_lo, s3
	v_lshlrev_b32_e32 v70, 2, v68
	s_load_b32 s35, s[0:1], 0x94
	s_waitcnt lgkmcnt(0)
	s_barrier
	buffer_gl0_inv
	v_add_nc_u32_e32 v98, 0x4000, v70
	v_cmp_eq_u32_e32 vcc_lo, 1, v69
	v_cmp_eq_u32_e64 s3, 2, v69
	v_cmp_eq_u32_e64 s4, 3, v69
	;; [unrolled: 1-line block ×3, first 2 shown]
	ds_load_2addr_b32 v[70:71], v98 offset1:17
	ds_load_2addr_b32 v[72:73], v98 offset0:34 offset1:51
	ds_load_2addr_b32 v[74:75], v98 offset0:68 offset1:85
	;; [unrolled: 1-line block ×3, first 2 shown]
	v_cmp_eq_u32_e64 s6, 5, v69
	v_cmp_eq_u32_e64 s7, 7, v69
	s_waitcnt lgkmcnt(3)
	v_max3_f32 v76, v70, 0xff7fffff, v71
	s_waitcnt lgkmcnt(2)
	s_delay_alu instid0(VALU_DEP_1) | instskip(SKIP_1) | instid1(VALU_DEP_1)
	v_max3_f32 v76, v76, v72, v73
	s_waitcnt lgkmcnt(1)
	v_max3_f32 v76, v76, v74, v75
	s_waitcnt lgkmcnt(0)
	s_delay_alu instid0(VALU_DEP_1) | instskip(NEXT) | instid1(VALU_DEP_1)
	v_max3_f32 v76, v76, v94, v95
	v_sub_f32_e32 v77, v71, v76
	ds_load_2addr_b32 v[96:97], v98 offset0:136 offset1:153
	v_sub_f32_e32 v74, v74, v76
	v_sub_f32_e32 v70, v70, v76
	;; [unrolled: 1-line block ×3, first 2 shown]
	v_dual_sub_f32 v72, v72, v76 :: v_dual_mul_f32 v77, 0x3fb8aa3b, v77
	s_delay_alu instid0(VALU_DEP_4) | instskip(NEXT) | instid1(VALU_DEP_4)
	v_mul_f32_e32 v103, 0x3fb8aa3b, v74
	v_mul_f32_e32 v99, 0x3fb8aa3b, v70
	ds_load_2addr_b32 v[70:71], v98 offset0:170 offset1:187
	v_dual_mul_f32 v101, 0x3fb8aa3b, v72 :: v_dual_mul_f32 v94, 0x3fb8aa3b, v94
	v_exp_f32_e32 v102, v77
	v_exp_f32_e32 v99, v99
	s_delay_alu instid0(VALU_DEP_1) | instskip(NEXT) | instid1(VALU_DEP_1)
	v_exp_f32_e32 v101, v101
	v_exp_f32_e32 v94, v94
	s_waitcnt lgkmcnt(1)
	s_delay_alu instid0(TRANS32_DEP_3)
	v_fma_f32 v77, v99, v96, 0
	v_sub_f32_e32 v100, v73, v76
	ds_load_2addr_b32 v[72:73], v98 offset0:204 offset1:221
	v_fmac_f32_e32 v77, v102, v97
	v_exp_f32_e32 v97, v103
	s_waitcnt lgkmcnt(1)
	s_delay_alu instid0(VALU_DEP_1)
	v_dual_fmac_f32 v77, v101, v70 :: v_dual_sub_f32 v96, v75, v76
	ds_load_2addr_b32 v[74:75], v98 offset0:238 offset1:255
	v_sub_f32_e32 v70, v95, v76
	s_waitcnt lgkmcnt(0)
	s_barrier
	v_mul_f32_e32 v96, 0x3fb8aa3b, v96
	buffer_gl0_inv
	v_exp_f32_e32 v95, v96
	v_mul_f32_e32 v100, 0x3fb8aa3b, v100
	s_delay_alu instid0(VALU_DEP_1) | instskip(SKIP_3) | instid1(VALU_DEP_2)
	v_exp_f32_e32 v100, v100
	s_waitcnt_depctr 0xfff
	v_dual_fmac_f32 v77, v100, v71 :: v_dual_mul_f32 v70, 0x3fb8aa3b, v70
	v_cndmask_b32_e32 v71, v99, v102, vcc_lo
	v_fmac_f32_e32 v77, v97, v72
	s_delay_alu instid0(VALU_DEP_3) | instskip(NEXT) | instid1(VALU_DEP_1)
	v_exp_f32_e32 v96, v70
	v_fmac_f32_e32 v77, v95, v73
	s_delay_alu instid0(VALU_DEP_1) | instskip(SKIP_2) | instid1(VALU_DEP_1)
	v_fmac_f32_e32 v77, v94, v74
	s_waitcnt_depctr 0xfff
	v_fmac_f32_e32 v77, v96, v75
	v_add_f32_e32 v74, 0x358637bd, v77
	s_delay_alu instid0(VALU_DEP_1) | instskip(SKIP_1) | instid1(VALU_DEP_2)
	v_div_scale_f32 v98, null, v74, v74, 1.0
	v_div_scale_f32 v99, vcc_lo, 1.0, v74, 1.0
	v_rcp_f32_e32 v103, v98
	s_waitcnt_depctr 0xfff
	v_fma_f32 v70, -v98, v103, 1.0
	s_delay_alu instid0(VALU_DEP_1) | instskip(SKIP_2) | instid1(VALU_DEP_2)
	v_fmac_f32_e32 v103, v70, v103
	v_cndmask_b32_e64 v70, v71, v101, s3
	v_cmp_eq_u32_e64 s3, 6, v69
	v_cndmask_b32_e64 v71, v70, v100, s4
	s_delay_alu instid0(VALU_DEP_4) | instskip(NEXT) | instid1(VALU_DEP_2)
	v_dual_mul_f32 v101, v99, v103 :: v_dual_lshlrev_b32 v70, 2, v66
	v_cndmask_b32_e64 v71, v71, v97, s5
	s_delay_alu instid0(VALU_DEP_2) | instskip(NEXT) | instid1(VALU_DEP_3)
	v_or_b32_e32 v72, 1, v70
	v_fma_f32 v100, -v98, v101, v99
	v_cmp_eq_u32_e64 s4, 1, v70
	v_cmp_eq_u32_e64 s5, 2, v70
	v_cndmask_b32_e64 v95, v71, v95, s6
	v_or_b32_e32 v71, 3, v70
	v_fmac_f32_e32 v101, v100, v103
	v_cmp_eq_u32_e64 s9, 1, v72
	v_cmp_eq_u32_e64 s12, 2, v72
	v_cndmask_b32_e64 v94, v95, v94, s3
	v_cmp_eq_u32_e64 s11, 1, v71
	v_fma_f32 v97, -v98, v101, v99
	v_cmp_eq_u32_e64 s16, 2, v71
	v_cmp_eq_u32_e64 s13, 3, v72
	v_cndmask_b32_e64 v94, v94, v96, s7
	v_cmp_eq_u32_e64 s18, 3, v71
	v_div_fmas_f32 v95, v97, v103, v101
	v_cmp_eq_u32_e32 vcc_lo, 3, v70
	v_cmp_eq_u32_e64 s3, 4, v70
	v_cmp_eq_u32_e64 s19, 4, v72
	v_cmp_eq_u32_e64 s22, 4, v71
	v_div_fixup_f32 v95, v95, v74, 1.0
	v_lshlrev_b32_e32 v73, 6, v68
	v_cmp_eq_u32_e64 s6, 5, v70
	v_cmp_eq_u32_e64 s20, 5, v72
	;; [unrolled: 1-line block ×3, first 2 shown]
	v_mul_f32_e32 v102, v94, v95
	v_lshl_or_b32 v75, v69, 11, v73
	v_or_b32_e32 v69, 2, v70
	v_cmp_eq_u32_e64 s25, 6, v72
	v_cmp_eq_u32_e64 s27, 6, v71
	v_fma_mixlo_f16 v94, v102, v79, 0
	v_fma_mixlo_f16 v95, v102, v81, 0
	;; [unrolled: 1-line block ×8, first 2 shown]
	v_lshl_or_b32 v74, v66, 4, v75
	v_fma_mixhi_f16 v94, v102, v78, 0
	v_fma_mixhi_f16 v95, v102, v80, 0
	;; [unrolled: 1-line block ×8, first 2 shown]
	ds_store_b128 v74, v[94:97]
	ds_store_b128 v74, v[98:101] offset:1024
	s_waitcnt lgkmcnt(0)
	s_barrier
	buffer_gl0_inv
	ds_load_b128 v[78:81], v75
	ds_load_b128 v[82:85], v75 offset:16
	ds_load_b128 v[86:89], v75 offset:1024
	;; [unrolled: 1-line block ×3, first 2 shown]
	v_cmp_eq_u32_e64 s10, 1, v69
	v_cmp_eq_u32_e64 s15, 2, v69
	;; [unrolled: 1-line block ×11, first 2 shown]
	s_waitcnt lgkmcnt(3)
	v_lshrrev_b32_e32 v94, 16, v78
	s_waitcnt lgkmcnt(2)
	v_lshrrev_b32_e32 v98, 16, v82
	;; [unrolled: 2-line block ×4, first 2 shown]
	v_lshrrev_b32_e32 v95, 16, v79
	v_cndmask_b32_e64 v110, v78, v94, s4
	v_cndmask_b32_e64 v111, v82, v98, s4
	;; [unrolled: 1-line block ×8, first 2 shown]
	v_lshrrev_b32_e32 v99, 16, v83
	v_cndmask_b32_e64 v94, v86, v102, s4
	v_cndmask_b32_e64 v98, v90, v106, s4
	;; [unrolled: 1-line block ×15, first 2 shown]
	v_lshrrev_b32_e32 v103, 16, v87
	v_lshrrev_b32_e32 v107, 16, v91
	v_cndmask_b32_e64 v113, v115, v83, s15
	v_cndmask_b32_e64 v82, v94, v87, s5
	;; [unrolled: 1-line block ×7, first 2 shown]
	v_cndmask_b32_e32 v90, v102, v95, vcc_lo
	v_cndmask_b32_e32 v102, v106, v99, vcc_lo
	v_cndmask_b32_e64 v106, v110, v95, s13
	v_cndmask_b32_e64 v110, v111, v99, s13
	;; [unrolled: 1-line block ×4, first 2 shown]
	v_lshrrev_b32_e32 v96, 16, v80
	v_lshrrev_b32_e32 v100, 16, v84
	v_cndmask_b32_e64 v111, v112, v95, s17
	v_cndmask_b32_e64 v112, v113, v99, s17
	v_cndmask_b32_e32 v82, v82, v103, vcc_lo
	v_cndmask_b32_e32 v83, v83, v107, vcc_lo
	v_cndmask_b32_e64 v94, v94, v103, s13
	v_cndmask_b32_e64 v90, v90, v80, s3
	;; [unrolled: 1-line block ×7, first 2 shown]
	v_lshrrev_b32_e32 v104, 16, v88
	v_cndmask_b32_e64 v106, v111, v80, s21
	v_cndmask_b32_e64 v110, v112, v84, s21
	;; [unrolled: 1-line block ×11, first 2 shown]
	v_lshrrev_b32_e32 v97, 16, v81
	v_lshrrev_b32_e32 v101, 16, v85
	v_cndmask_b32_e64 v99, v106, v96, s23
	v_cndmask_b32_e64 v102, v110, v100, s23
	;; [unrolled: 1-line block ×7, first 2 shown]
	v_lshrrev_b32_e32 v105, 16, v89
	v_cndmask_b32_e64 v80, v80, v104, s6
	v_cndmask_b32_e64 v84, v84, v81, s7
	;; [unrolled: 1-line block ×16, first 2 shown]
	v_perm_b32 v81, v79, v78, 0x5040100
	v_perm_b32 v79, v95, v85, 0x5040100
	v_cndmask_b32_e64 v78, v119, v91, s15
	v_cndmask_b32_e64 v85, v117, v91, s12
	;; [unrolled: 1-line block ×3, first 2 shown]
	v_perm_b32 v80, v94, v90, 0x5040100
	v_cndmask_b32_e64 v90, v98, v103, s17
	v_cndmask_b32_e64 v86, v86, v103, s18
	;; [unrolled: 1-line block ×5, first 2 shown]
	v_lshrrev_b32_e32 v108, 16, v92
	v_cndmask_b32_e64 v90, v90, v88, s21
	v_cndmask_b32_e64 v86, v86, v88, s22
	;; [unrolled: 1-line block ×11, first 2 shown]
	v_lshrrev_b32_e32 v109, 16, v93
	v_cndmask_b32_e64 v82, v82, v93, s7
	v_cndmask_b32_e64 v88, v88, v89, s26
	;; [unrolled: 1-line block ×12, first 2 shown]
	v_perm_b32 v78, v84, v83, 0x5040100
	v_perm_b32 v85, v87, v86, 0x5040100
	;; [unrolled: 1-line block ×5, first 2 shown]
	s_mul_i32 s8, s33, 14
	s_mov_b32 s3, exec_lo
	ds_store_b128 v74, v[78:81]
	ds_store_b128 v74, v[82:85] offset:1024
	v_cmpx_gt_u32_e32 14, v0
	s_cbranch_execz .LBB823_14
; %bb.13:
	s_mul_i32 s4, s8, s34
	s_delay_alu instid0(SALU_CYCLE_1) | instskip(SKIP_1) | instid1(VALU_DEP_1)
	v_add3_u32 v68, s4, s31, v68
	s_load_b128 s[4:7], s[0:1], 0x58
	v_mad_u64_u32 v[78:79], null, v68, s35, s[14:15]
	s_delay_alu instid0(VALU_DEP_1) | instskip(NEXT) | instid1(VALU_DEP_1)
	v_ashrrev_i32_e32 v79, 31, v78
	v_lshlrev_b64 v[78:79], 2, v[78:79]
	s_waitcnt lgkmcnt(0)
	s_delay_alu instid0(VALU_DEP_1) | instskip(NEXT) | instid1(VALU_DEP_2)
	v_add_co_u32 v80, vcc_lo, s6, v78
	v_add_co_ci_u32_e32 v81, vcc_lo, s7, v79, vcc_lo
	v_add_co_u32 v78, vcc_lo, s4, v78
	v_add_co_ci_u32_e32 v79, vcc_lo, s5, v79, vcc_lo
	global_store_b32 v[80:81], v76, off
	global_store_b32 v[78:79], v77, off
.LBB823_14:
	s_or_b32 exec_lo, exec_lo, s3
	s_waitcnt lgkmcnt(0)
	s_waitcnt_vscnt null, 0x0
	s_barrier
	buffer_gl0_inv
	ds_load_b128 v[84:87], v73
	ds_load_b128 v[88:91], v73 offset:16
	ds_load_b128 v[96:99], v73 offset:2064
	;; [unrolled: 1-line block ×5, first 2 shown]
	v_cmp_eq_u32_e32 vcc_lo, 1, v70
	v_mov_b32_e32 v76, 0
	ds_load_b128 v[112:115], v73 offset:6160
	ds_load_b128 v[108:111], v73 offset:6144
	;; [unrolled: 1-line block ×4, first 2 shown]
	v_cmp_eq_u32_e64 s4, 1, v69
	v_cmp_eq_u32_e64 s3, 1, v72
	;; [unrolled: 1-line block ×3, first 2 shown]
	v_mov_b32_e32 v77, v76
	v_mov_b32_e32 v78, v76
	;; [unrolled: 1-line block ×7, first 2 shown]
	v_cmp_eq_u32_e64 s6, 3, v72
	v_cmp_eq_u32_e64 s7, 7, v72
	s_waitcnt lgkmcnt(8)
	s_delay_alu instid0(VALU_DEP_3)
	v_wmma_f32_16x16x16_f16 v[76:83], v[49:56], v[84:91], v[76:83]
	ds_load_b128 v[53:56], v73 offset:10256
	ds_load_b128 v[49:52], v73 offset:10240
	s_waitcnt lgkmcnt(8)
	v_wmma_f32_16x16x16_f16 v[76:83], v[41:48], v[92:99], v[76:83]
	ds_load_b128 v[45:48], v73 offset:12304
	ds_load_b128 v[41:44], v73 offset:12288
	s_waitcnt lgkmcnt(8)
	;; [unrolled: 4-line block ×3, first 2 shown]
	s_barrier
	buffer_gl0_inv
	v_wmma_f32_16x16x16_f16 v[76:83], v[1:8], v[108:115], v[76:83]
	s_delay_alu instid0(VALU_DEP_1) | instskip(NEXT) | instid1(VALU_DEP_1)
	v_wmma_f32_16x16x16_f16 v[76:83], v[9:16], v[116:123], v[76:83]
	v_wmma_f32_16x16x16_f16 v[76:83], v[17:24], v[49:56], v[76:83]
	s_delay_alu instid0(VALU_DEP_1) | instskip(NEXT) | instid1(VALU_DEP_1)
	v_wmma_f32_16x16x16_f16 v[76:83], v[25:32], v[41:48], v[76:83]
	v_wmma_f32_16x16x16_f16 v[76:83], v[57:64], v[33:40], v[76:83]
	s_delay_alu instid0(VALU_DEP_1) | instskip(NEXT) | instid1(VALU_DEP_2)
	v_cvt_f16_f32_e32 v1, v76
	v_cvt_f16_f32_e32 v2, v77
	s_delay_alu instid0(VALU_DEP_3) | instskip(NEXT) | instid1(VALU_DEP_4)
	v_cvt_f16_f32_e32 v3, v78
	v_cvt_f16_f32_e32 v4, v79
	;; [unrolled: 1-line block ×6, first 2 shown]
	v_pack_b32_f16 v1, v1, v2
	v_pack_b32_f16 v2, v3, v4
	;; [unrolled: 1-line block ×3, first 2 shown]
	s_delay_alu instid0(VALU_DEP_4)
	v_pack_b32_f16 v4, v7, v8
	ds_store_b128 v74, v[1:4]
	s_waitcnt lgkmcnt(0)
	s_barrier
	buffer_gl0_inv
	ds_load_b128 v[1:4], v75
	ds_load_b128 v[5:8], v75 offset:16
	s_waitcnt lgkmcnt(1)
	v_lshrrev_b32_e32 v9, 16, v1
	s_waitcnt lgkmcnt(0)
	v_lshrrev_b32_e32 v13, 16, v5
	v_lshrrev_b32_e32 v10, 16, v2
	;; [unrolled: 1-line block ×4, first 2 shown]
	v_cndmask_b32_e32 v17, v1, v9, vcc_lo
	v_cndmask_b32_e32 v18, v5, v13, vcc_lo
	v_cndmask_b32_e64 v21, v1, v9, s4
	v_cmp_eq_u32_e32 vcc_lo, 1, v71
	v_cndmask_b32_e64 v22, v5, v13, s4
	v_cmp_eq_u32_e64 s4, 2, v70
	v_cndmask_b32_e64 v19, v1, v9, s3
	v_cndmask_b32_e64 v20, v5, v13, s3
	v_cndmask_b32_e32 v1, v1, v9, vcc_lo
	v_cmp_eq_u32_e64 s3, 2, v71
	v_cndmask_b32_e32 v5, v5, v13, vcc_lo
	v_cndmask_b32_e64 v9, v17, v2, s4
	v_cmp_eq_u32_e32 vcc_lo, 3, v70
	v_cndmask_b32_e64 v13, v18, v6, s4
	v_cmp_eq_u32_e64 s4, 2, v69
	v_cndmask_b32_e64 v17, v19, v2, s5
	v_cndmask_b32_e64 v18, v20, v6, s5
	v_cmp_eq_u32_e64 s5, 3, v69
	v_cndmask_b32_e64 v1, v1, v2, s3
	v_cndmask_b32_e64 v19, v21, v2, s4
	;; [unrolled: 1-line block ×4, first 2 shown]
	v_cndmask_b32_e32 v5, v9, v10, vcc_lo
	v_cndmask_b32_e32 v6, v13, v14, vcc_lo
	v_cmp_eq_u32_e32 vcc_lo, 3, v71
	v_cndmask_b32_e64 v9, v17, v10, s6
	v_cndmask_b32_e64 v13, v18, v14, s6
	v_cndmask_b32_e64 v18, v20, v14, s5
	v_cmp_eq_u32_e64 s4, 4, v70
	v_cndmask_b32_e32 v1, v1, v10, vcc_lo
	v_cndmask_b32_e32 v2, v2, v14, vcc_lo
	v_cmp_eq_u32_e32 vcc_lo, 4, v72
	v_lshrrev_b32_e32 v15, 16, v7
	v_lshrrev_b32_e32 v16, 16, v8
	v_cndmask_b32_e64 v17, v19, v10, s5
	v_cmp_eq_u32_e64 s3, 4, v71
	v_cndmask_b32_e64 v5, v5, v3, s4
	v_cndmask_b32_e64 v6, v6, v7, s4
	v_cndmask_b32_e32 v9, v9, v3, vcc_lo
	v_cmp_eq_u32_e64 s4, 5, v72
	v_cndmask_b32_e32 v10, v13, v7, vcc_lo
	v_cmp_eq_u32_e32 vcc_lo, 4, v69
	v_cmp_eq_u32_e64 s5, 5, v70
	v_cndmask_b32_e64 v2, v2, v7, s3
	v_cndmask_b32_e64 v9, v9, v11, s4
	;; [unrolled: 1-line block ×3, first 2 shown]
	v_cndmask_b32_e32 v13, v17, v3, vcc_lo
	v_cmp_eq_u32_e64 s4, 5, v69
	v_cndmask_b32_e32 v14, v18, v7, vcc_lo
	v_cndmask_b32_e64 v1, v1, v3, s3
	v_cmp_eq_u32_e32 vcc_lo, 5, v71
	v_lshrrev_b32_e32 v12, 16, v4
	v_cndmask_b32_e64 v13, v13, v11, s4
	v_cndmask_b32_e64 v3, v14, v15, s4
	v_cmp_eq_u32_e64 s4, 6, v71
	v_cndmask_b32_e32 v1, v1, v11, vcc_lo
	v_cndmask_b32_e64 v5, v5, v11, s5
	v_cmp_eq_u32_e64 s6, 6, v70
	v_cndmask_b32_e64 v6, v6, v15, s5
	v_cmp_eq_u32_e64 s5, 6, v72
	v_cmp_eq_u32_e64 s3, 6, v69
	v_cndmask_b32_e64 v1, v1, v4, s4
	v_cndmask_b32_e32 v2, v2, v15, vcc_lo
	v_cmp_eq_u32_e32 vcc_lo, 7, v71
	v_cndmask_b32_e64 v5, v5, v4, s6
	v_cndmask_b32_e64 v9, v9, v4, s5
	;; [unrolled: 1-line block ×3, first 2 shown]
	v_cmp_eq_u32_e64 s6, 7, v70
	v_cndmask_b32_e32 v1, v1, v12, vcc_lo
	v_cndmask_b32_e64 v7, v13, v4, s3
	v_cndmask_b32_e64 v3, v3, v8, s3
	;; [unrolled: 1-line block ×3, first 2 shown]
	v_cmp_eq_u32_e64 s3, 7, v69
	v_cndmask_b32_e64 v4, v10, v8, s5
	v_cndmask_b32_e64 v5, v5, v12, s6
	v_cndmask_b32_e64 v9, v9, v12, s7
	v_cndmask_b32_e32 v2, v2, v16, vcc_lo
	v_cndmask_b32_e64 v7, v7, v12, s3
	v_cndmask_b32_e64 v3, v3, v16, s3
	;; [unrolled: 1-line block ×4, first 2 shown]
	v_cmp_gt_u32_e32 vcc_lo, 32, v0
	v_perm_b32 v4, v2, v1, 0x5040100
	v_perm_b32 v3, v3, v7, 0x5040100
	;; [unrolled: 1-line block ×4, first 2 shown]
	s_and_b32 s2, vcc_lo, s2
	ds_store_b128 v74, v[1:4]
	s_waitcnt lgkmcnt(0)
	s_barrier
	buffer_gl0_inv
	s_and_saveexec_b32 s3, s2
	s_cbranch_execz .LBB823_2
; %bb.15:
	s_load_b64 s[0:1], s[0:1], 0x68
	v_lshlrev_b32_e32 v0, 10, v0
	s_lshl_b32 s4, s35, 6
	v_or_b32_e32 v3, s31, v66
	s_mul_i32 s2, s4, s34
	v_lshlrev_b32_e32 v1, 4, v67
	v_lshlrev_b32_e32 v2, 6, v66
	v_and_b32_e32 v0, 0x3800, v0
	s_mul_i32 s2, s2, s8
	v_mul_lo_u32 v8, v3, s4
	s_ashr_i32 s3, s2, 31
	s_delay_alu instid0(SALU_CYCLE_1)
	s_lshl_b64 s[2:3], s[2:3], 1
	v_or3_b32 v16, v0, v1, v2
	ds_load_b128 v[0:3], v16
	ds_load_b128 v[4:7], v16 offset:128
	v_ashrrev_i32_e32 v9, 31, v8
	s_waitcnt lgkmcnt(0)
	s_add_u32 s2, s0, s2
	s_addc_u32 s3, s1, s3
	s_lshl_b32 s0, s14, 6
	s_delay_alu instid0(SALU_CYCLE_1) | instskip(SKIP_2) | instid1(SALU_CYCLE_1)
	s_ashr_i32 s1, s0, 31
	v_lshlrev_b64 v[9:10], 1, v[8:9]
	s_lshl_b64 s[0:1], s[0:1], 1
	s_add_u32 s0, s2, s0
	s_addc_u32 s1, s3, s1
	s_lshl_b32 s2, s35, 7
	v_add_co_u32 v30, s0, s0, v65
	v_add_nc_u32_e32 v11, s2, v8
	v_add_co_ci_u32_e64 v31, null, s1, 0, s0
	s_delay_alu instid0(VALU_DEP_3) | instskip(NEXT) | instid1(VALU_DEP_3)
	v_add_co_u32 v9, vcc_lo, v30, v9
	v_add_nc_u32_e32 v8, s2, v11
	s_delay_alu instid0(VALU_DEP_3) | instskip(SKIP_1) | instid1(VALU_DEP_3)
	v_add_co_ci_u32_e32 v10, vcc_lo, v31, v10, vcc_lo
	v_ashrrev_i32_e32 v12, 31, v11
	v_add_nc_u32_e32 v13, s2, v8
	global_store_b128 v[9:10], v[0:3], off
	v_ashrrev_i32_e32 v9, 31, v8
	v_lshlrev_b64 v[11:12], 1, v[11:12]
	v_ashrrev_i32_e32 v14, 31, v13
	v_add_nc_u32_e32 v10, s2, v13
	s_delay_alu instid0(VALU_DEP_4) | instskip(NEXT) | instid1(VALU_DEP_4)
	v_lshlrev_b64 v[2:3], 1, v[8:9]
	v_add_co_u32 v0, vcc_lo, v30, v11
	s_delay_alu instid0(VALU_DEP_4)
	v_lshlrev_b64 v[8:9], 1, v[13:14]
	v_add_co_ci_u32_e32 v1, vcc_lo, v31, v12, vcc_lo
	v_ashrrev_i32_e32 v11, 31, v10
	v_add_co_u32 v22, vcc_lo, v30, v2
	v_add_nc_u32_e32 v20, s2, v10
	v_add_co_ci_u32_e32 v23, vcc_lo, v31, v3, vcc_lo
	v_add_co_u32 v24, vcc_lo, v30, v8
	global_store_b128 v[0:1], v[4:7], off
	v_add_co_ci_u32_e32 v25, vcc_lo, v31, v9, vcc_lo
	ds_load_b128 v[0:3], v16 offset:256
	ds_load_b128 v[4:7], v16 offset:384
	v_lshlrev_b64 v[26:27], 1, v[10:11]
	ds_load_b128 v[8:11], v16 offset:512
	ds_load_b128 v[12:15], v16 offset:640
	;; [unrolled: 1-line block ×3, first 2 shown]
	v_add_nc_u32_e32 v28, s2, v20
	v_ashrrev_i32_e32 v21, 31, v20
	v_add_co_u32 v26, vcc_lo, v30, v26
	s_delay_alu instid0(VALU_DEP_3) | instskip(NEXT) | instid1(VALU_DEP_3)
	v_ashrrev_i32_e32 v29, 31, v28
	v_lshlrev_b64 v[20:21], 1, v[20:21]
	v_add_co_ci_u32_e32 v27, vcc_lo, v31, v27, vcc_lo
	s_delay_alu instid0(VALU_DEP_3) | instskip(NEXT) | instid1(VALU_DEP_3)
	v_lshlrev_b64 v[28:29], 1, v[28:29]
	v_add_co_u32 v20, vcc_lo, v30, v20
	s_delay_alu instid0(VALU_DEP_4) | instskip(NEXT) | instid1(VALU_DEP_3)
	v_add_co_ci_u32_e32 v21, vcc_lo, v31, v21, vcc_lo
	v_add_co_u32 v28, vcc_lo, v30, v28
	s_delay_alu instid0(VALU_DEP_4)
	v_add_co_ci_u32_e32 v29, vcc_lo, v31, v29, vcc_lo
	s_waitcnt lgkmcnt(4)
	global_store_b128 v[22:23], v[0:3], off
	s_waitcnt lgkmcnt(3)
	global_store_b128 v[24:25], v[4:7], off
	;; [unrolled: 2-line block ×5, first 2 shown]
	s_nop 0
	s_sendmsg sendmsg(MSG_DEALLOC_VGPRS)
	s_endpgm
	.section	.rodata,"a",@progbits
	.p2align	6, 0x0
	.amdhsa_kernel _Z39paged_attention_ll4mi_QKV_mfma16_kernelIDF16_hLN4vllm18Fp8KVCacheDataTypeE1EDF16_Li16ELi64ELi256ELb1ELi14EL8MFMAType1EEvPKT_PKT0_S8_ifPKiSA_SA_iPKfiiiPfSD_PS3_PT2_iSC_SC_
		.amdhsa_group_segment_fixed_size 17472
		.amdhsa_private_segment_fixed_size 0
		.amdhsa_kernarg_size 400
		.amdhsa_user_sgpr_count 13
		.amdhsa_user_sgpr_dispatch_ptr 0
		.amdhsa_user_sgpr_queue_ptr 0
		.amdhsa_user_sgpr_kernarg_segment_ptr 1
		.amdhsa_user_sgpr_dispatch_id 0
		.amdhsa_user_sgpr_private_segment_size 0
		.amdhsa_wavefront_size32 1
		.amdhsa_uses_dynamic_stack 0
		.amdhsa_enable_private_segment 0
		.amdhsa_system_sgpr_workgroup_id_x 1
		.amdhsa_system_sgpr_workgroup_id_y 1
		.amdhsa_system_sgpr_workgroup_id_z 1
		.amdhsa_system_sgpr_workgroup_info 0
		.amdhsa_system_vgpr_workitem_id 0
		.amdhsa_next_free_vgpr 146
		.amdhsa_next_free_sgpr 36
		.amdhsa_reserve_vcc 1
		.amdhsa_float_round_mode_32 0
		.amdhsa_float_round_mode_16_64 0
		.amdhsa_float_denorm_mode_32 3
		.amdhsa_float_denorm_mode_16_64 3
		.amdhsa_dx10_clamp 1
		.amdhsa_ieee_mode 1
		.amdhsa_fp16_overflow 0
		.amdhsa_workgroup_processor_mode 1
		.amdhsa_memory_ordered 1
		.amdhsa_forward_progress 0
		.amdhsa_shared_vgpr_count 0
		.amdhsa_exception_fp_ieee_invalid_op 0
		.amdhsa_exception_fp_denorm_src 0
		.amdhsa_exception_fp_ieee_div_zero 0
		.amdhsa_exception_fp_ieee_overflow 0
		.amdhsa_exception_fp_ieee_underflow 0
		.amdhsa_exception_fp_ieee_inexact 0
		.amdhsa_exception_int_div_zero 0
	.end_amdhsa_kernel
	.section	.text._Z39paged_attention_ll4mi_QKV_mfma16_kernelIDF16_hLN4vllm18Fp8KVCacheDataTypeE1EDF16_Li16ELi64ELi256ELb1ELi14EL8MFMAType1EEvPKT_PKT0_S8_ifPKiSA_SA_iPKfiiiPfSD_PS3_PT2_iSC_SC_,"axG",@progbits,_Z39paged_attention_ll4mi_QKV_mfma16_kernelIDF16_hLN4vllm18Fp8KVCacheDataTypeE1EDF16_Li16ELi64ELi256ELb1ELi14EL8MFMAType1EEvPKT_PKT0_S8_ifPKiSA_SA_iPKfiiiPfSD_PS3_PT2_iSC_SC_,comdat
.Lfunc_end823:
	.size	_Z39paged_attention_ll4mi_QKV_mfma16_kernelIDF16_hLN4vllm18Fp8KVCacheDataTypeE1EDF16_Li16ELi64ELi256ELb1ELi14EL8MFMAType1EEvPKT_PKT0_S8_ifPKiSA_SA_iPKfiiiPfSD_PS3_PT2_iSC_SC_, .Lfunc_end823-_Z39paged_attention_ll4mi_QKV_mfma16_kernelIDF16_hLN4vllm18Fp8KVCacheDataTypeE1EDF16_Li16ELi64ELi256ELb1ELi14EL8MFMAType1EEvPKT_PKT0_S8_ifPKiSA_SA_iPKfiiiPfSD_PS3_PT2_iSC_SC_
                                        ; -- End function
	.section	.AMDGPU.csdata,"",@progbits
; Kernel info:
; codeLenInByte = 6640
; NumSgprs: 38
; NumVgprs: 146
; ScratchSize: 0
; MemoryBound: 0
; FloatMode: 240
; IeeeMode: 1
; LDSByteSize: 17472 bytes/workgroup (compile time only)
; SGPRBlocks: 4
; VGPRBlocks: 18
; NumSGPRsForWavesPerEU: 38
; NumVGPRsForWavesPerEU: 146
; Occupancy: 9
; WaveLimiterHint : 1
; COMPUTE_PGM_RSRC2:SCRATCH_EN: 0
; COMPUTE_PGM_RSRC2:USER_SGPR: 13
; COMPUTE_PGM_RSRC2:TRAP_HANDLER: 0
; COMPUTE_PGM_RSRC2:TGID_X_EN: 1
; COMPUTE_PGM_RSRC2:TGID_Y_EN: 1
; COMPUTE_PGM_RSRC2:TGID_Z_EN: 1
; COMPUTE_PGM_RSRC2:TIDIG_COMP_CNT: 0
	.section	.text._Z39paged_attention_ll4mi_QKV_mfma16_kernelIDF16_hLN4vllm18Fp8KVCacheDataTypeE1EDF16_Li16ELi64ELi256ELb1ELi15EL8MFMAType1EEvPKT_PKT0_S8_ifPKiSA_SA_iPKfiiiPfSD_PS3_PT2_iSC_SC_,"axG",@progbits,_Z39paged_attention_ll4mi_QKV_mfma16_kernelIDF16_hLN4vllm18Fp8KVCacheDataTypeE1EDF16_Li16ELi64ELi256ELb1ELi15EL8MFMAType1EEvPKT_PKT0_S8_ifPKiSA_SA_iPKfiiiPfSD_PS3_PT2_iSC_SC_,comdat
	.protected	_Z39paged_attention_ll4mi_QKV_mfma16_kernelIDF16_hLN4vllm18Fp8KVCacheDataTypeE1EDF16_Li16ELi64ELi256ELb1ELi15EL8MFMAType1EEvPKT_PKT0_S8_ifPKiSA_SA_iPKfiiiPfSD_PS3_PT2_iSC_SC_ ; -- Begin function _Z39paged_attention_ll4mi_QKV_mfma16_kernelIDF16_hLN4vllm18Fp8KVCacheDataTypeE1EDF16_Li16ELi64ELi256ELb1ELi15EL8MFMAType1EEvPKT_PKT0_S8_ifPKiSA_SA_iPKfiiiPfSD_PS3_PT2_iSC_SC_
	.globl	_Z39paged_attention_ll4mi_QKV_mfma16_kernelIDF16_hLN4vllm18Fp8KVCacheDataTypeE1EDF16_Li16ELi64ELi256ELb1ELi15EL8MFMAType1EEvPKT_PKT0_S8_ifPKiSA_SA_iPKfiiiPfSD_PS3_PT2_iSC_SC_
	.p2align	8
	.type	_Z39paged_attention_ll4mi_QKV_mfma16_kernelIDF16_hLN4vllm18Fp8KVCacheDataTypeE1EDF16_Li16ELi64ELi256ELb1ELi15EL8MFMAType1EEvPKT_PKT0_S8_ifPKiSA_SA_iPKfiiiPfSD_PS3_PT2_iSC_SC_,@function
_Z39paged_attention_ll4mi_QKV_mfma16_kernelIDF16_hLN4vllm18Fp8KVCacheDataTypeE1EDF16_Li16ELi64ELi256ELb1ELi15EL8MFMAType1EEvPKT_PKT0_S8_ifPKiSA_SA_iPKfiiiPfSD_PS3_PT2_iSC_SC_: ; @_Z39paged_attention_ll4mi_QKV_mfma16_kernelIDF16_hLN4vllm18Fp8KVCacheDataTypeE1EDF16_Li16ELi64ELi256ELb1ELi15EL8MFMAType1EEvPKT_PKT0_S8_ifPKiSA_SA_iPKfiiiPfSD_PS3_PT2_iSC_SC_
; %bb.0:
	s_load_b64 s[2:3], s[0:1], 0x30
	s_mov_b32 s34, s13
	s_waitcnt lgkmcnt(0)
	s_cmp_lg_u64 s[2:3], 0
	s_cselect_b32 s6, -1, 0
	s_ashr_i32 s35, s13, 31
	s_cmp_eq_u64 s[2:3], 0
	s_cbranch_scc1 .LBB824_3
; %bb.1:
	s_lshl_b64 s[4:5], s[34:35], 2
	s_delay_alu instid0(SALU_CYCLE_1) | instskip(SKIP_4) | instid1(SALU_CYCLE_1)
	s_add_u32 s4, s2, s4
	s_addc_u32 s5, s3, s5
	s_load_b64 s[4:5], s[4:5], 0x0
	s_waitcnt lgkmcnt(0)
	s_sub_i32 s4, s5, s4
	s_cmp_eq_u32 s4, 1
	s_cselect_b32 s4, -1, 0
	s_delay_alu instid0(SALU_CYCLE_1)
	s_and_not1_b32 vcc_lo, exec_lo, s4
	s_cbranch_vccz .LBB824_4
.LBB824_2:
	s_nop 0
	s_sendmsg sendmsg(MSG_DEALLOC_VGPRS)
	s_endpgm
.LBB824_3:
.LBB824_4:
	s_load_b64 s[8:9], s[0:1], 0x28
	s_lshl_b64 s[4:5], s[34:35], 2
	s_waitcnt lgkmcnt(0)
	s_add_u32 s8, s8, s4
	s_addc_u32 s9, s9, s5
	s_lshl_b32 s16, s14, 8
	s_load_b32 s18, s[8:9], 0x0
	s_waitcnt lgkmcnt(0)
	s_cmp_ge_i32 s16, s18
	s_cbranch_scc1 .LBB824_2
; %bb.5:
	s_clause 0x1
	s_load_b128 s[8:11], s[0:1], 0x8
	s_load_b64 s[12:13], s[0:1], 0x20
	s_and_not1_b32 vcc_lo, exec_lo, s6
	s_cbranch_vccnz .LBB824_7
; %bb.6:
	s_add_u32 s2, s2, s4
	s_addc_u32 s3, s3, s5
	s_load_b32 s3, s[2:3], 0x0
	s_branch .LBB824_8
.LBB824_7:
	s_mov_b32 s3, s34
.LBB824_8:
	s_load_b128 s[4:7], s[0:1], 0x48
	v_lshrrev_b32_e32 v69, 5, v0
	v_bfe_u32 v66, v0, 4, 1
	v_and_b32_e32 v68, 15, v0
	v_and_b32_e32 v70, 31, v0
	;; [unrolled: 1-line block ×3, first 2 shown]
	s_mul_i32 s33, s15, 15
	v_lshl_or_b32 v1, v69, 1, v66
	v_lshlrev_b32_e32 v2, 3, v68
	v_cmp_gt_u32_e64 s2, 8, v68
	s_delay_alu instid0(VALU_DEP_3) | instskip(NEXT) | instid1(VALU_DEP_3)
	v_cmp_gt_u32_e32 vcc_lo, 15, v1
	v_lshlrev_b32_e32 v65, 1, v2
	s_delay_alu instid0(VALU_DEP_3)
	s_and_b32 s17, s2, vcc_lo
	s_waitcnt lgkmcnt(0)
	s_and_saveexec_b32 s7, s17
	s_cbranch_execz .LBB824_10
; %bb.9:
	s_load_b64 s[20:21], s[0:1], 0x0
	v_add_lshl_u32 v2, v1, s33, 6
	s_mul_hi_i32 s23, s3, s4
	s_mul_i32 s22, s3, s4
	v_lshlrev_b32_e32 v6, 10, v68
	s_lshl_b64 s[22:23], s[22:23], 1
	v_ashrrev_i32_e32 v3, 31, v2
	v_lshlrev_b32_e32 v1, 6, v1
	v_lshlrev_b32_e32 v7, 10, v67
	v_and_b32_e32 v6, 0x3800, v6
	s_delay_alu instid0(VALU_DEP_4) | instskip(NEXT) | instid1(VALU_DEP_2)
	v_lshlrev_b64 v[2:3], 1, v[2:3]
	v_or3_b32 v1, v6, v7, v1
	s_waitcnt lgkmcnt(0)
	s_add_u32 s3, s20, s22
	s_addc_u32 s4, s21, s23
	s_delay_alu instid0(VALU_DEP_2) | instskip(SKIP_1) | instid1(VALU_DEP_2)
	v_add_co_u32 v2, vcc_lo, s3, v2
	v_add_co_ci_u32_e32 v3, vcc_lo, s4, v3, vcc_lo
	v_add_co_u32 v2, vcc_lo, v2, v65
	s_delay_alu instid0(VALU_DEP_2)
	v_add_co_ci_u32_e32 v3, vcc_lo, 0, v3, vcc_lo
	global_load_b128 v[2:5], v[2:3], off
	s_waitcnt vmcnt(0)
	ds_store_b128 v1, v[2:5]
.LBB824_10:
	s_or_b32 exec_lo, exec_lo, s7
	v_and_b32_e32 v1, 0xef, v0
	s_add_i32 s3, s18, 15
	s_clause 0x1
	s_load_b32 s4, s[0:1], 0x38
	s_load_b32 s35, s[0:1], 0x98
	s_ashr_i32 s7, s3, 31
	v_add_nc_u32_e32 v1, s16, v1
	s_lshr_b32 s7, s7, 28
	s_load_b32 s19, s[0:1], 0x1c
	s_add_i32 s3, s3, s7
	s_waitcnt lgkmcnt(0)
	v_ashrrev_i32_e32 v2, 31, v1
	v_or_b32_e32 v3, 16, v1
	s_ashr_i32 s3, s3, 4
	v_cmp_gt_i32_e32 vcc_lo, s18, v1
	s_add_i32 s3, s3, -1
	v_lshrrev_b32_e32 v2, 28, v2
	s_barrier
	buffer_gl0_inv
	s_mul_i32 s15, s15, s6
	v_mbcnt_lo_u32_b32 v127, -1, 0
	v_add_nc_u32_e32 v4, v1, v2
	s_mul_i32 s20, s34, s4
	s_delay_alu instid0(SALU_CYCLE_1) | instskip(NEXT) | instid1(VALU_DEP_1)
	s_ashr_i32 s21, s20, 31
	v_ashrrev_i32_e32 v4, 4, v4
	v_add_nc_u32_e32 v2, v3, v2
	s_lshl_b64 s[20:21], s[20:21], 2
	v_xor_b32_e32 v128, 16, v127
	s_add_u32 s17, s12, s20
	v_cndmask_b32_e32 v1, s3, v4, vcc_lo
	v_ashrrev_i32_e32 v2, 4, v2
	v_cmp_gt_i32_e32 vcc_lo, s18, v3
	s_addc_u32 s13, s13, s21
	s_ashr_i32 s20, s15, 31
	s_add_u32 s4, s8, s15
	s_addc_u32 s12, s9, s20
	v_cndmask_b32_e32 v3, s3, v2, vcc_lo
	v_ashrrev_i32_e32 v2, 31, v1
	s_lshl_b32 s6, s14, 4
	s_delay_alu instid0(SALU_CYCLE_1) | instskip(NEXT) | instid1(VALU_DEP_2)
	s_ashr_i32 s7, s6, 31
	v_ashrrev_i32_e32 v4, 31, v3
	s_delay_alu instid0(VALU_DEP_2) | instskip(SKIP_1) | instid1(SALU_CYCLE_1)
	v_lshlrev_b64 v[1:2], 2, v[1:2]
	s_lshl_b64 s[6:7], s[6:7], 2
	s_add_u32 s6, s17, s6
	s_delay_alu instid0(VALU_DEP_2) | instskip(SKIP_1) | instid1(VALU_DEP_2)
	v_lshlrev_b64 v[3:4], 2, v[3:4]
	s_addc_u32 s7, s13, s7
	v_add_co_u32 v1, vcc_lo, s17, v1
	v_add_co_ci_u32_e32 v2, vcc_lo, s13, v2, vcc_lo
	s_delay_alu instid0(VALU_DEP_3) | instskip(NEXT) | instid1(VALU_DEP_4)
	v_add_co_u32 v3, vcc_lo, s17, v3
	v_add_co_ci_u32_e32 v4, vcc_lo, s13, v4, vcc_lo
	s_clause 0x1
	global_load_b32 v5, v[1:2], off
	global_load_b32 v7, v[3:4], off
	s_or_b32 s8, s16, 32
	v_lshlrev_b32_e32 v1, 4, v0
	s_ashr_i32 s9, s8, 4
	s_cmp_lt_i32 s8, s18
	v_cmp_ne_u32_e32 vcc_lo, 15, v68
	s_cselect_b32 s8, s9, s3
	v_and_b32_e32 v1, 0xf0, v1
	s_ashr_i32 s9, s8, 31
	s_delay_alu instid0(SALU_CYCLE_1)
	s_lshl_b64 s[8:9], s[8:9], 2
	v_cndmask_b32_e32 v103, 0, v68, vcc_lo
	s_add_u32 s8, s17, s8
	s_addc_u32 s9, s13, s9
	s_or_b32 s21, s16, 64
	v_add_co_u32 v1, s4, s4, v1
	s_ashr_i32 s22, s21, 4
	s_cmp_lt_i32 s21, s18
	v_add_co_ci_u32_e64 v2, null, s12, 0, s4
	s_cselect_b32 s22, s22, s3
	v_cmp_gt_i32_e32 vcc_lo, 32, v128
	s_ashr_i32 s23, s22, 31
	v_lshlrev_b32_e32 v115, 6, v103
	s_lshl_b64 s[22:23], s[22:23], 2
	v_cndmask_b32_e32 v136, v127, v128, vcc_lo
	s_add_u32 s22, s17, s22
	s_addc_u32 s23, s13, s23
	s_or_b32 s21, s16, 0x60
	s_delay_alu instid0(SALU_CYCLE_1) | instskip(SKIP_2) | instid1(SALU_CYCLE_1)
	s_ashr_i32 s24, s21, 4
	s_cmp_lt_i32 s21, s18
	s_cselect_b32 s24, s24, s3
	s_ashr_i32 s25, s24, 31
	s_delay_alu instid0(SALU_CYCLE_1) | instskip(NEXT) | instid1(SALU_CYCLE_1)
	s_lshl_b64 s[24:25], s[24:25], 2
	s_add_u32 s24, s17, s24
	s_addc_u32 s25, s13, s25
	s_or_b32 s21, s16, 0x80
	s_delay_alu instid0(SALU_CYCLE_1) | instskip(SKIP_2) | instid1(SALU_CYCLE_1)
	s_ashr_i32 s26, s21, 4
	s_cmp_lt_i32 s21, s18
	s_cselect_b32 s26, s26, s3
	s_ashr_i32 s27, s26, 31
	s_delay_alu instid0(SALU_CYCLE_1) | instskip(NEXT) | instid1(SALU_CYCLE_1)
	s_lshl_b64 s[26:27], s[26:27], 2
	;; [unrolled: 10-line block ×3, first 2 shown]
	s_add_u32 s28, s17, s28
	s_addc_u32 s29, s13, s29
	s_clause 0x5
	s_load_b32 s12, s[6:7], 0x0
	s_load_b32 s4, s[8:9], 0x0
	;; [unrolled: 1-line block ×6, first 2 shown]
	s_or_b32 s21, s16, 0xc0
	s_delay_alu instid0(SALU_CYCLE_1) | instskip(SKIP_2) | instid1(SALU_CYCLE_1)
	s_ashr_i32 s22, s21, 4
	s_cmp_lt_i32 s21, s18
	s_cselect_b32 s22, s22, s3
	s_ashr_i32 s23, s22, 31
	s_delay_alu instid0(SALU_CYCLE_1) | instskip(NEXT) | instid1(SALU_CYCLE_1)
	s_lshl_b64 s[22:23], s[22:23], 2
	s_add_u32 s22, s17, s22
	s_addc_u32 s23, s13, s23
	s_or_b32 s21, s16, 0xe0
	s_delay_alu instid0(SALU_CYCLE_1) | instskip(SKIP_2) | instid1(SALU_CYCLE_1)
	s_ashr_i32 s24, s21, 4
	s_cmp_lt_i32 s21, s18
	s_cselect_b32 s24, s24, s3
	s_ashr_i32 s25, s24, 31
	s_delay_alu instid0(SALU_CYCLE_1)
	s_lshl_b64 s[24:25], s[24:25], 2
	s_waitcnt vmcnt(1)
	v_mad_i64_i32 v[3:4], null, v5, s5, v[1:2]
	s_waitcnt vmcnt(0)
	v_mad_i64_i32 v[5:6], null, v7, s5, v[1:2]
	v_lshlrev_b32_e32 v1, 4, v68
	s_clause 0x7
	global_load_b128 v[71:74], v[3:4], off
	global_load_b128 v[75:78], v[3:4], off offset:256
	global_load_b128 v[79:82], v[5:6], off
	global_load_b128 v[83:86], v[5:6], off offset:256
	global_load_b128 v[87:90], v[3:4], off offset:512
	;; [unrolled: 1-line block ×5, first 2 shown]
	v_lshl_or_b32 v1, v69, 8, v1
	s_load_b32 s3, s[22:23], 0x0
	s_add_u32 s22, s17, s24
	s_addc_u32 s23, s13, s25
	s_add_u32 s10, s10, s15
	s_addc_u32 s11, s11, s20
	v_add_co_u32 v1, s10, s10, v1
	s_delay_alu instid0(VALU_DEP_1) | instskip(SKIP_2) | instid1(VALU_DEP_1)
	v_add_co_ci_u32_e64 v2, null, s11, 0, s10
	s_load_b32 s10, s[22:23], 0x0
	s_waitcnt lgkmcnt(0)
	v_mad_i64_i32 v[3:4], null, s12, s5, v[1:2]
	v_mad_i64_i32 v[9:10], null, s7, s5, v[1:2]
	v_mad_i64_i32 v[5:6], null, s4, s5, v[1:2]
	v_mad_i64_i32 v[13:14], null, s8, s5, v[1:2]
	v_mad_i64_i32 v[7:8], null, s6, s5, v[1:2]
	v_mad_i64_i32 v[21:22], null, s9, s5, v[1:2]
	v_mad_i64_i32 v[29:30], null, s3, s5, v[1:2]
	s_clause 0x5
	global_load_b128 v[49:52], v[3:4], off
	global_load_b128 v[53:56], v[3:4], off offset:16
	global_load_b128 v[41:44], v[5:6], off
	global_load_b128 v[45:48], v[5:6], off offset:16
	;; [unrolled: 2-line block ×3, first 2 shown]
	s_mov_b32 s4, 0
	v_mad_i64_i32 v[61:62], null, s10, s5, v[1:2]
	s_clause 0x9
	global_load_b128 v[1:4], v[9:10], off
	global_load_b128 v[5:8], v[9:10], off offset:16
	global_load_b128 v[9:12], v[13:14], off
	global_load_b128 v[13:16], v[13:14], off offset:16
	;; [unrolled: 2-line block ×5, first 2 shown]
	s_mov_b32 s5, s4
	s_mov_b32 s6, s4
	;; [unrolled: 1-line block ×7, first 2 shown]
	v_and_b32_e32 v104, 0xe0, v0
	v_dual_mov_b32 v126, s11 :: v_dual_mov_b32 v125, s10
	v_dual_mov_b32 v124, s9 :: v_dual_mov_b32 v123, s8
	s_delay_alu instid0(VALU_DEP_3)
	v_add_nc_u32_e32 v111, s16, v104
	ds_load_b128 v[103:106], v115
	ds_load_b128 v[107:110], v115 offset:1024
	v_dual_mov_b32 v122, s7 :: v_dual_mov_b32 v121, s6
	v_mov_b32_e32 v120, s5
	v_or_b32_e32 v135, v111, v66
	ds_load_b128 v[111:114], v115 offset:2048
	ds_load_b128 v[115:118], v115 offset:3072
	v_mov_b32_e32 v119, s4
	s_waitcnt vmcnt(0) lgkmcnt(0)
	s_barrier
	v_or_b32_e32 v137, 2, v135
	v_or_b32_e32 v138, 4, v135
	;; [unrolled: 1-line block ×3, first 2 shown]
	v_cmp_gt_i32_e32 vcc_lo, s18, v135
	v_or_b32_e32 v140, 8, v135
	v_cmp_gt_i32_e64 s3, s18, v137
	v_or_b32_e32 v141, 10, v135
	v_cmp_gt_i32_e64 s4, s18, v138
	v_cmp_gt_i32_e64 s5, s18, v139
	v_or_b32_e32 v142, 12, v135
	v_or_b32_e32 v143, 14, v135
	v_cmp_gt_i32_e64 s6, s18, v140
	v_cmp_gt_i32_e64 s7, s18, v141
	v_or_b32_e32 v144, 16, v135
	v_or_b32_e32 v145, 18, v135
	v_cmp_gt_i32_e64 s8, s18, v142
	v_cmp_gt_i32_e64 s9, s18, v143
	buffer_gl0_inv
	v_cmp_gt_i32_e64 s10, s18, v144
	v_cmp_gt_i32_e64 s11, s18, v145
	v_wmma_f32_16x16x16_f16 v[127:134], v[71:78], v[103:110], v[119:126]
	v_wmma_f32_16x16x16_f16 v[119:126], v[79:86], v[103:110], v[119:126]
	v_or_b32_e32 v71, 20, v135
	v_or_b32_e32 v72, 22, v135
	s_delay_alu instid0(VALU_DEP_4)
	v_wmma_f32_16x16x16_f16 v[127:134], v[87:94], v[111:118], v[127:134]
	v_or_b32_e32 v73, 24, v135
	v_wmma_f32_16x16x16_f16 v[119:126], v[95:102], v[111:118], v[119:126]
	v_or_b32_e32 v74, 26, v135
	v_cmp_gt_i32_e64 s12, s18, v71
	v_dual_mul_f32 v83, s19, v128 :: v_dual_mul_f32 v84, s19, v127
	s_delay_alu instid0(VALU_DEP_4) | instskip(SKIP_1) | instid1(VALU_DEP_3)
	v_dual_mul_f32 v81, s19, v130 :: v_dual_mul_f32 v92, s19, v119
	v_mul_f32_e32 v82, s19, v129
	v_cndmask_b32_e64 v83, 0xff7fffff, v83, s3
	s_delay_alu instid0(VALU_DEP_4)
	v_cndmask_b32_e32 v84, 0xff7fffff, v84, vcc_lo
	v_dual_mul_f32 v79, s19, v132 :: v_dual_mul_f32 v90, s19, v121
	v_mul_f32_e32 v80, s19, v131
	v_cndmask_b32_e64 v82, 0xff7fffff, v82, s4
	v_cndmask_b32_e64 v81, 0xff7fffff, v81, s5
	v_max3_f32 v83, v84, 0xff7fffff, v83
	v_dual_mul_f32 v77, s19, v134 :: v_dual_mul_f32 v88, s19, v123
	v_mul_f32_e32 v78, s19, v133
	v_cndmask_b32_e64 v80, 0xff7fffff, v80, s6
	v_cndmask_b32_e64 v79, 0xff7fffff, v79, s7
	v_max3_f32 v81, v83, v82, v81
	v_mul_f32_e32 v91, s19, v120
	v_cndmask_b32_e64 v78, 0xff7fffff, v78, s8
	v_cndmask_b32_e64 v77, 0xff7fffff, v77, s9
	v_mul_f32_e32 v89, s19, v122
	v_max3_f32 v79, v81, v80, v79
	v_cndmask_b32_e64 v80, 0xff7fffff, v92, s10
	v_cndmask_b32_e64 v81, 0xff7fffff, v91, s11
	v_cmp_gt_i32_e64 s13, s18, v72
	v_or_b32_e32 v75, 28, v135
	v_max3_f32 v77, v79, v78, v77
	v_or_b32_e32 v76, 30, v135
	v_mul_f32_e32 v87, s19, v124
	v_cndmask_b32_e64 v71, 0xff7fffff, v90, s12
	v_cndmask_b32_e64 v72, 0xff7fffff, v89, s13
	v_max3_f32 v77, v77, v80, v81
	v_cmp_gt_i32_e64 s15, s18, v73
	v_cmp_gt_i32_e64 s16, s18, v74
	v_dual_mul_f32 v85, s19, v126 :: v_dual_mul_f32 v86, s19, v125
	s_delay_alu instid0(VALU_DEP_4) | instskip(NEXT) | instid1(VALU_DEP_4)
	v_max3_f32 v71, v77, v71, v72
	v_cndmask_b32_e64 v73, 0xff7fffff, v88, s15
	s_delay_alu instid0(VALU_DEP_4) | instskip(SKIP_2) | instid1(VALU_DEP_3)
	v_cndmask_b32_e64 v74, 0xff7fffff, v87, s16
	v_cmp_gt_i32_e64 s17, s18, v75
	v_cmp_gt_i32_e64 s18, s18, v76
	v_max3_f32 v71, v71, v73, v74
	s_delay_alu instid0(VALU_DEP_3) | instskip(NEXT) | instid1(VALU_DEP_3)
	v_cndmask_b32_e64 v72, 0xff7fffff, v86, s17
	v_cndmask_b32_e64 v75, 0xff7fffff, v85, s18
	v_lshlrev_b32_e32 v73, 2, v136
	s_delay_alu instid0(VALU_DEP_2) | instskip(SKIP_3) | instid1(VALU_DEP_1)
	v_max3_f32 v71, v71, v72, v75
	ds_bpermute_b32 v72, v73, v71
	s_waitcnt lgkmcnt(0)
	v_max_f32_e32 v72, v72, v72
	v_max_f32_e32 v71, v71, v72
	s_delay_alu instid0(VALU_DEP_1)
	v_fma_f32 v72, s19, v127, -v71
	v_fma_f32 v74, s19, v128, -v71
	v_fma_f32 v75, s19, v129, -v71
	v_fma_f32 v76, s19, v130, -v71
	v_fma_f32 v77, s19, v131, -v71
	v_mul_f32_e32 v72, 0x3fb8aa3b, v72
	v_mul_f32_e32 v74, 0x3fb8aa3b, v74
	v_fma_f32 v80, s19, v133, -v71
	s_delay_alu instid0(VALU_DEP_4) | instskip(NEXT) | instid1(VALU_DEP_4)
	v_dual_mul_f32 v76, 0x3fb8aa3b, v76 :: v_dual_mul_f32 v77, 0x3fb8aa3b, v77
	v_exp_f32_e32 v72, v72
	s_delay_alu instid0(VALU_DEP_3) | instskip(NEXT) | instid1(VALU_DEP_2)
	v_exp_f32_e32 v74, v74
	v_mul_f32_e32 v82, 0x3fb8aa3b, v80
	s_delay_alu instid0(VALU_DEP_2) | instskip(SKIP_1) | instid1(VALU_DEP_1)
	v_exp_f32_e32 v76, v76
	v_exp_f32_e32 v77, v77
	;; [unrolled: 1-line block ×3, first 2 shown]
	v_cndmask_b32_e32 v79, 0, v72, vcc_lo
	v_fma_f32 v72, s19, v132, -v71
	v_mul_f32_e32 v75, 0x3fb8aa3b, v75
	v_cndmask_b32_e64 v78, 0, v74, s3
	s_delay_alu instid0(TRANS32_DEP_3)
	v_cndmask_b32_e64 v80, 0, v76, s5
	v_add_f32_e32 v74, 0, v79
	v_mul_f32_e32 v72, 0x3fb8aa3b, v72
	v_exp_f32_e32 v75, v75
	v_cndmask_b32_e64 v83, 0, v77, s6
	v_cndmask_b32_e64 v85, 0, v84, s8
	v_add_f32_e32 v74, v74, v78
	v_exp_f32_e32 v72, v72
	v_cmp_gt_u32_e64 s3, 16, v70
	s_waitcnt_depctr 0xfff
	v_cndmask_b32_e64 v81, 0, v75, s4
	v_cndmask_b32_e64 v82, 0, v72, s7
	s_delay_alu instid0(VALU_DEP_2) | instskip(NEXT) | instid1(VALU_DEP_1)
	v_add_f32_e32 v74, v74, v81
	v_add_f32_e32 v74, v74, v80
	s_delay_alu instid0(VALU_DEP_1) | instskip(SKIP_4) | instid1(VALU_DEP_4)
	v_add_f32_e32 v72, v74, v83
	v_fma_f32 v75, s19, v134, -v71
	v_fma_f32 v76, s19, v119, -v71
	;; [unrolled: 1-line block ×4, first 2 shown]
	v_dual_add_f32 v72, v72, v82 :: v_dual_mul_f32 v75, 0x3fb8aa3b, v75
	s_delay_alu instid0(VALU_DEP_3) | instskip(SKIP_1) | instid1(VALU_DEP_3)
	v_dual_mul_f32 v76, 0x3fb8aa3b, v76 :: v_dual_mul_f32 v77, 0x3fb8aa3b, v77
	v_fma_f32 v86, s19, v122, -v71
	v_add_f32_e32 v72, v72, v85
	s_delay_alu instid0(VALU_DEP_4) | instskip(NEXT) | instid1(VALU_DEP_3)
	v_exp_f32_e32 v75, v75
	v_exp_f32_e32 v76, v76
	;; [unrolled: 1-line block ×3, first 2 shown]
	v_mul_f32_e32 v86, 0x3fb8aa3b, v86
	s_delay_alu instid0(VALU_DEP_1) | instskip(SKIP_3) | instid1(TRANS32_DEP_3)
	v_exp_f32_e32 v88, v86
	v_cndmask_b32_e64 v84, 0, v75, s9
	v_fma_f32 v75, s19, v123, -v71
	v_mul_f32_e32 v74, 0x3fb8aa3b, v74
	v_cndmask_b32_e64 v87, 0, v76, s10
	v_fma_f32 v76, s19, v124, -v71
	s_delay_alu instid0(VALU_DEP_4) | instskip(NEXT) | instid1(VALU_DEP_4)
	v_dual_add_f32 v72, v72, v84 :: v_dual_mul_f32 v75, 0x3fb8aa3b, v75
	v_exp_f32_e32 v74, v74
	v_cndmask_b32_e64 v86, 0, v77, s11
	v_fma_f32 v77, s19, v125, -v71
	s_delay_alu instid0(VALU_DEP_3) | instskip(SKIP_3) | instid1(VALU_DEP_3)
	v_add_f32_e32 v72, v72, v87
	v_mul_f32_e32 v76, 0x3fb8aa3b, v76
	v_exp_f32_e32 v75, v75
	v_cndmask_b32_e64 v88, 0, v88, s13
	v_add_f32_e32 v72, v72, v86
	s_delay_alu instid0(VALU_DEP_3) | instskip(NEXT) | instid1(TRANS32_DEP_3)
	v_exp_f32_e32 v76, v76
	v_cndmask_b32_e64 v89, 0, v74, s12
	v_mul_f32_e32 v74, 0x3fb8aa3b, v77
	v_fma_f32 v77, s19, v126, -v71
	s_delay_alu instid0(VALU_DEP_3) | instskip(NEXT) | instid1(VALU_DEP_3)
	v_add_f32_e32 v72, v72, v89
	v_exp_f32_e32 v74, v74
	s_delay_alu instid0(TRANS32_DEP_3) | instskip(NEXT) | instid1(VALU_DEP_3)
	v_cndmask_b32_e64 v91, 0, v75, s15
	v_mul_f32_e32 v75, 0x3fb8aa3b, v77
	s_delay_alu instid0(TRANS32_DEP_2) | instskip(SKIP_1) | instid1(VALU_DEP_3)
	v_cndmask_b32_e64 v90, 0, v76, s16
	v_add_f32_e32 v72, v72, v88
	v_exp_f32_e32 v75, v75
	s_delay_alu instid0(VALU_DEP_1) | instskip(NEXT) | instid1(TRANS32_DEP_2)
	v_add_f32_e32 v72, v72, v91
	v_cndmask_b32_e64 v93, 0, v74, s17
	s_delay_alu instid0(VALU_DEP_2) | instskip(SKIP_3) | instid1(VALU_DEP_1)
	v_add_f32_e32 v72, v72, v90
	s_waitcnt_depctr 0xfff
	v_cndmask_b32_e64 v92, 0, v75, s18
	v_add_f32_e32 v72, v72, v93
	v_add_f32_e32 v72, v72, v92
	ds_bpermute_b32 v73, v73, v72
	s_and_saveexec_b32 s4, s3
	s_cbranch_execz .LBB824_12
; %bb.11:
	v_mul_u32_u24_e32 v70, 0x44, v69
	s_waitcnt lgkmcnt(0)
	v_add_f32_e32 v72, v72, v73
	s_delay_alu instid0(VALU_DEP_2) | instskip(NEXT) | instid1(VALU_DEP_1)
	v_lshl_add_u32 v70, v68, 2, v70
	v_add_nc_u32_e32 v70, 0x4000, v70
	ds_store_2addr_b32 v70, v71, v72 offset1:136
.LBB824_12:
	s_or_b32 exec_lo, exec_lo, s4
	v_lshlrev_b32_e32 v70, 2, v68
	s_load_b32 s36, s[0:1], 0x94
	s_waitcnt lgkmcnt(0)
	s_barrier
	buffer_gl0_inv
	v_add_nc_u32_e32 v98, 0x4000, v70
	v_cmp_eq_u32_e32 vcc_lo, 1, v69
	v_cmp_eq_u32_e64 s4, 2, v69
	v_cmp_eq_u32_e64 s5, 3, v69
	;; [unrolled: 1-line block ×3, first 2 shown]
	ds_load_2addr_b32 v[70:71], v98 offset1:17
	ds_load_2addr_b32 v[72:73], v98 offset0:34 offset1:51
	ds_load_2addr_b32 v[74:75], v98 offset0:68 offset1:85
	;; [unrolled: 1-line block ×3, first 2 shown]
	v_cmp_eq_u32_e64 s7, 5, v69
	v_cmp_eq_u32_e64 s8, 7, v69
	s_waitcnt lgkmcnt(3)
	v_max3_f32 v76, v70, 0xff7fffff, v71
	s_waitcnt lgkmcnt(2)
	s_delay_alu instid0(VALU_DEP_1) | instskip(SKIP_1) | instid1(VALU_DEP_1)
	v_max3_f32 v76, v76, v72, v73
	s_waitcnt lgkmcnt(1)
	v_max3_f32 v76, v76, v74, v75
	s_waitcnt lgkmcnt(0)
	s_delay_alu instid0(VALU_DEP_1) | instskip(NEXT) | instid1(VALU_DEP_1)
	v_max3_f32 v76, v76, v94, v95
	v_sub_f32_e32 v77, v71, v76
	ds_load_2addr_b32 v[96:97], v98 offset0:136 offset1:153
	v_sub_f32_e32 v74, v74, v76
	v_sub_f32_e32 v70, v70, v76
	;; [unrolled: 1-line block ×3, first 2 shown]
	v_dual_sub_f32 v72, v72, v76 :: v_dual_mul_f32 v77, 0x3fb8aa3b, v77
	s_delay_alu instid0(VALU_DEP_4) | instskip(NEXT) | instid1(VALU_DEP_4)
	v_mul_f32_e32 v103, 0x3fb8aa3b, v74
	v_mul_f32_e32 v99, 0x3fb8aa3b, v70
	ds_load_2addr_b32 v[70:71], v98 offset0:170 offset1:187
	v_dual_mul_f32 v101, 0x3fb8aa3b, v72 :: v_dual_mul_f32 v94, 0x3fb8aa3b, v94
	v_exp_f32_e32 v102, v77
	v_exp_f32_e32 v99, v99
	s_delay_alu instid0(VALU_DEP_1) | instskip(NEXT) | instid1(VALU_DEP_1)
	v_exp_f32_e32 v101, v101
	v_exp_f32_e32 v94, v94
	s_waitcnt lgkmcnt(1)
	s_delay_alu instid0(TRANS32_DEP_3)
	v_fma_f32 v77, v99, v96, 0
	v_sub_f32_e32 v100, v73, v76
	ds_load_2addr_b32 v[72:73], v98 offset0:204 offset1:221
	v_fmac_f32_e32 v77, v102, v97
	v_exp_f32_e32 v97, v103
	s_waitcnt lgkmcnt(1)
	s_delay_alu instid0(VALU_DEP_1)
	v_dual_fmac_f32 v77, v101, v70 :: v_dual_sub_f32 v96, v75, v76
	ds_load_2addr_b32 v[74:75], v98 offset0:238 offset1:255
	v_sub_f32_e32 v70, v95, v76
	s_waitcnt lgkmcnt(0)
	s_barrier
	v_mul_f32_e32 v96, 0x3fb8aa3b, v96
	buffer_gl0_inv
	v_exp_f32_e32 v95, v96
	v_mul_f32_e32 v100, 0x3fb8aa3b, v100
	s_delay_alu instid0(VALU_DEP_1) | instskip(SKIP_3) | instid1(VALU_DEP_2)
	v_exp_f32_e32 v100, v100
	s_waitcnt_depctr 0xfff
	v_dual_fmac_f32 v77, v100, v71 :: v_dual_mul_f32 v70, 0x3fb8aa3b, v70
	v_cndmask_b32_e32 v71, v99, v102, vcc_lo
	v_fmac_f32_e32 v77, v97, v72
	s_delay_alu instid0(VALU_DEP_3) | instskip(NEXT) | instid1(VALU_DEP_1)
	v_exp_f32_e32 v96, v70
	v_fmac_f32_e32 v77, v95, v73
	s_delay_alu instid0(VALU_DEP_1) | instskip(SKIP_2) | instid1(VALU_DEP_1)
	v_fmac_f32_e32 v77, v94, v74
	s_waitcnt_depctr 0xfff
	v_fmac_f32_e32 v77, v96, v75
	v_add_f32_e32 v74, 0x358637bd, v77
	s_delay_alu instid0(VALU_DEP_1) | instskip(SKIP_1) | instid1(VALU_DEP_2)
	v_div_scale_f32 v98, null, v74, v74, 1.0
	v_div_scale_f32 v99, vcc_lo, 1.0, v74, 1.0
	v_rcp_f32_e32 v103, v98
	s_waitcnt_depctr 0xfff
	v_fma_f32 v70, -v98, v103, 1.0
	s_delay_alu instid0(VALU_DEP_1) | instskip(SKIP_2) | instid1(VALU_DEP_2)
	v_fmac_f32_e32 v103, v70, v103
	v_cndmask_b32_e64 v70, v71, v101, s4
	v_cmp_eq_u32_e64 s4, 6, v69
	v_cndmask_b32_e64 v71, v70, v100, s5
	s_delay_alu instid0(VALU_DEP_4) | instskip(NEXT) | instid1(VALU_DEP_2)
	v_dual_mul_f32 v101, v99, v103 :: v_dual_lshlrev_b32 v70, 2, v66
	v_cndmask_b32_e64 v71, v71, v97, s6
	s_delay_alu instid0(VALU_DEP_2) | instskip(NEXT) | instid1(VALU_DEP_3)
	v_or_b32_e32 v72, 1, v70
	v_fma_f32 v100, -v98, v101, v99
	v_cmp_eq_u32_e64 s5, 1, v70
	v_cmp_eq_u32_e64 s6, 2, v70
	v_cndmask_b32_e64 v95, v71, v95, s7
	v_or_b32_e32 v71, 3, v70
	v_fmac_f32_e32 v101, v100, v103
	v_cmp_eq_u32_e64 s10, 1, v72
	v_cmp_eq_u32_e64 s13, 2, v72
	v_cndmask_b32_e64 v94, v95, v94, s4
	v_cmp_eq_u32_e64 s12, 1, v71
	v_fma_f32 v97, -v98, v101, v99
	v_cmp_eq_u32_e64 s17, 2, v71
	v_cmp_eq_u32_e64 s15, 3, v72
	v_cndmask_b32_e64 v94, v94, v96, s8
	v_cmp_eq_u32_e64 s19, 3, v71
	v_div_fmas_f32 v95, v97, v103, v101
	v_cmp_eq_u32_e32 vcc_lo, 3, v70
	v_cmp_eq_u32_e64 s4, 4, v70
	v_cmp_eq_u32_e64 s20, 4, v72
	;; [unrolled: 1-line block ×3, first 2 shown]
	v_div_fixup_f32 v95, v95, v74, 1.0
	v_lshlrev_b32_e32 v73, 6, v68
	v_cmp_eq_u32_e64 s7, 5, v70
	v_cmp_eq_u32_e64 s21, 5, v72
	;; [unrolled: 1-line block ×3, first 2 shown]
	v_mul_f32_e32 v102, v94, v95
	v_lshl_or_b32 v75, v69, 11, v73
	v_or_b32_e32 v69, 2, v70
	v_cmp_eq_u32_e64 s26, 6, v72
	v_cmp_eq_u32_e64 s28, 6, v71
	v_fma_mixlo_f16 v94, v102, v79, 0
	v_fma_mixlo_f16 v95, v102, v81, 0
	;; [unrolled: 1-line block ×8, first 2 shown]
	v_lshl_or_b32 v74, v66, 4, v75
	v_fma_mixhi_f16 v94, v102, v78, 0
	v_fma_mixhi_f16 v95, v102, v80, 0
	;; [unrolled: 1-line block ×8, first 2 shown]
	ds_store_b128 v74, v[94:97]
	ds_store_b128 v74, v[98:101] offset:1024
	s_waitcnt lgkmcnt(0)
	s_barrier
	buffer_gl0_inv
	ds_load_b128 v[78:81], v75
	ds_load_b128 v[82:85], v75 offset:16
	ds_load_b128 v[86:89], v75 offset:1024
	;; [unrolled: 1-line block ×3, first 2 shown]
	v_cmp_eq_u32_e64 s11, 1, v69
	v_cmp_eq_u32_e64 s16, 2, v69
	;; [unrolled: 1-line block ×11, first 2 shown]
	s_waitcnt lgkmcnt(3)
	v_lshrrev_b32_e32 v94, 16, v78
	s_waitcnt lgkmcnt(2)
	v_lshrrev_b32_e32 v98, 16, v82
	;; [unrolled: 2-line block ×4, first 2 shown]
	v_lshrrev_b32_e32 v95, 16, v79
	v_cndmask_b32_e64 v110, v78, v94, s5
	v_cndmask_b32_e64 v111, v82, v98, s5
	;; [unrolled: 1-line block ×8, first 2 shown]
	v_lshrrev_b32_e32 v99, 16, v83
	v_cndmask_b32_e64 v94, v86, v102, s5
	v_cndmask_b32_e64 v98, v90, v106, s5
	;; [unrolled: 1-line block ×15, first 2 shown]
	v_lshrrev_b32_e32 v103, 16, v87
	v_lshrrev_b32_e32 v107, 16, v91
	v_cndmask_b32_e64 v113, v115, v83, s16
	v_cndmask_b32_e64 v82, v94, v87, s6
	;; [unrolled: 1-line block ×7, first 2 shown]
	v_cndmask_b32_e32 v90, v102, v95, vcc_lo
	v_cndmask_b32_e32 v102, v106, v99, vcc_lo
	v_cndmask_b32_e64 v106, v110, v95, s15
	v_cndmask_b32_e64 v110, v111, v99, s15
	;; [unrolled: 1-line block ×4, first 2 shown]
	v_lshrrev_b32_e32 v96, 16, v80
	v_lshrrev_b32_e32 v100, 16, v84
	v_cndmask_b32_e64 v111, v112, v95, s18
	v_cndmask_b32_e64 v112, v113, v99, s18
	v_cndmask_b32_e32 v82, v82, v103, vcc_lo
	v_cndmask_b32_e32 v83, v83, v107, vcc_lo
	v_cndmask_b32_e64 v94, v94, v103, s15
	v_cndmask_b32_e64 v90, v90, v80, s4
	;; [unrolled: 1-line block ×7, first 2 shown]
	v_lshrrev_b32_e32 v104, 16, v88
	v_cndmask_b32_e64 v106, v111, v80, s22
	v_cndmask_b32_e64 v110, v112, v84, s22
	;; [unrolled: 1-line block ×11, first 2 shown]
	v_lshrrev_b32_e32 v97, 16, v81
	v_lshrrev_b32_e32 v101, 16, v85
	v_cndmask_b32_e64 v99, v106, v96, s24
	v_cndmask_b32_e64 v102, v110, v100, s24
	;; [unrolled: 1-line block ×7, first 2 shown]
	v_lshrrev_b32_e32 v105, 16, v89
	v_cndmask_b32_e64 v80, v80, v104, s7
	v_cndmask_b32_e64 v84, v84, v81, s8
	;; [unrolled: 1-line block ×16, first 2 shown]
	v_perm_b32 v81, v79, v78, 0x5040100
	v_perm_b32 v79, v95, v85, 0x5040100
	v_cndmask_b32_e64 v78, v119, v91, s16
	v_cndmask_b32_e64 v85, v117, v91, s13
	;; [unrolled: 1-line block ×3, first 2 shown]
	v_perm_b32 v80, v94, v90, 0x5040100
	v_cndmask_b32_e64 v90, v98, v103, s18
	v_cndmask_b32_e64 v86, v86, v103, s19
	;; [unrolled: 1-line block ×5, first 2 shown]
	v_lshrrev_b32_e32 v108, 16, v92
	v_cndmask_b32_e64 v90, v90, v88, s22
	v_cndmask_b32_e64 v86, v86, v88, s23
	;; [unrolled: 1-line block ×11, first 2 shown]
	v_lshrrev_b32_e32 v109, 16, v93
	v_cndmask_b32_e64 v82, v82, v93, s8
	v_cndmask_b32_e64 v88, v88, v89, s27
	;; [unrolled: 1-line block ×12, first 2 shown]
	v_perm_b32 v78, v84, v83, 0x5040100
	v_perm_b32 v85, v87, v86, 0x5040100
	;; [unrolled: 1-line block ×5, first 2 shown]
	s_mul_i32 s9, s35, 15
	s_mov_b32 s4, exec_lo
	ds_store_b128 v74, v[78:81]
	ds_store_b128 v74, v[82:85] offset:1024
	v_cmpx_gt_u32_e32 15, v0
	s_cbranch_execz .LBB824_14
; %bb.13:
	s_mul_i32 s5, s9, s34
	s_load_b128 s[16:19], s[0:1], 0x58
	v_add3_u32 v68, s5, s33, v68
	s_delay_alu instid0(VALU_DEP_1) | instskip(NEXT) | instid1(VALU_DEP_1)
	v_mad_u64_u32 v[78:79], null, v68, s36, s[14:15]
	v_ashrrev_i32_e32 v79, 31, v78
	s_delay_alu instid0(VALU_DEP_1) | instskip(SKIP_1) | instid1(VALU_DEP_1)
	v_lshlrev_b64 v[78:79], 2, v[78:79]
	s_waitcnt lgkmcnt(0)
	v_add_co_u32 v80, vcc_lo, s18, v78
	s_delay_alu instid0(VALU_DEP_2)
	v_add_co_ci_u32_e32 v81, vcc_lo, s19, v79, vcc_lo
	v_add_co_u32 v78, vcc_lo, s16, v78
	v_add_co_ci_u32_e32 v79, vcc_lo, s17, v79, vcc_lo
	global_store_b32 v[80:81], v76, off
	global_store_b32 v[78:79], v77, off
.LBB824_14:
	s_or_b32 exec_lo, exec_lo, s4
	s_waitcnt lgkmcnt(0)
	s_waitcnt_vscnt null, 0x0
	s_barrier
	buffer_gl0_inv
	ds_load_b128 v[84:87], v73
	ds_load_b128 v[88:91], v73 offset:16
	ds_load_b128 v[96:99], v73 offset:2064
	;; [unrolled: 1-line block ×5, first 2 shown]
	v_cmp_eq_u32_e32 vcc_lo, 1, v70
	v_mov_b32_e32 v76, 0
	ds_load_b128 v[112:115], v73 offset:6160
	ds_load_b128 v[108:111], v73 offset:6144
	;; [unrolled: 1-line block ×4, first 2 shown]
	v_cmp_eq_u32_e64 s5, 1, v69
	v_cmp_eq_u32_e64 s4, 1, v72
	;; [unrolled: 1-line block ×3, first 2 shown]
	v_mov_b32_e32 v77, v76
	v_mov_b32_e32 v78, v76
	;; [unrolled: 1-line block ×7, first 2 shown]
	v_cmp_eq_u32_e64 s7, 3, v72
	v_cmp_eq_u32_e64 s8, 7, v72
	s_waitcnt lgkmcnt(8)
	s_delay_alu instid0(VALU_DEP_3)
	v_wmma_f32_16x16x16_f16 v[76:83], v[49:56], v[84:91], v[76:83]
	ds_load_b128 v[53:56], v73 offset:10256
	ds_load_b128 v[49:52], v73 offset:10240
	s_waitcnt lgkmcnt(8)
	v_wmma_f32_16x16x16_f16 v[76:83], v[41:48], v[92:99], v[76:83]
	ds_load_b128 v[45:48], v73 offset:12304
	ds_load_b128 v[41:44], v73 offset:12288
	s_waitcnt lgkmcnt(8)
	;; [unrolled: 4-line block ×3, first 2 shown]
	s_barrier
	buffer_gl0_inv
	v_wmma_f32_16x16x16_f16 v[76:83], v[1:8], v[108:115], v[76:83]
	s_delay_alu instid0(VALU_DEP_1) | instskip(NEXT) | instid1(VALU_DEP_1)
	v_wmma_f32_16x16x16_f16 v[76:83], v[9:16], v[116:123], v[76:83]
	v_wmma_f32_16x16x16_f16 v[76:83], v[17:24], v[49:56], v[76:83]
	s_delay_alu instid0(VALU_DEP_1) | instskip(NEXT) | instid1(VALU_DEP_1)
	v_wmma_f32_16x16x16_f16 v[76:83], v[25:32], v[41:48], v[76:83]
	v_wmma_f32_16x16x16_f16 v[76:83], v[57:64], v[33:40], v[76:83]
	s_delay_alu instid0(VALU_DEP_1) | instskip(NEXT) | instid1(VALU_DEP_2)
	v_cvt_f16_f32_e32 v1, v76
	v_cvt_f16_f32_e32 v2, v77
	s_delay_alu instid0(VALU_DEP_3) | instskip(NEXT) | instid1(VALU_DEP_4)
	v_cvt_f16_f32_e32 v3, v78
	v_cvt_f16_f32_e32 v4, v79
	;; [unrolled: 1-line block ×6, first 2 shown]
	v_pack_b32_f16 v1, v1, v2
	v_pack_b32_f16 v2, v3, v4
	;; [unrolled: 1-line block ×3, first 2 shown]
	s_delay_alu instid0(VALU_DEP_4)
	v_pack_b32_f16 v4, v7, v8
	ds_store_b128 v74, v[1:4]
	s_waitcnt lgkmcnt(0)
	s_barrier
	buffer_gl0_inv
	ds_load_b128 v[1:4], v75
	ds_load_b128 v[5:8], v75 offset:16
	s_waitcnt lgkmcnt(1)
	v_lshrrev_b32_e32 v9, 16, v1
	s_waitcnt lgkmcnt(0)
	v_lshrrev_b32_e32 v13, 16, v5
	v_lshrrev_b32_e32 v10, 16, v2
	;; [unrolled: 1-line block ×4, first 2 shown]
	v_cndmask_b32_e32 v17, v1, v9, vcc_lo
	v_cndmask_b32_e32 v18, v5, v13, vcc_lo
	v_cndmask_b32_e64 v21, v1, v9, s5
	v_cmp_eq_u32_e32 vcc_lo, 1, v71
	v_cndmask_b32_e64 v22, v5, v13, s5
	v_cmp_eq_u32_e64 s5, 2, v70
	v_cndmask_b32_e64 v19, v1, v9, s4
	v_cndmask_b32_e64 v20, v5, v13, s4
	v_cndmask_b32_e32 v1, v1, v9, vcc_lo
	v_cmp_eq_u32_e64 s4, 2, v71
	v_cndmask_b32_e32 v5, v5, v13, vcc_lo
	v_cndmask_b32_e64 v9, v17, v2, s5
	v_cmp_eq_u32_e32 vcc_lo, 3, v70
	v_cndmask_b32_e64 v13, v18, v6, s5
	v_cmp_eq_u32_e64 s5, 2, v69
	v_cndmask_b32_e64 v17, v19, v2, s6
	v_cndmask_b32_e64 v18, v20, v6, s6
	v_cmp_eq_u32_e64 s6, 3, v69
	v_cndmask_b32_e64 v1, v1, v2, s4
	v_cndmask_b32_e64 v19, v21, v2, s5
	;; [unrolled: 1-line block ×4, first 2 shown]
	v_cndmask_b32_e32 v5, v9, v10, vcc_lo
	v_cndmask_b32_e32 v6, v13, v14, vcc_lo
	v_cmp_eq_u32_e32 vcc_lo, 3, v71
	v_cndmask_b32_e64 v9, v17, v10, s7
	v_cndmask_b32_e64 v13, v18, v14, s7
	;; [unrolled: 1-line block ×3, first 2 shown]
	v_cmp_eq_u32_e64 s5, 4, v70
	v_cndmask_b32_e32 v1, v1, v10, vcc_lo
	v_cndmask_b32_e32 v2, v2, v14, vcc_lo
	v_cmp_eq_u32_e32 vcc_lo, 4, v72
	v_lshrrev_b32_e32 v15, 16, v7
	v_lshrrev_b32_e32 v16, 16, v8
	v_cndmask_b32_e64 v17, v19, v10, s6
	v_cmp_eq_u32_e64 s4, 4, v71
	v_cndmask_b32_e64 v5, v5, v3, s5
	v_cndmask_b32_e64 v6, v6, v7, s5
	v_cndmask_b32_e32 v9, v9, v3, vcc_lo
	v_cmp_eq_u32_e64 s5, 5, v72
	v_cndmask_b32_e32 v10, v13, v7, vcc_lo
	v_cmp_eq_u32_e32 vcc_lo, 4, v69
	v_cmp_eq_u32_e64 s6, 5, v70
	v_cndmask_b32_e64 v2, v2, v7, s4
	v_cndmask_b32_e64 v9, v9, v11, s5
	;; [unrolled: 1-line block ×3, first 2 shown]
	v_cndmask_b32_e32 v13, v17, v3, vcc_lo
	v_cmp_eq_u32_e64 s5, 5, v69
	v_cndmask_b32_e32 v14, v18, v7, vcc_lo
	v_cndmask_b32_e64 v1, v1, v3, s4
	v_cmp_eq_u32_e32 vcc_lo, 5, v71
	v_lshrrev_b32_e32 v12, 16, v4
	v_cndmask_b32_e64 v13, v13, v11, s5
	v_cndmask_b32_e64 v3, v14, v15, s5
	v_cmp_eq_u32_e64 s5, 6, v71
	v_cndmask_b32_e32 v1, v1, v11, vcc_lo
	v_cndmask_b32_e64 v5, v5, v11, s6
	v_cmp_eq_u32_e64 s7, 6, v70
	v_cndmask_b32_e64 v6, v6, v15, s6
	v_cmp_eq_u32_e64 s6, 6, v72
	v_cmp_eq_u32_e64 s4, 6, v69
	v_cndmask_b32_e64 v1, v1, v4, s5
	v_cndmask_b32_e32 v2, v2, v15, vcc_lo
	v_cmp_eq_u32_e32 vcc_lo, 7, v71
	v_cndmask_b32_e64 v5, v5, v4, s7
	v_cndmask_b32_e64 v9, v9, v4, s6
	;; [unrolled: 1-line block ×3, first 2 shown]
	v_cmp_eq_u32_e64 s7, 7, v70
	v_cndmask_b32_e32 v1, v1, v12, vcc_lo
	v_cndmask_b32_e64 v7, v13, v4, s4
	v_cndmask_b32_e64 v3, v3, v8, s4
	;; [unrolled: 1-line block ×3, first 2 shown]
	v_cmp_eq_u32_e64 s4, 7, v69
	v_cndmask_b32_e64 v4, v10, v8, s6
	v_cndmask_b32_e64 v5, v5, v12, s7
	;; [unrolled: 1-line block ×3, first 2 shown]
	v_cndmask_b32_e32 v2, v2, v16, vcc_lo
	v_cndmask_b32_e64 v7, v7, v12, s4
	v_cndmask_b32_e64 v3, v3, v16, s4
	;; [unrolled: 1-line block ×4, first 2 shown]
	v_cmp_gt_u32_e32 vcc_lo, 32, v0
	v_perm_b32 v4, v2, v1, 0x5040100
	v_perm_b32 v3, v3, v7, 0x5040100
	v_perm_b32 v2, v8, v9, 0x5040100
	v_perm_b32 v1, v6, v5, 0x5040100
	s_and_b32 s2, vcc_lo, s2
	ds_store_b128 v74, v[1:4]
	s_waitcnt lgkmcnt(0)
	s_barrier
	buffer_gl0_inv
	s_and_saveexec_b32 s4, s2
	s_cbranch_execz .LBB824_2
; %bb.15:
	s_load_b64 s[4:5], s[0:1], 0x68
	v_add_nc_u32_e32 v20, s33, v66
	v_lshlrev_b32_e32 v0, 10, v0
	v_lshlrev_b32_e32 v1, 4, v67
	s_lshl_b32 s0, s36, 6
	s_delay_alu instid0(SALU_CYCLE_1)
	s_mul_i32 s1, s0, s34
	v_add_nc_u32_e32 v2, 2, v20
	s_mul_i32 s6, s1, s9
	v_and_or_b32 v0, 0x3800, v0, v1
	v_mul_lo_u32 v1, v20, s0
	s_ashr_i32 s7, s6, 31
	v_mul_lo_u32 v11, v2, s0
	s_lshl_b64 s[6:7], s[6:7], 1
	v_add_nc_u32_e32 v3, 4, v20
	v_lshl_or_b32 v21, v66, 6, v0
	v_add_nc_u32_e32 v16, 6, v20
	v_ashrrev_i32_e32 v2, 31, v1
	s_delay_alu instid0(VALU_DEP_4)
	v_mul_lo_u32 v13, v3, s0
	s_waitcnt lgkmcnt(0)
	s_add_u32 s1, s4, s6
	s_addc_u32 s2, s5, s7
	s_lshl_b32 s4, s14, 6
	ds_load_b128 v[3:6], v21
	ds_load_b128 v[7:10], v21 offset:128
	s_ashr_i32 s5, s4, 31
	v_ashrrev_i32_e32 v12, 31, v11
	s_lshl_b64 s[4:5], s[4:5], 1
	v_lshlrev_b64 v[14:15], 1, v[1:2]
	s_add_u32 s1, s1, s4
	s_addc_u32 s2, s2, s5
	v_add_co_u32 v1, s1, s1, v65
	s_delay_alu instid0(VALU_DEP_1) | instskip(SKIP_1) | instid1(VALU_DEP_3)
	v_add_co_ci_u32_e64 v2, null, s2, 0, s1
	v_lshlrev_b64 v[11:12], 1, v[11:12]
	v_add_co_u32 v18, vcc_lo, v1, v14
	v_mul_lo_u32 v16, v16, s0
	s_delay_alu instid0(VALU_DEP_4) | instskip(NEXT) | instid1(VALU_DEP_4)
	v_add_co_ci_u32_e32 v19, vcc_lo, v2, v15, vcc_lo
	v_add_co_u32 v11, vcc_lo, v1, v11
	v_ashrrev_i32_e32 v14, 31, v13
	v_add_co_ci_u32_e32 v12, vcc_lo, v2, v12, vcc_lo
	v_add_nc_u32_e32 v15, 8, v20
	v_ashrrev_i32_e32 v17, 31, v16
	s_waitcnt lgkmcnt(1)
	global_store_b128 v[18:19], v[3:6], off
	v_lshlrev_b64 v[3:4], 1, v[13:14]
	s_waitcnt lgkmcnt(0)
	global_store_b128 v[11:12], v[7:10], off
	v_mul_lo_u32 v11, v15, s0
	v_add_nc_u32_e32 v7, 10, v20
	v_lshlrev_b64 v[5:6], 1, v[16:17]
	v_add_co_u32 v23, vcc_lo, v1, v3
	v_add_nc_u32_e32 v3, 12, v20
	s_delay_alu instid0(VALU_DEP_4)
	v_mul_lo_u32 v25, v7, s0
	v_ashrrev_i32_e32 v12, 31, v11
	v_add_co_ci_u32_e32 v24, vcc_lo, v2, v4, vcc_lo
	v_add_co_u32 v27, vcc_lo, v1, v5
	v_mul_lo_u32 v29, v3, s0
	v_add_co_ci_u32_e32 v28, vcc_lo, v2, v6, vcc_lo
	ds_load_b128 v[3:6], v21 offset:256
	ds_load_b128 v[7:10], v21 offset:384
	v_lshlrev_b64 v[31:32], 1, v[11:12]
	ds_load_b128 v[11:14], v21 offset:512
	ds_load_b128 v[15:18], v21 offset:640
	;; [unrolled: 1-line block ×3, first 2 shown]
	v_ashrrev_i32_e32 v26, 31, v25
	v_ashrrev_i32_e32 v30, 31, v29
	v_add_co_u32 v31, vcc_lo, v1, v31
	s_delay_alu instid0(VALU_DEP_3) | instskip(NEXT) | instid1(VALU_DEP_3)
	v_lshlrev_b64 v[25:26], 1, v[25:26]
	v_lshlrev_b64 v[29:30], 1, v[29:30]
	v_add_co_ci_u32_e32 v32, vcc_lo, v2, v32, vcc_lo
	s_delay_alu instid0(VALU_DEP_3) | instskip(NEXT) | instid1(VALU_DEP_4)
	v_add_co_u32 v25, vcc_lo, v1, v25
	v_add_co_ci_u32_e32 v26, vcc_lo, v2, v26, vcc_lo
	s_delay_alu instid0(VALU_DEP_4)
	v_add_co_u32 v29, vcc_lo, v1, v29
	v_add_co_ci_u32_e32 v30, vcc_lo, v2, v30, vcc_lo
	s_waitcnt lgkmcnt(4)
	global_store_b128 v[23:24], v[3:6], off
	s_waitcnt lgkmcnt(3)
	global_store_b128 v[27:28], v[7:10], off
	;; [unrolled: 2-line block ×5, first 2 shown]
	s_and_b32 exec_lo, exec_lo, s3
	s_cbranch_execz .LBB824_2
; %bb.16:
	ds_load_b128 v[3:6], v0 offset:896
	s_add_i32 s1, s33, 14
	s_delay_alu instid0(SALU_CYCLE_1) | instskip(NEXT) | instid1(SALU_CYCLE_1)
	s_mul_i32 s0, s1, s0
	s_ashr_i32 s1, s0, 31
	s_delay_alu instid0(SALU_CYCLE_1) | instskip(NEXT) | instid1(SALU_CYCLE_1)
	s_lshl_b64 s[0:1], s[0:1], 1
	v_add_co_u32 v0, vcc_lo, v1, s0
	v_add_co_ci_u32_e32 v1, vcc_lo, s1, v2, vcc_lo
	s_waitcnt lgkmcnt(0)
	global_store_b128 v[0:1], v[3:6], off
	s_nop 0
	s_sendmsg sendmsg(MSG_DEALLOC_VGPRS)
	s_endpgm
	.section	.rodata,"a",@progbits
	.p2align	6, 0x0
	.amdhsa_kernel _Z39paged_attention_ll4mi_QKV_mfma16_kernelIDF16_hLN4vllm18Fp8KVCacheDataTypeE1EDF16_Li16ELi64ELi256ELb1ELi15EL8MFMAType1EEvPKT_PKT0_S8_ifPKiSA_SA_iPKfiiiPfSD_PS3_PT2_iSC_SC_
		.amdhsa_group_segment_fixed_size 17472
		.amdhsa_private_segment_fixed_size 0
		.amdhsa_kernarg_size 400
		.amdhsa_user_sgpr_count 13
		.amdhsa_user_sgpr_dispatch_ptr 0
		.amdhsa_user_sgpr_queue_ptr 0
		.amdhsa_user_sgpr_kernarg_segment_ptr 1
		.amdhsa_user_sgpr_dispatch_id 0
		.amdhsa_user_sgpr_private_segment_size 0
		.amdhsa_wavefront_size32 1
		.amdhsa_uses_dynamic_stack 0
		.amdhsa_enable_private_segment 0
		.amdhsa_system_sgpr_workgroup_id_x 1
		.amdhsa_system_sgpr_workgroup_id_y 1
		.amdhsa_system_sgpr_workgroup_id_z 1
		.amdhsa_system_sgpr_workgroup_info 0
		.amdhsa_system_vgpr_workitem_id 0
		.amdhsa_next_free_vgpr 146
		.amdhsa_next_free_sgpr 37
		.amdhsa_reserve_vcc 1
		.amdhsa_float_round_mode_32 0
		.amdhsa_float_round_mode_16_64 0
		.amdhsa_float_denorm_mode_32 3
		.amdhsa_float_denorm_mode_16_64 3
		.amdhsa_dx10_clamp 1
		.amdhsa_ieee_mode 1
		.amdhsa_fp16_overflow 0
		.amdhsa_workgroup_processor_mode 1
		.amdhsa_memory_ordered 1
		.amdhsa_forward_progress 0
		.amdhsa_shared_vgpr_count 0
		.amdhsa_exception_fp_ieee_invalid_op 0
		.amdhsa_exception_fp_denorm_src 0
		.amdhsa_exception_fp_ieee_div_zero 0
		.amdhsa_exception_fp_ieee_overflow 0
		.amdhsa_exception_fp_ieee_underflow 0
		.amdhsa_exception_fp_ieee_inexact 0
		.amdhsa_exception_int_div_zero 0
	.end_amdhsa_kernel
	.section	.text._Z39paged_attention_ll4mi_QKV_mfma16_kernelIDF16_hLN4vllm18Fp8KVCacheDataTypeE1EDF16_Li16ELi64ELi256ELb1ELi15EL8MFMAType1EEvPKT_PKT0_S8_ifPKiSA_SA_iPKfiiiPfSD_PS3_PT2_iSC_SC_,"axG",@progbits,_Z39paged_attention_ll4mi_QKV_mfma16_kernelIDF16_hLN4vllm18Fp8KVCacheDataTypeE1EDF16_Li16ELi64ELi256ELb1ELi15EL8MFMAType1EEvPKT_PKT0_S8_ifPKiSA_SA_iPKfiiiPfSD_PS3_PT2_iSC_SC_,comdat
.Lfunc_end824:
	.size	_Z39paged_attention_ll4mi_QKV_mfma16_kernelIDF16_hLN4vllm18Fp8KVCacheDataTypeE1EDF16_Li16ELi64ELi256ELb1ELi15EL8MFMAType1EEvPKT_PKT0_S8_ifPKiSA_SA_iPKfiiiPfSD_PS3_PT2_iSC_SC_, .Lfunc_end824-_Z39paged_attention_ll4mi_QKV_mfma16_kernelIDF16_hLN4vllm18Fp8KVCacheDataTypeE1EDF16_Li16ELi64ELi256ELb1ELi15EL8MFMAType1EEvPKT_PKT0_S8_ifPKiSA_SA_iPKfiiiPfSD_PS3_PT2_iSC_SC_
                                        ; -- End function
	.section	.AMDGPU.csdata,"",@progbits
; Kernel info:
; codeLenInByte = 6752
; NumSgprs: 39
; NumVgprs: 146
; ScratchSize: 0
; MemoryBound: 0
; FloatMode: 240
; IeeeMode: 1
; LDSByteSize: 17472 bytes/workgroup (compile time only)
; SGPRBlocks: 4
; VGPRBlocks: 18
; NumSGPRsForWavesPerEU: 39
; NumVGPRsForWavesPerEU: 146
; Occupancy: 9
; WaveLimiterHint : 1
; COMPUTE_PGM_RSRC2:SCRATCH_EN: 0
; COMPUTE_PGM_RSRC2:USER_SGPR: 13
; COMPUTE_PGM_RSRC2:TRAP_HANDLER: 0
; COMPUTE_PGM_RSRC2:TGID_X_EN: 1
; COMPUTE_PGM_RSRC2:TGID_Y_EN: 1
; COMPUTE_PGM_RSRC2:TGID_Z_EN: 1
; COMPUTE_PGM_RSRC2:TIDIG_COMP_CNT: 0
	.section	.text._Z39paged_attention_ll4mi_QKV_mfma16_kernelIDF16_hLN4vllm18Fp8KVCacheDataTypeE1EDF16_Li16ELi64ELi256ELb1ELi16EL8MFMAType1EEvPKT_PKT0_S8_ifPKiSA_SA_iPKfiiiPfSD_PS3_PT2_iSC_SC_,"axG",@progbits,_Z39paged_attention_ll4mi_QKV_mfma16_kernelIDF16_hLN4vllm18Fp8KVCacheDataTypeE1EDF16_Li16ELi64ELi256ELb1ELi16EL8MFMAType1EEvPKT_PKT0_S8_ifPKiSA_SA_iPKfiiiPfSD_PS3_PT2_iSC_SC_,comdat
	.protected	_Z39paged_attention_ll4mi_QKV_mfma16_kernelIDF16_hLN4vllm18Fp8KVCacheDataTypeE1EDF16_Li16ELi64ELi256ELb1ELi16EL8MFMAType1EEvPKT_PKT0_S8_ifPKiSA_SA_iPKfiiiPfSD_PS3_PT2_iSC_SC_ ; -- Begin function _Z39paged_attention_ll4mi_QKV_mfma16_kernelIDF16_hLN4vllm18Fp8KVCacheDataTypeE1EDF16_Li16ELi64ELi256ELb1ELi16EL8MFMAType1EEvPKT_PKT0_S8_ifPKiSA_SA_iPKfiiiPfSD_PS3_PT2_iSC_SC_
	.globl	_Z39paged_attention_ll4mi_QKV_mfma16_kernelIDF16_hLN4vllm18Fp8KVCacheDataTypeE1EDF16_Li16ELi64ELi256ELb1ELi16EL8MFMAType1EEvPKT_PKT0_S8_ifPKiSA_SA_iPKfiiiPfSD_PS3_PT2_iSC_SC_
	.p2align	8
	.type	_Z39paged_attention_ll4mi_QKV_mfma16_kernelIDF16_hLN4vllm18Fp8KVCacheDataTypeE1EDF16_Li16ELi64ELi256ELb1ELi16EL8MFMAType1EEvPKT_PKT0_S8_ifPKiSA_SA_iPKfiiiPfSD_PS3_PT2_iSC_SC_,@function
_Z39paged_attention_ll4mi_QKV_mfma16_kernelIDF16_hLN4vllm18Fp8KVCacheDataTypeE1EDF16_Li16ELi64ELi256ELb1ELi16EL8MFMAType1EEvPKT_PKT0_S8_ifPKiSA_SA_iPKfiiiPfSD_PS3_PT2_iSC_SC_: ; @_Z39paged_attention_ll4mi_QKV_mfma16_kernelIDF16_hLN4vllm18Fp8KVCacheDataTypeE1EDF16_Li16ELi64ELi256ELb1ELi16EL8MFMAType1EEvPKT_PKT0_S8_ifPKiSA_SA_iPKfiiiPfSD_PS3_PT2_iSC_SC_
; %bb.0:
	s_load_b64 s[2:3], s[0:1], 0x30
	s_mov_b32 s34, s13
	s_waitcnt lgkmcnt(0)
	s_cmp_lg_u64 s[2:3], 0
	s_cselect_b32 s8, -1, 0
	s_ashr_i32 s35, s13, 31
	s_cmp_eq_u64 s[2:3], 0
	s_cbranch_scc1 .LBB825_3
; %bb.1:
	s_lshl_b64 s[4:5], s[34:35], 2
	s_delay_alu instid0(SALU_CYCLE_1) | instskip(SKIP_4) | instid1(SALU_CYCLE_1)
	s_add_u32 s4, s2, s4
	s_addc_u32 s5, s3, s5
	s_load_b64 s[4:5], s[4:5], 0x0
	s_waitcnt lgkmcnt(0)
	s_sub_i32 s4, s5, s4
	s_cmp_eq_u32 s4, 1
	s_cselect_b32 s4, -1, 0
	s_delay_alu instid0(SALU_CYCLE_1)
	s_and_not1_b32 vcc_lo, exec_lo, s4
	s_cbranch_vccz .LBB825_4
.LBB825_2:
	s_endpgm
.LBB825_3:
.LBB825_4:
	s_load_b64 s[4:5], s[0:1], 0x28
	s_lshl_b64 s[6:7], s[34:35], 2
	s_waitcnt lgkmcnt(0)
	s_add_u32 s4, s4, s6
	s_addc_u32 s5, s5, s7
	s_lshl_b32 s12, s14, 8
	s_load_b32 s24, s[4:5], 0x0
	s_waitcnt lgkmcnt(0)
	s_cmp_ge_i32 s12, s24
	s_cbranch_scc1 .LBB825_2
; %bb.5:
	s_clause 0x1
	s_load_b128 s[20:23], s[0:1], 0x8
	s_load_b64 s[4:5], s[0:1], 0x20
	s_and_not1_b32 vcc_lo, exec_lo, s8
	s_cbranch_vccnz .LBB825_7
; %bb.6:
	s_add_u32 s2, s2, s6
	s_addc_u32 s3, s3, s7
	s_load_b32 s3, s[2:3], 0x0
	s_branch .LBB825_8
.LBB825_7:
	s_mov_b32 s3, s34
.LBB825_8:
	s_load_b128 s[16:19], s[0:1], 0x48
	v_and_b32_e32 v70, 15, v0
	v_cmp_gt_u32_e32 vcc_lo, 0x100, v0
	v_lshrrev_b32_e32 v69, 5, v0
	v_and_b32_e32 v71, 31, v0
	v_and_b32_e32 v67, 1, v0
	v_lshlrev_b32_e32 v1, 3, v70
	v_cmp_gt_u32_e64 s2, 8, v70
	v_bfe_u32 v66, v0, 4, 1
	s_lshl_b32 s31, s15, 4
	s_delay_alu instid0(VALU_DEP_3) | instskip(NEXT) | instid1(VALU_DEP_3)
	v_lshlrev_b32_e32 v65, 1, v1
	s_and_b32 s7, vcc_lo, s2
	s_delay_alu instid0(SALU_CYCLE_1)
	s_and_saveexec_b32 s6, s7
	s_cbranch_execz .LBB825_10
; %bb.9:
	v_lshl_or_b32 v5, v69, 1, v66
	s_load_b64 s[8:9], s[0:1], 0x0
	s_waitcnt lgkmcnt(0)
	s_mul_hi_i32 s11, s3, s16
	s_mul_i32 s10, s3, s16
	v_lshlrev_b32_e32 v6, 10, v70
	v_or_b32_e32 v1, s31, v5
	s_lshl_b64 s[10:11], s[10:11], 1
	v_lshlrev_b32_e32 v5, 6, v5
	v_lshlrev_b32_e32 v7, 10, v67
	v_and_b32_e32 v6, 0x3800, v6
	v_lshlrev_b32_e32 v1, 6, v1
	s_delay_alu instid0(VALU_DEP_2) | instskip(NEXT) | instid1(VALU_DEP_2)
	v_or3_b32 v5, v6, v7, v5
	v_ashrrev_i32_e32 v2, 31, v1
	s_delay_alu instid0(VALU_DEP_1) | instskip(SKIP_2) | instid1(VALU_DEP_1)
	v_lshlrev_b64 v[1:2], 1, v[1:2]
	s_add_u32 s3, s8, s10
	s_addc_u32 s7, s9, s11
	v_add_co_u32 v1, vcc_lo, s3, v1
	s_delay_alu instid0(VALU_DEP_2) | instskip(NEXT) | instid1(VALU_DEP_2)
	v_add_co_ci_u32_e32 v2, vcc_lo, s7, v2, vcc_lo
	v_add_co_u32 v1, vcc_lo, v1, v65
	s_delay_alu instid0(VALU_DEP_2)
	v_add_co_ci_u32_e32 v2, vcc_lo, 0, v2, vcc_lo
	global_load_b128 v[1:4], v[1:2], off
	s_waitcnt vmcnt(0)
	ds_store_b128 v5, v[1:4]
.LBB825_10:
	s_or_b32 exec_lo, exec_lo, s6
	v_and_b32_e32 v1, 0xef, v0
	s_waitcnt lgkmcnt(0)
	s_add_i32 s3, s24, 15
	s_clause 0x1
	s_load_b32 s6, s[0:1], 0x38
	s_load_b32 s33, s[0:1], 0x98
	s_ashr_i32 s7, s3, 31
	v_add_nc_u32_e32 v1, s12, v1
	s_lshr_b32 s7, s7, 28
	s_load_b32 s19, s[0:1], 0x1c
	s_add_i32 s3, s3, s7
	s_waitcnt lgkmcnt(0)
	v_ashrrev_i32_e32 v2, 31, v1
	v_or_b32_e32 v3, 16, v1
	s_ashr_i32 s3, s3, 4
	v_cmp_gt_i32_e32 vcc_lo, s24, v1
	s_add_i32 s3, s3, -1
	v_lshrrev_b32_e32 v2, 28, v2
	s_barrier
	buffer_gl0_inv
	s_mul_i32 s27, s15, s18
	v_add_nc_u32_e32 v4, v1, v2
	s_mul_i32 s6, s34, s6
	s_delay_alu instid0(SALU_CYCLE_1) | instskip(NEXT) | instid1(VALU_DEP_1)
	s_ashr_i32 s7, s6, 31
	v_ashrrev_i32_e32 v4, 4, v4
	v_add_nc_u32_e32 v2, v3, v2
	s_lshl_b64 s[6:7], s[6:7], 2
	s_delay_alu instid0(SALU_CYCLE_1) | instskip(NEXT) | instid1(VALU_DEP_2)
	s_add_u32 s26, s4, s6
	v_cndmask_b32_e32 v1, s3, v4, vcc_lo
	s_delay_alu instid0(VALU_DEP_2)
	v_ashrrev_i32_e32 v2, 4, v2
	v_cmp_gt_i32_e32 vcc_lo, s24, v3
	s_addc_u32 s25, s5, s7
	s_ashr_i32 s28, s27, 31
	s_add_u32 s13, s20, s27
	s_addc_u32 s15, s21, s28
	v_cndmask_b32_e32 v3, s3, v2, vcc_lo
	v_ashrrev_i32_e32 v2, 31, v1
	s_lshl_b32 s4, s14, 4
	s_delay_alu instid0(SALU_CYCLE_1) | instskip(NEXT) | instid1(VALU_DEP_2)
	s_ashr_i32 s5, s4, 31
	v_ashrrev_i32_e32 v4, 31, v3
	s_delay_alu instid0(VALU_DEP_2) | instskip(SKIP_1) | instid1(SALU_CYCLE_1)
	v_lshlrev_b64 v[1:2], 2, v[1:2]
	s_lshl_b64 s[4:5], s[4:5], 2
	s_add_u32 s4, s26, s4
	s_delay_alu instid0(VALU_DEP_2) | instskip(SKIP_1) | instid1(VALU_DEP_2)
	v_lshlrev_b64 v[3:4], 2, v[3:4]
	s_addc_u32 s5, s25, s5
	v_add_co_u32 v1, vcc_lo, s26, v1
	v_add_co_ci_u32_e32 v2, vcc_lo, s25, v2, vcc_lo
	s_delay_alu instid0(VALU_DEP_3) | instskip(NEXT) | instid1(VALU_DEP_4)
	v_add_co_u32 v3, vcc_lo, s26, v3
	v_add_co_ci_u32_e32 v4, vcc_lo, s25, v4, vcc_lo
	s_clause 0x1
	global_load_b32 v5, v[1:2], off
	global_load_b32 v7, v[3:4], off
	s_or_b32 s6, s12, 32
	v_lshlrev_b32_e32 v1, 4, v0
	s_ashr_i32 s7, s6, 4
	s_cmp_lt_i32 s6, s24
	s_cselect_b32 s6, s7, s3
	s_delay_alu instid0(VALU_DEP_1) | instskip(SKIP_1) | instid1(SALU_CYCLE_1)
	v_and_b32_e32 v1, 0xf0, v1
	s_ashr_i32 s7, s6, 31
	s_lshl_b64 s[6:7], s[6:7], 2
	s_delay_alu instid0(SALU_CYCLE_1)
	s_add_u32 s6, s26, s6
	s_addc_u32 s7, s25, s7
	s_or_b32 s8, s12, 64
	v_add_co_u32 v1, s13, s13, v1
	s_ashr_i32 s9, s8, 4
	s_cmp_lt_i32 s8, s24
	v_add_co_ci_u32_e64 v2, null, s15, 0, s13
	s_cselect_b32 s8, s9, s3
	s_delay_alu instid0(SALU_CYCLE_1) | instskip(NEXT) | instid1(SALU_CYCLE_1)
	s_ashr_i32 s9, s8, 31
	s_lshl_b64 s[8:9], s[8:9], 2
	s_delay_alu instid0(SALU_CYCLE_1) | instskip(SKIP_2) | instid1(SALU_CYCLE_1)
	s_add_u32 s8, s26, s8
	s_addc_u32 s9, s25, s9
	s_or_b32 s10, s12, 0x60
	s_ashr_i32 s11, s10, 4
	s_cmp_lt_i32 s10, s24
	s_cselect_b32 s10, s11, s3
	s_delay_alu instid0(SALU_CYCLE_1) | instskip(NEXT) | instid1(SALU_CYCLE_1)
	s_ashr_i32 s11, s10, 31
	s_lshl_b64 s[10:11], s[10:11], 2
	s_delay_alu instid0(SALU_CYCLE_1) | instskip(SKIP_2) | instid1(SALU_CYCLE_1)
	s_add_u32 s10, s26, s10
	s_addc_u32 s11, s25, s11
	s_or_b32 s16, s12, 0x80
	s_ashr_i32 s18, s16, 4
	s_cmp_lt_i32 s16, s24
	;; [unrolled: 10-line block ×3, first 2 shown]
	s_cselect_b32 s20, s18, s3
	s_delay_alu instid0(SALU_CYCLE_1) | instskip(NEXT) | instid1(SALU_CYCLE_1)
	s_ashr_i32 s21, s20, 31
	s_lshl_b64 s[20:21], s[20:21], 2
	s_delay_alu instid0(SALU_CYCLE_1)
	s_add_u32 s38, s26, s20
	s_addc_u32 s39, s25, s21
	s_clause 0x5
	s_load_b32 s21, s[4:5], 0x0
	s_load_b32 s13, s[6:7], 0x0
	;; [unrolled: 1-line block ×6, first 2 shown]
	s_or_b32 s6, s12, 0xc0
	s_mov_b32 s4, 0
	s_ashr_i32 s7, s6, 4
	s_cmp_lt_i32 s6, s24
	s_mov_b32 s5, s4
	s_cselect_b32 s10, s7, s3
	s_mov_b32 s6, s4
	s_ashr_i32 s11, s10, 31
	s_mov_b32 s7, s4
	s_lshl_b64 s[10:11], s[10:11], 2
	s_mov_b32 s8, s4
	s_add_u32 s36, s26, s10
	s_addc_u32 s37, s25, s11
	s_or_b32 s11, s12, 0xe0
	s_mov_b32 s9, s4
	s_ashr_i32 s29, s11, 4
	s_cmp_lt_i32 s11, s24
	s_mov_b32 s11, s4
	s_cselect_b32 s38, s29, s3
	s_mov_b32 s10, s4
	s_ashr_i32 s39, s38, 31
	v_dual_mov_b32 v103, s11 :: v_dual_mov_b32 v96, s4
	v_dual_mov_b32 v101, s9 :: v_dual_lshlrev_b32 v68, 6, v70
	v_mov_b32_e32 v102, s10
	v_dual_mov_b32 v100, s8 :: v_dual_mov_b32 v99, s7
	v_dual_mov_b32 v98, s6 :: v_dual_mov_b32 v97, s5
	s_lshl_b64 s[4:5], s[38:39], 2
	s_delay_alu instid0(SALU_CYCLE_1)
	s_add_u32 s4, s26, s4
	s_addc_u32 s5, s25, s5
	s_add_u32 s6, s22, s27
	s_addc_u32 s7, s23, s28
	s_waitcnt vmcnt(1)
	v_mad_i64_i32 v[3:4], null, v5, s17, v[1:2]
	s_waitcnt vmcnt(0)
	v_mad_i64_i32 v[5:6], null, v7, s17, v[1:2]
	v_lshlrev_b32_e32 v1, 4, v70
	s_clause 0x7
	global_load_b128 v[57:60], v[3:4], off
	global_load_b128 v[61:64], v[3:4], off offset:256
	global_load_b128 v[72:75], v[5:6], off
	global_load_b128 v[76:79], v[5:6], off offset:256
	global_load_b128 v[80:83], v[3:4], off offset:512
	;; [unrolled: 1-line block ×5, first 2 shown]
	v_lshl_or_b32 v1, v69, 8, v1
	s_load_b32 s3, s[36:37], 0x0
	ds_load_b128 v[104:107], v68
	ds_load_b128 v[108:111], v68 offset:1024
	s_load_b32 s4, s[4:5], 0x0
	v_add_co_u32 v17, s6, s6, v1
	s_delay_alu instid0(VALU_DEP_1) | instskip(SKIP_1) | instid1(VALU_DEP_1)
	v_add_co_ci_u32_e64 v18, null, s7, 0, s6
	s_waitcnt lgkmcnt(0)
	v_mad_i64_i32 v[1:2], null, s21, s17, v[17:18]
	v_mad_i64_i32 v[3:4], null, s13, s17, v[17:18]
	v_mad_i64_i32 v[5:6], null, s15, s17, v[17:18]
	v_mad_i64_i32 v[7:8], null, s16, s17, v[17:18]
	v_mad_i64_i32 v[21:22], null, s20, s17, v[17:18]
	v_mad_i64_i32 v[13:14], null, s18, s17, v[17:18]
	v_mad_i64_i32 v[29:30], null, s3, s17, v[17:18]
	s_clause 0x9
	global_load_b128 v[49:52], v[1:2], off
	global_load_b128 v[53:56], v[1:2], off offset:16
	global_load_b128 v[41:44], v[3:4], off
	global_load_b128 v[45:48], v[3:4], off offset:16
	;; [unrolled: 2-line block ×5, first 2 shown]
	v_mad_i64_i32 v[120:121], null, s4, s17, v[17:18]
	s_clause 0x3
	global_load_b128 v[17:20], v[21:22], off
	global_load_b128 v[21:24], v[21:22], off offset:16
	global_load_b128 v[25:28], v[29:30], off
	global_load_b128 v[29:32], v[29:30], off offset:16
	s_waitcnt vmcnt(20)
	v_wmma_f32_16x16x16_f16 v[112:119], v[57:64], v[104:111], v[96:103]
	s_clause 0x1
	global_load_b128 v[57:60], v[120:121], off
	global_load_b128 v[61:64], v[120:121], off offset:16
	s_waitcnt vmcnt(20)
	v_wmma_f32_16x16x16_f16 v[96:103], v[72:79], v[104:111], v[96:103]
	ds_load_b128 v[72:75], v68 offset:2048
	ds_load_b128 v[76:79], v68 offset:3072
	v_and_b32_e32 v104, 0xe0, v0
	v_mbcnt_lo_u32_b32 v105, -1, 0
	s_waitcnt vmcnt(0) lgkmcnt(0)
	s_barrier
	buffer_gl0_inv
	v_add_nc_u32_e32 v104, s12, v104
	v_xor_b32_e32 v106, 16, v105
	s_delay_alu instid0(VALU_DEP_2) | instskip(NEXT) | instid1(VALU_DEP_2)
	v_or_b32_e32 v104, v104, v66
	v_cmp_gt_i32_e32 vcc_lo, 32, v106
	s_delay_alu instid0(VALU_DEP_2)
	v_or_b32_e32 v107, 4, v104
	v_or_b32_e32 v108, 6, v104
	v_cmp_gt_i32_e64 s3, s24, v104
	v_or_b32_e32 v109, 8, v104
	v_wmma_f32_16x16x16_f16 v[112:119], v[80:87], v[72:79], v[112:119]
	v_cndmask_b32_e32 v105, v105, v106, vcc_lo
	v_or_b32_e32 v106, 2, v104
	v_wmma_f32_16x16x16_f16 v[96:103], v[88:95], v[72:79], v[96:103]
	v_or_b32_e32 v80, 10, v104
	v_dual_mul_f32 v90, s19, v112 :: v_dual_mul_f32 v89, s19, v113
	s_delay_alu instid0(VALU_DEP_4) | instskip(NEXT) | instid1(VALU_DEP_4)
	v_cmp_gt_i32_e32 vcc_lo, s24, v106
	v_dual_mul_f32 v94, s19, v100 :: v_dual_mul_f32 v77, s19, v117
	v_dual_mul_f32 v88, s19, v114 :: v_dual_mul_f32 v79, s19, v115
	v_mul_f32_e32 v92, s19, v102
	v_cndmask_b32_e64 v90, 0xff7fffff, v90, s3
	v_cndmask_b32_e32 v89, 0xff7fffff, v89, vcc_lo
	v_cmp_gt_i32_e64 s4, s24, v107
	v_cmp_gt_i32_e64 s5, s24, v108
	v_or_b32_e32 v81, 12, v104
	v_or_b32_e32 v82, 14, v104
	v_mul_f32_e32 v78, s19, v116
	v_cndmask_b32_e64 v88, 0xff7fffff, v88, s4
	v_cndmask_b32_e64 v79, 0xff7fffff, v79, s5
	v_max3_f32 v89, v90, 0xff7fffff, v89
	v_cmp_gt_i32_e64 s6, s24, v109
	v_cmp_gt_i32_e64 s7, s24, v80
	v_or_b32_e32 v83, 16, v104
	v_or_b32_e32 v84, 18, v104
	v_dual_mul_f32 v75, s19, v119 :: v_dual_mul_f32 v76, s19, v118
	v_cndmask_b32_e64 v78, 0xff7fffff, v78, s6
	v_cndmask_b32_e64 v77, 0xff7fffff, v77, s7
	v_max3_f32 v79, v89, v88, v79
	v_cmp_gt_i32_e64 s8, s24, v81
	v_cmp_gt_i32_e64 s9, s24, v82
	v_or_b32_e32 v85, 20, v104
	v_or_b32_e32 v86, 22, v104
	;; [unrolled: 1-line block ×6, first 2 shown]
	v_dual_mul_f32 v95, s19, v99 :: v_dual_mul_f32 v104, s19, v97
	v_mul_f32_e32 v107, s19, v96
	v_cndmask_b32_e64 v76, 0xff7fffff, v76, s8
	v_cndmask_b32_e64 v75, 0xff7fffff, v75, s9
	v_max3_f32 v77, v79, v78, v77
	v_cmp_gt_i32_e64 s10, s24, v83
	v_cmp_gt_i32_e64 s11, s24, v84
	v_dual_mul_f32 v91, s19, v103 :: v_dual_mul_f32 v106, s19, v98
	s_delay_alu instid0(VALU_DEP_4) | instskip(NEXT) | instid1(VALU_DEP_4)
	v_max3_f32 v75, v77, v76, v75
	v_cndmask_b32_e64 v78, 0xff7fffff, v107, s10
	s_delay_alu instid0(VALU_DEP_4)
	v_cndmask_b32_e64 v79, 0xff7fffff, v104, s11
	v_cmp_gt_i32_e64 s12, s24, v85
	v_cmp_gt_i32_e64 s13, s24, v86
	v_mul_f32_e32 v93, s19, v101
	v_cmp_gt_i32_e64 s15, s24, v87
	v_max3_f32 v75, v75, v78, v79
	v_cndmask_b32_e64 v76, 0xff7fffff, v106, s12
	v_cndmask_b32_e64 v77, 0xff7fffff, v95, s13
	v_cmp_gt_i32_e64 s16, s24, v72
	v_cndmask_b32_e64 v78, 0xff7fffff, v94, s15
	v_cmp_gt_i32_e64 s17, s24, v73
	v_cmp_gt_i32_e64 s18, s24, v74
	v_max3_f32 v75, v75, v76, v77
	v_cndmask_b32_e64 v72, 0xff7fffff, v93, s16
	s_delay_alu instid0(VALU_DEP_4) | instskip(NEXT) | instid1(VALU_DEP_4)
	v_cndmask_b32_e64 v73, 0xff7fffff, v92, s17
	v_cndmask_b32_e64 v74, 0xff7fffff, v91, s18
	s_delay_alu instid0(VALU_DEP_3) | instskip(SKIP_1) | instid1(VALU_DEP_2)
	v_max3_f32 v72, v75, v78, v72
	v_lshlrev_b32_e32 v75, 2, v105
	v_max3_f32 v72, v72, v73, v74
	ds_bpermute_b32 v73, v75, v72
	s_waitcnt lgkmcnt(0)
	v_max_f32_e32 v73, v73, v73
	s_delay_alu instid0(VALU_DEP_1) | instskip(NEXT) | instid1(VALU_DEP_1)
	v_max_f32_e32 v72, v72, v73
	v_fma_f32 v76, s19, v114, -v72
	v_fma_f32 v73, s19, v112, -v72
	;; [unrolled: 1-line block ×5, first 2 shown]
	v_mul_f32_e32 v76, 0x3fb8aa3b, v76
	v_fma_f32 v82, s19, v118, -v72
	s_delay_alu instid0(VALU_DEP_4) | instskip(SKIP_1) | instid1(VALU_DEP_4)
	v_dual_mul_f32 v79, 0x3fb8aa3b, v79 :: v_dual_mul_f32 v74, 0x3fb8aa3b, v74
	v_fma_f32 v86, s19, v99, -v72
	v_exp_f32_e32 v76, v76
	s_delay_alu instid0(VALU_DEP_3) | instskip(NEXT) | instid1(VALU_DEP_3)
	v_mul_f32_e32 v82, 0x3fb8aa3b, v82
	v_exp_f32_e32 v83, v79
	v_exp_f32_e32 v74, v74
	v_mul_f32_e32 v88, 0x3fb8aa3b, v86
	v_fma_f32 v91, s19, v103, -v72
	v_exp_f32_e32 v84, v82
	v_fma_f32 v89, s19, v101, -v72
	s_delay_alu instid0(VALU_DEP_3)
	v_exp_f32_e32 v90, v88
	v_cndmask_b32_e64 v80, 0, v76, s4
	v_mul_f32_e32 v73, 0x3fb8aa3b, v73
	v_fma_f32 v76, s19, v119, -v72
	v_mul_f32_e32 v77, 0x3fb8aa3b, v77
	v_cndmask_b32_e64 v82, 0, v83, s6
	v_fma_f32 v83, s19, v97, -v72
	v_exp_f32_e32 v73, v73
	v_mul_f32_e32 v76, 0x3fb8aa3b, v76
	v_exp_f32_e32 v81, v77
	v_cndmask_b32_e64 v84, 0, v84, s8
	v_mul_f32_e32 v83, 0x3fb8aa3b, v83
	v_mul_f32_e32 v89, 0x3fb8aa3b, v89
	v_exp_f32_e32 v76, v76
	s_delay_alu instid0(VALU_DEP_2) | instskip(SKIP_2) | instid1(TRANS32_DEP_3)
	v_exp_f32_e32 v87, v83
	v_cndmask_b32_e64 v78, 0, v73, s3
	v_fma_f32 v73, s19, v117, -v72
	v_cndmask_b32_e64 v79, 0, v81, s5
	v_cndmask_b32_e32 v77, 0, v74, vcc_lo
	v_fma_f32 v81, s19, v96, -v72
	s_delay_alu instid0(VALU_DEP_4) | instskip(NEXT) | instid1(TRANS32_DEP_2)
	v_dual_add_f32 v74, 0, v78 :: v_dual_mul_f32 v73, 0x3fb8aa3b, v73
	v_cndmask_b32_e64 v83, 0, v76, s9
	v_fma_f32 v76, s19, v100, -v72
	s_delay_alu instid0(VALU_DEP_4) | instskip(NEXT) | instid1(VALU_DEP_4)
	v_mul_f32_e32 v85, 0x3fb8aa3b, v81
	v_add_f32_e32 v74, v74, v77
	v_exp_f32_e32 v73, v73
	v_exp_f32_e32 v89, v89
	v_mul_f32_e32 v76, 0x3fb8aa3b, v76
	v_exp_f32_e32 v85, v85
	v_add_f32_e32 v74, v74, v80
	s_mov_b32 s3, exec_lo
	s_delay_alu instid0(VALU_DEP_2) | instskip(NEXT) | instid1(VALU_DEP_1)
	v_exp_f32_e32 v76, v76
	v_add_f32_e32 v74, v74, v79
	v_cndmask_b32_e64 v81, 0, v73, s7
	s_delay_alu instid0(TRANS32_DEP_3)
	v_cndmask_b32_e64 v89, 0, v89, s16
	s_waitcnt_depctr 0xfff
	v_cndmask_b32_e64 v86, 0, v85, s10
	v_cndmask_b32_e64 v85, 0, v87, s11
	v_fma_f32 v87, s19, v102, -v72
	v_add_f32_e32 v73, v74, v82
	v_fma_f32 v74, s19, v98, -v72
	s_delay_alu instid0(VALU_DEP_1) | instskip(NEXT) | instid1(VALU_DEP_1)
	v_mul_f32_e32 v74, 0x3fb8aa3b, v74
	v_exp_f32_e32 v74, v74
	s_waitcnt_depctr 0xfff
	v_cndmask_b32_e64 v88, 0, v74, s12
	v_dual_mul_f32 v74, 0x3fb8aa3b, v87 :: v_dual_add_f32 v73, v73, v81
	v_cndmask_b32_e64 v87, 0, v90, s13
	v_cndmask_b32_e64 v90, 0, v76, s15
	v_mul_f32_e32 v76, 0x3fb8aa3b, v91
	s_delay_alu instid0(VALU_DEP_4) | instskip(SKIP_1) | instid1(VALU_DEP_2)
	v_exp_f32_e32 v74, v74
	v_add_f32_e32 v73, v73, v84
	v_exp_f32_e32 v76, v76
	s_delay_alu instid0(VALU_DEP_1) | instskip(SKIP_4) | instid1(VALU_DEP_2)
	v_add_f32_e32 v73, v73, v83
	s_waitcnt_depctr 0xfff
	v_cndmask_b32_e64 v92, 0, v74, s17
	v_add_f32_e32 v73, v73, v86
	v_cndmask_b32_e64 v91, 0, v76, s18
	v_add_f32_e32 v73, v73, v85
	s_delay_alu instid0(VALU_DEP_1) | instskip(NEXT) | instid1(VALU_DEP_1)
	v_add_f32_e32 v73, v73, v88
	v_add_f32_e32 v73, v73, v87
	s_delay_alu instid0(VALU_DEP_1) | instskip(NEXT) | instid1(VALU_DEP_1)
	v_add_f32_e32 v73, v73, v90
	;; [unrolled: 3-line block ×3, first 2 shown]
	v_add_f32_e32 v73, v73, v91
	ds_bpermute_b32 v74, v75, v73
	v_cmpx_gt_u32_e32 16, v71
	s_cbranch_execz .LBB825_12
; %bb.11:
	v_mul_u32_u24_e32 v71, 0x44, v69
	s_waitcnt lgkmcnt(0)
	v_add_f32_e32 v73, v73, v74
	s_delay_alu instid0(VALU_DEP_2) | instskip(NEXT) | instid1(VALU_DEP_1)
	v_lshl_add_u32 v71, v70, 2, v71
	v_add_nc_u32_e32 v71, 0x4000, v71
	ds_store_2addr_b32 v71, v72, v73 offset1:136
.LBB825_12:
	s_or_b32 exec_lo, exec_lo, s3
	v_lshlrev_b32_e32 v70, 2, v70
	s_load_b32 s35, s[0:1], 0x94
	s_waitcnt lgkmcnt(0)
	s_barrier
	buffer_gl0_inv
	v_add_nc_u32_e32 v74, 0x4000, v70
	v_cmp_eq_u32_e32 vcc_lo, 1, v69
	v_cmp_eq_u32_e64 s3, 2, v69
	v_cmp_eq_u32_e64 s4, 3, v69
	;; [unrolled: 1-line block ×3, first 2 shown]
	ds_load_2addr_b32 v[70:71], v74 offset1:17
	ds_load_2addr_b32 v[72:73], v74 offset0:34 offset1:51
	ds_load_2addr_b32 v[93:94], v74 offset0:68 offset1:85
	ds_load_2addr_b32 v[95:96], v74 offset0:102 offset1:119
	v_cmp_eq_u32_e64 s6, 7, v69
	s_waitcnt lgkmcnt(3)
	v_max3_f32 v75, v70, 0xff7fffff, v71
	s_waitcnt lgkmcnt(2)
	s_delay_alu instid0(VALU_DEP_1) | instskip(SKIP_1) | instid1(VALU_DEP_1)
	v_max3_f32 v75, v75, v72, v73
	s_waitcnt lgkmcnt(1)
	v_max3_f32 v75, v75, v93, v94
	s_waitcnt lgkmcnt(0)
	s_delay_alu instid0(VALU_DEP_1) | instskip(NEXT) | instid1(VALU_DEP_1)
	v_max3_f32 v75, v75, v95, v96
	v_sub_f32_e32 v93, v93, v75
	ds_load_2addr_b32 v[97:98], v74 offset0:136 offset1:153
	v_sub_f32_e32 v70, v70, v75
	v_dual_sub_f32 v100, v73, v75 :: v_dual_mul_f32 v103, 0x3fb8aa3b, v93
	s_delay_alu instid0(VALU_DEP_2) | instskip(SKIP_3) | instid1(VALU_DEP_1)
	v_dual_sub_f32 v76, v71, v75 :: v_dual_mul_f32 v99, 0x3fb8aa3b, v70
	ds_load_2addr_b32 v[70:71], v74 offset0:170 offset1:187
	v_mul_f32_e32 v76, 0x3fb8aa3b, v76
	v_exp_f32_e32 v99, v99
	v_exp_f32_e32 v102, v76
	v_mul_f32_e32 v100, 0x3fb8aa3b, v100
	s_waitcnt lgkmcnt(1)
	s_waitcnt_depctr 0xfff
	v_fma_f32 v76, v99, v97, 0
	v_sub_f32_e32 v97, v94, v75
	v_sub_f32_e32 v72, v72, v75
	v_exp_f32_e32 v100, v100
	ds_load_2addr_b32 v[93:94], v74 offset0:238 offset1:255
	v_dual_fmac_f32 v76, v102, v98 :: v_dual_mul_f32 v101, 0x3fb8aa3b, v72
	ds_load_2addr_b32 v[72:73], v74 offset0:204 offset1:221
	v_dual_sub_f32 v74, v95, v75 :: v_dual_mul_f32 v95, 0x3fb8aa3b, v97
	v_exp_f32_e32 v97, v103
	v_exp_f32_e32 v101, v101
	s_waitcnt lgkmcnt(0)
	s_delay_alu instid0(VALU_DEP_1)
	v_mul_f32_e32 v74, 0x3fb8aa3b, v74
	v_exp_f32_e32 v95, v95
	s_barrier
	buffer_gl0_inv
	v_fmac_f32_e32 v76, v101, v70
	v_sub_f32_e32 v70, v96, v75
	v_exp_f32_e32 v96, v74
	s_delay_alu instid0(VALU_DEP_2) | instskip(NEXT) | instid1(VALU_DEP_2)
	v_fmac_f32_e32 v76, v100, v71
	v_mul_f32_e32 v70, 0x3fb8aa3b, v70
	s_delay_alu instid0(VALU_DEP_2) | instskip(NEXT) | instid1(VALU_DEP_2)
	v_dual_cndmask_b32 v71, v99, v102 :: v_dual_fmac_f32 v76, v97, v72
	v_exp_f32_e32 v98, v70
	s_delay_alu instid0(VALU_DEP_1) | instskip(SKIP_2) | instid1(VALU_DEP_1)
	v_fmac_f32_e32 v76, v95, v73
	s_waitcnt_depctr 0xfff
	v_fmac_f32_e32 v76, v96, v93
	v_fmac_f32_e32 v76, v98, v94
	s_delay_alu instid0(VALU_DEP_1) | instskip(NEXT) | instid1(VALU_DEP_1)
	v_add_f32_e32 v93, 0x358637bd, v76
	v_div_scale_f32 v94, null, v93, v93, 1.0
	v_div_scale_f32 v99, vcc_lo, 1.0, v93, 1.0
	s_delay_alu instid0(VALU_DEP_2) | instskip(SKIP_2) | instid1(VALU_DEP_1)
	v_rcp_f32_e32 v103, v94
	s_waitcnt_depctr 0xfff
	v_fma_f32 v70, -v94, v103, 1.0
	v_fmac_f32_e32 v103, v70, v103
	v_cndmask_b32_e64 v70, v71, v101, s3
	v_cmp_eq_u32_e64 s3, 4, v69
	v_lshlrev_b32_e32 v71, 2, v66
	s_delay_alu instid0(VALU_DEP_4) | instskip(NEXT) | instid1(VALU_DEP_4)
	v_mul_f32_e32 v101, v99, v103
	v_cndmask_b32_e64 v72, v70, v100, s4
	v_cmp_eq_u32_e64 s4, 6, v69
	v_lshl_or_b32 v70, v69, 11, v68
	v_or_b32_e32 v74, 1, v71
	v_fma_f32 v73, -v94, v101, v99
	v_cndmask_b32_e64 v72, v72, v97, s3
	v_cmp_eq_u32_e64 s3, 1, v71
	v_lshl_or_b32 v69, v66, 4, v70
	v_cmp_eq_u32_e64 s9, 1, v74
	v_fmac_f32_e32 v101, v73, v103
	v_cndmask_b32_e64 v95, v72, v95, s5
	v_or_b32_e32 v72, 2, v71
	v_or_b32_e32 v73, 3, v71
	v_cmp_eq_u32_e64 s12, 2, v74
	v_fma_f32 v94, -v94, v101, v99
	v_cndmask_b32_e64 v95, v95, v96, s4
	v_cmp_eq_u32_e64 s10, 1, v72
	v_cmp_eq_u32_e64 s11, 1, v73
	;; [unrolled: 1-line block ×3, first 2 shown]
	v_div_fmas_f32 v94, v94, v103, v101
	v_cndmask_b32_e64 v95, v95, v98, s6
	v_cmp_eq_u32_e32 vcc_lo, 2, v71
	v_cmp_eq_u32_e64 s16, 2, v73
	v_cmp_eq_u32_e64 s18, 3, v73
	v_div_fixup_f32 v93, v94, v93, 1.0
	v_cmp_eq_u32_e64 s4, 3, v71
	v_cmp_eq_u32_e64 s13, 3, v74
	;; [unrolled: 1-line block ×4, first 2 shown]
	v_mul_f32_e32 v101, v95, v93
	v_cmp_eq_u32_e64 s5, 4, v71
	v_cmp_eq_u32_e64 s19, 4, v74
	;; [unrolled: 1-line block ×4, first 2 shown]
	v_fma_mixlo_f16 v93, v101, v78, 0
	v_fma_mixlo_f16 v94, v101, v80, 0
	;; [unrolled: 1-line block ×8, first 2 shown]
	v_fma_mixhi_f16 v93, v101, v77, 0
	v_fma_mixhi_f16 v94, v101, v79, 0
	;; [unrolled: 1-line block ×8, first 2 shown]
	ds_store_b128 v69, v[93:96]
	ds_store_b128 v69, v[97:100] offset:1024
	s_waitcnt lgkmcnt(0)
	s_barrier
	buffer_gl0_inv
	ds_load_b128 v[77:80], v70
	ds_load_b128 v[81:84], v70 offset:16
	ds_load_b128 v[85:88], v70 offset:1024
	ds_load_b128 v[89:92], v70 offset:1040
	v_cmp_eq_u32_e64 s6, 5, v71
	v_cmp_eq_u32_e64 s20, 5, v74
	;; [unrolled: 1-line block ×11, first 2 shown]
	s_waitcnt lgkmcnt(3)
	v_lshrrev_b32_e32 v93, 16, v77
	s_waitcnt lgkmcnt(2)
	v_lshrrev_b32_e32 v97, 16, v81
	;; [unrolled: 2-line block ×4, first 2 shown]
	v_lshrrev_b32_e32 v94, 16, v78
	v_cndmask_b32_e64 v109, v77, v93, s3
	v_cndmask_b32_e64 v110, v81, v97, s3
	;; [unrolled: 1-line block ×8, first 2 shown]
	v_lshrrev_b32_e32 v98, 16, v82
	v_cndmask_b32_e64 v93, v85, v101, s3
	v_cndmask_b32_e64 v97, v89, v105, s3
	;; [unrolled: 1-line block ×5, first 2 shown]
	v_cndmask_b32_e32 v101, v109, v78, vcc_lo
	v_cndmask_b32_e64 v109, v111, v78, s12
	v_cndmask_b32_e64 v111, v113, v78, s15
	;; [unrolled: 1-line block ×4, first 2 shown]
	v_lshrrev_b32_e32 v102, 16, v86
	v_lshrrev_b32_e32 v106, 16, v90
	v_cndmask_b32_e64 v116, v89, v105, s9
	v_cndmask_b32_e64 v118, v89, v105, s10
	v_cndmask_b32_e64 v89, v89, v105, s11
	v_cndmask_b32_e32 v105, v110, v82, vcc_lo
	v_cndmask_b32_e64 v110, v112, v82, s12
	v_cndmask_b32_e64 v112, v114, v82, s15
	v_cndmask_b32_e32 v81, v93, v86, vcc_lo
	v_cndmask_b32_e32 v82, v97, v90, vcc_lo
	v_cndmask_b32_e64 v93, v115, v86, s12
	v_cndmask_b32_e64 v77, v77, v94, s18
	;; [unrolled: 1-line block ×3, first 2 shown]
	v_lshrrev_b32_e32 v95, 16, v79
	v_lshrrev_b32_e32 v99, 16, v83
	v_cndmask_b32_e64 v97, v117, v86, s15
	v_cndmask_b32_e64 v85, v85, v86, s16
	;; [unrolled: 1-line block ×14, first 2 shown]
	v_lshrrev_b32_e32 v103, 16, v87
	v_cndmask_b32_e64 v89, v89, v79, s5
	v_cndmask_b32_e64 v94, v101, v83, s5
	;; [unrolled: 1-line block ×11, first 2 shown]
	v_lshrrev_b32_e32 v96, 16, v80
	v_lshrrev_b32_e32 v100, 16, v84
	v_cndmask_b32_e64 v83, v89, v95, s6
	v_cndmask_b32_e64 v89, v94, v99, s6
	;; [unrolled: 1-line block ×9, first 2 shown]
	v_lshrrev_b32_e32 v104, 16, v88
	v_cndmask_b32_e64 v79, v79, v103, s6
	v_cndmask_b32_e64 v83, v83, v80, s7
	v_cndmask_b32_e64 v89, v89, v84, s7
	v_cndmask_b32_e64 v93, v93, v80, s25
	v_cndmask_b32_e64 v94, v94, v84, s25
	v_cndmask_b32_e64 v95, v98, v80, s26
	v_cndmask_b32_e64 v98, v101, v84, s26
	v_cndmask_b32_e64 v80, v82, v88, s25
	v_cndmask_b32_e64 v77, v77, v96, s29
	v_cndmask_b32_e64 v78, v78, v100, s29
	v_cndmask_b32_e64 v113, v118, v90, s15
	v_cndmask_b32_e64 v79, v79, v88, s7
	v_cndmask_b32_e64 v82, v83, v96, s8
	v_cndmask_b32_e64 v83, v89, v100, s8
	v_cndmask_b32_e64 v84, v93, v96, s30
	v_cndmask_b32_e64 v89, v95, v96, s28
	v_cndmask_b32_e64 v93, v98, v100, s28
	v_cndmask_b32_e64 v94, v94, v100, s30
	v_cndmask_b32_e64 v96, v80, v104, s30
	v_perm_b32 v80, v78, v77, 0x5040100
	v_cndmask_b32_e64 v77, v116, v90, s12
	v_cndmask_b32_e64 v95, v79, v104, s8
	v_perm_b32 v79, v93, v89, 0x5040100
	v_perm_b32 v78, v94, v84, 0x5040100
	v_cndmask_b32_e64 v84, v97, v102, s17
	v_cndmask_b32_e64 v85, v85, v102, s18
	;; [unrolled: 1-line block ×5, first 2 shown]
	v_lshrrev_b32_e32 v107, 16, v91
	v_cndmask_b32_e64 v84, v84, v87, s21
	v_cndmask_b32_e64 v85, v85, v87, s22
	;; [unrolled: 1-line block ×11, first 2 shown]
	v_lshrrev_b32_e32 v108, 16, v92
	v_cndmask_b32_e64 v81, v81, v92, s7
	v_cndmask_b32_e64 v84, v84, v88, s26
	;; [unrolled: 1-line block ×12, first 2 shown]
	v_perm_b32 v77, v83, v82, 0x5040100
	v_perm_b32 v84, v85, v84, 0x5040100
	;; [unrolled: 1-line block ×5, first 2 shown]
	s_lshl_b32 s8, s33, 4
	s_mov_b32 s3, exec_lo
	ds_store_b128 v69, v[77:80]
	ds_store_b128 v69, v[81:84] offset:1024
	v_cmpx_gt_u32_e32 16, v0
	s_cbranch_execz .LBB825_14
; %bb.13:
	v_or_b32_e32 v77, s31, v0
	s_load_b128 s[4:7], s[0:1], 0x58
	s_delay_alu instid0(VALU_DEP_1) | instskip(NEXT) | instid1(VALU_DEP_1)
	v_mad_u64_u32 v[78:79], null, s8, s34, v[77:78]
	v_mad_u64_u32 v[79:80], null, v78, s35, s[14:15]
	s_delay_alu instid0(VALU_DEP_1) | instskip(NEXT) | instid1(VALU_DEP_1)
	v_ashrrev_i32_e32 v80, 31, v79
	v_lshlrev_b64 v[77:78], 2, v[79:80]
	s_waitcnt lgkmcnt(0)
	s_delay_alu instid0(VALU_DEP_1) | instskip(NEXT) | instid1(VALU_DEP_2)
	v_add_co_u32 v79, vcc_lo, s6, v77
	v_add_co_ci_u32_e32 v80, vcc_lo, s7, v78, vcc_lo
	v_add_co_u32 v77, vcc_lo, s4, v77
	v_add_co_ci_u32_e32 v78, vcc_lo, s5, v78, vcc_lo
	global_store_b32 v[79:80], v75, off
	global_store_b32 v[77:78], v76, off
.LBB825_14:
	s_or_b32 exec_lo, exec_lo, s3
	s_waitcnt lgkmcnt(0)
	s_waitcnt_vscnt null, 0x0
	s_barrier
	buffer_gl0_inv
	ds_load_b128 v[83:86], v68
	ds_load_b128 v[87:90], v68 offset:16
	ds_load_b128 v[95:98], v68 offset:2064
	;; [unrolled: 1-line block ×5, first 2 shown]
	v_cmp_eq_u32_e32 vcc_lo, 1, v71
	v_mov_b32_e32 v75, 0
	ds_load_b128 v[111:114], v68 offset:6160
	ds_load_b128 v[107:110], v68 offset:6144
	;; [unrolled: 1-line block ×4, first 2 shown]
	v_cmp_eq_u32_e64 s4, 1, v72
	v_cmp_eq_u32_e64 s3, 1, v74
	;; [unrolled: 1-line block ×3, first 2 shown]
	v_mov_b32_e32 v76, v75
	v_mov_b32_e32 v77, v75
	;; [unrolled: 1-line block ×7, first 2 shown]
	v_cmp_eq_u32_e64 s6, 3, v74
	v_cmp_eq_u32_e64 s7, 7, v74
	s_waitcnt lgkmcnt(8)
	s_delay_alu instid0(VALU_DEP_3)
	v_wmma_f32_16x16x16_f16 v[75:82], v[49:56], v[83:90], v[75:82]
	ds_load_b128 v[53:56], v68 offset:10256
	ds_load_b128 v[49:52], v68 offset:10240
	s_waitcnt lgkmcnt(8)
	v_wmma_f32_16x16x16_f16 v[75:82], v[41:48], v[91:98], v[75:82]
	ds_load_b128 v[45:48], v68 offset:12304
	ds_load_b128 v[41:44], v68 offset:12288
	s_waitcnt lgkmcnt(8)
	;; [unrolled: 4-line block ×3, first 2 shown]
	s_barrier
	buffer_gl0_inv
	v_wmma_f32_16x16x16_f16 v[75:82], v[1:8], v[107:114], v[75:82]
	s_delay_alu instid0(VALU_DEP_1) | instskip(NEXT) | instid1(VALU_DEP_1)
	v_wmma_f32_16x16x16_f16 v[75:82], v[9:16], v[115:122], v[75:82]
	v_wmma_f32_16x16x16_f16 v[75:82], v[17:24], v[49:56], v[75:82]
	s_delay_alu instid0(VALU_DEP_1) | instskip(NEXT) | instid1(VALU_DEP_1)
	v_wmma_f32_16x16x16_f16 v[75:82], v[25:32], v[41:48], v[75:82]
	v_wmma_f32_16x16x16_f16 v[75:82], v[57:64], v[33:40], v[75:82]
	s_delay_alu instid0(VALU_DEP_1) | instskip(NEXT) | instid1(VALU_DEP_2)
	v_cvt_f16_f32_e32 v1, v75
	v_cvt_f16_f32_e32 v2, v76
	s_delay_alu instid0(VALU_DEP_3) | instskip(NEXT) | instid1(VALU_DEP_4)
	v_cvt_f16_f32_e32 v3, v77
	v_cvt_f16_f32_e32 v4, v78
	;; [unrolled: 1-line block ×6, first 2 shown]
	v_pack_b32_f16 v1, v1, v2
	v_pack_b32_f16 v2, v3, v4
	v_pack_b32_f16 v3, v5, v6
	s_delay_alu instid0(VALU_DEP_4)
	v_pack_b32_f16 v4, v7, v8
	ds_store_b128 v69, v[1:4]
	s_waitcnt lgkmcnt(0)
	s_barrier
	buffer_gl0_inv
	ds_load_b128 v[1:4], v70
	ds_load_b128 v[5:8], v70 offset:16
	s_waitcnt lgkmcnt(1)
	v_lshrrev_b32_e32 v9, 16, v1
	s_waitcnt lgkmcnt(0)
	v_lshrrev_b32_e32 v13, 16, v5
	v_lshrrev_b32_e32 v10, 16, v2
	;; [unrolled: 1-line block ×4, first 2 shown]
	v_cndmask_b32_e32 v17, v1, v9, vcc_lo
	v_cndmask_b32_e32 v18, v5, v13, vcc_lo
	v_cndmask_b32_e64 v21, v1, v9, s4
	v_cmp_eq_u32_e32 vcc_lo, 1, v73
	v_cndmask_b32_e64 v22, v5, v13, s4
	v_cmp_eq_u32_e64 s4, 2, v71
	v_cndmask_b32_e64 v19, v1, v9, s3
	v_cndmask_b32_e64 v20, v5, v13, s3
	v_cndmask_b32_e32 v1, v1, v9, vcc_lo
	v_cmp_eq_u32_e64 s3, 2, v73
	v_cndmask_b32_e32 v5, v5, v13, vcc_lo
	v_cndmask_b32_e64 v9, v17, v2, s4
	v_cmp_eq_u32_e32 vcc_lo, 3, v71
	v_cndmask_b32_e64 v13, v18, v6, s4
	v_cmp_eq_u32_e64 s4, 2, v72
	v_cndmask_b32_e64 v17, v19, v2, s5
	v_cndmask_b32_e64 v18, v20, v6, s5
	v_cmp_eq_u32_e64 s5, 3, v72
	v_cndmask_b32_e64 v1, v1, v2, s3
	v_cndmask_b32_e64 v19, v21, v2, s4
	;; [unrolled: 1-line block ×4, first 2 shown]
	v_cndmask_b32_e32 v5, v9, v10, vcc_lo
	v_cndmask_b32_e32 v6, v13, v14, vcc_lo
	v_cmp_eq_u32_e32 vcc_lo, 3, v73
	v_cndmask_b32_e64 v9, v17, v10, s6
	v_cndmask_b32_e64 v13, v18, v14, s6
	;; [unrolled: 1-line block ×3, first 2 shown]
	v_cmp_eq_u32_e64 s4, 4, v71
	v_cndmask_b32_e32 v1, v1, v10, vcc_lo
	v_cndmask_b32_e32 v2, v2, v14, vcc_lo
	v_cmp_eq_u32_e32 vcc_lo, 4, v74
	v_lshrrev_b32_e32 v15, 16, v7
	v_lshrrev_b32_e32 v16, 16, v8
	v_cndmask_b32_e64 v17, v19, v10, s5
	v_cmp_eq_u32_e64 s3, 4, v73
	v_cndmask_b32_e64 v5, v5, v3, s4
	v_cndmask_b32_e64 v6, v6, v7, s4
	v_cndmask_b32_e32 v9, v9, v3, vcc_lo
	v_cmp_eq_u32_e64 s4, 5, v74
	v_cndmask_b32_e32 v10, v13, v7, vcc_lo
	v_cmp_eq_u32_e32 vcc_lo, 4, v72
	v_cmp_eq_u32_e64 s5, 5, v71
	v_cndmask_b32_e64 v2, v2, v7, s3
	v_cndmask_b32_e64 v9, v9, v11, s4
	;; [unrolled: 1-line block ×3, first 2 shown]
	v_cndmask_b32_e32 v13, v17, v3, vcc_lo
	v_cmp_eq_u32_e64 s4, 5, v72
	v_cndmask_b32_e32 v14, v18, v7, vcc_lo
	v_cndmask_b32_e64 v1, v1, v3, s3
	v_cmp_eq_u32_e32 vcc_lo, 5, v73
	v_lshrrev_b32_e32 v12, 16, v4
	v_cndmask_b32_e64 v13, v13, v11, s4
	v_cndmask_b32_e64 v3, v14, v15, s4
	v_cmp_eq_u32_e64 s4, 6, v73
	v_cndmask_b32_e32 v1, v1, v11, vcc_lo
	v_cndmask_b32_e64 v5, v5, v11, s5
	v_cmp_eq_u32_e64 s6, 6, v71
	v_cndmask_b32_e64 v6, v6, v15, s5
	v_cmp_eq_u32_e64 s5, 6, v74
	v_cmp_eq_u32_e64 s3, 6, v72
	v_cndmask_b32_e64 v1, v1, v4, s4
	v_cndmask_b32_e32 v2, v2, v15, vcc_lo
	v_cmp_eq_u32_e32 vcc_lo, 7, v73
	v_cndmask_b32_e64 v5, v5, v4, s6
	v_cndmask_b32_e64 v9, v9, v4, s5
	;; [unrolled: 1-line block ×3, first 2 shown]
	v_cmp_eq_u32_e64 s6, 7, v71
	v_cndmask_b32_e32 v1, v1, v12, vcc_lo
	v_cndmask_b32_e64 v7, v13, v4, s3
	v_cndmask_b32_e64 v3, v3, v8, s3
	;; [unrolled: 1-line block ×3, first 2 shown]
	v_cmp_eq_u32_e64 s3, 7, v72
	v_cndmask_b32_e64 v4, v10, v8, s5
	v_cndmask_b32_e64 v5, v5, v12, s6
	v_cndmask_b32_e64 v9, v9, v12, s7
	v_cndmask_b32_e32 v2, v2, v16, vcc_lo
	v_cndmask_b32_e64 v7, v7, v12, s3
	v_cndmask_b32_e64 v3, v3, v16, s3
	;; [unrolled: 1-line block ×4, first 2 shown]
	v_cmp_gt_u32_e32 vcc_lo, 32, v0
	v_perm_b32 v4, v2, v1, 0x5040100
	v_perm_b32 v3, v3, v7, 0x5040100
	;; [unrolled: 1-line block ×4, first 2 shown]
	s_and_b32 s2, vcc_lo, s2
	ds_store_b128 v69, v[1:4]
	s_waitcnt lgkmcnt(0)
	s_barrier
	buffer_gl0_inv
	s_and_saveexec_b32 s3, s2
	s_cbranch_execz .LBB825_2
; %bb.15:
	s_load_b64 s[0:1], s[0:1], 0x68
	v_lshlrev_b32_e32 v0, 10, v0
	s_lshl_b32 s4, s35, 6
	v_or_b32_e32 v23, s31, v66
	s_mul_i32 s2, s4, s34
	v_lshlrev_b32_e32 v1, 4, v67
	v_lshlrev_b32_e32 v2, 6, v66
	s_mul_i32 s2, s2, s8
	v_and_b32_e32 v0, 0x3800, v0
	v_mul_lo_u32 v8, v23, s4
	s_ashr_i32 s3, s2, 31
	v_or_b32_e32 v3, 2, v23
	s_lshl_b64 s[2:3], s[2:3], 1
	v_or3_b32 v27, v0, v1, v2
	v_or_b32_e32 v11, 4, v23
	v_or_b32_e32 v18, 6, v23
	v_mul_lo_u32 v10, v3, s4
	v_ashrrev_i32_e32 v9, 31, v8
	ds_load_b128 v[0:3], v27
	ds_load_b128 v[4:7], v27 offset:128
	v_mul_lo_u32 v12, v11, s4
	s_waitcnt lgkmcnt(0)
	s_add_u32 s2, s0, s2
	s_addc_u32 s3, s1, s3
	s_lshl_b32 s0, s14, 6
	v_lshlrev_b64 v[8:9], 1, v[8:9]
	s_ashr_i32 s1, s0, 31
	v_ashrrev_i32_e32 v11, 31, v10
	s_lshl_b64 s[0:1], s[0:1], 1
	v_ashrrev_i32_e32 v13, 31, v12
	s_add_u32 s0, s2, s0
	s_addc_u32 s1, s3, s1
	v_add_co_u32 v30, s0, s0, v65
	s_delay_alu instid0(VALU_DEP_1) | instskip(SKIP_1) | instid1(VALU_DEP_3)
	v_add_co_ci_u32_e64 v31, null, s1, 0, s0
	v_lshlrev_b64 v[16:17], 1, v[10:11]
	v_add_co_u32 v14, vcc_lo, v30, v8
	s_delay_alu instid0(VALU_DEP_3)
	v_add_co_ci_u32_e32 v15, vcc_lo, v31, v9, vcc_lo
	ds_load_b128 v[8:11], v27 offset:256
	v_mul_lo_u32 v18, v18, s4
	v_or_b32_e32 v19, 8, v23
	v_add_co_u32 v16, vcc_lo, v30, v16
	global_store_b128 v[14:15], v[0:3], off
	v_lshlrev_b64 v[0:1], 1, v[12:13]
	v_add_co_ci_u32_e32 v17, vcc_lo, v31, v17, vcc_lo
	v_mul_lo_u32 v12, v19, s4
	v_ashrrev_i32_e32 v19, 31, v18
	v_or_b32_e32 v14, 10, v23
	global_store_b128 v[16:17], v[4:7], off
	v_add_co_u32 v4, vcc_lo, v30, v0
	v_add_co_ci_u32_e32 v5, vcc_lo, v31, v1, vcc_lo
	ds_load_b128 v[0:3], v27 offset:384
	v_ashrrev_i32_e32 v13, 31, v12
	v_lshlrev_b64 v[6:7], 1, v[18:19]
	v_mul_lo_u32 v14, v14, s4
	s_waitcnt lgkmcnt(1)
	global_store_b128 v[4:5], v[8:11], off
	v_or_b32_e32 v8, 12, v23
	v_lshlrev_b64 v[4:5], 1, v[12:13]
	v_add_co_u32 v20, vcc_lo, v30, v6
	v_or_b32_e32 v6, 14, v23
	v_ashrrev_i32_e32 v15, 31, v14
	v_mul_lo_u32 v22, v8, s4
	v_add_co_ci_u32_e32 v21, vcc_lo, v31, v7, vcc_lo
	v_add_co_u32 v24, vcc_lo, v30, v4
	v_mul_lo_u32 v26, v6, s4
	v_add_co_ci_u32_e32 v25, vcc_lo, v31, v5, vcc_lo
	v_lshlrev_b64 v[28:29], 1, v[14:15]
	ds_load_b128 v[4:7], v27 offset:512
	ds_load_b128 v[8:11], v27 offset:640
	;; [unrolled: 1-line block ×4, first 2 shown]
	v_ashrrev_i32_e32 v23, 31, v22
	v_ashrrev_i32_e32 v27, 31, v26
	v_add_co_u32 v28, vcc_lo, v30, v28
	s_delay_alu instid0(VALU_DEP_3) | instskip(SKIP_1) | instid1(VALU_DEP_4)
	v_lshlrev_b64 v[22:23], 1, v[22:23]
	v_add_co_ci_u32_e32 v29, vcc_lo, v31, v29, vcc_lo
	v_lshlrev_b64 v[26:27], 1, v[26:27]
	s_delay_alu instid0(VALU_DEP_3) | instskip(NEXT) | instid1(VALU_DEP_4)
	v_add_co_u32 v22, vcc_lo, v30, v22
	v_add_co_ci_u32_e32 v23, vcc_lo, v31, v23, vcc_lo
	s_delay_alu instid0(VALU_DEP_3) | instskip(NEXT) | instid1(VALU_DEP_4)
	v_add_co_u32 v26, vcc_lo, v30, v26
	v_add_co_ci_u32_e32 v27, vcc_lo, v31, v27, vcc_lo
	s_waitcnt lgkmcnt(4)
	global_store_b128 v[20:21], v[0:3], off
	s_waitcnt lgkmcnt(3)
	global_store_b128 v[24:25], v[4:7], off
	;; [unrolled: 2-line block ×5, first 2 shown]
	s_nop 0
	s_sendmsg sendmsg(MSG_DEALLOC_VGPRS)
	s_endpgm
	.section	.rodata,"a",@progbits
	.p2align	6, 0x0
	.amdhsa_kernel _Z39paged_attention_ll4mi_QKV_mfma16_kernelIDF16_hLN4vllm18Fp8KVCacheDataTypeE1EDF16_Li16ELi64ELi256ELb1ELi16EL8MFMAType1EEvPKT_PKT0_S8_ifPKiSA_SA_iPKfiiiPfSD_PS3_PT2_iSC_SC_
		.amdhsa_group_segment_fixed_size 17472
		.amdhsa_private_segment_fixed_size 0
		.amdhsa_kernarg_size 400
		.amdhsa_user_sgpr_count 13
		.amdhsa_user_sgpr_dispatch_ptr 0
		.amdhsa_user_sgpr_queue_ptr 0
		.amdhsa_user_sgpr_kernarg_segment_ptr 1
		.amdhsa_user_sgpr_dispatch_id 0
		.amdhsa_user_sgpr_private_segment_size 0
		.amdhsa_wavefront_size32 1
		.amdhsa_uses_dynamic_stack 0
		.amdhsa_enable_private_segment 0
		.amdhsa_system_sgpr_workgroup_id_x 1
		.amdhsa_system_sgpr_workgroup_id_y 1
		.amdhsa_system_sgpr_workgroup_id_z 1
		.amdhsa_system_sgpr_workgroup_info 0
		.amdhsa_system_vgpr_workitem_id 0
		.amdhsa_next_free_vgpr 123
		.amdhsa_next_free_sgpr 40
		.amdhsa_reserve_vcc 1
		.amdhsa_float_round_mode_32 0
		.amdhsa_float_round_mode_16_64 0
		.amdhsa_float_denorm_mode_32 3
		.amdhsa_float_denorm_mode_16_64 3
		.amdhsa_dx10_clamp 1
		.amdhsa_ieee_mode 1
		.amdhsa_fp16_overflow 0
		.amdhsa_workgroup_processor_mode 1
		.amdhsa_memory_ordered 1
		.amdhsa_forward_progress 0
		.amdhsa_shared_vgpr_count 0
		.amdhsa_exception_fp_ieee_invalid_op 0
		.amdhsa_exception_fp_denorm_src 0
		.amdhsa_exception_fp_ieee_div_zero 0
		.amdhsa_exception_fp_ieee_overflow 0
		.amdhsa_exception_fp_ieee_underflow 0
		.amdhsa_exception_fp_ieee_inexact 0
		.amdhsa_exception_int_div_zero 0
	.end_amdhsa_kernel
	.section	.text._Z39paged_attention_ll4mi_QKV_mfma16_kernelIDF16_hLN4vllm18Fp8KVCacheDataTypeE1EDF16_Li16ELi64ELi256ELb1ELi16EL8MFMAType1EEvPKT_PKT0_S8_ifPKiSA_SA_iPKfiiiPfSD_PS3_PT2_iSC_SC_,"axG",@progbits,_Z39paged_attention_ll4mi_QKV_mfma16_kernelIDF16_hLN4vllm18Fp8KVCacheDataTypeE1EDF16_Li16ELi64ELi256ELb1ELi16EL8MFMAType1EEvPKT_PKT0_S8_ifPKiSA_SA_iPKfiiiPfSD_PS3_PT2_iSC_SC_,comdat
.Lfunc_end825:
	.size	_Z39paged_attention_ll4mi_QKV_mfma16_kernelIDF16_hLN4vllm18Fp8KVCacheDataTypeE1EDF16_Li16ELi64ELi256ELb1ELi16EL8MFMAType1EEvPKT_PKT0_S8_ifPKiSA_SA_iPKfiiiPfSD_PS3_PT2_iSC_SC_, .Lfunc_end825-_Z39paged_attention_ll4mi_QKV_mfma16_kernelIDF16_hLN4vllm18Fp8KVCacheDataTypeE1EDF16_Li16ELi64ELi256ELb1ELi16EL8MFMAType1EEvPKT_PKT0_S8_ifPKiSA_SA_iPKfiiiPfSD_PS3_PT2_iSC_SC_
                                        ; -- End function
	.section	.AMDGPU.csdata,"",@progbits
; Kernel info:
; codeLenInByte = 6708
; NumSgprs: 42
; NumVgprs: 123
; ScratchSize: 0
; MemoryBound: 0
; FloatMode: 240
; IeeeMode: 1
; LDSByteSize: 17472 bytes/workgroup (compile time only)
; SGPRBlocks: 5
; VGPRBlocks: 15
; NumSGPRsForWavesPerEU: 42
; NumVGPRsForWavesPerEU: 123
; Occupancy: 10
; WaveLimiterHint : 1
; COMPUTE_PGM_RSRC2:SCRATCH_EN: 0
; COMPUTE_PGM_RSRC2:USER_SGPR: 13
; COMPUTE_PGM_RSRC2:TRAP_HANDLER: 0
; COMPUTE_PGM_RSRC2:TGID_X_EN: 1
; COMPUTE_PGM_RSRC2:TGID_Y_EN: 1
; COMPUTE_PGM_RSRC2:TGID_Z_EN: 1
; COMPUTE_PGM_RSRC2:TIDIG_COMP_CNT: 0
	.section	.text._Z39paged_attention_ll4mi_QKV_mfma16_kernelIDF16_hLN4vllm18Fp8KVCacheDataTypeE1EDF16_Li16ELi64ELi256ELb1ELi1EL8MFMAType1EEvPKT_PKT0_S8_ifPKiSA_SA_iPKfiiiPfSD_PS3_PT2_iSC_SC_,"axG",@progbits,_Z39paged_attention_ll4mi_QKV_mfma16_kernelIDF16_hLN4vllm18Fp8KVCacheDataTypeE1EDF16_Li16ELi64ELi256ELb1ELi1EL8MFMAType1EEvPKT_PKT0_S8_ifPKiSA_SA_iPKfiiiPfSD_PS3_PT2_iSC_SC_,comdat
	.protected	_Z39paged_attention_ll4mi_QKV_mfma16_kernelIDF16_hLN4vllm18Fp8KVCacheDataTypeE1EDF16_Li16ELi64ELi256ELb1ELi1EL8MFMAType1EEvPKT_PKT0_S8_ifPKiSA_SA_iPKfiiiPfSD_PS3_PT2_iSC_SC_ ; -- Begin function _Z39paged_attention_ll4mi_QKV_mfma16_kernelIDF16_hLN4vllm18Fp8KVCacheDataTypeE1EDF16_Li16ELi64ELi256ELb1ELi1EL8MFMAType1EEvPKT_PKT0_S8_ifPKiSA_SA_iPKfiiiPfSD_PS3_PT2_iSC_SC_
	.globl	_Z39paged_attention_ll4mi_QKV_mfma16_kernelIDF16_hLN4vllm18Fp8KVCacheDataTypeE1EDF16_Li16ELi64ELi256ELb1ELi1EL8MFMAType1EEvPKT_PKT0_S8_ifPKiSA_SA_iPKfiiiPfSD_PS3_PT2_iSC_SC_
	.p2align	8
	.type	_Z39paged_attention_ll4mi_QKV_mfma16_kernelIDF16_hLN4vllm18Fp8KVCacheDataTypeE1EDF16_Li16ELi64ELi256ELb1ELi1EL8MFMAType1EEvPKT_PKT0_S8_ifPKiSA_SA_iPKfiiiPfSD_PS3_PT2_iSC_SC_,@function
_Z39paged_attention_ll4mi_QKV_mfma16_kernelIDF16_hLN4vllm18Fp8KVCacheDataTypeE1EDF16_Li16ELi64ELi256ELb1ELi1EL8MFMAType1EEvPKT_PKT0_S8_ifPKiSA_SA_iPKfiiiPfSD_PS3_PT2_iSC_SC_: ; @_Z39paged_attention_ll4mi_QKV_mfma16_kernelIDF16_hLN4vllm18Fp8KVCacheDataTypeE1EDF16_Li16ELi64ELi256ELb1ELi1EL8MFMAType1EEvPKT_PKT0_S8_ifPKiSA_SA_iPKfiiiPfSD_PS3_PT2_iSC_SC_
; %bb.0:
	s_load_b64 s[4:5], s[0:1], 0x30
	s_mov_b32 s34, s13
	s_waitcnt lgkmcnt(0)
	s_cmp_lg_u64 s[4:5], 0
	s_cselect_b32 s6, -1, 0
	s_ashr_i32 s35, s13, 31
	s_cmp_eq_u64 s[4:5], 0
	s_cbranch_scc1 .LBB826_3
; %bb.1:
	s_lshl_b64 s[2:3], s[34:35], 2
	s_delay_alu instid0(SALU_CYCLE_1) | instskip(SKIP_4) | instid1(SALU_CYCLE_1)
	s_add_u32 s2, s4, s2
	s_addc_u32 s3, s5, s3
	s_load_b64 s[2:3], s[2:3], 0x0
	s_waitcnt lgkmcnt(0)
	s_sub_i32 s2, s3, s2
	s_cmp_eq_u32 s2, 1
	s_cselect_b32 s2, -1, 0
	s_delay_alu instid0(SALU_CYCLE_1)
	s_and_not1_b32 vcc_lo, exec_lo, s2
	s_cbranch_vccz .LBB826_4
.LBB826_2:
	s_endpgm
.LBB826_3:
.LBB826_4:
	s_load_b64 s[2:3], s[0:1], 0x28
	s_lshl_b64 s[8:9], s[34:35], 2
	s_waitcnt lgkmcnt(0)
	s_add_u32 s2, s2, s8
	s_addc_u32 s3, s3, s9
	s_lshl_b32 s12, s14, 8
	s_load_b32 s33, s[2:3], 0x0
	s_waitcnt lgkmcnt(0)
	s_cmp_ge_i32 s12, s33
	s_cbranch_scc1 .LBB826_2
; %bb.5:
	s_clause 0x1
	s_load_b128 s[28:31], s[0:1], 0x8
	s_load_b64 s[2:3], s[0:1], 0x20
	s_and_not1_b32 vcc_lo, exec_lo, s6
	s_mov_b64 s[6:7], s[34:35]
	s_cbranch_vccnz .LBB826_7
; %bb.6:
	s_add_u32 s4, s4, s8
	s_addc_u32 s5, s5, s9
	s_load_b32 s6, s[4:5], 0x0
.LBB826_7:
	s_load_b128 s[24:27], s[0:1], 0x48
	v_and_b32_e32 v73, 15, v0
	s_mov_b32 s13, exec_lo
                                        ; implicit-def: $sgpr16
                                        ; implicit-def: $sgpr4
	s_delay_alu instid0(VALU_DEP_1)
	v_cmpx_eq_u32_e32 0, v73
	s_cbranch_execz .LBB826_9
; %bb.8:
	s_load_b64 s[4:5], s[0:1], 0x0
	s_waitcnt lgkmcnt(0)
	s_mul_hi_i32 s7, s6, s24
	s_mul_i32 s6, s6, s24
	s_delay_alu instid0(SALU_CYCLE_1) | instskip(NEXT) | instid1(SALU_CYCLE_1)
	s_lshl_b64 s[6:7], s[6:7], 1
	s_add_u32 s6, s4, s6
	s_addc_u32 s7, s5, s7
	s_lshl_b32 s4, s15, 6
	s_delay_alu instid0(SALU_CYCLE_1) | instskip(NEXT) | instid1(SALU_CYCLE_1)
	s_ashr_i32 s5, s4, 31
	s_lshl_b64 s[4:5], s[4:5], 1
	s_delay_alu instid0(SALU_CYCLE_1)
	s_add_u32 s4, s6, s4
	s_addc_u32 s5, s7, s5
	s_clause 0x1
	s_load_b256 s[16:23], s[4:5], 0x0
	s_load_b256 s[4:11], s[4:5], 0x40
.LBB826_9:
	s_or_b32 exec_lo, exec_lo, s13
	v_and_b32_e32 v1, 0xef, v0
	s_waitcnt lgkmcnt(0)
	v_dual_mov_b32 v115, s23 :: v_dual_mov_b32 v114, s22
	s_add_i32 s13, s33, 15
	s_load_b32 s27, s[0:1], 0x38
	v_dual_mov_b32 v112, s20 :: v_dual_add_nc_u32 v1, s12, v1
	s_ashr_i32 s24, s13, 31
	v_lshrrev_b32_e32 v66, 5, v0
	s_lshr_b32 s24, s24, 28
	s_delay_alu instid0(VALU_DEP_2)
	v_ashrrev_i32_e32 v2, 31, v1
	v_or_b32_e32 v3, 16, v1
	s_add_i32 s13, s13, s24
	v_cmp_gt_i32_e32 vcc_lo, s33, v1
	s_ashr_i32 s13, s13, 4
	v_lshrrev_b32_e32 v2, 28, v2
	s_add_i32 s13, s13, -1
	s_load_b32 s24, s[0:1], 0x1c
	v_and_b32_e32 v65, 0xe0, v0
	s_delay_alu instid0(VALU_DEP_2)
	v_dual_mov_b32 v111, s19 :: v_dual_add_nc_u32 v4, v1, v2
	v_mov_b32_e32 v113, s21
	v_mov_b32_e32 v109, s17
	v_mbcnt_lo_u32_b32 v67, -1, 0
	s_waitcnt lgkmcnt(0)
	s_mul_i32 s36, s34, s27
	v_ashrrev_i32_e32 v4, 4, v4
	v_add_nc_u32_e32 v2, v3, v2
	s_ashr_i32 s37, s36, 31
	v_bfe_u32 v75, v0, 4, 1
	s_lshl_b64 s[36:37], s[36:37], 2
	v_cndmask_b32_e32 v1, s13, v4, vcc_lo
	v_ashrrev_i32_e32 v2, 4, v2
	v_cmp_gt_i32_e32 vcc_lo, s33, v3
	s_add_u32 s36, s2, s36
	s_addc_u32 s35, s3, s37
	v_lshlrev_b32_e32 v74, 4, v73
	s_mul_i32 s37, s15, s26
	v_cndmask_b32_e32 v3, s13, v2, vcc_lo
	v_ashrrev_i32_e32 v2, 31, v1
	s_ashr_i32 s38, s37, 31
	s_add_u32 s39, s28, s37
	s_addc_u32 s46, s29, s38
	v_ashrrev_i32_e32 v4, 31, v3
	v_lshlrev_b64 v[1:2], 2, v[1:2]
	s_lshl_b32 s2, s14, 4
	v_xor_b32_e32 v68, 16, v67
	s_ashr_i32 s3, s2, 31
	v_lshlrev_b64 v[3:4], 2, v[3:4]
	s_lshl_b64 s[2:3], s[2:3], 2
	v_add_co_u32 v1, vcc_lo, s36, v1
	v_add_co_ci_u32_e32 v2, vcc_lo, s35, v2, vcc_lo
	s_delay_alu instid0(VALU_DEP_3) | instskip(NEXT) | instid1(VALU_DEP_4)
	v_add_co_u32 v3, vcc_lo, s36, v3
	v_add_co_ci_u32_e32 v4, vcc_lo, s35, v4, vcc_lo
	s_clause 0x1
	global_load_b32 v5, v[1:2], off
	global_load_b32 v7, v[3:4], off
	s_add_u32 s2, s36, s2
	s_addc_u32 s3, s35, s3
	s_or_b32 s26, s12, 32
	v_dual_mov_b32 v110, s18 :: v_dual_lshlrev_b32 v1, 4, v0
	s_ashr_i32 s27, s26, 4
	s_cmp_lt_i32 s26, s33
	v_mov_b32_e32 v108, s16
	s_cselect_b32 s26, s27, s13
	v_and_b32_e32 v1, 0xf0, v1
	s_ashr_i32 s27, s26, 31
	v_cmp_gt_i32_e32 vcc_lo, 32, v68
	s_lshl_b64 s[26:27], s[26:27], 2
	s_delay_alu instid0(SALU_CYCLE_1)
	s_add_u32 s26, s36, s26
	s_addc_u32 s27, s35, s27
	s_or_b32 s28, s12, 64
	v_add_co_u32 v1, s39, s39, v1
	s_ashr_i32 s29, s28, 4
	s_cmp_lt_i32 s28, s33
	v_add_co_ci_u32_e64 v2, null, s46, 0, s39
	s_cselect_b32 s28, s29, s13
	s_delay_alu instid0(SALU_CYCLE_1) | instskip(NEXT) | instid1(SALU_CYCLE_1)
	s_ashr_i32 s29, s28, 31
	s_lshl_b64 s[28:29], s[28:29], 2
	s_delay_alu instid0(SALU_CYCLE_1) | instskip(SKIP_2) | instid1(SALU_CYCLE_1)
	s_add_u32 s40, s36, s28
	s_addc_u32 s41, s35, s29
	s_or_b32 s28, s12, 0x60
	s_ashr_i32 s29, s28, 4
	s_cmp_lt_i32 s28, s33
	s_cselect_b32 s28, s29, s13
	s_delay_alu instid0(SALU_CYCLE_1) | instskip(NEXT) | instid1(SALU_CYCLE_1)
	s_ashr_i32 s29, s28, 31
	s_lshl_b64 s[28:29], s[28:29], 2
	s_delay_alu instid0(SALU_CYCLE_1) | instskip(SKIP_2) | instid1(SALU_CYCLE_1)
	s_add_u32 s42, s36, s28
	s_addc_u32 s43, s35, s29
	s_or_b32 s28, s12, 0x80
	s_ashr_i32 s29, s28, 4
	s_cmp_lt_i32 s28, s33
	;; [unrolled: 10-line block ×3, first 2 shown]
	s_cselect_b32 s28, s29, s13
	s_delay_alu instid0(SALU_CYCLE_1) | instskip(NEXT) | instid1(SALU_CYCLE_1)
	s_ashr_i32 s29, s28, 31
	s_lshl_b64 s[28:29], s[28:29], 2
	s_delay_alu instid0(SALU_CYCLE_1)
	s_add_u32 s46, s36, s28
	s_addc_u32 s47, s35, s29
	s_clause 0x5
	s_load_b32 s29, s[2:3], 0x0
	s_load_b32 s2, s[26:27], 0x0
	;; [unrolled: 1-line block ×6, first 2 shown]
	s_or_b32 s39, s12, 0xc0
	s_delay_alu instid0(SALU_CYCLE_1) | instskip(SKIP_2) | instid1(SALU_CYCLE_1)
	s_ashr_i32 s40, s39, 4
	s_cmp_lt_i32 s39, s33
	s_cselect_b32 s40, s40, s13
	s_ashr_i32 s41, s40, 31
	s_delay_alu instid0(SALU_CYCLE_1) | instskip(NEXT) | instid1(SALU_CYCLE_1)
	s_lshl_b64 s[40:41], s[40:41], 2
	s_add_u32 s40, s36, s40
	s_addc_u32 s41, s35, s41
	s_or_b32 s39, s12, 0xe0
	s_delay_alu instid0(SALU_CYCLE_1) | instskip(SKIP_2) | instid1(SALU_CYCLE_1)
	s_ashr_i32 s42, s39, 4
	s_cmp_lt_i32 s39, s33
	s_cselect_b32 s42, s42, s13
	s_ashr_i32 s43, s42, 31
	s_delay_alu instid0(SALU_CYCLE_1)
	s_lshl_b64 s[42:43], s[42:43], 2
	s_waitcnt vmcnt(1)
	v_mad_i64_i32 v[3:4], null, v5, s25, v[1:2]
	s_waitcnt vmcnt(0)
	v_mad_i64_i32 v[5:6], null, v7, s25, v[1:2]
	v_lshl_or_b32 v1, v66, 8, v74
	s_clause 0x7
	global_load_b128 v[76:79], v[3:4], off
	global_load_b128 v[80:83], v[3:4], off offset:256
	global_load_b128 v[84:87], v[5:6], off
	global_load_b128 v[88:91], v[5:6], off offset:256
	global_load_b128 v[92:95], v[3:4], off offset:512
	;; [unrolled: 1-line block ×5, first 2 shown]
	s_load_b32 s13, s[40:41], 0x0
	s_add_u32 s40, s36, s42
	s_addc_u32 s41, s35, s43
	s_add_u32 s30, s30, s37
	s_addc_u32 s31, s31, s38
	v_add_co_u32 v1, s30, s30, v1
	s_delay_alu instid0(VALU_DEP_1) | instskip(SKIP_3) | instid1(VALU_DEP_1)
	v_add_co_ci_u32_e64 v2, null, s31, 0, s30
	s_load_b32 s30, s[40:41], 0x0
	s_mov_b32 s36, 0
	s_waitcnt lgkmcnt(0)
	v_mad_i64_i32 v[3:4], null, s29, s25, v[1:2]
	v_mad_i64_i32 v[9:10], null, s26, s25, v[1:2]
	;; [unrolled: 1-line block ×7, first 2 shown]
	s_clause 0x5
	global_load_b128 v[49:52], v[3:4], off
	global_load_b128 v[53:56], v[3:4], off offset:16
	global_load_b128 v[41:44], v[5:6], off
	global_load_b128 v[45:48], v[5:6], off offset:16
	;; [unrolled: 2-line block ×3, first 2 shown]
	s_mov_b32 s43, s36
	s_mov_b32 s37, s36
	v_mad_i64_i32 v[61:62], null, s30, s25, v[1:2]
	s_clause 0x9
	global_load_b128 v[1:4], v[9:10], off
	global_load_b128 v[5:8], v[9:10], off offset:16
	global_load_b128 v[9:12], v[13:14], off
	global_load_b128 v[13:16], v[13:14], off offset:16
	;; [unrolled: 2-line block ×5, first 2 shown]
	s_mov_b32 s38, s36
	s_mov_b32 s39, s36
	;; [unrolled: 1-line block ×5, first 2 shown]
	v_mov_b32_e32 v123, s11
	v_mov_b32_e32 v131, s43
	v_dual_mov_b32 v121, s9 :: v_dual_mov_b32 v126, s38
	v_dual_mov_b32 v119, s7 :: v_dual_mov_b32 v124, s36
	v_dual_mov_b32 v116, s4 :: v_dual_add_nc_u32 v65, s12, v65
	v_dual_mov_b32 v130, s42 :: v_dual_mov_b32 v129, s41
	v_dual_mov_b32 v128, s40 :: v_dual_mov_b32 v127, s39
	;; [unrolled: 1-line block ×3, first 2 shown]
	v_mov_b32_e32 v120, s8
	v_dual_mov_b32 v118, s6 :: v_dual_mov_b32 v117, s5
	v_or_b32_e32 v65, v65, v75
	s_waitcnt vmcnt(0)
	s_barrier
	buffer_gl0_inv
	v_or_b32_e32 v69, 4, v65
	v_or_b32_e32 v70, 6, v65
	;; [unrolled: 1-line block ×8, first 2 shown]
	v_cmp_gt_i32_e64 s3, s33, v69
	v_cmp_gt_i32_e64 s4, s33, v70
	v_cmp_gt_i32_e64 s5, s33, v71
	v_cmp_gt_i32_e64 s6, s33, v72
	v_cmp_gt_i32_e64 s7, s33, v140
	v_cmp_gt_i32_e64 s8, s33, v141
	v_cmp_gt_i32_e64 s9, s33, v142
	v_cmp_gt_i32_e64 s10, s33, v143
	v_wmma_f32_16x16x16_f16 v[132:139], v[76:83], v[108:115], v[124:131]
	v_wmma_f32_16x16x16_f16 v[124:131], v[84:91], v[108:115], v[124:131]
	v_or_b32_e32 v76, 20, v65
	v_or_b32_e32 v77, 22, v65
	s_delay_alu instid0(VALU_DEP_4)
	v_wmma_f32_16x16x16_f16 v[132:139], v[92:99], v[116:123], v[132:139]
	v_or_b32_e32 v78, 24, v65
	v_or_b32_e32 v79, 26, v65
	;; [unrolled: 1-line block ×4, first 2 shown]
	v_mul_f32_e32 v82, s24, v139
	v_wmma_f32_16x16x16_f16 v[124:131], v[100:107], v[116:123], v[124:131]
	v_cndmask_b32_e32 v67, v67, v68, vcc_lo
	v_or_b32_e32 v68, 2, v65
	v_dual_mul_f32 v88, s24, v133 :: v_dual_mul_f32 v89, s24, v132
	v_cmp_gt_i32_e32 vcc_lo, s33, v65
	v_mul_f32_e32 v86, s24, v135
	s_delay_alu instid0(VALU_DEP_4) | instskip(SKIP_3) | instid1(VALU_DEP_4)
	v_cmp_gt_i32_e64 s2, s33, v68
	v_dual_mul_f32 v92, s24, v129 :: v_dual_mul_f32 v87, s24, v134
	v_cndmask_b32_e32 v65, 0xff7fffff, v89, vcc_lo
	v_mul_f32_e32 v84, s24, v137
	v_cndmask_b32_e64 v68, 0xff7fffff, v88, s2
	v_dual_mul_f32 v85, s24, v136 :: v_dual_mul_f32 v96, s24, v125
	v_cndmask_b32_e64 v69, 0xff7fffff, v87, s3
	v_cndmask_b32_e64 v70, 0xff7fffff, v86, s4
	s_delay_alu instid0(VALU_DEP_4) | instskip(SKIP_3) | instid1(VALU_DEP_4)
	v_max3_f32 v65, v65, 0xff7fffff, v68
	v_dual_mul_f32 v83, s24, v138 :: v_dual_mul_f32 v94, s24, v127
	v_cndmask_b32_e64 v68, 0xff7fffff, v85, s5
	v_cndmask_b32_e64 v71, 0xff7fffff, v84, s6
	v_max3_f32 v65, v65, v69, v70
	v_mul_f32_e32 v97, s24, v124
	v_cndmask_b32_e64 v69, 0xff7fffff, v83, s7
	v_cndmask_b32_e64 v70, 0xff7fffff, v82, s8
	v_mul_f32_e32 v95, s24, v126
	v_max3_f32 v65, v65, v68, v71
	v_cndmask_b32_e64 v68, 0xff7fffff, v97, s9
	v_cndmask_b32_e64 v71, 0xff7fffff, v96, s10
	v_cmp_gt_i32_e64 s11, s33, v76
	v_cmp_gt_i32_e64 s12, s33, v77
	v_max3_f32 v65, v65, v69, v70
	v_mul_f32_e32 v93, s24, v128
	v_cmp_gt_i32_e64 s13, s33, v78
	v_cndmask_b32_e64 v69, 0xff7fffff, v95, s11
	v_cndmask_b32_e64 v70, 0xff7fffff, v94, s12
	v_max3_f32 v65, v65, v68, v71
	v_cmp_gt_i32_e64 s16, s33, v79
	v_dual_mul_f32 v90, s24, v131 :: v_dual_mul_f32 v91, s24, v130
	v_cndmask_b32_e64 v68, 0xff7fffff, v93, s13
	s_delay_alu instid0(VALU_DEP_4) | instskip(NEXT) | instid1(VALU_DEP_4)
	v_max3_f32 v65, v65, v69, v70
	v_cndmask_b32_e64 v71, 0xff7fffff, v92, s16
	v_cmp_gt_i32_e64 s17, s33, v80
	v_cmp_gt_i32_e64 s18, s33, v81
	s_delay_alu instid0(VALU_DEP_3) | instskip(NEXT) | instid1(VALU_DEP_3)
	v_max3_f32 v65, v65, v68, v71
	v_cndmask_b32_e64 v69, 0xff7fffff, v91, s17
	s_delay_alu instid0(VALU_DEP_3) | instskip(SKIP_1) | instid1(VALU_DEP_2)
	v_cndmask_b32_e64 v70, 0xff7fffff, v90, s18
	v_lshlrev_b32_e32 v68, 2, v67
	v_max3_f32 v65, v65, v69, v70
	ds_bpermute_b32 v67, v68, v65
	s_waitcnt lgkmcnt(0)
	v_max_f32_e32 v67, v67, v67
	s_delay_alu instid0(VALU_DEP_1) | instskip(NEXT) | instid1(VALU_DEP_1)
	v_max_f32_e32 v65, v65, v67
	v_fma_f32 v71, s24, v135, -v65
	v_fma_f32 v67, s24, v132, -v65
	;; [unrolled: 1-line block ×5, first 2 shown]
	v_mul_f32_e32 v71, 0x3fb8aa3b, v71
	s_delay_alu instid0(VALU_DEP_3) | instskip(NEXT) | instid1(VALU_DEP_3)
	v_dual_mul_f32 v67, 0x3fb8aa3b, v67 :: v_dual_mul_f32 v70, 0x3fb8aa3b, v70
	v_mul_f32_e32 v72, 0x3fb8aa3b, v72
	s_delay_alu instid0(VALU_DEP_3) | instskip(NEXT) | instid1(VALU_DEP_2)
	v_exp_f32_e32 v71, v71
	v_exp_f32_e32 v67, v67
	s_delay_alu instid0(VALU_DEP_2) | instskip(NEXT) | instid1(VALU_DEP_1)
	v_exp_f32_e32 v76, v70
	v_exp_f32_e32 v79, v72
	v_cndmask_b32_e64 v71, 0, v71, s4
	s_delay_alu instid0(TRANS32_DEP_3)
	v_dual_mul_f32 v69, 0x3fb8aa3b, v69 :: v_dual_cndmask_b32 v70, 0, v67
	v_fma_f32 v67, s24, v137, -v65
	s_waitcnt_depctr 0xfff
	v_cndmask_b32_e64 v72, 0, v76, s3
	v_cndmask_b32_e64 v84, 0, v79, s5
	v_exp_f32_e32 v69, v69
	v_add_f32_e32 v77, 0, v70
	v_mul_f32_e32 v67, 0x3fb8aa3b, v67
	s_mov_b32 s3, exec_lo
	s_delay_alu instid0(VALU_DEP_1) | instskip(SKIP_2) | instid1(VALU_DEP_1)
	v_exp_f32_e32 v67, v67
	s_waitcnt_depctr 0xfff
	v_cndmask_b32_e64 v69, 0, v69, s2
	v_add_f32_e32 v76, v77, v69
	v_cndmask_b32_e64 v83, 0, v67, s6
	s_delay_alu instid0(VALU_DEP_2) | instskip(NEXT) | instid1(VALU_DEP_1)
	v_add_f32_e32 v76, v76, v72
	v_add_f32_e32 v76, v76, v71
	s_delay_alu instid0(VALU_DEP_1) | instskip(SKIP_1) | instid1(VALU_DEP_1)
	v_add_f32_e32 v67, v76, v84
	v_fma_f32 v76, s24, v126, -v65
	v_dual_add_f32 v67, v67, v83 :: v_dual_mul_f32 v76, 0x3fb8aa3b, v76
	v_fma_f32 v78, s24, v138, -v65
	v_fma_f32 v77, s24, v139, -v65
	;; [unrolled: 1-line block ×4, first 2 shown]
	v_exp_f32_e32 v76, v76
	s_delay_alu instid0(VALU_DEP_3) | instskip(NEXT) | instid1(VALU_DEP_2)
	v_dual_mul_f32 v78, 0x3fb8aa3b, v78 :: v_dual_mul_f32 v77, 0x3fb8aa3b, v77
	v_dual_mul_f32 v80, 0x3fb8aa3b, v80 :: v_dual_mul_f32 v79, 0x3fb8aa3b, v79
	s_delay_alu instid0(VALU_DEP_2) | instskip(NEXT) | instid1(VALU_DEP_2)
	v_exp_f32_e32 v78, v78
	v_exp_f32_e32 v77, v77
	s_delay_alu instid0(VALU_DEP_1) | instskip(NEXT) | instid1(VALU_DEP_1)
	v_exp_f32_e32 v80, v80
	v_exp_f32_e32 v79, v79
	v_cndmask_b32_e64 v90, 0, v76, s11
	v_cndmask_b32_e64 v86, 0, v78, s7
	v_fma_f32 v78, s24, v127, -v65
	s_delay_alu instid0(TRANS32_DEP_3) | instskip(SKIP_1) | instid1(TRANS32_DEP_2)
	v_cndmask_b32_e64 v85, 0, v77, s8
	v_fma_f32 v77, s24, v128, -v65
	v_cndmask_b32_e64 v88, 0, v80, s9
	v_add_f32_e32 v67, v67, v86
	v_mul_f32_e32 v78, 0x3fb8aa3b, v78
	v_fma_f32 v80, s24, v129, -v65
	v_mul_f32_e32 v77, 0x3fb8aa3b, v77
	v_cndmask_b32_e64 v87, 0, v79, s10
	v_add_f32_e32 v67, v67, v85
	v_exp_f32_e32 v78, v78
	v_fma_f32 v79, s24, v130, -v65
	v_mul_f32_e32 v80, 0x3fb8aa3b, v80
	v_exp_f32_e32 v77, v77
	s_delay_alu instid0(VALU_DEP_2) | instskip(NEXT) | instid1(VALU_DEP_2)
	v_dual_add_f32 v67, v67, v88 :: v_dual_mul_f32 v76, 0x3fb8aa3b, v79
	v_exp_f32_e32 v79, v80
	s_delay_alu instid0(VALU_DEP_1) | instskip(NEXT) | instid1(TRANS32_DEP_3)
	v_add_f32_e32 v67, v67, v87
	v_cndmask_b32_e64 v89, 0, v78, s12
	v_fma_f32 v78, s24, v131, -v65
	v_exp_f32_e32 v76, v76
	s_delay_alu instid0(TRANS32_DEP_3) | instskip(SKIP_1) | instid1(VALU_DEP_3)
	v_cndmask_b32_e64 v92, 0, v77, s13
	v_add_f32_e32 v67, v67, v90
	v_mul_f32_e32 v77, 0x3fb8aa3b, v78
	s_delay_alu instid0(TRANS32_DEP_2) | instskip(NEXT) | instid1(VALU_DEP_3)
	v_cndmask_b32_e64 v91, 0, v79, s16
	v_add_f32_e32 v67, v67, v89
	s_delay_alu instid0(VALU_DEP_3) | instskip(NEXT) | instid1(TRANS32_DEP_2)
	v_exp_f32_e32 v77, v77
	v_cndmask_b32_e64 v94, 0, v76, s17
	v_and_b32_e32 v76, 31, v0
	s_delay_alu instid0(VALU_DEP_3) | instskip(NEXT) | instid1(VALU_DEP_2)
	v_add_f32_e32 v67, v67, v92
	v_cmp_lt_u32_e64 s2, 15, v76
	s_delay_alu instid0(VALU_DEP_2) | instskip(SKIP_3) | instid1(VALU_DEP_1)
	v_add_f32_e32 v67, v67, v91
	s_waitcnt_depctr 0xfff
	v_cndmask_b32_e64 v93, 0, v77, s18
	v_add_f32_e32 v67, v67, v94
	v_add_f32_e32 v67, v67, v93
	ds_bpermute_b32 v68, v68, v67
	v_cmpx_gt_u32_e32 16, v76
	s_cbranch_execz .LBB826_11
; %bb.10:
	v_mul_u32_u24_e32 v76, 0x44, v66
	s_waitcnt lgkmcnt(0)
	v_add_f32_e32 v67, v67, v68
	s_delay_alu instid0(VALU_DEP_2) | instskip(NEXT) | instid1(VALU_DEP_1)
	v_lshl_add_u32 v76, v73, 2, v76
	v_add_nc_u32_e32 v68, 0x4000, v76
	ds_store_2addr_b32 v68, v65, v67 offset1:136
.LBB826_11:
	s_or_b32 exec_lo, exec_lo, s3
	v_lshlrev_b32_e32 v65, 2, v73
	s_load_b64 s[36:37], s[0:1], 0x94
	s_waitcnt lgkmcnt(0)
	s_barrier
	buffer_gl0_inv
	v_add_nc_u32_e32 v65, 0x4000, v65
	v_cmp_eq_u32_e32 vcc_lo, 1, v66
	v_cmp_eq_u32_e64 s3, 2, v66
	v_cmp_eq_u32_e64 s5, 3, v66
	;; [unrolled: 1-line block ×3, first 2 shown]
	ds_load_2addr_b32 v[76:77], v65 offset1:17
	ds_load_2addr_b32 v[78:79], v65 offset0:34 offset1:51
	ds_load_2addr_b32 v[80:81], v65 offset0:68 offset1:85
	;; [unrolled: 1-line block ×3, first 2 shown]
	v_cmp_eq_u32_e64 s7, 5, v66
	v_cmp_eq_u32_e64 s4, 6, v66
	s_waitcnt lgkmcnt(3)
	v_max3_f32 v67, v76, 0xff7fffff, v77
	s_waitcnt lgkmcnt(2)
	s_delay_alu instid0(VALU_DEP_1) | instskip(SKIP_1) | instid1(VALU_DEP_1)
	v_max3_f32 v67, v67, v78, v79
	s_waitcnt lgkmcnt(1)
	v_max3_f32 v67, v67, v80, v81
	s_waitcnt lgkmcnt(0)
	s_delay_alu instid0(VALU_DEP_1) | instskip(NEXT) | instid1(VALU_DEP_1)
	v_max3_f32 v67, v67, v95, v96
	v_sub_f32_e32 v82, v77, v67
	ds_load_2addr_b32 v[97:98], v65 offset0:136 offset1:153
	v_sub_f32_e32 v68, v76, v67
	ds_load_2addr_b32 v[76:77], v65 offset0:170 offset1:187
	v_sub_f32_e32 v80, v80, v67
	v_mul_f32_e32 v82, 0x3fb8aa3b, v82
	v_mul_f32_e32 v68, 0x3fb8aa3b, v68
	s_delay_alu instid0(VALU_DEP_3) | instskip(NEXT) | instid1(VALU_DEP_2)
	v_mul_f32_e32 v102, 0x3fb8aa3b, v80
	v_exp_f32_e32 v99, v68
	v_sub_f32_e32 v68, v79, v67
	s_delay_alu instid0(VALU_DEP_1) | instskip(NEXT) | instid1(VALU_DEP_1)
	v_dual_sub_f32 v78, v78, v67 :: v_dual_mul_f32 v101, 0x3fb8aa3b, v68
	v_mul_f32_e32 v100, 0x3fb8aa3b, v78
	ds_load_2addr_b32 v[78:79], v65 offset0:204 offset1:221
	s_waitcnt lgkmcnt(2)
	v_fma_f32 v68, v99, v97, 0
	v_sub_f32_e32 v97, v81, v67
	ds_load_2addr_b32 v[80:81], v65 offset0:238 offset1:255
	v_sub_f32_e32 v65, v95, v67
	v_exp_f32_e32 v82, v82
	v_exp_f32_e32 v101, v101
	v_mul_f32_e32 v95, 0x3fb8aa3b, v97
	v_exp_f32_e32 v97, v102
	v_mul_f32_e32 v65, 0x3fb8aa3b, v65
	v_exp_f32_e32 v100, v100
	s_waitcnt lgkmcnt(0)
	v_exp_f32_e32 v95, v95
	s_barrier
	buffer_gl0_inv
	v_fmac_f32_e32 v68, v82, v98
	s_delay_alu instid0(VALU_DEP_1) | instskip(SKIP_2) | instid1(VALU_DEP_2)
	v_fmac_f32_e32 v68, v100, v76
	v_sub_f32_e32 v76, v96, v67
	v_exp_f32_e32 v96, v65
	v_fmac_f32_e32 v68, v101, v77
	s_delay_alu instid0(VALU_DEP_2) | instskip(NEXT) | instid1(VALU_DEP_2)
	v_mul_f32_e32 v76, 0x3fb8aa3b, v76
	v_fmac_f32_e32 v68, v97, v78
	s_delay_alu instid0(VALU_DEP_2) | instskip(SKIP_1) | instid1(VALU_DEP_2)
	v_exp_f32_e32 v98, v76
	v_cndmask_b32_e32 v76, v99, v82, vcc_lo
	v_fmac_f32_e32 v68, v95, v79
	s_delay_alu instid0(TRANS32_DEP_2) | instid1(VALU_DEP_1)
	v_fmac_f32_e32 v68, v96, v80
	v_lshlrev_b32_e32 v80, 6, v73
	s_waitcnt_depctr 0xfff
	v_fmac_f32_e32 v68, v98, v81
	v_lshl_or_b32 v82, v66, 11, v80
	s_delay_alu instid0(VALU_DEP_2) | instskip(NEXT) | instid1(VALU_DEP_1)
	v_add_f32_e32 v81, 0x358637bd, v68
	v_div_scale_f32 v102, null, v81, v81, 1.0
	v_div_scale_f32 v99, vcc_lo, 1.0, v81, 1.0
	s_delay_alu instid0(VALU_DEP_2) | instskip(SKIP_2) | instid1(VALU_DEP_1)
	v_rcp_f32_e32 v103, v102
	s_waitcnt_depctr 0xfff
	v_fma_f32 v65, -v102, v103, 1.0
	v_fmac_f32_e32 v103, v65, v103
	v_cndmask_b32_e64 v65, v76, v100, s3
	v_cmp_eq_u32_e64 s3, 7, v66
	v_lshlrev_b32_e32 v76, 2, v75
	s_delay_alu instid0(VALU_DEP_4) | instskip(NEXT) | instid1(VALU_DEP_4)
	v_mul_f32_e32 v100, v99, v103
	v_cndmask_b32_e64 v77, v65, v101, s5
	v_mov_b32_e32 v65, 0
	s_delay_alu instid0(VALU_DEP_4)
	v_or_b32_e32 v79, 1, v76
	v_cmp_eq_u32_e64 s5, 1, v76
	v_fma_f32 v78, -v102, v100, v99
	v_cndmask_b32_e64 v97, v77, v97, s6
	v_or_b32_e32 v77, 2, v76
	v_cmp_eq_u32_e64 s9, 1, v79
	v_cmp_eq_u32_e64 s6, 2, v76
	v_fmac_f32_e32 v100, v78, v103
	v_cndmask_b32_e64 v66, v97, v95, s7
	v_or_b32_e32 v78, 3, v76
	v_cmp_eq_u32_e64 s10, 1, v77
	v_cmp_eq_u32_e64 s12, 2, v79
	v_fma_f32 v95, -v102, v100, v99
	v_cndmask_b32_e64 v66, v66, v96, s4
	v_cmp_eq_u32_e64 s11, 1, v78
	v_cmp_eq_u32_e64 s17, 2, v78
	;; [unrolled: 1-line block ×3, first 2 shown]
	v_div_fmas_f32 v95, v95, v103, v100
	v_cndmask_b32_e64 v66, v66, v98, s3
	v_cmp_eq_u32_e32 vcc_lo, 3, v76
	v_cmp_eq_u32_e64 s16, 2, v77
	v_cmp_eq_u32_e64 s19, 3, v78
	v_div_fixup_f32 v95, v95, v81, 1.0
	v_lshl_or_b32 v81, v75, 4, v82
	v_cmp_eq_u32_e64 s4, 4, v76
	v_cmp_eq_u32_e64 s18, 3, v77
	;; [unrolled: 1-line block ×3, first 2 shown]
	v_mul_f32_e32 v66, v66, v95
	v_cmp_eq_u32_e64 s23, 4, v78
	v_cmp_eq_u32_e64 s7, 5, v76
	;; [unrolled: 1-line block ×4, first 2 shown]
	v_fma_mixlo_f16 v95, v66, v70, 0
	v_fma_mixlo_f16 v96, v66, v72, 0
	;; [unrolled: 1-line block ×8, first 2 shown]
	v_fma_mixhi_f16 v95, v66, v69, 0
	v_fma_mixhi_f16 v96, v66, v71, 0
	;; [unrolled: 1-line block ×8, first 2 shown]
	ds_store_b128 v81, v[95:98]
	ds_store_b128 v81, v[99:102] offset:1024
	s_waitcnt lgkmcnt(0)
	s_barrier
	buffer_gl0_inv
	ds_load_b128 v[69:72], v82
	ds_load_b128 v[83:86], v82 offset:16
	ds_load_b128 v[87:90], v82 offset:1024
	;; [unrolled: 1-line block ×3, first 2 shown]
	v_cmp_eq_u32_e64 s25, 5, v78
	v_cmp_eq_u32_e64 s3, 6, v76
	;; [unrolled: 1-line block ×10, first 2 shown]
	s_waitcnt lgkmcnt(3)
	v_lshrrev_b32_e32 v66, 16, v69
	s_waitcnt lgkmcnt(2)
	v_lshrrev_b32_e32 v98, 16, v83
	;; [unrolled: 2-line block ×4, first 2 shown]
	v_lshrrev_b32_e32 v95, 16, v70
	v_cndmask_b32_e64 v110, v69, v66, s5
	v_cndmask_b32_e64 v111, v83, v98, s5
	;; [unrolled: 1-line block ×7, first 2 shown]
	v_lshrrev_b32_e32 v99, 16, v84
	v_cndmask_b32_e64 v115, v83, v98, s10
	v_cndmask_b32_e64 v83, v87, v102, s5
	;; [unrolled: 1-line block ×15, first 2 shown]
	v_lshrrev_b32_e32 v103, 16, v88
	v_lshrrev_b32_e32 v107, 16, v92
	v_cndmask_b32_e64 v112, v114, v70, s16
	v_cndmask_b32_e64 v113, v115, v84, s16
	;; [unrolled: 1-line block ×7, first 2 shown]
	v_cndmask_b32_e32 v88, v102, v95, vcc_lo
	v_cndmask_b32_e32 v102, v106, v99, vcc_lo
	v_cndmask_b32_e64 v106, v110, v95, s13
	v_cndmask_b32_e64 v110, v111, v99, s13
	;; [unrolled: 1-line block ×4, first 2 shown]
	v_lshrrev_b32_e32 v96, 16, v71
	v_lshrrev_b32_e32 v100, 16, v85
	v_cndmask_b32_e64 v111, v112, v95, s18
	v_cndmask_b32_e64 v112, v113, v99, s18
	v_cndmask_b32_e32 v70, v70, v103, vcc_lo
	v_cndmask_b32_e32 v83, v83, v107, vcc_lo
	v_cndmask_b32_e64 v84, v84, v103, s13
	v_cndmask_b32_e64 v88, v88, v71, s4
	;; [unrolled: 1-line block ×7, first 2 shown]
	v_lshrrev_b32_e32 v104, 16, v89
	v_lshrrev_b32_e32 v108, 16, v93
	v_cndmask_b32_e64 v106, v111, v71, s22
	v_cndmask_b32_e64 v110, v112, v85, s22
	;; [unrolled: 1-line block ×11, first 2 shown]
	v_lshrrev_b32_e32 v97, 16, v72
	v_lshrrev_b32_e32 v101, 16, v86
	v_cndmask_b32_e64 v99, v106, v96, s24
	v_cndmask_b32_e64 v102, v110, v100, s24
	;; [unrolled: 1-line block ×11, first 2 shown]
	v_lshrrev_b32_e32 v105, 16, v90
	v_cndmask_b32_e64 v96, v99, v72, s27
	v_cndmask_b32_e64 v99, v102, v86, s27
	;; [unrolled: 1-line block ×14, first 2 shown]
	v_perm_b32 v72, v69, v66, 0x5040100
	v_perm_b32 v70, v95, v85, 0x5040100
	v_cndmask_b32_e64 v66, v91, v92, s17
	v_cndmask_b32_e64 v69, v119, v92, s16
	;; [unrolled: 1-line block ×4, first 2 shown]
	v_perm_b32 v71, v96, v88, 0x5040100
	v_cndmask_b32_e64 v88, v98, v103, s18
	v_cndmask_b32_e64 v87, v87, v103, s19
	;; [unrolled: 1-line block ×15, first 2 shown]
	v_lshrrev_b32_e32 v109, 16, v94
	v_cndmask_b32_e64 v88, v88, v90, s27
	v_cndmask_b32_e64 v87, v87, v90, s28
	;; [unrolled: 1-line block ×11, first 2 shown]
	v_perm_b32 v69, v84, v83, 0x5040100
	v_perm_b32 v86, v66, v87, 0x5040100
	;; [unrolled: 1-line block ×5, first 2 shown]
	s_mov_b32 s3, exec_lo
	ds_store_b128 v81, v[69:72]
	ds_store_b128 v81, v[83:86] offset:1024
	v_cmpx_eq_u32_e32 0, v0
	s_cbranch_execz .LBB826_13
; %bb.12:
	s_load_b128 s[4:7], s[0:1], 0x58
	s_mul_i32 s8, s37, s34
	s_delay_alu instid0(SALU_CYCLE_1) | instskip(NEXT) | instid1(SALU_CYCLE_1)
	s_add_i32 s8, s8, s15
	s_mul_i32 s8, s8, s36
	s_delay_alu instid0(SALU_CYCLE_1) | instskip(NEXT) | instid1(SALU_CYCLE_1)
	s_add_i32 s8, s8, s14
	s_ashr_i32 s9, s8, 31
	s_delay_alu instid0(SALU_CYCLE_1)
	s_lshl_b64 s[8:9], s[8:9], 2
	s_waitcnt lgkmcnt(0)
	s_add_u32 s6, s6, s8
	s_addc_u32 s7, s7, s9
	s_add_u32 s4, s4, s8
	s_addc_u32 s5, s5, s9
	s_clause 0x1
	global_store_b32 v65, v67, s[6:7]
	global_store_b32 v65, v68, s[4:5]
.LBB826_13:
	s_or_b32 exec_lo, exec_lo, s3
	s_waitcnt lgkmcnt(0)
	s_waitcnt_vscnt null, 0x0
	s_barrier
	buffer_gl0_inv
	ds_load_b128 v[83:86], v80
	ds_load_b128 v[87:90], v80 offset:16
	ds_load_b128 v[95:98], v80 offset:2064
	;; [unrolled: 1-line block ×5, first 2 shown]
	v_mov_b32_e32 v66, v65
	v_mov_b32_e32 v67, v65
	;; [unrolled: 1-line block ×7, first 2 shown]
	ds_load_b128 v[111:114], v80 offset:6160
	ds_load_b128 v[107:110], v80 offset:6144
	;; [unrolled: 1-line block ×4, first 2 shown]
	v_cmp_eq_u32_e32 vcc_lo, 1, v76
	v_cmp_eq_u32_e64 s3, 1, v79
	v_cmp_eq_u32_e64 s4, 1, v78
	;; [unrolled: 1-line block ×5, first 2 shown]
	s_waitcnt lgkmcnt(8)
	v_wmma_f32_16x16x16_f16 v[65:72], v[49:56], v[83:90], v[65:72]
	ds_load_b128 v[53:56], v80 offset:10256
	ds_load_b128 v[49:52], v80 offset:10240
	s_waitcnt lgkmcnt(8)
	v_wmma_f32_16x16x16_f16 v[65:72], v[41:48], v[91:98], v[65:72]
	ds_load_b128 v[45:48], v80 offset:12304
	ds_load_b128 v[41:44], v80 offset:12288
	;; [unrolled: 4-line block ×3, first 2 shown]
	s_waitcnt lgkmcnt(0)
	s_barrier
	buffer_gl0_inv
	v_wmma_f32_16x16x16_f16 v[65:72], v[1:8], v[107:114], v[65:72]
	s_delay_alu instid0(VALU_DEP_1) | instskip(NEXT) | instid1(VALU_DEP_1)
	v_wmma_f32_16x16x16_f16 v[65:72], v[9:16], v[115:122], v[65:72]
	v_wmma_f32_16x16x16_f16 v[65:72], v[17:24], v[49:56], v[65:72]
	s_delay_alu instid0(VALU_DEP_1) | instskip(NEXT) | instid1(VALU_DEP_1)
	v_wmma_f32_16x16x16_f16 v[65:72], v[25:32], v[41:48], v[65:72]
	v_wmma_f32_16x16x16_f16 v[65:72], v[57:64], v[33:40], v[65:72]
	s_delay_alu instid0(VALU_DEP_1) | instskip(NEXT) | instid1(VALU_DEP_2)
	v_cvt_f16_f32_e32 v1, v65
	v_cvt_f16_f32_e32 v2, v66
	s_delay_alu instid0(VALU_DEP_3) | instskip(NEXT) | instid1(VALU_DEP_4)
	v_cvt_f16_f32_e32 v3, v67
	v_cvt_f16_f32_e32 v4, v68
	;; [unrolled: 1-line block ×6, first 2 shown]
	v_pack_b32_f16 v1, v1, v2
	v_pack_b32_f16 v2, v3, v4
	;; [unrolled: 1-line block ×3, first 2 shown]
	s_delay_alu instid0(VALU_DEP_4)
	v_pack_b32_f16 v4, v7, v8
	ds_store_b128 v81, v[1:4]
	s_waitcnt lgkmcnt(0)
	s_barrier
	buffer_gl0_inv
	ds_load_b128 v[1:4], v82
	ds_load_b128 v[5:8], v82 offset:16
	s_waitcnt lgkmcnt(1)
	v_lshrrev_b32_e32 v9, 16, v1
	s_waitcnt lgkmcnt(0)
	v_lshrrev_b32_e32 v13, 16, v5
	v_lshrrev_b32_e32 v16, 16, v8
	;; [unrolled: 1-line block ×4, first 2 shown]
	v_cndmask_b32_e32 v17, v1, v9, vcc_lo
	v_cndmask_b32_e32 v18, v5, v13, vcc_lo
	v_cmp_eq_u32_e32 vcc_lo, 1, v77
	v_cndmask_b32_e64 v19, v1, v9, s3
	v_cndmask_b32_e64 v20, v5, v13, s3
	v_cmp_eq_u32_e64 s3, 2, v77
	v_lshrrev_b32_e32 v11, 16, v3
	v_cndmask_b32_e32 v21, v1, v9, vcc_lo
	v_cndmask_b32_e32 v22, v5, v13, vcc_lo
	v_cndmask_b32_e64 v1, v1, v9, s4
	v_cmp_eq_u32_e32 vcc_lo, 2, v78
	v_cndmask_b32_e64 v5, v5, v13, s4
	v_cmp_eq_u32_e64 s4, 2, v79
	v_cndmask_b32_e64 v9, v17, v2, s5
	v_cndmask_b32_e64 v13, v18, v6, s5
	v_cmp_eq_u32_e64 s5, 3, v79
	v_cndmask_b32_e32 v1, v1, v2, vcc_lo
	v_cndmask_b32_e64 v17, v19, v2, s4
	v_cndmask_b32_e64 v18, v20, v6, s4
	;; [unrolled: 1-line block ×4, first 2 shown]
	v_cndmask_b32_e32 v2, v5, v6, vcc_lo
	v_cmp_eq_u32_e32 vcc_lo, 3, v77
	v_cmp_eq_u32_e64 s4, 3, v78
	v_cndmask_b32_e64 v5, v9, v10, s6
	v_cndmask_b32_e64 v6, v13, v14, s6
	;; [unrolled: 1-line block ×4, first 2 shown]
	v_cndmask_b32_e32 v17, v19, v10, vcc_lo
	v_cmp_eq_u32_e64 s3, 4, v77
	v_cndmask_b32_e32 v18, v20, v14, vcc_lo
	v_cndmask_b32_e64 v1, v1, v10, s4
	v_cmp_eq_u32_e32 vcc_lo, 4, v78
	v_cmp_eq_u32_e64 s5, 4, v76
	v_cndmask_b32_e64 v2, v2, v14, s4
	v_cmp_eq_u32_e64 s4, 4, v79
	v_lshrrev_b32_e32 v15, 16, v7
	v_cmp_eq_u32_e64 s6, 5, v76
	v_cndmask_b32_e64 v5, v5, v3, s5
	v_cndmask_b32_e64 v6, v6, v7, s5
	;; [unrolled: 1-line block ×6, first 2 shown]
	v_cmp_eq_u32_e64 s4, 5, v77
	v_cndmask_b32_e32 v1, v1, v3, vcc_lo
	v_cndmask_b32_e32 v2, v2, v7, vcc_lo
	v_cmp_eq_u32_e32 vcc_lo, 5, v78
	v_cmp_eq_u32_e64 s5, 5, v79
	v_cndmask_b32_e64 v5, v5, v11, s6
	v_cmp_eq_u32_e64 s3, 6, v76
	v_cndmask_b32_e64 v6, v6, v15, s6
	v_cndmask_b32_e64 v13, v13, v11, s4
	;; [unrolled: 1-line block ×3, first 2 shown]
	v_cndmask_b32_e32 v1, v1, v11, vcc_lo
	v_cmp_eq_u32_e64 s4, 6, v78
	v_cndmask_b32_e32 v2, v2, v15, vcc_lo
	v_cndmask_b32_e64 v9, v9, v11, s5
	v_cndmask_b32_e64 v10, v10, v15, s5
	v_cmp_eq_u32_e64 s5, 6, v79
	v_lshrrev_b32_e32 v12, 16, v4
	v_cndmask_b32_e64 v5, v5, v4, s3
	v_cndmask_b32_e64 v6, v6, v8, s3
	v_cmp_eq_u32_e64 s3, 7, v76
	v_cndmask_b32_e64 v1, v1, v4, s4
	v_cmp_eq_u32_e32 vcc_lo, 7, v78
	v_cndmask_b32_e64 v2, v2, v8, s4
	v_cndmask_b32_e64 v9, v9, v4, s5
	v_cmp_eq_u32_e64 s6, 7, v79
	v_cndmask_b32_e64 v7, v13, v4, s7
	v_cndmask_b32_e64 v3, v3, v8, s7
	v_cndmask_b32_e32 v2, v2, v16, vcc_lo
	v_cmp_eq_u32_e64 s4, 7, v77
	v_cndmask_b32_e64 v4, v10, v8, s5
	v_cndmask_b32_e64 v5, v5, v12, s3
	v_cndmask_b32_e32 v1, v1, v12, vcc_lo
	v_cndmask_b32_e64 v6, v6, v16, s3
	v_cmp_lt_u32_e32 vcc_lo, 31, v0
	v_cmp_lt_u32_e64 s3, 7, v73
	v_cndmask_b32_e64 v9, v9, v12, s6
	v_cndmask_b32_e64 v7, v7, v12, s4
	;; [unrolled: 1-line block ×4, first 2 shown]
	s_or_b32 s3, vcc_lo, s3
	v_perm_b32 v4, v2, v1, 0x5040100
	v_perm_b32 v1, v6, v5, 0x5040100
	;; [unrolled: 1-line block ×4, first 2 shown]
	s_or_b32 s2, s2, s3
	s_delay_alu instid0(SALU_CYCLE_1)
	s_xor_b32 s2, s2, -1
	ds_store_b128 v81, v[1:4]
	s_waitcnt lgkmcnt(0)
	s_barrier
	buffer_gl0_inv
	s_and_saveexec_b32 s3, s2
	s_cbranch_execz .LBB826_2
; %bb.14:
	s_load_b64 s[0:1], s[0:1], 0x68
	v_lshlrev_b32_e32 v1, 10, v0
	v_and_b32_e32 v0, 1, v0
	v_lshlrev_b32_e32 v2, 6, v75
	s_lshl_b32 s4, s36, 6
	s_delay_alu instid0(VALU_DEP_3) | instskip(NEXT) | instid1(VALU_DEP_3)
	v_and_b32_e32 v1, 0x3800, v1
	v_lshlrev_b32_e32 v0, 4, v0
	s_mul_i32 s2, s4, s34
	s_delay_alu instid0(SALU_CYCLE_1) | instskip(NEXT) | instid1(VALU_DEP_1)
	s_mul_i32 s2, s2, s37
	v_or3_b32 v0, v1, v2, v0
	s_ashr_i32 s3, s2, 31
	s_delay_alu instid0(SALU_CYCLE_1)
	s_lshl_b64 s[2:3], s[2:3], 1
	ds_load_b128 v[0:3], v0
	s_waitcnt lgkmcnt(0)
	s_add_u32 s5, s0, s2
	s_addc_u32 s3, s1, s3
	s_lshl_b32 s0, s14, 6
	s_mul_i32 s2, s4, s15
	s_ashr_i32 s1, s0, 31
	s_delay_alu instid0(SALU_CYCLE_1) | instskip(NEXT) | instid1(SALU_CYCLE_1)
	s_lshl_b64 s[0:1], s[0:1], 1
	s_add_u32 s4, s5, s0
	s_addc_u32 s5, s3, s1
	s_ashr_i32 s3, s2, 31
	s_delay_alu instid0(SALU_CYCLE_1) | instskip(NEXT) | instid1(SALU_CYCLE_1)
	s_lshl_b64 s[0:1], s[2:3], 1
	s_add_u32 s0, s4, s0
	s_addc_u32 s1, s5, s1
	global_store_b128 v74, v[0:3], s[0:1]
	s_nop 0
	s_sendmsg sendmsg(MSG_DEALLOC_VGPRS)
	s_endpgm
	.section	.rodata,"a",@progbits
	.p2align	6, 0x0
	.amdhsa_kernel _Z39paged_attention_ll4mi_QKV_mfma16_kernelIDF16_hLN4vllm18Fp8KVCacheDataTypeE1EDF16_Li16ELi64ELi256ELb1ELi1EL8MFMAType1EEvPKT_PKT0_S8_ifPKiSA_SA_iPKfiiiPfSD_PS3_PT2_iSC_SC_
		.amdhsa_group_segment_fixed_size 17472
		.amdhsa_private_segment_fixed_size 0
		.amdhsa_kernarg_size 400
		.amdhsa_user_sgpr_count 13
		.amdhsa_user_sgpr_dispatch_ptr 0
		.amdhsa_user_sgpr_queue_ptr 0
		.amdhsa_user_sgpr_kernarg_segment_ptr 1
		.amdhsa_user_sgpr_dispatch_id 0
		.amdhsa_user_sgpr_private_segment_size 0
		.amdhsa_wavefront_size32 1
		.amdhsa_uses_dynamic_stack 0
		.amdhsa_enable_private_segment 0
		.amdhsa_system_sgpr_workgroup_id_x 1
		.amdhsa_system_sgpr_workgroup_id_y 1
		.amdhsa_system_sgpr_workgroup_id_z 1
		.amdhsa_system_sgpr_workgroup_info 0
		.amdhsa_system_vgpr_workitem_id 0
		.amdhsa_next_free_vgpr 144
		.amdhsa_next_free_sgpr 48
		.amdhsa_reserve_vcc 1
		.amdhsa_float_round_mode_32 0
		.amdhsa_float_round_mode_16_64 0
		.amdhsa_float_denorm_mode_32 3
		.amdhsa_float_denorm_mode_16_64 3
		.amdhsa_dx10_clamp 1
		.amdhsa_ieee_mode 1
		.amdhsa_fp16_overflow 0
		.amdhsa_workgroup_processor_mode 1
		.amdhsa_memory_ordered 1
		.amdhsa_forward_progress 0
		.amdhsa_shared_vgpr_count 0
		.amdhsa_exception_fp_ieee_invalid_op 0
		.amdhsa_exception_fp_denorm_src 0
		.amdhsa_exception_fp_ieee_div_zero 0
		.amdhsa_exception_fp_ieee_overflow 0
		.amdhsa_exception_fp_ieee_underflow 0
		.amdhsa_exception_fp_ieee_inexact 0
		.amdhsa_exception_int_div_zero 0
	.end_amdhsa_kernel
	.section	.text._Z39paged_attention_ll4mi_QKV_mfma16_kernelIDF16_hLN4vllm18Fp8KVCacheDataTypeE1EDF16_Li16ELi64ELi256ELb1ELi1EL8MFMAType1EEvPKT_PKT0_S8_ifPKiSA_SA_iPKfiiiPfSD_PS3_PT2_iSC_SC_,"axG",@progbits,_Z39paged_attention_ll4mi_QKV_mfma16_kernelIDF16_hLN4vllm18Fp8KVCacheDataTypeE1EDF16_Li16ELi64ELi256ELb1ELi1EL8MFMAType1EEvPKT_PKT0_S8_ifPKiSA_SA_iPKfiiiPfSD_PS3_PT2_iSC_SC_,comdat
.Lfunc_end826:
	.size	_Z39paged_attention_ll4mi_QKV_mfma16_kernelIDF16_hLN4vllm18Fp8KVCacheDataTypeE1EDF16_Li16ELi64ELi256ELb1ELi1EL8MFMAType1EEvPKT_PKT0_S8_ifPKiSA_SA_iPKfiiiPfSD_PS3_PT2_iSC_SC_, .Lfunc_end826-_Z39paged_attention_ll4mi_QKV_mfma16_kernelIDF16_hLN4vllm18Fp8KVCacheDataTypeE1EDF16_Li16ELi64ELi256ELb1ELi1EL8MFMAType1EEvPKT_PKT0_S8_ifPKiSA_SA_iPKfiiiPfSD_PS3_PT2_iSC_SC_
                                        ; -- End function
	.section	.AMDGPU.csdata,"",@progbits
; Kernel info:
; codeLenInByte = 6204
; NumSgprs: 50
; NumVgprs: 144
; ScratchSize: 0
; MemoryBound: 1
; FloatMode: 240
; IeeeMode: 1
; LDSByteSize: 17472 bytes/workgroup (compile time only)
; SGPRBlocks: 6
; VGPRBlocks: 17
; NumSGPRsForWavesPerEU: 50
; NumVGPRsForWavesPerEU: 144
; Occupancy: 10
; WaveLimiterHint : 1
; COMPUTE_PGM_RSRC2:SCRATCH_EN: 0
; COMPUTE_PGM_RSRC2:USER_SGPR: 13
; COMPUTE_PGM_RSRC2:TRAP_HANDLER: 0
; COMPUTE_PGM_RSRC2:TGID_X_EN: 1
; COMPUTE_PGM_RSRC2:TGID_Y_EN: 1
; COMPUTE_PGM_RSRC2:TGID_Z_EN: 1
; COMPUTE_PGM_RSRC2:TIDIG_COMP_CNT: 0
	.section	.text._Z39paged_attention_ll4mi_QKV_mfma16_kernelIDF16_hLN4vllm18Fp8KVCacheDataTypeE1EDF16_Li16ELi64ELi256ELb1ELi2EL8MFMAType1EEvPKT_PKT0_S8_ifPKiSA_SA_iPKfiiiPfSD_PS3_PT2_iSC_SC_,"axG",@progbits,_Z39paged_attention_ll4mi_QKV_mfma16_kernelIDF16_hLN4vllm18Fp8KVCacheDataTypeE1EDF16_Li16ELi64ELi256ELb1ELi2EL8MFMAType1EEvPKT_PKT0_S8_ifPKiSA_SA_iPKfiiiPfSD_PS3_PT2_iSC_SC_,comdat
	.protected	_Z39paged_attention_ll4mi_QKV_mfma16_kernelIDF16_hLN4vllm18Fp8KVCacheDataTypeE1EDF16_Li16ELi64ELi256ELb1ELi2EL8MFMAType1EEvPKT_PKT0_S8_ifPKiSA_SA_iPKfiiiPfSD_PS3_PT2_iSC_SC_ ; -- Begin function _Z39paged_attention_ll4mi_QKV_mfma16_kernelIDF16_hLN4vllm18Fp8KVCacheDataTypeE1EDF16_Li16ELi64ELi256ELb1ELi2EL8MFMAType1EEvPKT_PKT0_S8_ifPKiSA_SA_iPKfiiiPfSD_PS3_PT2_iSC_SC_
	.globl	_Z39paged_attention_ll4mi_QKV_mfma16_kernelIDF16_hLN4vllm18Fp8KVCacheDataTypeE1EDF16_Li16ELi64ELi256ELb1ELi2EL8MFMAType1EEvPKT_PKT0_S8_ifPKiSA_SA_iPKfiiiPfSD_PS3_PT2_iSC_SC_
	.p2align	8
	.type	_Z39paged_attention_ll4mi_QKV_mfma16_kernelIDF16_hLN4vllm18Fp8KVCacheDataTypeE1EDF16_Li16ELi64ELi256ELb1ELi2EL8MFMAType1EEvPKT_PKT0_S8_ifPKiSA_SA_iPKfiiiPfSD_PS3_PT2_iSC_SC_,@function
_Z39paged_attention_ll4mi_QKV_mfma16_kernelIDF16_hLN4vllm18Fp8KVCacheDataTypeE1EDF16_Li16ELi64ELi256ELb1ELi2EL8MFMAType1EEvPKT_PKT0_S8_ifPKiSA_SA_iPKfiiiPfSD_PS3_PT2_iSC_SC_: ; @_Z39paged_attention_ll4mi_QKV_mfma16_kernelIDF16_hLN4vllm18Fp8KVCacheDataTypeE1EDF16_Li16ELi64ELi256ELb1ELi2EL8MFMAType1EEvPKT_PKT0_S8_ifPKiSA_SA_iPKfiiiPfSD_PS3_PT2_iSC_SC_
; %bb.0:
	s_load_b64 s[2:3], s[0:1], 0x30
	s_mov_b32 s30, s13
	s_waitcnt lgkmcnt(0)
	s_cmp_lg_u64 s[2:3], 0
	s_cselect_b32 s6, -1, 0
	s_ashr_i32 s31, s13, 31
	s_cmp_eq_u64 s[2:3], 0
	s_cbranch_scc1 .LBB827_3
; %bb.1:
	s_lshl_b64 s[4:5], s[30:31], 2
	s_delay_alu instid0(SALU_CYCLE_1) | instskip(SKIP_4) | instid1(SALU_CYCLE_1)
	s_add_u32 s4, s2, s4
	s_addc_u32 s5, s3, s5
	s_load_b64 s[4:5], s[4:5], 0x0
	s_waitcnt lgkmcnt(0)
	s_sub_i32 s4, s5, s4
	s_cmp_eq_u32 s4, 1
	s_cselect_b32 s4, -1, 0
	s_delay_alu instid0(SALU_CYCLE_1)
	s_and_not1_b32 vcc_lo, exec_lo, s4
	s_cbranch_vccz .LBB827_4
.LBB827_2:
	s_endpgm
.LBB827_3:
.LBB827_4:
	s_load_b64 s[8:9], s[0:1], 0x28
	s_lshl_b64 s[4:5], s[30:31], 2
	s_waitcnt lgkmcnt(0)
	s_add_u32 s8, s8, s4
	s_addc_u32 s9, s9, s5
	s_lshl_b32 s16, s14, 8
	s_load_b32 s17, s[8:9], 0x0
	s_waitcnt lgkmcnt(0)
	s_cmp_ge_i32 s16, s17
	s_cbranch_scc1 .LBB827_2
; %bb.5:
	s_clause 0x1
	s_load_b128 s[8:11], s[0:1], 0x8
	s_load_b64 s[12:13], s[0:1], 0x20
	s_and_not1_b32 vcc_lo, exec_lo, s6
	s_cbranch_vccnz .LBB827_7
; %bb.6:
	s_add_u32 s2, s2, s4
	s_addc_u32 s3, s3, s5
	s_load_b32 s3, s[2:3], 0x0
	s_branch .LBB827_8
.LBB827_7:
	s_mov_b32 s3, s30
.LBB827_8:
	s_load_b128 s[4:7], s[0:1], 0x48
	v_and_b32_e32 v70, 15, v0
	v_bfe_u32 v69, v0, 4, 1
	s_lshl_b32 s33, s15, 1
	v_cmp_gt_u32_e32 vcc_lo, 32, v0
	v_and_b32_e32 v71, 31, v0
	v_lshlrev_b32_e32 v1, 3, v70
	v_cmp_gt_u32_e64 s2, 8, v70
	v_and_b32_e32 v68, 1, v0
	v_or_b32_e32 v67, s33, v69
	v_lshlrev_b32_e32 v66, 6, v69
	v_lshlrev_b32_e32 v65, 1, v1
	s_and_b32 s31, vcc_lo, s2
	s_delay_alu instid0(SALU_CYCLE_1)
	s_and_saveexec_b32 s2, s31
	s_cbranch_execz .LBB827_10
; %bb.9:
	s_load_b64 s[18:19], s[0:1], 0x0
	v_lshlrev_b32_e32 v1, 6, v67
	s_waitcnt lgkmcnt(0)
	s_mul_hi_i32 s21, s3, s4
	s_mul_i32 s20, s3, s4
	v_lshlrev_b32_e32 v5, 10, v70
	s_lshl_b64 s[20:21], s[20:21], 1
	v_ashrrev_i32_e32 v2, 31, v1
	v_lshlrev_b32_e32 v6, 10, v68
	s_delay_alu instid0(VALU_DEP_3) | instskip(NEXT) | instid1(VALU_DEP_3)
	v_and_b32_e32 v5, 0x3800, v5
	v_lshlrev_b64 v[1:2], 1, v[1:2]
	s_delay_alu instid0(VALU_DEP_2) | instskip(SKIP_2) | instid1(VALU_DEP_2)
	v_or3_b32 v5, v5, v6, v66
	s_add_u32 s3, s18, s20
	s_addc_u32 s4, s19, s21
	v_add_co_u32 v1, vcc_lo, s3, v1
	s_delay_alu instid0(VALU_DEP_3) | instskip(NEXT) | instid1(VALU_DEP_2)
	v_add_co_ci_u32_e32 v2, vcc_lo, s4, v2, vcc_lo
	v_add_co_u32 v1, vcc_lo, v1, v65
	s_delay_alu instid0(VALU_DEP_2)
	v_add_co_ci_u32_e32 v2, vcc_lo, 0, v2, vcc_lo
	global_load_b128 v[1:4], v[1:2], off
	s_waitcnt vmcnt(0)
	ds_store_b128 v5, v[1:4]
.LBB827_10:
	s_or_b32 exec_lo, exec_lo, s2
	v_and_b32_e32 v1, 0xef, v0
	s_add_i32 s2, s17, 15
	s_waitcnt lgkmcnt(0)
	s_clause 0x1
	s_load_b32 s3, s[0:1], 0x38
	s_load_b32 s34, s[0:1], 0x98
	s_ashr_i32 s4, s2, 31
	v_add_nc_u32_e32 v1, s16, v1
	s_lshr_b32 s4, s4, 28
	s_load_b32 s18, s[0:1], 0x1c
	s_add_i32 s2, s2, s4
	s_waitcnt lgkmcnt(0)
	v_ashrrev_i32_e32 v2, 31, v1
	v_or_b32_e32 v3, 16, v1
	s_ashr_i32 s2, s2, 4
	v_cmp_gt_i32_e32 vcc_lo, s17, v1
	s_add_i32 s2, s2, -1
	v_lshrrev_b32_e32 v2, 28, v2
	s_barrier
	buffer_gl0_inv
	s_mul_i32 s15, s15, s6
	v_lshrrev_b32_e32 v72, 5, v0
	v_add_nc_u32_e32 v4, v1, v2
	v_mbcnt_lo_u32_b32 v129, -1, 0
	s_mul_i32 s20, s30, s3
	v_and_b32_e32 v105, 0xe0, v0
	s_ashr_i32 s21, s20, 31
	v_ashrrev_i32_e32 v4, 4, v4
	v_add_nc_u32_e32 v2, v3, v2
	s_lshl_b64 s[20:21], s[20:21], 2
	v_xor_b32_e32 v130, 16, v129
	s_add_u32 s19, s12, s20
	v_cndmask_b32_e32 v1, s2, v4, vcc_lo
	v_ashrrev_i32_e32 v2, 4, v2
	v_cmp_gt_i32_e32 vcc_lo, s17, v3
	s_addc_u32 s12, s13, s21
	s_ashr_i32 s13, s15, 31
	s_add_u32 s3, s8, s15
	s_addc_u32 s4, s9, s13
	v_cndmask_b32_e32 v3, s2, v2, vcc_lo
	v_ashrrev_i32_e32 v2, 31, v1
	s_lshl_b32 s6, s14, 4
	v_add_nc_u32_e32 v121, s16, v105
	s_ashr_i32 s7, s6, 31
	v_ashrrev_i32_e32 v4, 31, v3
	v_lshlrev_b64 v[1:2], 2, v[1:2]
	s_lshl_b64 s[6:7], s[6:7], 2
	v_or_b32_e32 v137, v121, v69
	s_add_u32 s6, s19, s6
	v_lshlrev_b64 v[3:4], 2, v[3:4]
	s_addc_u32 s7, s12, s7
	v_add_co_u32 v1, vcc_lo, s19, v1
	v_add_co_ci_u32_e32 v2, vcc_lo, s12, v2, vcc_lo
	s_delay_alu instid0(VALU_DEP_3) | instskip(NEXT) | instid1(VALU_DEP_4)
	v_add_co_u32 v3, vcc_lo, s19, v3
	v_add_co_ci_u32_e32 v4, vcc_lo, s12, v4, vcc_lo
	s_clause 0x1
	global_load_b32 v5, v[1:2], off
	global_load_b32 v7, v[3:4], off
	s_or_b32 s8, s16, 32
	v_lshlrev_b32_e32 v1, 4, v0
	s_ashr_i32 s9, s8, 4
	s_cmp_lt_i32 s8, s17
	v_cmp_gt_i32_e32 vcc_lo, 32, v130
	s_cselect_b32 s8, s9, s2
	v_and_b32_e32 v1, 0xf0, v1
	s_ashr_i32 s9, s8, 31
	v_dual_cndmask_b32 v138, v129, v130 :: v_dual_lshlrev_b32 v117, 6, v68
	s_lshl_b64 s[8:9], s[8:9], 2
	s_delay_alu instid0(VALU_DEP_2)
	v_add_co_u32 v1, s3, s3, v1
	s_add_u32 s20, s19, s8
	s_addc_u32 s21, s12, s9
	s_or_b32 s8, s16, 64
	v_add_co_ci_u32_e64 v2, null, s4, 0, s3
	s_ashr_i32 s9, s8, 4
	s_cmp_lt_i32 s8, s17
	v_or_b32_e32 v139, 2, v137
	s_cselect_b32 s8, s9, s2
	v_or_b32_e32 v140, 4, v137
	s_ashr_i32 s9, s8, 31
	v_or_b32_e32 v141, 6, v137
	s_lshl_b64 s[8:9], s[8:9], 2
	v_cmp_gt_i32_e32 vcc_lo, s17, v137
	s_add_u32 s22, s19, s8
	s_addc_u32 s23, s12, s9
	s_or_b32 s8, s16, 0x60
	v_or_b32_e32 v142, 8, v137
	s_ashr_i32 s9, s8, 4
	s_cmp_lt_i32 s8, s17
	v_or_b32_e32 v143, 10, v137
	s_cselect_b32 s8, s9, s2
	v_or_b32_e32 v144, 12, v137
	s_ashr_i32 s9, s8, 31
	v_or_b32_e32 v145, 14, v137
	s_lshl_b64 s[8:9], s[8:9], 2
	v_or_b32_e32 v146, 16, v137
	s_add_u32 s24, s19, s8
	s_addc_u32 s25, s12, s9
	s_or_b32 s8, s16, 0x80
	v_or_b32_e32 v147, 18, v137
	s_ashr_i32 s9, s8, 4
	s_cmp_lt_i32 s8, s17
	s_cselect_b32 s8, s9, s2
	s_delay_alu instid0(SALU_CYCLE_1) | instskip(NEXT) | instid1(SALU_CYCLE_1)
	s_ashr_i32 s9, s8, 31
	s_lshl_b64 s[8:9], s[8:9], 2
	s_delay_alu instid0(SALU_CYCLE_1) | instskip(SKIP_2) | instid1(SALU_CYCLE_1)
	s_add_u32 s26, s19, s8
	s_addc_u32 s27, s12, s9
	s_or_b32 s8, s16, 0xa0
	s_ashr_i32 s9, s8, 4
	s_cmp_lt_i32 s8, s17
	s_cselect_b32 s8, s9, s2
	s_delay_alu instid0(SALU_CYCLE_1) | instskip(NEXT) | instid1(SALU_CYCLE_1)
	s_ashr_i32 s9, s8, 31
	s_lshl_b64 s[8:9], s[8:9], 2
	s_delay_alu instid0(SALU_CYCLE_1)
	s_add_u32 s28, s19, s8
	s_addc_u32 s29, s12, s9
	s_clause 0x5
	s_load_b32 s9, s[6:7], 0x0
	s_load_b32 s3, s[20:21], 0x0
	;; [unrolled: 1-line block ×6, first 2 shown]
	s_or_b32 s20, s16, 0xc0
	s_delay_alu instid0(SALU_CYCLE_1) | instskip(SKIP_2) | instid1(SALU_CYCLE_1)
	s_ashr_i32 s21, s20, 4
	s_cmp_lt_i32 s20, s17
	s_cselect_b32 s20, s21, s2
	s_ashr_i32 s21, s20, 31
	s_delay_alu instid0(SALU_CYCLE_1) | instskip(NEXT) | instid1(SALU_CYCLE_1)
	s_lshl_b64 s[20:21], s[20:21], 2
	s_add_u32 s20, s19, s20
	s_addc_u32 s21, s12, s21
	s_or_b32 s22, s16, 0xe0
	s_delay_alu instid0(SALU_CYCLE_1) | instskip(SKIP_2) | instid1(SALU_CYCLE_1)
	s_ashr_i32 s23, s22, 4
	s_cmp_lt_i32 s22, s17
	s_cselect_b32 s22, s23, s2
	s_ashr_i32 s23, s22, 31
	s_delay_alu instid0(SALU_CYCLE_1)
	s_lshl_b64 s[22:23], s[22:23], 2
	s_waitcnt vmcnt(1)
	v_mad_i64_i32 v[3:4], null, v5, s5, v[1:2]
	s_waitcnt vmcnt(0)
	v_mad_i64_i32 v[5:6], null, v7, s5, v[1:2]
	v_lshlrev_b32_e32 v1, 4, v70
	s_clause 0x7
	global_load_b128 v[73:76], v[3:4], off
	global_load_b128 v[77:80], v[3:4], off offset:256
	global_load_b128 v[81:84], v[5:6], off
	global_load_b128 v[85:88], v[5:6], off offset:256
	global_load_b128 v[89:92], v[3:4], off offset:512
	;; [unrolled: 1-line block ×5, first 2 shown]
	v_lshl_or_b32 v1, v72, 8, v1
	s_load_b32 s2, s[20:21], 0x0
	s_add_u32 s20, s19, s22
	s_addc_u32 s21, s12, s23
	s_add_u32 s10, s10, s15
	s_addc_u32 s11, s11, s13
	v_add_co_u32 v1, s10, s10, v1
	s_delay_alu instid0(VALU_DEP_1) | instskip(SKIP_2) | instid1(VALU_DEP_1)
	v_add_co_ci_u32_e64 v2, null, s11, 0, s10
	s_load_b32 s10, s[20:21], 0x0
	s_waitcnt lgkmcnt(0)
	v_mad_i64_i32 v[3:4], null, s9, s5, v[1:2]
	v_mad_i64_i32 v[9:10], null, s6, s5, v[1:2]
	;; [unrolled: 1-line block ×7, first 2 shown]
	s_clause 0x5
	global_load_b128 v[49:52], v[3:4], off
	global_load_b128 v[53:56], v[3:4], off offset:16
	global_load_b128 v[41:44], v[5:6], off
	global_load_b128 v[45:48], v[5:6], off offset:16
	;; [unrolled: 2-line block ×3, first 2 shown]
	s_mov_b32 s4, 0
	v_cmp_gt_i32_e64 s2, s17, v139
	v_mad_i64_i32 v[61:62], null, s10, s5, v[1:2]
	s_clause 0x9
	global_load_b128 v[1:4], v[9:10], off
	global_load_b128 v[5:8], v[9:10], off offset:16
	global_load_b128 v[9:12], v[13:14], off
	global_load_b128 v[13:16], v[13:14], off offset:16
	;; [unrolled: 2-line block ×5, first 2 shown]
	ds_load_b128 v[105:108], v117
	ds_load_b128 v[109:112], v117 offset:1024
	ds_load_b128 v[113:116], v117 offset:2048
	ds_load_b128 v[117:120], v117 offset:3072
	s_mov_b32 s11, s4
	s_mov_b32 s5, s4
	;; [unrolled: 1-line block ×7, first 2 shown]
	s_delay_alu instid0(SALU_CYCLE_1)
	v_dual_mov_b32 v128, s11 :: v_dual_mov_b32 v127, s10
	v_dual_mov_b32 v126, s9 :: v_dual_mov_b32 v125, s8
	;; [unrolled: 1-line block ×4, first 2 shown]
	v_cmp_gt_i32_e64 s3, s17, v140
	v_cmp_gt_i32_e64 s4, s17, v141
	;; [unrolled: 1-line block ×8, first 2 shown]
	s_waitcnt vmcnt(0) lgkmcnt(0)
	s_barrier
	buffer_gl0_inv
	v_wmma_f32_16x16x16_f16 v[129:136], v[73:80], v[105:112], v[121:128]
	v_wmma_f32_16x16x16_f16 v[121:128], v[81:88], v[105:112], v[121:128]
	v_or_b32_e32 v73, 20, v137
	v_or_b32_e32 v74, 22, v137
	s_delay_alu instid0(VALU_DEP_4)
	v_wmma_f32_16x16x16_f16 v[129:136], v[89:96], v[113:120], v[129:136]
	v_or_b32_e32 v75, 24, v137
	v_wmma_f32_16x16x16_f16 v[121:128], v[97:104], v[113:120], v[121:128]
	v_or_b32_e32 v76, 26, v137
	v_cmp_gt_i32_e64 s11, s17, v73
	v_dual_mul_f32 v85, s18, v130 :: v_dual_mul_f32 v86, s18, v129
	v_dual_mul_f32 v83, s18, v132 :: v_dual_mul_f32 v84, s18, v131
	v_dual_mul_f32 v81, s18, v134 :: v_dual_mul_f32 v94, s18, v121
	s_delay_alu instid0(VALU_DEP_3) | instskip(NEXT) | instid1(VALU_DEP_4)
	v_cndmask_b32_e32 v86, 0xff7fffff, v86, vcc_lo
	v_cndmask_b32_e64 v85, 0xff7fffff, v85, s2
	v_mul_f32_e32 v82, s18, v133
	v_cndmask_b32_e64 v84, 0xff7fffff, v84, s3
	v_cndmask_b32_e64 v83, 0xff7fffff, v83, s4
	v_dual_mul_f32 v79, s18, v136 :: v_dual_mul_f32 v92, s18, v123
	v_max3_f32 v85, v86, 0xff7fffff, v85
	v_mul_f32_e32 v80, s18, v135
	v_cndmask_b32_e64 v82, 0xff7fffff, v82, s5
	v_cndmask_b32_e64 v81, 0xff7fffff, v81, s6
	v_mul_f32_e32 v93, s18, v122
	v_max3_f32 v83, v85, v84, v83
	v_cndmask_b32_e64 v80, 0xff7fffff, v80, s7
	v_cndmask_b32_e64 v79, 0xff7fffff, v79, s8
	v_mul_f32_e32 v91, s18, v124
	v_cmp_gt_i32_e64 s12, s17, v74
	v_max3_f32 v81, v83, v82, v81
	v_cndmask_b32_e64 v82, 0xff7fffff, v94, s9
	v_cndmask_b32_e64 v83, 0xff7fffff, v93, s10
	v_or_b32_e32 v77, 28, v137
	v_or_b32_e32 v78, 30, v137
	v_max3_f32 v79, v81, v80, v79
	v_dual_mul_f32 v89, s18, v126 :: v_dual_mul_f32 v90, s18, v125
	v_cndmask_b32_e64 v73, 0xff7fffff, v92, s11
	v_cndmask_b32_e64 v74, 0xff7fffff, v91, s12
	s_delay_alu instid0(VALU_DEP_4) | instskip(SKIP_3) | instid1(VALU_DEP_4)
	v_max3_f32 v79, v79, v82, v83
	v_cmp_gt_i32_e64 s13, s17, v75
	v_cmp_gt_i32_e64 s15, s17, v76
	v_dual_mul_f32 v87, s18, v128 :: v_dual_mul_f32 v88, s18, v127
	v_max3_f32 v73, v79, v73, v74
	s_delay_alu instid0(VALU_DEP_4) | instskip(NEXT) | instid1(VALU_DEP_4)
	v_cndmask_b32_e64 v75, 0xff7fffff, v90, s13
	v_cndmask_b32_e64 v76, 0xff7fffff, v89, s15
	v_cmp_gt_i32_e64 s16, s17, v77
	v_cmp_gt_i32_e64 s17, s17, v78
	s_delay_alu instid0(VALU_DEP_3) | instskip(NEXT) | instid1(VALU_DEP_3)
	v_max3_f32 v73, v73, v75, v76
	v_cndmask_b32_e64 v74, 0xff7fffff, v88, s16
	s_delay_alu instid0(VALU_DEP_3) | instskip(SKIP_1) | instid1(VALU_DEP_2)
	v_cndmask_b32_e64 v77, 0xff7fffff, v87, s17
	v_lshlrev_b32_e32 v75, 2, v138
	v_max3_f32 v73, v73, v74, v77
	ds_bpermute_b32 v74, v75, v73
	s_waitcnt lgkmcnt(0)
	v_max_f32_e32 v74, v74, v74
	s_delay_alu instid0(VALU_DEP_1) | instskip(NEXT) | instid1(VALU_DEP_1)
	v_max_f32_e32 v73, v73, v74
	v_fma_f32 v74, s18, v129, -v73
	v_fma_f32 v76, s18, v130, -v73
	;; [unrolled: 1-line block ×5, first 2 shown]
	v_mul_f32_e32 v74, 0x3fb8aa3b, v74
	v_mul_f32_e32 v76, 0x3fb8aa3b, v76
	v_fma_f32 v83, s18, v135, -v73
	v_mul_f32_e32 v78, 0x3fb8aa3b, v78
	v_mul_f32_e32 v80, 0x3fb8aa3b, v80
	v_exp_f32_e32 v74, v74
	v_exp_f32_e32 v76, v76
	v_mul_f32_e32 v83, 0x3fb8aa3b, v83
	v_exp_f32_e32 v82, v78
	v_exp_f32_e32 v84, v80
	s_delay_alu instid0(VALU_DEP_1) | instskip(SKIP_4) | instid1(TRANS32_DEP_3)
	v_exp_f32_e32 v85, v83
	v_cndmask_b32_e32 v79, 0, v74, vcc_lo
	v_fma_f32 v74, s18, v134, -v73
	v_mul_f32_e32 v77, 0x3fb8aa3b, v77
	v_cndmask_b32_e64 v78, 0, v76, s2
	v_cndmask_b32_e64 v80, 0, v82, s4
	v_add_f32_e32 v76, 0, v79
	v_mul_f32_e32 v74, 0x3fb8aa3b, v74
	v_exp_f32_e32 v77, v77
	v_fma_f32 v82, s18, v121, -v73
	v_cndmask_b32_e64 v83, 0, v84, s5
	v_add_f32_e32 v76, v76, v78
	v_exp_f32_e32 v74, v74
	s_mov_b32 s2, exec_lo
	v_mul_f32_e32 v86, 0x3fb8aa3b, v82
	v_cndmask_b32_e64 v85, 0, v85, s7
	s_delay_alu instid0(TRANS32_DEP_2) | instskip(SKIP_3) | instid1(VALU_DEP_1)
	v_cndmask_b32_e64 v81, 0, v77, s3
	s_waitcnt_depctr 0xfff
	v_cndmask_b32_e64 v82, 0, v74, s6
	v_add_f32_e32 v76, v76, v81
	v_add_f32_e32 v76, v76, v80
	s_delay_alu instid0(VALU_DEP_1) | instskip(SKIP_4) | instid1(VALU_DEP_4)
	v_add_f32_e32 v74, v76, v83
	v_fma_f32 v77, s18, v136, -v73
	v_fma_f32 v84, s18, v122, -v73
	;; [unrolled: 1-line block ×4, first 2 shown]
	v_dual_add_f32 v74, v74, v82 :: v_dual_mul_f32 v77, 0x3fb8aa3b, v77
	s_delay_alu instid0(VALU_DEP_4) | instskip(SKIP_1) | instid1(VALU_DEP_4)
	v_mul_f32_e32 v84, 0x3fb8aa3b, v84
	v_fma_f32 v92, s18, v128, -v73
	v_mul_f32_e32 v89, 0x3fb8aa3b, v87
	v_exp_f32_e32 v86, v86
	v_exp_f32_e32 v77, v77
	;; [unrolled: 1-line block ×3, first 2 shown]
	v_add_f32_e32 v74, v74, v85
	v_exp_f32_e32 v91, v89
	v_fma_f32 v90, s18, v126, -v73
	v_cndmask_b32_e64 v87, 0, v86, s9
	s_delay_alu instid0(TRANS32_DEP_3) | instskip(SKIP_2) | instid1(TRANS32_DEP_2)
	v_cndmask_b32_e64 v84, 0, v77, s8
	v_fma_f32 v77, s18, v125, -v73
	v_mul_f32_e32 v76, 0x3fb8aa3b, v76
	v_cndmask_b32_e64 v86, 0, v88, s10
	v_fma_f32 v88, s18, v127, -v73
	s_delay_alu instid0(VALU_DEP_4) | instskip(NEXT) | instid1(VALU_DEP_4)
	v_dual_mul_f32 v90, 0x3fb8aa3b, v90 :: v_dual_mul_f32 v77, 0x3fb8aa3b, v77
	v_exp_f32_e32 v76, v76
	s_delay_alu instid0(VALU_DEP_1) | instskip(NEXT) | instid1(VALU_DEP_1)
	v_exp_f32_e32 v90, v90
	v_exp_f32_e32 v77, v77
	s_delay_alu instid0(TRANS32_DEP_3)
	v_cndmask_b32_e64 v89, 0, v76, s11
	v_mul_f32_e32 v76, 0x3fb8aa3b, v88
	v_cndmask_b32_e64 v88, 0, v91, s12
	s_waitcnt_depctr 0xfff
	v_cndmask_b32_e64 v90, 0, v90, s15
	v_cndmask_b32_e64 v91, 0, v77, s13
	v_mul_f32_e32 v77, 0x3fb8aa3b, v92
	v_add_f32_e32 v74, v74, v84
	v_exp_f32_e32 v76, v76
	s_delay_alu instid0(VALU_DEP_2) | instskip(NEXT) | instid1(VALU_DEP_1)
	v_exp_f32_e32 v77, v77
	v_add_f32_e32 v74, v74, v87
	s_delay_alu instid0(VALU_DEP_1) | instskip(SKIP_4) | instid1(VALU_DEP_1)
	v_add_f32_e32 v74, v74, v86
	s_waitcnt_depctr 0xfff
	v_cndmask_b32_e64 v93, 0, v76, s16
	v_cndmask_b32_e64 v92, 0, v77, s17
	v_add_f32_e32 v74, v74, v89
	v_add_f32_e32 v74, v74, v88
	s_delay_alu instid0(VALU_DEP_1) | instskip(NEXT) | instid1(VALU_DEP_1)
	v_add_f32_e32 v74, v74, v91
	v_add_f32_e32 v74, v74, v90
	s_delay_alu instid0(VALU_DEP_1) | instskip(NEXT) | instid1(VALU_DEP_1)
	v_add_f32_e32 v74, v74, v93
	v_add_f32_e32 v74, v74, v92
	ds_bpermute_b32 v75, v75, v74
	v_cmpx_gt_u32_e32 16, v71
	s_cbranch_execz .LBB827_12
; %bb.11:
	v_mul_u32_u24_e32 v71, 0x44, v72
	s_waitcnt lgkmcnt(0)
	v_add_f32_e32 v74, v74, v75
	s_delay_alu instid0(VALU_DEP_2) | instskip(NEXT) | instid1(VALU_DEP_1)
	v_lshl_add_u32 v71, v70, 2, v71
	v_add_nc_u32_e32 v71, 0x4000, v71
	ds_store_2addr_b32 v71, v73, v74 offset1:136
.LBB827_12:
	s_or_b32 exec_lo, exec_lo, s2
	v_lshlrev_b32_e32 v71, 2, v70
	s_load_b32 s35, s[0:1], 0x94
	s_waitcnt lgkmcnt(0)
	s_barrier
	buffer_gl0_inv
	v_add_nc_u32_e32 v71, 0x4000, v71
	v_cmp_eq_u32_e32 vcc_lo, 1, v72
	v_cmp_eq_u32_e64 s2, 2, v72
	v_cmp_eq_u32_e64 s3, 3, v72
	;; [unrolled: 1-line block ×3, first 2 shown]
	ds_load_2addr_b32 v[73:74], v71 offset1:17
	ds_load_2addr_b32 v[94:95], v71 offset0:34 offset1:51
	ds_load_2addr_b32 v[96:97], v71 offset0:68 offset1:85
	;; [unrolled: 1-line block ×3, first 2 shown]
	v_cmp_eq_u32_e64 s5, 5, v72
	v_cmp_eq_u32_e64 s6, 7, v72
	s_waitcnt lgkmcnt(3)
	v_max3_f32 v75, v73, 0xff7fffff, v74
	s_waitcnt lgkmcnt(2)
	s_delay_alu instid0(VALU_DEP_1) | instskip(SKIP_1) | instid1(VALU_DEP_1)
	v_max3_f32 v75, v75, v94, v95
	s_waitcnt lgkmcnt(1)
	v_max3_f32 v75, v75, v96, v97
	s_waitcnt lgkmcnt(0)
	s_delay_alu instid0(VALU_DEP_1) | instskip(NEXT) | instid1(VALU_DEP_1)
	v_max3_f32 v76, v75, v98, v99
	v_sub_f32_e32 v96, v96, v76
	ds_load_2addr_b32 v[100:101], v71 offset0:136 offset1:153
	v_sub_f32_e32 v73, v73, v76
	v_sub_f32_e32 v75, v74, v76
	;; [unrolled: 1-line block ×3, first 2 shown]
	v_mul_f32_e32 v105, 0x3fb8aa3b, v96
	s_delay_alu instid0(VALU_DEP_4)
	v_mul_f32_e32 v77, 0x3fb8aa3b, v73
	ds_load_2addr_b32 v[73:74], v71 offset0:170 offset1:187
	v_mul_f32_e32 v103, 0x3fb8aa3b, v94
	v_exp_f32_e32 v102, v77
	v_sub_f32_e32 v77, v95, v76
	ds_load_2addr_b32 v[94:95], v71 offset0:204 offset1:221
	v_exp_f32_e32 v103, v103
	v_mul_f32_e32 v104, 0x3fb8aa3b, v77
	s_waitcnt lgkmcnt(2)
	v_fma_f32 v77, v102, v100, 0
	v_dual_sub_f32 v100, v97, v76 :: v_dual_mul_f32 v75, 0x3fb8aa3b, v75
	ds_load_2addr_b32 v[96:97], v71 offset0:238 offset1:255
	v_sub_f32_e32 v71, v98, v76
	v_exp_f32_e32 v104, v104
	v_mul_f32_e32 v98, 0x3fb8aa3b, v100
	v_exp_f32_e32 v75, v75
	v_exp_f32_e32 v100, v105
	v_mul_f32_e32 v71, 0x3fb8aa3b, v71
	s_waitcnt lgkmcnt(0)
	v_exp_f32_e32 v98, v98
	s_barrier
	buffer_gl0_inv
	v_fmac_f32_e32 v77, v75, v101
	s_delay_alu instid0(VALU_DEP_1) | instskip(SKIP_2) | instid1(VALU_DEP_2)
	v_fmac_f32_e32 v77, v103, v73
	v_sub_f32_e32 v73, v99, v76
	v_exp_f32_e32 v99, v71
	v_fmac_f32_e32 v77, v104, v74
	s_delay_alu instid0(VALU_DEP_2) | instskip(NEXT) | instid1(VALU_DEP_2)
	v_dual_mul_f32 v73, 0x3fb8aa3b, v73 :: v_dual_lshlrev_b32 v74, 6, v70
	v_dual_fmac_f32 v77, v100, v94 :: v_dual_lshlrev_b32 v70, 2, v69
	s_delay_alu instid0(VALU_DEP_2) | instskip(SKIP_1) | instid1(VALU_DEP_3)
	v_exp_f32_e32 v94, v73
	v_cndmask_b32_e32 v73, v102, v75, vcc_lo
	v_lshl_or_b32 v75, v72, 11, v74
	s_delay_alu instid0(VALU_DEP_3) | instskip(SKIP_1) | instid1(VALU_DEP_3)
	v_cmp_eq_u32_e64 s7, 7, v70
	v_fmac_f32_e32 v77, v98, v95
	v_lshl_or_b32 v69, v69, 4, v75
	s_delay_alu instid0(VALU_DEP_2)
	v_fmac_f32_e32 v77, v99, v96
	s_delay_alu instid0(TRANS32_DEP_1) | instid1(VALU_DEP_1)
	v_fmac_f32_e32 v77, v94, v97
	s_delay_alu instid0(VALU_DEP_1) | instskip(NEXT) | instid1(VALU_DEP_1)
	v_add_f32_e32 v95, 0x358637bd, v77
	v_div_scale_f32 v96, null, v95, v95, 1.0
	v_div_scale_f32 v101, vcc_lo, 1.0, v95, 1.0
	s_delay_alu instid0(VALU_DEP_2) | instskip(SKIP_2) | instid1(VALU_DEP_1)
	v_rcp_f32_e32 v97, v96
	s_waitcnt_depctr 0xfff
	v_fma_f32 v71, -v96, v97, 1.0
	v_fmac_f32_e32 v97, v71, v97
	v_cndmask_b32_e64 v71, v73, v103, s2
	v_cmp_eq_u32_e64 s2, 6, v72
	v_or_b32_e32 v73, 1, v70
	v_or_b32_e32 v72, 3, v70
	v_mul_f32_e32 v102, v101, v97
	v_cndmask_b32_e64 v71, v71, v104, s3
	v_cmp_eq_u32_e64 s3, 1, v70
	v_cmp_eq_u32_e64 s8, 1, v73
	;; [unrolled: 1-line block ×3, first 2 shown]
	v_fma_f32 v103, -v96, v102, v101
	v_cndmask_b32_e64 v100, v71, v100, s4
	v_or_b32_e32 v71, 2, v70
	v_cmp_eq_u32_e64 s4, 2, v70
	v_cmp_eq_u32_e64 s11, 2, v73
	v_fmac_f32_e32 v102, v103, v97
	v_cndmask_b32_e64 v98, v100, v98, s5
	v_cmp_eq_u32_e64 s9, 1, v71
	v_cmp_eq_u32_e64 s13, 2, v71
	;; [unrolled: 1-line block ×3, first 2 shown]
	v_fma_f32 v96, -v96, v102, v101
	v_cndmask_b32_e64 v98, v98, v99, s2
	v_cmp_eq_u32_e64 s12, 3, v73
	v_cmp_eq_u32_e64 s17, 3, v72
	;; [unrolled: 1-line block ×3, first 2 shown]
	v_div_fmas_f32 v96, v96, v97, v102
	v_cndmask_b32_e64 v94, v98, v94, s6
	v_cmp_eq_u32_e32 vcc_lo, 3, v70
	v_cmp_eq_u32_e64 s16, 3, v71
	v_cmp_eq_u32_e64 s18, 4, v73
	v_div_fixup_f32 v95, v96, v95, 1.0
	v_cmp_eq_u32_e64 s21, 4, v72
	v_cmp_eq_u32_e64 s5, 5, v70
	;; [unrolled: 1-line block ×4, first 2 shown]
	v_mul_f32_e32 v102, v94, v95
	v_cmp_eq_u32_e64 s23, 5, v72
	v_cmp_eq_u32_e64 s22, 5, v71
	;; [unrolled: 1-line block ×4, first 2 shown]
	v_fma_mixlo_f16 v94, v102, v79, 0
	v_fma_mixlo_f16 v95, v102, v81, 0
	;; [unrolled: 1-line block ×8, first 2 shown]
	v_fma_mixhi_f16 v94, v102, v78, 0
	v_fma_mixhi_f16 v95, v102, v80, 0
	;; [unrolled: 1-line block ×8, first 2 shown]
	ds_store_b128 v69, v[94:97]
	ds_store_b128 v69, v[98:101] offset:1024
	s_waitcnt lgkmcnt(0)
	s_barrier
	buffer_gl0_inv
	ds_load_b128 v[78:81], v75
	ds_load_b128 v[82:85], v75 offset:16
	ds_load_b128 v[86:89], v75 offset:1024
	;; [unrolled: 1-line block ×3, first 2 shown]
	v_cmp_eq_u32_e64 s6, 6, v70
	v_cmp_eq_u32_e64 s25, 6, v71
	;; [unrolled: 1-line block ×5, first 2 shown]
	s_waitcnt lgkmcnt(3)
	v_lshrrev_b32_e32 v94, 16, v78
	s_waitcnt lgkmcnt(2)
	v_lshrrev_b32_e32 v98, 16, v82
	;; [unrolled: 2-line block ×4, first 2 shown]
	v_lshrrev_b32_e32 v95, 16, v79
	v_cndmask_b32_e64 v110, v78, v94, s3
	v_cndmask_b32_e64 v111, v82, v98, s3
	;; [unrolled: 1-line block ×8, first 2 shown]
	v_lshrrev_b32_e32 v99, 16, v83
	v_cndmask_b32_e64 v94, v86, v102, s3
	v_cndmask_b32_e64 v98, v90, v106, s3
	;; [unrolled: 1-line block ×15, first 2 shown]
	v_lshrrev_b32_e32 v103, 16, v87
	v_lshrrev_b32_e32 v107, 16, v91
	v_cndmask_b32_e64 v113, v115, v83, s13
	v_cndmask_b32_e64 v82, v94, v87, s4
	;; [unrolled: 1-line block ×7, first 2 shown]
	v_cndmask_b32_e32 v90, v102, v95, vcc_lo
	v_cndmask_b32_e32 v102, v106, v99, vcc_lo
	v_cndmask_b32_e64 v106, v110, v95, s12
	v_cndmask_b32_e64 v110, v111, v99, s12
	;; [unrolled: 1-line block ×4, first 2 shown]
	v_lshrrev_b32_e32 v96, 16, v80
	v_lshrrev_b32_e32 v100, 16, v84
	v_cndmask_b32_e64 v111, v112, v95, s16
	v_cndmask_b32_e64 v112, v113, v99, s16
	v_cndmask_b32_e32 v82, v82, v103, vcc_lo
	v_cndmask_b32_e32 v83, v83, v107, vcc_lo
	v_cndmask_b32_e64 v94, v94, v103, s12
	v_cndmask_b32_e64 v90, v90, v80, s2
	;; [unrolled: 1-line block ×7, first 2 shown]
	v_lshrrev_b32_e32 v104, 16, v88
	v_cndmask_b32_e64 v106, v111, v80, s20
	v_cndmask_b32_e64 v110, v112, v84, s20
	;; [unrolled: 1-line block ×11, first 2 shown]
	v_lshrrev_b32_e32 v97, 16, v81
	v_lshrrev_b32_e32 v101, 16, v85
	v_cndmask_b32_e64 v99, v106, v96, s22
	v_cndmask_b32_e64 v102, v110, v100, s22
	;; [unrolled: 1-line block ×7, first 2 shown]
	v_lshrrev_b32_e32 v105, 16, v89
	v_cndmask_b32_e64 v80, v80, v104, s5
	v_cndmask_b32_e64 v84, v84, v81, s6
	;; [unrolled: 1-line block ×16, first 2 shown]
	v_perm_b32 v81, v79, v78, 0x5040100
	v_perm_b32 v79, v95, v85, 0x5040100
	v_cndmask_b32_e64 v78, v119, v91, s13
	v_cndmask_b32_e64 v85, v117, v91, s11
	;; [unrolled: 1-line block ×3, first 2 shown]
	v_perm_b32 v80, v94, v90, 0x5040100
	v_cndmask_b32_e64 v90, v98, v103, s16
	v_cndmask_b32_e64 v86, v86, v103, s17
	;; [unrolled: 1-line block ×5, first 2 shown]
	v_lshrrev_b32_e32 v108, 16, v92
	v_cndmask_b32_e64 v90, v90, v88, s20
	v_cndmask_b32_e64 v86, v86, v88, s21
	;; [unrolled: 1-line block ×11, first 2 shown]
	v_lshrrev_b32_e32 v109, 16, v93
	v_cndmask_b32_e64 v82, v82, v93, s6
	v_cndmask_b32_e64 v88, v88, v89, s25
	;; [unrolled: 1-line block ×12, first 2 shown]
	v_perm_b32 v78, v84, v83, 0x5040100
	v_perm_b32 v85, v87, v86, 0x5040100
	;; [unrolled: 1-line block ×5, first 2 shown]
	s_lshl_b32 s7, s34, 1
	s_mov_b32 s2, exec_lo
	ds_store_b128 v69, v[78:81]
	ds_store_b128 v69, v[82:85] offset:1024
	v_cmpx_gt_u32_e32 2, v0
	s_cbranch_execz .LBB827_14
; %bb.13:
	v_or_b32_e32 v78, s33, v0
	s_load_b128 s[8:11], s[0:1], 0x58
	s_delay_alu instid0(VALU_DEP_1) | instskip(NEXT) | instid1(VALU_DEP_1)
	v_mad_u64_u32 v[79:80], null, s7, s30, v[78:79]
	v_mad_u64_u32 v[80:81], null, v79, s35, s[14:15]
	s_delay_alu instid0(VALU_DEP_1) | instskip(NEXT) | instid1(VALU_DEP_1)
	v_ashrrev_i32_e32 v81, 31, v80
	v_lshlrev_b64 v[78:79], 2, v[80:81]
	s_waitcnt lgkmcnt(0)
	s_delay_alu instid0(VALU_DEP_1) | instskip(NEXT) | instid1(VALU_DEP_2)
	v_add_co_u32 v80, vcc_lo, s10, v78
	v_add_co_ci_u32_e32 v81, vcc_lo, s11, v79, vcc_lo
	v_add_co_u32 v78, vcc_lo, s8, v78
	v_add_co_ci_u32_e32 v79, vcc_lo, s9, v79, vcc_lo
	global_store_b32 v[80:81], v76, off
	global_store_b32 v[78:79], v77, off
.LBB827_14:
	s_or_b32 exec_lo, exec_lo, s2
	s_waitcnt lgkmcnt(0)
	s_waitcnt_vscnt null, 0x0
	s_barrier
	buffer_gl0_inv
	ds_load_b128 v[84:87], v74
	ds_load_b128 v[88:91], v74 offset:16
	ds_load_b128 v[96:99], v74 offset:2064
	;; [unrolled: 1-line block ×5, first 2 shown]
	v_cmp_eq_u32_e32 vcc_lo, 1, v70
	v_mov_b32_e32 v76, 0
	ds_load_b128 v[112:115], v74 offset:6160
	ds_load_b128 v[108:111], v74 offset:6144
	ds_load_b128 v[120:123], v74 offset:8208
	ds_load_b128 v[116:119], v74 offset:8192
	v_cmp_eq_u32_e64 s3, 1, v71
	v_cmp_eq_u32_e64 s2, 1, v73
	;; [unrolled: 1-line block ×3, first 2 shown]
	v_mov_b32_e32 v77, v76
	v_mov_b32_e32 v78, v76
	;; [unrolled: 1-line block ×7, first 2 shown]
	v_cmp_eq_u32_e64 s5, 3, v73
	v_cmp_eq_u32_e64 s6, 7, v73
	s_waitcnt lgkmcnt(8)
	s_delay_alu instid0(VALU_DEP_3)
	v_wmma_f32_16x16x16_f16 v[76:83], v[49:56], v[84:91], v[76:83]
	ds_load_b128 v[53:56], v74 offset:10256
	ds_load_b128 v[49:52], v74 offset:10240
	s_waitcnt lgkmcnt(8)
	v_wmma_f32_16x16x16_f16 v[76:83], v[41:48], v[92:99], v[76:83]
	ds_load_b128 v[45:48], v74 offset:12304
	ds_load_b128 v[41:44], v74 offset:12288
	s_waitcnt lgkmcnt(8)
	;; [unrolled: 4-line block ×3, first 2 shown]
	s_barrier
	buffer_gl0_inv
	v_wmma_f32_16x16x16_f16 v[76:83], v[1:8], v[108:115], v[76:83]
	s_delay_alu instid0(VALU_DEP_1) | instskip(NEXT) | instid1(VALU_DEP_1)
	v_wmma_f32_16x16x16_f16 v[76:83], v[9:16], v[116:123], v[76:83]
	v_wmma_f32_16x16x16_f16 v[76:83], v[17:24], v[49:56], v[76:83]
	s_delay_alu instid0(VALU_DEP_1) | instskip(NEXT) | instid1(VALU_DEP_1)
	v_wmma_f32_16x16x16_f16 v[76:83], v[25:32], v[41:48], v[76:83]
	v_wmma_f32_16x16x16_f16 v[76:83], v[57:64], v[33:40], v[76:83]
	s_delay_alu instid0(VALU_DEP_1) | instskip(NEXT) | instid1(VALU_DEP_2)
	v_cvt_f16_f32_e32 v1, v76
	v_cvt_f16_f32_e32 v2, v77
	s_delay_alu instid0(VALU_DEP_3) | instskip(NEXT) | instid1(VALU_DEP_4)
	v_cvt_f16_f32_e32 v3, v78
	v_cvt_f16_f32_e32 v4, v79
	;; [unrolled: 1-line block ×6, first 2 shown]
	v_pack_b32_f16 v1, v1, v2
	v_pack_b32_f16 v2, v3, v4
	;; [unrolled: 1-line block ×3, first 2 shown]
	s_delay_alu instid0(VALU_DEP_4)
	v_pack_b32_f16 v4, v7, v8
	ds_store_b128 v69, v[1:4]
	s_waitcnt lgkmcnt(0)
	s_barrier
	buffer_gl0_inv
	ds_load_b128 v[1:4], v75
	ds_load_b128 v[5:8], v75 offset:16
	s_waitcnt lgkmcnt(1)
	v_lshrrev_b32_e32 v9, 16, v1
	s_waitcnt lgkmcnt(0)
	v_lshrrev_b32_e32 v13, 16, v5
	v_lshrrev_b32_e32 v10, 16, v2
	;; [unrolled: 1-line block ×4, first 2 shown]
	v_cndmask_b32_e32 v17, v1, v9, vcc_lo
	v_cndmask_b32_e32 v18, v5, v13, vcc_lo
	v_cndmask_b32_e64 v21, v1, v9, s3
	v_cmp_eq_u32_e32 vcc_lo, 1, v72
	v_cndmask_b32_e64 v22, v5, v13, s3
	v_cmp_eq_u32_e64 s3, 2, v70
	v_cndmask_b32_e64 v19, v1, v9, s2
	v_cndmask_b32_e64 v20, v5, v13, s2
	v_cndmask_b32_e32 v1, v1, v9, vcc_lo
	v_cmp_eq_u32_e64 s2, 2, v72
	v_cndmask_b32_e32 v5, v5, v13, vcc_lo
	v_cndmask_b32_e64 v9, v17, v2, s3
	v_cmp_eq_u32_e32 vcc_lo, 3, v70
	v_cndmask_b32_e64 v13, v18, v6, s3
	v_cmp_eq_u32_e64 s3, 2, v71
	v_cndmask_b32_e64 v17, v19, v2, s4
	v_cndmask_b32_e64 v18, v20, v6, s4
	v_cmp_eq_u32_e64 s4, 3, v71
	v_cndmask_b32_e64 v1, v1, v2, s2
	v_cndmask_b32_e64 v19, v21, v2, s3
	;; [unrolled: 1-line block ×4, first 2 shown]
	v_cndmask_b32_e32 v5, v9, v10, vcc_lo
	v_cndmask_b32_e32 v6, v13, v14, vcc_lo
	v_cmp_eq_u32_e32 vcc_lo, 3, v72
	v_cndmask_b32_e64 v9, v17, v10, s5
	v_cndmask_b32_e64 v13, v18, v14, s5
	;; [unrolled: 1-line block ×3, first 2 shown]
	v_cmp_eq_u32_e64 s3, 4, v70
	v_cndmask_b32_e32 v1, v1, v10, vcc_lo
	v_cndmask_b32_e32 v2, v2, v14, vcc_lo
	v_cmp_eq_u32_e32 vcc_lo, 4, v73
	v_lshrrev_b32_e32 v15, 16, v7
	v_lshrrev_b32_e32 v16, 16, v8
	v_cndmask_b32_e64 v17, v19, v10, s4
	v_cmp_eq_u32_e64 s2, 4, v72
	v_cndmask_b32_e64 v5, v5, v3, s3
	v_cndmask_b32_e64 v6, v6, v7, s3
	v_cndmask_b32_e32 v9, v9, v3, vcc_lo
	v_cmp_eq_u32_e64 s3, 5, v73
	v_cndmask_b32_e32 v10, v13, v7, vcc_lo
	v_cmp_eq_u32_e32 vcc_lo, 4, v71
	v_cmp_eq_u32_e64 s4, 5, v70
	v_cndmask_b32_e64 v2, v2, v7, s2
	v_cndmask_b32_e64 v9, v9, v11, s3
	;; [unrolled: 1-line block ×3, first 2 shown]
	v_cndmask_b32_e32 v13, v17, v3, vcc_lo
	v_cmp_eq_u32_e64 s3, 5, v71
	v_cndmask_b32_e32 v14, v18, v7, vcc_lo
	v_cndmask_b32_e64 v1, v1, v3, s2
	v_cmp_eq_u32_e32 vcc_lo, 5, v72
	v_lshrrev_b32_e32 v12, 16, v4
	v_cndmask_b32_e64 v13, v13, v11, s3
	v_cndmask_b32_e64 v3, v14, v15, s3
	v_cmp_eq_u32_e64 s3, 6, v72
	v_cndmask_b32_e32 v1, v1, v11, vcc_lo
	v_cndmask_b32_e64 v5, v5, v11, s4
	v_cmp_eq_u32_e64 s5, 6, v70
	v_cndmask_b32_e64 v6, v6, v15, s4
	v_cmp_eq_u32_e64 s4, 6, v73
	v_cmp_eq_u32_e64 s2, 6, v71
	v_cndmask_b32_e64 v1, v1, v4, s3
	v_cndmask_b32_e32 v2, v2, v15, vcc_lo
	v_cmp_eq_u32_e32 vcc_lo, 7, v72
	v_cndmask_b32_e64 v5, v5, v4, s5
	v_cndmask_b32_e64 v9, v9, v4, s4
	v_cndmask_b32_e64 v6, v6, v8, s5
	v_cmp_eq_u32_e64 s5, 7, v70
	v_cndmask_b32_e32 v1, v1, v12, vcc_lo
	v_cndmask_b32_e64 v7, v13, v4, s2
	v_cndmask_b32_e64 v3, v3, v8, s2
	;; [unrolled: 1-line block ×3, first 2 shown]
	v_cmp_eq_u32_e64 s2, 7, v71
	v_cndmask_b32_e64 v4, v10, v8, s4
	v_cndmask_b32_e64 v5, v5, v12, s5
	;; [unrolled: 1-line block ×3, first 2 shown]
	v_cndmask_b32_e32 v2, v2, v16, vcc_lo
	v_cndmask_b32_e64 v7, v7, v12, s2
	v_cndmask_b32_e64 v3, v3, v16, s2
	v_cndmask_b32_e64 v8, v4, v16, s6
	v_cndmask_b32_e64 v6, v6, v16, s5
	v_perm_b32 v4, v2, v1, 0x5040100
	s_delay_alu instid0(VALU_DEP_4) | instskip(NEXT) | instid1(VALU_DEP_4)
	v_perm_b32 v3, v3, v7, 0x5040100
	v_perm_b32 v2, v8, v9, 0x5040100
	s_delay_alu instid0(VALU_DEP_4)
	v_perm_b32 v1, v6, v5, 0x5040100
	ds_store_b128 v69, v[1:4]
	s_waitcnt lgkmcnt(0)
	s_barrier
	buffer_gl0_inv
	s_and_saveexec_b32 s2, s31
	s_cbranch_execz .LBB827_2
; %bb.15:
	s_load_b64 s[0:1], s[0:1], 0x68
	v_lshlrev_b32_e32 v0, 10, v0
	s_lshl_b32 s2, s35, 6
	v_lshlrev_b32_e32 v1, 4, v68
	v_mul_lo_u32 v4, s2, v67
	s_mul_i32 s3, s2, s30
	v_and_b32_e32 v0, 0x3800, v0
	s_mul_i32 s2, s3, s7
	s_delay_alu instid0(SALU_CYCLE_1) | instskip(NEXT) | instid1(VALU_DEP_1)
	s_ashr_i32 s3, s2, 31
	v_or3_b32 v0, v0, v66, v1
	s_lshl_b64 s[2:3], s[2:3], 1
	s_delay_alu instid0(VALU_DEP_3)
	v_ashrrev_i32_e32 v5, 31, v4
	ds_load_b128 v[0:3], v0
	v_lshlrev_b64 v[4:5], 1, v[4:5]
	s_waitcnt lgkmcnt(0)
	s_add_u32 s2, s0, s2
	s_addc_u32 s3, s1, s3
	s_lshl_b32 s0, s14, 6
	s_delay_alu instid0(SALU_CYCLE_1) | instskip(NEXT) | instid1(SALU_CYCLE_1)
	s_ashr_i32 s1, s0, 31
	s_lshl_b64 s[0:1], s[0:1], 1
	s_delay_alu instid0(SALU_CYCLE_1) | instskip(SKIP_3) | instid1(VALU_DEP_2)
	s_add_u32 s0, s2, s0
	s_addc_u32 s1, s3, s1
	v_add_co_u32 v4, vcc_lo, s0, v4
	v_add_co_ci_u32_e32 v5, vcc_lo, s1, v5, vcc_lo
	v_add_co_u32 v4, vcc_lo, v4, v65
	s_delay_alu instid0(VALU_DEP_2)
	v_add_co_ci_u32_e32 v5, vcc_lo, 0, v5, vcc_lo
	global_store_b128 v[4:5], v[0:3], off
	s_nop 0
	s_sendmsg sendmsg(MSG_DEALLOC_VGPRS)
	s_endpgm
	.section	.rodata,"a",@progbits
	.p2align	6, 0x0
	.amdhsa_kernel _Z39paged_attention_ll4mi_QKV_mfma16_kernelIDF16_hLN4vllm18Fp8KVCacheDataTypeE1EDF16_Li16ELi64ELi256ELb1ELi2EL8MFMAType1EEvPKT_PKT0_S8_ifPKiSA_SA_iPKfiiiPfSD_PS3_PT2_iSC_SC_
		.amdhsa_group_segment_fixed_size 17472
		.amdhsa_private_segment_fixed_size 0
		.amdhsa_kernarg_size 400
		.amdhsa_user_sgpr_count 13
		.amdhsa_user_sgpr_dispatch_ptr 0
		.amdhsa_user_sgpr_queue_ptr 0
		.amdhsa_user_sgpr_kernarg_segment_ptr 1
		.amdhsa_user_sgpr_dispatch_id 0
		.amdhsa_user_sgpr_private_segment_size 0
		.amdhsa_wavefront_size32 1
		.amdhsa_uses_dynamic_stack 0
		.amdhsa_enable_private_segment 0
		.amdhsa_system_sgpr_workgroup_id_x 1
		.amdhsa_system_sgpr_workgroup_id_y 1
		.amdhsa_system_sgpr_workgroup_id_z 1
		.amdhsa_system_sgpr_workgroup_info 0
		.amdhsa_system_vgpr_workitem_id 0
		.amdhsa_next_free_vgpr 148
		.amdhsa_next_free_sgpr 36
		.amdhsa_reserve_vcc 1
		.amdhsa_float_round_mode_32 0
		.amdhsa_float_round_mode_16_64 0
		.amdhsa_float_denorm_mode_32 3
		.amdhsa_float_denorm_mode_16_64 3
		.amdhsa_dx10_clamp 1
		.amdhsa_ieee_mode 1
		.amdhsa_fp16_overflow 0
		.amdhsa_workgroup_processor_mode 1
		.amdhsa_memory_ordered 1
		.amdhsa_forward_progress 0
		.amdhsa_shared_vgpr_count 0
		.amdhsa_exception_fp_ieee_invalid_op 0
		.amdhsa_exception_fp_denorm_src 0
		.amdhsa_exception_fp_ieee_div_zero 0
		.amdhsa_exception_fp_ieee_overflow 0
		.amdhsa_exception_fp_ieee_underflow 0
		.amdhsa_exception_fp_ieee_inexact 0
		.amdhsa_exception_int_div_zero 0
	.end_amdhsa_kernel
	.section	.text._Z39paged_attention_ll4mi_QKV_mfma16_kernelIDF16_hLN4vllm18Fp8KVCacheDataTypeE1EDF16_Li16ELi64ELi256ELb1ELi2EL8MFMAType1EEvPKT_PKT0_S8_ifPKiSA_SA_iPKfiiiPfSD_PS3_PT2_iSC_SC_,"axG",@progbits,_Z39paged_attention_ll4mi_QKV_mfma16_kernelIDF16_hLN4vllm18Fp8KVCacheDataTypeE1EDF16_Li16ELi64ELi256ELb1ELi2EL8MFMAType1EEvPKT_PKT0_S8_ifPKiSA_SA_iPKfiiiPfSD_PS3_PT2_iSC_SC_,comdat
.Lfunc_end827:
	.size	_Z39paged_attention_ll4mi_QKV_mfma16_kernelIDF16_hLN4vllm18Fp8KVCacheDataTypeE1EDF16_Li16ELi64ELi256ELb1ELi2EL8MFMAType1EEvPKT_PKT0_S8_ifPKiSA_SA_iPKfiiiPfSD_PS3_PT2_iSC_SC_, .Lfunc_end827-_Z39paged_attention_ll4mi_QKV_mfma16_kernelIDF16_hLN4vllm18Fp8KVCacheDataTypeE1EDF16_Li16ELi64ELi256ELb1ELi2EL8MFMAType1EEvPKT_PKT0_S8_ifPKiSA_SA_iPKfiiiPfSD_PS3_PT2_iSC_SC_
                                        ; -- End function
	.section	.AMDGPU.csdata,"",@progbits
; Kernel info:
; codeLenInByte = 6240
; NumSgprs: 38
; NumVgprs: 148
; ScratchSize: 0
; MemoryBound: 0
; FloatMode: 240
; IeeeMode: 1
; LDSByteSize: 17472 bytes/workgroup (compile time only)
; SGPRBlocks: 4
; VGPRBlocks: 18
; NumSGPRsForWavesPerEU: 38
; NumVGPRsForWavesPerEU: 148
; Occupancy: 9
; WaveLimiterHint : 1
; COMPUTE_PGM_RSRC2:SCRATCH_EN: 0
; COMPUTE_PGM_RSRC2:USER_SGPR: 13
; COMPUTE_PGM_RSRC2:TRAP_HANDLER: 0
; COMPUTE_PGM_RSRC2:TGID_X_EN: 1
; COMPUTE_PGM_RSRC2:TGID_Y_EN: 1
; COMPUTE_PGM_RSRC2:TGID_Z_EN: 1
; COMPUTE_PGM_RSRC2:TIDIG_COMP_CNT: 0
	.section	.text._Z39paged_attention_ll4mi_QKV_mfma16_kernelIDF16_hLN4vllm18Fp8KVCacheDataTypeE1EDF16_Li16ELi64ELi256ELb1ELi3EL8MFMAType1EEvPKT_PKT0_S8_ifPKiSA_SA_iPKfiiiPfSD_PS3_PT2_iSC_SC_,"axG",@progbits,_Z39paged_attention_ll4mi_QKV_mfma16_kernelIDF16_hLN4vllm18Fp8KVCacheDataTypeE1EDF16_Li16ELi64ELi256ELb1ELi3EL8MFMAType1EEvPKT_PKT0_S8_ifPKiSA_SA_iPKfiiiPfSD_PS3_PT2_iSC_SC_,comdat
	.protected	_Z39paged_attention_ll4mi_QKV_mfma16_kernelIDF16_hLN4vllm18Fp8KVCacheDataTypeE1EDF16_Li16ELi64ELi256ELb1ELi3EL8MFMAType1EEvPKT_PKT0_S8_ifPKiSA_SA_iPKfiiiPfSD_PS3_PT2_iSC_SC_ ; -- Begin function _Z39paged_attention_ll4mi_QKV_mfma16_kernelIDF16_hLN4vllm18Fp8KVCacheDataTypeE1EDF16_Li16ELi64ELi256ELb1ELi3EL8MFMAType1EEvPKT_PKT0_S8_ifPKiSA_SA_iPKfiiiPfSD_PS3_PT2_iSC_SC_
	.globl	_Z39paged_attention_ll4mi_QKV_mfma16_kernelIDF16_hLN4vllm18Fp8KVCacheDataTypeE1EDF16_Li16ELi64ELi256ELb1ELi3EL8MFMAType1EEvPKT_PKT0_S8_ifPKiSA_SA_iPKfiiiPfSD_PS3_PT2_iSC_SC_
	.p2align	8
	.type	_Z39paged_attention_ll4mi_QKV_mfma16_kernelIDF16_hLN4vllm18Fp8KVCacheDataTypeE1EDF16_Li16ELi64ELi256ELb1ELi3EL8MFMAType1EEvPKT_PKT0_S8_ifPKiSA_SA_iPKfiiiPfSD_PS3_PT2_iSC_SC_,@function
_Z39paged_attention_ll4mi_QKV_mfma16_kernelIDF16_hLN4vllm18Fp8KVCacheDataTypeE1EDF16_Li16ELi64ELi256ELb1ELi3EL8MFMAType1EEvPKT_PKT0_S8_ifPKiSA_SA_iPKfiiiPfSD_PS3_PT2_iSC_SC_: ; @_Z39paged_attention_ll4mi_QKV_mfma16_kernelIDF16_hLN4vllm18Fp8KVCacheDataTypeE1EDF16_Li16ELi64ELi256ELb1ELi3EL8MFMAType1EEvPKT_PKT0_S8_ifPKiSA_SA_iPKfiiiPfSD_PS3_PT2_iSC_SC_
; %bb.0:
	s_load_b64 s[2:3], s[0:1], 0x30
	s_mov_b32 s34, s13
	s_waitcnt lgkmcnt(0)
	s_cmp_lg_u64 s[2:3], 0
	s_cselect_b32 s6, -1, 0
	s_ashr_i32 s35, s13, 31
	s_cmp_eq_u64 s[2:3], 0
	s_cbranch_scc1 .LBB828_3
; %bb.1:
	s_lshl_b64 s[4:5], s[34:35], 2
	s_delay_alu instid0(SALU_CYCLE_1) | instskip(SKIP_4) | instid1(SALU_CYCLE_1)
	s_add_u32 s4, s2, s4
	s_addc_u32 s5, s3, s5
	s_load_b64 s[4:5], s[4:5], 0x0
	s_waitcnt lgkmcnt(0)
	s_sub_i32 s4, s5, s4
	s_cmp_eq_u32 s4, 1
	s_cselect_b32 s4, -1, 0
	s_delay_alu instid0(SALU_CYCLE_1)
	s_and_not1_b32 vcc_lo, exec_lo, s4
	s_cbranch_vccz .LBB828_4
.LBB828_2:
	s_nop 0
	s_sendmsg sendmsg(MSG_DEALLOC_VGPRS)
	s_endpgm
.LBB828_3:
.LBB828_4:
	s_load_b64 s[8:9], s[0:1], 0x28
	s_lshl_b64 s[4:5], s[34:35], 2
	s_waitcnt lgkmcnt(0)
	s_add_u32 s8, s8, s4
	s_addc_u32 s9, s9, s5
	s_lshl_b32 s16, s14, 8
	s_load_b32 s18, s[8:9], 0x0
	s_waitcnt lgkmcnt(0)
	s_cmp_ge_i32 s16, s18
	s_cbranch_scc1 .LBB828_2
; %bb.5:
	s_clause 0x1
	s_load_b128 s[8:11], s[0:1], 0x8
	s_load_b64 s[12:13], s[0:1], 0x20
	s_and_not1_b32 vcc_lo, exec_lo, s6
	s_cbranch_vccnz .LBB828_7
; %bb.6:
	s_add_u32 s2, s2, s4
	s_addc_u32 s3, s3, s5
	s_load_b32 s3, s[2:3], 0x0
	s_branch .LBB828_8
.LBB828_7:
	s_mov_b32 s3, s34
.LBB828_8:
	s_load_b128 s[4:7], s[0:1], 0x48
	v_lshrrev_b32_e32 v69, 5, v0
	v_bfe_u32 v66, v0, 4, 1
	v_and_b32_e32 v68, 15, v0
	v_and_b32_e32 v70, 31, v0
	;; [unrolled: 1-line block ×3, first 2 shown]
	s_mul_i32 s33, s15, 3
	v_lshl_or_b32 v1, v69, 1, v66
	v_lshlrev_b32_e32 v2, 3, v68
	v_cmp_gt_u32_e64 s2, 8, v68
	s_delay_alu instid0(VALU_DEP_3) | instskip(NEXT) | instid1(VALU_DEP_3)
	v_cmp_gt_u32_e32 vcc_lo, 3, v1
	v_lshlrev_b32_e32 v65, 1, v2
	s_delay_alu instid0(VALU_DEP_3)
	s_and_b32 s17, s2, vcc_lo
	s_waitcnt lgkmcnt(0)
	s_and_saveexec_b32 s7, s17
	s_cbranch_execz .LBB828_10
; %bb.9:
	s_load_b64 s[20:21], s[0:1], 0x0
	v_add_lshl_u32 v2, v1, s33, 6
	s_mul_hi_i32 s23, s3, s4
	s_mul_i32 s22, s3, s4
	v_lshlrev_b32_e32 v6, 10, v68
	s_lshl_b64 s[22:23], s[22:23], 1
	v_ashrrev_i32_e32 v3, 31, v2
	v_lshlrev_b32_e32 v1, 6, v1
	v_lshlrev_b32_e32 v7, 10, v67
	v_and_b32_e32 v6, 0x3800, v6
	s_delay_alu instid0(VALU_DEP_4) | instskip(NEXT) | instid1(VALU_DEP_2)
	v_lshlrev_b64 v[2:3], 1, v[2:3]
	v_or3_b32 v1, v6, v7, v1
	s_waitcnt lgkmcnt(0)
	s_add_u32 s3, s20, s22
	s_addc_u32 s4, s21, s23
	s_delay_alu instid0(VALU_DEP_2) | instskip(SKIP_1) | instid1(VALU_DEP_2)
	v_add_co_u32 v2, vcc_lo, s3, v2
	v_add_co_ci_u32_e32 v3, vcc_lo, s4, v3, vcc_lo
	v_add_co_u32 v2, vcc_lo, v2, v65
	s_delay_alu instid0(VALU_DEP_2)
	v_add_co_ci_u32_e32 v3, vcc_lo, 0, v3, vcc_lo
	global_load_b128 v[2:5], v[2:3], off
	s_waitcnt vmcnt(0)
	ds_store_b128 v1, v[2:5]
.LBB828_10:
	s_or_b32 exec_lo, exec_lo, s7
	v_and_b32_e32 v1, 0xef, v0
	s_add_i32 s3, s18, 15
	s_clause 0x1
	s_load_b32 s4, s[0:1], 0x38
	s_load_b32 s35, s[0:1], 0x98
	s_ashr_i32 s7, s3, 31
	v_add_nc_u32_e32 v1, s16, v1
	s_lshr_b32 s7, s7, 28
	s_load_b32 s19, s[0:1], 0x1c
	s_add_i32 s3, s3, s7
	s_waitcnt lgkmcnt(0)
	v_ashrrev_i32_e32 v2, 31, v1
	v_or_b32_e32 v3, 16, v1
	s_ashr_i32 s3, s3, 4
	v_cmp_gt_i32_e32 vcc_lo, s18, v1
	s_add_i32 s3, s3, -1
	v_lshrrev_b32_e32 v2, 28, v2
	s_barrier
	buffer_gl0_inv
	s_mul_i32 s15, s15, s6
	v_mul_lo_u16 v103, 0x56, v68
	v_add_nc_u32_e32 v4, v1, v2
	v_mbcnt_lo_u32_b32 v127, -1, 0
	s_mul_i32 s20, s34, s4
	s_delay_alu instid0(SALU_CYCLE_1) | instskip(NEXT) | instid1(VALU_DEP_2)
	s_ashr_i32 s21, s20, 31
	v_ashrrev_i32_e32 v4, 4, v4
	v_add_nc_u32_e32 v2, v3, v2
	s_lshl_b64 s[20:21], s[20:21], 2
	v_lshrrev_b16 v103, 8, v103
	s_add_u32 s17, s12, s20
	v_cndmask_b32_e32 v1, s3, v4, vcc_lo
	v_ashrrev_i32_e32 v2, 4, v2
	v_cmp_gt_i32_e32 vcc_lo, s18, v3
	s_addc_u32 s13, s13, s21
	s_ashr_i32 s20, s15, 31
	s_add_u32 s4, s8, s15
	s_addc_u32 s12, s9, s20
	v_cndmask_b32_e32 v3, s3, v2, vcc_lo
	v_ashrrev_i32_e32 v2, 31, v1
	s_lshl_b32 s6, s14, 4
	v_mul_lo_u16 v103, v103, 3
	s_ashr_i32 s7, s6, 31
	v_ashrrev_i32_e32 v4, 31, v3
	v_lshlrev_b64 v[1:2], 2, v[1:2]
	s_lshl_b64 s[6:7], s[6:7], 2
	v_sub_nc_u16 v103, v68, v103
	s_add_u32 s6, s17, s6
	v_lshlrev_b64 v[3:4], 2, v[3:4]
	s_addc_u32 s7, s13, s7
	v_add_co_u32 v1, vcc_lo, s17, v1
	v_add_co_ci_u32_e32 v2, vcc_lo, s13, v2, vcc_lo
	s_delay_alu instid0(VALU_DEP_3) | instskip(NEXT) | instid1(VALU_DEP_4)
	v_add_co_u32 v3, vcc_lo, s17, v3
	v_add_co_ci_u32_e32 v4, vcc_lo, s13, v4, vcc_lo
	s_clause 0x1
	global_load_b32 v5, v[1:2], off
	global_load_b32 v7, v[3:4], off
	s_or_b32 s8, s16, 32
	v_lshlrev_b32_e32 v1, 4, v0
	s_ashr_i32 s9, s8, 4
	s_cmp_lt_i32 s8, s18
	v_xor_b32_e32 v128, 16, v127
	s_cselect_b32 s8, s9, s3
	v_and_b32_e32 v1, 0xf0, v1
	s_ashr_i32 s9, s8, 31
	s_delay_alu instid0(SALU_CYCLE_1)
	s_lshl_b64 s[8:9], s[8:9], 2
	v_cmp_gt_i32_e32 vcc_lo, 32, v128
	s_add_u32 s8, s17, s8
	s_addc_u32 s9, s13, s9
	s_or_b32 s21, s16, 64
	v_add_co_u32 v1, s4, s4, v1
	s_ashr_i32 s22, s21, 4
	s_cmp_lt_i32 s21, s18
	v_add_co_ci_u32_e64 v2, null, s12, 0, s4
	s_cselect_b32 s22, s22, s3
	v_dual_cndmask_b32 v136, v127, v128 :: v_dual_and_b32 v103, 0xff, v103
	s_ashr_i32 s23, s22, 31
	s_delay_alu instid0(SALU_CYCLE_1) | instskip(NEXT) | instid1(VALU_DEP_1)
	s_lshl_b64 s[22:23], s[22:23], 2
	v_lshlrev_b32_e32 v115, 6, v103
	s_add_u32 s22, s17, s22
	s_addc_u32 s23, s13, s23
	s_or_b32 s21, s16, 0x60
	s_delay_alu instid0(SALU_CYCLE_1) | instskip(SKIP_2) | instid1(SALU_CYCLE_1)
	s_ashr_i32 s24, s21, 4
	s_cmp_lt_i32 s21, s18
	s_cselect_b32 s24, s24, s3
	s_ashr_i32 s25, s24, 31
	s_delay_alu instid0(SALU_CYCLE_1) | instskip(NEXT) | instid1(SALU_CYCLE_1)
	s_lshl_b64 s[24:25], s[24:25], 2
	s_add_u32 s24, s17, s24
	s_addc_u32 s25, s13, s25
	s_or_b32 s21, s16, 0x80
	s_delay_alu instid0(SALU_CYCLE_1) | instskip(SKIP_2) | instid1(SALU_CYCLE_1)
	s_ashr_i32 s26, s21, 4
	s_cmp_lt_i32 s21, s18
	s_cselect_b32 s26, s26, s3
	s_ashr_i32 s27, s26, 31
	s_delay_alu instid0(SALU_CYCLE_1) | instskip(NEXT) | instid1(SALU_CYCLE_1)
	s_lshl_b64 s[26:27], s[26:27], 2
	;; [unrolled: 10-line block ×3, first 2 shown]
	s_add_u32 s28, s17, s28
	s_addc_u32 s29, s13, s29
	s_clause 0x5
	s_load_b32 s12, s[6:7], 0x0
	s_load_b32 s4, s[8:9], 0x0
	;; [unrolled: 1-line block ×6, first 2 shown]
	s_or_b32 s21, s16, 0xc0
	s_delay_alu instid0(SALU_CYCLE_1) | instskip(SKIP_2) | instid1(SALU_CYCLE_1)
	s_ashr_i32 s22, s21, 4
	s_cmp_lt_i32 s21, s18
	s_cselect_b32 s22, s22, s3
	s_ashr_i32 s23, s22, 31
	s_delay_alu instid0(SALU_CYCLE_1) | instskip(NEXT) | instid1(SALU_CYCLE_1)
	s_lshl_b64 s[22:23], s[22:23], 2
	s_add_u32 s22, s17, s22
	s_addc_u32 s23, s13, s23
	s_or_b32 s21, s16, 0xe0
	s_delay_alu instid0(SALU_CYCLE_1) | instskip(SKIP_2) | instid1(SALU_CYCLE_1)
	s_ashr_i32 s24, s21, 4
	s_cmp_lt_i32 s21, s18
	s_cselect_b32 s24, s24, s3
	s_ashr_i32 s25, s24, 31
	s_delay_alu instid0(SALU_CYCLE_1)
	s_lshl_b64 s[24:25], s[24:25], 2
	s_waitcnt vmcnt(1)
	v_mad_i64_i32 v[3:4], null, v5, s5, v[1:2]
	s_waitcnt vmcnt(0)
	v_mad_i64_i32 v[5:6], null, v7, s5, v[1:2]
	v_lshlrev_b32_e32 v1, 4, v68
	s_clause 0x7
	global_load_b128 v[71:74], v[3:4], off
	global_load_b128 v[75:78], v[3:4], off offset:256
	global_load_b128 v[79:82], v[5:6], off
	global_load_b128 v[83:86], v[5:6], off offset:256
	global_load_b128 v[87:90], v[3:4], off offset:512
	;; [unrolled: 1-line block ×5, first 2 shown]
	v_lshl_or_b32 v1, v69, 8, v1
	s_load_b32 s3, s[22:23], 0x0
	s_add_u32 s22, s17, s24
	s_addc_u32 s23, s13, s25
	s_add_u32 s10, s10, s15
	s_addc_u32 s11, s11, s20
	v_add_co_u32 v1, s10, s10, v1
	s_delay_alu instid0(VALU_DEP_1) | instskip(SKIP_2) | instid1(VALU_DEP_1)
	v_add_co_ci_u32_e64 v2, null, s11, 0, s10
	s_load_b32 s10, s[22:23], 0x0
	s_waitcnt lgkmcnt(0)
	v_mad_i64_i32 v[3:4], null, s12, s5, v[1:2]
	v_mad_i64_i32 v[9:10], null, s7, s5, v[1:2]
	;; [unrolled: 1-line block ×7, first 2 shown]
	s_clause 0x5
	global_load_b128 v[49:52], v[3:4], off
	global_load_b128 v[53:56], v[3:4], off offset:16
	global_load_b128 v[41:44], v[5:6], off
	global_load_b128 v[45:48], v[5:6], off offset:16
	;; [unrolled: 2-line block ×3, first 2 shown]
	s_mov_b32 s4, 0
	v_mad_i64_i32 v[61:62], null, s10, s5, v[1:2]
	s_clause 0x9
	global_load_b128 v[1:4], v[9:10], off
	global_load_b128 v[5:8], v[9:10], off offset:16
	global_load_b128 v[9:12], v[13:14], off
	global_load_b128 v[13:16], v[13:14], off offset:16
	;; [unrolled: 2-line block ×5, first 2 shown]
	s_mov_b32 s5, s4
	s_mov_b32 s6, s4
	;; [unrolled: 1-line block ×7, first 2 shown]
	v_and_b32_e32 v104, 0xe0, v0
	v_dual_mov_b32 v126, s11 :: v_dual_mov_b32 v123, s8
	v_dual_mov_b32 v125, s10 :: v_dual_mov_b32 v124, s9
	s_delay_alu instid0(VALU_DEP_3)
	v_add_nc_u32_e32 v111, s16, v104
	ds_load_b128 v[103:106], v115
	ds_load_b128 v[107:110], v115 offset:1024
	v_dual_mov_b32 v122, s7 :: v_dual_mov_b32 v121, s6
	v_mov_b32_e32 v120, s5
	v_or_b32_e32 v135, v111, v66
	ds_load_b128 v[111:114], v115 offset:2048
	ds_load_b128 v[115:118], v115 offset:3072
	v_mov_b32_e32 v119, s4
	s_waitcnt vmcnt(0) lgkmcnt(0)
	s_barrier
	v_or_b32_e32 v137, 2, v135
	v_or_b32_e32 v138, 4, v135
	;; [unrolled: 1-line block ×3, first 2 shown]
	v_cmp_gt_i32_e32 vcc_lo, s18, v135
	v_or_b32_e32 v140, 8, v135
	v_cmp_gt_i32_e64 s3, s18, v137
	v_or_b32_e32 v141, 10, v135
	v_cmp_gt_i32_e64 s4, s18, v138
	v_cmp_gt_i32_e64 s5, s18, v139
	v_or_b32_e32 v142, 12, v135
	v_or_b32_e32 v143, 14, v135
	v_cmp_gt_i32_e64 s6, s18, v140
	v_cmp_gt_i32_e64 s7, s18, v141
	v_or_b32_e32 v144, 16, v135
	v_or_b32_e32 v145, 18, v135
	v_cmp_gt_i32_e64 s8, s18, v142
	v_cmp_gt_i32_e64 s9, s18, v143
	buffer_gl0_inv
	v_cmp_gt_i32_e64 s10, s18, v144
	v_cmp_gt_i32_e64 s11, s18, v145
	v_wmma_f32_16x16x16_f16 v[127:134], v[71:78], v[103:110], v[119:126]
	v_wmma_f32_16x16x16_f16 v[119:126], v[79:86], v[103:110], v[119:126]
	v_or_b32_e32 v71, 20, v135
	v_or_b32_e32 v72, 22, v135
	s_delay_alu instid0(VALU_DEP_4)
	v_wmma_f32_16x16x16_f16 v[127:134], v[87:94], v[111:118], v[127:134]
	v_or_b32_e32 v73, 24, v135
	v_wmma_f32_16x16x16_f16 v[119:126], v[95:102], v[111:118], v[119:126]
	v_or_b32_e32 v74, 26, v135
	v_cmp_gt_i32_e64 s12, s18, v71
	v_dual_mul_f32 v83, s19, v128 :: v_dual_mul_f32 v84, s19, v127
	s_delay_alu instid0(VALU_DEP_4) | instskip(SKIP_1) | instid1(VALU_DEP_3)
	v_dual_mul_f32 v81, s19, v130 :: v_dual_mul_f32 v92, s19, v119
	v_mul_f32_e32 v82, s19, v129
	v_cndmask_b32_e64 v83, 0xff7fffff, v83, s3
	s_delay_alu instid0(VALU_DEP_4)
	v_cndmask_b32_e32 v84, 0xff7fffff, v84, vcc_lo
	v_dual_mul_f32 v79, s19, v132 :: v_dual_mul_f32 v90, s19, v121
	v_mul_f32_e32 v80, s19, v131
	v_cndmask_b32_e64 v82, 0xff7fffff, v82, s4
	v_cndmask_b32_e64 v81, 0xff7fffff, v81, s5
	v_max3_f32 v83, v84, 0xff7fffff, v83
	v_dual_mul_f32 v77, s19, v134 :: v_dual_mul_f32 v88, s19, v123
	v_mul_f32_e32 v78, s19, v133
	v_cndmask_b32_e64 v80, 0xff7fffff, v80, s6
	v_cndmask_b32_e64 v79, 0xff7fffff, v79, s7
	v_max3_f32 v81, v83, v82, v81
	v_mul_f32_e32 v91, s19, v120
	v_cndmask_b32_e64 v78, 0xff7fffff, v78, s8
	v_cndmask_b32_e64 v77, 0xff7fffff, v77, s9
	v_mul_f32_e32 v89, s19, v122
	v_max3_f32 v79, v81, v80, v79
	v_cndmask_b32_e64 v80, 0xff7fffff, v92, s10
	v_cndmask_b32_e64 v81, 0xff7fffff, v91, s11
	v_cmp_gt_i32_e64 s13, s18, v72
	v_or_b32_e32 v75, 28, v135
	v_max3_f32 v77, v79, v78, v77
	v_or_b32_e32 v76, 30, v135
	v_mul_f32_e32 v87, s19, v124
	v_cndmask_b32_e64 v71, 0xff7fffff, v90, s12
	v_cndmask_b32_e64 v72, 0xff7fffff, v89, s13
	v_max3_f32 v77, v77, v80, v81
	v_cmp_gt_i32_e64 s15, s18, v73
	v_cmp_gt_i32_e64 s16, s18, v74
	v_dual_mul_f32 v85, s19, v126 :: v_dual_mul_f32 v86, s19, v125
	s_delay_alu instid0(VALU_DEP_4) | instskip(NEXT) | instid1(VALU_DEP_4)
	v_max3_f32 v71, v77, v71, v72
	v_cndmask_b32_e64 v73, 0xff7fffff, v88, s15
	s_delay_alu instid0(VALU_DEP_4) | instskip(SKIP_2) | instid1(VALU_DEP_3)
	v_cndmask_b32_e64 v74, 0xff7fffff, v87, s16
	v_cmp_gt_i32_e64 s17, s18, v75
	v_cmp_gt_i32_e64 s18, s18, v76
	v_max3_f32 v71, v71, v73, v74
	s_delay_alu instid0(VALU_DEP_3) | instskip(NEXT) | instid1(VALU_DEP_3)
	v_cndmask_b32_e64 v72, 0xff7fffff, v86, s17
	v_cndmask_b32_e64 v75, 0xff7fffff, v85, s18
	v_lshlrev_b32_e32 v73, 2, v136
	s_delay_alu instid0(VALU_DEP_2) | instskip(SKIP_3) | instid1(VALU_DEP_1)
	v_max3_f32 v71, v71, v72, v75
	ds_bpermute_b32 v72, v73, v71
	s_waitcnt lgkmcnt(0)
	v_max_f32_e32 v72, v72, v72
	v_max_f32_e32 v71, v71, v72
	s_delay_alu instid0(VALU_DEP_1)
	v_fma_f32 v72, s19, v127, -v71
	v_fma_f32 v74, s19, v128, -v71
	;; [unrolled: 1-line block ×5, first 2 shown]
	v_mul_f32_e32 v72, 0x3fb8aa3b, v72
	v_mul_f32_e32 v74, 0x3fb8aa3b, v74
	v_fma_f32 v80, s19, v133, -v71
	s_delay_alu instid0(VALU_DEP_4) | instskip(NEXT) | instid1(VALU_DEP_4)
	v_dual_mul_f32 v76, 0x3fb8aa3b, v76 :: v_dual_mul_f32 v77, 0x3fb8aa3b, v77
	v_exp_f32_e32 v72, v72
	s_delay_alu instid0(VALU_DEP_3) | instskip(NEXT) | instid1(VALU_DEP_2)
	v_exp_f32_e32 v74, v74
	v_mul_f32_e32 v82, 0x3fb8aa3b, v80
	s_delay_alu instid0(VALU_DEP_2) | instskip(SKIP_1) | instid1(VALU_DEP_1)
	v_exp_f32_e32 v76, v76
	v_exp_f32_e32 v77, v77
	;; [unrolled: 1-line block ×3, first 2 shown]
	v_cndmask_b32_e32 v79, 0, v72, vcc_lo
	v_fma_f32 v72, s19, v132, -v71
	v_mul_f32_e32 v75, 0x3fb8aa3b, v75
	v_cndmask_b32_e64 v78, 0, v74, s3
	s_delay_alu instid0(TRANS32_DEP_3)
	v_cndmask_b32_e64 v80, 0, v76, s5
	v_add_f32_e32 v74, 0, v79
	v_mul_f32_e32 v72, 0x3fb8aa3b, v72
	v_exp_f32_e32 v75, v75
	v_cndmask_b32_e64 v83, 0, v77, s6
	v_cndmask_b32_e64 v85, 0, v84, s8
	v_add_f32_e32 v74, v74, v78
	v_exp_f32_e32 v72, v72
	v_cmp_gt_u32_e64 s3, 16, v70
	s_waitcnt_depctr 0xfff
	v_cndmask_b32_e64 v81, 0, v75, s4
	v_cndmask_b32_e64 v82, 0, v72, s7
	s_delay_alu instid0(VALU_DEP_2) | instskip(NEXT) | instid1(VALU_DEP_1)
	v_add_f32_e32 v74, v74, v81
	v_add_f32_e32 v74, v74, v80
	s_delay_alu instid0(VALU_DEP_1) | instskip(SKIP_4) | instid1(VALU_DEP_4)
	v_add_f32_e32 v72, v74, v83
	v_fma_f32 v75, s19, v134, -v71
	v_fma_f32 v76, s19, v119, -v71
	;; [unrolled: 1-line block ×4, first 2 shown]
	v_dual_add_f32 v72, v72, v82 :: v_dual_mul_f32 v75, 0x3fb8aa3b, v75
	s_delay_alu instid0(VALU_DEP_3) | instskip(SKIP_1) | instid1(VALU_DEP_3)
	v_dual_mul_f32 v76, 0x3fb8aa3b, v76 :: v_dual_mul_f32 v77, 0x3fb8aa3b, v77
	v_fma_f32 v86, s19, v122, -v71
	v_add_f32_e32 v72, v72, v85
	s_delay_alu instid0(VALU_DEP_4) | instskip(NEXT) | instid1(VALU_DEP_3)
	v_exp_f32_e32 v75, v75
	v_exp_f32_e32 v76, v76
	;; [unrolled: 1-line block ×3, first 2 shown]
	v_mul_f32_e32 v86, 0x3fb8aa3b, v86
	s_delay_alu instid0(VALU_DEP_1) | instskip(SKIP_3) | instid1(TRANS32_DEP_3)
	v_exp_f32_e32 v88, v86
	v_cndmask_b32_e64 v84, 0, v75, s9
	v_fma_f32 v75, s19, v123, -v71
	v_mul_f32_e32 v74, 0x3fb8aa3b, v74
	v_cndmask_b32_e64 v87, 0, v76, s10
	v_fma_f32 v76, s19, v124, -v71
	s_delay_alu instid0(VALU_DEP_4) | instskip(NEXT) | instid1(VALU_DEP_4)
	v_dual_add_f32 v72, v72, v84 :: v_dual_mul_f32 v75, 0x3fb8aa3b, v75
	v_exp_f32_e32 v74, v74
	v_cndmask_b32_e64 v86, 0, v77, s11
	v_fma_f32 v77, s19, v125, -v71
	s_delay_alu instid0(VALU_DEP_3) | instskip(SKIP_3) | instid1(VALU_DEP_3)
	v_add_f32_e32 v72, v72, v87
	v_mul_f32_e32 v76, 0x3fb8aa3b, v76
	v_exp_f32_e32 v75, v75
	v_cndmask_b32_e64 v88, 0, v88, s13
	v_add_f32_e32 v72, v72, v86
	s_delay_alu instid0(VALU_DEP_3) | instskip(NEXT) | instid1(TRANS32_DEP_3)
	v_exp_f32_e32 v76, v76
	v_cndmask_b32_e64 v89, 0, v74, s12
	v_mul_f32_e32 v74, 0x3fb8aa3b, v77
	v_fma_f32 v77, s19, v126, -v71
	s_delay_alu instid0(VALU_DEP_3) | instskip(NEXT) | instid1(VALU_DEP_3)
	v_add_f32_e32 v72, v72, v89
	v_exp_f32_e32 v74, v74
	s_delay_alu instid0(TRANS32_DEP_3) | instskip(NEXT) | instid1(VALU_DEP_3)
	v_cndmask_b32_e64 v91, 0, v75, s15
	v_mul_f32_e32 v75, 0x3fb8aa3b, v77
	s_delay_alu instid0(TRANS32_DEP_2) | instskip(SKIP_1) | instid1(VALU_DEP_3)
	v_cndmask_b32_e64 v90, 0, v76, s16
	v_add_f32_e32 v72, v72, v88
	v_exp_f32_e32 v75, v75
	s_delay_alu instid0(VALU_DEP_1) | instskip(NEXT) | instid1(TRANS32_DEP_2)
	v_add_f32_e32 v72, v72, v91
	v_cndmask_b32_e64 v93, 0, v74, s17
	s_delay_alu instid0(VALU_DEP_2) | instskip(SKIP_3) | instid1(VALU_DEP_1)
	v_add_f32_e32 v72, v72, v90
	s_waitcnt_depctr 0xfff
	v_cndmask_b32_e64 v92, 0, v75, s18
	v_add_f32_e32 v72, v72, v93
	v_add_f32_e32 v72, v72, v92
	ds_bpermute_b32 v73, v73, v72
	s_and_saveexec_b32 s4, s3
	s_cbranch_execz .LBB828_12
; %bb.11:
	v_mul_u32_u24_e32 v70, 0x44, v69
	s_waitcnt lgkmcnt(0)
	v_add_f32_e32 v72, v72, v73
	s_delay_alu instid0(VALU_DEP_2) | instskip(NEXT) | instid1(VALU_DEP_1)
	v_lshl_add_u32 v70, v68, 2, v70
	v_add_nc_u32_e32 v70, 0x4000, v70
	ds_store_2addr_b32 v70, v71, v72 offset1:136
.LBB828_12:
	s_or_b32 exec_lo, exec_lo, s4
	v_lshlrev_b32_e32 v70, 2, v68
	s_load_b32 s36, s[0:1], 0x94
	s_waitcnt lgkmcnt(0)
	s_barrier
	buffer_gl0_inv
	v_add_nc_u32_e32 v98, 0x4000, v70
	v_cmp_eq_u32_e32 vcc_lo, 1, v69
	v_cmp_eq_u32_e64 s4, 2, v69
	v_cmp_eq_u32_e64 s5, 3, v69
	;; [unrolled: 1-line block ×3, first 2 shown]
	ds_load_2addr_b32 v[70:71], v98 offset1:17
	ds_load_2addr_b32 v[72:73], v98 offset0:34 offset1:51
	ds_load_2addr_b32 v[74:75], v98 offset0:68 offset1:85
	;; [unrolled: 1-line block ×3, first 2 shown]
	v_cmp_eq_u32_e64 s7, 5, v69
	v_cmp_eq_u32_e64 s8, 7, v69
	s_waitcnt lgkmcnt(3)
	v_max3_f32 v76, v70, 0xff7fffff, v71
	s_waitcnt lgkmcnt(2)
	s_delay_alu instid0(VALU_DEP_1) | instskip(SKIP_1) | instid1(VALU_DEP_1)
	v_max3_f32 v76, v76, v72, v73
	s_waitcnt lgkmcnt(1)
	v_max3_f32 v76, v76, v74, v75
	s_waitcnt lgkmcnt(0)
	s_delay_alu instid0(VALU_DEP_1) | instskip(NEXT) | instid1(VALU_DEP_1)
	v_max3_f32 v76, v76, v94, v95
	v_sub_f32_e32 v77, v71, v76
	ds_load_2addr_b32 v[96:97], v98 offset0:136 offset1:153
	v_sub_f32_e32 v74, v74, v76
	v_sub_f32_e32 v70, v70, v76
	;; [unrolled: 1-line block ×3, first 2 shown]
	v_dual_sub_f32 v72, v72, v76 :: v_dual_mul_f32 v77, 0x3fb8aa3b, v77
	s_delay_alu instid0(VALU_DEP_4) | instskip(NEXT) | instid1(VALU_DEP_4)
	v_mul_f32_e32 v103, 0x3fb8aa3b, v74
	v_mul_f32_e32 v99, 0x3fb8aa3b, v70
	ds_load_2addr_b32 v[70:71], v98 offset0:170 offset1:187
	v_dual_mul_f32 v101, 0x3fb8aa3b, v72 :: v_dual_mul_f32 v94, 0x3fb8aa3b, v94
	v_exp_f32_e32 v102, v77
	v_exp_f32_e32 v99, v99
	s_delay_alu instid0(VALU_DEP_1) | instskip(NEXT) | instid1(VALU_DEP_1)
	v_exp_f32_e32 v101, v101
	v_exp_f32_e32 v94, v94
	s_waitcnt lgkmcnt(1)
	s_delay_alu instid0(TRANS32_DEP_3)
	v_fma_f32 v77, v99, v96, 0
	v_sub_f32_e32 v100, v73, v76
	ds_load_2addr_b32 v[72:73], v98 offset0:204 offset1:221
	v_fmac_f32_e32 v77, v102, v97
	v_exp_f32_e32 v97, v103
	s_waitcnt lgkmcnt(1)
	s_delay_alu instid0(VALU_DEP_1)
	v_dual_fmac_f32 v77, v101, v70 :: v_dual_sub_f32 v96, v75, v76
	ds_load_2addr_b32 v[74:75], v98 offset0:238 offset1:255
	v_sub_f32_e32 v70, v95, v76
	s_waitcnt lgkmcnt(0)
	s_barrier
	v_mul_f32_e32 v96, 0x3fb8aa3b, v96
	buffer_gl0_inv
	v_exp_f32_e32 v95, v96
	v_mul_f32_e32 v100, 0x3fb8aa3b, v100
	s_delay_alu instid0(VALU_DEP_1) | instskip(SKIP_3) | instid1(VALU_DEP_2)
	v_exp_f32_e32 v100, v100
	s_waitcnt_depctr 0xfff
	v_dual_fmac_f32 v77, v100, v71 :: v_dual_mul_f32 v70, 0x3fb8aa3b, v70
	v_cndmask_b32_e32 v71, v99, v102, vcc_lo
	v_fmac_f32_e32 v77, v97, v72
	s_delay_alu instid0(VALU_DEP_3) | instskip(NEXT) | instid1(VALU_DEP_1)
	v_exp_f32_e32 v96, v70
	v_fmac_f32_e32 v77, v95, v73
	s_delay_alu instid0(VALU_DEP_1) | instskip(SKIP_2) | instid1(VALU_DEP_1)
	v_fmac_f32_e32 v77, v94, v74
	s_waitcnt_depctr 0xfff
	v_fmac_f32_e32 v77, v96, v75
	v_add_f32_e32 v74, 0x358637bd, v77
	s_delay_alu instid0(VALU_DEP_1) | instskip(SKIP_1) | instid1(VALU_DEP_2)
	v_div_scale_f32 v98, null, v74, v74, 1.0
	v_div_scale_f32 v99, vcc_lo, 1.0, v74, 1.0
	v_rcp_f32_e32 v103, v98
	s_waitcnt_depctr 0xfff
	v_fma_f32 v70, -v98, v103, 1.0
	s_delay_alu instid0(VALU_DEP_1) | instskip(SKIP_2) | instid1(VALU_DEP_2)
	v_fmac_f32_e32 v103, v70, v103
	v_cndmask_b32_e64 v70, v71, v101, s4
	v_cmp_eq_u32_e64 s4, 6, v69
	v_cndmask_b32_e64 v71, v70, v100, s5
	s_delay_alu instid0(VALU_DEP_4) | instskip(NEXT) | instid1(VALU_DEP_2)
	v_dual_mul_f32 v101, v99, v103 :: v_dual_lshlrev_b32 v70, 2, v66
	v_cndmask_b32_e64 v71, v71, v97, s6
	s_delay_alu instid0(VALU_DEP_2) | instskip(NEXT) | instid1(VALU_DEP_3)
	v_or_b32_e32 v72, 1, v70
	v_fma_f32 v100, -v98, v101, v99
	v_cmp_eq_u32_e64 s5, 1, v70
	v_cmp_eq_u32_e64 s6, 2, v70
	v_cndmask_b32_e64 v95, v71, v95, s7
	v_or_b32_e32 v71, 3, v70
	v_fmac_f32_e32 v101, v100, v103
	v_cmp_eq_u32_e64 s10, 1, v72
	v_cmp_eq_u32_e64 s13, 2, v72
	v_cndmask_b32_e64 v94, v95, v94, s4
	v_cmp_eq_u32_e64 s12, 1, v71
	v_fma_f32 v97, -v98, v101, v99
	v_cmp_eq_u32_e64 s17, 2, v71
	v_cmp_eq_u32_e64 s15, 3, v72
	v_cndmask_b32_e64 v94, v94, v96, s8
	v_cmp_eq_u32_e64 s19, 3, v71
	v_div_fmas_f32 v95, v97, v103, v101
	v_cmp_eq_u32_e32 vcc_lo, 3, v70
	v_cmp_eq_u32_e64 s4, 4, v70
	v_cmp_eq_u32_e64 s20, 4, v72
	;; [unrolled: 1-line block ×3, first 2 shown]
	v_div_fixup_f32 v95, v95, v74, 1.0
	v_lshlrev_b32_e32 v73, 6, v68
	v_cmp_eq_u32_e64 s7, 5, v70
	v_cmp_eq_u32_e64 s21, 5, v72
	;; [unrolled: 1-line block ×3, first 2 shown]
	v_mul_f32_e32 v102, v94, v95
	v_lshl_or_b32 v75, v69, 11, v73
	v_or_b32_e32 v69, 2, v70
	v_cmp_eq_u32_e64 s26, 6, v72
	v_cmp_eq_u32_e64 s28, 6, v71
	v_fma_mixlo_f16 v94, v102, v79, 0
	v_fma_mixlo_f16 v95, v102, v81, 0
	;; [unrolled: 1-line block ×8, first 2 shown]
	v_lshl_or_b32 v74, v66, 4, v75
	v_fma_mixhi_f16 v94, v102, v78, 0
	v_fma_mixhi_f16 v95, v102, v80, 0
	;; [unrolled: 1-line block ×8, first 2 shown]
	ds_store_b128 v74, v[94:97]
	ds_store_b128 v74, v[98:101] offset:1024
	s_waitcnt lgkmcnt(0)
	s_barrier
	buffer_gl0_inv
	ds_load_b128 v[78:81], v75
	ds_load_b128 v[82:85], v75 offset:16
	ds_load_b128 v[86:89], v75 offset:1024
	;; [unrolled: 1-line block ×3, first 2 shown]
	v_cmp_eq_u32_e64 s11, 1, v69
	v_cmp_eq_u32_e64 s16, 2, v69
	;; [unrolled: 1-line block ×11, first 2 shown]
	s_waitcnt lgkmcnt(3)
	v_lshrrev_b32_e32 v94, 16, v78
	s_waitcnt lgkmcnt(2)
	v_lshrrev_b32_e32 v98, 16, v82
	;; [unrolled: 2-line block ×4, first 2 shown]
	v_lshrrev_b32_e32 v95, 16, v79
	v_cndmask_b32_e64 v110, v78, v94, s5
	v_cndmask_b32_e64 v111, v82, v98, s5
	v_cndmask_b32_e64 v112, v78, v94, s10
	v_cndmask_b32_e64 v113, v82, v98, s10
	v_cndmask_b32_e64 v114, v78, v94, s11
	v_cndmask_b32_e64 v115, v82, v98, s11
	v_cndmask_b32_e64 v78, v78, v94, s12
	v_cndmask_b32_e64 v82, v82, v98, s12
	v_lshrrev_b32_e32 v99, 16, v83
	v_cndmask_b32_e64 v94, v86, v102, s5
	v_cndmask_b32_e64 v98, v90, v106, s5
	;; [unrolled: 1-line block ×15, first 2 shown]
	v_lshrrev_b32_e32 v103, 16, v87
	v_lshrrev_b32_e32 v107, 16, v91
	v_cndmask_b32_e64 v113, v115, v83, s16
	v_cndmask_b32_e64 v82, v94, v87, s6
	;; [unrolled: 1-line block ×7, first 2 shown]
	v_cndmask_b32_e32 v90, v102, v95, vcc_lo
	v_cndmask_b32_e32 v102, v106, v99, vcc_lo
	v_cndmask_b32_e64 v106, v110, v95, s15
	v_cndmask_b32_e64 v110, v111, v99, s15
	;; [unrolled: 1-line block ×4, first 2 shown]
	v_lshrrev_b32_e32 v96, 16, v80
	v_lshrrev_b32_e32 v100, 16, v84
	v_cndmask_b32_e64 v111, v112, v95, s18
	v_cndmask_b32_e64 v112, v113, v99, s18
	v_cndmask_b32_e32 v82, v82, v103, vcc_lo
	v_cndmask_b32_e32 v83, v83, v107, vcc_lo
	v_cndmask_b32_e64 v94, v94, v103, s15
	v_cndmask_b32_e64 v90, v90, v80, s4
	v_cndmask_b32_e64 v95, v102, v84, s4
	v_cndmask_b32_e64 v99, v106, v80, s20
	v_cndmask_b32_e64 v102, v110, v84, s20
	v_cndmask_b32_e64 v78, v78, v80, s23
	v_cndmask_b32_e64 v79, v79, v84, s23
	v_lshrrev_b32_e32 v104, 16, v88
	v_cndmask_b32_e64 v106, v111, v80, s22
	v_cndmask_b32_e64 v110, v112, v84, s22
	;; [unrolled: 1-line block ×11, first 2 shown]
	v_lshrrev_b32_e32 v97, 16, v81
	v_lshrrev_b32_e32 v101, 16, v85
	v_cndmask_b32_e64 v99, v106, v96, s24
	v_cndmask_b32_e64 v102, v110, v100, s24
	v_cndmask_b32_e64 v83, v83, v104, s21
	v_cndmask_b32_e64 v94, v94, v81, s26
	v_cndmask_b32_e64 v95, v95, v85, s26
	v_cndmask_b32_e64 v78, v78, v81, s28
	v_cndmask_b32_e64 v79, v79, v85, s28
	v_lshrrev_b32_e32 v105, 16, v89
	v_cndmask_b32_e64 v80, v80, v104, s7
	v_cndmask_b32_e64 v84, v84, v81, s8
	;; [unrolled: 1-line block ×16, first 2 shown]
	v_perm_b32 v81, v79, v78, 0x5040100
	v_perm_b32 v79, v95, v85, 0x5040100
	v_cndmask_b32_e64 v78, v119, v91, s16
	v_cndmask_b32_e64 v85, v117, v91, s13
	;; [unrolled: 1-line block ×3, first 2 shown]
	v_perm_b32 v80, v94, v90, 0x5040100
	v_cndmask_b32_e64 v90, v98, v103, s18
	v_cndmask_b32_e64 v86, v86, v103, s19
	;; [unrolled: 1-line block ×5, first 2 shown]
	v_lshrrev_b32_e32 v108, 16, v92
	v_cndmask_b32_e64 v90, v90, v88, s22
	v_cndmask_b32_e64 v86, v86, v88, s23
	;; [unrolled: 1-line block ×11, first 2 shown]
	v_lshrrev_b32_e32 v109, 16, v93
	v_cndmask_b32_e64 v82, v82, v93, s8
	v_cndmask_b32_e64 v88, v88, v89, s27
	;; [unrolled: 1-line block ×12, first 2 shown]
	v_perm_b32 v78, v84, v83, 0x5040100
	v_perm_b32 v85, v87, v86, 0x5040100
	;; [unrolled: 1-line block ×5, first 2 shown]
	s_mul_i32 s9, s35, 3
	s_mov_b32 s4, exec_lo
	ds_store_b128 v74, v[78:81]
	ds_store_b128 v74, v[82:85] offset:1024
	v_cmpx_gt_u32_e32 3, v0
	s_cbranch_execz .LBB828_14
; %bb.13:
	s_mul_i32 s5, s9, s34
	s_load_b128 s[16:19], s[0:1], 0x58
	v_add3_u32 v68, s5, s33, v68
	s_delay_alu instid0(VALU_DEP_1) | instskip(NEXT) | instid1(VALU_DEP_1)
	v_mad_u64_u32 v[78:79], null, v68, s36, s[14:15]
	v_ashrrev_i32_e32 v79, 31, v78
	s_delay_alu instid0(VALU_DEP_1) | instskip(SKIP_1) | instid1(VALU_DEP_1)
	v_lshlrev_b64 v[78:79], 2, v[78:79]
	s_waitcnt lgkmcnt(0)
	v_add_co_u32 v80, vcc_lo, s18, v78
	s_delay_alu instid0(VALU_DEP_2)
	v_add_co_ci_u32_e32 v81, vcc_lo, s19, v79, vcc_lo
	v_add_co_u32 v78, vcc_lo, s16, v78
	v_add_co_ci_u32_e32 v79, vcc_lo, s17, v79, vcc_lo
	global_store_b32 v[80:81], v76, off
	global_store_b32 v[78:79], v77, off
.LBB828_14:
	s_or_b32 exec_lo, exec_lo, s4
	s_waitcnt lgkmcnt(0)
	s_waitcnt_vscnt null, 0x0
	s_barrier
	buffer_gl0_inv
	ds_load_b128 v[84:87], v73
	ds_load_b128 v[88:91], v73 offset:16
	ds_load_b128 v[96:99], v73 offset:2064
	;; [unrolled: 1-line block ×5, first 2 shown]
	v_cmp_eq_u32_e32 vcc_lo, 1, v70
	v_mov_b32_e32 v76, 0
	ds_load_b128 v[112:115], v73 offset:6160
	ds_load_b128 v[108:111], v73 offset:6144
	;; [unrolled: 1-line block ×4, first 2 shown]
	v_cmp_eq_u32_e64 s5, 1, v69
	v_cmp_eq_u32_e64 s4, 1, v72
	;; [unrolled: 1-line block ×3, first 2 shown]
	v_mov_b32_e32 v77, v76
	v_mov_b32_e32 v78, v76
	;; [unrolled: 1-line block ×7, first 2 shown]
	v_cmp_eq_u32_e64 s7, 3, v72
	v_cmp_eq_u32_e64 s8, 7, v72
	s_waitcnt lgkmcnt(8)
	s_delay_alu instid0(VALU_DEP_3)
	v_wmma_f32_16x16x16_f16 v[76:83], v[49:56], v[84:91], v[76:83]
	ds_load_b128 v[53:56], v73 offset:10256
	ds_load_b128 v[49:52], v73 offset:10240
	s_waitcnt lgkmcnt(8)
	v_wmma_f32_16x16x16_f16 v[76:83], v[41:48], v[92:99], v[76:83]
	ds_load_b128 v[45:48], v73 offset:12304
	ds_load_b128 v[41:44], v73 offset:12288
	s_waitcnt lgkmcnt(8)
	;; [unrolled: 4-line block ×3, first 2 shown]
	s_barrier
	buffer_gl0_inv
	v_wmma_f32_16x16x16_f16 v[76:83], v[1:8], v[108:115], v[76:83]
	s_delay_alu instid0(VALU_DEP_1) | instskip(NEXT) | instid1(VALU_DEP_1)
	v_wmma_f32_16x16x16_f16 v[76:83], v[9:16], v[116:123], v[76:83]
	v_wmma_f32_16x16x16_f16 v[76:83], v[17:24], v[49:56], v[76:83]
	s_delay_alu instid0(VALU_DEP_1) | instskip(NEXT) | instid1(VALU_DEP_1)
	v_wmma_f32_16x16x16_f16 v[76:83], v[25:32], v[41:48], v[76:83]
	v_wmma_f32_16x16x16_f16 v[76:83], v[57:64], v[33:40], v[76:83]
	s_delay_alu instid0(VALU_DEP_1) | instskip(NEXT) | instid1(VALU_DEP_2)
	v_cvt_f16_f32_e32 v1, v76
	v_cvt_f16_f32_e32 v2, v77
	s_delay_alu instid0(VALU_DEP_3) | instskip(NEXT) | instid1(VALU_DEP_4)
	v_cvt_f16_f32_e32 v3, v78
	v_cvt_f16_f32_e32 v4, v79
	;; [unrolled: 1-line block ×6, first 2 shown]
	v_pack_b32_f16 v1, v1, v2
	v_pack_b32_f16 v2, v3, v4
	;; [unrolled: 1-line block ×3, first 2 shown]
	s_delay_alu instid0(VALU_DEP_4)
	v_pack_b32_f16 v4, v7, v8
	ds_store_b128 v74, v[1:4]
	s_waitcnt lgkmcnt(0)
	s_barrier
	buffer_gl0_inv
	ds_load_b128 v[1:4], v75
	ds_load_b128 v[5:8], v75 offset:16
	s_waitcnt lgkmcnt(1)
	v_lshrrev_b32_e32 v9, 16, v1
	s_waitcnt lgkmcnt(0)
	v_lshrrev_b32_e32 v13, 16, v5
	v_lshrrev_b32_e32 v10, 16, v2
	;; [unrolled: 1-line block ×4, first 2 shown]
	v_cndmask_b32_e32 v17, v1, v9, vcc_lo
	v_cndmask_b32_e32 v18, v5, v13, vcc_lo
	v_cndmask_b32_e64 v21, v1, v9, s5
	v_cmp_eq_u32_e32 vcc_lo, 1, v71
	v_cndmask_b32_e64 v22, v5, v13, s5
	v_cmp_eq_u32_e64 s5, 2, v70
	v_cndmask_b32_e64 v19, v1, v9, s4
	v_cndmask_b32_e64 v20, v5, v13, s4
	v_cndmask_b32_e32 v1, v1, v9, vcc_lo
	v_cmp_eq_u32_e64 s4, 2, v71
	v_cndmask_b32_e32 v5, v5, v13, vcc_lo
	v_cndmask_b32_e64 v9, v17, v2, s5
	v_cmp_eq_u32_e32 vcc_lo, 3, v70
	v_cndmask_b32_e64 v13, v18, v6, s5
	v_cmp_eq_u32_e64 s5, 2, v69
	v_cndmask_b32_e64 v17, v19, v2, s6
	v_cndmask_b32_e64 v18, v20, v6, s6
	v_cmp_eq_u32_e64 s6, 3, v69
	v_cndmask_b32_e64 v1, v1, v2, s4
	v_cndmask_b32_e64 v19, v21, v2, s5
	;; [unrolled: 1-line block ×4, first 2 shown]
	v_cndmask_b32_e32 v5, v9, v10, vcc_lo
	v_cndmask_b32_e32 v6, v13, v14, vcc_lo
	v_cmp_eq_u32_e32 vcc_lo, 3, v71
	v_cndmask_b32_e64 v9, v17, v10, s7
	v_cndmask_b32_e64 v13, v18, v14, s7
	;; [unrolled: 1-line block ×3, first 2 shown]
	v_cmp_eq_u32_e64 s5, 4, v70
	v_cndmask_b32_e32 v1, v1, v10, vcc_lo
	v_cndmask_b32_e32 v2, v2, v14, vcc_lo
	v_cmp_eq_u32_e32 vcc_lo, 4, v72
	v_lshrrev_b32_e32 v15, 16, v7
	v_lshrrev_b32_e32 v16, 16, v8
	v_cndmask_b32_e64 v17, v19, v10, s6
	v_cmp_eq_u32_e64 s4, 4, v71
	v_cndmask_b32_e64 v5, v5, v3, s5
	v_cndmask_b32_e64 v6, v6, v7, s5
	v_cndmask_b32_e32 v9, v9, v3, vcc_lo
	v_cmp_eq_u32_e64 s5, 5, v72
	v_cndmask_b32_e32 v10, v13, v7, vcc_lo
	v_cmp_eq_u32_e32 vcc_lo, 4, v69
	v_cmp_eq_u32_e64 s6, 5, v70
	v_cndmask_b32_e64 v2, v2, v7, s4
	v_cndmask_b32_e64 v9, v9, v11, s5
	v_cndmask_b32_e64 v10, v10, v15, s5
	v_cndmask_b32_e32 v13, v17, v3, vcc_lo
	v_cmp_eq_u32_e64 s5, 5, v69
	v_cndmask_b32_e32 v14, v18, v7, vcc_lo
	v_cndmask_b32_e64 v1, v1, v3, s4
	v_cmp_eq_u32_e32 vcc_lo, 5, v71
	v_lshrrev_b32_e32 v12, 16, v4
	v_cndmask_b32_e64 v13, v13, v11, s5
	v_cndmask_b32_e64 v3, v14, v15, s5
	v_cmp_eq_u32_e64 s5, 6, v71
	v_cndmask_b32_e32 v1, v1, v11, vcc_lo
	v_cndmask_b32_e64 v5, v5, v11, s6
	v_cmp_eq_u32_e64 s7, 6, v70
	v_cndmask_b32_e64 v6, v6, v15, s6
	v_cmp_eq_u32_e64 s6, 6, v72
	v_cmp_eq_u32_e64 s4, 6, v69
	v_cndmask_b32_e64 v1, v1, v4, s5
	v_cndmask_b32_e32 v2, v2, v15, vcc_lo
	v_cmp_eq_u32_e32 vcc_lo, 7, v71
	v_cndmask_b32_e64 v5, v5, v4, s7
	v_cndmask_b32_e64 v9, v9, v4, s6
	;; [unrolled: 1-line block ×3, first 2 shown]
	v_cmp_eq_u32_e64 s7, 7, v70
	v_cndmask_b32_e32 v1, v1, v12, vcc_lo
	v_cndmask_b32_e64 v7, v13, v4, s4
	v_cndmask_b32_e64 v3, v3, v8, s4
	;; [unrolled: 1-line block ×3, first 2 shown]
	v_cmp_eq_u32_e64 s4, 7, v69
	v_cndmask_b32_e64 v4, v10, v8, s6
	v_cndmask_b32_e64 v5, v5, v12, s7
	;; [unrolled: 1-line block ×3, first 2 shown]
	v_cndmask_b32_e32 v2, v2, v16, vcc_lo
	v_cndmask_b32_e64 v7, v7, v12, s4
	v_cndmask_b32_e64 v3, v3, v16, s4
	;; [unrolled: 1-line block ×4, first 2 shown]
	v_cmp_gt_u32_e32 vcc_lo, 32, v0
	v_perm_b32 v4, v2, v1, 0x5040100
	v_perm_b32 v3, v3, v7, 0x5040100
	;; [unrolled: 1-line block ×4, first 2 shown]
	s_and_b32 s2, vcc_lo, s2
	ds_store_b128 v74, v[1:4]
	s_waitcnt lgkmcnt(0)
	s_barrier
	buffer_gl0_inv
	s_and_saveexec_b32 s4, s2
	s_cbranch_execz .LBB828_2
; %bb.15:
	s_load_b64 s[4:5], s[0:1], 0x68
	v_lshlrev_b32_e32 v0, 10, v0
	v_lshlrev_b32_e32 v2, 4, v67
	v_add_nc_u32_e32 v1, s33, v66
	s_lshl_b32 s0, s36, 6
	s_delay_alu instid0(SALU_CYCLE_1) | instskip(NEXT) | instid1(VALU_DEP_2)
	s_mul_i32 s1, s0, s34
	v_and_or_b32 v0, 0x3800, v0, v2
	s_mul_i32 s6, s1, s9
	v_mul_lo_u32 v1, v1, s0
	s_ashr_i32 s7, s6, 31
	s_delay_alu instid0(VALU_DEP_2) | instskip(SKIP_1) | instid1(VALU_DEP_2)
	v_lshl_or_b32 v3, v66, 6, v0
	s_lshl_b64 s[6:7], s[6:7], 1
	v_ashrrev_i32_e32 v2, 31, v1
	ds_load_b128 v[3:6], v3
	s_waitcnt lgkmcnt(0)
	s_add_u32 s1, s4, s6
	s_addc_u32 s2, s5, s7
	s_lshl_b32 s4, s14, 6
	v_lshlrev_b64 v[7:8], 1, v[1:2]
	s_ashr_i32 s5, s4, 31
	s_delay_alu instid0(SALU_CYCLE_1) | instskip(NEXT) | instid1(SALU_CYCLE_1)
	s_lshl_b64 s[4:5], s[4:5], 1
	s_add_u32 s1, s1, s4
	s_addc_u32 s2, s2, s5
	v_add_co_u32 v1, s1, s1, v65
	s_delay_alu instid0(VALU_DEP_1) | instskip(NEXT) | instid1(VALU_DEP_2)
	v_add_co_ci_u32_e64 v2, null, s2, 0, s1
	v_add_co_u32 v7, vcc_lo, v1, v7
	s_delay_alu instid0(VALU_DEP_2)
	v_add_co_ci_u32_e32 v8, vcc_lo, v2, v8, vcc_lo
	global_store_b128 v[7:8], v[3:6], off
	s_and_b32 exec_lo, exec_lo, s3
	s_cbranch_execz .LBB828_2
; %bb.16:
	ds_load_b128 v[3:6], v0 offset:128
	s_add_i32 s1, s33, 2
	s_delay_alu instid0(SALU_CYCLE_1) | instskip(NEXT) | instid1(SALU_CYCLE_1)
	s_mul_i32 s0, s1, s0
	s_ashr_i32 s1, s0, 31
	s_delay_alu instid0(SALU_CYCLE_1) | instskip(NEXT) | instid1(SALU_CYCLE_1)
	s_lshl_b64 s[0:1], s[0:1], 1
	v_add_co_u32 v0, vcc_lo, v1, s0
	v_add_co_ci_u32_e32 v1, vcc_lo, s1, v2, vcc_lo
	s_waitcnt lgkmcnt(0)
	global_store_b128 v[0:1], v[3:6], off
	s_nop 0
	s_sendmsg sendmsg(MSG_DEALLOC_VGPRS)
	s_endpgm
	.section	.rodata,"a",@progbits
	.p2align	6, 0x0
	.amdhsa_kernel _Z39paged_attention_ll4mi_QKV_mfma16_kernelIDF16_hLN4vllm18Fp8KVCacheDataTypeE1EDF16_Li16ELi64ELi256ELb1ELi3EL8MFMAType1EEvPKT_PKT0_S8_ifPKiSA_SA_iPKfiiiPfSD_PS3_PT2_iSC_SC_
		.amdhsa_group_segment_fixed_size 17472
		.amdhsa_private_segment_fixed_size 0
		.amdhsa_kernarg_size 400
		.amdhsa_user_sgpr_count 13
		.amdhsa_user_sgpr_dispatch_ptr 0
		.amdhsa_user_sgpr_queue_ptr 0
		.amdhsa_user_sgpr_kernarg_segment_ptr 1
		.amdhsa_user_sgpr_dispatch_id 0
		.amdhsa_user_sgpr_private_segment_size 0
		.amdhsa_wavefront_size32 1
		.amdhsa_uses_dynamic_stack 0
		.amdhsa_enable_private_segment 0
		.amdhsa_system_sgpr_workgroup_id_x 1
		.amdhsa_system_sgpr_workgroup_id_y 1
		.amdhsa_system_sgpr_workgroup_id_z 1
		.amdhsa_system_sgpr_workgroup_info 0
		.amdhsa_system_vgpr_workitem_id 0
		.amdhsa_next_free_vgpr 146
		.amdhsa_next_free_sgpr 37
		.amdhsa_reserve_vcc 1
		.amdhsa_float_round_mode_32 0
		.amdhsa_float_round_mode_16_64 0
		.amdhsa_float_denorm_mode_32 3
		.amdhsa_float_denorm_mode_16_64 3
		.amdhsa_dx10_clamp 1
		.amdhsa_ieee_mode 1
		.amdhsa_fp16_overflow 0
		.amdhsa_workgroup_processor_mode 1
		.amdhsa_memory_ordered 1
		.amdhsa_forward_progress 0
		.amdhsa_shared_vgpr_count 0
		.amdhsa_exception_fp_ieee_invalid_op 0
		.amdhsa_exception_fp_denorm_src 0
		.amdhsa_exception_fp_ieee_div_zero 0
		.amdhsa_exception_fp_ieee_overflow 0
		.amdhsa_exception_fp_ieee_underflow 0
		.amdhsa_exception_fp_ieee_inexact 0
		.amdhsa_exception_int_div_zero 0
	.end_amdhsa_kernel
	.section	.text._Z39paged_attention_ll4mi_QKV_mfma16_kernelIDF16_hLN4vllm18Fp8KVCacheDataTypeE1EDF16_Li16ELi64ELi256ELb1ELi3EL8MFMAType1EEvPKT_PKT0_S8_ifPKiSA_SA_iPKfiiiPfSD_PS3_PT2_iSC_SC_,"axG",@progbits,_Z39paged_attention_ll4mi_QKV_mfma16_kernelIDF16_hLN4vllm18Fp8KVCacheDataTypeE1EDF16_Li16ELi64ELi256ELb1ELi3EL8MFMAType1EEvPKT_PKT0_S8_ifPKiSA_SA_iPKfiiiPfSD_PS3_PT2_iSC_SC_,comdat
.Lfunc_end828:
	.size	_Z39paged_attention_ll4mi_QKV_mfma16_kernelIDF16_hLN4vllm18Fp8KVCacheDataTypeE1EDF16_Li16ELi64ELi256ELb1ELi3EL8MFMAType1EEvPKT_PKT0_S8_ifPKiSA_SA_iPKfiiiPfSD_PS3_PT2_iSC_SC_, .Lfunc_end828-_Z39paged_attention_ll4mi_QKV_mfma16_kernelIDF16_hLN4vllm18Fp8KVCacheDataTypeE1EDF16_Li16ELi64ELi256ELb1ELi3EL8MFMAType1EEvPKT_PKT0_S8_ifPKiSA_SA_iPKfiiiPfSD_PS3_PT2_iSC_SC_
                                        ; -- End function
	.section	.AMDGPU.csdata,"",@progbits
; Kernel info:
; codeLenInByte = 6428
; NumSgprs: 39
; NumVgprs: 146
; ScratchSize: 0
; MemoryBound: 0
; FloatMode: 240
; IeeeMode: 1
; LDSByteSize: 17472 bytes/workgroup (compile time only)
; SGPRBlocks: 4
; VGPRBlocks: 18
; NumSGPRsForWavesPerEU: 39
; NumVGPRsForWavesPerEU: 146
; Occupancy: 9
; WaveLimiterHint : 1
; COMPUTE_PGM_RSRC2:SCRATCH_EN: 0
; COMPUTE_PGM_RSRC2:USER_SGPR: 13
; COMPUTE_PGM_RSRC2:TRAP_HANDLER: 0
; COMPUTE_PGM_RSRC2:TGID_X_EN: 1
; COMPUTE_PGM_RSRC2:TGID_Y_EN: 1
; COMPUTE_PGM_RSRC2:TGID_Z_EN: 1
; COMPUTE_PGM_RSRC2:TIDIG_COMP_CNT: 0
	.section	.text._Z39paged_attention_ll4mi_QKV_mfma16_kernelIDF16_hLN4vllm18Fp8KVCacheDataTypeE1EDF16_Li16ELi64ELi256ELb1ELi4EL8MFMAType1EEvPKT_PKT0_S8_ifPKiSA_SA_iPKfiiiPfSD_PS3_PT2_iSC_SC_,"axG",@progbits,_Z39paged_attention_ll4mi_QKV_mfma16_kernelIDF16_hLN4vllm18Fp8KVCacheDataTypeE1EDF16_Li16ELi64ELi256ELb1ELi4EL8MFMAType1EEvPKT_PKT0_S8_ifPKiSA_SA_iPKfiiiPfSD_PS3_PT2_iSC_SC_,comdat
	.protected	_Z39paged_attention_ll4mi_QKV_mfma16_kernelIDF16_hLN4vllm18Fp8KVCacheDataTypeE1EDF16_Li16ELi64ELi256ELb1ELi4EL8MFMAType1EEvPKT_PKT0_S8_ifPKiSA_SA_iPKfiiiPfSD_PS3_PT2_iSC_SC_ ; -- Begin function _Z39paged_attention_ll4mi_QKV_mfma16_kernelIDF16_hLN4vllm18Fp8KVCacheDataTypeE1EDF16_Li16ELi64ELi256ELb1ELi4EL8MFMAType1EEvPKT_PKT0_S8_ifPKiSA_SA_iPKfiiiPfSD_PS3_PT2_iSC_SC_
	.globl	_Z39paged_attention_ll4mi_QKV_mfma16_kernelIDF16_hLN4vllm18Fp8KVCacheDataTypeE1EDF16_Li16ELi64ELi256ELb1ELi4EL8MFMAType1EEvPKT_PKT0_S8_ifPKiSA_SA_iPKfiiiPfSD_PS3_PT2_iSC_SC_
	.p2align	8
	.type	_Z39paged_attention_ll4mi_QKV_mfma16_kernelIDF16_hLN4vllm18Fp8KVCacheDataTypeE1EDF16_Li16ELi64ELi256ELb1ELi4EL8MFMAType1EEvPKT_PKT0_S8_ifPKiSA_SA_iPKfiiiPfSD_PS3_PT2_iSC_SC_,@function
_Z39paged_attention_ll4mi_QKV_mfma16_kernelIDF16_hLN4vllm18Fp8KVCacheDataTypeE1EDF16_Li16ELi64ELi256ELb1ELi4EL8MFMAType1EEvPKT_PKT0_S8_ifPKiSA_SA_iPKfiiiPfSD_PS3_PT2_iSC_SC_: ; @_Z39paged_attention_ll4mi_QKV_mfma16_kernelIDF16_hLN4vllm18Fp8KVCacheDataTypeE1EDF16_Li16ELi64ELi256ELb1ELi4EL8MFMAType1EEvPKT_PKT0_S8_ifPKiSA_SA_iPKfiiiPfSD_PS3_PT2_iSC_SC_
; %bb.0:
	s_load_b64 s[2:3], s[0:1], 0x30
	s_mov_b32 s34, s13
	s_waitcnt lgkmcnt(0)
	s_cmp_lg_u64 s[2:3], 0
	s_cselect_b32 s8, -1, 0
	s_ashr_i32 s35, s13, 31
	s_cmp_eq_u64 s[2:3], 0
	s_cbranch_scc1 .LBB829_3
; %bb.1:
	s_lshl_b64 s[4:5], s[34:35], 2
	s_delay_alu instid0(SALU_CYCLE_1) | instskip(SKIP_4) | instid1(SALU_CYCLE_1)
	s_add_u32 s4, s2, s4
	s_addc_u32 s5, s3, s5
	s_load_b64 s[4:5], s[4:5], 0x0
	s_waitcnt lgkmcnt(0)
	s_sub_i32 s4, s5, s4
	s_cmp_eq_u32 s4, 1
	s_cselect_b32 s4, -1, 0
	s_delay_alu instid0(SALU_CYCLE_1)
	s_and_not1_b32 vcc_lo, exec_lo, s4
	s_cbranch_vccz .LBB829_4
.LBB829_2:
	s_endpgm
.LBB829_3:
.LBB829_4:
	s_load_b64 s[4:5], s[0:1], 0x28
	s_lshl_b64 s[6:7], s[34:35], 2
	s_waitcnt lgkmcnt(0)
	s_add_u32 s4, s4, s6
	s_addc_u32 s5, s5, s7
	s_lshl_b32 s12, s14, 8
	s_load_b32 s24, s[4:5], 0x0
	s_waitcnt lgkmcnt(0)
	s_cmp_ge_i32 s12, s24
	s_cbranch_scc1 .LBB829_2
; %bb.5:
	s_clause 0x1
	s_load_b128 s[20:23], s[0:1], 0x8
	s_load_b64 s[4:5], s[0:1], 0x20
	s_and_not1_b32 vcc_lo, exec_lo, s8
	s_cbranch_vccnz .LBB829_7
; %bb.6:
	s_add_u32 s2, s2, s6
	s_addc_u32 s3, s3, s7
	s_load_b32 s3, s[2:3], 0x0
	s_branch .LBB829_8
.LBB829_7:
	s_mov_b32 s3, s34
.LBB829_8:
	s_load_b128 s[16:19], s[0:1], 0x48
	v_and_b32_e32 v69, 15, v0
	v_cmp_gt_u32_e32 vcc_lo, 64, v0
	v_lshrrev_b32_e32 v68, 5, v0
	v_and_b32_e32 v70, 31, v0
	v_and_b32_e32 v66, 1, v0
	v_lshlrev_b32_e32 v1, 3, v69
	v_cmp_gt_u32_e64 s2, 8, v69
	v_bfe_u32 v67, v0, 4, 1
	s_lshl_b32 s31, s15, 2
	s_delay_alu instid0(VALU_DEP_3) | instskip(NEXT) | instid1(VALU_DEP_3)
	v_lshlrev_b32_e32 v65, 1, v1
	s_and_b32 s7, vcc_lo, s2
	s_delay_alu instid0(SALU_CYCLE_1)
	s_and_saveexec_b32 s6, s7
	s_cbranch_execz .LBB829_10
; %bb.9:
	v_lshl_or_b32 v5, v68, 1, v67
	s_load_b64 s[8:9], s[0:1], 0x0
	s_waitcnt lgkmcnt(0)
	s_mul_hi_i32 s11, s3, s16
	s_mul_i32 s10, s3, s16
	v_lshlrev_b32_e32 v6, 10, v69
	v_or_b32_e32 v1, s31, v5
	s_lshl_b64 s[10:11], s[10:11], 1
	v_lshlrev_b32_e32 v5, 6, v5
	v_lshlrev_b32_e32 v7, 10, v66
	v_and_b32_e32 v6, 0x3800, v6
	v_lshlrev_b32_e32 v1, 6, v1
	s_delay_alu instid0(VALU_DEP_2) | instskip(NEXT) | instid1(VALU_DEP_2)
	v_or3_b32 v5, v6, v7, v5
	v_ashrrev_i32_e32 v2, 31, v1
	s_delay_alu instid0(VALU_DEP_1) | instskip(SKIP_2) | instid1(VALU_DEP_1)
	v_lshlrev_b64 v[1:2], 1, v[1:2]
	s_add_u32 s3, s8, s10
	s_addc_u32 s7, s9, s11
	v_add_co_u32 v1, vcc_lo, s3, v1
	s_delay_alu instid0(VALU_DEP_2) | instskip(NEXT) | instid1(VALU_DEP_2)
	v_add_co_ci_u32_e32 v2, vcc_lo, s7, v2, vcc_lo
	v_add_co_u32 v1, vcc_lo, v1, v65
	s_delay_alu instid0(VALU_DEP_2)
	v_add_co_ci_u32_e32 v2, vcc_lo, 0, v2, vcc_lo
	global_load_b128 v[1:4], v[1:2], off
	s_waitcnt vmcnt(0)
	ds_store_b128 v5, v[1:4]
.LBB829_10:
	s_or_b32 exec_lo, exec_lo, s6
	v_and_b32_e32 v1, 0xef, v0
	s_waitcnt lgkmcnt(0)
	s_add_i32 s3, s24, 15
	s_clause 0x1
	s_load_b32 s6, s[0:1], 0x38
	s_load_b32 s33, s[0:1], 0x98
	s_ashr_i32 s7, s3, 31
	v_add_nc_u32_e32 v1, s12, v1
	s_lshr_b32 s7, s7, 28
	s_load_b32 s19, s[0:1], 0x1c
	s_add_i32 s3, s3, s7
	s_waitcnt lgkmcnt(0)
	v_ashrrev_i32_e32 v2, 31, v1
	v_or_b32_e32 v3, 16, v1
	s_ashr_i32 s3, s3, 4
	v_cmp_gt_i32_e32 vcc_lo, s24, v1
	s_add_i32 s3, s3, -1
	v_lshrrev_b32_e32 v2, 28, v2
	s_barrier
	buffer_gl0_inv
	s_mul_i32 s27, s15, s18
	v_add_nc_u32_e32 v4, v1, v2
	s_mul_i32 s6, s34, s6
	s_delay_alu instid0(SALU_CYCLE_1) | instskip(NEXT) | instid1(VALU_DEP_1)
	s_ashr_i32 s7, s6, 31
	v_ashrrev_i32_e32 v4, 4, v4
	v_add_nc_u32_e32 v2, v3, v2
	s_lshl_b64 s[6:7], s[6:7], 2
	s_delay_alu instid0(SALU_CYCLE_1) | instskip(NEXT) | instid1(VALU_DEP_2)
	s_add_u32 s26, s4, s6
	v_cndmask_b32_e32 v1, s3, v4, vcc_lo
	s_delay_alu instid0(VALU_DEP_2)
	v_ashrrev_i32_e32 v2, 4, v2
	v_cmp_gt_i32_e32 vcc_lo, s24, v3
	s_addc_u32 s25, s5, s7
	s_ashr_i32 s28, s27, 31
	s_add_u32 s13, s20, s27
	s_addc_u32 s15, s21, s28
	v_cndmask_b32_e32 v3, s3, v2, vcc_lo
	v_ashrrev_i32_e32 v2, 31, v1
	s_lshl_b32 s4, s14, 4
	s_delay_alu instid0(SALU_CYCLE_1) | instskip(NEXT) | instid1(VALU_DEP_2)
	s_ashr_i32 s5, s4, 31
	v_ashrrev_i32_e32 v4, 31, v3
	s_delay_alu instid0(VALU_DEP_2) | instskip(SKIP_1) | instid1(SALU_CYCLE_1)
	v_lshlrev_b64 v[1:2], 2, v[1:2]
	s_lshl_b64 s[4:5], s[4:5], 2
	s_add_u32 s4, s26, s4
	s_delay_alu instid0(VALU_DEP_2) | instskip(SKIP_1) | instid1(VALU_DEP_2)
	v_lshlrev_b64 v[3:4], 2, v[3:4]
	s_addc_u32 s5, s25, s5
	v_add_co_u32 v1, vcc_lo, s26, v1
	v_add_co_ci_u32_e32 v2, vcc_lo, s25, v2, vcc_lo
	s_delay_alu instid0(VALU_DEP_3) | instskip(NEXT) | instid1(VALU_DEP_4)
	v_add_co_u32 v3, vcc_lo, s26, v3
	v_add_co_ci_u32_e32 v4, vcc_lo, s25, v4, vcc_lo
	s_clause 0x1
	global_load_b32 v5, v[1:2], off
	global_load_b32 v7, v[3:4], off
	s_or_b32 s6, s12, 32
	v_lshlrev_b32_e32 v1, 4, v0
	s_ashr_i32 s7, s6, 4
	s_cmp_lt_i32 s6, s24
	s_cselect_b32 s6, s7, s3
	s_delay_alu instid0(VALU_DEP_1) | instskip(SKIP_1) | instid1(SALU_CYCLE_1)
	v_and_b32_e32 v1, 0xf0, v1
	s_ashr_i32 s7, s6, 31
	s_lshl_b64 s[6:7], s[6:7], 2
	s_delay_alu instid0(SALU_CYCLE_1)
	s_add_u32 s6, s26, s6
	s_addc_u32 s7, s25, s7
	s_or_b32 s8, s12, 64
	v_add_co_u32 v1, s13, s13, v1
	s_ashr_i32 s9, s8, 4
	s_cmp_lt_i32 s8, s24
	v_add_co_ci_u32_e64 v2, null, s15, 0, s13
	s_cselect_b32 s8, s9, s3
	s_delay_alu instid0(SALU_CYCLE_1) | instskip(NEXT) | instid1(SALU_CYCLE_1)
	s_ashr_i32 s9, s8, 31
	s_lshl_b64 s[8:9], s[8:9], 2
	s_delay_alu instid0(SALU_CYCLE_1) | instskip(SKIP_2) | instid1(SALU_CYCLE_1)
	s_add_u32 s8, s26, s8
	s_addc_u32 s9, s25, s9
	s_or_b32 s10, s12, 0x60
	s_ashr_i32 s11, s10, 4
	s_cmp_lt_i32 s10, s24
	s_cselect_b32 s10, s11, s3
	s_delay_alu instid0(SALU_CYCLE_1) | instskip(NEXT) | instid1(SALU_CYCLE_1)
	s_ashr_i32 s11, s10, 31
	s_lshl_b64 s[10:11], s[10:11], 2
	s_delay_alu instid0(SALU_CYCLE_1) | instskip(SKIP_2) | instid1(SALU_CYCLE_1)
	s_add_u32 s10, s26, s10
	s_addc_u32 s11, s25, s11
	s_or_b32 s16, s12, 0x80
	s_ashr_i32 s18, s16, 4
	s_cmp_lt_i32 s16, s24
	;; [unrolled: 10-line block ×3, first 2 shown]
	s_cselect_b32 s20, s18, s3
	s_delay_alu instid0(SALU_CYCLE_1) | instskip(NEXT) | instid1(SALU_CYCLE_1)
	s_ashr_i32 s21, s20, 31
	s_lshl_b64 s[20:21], s[20:21], 2
	s_delay_alu instid0(SALU_CYCLE_1)
	s_add_u32 s38, s26, s20
	s_addc_u32 s39, s25, s21
	s_clause 0x5
	s_load_b32 s21, s[4:5], 0x0
	s_load_b32 s13, s[6:7], 0x0
	;; [unrolled: 1-line block ×6, first 2 shown]
	s_or_b32 s7, s12, 0xc0
	s_mov_b32 s4, 0
	s_ashr_i32 s8, s7, 4
	s_cmp_lt_i32 s7, s24
	s_mov_b32 s5, s4
	s_cselect_b32 s10, s8, s3
	s_mov_b32 s6, s4
	s_ashr_i32 s11, s10, 31
	s_mov_b32 s7, s4
	s_lshl_b64 s[36:37], s[10:11], 2
	s_mov_b32 s11, s4
	s_add_u32 s36, s26, s36
	s_addc_u32 s37, s25, s37
	s_or_b32 s29, s12, 0xe0
	s_mov_b32 s8, s4
	s_ashr_i32 s30, s29, 4
	s_mov_b32 s9, s4
	s_mov_b32 s10, s4
	s_cmp_lt_i32 s29, s24
	v_mov_b32_e32 v102, s11
	v_dual_mov_b32 v96, s5 :: v_dual_mov_b32 v101, s10
	v_dual_mov_b32 v100, s9 :: v_dual_mov_b32 v99, s8
	;; [unrolled: 1-line block ×3, first 2 shown]
	v_mov_b32_e32 v95, s4
	s_cselect_b32 s4, s30, s3
	s_delay_alu instid0(SALU_CYCLE_1) | instskip(NEXT) | instid1(SALU_CYCLE_1)
	s_ashr_i32 s5, s4, 31
	s_lshl_b64 s[4:5], s[4:5], 2
	s_delay_alu instid0(SALU_CYCLE_1)
	s_add_u32 s4, s26, s4
	s_addc_u32 s5, s25, s5
	s_add_u32 s6, s22, s27
	s_addc_u32 s7, s23, s28
	s_waitcnt vmcnt(1)
	v_mad_i64_i32 v[3:4], null, v5, s17, v[1:2]
	s_waitcnt vmcnt(0)
	v_mad_i64_i32 v[5:6], null, v7, s17, v[1:2]
	v_and_b32_e32 v1, 3, v0
	v_lshlrev_b32_e32 v2, 4, v69
	s_clause 0x7
	global_load_b128 v[57:60], v[3:4], off
	global_load_b128 v[61:64], v[3:4], off offset:256
	global_load_b128 v[71:74], v[5:6], off
	global_load_b128 v[75:78], v[5:6], off offset:256
	global_load_b128 v[79:82], v[3:4], off offset:512
	;; [unrolled: 1-line block ×5, first 2 shown]
	v_lshlrev_b32_e32 v121, 6, v1
	v_lshl_or_b32 v1, v68, 8, v2
	s_load_b32 s3, s[36:37], 0x0
	ds_load_b128 v[103:106], v121
	ds_load_b128 v[107:110], v121 offset:1024
	s_load_b32 s4, s[4:5], 0x0
	v_add_co_u32 v17, s6, s6, v1
	s_delay_alu instid0(VALU_DEP_1) | instskip(SKIP_1) | instid1(VALU_DEP_1)
	v_add_co_ci_u32_e64 v18, null, s7, 0, s6
	s_waitcnt lgkmcnt(0)
	v_mad_i64_i32 v[1:2], null, s21, s17, v[17:18]
	v_mad_i64_i32 v[3:4], null, s13, s17, v[17:18]
	v_mad_i64_i32 v[5:6], null, s15, s17, v[17:18]
	v_mad_i64_i32 v[7:8], null, s16, s17, v[17:18]
	v_mad_i64_i32 v[21:22], null, s20, s17, v[17:18]
	v_mad_i64_i32 v[13:14], null, s18, s17, v[17:18]
	v_mad_i64_i32 v[29:30], null, s3, s17, v[17:18]
	s_clause 0x9
	global_load_b128 v[49:52], v[1:2], off
	global_load_b128 v[53:56], v[1:2], off offset:16
	global_load_b128 v[41:44], v[3:4], off
	global_load_b128 v[45:48], v[3:4], off offset:16
	;; [unrolled: 2-line block ×5, first 2 shown]
	v_mad_i64_i32 v[119:120], null, s4, s17, v[17:18]
	s_clause 0x3
	global_load_b128 v[17:20], v[21:22], off
	global_load_b128 v[21:24], v[21:22], off offset:16
	global_load_b128 v[25:28], v[29:30], off
	global_load_b128 v[29:32], v[29:30], off offset:16
	s_waitcnt vmcnt(20)
	v_wmma_f32_16x16x16_f16 v[111:118], v[57:64], v[103:110], v[95:102]
	s_clause 0x1
	global_load_b128 v[57:60], v[119:120], off
	global_load_b128 v[61:64], v[119:120], off offset:16
	s_waitcnt vmcnt(20)
	v_wmma_f32_16x16x16_f16 v[95:102], v[71:78], v[103:110], v[95:102]
	ds_load_b128 v[71:74], v121 offset:2048
	ds_load_b128 v[75:78], v121 offset:3072
	v_mbcnt_lo_u32_b32 v104, -1, 0
	s_waitcnt vmcnt(0) lgkmcnt(0)
	s_barrier
	buffer_gl0_inv
	v_xor_b32_e32 v105, 16, v104
	s_delay_alu instid0(VALU_DEP_1) | instskip(SKIP_4) | instid1(VALU_DEP_2)
	v_cmp_gt_i32_e32 vcc_lo, 32, v105
	v_cndmask_b32_e32 v104, v104, v105, vcc_lo
	v_wmma_f32_16x16x16_f16 v[95:102], v[87:94], v[71:78], v[95:102]
	v_and_b32_e32 v103, 0xe0, v0
	v_wmma_f32_16x16x16_f16 v[111:118], v[79:86], v[71:78], v[111:118]
	v_dual_mul_f32 v90, s19, v101 :: v_dual_add_nc_u32 v103, s12, v103
	s_delay_alu instid0(VALU_DEP_2) | instskip(NEXT) | instid1(VALU_DEP_3)
	v_dual_mul_f32 v94, s19, v97 :: v_dual_mul_f32 v87, s19, v112
	v_dual_mul_f32 v88, s19, v111 :: v_dual_mul_f32 v77, s19, v114
	s_delay_alu instid0(VALU_DEP_3) | instskip(SKIP_3) | instid1(VALU_DEP_4)
	v_or_b32_e32 v103, v103, v67
	v_dual_mul_f32 v78, s19, v113 :: v_dual_mul_f32 v75, s19, v116
	v_dual_mul_f32 v76, s19, v115 :: v_dual_mul_f32 v73, s19, v118
	v_mul_f32_e32 v92, s19, v99
	v_or_b32_e32 v105, 2, v103
	v_or_b32_e32 v106, 4, v103
	;; [unrolled: 1-line block ×3, first 2 shown]
	v_cmp_gt_i32_e64 s3, s24, v103
	v_or_b32_e32 v108, 8, v103
	v_cmp_gt_i32_e32 vcc_lo, s24, v105
	v_or_b32_e32 v109, 10, v103
	v_cmp_gt_i32_e64 s4, s24, v106
	v_cndmask_b32_e64 v88, 0xff7fffff, v88, s3
	v_cmp_gt_i32_e64 s5, s24, v107
	v_cndmask_b32_e32 v87, 0xff7fffff, v87, vcc_lo
	v_or_b32_e32 v79, 12, v103
	v_or_b32_e32 v80, 14, v103
	v_cndmask_b32_e64 v78, 0xff7fffff, v78, s4
	v_cndmask_b32_e64 v77, 0xff7fffff, v77, s5
	v_max3_f32 v87, v88, 0xff7fffff, v87
	v_cmp_gt_i32_e64 s6, s24, v108
	v_cmp_gt_i32_e64 s7, s24, v109
	v_or_b32_e32 v81, 16, v103
	v_or_b32_e32 v82, 18, v103
	v_mul_f32_e32 v74, s19, v117
	v_cndmask_b32_e64 v76, 0xff7fffff, v76, s6
	v_cndmask_b32_e64 v75, 0xff7fffff, v75, s7
	v_max3_f32 v77, v87, v78, v77
	v_cmp_gt_i32_e64 s8, s24, v79
	v_cmp_gt_i32_e64 s9, s24, v80
	v_or_b32_e32 v83, 20, v103
	v_or_b32_e32 v84, 22, v103
	;; [unrolled: 1-line block ×6, first 2 shown]
	v_mul_f32_e32 v105, s19, v96
	v_mul_f32_e32 v103, s19, v95
	v_cndmask_b32_e64 v74, 0xff7fffff, v74, s8
	v_cndmask_b32_e64 v73, 0xff7fffff, v73, s9
	v_max3_f32 v75, v77, v76, v75
	v_cmp_gt_i32_e64 s10, s24, v81
	v_cmp_gt_i32_e64 s11, s24, v82
	v_mul_f32_e32 v93, s19, v98
	v_cmp_gt_i32_e64 s12, s24, v83
	v_max3_f32 v73, v75, v74, v73
	v_cndmask_b32_e64 v76, 0xff7fffff, v103, s10
	v_cndmask_b32_e64 v77, 0xff7fffff, v105, s11
	v_cmp_gt_i32_e64 s13, s24, v84
	v_mul_f32_e32 v91, s19, v100
	v_cndmask_b32_e64 v74, 0xff7fffff, v94, s12
	v_cmp_gt_i32_e64 s15, s24, v85
	v_max3_f32 v73, v73, v76, v77
	v_cndmask_b32_e64 v75, 0xff7fffff, v93, s13
	v_cmp_gt_i32_e64 s16, s24, v86
	v_mul_f32_e32 v89, s19, v102
	v_cndmask_b32_e64 v76, 0xff7fffff, v92, s15
	v_cmp_gt_i32_e64 s17, s24, v71
	v_max3_f32 v73, v73, v74, v75
	v_cndmask_b32_e64 v77, 0xff7fffff, v91, s16
	v_cmp_gt_i32_e64 s18, s24, v72
	v_lshlrev_b32_e32 v74, 2, v104
	v_cndmask_b32_e64 v71, 0xff7fffff, v90, s17
	s_delay_alu instid0(VALU_DEP_4) | instskip(NEXT) | instid1(VALU_DEP_4)
	v_max3_f32 v73, v73, v76, v77
	v_cndmask_b32_e64 v72, 0xff7fffff, v89, s18
	s_delay_alu instid0(VALU_DEP_1) | instskip(SKIP_3) | instid1(VALU_DEP_1)
	v_max3_f32 v71, v73, v71, v72
	ds_bpermute_b32 v72, v74, v71
	s_waitcnt lgkmcnt(0)
	v_max_f32_e32 v72, v72, v72
	v_max_f32_e32 v71, v71, v72
	s_delay_alu instid0(VALU_DEP_1)
	v_fma_f32 v72, s19, v111, -v71
	v_fma_f32 v76, s19, v114, -v71
	;; [unrolled: 1-line block ×5, first 2 shown]
	v_mul_f32_e32 v72, 0x3fb8aa3b, v72
	v_mul_f32_e32 v76, 0x3fb8aa3b, v76
	v_fma_f32 v75, s19, v113, -v71
	v_mul_f32_e32 v79, 0x3fb8aa3b, v77
	v_mul_f32_e32 v87, 0x3fb8aa3b, v86
	v_exp_f32_e32 v72, v72
	v_exp_f32_e32 v76, v76
	v_fma_f32 v81, s19, v117, -v71
	v_exp_f32_e32 v82, v79
	v_exp_f32_e32 v87, v87
	v_fma_f32 v84, s19, v96, -v71
	s_delay_alu instid0(VALU_DEP_2) | instskip(SKIP_3) | instid1(TRANS32_DEP_3)
	v_mul_f32_e32 v81, 0x3fb8aa3b, v81
	v_cndmask_b32_e64 v78, 0, v72, s3
	v_fma_f32 v72, s19, v116, -v71
	v_mul_f32_e32 v73, 0x3fb8aa3b, v73
	v_cndmask_b32_e64 v79, 0, v76, s5
	v_fma_f32 v76, s19, v95, -v71
	s_delay_alu instid0(VALU_DEP_4) | instskip(NEXT) | instid1(VALU_DEP_4)
	v_dual_mul_f32 v75, 0x3fb8aa3b, v75 :: v_dual_mul_f32 v72, 0x3fb8aa3b, v72
	v_exp_f32_e32 v73, v73
	v_cndmask_b32_e64 v87, 0, v87, s13
	s_delay_alu instid0(VALU_DEP_3) | instskip(NEXT) | instid1(VALU_DEP_3)
	v_mul_f32_e32 v76, 0x3fb8aa3b, v76
	v_exp_f32_e32 v75, v75
	v_exp_f32_e32 v72, v72
	;; [unrolled: 1-line block ×3, first 2 shown]
	v_cndmask_b32_e64 v82, 0, v82, s6
	v_mul_f32_e32 v85, 0x3fb8aa3b, v84
	v_exp_f32_e32 v76, v76
	s_mov_b32 s3, exec_lo
	v_cndmask_b32_e32 v77, 0, v73, vcc_lo
	v_add_f32_e32 v73, 0, v78
	v_exp_f32_e32 v85, v85
	v_cndmask_b32_e64 v80, 0, v75, s4
	v_fma_f32 v75, s19, v118, -v71
	v_cndmask_b32_e64 v81, 0, v72, s7
	v_add_f32_e32 v73, v73, v77
	v_cndmask_b32_e64 v84, 0, v83, s8
	v_cndmask_b32_e64 v86, 0, v76, s10
	v_mul_f32_e32 v75, 0x3fb8aa3b, v75
	s_delay_alu instid0(VALU_DEP_4) | instskip(NEXT) | instid1(TRANS32_DEP_1)
	v_add_f32_e32 v73, v73, v80
	v_cndmask_b32_e64 v85, 0, v85, s11
	s_delay_alu instid0(VALU_DEP_3) | instskip(NEXT) | instid1(VALU_DEP_2)
	v_exp_f32_e32 v75, v75
	v_add_f32_e32 v73, v73, v79
	s_delay_alu instid0(VALU_DEP_1) | instskip(SKIP_3) | instid1(VALU_DEP_1)
	v_add_f32_e32 v72, v73, v82
	s_waitcnt_depctr 0xfff
	v_cndmask_b32_e64 v83, 0, v75, s9
	v_add_f32_e32 v72, v72, v81
	v_add_f32_e32 v72, v72, v84
	s_delay_alu instid0(VALU_DEP_1) | instskip(NEXT) | instid1(VALU_DEP_1)
	v_add_f32_e32 v72, v72, v83
	v_add_f32_e32 v72, v72, v86
	s_delay_alu instid0(VALU_DEP_1) | instskip(SKIP_4) | instid1(VALU_DEP_4)
	v_add_f32_e32 v72, v72, v85
	v_fma_f32 v73, s19, v97, -v71
	v_fma_f32 v75, s19, v99, -v71
	v_fma_f32 v76, s19, v100, -v71
	v_fma_f32 v89, s19, v101, -v71
	v_mul_f32_e32 v73, 0x3fb8aa3b, v73
	s_delay_alu instid0(VALU_DEP_3) | instskip(NEXT) | instid1(VALU_DEP_2)
	v_dual_mul_f32 v75, 0x3fb8aa3b, v75 :: v_dual_mul_f32 v76, 0x3fb8aa3b, v76
	v_exp_f32_e32 v73, v73
	s_delay_alu instid0(VALU_DEP_1) | instskip(NEXT) | instid1(VALU_DEP_1)
	v_exp_f32_e32 v75, v75
	v_exp_f32_e32 v76, v76
	s_delay_alu instid0(TRANS32_DEP_3)
	v_cndmask_b32_e64 v88, 0, v73, s12
	v_mul_f32_e32 v73, 0x3fb8aa3b, v89
	v_fma_f32 v89, s19, v102, -v71
	s_waitcnt_depctr 0xfff
	v_cndmask_b32_e64 v90, 0, v75, s15
	v_add_f32_e32 v72, v72, v88
	v_exp_f32_e32 v73, v73
	v_mul_f32_e32 v75, 0x3fb8aa3b, v89
	v_cndmask_b32_e64 v89, 0, v76, s16
	s_delay_alu instid0(VALU_DEP_3) | instskip(NEXT) | instid1(VALU_DEP_3)
	v_add_f32_e32 v72, v72, v87
	v_exp_f32_e32 v75, v75
	s_delay_alu instid0(VALU_DEP_1) | instskip(SKIP_4) | instid1(VALU_DEP_2)
	v_add_f32_e32 v72, v72, v90
	s_waitcnt_depctr 0xfff
	v_cndmask_b32_e64 v92, 0, v73, s17
	v_add_f32_e32 v72, v72, v89
	v_cndmask_b32_e64 v91, 0, v75, s18
	v_add_f32_e32 v72, v72, v92
	s_delay_alu instid0(VALU_DEP_1)
	v_add_f32_e32 v72, v72, v91
	ds_bpermute_b32 v73, v74, v72
	v_cmpx_gt_u32_e32 16, v70
	s_cbranch_execz .LBB829_12
; %bb.11:
	v_mul_u32_u24_e32 v70, 0x44, v68
	s_waitcnt lgkmcnt(0)
	v_add_f32_e32 v72, v72, v73
	s_delay_alu instid0(VALU_DEP_2) | instskip(NEXT) | instid1(VALU_DEP_1)
	v_lshl_add_u32 v70, v69, 2, v70
	v_add_nc_u32_e32 v70, 0x4000, v70
	ds_store_2addr_b32 v70, v71, v72 offset1:136
.LBB829_12:
	s_or_b32 exec_lo, exec_lo, s3
	v_lshlrev_b32_e32 v70, 2, v69
	s_load_b32 s35, s[0:1], 0x94
	s_waitcnt lgkmcnt(0)
	s_barrier
	buffer_gl0_inv
	v_add_nc_u32_e32 v74, 0x4000, v70
	v_cmp_eq_u32_e32 vcc_lo, 1, v68
	v_cmp_eq_u32_e64 s3, 2, v68
	v_cmp_eq_u32_e64 s4, 3, v68
	;; [unrolled: 1-line block ×3, first 2 shown]
	ds_load_2addr_b32 v[70:71], v74 offset1:17
	ds_load_2addr_b32 v[72:73], v74 offset0:34 offset1:51
	ds_load_2addr_b32 v[93:94], v74 offset0:68 offset1:85
	;; [unrolled: 1-line block ×3, first 2 shown]
	v_cmp_eq_u32_e64 s6, 5, v68
	v_cmp_eq_u32_e64 s7, 7, v68
	s_waitcnt lgkmcnt(3)
	v_max3_f32 v75, v70, 0xff7fffff, v71
	s_waitcnt lgkmcnt(2)
	s_delay_alu instid0(VALU_DEP_1) | instskip(SKIP_1) | instid1(VALU_DEP_1)
	v_max3_f32 v75, v75, v72, v73
	s_waitcnt lgkmcnt(1)
	v_max3_f32 v75, v75, v93, v94
	s_waitcnt lgkmcnt(0)
	s_delay_alu instid0(VALU_DEP_1) | instskip(NEXT) | instid1(VALU_DEP_1)
	v_max3_f32 v75, v75, v95, v96
	v_sub_f32_e32 v93, v93, v75
	ds_load_2addr_b32 v[97:98], v74 offset0:136 offset1:153
	v_sub_f32_e32 v70, v70, v75
	v_dual_sub_f32 v100, v73, v75 :: v_dual_mul_f32 v103, 0x3fb8aa3b, v93
	s_delay_alu instid0(VALU_DEP_2) | instskip(SKIP_3) | instid1(VALU_DEP_1)
	v_dual_sub_f32 v76, v71, v75 :: v_dual_mul_f32 v99, 0x3fb8aa3b, v70
	ds_load_2addr_b32 v[70:71], v74 offset0:170 offset1:187
	v_mul_f32_e32 v76, 0x3fb8aa3b, v76
	v_exp_f32_e32 v99, v99
	v_exp_f32_e32 v102, v76
	v_mul_f32_e32 v100, 0x3fb8aa3b, v100
	s_waitcnt lgkmcnt(1)
	s_waitcnt_depctr 0xfff
	v_fma_f32 v76, v99, v97, 0
	v_sub_f32_e32 v97, v94, v75
	v_sub_f32_e32 v72, v72, v75
	v_exp_f32_e32 v100, v100
	ds_load_2addr_b32 v[93:94], v74 offset0:238 offset1:255
	v_dual_fmac_f32 v76, v102, v98 :: v_dual_mul_f32 v101, 0x3fb8aa3b, v72
	ds_load_2addr_b32 v[72:73], v74 offset0:204 offset1:221
	v_dual_sub_f32 v74, v95, v75 :: v_dual_mul_f32 v95, 0x3fb8aa3b, v97
	v_exp_f32_e32 v97, v103
	v_exp_f32_e32 v101, v101
	s_waitcnt lgkmcnt(0)
	s_delay_alu instid0(VALU_DEP_1)
	v_mul_f32_e32 v74, 0x3fb8aa3b, v74
	v_exp_f32_e32 v95, v95
	s_barrier
	buffer_gl0_inv
	v_fmac_f32_e32 v76, v101, v70
	v_sub_f32_e32 v70, v96, v75
	v_exp_f32_e32 v96, v74
	s_delay_alu instid0(VALU_DEP_2) | instskip(NEXT) | instid1(VALU_DEP_2)
	v_fmac_f32_e32 v76, v100, v71
	v_mul_f32_e32 v70, 0x3fb8aa3b, v70
	s_delay_alu instid0(VALU_DEP_2) | instskip(NEXT) | instid1(VALU_DEP_2)
	v_dual_cndmask_b32 v71, v99, v102 :: v_dual_fmac_f32 v76, v97, v72
	v_exp_f32_e32 v98, v70
	v_lshlrev_b32_e32 v72, 6, v69
	s_delay_alu instid0(VALU_DEP_2) | instskip(NEXT) | instid1(VALU_DEP_2)
	v_dual_fmac_f32 v76, v95, v73 :: v_dual_lshlrev_b32 v69, 2, v67
	v_lshl_or_b32 v74, v68, 11, v72
	s_delay_alu instid0(VALU_DEP_2)
	v_cmp_eq_u32_e64 s8, 7, v69
	s_delay_alu instid0(TRANS32_DEP_2) | instid1(VALU_DEP_3)
	v_fmac_f32_e32 v76, v96, v93
	s_waitcnt_depctr 0xfff
	v_fmac_f32_e32 v76, v98, v94
	s_delay_alu instid0(VALU_DEP_1) | instskip(NEXT) | instid1(VALU_DEP_1)
	v_add_f32_e32 v73, 0x358637bd, v76
	v_div_scale_f32 v93, null, v73, v73, 1.0
	v_div_scale_f32 v99, vcc_lo, 1.0, v73, 1.0
	s_delay_alu instid0(VALU_DEP_2) | instskip(SKIP_2) | instid1(VALU_DEP_1)
	v_rcp_f32_e32 v94, v93
	s_waitcnt_depctr 0xfff
	v_fma_f32 v70, -v93, v94, 1.0
	v_fmac_f32_e32 v94, v70, v94
	v_cndmask_b32_e64 v70, v71, v101, s3
	v_cmp_eq_u32_e64 s3, 6, v68
	v_or_b32_e32 v71, 1, v69
	v_or_b32_e32 v68, 2, v69
	v_mul_f32_e32 v101, v99, v94
	v_cndmask_b32_e64 v70, v70, v100, s4
	v_cmp_eq_u32_e64 s4, 1, v69
	v_cmp_eq_u32_e64 s9, 1, v71
	;; [unrolled: 1-line block ×3, first 2 shown]
	v_fma_f32 v100, -v93, v101, v99
	v_cndmask_b32_e64 v70, v70, v97, s5
	v_cmp_eq_u32_e64 s5, 2, v69
	v_cmp_eq_u32_e64 s12, 2, v71
	;; [unrolled: 1-line block ×3, first 2 shown]
	v_fmac_f32_e32 v101, v100, v94
	v_cndmask_b32_e64 v95, v70, v95, s6
	v_or_b32_e32 v70, 3, v69
	v_cmp_eq_u32_e64 s13, 3, v71
	v_cmp_eq_u32_e64 s17, 3, v68
	v_fma_f32 v93, -v93, v101, v99
	v_cndmask_b32_e64 v95, v95, v96, s3
	v_cmp_eq_u32_e64 s11, 1, v70
	v_cmp_eq_u32_e64 s16, 2, v70
	;; [unrolled: 1-line block ×3, first 2 shown]
	v_div_fmas_f32 v93, v93, v94, v101
	v_cndmask_b32_e64 v94, v95, v98, s7
	v_cmp_eq_u32_e32 vcc_lo, 3, v69
	v_cmp_eq_u32_e64 s3, 4, v69
	v_cmp_eq_u32_e64 s19, 4, v71
	v_div_fixup_f32 v93, v93, v73, 1.0
	v_lshl_or_b32 v73, v67, 4, v74
	v_cmp_eq_u32_e64 s22, 4, v70
	v_cmp_eq_u32_e64 s6, 5, v69
	;; [unrolled: 1-line block ×3, first 2 shown]
	v_mul_f32_e32 v101, v94, v93
	v_cmp_eq_u32_e64 s21, 4, v68
	v_cmp_eq_u32_e64 s24, 5, v70
	;; [unrolled: 1-line block ×4, first 2 shown]
	v_fma_mixlo_f16 v93, v101, v78, 0
	v_fma_mixlo_f16 v94, v101, v80, 0
	;; [unrolled: 1-line block ×8, first 2 shown]
	v_fma_mixhi_f16 v93, v101, v77, 0
	v_fma_mixhi_f16 v94, v101, v79, 0
	;; [unrolled: 1-line block ×8, first 2 shown]
	ds_store_b128 v73, v[93:96]
	ds_store_b128 v73, v[97:100] offset:1024
	s_waitcnt lgkmcnt(0)
	s_barrier
	buffer_gl0_inv
	ds_load_b128 v[77:80], v74
	ds_load_b128 v[81:84], v74 offset:16
	ds_load_b128 v[85:88], v74 offset:1024
	;; [unrolled: 1-line block ×3, first 2 shown]
	v_cmp_eq_u32_e64 s27, 6, v70
	v_cmp_eq_u32_e64 s7, 6, v69
	;; [unrolled: 1-line block ×6, first 2 shown]
	s_waitcnt lgkmcnt(3)
	v_lshrrev_b32_e32 v93, 16, v77
	s_waitcnt lgkmcnt(2)
	v_lshrrev_b32_e32 v97, 16, v81
	;; [unrolled: 2-line block ×4, first 2 shown]
	v_lshrrev_b32_e32 v94, 16, v78
	v_cndmask_b32_e64 v109, v77, v93, s4
	v_cndmask_b32_e64 v110, v81, v97, s4
	;; [unrolled: 1-line block ×8, first 2 shown]
	v_lshrrev_b32_e32 v98, 16, v82
	v_cndmask_b32_e64 v93, v85, v101, s4
	v_cndmask_b32_e64 v97, v89, v105, s4
	;; [unrolled: 1-line block ×15, first 2 shown]
	v_lshrrev_b32_e32 v102, 16, v86
	v_lshrrev_b32_e32 v106, 16, v90
	v_cndmask_b32_e64 v112, v114, v82, s15
	v_cndmask_b32_e64 v81, v93, v86, s5
	;; [unrolled: 1-line block ×7, first 2 shown]
	v_cndmask_b32_e32 v89, v101, v94, vcc_lo
	v_cndmask_b32_e32 v101, v105, v98, vcc_lo
	v_cndmask_b32_e64 v105, v109, v94, s13
	v_cndmask_b32_e64 v109, v110, v98, s13
	;; [unrolled: 1-line block ×4, first 2 shown]
	v_lshrrev_b32_e32 v95, 16, v79
	v_lshrrev_b32_e32 v99, 16, v83
	v_cndmask_b32_e64 v110, v111, v94, s17
	v_cndmask_b32_e64 v111, v112, v98, s17
	v_cndmask_b32_e32 v81, v81, v102, vcc_lo
	v_cndmask_b32_e32 v82, v82, v106, vcc_lo
	v_cndmask_b32_e64 v93, v93, v102, s13
	v_cndmask_b32_e64 v89, v89, v79, s3
	;; [unrolled: 1-line block ×7, first 2 shown]
	v_lshrrev_b32_e32 v103, 16, v87
	v_cndmask_b32_e64 v105, v110, v79, s21
	v_cndmask_b32_e64 v109, v111, v83, s21
	v_cndmask_b32_e64 v79, v81, v87, s3
	v_cndmask_b32_e64 v81, v82, v91, s3
	v_cndmask_b32_e64 v82, v93, v87, s19
	v_cndmask_b32_e64 v83, v89, v95, s6
	v_cndmask_b32_e64 v89, v94, v99, s6
	v_cndmask_b32_e64 v93, v98, v95, s20
	v_cndmask_b32_e64 v94, v101, v99, s20
	v_cndmask_b32_e64 v77, v77, v95, s24
	v_cndmask_b32_e64 v78, v78, v99, s24
	v_lshrrev_b32_e32 v96, 16, v80
	v_lshrrev_b32_e32 v100, 16, v84
	v_cndmask_b32_e64 v98, v105, v95, s23
	v_cndmask_b32_e64 v101, v109, v99, s23
	;; [unrolled: 1-line block ×7, first 2 shown]
	v_lshrrev_b32_e32 v104, 16, v88
	v_cndmask_b32_e64 v79, v79, v103, s6
	v_cndmask_b32_e64 v83, v83, v80, s7
	;; [unrolled: 1-line block ×16, first 2 shown]
	v_perm_b32 v80, v78, v77, 0x5040100
	v_perm_b32 v78, v94, v84, 0x5040100
	v_cndmask_b32_e64 v77, v118, v90, s15
	v_cndmask_b32_e64 v84, v116, v90, s12
	;; [unrolled: 1-line block ×3, first 2 shown]
	v_perm_b32 v79, v93, v89, 0x5040100
	v_cndmask_b32_e64 v89, v97, v102, s17
	v_cndmask_b32_e64 v85, v85, v102, s18
	;; [unrolled: 1-line block ×5, first 2 shown]
	v_lshrrev_b32_e32 v107, 16, v91
	v_cndmask_b32_e64 v89, v89, v87, s21
	v_cndmask_b32_e64 v85, v85, v87, s22
	;; [unrolled: 1-line block ×11, first 2 shown]
	v_lshrrev_b32_e32 v108, 16, v92
	v_cndmask_b32_e64 v81, v81, v92, s7
	v_cndmask_b32_e64 v87, v87, v88, s26
	;; [unrolled: 1-line block ×12, first 2 shown]
	v_perm_b32 v77, v83, v82, 0x5040100
	v_perm_b32 v84, v86, v85, 0x5040100
	;; [unrolled: 1-line block ×5, first 2 shown]
	s_lshl_b32 s8, s33, 2
	s_mov_b32 s3, exec_lo
	ds_store_b128 v73, v[77:80]
	ds_store_b128 v73, v[81:84] offset:1024
	v_cmpx_gt_u32_e32 4, v0
	s_cbranch_execz .LBB829_14
; %bb.13:
	v_or_b32_e32 v77, s31, v0
	s_load_b128 s[4:7], s[0:1], 0x58
	s_delay_alu instid0(VALU_DEP_1) | instskip(NEXT) | instid1(VALU_DEP_1)
	v_mad_u64_u32 v[78:79], null, s8, s34, v[77:78]
	v_mad_u64_u32 v[79:80], null, v78, s35, s[14:15]
	s_delay_alu instid0(VALU_DEP_1) | instskip(NEXT) | instid1(VALU_DEP_1)
	v_ashrrev_i32_e32 v80, 31, v79
	v_lshlrev_b64 v[77:78], 2, v[79:80]
	s_waitcnt lgkmcnt(0)
	s_delay_alu instid0(VALU_DEP_1) | instskip(NEXT) | instid1(VALU_DEP_2)
	v_add_co_u32 v79, vcc_lo, s6, v77
	v_add_co_ci_u32_e32 v80, vcc_lo, s7, v78, vcc_lo
	v_add_co_u32 v77, vcc_lo, s4, v77
	v_add_co_ci_u32_e32 v78, vcc_lo, s5, v78, vcc_lo
	global_store_b32 v[79:80], v75, off
	global_store_b32 v[77:78], v76, off
.LBB829_14:
	s_or_b32 exec_lo, exec_lo, s3
	s_waitcnt lgkmcnt(0)
	s_waitcnt_vscnt null, 0x0
	s_barrier
	buffer_gl0_inv
	ds_load_b128 v[83:86], v72
	ds_load_b128 v[87:90], v72 offset:16
	ds_load_b128 v[95:98], v72 offset:2064
	ds_load_b128 v[91:94], v72 offset:2048
	ds_load_b128 v[103:106], v72 offset:4112
	ds_load_b128 v[99:102], v72 offset:4096
	v_cmp_eq_u32_e32 vcc_lo, 1, v69
	v_mov_b32_e32 v75, 0
	ds_load_b128 v[111:114], v72 offset:6160
	ds_load_b128 v[107:110], v72 offset:6144
	;; [unrolled: 1-line block ×4, first 2 shown]
	v_cmp_eq_u32_e64 s4, 1, v68
	v_cmp_eq_u32_e64 s3, 1, v71
	;; [unrolled: 1-line block ×3, first 2 shown]
	v_mov_b32_e32 v76, v75
	v_mov_b32_e32 v77, v75
	;; [unrolled: 1-line block ×7, first 2 shown]
	v_cmp_eq_u32_e64 s6, 3, v71
	v_cmp_eq_u32_e64 s7, 7, v71
	s_waitcnt lgkmcnt(8)
	s_delay_alu instid0(VALU_DEP_3)
	v_wmma_f32_16x16x16_f16 v[75:82], v[49:56], v[83:90], v[75:82]
	ds_load_b128 v[53:56], v72 offset:10256
	ds_load_b128 v[49:52], v72 offset:10240
	s_waitcnt lgkmcnt(8)
	v_wmma_f32_16x16x16_f16 v[75:82], v[41:48], v[91:98], v[75:82]
	ds_load_b128 v[45:48], v72 offset:12304
	ds_load_b128 v[41:44], v72 offset:12288
	s_waitcnt lgkmcnt(8)
	;; [unrolled: 4-line block ×3, first 2 shown]
	s_barrier
	buffer_gl0_inv
	v_wmma_f32_16x16x16_f16 v[75:82], v[1:8], v[107:114], v[75:82]
	s_delay_alu instid0(VALU_DEP_1) | instskip(NEXT) | instid1(VALU_DEP_1)
	v_wmma_f32_16x16x16_f16 v[75:82], v[9:16], v[115:122], v[75:82]
	v_wmma_f32_16x16x16_f16 v[75:82], v[17:24], v[49:56], v[75:82]
	s_delay_alu instid0(VALU_DEP_1) | instskip(NEXT) | instid1(VALU_DEP_1)
	v_wmma_f32_16x16x16_f16 v[75:82], v[25:32], v[41:48], v[75:82]
	v_wmma_f32_16x16x16_f16 v[75:82], v[57:64], v[33:40], v[75:82]
	s_delay_alu instid0(VALU_DEP_1) | instskip(NEXT) | instid1(VALU_DEP_2)
	v_cvt_f16_f32_e32 v1, v75
	v_cvt_f16_f32_e32 v2, v76
	s_delay_alu instid0(VALU_DEP_3) | instskip(NEXT) | instid1(VALU_DEP_4)
	v_cvt_f16_f32_e32 v3, v77
	v_cvt_f16_f32_e32 v4, v78
	;; [unrolled: 1-line block ×6, first 2 shown]
	v_pack_b32_f16 v1, v1, v2
	v_pack_b32_f16 v2, v3, v4
	;; [unrolled: 1-line block ×3, first 2 shown]
	s_delay_alu instid0(VALU_DEP_4)
	v_pack_b32_f16 v4, v7, v8
	ds_store_b128 v73, v[1:4]
	s_waitcnt lgkmcnt(0)
	s_barrier
	buffer_gl0_inv
	ds_load_b128 v[1:4], v74
	ds_load_b128 v[5:8], v74 offset:16
	s_waitcnt lgkmcnt(1)
	v_lshrrev_b32_e32 v9, 16, v1
	s_waitcnt lgkmcnt(0)
	v_lshrrev_b32_e32 v13, 16, v5
	v_lshrrev_b32_e32 v10, 16, v2
	v_lshrrev_b32_e32 v14, 16, v6
	v_lshrrev_b32_e32 v11, 16, v3
	v_cndmask_b32_e32 v17, v1, v9, vcc_lo
	v_cndmask_b32_e32 v18, v5, v13, vcc_lo
	v_cndmask_b32_e64 v21, v1, v9, s4
	v_cmp_eq_u32_e32 vcc_lo, 1, v70
	v_cndmask_b32_e64 v22, v5, v13, s4
	v_cmp_eq_u32_e64 s4, 2, v69
	v_cndmask_b32_e64 v19, v1, v9, s3
	v_cndmask_b32_e64 v20, v5, v13, s3
	v_cndmask_b32_e32 v1, v1, v9, vcc_lo
	v_cmp_eq_u32_e64 s3, 2, v70
	v_cndmask_b32_e32 v5, v5, v13, vcc_lo
	v_cndmask_b32_e64 v9, v17, v2, s4
	v_cmp_eq_u32_e32 vcc_lo, 3, v69
	v_cndmask_b32_e64 v13, v18, v6, s4
	v_cmp_eq_u32_e64 s4, 2, v68
	v_cndmask_b32_e64 v17, v19, v2, s5
	v_cndmask_b32_e64 v18, v20, v6, s5
	v_cmp_eq_u32_e64 s5, 3, v68
	v_cndmask_b32_e64 v1, v1, v2, s3
	v_cndmask_b32_e64 v19, v21, v2, s4
	;; [unrolled: 1-line block ×4, first 2 shown]
	v_cndmask_b32_e32 v5, v9, v10, vcc_lo
	v_cndmask_b32_e32 v6, v13, v14, vcc_lo
	v_cmp_eq_u32_e32 vcc_lo, 3, v70
	v_cndmask_b32_e64 v9, v17, v10, s6
	v_cndmask_b32_e64 v13, v18, v14, s6
	;; [unrolled: 1-line block ×3, first 2 shown]
	v_cmp_eq_u32_e64 s4, 4, v69
	v_cndmask_b32_e32 v1, v1, v10, vcc_lo
	v_cndmask_b32_e32 v2, v2, v14, vcc_lo
	v_cmp_eq_u32_e32 vcc_lo, 4, v71
	v_lshrrev_b32_e32 v15, 16, v7
	v_lshrrev_b32_e32 v16, 16, v8
	v_cndmask_b32_e64 v17, v19, v10, s5
	v_cmp_eq_u32_e64 s3, 4, v70
	v_cndmask_b32_e64 v5, v5, v3, s4
	v_cndmask_b32_e64 v6, v6, v7, s4
	v_cndmask_b32_e32 v9, v9, v3, vcc_lo
	v_cmp_eq_u32_e64 s4, 5, v71
	v_cndmask_b32_e32 v10, v13, v7, vcc_lo
	v_cmp_eq_u32_e32 vcc_lo, 4, v68
	v_cmp_eq_u32_e64 s5, 5, v69
	v_cndmask_b32_e64 v2, v2, v7, s3
	v_cndmask_b32_e64 v9, v9, v11, s4
	;; [unrolled: 1-line block ×3, first 2 shown]
	v_cndmask_b32_e32 v13, v17, v3, vcc_lo
	v_cmp_eq_u32_e64 s4, 5, v68
	v_cndmask_b32_e32 v14, v18, v7, vcc_lo
	v_cndmask_b32_e64 v1, v1, v3, s3
	v_cmp_eq_u32_e32 vcc_lo, 5, v70
	v_lshrrev_b32_e32 v12, 16, v4
	v_cndmask_b32_e64 v13, v13, v11, s4
	v_cndmask_b32_e64 v3, v14, v15, s4
	v_cmp_eq_u32_e64 s4, 6, v70
	v_cndmask_b32_e32 v1, v1, v11, vcc_lo
	v_cndmask_b32_e64 v5, v5, v11, s5
	v_cmp_eq_u32_e64 s6, 6, v69
	v_cndmask_b32_e64 v6, v6, v15, s5
	v_cmp_eq_u32_e64 s5, 6, v71
	v_cmp_eq_u32_e64 s3, 6, v68
	v_cndmask_b32_e64 v1, v1, v4, s4
	v_cndmask_b32_e32 v2, v2, v15, vcc_lo
	v_cmp_eq_u32_e32 vcc_lo, 7, v70
	v_cndmask_b32_e64 v5, v5, v4, s6
	v_cndmask_b32_e64 v9, v9, v4, s5
	;; [unrolled: 1-line block ×3, first 2 shown]
	v_cmp_eq_u32_e64 s6, 7, v69
	v_cndmask_b32_e32 v1, v1, v12, vcc_lo
	v_cndmask_b32_e64 v7, v13, v4, s3
	v_cndmask_b32_e64 v3, v3, v8, s3
	;; [unrolled: 1-line block ×3, first 2 shown]
	v_cmp_eq_u32_e64 s3, 7, v68
	v_cndmask_b32_e64 v4, v10, v8, s5
	v_cndmask_b32_e64 v5, v5, v12, s6
	;; [unrolled: 1-line block ×3, first 2 shown]
	v_cndmask_b32_e32 v2, v2, v16, vcc_lo
	v_cndmask_b32_e64 v7, v7, v12, s3
	v_cndmask_b32_e64 v3, v3, v16, s3
	;; [unrolled: 1-line block ×4, first 2 shown]
	v_cmp_gt_u32_e32 vcc_lo, 32, v0
	v_perm_b32 v4, v2, v1, 0x5040100
	v_perm_b32 v3, v3, v7, 0x5040100
	;; [unrolled: 1-line block ×4, first 2 shown]
	s_and_b32 s2, vcc_lo, s2
	ds_store_b128 v73, v[1:4]
	s_waitcnt lgkmcnt(0)
	s_barrier
	buffer_gl0_inv
	s_and_saveexec_b32 s3, s2
	s_cbranch_execz .LBB829_2
; %bb.15:
	s_load_b64 s[0:1], s[0:1], 0x68
	v_lshlrev_b32_e32 v0, 10, v0
	v_or_b32_e32 v1, s31, v67
	s_lshl_b32 s4, s35, 6
	v_lshlrev_b32_e32 v2, 4, v66
	s_mul_i32 s2, s4, s34
	v_lshlrev_b32_e32 v3, 6, v67
	v_mul_lo_u32 v8, v1, s4
	v_and_b32_e32 v0, 0x3800, v0
	v_or_b32_e32 v1, 2, v1
	s_mul_i32 s2, s2, s8
	s_delay_alu instid0(SALU_CYCLE_1) | instskip(NEXT) | instid1(VALU_DEP_2)
	s_ashr_i32 s3, s2, 31
	v_or3_b32 v4, v0, v2, v3
	s_lshl_b64 s[2:3], s[2:3], 1
	v_mul_lo_u32 v10, v1, s4
	v_ashrrev_i32_e32 v9, 31, v8
	ds_load_b128 v[0:3], v4
	ds_load_b128 v[4:7], v4 offset:128
	s_waitcnt lgkmcnt(0)
	s_add_u32 s2, s0, s2
	s_addc_u32 s3, s1, s3
	s_lshl_b32 s0, s14, 6
	v_ashrrev_i32_e32 v11, 31, v10
	s_ashr_i32 s1, s0, 31
	v_lshlrev_b64 v[8:9], 1, v[8:9]
	s_lshl_b64 s[0:1], s[0:1], 1
	s_delay_alu instid0(SALU_CYCLE_1) | instskip(SKIP_2) | instid1(VALU_DEP_1)
	s_add_u32 s0, s2, s0
	s_addc_u32 s1, s3, s1
	v_add_co_u32 v12, s0, s0, v65
	v_add_co_ci_u32_e64 v13, null, s1, 0, s0
	v_lshlrev_b64 v[10:11], 1, v[10:11]
	s_delay_alu instid0(VALU_DEP_3) | instskip(NEXT) | instid1(VALU_DEP_3)
	v_add_co_u32 v8, vcc_lo, v12, v8
	v_add_co_ci_u32_e32 v9, vcc_lo, v13, v9, vcc_lo
	s_delay_alu instid0(VALU_DEP_3) | instskip(NEXT) | instid1(VALU_DEP_4)
	v_add_co_u32 v10, vcc_lo, v12, v10
	v_add_co_ci_u32_e32 v11, vcc_lo, v13, v11, vcc_lo
	s_clause 0x1
	global_store_b128 v[8:9], v[0:3], off
	global_store_b128 v[10:11], v[4:7], off
	s_nop 0
	s_sendmsg sendmsg(MSG_DEALLOC_VGPRS)
	s_endpgm
	.section	.rodata,"a",@progbits
	.p2align	6, 0x0
	.amdhsa_kernel _Z39paged_attention_ll4mi_QKV_mfma16_kernelIDF16_hLN4vllm18Fp8KVCacheDataTypeE1EDF16_Li16ELi64ELi256ELb1ELi4EL8MFMAType1EEvPKT_PKT0_S8_ifPKiSA_SA_iPKfiiiPfSD_PS3_PT2_iSC_SC_
		.amdhsa_group_segment_fixed_size 17472
		.amdhsa_private_segment_fixed_size 0
		.amdhsa_kernarg_size 400
		.amdhsa_user_sgpr_count 13
		.amdhsa_user_sgpr_dispatch_ptr 0
		.amdhsa_user_sgpr_queue_ptr 0
		.amdhsa_user_sgpr_kernarg_segment_ptr 1
		.amdhsa_user_sgpr_dispatch_id 0
		.amdhsa_user_sgpr_private_segment_size 0
		.amdhsa_wavefront_size32 1
		.amdhsa_uses_dynamic_stack 0
		.amdhsa_enable_private_segment 0
		.amdhsa_system_sgpr_workgroup_id_x 1
		.amdhsa_system_sgpr_workgroup_id_y 1
		.amdhsa_system_sgpr_workgroup_id_z 1
		.amdhsa_system_sgpr_workgroup_info 0
		.amdhsa_system_vgpr_workitem_id 0
		.amdhsa_next_free_vgpr 123
		.amdhsa_next_free_sgpr 40
		.amdhsa_reserve_vcc 1
		.amdhsa_float_round_mode_32 0
		.amdhsa_float_round_mode_16_64 0
		.amdhsa_float_denorm_mode_32 3
		.amdhsa_float_denorm_mode_16_64 3
		.amdhsa_dx10_clamp 1
		.amdhsa_ieee_mode 1
		.amdhsa_fp16_overflow 0
		.amdhsa_workgroup_processor_mode 1
		.amdhsa_memory_ordered 1
		.amdhsa_forward_progress 0
		.amdhsa_shared_vgpr_count 0
		.amdhsa_exception_fp_ieee_invalid_op 0
		.amdhsa_exception_fp_denorm_src 0
		.amdhsa_exception_fp_ieee_div_zero 0
		.amdhsa_exception_fp_ieee_overflow 0
		.amdhsa_exception_fp_ieee_underflow 0
		.amdhsa_exception_fp_ieee_inexact 0
		.amdhsa_exception_int_div_zero 0
	.end_amdhsa_kernel
	.section	.text._Z39paged_attention_ll4mi_QKV_mfma16_kernelIDF16_hLN4vllm18Fp8KVCacheDataTypeE1EDF16_Li16ELi64ELi256ELb1ELi4EL8MFMAType1EEvPKT_PKT0_S8_ifPKiSA_SA_iPKfiiiPfSD_PS3_PT2_iSC_SC_,"axG",@progbits,_Z39paged_attention_ll4mi_QKV_mfma16_kernelIDF16_hLN4vllm18Fp8KVCacheDataTypeE1EDF16_Li16ELi64ELi256ELb1ELi4EL8MFMAType1EEvPKT_PKT0_S8_ifPKiSA_SA_iPKfiiiPfSD_PS3_PT2_iSC_SC_,comdat
.Lfunc_end829:
	.size	_Z39paged_attention_ll4mi_QKV_mfma16_kernelIDF16_hLN4vllm18Fp8KVCacheDataTypeE1EDF16_Li16ELi64ELi256ELb1ELi4EL8MFMAType1EEvPKT_PKT0_S8_ifPKiSA_SA_iPKfiiiPfSD_PS3_PT2_iSC_SC_, .Lfunc_end829-_Z39paged_attention_ll4mi_QKV_mfma16_kernelIDF16_hLN4vllm18Fp8KVCacheDataTypeE1EDF16_Li16ELi64ELi256ELb1ELi4EL8MFMAType1EEvPKT_PKT0_S8_ifPKiSA_SA_iPKfiiiPfSD_PS3_PT2_iSC_SC_
                                        ; -- End function
	.section	.AMDGPU.csdata,"",@progbits
; Kernel info:
; codeLenInByte = 6372
; NumSgprs: 42
; NumVgprs: 123
; ScratchSize: 0
; MemoryBound: 0
; FloatMode: 240
; IeeeMode: 1
; LDSByteSize: 17472 bytes/workgroup (compile time only)
; SGPRBlocks: 5
; VGPRBlocks: 15
; NumSGPRsForWavesPerEU: 42
; NumVGPRsForWavesPerEU: 123
; Occupancy: 10
; WaveLimiterHint : 1
; COMPUTE_PGM_RSRC2:SCRATCH_EN: 0
; COMPUTE_PGM_RSRC2:USER_SGPR: 13
; COMPUTE_PGM_RSRC2:TRAP_HANDLER: 0
; COMPUTE_PGM_RSRC2:TGID_X_EN: 1
; COMPUTE_PGM_RSRC2:TGID_Y_EN: 1
; COMPUTE_PGM_RSRC2:TGID_Z_EN: 1
; COMPUTE_PGM_RSRC2:TIDIG_COMP_CNT: 0
	.section	.text._Z38paged_attention_ll4mi_QKV_mfma4_kernelIDF16_hLN4vllm18Fp8KVCacheDataTypeE1EDF16_Li16ELi64ELi256ELb0ELi1EEvPKT_PKT0_S7_ifPKiS9_S9_iPKfiiiPfSC_PS2_PT2_iSB_SB_,"axG",@progbits,_Z38paged_attention_ll4mi_QKV_mfma4_kernelIDF16_hLN4vllm18Fp8KVCacheDataTypeE1EDF16_Li16ELi64ELi256ELb0ELi1EEvPKT_PKT0_S7_ifPKiS9_S9_iPKfiiiPfSC_PS2_PT2_iSB_SB_,comdat
	.protected	_Z38paged_attention_ll4mi_QKV_mfma4_kernelIDF16_hLN4vllm18Fp8KVCacheDataTypeE1EDF16_Li16ELi64ELi256ELb0ELi1EEvPKT_PKT0_S7_ifPKiS9_S9_iPKfiiiPfSC_PS2_PT2_iSB_SB_ ; -- Begin function _Z38paged_attention_ll4mi_QKV_mfma4_kernelIDF16_hLN4vllm18Fp8KVCacheDataTypeE1EDF16_Li16ELi64ELi256ELb0ELi1EEvPKT_PKT0_S7_ifPKiS9_S9_iPKfiiiPfSC_PS2_PT2_iSB_SB_
	.globl	_Z38paged_attention_ll4mi_QKV_mfma4_kernelIDF16_hLN4vllm18Fp8KVCacheDataTypeE1EDF16_Li16ELi64ELi256ELb0ELi1EEvPKT_PKT0_S7_ifPKiS9_S9_iPKfiiiPfSC_PS2_PT2_iSB_SB_
	.p2align	8
	.type	_Z38paged_attention_ll4mi_QKV_mfma4_kernelIDF16_hLN4vllm18Fp8KVCacheDataTypeE1EDF16_Li16ELi64ELi256ELb0ELi1EEvPKT_PKT0_S7_ifPKiS9_S9_iPKfiiiPfSC_PS2_PT2_iSB_SB_,@function
_Z38paged_attention_ll4mi_QKV_mfma4_kernelIDF16_hLN4vllm18Fp8KVCacheDataTypeE1EDF16_Li16ELi64ELi256ELb0ELi1EEvPKT_PKT0_S7_ifPKiS9_S9_iPKfiiiPfSC_PS2_PT2_iSB_SB_: ; @_Z38paged_attention_ll4mi_QKV_mfma4_kernelIDF16_hLN4vllm18Fp8KVCacheDataTypeE1EDF16_Li16ELi64ELi256ELb0ELi1EEvPKT_PKT0_S7_ifPKiS9_S9_iPKfiiiPfSC_PS2_PT2_iSB_SB_
; %bb.0:
	s_add_u32 s8, s0, 0x90
	s_addc_u32 s9, s1, 0
	s_getpc_b64 s[0:1]
	s_add_u32 s0, s0, __PRETTY_FUNCTION__._Z38paged_attention_ll4mi_QKV_mfma4_kernelIDF16_hLN4vllm18Fp8KVCacheDataTypeE1EDF16_Li16ELi64ELi256ELb0ELi1EEvPKT_PKT0_S7_ifPKiS9_S9_iPKfiiiPfSC_PS2_PT2_iSB_SB_@rel32@lo+4
	s_addc_u32 s1, s1, __PRETTY_FUNCTION__._Z38paged_attention_ll4mi_QKV_mfma4_kernelIDF16_hLN4vllm18Fp8KVCacheDataTypeE1EDF16_Li16ELi64ELi256ELb0ELi1EEvPKT_PKT0_S7_ifPKiS9_S9_iPKfiiiPfSC_PS2_PT2_iSB_SB_@rel32@hi+12
	s_delay_alu instid0(SALU_CYCLE_1) | instskip(SKIP_4) | instid1(SALU_CYCLE_1)
	v_dual_mov_b32 v0, s0 :: v_dual_mov_b32 v1, s1
	s_mov_b32 s32, 0
	s_getpc_b64 s[2:3]
	s_add_u32 s2, s2, __assert_fail@rel32@lo+4
	s_addc_u32 s3, s3, __assert_fail@rel32@hi+12
	s_swappc_b64 s[30:31], s[2:3]
	.section	.rodata,"a",@progbits
	.p2align	6, 0x0
	.amdhsa_kernel _Z38paged_attention_ll4mi_QKV_mfma4_kernelIDF16_hLN4vllm18Fp8KVCacheDataTypeE1EDF16_Li16ELi64ELi256ELb0ELi1EEvPKT_PKT0_S7_ifPKiS9_S9_iPKfiiiPfSC_PS2_PT2_iSB_SB_
		.amdhsa_group_segment_fixed_size 0
		.amdhsa_private_segment_fixed_size 64
		.amdhsa_kernarg_size 400
		.amdhsa_user_sgpr_count 15
		.amdhsa_user_sgpr_dispatch_ptr 0
		.amdhsa_user_sgpr_queue_ptr 0
		.amdhsa_user_sgpr_kernarg_segment_ptr 1
		.amdhsa_user_sgpr_dispatch_id 0
		.amdhsa_user_sgpr_private_segment_size 0
		.amdhsa_wavefront_size32 1
		.amdhsa_uses_dynamic_stack 0
		.amdhsa_enable_private_segment 1
		.amdhsa_system_sgpr_workgroup_id_x 1
		.amdhsa_system_sgpr_workgroup_id_y 0
		.amdhsa_system_sgpr_workgroup_id_z 0
		.amdhsa_system_sgpr_workgroup_info 0
		.amdhsa_system_vgpr_workitem_id 0
		.amdhsa_next_free_vgpr 41
		.amdhsa_next_free_sgpr 34
		.amdhsa_reserve_vcc 1
		.amdhsa_float_round_mode_32 0
		.amdhsa_float_round_mode_16_64 0
		.amdhsa_float_denorm_mode_32 3
		.amdhsa_float_denorm_mode_16_64 3
		.amdhsa_dx10_clamp 1
		.amdhsa_ieee_mode 1
		.amdhsa_fp16_overflow 0
		.amdhsa_workgroup_processor_mode 1
		.amdhsa_memory_ordered 1
		.amdhsa_forward_progress 0
		.amdhsa_shared_vgpr_count 0
		.amdhsa_exception_fp_ieee_invalid_op 0
		.amdhsa_exception_fp_denorm_src 0
		.amdhsa_exception_fp_ieee_div_zero 0
		.amdhsa_exception_fp_ieee_overflow 0
		.amdhsa_exception_fp_ieee_underflow 0
		.amdhsa_exception_fp_ieee_inexact 0
		.amdhsa_exception_int_div_zero 0
	.end_amdhsa_kernel
	.section	.text._Z38paged_attention_ll4mi_QKV_mfma4_kernelIDF16_hLN4vllm18Fp8KVCacheDataTypeE1EDF16_Li16ELi64ELi256ELb0ELi1EEvPKT_PKT0_S7_ifPKiS9_S9_iPKfiiiPfSC_PS2_PT2_iSB_SB_,"axG",@progbits,_Z38paged_attention_ll4mi_QKV_mfma4_kernelIDF16_hLN4vllm18Fp8KVCacheDataTypeE1EDF16_Li16ELi64ELi256ELb0ELi1EEvPKT_PKT0_S7_ifPKiS9_S9_iPKfiiiPfSC_PS2_PT2_iSB_SB_,comdat
.Lfunc_end830:
	.size	_Z38paged_attention_ll4mi_QKV_mfma4_kernelIDF16_hLN4vllm18Fp8KVCacheDataTypeE1EDF16_Li16ELi64ELi256ELb0ELi1EEvPKT_PKT0_S7_ifPKiS9_S9_iPKfiiiPfSC_PS2_PT2_iSB_SB_, .Lfunc_end830-_Z38paged_attention_ll4mi_QKV_mfma4_kernelIDF16_hLN4vllm18Fp8KVCacheDataTypeE1EDF16_Li16ELi64ELi256ELb0ELi1EEvPKT_PKT0_S7_ifPKiS9_S9_iPKfiiiPfSC_PS2_PT2_iSB_SB_
                                        ; -- End function
	.section	.AMDGPU.csdata,"",@progbits
; Kernel info:
; codeLenInByte = 72
; NumSgprs: 36
; NumVgprs: 41
; ScratchSize: 64
; MemoryBound: 0
; FloatMode: 240
; IeeeMode: 1
; LDSByteSize: 0 bytes/workgroup (compile time only)
; SGPRBlocks: 4
; VGPRBlocks: 5
; NumSGPRsForWavesPerEU: 36
; NumVGPRsForWavesPerEU: 41
; Occupancy: 16
; WaveLimiterHint : 1
; COMPUTE_PGM_RSRC2:SCRATCH_EN: 1
; COMPUTE_PGM_RSRC2:USER_SGPR: 15
; COMPUTE_PGM_RSRC2:TRAP_HANDLER: 0
; COMPUTE_PGM_RSRC2:TGID_X_EN: 1
; COMPUTE_PGM_RSRC2:TGID_Y_EN: 0
; COMPUTE_PGM_RSRC2:TGID_Z_EN: 0
; COMPUTE_PGM_RSRC2:TIDIG_COMP_CNT: 0
	.section	.text._Z38paged_attention_ll4mi_QKV_mfma4_kernelIDF16_hLN4vllm18Fp8KVCacheDataTypeE1EDF16_Li16ELi64ELi256ELb0ELi2EEvPKT_PKT0_S7_ifPKiS9_S9_iPKfiiiPfSC_PS2_PT2_iSB_SB_,"axG",@progbits,_Z38paged_attention_ll4mi_QKV_mfma4_kernelIDF16_hLN4vllm18Fp8KVCacheDataTypeE1EDF16_Li16ELi64ELi256ELb0ELi2EEvPKT_PKT0_S7_ifPKiS9_S9_iPKfiiiPfSC_PS2_PT2_iSB_SB_,comdat
	.protected	_Z38paged_attention_ll4mi_QKV_mfma4_kernelIDF16_hLN4vllm18Fp8KVCacheDataTypeE1EDF16_Li16ELi64ELi256ELb0ELi2EEvPKT_PKT0_S7_ifPKiS9_S9_iPKfiiiPfSC_PS2_PT2_iSB_SB_ ; -- Begin function _Z38paged_attention_ll4mi_QKV_mfma4_kernelIDF16_hLN4vllm18Fp8KVCacheDataTypeE1EDF16_Li16ELi64ELi256ELb0ELi2EEvPKT_PKT0_S7_ifPKiS9_S9_iPKfiiiPfSC_PS2_PT2_iSB_SB_
	.globl	_Z38paged_attention_ll4mi_QKV_mfma4_kernelIDF16_hLN4vllm18Fp8KVCacheDataTypeE1EDF16_Li16ELi64ELi256ELb0ELi2EEvPKT_PKT0_S7_ifPKiS9_S9_iPKfiiiPfSC_PS2_PT2_iSB_SB_
	.p2align	8
	.type	_Z38paged_attention_ll4mi_QKV_mfma4_kernelIDF16_hLN4vllm18Fp8KVCacheDataTypeE1EDF16_Li16ELi64ELi256ELb0ELi2EEvPKT_PKT0_S7_ifPKiS9_S9_iPKfiiiPfSC_PS2_PT2_iSB_SB_,@function
_Z38paged_attention_ll4mi_QKV_mfma4_kernelIDF16_hLN4vllm18Fp8KVCacheDataTypeE1EDF16_Li16ELi64ELi256ELb0ELi2EEvPKT_PKT0_S7_ifPKiS9_S9_iPKfiiiPfSC_PS2_PT2_iSB_SB_: ; @_Z38paged_attention_ll4mi_QKV_mfma4_kernelIDF16_hLN4vllm18Fp8KVCacheDataTypeE1EDF16_Li16ELi64ELi256ELb0ELi2EEvPKT_PKT0_S7_ifPKiS9_S9_iPKfiiiPfSC_PS2_PT2_iSB_SB_
; %bb.0:
	s_add_u32 s8, s0, 0x90
	s_addc_u32 s9, s1, 0
	s_getpc_b64 s[0:1]
	s_add_u32 s0, s0, __PRETTY_FUNCTION__._Z38paged_attention_ll4mi_QKV_mfma4_kernelIDF16_hLN4vllm18Fp8KVCacheDataTypeE1EDF16_Li16ELi64ELi256ELb0ELi2EEvPKT_PKT0_S7_ifPKiS9_S9_iPKfiiiPfSC_PS2_PT2_iSB_SB_@rel32@lo+4
	s_addc_u32 s1, s1, __PRETTY_FUNCTION__._Z38paged_attention_ll4mi_QKV_mfma4_kernelIDF16_hLN4vllm18Fp8KVCacheDataTypeE1EDF16_Li16ELi64ELi256ELb0ELi2EEvPKT_PKT0_S7_ifPKiS9_S9_iPKfiiiPfSC_PS2_PT2_iSB_SB_@rel32@hi+12
	s_delay_alu instid0(SALU_CYCLE_1) | instskip(SKIP_4) | instid1(SALU_CYCLE_1)
	v_dual_mov_b32 v0, s0 :: v_dual_mov_b32 v1, s1
	s_mov_b32 s32, 0
	s_getpc_b64 s[2:3]
	s_add_u32 s2, s2, __assert_fail@rel32@lo+4
	s_addc_u32 s3, s3, __assert_fail@rel32@hi+12
	s_swappc_b64 s[30:31], s[2:3]
	.section	.rodata,"a",@progbits
	.p2align	6, 0x0
	.amdhsa_kernel _Z38paged_attention_ll4mi_QKV_mfma4_kernelIDF16_hLN4vllm18Fp8KVCacheDataTypeE1EDF16_Li16ELi64ELi256ELb0ELi2EEvPKT_PKT0_S7_ifPKiS9_S9_iPKfiiiPfSC_PS2_PT2_iSB_SB_
		.amdhsa_group_segment_fixed_size 0
		.amdhsa_private_segment_fixed_size 64
		.amdhsa_kernarg_size 400
		.amdhsa_user_sgpr_count 15
		.amdhsa_user_sgpr_dispatch_ptr 0
		.amdhsa_user_sgpr_queue_ptr 0
		.amdhsa_user_sgpr_kernarg_segment_ptr 1
		.amdhsa_user_sgpr_dispatch_id 0
		.amdhsa_user_sgpr_private_segment_size 0
		.amdhsa_wavefront_size32 1
		.amdhsa_uses_dynamic_stack 0
		.amdhsa_enable_private_segment 1
		.amdhsa_system_sgpr_workgroup_id_x 1
		.amdhsa_system_sgpr_workgroup_id_y 0
		.amdhsa_system_sgpr_workgroup_id_z 0
		.amdhsa_system_sgpr_workgroup_info 0
		.amdhsa_system_vgpr_workitem_id 0
		.amdhsa_next_free_vgpr 41
		.amdhsa_next_free_sgpr 34
		.amdhsa_reserve_vcc 1
		.amdhsa_float_round_mode_32 0
		.amdhsa_float_round_mode_16_64 0
		.amdhsa_float_denorm_mode_32 3
		.amdhsa_float_denorm_mode_16_64 3
		.amdhsa_dx10_clamp 1
		.amdhsa_ieee_mode 1
		.amdhsa_fp16_overflow 0
		.amdhsa_workgroup_processor_mode 1
		.amdhsa_memory_ordered 1
		.amdhsa_forward_progress 0
		.amdhsa_shared_vgpr_count 0
		.amdhsa_exception_fp_ieee_invalid_op 0
		.amdhsa_exception_fp_denorm_src 0
		.amdhsa_exception_fp_ieee_div_zero 0
		.amdhsa_exception_fp_ieee_overflow 0
		.amdhsa_exception_fp_ieee_underflow 0
		.amdhsa_exception_fp_ieee_inexact 0
		.amdhsa_exception_int_div_zero 0
	.end_amdhsa_kernel
	.section	.text._Z38paged_attention_ll4mi_QKV_mfma4_kernelIDF16_hLN4vllm18Fp8KVCacheDataTypeE1EDF16_Li16ELi64ELi256ELb0ELi2EEvPKT_PKT0_S7_ifPKiS9_S9_iPKfiiiPfSC_PS2_PT2_iSB_SB_,"axG",@progbits,_Z38paged_attention_ll4mi_QKV_mfma4_kernelIDF16_hLN4vllm18Fp8KVCacheDataTypeE1EDF16_Li16ELi64ELi256ELb0ELi2EEvPKT_PKT0_S7_ifPKiS9_S9_iPKfiiiPfSC_PS2_PT2_iSB_SB_,comdat
.Lfunc_end831:
	.size	_Z38paged_attention_ll4mi_QKV_mfma4_kernelIDF16_hLN4vllm18Fp8KVCacheDataTypeE1EDF16_Li16ELi64ELi256ELb0ELi2EEvPKT_PKT0_S7_ifPKiS9_S9_iPKfiiiPfSC_PS2_PT2_iSB_SB_, .Lfunc_end831-_Z38paged_attention_ll4mi_QKV_mfma4_kernelIDF16_hLN4vllm18Fp8KVCacheDataTypeE1EDF16_Li16ELi64ELi256ELb0ELi2EEvPKT_PKT0_S7_ifPKiS9_S9_iPKfiiiPfSC_PS2_PT2_iSB_SB_
                                        ; -- End function
	.section	.AMDGPU.csdata,"",@progbits
; Kernel info:
; codeLenInByte = 72
; NumSgprs: 36
; NumVgprs: 41
; ScratchSize: 64
; MemoryBound: 0
; FloatMode: 240
; IeeeMode: 1
; LDSByteSize: 0 bytes/workgroup (compile time only)
; SGPRBlocks: 4
; VGPRBlocks: 5
; NumSGPRsForWavesPerEU: 36
; NumVGPRsForWavesPerEU: 41
; Occupancy: 16
; WaveLimiterHint : 1
; COMPUTE_PGM_RSRC2:SCRATCH_EN: 1
; COMPUTE_PGM_RSRC2:USER_SGPR: 15
; COMPUTE_PGM_RSRC2:TRAP_HANDLER: 0
; COMPUTE_PGM_RSRC2:TGID_X_EN: 1
; COMPUTE_PGM_RSRC2:TGID_Y_EN: 0
; COMPUTE_PGM_RSRC2:TGID_Z_EN: 0
; COMPUTE_PGM_RSRC2:TIDIG_COMP_CNT: 0
	.section	.text._Z38paged_attention_ll4mi_QKV_mfma4_kernelIDF16_hLN4vllm18Fp8KVCacheDataTypeE1EDF16_Li16ELi64ELi256ELb0ELi3EEvPKT_PKT0_S7_ifPKiS9_S9_iPKfiiiPfSC_PS2_PT2_iSB_SB_,"axG",@progbits,_Z38paged_attention_ll4mi_QKV_mfma4_kernelIDF16_hLN4vllm18Fp8KVCacheDataTypeE1EDF16_Li16ELi64ELi256ELb0ELi3EEvPKT_PKT0_S7_ifPKiS9_S9_iPKfiiiPfSC_PS2_PT2_iSB_SB_,comdat
	.protected	_Z38paged_attention_ll4mi_QKV_mfma4_kernelIDF16_hLN4vllm18Fp8KVCacheDataTypeE1EDF16_Li16ELi64ELi256ELb0ELi3EEvPKT_PKT0_S7_ifPKiS9_S9_iPKfiiiPfSC_PS2_PT2_iSB_SB_ ; -- Begin function _Z38paged_attention_ll4mi_QKV_mfma4_kernelIDF16_hLN4vllm18Fp8KVCacheDataTypeE1EDF16_Li16ELi64ELi256ELb0ELi3EEvPKT_PKT0_S7_ifPKiS9_S9_iPKfiiiPfSC_PS2_PT2_iSB_SB_
	.globl	_Z38paged_attention_ll4mi_QKV_mfma4_kernelIDF16_hLN4vllm18Fp8KVCacheDataTypeE1EDF16_Li16ELi64ELi256ELb0ELi3EEvPKT_PKT0_S7_ifPKiS9_S9_iPKfiiiPfSC_PS2_PT2_iSB_SB_
	.p2align	8
	.type	_Z38paged_attention_ll4mi_QKV_mfma4_kernelIDF16_hLN4vllm18Fp8KVCacheDataTypeE1EDF16_Li16ELi64ELi256ELb0ELi3EEvPKT_PKT0_S7_ifPKiS9_S9_iPKfiiiPfSC_PS2_PT2_iSB_SB_,@function
_Z38paged_attention_ll4mi_QKV_mfma4_kernelIDF16_hLN4vllm18Fp8KVCacheDataTypeE1EDF16_Li16ELi64ELi256ELb0ELi3EEvPKT_PKT0_S7_ifPKiS9_S9_iPKfiiiPfSC_PS2_PT2_iSB_SB_: ; @_Z38paged_attention_ll4mi_QKV_mfma4_kernelIDF16_hLN4vllm18Fp8KVCacheDataTypeE1EDF16_Li16ELi64ELi256ELb0ELi3EEvPKT_PKT0_S7_ifPKiS9_S9_iPKfiiiPfSC_PS2_PT2_iSB_SB_
; %bb.0:
	s_add_u32 s8, s0, 0x90
	s_addc_u32 s9, s1, 0
	s_getpc_b64 s[0:1]
	s_add_u32 s0, s0, __PRETTY_FUNCTION__._Z38paged_attention_ll4mi_QKV_mfma4_kernelIDF16_hLN4vllm18Fp8KVCacheDataTypeE1EDF16_Li16ELi64ELi256ELb0ELi3EEvPKT_PKT0_S7_ifPKiS9_S9_iPKfiiiPfSC_PS2_PT2_iSB_SB_@rel32@lo+4
	s_addc_u32 s1, s1, __PRETTY_FUNCTION__._Z38paged_attention_ll4mi_QKV_mfma4_kernelIDF16_hLN4vllm18Fp8KVCacheDataTypeE1EDF16_Li16ELi64ELi256ELb0ELi3EEvPKT_PKT0_S7_ifPKiS9_S9_iPKfiiiPfSC_PS2_PT2_iSB_SB_@rel32@hi+12
	s_delay_alu instid0(SALU_CYCLE_1) | instskip(SKIP_4) | instid1(SALU_CYCLE_1)
	v_dual_mov_b32 v0, s0 :: v_dual_mov_b32 v1, s1
	s_mov_b32 s32, 0
	s_getpc_b64 s[2:3]
	s_add_u32 s2, s2, __assert_fail@rel32@lo+4
	s_addc_u32 s3, s3, __assert_fail@rel32@hi+12
	s_swappc_b64 s[30:31], s[2:3]
	.section	.rodata,"a",@progbits
	.p2align	6, 0x0
	.amdhsa_kernel _Z38paged_attention_ll4mi_QKV_mfma4_kernelIDF16_hLN4vllm18Fp8KVCacheDataTypeE1EDF16_Li16ELi64ELi256ELb0ELi3EEvPKT_PKT0_S7_ifPKiS9_S9_iPKfiiiPfSC_PS2_PT2_iSB_SB_
		.amdhsa_group_segment_fixed_size 0
		.amdhsa_private_segment_fixed_size 64
		.amdhsa_kernarg_size 400
		.amdhsa_user_sgpr_count 15
		.amdhsa_user_sgpr_dispatch_ptr 0
		.amdhsa_user_sgpr_queue_ptr 0
		.amdhsa_user_sgpr_kernarg_segment_ptr 1
		.amdhsa_user_sgpr_dispatch_id 0
		.amdhsa_user_sgpr_private_segment_size 0
		.amdhsa_wavefront_size32 1
		.amdhsa_uses_dynamic_stack 0
		.amdhsa_enable_private_segment 1
		.amdhsa_system_sgpr_workgroup_id_x 1
		.amdhsa_system_sgpr_workgroup_id_y 0
		.amdhsa_system_sgpr_workgroup_id_z 0
		.amdhsa_system_sgpr_workgroup_info 0
		.amdhsa_system_vgpr_workitem_id 0
		.amdhsa_next_free_vgpr 41
		.amdhsa_next_free_sgpr 34
		.amdhsa_reserve_vcc 1
		.amdhsa_float_round_mode_32 0
		.amdhsa_float_round_mode_16_64 0
		.amdhsa_float_denorm_mode_32 3
		.amdhsa_float_denorm_mode_16_64 3
		.amdhsa_dx10_clamp 1
		.amdhsa_ieee_mode 1
		.amdhsa_fp16_overflow 0
		.amdhsa_workgroup_processor_mode 1
		.amdhsa_memory_ordered 1
		.amdhsa_forward_progress 0
		.amdhsa_shared_vgpr_count 0
		.amdhsa_exception_fp_ieee_invalid_op 0
		.amdhsa_exception_fp_denorm_src 0
		.amdhsa_exception_fp_ieee_div_zero 0
		.amdhsa_exception_fp_ieee_overflow 0
		.amdhsa_exception_fp_ieee_underflow 0
		.amdhsa_exception_fp_ieee_inexact 0
		.amdhsa_exception_int_div_zero 0
	.end_amdhsa_kernel
	.section	.text._Z38paged_attention_ll4mi_QKV_mfma4_kernelIDF16_hLN4vllm18Fp8KVCacheDataTypeE1EDF16_Li16ELi64ELi256ELb0ELi3EEvPKT_PKT0_S7_ifPKiS9_S9_iPKfiiiPfSC_PS2_PT2_iSB_SB_,"axG",@progbits,_Z38paged_attention_ll4mi_QKV_mfma4_kernelIDF16_hLN4vllm18Fp8KVCacheDataTypeE1EDF16_Li16ELi64ELi256ELb0ELi3EEvPKT_PKT0_S7_ifPKiS9_S9_iPKfiiiPfSC_PS2_PT2_iSB_SB_,comdat
.Lfunc_end832:
	.size	_Z38paged_attention_ll4mi_QKV_mfma4_kernelIDF16_hLN4vllm18Fp8KVCacheDataTypeE1EDF16_Li16ELi64ELi256ELb0ELi3EEvPKT_PKT0_S7_ifPKiS9_S9_iPKfiiiPfSC_PS2_PT2_iSB_SB_, .Lfunc_end832-_Z38paged_attention_ll4mi_QKV_mfma4_kernelIDF16_hLN4vllm18Fp8KVCacheDataTypeE1EDF16_Li16ELi64ELi256ELb0ELi3EEvPKT_PKT0_S7_ifPKiS9_S9_iPKfiiiPfSC_PS2_PT2_iSB_SB_
                                        ; -- End function
	.section	.AMDGPU.csdata,"",@progbits
; Kernel info:
; codeLenInByte = 72
; NumSgprs: 36
; NumVgprs: 41
; ScratchSize: 64
; MemoryBound: 0
; FloatMode: 240
; IeeeMode: 1
; LDSByteSize: 0 bytes/workgroup (compile time only)
; SGPRBlocks: 4
; VGPRBlocks: 5
; NumSGPRsForWavesPerEU: 36
; NumVGPRsForWavesPerEU: 41
; Occupancy: 16
; WaveLimiterHint : 1
; COMPUTE_PGM_RSRC2:SCRATCH_EN: 1
; COMPUTE_PGM_RSRC2:USER_SGPR: 15
; COMPUTE_PGM_RSRC2:TRAP_HANDLER: 0
; COMPUTE_PGM_RSRC2:TGID_X_EN: 1
; COMPUTE_PGM_RSRC2:TGID_Y_EN: 0
; COMPUTE_PGM_RSRC2:TGID_Z_EN: 0
; COMPUTE_PGM_RSRC2:TIDIG_COMP_CNT: 0
	.section	.text._Z38paged_attention_ll4mi_QKV_mfma4_kernelIDF16_hLN4vllm18Fp8KVCacheDataTypeE1EDF16_Li16ELi64ELi256ELb0ELi4EEvPKT_PKT0_S7_ifPKiS9_S9_iPKfiiiPfSC_PS2_PT2_iSB_SB_,"axG",@progbits,_Z38paged_attention_ll4mi_QKV_mfma4_kernelIDF16_hLN4vllm18Fp8KVCacheDataTypeE1EDF16_Li16ELi64ELi256ELb0ELi4EEvPKT_PKT0_S7_ifPKiS9_S9_iPKfiiiPfSC_PS2_PT2_iSB_SB_,comdat
	.protected	_Z38paged_attention_ll4mi_QKV_mfma4_kernelIDF16_hLN4vllm18Fp8KVCacheDataTypeE1EDF16_Li16ELi64ELi256ELb0ELi4EEvPKT_PKT0_S7_ifPKiS9_S9_iPKfiiiPfSC_PS2_PT2_iSB_SB_ ; -- Begin function _Z38paged_attention_ll4mi_QKV_mfma4_kernelIDF16_hLN4vllm18Fp8KVCacheDataTypeE1EDF16_Li16ELi64ELi256ELb0ELi4EEvPKT_PKT0_S7_ifPKiS9_S9_iPKfiiiPfSC_PS2_PT2_iSB_SB_
	.globl	_Z38paged_attention_ll4mi_QKV_mfma4_kernelIDF16_hLN4vllm18Fp8KVCacheDataTypeE1EDF16_Li16ELi64ELi256ELb0ELi4EEvPKT_PKT0_S7_ifPKiS9_S9_iPKfiiiPfSC_PS2_PT2_iSB_SB_
	.p2align	8
	.type	_Z38paged_attention_ll4mi_QKV_mfma4_kernelIDF16_hLN4vllm18Fp8KVCacheDataTypeE1EDF16_Li16ELi64ELi256ELb0ELi4EEvPKT_PKT0_S7_ifPKiS9_S9_iPKfiiiPfSC_PS2_PT2_iSB_SB_,@function
_Z38paged_attention_ll4mi_QKV_mfma4_kernelIDF16_hLN4vllm18Fp8KVCacheDataTypeE1EDF16_Li16ELi64ELi256ELb0ELi4EEvPKT_PKT0_S7_ifPKiS9_S9_iPKfiiiPfSC_PS2_PT2_iSB_SB_: ; @_Z38paged_attention_ll4mi_QKV_mfma4_kernelIDF16_hLN4vllm18Fp8KVCacheDataTypeE1EDF16_Li16ELi64ELi256ELb0ELi4EEvPKT_PKT0_S7_ifPKiS9_S9_iPKfiiiPfSC_PS2_PT2_iSB_SB_
; %bb.0:
	s_add_u32 s8, s0, 0x90
	s_addc_u32 s9, s1, 0
	s_getpc_b64 s[0:1]
	s_add_u32 s0, s0, __PRETTY_FUNCTION__._Z38paged_attention_ll4mi_QKV_mfma4_kernelIDF16_hLN4vllm18Fp8KVCacheDataTypeE1EDF16_Li16ELi64ELi256ELb0ELi4EEvPKT_PKT0_S7_ifPKiS9_S9_iPKfiiiPfSC_PS2_PT2_iSB_SB_@rel32@lo+4
	s_addc_u32 s1, s1, __PRETTY_FUNCTION__._Z38paged_attention_ll4mi_QKV_mfma4_kernelIDF16_hLN4vllm18Fp8KVCacheDataTypeE1EDF16_Li16ELi64ELi256ELb0ELi4EEvPKT_PKT0_S7_ifPKiS9_S9_iPKfiiiPfSC_PS2_PT2_iSB_SB_@rel32@hi+12
	s_delay_alu instid0(SALU_CYCLE_1) | instskip(SKIP_4) | instid1(SALU_CYCLE_1)
	v_dual_mov_b32 v0, s0 :: v_dual_mov_b32 v1, s1
	s_mov_b32 s32, 0
	s_getpc_b64 s[2:3]
	s_add_u32 s2, s2, __assert_fail@rel32@lo+4
	s_addc_u32 s3, s3, __assert_fail@rel32@hi+12
	s_swappc_b64 s[30:31], s[2:3]
	.section	.rodata,"a",@progbits
	.p2align	6, 0x0
	.amdhsa_kernel _Z38paged_attention_ll4mi_QKV_mfma4_kernelIDF16_hLN4vllm18Fp8KVCacheDataTypeE1EDF16_Li16ELi64ELi256ELb0ELi4EEvPKT_PKT0_S7_ifPKiS9_S9_iPKfiiiPfSC_PS2_PT2_iSB_SB_
		.amdhsa_group_segment_fixed_size 0
		.amdhsa_private_segment_fixed_size 64
		.amdhsa_kernarg_size 400
		.amdhsa_user_sgpr_count 15
		.amdhsa_user_sgpr_dispatch_ptr 0
		.amdhsa_user_sgpr_queue_ptr 0
		.amdhsa_user_sgpr_kernarg_segment_ptr 1
		.amdhsa_user_sgpr_dispatch_id 0
		.amdhsa_user_sgpr_private_segment_size 0
		.amdhsa_wavefront_size32 1
		.amdhsa_uses_dynamic_stack 0
		.amdhsa_enable_private_segment 1
		.amdhsa_system_sgpr_workgroup_id_x 1
		.amdhsa_system_sgpr_workgroup_id_y 0
		.amdhsa_system_sgpr_workgroup_id_z 0
		.amdhsa_system_sgpr_workgroup_info 0
		.amdhsa_system_vgpr_workitem_id 0
		.amdhsa_next_free_vgpr 41
		.amdhsa_next_free_sgpr 34
		.amdhsa_reserve_vcc 1
		.amdhsa_float_round_mode_32 0
		.amdhsa_float_round_mode_16_64 0
		.amdhsa_float_denorm_mode_32 3
		.amdhsa_float_denorm_mode_16_64 3
		.amdhsa_dx10_clamp 1
		.amdhsa_ieee_mode 1
		.amdhsa_fp16_overflow 0
		.amdhsa_workgroup_processor_mode 1
		.amdhsa_memory_ordered 1
		.amdhsa_forward_progress 0
		.amdhsa_shared_vgpr_count 0
		.amdhsa_exception_fp_ieee_invalid_op 0
		.amdhsa_exception_fp_denorm_src 0
		.amdhsa_exception_fp_ieee_div_zero 0
		.amdhsa_exception_fp_ieee_overflow 0
		.amdhsa_exception_fp_ieee_underflow 0
		.amdhsa_exception_fp_ieee_inexact 0
		.amdhsa_exception_int_div_zero 0
	.end_amdhsa_kernel
	.section	.text._Z38paged_attention_ll4mi_QKV_mfma4_kernelIDF16_hLN4vllm18Fp8KVCacheDataTypeE1EDF16_Li16ELi64ELi256ELb0ELi4EEvPKT_PKT0_S7_ifPKiS9_S9_iPKfiiiPfSC_PS2_PT2_iSB_SB_,"axG",@progbits,_Z38paged_attention_ll4mi_QKV_mfma4_kernelIDF16_hLN4vllm18Fp8KVCacheDataTypeE1EDF16_Li16ELi64ELi256ELb0ELi4EEvPKT_PKT0_S7_ifPKiS9_S9_iPKfiiiPfSC_PS2_PT2_iSB_SB_,comdat
.Lfunc_end833:
	.size	_Z38paged_attention_ll4mi_QKV_mfma4_kernelIDF16_hLN4vllm18Fp8KVCacheDataTypeE1EDF16_Li16ELi64ELi256ELb0ELi4EEvPKT_PKT0_S7_ifPKiS9_S9_iPKfiiiPfSC_PS2_PT2_iSB_SB_, .Lfunc_end833-_Z38paged_attention_ll4mi_QKV_mfma4_kernelIDF16_hLN4vllm18Fp8KVCacheDataTypeE1EDF16_Li16ELi64ELi256ELb0ELi4EEvPKT_PKT0_S7_ifPKiS9_S9_iPKfiiiPfSC_PS2_PT2_iSB_SB_
                                        ; -- End function
	.section	.AMDGPU.csdata,"",@progbits
; Kernel info:
; codeLenInByte = 72
; NumSgprs: 36
; NumVgprs: 41
; ScratchSize: 64
; MemoryBound: 0
; FloatMode: 240
; IeeeMode: 1
; LDSByteSize: 0 bytes/workgroup (compile time only)
; SGPRBlocks: 4
; VGPRBlocks: 5
; NumSGPRsForWavesPerEU: 36
; NumVGPRsForWavesPerEU: 41
; Occupancy: 16
; WaveLimiterHint : 1
; COMPUTE_PGM_RSRC2:SCRATCH_EN: 1
; COMPUTE_PGM_RSRC2:USER_SGPR: 15
; COMPUTE_PGM_RSRC2:TRAP_HANDLER: 0
; COMPUTE_PGM_RSRC2:TGID_X_EN: 1
; COMPUTE_PGM_RSRC2:TGID_Y_EN: 0
; COMPUTE_PGM_RSRC2:TGID_Z_EN: 0
; COMPUTE_PGM_RSRC2:TIDIG_COMP_CNT: 0
	.section	.text._Z39paged_attention_ll4mi_QKV_mfma16_kernelIDF16_hLN4vllm18Fp8KVCacheDataTypeE1EDF16_Li16ELi64ELi256ELb0ELi5EL8MFMAType1EEvPKT_PKT0_S8_ifPKiSA_SA_iPKfiiiPfSD_PS3_PT2_iSC_SC_,"axG",@progbits,_Z39paged_attention_ll4mi_QKV_mfma16_kernelIDF16_hLN4vllm18Fp8KVCacheDataTypeE1EDF16_Li16ELi64ELi256ELb0ELi5EL8MFMAType1EEvPKT_PKT0_S8_ifPKiSA_SA_iPKfiiiPfSD_PS3_PT2_iSC_SC_,comdat
	.protected	_Z39paged_attention_ll4mi_QKV_mfma16_kernelIDF16_hLN4vllm18Fp8KVCacheDataTypeE1EDF16_Li16ELi64ELi256ELb0ELi5EL8MFMAType1EEvPKT_PKT0_S8_ifPKiSA_SA_iPKfiiiPfSD_PS3_PT2_iSC_SC_ ; -- Begin function _Z39paged_attention_ll4mi_QKV_mfma16_kernelIDF16_hLN4vllm18Fp8KVCacheDataTypeE1EDF16_Li16ELi64ELi256ELb0ELi5EL8MFMAType1EEvPKT_PKT0_S8_ifPKiSA_SA_iPKfiiiPfSD_PS3_PT2_iSC_SC_
	.globl	_Z39paged_attention_ll4mi_QKV_mfma16_kernelIDF16_hLN4vllm18Fp8KVCacheDataTypeE1EDF16_Li16ELi64ELi256ELb0ELi5EL8MFMAType1EEvPKT_PKT0_S8_ifPKiSA_SA_iPKfiiiPfSD_PS3_PT2_iSC_SC_
	.p2align	8
	.type	_Z39paged_attention_ll4mi_QKV_mfma16_kernelIDF16_hLN4vllm18Fp8KVCacheDataTypeE1EDF16_Li16ELi64ELi256ELb0ELi5EL8MFMAType1EEvPKT_PKT0_S8_ifPKiSA_SA_iPKfiiiPfSD_PS3_PT2_iSC_SC_,@function
_Z39paged_attention_ll4mi_QKV_mfma16_kernelIDF16_hLN4vllm18Fp8KVCacheDataTypeE1EDF16_Li16ELi64ELi256ELb0ELi5EL8MFMAType1EEvPKT_PKT0_S8_ifPKiSA_SA_iPKfiiiPfSD_PS3_PT2_iSC_SC_: ; @_Z39paged_attention_ll4mi_QKV_mfma16_kernelIDF16_hLN4vllm18Fp8KVCacheDataTypeE1EDF16_Li16ELi64ELi256ELb0ELi5EL8MFMAType1EEvPKT_PKT0_S8_ifPKiSA_SA_iPKfiiiPfSD_PS3_PT2_iSC_SC_
; %bb.0:
	s_load_b64 s[2:3], s[0:1], 0x30
	s_mov_b32 s34, s13
	s_waitcnt lgkmcnt(0)
	s_cmp_lg_u64 s[2:3], 0
	s_cselect_b32 s6, -1, 0
	s_ashr_i32 s35, s13, 31
	s_cmp_eq_u64 s[2:3], 0
	s_cbranch_scc1 .LBB834_3
; %bb.1:
	s_lshl_b64 s[4:5], s[34:35], 2
	s_delay_alu instid0(SALU_CYCLE_1) | instskip(SKIP_4) | instid1(SALU_CYCLE_1)
	s_add_u32 s4, s2, s4
	s_addc_u32 s5, s3, s5
	s_load_b64 s[4:5], s[4:5], 0x0
	s_waitcnt lgkmcnt(0)
	s_sub_i32 s4, s5, s4
	s_cmp_eq_u32 s4, 1
	s_cselect_b32 s4, -1, 0
	s_delay_alu instid0(SALU_CYCLE_1)
	s_and_not1_b32 vcc_lo, exec_lo, s4
	s_cbranch_vccz .LBB834_4
.LBB834_2:
	s_nop 0
	s_sendmsg sendmsg(MSG_DEALLOC_VGPRS)
	s_endpgm
.LBB834_3:
.LBB834_4:
	s_load_b64 s[8:9], s[0:1], 0x28
	s_lshl_b64 s[4:5], s[34:35], 2
	s_waitcnt lgkmcnt(0)
	s_add_u32 s8, s8, s4
	s_addc_u32 s9, s9, s5
	s_lshl_b32 s16, s14, 8
	s_load_b32 s18, s[8:9], 0x0
	s_waitcnt lgkmcnt(0)
	s_cmp_ge_i32 s16, s18
	s_cbranch_scc1 .LBB834_2
; %bb.5:
	s_clause 0x1
	s_load_b128 s[8:11], s[0:1], 0x8
	s_load_b64 s[12:13], s[0:1], 0x20
	s_and_not1_b32 vcc_lo, exec_lo, s6
	s_cbranch_vccnz .LBB834_7
; %bb.6:
	s_add_u32 s2, s2, s4
	s_addc_u32 s3, s3, s5
	s_load_b32 s3, s[2:3], 0x0
	s_branch .LBB834_8
.LBB834_7:
	s_mov_b32 s3, s34
.LBB834_8:
	s_load_b128 s[4:7], s[0:1], 0x48
	v_lshrrev_b32_e32 v69, 5, v0
	v_bfe_u32 v66, v0, 4, 1
	v_and_b32_e32 v68, 15, v0
	v_and_b32_e32 v70, 31, v0
	v_and_b32_e32 v67, 1, v0
	s_mul_i32 s33, s15, 5
	v_lshl_or_b32 v1, v69, 1, v66
	v_lshlrev_b32_e32 v2, 3, v68
	v_cmp_gt_u32_e64 s2, 8, v68
	s_delay_alu instid0(VALU_DEP_3) | instskip(NEXT) | instid1(VALU_DEP_3)
	v_cmp_gt_u32_e32 vcc_lo, 5, v1
	v_lshlrev_b32_e32 v65, 1, v2
	s_delay_alu instid0(VALU_DEP_3)
	s_and_b32 s17, s2, vcc_lo
	s_waitcnt lgkmcnt(0)
	s_and_saveexec_b32 s7, s17
	s_cbranch_execz .LBB834_10
; %bb.9:
	s_load_b64 s[20:21], s[0:1], 0x0
	v_add_lshl_u32 v2, v1, s33, 6
	s_mul_hi_i32 s23, s3, s4
	s_mul_i32 s22, s3, s4
	v_lshlrev_b32_e32 v6, 10, v68
	s_lshl_b64 s[22:23], s[22:23], 1
	v_ashrrev_i32_e32 v3, 31, v2
	v_lshlrev_b32_e32 v1, 6, v1
	v_lshlrev_b32_e32 v7, 10, v67
	v_and_b32_e32 v6, 0x3800, v6
	s_delay_alu instid0(VALU_DEP_4) | instskip(NEXT) | instid1(VALU_DEP_2)
	v_lshlrev_b64 v[2:3], 1, v[2:3]
	v_or3_b32 v1, v6, v7, v1
	s_waitcnt lgkmcnt(0)
	s_add_u32 s3, s20, s22
	s_addc_u32 s4, s21, s23
	s_delay_alu instid0(VALU_DEP_2) | instskip(SKIP_1) | instid1(VALU_DEP_2)
	v_add_co_u32 v2, vcc_lo, s3, v2
	v_add_co_ci_u32_e32 v3, vcc_lo, s4, v3, vcc_lo
	v_add_co_u32 v2, vcc_lo, v2, v65
	s_delay_alu instid0(VALU_DEP_2)
	v_add_co_ci_u32_e32 v3, vcc_lo, 0, v3, vcc_lo
	global_load_b128 v[2:5], v[2:3], off
	s_waitcnt vmcnt(0)
	ds_store_b128 v1, v[2:5]
.LBB834_10:
	s_or_b32 exec_lo, exec_lo, s7
	v_and_b32_e32 v1, 0xef, v0
	s_add_i32 s3, s18, 15
	s_clause 0x1
	s_load_b32 s4, s[0:1], 0x38
	s_load_b32 s35, s[0:1], 0x98
	s_ashr_i32 s7, s3, 31
	v_add_nc_u32_e32 v1, s16, v1
	s_lshr_b32 s7, s7, 28
	s_load_b32 s19, s[0:1], 0x1c
	s_add_i32 s3, s3, s7
	s_waitcnt lgkmcnt(0)
	v_ashrrev_i32_e32 v2, 31, v1
	v_or_b32_e32 v3, 16, v1
	s_ashr_i32 s3, s3, 4
	v_cmp_gt_i32_e32 vcc_lo, s18, v1
	s_add_i32 s3, s3, -1
	v_lshrrev_b32_e32 v2, 28, v2
	s_barrier
	buffer_gl0_inv
	s_mul_i32 s15, s15, s6
	v_mul_lo_u16 v103, v68, 52
	v_add_nc_u32_e32 v4, v1, v2
	v_mbcnt_lo_u32_b32 v127, -1, 0
	s_mul_i32 s20, s34, s4
	s_delay_alu instid0(SALU_CYCLE_1) | instskip(NEXT) | instid1(VALU_DEP_2)
	s_ashr_i32 s21, s20, 31
	v_ashrrev_i32_e32 v4, 4, v4
	v_add_nc_u32_e32 v2, v3, v2
	s_lshl_b64 s[20:21], s[20:21], 2
	v_lshrrev_b16 v103, 8, v103
	s_add_u32 s17, s12, s20
	v_cndmask_b32_e32 v1, s3, v4, vcc_lo
	v_ashrrev_i32_e32 v2, 4, v2
	v_cmp_gt_i32_e32 vcc_lo, s18, v3
	s_addc_u32 s13, s13, s21
	s_ashr_i32 s20, s15, 31
	s_add_u32 s4, s8, s15
	s_addc_u32 s12, s9, s20
	v_cndmask_b32_e32 v3, s3, v2, vcc_lo
	v_ashrrev_i32_e32 v2, 31, v1
	s_lshl_b32 s6, s14, 4
	v_mul_lo_u16 v103, v103, 5
	s_ashr_i32 s7, s6, 31
	v_ashrrev_i32_e32 v4, 31, v3
	v_lshlrev_b64 v[1:2], 2, v[1:2]
	s_lshl_b64 s[6:7], s[6:7], 2
	v_sub_nc_u16 v103, v68, v103
	s_add_u32 s6, s17, s6
	v_lshlrev_b64 v[3:4], 2, v[3:4]
	s_addc_u32 s7, s13, s7
	v_add_co_u32 v1, vcc_lo, s17, v1
	v_add_co_ci_u32_e32 v2, vcc_lo, s13, v2, vcc_lo
	s_delay_alu instid0(VALU_DEP_3) | instskip(NEXT) | instid1(VALU_DEP_4)
	v_add_co_u32 v3, vcc_lo, s17, v3
	v_add_co_ci_u32_e32 v4, vcc_lo, s13, v4, vcc_lo
	s_clause 0x1
	global_load_b32 v5, v[1:2], off
	global_load_b32 v7, v[3:4], off
	s_or_b32 s8, s16, 32
	v_lshlrev_b32_e32 v1, 4, v0
	s_ashr_i32 s9, s8, 4
	s_cmp_lt_i32 s8, s18
	v_xor_b32_e32 v128, 16, v127
	s_cselect_b32 s8, s9, s3
	v_and_b32_e32 v1, 0xf0, v1
	s_ashr_i32 s9, s8, 31
	s_delay_alu instid0(SALU_CYCLE_1)
	s_lshl_b64 s[8:9], s[8:9], 2
	v_cmp_gt_i32_e32 vcc_lo, 32, v128
	s_add_u32 s8, s17, s8
	s_addc_u32 s9, s13, s9
	s_or_b32 s21, s16, 64
	v_add_co_u32 v1, s4, s4, v1
	s_ashr_i32 s22, s21, 4
	s_cmp_lt_i32 s21, s18
	v_add_co_ci_u32_e64 v2, null, s12, 0, s4
	s_cselect_b32 s22, s22, s3
	v_dual_cndmask_b32 v136, v127, v128 :: v_dual_and_b32 v103, 0xff, v103
	s_ashr_i32 s23, s22, 31
	s_delay_alu instid0(SALU_CYCLE_1) | instskip(NEXT) | instid1(VALU_DEP_1)
	s_lshl_b64 s[22:23], s[22:23], 2
	v_lshlrev_b32_e32 v115, 6, v103
	s_add_u32 s22, s17, s22
	s_addc_u32 s23, s13, s23
	s_or_b32 s21, s16, 0x60
	s_delay_alu instid0(SALU_CYCLE_1) | instskip(SKIP_2) | instid1(SALU_CYCLE_1)
	s_ashr_i32 s24, s21, 4
	s_cmp_lt_i32 s21, s18
	s_cselect_b32 s24, s24, s3
	s_ashr_i32 s25, s24, 31
	s_delay_alu instid0(SALU_CYCLE_1) | instskip(NEXT) | instid1(SALU_CYCLE_1)
	s_lshl_b64 s[24:25], s[24:25], 2
	s_add_u32 s24, s17, s24
	s_addc_u32 s25, s13, s25
	s_or_b32 s21, s16, 0x80
	s_delay_alu instid0(SALU_CYCLE_1) | instskip(SKIP_2) | instid1(SALU_CYCLE_1)
	s_ashr_i32 s26, s21, 4
	s_cmp_lt_i32 s21, s18
	s_cselect_b32 s26, s26, s3
	s_ashr_i32 s27, s26, 31
	s_delay_alu instid0(SALU_CYCLE_1) | instskip(NEXT) | instid1(SALU_CYCLE_1)
	s_lshl_b64 s[26:27], s[26:27], 2
	;; [unrolled: 10-line block ×3, first 2 shown]
	s_add_u32 s28, s17, s28
	s_addc_u32 s29, s13, s29
	s_clause 0x5
	s_load_b32 s12, s[6:7], 0x0
	s_load_b32 s4, s[8:9], 0x0
	;; [unrolled: 1-line block ×6, first 2 shown]
	s_or_b32 s21, s16, 0xc0
	s_delay_alu instid0(SALU_CYCLE_1) | instskip(SKIP_2) | instid1(SALU_CYCLE_1)
	s_ashr_i32 s22, s21, 4
	s_cmp_lt_i32 s21, s18
	s_cselect_b32 s22, s22, s3
	s_ashr_i32 s23, s22, 31
	s_delay_alu instid0(SALU_CYCLE_1) | instskip(NEXT) | instid1(SALU_CYCLE_1)
	s_lshl_b64 s[22:23], s[22:23], 2
	s_add_u32 s22, s17, s22
	s_addc_u32 s23, s13, s23
	s_or_b32 s21, s16, 0xe0
	s_delay_alu instid0(SALU_CYCLE_1) | instskip(SKIP_2) | instid1(SALU_CYCLE_1)
	s_ashr_i32 s24, s21, 4
	s_cmp_lt_i32 s21, s18
	s_cselect_b32 s24, s24, s3
	s_ashr_i32 s25, s24, 31
	s_delay_alu instid0(SALU_CYCLE_1)
	s_lshl_b64 s[24:25], s[24:25], 2
	s_waitcnt vmcnt(1)
	v_mad_i64_i32 v[3:4], null, v5, s5, v[1:2]
	s_waitcnt vmcnt(0)
	v_mad_i64_i32 v[5:6], null, v7, s5, v[1:2]
	v_lshlrev_b32_e32 v1, 4, v68
	s_clause 0x7
	global_load_b128 v[71:74], v[3:4], off
	global_load_b128 v[75:78], v[3:4], off offset:256
	global_load_b128 v[79:82], v[5:6], off
	global_load_b128 v[83:86], v[5:6], off offset:256
	global_load_b128 v[87:90], v[3:4], off offset:512
	;; [unrolled: 1-line block ×5, first 2 shown]
	v_lshl_or_b32 v1, v69, 8, v1
	s_load_b32 s3, s[22:23], 0x0
	s_add_u32 s22, s17, s24
	s_addc_u32 s23, s13, s25
	s_add_u32 s10, s10, s15
	s_addc_u32 s11, s11, s20
	v_add_co_u32 v1, s10, s10, v1
	s_delay_alu instid0(VALU_DEP_1) | instskip(SKIP_2) | instid1(VALU_DEP_1)
	v_add_co_ci_u32_e64 v2, null, s11, 0, s10
	s_load_b32 s10, s[22:23], 0x0
	s_waitcnt lgkmcnt(0)
	v_mad_i64_i32 v[3:4], null, s12, s5, v[1:2]
	v_mad_i64_i32 v[9:10], null, s7, s5, v[1:2]
	;; [unrolled: 1-line block ×7, first 2 shown]
	s_clause 0x5
	global_load_b128 v[49:52], v[3:4], off
	global_load_b128 v[53:56], v[3:4], off offset:16
	global_load_b128 v[41:44], v[5:6], off
	global_load_b128 v[45:48], v[5:6], off offset:16
	;; [unrolled: 2-line block ×3, first 2 shown]
	s_mov_b32 s4, 0
	v_mad_i64_i32 v[61:62], null, s10, s5, v[1:2]
	s_clause 0x9
	global_load_b128 v[1:4], v[9:10], off
	global_load_b128 v[5:8], v[9:10], off offset:16
	global_load_b128 v[9:12], v[13:14], off
	global_load_b128 v[13:16], v[13:14], off offset:16
	;; [unrolled: 2-line block ×5, first 2 shown]
	s_mov_b32 s5, s4
	s_mov_b32 s6, s4
	;; [unrolled: 1-line block ×7, first 2 shown]
	v_and_b32_e32 v104, 0xe0, v0
	v_dual_mov_b32 v126, s11 :: v_dual_mov_b32 v123, s8
	v_dual_mov_b32 v125, s10 :: v_dual_mov_b32 v124, s9
	s_delay_alu instid0(VALU_DEP_3)
	v_add_nc_u32_e32 v111, s16, v104
	ds_load_b128 v[103:106], v115
	ds_load_b128 v[107:110], v115 offset:1024
	v_dual_mov_b32 v122, s7 :: v_dual_mov_b32 v121, s6
	v_mov_b32_e32 v120, s5
	v_or_b32_e32 v135, v111, v66
	ds_load_b128 v[111:114], v115 offset:2048
	ds_load_b128 v[115:118], v115 offset:3072
	v_mov_b32_e32 v119, s4
	s_waitcnt vmcnt(0) lgkmcnt(0)
	s_barrier
	v_or_b32_e32 v137, 2, v135
	v_or_b32_e32 v138, 4, v135
	;; [unrolled: 1-line block ×3, first 2 shown]
	v_cmp_gt_i32_e32 vcc_lo, s18, v135
	v_or_b32_e32 v140, 8, v135
	v_cmp_gt_i32_e64 s3, s18, v137
	v_or_b32_e32 v141, 10, v135
	v_cmp_gt_i32_e64 s4, s18, v138
	v_cmp_gt_i32_e64 s5, s18, v139
	v_or_b32_e32 v142, 12, v135
	v_or_b32_e32 v143, 14, v135
	v_cmp_gt_i32_e64 s6, s18, v140
	v_cmp_gt_i32_e64 s7, s18, v141
	v_or_b32_e32 v144, 16, v135
	v_or_b32_e32 v145, 18, v135
	v_cmp_gt_i32_e64 s8, s18, v142
	v_cmp_gt_i32_e64 s9, s18, v143
	buffer_gl0_inv
	v_cmp_gt_i32_e64 s10, s18, v144
	v_cmp_gt_i32_e64 s11, s18, v145
	v_wmma_f32_16x16x16_f16 v[127:134], v[71:78], v[103:110], v[119:126]
	v_wmma_f32_16x16x16_f16 v[119:126], v[79:86], v[103:110], v[119:126]
	v_or_b32_e32 v71, 20, v135
	v_or_b32_e32 v72, 22, v135
	s_delay_alu instid0(VALU_DEP_4)
	v_wmma_f32_16x16x16_f16 v[127:134], v[87:94], v[111:118], v[127:134]
	v_or_b32_e32 v73, 24, v135
	v_wmma_f32_16x16x16_f16 v[119:126], v[95:102], v[111:118], v[119:126]
	v_or_b32_e32 v74, 26, v135
	v_cmp_gt_i32_e64 s12, s18, v71
	v_dual_mul_f32 v83, s19, v128 :: v_dual_mul_f32 v84, s19, v127
	s_delay_alu instid0(VALU_DEP_4) | instskip(SKIP_1) | instid1(VALU_DEP_3)
	v_dual_mul_f32 v81, s19, v130 :: v_dual_mul_f32 v92, s19, v119
	v_mul_f32_e32 v82, s19, v129
	v_cndmask_b32_e64 v83, 0xff7fffff, v83, s3
	s_delay_alu instid0(VALU_DEP_4)
	v_cndmask_b32_e32 v84, 0xff7fffff, v84, vcc_lo
	v_dual_mul_f32 v79, s19, v132 :: v_dual_mul_f32 v90, s19, v121
	v_mul_f32_e32 v80, s19, v131
	v_cndmask_b32_e64 v82, 0xff7fffff, v82, s4
	v_cndmask_b32_e64 v81, 0xff7fffff, v81, s5
	v_max3_f32 v83, v84, 0xff7fffff, v83
	v_dual_mul_f32 v77, s19, v134 :: v_dual_mul_f32 v88, s19, v123
	v_mul_f32_e32 v78, s19, v133
	v_cndmask_b32_e64 v80, 0xff7fffff, v80, s6
	v_cndmask_b32_e64 v79, 0xff7fffff, v79, s7
	v_max3_f32 v81, v83, v82, v81
	v_mul_f32_e32 v91, s19, v120
	v_cndmask_b32_e64 v78, 0xff7fffff, v78, s8
	v_cndmask_b32_e64 v77, 0xff7fffff, v77, s9
	v_mul_f32_e32 v89, s19, v122
	v_max3_f32 v79, v81, v80, v79
	v_cndmask_b32_e64 v80, 0xff7fffff, v92, s10
	v_cndmask_b32_e64 v81, 0xff7fffff, v91, s11
	v_cmp_gt_i32_e64 s13, s18, v72
	v_or_b32_e32 v75, 28, v135
	v_max3_f32 v77, v79, v78, v77
	v_or_b32_e32 v76, 30, v135
	v_mul_f32_e32 v87, s19, v124
	v_cndmask_b32_e64 v71, 0xff7fffff, v90, s12
	v_cndmask_b32_e64 v72, 0xff7fffff, v89, s13
	v_max3_f32 v77, v77, v80, v81
	v_cmp_gt_i32_e64 s15, s18, v73
	v_cmp_gt_i32_e64 s16, s18, v74
	v_dual_mul_f32 v85, s19, v126 :: v_dual_mul_f32 v86, s19, v125
	s_delay_alu instid0(VALU_DEP_4) | instskip(NEXT) | instid1(VALU_DEP_4)
	v_max3_f32 v71, v77, v71, v72
	v_cndmask_b32_e64 v73, 0xff7fffff, v88, s15
	s_delay_alu instid0(VALU_DEP_4) | instskip(SKIP_2) | instid1(VALU_DEP_3)
	v_cndmask_b32_e64 v74, 0xff7fffff, v87, s16
	v_cmp_gt_i32_e64 s17, s18, v75
	v_cmp_gt_i32_e64 s18, s18, v76
	v_max3_f32 v71, v71, v73, v74
	s_delay_alu instid0(VALU_DEP_3) | instskip(NEXT) | instid1(VALU_DEP_3)
	v_cndmask_b32_e64 v72, 0xff7fffff, v86, s17
	v_cndmask_b32_e64 v75, 0xff7fffff, v85, s18
	v_lshlrev_b32_e32 v73, 2, v136
	s_delay_alu instid0(VALU_DEP_2) | instskip(SKIP_3) | instid1(VALU_DEP_1)
	v_max3_f32 v71, v71, v72, v75
	ds_bpermute_b32 v72, v73, v71
	s_waitcnt lgkmcnt(0)
	v_max_f32_e32 v72, v72, v72
	v_max_f32_e32 v71, v71, v72
	s_delay_alu instid0(VALU_DEP_1)
	v_fma_f32 v72, s19, v127, -v71
	v_fma_f32 v74, s19, v128, -v71
	;; [unrolled: 1-line block ×5, first 2 shown]
	v_mul_f32_e32 v72, 0x3fb8aa3b, v72
	v_mul_f32_e32 v74, 0x3fb8aa3b, v74
	v_fma_f32 v80, s19, v133, -v71
	s_delay_alu instid0(VALU_DEP_4) | instskip(NEXT) | instid1(VALU_DEP_4)
	v_dual_mul_f32 v76, 0x3fb8aa3b, v76 :: v_dual_mul_f32 v77, 0x3fb8aa3b, v77
	v_exp_f32_e32 v72, v72
	s_delay_alu instid0(VALU_DEP_3) | instskip(NEXT) | instid1(VALU_DEP_2)
	v_exp_f32_e32 v74, v74
	v_mul_f32_e32 v82, 0x3fb8aa3b, v80
	s_delay_alu instid0(VALU_DEP_2) | instskip(SKIP_1) | instid1(VALU_DEP_1)
	v_exp_f32_e32 v76, v76
	v_exp_f32_e32 v77, v77
	;; [unrolled: 1-line block ×3, first 2 shown]
	v_cndmask_b32_e32 v79, 0, v72, vcc_lo
	v_fma_f32 v72, s19, v132, -v71
	v_mul_f32_e32 v75, 0x3fb8aa3b, v75
	v_cndmask_b32_e64 v78, 0, v74, s3
	s_delay_alu instid0(TRANS32_DEP_3)
	v_cndmask_b32_e64 v80, 0, v76, s5
	v_add_f32_e32 v74, 0, v79
	v_mul_f32_e32 v72, 0x3fb8aa3b, v72
	v_exp_f32_e32 v75, v75
	v_cndmask_b32_e64 v83, 0, v77, s6
	v_cndmask_b32_e64 v85, 0, v84, s8
	v_add_f32_e32 v74, v74, v78
	v_exp_f32_e32 v72, v72
	v_cmp_gt_u32_e64 s3, 16, v70
	s_waitcnt_depctr 0xfff
	v_cndmask_b32_e64 v81, 0, v75, s4
	v_cndmask_b32_e64 v82, 0, v72, s7
	s_delay_alu instid0(VALU_DEP_2) | instskip(NEXT) | instid1(VALU_DEP_1)
	v_add_f32_e32 v74, v74, v81
	v_add_f32_e32 v74, v74, v80
	s_delay_alu instid0(VALU_DEP_1) | instskip(SKIP_4) | instid1(VALU_DEP_4)
	v_add_f32_e32 v72, v74, v83
	v_fma_f32 v75, s19, v134, -v71
	v_fma_f32 v76, s19, v119, -v71
	;; [unrolled: 1-line block ×4, first 2 shown]
	v_dual_add_f32 v72, v72, v82 :: v_dual_mul_f32 v75, 0x3fb8aa3b, v75
	s_delay_alu instid0(VALU_DEP_3) | instskip(SKIP_1) | instid1(VALU_DEP_3)
	v_dual_mul_f32 v76, 0x3fb8aa3b, v76 :: v_dual_mul_f32 v77, 0x3fb8aa3b, v77
	v_fma_f32 v86, s19, v122, -v71
	v_add_f32_e32 v72, v72, v85
	s_delay_alu instid0(VALU_DEP_4) | instskip(NEXT) | instid1(VALU_DEP_3)
	v_exp_f32_e32 v75, v75
	v_exp_f32_e32 v76, v76
	;; [unrolled: 1-line block ×3, first 2 shown]
	v_mul_f32_e32 v86, 0x3fb8aa3b, v86
	s_delay_alu instid0(VALU_DEP_1) | instskip(SKIP_3) | instid1(TRANS32_DEP_3)
	v_exp_f32_e32 v88, v86
	v_cndmask_b32_e64 v84, 0, v75, s9
	v_fma_f32 v75, s19, v123, -v71
	v_mul_f32_e32 v74, 0x3fb8aa3b, v74
	v_cndmask_b32_e64 v87, 0, v76, s10
	v_fma_f32 v76, s19, v124, -v71
	s_delay_alu instid0(VALU_DEP_4) | instskip(NEXT) | instid1(VALU_DEP_4)
	v_dual_add_f32 v72, v72, v84 :: v_dual_mul_f32 v75, 0x3fb8aa3b, v75
	v_exp_f32_e32 v74, v74
	v_cndmask_b32_e64 v86, 0, v77, s11
	v_fma_f32 v77, s19, v125, -v71
	s_delay_alu instid0(VALU_DEP_3) | instskip(SKIP_3) | instid1(VALU_DEP_3)
	v_add_f32_e32 v72, v72, v87
	v_mul_f32_e32 v76, 0x3fb8aa3b, v76
	v_exp_f32_e32 v75, v75
	v_cndmask_b32_e64 v88, 0, v88, s13
	v_add_f32_e32 v72, v72, v86
	s_delay_alu instid0(VALU_DEP_3) | instskip(NEXT) | instid1(TRANS32_DEP_3)
	v_exp_f32_e32 v76, v76
	v_cndmask_b32_e64 v89, 0, v74, s12
	v_mul_f32_e32 v74, 0x3fb8aa3b, v77
	v_fma_f32 v77, s19, v126, -v71
	s_delay_alu instid0(VALU_DEP_3) | instskip(NEXT) | instid1(VALU_DEP_3)
	v_add_f32_e32 v72, v72, v89
	v_exp_f32_e32 v74, v74
	s_delay_alu instid0(TRANS32_DEP_3) | instskip(NEXT) | instid1(VALU_DEP_3)
	v_cndmask_b32_e64 v91, 0, v75, s15
	v_mul_f32_e32 v75, 0x3fb8aa3b, v77
	s_delay_alu instid0(TRANS32_DEP_2) | instskip(SKIP_1) | instid1(VALU_DEP_3)
	v_cndmask_b32_e64 v90, 0, v76, s16
	v_add_f32_e32 v72, v72, v88
	v_exp_f32_e32 v75, v75
	s_delay_alu instid0(VALU_DEP_1) | instskip(NEXT) | instid1(TRANS32_DEP_2)
	v_add_f32_e32 v72, v72, v91
	v_cndmask_b32_e64 v93, 0, v74, s17
	s_delay_alu instid0(VALU_DEP_2) | instskip(SKIP_3) | instid1(VALU_DEP_1)
	v_add_f32_e32 v72, v72, v90
	s_waitcnt_depctr 0xfff
	v_cndmask_b32_e64 v92, 0, v75, s18
	v_add_f32_e32 v72, v72, v93
	v_add_f32_e32 v72, v72, v92
	ds_bpermute_b32 v73, v73, v72
	s_and_saveexec_b32 s4, s3
	s_cbranch_execz .LBB834_12
; %bb.11:
	v_mul_u32_u24_e32 v70, 0x44, v69
	s_waitcnt lgkmcnt(0)
	v_add_f32_e32 v72, v72, v73
	s_delay_alu instid0(VALU_DEP_2) | instskip(NEXT) | instid1(VALU_DEP_1)
	v_lshl_add_u32 v70, v68, 2, v70
	v_add_nc_u32_e32 v70, 0x4000, v70
	ds_store_2addr_b32 v70, v71, v72 offset1:136
.LBB834_12:
	s_or_b32 exec_lo, exec_lo, s4
	v_lshlrev_b32_e32 v70, 2, v68
	s_load_b32 s36, s[0:1], 0x94
	s_waitcnt lgkmcnt(0)
	s_barrier
	buffer_gl0_inv
	v_add_nc_u32_e32 v98, 0x4000, v70
	v_cmp_eq_u32_e32 vcc_lo, 1, v69
	v_cmp_eq_u32_e64 s4, 2, v69
	v_cmp_eq_u32_e64 s5, 3, v69
	;; [unrolled: 1-line block ×3, first 2 shown]
	ds_load_2addr_b32 v[70:71], v98 offset1:17
	ds_load_2addr_b32 v[72:73], v98 offset0:34 offset1:51
	ds_load_2addr_b32 v[74:75], v98 offset0:68 offset1:85
	;; [unrolled: 1-line block ×3, first 2 shown]
	v_cmp_eq_u32_e64 s7, 5, v69
	v_cmp_eq_u32_e64 s8, 7, v69
	s_waitcnt lgkmcnt(3)
	v_max3_f32 v76, v70, 0xff7fffff, v71
	s_waitcnt lgkmcnt(2)
	s_delay_alu instid0(VALU_DEP_1) | instskip(SKIP_1) | instid1(VALU_DEP_1)
	v_max3_f32 v76, v76, v72, v73
	s_waitcnt lgkmcnt(1)
	v_max3_f32 v76, v76, v74, v75
	s_waitcnt lgkmcnt(0)
	s_delay_alu instid0(VALU_DEP_1) | instskip(NEXT) | instid1(VALU_DEP_1)
	v_max3_f32 v76, v76, v94, v95
	v_sub_f32_e32 v77, v71, v76
	ds_load_2addr_b32 v[96:97], v98 offset0:136 offset1:153
	v_sub_f32_e32 v74, v74, v76
	v_sub_f32_e32 v70, v70, v76
	;; [unrolled: 1-line block ×3, first 2 shown]
	v_dual_sub_f32 v72, v72, v76 :: v_dual_mul_f32 v77, 0x3fb8aa3b, v77
	s_delay_alu instid0(VALU_DEP_4) | instskip(NEXT) | instid1(VALU_DEP_4)
	v_mul_f32_e32 v103, 0x3fb8aa3b, v74
	v_mul_f32_e32 v99, 0x3fb8aa3b, v70
	ds_load_2addr_b32 v[70:71], v98 offset0:170 offset1:187
	v_dual_mul_f32 v101, 0x3fb8aa3b, v72 :: v_dual_mul_f32 v94, 0x3fb8aa3b, v94
	v_exp_f32_e32 v102, v77
	v_exp_f32_e32 v99, v99
	s_delay_alu instid0(VALU_DEP_1) | instskip(NEXT) | instid1(VALU_DEP_1)
	v_exp_f32_e32 v101, v101
	v_exp_f32_e32 v94, v94
	s_waitcnt lgkmcnt(1)
	s_delay_alu instid0(TRANS32_DEP_3)
	v_fma_f32 v77, v99, v96, 0
	v_sub_f32_e32 v100, v73, v76
	ds_load_2addr_b32 v[72:73], v98 offset0:204 offset1:221
	v_fmac_f32_e32 v77, v102, v97
	v_exp_f32_e32 v97, v103
	s_waitcnt lgkmcnt(1)
	s_delay_alu instid0(VALU_DEP_1)
	v_dual_fmac_f32 v77, v101, v70 :: v_dual_sub_f32 v96, v75, v76
	ds_load_2addr_b32 v[74:75], v98 offset0:238 offset1:255
	v_sub_f32_e32 v70, v95, v76
	s_waitcnt lgkmcnt(0)
	s_barrier
	v_mul_f32_e32 v96, 0x3fb8aa3b, v96
	buffer_gl0_inv
	v_exp_f32_e32 v95, v96
	v_mul_f32_e32 v100, 0x3fb8aa3b, v100
	s_delay_alu instid0(VALU_DEP_1) | instskip(SKIP_3) | instid1(VALU_DEP_2)
	v_exp_f32_e32 v100, v100
	s_waitcnt_depctr 0xfff
	v_dual_fmac_f32 v77, v100, v71 :: v_dual_mul_f32 v70, 0x3fb8aa3b, v70
	v_cndmask_b32_e32 v71, v99, v102, vcc_lo
	v_fmac_f32_e32 v77, v97, v72
	s_delay_alu instid0(VALU_DEP_3) | instskip(NEXT) | instid1(VALU_DEP_1)
	v_exp_f32_e32 v96, v70
	v_fmac_f32_e32 v77, v95, v73
	s_delay_alu instid0(VALU_DEP_1) | instskip(SKIP_2) | instid1(VALU_DEP_1)
	v_fmac_f32_e32 v77, v94, v74
	s_waitcnt_depctr 0xfff
	v_fmac_f32_e32 v77, v96, v75
	v_add_f32_e32 v74, 0x358637bd, v77
	s_delay_alu instid0(VALU_DEP_1) | instskip(SKIP_1) | instid1(VALU_DEP_2)
	v_div_scale_f32 v98, null, v74, v74, 1.0
	v_div_scale_f32 v99, vcc_lo, 1.0, v74, 1.0
	v_rcp_f32_e32 v103, v98
	s_waitcnt_depctr 0xfff
	v_fma_f32 v70, -v98, v103, 1.0
	s_delay_alu instid0(VALU_DEP_1) | instskip(SKIP_2) | instid1(VALU_DEP_2)
	v_fmac_f32_e32 v103, v70, v103
	v_cndmask_b32_e64 v70, v71, v101, s4
	v_cmp_eq_u32_e64 s4, 6, v69
	v_cndmask_b32_e64 v71, v70, v100, s5
	s_delay_alu instid0(VALU_DEP_4) | instskip(NEXT) | instid1(VALU_DEP_2)
	v_dual_mul_f32 v101, v99, v103 :: v_dual_lshlrev_b32 v70, 2, v66
	v_cndmask_b32_e64 v71, v71, v97, s6
	s_delay_alu instid0(VALU_DEP_2) | instskip(NEXT) | instid1(VALU_DEP_3)
	v_or_b32_e32 v72, 1, v70
	v_fma_f32 v100, -v98, v101, v99
	v_cmp_eq_u32_e64 s5, 1, v70
	v_cmp_eq_u32_e64 s6, 2, v70
	v_cndmask_b32_e64 v95, v71, v95, s7
	v_or_b32_e32 v71, 3, v70
	v_fmac_f32_e32 v101, v100, v103
	v_cmp_eq_u32_e64 s10, 1, v72
	v_cmp_eq_u32_e64 s13, 2, v72
	v_cndmask_b32_e64 v94, v95, v94, s4
	v_cmp_eq_u32_e64 s12, 1, v71
	v_fma_f32 v97, -v98, v101, v99
	v_cmp_eq_u32_e64 s17, 2, v71
	v_cmp_eq_u32_e64 s15, 3, v72
	v_cndmask_b32_e64 v94, v94, v96, s8
	v_cmp_eq_u32_e64 s19, 3, v71
	v_div_fmas_f32 v95, v97, v103, v101
	v_cmp_eq_u32_e32 vcc_lo, 3, v70
	v_cmp_eq_u32_e64 s4, 4, v70
	v_cmp_eq_u32_e64 s20, 4, v72
	v_cmp_eq_u32_e64 s23, 4, v71
	v_div_fixup_f32 v95, v95, v74, 1.0
	v_lshlrev_b32_e32 v73, 6, v68
	v_cmp_eq_u32_e64 s7, 5, v70
	v_cmp_eq_u32_e64 s21, 5, v72
	;; [unrolled: 1-line block ×3, first 2 shown]
	v_mul_f32_e32 v102, v94, v95
	v_lshl_or_b32 v75, v69, 11, v73
	v_or_b32_e32 v69, 2, v70
	v_cmp_eq_u32_e64 s26, 6, v72
	v_cmp_eq_u32_e64 s28, 6, v71
	v_fma_mixlo_f16 v94, v102, v79, 0
	v_fma_mixlo_f16 v95, v102, v81, 0
	;; [unrolled: 1-line block ×8, first 2 shown]
	v_lshl_or_b32 v74, v66, 4, v75
	v_fma_mixhi_f16 v94, v102, v78, 0
	v_fma_mixhi_f16 v95, v102, v80, 0
	;; [unrolled: 1-line block ×8, first 2 shown]
	ds_store_b128 v74, v[94:97]
	ds_store_b128 v74, v[98:101] offset:1024
	s_waitcnt lgkmcnt(0)
	s_barrier
	buffer_gl0_inv
	ds_load_b128 v[78:81], v75
	ds_load_b128 v[82:85], v75 offset:16
	ds_load_b128 v[86:89], v75 offset:1024
	;; [unrolled: 1-line block ×3, first 2 shown]
	v_cmp_eq_u32_e64 s11, 1, v69
	v_cmp_eq_u32_e64 s16, 2, v69
	v_cmp_eq_u32_e64 s18, 3, v69
	v_cmp_eq_u32_e64 s22, 4, v69
	v_cmp_eq_u32_e64 s24, 5, v69
	v_cmp_eq_u32_e64 s8, 6, v70
	v_cmp_eq_u32_e64 s27, 6, v69
	v_cmp_eq_u32_e64 s30, 7, v71
	v_cmp_eq_u32_e64 s31, 7, v72
	v_cmp_eq_u32_e64 s9, 7, v70
	v_cmp_eq_u32_e64 s29, 7, v69
	s_waitcnt lgkmcnt(3)
	v_lshrrev_b32_e32 v94, 16, v78
	s_waitcnt lgkmcnt(2)
	v_lshrrev_b32_e32 v98, 16, v82
	;; [unrolled: 2-line block ×4, first 2 shown]
	v_lshrrev_b32_e32 v95, 16, v79
	v_cndmask_b32_e64 v110, v78, v94, s5
	v_cndmask_b32_e64 v111, v82, v98, s5
	;; [unrolled: 1-line block ×8, first 2 shown]
	v_lshrrev_b32_e32 v99, 16, v83
	v_cndmask_b32_e64 v94, v86, v102, s5
	v_cndmask_b32_e64 v98, v90, v106, s5
	;; [unrolled: 1-line block ×15, first 2 shown]
	v_lshrrev_b32_e32 v103, 16, v87
	v_lshrrev_b32_e32 v107, 16, v91
	v_cndmask_b32_e64 v113, v115, v83, s16
	v_cndmask_b32_e64 v82, v94, v87, s6
	;; [unrolled: 1-line block ×7, first 2 shown]
	v_cndmask_b32_e32 v90, v102, v95, vcc_lo
	v_cndmask_b32_e32 v102, v106, v99, vcc_lo
	v_cndmask_b32_e64 v106, v110, v95, s15
	v_cndmask_b32_e64 v110, v111, v99, s15
	;; [unrolled: 1-line block ×4, first 2 shown]
	v_lshrrev_b32_e32 v96, 16, v80
	v_lshrrev_b32_e32 v100, 16, v84
	v_cndmask_b32_e64 v111, v112, v95, s18
	v_cndmask_b32_e64 v112, v113, v99, s18
	v_cndmask_b32_e32 v82, v82, v103, vcc_lo
	v_cndmask_b32_e32 v83, v83, v107, vcc_lo
	v_cndmask_b32_e64 v94, v94, v103, s15
	v_cndmask_b32_e64 v90, v90, v80, s4
	v_cndmask_b32_e64 v95, v102, v84, s4
	v_cndmask_b32_e64 v99, v106, v80, s20
	v_cndmask_b32_e64 v102, v110, v84, s20
	v_cndmask_b32_e64 v78, v78, v80, s23
	v_cndmask_b32_e64 v79, v79, v84, s23
	v_lshrrev_b32_e32 v104, 16, v88
	v_cndmask_b32_e64 v106, v111, v80, s22
	v_cndmask_b32_e64 v110, v112, v84, s22
	;; [unrolled: 1-line block ×11, first 2 shown]
	v_lshrrev_b32_e32 v97, 16, v81
	v_lshrrev_b32_e32 v101, 16, v85
	v_cndmask_b32_e64 v99, v106, v96, s24
	v_cndmask_b32_e64 v102, v110, v100, s24
	;; [unrolled: 1-line block ×7, first 2 shown]
	v_lshrrev_b32_e32 v105, 16, v89
	v_cndmask_b32_e64 v80, v80, v104, s7
	v_cndmask_b32_e64 v84, v84, v81, s8
	;; [unrolled: 1-line block ×16, first 2 shown]
	v_perm_b32 v81, v79, v78, 0x5040100
	v_perm_b32 v79, v95, v85, 0x5040100
	v_cndmask_b32_e64 v78, v119, v91, s16
	v_cndmask_b32_e64 v85, v117, v91, s13
	;; [unrolled: 1-line block ×3, first 2 shown]
	v_perm_b32 v80, v94, v90, 0x5040100
	v_cndmask_b32_e64 v90, v98, v103, s18
	v_cndmask_b32_e64 v86, v86, v103, s19
	;; [unrolled: 1-line block ×5, first 2 shown]
	v_lshrrev_b32_e32 v108, 16, v92
	v_cndmask_b32_e64 v90, v90, v88, s22
	v_cndmask_b32_e64 v86, v86, v88, s23
	;; [unrolled: 1-line block ×11, first 2 shown]
	v_lshrrev_b32_e32 v109, 16, v93
	v_cndmask_b32_e64 v82, v82, v93, s8
	v_cndmask_b32_e64 v88, v88, v89, s27
	;; [unrolled: 1-line block ×12, first 2 shown]
	v_perm_b32 v78, v84, v83, 0x5040100
	v_perm_b32 v85, v87, v86, 0x5040100
	;; [unrolled: 1-line block ×5, first 2 shown]
	s_mul_i32 s9, s35, 5
	s_mov_b32 s4, exec_lo
	ds_store_b128 v74, v[78:81]
	ds_store_b128 v74, v[82:85] offset:1024
	v_cmpx_gt_u32_e32 5, v0
	s_cbranch_execz .LBB834_14
; %bb.13:
	s_mul_i32 s5, s9, s34
	s_load_b128 s[16:19], s[0:1], 0x58
	v_add3_u32 v68, s5, s33, v68
	s_delay_alu instid0(VALU_DEP_1) | instskip(NEXT) | instid1(VALU_DEP_1)
	v_mad_u64_u32 v[78:79], null, v68, s36, s[14:15]
	v_ashrrev_i32_e32 v79, 31, v78
	s_delay_alu instid0(VALU_DEP_1) | instskip(SKIP_1) | instid1(VALU_DEP_1)
	v_lshlrev_b64 v[78:79], 2, v[78:79]
	s_waitcnt lgkmcnt(0)
	v_add_co_u32 v80, vcc_lo, s18, v78
	s_delay_alu instid0(VALU_DEP_2)
	v_add_co_ci_u32_e32 v81, vcc_lo, s19, v79, vcc_lo
	v_add_co_u32 v78, vcc_lo, s16, v78
	v_add_co_ci_u32_e32 v79, vcc_lo, s17, v79, vcc_lo
	global_store_b32 v[80:81], v76, off
	global_store_b32 v[78:79], v77, off
.LBB834_14:
	s_or_b32 exec_lo, exec_lo, s4
	s_waitcnt lgkmcnt(0)
	s_waitcnt_vscnt null, 0x0
	s_barrier
	buffer_gl0_inv
	ds_load_b128 v[84:87], v73
	ds_load_b128 v[88:91], v73 offset:16
	ds_load_b128 v[96:99], v73 offset:2064
	ds_load_b128 v[92:95], v73 offset:2048
	ds_load_b128 v[104:107], v73 offset:4112
	ds_load_b128 v[100:103], v73 offset:4096
	v_cmp_eq_u32_e32 vcc_lo, 1, v70
	v_mov_b32_e32 v76, 0
	ds_load_b128 v[112:115], v73 offset:6160
	ds_load_b128 v[108:111], v73 offset:6144
	;; [unrolled: 1-line block ×4, first 2 shown]
	v_cmp_eq_u32_e64 s5, 1, v69
	v_cmp_eq_u32_e64 s4, 1, v72
	;; [unrolled: 1-line block ×3, first 2 shown]
	v_mov_b32_e32 v77, v76
	v_mov_b32_e32 v78, v76
	v_mov_b32_e32 v79, v76
	v_mov_b32_e32 v80, v76
	v_mov_b32_e32 v81, v76
	v_mov_b32_e32 v82, v76
	v_mov_b32_e32 v83, v76
	v_cmp_eq_u32_e64 s7, 3, v72
	v_cmp_eq_u32_e64 s8, 7, v72
	s_waitcnt lgkmcnt(8)
	s_delay_alu instid0(VALU_DEP_3)
	v_wmma_f32_16x16x16_f16 v[76:83], v[49:56], v[84:91], v[76:83]
	ds_load_b128 v[53:56], v73 offset:10256
	ds_load_b128 v[49:52], v73 offset:10240
	s_waitcnt lgkmcnt(8)
	v_wmma_f32_16x16x16_f16 v[76:83], v[41:48], v[92:99], v[76:83]
	ds_load_b128 v[45:48], v73 offset:12304
	ds_load_b128 v[41:44], v73 offset:12288
	s_waitcnt lgkmcnt(8)
	;; [unrolled: 4-line block ×3, first 2 shown]
	s_barrier
	buffer_gl0_inv
	v_wmma_f32_16x16x16_f16 v[76:83], v[1:8], v[108:115], v[76:83]
	s_delay_alu instid0(VALU_DEP_1) | instskip(NEXT) | instid1(VALU_DEP_1)
	v_wmma_f32_16x16x16_f16 v[76:83], v[9:16], v[116:123], v[76:83]
	v_wmma_f32_16x16x16_f16 v[76:83], v[17:24], v[49:56], v[76:83]
	s_delay_alu instid0(VALU_DEP_1) | instskip(NEXT) | instid1(VALU_DEP_1)
	v_wmma_f32_16x16x16_f16 v[76:83], v[25:32], v[41:48], v[76:83]
	v_wmma_f32_16x16x16_f16 v[76:83], v[57:64], v[33:40], v[76:83]
	s_delay_alu instid0(VALU_DEP_1) | instskip(NEXT) | instid1(VALU_DEP_2)
	v_cvt_f16_f32_e32 v1, v76
	v_cvt_f16_f32_e32 v2, v77
	s_delay_alu instid0(VALU_DEP_3) | instskip(NEXT) | instid1(VALU_DEP_4)
	v_cvt_f16_f32_e32 v3, v78
	v_cvt_f16_f32_e32 v4, v79
	;; [unrolled: 1-line block ×6, first 2 shown]
	v_pack_b32_f16 v1, v1, v2
	v_pack_b32_f16 v2, v3, v4
	;; [unrolled: 1-line block ×3, first 2 shown]
	s_delay_alu instid0(VALU_DEP_4)
	v_pack_b32_f16 v4, v7, v8
	ds_store_b128 v74, v[1:4]
	s_waitcnt lgkmcnt(0)
	s_barrier
	buffer_gl0_inv
	ds_load_b128 v[1:4], v75
	ds_load_b128 v[5:8], v75 offset:16
	s_waitcnt lgkmcnt(1)
	v_lshrrev_b32_e32 v9, 16, v1
	s_waitcnt lgkmcnt(0)
	v_lshrrev_b32_e32 v13, 16, v5
	v_lshrrev_b32_e32 v10, 16, v2
	;; [unrolled: 1-line block ×4, first 2 shown]
	v_cndmask_b32_e32 v17, v1, v9, vcc_lo
	v_cndmask_b32_e32 v18, v5, v13, vcc_lo
	v_cndmask_b32_e64 v21, v1, v9, s5
	v_cmp_eq_u32_e32 vcc_lo, 1, v71
	v_cndmask_b32_e64 v22, v5, v13, s5
	v_cmp_eq_u32_e64 s5, 2, v70
	v_cndmask_b32_e64 v19, v1, v9, s4
	v_cndmask_b32_e64 v20, v5, v13, s4
	v_cndmask_b32_e32 v1, v1, v9, vcc_lo
	v_cmp_eq_u32_e64 s4, 2, v71
	v_cndmask_b32_e32 v5, v5, v13, vcc_lo
	v_cndmask_b32_e64 v9, v17, v2, s5
	v_cmp_eq_u32_e32 vcc_lo, 3, v70
	v_cndmask_b32_e64 v13, v18, v6, s5
	v_cmp_eq_u32_e64 s5, 2, v69
	v_cndmask_b32_e64 v17, v19, v2, s6
	v_cndmask_b32_e64 v18, v20, v6, s6
	v_cmp_eq_u32_e64 s6, 3, v69
	v_cndmask_b32_e64 v1, v1, v2, s4
	v_cndmask_b32_e64 v19, v21, v2, s5
	;; [unrolled: 1-line block ×4, first 2 shown]
	v_cndmask_b32_e32 v5, v9, v10, vcc_lo
	v_cndmask_b32_e32 v6, v13, v14, vcc_lo
	v_cmp_eq_u32_e32 vcc_lo, 3, v71
	v_cndmask_b32_e64 v9, v17, v10, s7
	v_cndmask_b32_e64 v13, v18, v14, s7
	;; [unrolled: 1-line block ×3, first 2 shown]
	v_cmp_eq_u32_e64 s5, 4, v70
	v_cndmask_b32_e32 v1, v1, v10, vcc_lo
	v_cndmask_b32_e32 v2, v2, v14, vcc_lo
	v_cmp_eq_u32_e32 vcc_lo, 4, v72
	v_lshrrev_b32_e32 v15, 16, v7
	v_lshrrev_b32_e32 v16, 16, v8
	v_cndmask_b32_e64 v17, v19, v10, s6
	v_cmp_eq_u32_e64 s4, 4, v71
	v_cndmask_b32_e64 v5, v5, v3, s5
	v_cndmask_b32_e64 v6, v6, v7, s5
	v_cndmask_b32_e32 v9, v9, v3, vcc_lo
	v_cmp_eq_u32_e64 s5, 5, v72
	v_cndmask_b32_e32 v10, v13, v7, vcc_lo
	v_cmp_eq_u32_e32 vcc_lo, 4, v69
	v_cmp_eq_u32_e64 s6, 5, v70
	v_cndmask_b32_e64 v2, v2, v7, s4
	v_cndmask_b32_e64 v9, v9, v11, s5
	;; [unrolled: 1-line block ×3, first 2 shown]
	v_cndmask_b32_e32 v13, v17, v3, vcc_lo
	v_cmp_eq_u32_e64 s5, 5, v69
	v_cndmask_b32_e32 v14, v18, v7, vcc_lo
	v_cndmask_b32_e64 v1, v1, v3, s4
	v_cmp_eq_u32_e32 vcc_lo, 5, v71
	v_lshrrev_b32_e32 v12, 16, v4
	v_cndmask_b32_e64 v13, v13, v11, s5
	v_cndmask_b32_e64 v3, v14, v15, s5
	v_cmp_eq_u32_e64 s5, 6, v71
	v_cndmask_b32_e32 v1, v1, v11, vcc_lo
	v_cndmask_b32_e64 v5, v5, v11, s6
	v_cmp_eq_u32_e64 s7, 6, v70
	v_cndmask_b32_e64 v6, v6, v15, s6
	v_cmp_eq_u32_e64 s6, 6, v72
	v_cmp_eq_u32_e64 s4, 6, v69
	v_cndmask_b32_e64 v1, v1, v4, s5
	v_cndmask_b32_e32 v2, v2, v15, vcc_lo
	v_cmp_eq_u32_e32 vcc_lo, 7, v71
	v_cndmask_b32_e64 v5, v5, v4, s7
	v_cndmask_b32_e64 v9, v9, v4, s6
	;; [unrolled: 1-line block ×3, first 2 shown]
	v_cmp_eq_u32_e64 s7, 7, v70
	v_cndmask_b32_e32 v1, v1, v12, vcc_lo
	v_cndmask_b32_e64 v7, v13, v4, s4
	v_cndmask_b32_e64 v3, v3, v8, s4
	;; [unrolled: 1-line block ×3, first 2 shown]
	v_cmp_eq_u32_e64 s4, 7, v69
	v_cndmask_b32_e64 v4, v10, v8, s6
	v_cndmask_b32_e64 v5, v5, v12, s7
	;; [unrolled: 1-line block ×3, first 2 shown]
	v_cndmask_b32_e32 v2, v2, v16, vcc_lo
	v_cndmask_b32_e64 v7, v7, v12, s4
	v_cndmask_b32_e64 v3, v3, v16, s4
	;; [unrolled: 1-line block ×4, first 2 shown]
	v_cmp_gt_u32_e32 vcc_lo, 32, v0
	v_perm_b32 v4, v2, v1, 0x5040100
	v_perm_b32 v3, v3, v7, 0x5040100
	;; [unrolled: 1-line block ×4, first 2 shown]
	s_and_b32 s2, vcc_lo, s2
	ds_store_b128 v74, v[1:4]
	s_waitcnt lgkmcnt(0)
	s_barrier
	buffer_gl0_inv
	s_and_saveexec_b32 s4, s2
	s_cbranch_execz .LBB834_2
; %bb.15:
	s_load_b64 s[4:5], s[0:1], 0x68
	v_lshlrev_b32_e32 v0, 10, v0
	v_add_nc_u32_e32 v2, s33, v66
	v_lshlrev_b32_e32 v3, 4, v67
	s_lshl_b32 s0, s36, 6
	s_delay_alu instid0(SALU_CYCLE_1) | instskip(NEXT) | instid1(VALU_DEP_2)
	s_mul_i32 s1, s0, s34
	v_mul_lo_u32 v1, v2, s0
	s_delay_alu instid0(VALU_DEP_2) | instskip(SKIP_2) | instid1(SALU_CYCLE_1)
	v_and_or_b32 v0, 0x3800, v0, v3
	v_add_nc_u32_e32 v2, 2, v2
	s_mul_i32 s6, s1, s9
	s_ashr_i32 s7, s6, 31
	s_delay_alu instid0(VALU_DEP_2)
	v_lshl_or_b32 v7, v66, 6, v0
	s_lshl_b64 s[6:7], s[6:7], 1
	v_mul_lo_u32 v11, v2, s0
	v_ashrrev_i32_e32 v2, 31, v1
	ds_load_b128 v[3:6], v7
	ds_load_b128 v[7:10], v7 offset:128
	s_waitcnt lgkmcnt(0)
	s_add_u32 s1, s4, s6
	s_addc_u32 s2, s5, s7
	s_lshl_b32 s4, s14, 6
	v_ashrrev_i32_e32 v12, 31, v11
	s_ashr_i32 s5, s4, 31
	v_lshlrev_b64 v[13:14], 1, v[1:2]
	s_lshl_b64 s[4:5], s[4:5], 1
	s_delay_alu instid0(SALU_CYCLE_1) | instskip(SKIP_2) | instid1(VALU_DEP_1)
	s_add_u32 s1, s1, s4
	s_addc_u32 s2, s2, s5
	v_add_co_u32 v1, s1, s1, v65
	v_add_co_ci_u32_e64 v2, null, s2, 0, s1
	v_lshlrev_b64 v[11:12], 1, v[11:12]
	s_delay_alu instid0(VALU_DEP_3) | instskip(NEXT) | instid1(VALU_DEP_3)
	v_add_co_u32 v13, vcc_lo, v1, v13
	v_add_co_ci_u32_e32 v14, vcc_lo, v2, v14, vcc_lo
	s_delay_alu instid0(VALU_DEP_3) | instskip(NEXT) | instid1(VALU_DEP_4)
	v_add_co_u32 v11, vcc_lo, v1, v11
	v_add_co_ci_u32_e32 v12, vcc_lo, v2, v12, vcc_lo
	s_clause 0x1
	global_store_b128 v[13:14], v[3:6], off
	global_store_b128 v[11:12], v[7:10], off
	s_and_b32 exec_lo, exec_lo, s3
	s_cbranch_execz .LBB834_2
; %bb.16:
	ds_load_b128 v[3:6], v0 offset:256
	s_add_i32 s1, s33, 4
	s_delay_alu instid0(SALU_CYCLE_1) | instskip(NEXT) | instid1(SALU_CYCLE_1)
	s_mul_i32 s0, s1, s0
	s_ashr_i32 s1, s0, 31
	s_delay_alu instid0(SALU_CYCLE_1) | instskip(NEXT) | instid1(SALU_CYCLE_1)
	s_lshl_b64 s[0:1], s[0:1], 1
	v_add_co_u32 v0, vcc_lo, v1, s0
	v_add_co_ci_u32_e32 v1, vcc_lo, s1, v2, vcc_lo
	s_waitcnt lgkmcnt(0)
	global_store_b128 v[0:1], v[3:6], off
	s_nop 0
	s_sendmsg sendmsg(MSG_DEALLOC_VGPRS)
	s_endpgm
	.section	.rodata,"a",@progbits
	.p2align	6, 0x0
	.amdhsa_kernel _Z39paged_attention_ll4mi_QKV_mfma16_kernelIDF16_hLN4vllm18Fp8KVCacheDataTypeE1EDF16_Li16ELi64ELi256ELb0ELi5EL8MFMAType1EEvPKT_PKT0_S8_ifPKiSA_SA_iPKfiiiPfSD_PS3_PT2_iSC_SC_
		.amdhsa_group_segment_fixed_size 17472
		.amdhsa_private_segment_fixed_size 0
		.amdhsa_kernarg_size 400
		.amdhsa_user_sgpr_count 13
		.amdhsa_user_sgpr_dispatch_ptr 0
		.amdhsa_user_sgpr_queue_ptr 0
		.amdhsa_user_sgpr_kernarg_segment_ptr 1
		.amdhsa_user_sgpr_dispatch_id 0
		.amdhsa_user_sgpr_private_segment_size 0
		.amdhsa_wavefront_size32 1
		.amdhsa_uses_dynamic_stack 0
		.amdhsa_enable_private_segment 0
		.amdhsa_system_sgpr_workgroup_id_x 1
		.amdhsa_system_sgpr_workgroup_id_y 1
		.amdhsa_system_sgpr_workgroup_id_z 1
		.amdhsa_system_sgpr_workgroup_info 0
		.amdhsa_system_vgpr_workitem_id 0
		.amdhsa_next_free_vgpr 146
		.amdhsa_next_free_sgpr 37
		.amdhsa_reserve_vcc 1
		.amdhsa_float_round_mode_32 0
		.amdhsa_float_round_mode_16_64 0
		.amdhsa_float_denorm_mode_32 3
		.amdhsa_float_denorm_mode_16_64 3
		.amdhsa_dx10_clamp 1
		.amdhsa_ieee_mode 1
		.amdhsa_fp16_overflow 0
		.amdhsa_workgroup_processor_mode 1
		.amdhsa_memory_ordered 1
		.amdhsa_forward_progress 0
		.amdhsa_shared_vgpr_count 0
		.amdhsa_exception_fp_ieee_invalid_op 0
		.amdhsa_exception_fp_denorm_src 0
		.amdhsa_exception_fp_ieee_div_zero 0
		.amdhsa_exception_fp_ieee_overflow 0
		.amdhsa_exception_fp_ieee_underflow 0
		.amdhsa_exception_fp_ieee_inexact 0
		.amdhsa_exception_int_div_zero 0
	.end_amdhsa_kernel
	.section	.text._Z39paged_attention_ll4mi_QKV_mfma16_kernelIDF16_hLN4vllm18Fp8KVCacheDataTypeE1EDF16_Li16ELi64ELi256ELb0ELi5EL8MFMAType1EEvPKT_PKT0_S8_ifPKiSA_SA_iPKfiiiPfSD_PS3_PT2_iSC_SC_,"axG",@progbits,_Z39paged_attention_ll4mi_QKV_mfma16_kernelIDF16_hLN4vllm18Fp8KVCacheDataTypeE1EDF16_Li16ELi64ELi256ELb0ELi5EL8MFMAType1EEvPKT_PKT0_S8_ifPKiSA_SA_iPKfiiiPfSD_PS3_PT2_iSC_SC_,comdat
.Lfunc_end834:
	.size	_Z39paged_attention_ll4mi_QKV_mfma16_kernelIDF16_hLN4vllm18Fp8KVCacheDataTypeE1EDF16_Li16ELi64ELi256ELb0ELi5EL8MFMAType1EEvPKT_PKT0_S8_ifPKiSA_SA_iPKfiiiPfSD_PS3_PT2_iSC_SC_, .Lfunc_end834-_Z39paged_attention_ll4mi_QKV_mfma16_kernelIDF16_hLN4vllm18Fp8KVCacheDataTypeE1EDF16_Li16ELi64ELi256ELb0ELi5EL8MFMAType1EEvPKT_PKT0_S8_ifPKiSA_SA_iPKfiiiPfSD_PS3_PT2_iSC_SC_
                                        ; -- End function
	.section	.AMDGPU.csdata,"",@progbits
; Kernel info:
; codeLenInByte = 6484
; NumSgprs: 39
; NumVgprs: 146
; ScratchSize: 0
; MemoryBound: 0
; FloatMode: 240
; IeeeMode: 1
; LDSByteSize: 17472 bytes/workgroup (compile time only)
; SGPRBlocks: 4
; VGPRBlocks: 18
; NumSGPRsForWavesPerEU: 39
; NumVGPRsForWavesPerEU: 146
; Occupancy: 9
; WaveLimiterHint : 1
; COMPUTE_PGM_RSRC2:SCRATCH_EN: 0
; COMPUTE_PGM_RSRC2:USER_SGPR: 13
; COMPUTE_PGM_RSRC2:TRAP_HANDLER: 0
; COMPUTE_PGM_RSRC2:TGID_X_EN: 1
; COMPUTE_PGM_RSRC2:TGID_Y_EN: 1
; COMPUTE_PGM_RSRC2:TGID_Z_EN: 1
; COMPUTE_PGM_RSRC2:TIDIG_COMP_CNT: 0
	.section	.text._Z39paged_attention_ll4mi_QKV_mfma16_kernelIDF16_hLN4vllm18Fp8KVCacheDataTypeE1EDF16_Li16ELi64ELi256ELb0ELi6EL8MFMAType1EEvPKT_PKT0_S8_ifPKiSA_SA_iPKfiiiPfSD_PS3_PT2_iSC_SC_,"axG",@progbits,_Z39paged_attention_ll4mi_QKV_mfma16_kernelIDF16_hLN4vllm18Fp8KVCacheDataTypeE1EDF16_Li16ELi64ELi256ELb0ELi6EL8MFMAType1EEvPKT_PKT0_S8_ifPKiSA_SA_iPKfiiiPfSD_PS3_PT2_iSC_SC_,comdat
	.protected	_Z39paged_attention_ll4mi_QKV_mfma16_kernelIDF16_hLN4vllm18Fp8KVCacheDataTypeE1EDF16_Li16ELi64ELi256ELb0ELi6EL8MFMAType1EEvPKT_PKT0_S8_ifPKiSA_SA_iPKfiiiPfSD_PS3_PT2_iSC_SC_ ; -- Begin function _Z39paged_attention_ll4mi_QKV_mfma16_kernelIDF16_hLN4vllm18Fp8KVCacheDataTypeE1EDF16_Li16ELi64ELi256ELb0ELi6EL8MFMAType1EEvPKT_PKT0_S8_ifPKiSA_SA_iPKfiiiPfSD_PS3_PT2_iSC_SC_
	.globl	_Z39paged_attention_ll4mi_QKV_mfma16_kernelIDF16_hLN4vllm18Fp8KVCacheDataTypeE1EDF16_Li16ELi64ELi256ELb0ELi6EL8MFMAType1EEvPKT_PKT0_S8_ifPKiSA_SA_iPKfiiiPfSD_PS3_PT2_iSC_SC_
	.p2align	8
	.type	_Z39paged_attention_ll4mi_QKV_mfma16_kernelIDF16_hLN4vllm18Fp8KVCacheDataTypeE1EDF16_Li16ELi64ELi256ELb0ELi6EL8MFMAType1EEvPKT_PKT0_S8_ifPKiSA_SA_iPKfiiiPfSD_PS3_PT2_iSC_SC_,@function
_Z39paged_attention_ll4mi_QKV_mfma16_kernelIDF16_hLN4vllm18Fp8KVCacheDataTypeE1EDF16_Li16ELi64ELi256ELb0ELi6EL8MFMAType1EEvPKT_PKT0_S8_ifPKiSA_SA_iPKfiiiPfSD_PS3_PT2_iSC_SC_: ; @_Z39paged_attention_ll4mi_QKV_mfma16_kernelIDF16_hLN4vllm18Fp8KVCacheDataTypeE1EDF16_Li16ELi64ELi256ELb0ELi6EL8MFMAType1EEvPKT_PKT0_S8_ifPKiSA_SA_iPKfiiiPfSD_PS3_PT2_iSC_SC_
; %bb.0:
	s_load_b64 s[2:3], s[0:1], 0x30
	s_mov_b32 s34, s13
	s_waitcnt lgkmcnt(0)
	s_cmp_lg_u64 s[2:3], 0
	s_cselect_b32 s6, -1, 0
	s_ashr_i32 s35, s13, 31
	s_cmp_eq_u64 s[2:3], 0
	s_cbranch_scc1 .LBB835_3
; %bb.1:
	s_lshl_b64 s[4:5], s[34:35], 2
	s_delay_alu instid0(SALU_CYCLE_1) | instskip(SKIP_4) | instid1(SALU_CYCLE_1)
	s_add_u32 s4, s2, s4
	s_addc_u32 s5, s3, s5
	s_load_b64 s[4:5], s[4:5], 0x0
	s_waitcnt lgkmcnt(0)
	s_sub_i32 s4, s5, s4
	s_cmp_eq_u32 s4, 1
	s_cselect_b32 s4, -1, 0
	s_delay_alu instid0(SALU_CYCLE_1)
	s_and_not1_b32 vcc_lo, exec_lo, s4
	s_cbranch_vccz .LBB835_4
.LBB835_2:
	s_endpgm
.LBB835_3:
.LBB835_4:
	s_load_b64 s[8:9], s[0:1], 0x28
	s_lshl_b64 s[4:5], s[34:35], 2
	s_waitcnt lgkmcnt(0)
	s_add_u32 s8, s8, s4
	s_addc_u32 s9, s9, s5
	s_lshl_b32 s16, s14, 8
	s_load_b32 s18, s[8:9], 0x0
	s_waitcnt lgkmcnt(0)
	s_cmp_ge_i32 s16, s18
	s_cbranch_scc1 .LBB835_2
; %bb.5:
	s_clause 0x1
	s_load_b128 s[8:11], s[0:1], 0x8
	s_load_b64 s[12:13], s[0:1], 0x20
	s_and_not1_b32 vcc_lo, exec_lo, s6
	s_cbranch_vccnz .LBB835_7
; %bb.6:
	s_add_u32 s2, s2, s4
	s_addc_u32 s3, s3, s5
	s_load_b32 s3, s[2:3], 0x0
	s_branch .LBB835_8
.LBB835_7:
	s_mov_b32 s3, s34
.LBB835_8:
	s_load_b128 s[4:7], s[0:1], 0x48
	v_and_b32_e32 v68, 15, v0
	v_cmp_gt_u32_e32 vcc_lo, 0x60, v0
	v_lshrrev_b32_e32 v69, 5, v0
	v_and_b32_e32 v70, 31, v0
	v_and_b32_e32 v67, 1, v0
	v_lshlrev_b32_e32 v1, 3, v68
	v_cmp_gt_u32_e64 s2, 8, v68
	v_bfe_u32 v66, v0, 4, 1
	s_mul_i32 s31, s15, 6
	s_delay_alu instid0(VALU_DEP_3) | instskip(NEXT) | instid1(VALU_DEP_3)
	v_lshlrev_b32_e32 v65, 1, v1
	s_and_b32 s17, vcc_lo, s2
	s_waitcnt lgkmcnt(0)
	s_and_saveexec_b32 s7, s17
	s_cbranch_execz .LBB835_10
; %bb.9:
	s_load_b64 s[20:21], s[0:1], 0x0
	v_lshl_or_b32 v5, v69, 1, v66
	s_mul_hi_i32 s23, s3, s4
	s_mul_i32 s22, s3, s4
	v_lshlrev_b32_e32 v6, 10, v68
	s_lshl_b64 s[22:23], s[22:23], 1
	v_add_lshl_u32 v1, v5, s31, 6
	v_lshlrev_b32_e32 v5, 6, v5
	v_lshlrev_b32_e32 v7, 10, v67
	v_and_b32_e32 v6, 0x3800, v6
	s_delay_alu instid0(VALU_DEP_4) | instskip(NEXT) | instid1(VALU_DEP_2)
	v_ashrrev_i32_e32 v2, 31, v1
	v_or3_b32 v5, v6, v7, v5
	s_delay_alu instid0(VALU_DEP_2) | instskip(SKIP_3) | instid1(VALU_DEP_1)
	v_lshlrev_b64 v[1:2], 1, v[1:2]
	s_waitcnt lgkmcnt(0)
	s_add_u32 s3, s20, s22
	s_addc_u32 s4, s21, s23
	v_add_co_u32 v1, vcc_lo, s3, v1
	s_delay_alu instid0(VALU_DEP_2) | instskip(NEXT) | instid1(VALU_DEP_2)
	v_add_co_ci_u32_e32 v2, vcc_lo, s4, v2, vcc_lo
	v_add_co_u32 v1, vcc_lo, v1, v65
	s_delay_alu instid0(VALU_DEP_2)
	v_add_co_ci_u32_e32 v2, vcc_lo, 0, v2, vcc_lo
	global_load_b128 v[1:4], v[1:2], off
	s_waitcnt vmcnt(0)
	ds_store_b128 v5, v[1:4]
.LBB835_10:
	s_or_b32 exec_lo, exec_lo, s7
	v_and_b32_e32 v1, 0xef, v0
	s_add_i32 s3, s18, 15
	s_clause 0x1
	s_load_b32 s4, s[0:1], 0x38
	s_load_b32 s33, s[0:1], 0x98
	s_ashr_i32 s7, s3, 31
	v_add_nc_u32_e32 v1, s16, v1
	s_lshr_b32 s7, s7, 28
	s_load_b32 s19, s[0:1], 0x1c
	s_add_i32 s3, s3, s7
	s_waitcnt lgkmcnt(0)
	v_ashrrev_i32_e32 v2, 31, v1
	v_or_b32_e32 v3, 16, v1
	s_ashr_i32 s3, s3, 4
	v_cmp_gt_i32_e32 vcc_lo, s18, v1
	s_add_i32 s3, s3, -1
	v_lshrrev_b32_e32 v2, 28, v2
	s_barrier
	buffer_gl0_inv
	s_mul_i32 s15, s15, s6
	v_mul_lo_u16 v103, v68, 43
	v_add_nc_u32_e32 v4, v1, v2
	v_mbcnt_lo_u32_b32 v127, -1, 0
	s_mul_i32 s20, s34, s4
	s_delay_alu instid0(SALU_CYCLE_1) | instskip(NEXT) | instid1(VALU_DEP_2)
	s_ashr_i32 s21, s20, 31
	v_ashrrev_i32_e32 v4, 4, v4
	v_add_nc_u32_e32 v2, v3, v2
	s_lshl_b64 s[20:21], s[20:21], 2
	v_lshrrev_b16 v103, 8, v103
	s_add_u32 s17, s12, s20
	v_cndmask_b32_e32 v1, s3, v4, vcc_lo
	v_ashrrev_i32_e32 v2, 4, v2
	v_cmp_gt_i32_e32 vcc_lo, s18, v3
	s_addc_u32 s13, s13, s21
	s_ashr_i32 s20, s15, 31
	s_add_u32 s4, s8, s15
	s_addc_u32 s12, s9, s20
	v_cndmask_b32_e32 v3, s3, v2, vcc_lo
	v_ashrrev_i32_e32 v2, 31, v1
	s_lshl_b32 s6, s14, 4
	v_mul_lo_u16 v103, v103, 6
	s_ashr_i32 s7, s6, 31
	v_ashrrev_i32_e32 v4, 31, v3
	v_lshlrev_b64 v[1:2], 2, v[1:2]
	s_lshl_b64 s[6:7], s[6:7], 2
	v_sub_nc_u16 v103, v68, v103
	s_add_u32 s6, s17, s6
	v_lshlrev_b64 v[3:4], 2, v[3:4]
	s_addc_u32 s7, s13, s7
	v_add_co_u32 v1, vcc_lo, s17, v1
	v_add_co_ci_u32_e32 v2, vcc_lo, s13, v2, vcc_lo
	s_delay_alu instid0(VALU_DEP_3) | instskip(NEXT) | instid1(VALU_DEP_4)
	v_add_co_u32 v3, vcc_lo, s17, v3
	v_add_co_ci_u32_e32 v4, vcc_lo, s13, v4, vcc_lo
	s_clause 0x1
	global_load_b32 v5, v[1:2], off
	global_load_b32 v7, v[3:4], off
	s_or_b32 s8, s16, 32
	v_lshlrev_b32_e32 v1, 4, v0
	s_ashr_i32 s9, s8, 4
	s_cmp_lt_i32 s8, s18
	v_xor_b32_e32 v128, 16, v127
	s_cselect_b32 s8, s9, s3
	v_and_b32_e32 v1, 0xf0, v1
	s_ashr_i32 s9, s8, 31
	s_delay_alu instid0(SALU_CYCLE_1)
	s_lshl_b64 s[8:9], s[8:9], 2
	v_cmp_gt_i32_e32 vcc_lo, 32, v128
	s_add_u32 s8, s17, s8
	s_addc_u32 s9, s13, s9
	s_or_b32 s21, s16, 64
	v_add_co_u32 v1, s4, s4, v1
	s_ashr_i32 s22, s21, 4
	s_cmp_lt_i32 s21, s18
	v_add_co_ci_u32_e64 v2, null, s12, 0, s4
	s_cselect_b32 s22, s22, s3
	v_dual_cndmask_b32 v136, v127, v128 :: v_dual_and_b32 v103, 0xff, v103
	s_ashr_i32 s23, s22, 31
	s_delay_alu instid0(SALU_CYCLE_1) | instskip(NEXT) | instid1(VALU_DEP_1)
	s_lshl_b64 s[22:23], s[22:23], 2
	v_lshlrev_b32_e32 v115, 6, v103
	s_add_u32 s22, s17, s22
	s_addc_u32 s23, s13, s23
	s_or_b32 s21, s16, 0x60
	s_delay_alu instid0(SALU_CYCLE_1) | instskip(SKIP_2) | instid1(SALU_CYCLE_1)
	s_ashr_i32 s24, s21, 4
	s_cmp_lt_i32 s21, s18
	s_cselect_b32 s24, s24, s3
	s_ashr_i32 s25, s24, 31
	s_delay_alu instid0(SALU_CYCLE_1) | instskip(NEXT) | instid1(SALU_CYCLE_1)
	s_lshl_b64 s[24:25], s[24:25], 2
	s_add_u32 s24, s17, s24
	s_addc_u32 s25, s13, s25
	s_or_b32 s21, s16, 0x80
	s_delay_alu instid0(SALU_CYCLE_1) | instskip(SKIP_2) | instid1(SALU_CYCLE_1)
	s_ashr_i32 s26, s21, 4
	s_cmp_lt_i32 s21, s18
	s_cselect_b32 s26, s26, s3
	s_ashr_i32 s27, s26, 31
	s_delay_alu instid0(SALU_CYCLE_1) | instskip(NEXT) | instid1(SALU_CYCLE_1)
	s_lshl_b64 s[26:27], s[26:27], 2
	;; [unrolled: 10-line block ×3, first 2 shown]
	s_add_u32 s28, s17, s28
	s_addc_u32 s29, s13, s29
	s_clause 0x5
	s_load_b32 s12, s[6:7], 0x0
	s_load_b32 s4, s[8:9], 0x0
	;; [unrolled: 1-line block ×6, first 2 shown]
	s_or_b32 s21, s16, 0xc0
	s_delay_alu instid0(SALU_CYCLE_1) | instskip(SKIP_2) | instid1(SALU_CYCLE_1)
	s_ashr_i32 s22, s21, 4
	s_cmp_lt_i32 s21, s18
	s_cselect_b32 s22, s22, s3
	s_ashr_i32 s23, s22, 31
	s_delay_alu instid0(SALU_CYCLE_1) | instskip(NEXT) | instid1(SALU_CYCLE_1)
	s_lshl_b64 s[22:23], s[22:23], 2
	s_add_u32 s22, s17, s22
	s_addc_u32 s23, s13, s23
	s_or_b32 s21, s16, 0xe0
	s_delay_alu instid0(SALU_CYCLE_1) | instskip(SKIP_2) | instid1(SALU_CYCLE_1)
	s_ashr_i32 s24, s21, 4
	s_cmp_lt_i32 s21, s18
	s_cselect_b32 s24, s24, s3
	s_ashr_i32 s25, s24, 31
	s_delay_alu instid0(SALU_CYCLE_1)
	s_lshl_b64 s[24:25], s[24:25], 2
	s_waitcnt vmcnt(1)
	v_mad_i64_i32 v[3:4], null, v5, s5, v[1:2]
	s_waitcnt vmcnt(0)
	v_mad_i64_i32 v[5:6], null, v7, s5, v[1:2]
	v_lshlrev_b32_e32 v1, 4, v68
	s_clause 0x7
	global_load_b128 v[71:74], v[3:4], off
	global_load_b128 v[75:78], v[3:4], off offset:256
	global_load_b128 v[79:82], v[5:6], off
	global_load_b128 v[83:86], v[5:6], off offset:256
	global_load_b128 v[87:90], v[3:4], off offset:512
	;; [unrolled: 1-line block ×5, first 2 shown]
	v_lshl_or_b32 v1, v69, 8, v1
	s_load_b32 s3, s[22:23], 0x0
	s_add_u32 s22, s17, s24
	s_addc_u32 s23, s13, s25
	s_add_u32 s10, s10, s15
	s_addc_u32 s11, s11, s20
	v_add_co_u32 v1, s10, s10, v1
	s_delay_alu instid0(VALU_DEP_1) | instskip(SKIP_2) | instid1(VALU_DEP_1)
	v_add_co_ci_u32_e64 v2, null, s11, 0, s10
	s_load_b32 s10, s[22:23], 0x0
	s_waitcnt lgkmcnt(0)
	v_mad_i64_i32 v[3:4], null, s12, s5, v[1:2]
	v_mad_i64_i32 v[9:10], null, s7, s5, v[1:2]
	;; [unrolled: 1-line block ×7, first 2 shown]
	s_clause 0x5
	global_load_b128 v[49:52], v[3:4], off
	global_load_b128 v[53:56], v[3:4], off offset:16
	global_load_b128 v[41:44], v[5:6], off
	global_load_b128 v[45:48], v[5:6], off offset:16
	global_load_b128 v[33:36], v[7:8], off
	global_load_b128 v[37:40], v[7:8], off offset:16
	s_mov_b32 s4, 0
	v_mad_i64_i32 v[61:62], null, s10, s5, v[1:2]
	s_clause 0x9
	global_load_b128 v[1:4], v[9:10], off
	global_load_b128 v[5:8], v[9:10], off offset:16
	global_load_b128 v[9:12], v[13:14], off
	global_load_b128 v[13:16], v[13:14], off offset:16
	;; [unrolled: 2-line block ×5, first 2 shown]
	s_mov_b32 s5, s4
	s_mov_b32 s6, s4
	;; [unrolled: 1-line block ×7, first 2 shown]
	v_and_b32_e32 v104, 0xe0, v0
	v_dual_mov_b32 v126, s11 :: v_dual_mov_b32 v123, s8
	v_dual_mov_b32 v125, s10 :: v_dual_mov_b32 v124, s9
	s_delay_alu instid0(VALU_DEP_3)
	v_add_nc_u32_e32 v111, s16, v104
	ds_load_b128 v[103:106], v115
	ds_load_b128 v[107:110], v115 offset:1024
	v_dual_mov_b32 v122, s7 :: v_dual_mov_b32 v121, s6
	v_mov_b32_e32 v120, s5
	v_or_b32_e32 v135, v111, v66
	ds_load_b128 v[111:114], v115 offset:2048
	ds_load_b128 v[115:118], v115 offset:3072
	v_mov_b32_e32 v119, s4
	s_waitcnt vmcnt(0) lgkmcnt(0)
	s_barrier
	v_or_b32_e32 v137, 2, v135
	v_or_b32_e32 v138, 4, v135
	;; [unrolled: 1-line block ×3, first 2 shown]
	v_cmp_gt_i32_e32 vcc_lo, s18, v135
	v_or_b32_e32 v140, 8, v135
	v_cmp_gt_i32_e64 s3, s18, v137
	v_or_b32_e32 v141, 10, v135
	v_cmp_gt_i32_e64 s4, s18, v138
	v_cmp_gt_i32_e64 s5, s18, v139
	v_or_b32_e32 v142, 12, v135
	v_or_b32_e32 v143, 14, v135
	v_cmp_gt_i32_e64 s6, s18, v140
	v_cmp_gt_i32_e64 s7, s18, v141
	v_or_b32_e32 v144, 16, v135
	v_or_b32_e32 v145, 18, v135
	v_cmp_gt_i32_e64 s8, s18, v142
	v_cmp_gt_i32_e64 s9, s18, v143
	buffer_gl0_inv
	v_cmp_gt_i32_e64 s10, s18, v144
	v_cmp_gt_i32_e64 s11, s18, v145
	v_wmma_f32_16x16x16_f16 v[127:134], v[71:78], v[103:110], v[119:126]
	v_wmma_f32_16x16x16_f16 v[119:126], v[79:86], v[103:110], v[119:126]
	v_or_b32_e32 v71, 20, v135
	v_or_b32_e32 v72, 22, v135
	s_delay_alu instid0(VALU_DEP_4)
	v_wmma_f32_16x16x16_f16 v[127:134], v[87:94], v[111:118], v[127:134]
	v_or_b32_e32 v73, 24, v135
	v_wmma_f32_16x16x16_f16 v[119:126], v[95:102], v[111:118], v[119:126]
	v_or_b32_e32 v74, 26, v135
	v_cmp_gt_i32_e64 s12, s18, v71
	v_dual_mul_f32 v83, s19, v128 :: v_dual_mul_f32 v84, s19, v127
	s_delay_alu instid0(VALU_DEP_4) | instskip(SKIP_1) | instid1(VALU_DEP_3)
	v_dual_mul_f32 v81, s19, v130 :: v_dual_mul_f32 v92, s19, v119
	v_mul_f32_e32 v82, s19, v129
	v_cndmask_b32_e64 v83, 0xff7fffff, v83, s3
	s_delay_alu instid0(VALU_DEP_4)
	v_cndmask_b32_e32 v84, 0xff7fffff, v84, vcc_lo
	v_dual_mul_f32 v79, s19, v132 :: v_dual_mul_f32 v90, s19, v121
	v_mul_f32_e32 v80, s19, v131
	v_cndmask_b32_e64 v82, 0xff7fffff, v82, s4
	v_cndmask_b32_e64 v81, 0xff7fffff, v81, s5
	v_max3_f32 v83, v84, 0xff7fffff, v83
	v_dual_mul_f32 v77, s19, v134 :: v_dual_mul_f32 v88, s19, v123
	v_mul_f32_e32 v78, s19, v133
	v_cndmask_b32_e64 v80, 0xff7fffff, v80, s6
	v_cndmask_b32_e64 v79, 0xff7fffff, v79, s7
	v_max3_f32 v81, v83, v82, v81
	v_mul_f32_e32 v91, s19, v120
	v_cndmask_b32_e64 v78, 0xff7fffff, v78, s8
	v_cndmask_b32_e64 v77, 0xff7fffff, v77, s9
	v_mul_f32_e32 v89, s19, v122
	v_max3_f32 v79, v81, v80, v79
	v_cndmask_b32_e64 v80, 0xff7fffff, v92, s10
	v_cndmask_b32_e64 v81, 0xff7fffff, v91, s11
	v_cmp_gt_i32_e64 s13, s18, v72
	v_or_b32_e32 v75, 28, v135
	v_max3_f32 v77, v79, v78, v77
	v_or_b32_e32 v76, 30, v135
	v_mul_f32_e32 v87, s19, v124
	v_cndmask_b32_e64 v71, 0xff7fffff, v90, s12
	v_cndmask_b32_e64 v72, 0xff7fffff, v89, s13
	v_max3_f32 v77, v77, v80, v81
	v_cmp_gt_i32_e64 s15, s18, v73
	v_cmp_gt_i32_e64 s16, s18, v74
	v_dual_mul_f32 v85, s19, v126 :: v_dual_mul_f32 v86, s19, v125
	s_delay_alu instid0(VALU_DEP_4) | instskip(NEXT) | instid1(VALU_DEP_4)
	v_max3_f32 v71, v77, v71, v72
	v_cndmask_b32_e64 v73, 0xff7fffff, v88, s15
	s_delay_alu instid0(VALU_DEP_4) | instskip(SKIP_2) | instid1(VALU_DEP_3)
	v_cndmask_b32_e64 v74, 0xff7fffff, v87, s16
	v_cmp_gt_i32_e64 s17, s18, v75
	v_cmp_gt_i32_e64 s18, s18, v76
	v_max3_f32 v71, v71, v73, v74
	s_delay_alu instid0(VALU_DEP_3) | instskip(NEXT) | instid1(VALU_DEP_3)
	v_cndmask_b32_e64 v72, 0xff7fffff, v86, s17
	v_cndmask_b32_e64 v75, 0xff7fffff, v85, s18
	v_lshlrev_b32_e32 v73, 2, v136
	s_delay_alu instid0(VALU_DEP_2) | instskip(SKIP_3) | instid1(VALU_DEP_1)
	v_max3_f32 v71, v71, v72, v75
	ds_bpermute_b32 v72, v73, v71
	s_waitcnt lgkmcnt(0)
	v_max_f32_e32 v72, v72, v72
	v_max_f32_e32 v71, v71, v72
	s_delay_alu instid0(VALU_DEP_1)
	v_fma_f32 v72, s19, v127, -v71
	v_fma_f32 v74, s19, v128, -v71
	;; [unrolled: 1-line block ×5, first 2 shown]
	v_mul_f32_e32 v72, 0x3fb8aa3b, v72
	v_mul_f32_e32 v74, 0x3fb8aa3b, v74
	v_fma_f32 v80, s19, v133, -v71
	s_delay_alu instid0(VALU_DEP_4) | instskip(NEXT) | instid1(VALU_DEP_4)
	v_dual_mul_f32 v76, 0x3fb8aa3b, v76 :: v_dual_mul_f32 v77, 0x3fb8aa3b, v77
	v_exp_f32_e32 v72, v72
	s_delay_alu instid0(VALU_DEP_3) | instskip(NEXT) | instid1(VALU_DEP_2)
	v_exp_f32_e32 v74, v74
	v_mul_f32_e32 v82, 0x3fb8aa3b, v80
	s_delay_alu instid0(VALU_DEP_2) | instskip(SKIP_1) | instid1(VALU_DEP_1)
	v_exp_f32_e32 v76, v76
	v_exp_f32_e32 v77, v77
	;; [unrolled: 1-line block ×3, first 2 shown]
	v_cndmask_b32_e32 v79, 0, v72, vcc_lo
	v_fma_f32 v72, s19, v132, -v71
	v_mul_f32_e32 v75, 0x3fb8aa3b, v75
	v_cndmask_b32_e64 v78, 0, v74, s3
	s_delay_alu instid0(TRANS32_DEP_3)
	v_cndmask_b32_e64 v80, 0, v76, s5
	v_add_f32_e32 v74, 0, v79
	v_mul_f32_e32 v72, 0x3fb8aa3b, v72
	v_exp_f32_e32 v75, v75
	v_cndmask_b32_e64 v83, 0, v77, s6
	v_cndmask_b32_e64 v85, 0, v84, s8
	v_add_f32_e32 v74, v74, v78
	v_exp_f32_e32 v72, v72
	s_mov_b32 s3, exec_lo
	s_waitcnt_depctr 0xfff
	v_cndmask_b32_e64 v81, 0, v75, s4
	v_cndmask_b32_e64 v82, 0, v72, s7
	s_delay_alu instid0(VALU_DEP_2) | instskip(NEXT) | instid1(VALU_DEP_1)
	v_add_f32_e32 v74, v74, v81
	v_add_f32_e32 v74, v74, v80
	s_delay_alu instid0(VALU_DEP_1) | instskip(SKIP_4) | instid1(VALU_DEP_4)
	v_add_f32_e32 v72, v74, v83
	v_fma_f32 v75, s19, v134, -v71
	v_fma_f32 v76, s19, v119, -v71
	;; [unrolled: 1-line block ×4, first 2 shown]
	v_dual_add_f32 v72, v72, v82 :: v_dual_mul_f32 v75, 0x3fb8aa3b, v75
	s_delay_alu instid0(VALU_DEP_3) | instskip(SKIP_1) | instid1(VALU_DEP_3)
	v_dual_mul_f32 v76, 0x3fb8aa3b, v76 :: v_dual_mul_f32 v77, 0x3fb8aa3b, v77
	v_fma_f32 v86, s19, v122, -v71
	v_add_f32_e32 v72, v72, v85
	s_delay_alu instid0(VALU_DEP_4) | instskip(NEXT) | instid1(VALU_DEP_3)
	v_exp_f32_e32 v75, v75
	v_exp_f32_e32 v76, v76
	v_exp_f32_e32 v77, v77
	v_mul_f32_e32 v86, 0x3fb8aa3b, v86
	s_delay_alu instid0(VALU_DEP_1) | instskip(SKIP_3) | instid1(TRANS32_DEP_3)
	v_exp_f32_e32 v88, v86
	v_cndmask_b32_e64 v84, 0, v75, s9
	v_fma_f32 v75, s19, v123, -v71
	v_mul_f32_e32 v74, 0x3fb8aa3b, v74
	v_cndmask_b32_e64 v87, 0, v76, s10
	v_fma_f32 v76, s19, v124, -v71
	s_delay_alu instid0(VALU_DEP_4) | instskip(NEXT) | instid1(VALU_DEP_4)
	v_dual_add_f32 v72, v72, v84 :: v_dual_mul_f32 v75, 0x3fb8aa3b, v75
	v_exp_f32_e32 v74, v74
	v_cndmask_b32_e64 v86, 0, v77, s11
	v_fma_f32 v77, s19, v125, -v71
	s_delay_alu instid0(VALU_DEP_3) | instskip(SKIP_3) | instid1(VALU_DEP_3)
	v_add_f32_e32 v72, v72, v87
	v_mul_f32_e32 v76, 0x3fb8aa3b, v76
	v_exp_f32_e32 v75, v75
	v_cndmask_b32_e64 v88, 0, v88, s13
	v_add_f32_e32 v72, v72, v86
	s_delay_alu instid0(VALU_DEP_3) | instskip(NEXT) | instid1(TRANS32_DEP_3)
	v_exp_f32_e32 v76, v76
	v_cndmask_b32_e64 v89, 0, v74, s12
	v_mul_f32_e32 v74, 0x3fb8aa3b, v77
	v_fma_f32 v77, s19, v126, -v71
	s_delay_alu instid0(VALU_DEP_3) | instskip(NEXT) | instid1(VALU_DEP_3)
	v_add_f32_e32 v72, v72, v89
	v_exp_f32_e32 v74, v74
	s_delay_alu instid0(TRANS32_DEP_3) | instskip(NEXT) | instid1(VALU_DEP_3)
	v_cndmask_b32_e64 v91, 0, v75, s15
	v_mul_f32_e32 v75, 0x3fb8aa3b, v77
	s_delay_alu instid0(TRANS32_DEP_2) | instskip(SKIP_1) | instid1(VALU_DEP_3)
	v_cndmask_b32_e64 v90, 0, v76, s16
	v_add_f32_e32 v72, v72, v88
	v_exp_f32_e32 v75, v75
	s_delay_alu instid0(VALU_DEP_1) | instskip(NEXT) | instid1(TRANS32_DEP_2)
	v_add_f32_e32 v72, v72, v91
	v_cndmask_b32_e64 v93, 0, v74, s17
	s_delay_alu instid0(VALU_DEP_2) | instskip(SKIP_3) | instid1(VALU_DEP_1)
	v_add_f32_e32 v72, v72, v90
	s_waitcnt_depctr 0xfff
	v_cndmask_b32_e64 v92, 0, v75, s18
	v_add_f32_e32 v72, v72, v93
	v_add_f32_e32 v72, v72, v92
	ds_bpermute_b32 v73, v73, v72
	v_cmpx_gt_u32_e32 16, v70
	s_cbranch_execz .LBB835_12
; %bb.11:
	v_mul_u32_u24_e32 v70, 0x44, v69
	s_waitcnt lgkmcnt(0)
	v_add_f32_e32 v72, v72, v73
	s_delay_alu instid0(VALU_DEP_2) | instskip(NEXT) | instid1(VALU_DEP_1)
	v_lshl_add_u32 v70, v68, 2, v70
	v_add_nc_u32_e32 v70, 0x4000, v70
	ds_store_2addr_b32 v70, v71, v72 offset1:136
.LBB835_12:
	s_or_b32 exec_lo, exec_lo, s3
	v_lshlrev_b32_e32 v70, 2, v68
	s_load_b32 s35, s[0:1], 0x94
	s_waitcnt lgkmcnt(0)
	s_barrier
	buffer_gl0_inv
	v_add_nc_u32_e32 v98, 0x4000, v70
	v_cmp_eq_u32_e32 vcc_lo, 1, v69
	v_cmp_eq_u32_e64 s3, 2, v69
	v_cmp_eq_u32_e64 s4, 3, v69
	;; [unrolled: 1-line block ×3, first 2 shown]
	ds_load_2addr_b32 v[70:71], v98 offset1:17
	ds_load_2addr_b32 v[72:73], v98 offset0:34 offset1:51
	ds_load_2addr_b32 v[74:75], v98 offset0:68 offset1:85
	;; [unrolled: 1-line block ×3, first 2 shown]
	v_cmp_eq_u32_e64 s6, 5, v69
	v_cmp_eq_u32_e64 s7, 7, v69
	s_waitcnt lgkmcnt(3)
	v_max3_f32 v76, v70, 0xff7fffff, v71
	s_waitcnt lgkmcnt(2)
	s_delay_alu instid0(VALU_DEP_1) | instskip(SKIP_1) | instid1(VALU_DEP_1)
	v_max3_f32 v76, v76, v72, v73
	s_waitcnt lgkmcnt(1)
	v_max3_f32 v76, v76, v74, v75
	s_waitcnt lgkmcnt(0)
	s_delay_alu instid0(VALU_DEP_1) | instskip(NEXT) | instid1(VALU_DEP_1)
	v_max3_f32 v76, v76, v94, v95
	v_sub_f32_e32 v77, v71, v76
	ds_load_2addr_b32 v[96:97], v98 offset0:136 offset1:153
	v_sub_f32_e32 v74, v74, v76
	v_sub_f32_e32 v70, v70, v76
	;; [unrolled: 1-line block ×3, first 2 shown]
	v_dual_sub_f32 v72, v72, v76 :: v_dual_mul_f32 v77, 0x3fb8aa3b, v77
	s_delay_alu instid0(VALU_DEP_4) | instskip(NEXT) | instid1(VALU_DEP_4)
	v_mul_f32_e32 v103, 0x3fb8aa3b, v74
	v_mul_f32_e32 v99, 0x3fb8aa3b, v70
	ds_load_2addr_b32 v[70:71], v98 offset0:170 offset1:187
	v_dual_mul_f32 v101, 0x3fb8aa3b, v72 :: v_dual_mul_f32 v94, 0x3fb8aa3b, v94
	v_exp_f32_e32 v102, v77
	v_exp_f32_e32 v99, v99
	s_delay_alu instid0(VALU_DEP_1) | instskip(NEXT) | instid1(VALU_DEP_1)
	v_exp_f32_e32 v101, v101
	v_exp_f32_e32 v94, v94
	s_waitcnt lgkmcnt(1)
	s_delay_alu instid0(TRANS32_DEP_3)
	v_fma_f32 v77, v99, v96, 0
	v_sub_f32_e32 v100, v73, v76
	ds_load_2addr_b32 v[72:73], v98 offset0:204 offset1:221
	v_fmac_f32_e32 v77, v102, v97
	v_exp_f32_e32 v97, v103
	s_waitcnt lgkmcnt(1)
	s_delay_alu instid0(VALU_DEP_1)
	v_dual_fmac_f32 v77, v101, v70 :: v_dual_sub_f32 v96, v75, v76
	ds_load_2addr_b32 v[74:75], v98 offset0:238 offset1:255
	v_sub_f32_e32 v70, v95, v76
	s_waitcnt lgkmcnt(0)
	s_barrier
	v_mul_f32_e32 v96, 0x3fb8aa3b, v96
	buffer_gl0_inv
	v_exp_f32_e32 v95, v96
	v_mul_f32_e32 v100, 0x3fb8aa3b, v100
	s_delay_alu instid0(VALU_DEP_1) | instskip(SKIP_3) | instid1(VALU_DEP_2)
	v_exp_f32_e32 v100, v100
	s_waitcnt_depctr 0xfff
	v_dual_fmac_f32 v77, v100, v71 :: v_dual_mul_f32 v70, 0x3fb8aa3b, v70
	v_cndmask_b32_e32 v71, v99, v102, vcc_lo
	v_fmac_f32_e32 v77, v97, v72
	s_delay_alu instid0(VALU_DEP_3) | instskip(NEXT) | instid1(VALU_DEP_1)
	v_exp_f32_e32 v96, v70
	v_fmac_f32_e32 v77, v95, v73
	s_delay_alu instid0(VALU_DEP_1) | instskip(SKIP_2) | instid1(VALU_DEP_1)
	v_fmac_f32_e32 v77, v94, v74
	s_waitcnt_depctr 0xfff
	v_fmac_f32_e32 v77, v96, v75
	v_add_f32_e32 v74, 0x358637bd, v77
	s_delay_alu instid0(VALU_DEP_1) | instskip(SKIP_1) | instid1(VALU_DEP_2)
	v_div_scale_f32 v98, null, v74, v74, 1.0
	v_div_scale_f32 v99, vcc_lo, 1.0, v74, 1.0
	v_rcp_f32_e32 v103, v98
	s_waitcnt_depctr 0xfff
	v_fma_f32 v70, -v98, v103, 1.0
	s_delay_alu instid0(VALU_DEP_1) | instskip(SKIP_2) | instid1(VALU_DEP_2)
	v_fmac_f32_e32 v103, v70, v103
	v_cndmask_b32_e64 v70, v71, v101, s3
	v_cmp_eq_u32_e64 s3, 6, v69
	v_cndmask_b32_e64 v71, v70, v100, s4
	s_delay_alu instid0(VALU_DEP_4) | instskip(NEXT) | instid1(VALU_DEP_2)
	v_dual_mul_f32 v101, v99, v103 :: v_dual_lshlrev_b32 v70, 2, v66
	v_cndmask_b32_e64 v71, v71, v97, s5
	s_delay_alu instid0(VALU_DEP_2) | instskip(NEXT) | instid1(VALU_DEP_3)
	v_or_b32_e32 v72, 1, v70
	v_fma_f32 v100, -v98, v101, v99
	v_cmp_eq_u32_e64 s4, 1, v70
	v_cmp_eq_u32_e64 s5, 2, v70
	v_cndmask_b32_e64 v95, v71, v95, s6
	v_or_b32_e32 v71, 3, v70
	v_fmac_f32_e32 v101, v100, v103
	v_cmp_eq_u32_e64 s9, 1, v72
	v_cmp_eq_u32_e64 s12, 2, v72
	v_cndmask_b32_e64 v94, v95, v94, s3
	v_cmp_eq_u32_e64 s11, 1, v71
	v_fma_f32 v97, -v98, v101, v99
	v_cmp_eq_u32_e64 s16, 2, v71
	v_cmp_eq_u32_e64 s13, 3, v72
	v_cndmask_b32_e64 v94, v94, v96, s7
	v_cmp_eq_u32_e64 s18, 3, v71
	v_div_fmas_f32 v95, v97, v103, v101
	v_cmp_eq_u32_e32 vcc_lo, 3, v70
	v_cmp_eq_u32_e64 s3, 4, v70
	v_cmp_eq_u32_e64 s19, 4, v72
	;; [unrolled: 1-line block ×3, first 2 shown]
	v_div_fixup_f32 v95, v95, v74, 1.0
	v_lshlrev_b32_e32 v73, 6, v68
	v_cmp_eq_u32_e64 s6, 5, v70
	v_cmp_eq_u32_e64 s20, 5, v72
	v_cmp_eq_u32_e64 s24, 5, v71
	v_mul_f32_e32 v102, v94, v95
	v_lshl_or_b32 v75, v69, 11, v73
	v_or_b32_e32 v69, 2, v70
	v_cmp_eq_u32_e64 s25, 6, v72
	v_cmp_eq_u32_e64 s27, 6, v71
	v_fma_mixlo_f16 v94, v102, v79, 0
	v_fma_mixlo_f16 v95, v102, v81, 0
	;; [unrolled: 1-line block ×8, first 2 shown]
	v_lshl_or_b32 v74, v66, 4, v75
	v_fma_mixhi_f16 v94, v102, v78, 0
	v_fma_mixhi_f16 v95, v102, v80, 0
	;; [unrolled: 1-line block ×8, first 2 shown]
	ds_store_b128 v74, v[94:97]
	ds_store_b128 v74, v[98:101] offset:1024
	s_waitcnt lgkmcnt(0)
	s_barrier
	buffer_gl0_inv
	ds_load_b128 v[78:81], v75
	ds_load_b128 v[82:85], v75 offset:16
	ds_load_b128 v[86:89], v75 offset:1024
	;; [unrolled: 1-line block ×3, first 2 shown]
	v_cmp_eq_u32_e64 s10, 1, v69
	v_cmp_eq_u32_e64 s15, 2, v69
	;; [unrolled: 1-line block ×11, first 2 shown]
	s_waitcnt lgkmcnt(3)
	v_lshrrev_b32_e32 v94, 16, v78
	s_waitcnt lgkmcnt(2)
	v_lshrrev_b32_e32 v98, 16, v82
	;; [unrolled: 2-line block ×4, first 2 shown]
	v_lshrrev_b32_e32 v95, 16, v79
	v_cndmask_b32_e64 v110, v78, v94, s4
	v_cndmask_b32_e64 v111, v82, v98, s4
	;; [unrolled: 1-line block ×8, first 2 shown]
	v_lshrrev_b32_e32 v99, 16, v83
	v_cndmask_b32_e64 v94, v86, v102, s4
	v_cndmask_b32_e64 v98, v90, v106, s4
	;; [unrolled: 1-line block ×15, first 2 shown]
	v_lshrrev_b32_e32 v103, 16, v87
	v_lshrrev_b32_e32 v107, 16, v91
	v_cndmask_b32_e64 v113, v115, v83, s15
	v_cndmask_b32_e64 v82, v94, v87, s5
	;; [unrolled: 1-line block ×7, first 2 shown]
	v_cndmask_b32_e32 v90, v102, v95, vcc_lo
	v_cndmask_b32_e32 v102, v106, v99, vcc_lo
	v_cndmask_b32_e64 v106, v110, v95, s13
	v_cndmask_b32_e64 v110, v111, v99, s13
	;; [unrolled: 1-line block ×4, first 2 shown]
	v_lshrrev_b32_e32 v96, 16, v80
	v_lshrrev_b32_e32 v100, 16, v84
	v_cndmask_b32_e64 v111, v112, v95, s17
	v_cndmask_b32_e64 v112, v113, v99, s17
	v_cndmask_b32_e32 v82, v82, v103, vcc_lo
	v_cndmask_b32_e32 v83, v83, v107, vcc_lo
	v_cndmask_b32_e64 v94, v94, v103, s13
	v_cndmask_b32_e64 v90, v90, v80, s3
	;; [unrolled: 1-line block ×7, first 2 shown]
	v_lshrrev_b32_e32 v104, 16, v88
	v_cndmask_b32_e64 v106, v111, v80, s21
	v_cndmask_b32_e64 v110, v112, v84, s21
	;; [unrolled: 1-line block ×11, first 2 shown]
	v_lshrrev_b32_e32 v97, 16, v81
	v_lshrrev_b32_e32 v101, 16, v85
	v_cndmask_b32_e64 v99, v106, v96, s23
	v_cndmask_b32_e64 v102, v110, v100, s23
	;; [unrolled: 1-line block ×7, first 2 shown]
	v_lshrrev_b32_e32 v105, 16, v89
	v_cndmask_b32_e64 v80, v80, v104, s6
	v_cndmask_b32_e64 v84, v84, v81, s7
	v_cndmask_b32_e64 v90, v90, v85, s7
	v_cndmask_b32_e64 v96, v99, v81, s26
	v_cndmask_b32_e64 v99, v102, v85, s26
	v_cndmask_b32_e64 v81, v83, v89, s25
	v_cndmask_b32_e64 v85, v94, v97, s30
	v_cndmask_b32_e64 v78, v78, v97, s29
	v_cndmask_b32_e64 v79, v79, v101, s29
	v_cndmask_b32_e64 v95, v95, v101, s30
	v_cndmask_b32_e64 v80, v80, v89, s7
	v_cndmask_b32_e64 v83, v84, v97, s8
	v_cndmask_b32_e64 v84, v90, v101, s8
	v_cndmask_b32_e64 v90, v96, v97, s28
	v_cndmask_b32_e64 v94, v99, v101, s28
	v_cndmask_b32_e64 v97, v81, v105, s30
	v_perm_b32 v81, v79, v78, 0x5040100
	v_perm_b32 v79, v95, v85, 0x5040100
	v_cndmask_b32_e64 v78, v119, v91, s15
	v_cndmask_b32_e64 v85, v117, v91, s12
	;; [unrolled: 1-line block ×3, first 2 shown]
	v_perm_b32 v80, v94, v90, 0x5040100
	v_cndmask_b32_e64 v90, v98, v103, s17
	v_cndmask_b32_e64 v86, v86, v103, s18
	;; [unrolled: 1-line block ×5, first 2 shown]
	v_lshrrev_b32_e32 v108, 16, v92
	v_cndmask_b32_e64 v90, v90, v88, s21
	v_cndmask_b32_e64 v86, v86, v88, s22
	;; [unrolled: 1-line block ×11, first 2 shown]
	v_lshrrev_b32_e32 v109, 16, v93
	v_cndmask_b32_e64 v82, v82, v93, s7
	v_cndmask_b32_e64 v88, v88, v89, s26
	v_cndmask_b32_e64 v86, v86, v89, s27
	v_cndmask_b32_e64 v87, v87, v93, s27
	v_cndmask_b32_e64 v78, v78, v93, s26
	v_cndmask_b32_e64 v85, v85, v93, s25
	v_cndmask_b32_e64 v88, v88, v105, s28
	v_cndmask_b32_e64 v86, v86, v105, s29
	v_cndmask_b32_e64 v87, v87, v109, s29
	v_cndmask_b32_e64 v89, v78, v109, s28
	v_cndmask_b32_e64 v90, v85, v109, s30
	v_cndmask_b32_e64 v82, v82, v109, s8
	v_perm_b32 v78, v84, v83, 0x5040100
	v_perm_b32 v85, v87, v86, 0x5040100
	;; [unrolled: 1-line block ×5, first 2 shown]
	s_mul_i32 s8, s33, 6
	s_mov_b32 s3, exec_lo
	ds_store_b128 v74, v[78:81]
	ds_store_b128 v74, v[82:85] offset:1024
	v_cmpx_gt_u32_e32 6, v0
	s_cbranch_execz .LBB835_14
; %bb.13:
	s_mul_i32 s4, s8, s34
	s_delay_alu instid0(SALU_CYCLE_1) | instskip(SKIP_1) | instid1(VALU_DEP_1)
	v_add3_u32 v68, s4, s31, v68
	s_load_b128 s[4:7], s[0:1], 0x58
	v_mad_u64_u32 v[78:79], null, v68, s35, s[14:15]
	s_delay_alu instid0(VALU_DEP_1) | instskip(NEXT) | instid1(VALU_DEP_1)
	v_ashrrev_i32_e32 v79, 31, v78
	v_lshlrev_b64 v[78:79], 2, v[78:79]
	s_waitcnt lgkmcnt(0)
	s_delay_alu instid0(VALU_DEP_1) | instskip(NEXT) | instid1(VALU_DEP_2)
	v_add_co_u32 v80, vcc_lo, s6, v78
	v_add_co_ci_u32_e32 v81, vcc_lo, s7, v79, vcc_lo
	v_add_co_u32 v78, vcc_lo, s4, v78
	v_add_co_ci_u32_e32 v79, vcc_lo, s5, v79, vcc_lo
	global_store_b32 v[80:81], v76, off
	global_store_b32 v[78:79], v77, off
.LBB835_14:
	s_or_b32 exec_lo, exec_lo, s3
	s_waitcnt lgkmcnt(0)
	s_waitcnt_vscnt null, 0x0
	s_barrier
	buffer_gl0_inv
	ds_load_b128 v[84:87], v73
	ds_load_b128 v[88:91], v73 offset:16
	ds_load_b128 v[96:99], v73 offset:2064
	;; [unrolled: 1-line block ×5, first 2 shown]
	v_cmp_eq_u32_e32 vcc_lo, 1, v70
	v_mov_b32_e32 v76, 0
	ds_load_b128 v[112:115], v73 offset:6160
	ds_load_b128 v[108:111], v73 offset:6144
	;; [unrolled: 1-line block ×4, first 2 shown]
	v_cmp_eq_u32_e64 s4, 1, v69
	v_cmp_eq_u32_e64 s3, 1, v72
	;; [unrolled: 1-line block ×3, first 2 shown]
	v_mov_b32_e32 v77, v76
	v_mov_b32_e32 v78, v76
	;; [unrolled: 1-line block ×7, first 2 shown]
	v_cmp_eq_u32_e64 s6, 3, v72
	v_cmp_eq_u32_e64 s7, 7, v72
	s_waitcnt lgkmcnt(8)
	s_delay_alu instid0(VALU_DEP_3)
	v_wmma_f32_16x16x16_f16 v[76:83], v[49:56], v[84:91], v[76:83]
	ds_load_b128 v[53:56], v73 offset:10256
	ds_load_b128 v[49:52], v73 offset:10240
	s_waitcnt lgkmcnt(8)
	v_wmma_f32_16x16x16_f16 v[76:83], v[41:48], v[92:99], v[76:83]
	ds_load_b128 v[45:48], v73 offset:12304
	ds_load_b128 v[41:44], v73 offset:12288
	s_waitcnt lgkmcnt(8)
	;; [unrolled: 4-line block ×3, first 2 shown]
	s_barrier
	buffer_gl0_inv
	v_wmma_f32_16x16x16_f16 v[76:83], v[1:8], v[108:115], v[76:83]
	s_delay_alu instid0(VALU_DEP_1) | instskip(NEXT) | instid1(VALU_DEP_1)
	v_wmma_f32_16x16x16_f16 v[76:83], v[9:16], v[116:123], v[76:83]
	v_wmma_f32_16x16x16_f16 v[76:83], v[17:24], v[49:56], v[76:83]
	s_delay_alu instid0(VALU_DEP_1) | instskip(NEXT) | instid1(VALU_DEP_1)
	v_wmma_f32_16x16x16_f16 v[76:83], v[25:32], v[41:48], v[76:83]
	v_wmma_f32_16x16x16_f16 v[76:83], v[57:64], v[33:40], v[76:83]
	s_delay_alu instid0(VALU_DEP_1) | instskip(NEXT) | instid1(VALU_DEP_2)
	v_cvt_f16_f32_e32 v1, v76
	v_cvt_f16_f32_e32 v2, v77
	s_delay_alu instid0(VALU_DEP_3) | instskip(NEXT) | instid1(VALU_DEP_4)
	v_cvt_f16_f32_e32 v3, v78
	v_cvt_f16_f32_e32 v4, v79
	v_cvt_f16_f32_e32 v5, v80
	v_cvt_f16_f32_e32 v6, v81
	v_cvt_f16_f32_e32 v7, v82
	v_cvt_f16_f32_e32 v8, v83
	v_pack_b32_f16 v1, v1, v2
	v_pack_b32_f16 v2, v3, v4
	;; [unrolled: 1-line block ×3, first 2 shown]
	s_delay_alu instid0(VALU_DEP_4)
	v_pack_b32_f16 v4, v7, v8
	ds_store_b128 v74, v[1:4]
	s_waitcnt lgkmcnt(0)
	s_barrier
	buffer_gl0_inv
	ds_load_b128 v[1:4], v75
	ds_load_b128 v[5:8], v75 offset:16
	s_waitcnt lgkmcnt(1)
	v_lshrrev_b32_e32 v9, 16, v1
	s_waitcnt lgkmcnt(0)
	v_lshrrev_b32_e32 v13, 16, v5
	v_lshrrev_b32_e32 v10, 16, v2
	;; [unrolled: 1-line block ×4, first 2 shown]
	v_cndmask_b32_e32 v17, v1, v9, vcc_lo
	v_cndmask_b32_e32 v18, v5, v13, vcc_lo
	v_cndmask_b32_e64 v21, v1, v9, s4
	v_cmp_eq_u32_e32 vcc_lo, 1, v71
	v_cndmask_b32_e64 v22, v5, v13, s4
	v_cmp_eq_u32_e64 s4, 2, v70
	v_cndmask_b32_e64 v19, v1, v9, s3
	v_cndmask_b32_e64 v20, v5, v13, s3
	v_cndmask_b32_e32 v1, v1, v9, vcc_lo
	v_cmp_eq_u32_e64 s3, 2, v71
	v_cndmask_b32_e32 v5, v5, v13, vcc_lo
	v_cndmask_b32_e64 v9, v17, v2, s4
	v_cmp_eq_u32_e32 vcc_lo, 3, v70
	v_cndmask_b32_e64 v13, v18, v6, s4
	v_cmp_eq_u32_e64 s4, 2, v69
	v_cndmask_b32_e64 v17, v19, v2, s5
	v_cndmask_b32_e64 v18, v20, v6, s5
	v_cmp_eq_u32_e64 s5, 3, v69
	v_cndmask_b32_e64 v1, v1, v2, s3
	v_cndmask_b32_e64 v19, v21, v2, s4
	;; [unrolled: 1-line block ×4, first 2 shown]
	v_cndmask_b32_e32 v5, v9, v10, vcc_lo
	v_cndmask_b32_e32 v6, v13, v14, vcc_lo
	v_cmp_eq_u32_e32 vcc_lo, 3, v71
	v_cndmask_b32_e64 v9, v17, v10, s6
	v_cndmask_b32_e64 v13, v18, v14, s6
	;; [unrolled: 1-line block ×3, first 2 shown]
	v_cmp_eq_u32_e64 s4, 4, v70
	v_cndmask_b32_e32 v1, v1, v10, vcc_lo
	v_cndmask_b32_e32 v2, v2, v14, vcc_lo
	v_cmp_eq_u32_e32 vcc_lo, 4, v72
	v_lshrrev_b32_e32 v15, 16, v7
	v_lshrrev_b32_e32 v16, 16, v8
	v_cndmask_b32_e64 v17, v19, v10, s5
	v_cmp_eq_u32_e64 s3, 4, v71
	v_cndmask_b32_e64 v5, v5, v3, s4
	v_cndmask_b32_e64 v6, v6, v7, s4
	v_cndmask_b32_e32 v9, v9, v3, vcc_lo
	v_cmp_eq_u32_e64 s4, 5, v72
	v_cndmask_b32_e32 v10, v13, v7, vcc_lo
	v_cmp_eq_u32_e32 vcc_lo, 4, v69
	v_cmp_eq_u32_e64 s5, 5, v70
	v_cndmask_b32_e64 v2, v2, v7, s3
	v_cndmask_b32_e64 v9, v9, v11, s4
	;; [unrolled: 1-line block ×3, first 2 shown]
	v_cndmask_b32_e32 v13, v17, v3, vcc_lo
	v_cmp_eq_u32_e64 s4, 5, v69
	v_cndmask_b32_e32 v14, v18, v7, vcc_lo
	v_cndmask_b32_e64 v1, v1, v3, s3
	v_cmp_eq_u32_e32 vcc_lo, 5, v71
	v_lshrrev_b32_e32 v12, 16, v4
	v_cndmask_b32_e64 v13, v13, v11, s4
	v_cndmask_b32_e64 v3, v14, v15, s4
	v_cmp_eq_u32_e64 s4, 6, v71
	v_cndmask_b32_e32 v1, v1, v11, vcc_lo
	v_cndmask_b32_e64 v5, v5, v11, s5
	v_cmp_eq_u32_e64 s6, 6, v70
	v_cndmask_b32_e64 v6, v6, v15, s5
	v_cmp_eq_u32_e64 s5, 6, v72
	v_cmp_eq_u32_e64 s3, 6, v69
	v_cndmask_b32_e64 v1, v1, v4, s4
	v_cndmask_b32_e32 v2, v2, v15, vcc_lo
	v_cmp_eq_u32_e32 vcc_lo, 7, v71
	v_cndmask_b32_e64 v5, v5, v4, s6
	v_cndmask_b32_e64 v9, v9, v4, s5
	;; [unrolled: 1-line block ×3, first 2 shown]
	v_cmp_eq_u32_e64 s6, 7, v70
	v_cndmask_b32_e32 v1, v1, v12, vcc_lo
	v_cndmask_b32_e64 v7, v13, v4, s3
	v_cndmask_b32_e64 v3, v3, v8, s3
	;; [unrolled: 1-line block ×3, first 2 shown]
	v_cmp_eq_u32_e64 s3, 7, v69
	v_cndmask_b32_e64 v4, v10, v8, s5
	v_cndmask_b32_e64 v5, v5, v12, s6
	;; [unrolled: 1-line block ×3, first 2 shown]
	v_cndmask_b32_e32 v2, v2, v16, vcc_lo
	v_cndmask_b32_e64 v7, v7, v12, s3
	v_cndmask_b32_e64 v3, v3, v16, s3
	;; [unrolled: 1-line block ×4, first 2 shown]
	v_cmp_gt_u32_e32 vcc_lo, 32, v0
	v_perm_b32 v4, v2, v1, 0x5040100
	v_perm_b32 v3, v3, v7, 0x5040100
	;; [unrolled: 1-line block ×4, first 2 shown]
	s_and_b32 s2, vcc_lo, s2
	ds_store_b128 v74, v[1:4]
	s_waitcnt lgkmcnt(0)
	s_barrier
	buffer_gl0_inv
	s_and_saveexec_b32 s3, s2
	s_cbranch_execz .LBB835_2
; %bb.15:
	s_load_b64 s[0:1], s[0:1], 0x68
	s_lshl_b32 s4, s35, 6
	v_or_b32_e32 v3, s31, v66
	s_mul_i32 s2, s4, s34
	v_lshlrev_b32_e32 v0, 10, v0
	s_mul_i32 s2, s2, s8
	v_lshlrev_b32_e32 v1, 4, v67
	s_ashr_i32 s3, s2, 31
	v_mul_lo_u32 v12, v3, s4
	s_lshl_b64 s[2:3], s[2:3], 1
	v_lshlrev_b32_e32 v2, 6, v66
	v_and_b32_e32 v0, 0x3800, v0
	s_delay_alu instid0(VALU_DEP_1) | instskip(NEXT) | instid1(VALU_DEP_4)
	v_or3_b32 v8, v0, v1, v2
	v_ashrrev_i32_e32 v13, 31, v12
	ds_load_b128 v[0:3], v8
	ds_load_b128 v[4:7], v8 offset:128
	ds_load_b128 v[8:11], v8 offset:256
	s_waitcnt lgkmcnt(0)
	s_add_u32 s2, s0, s2
	s_addc_u32 s3, s1, s3
	s_lshl_b32 s0, s14, 6
	s_delay_alu instid0(SALU_CYCLE_1) | instskip(NEXT) | instid1(SALU_CYCLE_1)
	s_ashr_i32 s1, s0, 31
	s_lshl_b64 s[0:1], s[0:1], 1
	s_delay_alu instid0(SALU_CYCLE_1)
	s_add_u32 s0, s2, s0
	s_addc_u32 s1, s3, s1
	s_lshl_b32 s2, s35, 7
	v_add_co_u32 v18, s0, s0, v65
	v_add_nc_u32_e32 v14, s2, v12
	v_lshlrev_b64 v[12:13], 1, v[12:13]
	v_add_co_ci_u32_e64 v19, null, s1, 0, s0
	s_delay_alu instid0(VALU_DEP_3) | instskip(SKIP_1) | instid1(VALU_DEP_4)
	v_add_nc_u32_e32 v16, s2, v14
	v_ashrrev_i32_e32 v15, 31, v14
	v_add_co_u32 v12, vcc_lo, v18, v12
	s_delay_alu instid0(VALU_DEP_4) | instskip(NEXT) | instid1(VALU_DEP_4)
	v_add_co_ci_u32_e32 v13, vcc_lo, v19, v13, vcc_lo
	v_ashrrev_i32_e32 v17, 31, v16
	s_delay_alu instid0(VALU_DEP_4) | instskip(NEXT) | instid1(VALU_DEP_2)
	v_lshlrev_b64 v[14:15], 1, v[14:15]
	v_lshlrev_b64 v[16:17], 1, v[16:17]
	s_delay_alu instid0(VALU_DEP_2) | instskip(NEXT) | instid1(VALU_DEP_3)
	v_add_co_u32 v14, vcc_lo, v18, v14
	v_add_co_ci_u32_e32 v15, vcc_lo, v19, v15, vcc_lo
	s_delay_alu instid0(VALU_DEP_3) | instskip(NEXT) | instid1(VALU_DEP_4)
	v_add_co_u32 v16, vcc_lo, v18, v16
	v_add_co_ci_u32_e32 v17, vcc_lo, v19, v17, vcc_lo
	s_clause 0x2
	global_store_b128 v[12:13], v[0:3], off
	global_store_b128 v[14:15], v[4:7], off
	;; [unrolled: 1-line block ×3, first 2 shown]
	s_nop 0
	s_sendmsg sendmsg(MSG_DEALLOC_VGPRS)
	s_endpgm
	.section	.rodata,"a",@progbits
	.p2align	6, 0x0
	.amdhsa_kernel _Z39paged_attention_ll4mi_QKV_mfma16_kernelIDF16_hLN4vllm18Fp8KVCacheDataTypeE1EDF16_Li16ELi64ELi256ELb0ELi6EL8MFMAType1EEvPKT_PKT0_S8_ifPKiSA_SA_iPKfiiiPfSD_PS3_PT2_iSC_SC_
		.amdhsa_group_segment_fixed_size 17472
		.amdhsa_private_segment_fixed_size 0
		.amdhsa_kernarg_size 400
		.amdhsa_user_sgpr_count 13
		.amdhsa_user_sgpr_dispatch_ptr 0
		.amdhsa_user_sgpr_queue_ptr 0
		.amdhsa_user_sgpr_kernarg_segment_ptr 1
		.amdhsa_user_sgpr_dispatch_id 0
		.amdhsa_user_sgpr_private_segment_size 0
		.amdhsa_wavefront_size32 1
		.amdhsa_uses_dynamic_stack 0
		.amdhsa_enable_private_segment 0
		.amdhsa_system_sgpr_workgroup_id_x 1
		.amdhsa_system_sgpr_workgroup_id_y 1
		.amdhsa_system_sgpr_workgroup_id_z 1
		.amdhsa_system_sgpr_workgroup_info 0
		.amdhsa_system_vgpr_workitem_id 0
		.amdhsa_next_free_vgpr 146
		.amdhsa_next_free_sgpr 36
		.amdhsa_reserve_vcc 1
		.amdhsa_float_round_mode_32 0
		.amdhsa_float_round_mode_16_64 0
		.amdhsa_float_denorm_mode_32 3
		.amdhsa_float_denorm_mode_16_64 3
		.amdhsa_dx10_clamp 1
		.amdhsa_ieee_mode 1
		.amdhsa_fp16_overflow 0
		.amdhsa_workgroup_processor_mode 1
		.amdhsa_memory_ordered 1
		.amdhsa_forward_progress 0
		.amdhsa_shared_vgpr_count 0
		.amdhsa_exception_fp_ieee_invalid_op 0
		.amdhsa_exception_fp_denorm_src 0
		.amdhsa_exception_fp_ieee_div_zero 0
		.amdhsa_exception_fp_ieee_overflow 0
		.amdhsa_exception_fp_ieee_underflow 0
		.amdhsa_exception_fp_ieee_inexact 0
		.amdhsa_exception_int_div_zero 0
	.end_amdhsa_kernel
	.section	.text._Z39paged_attention_ll4mi_QKV_mfma16_kernelIDF16_hLN4vllm18Fp8KVCacheDataTypeE1EDF16_Li16ELi64ELi256ELb0ELi6EL8MFMAType1EEvPKT_PKT0_S8_ifPKiSA_SA_iPKfiiiPfSD_PS3_PT2_iSC_SC_,"axG",@progbits,_Z39paged_attention_ll4mi_QKV_mfma16_kernelIDF16_hLN4vllm18Fp8KVCacheDataTypeE1EDF16_Li16ELi64ELi256ELb0ELi6EL8MFMAType1EEvPKT_PKT0_S8_ifPKiSA_SA_iPKfiiiPfSD_PS3_PT2_iSC_SC_,comdat
.Lfunc_end835:
	.size	_Z39paged_attention_ll4mi_QKV_mfma16_kernelIDF16_hLN4vllm18Fp8KVCacheDataTypeE1EDF16_Li16ELi64ELi256ELb0ELi6EL8MFMAType1EEvPKT_PKT0_S8_ifPKiSA_SA_iPKfiiiPfSD_PS3_PT2_iSC_SC_, .Lfunc_end835-_Z39paged_attention_ll4mi_QKV_mfma16_kernelIDF16_hLN4vllm18Fp8KVCacheDataTypeE1EDF16_Li16ELi64ELi256ELb0ELi6EL8MFMAType1EEvPKT_PKT0_S8_ifPKiSA_SA_iPKfiiiPfSD_PS3_PT2_iSC_SC_
                                        ; -- End function
	.section	.AMDGPU.csdata,"",@progbits
; Kernel info:
; codeLenInByte = 6460
; NumSgprs: 38
; NumVgprs: 146
; ScratchSize: 0
; MemoryBound: 0
; FloatMode: 240
; IeeeMode: 1
; LDSByteSize: 17472 bytes/workgroup (compile time only)
; SGPRBlocks: 4
; VGPRBlocks: 18
; NumSGPRsForWavesPerEU: 38
; NumVGPRsForWavesPerEU: 146
; Occupancy: 9
; WaveLimiterHint : 1
; COMPUTE_PGM_RSRC2:SCRATCH_EN: 0
; COMPUTE_PGM_RSRC2:USER_SGPR: 13
; COMPUTE_PGM_RSRC2:TRAP_HANDLER: 0
; COMPUTE_PGM_RSRC2:TGID_X_EN: 1
; COMPUTE_PGM_RSRC2:TGID_Y_EN: 1
; COMPUTE_PGM_RSRC2:TGID_Z_EN: 1
; COMPUTE_PGM_RSRC2:TIDIG_COMP_CNT: 0
	.section	.text._Z39paged_attention_ll4mi_QKV_mfma16_kernelIDF16_hLN4vllm18Fp8KVCacheDataTypeE1EDF16_Li16ELi64ELi256ELb0ELi7EL8MFMAType1EEvPKT_PKT0_S8_ifPKiSA_SA_iPKfiiiPfSD_PS3_PT2_iSC_SC_,"axG",@progbits,_Z39paged_attention_ll4mi_QKV_mfma16_kernelIDF16_hLN4vllm18Fp8KVCacheDataTypeE1EDF16_Li16ELi64ELi256ELb0ELi7EL8MFMAType1EEvPKT_PKT0_S8_ifPKiSA_SA_iPKfiiiPfSD_PS3_PT2_iSC_SC_,comdat
	.protected	_Z39paged_attention_ll4mi_QKV_mfma16_kernelIDF16_hLN4vllm18Fp8KVCacheDataTypeE1EDF16_Li16ELi64ELi256ELb0ELi7EL8MFMAType1EEvPKT_PKT0_S8_ifPKiSA_SA_iPKfiiiPfSD_PS3_PT2_iSC_SC_ ; -- Begin function _Z39paged_attention_ll4mi_QKV_mfma16_kernelIDF16_hLN4vllm18Fp8KVCacheDataTypeE1EDF16_Li16ELi64ELi256ELb0ELi7EL8MFMAType1EEvPKT_PKT0_S8_ifPKiSA_SA_iPKfiiiPfSD_PS3_PT2_iSC_SC_
	.globl	_Z39paged_attention_ll4mi_QKV_mfma16_kernelIDF16_hLN4vllm18Fp8KVCacheDataTypeE1EDF16_Li16ELi64ELi256ELb0ELi7EL8MFMAType1EEvPKT_PKT0_S8_ifPKiSA_SA_iPKfiiiPfSD_PS3_PT2_iSC_SC_
	.p2align	8
	.type	_Z39paged_attention_ll4mi_QKV_mfma16_kernelIDF16_hLN4vllm18Fp8KVCacheDataTypeE1EDF16_Li16ELi64ELi256ELb0ELi7EL8MFMAType1EEvPKT_PKT0_S8_ifPKiSA_SA_iPKfiiiPfSD_PS3_PT2_iSC_SC_,@function
_Z39paged_attention_ll4mi_QKV_mfma16_kernelIDF16_hLN4vllm18Fp8KVCacheDataTypeE1EDF16_Li16ELi64ELi256ELb0ELi7EL8MFMAType1EEvPKT_PKT0_S8_ifPKiSA_SA_iPKfiiiPfSD_PS3_PT2_iSC_SC_: ; @_Z39paged_attention_ll4mi_QKV_mfma16_kernelIDF16_hLN4vllm18Fp8KVCacheDataTypeE1EDF16_Li16ELi64ELi256ELb0ELi7EL8MFMAType1EEvPKT_PKT0_S8_ifPKiSA_SA_iPKfiiiPfSD_PS3_PT2_iSC_SC_
; %bb.0:
	s_load_b64 s[2:3], s[0:1], 0x30
	s_mov_b32 s34, s13
	s_waitcnt lgkmcnt(0)
	s_cmp_lg_u64 s[2:3], 0
	s_cselect_b32 s6, -1, 0
	s_ashr_i32 s35, s13, 31
	s_cmp_eq_u64 s[2:3], 0
	s_cbranch_scc1 .LBB836_3
; %bb.1:
	s_lshl_b64 s[4:5], s[34:35], 2
	s_delay_alu instid0(SALU_CYCLE_1) | instskip(SKIP_4) | instid1(SALU_CYCLE_1)
	s_add_u32 s4, s2, s4
	s_addc_u32 s5, s3, s5
	s_load_b64 s[4:5], s[4:5], 0x0
	s_waitcnt lgkmcnt(0)
	s_sub_i32 s4, s5, s4
	s_cmp_eq_u32 s4, 1
	s_cselect_b32 s4, -1, 0
	s_delay_alu instid0(SALU_CYCLE_1)
	s_and_not1_b32 vcc_lo, exec_lo, s4
	s_cbranch_vccz .LBB836_4
.LBB836_2:
	s_nop 0
	s_sendmsg sendmsg(MSG_DEALLOC_VGPRS)
	s_endpgm
.LBB836_3:
.LBB836_4:
	s_load_b64 s[8:9], s[0:1], 0x28
	s_lshl_b64 s[4:5], s[34:35], 2
	s_waitcnt lgkmcnt(0)
	s_add_u32 s8, s8, s4
	s_addc_u32 s9, s9, s5
	s_lshl_b32 s16, s14, 8
	s_load_b32 s18, s[8:9], 0x0
	s_waitcnt lgkmcnt(0)
	s_cmp_ge_i32 s16, s18
	s_cbranch_scc1 .LBB836_2
; %bb.5:
	s_clause 0x1
	s_load_b128 s[8:11], s[0:1], 0x8
	s_load_b64 s[12:13], s[0:1], 0x20
	s_and_not1_b32 vcc_lo, exec_lo, s6
	s_cbranch_vccnz .LBB836_7
; %bb.6:
	s_add_u32 s2, s2, s4
	s_addc_u32 s3, s3, s5
	s_load_b32 s3, s[2:3], 0x0
	s_branch .LBB836_8
.LBB836_7:
	s_mov_b32 s3, s34
.LBB836_8:
	s_load_b128 s[4:7], s[0:1], 0x48
	v_lshrrev_b32_e32 v69, 5, v0
	v_bfe_u32 v66, v0, 4, 1
	v_and_b32_e32 v68, 15, v0
	v_and_b32_e32 v70, 31, v0
	;; [unrolled: 1-line block ×3, first 2 shown]
	s_mul_i32 s33, s15, 7
	v_lshl_or_b32 v1, v69, 1, v66
	v_lshlrev_b32_e32 v2, 3, v68
	v_cmp_gt_u32_e64 s2, 8, v68
	s_delay_alu instid0(VALU_DEP_3) | instskip(NEXT) | instid1(VALU_DEP_3)
	v_cmp_gt_u32_e32 vcc_lo, 7, v1
	v_lshlrev_b32_e32 v65, 1, v2
	s_delay_alu instid0(VALU_DEP_3)
	s_and_b32 s17, s2, vcc_lo
	s_waitcnt lgkmcnt(0)
	s_and_saveexec_b32 s7, s17
	s_cbranch_execz .LBB836_10
; %bb.9:
	s_load_b64 s[20:21], s[0:1], 0x0
	v_add_lshl_u32 v2, v1, s33, 6
	s_mul_hi_i32 s23, s3, s4
	s_mul_i32 s22, s3, s4
	v_lshlrev_b32_e32 v6, 10, v68
	s_lshl_b64 s[22:23], s[22:23], 1
	v_ashrrev_i32_e32 v3, 31, v2
	v_lshlrev_b32_e32 v1, 6, v1
	v_lshlrev_b32_e32 v7, 10, v67
	v_and_b32_e32 v6, 0x3800, v6
	s_delay_alu instid0(VALU_DEP_4) | instskip(NEXT) | instid1(VALU_DEP_2)
	v_lshlrev_b64 v[2:3], 1, v[2:3]
	v_or3_b32 v1, v6, v7, v1
	s_waitcnt lgkmcnt(0)
	s_add_u32 s3, s20, s22
	s_addc_u32 s4, s21, s23
	s_delay_alu instid0(VALU_DEP_2) | instskip(SKIP_1) | instid1(VALU_DEP_2)
	v_add_co_u32 v2, vcc_lo, s3, v2
	v_add_co_ci_u32_e32 v3, vcc_lo, s4, v3, vcc_lo
	v_add_co_u32 v2, vcc_lo, v2, v65
	s_delay_alu instid0(VALU_DEP_2)
	v_add_co_ci_u32_e32 v3, vcc_lo, 0, v3, vcc_lo
	global_load_b128 v[2:5], v[2:3], off
	s_waitcnt vmcnt(0)
	ds_store_b128 v1, v[2:5]
.LBB836_10:
	s_or_b32 exec_lo, exec_lo, s7
	v_and_b32_e32 v1, 0xef, v0
	s_add_i32 s3, s18, 15
	s_clause 0x1
	s_load_b32 s4, s[0:1], 0x38
	s_load_b32 s35, s[0:1], 0x98
	s_ashr_i32 s7, s3, 31
	v_add_nc_u32_e32 v1, s16, v1
	s_lshr_b32 s7, s7, 28
	s_load_b32 s19, s[0:1], 0x1c
	s_add_i32 s3, s3, s7
	s_waitcnt lgkmcnt(0)
	v_ashrrev_i32_e32 v2, 31, v1
	v_or_b32_e32 v3, 16, v1
	s_ashr_i32 s3, s3, 4
	v_cmp_gt_i32_e32 vcc_lo, s18, v1
	s_add_i32 s3, s3, -1
	v_lshrrev_b32_e32 v2, 28, v2
	s_barrier
	buffer_gl0_inv
	s_mul_i32 s15, s15, s6
	v_mul_lo_u16 v103, v68, 37
	v_add_nc_u32_e32 v4, v1, v2
	v_mbcnt_lo_u32_b32 v127, -1, 0
	s_mul_i32 s20, s34, s4
	s_delay_alu instid0(SALU_CYCLE_1) | instskip(NEXT) | instid1(VALU_DEP_2)
	s_ashr_i32 s21, s20, 31
	v_ashrrev_i32_e32 v4, 4, v4
	v_add_nc_u32_e32 v2, v3, v2
	s_lshl_b64 s[20:21], s[20:21], 2
	v_lshrrev_b16 v103, 8, v103
	s_add_u32 s17, s12, s20
	v_cndmask_b32_e32 v1, s3, v4, vcc_lo
	v_ashrrev_i32_e32 v2, 4, v2
	v_cmp_gt_i32_e32 vcc_lo, s18, v3
	s_addc_u32 s13, s13, s21
	s_ashr_i32 s20, s15, 31
	s_add_u32 s4, s8, s15
	s_addc_u32 s12, s9, s20
	v_cndmask_b32_e32 v3, s3, v2, vcc_lo
	v_ashrrev_i32_e32 v2, 31, v1
	s_lshl_b32 s6, s14, 4
	v_mul_lo_u16 v103, v103, 7
	s_ashr_i32 s7, s6, 31
	v_ashrrev_i32_e32 v4, 31, v3
	v_lshlrev_b64 v[1:2], 2, v[1:2]
	s_lshl_b64 s[6:7], s[6:7], 2
	v_sub_nc_u16 v103, v68, v103
	s_add_u32 s6, s17, s6
	v_lshlrev_b64 v[3:4], 2, v[3:4]
	s_addc_u32 s7, s13, s7
	v_add_co_u32 v1, vcc_lo, s17, v1
	v_add_co_ci_u32_e32 v2, vcc_lo, s13, v2, vcc_lo
	s_delay_alu instid0(VALU_DEP_3) | instskip(NEXT) | instid1(VALU_DEP_4)
	v_add_co_u32 v3, vcc_lo, s17, v3
	v_add_co_ci_u32_e32 v4, vcc_lo, s13, v4, vcc_lo
	s_clause 0x1
	global_load_b32 v5, v[1:2], off
	global_load_b32 v7, v[3:4], off
	s_or_b32 s8, s16, 32
	v_lshlrev_b32_e32 v1, 4, v0
	s_ashr_i32 s9, s8, 4
	s_cmp_lt_i32 s8, s18
	v_xor_b32_e32 v128, 16, v127
	s_cselect_b32 s8, s9, s3
	v_and_b32_e32 v1, 0xf0, v1
	s_ashr_i32 s9, s8, 31
	s_delay_alu instid0(SALU_CYCLE_1)
	s_lshl_b64 s[8:9], s[8:9], 2
	v_cmp_gt_i32_e32 vcc_lo, 32, v128
	s_add_u32 s8, s17, s8
	s_addc_u32 s9, s13, s9
	s_or_b32 s21, s16, 64
	v_add_co_u32 v1, s4, s4, v1
	s_ashr_i32 s22, s21, 4
	s_cmp_lt_i32 s21, s18
	v_add_co_ci_u32_e64 v2, null, s12, 0, s4
	s_cselect_b32 s22, s22, s3
	v_dual_cndmask_b32 v136, v127, v128 :: v_dual_and_b32 v103, 0xff, v103
	s_ashr_i32 s23, s22, 31
	s_delay_alu instid0(SALU_CYCLE_1) | instskip(NEXT) | instid1(VALU_DEP_1)
	s_lshl_b64 s[22:23], s[22:23], 2
	v_lshlrev_b32_e32 v115, 6, v103
	s_add_u32 s22, s17, s22
	s_addc_u32 s23, s13, s23
	s_or_b32 s21, s16, 0x60
	s_delay_alu instid0(SALU_CYCLE_1) | instskip(SKIP_2) | instid1(SALU_CYCLE_1)
	s_ashr_i32 s24, s21, 4
	s_cmp_lt_i32 s21, s18
	s_cselect_b32 s24, s24, s3
	s_ashr_i32 s25, s24, 31
	s_delay_alu instid0(SALU_CYCLE_1) | instskip(NEXT) | instid1(SALU_CYCLE_1)
	s_lshl_b64 s[24:25], s[24:25], 2
	s_add_u32 s24, s17, s24
	s_addc_u32 s25, s13, s25
	s_or_b32 s21, s16, 0x80
	s_delay_alu instid0(SALU_CYCLE_1) | instskip(SKIP_2) | instid1(SALU_CYCLE_1)
	s_ashr_i32 s26, s21, 4
	s_cmp_lt_i32 s21, s18
	s_cselect_b32 s26, s26, s3
	s_ashr_i32 s27, s26, 31
	s_delay_alu instid0(SALU_CYCLE_1) | instskip(NEXT) | instid1(SALU_CYCLE_1)
	s_lshl_b64 s[26:27], s[26:27], 2
	;; [unrolled: 10-line block ×3, first 2 shown]
	s_add_u32 s28, s17, s28
	s_addc_u32 s29, s13, s29
	s_clause 0x5
	s_load_b32 s12, s[6:7], 0x0
	s_load_b32 s4, s[8:9], 0x0
	;; [unrolled: 1-line block ×6, first 2 shown]
	s_or_b32 s21, s16, 0xc0
	s_delay_alu instid0(SALU_CYCLE_1) | instskip(SKIP_2) | instid1(SALU_CYCLE_1)
	s_ashr_i32 s22, s21, 4
	s_cmp_lt_i32 s21, s18
	s_cselect_b32 s22, s22, s3
	s_ashr_i32 s23, s22, 31
	s_delay_alu instid0(SALU_CYCLE_1) | instskip(NEXT) | instid1(SALU_CYCLE_1)
	s_lshl_b64 s[22:23], s[22:23], 2
	s_add_u32 s22, s17, s22
	s_addc_u32 s23, s13, s23
	s_or_b32 s21, s16, 0xe0
	s_delay_alu instid0(SALU_CYCLE_1) | instskip(SKIP_2) | instid1(SALU_CYCLE_1)
	s_ashr_i32 s24, s21, 4
	s_cmp_lt_i32 s21, s18
	s_cselect_b32 s24, s24, s3
	s_ashr_i32 s25, s24, 31
	s_delay_alu instid0(SALU_CYCLE_1)
	s_lshl_b64 s[24:25], s[24:25], 2
	s_waitcnt vmcnt(1)
	v_mad_i64_i32 v[3:4], null, v5, s5, v[1:2]
	s_waitcnt vmcnt(0)
	v_mad_i64_i32 v[5:6], null, v7, s5, v[1:2]
	v_lshlrev_b32_e32 v1, 4, v68
	s_clause 0x7
	global_load_b128 v[71:74], v[3:4], off
	global_load_b128 v[75:78], v[3:4], off offset:256
	global_load_b128 v[79:82], v[5:6], off
	global_load_b128 v[83:86], v[5:6], off offset:256
	global_load_b128 v[87:90], v[3:4], off offset:512
	;; [unrolled: 1-line block ×5, first 2 shown]
	v_lshl_or_b32 v1, v69, 8, v1
	s_load_b32 s3, s[22:23], 0x0
	s_add_u32 s22, s17, s24
	s_addc_u32 s23, s13, s25
	s_add_u32 s10, s10, s15
	s_addc_u32 s11, s11, s20
	v_add_co_u32 v1, s10, s10, v1
	s_delay_alu instid0(VALU_DEP_1) | instskip(SKIP_2) | instid1(VALU_DEP_1)
	v_add_co_ci_u32_e64 v2, null, s11, 0, s10
	s_load_b32 s10, s[22:23], 0x0
	s_waitcnt lgkmcnt(0)
	v_mad_i64_i32 v[3:4], null, s12, s5, v[1:2]
	v_mad_i64_i32 v[9:10], null, s7, s5, v[1:2]
	;; [unrolled: 1-line block ×7, first 2 shown]
	s_clause 0x5
	global_load_b128 v[49:52], v[3:4], off
	global_load_b128 v[53:56], v[3:4], off offset:16
	global_load_b128 v[41:44], v[5:6], off
	global_load_b128 v[45:48], v[5:6], off offset:16
	;; [unrolled: 2-line block ×3, first 2 shown]
	s_mov_b32 s4, 0
	v_mad_i64_i32 v[61:62], null, s10, s5, v[1:2]
	s_clause 0x9
	global_load_b128 v[1:4], v[9:10], off
	global_load_b128 v[5:8], v[9:10], off offset:16
	global_load_b128 v[9:12], v[13:14], off
	global_load_b128 v[13:16], v[13:14], off offset:16
	;; [unrolled: 2-line block ×5, first 2 shown]
	s_mov_b32 s5, s4
	s_mov_b32 s6, s4
	;; [unrolled: 1-line block ×7, first 2 shown]
	v_and_b32_e32 v104, 0xe0, v0
	v_dual_mov_b32 v126, s11 :: v_dual_mov_b32 v123, s8
	v_dual_mov_b32 v125, s10 :: v_dual_mov_b32 v124, s9
	s_delay_alu instid0(VALU_DEP_3)
	v_add_nc_u32_e32 v111, s16, v104
	ds_load_b128 v[103:106], v115
	ds_load_b128 v[107:110], v115 offset:1024
	v_dual_mov_b32 v122, s7 :: v_dual_mov_b32 v121, s6
	v_mov_b32_e32 v120, s5
	v_or_b32_e32 v135, v111, v66
	ds_load_b128 v[111:114], v115 offset:2048
	ds_load_b128 v[115:118], v115 offset:3072
	v_mov_b32_e32 v119, s4
	s_waitcnt vmcnt(0) lgkmcnt(0)
	s_barrier
	v_or_b32_e32 v137, 2, v135
	v_or_b32_e32 v138, 4, v135
	;; [unrolled: 1-line block ×3, first 2 shown]
	v_cmp_gt_i32_e32 vcc_lo, s18, v135
	v_or_b32_e32 v140, 8, v135
	v_cmp_gt_i32_e64 s3, s18, v137
	v_or_b32_e32 v141, 10, v135
	v_cmp_gt_i32_e64 s4, s18, v138
	v_cmp_gt_i32_e64 s5, s18, v139
	v_or_b32_e32 v142, 12, v135
	v_or_b32_e32 v143, 14, v135
	v_cmp_gt_i32_e64 s6, s18, v140
	v_cmp_gt_i32_e64 s7, s18, v141
	v_or_b32_e32 v144, 16, v135
	v_or_b32_e32 v145, 18, v135
	v_cmp_gt_i32_e64 s8, s18, v142
	v_cmp_gt_i32_e64 s9, s18, v143
	buffer_gl0_inv
	v_cmp_gt_i32_e64 s10, s18, v144
	v_cmp_gt_i32_e64 s11, s18, v145
	v_wmma_f32_16x16x16_f16 v[127:134], v[71:78], v[103:110], v[119:126]
	v_wmma_f32_16x16x16_f16 v[119:126], v[79:86], v[103:110], v[119:126]
	v_or_b32_e32 v71, 20, v135
	v_or_b32_e32 v72, 22, v135
	s_delay_alu instid0(VALU_DEP_4)
	v_wmma_f32_16x16x16_f16 v[127:134], v[87:94], v[111:118], v[127:134]
	v_or_b32_e32 v73, 24, v135
	v_wmma_f32_16x16x16_f16 v[119:126], v[95:102], v[111:118], v[119:126]
	v_or_b32_e32 v74, 26, v135
	v_cmp_gt_i32_e64 s12, s18, v71
	v_dual_mul_f32 v83, s19, v128 :: v_dual_mul_f32 v84, s19, v127
	s_delay_alu instid0(VALU_DEP_4) | instskip(SKIP_1) | instid1(VALU_DEP_3)
	v_dual_mul_f32 v81, s19, v130 :: v_dual_mul_f32 v92, s19, v119
	v_mul_f32_e32 v82, s19, v129
	v_cndmask_b32_e64 v83, 0xff7fffff, v83, s3
	s_delay_alu instid0(VALU_DEP_4)
	v_cndmask_b32_e32 v84, 0xff7fffff, v84, vcc_lo
	v_dual_mul_f32 v79, s19, v132 :: v_dual_mul_f32 v90, s19, v121
	v_mul_f32_e32 v80, s19, v131
	v_cndmask_b32_e64 v82, 0xff7fffff, v82, s4
	v_cndmask_b32_e64 v81, 0xff7fffff, v81, s5
	v_max3_f32 v83, v84, 0xff7fffff, v83
	v_dual_mul_f32 v77, s19, v134 :: v_dual_mul_f32 v88, s19, v123
	v_mul_f32_e32 v78, s19, v133
	v_cndmask_b32_e64 v80, 0xff7fffff, v80, s6
	v_cndmask_b32_e64 v79, 0xff7fffff, v79, s7
	v_max3_f32 v81, v83, v82, v81
	v_mul_f32_e32 v91, s19, v120
	v_cndmask_b32_e64 v78, 0xff7fffff, v78, s8
	v_cndmask_b32_e64 v77, 0xff7fffff, v77, s9
	v_mul_f32_e32 v89, s19, v122
	v_max3_f32 v79, v81, v80, v79
	v_cndmask_b32_e64 v80, 0xff7fffff, v92, s10
	v_cndmask_b32_e64 v81, 0xff7fffff, v91, s11
	v_cmp_gt_i32_e64 s13, s18, v72
	v_or_b32_e32 v75, 28, v135
	v_max3_f32 v77, v79, v78, v77
	v_or_b32_e32 v76, 30, v135
	v_mul_f32_e32 v87, s19, v124
	v_cndmask_b32_e64 v71, 0xff7fffff, v90, s12
	v_cndmask_b32_e64 v72, 0xff7fffff, v89, s13
	v_max3_f32 v77, v77, v80, v81
	v_cmp_gt_i32_e64 s15, s18, v73
	v_cmp_gt_i32_e64 s16, s18, v74
	v_dual_mul_f32 v85, s19, v126 :: v_dual_mul_f32 v86, s19, v125
	s_delay_alu instid0(VALU_DEP_4) | instskip(NEXT) | instid1(VALU_DEP_4)
	v_max3_f32 v71, v77, v71, v72
	v_cndmask_b32_e64 v73, 0xff7fffff, v88, s15
	s_delay_alu instid0(VALU_DEP_4) | instskip(SKIP_2) | instid1(VALU_DEP_3)
	v_cndmask_b32_e64 v74, 0xff7fffff, v87, s16
	v_cmp_gt_i32_e64 s17, s18, v75
	v_cmp_gt_i32_e64 s18, s18, v76
	v_max3_f32 v71, v71, v73, v74
	s_delay_alu instid0(VALU_DEP_3) | instskip(NEXT) | instid1(VALU_DEP_3)
	v_cndmask_b32_e64 v72, 0xff7fffff, v86, s17
	v_cndmask_b32_e64 v75, 0xff7fffff, v85, s18
	v_lshlrev_b32_e32 v73, 2, v136
	s_delay_alu instid0(VALU_DEP_2) | instskip(SKIP_3) | instid1(VALU_DEP_1)
	v_max3_f32 v71, v71, v72, v75
	ds_bpermute_b32 v72, v73, v71
	s_waitcnt lgkmcnt(0)
	v_max_f32_e32 v72, v72, v72
	v_max_f32_e32 v71, v71, v72
	s_delay_alu instid0(VALU_DEP_1)
	v_fma_f32 v72, s19, v127, -v71
	v_fma_f32 v74, s19, v128, -v71
	;; [unrolled: 1-line block ×5, first 2 shown]
	v_mul_f32_e32 v72, 0x3fb8aa3b, v72
	v_mul_f32_e32 v74, 0x3fb8aa3b, v74
	v_fma_f32 v80, s19, v133, -v71
	s_delay_alu instid0(VALU_DEP_4) | instskip(NEXT) | instid1(VALU_DEP_4)
	v_dual_mul_f32 v76, 0x3fb8aa3b, v76 :: v_dual_mul_f32 v77, 0x3fb8aa3b, v77
	v_exp_f32_e32 v72, v72
	s_delay_alu instid0(VALU_DEP_3) | instskip(NEXT) | instid1(VALU_DEP_2)
	v_exp_f32_e32 v74, v74
	v_mul_f32_e32 v82, 0x3fb8aa3b, v80
	s_delay_alu instid0(VALU_DEP_2) | instskip(SKIP_1) | instid1(VALU_DEP_1)
	v_exp_f32_e32 v76, v76
	v_exp_f32_e32 v77, v77
	;; [unrolled: 1-line block ×3, first 2 shown]
	v_cndmask_b32_e32 v79, 0, v72, vcc_lo
	v_fma_f32 v72, s19, v132, -v71
	v_mul_f32_e32 v75, 0x3fb8aa3b, v75
	v_cndmask_b32_e64 v78, 0, v74, s3
	s_delay_alu instid0(TRANS32_DEP_3)
	v_cndmask_b32_e64 v80, 0, v76, s5
	v_add_f32_e32 v74, 0, v79
	v_mul_f32_e32 v72, 0x3fb8aa3b, v72
	v_exp_f32_e32 v75, v75
	v_cndmask_b32_e64 v83, 0, v77, s6
	v_cndmask_b32_e64 v85, 0, v84, s8
	v_add_f32_e32 v74, v74, v78
	v_exp_f32_e32 v72, v72
	v_cmp_gt_u32_e64 s3, 16, v70
	s_waitcnt_depctr 0xfff
	v_cndmask_b32_e64 v81, 0, v75, s4
	v_cndmask_b32_e64 v82, 0, v72, s7
	s_delay_alu instid0(VALU_DEP_2) | instskip(NEXT) | instid1(VALU_DEP_1)
	v_add_f32_e32 v74, v74, v81
	v_add_f32_e32 v74, v74, v80
	s_delay_alu instid0(VALU_DEP_1) | instskip(SKIP_4) | instid1(VALU_DEP_4)
	v_add_f32_e32 v72, v74, v83
	v_fma_f32 v75, s19, v134, -v71
	v_fma_f32 v76, s19, v119, -v71
	;; [unrolled: 1-line block ×4, first 2 shown]
	v_dual_add_f32 v72, v72, v82 :: v_dual_mul_f32 v75, 0x3fb8aa3b, v75
	s_delay_alu instid0(VALU_DEP_3) | instskip(SKIP_1) | instid1(VALU_DEP_3)
	v_dual_mul_f32 v76, 0x3fb8aa3b, v76 :: v_dual_mul_f32 v77, 0x3fb8aa3b, v77
	v_fma_f32 v86, s19, v122, -v71
	v_add_f32_e32 v72, v72, v85
	s_delay_alu instid0(VALU_DEP_4) | instskip(NEXT) | instid1(VALU_DEP_3)
	v_exp_f32_e32 v75, v75
	v_exp_f32_e32 v76, v76
	;; [unrolled: 1-line block ×3, first 2 shown]
	v_mul_f32_e32 v86, 0x3fb8aa3b, v86
	s_delay_alu instid0(VALU_DEP_1) | instskip(SKIP_3) | instid1(TRANS32_DEP_3)
	v_exp_f32_e32 v88, v86
	v_cndmask_b32_e64 v84, 0, v75, s9
	v_fma_f32 v75, s19, v123, -v71
	v_mul_f32_e32 v74, 0x3fb8aa3b, v74
	v_cndmask_b32_e64 v87, 0, v76, s10
	v_fma_f32 v76, s19, v124, -v71
	s_delay_alu instid0(VALU_DEP_4) | instskip(NEXT) | instid1(VALU_DEP_4)
	v_dual_add_f32 v72, v72, v84 :: v_dual_mul_f32 v75, 0x3fb8aa3b, v75
	v_exp_f32_e32 v74, v74
	v_cndmask_b32_e64 v86, 0, v77, s11
	v_fma_f32 v77, s19, v125, -v71
	s_delay_alu instid0(VALU_DEP_3) | instskip(SKIP_3) | instid1(VALU_DEP_3)
	v_add_f32_e32 v72, v72, v87
	v_mul_f32_e32 v76, 0x3fb8aa3b, v76
	v_exp_f32_e32 v75, v75
	v_cndmask_b32_e64 v88, 0, v88, s13
	v_add_f32_e32 v72, v72, v86
	s_delay_alu instid0(VALU_DEP_3) | instskip(NEXT) | instid1(TRANS32_DEP_3)
	v_exp_f32_e32 v76, v76
	v_cndmask_b32_e64 v89, 0, v74, s12
	v_mul_f32_e32 v74, 0x3fb8aa3b, v77
	v_fma_f32 v77, s19, v126, -v71
	s_delay_alu instid0(VALU_DEP_3) | instskip(NEXT) | instid1(VALU_DEP_3)
	v_add_f32_e32 v72, v72, v89
	v_exp_f32_e32 v74, v74
	s_delay_alu instid0(TRANS32_DEP_3) | instskip(NEXT) | instid1(VALU_DEP_3)
	v_cndmask_b32_e64 v91, 0, v75, s15
	v_mul_f32_e32 v75, 0x3fb8aa3b, v77
	s_delay_alu instid0(TRANS32_DEP_2) | instskip(SKIP_1) | instid1(VALU_DEP_3)
	v_cndmask_b32_e64 v90, 0, v76, s16
	v_add_f32_e32 v72, v72, v88
	v_exp_f32_e32 v75, v75
	s_delay_alu instid0(VALU_DEP_1) | instskip(NEXT) | instid1(TRANS32_DEP_2)
	v_add_f32_e32 v72, v72, v91
	v_cndmask_b32_e64 v93, 0, v74, s17
	s_delay_alu instid0(VALU_DEP_2) | instskip(SKIP_3) | instid1(VALU_DEP_1)
	v_add_f32_e32 v72, v72, v90
	s_waitcnt_depctr 0xfff
	v_cndmask_b32_e64 v92, 0, v75, s18
	v_add_f32_e32 v72, v72, v93
	v_add_f32_e32 v72, v72, v92
	ds_bpermute_b32 v73, v73, v72
	s_and_saveexec_b32 s4, s3
	s_cbranch_execz .LBB836_12
; %bb.11:
	v_mul_u32_u24_e32 v70, 0x44, v69
	s_waitcnt lgkmcnt(0)
	v_add_f32_e32 v72, v72, v73
	s_delay_alu instid0(VALU_DEP_2) | instskip(NEXT) | instid1(VALU_DEP_1)
	v_lshl_add_u32 v70, v68, 2, v70
	v_add_nc_u32_e32 v70, 0x4000, v70
	ds_store_2addr_b32 v70, v71, v72 offset1:136
.LBB836_12:
	s_or_b32 exec_lo, exec_lo, s4
	v_lshlrev_b32_e32 v70, 2, v68
	s_load_b32 s36, s[0:1], 0x94
	s_waitcnt lgkmcnt(0)
	s_barrier
	buffer_gl0_inv
	v_add_nc_u32_e32 v98, 0x4000, v70
	v_cmp_eq_u32_e32 vcc_lo, 1, v69
	v_cmp_eq_u32_e64 s4, 2, v69
	v_cmp_eq_u32_e64 s5, 3, v69
	;; [unrolled: 1-line block ×3, first 2 shown]
	ds_load_2addr_b32 v[70:71], v98 offset1:17
	ds_load_2addr_b32 v[72:73], v98 offset0:34 offset1:51
	ds_load_2addr_b32 v[74:75], v98 offset0:68 offset1:85
	;; [unrolled: 1-line block ×3, first 2 shown]
	v_cmp_eq_u32_e64 s7, 5, v69
	v_cmp_eq_u32_e64 s8, 7, v69
	s_waitcnt lgkmcnt(3)
	v_max3_f32 v76, v70, 0xff7fffff, v71
	s_waitcnt lgkmcnt(2)
	s_delay_alu instid0(VALU_DEP_1) | instskip(SKIP_1) | instid1(VALU_DEP_1)
	v_max3_f32 v76, v76, v72, v73
	s_waitcnt lgkmcnt(1)
	v_max3_f32 v76, v76, v74, v75
	s_waitcnt lgkmcnt(0)
	s_delay_alu instid0(VALU_DEP_1) | instskip(NEXT) | instid1(VALU_DEP_1)
	v_max3_f32 v76, v76, v94, v95
	v_sub_f32_e32 v77, v71, v76
	ds_load_2addr_b32 v[96:97], v98 offset0:136 offset1:153
	v_sub_f32_e32 v74, v74, v76
	v_sub_f32_e32 v70, v70, v76
	;; [unrolled: 1-line block ×3, first 2 shown]
	v_dual_sub_f32 v72, v72, v76 :: v_dual_mul_f32 v77, 0x3fb8aa3b, v77
	s_delay_alu instid0(VALU_DEP_4) | instskip(NEXT) | instid1(VALU_DEP_4)
	v_mul_f32_e32 v103, 0x3fb8aa3b, v74
	v_mul_f32_e32 v99, 0x3fb8aa3b, v70
	ds_load_2addr_b32 v[70:71], v98 offset0:170 offset1:187
	v_dual_mul_f32 v101, 0x3fb8aa3b, v72 :: v_dual_mul_f32 v94, 0x3fb8aa3b, v94
	v_exp_f32_e32 v102, v77
	v_exp_f32_e32 v99, v99
	s_delay_alu instid0(VALU_DEP_1) | instskip(NEXT) | instid1(VALU_DEP_1)
	v_exp_f32_e32 v101, v101
	v_exp_f32_e32 v94, v94
	s_waitcnt lgkmcnt(1)
	s_delay_alu instid0(TRANS32_DEP_3)
	v_fma_f32 v77, v99, v96, 0
	v_sub_f32_e32 v100, v73, v76
	ds_load_2addr_b32 v[72:73], v98 offset0:204 offset1:221
	v_fmac_f32_e32 v77, v102, v97
	v_exp_f32_e32 v97, v103
	s_waitcnt lgkmcnt(1)
	s_delay_alu instid0(VALU_DEP_1)
	v_dual_fmac_f32 v77, v101, v70 :: v_dual_sub_f32 v96, v75, v76
	ds_load_2addr_b32 v[74:75], v98 offset0:238 offset1:255
	v_sub_f32_e32 v70, v95, v76
	s_waitcnt lgkmcnt(0)
	s_barrier
	v_mul_f32_e32 v96, 0x3fb8aa3b, v96
	buffer_gl0_inv
	v_exp_f32_e32 v95, v96
	v_mul_f32_e32 v100, 0x3fb8aa3b, v100
	s_delay_alu instid0(VALU_DEP_1) | instskip(SKIP_3) | instid1(VALU_DEP_2)
	v_exp_f32_e32 v100, v100
	s_waitcnt_depctr 0xfff
	v_dual_fmac_f32 v77, v100, v71 :: v_dual_mul_f32 v70, 0x3fb8aa3b, v70
	v_cndmask_b32_e32 v71, v99, v102, vcc_lo
	v_fmac_f32_e32 v77, v97, v72
	s_delay_alu instid0(VALU_DEP_3) | instskip(NEXT) | instid1(VALU_DEP_1)
	v_exp_f32_e32 v96, v70
	v_fmac_f32_e32 v77, v95, v73
	s_delay_alu instid0(VALU_DEP_1) | instskip(SKIP_2) | instid1(VALU_DEP_1)
	v_fmac_f32_e32 v77, v94, v74
	s_waitcnt_depctr 0xfff
	v_fmac_f32_e32 v77, v96, v75
	v_add_f32_e32 v74, 0x358637bd, v77
	s_delay_alu instid0(VALU_DEP_1) | instskip(SKIP_1) | instid1(VALU_DEP_2)
	v_div_scale_f32 v98, null, v74, v74, 1.0
	v_div_scale_f32 v99, vcc_lo, 1.0, v74, 1.0
	v_rcp_f32_e32 v103, v98
	s_waitcnt_depctr 0xfff
	v_fma_f32 v70, -v98, v103, 1.0
	s_delay_alu instid0(VALU_DEP_1) | instskip(SKIP_2) | instid1(VALU_DEP_2)
	v_fmac_f32_e32 v103, v70, v103
	v_cndmask_b32_e64 v70, v71, v101, s4
	v_cmp_eq_u32_e64 s4, 6, v69
	v_cndmask_b32_e64 v71, v70, v100, s5
	s_delay_alu instid0(VALU_DEP_4) | instskip(NEXT) | instid1(VALU_DEP_2)
	v_dual_mul_f32 v101, v99, v103 :: v_dual_lshlrev_b32 v70, 2, v66
	v_cndmask_b32_e64 v71, v71, v97, s6
	s_delay_alu instid0(VALU_DEP_2) | instskip(NEXT) | instid1(VALU_DEP_3)
	v_or_b32_e32 v72, 1, v70
	v_fma_f32 v100, -v98, v101, v99
	v_cmp_eq_u32_e64 s5, 1, v70
	v_cmp_eq_u32_e64 s6, 2, v70
	v_cndmask_b32_e64 v95, v71, v95, s7
	v_or_b32_e32 v71, 3, v70
	v_fmac_f32_e32 v101, v100, v103
	v_cmp_eq_u32_e64 s10, 1, v72
	v_cmp_eq_u32_e64 s13, 2, v72
	v_cndmask_b32_e64 v94, v95, v94, s4
	v_cmp_eq_u32_e64 s12, 1, v71
	v_fma_f32 v97, -v98, v101, v99
	v_cmp_eq_u32_e64 s17, 2, v71
	v_cmp_eq_u32_e64 s15, 3, v72
	v_cndmask_b32_e64 v94, v94, v96, s8
	v_cmp_eq_u32_e64 s19, 3, v71
	v_div_fmas_f32 v95, v97, v103, v101
	v_cmp_eq_u32_e32 vcc_lo, 3, v70
	v_cmp_eq_u32_e64 s4, 4, v70
	v_cmp_eq_u32_e64 s20, 4, v72
	;; [unrolled: 1-line block ×3, first 2 shown]
	v_div_fixup_f32 v95, v95, v74, 1.0
	v_lshlrev_b32_e32 v73, 6, v68
	v_cmp_eq_u32_e64 s7, 5, v70
	v_cmp_eq_u32_e64 s21, 5, v72
	v_cmp_eq_u32_e64 s25, 5, v71
	v_mul_f32_e32 v102, v94, v95
	v_lshl_or_b32 v75, v69, 11, v73
	v_or_b32_e32 v69, 2, v70
	v_cmp_eq_u32_e64 s26, 6, v72
	v_cmp_eq_u32_e64 s28, 6, v71
	v_fma_mixlo_f16 v94, v102, v79, 0
	v_fma_mixlo_f16 v95, v102, v81, 0
	;; [unrolled: 1-line block ×8, first 2 shown]
	v_lshl_or_b32 v74, v66, 4, v75
	v_fma_mixhi_f16 v94, v102, v78, 0
	v_fma_mixhi_f16 v95, v102, v80, 0
	;; [unrolled: 1-line block ×8, first 2 shown]
	ds_store_b128 v74, v[94:97]
	ds_store_b128 v74, v[98:101] offset:1024
	s_waitcnt lgkmcnt(0)
	s_barrier
	buffer_gl0_inv
	ds_load_b128 v[78:81], v75
	ds_load_b128 v[82:85], v75 offset:16
	ds_load_b128 v[86:89], v75 offset:1024
	;; [unrolled: 1-line block ×3, first 2 shown]
	v_cmp_eq_u32_e64 s11, 1, v69
	v_cmp_eq_u32_e64 s16, 2, v69
	;; [unrolled: 1-line block ×11, first 2 shown]
	s_waitcnt lgkmcnt(3)
	v_lshrrev_b32_e32 v94, 16, v78
	s_waitcnt lgkmcnt(2)
	v_lshrrev_b32_e32 v98, 16, v82
	;; [unrolled: 2-line block ×4, first 2 shown]
	v_lshrrev_b32_e32 v95, 16, v79
	v_cndmask_b32_e64 v110, v78, v94, s5
	v_cndmask_b32_e64 v111, v82, v98, s5
	;; [unrolled: 1-line block ×8, first 2 shown]
	v_lshrrev_b32_e32 v99, 16, v83
	v_cndmask_b32_e64 v94, v86, v102, s5
	v_cndmask_b32_e64 v98, v90, v106, s5
	;; [unrolled: 1-line block ×15, first 2 shown]
	v_lshrrev_b32_e32 v103, 16, v87
	v_lshrrev_b32_e32 v107, 16, v91
	v_cndmask_b32_e64 v113, v115, v83, s16
	v_cndmask_b32_e64 v82, v94, v87, s6
	;; [unrolled: 1-line block ×7, first 2 shown]
	v_cndmask_b32_e32 v90, v102, v95, vcc_lo
	v_cndmask_b32_e32 v102, v106, v99, vcc_lo
	v_cndmask_b32_e64 v106, v110, v95, s15
	v_cndmask_b32_e64 v110, v111, v99, s15
	v_cndmask_b32_e64 v78, v78, v95, s19
	v_cndmask_b32_e64 v79, v79, v99, s19
	v_lshrrev_b32_e32 v96, 16, v80
	v_lshrrev_b32_e32 v100, 16, v84
	v_cndmask_b32_e64 v111, v112, v95, s18
	v_cndmask_b32_e64 v112, v113, v99, s18
	v_cndmask_b32_e32 v82, v82, v103, vcc_lo
	v_cndmask_b32_e32 v83, v83, v107, vcc_lo
	v_cndmask_b32_e64 v94, v94, v103, s15
	v_cndmask_b32_e64 v90, v90, v80, s4
	;; [unrolled: 1-line block ×7, first 2 shown]
	v_lshrrev_b32_e32 v104, 16, v88
	v_cndmask_b32_e64 v106, v111, v80, s22
	v_cndmask_b32_e64 v110, v112, v84, s22
	;; [unrolled: 1-line block ×11, first 2 shown]
	v_lshrrev_b32_e32 v97, 16, v81
	v_lshrrev_b32_e32 v101, 16, v85
	v_cndmask_b32_e64 v99, v106, v96, s24
	v_cndmask_b32_e64 v102, v110, v100, s24
	;; [unrolled: 1-line block ×7, first 2 shown]
	v_lshrrev_b32_e32 v105, 16, v89
	v_cndmask_b32_e64 v80, v80, v104, s7
	v_cndmask_b32_e64 v84, v84, v81, s8
	;; [unrolled: 1-line block ×16, first 2 shown]
	v_perm_b32 v81, v79, v78, 0x5040100
	v_perm_b32 v79, v95, v85, 0x5040100
	v_cndmask_b32_e64 v78, v119, v91, s16
	v_cndmask_b32_e64 v85, v117, v91, s13
	;; [unrolled: 1-line block ×3, first 2 shown]
	v_perm_b32 v80, v94, v90, 0x5040100
	v_cndmask_b32_e64 v90, v98, v103, s18
	v_cndmask_b32_e64 v86, v86, v103, s19
	;; [unrolled: 1-line block ×5, first 2 shown]
	v_lshrrev_b32_e32 v108, 16, v92
	v_cndmask_b32_e64 v90, v90, v88, s22
	v_cndmask_b32_e64 v86, v86, v88, s23
	;; [unrolled: 1-line block ×11, first 2 shown]
	v_lshrrev_b32_e32 v109, 16, v93
	v_cndmask_b32_e64 v82, v82, v93, s8
	v_cndmask_b32_e64 v88, v88, v89, s27
	;; [unrolled: 1-line block ×12, first 2 shown]
	v_perm_b32 v78, v84, v83, 0x5040100
	v_perm_b32 v85, v87, v86, 0x5040100
	;; [unrolled: 1-line block ×5, first 2 shown]
	s_mul_i32 s9, s35, 7
	s_mov_b32 s4, exec_lo
	ds_store_b128 v74, v[78:81]
	ds_store_b128 v74, v[82:85] offset:1024
	v_cmpx_gt_u32_e32 7, v0
	s_cbranch_execz .LBB836_14
; %bb.13:
	s_mul_i32 s5, s9, s34
	s_load_b128 s[16:19], s[0:1], 0x58
	v_add3_u32 v68, s5, s33, v68
	s_delay_alu instid0(VALU_DEP_1) | instskip(NEXT) | instid1(VALU_DEP_1)
	v_mad_u64_u32 v[78:79], null, v68, s36, s[14:15]
	v_ashrrev_i32_e32 v79, 31, v78
	s_delay_alu instid0(VALU_DEP_1) | instskip(SKIP_1) | instid1(VALU_DEP_1)
	v_lshlrev_b64 v[78:79], 2, v[78:79]
	s_waitcnt lgkmcnt(0)
	v_add_co_u32 v80, vcc_lo, s18, v78
	s_delay_alu instid0(VALU_DEP_2)
	v_add_co_ci_u32_e32 v81, vcc_lo, s19, v79, vcc_lo
	v_add_co_u32 v78, vcc_lo, s16, v78
	v_add_co_ci_u32_e32 v79, vcc_lo, s17, v79, vcc_lo
	global_store_b32 v[80:81], v76, off
	global_store_b32 v[78:79], v77, off
.LBB836_14:
	s_or_b32 exec_lo, exec_lo, s4
	s_waitcnt lgkmcnt(0)
	s_waitcnt_vscnt null, 0x0
	s_barrier
	buffer_gl0_inv
	ds_load_b128 v[84:87], v73
	ds_load_b128 v[88:91], v73 offset:16
	ds_load_b128 v[96:99], v73 offset:2064
	;; [unrolled: 1-line block ×5, first 2 shown]
	v_cmp_eq_u32_e32 vcc_lo, 1, v70
	v_mov_b32_e32 v76, 0
	ds_load_b128 v[112:115], v73 offset:6160
	ds_load_b128 v[108:111], v73 offset:6144
	;; [unrolled: 1-line block ×4, first 2 shown]
	v_cmp_eq_u32_e64 s5, 1, v69
	v_cmp_eq_u32_e64 s4, 1, v72
	;; [unrolled: 1-line block ×3, first 2 shown]
	v_mov_b32_e32 v77, v76
	v_mov_b32_e32 v78, v76
	;; [unrolled: 1-line block ×7, first 2 shown]
	v_cmp_eq_u32_e64 s7, 3, v72
	v_cmp_eq_u32_e64 s8, 7, v72
	s_waitcnt lgkmcnt(8)
	s_delay_alu instid0(VALU_DEP_3)
	v_wmma_f32_16x16x16_f16 v[76:83], v[49:56], v[84:91], v[76:83]
	ds_load_b128 v[53:56], v73 offset:10256
	ds_load_b128 v[49:52], v73 offset:10240
	s_waitcnt lgkmcnt(8)
	v_wmma_f32_16x16x16_f16 v[76:83], v[41:48], v[92:99], v[76:83]
	ds_load_b128 v[45:48], v73 offset:12304
	ds_load_b128 v[41:44], v73 offset:12288
	s_waitcnt lgkmcnt(8)
	;; [unrolled: 4-line block ×3, first 2 shown]
	s_barrier
	buffer_gl0_inv
	v_wmma_f32_16x16x16_f16 v[76:83], v[1:8], v[108:115], v[76:83]
	s_delay_alu instid0(VALU_DEP_1) | instskip(NEXT) | instid1(VALU_DEP_1)
	v_wmma_f32_16x16x16_f16 v[76:83], v[9:16], v[116:123], v[76:83]
	v_wmma_f32_16x16x16_f16 v[76:83], v[17:24], v[49:56], v[76:83]
	s_delay_alu instid0(VALU_DEP_1) | instskip(NEXT) | instid1(VALU_DEP_1)
	v_wmma_f32_16x16x16_f16 v[76:83], v[25:32], v[41:48], v[76:83]
	v_wmma_f32_16x16x16_f16 v[76:83], v[57:64], v[33:40], v[76:83]
	s_delay_alu instid0(VALU_DEP_1) | instskip(NEXT) | instid1(VALU_DEP_2)
	v_cvt_f16_f32_e32 v1, v76
	v_cvt_f16_f32_e32 v2, v77
	s_delay_alu instid0(VALU_DEP_3) | instskip(NEXT) | instid1(VALU_DEP_4)
	v_cvt_f16_f32_e32 v3, v78
	v_cvt_f16_f32_e32 v4, v79
	v_cvt_f16_f32_e32 v5, v80
	v_cvt_f16_f32_e32 v6, v81
	v_cvt_f16_f32_e32 v7, v82
	v_cvt_f16_f32_e32 v8, v83
	v_pack_b32_f16 v1, v1, v2
	v_pack_b32_f16 v2, v3, v4
	;; [unrolled: 1-line block ×3, first 2 shown]
	s_delay_alu instid0(VALU_DEP_4)
	v_pack_b32_f16 v4, v7, v8
	ds_store_b128 v74, v[1:4]
	s_waitcnt lgkmcnt(0)
	s_barrier
	buffer_gl0_inv
	ds_load_b128 v[1:4], v75
	ds_load_b128 v[5:8], v75 offset:16
	s_waitcnt lgkmcnt(1)
	v_lshrrev_b32_e32 v9, 16, v1
	s_waitcnt lgkmcnt(0)
	v_lshrrev_b32_e32 v13, 16, v5
	v_lshrrev_b32_e32 v10, 16, v2
	;; [unrolled: 1-line block ×4, first 2 shown]
	v_cndmask_b32_e32 v17, v1, v9, vcc_lo
	v_cndmask_b32_e32 v18, v5, v13, vcc_lo
	v_cndmask_b32_e64 v21, v1, v9, s5
	v_cmp_eq_u32_e32 vcc_lo, 1, v71
	v_cndmask_b32_e64 v22, v5, v13, s5
	v_cmp_eq_u32_e64 s5, 2, v70
	v_cndmask_b32_e64 v19, v1, v9, s4
	v_cndmask_b32_e64 v20, v5, v13, s4
	v_cndmask_b32_e32 v1, v1, v9, vcc_lo
	v_cmp_eq_u32_e64 s4, 2, v71
	v_cndmask_b32_e32 v5, v5, v13, vcc_lo
	v_cndmask_b32_e64 v9, v17, v2, s5
	v_cmp_eq_u32_e32 vcc_lo, 3, v70
	v_cndmask_b32_e64 v13, v18, v6, s5
	v_cmp_eq_u32_e64 s5, 2, v69
	v_cndmask_b32_e64 v17, v19, v2, s6
	v_cndmask_b32_e64 v18, v20, v6, s6
	v_cmp_eq_u32_e64 s6, 3, v69
	v_cndmask_b32_e64 v1, v1, v2, s4
	v_cndmask_b32_e64 v19, v21, v2, s5
	;; [unrolled: 1-line block ×4, first 2 shown]
	v_cndmask_b32_e32 v5, v9, v10, vcc_lo
	v_cndmask_b32_e32 v6, v13, v14, vcc_lo
	v_cmp_eq_u32_e32 vcc_lo, 3, v71
	v_cndmask_b32_e64 v9, v17, v10, s7
	v_cndmask_b32_e64 v13, v18, v14, s7
	;; [unrolled: 1-line block ×3, first 2 shown]
	v_cmp_eq_u32_e64 s5, 4, v70
	v_cndmask_b32_e32 v1, v1, v10, vcc_lo
	v_cndmask_b32_e32 v2, v2, v14, vcc_lo
	v_cmp_eq_u32_e32 vcc_lo, 4, v72
	v_lshrrev_b32_e32 v15, 16, v7
	v_lshrrev_b32_e32 v16, 16, v8
	v_cndmask_b32_e64 v17, v19, v10, s6
	v_cmp_eq_u32_e64 s4, 4, v71
	v_cndmask_b32_e64 v5, v5, v3, s5
	v_cndmask_b32_e64 v6, v6, v7, s5
	v_cndmask_b32_e32 v9, v9, v3, vcc_lo
	v_cmp_eq_u32_e64 s5, 5, v72
	v_cndmask_b32_e32 v10, v13, v7, vcc_lo
	v_cmp_eq_u32_e32 vcc_lo, 4, v69
	v_cmp_eq_u32_e64 s6, 5, v70
	v_cndmask_b32_e64 v2, v2, v7, s4
	v_cndmask_b32_e64 v9, v9, v11, s5
	;; [unrolled: 1-line block ×3, first 2 shown]
	v_cndmask_b32_e32 v13, v17, v3, vcc_lo
	v_cmp_eq_u32_e64 s5, 5, v69
	v_cndmask_b32_e32 v14, v18, v7, vcc_lo
	v_cndmask_b32_e64 v1, v1, v3, s4
	v_cmp_eq_u32_e32 vcc_lo, 5, v71
	v_lshrrev_b32_e32 v12, 16, v4
	v_cndmask_b32_e64 v13, v13, v11, s5
	v_cndmask_b32_e64 v3, v14, v15, s5
	v_cmp_eq_u32_e64 s5, 6, v71
	v_cndmask_b32_e32 v1, v1, v11, vcc_lo
	v_cndmask_b32_e64 v5, v5, v11, s6
	v_cmp_eq_u32_e64 s7, 6, v70
	v_cndmask_b32_e64 v6, v6, v15, s6
	v_cmp_eq_u32_e64 s6, 6, v72
	v_cmp_eq_u32_e64 s4, 6, v69
	v_cndmask_b32_e64 v1, v1, v4, s5
	v_cndmask_b32_e32 v2, v2, v15, vcc_lo
	v_cmp_eq_u32_e32 vcc_lo, 7, v71
	v_cndmask_b32_e64 v5, v5, v4, s7
	v_cndmask_b32_e64 v9, v9, v4, s6
	;; [unrolled: 1-line block ×3, first 2 shown]
	v_cmp_eq_u32_e64 s7, 7, v70
	v_cndmask_b32_e32 v1, v1, v12, vcc_lo
	v_cndmask_b32_e64 v7, v13, v4, s4
	v_cndmask_b32_e64 v3, v3, v8, s4
	;; [unrolled: 1-line block ×3, first 2 shown]
	v_cmp_eq_u32_e64 s4, 7, v69
	v_cndmask_b32_e64 v4, v10, v8, s6
	v_cndmask_b32_e64 v5, v5, v12, s7
	;; [unrolled: 1-line block ×3, first 2 shown]
	v_cndmask_b32_e32 v2, v2, v16, vcc_lo
	v_cndmask_b32_e64 v7, v7, v12, s4
	v_cndmask_b32_e64 v3, v3, v16, s4
	;; [unrolled: 1-line block ×4, first 2 shown]
	v_cmp_gt_u32_e32 vcc_lo, 32, v0
	v_perm_b32 v4, v2, v1, 0x5040100
	v_perm_b32 v3, v3, v7, 0x5040100
	v_perm_b32 v2, v8, v9, 0x5040100
	v_perm_b32 v1, v6, v5, 0x5040100
	s_and_b32 s2, vcc_lo, s2
	ds_store_b128 v74, v[1:4]
	s_waitcnt lgkmcnt(0)
	s_barrier
	buffer_gl0_inv
	s_and_saveexec_b32 s4, s2
	s_cbranch_execz .LBB836_2
; %bb.15:
	s_load_b64 s[4:5], s[0:1], 0x68
	v_lshlrev_b32_e32 v0, 10, v0
	v_add_nc_u32_e32 v2, s33, v66
	v_lshlrev_b32_e32 v3, 4, v67
	s_lshl_b32 s0, s36, 6
	s_delay_alu instid0(SALU_CYCLE_1) | instskip(NEXT) | instid1(VALU_DEP_2)
	s_mul_i32 s1, s0, s34
	v_mul_lo_u32 v1, v2, s0
	s_delay_alu instid0(VALU_DEP_2)
	v_and_or_b32 v0, 0x3800, v0, v3
	v_add_nc_u32_e32 v3, 2, v2
	s_mul_i32 s6, s1, s9
	v_add_nc_u32_e32 v4, 4, v2
	s_ashr_i32 s7, s6, 31
	v_lshl_or_b32 v11, v66, 6, v0
	s_lshl_b64 s[6:7], s[6:7], 1
	v_mul_lo_u32 v15, v3, s0
	v_mul_lo_u32 v17, v4, s0
	v_ashrrev_i32_e32 v2, 31, v1
	ds_load_b128 v[3:6], v11
	ds_load_b128 v[7:10], v11 offset:128
	ds_load_b128 v[11:14], v11 offset:256
	s_waitcnt lgkmcnt(0)
	s_add_u32 s1, s4, s6
	s_addc_u32 s2, s5, s7
	s_lshl_b32 s4, s14, 6
	v_ashrrev_i32_e32 v16, 31, v15
	s_ashr_i32 s5, s4, 31
	v_lshlrev_b64 v[19:20], 1, v[1:2]
	s_lshl_b64 s[4:5], s[4:5], 1
	v_ashrrev_i32_e32 v18, 31, v17
	s_add_u32 s1, s1, s4
	s_addc_u32 s2, s2, s5
	v_add_co_u32 v1, s1, s1, v65
	s_delay_alu instid0(VALU_DEP_1) | instskip(SKIP_1) | instid1(VALU_DEP_3)
	v_add_co_ci_u32_e64 v2, null, s2, 0, s1
	v_lshlrev_b64 v[15:16], 1, v[15:16]
	v_add_co_u32 v19, vcc_lo, v1, v19
	v_lshlrev_b64 v[17:18], 1, v[17:18]
	s_delay_alu instid0(VALU_DEP_4) | instskip(NEXT) | instid1(VALU_DEP_4)
	v_add_co_ci_u32_e32 v20, vcc_lo, v2, v20, vcc_lo
	v_add_co_u32 v15, vcc_lo, v1, v15
	v_add_co_ci_u32_e32 v16, vcc_lo, v2, v16, vcc_lo
	s_delay_alu instid0(VALU_DEP_4)
	v_add_co_u32 v17, vcc_lo, v1, v17
	v_add_co_ci_u32_e32 v18, vcc_lo, v2, v18, vcc_lo
	s_clause 0x2
	global_store_b128 v[19:20], v[3:6], off
	global_store_b128 v[15:16], v[7:10], off
	;; [unrolled: 1-line block ×3, first 2 shown]
	s_and_b32 exec_lo, exec_lo, s3
	s_cbranch_execz .LBB836_2
; %bb.16:
	ds_load_b128 v[3:6], v0 offset:384
	s_add_i32 s1, s33, 6
	s_delay_alu instid0(SALU_CYCLE_1) | instskip(NEXT) | instid1(SALU_CYCLE_1)
	s_mul_i32 s0, s1, s0
	s_ashr_i32 s1, s0, 31
	s_delay_alu instid0(SALU_CYCLE_1) | instskip(NEXT) | instid1(SALU_CYCLE_1)
	s_lshl_b64 s[0:1], s[0:1], 1
	v_add_co_u32 v0, vcc_lo, v1, s0
	v_add_co_ci_u32_e32 v1, vcc_lo, s1, v2, vcc_lo
	s_waitcnt lgkmcnt(0)
	global_store_b128 v[0:1], v[3:6], off
	s_nop 0
	s_sendmsg sendmsg(MSG_DEALLOC_VGPRS)
	s_endpgm
	.section	.rodata,"a",@progbits
	.p2align	6, 0x0
	.amdhsa_kernel _Z39paged_attention_ll4mi_QKV_mfma16_kernelIDF16_hLN4vllm18Fp8KVCacheDataTypeE1EDF16_Li16ELi64ELi256ELb0ELi7EL8MFMAType1EEvPKT_PKT0_S8_ifPKiSA_SA_iPKfiiiPfSD_PS3_PT2_iSC_SC_
		.amdhsa_group_segment_fixed_size 17472
		.amdhsa_private_segment_fixed_size 0
		.amdhsa_kernarg_size 400
		.amdhsa_user_sgpr_count 13
		.amdhsa_user_sgpr_dispatch_ptr 0
		.amdhsa_user_sgpr_queue_ptr 0
		.amdhsa_user_sgpr_kernarg_segment_ptr 1
		.amdhsa_user_sgpr_dispatch_id 0
		.amdhsa_user_sgpr_private_segment_size 0
		.amdhsa_wavefront_size32 1
		.amdhsa_uses_dynamic_stack 0
		.amdhsa_enable_private_segment 0
		.amdhsa_system_sgpr_workgroup_id_x 1
		.amdhsa_system_sgpr_workgroup_id_y 1
		.amdhsa_system_sgpr_workgroup_id_z 1
		.amdhsa_system_sgpr_workgroup_info 0
		.amdhsa_system_vgpr_workitem_id 0
		.amdhsa_next_free_vgpr 146
		.amdhsa_next_free_sgpr 37
		.amdhsa_reserve_vcc 1
		.amdhsa_float_round_mode_32 0
		.amdhsa_float_round_mode_16_64 0
		.amdhsa_float_denorm_mode_32 3
		.amdhsa_float_denorm_mode_16_64 3
		.amdhsa_dx10_clamp 1
		.amdhsa_ieee_mode 1
		.amdhsa_fp16_overflow 0
		.amdhsa_workgroup_processor_mode 1
		.amdhsa_memory_ordered 1
		.amdhsa_forward_progress 0
		.amdhsa_shared_vgpr_count 0
		.amdhsa_exception_fp_ieee_invalid_op 0
		.amdhsa_exception_fp_denorm_src 0
		.amdhsa_exception_fp_ieee_div_zero 0
		.amdhsa_exception_fp_ieee_overflow 0
		.amdhsa_exception_fp_ieee_underflow 0
		.amdhsa_exception_fp_ieee_inexact 0
		.amdhsa_exception_int_div_zero 0
	.end_amdhsa_kernel
	.section	.text._Z39paged_attention_ll4mi_QKV_mfma16_kernelIDF16_hLN4vllm18Fp8KVCacheDataTypeE1EDF16_Li16ELi64ELi256ELb0ELi7EL8MFMAType1EEvPKT_PKT0_S8_ifPKiSA_SA_iPKfiiiPfSD_PS3_PT2_iSC_SC_,"axG",@progbits,_Z39paged_attention_ll4mi_QKV_mfma16_kernelIDF16_hLN4vllm18Fp8KVCacheDataTypeE1EDF16_Li16ELi64ELi256ELb0ELi7EL8MFMAType1EEvPKT_PKT0_S8_ifPKiSA_SA_iPKfiiiPfSD_PS3_PT2_iSC_SC_,comdat
.Lfunc_end836:
	.size	_Z39paged_attention_ll4mi_QKV_mfma16_kernelIDF16_hLN4vllm18Fp8KVCacheDataTypeE1EDF16_Li16ELi64ELi256ELb0ELi7EL8MFMAType1EEvPKT_PKT0_S8_ifPKiSA_SA_iPKfiiiPfSD_PS3_PT2_iSC_SC_, .Lfunc_end836-_Z39paged_attention_ll4mi_QKV_mfma16_kernelIDF16_hLN4vllm18Fp8KVCacheDataTypeE1EDF16_Li16ELi64ELi256ELb0ELi7EL8MFMAType1EEvPKT_PKT0_S8_ifPKiSA_SA_iPKfiiiPfSD_PS3_PT2_iSC_SC_
                                        ; -- End function
	.section	.AMDGPU.csdata,"",@progbits
; Kernel info:
; codeLenInByte = 6532
; NumSgprs: 39
; NumVgprs: 146
; ScratchSize: 0
; MemoryBound: 0
; FloatMode: 240
; IeeeMode: 1
; LDSByteSize: 17472 bytes/workgroup (compile time only)
; SGPRBlocks: 4
; VGPRBlocks: 18
; NumSGPRsForWavesPerEU: 39
; NumVGPRsForWavesPerEU: 146
; Occupancy: 9
; WaveLimiterHint : 1
; COMPUTE_PGM_RSRC2:SCRATCH_EN: 0
; COMPUTE_PGM_RSRC2:USER_SGPR: 13
; COMPUTE_PGM_RSRC2:TRAP_HANDLER: 0
; COMPUTE_PGM_RSRC2:TGID_X_EN: 1
; COMPUTE_PGM_RSRC2:TGID_Y_EN: 1
; COMPUTE_PGM_RSRC2:TGID_Z_EN: 1
; COMPUTE_PGM_RSRC2:TIDIG_COMP_CNT: 0
	.section	.text._Z39paged_attention_ll4mi_QKV_mfma16_kernelIDF16_hLN4vllm18Fp8KVCacheDataTypeE1EDF16_Li16ELi64ELi256ELb0ELi8EL8MFMAType1EEvPKT_PKT0_S8_ifPKiSA_SA_iPKfiiiPfSD_PS3_PT2_iSC_SC_,"axG",@progbits,_Z39paged_attention_ll4mi_QKV_mfma16_kernelIDF16_hLN4vllm18Fp8KVCacheDataTypeE1EDF16_Li16ELi64ELi256ELb0ELi8EL8MFMAType1EEvPKT_PKT0_S8_ifPKiSA_SA_iPKfiiiPfSD_PS3_PT2_iSC_SC_,comdat
	.protected	_Z39paged_attention_ll4mi_QKV_mfma16_kernelIDF16_hLN4vllm18Fp8KVCacheDataTypeE1EDF16_Li16ELi64ELi256ELb0ELi8EL8MFMAType1EEvPKT_PKT0_S8_ifPKiSA_SA_iPKfiiiPfSD_PS3_PT2_iSC_SC_ ; -- Begin function _Z39paged_attention_ll4mi_QKV_mfma16_kernelIDF16_hLN4vllm18Fp8KVCacheDataTypeE1EDF16_Li16ELi64ELi256ELb0ELi8EL8MFMAType1EEvPKT_PKT0_S8_ifPKiSA_SA_iPKfiiiPfSD_PS3_PT2_iSC_SC_
	.globl	_Z39paged_attention_ll4mi_QKV_mfma16_kernelIDF16_hLN4vllm18Fp8KVCacheDataTypeE1EDF16_Li16ELi64ELi256ELb0ELi8EL8MFMAType1EEvPKT_PKT0_S8_ifPKiSA_SA_iPKfiiiPfSD_PS3_PT2_iSC_SC_
	.p2align	8
	.type	_Z39paged_attention_ll4mi_QKV_mfma16_kernelIDF16_hLN4vllm18Fp8KVCacheDataTypeE1EDF16_Li16ELi64ELi256ELb0ELi8EL8MFMAType1EEvPKT_PKT0_S8_ifPKiSA_SA_iPKfiiiPfSD_PS3_PT2_iSC_SC_,@function
_Z39paged_attention_ll4mi_QKV_mfma16_kernelIDF16_hLN4vllm18Fp8KVCacheDataTypeE1EDF16_Li16ELi64ELi256ELb0ELi8EL8MFMAType1EEvPKT_PKT0_S8_ifPKiSA_SA_iPKfiiiPfSD_PS3_PT2_iSC_SC_: ; @_Z39paged_attention_ll4mi_QKV_mfma16_kernelIDF16_hLN4vllm18Fp8KVCacheDataTypeE1EDF16_Li16ELi64ELi256ELb0ELi8EL8MFMAType1EEvPKT_PKT0_S8_ifPKiSA_SA_iPKfiiiPfSD_PS3_PT2_iSC_SC_
; %bb.0:
	s_load_b64 s[2:3], s[0:1], 0x30
	s_mov_b32 s34, s13
	s_waitcnt lgkmcnt(0)
	s_cmp_lg_u64 s[2:3], 0
	s_cselect_b32 s8, -1, 0
	s_ashr_i32 s35, s13, 31
	s_cmp_eq_u64 s[2:3], 0
	s_cbranch_scc1 .LBB837_3
; %bb.1:
	s_lshl_b64 s[4:5], s[34:35], 2
	s_delay_alu instid0(SALU_CYCLE_1) | instskip(SKIP_4) | instid1(SALU_CYCLE_1)
	s_add_u32 s4, s2, s4
	s_addc_u32 s5, s3, s5
	s_load_b64 s[4:5], s[4:5], 0x0
	s_waitcnt lgkmcnt(0)
	s_sub_i32 s4, s5, s4
	s_cmp_eq_u32 s4, 1
	s_cselect_b32 s4, -1, 0
	s_delay_alu instid0(SALU_CYCLE_1)
	s_and_not1_b32 vcc_lo, exec_lo, s4
	s_cbranch_vccz .LBB837_4
.LBB837_2:
	s_endpgm
.LBB837_3:
.LBB837_4:
	s_load_b64 s[4:5], s[0:1], 0x28
	s_lshl_b64 s[6:7], s[34:35], 2
	s_waitcnt lgkmcnt(0)
	s_add_u32 s4, s4, s6
	s_addc_u32 s5, s5, s7
	s_lshl_b32 s12, s14, 8
	s_load_b32 s24, s[4:5], 0x0
	s_waitcnt lgkmcnt(0)
	s_cmp_ge_i32 s12, s24
	s_cbranch_scc1 .LBB837_2
; %bb.5:
	s_clause 0x1
	s_load_b128 s[20:23], s[0:1], 0x8
	s_load_b64 s[4:5], s[0:1], 0x20
	s_and_not1_b32 vcc_lo, exec_lo, s8
	s_cbranch_vccnz .LBB837_7
; %bb.6:
	s_add_u32 s2, s2, s6
	s_addc_u32 s3, s3, s7
	s_load_b32 s3, s[2:3], 0x0
	s_branch .LBB837_8
.LBB837_7:
	s_mov_b32 s3, s34
.LBB837_8:
	s_load_b128 s[16:19], s[0:1], 0x48
	v_and_b32_e32 v69, 15, v0
	v_cmp_gt_u32_e32 vcc_lo, 0x80, v0
	v_lshrrev_b32_e32 v68, 5, v0
	v_and_b32_e32 v70, 31, v0
	v_and_b32_e32 v66, 1, v0
	v_lshlrev_b32_e32 v1, 3, v69
	v_cmp_gt_u32_e64 s2, 8, v69
	v_bfe_u32 v67, v0, 4, 1
	s_lshl_b32 s31, s15, 3
	s_delay_alu instid0(VALU_DEP_3) | instskip(NEXT) | instid1(VALU_DEP_3)
	v_lshlrev_b32_e32 v65, 1, v1
	s_and_b32 s7, vcc_lo, s2
	s_delay_alu instid0(SALU_CYCLE_1)
	s_and_saveexec_b32 s6, s7
	s_cbranch_execz .LBB837_10
; %bb.9:
	v_lshl_or_b32 v5, v68, 1, v67
	s_load_b64 s[8:9], s[0:1], 0x0
	s_waitcnt lgkmcnt(0)
	s_mul_hi_i32 s11, s3, s16
	s_mul_i32 s10, s3, s16
	v_lshlrev_b32_e32 v6, 10, v69
	v_or_b32_e32 v1, s31, v5
	s_lshl_b64 s[10:11], s[10:11], 1
	v_lshlrev_b32_e32 v5, 6, v5
	v_lshlrev_b32_e32 v7, 10, v66
	v_and_b32_e32 v6, 0x3800, v6
	v_lshlrev_b32_e32 v1, 6, v1
	s_delay_alu instid0(VALU_DEP_2) | instskip(NEXT) | instid1(VALU_DEP_2)
	v_or3_b32 v5, v6, v7, v5
	v_ashrrev_i32_e32 v2, 31, v1
	s_delay_alu instid0(VALU_DEP_1) | instskip(SKIP_2) | instid1(VALU_DEP_1)
	v_lshlrev_b64 v[1:2], 1, v[1:2]
	s_add_u32 s3, s8, s10
	s_addc_u32 s7, s9, s11
	v_add_co_u32 v1, vcc_lo, s3, v1
	s_delay_alu instid0(VALU_DEP_2) | instskip(NEXT) | instid1(VALU_DEP_2)
	v_add_co_ci_u32_e32 v2, vcc_lo, s7, v2, vcc_lo
	v_add_co_u32 v1, vcc_lo, v1, v65
	s_delay_alu instid0(VALU_DEP_2)
	v_add_co_ci_u32_e32 v2, vcc_lo, 0, v2, vcc_lo
	global_load_b128 v[1:4], v[1:2], off
	s_waitcnt vmcnt(0)
	ds_store_b128 v5, v[1:4]
.LBB837_10:
	s_or_b32 exec_lo, exec_lo, s6
	v_and_b32_e32 v1, 0xef, v0
	s_waitcnt lgkmcnt(0)
	s_add_i32 s3, s24, 15
	s_clause 0x1
	s_load_b32 s6, s[0:1], 0x38
	s_load_b32 s33, s[0:1], 0x98
	s_ashr_i32 s7, s3, 31
	v_add_nc_u32_e32 v1, s12, v1
	s_lshr_b32 s7, s7, 28
	s_load_b32 s19, s[0:1], 0x1c
	s_add_i32 s3, s3, s7
	s_waitcnt lgkmcnt(0)
	v_ashrrev_i32_e32 v2, 31, v1
	v_or_b32_e32 v3, 16, v1
	s_ashr_i32 s3, s3, 4
	v_cmp_gt_i32_e32 vcc_lo, s24, v1
	s_add_i32 s3, s3, -1
	v_lshrrev_b32_e32 v2, 28, v2
	s_barrier
	buffer_gl0_inv
	s_mul_i32 s27, s15, s18
	v_add_nc_u32_e32 v4, v1, v2
	s_mul_i32 s6, s34, s6
	s_delay_alu instid0(SALU_CYCLE_1) | instskip(NEXT) | instid1(VALU_DEP_1)
	s_ashr_i32 s7, s6, 31
	v_ashrrev_i32_e32 v4, 4, v4
	v_add_nc_u32_e32 v2, v3, v2
	s_lshl_b64 s[6:7], s[6:7], 2
	s_delay_alu instid0(SALU_CYCLE_1) | instskip(NEXT) | instid1(VALU_DEP_2)
	s_add_u32 s26, s4, s6
	v_cndmask_b32_e32 v1, s3, v4, vcc_lo
	s_delay_alu instid0(VALU_DEP_2)
	v_ashrrev_i32_e32 v2, 4, v2
	v_cmp_gt_i32_e32 vcc_lo, s24, v3
	s_addc_u32 s25, s5, s7
	s_ashr_i32 s28, s27, 31
	s_add_u32 s13, s20, s27
	s_addc_u32 s15, s21, s28
	v_cndmask_b32_e32 v3, s3, v2, vcc_lo
	v_ashrrev_i32_e32 v2, 31, v1
	s_lshl_b32 s4, s14, 4
	s_delay_alu instid0(SALU_CYCLE_1) | instskip(NEXT) | instid1(VALU_DEP_2)
	s_ashr_i32 s5, s4, 31
	v_ashrrev_i32_e32 v4, 31, v3
	s_delay_alu instid0(VALU_DEP_2) | instskip(SKIP_1) | instid1(SALU_CYCLE_1)
	v_lshlrev_b64 v[1:2], 2, v[1:2]
	s_lshl_b64 s[4:5], s[4:5], 2
	s_add_u32 s4, s26, s4
	s_delay_alu instid0(VALU_DEP_2) | instskip(SKIP_1) | instid1(VALU_DEP_2)
	v_lshlrev_b64 v[3:4], 2, v[3:4]
	s_addc_u32 s5, s25, s5
	v_add_co_u32 v1, vcc_lo, s26, v1
	v_add_co_ci_u32_e32 v2, vcc_lo, s25, v2, vcc_lo
	s_delay_alu instid0(VALU_DEP_3) | instskip(NEXT) | instid1(VALU_DEP_4)
	v_add_co_u32 v3, vcc_lo, s26, v3
	v_add_co_ci_u32_e32 v4, vcc_lo, s25, v4, vcc_lo
	s_clause 0x1
	global_load_b32 v5, v[1:2], off
	global_load_b32 v7, v[3:4], off
	s_or_b32 s6, s12, 32
	v_lshlrev_b32_e32 v1, 4, v0
	s_ashr_i32 s7, s6, 4
	s_cmp_lt_i32 s6, s24
	s_cselect_b32 s6, s7, s3
	s_delay_alu instid0(VALU_DEP_1) | instskip(SKIP_1) | instid1(SALU_CYCLE_1)
	v_and_b32_e32 v1, 0xf0, v1
	s_ashr_i32 s7, s6, 31
	s_lshl_b64 s[6:7], s[6:7], 2
	s_delay_alu instid0(SALU_CYCLE_1)
	s_add_u32 s6, s26, s6
	s_addc_u32 s7, s25, s7
	s_or_b32 s8, s12, 64
	v_add_co_u32 v1, s13, s13, v1
	s_ashr_i32 s9, s8, 4
	s_cmp_lt_i32 s8, s24
	v_add_co_ci_u32_e64 v2, null, s15, 0, s13
	s_cselect_b32 s8, s9, s3
	s_delay_alu instid0(SALU_CYCLE_1) | instskip(NEXT) | instid1(SALU_CYCLE_1)
	s_ashr_i32 s9, s8, 31
	s_lshl_b64 s[8:9], s[8:9], 2
	s_delay_alu instid0(SALU_CYCLE_1) | instskip(SKIP_2) | instid1(SALU_CYCLE_1)
	s_add_u32 s8, s26, s8
	s_addc_u32 s9, s25, s9
	s_or_b32 s10, s12, 0x60
	s_ashr_i32 s11, s10, 4
	s_cmp_lt_i32 s10, s24
	s_cselect_b32 s10, s11, s3
	s_delay_alu instid0(SALU_CYCLE_1) | instskip(NEXT) | instid1(SALU_CYCLE_1)
	s_ashr_i32 s11, s10, 31
	s_lshl_b64 s[10:11], s[10:11], 2
	s_delay_alu instid0(SALU_CYCLE_1) | instskip(SKIP_2) | instid1(SALU_CYCLE_1)
	s_add_u32 s10, s26, s10
	s_addc_u32 s11, s25, s11
	s_or_b32 s16, s12, 0x80
	s_ashr_i32 s18, s16, 4
	s_cmp_lt_i32 s16, s24
	;; [unrolled: 10-line block ×3, first 2 shown]
	s_cselect_b32 s20, s18, s3
	s_delay_alu instid0(SALU_CYCLE_1) | instskip(NEXT) | instid1(SALU_CYCLE_1)
	s_ashr_i32 s21, s20, 31
	s_lshl_b64 s[20:21], s[20:21], 2
	s_delay_alu instid0(SALU_CYCLE_1)
	s_add_u32 s38, s26, s20
	s_addc_u32 s39, s25, s21
	s_clause 0x5
	s_load_b32 s21, s[4:5], 0x0
	s_load_b32 s13, s[6:7], 0x0
	;; [unrolled: 1-line block ×6, first 2 shown]
	s_or_b32 s7, s12, 0xc0
	s_mov_b32 s4, 0
	s_ashr_i32 s8, s7, 4
	s_cmp_lt_i32 s7, s24
	s_mov_b32 s5, s4
	s_cselect_b32 s10, s8, s3
	s_mov_b32 s6, s4
	s_ashr_i32 s11, s10, 31
	s_mov_b32 s7, s4
	s_lshl_b64 s[36:37], s[10:11], 2
	s_mov_b32 s11, s4
	s_add_u32 s36, s26, s36
	s_addc_u32 s37, s25, s37
	s_or_b32 s29, s12, 0xe0
	s_mov_b32 s8, s4
	s_ashr_i32 s30, s29, 4
	s_mov_b32 s9, s4
	s_mov_b32 s10, s4
	s_cmp_lt_i32 s29, s24
	v_mov_b32_e32 v102, s11
	v_dual_mov_b32 v96, s5 :: v_dual_mov_b32 v101, s10
	v_dual_mov_b32 v100, s9 :: v_dual_mov_b32 v99, s8
	;; [unrolled: 1-line block ×3, first 2 shown]
	v_mov_b32_e32 v95, s4
	s_cselect_b32 s4, s30, s3
	s_delay_alu instid0(SALU_CYCLE_1) | instskip(NEXT) | instid1(SALU_CYCLE_1)
	s_ashr_i32 s5, s4, 31
	s_lshl_b64 s[4:5], s[4:5], 2
	s_delay_alu instid0(SALU_CYCLE_1)
	s_add_u32 s4, s26, s4
	s_addc_u32 s5, s25, s5
	s_add_u32 s6, s22, s27
	s_addc_u32 s7, s23, s28
	s_waitcnt vmcnt(1)
	v_mad_i64_i32 v[3:4], null, v5, s17, v[1:2]
	s_waitcnt vmcnt(0)
	v_mad_i64_i32 v[5:6], null, v7, s17, v[1:2]
	v_and_b32_e32 v1, 7, v0
	v_lshlrev_b32_e32 v2, 4, v69
	s_clause 0x7
	global_load_b128 v[57:60], v[3:4], off
	global_load_b128 v[61:64], v[3:4], off offset:256
	global_load_b128 v[71:74], v[5:6], off
	global_load_b128 v[75:78], v[5:6], off offset:256
	global_load_b128 v[79:82], v[3:4], off offset:512
	;; [unrolled: 1-line block ×5, first 2 shown]
	v_lshlrev_b32_e32 v121, 6, v1
	v_lshl_or_b32 v1, v68, 8, v2
	s_load_b32 s3, s[36:37], 0x0
	ds_load_b128 v[103:106], v121
	ds_load_b128 v[107:110], v121 offset:1024
	s_load_b32 s4, s[4:5], 0x0
	v_add_co_u32 v17, s6, s6, v1
	s_delay_alu instid0(VALU_DEP_1) | instskip(SKIP_1) | instid1(VALU_DEP_1)
	v_add_co_ci_u32_e64 v18, null, s7, 0, s6
	s_waitcnt lgkmcnt(0)
	v_mad_i64_i32 v[1:2], null, s21, s17, v[17:18]
	v_mad_i64_i32 v[3:4], null, s13, s17, v[17:18]
	;; [unrolled: 1-line block ×7, first 2 shown]
	s_clause 0x9
	global_load_b128 v[49:52], v[1:2], off
	global_load_b128 v[53:56], v[1:2], off offset:16
	global_load_b128 v[41:44], v[3:4], off
	global_load_b128 v[45:48], v[3:4], off offset:16
	;; [unrolled: 2-line block ×5, first 2 shown]
	v_mad_i64_i32 v[119:120], null, s4, s17, v[17:18]
	s_clause 0x3
	global_load_b128 v[17:20], v[21:22], off
	global_load_b128 v[21:24], v[21:22], off offset:16
	global_load_b128 v[25:28], v[29:30], off
	global_load_b128 v[29:32], v[29:30], off offset:16
	s_waitcnt vmcnt(20)
	v_wmma_f32_16x16x16_f16 v[111:118], v[57:64], v[103:110], v[95:102]
	s_clause 0x1
	global_load_b128 v[57:60], v[119:120], off
	global_load_b128 v[61:64], v[119:120], off offset:16
	s_waitcnt vmcnt(20)
	v_wmma_f32_16x16x16_f16 v[95:102], v[71:78], v[103:110], v[95:102]
	ds_load_b128 v[71:74], v121 offset:2048
	ds_load_b128 v[75:78], v121 offset:3072
	v_mbcnt_lo_u32_b32 v104, -1, 0
	s_waitcnt vmcnt(0) lgkmcnt(0)
	s_barrier
	buffer_gl0_inv
	v_xor_b32_e32 v105, 16, v104
	s_delay_alu instid0(VALU_DEP_1) | instskip(SKIP_4) | instid1(VALU_DEP_2)
	v_cmp_gt_i32_e32 vcc_lo, 32, v105
	v_cndmask_b32_e32 v104, v104, v105, vcc_lo
	v_wmma_f32_16x16x16_f16 v[95:102], v[87:94], v[71:78], v[95:102]
	v_and_b32_e32 v103, 0xe0, v0
	v_wmma_f32_16x16x16_f16 v[111:118], v[79:86], v[71:78], v[111:118]
	v_dual_mul_f32 v90, s19, v101 :: v_dual_add_nc_u32 v103, s12, v103
	s_delay_alu instid0(VALU_DEP_2) | instskip(NEXT) | instid1(VALU_DEP_3)
	v_dual_mul_f32 v94, s19, v97 :: v_dual_mul_f32 v87, s19, v112
	v_dual_mul_f32 v88, s19, v111 :: v_dual_mul_f32 v77, s19, v114
	s_delay_alu instid0(VALU_DEP_3) | instskip(SKIP_3) | instid1(VALU_DEP_4)
	v_or_b32_e32 v103, v103, v67
	v_dual_mul_f32 v78, s19, v113 :: v_dual_mul_f32 v75, s19, v116
	v_dual_mul_f32 v76, s19, v115 :: v_dual_mul_f32 v73, s19, v118
	v_mul_f32_e32 v92, s19, v99
	v_or_b32_e32 v105, 2, v103
	v_or_b32_e32 v106, 4, v103
	;; [unrolled: 1-line block ×3, first 2 shown]
	v_cmp_gt_i32_e64 s3, s24, v103
	v_or_b32_e32 v108, 8, v103
	v_cmp_gt_i32_e32 vcc_lo, s24, v105
	v_or_b32_e32 v109, 10, v103
	v_cmp_gt_i32_e64 s4, s24, v106
	v_cndmask_b32_e64 v88, 0xff7fffff, v88, s3
	v_cmp_gt_i32_e64 s5, s24, v107
	v_cndmask_b32_e32 v87, 0xff7fffff, v87, vcc_lo
	v_or_b32_e32 v79, 12, v103
	v_or_b32_e32 v80, 14, v103
	v_cndmask_b32_e64 v78, 0xff7fffff, v78, s4
	v_cndmask_b32_e64 v77, 0xff7fffff, v77, s5
	v_max3_f32 v87, v88, 0xff7fffff, v87
	v_cmp_gt_i32_e64 s6, s24, v108
	v_cmp_gt_i32_e64 s7, s24, v109
	v_or_b32_e32 v81, 16, v103
	v_or_b32_e32 v82, 18, v103
	v_mul_f32_e32 v74, s19, v117
	v_cndmask_b32_e64 v76, 0xff7fffff, v76, s6
	v_cndmask_b32_e64 v75, 0xff7fffff, v75, s7
	v_max3_f32 v77, v87, v78, v77
	v_cmp_gt_i32_e64 s8, s24, v79
	v_cmp_gt_i32_e64 s9, s24, v80
	v_or_b32_e32 v83, 20, v103
	v_or_b32_e32 v84, 22, v103
	;; [unrolled: 1-line block ×6, first 2 shown]
	v_mul_f32_e32 v105, s19, v96
	v_mul_f32_e32 v103, s19, v95
	v_cndmask_b32_e64 v74, 0xff7fffff, v74, s8
	v_cndmask_b32_e64 v73, 0xff7fffff, v73, s9
	v_max3_f32 v75, v77, v76, v75
	v_cmp_gt_i32_e64 s10, s24, v81
	v_cmp_gt_i32_e64 s11, s24, v82
	v_mul_f32_e32 v93, s19, v98
	v_cmp_gt_i32_e64 s12, s24, v83
	v_max3_f32 v73, v75, v74, v73
	v_cndmask_b32_e64 v76, 0xff7fffff, v103, s10
	v_cndmask_b32_e64 v77, 0xff7fffff, v105, s11
	v_cmp_gt_i32_e64 s13, s24, v84
	v_mul_f32_e32 v91, s19, v100
	v_cndmask_b32_e64 v74, 0xff7fffff, v94, s12
	v_cmp_gt_i32_e64 s15, s24, v85
	v_max3_f32 v73, v73, v76, v77
	v_cndmask_b32_e64 v75, 0xff7fffff, v93, s13
	v_cmp_gt_i32_e64 s16, s24, v86
	v_mul_f32_e32 v89, s19, v102
	v_cndmask_b32_e64 v76, 0xff7fffff, v92, s15
	v_cmp_gt_i32_e64 s17, s24, v71
	v_max3_f32 v73, v73, v74, v75
	v_cndmask_b32_e64 v77, 0xff7fffff, v91, s16
	v_cmp_gt_i32_e64 s18, s24, v72
	v_lshlrev_b32_e32 v74, 2, v104
	v_cndmask_b32_e64 v71, 0xff7fffff, v90, s17
	s_delay_alu instid0(VALU_DEP_4) | instskip(NEXT) | instid1(VALU_DEP_4)
	v_max3_f32 v73, v73, v76, v77
	v_cndmask_b32_e64 v72, 0xff7fffff, v89, s18
	s_delay_alu instid0(VALU_DEP_1) | instskip(SKIP_3) | instid1(VALU_DEP_1)
	v_max3_f32 v71, v73, v71, v72
	ds_bpermute_b32 v72, v74, v71
	s_waitcnt lgkmcnt(0)
	v_max_f32_e32 v72, v72, v72
	v_max_f32_e32 v71, v71, v72
	s_delay_alu instid0(VALU_DEP_1)
	v_fma_f32 v72, s19, v111, -v71
	v_fma_f32 v76, s19, v114, -v71
	;; [unrolled: 1-line block ×5, first 2 shown]
	v_mul_f32_e32 v72, 0x3fb8aa3b, v72
	v_mul_f32_e32 v76, 0x3fb8aa3b, v76
	v_fma_f32 v75, s19, v113, -v71
	v_mul_f32_e32 v79, 0x3fb8aa3b, v77
	v_mul_f32_e32 v87, 0x3fb8aa3b, v86
	v_exp_f32_e32 v72, v72
	v_exp_f32_e32 v76, v76
	v_fma_f32 v81, s19, v117, -v71
	v_exp_f32_e32 v82, v79
	v_exp_f32_e32 v87, v87
	v_fma_f32 v84, s19, v96, -v71
	s_delay_alu instid0(VALU_DEP_2) | instskip(SKIP_3) | instid1(TRANS32_DEP_3)
	v_mul_f32_e32 v81, 0x3fb8aa3b, v81
	v_cndmask_b32_e64 v78, 0, v72, s3
	v_fma_f32 v72, s19, v116, -v71
	v_mul_f32_e32 v73, 0x3fb8aa3b, v73
	v_cndmask_b32_e64 v79, 0, v76, s5
	v_fma_f32 v76, s19, v95, -v71
	s_delay_alu instid0(VALU_DEP_4) | instskip(NEXT) | instid1(VALU_DEP_4)
	v_dual_mul_f32 v75, 0x3fb8aa3b, v75 :: v_dual_mul_f32 v72, 0x3fb8aa3b, v72
	v_exp_f32_e32 v73, v73
	v_cndmask_b32_e64 v87, 0, v87, s13
	s_delay_alu instid0(VALU_DEP_3) | instskip(NEXT) | instid1(VALU_DEP_3)
	v_mul_f32_e32 v76, 0x3fb8aa3b, v76
	v_exp_f32_e32 v75, v75
	v_exp_f32_e32 v72, v72
	;; [unrolled: 1-line block ×3, first 2 shown]
	v_cndmask_b32_e64 v82, 0, v82, s6
	v_mul_f32_e32 v85, 0x3fb8aa3b, v84
	v_exp_f32_e32 v76, v76
	s_mov_b32 s3, exec_lo
	v_cndmask_b32_e32 v77, 0, v73, vcc_lo
	v_add_f32_e32 v73, 0, v78
	v_exp_f32_e32 v85, v85
	v_cndmask_b32_e64 v80, 0, v75, s4
	v_fma_f32 v75, s19, v118, -v71
	v_cndmask_b32_e64 v81, 0, v72, s7
	v_add_f32_e32 v73, v73, v77
	v_cndmask_b32_e64 v84, 0, v83, s8
	v_cndmask_b32_e64 v86, 0, v76, s10
	v_mul_f32_e32 v75, 0x3fb8aa3b, v75
	s_delay_alu instid0(VALU_DEP_4) | instskip(NEXT) | instid1(TRANS32_DEP_1)
	v_add_f32_e32 v73, v73, v80
	v_cndmask_b32_e64 v85, 0, v85, s11
	s_delay_alu instid0(VALU_DEP_3) | instskip(NEXT) | instid1(VALU_DEP_2)
	v_exp_f32_e32 v75, v75
	v_add_f32_e32 v73, v73, v79
	s_delay_alu instid0(VALU_DEP_1) | instskip(SKIP_3) | instid1(VALU_DEP_1)
	v_add_f32_e32 v72, v73, v82
	s_waitcnt_depctr 0xfff
	v_cndmask_b32_e64 v83, 0, v75, s9
	v_add_f32_e32 v72, v72, v81
	v_add_f32_e32 v72, v72, v84
	s_delay_alu instid0(VALU_DEP_1) | instskip(NEXT) | instid1(VALU_DEP_1)
	v_add_f32_e32 v72, v72, v83
	v_add_f32_e32 v72, v72, v86
	s_delay_alu instid0(VALU_DEP_1) | instskip(SKIP_4) | instid1(VALU_DEP_4)
	v_add_f32_e32 v72, v72, v85
	v_fma_f32 v73, s19, v97, -v71
	v_fma_f32 v75, s19, v99, -v71
	v_fma_f32 v76, s19, v100, -v71
	v_fma_f32 v89, s19, v101, -v71
	v_mul_f32_e32 v73, 0x3fb8aa3b, v73
	s_delay_alu instid0(VALU_DEP_3) | instskip(NEXT) | instid1(VALU_DEP_2)
	v_dual_mul_f32 v75, 0x3fb8aa3b, v75 :: v_dual_mul_f32 v76, 0x3fb8aa3b, v76
	v_exp_f32_e32 v73, v73
	s_delay_alu instid0(VALU_DEP_1) | instskip(NEXT) | instid1(VALU_DEP_1)
	v_exp_f32_e32 v75, v75
	v_exp_f32_e32 v76, v76
	s_delay_alu instid0(TRANS32_DEP_3)
	v_cndmask_b32_e64 v88, 0, v73, s12
	v_mul_f32_e32 v73, 0x3fb8aa3b, v89
	v_fma_f32 v89, s19, v102, -v71
	s_waitcnt_depctr 0xfff
	v_cndmask_b32_e64 v90, 0, v75, s15
	v_add_f32_e32 v72, v72, v88
	v_exp_f32_e32 v73, v73
	v_mul_f32_e32 v75, 0x3fb8aa3b, v89
	v_cndmask_b32_e64 v89, 0, v76, s16
	s_delay_alu instid0(VALU_DEP_3) | instskip(NEXT) | instid1(VALU_DEP_3)
	v_add_f32_e32 v72, v72, v87
	v_exp_f32_e32 v75, v75
	s_delay_alu instid0(VALU_DEP_1) | instskip(SKIP_4) | instid1(VALU_DEP_2)
	v_add_f32_e32 v72, v72, v90
	s_waitcnt_depctr 0xfff
	v_cndmask_b32_e64 v92, 0, v73, s17
	v_add_f32_e32 v72, v72, v89
	v_cndmask_b32_e64 v91, 0, v75, s18
	v_add_f32_e32 v72, v72, v92
	s_delay_alu instid0(VALU_DEP_1)
	v_add_f32_e32 v72, v72, v91
	ds_bpermute_b32 v73, v74, v72
	v_cmpx_gt_u32_e32 16, v70
	s_cbranch_execz .LBB837_12
; %bb.11:
	v_mul_u32_u24_e32 v70, 0x44, v68
	s_waitcnt lgkmcnt(0)
	v_add_f32_e32 v72, v72, v73
	s_delay_alu instid0(VALU_DEP_2) | instskip(NEXT) | instid1(VALU_DEP_1)
	v_lshl_add_u32 v70, v69, 2, v70
	v_add_nc_u32_e32 v70, 0x4000, v70
	ds_store_2addr_b32 v70, v71, v72 offset1:136
.LBB837_12:
	s_or_b32 exec_lo, exec_lo, s3
	v_lshlrev_b32_e32 v70, 2, v69
	s_load_b32 s35, s[0:1], 0x94
	s_waitcnt lgkmcnt(0)
	s_barrier
	buffer_gl0_inv
	v_add_nc_u32_e32 v74, 0x4000, v70
	v_cmp_eq_u32_e32 vcc_lo, 1, v68
	v_cmp_eq_u32_e64 s3, 2, v68
	v_cmp_eq_u32_e64 s4, 3, v68
	;; [unrolled: 1-line block ×3, first 2 shown]
	ds_load_2addr_b32 v[70:71], v74 offset1:17
	ds_load_2addr_b32 v[72:73], v74 offset0:34 offset1:51
	ds_load_2addr_b32 v[93:94], v74 offset0:68 offset1:85
	;; [unrolled: 1-line block ×3, first 2 shown]
	v_cmp_eq_u32_e64 s6, 5, v68
	v_cmp_eq_u32_e64 s7, 7, v68
	s_waitcnt lgkmcnt(3)
	v_max3_f32 v75, v70, 0xff7fffff, v71
	s_waitcnt lgkmcnt(2)
	s_delay_alu instid0(VALU_DEP_1) | instskip(SKIP_1) | instid1(VALU_DEP_1)
	v_max3_f32 v75, v75, v72, v73
	s_waitcnt lgkmcnt(1)
	v_max3_f32 v75, v75, v93, v94
	s_waitcnt lgkmcnt(0)
	s_delay_alu instid0(VALU_DEP_1) | instskip(NEXT) | instid1(VALU_DEP_1)
	v_max3_f32 v75, v75, v95, v96
	v_sub_f32_e32 v93, v93, v75
	ds_load_2addr_b32 v[97:98], v74 offset0:136 offset1:153
	v_sub_f32_e32 v70, v70, v75
	v_dual_sub_f32 v100, v73, v75 :: v_dual_mul_f32 v103, 0x3fb8aa3b, v93
	s_delay_alu instid0(VALU_DEP_2) | instskip(SKIP_3) | instid1(VALU_DEP_1)
	v_dual_sub_f32 v76, v71, v75 :: v_dual_mul_f32 v99, 0x3fb8aa3b, v70
	ds_load_2addr_b32 v[70:71], v74 offset0:170 offset1:187
	v_mul_f32_e32 v76, 0x3fb8aa3b, v76
	v_exp_f32_e32 v99, v99
	v_exp_f32_e32 v102, v76
	v_mul_f32_e32 v100, 0x3fb8aa3b, v100
	s_waitcnt lgkmcnt(1)
	s_waitcnt_depctr 0xfff
	v_fma_f32 v76, v99, v97, 0
	v_sub_f32_e32 v97, v94, v75
	v_sub_f32_e32 v72, v72, v75
	v_exp_f32_e32 v100, v100
	ds_load_2addr_b32 v[93:94], v74 offset0:238 offset1:255
	v_dual_fmac_f32 v76, v102, v98 :: v_dual_mul_f32 v101, 0x3fb8aa3b, v72
	ds_load_2addr_b32 v[72:73], v74 offset0:204 offset1:221
	v_dual_sub_f32 v74, v95, v75 :: v_dual_mul_f32 v95, 0x3fb8aa3b, v97
	v_exp_f32_e32 v97, v103
	v_exp_f32_e32 v101, v101
	s_waitcnt lgkmcnt(0)
	s_delay_alu instid0(VALU_DEP_1)
	v_mul_f32_e32 v74, 0x3fb8aa3b, v74
	v_exp_f32_e32 v95, v95
	s_barrier
	buffer_gl0_inv
	v_fmac_f32_e32 v76, v101, v70
	v_sub_f32_e32 v70, v96, v75
	v_exp_f32_e32 v96, v74
	s_delay_alu instid0(VALU_DEP_2) | instskip(NEXT) | instid1(VALU_DEP_2)
	v_fmac_f32_e32 v76, v100, v71
	v_mul_f32_e32 v70, 0x3fb8aa3b, v70
	s_delay_alu instid0(VALU_DEP_2) | instskip(NEXT) | instid1(VALU_DEP_2)
	v_dual_cndmask_b32 v71, v99, v102 :: v_dual_fmac_f32 v76, v97, v72
	v_exp_f32_e32 v98, v70
	v_lshlrev_b32_e32 v72, 6, v69
	s_delay_alu instid0(VALU_DEP_2) | instskip(NEXT) | instid1(VALU_DEP_2)
	v_dual_fmac_f32 v76, v95, v73 :: v_dual_lshlrev_b32 v69, 2, v67
	v_lshl_or_b32 v74, v68, 11, v72
	s_delay_alu instid0(VALU_DEP_2)
	v_cmp_eq_u32_e64 s8, 7, v69
	s_delay_alu instid0(TRANS32_DEP_2) | instid1(VALU_DEP_3)
	v_fmac_f32_e32 v76, v96, v93
	s_waitcnt_depctr 0xfff
	v_fmac_f32_e32 v76, v98, v94
	s_delay_alu instid0(VALU_DEP_1) | instskip(NEXT) | instid1(VALU_DEP_1)
	v_add_f32_e32 v73, 0x358637bd, v76
	v_div_scale_f32 v93, null, v73, v73, 1.0
	v_div_scale_f32 v99, vcc_lo, 1.0, v73, 1.0
	s_delay_alu instid0(VALU_DEP_2) | instskip(SKIP_2) | instid1(VALU_DEP_1)
	v_rcp_f32_e32 v94, v93
	s_waitcnt_depctr 0xfff
	v_fma_f32 v70, -v93, v94, 1.0
	v_fmac_f32_e32 v94, v70, v94
	v_cndmask_b32_e64 v70, v71, v101, s3
	v_cmp_eq_u32_e64 s3, 6, v68
	v_or_b32_e32 v71, 1, v69
	v_or_b32_e32 v68, 2, v69
	v_mul_f32_e32 v101, v99, v94
	v_cndmask_b32_e64 v70, v70, v100, s4
	v_cmp_eq_u32_e64 s4, 1, v69
	v_cmp_eq_u32_e64 s9, 1, v71
	;; [unrolled: 1-line block ×3, first 2 shown]
	v_fma_f32 v100, -v93, v101, v99
	v_cndmask_b32_e64 v70, v70, v97, s5
	v_cmp_eq_u32_e64 s5, 2, v69
	v_cmp_eq_u32_e64 s12, 2, v71
	v_cmp_eq_u32_e64 s15, 2, v68
	v_fmac_f32_e32 v101, v100, v94
	v_cndmask_b32_e64 v95, v70, v95, s6
	v_or_b32_e32 v70, 3, v69
	v_cmp_eq_u32_e64 s13, 3, v71
	v_cmp_eq_u32_e64 s17, 3, v68
	v_fma_f32 v93, -v93, v101, v99
	v_cndmask_b32_e64 v95, v95, v96, s3
	v_cmp_eq_u32_e64 s11, 1, v70
	v_cmp_eq_u32_e64 s16, 2, v70
	v_cmp_eq_u32_e64 s18, 3, v70
	v_div_fmas_f32 v93, v93, v94, v101
	v_cndmask_b32_e64 v94, v95, v98, s7
	v_cmp_eq_u32_e32 vcc_lo, 3, v69
	v_cmp_eq_u32_e64 s3, 4, v69
	v_cmp_eq_u32_e64 s19, 4, v71
	v_div_fixup_f32 v93, v93, v73, 1.0
	v_lshl_or_b32 v73, v67, 4, v74
	v_cmp_eq_u32_e64 s22, 4, v70
	v_cmp_eq_u32_e64 s6, 5, v69
	;; [unrolled: 1-line block ×3, first 2 shown]
	v_mul_f32_e32 v101, v94, v93
	v_cmp_eq_u32_e64 s21, 4, v68
	v_cmp_eq_u32_e64 s24, 5, v70
	;; [unrolled: 1-line block ×4, first 2 shown]
	v_fma_mixlo_f16 v93, v101, v78, 0
	v_fma_mixlo_f16 v94, v101, v80, 0
	;; [unrolled: 1-line block ×8, first 2 shown]
	v_fma_mixhi_f16 v93, v101, v77, 0
	v_fma_mixhi_f16 v94, v101, v79, 0
	;; [unrolled: 1-line block ×8, first 2 shown]
	ds_store_b128 v73, v[93:96]
	ds_store_b128 v73, v[97:100] offset:1024
	s_waitcnt lgkmcnt(0)
	s_barrier
	buffer_gl0_inv
	ds_load_b128 v[77:80], v74
	ds_load_b128 v[81:84], v74 offset:16
	ds_load_b128 v[85:88], v74 offset:1024
	;; [unrolled: 1-line block ×3, first 2 shown]
	v_cmp_eq_u32_e64 s27, 6, v70
	v_cmp_eq_u32_e64 s7, 6, v69
	;; [unrolled: 1-line block ×6, first 2 shown]
	s_waitcnt lgkmcnt(3)
	v_lshrrev_b32_e32 v93, 16, v77
	s_waitcnt lgkmcnt(2)
	v_lshrrev_b32_e32 v97, 16, v81
	;; [unrolled: 2-line block ×4, first 2 shown]
	v_lshrrev_b32_e32 v94, 16, v78
	v_cndmask_b32_e64 v109, v77, v93, s4
	v_cndmask_b32_e64 v110, v81, v97, s4
	;; [unrolled: 1-line block ×8, first 2 shown]
	v_lshrrev_b32_e32 v98, 16, v82
	v_cndmask_b32_e64 v93, v85, v101, s4
	v_cndmask_b32_e64 v97, v89, v105, s4
	;; [unrolled: 1-line block ×15, first 2 shown]
	v_lshrrev_b32_e32 v102, 16, v86
	v_lshrrev_b32_e32 v106, 16, v90
	v_cndmask_b32_e64 v112, v114, v82, s15
	v_cndmask_b32_e64 v81, v93, v86, s5
	v_cndmask_b32_e64 v82, v97, v90, s5
	v_cndmask_b32_e64 v93, v115, v86, s12
	v_cndmask_b32_e64 v97, v117, v86, s15
	v_cndmask_b32_e64 v85, v85, v86, s16
	v_cndmask_b32_e64 v86, v89, v90, s16
	v_cndmask_b32_e32 v89, v101, v94, vcc_lo
	v_cndmask_b32_e32 v101, v105, v98, vcc_lo
	v_cndmask_b32_e64 v105, v109, v94, s13
	v_cndmask_b32_e64 v109, v110, v98, s13
	v_cndmask_b32_e64 v77, v77, v94, s18
	v_cndmask_b32_e64 v78, v78, v98, s18
	v_lshrrev_b32_e32 v95, 16, v79
	v_lshrrev_b32_e32 v99, 16, v83
	v_cndmask_b32_e64 v110, v111, v94, s17
	v_cndmask_b32_e64 v111, v112, v98, s17
	v_cndmask_b32_e32 v81, v81, v102, vcc_lo
	v_cndmask_b32_e32 v82, v82, v106, vcc_lo
	v_cndmask_b32_e64 v93, v93, v102, s13
	v_cndmask_b32_e64 v89, v89, v79, s3
	;; [unrolled: 1-line block ×7, first 2 shown]
	v_lshrrev_b32_e32 v103, 16, v87
	v_cndmask_b32_e64 v105, v110, v79, s21
	v_cndmask_b32_e64 v109, v111, v83, s21
	;; [unrolled: 1-line block ×11, first 2 shown]
	v_lshrrev_b32_e32 v96, 16, v80
	v_lshrrev_b32_e32 v100, 16, v84
	v_cndmask_b32_e64 v98, v105, v95, s23
	v_cndmask_b32_e64 v101, v109, v99, s23
	;; [unrolled: 1-line block ×7, first 2 shown]
	v_lshrrev_b32_e32 v104, 16, v88
	v_cndmask_b32_e64 v79, v79, v103, s6
	v_cndmask_b32_e64 v83, v83, v80, s7
	v_cndmask_b32_e64 v89, v89, v84, s7
	v_cndmask_b32_e64 v95, v98, v80, s26
	v_cndmask_b32_e64 v98, v101, v84, s26
	v_cndmask_b32_e64 v80, v82, v88, s25
	v_cndmask_b32_e64 v84, v93, v96, s30
	v_cndmask_b32_e64 v77, v77, v96, s29
	v_cndmask_b32_e64 v78, v78, v100, s29
	v_cndmask_b32_e64 v94, v94, v100, s30
	v_cndmask_b32_e64 v79, v79, v88, s7
	v_cndmask_b32_e64 v82, v83, v96, s8
	v_cndmask_b32_e64 v83, v89, v100, s8
	v_cndmask_b32_e64 v89, v95, v96, s28
	v_cndmask_b32_e64 v93, v98, v100, s28
	v_cndmask_b32_e64 v96, v80, v104, s30
	v_perm_b32 v80, v78, v77, 0x5040100
	v_perm_b32 v78, v94, v84, 0x5040100
	v_cndmask_b32_e64 v77, v118, v90, s15
	v_cndmask_b32_e64 v84, v116, v90, s12
	;; [unrolled: 1-line block ×3, first 2 shown]
	v_perm_b32 v79, v93, v89, 0x5040100
	v_cndmask_b32_e64 v89, v97, v102, s17
	v_cndmask_b32_e64 v85, v85, v102, s18
	;; [unrolled: 1-line block ×5, first 2 shown]
	v_lshrrev_b32_e32 v107, 16, v91
	v_cndmask_b32_e64 v89, v89, v87, s21
	v_cndmask_b32_e64 v85, v85, v87, s22
	;; [unrolled: 1-line block ×11, first 2 shown]
	v_lshrrev_b32_e32 v108, 16, v92
	v_cndmask_b32_e64 v81, v81, v92, s7
	v_cndmask_b32_e64 v87, v87, v88, s26
	;; [unrolled: 1-line block ×12, first 2 shown]
	v_perm_b32 v77, v83, v82, 0x5040100
	v_perm_b32 v84, v86, v85, 0x5040100
	;; [unrolled: 1-line block ×5, first 2 shown]
	s_lshl_b32 s8, s33, 3
	s_mov_b32 s3, exec_lo
	ds_store_b128 v73, v[77:80]
	ds_store_b128 v73, v[81:84] offset:1024
	v_cmpx_gt_u32_e32 8, v0
	s_cbranch_execz .LBB837_14
; %bb.13:
	v_or_b32_e32 v77, s31, v0
	s_load_b128 s[4:7], s[0:1], 0x58
	s_delay_alu instid0(VALU_DEP_1) | instskip(NEXT) | instid1(VALU_DEP_1)
	v_mad_u64_u32 v[78:79], null, s8, s34, v[77:78]
	v_mad_u64_u32 v[79:80], null, v78, s35, s[14:15]
	s_delay_alu instid0(VALU_DEP_1) | instskip(NEXT) | instid1(VALU_DEP_1)
	v_ashrrev_i32_e32 v80, 31, v79
	v_lshlrev_b64 v[77:78], 2, v[79:80]
	s_waitcnt lgkmcnt(0)
	s_delay_alu instid0(VALU_DEP_1) | instskip(NEXT) | instid1(VALU_DEP_2)
	v_add_co_u32 v79, vcc_lo, s6, v77
	v_add_co_ci_u32_e32 v80, vcc_lo, s7, v78, vcc_lo
	v_add_co_u32 v77, vcc_lo, s4, v77
	v_add_co_ci_u32_e32 v78, vcc_lo, s5, v78, vcc_lo
	global_store_b32 v[79:80], v75, off
	global_store_b32 v[77:78], v76, off
.LBB837_14:
	s_or_b32 exec_lo, exec_lo, s3
	s_waitcnt lgkmcnt(0)
	s_waitcnt_vscnt null, 0x0
	s_barrier
	buffer_gl0_inv
	ds_load_b128 v[83:86], v72
	ds_load_b128 v[87:90], v72 offset:16
	ds_load_b128 v[95:98], v72 offset:2064
	;; [unrolled: 1-line block ×5, first 2 shown]
	v_cmp_eq_u32_e32 vcc_lo, 1, v69
	v_mov_b32_e32 v75, 0
	ds_load_b128 v[111:114], v72 offset:6160
	ds_load_b128 v[107:110], v72 offset:6144
	;; [unrolled: 1-line block ×4, first 2 shown]
	v_cmp_eq_u32_e64 s4, 1, v68
	v_cmp_eq_u32_e64 s3, 1, v71
	;; [unrolled: 1-line block ×3, first 2 shown]
	v_mov_b32_e32 v76, v75
	v_mov_b32_e32 v77, v75
	v_mov_b32_e32 v78, v75
	v_mov_b32_e32 v79, v75
	v_mov_b32_e32 v80, v75
	v_mov_b32_e32 v81, v75
	v_mov_b32_e32 v82, v75
	v_cmp_eq_u32_e64 s6, 3, v71
	v_cmp_eq_u32_e64 s7, 7, v71
	s_waitcnt lgkmcnt(8)
	s_delay_alu instid0(VALU_DEP_3)
	v_wmma_f32_16x16x16_f16 v[75:82], v[49:56], v[83:90], v[75:82]
	ds_load_b128 v[53:56], v72 offset:10256
	ds_load_b128 v[49:52], v72 offset:10240
	s_waitcnt lgkmcnt(8)
	v_wmma_f32_16x16x16_f16 v[75:82], v[41:48], v[91:98], v[75:82]
	ds_load_b128 v[45:48], v72 offset:12304
	ds_load_b128 v[41:44], v72 offset:12288
	s_waitcnt lgkmcnt(8)
	;; [unrolled: 4-line block ×3, first 2 shown]
	s_barrier
	buffer_gl0_inv
	v_wmma_f32_16x16x16_f16 v[75:82], v[1:8], v[107:114], v[75:82]
	s_delay_alu instid0(VALU_DEP_1) | instskip(NEXT) | instid1(VALU_DEP_1)
	v_wmma_f32_16x16x16_f16 v[75:82], v[9:16], v[115:122], v[75:82]
	v_wmma_f32_16x16x16_f16 v[75:82], v[17:24], v[49:56], v[75:82]
	s_delay_alu instid0(VALU_DEP_1) | instskip(NEXT) | instid1(VALU_DEP_1)
	v_wmma_f32_16x16x16_f16 v[75:82], v[25:32], v[41:48], v[75:82]
	v_wmma_f32_16x16x16_f16 v[75:82], v[57:64], v[33:40], v[75:82]
	s_delay_alu instid0(VALU_DEP_1) | instskip(NEXT) | instid1(VALU_DEP_2)
	v_cvt_f16_f32_e32 v1, v75
	v_cvt_f16_f32_e32 v2, v76
	s_delay_alu instid0(VALU_DEP_3) | instskip(NEXT) | instid1(VALU_DEP_4)
	v_cvt_f16_f32_e32 v3, v77
	v_cvt_f16_f32_e32 v4, v78
	;; [unrolled: 1-line block ×6, first 2 shown]
	v_pack_b32_f16 v1, v1, v2
	v_pack_b32_f16 v2, v3, v4
	;; [unrolled: 1-line block ×3, first 2 shown]
	s_delay_alu instid0(VALU_DEP_4)
	v_pack_b32_f16 v4, v7, v8
	ds_store_b128 v73, v[1:4]
	s_waitcnt lgkmcnt(0)
	s_barrier
	buffer_gl0_inv
	ds_load_b128 v[1:4], v74
	ds_load_b128 v[5:8], v74 offset:16
	s_waitcnt lgkmcnt(1)
	v_lshrrev_b32_e32 v9, 16, v1
	s_waitcnt lgkmcnt(0)
	v_lshrrev_b32_e32 v13, 16, v5
	v_lshrrev_b32_e32 v10, 16, v2
	;; [unrolled: 1-line block ×4, first 2 shown]
	v_cndmask_b32_e32 v17, v1, v9, vcc_lo
	v_cndmask_b32_e32 v18, v5, v13, vcc_lo
	v_cndmask_b32_e64 v21, v1, v9, s4
	v_cmp_eq_u32_e32 vcc_lo, 1, v70
	v_cndmask_b32_e64 v22, v5, v13, s4
	v_cmp_eq_u32_e64 s4, 2, v69
	v_cndmask_b32_e64 v19, v1, v9, s3
	v_cndmask_b32_e64 v20, v5, v13, s3
	v_cndmask_b32_e32 v1, v1, v9, vcc_lo
	v_cmp_eq_u32_e64 s3, 2, v70
	v_cndmask_b32_e32 v5, v5, v13, vcc_lo
	v_cndmask_b32_e64 v9, v17, v2, s4
	v_cmp_eq_u32_e32 vcc_lo, 3, v69
	v_cndmask_b32_e64 v13, v18, v6, s4
	v_cmp_eq_u32_e64 s4, 2, v68
	v_cndmask_b32_e64 v17, v19, v2, s5
	v_cndmask_b32_e64 v18, v20, v6, s5
	v_cmp_eq_u32_e64 s5, 3, v68
	v_cndmask_b32_e64 v1, v1, v2, s3
	v_cndmask_b32_e64 v19, v21, v2, s4
	v_cndmask_b32_e64 v20, v22, v6, s4
	v_cndmask_b32_e64 v2, v5, v6, s3
	v_cndmask_b32_e32 v5, v9, v10, vcc_lo
	v_cndmask_b32_e32 v6, v13, v14, vcc_lo
	v_cmp_eq_u32_e32 vcc_lo, 3, v70
	v_cndmask_b32_e64 v9, v17, v10, s6
	v_cndmask_b32_e64 v13, v18, v14, s6
	;; [unrolled: 1-line block ×3, first 2 shown]
	v_cmp_eq_u32_e64 s4, 4, v69
	v_cndmask_b32_e32 v1, v1, v10, vcc_lo
	v_cndmask_b32_e32 v2, v2, v14, vcc_lo
	v_cmp_eq_u32_e32 vcc_lo, 4, v71
	v_lshrrev_b32_e32 v15, 16, v7
	v_lshrrev_b32_e32 v16, 16, v8
	v_cndmask_b32_e64 v17, v19, v10, s5
	v_cmp_eq_u32_e64 s3, 4, v70
	v_cndmask_b32_e64 v5, v5, v3, s4
	v_cndmask_b32_e64 v6, v6, v7, s4
	v_cndmask_b32_e32 v9, v9, v3, vcc_lo
	v_cmp_eq_u32_e64 s4, 5, v71
	v_cndmask_b32_e32 v10, v13, v7, vcc_lo
	v_cmp_eq_u32_e32 vcc_lo, 4, v68
	v_cmp_eq_u32_e64 s5, 5, v69
	v_cndmask_b32_e64 v2, v2, v7, s3
	v_cndmask_b32_e64 v9, v9, v11, s4
	;; [unrolled: 1-line block ×3, first 2 shown]
	v_cndmask_b32_e32 v13, v17, v3, vcc_lo
	v_cmp_eq_u32_e64 s4, 5, v68
	v_cndmask_b32_e32 v14, v18, v7, vcc_lo
	v_cndmask_b32_e64 v1, v1, v3, s3
	v_cmp_eq_u32_e32 vcc_lo, 5, v70
	v_lshrrev_b32_e32 v12, 16, v4
	v_cndmask_b32_e64 v13, v13, v11, s4
	v_cndmask_b32_e64 v3, v14, v15, s4
	v_cmp_eq_u32_e64 s4, 6, v70
	v_cndmask_b32_e32 v1, v1, v11, vcc_lo
	v_cndmask_b32_e64 v5, v5, v11, s5
	v_cmp_eq_u32_e64 s6, 6, v69
	v_cndmask_b32_e64 v6, v6, v15, s5
	v_cmp_eq_u32_e64 s5, 6, v71
	v_cmp_eq_u32_e64 s3, 6, v68
	v_cndmask_b32_e64 v1, v1, v4, s4
	v_cndmask_b32_e32 v2, v2, v15, vcc_lo
	v_cmp_eq_u32_e32 vcc_lo, 7, v70
	v_cndmask_b32_e64 v5, v5, v4, s6
	v_cndmask_b32_e64 v9, v9, v4, s5
	;; [unrolled: 1-line block ×3, first 2 shown]
	v_cmp_eq_u32_e64 s6, 7, v69
	v_cndmask_b32_e32 v1, v1, v12, vcc_lo
	v_cndmask_b32_e64 v7, v13, v4, s3
	v_cndmask_b32_e64 v3, v3, v8, s3
	;; [unrolled: 1-line block ×3, first 2 shown]
	v_cmp_eq_u32_e64 s3, 7, v68
	v_cndmask_b32_e64 v4, v10, v8, s5
	v_cndmask_b32_e64 v5, v5, v12, s6
	;; [unrolled: 1-line block ×3, first 2 shown]
	v_cndmask_b32_e32 v2, v2, v16, vcc_lo
	v_cndmask_b32_e64 v7, v7, v12, s3
	v_cndmask_b32_e64 v3, v3, v16, s3
	;; [unrolled: 1-line block ×4, first 2 shown]
	v_cmp_gt_u32_e32 vcc_lo, 32, v0
	v_perm_b32 v4, v2, v1, 0x5040100
	v_perm_b32 v3, v3, v7, 0x5040100
	v_perm_b32 v2, v8, v9, 0x5040100
	v_perm_b32 v1, v6, v5, 0x5040100
	s_and_b32 s2, vcc_lo, s2
	ds_store_b128 v73, v[1:4]
	s_waitcnt lgkmcnt(0)
	s_barrier
	buffer_gl0_inv
	s_and_saveexec_b32 s3, s2
	s_cbranch_execz .LBB837_2
; %bb.15:
	s_load_b64 s[0:1], s[0:1], 0x68
	s_lshl_b32 s4, s35, 6
	v_or_b32_e32 v2, s31, v67
	s_mul_i32 s2, s4, s34
	v_lshlrev_b32_e32 v1, 10, v0
	s_mul_i32 s2, s2, s8
	v_lshlrev_b32_e32 v3, 4, v66
	v_mul_lo_u32 v0, v2, s4
	s_ashr_i32 s3, s2, 31
	v_lshlrev_b32_e32 v4, 6, v67
	v_and_b32_e32 v1, 0x3800, v1
	v_or_b32_e32 v5, 2, v2
	s_lshl_b64 s[2:3], s[2:3], 1
	v_or_b32_e32 v6, 4, v2
	v_or_b32_e32 v7, 6, v2
	v_or3_b32 v12, v1, v3, v4
	v_ashrrev_i32_e32 v1, 31, v0
	v_mul_lo_u32 v2, v5, s4
	v_mul_lo_u32 v16, v6, s4
	;; [unrolled: 1-line block ×3, first 2 shown]
	s_waitcnt lgkmcnt(0)
	s_add_u32 s2, s0, s2
	s_addc_u32 s3, s1, s3
	s_lshl_b32 s0, s14, 6
	v_lshlrev_b64 v[0:1], 1, v[0:1]
	s_ashr_i32 s1, s0, 31
	v_ashrrev_i32_e32 v3, 31, v2
	s_lshl_b64 s[0:1], s[0:1], 1
	v_ashrrev_i32_e32 v17, 31, v16
	s_add_u32 s0, s2, s0
	s_addc_u32 s1, s3, s1
	v_add_co_u32 v24, s0, s0, v65
	s_delay_alu instid0(VALU_DEP_1) | instskip(SKIP_1) | instid1(VALU_DEP_3)
	v_add_co_ci_u32_e64 v25, null, s1, 0, s0
	v_lshlrev_b64 v[22:23], 1, v[2:3]
	v_add_co_u32 v18, vcc_lo, v24, v0
	s_delay_alu instid0(VALU_DEP_3)
	v_add_co_ci_u32_e32 v19, vcc_lo, v25, v1, vcc_lo
	ds_load_b128 v[0:3], v12
	ds_load_b128 v[4:7], v12 offset:128
	ds_load_b128 v[8:11], v12 offset:256
	;; [unrolled: 1-line block ×3, first 2 shown]
	v_ashrrev_i32_e32 v21, 31, v20
	v_lshlrev_b64 v[16:17], 1, v[16:17]
	v_add_co_u32 v22, vcc_lo, v24, v22
	v_add_co_ci_u32_e32 v23, vcc_lo, v25, v23, vcc_lo
	s_delay_alu instid0(VALU_DEP_4) | instskip(NEXT) | instid1(VALU_DEP_4)
	v_lshlrev_b64 v[20:21], 1, v[20:21]
	v_add_co_u32 v16, vcc_lo, v24, v16
	v_add_co_ci_u32_e32 v17, vcc_lo, v25, v17, vcc_lo
	s_delay_alu instid0(VALU_DEP_3) | instskip(NEXT) | instid1(VALU_DEP_4)
	v_add_co_u32 v20, vcc_lo, v24, v20
	v_add_co_ci_u32_e32 v21, vcc_lo, v25, v21, vcc_lo
	s_waitcnt lgkmcnt(3)
	global_store_b128 v[18:19], v[0:3], off
	s_waitcnt lgkmcnt(2)
	global_store_b128 v[22:23], v[4:7], off
	;; [unrolled: 2-line block ×4, first 2 shown]
	s_nop 0
	s_sendmsg sendmsg(MSG_DEALLOC_VGPRS)
	s_endpgm
	.section	.rodata,"a",@progbits
	.p2align	6, 0x0
	.amdhsa_kernel _Z39paged_attention_ll4mi_QKV_mfma16_kernelIDF16_hLN4vllm18Fp8KVCacheDataTypeE1EDF16_Li16ELi64ELi256ELb0ELi8EL8MFMAType1EEvPKT_PKT0_S8_ifPKiSA_SA_iPKfiiiPfSD_PS3_PT2_iSC_SC_
		.amdhsa_group_segment_fixed_size 17472
		.amdhsa_private_segment_fixed_size 0
		.amdhsa_kernarg_size 400
		.amdhsa_user_sgpr_count 13
		.amdhsa_user_sgpr_dispatch_ptr 0
		.amdhsa_user_sgpr_queue_ptr 0
		.amdhsa_user_sgpr_kernarg_segment_ptr 1
		.amdhsa_user_sgpr_dispatch_id 0
		.amdhsa_user_sgpr_private_segment_size 0
		.amdhsa_wavefront_size32 1
		.amdhsa_uses_dynamic_stack 0
		.amdhsa_enable_private_segment 0
		.amdhsa_system_sgpr_workgroup_id_x 1
		.amdhsa_system_sgpr_workgroup_id_y 1
		.amdhsa_system_sgpr_workgroup_id_z 1
		.amdhsa_system_sgpr_workgroup_info 0
		.amdhsa_system_vgpr_workitem_id 0
		.amdhsa_next_free_vgpr 123
		.amdhsa_next_free_sgpr 40
		.amdhsa_reserve_vcc 1
		.amdhsa_float_round_mode_32 0
		.amdhsa_float_round_mode_16_64 0
		.amdhsa_float_denorm_mode_32 3
		.amdhsa_float_denorm_mode_16_64 3
		.amdhsa_dx10_clamp 1
		.amdhsa_ieee_mode 1
		.amdhsa_fp16_overflow 0
		.amdhsa_workgroup_processor_mode 1
		.amdhsa_memory_ordered 1
		.amdhsa_forward_progress 0
		.amdhsa_shared_vgpr_count 0
		.amdhsa_exception_fp_ieee_invalid_op 0
		.amdhsa_exception_fp_denorm_src 0
		.amdhsa_exception_fp_ieee_div_zero 0
		.amdhsa_exception_fp_ieee_overflow 0
		.amdhsa_exception_fp_ieee_underflow 0
		.amdhsa_exception_fp_ieee_inexact 0
		.amdhsa_exception_int_div_zero 0
	.end_amdhsa_kernel
	.section	.text._Z39paged_attention_ll4mi_QKV_mfma16_kernelIDF16_hLN4vllm18Fp8KVCacheDataTypeE1EDF16_Li16ELi64ELi256ELb0ELi8EL8MFMAType1EEvPKT_PKT0_S8_ifPKiSA_SA_iPKfiiiPfSD_PS3_PT2_iSC_SC_,"axG",@progbits,_Z39paged_attention_ll4mi_QKV_mfma16_kernelIDF16_hLN4vllm18Fp8KVCacheDataTypeE1EDF16_Li16ELi64ELi256ELb0ELi8EL8MFMAType1EEvPKT_PKT0_S8_ifPKiSA_SA_iPKfiiiPfSD_PS3_PT2_iSC_SC_,comdat
.Lfunc_end837:
	.size	_Z39paged_attention_ll4mi_QKV_mfma16_kernelIDF16_hLN4vllm18Fp8KVCacheDataTypeE1EDF16_Li16ELi64ELi256ELb0ELi8EL8MFMAType1EEvPKT_PKT0_S8_ifPKiSA_SA_iPKfiiiPfSD_PS3_PT2_iSC_SC_, .Lfunc_end837-_Z39paged_attention_ll4mi_QKV_mfma16_kernelIDF16_hLN4vllm18Fp8KVCacheDataTypeE1EDF16_Li16ELi64ELi256ELb0ELi8EL8MFMAType1EEvPKT_PKT0_S8_ifPKiSA_SA_iPKfiiiPfSD_PS3_PT2_iSC_SC_
                                        ; -- End function
	.section	.AMDGPU.csdata,"",@progbits
; Kernel info:
; codeLenInByte = 6492
; NumSgprs: 42
; NumVgprs: 123
; ScratchSize: 0
; MemoryBound: 0
; FloatMode: 240
; IeeeMode: 1
; LDSByteSize: 17472 bytes/workgroup (compile time only)
; SGPRBlocks: 5
; VGPRBlocks: 15
; NumSGPRsForWavesPerEU: 42
; NumVGPRsForWavesPerEU: 123
; Occupancy: 10
; WaveLimiterHint : 1
; COMPUTE_PGM_RSRC2:SCRATCH_EN: 0
; COMPUTE_PGM_RSRC2:USER_SGPR: 13
; COMPUTE_PGM_RSRC2:TRAP_HANDLER: 0
; COMPUTE_PGM_RSRC2:TGID_X_EN: 1
; COMPUTE_PGM_RSRC2:TGID_Y_EN: 1
; COMPUTE_PGM_RSRC2:TGID_Z_EN: 1
; COMPUTE_PGM_RSRC2:TIDIG_COMP_CNT: 0
	.section	.text._Z39paged_attention_ll4mi_QKV_mfma16_kernelIDF16_hLN4vllm18Fp8KVCacheDataTypeE1EDF16_Li16ELi64ELi256ELb0ELi9EL8MFMAType1EEvPKT_PKT0_S8_ifPKiSA_SA_iPKfiiiPfSD_PS3_PT2_iSC_SC_,"axG",@progbits,_Z39paged_attention_ll4mi_QKV_mfma16_kernelIDF16_hLN4vllm18Fp8KVCacheDataTypeE1EDF16_Li16ELi64ELi256ELb0ELi9EL8MFMAType1EEvPKT_PKT0_S8_ifPKiSA_SA_iPKfiiiPfSD_PS3_PT2_iSC_SC_,comdat
	.protected	_Z39paged_attention_ll4mi_QKV_mfma16_kernelIDF16_hLN4vllm18Fp8KVCacheDataTypeE1EDF16_Li16ELi64ELi256ELb0ELi9EL8MFMAType1EEvPKT_PKT0_S8_ifPKiSA_SA_iPKfiiiPfSD_PS3_PT2_iSC_SC_ ; -- Begin function _Z39paged_attention_ll4mi_QKV_mfma16_kernelIDF16_hLN4vllm18Fp8KVCacheDataTypeE1EDF16_Li16ELi64ELi256ELb0ELi9EL8MFMAType1EEvPKT_PKT0_S8_ifPKiSA_SA_iPKfiiiPfSD_PS3_PT2_iSC_SC_
	.globl	_Z39paged_attention_ll4mi_QKV_mfma16_kernelIDF16_hLN4vllm18Fp8KVCacheDataTypeE1EDF16_Li16ELi64ELi256ELb0ELi9EL8MFMAType1EEvPKT_PKT0_S8_ifPKiSA_SA_iPKfiiiPfSD_PS3_PT2_iSC_SC_
	.p2align	8
	.type	_Z39paged_attention_ll4mi_QKV_mfma16_kernelIDF16_hLN4vllm18Fp8KVCacheDataTypeE1EDF16_Li16ELi64ELi256ELb0ELi9EL8MFMAType1EEvPKT_PKT0_S8_ifPKiSA_SA_iPKfiiiPfSD_PS3_PT2_iSC_SC_,@function
_Z39paged_attention_ll4mi_QKV_mfma16_kernelIDF16_hLN4vllm18Fp8KVCacheDataTypeE1EDF16_Li16ELi64ELi256ELb0ELi9EL8MFMAType1EEvPKT_PKT0_S8_ifPKiSA_SA_iPKfiiiPfSD_PS3_PT2_iSC_SC_: ; @_Z39paged_attention_ll4mi_QKV_mfma16_kernelIDF16_hLN4vllm18Fp8KVCacheDataTypeE1EDF16_Li16ELi64ELi256ELb0ELi9EL8MFMAType1EEvPKT_PKT0_S8_ifPKiSA_SA_iPKfiiiPfSD_PS3_PT2_iSC_SC_
; %bb.0:
	s_load_b64 s[2:3], s[0:1], 0x30
	s_mov_b32 s34, s13
	s_waitcnt lgkmcnt(0)
	s_cmp_lg_u64 s[2:3], 0
	s_cselect_b32 s6, -1, 0
	s_ashr_i32 s35, s13, 31
	s_cmp_eq_u64 s[2:3], 0
	s_cbranch_scc1 .LBB838_3
; %bb.1:
	s_lshl_b64 s[4:5], s[34:35], 2
	s_delay_alu instid0(SALU_CYCLE_1) | instskip(SKIP_4) | instid1(SALU_CYCLE_1)
	s_add_u32 s4, s2, s4
	s_addc_u32 s5, s3, s5
	s_load_b64 s[4:5], s[4:5], 0x0
	s_waitcnt lgkmcnt(0)
	s_sub_i32 s4, s5, s4
	s_cmp_eq_u32 s4, 1
	s_cselect_b32 s4, -1, 0
	s_delay_alu instid0(SALU_CYCLE_1)
	s_and_not1_b32 vcc_lo, exec_lo, s4
	s_cbranch_vccz .LBB838_4
.LBB838_2:
	s_nop 0
	s_sendmsg sendmsg(MSG_DEALLOC_VGPRS)
	s_endpgm
.LBB838_3:
.LBB838_4:
	s_load_b64 s[8:9], s[0:1], 0x28
	s_lshl_b64 s[4:5], s[34:35], 2
	s_waitcnt lgkmcnt(0)
	s_add_u32 s8, s8, s4
	s_addc_u32 s9, s9, s5
	s_lshl_b32 s16, s14, 8
	s_load_b32 s18, s[8:9], 0x0
	s_waitcnt lgkmcnt(0)
	s_cmp_ge_i32 s16, s18
	s_cbranch_scc1 .LBB838_2
; %bb.5:
	s_clause 0x1
	s_load_b128 s[8:11], s[0:1], 0x8
	s_load_b64 s[12:13], s[0:1], 0x20
	s_and_not1_b32 vcc_lo, exec_lo, s6
	s_cbranch_vccnz .LBB838_7
; %bb.6:
	s_add_u32 s2, s2, s4
	s_addc_u32 s3, s3, s5
	s_load_b32 s3, s[2:3], 0x0
	s_branch .LBB838_8
.LBB838_7:
	s_mov_b32 s3, s34
.LBB838_8:
	s_load_b128 s[4:7], s[0:1], 0x48
	v_lshrrev_b32_e32 v69, 5, v0
	v_bfe_u32 v66, v0, 4, 1
	v_and_b32_e32 v68, 15, v0
	v_and_b32_e32 v70, 31, v0
	;; [unrolled: 1-line block ×3, first 2 shown]
	s_mul_i32 s33, s15, 9
	v_lshl_or_b32 v1, v69, 1, v66
	v_lshlrev_b32_e32 v2, 3, v68
	v_cmp_gt_u32_e64 s2, 8, v68
	s_delay_alu instid0(VALU_DEP_3) | instskip(NEXT) | instid1(VALU_DEP_3)
	v_cmp_gt_u32_e32 vcc_lo, 9, v1
	v_lshlrev_b32_e32 v65, 1, v2
	s_delay_alu instid0(VALU_DEP_3)
	s_and_b32 s17, s2, vcc_lo
	s_waitcnt lgkmcnt(0)
	s_and_saveexec_b32 s7, s17
	s_cbranch_execz .LBB838_10
; %bb.9:
	s_load_b64 s[20:21], s[0:1], 0x0
	v_add_lshl_u32 v2, v1, s33, 6
	s_mul_hi_i32 s23, s3, s4
	s_mul_i32 s22, s3, s4
	v_lshlrev_b32_e32 v6, 10, v68
	s_lshl_b64 s[22:23], s[22:23], 1
	v_ashrrev_i32_e32 v3, 31, v2
	v_lshlrev_b32_e32 v1, 6, v1
	v_lshlrev_b32_e32 v7, 10, v67
	v_and_b32_e32 v6, 0x3800, v6
	s_delay_alu instid0(VALU_DEP_4) | instskip(NEXT) | instid1(VALU_DEP_2)
	v_lshlrev_b64 v[2:3], 1, v[2:3]
	v_or3_b32 v1, v6, v7, v1
	s_waitcnt lgkmcnt(0)
	s_add_u32 s3, s20, s22
	s_addc_u32 s4, s21, s23
	s_delay_alu instid0(VALU_DEP_2) | instskip(SKIP_1) | instid1(VALU_DEP_2)
	v_add_co_u32 v2, vcc_lo, s3, v2
	v_add_co_ci_u32_e32 v3, vcc_lo, s4, v3, vcc_lo
	v_add_co_u32 v2, vcc_lo, v2, v65
	s_delay_alu instid0(VALU_DEP_2)
	v_add_co_ci_u32_e32 v3, vcc_lo, 0, v3, vcc_lo
	global_load_b128 v[2:5], v[2:3], off
	s_waitcnt vmcnt(0)
	ds_store_b128 v1, v[2:5]
.LBB838_10:
	s_or_b32 exec_lo, exec_lo, s7
	v_and_b32_e32 v1, 0xef, v0
	s_add_i32 s3, s18, 15
	s_clause 0x1
	s_load_b32 s4, s[0:1], 0x38
	s_load_b32 s35, s[0:1], 0x98
	s_ashr_i32 s7, s3, 31
	v_add_nc_u32_e32 v1, s16, v1
	s_lshr_b32 s7, s7, 28
	s_load_b32 s19, s[0:1], 0x1c
	v_add_nc_u32_e32 v103, -9, v68
	s_add_i32 s3, s3, s7
	v_ashrrev_i32_e32 v2, 31, v1
	v_or_b32_e32 v3, 16, v1
	s_ashr_i32 s3, s3, 4
	v_cmp_gt_i32_e32 vcc_lo, s18, v1
	s_add_i32 s3, s3, -1
	v_lshrrev_b32_e32 v2, 28, v2
	s_waitcnt lgkmcnt(0)
	s_barrier
	buffer_gl0_inv
	s_mul_i32 s15, s15, s6
	v_add_nc_u32_e32 v4, v1, v2
	v_mbcnt_lo_u32_b32 v127, -1, 0
	s_mul_i32 s20, s34, s4
	s_delay_alu instid0(SALU_CYCLE_1) | instskip(NEXT) | instid1(VALU_DEP_2)
	s_ashr_i32 s21, s20, 31
	v_ashrrev_i32_e32 v4, 4, v4
	v_add_nc_u32_e32 v2, v3, v2
	s_lshl_b64 s[20:21], s[20:21], 2
	v_xor_b32_e32 v128, 16, v127
	s_add_u32 s17, s12, s20
	v_cndmask_b32_e32 v1, s3, v4, vcc_lo
	v_ashrrev_i32_e32 v2, 4, v2
	v_cmp_gt_i32_e32 vcc_lo, s18, v3
	s_addc_u32 s13, s13, s21
	s_ashr_i32 s20, s15, 31
	s_add_u32 s4, s8, s15
	s_addc_u32 s12, s9, s20
	v_cndmask_b32_e32 v3, s3, v2, vcc_lo
	v_ashrrev_i32_e32 v2, 31, v1
	s_lshl_b32 s6, s14, 4
	s_delay_alu instid0(SALU_CYCLE_1) | instskip(NEXT) | instid1(VALU_DEP_2)
	s_ashr_i32 s7, s6, 31
	v_ashrrev_i32_e32 v4, 31, v3
	s_delay_alu instid0(VALU_DEP_2) | instskip(SKIP_1) | instid1(SALU_CYCLE_1)
	v_lshlrev_b64 v[1:2], 2, v[1:2]
	s_lshl_b64 s[6:7], s[6:7], 2
	s_add_u32 s6, s17, s6
	s_delay_alu instid0(VALU_DEP_2) | instskip(SKIP_1) | instid1(VALU_DEP_2)
	v_lshlrev_b64 v[3:4], 2, v[3:4]
	s_addc_u32 s7, s13, s7
	v_add_co_u32 v1, vcc_lo, s17, v1
	v_add_co_ci_u32_e32 v2, vcc_lo, s13, v2, vcc_lo
	s_delay_alu instid0(VALU_DEP_3) | instskip(NEXT) | instid1(VALU_DEP_4)
	v_add_co_u32 v3, vcc_lo, s17, v3
	v_add_co_ci_u32_e32 v4, vcc_lo, s13, v4, vcc_lo
	s_clause 0x1
	global_load_b32 v5, v[1:2], off
	global_load_b32 v7, v[3:4], off
	s_or_b32 s8, s16, 32
	v_lshlrev_b32_e32 v1, 4, v0
	s_ashr_i32 s9, s8, 4
	s_cmp_lt_i32 s8, s18
	v_cmp_gt_u32_e32 vcc_lo, 9, v68
	s_cselect_b32 s8, s9, s3
	v_and_b32_e32 v1, 0xf0, v1
	s_ashr_i32 s9, s8, 31
	s_delay_alu instid0(SALU_CYCLE_1)
	s_lshl_b64 s[8:9], s[8:9], 2
	v_cndmask_b32_e32 v103, v103, v68, vcc_lo
	s_add_u32 s8, s17, s8
	s_addc_u32 s9, s13, s9
	s_or_b32 s21, s16, 64
	v_add_co_u32 v1, s4, s4, v1
	s_ashr_i32 s22, s21, 4
	s_cmp_lt_i32 s21, s18
	v_add_co_ci_u32_e64 v2, null, s12, 0, s4
	s_cselect_b32 s22, s22, s3
	v_cmp_gt_i32_e32 vcc_lo, 32, v128
	s_ashr_i32 s23, s22, 31
	v_lshlrev_b32_e32 v115, 6, v103
	s_lshl_b64 s[22:23], s[22:23], 2
	v_cndmask_b32_e32 v136, v127, v128, vcc_lo
	s_add_u32 s22, s17, s22
	s_addc_u32 s23, s13, s23
	s_or_b32 s21, s16, 0x60
	s_delay_alu instid0(SALU_CYCLE_1) | instskip(SKIP_2) | instid1(SALU_CYCLE_1)
	s_ashr_i32 s24, s21, 4
	s_cmp_lt_i32 s21, s18
	s_cselect_b32 s24, s24, s3
	s_ashr_i32 s25, s24, 31
	s_delay_alu instid0(SALU_CYCLE_1) | instskip(NEXT) | instid1(SALU_CYCLE_1)
	s_lshl_b64 s[24:25], s[24:25], 2
	s_add_u32 s24, s17, s24
	s_addc_u32 s25, s13, s25
	s_or_b32 s21, s16, 0x80
	s_delay_alu instid0(SALU_CYCLE_1) | instskip(SKIP_2) | instid1(SALU_CYCLE_1)
	s_ashr_i32 s26, s21, 4
	s_cmp_lt_i32 s21, s18
	s_cselect_b32 s26, s26, s3
	s_ashr_i32 s27, s26, 31
	s_delay_alu instid0(SALU_CYCLE_1) | instskip(NEXT) | instid1(SALU_CYCLE_1)
	s_lshl_b64 s[26:27], s[26:27], 2
	s_add_u32 s26, s17, s26
	s_addc_u32 s27, s13, s27
	s_or_b32 s21, s16, 0xa0
	s_delay_alu instid0(SALU_CYCLE_1) | instskip(SKIP_2) | instid1(SALU_CYCLE_1)
	s_ashr_i32 s28, s21, 4
	s_cmp_lt_i32 s21, s18
	s_cselect_b32 s28, s28, s3
	s_ashr_i32 s29, s28, 31
	s_delay_alu instid0(SALU_CYCLE_1) | instskip(NEXT) | instid1(SALU_CYCLE_1)
	s_lshl_b64 s[28:29], s[28:29], 2
	s_add_u32 s28, s17, s28
	s_addc_u32 s29, s13, s29
	s_clause 0x5
	s_load_b32 s12, s[6:7], 0x0
	s_load_b32 s4, s[8:9], 0x0
	;; [unrolled: 1-line block ×6, first 2 shown]
	s_or_b32 s21, s16, 0xc0
	s_delay_alu instid0(SALU_CYCLE_1) | instskip(SKIP_2) | instid1(SALU_CYCLE_1)
	s_ashr_i32 s22, s21, 4
	s_cmp_lt_i32 s21, s18
	s_cselect_b32 s22, s22, s3
	s_ashr_i32 s23, s22, 31
	s_delay_alu instid0(SALU_CYCLE_1) | instskip(NEXT) | instid1(SALU_CYCLE_1)
	s_lshl_b64 s[22:23], s[22:23], 2
	s_add_u32 s22, s17, s22
	s_addc_u32 s23, s13, s23
	s_or_b32 s21, s16, 0xe0
	s_delay_alu instid0(SALU_CYCLE_1) | instskip(SKIP_2) | instid1(SALU_CYCLE_1)
	s_ashr_i32 s24, s21, 4
	s_cmp_lt_i32 s21, s18
	s_cselect_b32 s24, s24, s3
	s_ashr_i32 s25, s24, 31
	s_delay_alu instid0(SALU_CYCLE_1)
	s_lshl_b64 s[24:25], s[24:25], 2
	s_waitcnt vmcnt(1)
	v_mad_i64_i32 v[3:4], null, v5, s5, v[1:2]
	s_waitcnt vmcnt(0)
	v_mad_i64_i32 v[5:6], null, v7, s5, v[1:2]
	v_lshlrev_b32_e32 v1, 4, v68
	s_clause 0x7
	global_load_b128 v[71:74], v[3:4], off
	global_load_b128 v[75:78], v[3:4], off offset:256
	global_load_b128 v[79:82], v[5:6], off
	global_load_b128 v[83:86], v[5:6], off offset:256
	global_load_b128 v[87:90], v[3:4], off offset:512
	;; [unrolled: 1-line block ×5, first 2 shown]
	v_lshl_or_b32 v1, v69, 8, v1
	s_load_b32 s3, s[22:23], 0x0
	s_add_u32 s22, s17, s24
	s_addc_u32 s23, s13, s25
	s_add_u32 s10, s10, s15
	s_addc_u32 s11, s11, s20
	v_add_co_u32 v1, s10, s10, v1
	s_delay_alu instid0(VALU_DEP_1) | instskip(SKIP_2) | instid1(VALU_DEP_1)
	v_add_co_ci_u32_e64 v2, null, s11, 0, s10
	s_load_b32 s10, s[22:23], 0x0
	s_waitcnt lgkmcnt(0)
	v_mad_i64_i32 v[3:4], null, s12, s5, v[1:2]
	v_mad_i64_i32 v[9:10], null, s7, s5, v[1:2]
	;; [unrolled: 1-line block ×7, first 2 shown]
	s_clause 0x5
	global_load_b128 v[49:52], v[3:4], off
	global_load_b128 v[53:56], v[3:4], off offset:16
	global_load_b128 v[41:44], v[5:6], off
	global_load_b128 v[45:48], v[5:6], off offset:16
	;; [unrolled: 2-line block ×3, first 2 shown]
	s_mov_b32 s4, 0
	v_mad_i64_i32 v[61:62], null, s10, s5, v[1:2]
	s_clause 0x9
	global_load_b128 v[1:4], v[9:10], off
	global_load_b128 v[5:8], v[9:10], off offset:16
	global_load_b128 v[9:12], v[13:14], off
	global_load_b128 v[13:16], v[13:14], off offset:16
	;; [unrolled: 2-line block ×5, first 2 shown]
	s_mov_b32 s5, s4
	s_mov_b32 s6, s4
	;; [unrolled: 1-line block ×7, first 2 shown]
	v_and_b32_e32 v104, 0xe0, v0
	v_dual_mov_b32 v126, s11 :: v_dual_mov_b32 v125, s10
	v_dual_mov_b32 v124, s9 :: v_dual_mov_b32 v123, s8
	s_delay_alu instid0(VALU_DEP_3)
	v_add_nc_u32_e32 v111, s16, v104
	ds_load_b128 v[103:106], v115
	ds_load_b128 v[107:110], v115 offset:1024
	v_dual_mov_b32 v122, s7 :: v_dual_mov_b32 v121, s6
	v_mov_b32_e32 v120, s5
	v_or_b32_e32 v135, v111, v66
	ds_load_b128 v[111:114], v115 offset:2048
	ds_load_b128 v[115:118], v115 offset:3072
	v_mov_b32_e32 v119, s4
	s_waitcnt vmcnt(0) lgkmcnt(0)
	s_barrier
	v_or_b32_e32 v137, 2, v135
	v_or_b32_e32 v138, 4, v135
	;; [unrolled: 1-line block ×3, first 2 shown]
	v_cmp_gt_i32_e32 vcc_lo, s18, v135
	v_or_b32_e32 v140, 8, v135
	v_cmp_gt_i32_e64 s3, s18, v137
	v_or_b32_e32 v141, 10, v135
	v_cmp_gt_i32_e64 s4, s18, v138
	v_cmp_gt_i32_e64 s5, s18, v139
	v_or_b32_e32 v142, 12, v135
	v_or_b32_e32 v143, 14, v135
	v_cmp_gt_i32_e64 s6, s18, v140
	v_cmp_gt_i32_e64 s7, s18, v141
	v_or_b32_e32 v144, 16, v135
	v_or_b32_e32 v145, 18, v135
	v_cmp_gt_i32_e64 s8, s18, v142
	v_cmp_gt_i32_e64 s9, s18, v143
	buffer_gl0_inv
	v_cmp_gt_i32_e64 s10, s18, v144
	v_cmp_gt_i32_e64 s11, s18, v145
	v_wmma_f32_16x16x16_f16 v[127:134], v[71:78], v[103:110], v[119:126]
	v_wmma_f32_16x16x16_f16 v[119:126], v[79:86], v[103:110], v[119:126]
	v_or_b32_e32 v71, 20, v135
	v_or_b32_e32 v72, 22, v135
	s_delay_alu instid0(VALU_DEP_4)
	v_wmma_f32_16x16x16_f16 v[127:134], v[87:94], v[111:118], v[127:134]
	v_or_b32_e32 v73, 24, v135
	v_wmma_f32_16x16x16_f16 v[119:126], v[95:102], v[111:118], v[119:126]
	v_or_b32_e32 v74, 26, v135
	v_cmp_gt_i32_e64 s12, s18, v71
	v_dual_mul_f32 v83, s19, v128 :: v_dual_mul_f32 v84, s19, v127
	v_dual_mul_f32 v81, s19, v130 :: v_dual_mul_f32 v82, s19, v129
	;; [unrolled: 1-line block ×3, first 2 shown]
	s_delay_alu instid0(VALU_DEP_3) | instskip(NEXT) | instid1(VALU_DEP_4)
	v_cndmask_b32_e32 v84, 0xff7fffff, v84, vcc_lo
	v_cndmask_b32_e64 v83, 0xff7fffff, v83, s3
	v_mul_f32_e32 v80, s19, v131
	v_cndmask_b32_e64 v82, 0xff7fffff, v82, s4
	v_cndmask_b32_e64 v81, 0xff7fffff, v81, s5
	v_dual_mul_f32 v77, s19, v134 :: v_dual_mul_f32 v90, s19, v121
	v_max3_f32 v83, v84, 0xff7fffff, v83
	v_mul_f32_e32 v78, s19, v133
	v_cndmask_b32_e64 v80, 0xff7fffff, v80, s6
	v_cndmask_b32_e64 v79, 0xff7fffff, v79, s7
	v_mul_f32_e32 v91, s19, v120
	v_max3_f32 v81, v83, v82, v81
	v_cndmask_b32_e64 v78, 0xff7fffff, v78, s8
	v_cndmask_b32_e64 v77, 0xff7fffff, v77, s9
	v_mul_f32_e32 v89, s19, v122
	v_cmp_gt_i32_e64 s13, s18, v72
	v_max3_f32 v79, v81, v80, v79
	v_cndmask_b32_e64 v80, 0xff7fffff, v92, s10
	v_cndmask_b32_e64 v81, 0xff7fffff, v91, s11
	v_or_b32_e32 v75, 28, v135
	v_or_b32_e32 v76, 30, v135
	v_max3_f32 v77, v79, v78, v77
	v_dual_mul_f32 v87, s19, v124 :: v_dual_mul_f32 v88, s19, v123
	v_cndmask_b32_e64 v71, 0xff7fffff, v90, s12
	v_cndmask_b32_e64 v72, 0xff7fffff, v89, s13
	s_delay_alu instid0(VALU_DEP_4) | instskip(SKIP_3) | instid1(VALU_DEP_4)
	v_max3_f32 v77, v77, v80, v81
	v_cmp_gt_i32_e64 s15, s18, v73
	v_cmp_gt_i32_e64 s16, s18, v74
	v_dual_mul_f32 v85, s19, v126 :: v_dual_mul_f32 v86, s19, v125
	v_max3_f32 v71, v77, v71, v72
	s_delay_alu instid0(VALU_DEP_4) | instskip(NEXT) | instid1(VALU_DEP_4)
	v_cndmask_b32_e64 v73, 0xff7fffff, v88, s15
	v_cndmask_b32_e64 v74, 0xff7fffff, v87, s16
	v_cmp_gt_i32_e64 s17, s18, v75
	v_cmp_gt_i32_e64 s18, s18, v76
	s_delay_alu instid0(VALU_DEP_3) | instskip(NEXT) | instid1(VALU_DEP_3)
	v_max3_f32 v71, v71, v73, v74
	v_cndmask_b32_e64 v72, 0xff7fffff, v86, s17
	s_delay_alu instid0(VALU_DEP_3) | instskip(SKIP_1) | instid1(VALU_DEP_2)
	v_cndmask_b32_e64 v75, 0xff7fffff, v85, s18
	v_lshlrev_b32_e32 v73, 2, v136
	v_max3_f32 v71, v71, v72, v75
	ds_bpermute_b32 v72, v73, v71
	s_waitcnt lgkmcnt(0)
	v_max_f32_e32 v72, v72, v72
	s_delay_alu instid0(VALU_DEP_1) | instskip(NEXT) | instid1(VALU_DEP_1)
	v_max_f32_e32 v71, v71, v72
	v_fma_f32 v72, s19, v127, -v71
	v_fma_f32 v74, s19, v128, -v71
	;; [unrolled: 1-line block ×5, first 2 shown]
	v_mul_f32_e32 v72, 0x3fb8aa3b, v72
	s_delay_alu instid0(VALU_DEP_4) | instskip(NEXT) | instid1(VALU_DEP_4)
	v_dual_mul_f32 v74, 0x3fb8aa3b, v74 :: v_dual_mul_f32 v75, 0x3fb8aa3b, v75
	v_mul_f32_e32 v76, 0x3fb8aa3b, v76
	s_delay_alu instid0(VALU_DEP_4) | instskip(NEXT) | instid1(VALU_DEP_4)
	v_mul_f32_e32 v82, 0x3fb8aa3b, v80
	v_exp_f32_e32 v72, v72
	s_delay_alu instid0(VALU_DEP_3)
	v_exp_f32_e32 v74, v74
	v_exp_f32_e32 v75, v75
	v_exp_f32_e32 v76, v76
	v_fma_f32 v77, s19, v131, -v71
	v_exp_f32_e32 v84, v82
	v_cndmask_b32_e32 v79, 0, v72, vcc_lo
	v_cndmask_b32_e64 v78, 0, v74, s3
	s_delay_alu instid0(TRANS32_DEP_3) | instskip(SKIP_1) | instid1(TRANS32_DEP_2)
	v_cndmask_b32_e64 v81, 0, v75, s4
	v_fma_f32 v72, s19, v132, -v71
	v_cndmask_b32_e64 v80, 0, v76, s5
	v_add_f32_e32 v74, 0, v79
	s_delay_alu instid0(TRANS32_DEP_1) | instskip(SKIP_2) | instid1(VALU_DEP_4)
	v_cndmask_b32_e64 v85, 0, v84, s8
	v_cmp_gt_u32_e64 s3, 16, v70
	v_mul_f32_e32 v72, 0x3fb8aa3b, v72
	v_add_f32_e32 v74, v74, v78
	s_delay_alu instid0(VALU_DEP_2) | instskip(NEXT) | instid1(VALU_DEP_1)
	v_exp_f32_e32 v72, v72
	v_add_f32_e32 v74, v74, v81
	s_delay_alu instid0(VALU_DEP_1) | instskip(NEXT) | instid1(VALU_DEP_1)
	v_dual_mul_f32 v77, 0x3fb8aa3b, v77 :: v_dual_add_f32 v74, v74, v80
	v_exp_f32_e32 v77, v77
	s_waitcnt_depctr 0xfff
	v_cndmask_b32_e64 v82, 0, v72, s7
	v_cndmask_b32_e64 v83, 0, v77, s6
	s_delay_alu instid0(VALU_DEP_1) | instskip(SKIP_4) | instid1(VALU_DEP_4)
	v_add_f32_e32 v72, v74, v83
	v_fma_f32 v75, s19, v134, -v71
	v_fma_f32 v76, s19, v119, -v71
	;; [unrolled: 1-line block ×4, first 2 shown]
	v_dual_add_f32 v72, v72, v82 :: v_dual_mul_f32 v75, 0x3fb8aa3b, v75
	s_delay_alu instid0(VALU_DEP_3) | instskip(NEXT) | instid1(VALU_DEP_3)
	v_dual_mul_f32 v76, 0x3fb8aa3b, v76 :: v_dual_mul_f32 v77, 0x3fb8aa3b, v77
	v_mul_f32_e32 v74, 0x3fb8aa3b, v74
	v_fma_f32 v86, s19, v122, -v71
	s_delay_alu instid0(VALU_DEP_4) | instskip(NEXT) | instid1(VALU_DEP_3)
	v_exp_f32_e32 v75, v75
	v_exp_f32_e32 v76, v76
	;; [unrolled: 1-line block ×4, first 2 shown]
	v_mul_f32_e32 v86, 0x3fb8aa3b, v86
	s_delay_alu instid0(VALU_DEP_1)
	v_exp_f32_e32 v88, v86
	v_cndmask_b32_e64 v84, 0, v75, s9
	v_fma_f32 v75, s19, v123, -v71
	v_add_f32_e32 v72, v72, v85
	v_cndmask_b32_e64 v87, 0, v76, s10
	v_fma_f32 v76, s19, v124, -v71
	s_delay_alu instid0(TRANS32_DEP_3) | instskip(NEXT) | instid1(VALU_DEP_4)
	v_cndmask_b32_e64 v86, 0, v77, s11
	v_dual_mul_f32 v75, 0x3fb8aa3b, v75 :: v_dual_add_f32 v72, v72, v84
	v_fma_f32 v77, s19, v125, -v71
	s_delay_alu instid0(VALU_DEP_4) | instskip(SKIP_1) | instid1(VALU_DEP_4)
	v_mul_f32_e32 v76, 0x3fb8aa3b, v76
	v_cndmask_b32_e64 v89, 0, v74, s12
	v_exp_f32_e32 v75, v75
	v_add_f32_e32 v72, v72, v87
	v_mul_f32_e32 v74, 0x3fb8aa3b, v77
	v_exp_f32_e32 v76, v76
	v_cndmask_b32_e64 v88, 0, v88, s13
	v_fma_f32 v77, s19, v126, -v71
	v_add_f32_e32 v72, v72, v86
	v_exp_f32_e32 v74, v74
	s_delay_alu instid0(TRANS32_DEP_3) | instskip(NEXT) | instid1(VALU_DEP_2)
	v_cndmask_b32_e64 v91, 0, v75, s15
	v_add_f32_e32 v72, v72, v89
	v_mul_f32_e32 v75, 0x3fb8aa3b, v77
	s_delay_alu instid0(TRANS32_DEP_2) | instskip(NEXT) | instid1(VALU_DEP_3)
	v_cndmask_b32_e64 v90, 0, v76, s16
	v_add_f32_e32 v72, v72, v88
	s_delay_alu instid0(VALU_DEP_3) | instskip(NEXT) | instid1(TRANS32_DEP_2)
	v_exp_f32_e32 v75, v75
	v_cndmask_b32_e64 v93, 0, v74, s17
	s_delay_alu instid0(VALU_DEP_2) | instskip(NEXT) | instid1(VALU_DEP_1)
	v_add_f32_e32 v72, v72, v91
	v_add_f32_e32 v72, v72, v90
	s_waitcnt_depctr 0xfff
	v_cndmask_b32_e64 v92, 0, v75, s18
	v_add_f32_e32 v72, v72, v93
	s_delay_alu instid0(VALU_DEP_1)
	v_add_f32_e32 v72, v72, v92
	ds_bpermute_b32 v73, v73, v72
	s_and_saveexec_b32 s4, s3
	s_cbranch_execz .LBB838_12
; %bb.11:
	v_mul_u32_u24_e32 v70, 0x44, v69
	s_waitcnt lgkmcnt(0)
	v_add_f32_e32 v72, v72, v73
	s_delay_alu instid0(VALU_DEP_2) | instskip(NEXT) | instid1(VALU_DEP_1)
	v_lshl_add_u32 v70, v68, 2, v70
	v_add_nc_u32_e32 v70, 0x4000, v70
	ds_store_2addr_b32 v70, v71, v72 offset1:136
.LBB838_12:
	s_or_b32 exec_lo, exec_lo, s4
	v_lshlrev_b32_e32 v70, 2, v68
	s_load_b32 s36, s[0:1], 0x94
	s_waitcnt lgkmcnt(0)
	s_barrier
	buffer_gl0_inv
	v_add_nc_u32_e32 v98, 0x4000, v70
	v_cmp_eq_u32_e32 vcc_lo, 1, v69
	v_cmp_eq_u32_e64 s4, 2, v69
	v_cmp_eq_u32_e64 s5, 3, v69
	;; [unrolled: 1-line block ×3, first 2 shown]
	ds_load_2addr_b32 v[70:71], v98 offset1:17
	ds_load_2addr_b32 v[72:73], v98 offset0:34 offset1:51
	ds_load_2addr_b32 v[74:75], v98 offset0:68 offset1:85
	;; [unrolled: 1-line block ×3, first 2 shown]
	v_cmp_eq_u32_e64 s7, 5, v69
	v_cmp_eq_u32_e64 s8, 7, v69
	s_waitcnt lgkmcnt(3)
	v_max3_f32 v76, v70, 0xff7fffff, v71
	s_waitcnt lgkmcnt(2)
	s_delay_alu instid0(VALU_DEP_1) | instskip(SKIP_1) | instid1(VALU_DEP_1)
	v_max3_f32 v76, v76, v72, v73
	s_waitcnt lgkmcnt(1)
	v_max3_f32 v76, v76, v74, v75
	s_waitcnt lgkmcnt(0)
	s_delay_alu instid0(VALU_DEP_1) | instskip(NEXT) | instid1(VALU_DEP_1)
	v_max3_f32 v76, v76, v94, v95
	v_sub_f32_e32 v77, v71, v76
	ds_load_2addr_b32 v[96:97], v98 offset0:136 offset1:153
	v_sub_f32_e32 v74, v74, v76
	v_sub_f32_e32 v70, v70, v76
	;; [unrolled: 1-line block ×3, first 2 shown]
	v_dual_sub_f32 v72, v72, v76 :: v_dual_mul_f32 v77, 0x3fb8aa3b, v77
	s_delay_alu instid0(VALU_DEP_4) | instskip(NEXT) | instid1(VALU_DEP_4)
	v_mul_f32_e32 v103, 0x3fb8aa3b, v74
	v_mul_f32_e32 v99, 0x3fb8aa3b, v70
	ds_load_2addr_b32 v[70:71], v98 offset0:170 offset1:187
	v_dual_mul_f32 v101, 0x3fb8aa3b, v72 :: v_dual_mul_f32 v94, 0x3fb8aa3b, v94
	v_exp_f32_e32 v102, v77
	v_exp_f32_e32 v99, v99
	s_delay_alu instid0(VALU_DEP_1) | instskip(NEXT) | instid1(VALU_DEP_1)
	v_exp_f32_e32 v101, v101
	v_exp_f32_e32 v94, v94
	s_waitcnt lgkmcnt(1)
	s_delay_alu instid0(TRANS32_DEP_3)
	v_fma_f32 v77, v99, v96, 0
	v_sub_f32_e32 v100, v73, v76
	ds_load_2addr_b32 v[72:73], v98 offset0:204 offset1:221
	v_fmac_f32_e32 v77, v102, v97
	v_exp_f32_e32 v97, v103
	s_waitcnt lgkmcnt(1)
	s_delay_alu instid0(VALU_DEP_1)
	v_dual_fmac_f32 v77, v101, v70 :: v_dual_sub_f32 v96, v75, v76
	ds_load_2addr_b32 v[74:75], v98 offset0:238 offset1:255
	v_sub_f32_e32 v70, v95, v76
	s_waitcnt lgkmcnt(0)
	s_barrier
	v_mul_f32_e32 v96, 0x3fb8aa3b, v96
	buffer_gl0_inv
	v_exp_f32_e32 v95, v96
	v_mul_f32_e32 v100, 0x3fb8aa3b, v100
	s_delay_alu instid0(VALU_DEP_1) | instskip(SKIP_3) | instid1(VALU_DEP_2)
	v_exp_f32_e32 v100, v100
	s_waitcnt_depctr 0xfff
	v_dual_fmac_f32 v77, v100, v71 :: v_dual_mul_f32 v70, 0x3fb8aa3b, v70
	v_cndmask_b32_e32 v71, v99, v102, vcc_lo
	v_fmac_f32_e32 v77, v97, v72
	s_delay_alu instid0(VALU_DEP_3) | instskip(NEXT) | instid1(VALU_DEP_1)
	v_exp_f32_e32 v96, v70
	v_fmac_f32_e32 v77, v95, v73
	s_delay_alu instid0(VALU_DEP_1) | instskip(SKIP_2) | instid1(VALU_DEP_1)
	v_fmac_f32_e32 v77, v94, v74
	s_waitcnt_depctr 0xfff
	v_fmac_f32_e32 v77, v96, v75
	v_add_f32_e32 v74, 0x358637bd, v77
	s_delay_alu instid0(VALU_DEP_1) | instskip(SKIP_1) | instid1(VALU_DEP_2)
	v_div_scale_f32 v98, null, v74, v74, 1.0
	v_div_scale_f32 v99, vcc_lo, 1.0, v74, 1.0
	v_rcp_f32_e32 v103, v98
	s_waitcnt_depctr 0xfff
	v_fma_f32 v70, -v98, v103, 1.0
	s_delay_alu instid0(VALU_DEP_1) | instskip(SKIP_2) | instid1(VALU_DEP_2)
	v_fmac_f32_e32 v103, v70, v103
	v_cndmask_b32_e64 v70, v71, v101, s4
	v_cmp_eq_u32_e64 s4, 6, v69
	v_cndmask_b32_e64 v71, v70, v100, s5
	s_delay_alu instid0(VALU_DEP_4) | instskip(NEXT) | instid1(VALU_DEP_2)
	v_dual_mul_f32 v101, v99, v103 :: v_dual_lshlrev_b32 v70, 2, v66
	v_cndmask_b32_e64 v71, v71, v97, s6
	s_delay_alu instid0(VALU_DEP_2) | instskip(NEXT) | instid1(VALU_DEP_3)
	v_or_b32_e32 v72, 1, v70
	v_fma_f32 v100, -v98, v101, v99
	v_cmp_eq_u32_e64 s5, 1, v70
	v_cmp_eq_u32_e64 s6, 2, v70
	v_cndmask_b32_e64 v95, v71, v95, s7
	v_or_b32_e32 v71, 3, v70
	v_fmac_f32_e32 v101, v100, v103
	v_cmp_eq_u32_e64 s10, 1, v72
	v_cmp_eq_u32_e64 s13, 2, v72
	v_cndmask_b32_e64 v94, v95, v94, s4
	v_cmp_eq_u32_e64 s12, 1, v71
	v_fma_f32 v97, -v98, v101, v99
	v_cmp_eq_u32_e64 s17, 2, v71
	v_cmp_eq_u32_e64 s15, 3, v72
	v_cndmask_b32_e64 v94, v94, v96, s8
	v_cmp_eq_u32_e64 s19, 3, v71
	v_div_fmas_f32 v95, v97, v103, v101
	v_cmp_eq_u32_e32 vcc_lo, 3, v70
	v_cmp_eq_u32_e64 s4, 4, v70
	v_cmp_eq_u32_e64 s20, 4, v72
	v_cmp_eq_u32_e64 s23, 4, v71
	v_div_fixup_f32 v95, v95, v74, 1.0
	v_lshlrev_b32_e32 v73, 6, v68
	v_cmp_eq_u32_e64 s7, 5, v70
	v_cmp_eq_u32_e64 s21, 5, v72
	;; [unrolled: 1-line block ×3, first 2 shown]
	v_mul_f32_e32 v102, v94, v95
	v_lshl_or_b32 v75, v69, 11, v73
	v_or_b32_e32 v69, 2, v70
	v_cmp_eq_u32_e64 s26, 6, v72
	v_cmp_eq_u32_e64 s28, 6, v71
	v_fma_mixlo_f16 v94, v102, v79, 0
	v_fma_mixlo_f16 v95, v102, v81, 0
	;; [unrolled: 1-line block ×8, first 2 shown]
	v_lshl_or_b32 v74, v66, 4, v75
	v_fma_mixhi_f16 v94, v102, v78, 0
	v_fma_mixhi_f16 v95, v102, v80, 0
	;; [unrolled: 1-line block ×8, first 2 shown]
	ds_store_b128 v74, v[94:97]
	ds_store_b128 v74, v[98:101] offset:1024
	s_waitcnt lgkmcnt(0)
	s_barrier
	buffer_gl0_inv
	ds_load_b128 v[78:81], v75
	ds_load_b128 v[82:85], v75 offset:16
	ds_load_b128 v[86:89], v75 offset:1024
	;; [unrolled: 1-line block ×3, first 2 shown]
	v_cmp_eq_u32_e64 s11, 1, v69
	v_cmp_eq_u32_e64 s16, 2, v69
	;; [unrolled: 1-line block ×11, first 2 shown]
	s_waitcnt lgkmcnt(3)
	v_lshrrev_b32_e32 v94, 16, v78
	s_waitcnt lgkmcnt(2)
	v_lshrrev_b32_e32 v98, 16, v82
	;; [unrolled: 2-line block ×4, first 2 shown]
	v_lshrrev_b32_e32 v95, 16, v79
	v_cndmask_b32_e64 v110, v78, v94, s5
	v_cndmask_b32_e64 v111, v82, v98, s5
	;; [unrolled: 1-line block ×8, first 2 shown]
	v_lshrrev_b32_e32 v99, 16, v83
	v_cndmask_b32_e64 v94, v86, v102, s5
	v_cndmask_b32_e64 v98, v90, v106, s5
	;; [unrolled: 1-line block ×15, first 2 shown]
	v_lshrrev_b32_e32 v103, 16, v87
	v_lshrrev_b32_e32 v107, 16, v91
	v_cndmask_b32_e64 v113, v115, v83, s16
	v_cndmask_b32_e64 v82, v94, v87, s6
	;; [unrolled: 1-line block ×7, first 2 shown]
	v_cndmask_b32_e32 v90, v102, v95, vcc_lo
	v_cndmask_b32_e32 v102, v106, v99, vcc_lo
	v_cndmask_b32_e64 v106, v110, v95, s15
	v_cndmask_b32_e64 v110, v111, v99, s15
	;; [unrolled: 1-line block ×4, first 2 shown]
	v_lshrrev_b32_e32 v96, 16, v80
	v_lshrrev_b32_e32 v100, 16, v84
	v_cndmask_b32_e64 v111, v112, v95, s18
	v_cndmask_b32_e64 v112, v113, v99, s18
	v_cndmask_b32_e32 v82, v82, v103, vcc_lo
	v_cndmask_b32_e32 v83, v83, v107, vcc_lo
	v_cndmask_b32_e64 v94, v94, v103, s15
	v_cndmask_b32_e64 v90, v90, v80, s4
	v_cndmask_b32_e64 v95, v102, v84, s4
	v_cndmask_b32_e64 v99, v106, v80, s20
	v_cndmask_b32_e64 v102, v110, v84, s20
	v_cndmask_b32_e64 v78, v78, v80, s23
	v_cndmask_b32_e64 v79, v79, v84, s23
	v_lshrrev_b32_e32 v104, 16, v88
	v_cndmask_b32_e64 v106, v111, v80, s22
	v_cndmask_b32_e64 v110, v112, v84, s22
	;; [unrolled: 1-line block ×11, first 2 shown]
	v_lshrrev_b32_e32 v97, 16, v81
	v_lshrrev_b32_e32 v101, 16, v85
	v_cndmask_b32_e64 v99, v106, v96, s24
	v_cndmask_b32_e64 v102, v110, v100, s24
	v_cndmask_b32_e64 v83, v83, v104, s21
	v_cndmask_b32_e64 v94, v94, v81, s26
	v_cndmask_b32_e64 v95, v95, v85, s26
	v_cndmask_b32_e64 v78, v78, v81, s28
	v_cndmask_b32_e64 v79, v79, v85, s28
	v_lshrrev_b32_e32 v105, 16, v89
	v_cndmask_b32_e64 v80, v80, v104, s7
	v_cndmask_b32_e64 v84, v84, v81, s8
	;; [unrolled: 1-line block ×16, first 2 shown]
	v_perm_b32 v81, v79, v78, 0x5040100
	v_perm_b32 v79, v95, v85, 0x5040100
	v_cndmask_b32_e64 v78, v119, v91, s16
	v_cndmask_b32_e64 v85, v117, v91, s13
	;; [unrolled: 1-line block ×3, first 2 shown]
	v_perm_b32 v80, v94, v90, 0x5040100
	v_cndmask_b32_e64 v90, v98, v103, s18
	v_cndmask_b32_e64 v86, v86, v103, s19
	;; [unrolled: 1-line block ×5, first 2 shown]
	v_lshrrev_b32_e32 v108, 16, v92
	v_cndmask_b32_e64 v90, v90, v88, s22
	v_cndmask_b32_e64 v86, v86, v88, s23
	;; [unrolled: 1-line block ×11, first 2 shown]
	v_lshrrev_b32_e32 v109, 16, v93
	v_cndmask_b32_e64 v82, v82, v93, s8
	v_cndmask_b32_e64 v88, v88, v89, s27
	v_cndmask_b32_e64 v86, v86, v89, s28
	v_cndmask_b32_e64 v87, v87, v93, s28
	v_cndmask_b32_e64 v78, v78, v93, s27
	v_cndmask_b32_e64 v85, v85, v93, s26
	v_cndmask_b32_e64 v88, v88, v105, s29
	v_cndmask_b32_e64 v86, v86, v105, s30
	v_cndmask_b32_e64 v87, v87, v109, s30
	v_cndmask_b32_e64 v89, v78, v109, s29
	v_cndmask_b32_e64 v90, v85, v109, s31
	v_cndmask_b32_e64 v82, v82, v109, s9
	v_perm_b32 v78, v84, v83, 0x5040100
	v_perm_b32 v85, v87, v86, 0x5040100
	;; [unrolled: 1-line block ×5, first 2 shown]
	s_mul_i32 s9, s35, 9
	s_mov_b32 s4, exec_lo
	ds_store_b128 v74, v[78:81]
	ds_store_b128 v74, v[82:85] offset:1024
	v_cmpx_gt_u32_e32 9, v0
	s_cbranch_execz .LBB838_14
; %bb.13:
	s_mul_i32 s5, s9, s34
	s_load_b128 s[16:19], s[0:1], 0x58
	v_add3_u32 v68, s5, s33, v68
	s_delay_alu instid0(VALU_DEP_1) | instskip(NEXT) | instid1(VALU_DEP_1)
	v_mad_u64_u32 v[78:79], null, v68, s36, s[14:15]
	v_ashrrev_i32_e32 v79, 31, v78
	s_delay_alu instid0(VALU_DEP_1) | instskip(SKIP_1) | instid1(VALU_DEP_1)
	v_lshlrev_b64 v[78:79], 2, v[78:79]
	s_waitcnt lgkmcnt(0)
	v_add_co_u32 v80, vcc_lo, s18, v78
	s_delay_alu instid0(VALU_DEP_2)
	v_add_co_ci_u32_e32 v81, vcc_lo, s19, v79, vcc_lo
	v_add_co_u32 v78, vcc_lo, s16, v78
	v_add_co_ci_u32_e32 v79, vcc_lo, s17, v79, vcc_lo
	global_store_b32 v[80:81], v76, off
	global_store_b32 v[78:79], v77, off
.LBB838_14:
	s_or_b32 exec_lo, exec_lo, s4
	s_waitcnt lgkmcnt(0)
	s_waitcnt_vscnt null, 0x0
	s_barrier
	buffer_gl0_inv
	ds_load_b128 v[84:87], v73
	ds_load_b128 v[88:91], v73 offset:16
	ds_load_b128 v[96:99], v73 offset:2064
	;; [unrolled: 1-line block ×5, first 2 shown]
	v_cmp_eq_u32_e32 vcc_lo, 1, v70
	v_mov_b32_e32 v76, 0
	ds_load_b128 v[112:115], v73 offset:6160
	ds_load_b128 v[108:111], v73 offset:6144
	;; [unrolled: 1-line block ×4, first 2 shown]
	v_cmp_eq_u32_e64 s5, 1, v69
	v_cmp_eq_u32_e64 s4, 1, v72
	;; [unrolled: 1-line block ×3, first 2 shown]
	v_mov_b32_e32 v77, v76
	v_mov_b32_e32 v78, v76
	v_mov_b32_e32 v79, v76
	v_mov_b32_e32 v80, v76
	v_mov_b32_e32 v81, v76
	v_mov_b32_e32 v82, v76
	v_mov_b32_e32 v83, v76
	v_cmp_eq_u32_e64 s7, 3, v72
	v_cmp_eq_u32_e64 s8, 7, v72
	s_waitcnt lgkmcnt(8)
	s_delay_alu instid0(VALU_DEP_3)
	v_wmma_f32_16x16x16_f16 v[76:83], v[49:56], v[84:91], v[76:83]
	ds_load_b128 v[53:56], v73 offset:10256
	ds_load_b128 v[49:52], v73 offset:10240
	s_waitcnt lgkmcnt(8)
	v_wmma_f32_16x16x16_f16 v[76:83], v[41:48], v[92:99], v[76:83]
	ds_load_b128 v[45:48], v73 offset:12304
	ds_load_b128 v[41:44], v73 offset:12288
	s_waitcnt lgkmcnt(8)
	;; [unrolled: 4-line block ×3, first 2 shown]
	s_barrier
	buffer_gl0_inv
	v_wmma_f32_16x16x16_f16 v[76:83], v[1:8], v[108:115], v[76:83]
	s_delay_alu instid0(VALU_DEP_1) | instskip(NEXT) | instid1(VALU_DEP_1)
	v_wmma_f32_16x16x16_f16 v[76:83], v[9:16], v[116:123], v[76:83]
	v_wmma_f32_16x16x16_f16 v[76:83], v[17:24], v[49:56], v[76:83]
	s_delay_alu instid0(VALU_DEP_1) | instskip(NEXT) | instid1(VALU_DEP_1)
	v_wmma_f32_16x16x16_f16 v[76:83], v[25:32], v[41:48], v[76:83]
	v_wmma_f32_16x16x16_f16 v[76:83], v[57:64], v[33:40], v[76:83]
	s_delay_alu instid0(VALU_DEP_1) | instskip(NEXT) | instid1(VALU_DEP_2)
	v_cvt_f16_f32_e32 v1, v76
	v_cvt_f16_f32_e32 v2, v77
	s_delay_alu instid0(VALU_DEP_3) | instskip(NEXT) | instid1(VALU_DEP_4)
	v_cvt_f16_f32_e32 v3, v78
	v_cvt_f16_f32_e32 v4, v79
	;; [unrolled: 1-line block ×6, first 2 shown]
	v_pack_b32_f16 v1, v1, v2
	v_pack_b32_f16 v2, v3, v4
	;; [unrolled: 1-line block ×3, first 2 shown]
	s_delay_alu instid0(VALU_DEP_4)
	v_pack_b32_f16 v4, v7, v8
	ds_store_b128 v74, v[1:4]
	s_waitcnt lgkmcnt(0)
	s_barrier
	buffer_gl0_inv
	ds_load_b128 v[1:4], v75
	ds_load_b128 v[5:8], v75 offset:16
	s_waitcnt lgkmcnt(1)
	v_lshrrev_b32_e32 v9, 16, v1
	s_waitcnt lgkmcnt(0)
	v_lshrrev_b32_e32 v13, 16, v5
	v_lshrrev_b32_e32 v10, 16, v2
	;; [unrolled: 1-line block ×4, first 2 shown]
	v_cndmask_b32_e32 v17, v1, v9, vcc_lo
	v_cndmask_b32_e32 v18, v5, v13, vcc_lo
	v_cndmask_b32_e64 v21, v1, v9, s5
	v_cmp_eq_u32_e32 vcc_lo, 1, v71
	v_cndmask_b32_e64 v22, v5, v13, s5
	v_cmp_eq_u32_e64 s5, 2, v70
	v_cndmask_b32_e64 v19, v1, v9, s4
	v_cndmask_b32_e64 v20, v5, v13, s4
	v_cndmask_b32_e32 v1, v1, v9, vcc_lo
	v_cmp_eq_u32_e64 s4, 2, v71
	v_cndmask_b32_e32 v5, v5, v13, vcc_lo
	v_cndmask_b32_e64 v9, v17, v2, s5
	v_cmp_eq_u32_e32 vcc_lo, 3, v70
	v_cndmask_b32_e64 v13, v18, v6, s5
	v_cmp_eq_u32_e64 s5, 2, v69
	v_cndmask_b32_e64 v17, v19, v2, s6
	v_cndmask_b32_e64 v18, v20, v6, s6
	v_cmp_eq_u32_e64 s6, 3, v69
	v_cndmask_b32_e64 v1, v1, v2, s4
	v_cndmask_b32_e64 v19, v21, v2, s5
	;; [unrolled: 1-line block ×4, first 2 shown]
	v_cndmask_b32_e32 v5, v9, v10, vcc_lo
	v_cndmask_b32_e32 v6, v13, v14, vcc_lo
	v_cmp_eq_u32_e32 vcc_lo, 3, v71
	v_cndmask_b32_e64 v9, v17, v10, s7
	v_cndmask_b32_e64 v13, v18, v14, s7
	;; [unrolled: 1-line block ×3, first 2 shown]
	v_cmp_eq_u32_e64 s5, 4, v70
	v_cndmask_b32_e32 v1, v1, v10, vcc_lo
	v_cndmask_b32_e32 v2, v2, v14, vcc_lo
	v_cmp_eq_u32_e32 vcc_lo, 4, v72
	v_lshrrev_b32_e32 v15, 16, v7
	v_lshrrev_b32_e32 v16, 16, v8
	v_cndmask_b32_e64 v17, v19, v10, s6
	v_cmp_eq_u32_e64 s4, 4, v71
	v_cndmask_b32_e64 v5, v5, v3, s5
	v_cndmask_b32_e64 v6, v6, v7, s5
	v_cndmask_b32_e32 v9, v9, v3, vcc_lo
	v_cmp_eq_u32_e64 s5, 5, v72
	v_cndmask_b32_e32 v10, v13, v7, vcc_lo
	v_cmp_eq_u32_e32 vcc_lo, 4, v69
	v_cmp_eq_u32_e64 s6, 5, v70
	v_cndmask_b32_e64 v2, v2, v7, s4
	v_cndmask_b32_e64 v9, v9, v11, s5
	;; [unrolled: 1-line block ×3, first 2 shown]
	v_cndmask_b32_e32 v13, v17, v3, vcc_lo
	v_cmp_eq_u32_e64 s5, 5, v69
	v_cndmask_b32_e32 v14, v18, v7, vcc_lo
	v_cndmask_b32_e64 v1, v1, v3, s4
	v_cmp_eq_u32_e32 vcc_lo, 5, v71
	v_lshrrev_b32_e32 v12, 16, v4
	v_cndmask_b32_e64 v13, v13, v11, s5
	v_cndmask_b32_e64 v3, v14, v15, s5
	v_cmp_eq_u32_e64 s5, 6, v71
	v_cndmask_b32_e32 v1, v1, v11, vcc_lo
	v_cndmask_b32_e64 v5, v5, v11, s6
	v_cmp_eq_u32_e64 s7, 6, v70
	v_cndmask_b32_e64 v6, v6, v15, s6
	v_cmp_eq_u32_e64 s6, 6, v72
	v_cmp_eq_u32_e64 s4, 6, v69
	v_cndmask_b32_e64 v1, v1, v4, s5
	v_cndmask_b32_e32 v2, v2, v15, vcc_lo
	v_cmp_eq_u32_e32 vcc_lo, 7, v71
	v_cndmask_b32_e64 v5, v5, v4, s7
	v_cndmask_b32_e64 v9, v9, v4, s6
	;; [unrolled: 1-line block ×3, first 2 shown]
	v_cmp_eq_u32_e64 s7, 7, v70
	v_cndmask_b32_e32 v1, v1, v12, vcc_lo
	v_cndmask_b32_e64 v7, v13, v4, s4
	v_cndmask_b32_e64 v3, v3, v8, s4
	;; [unrolled: 1-line block ×3, first 2 shown]
	v_cmp_eq_u32_e64 s4, 7, v69
	v_cndmask_b32_e64 v4, v10, v8, s6
	v_cndmask_b32_e64 v5, v5, v12, s7
	;; [unrolled: 1-line block ×3, first 2 shown]
	v_cndmask_b32_e32 v2, v2, v16, vcc_lo
	v_cndmask_b32_e64 v7, v7, v12, s4
	v_cndmask_b32_e64 v3, v3, v16, s4
	;; [unrolled: 1-line block ×4, first 2 shown]
	v_cmp_gt_u32_e32 vcc_lo, 32, v0
	v_perm_b32 v4, v2, v1, 0x5040100
	v_perm_b32 v3, v3, v7, 0x5040100
	;; [unrolled: 1-line block ×4, first 2 shown]
	s_and_b32 s2, vcc_lo, s2
	ds_store_b128 v74, v[1:4]
	s_waitcnt lgkmcnt(0)
	s_barrier
	buffer_gl0_inv
	s_and_saveexec_b32 s4, s2
	s_cbranch_execz .LBB838_2
; %bb.15:
	s_load_b64 s[4:5], s[0:1], 0x68
	v_lshlrev_b32_e32 v0, 10, v0
	v_lshlrev_b32_e32 v1, 4, v67
	s_lshl_b32 s0, s36, 6
	v_add_nc_u32_e32 v2, s33, v66
	s_mul_i32 s1, s0, s34
	s_delay_alu instid0(SALU_CYCLE_1) | instskip(SKIP_1) | instid1(VALU_DEP_2)
	s_mul_i32 s6, s1, s9
	v_and_or_b32 v0, 0x3800, v0, v1
	v_mul_lo_u32 v1, v2, s0
	s_ashr_i32 s7, s6, 31
	v_add_nc_u32_e32 v3, 2, v2
	s_lshl_b64 s[6:7], s[6:7], 1
	v_add_nc_u32_e32 v4, 4, v2
	v_add_nc_u32_e32 v5, 6, v2
	v_lshl_or_b32 v15, v66, 6, v0
	v_mul_lo_u32 v3, v3, s0
	v_ashrrev_i32_e32 v2, 31, v1
	v_mul_lo_u32 v19, v4, s0
	v_mul_lo_u32 v21, v5, s0
	s_waitcnt lgkmcnt(0)
	s_add_u32 s1, s4, s6
	s_addc_u32 s2, s5, s7
	s_lshl_b32 s4, s14, 6
	v_lshlrev_b64 v[5:6], 1, v[1:2]
	s_ashr_i32 s5, s4, 31
	v_ashrrev_i32_e32 v4, 31, v3
	s_lshl_b64 s[4:5], s[4:5], 1
	v_ashrrev_i32_e32 v20, 31, v19
	s_add_u32 s1, s1, s4
	s_addc_u32 s2, s2, s5
	v_add_co_u32 v1, s1, s1, v65
	s_delay_alu instid0(VALU_DEP_1) | instskip(SKIP_1) | instid1(VALU_DEP_3)
	v_add_co_ci_u32_e64 v2, null, s2, 0, s1
	v_lshlrev_b64 v[25:26], 1, v[3:4]
	v_add_co_u32 v23, vcc_lo, v1, v5
	s_delay_alu instid0(VALU_DEP_3)
	v_add_co_ci_u32_e32 v24, vcc_lo, v2, v6, vcc_lo
	ds_load_b128 v[3:6], v15
	ds_load_b128 v[7:10], v15 offset:128
	ds_load_b128 v[11:14], v15 offset:256
	;; [unrolled: 1-line block ×3, first 2 shown]
	v_ashrrev_i32_e32 v22, 31, v21
	v_lshlrev_b64 v[19:20], 1, v[19:20]
	v_add_co_u32 v25, vcc_lo, v1, v25
	v_add_co_ci_u32_e32 v26, vcc_lo, v2, v26, vcc_lo
	s_delay_alu instid0(VALU_DEP_4) | instskip(NEXT) | instid1(VALU_DEP_4)
	v_lshlrev_b64 v[21:22], 1, v[21:22]
	v_add_co_u32 v19, vcc_lo, v1, v19
	v_add_co_ci_u32_e32 v20, vcc_lo, v2, v20, vcc_lo
	s_delay_alu instid0(VALU_DEP_3) | instskip(NEXT) | instid1(VALU_DEP_4)
	v_add_co_u32 v21, vcc_lo, v1, v21
	v_add_co_ci_u32_e32 v22, vcc_lo, v2, v22, vcc_lo
	s_waitcnt lgkmcnt(3)
	global_store_b128 v[23:24], v[3:6], off
	s_waitcnt lgkmcnt(2)
	global_store_b128 v[25:26], v[7:10], off
	;; [unrolled: 2-line block ×4, first 2 shown]
	s_and_b32 exec_lo, exec_lo, s3
	s_cbranch_execz .LBB838_2
; %bb.16:
	ds_load_b128 v[3:6], v0 offset:512
	s_add_i32 s1, s33, 8
	s_delay_alu instid0(SALU_CYCLE_1) | instskip(NEXT) | instid1(SALU_CYCLE_1)
	s_mul_i32 s0, s1, s0
	s_ashr_i32 s1, s0, 31
	s_delay_alu instid0(SALU_CYCLE_1) | instskip(NEXT) | instid1(SALU_CYCLE_1)
	s_lshl_b64 s[0:1], s[0:1], 1
	v_add_co_u32 v0, vcc_lo, v1, s0
	v_add_co_ci_u32_e32 v1, vcc_lo, s1, v2, vcc_lo
	s_waitcnt lgkmcnt(0)
	global_store_b128 v[0:1], v[3:6], off
	s_nop 0
	s_sendmsg sendmsg(MSG_DEALLOC_VGPRS)
	s_endpgm
	.section	.rodata,"a",@progbits
	.p2align	6, 0x0
	.amdhsa_kernel _Z39paged_attention_ll4mi_QKV_mfma16_kernelIDF16_hLN4vllm18Fp8KVCacheDataTypeE1EDF16_Li16ELi64ELi256ELb0ELi9EL8MFMAType1EEvPKT_PKT0_S8_ifPKiSA_SA_iPKfiiiPfSD_PS3_PT2_iSC_SC_
		.amdhsa_group_segment_fixed_size 17472
		.amdhsa_private_segment_fixed_size 0
		.amdhsa_kernarg_size 400
		.amdhsa_user_sgpr_count 13
		.amdhsa_user_sgpr_dispatch_ptr 0
		.amdhsa_user_sgpr_queue_ptr 0
		.amdhsa_user_sgpr_kernarg_segment_ptr 1
		.amdhsa_user_sgpr_dispatch_id 0
		.amdhsa_user_sgpr_private_segment_size 0
		.amdhsa_wavefront_size32 1
		.amdhsa_uses_dynamic_stack 0
		.amdhsa_enable_private_segment 0
		.amdhsa_system_sgpr_workgroup_id_x 1
		.amdhsa_system_sgpr_workgroup_id_y 1
		.amdhsa_system_sgpr_workgroup_id_z 1
		.amdhsa_system_sgpr_workgroup_info 0
		.amdhsa_system_vgpr_workitem_id 0
		.amdhsa_next_free_vgpr 146
		.amdhsa_next_free_sgpr 37
		.amdhsa_reserve_vcc 1
		.amdhsa_float_round_mode_32 0
		.amdhsa_float_round_mode_16_64 0
		.amdhsa_float_denorm_mode_32 3
		.amdhsa_float_denorm_mode_16_64 3
		.amdhsa_dx10_clamp 1
		.amdhsa_ieee_mode 1
		.amdhsa_fp16_overflow 0
		.amdhsa_workgroup_processor_mode 1
		.amdhsa_memory_ordered 1
		.amdhsa_forward_progress 0
		.amdhsa_shared_vgpr_count 0
		.amdhsa_exception_fp_ieee_invalid_op 0
		.amdhsa_exception_fp_denorm_src 0
		.amdhsa_exception_fp_ieee_div_zero 0
		.amdhsa_exception_fp_ieee_overflow 0
		.amdhsa_exception_fp_ieee_underflow 0
		.amdhsa_exception_fp_ieee_inexact 0
		.amdhsa_exception_int_div_zero 0
	.end_amdhsa_kernel
	.section	.text._Z39paged_attention_ll4mi_QKV_mfma16_kernelIDF16_hLN4vllm18Fp8KVCacheDataTypeE1EDF16_Li16ELi64ELi256ELb0ELi9EL8MFMAType1EEvPKT_PKT0_S8_ifPKiSA_SA_iPKfiiiPfSD_PS3_PT2_iSC_SC_,"axG",@progbits,_Z39paged_attention_ll4mi_QKV_mfma16_kernelIDF16_hLN4vllm18Fp8KVCacheDataTypeE1EDF16_Li16ELi64ELi256ELb0ELi9EL8MFMAType1EEvPKT_PKT0_S8_ifPKiSA_SA_iPKfiiiPfSD_PS3_PT2_iSC_SC_,comdat
.Lfunc_end838:
	.size	_Z39paged_attention_ll4mi_QKV_mfma16_kernelIDF16_hLN4vllm18Fp8KVCacheDataTypeE1EDF16_Li16ELi64ELi256ELb0ELi9EL8MFMAType1EEvPKT_PKT0_S8_ifPKiSA_SA_iPKfiiiPfSD_PS3_PT2_iSC_SC_, .Lfunc_end838-_Z39paged_attention_ll4mi_QKV_mfma16_kernelIDF16_hLN4vllm18Fp8KVCacheDataTypeE1EDF16_Li16ELi64ELi256ELb0ELi9EL8MFMAType1EEvPKT_PKT0_S8_ifPKiSA_SA_iPKfiiiPfSD_PS3_PT2_iSC_SC_
                                        ; -- End function
	.section	.AMDGPU.csdata,"",@progbits
; Kernel info:
; codeLenInByte = 6576
; NumSgprs: 39
; NumVgprs: 146
; ScratchSize: 0
; MemoryBound: 0
; FloatMode: 240
; IeeeMode: 1
; LDSByteSize: 17472 bytes/workgroup (compile time only)
; SGPRBlocks: 4
; VGPRBlocks: 18
; NumSGPRsForWavesPerEU: 39
; NumVGPRsForWavesPerEU: 146
; Occupancy: 9
; WaveLimiterHint : 1
; COMPUTE_PGM_RSRC2:SCRATCH_EN: 0
; COMPUTE_PGM_RSRC2:USER_SGPR: 13
; COMPUTE_PGM_RSRC2:TRAP_HANDLER: 0
; COMPUTE_PGM_RSRC2:TGID_X_EN: 1
; COMPUTE_PGM_RSRC2:TGID_Y_EN: 1
; COMPUTE_PGM_RSRC2:TGID_Z_EN: 1
; COMPUTE_PGM_RSRC2:TIDIG_COMP_CNT: 0
	.section	.text._Z39paged_attention_ll4mi_QKV_mfma16_kernelIDF16_hLN4vllm18Fp8KVCacheDataTypeE1EDF16_Li16ELi64ELi256ELb0ELi10EL8MFMAType1EEvPKT_PKT0_S8_ifPKiSA_SA_iPKfiiiPfSD_PS3_PT2_iSC_SC_,"axG",@progbits,_Z39paged_attention_ll4mi_QKV_mfma16_kernelIDF16_hLN4vllm18Fp8KVCacheDataTypeE1EDF16_Li16ELi64ELi256ELb0ELi10EL8MFMAType1EEvPKT_PKT0_S8_ifPKiSA_SA_iPKfiiiPfSD_PS3_PT2_iSC_SC_,comdat
	.protected	_Z39paged_attention_ll4mi_QKV_mfma16_kernelIDF16_hLN4vllm18Fp8KVCacheDataTypeE1EDF16_Li16ELi64ELi256ELb0ELi10EL8MFMAType1EEvPKT_PKT0_S8_ifPKiSA_SA_iPKfiiiPfSD_PS3_PT2_iSC_SC_ ; -- Begin function _Z39paged_attention_ll4mi_QKV_mfma16_kernelIDF16_hLN4vllm18Fp8KVCacheDataTypeE1EDF16_Li16ELi64ELi256ELb0ELi10EL8MFMAType1EEvPKT_PKT0_S8_ifPKiSA_SA_iPKfiiiPfSD_PS3_PT2_iSC_SC_
	.globl	_Z39paged_attention_ll4mi_QKV_mfma16_kernelIDF16_hLN4vllm18Fp8KVCacheDataTypeE1EDF16_Li16ELi64ELi256ELb0ELi10EL8MFMAType1EEvPKT_PKT0_S8_ifPKiSA_SA_iPKfiiiPfSD_PS3_PT2_iSC_SC_
	.p2align	8
	.type	_Z39paged_attention_ll4mi_QKV_mfma16_kernelIDF16_hLN4vllm18Fp8KVCacheDataTypeE1EDF16_Li16ELi64ELi256ELb0ELi10EL8MFMAType1EEvPKT_PKT0_S8_ifPKiSA_SA_iPKfiiiPfSD_PS3_PT2_iSC_SC_,@function
_Z39paged_attention_ll4mi_QKV_mfma16_kernelIDF16_hLN4vllm18Fp8KVCacheDataTypeE1EDF16_Li16ELi64ELi256ELb0ELi10EL8MFMAType1EEvPKT_PKT0_S8_ifPKiSA_SA_iPKfiiiPfSD_PS3_PT2_iSC_SC_: ; @_Z39paged_attention_ll4mi_QKV_mfma16_kernelIDF16_hLN4vllm18Fp8KVCacheDataTypeE1EDF16_Li16ELi64ELi256ELb0ELi10EL8MFMAType1EEvPKT_PKT0_S8_ifPKiSA_SA_iPKfiiiPfSD_PS3_PT2_iSC_SC_
; %bb.0:
	s_load_b64 s[2:3], s[0:1], 0x30
	s_mov_b32 s34, s13
	s_waitcnt lgkmcnt(0)
	s_cmp_lg_u64 s[2:3], 0
	s_cselect_b32 s6, -1, 0
	s_ashr_i32 s35, s13, 31
	s_cmp_eq_u64 s[2:3], 0
	s_cbranch_scc1 .LBB839_3
; %bb.1:
	s_lshl_b64 s[4:5], s[34:35], 2
	s_delay_alu instid0(SALU_CYCLE_1) | instskip(SKIP_4) | instid1(SALU_CYCLE_1)
	s_add_u32 s4, s2, s4
	s_addc_u32 s5, s3, s5
	s_load_b64 s[4:5], s[4:5], 0x0
	s_waitcnt lgkmcnt(0)
	s_sub_i32 s4, s5, s4
	s_cmp_eq_u32 s4, 1
	s_cselect_b32 s4, -1, 0
	s_delay_alu instid0(SALU_CYCLE_1)
	s_and_not1_b32 vcc_lo, exec_lo, s4
	s_cbranch_vccz .LBB839_4
.LBB839_2:
	s_endpgm
.LBB839_3:
.LBB839_4:
	s_load_b64 s[8:9], s[0:1], 0x28
	s_lshl_b64 s[4:5], s[34:35], 2
	s_waitcnt lgkmcnt(0)
	s_add_u32 s8, s8, s4
	s_addc_u32 s9, s9, s5
	s_lshl_b32 s16, s14, 8
	s_load_b32 s18, s[8:9], 0x0
	s_waitcnt lgkmcnt(0)
	s_cmp_ge_i32 s16, s18
	s_cbranch_scc1 .LBB839_2
; %bb.5:
	s_clause 0x1
	s_load_b128 s[8:11], s[0:1], 0x8
	s_load_b64 s[12:13], s[0:1], 0x20
	s_and_not1_b32 vcc_lo, exec_lo, s6
	s_cbranch_vccnz .LBB839_7
; %bb.6:
	s_add_u32 s2, s2, s4
	s_addc_u32 s3, s3, s5
	s_load_b32 s3, s[2:3], 0x0
	s_branch .LBB839_8
.LBB839_7:
	s_mov_b32 s3, s34
.LBB839_8:
	s_load_b128 s[4:7], s[0:1], 0x48
	v_and_b32_e32 v68, 15, v0
	v_cmp_gt_u32_e32 vcc_lo, 0xa0, v0
	v_lshrrev_b32_e32 v69, 5, v0
	v_and_b32_e32 v70, 31, v0
	v_and_b32_e32 v67, 1, v0
	v_lshlrev_b32_e32 v1, 3, v68
	v_cmp_gt_u32_e64 s2, 8, v68
	v_bfe_u32 v66, v0, 4, 1
	s_mul_i32 s31, s15, 10
	s_delay_alu instid0(VALU_DEP_3) | instskip(NEXT) | instid1(VALU_DEP_3)
	v_lshlrev_b32_e32 v65, 1, v1
	s_and_b32 s17, vcc_lo, s2
	s_waitcnt lgkmcnt(0)
	s_and_saveexec_b32 s7, s17
	s_cbranch_execz .LBB839_10
; %bb.9:
	s_load_b64 s[20:21], s[0:1], 0x0
	v_lshl_or_b32 v5, v69, 1, v66
	s_mul_hi_i32 s23, s3, s4
	s_mul_i32 s22, s3, s4
	v_lshlrev_b32_e32 v6, 10, v68
	s_lshl_b64 s[22:23], s[22:23], 1
	v_add_lshl_u32 v1, v5, s31, 6
	v_lshlrev_b32_e32 v5, 6, v5
	v_lshlrev_b32_e32 v7, 10, v67
	v_and_b32_e32 v6, 0x3800, v6
	s_delay_alu instid0(VALU_DEP_4) | instskip(NEXT) | instid1(VALU_DEP_2)
	v_ashrrev_i32_e32 v2, 31, v1
	v_or3_b32 v5, v6, v7, v5
	s_delay_alu instid0(VALU_DEP_2) | instskip(SKIP_3) | instid1(VALU_DEP_1)
	v_lshlrev_b64 v[1:2], 1, v[1:2]
	s_waitcnt lgkmcnt(0)
	s_add_u32 s3, s20, s22
	s_addc_u32 s4, s21, s23
	v_add_co_u32 v1, vcc_lo, s3, v1
	s_delay_alu instid0(VALU_DEP_2) | instskip(NEXT) | instid1(VALU_DEP_2)
	v_add_co_ci_u32_e32 v2, vcc_lo, s4, v2, vcc_lo
	v_add_co_u32 v1, vcc_lo, v1, v65
	s_delay_alu instid0(VALU_DEP_2)
	v_add_co_ci_u32_e32 v2, vcc_lo, 0, v2, vcc_lo
	global_load_b128 v[1:4], v[1:2], off
	s_waitcnt vmcnt(0)
	ds_store_b128 v5, v[1:4]
.LBB839_10:
	s_or_b32 exec_lo, exec_lo, s7
	v_and_b32_e32 v1, 0xef, v0
	s_add_i32 s3, s18, 15
	s_clause 0x1
	s_load_b32 s4, s[0:1], 0x38
	s_load_b32 s33, s[0:1], 0x98
	s_ashr_i32 s7, s3, 31
	v_add_nc_u32_e32 v1, s16, v1
	s_lshr_b32 s7, s7, 28
	s_load_b32 s19, s[0:1], 0x1c
	v_add_nc_u32_e32 v103, -10, v68
	s_add_i32 s3, s3, s7
	v_ashrrev_i32_e32 v2, 31, v1
	v_or_b32_e32 v3, 16, v1
	s_ashr_i32 s3, s3, 4
	v_cmp_gt_i32_e32 vcc_lo, s18, v1
	s_add_i32 s3, s3, -1
	v_lshrrev_b32_e32 v2, 28, v2
	s_waitcnt lgkmcnt(0)
	s_barrier
	buffer_gl0_inv
	s_mul_i32 s15, s15, s6
	v_add_nc_u32_e32 v4, v1, v2
	v_mbcnt_lo_u32_b32 v127, -1, 0
	s_mul_i32 s20, s34, s4
	s_delay_alu instid0(SALU_CYCLE_1) | instskip(NEXT) | instid1(VALU_DEP_2)
	s_ashr_i32 s21, s20, 31
	v_ashrrev_i32_e32 v4, 4, v4
	v_add_nc_u32_e32 v2, v3, v2
	s_lshl_b64 s[20:21], s[20:21], 2
	v_xor_b32_e32 v128, 16, v127
	s_add_u32 s17, s12, s20
	v_cndmask_b32_e32 v1, s3, v4, vcc_lo
	v_ashrrev_i32_e32 v2, 4, v2
	v_cmp_gt_i32_e32 vcc_lo, s18, v3
	s_addc_u32 s13, s13, s21
	s_ashr_i32 s20, s15, 31
	s_add_u32 s4, s8, s15
	s_addc_u32 s12, s9, s20
	v_cndmask_b32_e32 v3, s3, v2, vcc_lo
	v_ashrrev_i32_e32 v2, 31, v1
	s_lshl_b32 s6, s14, 4
	s_delay_alu instid0(SALU_CYCLE_1) | instskip(NEXT) | instid1(VALU_DEP_2)
	s_ashr_i32 s7, s6, 31
	v_ashrrev_i32_e32 v4, 31, v3
	s_delay_alu instid0(VALU_DEP_2) | instskip(SKIP_1) | instid1(SALU_CYCLE_1)
	v_lshlrev_b64 v[1:2], 2, v[1:2]
	s_lshl_b64 s[6:7], s[6:7], 2
	s_add_u32 s6, s17, s6
	s_delay_alu instid0(VALU_DEP_2) | instskip(SKIP_1) | instid1(VALU_DEP_2)
	v_lshlrev_b64 v[3:4], 2, v[3:4]
	s_addc_u32 s7, s13, s7
	v_add_co_u32 v1, vcc_lo, s17, v1
	v_add_co_ci_u32_e32 v2, vcc_lo, s13, v2, vcc_lo
	s_delay_alu instid0(VALU_DEP_3) | instskip(NEXT) | instid1(VALU_DEP_4)
	v_add_co_u32 v3, vcc_lo, s17, v3
	v_add_co_ci_u32_e32 v4, vcc_lo, s13, v4, vcc_lo
	s_clause 0x1
	global_load_b32 v5, v[1:2], off
	global_load_b32 v7, v[3:4], off
	s_or_b32 s8, s16, 32
	v_lshlrev_b32_e32 v1, 4, v0
	s_ashr_i32 s9, s8, 4
	s_cmp_lt_i32 s8, s18
	v_cmp_gt_u32_e32 vcc_lo, 10, v68
	s_cselect_b32 s8, s9, s3
	v_and_b32_e32 v1, 0xf0, v1
	s_ashr_i32 s9, s8, 31
	s_delay_alu instid0(SALU_CYCLE_1)
	s_lshl_b64 s[8:9], s[8:9], 2
	v_cndmask_b32_e32 v103, v103, v68, vcc_lo
	s_add_u32 s8, s17, s8
	s_addc_u32 s9, s13, s9
	s_or_b32 s21, s16, 64
	v_add_co_u32 v1, s4, s4, v1
	s_ashr_i32 s22, s21, 4
	s_cmp_lt_i32 s21, s18
	v_add_co_ci_u32_e64 v2, null, s12, 0, s4
	s_cselect_b32 s22, s22, s3
	v_cmp_gt_i32_e32 vcc_lo, 32, v128
	s_ashr_i32 s23, s22, 31
	v_lshlrev_b32_e32 v115, 6, v103
	s_lshl_b64 s[22:23], s[22:23], 2
	v_cndmask_b32_e32 v136, v127, v128, vcc_lo
	s_add_u32 s22, s17, s22
	s_addc_u32 s23, s13, s23
	s_or_b32 s21, s16, 0x60
	s_delay_alu instid0(SALU_CYCLE_1) | instskip(SKIP_2) | instid1(SALU_CYCLE_1)
	s_ashr_i32 s24, s21, 4
	s_cmp_lt_i32 s21, s18
	s_cselect_b32 s24, s24, s3
	s_ashr_i32 s25, s24, 31
	s_delay_alu instid0(SALU_CYCLE_1) | instskip(NEXT) | instid1(SALU_CYCLE_1)
	s_lshl_b64 s[24:25], s[24:25], 2
	s_add_u32 s24, s17, s24
	s_addc_u32 s25, s13, s25
	s_or_b32 s21, s16, 0x80
	s_delay_alu instid0(SALU_CYCLE_1) | instskip(SKIP_2) | instid1(SALU_CYCLE_1)
	s_ashr_i32 s26, s21, 4
	s_cmp_lt_i32 s21, s18
	s_cselect_b32 s26, s26, s3
	s_ashr_i32 s27, s26, 31
	s_delay_alu instid0(SALU_CYCLE_1) | instskip(NEXT) | instid1(SALU_CYCLE_1)
	s_lshl_b64 s[26:27], s[26:27], 2
	;; [unrolled: 10-line block ×3, first 2 shown]
	s_add_u32 s28, s17, s28
	s_addc_u32 s29, s13, s29
	s_clause 0x5
	s_load_b32 s12, s[6:7], 0x0
	s_load_b32 s4, s[8:9], 0x0
	;; [unrolled: 1-line block ×6, first 2 shown]
	s_or_b32 s21, s16, 0xc0
	s_delay_alu instid0(SALU_CYCLE_1) | instskip(SKIP_2) | instid1(SALU_CYCLE_1)
	s_ashr_i32 s22, s21, 4
	s_cmp_lt_i32 s21, s18
	s_cselect_b32 s22, s22, s3
	s_ashr_i32 s23, s22, 31
	s_delay_alu instid0(SALU_CYCLE_1) | instskip(NEXT) | instid1(SALU_CYCLE_1)
	s_lshl_b64 s[22:23], s[22:23], 2
	s_add_u32 s22, s17, s22
	s_addc_u32 s23, s13, s23
	s_or_b32 s21, s16, 0xe0
	s_delay_alu instid0(SALU_CYCLE_1) | instskip(SKIP_2) | instid1(SALU_CYCLE_1)
	s_ashr_i32 s24, s21, 4
	s_cmp_lt_i32 s21, s18
	s_cselect_b32 s24, s24, s3
	s_ashr_i32 s25, s24, 31
	s_delay_alu instid0(SALU_CYCLE_1)
	s_lshl_b64 s[24:25], s[24:25], 2
	s_waitcnt vmcnt(1)
	v_mad_i64_i32 v[3:4], null, v5, s5, v[1:2]
	s_waitcnt vmcnt(0)
	v_mad_i64_i32 v[5:6], null, v7, s5, v[1:2]
	v_lshlrev_b32_e32 v1, 4, v68
	s_clause 0x7
	global_load_b128 v[71:74], v[3:4], off
	global_load_b128 v[75:78], v[3:4], off offset:256
	global_load_b128 v[79:82], v[5:6], off
	global_load_b128 v[83:86], v[5:6], off offset:256
	global_load_b128 v[87:90], v[3:4], off offset:512
	;; [unrolled: 1-line block ×5, first 2 shown]
	v_lshl_or_b32 v1, v69, 8, v1
	s_load_b32 s3, s[22:23], 0x0
	s_add_u32 s22, s17, s24
	s_addc_u32 s23, s13, s25
	s_add_u32 s10, s10, s15
	s_addc_u32 s11, s11, s20
	v_add_co_u32 v1, s10, s10, v1
	s_delay_alu instid0(VALU_DEP_1) | instskip(SKIP_2) | instid1(VALU_DEP_1)
	v_add_co_ci_u32_e64 v2, null, s11, 0, s10
	s_load_b32 s10, s[22:23], 0x0
	s_waitcnt lgkmcnt(0)
	v_mad_i64_i32 v[3:4], null, s12, s5, v[1:2]
	v_mad_i64_i32 v[9:10], null, s7, s5, v[1:2]
	;; [unrolled: 1-line block ×7, first 2 shown]
	s_clause 0x5
	global_load_b128 v[49:52], v[3:4], off
	global_load_b128 v[53:56], v[3:4], off offset:16
	global_load_b128 v[41:44], v[5:6], off
	global_load_b128 v[45:48], v[5:6], off offset:16
	;; [unrolled: 2-line block ×3, first 2 shown]
	s_mov_b32 s4, 0
	v_mad_i64_i32 v[61:62], null, s10, s5, v[1:2]
	s_clause 0x9
	global_load_b128 v[1:4], v[9:10], off
	global_load_b128 v[5:8], v[9:10], off offset:16
	global_load_b128 v[9:12], v[13:14], off
	global_load_b128 v[13:16], v[13:14], off offset:16
	;; [unrolled: 2-line block ×5, first 2 shown]
	s_mov_b32 s5, s4
	s_mov_b32 s6, s4
	;; [unrolled: 1-line block ×7, first 2 shown]
	v_and_b32_e32 v104, 0xe0, v0
	v_dual_mov_b32 v126, s11 :: v_dual_mov_b32 v125, s10
	v_dual_mov_b32 v124, s9 :: v_dual_mov_b32 v123, s8
	s_delay_alu instid0(VALU_DEP_3)
	v_add_nc_u32_e32 v111, s16, v104
	ds_load_b128 v[103:106], v115
	ds_load_b128 v[107:110], v115 offset:1024
	v_dual_mov_b32 v122, s7 :: v_dual_mov_b32 v121, s6
	v_mov_b32_e32 v120, s5
	v_or_b32_e32 v135, v111, v66
	ds_load_b128 v[111:114], v115 offset:2048
	ds_load_b128 v[115:118], v115 offset:3072
	v_mov_b32_e32 v119, s4
	s_waitcnt vmcnt(0) lgkmcnt(0)
	s_barrier
	v_or_b32_e32 v137, 2, v135
	v_or_b32_e32 v138, 4, v135
	;; [unrolled: 1-line block ×3, first 2 shown]
	v_cmp_gt_i32_e32 vcc_lo, s18, v135
	v_or_b32_e32 v140, 8, v135
	v_cmp_gt_i32_e64 s3, s18, v137
	v_or_b32_e32 v141, 10, v135
	v_cmp_gt_i32_e64 s4, s18, v138
	v_cmp_gt_i32_e64 s5, s18, v139
	v_or_b32_e32 v142, 12, v135
	v_or_b32_e32 v143, 14, v135
	v_cmp_gt_i32_e64 s6, s18, v140
	v_cmp_gt_i32_e64 s7, s18, v141
	v_or_b32_e32 v144, 16, v135
	v_or_b32_e32 v145, 18, v135
	v_cmp_gt_i32_e64 s8, s18, v142
	v_cmp_gt_i32_e64 s9, s18, v143
	buffer_gl0_inv
	v_cmp_gt_i32_e64 s10, s18, v144
	v_cmp_gt_i32_e64 s11, s18, v145
	v_wmma_f32_16x16x16_f16 v[127:134], v[71:78], v[103:110], v[119:126]
	v_wmma_f32_16x16x16_f16 v[119:126], v[79:86], v[103:110], v[119:126]
	v_or_b32_e32 v71, 20, v135
	v_or_b32_e32 v72, 22, v135
	s_delay_alu instid0(VALU_DEP_4)
	v_wmma_f32_16x16x16_f16 v[127:134], v[87:94], v[111:118], v[127:134]
	v_or_b32_e32 v73, 24, v135
	v_wmma_f32_16x16x16_f16 v[119:126], v[95:102], v[111:118], v[119:126]
	v_or_b32_e32 v74, 26, v135
	v_cmp_gt_i32_e64 s12, s18, v71
	v_dual_mul_f32 v83, s19, v128 :: v_dual_mul_f32 v84, s19, v127
	v_dual_mul_f32 v81, s19, v130 :: v_dual_mul_f32 v82, s19, v129
	;; [unrolled: 1-line block ×3, first 2 shown]
	s_delay_alu instid0(VALU_DEP_3) | instskip(NEXT) | instid1(VALU_DEP_4)
	v_cndmask_b32_e32 v84, 0xff7fffff, v84, vcc_lo
	v_cndmask_b32_e64 v83, 0xff7fffff, v83, s3
	v_mul_f32_e32 v80, s19, v131
	v_cndmask_b32_e64 v82, 0xff7fffff, v82, s4
	v_cndmask_b32_e64 v81, 0xff7fffff, v81, s5
	v_dual_mul_f32 v77, s19, v134 :: v_dual_mul_f32 v90, s19, v121
	v_max3_f32 v83, v84, 0xff7fffff, v83
	v_mul_f32_e32 v78, s19, v133
	v_cndmask_b32_e64 v80, 0xff7fffff, v80, s6
	v_cndmask_b32_e64 v79, 0xff7fffff, v79, s7
	v_mul_f32_e32 v91, s19, v120
	v_max3_f32 v81, v83, v82, v81
	v_cndmask_b32_e64 v78, 0xff7fffff, v78, s8
	v_cndmask_b32_e64 v77, 0xff7fffff, v77, s9
	v_mul_f32_e32 v89, s19, v122
	v_cmp_gt_i32_e64 s13, s18, v72
	v_max3_f32 v79, v81, v80, v79
	v_cndmask_b32_e64 v80, 0xff7fffff, v92, s10
	v_cndmask_b32_e64 v81, 0xff7fffff, v91, s11
	v_or_b32_e32 v75, 28, v135
	v_or_b32_e32 v76, 30, v135
	v_max3_f32 v77, v79, v78, v77
	v_dual_mul_f32 v87, s19, v124 :: v_dual_mul_f32 v88, s19, v123
	v_cndmask_b32_e64 v71, 0xff7fffff, v90, s12
	v_cndmask_b32_e64 v72, 0xff7fffff, v89, s13
	s_delay_alu instid0(VALU_DEP_4) | instskip(SKIP_3) | instid1(VALU_DEP_4)
	v_max3_f32 v77, v77, v80, v81
	v_cmp_gt_i32_e64 s15, s18, v73
	v_cmp_gt_i32_e64 s16, s18, v74
	v_dual_mul_f32 v85, s19, v126 :: v_dual_mul_f32 v86, s19, v125
	v_max3_f32 v71, v77, v71, v72
	s_delay_alu instid0(VALU_DEP_4) | instskip(NEXT) | instid1(VALU_DEP_4)
	v_cndmask_b32_e64 v73, 0xff7fffff, v88, s15
	v_cndmask_b32_e64 v74, 0xff7fffff, v87, s16
	v_cmp_gt_i32_e64 s17, s18, v75
	v_cmp_gt_i32_e64 s18, s18, v76
	s_delay_alu instid0(VALU_DEP_3) | instskip(NEXT) | instid1(VALU_DEP_3)
	v_max3_f32 v71, v71, v73, v74
	v_cndmask_b32_e64 v72, 0xff7fffff, v86, s17
	s_delay_alu instid0(VALU_DEP_3) | instskip(SKIP_1) | instid1(VALU_DEP_2)
	v_cndmask_b32_e64 v75, 0xff7fffff, v85, s18
	v_lshlrev_b32_e32 v73, 2, v136
	v_max3_f32 v71, v71, v72, v75
	ds_bpermute_b32 v72, v73, v71
	s_waitcnt lgkmcnt(0)
	v_max_f32_e32 v72, v72, v72
	s_delay_alu instid0(VALU_DEP_1) | instskip(NEXT) | instid1(VALU_DEP_1)
	v_max_f32_e32 v71, v71, v72
	v_fma_f32 v72, s19, v127, -v71
	v_fma_f32 v74, s19, v128, -v71
	;; [unrolled: 1-line block ×5, first 2 shown]
	v_mul_f32_e32 v72, 0x3fb8aa3b, v72
	s_delay_alu instid0(VALU_DEP_4) | instskip(NEXT) | instid1(VALU_DEP_4)
	v_dual_mul_f32 v74, 0x3fb8aa3b, v74 :: v_dual_mul_f32 v75, 0x3fb8aa3b, v75
	v_mul_f32_e32 v76, 0x3fb8aa3b, v76
	s_delay_alu instid0(VALU_DEP_4) | instskip(NEXT) | instid1(VALU_DEP_4)
	v_mul_f32_e32 v82, 0x3fb8aa3b, v80
	v_exp_f32_e32 v72, v72
	s_delay_alu instid0(VALU_DEP_3)
	v_exp_f32_e32 v74, v74
	v_exp_f32_e32 v75, v75
	;; [unrolled: 1-line block ×3, first 2 shown]
	v_fma_f32 v77, s19, v131, -v71
	v_exp_f32_e32 v84, v82
	v_cndmask_b32_e32 v79, 0, v72, vcc_lo
	v_cndmask_b32_e64 v78, 0, v74, s3
	s_delay_alu instid0(TRANS32_DEP_3) | instskip(SKIP_1) | instid1(TRANS32_DEP_2)
	v_cndmask_b32_e64 v81, 0, v75, s4
	v_fma_f32 v72, s19, v132, -v71
	v_cndmask_b32_e64 v80, 0, v76, s5
	v_add_f32_e32 v74, 0, v79
	s_delay_alu instid0(TRANS32_DEP_1) | instskip(SKIP_2) | instid1(VALU_DEP_3)
	v_cndmask_b32_e64 v85, 0, v84, s8
	s_mov_b32 s3, exec_lo
	v_mul_f32_e32 v72, 0x3fb8aa3b, v72
	v_add_f32_e32 v74, v74, v78
	s_delay_alu instid0(VALU_DEP_2) | instskip(NEXT) | instid1(VALU_DEP_1)
	v_exp_f32_e32 v72, v72
	v_add_f32_e32 v74, v74, v81
	s_delay_alu instid0(VALU_DEP_1) | instskip(NEXT) | instid1(VALU_DEP_1)
	v_dual_mul_f32 v77, 0x3fb8aa3b, v77 :: v_dual_add_f32 v74, v74, v80
	v_exp_f32_e32 v77, v77
	s_waitcnt_depctr 0xfff
	v_cndmask_b32_e64 v82, 0, v72, s7
	v_cndmask_b32_e64 v83, 0, v77, s6
	s_delay_alu instid0(VALU_DEP_1) | instskip(SKIP_4) | instid1(VALU_DEP_4)
	v_add_f32_e32 v72, v74, v83
	v_fma_f32 v75, s19, v134, -v71
	v_fma_f32 v76, s19, v119, -v71
	;; [unrolled: 1-line block ×4, first 2 shown]
	v_dual_add_f32 v72, v72, v82 :: v_dual_mul_f32 v75, 0x3fb8aa3b, v75
	s_delay_alu instid0(VALU_DEP_3) | instskip(NEXT) | instid1(VALU_DEP_3)
	v_dual_mul_f32 v76, 0x3fb8aa3b, v76 :: v_dual_mul_f32 v77, 0x3fb8aa3b, v77
	v_mul_f32_e32 v74, 0x3fb8aa3b, v74
	v_fma_f32 v86, s19, v122, -v71
	s_delay_alu instid0(VALU_DEP_4) | instskip(NEXT) | instid1(VALU_DEP_3)
	v_exp_f32_e32 v75, v75
	v_exp_f32_e32 v76, v76
	;; [unrolled: 1-line block ×4, first 2 shown]
	v_mul_f32_e32 v86, 0x3fb8aa3b, v86
	s_delay_alu instid0(VALU_DEP_1)
	v_exp_f32_e32 v88, v86
	v_cndmask_b32_e64 v84, 0, v75, s9
	v_fma_f32 v75, s19, v123, -v71
	v_add_f32_e32 v72, v72, v85
	v_cndmask_b32_e64 v87, 0, v76, s10
	v_fma_f32 v76, s19, v124, -v71
	s_delay_alu instid0(TRANS32_DEP_3) | instskip(NEXT) | instid1(VALU_DEP_4)
	v_cndmask_b32_e64 v86, 0, v77, s11
	v_dual_mul_f32 v75, 0x3fb8aa3b, v75 :: v_dual_add_f32 v72, v72, v84
	v_fma_f32 v77, s19, v125, -v71
	s_delay_alu instid0(VALU_DEP_4) | instskip(SKIP_1) | instid1(VALU_DEP_4)
	v_mul_f32_e32 v76, 0x3fb8aa3b, v76
	v_cndmask_b32_e64 v89, 0, v74, s12
	v_exp_f32_e32 v75, v75
	v_add_f32_e32 v72, v72, v87
	v_mul_f32_e32 v74, 0x3fb8aa3b, v77
	v_exp_f32_e32 v76, v76
	v_cndmask_b32_e64 v88, 0, v88, s13
	v_fma_f32 v77, s19, v126, -v71
	v_add_f32_e32 v72, v72, v86
	v_exp_f32_e32 v74, v74
	s_delay_alu instid0(TRANS32_DEP_3) | instskip(NEXT) | instid1(VALU_DEP_2)
	v_cndmask_b32_e64 v91, 0, v75, s15
	v_add_f32_e32 v72, v72, v89
	v_mul_f32_e32 v75, 0x3fb8aa3b, v77
	s_delay_alu instid0(TRANS32_DEP_2) | instskip(NEXT) | instid1(VALU_DEP_3)
	v_cndmask_b32_e64 v90, 0, v76, s16
	v_add_f32_e32 v72, v72, v88
	s_delay_alu instid0(VALU_DEP_3) | instskip(NEXT) | instid1(TRANS32_DEP_2)
	v_exp_f32_e32 v75, v75
	v_cndmask_b32_e64 v93, 0, v74, s17
	s_delay_alu instid0(VALU_DEP_2) | instskip(NEXT) | instid1(VALU_DEP_1)
	v_add_f32_e32 v72, v72, v91
	v_add_f32_e32 v72, v72, v90
	s_waitcnt_depctr 0xfff
	v_cndmask_b32_e64 v92, 0, v75, s18
	v_add_f32_e32 v72, v72, v93
	s_delay_alu instid0(VALU_DEP_1)
	v_add_f32_e32 v72, v72, v92
	ds_bpermute_b32 v73, v73, v72
	v_cmpx_gt_u32_e32 16, v70
	s_cbranch_execz .LBB839_12
; %bb.11:
	v_mul_u32_u24_e32 v70, 0x44, v69
	s_waitcnt lgkmcnt(0)
	v_add_f32_e32 v72, v72, v73
	s_delay_alu instid0(VALU_DEP_2) | instskip(NEXT) | instid1(VALU_DEP_1)
	v_lshl_add_u32 v70, v68, 2, v70
	v_add_nc_u32_e32 v70, 0x4000, v70
	ds_store_2addr_b32 v70, v71, v72 offset1:136
.LBB839_12:
	s_or_b32 exec_lo, exec_lo, s3
	v_lshlrev_b32_e32 v70, 2, v68
	s_load_b32 s35, s[0:1], 0x94
	s_waitcnt lgkmcnt(0)
	s_barrier
	buffer_gl0_inv
	v_add_nc_u32_e32 v98, 0x4000, v70
	v_cmp_eq_u32_e32 vcc_lo, 1, v69
	v_cmp_eq_u32_e64 s3, 2, v69
	v_cmp_eq_u32_e64 s4, 3, v69
	;; [unrolled: 1-line block ×3, first 2 shown]
	ds_load_2addr_b32 v[70:71], v98 offset1:17
	ds_load_2addr_b32 v[72:73], v98 offset0:34 offset1:51
	ds_load_2addr_b32 v[74:75], v98 offset0:68 offset1:85
	;; [unrolled: 1-line block ×3, first 2 shown]
	v_cmp_eq_u32_e64 s6, 5, v69
	v_cmp_eq_u32_e64 s7, 7, v69
	s_waitcnt lgkmcnt(3)
	v_max3_f32 v76, v70, 0xff7fffff, v71
	s_waitcnt lgkmcnt(2)
	s_delay_alu instid0(VALU_DEP_1) | instskip(SKIP_1) | instid1(VALU_DEP_1)
	v_max3_f32 v76, v76, v72, v73
	s_waitcnt lgkmcnt(1)
	v_max3_f32 v76, v76, v74, v75
	s_waitcnt lgkmcnt(0)
	s_delay_alu instid0(VALU_DEP_1) | instskip(NEXT) | instid1(VALU_DEP_1)
	v_max3_f32 v76, v76, v94, v95
	v_sub_f32_e32 v77, v71, v76
	ds_load_2addr_b32 v[96:97], v98 offset0:136 offset1:153
	v_sub_f32_e32 v74, v74, v76
	v_sub_f32_e32 v70, v70, v76
	;; [unrolled: 1-line block ×3, first 2 shown]
	v_dual_sub_f32 v72, v72, v76 :: v_dual_mul_f32 v77, 0x3fb8aa3b, v77
	s_delay_alu instid0(VALU_DEP_4) | instskip(NEXT) | instid1(VALU_DEP_4)
	v_mul_f32_e32 v103, 0x3fb8aa3b, v74
	v_mul_f32_e32 v99, 0x3fb8aa3b, v70
	ds_load_2addr_b32 v[70:71], v98 offset0:170 offset1:187
	v_dual_mul_f32 v101, 0x3fb8aa3b, v72 :: v_dual_mul_f32 v94, 0x3fb8aa3b, v94
	v_exp_f32_e32 v102, v77
	v_exp_f32_e32 v99, v99
	s_delay_alu instid0(VALU_DEP_1) | instskip(NEXT) | instid1(VALU_DEP_1)
	v_exp_f32_e32 v101, v101
	v_exp_f32_e32 v94, v94
	s_waitcnt lgkmcnt(1)
	s_delay_alu instid0(TRANS32_DEP_3)
	v_fma_f32 v77, v99, v96, 0
	v_sub_f32_e32 v100, v73, v76
	ds_load_2addr_b32 v[72:73], v98 offset0:204 offset1:221
	v_fmac_f32_e32 v77, v102, v97
	v_exp_f32_e32 v97, v103
	s_waitcnt lgkmcnt(1)
	s_delay_alu instid0(VALU_DEP_1)
	v_dual_fmac_f32 v77, v101, v70 :: v_dual_sub_f32 v96, v75, v76
	ds_load_2addr_b32 v[74:75], v98 offset0:238 offset1:255
	v_sub_f32_e32 v70, v95, v76
	s_waitcnt lgkmcnt(0)
	s_barrier
	v_mul_f32_e32 v96, 0x3fb8aa3b, v96
	buffer_gl0_inv
	v_exp_f32_e32 v95, v96
	v_mul_f32_e32 v100, 0x3fb8aa3b, v100
	s_delay_alu instid0(VALU_DEP_1) | instskip(SKIP_3) | instid1(VALU_DEP_2)
	v_exp_f32_e32 v100, v100
	s_waitcnt_depctr 0xfff
	v_dual_fmac_f32 v77, v100, v71 :: v_dual_mul_f32 v70, 0x3fb8aa3b, v70
	v_cndmask_b32_e32 v71, v99, v102, vcc_lo
	v_fmac_f32_e32 v77, v97, v72
	s_delay_alu instid0(VALU_DEP_3) | instskip(NEXT) | instid1(VALU_DEP_1)
	v_exp_f32_e32 v96, v70
	v_fmac_f32_e32 v77, v95, v73
	s_delay_alu instid0(VALU_DEP_1) | instskip(SKIP_2) | instid1(VALU_DEP_1)
	v_fmac_f32_e32 v77, v94, v74
	s_waitcnt_depctr 0xfff
	v_fmac_f32_e32 v77, v96, v75
	v_add_f32_e32 v74, 0x358637bd, v77
	s_delay_alu instid0(VALU_DEP_1) | instskip(SKIP_1) | instid1(VALU_DEP_2)
	v_div_scale_f32 v98, null, v74, v74, 1.0
	v_div_scale_f32 v99, vcc_lo, 1.0, v74, 1.0
	v_rcp_f32_e32 v103, v98
	s_waitcnt_depctr 0xfff
	v_fma_f32 v70, -v98, v103, 1.0
	s_delay_alu instid0(VALU_DEP_1) | instskip(SKIP_2) | instid1(VALU_DEP_2)
	v_fmac_f32_e32 v103, v70, v103
	v_cndmask_b32_e64 v70, v71, v101, s3
	v_cmp_eq_u32_e64 s3, 6, v69
	v_cndmask_b32_e64 v71, v70, v100, s4
	s_delay_alu instid0(VALU_DEP_4) | instskip(NEXT) | instid1(VALU_DEP_2)
	v_dual_mul_f32 v101, v99, v103 :: v_dual_lshlrev_b32 v70, 2, v66
	v_cndmask_b32_e64 v71, v71, v97, s5
	s_delay_alu instid0(VALU_DEP_2) | instskip(NEXT) | instid1(VALU_DEP_3)
	v_or_b32_e32 v72, 1, v70
	v_fma_f32 v100, -v98, v101, v99
	v_cmp_eq_u32_e64 s4, 1, v70
	v_cmp_eq_u32_e64 s5, 2, v70
	v_cndmask_b32_e64 v95, v71, v95, s6
	v_or_b32_e32 v71, 3, v70
	v_fmac_f32_e32 v101, v100, v103
	v_cmp_eq_u32_e64 s9, 1, v72
	v_cmp_eq_u32_e64 s12, 2, v72
	v_cndmask_b32_e64 v94, v95, v94, s3
	v_cmp_eq_u32_e64 s11, 1, v71
	v_fma_f32 v97, -v98, v101, v99
	v_cmp_eq_u32_e64 s16, 2, v71
	v_cmp_eq_u32_e64 s13, 3, v72
	v_cndmask_b32_e64 v94, v94, v96, s7
	v_cmp_eq_u32_e64 s18, 3, v71
	v_div_fmas_f32 v95, v97, v103, v101
	v_cmp_eq_u32_e32 vcc_lo, 3, v70
	v_cmp_eq_u32_e64 s3, 4, v70
	v_cmp_eq_u32_e64 s19, 4, v72
	;; [unrolled: 1-line block ×3, first 2 shown]
	v_div_fixup_f32 v95, v95, v74, 1.0
	v_lshlrev_b32_e32 v73, 6, v68
	v_cmp_eq_u32_e64 s6, 5, v70
	v_cmp_eq_u32_e64 s20, 5, v72
	;; [unrolled: 1-line block ×3, first 2 shown]
	v_mul_f32_e32 v102, v94, v95
	v_lshl_or_b32 v75, v69, 11, v73
	v_or_b32_e32 v69, 2, v70
	v_cmp_eq_u32_e64 s25, 6, v72
	v_cmp_eq_u32_e64 s27, 6, v71
	v_fma_mixlo_f16 v94, v102, v79, 0
	v_fma_mixlo_f16 v95, v102, v81, 0
	;; [unrolled: 1-line block ×8, first 2 shown]
	v_lshl_or_b32 v74, v66, 4, v75
	v_fma_mixhi_f16 v94, v102, v78, 0
	v_fma_mixhi_f16 v95, v102, v80, 0
	;; [unrolled: 1-line block ×8, first 2 shown]
	ds_store_b128 v74, v[94:97]
	ds_store_b128 v74, v[98:101] offset:1024
	s_waitcnt lgkmcnt(0)
	s_barrier
	buffer_gl0_inv
	ds_load_b128 v[78:81], v75
	ds_load_b128 v[82:85], v75 offset:16
	ds_load_b128 v[86:89], v75 offset:1024
	;; [unrolled: 1-line block ×3, first 2 shown]
	v_cmp_eq_u32_e64 s10, 1, v69
	v_cmp_eq_u32_e64 s15, 2, v69
	v_cmp_eq_u32_e64 s17, 3, v69
	v_cmp_eq_u32_e64 s21, 4, v69
	v_cmp_eq_u32_e64 s23, 5, v69
	v_cmp_eq_u32_e64 s7, 6, v70
	v_cmp_eq_u32_e64 s26, 6, v69
	v_cmp_eq_u32_e64 s29, 7, v71
	v_cmp_eq_u32_e64 s30, 7, v72
	v_cmp_eq_u32_e64 s8, 7, v70
	v_cmp_eq_u32_e64 s28, 7, v69
	s_waitcnt lgkmcnt(3)
	v_lshrrev_b32_e32 v94, 16, v78
	s_waitcnt lgkmcnt(2)
	v_lshrrev_b32_e32 v98, 16, v82
	;; [unrolled: 2-line block ×4, first 2 shown]
	v_lshrrev_b32_e32 v95, 16, v79
	v_cndmask_b32_e64 v110, v78, v94, s4
	v_cndmask_b32_e64 v111, v82, v98, s4
	;; [unrolled: 1-line block ×8, first 2 shown]
	v_lshrrev_b32_e32 v99, 16, v83
	v_cndmask_b32_e64 v94, v86, v102, s4
	v_cndmask_b32_e64 v98, v90, v106, s4
	;; [unrolled: 1-line block ×15, first 2 shown]
	v_lshrrev_b32_e32 v103, 16, v87
	v_lshrrev_b32_e32 v107, 16, v91
	v_cndmask_b32_e64 v113, v115, v83, s15
	v_cndmask_b32_e64 v82, v94, v87, s5
	;; [unrolled: 1-line block ×7, first 2 shown]
	v_cndmask_b32_e32 v90, v102, v95, vcc_lo
	v_cndmask_b32_e32 v102, v106, v99, vcc_lo
	v_cndmask_b32_e64 v106, v110, v95, s13
	v_cndmask_b32_e64 v110, v111, v99, s13
	v_cndmask_b32_e64 v78, v78, v95, s18
	v_cndmask_b32_e64 v79, v79, v99, s18
	v_lshrrev_b32_e32 v96, 16, v80
	v_lshrrev_b32_e32 v100, 16, v84
	v_cndmask_b32_e64 v111, v112, v95, s17
	v_cndmask_b32_e64 v112, v113, v99, s17
	v_cndmask_b32_e32 v82, v82, v103, vcc_lo
	v_cndmask_b32_e32 v83, v83, v107, vcc_lo
	v_cndmask_b32_e64 v94, v94, v103, s13
	v_cndmask_b32_e64 v90, v90, v80, s3
	;; [unrolled: 1-line block ×7, first 2 shown]
	v_lshrrev_b32_e32 v104, 16, v88
	v_cndmask_b32_e64 v106, v111, v80, s21
	v_cndmask_b32_e64 v110, v112, v84, s21
	;; [unrolled: 1-line block ×11, first 2 shown]
	v_lshrrev_b32_e32 v97, 16, v81
	v_lshrrev_b32_e32 v101, 16, v85
	v_cndmask_b32_e64 v99, v106, v96, s23
	v_cndmask_b32_e64 v102, v110, v100, s23
	;; [unrolled: 1-line block ×7, first 2 shown]
	v_lshrrev_b32_e32 v105, 16, v89
	v_cndmask_b32_e64 v80, v80, v104, s6
	v_cndmask_b32_e64 v84, v84, v81, s7
	;; [unrolled: 1-line block ×16, first 2 shown]
	v_perm_b32 v81, v79, v78, 0x5040100
	v_perm_b32 v79, v95, v85, 0x5040100
	v_cndmask_b32_e64 v78, v119, v91, s15
	v_cndmask_b32_e64 v85, v117, v91, s12
	v_cndmask_b32_e64 v96, v80, v105, s8
	v_perm_b32 v80, v94, v90, 0x5040100
	v_cndmask_b32_e64 v90, v98, v103, s17
	v_cndmask_b32_e64 v86, v86, v103, s18
	;; [unrolled: 1-line block ×5, first 2 shown]
	v_lshrrev_b32_e32 v108, 16, v92
	v_cndmask_b32_e64 v90, v90, v88, s21
	v_cndmask_b32_e64 v86, v86, v88, s22
	;; [unrolled: 1-line block ×11, first 2 shown]
	v_lshrrev_b32_e32 v109, 16, v93
	v_cndmask_b32_e64 v82, v82, v93, s7
	v_cndmask_b32_e64 v88, v88, v89, s26
	v_cndmask_b32_e64 v86, v86, v89, s27
	v_cndmask_b32_e64 v87, v87, v93, s27
	v_cndmask_b32_e64 v78, v78, v93, s26
	v_cndmask_b32_e64 v85, v85, v93, s25
	v_cndmask_b32_e64 v88, v88, v105, s28
	v_cndmask_b32_e64 v86, v86, v105, s29
	v_cndmask_b32_e64 v87, v87, v109, s29
	v_cndmask_b32_e64 v89, v78, v109, s28
	v_cndmask_b32_e64 v90, v85, v109, s30
	v_cndmask_b32_e64 v82, v82, v109, s8
	v_perm_b32 v78, v84, v83, 0x5040100
	v_perm_b32 v85, v87, v86, 0x5040100
	;; [unrolled: 1-line block ×5, first 2 shown]
	s_mul_i32 s8, s33, 10
	s_mov_b32 s3, exec_lo
	ds_store_b128 v74, v[78:81]
	ds_store_b128 v74, v[82:85] offset:1024
	v_cmpx_gt_u32_e32 10, v0
	s_cbranch_execz .LBB839_14
; %bb.13:
	s_mul_i32 s4, s8, s34
	s_delay_alu instid0(SALU_CYCLE_1) | instskip(SKIP_1) | instid1(VALU_DEP_1)
	v_add3_u32 v68, s4, s31, v68
	s_load_b128 s[4:7], s[0:1], 0x58
	v_mad_u64_u32 v[78:79], null, v68, s35, s[14:15]
	s_delay_alu instid0(VALU_DEP_1) | instskip(NEXT) | instid1(VALU_DEP_1)
	v_ashrrev_i32_e32 v79, 31, v78
	v_lshlrev_b64 v[78:79], 2, v[78:79]
	s_waitcnt lgkmcnt(0)
	s_delay_alu instid0(VALU_DEP_1) | instskip(NEXT) | instid1(VALU_DEP_2)
	v_add_co_u32 v80, vcc_lo, s6, v78
	v_add_co_ci_u32_e32 v81, vcc_lo, s7, v79, vcc_lo
	v_add_co_u32 v78, vcc_lo, s4, v78
	v_add_co_ci_u32_e32 v79, vcc_lo, s5, v79, vcc_lo
	global_store_b32 v[80:81], v76, off
	global_store_b32 v[78:79], v77, off
.LBB839_14:
	s_or_b32 exec_lo, exec_lo, s3
	s_waitcnt lgkmcnt(0)
	s_waitcnt_vscnt null, 0x0
	s_barrier
	buffer_gl0_inv
	ds_load_b128 v[84:87], v73
	ds_load_b128 v[88:91], v73 offset:16
	ds_load_b128 v[96:99], v73 offset:2064
	;; [unrolled: 1-line block ×5, first 2 shown]
	v_cmp_eq_u32_e32 vcc_lo, 1, v70
	v_mov_b32_e32 v76, 0
	ds_load_b128 v[112:115], v73 offset:6160
	ds_load_b128 v[108:111], v73 offset:6144
	;; [unrolled: 1-line block ×4, first 2 shown]
	v_cmp_eq_u32_e64 s4, 1, v69
	v_cmp_eq_u32_e64 s3, 1, v72
	;; [unrolled: 1-line block ×3, first 2 shown]
	v_mov_b32_e32 v77, v76
	v_mov_b32_e32 v78, v76
	;; [unrolled: 1-line block ×7, first 2 shown]
	v_cmp_eq_u32_e64 s6, 3, v72
	v_cmp_eq_u32_e64 s7, 7, v72
	s_waitcnt lgkmcnt(8)
	s_delay_alu instid0(VALU_DEP_3)
	v_wmma_f32_16x16x16_f16 v[76:83], v[49:56], v[84:91], v[76:83]
	ds_load_b128 v[53:56], v73 offset:10256
	ds_load_b128 v[49:52], v73 offset:10240
	s_waitcnt lgkmcnt(8)
	v_wmma_f32_16x16x16_f16 v[76:83], v[41:48], v[92:99], v[76:83]
	ds_load_b128 v[45:48], v73 offset:12304
	ds_load_b128 v[41:44], v73 offset:12288
	s_waitcnt lgkmcnt(8)
	v_wmma_f32_16x16x16_f16 v[76:83], v[33:40], v[100:107], v[76:83]
	ds_load_b128 v[37:40], v73 offset:14352
	ds_load_b128 v[33:36], v73 offset:14336
	s_waitcnt lgkmcnt(0)
	s_barrier
	buffer_gl0_inv
	v_wmma_f32_16x16x16_f16 v[76:83], v[1:8], v[108:115], v[76:83]
	s_delay_alu instid0(VALU_DEP_1) | instskip(NEXT) | instid1(VALU_DEP_1)
	v_wmma_f32_16x16x16_f16 v[76:83], v[9:16], v[116:123], v[76:83]
	v_wmma_f32_16x16x16_f16 v[76:83], v[17:24], v[49:56], v[76:83]
	s_delay_alu instid0(VALU_DEP_1) | instskip(NEXT) | instid1(VALU_DEP_1)
	v_wmma_f32_16x16x16_f16 v[76:83], v[25:32], v[41:48], v[76:83]
	v_wmma_f32_16x16x16_f16 v[76:83], v[57:64], v[33:40], v[76:83]
	s_delay_alu instid0(VALU_DEP_1) | instskip(NEXT) | instid1(VALU_DEP_2)
	v_cvt_f16_f32_e32 v1, v76
	v_cvt_f16_f32_e32 v2, v77
	s_delay_alu instid0(VALU_DEP_3) | instskip(NEXT) | instid1(VALU_DEP_4)
	v_cvt_f16_f32_e32 v3, v78
	v_cvt_f16_f32_e32 v4, v79
	;; [unrolled: 1-line block ×6, first 2 shown]
	v_pack_b32_f16 v1, v1, v2
	v_pack_b32_f16 v2, v3, v4
	;; [unrolled: 1-line block ×3, first 2 shown]
	s_delay_alu instid0(VALU_DEP_4)
	v_pack_b32_f16 v4, v7, v8
	ds_store_b128 v74, v[1:4]
	s_waitcnt lgkmcnt(0)
	s_barrier
	buffer_gl0_inv
	ds_load_b128 v[1:4], v75
	ds_load_b128 v[5:8], v75 offset:16
	s_waitcnt lgkmcnt(1)
	v_lshrrev_b32_e32 v9, 16, v1
	s_waitcnt lgkmcnt(0)
	v_lshrrev_b32_e32 v13, 16, v5
	v_lshrrev_b32_e32 v10, 16, v2
	;; [unrolled: 1-line block ×4, first 2 shown]
	v_cndmask_b32_e32 v17, v1, v9, vcc_lo
	v_cndmask_b32_e32 v18, v5, v13, vcc_lo
	v_cndmask_b32_e64 v21, v1, v9, s4
	v_cmp_eq_u32_e32 vcc_lo, 1, v71
	v_cndmask_b32_e64 v22, v5, v13, s4
	v_cmp_eq_u32_e64 s4, 2, v70
	v_cndmask_b32_e64 v19, v1, v9, s3
	v_cndmask_b32_e64 v20, v5, v13, s3
	v_cndmask_b32_e32 v1, v1, v9, vcc_lo
	v_cmp_eq_u32_e64 s3, 2, v71
	v_cndmask_b32_e32 v5, v5, v13, vcc_lo
	v_cndmask_b32_e64 v9, v17, v2, s4
	v_cmp_eq_u32_e32 vcc_lo, 3, v70
	v_cndmask_b32_e64 v13, v18, v6, s4
	v_cmp_eq_u32_e64 s4, 2, v69
	v_cndmask_b32_e64 v17, v19, v2, s5
	v_cndmask_b32_e64 v18, v20, v6, s5
	v_cmp_eq_u32_e64 s5, 3, v69
	v_cndmask_b32_e64 v1, v1, v2, s3
	v_cndmask_b32_e64 v19, v21, v2, s4
	;; [unrolled: 1-line block ×4, first 2 shown]
	v_cndmask_b32_e32 v5, v9, v10, vcc_lo
	v_cndmask_b32_e32 v6, v13, v14, vcc_lo
	v_cmp_eq_u32_e32 vcc_lo, 3, v71
	v_cndmask_b32_e64 v9, v17, v10, s6
	v_cndmask_b32_e64 v13, v18, v14, s6
	;; [unrolled: 1-line block ×3, first 2 shown]
	v_cmp_eq_u32_e64 s4, 4, v70
	v_cndmask_b32_e32 v1, v1, v10, vcc_lo
	v_cndmask_b32_e32 v2, v2, v14, vcc_lo
	v_cmp_eq_u32_e32 vcc_lo, 4, v72
	v_lshrrev_b32_e32 v15, 16, v7
	v_lshrrev_b32_e32 v16, 16, v8
	v_cndmask_b32_e64 v17, v19, v10, s5
	v_cmp_eq_u32_e64 s3, 4, v71
	v_cndmask_b32_e64 v5, v5, v3, s4
	v_cndmask_b32_e64 v6, v6, v7, s4
	v_cndmask_b32_e32 v9, v9, v3, vcc_lo
	v_cmp_eq_u32_e64 s4, 5, v72
	v_cndmask_b32_e32 v10, v13, v7, vcc_lo
	v_cmp_eq_u32_e32 vcc_lo, 4, v69
	v_cmp_eq_u32_e64 s5, 5, v70
	v_cndmask_b32_e64 v2, v2, v7, s3
	v_cndmask_b32_e64 v9, v9, v11, s4
	;; [unrolled: 1-line block ×3, first 2 shown]
	v_cndmask_b32_e32 v13, v17, v3, vcc_lo
	v_cmp_eq_u32_e64 s4, 5, v69
	v_cndmask_b32_e32 v14, v18, v7, vcc_lo
	v_cndmask_b32_e64 v1, v1, v3, s3
	v_cmp_eq_u32_e32 vcc_lo, 5, v71
	v_lshrrev_b32_e32 v12, 16, v4
	v_cndmask_b32_e64 v13, v13, v11, s4
	v_cndmask_b32_e64 v3, v14, v15, s4
	v_cmp_eq_u32_e64 s4, 6, v71
	v_cndmask_b32_e32 v1, v1, v11, vcc_lo
	v_cndmask_b32_e64 v5, v5, v11, s5
	v_cmp_eq_u32_e64 s6, 6, v70
	v_cndmask_b32_e64 v6, v6, v15, s5
	v_cmp_eq_u32_e64 s5, 6, v72
	v_cmp_eq_u32_e64 s3, 6, v69
	v_cndmask_b32_e64 v1, v1, v4, s4
	v_cndmask_b32_e32 v2, v2, v15, vcc_lo
	v_cmp_eq_u32_e32 vcc_lo, 7, v71
	v_cndmask_b32_e64 v5, v5, v4, s6
	v_cndmask_b32_e64 v9, v9, v4, s5
	;; [unrolled: 1-line block ×3, first 2 shown]
	v_cmp_eq_u32_e64 s6, 7, v70
	v_cndmask_b32_e32 v1, v1, v12, vcc_lo
	v_cndmask_b32_e64 v7, v13, v4, s3
	v_cndmask_b32_e64 v3, v3, v8, s3
	;; [unrolled: 1-line block ×3, first 2 shown]
	v_cmp_eq_u32_e64 s3, 7, v69
	v_cndmask_b32_e64 v4, v10, v8, s5
	v_cndmask_b32_e64 v5, v5, v12, s6
	;; [unrolled: 1-line block ×3, first 2 shown]
	v_cndmask_b32_e32 v2, v2, v16, vcc_lo
	v_cndmask_b32_e64 v7, v7, v12, s3
	v_cndmask_b32_e64 v3, v3, v16, s3
	;; [unrolled: 1-line block ×4, first 2 shown]
	v_cmp_gt_u32_e32 vcc_lo, 32, v0
	v_perm_b32 v4, v2, v1, 0x5040100
	v_perm_b32 v3, v3, v7, 0x5040100
	v_perm_b32 v2, v8, v9, 0x5040100
	v_perm_b32 v1, v6, v5, 0x5040100
	s_and_b32 s2, vcc_lo, s2
	ds_store_b128 v74, v[1:4]
	s_waitcnt lgkmcnt(0)
	s_barrier
	buffer_gl0_inv
	s_and_saveexec_b32 s3, s2
	s_cbranch_execz .LBB839_2
; %bb.15:
	s_load_b64 s[0:1], s[0:1], 0x68
	s_lshl_b32 s4, s35, 6
	v_or_b32_e32 v2, s31, v66
	s_mul_i32 s2, s4, s34
	v_lshlrev_b32_e32 v0, 10, v0
	s_mul_i32 s2, s2, s8
	v_lshlrev_b32_e32 v1, 4, v67
	s_ashr_i32 s3, s2, 31
	v_mul_lo_u32 v20, v2, s4
	s_lshl_b64 s[2:3], s[2:3], 1
	v_lshlrev_b32_e32 v3, 6, v66
	v_and_b32_e32 v0, 0x3800, v0
	s_delay_alu instid0(VALU_DEP_1) | instskip(NEXT) | instid1(VALU_DEP_4)
	v_or3_b32 v16, v0, v1, v3
	v_ashrrev_i32_e32 v21, 31, v20
	ds_load_b128 v[0:3], v16
	ds_load_b128 v[4:7], v16 offset:128
	s_waitcnt lgkmcnt(0)
	s_add_u32 s2, s0, s2
	s_addc_u32 s3, s1, s3
	s_lshl_b32 s0, s14, 6
	ds_load_b128 v[8:11], v16 offset:256
	ds_load_b128 v[12:15], v16 offset:384
	;; [unrolled: 1-line block ×3, first 2 shown]
	s_ashr_i32 s1, s0, 31
	s_delay_alu instid0(SALU_CYCLE_1) | instskip(NEXT) | instid1(SALU_CYCLE_1)
	s_lshl_b64 s[0:1], s[0:1], 1
	s_add_u32 s0, s2, s0
	s_addc_u32 s1, s3, s1
	s_lshl_b32 s2, s35, 7
	v_add_co_u32 v30, s0, s0, v65
	v_add_nc_u32_e32 v22, s2, v20
	v_lshlrev_b64 v[20:21], 1, v[20:21]
	v_add_co_ci_u32_e64 v31, null, s1, 0, s0
	s_delay_alu instid0(VALU_DEP_3) | instskip(SKIP_1) | instid1(VALU_DEP_4)
	v_add_nc_u32_e32 v24, s2, v22
	v_ashrrev_i32_e32 v23, 31, v22
	v_add_co_u32 v20, vcc_lo, v30, v20
	s_delay_alu instid0(VALU_DEP_4) | instskip(NEXT) | instid1(VALU_DEP_4)
	v_add_co_ci_u32_e32 v21, vcc_lo, v31, v21, vcc_lo
	v_add_nc_u32_e32 v26, s2, v24
	v_ashrrev_i32_e32 v25, 31, v24
	v_lshlrev_b64 v[22:23], 1, v[22:23]
	s_delay_alu instid0(VALU_DEP_3) | instskip(SKIP_1) | instid1(VALU_DEP_4)
	v_add_nc_u32_e32 v28, s2, v26
	v_ashrrev_i32_e32 v27, 31, v26
	v_lshlrev_b64 v[24:25], 1, v[24:25]
	s_delay_alu instid0(VALU_DEP_4) | instskip(NEXT) | instid1(VALU_DEP_4)
	v_add_co_u32 v22, vcc_lo, v30, v22
	v_ashrrev_i32_e32 v29, 31, v28
	s_delay_alu instid0(VALU_DEP_4) | instskip(SKIP_2) | instid1(VALU_DEP_4)
	v_lshlrev_b64 v[26:27], 1, v[26:27]
	v_add_co_ci_u32_e32 v23, vcc_lo, v31, v23, vcc_lo
	v_add_co_u32 v24, vcc_lo, v30, v24
	v_lshlrev_b64 v[28:29], 1, v[28:29]
	v_add_co_ci_u32_e32 v25, vcc_lo, v31, v25, vcc_lo
	v_add_co_u32 v26, vcc_lo, v30, v26
	v_add_co_ci_u32_e32 v27, vcc_lo, v31, v27, vcc_lo
	s_delay_alu instid0(VALU_DEP_4)
	v_add_co_u32 v28, vcc_lo, v30, v28
	v_add_co_ci_u32_e32 v29, vcc_lo, v31, v29, vcc_lo
	s_clause 0x1
	global_store_b128 v[20:21], v[0:3], off
	global_store_b128 v[22:23], v[4:7], off
	s_waitcnt lgkmcnt(2)
	global_store_b128 v[24:25], v[8:11], off
	s_waitcnt lgkmcnt(1)
	;; [unrolled: 2-line block ×3, first 2 shown]
	global_store_b128 v[28:29], v[16:19], off
	s_nop 0
	s_sendmsg sendmsg(MSG_DEALLOC_VGPRS)
	s_endpgm
	.section	.rodata,"a",@progbits
	.p2align	6, 0x0
	.amdhsa_kernel _Z39paged_attention_ll4mi_QKV_mfma16_kernelIDF16_hLN4vllm18Fp8KVCacheDataTypeE1EDF16_Li16ELi64ELi256ELb0ELi10EL8MFMAType1EEvPKT_PKT0_S8_ifPKiSA_SA_iPKfiiiPfSD_PS3_PT2_iSC_SC_
		.amdhsa_group_segment_fixed_size 17472
		.amdhsa_private_segment_fixed_size 0
		.amdhsa_kernarg_size 400
		.amdhsa_user_sgpr_count 13
		.amdhsa_user_sgpr_dispatch_ptr 0
		.amdhsa_user_sgpr_queue_ptr 0
		.amdhsa_user_sgpr_kernarg_segment_ptr 1
		.amdhsa_user_sgpr_dispatch_id 0
		.amdhsa_user_sgpr_private_segment_size 0
		.amdhsa_wavefront_size32 1
		.amdhsa_uses_dynamic_stack 0
		.amdhsa_enable_private_segment 0
		.amdhsa_system_sgpr_workgroup_id_x 1
		.amdhsa_system_sgpr_workgroup_id_y 1
		.amdhsa_system_sgpr_workgroup_id_z 1
		.amdhsa_system_sgpr_workgroup_info 0
		.amdhsa_system_vgpr_workitem_id 0
		.amdhsa_next_free_vgpr 146
		.amdhsa_next_free_sgpr 36
		.amdhsa_reserve_vcc 1
		.amdhsa_float_round_mode_32 0
		.amdhsa_float_round_mode_16_64 0
		.amdhsa_float_denorm_mode_32 3
		.amdhsa_float_denorm_mode_16_64 3
		.amdhsa_dx10_clamp 1
		.amdhsa_ieee_mode 1
		.amdhsa_fp16_overflow 0
		.amdhsa_workgroup_processor_mode 1
		.amdhsa_memory_ordered 1
		.amdhsa_forward_progress 0
		.amdhsa_shared_vgpr_count 0
		.amdhsa_exception_fp_ieee_invalid_op 0
		.amdhsa_exception_fp_denorm_src 0
		.amdhsa_exception_fp_ieee_div_zero 0
		.amdhsa_exception_fp_ieee_overflow 0
		.amdhsa_exception_fp_ieee_underflow 0
		.amdhsa_exception_fp_ieee_inexact 0
		.amdhsa_exception_int_div_zero 0
	.end_amdhsa_kernel
	.section	.text._Z39paged_attention_ll4mi_QKV_mfma16_kernelIDF16_hLN4vllm18Fp8KVCacheDataTypeE1EDF16_Li16ELi64ELi256ELb0ELi10EL8MFMAType1EEvPKT_PKT0_S8_ifPKiSA_SA_iPKfiiiPfSD_PS3_PT2_iSC_SC_,"axG",@progbits,_Z39paged_attention_ll4mi_QKV_mfma16_kernelIDF16_hLN4vllm18Fp8KVCacheDataTypeE1EDF16_Li16ELi64ELi256ELb0ELi10EL8MFMAType1EEvPKT_PKT0_S8_ifPKiSA_SA_iPKfiiiPfSD_PS3_PT2_iSC_SC_,comdat
.Lfunc_end839:
	.size	_Z39paged_attention_ll4mi_QKV_mfma16_kernelIDF16_hLN4vllm18Fp8KVCacheDataTypeE1EDF16_Li16ELi64ELi256ELb0ELi10EL8MFMAType1EEvPKT_PKT0_S8_ifPKiSA_SA_iPKfiiiPfSD_PS3_PT2_iSC_SC_, .Lfunc_end839-_Z39paged_attention_ll4mi_QKV_mfma16_kernelIDF16_hLN4vllm18Fp8KVCacheDataTypeE1EDF16_Li16ELi64ELi256ELb0ELi10EL8MFMAType1EEvPKT_PKT0_S8_ifPKiSA_SA_iPKfiiiPfSD_PS3_PT2_iSC_SC_
                                        ; -- End function
	.section	.AMDGPU.csdata,"",@progbits
; Kernel info:
; codeLenInByte = 6540
; NumSgprs: 38
; NumVgprs: 146
; ScratchSize: 0
; MemoryBound: 0
; FloatMode: 240
; IeeeMode: 1
; LDSByteSize: 17472 bytes/workgroup (compile time only)
; SGPRBlocks: 4
; VGPRBlocks: 18
; NumSGPRsForWavesPerEU: 38
; NumVGPRsForWavesPerEU: 146
; Occupancy: 9
; WaveLimiterHint : 1
; COMPUTE_PGM_RSRC2:SCRATCH_EN: 0
; COMPUTE_PGM_RSRC2:USER_SGPR: 13
; COMPUTE_PGM_RSRC2:TRAP_HANDLER: 0
; COMPUTE_PGM_RSRC2:TGID_X_EN: 1
; COMPUTE_PGM_RSRC2:TGID_Y_EN: 1
; COMPUTE_PGM_RSRC2:TGID_Z_EN: 1
; COMPUTE_PGM_RSRC2:TIDIG_COMP_CNT: 0
	.section	.text._Z39paged_attention_ll4mi_QKV_mfma16_kernelIDF16_hLN4vllm18Fp8KVCacheDataTypeE1EDF16_Li16ELi64ELi256ELb0ELi11EL8MFMAType1EEvPKT_PKT0_S8_ifPKiSA_SA_iPKfiiiPfSD_PS3_PT2_iSC_SC_,"axG",@progbits,_Z39paged_attention_ll4mi_QKV_mfma16_kernelIDF16_hLN4vllm18Fp8KVCacheDataTypeE1EDF16_Li16ELi64ELi256ELb0ELi11EL8MFMAType1EEvPKT_PKT0_S8_ifPKiSA_SA_iPKfiiiPfSD_PS3_PT2_iSC_SC_,comdat
	.protected	_Z39paged_attention_ll4mi_QKV_mfma16_kernelIDF16_hLN4vllm18Fp8KVCacheDataTypeE1EDF16_Li16ELi64ELi256ELb0ELi11EL8MFMAType1EEvPKT_PKT0_S8_ifPKiSA_SA_iPKfiiiPfSD_PS3_PT2_iSC_SC_ ; -- Begin function _Z39paged_attention_ll4mi_QKV_mfma16_kernelIDF16_hLN4vllm18Fp8KVCacheDataTypeE1EDF16_Li16ELi64ELi256ELb0ELi11EL8MFMAType1EEvPKT_PKT0_S8_ifPKiSA_SA_iPKfiiiPfSD_PS3_PT2_iSC_SC_
	.globl	_Z39paged_attention_ll4mi_QKV_mfma16_kernelIDF16_hLN4vllm18Fp8KVCacheDataTypeE1EDF16_Li16ELi64ELi256ELb0ELi11EL8MFMAType1EEvPKT_PKT0_S8_ifPKiSA_SA_iPKfiiiPfSD_PS3_PT2_iSC_SC_
	.p2align	8
	.type	_Z39paged_attention_ll4mi_QKV_mfma16_kernelIDF16_hLN4vllm18Fp8KVCacheDataTypeE1EDF16_Li16ELi64ELi256ELb0ELi11EL8MFMAType1EEvPKT_PKT0_S8_ifPKiSA_SA_iPKfiiiPfSD_PS3_PT2_iSC_SC_,@function
_Z39paged_attention_ll4mi_QKV_mfma16_kernelIDF16_hLN4vllm18Fp8KVCacheDataTypeE1EDF16_Li16ELi64ELi256ELb0ELi11EL8MFMAType1EEvPKT_PKT0_S8_ifPKiSA_SA_iPKfiiiPfSD_PS3_PT2_iSC_SC_: ; @_Z39paged_attention_ll4mi_QKV_mfma16_kernelIDF16_hLN4vllm18Fp8KVCacheDataTypeE1EDF16_Li16ELi64ELi256ELb0ELi11EL8MFMAType1EEvPKT_PKT0_S8_ifPKiSA_SA_iPKfiiiPfSD_PS3_PT2_iSC_SC_
; %bb.0:
	s_load_b64 s[2:3], s[0:1], 0x30
	s_mov_b32 s34, s13
	s_waitcnt lgkmcnt(0)
	s_cmp_lg_u64 s[2:3], 0
	s_cselect_b32 s6, -1, 0
	s_ashr_i32 s35, s13, 31
	s_cmp_eq_u64 s[2:3], 0
	s_cbranch_scc1 .LBB840_3
; %bb.1:
	s_lshl_b64 s[4:5], s[34:35], 2
	s_delay_alu instid0(SALU_CYCLE_1) | instskip(SKIP_4) | instid1(SALU_CYCLE_1)
	s_add_u32 s4, s2, s4
	s_addc_u32 s5, s3, s5
	s_load_b64 s[4:5], s[4:5], 0x0
	s_waitcnt lgkmcnt(0)
	s_sub_i32 s4, s5, s4
	s_cmp_eq_u32 s4, 1
	s_cselect_b32 s4, -1, 0
	s_delay_alu instid0(SALU_CYCLE_1)
	s_and_not1_b32 vcc_lo, exec_lo, s4
	s_cbranch_vccz .LBB840_4
.LBB840_2:
	s_nop 0
	s_sendmsg sendmsg(MSG_DEALLOC_VGPRS)
	s_endpgm
.LBB840_3:
.LBB840_4:
	s_load_b64 s[8:9], s[0:1], 0x28
	s_lshl_b64 s[4:5], s[34:35], 2
	s_waitcnt lgkmcnt(0)
	s_add_u32 s8, s8, s4
	s_addc_u32 s9, s9, s5
	s_lshl_b32 s16, s14, 8
	s_load_b32 s18, s[8:9], 0x0
	s_waitcnt lgkmcnt(0)
	s_cmp_ge_i32 s16, s18
	s_cbranch_scc1 .LBB840_2
; %bb.5:
	s_clause 0x1
	s_load_b128 s[8:11], s[0:1], 0x8
	s_load_b64 s[12:13], s[0:1], 0x20
	s_and_not1_b32 vcc_lo, exec_lo, s6
	s_cbranch_vccnz .LBB840_7
; %bb.6:
	s_add_u32 s2, s2, s4
	s_addc_u32 s3, s3, s5
	s_load_b32 s3, s[2:3], 0x0
	s_branch .LBB840_8
.LBB840_7:
	s_mov_b32 s3, s34
.LBB840_8:
	s_load_b128 s[4:7], s[0:1], 0x48
	v_lshrrev_b32_e32 v69, 5, v0
	v_bfe_u32 v66, v0, 4, 1
	v_and_b32_e32 v68, 15, v0
	v_and_b32_e32 v70, 31, v0
	;; [unrolled: 1-line block ×3, first 2 shown]
	s_mul_i32 s33, s15, 11
	v_lshl_or_b32 v1, v69, 1, v66
	v_lshlrev_b32_e32 v2, 3, v68
	v_cmp_gt_u32_e64 s2, 8, v68
	s_delay_alu instid0(VALU_DEP_3) | instskip(NEXT) | instid1(VALU_DEP_3)
	v_cmp_gt_u32_e32 vcc_lo, 11, v1
	v_lshlrev_b32_e32 v65, 1, v2
	s_delay_alu instid0(VALU_DEP_3)
	s_and_b32 s17, s2, vcc_lo
	s_waitcnt lgkmcnt(0)
	s_and_saveexec_b32 s7, s17
	s_cbranch_execz .LBB840_10
; %bb.9:
	s_load_b64 s[20:21], s[0:1], 0x0
	v_add_lshl_u32 v2, v1, s33, 6
	s_mul_hi_i32 s23, s3, s4
	s_mul_i32 s22, s3, s4
	v_lshlrev_b32_e32 v6, 10, v68
	s_lshl_b64 s[22:23], s[22:23], 1
	v_ashrrev_i32_e32 v3, 31, v2
	v_lshlrev_b32_e32 v1, 6, v1
	v_lshlrev_b32_e32 v7, 10, v67
	v_and_b32_e32 v6, 0x3800, v6
	s_delay_alu instid0(VALU_DEP_4) | instskip(NEXT) | instid1(VALU_DEP_2)
	v_lshlrev_b64 v[2:3], 1, v[2:3]
	v_or3_b32 v1, v6, v7, v1
	s_waitcnt lgkmcnt(0)
	s_add_u32 s3, s20, s22
	s_addc_u32 s4, s21, s23
	s_delay_alu instid0(VALU_DEP_2) | instskip(SKIP_1) | instid1(VALU_DEP_2)
	v_add_co_u32 v2, vcc_lo, s3, v2
	v_add_co_ci_u32_e32 v3, vcc_lo, s4, v3, vcc_lo
	v_add_co_u32 v2, vcc_lo, v2, v65
	s_delay_alu instid0(VALU_DEP_2)
	v_add_co_ci_u32_e32 v3, vcc_lo, 0, v3, vcc_lo
	global_load_b128 v[2:5], v[2:3], off
	s_waitcnt vmcnt(0)
	ds_store_b128 v1, v[2:5]
.LBB840_10:
	s_or_b32 exec_lo, exec_lo, s7
	v_and_b32_e32 v1, 0xef, v0
	s_add_i32 s3, s18, 15
	s_clause 0x1
	s_load_b32 s4, s[0:1], 0x38
	s_load_b32 s35, s[0:1], 0x98
	s_ashr_i32 s7, s3, 31
	v_add_nc_u32_e32 v1, s16, v1
	s_lshr_b32 s7, s7, 28
	s_load_b32 s19, s[0:1], 0x1c
	v_add_nc_u32_e32 v103, -11, v68
	s_add_i32 s3, s3, s7
	v_ashrrev_i32_e32 v2, 31, v1
	v_or_b32_e32 v3, 16, v1
	s_ashr_i32 s3, s3, 4
	v_cmp_gt_i32_e32 vcc_lo, s18, v1
	s_add_i32 s3, s3, -1
	v_lshrrev_b32_e32 v2, 28, v2
	s_waitcnt lgkmcnt(0)
	s_barrier
	buffer_gl0_inv
	s_mul_i32 s15, s15, s6
	v_add_nc_u32_e32 v4, v1, v2
	v_mbcnt_lo_u32_b32 v127, -1, 0
	s_mul_i32 s20, s34, s4
	s_delay_alu instid0(SALU_CYCLE_1) | instskip(NEXT) | instid1(VALU_DEP_2)
	s_ashr_i32 s21, s20, 31
	v_ashrrev_i32_e32 v4, 4, v4
	v_add_nc_u32_e32 v2, v3, v2
	s_lshl_b64 s[20:21], s[20:21], 2
	v_xor_b32_e32 v128, 16, v127
	s_add_u32 s17, s12, s20
	v_cndmask_b32_e32 v1, s3, v4, vcc_lo
	v_ashrrev_i32_e32 v2, 4, v2
	v_cmp_gt_i32_e32 vcc_lo, s18, v3
	s_addc_u32 s13, s13, s21
	s_ashr_i32 s20, s15, 31
	s_add_u32 s4, s8, s15
	s_addc_u32 s12, s9, s20
	v_cndmask_b32_e32 v3, s3, v2, vcc_lo
	v_ashrrev_i32_e32 v2, 31, v1
	s_lshl_b32 s6, s14, 4
	s_delay_alu instid0(SALU_CYCLE_1) | instskip(NEXT) | instid1(VALU_DEP_2)
	s_ashr_i32 s7, s6, 31
	v_ashrrev_i32_e32 v4, 31, v3
	s_delay_alu instid0(VALU_DEP_2) | instskip(SKIP_1) | instid1(SALU_CYCLE_1)
	v_lshlrev_b64 v[1:2], 2, v[1:2]
	s_lshl_b64 s[6:7], s[6:7], 2
	s_add_u32 s6, s17, s6
	s_delay_alu instid0(VALU_DEP_2) | instskip(SKIP_1) | instid1(VALU_DEP_2)
	v_lshlrev_b64 v[3:4], 2, v[3:4]
	s_addc_u32 s7, s13, s7
	v_add_co_u32 v1, vcc_lo, s17, v1
	v_add_co_ci_u32_e32 v2, vcc_lo, s13, v2, vcc_lo
	s_delay_alu instid0(VALU_DEP_3) | instskip(NEXT) | instid1(VALU_DEP_4)
	v_add_co_u32 v3, vcc_lo, s17, v3
	v_add_co_ci_u32_e32 v4, vcc_lo, s13, v4, vcc_lo
	s_clause 0x1
	global_load_b32 v5, v[1:2], off
	global_load_b32 v7, v[3:4], off
	s_or_b32 s8, s16, 32
	v_lshlrev_b32_e32 v1, 4, v0
	s_ashr_i32 s9, s8, 4
	s_cmp_lt_i32 s8, s18
	v_cmp_gt_u32_e32 vcc_lo, 11, v68
	s_cselect_b32 s8, s9, s3
	v_and_b32_e32 v1, 0xf0, v1
	s_ashr_i32 s9, s8, 31
	s_delay_alu instid0(SALU_CYCLE_1)
	s_lshl_b64 s[8:9], s[8:9], 2
	v_cndmask_b32_e32 v103, v103, v68, vcc_lo
	s_add_u32 s8, s17, s8
	s_addc_u32 s9, s13, s9
	s_or_b32 s21, s16, 64
	v_add_co_u32 v1, s4, s4, v1
	s_ashr_i32 s22, s21, 4
	s_cmp_lt_i32 s21, s18
	v_add_co_ci_u32_e64 v2, null, s12, 0, s4
	s_cselect_b32 s22, s22, s3
	v_cmp_gt_i32_e32 vcc_lo, 32, v128
	s_ashr_i32 s23, s22, 31
	v_lshlrev_b32_e32 v115, 6, v103
	s_lshl_b64 s[22:23], s[22:23], 2
	v_cndmask_b32_e32 v136, v127, v128, vcc_lo
	s_add_u32 s22, s17, s22
	s_addc_u32 s23, s13, s23
	s_or_b32 s21, s16, 0x60
	s_delay_alu instid0(SALU_CYCLE_1) | instskip(SKIP_2) | instid1(SALU_CYCLE_1)
	s_ashr_i32 s24, s21, 4
	s_cmp_lt_i32 s21, s18
	s_cselect_b32 s24, s24, s3
	s_ashr_i32 s25, s24, 31
	s_delay_alu instid0(SALU_CYCLE_1) | instskip(NEXT) | instid1(SALU_CYCLE_1)
	s_lshl_b64 s[24:25], s[24:25], 2
	s_add_u32 s24, s17, s24
	s_addc_u32 s25, s13, s25
	s_or_b32 s21, s16, 0x80
	s_delay_alu instid0(SALU_CYCLE_1) | instskip(SKIP_2) | instid1(SALU_CYCLE_1)
	s_ashr_i32 s26, s21, 4
	s_cmp_lt_i32 s21, s18
	s_cselect_b32 s26, s26, s3
	s_ashr_i32 s27, s26, 31
	s_delay_alu instid0(SALU_CYCLE_1) | instskip(NEXT) | instid1(SALU_CYCLE_1)
	s_lshl_b64 s[26:27], s[26:27], 2
	;; [unrolled: 10-line block ×3, first 2 shown]
	s_add_u32 s28, s17, s28
	s_addc_u32 s29, s13, s29
	s_clause 0x5
	s_load_b32 s12, s[6:7], 0x0
	s_load_b32 s4, s[8:9], 0x0
	;; [unrolled: 1-line block ×6, first 2 shown]
	s_or_b32 s21, s16, 0xc0
	s_delay_alu instid0(SALU_CYCLE_1) | instskip(SKIP_2) | instid1(SALU_CYCLE_1)
	s_ashr_i32 s22, s21, 4
	s_cmp_lt_i32 s21, s18
	s_cselect_b32 s22, s22, s3
	s_ashr_i32 s23, s22, 31
	s_delay_alu instid0(SALU_CYCLE_1) | instskip(NEXT) | instid1(SALU_CYCLE_1)
	s_lshl_b64 s[22:23], s[22:23], 2
	s_add_u32 s22, s17, s22
	s_addc_u32 s23, s13, s23
	s_or_b32 s21, s16, 0xe0
	s_delay_alu instid0(SALU_CYCLE_1) | instskip(SKIP_2) | instid1(SALU_CYCLE_1)
	s_ashr_i32 s24, s21, 4
	s_cmp_lt_i32 s21, s18
	s_cselect_b32 s24, s24, s3
	s_ashr_i32 s25, s24, 31
	s_delay_alu instid0(SALU_CYCLE_1)
	s_lshl_b64 s[24:25], s[24:25], 2
	s_waitcnt vmcnt(1)
	v_mad_i64_i32 v[3:4], null, v5, s5, v[1:2]
	s_waitcnt vmcnt(0)
	v_mad_i64_i32 v[5:6], null, v7, s5, v[1:2]
	v_lshlrev_b32_e32 v1, 4, v68
	s_clause 0x7
	global_load_b128 v[71:74], v[3:4], off
	global_load_b128 v[75:78], v[3:4], off offset:256
	global_load_b128 v[79:82], v[5:6], off
	global_load_b128 v[83:86], v[5:6], off offset:256
	global_load_b128 v[87:90], v[3:4], off offset:512
	;; [unrolled: 1-line block ×5, first 2 shown]
	v_lshl_or_b32 v1, v69, 8, v1
	s_load_b32 s3, s[22:23], 0x0
	s_add_u32 s22, s17, s24
	s_addc_u32 s23, s13, s25
	s_add_u32 s10, s10, s15
	s_addc_u32 s11, s11, s20
	v_add_co_u32 v1, s10, s10, v1
	s_delay_alu instid0(VALU_DEP_1) | instskip(SKIP_2) | instid1(VALU_DEP_1)
	v_add_co_ci_u32_e64 v2, null, s11, 0, s10
	s_load_b32 s10, s[22:23], 0x0
	s_waitcnt lgkmcnt(0)
	v_mad_i64_i32 v[3:4], null, s12, s5, v[1:2]
	v_mad_i64_i32 v[9:10], null, s7, s5, v[1:2]
	;; [unrolled: 1-line block ×7, first 2 shown]
	s_clause 0x5
	global_load_b128 v[49:52], v[3:4], off
	global_load_b128 v[53:56], v[3:4], off offset:16
	global_load_b128 v[41:44], v[5:6], off
	global_load_b128 v[45:48], v[5:6], off offset:16
	;; [unrolled: 2-line block ×3, first 2 shown]
	s_mov_b32 s4, 0
	v_mad_i64_i32 v[61:62], null, s10, s5, v[1:2]
	s_clause 0x9
	global_load_b128 v[1:4], v[9:10], off
	global_load_b128 v[5:8], v[9:10], off offset:16
	global_load_b128 v[9:12], v[13:14], off
	global_load_b128 v[13:16], v[13:14], off offset:16
	;; [unrolled: 2-line block ×5, first 2 shown]
	s_mov_b32 s5, s4
	s_mov_b32 s6, s4
	;; [unrolled: 1-line block ×7, first 2 shown]
	v_and_b32_e32 v104, 0xe0, v0
	v_dual_mov_b32 v126, s11 :: v_dual_mov_b32 v125, s10
	v_dual_mov_b32 v124, s9 :: v_dual_mov_b32 v123, s8
	s_delay_alu instid0(VALU_DEP_3)
	v_add_nc_u32_e32 v111, s16, v104
	ds_load_b128 v[103:106], v115
	ds_load_b128 v[107:110], v115 offset:1024
	v_dual_mov_b32 v122, s7 :: v_dual_mov_b32 v121, s6
	v_mov_b32_e32 v120, s5
	v_or_b32_e32 v135, v111, v66
	ds_load_b128 v[111:114], v115 offset:2048
	ds_load_b128 v[115:118], v115 offset:3072
	v_mov_b32_e32 v119, s4
	s_waitcnt vmcnt(0) lgkmcnt(0)
	s_barrier
	v_or_b32_e32 v137, 2, v135
	v_or_b32_e32 v138, 4, v135
	;; [unrolled: 1-line block ×3, first 2 shown]
	v_cmp_gt_i32_e32 vcc_lo, s18, v135
	v_or_b32_e32 v140, 8, v135
	v_cmp_gt_i32_e64 s3, s18, v137
	v_or_b32_e32 v141, 10, v135
	v_cmp_gt_i32_e64 s4, s18, v138
	v_cmp_gt_i32_e64 s5, s18, v139
	v_or_b32_e32 v142, 12, v135
	v_or_b32_e32 v143, 14, v135
	v_cmp_gt_i32_e64 s6, s18, v140
	v_cmp_gt_i32_e64 s7, s18, v141
	v_or_b32_e32 v144, 16, v135
	v_or_b32_e32 v145, 18, v135
	v_cmp_gt_i32_e64 s8, s18, v142
	v_cmp_gt_i32_e64 s9, s18, v143
	buffer_gl0_inv
	v_cmp_gt_i32_e64 s10, s18, v144
	v_cmp_gt_i32_e64 s11, s18, v145
	v_wmma_f32_16x16x16_f16 v[127:134], v[71:78], v[103:110], v[119:126]
	v_wmma_f32_16x16x16_f16 v[119:126], v[79:86], v[103:110], v[119:126]
	v_or_b32_e32 v71, 20, v135
	v_or_b32_e32 v72, 22, v135
	s_delay_alu instid0(VALU_DEP_4)
	v_wmma_f32_16x16x16_f16 v[127:134], v[87:94], v[111:118], v[127:134]
	v_or_b32_e32 v73, 24, v135
	v_wmma_f32_16x16x16_f16 v[119:126], v[95:102], v[111:118], v[119:126]
	v_or_b32_e32 v74, 26, v135
	v_cmp_gt_i32_e64 s12, s18, v71
	v_dual_mul_f32 v83, s19, v128 :: v_dual_mul_f32 v84, s19, v127
	v_dual_mul_f32 v81, s19, v130 :: v_dual_mul_f32 v82, s19, v129
	;; [unrolled: 1-line block ×3, first 2 shown]
	s_delay_alu instid0(VALU_DEP_3) | instskip(NEXT) | instid1(VALU_DEP_4)
	v_cndmask_b32_e32 v84, 0xff7fffff, v84, vcc_lo
	v_cndmask_b32_e64 v83, 0xff7fffff, v83, s3
	v_mul_f32_e32 v80, s19, v131
	v_cndmask_b32_e64 v82, 0xff7fffff, v82, s4
	v_cndmask_b32_e64 v81, 0xff7fffff, v81, s5
	v_dual_mul_f32 v77, s19, v134 :: v_dual_mul_f32 v90, s19, v121
	v_max3_f32 v83, v84, 0xff7fffff, v83
	v_mul_f32_e32 v78, s19, v133
	v_cndmask_b32_e64 v80, 0xff7fffff, v80, s6
	v_cndmask_b32_e64 v79, 0xff7fffff, v79, s7
	v_mul_f32_e32 v91, s19, v120
	v_max3_f32 v81, v83, v82, v81
	v_cndmask_b32_e64 v78, 0xff7fffff, v78, s8
	v_cndmask_b32_e64 v77, 0xff7fffff, v77, s9
	v_mul_f32_e32 v89, s19, v122
	v_cmp_gt_i32_e64 s13, s18, v72
	v_max3_f32 v79, v81, v80, v79
	v_cndmask_b32_e64 v80, 0xff7fffff, v92, s10
	v_cndmask_b32_e64 v81, 0xff7fffff, v91, s11
	v_or_b32_e32 v75, 28, v135
	v_or_b32_e32 v76, 30, v135
	v_max3_f32 v77, v79, v78, v77
	v_dual_mul_f32 v87, s19, v124 :: v_dual_mul_f32 v88, s19, v123
	v_cndmask_b32_e64 v71, 0xff7fffff, v90, s12
	v_cndmask_b32_e64 v72, 0xff7fffff, v89, s13
	s_delay_alu instid0(VALU_DEP_4) | instskip(SKIP_3) | instid1(VALU_DEP_4)
	v_max3_f32 v77, v77, v80, v81
	v_cmp_gt_i32_e64 s15, s18, v73
	v_cmp_gt_i32_e64 s16, s18, v74
	v_dual_mul_f32 v85, s19, v126 :: v_dual_mul_f32 v86, s19, v125
	v_max3_f32 v71, v77, v71, v72
	s_delay_alu instid0(VALU_DEP_4) | instskip(NEXT) | instid1(VALU_DEP_4)
	v_cndmask_b32_e64 v73, 0xff7fffff, v88, s15
	v_cndmask_b32_e64 v74, 0xff7fffff, v87, s16
	v_cmp_gt_i32_e64 s17, s18, v75
	v_cmp_gt_i32_e64 s18, s18, v76
	s_delay_alu instid0(VALU_DEP_3) | instskip(NEXT) | instid1(VALU_DEP_3)
	v_max3_f32 v71, v71, v73, v74
	v_cndmask_b32_e64 v72, 0xff7fffff, v86, s17
	s_delay_alu instid0(VALU_DEP_3) | instskip(SKIP_1) | instid1(VALU_DEP_2)
	v_cndmask_b32_e64 v75, 0xff7fffff, v85, s18
	v_lshlrev_b32_e32 v73, 2, v136
	v_max3_f32 v71, v71, v72, v75
	ds_bpermute_b32 v72, v73, v71
	s_waitcnt lgkmcnt(0)
	v_max_f32_e32 v72, v72, v72
	s_delay_alu instid0(VALU_DEP_1) | instskip(NEXT) | instid1(VALU_DEP_1)
	v_max_f32_e32 v71, v71, v72
	v_fma_f32 v72, s19, v127, -v71
	v_fma_f32 v74, s19, v128, -v71
	;; [unrolled: 1-line block ×5, first 2 shown]
	v_mul_f32_e32 v72, 0x3fb8aa3b, v72
	s_delay_alu instid0(VALU_DEP_4) | instskip(NEXT) | instid1(VALU_DEP_4)
	v_dual_mul_f32 v74, 0x3fb8aa3b, v74 :: v_dual_mul_f32 v75, 0x3fb8aa3b, v75
	v_mul_f32_e32 v76, 0x3fb8aa3b, v76
	s_delay_alu instid0(VALU_DEP_4) | instskip(NEXT) | instid1(VALU_DEP_4)
	v_mul_f32_e32 v82, 0x3fb8aa3b, v80
	v_exp_f32_e32 v72, v72
	s_delay_alu instid0(VALU_DEP_3)
	v_exp_f32_e32 v74, v74
	v_exp_f32_e32 v75, v75
	;; [unrolled: 1-line block ×3, first 2 shown]
	v_fma_f32 v77, s19, v131, -v71
	v_exp_f32_e32 v84, v82
	v_cndmask_b32_e32 v79, 0, v72, vcc_lo
	v_cndmask_b32_e64 v78, 0, v74, s3
	s_delay_alu instid0(TRANS32_DEP_3) | instskip(SKIP_1) | instid1(TRANS32_DEP_2)
	v_cndmask_b32_e64 v81, 0, v75, s4
	v_fma_f32 v72, s19, v132, -v71
	v_cndmask_b32_e64 v80, 0, v76, s5
	v_add_f32_e32 v74, 0, v79
	s_delay_alu instid0(TRANS32_DEP_1) | instskip(SKIP_2) | instid1(VALU_DEP_4)
	v_cndmask_b32_e64 v85, 0, v84, s8
	v_cmp_gt_u32_e64 s3, 16, v70
	v_mul_f32_e32 v72, 0x3fb8aa3b, v72
	v_add_f32_e32 v74, v74, v78
	s_delay_alu instid0(VALU_DEP_2) | instskip(NEXT) | instid1(VALU_DEP_1)
	v_exp_f32_e32 v72, v72
	v_add_f32_e32 v74, v74, v81
	s_delay_alu instid0(VALU_DEP_1) | instskip(NEXT) | instid1(VALU_DEP_1)
	v_dual_mul_f32 v77, 0x3fb8aa3b, v77 :: v_dual_add_f32 v74, v74, v80
	v_exp_f32_e32 v77, v77
	s_waitcnt_depctr 0xfff
	v_cndmask_b32_e64 v82, 0, v72, s7
	v_cndmask_b32_e64 v83, 0, v77, s6
	s_delay_alu instid0(VALU_DEP_1) | instskip(SKIP_4) | instid1(VALU_DEP_4)
	v_add_f32_e32 v72, v74, v83
	v_fma_f32 v75, s19, v134, -v71
	v_fma_f32 v76, s19, v119, -v71
	;; [unrolled: 1-line block ×4, first 2 shown]
	v_dual_add_f32 v72, v72, v82 :: v_dual_mul_f32 v75, 0x3fb8aa3b, v75
	s_delay_alu instid0(VALU_DEP_3) | instskip(NEXT) | instid1(VALU_DEP_3)
	v_dual_mul_f32 v76, 0x3fb8aa3b, v76 :: v_dual_mul_f32 v77, 0x3fb8aa3b, v77
	v_mul_f32_e32 v74, 0x3fb8aa3b, v74
	v_fma_f32 v86, s19, v122, -v71
	s_delay_alu instid0(VALU_DEP_4) | instskip(NEXT) | instid1(VALU_DEP_3)
	v_exp_f32_e32 v75, v75
	v_exp_f32_e32 v76, v76
	;; [unrolled: 1-line block ×4, first 2 shown]
	v_mul_f32_e32 v86, 0x3fb8aa3b, v86
	s_delay_alu instid0(VALU_DEP_1)
	v_exp_f32_e32 v88, v86
	v_cndmask_b32_e64 v84, 0, v75, s9
	v_fma_f32 v75, s19, v123, -v71
	v_add_f32_e32 v72, v72, v85
	v_cndmask_b32_e64 v87, 0, v76, s10
	v_fma_f32 v76, s19, v124, -v71
	s_delay_alu instid0(TRANS32_DEP_3) | instskip(NEXT) | instid1(VALU_DEP_4)
	v_cndmask_b32_e64 v86, 0, v77, s11
	v_dual_mul_f32 v75, 0x3fb8aa3b, v75 :: v_dual_add_f32 v72, v72, v84
	v_fma_f32 v77, s19, v125, -v71
	s_delay_alu instid0(VALU_DEP_4) | instskip(SKIP_1) | instid1(VALU_DEP_4)
	v_mul_f32_e32 v76, 0x3fb8aa3b, v76
	v_cndmask_b32_e64 v89, 0, v74, s12
	v_exp_f32_e32 v75, v75
	v_add_f32_e32 v72, v72, v87
	v_mul_f32_e32 v74, 0x3fb8aa3b, v77
	v_exp_f32_e32 v76, v76
	v_cndmask_b32_e64 v88, 0, v88, s13
	v_fma_f32 v77, s19, v126, -v71
	v_add_f32_e32 v72, v72, v86
	v_exp_f32_e32 v74, v74
	s_delay_alu instid0(TRANS32_DEP_3) | instskip(NEXT) | instid1(VALU_DEP_2)
	v_cndmask_b32_e64 v91, 0, v75, s15
	v_add_f32_e32 v72, v72, v89
	v_mul_f32_e32 v75, 0x3fb8aa3b, v77
	s_delay_alu instid0(TRANS32_DEP_2) | instskip(NEXT) | instid1(VALU_DEP_3)
	v_cndmask_b32_e64 v90, 0, v76, s16
	v_add_f32_e32 v72, v72, v88
	s_delay_alu instid0(VALU_DEP_3) | instskip(NEXT) | instid1(TRANS32_DEP_2)
	v_exp_f32_e32 v75, v75
	v_cndmask_b32_e64 v93, 0, v74, s17
	s_delay_alu instid0(VALU_DEP_2) | instskip(NEXT) | instid1(VALU_DEP_1)
	v_add_f32_e32 v72, v72, v91
	v_add_f32_e32 v72, v72, v90
	s_waitcnt_depctr 0xfff
	v_cndmask_b32_e64 v92, 0, v75, s18
	v_add_f32_e32 v72, v72, v93
	s_delay_alu instid0(VALU_DEP_1)
	v_add_f32_e32 v72, v72, v92
	ds_bpermute_b32 v73, v73, v72
	s_and_saveexec_b32 s4, s3
	s_cbranch_execz .LBB840_12
; %bb.11:
	v_mul_u32_u24_e32 v70, 0x44, v69
	s_waitcnt lgkmcnt(0)
	v_add_f32_e32 v72, v72, v73
	s_delay_alu instid0(VALU_DEP_2) | instskip(NEXT) | instid1(VALU_DEP_1)
	v_lshl_add_u32 v70, v68, 2, v70
	v_add_nc_u32_e32 v70, 0x4000, v70
	ds_store_2addr_b32 v70, v71, v72 offset1:136
.LBB840_12:
	s_or_b32 exec_lo, exec_lo, s4
	v_lshlrev_b32_e32 v70, 2, v68
	s_load_b32 s36, s[0:1], 0x94
	s_waitcnt lgkmcnt(0)
	s_barrier
	buffer_gl0_inv
	v_add_nc_u32_e32 v98, 0x4000, v70
	v_cmp_eq_u32_e32 vcc_lo, 1, v69
	v_cmp_eq_u32_e64 s4, 2, v69
	v_cmp_eq_u32_e64 s5, 3, v69
	;; [unrolled: 1-line block ×3, first 2 shown]
	ds_load_2addr_b32 v[70:71], v98 offset1:17
	ds_load_2addr_b32 v[72:73], v98 offset0:34 offset1:51
	ds_load_2addr_b32 v[74:75], v98 offset0:68 offset1:85
	;; [unrolled: 1-line block ×3, first 2 shown]
	v_cmp_eq_u32_e64 s7, 5, v69
	v_cmp_eq_u32_e64 s8, 7, v69
	s_waitcnt lgkmcnt(3)
	v_max3_f32 v76, v70, 0xff7fffff, v71
	s_waitcnt lgkmcnt(2)
	s_delay_alu instid0(VALU_DEP_1) | instskip(SKIP_1) | instid1(VALU_DEP_1)
	v_max3_f32 v76, v76, v72, v73
	s_waitcnt lgkmcnt(1)
	v_max3_f32 v76, v76, v74, v75
	s_waitcnt lgkmcnt(0)
	s_delay_alu instid0(VALU_DEP_1) | instskip(NEXT) | instid1(VALU_DEP_1)
	v_max3_f32 v76, v76, v94, v95
	v_sub_f32_e32 v77, v71, v76
	ds_load_2addr_b32 v[96:97], v98 offset0:136 offset1:153
	v_sub_f32_e32 v74, v74, v76
	v_sub_f32_e32 v70, v70, v76
	;; [unrolled: 1-line block ×3, first 2 shown]
	v_dual_sub_f32 v72, v72, v76 :: v_dual_mul_f32 v77, 0x3fb8aa3b, v77
	s_delay_alu instid0(VALU_DEP_4) | instskip(NEXT) | instid1(VALU_DEP_4)
	v_mul_f32_e32 v103, 0x3fb8aa3b, v74
	v_mul_f32_e32 v99, 0x3fb8aa3b, v70
	ds_load_2addr_b32 v[70:71], v98 offset0:170 offset1:187
	v_dual_mul_f32 v101, 0x3fb8aa3b, v72 :: v_dual_mul_f32 v94, 0x3fb8aa3b, v94
	v_exp_f32_e32 v102, v77
	v_exp_f32_e32 v99, v99
	s_delay_alu instid0(VALU_DEP_1) | instskip(NEXT) | instid1(VALU_DEP_1)
	v_exp_f32_e32 v101, v101
	v_exp_f32_e32 v94, v94
	s_waitcnt lgkmcnt(1)
	s_delay_alu instid0(TRANS32_DEP_3)
	v_fma_f32 v77, v99, v96, 0
	v_sub_f32_e32 v100, v73, v76
	ds_load_2addr_b32 v[72:73], v98 offset0:204 offset1:221
	v_fmac_f32_e32 v77, v102, v97
	v_exp_f32_e32 v97, v103
	s_waitcnt lgkmcnt(1)
	s_delay_alu instid0(VALU_DEP_1)
	v_dual_fmac_f32 v77, v101, v70 :: v_dual_sub_f32 v96, v75, v76
	ds_load_2addr_b32 v[74:75], v98 offset0:238 offset1:255
	v_sub_f32_e32 v70, v95, v76
	s_waitcnt lgkmcnt(0)
	s_barrier
	v_mul_f32_e32 v96, 0x3fb8aa3b, v96
	buffer_gl0_inv
	v_exp_f32_e32 v95, v96
	v_mul_f32_e32 v100, 0x3fb8aa3b, v100
	s_delay_alu instid0(VALU_DEP_1) | instskip(SKIP_3) | instid1(VALU_DEP_2)
	v_exp_f32_e32 v100, v100
	s_waitcnt_depctr 0xfff
	v_dual_fmac_f32 v77, v100, v71 :: v_dual_mul_f32 v70, 0x3fb8aa3b, v70
	v_cndmask_b32_e32 v71, v99, v102, vcc_lo
	v_fmac_f32_e32 v77, v97, v72
	s_delay_alu instid0(VALU_DEP_3) | instskip(NEXT) | instid1(VALU_DEP_1)
	v_exp_f32_e32 v96, v70
	v_fmac_f32_e32 v77, v95, v73
	s_delay_alu instid0(VALU_DEP_1) | instskip(SKIP_2) | instid1(VALU_DEP_1)
	v_fmac_f32_e32 v77, v94, v74
	s_waitcnt_depctr 0xfff
	v_fmac_f32_e32 v77, v96, v75
	v_add_f32_e32 v74, 0x358637bd, v77
	s_delay_alu instid0(VALU_DEP_1) | instskip(SKIP_1) | instid1(VALU_DEP_2)
	v_div_scale_f32 v98, null, v74, v74, 1.0
	v_div_scale_f32 v99, vcc_lo, 1.0, v74, 1.0
	v_rcp_f32_e32 v103, v98
	s_waitcnt_depctr 0xfff
	v_fma_f32 v70, -v98, v103, 1.0
	s_delay_alu instid0(VALU_DEP_1) | instskip(SKIP_2) | instid1(VALU_DEP_2)
	v_fmac_f32_e32 v103, v70, v103
	v_cndmask_b32_e64 v70, v71, v101, s4
	v_cmp_eq_u32_e64 s4, 6, v69
	v_cndmask_b32_e64 v71, v70, v100, s5
	s_delay_alu instid0(VALU_DEP_4) | instskip(NEXT) | instid1(VALU_DEP_2)
	v_dual_mul_f32 v101, v99, v103 :: v_dual_lshlrev_b32 v70, 2, v66
	v_cndmask_b32_e64 v71, v71, v97, s6
	s_delay_alu instid0(VALU_DEP_2) | instskip(NEXT) | instid1(VALU_DEP_3)
	v_or_b32_e32 v72, 1, v70
	v_fma_f32 v100, -v98, v101, v99
	v_cmp_eq_u32_e64 s5, 1, v70
	v_cmp_eq_u32_e64 s6, 2, v70
	v_cndmask_b32_e64 v95, v71, v95, s7
	v_or_b32_e32 v71, 3, v70
	v_fmac_f32_e32 v101, v100, v103
	v_cmp_eq_u32_e64 s10, 1, v72
	v_cmp_eq_u32_e64 s13, 2, v72
	v_cndmask_b32_e64 v94, v95, v94, s4
	v_cmp_eq_u32_e64 s12, 1, v71
	v_fma_f32 v97, -v98, v101, v99
	v_cmp_eq_u32_e64 s17, 2, v71
	v_cmp_eq_u32_e64 s15, 3, v72
	v_cndmask_b32_e64 v94, v94, v96, s8
	v_cmp_eq_u32_e64 s19, 3, v71
	v_div_fmas_f32 v95, v97, v103, v101
	v_cmp_eq_u32_e32 vcc_lo, 3, v70
	v_cmp_eq_u32_e64 s4, 4, v70
	v_cmp_eq_u32_e64 s20, 4, v72
	;; [unrolled: 1-line block ×3, first 2 shown]
	v_div_fixup_f32 v95, v95, v74, 1.0
	v_lshlrev_b32_e32 v73, 6, v68
	v_cmp_eq_u32_e64 s7, 5, v70
	v_cmp_eq_u32_e64 s21, 5, v72
	;; [unrolled: 1-line block ×3, first 2 shown]
	v_mul_f32_e32 v102, v94, v95
	v_lshl_or_b32 v75, v69, 11, v73
	v_or_b32_e32 v69, 2, v70
	v_cmp_eq_u32_e64 s26, 6, v72
	v_cmp_eq_u32_e64 s28, 6, v71
	v_fma_mixlo_f16 v94, v102, v79, 0
	v_fma_mixlo_f16 v95, v102, v81, 0
	;; [unrolled: 1-line block ×8, first 2 shown]
	v_lshl_or_b32 v74, v66, 4, v75
	v_fma_mixhi_f16 v94, v102, v78, 0
	v_fma_mixhi_f16 v95, v102, v80, 0
	;; [unrolled: 1-line block ×8, first 2 shown]
	ds_store_b128 v74, v[94:97]
	ds_store_b128 v74, v[98:101] offset:1024
	s_waitcnt lgkmcnt(0)
	s_barrier
	buffer_gl0_inv
	ds_load_b128 v[78:81], v75
	ds_load_b128 v[82:85], v75 offset:16
	ds_load_b128 v[86:89], v75 offset:1024
	;; [unrolled: 1-line block ×3, first 2 shown]
	v_cmp_eq_u32_e64 s11, 1, v69
	v_cmp_eq_u32_e64 s16, 2, v69
	;; [unrolled: 1-line block ×11, first 2 shown]
	s_waitcnt lgkmcnt(3)
	v_lshrrev_b32_e32 v94, 16, v78
	s_waitcnt lgkmcnt(2)
	v_lshrrev_b32_e32 v98, 16, v82
	;; [unrolled: 2-line block ×4, first 2 shown]
	v_lshrrev_b32_e32 v95, 16, v79
	v_cndmask_b32_e64 v110, v78, v94, s5
	v_cndmask_b32_e64 v111, v82, v98, s5
	;; [unrolled: 1-line block ×8, first 2 shown]
	v_lshrrev_b32_e32 v99, 16, v83
	v_cndmask_b32_e64 v94, v86, v102, s5
	v_cndmask_b32_e64 v98, v90, v106, s5
	;; [unrolled: 1-line block ×15, first 2 shown]
	v_lshrrev_b32_e32 v103, 16, v87
	v_lshrrev_b32_e32 v107, 16, v91
	v_cndmask_b32_e64 v113, v115, v83, s16
	v_cndmask_b32_e64 v82, v94, v87, s6
	v_cndmask_b32_e64 v83, v98, v91, s6
	v_cndmask_b32_e64 v94, v116, v87, s13
	v_cndmask_b32_e64 v98, v118, v87, s16
	v_cndmask_b32_e64 v86, v86, v87, s17
	v_cndmask_b32_e64 v87, v90, v91, s17
	v_cndmask_b32_e32 v90, v102, v95, vcc_lo
	v_cndmask_b32_e32 v102, v106, v99, vcc_lo
	v_cndmask_b32_e64 v106, v110, v95, s15
	v_cndmask_b32_e64 v110, v111, v99, s15
	;; [unrolled: 1-line block ×4, first 2 shown]
	v_lshrrev_b32_e32 v96, 16, v80
	v_lshrrev_b32_e32 v100, 16, v84
	v_cndmask_b32_e64 v111, v112, v95, s18
	v_cndmask_b32_e64 v112, v113, v99, s18
	v_cndmask_b32_e32 v82, v82, v103, vcc_lo
	v_cndmask_b32_e32 v83, v83, v107, vcc_lo
	v_cndmask_b32_e64 v94, v94, v103, s15
	v_cndmask_b32_e64 v90, v90, v80, s4
	;; [unrolled: 1-line block ×7, first 2 shown]
	v_lshrrev_b32_e32 v104, 16, v88
	v_cndmask_b32_e64 v106, v111, v80, s22
	v_cndmask_b32_e64 v110, v112, v84, s22
	;; [unrolled: 1-line block ×11, first 2 shown]
	v_lshrrev_b32_e32 v97, 16, v81
	v_lshrrev_b32_e32 v101, 16, v85
	v_cndmask_b32_e64 v99, v106, v96, s24
	v_cndmask_b32_e64 v102, v110, v100, s24
	;; [unrolled: 1-line block ×7, first 2 shown]
	v_lshrrev_b32_e32 v105, 16, v89
	v_cndmask_b32_e64 v80, v80, v104, s7
	v_cndmask_b32_e64 v84, v84, v81, s8
	;; [unrolled: 1-line block ×16, first 2 shown]
	v_perm_b32 v81, v79, v78, 0x5040100
	v_perm_b32 v79, v95, v85, 0x5040100
	v_cndmask_b32_e64 v78, v119, v91, s16
	v_cndmask_b32_e64 v85, v117, v91, s13
	;; [unrolled: 1-line block ×3, first 2 shown]
	v_perm_b32 v80, v94, v90, 0x5040100
	v_cndmask_b32_e64 v90, v98, v103, s18
	v_cndmask_b32_e64 v86, v86, v103, s19
	;; [unrolled: 1-line block ×5, first 2 shown]
	v_lshrrev_b32_e32 v108, 16, v92
	v_cndmask_b32_e64 v90, v90, v88, s22
	v_cndmask_b32_e64 v86, v86, v88, s23
	;; [unrolled: 1-line block ×11, first 2 shown]
	v_lshrrev_b32_e32 v109, 16, v93
	v_cndmask_b32_e64 v82, v82, v93, s8
	v_cndmask_b32_e64 v88, v88, v89, s27
	;; [unrolled: 1-line block ×12, first 2 shown]
	v_perm_b32 v78, v84, v83, 0x5040100
	v_perm_b32 v85, v87, v86, 0x5040100
	;; [unrolled: 1-line block ×5, first 2 shown]
	s_mul_i32 s9, s35, 11
	s_mov_b32 s4, exec_lo
	ds_store_b128 v74, v[78:81]
	ds_store_b128 v74, v[82:85] offset:1024
	v_cmpx_gt_u32_e32 11, v0
	s_cbranch_execz .LBB840_14
; %bb.13:
	s_mul_i32 s5, s9, s34
	s_load_b128 s[16:19], s[0:1], 0x58
	v_add3_u32 v68, s5, s33, v68
	s_delay_alu instid0(VALU_DEP_1) | instskip(NEXT) | instid1(VALU_DEP_1)
	v_mad_u64_u32 v[78:79], null, v68, s36, s[14:15]
	v_ashrrev_i32_e32 v79, 31, v78
	s_delay_alu instid0(VALU_DEP_1) | instskip(SKIP_1) | instid1(VALU_DEP_1)
	v_lshlrev_b64 v[78:79], 2, v[78:79]
	s_waitcnt lgkmcnt(0)
	v_add_co_u32 v80, vcc_lo, s18, v78
	s_delay_alu instid0(VALU_DEP_2)
	v_add_co_ci_u32_e32 v81, vcc_lo, s19, v79, vcc_lo
	v_add_co_u32 v78, vcc_lo, s16, v78
	v_add_co_ci_u32_e32 v79, vcc_lo, s17, v79, vcc_lo
	global_store_b32 v[80:81], v76, off
	global_store_b32 v[78:79], v77, off
.LBB840_14:
	s_or_b32 exec_lo, exec_lo, s4
	s_waitcnt lgkmcnt(0)
	s_waitcnt_vscnt null, 0x0
	s_barrier
	buffer_gl0_inv
	ds_load_b128 v[84:87], v73
	ds_load_b128 v[88:91], v73 offset:16
	ds_load_b128 v[96:99], v73 offset:2064
	;; [unrolled: 1-line block ×5, first 2 shown]
	v_cmp_eq_u32_e32 vcc_lo, 1, v70
	v_mov_b32_e32 v76, 0
	ds_load_b128 v[112:115], v73 offset:6160
	ds_load_b128 v[108:111], v73 offset:6144
	;; [unrolled: 1-line block ×4, first 2 shown]
	v_cmp_eq_u32_e64 s5, 1, v69
	v_cmp_eq_u32_e64 s4, 1, v72
	;; [unrolled: 1-line block ×3, first 2 shown]
	v_mov_b32_e32 v77, v76
	v_mov_b32_e32 v78, v76
	;; [unrolled: 1-line block ×7, first 2 shown]
	v_cmp_eq_u32_e64 s7, 3, v72
	v_cmp_eq_u32_e64 s8, 7, v72
	s_waitcnt lgkmcnt(8)
	s_delay_alu instid0(VALU_DEP_3)
	v_wmma_f32_16x16x16_f16 v[76:83], v[49:56], v[84:91], v[76:83]
	ds_load_b128 v[53:56], v73 offset:10256
	ds_load_b128 v[49:52], v73 offset:10240
	s_waitcnt lgkmcnt(8)
	v_wmma_f32_16x16x16_f16 v[76:83], v[41:48], v[92:99], v[76:83]
	ds_load_b128 v[45:48], v73 offset:12304
	ds_load_b128 v[41:44], v73 offset:12288
	s_waitcnt lgkmcnt(8)
	;; [unrolled: 4-line block ×3, first 2 shown]
	s_barrier
	buffer_gl0_inv
	v_wmma_f32_16x16x16_f16 v[76:83], v[1:8], v[108:115], v[76:83]
	s_delay_alu instid0(VALU_DEP_1) | instskip(NEXT) | instid1(VALU_DEP_1)
	v_wmma_f32_16x16x16_f16 v[76:83], v[9:16], v[116:123], v[76:83]
	v_wmma_f32_16x16x16_f16 v[76:83], v[17:24], v[49:56], v[76:83]
	s_delay_alu instid0(VALU_DEP_1) | instskip(NEXT) | instid1(VALU_DEP_1)
	v_wmma_f32_16x16x16_f16 v[76:83], v[25:32], v[41:48], v[76:83]
	v_wmma_f32_16x16x16_f16 v[76:83], v[57:64], v[33:40], v[76:83]
	s_delay_alu instid0(VALU_DEP_1) | instskip(NEXT) | instid1(VALU_DEP_2)
	v_cvt_f16_f32_e32 v1, v76
	v_cvt_f16_f32_e32 v2, v77
	s_delay_alu instid0(VALU_DEP_3) | instskip(NEXT) | instid1(VALU_DEP_4)
	v_cvt_f16_f32_e32 v3, v78
	v_cvt_f16_f32_e32 v4, v79
	;; [unrolled: 1-line block ×6, first 2 shown]
	v_pack_b32_f16 v1, v1, v2
	v_pack_b32_f16 v2, v3, v4
	;; [unrolled: 1-line block ×3, first 2 shown]
	s_delay_alu instid0(VALU_DEP_4)
	v_pack_b32_f16 v4, v7, v8
	ds_store_b128 v74, v[1:4]
	s_waitcnt lgkmcnt(0)
	s_barrier
	buffer_gl0_inv
	ds_load_b128 v[1:4], v75
	ds_load_b128 v[5:8], v75 offset:16
	s_waitcnt lgkmcnt(1)
	v_lshrrev_b32_e32 v9, 16, v1
	s_waitcnt lgkmcnt(0)
	v_lshrrev_b32_e32 v13, 16, v5
	v_lshrrev_b32_e32 v10, 16, v2
	;; [unrolled: 1-line block ×4, first 2 shown]
	v_cndmask_b32_e32 v17, v1, v9, vcc_lo
	v_cndmask_b32_e32 v18, v5, v13, vcc_lo
	v_cndmask_b32_e64 v21, v1, v9, s5
	v_cmp_eq_u32_e32 vcc_lo, 1, v71
	v_cndmask_b32_e64 v22, v5, v13, s5
	v_cmp_eq_u32_e64 s5, 2, v70
	v_cndmask_b32_e64 v19, v1, v9, s4
	v_cndmask_b32_e64 v20, v5, v13, s4
	v_cndmask_b32_e32 v1, v1, v9, vcc_lo
	v_cmp_eq_u32_e64 s4, 2, v71
	v_cndmask_b32_e32 v5, v5, v13, vcc_lo
	v_cndmask_b32_e64 v9, v17, v2, s5
	v_cmp_eq_u32_e32 vcc_lo, 3, v70
	v_cndmask_b32_e64 v13, v18, v6, s5
	v_cmp_eq_u32_e64 s5, 2, v69
	v_cndmask_b32_e64 v17, v19, v2, s6
	v_cndmask_b32_e64 v18, v20, v6, s6
	v_cmp_eq_u32_e64 s6, 3, v69
	v_cndmask_b32_e64 v1, v1, v2, s4
	v_cndmask_b32_e64 v19, v21, v2, s5
	;; [unrolled: 1-line block ×4, first 2 shown]
	v_cndmask_b32_e32 v5, v9, v10, vcc_lo
	v_cndmask_b32_e32 v6, v13, v14, vcc_lo
	v_cmp_eq_u32_e32 vcc_lo, 3, v71
	v_cndmask_b32_e64 v9, v17, v10, s7
	v_cndmask_b32_e64 v13, v18, v14, s7
	;; [unrolled: 1-line block ×3, first 2 shown]
	v_cmp_eq_u32_e64 s5, 4, v70
	v_cndmask_b32_e32 v1, v1, v10, vcc_lo
	v_cndmask_b32_e32 v2, v2, v14, vcc_lo
	v_cmp_eq_u32_e32 vcc_lo, 4, v72
	v_lshrrev_b32_e32 v15, 16, v7
	v_lshrrev_b32_e32 v16, 16, v8
	v_cndmask_b32_e64 v17, v19, v10, s6
	v_cmp_eq_u32_e64 s4, 4, v71
	v_cndmask_b32_e64 v5, v5, v3, s5
	v_cndmask_b32_e64 v6, v6, v7, s5
	v_cndmask_b32_e32 v9, v9, v3, vcc_lo
	v_cmp_eq_u32_e64 s5, 5, v72
	v_cndmask_b32_e32 v10, v13, v7, vcc_lo
	v_cmp_eq_u32_e32 vcc_lo, 4, v69
	v_cmp_eq_u32_e64 s6, 5, v70
	v_cndmask_b32_e64 v2, v2, v7, s4
	v_cndmask_b32_e64 v9, v9, v11, s5
	;; [unrolled: 1-line block ×3, first 2 shown]
	v_cndmask_b32_e32 v13, v17, v3, vcc_lo
	v_cmp_eq_u32_e64 s5, 5, v69
	v_cndmask_b32_e32 v14, v18, v7, vcc_lo
	v_cndmask_b32_e64 v1, v1, v3, s4
	v_cmp_eq_u32_e32 vcc_lo, 5, v71
	v_lshrrev_b32_e32 v12, 16, v4
	v_cndmask_b32_e64 v13, v13, v11, s5
	v_cndmask_b32_e64 v3, v14, v15, s5
	v_cmp_eq_u32_e64 s5, 6, v71
	v_cndmask_b32_e32 v1, v1, v11, vcc_lo
	v_cndmask_b32_e64 v5, v5, v11, s6
	v_cmp_eq_u32_e64 s7, 6, v70
	v_cndmask_b32_e64 v6, v6, v15, s6
	v_cmp_eq_u32_e64 s6, 6, v72
	v_cmp_eq_u32_e64 s4, 6, v69
	v_cndmask_b32_e64 v1, v1, v4, s5
	v_cndmask_b32_e32 v2, v2, v15, vcc_lo
	v_cmp_eq_u32_e32 vcc_lo, 7, v71
	v_cndmask_b32_e64 v5, v5, v4, s7
	v_cndmask_b32_e64 v9, v9, v4, s6
	;; [unrolled: 1-line block ×3, first 2 shown]
	v_cmp_eq_u32_e64 s7, 7, v70
	v_cndmask_b32_e32 v1, v1, v12, vcc_lo
	v_cndmask_b32_e64 v7, v13, v4, s4
	v_cndmask_b32_e64 v3, v3, v8, s4
	;; [unrolled: 1-line block ×3, first 2 shown]
	v_cmp_eq_u32_e64 s4, 7, v69
	v_cndmask_b32_e64 v4, v10, v8, s6
	v_cndmask_b32_e64 v5, v5, v12, s7
	;; [unrolled: 1-line block ×3, first 2 shown]
	v_cndmask_b32_e32 v2, v2, v16, vcc_lo
	v_cndmask_b32_e64 v7, v7, v12, s4
	v_cndmask_b32_e64 v3, v3, v16, s4
	;; [unrolled: 1-line block ×4, first 2 shown]
	v_cmp_gt_u32_e32 vcc_lo, 32, v0
	v_perm_b32 v4, v2, v1, 0x5040100
	v_perm_b32 v3, v3, v7, 0x5040100
	;; [unrolled: 1-line block ×4, first 2 shown]
	s_and_b32 s2, vcc_lo, s2
	ds_store_b128 v74, v[1:4]
	s_waitcnt lgkmcnt(0)
	s_barrier
	buffer_gl0_inv
	s_and_saveexec_b32 s4, s2
	s_cbranch_execz .LBB840_2
; %bb.15:
	s_load_b64 s[4:5], s[0:1], 0x68
	v_lshlrev_b32_e32 v0, 10, v0
	v_lshlrev_b32_e32 v1, 4, v67
	s_lshl_b32 s0, s36, 6
	v_add_nc_u32_e32 v7, s33, v66
	s_mul_i32 s1, s0, s34
	s_delay_alu instid0(SALU_CYCLE_1) | instskip(SKIP_1) | instid1(VALU_DEP_2)
	s_mul_i32 s6, s1, s9
	v_and_or_b32 v0, 0x3800, v0, v1
	v_mul_lo_u32 v1, v7, s0
	v_add_nc_u32_e32 v2, 2, v7
	s_ashr_i32 s7, s6, 31
	v_add_nc_u32_e32 v4, 4, v7
	s_lshl_b64 s[6:7], s[6:7], 1
	v_add_nc_u32_e32 v8, 6, v7
	v_mul_lo_u32 v3, v2, s0
	v_lshl_or_b32 v19, v66, 6, v0
	v_ashrrev_i32_e32 v2, 31, v1
	v_mul_lo_u32 v11, v4, s0
	v_mul_lo_u32 v25, v8, s0
	s_waitcnt lgkmcnt(0)
	s_add_u32 s1, s4, s6
	s_addc_u32 s2, s5, s7
	s_lshl_b32 s4, s14, 6
	v_lshlrev_b64 v[5:6], 1, v[1:2]
	s_ashr_i32 s5, s4, 31
	v_ashrrev_i32_e32 v4, 31, v3
	s_lshl_b64 s[4:5], s[4:5], 1
	v_ashrrev_i32_e32 v12, 31, v11
	s_add_u32 s1, s1, s4
	s_addc_u32 s2, s2, s5
	v_add_co_u32 v1, s1, s1, v65
	s_delay_alu instid0(VALU_DEP_1) | instskip(SKIP_1) | instid1(VALU_DEP_3)
	v_add_co_ci_u32_e64 v2, null, s2, 0, s1
	v_lshlrev_b64 v[3:4], 1, v[3:4]
	v_add_co_u32 v23, vcc_lo, v1, v5
	v_add_nc_u32_e32 v5, 8, v7
	s_delay_alu instid0(VALU_DEP_4) | instskip(NEXT) | instid1(VALU_DEP_4)
	v_add_co_ci_u32_e32 v24, vcc_lo, v2, v6, vcc_lo
	v_add_co_u32 v27, vcc_lo, v1, v3
	s_delay_alu instid0(VALU_DEP_3)
	v_mul_lo_u32 v29, v5, s0
	v_add_co_ci_u32_e32 v28, vcc_lo, v2, v4, vcc_lo
	ds_load_b128 v[3:6], v19
	ds_load_b128 v[7:10], v19 offset:128
	v_lshlrev_b64 v[31:32], 1, v[11:12]
	ds_load_b128 v[11:14], v19 offset:256
	ds_load_b128 v[15:18], v19 offset:384
	ds_load_b128 v[19:22], v19 offset:512
	v_ashrrev_i32_e32 v26, 31, v25
	v_ashrrev_i32_e32 v30, 31, v29
	v_add_co_u32 v31, vcc_lo, v1, v31
	s_delay_alu instid0(VALU_DEP_3) | instskip(NEXT) | instid1(VALU_DEP_3)
	v_lshlrev_b64 v[25:26], 1, v[25:26]
	v_lshlrev_b64 v[29:30], 1, v[29:30]
	v_add_co_ci_u32_e32 v32, vcc_lo, v2, v32, vcc_lo
	s_delay_alu instid0(VALU_DEP_3) | instskip(NEXT) | instid1(VALU_DEP_4)
	v_add_co_u32 v25, vcc_lo, v1, v25
	v_add_co_ci_u32_e32 v26, vcc_lo, v2, v26, vcc_lo
	s_delay_alu instid0(VALU_DEP_4)
	v_add_co_u32 v29, vcc_lo, v1, v29
	v_add_co_ci_u32_e32 v30, vcc_lo, v2, v30, vcc_lo
	s_waitcnt lgkmcnt(4)
	global_store_b128 v[23:24], v[3:6], off
	s_waitcnt lgkmcnt(3)
	global_store_b128 v[27:28], v[7:10], off
	;; [unrolled: 2-line block ×5, first 2 shown]
	s_and_b32 exec_lo, exec_lo, s3
	s_cbranch_execz .LBB840_2
; %bb.16:
	ds_load_b128 v[3:6], v0 offset:640
	s_add_i32 s1, s33, 10
	s_delay_alu instid0(SALU_CYCLE_1) | instskip(NEXT) | instid1(SALU_CYCLE_1)
	s_mul_i32 s0, s1, s0
	s_ashr_i32 s1, s0, 31
	s_delay_alu instid0(SALU_CYCLE_1) | instskip(NEXT) | instid1(SALU_CYCLE_1)
	s_lshl_b64 s[0:1], s[0:1], 1
	v_add_co_u32 v0, vcc_lo, v1, s0
	v_add_co_ci_u32_e32 v1, vcc_lo, s1, v2, vcc_lo
	s_waitcnt lgkmcnt(0)
	global_store_b128 v[0:1], v[3:6], off
	s_nop 0
	s_sendmsg sendmsg(MSG_DEALLOC_VGPRS)
	s_endpgm
	.section	.rodata,"a",@progbits
	.p2align	6, 0x0
	.amdhsa_kernel _Z39paged_attention_ll4mi_QKV_mfma16_kernelIDF16_hLN4vllm18Fp8KVCacheDataTypeE1EDF16_Li16ELi64ELi256ELb0ELi11EL8MFMAType1EEvPKT_PKT0_S8_ifPKiSA_SA_iPKfiiiPfSD_PS3_PT2_iSC_SC_
		.amdhsa_group_segment_fixed_size 17472
		.amdhsa_private_segment_fixed_size 0
		.amdhsa_kernarg_size 400
		.amdhsa_user_sgpr_count 13
		.amdhsa_user_sgpr_dispatch_ptr 0
		.amdhsa_user_sgpr_queue_ptr 0
		.amdhsa_user_sgpr_kernarg_segment_ptr 1
		.amdhsa_user_sgpr_dispatch_id 0
		.amdhsa_user_sgpr_private_segment_size 0
		.amdhsa_wavefront_size32 1
		.amdhsa_uses_dynamic_stack 0
		.amdhsa_enable_private_segment 0
		.amdhsa_system_sgpr_workgroup_id_x 1
		.amdhsa_system_sgpr_workgroup_id_y 1
		.amdhsa_system_sgpr_workgroup_id_z 1
		.amdhsa_system_sgpr_workgroup_info 0
		.amdhsa_system_vgpr_workitem_id 0
		.amdhsa_next_free_vgpr 146
		.amdhsa_next_free_sgpr 37
		.amdhsa_reserve_vcc 1
		.amdhsa_float_round_mode_32 0
		.amdhsa_float_round_mode_16_64 0
		.amdhsa_float_denorm_mode_32 3
		.amdhsa_float_denorm_mode_16_64 3
		.amdhsa_dx10_clamp 1
		.amdhsa_ieee_mode 1
		.amdhsa_fp16_overflow 0
		.amdhsa_workgroup_processor_mode 1
		.amdhsa_memory_ordered 1
		.amdhsa_forward_progress 0
		.amdhsa_shared_vgpr_count 0
		.amdhsa_exception_fp_ieee_invalid_op 0
		.amdhsa_exception_fp_denorm_src 0
		.amdhsa_exception_fp_ieee_div_zero 0
		.amdhsa_exception_fp_ieee_overflow 0
		.amdhsa_exception_fp_ieee_underflow 0
		.amdhsa_exception_fp_ieee_inexact 0
		.amdhsa_exception_int_div_zero 0
	.end_amdhsa_kernel
	.section	.text._Z39paged_attention_ll4mi_QKV_mfma16_kernelIDF16_hLN4vllm18Fp8KVCacheDataTypeE1EDF16_Li16ELi64ELi256ELb0ELi11EL8MFMAType1EEvPKT_PKT0_S8_ifPKiSA_SA_iPKfiiiPfSD_PS3_PT2_iSC_SC_,"axG",@progbits,_Z39paged_attention_ll4mi_QKV_mfma16_kernelIDF16_hLN4vllm18Fp8KVCacheDataTypeE1EDF16_Li16ELi64ELi256ELb0ELi11EL8MFMAType1EEvPKT_PKT0_S8_ifPKiSA_SA_iPKfiiiPfSD_PS3_PT2_iSC_SC_,comdat
.Lfunc_end840:
	.size	_Z39paged_attention_ll4mi_QKV_mfma16_kernelIDF16_hLN4vllm18Fp8KVCacheDataTypeE1EDF16_Li16ELi64ELi256ELb0ELi11EL8MFMAType1EEvPKT_PKT0_S8_ifPKiSA_SA_iPKfiiiPfSD_PS3_PT2_iSC_SC_, .Lfunc_end840-_Z39paged_attention_ll4mi_QKV_mfma16_kernelIDF16_hLN4vllm18Fp8KVCacheDataTypeE1EDF16_Li16ELi64ELi256ELb0ELi11EL8MFMAType1EEvPKT_PKT0_S8_ifPKiSA_SA_iPKfiiiPfSD_PS3_PT2_iSC_SC_
                                        ; -- End function
	.section	.AMDGPU.csdata,"",@progbits
; Kernel info:
; codeLenInByte = 6640
; NumSgprs: 39
; NumVgprs: 146
; ScratchSize: 0
; MemoryBound: 0
; FloatMode: 240
; IeeeMode: 1
; LDSByteSize: 17472 bytes/workgroup (compile time only)
; SGPRBlocks: 4
; VGPRBlocks: 18
; NumSGPRsForWavesPerEU: 39
; NumVGPRsForWavesPerEU: 146
; Occupancy: 9
; WaveLimiterHint : 1
; COMPUTE_PGM_RSRC2:SCRATCH_EN: 0
; COMPUTE_PGM_RSRC2:USER_SGPR: 13
; COMPUTE_PGM_RSRC2:TRAP_HANDLER: 0
; COMPUTE_PGM_RSRC2:TGID_X_EN: 1
; COMPUTE_PGM_RSRC2:TGID_Y_EN: 1
; COMPUTE_PGM_RSRC2:TGID_Z_EN: 1
; COMPUTE_PGM_RSRC2:TIDIG_COMP_CNT: 0
	.section	.text._Z39paged_attention_ll4mi_QKV_mfma16_kernelIDF16_hLN4vllm18Fp8KVCacheDataTypeE1EDF16_Li16ELi64ELi256ELb0ELi12EL8MFMAType1EEvPKT_PKT0_S8_ifPKiSA_SA_iPKfiiiPfSD_PS3_PT2_iSC_SC_,"axG",@progbits,_Z39paged_attention_ll4mi_QKV_mfma16_kernelIDF16_hLN4vllm18Fp8KVCacheDataTypeE1EDF16_Li16ELi64ELi256ELb0ELi12EL8MFMAType1EEvPKT_PKT0_S8_ifPKiSA_SA_iPKfiiiPfSD_PS3_PT2_iSC_SC_,comdat
	.protected	_Z39paged_attention_ll4mi_QKV_mfma16_kernelIDF16_hLN4vllm18Fp8KVCacheDataTypeE1EDF16_Li16ELi64ELi256ELb0ELi12EL8MFMAType1EEvPKT_PKT0_S8_ifPKiSA_SA_iPKfiiiPfSD_PS3_PT2_iSC_SC_ ; -- Begin function _Z39paged_attention_ll4mi_QKV_mfma16_kernelIDF16_hLN4vllm18Fp8KVCacheDataTypeE1EDF16_Li16ELi64ELi256ELb0ELi12EL8MFMAType1EEvPKT_PKT0_S8_ifPKiSA_SA_iPKfiiiPfSD_PS3_PT2_iSC_SC_
	.globl	_Z39paged_attention_ll4mi_QKV_mfma16_kernelIDF16_hLN4vllm18Fp8KVCacheDataTypeE1EDF16_Li16ELi64ELi256ELb0ELi12EL8MFMAType1EEvPKT_PKT0_S8_ifPKiSA_SA_iPKfiiiPfSD_PS3_PT2_iSC_SC_
	.p2align	8
	.type	_Z39paged_attention_ll4mi_QKV_mfma16_kernelIDF16_hLN4vllm18Fp8KVCacheDataTypeE1EDF16_Li16ELi64ELi256ELb0ELi12EL8MFMAType1EEvPKT_PKT0_S8_ifPKiSA_SA_iPKfiiiPfSD_PS3_PT2_iSC_SC_,@function
_Z39paged_attention_ll4mi_QKV_mfma16_kernelIDF16_hLN4vllm18Fp8KVCacheDataTypeE1EDF16_Li16ELi64ELi256ELb0ELi12EL8MFMAType1EEvPKT_PKT0_S8_ifPKiSA_SA_iPKfiiiPfSD_PS3_PT2_iSC_SC_: ; @_Z39paged_attention_ll4mi_QKV_mfma16_kernelIDF16_hLN4vllm18Fp8KVCacheDataTypeE1EDF16_Li16ELi64ELi256ELb0ELi12EL8MFMAType1EEvPKT_PKT0_S8_ifPKiSA_SA_iPKfiiiPfSD_PS3_PT2_iSC_SC_
; %bb.0:
	s_load_b64 s[2:3], s[0:1], 0x30
	s_mov_b32 s34, s13
	s_waitcnt lgkmcnt(0)
	s_cmp_lg_u64 s[2:3], 0
	s_cselect_b32 s6, -1, 0
	s_ashr_i32 s35, s13, 31
	s_cmp_eq_u64 s[2:3], 0
	s_cbranch_scc1 .LBB841_3
; %bb.1:
	s_lshl_b64 s[4:5], s[34:35], 2
	s_delay_alu instid0(SALU_CYCLE_1) | instskip(SKIP_4) | instid1(SALU_CYCLE_1)
	s_add_u32 s4, s2, s4
	s_addc_u32 s5, s3, s5
	s_load_b64 s[4:5], s[4:5], 0x0
	s_waitcnt lgkmcnt(0)
	s_sub_i32 s4, s5, s4
	s_cmp_eq_u32 s4, 1
	s_cselect_b32 s4, -1, 0
	s_delay_alu instid0(SALU_CYCLE_1)
	s_and_not1_b32 vcc_lo, exec_lo, s4
	s_cbranch_vccz .LBB841_4
.LBB841_2:
	s_endpgm
.LBB841_3:
.LBB841_4:
	s_load_b64 s[8:9], s[0:1], 0x28
	s_lshl_b64 s[4:5], s[34:35], 2
	s_waitcnt lgkmcnt(0)
	s_add_u32 s8, s8, s4
	s_addc_u32 s9, s9, s5
	s_lshl_b32 s16, s14, 8
	s_load_b32 s18, s[8:9], 0x0
	s_waitcnt lgkmcnt(0)
	s_cmp_ge_i32 s16, s18
	s_cbranch_scc1 .LBB841_2
; %bb.5:
	s_clause 0x1
	s_load_b128 s[8:11], s[0:1], 0x8
	s_load_b64 s[12:13], s[0:1], 0x20
	s_and_not1_b32 vcc_lo, exec_lo, s6
	s_cbranch_vccnz .LBB841_7
; %bb.6:
	s_add_u32 s2, s2, s4
	s_addc_u32 s3, s3, s5
	s_load_b32 s3, s[2:3], 0x0
	s_branch .LBB841_8
.LBB841_7:
	s_mov_b32 s3, s34
.LBB841_8:
	s_load_b128 s[4:7], s[0:1], 0x48
	v_and_b32_e32 v68, 15, v0
	v_cmp_gt_u32_e32 vcc_lo, 0xc0, v0
	v_lshrrev_b32_e32 v69, 5, v0
	v_and_b32_e32 v70, 31, v0
	v_and_b32_e32 v67, 1, v0
	v_lshlrev_b32_e32 v1, 3, v68
	v_cmp_gt_u32_e64 s2, 8, v68
	v_bfe_u32 v66, v0, 4, 1
	s_mul_i32 s31, s15, 12
	s_delay_alu instid0(VALU_DEP_3) | instskip(NEXT) | instid1(VALU_DEP_3)
	v_lshlrev_b32_e32 v65, 1, v1
	s_and_b32 s17, vcc_lo, s2
	s_waitcnt lgkmcnt(0)
	s_and_saveexec_b32 s7, s17
	s_cbranch_execz .LBB841_10
; %bb.9:
	s_load_b64 s[20:21], s[0:1], 0x0
	v_lshl_or_b32 v5, v69, 1, v66
	s_mul_hi_i32 s23, s3, s4
	s_mul_i32 s22, s3, s4
	v_lshlrev_b32_e32 v6, 10, v68
	s_lshl_b64 s[22:23], s[22:23], 1
	v_add_lshl_u32 v1, v5, s31, 6
	v_lshlrev_b32_e32 v5, 6, v5
	v_lshlrev_b32_e32 v7, 10, v67
	v_and_b32_e32 v6, 0x3800, v6
	s_delay_alu instid0(VALU_DEP_4) | instskip(NEXT) | instid1(VALU_DEP_2)
	v_ashrrev_i32_e32 v2, 31, v1
	v_or3_b32 v5, v6, v7, v5
	s_delay_alu instid0(VALU_DEP_2) | instskip(SKIP_3) | instid1(VALU_DEP_1)
	v_lshlrev_b64 v[1:2], 1, v[1:2]
	s_waitcnt lgkmcnt(0)
	s_add_u32 s3, s20, s22
	s_addc_u32 s4, s21, s23
	v_add_co_u32 v1, vcc_lo, s3, v1
	s_delay_alu instid0(VALU_DEP_2) | instskip(NEXT) | instid1(VALU_DEP_2)
	v_add_co_ci_u32_e32 v2, vcc_lo, s4, v2, vcc_lo
	v_add_co_u32 v1, vcc_lo, v1, v65
	s_delay_alu instid0(VALU_DEP_2)
	v_add_co_ci_u32_e32 v2, vcc_lo, 0, v2, vcc_lo
	global_load_b128 v[1:4], v[1:2], off
	s_waitcnt vmcnt(0)
	ds_store_b128 v5, v[1:4]
.LBB841_10:
	s_or_b32 exec_lo, exec_lo, s7
	v_and_b32_e32 v1, 0xef, v0
	s_add_i32 s3, s18, 15
	s_clause 0x1
	s_load_b32 s4, s[0:1], 0x38
	s_load_b32 s33, s[0:1], 0x98
	s_ashr_i32 s7, s3, 31
	v_add_nc_u32_e32 v1, s16, v1
	s_lshr_b32 s7, s7, 28
	s_load_b32 s19, s[0:1], 0x1c
	v_add_nc_u32_e32 v103, -12, v68
	s_add_i32 s3, s3, s7
	v_ashrrev_i32_e32 v2, 31, v1
	v_or_b32_e32 v3, 16, v1
	s_ashr_i32 s3, s3, 4
	v_cmp_gt_i32_e32 vcc_lo, s18, v1
	s_add_i32 s3, s3, -1
	v_lshrrev_b32_e32 v2, 28, v2
	s_waitcnt lgkmcnt(0)
	s_barrier
	buffer_gl0_inv
	s_mul_i32 s15, s15, s6
	v_add_nc_u32_e32 v4, v1, v2
	v_mbcnt_lo_u32_b32 v127, -1, 0
	s_mul_i32 s20, s34, s4
	s_delay_alu instid0(SALU_CYCLE_1) | instskip(NEXT) | instid1(VALU_DEP_2)
	s_ashr_i32 s21, s20, 31
	v_ashrrev_i32_e32 v4, 4, v4
	v_add_nc_u32_e32 v2, v3, v2
	s_lshl_b64 s[20:21], s[20:21], 2
	v_xor_b32_e32 v128, 16, v127
	s_add_u32 s17, s12, s20
	v_cndmask_b32_e32 v1, s3, v4, vcc_lo
	v_ashrrev_i32_e32 v2, 4, v2
	v_cmp_gt_i32_e32 vcc_lo, s18, v3
	s_addc_u32 s13, s13, s21
	s_ashr_i32 s20, s15, 31
	s_add_u32 s4, s8, s15
	s_addc_u32 s12, s9, s20
	v_cndmask_b32_e32 v3, s3, v2, vcc_lo
	v_ashrrev_i32_e32 v2, 31, v1
	s_lshl_b32 s6, s14, 4
	s_delay_alu instid0(SALU_CYCLE_1) | instskip(NEXT) | instid1(VALU_DEP_2)
	s_ashr_i32 s7, s6, 31
	v_ashrrev_i32_e32 v4, 31, v3
	s_delay_alu instid0(VALU_DEP_2) | instskip(SKIP_1) | instid1(SALU_CYCLE_1)
	v_lshlrev_b64 v[1:2], 2, v[1:2]
	s_lshl_b64 s[6:7], s[6:7], 2
	s_add_u32 s6, s17, s6
	s_delay_alu instid0(VALU_DEP_2) | instskip(SKIP_1) | instid1(VALU_DEP_2)
	v_lshlrev_b64 v[3:4], 2, v[3:4]
	s_addc_u32 s7, s13, s7
	v_add_co_u32 v1, vcc_lo, s17, v1
	v_add_co_ci_u32_e32 v2, vcc_lo, s13, v2, vcc_lo
	s_delay_alu instid0(VALU_DEP_3) | instskip(NEXT) | instid1(VALU_DEP_4)
	v_add_co_u32 v3, vcc_lo, s17, v3
	v_add_co_ci_u32_e32 v4, vcc_lo, s13, v4, vcc_lo
	s_clause 0x1
	global_load_b32 v5, v[1:2], off
	global_load_b32 v7, v[3:4], off
	s_or_b32 s8, s16, 32
	v_lshlrev_b32_e32 v1, 4, v0
	s_ashr_i32 s9, s8, 4
	s_cmp_lt_i32 s8, s18
	v_cmp_gt_u32_e32 vcc_lo, 12, v68
	s_cselect_b32 s8, s9, s3
	v_and_b32_e32 v1, 0xf0, v1
	s_ashr_i32 s9, s8, 31
	s_delay_alu instid0(SALU_CYCLE_1)
	s_lshl_b64 s[8:9], s[8:9], 2
	v_cndmask_b32_e32 v103, v103, v68, vcc_lo
	s_add_u32 s8, s17, s8
	s_addc_u32 s9, s13, s9
	s_or_b32 s21, s16, 64
	v_add_co_u32 v1, s4, s4, v1
	s_ashr_i32 s22, s21, 4
	s_cmp_lt_i32 s21, s18
	v_add_co_ci_u32_e64 v2, null, s12, 0, s4
	s_cselect_b32 s22, s22, s3
	v_cmp_gt_i32_e32 vcc_lo, 32, v128
	s_ashr_i32 s23, s22, 31
	v_lshlrev_b32_e32 v115, 6, v103
	s_lshl_b64 s[22:23], s[22:23], 2
	v_cndmask_b32_e32 v136, v127, v128, vcc_lo
	s_add_u32 s22, s17, s22
	s_addc_u32 s23, s13, s23
	s_or_b32 s21, s16, 0x60
	s_delay_alu instid0(SALU_CYCLE_1) | instskip(SKIP_2) | instid1(SALU_CYCLE_1)
	s_ashr_i32 s24, s21, 4
	s_cmp_lt_i32 s21, s18
	s_cselect_b32 s24, s24, s3
	s_ashr_i32 s25, s24, 31
	s_delay_alu instid0(SALU_CYCLE_1) | instskip(NEXT) | instid1(SALU_CYCLE_1)
	s_lshl_b64 s[24:25], s[24:25], 2
	s_add_u32 s24, s17, s24
	s_addc_u32 s25, s13, s25
	s_or_b32 s21, s16, 0x80
	s_delay_alu instid0(SALU_CYCLE_1) | instskip(SKIP_2) | instid1(SALU_CYCLE_1)
	s_ashr_i32 s26, s21, 4
	s_cmp_lt_i32 s21, s18
	s_cselect_b32 s26, s26, s3
	s_ashr_i32 s27, s26, 31
	s_delay_alu instid0(SALU_CYCLE_1) | instskip(NEXT) | instid1(SALU_CYCLE_1)
	s_lshl_b64 s[26:27], s[26:27], 2
	;; [unrolled: 10-line block ×3, first 2 shown]
	s_add_u32 s28, s17, s28
	s_addc_u32 s29, s13, s29
	s_clause 0x5
	s_load_b32 s12, s[6:7], 0x0
	s_load_b32 s4, s[8:9], 0x0
	;; [unrolled: 1-line block ×6, first 2 shown]
	s_or_b32 s21, s16, 0xc0
	s_delay_alu instid0(SALU_CYCLE_1) | instskip(SKIP_2) | instid1(SALU_CYCLE_1)
	s_ashr_i32 s22, s21, 4
	s_cmp_lt_i32 s21, s18
	s_cselect_b32 s22, s22, s3
	s_ashr_i32 s23, s22, 31
	s_delay_alu instid0(SALU_CYCLE_1) | instskip(NEXT) | instid1(SALU_CYCLE_1)
	s_lshl_b64 s[22:23], s[22:23], 2
	s_add_u32 s22, s17, s22
	s_addc_u32 s23, s13, s23
	s_or_b32 s21, s16, 0xe0
	s_delay_alu instid0(SALU_CYCLE_1) | instskip(SKIP_2) | instid1(SALU_CYCLE_1)
	s_ashr_i32 s24, s21, 4
	s_cmp_lt_i32 s21, s18
	s_cselect_b32 s24, s24, s3
	s_ashr_i32 s25, s24, 31
	s_delay_alu instid0(SALU_CYCLE_1)
	s_lshl_b64 s[24:25], s[24:25], 2
	s_waitcnt vmcnt(1)
	v_mad_i64_i32 v[3:4], null, v5, s5, v[1:2]
	s_waitcnt vmcnt(0)
	v_mad_i64_i32 v[5:6], null, v7, s5, v[1:2]
	v_lshlrev_b32_e32 v1, 4, v68
	s_clause 0x7
	global_load_b128 v[71:74], v[3:4], off
	global_load_b128 v[75:78], v[3:4], off offset:256
	global_load_b128 v[79:82], v[5:6], off
	global_load_b128 v[83:86], v[5:6], off offset:256
	global_load_b128 v[87:90], v[3:4], off offset:512
	;; [unrolled: 1-line block ×5, first 2 shown]
	v_lshl_or_b32 v1, v69, 8, v1
	s_load_b32 s3, s[22:23], 0x0
	s_add_u32 s22, s17, s24
	s_addc_u32 s23, s13, s25
	s_add_u32 s10, s10, s15
	s_addc_u32 s11, s11, s20
	v_add_co_u32 v1, s10, s10, v1
	s_delay_alu instid0(VALU_DEP_1) | instskip(SKIP_2) | instid1(VALU_DEP_1)
	v_add_co_ci_u32_e64 v2, null, s11, 0, s10
	s_load_b32 s10, s[22:23], 0x0
	s_waitcnt lgkmcnt(0)
	v_mad_i64_i32 v[3:4], null, s12, s5, v[1:2]
	v_mad_i64_i32 v[9:10], null, s7, s5, v[1:2]
	;; [unrolled: 1-line block ×7, first 2 shown]
	s_clause 0x5
	global_load_b128 v[49:52], v[3:4], off
	global_load_b128 v[53:56], v[3:4], off offset:16
	global_load_b128 v[41:44], v[5:6], off
	global_load_b128 v[45:48], v[5:6], off offset:16
	;; [unrolled: 2-line block ×3, first 2 shown]
	s_mov_b32 s4, 0
	v_mad_i64_i32 v[61:62], null, s10, s5, v[1:2]
	s_clause 0x9
	global_load_b128 v[1:4], v[9:10], off
	global_load_b128 v[5:8], v[9:10], off offset:16
	global_load_b128 v[9:12], v[13:14], off
	global_load_b128 v[13:16], v[13:14], off offset:16
	;; [unrolled: 2-line block ×5, first 2 shown]
	s_mov_b32 s5, s4
	s_mov_b32 s6, s4
	;; [unrolled: 1-line block ×7, first 2 shown]
	v_and_b32_e32 v104, 0xe0, v0
	v_dual_mov_b32 v126, s11 :: v_dual_mov_b32 v125, s10
	v_dual_mov_b32 v124, s9 :: v_dual_mov_b32 v123, s8
	s_delay_alu instid0(VALU_DEP_3)
	v_add_nc_u32_e32 v111, s16, v104
	ds_load_b128 v[103:106], v115
	ds_load_b128 v[107:110], v115 offset:1024
	v_dual_mov_b32 v122, s7 :: v_dual_mov_b32 v121, s6
	v_mov_b32_e32 v120, s5
	v_or_b32_e32 v135, v111, v66
	ds_load_b128 v[111:114], v115 offset:2048
	ds_load_b128 v[115:118], v115 offset:3072
	v_mov_b32_e32 v119, s4
	s_waitcnt vmcnt(0) lgkmcnt(0)
	s_barrier
	v_or_b32_e32 v137, 2, v135
	v_or_b32_e32 v138, 4, v135
	;; [unrolled: 1-line block ×3, first 2 shown]
	v_cmp_gt_i32_e32 vcc_lo, s18, v135
	v_or_b32_e32 v140, 8, v135
	v_cmp_gt_i32_e64 s3, s18, v137
	v_or_b32_e32 v141, 10, v135
	v_cmp_gt_i32_e64 s4, s18, v138
	v_cmp_gt_i32_e64 s5, s18, v139
	v_or_b32_e32 v142, 12, v135
	v_or_b32_e32 v143, 14, v135
	v_cmp_gt_i32_e64 s6, s18, v140
	v_cmp_gt_i32_e64 s7, s18, v141
	v_or_b32_e32 v144, 16, v135
	v_or_b32_e32 v145, 18, v135
	v_cmp_gt_i32_e64 s8, s18, v142
	v_cmp_gt_i32_e64 s9, s18, v143
	buffer_gl0_inv
	v_cmp_gt_i32_e64 s10, s18, v144
	v_cmp_gt_i32_e64 s11, s18, v145
	v_wmma_f32_16x16x16_f16 v[127:134], v[71:78], v[103:110], v[119:126]
	v_wmma_f32_16x16x16_f16 v[119:126], v[79:86], v[103:110], v[119:126]
	v_or_b32_e32 v71, 20, v135
	v_or_b32_e32 v72, 22, v135
	s_delay_alu instid0(VALU_DEP_4)
	v_wmma_f32_16x16x16_f16 v[127:134], v[87:94], v[111:118], v[127:134]
	v_or_b32_e32 v73, 24, v135
	v_wmma_f32_16x16x16_f16 v[119:126], v[95:102], v[111:118], v[119:126]
	v_or_b32_e32 v74, 26, v135
	v_cmp_gt_i32_e64 s12, s18, v71
	v_dual_mul_f32 v83, s19, v128 :: v_dual_mul_f32 v84, s19, v127
	v_dual_mul_f32 v81, s19, v130 :: v_dual_mul_f32 v82, s19, v129
	;; [unrolled: 1-line block ×3, first 2 shown]
	s_delay_alu instid0(VALU_DEP_3) | instskip(NEXT) | instid1(VALU_DEP_4)
	v_cndmask_b32_e32 v84, 0xff7fffff, v84, vcc_lo
	v_cndmask_b32_e64 v83, 0xff7fffff, v83, s3
	v_mul_f32_e32 v80, s19, v131
	v_cndmask_b32_e64 v82, 0xff7fffff, v82, s4
	v_cndmask_b32_e64 v81, 0xff7fffff, v81, s5
	v_dual_mul_f32 v77, s19, v134 :: v_dual_mul_f32 v90, s19, v121
	v_max3_f32 v83, v84, 0xff7fffff, v83
	v_mul_f32_e32 v78, s19, v133
	v_cndmask_b32_e64 v80, 0xff7fffff, v80, s6
	v_cndmask_b32_e64 v79, 0xff7fffff, v79, s7
	v_mul_f32_e32 v91, s19, v120
	v_max3_f32 v81, v83, v82, v81
	v_cndmask_b32_e64 v78, 0xff7fffff, v78, s8
	v_cndmask_b32_e64 v77, 0xff7fffff, v77, s9
	v_mul_f32_e32 v89, s19, v122
	v_cmp_gt_i32_e64 s13, s18, v72
	v_max3_f32 v79, v81, v80, v79
	v_cndmask_b32_e64 v80, 0xff7fffff, v92, s10
	v_cndmask_b32_e64 v81, 0xff7fffff, v91, s11
	v_or_b32_e32 v75, 28, v135
	v_or_b32_e32 v76, 30, v135
	v_max3_f32 v77, v79, v78, v77
	v_dual_mul_f32 v87, s19, v124 :: v_dual_mul_f32 v88, s19, v123
	v_cndmask_b32_e64 v71, 0xff7fffff, v90, s12
	v_cndmask_b32_e64 v72, 0xff7fffff, v89, s13
	s_delay_alu instid0(VALU_DEP_4) | instskip(SKIP_3) | instid1(VALU_DEP_4)
	v_max3_f32 v77, v77, v80, v81
	v_cmp_gt_i32_e64 s15, s18, v73
	v_cmp_gt_i32_e64 s16, s18, v74
	v_dual_mul_f32 v85, s19, v126 :: v_dual_mul_f32 v86, s19, v125
	v_max3_f32 v71, v77, v71, v72
	s_delay_alu instid0(VALU_DEP_4) | instskip(NEXT) | instid1(VALU_DEP_4)
	v_cndmask_b32_e64 v73, 0xff7fffff, v88, s15
	v_cndmask_b32_e64 v74, 0xff7fffff, v87, s16
	v_cmp_gt_i32_e64 s17, s18, v75
	v_cmp_gt_i32_e64 s18, s18, v76
	s_delay_alu instid0(VALU_DEP_3) | instskip(NEXT) | instid1(VALU_DEP_3)
	v_max3_f32 v71, v71, v73, v74
	v_cndmask_b32_e64 v72, 0xff7fffff, v86, s17
	s_delay_alu instid0(VALU_DEP_3) | instskip(SKIP_1) | instid1(VALU_DEP_2)
	v_cndmask_b32_e64 v75, 0xff7fffff, v85, s18
	v_lshlrev_b32_e32 v73, 2, v136
	v_max3_f32 v71, v71, v72, v75
	ds_bpermute_b32 v72, v73, v71
	s_waitcnt lgkmcnt(0)
	v_max_f32_e32 v72, v72, v72
	s_delay_alu instid0(VALU_DEP_1) | instskip(NEXT) | instid1(VALU_DEP_1)
	v_max_f32_e32 v71, v71, v72
	v_fma_f32 v72, s19, v127, -v71
	v_fma_f32 v74, s19, v128, -v71
	;; [unrolled: 1-line block ×5, first 2 shown]
	v_mul_f32_e32 v72, 0x3fb8aa3b, v72
	s_delay_alu instid0(VALU_DEP_4) | instskip(NEXT) | instid1(VALU_DEP_4)
	v_dual_mul_f32 v74, 0x3fb8aa3b, v74 :: v_dual_mul_f32 v75, 0x3fb8aa3b, v75
	v_mul_f32_e32 v76, 0x3fb8aa3b, v76
	s_delay_alu instid0(VALU_DEP_4) | instskip(NEXT) | instid1(VALU_DEP_4)
	v_mul_f32_e32 v82, 0x3fb8aa3b, v80
	v_exp_f32_e32 v72, v72
	s_delay_alu instid0(VALU_DEP_3)
	v_exp_f32_e32 v74, v74
	v_exp_f32_e32 v75, v75
	;; [unrolled: 1-line block ×3, first 2 shown]
	v_fma_f32 v77, s19, v131, -v71
	v_exp_f32_e32 v84, v82
	v_cndmask_b32_e32 v79, 0, v72, vcc_lo
	v_cndmask_b32_e64 v78, 0, v74, s3
	s_delay_alu instid0(TRANS32_DEP_3) | instskip(SKIP_1) | instid1(TRANS32_DEP_2)
	v_cndmask_b32_e64 v81, 0, v75, s4
	v_fma_f32 v72, s19, v132, -v71
	v_cndmask_b32_e64 v80, 0, v76, s5
	v_add_f32_e32 v74, 0, v79
	s_delay_alu instid0(TRANS32_DEP_1) | instskip(SKIP_2) | instid1(VALU_DEP_3)
	v_cndmask_b32_e64 v85, 0, v84, s8
	s_mov_b32 s3, exec_lo
	v_mul_f32_e32 v72, 0x3fb8aa3b, v72
	v_add_f32_e32 v74, v74, v78
	s_delay_alu instid0(VALU_DEP_2) | instskip(NEXT) | instid1(VALU_DEP_1)
	v_exp_f32_e32 v72, v72
	v_add_f32_e32 v74, v74, v81
	s_delay_alu instid0(VALU_DEP_1) | instskip(NEXT) | instid1(VALU_DEP_1)
	v_dual_mul_f32 v77, 0x3fb8aa3b, v77 :: v_dual_add_f32 v74, v74, v80
	v_exp_f32_e32 v77, v77
	s_waitcnt_depctr 0xfff
	v_cndmask_b32_e64 v82, 0, v72, s7
	v_cndmask_b32_e64 v83, 0, v77, s6
	s_delay_alu instid0(VALU_DEP_1) | instskip(SKIP_4) | instid1(VALU_DEP_4)
	v_add_f32_e32 v72, v74, v83
	v_fma_f32 v75, s19, v134, -v71
	v_fma_f32 v76, s19, v119, -v71
	;; [unrolled: 1-line block ×4, first 2 shown]
	v_dual_add_f32 v72, v72, v82 :: v_dual_mul_f32 v75, 0x3fb8aa3b, v75
	s_delay_alu instid0(VALU_DEP_3) | instskip(NEXT) | instid1(VALU_DEP_3)
	v_dual_mul_f32 v76, 0x3fb8aa3b, v76 :: v_dual_mul_f32 v77, 0x3fb8aa3b, v77
	v_mul_f32_e32 v74, 0x3fb8aa3b, v74
	v_fma_f32 v86, s19, v122, -v71
	s_delay_alu instid0(VALU_DEP_4) | instskip(NEXT) | instid1(VALU_DEP_3)
	v_exp_f32_e32 v75, v75
	v_exp_f32_e32 v76, v76
	v_exp_f32_e32 v77, v77
	v_exp_f32_e32 v74, v74
	v_mul_f32_e32 v86, 0x3fb8aa3b, v86
	s_delay_alu instid0(VALU_DEP_1)
	v_exp_f32_e32 v88, v86
	v_cndmask_b32_e64 v84, 0, v75, s9
	v_fma_f32 v75, s19, v123, -v71
	v_add_f32_e32 v72, v72, v85
	v_cndmask_b32_e64 v87, 0, v76, s10
	v_fma_f32 v76, s19, v124, -v71
	s_delay_alu instid0(TRANS32_DEP_3) | instskip(NEXT) | instid1(VALU_DEP_4)
	v_cndmask_b32_e64 v86, 0, v77, s11
	v_dual_mul_f32 v75, 0x3fb8aa3b, v75 :: v_dual_add_f32 v72, v72, v84
	v_fma_f32 v77, s19, v125, -v71
	s_delay_alu instid0(VALU_DEP_4) | instskip(SKIP_1) | instid1(VALU_DEP_4)
	v_mul_f32_e32 v76, 0x3fb8aa3b, v76
	v_cndmask_b32_e64 v89, 0, v74, s12
	v_exp_f32_e32 v75, v75
	v_add_f32_e32 v72, v72, v87
	v_mul_f32_e32 v74, 0x3fb8aa3b, v77
	v_exp_f32_e32 v76, v76
	v_cndmask_b32_e64 v88, 0, v88, s13
	v_fma_f32 v77, s19, v126, -v71
	v_add_f32_e32 v72, v72, v86
	v_exp_f32_e32 v74, v74
	s_delay_alu instid0(TRANS32_DEP_3) | instskip(NEXT) | instid1(VALU_DEP_2)
	v_cndmask_b32_e64 v91, 0, v75, s15
	v_add_f32_e32 v72, v72, v89
	v_mul_f32_e32 v75, 0x3fb8aa3b, v77
	s_delay_alu instid0(TRANS32_DEP_2) | instskip(NEXT) | instid1(VALU_DEP_3)
	v_cndmask_b32_e64 v90, 0, v76, s16
	v_add_f32_e32 v72, v72, v88
	s_delay_alu instid0(VALU_DEP_3) | instskip(NEXT) | instid1(TRANS32_DEP_2)
	v_exp_f32_e32 v75, v75
	v_cndmask_b32_e64 v93, 0, v74, s17
	s_delay_alu instid0(VALU_DEP_2) | instskip(NEXT) | instid1(VALU_DEP_1)
	v_add_f32_e32 v72, v72, v91
	v_add_f32_e32 v72, v72, v90
	s_waitcnt_depctr 0xfff
	v_cndmask_b32_e64 v92, 0, v75, s18
	v_add_f32_e32 v72, v72, v93
	s_delay_alu instid0(VALU_DEP_1)
	v_add_f32_e32 v72, v72, v92
	ds_bpermute_b32 v73, v73, v72
	v_cmpx_gt_u32_e32 16, v70
	s_cbranch_execz .LBB841_12
; %bb.11:
	v_mul_u32_u24_e32 v70, 0x44, v69
	s_waitcnt lgkmcnt(0)
	v_add_f32_e32 v72, v72, v73
	s_delay_alu instid0(VALU_DEP_2) | instskip(NEXT) | instid1(VALU_DEP_1)
	v_lshl_add_u32 v70, v68, 2, v70
	v_add_nc_u32_e32 v70, 0x4000, v70
	ds_store_2addr_b32 v70, v71, v72 offset1:136
.LBB841_12:
	s_or_b32 exec_lo, exec_lo, s3
	v_lshlrev_b32_e32 v70, 2, v68
	s_load_b32 s35, s[0:1], 0x94
	s_waitcnt lgkmcnt(0)
	s_barrier
	buffer_gl0_inv
	v_add_nc_u32_e32 v98, 0x4000, v70
	v_cmp_eq_u32_e32 vcc_lo, 1, v69
	v_cmp_eq_u32_e64 s3, 2, v69
	v_cmp_eq_u32_e64 s4, 3, v69
	;; [unrolled: 1-line block ×3, first 2 shown]
	ds_load_2addr_b32 v[70:71], v98 offset1:17
	ds_load_2addr_b32 v[72:73], v98 offset0:34 offset1:51
	ds_load_2addr_b32 v[74:75], v98 offset0:68 offset1:85
	ds_load_2addr_b32 v[94:95], v98 offset0:102 offset1:119
	v_cmp_eq_u32_e64 s6, 5, v69
	v_cmp_eq_u32_e64 s7, 7, v69
	s_waitcnt lgkmcnt(3)
	v_max3_f32 v76, v70, 0xff7fffff, v71
	s_waitcnt lgkmcnt(2)
	s_delay_alu instid0(VALU_DEP_1) | instskip(SKIP_1) | instid1(VALU_DEP_1)
	v_max3_f32 v76, v76, v72, v73
	s_waitcnt lgkmcnt(1)
	v_max3_f32 v76, v76, v74, v75
	s_waitcnt lgkmcnt(0)
	s_delay_alu instid0(VALU_DEP_1) | instskip(NEXT) | instid1(VALU_DEP_1)
	v_max3_f32 v76, v76, v94, v95
	v_sub_f32_e32 v77, v71, v76
	ds_load_2addr_b32 v[96:97], v98 offset0:136 offset1:153
	v_sub_f32_e32 v74, v74, v76
	v_sub_f32_e32 v70, v70, v76
	;; [unrolled: 1-line block ×3, first 2 shown]
	v_dual_sub_f32 v72, v72, v76 :: v_dual_mul_f32 v77, 0x3fb8aa3b, v77
	s_delay_alu instid0(VALU_DEP_4) | instskip(NEXT) | instid1(VALU_DEP_4)
	v_mul_f32_e32 v103, 0x3fb8aa3b, v74
	v_mul_f32_e32 v99, 0x3fb8aa3b, v70
	ds_load_2addr_b32 v[70:71], v98 offset0:170 offset1:187
	v_dual_mul_f32 v101, 0x3fb8aa3b, v72 :: v_dual_mul_f32 v94, 0x3fb8aa3b, v94
	v_exp_f32_e32 v102, v77
	v_exp_f32_e32 v99, v99
	s_delay_alu instid0(VALU_DEP_1) | instskip(NEXT) | instid1(VALU_DEP_1)
	v_exp_f32_e32 v101, v101
	v_exp_f32_e32 v94, v94
	s_waitcnt lgkmcnt(1)
	s_delay_alu instid0(TRANS32_DEP_3)
	v_fma_f32 v77, v99, v96, 0
	v_sub_f32_e32 v100, v73, v76
	ds_load_2addr_b32 v[72:73], v98 offset0:204 offset1:221
	v_fmac_f32_e32 v77, v102, v97
	v_exp_f32_e32 v97, v103
	s_waitcnt lgkmcnt(1)
	s_delay_alu instid0(VALU_DEP_1)
	v_dual_fmac_f32 v77, v101, v70 :: v_dual_sub_f32 v96, v75, v76
	ds_load_2addr_b32 v[74:75], v98 offset0:238 offset1:255
	v_sub_f32_e32 v70, v95, v76
	s_waitcnt lgkmcnt(0)
	s_barrier
	v_mul_f32_e32 v96, 0x3fb8aa3b, v96
	buffer_gl0_inv
	v_exp_f32_e32 v95, v96
	v_mul_f32_e32 v100, 0x3fb8aa3b, v100
	s_delay_alu instid0(VALU_DEP_1) | instskip(SKIP_3) | instid1(VALU_DEP_2)
	v_exp_f32_e32 v100, v100
	s_waitcnt_depctr 0xfff
	v_dual_fmac_f32 v77, v100, v71 :: v_dual_mul_f32 v70, 0x3fb8aa3b, v70
	v_cndmask_b32_e32 v71, v99, v102, vcc_lo
	v_fmac_f32_e32 v77, v97, v72
	s_delay_alu instid0(VALU_DEP_3) | instskip(NEXT) | instid1(VALU_DEP_1)
	v_exp_f32_e32 v96, v70
	v_fmac_f32_e32 v77, v95, v73
	s_delay_alu instid0(VALU_DEP_1) | instskip(SKIP_2) | instid1(VALU_DEP_1)
	v_fmac_f32_e32 v77, v94, v74
	s_waitcnt_depctr 0xfff
	v_fmac_f32_e32 v77, v96, v75
	v_add_f32_e32 v74, 0x358637bd, v77
	s_delay_alu instid0(VALU_DEP_1) | instskip(SKIP_1) | instid1(VALU_DEP_2)
	v_div_scale_f32 v98, null, v74, v74, 1.0
	v_div_scale_f32 v99, vcc_lo, 1.0, v74, 1.0
	v_rcp_f32_e32 v103, v98
	s_waitcnt_depctr 0xfff
	v_fma_f32 v70, -v98, v103, 1.0
	s_delay_alu instid0(VALU_DEP_1) | instskip(SKIP_2) | instid1(VALU_DEP_2)
	v_fmac_f32_e32 v103, v70, v103
	v_cndmask_b32_e64 v70, v71, v101, s3
	v_cmp_eq_u32_e64 s3, 6, v69
	v_cndmask_b32_e64 v71, v70, v100, s4
	s_delay_alu instid0(VALU_DEP_4) | instskip(NEXT) | instid1(VALU_DEP_2)
	v_dual_mul_f32 v101, v99, v103 :: v_dual_lshlrev_b32 v70, 2, v66
	v_cndmask_b32_e64 v71, v71, v97, s5
	s_delay_alu instid0(VALU_DEP_2) | instskip(NEXT) | instid1(VALU_DEP_3)
	v_or_b32_e32 v72, 1, v70
	v_fma_f32 v100, -v98, v101, v99
	v_cmp_eq_u32_e64 s4, 1, v70
	v_cmp_eq_u32_e64 s5, 2, v70
	v_cndmask_b32_e64 v95, v71, v95, s6
	v_or_b32_e32 v71, 3, v70
	v_fmac_f32_e32 v101, v100, v103
	v_cmp_eq_u32_e64 s9, 1, v72
	v_cmp_eq_u32_e64 s12, 2, v72
	v_cndmask_b32_e64 v94, v95, v94, s3
	v_cmp_eq_u32_e64 s11, 1, v71
	v_fma_f32 v97, -v98, v101, v99
	v_cmp_eq_u32_e64 s16, 2, v71
	v_cmp_eq_u32_e64 s13, 3, v72
	v_cndmask_b32_e64 v94, v94, v96, s7
	v_cmp_eq_u32_e64 s18, 3, v71
	v_div_fmas_f32 v95, v97, v103, v101
	v_cmp_eq_u32_e32 vcc_lo, 3, v70
	v_cmp_eq_u32_e64 s3, 4, v70
	v_cmp_eq_u32_e64 s19, 4, v72
	;; [unrolled: 1-line block ×3, first 2 shown]
	v_div_fixup_f32 v95, v95, v74, 1.0
	v_lshlrev_b32_e32 v73, 6, v68
	v_cmp_eq_u32_e64 s6, 5, v70
	v_cmp_eq_u32_e64 s20, 5, v72
	;; [unrolled: 1-line block ×3, first 2 shown]
	v_mul_f32_e32 v102, v94, v95
	v_lshl_or_b32 v75, v69, 11, v73
	v_or_b32_e32 v69, 2, v70
	v_cmp_eq_u32_e64 s25, 6, v72
	v_cmp_eq_u32_e64 s27, 6, v71
	v_fma_mixlo_f16 v94, v102, v79, 0
	v_fma_mixlo_f16 v95, v102, v81, 0
	v_fma_mixlo_f16 v96, v102, v83, 0
	v_fma_mixlo_f16 v97, v102, v85, 0
	v_fma_mixlo_f16 v98, v102, v87, 0
	v_fma_mixlo_f16 v99, v102, v89, 0
	v_fma_mixlo_f16 v100, v102, v91, 0
	v_fma_mixlo_f16 v101, v102, v93, 0
	v_lshl_or_b32 v74, v66, 4, v75
	v_fma_mixhi_f16 v94, v102, v78, 0
	v_fma_mixhi_f16 v95, v102, v80, 0
	;; [unrolled: 1-line block ×8, first 2 shown]
	ds_store_b128 v74, v[94:97]
	ds_store_b128 v74, v[98:101] offset:1024
	s_waitcnt lgkmcnt(0)
	s_barrier
	buffer_gl0_inv
	ds_load_b128 v[78:81], v75
	ds_load_b128 v[82:85], v75 offset:16
	ds_load_b128 v[86:89], v75 offset:1024
	;; [unrolled: 1-line block ×3, first 2 shown]
	v_cmp_eq_u32_e64 s10, 1, v69
	v_cmp_eq_u32_e64 s15, 2, v69
	;; [unrolled: 1-line block ×11, first 2 shown]
	s_waitcnt lgkmcnt(3)
	v_lshrrev_b32_e32 v94, 16, v78
	s_waitcnt lgkmcnt(2)
	v_lshrrev_b32_e32 v98, 16, v82
	s_waitcnt lgkmcnt(1)
	v_lshrrev_b32_e32 v102, 16, v86
	s_waitcnt lgkmcnt(0)
	v_lshrrev_b32_e32 v106, 16, v90
	v_lshrrev_b32_e32 v95, 16, v79
	v_cndmask_b32_e64 v110, v78, v94, s4
	v_cndmask_b32_e64 v111, v82, v98, s4
	;; [unrolled: 1-line block ×8, first 2 shown]
	v_lshrrev_b32_e32 v99, 16, v83
	v_cndmask_b32_e64 v94, v86, v102, s4
	v_cndmask_b32_e64 v98, v90, v106, s4
	;; [unrolled: 1-line block ×15, first 2 shown]
	v_lshrrev_b32_e32 v103, 16, v87
	v_lshrrev_b32_e32 v107, 16, v91
	v_cndmask_b32_e64 v113, v115, v83, s15
	v_cndmask_b32_e64 v82, v94, v87, s5
	;; [unrolled: 1-line block ×7, first 2 shown]
	v_cndmask_b32_e32 v90, v102, v95, vcc_lo
	v_cndmask_b32_e32 v102, v106, v99, vcc_lo
	v_cndmask_b32_e64 v106, v110, v95, s13
	v_cndmask_b32_e64 v110, v111, v99, s13
	;; [unrolled: 1-line block ×4, first 2 shown]
	v_lshrrev_b32_e32 v96, 16, v80
	v_lshrrev_b32_e32 v100, 16, v84
	v_cndmask_b32_e64 v111, v112, v95, s17
	v_cndmask_b32_e64 v112, v113, v99, s17
	v_cndmask_b32_e32 v82, v82, v103, vcc_lo
	v_cndmask_b32_e32 v83, v83, v107, vcc_lo
	v_cndmask_b32_e64 v94, v94, v103, s13
	v_cndmask_b32_e64 v90, v90, v80, s3
	;; [unrolled: 1-line block ×7, first 2 shown]
	v_lshrrev_b32_e32 v104, 16, v88
	v_cndmask_b32_e64 v106, v111, v80, s21
	v_cndmask_b32_e64 v110, v112, v84, s21
	;; [unrolled: 1-line block ×11, first 2 shown]
	v_lshrrev_b32_e32 v97, 16, v81
	v_lshrrev_b32_e32 v101, 16, v85
	v_cndmask_b32_e64 v99, v106, v96, s23
	v_cndmask_b32_e64 v102, v110, v100, s23
	v_cndmask_b32_e64 v83, v83, v104, s20
	v_cndmask_b32_e64 v94, v94, v81, s25
	v_cndmask_b32_e64 v95, v95, v85, s25
	v_cndmask_b32_e64 v78, v78, v81, s27
	v_cndmask_b32_e64 v79, v79, v85, s27
	v_lshrrev_b32_e32 v105, 16, v89
	v_cndmask_b32_e64 v80, v80, v104, s6
	v_cndmask_b32_e64 v84, v84, v81, s7
	;; [unrolled: 1-line block ×16, first 2 shown]
	v_perm_b32 v81, v79, v78, 0x5040100
	v_perm_b32 v79, v95, v85, 0x5040100
	v_cndmask_b32_e64 v78, v119, v91, s15
	v_cndmask_b32_e64 v85, v117, v91, s12
	;; [unrolled: 1-line block ×3, first 2 shown]
	v_perm_b32 v80, v94, v90, 0x5040100
	v_cndmask_b32_e64 v90, v98, v103, s17
	v_cndmask_b32_e64 v86, v86, v103, s18
	;; [unrolled: 1-line block ×5, first 2 shown]
	v_lshrrev_b32_e32 v108, 16, v92
	v_cndmask_b32_e64 v90, v90, v88, s21
	v_cndmask_b32_e64 v86, v86, v88, s22
	v_cndmask_b32_e64 v87, v87, v92, s22
	v_cndmask_b32_e64 v78, v78, v92, s21
	v_cndmask_b32_e64 v85, v85, v92, s19
	v_cndmask_b32_e64 v82, v82, v108, s6
	v_cndmask_b32_e64 v88, v90, v104, s23
	v_cndmask_b32_e64 v86, v86, v104, s24
	v_cndmask_b32_e64 v87, v87, v108, s24
	v_cndmask_b32_e64 v78, v78, v108, s23
	v_cndmask_b32_e64 v85, v85, v108, s20
	v_lshrrev_b32_e32 v109, 16, v93
	v_cndmask_b32_e64 v82, v82, v93, s7
	v_cndmask_b32_e64 v88, v88, v89, s26
	;; [unrolled: 1-line block ×12, first 2 shown]
	v_perm_b32 v78, v84, v83, 0x5040100
	v_perm_b32 v85, v87, v86, 0x5040100
	;; [unrolled: 1-line block ×5, first 2 shown]
	s_mul_i32 s8, s33, 12
	s_mov_b32 s3, exec_lo
	ds_store_b128 v74, v[78:81]
	ds_store_b128 v74, v[82:85] offset:1024
	v_cmpx_gt_u32_e32 12, v0
	s_cbranch_execz .LBB841_14
; %bb.13:
	s_mul_i32 s4, s8, s34
	s_delay_alu instid0(SALU_CYCLE_1) | instskip(SKIP_1) | instid1(VALU_DEP_1)
	v_add3_u32 v68, s4, s31, v68
	s_load_b128 s[4:7], s[0:1], 0x58
	v_mad_u64_u32 v[78:79], null, v68, s35, s[14:15]
	s_delay_alu instid0(VALU_DEP_1) | instskip(NEXT) | instid1(VALU_DEP_1)
	v_ashrrev_i32_e32 v79, 31, v78
	v_lshlrev_b64 v[78:79], 2, v[78:79]
	s_waitcnt lgkmcnt(0)
	s_delay_alu instid0(VALU_DEP_1) | instskip(NEXT) | instid1(VALU_DEP_2)
	v_add_co_u32 v80, vcc_lo, s6, v78
	v_add_co_ci_u32_e32 v81, vcc_lo, s7, v79, vcc_lo
	v_add_co_u32 v78, vcc_lo, s4, v78
	v_add_co_ci_u32_e32 v79, vcc_lo, s5, v79, vcc_lo
	global_store_b32 v[80:81], v76, off
	global_store_b32 v[78:79], v77, off
.LBB841_14:
	s_or_b32 exec_lo, exec_lo, s3
	s_waitcnt lgkmcnt(0)
	s_waitcnt_vscnt null, 0x0
	s_barrier
	buffer_gl0_inv
	ds_load_b128 v[84:87], v73
	ds_load_b128 v[88:91], v73 offset:16
	ds_load_b128 v[96:99], v73 offset:2064
	;; [unrolled: 1-line block ×5, first 2 shown]
	v_cmp_eq_u32_e32 vcc_lo, 1, v70
	v_mov_b32_e32 v76, 0
	ds_load_b128 v[112:115], v73 offset:6160
	ds_load_b128 v[108:111], v73 offset:6144
	;; [unrolled: 1-line block ×4, first 2 shown]
	v_cmp_eq_u32_e64 s4, 1, v69
	v_cmp_eq_u32_e64 s3, 1, v72
	;; [unrolled: 1-line block ×3, first 2 shown]
	v_mov_b32_e32 v77, v76
	v_mov_b32_e32 v78, v76
	;; [unrolled: 1-line block ×7, first 2 shown]
	v_cmp_eq_u32_e64 s6, 3, v72
	v_cmp_eq_u32_e64 s7, 7, v72
	s_waitcnt lgkmcnt(8)
	s_delay_alu instid0(VALU_DEP_3)
	v_wmma_f32_16x16x16_f16 v[76:83], v[49:56], v[84:91], v[76:83]
	ds_load_b128 v[53:56], v73 offset:10256
	ds_load_b128 v[49:52], v73 offset:10240
	s_waitcnt lgkmcnt(8)
	v_wmma_f32_16x16x16_f16 v[76:83], v[41:48], v[92:99], v[76:83]
	ds_load_b128 v[45:48], v73 offset:12304
	ds_load_b128 v[41:44], v73 offset:12288
	s_waitcnt lgkmcnt(8)
	;; [unrolled: 4-line block ×3, first 2 shown]
	s_barrier
	buffer_gl0_inv
	v_wmma_f32_16x16x16_f16 v[76:83], v[1:8], v[108:115], v[76:83]
	s_delay_alu instid0(VALU_DEP_1) | instskip(NEXT) | instid1(VALU_DEP_1)
	v_wmma_f32_16x16x16_f16 v[76:83], v[9:16], v[116:123], v[76:83]
	v_wmma_f32_16x16x16_f16 v[76:83], v[17:24], v[49:56], v[76:83]
	s_delay_alu instid0(VALU_DEP_1) | instskip(NEXT) | instid1(VALU_DEP_1)
	v_wmma_f32_16x16x16_f16 v[76:83], v[25:32], v[41:48], v[76:83]
	v_wmma_f32_16x16x16_f16 v[76:83], v[57:64], v[33:40], v[76:83]
	s_delay_alu instid0(VALU_DEP_1) | instskip(NEXT) | instid1(VALU_DEP_2)
	v_cvt_f16_f32_e32 v1, v76
	v_cvt_f16_f32_e32 v2, v77
	s_delay_alu instid0(VALU_DEP_3) | instskip(NEXT) | instid1(VALU_DEP_4)
	v_cvt_f16_f32_e32 v3, v78
	v_cvt_f16_f32_e32 v4, v79
	;; [unrolled: 1-line block ×6, first 2 shown]
	v_pack_b32_f16 v1, v1, v2
	v_pack_b32_f16 v2, v3, v4
	;; [unrolled: 1-line block ×3, first 2 shown]
	s_delay_alu instid0(VALU_DEP_4)
	v_pack_b32_f16 v4, v7, v8
	ds_store_b128 v74, v[1:4]
	s_waitcnt lgkmcnt(0)
	s_barrier
	buffer_gl0_inv
	ds_load_b128 v[1:4], v75
	ds_load_b128 v[5:8], v75 offset:16
	s_waitcnt lgkmcnt(1)
	v_lshrrev_b32_e32 v9, 16, v1
	s_waitcnt lgkmcnt(0)
	v_lshrrev_b32_e32 v13, 16, v5
	v_lshrrev_b32_e32 v10, 16, v2
	;; [unrolled: 1-line block ×4, first 2 shown]
	v_cndmask_b32_e32 v17, v1, v9, vcc_lo
	v_cndmask_b32_e32 v18, v5, v13, vcc_lo
	v_cndmask_b32_e64 v21, v1, v9, s4
	v_cmp_eq_u32_e32 vcc_lo, 1, v71
	v_cndmask_b32_e64 v22, v5, v13, s4
	v_cmp_eq_u32_e64 s4, 2, v70
	v_cndmask_b32_e64 v19, v1, v9, s3
	v_cndmask_b32_e64 v20, v5, v13, s3
	v_cndmask_b32_e32 v1, v1, v9, vcc_lo
	v_cmp_eq_u32_e64 s3, 2, v71
	v_cndmask_b32_e32 v5, v5, v13, vcc_lo
	v_cndmask_b32_e64 v9, v17, v2, s4
	v_cmp_eq_u32_e32 vcc_lo, 3, v70
	v_cndmask_b32_e64 v13, v18, v6, s4
	v_cmp_eq_u32_e64 s4, 2, v69
	v_cndmask_b32_e64 v17, v19, v2, s5
	v_cndmask_b32_e64 v18, v20, v6, s5
	v_cmp_eq_u32_e64 s5, 3, v69
	v_cndmask_b32_e64 v1, v1, v2, s3
	v_cndmask_b32_e64 v19, v21, v2, s4
	;; [unrolled: 1-line block ×4, first 2 shown]
	v_cndmask_b32_e32 v5, v9, v10, vcc_lo
	v_cndmask_b32_e32 v6, v13, v14, vcc_lo
	v_cmp_eq_u32_e32 vcc_lo, 3, v71
	v_cndmask_b32_e64 v9, v17, v10, s6
	v_cndmask_b32_e64 v13, v18, v14, s6
	;; [unrolled: 1-line block ×3, first 2 shown]
	v_cmp_eq_u32_e64 s4, 4, v70
	v_cndmask_b32_e32 v1, v1, v10, vcc_lo
	v_cndmask_b32_e32 v2, v2, v14, vcc_lo
	v_cmp_eq_u32_e32 vcc_lo, 4, v72
	v_lshrrev_b32_e32 v15, 16, v7
	v_lshrrev_b32_e32 v16, 16, v8
	v_cndmask_b32_e64 v17, v19, v10, s5
	v_cmp_eq_u32_e64 s3, 4, v71
	v_cndmask_b32_e64 v5, v5, v3, s4
	v_cndmask_b32_e64 v6, v6, v7, s4
	v_cndmask_b32_e32 v9, v9, v3, vcc_lo
	v_cmp_eq_u32_e64 s4, 5, v72
	v_cndmask_b32_e32 v10, v13, v7, vcc_lo
	v_cmp_eq_u32_e32 vcc_lo, 4, v69
	v_cmp_eq_u32_e64 s5, 5, v70
	v_cndmask_b32_e64 v2, v2, v7, s3
	v_cndmask_b32_e64 v9, v9, v11, s4
	;; [unrolled: 1-line block ×3, first 2 shown]
	v_cndmask_b32_e32 v13, v17, v3, vcc_lo
	v_cmp_eq_u32_e64 s4, 5, v69
	v_cndmask_b32_e32 v14, v18, v7, vcc_lo
	v_cndmask_b32_e64 v1, v1, v3, s3
	v_cmp_eq_u32_e32 vcc_lo, 5, v71
	v_lshrrev_b32_e32 v12, 16, v4
	v_cndmask_b32_e64 v13, v13, v11, s4
	v_cndmask_b32_e64 v3, v14, v15, s4
	v_cmp_eq_u32_e64 s4, 6, v71
	v_cndmask_b32_e32 v1, v1, v11, vcc_lo
	v_cndmask_b32_e64 v5, v5, v11, s5
	v_cmp_eq_u32_e64 s6, 6, v70
	v_cndmask_b32_e64 v6, v6, v15, s5
	v_cmp_eq_u32_e64 s5, 6, v72
	v_cmp_eq_u32_e64 s3, 6, v69
	v_cndmask_b32_e64 v1, v1, v4, s4
	v_cndmask_b32_e32 v2, v2, v15, vcc_lo
	v_cmp_eq_u32_e32 vcc_lo, 7, v71
	v_cndmask_b32_e64 v5, v5, v4, s6
	v_cndmask_b32_e64 v9, v9, v4, s5
	;; [unrolled: 1-line block ×3, first 2 shown]
	v_cmp_eq_u32_e64 s6, 7, v70
	v_cndmask_b32_e32 v1, v1, v12, vcc_lo
	v_cndmask_b32_e64 v7, v13, v4, s3
	v_cndmask_b32_e64 v3, v3, v8, s3
	;; [unrolled: 1-line block ×3, first 2 shown]
	v_cmp_eq_u32_e64 s3, 7, v69
	v_cndmask_b32_e64 v4, v10, v8, s5
	v_cndmask_b32_e64 v5, v5, v12, s6
	;; [unrolled: 1-line block ×3, first 2 shown]
	v_cndmask_b32_e32 v2, v2, v16, vcc_lo
	v_cndmask_b32_e64 v7, v7, v12, s3
	v_cndmask_b32_e64 v3, v3, v16, s3
	;; [unrolled: 1-line block ×4, first 2 shown]
	v_cmp_gt_u32_e32 vcc_lo, 32, v0
	v_perm_b32 v4, v2, v1, 0x5040100
	v_perm_b32 v3, v3, v7, 0x5040100
	;; [unrolled: 1-line block ×4, first 2 shown]
	s_and_b32 s2, vcc_lo, s2
	ds_store_b128 v74, v[1:4]
	s_waitcnt lgkmcnt(0)
	s_barrier
	buffer_gl0_inv
	s_and_saveexec_b32 s3, s2
	s_cbranch_execz .LBB841_2
; %bb.15:
	s_load_b64 s[0:1], s[0:1], 0x68
	v_lshlrev_b32_e32 v0, 10, v0
	s_lshl_b32 s4, s35, 6
	v_or_b32_e32 v3, s31, v66
	s_mul_i32 s2, s4, s34
	v_lshlrev_b32_e32 v1, 4, v67
	s_mul_i32 s2, s2, s8
	v_lshlrev_b32_e32 v2, 6, v66
	v_and_b32_e32 v0, 0x3800, v0
	s_ashr_i32 s3, s2, 31
	v_mul_lo_u32 v4, v3, s4
	s_lshl_b64 s[2:3], s[2:3], 1
	s_delay_alu instid0(VALU_DEP_2) | instskip(NEXT) | instid1(VALU_DEP_2)
	v_or3_b32 v16, v0, v1, v2
	v_ashrrev_i32_e32 v5, 31, v4
	ds_load_b128 v[0:3], v16
	s_waitcnt lgkmcnt(0)
	s_add_u32 s2, s0, s2
	s_addc_u32 s3, s1, s3
	s_lshl_b32 s0, s14, 6
	v_lshlrev_b64 v[5:6], 1, v[4:5]
	s_ashr_i32 s1, s0, 31
	s_delay_alu instid0(SALU_CYCLE_1) | instskip(NEXT) | instid1(SALU_CYCLE_1)
	s_lshl_b64 s[0:1], s[0:1], 1
	s_add_u32 s0, s2, s0
	s_addc_u32 s1, s3, s1
	s_lshl_b32 s2, s35, 7
	v_add_co_u32 v30, s0, s0, v65
	v_add_nc_u32_e32 v8, s2, v4
	v_add_co_ci_u32_e64 v31, null, s1, 0, s0
	s_delay_alu instid0(VALU_DEP_3) | instskip(NEXT) | instid1(VALU_DEP_3)
	v_add_co_u32 v12, vcc_lo, v30, v5
	v_add_nc_u32_e32 v10, s2, v8
	v_ashrrev_i32_e32 v9, 31, v8
	s_delay_alu instid0(VALU_DEP_4)
	v_add_co_ci_u32_e32 v13, vcc_lo, v31, v6, vcc_lo
	ds_load_b128 v[4:7], v16 offset:128
	v_ashrrev_i32_e32 v11, 31, v10
	v_lshlrev_b64 v[8:9], 1, v[8:9]
	v_add_nc_u32_e32 v14, s2, v10
	global_store_b128 v[12:13], v[0:3], off
	v_lshlrev_b64 v[0:1], 1, v[10:11]
	v_ashrrev_i32_e32 v15, 31, v14
	v_add_co_u32 v22, vcc_lo, v30, v8
	v_add_nc_u32_e32 v20, s2, v14
	v_add_co_ci_u32_e32 v23, vcc_lo, v31, v9, vcc_lo
	v_add_co_u32 v26, vcc_lo, v30, v0
	v_lshlrev_b64 v[24:25], 1, v[14:15]
	v_add_co_ci_u32_e32 v27, vcc_lo, v31, v1, vcc_lo
	ds_load_b128 v[0:3], v16 offset:256
	ds_load_b128 v[8:11], v16 offset:384
	;; [unrolled: 1-line block ×4, first 2 shown]
	v_add_nc_u32_e32 v28, s2, v20
	v_ashrrev_i32_e32 v21, 31, v20
	v_add_co_u32 v24, vcc_lo, v30, v24
	v_add_co_ci_u32_e32 v25, vcc_lo, v31, v25, vcc_lo
	s_delay_alu instid0(VALU_DEP_4) | instskip(NEXT) | instid1(VALU_DEP_4)
	v_ashrrev_i32_e32 v29, 31, v28
	v_lshlrev_b64 v[20:21], 1, v[20:21]
	s_delay_alu instid0(VALU_DEP_2) | instskip(NEXT) | instid1(VALU_DEP_2)
	v_lshlrev_b64 v[28:29], 1, v[28:29]
	v_add_co_u32 v20, vcc_lo, v30, v20
	s_delay_alu instid0(VALU_DEP_3) | instskip(NEXT) | instid1(VALU_DEP_3)
	v_add_co_ci_u32_e32 v21, vcc_lo, v31, v21, vcc_lo
	v_add_co_u32 v28, vcc_lo, v30, v28
	s_delay_alu instid0(VALU_DEP_4)
	v_add_co_ci_u32_e32 v29, vcc_lo, v31, v29, vcc_lo
	s_waitcnt lgkmcnt(4)
	global_store_b128 v[22:23], v[4:7], off
	s_waitcnt lgkmcnt(3)
	global_store_b128 v[26:27], v[0:3], off
	;; [unrolled: 2-line block ×5, first 2 shown]
	s_nop 0
	s_sendmsg sendmsg(MSG_DEALLOC_VGPRS)
	s_endpgm
	.section	.rodata,"a",@progbits
	.p2align	6, 0x0
	.amdhsa_kernel _Z39paged_attention_ll4mi_QKV_mfma16_kernelIDF16_hLN4vllm18Fp8KVCacheDataTypeE1EDF16_Li16ELi64ELi256ELb0ELi12EL8MFMAType1EEvPKT_PKT0_S8_ifPKiSA_SA_iPKfiiiPfSD_PS3_PT2_iSC_SC_
		.amdhsa_group_segment_fixed_size 17472
		.amdhsa_private_segment_fixed_size 0
		.amdhsa_kernarg_size 400
		.amdhsa_user_sgpr_count 13
		.amdhsa_user_sgpr_dispatch_ptr 0
		.amdhsa_user_sgpr_queue_ptr 0
		.amdhsa_user_sgpr_kernarg_segment_ptr 1
		.amdhsa_user_sgpr_dispatch_id 0
		.amdhsa_user_sgpr_private_segment_size 0
		.amdhsa_wavefront_size32 1
		.amdhsa_uses_dynamic_stack 0
		.amdhsa_enable_private_segment 0
		.amdhsa_system_sgpr_workgroup_id_x 1
		.amdhsa_system_sgpr_workgroup_id_y 1
		.amdhsa_system_sgpr_workgroup_id_z 1
		.amdhsa_system_sgpr_workgroup_info 0
		.amdhsa_system_vgpr_workitem_id 0
		.amdhsa_next_free_vgpr 146
		.amdhsa_next_free_sgpr 36
		.amdhsa_reserve_vcc 1
		.amdhsa_float_round_mode_32 0
		.amdhsa_float_round_mode_16_64 0
		.amdhsa_float_denorm_mode_32 3
		.amdhsa_float_denorm_mode_16_64 3
		.amdhsa_dx10_clamp 1
		.amdhsa_ieee_mode 1
		.amdhsa_fp16_overflow 0
		.amdhsa_workgroup_processor_mode 1
		.amdhsa_memory_ordered 1
		.amdhsa_forward_progress 0
		.amdhsa_shared_vgpr_count 0
		.amdhsa_exception_fp_ieee_invalid_op 0
		.amdhsa_exception_fp_denorm_src 0
		.amdhsa_exception_fp_ieee_div_zero 0
		.amdhsa_exception_fp_ieee_overflow 0
		.amdhsa_exception_fp_ieee_underflow 0
		.amdhsa_exception_fp_ieee_inexact 0
		.amdhsa_exception_int_div_zero 0
	.end_amdhsa_kernel
	.section	.text._Z39paged_attention_ll4mi_QKV_mfma16_kernelIDF16_hLN4vllm18Fp8KVCacheDataTypeE1EDF16_Li16ELi64ELi256ELb0ELi12EL8MFMAType1EEvPKT_PKT0_S8_ifPKiSA_SA_iPKfiiiPfSD_PS3_PT2_iSC_SC_,"axG",@progbits,_Z39paged_attention_ll4mi_QKV_mfma16_kernelIDF16_hLN4vllm18Fp8KVCacheDataTypeE1EDF16_Li16ELi64ELi256ELb0ELi12EL8MFMAType1EEvPKT_PKT0_S8_ifPKiSA_SA_iPKfiiiPfSD_PS3_PT2_iSC_SC_,comdat
.Lfunc_end841:
	.size	_Z39paged_attention_ll4mi_QKV_mfma16_kernelIDF16_hLN4vllm18Fp8KVCacheDataTypeE1EDF16_Li16ELi64ELi256ELb0ELi12EL8MFMAType1EEvPKT_PKT0_S8_ifPKiSA_SA_iPKfiiiPfSD_PS3_PT2_iSC_SC_, .Lfunc_end841-_Z39paged_attention_ll4mi_QKV_mfma16_kernelIDF16_hLN4vllm18Fp8KVCacheDataTypeE1EDF16_Li16ELi64ELi256ELb0ELi12EL8MFMAType1EEvPKT_PKT0_S8_ifPKiSA_SA_iPKfiiiPfSD_PS3_PT2_iSC_SC_
                                        ; -- End function
	.section	.AMDGPU.csdata,"",@progbits
; Kernel info:
; codeLenInByte = 6588
; NumSgprs: 38
; NumVgprs: 146
; ScratchSize: 0
; MemoryBound: 0
; FloatMode: 240
; IeeeMode: 1
; LDSByteSize: 17472 bytes/workgroup (compile time only)
; SGPRBlocks: 4
; VGPRBlocks: 18
; NumSGPRsForWavesPerEU: 38
; NumVGPRsForWavesPerEU: 146
; Occupancy: 9
; WaveLimiterHint : 1
; COMPUTE_PGM_RSRC2:SCRATCH_EN: 0
; COMPUTE_PGM_RSRC2:USER_SGPR: 13
; COMPUTE_PGM_RSRC2:TRAP_HANDLER: 0
; COMPUTE_PGM_RSRC2:TGID_X_EN: 1
; COMPUTE_PGM_RSRC2:TGID_Y_EN: 1
; COMPUTE_PGM_RSRC2:TGID_Z_EN: 1
; COMPUTE_PGM_RSRC2:TIDIG_COMP_CNT: 0
	.section	.text._Z39paged_attention_ll4mi_QKV_mfma16_kernelIDF16_hLN4vllm18Fp8KVCacheDataTypeE1EDF16_Li16ELi64ELi256ELb0ELi13EL8MFMAType1EEvPKT_PKT0_S8_ifPKiSA_SA_iPKfiiiPfSD_PS3_PT2_iSC_SC_,"axG",@progbits,_Z39paged_attention_ll4mi_QKV_mfma16_kernelIDF16_hLN4vllm18Fp8KVCacheDataTypeE1EDF16_Li16ELi64ELi256ELb0ELi13EL8MFMAType1EEvPKT_PKT0_S8_ifPKiSA_SA_iPKfiiiPfSD_PS3_PT2_iSC_SC_,comdat
	.protected	_Z39paged_attention_ll4mi_QKV_mfma16_kernelIDF16_hLN4vllm18Fp8KVCacheDataTypeE1EDF16_Li16ELi64ELi256ELb0ELi13EL8MFMAType1EEvPKT_PKT0_S8_ifPKiSA_SA_iPKfiiiPfSD_PS3_PT2_iSC_SC_ ; -- Begin function _Z39paged_attention_ll4mi_QKV_mfma16_kernelIDF16_hLN4vllm18Fp8KVCacheDataTypeE1EDF16_Li16ELi64ELi256ELb0ELi13EL8MFMAType1EEvPKT_PKT0_S8_ifPKiSA_SA_iPKfiiiPfSD_PS3_PT2_iSC_SC_
	.globl	_Z39paged_attention_ll4mi_QKV_mfma16_kernelIDF16_hLN4vllm18Fp8KVCacheDataTypeE1EDF16_Li16ELi64ELi256ELb0ELi13EL8MFMAType1EEvPKT_PKT0_S8_ifPKiSA_SA_iPKfiiiPfSD_PS3_PT2_iSC_SC_
	.p2align	8
	.type	_Z39paged_attention_ll4mi_QKV_mfma16_kernelIDF16_hLN4vllm18Fp8KVCacheDataTypeE1EDF16_Li16ELi64ELi256ELb0ELi13EL8MFMAType1EEvPKT_PKT0_S8_ifPKiSA_SA_iPKfiiiPfSD_PS3_PT2_iSC_SC_,@function
_Z39paged_attention_ll4mi_QKV_mfma16_kernelIDF16_hLN4vllm18Fp8KVCacheDataTypeE1EDF16_Li16ELi64ELi256ELb0ELi13EL8MFMAType1EEvPKT_PKT0_S8_ifPKiSA_SA_iPKfiiiPfSD_PS3_PT2_iSC_SC_: ; @_Z39paged_attention_ll4mi_QKV_mfma16_kernelIDF16_hLN4vllm18Fp8KVCacheDataTypeE1EDF16_Li16ELi64ELi256ELb0ELi13EL8MFMAType1EEvPKT_PKT0_S8_ifPKiSA_SA_iPKfiiiPfSD_PS3_PT2_iSC_SC_
; %bb.0:
	s_load_b64 s[2:3], s[0:1], 0x30
	s_mov_b32 s34, s13
	s_waitcnt lgkmcnt(0)
	s_cmp_lg_u64 s[2:3], 0
	s_cselect_b32 s6, -1, 0
	s_ashr_i32 s35, s13, 31
	s_cmp_eq_u64 s[2:3], 0
	s_cbranch_scc1 .LBB842_3
; %bb.1:
	s_lshl_b64 s[4:5], s[34:35], 2
	s_delay_alu instid0(SALU_CYCLE_1) | instskip(SKIP_4) | instid1(SALU_CYCLE_1)
	s_add_u32 s4, s2, s4
	s_addc_u32 s5, s3, s5
	s_load_b64 s[4:5], s[4:5], 0x0
	s_waitcnt lgkmcnt(0)
	s_sub_i32 s4, s5, s4
	s_cmp_eq_u32 s4, 1
	s_cselect_b32 s4, -1, 0
	s_delay_alu instid0(SALU_CYCLE_1)
	s_and_not1_b32 vcc_lo, exec_lo, s4
	s_cbranch_vccz .LBB842_4
.LBB842_2:
	s_nop 0
	s_sendmsg sendmsg(MSG_DEALLOC_VGPRS)
	s_endpgm
.LBB842_3:
.LBB842_4:
	s_load_b64 s[8:9], s[0:1], 0x28
	s_lshl_b64 s[4:5], s[34:35], 2
	s_waitcnt lgkmcnt(0)
	s_add_u32 s8, s8, s4
	s_addc_u32 s9, s9, s5
	s_lshl_b32 s16, s14, 8
	s_load_b32 s18, s[8:9], 0x0
	s_waitcnt lgkmcnt(0)
	s_cmp_ge_i32 s16, s18
	s_cbranch_scc1 .LBB842_2
; %bb.5:
	s_clause 0x1
	s_load_b128 s[8:11], s[0:1], 0x8
	s_load_b64 s[12:13], s[0:1], 0x20
	s_and_not1_b32 vcc_lo, exec_lo, s6
	s_cbranch_vccnz .LBB842_7
; %bb.6:
	s_add_u32 s2, s2, s4
	s_addc_u32 s3, s3, s5
	s_load_b32 s3, s[2:3], 0x0
	s_branch .LBB842_8
.LBB842_7:
	s_mov_b32 s3, s34
.LBB842_8:
	s_load_b128 s[4:7], s[0:1], 0x48
	v_lshrrev_b32_e32 v69, 5, v0
	v_bfe_u32 v66, v0, 4, 1
	v_and_b32_e32 v68, 15, v0
	v_and_b32_e32 v70, 31, v0
	;; [unrolled: 1-line block ×3, first 2 shown]
	s_mul_i32 s33, s15, 13
	v_lshl_or_b32 v1, v69, 1, v66
	v_lshlrev_b32_e32 v2, 3, v68
	v_cmp_gt_u32_e64 s2, 8, v68
	s_delay_alu instid0(VALU_DEP_3) | instskip(NEXT) | instid1(VALU_DEP_3)
	v_cmp_gt_u32_e32 vcc_lo, 13, v1
	v_lshlrev_b32_e32 v65, 1, v2
	s_delay_alu instid0(VALU_DEP_3)
	s_and_b32 s17, s2, vcc_lo
	s_waitcnt lgkmcnt(0)
	s_and_saveexec_b32 s7, s17
	s_cbranch_execz .LBB842_10
; %bb.9:
	s_load_b64 s[20:21], s[0:1], 0x0
	v_add_lshl_u32 v2, v1, s33, 6
	s_mul_hi_i32 s23, s3, s4
	s_mul_i32 s22, s3, s4
	v_lshlrev_b32_e32 v6, 10, v68
	s_lshl_b64 s[22:23], s[22:23], 1
	v_ashrrev_i32_e32 v3, 31, v2
	v_lshlrev_b32_e32 v1, 6, v1
	v_lshlrev_b32_e32 v7, 10, v67
	v_and_b32_e32 v6, 0x3800, v6
	s_delay_alu instid0(VALU_DEP_4) | instskip(NEXT) | instid1(VALU_DEP_2)
	v_lshlrev_b64 v[2:3], 1, v[2:3]
	v_or3_b32 v1, v6, v7, v1
	s_waitcnt lgkmcnt(0)
	s_add_u32 s3, s20, s22
	s_addc_u32 s4, s21, s23
	s_delay_alu instid0(VALU_DEP_2) | instskip(SKIP_1) | instid1(VALU_DEP_2)
	v_add_co_u32 v2, vcc_lo, s3, v2
	v_add_co_ci_u32_e32 v3, vcc_lo, s4, v3, vcc_lo
	v_add_co_u32 v2, vcc_lo, v2, v65
	s_delay_alu instid0(VALU_DEP_2)
	v_add_co_ci_u32_e32 v3, vcc_lo, 0, v3, vcc_lo
	global_load_b128 v[2:5], v[2:3], off
	s_waitcnt vmcnt(0)
	ds_store_b128 v1, v[2:5]
.LBB842_10:
	s_or_b32 exec_lo, exec_lo, s7
	v_and_b32_e32 v1, 0xef, v0
	s_add_i32 s3, s18, 15
	s_clause 0x1
	s_load_b32 s4, s[0:1], 0x38
	s_load_b32 s35, s[0:1], 0x98
	s_ashr_i32 s7, s3, 31
	v_add_nc_u32_e32 v1, s16, v1
	s_lshr_b32 s7, s7, 28
	s_load_b32 s19, s[0:1], 0x1c
	v_add_nc_u32_e32 v103, -13, v68
	s_add_i32 s3, s3, s7
	v_ashrrev_i32_e32 v2, 31, v1
	v_or_b32_e32 v3, 16, v1
	s_ashr_i32 s3, s3, 4
	v_cmp_gt_i32_e32 vcc_lo, s18, v1
	s_add_i32 s3, s3, -1
	v_lshrrev_b32_e32 v2, 28, v2
	s_waitcnt lgkmcnt(0)
	s_barrier
	buffer_gl0_inv
	s_mul_i32 s15, s15, s6
	v_add_nc_u32_e32 v4, v1, v2
	v_mbcnt_lo_u32_b32 v127, -1, 0
	s_mul_i32 s20, s34, s4
	s_delay_alu instid0(SALU_CYCLE_1) | instskip(NEXT) | instid1(VALU_DEP_2)
	s_ashr_i32 s21, s20, 31
	v_ashrrev_i32_e32 v4, 4, v4
	v_add_nc_u32_e32 v2, v3, v2
	s_lshl_b64 s[20:21], s[20:21], 2
	v_xor_b32_e32 v128, 16, v127
	s_add_u32 s17, s12, s20
	v_cndmask_b32_e32 v1, s3, v4, vcc_lo
	v_ashrrev_i32_e32 v2, 4, v2
	v_cmp_gt_i32_e32 vcc_lo, s18, v3
	s_addc_u32 s13, s13, s21
	s_ashr_i32 s20, s15, 31
	s_add_u32 s4, s8, s15
	s_addc_u32 s12, s9, s20
	v_cndmask_b32_e32 v3, s3, v2, vcc_lo
	v_ashrrev_i32_e32 v2, 31, v1
	s_lshl_b32 s6, s14, 4
	s_delay_alu instid0(SALU_CYCLE_1) | instskip(NEXT) | instid1(VALU_DEP_2)
	s_ashr_i32 s7, s6, 31
	v_ashrrev_i32_e32 v4, 31, v3
	s_delay_alu instid0(VALU_DEP_2) | instskip(SKIP_1) | instid1(SALU_CYCLE_1)
	v_lshlrev_b64 v[1:2], 2, v[1:2]
	s_lshl_b64 s[6:7], s[6:7], 2
	s_add_u32 s6, s17, s6
	s_delay_alu instid0(VALU_DEP_2) | instskip(SKIP_1) | instid1(VALU_DEP_2)
	v_lshlrev_b64 v[3:4], 2, v[3:4]
	s_addc_u32 s7, s13, s7
	v_add_co_u32 v1, vcc_lo, s17, v1
	v_add_co_ci_u32_e32 v2, vcc_lo, s13, v2, vcc_lo
	s_delay_alu instid0(VALU_DEP_3) | instskip(NEXT) | instid1(VALU_DEP_4)
	v_add_co_u32 v3, vcc_lo, s17, v3
	v_add_co_ci_u32_e32 v4, vcc_lo, s13, v4, vcc_lo
	s_clause 0x1
	global_load_b32 v5, v[1:2], off
	global_load_b32 v7, v[3:4], off
	s_or_b32 s8, s16, 32
	v_lshlrev_b32_e32 v1, 4, v0
	s_ashr_i32 s9, s8, 4
	s_cmp_lt_i32 s8, s18
	v_cmp_gt_u32_e32 vcc_lo, 13, v68
	s_cselect_b32 s8, s9, s3
	v_and_b32_e32 v1, 0xf0, v1
	s_ashr_i32 s9, s8, 31
	s_delay_alu instid0(SALU_CYCLE_1)
	s_lshl_b64 s[8:9], s[8:9], 2
	v_cndmask_b32_e32 v103, v103, v68, vcc_lo
	s_add_u32 s8, s17, s8
	s_addc_u32 s9, s13, s9
	s_or_b32 s21, s16, 64
	v_add_co_u32 v1, s4, s4, v1
	s_ashr_i32 s22, s21, 4
	s_cmp_lt_i32 s21, s18
	v_add_co_ci_u32_e64 v2, null, s12, 0, s4
	s_cselect_b32 s22, s22, s3
	v_cmp_gt_i32_e32 vcc_lo, 32, v128
	s_ashr_i32 s23, s22, 31
	v_lshlrev_b32_e32 v115, 6, v103
	s_lshl_b64 s[22:23], s[22:23], 2
	v_cndmask_b32_e32 v136, v127, v128, vcc_lo
	s_add_u32 s22, s17, s22
	s_addc_u32 s23, s13, s23
	s_or_b32 s21, s16, 0x60
	s_delay_alu instid0(SALU_CYCLE_1) | instskip(SKIP_2) | instid1(SALU_CYCLE_1)
	s_ashr_i32 s24, s21, 4
	s_cmp_lt_i32 s21, s18
	s_cselect_b32 s24, s24, s3
	s_ashr_i32 s25, s24, 31
	s_delay_alu instid0(SALU_CYCLE_1) | instskip(NEXT) | instid1(SALU_CYCLE_1)
	s_lshl_b64 s[24:25], s[24:25], 2
	s_add_u32 s24, s17, s24
	s_addc_u32 s25, s13, s25
	s_or_b32 s21, s16, 0x80
	s_delay_alu instid0(SALU_CYCLE_1) | instskip(SKIP_2) | instid1(SALU_CYCLE_1)
	s_ashr_i32 s26, s21, 4
	s_cmp_lt_i32 s21, s18
	s_cselect_b32 s26, s26, s3
	s_ashr_i32 s27, s26, 31
	s_delay_alu instid0(SALU_CYCLE_1) | instskip(NEXT) | instid1(SALU_CYCLE_1)
	s_lshl_b64 s[26:27], s[26:27], 2
	;; [unrolled: 10-line block ×3, first 2 shown]
	s_add_u32 s28, s17, s28
	s_addc_u32 s29, s13, s29
	s_clause 0x5
	s_load_b32 s12, s[6:7], 0x0
	s_load_b32 s4, s[8:9], 0x0
	;; [unrolled: 1-line block ×6, first 2 shown]
	s_or_b32 s21, s16, 0xc0
	s_delay_alu instid0(SALU_CYCLE_1) | instskip(SKIP_2) | instid1(SALU_CYCLE_1)
	s_ashr_i32 s22, s21, 4
	s_cmp_lt_i32 s21, s18
	s_cselect_b32 s22, s22, s3
	s_ashr_i32 s23, s22, 31
	s_delay_alu instid0(SALU_CYCLE_1) | instskip(NEXT) | instid1(SALU_CYCLE_1)
	s_lshl_b64 s[22:23], s[22:23], 2
	s_add_u32 s22, s17, s22
	s_addc_u32 s23, s13, s23
	s_or_b32 s21, s16, 0xe0
	s_delay_alu instid0(SALU_CYCLE_1) | instskip(SKIP_2) | instid1(SALU_CYCLE_1)
	s_ashr_i32 s24, s21, 4
	s_cmp_lt_i32 s21, s18
	s_cselect_b32 s24, s24, s3
	s_ashr_i32 s25, s24, 31
	s_delay_alu instid0(SALU_CYCLE_1)
	s_lshl_b64 s[24:25], s[24:25], 2
	s_waitcnt vmcnt(1)
	v_mad_i64_i32 v[3:4], null, v5, s5, v[1:2]
	s_waitcnt vmcnt(0)
	v_mad_i64_i32 v[5:6], null, v7, s5, v[1:2]
	v_lshlrev_b32_e32 v1, 4, v68
	s_clause 0x7
	global_load_b128 v[71:74], v[3:4], off
	global_load_b128 v[75:78], v[3:4], off offset:256
	global_load_b128 v[79:82], v[5:6], off
	global_load_b128 v[83:86], v[5:6], off offset:256
	global_load_b128 v[87:90], v[3:4], off offset:512
	;; [unrolled: 1-line block ×5, first 2 shown]
	v_lshl_or_b32 v1, v69, 8, v1
	s_load_b32 s3, s[22:23], 0x0
	s_add_u32 s22, s17, s24
	s_addc_u32 s23, s13, s25
	s_add_u32 s10, s10, s15
	s_addc_u32 s11, s11, s20
	v_add_co_u32 v1, s10, s10, v1
	s_delay_alu instid0(VALU_DEP_1) | instskip(SKIP_2) | instid1(VALU_DEP_1)
	v_add_co_ci_u32_e64 v2, null, s11, 0, s10
	s_load_b32 s10, s[22:23], 0x0
	s_waitcnt lgkmcnt(0)
	v_mad_i64_i32 v[3:4], null, s12, s5, v[1:2]
	v_mad_i64_i32 v[9:10], null, s7, s5, v[1:2]
	;; [unrolled: 1-line block ×7, first 2 shown]
	s_clause 0x5
	global_load_b128 v[49:52], v[3:4], off
	global_load_b128 v[53:56], v[3:4], off offset:16
	global_load_b128 v[41:44], v[5:6], off
	global_load_b128 v[45:48], v[5:6], off offset:16
	;; [unrolled: 2-line block ×3, first 2 shown]
	s_mov_b32 s4, 0
	v_mad_i64_i32 v[61:62], null, s10, s5, v[1:2]
	s_clause 0x9
	global_load_b128 v[1:4], v[9:10], off
	global_load_b128 v[5:8], v[9:10], off offset:16
	global_load_b128 v[9:12], v[13:14], off
	global_load_b128 v[13:16], v[13:14], off offset:16
	;; [unrolled: 2-line block ×5, first 2 shown]
	s_mov_b32 s5, s4
	s_mov_b32 s6, s4
	;; [unrolled: 1-line block ×7, first 2 shown]
	v_and_b32_e32 v104, 0xe0, v0
	v_dual_mov_b32 v126, s11 :: v_dual_mov_b32 v125, s10
	v_dual_mov_b32 v124, s9 :: v_dual_mov_b32 v123, s8
	s_delay_alu instid0(VALU_DEP_3)
	v_add_nc_u32_e32 v111, s16, v104
	ds_load_b128 v[103:106], v115
	ds_load_b128 v[107:110], v115 offset:1024
	v_dual_mov_b32 v122, s7 :: v_dual_mov_b32 v121, s6
	v_mov_b32_e32 v120, s5
	v_or_b32_e32 v135, v111, v66
	ds_load_b128 v[111:114], v115 offset:2048
	ds_load_b128 v[115:118], v115 offset:3072
	v_mov_b32_e32 v119, s4
	s_waitcnt vmcnt(0) lgkmcnt(0)
	s_barrier
	v_or_b32_e32 v137, 2, v135
	v_or_b32_e32 v138, 4, v135
	;; [unrolled: 1-line block ×3, first 2 shown]
	v_cmp_gt_i32_e32 vcc_lo, s18, v135
	v_or_b32_e32 v140, 8, v135
	v_cmp_gt_i32_e64 s3, s18, v137
	v_or_b32_e32 v141, 10, v135
	v_cmp_gt_i32_e64 s4, s18, v138
	v_cmp_gt_i32_e64 s5, s18, v139
	v_or_b32_e32 v142, 12, v135
	v_or_b32_e32 v143, 14, v135
	v_cmp_gt_i32_e64 s6, s18, v140
	v_cmp_gt_i32_e64 s7, s18, v141
	v_or_b32_e32 v144, 16, v135
	v_or_b32_e32 v145, 18, v135
	v_cmp_gt_i32_e64 s8, s18, v142
	v_cmp_gt_i32_e64 s9, s18, v143
	buffer_gl0_inv
	v_cmp_gt_i32_e64 s10, s18, v144
	v_cmp_gt_i32_e64 s11, s18, v145
	v_wmma_f32_16x16x16_f16 v[127:134], v[71:78], v[103:110], v[119:126]
	v_wmma_f32_16x16x16_f16 v[119:126], v[79:86], v[103:110], v[119:126]
	v_or_b32_e32 v71, 20, v135
	v_or_b32_e32 v72, 22, v135
	s_delay_alu instid0(VALU_DEP_4)
	v_wmma_f32_16x16x16_f16 v[127:134], v[87:94], v[111:118], v[127:134]
	v_or_b32_e32 v73, 24, v135
	v_wmma_f32_16x16x16_f16 v[119:126], v[95:102], v[111:118], v[119:126]
	v_or_b32_e32 v74, 26, v135
	v_cmp_gt_i32_e64 s12, s18, v71
	v_dual_mul_f32 v83, s19, v128 :: v_dual_mul_f32 v84, s19, v127
	v_dual_mul_f32 v81, s19, v130 :: v_dual_mul_f32 v82, s19, v129
	;; [unrolled: 1-line block ×3, first 2 shown]
	s_delay_alu instid0(VALU_DEP_3) | instskip(NEXT) | instid1(VALU_DEP_4)
	v_cndmask_b32_e32 v84, 0xff7fffff, v84, vcc_lo
	v_cndmask_b32_e64 v83, 0xff7fffff, v83, s3
	v_mul_f32_e32 v80, s19, v131
	v_cndmask_b32_e64 v82, 0xff7fffff, v82, s4
	v_cndmask_b32_e64 v81, 0xff7fffff, v81, s5
	v_dual_mul_f32 v77, s19, v134 :: v_dual_mul_f32 v90, s19, v121
	v_max3_f32 v83, v84, 0xff7fffff, v83
	v_mul_f32_e32 v78, s19, v133
	v_cndmask_b32_e64 v80, 0xff7fffff, v80, s6
	v_cndmask_b32_e64 v79, 0xff7fffff, v79, s7
	v_mul_f32_e32 v91, s19, v120
	v_max3_f32 v81, v83, v82, v81
	v_cndmask_b32_e64 v78, 0xff7fffff, v78, s8
	v_cndmask_b32_e64 v77, 0xff7fffff, v77, s9
	v_mul_f32_e32 v89, s19, v122
	v_cmp_gt_i32_e64 s13, s18, v72
	v_max3_f32 v79, v81, v80, v79
	v_cndmask_b32_e64 v80, 0xff7fffff, v92, s10
	v_cndmask_b32_e64 v81, 0xff7fffff, v91, s11
	v_or_b32_e32 v75, 28, v135
	v_or_b32_e32 v76, 30, v135
	v_max3_f32 v77, v79, v78, v77
	v_dual_mul_f32 v87, s19, v124 :: v_dual_mul_f32 v88, s19, v123
	v_cndmask_b32_e64 v71, 0xff7fffff, v90, s12
	v_cndmask_b32_e64 v72, 0xff7fffff, v89, s13
	s_delay_alu instid0(VALU_DEP_4) | instskip(SKIP_3) | instid1(VALU_DEP_4)
	v_max3_f32 v77, v77, v80, v81
	v_cmp_gt_i32_e64 s15, s18, v73
	v_cmp_gt_i32_e64 s16, s18, v74
	v_dual_mul_f32 v85, s19, v126 :: v_dual_mul_f32 v86, s19, v125
	v_max3_f32 v71, v77, v71, v72
	s_delay_alu instid0(VALU_DEP_4) | instskip(NEXT) | instid1(VALU_DEP_4)
	v_cndmask_b32_e64 v73, 0xff7fffff, v88, s15
	v_cndmask_b32_e64 v74, 0xff7fffff, v87, s16
	v_cmp_gt_i32_e64 s17, s18, v75
	v_cmp_gt_i32_e64 s18, s18, v76
	s_delay_alu instid0(VALU_DEP_3) | instskip(NEXT) | instid1(VALU_DEP_3)
	v_max3_f32 v71, v71, v73, v74
	v_cndmask_b32_e64 v72, 0xff7fffff, v86, s17
	s_delay_alu instid0(VALU_DEP_3) | instskip(SKIP_1) | instid1(VALU_DEP_2)
	v_cndmask_b32_e64 v75, 0xff7fffff, v85, s18
	v_lshlrev_b32_e32 v73, 2, v136
	v_max3_f32 v71, v71, v72, v75
	ds_bpermute_b32 v72, v73, v71
	s_waitcnt lgkmcnt(0)
	v_max_f32_e32 v72, v72, v72
	s_delay_alu instid0(VALU_DEP_1) | instskip(NEXT) | instid1(VALU_DEP_1)
	v_max_f32_e32 v71, v71, v72
	v_fma_f32 v72, s19, v127, -v71
	v_fma_f32 v74, s19, v128, -v71
	;; [unrolled: 1-line block ×5, first 2 shown]
	v_mul_f32_e32 v72, 0x3fb8aa3b, v72
	s_delay_alu instid0(VALU_DEP_4) | instskip(NEXT) | instid1(VALU_DEP_4)
	v_dual_mul_f32 v74, 0x3fb8aa3b, v74 :: v_dual_mul_f32 v75, 0x3fb8aa3b, v75
	v_mul_f32_e32 v76, 0x3fb8aa3b, v76
	s_delay_alu instid0(VALU_DEP_4) | instskip(NEXT) | instid1(VALU_DEP_4)
	v_mul_f32_e32 v82, 0x3fb8aa3b, v80
	v_exp_f32_e32 v72, v72
	s_delay_alu instid0(VALU_DEP_3)
	v_exp_f32_e32 v74, v74
	v_exp_f32_e32 v75, v75
	;; [unrolled: 1-line block ×3, first 2 shown]
	v_fma_f32 v77, s19, v131, -v71
	v_exp_f32_e32 v84, v82
	v_cndmask_b32_e32 v79, 0, v72, vcc_lo
	v_cndmask_b32_e64 v78, 0, v74, s3
	s_delay_alu instid0(TRANS32_DEP_3) | instskip(SKIP_1) | instid1(TRANS32_DEP_2)
	v_cndmask_b32_e64 v81, 0, v75, s4
	v_fma_f32 v72, s19, v132, -v71
	v_cndmask_b32_e64 v80, 0, v76, s5
	v_add_f32_e32 v74, 0, v79
	s_delay_alu instid0(TRANS32_DEP_1) | instskip(SKIP_2) | instid1(VALU_DEP_4)
	v_cndmask_b32_e64 v85, 0, v84, s8
	v_cmp_gt_u32_e64 s3, 16, v70
	v_mul_f32_e32 v72, 0x3fb8aa3b, v72
	v_add_f32_e32 v74, v74, v78
	s_delay_alu instid0(VALU_DEP_2) | instskip(NEXT) | instid1(VALU_DEP_1)
	v_exp_f32_e32 v72, v72
	v_add_f32_e32 v74, v74, v81
	s_delay_alu instid0(VALU_DEP_1) | instskip(NEXT) | instid1(VALU_DEP_1)
	v_dual_mul_f32 v77, 0x3fb8aa3b, v77 :: v_dual_add_f32 v74, v74, v80
	v_exp_f32_e32 v77, v77
	s_waitcnt_depctr 0xfff
	v_cndmask_b32_e64 v82, 0, v72, s7
	v_cndmask_b32_e64 v83, 0, v77, s6
	s_delay_alu instid0(VALU_DEP_1) | instskip(SKIP_4) | instid1(VALU_DEP_4)
	v_add_f32_e32 v72, v74, v83
	v_fma_f32 v75, s19, v134, -v71
	v_fma_f32 v76, s19, v119, -v71
	;; [unrolled: 1-line block ×4, first 2 shown]
	v_dual_add_f32 v72, v72, v82 :: v_dual_mul_f32 v75, 0x3fb8aa3b, v75
	s_delay_alu instid0(VALU_DEP_3) | instskip(NEXT) | instid1(VALU_DEP_3)
	v_dual_mul_f32 v76, 0x3fb8aa3b, v76 :: v_dual_mul_f32 v77, 0x3fb8aa3b, v77
	v_mul_f32_e32 v74, 0x3fb8aa3b, v74
	v_fma_f32 v86, s19, v122, -v71
	s_delay_alu instid0(VALU_DEP_4) | instskip(NEXT) | instid1(VALU_DEP_3)
	v_exp_f32_e32 v75, v75
	v_exp_f32_e32 v76, v76
	;; [unrolled: 1-line block ×4, first 2 shown]
	v_mul_f32_e32 v86, 0x3fb8aa3b, v86
	s_delay_alu instid0(VALU_DEP_1)
	v_exp_f32_e32 v88, v86
	v_cndmask_b32_e64 v84, 0, v75, s9
	v_fma_f32 v75, s19, v123, -v71
	v_add_f32_e32 v72, v72, v85
	v_cndmask_b32_e64 v87, 0, v76, s10
	v_fma_f32 v76, s19, v124, -v71
	s_delay_alu instid0(TRANS32_DEP_3) | instskip(NEXT) | instid1(VALU_DEP_4)
	v_cndmask_b32_e64 v86, 0, v77, s11
	v_dual_mul_f32 v75, 0x3fb8aa3b, v75 :: v_dual_add_f32 v72, v72, v84
	v_fma_f32 v77, s19, v125, -v71
	s_delay_alu instid0(VALU_DEP_4) | instskip(SKIP_1) | instid1(VALU_DEP_4)
	v_mul_f32_e32 v76, 0x3fb8aa3b, v76
	v_cndmask_b32_e64 v89, 0, v74, s12
	v_exp_f32_e32 v75, v75
	v_add_f32_e32 v72, v72, v87
	v_mul_f32_e32 v74, 0x3fb8aa3b, v77
	v_exp_f32_e32 v76, v76
	v_cndmask_b32_e64 v88, 0, v88, s13
	v_fma_f32 v77, s19, v126, -v71
	v_add_f32_e32 v72, v72, v86
	v_exp_f32_e32 v74, v74
	s_delay_alu instid0(TRANS32_DEP_3) | instskip(NEXT) | instid1(VALU_DEP_2)
	v_cndmask_b32_e64 v91, 0, v75, s15
	v_add_f32_e32 v72, v72, v89
	v_mul_f32_e32 v75, 0x3fb8aa3b, v77
	s_delay_alu instid0(TRANS32_DEP_2) | instskip(NEXT) | instid1(VALU_DEP_3)
	v_cndmask_b32_e64 v90, 0, v76, s16
	v_add_f32_e32 v72, v72, v88
	s_delay_alu instid0(VALU_DEP_3) | instskip(NEXT) | instid1(TRANS32_DEP_2)
	v_exp_f32_e32 v75, v75
	v_cndmask_b32_e64 v93, 0, v74, s17
	s_delay_alu instid0(VALU_DEP_2) | instskip(NEXT) | instid1(VALU_DEP_1)
	v_add_f32_e32 v72, v72, v91
	v_add_f32_e32 v72, v72, v90
	s_waitcnt_depctr 0xfff
	v_cndmask_b32_e64 v92, 0, v75, s18
	v_add_f32_e32 v72, v72, v93
	s_delay_alu instid0(VALU_DEP_1)
	v_add_f32_e32 v72, v72, v92
	ds_bpermute_b32 v73, v73, v72
	s_and_saveexec_b32 s4, s3
	s_cbranch_execz .LBB842_12
; %bb.11:
	v_mul_u32_u24_e32 v70, 0x44, v69
	s_waitcnt lgkmcnt(0)
	v_add_f32_e32 v72, v72, v73
	s_delay_alu instid0(VALU_DEP_2) | instskip(NEXT) | instid1(VALU_DEP_1)
	v_lshl_add_u32 v70, v68, 2, v70
	v_add_nc_u32_e32 v70, 0x4000, v70
	ds_store_2addr_b32 v70, v71, v72 offset1:136
.LBB842_12:
	s_or_b32 exec_lo, exec_lo, s4
	v_lshlrev_b32_e32 v70, 2, v68
	s_load_b32 s36, s[0:1], 0x94
	s_waitcnt lgkmcnt(0)
	s_barrier
	buffer_gl0_inv
	v_add_nc_u32_e32 v98, 0x4000, v70
	v_cmp_eq_u32_e32 vcc_lo, 1, v69
	v_cmp_eq_u32_e64 s4, 2, v69
	v_cmp_eq_u32_e64 s5, 3, v69
	v_cmp_eq_u32_e64 s6, 4, v69
	ds_load_2addr_b32 v[70:71], v98 offset1:17
	ds_load_2addr_b32 v[72:73], v98 offset0:34 offset1:51
	ds_load_2addr_b32 v[74:75], v98 offset0:68 offset1:85
	;; [unrolled: 1-line block ×3, first 2 shown]
	v_cmp_eq_u32_e64 s7, 5, v69
	v_cmp_eq_u32_e64 s8, 7, v69
	s_waitcnt lgkmcnt(3)
	v_max3_f32 v76, v70, 0xff7fffff, v71
	s_waitcnt lgkmcnt(2)
	s_delay_alu instid0(VALU_DEP_1) | instskip(SKIP_1) | instid1(VALU_DEP_1)
	v_max3_f32 v76, v76, v72, v73
	s_waitcnt lgkmcnt(1)
	v_max3_f32 v76, v76, v74, v75
	s_waitcnt lgkmcnt(0)
	s_delay_alu instid0(VALU_DEP_1) | instskip(NEXT) | instid1(VALU_DEP_1)
	v_max3_f32 v76, v76, v94, v95
	v_sub_f32_e32 v77, v71, v76
	ds_load_2addr_b32 v[96:97], v98 offset0:136 offset1:153
	v_sub_f32_e32 v74, v74, v76
	v_sub_f32_e32 v70, v70, v76
	;; [unrolled: 1-line block ×3, first 2 shown]
	v_dual_sub_f32 v72, v72, v76 :: v_dual_mul_f32 v77, 0x3fb8aa3b, v77
	s_delay_alu instid0(VALU_DEP_4) | instskip(NEXT) | instid1(VALU_DEP_4)
	v_mul_f32_e32 v103, 0x3fb8aa3b, v74
	v_mul_f32_e32 v99, 0x3fb8aa3b, v70
	ds_load_2addr_b32 v[70:71], v98 offset0:170 offset1:187
	v_dual_mul_f32 v101, 0x3fb8aa3b, v72 :: v_dual_mul_f32 v94, 0x3fb8aa3b, v94
	v_exp_f32_e32 v102, v77
	v_exp_f32_e32 v99, v99
	s_delay_alu instid0(VALU_DEP_1) | instskip(NEXT) | instid1(VALU_DEP_1)
	v_exp_f32_e32 v101, v101
	v_exp_f32_e32 v94, v94
	s_waitcnt lgkmcnt(1)
	s_delay_alu instid0(TRANS32_DEP_3)
	v_fma_f32 v77, v99, v96, 0
	v_sub_f32_e32 v100, v73, v76
	ds_load_2addr_b32 v[72:73], v98 offset0:204 offset1:221
	v_fmac_f32_e32 v77, v102, v97
	v_exp_f32_e32 v97, v103
	s_waitcnt lgkmcnt(1)
	s_delay_alu instid0(VALU_DEP_1)
	v_dual_fmac_f32 v77, v101, v70 :: v_dual_sub_f32 v96, v75, v76
	ds_load_2addr_b32 v[74:75], v98 offset0:238 offset1:255
	v_sub_f32_e32 v70, v95, v76
	s_waitcnt lgkmcnt(0)
	s_barrier
	v_mul_f32_e32 v96, 0x3fb8aa3b, v96
	buffer_gl0_inv
	v_exp_f32_e32 v95, v96
	v_mul_f32_e32 v100, 0x3fb8aa3b, v100
	s_delay_alu instid0(VALU_DEP_1) | instskip(SKIP_3) | instid1(VALU_DEP_2)
	v_exp_f32_e32 v100, v100
	s_waitcnt_depctr 0xfff
	v_dual_fmac_f32 v77, v100, v71 :: v_dual_mul_f32 v70, 0x3fb8aa3b, v70
	v_cndmask_b32_e32 v71, v99, v102, vcc_lo
	v_fmac_f32_e32 v77, v97, v72
	s_delay_alu instid0(VALU_DEP_3) | instskip(NEXT) | instid1(VALU_DEP_1)
	v_exp_f32_e32 v96, v70
	v_fmac_f32_e32 v77, v95, v73
	s_delay_alu instid0(VALU_DEP_1) | instskip(SKIP_2) | instid1(VALU_DEP_1)
	v_fmac_f32_e32 v77, v94, v74
	s_waitcnt_depctr 0xfff
	v_fmac_f32_e32 v77, v96, v75
	v_add_f32_e32 v74, 0x358637bd, v77
	s_delay_alu instid0(VALU_DEP_1) | instskip(SKIP_1) | instid1(VALU_DEP_2)
	v_div_scale_f32 v98, null, v74, v74, 1.0
	v_div_scale_f32 v99, vcc_lo, 1.0, v74, 1.0
	v_rcp_f32_e32 v103, v98
	s_waitcnt_depctr 0xfff
	v_fma_f32 v70, -v98, v103, 1.0
	s_delay_alu instid0(VALU_DEP_1) | instskip(SKIP_2) | instid1(VALU_DEP_2)
	v_fmac_f32_e32 v103, v70, v103
	v_cndmask_b32_e64 v70, v71, v101, s4
	v_cmp_eq_u32_e64 s4, 6, v69
	v_cndmask_b32_e64 v71, v70, v100, s5
	s_delay_alu instid0(VALU_DEP_4) | instskip(NEXT) | instid1(VALU_DEP_2)
	v_dual_mul_f32 v101, v99, v103 :: v_dual_lshlrev_b32 v70, 2, v66
	v_cndmask_b32_e64 v71, v71, v97, s6
	s_delay_alu instid0(VALU_DEP_2) | instskip(NEXT) | instid1(VALU_DEP_3)
	v_or_b32_e32 v72, 1, v70
	v_fma_f32 v100, -v98, v101, v99
	v_cmp_eq_u32_e64 s5, 1, v70
	v_cmp_eq_u32_e64 s6, 2, v70
	v_cndmask_b32_e64 v95, v71, v95, s7
	v_or_b32_e32 v71, 3, v70
	v_fmac_f32_e32 v101, v100, v103
	v_cmp_eq_u32_e64 s10, 1, v72
	v_cmp_eq_u32_e64 s13, 2, v72
	v_cndmask_b32_e64 v94, v95, v94, s4
	v_cmp_eq_u32_e64 s12, 1, v71
	v_fma_f32 v97, -v98, v101, v99
	v_cmp_eq_u32_e64 s17, 2, v71
	v_cmp_eq_u32_e64 s15, 3, v72
	v_cndmask_b32_e64 v94, v94, v96, s8
	v_cmp_eq_u32_e64 s19, 3, v71
	v_div_fmas_f32 v95, v97, v103, v101
	v_cmp_eq_u32_e32 vcc_lo, 3, v70
	v_cmp_eq_u32_e64 s4, 4, v70
	v_cmp_eq_u32_e64 s20, 4, v72
	;; [unrolled: 1-line block ×3, first 2 shown]
	v_div_fixup_f32 v95, v95, v74, 1.0
	v_lshlrev_b32_e32 v73, 6, v68
	v_cmp_eq_u32_e64 s7, 5, v70
	v_cmp_eq_u32_e64 s21, 5, v72
	;; [unrolled: 1-line block ×3, first 2 shown]
	v_mul_f32_e32 v102, v94, v95
	v_lshl_or_b32 v75, v69, 11, v73
	v_or_b32_e32 v69, 2, v70
	v_cmp_eq_u32_e64 s26, 6, v72
	v_cmp_eq_u32_e64 s28, 6, v71
	v_fma_mixlo_f16 v94, v102, v79, 0
	v_fma_mixlo_f16 v95, v102, v81, 0
	;; [unrolled: 1-line block ×8, first 2 shown]
	v_lshl_or_b32 v74, v66, 4, v75
	v_fma_mixhi_f16 v94, v102, v78, 0
	v_fma_mixhi_f16 v95, v102, v80, 0
	v_fma_mixhi_f16 v96, v102, v82, 0
	v_fma_mixhi_f16 v97, v102, v84, 0
	v_fma_mixhi_f16 v98, v102, v86, 0
	v_fma_mixhi_f16 v99, v102, v88, 0
	v_fma_mixhi_f16 v100, v102, v90, 0
	v_fma_mixhi_f16 v101, v102, v92, 0
	ds_store_b128 v74, v[94:97]
	ds_store_b128 v74, v[98:101] offset:1024
	s_waitcnt lgkmcnt(0)
	s_barrier
	buffer_gl0_inv
	ds_load_b128 v[78:81], v75
	ds_load_b128 v[82:85], v75 offset:16
	ds_load_b128 v[86:89], v75 offset:1024
	;; [unrolled: 1-line block ×3, first 2 shown]
	v_cmp_eq_u32_e64 s11, 1, v69
	v_cmp_eq_u32_e64 s16, 2, v69
	;; [unrolled: 1-line block ×11, first 2 shown]
	s_waitcnt lgkmcnt(3)
	v_lshrrev_b32_e32 v94, 16, v78
	s_waitcnt lgkmcnt(2)
	v_lshrrev_b32_e32 v98, 16, v82
	;; [unrolled: 2-line block ×4, first 2 shown]
	v_lshrrev_b32_e32 v95, 16, v79
	v_cndmask_b32_e64 v110, v78, v94, s5
	v_cndmask_b32_e64 v111, v82, v98, s5
	;; [unrolled: 1-line block ×8, first 2 shown]
	v_lshrrev_b32_e32 v99, 16, v83
	v_cndmask_b32_e64 v94, v86, v102, s5
	v_cndmask_b32_e64 v98, v90, v106, s5
	;; [unrolled: 1-line block ×15, first 2 shown]
	v_lshrrev_b32_e32 v103, 16, v87
	v_lshrrev_b32_e32 v107, 16, v91
	v_cndmask_b32_e64 v113, v115, v83, s16
	v_cndmask_b32_e64 v82, v94, v87, s6
	;; [unrolled: 1-line block ×7, first 2 shown]
	v_cndmask_b32_e32 v90, v102, v95, vcc_lo
	v_cndmask_b32_e32 v102, v106, v99, vcc_lo
	v_cndmask_b32_e64 v106, v110, v95, s15
	v_cndmask_b32_e64 v110, v111, v99, s15
	;; [unrolled: 1-line block ×4, first 2 shown]
	v_lshrrev_b32_e32 v96, 16, v80
	v_lshrrev_b32_e32 v100, 16, v84
	v_cndmask_b32_e64 v111, v112, v95, s18
	v_cndmask_b32_e64 v112, v113, v99, s18
	v_cndmask_b32_e32 v82, v82, v103, vcc_lo
	v_cndmask_b32_e32 v83, v83, v107, vcc_lo
	v_cndmask_b32_e64 v94, v94, v103, s15
	v_cndmask_b32_e64 v90, v90, v80, s4
	;; [unrolled: 1-line block ×7, first 2 shown]
	v_lshrrev_b32_e32 v104, 16, v88
	v_cndmask_b32_e64 v106, v111, v80, s22
	v_cndmask_b32_e64 v110, v112, v84, s22
	;; [unrolled: 1-line block ×11, first 2 shown]
	v_lshrrev_b32_e32 v97, 16, v81
	v_lshrrev_b32_e32 v101, 16, v85
	v_cndmask_b32_e64 v99, v106, v96, s24
	v_cndmask_b32_e64 v102, v110, v100, s24
	;; [unrolled: 1-line block ×7, first 2 shown]
	v_lshrrev_b32_e32 v105, 16, v89
	v_cndmask_b32_e64 v80, v80, v104, s7
	v_cndmask_b32_e64 v84, v84, v81, s8
	;; [unrolled: 1-line block ×16, first 2 shown]
	v_perm_b32 v81, v79, v78, 0x5040100
	v_perm_b32 v79, v95, v85, 0x5040100
	v_cndmask_b32_e64 v78, v119, v91, s16
	v_cndmask_b32_e64 v85, v117, v91, s13
	;; [unrolled: 1-line block ×3, first 2 shown]
	v_perm_b32 v80, v94, v90, 0x5040100
	v_cndmask_b32_e64 v90, v98, v103, s18
	v_cndmask_b32_e64 v86, v86, v103, s19
	;; [unrolled: 1-line block ×5, first 2 shown]
	v_lshrrev_b32_e32 v108, 16, v92
	v_cndmask_b32_e64 v90, v90, v88, s22
	v_cndmask_b32_e64 v86, v86, v88, s23
	;; [unrolled: 1-line block ×11, first 2 shown]
	v_lshrrev_b32_e32 v109, 16, v93
	v_cndmask_b32_e64 v82, v82, v93, s8
	v_cndmask_b32_e64 v88, v88, v89, s27
	;; [unrolled: 1-line block ×12, first 2 shown]
	v_perm_b32 v78, v84, v83, 0x5040100
	v_perm_b32 v85, v87, v86, 0x5040100
	;; [unrolled: 1-line block ×5, first 2 shown]
	s_mul_i32 s9, s35, 13
	s_mov_b32 s4, exec_lo
	ds_store_b128 v74, v[78:81]
	ds_store_b128 v74, v[82:85] offset:1024
	v_cmpx_gt_u32_e32 13, v0
	s_cbranch_execz .LBB842_14
; %bb.13:
	s_mul_i32 s5, s9, s34
	s_load_b128 s[16:19], s[0:1], 0x58
	v_add3_u32 v68, s5, s33, v68
	s_delay_alu instid0(VALU_DEP_1) | instskip(NEXT) | instid1(VALU_DEP_1)
	v_mad_u64_u32 v[78:79], null, v68, s36, s[14:15]
	v_ashrrev_i32_e32 v79, 31, v78
	s_delay_alu instid0(VALU_DEP_1) | instskip(SKIP_1) | instid1(VALU_DEP_1)
	v_lshlrev_b64 v[78:79], 2, v[78:79]
	s_waitcnt lgkmcnt(0)
	v_add_co_u32 v80, vcc_lo, s18, v78
	s_delay_alu instid0(VALU_DEP_2)
	v_add_co_ci_u32_e32 v81, vcc_lo, s19, v79, vcc_lo
	v_add_co_u32 v78, vcc_lo, s16, v78
	v_add_co_ci_u32_e32 v79, vcc_lo, s17, v79, vcc_lo
	global_store_b32 v[80:81], v76, off
	global_store_b32 v[78:79], v77, off
.LBB842_14:
	s_or_b32 exec_lo, exec_lo, s4
	s_waitcnt lgkmcnt(0)
	s_waitcnt_vscnt null, 0x0
	s_barrier
	buffer_gl0_inv
	ds_load_b128 v[84:87], v73
	ds_load_b128 v[88:91], v73 offset:16
	ds_load_b128 v[96:99], v73 offset:2064
	ds_load_b128 v[92:95], v73 offset:2048
	ds_load_b128 v[104:107], v73 offset:4112
	ds_load_b128 v[100:103], v73 offset:4096
	v_cmp_eq_u32_e32 vcc_lo, 1, v70
	v_mov_b32_e32 v76, 0
	ds_load_b128 v[112:115], v73 offset:6160
	ds_load_b128 v[108:111], v73 offset:6144
	;; [unrolled: 1-line block ×4, first 2 shown]
	v_cmp_eq_u32_e64 s5, 1, v69
	v_cmp_eq_u32_e64 s4, 1, v72
	;; [unrolled: 1-line block ×3, first 2 shown]
	v_mov_b32_e32 v77, v76
	v_mov_b32_e32 v78, v76
	;; [unrolled: 1-line block ×7, first 2 shown]
	v_cmp_eq_u32_e64 s7, 3, v72
	v_cmp_eq_u32_e64 s8, 7, v72
	s_waitcnt lgkmcnt(8)
	s_delay_alu instid0(VALU_DEP_3)
	v_wmma_f32_16x16x16_f16 v[76:83], v[49:56], v[84:91], v[76:83]
	ds_load_b128 v[53:56], v73 offset:10256
	ds_load_b128 v[49:52], v73 offset:10240
	s_waitcnt lgkmcnt(8)
	v_wmma_f32_16x16x16_f16 v[76:83], v[41:48], v[92:99], v[76:83]
	ds_load_b128 v[45:48], v73 offset:12304
	ds_load_b128 v[41:44], v73 offset:12288
	s_waitcnt lgkmcnt(8)
	;; [unrolled: 4-line block ×3, first 2 shown]
	s_barrier
	buffer_gl0_inv
	v_wmma_f32_16x16x16_f16 v[76:83], v[1:8], v[108:115], v[76:83]
	s_delay_alu instid0(VALU_DEP_1) | instskip(NEXT) | instid1(VALU_DEP_1)
	v_wmma_f32_16x16x16_f16 v[76:83], v[9:16], v[116:123], v[76:83]
	v_wmma_f32_16x16x16_f16 v[76:83], v[17:24], v[49:56], v[76:83]
	s_delay_alu instid0(VALU_DEP_1) | instskip(NEXT) | instid1(VALU_DEP_1)
	v_wmma_f32_16x16x16_f16 v[76:83], v[25:32], v[41:48], v[76:83]
	v_wmma_f32_16x16x16_f16 v[76:83], v[57:64], v[33:40], v[76:83]
	s_delay_alu instid0(VALU_DEP_1) | instskip(NEXT) | instid1(VALU_DEP_2)
	v_cvt_f16_f32_e32 v1, v76
	v_cvt_f16_f32_e32 v2, v77
	s_delay_alu instid0(VALU_DEP_3) | instskip(NEXT) | instid1(VALU_DEP_4)
	v_cvt_f16_f32_e32 v3, v78
	v_cvt_f16_f32_e32 v4, v79
	;; [unrolled: 1-line block ×6, first 2 shown]
	v_pack_b32_f16 v1, v1, v2
	v_pack_b32_f16 v2, v3, v4
	;; [unrolled: 1-line block ×3, first 2 shown]
	s_delay_alu instid0(VALU_DEP_4)
	v_pack_b32_f16 v4, v7, v8
	ds_store_b128 v74, v[1:4]
	s_waitcnt lgkmcnt(0)
	s_barrier
	buffer_gl0_inv
	ds_load_b128 v[1:4], v75
	ds_load_b128 v[5:8], v75 offset:16
	s_waitcnt lgkmcnt(1)
	v_lshrrev_b32_e32 v9, 16, v1
	s_waitcnt lgkmcnt(0)
	v_lshrrev_b32_e32 v13, 16, v5
	v_lshrrev_b32_e32 v10, 16, v2
	v_lshrrev_b32_e32 v14, 16, v6
	v_lshrrev_b32_e32 v11, 16, v3
	v_cndmask_b32_e32 v17, v1, v9, vcc_lo
	v_cndmask_b32_e32 v18, v5, v13, vcc_lo
	v_cndmask_b32_e64 v21, v1, v9, s5
	v_cmp_eq_u32_e32 vcc_lo, 1, v71
	v_cndmask_b32_e64 v22, v5, v13, s5
	v_cmp_eq_u32_e64 s5, 2, v70
	v_cndmask_b32_e64 v19, v1, v9, s4
	v_cndmask_b32_e64 v20, v5, v13, s4
	v_cndmask_b32_e32 v1, v1, v9, vcc_lo
	v_cmp_eq_u32_e64 s4, 2, v71
	v_cndmask_b32_e32 v5, v5, v13, vcc_lo
	v_cndmask_b32_e64 v9, v17, v2, s5
	v_cmp_eq_u32_e32 vcc_lo, 3, v70
	v_cndmask_b32_e64 v13, v18, v6, s5
	v_cmp_eq_u32_e64 s5, 2, v69
	v_cndmask_b32_e64 v17, v19, v2, s6
	v_cndmask_b32_e64 v18, v20, v6, s6
	v_cmp_eq_u32_e64 s6, 3, v69
	v_cndmask_b32_e64 v1, v1, v2, s4
	v_cndmask_b32_e64 v19, v21, v2, s5
	;; [unrolled: 1-line block ×4, first 2 shown]
	v_cndmask_b32_e32 v5, v9, v10, vcc_lo
	v_cndmask_b32_e32 v6, v13, v14, vcc_lo
	v_cmp_eq_u32_e32 vcc_lo, 3, v71
	v_cndmask_b32_e64 v9, v17, v10, s7
	v_cndmask_b32_e64 v13, v18, v14, s7
	;; [unrolled: 1-line block ×3, first 2 shown]
	v_cmp_eq_u32_e64 s5, 4, v70
	v_cndmask_b32_e32 v1, v1, v10, vcc_lo
	v_cndmask_b32_e32 v2, v2, v14, vcc_lo
	v_cmp_eq_u32_e32 vcc_lo, 4, v72
	v_lshrrev_b32_e32 v15, 16, v7
	v_lshrrev_b32_e32 v16, 16, v8
	v_cndmask_b32_e64 v17, v19, v10, s6
	v_cmp_eq_u32_e64 s4, 4, v71
	v_cndmask_b32_e64 v5, v5, v3, s5
	v_cndmask_b32_e64 v6, v6, v7, s5
	v_cndmask_b32_e32 v9, v9, v3, vcc_lo
	v_cmp_eq_u32_e64 s5, 5, v72
	v_cndmask_b32_e32 v10, v13, v7, vcc_lo
	v_cmp_eq_u32_e32 vcc_lo, 4, v69
	v_cmp_eq_u32_e64 s6, 5, v70
	v_cndmask_b32_e64 v2, v2, v7, s4
	v_cndmask_b32_e64 v9, v9, v11, s5
	;; [unrolled: 1-line block ×3, first 2 shown]
	v_cndmask_b32_e32 v13, v17, v3, vcc_lo
	v_cmp_eq_u32_e64 s5, 5, v69
	v_cndmask_b32_e32 v14, v18, v7, vcc_lo
	v_cndmask_b32_e64 v1, v1, v3, s4
	v_cmp_eq_u32_e32 vcc_lo, 5, v71
	v_lshrrev_b32_e32 v12, 16, v4
	v_cndmask_b32_e64 v13, v13, v11, s5
	v_cndmask_b32_e64 v3, v14, v15, s5
	v_cmp_eq_u32_e64 s5, 6, v71
	v_cndmask_b32_e32 v1, v1, v11, vcc_lo
	v_cndmask_b32_e64 v5, v5, v11, s6
	v_cmp_eq_u32_e64 s7, 6, v70
	v_cndmask_b32_e64 v6, v6, v15, s6
	v_cmp_eq_u32_e64 s6, 6, v72
	v_cmp_eq_u32_e64 s4, 6, v69
	v_cndmask_b32_e64 v1, v1, v4, s5
	v_cndmask_b32_e32 v2, v2, v15, vcc_lo
	v_cmp_eq_u32_e32 vcc_lo, 7, v71
	v_cndmask_b32_e64 v5, v5, v4, s7
	v_cndmask_b32_e64 v9, v9, v4, s6
	;; [unrolled: 1-line block ×3, first 2 shown]
	v_cmp_eq_u32_e64 s7, 7, v70
	v_cndmask_b32_e32 v1, v1, v12, vcc_lo
	v_cndmask_b32_e64 v7, v13, v4, s4
	v_cndmask_b32_e64 v3, v3, v8, s4
	;; [unrolled: 1-line block ×3, first 2 shown]
	v_cmp_eq_u32_e64 s4, 7, v69
	v_cndmask_b32_e64 v4, v10, v8, s6
	v_cndmask_b32_e64 v5, v5, v12, s7
	;; [unrolled: 1-line block ×3, first 2 shown]
	v_cndmask_b32_e32 v2, v2, v16, vcc_lo
	v_cndmask_b32_e64 v7, v7, v12, s4
	v_cndmask_b32_e64 v3, v3, v16, s4
	;; [unrolled: 1-line block ×4, first 2 shown]
	v_cmp_gt_u32_e32 vcc_lo, 32, v0
	v_perm_b32 v4, v2, v1, 0x5040100
	v_perm_b32 v3, v3, v7, 0x5040100
	;; [unrolled: 1-line block ×4, first 2 shown]
	s_and_b32 s2, vcc_lo, s2
	ds_store_b128 v74, v[1:4]
	s_waitcnt lgkmcnt(0)
	s_barrier
	buffer_gl0_inv
	s_and_saveexec_b32 s4, s2
	s_cbranch_execz .LBB842_2
; %bb.15:
	s_load_b64 s[4:5], s[0:1], 0x68
	v_lshlrev_b32_e32 v0, 10, v0
	v_lshlrev_b32_e32 v1, 4, v67
	s_lshl_b32 s0, s36, 6
	v_add_nc_u32_e32 v18, s33, v66
	s_mul_i32 s1, s0, s34
	s_delay_alu instid0(VALU_DEP_2) | instskip(SKIP_1) | instid1(VALU_DEP_2)
	v_and_or_b32 v0, 0x3800, v0, v1
	s_mul_i32 s6, s1, s9
	v_mul_lo_u32 v1, v18, s0
	s_ashr_i32 s7, s6, 31
	v_add_nc_u32_e32 v2, 2, v18
	v_lshl_or_b32 v19, v66, 6, v0
	s_lshl_b64 s[6:7], s[6:7], 1
	v_add_nc_u32_e32 v8, 4, v18
	v_add_nc_u32_e32 v15, 6, v18
	v_mul_lo_u32 v7, v2, s0
	ds_load_b128 v[3:6], v19
	v_ashrrev_i32_e32 v2, 31, v1
	v_mul_lo_u32 v11, v8, s0
	s_waitcnt lgkmcnt(0)
	s_add_u32 s1, s4, s6
	s_addc_u32 s2, s5, s7
	s_lshl_b32 s4, s14, 6
	v_lshlrev_b64 v[9:10], 1, v[1:2]
	s_ashr_i32 s5, s4, 31
	v_ashrrev_i32_e32 v8, 31, v7
	s_lshl_b64 s[4:5], s[4:5], 1
	v_ashrrev_i32_e32 v12, 31, v11
	s_add_u32 s1, s1, s4
	s_addc_u32 s2, s2, s5
	v_add_co_u32 v1, s1, s1, v65
	s_delay_alu instid0(VALU_DEP_1) | instskip(SKIP_1) | instid1(VALU_DEP_3)
	v_add_co_ci_u32_e64 v2, null, s2, 0, s1
	v_mul_lo_u32 v15, v15, s0
	v_add_co_u32 v13, vcc_lo, v1, v9
	s_delay_alu instid0(VALU_DEP_3)
	v_add_co_ci_u32_e32 v14, vcc_lo, v2, v10, vcc_lo
	v_lshlrev_b64 v[16:17], 1, v[7:8]
	ds_load_b128 v[7:10], v19 offset:128
	global_store_b128 v[13:14], v[3:6], off
	v_add_nc_u32_e32 v5, 8, v18
	v_lshlrev_b64 v[3:4], 1, v[11:12]
	v_add_co_u32 v23, vcc_lo, v1, v16
	v_ashrrev_i32_e32 v16, 31, v15
	s_delay_alu instid0(VALU_DEP_4) | instskip(SKIP_3) | instid1(VALU_DEP_3)
	v_mul_lo_u32 v25, v5, s0
	v_add_nc_u32_e32 v5, 10, v18
	v_add_co_ci_u32_e32 v24, vcc_lo, v2, v17, vcc_lo
	v_add_co_u32 v27, vcc_lo, v1, v3
	v_mul_lo_u32 v29, v5, s0
	v_add_co_ci_u32_e32 v28, vcc_lo, v2, v4, vcc_lo
	v_lshlrev_b64 v[31:32], 1, v[15:16]
	ds_load_b128 v[3:6], v19 offset:256
	ds_load_b128 v[11:14], v19 offset:384
	ds_load_b128 v[15:18], v19 offset:512
	ds_load_b128 v[19:22], v19 offset:640
	v_ashrrev_i32_e32 v26, 31, v25
	v_ashrrev_i32_e32 v30, 31, v29
	v_add_co_u32 v31, vcc_lo, v1, v31
	s_delay_alu instid0(VALU_DEP_3) | instskip(SKIP_1) | instid1(VALU_DEP_4)
	v_lshlrev_b64 v[25:26], 1, v[25:26]
	v_add_co_ci_u32_e32 v32, vcc_lo, v2, v32, vcc_lo
	v_lshlrev_b64 v[29:30], 1, v[29:30]
	s_delay_alu instid0(VALU_DEP_3) | instskip(NEXT) | instid1(VALU_DEP_4)
	v_add_co_u32 v25, vcc_lo, v1, v25
	v_add_co_ci_u32_e32 v26, vcc_lo, v2, v26, vcc_lo
	s_delay_alu instid0(VALU_DEP_3) | instskip(NEXT) | instid1(VALU_DEP_4)
	v_add_co_u32 v29, vcc_lo, v1, v29
	v_add_co_ci_u32_e32 v30, vcc_lo, v2, v30, vcc_lo
	s_waitcnt lgkmcnt(4)
	global_store_b128 v[23:24], v[7:10], off
	s_waitcnt lgkmcnt(3)
	global_store_b128 v[27:28], v[3:6], off
	s_waitcnt lgkmcnt(2)
	global_store_b128 v[31:32], v[11:14], off
	s_waitcnt lgkmcnt(1)
	global_store_b128 v[25:26], v[15:18], off
	s_waitcnt lgkmcnt(0)
	global_store_b128 v[29:30], v[19:22], off
	s_and_b32 exec_lo, exec_lo, s3
	s_cbranch_execz .LBB842_2
; %bb.16:
	ds_load_b128 v[3:6], v0 offset:768
	s_add_i32 s1, s33, 12
	s_delay_alu instid0(SALU_CYCLE_1) | instskip(NEXT) | instid1(SALU_CYCLE_1)
	s_mul_i32 s0, s1, s0
	s_ashr_i32 s1, s0, 31
	s_delay_alu instid0(SALU_CYCLE_1) | instskip(NEXT) | instid1(SALU_CYCLE_1)
	s_lshl_b64 s[0:1], s[0:1], 1
	v_add_co_u32 v0, vcc_lo, v1, s0
	v_add_co_ci_u32_e32 v1, vcc_lo, s1, v2, vcc_lo
	s_waitcnt lgkmcnt(0)
	global_store_b128 v[0:1], v[3:6], off
	s_nop 0
	s_sendmsg sendmsg(MSG_DEALLOC_VGPRS)
	s_endpgm
	.section	.rodata,"a",@progbits
	.p2align	6, 0x0
	.amdhsa_kernel _Z39paged_attention_ll4mi_QKV_mfma16_kernelIDF16_hLN4vllm18Fp8KVCacheDataTypeE1EDF16_Li16ELi64ELi256ELb0ELi13EL8MFMAType1EEvPKT_PKT0_S8_ifPKiSA_SA_iPKfiiiPfSD_PS3_PT2_iSC_SC_
		.amdhsa_group_segment_fixed_size 17472
		.amdhsa_private_segment_fixed_size 0
		.amdhsa_kernarg_size 400
		.amdhsa_user_sgpr_count 13
		.amdhsa_user_sgpr_dispatch_ptr 0
		.amdhsa_user_sgpr_queue_ptr 0
		.amdhsa_user_sgpr_kernarg_segment_ptr 1
		.amdhsa_user_sgpr_dispatch_id 0
		.amdhsa_user_sgpr_private_segment_size 0
		.amdhsa_wavefront_size32 1
		.amdhsa_uses_dynamic_stack 0
		.amdhsa_enable_private_segment 0
		.amdhsa_system_sgpr_workgroup_id_x 1
		.amdhsa_system_sgpr_workgroup_id_y 1
		.amdhsa_system_sgpr_workgroup_id_z 1
		.amdhsa_system_sgpr_workgroup_info 0
		.amdhsa_system_vgpr_workitem_id 0
		.amdhsa_next_free_vgpr 146
		.amdhsa_next_free_sgpr 37
		.amdhsa_reserve_vcc 1
		.amdhsa_float_round_mode_32 0
		.amdhsa_float_round_mode_16_64 0
		.amdhsa_float_denorm_mode_32 3
		.amdhsa_float_denorm_mode_16_64 3
		.amdhsa_dx10_clamp 1
		.amdhsa_ieee_mode 1
		.amdhsa_fp16_overflow 0
		.amdhsa_workgroup_processor_mode 1
		.amdhsa_memory_ordered 1
		.amdhsa_forward_progress 0
		.amdhsa_shared_vgpr_count 0
		.amdhsa_exception_fp_ieee_invalid_op 0
		.amdhsa_exception_fp_denorm_src 0
		.amdhsa_exception_fp_ieee_div_zero 0
		.amdhsa_exception_fp_ieee_overflow 0
		.amdhsa_exception_fp_ieee_underflow 0
		.amdhsa_exception_fp_ieee_inexact 0
		.amdhsa_exception_int_div_zero 0
	.end_amdhsa_kernel
	.section	.text._Z39paged_attention_ll4mi_QKV_mfma16_kernelIDF16_hLN4vllm18Fp8KVCacheDataTypeE1EDF16_Li16ELi64ELi256ELb0ELi13EL8MFMAType1EEvPKT_PKT0_S8_ifPKiSA_SA_iPKfiiiPfSD_PS3_PT2_iSC_SC_,"axG",@progbits,_Z39paged_attention_ll4mi_QKV_mfma16_kernelIDF16_hLN4vllm18Fp8KVCacheDataTypeE1EDF16_Li16ELi64ELi256ELb0ELi13EL8MFMAType1EEvPKT_PKT0_S8_ifPKiSA_SA_iPKfiiiPfSD_PS3_PT2_iSC_SC_,comdat
.Lfunc_end842:
	.size	_Z39paged_attention_ll4mi_QKV_mfma16_kernelIDF16_hLN4vllm18Fp8KVCacheDataTypeE1EDF16_Li16ELi64ELi256ELb0ELi13EL8MFMAType1EEvPKT_PKT0_S8_ifPKiSA_SA_iPKfiiiPfSD_PS3_PT2_iSC_SC_, .Lfunc_end842-_Z39paged_attention_ll4mi_QKV_mfma16_kernelIDF16_hLN4vllm18Fp8KVCacheDataTypeE1EDF16_Li16ELi64ELi256ELb0ELi13EL8MFMAType1EEvPKT_PKT0_S8_ifPKiSA_SA_iPKfiiiPfSD_PS3_PT2_iSC_SC_
                                        ; -- End function
	.section	.AMDGPU.csdata,"",@progbits
; Kernel info:
; codeLenInByte = 6692
; NumSgprs: 39
; NumVgprs: 146
; ScratchSize: 0
; MemoryBound: 0
; FloatMode: 240
; IeeeMode: 1
; LDSByteSize: 17472 bytes/workgroup (compile time only)
; SGPRBlocks: 4
; VGPRBlocks: 18
; NumSGPRsForWavesPerEU: 39
; NumVGPRsForWavesPerEU: 146
; Occupancy: 9
; WaveLimiterHint : 1
; COMPUTE_PGM_RSRC2:SCRATCH_EN: 0
; COMPUTE_PGM_RSRC2:USER_SGPR: 13
; COMPUTE_PGM_RSRC2:TRAP_HANDLER: 0
; COMPUTE_PGM_RSRC2:TGID_X_EN: 1
; COMPUTE_PGM_RSRC2:TGID_Y_EN: 1
; COMPUTE_PGM_RSRC2:TGID_Z_EN: 1
; COMPUTE_PGM_RSRC2:TIDIG_COMP_CNT: 0
	.section	.text._Z39paged_attention_ll4mi_QKV_mfma16_kernelIDF16_hLN4vllm18Fp8KVCacheDataTypeE1EDF16_Li16ELi64ELi256ELb0ELi14EL8MFMAType1EEvPKT_PKT0_S8_ifPKiSA_SA_iPKfiiiPfSD_PS3_PT2_iSC_SC_,"axG",@progbits,_Z39paged_attention_ll4mi_QKV_mfma16_kernelIDF16_hLN4vllm18Fp8KVCacheDataTypeE1EDF16_Li16ELi64ELi256ELb0ELi14EL8MFMAType1EEvPKT_PKT0_S8_ifPKiSA_SA_iPKfiiiPfSD_PS3_PT2_iSC_SC_,comdat
	.protected	_Z39paged_attention_ll4mi_QKV_mfma16_kernelIDF16_hLN4vllm18Fp8KVCacheDataTypeE1EDF16_Li16ELi64ELi256ELb0ELi14EL8MFMAType1EEvPKT_PKT0_S8_ifPKiSA_SA_iPKfiiiPfSD_PS3_PT2_iSC_SC_ ; -- Begin function _Z39paged_attention_ll4mi_QKV_mfma16_kernelIDF16_hLN4vllm18Fp8KVCacheDataTypeE1EDF16_Li16ELi64ELi256ELb0ELi14EL8MFMAType1EEvPKT_PKT0_S8_ifPKiSA_SA_iPKfiiiPfSD_PS3_PT2_iSC_SC_
	.globl	_Z39paged_attention_ll4mi_QKV_mfma16_kernelIDF16_hLN4vllm18Fp8KVCacheDataTypeE1EDF16_Li16ELi64ELi256ELb0ELi14EL8MFMAType1EEvPKT_PKT0_S8_ifPKiSA_SA_iPKfiiiPfSD_PS3_PT2_iSC_SC_
	.p2align	8
	.type	_Z39paged_attention_ll4mi_QKV_mfma16_kernelIDF16_hLN4vllm18Fp8KVCacheDataTypeE1EDF16_Li16ELi64ELi256ELb0ELi14EL8MFMAType1EEvPKT_PKT0_S8_ifPKiSA_SA_iPKfiiiPfSD_PS3_PT2_iSC_SC_,@function
_Z39paged_attention_ll4mi_QKV_mfma16_kernelIDF16_hLN4vllm18Fp8KVCacheDataTypeE1EDF16_Li16ELi64ELi256ELb0ELi14EL8MFMAType1EEvPKT_PKT0_S8_ifPKiSA_SA_iPKfiiiPfSD_PS3_PT2_iSC_SC_: ; @_Z39paged_attention_ll4mi_QKV_mfma16_kernelIDF16_hLN4vllm18Fp8KVCacheDataTypeE1EDF16_Li16ELi64ELi256ELb0ELi14EL8MFMAType1EEvPKT_PKT0_S8_ifPKiSA_SA_iPKfiiiPfSD_PS3_PT2_iSC_SC_
; %bb.0:
	s_load_b64 s[2:3], s[0:1], 0x30
	s_mov_b32 s34, s13
	s_waitcnt lgkmcnt(0)
	s_cmp_lg_u64 s[2:3], 0
	s_cselect_b32 s6, -1, 0
	s_ashr_i32 s35, s13, 31
	s_cmp_eq_u64 s[2:3], 0
	s_cbranch_scc1 .LBB843_3
; %bb.1:
	s_lshl_b64 s[4:5], s[34:35], 2
	s_delay_alu instid0(SALU_CYCLE_1) | instskip(SKIP_4) | instid1(SALU_CYCLE_1)
	s_add_u32 s4, s2, s4
	s_addc_u32 s5, s3, s5
	s_load_b64 s[4:5], s[4:5], 0x0
	s_waitcnt lgkmcnt(0)
	s_sub_i32 s4, s5, s4
	s_cmp_eq_u32 s4, 1
	s_cselect_b32 s4, -1, 0
	s_delay_alu instid0(SALU_CYCLE_1)
	s_and_not1_b32 vcc_lo, exec_lo, s4
	s_cbranch_vccz .LBB843_4
.LBB843_2:
	s_endpgm
.LBB843_3:
.LBB843_4:
	s_load_b64 s[8:9], s[0:1], 0x28
	s_lshl_b64 s[4:5], s[34:35], 2
	s_waitcnt lgkmcnt(0)
	s_add_u32 s8, s8, s4
	s_addc_u32 s9, s9, s5
	s_lshl_b32 s16, s14, 8
	s_load_b32 s18, s[8:9], 0x0
	s_waitcnt lgkmcnt(0)
	s_cmp_ge_i32 s16, s18
	s_cbranch_scc1 .LBB843_2
; %bb.5:
	s_clause 0x1
	s_load_b128 s[8:11], s[0:1], 0x8
	s_load_b64 s[12:13], s[0:1], 0x20
	s_and_not1_b32 vcc_lo, exec_lo, s6
	s_cbranch_vccnz .LBB843_7
; %bb.6:
	s_add_u32 s2, s2, s4
	s_addc_u32 s3, s3, s5
	s_load_b32 s3, s[2:3], 0x0
	s_branch .LBB843_8
.LBB843_7:
	s_mov_b32 s3, s34
.LBB843_8:
	s_load_b128 s[4:7], s[0:1], 0x48
	v_and_b32_e32 v68, 15, v0
	v_cmp_gt_u32_e32 vcc_lo, 0xe0, v0
	v_lshrrev_b32_e32 v69, 5, v0
	v_and_b32_e32 v70, 31, v0
	v_and_b32_e32 v67, 1, v0
	v_lshlrev_b32_e32 v1, 3, v68
	v_cmp_gt_u32_e64 s2, 8, v68
	v_bfe_u32 v66, v0, 4, 1
	s_mul_i32 s31, s15, 14
	s_delay_alu instid0(VALU_DEP_3) | instskip(NEXT) | instid1(VALU_DEP_3)
	v_lshlrev_b32_e32 v65, 1, v1
	s_and_b32 s17, vcc_lo, s2
	s_waitcnt lgkmcnt(0)
	s_and_saveexec_b32 s7, s17
	s_cbranch_execz .LBB843_10
; %bb.9:
	s_load_b64 s[20:21], s[0:1], 0x0
	v_lshl_or_b32 v5, v69, 1, v66
	s_mul_hi_i32 s23, s3, s4
	s_mul_i32 s22, s3, s4
	v_lshlrev_b32_e32 v6, 10, v68
	s_lshl_b64 s[22:23], s[22:23], 1
	v_add_lshl_u32 v1, v5, s31, 6
	v_lshlrev_b32_e32 v5, 6, v5
	v_lshlrev_b32_e32 v7, 10, v67
	v_and_b32_e32 v6, 0x3800, v6
	s_delay_alu instid0(VALU_DEP_4) | instskip(NEXT) | instid1(VALU_DEP_2)
	v_ashrrev_i32_e32 v2, 31, v1
	v_or3_b32 v5, v6, v7, v5
	s_delay_alu instid0(VALU_DEP_2) | instskip(SKIP_3) | instid1(VALU_DEP_1)
	v_lshlrev_b64 v[1:2], 1, v[1:2]
	s_waitcnt lgkmcnt(0)
	s_add_u32 s3, s20, s22
	s_addc_u32 s4, s21, s23
	v_add_co_u32 v1, vcc_lo, s3, v1
	s_delay_alu instid0(VALU_DEP_2) | instskip(NEXT) | instid1(VALU_DEP_2)
	v_add_co_ci_u32_e32 v2, vcc_lo, s4, v2, vcc_lo
	v_add_co_u32 v1, vcc_lo, v1, v65
	s_delay_alu instid0(VALU_DEP_2)
	v_add_co_ci_u32_e32 v2, vcc_lo, 0, v2, vcc_lo
	global_load_b128 v[1:4], v[1:2], off
	s_waitcnt vmcnt(0)
	ds_store_b128 v5, v[1:4]
.LBB843_10:
	s_or_b32 exec_lo, exec_lo, s7
	v_and_b32_e32 v1, 0xef, v0
	s_add_i32 s3, s18, 15
	s_clause 0x1
	s_load_b32 s4, s[0:1], 0x38
	s_load_b32 s33, s[0:1], 0x98
	s_ashr_i32 s7, s3, 31
	v_add_nc_u32_e32 v1, s16, v1
	s_lshr_b32 s7, s7, 28
	s_load_b32 s19, s[0:1], 0x1c
	v_add_nc_u32_e32 v103, -14, v68
	s_add_i32 s3, s3, s7
	v_ashrrev_i32_e32 v2, 31, v1
	v_or_b32_e32 v3, 16, v1
	s_ashr_i32 s3, s3, 4
	v_cmp_gt_i32_e32 vcc_lo, s18, v1
	s_add_i32 s3, s3, -1
	v_lshrrev_b32_e32 v2, 28, v2
	s_waitcnt lgkmcnt(0)
	s_barrier
	buffer_gl0_inv
	s_mul_i32 s15, s15, s6
	v_add_nc_u32_e32 v4, v1, v2
	v_mbcnt_lo_u32_b32 v127, -1, 0
	s_mul_i32 s20, s34, s4
	s_delay_alu instid0(SALU_CYCLE_1) | instskip(NEXT) | instid1(VALU_DEP_2)
	s_ashr_i32 s21, s20, 31
	v_ashrrev_i32_e32 v4, 4, v4
	v_add_nc_u32_e32 v2, v3, v2
	s_lshl_b64 s[20:21], s[20:21], 2
	v_xor_b32_e32 v128, 16, v127
	s_add_u32 s17, s12, s20
	v_cndmask_b32_e32 v1, s3, v4, vcc_lo
	v_ashrrev_i32_e32 v2, 4, v2
	v_cmp_gt_i32_e32 vcc_lo, s18, v3
	s_addc_u32 s13, s13, s21
	s_ashr_i32 s20, s15, 31
	s_add_u32 s4, s8, s15
	s_addc_u32 s12, s9, s20
	v_cndmask_b32_e32 v3, s3, v2, vcc_lo
	v_ashrrev_i32_e32 v2, 31, v1
	s_lshl_b32 s6, s14, 4
	s_delay_alu instid0(SALU_CYCLE_1) | instskip(NEXT) | instid1(VALU_DEP_2)
	s_ashr_i32 s7, s6, 31
	v_ashrrev_i32_e32 v4, 31, v3
	s_delay_alu instid0(VALU_DEP_2) | instskip(SKIP_1) | instid1(SALU_CYCLE_1)
	v_lshlrev_b64 v[1:2], 2, v[1:2]
	s_lshl_b64 s[6:7], s[6:7], 2
	s_add_u32 s6, s17, s6
	s_delay_alu instid0(VALU_DEP_2) | instskip(SKIP_1) | instid1(VALU_DEP_2)
	v_lshlrev_b64 v[3:4], 2, v[3:4]
	s_addc_u32 s7, s13, s7
	v_add_co_u32 v1, vcc_lo, s17, v1
	v_add_co_ci_u32_e32 v2, vcc_lo, s13, v2, vcc_lo
	s_delay_alu instid0(VALU_DEP_3) | instskip(NEXT) | instid1(VALU_DEP_4)
	v_add_co_u32 v3, vcc_lo, s17, v3
	v_add_co_ci_u32_e32 v4, vcc_lo, s13, v4, vcc_lo
	s_clause 0x1
	global_load_b32 v5, v[1:2], off
	global_load_b32 v7, v[3:4], off
	s_or_b32 s8, s16, 32
	v_lshlrev_b32_e32 v1, 4, v0
	s_ashr_i32 s9, s8, 4
	s_cmp_lt_i32 s8, s18
	v_cmp_gt_u32_e32 vcc_lo, 14, v68
	s_cselect_b32 s8, s9, s3
	v_and_b32_e32 v1, 0xf0, v1
	s_ashr_i32 s9, s8, 31
	s_delay_alu instid0(SALU_CYCLE_1)
	s_lshl_b64 s[8:9], s[8:9], 2
	v_cndmask_b32_e32 v103, v103, v68, vcc_lo
	s_add_u32 s8, s17, s8
	s_addc_u32 s9, s13, s9
	s_or_b32 s21, s16, 64
	v_add_co_u32 v1, s4, s4, v1
	s_ashr_i32 s22, s21, 4
	s_cmp_lt_i32 s21, s18
	v_add_co_ci_u32_e64 v2, null, s12, 0, s4
	s_cselect_b32 s22, s22, s3
	v_cmp_gt_i32_e32 vcc_lo, 32, v128
	s_ashr_i32 s23, s22, 31
	v_lshlrev_b32_e32 v115, 6, v103
	s_lshl_b64 s[22:23], s[22:23], 2
	v_cndmask_b32_e32 v136, v127, v128, vcc_lo
	s_add_u32 s22, s17, s22
	s_addc_u32 s23, s13, s23
	s_or_b32 s21, s16, 0x60
	s_delay_alu instid0(SALU_CYCLE_1) | instskip(SKIP_2) | instid1(SALU_CYCLE_1)
	s_ashr_i32 s24, s21, 4
	s_cmp_lt_i32 s21, s18
	s_cselect_b32 s24, s24, s3
	s_ashr_i32 s25, s24, 31
	s_delay_alu instid0(SALU_CYCLE_1) | instskip(NEXT) | instid1(SALU_CYCLE_1)
	s_lshl_b64 s[24:25], s[24:25], 2
	s_add_u32 s24, s17, s24
	s_addc_u32 s25, s13, s25
	s_or_b32 s21, s16, 0x80
	s_delay_alu instid0(SALU_CYCLE_1) | instskip(SKIP_2) | instid1(SALU_CYCLE_1)
	s_ashr_i32 s26, s21, 4
	s_cmp_lt_i32 s21, s18
	s_cselect_b32 s26, s26, s3
	s_ashr_i32 s27, s26, 31
	s_delay_alu instid0(SALU_CYCLE_1) | instskip(NEXT) | instid1(SALU_CYCLE_1)
	s_lshl_b64 s[26:27], s[26:27], 2
	;; [unrolled: 10-line block ×3, first 2 shown]
	s_add_u32 s28, s17, s28
	s_addc_u32 s29, s13, s29
	s_clause 0x5
	s_load_b32 s12, s[6:7], 0x0
	s_load_b32 s4, s[8:9], 0x0
	;; [unrolled: 1-line block ×6, first 2 shown]
	s_or_b32 s21, s16, 0xc0
	s_delay_alu instid0(SALU_CYCLE_1) | instskip(SKIP_2) | instid1(SALU_CYCLE_1)
	s_ashr_i32 s22, s21, 4
	s_cmp_lt_i32 s21, s18
	s_cselect_b32 s22, s22, s3
	s_ashr_i32 s23, s22, 31
	s_delay_alu instid0(SALU_CYCLE_1) | instskip(NEXT) | instid1(SALU_CYCLE_1)
	s_lshl_b64 s[22:23], s[22:23], 2
	s_add_u32 s22, s17, s22
	s_addc_u32 s23, s13, s23
	s_or_b32 s21, s16, 0xe0
	s_delay_alu instid0(SALU_CYCLE_1) | instskip(SKIP_2) | instid1(SALU_CYCLE_1)
	s_ashr_i32 s24, s21, 4
	s_cmp_lt_i32 s21, s18
	s_cselect_b32 s24, s24, s3
	s_ashr_i32 s25, s24, 31
	s_delay_alu instid0(SALU_CYCLE_1)
	s_lshl_b64 s[24:25], s[24:25], 2
	s_waitcnt vmcnt(1)
	v_mad_i64_i32 v[3:4], null, v5, s5, v[1:2]
	s_waitcnt vmcnt(0)
	v_mad_i64_i32 v[5:6], null, v7, s5, v[1:2]
	v_lshlrev_b32_e32 v1, 4, v68
	s_clause 0x7
	global_load_b128 v[71:74], v[3:4], off
	global_load_b128 v[75:78], v[3:4], off offset:256
	global_load_b128 v[79:82], v[5:6], off
	global_load_b128 v[83:86], v[5:6], off offset:256
	global_load_b128 v[87:90], v[3:4], off offset:512
	;; [unrolled: 1-line block ×5, first 2 shown]
	v_lshl_or_b32 v1, v69, 8, v1
	s_load_b32 s3, s[22:23], 0x0
	s_add_u32 s22, s17, s24
	s_addc_u32 s23, s13, s25
	s_add_u32 s10, s10, s15
	s_addc_u32 s11, s11, s20
	v_add_co_u32 v1, s10, s10, v1
	s_delay_alu instid0(VALU_DEP_1) | instskip(SKIP_2) | instid1(VALU_DEP_1)
	v_add_co_ci_u32_e64 v2, null, s11, 0, s10
	s_load_b32 s10, s[22:23], 0x0
	s_waitcnt lgkmcnt(0)
	v_mad_i64_i32 v[3:4], null, s12, s5, v[1:2]
	v_mad_i64_i32 v[9:10], null, s7, s5, v[1:2]
	;; [unrolled: 1-line block ×7, first 2 shown]
	s_clause 0x5
	global_load_b128 v[49:52], v[3:4], off
	global_load_b128 v[53:56], v[3:4], off offset:16
	global_load_b128 v[41:44], v[5:6], off
	global_load_b128 v[45:48], v[5:6], off offset:16
	;; [unrolled: 2-line block ×3, first 2 shown]
	s_mov_b32 s4, 0
	v_mad_i64_i32 v[61:62], null, s10, s5, v[1:2]
	s_clause 0x9
	global_load_b128 v[1:4], v[9:10], off
	global_load_b128 v[5:8], v[9:10], off offset:16
	global_load_b128 v[9:12], v[13:14], off
	global_load_b128 v[13:16], v[13:14], off offset:16
	;; [unrolled: 2-line block ×5, first 2 shown]
	s_mov_b32 s5, s4
	s_mov_b32 s6, s4
	;; [unrolled: 1-line block ×7, first 2 shown]
	v_and_b32_e32 v104, 0xe0, v0
	v_dual_mov_b32 v126, s11 :: v_dual_mov_b32 v125, s10
	v_dual_mov_b32 v124, s9 :: v_dual_mov_b32 v123, s8
	s_delay_alu instid0(VALU_DEP_3)
	v_add_nc_u32_e32 v111, s16, v104
	ds_load_b128 v[103:106], v115
	ds_load_b128 v[107:110], v115 offset:1024
	v_dual_mov_b32 v122, s7 :: v_dual_mov_b32 v121, s6
	v_mov_b32_e32 v120, s5
	v_or_b32_e32 v135, v111, v66
	ds_load_b128 v[111:114], v115 offset:2048
	ds_load_b128 v[115:118], v115 offset:3072
	v_mov_b32_e32 v119, s4
	s_waitcnt vmcnt(0) lgkmcnt(0)
	s_barrier
	v_or_b32_e32 v137, 2, v135
	v_or_b32_e32 v138, 4, v135
	;; [unrolled: 1-line block ×3, first 2 shown]
	v_cmp_gt_i32_e32 vcc_lo, s18, v135
	v_or_b32_e32 v140, 8, v135
	v_cmp_gt_i32_e64 s3, s18, v137
	v_or_b32_e32 v141, 10, v135
	v_cmp_gt_i32_e64 s4, s18, v138
	v_cmp_gt_i32_e64 s5, s18, v139
	v_or_b32_e32 v142, 12, v135
	v_or_b32_e32 v143, 14, v135
	v_cmp_gt_i32_e64 s6, s18, v140
	v_cmp_gt_i32_e64 s7, s18, v141
	v_or_b32_e32 v144, 16, v135
	v_or_b32_e32 v145, 18, v135
	v_cmp_gt_i32_e64 s8, s18, v142
	v_cmp_gt_i32_e64 s9, s18, v143
	buffer_gl0_inv
	v_cmp_gt_i32_e64 s10, s18, v144
	v_cmp_gt_i32_e64 s11, s18, v145
	v_wmma_f32_16x16x16_f16 v[127:134], v[71:78], v[103:110], v[119:126]
	v_wmma_f32_16x16x16_f16 v[119:126], v[79:86], v[103:110], v[119:126]
	v_or_b32_e32 v71, 20, v135
	v_or_b32_e32 v72, 22, v135
	s_delay_alu instid0(VALU_DEP_4)
	v_wmma_f32_16x16x16_f16 v[127:134], v[87:94], v[111:118], v[127:134]
	v_or_b32_e32 v73, 24, v135
	v_wmma_f32_16x16x16_f16 v[119:126], v[95:102], v[111:118], v[119:126]
	v_or_b32_e32 v74, 26, v135
	v_cmp_gt_i32_e64 s12, s18, v71
	v_dual_mul_f32 v83, s19, v128 :: v_dual_mul_f32 v84, s19, v127
	v_dual_mul_f32 v81, s19, v130 :: v_dual_mul_f32 v82, s19, v129
	;; [unrolled: 1-line block ×3, first 2 shown]
	s_delay_alu instid0(VALU_DEP_3) | instskip(NEXT) | instid1(VALU_DEP_4)
	v_cndmask_b32_e32 v84, 0xff7fffff, v84, vcc_lo
	v_cndmask_b32_e64 v83, 0xff7fffff, v83, s3
	v_mul_f32_e32 v80, s19, v131
	v_cndmask_b32_e64 v82, 0xff7fffff, v82, s4
	v_cndmask_b32_e64 v81, 0xff7fffff, v81, s5
	v_dual_mul_f32 v77, s19, v134 :: v_dual_mul_f32 v90, s19, v121
	v_max3_f32 v83, v84, 0xff7fffff, v83
	v_mul_f32_e32 v78, s19, v133
	v_cndmask_b32_e64 v80, 0xff7fffff, v80, s6
	v_cndmask_b32_e64 v79, 0xff7fffff, v79, s7
	v_mul_f32_e32 v91, s19, v120
	v_max3_f32 v81, v83, v82, v81
	v_cndmask_b32_e64 v78, 0xff7fffff, v78, s8
	v_cndmask_b32_e64 v77, 0xff7fffff, v77, s9
	v_mul_f32_e32 v89, s19, v122
	v_cmp_gt_i32_e64 s13, s18, v72
	v_max3_f32 v79, v81, v80, v79
	v_cndmask_b32_e64 v80, 0xff7fffff, v92, s10
	v_cndmask_b32_e64 v81, 0xff7fffff, v91, s11
	v_or_b32_e32 v75, 28, v135
	v_or_b32_e32 v76, 30, v135
	v_max3_f32 v77, v79, v78, v77
	v_dual_mul_f32 v87, s19, v124 :: v_dual_mul_f32 v88, s19, v123
	v_cndmask_b32_e64 v71, 0xff7fffff, v90, s12
	v_cndmask_b32_e64 v72, 0xff7fffff, v89, s13
	s_delay_alu instid0(VALU_DEP_4) | instskip(SKIP_3) | instid1(VALU_DEP_4)
	v_max3_f32 v77, v77, v80, v81
	v_cmp_gt_i32_e64 s15, s18, v73
	v_cmp_gt_i32_e64 s16, s18, v74
	v_dual_mul_f32 v85, s19, v126 :: v_dual_mul_f32 v86, s19, v125
	v_max3_f32 v71, v77, v71, v72
	s_delay_alu instid0(VALU_DEP_4) | instskip(NEXT) | instid1(VALU_DEP_4)
	v_cndmask_b32_e64 v73, 0xff7fffff, v88, s15
	v_cndmask_b32_e64 v74, 0xff7fffff, v87, s16
	v_cmp_gt_i32_e64 s17, s18, v75
	v_cmp_gt_i32_e64 s18, s18, v76
	s_delay_alu instid0(VALU_DEP_3) | instskip(NEXT) | instid1(VALU_DEP_3)
	v_max3_f32 v71, v71, v73, v74
	v_cndmask_b32_e64 v72, 0xff7fffff, v86, s17
	s_delay_alu instid0(VALU_DEP_3) | instskip(SKIP_1) | instid1(VALU_DEP_2)
	v_cndmask_b32_e64 v75, 0xff7fffff, v85, s18
	v_lshlrev_b32_e32 v73, 2, v136
	v_max3_f32 v71, v71, v72, v75
	ds_bpermute_b32 v72, v73, v71
	s_waitcnt lgkmcnt(0)
	v_max_f32_e32 v72, v72, v72
	s_delay_alu instid0(VALU_DEP_1) | instskip(NEXT) | instid1(VALU_DEP_1)
	v_max_f32_e32 v71, v71, v72
	v_fma_f32 v72, s19, v127, -v71
	v_fma_f32 v74, s19, v128, -v71
	;; [unrolled: 1-line block ×5, first 2 shown]
	v_mul_f32_e32 v72, 0x3fb8aa3b, v72
	s_delay_alu instid0(VALU_DEP_4) | instskip(NEXT) | instid1(VALU_DEP_4)
	v_dual_mul_f32 v74, 0x3fb8aa3b, v74 :: v_dual_mul_f32 v75, 0x3fb8aa3b, v75
	v_mul_f32_e32 v76, 0x3fb8aa3b, v76
	s_delay_alu instid0(VALU_DEP_4) | instskip(NEXT) | instid1(VALU_DEP_4)
	v_mul_f32_e32 v82, 0x3fb8aa3b, v80
	v_exp_f32_e32 v72, v72
	s_delay_alu instid0(VALU_DEP_3)
	v_exp_f32_e32 v74, v74
	v_exp_f32_e32 v75, v75
	;; [unrolled: 1-line block ×3, first 2 shown]
	v_fma_f32 v77, s19, v131, -v71
	v_exp_f32_e32 v84, v82
	v_cndmask_b32_e32 v79, 0, v72, vcc_lo
	v_cndmask_b32_e64 v78, 0, v74, s3
	s_delay_alu instid0(TRANS32_DEP_3) | instskip(SKIP_1) | instid1(TRANS32_DEP_2)
	v_cndmask_b32_e64 v81, 0, v75, s4
	v_fma_f32 v72, s19, v132, -v71
	v_cndmask_b32_e64 v80, 0, v76, s5
	v_add_f32_e32 v74, 0, v79
	s_delay_alu instid0(TRANS32_DEP_1) | instskip(SKIP_2) | instid1(VALU_DEP_3)
	v_cndmask_b32_e64 v85, 0, v84, s8
	s_mov_b32 s3, exec_lo
	v_mul_f32_e32 v72, 0x3fb8aa3b, v72
	v_add_f32_e32 v74, v74, v78
	s_delay_alu instid0(VALU_DEP_2) | instskip(NEXT) | instid1(VALU_DEP_1)
	v_exp_f32_e32 v72, v72
	v_add_f32_e32 v74, v74, v81
	s_delay_alu instid0(VALU_DEP_1) | instskip(NEXT) | instid1(VALU_DEP_1)
	v_dual_mul_f32 v77, 0x3fb8aa3b, v77 :: v_dual_add_f32 v74, v74, v80
	v_exp_f32_e32 v77, v77
	s_waitcnt_depctr 0xfff
	v_cndmask_b32_e64 v82, 0, v72, s7
	v_cndmask_b32_e64 v83, 0, v77, s6
	s_delay_alu instid0(VALU_DEP_1) | instskip(SKIP_4) | instid1(VALU_DEP_4)
	v_add_f32_e32 v72, v74, v83
	v_fma_f32 v75, s19, v134, -v71
	v_fma_f32 v76, s19, v119, -v71
	;; [unrolled: 1-line block ×4, first 2 shown]
	v_dual_add_f32 v72, v72, v82 :: v_dual_mul_f32 v75, 0x3fb8aa3b, v75
	s_delay_alu instid0(VALU_DEP_3) | instskip(NEXT) | instid1(VALU_DEP_3)
	v_dual_mul_f32 v76, 0x3fb8aa3b, v76 :: v_dual_mul_f32 v77, 0x3fb8aa3b, v77
	v_mul_f32_e32 v74, 0x3fb8aa3b, v74
	v_fma_f32 v86, s19, v122, -v71
	s_delay_alu instid0(VALU_DEP_4) | instskip(NEXT) | instid1(VALU_DEP_3)
	v_exp_f32_e32 v75, v75
	v_exp_f32_e32 v76, v76
	;; [unrolled: 1-line block ×4, first 2 shown]
	v_mul_f32_e32 v86, 0x3fb8aa3b, v86
	s_delay_alu instid0(VALU_DEP_1)
	v_exp_f32_e32 v88, v86
	v_cndmask_b32_e64 v84, 0, v75, s9
	v_fma_f32 v75, s19, v123, -v71
	v_add_f32_e32 v72, v72, v85
	v_cndmask_b32_e64 v87, 0, v76, s10
	v_fma_f32 v76, s19, v124, -v71
	s_delay_alu instid0(TRANS32_DEP_3) | instskip(NEXT) | instid1(VALU_DEP_4)
	v_cndmask_b32_e64 v86, 0, v77, s11
	v_dual_mul_f32 v75, 0x3fb8aa3b, v75 :: v_dual_add_f32 v72, v72, v84
	v_fma_f32 v77, s19, v125, -v71
	s_delay_alu instid0(VALU_DEP_4) | instskip(SKIP_1) | instid1(VALU_DEP_4)
	v_mul_f32_e32 v76, 0x3fb8aa3b, v76
	v_cndmask_b32_e64 v89, 0, v74, s12
	v_exp_f32_e32 v75, v75
	v_add_f32_e32 v72, v72, v87
	v_mul_f32_e32 v74, 0x3fb8aa3b, v77
	v_exp_f32_e32 v76, v76
	v_cndmask_b32_e64 v88, 0, v88, s13
	v_fma_f32 v77, s19, v126, -v71
	v_add_f32_e32 v72, v72, v86
	v_exp_f32_e32 v74, v74
	s_delay_alu instid0(TRANS32_DEP_3) | instskip(NEXT) | instid1(VALU_DEP_2)
	v_cndmask_b32_e64 v91, 0, v75, s15
	v_add_f32_e32 v72, v72, v89
	v_mul_f32_e32 v75, 0x3fb8aa3b, v77
	s_delay_alu instid0(TRANS32_DEP_2) | instskip(NEXT) | instid1(VALU_DEP_3)
	v_cndmask_b32_e64 v90, 0, v76, s16
	v_add_f32_e32 v72, v72, v88
	s_delay_alu instid0(VALU_DEP_3) | instskip(NEXT) | instid1(TRANS32_DEP_2)
	v_exp_f32_e32 v75, v75
	v_cndmask_b32_e64 v93, 0, v74, s17
	s_delay_alu instid0(VALU_DEP_2) | instskip(NEXT) | instid1(VALU_DEP_1)
	v_add_f32_e32 v72, v72, v91
	v_add_f32_e32 v72, v72, v90
	s_waitcnt_depctr 0xfff
	v_cndmask_b32_e64 v92, 0, v75, s18
	v_add_f32_e32 v72, v72, v93
	s_delay_alu instid0(VALU_DEP_1)
	v_add_f32_e32 v72, v72, v92
	ds_bpermute_b32 v73, v73, v72
	v_cmpx_gt_u32_e32 16, v70
	s_cbranch_execz .LBB843_12
; %bb.11:
	v_mul_u32_u24_e32 v70, 0x44, v69
	s_waitcnt lgkmcnt(0)
	v_add_f32_e32 v72, v72, v73
	s_delay_alu instid0(VALU_DEP_2) | instskip(NEXT) | instid1(VALU_DEP_1)
	v_lshl_add_u32 v70, v68, 2, v70
	v_add_nc_u32_e32 v70, 0x4000, v70
	ds_store_2addr_b32 v70, v71, v72 offset1:136
.LBB843_12:
	s_or_b32 exec_lo, exec_lo, s3
	v_lshlrev_b32_e32 v70, 2, v68
	s_load_b32 s35, s[0:1], 0x94
	s_waitcnt lgkmcnt(0)
	s_barrier
	buffer_gl0_inv
	v_add_nc_u32_e32 v98, 0x4000, v70
	v_cmp_eq_u32_e32 vcc_lo, 1, v69
	v_cmp_eq_u32_e64 s3, 2, v69
	v_cmp_eq_u32_e64 s4, 3, v69
	v_cmp_eq_u32_e64 s5, 4, v69
	ds_load_2addr_b32 v[70:71], v98 offset1:17
	ds_load_2addr_b32 v[72:73], v98 offset0:34 offset1:51
	ds_load_2addr_b32 v[74:75], v98 offset0:68 offset1:85
	;; [unrolled: 1-line block ×3, first 2 shown]
	v_cmp_eq_u32_e64 s6, 5, v69
	v_cmp_eq_u32_e64 s7, 7, v69
	s_waitcnt lgkmcnt(3)
	v_max3_f32 v76, v70, 0xff7fffff, v71
	s_waitcnt lgkmcnt(2)
	s_delay_alu instid0(VALU_DEP_1) | instskip(SKIP_1) | instid1(VALU_DEP_1)
	v_max3_f32 v76, v76, v72, v73
	s_waitcnt lgkmcnt(1)
	v_max3_f32 v76, v76, v74, v75
	s_waitcnt lgkmcnt(0)
	s_delay_alu instid0(VALU_DEP_1) | instskip(NEXT) | instid1(VALU_DEP_1)
	v_max3_f32 v76, v76, v94, v95
	v_sub_f32_e32 v77, v71, v76
	ds_load_2addr_b32 v[96:97], v98 offset0:136 offset1:153
	v_sub_f32_e32 v74, v74, v76
	v_sub_f32_e32 v70, v70, v76
	;; [unrolled: 1-line block ×3, first 2 shown]
	v_dual_sub_f32 v72, v72, v76 :: v_dual_mul_f32 v77, 0x3fb8aa3b, v77
	s_delay_alu instid0(VALU_DEP_4) | instskip(NEXT) | instid1(VALU_DEP_4)
	v_mul_f32_e32 v103, 0x3fb8aa3b, v74
	v_mul_f32_e32 v99, 0x3fb8aa3b, v70
	ds_load_2addr_b32 v[70:71], v98 offset0:170 offset1:187
	v_dual_mul_f32 v101, 0x3fb8aa3b, v72 :: v_dual_mul_f32 v94, 0x3fb8aa3b, v94
	v_exp_f32_e32 v102, v77
	v_exp_f32_e32 v99, v99
	s_delay_alu instid0(VALU_DEP_1) | instskip(NEXT) | instid1(VALU_DEP_1)
	v_exp_f32_e32 v101, v101
	v_exp_f32_e32 v94, v94
	s_waitcnt lgkmcnt(1)
	s_delay_alu instid0(TRANS32_DEP_3)
	v_fma_f32 v77, v99, v96, 0
	v_sub_f32_e32 v100, v73, v76
	ds_load_2addr_b32 v[72:73], v98 offset0:204 offset1:221
	v_fmac_f32_e32 v77, v102, v97
	v_exp_f32_e32 v97, v103
	s_waitcnt lgkmcnt(1)
	s_delay_alu instid0(VALU_DEP_1)
	v_dual_fmac_f32 v77, v101, v70 :: v_dual_sub_f32 v96, v75, v76
	ds_load_2addr_b32 v[74:75], v98 offset0:238 offset1:255
	v_sub_f32_e32 v70, v95, v76
	s_waitcnt lgkmcnt(0)
	s_barrier
	v_mul_f32_e32 v96, 0x3fb8aa3b, v96
	buffer_gl0_inv
	v_exp_f32_e32 v95, v96
	v_mul_f32_e32 v100, 0x3fb8aa3b, v100
	s_delay_alu instid0(VALU_DEP_1) | instskip(SKIP_3) | instid1(VALU_DEP_2)
	v_exp_f32_e32 v100, v100
	s_waitcnt_depctr 0xfff
	v_dual_fmac_f32 v77, v100, v71 :: v_dual_mul_f32 v70, 0x3fb8aa3b, v70
	v_cndmask_b32_e32 v71, v99, v102, vcc_lo
	v_fmac_f32_e32 v77, v97, v72
	s_delay_alu instid0(VALU_DEP_3) | instskip(NEXT) | instid1(VALU_DEP_1)
	v_exp_f32_e32 v96, v70
	v_fmac_f32_e32 v77, v95, v73
	s_delay_alu instid0(VALU_DEP_1) | instskip(SKIP_2) | instid1(VALU_DEP_1)
	v_fmac_f32_e32 v77, v94, v74
	s_waitcnt_depctr 0xfff
	v_fmac_f32_e32 v77, v96, v75
	v_add_f32_e32 v74, 0x358637bd, v77
	s_delay_alu instid0(VALU_DEP_1) | instskip(SKIP_1) | instid1(VALU_DEP_2)
	v_div_scale_f32 v98, null, v74, v74, 1.0
	v_div_scale_f32 v99, vcc_lo, 1.0, v74, 1.0
	v_rcp_f32_e32 v103, v98
	s_waitcnt_depctr 0xfff
	v_fma_f32 v70, -v98, v103, 1.0
	s_delay_alu instid0(VALU_DEP_1) | instskip(SKIP_2) | instid1(VALU_DEP_2)
	v_fmac_f32_e32 v103, v70, v103
	v_cndmask_b32_e64 v70, v71, v101, s3
	v_cmp_eq_u32_e64 s3, 6, v69
	v_cndmask_b32_e64 v71, v70, v100, s4
	s_delay_alu instid0(VALU_DEP_4) | instskip(NEXT) | instid1(VALU_DEP_2)
	v_dual_mul_f32 v101, v99, v103 :: v_dual_lshlrev_b32 v70, 2, v66
	v_cndmask_b32_e64 v71, v71, v97, s5
	s_delay_alu instid0(VALU_DEP_2) | instskip(NEXT) | instid1(VALU_DEP_3)
	v_or_b32_e32 v72, 1, v70
	v_fma_f32 v100, -v98, v101, v99
	v_cmp_eq_u32_e64 s4, 1, v70
	v_cmp_eq_u32_e64 s5, 2, v70
	v_cndmask_b32_e64 v95, v71, v95, s6
	v_or_b32_e32 v71, 3, v70
	v_fmac_f32_e32 v101, v100, v103
	v_cmp_eq_u32_e64 s9, 1, v72
	v_cmp_eq_u32_e64 s12, 2, v72
	v_cndmask_b32_e64 v94, v95, v94, s3
	v_cmp_eq_u32_e64 s11, 1, v71
	v_fma_f32 v97, -v98, v101, v99
	v_cmp_eq_u32_e64 s16, 2, v71
	v_cmp_eq_u32_e64 s13, 3, v72
	v_cndmask_b32_e64 v94, v94, v96, s7
	v_cmp_eq_u32_e64 s18, 3, v71
	v_div_fmas_f32 v95, v97, v103, v101
	v_cmp_eq_u32_e32 vcc_lo, 3, v70
	v_cmp_eq_u32_e64 s3, 4, v70
	v_cmp_eq_u32_e64 s19, 4, v72
	;; [unrolled: 1-line block ×3, first 2 shown]
	v_div_fixup_f32 v95, v95, v74, 1.0
	v_lshlrev_b32_e32 v73, 6, v68
	v_cmp_eq_u32_e64 s6, 5, v70
	v_cmp_eq_u32_e64 s20, 5, v72
	;; [unrolled: 1-line block ×3, first 2 shown]
	v_mul_f32_e32 v102, v94, v95
	v_lshl_or_b32 v75, v69, 11, v73
	v_or_b32_e32 v69, 2, v70
	v_cmp_eq_u32_e64 s25, 6, v72
	v_cmp_eq_u32_e64 s27, 6, v71
	v_fma_mixlo_f16 v94, v102, v79, 0
	v_fma_mixlo_f16 v95, v102, v81, 0
	;; [unrolled: 1-line block ×8, first 2 shown]
	v_lshl_or_b32 v74, v66, 4, v75
	v_fma_mixhi_f16 v94, v102, v78, 0
	v_fma_mixhi_f16 v95, v102, v80, 0
	;; [unrolled: 1-line block ×8, first 2 shown]
	ds_store_b128 v74, v[94:97]
	ds_store_b128 v74, v[98:101] offset:1024
	s_waitcnt lgkmcnt(0)
	s_barrier
	buffer_gl0_inv
	ds_load_b128 v[78:81], v75
	ds_load_b128 v[82:85], v75 offset:16
	ds_load_b128 v[86:89], v75 offset:1024
	;; [unrolled: 1-line block ×3, first 2 shown]
	v_cmp_eq_u32_e64 s10, 1, v69
	v_cmp_eq_u32_e64 s15, 2, v69
	;; [unrolled: 1-line block ×11, first 2 shown]
	s_waitcnt lgkmcnt(3)
	v_lshrrev_b32_e32 v94, 16, v78
	s_waitcnt lgkmcnt(2)
	v_lshrrev_b32_e32 v98, 16, v82
	;; [unrolled: 2-line block ×4, first 2 shown]
	v_lshrrev_b32_e32 v95, 16, v79
	v_cndmask_b32_e64 v110, v78, v94, s4
	v_cndmask_b32_e64 v111, v82, v98, s4
	;; [unrolled: 1-line block ×8, first 2 shown]
	v_lshrrev_b32_e32 v99, 16, v83
	v_cndmask_b32_e64 v94, v86, v102, s4
	v_cndmask_b32_e64 v98, v90, v106, s4
	;; [unrolled: 1-line block ×15, first 2 shown]
	v_lshrrev_b32_e32 v103, 16, v87
	v_lshrrev_b32_e32 v107, 16, v91
	v_cndmask_b32_e64 v113, v115, v83, s15
	v_cndmask_b32_e64 v82, v94, v87, s5
	;; [unrolled: 1-line block ×7, first 2 shown]
	v_cndmask_b32_e32 v90, v102, v95, vcc_lo
	v_cndmask_b32_e32 v102, v106, v99, vcc_lo
	v_cndmask_b32_e64 v106, v110, v95, s13
	v_cndmask_b32_e64 v110, v111, v99, s13
	;; [unrolled: 1-line block ×4, first 2 shown]
	v_lshrrev_b32_e32 v96, 16, v80
	v_lshrrev_b32_e32 v100, 16, v84
	v_cndmask_b32_e64 v111, v112, v95, s17
	v_cndmask_b32_e64 v112, v113, v99, s17
	v_cndmask_b32_e32 v82, v82, v103, vcc_lo
	v_cndmask_b32_e32 v83, v83, v107, vcc_lo
	v_cndmask_b32_e64 v94, v94, v103, s13
	v_cndmask_b32_e64 v90, v90, v80, s3
	v_cndmask_b32_e64 v95, v102, v84, s3
	v_cndmask_b32_e64 v99, v106, v80, s19
	v_cndmask_b32_e64 v102, v110, v84, s19
	v_cndmask_b32_e64 v78, v78, v80, s22
	v_cndmask_b32_e64 v79, v79, v84, s22
	v_lshrrev_b32_e32 v104, 16, v88
	v_cndmask_b32_e64 v106, v111, v80, s21
	v_cndmask_b32_e64 v110, v112, v84, s21
	;; [unrolled: 1-line block ×11, first 2 shown]
	v_lshrrev_b32_e32 v97, 16, v81
	v_lshrrev_b32_e32 v101, 16, v85
	v_cndmask_b32_e64 v99, v106, v96, s23
	v_cndmask_b32_e64 v102, v110, v100, s23
	;; [unrolled: 1-line block ×7, first 2 shown]
	v_lshrrev_b32_e32 v105, 16, v89
	v_cndmask_b32_e64 v80, v80, v104, s6
	v_cndmask_b32_e64 v84, v84, v81, s7
	;; [unrolled: 1-line block ×16, first 2 shown]
	v_perm_b32 v81, v79, v78, 0x5040100
	v_perm_b32 v79, v95, v85, 0x5040100
	v_cndmask_b32_e64 v78, v119, v91, s15
	v_cndmask_b32_e64 v85, v117, v91, s12
	;; [unrolled: 1-line block ×3, first 2 shown]
	v_perm_b32 v80, v94, v90, 0x5040100
	v_cndmask_b32_e64 v90, v98, v103, s17
	v_cndmask_b32_e64 v86, v86, v103, s18
	;; [unrolled: 1-line block ×5, first 2 shown]
	v_lshrrev_b32_e32 v108, 16, v92
	v_cndmask_b32_e64 v90, v90, v88, s21
	v_cndmask_b32_e64 v86, v86, v88, s22
	;; [unrolled: 1-line block ×11, first 2 shown]
	v_lshrrev_b32_e32 v109, 16, v93
	v_cndmask_b32_e64 v82, v82, v93, s7
	v_cndmask_b32_e64 v88, v88, v89, s26
	;; [unrolled: 1-line block ×12, first 2 shown]
	v_perm_b32 v78, v84, v83, 0x5040100
	v_perm_b32 v85, v87, v86, 0x5040100
	;; [unrolled: 1-line block ×5, first 2 shown]
	s_mul_i32 s8, s33, 14
	s_mov_b32 s3, exec_lo
	ds_store_b128 v74, v[78:81]
	ds_store_b128 v74, v[82:85] offset:1024
	v_cmpx_gt_u32_e32 14, v0
	s_cbranch_execz .LBB843_14
; %bb.13:
	s_mul_i32 s4, s8, s34
	s_delay_alu instid0(SALU_CYCLE_1) | instskip(SKIP_1) | instid1(VALU_DEP_1)
	v_add3_u32 v68, s4, s31, v68
	s_load_b128 s[4:7], s[0:1], 0x58
	v_mad_u64_u32 v[78:79], null, v68, s35, s[14:15]
	s_delay_alu instid0(VALU_DEP_1) | instskip(NEXT) | instid1(VALU_DEP_1)
	v_ashrrev_i32_e32 v79, 31, v78
	v_lshlrev_b64 v[78:79], 2, v[78:79]
	s_waitcnt lgkmcnt(0)
	s_delay_alu instid0(VALU_DEP_1) | instskip(NEXT) | instid1(VALU_DEP_2)
	v_add_co_u32 v80, vcc_lo, s6, v78
	v_add_co_ci_u32_e32 v81, vcc_lo, s7, v79, vcc_lo
	v_add_co_u32 v78, vcc_lo, s4, v78
	v_add_co_ci_u32_e32 v79, vcc_lo, s5, v79, vcc_lo
	global_store_b32 v[80:81], v76, off
	global_store_b32 v[78:79], v77, off
.LBB843_14:
	s_or_b32 exec_lo, exec_lo, s3
	s_waitcnt lgkmcnt(0)
	s_waitcnt_vscnt null, 0x0
	s_barrier
	buffer_gl0_inv
	ds_load_b128 v[84:87], v73
	ds_load_b128 v[88:91], v73 offset:16
	ds_load_b128 v[96:99], v73 offset:2064
	;; [unrolled: 1-line block ×5, first 2 shown]
	v_cmp_eq_u32_e32 vcc_lo, 1, v70
	v_mov_b32_e32 v76, 0
	ds_load_b128 v[112:115], v73 offset:6160
	ds_load_b128 v[108:111], v73 offset:6144
	;; [unrolled: 1-line block ×4, first 2 shown]
	v_cmp_eq_u32_e64 s4, 1, v69
	v_cmp_eq_u32_e64 s3, 1, v72
	;; [unrolled: 1-line block ×3, first 2 shown]
	v_mov_b32_e32 v77, v76
	v_mov_b32_e32 v78, v76
	;; [unrolled: 1-line block ×7, first 2 shown]
	v_cmp_eq_u32_e64 s6, 3, v72
	v_cmp_eq_u32_e64 s7, 7, v72
	s_waitcnt lgkmcnt(8)
	s_delay_alu instid0(VALU_DEP_3)
	v_wmma_f32_16x16x16_f16 v[76:83], v[49:56], v[84:91], v[76:83]
	ds_load_b128 v[53:56], v73 offset:10256
	ds_load_b128 v[49:52], v73 offset:10240
	s_waitcnt lgkmcnt(8)
	v_wmma_f32_16x16x16_f16 v[76:83], v[41:48], v[92:99], v[76:83]
	ds_load_b128 v[45:48], v73 offset:12304
	ds_load_b128 v[41:44], v73 offset:12288
	s_waitcnt lgkmcnt(8)
	;; [unrolled: 4-line block ×3, first 2 shown]
	s_barrier
	buffer_gl0_inv
	v_wmma_f32_16x16x16_f16 v[76:83], v[1:8], v[108:115], v[76:83]
	s_delay_alu instid0(VALU_DEP_1) | instskip(NEXT) | instid1(VALU_DEP_1)
	v_wmma_f32_16x16x16_f16 v[76:83], v[9:16], v[116:123], v[76:83]
	v_wmma_f32_16x16x16_f16 v[76:83], v[17:24], v[49:56], v[76:83]
	s_delay_alu instid0(VALU_DEP_1) | instskip(NEXT) | instid1(VALU_DEP_1)
	v_wmma_f32_16x16x16_f16 v[76:83], v[25:32], v[41:48], v[76:83]
	v_wmma_f32_16x16x16_f16 v[76:83], v[57:64], v[33:40], v[76:83]
	s_delay_alu instid0(VALU_DEP_1) | instskip(NEXT) | instid1(VALU_DEP_2)
	v_cvt_f16_f32_e32 v1, v76
	v_cvt_f16_f32_e32 v2, v77
	s_delay_alu instid0(VALU_DEP_3) | instskip(NEXT) | instid1(VALU_DEP_4)
	v_cvt_f16_f32_e32 v3, v78
	v_cvt_f16_f32_e32 v4, v79
	;; [unrolled: 1-line block ×6, first 2 shown]
	v_pack_b32_f16 v1, v1, v2
	v_pack_b32_f16 v2, v3, v4
	;; [unrolled: 1-line block ×3, first 2 shown]
	s_delay_alu instid0(VALU_DEP_4)
	v_pack_b32_f16 v4, v7, v8
	ds_store_b128 v74, v[1:4]
	s_waitcnt lgkmcnt(0)
	s_barrier
	buffer_gl0_inv
	ds_load_b128 v[1:4], v75
	ds_load_b128 v[5:8], v75 offset:16
	s_waitcnt lgkmcnt(1)
	v_lshrrev_b32_e32 v9, 16, v1
	s_waitcnt lgkmcnt(0)
	v_lshrrev_b32_e32 v13, 16, v5
	v_lshrrev_b32_e32 v10, 16, v2
	;; [unrolled: 1-line block ×4, first 2 shown]
	v_cndmask_b32_e32 v17, v1, v9, vcc_lo
	v_cndmask_b32_e32 v18, v5, v13, vcc_lo
	v_cndmask_b32_e64 v21, v1, v9, s4
	v_cmp_eq_u32_e32 vcc_lo, 1, v71
	v_cndmask_b32_e64 v22, v5, v13, s4
	v_cmp_eq_u32_e64 s4, 2, v70
	v_cndmask_b32_e64 v19, v1, v9, s3
	v_cndmask_b32_e64 v20, v5, v13, s3
	v_cndmask_b32_e32 v1, v1, v9, vcc_lo
	v_cmp_eq_u32_e64 s3, 2, v71
	v_cndmask_b32_e32 v5, v5, v13, vcc_lo
	v_cndmask_b32_e64 v9, v17, v2, s4
	v_cmp_eq_u32_e32 vcc_lo, 3, v70
	v_cndmask_b32_e64 v13, v18, v6, s4
	v_cmp_eq_u32_e64 s4, 2, v69
	v_cndmask_b32_e64 v17, v19, v2, s5
	v_cndmask_b32_e64 v18, v20, v6, s5
	v_cmp_eq_u32_e64 s5, 3, v69
	v_cndmask_b32_e64 v1, v1, v2, s3
	v_cndmask_b32_e64 v19, v21, v2, s4
	;; [unrolled: 1-line block ×4, first 2 shown]
	v_cndmask_b32_e32 v5, v9, v10, vcc_lo
	v_cndmask_b32_e32 v6, v13, v14, vcc_lo
	v_cmp_eq_u32_e32 vcc_lo, 3, v71
	v_cndmask_b32_e64 v9, v17, v10, s6
	v_cndmask_b32_e64 v13, v18, v14, s6
	;; [unrolled: 1-line block ×3, first 2 shown]
	v_cmp_eq_u32_e64 s4, 4, v70
	v_cndmask_b32_e32 v1, v1, v10, vcc_lo
	v_cndmask_b32_e32 v2, v2, v14, vcc_lo
	v_cmp_eq_u32_e32 vcc_lo, 4, v72
	v_lshrrev_b32_e32 v15, 16, v7
	v_lshrrev_b32_e32 v16, 16, v8
	v_cndmask_b32_e64 v17, v19, v10, s5
	v_cmp_eq_u32_e64 s3, 4, v71
	v_cndmask_b32_e64 v5, v5, v3, s4
	v_cndmask_b32_e64 v6, v6, v7, s4
	v_cndmask_b32_e32 v9, v9, v3, vcc_lo
	v_cmp_eq_u32_e64 s4, 5, v72
	v_cndmask_b32_e32 v10, v13, v7, vcc_lo
	v_cmp_eq_u32_e32 vcc_lo, 4, v69
	v_cmp_eq_u32_e64 s5, 5, v70
	v_cndmask_b32_e64 v2, v2, v7, s3
	v_cndmask_b32_e64 v9, v9, v11, s4
	;; [unrolled: 1-line block ×3, first 2 shown]
	v_cndmask_b32_e32 v13, v17, v3, vcc_lo
	v_cmp_eq_u32_e64 s4, 5, v69
	v_cndmask_b32_e32 v14, v18, v7, vcc_lo
	v_cndmask_b32_e64 v1, v1, v3, s3
	v_cmp_eq_u32_e32 vcc_lo, 5, v71
	v_lshrrev_b32_e32 v12, 16, v4
	v_cndmask_b32_e64 v13, v13, v11, s4
	v_cndmask_b32_e64 v3, v14, v15, s4
	v_cmp_eq_u32_e64 s4, 6, v71
	v_cndmask_b32_e32 v1, v1, v11, vcc_lo
	v_cndmask_b32_e64 v5, v5, v11, s5
	v_cmp_eq_u32_e64 s6, 6, v70
	v_cndmask_b32_e64 v6, v6, v15, s5
	v_cmp_eq_u32_e64 s5, 6, v72
	v_cmp_eq_u32_e64 s3, 6, v69
	v_cndmask_b32_e64 v1, v1, v4, s4
	v_cndmask_b32_e32 v2, v2, v15, vcc_lo
	v_cmp_eq_u32_e32 vcc_lo, 7, v71
	v_cndmask_b32_e64 v5, v5, v4, s6
	v_cndmask_b32_e64 v9, v9, v4, s5
	;; [unrolled: 1-line block ×3, first 2 shown]
	v_cmp_eq_u32_e64 s6, 7, v70
	v_cndmask_b32_e32 v1, v1, v12, vcc_lo
	v_cndmask_b32_e64 v7, v13, v4, s3
	v_cndmask_b32_e64 v3, v3, v8, s3
	;; [unrolled: 1-line block ×3, first 2 shown]
	v_cmp_eq_u32_e64 s3, 7, v69
	v_cndmask_b32_e64 v4, v10, v8, s5
	v_cndmask_b32_e64 v5, v5, v12, s6
	;; [unrolled: 1-line block ×3, first 2 shown]
	v_cndmask_b32_e32 v2, v2, v16, vcc_lo
	v_cndmask_b32_e64 v7, v7, v12, s3
	v_cndmask_b32_e64 v3, v3, v16, s3
	;; [unrolled: 1-line block ×4, first 2 shown]
	v_cmp_gt_u32_e32 vcc_lo, 32, v0
	v_perm_b32 v4, v2, v1, 0x5040100
	v_perm_b32 v3, v3, v7, 0x5040100
	;; [unrolled: 1-line block ×4, first 2 shown]
	s_and_b32 s2, vcc_lo, s2
	ds_store_b128 v74, v[1:4]
	s_waitcnt lgkmcnt(0)
	s_barrier
	buffer_gl0_inv
	s_and_saveexec_b32 s3, s2
	s_cbranch_execz .LBB843_2
; %bb.15:
	s_load_b64 s[0:1], s[0:1], 0x68
	v_lshlrev_b32_e32 v0, 10, v0
	s_lshl_b32 s4, s35, 6
	v_or_b32_e32 v3, s31, v66
	s_mul_i32 s2, s4, s34
	v_lshlrev_b32_e32 v1, 4, v67
	v_lshlrev_b32_e32 v2, 6, v66
	v_and_b32_e32 v0, 0x3800, v0
	s_mul_i32 s2, s2, s8
	v_mul_lo_u32 v8, v3, s4
	s_ashr_i32 s3, s2, 31
	s_delay_alu instid0(SALU_CYCLE_1)
	s_lshl_b64 s[2:3], s[2:3], 1
	v_or3_b32 v16, v0, v1, v2
	ds_load_b128 v[0:3], v16
	ds_load_b128 v[4:7], v16 offset:128
	v_ashrrev_i32_e32 v9, 31, v8
	s_waitcnt lgkmcnt(0)
	s_add_u32 s2, s0, s2
	s_addc_u32 s3, s1, s3
	s_lshl_b32 s0, s14, 6
	s_delay_alu instid0(SALU_CYCLE_1) | instskip(SKIP_2) | instid1(SALU_CYCLE_1)
	s_ashr_i32 s1, s0, 31
	v_lshlrev_b64 v[9:10], 1, v[8:9]
	s_lshl_b64 s[0:1], s[0:1], 1
	s_add_u32 s0, s2, s0
	s_addc_u32 s1, s3, s1
	s_lshl_b32 s2, s35, 7
	v_add_co_u32 v30, s0, s0, v65
	v_add_nc_u32_e32 v11, s2, v8
	v_add_co_ci_u32_e64 v31, null, s1, 0, s0
	s_delay_alu instid0(VALU_DEP_3) | instskip(NEXT) | instid1(VALU_DEP_3)
	v_add_co_u32 v9, vcc_lo, v30, v9
	v_add_nc_u32_e32 v8, s2, v11
	s_delay_alu instid0(VALU_DEP_3) | instskip(SKIP_1) | instid1(VALU_DEP_3)
	v_add_co_ci_u32_e32 v10, vcc_lo, v31, v10, vcc_lo
	v_ashrrev_i32_e32 v12, 31, v11
	v_add_nc_u32_e32 v13, s2, v8
	global_store_b128 v[9:10], v[0:3], off
	v_ashrrev_i32_e32 v9, 31, v8
	v_lshlrev_b64 v[11:12], 1, v[11:12]
	v_ashrrev_i32_e32 v14, 31, v13
	v_add_nc_u32_e32 v10, s2, v13
	s_delay_alu instid0(VALU_DEP_4) | instskip(NEXT) | instid1(VALU_DEP_4)
	v_lshlrev_b64 v[2:3], 1, v[8:9]
	v_add_co_u32 v0, vcc_lo, v30, v11
	s_delay_alu instid0(VALU_DEP_4)
	v_lshlrev_b64 v[8:9], 1, v[13:14]
	v_add_co_ci_u32_e32 v1, vcc_lo, v31, v12, vcc_lo
	v_ashrrev_i32_e32 v11, 31, v10
	v_add_co_u32 v22, vcc_lo, v30, v2
	v_add_nc_u32_e32 v20, s2, v10
	v_add_co_ci_u32_e32 v23, vcc_lo, v31, v3, vcc_lo
	v_add_co_u32 v24, vcc_lo, v30, v8
	global_store_b128 v[0:1], v[4:7], off
	v_add_co_ci_u32_e32 v25, vcc_lo, v31, v9, vcc_lo
	ds_load_b128 v[0:3], v16 offset:256
	ds_load_b128 v[4:7], v16 offset:384
	v_lshlrev_b64 v[26:27], 1, v[10:11]
	ds_load_b128 v[8:11], v16 offset:512
	ds_load_b128 v[12:15], v16 offset:640
	;; [unrolled: 1-line block ×3, first 2 shown]
	v_add_nc_u32_e32 v28, s2, v20
	v_ashrrev_i32_e32 v21, 31, v20
	v_add_co_u32 v26, vcc_lo, v30, v26
	s_delay_alu instid0(VALU_DEP_3) | instskip(NEXT) | instid1(VALU_DEP_3)
	v_ashrrev_i32_e32 v29, 31, v28
	v_lshlrev_b64 v[20:21], 1, v[20:21]
	v_add_co_ci_u32_e32 v27, vcc_lo, v31, v27, vcc_lo
	s_delay_alu instid0(VALU_DEP_3) | instskip(NEXT) | instid1(VALU_DEP_3)
	v_lshlrev_b64 v[28:29], 1, v[28:29]
	v_add_co_u32 v20, vcc_lo, v30, v20
	s_delay_alu instid0(VALU_DEP_4) | instskip(NEXT) | instid1(VALU_DEP_3)
	v_add_co_ci_u32_e32 v21, vcc_lo, v31, v21, vcc_lo
	v_add_co_u32 v28, vcc_lo, v30, v28
	s_delay_alu instid0(VALU_DEP_4)
	v_add_co_ci_u32_e32 v29, vcc_lo, v31, v29, vcc_lo
	s_waitcnt lgkmcnt(4)
	global_store_b128 v[22:23], v[0:3], off
	s_waitcnt lgkmcnt(3)
	global_store_b128 v[24:25], v[4:7], off
	;; [unrolled: 2-line block ×5, first 2 shown]
	s_nop 0
	s_sendmsg sendmsg(MSG_DEALLOC_VGPRS)
	s_endpgm
	.section	.rodata,"a",@progbits
	.p2align	6, 0x0
	.amdhsa_kernel _Z39paged_attention_ll4mi_QKV_mfma16_kernelIDF16_hLN4vllm18Fp8KVCacheDataTypeE1EDF16_Li16ELi64ELi256ELb0ELi14EL8MFMAType1EEvPKT_PKT0_S8_ifPKiSA_SA_iPKfiiiPfSD_PS3_PT2_iSC_SC_
		.amdhsa_group_segment_fixed_size 17472
		.amdhsa_private_segment_fixed_size 0
		.amdhsa_kernarg_size 400
		.amdhsa_user_sgpr_count 13
		.amdhsa_user_sgpr_dispatch_ptr 0
		.amdhsa_user_sgpr_queue_ptr 0
		.amdhsa_user_sgpr_kernarg_segment_ptr 1
		.amdhsa_user_sgpr_dispatch_id 0
		.amdhsa_user_sgpr_private_segment_size 0
		.amdhsa_wavefront_size32 1
		.amdhsa_uses_dynamic_stack 0
		.amdhsa_enable_private_segment 0
		.amdhsa_system_sgpr_workgroup_id_x 1
		.amdhsa_system_sgpr_workgroup_id_y 1
		.amdhsa_system_sgpr_workgroup_id_z 1
		.amdhsa_system_sgpr_workgroup_info 0
		.amdhsa_system_vgpr_workitem_id 0
		.amdhsa_next_free_vgpr 146
		.amdhsa_next_free_sgpr 36
		.amdhsa_reserve_vcc 1
		.amdhsa_float_round_mode_32 0
		.amdhsa_float_round_mode_16_64 0
		.amdhsa_float_denorm_mode_32 3
		.amdhsa_float_denorm_mode_16_64 3
		.amdhsa_dx10_clamp 1
		.amdhsa_ieee_mode 1
		.amdhsa_fp16_overflow 0
		.amdhsa_workgroup_processor_mode 1
		.amdhsa_memory_ordered 1
		.amdhsa_forward_progress 0
		.amdhsa_shared_vgpr_count 0
		.amdhsa_exception_fp_ieee_invalid_op 0
		.amdhsa_exception_fp_denorm_src 0
		.amdhsa_exception_fp_ieee_div_zero 0
		.amdhsa_exception_fp_ieee_overflow 0
		.amdhsa_exception_fp_ieee_underflow 0
		.amdhsa_exception_fp_ieee_inexact 0
		.amdhsa_exception_int_div_zero 0
	.end_amdhsa_kernel
	.section	.text._Z39paged_attention_ll4mi_QKV_mfma16_kernelIDF16_hLN4vllm18Fp8KVCacheDataTypeE1EDF16_Li16ELi64ELi256ELb0ELi14EL8MFMAType1EEvPKT_PKT0_S8_ifPKiSA_SA_iPKfiiiPfSD_PS3_PT2_iSC_SC_,"axG",@progbits,_Z39paged_attention_ll4mi_QKV_mfma16_kernelIDF16_hLN4vllm18Fp8KVCacheDataTypeE1EDF16_Li16ELi64ELi256ELb0ELi14EL8MFMAType1EEvPKT_PKT0_S8_ifPKiSA_SA_iPKfiiiPfSD_PS3_PT2_iSC_SC_,comdat
.Lfunc_end843:
	.size	_Z39paged_attention_ll4mi_QKV_mfma16_kernelIDF16_hLN4vllm18Fp8KVCacheDataTypeE1EDF16_Li16ELi64ELi256ELb0ELi14EL8MFMAType1EEvPKT_PKT0_S8_ifPKiSA_SA_iPKfiiiPfSD_PS3_PT2_iSC_SC_, .Lfunc_end843-_Z39paged_attention_ll4mi_QKV_mfma16_kernelIDF16_hLN4vllm18Fp8KVCacheDataTypeE1EDF16_Li16ELi64ELi256ELb0ELi14EL8MFMAType1EEvPKT_PKT0_S8_ifPKiSA_SA_iPKfiiiPfSD_PS3_PT2_iSC_SC_
                                        ; -- End function
	.section	.AMDGPU.csdata,"",@progbits
; Kernel info:
; codeLenInByte = 6640
; NumSgprs: 38
; NumVgprs: 146
; ScratchSize: 0
; MemoryBound: 0
; FloatMode: 240
; IeeeMode: 1
; LDSByteSize: 17472 bytes/workgroup (compile time only)
; SGPRBlocks: 4
; VGPRBlocks: 18
; NumSGPRsForWavesPerEU: 38
; NumVGPRsForWavesPerEU: 146
; Occupancy: 9
; WaveLimiterHint : 1
; COMPUTE_PGM_RSRC2:SCRATCH_EN: 0
; COMPUTE_PGM_RSRC2:USER_SGPR: 13
; COMPUTE_PGM_RSRC2:TRAP_HANDLER: 0
; COMPUTE_PGM_RSRC2:TGID_X_EN: 1
; COMPUTE_PGM_RSRC2:TGID_Y_EN: 1
; COMPUTE_PGM_RSRC2:TGID_Z_EN: 1
; COMPUTE_PGM_RSRC2:TIDIG_COMP_CNT: 0
	.section	.text._Z39paged_attention_ll4mi_QKV_mfma16_kernelIDF16_hLN4vllm18Fp8KVCacheDataTypeE1EDF16_Li16ELi64ELi256ELb0ELi15EL8MFMAType1EEvPKT_PKT0_S8_ifPKiSA_SA_iPKfiiiPfSD_PS3_PT2_iSC_SC_,"axG",@progbits,_Z39paged_attention_ll4mi_QKV_mfma16_kernelIDF16_hLN4vllm18Fp8KVCacheDataTypeE1EDF16_Li16ELi64ELi256ELb0ELi15EL8MFMAType1EEvPKT_PKT0_S8_ifPKiSA_SA_iPKfiiiPfSD_PS3_PT2_iSC_SC_,comdat
	.protected	_Z39paged_attention_ll4mi_QKV_mfma16_kernelIDF16_hLN4vllm18Fp8KVCacheDataTypeE1EDF16_Li16ELi64ELi256ELb0ELi15EL8MFMAType1EEvPKT_PKT0_S8_ifPKiSA_SA_iPKfiiiPfSD_PS3_PT2_iSC_SC_ ; -- Begin function _Z39paged_attention_ll4mi_QKV_mfma16_kernelIDF16_hLN4vllm18Fp8KVCacheDataTypeE1EDF16_Li16ELi64ELi256ELb0ELi15EL8MFMAType1EEvPKT_PKT0_S8_ifPKiSA_SA_iPKfiiiPfSD_PS3_PT2_iSC_SC_
	.globl	_Z39paged_attention_ll4mi_QKV_mfma16_kernelIDF16_hLN4vllm18Fp8KVCacheDataTypeE1EDF16_Li16ELi64ELi256ELb0ELi15EL8MFMAType1EEvPKT_PKT0_S8_ifPKiSA_SA_iPKfiiiPfSD_PS3_PT2_iSC_SC_
	.p2align	8
	.type	_Z39paged_attention_ll4mi_QKV_mfma16_kernelIDF16_hLN4vllm18Fp8KVCacheDataTypeE1EDF16_Li16ELi64ELi256ELb0ELi15EL8MFMAType1EEvPKT_PKT0_S8_ifPKiSA_SA_iPKfiiiPfSD_PS3_PT2_iSC_SC_,@function
_Z39paged_attention_ll4mi_QKV_mfma16_kernelIDF16_hLN4vllm18Fp8KVCacheDataTypeE1EDF16_Li16ELi64ELi256ELb0ELi15EL8MFMAType1EEvPKT_PKT0_S8_ifPKiSA_SA_iPKfiiiPfSD_PS3_PT2_iSC_SC_: ; @_Z39paged_attention_ll4mi_QKV_mfma16_kernelIDF16_hLN4vllm18Fp8KVCacheDataTypeE1EDF16_Li16ELi64ELi256ELb0ELi15EL8MFMAType1EEvPKT_PKT0_S8_ifPKiSA_SA_iPKfiiiPfSD_PS3_PT2_iSC_SC_
; %bb.0:
	s_load_b64 s[2:3], s[0:1], 0x30
	s_mov_b32 s34, s13
	s_waitcnt lgkmcnt(0)
	s_cmp_lg_u64 s[2:3], 0
	s_cselect_b32 s6, -1, 0
	s_ashr_i32 s35, s13, 31
	s_cmp_eq_u64 s[2:3], 0
	s_cbranch_scc1 .LBB844_3
; %bb.1:
	s_lshl_b64 s[4:5], s[34:35], 2
	s_delay_alu instid0(SALU_CYCLE_1) | instskip(SKIP_4) | instid1(SALU_CYCLE_1)
	s_add_u32 s4, s2, s4
	s_addc_u32 s5, s3, s5
	s_load_b64 s[4:5], s[4:5], 0x0
	s_waitcnt lgkmcnt(0)
	s_sub_i32 s4, s5, s4
	s_cmp_eq_u32 s4, 1
	s_cselect_b32 s4, -1, 0
	s_delay_alu instid0(SALU_CYCLE_1)
	s_and_not1_b32 vcc_lo, exec_lo, s4
	s_cbranch_vccz .LBB844_4
.LBB844_2:
	s_nop 0
	s_sendmsg sendmsg(MSG_DEALLOC_VGPRS)
	s_endpgm
.LBB844_3:
.LBB844_4:
	s_load_b64 s[8:9], s[0:1], 0x28
	s_lshl_b64 s[4:5], s[34:35], 2
	s_waitcnt lgkmcnt(0)
	s_add_u32 s8, s8, s4
	s_addc_u32 s9, s9, s5
	s_lshl_b32 s16, s14, 8
	s_load_b32 s18, s[8:9], 0x0
	s_waitcnt lgkmcnt(0)
	s_cmp_ge_i32 s16, s18
	s_cbranch_scc1 .LBB844_2
; %bb.5:
	s_clause 0x1
	s_load_b128 s[8:11], s[0:1], 0x8
	s_load_b64 s[12:13], s[0:1], 0x20
	s_and_not1_b32 vcc_lo, exec_lo, s6
	s_cbranch_vccnz .LBB844_7
; %bb.6:
	s_add_u32 s2, s2, s4
	s_addc_u32 s3, s3, s5
	s_load_b32 s3, s[2:3], 0x0
	s_branch .LBB844_8
.LBB844_7:
	s_mov_b32 s3, s34
.LBB844_8:
	s_load_b128 s[4:7], s[0:1], 0x48
	v_lshrrev_b32_e32 v69, 5, v0
	v_bfe_u32 v66, v0, 4, 1
	v_and_b32_e32 v68, 15, v0
	v_and_b32_e32 v70, 31, v0
	;; [unrolled: 1-line block ×3, first 2 shown]
	s_mul_i32 s33, s15, 15
	v_lshl_or_b32 v1, v69, 1, v66
	v_lshlrev_b32_e32 v2, 3, v68
	v_cmp_gt_u32_e64 s2, 8, v68
	s_delay_alu instid0(VALU_DEP_3) | instskip(NEXT) | instid1(VALU_DEP_3)
	v_cmp_gt_u32_e32 vcc_lo, 15, v1
	v_lshlrev_b32_e32 v65, 1, v2
	s_delay_alu instid0(VALU_DEP_3)
	s_and_b32 s17, s2, vcc_lo
	s_waitcnt lgkmcnt(0)
	s_and_saveexec_b32 s7, s17
	s_cbranch_execz .LBB844_10
; %bb.9:
	s_load_b64 s[20:21], s[0:1], 0x0
	v_add_lshl_u32 v2, v1, s33, 6
	s_mul_hi_i32 s23, s3, s4
	s_mul_i32 s22, s3, s4
	v_lshlrev_b32_e32 v6, 10, v68
	s_lshl_b64 s[22:23], s[22:23], 1
	v_ashrrev_i32_e32 v3, 31, v2
	v_lshlrev_b32_e32 v1, 6, v1
	v_lshlrev_b32_e32 v7, 10, v67
	v_and_b32_e32 v6, 0x3800, v6
	s_delay_alu instid0(VALU_DEP_4) | instskip(NEXT) | instid1(VALU_DEP_2)
	v_lshlrev_b64 v[2:3], 1, v[2:3]
	v_or3_b32 v1, v6, v7, v1
	s_waitcnt lgkmcnt(0)
	s_add_u32 s3, s20, s22
	s_addc_u32 s4, s21, s23
	s_delay_alu instid0(VALU_DEP_2) | instskip(SKIP_1) | instid1(VALU_DEP_2)
	v_add_co_u32 v2, vcc_lo, s3, v2
	v_add_co_ci_u32_e32 v3, vcc_lo, s4, v3, vcc_lo
	v_add_co_u32 v2, vcc_lo, v2, v65
	s_delay_alu instid0(VALU_DEP_2)
	v_add_co_ci_u32_e32 v3, vcc_lo, 0, v3, vcc_lo
	global_load_b128 v[2:5], v[2:3], off
	s_waitcnt vmcnt(0)
	ds_store_b128 v1, v[2:5]
.LBB844_10:
	s_or_b32 exec_lo, exec_lo, s7
	v_and_b32_e32 v1, 0xef, v0
	s_add_i32 s3, s18, 15
	s_clause 0x1
	s_load_b32 s4, s[0:1], 0x38
	s_load_b32 s35, s[0:1], 0x98
	s_ashr_i32 s7, s3, 31
	v_add_nc_u32_e32 v1, s16, v1
	s_lshr_b32 s7, s7, 28
	s_load_b32 s19, s[0:1], 0x1c
	s_add_i32 s3, s3, s7
	s_waitcnt lgkmcnt(0)
	v_ashrrev_i32_e32 v2, 31, v1
	v_or_b32_e32 v3, 16, v1
	s_ashr_i32 s3, s3, 4
	v_cmp_gt_i32_e32 vcc_lo, s18, v1
	s_add_i32 s3, s3, -1
	v_lshrrev_b32_e32 v2, 28, v2
	s_barrier
	buffer_gl0_inv
	s_mul_i32 s15, s15, s6
	v_mbcnt_lo_u32_b32 v127, -1, 0
	v_add_nc_u32_e32 v4, v1, v2
	s_mul_i32 s20, s34, s4
	s_delay_alu instid0(SALU_CYCLE_1) | instskip(NEXT) | instid1(VALU_DEP_1)
	s_ashr_i32 s21, s20, 31
	v_ashrrev_i32_e32 v4, 4, v4
	v_add_nc_u32_e32 v2, v3, v2
	s_lshl_b64 s[20:21], s[20:21], 2
	v_xor_b32_e32 v128, 16, v127
	s_add_u32 s17, s12, s20
	v_cndmask_b32_e32 v1, s3, v4, vcc_lo
	v_ashrrev_i32_e32 v2, 4, v2
	v_cmp_gt_i32_e32 vcc_lo, s18, v3
	s_addc_u32 s13, s13, s21
	s_ashr_i32 s20, s15, 31
	s_add_u32 s4, s8, s15
	s_addc_u32 s12, s9, s20
	v_cndmask_b32_e32 v3, s3, v2, vcc_lo
	v_ashrrev_i32_e32 v2, 31, v1
	s_lshl_b32 s6, s14, 4
	s_delay_alu instid0(SALU_CYCLE_1) | instskip(NEXT) | instid1(VALU_DEP_2)
	s_ashr_i32 s7, s6, 31
	v_ashrrev_i32_e32 v4, 31, v3
	s_delay_alu instid0(VALU_DEP_2) | instskip(SKIP_1) | instid1(SALU_CYCLE_1)
	v_lshlrev_b64 v[1:2], 2, v[1:2]
	s_lshl_b64 s[6:7], s[6:7], 2
	s_add_u32 s6, s17, s6
	s_delay_alu instid0(VALU_DEP_2) | instskip(SKIP_1) | instid1(VALU_DEP_2)
	v_lshlrev_b64 v[3:4], 2, v[3:4]
	s_addc_u32 s7, s13, s7
	v_add_co_u32 v1, vcc_lo, s17, v1
	v_add_co_ci_u32_e32 v2, vcc_lo, s13, v2, vcc_lo
	s_delay_alu instid0(VALU_DEP_3) | instskip(NEXT) | instid1(VALU_DEP_4)
	v_add_co_u32 v3, vcc_lo, s17, v3
	v_add_co_ci_u32_e32 v4, vcc_lo, s13, v4, vcc_lo
	s_clause 0x1
	global_load_b32 v5, v[1:2], off
	global_load_b32 v7, v[3:4], off
	s_or_b32 s8, s16, 32
	v_lshlrev_b32_e32 v1, 4, v0
	s_ashr_i32 s9, s8, 4
	s_cmp_lt_i32 s8, s18
	v_cmp_ne_u32_e32 vcc_lo, 15, v68
	s_cselect_b32 s8, s9, s3
	v_and_b32_e32 v1, 0xf0, v1
	s_ashr_i32 s9, s8, 31
	s_delay_alu instid0(SALU_CYCLE_1)
	s_lshl_b64 s[8:9], s[8:9], 2
	v_cndmask_b32_e32 v103, 0, v68, vcc_lo
	s_add_u32 s8, s17, s8
	s_addc_u32 s9, s13, s9
	s_or_b32 s21, s16, 64
	v_add_co_u32 v1, s4, s4, v1
	s_ashr_i32 s22, s21, 4
	s_cmp_lt_i32 s21, s18
	v_add_co_ci_u32_e64 v2, null, s12, 0, s4
	s_cselect_b32 s22, s22, s3
	v_cmp_gt_i32_e32 vcc_lo, 32, v128
	s_ashr_i32 s23, s22, 31
	v_lshlrev_b32_e32 v115, 6, v103
	s_lshl_b64 s[22:23], s[22:23], 2
	v_cndmask_b32_e32 v136, v127, v128, vcc_lo
	s_add_u32 s22, s17, s22
	s_addc_u32 s23, s13, s23
	s_or_b32 s21, s16, 0x60
	s_delay_alu instid0(SALU_CYCLE_1) | instskip(SKIP_2) | instid1(SALU_CYCLE_1)
	s_ashr_i32 s24, s21, 4
	s_cmp_lt_i32 s21, s18
	s_cselect_b32 s24, s24, s3
	s_ashr_i32 s25, s24, 31
	s_delay_alu instid0(SALU_CYCLE_1) | instskip(NEXT) | instid1(SALU_CYCLE_1)
	s_lshl_b64 s[24:25], s[24:25], 2
	s_add_u32 s24, s17, s24
	s_addc_u32 s25, s13, s25
	s_or_b32 s21, s16, 0x80
	s_delay_alu instid0(SALU_CYCLE_1) | instskip(SKIP_2) | instid1(SALU_CYCLE_1)
	s_ashr_i32 s26, s21, 4
	s_cmp_lt_i32 s21, s18
	s_cselect_b32 s26, s26, s3
	s_ashr_i32 s27, s26, 31
	s_delay_alu instid0(SALU_CYCLE_1) | instskip(NEXT) | instid1(SALU_CYCLE_1)
	s_lshl_b64 s[26:27], s[26:27], 2
	s_add_u32 s26, s17, s26
	s_addc_u32 s27, s13, s27
	s_or_b32 s21, s16, 0xa0
	s_delay_alu instid0(SALU_CYCLE_1) | instskip(SKIP_2) | instid1(SALU_CYCLE_1)
	s_ashr_i32 s28, s21, 4
	s_cmp_lt_i32 s21, s18
	s_cselect_b32 s28, s28, s3
	s_ashr_i32 s29, s28, 31
	s_delay_alu instid0(SALU_CYCLE_1) | instskip(NEXT) | instid1(SALU_CYCLE_1)
	s_lshl_b64 s[28:29], s[28:29], 2
	s_add_u32 s28, s17, s28
	s_addc_u32 s29, s13, s29
	s_clause 0x5
	s_load_b32 s12, s[6:7], 0x0
	s_load_b32 s4, s[8:9], 0x0
	;; [unrolled: 1-line block ×6, first 2 shown]
	s_or_b32 s21, s16, 0xc0
	s_delay_alu instid0(SALU_CYCLE_1) | instskip(SKIP_2) | instid1(SALU_CYCLE_1)
	s_ashr_i32 s22, s21, 4
	s_cmp_lt_i32 s21, s18
	s_cselect_b32 s22, s22, s3
	s_ashr_i32 s23, s22, 31
	s_delay_alu instid0(SALU_CYCLE_1) | instskip(NEXT) | instid1(SALU_CYCLE_1)
	s_lshl_b64 s[22:23], s[22:23], 2
	s_add_u32 s22, s17, s22
	s_addc_u32 s23, s13, s23
	s_or_b32 s21, s16, 0xe0
	s_delay_alu instid0(SALU_CYCLE_1) | instskip(SKIP_2) | instid1(SALU_CYCLE_1)
	s_ashr_i32 s24, s21, 4
	s_cmp_lt_i32 s21, s18
	s_cselect_b32 s24, s24, s3
	s_ashr_i32 s25, s24, 31
	s_delay_alu instid0(SALU_CYCLE_1)
	s_lshl_b64 s[24:25], s[24:25], 2
	s_waitcnt vmcnt(1)
	v_mad_i64_i32 v[3:4], null, v5, s5, v[1:2]
	s_waitcnt vmcnt(0)
	v_mad_i64_i32 v[5:6], null, v7, s5, v[1:2]
	v_lshlrev_b32_e32 v1, 4, v68
	s_clause 0x7
	global_load_b128 v[71:74], v[3:4], off
	global_load_b128 v[75:78], v[3:4], off offset:256
	global_load_b128 v[79:82], v[5:6], off
	global_load_b128 v[83:86], v[5:6], off offset:256
	global_load_b128 v[87:90], v[3:4], off offset:512
	;; [unrolled: 1-line block ×5, first 2 shown]
	v_lshl_or_b32 v1, v69, 8, v1
	s_load_b32 s3, s[22:23], 0x0
	s_add_u32 s22, s17, s24
	s_addc_u32 s23, s13, s25
	s_add_u32 s10, s10, s15
	s_addc_u32 s11, s11, s20
	v_add_co_u32 v1, s10, s10, v1
	s_delay_alu instid0(VALU_DEP_1) | instskip(SKIP_2) | instid1(VALU_DEP_1)
	v_add_co_ci_u32_e64 v2, null, s11, 0, s10
	s_load_b32 s10, s[22:23], 0x0
	s_waitcnt lgkmcnt(0)
	v_mad_i64_i32 v[3:4], null, s12, s5, v[1:2]
	v_mad_i64_i32 v[9:10], null, s7, s5, v[1:2]
	;; [unrolled: 1-line block ×7, first 2 shown]
	s_clause 0x5
	global_load_b128 v[49:52], v[3:4], off
	global_load_b128 v[53:56], v[3:4], off offset:16
	global_load_b128 v[41:44], v[5:6], off
	global_load_b128 v[45:48], v[5:6], off offset:16
	;; [unrolled: 2-line block ×3, first 2 shown]
	s_mov_b32 s4, 0
	v_mad_i64_i32 v[61:62], null, s10, s5, v[1:2]
	s_clause 0x9
	global_load_b128 v[1:4], v[9:10], off
	global_load_b128 v[5:8], v[9:10], off offset:16
	global_load_b128 v[9:12], v[13:14], off
	global_load_b128 v[13:16], v[13:14], off offset:16
	;; [unrolled: 2-line block ×5, first 2 shown]
	s_mov_b32 s5, s4
	s_mov_b32 s6, s4
	;; [unrolled: 1-line block ×7, first 2 shown]
	v_and_b32_e32 v104, 0xe0, v0
	v_dual_mov_b32 v126, s11 :: v_dual_mov_b32 v125, s10
	v_dual_mov_b32 v124, s9 :: v_dual_mov_b32 v123, s8
	s_delay_alu instid0(VALU_DEP_3)
	v_add_nc_u32_e32 v111, s16, v104
	ds_load_b128 v[103:106], v115
	ds_load_b128 v[107:110], v115 offset:1024
	v_dual_mov_b32 v122, s7 :: v_dual_mov_b32 v121, s6
	v_mov_b32_e32 v120, s5
	v_or_b32_e32 v135, v111, v66
	ds_load_b128 v[111:114], v115 offset:2048
	ds_load_b128 v[115:118], v115 offset:3072
	v_mov_b32_e32 v119, s4
	s_waitcnt vmcnt(0) lgkmcnt(0)
	s_barrier
	v_or_b32_e32 v137, 2, v135
	v_or_b32_e32 v138, 4, v135
	v_or_b32_e32 v139, 6, v135
	v_cmp_gt_i32_e32 vcc_lo, s18, v135
	v_or_b32_e32 v140, 8, v135
	v_cmp_gt_i32_e64 s3, s18, v137
	v_or_b32_e32 v141, 10, v135
	v_cmp_gt_i32_e64 s4, s18, v138
	v_cmp_gt_i32_e64 s5, s18, v139
	v_or_b32_e32 v142, 12, v135
	v_or_b32_e32 v143, 14, v135
	v_cmp_gt_i32_e64 s6, s18, v140
	v_cmp_gt_i32_e64 s7, s18, v141
	v_or_b32_e32 v144, 16, v135
	v_or_b32_e32 v145, 18, v135
	v_cmp_gt_i32_e64 s8, s18, v142
	v_cmp_gt_i32_e64 s9, s18, v143
	buffer_gl0_inv
	v_cmp_gt_i32_e64 s10, s18, v144
	v_cmp_gt_i32_e64 s11, s18, v145
	v_wmma_f32_16x16x16_f16 v[127:134], v[71:78], v[103:110], v[119:126]
	v_wmma_f32_16x16x16_f16 v[119:126], v[79:86], v[103:110], v[119:126]
	v_or_b32_e32 v71, 20, v135
	v_or_b32_e32 v72, 22, v135
	s_delay_alu instid0(VALU_DEP_4)
	v_wmma_f32_16x16x16_f16 v[127:134], v[87:94], v[111:118], v[127:134]
	v_or_b32_e32 v73, 24, v135
	v_wmma_f32_16x16x16_f16 v[119:126], v[95:102], v[111:118], v[119:126]
	v_or_b32_e32 v74, 26, v135
	v_cmp_gt_i32_e64 s12, s18, v71
	v_dual_mul_f32 v83, s19, v128 :: v_dual_mul_f32 v84, s19, v127
	s_delay_alu instid0(VALU_DEP_4) | instskip(SKIP_1) | instid1(VALU_DEP_3)
	v_dual_mul_f32 v81, s19, v130 :: v_dual_mul_f32 v92, s19, v119
	v_mul_f32_e32 v82, s19, v129
	v_cndmask_b32_e64 v83, 0xff7fffff, v83, s3
	s_delay_alu instid0(VALU_DEP_4)
	v_cndmask_b32_e32 v84, 0xff7fffff, v84, vcc_lo
	v_dual_mul_f32 v79, s19, v132 :: v_dual_mul_f32 v90, s19, v121
	v_mul_f32_e32 v80, s19, v131
	v_cndmask_b32_e64 v82, 0xff7fffff, v82, s4
	v_cndmask_b32_e64 v81, 0xff7fffff, v81, s5
	v_max3_f32 v83, v84, 0xff7fffff, v83
	v_dual_mul_f32 v77, s19, v134 :: v_dual_mul_f32 v88, s19, v123
	v_mul_f32_e32 v78, s19, v133
	v_cndmask_b32_e64 v80, 0xff7fffff, v80, s6
	v_cndmask_b32_e64 v79, 0xff7fffff, v79, s7
	v_max3_f32 v81, v83, v82, v81
	v_mul_f32_e32 v91, s19, v120
	v_cndmask_b32_e64 v78, 0xff7fffff, v78, s8
	v_cndmask_b32_e64 v77, 0xff7fffff, v77, s9
	v_mul_f32_e32 v89, s19, v122
	v_max3_f32 v79, v81, v80, v79
	v_cndmask_b32_e64 v80, 0xff7fffff, v92, s10
	v_cndmask_b32_e64 v81, 0xff7fffff, v91, s11
	v_cmp_gt_i32_e64 s13, s18, v72
	v_or_b32_e32 v75, 28, v135
	v_max3_f32 v77, v79, v78, v77
	v_or_b32_e32 v76, 30, v135
	v_mul_f32_e32 v87, s19, v124
	v_cndmask_b32_e64 v71, 0xff7fffff, v90, s12
	v_cndmask_b32_e64 v72, 0xff7fffff, v89, s13
	v_max3_f32 v77, v77, v80, v81
	v_cmp_gt_i32_e64 s15, s18, v73
	v_cmp_gt_i32_e64 s16, s18, v74
	v_dual_mul_f32 v85, s19, v126 :: v_dual_mul_f32 v86, s19, v125
	s_delay_alu instid0(VALU_DEP_4) | instskip(NEXT) | instid1(VALU_DEP_4)
	v_max3_f32 v71, v77, v71, v72
	v_cndmask_b32_e64 v73, 0xff7fffff, v88, s15
	s_delay_alu instid0(VALU_DEP_4) | instskip(SKIP_2) | instid1(VALU_DEP_3)
	v_cndmask_b32_e64 v74, 0xff7fffff, v87, s16
	v_cmp_gt_i32_e64 s17, s18, v75
	v_cmp_gt_i32_e64 s18, s18, v76
	v_max3_f32 v71, v71, v73, v74
	s_delay_alu instid0(VALU_DEP_3) | instskip(NEXT) | instid1(VALU_DEP_3)
	v_cndmask_b32_e64 v72, 0xff7fffff, v86, s17
	v_cndmask_b32_e64 v75, 0xff7fffff, v85, s18
	v_lshlrev_b32_e32 v73, 2, v136
	s_delay_alu instid0(VALU_DEP_2) | instskip(SKIP_3) | instid1(VALU_DEP_1)
	v_max3_f32 v71, v71, v72, v75
	ds_bpermute_b32 v72, v73, v71
	s_waitcnt lgkmcnt(0)
	v_max_f32_e32 v72, v72, v72
	v_max_f32_e32 v71, v71, v72
	s_delay_alu instid0(VALU_DEP_1)
	v_fma_f32 v72, s19, v127, -v71
	v_fma_f32 v74, s19, v128, -v71
	;; [unrolled: 1-line block ×5, first 2 shown]
	v_mul_f32_e32 v72, 0x3fb8aa3b, v72
	v_mul_f32_e32 v74, 0x3fb8aa3b, v74
	v_fma_f32 v80, s19, v133, -v71
	s_delay_alu instid0(VALU_DEP_4) | instskip(NEXT) | instid1(VALU_DEP_4)
	v_dual_mul_f32 v76, 0x3fb8aa3b, v76 :: v_dual_mul_f32 v77, 0x3fb8aa3b, v77
	v_exp_f32_e32 v72, v72
	s_delay_alu instid0(VALU_DEP_3) | instskip(NEXT) | instid1(VALU_DEP_2)
	v_exp_f32_e32 v74, v74
	v_mul_f32_e32 v82, 0x3fb8aa3b, v80
	s_delay_alu instid0(VALU_DEP_2) | instskip(SKIP_1) | instid1(VALU_DEP_1)
	v_exp_f32_e32 v76, v76
	v_exp_f32_e32 v77, v77
	;; [unrolled: 1-line block ×3, first 2 shown]
	v_cndmask_b32_e32 v79, 0, v72, vcc_lo
	v_fma_f32 v72, s19, v132, -v71
	v_mul_f32_e32 v75, 0x3fb8aa3b, v75
	v_cndmask_b32_e64 v78, 0, v74, s3
	s_delay_alu instid0(TRANS32_DEP_3)
	v_cndmask_b32_e64 v80, 0, v76, s5
	v_add_f32_e32 v74, 0, v79
	v_mul_f32_e32 v72, 0x3fb8aa3b, v72
	v_exp_f32_e32 v75, v75
	v_cndmask_b32_e64 v83, 0, v77, s6
	v_cndmask_b32_e64 v85, 0, v84, s8
	v_add_f32_e32 v74, v74, v78
	v_exp_f32_e32 v72, v72
	v_cmp_gt_u32_e64 s3, 16, v70
	s_waitcnt_depctr 0xfff
	v_cndmask_b32_e64 v81, 0, v75, s4
	v_cndmask_b32_e64 v82, 0, v72, s7
	s_delay_alu instid0(VALU_DEP_2) | instskip(NEXT) | instid1(VALU_DEP_1)
	v_add_f32_e32 v74, v74, v81
	v_add_f32_e32 v74, v74, v80
	s_delay_alu instid0(VALU_DEP_1) | instskip(SKIP_4) | instid1(VALU_DEP_4)
	v_add_f32_e32 v72, v74, v83
	v_fma_f32 v75, s19, v134, -v71
	v_fma_f32 v76, s19, v119, -v71
	;; [unrolled: 1-line block ×4, first 2 shown]
	v_dual_add_f32 v72, v72, v82 :: v_dual_mul_f32 v75, 0x3fb8aa3b, v75
	s_delay_alu instid0(VALU_DEP_3) | instskip(SKIP_1) | instid1(VALU_DEP_3)
	v_dual_mul_f32 v76, 0x3fb8aa3b, v76 :: v_dual_mul_f32 v77, 0x3fb8aa3b, v77
	v_fma_f32 v86, s19, v122, -v71
	v_add_f32_e32 v72, v72, v85
	s_delay_alu instid0(VALU_DEP_4) | instskip(NEXT) | instid1(VALU_DEP_3)
	v_exp_f32_e32 v75, v75
	v_exp_f32_e32 v76, v76
	;; [unrolled: 1-line block ×3, first 2 shown]
	v_mul_f32_e32 v86, 0x3fb8aa3b, v86
	s_delay_alu instid0(VALU_DEP_1) | instskip(SKIP_3) | instid1(TRANS32_DEP_3)
	v_exp_f32_e32 v88, v86
	v_cndmask_b32_e64 v84, 0, v75, s9
	v_fma_f32 v75, s19, v123, -v71
	v_mul_f32_e32 v74, 0x3fb8aa3b, v74
	v_cndmask_b32_e64 v87, 0, v76, s10
	v_fma_f32 v76, s19, v124, -v71
	s_delay_alu instid0(VALU_DEP_4) | instskip(NEXT) | instid1(VALU_DEP_4)
	v_dual_add_f32 v72, v72, v84 :: v_dual_mul_f32 v75, 0x3fb8aa3b, v75
	v_exp_f32_e32 v74, v74
	v_cndmask_b32_e64 v86, 0, v77, s11
	v_fma_f32 v77, s19, v125, -v71
	s_delay_alu instid0(VALU_DEP_3) | instskip(SKIP_3) | instid1(VALU_DEP_3)
	v_add_f32_e32 v72, v72, v87
	v_mul_f32_e32 v76, 0x3fb8aa3b, v76
	v_exp_f32_e32 v75, v75
	v_cndmask_b32_e64 v88, 0, v88, s13
	v_add_f32_e32 v72, v72, v86
	s_delay_alu instid0(VALU_DEP_3) | instskip(NEXT) | instid1(TRANS32_DEP_3)
	v_exp_f32_e32 v76, v76
	v_cndmask_b32_e64 v89, 0, v74, s12
	v_mul_f32_e32 v74, 0x3fb8aa3b, v77
	v_fma_f32 v77, s19, v126, -v71
	s_delay_alu instid0(VALU_DEP_3) | instskip(NEXT) | instid1(VALU_DEP_3)
	v_add_f32_e32 v72, v72, v89
	v_exp_f32_e32 v74, v74
	s_delay_alu instid0(TRANS32_DEP_3) | instskip(NEXT) | instid1(VALU_DEP_3)
	v_cndmask_b32_e64 v91, 0, v75, s15
	v_mul_f32_e32 v75, 0x3fb8aa3b, v77
	s_delay_alu instid0(TRANS32_DEP_2) | instskip(SKIP_1) | instid1(VALU_DEP_3)
	v_cndmask_b32_e64 v90, 0, v76, s16
	v_add_f32_e32 v72, v72, v88
	v_exp_f32_e32 v75, v75
	s_delay_alu instid0(VALU_DEP_1) | instskip(NEXT) | instid1(TRANS32_DEP_2)
	v_add_f32_e32 v72, v72, v91
	v_cndmask_b32_e64 v93, 0, v74, s17
	s_delay_alu instid0(VALU_DEP_2) | instskip(SKIP_3) | instid1(VALU_DEP_1)
	v_add_f32_e32 v72, v72, v90
	s_waitcnt_depctr 0xfff
	v_cndmask_b32_e64 v92, 0, v75, s18
	v_add_f32_e32 v72, v72, v93
	v_add_f32_e32 v72, v72, v92
	ds_bpermute_b32 v73, v73, v72
	s_and_saveexec_b32 s4, s3
	s_cbranch_execz .LBB844_12
; %bb.11:
	v_mul_u32_u24_e32 v70, 0x44, v69
	s_waitcnt lgkmcnt(0)
	v_add_f32_e32 v72, v72, v73
	s_delay_alu instid0(VALU_DEP_2) | instskip(NEXT) | instid1(VALU_DEP_1)
	v_lshl_add_u32 v70, v68, 2, v70
	v_add_nc_u32_e32 v70, 0x4000, v70
	ds_store_2addr_b32 v70, v71, v72 offset1:136
.LBB844_12:
	s_or_b32 exec_lo, exec_lo, s4
	v_lshlrev_b32_e32 v70, 2, v68
	s_load_b32 s36, s[0:1], 0x94
	s_waitcnt lgkmcnt(0)
	s_barrier
	buffer_gl0_inv
	v_add_nc_u32_e32 v98, 0x4000, v70
	v_cmp_eq_u32_e32 vcc_lo, 1, v69
	v_cmp_eq_u32_e64 s4, 2, v69
	v_cmp_eq_u32_e64 s5, 3, v69
	;; [unrolled: 1-line block ×3, first 2 shown]
	ds_load_2addr_b32 v[70:71], v98 offset1:17
	ds_load_2addr_b32 v[72:73], v98 offset0:34 offset1:51
	ds_load_2addr_b32 v[74:75], v98 offset0:68 offset1:85
	;; [unrolled: 1-line block ×3, first 2 shown]
	v_cmp_eq_u32_e64 s7, 5, v69
	v_cmp_eq_u32_e64 s8, 7, v69
	s_waitcnt lgkmcnt(3)
	v_max3_f32 v76, v70, 0xff7fffff, v71
	s_waitcnt lgkmcnt(2)
	s_delay_alu instid0(VALU_DEP_1) | instskip(SKIP_1) | instid1(VALU_DEP_1)
	v_max3_f32 v76, v76, v72, v73
	s_waitcnt lgkmcnt(1)
	v_max3_f32 v76, v76, v74, v75
	s_waitcnt lgkmcnt(0)
	s_delay_alu instid0(VALU_DEP_1) | instskip(NEXT) | instid1(VALU_DEP_1)
	v_max3_f32 v76, v76, v94, v95
	v_sub_f32_e32 v77, v71, v76
	ds_load_2addr_b32 v[96:97], v98 offset0:136 offset1:153
	v_sub_f32_e32 v74, v74, v76
	v_sub_f32_e32 v70, v70, v76
	;; [unrolled: 1-line block ×3, first 2 shown]
	v_dual_sub_f32 v72, v72, v76 :: v_dual_mul_f32 v77, 0x3fb8aa3b, v77
	s_delay_alu instid0(VALU_DEP_4) | instskip(NEXT) | instid1(VALU_DEP_4)
	v_mul_f32_e32 v103, 0x3fb8aa3b, v74
	v_mul_f32_e32 v99, 0x3fb8aa3b, v70
	ds_load_2addr_b32 v[70:71], v98 offset0:170 offset1:187
	v_dual_mul_f32 v101, 0x3fb8aa3b, v72 :: v_dual_mul_f32 v94, 0x3fb8aa3b, v94
	v_exp_f32_e32 v102, v77
	v_exp_f32_e32 v99, v99
	s_delay_alu instid0(VALU_DEP_1) | instskip(NEXT) | instid1(VALU_DEP_1)
	v_exp_f32_e32 v101, v101
	v_exp_f32_e32 v94, v94
	s_waitcnt lgkmcnt(1)
	s_delay_alu instid0(TRANS32_DEP_3)
	v_fma_f32 v77, v99, v96, 0
	v_sub_f32_e32 v100, v73, v76
	ds_load_2addr_b32 v[72:73], v98 offset0:204 offset1:221
	v_fmac_f32_e32 v77, v102, v97
	v_exp_f32_e32 v97, v103
	s_waitcnt lgkmcnt(1)
	s_delay_alu instid0(VALU_DEP_1)
	v_dual_fmac_f32 v77, v101, v70 :: v_dual_sub_f32 v96, v75, v76
	ds_load_2addr_b32 v[74:75], v98 offset0:238 offset1:255
	v_sub_f32_e32 v70, v95, v76
	s_waitcnt lgkmcnt(0)
	s_barrier
	v_mul_f32_e32 v96, 0x3fb8aa3b, v96
	buffer_gl0_inv
	v_exp_f32_e32 v95, v96
	v_mul_f32_e32 v100, 0x3fb8aa3b, v100
	s_delay_alu instid0(VALU_DEP_1) | instskip(SKIP_3) | instid1(VALU_DEP_2)
	v_exp_f32_e32 v100, v100
	s_waitcnt_depctr 0xfff
	v_dual_fmac_f32 v77, v100, v71 :: v_dual_mul_f32 v70, 0x3fb8aa3b, v70
	v_cndmask_b32_e32 v71, v99, v102, vcc_lo
	v_fmac_f32_e32 v77, v97, v72
	s_delay_alu instid0(VALU_DEP_3) | instskip(NEXT) | instid1(VALU_DEP_1)
	v_exp_f32_e32 v96, v70
	v_fmac_f32_e32 v77, v95, v73
	s_delay_alu instid0(VALU_DEP_1) | instskip(SKIP_2) | instid1(VALU_DEP_1)
	v_fmac_f32_e32 v77, v94, v74
	s_waitcnt_depctr 0xfff
	v_fmac_f32_e32 v77, v96, v75
	v_add_f32_e32 v74, 0x358637bd, v77
	s_delay_alu instid0(VALU_DEP_1) | instskip(SKIP_1) | instid1(VALU_DEP_2)
	v_div_scale_f32 v98, null, v74, v74, 1.0
	v_div_scale_f32 v99, vcc_lo, 1.0, v74, 1.0
	v_rcp_f32_e32 v103, v98
	s_waitcnt_depctr 0xfff
	v_fma_f32 v70, -v98, v103, 1.0
	s_delay_alu instid0(VALU_DEP_1) | instskip(SKIP_2) | instid1(VALU_DEP_2)
	v_fmac_f32_e32 v103, v70, v103
	v_cndmask_b32_e64 v70, v71, v101, s4
	v_cmp_eq_u32_e64 s4, 6, v69
	v_cndmask_b32_e64 v71, v70, v100, s5
	s_delay_alu instid0(VALU_DEP_4) | instskip(NEXT) | instid1(VALU_DEP_2)
	v_dual_mul_f32 v101, v99, v103 :: v_dual_lshlrev_b32 v70, 2, v66
	v_cndmask_b32_e64 v71, v71, v97, s6
	s_delay_alu instid0(VALU_DEP_2) | instskip(NEXT) | instid1(VALU_DEP_3)
	v_or_b32_e32 v72, 1, v70
	v_fma_f32 v100, -v98, v101, v99
	v_cmp_eq_u32_e64 s5, 1, v70
	v_cmp_eq_u32_e64 s6, 2, v70
	v_cndmask_b32_e64 v95, v71, v95, s7
	v_or_b32_e32 v71, 3, v70
	v_fmac_f32_e32 v101, v100, v103
	v_cmp_eq_u32_e64 s10, 1, v72
	v_cmp_eq_u32_e64 s13, 2, v72
	v_cndmask_b32_e64 v94, v95, v94, s4
	v_cmp_eq_u32_e64 s12, 1, v71
	v_fma_f32 v97, -v98, v101, v99
	v_cmp_eq_u32_e64 s17, 2, v71
	v_cmp_eq_u32_e64 s15, 3, v72
	v_cndmask_b32_e64 v94, v94, v96, s8
	v_cmp_eq_u32_e64 s19, 3, v71
	v_div_fmas_f32 v95, v97, v103, v101
	v_cmp_eq_u32_e32 vcc_lo, 3, v70
	v_cmp_eq_u32_e64 s4, 4, v70
	v_cmp_eq_u32_e64 s20, 4, v72
	;; [unrolled: 1-line block ×3, first 2 shown]
	v_div_fixup_f32 v95, v95, v74, 1.0
	v_lshlrev_b32_e32 v73, 6, v68
	v_cmp_eq_u32_e64 s7, 5, v70
	v_cmp_eq_u32_e64 s21, 5, v72
	;; [unrolled: 1-line block ×3, first 2 shown]
	v_mul_f32_e32 v102, v94, v95
	v_lshl_or_b32 v75, v69, 11, v73
	v_or_b32_e32 v69, 2, v70
	v_cmp_eq_u32_e64 s26, 6, v72
	v_cmp_eq_u32_e64 s28, 6, v71
	v_fma_mixlo_f16 v94, v102, v79, 0
	v_fma_mixlo_f16 v95, v102, v81, 0
	;; [unrolled: 1-line block ×8, first 2 shown]
	v_lshl_or_b32 v74, v66, 4, v75
	v_fma_mixhi_f16 v94, v102, v78, 0
	v_fma_mixhi_f16 v95, v102, v80, 0
	;; [unrolled: 1-line block ×8, first 2 shown]
	ds_store_b128 v74, v[94:97]
	ds_store_b128 v74, v[98:101] offset:1024
	s_waitcnt lgkmcnt(0)
	s_barrier
	buffer_gl0_inv
	ds_load_b128 v[78:81], v75
	ds_load_b128 v[82:85], v75 offset:16
	ds_load_b128 v[86:89], v75 offset:1024
	;; [unrolled: 1-line block ×3, first 2 shown]
	v_cmp_eq_u32_e64 s11, 1, v69
	v_cmp_eq_u32_e64 s16, 2, v69
	;; [unrolled: 1-line block ×11, first 2 shown]
	s_waitcnt lgkmcnt(3)
	v_lshrrev_b32_e32 v94, 16, v78
	s_waitcnt lgkmcnt(2)
	v_lshrrev_b32_e32 v98, 16, v82
	;; [unrolled: 2-line block ×4, first 2 shown]
	v_lshrrev_b32_e32 v95, 16, v79
	v_cndmask_b32_e64 v110, v78, v94, s5
	v_cndmask_b32_e64 v111, v82, v98, s5
	;; [unrolled: 1-line block ×8, first 2 shown]
	v_lshrrev_b32_e32 v99, 16, v83
	v_cndmask_b32_e64 v94, v86, v102, s5
	v_cndmask_b32_e64 v98, v90, v106, s5
	;; [unrolled: 1-line block ×15, first 2 shown]
	v_lshrrev_b32_e32 v103, 16, v87
	v_lshrrev_b32_e32 v107, 16, v91
	v_cndmask_b32_e64 v113, v115, v83, s16
	v_cndmask_b32_e64 v82, v94, v87, s6
	;; [unrolled: 1-line block ×7, first 2 shown]
	v_cndmask_b32_e32 v90, v102, v95, vcc_lo
	v_cndmask_b32_e32 v102, v106, v99, vcc_lo
	v_cndmask_b32_e64 v106, v110, v95, s15
	v_cndmask_b32_e64 v110, v111, v99, s15
	;; [unrolled: 1-line block ×4, first 2 shown]
	v_lshrrev_b32_e32 v96, 16, v80
	v_lshrrev_b32_e32 v100, 16, v84
	v_cndmask_b32_e64 v111, v112, v95, s18
	v_cndmask_b32_e64 v112, v113, v99, s18
	v_cndmask_b32_e32 v82, v82, v103, vcc_lo
	v_cndmask_b32_e32 v83, v83, v107, vcc_lo
	v_cndmask_b32_e64 v94, v94, v103, s15
	v_cndmask_b32_e64 v90, v90, v80, s4
	;; [unrolled: 1-line block ×7, first 2 shown]
	v_lshrrev_b32_e32 v104, 16, v88
	v_cndmask_b32_e64 v106, v111, v80, s22
	v_cndmask_b32_e64 v110, v112, v84, s22
	;; [unrolled: 1-line block ×11, first 2 shown]
	v_lshrrev_b32_e32 v97, 16, v81
	v_lshrrev_b32_e32 v101, 16, v85
	v_cndmask_b32_e64 v99, v106, v96, s24
	v_cndmask_b32_e64 v102, v110, v100, s24
	;; [unrolled: 1-line block ×7, first 2 shown]
	v_lshrrev_b32_e32 v105, 16, v89
	v_cndmask_b32_e64 v80, v80, v104, s7
	v_cndmask_b32_e64 v84, v84, v81, s8
	;; [unrolled: 1-line block ×16, first 2 shown]
	v_perm_b32 v81, v79, v78, 0x5040100
	v_perm_b32 v79, v95, v85, 0x5040100
	v_cndmask_b32_e64 v78, v119, v91, s16
	v_cndmask_b32_e64 v85, v117, v91, s13
	;; [unrolled: 1-line block ×3, first 2 shown]
	v_perm_b32 v80, v94, v90, 0x5040100
	v_cndmask_b32_e64 v90, v98, v103, s18
	v_cndmask_b32_e64 v86, v86, v103, s19
	;; [unrolled: 1-line block ×5, first 2 shown]
	v_lshrrev_b32_e32 v108, 16, v92
	v_cndmask_b32_e64 v90, v90, v88, s22
	v_cndmask_b32_e64 v86, v86, v88, s23
	;; [unrolled: 1-line block ×11, first 2 shown]
	v_lshrrev_b32_e32 v109, 16, v93
	v_cndmask_b32_e64 v82, v82, v93, s8
	v_cndmask_b32_e64 v88, v88, v89, s27
	;; [unrolled: 1-line block ×12, first 2 shown]
	v_perm_b32 v78, v84, v83, 0x5040100
	v_perm_b32 v85, v87, v86, 0x5040100
	;; [unrolled: 1-line block ×5, first 2 shown]
	s_mul_i32 s9, s35, 15
	s_mov_b32 s4, exec_lo
	ds_store_b128 v74, v[78:81]
	ds_store_b128 v74, v[82:85] offset:1024
	v_cmpx_gt_u32_e32 15, v0
	s_cbranch_execz .LBB844_14
; %bb.13:
	s_mul_i32 s5, s9, s34
	s_load_b128 s[16:19], s[0:1], 0x58
	v_add3_u32 v68, s5, s33, v68
	s_delay_alu instid0(VALU_DEP_1) | instskip(NEXT) | instid1(VALU_DEP_1)
	v_mad_u64_u32 v[78:79], null, v68, s36, s[14:15]
	v_ashrrev_i32_e32 v79, 31, v78
	s_delay_alu instid0(VALU_DEP_1) | instskip(SKIP_1) | instid1(VALU_DEP_1)
	v_lshlrev_b64 v[78:79], 2, v[78:79]
	s_waitcnt lgkmcnt(0)
	v_add_co_u32 v80, vcc_lo, s18, v78
	s_delay_alu instid0(VALU_DEP_2)
	v_add_co_ci_u32_e32 v81, vcc_lo, s19, v79, vcc_lo
	v_add_co_u32 v78, vcc_lo, s16, v78
	v_add_co_ci_u32_e32 v79, vcc_lo, s17, v79, vcc_lo
	global_store_b32 v[80:81], v76, off
	global_store_b32 v[78:79], v77, off
.LBB844_14:
	s_or_b32 exec_lo, exec_lo, s4
	s_waitcnt lgkmcnt(0)
	s_waitcnt_vscnt null, 0x0
	s_barrier
	buffer_gl0_inv
	ds_load_b128 v[84:87], v73
	ds_load_b128 v[88:91], v73 offset:16
	ds_load_b128 v[96:99], v73 offset:2064
	;; [unrolled: 1-line block ×5, first 2 shown]
	v_cmp_eq_u32_e32 vcc_lo, 1, v70
	v_mov_b32_e32 v76, 0
	ds_load_b128 v[112:115], v73 offset:6160
	ds_load_b128 v[108:111], v73 offset:6144
	;; [unrolled: 1-line block ×4, first 2 shown]
	v_cmp_eq_u32_e64 s5, 1, v69
	v_cmp_eq_u32_e64 s4, 1, v72
	;; [unrolled: 1-line block ×3, first 2 shown]
	v_mov_b32_e32 v77, v76
	v_mov_b32_e32 v78, v76
	v_mov_b32_e32 v79, v76
	v_mov_b32_e32 v80, v76
	v_mov_b32_e32 v81, v76
	v_mov_b32_e32 v82, v76
	v_mov_b32_e32 v83, v76
	v_cmp_eq_u32_e64 s7, 3, v72
	v_cmp_eq_u32_e64 s8, 7, v72
	s_waitcnt lgkmcnt(8)
	s_delay_alu instid0(VALU_DEP_3)
	v_wmma_f32_16x16x16_f16 v[76:83], v[49:56], v[84:91], v[76:83]
	ds_load_b128 v[53:56], v73 offset:10256
	ds_load_b128 v[49:52], v73 offset:10240
	s_waitcnt lgkmcnt(8)
	v_wmma_f32_16x16x16_f16 v[76:83], v[41:48], v[92:99], v[76:83]
	ds_load_b128 v[45:48], v73 offset:12304
	ds_load_b128 v[41:44], v73 offset:12288
	s_waitcnt lgkmcnt(8)
	;; [unrolled: 4-line block ×3, first 2 shown]
	s_barrier
	buffer_gl0_inv
	v_wmma_f32_16x16x16_f16 v[76:83], v[1:8], v[108:115], v[76:83]
	s_delay_alu instid0(VALU_DEP_1) | instskip(NEXT) | instid1(VALU_DEP_1)
	v_wmma_f32_16x16x16_f16 v[76:83], v[9:16], v[116:123], v[76:83]
	v_wmma_f32_16x16x16_f16 v[76:83], v[17:24], v[49:56], v[76:83]
	s_delay_alu instid0(VALU_DEP_1) | instskip(NEXT) | instid1(VALU_DEP_1)
	v_wmma_f32_16x16x16_f16 v[76:83], v[25:32], v[41:48], v[76:83]
	v_wmma_f32_16x16x16_f16 v[76:83], v[57:64], v[33:40], v[76:83]
	s_delay_alu instid0(VALU_DEP_1) | instskip(NEXT) | instid1(VALU_DEP_2)
	v_cvt_f16_f32_e32 v1, v76
	v_cvt_f16_f32_e32 v2, v77
	s_delay_alu instid0(VALU_DEP_3) | instskip(NEXT) | instid1(VALU_DEP_4)
	v_cvt_f16_f32_e32 v3, v78
	v_cvt_f16_f32_e32 v4, v79
	;; [unrolled: 1-line block ×6, first 2 shown]
	v_pack_b32_f16 v1, v1, v2
	v_pack_b32_f16 v2, v3, v4
	;; [unrolled: 1-line block ×3, first 2 shown]
	s_delay_alu instid0(VALU_DEP_4)
	v_pack_b32_f16 v4, v7, v8
	ds_store_b128 v74, v[1:4]
	s_waitcnt lgkmcnt(0)
	s_barrier
	buffer_gl0_inv
	ds_load_b128 v[1:4], v75
	ds_load_b128 v[5:8], v75 offset:16
	s_waitcnt lgkmcnt(1)
	v_lshrrev_b32_e32 v9, 16, v1
	s_waitcnt lgkmcnt(0)
	v_lshrrev_b32_e32 v13, 16, v5
	v_lshrrev_b32_e32 v10, 16, v2
	;; [unrolled: 1-line block ×4, first 2 shown]
	v_cndmask_b32_e32 v17, v1, v9, vcc_lo
	v_cndmask_b32_e32 v18, v5, v13, vcc_lo
	v_cndmask_b32_e64 v21, v1, v9, s5
	v_cmp_eq_u32_e32 vcc_lo, 1, v71
	v_cndmask_b32_e64 v22, v5, v13, s5
	v_cmp_eq_u32_e64 s5, 2, v70
	v_cndmask_b32_e64 v19, v1, v9, s4
	v_cndmask_b32_e64 v20, v5, v13, s4
	v_cndmask_b32_e32 v1, v1, v9, vcc_lo
	v_cmp_eq_u32_e64 s4, 2, v71
	v_cndmask_b32_e32 v5, v5, v13, vcc_lo
	v_cndmask_b32_e64 v9, v17, v2, s5
	v_cmp_eq_u32_e32 vcc_lo, 3, v70
	v_cndmask_b32_e64 v13, v18, v6, s5
	v_cmp_eq_u32_e64 s5, 2, v69
	v_cndmask_b32_e64 v17, v19, v2, s6
	v_cndmask_b32_e64 v18, v20, v6, s6
	v_cmp_eq_u32_e64 s6, 3, v69
	v_cndmask_b32_e64 v1, v1, v2, s4
	v_cndmask_b32_e64 v19, v21, v2, s5
	v_cndmask_b32_e64 v20, v22, v6, s5
	v_cndmask_b32_e64 v2, v5, v6, s4
	v_cndmask_b32_e32 v5, v9, v10, vcc_lo
	v_cndmask_b32_e32 v6, v13, v14, vcc_lo
	v_cmp_eq_u32_e32 vcc_lo, 3, v71
	v_cndmask_b32_e64 v9, v17, v10, s7
	v_cndmask_b32_e64 v13, v18, v14, s7
	;; [unrolled: 1-line block ×3, first 2 shown]
	v_cmp_eq_u32_e64 s5, 4, v70
	v_cndmask_b32_e32 v1, v1, v10, vcc_lo
	v_cndmask_b32_e32 v2, v2, v14, vcc_lo
	v_cmp_eq_u32_e32 vcc_lo, 4, v72
	v_lshrrev_b32_e32 v15, 16, v7
	v_lshrrev_b32_e32 v16, 16, v8
	v_cndmask_b32_e64 v17, v19, v10, s6
	v_cmp_eq_u32_e64 s4, 4, v71
	v_cndmask_b32_e64 v5, v5, v3, s5
	v_cndmask_b32_e64 v6, v6, v7, s5
	v_cndmask_b32_e32 v9, v9, v3, vcc_lo
	v_cmp_eq_u32_e64 s5, 5, v72
	v_cndmask_b32_e32 v10, v13, v7, vcc_lo
	v_cmp_eq_u32_e32 vcc_lo, 4, v69
	v_cmp_eq_u32_e64 s6, 5, v70
	v_cndmask_b32_e64 v2, v2, v7, s4
	v_cndmask_b32_e64 v9, v9, v11, s5
	;; [unrolled: 1-line block ×3, first 2 shown]
	v_cndmask_b32_e32 v13, v17, v3, vcc_lo
	v_cmp_eq_u32_e64 s5, 5, v69
	v_cndmask_b32_e32 v14, v18, v7, vcc_lo
	v_cndmask_b32_e64 v1, v1, v3, s4
	v_cmp_eq_u32_e32 vcc_lo, 5, v71
	v_lshrrev_b32_e32 v12, 16, v4
	v_cndmask_b32_e64 v13, v13, v11, s5
	v_cndmask_b32_e64 v3, v14, v15, s5
	v_cmp_eq_u32_e64 s5, 6, v71
	v_cndmask_b32_e32 v1, v1, v11, vcc_lo
	v_cndmask_b32_e64 v5, v5, v11, s6
	v_cmp_eq_u32_e64 s7, 6, v70
	v_cndmask_b32_e64 v6, v6, v15, s6
	v_cmp_eq_u32_e64 s6, 6, v72
	v_cmp_eq_u32_e64 s4, 6, v69
	v_cndmask_b32_e64 v1, v1, v4, s5
	v_cndmask_b32_e32 v2, v2, v15, vcc_lo
	v_cmp_eq_u32_e32 vcc_lo, 7, v71
	v_cndmask_b32_e64 v5, v5, v4, s7
	v_cndmask_b32_e64 v9, v9, v4, s6
	;; [unrolled: 1-line block ×3, first 2 shown]
	v_cmp_eq_u32_e64 s7, 7, v70
	v_cndmask_b32_e32 v1, v1, v12, vcc_lo
	v_cndmask_b32_e64 v7, v13, v4, s4
	v_cndmask_b32_e64 v3, v3, v8, s4
	;; [unrolled: 1-line block ×3, first 2 shown]
	v_cmp_eq_u32_e64 s4, 7, v69
	v_cndmask_b32_e64 v4, v10, v8, s6
	v_cndmask_b32_e64 v5, v5, v12, s7
	v_cndmask_b32_e64 v9, v9, v12, s8
	v_cndmask_b32_e32 v2, v2, v16, vcc_lo
	v_cndmask_b32_e64 v7, v7, v12, s4
	v_cndmask_b32_e64 v3, v3, v16, s4
	;; [unrolled: 1-line block ×4, first 2 shown]
	v_cmp_gt_u32_e32 vcc_lo, 32, v0
	v_perm_b32 v4, v2, v1, 0x5040100
	v_perm_b32 v3, v3, v7, 0x5040100
	;; [unrolled: 1-line block ×4, first 2 shown]
	s_and_b32 s2, vcc_lo, s2
	ds_store_b128 v74, v[1:4]
	s_waitcnt lgkmcnt(0)
	s_barrier
	buffer_gl0_inv
	s_and_saveexec_b32 s4, s2
	s_cbranch_execz .LBB844_2
; %bb.15:
	s_load_b64 s[4:5], s[0:1], 0x68
	v_add_nc_u32_e32 v20, s33, v66
	v_lshlrev_b32_e32 v0, 10, v0
	v_lshlrev_b32_e32 v1, 4, v67
	s_lshl_b32 s0, s36, 6
	s_delay_alu instid0(SALU_CYCLE_1)
	s_mul_i32 s1, s0, s34
	v_add_nc_u32_e32 v2, 2, v20
	s_mul_i32 s6, s1, s9
	v_and_or_b32 v0, 0x3800, v0, v1
	v_mul_lo_u32 v1, v20, s0
	s_ashr_i32 s7, s6, 31
	v_mul_lo_u32 v11, v2, s0
	s_lshl_b64 s[6:7], s[6:7], 1
	v_add_nc_u32_e32 v3, 4, v20
	v_lshl_or_b32 v21, v66, 6, v0
	v_add_nc_u32_e32 v16, 6, v20
	v_ashrrev_i32_e32 v2, 31, v1
	s_delay_alu instid0(VALU_DEP_4)
	v_mul_lo_u32 v13, v3, s0
	s_waitcnt lgkmcnt(0)
	s_add_u32 s1, s4, s6
	s_addc_u32 s2, s5, s7
	s_lshl_b32 s4, s14, 6
	ds_load_b128 v[3:6], v21
	ds_load_b128 v[7:10], v21 offset:128
	s_ashr_i32 s5, s4, 31
	v_ashrrev_i32_e32 v12, 31, v11
	s_lshl_b64 s[4:5], s[4:5], 1
	v_lshlrev_b64 v[14:15], 1, v[1:2]
	s_add_u32 s1, s1, s4
	s_addc_u32 s2, s2, s5
	v_add_co_u32 v1, s1, s1, v65
	s_delay_alu instid0(VALU_DEP_1) | instskip(SKIP_1) | instid1(VALU_DEP_3)
	v_add_co_ci_u32_e64 v2, null, s2, 0, s1
	v_lshlrev_b64 v[11:12], 1, v[11:12]
	v_add_co_u32 v18, vcc_lo, v1, v14
	v_mul_lo_u32 v16, v16, s0
	s_delay_alu instid0(VALU_DEP_4) | instskip(NEXT) | instid1(VALU_DEP_4)
	v_add_co_ci_u32_e32 v19, vcc_lo, v2, v15, vcc_lo
	v_add_co_u32 v11, vcc_lo, v1, v11
	v_ashrrev_i32_e32 v14, 31, v13
	v_add_co_ci_u32_e32 v12, vcc_lo, v2, v12, vcc_lo
	v_add_nc_u32_e32 v15, 8, v20
	v_ashrrev_i32_e32 v17, 31, v16
	s_waitcnt lgkmcnt(1)
	global_store_b128 v[18:19], v[3:6], off
	v_lshlrev_b64 v[3:4], 1, v[13:14]
	s_waitcnt lgkmcnt(0)
	global_store_b128 v[11:12], v[7:10], off
	v_mul_lo_u32 v11, v15, s0
	v_add_nc_u32_e32 v7, 10, v20
	v_lshlrev_b64 v[5:6], 1, v[16:17]
	v_add_co_u32 v23, vcc_lo, v1, v3
	v_add_nc_u32_e32 v3, 12, v20
	s_delay_alu instid0(VALU_DEP_4)
	v_mul_lo_u32 v25, v7, s0
	v_ashrrev_i32_e32 v12, 31, v11
	v_add_co_ci_u32_e32 v24, vcc_lo, v2, v4, vcc_lo
	v_add_co_u32 v27, vcc_lo, v1, v5
	v_mul_lo_u32 v29, v3, s0
	v_add_co_ci_u32_e32 v28, vcc_lo, v2, v6, vcc_lo
	ds_load_b128 v[3:6], v21 offset:256
	ds_load_b128 v[7:10], v21 offset:384
	v_lshlrev_b64 v[31:32], 1, v[11:12]
	ds_load_b128 v[11:14], v21 offset:512
	ds_load_b128 v[15:18], v21 offset:640
	;; [unrolled: 1-line block ×3, first 2 shown]
	v_ashrrev_i32_e32 v26, 31, v25
	v_ashrrev_i32_e32 v30, 31, v29
	v_add_co_u32 v31, vcc_lo, v1, v31
	s_delay_alu instid0(VALU_DEP_3) | instskip(NEXT) | instid1(VALU_DEP_3)
	v_lshlrev_b64 v[25:26], 1, v[25:26]
	v_lshlrev_b64 v[29:30], 1, v[29:30]
	v_add_co_ci_u32_e32 v32, vcc_lo, v2, v32, vcc_lo
	s_delay_alu instid0(VALU_DEP_3) | instskip(NEXT) | instid1(VALU_DEP_4)
	v_add_co_u32 v25, vcc_lo, v1, v25
	v_add_co_ci_u32_e32 v26, vcc_lo, v2, v26, vcc_lo
	s_delay_alu instid0(VALU_DEP_4)
	v_add_co_u32 v29, vcc_lo, v1, v29
	v_add_co_ci_u32_e32 v30, vcc_lo, v2, v30, vcc_lo
	s_waitcnt lgkmcnt(4)
	global_store_b128 v[23:24], v[3:6], off
	s_waitcnt lgkmcnt(3)
	global_store_b128 v[27:28], v[7:10], off
	s_waitcnt lgkmcnt(2)
	global_store_b128 v[31:32], v[11:14], off
	s_waitcnt lgkmcnt(1)
	global_store_b128 v[25:26], v[15:18], off
	s_waitcnt lgkmcnt(0)
	global_store_b128 v[29:30], v[19:22], off
	s_and_b32 exec_lo, exec_lo, s3
	s_cbranch_execz .LBB844_2
; %bb.16:
	ds_load_b128 v[3:6], v0 offset:896
	s_add_i32 s1, s33, 14
	s_delay_alu instid0(SALU_CYCLE_1) | instskip(NEXT) | instid1(SALU_CYCLE_1)
	s_mul_i32 s0, s1, s0
	s_ashr_i32 s1, s0, 31
	s_delay_alu instid0(SALU_CYCLE_1) | instskip(NEXT) | instid1(SALU_CYCLE_1)
	s_lshl_b64 s[0:1], s[0:1], 1
	v_add_co_u32 v0, vcc_lo, v1, s0
	v_add_co_ci_u32_e32 v1, vcc_lo, s1, v2, vcc_lo
	s_waitcnt lgkmcnt(0)
	global_store_b128 v[0:1], v[3:6], off
	s_nop 0
	s_sendmsg sendmsg(MSG_DEALLOC_VGPRS)
	s_endpgm
	.section	.rodata,"a",@progbits
	.p2align	6, 0x0
	.amdhsa_kernel _Z39paged_attention_ll4mi_QKV_mfma16_kernelIDF16_hLN4vllm18Fp8KVCacheDataTypeE1EDF16_Li16ELi64ELi256ELb0ELi15EL8MFMAType1EEvPKT_PKT0_S8_ifPKiSA_SA_iPKfiiiPfSD_PS3_PT2_iSC_SC_
		.amdhsa_group_segment_fixed_size 17472
		.amdhsa_private_segment_fixed_size 0
		.amdhsa_kernarg_size 400
		.amdhsa_user_sgpr_count 13
		.amdhsa_user_sgpr_dispatch_ptr 0
		.amdhsa_user_sgpr_queue_ptr 0
		.amdhsa_user_sgpr_kernarg_segment_ptr 1
		.amdhsa_user_sgpr_dispatch_id 0
		.amdhsa_user_sgpr_private_segment_size 0
		.amdhsa_wavefront_size32 1
		.amdhsa_uses_dynamic_stack 0
		.amdhsa_enable_private_segment 0
		.amdhsa_system_sgpr_workgroup_id_x 1
		.amdhsa_system_sgpr_workgroup_id_y 1
		.amdhsa_system_sgpr_workgroup_id_z 1
		.amdhsa_system_sgpr_workgroup_info 0
		.amdhsa_system_vgpr_workitem_id 0
		.amdhsa_next_free_vgpr 146
		.amdhsa_next_free_sgpr 37
		.amdhsa_reserve_vcc 1
		.amdhsa_float_round_mode_32 0
		.amdhsa_float_round_mode_16_64 0
		.amdhsa_float_denorm_mode_32 3
		.amdhsa_float_denorm_mode_16_64 3
		.amdhsa_dx10_clamp 1
		.amdhsa_ieee_mode 1
		.amdhsa_fp16_overflow 0
		.amdhsa_workgroup_processor_mode 1
		.amdhsa_memory_ordered 1
		.amdhsa_forward_progress 0
		.amdhsa_shared_vgpr_count 0
		.amdhsa_exception_fp_ieee_invalid_op 0
		.amdhsa_exception_fp_denorm_src 0
		.amdhsa_exception_fp_ieee_div_zero 0
		.amdhsa_exception_fp_ieee_overflow 0
		.amdhsa_exception_fp_ieee_underflow 0
		.amdhsa_exception_fp_ieee_inexact 0
		.amdhsa_exception_int_div_zero 0
	.end_amdhsa_kernel
	.section	.text._Z39paged_attention_ll4mi_QKV_mfma16_kernelIDF16_hLN4vllm18Fp8KVCacheDataTypeE1EDF16_Li16ELi64ELi256ELb0ELi15EL8MFMAType1EEvPKT_PKT0_S8_ifPKiSA_SA_iPKfiiiPfSD_PS3_PT2_iSC_SC_,"axG",@progbits,_Z39paged_attention_ll4mi_QKV_mfma16_kernelIDF16_hLN4vllm18Fp8KVCacheDataTypeE1EDF16_Li16ELi64ELi256ELb0ELi15EL8MFMAType1EEvPKT_PKT0_S8_ifPKiSA_SA_iPKfiiiPfSD_PS3_PT2_iSC_SC_,comdat
.Lfunc_end844:
	.size	_Z39paged_attention_ll4mi_QKV_mfma16_kernelIDF16_hLN4vllm18Fp8KVCacheDataTypeE1EDF16_Li16ELi64ELi256ELb0ELi15EL8MFMAType1EEvPKT_PKT0_S8_ifPKiSA_SA_iPKfiiiPfSD_PS3_PT2_iSC_SC_, .Lfunc_end844-_Z39paged_attention_ll4mi_QKV_mfma16_kernelIDF16_hLN4vllm18Fp8KVCacheDataTypeE1EDF16_Li16ELi64ELi256ELb0ELi15EL8MFMAType1EEvPKT_PKT0_S8_ifPKiSA_SA_iPKfiiiPfSD_PS3_PT2_iSC_SC_
                                        ; -- End function
	.section	.AMDGPU.csdata,"",@progbits
; Kernel info:
; codeLenInByte = 6752
; NumSgprs: 39
; NumVgprs: 146
; ScratchSize: 0
; MemoryBound: 0
; FloatMode: 240
; IeeeMode: 1
; LDSByteSize: 17472 bytes/workgroup (compile time only)
; SGPRBlocks: 4
; VGPRBlocks: 18
; NumSGPRsForWavesPerEU: 39
; NumVGPRsForWavesPerEU: 146
; Occupancy: 9
; WaveLimiterHint : 1
; COMPUTE_PGM_RSRC2:SCRATCH_EN: 0
; COMPUTE_PGM_RSRC2:USER_SGPR: 13
; COMPUTE_PGM_RSRC2:TRAP_HANDLER: 0
; COMPUTE_PGM_RSRC2:TGID_X_EN: 1
; COMPUTE_PGM_RSRC2:TGID_Y_EN: 1
; COMPUTE_PGM_RSRC2:TGID_Z_EN: 1
; COMPUTE_PGM_RSRC2:TIDIG_COMP_CNT: 0
	.section	.text._Z39paged_attention_ll4mi_QKV_mfma16_kernelIDF16_hLN4vllm18Fp8KVCacheDataTypeE1EDF16_Li16ELi64ELi256ELb0ELi16EL8MFMAType1EEvPKT_PKT0_S8_ifPKiSA_SA_iPKfiiiPfSD_PS3_PT2_iSC_SC_,"axG",@progbits,_Z39paged_attention_ll4mi_QKV_mfma16_kernelIDF16_hLN4vllm18Fp8KVCacheDataTypeE1EDF16_Li16ELi64ELi256ELb0ELi16EL8MFMAType1EEvPKT_PKT0_S8_ifPKiSA_SA_iPKfiiiPfSD_PS3_PT2_iSC_SC_,comdat
	.protected	_Z39paged_attention_ll4mi_QKV_mfma16_kernelIDF16_hLN4vllm18Fp8KVCacheDataTypeE1EDF16_Li16ELi64ELi256ELb0ELi16EL8MFMAType1EEvPKT_PKT0_S8_ifPKiSA_SA_iPKfiiiPfSD_PS3_PT2_iSC_SC_ ; -- Begin function _Z39paged_attention_ll4mi_QKV_mfma16_kernelIDF16_hLN4vllm18Fp8KVCacheDataTypeE1EDF16_Li16ELi64ELi256ELb0ELi16EL8MFMAType1EEvPKT_PKT0_S8_ifPKiSA_SA_iPKfiiiPfSD_PS3_PT2_iSC_SC_
	.globl	_Z39paged_attention_ll4mi_QKV_mfma16_kernelIDF16_hLN4vllm18Fp8KVCacheDataTypeE1EDF16_Li16ELi64ELi256ELb0ELi16EL8MFMAType1EEvPKT_PKT0_S8_ifPKiSA_SA_iPKfiiiPfSD_PS3_PT2_iSC_SC_
	.p2align	8
	.type	_Z39paged_attention_ll4mi_QKV_mfma16_kernelIDF16_hLN4vllm18Fp8KVCacheDataTypeE1EDF16_Li16ELi64ELi256ELb0ELi16EL8MFMAType1EEvPKT_PKT0_S8_ifPKiSA_SA_iPKfiiiPfSD_PS3_PT2_iSC_SC_,@function
_Z39paged_attention_ll4mi_QKV_mfma16_kernelIDF16_hLN4vllm18Fp8KVCacheDataTypeE1EDF16_Li16ELi64ELi256ELb0ELi16EL8MFMAType1EEvPKT_PKT0_S8_ifPKiSA_SA_iPKfiiiPfSD_PS3_PT2_iSC_SC_: ; @_Z39paged_attention_ll4mi_QKV_mfma16_kernelIDF16_hLN4vllm18Fp8KVCacheDataTypeE1EDF16_Li16ELi64ELi256ELb0ELi16EL8MFMAType1EEvPKT_PKT0_S8_ifPKiSA_SA_iPKfiiiPfSD_PS3_PT2_iSC_SC_
; %bb.0:
	s_load_b64 s[2:3], s[0:1], 0x30
	s_mov_b32 s34, s13
	s_waitcnt lgkmcnt(0)
	s_cmp_lg_u64 s[2:3], 0
	s_cselect_b32 s8, -1, 0
	s_ashr_i32 s35, s13, 31
	s_cmp_eq_u64 s[2:3], 0
	s_cbranch_scc1 .LBB845_3
; %bb.1:
	s_lshl_b64 s[4:5], s[34:35], 2
	s_delay_alu instid0(SALU_CYCLE_1) | instskip(SKIP_4) | instid1(SALU_CYCLE_1)
	s_add_u32 s4, s2, s4
	s_addc_u32 s5, s3, s5
	s_load_b64 s[4:5], s[4:5], 0x0
	s_waitcnt lgkmcnt(0)
	s_sub_i32 s4, s5, s4
	s_cmp_eq_u32 s4, 1
	s_cselect_b32 s4, -1, 0
	s_delay_alu instid0(SALU_CYCLE_1)
	s_and_not1_b32 vcc_lo, exec_lo, s4
	s_cbranch_vccz .LBB845_4
.LBB845_2:
	s_endpgm
.LBB845_3:
.LBB845_4:
	s_load_b64 s[4:5], s[0:1], 0x28
	s_lshl_b64 s[6:7], s[34:35], 2
	s_waitcnt lgkmcnt(0)
	s_add_u32 s4, s4, s6
	s_addc_u32 s5, s5, s7
	s_lshl_b32 s12, s14, 8
	s_load_b32 s24, s[4:5], 0x0
	s_waitcnt lgkmcnt(0)
	s_cmp_ge_i32 s12, s24
	s_cbranch_scc1 .LBB845_2
; %bb.5:
	s_clause 0x1
	s_load_b128 s[20:23], s[0:1], 0x8
	s_load_b64 s[4:5], s[0:1], 0x20
	s_and_not1_b32 vcc_lo, exec_lo, s8
	s_cbranch_vccnz .LBB845_7
; %bb.6:
	s_add_u32 s2, s2, s6
	s_addc_u32 s3, s3, s7
	s_load_b32 s3, s[2:3], 0x0
	s_branch .LBB845_8
.LBB845_7:
	s_mov_b32 s3, s34
.LBB845_8:
	s_load_b128 s[16:19], s[0:1], 0x48
	v_and_b32_e32 v70, 15, v0
	v_cmp_gt_u32_e32 vcc_lo, 0x100, v0
	v_lshrrev_b32_e32 v69, 5, v0
	v_and_b32_e32 v71, 31, v0
	v_and_b32_e32 v67, 1, v0
	v_lshlrev_b32_e32 v1, 3, v70
	v_cmp_gt_u32_e64 s2, 8, v70
	v_bfe_u32 v66, v0, 4, 1
	s_lshl_b32 s31, s15, 4
	s_delay_alu instid0(VALU_DEP_3) | instskip(NEXT) | instid1(VALU_DEP_3)
	v_lshlrev_b32_e32 v65, 1, v1
	s_and_b32 s7, vcc_lo, s2
	s_delay_alu instid0(SALU_CYCLE_1)
	s_and_saveexec_b32 s6, s7
	s_cbranch_execz .LBB845_10
; %bb.9:
	v_lshl_or_b32 v5, v69, 1, v66
	s_load_b64 s[8:9], s[0:1], 0x0
	s_waitcnt lgkmcnt(0)
	s_mul_hi_i32 s11, s3, s16
	s_mul_i32 s10, s3, s16
	v_lshlrev_b32_e32 v6, 10, v70
	v_or_b32_e32 v1, s31, v5
	s_lshl_b64 s[10:11], s[10:11], 1
	v_lshlrev_b32_e32 v5, 6, v5
	v_lshlrev_b32_e32 v7, 10, v67
	v_and_b32_e32 v6, 0x3800, v6
	v_lshlrev_b32_e32 v1, 6, v1
	s_delay_alu instid0(VALU_DEP_2) | instskip(NEXT) | instid1(VALU_DEP_2)
	v_or3_b32 v5, v6, v7, v5
	v_ashrrev_i32_e32 v2, 31, v1
	s_delay_alu instid0(VALU_DEP_1) | instskip(SKIP_2) | instid1(VALU_DEP_1)
	v_lshlrev_b64 v[1:2], 1, v[1:2]
	s_add_u32 s3, s8, s10
	s_addc_u32 s7, s9, s11
	v_add_co_u32 v1, vcc_lo, s3, v1
	s_delay_alu instid0(VALU_DEP_2) | instskip(NEXT) | instid1(VALU_DEP_2)
	v_add_co_ci_u32_e32 v2, vcc_lo, s7, v2, vcc_lo
	v_add_co_u32 v1, vcc_lo, v1, v65
	s_delay_alu instid0(VALU_DEP_2)
	v_add_co_ci_u32_e32 v2, vcc_lo, 0, v2, vcc_lo
	global_load_b128 v[1:4], v[1:2], off
	s_waitcnt vmcnt(0)
	ds_store_b128 v5, v[1:4]
.LBB845_10:
	s_or_b32 exec_lo, exec_lo, s6
	v_and_b32_e32 v1, 0xef, v0
	s_waitcnt lgkmcnt(0)
	s_add_i32 s3, s24, 15
	s_clause 0x1
	s_load_b32 s6, s[0:1], 0x38
	s_load_b32 s33, s[0:1], 0x98
	s_ashr_i32 s7, s3, 31
	v_add_nc_u32_e32 v1, s12, v1
	s_lshr_b32 s7, s7, 28
	s_load_b32 s19, s[0:1], 0x1c
	s_add_i32 s3, s3, s7
	s_waitcnt lgkmcnt(0)
	v_ashrrev_i32_e32 v2, 31, v1
	v_or_b32_e32 v3, 16, v1
	s_ashr_i32 s3, s3, 4
	v_cmp_gt_i32_e32 vcc_lo, s24, v1
	s_add_i32 s3, s3, -1
	v_lshrrev_b32_e32 v2, 28, v2
	s_barrier
	buffer_gl0_inv
	s_mul_i32 s27, s15, s18
	v_add_nc_u32_e32 v4, v1, v2
	s_mul_i32 s6, s34, s6
	s_delay_alu instid0(SALU_CYCLE_1) | instskip(NEXT) | instid1(VALU_DEP_1)
	s_ashr_i32 s7, s6, 31
	v_ashrrev_i32_e32 v4, 4, v4
	v_add_nc_u32_e32 v2, v3, v2
	s_lshl_b64 s[6:7], s[6:7], 2
	s_delay_alu instid0(SALU_CYCLE_1) | instskip(NEXT) | instid1(VALU_DEP_2)
	s_add_u32 s26, s4, s6
	v_cndmask_b32_e32 v1, s3, v4, vcc_lo
	s_delay_alu instid0(VALU_DEP_2)
	v_ashrrev_i32_e32 v2, 4, v2
	v_cmp_gt_i32_e32 vcc_lo, s24, v3
	s_addc_u32 s25, s5, s7
	s_ashr_i32 s28, s27, 31
	s_add_u32 s13, s20, s27
	s_addc_u32 s15, s21, s28
	v_cndmask_b32_e32 v3, s3, v2, vcc_lo
	v_ashrrev_i32_e32 v2, 31, v1
	s_lshl_b32 s4, s14, 4
	s_delay_alu instid0(SALU_CYCLE_1) | instskip(NEXT) | instid1(VALU_DEP_2)
	s_ashr_i32 s5, s4, 31
	v_ashrrev_i32_e32 v4, 31, v3
	s_delay_alu instid0(VALU_DEP_2) | instskip(SKIP_1) | instid1(SALU_CYCLE_1)
	v_lshlrev_b64 v[1:2], 2, v[1:2]
	s_lshl_b64 s[4:5], s[4:5], 2
	s_add_u32 s4, s26, s4
	s_delay_alu instid0(VALU_DEP_2) | instskip(SKIP_1) | instid1(VALU_DEP_2)
	v_lshlrev_b64 v[3:4], 2, v[3:4]
	s_addc_u32 s5, s25, s5
	v_add_co_u32 v1, vcc_lo, s26, v1
	v_add_co_ci_u32_e32 v2, vcc_lo, s25, v2, vcc_lo
	s_delay_alu instid0(VALU_DEP_3) | instskip(NEXT) | instid1(VALU_DEP_4)
	v_add_co_u32 v3, vcc_lo, s26, v3
	v_add_co_ci_u32_e32 v4, vcc_lo, s25, v4, vcc_lo
	s_clause 0x1
	global_load_b32 v5, v[1:2], off
	global_load_b32 v7, v[3:4], off
	s_or_b32 s6, s12, 32
	v_lshlrev_b32_e32 v1, 4, v0
	s_ashr_i32 s7, s6, 4
	s_cmp_lt_i32 s6, s24
	s_cselect_b32 s6, s7, s3
	s_delay_alu instid0(VALU_DEP_1) | instskip(SKIP_1) | instid1(SALU_CYCLE_1)
	v_and_b32_e32 v1, 0xf0, v1
	s_ashr_i32 s7, s6, 31
	s_lshl_b64 s[6:7], s[6:7], 2
	s_delay_alu instid0(SALU_CYCLE_1)
	s_add_u32 s6, s26, s6
	s_addc_u32 s7, s25, s7
	s_or_b32 s8, s12, 64
	v_add_co_u32 v1, s13, s13, v1
	s_ashr_i32 s9, s8, 4
	s_cmp_lt_i32 s8, s24
	v_add_co_ci_u32_e64 v2, null, s15, 0, s13
	s_cselect_b32 s8, s9, s3
	s_delay_alu instid0(SALU_CYCLE_1) | instskip(NEXT) | instid1(SALU_CYCLE_1)
	s_ashr_i32 s9, s8, 31
	s_lshl_b64 s[8:9], s[8:9], 2
	s_delay_alu instid0(SALU_CYCLE_1) | instskip(SKIP_2) | instid1(SALU_CYCLE_1)
	s_add_u32 s8, s26, s8
	s_addc_u32 s9, s25, s9
	s_or_b32 s10, s12, 0x60
	s_ashr_i32 s11, s10, 4
	s_cmp_lt_i32 s10, s24
	s_cselect_b32 s10, s11, s3
	s_delay_alu instid0(SALU_CYCLE_1) | instskip(NEXT) | instid1(SALU_CYCLE_1)
	s_ashr_i32 s11, s10, 31
	s_lshl_b64 s[10:11], s[10:11], 2
	s_delay_alu instid0(SALU_CYCLE_1) | instskip(SKIP_2) | instid1(SALU_CYCLE_1)
	s_add_u32 s10, s26, s10
	s_addc_u32 s11, s25, s11
	s_or_b32 s16, s12, 0x80
	s_ashr_i32 s18, s16, 4
	s_cmp_lt_i32 s16, s24
	;; [unrolled: 10-line block ×3, first 2 shown]
	s_cselect_b32 s20, s18, s3
	s_delay_alu instid0(SALU_CYCLE_1) | instskip(NEXT) | instid1(SALU_CYCLE_1)
	s_ashr_i32 s21, s20, 31
	s_lshl_b64 s[20:21], s[20:21], 2
	s_delay_alu instid0(SALU_CYCLE_1)
	s_add_u32 s38, s26, s20
	s_addc_u32 s39, s25, s21
	s_clause 0x5
	s_load_b32 s21, s[4:5], 0x0
	s_load_b32 s13, s[6:7], 0x0
	;; [unrolled: 1-line block ×6, first 2 shown]
	s_or_b32 s6, s12, 0xc0
	s_mov_b32 s4, 0
	s_ashr_i32 s7, s6, 4
	s_cmp_lt_i32 s6, s24
	s_mov_b32 s5, s4
	s_cselect_b32 s10, s7, s3
	s_mov_b32 s6, s4
	s_ashr_i32 s11, s10, 31
	s_mov_b32 s7, s4
	s_lshl_b64 s[10:11], s[10:11], 2
	s_mov_b32 s8, s4
	s_add_u32 s36, s26, s10
	s_addc_u32 s37, s25, s11
	s_or_b32 s11, s12, 0xe0
	s_mov_b32 s9, s4
	s_ashr_i32 s29, s11, 4
	s_cmp_lt_i32 s11, s24
	s_mov_b32 s11, s4
	s_cselect_b32 s38, s29, s3
	s_mov_b32 s10, s4
	s_ashr_i32 s39, s38, 31
	v_dual_mov_b32 v103, s11 :: v_dual_mov_b32 v96, s4
	v_dual_mov_b32 v101, s9 :: v_dual_lshlrev_b32 v68, 6, v70
	v_mov_b32_e32 v102, s10
	v_dual_mov_b32 v100, s8 :: v_dual_mov_b32 v99, s7
	v_dual_mov_b32 v98, s6 :: v_dual_mov_b32 v97, s5
	s_lshl_b64 s[4:5], s[38:39], 2
	s_delay_alu instid0(SALU_CYCLE_1)
	s_add_u32 s4, s26, s4
	s_addc_u32 s5, s25, s5
	s_add_u32 s6, s22, s27
	s_addc_u32 s7, s23, s28
	s_waitcnt vmcnt(1)
	v_mad_i64_i32 v[3:4], null, v5, s17, v[1:2]
	s_waitcnt vmcnt(0)
	v_mad_i64_i32 v[5:6], null, v7, s17, v[1:2]
	v_lshlrev_b32_e32 v1, 4, v70
	s_clause 0x7
	global_load_b128 v[57:60], v[3:4], off
	global_load_b128 v[61:64], v[3:4], off offset:256
	global_load_b128 v[72:75], v[5:6], off
	global_load_b128 v[76:79], v[5:6], off offset:256
	global_load_b128 v[80:83], v[3:4], off offset:512
	;; [unrolled: 1-line block ×5, first 2 shown]
	v_lshl_or_b32 v1, v69, 8, v1
	s_load_b32 s3, s[36:37], 0x0
	ds_load_b128 v[104:107], v68
	ds_load_b128 v[108:111], v68 offset:1024
	s_load_b32 s4, s[4:5], 0x0
	v_add_co_u32 v17, s6, s6, v1
	s_delay_alu instid0(VALU_DEP_1) | instskip(SKIP_1) | instid1(VALU_DEP_1)
	v_add_co_ci_u32_e64 v18, null, s7, 0, s6
	s_waitcnt lgkmcnt(0)
	v_mad_i64_i32 v[1:2], null, s21, s17, v[17:18]
	v_mad_i64_i32 v[3:4], null, s13, s17, v[17:18]
	;; [unrolled: 1-line block ×7, first 2 shown]
	s_clause 0x9
	global_load_b128 v[49:52], v[1:2], off
	global_load_b128 v[53:56], v[1:2], off offset:16
	global_load_b128 v[41:44], v[3:4], off
	global_load_b128 v[45:48], v[3:4], off offset:16
	;; [unrolled: 2-line block ×5, first 2 shown]
	v_mad_i64_i32 v[120:121], null, s4, s17, v[17:18]
	s_clause 0x3
	global_load_b128 v[17:20], v[21:22], off
	global_load_b128 v[21:24], v[21:22], off offset:16
	global_load_b128 v[25:28], v[29:30], off
	global_load_b128 v[29:32], v[29:30], off offset:16
	s_waitcnt vmcnt(20)
	v_wmma_f32_16x16x16_f16 v[112:119], v[57:64], v[104:111], v[96:103]
	s_clause 0x1
	global_load_b128 v[57:60], v[120:121], off
	global_load_b128 v[61:64], v[120:121], off offset:16
	s_waitcnt vmcnt(20)
	v_wmma_f32_16x16x16_f16 v[96:103], v[72:79], v[104:111], v[96:103]
	ds_load_b128 v[72:75], v68 offset:2048
	ds_load_b128 v[76:79], v68 offset:3072
	v_and_b32_e32 v104, 0xe0, v0
	v_mbcnt_lo_u32_b32 v105, -1, 0
	s_waitcnt vmcnt(0) lgkmcnt(0)
	s_barrier
	buffer_gl0_inv
	v_add_nc_u32_e32 v104, s12, v104
	v_xor_b32_e32 v106, 16, v105
	s_delay_alu instid0(VALU_DEP_2) | instskip(NEXT) | instid1(VALU_DEP_2)
	v_or_b32_e32 v104, v104, v66
	v_cmp_gt_i32_e32 vcc_lo, 32, v106
	s_delay_alu instid0(VALU_DEP_2)
	v_or_b32_e32 v107, 4, v104
	v_or_b32_e32 v108, 6, v104
	v_cmp_gt_i32_e64 s3, s24, v104
	v_or_b32_e32 v109, 8, v104
	v_wmma_f32_16x16x16_f16 v[112:119], v[80:87], v[72:79], v[112:119]
	v_cndmask_b32_e32 v105, v105, v106, vcc_lo
	v_or_b32_e32 v106, 2, v104
	v_wmma_f32_16x16x16_f16 v[96:103], v[88:95], v[72:79], v[96:103]
	v_or_b32_e32 v80, 10, v104
	v_dual_mul_f32 v90, s19, v112 :: v_dual_mul_f32 v89, s19, v113
	s_delay_alu instid0(VALU_DEP_4) | instskip(NEXT) | instid1(VALU_DEP_4)
	v_cmp_gt_i32_e32 vcc_lo, s24, v106
	v_dual_mul_f32 v94, s19, v100 :: v_dual_mul_f32 v77, s19, v117
	v_dual_mul_f32 v88, s19, v114 :: v_dual_mul_f32 v79, s19, v115
	v_mul_f32_e32 v92, s19, v102
	v_cndmask_b32_e64 v90, 0xff7fffff, v90, s3
	v_cndmask_b32_e32 v89, 0xff7fffff, v89, vcc_lo
	v_cmp_gt_i32_e64 s4, s24, v107
	v_cmp_gt_i32_e64 s5, s24, v108
	v_or_b32_e32 v81, 12, v104
	v_or_b32_e32 v82, 14, v104
	v_mul_f32_e32 v78, s19, v116
	v_cndmask_b32_e64 v88, 0xff7fffff, v88, s4
	v_cndmask_b32_e64 v79, 0xff7fffff, v79, s5
	v_max3_f32 v89, v90, 0xff7fffff, v89
	v_cmp_gt_i32_e64 s6, s24, v109
	v_cmp_gt_i32_e64 s7, s24, v80
	v_or_b32_e32 v83, 16, v104
	v_or_b32_e32 v84, 18, v104
	v_dual_mul_f32 v75, s19, v119 :: v_dual_mul_f32 v76, s19, v118
	v_cndmask_b32_e64 v78, 0xff7fffff, v78, s6
	v_cndmask_b32_e64 v77, 0xff7fffff, v77, s7
	v_max3_f32 v79, v89, v88, v79
	v_cmp_gt_i32_e64 s8, s24, v81
	v_cmp_gt_i32_e64 s9, s24, v82
	v_or_b32_e32 v85, 20, v104
	v_or_b32_e32 v86, 22, v104
	;; [unrolled: 1-line block ×6, first 2 shown]
	v_dual_mul_f32 v95, s19, v99 :: v_dual_mul_f32 v104, s19, v97
	v_mul_f32_e32 v107, s19, v96
	v_cndmask_b32_e64 v76, 0xff7fffff, v76, s8
	v_cndmask_b32_e64 v75, 0xff7fffff, v75, s9
	v_max3_f32 v77, v79, v78, v77
	v_cmp_gt_i32_e64 s10, s24, v83
	v_cmp_gt_i32_e64 s11, s24, v84
	v_dual_mul_f32 v91, s19, v103 :: v_dual_mul_f32 v106, s19, v98
	s_delay_alu instid0(VALU_DEP_4) | instskip(NEXT) | instid1(VALU_DEP_4)
	v_max3_f32 v75, v77, v76, v75
	v_cndmask_b32_e64 v78, 0xff7fffff, v107, s10
	s_delay_alu instid0(VALU_DEP_4)
	v_cndmask_b32_e64 v79, 0xff7fffff, v104, s11
	v_cmp_gt_i32_e64 s12, s24, v85
	v_cmp_gt_i32_e64 s13, s24, v86
	v_mul_f32_e32 v93, s19, v101
	v_cmp_gt_i32_e64 s15, s24, v87
	v_max3_f32 v75, v75, v78, v79
	v_cndmask_b32_e64 v76, 0xff7fffff, v106, s12
	v_cndmask_b32_e64 v77, 0xff7fffff, v95, s13
	v_cmp_gt_i32_e64 s16, s24, v72
	v_cndmask_b32_e64 v78, 0xff7fffff, v94, s15
	v_cmp_gt_i32_e64 s17, s24, v73
	v_cmp_gt_i32_e64 s18, s24, v74
	v_max3_f32 v75, v75, v76, v77
	v_cndmask_b32_e64 v72, 0xff7fffff, v93, s16
	s_delay_alu instid0(VALU_DEP_4) | instskip(NEXT) | instid1(VALU_DEP_4)
	v_cndmask_b32_e64 v73, 0xff7fffff, v92, s17
	v_cndmask_b32_e64 v74, 0xff7fffff, v91, s18
	s_delay_alu instid0(VALU_DEP_3) | instskip(SKIP_1) | instid1(VALU_DEP_2)
	v_max3_f32 v72, v75, v78, v72
	v_lshlrev_b32_e32 v75, 2, v105
	v_max3_f32 v72, v72, v73, v74
	ds_bpermute_b32 v73, v75, v72
	s_waitcnt lgkmcnt(0)
	v_max_f32_e32 v73, v73, v73
	s_delay_alu instid0(VALU_DEP_1) | instskip(NEXT) | instid1(VALU_DEP_1)
	v_max_f32_e32 v72, v72, v73
	v_fma_f32 v76, s19, v114, -v72
	v_fma_f32 v73, s19, v112, -v72
	;; [unrolled: 1-line block ×5, first 2 shown]
	v_mul_f32_e32 v76, 0x3fb8aa3b, v76
	v_fma_f32 v82, s19, v118, -v72
	s_delay_alu instid0(VALU_DEP_4) | instskip(SKIP_1) | instid1(VALU_DEP_4)
	v_dual_mul_f32 v79, 0x3fb8aa3b, v79 :: v_dual_mul_f32 v74, 0x3fb8aa3b, v74
	v_fma_f32 v86, s19, v99, -v72
	v_exp_f32_e32 v76, v76
	s_delay_alu instid0(VALU_DEP_3) | instskip(NEXT) | instid1(VALU_DEP_3)
	v_mul_f32_e32 v82, 0x3fb8aa3b, v82
	v_exp_f32_e32 v83, v79
	v_exp_f32_e32 v74, v74
	v_mul_f32_e32 v88, 0x3fb8aa3b, v86
	v_fma_f32 v91, s19, v103, -v72
	v_exp_f32_e32 v84, v82
	v_fma_f32 v89, s19, v101, -v72
	s_delay_alu instid0(VALU_DEP_3)
	v_exp_f32_e32 v90, v88
	v_cndmask_b32_e64 v80, 0, v76, s4
	v_mul_f32_e32 v73, 0x3fb8aa3b, v73
	v_fma_f32 v76, s19, v119, -v72
	v_mul_f32_e32 v77, 0x3fb8aa3b, v77
	v_cndmask_b32_e64 v82, 0, v83, s6
	v_fma_f32 v83, s19, v97, -v72
	v_exp_f32_e32 v73, v73
	v_mul_f32_e32 v76, 0x3fb8aa3b, v76
	v_exp_f32_e32 v81, v77
	v_cndmask_b32_e64 v84, 0, v84, s8
	v_mul_f32_e32 v83, 0x3fb8aa3b, v83
	v_mul_f32_e32 v89, 0x3fb8aa3b, v89
	v_exp_f32_e32 v76, v76
	s_delay_alu instid0(VALU_DEP_2) | instskip(SKIP_2) | instid1(TRANS32_DEP_3)
	v_exp_f32_e32 v87, v83
	v_cndmask_b32_e64 v78, 0, v73, s3
	v_fma_f32 v73, s19, v117, -v72
	v_cndmask_b32_e64 v79, 0, v81, s5
	v_cndmask_b32_e32 v77, 0, v74, vcc_lo
	v_fma_f32 v81, s19, v96, -v72
	s_delay_alu instid0(VALU_DEP_4) | instskip(NEXT) | instid1(TRANS32_DEP_2)
	v_dual_add_f32 v74, 0, v78 :: v_dual_mul_f32 v73, 0x3fb8aa3b, v73
	v_cndmask_b32_e64 v83, 0, v76, s9
	v_fma_f32 v76, s19, v100, -v72
	s_delay_alu instid0(VALU_DEP_4) | instskip(NEXT) | instid1(VALU_DEP_4)
	v_mul_f32_e32 v85, 0x3fb8aa3b, v81
	v_add_f32_e32 v74, v74, v77
	v_exp_f32_e32 v73, v73
	v_exp_f32_e32 v89, v89
	v_mul_f32_e32 v76, 0x3fb8aa3b, v76
	v_exp_f32_e32 v85, v85
	v_add_f32_e32 v74, v74, v80
	s_mov_b32 s3, exec_lo
	s_delay_alu instid0(VALU_DEP_2) | instskip(NEXT) | instid1(VALU_DEP_1)
	v_exp_f32_e32 v76, v76
	v_add_f32_e32 v74, v74, v79
	v_cndmask_b32_e64 v81, 0, v73, s7
	s_delay_alu instid0(TRANS32_DEP_3)
	v_cndmask_b32_e64 v89, 0, v89, s16
	s_waitcnt_depctr 0xfff
	v_cndmask_b32_e64 v86, 0, v85, s10
	v_cndmask_b32_e64 v85, 0, v87, s11
	v_fma_f32 v87, s19, v102, -v72
	v_add_f32_e32 v73, v74, v82
	v_fma_f32 v74, s19, v98, -v72
	s_delay_alu instid0(VALU_DEP_1) | instskip(NEXT) | instid1(VALU_DEP_1)
	v_mul_f32_e32 v74, 0x3fb8aa3b, v74
	v_exp_f32_e32 v74, v74
	s_waitcnt_depctr 0xfff
	v_cndmask_b32_e64 v88, 0, v74, s12
	v_dual_mul_f32 v74, 0x3fb8aa3b, v87 :: v_dual_add_f32 v73, v73, v81
	v_cndmask_b32_e64 v87, 0, v90, s13
	v_cndmask_b32_e64 v90, 0, v76, s15
	v_mul_f32_e32 v76, 0x3fb8aa3b, v91
	s_delay_alu instid0(VALU_DEP_4) | instskip(SKIP_1) | instid1(VALU_DEP_2)
	v_exp_f32_e32 v74, v74
	v_add_f32_e32 v73, v73, v84
	v_exp_f32_e32 v76, v76
	s_delay_alu instid0(VALU_DEP_1) | instskip(SKIP_4) | instid1(VALU_DEP_2)
	v_add_f32_e32 v73, v73, v83
	s_waitcnt_depctr 0xfff
	v_cndmask_b32_e64 v92, 0, v74, s17
	v_add_f32_e32 v73, v73, v86
	v_cndmask_b32_e64 v91, 0, v76, s18
	v_add_f32_e32 v73, v73, v85
	s_delay_alu instid0(VALU_DEP_1) | instskip(NEXT) | instid1(VALU_DEP_1)
	v_add_f32_e32 v73, v73, v88
	v_add_f32_e32 v73, v73, v87
	s_delay_alu instid0(VALU_DEP_1) | instskip(NEXT) | instid1(VALU_DEP_1)
	v_add_f32_e32 v73, v73, v90
	;; [unrolled: 3-line block ×3, first 2 shown]
	v_add_f32_e32 v73, v73, v91
	ds_bpermute_b32 v74, v75, v73
	v_cmpx_gt_u32_e32 16, v71
	s_cbranch_execz .LBB845_12
; %bb.11:
	v_mul_u32_u24_e32 v71, 0x44, v69
	s_waitcnt lgkmcnt(0)
	v_add_f32_e32 v73, v73, v74
	s_delay_alu instid0(VALU_DEP_2) | instskip(NEXT) | instid1(VALU_DEP_1)
	v_lshl_add_u32 v71, v70, 2, v71
	v_add_nc_u32_e32 v71, 0x4000, v71
	ds_store_2addr_b32 v71, v72, v73 offset1:136
.LBB845_12:
	s_or_b32 exec_lo, exec_lo, s3
	v_lshlrev_b32_e32 v70, 2, v70
	s_load_b32 s35, s[0:1], 0x94
	s_waitcnt lgkmcnt(0)
	s_barrier
	buffer_gl0_inv
	v_add_nc_u32_e32 v74, 0x4000, v70
	v_cmp_eq_u32_e32 vcc_lo, 1, v69
	v_cmp_eq_u32_e64 s3, 2, v69
	v_cmp_eq_u32_e64 s4, 3, v69
	;; [unrolled: 1-line block ×3, first 2 shown]
	ds_load_2addr_b32 v[70:71], v74 offset1:17
	ds_load_2addr_b32 v[72:73], v74 offset0:34 offset1:51
	ds_load_2addr_b32 v[93:94], v74 offset0:68 offset1:85
	;; [unrolled: 1-line block ×3, first 2 shown]
	v_cmp_eq_u32_e64 s6, 7, v69
	s_waitcnt lgkmcnt(3)
	v_max3_f32 v75, v70, 0xff7fffff, v71
	s_waitcnt lgkmcnt(2)
	s_delay_alu instid0(VALU_DEP_1) | instskip(SKIP_1) | instid1(VALU_DEP_1)
	v_max3_f32 v75, v75, v72, v73
	s_waitcnt lgkmcnt(1)
	v_max3_f32 v75, v75, v93, v94
	s_waitcnt lgkmcnt(0)
	s_delay_alu instid0(VALU_DEP_1) | instskip(NEXT) | instid1(VALU_DEP_1)
	v_max3_f32 v75, v75, v95, v96
	v_sub_f32_e32 v93, v93, v75
	ds_load_2addr_b32 v[97:98], v74 offset0:136 offset1:153
	v_sub_f32_e32 v70, v70, v75
	v_dual_sub_f32 v100, v73, v75 :: v_dual_mul_f32 v103, 0x3fb8aa3b, v93
	s_delay_alu instid0(VALU_DEP_2) | instskip(SKIP_3) | instid1(VALU_DEP_1)
	v_dual_sub_f32 v76, v71, v75 :: v_dual_mul_f32 v99, 0x3fb8aa3b, v70
	ds_load_2addr_b32 v[70:71], v74 offset0:170 offset1:187
	v_mul_f32_e32 v76, 0x3fb8aa3b, v76
	v_exp_f32_e32 v99, v99
	v_exp_f32_e32 v102, v76
	v_mul_f32_e32 v100, 0x3fb8aa3b, v100
	s_waitcnt lgkmcnt(1)
	s_waitcnt_depctr 0xfff
	v_fma_f32 v76, v99, v97, 0
	v_sub_f32_e32 v97, v94, v75
	v_sub_f32_e32 v72, v72, v75
	v_exp_f32_e32 v100, v100
	ds_load_2addr_b32 v[93:94], v74 offset0:238 offset1:255
	v_dual_fmac_f32 v76, v102, v98 :: v_dual_mul_f32 v101, 0x3fb8aa3b, v72
	ds_load_2addr_b32 v[72:73], v74 offset0:204 offset1:221
	v_dual_sub_f32 v74, v95, v75 :: v_dual_mul_f32 v95, 0x3fb8aa3b, v97
	v_exp_f32_e32 v97, v103
	v_exp_f32_e32 v101, v101
	s_waitcnt lgkmcnt(0)
	s_delay_alu instid0(VALU_DEP_1)
	v_mul_f32_e32 v74, 0x3fb8aa3b, v74
	v_exp_f32_e32 v95, v95
	s_barrier
	buffer_gl0_inv
	v_fmac_f32_e32 v76, v101, v70
	v_sub_f32_e32 v70, v96, v75
	v_exp_f32_e32 v96, v74
	s_delay_alu instid0(VALU_DEP_2) | instskip(NEXT) | instid1(VALU_DEP_2)
	v_fmac_f32_e32 v76, v100, v71
	v_mul_f32_e32 v70, 0x3fb8aa3b, v70
	s_delay_alu instid0(VALU_DEP_2) | instskip(NEXT) | instid1(VALU_DEP_2)
	v_dual_cndmask_b32 v71, v99, v102 :: v_dual_fmac_f32 v76, v97, v72
	v_exp_f32_e32 v98, v70
	s_delay_alu instid0(VALU_DEP_1) | instskip(SKIP_2) | instid1(VALU_DEP_1)
	v_fmac_f32_e32 v76, v95, v73
	s_waitcnt_depctr 0xfff
	v_fmac_f32_e32 v76, v96, v93
	v_fmac_f32_e32 v76, v98, v94
	s_delay_alu instid0(VALU_DEP_1) | instskip(NEXT) | instid1(VALU_DEP_1)
	v_add_f32_e32 v93, 0x358637bd, v76
	v_div_scale_f32 v94, null, v93, v93, 1.0
	v_div_scale_f32 v99, vcc_lo, 1.0, v93, 1.0
	s_delay_alu instid0(VALU_DEP_2) | instskip(SKIP_2) | instid1(VALU_DEP_1)
	v_rcp_f32_e32 v103, v94
	s_waitcnt_depctr 0xfff
	v_fma_f32 v70, -v94, v103, 1.0
	v_fmac_f32_e32 v103, v70, v103
	v_cndmask_b32_e64 v70, v71, v101, s3
	v_cmp_eq_u32_e64 s3, 4, v69
	v_lshlrev_b32_e32 v71, 2, v66
	s_delay_alu instid0(VALU_DEP_4) | instskip(NEXT) | instid1(VALU_DEP_4)
	v_mul_f32_e32 v101, v99, v103
	v_cndmask_b32_e64 v72, v70, v100, s4
	v_cmp_eq_u32_e64 s4, 6, v69
	v_lshl_or_b32 v70, v69, 11, v68
	v_or_b32_e32 v74, 1, v71
	v_fma_f32 v73, -v94, v101, v99
	v_cndmask_b32_e64 v72, v72, v97, s3
	v_cmp_eq_u32_e64 s3, 1, v71
	v_lshl_or_b32 v69, v66, 4, v70
	v_cmp_eq_u32_e64 s9, 1, v74
	v_fmac_f32_e32 v101, v73, v103
	v_cndmask_b32_e64 v95, v72, v95, s5
	v_or_b32_e32 v72, 2, v71
	v_or_b32_e32 v73, 3, v71
	v_cmp_eq_u32_e64 s12, 2, v74
	v_fma_f32 v94, -v94, v101, v99
	v_cndmask_b32_e64 v95, v95, v96, s4
	v_cmp_eq_u32_e64 s10, 1, v72
	v_cmp_eq_u32_e64 s11, 1, v73
	;; [unrolled: 1-line block ×3, first 2 shown]
	v_div_fmas_f32 v94, v94, v103, v101
	v_cndmask_b32_e64 v95, v95, v98, s6
	v_cmp_eq_u32_e32 vcc_lo, 2, v71
	v_cmp_eq_u32_e64 s16, 2, v73
	v_cmp_eq_u32_e64 s18, 3, v73
	v_div_fixup_f32 v93, v94, v93, 1.0
	v_cmp_eq_u32_e64 s4, 3, v71
	v_cmp_eq_u32_e64 s13, 3, v74
	;; [unrolled: 1-line block ×4, first 2 shown]
	v_mul_f32_e32 v101, v95, v93
	v_cmp_eq_u32_e64 s5, 4, v71
	v_cmp_eq_u32_e64 s19, 4, v74
	;; [unrolled: 1-line block ×4, first 2 shown]
	v_fma_mixlo_f16 v93, v101, v78, 0
	v_fma_mixlo_f16 v94, v101, v80, 0
	;; [unrolled: 1-line block ×8, first 2 shown]
	v_fma_mixhi_f16 v93, v101, v77, 0
	v_fma_mixhi_f16 v94, v101, v79, 0
	;; [unrolled: 1-line block ×8, first 2 shown]
	ds_store_b128 v69, v[93:96]
	ds_store_b128 v69, v[97:100] offset:1024
	s_waitcnt lgkmcnt(0)
	s_barrier
	buffer_gl0_inv
	ds_load_b128 v[77:80], v70
	ds_load_b128 v[81:84], v70 offset:16
	ds_load_b128 v[85:88], v70 offset:1024
	ds_load_b128 v[89:92], v70 offset:1040
	v_cmp_eq_u32_e64 s6, 5, v71
	v_cmp_eq_u32_e64 s20, 5, v74
	;; [unrolled: 1-line block ×11, first 2 shown]
	s_waitcnt lgkmcnt(3)
	v_lshrrev_b32_e32 v93, 16, v77
	s_waitcnt lgkmcnt(2)
	v_lshrrev_b32_e32 v97, 16, v81
	;; [unrolled: 2-line block ×4, first 2 shown]
	v_lshrrev_b32_e32 v94, 16, v78
	v_cndmask_b32_e64 v109, v77, v93, s3
	v_cndmask_b32_e64 v110, v81, v97, s3
	;; [unrolled: 1-line block ×8, first 2 shown]
	v_lshrrev_b32_e32 v98, 16, v82
	v_cndmask_b32_e64 v93, v85, v101, s3
	v_cndmask_b32_e64 v97, v89, v105, s3
	;; [unrolled: 1-line block ×5, first 2 shown]
	v_cndmask_b32_e32 v101, v109, v78, vcc_lo
	v_cndmask_b32_e64 v109, v111, v78, s12
	v_cndmask_b32_e64 v111, v113, v78, s15
	;; [unrolled: 1-line block ×4, first 2 shown]
	v_lshrrev_b32_e32 v102, 16, v86
	v_lshrrev_b32_e32 v106, 16, v90
	v_cndmask_b32_e64 v116, v89, v105, s9
	v_cndmask_b32_e64 v118, v89, v105, s10
	;; [unrolled: 1-line block ×3, first 2 shown]
	v_cndmask_b32_e32 v105, v110, v82, vcc_lo
	v_cndmask_b32_e64 v110, v112, v82, s12
	v_cndmask_b32_e64 v112, v114, v82, s15
	v_cndmask_b32_e32 v81, v93, v86, vcc_lo
	v_cndmask_b32_e32 v82, v97, v90, vcc_lo
	v_cndmask_b32_e64 v93, v115, v86, s12
	v_cndmask_b32_e64 v77, v77, v94, s18
	;; [unrolled: 1-line block ×3, first 2 shown]
	v_lshrrev_b32_e32 v95, 16, v79
	v_lshrrev_b32_e32 v99, 16, v83
	v_cndmask_b32_e64 v97, v117, v86, s15
	v_cndmask_b32_e64 v85, v85, v86, s16
	;; [unrolled: 1-line block ×14, first 2 shown]
	v_lshrrev_b32_e32 v103, 16, v87
	v_cndmask_b32_e64 v89, v89, v79, s5
	v_cndmask_b32_e64 v94, v101, v83, s5
	;; [unrolled: 1-line block ×11, first 2 shown]
	v_lshrrev_b32_e32 v96, 16, v80
	v_lshrrev_b32_e32 v100, 16, v84
	v_cndmask_b32_e64 v83, v89, v95, s6
	v_cndmask_b32_e64 v89, v94, v99, s6
	;; [unrolled: 1-line block ×9, first 2 shown]
	v_lshrrev_b32_e32 v104, 16, v88
	v_cndmask_b32_e64 v79, v79, v103, s6
	v_cndmask_b32_e64 v83, v83, v80, s7
	v_cndmask_b32_e64 v89, v89, v84, s7
	v_cndmask_b32_e64 v93, v93, v80, s25
	v_cndmask_b32_e64 v94, v94, v84, s25
	v_cndmask_b32_e64 v95, v98, v80, s26
	v_cndmask_b32_e64 v98, v101, v84, s26
	v_cndmask_b32_e64 v80, v82, v88, s25
	v_cndmask_b32_e64 v77, v77, v96, s29
	v_cndmask_b32_e64 v78, v78, v100, s29
	v_cndmask_b32_e64 v113, v118, v90, s15
	v_cndmask_b32_e64 v79, v79, v88, s7
	v_cndmask_b32_e64 v82, v83, v96, s8
	v_cndmask_b32_e64 v83, v89, v100, s8
	v_cndmask_b32_e64 v84, v93, v96, s30
	v_cndmask_b32_e64 v89, v95, v96, s28
	v_cndmask_b32_e64 v93, v98, v100, s28
	v_cndmask_b32_e64 v94, v94, v100, s30
	v_cndmask_b32_e64 v96, v80, v104, s30
	v_perm_b32 v80, v78, v77, 0x5040100
	v_cndmask_b32_e64 v77, v116, v90, s12
	v_cndmask_b32_e64 v95, v79, v104, s8
	v_perm_b32 v79, v93, v89, 0x5040100
	v_perm_b32 v78, v94, v84, 0x5040100
	v_cndmask_b32_e64 v84, v97, v102, s17
	v_cndmask_b32_e64 v85, v85, v102, s18
	;; [unrolled: 1-line block ×5, first 2 shown]
	v_lshrrev_b32_e32 v107, 16, v91
	v_cndmask_b32_e64 v84, v84, v87, s21
	v_cndmask_b32_e64 v85, v85, v87, s22
	;; [unrolled: 1-line block ×11, first 2 shown]
	v_lshrrev_b32_e32 v108, 16, v92
	v_cndmask_b32_e64 v81, v81, v92, s7
	v_cndmask_b32_e64 v84, v84, v88, s26
	;; [unrolled: 1-line block ×12, first 2 shown]
	v_perm_b32 v77, v83, v82, 0x5040100
	v_perm_b32 v84, v85, v84, 0x5040100
	;; [unrolled: 1-line block ×5, first 2 shown]
	s_lshl_b32 s8, s33, 4
	s_mov_b32 s3, exec_lo
	ds_store_b128 v69, v[77:80]
	ds_store_b128 v69, v[81:84] offset:1024
	v_cmpx_gt_u32_e32 16, v0
	s_cbranch_execz .LBB845_14
; %bb.13:
	v_or_b32_e32 v77, s31, v0
	s_load_b128 s[4:7], s[0:1], 0x58
	s_delay_alu instid0(VALU_DEP_1) | instskip(NEXT) | instid1(VALU_DEP_1)
	v_mad_u64_u32 v[78:79], null, s8, s34, v[77:78]
	v_mad_u64_u32 v[79:80], null, v78, s35, s[14:15]
	s_delay_alu instid0(VALU_DEP_1) | instskip(NEXT) | instid1(VALU_DEP_1)
	v_ashrrev_i32_e32 v80, 31, v79
	v_lshlrev_b64 v[77:78], 2, v[79:80]
	s_waitcnt lgkmcnt(0)
	s_delay_alu instid0(VALU_DEP_1) | instskip(NEXT) | instid1(VALU_DEP_2)
	v_add_co_u32 v79, vcc_lo, s6, v77
	v_add_co_ci_u32_e32 v80, vcc_lo, s7, v78, vcc_lo
	v_add_co_u32 v77, vcc_lo, s4, v77
	v_add_co_ci_u32_e32 v78, vcc_lo, s5, v78, vcc_lo
	global_store_b32 v[79:80], v75, off
	global_store_b32 v[77:78], v76, off
.LBB845_14:
	s_or_b32 exec_lo, exec_lo, s3
	s_waitcnt lgkmcnt(0)
	s_waitcnt_vscnt null, 0x0
	s_barrier
	buffer_gl0_inv
	ds_load_b128 v[83:86], v68
	ds_load_b128 v[87:90], v68 offset:16
	ds_load_b128 v[95:98], v68 offset:2064
	;; [unrolled: 1-line block ×5, first 2 shown]
	v_cmp_eq_u32_e32 vcc_lo, 1, v71
	v_mov_b32_e32 v75, 0
	ds_load_b128 v[111:114], v68 offset:6160
	ds_load_b128 v[107:110], v68 offset:6144
	;; [unrolled: 1-line block ×4, first 2 shown]
	v_cmp_eq_u32_e64 s4, 1, v72
	v_cmp_eq_u32_e64 s3, 1, v74
	;; [unrolled: 1-line block ×3, first 2 shown]
	v_mov_b32_e32 v76, v75
	v_mov_b32_e32 v77, v75
	;; [unrolled: 1-line block ×7, first 2 shown]
	v_cmp_eq_u32_e64 s6, 3, v74
	v_cmp_eq_u32_e64 s7, 7, v74
	s_waitcnt lgkmcnt(8)
	s_delay_alu instid0(VALU_DEP_3)
	v_wmma_f32_16x16x16_f16 v[75:82], v[49:56], v[83:90], v[75:82]
	ds_load_b128 v[53:56], v68 offset:10256
	ds_load_b128 v[49:52], v68 offset:10240
	s_waitcnt lgkmcnt(8)
	v_wmma_f32_16x16x16_f16 v[75:82], v[41:48], v[91:98], v[75:82]
	ds_load_b128 v[45:48], v68 offset:12304
	ds_load_b128 v[41:44], v68 offset:12288
	s_waitcnt lgkmcnt(8)
	;; [unrolled: 4-line block ×3, first 2 shown]
	s_barrier
	buffer_gl0_inv
	v_wmma_f32_16x16x16_f16 v[75:82], v[1:8], v[107:114], v[75:82]
	s_delay_alu instid0(VALU_DEP_1) | instskip(NEXT) | instid1(VALU_DEP_1)
	v_wmma_f32_16x16x16_f16 v[75:82], v[9:16], v[115:122], v[75:82]
	v_wmma_f32_16x16x16_f16 v[75:82], v[17:24], v[49:56], v[75:82]
	s_delay_alu instid0(VALU_DEP_1) | instskip(NEXT) | instid1(VALU_DEP_1)
	v_wmma_f32_16x16x16_f16 v[75:82], v[25:32], v[41:48], v[75:82]
	v_wmma_f32_16x16x16_f16 v[75:82], v[57:64], v[33:40], v[75:82]
	s_delay_alu instid0(VALU_DEP_1) | instskip(NEXT) | instid1(VALU_DEP_2)
	v_cvt_f16_f32_e32 v1, v75
	v_cvt_f16_f32_e32 v2, v76
	s_delay_alu instid0(VALU_DEP_3) | instskip(NEXT) | instid1(VALU_DEP_4)
	v_cvt_f16_f32_e32 v3, v77
	v_cvt_f16_f32_e32 v4, v78
	;; [unrolled: 1-line block ×6, first 2 shown]
	v_pack_b32_f16 v1, v1, v2
	v_pack_b32_f16 v2, v3, v4
	;; [unrolled: 1-line block ×3, first 2 shown]
	s_delay_alu instid0(VALU_DEP_4)
	v_pack_b32_f16 v4, v7, v8
	ds_store_b128 v69, v[1:4]
	s_waitcnt lgkmcnt(0)
	s_barrier
	buffer_gl0_inv
	ds_load_b128 v[1:4], v70
	ds_load_b128 v[5:8], v70 offset:16
	s_waitcnt lgkmcnt(1)
	v_lshrrev_b32_e32 v9, 16, v1
	s_waitcnt lgkmcnt(0)
	v_lshrrev_b32_e32 v13, 16, v5
	v_lshrrev_b32_e32 v10, 16, v2
	v_lshrrev_b32_e32 v14, 16, v6
	v_lshrrev_b32_e32 v11, 16, v3
	v_cndmask_b32_e32 v17, v1, v9, vcc_lo
	v_cndmask_b32_e32 v18, v5, v13, vcc_lo
	v_cndmask_b32_e64 v21, v1, v9, s4
	v_cmp_eq_u32_e32 vcc_lo, 1, v73
	v_cndmask_b32_e64 v22, v5, v13, s4
	v_cmp_eq_u32_e64 s4, 2, v71
	v_cndmask_b32_e64 v19, v1, v9, s3
	v_cndmask_b32_e64 v20, v5, v13, s3
	v_cndmask_b32_e32 v1, v1, v9, vcc_lo
	v_cmp_eq_u32_e64 s3, 2, v73
	v_cndmask_b32_e32 v5, v5, v13, vcc_lo
	v_cndmask_b32_e64 v9, v17, v2, s4
	v_cmp_eq_u32_e32 vcc_lo, 3, v71
	v_cndmask_b32_e64 v13, v18, v6, s4
	v_cmp_eq_u32_e64 s4, 2, v72
	v_cndmask_b32_e64 v17, v19, v2, s5
	v_cndmask_b32_e64 v18, v20, v6, s5
	v_cmp_eq_u32_e64 s5, 3, v72
	v_cndmask_b32_e64 v1, v1, v2, s3
	v_cndmask_b32_e64 v19, v21, v2, s4
	;; [unrolled: 1-line block ×4, first 2 shown]
	v_cndmask_b32_e32 v5, v9, v10, vcc_lo
	v_cndmask_b32_e32 v6, v13, v14, vcc_lo
	v_cmp_eq_u32_e32 vcc_lo, 3, v73
	v_cndmask_b32_e64 v9, v17, v10, s6
	v_cndmask_b32_e64 v13, v18, v14, s6
	;; [unrolled: 1-line block ×3, first 2 shown]
	v_cmp_eq_u32_e64 s4, 4, v71
	v_cndmask_b32_e32 v1, v1, v10, vcc_lo
	v_cndmask_b32_e32 v2, v2, v14, vcc_lo
	v_cmp_eq_u32_e32 vcc_lo, 4, v74
	v_lshrrev_b32_e32 v15, 16, v7
	v_lshrrev_b32_e32 v16, 16, v8
	v_cndmask_b32_e64 v17, v19, v10, s5
	v_cmp_eq_u32_e64 s3, 4, v73
	v_cndmask_b32_e64 v5, v5, v3, s4
	v_cndmask_b32_e64 v6, v6, v7, s4
	v_cndmask_b32_e32 v9, v9, v3, vcc_lo
	v_cmp_eq_u32_e64 s4, 5, v74
	v_cndmask_b32_e32 v10, v13, v7, vcc_lo
	v_cmp_eq_u32_e32 vcc_lo, 4, v72
	v_cmp_eq_u32_e64 s5, 5, v71
	v_cndmask_b32_e64 v2, v2, v7, s3
	v_cndmask_b32_e64 v9, v9, v11, s4
	;; [unrolled: 1-line block ×3, first 2 shown]
	v_cndmask_b32_e32 v13, v17, v3, vcc_lo
	v_cmp_eq_u32_e64 s4, 5, v72
	v_cndmask_b32_e32 v14, v18, v7, vcc_lo
	v_cndmask_b32_e64 v1, v1, v3, s3
	v_cmp_eq_u32_e32 vcc_lo, 5, v73
	v_lshrrev_b32_e32 v12, 16, v4
	v_cndmask_b32_e64 v13, v13, v11, s4
	v_cndmask_b32_e64 v3, v14, v15, s4
	v_cmp_eq_u32_e64 s4, 6, v73
	v_cndmask_b32_e32 v1, v1, v11, vcc_lo
	v_cndmask_b32_e64 v5, v5, v11, s5
	v_cmp_eq_u32_e64 s6, 6, v71
	v_cndmask_b32_e64 v6, v6, v15, s5
	v_cmp_eq_u32_e64 s5, 6, v74
	v_cmp_eq_u32_e64 s3, 6, v72
	v_cndmask_b32_e64 v1, v1, v4, s4
	v_cndmask_b32_e32 v2, v2, v15, vcc_lo
	v_cmp_eq_u32_e32 vcc_lo, 7, v73
	v_cndmask_b32_e64 v5, v5, v4, s6
	v_cndmask_b32_e64 v9, v9, v4, s5
	;; [unrolled: 1-line block ×3, first 2 shown]
	v_cmp_eq_u32_e64 s6, 7, v71
	v_cndmask_b32_e32 v1, v1, v12, vcc_lo
	v_cndmask_b32_e64 v7, v13, v4, s3
	v_cndmask_b32_e64 v3, v3, v8, s3
	;; [unrolled: 1-line block ×3, first 2 shown]
	v_cmp_eq_u32_e64 s3, 7, v72
	v_cndmask_b32_e64 v4, v10, v8, s5
	v_cndmask_b32_e64 v5, v5, v12, s6
	;; [unrolled: 1-line block ×3, first 2 shown]
	v_cndmask_b32_e32 v2, v2, v16, vcc_lo
	v_cndmask_b32_e64 v7, v7, v12, s3
	v_cndmask_b32_e64 v3, v3, v16, s3
	;; [unrolled: 1-line block ×4, first 2 shown]
	v_cmp_gt_u32_e32 vcc_lo, 32, v0
	v_perm_b32 v4, v2, v1, 0x5040100
	v_perm_b32 v3, v3, v7, 0x5040100
	;; [unrolled: 1-line block ×4, first 2 shown]
	s_and_b32 s2, vcc_lo, s2
	ds_store_b128 v69, v[1:4]
	s_waitcnt lgkmcnt(0)
	s_barrier
	buffer_gl0_inv
	s_and_saveexec_b32 s3, s2
	s_cbranch_execz .LBB845_2
; %bb.15:
	s_load_b64 s[0:1], s[0:1], 0x68
	v_lshlrev_b32_e32 v0, 10, v0
	s_lshl_b32 s4, s35, 6
	v_or_b32_e32 v23, s31, v66
	s_mul_i32 s2, s4, s34
	v_lshlrev_b32_e32 v1, 4, v67
	v_lshlrev_b32_e32 v2, 6, v66
	s_mul_i32 s2, s2, s8
	v_and_b32_e32 v0, 0x3800, v0
	v_mul_lo_u32 v8, v23, s4
	s_ashr_i32 s3, s2, 31
	v_or_b32_e32 v3, 2, v23
	s_lshl_b64 s[2:3], s[2:3], 1
	v_or3_b32 v27, v0, v1, v2
	v_or_b32_e32 v11, 4, v23
	v_or_b32_e32 v18, 6, v23
	v_mul_lo_u32 v10, v3, s4
	v_ashrrev_i32_e32 v9, 31, v8
	ds_load_b128 v[0:3], v27
	ds_load_b128 v[4:7], v27 offset:128
	v_mul_lo_u32 v12, v11, s4
	s_waitcnt lgkmcnt(0)
	s_add_u32 s2, s0, s2
	s_addc_u32 s3, s1, s3
	s_lshl_b32 s0, s14, 6
	v_lshlrev_b64 v[8:9], 1, v[8:9]
	s_ashr_i32 s1, s0, 31
	v_ashrrev_i32_e32 v11, 31, v10
	s_lshl_b64 s[0:1], s[0:1], 1
	v_ashrrev_i32_e32 v13, 31, v12
	s_add_u32 s0, s2, s0
	s_addc_u32 s1, s3, s1
	v_add_co_u32 v30, s0, s0, v65
	s_delay_alu instid0(VALU_DEP_1) | instskip(SKIP_1) | instid1(VALU_DEP_3)
	v_add_co_ci_u32_e64 v31, null, s1, 0, s0
	v_lshlrev_b64 v[16:17], 1, v[10:11]
	v_add_co_u32 v14, vcc_lo, v30, v8
	s_delay_alu instid0(VALU_DEP_3)
	v_add_co_ci_u32_e32 v15, vcc_lo, v31, v9, vcc_lo
	ds_load_b128 v[8:11], v27 offset:256
	v_mul_lo_u32 v18, v18, s4
	v_or_b32_e32 v19, 8, v23
	v_add_co_u32 v16, vcc_lo, v30, v16
	global_store_b128 v[14:15], v[0:3], off
	v_lshlrev_b64 v[0:1], 1, v[12:13]
	v_add_co_ci_u32_e32 v17, vcc_lo, v31, v17, vcc_lo
	v_mul_lo_u32 v12, v19, s4
	v_ashrrev_i32_e32 v19, 31, v18
	v_or_b32_e32 v14, 10, v23
	global_store_b128 v[16:17], v[4:7], off
	v_add_co_u32 v4, vcc_lo, v30, v0
	v_add_co_ci_u32_e32 v5, vcc_lo, v31, v1, vcc_lo
	ds_load_b128 v[0:3], v27 offset:384
	v_ashrrev_i32_e32 v13, 31, v12
	v_lshlrev_b64 v[6:7], 1, v[18:19]
	v_mul_lo_u32 v14, v14, s4
	s_waitcnt lgkmcnt(1)
	global_store_b128 v[4:5], v[8:11], off
	v_or_b32_e32 v8, 12, v23
	v_lshlrev_b64 v[4:5], 1, v[12:13]
	v_add_co_u32 v20, vcc_lo, v30, v6
	v_or_b32_e32 v6, 14, v23
	v_ashrrev_i32_e32 v15, 31, v14
	v_mul_lo_u32 v22, v8, s4
	v_add_co_ci_u32_e32 v21, vcc_lo, v31, v7, vcc_lo
	v_add_co_u32 v24, vcc_lo, v30, v4
	v_mul_lo_u32 v26, v6, s4
	v_add_co_ci_u32_e32 v25, vcc_lo, v31, v5, vcc_lo
	v_lshlrev_b64 v[28:29], 1, v[14:15]
	ds_load_b128 v[4:7], v27 offset:512
	ds_load_b128 v[8:11], v27 offset:640
	;; [unrolled: 1-line block ×4, first 2 shown]
	v_ashrrev_i32_e32 v23, 31, v22
	v_ashrrev_i32_e32 v27, 31, v26
	v_add_co_u32 v28, vcc_lo, v30, v28
	s_delay_alu instid0(VALU_DEP_3) | instskip(SKIP_1) | instid1(VALU_DEP_4)
	v_lshlrev_b64 v[22:23], 1, v[22:23]
	v_add_co_ci_u32_e32 v29, vcc_lo, v31, v29, vcc_lo
	v_lshlrev_b64 v[26:27], 1, v[26:27]
	s_delay_alu instid0(VALU_DEP_3) | instskip(NEXT) | instid1(VALU_DEP_4)
	v_add_co_u32 v22, vcc_lo, v30, v22
	v_add_co_ci_u32_e32 v23, vcc_lo, v31, v23, vcc_lo
	s_delay_alu instid0(VALU_DEP_3) | instskip(NEXT) | instid1(VALU_DEP_4)
	v_add_co_u32 v26, vcc_lo, v30, v26
	v_add_co_ci_u32_e32 v27, vcc_lo, v31, v27, vcc_lo
	s_waitcnt lgkmcnt(4)
	global_store_b128 v[20:21], v[0:3], off
	s_waitcnt lgkmcnt(3)
	global_store_b128 v[24:25], v[4:7], off
	;; [unrolled: 2-line block ×5, first 2 shown]
	s_nop 0
	s_sendmsg sendmsg(MSG_DEALLOC_VGPRS)
	s_endpgm
	.section	.rodata,"a",@progbits
	.p2align	6, 0x0
	.amdhsa_kernel _Z39paged_attention_ll4mi_QKV_mfma16_kernelIDF16_hLN4vllm18Fp8KVCacheDataTypeE1EDF16_Li16ELi64ELi256ELb0ELi16EL8MFMAType1EEvPKT_PKT0_S8_ifPKiSA_SA_iPKfiiiPfSD_PS3_PT2_iSC_SC_
		.amdhsa_group_segment_fixed_size 17472
		.amdhsa_private_segment_fixed_size 0
		.amdhsa_kernarg_size 400
		.amdhsa_user_sgpr_count 13
		.amdhsa_user_sgpr_dispatch_ptr 0
		.amdhsa_user_sgpr_queue_ptr 0
		.amdhsa_user_sgpr_kernarg_segment_ptr 1
		.amdhsa_user_sgpr_dispatch_id 0
		.amdhsa_user_sgpr_private_segment_size 0
		.amdhsa_wavefront_size32 1
		.amdhsa_uses_dynamic_stack 0
		.amdhsa_enable_private_segment 0
		.amdhsa_system_sgpr_workgroup_id_x 1
		.amdhsa_system_sgpr_workgroup_id_y 1
		.amdhsa_system_sgpr_workgroup_id_z 1
		.amdhsa_system_sgpr_workgroup_info 0
		.amdhsa_system_vgpr_workitem_id 0
		.amdhsa_next_free_vgpr 123
		.amdhsa_next_free_sgpr 40
		.amdhsa_reserve_vcc 1
		.amdhsa_float_round_mode_32 0
		.amdhsa_float_round_mode_16_64 0
		.amdhsa_float_denorm_mode_32 3
		.amdhsa_float_denorm_mode_16_64 3
		.amdhsa_dx10_clamp 1
		.amdhsa_ieee_mode 1
		.amdhsa_fp16_overflow 0
		.amdhsa_workgroup_processor_mode 1
		.amdhsa_memory_ordered 1
		.amdhsa_forward_progress 0
		.amdhsa_shared_vgpr_count 0
		.amdhsa_exception_fp_ieee_invalid_op 0
		.amdhsa_exception_fp_denorm_src 0
		.amdhsa_exception_fp_ieee_div_zero 0
		.amdhsa_exception_fp_ieee_overflow 0
		.amdhsa_exception_fp_ieee_underflow 0
		.amdhsa_exception_fp_ieee_inexact 0
		.amdhsa_exception_int_div_zero 0
	.end_amdhsa_kernel
	.section	.text._Z39paged_attention_ll4mi_QKV_mfma16_kernelIDF16_hLN4vllm18Fp8KVCacheDataTypeE1EDF16_Li16ELi64ELi256ELb0ELi16EL8MFMAType1EEvPKT_PKT0_S8_ifPKiSA_SA_iPKfiiiPfSD_PS3_PT2_iSC_SC_,"axG",@progbits,_Z39paged_attention_ll4mi_QKV_mfma16_kernelIDF16_hLN4vllm18Fp8KVCacheDataTypeE1EDF16_Li16ELi64ELi256ELb0ELi16EL8MFMAType1EEvPKT_PKT0_S8_ifPKiSA_SA_iPKfiiiPfSD_PS3_PT2_iSC_SC_,comdat
.Lfunc_end845:
	.size	_Z39paged_attention_ll4mi_QKV_mfma16_kernelIDF16_hLN4vllm18Fp8KVCacheDataTypeE1EDF16_Li16ELi64ELi256ELb0ELi16EL8MFMAType1EEvPKT_PKT0_S8_ifPKiSA_SA_iPKfiiiPfSD_PS3_PT2_iSC_SC_, .Lfunc_end845-_Z39paged_attention_ll4mi_QKV_mfma16_kernelIDF16_hLN4vllm18Fp8KVCacheDataTypeE1EDF16_Li16ELi64ELi256ELb0ELi16EL8MFMAType1EEvPKT_PKT0_S8_ifPKiSA_SA_iPKfiiiPfSD_PS3_PT2_iSC_SC_
                                        ; -- End function
	.section	.AMDGPU.csdata,"",@progbits
; Kernel info:
; codeLenInByte = 6708
; NumSgprs: 42
; NumVgprs: 123
; ScratchSize: 0
; MemoryBound: 0
; FloatMode: 240
; IeeeMode: 1
; LDSByteSize: 17472 bytes/workgroup (compile time only)
; SGPRBlocks: 5
; VGPRBlocks: 15
; NumSGPRsForWavesPerEU: 42
; NumVGPRsForWavesPerEU: 123
; Occupancy: 10
; WaveLimiterHint : 1
; COMPUTE_PGM_RSRC2:SCRATCH_EN: 0
; COMPUTE_PGM_RSRC2:USER_SGPR: 13
; COMPUTE_PGM_RSRC2:TRAP_HANDLER: 0
; COMPUTE_PGM_RSRC2:TGID_X_EN: 1
; COMPUTE_PGM_RSRC2:TGID_Y_EN: 1
; COMPUTE_PGM_RSRC2:TGID_Z_EN: 1
; COMPUTE_PGM_RSRC2:TIDIG_COMP_CNT: 0
	.section	.text._Z39paged_attention_ll4mi_QKV_mfma16_kernelIDF16_hLN4vllm18Fp8KVCacheDataTypeE1EDF16_Li16ELi64ELi256ELb0ELi1EL8MFMAType1EEvPKT_PKT0_S8_ifPKiSA_SA_iPKfiiiPfSD_PS3_PT2_iSC_SC_,"axG",@progbits,_Z39paged_attention_ll4mi_QKV_mfma16_kernelIDF16_hLN4vllm18Fp8KVCacheDataTypeE1EDF16_Li16ELi64ELi256ELb0ELi1EL8MFMAType1EEvPKT_PKT0_S8_ifPKiSA_SA_iPKfiiiPfSD_PS3_PT2_iSC_SC_,comdat
	.protected	_Z39paged_attention_ll4mi_QKV_mfma16_kernelIDF16_hLN4vllm18Fp8KVCacheDataTypeE1EDF16_Li16ELi64ELi256ELb0ELi1EL8MFMAType1EEvPKT_PKT0_S8_ifPKiSA_SA_iPKfiiiPfSD_PS3_PT2_iSC_SC_ ; -- Begin function _Z39paged_attention_ll4mi_QKV_mfma16_kernelIDF16_hLN4vllm18Fp8KVCacheDataTypeE1EDF16_Li16ELi64ELi256ELb0ELi1EL8MFMAType1EEvPKT_PKT0_S8_ifPKiSA_SA_iPKfiiiPfSD_PS3_PT2_iSC_SC_
	.globl	_Z39paged_attention_ll4mi_QKV_mfma16_kernelIDF16_hLN4vllm18Fp8KVCacheDataTypeE1EDF16_Li16ELi64ELi256ELb0ELi1EL8MFMAType1EEvPKT_PKT0_S8_ifPKiSA_SA_iPKfiiiPfSD_PS3_PT2_iSC_SC_
	.p2align	8
	.type	_Z39paged_attention_ll4mi_QKV_mfma16_kernelIDF16_hLN4vllm18Fp8KVCacheDataTypeE1EDF16_Li16ELi64ELi256ELb0ELi1EL8MFMAType1EEvPKT_PKT0_S8_ifPKiSA_SA_iPKfiiiPfSD_PS3_PT2_iSC_SC_,@function
_Z39paged_attention_ll4mi_QKV_mfma16_kernelIDF16_hLN4vllm18Fp8KVCacheDataTypeE1EDF16_Li16ELi64ELi256ELb0ELi1EL8MFMAType1EEvPKT_PKT0_S8_ifPKiSA_SA_iPKfiiiPfSD_PS3_PT2_iSC_SC_: ; @_Z39paged_attention_ll4mi_QKV_mfma16_kernelIDF16_hLN4vllm18Fp8KVCacheDataTypeE1EDF16_Li16ELi64ELi256ELb0ELi1EL8MFMAType1EEvPKT_PKT0_S8_ifPKiSA_SA_iPKfiiiPfSD_PS3_PT2_iSC_SC_
; %bb.0:
	s_load_b64 s[4:5], s[0:1], 0x30
	s_mov_b32 s34, s13
	s_waitcnt lgkmcnt(0)
	s_cmp_lg_u64 s[4:5], 0
	s_cselect_b32 s6, -1, 0
	s_ashr_i32 s35, s13, 31
	s_cmp_eq_u64 s[4:5], 0
	s_cbranch_scc1 .LBB846_3
; %bb.1:
	s_lshl_b64 s[2:3], s[34:35], 2
	s_delay_alu instid0(SALU_CYCLE_1) | instskip(SKIP_4) | instid1(SALU_CYCLE_1)
	s_add_u32 s2, s4, s2
	s_addc_u32 s3, s5, s3
	s_load_b64 s[2:3], s[2:3], 0x0
	s_waitcnt lgkmcnt(0)
	s_sub_i32 s2, s3, s2
	s_cmp_eq_u32 s2, 1
	s_cselect_b32 s2, -1, 0
	s_delay_alu instid0(SALU_CYCLE_1)
	s_and_not1_b32 vcc_lo, exec_lo, s2
	s_cbranch_vccz .LBB846_4
.LBB846_2:
	s_endpgm
.LBB846_3:
.LBB846_4:
	s_load_b64 s[2:3], s[0:1], 0x28
	s_lshl_b64 s[8:9], s[34:35], 2
	s_waitcnt lgkmcnt(0)
	s_add_u32 s2, s2, s8
	s_addc_u32 s3, s3, s9
	s_lshl_b32 s12, s14, 8
	s_load_b32 s33, s[2:3], 0x0
	s_waitcnt lgkmcnt(0)
	s_cmp_ge_i32 s12, s33
	s_cbranch_scc1 .LBB846_2
; %bb.5:
	s_clause 0x1
	s_load_b128 s[28:31], s[0:1], 0x8
	s_load_b64 s[2:3], s[0:1], 0x20
	s_and_not1_b32 vcc_lo, exec_lo, s6
	s_mov_b64 s[6:7], s[34:35]
	s_cbranch_vccnz .LBB846_7
; %bb.6:
	s_add_u32 s4, s4, s8
	s_addc_u32 s5, s5, s9
	s_load_b32 s6, s[4:5], 0x0
.LBB846_7:
	s_load_b128 s[24:27], s[0:1], 0x48
	v_and_b32_e32 v73, 15, v0
	s_mov_b32 s13, exec_lo
                                        ; implicit-def: $sgpr16
                                        ; implicit-def: $sgpr4
	s_delay_alu instid0(VALU_DEP_1)
	v_cmpx_eq_u32_e32 0, v73
	s_cbranch_execz .LBB846_9
; %bb.8:
	s_load_b64 s[4:5], s[0:1], 0x0
	s_waitcnt lgkmcnt(0)
	s_mul_hi_i32 s7, s6, s24
	s_mul_i32 s6, s6, s24
	s_delay_alu instid0(SALU_CYCLE_1) | instskip(NEXT) | instid1(SALU_CYCLE_1)
	s_lshl_b64 s[6:7], s[6:7], 1
	s_add_u32 s6, s4, s6
	s_addc_u32 s7, s5, s7
	s_lshl_b32 s4, s15, 6
	s_delay_alu instid0(SALU_CYCLE_1) | instskip(NEXT) | instid1(SALU_CYCLE_1)
	s_ashr_i32 s5, s4, 31
	s_lshl_b64 s[4:5], s[4:5], 1
	s_delay_alu instid0(SALU_CYCLE_1)
	s_add_u32 s4, s6, s4
	s_addc_u32 s5, s7, s5
	s_clause 0x1
	s_load_b256 s[16:23], s[4:5], 0x0
	s_load_b256 s[4:11], s[4:5], 0x40
.LBB846_9:
	s_or_b32 exec_lo, exec_lo, s13
	v_and_b32_e32 v1, 0xef, v0
	s_waitcnt lgkmcnt(0)
	v_dual_mov_b32 v115, s23 :: v_dual_mov_b32 v114, s22
	s_add_i32 s13, s33, 15
	s_load_b32 s27, s[0:1], 0x38
	v_dual_mov_b32 v112, s20 :: v_dual_add_nc_u32 v1, s12, v1
	s_ashr_i32 s24, s13, 31
	v_lshrrev_b32_e32 v66, 5, v0
	s_lshr_b32 s24, s24, 28
	s_delay_alu instid0(VALU_DEP_2)
	v_ashrrev_i32_e32 v2, 31, v1
	v_or_b32_e32 v3, 16, v1
	s_add_i32 s13, s13, s24
	v_cmp_gt_i32_e32 vcc_lo, s33, v1
	s_ashr_i32 s13, s13, 4
	v_lshrrev_b32_e32 v2, 28, v2
	s_add_i32 s13, s13, -1
	s_load_b32 s24, s[0:1], 0x1c
	v_and_b32_e32 v65, 0xe0, v0
	s_delay_alu instid0(VALU_DEP_2)
	v_dual_mov_b32 v111, s19 :: v_dual_add_nc_u32 v4, v1, v2
	v_mov_b32_e32 v113, s21
	v_mov_b32_e32 v109, s17
	v_mbcnt_lo_u32_b32 v67, -1, 0
	s_waitcnt lgkmcnt(0)
	s_mul_i32 s36, s34, s27
	v_ashrrev_i32_e32 v4, 4, v4
	v_add_nc_u32_e32 v2, v3, v2
	s_ashr_i32 s37, s36, 31
	v_bfe_u32 v75, v0, 4, 1
	s_lshl_b64 s[36:37], s[36:37], 2
	v_cndmask_b32_e32 v1, s13, v4, vcc_lo
	v_ashrrev_i32_e32 v2, 4, v2
	v_cmp_gt_i32_e32 vcc_lo, s33, v3
	s_add_u32 s36, s2, s36
	s_addc_u32 s35, s3, s37
	v_lshlrev_b32_e32 v74, 4, v73
	s_mul_i32 s37, s15, s26
	v_cndmask_b32_e32 v3, s13, v2, vcc_lo
	v_ashrrev_i32_e32 v2, 31, v1
	s_ashr_i32 s38, s37, 31
	s_add_u32 s39, s28, s37
	s_addc_u32 s46, s29, s38
	v_ashrrev_i32_e32 v4, 31, v3
	v_lshlrev_b64 v[1:2], 2, v[1:2]
	s_lshl_b32 s2, s14, 4
	v_xor_b32_e32 v68, 16, v67
	s_ashr_i32 s3, s2, 31
	v_lshlrev_b64 v[3:4], 2, v[3:4]
	s_lshl_b64 s[2:3], s[2:3], 2
	v_add_co_u32 v1, vcc_lo, s36, v1
	v_add_co_ci_u32_e32 v2, vcc_lo, s35, v2, vcc_lo
	s_delay_alu instid0(VALU_DEP_3) | instskip(NEXT) | instid1(VALU_DEP_4)
	v_add_co_u32 v3, vcc_lo, s36, v3
	v_add_co_ci_u32_e32 v4, vcc_lo, s35, v4, vcc_lo
	s_clause 0x1
	global_load_b32 v5, v[1:2], off
	global_load_b32 v7, v[3:4], off
	s_add_u32 s2, s36, s2
	s_addc_u32 s3, s35, s3
	s_or_b32 s26, s12, 32
	v_dual_mov_b32 v110, s18 :: v_dual_lshlrev_b32 v1, 4, v0
	s_ashr_i32 s27, s26, 4
	s_cmp_lt_i32 s26, s33
	v_mov_b32_e32 v108, s16
	s_cselect_b32 s26, s27, s13
	v_and_b32_e32 v1, 0xf0, v1
	s_ashr_i32 s27, s26, 31
	v_cmp_gt_i32_e32 vcc_lo, 32, v68
	s_lshl_b64 s[26:27], s[26:27], 2
	s_delay_alu instid0(SALU_CYCLE_1)
	s_add_u32 s26, s36, s26
	s_addc_u32 s27, s35, s27
	s_or_b32 s28, s12, 64
	v_add_co_u32 v1, s39, s39, v1
	s_ashr_i32 s29, s28, 4
	s_cmp_lt_i32 s28, s33
	v_add_co_ci_u32_e64 v2, null, s46, 0, s39
	s_cselect_b32 s28, s29, s13
	s_delay_alu instid0(SALU_CYCLE_1) | instskip(NEXT) | instid1(SALU_CYCLE_1)
	s_ashr_i32 s29, s28, 31
	s_lshl_b64 s[28:29], s[28:29], 2
	s_delay_alu instid0(SALU_CYCLE_1) | instskip(SKIP_2) | instid1(SALU_CYCLE_1)
	s_add_u32 s40, s36, s28
	s_addc_u32 s41, s35, s29
	s_or_b32 s28, s12, 0x60
	s_ashr_i32 s29, s28, 4
	s_cmp_lt_i32 s28, s33
	s_cselect_b32 s28, s29, s13
	s_delay_alu instid0(SALU_CYCLE_1) | instskip(NEXT) | instid1(SALU_CYCLE_1)
	s_ashr_i32 s29, s28, 31
	s_lshl_b64 s[28:29], s[28:29], 2
	s_delay_alu instid0(SALU_CYCLE_1) | instskip(SKIP_2) | instid1(SALU_CYCLE_1)
	s_add_u32 s42, s36, s28
	s_addc_u32 s43, s35, s29
	s_or_b32 s28, s12, 0x80
	s_ashr_i32 s29, s28, 4
	s_cmp_lt_i32 s28, s33
	;; [unrolled: 10-line block ×3, first 2 shown]
	s_cselect_b32 s28, s29, s13
	s_delay_alu instid0(SALU_CYCLE_1) | instskip(NEXT) | instid1(SALU_CYCLE_1)
	s_ashr_i32 s29, s28, 31
	s_lshl_b64 s[28:29], s[28:29], 2
	s_delay_alu instid0(SALU_CYCLE_1)
	s_add_u32 s46, s36, s28
	s_addc_u32 s47, s35, s29
	s_clause 0x5
	s_load_b32 s29, s[2:3], 0x0
	s_load_b32 s2, s[26:27], 0x0
	;; [unrolled: 1-line block ×6, first 2 shown]
	s_or_b32 s39, s12, 0xc0
	s_delay_alu instid0(SALU_CYCLE_1) | instskip(SKIP_2) | instid1(SALU_CYCLE_1)
	s_ashr_i32 s40, s39, 4
	s_cmp_lt_i32 s39, s33
	s_cselect_b32 s40, s40, s13
	s_ashr_i32 s41, s40, 31
	s_delay_alu instid0(SALU_CYCLE_1) | instskip(NEXT) | instid1(SALU_CYCLE_1)
	s_lshl_b64 s[40:41], s[40:41], 2
	s_add_u32 s40, s36, s40
	s_addc_u32 s41, s35, s41
	s_or_b32 s39, s12, 0xe0
	s_delay_alu instid0(SALU_CYCLE_1) | instskip(SKIP_2) | instid1(SALU_CYCLE_1)
	s_ashr_i32 s42, s39, 4
	s_cmp_lt_i32 s39, s33
	s_cselect_b32 s42, s42, s13
	s_ashr_i32 s43, s42, 31
	s_delay_alu instid0(SALU_CYCLE_1)
	s_lshl_b64 s[42:43], s[42:43], 2
	s_waitcnt vmcnt(1)
	v_mad_i64_i32 v[3:4], null, v5, s25, v[1:2]
	s_waitcnt vmcnt(0)
	v_mad_i64_i32 v[5:6], null, v7, s25, v[1:2]
	v_lshl_or_b32 v1, v66, 8, v74
	s_clause 0x7
	global_load_b128 v[76:79], v[3:4], off
	global_load_b128 v[80:83], v[3:4], off offset:256
	global_load_b128 v[84:87], v[5:6], off
	global_load_b128 v[88:91], v[5:6], off offset:256
	global_load_b128 v[92:95], v[3:4], off offset:512
	;; [unrolled: 1-line block ×5, first 2 shown]
	s_load_b32 s13, s[40:41], 0x0
	s_add_u32 s40, s36, s42
	s_addc_u32 s41, s35, s43
	s_add_u32 s30, s30, s37
	s_addc_u32 s31, s31, s38
	v_add_co_u32 v1, s30, s30, v1
	s_delay_alu instid0(VALU_DEP_1) | instskip(SKIP_3) | instid1(VALU_DEP_1)
	v_add_co_ci_u32_e64 v2, null, s31, 0, s30
	s_load_b32 s30, s[40:41], 0x0
	s_mov_b32 s36, 0
	s_waitcnt lgkmcnt(0)
	v_mad_i64_i32 v[3:4], null, s29, s25, v[1:2]
	v_mad_i64_i32 v[9:10], null, s26, s25, v[1:2]
	;; [unrolled: 1-line block ×7, first 2 shown]
	s_clause 0x5
	global_load_b128 v[49:52], v[3:4], off
	global_load_b128 v[53:56], v[3:4], off offset:16
	global_load_b128 v[41:44], v[5:6], off
	global_load_b128 v[45:48], v[5:6], off offset:16
	;; [unrolled: 2-line block ×3, first 2 shown]
	s_mov_b32 s43, s36
	s_mov_b32 s37, s36
	v_mad_i64_i32 v[61:62], null, s30, s25, v[1:2]
	s_clause 0x9
	global_load_b128 v[1:4], v[9:10], off
	global_load_b128 v[5:8], v[9:10], off offset:16
	global_load_b128 v[9:12], v[13:14], off
	global_load_b128 v[13:16], v[13:14], off offset:16
	global_load_b128 v[17:20], v[21:22], off
	global_load_b128 v[21:24], v[21:22], off offset:16
	global_load_b128 v[25:28], v[29:30], off
	global_load_b128 v[29:32], v[29:30], off offset:16
	global_load_b128 v[57:60], v[61:62], off
	global_load_b128 v[61:64], v[61:62], off offset:16
	s_mov_b32 s38, s36
	s_mov_b32 s39, s36
	;; [unrolled: 1-line block ×5, first 2 shown]
	v_mov_b32_e32 v123, s11
	v_mov_b32_e32 v131, s43
	v_dual_mov_b32 v121, s9 :: v_dual_mov_b32 v126, s38
	v_dual_mov_b32 v119, s7 :: v_dual_mov_b32 v124, s36
	v_dual_mov_b32 v116, s4 :: v_dual_add_nc_u32 v65, s12, v65
	v_dual_mov_b32 v130, s42 :: v_dual_mov_b32 v129, s41
	v_dual_mov_b32 v128, s40 :: v_dual_mov_b32 v127, s39
	;; [unrolled: 1-line block ×3, first 2 shown]
	v_mov_b32_e32 v120, s8
	v_dual_mov_b32 v118, s6 :: v_dual_mov_b32 v117, s5
	v_or_b32_e32 v65, v65, v75
	s_waitcnt vmcnt(0)
	s_barrier
	buffer_gl0_inv
	v_or_b32_e32 v69, 4, v65
	v_or_b32_e32 v70, 6, v65
	;; [unrolled: 1-line block ×8, first 2 shown]
	v_cmp_gt_i32_e64 s3, s33, v69
	v_cmp_gt_i32_e64 s4, s33, v70
	;; [unrolled: 1-line block ×8, first 2 shown]
	v_wmma_f32_16x16x16_f16 v[132:139], v[76:83], v[108:115], v[124:131]
	v_wmma_f32_16x16x16_f16 v[124:131], v[84:91], v[108:115], v[124:131]
	v_or_b32_e32 v76, 20, v65
	v_or_b32_e32 v77, 22, v65
	s_delay_alu instid0(VALU_DEP_4)
	v_wmma_f32_16x16x16_f16 v[132:139], v[92:99], v[116:123], v[132:139]
	v_or_b32_e32 v78, 24, v65
	v_or_b32_e32 v79, 26, v65
	;; [unrolled: 1-line block ×4, first 2 shown]
	v_mul_f32_e32 v82, s24, v139
	v_wmma_f32_16x16x16_f16 v[124:131], v[100:107], v[116:123], v[124:131]
	v_cndmask_b32_e32 v67, v67, v68, vcc_lo
	v_or_b32_e32 v68, 2, v65
	v_dual_mul_f32 v88, s24, v133 :: v_dual_mul_f32 v89, s24, v132
	v_cmp_gt_i32_e32 vcc_lo, s33, v65
	v_mul_f32_e32 v86, s24, v135
	s_delay_alu instid0(VALU_DEP_4) | instskip(SKIP_3) | instid1(VALU_DEP_4)
	v_cmp_gt_i32_e64 s2, s33, v68
	v_dual_mul_f32 v92, s24, v129 :: v_dual_mul_f32 v87, s24, v134
	v_cndmask_b32_e32 v65, 0xff7fffff, v89, vcc_lo
	v_mul_f32_e32 v84, s24, v137
	v_cndmask_b32_e64 v68, 0xff7fffff, v88, s2
	v_dual_mul_f32 v85, s24, v136 :: v_dual_mul_f32 v96, s24, v125
	v_cndmask_b32_e64 v69, 0xff7fffff, v87, s3
	v_cndmask_b32_e64 v70, 0xff7fffff, v86, s4
	s_delay_alu instid0(VALU_DEP_4) | instskip(SKIP_3) | instid1(VALU_DEP_4)
	v_max3_f32 v65, v65, 0xff7fffff, v68
	v_dual_mul_f32 v83, s24, v138 :: v_dual_mul_f32 v94, s24, v127
	v_cndmask_b32_e64 v68, 0xff7fffff, v85, s5
	v_cndmask_b32_e64 v71, 0xff7fffff, v84, s6
	v_max3_f32 v65, v65, v69, v70
	v_mul_f32_e32 v97, s24, v124
	v_cndmask_b32_e64 v69, 0xff7fffff, v83, s7
	v_cndmask_b32_e64 v70, 0xff7fffff, v82, s8
	v_mul_f32_e32 v95, s24, v126
	v_max3_f32 v65, v65, v68, v71
	v_cndmask_b32_e64 v68, 0xff7fffff, v97, s9
	v_cndmask_b32_e64 v71, 0xff7fffff, v96, s10
	v_cmp_gt_i32_e64 s11, s33, v76
	v_cmp_gt_i32_e64 s12, s33, v77
	v_max3_f32 v65, v65, v69, v70
	v_mul_f32_e32 v93, s24, v128
	v_cmp_gt_i32_e64 s13, s33, v78
	v_cndmask_b32_e64 v69, 0xff7fffff, v95, s11
	v_cndmask_b32_e64 v70, 0xff7fffff, v94, s12
	v_max3_f32 v65, v65, v68, v71
	v_cmp_gt_i32_e64 s16, s33, v79
	v_dual_mul_f32 v90, s24, v131 :: v_dual_mul_f32 v91, s24, v130
	v_cndmask_b32_e64 v68, 0xff7fffff, v93, s13
	s_delay_alu instid0(VALU_DEP_4) | instskip(NEXT) | instid1(VALU_DEP_4)
	v_max3_f32 v65, v65, v69, v70
	v_cndmask_b32_e64 v71, 0xff7fffff, v92, s16
	v_cmp_gt_i32_e64 s17, s33, v80
	v_cmp_gt_i32_e64 s18, s33, v81
	s_delay_alu instid0(VALU_DEP_3) | instskip(NEXT) | instid1(VALU_DEP_3)
	v_max3_f32 v65, v65, v68, v71
	v_cndmask_b32_e64 v69, 0xff7fffff, v91, s17
	s_delay_alu instid0(VALU_DEP_3) | instskip(SKIP_1) | instid1(VALU_DEP_2)
	v_cndmask_b32_e64 v70, 0xff7fffff, v90, s18
	v_lshlrev_b32_e32 v68, 2, v67
	v_max3_f32 v65, v65, v69, v70
	ds_bpermute_b32 v67, v68, v65
	s_waitcnt lgkmcnt(0)
	v_max_f32_e32 v67, v67, v67
	s_delay_alu instid0(VALU_DEP_1) | instskip(NEXT) | instid1(VALU_DEP_1)
	v_max_f32_e32 v65, v65, v67
	v_fma_f32 v71, s24, v135, -v65
	v_fma_f32 v67, s24, v132, -v65
	;; [unrolled: 1-line block ×5, first 2 shown]
	v_mul_f32_e32 v71, 0x3fb8aa3b, v71
	s_delay_alu instid0(VALU_DEP_3) | instskip(NEXT) | instid1(VALU_DEP_3)
	v_dual_mul_f32 v67, 0x3fb8aa3b, v67 :: v_dual_mul_f32 v70, 0x3fb8aa3b, v70
	v_mul_f32_e32 v72, 0x3fb8aa3b, v72
	s_delay_alu instid0(VALU_DEP_3) | instskip(NEXT) | instid1(VALU_DEP_2)
	v_exp_f32_e32 v71, v71
	v_exp_f32_e32 v67, v67
	s_delay_alu instid0(VALU_DEP_2) | instskip(NEXT) | instid1(VALU_DEP_1)
	v_exp_f32_e32 v76, v70
	v_exp_f32_e32 v79, v72
	v_cndmask_b32_e64 v71, 0, v71, s4
	s_delay_alu instid0(TRANS32_DEP_3)
	v_dual_mul_f32 v69, 0x3fb8aa3b, v69 :: v_dual_cndmask_b32 v70, 0, v67
	v_fma_f32 v67, s24, v137, -v65
	s_waitcnt_depctr 0xfff
	v_cndmask_b32_e64 v72, 0, v76, s3
	v_cndmask_b32_e64 v84, 0, v79, s5
	v_exp_f32_e32 v69, v69
	v_add_f32_e32 v77, 0, v70
	v_mul_f32_e32 v67, 0x3fb8aa3b, v67
	s_mov_b32 s3, exec_lo
	s_delay_alu instid0(VALU_DEP_1) | instskip(SKIP_2) | instid1(VALU_DEP_1)
	v_exp_f32_e32 v67, v67
	s_waitcnt_depctr 0xfff
	v_cndmask_b32_e64 v69, 0, v69, s2
	v_add_f32_e32 v76, v77, v69
	v_cndmask_b32_e64 v83, 0, v67, s6
	s_delay_alu instid0(VALU_DEP_2) | instskip(NEXT) | instid1(VALU_DEP_1)
	v_add_f32_e32 v76, v76, v72
	v_add_f32_e32 v76, v76, v71
	s_delay_alu instid0(VALU_DEP_1) | instskip(SKIP_1) | instid1(VALU_DEP_1)
	v_add_f32_e32 v67, v76, v84
	v_fma_f32 v76, s24, v126, -v65
	v_dual_add_f32 v67, v67, v83 :: v_dual_mul_f32 v76, 0x3fb8aa3b, v76
	v_fma_f32 v78, s24, v138, -v65
	v_fma_f32 v77, s24, v139, -v65
	;; [unrolled: 1-line block ×4, first 2 shown]
	v_exp_f32_e32 v76, v76
	s_delay_alu instid0(VALU_DEP_3) | instskip(NEXT) | instid1(VALU_DEP_2)
	v_dual_mul_f32 v78, 0x3fb8aa3b, v78 :: v_dual_mul_f32 v77, 0x3fb8aa3b, v77
	v_dual_mul_f32 v80, 0x3fb8aa3b, v80 :: v_dual_mul_f32 v79, 0x3fb8aa3b, v79
	s_delay_alu instid0(VALU_DEP_2) | instskip(NEXT) | instid1(VALU_DEP_2)
	v_exp_f32_e32 v78, v78
	v_exp_f32_e32 v77, v77
	s_delay_alu instid0(VALU_DEP_1) | instskip(NEXT) | instid1(VALU_DEP_1)
	v_exp_f32_e32 v80, v80
	v_exp_f32_e32 v79, v79
	v_cndmask_b32_e64 v90, 0, v76, s11
	v_cndmask_b32_e64 v86, 0, v78, s7
	v_fma_f32 v78, s24, v127, -v65
	s_delay_alu instid0(TRANS32_DEP_3) | instskip(SKIP_1) | instid1(TRANS32_DEP_2)
	v_cndmask_b32_e64 v85, 0, v77, s8
	v_fma_f32 v77, s24, v128, -v65
	v_cndmask_b32_e64 v88, 0, v80, s9
	v_add_f32_e32 v67, v67, v86
	v_mul_f32_e32 v78, 0x3fb8aa3b, v78
	v_fma_f32 v80, s24, v129, -v65
	v_mul_f32_e32 v77, 0x3fb8aa3b, v77
	v_cndmask_b32_e64 v87, 0, v79, s10
	v_add_f32_e32 v67, v67, v85
	v_exp_f32_e32 v78, v78
	v_fma_f32 v79, s24, v130, -v65
	v_mul_f32_e32 v80, 0x3fb8aa3b, v80
	v_exp_f32_e32 v77, v77
	s_delay_alu instid0(VALU_DEP_2) | instskip(NEXT) | instid1(VALU_DEP_2)
	v_dual_add_f32 v67, v67, v88 :: v_dual_mul_f32 v76, 0x3fb8aa3b, v79
	v_exp_f32_e32 v79, v80
	s_delay_alu instid0(VALU_DEP_1) | instskip(NEXT) | instid1(TRANS32_DEP_3)
	v_add_f32_e32 v67, v67, v87
	v_cndmask_b32_e64 v89, 0, v78, s12
	v_fma_f32 v78, s24, v131, -v65
	v_exp_f32_e32 v76, v76
	s_delay_alu instid0(TRANS32_DEP_3) | instskip(SKIP_1) | instid1(VALU_DEP_3)
	v_cndmask_b32_e64 v92, 0, v77, s13
	v_add_f32_e32 v67, v67, v90
	v_mul_f32_e32 v77, 0x3fb8aa3b, v78
	s_delay_alu instid0(TRANS32_DEP_2) | instskip(NEXT) | instid1(VALU_DEP_3)
	v_cndmask_b32_e64 v91, 0, v79, s16
	v_add_f32_e32 v67, v67, v89
	s_delay_alu instid0(VALU_DEP_3) | instskip(NEXT) | instid1(TRANS32_DEP_2)
	v_exp_f32_e32 v77, v77
	v_cndmask_b32_e64 v94, 0, v76, s17
	v_and_b32_e32 v76, 31, v0
	s_delay_alu instid0(VALU_DEP_3) | instskip(NEXT) | instid1(VALU_DEP_2)
	v_add_f32_e32 v67, v67, v92
	v_cmp_lt_u32_e64 s2, 15, v76
	s_delay_alu instid0(VALU_DEP_2) | instskip(SKIP_3) | instid1(VALU_DEP_1)
	v_add_f32_e32 v67, v67, v91
	s_waitcnt_depctr 0xfff
	v_cndmask_b32_e64 v93, 0, v77, s18
	v_add_f32_e32 v67, v67, v94
	v_add_f32_e32 v67, v67, v93
	ds_bpermute_b32 v68, v68, v67
	v_cmpx_gt_u32_e32 16, v76
	s_cbranch_execz .LBB846_11
; %bb.10:
	v_mul_u32_u24_e32 v76, 0x44, v66
	s_waitcnt lgkmcnt(0)
	v_add_f32_e32 v67, v67, v68
	s_delay_alu instid0(VALU_DEP_2) | instskip(NEXT) | instid1(VALU_DEP_1)
	v_lshl_add_u32 v76, v73, 2, v76
	v_add_nc_u32_e32 v68, 0x4000, v76
	ds_store_2addr_b32 v68, v65, v67 offset1:136
.LBB846_11:
	s_or_b32 exec_lo, exec_lo, s3
	v_lshlrev_b32_e32 v65, 2, v73
	s_load_b64 s[36:37], s[0:1], 0x94
	s_waitcnt lgkmcnt(0)
	s_barrier
	buffer_gl0_inv
	v_add_nc_u32_e32 v65, 0x4000, v65
	v_cmp_eq_u32_e32 vcc_lo, 1, v66
	v_cmp_eq_u32_e64 s3, 2, v66
	v_cmp_eq_u32_e64 s5, 3, v66
	;; [unrolled: 1-line block ×3, first 2 shown]
	ds_load_2addr_b32 v[76:77], v65 offset1:17
	ds_load_2addr_b32 v[78:79], v65 offset0:34 offset1:51
	ds_load_2addr_b32 v[80:81], v65 offset0:68 offset1:85
	;; [unrolled: 1-line block ×3, first 2 shown]
	v_cmp_eq_u32_e64 s7, 5, v66
	v_cmp_eq_u32_e64 s4, 6, v66
	s_waitcnt lgkmcnt(3)
	v_max3_f32 v67, v76, 0xff7fffff, v77
	s_waitcnt lgkmcnt(2)
	s_delay_alu instid0(VALU_DEP_1) | instskip(SKIP_1) | instid1(VALU_DEP_1)
	v_max3_f32 v67, v67, v78, v79
	s_waitcnt lgkmcnt(1)
	v_max3_f32 v67, v67, v80, v81
	s_waitcnt lgkmcnt(0)
	s_delay_alu instid0(VALU_DEP_1) | instskip(NEXT) | instid1(VALU_DEP_1)
	v_max3_f32 v67, v67, v95, v96
	v_sub_f32_e32 v82, v77, v67
	ds_load_2addr_b32 v[97:98], v65 offset0:136 offset1:153
	v_sub_f32_e32 v68, v76, v67
	ds_load_2addr_b32 v[76:77], v65 offset0:170 offset1:187
	v_sub_f32_e32 v80, v80, v67
	v_mul_f32_e32 v82, 0x3fb8aa3b, v82
	v_mul_f32_e32 v68, 0x3fb8aa3b, v68
	s_delay_alu instid0(VALU_DEP_3) | instskip(NEXT) | instid1(VALU_DEP_2)
	v_mul_f32_e32 v102, 0x3fb8aa3b, v80
	v_exp_f32_e32 v99, v68
	v_sub_f32_e32 v68, v79, v67
	s_delay_alu instid0(VALU_DEP_1) | instskip(NEXT) | instid1(VALU_DEP_1)
	v_dual_sub_f32 v78, v78, v67 :: v_dual_mul_f32 v101, 0x3fb8aa3b, v68
	v_mul_f32_e32 v100, 0x3fb8aa3b, v78
	ds_load_2addr_b32 v[78:79], v65 offset0:204 offset1:221
	s_waitcnt lgkmcnt(2)
	v_fma_f32 v68, v99, v97, 0
	v_sub_f32_e32 v97, v81, v67
	ds_load_2addr_b32 v[80:81], v65 offset0:238 offset1:255
	v_sub_f32_e32 v65, v95, v67
	v_exp_f32_e32 v82, v82
	v_exp_f32_e32 v101, v101
	v_mul_f32_e32 v95, 0x3fb8aa3b, v97
	v_exp_f32_e32 v97, v102
	v_mul_f32_e32 v65, 0x3fb8aa3b, v65
	v_exp_f32_e32 v100, v100
	s_waitcnt lgkmcnt(0)
	v_exp_f32_e32 v95, v95
	s_barrier
	buffer_gl0_inv
	v_fmac_f32_e32 v68, v82, v98
	s_delay_alu instid0(VALU_DEP_1) | instskip(SKIP_2) | instid1(VALU_DEP_2)
	v_fmac_f32_e32 v68, v100, v76
	v_sub_f32_e32 v76, v96, v67
	v_exp_f32_e32 v96, v65
	v_fmac_f32_e32 v68, v101, v77
	s_delay_alu instid0(VALU_DEP_2) | instskip(NEXT) | instid1(VALU_DEP_2)
	v_mul_f32_e32 v76, 0x3fb8aa3b, v76
	v_fmac_f32_e32 v68, v97, v78
	s_delay_alu instid0(VALU_DEP_2) | instskip(SKIP_1) | instid1(VALU_DEP_2)
	v_exp_f32_e32 v98, v76
	v_cndmask_b32_e32 v76, v99, v82, vcc_lo
	v_fmac_f32_e32 v68, v95, v79
	s_delay_alu instid0(TRANS32_DEP_2) | instid1(VALU_DEP_1)
	v_fmac_f32_e32 v68, v96, v80
	v_lshlrev_b32_e32 v80, 6, v73
	s_waitcnt_depctr 0xfff
	v_fmac_f32_e32 v68, v98, v81
	v_lshl_or_b32 v82, v66, 11, v80
	s_delay_alu instid0(VALU_DEP_2) | instskip(NEXT) | instid1(VALU_DEP_1)
	v_add_f32_e32 v81, 0x358637bd, v68
	v_div_scale_f32 v102, null, v81, v81, 1.0
	v_div_scale_f32 v99, vcc_lo, 1.0, v81, 1.0
	s_delay_alu instid0(VALU_DEP_2) | instskip(SKIP_2) | instid1(VALU_DEP_1)
	v_rcp_f32_e32 v103, v102
	s_waitcnt_depctr 0xfff
	v_fma_f32 v65, -v102, v103, 1.0
	v_fmac_f32_e32 v103, v65, v103
	v_cndmask_b32_e64 v65, v76, v100, s3
	v_cmp_eq_u32_e64 s3, 7, v66
	v_lshlrev_b32_e32 v76, 2, v75
	s_delay_alu instid0(VALU_DEP_4) | instskip(NEXT) | instid1(VALU_DEP_4)
	v_mul_f32_e32 v100, v99, v103
	v_cndmask_b32_e64 v77, v65, v101, s5
	v_mov_b32_e32 v65, 0
	s_delay_alu instid0(VALU_DEP_4)
	v_or_b32_e32 v79, 1, v76
	v_cmp_eq_u32_e64 s5, 1, v76
	v_fma_f32 v78, -v102, v100, v99
	v_cndmask_b32_e64 v97, v77, v97, s6
	v_or_b32_e32 v77, 2, v76
	v_cmp_eq_u32_e64 s9, 1, v79
	v_cmp_eq_u32_e64 s6, 2, v76
	v_fmac_f32_e32 v100, v78, v103
	v_cndmask_b32_e64 v66, v97, v95, s7
	v_or_b32_e32 v78, 3, v76
	v_cmp_eq_u32_e64 s10, 1, v77
	v_cmp_eq_u32_e64 s12, 2, v79
	v_fma_f32 v95, -v102, v100, v99
	v_cndmask_b32_e64 v66, v66, v96, s4
	v_cmp_eq_u32_e64 s11, 1, v78
	v_cmp_eq_u32_e64 s17, 2, v78
	;; [unrolled: 1-line block ×3, first 2 shown]
	v_div_fmas_f32 v95, v95, v103, v100
	v_cndmask_b32_e64 v66, v66, v98, s3
	v_cmp_eq_u32_e32 vcc_lo, 3, v76
	v_cmp_eq_u32_e64 s16, 2, v77
	v_cmp_eq_u32_e64 s19, 3, v78
	v_div_fixup_f32 v95, v95, v81, 1.0
	v_lshl_or_b32 v81, v75, 4, v82
	v_cmp_eq_u32_e64 s4, 4, v76
	v_cmp_eq_u32_e64 s18, 3, v77
	;; [unrolled: 1-line block ×3, first 2 shown]
	v_mul_f32_e32 v66, v66, v95
	v_cmp_eq_u32_e64 s23, 4, v78
	v_cmp_eq_u32_e64 s7, 5, v76
	v_cmp_eq_u32_e64 s21, 5, v79
	v_cmp_eq_u32_e64 s22, 4, v77
	v_fma_mixlo_f16 v95, v66, v70, 0
	v_fma_mixlo_f16 v96, v66, v72, 0
	;; [unrolled: 1-line block ×8, first 2 shown]
	v_fma_mixhi_f16 v95, v66, v69, 0
	v_fma_mixhi_f16 v96, v66, v71, 0
	v_fma_mixhi_f16 v97, v66, v83, 0
	v_fma_mixhi_f16 v98, v66, v85, 0
	v_fma_mixhi_f16 v99, v66, v87, 0
	v_fma_mixhi_f16 v100, v66, v89, 0
	v_fma_mixhi_f16 v101, v66, v91, 0
	v_fma_mixhi_f16 v102, v66, v93, 0
	ds_store_b128 v81, v[95:98]
	ds_store_b128 v81, v[99:102] offset:1024
	s_waitcnt lgkmcnt(0)
	s_barrier
	buffer_gl0_inv
	ds_load_b128 v[69:72], v82
	ds_load_b128 v[83:86], v82 offset:16
	ds_load_b128 v[87:90], v82 offset:1024
	;; [unrolled: 1-line block ×3, first 2 shown]
	v_cmp_eq_u32_e64 s25, 5, v78
	v_cmp_eq_u32_e64 s3, 6, v76
	;; [unrolled: 1-line block ×10, first 2 shown]
	s_waitcnt lgkmcnt(3)
	v_lshrrev_b32_e32 v66, 16, v69
	s_waitcnt lgkmcnt(2)
	v_lshrrev_b32_e32 v98, 16, v83
	;; [unrolled: 2-line block ×4, first 2 shown]
	v_lshrrev_b32_e32 v95, 16, v70
	v_cndmask_b32_e64 v110, v69, v66, s5
	v_cndmask_b32_e64 v111, v83, v98, s5
	;; [unrolled: 1-line block ×7, first 2 shown]
	v_lshrrev_b32_e32 v99, 16, v84
	v_cndmask_b32_e64 v115, v83, v98, s10
	v_cndmask_b32_e64 v83, v87, v102, s5
	;; [unrolled: 1-line block ×15, first 2 shown]
	v_lshrrev_b32_e32 v103, 16, v88
	v_lshrrev_b32_e32 v107, 16, v92
	v_cndmask_b32_e64 v112, v114, v70, s16
	v_cndmask_b32_e64 v113, v115, v84, s16
	;; [unrolled: 1-line block ×7, first 2 shown]
	v_cndmask_b32_e32 v88, v102, v95, vcc_lo
	v_cndmask_b32_e32 v102, v106, v99, vcc_lo
	v_cndmask_b32_e64 v106, v110, v95, s13
	v_cndmask_b32_e64 v110, v111, v99, s13
	;; [unrolled: 1-line block ×4, first 2 shown]
	v_lshrrev_b32_e32 v96, 16, v71
	v_lshrrev_b32_e32 v100, 16, v85
	v_cndmask_b32_e64 v111, v112, v95, s18
	v_cndmask_b32_e64 v112, v113, v99, s18
	v_cndmask_b32_e32 v70, v70, v103, vcc_lo
	v_cndmask_b32_e32 v83, v83, v107, vcc_lo
	v_cndmask_b32_e64 v84, v84, v103, s13
	v_cndmask_b32_e64 v88, v88, v71, s4
	;; [unrolled: 1-line block ×7, first 2 shown]
	v_lshrrev_b32_e32 v104, 16, v89
	v_lshrrev_b32_e32 v108, 16, v93
	v_cndmask_b32_e64 v106, v111, v71, s22
	v_cndmask_b32_e64 v110, v112, v85, s22
	;; [unrolled: 1-line block ×11, first 2 shown]
	v_lshrrev_b32_e32 v97, 16, v72
	v_lshrrev_b32_e32 v101, 16, v86
	v_cndmask_b32_e64 v99, v106, v96, s24
	v_cndmask_b32_e64 v102, v110, v100, s24
	;; [unrolled: 1-line block ×11, first 2 shown]
	v_lshrrev_b32_e32 v105, 16, v90
	v_cndmask_b32_e64 v96, v99, v72, s27
	v_cndmask_b32_e64 v99, v102, v86, s27
	;; [unrolled: 1-line block ×14, first 2 shown]
	v_perm_b32 v72, v69, v66, 0x5040100
	v_perm_b32 v70, v95, v85, 0x5040100
	v_cndmask_b32_e64 v66, v91, v92, s17
	v_cndmask_b32_e64 v69, v119, v92, s16
	;; [unrolled: 1-line block ×4, first 2 shown]
	v_perm_b32 v71, v96, v88, 0x5040100
	v_cndmask_b32_e64 v88, v98, v103, s18
	v_cndmask_b32_e64 v87, v87, v103, s19
	;; [unrolled: 1-line block ×15, first 2 shown]
	v_lshrrev_b32_e32 v109, 16, v94
	v_cndmask_b32_e64 v88, v88, v90, s27
	v_cndmask_b32_e64 v87, v87, v90, s28
	;; [unrolled: 1-line block ×11, first 2 shown]
	v_perm_b32 v69, v84, v83, 0x5040100
	v_perm_b32 v86, v66, v87, 0x5040100
	;; [unrolled: 1-line block ×5, first 2 shown]
	s_mov_b32 s3, exec_lo
	ds_store_b128 v81, v[69:72]
	ds_store_b128 v81, v[83:86] offset:1024
	v_cmpx_eq_u32_e32 0, v0
	s_cbranch_execz .LBB846_13
; %bb.12:
	s_load_b128 s[4:7], s[0:1], 0x58
	s_mul_i32 s8, s37, s34
	s_delay_alu instid0(SALU_CYCLE_1) | instskip(NEXT) | instid1(SALU_CYCLE_1)
	s_add_i32 s8, s8, s15
	s_mul_i32 s8, s8, s36
	s_delay_alu instid0(SALU_CYCLE_1) | instskip(NEXT) | instid1(SALU_CYCLE_1)
	s_add_i32 s8, s8, s14
	s_ashr_i32 s9, s8, 31
	s_delay_alu instid0(SALU_CYCLE_1)
	s_lshl_b64 s[8:9], s[8:9], 2
	s_waitcnt lgkmcnt(0)
	s_add_u32 s6, s6, s8
	s_addc_u32 s7, s7, s9
	s_add_u32 s4, s4, s8
	s_addc_u32 s5, s5, s9
	s_clause 0x1
	global_store_b32 v65, v67, s[6:7]
	global_store_b32 v65, v68, s[4:5]
.LBB846_13:
	s_or_b32 exec_lo, exec_lo, s3
	s_waitcnt lgkmcnt(0)
	s_waitcnt_vscnt null, 0x0
	s_barrier
	buffer_gl0_inv
	ds_load_b128 v[83:86], v80
	ds_load_b128 v[87:90], v80 offset:16
	ds_load_b128 v[95:98], v80 offset:2064
	;; [unrolled: 1-line block ×5, first 2 shown]
	v_mov_b32_e32 v66, v65
	v_mov_b32_e32 v67, v65
	;; [unrolled: 1-line block ×7, first 2 shown]
	ds_load_b128 v[111:114], v80 offset:6160
	ds_load_b128 v[107:110], v80 offset:6144
	;; [unrolled: 1-line block ×4, first 2 shown]
	v_cmp_eq_u32_e32 vcc_lo, 1, v76
	v_cmp_eq_u32_e64 s3, 1, v79
	v_cmp_eq_u32_e64 s4, 1, v78
	;; [unrolled: 1-line block ×5, first 2 shown]
	s_waitcnt lgkmcnt(8)
	v_wmma_f32_16x16x16_f16 v[65:72], v[49:56], v[83:90], v[65:72]
	ds_load_b128 v[53:56], v80 offset:10256
	ds_load_b128 v[49:52], v80 offset:10240
	s_waitcnt lgkmcnt(8)
	v_wmma_f32_16x16x16_f16 v[65:72], v[41:48], v[91:98], v[65:72]
	ds_load_b128 v[45:48], v80 offset:12304
	ds_load_b128 v[41:44], v80 offset:12288
	;; [unrolled: 4-line block ×3, first 2 shown]
	s_waitcnt lgkmcnt(0)
	s_barrier
	buffer_gl0_inv
	v_wmma_f32_16x16x16_f16 v[65:72], v[1:8], v[107:114], v[65:72]
	s_delay_alu instid0(VALU_DEP_1) | instskip(NEXT) | instid1(VALU_DEP_1)
	v_wmma_f32_16x16x16_f16 v[65:72], v[9:16], v[115:122], v[65:72]
	v_wmma_f32_16x16x16_f16 v[65:72], v[17:24], v[49:56], v[65:72]
	s_delay_alu instid0(VALU_DEP_1) | instskip(NEXT) | instid1(VALU_DEP_1)
	v_wmma_f32_16x16x16_f16 v[65:72], v[25:32], v[41:48], v[65:72]
	v_wmma_f32_16x16x16_f16 v[65:72], v[57:64], v[33:40], v[65:72]
	s_delay_alu instid0(VALU_DEP_1) | instskip(NEXT) | instid1(VALU_DEP_2)
	v_cvt_f16_f32_e32 v1, v65
	v_cvt_f16_f32_e32 v2, v66
	s_delay_alu instid0(VALU_DEP_3) | instskip(NEXT) | instid1(VALU_DEP_4)
	v_cvt_f16_f32_e32 v3, v67
	v_cvt_f16_f32_e32 v4, v68
	;; [unrolled: 1-line block ×6, first 2 shown]
	v_pack_b32_f16 v1, v1, v2
	v_pack_b32_f16 v2, v3, v4
	;; [unrolled: 1-line block ×3, first 2 shown]
	s_delay_alu instid0(VALU_DEP_4)
	v_pack_b32_f16 v4, v7, v8
	ds_store_b128 v81, v[1:4]
	s_waitcnt lgkmcnt(0)
	s_barrier
	buffer_gl0_inv
	ds_load_b128 v[1:4], v82
	ds_load_b128 v[5:8], v82 offset:16
	s_waitcnt lgkmcnt(1)
	v_lshrrev_b32_e32 v9, 16, v1
	s_waitcnt lgkmcnt(0)
	v_lshrrev_b32_e32 v13, 16, v5
	v_lshrrev_b32_e32 v16, 16, v8
	;; [unrolled: 1-line block ×4, first 2 shown]
	v_cndmask_b32_e32 v17, v1, v9, vcc_lo
	v_cndmask_b32_e32 v18, v5, v13, vcc_lo
	v_cmp_eq_u32_e32 vcc_lo, 1, v77
	v_cndmask_b32_e64 v19, v1, v9, s3
	v_cndmask_b32_e64 v20, v5, v13, s3
	v_cmp_eq_u32_e64 s3, 2, v77
	v_lshrrev_b32_e32 v11, 16, v3
	v_cndmask_b32_e32 v21, v1, v9, vcc_lo
	v_cndmask_b32_e32 v22, v5, v13, vcc_lo
	v_cndmask_b32_e64 v1, v1, v9, s4
	v_cmp_eq_u32_e32 vcc_lo, 2, v78
	v_cndmask_b32_e64 v5, v5, v13, s4
	v_cmp_eq_u32_e64 s4, 2, v79
	v_cndmask_b32_e64 v9, v17, v2, s5
	v_cndmask_b32_e64 v13, v18, v6, s5
	v_cmp_eq_u32_e64 s5, 3, v79
	v_cndmask_b32_e32 v1, v1, v2, vcc_lo
	v_cndmask_b32_e64 v17, v19, v2, s4
	v_cndmask_b32_e64 v18, v20, v6, s4
	;; [unrolled: 1-line block ×4, first 2 shown]
	v_cndmask_b32_e32 v2, v5, v6, vcc_lo
	v_cmp_eq_u32_e32 vcc_lo, 3, v77
	v_cmp_eq_u32_e64 s4, 3, v78
	v_cndmask_b32_e64 v5, v9, v10, s6
	v_cndmask_b32_e64 v6, v13, v14, s6
	;; [unrolled: 1-line block ×4, first 2 shown]
	v_cndmask_b32_e32 v17, v19, v10, vcc_lo
	v_cmp_eq_u32_e64 s3, 4, v77
	v_cndmask_b32_e32 v18, v20, v14, vcc_lo
	v_cndmask_b32_e64 v1, v1, v10, s4
	v_cmp_eq_u32_e32 vcc_lo, 4, v78
	v_cmp_eq_u32_e64 s5, 4, v76
	v_cndmask_b32_e64 v2, v2, v14, s4
	v_cmp_eq_u32_e64 s4, 4, v79
	v_lshrrev_b32_e32 v15, 16, v7
	v_cmp_eq_u32_e64 s6, 5, v76
	v_cndmask_b32_e64 v5, v5, v3, s5
	v_cndmask_b32_e64 v6, v6, v7, s5
	;; [unrolled: 1-line block ×6, first 2 shown]
	v_cmp_eq_u32_e64 s4, 5, v77
	v_cndmask_b32_e32 v1, v1, v3, vcc_lo
	v_cndmask_b32_e32 v2, v2, v7, vcc_lo
	v_cmp_eq_u32_e32 vcc_lo, 5, v78
	v_cmp_eq_u32_e64 s5, 5, v79
	v_cndmask_b32_e64 v5, v5, v11, s6
	v_cmp_eq_u32_e64 s3, 6, v76
	v_cndmask_b32_e64 v6, v6, v15, s6
	v_cndmask_b32_e64 v13, v13, v11, s4
	;; [unrolled: 1-line block ×3, first 2 shown]
	v_cndmask_b32_e32 v1, v1, v11, vcc_lo
	v_cmp_eq_u32_e64 s4, 6, v78
	v_cndmask_b32_e32 v2, v2, v15, vcc_lo
	v_cndmask_b32_e64 v9, v9, v11, s5
	v_cndmask_b32_e64 v10, v10, v15, s5
	v_cmp_eq_u32_e64 s5, 6, v79
	v_lshrrev_b32_e32 v12, 16, v4
	v_cndmask_b32_e64 v5, v5, v4, s3
	v_cndmask_b32_e64 v6, v6, v8, s3
	v_cmp_eq_u32_e64 s3, 7, v76
	v_cndmask_b32_e64 v1, v1, v4, s4
	v_cmp_eq_u32_e32 vcc_lo, 7, v78
	v_cndmask_b32_e64 v2, v2, v8, s4
	v_cndmask_b32_e64 v9, v9, v4, s5
	v_cmp_eq_u32_e64 s6, 7, v79
	v_cndmask_b32_e64 v7, v13, v4, s7
	v_cndmask_b32_e64 v3, v3, v8, s7
	v_cndmask_b32_e32 v2, v2, v16, vcc_lo
	v_cmp_eq_u32_e64 s4, 7, v77
	v_cndmask_b32_e64 v4, v10, v8, s5
	v_cndmask_b32_e64 v5, v5, v12, s3
	v_cndmask_b32_e32 v1, v1, v12, vcc_lo
	v_cndmask_b32_e64 v6, v6, v16, s3
	v_cmp_lt_u32_e32 vcc_lo, 31, v0
	v_cmp_lt_u32_e64 s3, 7, v73
	v_cndmask_b32_e64 v9, v9, v12, s6
	v_cndmask_b32_e64 v7, v7, v12, s4
	;; [unrolled: 1-line block ×4, first 2 shown]
	s_or_b32 s3, vcc_lo, s3
	v_perm_b32 v4, v2, v1, 0x5040100
	v_perm_b32 v1, v6, v5, 0x5040100
	;; [unrolled: 1-line block ×4, first 2 shown]
	s_or_b32 s2, s2, s3
	s_delay_alu instid0(SALU_CYCLE_1)
	s_xor_b32 s2, s2, -1
	ds_store_b128 v81, v[1:4]
	s_waitcnt lgkmcnt(0)
	s_barrier
	buffer_gl0_inv
	s_and_saveexec_b32 s3, s2
	s_cbranch_execz .LBB846_2
; %bb.14:
	s_load_b64 s[0:1], s[0:1], 0x68
	v_lshlrev_b32_e32 v1, 10, v0
	v_and_b32_e32 v0, 1, v0
	v_lshlrev_b32_e32 v2, 6, v75
	s_lshl_b32 s4, s36, 6
	s_delay_alu instid0(VALU_DEP_3) | instskip(NEXT) | instid1(VALU_DEP_3)
	v_and_b32_e32 v1, 0x3800, v1
	v_lshlrev_b32_e32 v0, 4, v0
	s_mul_i32 s2, s4, s34
	s_delay_alu instid0(SALU_CYCLE_1) | instskip(NEXT) | instid1(VALU_DEP_1)
	s_mul_i32 s2, s2, s37
	v_or3_b32 v0, v1, v2, v0
	s_ashr_i32 s3, s2, 31
	s_delay_alu instid0(SALU_CYCLE_1)
	s_lshl_b64 s[2:3], s[2:3], 1
	ds_load_b128 v[0:3], v0
	s_waitcnt lgkmcnt(0)
	s_add_u32 s5, s0, s2
	s_addc_u32 s3, s1, s3
	s_lshl_b32 s0, s14, 6
	s_mul_i32 s2, s4, s15
	s_ashr_i32 s1, s0, 31
	s_delay_alu instid0(SALU_CYCLE_1) | instskip(NEXT) | instid1(SALU_CYCLE_1)
	s_lshl_b64 s[0:1], s[0:1], 1
	s_add_u32 s4, s5, s0
	s_addc_u32 s5, s3, s1
	s_ashr_i32 s3, s2, 31
	s_delay_alu instid0(SALU_CYCLE_1) | instskip(NEXT) | instid1(SALU_CYCLE_1)
	s_lshl_b64 s[0:1], s[2:3], 1
	s_add_u32 s0, s4, s0
	s_addc_u32 s1, s5, s1
	global_store_b128 v74, v[0:3], s[0:1]
	s_nop 0
	s_sendmsg sendmsg(MSG_DEALLOC_VGPRS)
	s_endpgm
	.section	.rodata,"a",@progbits
	.p2align	6, 0x0
	.amdhsa_kernel _Z39paged_attention_ll4mi_QKV_mfma16_kernelIDF16_hLN4vllm18Fp8KVCacheDataTypeE1EDF16_Li16ELi64ELi256ELb0ELi1EL8MFMAType1EEvPKT_PKT0_S8_ifPKiSA_SA_iPKfiiiPfSD_PS3_PT2_iSC_SC_
		.amdhsa_group_segment_fixed_size 17472
		.amdhsa_private_segment_fixed_size 0
		.amdhsa_kernarg_size 400
		.amdhsa_user_sgpr_count 13
		.amdhsa_user_sgpr_dispatch_ptr 0
		.amdhsa_user_sgpr_queue_ptr 0
		.amdhsa_user_sgpr_kernarg_segment_ptr 1
		.amdhsa_user_sgpr_dispatch_id 0
		.amdhsa_user_sgpr_private_segment_size 0
		.amdhsa_wavefront_size32 1
		.amdhsa_uses_dynamic_stack 0
		.amdhsa_enable_private_segment 0
		.amdhsa_system_sgpr_workgroup_id_x 1
		.amdhsa_system_sgpr_workgroup_id_y 1
		.amdhsa_system_sgpr_workgroup_id_z 1
		.amdhsa_system_sgpr_workgroup_info 0
		.amdhsa_system_vgpr_workitem_id 0
		.amdhsa_next_free_vgpr 144
		.amdhsa_next_free_sgpr 48
		.amdhsa_reserve_vcc 1
		.amdhsa_float_round_mode_32 0
		.amdhsa_float_round_mode_16_64 0
		.amdhsa_float_denorm_mode_32 3
		.amdhsa_float_denorm_mode_16_64 3
		.amdhsa_dx10_clamp 1
		.amdhsa_ieee_mode 1
		.amdhsa_fp16_overflow 0
		.amdhsa_workgroup_processor_mode 1
		.amdhsa_memory_ordered 1
		.amdhsa_forward_progress 0
		.amdhsa_shared_vgpr_count 0
		.amdhsa_exception_fp_ieee_invalid_op 0
		.amdhsa_exception_fp_denorm_src 0
		.amdhsa_exception_fp_ieee_div_zero 0
		.amdhsa_exception_fp_ieee_overflow 0
		.amdhsa_exception_fp_ieee_underflow 0
		.amdhsa_exception_fp_ieee_inexact 0
		.amdhsa_exception_int_div_zero 0
	.end_amdhsa_kernel
	.section	.text._Z39paged_attention_ll4mi_QKV_mfma16_kernelIDF16_hLN4vllm18Fp8KVCacheDataTypeE1EDF16_Li16ELi64ELi256ELb0ELi1EL8MFMAType1EEvPKT_PKT0_S8_ifPKiSA_SA_iPKfiiiPfSD_PS3_PT2_iSC_SC_,"axG",@progbits,_Z39paged_attention_ll4mi_QKV_mfma16_kernelIDF16_hLN4vllm18Fp8KVCacheDataTypeE1EDF16_Li16ELi64ELi256ELb0ELi1EL8MFMAType1EEvPKT_PKT0_S8_ifPKiSA_SA_iPKfiiiPfSD_PS3_PT2_iSC_SC_,comdat
.Lfunc_end846:
	.size	_Z39paged_attention_ll4mi_QKV_mfma16_kernelIDF16_hLN4vllm18Fp8KVCacheDataTypeE1EDF16_Li16ELi64ELi256ELb0ELi1EL8MFMAType1EEvPKT_PKT0_S8_ifPKiSA_SA_iPKfiiiPfSD_PS3_PT2_iSC_SC_, .Lfunc_end846-_Z39paged_attention_ll4mi_QKV_mfma16_kernelIDF16_hLN4vllm18Fp8KVCacheDataTypeE1EDF16_Li16ELi64ELi256ELb0ELi1EL8MFMAType1EEvPKT_PKT0_S8_ifPKiSA_SA_iPKfiiiPfSD_PS3_PT2_iSC_SC_
                                        ; -- End function
	.section	.AMDGPU.csdata,"",@progbits
; Kernel info:
; codeLenInByte = 6204
; NumSgprs: 50
; NumVgprs: 144
; ScratchSize: 0
; MemoryBound: 1
; FloatMode: 240
; IeeeMode: 1
; LDSByteSize: 17472 bytes/workgroup (compile time only)
; SGPRBlocks: 6
; VGPRBlocks: 17
; NumSGPRsForWavesPerEU: 50
; NumVGPRsForWavesPerEU: 144
; Occupancy: 10
; WaveLimiterHint : 1
; COMPUTE_PGM_RSRC2:SCRATCH_EN: 0
; COMPUTE_PGM_RSRC2:USER_SGPR: 13
; COMPUTE_PGM_RSRC2:TRAP_HANDLER: 0
; COMPUTE_PGM_RSRC2:TGID_X_EN: 1
; COMPUTE_PGM_RSRC2:TGID_Y_EN: 1
; COMPUTE_PGM_RSRC2:TGID_Z_EN: 1
; COMPUTE_PGM_RSRC2:TIDIG_COMP_CNT: 0
	.section	.text._Z39paged_attention_ll4mi_QKV_mfma16_kernelIDF16_hLN4vllm18Fp8KVCacheDataTypeE1EDF16_Li16ELi64ELi256ELb0ELi2EL8MFMAType1EEvPKT_PKT0_S8_ifPKiSA_SA_iPKfiiiPfSD_PS3_PT2_iSC_SC_,"axG",@progbits,_Z39paged_attention_ll4mi_QKV_mfma16_kernelIDF16_hLN4vllm18Fp8KVCacheDataTypeE1EDF16_Li16ELi64ELi256ELb0ELi2EL8MFMAType1EEvPKT_PKT0_S8_ifPKiSA_SA_iPKfiiiPfSD_PS3_PT2_iSC_SC_,comdat
	.protected	_Z39paged_attention_ll4mi_QKV_mfma16_kernelIDF16_hLN4vllm18Fp8KVCacheDataTypeE1EDF16_Li16ELi64ELi256ELb0ELi2EL8MFMAType1EEvPKT_PKT0_S8_ifPKiSA_SA_iPKfiiiPfSD_PS3_PT2_iSC_SC_ ; -- Begin function _Z39paged_attention_ll4mi_QKV_mfma16_kernelIDF16_hLN4vllm18Fp8KVCacheDataTypeE1EDF16_Li16ELi64ELi256ELb0ELi2EL8MFMAType1EEvPKT_PKT0_S8_ifPKiSA_SA_iPKfiiiPfSD_PS3_PT2_iSC_SC_
	.globl	_Z39paged_attention_ll4mi_QKV_mfma16_kernelIDF16_hLN4vllm18Fp8KVCacheDataTypeE1EDF16_Li16ELi64ELi256ELb0ELi2EL8MFMAType1EEvPKT_PKT0_S8_ifPKiSA_SA_iPKfiiiPfSD_PS3_PT2_iSC_SC_
	.p2align	8
	.type	_Z39paged_attention_ll4mi_QKV_mfma16_kernelIDF16_hLN4vllm18Fp8KVCacheDataTypeE1EDF16_Li16ELi64ELi256ELb0ELi2EL8MFMAType1EEvPKT_PKT0_S8_ifPKiSA_SA_iPKfiiiPfSD_PS3_PT2_iSC_SC_,@function
_Z39paged_attention_ll4mi_QKV_mfma16_kernelIDF16_hLN4vllm18Fp8KVCacheDataTypeE1EDF16_Li16ELi64ELi256ELb0ELi2EL8MFMAType1EEvPKT_PKT0_S8_ifPKiSA_SA_iPKfiiiPfSD_PS3_PT2_iSC_SC_: ; @_Z39paged_attention_ll4mi_QKV_mfma16_kernelIDF16_hLN4vllm18Fp8KVCacheDataTypeE1EDF16_Li16ELi64ELi256ELb0ELi2EL8MFMAType1EEvPKT_PKT0_S8_ifPKiSA_SA_iPKfiiiPfSD_PS3_PT2_iSC_SC_
; %bb.0:
	s_load_b64 s[2:3], s[0:1], 0x30
	s_mov_b32 s30, s13
	s_waitcnt lgkmcnt(0)
	s_cmp_lg_u64 s[2:3], 0
	s_cselect_b32 s6, -1, 0
	s_ashr_i32 s31, s13, 31
	s_cmp_eq_u64 s[2:3], 0
	s_cbranch_scc1 .LBB847_3
; %bb.1:
	s_lshl_b64 s[4:5], s[30:31], 2
	s_delay_alu instid0(SALU_CYCLE_1) | instskip(SKIP_4) | instid1(SALU_CYCLE_1)
	s_add_u32 s4, s2, s4
	s_addc_u32 s5, s3, s5
	s_load_b64 s[4:5], s[4:5], 0x0
	s_waitcnt lgkmcnt(0)
	s_sub_i32 s4, s5, s4
	s_cmp_eq_u32 s4, 1
	s_cselect_b32 s4, -1, 0
	s_delay_alu instid0(SALU_CYCLE_1)
	s_and_not1_b32 vcc_lo, exec_lo, s4
	s_cbranch_vccz .LBB847_4
.LBB847_2:
	s_endpgm
.LBB847_3:
.LBB847_4:
	s_load_b64 s[8:9], s[0:1], 0x28
	s_lshl_b64 s[4:5], s[30:31], 2
	s_waitcnt lgkmcnt(0)
	s_add_u32 s8, s8, s4
	s_addc_u32 s9, s9, s5
	s_lshl_b32 s16, s14, 8
	s_load_b32 s17, s[8:9], 0x0
	s_waitcnt lgkmcnt(0)
	s_cmp_ge_i32 s16, s17
	s_cbranch_scc1 .LBB847_2
; %bb.5:
	s_clause 0x1
	s_load_b128 s[8:11], s[0:1], 0x8
	s_load_b64 s[12:13], s[0:1], 0x20
	s_and_not1_b32 vcc_lo, exec_lo, s6
	s_cbranch_vccnz .LBB847_7
; %bb.6:
	s_add_u32 s2, s2, s4
	s_addc_u32 s3, s3, s5
	s_load_b32 s3, s[2:3], 0x0
	s_branch .LBB847_8
.LBB847_7:
	s_mov_b32 s3, s30
.LBB847_8:
	s_load_b128 s[4:7], s[0:1], 0x48
	v_and_b32_e32 v70, 15, v0
	v_bfe_u32 v69, v0, 4, 1
	s_lshl_b32 s33, s15, 1
	v_cmp_gt_u32_e32 vcc_lo, 32, v0
	v_and_b32_e32 v71, 31, v0
	v_lshlrev_b32_e32 v1, 3, v70
	v_cmp_gt_u32_e64 s2, 8, v70
	v_and_b32_e32 v68, 1, v0
	v_or_b32_e32 v67, s33, v69
	v_lshlrev_b32_e32 v66, 6, v69
	v_lshlrev_b32_e32 v65, 1, v1
	s_and_b32 s31, vcc_lo, s2
	s_delay_alu instid0(SALU_CYCLE_1)
	s_and_saveexec_b32 s2, s31
	s_cbranch_execz .LBB847_10
; %bb.9:
	s_load_b64 s[18:19], s[0:1], 0x0
	v_lshlrev_b32_e32 v1, 6, v67
	s_waitcnt lgkmcnt(0)
	s_mul_hi_i32 s21, s3, s4
	s_mul_i32 s20, s3, s4
	v_lshlrev_b32_e32 v5, 10, v70
	s_lshl_b64 s[20:21], s[20:21], 1
	v_ashrrev_i32_e32 v2, 31, v1
	v_lshlrev_b32_e32 v6, 10, v68
	s_delay_alu instid0(VALU_DEP_3) | instskip(NEXT) | instid1(VALU_DEP_3)
	v_and_b32_e32 v5, 0x3800, v5
	v_lshlrev_b64 v[1:2], 1, v[1:2]
	s_delay_alu instid0(VALU_DEP_2) | instskip(SKIP_2) | instid1(VALU_DEP_2)
	v_or3_b32 v5, v5, v6, v66
	s_add_u32 s3, s18, s20
	s_addc_u32 s4, s19, s21
	v_add_co_u32 v1, vcc_lo, s3, v1
	s_delay_alu instid0(VALU_DEP_3) | instskip(NEXT) | instid1(VALU_DEP_2)
	v_add_co_ci_u32_e32 v2, vcc_lo, s4, v2, vcc_lo
	v_add_co_u32 v1, vcc_lo, v1, v65
	s_delay_alu instid0(VALU_DEP_2)
	v_add_co_ci_u32_e32 v2, vcc_lo, 0, v2, vcc_lo
	global_load_b128 v[1:4], v[1:2], off
	s_waitcnt vmcnt(0)
	ds_store_b128 v5, v[1:4]
.LBB847_10:
	s_or_b32 exec_lo, exec_lo, s2
	v_and_b32_e32 v1, 0xef, v0
	s_add_i32 s2, s17, 15
	s_waitcnt lgkmcnt(0)
	s_clause 0x1
	s_load_b32 s3, s[0:1], 0x38
	s_load_b32 s34, s[0:1], 0x98
	s_ashr_i32 s4, s2, 31
	v_add_nc_u32_e32 v1, s16, v1
	s_lshr_b32 s4, s4, 28
	s_load_b32 s18, s[0:1], 0x1c
	s_add_i32 s2, s2, s4
	s_waitcnt lgkmcnt(0)
	v_ashrrev_i32_e32 v2, 31, v1
	v_or_b32_e32 v3, 16, v1
	s_ashr_i32 s2, s2, 4
	v_cmp_gt_i32_e32 vcc_lo, s17, v1
	s_add_i32 s2, s2, -1
	v_lshrrev_b32_e32 v2, 28, v2
	s_barrier
	buffer_gl0_inv
	s_mul_i32 s15, s15, s6
	v_lshrrev_b32_e32 v72, 5, v0
	v_add_nc_u32_e32 v4, v1, v2
	v_mbcnt_lo_u32_b32 v129, -1, 0
	s_mul_i32 s20, s30, s3
	v_and_b32_e32 v105, 0xe0, v0
	s_ashr_i32 s21, s20, 31
	v_ashrrev_i32_e32 v4, 4, v4
	v_add_nc_u32_e32 v2, v3, v2
	s_lshl_b64 s[20:21], s[20:21], 2
	v_xor_b32_e32 v130, 16, v129
	s_add_u32 s19, s12, s20
	v_cndmask_b32_e32 v1, s2, v4, vcc_lo
	v_ashrrev_i32_e32 v2, 4, v2
	v_cmp_gt_i32_e32 vcc_lo, s17, v3
	s_addc_u32 s12, s13, s21
	s_ashr_i32 s13, s15, 31
	s_add_u32 s3, s8, s15
	s_addc_u32 s4, s9, s13
	v_cndmask_b32_e32 v3, s2, v2, vcc_lo
	v_ashrrev_i32_e32 v2, 31, v1
	s_lshl_b32 s6, s14, 4
	v_add_nc_u32_e32 v121, s16, v105
	s_ashr_i32 s7, s6, 31
	v_ashrrev_i32_e32 v4, 31, v3
	v_lshlrev_b64 v[1:2], 2, v[1:2]
	s_lshl_b64 s[6:7], s[6:7], 2
	v_or_b32_e32 v137, v121, v69
	s_add_u32 s6, s19, s6
	v_lshlrev_b64 v[3:4], 2, v[3:4]
	s_addc_u32 s7, s12, s7
	v_add_co_u32 v1, vcc_lo, s19, v1
	v_add_co_ci_u32_e32 v2, vcc_lo, s12, v2, vcc_lo
	s_delay_alu instid0(VALU_DEP_3) | instskip(NEXT) | instid1(VALU_DEP_4)
	v_add_co_u32 v3, vcc_lo, s19, v3
	v_add_co_ci_u32_e32 v4, vcc_lo, s12, v4, vcc_lo
	s_clause 0x1
	global_load_b32 v5, v[1:2], off
	global_load_b32 v7, v[3:4], off
	s_or_b32 s8, s16, 32
	v_lshlrev_b32_e32 v1, 4, v0
	s_ashr_i32 s9, s8, 4
	s_cmp_lt_i32 s8, s17
	v_cmp_gt_i32_e32 vcc_lo, 32, v130
	s_cselect_b32 s8, s9, s2
	v_and_b32_e32 v1, 0xf0, v1
	s_ashr_i32 s9, s8, 31
	v_dual_cndmask_b32 v138, v129, v130 :: v_dual_lshlrev_b32 v117, 6, v68
	s_lshl_b64 s[8:9], s[8:9], 2
	s_delay_alu instid0(VALU_DEP_2)
	v_add_co_u32 v1, s3, s3, v1
	s_add_u32 s20, s19, s8
	s_addc_u32 s21, s12, s9
	s_or_b32 s8, s16, 64
	v_add_co_ci_u32_e64 v2, null, s4, 0, s3
	s_ashr_i32 s9, s8, 4
	s_cmp_lt_i32 s8, s17
	v_or_b32_e32 v139, 2, v137
	s_cselect_b32 s8, s9, s2
	v_or_b32_e32 v140, 4, v137
	s_ashr_i32 s9, s8, 31
	v_or_b32_e32 v141, 6, v137
	s_lshl_b64 s[8:9], s[8:9], 2
	v_cmp_gt_i32_e32 vcc_lo, s17, v137
	s_add_u32 s22, s19, s8
	s_addc_u32 s23, s12, s9
	s_or_b32 s8, s16, 0x60
	v_or_b32_e32 v142, 8, v137
	s_ashr_i32 s9, s8, 4
	s_cmp_lt_i32 s8, s17
	v_or_b32_e32 v143, 10, v137
	s_cselect_b32 s8, s9, s2
	v_or_b32_e32 v144, 12, v137
	s_ashr_i32 s9, s8, 31
	v_or_b32_e32 v145, 14, v137
	s_lshl_b64 s[8:9], s[8:9], 2
	v_or_b32_e32 v146, 16, v137
	s_add_u32 s24, s19, s8
	s_addc_u32 s25, s12, s9
	s_or_b32 s8, s16, 0x80
	v_or_b32_e32 v147, 18, v137
	s_ashr_i32 s9, s8, 4
	s_cmp_lt_i32 s8, s17
	s_cselect_b32 s8, s9, s2
	s_delay_alu instid0(SALU_CYCLE_1) | instskip(NEXT) | instid1(SALU_CYCLE_1)
	s_ashr_i32 s9, s8, 31
	s_lshl_b64 s[8:9], s[8:9], 2
	s_delay_alu instid0(SALU_CYCLE_1) | instskip(SKIP_2) | instid1(SALU_CYCLE_1)
	s_add_u32 s26, s19, s8
	s_addc_u32 s27, s12, s9
	s_or_b32 s8, s16, 0xa0
	s_ashr_i32 s9, s8, 4
	s_cmp_lt_i32 s8, s17
	s_cselect_b32 s8, s9, s2
	s_delay_alu instid0(SALU_CYCLE_1) | instskip(NEXT) | instid1(SALU_CYCLE_1)
	s_ashr_i32 s9, s8, 31
	s_lshl_b64 s[8:9], s[8:9], 2
	s_delay_alu instid0(SALU_CYCLE_1)
	s_add_u32 s28, s19, s8
	s_addc_u32 s29, s12, s9
	s_clause 0x5
	s_load_b32 s9, s[6:7], 0x0
	s_load_b32 s3, s[20:21], 0x0
	;; [unrolled: 1-line block ×6, first 2 shown]
	s_or_b32 s20, s16, 0xc0
	s_delay_alu instid0(SALU_CYCLE_1) | instskip(SKIP_2) | instid1(SALU_CYCLE_1)
	s_ashr_i32 s21, s20, 4
	s_cmp_lt_i32 s20, s17
	s_cselect_b32 s20, s21, s2
	s_ashr_i32 s21, s20, 31
	s_delay_alu instid0(SALU_CYCLE_1) | instskip(NEXT) | instid1(SALU_CYCLE_1)
	s_lshl_b64 s[20:21], s[20:21], 2
	s_add_u32 s20, s19, s20
	s_addc_u32 s21, s12, s21
	s_or_b32 s22, s16, 0xe0
	s_delay_alu instid0(SALU_CYCLE_1) | instskip(SKIP_2) | instid1(SALU_CYCLE_1)
	s_ashr_i32 s23, s22, 4
	s_cmp_lt_i32 s22, s17
	s_cselect_b32 s22, s23, s2
	s_ashr_i32 s23, s22, 31
	s_delay_alu instid0(SALU_CYCLE_1)
	s_lshl_b64 s[22:23], s[22:23], 2
	s_waitcnt vmcnt(1)
	v_mad_i64_i32 v[3:4], null, v5, s5, v[1:2]
	s_waitcnt vmcnt(0)
	v_mad_i64_i32 v[5:6], null, v7, s5, v[1:2]
	v_lshlrev_b32_e32 v1, 4, v70
	s_clause 0x7
	global_load_b128 v[73:76], v[3:4], off
	global_load_b128 v[77:80], v[3:4], off offset:256
	global_load_b128 v[81:84], v[5:6], off
	global_load_b128 v[85:88], v[5:6], off offset:256
	global_load_b128 v[89:92], v[3:4], off offset:512
	;; [unrolled: 1-line block ×5, first 2 shown]
	v_lshl_or_b32 v1, v72, 8, v1
	s_load_b32 s2, s[20:21], 0x0
	s_add_u32 s20, s19, s22
	s_addc_u32 s21, s12, s23
	s_add_u32 s10, s10, s15
	s_addc_u32 s11, s11, s13
	v_add_co_u32 v1, s10, s10, v1
	s_delay_alu instid0(VALU_DEP_1) | instskip(SKIP_2) | instid1(VALU_DEP_1)
	v_add_co_ci_u32_e64 v2, null, s11, 0, s10
	s_load_b32 s10, s[20:21], 0x0
	s_waitcnt lgkmcnt(0)
	v_mad_i64_i32 v[3:4], null, s9, s5, v[1:2]
	v_mad_i64_i32 v[9:10], null, s6, s5, v[1:2]
	;; [unrolled: 1-line block ×7, first 2 shown]
	s_clause 0x5
	global_load_b128 v[49:52], v[3:4], off
	global_load_b128 v[53:56], v[3:4], off offset:16
	global_load_b128 v[41:44], v[5:6], off
	global_load_b128 v[45:48], v[5:6], off offset:16
	global_load_b128 v[33:36], v[7:8], off
	global_load_b128 v[37:40], v[7:8], off offset:16
	s_mov_b32 s4, 0
	v_cmp_gt_i32_e64 s2, s17, v139
	v_mad_i64_i32 v[61:62], null, s10, s5, v[1:2]
	s_clause 0x9
	global_load_b128 v[1:4], v[9:10], off
	global_load_b128 v[5:8], v[9:10], off offset:16
	global_load_b128 v[9:12], v[13:14], off
	global_load_b128 v[13:16], v[13:14], off offset:16
	;; [unrolled: 2-line block ×5, first 2 shown]
	ds_load_b128 v[105:108], v117
	ds_load_b128 v[109:112], v117 offset:1024
	ds_load_b128 v[113:116], v117 offset:2048
	;; [unrolled: 1-line block ×3, first 2 shown]
	s_mov_b32 s11, s4
	s_mov_b32 s5, s4
	;; [unrolled: 1-line block ×7, first 2 shown]
	s_delay_alu instid0(SALU_CYCLE_1)
	v_dual_mov_b32 v128, s11 :: v_dual_mov_b32 v127, s10
	v_dual_mov_b32 v126, s9 :: v_dual_mov_b32 v125, s8
	;; [unrolled: 1-line block ×4, first 2 shown]
	v_cmp_gt_i32_e64 s3, s17, v140
	v_cmp_gt_i32_e64 s4, s17, v141
	;; [unrolled: 1-line block ×8, first 2 shown]
	s_waitcnt vmcnt(0) lgkmcnt(0)
	s_barrier
	buffer_gl0_inv
	v_wmma_f32_16x16x16_f16 v[129:136], v[73:80], v[105:112], v[121:128]
	v_wmma_f32_16x16x16_f16 v[121:128], v[81:88], v[105:112], v[121:128]
	v_or_b32_e32 v73, 20, v137
	v_or_b32_e32 v74, 22, v137
	s_delay_alu instid0(VALU_DEP_4)
	v_wmma_f32_16x16x16_f16 v[129:136], v[89:96], v[113:120], v[129:136]
	v_or_b32_e32 v75, 24, v137
	v_wmma_f32_16x16x16_f16 v[121:128], v[97:104], v[113:120], v[121:128]
	v_or_b32_e32 v76, 26, v137
	v_cmp_gt_i32_e64 s11, s17, v73
	v_dual_mul_f32 v85, s18, v130 :: v_dual_mul_f32 v86, s18, v129
	v_dual_mul_f32 v83, s18, v132 :: v_dual_mul_f32 v84, s18, v131
	;; [unrolled: 1-line block ×3, first 2 shown]
	s_delay_alu instid0(VALU_DEP_3) | instskip(NEXT) | instid1(VALU_DEP_4)
	v_cndmask_b32_e32 v86, 0xff7fffff, v86, vcc_lo
	v_cndmask_b32_e64 v85, 0xff7fffff, v85, s2
	v_mul_f32_e32 v82, s18, v133
	v_cndmask_b32_e64 v84, 0xff7fffff, v84, s3
	v_cndmask_b32_e64 v83, 0xff7fffff, v83, s4
	v_dual_mul_f32 v79, s18, v136 :: v_dual_mul_f32 v92, s18, v123
	v_max3_f32 v85, v86, 0xff7fffff, v85
	v_mul_f32_e32 v80, s18, v135
	v_cndmask_b32_e64 v82, 0xff7fffff, v82, s5
	v_cndmask_b32_e64 v81, 0xff7fffff, v81, s6
	v_mul_f32_e32 v93, s18, v122
	v_max3_f32 v83, v85, v84, v83
	v_cndmask_b32_e64 v80, 0xff7fffff, v80, s7
	v_cndmask_b32_e64 v79, 0xff7fffff, v79, s8
	v_mul_f32_e32 v91, s18, v124
	v_cmp_gt_i32_e64 s12, s17, v74
	v_max3_f32 v81, v83, v82, v81
	v_cndmask_b32_e64 v82, 0xff7fffff, v94, s9
	v_cndmask_b32_e64 v83, 0xff7fffff, v93, s10
	v_or_b32_e32 v77, 28, v137
	v_or_b32_e32 v78, 30, v137
	v_max3_f32 v79, v81, v80, v79
	v_dual_mul_f32 v89, s18, v126 :: v_dual_mul_f32 v90, s18, v125
	v_cndmask_b32_e64 v73, 0xff7fffff, v92, s11
	v_cndmask_b32_e64 v74, 0xff7fffff, v91, s12
	s_delay_alu instid0(VALU_DEP_4) | instskip(SKIP_3) | instid1(VALU_DEP_4)
	v_max3_f32 v79, v79, v82, v83
	v_cmp_gt_i32_e64 s13, s17, v75
	v_cmp_gt_i32_e64 s15, s17, v76
	v_dual_mul_f32 v87, s18, v128 :: v_dual_mul_f32 v88, s18, v127
	v_max3_f32 v73, v79, v73, v74
	s_delay_alu instid0(VALU_DEP_4) | instskip(NEXT) | instid1(VALU_DEP_4)
	v_cndmask_b32_e64 v75, 0xff7fffff, v90, s13
	v_cndmask_b32_e64 v76, 0xff7fffff, v89, s15
	v_cmp_gt_i32_e64 s16, s17, v77
	v_cmp_gt_i32_e64 s17, s17, v78
	s_delay_alu instid0(VALU_DEP_3) | instskip(NEXT) | instid1(VALU_DEP_3)
	v_max3_f32 v73, v73, v75, v76
	v_cndmask_b32_e64 v74, 0xff7fffff, v88, s16
	s_delay_alu instid0(VALU_DEP_3) | instskip(SKIP_1) | instid1(VALU_DEP_2)
	v_cndmask_b32_e64 v77, 0xff7fffff, v87, s17
	v_lshlrev_b32_e32 v75, 2, v138
	v_max3_f32 v73, v73, v74, v77
	ds_bpermute_b32 v74, v75, v73
	s_waitcnt lgkmcnt(0)
	v_max_f32_e32 v74, v74, v74
	s_delay_alu instid0(VALU_DEP_1) | instskip(NEXT) | instid1(VALU_DEP_1)
	v_max_f32_e32 v73, v73, v74
	v_fma_f32 v74, s18, v129, -v73
	v_fma_f32 v76, s18, v130, -v73
	;; [unrolled: 1-line block ×5, first 2 shown]
	v_mul_f32_e32 v74, 0x3fb8aa3b, v74
	v_mul_f32_e32 v76, 0x3fb8aa3b, v76
	v_fma_f32 v83, s18, v135, -v73
	v_mul_f32_e32 v78, 0x3fb8aa3b, v78
	v_mul_f32_e32 v80, 0x3fb8aa3b, v80
	v_exp_f32_e32 v74, v74
	v_exp_f32_e32 v76, v76
	v_mul_f32_e32 v83, 0x3fb8aa3b, v83
	v_exp_f32_e32 v82, v78
	v_exp_f32_e32 v84, v80
	s_delay_alu instid0(VALU_DEP_1) | instskip(SKIP_4) | instid1(TRANS32_DEP_3)
	v_exp_f32_e32 v85, v83
	v_cndmask_b32_e32 v79, 0, v74, vcc_lo
	v_fma_f32 v74, s18, v134, -v73
	v_mul_f32_e32 v77, 0x3fb8aa3b, v77
	v_cndmask_b32_e64 v78, 0, v76, s2
	v_cndmask_b32_e64 v80, 0, v82, s4
	v_add_f32_e32 v76, 0, v79
	v_mul_f32_e32 v74, 0x3fb8aa3b, v74
	v_exp_f32_e32 v77, v77
	v_fma_f32 v82, s18, v121, -v73
	v_cndmask_b32_e64 v83, 0, v84, s5
	v_add_f32_e32 v76, v76, v78
	v_exp_f32_e32 v74, v74
	s_mov_b32 s2, exec_lo
	v_mul_f32_e32 v86, 0x3fb8aa3b, v82
	v_cndmask_b32_e64 v85, 0, v85, s7
	s_delay_alu instid0(TRANS32_DEP_2) | instskip(SKIP_3) | instid1(VALU_DEP_1)
	v_cndmask_b32_e64 v81, 0, v77, s3
	s_waitcnt_depctr 0xfff
	v_cndmask_b32_e64 v82, 0, v74, s6
	v_add_f32_e32 v76, v76, v81
	v_add_f32_e32 v76, v76, v80
	s_delay_alu instid0(VALU_DEP_1) | instskip(SKIP_4) | instid1(VALU_DEP_4)
	v_add_f32_e32 v74, v76, v83
	v_fma_f32 v77, s18, v136, -v73
	v_fma_f32 v84, s18, v122, -v73
	;; [unrolled: 1-line block ×4, first 2 shown]
	v_dual_add_f32 v74, v74, v82 :: v_dual_mul_f32 v77, 0x3fb8aa3b, v77
	s_delay_alu instid0(VALU_DEP_4) | instskip(SKIP_1) | instid1(VALU_DEP_4)
	v_mul_f32_e32 v84, 0x3fb8aa3b, v84
	v_fma_f32 v92, s18, v128, -v73
	v_mul_f32_e32 v89, 0x3fb8aa3b, v87
	v_exp_f32_e32 v86, v86
	v_exp_f32_e32 v77, v77
	v_exp_f32_e32 v88, v84
	v_add_f32_e32 v74, v74, v85
	v_exp_f32_e32 v91, v89
	v_fma_f32 v90, s18, v126, -v73
	v_cndmask_b32_e64 v87, 0, v86, s9
	s_delay_alu instid0(TRANS32_DEP_3) | instskip(SKIP_2) | instid1(TRANS32_DEP_2)
	v_cndmask_b32_e64 v84, 0, v77, s8
	v_fma_f32 v77, s18, v125, -v73
	v_mul_f32_e32 v76, 0x3fb8aa3b, v76
	v_cndmask_b32_e64 v86, 0, v88, s10
	v_fma_f32 v88, s18, v127, -v73
	s_delay_alu instid0(VALU_DEP_4) | instskip(NEXT) | instid1(VALU_DEP_4)
	v_dual_mul_f32 v90, 0x3fb8aa3b, v90 :: v_dual_mul_f32 v77, 0x3fb8aa3b, v77
	v_exp_f32_e32 v76, v76
	s_delay_alu instid0(VALU_DEP_1) | instskip(NEXT) | instid1(VALU_DEP_1)
	v_exp_f32_e32 v90, v90
	v_exp_f32_e32 v77, v77
	s_delay_alu instid0(TRANS32_DEP_3)
	v_cndmask_b32_e64 v89, 0, v76, s11
	v_mul_f32_e32 v76, 0x3fb8aa3b, v88
	v_cndmask_b32_e64 v88, 0, v91, s12
	s_waitcnt_depctr 0xfff
	v_cndmask_b32_e64 v90, 0, v90, s15
	v_cndmask_b32_e64 v91, 0, v77, s13
	v_mul_f32_e32 v77, 0x3fb8aa3b, v92
	v_add_f32_e32 v74, v74, v84
	v_exp_f32_e32 v76, v76
	s_delay_alu instid0(VALU_DEP_2) | instskip(NEXT) | instid1(VALU_DEP_1)
	v_exp_f32_e32 v77, v77
	v_add_f32_e32 v74, v74, v87
	s_delay_alu instid0(VALU_DEP_1) | instskip(SKIP_4) | instid1(VALU_DEP_1)
	v_add_f32_e32 v74, v74, v86
	s_waitcnt_depctr 0xfff
	v_cndmask_b32_e64 v93, 0, v76, s16
	v_cndmask_b32_e64 v92, 0, v77, s17
	v_add_f32_e32 v74, v74, v89
	v_add_f32_e32 v74, v74, v88
	s_delay_alu instid0(VALU_DEP_1) | instskip(NEXT) | instid1(VALU_DEP_1)
	v_add_f32_e32 v74, v74, v91
	v_add_f32_e32 v74, v74, v90
	s_delay_alu instid0(VALU_DEP_1) | instskip(NEXT) | instid1(VALU_DEP_1)
	v_add_f32_e32 v74, v74, v93
	v_add_f32_e32 v74, v74, v92
	ds_bpermute_b32 v75, v75, v74
	v_cmpx_gt_u32_e32 16, v71
	s_cbranch_execz .LBB847_12
; %bb.11:
	v_mul_u32_u24_e32 v71, 0x44, v72
	s_waitcnt lgkmcnt(0)
	v_add_f32_e32 v74, v74, v75
	s_delay_alu instid0(VALU_DEP_2) | instskip(NEXT) | instid1(VALU_DEP_1)
	v_lshl_add_u32 v71, v70, 2, v71
	v_add_nc_u32_e32 v71, 0x4000, v71
	ds_store_2addr_b32 v71, v73, v74 offset1:136
.LBB847_12:
	s_or_b32 exec_lo, exec_lo, s2
	v_lshlrev_b32_e32 v71, 2, v70
	s_load_b32 s35, s[0:1], 0x94
	s_waitcnt lgkmcnt(0)
	s_barrier
	buffer_gl0_inv
	v_add_nc_u32_e32 v71, 0x4000, v71
	v_cmp_eq_u32_e32 vcc_lo, 1, v72
	v_cmp_eq_u32_e64 s2, 2, v72
	v_cmp_eq_u32_e64 s3, 3, v72
	v_cmp_eq_u32_e64 s4, 4, v72
	ds_load_2addr_b32 v[73:74], v71 offset1:17
	ds_load_2addr_b32 v[94:95], v71 offset0:34 offset1:51
	ds_load_2addr_b32 v[96:97], v71 offset0:68 offset1:85
	;; [unrolled: 1-line block ×3, first 2 shown]
	v_cmp_eq_u32_e64 s5, 5, v72
	v_cmp_eq_u32_e64 s6, 7, v72
	s_waitcnt lgkmcnt(3)
	v_max3_f32 v75, v73, 0xff7fffff, v74
	s_waitcnt lgkmcnt(2)
	s_delay_alu instid0(VALU_DEP_1) | instskip(SKIP_1) | instid1(VALU_DEP_1)
	v_max3_f32 v75, v75, v94, v95
	s_waitcnt lgkmcnt(1)
	v_max3_f32 v75, v75, v96, v97
	s_waitcnt lgkmcnt(0)
	s_delay_alu instid0(VALU_DEP_1) | instskip(NEXT) | instid1(VALU_DEP_1)
	v_max3_f32 v76, v75, v98, v99
	v_sub_f32_e32 v96, v96, v76
	ds_load_2addr_b32 v[100:101], v71 offset0:136 offset1:153
	v_sub_f32_e32 v73, v73, v76
	v_sub_f32_e32 v75, v74, v76
	;; [unrolled: 1-line block ×3, first 2 shown]
	v_mul_f32_e32 v105, 0x3fb8aa3b, v96
	s_delay_alu instid0(VALU_DEP_4)
	v_mul_f32_e32 v77, 0x3fb8aa3b, v73
	ds_load_2addr_b32 v[73:74], v71 offset0:170 offset1:187
	v_mul_f32_e32 v103, 0x3fb8aa3b, v94
	v_exp_f32_e32 v102, v77
	v_sub_f32_e32 v77, v95, v76
	ds_load_2addr_b32 v[94:95], v71 offset0:204 offset1:221
	v_exp_f32_e32 v103, v103
	v_mul_f32_e32 v104, 0x3fb8aa3b, v77
	s_waitcnt lgkmcnt(2)
	v_fma_f32 v77, v102, v100, 0
	v_dual_sub_f32 v100, v97, v76 :: v_dual_mul_f32 v75, 0x3fb8aa3b, v75
	ds_load_2addr_b32 v[96:97], v71 offset0:238 offset1:255
	v_sub_f32_e32 v71, v98, v76
	v_exp_f32_e32 v104, v104
	v_mul_f32_e32 v98, 0x3fb8aa3b, v100
	v_exp_f32_e32 v75, v75
	v_exp_f32_e32 v100, v105
	v_mul_f32_e32 v71, 0x3fb8aa3b, v71
	s_waitcnt lgkmcnt(0)
	v_exp_f32_e32 v98, v98
	s_barrier
	buffer_gl0_inv
	v_fmac_f32_e32 v77, v75, v101
	s_delay_alu instid0(VALU_DEP_1) | instskip(SKIP_2) | instid1(VALU_DEP_2)
	v_fmac_f32_e32 v77, v103, v73
	v_sub_f32_e32 v73, v99, v76
	v_exp_f32_e32 v99, v71
	v_fmac_f32_e32 v77, v104, v74
	s_delay_alu instid0(VALU_DEP_2) | instskip(NEXT) | instid1(VALU_DEP_2)
	v_dual_mul_f32 v73, 0x3fb8aa3b, v73 :: v_dual_lshlrev_b32 v74, 6, v70
	v_dual_fmac_f32 v77, v100, v94 :: v_dual_lshlrev_b32 v70, 2, v69
	s_delay_alu instid0(VALU_DEP_2) | instskip(SKIP_1) | instid1(VALU_DEP_3)
	v_exp_f32_e32 v94, v73
	v_cndmask_b32_e32 v73, v102, v75, vcc_lo
	v_lshl_or_b32 v75, v72, 11, v74
	s_delay_alu instid0(VALU_DEP_3) | instskip(SKIP_1) | instid1(VALU_DEP_3)
	v_cmp_eq_u32_e64 s7, 7, v70
	v_fmac_f32_e32 v77, v98, v95
	v_lshl_or_b32 v69, v69, 4, v75
	s_delay_alu instid0(VALU_DEP_2)
	v_fmac_f32_e32 v77, v99, v96
	s_delay_alu instid0(TRANS32_DEP_1) | instid1(VALU_DEP_1)
	v_fmac_f32_e32 v77, v94, v97
	s_delay_alu instid0(VALU_DEP_1) | instskip(NEXT) | instid1(VALU_DEP_1)
	v_add_f32_e32 v95, 0x358637bd, v77
	v_div_scale_f32 v96, null, v95, v95, 1.0
	v_div_scale_f32 v101, vcc_lo, 1.0, v95, 1.0
	s_delay_alu instid0(VALU_DEP_2) | instskip(SKIP_2) | instid1(VALU_DEP_1)
	v_rcp_f32_e32 v97, v96
	s_waitcnt_depctr 0xfff
	v_fma_f32 v71, -v96, v97, 1.0
	v_fmac_f32_e32 v97, v71, v97
	v_cndmask_b32_e64 v71, v73, v103, s2
	v_cmp_eq_u32_e64 s2, 6, v72
	v_or_b32_e32 v73, 1, v70
	v_or_b32_e32 v72, 3, v70
	v_mul_f32_e32 v102, v101, v97
	v_cndmask_b32_e64 v71, v71, v104, s3
	v_cmp_eq_u32_e64 s3, 1, v70
	v_cmp_eq_u32_e64 s8, 1, v73
	;; [unrolled: 1-line block ×3, first 2 shown]
	v_fma_f32 v103, -v96, v102, v101
	v_cndmask_b32_e64 v100, v71, v100, s4
	v_or_b32_e32 v71, 2, v70
	v_cmp_eq_u32_e64 s4, 2, v70
	v_cmp_eq_u32_e64 s11, 2, v73
	v_fmac_f32_e32 v102, v103, v97
	v_cndmask_b32_e64 v98, v100, v98, s5
	v_cmp_eq_u32_e64 s9, 1, v71
	v_cmp_eq_u32_e64 s13, 2, v71
	;; [unrolled: 1-line block ×3, first 2 shown]
	v_fma_f32 v96, -v96, v102, v101
	v_cndmask_b32_e64 v98, v98, v99, s2
	v_cmp_eq_u32_e64 s12, 3, v73
	v_cmp_eq_u32_e64 s17, 3, v72
	;; [unrolled: 1-line block ×3, first 2 shown]
	v_div_fmas_f32 v96, v96, v97, v102
	v_cndmask_b32_e64 v94, v98, v94, s6
	v_cmp_eq_u32_e32 vcc_lo, 3, v70
	v_cmp_eq_u32_e64 s16, 3, v71
	v_cmp_eq_u32_e64 s18, 4, v73
	v_div_fixup_f32 v95, v96, v95, 1.0
	v_cmp_eq_u32_e64 s21, 4, v72
	v_cmp_eq_u32_e64 s5, 5, v70
	;; [unrolled: 1-line block ×4, first 2 shown]
	v_mul_f32_e32 v102, v94, v95
	v_cmp_eq_u32_e64 s23, 5, v72
	v_cmp_eq_u32_e64 s22, 5, v71
	;; [unrolled: 1-line block ×4, first 2 shown]
	v_fma_mixlo_f16 v94, v102, v79, 0
	v_fma_mixlo_f16 v95, v102, v81, 0
	;; [unrolled: 1-line block ×8, first 2 shown]
	v_fma_mixhi_f16 v94, v102, v78, 0
	v_fma_mixhi_f16 v95, v102, v80, 0
	;; [unrolled: 1-line block ×8, first 2 shown]
	ds_store_b128 v69, v[94:97]
	ds_store_b128 v69, v[98:101] offset:1024
	s_waitcnt lgkmcnt(0)
	s_barrier
	buffer_gl0_inv
	ds_load_b128 v[78:81], v75
	ds_load_b128 v[82:85], v75 offset:16
	ds_load_b128 v[86:89], v75 offset:1024
	;; [unrolled: 1-line block ×3, first 2 shown]
	v_cmp_eq_u32_e64 s6, 6, v70
	v_cmp_eq_u32_e64 s25, 6, v71
	;; [unrolled: 1-line block ×5, first 2 shown]
	s_waitcnt lgkmcnt(3)
	v_lshrrev_b32_e32 v94, 16, v78
	s_waitcnt lgkmcnt(2)
	v_lshrrev_b32_e32 v98, 16, v82
	;; [unrolled: 2-line block ×4, first 2 shown]
	v_lshrrev_b32_e32 v95, 16, v79
	v_cndmask_b32_e64 v110, v78, v94, s3
	v_cndmask_b32_e64 v111, v82, v98, s3
	;; [unrolled: 1-line block ×8, first 2 shown]
	v_lshrrev_b32_e32 v99, 16, v83
	v_cndmask_b32_e64 v94, v86, v102, s3
	v_cndmask_b32_e64 v98, v90, v106, s3
	;; [unrolled: 1-line block ×15, first 2 shown]
	v_lshrrev_b32_e32 v103, 16, v87
	v_lshrrev_b32_e32 v107, 16, v91
	v_cndmask_b32_e64 v113, v115, v83, s13
	v_cndmask_b32_e64 v82, v94, v87, s4
	;; [unrolled: 1-line block ×7, first 2 shown]
	v_cndmask_b32_e32 v90, v102, v95, vcc_lo
	v_cndmask_b32_e32 v102, v106, v99, vcc_lo
	v_cndmask_b32_e64 v106, v110, v95, s12
	v_cndmask_b32_e64 v110, v111, v99, s12
	v_cndmask_b32_e64 v78, v78, v95, s17
	v_cndmask_b32_e64 v79, v79, v99, s17
	v_lshrrev_b32_e32 v96, 16, v80
	v_lshrrev_b32_e32 v100, 16, v84
	v_cndmask_b32_e64 v111, v112, v95, s16
	v_cndmask_b32_e64 v112, v113, v99, s16
	v_cndmask_b32_e32 v82, v82, v103, vcc_lo
	v_cndmask_b32_e32 v83, v83, v107, vcc_lo
	v_cndmask_b32_e64 v94, v94, v103, s12
	v_cndmask_b32_e64 v90, v90, v80, s2
	;; [unrolled: 1-line block ×7, first 2 shown]
	v_lshrrev_b32_e32 v104, 16, v88
	v_cndmask_b32_e64 v106, v111, v80, s20
	v_cndmask_b32_e64 v110, v112, v84, s20
	;; [unrolled: 1-line block ×11, first 2 shown]
	v_lshrrev_b32_e32 v97, 16, v81
	v_lshrrev_b32_e32 v101, 16, v85
	v_cndmask_b32_e64 v99, v106, v96, s22
	v_cndmask_b32_e64 v102, v110, v100, s22
	;; [unrolled: 1-line block ×7, first 2 shown]
	v_lshrrev_b32_e32 v105, 16, v89
	v_cndmask_b32_e64 v80, v80, v104, s5
	v_cndmask_b32_e64 v84, v84, v81, s6
	;; [unrolled: 1-line block ×16, first 2 shown]
	v_perm_b32 v81, v79, v78, 0x5040100
	v_perm_b32 v79, v95, v85, 0x5040100
	v_cndmask_b32_e64 v78, v119, v91, s13
	v_cndmask_b32_e64 v85, v117, v91, s11
	;; [unrolled: 1-line block ×3, first 2 shown]
	v_perm_b32 v80, v94, v90, 0x5040100
	v_cndmask_b32_e64 v90, v98, v103, s16
	v_cndmask_b32_e64 v86, v86, v103, s17
	;; [unrolled: 1-line block ×5, first 2 shown]
	v_lshrrev_b32_e32 v108, 16, v92
	v_cndmask_b32_e64 v90, v90, v88, s20
	v_cndmask_b32_e64 v86, v86, v88, s21
	;; [unrolled: 1-line block ×11, first 2 shown]
	v_lshrrev_b32_e32 v109, 16, v93
	v_cndmask_b32_e64 v82, v82, v93, s6
	v_cndmask_b32_e64 v88, v88, v89, s25
	;; [unrolled: 1-line block ×12, first 2 shown]
	v_perm_b32 v78, v84, v83, 0x5040100
	v_perm_b32 v85, v87, v86, 0x5040100
	;; [unrolled: 1-line block ×5, first 2 shown]
	s_lshl_b32 s7, s34, 1
	s_mov_b32 s2, exec_lo
	ds_store_b128 v69, v[78:81]
	ds_store_b128 v69, v[82:85] offset:1024
	v_cmpx_gt_u32_e32 2, v0
	s_cbranch_execz .LBB847_14
; %bb.13:
	v_or_b32_e32 v78, s33, v0
	s_load_b128 s[8:11], s[0:1], 0x58
	s_delay_alu instid0(VALU_DEP_1) | instskip(NEXT) | instid1(VALU_DEP_1)
	v_mad_u64_u32 v[79:80], null, s7, s30, v[78:79]
	v_mad_u64_u32 v[80:81], null, v79, s35, s[14:15]
	s_delay_alu instid0(VALU_DEP_1) | instskip(NEXT) | instid1(VALU_DEP_1)
	v_ashrrev_i32_e32 v81, 31, v80
	v_lshlrev_b64 v[78:79], 2, v[80:81]
	s_waitcnt lgkmcnt(0)
	s_delay_alu instid0(VALU_DEP_1) | instskip(NEXT) | instid1(VALU_DEP_2)
	v_add_co_u32 v80, vcc_lo, s10, v78
	v_add_co_ci_u32_e32 v81, vcc_lo, s11, v79, vcc_lo
	v_add_co_u32 v78, vcc_lo, s8, v78
	v_add_co_ci_u32_e32 v79, vcc_lo, s9, v79, vcc_lo
	global_store_b32 v[80:81], v76, off
	global_store_b32 v[78:79], v77, off
.LBB847_14:
	s_or_b32 exec_lo, exec_lo, s2
	s_waitcnt lgkmcnt(0)
	s_waitcnt_vscnt null, 0x0
	s_barrier
	buffer_gl0_inv
	ds_load_b128 v[84:87], v74
	ds_load_b128 v[88:91], v74 offset:16
	ds_load_b128 v[96:99], v74 offset:2064
	;; [unrolled: 1-line block ×5, first 2 shown]
	v_cmp_eq_u32_e32 vcc_lo, 1, v70
	v_mov_b32_e32 v76, 0
	ds_load_b128 v[112:115], v74 offset:6160
	ds_load_b128 v[108:111], v74 offset:6144
	ds_load_b128 v[120:123], v74 offset:8208
	ds_load_b128 v[116:119], v74 offset:8192
	v_cmp_eq_u32_e64 s3, 1, v71
	v_cmp_eq_u32_e64 s2, 1, v73
	;; [unrolled: 1-line block ×3, first 2 shown]
	v_mov_b32_e32 v77, v76
	v_mov_b32_e32 v78, v76
	v_mov_b32_e32 v79, v76
	v_mov_b32_e32 v80, v76
	v_mov_b32_e32 v81, v76
	v_mov_b32_e32 v82, v76
	v_mov_b32_e32 v83, v76
	v_cmp_eq_u32_e64 s5, 3, v73
	v_cmp_eq_u32_e64 s6, 7, v73
	s_waitcnt lgkmcnt(8)
	s_delay_alu instid0(VALU_DEP_3)
	v_wmma_f32_16x16x16_f16 v[76:83], v[49:56], v[84:91], v[76:83]
	ds_load_b128 v[53:56], v74 offset:10256
	ds_load_b128 v[49:52], v74 offset:10240
	s_waitcnt lgkmcnt(8)
	v_wmma_f32_16x16x16_f16 v[76:83], v[41:48], v[92:99], v[76:83]
	ds_load_b128 v[45:48], v74 offset:12304
	ds_load_b128 v[41:44], v74 offset:12288
	s_waitcnt lgkmcnt(8)
	;; [unrolled: 4-line block ×3, first 2 shown]
	s_barrier
	buffer_gl0_inv
	v_wmma_f32_16x16x16_f16 v[76:83], v[1:8], v[108:115], v[76:83]
	s_delay_alu instid0(VALU_DEP_1) | instskip(NEXT) | instid1(VALU_DEP_1)
	v_wmma_f32_16x16x16_f16 v[76:83], v[9:16], v[116:123], v[76:83]
	v_wmma_f32_16x16x16_f16 v[76:83], v[17:24], v[49:56], v[76:83]
	s_delay_alu instid0(VALU_DEP_1) | instskip(NEXT) | instid1(VALU_DEP_1)
	v_wmma_f32_16x16x16_f16 v[76:83], v[25:32], v[41:48], v[76:83]
	v_wmma_f32_16x16x16_f16 v[76:83], v[57:64], v[33:40], v[76:83]
	s_delay_alu instid0(VALU_DEP_1) | instskip(NEXT) | instid1(VALU_DEP_2)
	v_cvt_f16_f32_e32 v1, v76
	v_cvt_f16_f32_e32 v2, v77
	s_delay_alu instid0(VALU_DEP_3) | instskip(NEXT) | instid1(VALU_DEP_4)
	v_cvt_f16_f32_e32 v3, v78
	v_cvt_f16_f32_e32 v4, v79
	;; [unrolled: 1-line block ×6, first 2 shown]
	v_pack_b32_f16 v1, v1, v2
	v_pack_b32_f16 v2, v3, v4
	;; [unrolled: 1-line block ×3, first 2 shown]
	s_delay_alu instid0(VALU_DEP_4)
	v_pack_b32_f16 v4, v7, v8
	ds_store_b128 v69, v[1:4]
	s_waitcnt lgkmcnt(0)
	s_barrier
	buffer_gl0_inv
	ds_load_b128 v[1:4], v75
	ds_load_b128 v[5:8], v75 offset:16
	s_waitcnt lgkmcnt(1)
	v_lshrrev_b32_e32 v9, 16, v1
	s_waitcnt lgkmcnt(0)
	v_lshrrev_b32_e32 v13, 16, v5
	v_lshrrev_b32_e32 v10, 16, v2
	;; [unrolled: 1-line block ×4, first 2 shown]
	v_cndmask_b32_e32 v17, v1, v9, vcc_lo
	v_cndmask_b32_e32 v18, v5, v13, vcc_lo
	v_cndmask_b32_e64 v21, v1, v9, s3
	v_cmp_eq_u32_e32 vcc_lo, 1, v72
	v_cndmask_b32_e64 v22, v5, v13, s3
	v_cmp_eq_u32_e64 s3, 2, v70
	v_cndmask_b32_e64 v19, v1, v9, s2
	v_cndmask_b32_e64 v20, v5, v13, s2
	v_cndmask_b32_e32 v1, v1, v9, vcc_lo
	v_cmp_eq_u32_e64 s2, 2, v72
	v_cndmask_b32_e32 v5, v5, v13, vcc_lo
	v_cndmask_b32_e64 v9, v17, v2, s3
	v_cmp_eq_u32_e32 vcc_lo, 3, v70
	v_cndmask_b32_e64 v13, v18, v6, s3
	v_cmp_eq_u32_e64 s3, 2, v71
	v_cndmask_b32_e64 v17, v19, v2, s4
	v_cndmask_b32_e64 v18, v20, v6, s4
	v_cmp_eq_u32_e64 s4, 3, v71
	v_cndmask_b32_e64 v1, v1, v2, s2
	v_cndmask_b32_e64 v19, v21, v2, s3
	;; [unrolled: 1-line block ×4, first 2 shown]
	v_cndmask_b32_e32 v5, v9, v10, vcc_lo
	v_cndmask_b32_e32 v6, v13, v14, vcc_lo
	v_cmp_eq_u32_e32 vcc_lo, 3, v72
	v_cndmask_b32_e64 v9, v17, v10, s5
	v_cndmask_b32_e64 v13, v18, v14, s5
	v_cndmask_b32_e64 v18, v20, v14, s4
	v_cmp_eq_u32_e64 s3, 4, v70
	v_cndmask_b32_e32 v1, v1, v10, vcc_lo
	v_cndmask_b32_e32 v2, v2, v14, vcc_lo
	v_cmp_eq_u32_e32 vcc_lo, 4, v73
	v_lshrrev_b32_e32 v15, 16, v7
	v_lshrrev_b32_e32 v16, 16, v8
	v_cndmask_b32_e64 v17, v19, v10, s4
	v_cmp_eq_u32_e64 s2, 4, v72
	v_cndmask_b32_e64 v5, v5, v3, s3
	v_cndmask_b32_e64 v6, v6, v7, s3
	v_cndmask_b32_e32 v9, v9, v3, vcc_lo
	v_cmp_eq_u32_e64 s3, 5, v73
	v_cndmask_b32_e32 v10, v13, v7, vcc_lo
	v_cmp_eq_u32_e32 vcc_lo, 4, v71
	v_cmp_eq_u32_e64 s4, 5, v70
	v_cndmask_b32_e64 v2, v2, v7, s2
	v_cndmask_b32_e64 v9, v9, v11, s3
	;; [unrolled: 1-line block ×3, first 2 shown]
	v_cndmask_b32_e32 v13, v17, v3, vcc_lo
	v_cmp_eq_u32_e64 s3, 5, v71
	v_cndmask_b32_e32 v14, v18, v7, vcc_lo
	v_cndmask_b32_e64 v1, v1, v3, s2
	v_cmp_eq_u32_e32 vcc_lo, 5, v72
	v_lshrrev_b32_e32 v12, 16, v4
	v_cndmask_b32_e64 v13, v13, v11, s3
	v_cndmask_b32_e64 v3, v14, v15, s3
	v_cmp_eq_u32_e64 s3, 6, v72
	v_cndmask_b32_e32 v1, v1, v11, vcc_lo
	v_cndmask_b32_e64 v5, v5, v11, s4
	v_cmp_eq_u32_e64 s5, 6, v70
	v_cndmask_b32_e64 v6, v6, v15, s4
	v_cmp_eq_u32_e64 s4, 6, v73
	v_cmp_eq_u32_e64 s2, 6, v71
	v_cndmask_b32_e64 v1, v1, v4, s3
	v_cndmask_b32_e32 v2, v2, v15, vcc_lo
	v_cmp_eq_u32_e32 vcc_lo, 7, v72
	v_cndmask_b32_e64 v5, v5, v4, s5
	v_cndmask_b32_e64 v9, v9, v4, s4
	;; [unrolled: 1-line block ×3, first 2 shown]
	v_cmp_eq_u32_e64 s5, 7, v70
	v_cndmask_b32_e32 v1, v1, v12, vcc_lo
	v_cndmask_b32_e64 v7, v13, v4, s2
	v_cndmask_b32_e64 v3, v3, v8, s2
	v_cndmask_b32_e64 v2, v2, v8, s3
	v_cmp_eq_u32_e64 s2, 7, v71
	v_cndmask_b32_e64 v4, v10, v8, s4
	v_cndmask_b32_e64 v5, v5, v12, s5
	;; [unrolled: 1-line block ×3, first 2 shown]
	v_cndmask_b32_e32 v2, v2, v16, vcc_lo
	v_cndmask_b32_e64 v7, v7, v12, s2
	v_cndmask_b32_e64 v3, v3, v16, s2
	;; [unrolled: 1-line block ×4, first 2 shown]
	v_perm_b32 v4, v2, v1, 0x5040100
	s_delay_alu instid0(VALU_DEP_4) | instskip(NEXT) | instid1(VALU_DEP_4)
	v_perm_b32 v3, v3, v7, 0x5040100
	v_perm_b32 v2, v8, v9, 0x5040100
	s_delay_alu instid0(VALU_DEP_4)
	v_perm_b32 v1, v6, v5, 0x5040100
	ds_store_b128 v69, v[1:4]
	s_waitcnt lgkmcnt(0)
	s_barrier
	buffer_gl0_inv
	s_and_saveexec_b32 s2, s31
	s_cbranch_execz .LBB847_2
; %bb.15:
	s_load_b64 s[0:1], s[0:1], 0x68
	v_lshlrev_b32_e32 v0, 10, v0
	s_lshl_b32 s2, s35, 6
	v_lshlrev_b32_e32 v1, 4, v68
	v_mul_lo_u32 v4, s2, v67
	s_mul_i32 s3, s2, s30
	v_and_b32_e32 v0, 0x3800, v0
	s_mul_i32 s2, s3, s7
	s_delay_alu instid0(SALU_CYCLE_1) | instskip(NEXT) | instid1(VALU_DEP_1)
	s_ashr_i32 s3, s2, 31
	v_or3_b32 v0, v0, v66, v1
	s_lshl_b64 s[2:3], s[2:3], 1
	s_delay_alu instid0(VALU_DEP_3)
	v_ashrrev_i32_e32 v5, 31, v4
	ds_load_b128 v[0:3], v0
	v_lshlrev_b64 v[4:5], 1, v[4:5]
	s_waitcnt lgkmcnt(0)
	s_add_u32 s2, s0, s2
	s_addc_u32 s3, s1, s3
	s_lshl_b32 s0, s14, 6
	s_delay_alu instid0(SALU_CYCLE_1) | instskip(NEXT) | instid1(SALU_CYCLE_1)
	s_ashr_i32 s1, s0, 31
	s_lshl_b64 s[0:1], s[0:1], 1
	s_delay_alu instid0(SALU_CYCLE_1) | instskip(SKIP_3) | instid1(VALU_DEP_2)
	s_add_u32 s0, s2, s0
	s_addc_u32 s1, s3, s1
	v_add_co_u32 v4, vcc_lo, s0, v4
	v_add_co_ci_u32_e32 v5, vcc_lo, s1, v5, vcc_lo
	v_add_co_u32 v4, vcc_lo, v4, v65
	s_delay_alu instid0(VALU_DEP_2)
	v_add_co_ci_u32_e32 v5, vcc_lo, 0, v5, vcc_lo
	global_store_b128 v[4:5], v[0:3], off
	s_nop 0
	s_sendmsg sendmsg(MSG_DEALLOC_VGPRS)
	s_endpgm
	.section	.rodata,"a",@progbits
	.p2align	6, 0x0
	.amdhsa_kernel _Z39paged_attention_ll4mi_QKV_mfma16_kernelIDF16_hLN4vllm18Fp8KVCacheDataTypeE1EDF16_Li16ELi64ELi256ELb0ELi2EL8MFMAType1EEvPKT_PKT0_S8_ifPKiSA_SA_iPKfiiiPfSD_PS3_PT2_iSC_SC_
		.amdhsa_group_segment_fixed_size 17472
		.amdhsa_private_segment_fixed_size 0
		.amdhsa_kernarg_size 400
		.amdhsa_user_sgpr_count 13
		.amdhsa_user_sgpr_dispatch_ptr 0
		.amdhsa_user_sgpr_queue_ptr 0
		.amdhsa_user_sgpr_kernarg_segment_ptr 1
		.amdhsa_user_sgpr_dispatch_id 0
		.amdhsa_user_sgpr_private_segment_size 0
		.amdhsa_wavefront_size32 1
		.amdhsa_uses_dynamic_stack 0
		.amdhsa_enable_private_segment 0
		.amdhsa_system_sgpr_workgroup_id_x 1
		.amdhsa_system_sgpr_workgroup_id_y 1
		.amdhsa_system_sgpr_workgroup_id_z 1
		.amdhsa_system_sgpr_workgroup_info 0
		.amdhsa_system_vgpr_workitem_id 0
		.amdhsa_next_free_vgpr 148
		.amdhsa_next_free_sgpr 36
		.amdhsa_reserve_vcc 1
		.amdhsa_float_round_mode_32 0
		.amdhsa_float_round_mode_16_64 0
		.amdhsa_float_denorm_mode_32 3
		.amdhsa_float_denorm_mode_16_64 3
		.amdhsa_dx10_clamp 1
		.amdhsa_ieee_mode 1
		.amdhsa_fp16_overflow 0
		.amdhsa_workgroup_processor_mode 1
		.amdhsa_memory_ordered 1
		.amdhsa_forward_progress 0
		.amdhsa_shared_vgpr_count 0
		.amdhsa_exception_fp_ieee_invalid_op 0
		.amdhsa_exception_fp_denorm_src 0
		.amdhsa_exception_fp_ieee_div_zero 0
		.amdhsa_exception_fp_ieee_overflow 0
		.amdhsa_exception_fp_ieee_underflow 0
		.amdhsa_exception_fp_ieee_inexact 0
		.amdhsa_exception_int_div_zero 0
	.end_amdhsa_kernel
	.section	.text._Z39paged_attention_ll4mi_QKV_mfma16_kernelIDF16_hLN4vllm18Fp8KVCacheDataTypeE1EDF16_Li16ELi64ELi256ELb0ELi2EL8MFMAType1EEvPKT_PKT0_S8_ifPKiSA_SA_iPKfiiiPfSD_PS3_PT2_iSC_SC_,"axG",@progbits,_Z39paged_attention_ll4mi_QKV_mfma16_kernelIDF16_hLN4vllm18Fp8KVCacheDataTypeE1EDF16_Li16ELi64ELi256ELb0ELi2EL8MFMAType1EEvPKT_PKT0_S8_ifPKiSA_SA_iPKfiiiPfSD_PS3_PT2_iSC_SC_,comdat
.Lfunc_end847:
	.size	_Z39paged_attention_ll4mi_QKV_mfma16_kernelIDF16_hLN4vllm18Fp8KVCacheDataTypeE1EDF16_Li16ELi64ELi256ELb0ELi2EL8MFMAType1EEvPKT_PKT0_S8_ifPKiSA_SA_iPKfiiiPfSD_PS3_PT2_iSC_SC_, .Lfunc_end847-_Z39paged_attention_ll4mi_QKV_mfma16_kernelIDF16_hLN4vllm18Fp8KVCacheDataTypeE1EDF16_Li16ELi64ELi256ELb0ELi2EL8MFMAType1EEvPKT_PKT0_S8_ifPKiSA_SA_iPKfiiiPfSD_PS3_PT2_iSC_SC_
                                        ; -- End function
	.section	.AMDGPU.csdata,"",@progbits
; Kernel info:
; codeLenInByte = 6240
; NumSgprs: 38
; NumVgprs: 148
; ScratchSize: 0
; MemoryBound: 0
; FloatMode: 240
; IeeeMode: 1
; LDSByteSize: 17472 bytes/workgroup (compile time only)
; SGPRBlocks: 4
; VGPRBlocks: 18
; NumSGPRsForWavesPerEU: 38
; NumVGPRsForWavesPerEU: 148
; Occupancy: 9
; WaveLimiterHint : 1
; COMPUTE_PGM_RSRC2:SCRATCH_EN: 0
; COMPUTE_PGM_RSRC2:USER_SGPR: 13
; COMPUTE_PGM_RSRC2:TRAP_HANDLER: 0
; COMPUTE_PGM_RSRC2:TGID_X_EN: 1
; COMPUTE_PGM_RSRC2:TGID_Y_EN: 1
; COMPUTE_PGM_RSRC2:TGID_Z_EN: 1
; COMPUTE_PGM_RSRC2:TIDIG_COMP_CNT: 0
	.section	.text._Z39paged_attention_ll4mi_QKV_mfma16_kernelIDF16_hLN4vllm18Fp8KVCacheDataTypeE1EDF16_Li16ELi64ELi256ELb0ELi3EL8MFMAType1EEvPKT_PKT0_S8_ifPKiSA_SA_iPKfiiiPfSD_PS3_PT2_iSC_SC_,"axG",@progbits,_Z39paged_attention_ll4mi_QKV_mfma16_kernelIDF16_hLN4vllm18Fp8KVCacheDataTypeE1EDF16_Li16ELi64ELi256ELb0ELi3EL8MFMAType1EEvPKT_PKT0_S8_ifPKiSA_SA_iPKfiiiPfSD_PS3_PT2_iSC_SC_,comdat
	.protected	_Z39paged_attention_ll4mi_QKV_mfma16_kernelIDF16_hLN4vllm18Fp8KVCacheDataTypeE1EDF16_Li16ELi64ELi256ELb0ELi3EL8MFMAType1EEvPKT_PKT0_S8_ifPKiSA_SA_iPKfiiiPfSD_PS3_PT2_iSC_SC_ ; -- Begin function _Z39paged_attention_ll4mi_QKV_mfma16_kernelIDF16_hLN4vllm18Fp8KVCacheDataTypeE1EDF16_Li16ELi64ELi256ELb0ELi3EL8MFMAType1EEvPKT_PKT0_S8_ifPKiSA_SA_iPKfiiiPfSD_PS3_PT2_iSC_SC_
	.globl	_Z39paged_attention_ll4mi_QKV_mfma16_kernelIDF16_hLN4vllm18Fp8KVCacheDataTypeE1EDF16_Li16ELi64ELi256ELb0ELi3EL8MFMAType1EEvPKT_PKT0_S8_ifPKiSA_SA_iPKfiiiPfSD_PS3_PT2_iSC_SC_
	.p2align	8
	.type	_Z39paged_attention_ll4mi_QKV_mfma16_kernelIDF16_hLN4vllm18Fp8KVCacheDataTypeE1EDF16_Li16ELi64ELi256ELb0ELi3EL8MFMAType1EEvPKT_PKT0_S8_ifPKiSA_SA_iPKfiiiPfSD_PS3_PT2_iSC_SC_,@function
_Z39paged_attention_ll4mi_QKV_mfma16_kernelIDF16_hLN4vllm18Fp8KVCacheDataTypeE1EDF16_Li16ELi64ELi256ELb0ELi3EL8MFMAType1EEvPKT_PKT0_S8_ifPKiSA_SA_iPKfiiiPfSD_PS3_PT2_iSC_SC_: ; @_Z39paged_attention_ll4mi_QKV_mfma16_kernelIDF16_hLN4vllm18Fp8KVCacheDataTypeE1EDF16_Li16ELi64ELi256ELb0ELi3EL8MFMAType1EEvPKT_PKT0_S8_ifPKiSA_SA_iPKfiiiPfSD_PS3_PT2_iSC_SC_
; %bb.0:
	s_load_b64 s[2:3], s[0:1], 0x30
	s_mov_b32 s34, s13
	s_waitcnt lgkmcnt(0)
	s_cmp_lg_u64 s[2:3], 0
	s_cselect_b32 s6, -1, 0
	s_ashr_i32 s35, s13, 31
	s_cmp_eq_u64 s[2:3], 0
	s_cbranch_scc1 .LBB848_3
; %bb.1:
	s_lshl_b64 s[4:5], s[34:35], 2
	s_delay_alu instid0(SALU_CYCLE_1) | instskip(SKIP_4) | instid1(SALU_CYCLE_1)
	s_add_u32 s4, s2, s4
	s_addc_u32 s5, s3, s5
	s_load_b64 s[4:5], s[4:5], 0x0
	s_waitcnt lgkmcnt(0)
	s_sub_i32 s4, s5, s4
	s_cmp_eq_u32 s4, 1
	s_cselect_b32 s4, -1, 0
	s_delay_alu instid0(SALU_CYCLE_1)
	s_and_not1_b32 vcc_lo, exec_lo, s4
	s_cbranch_vccz .LBB848_4
.LBB848_2:
	s_nop 0
	s_sendmsg sendmsg(MSG_DEALLOC_VGPRS)
	s_endpgm
.LBB848_3:
.LBB848_4:
	s_load_b64 s[8:9], s[0:1], 0x28
	s_lshl_b64 s[4:5], s[34:35], 2
	s_waitcnt lgkmcnt(0)
	s_add_u32 s8, s8, s4
	s_addc_u32 s9, s9, s5
	s_lshl_b32 s16, s14, 8
	s_load_b32 s18, s[8:9], 0x0
	s_waitcnt lgkmcnt(0)
	s_cmp_ge_i32 s16, s18
	s_cbranch_scc1 .LBB848_2
; %bb.5:
	s_clause 0x1
	s_load_b128 s[8:11], s[0:1], 0x8
	s_load_b64 s[12:13], s[0:1], 0x20
	s_and_not1_b32 vcc_lo, exec_lo, s6
	s_cbranch_vccnz .LBB848_7
; %bb.6:
	s_add_u32 s2, s2, s4
	s_addc_u32 s3, s3, s5
	s_load_b32 s3, s[2:3], 0x0
	s_branch .LBB848_8
.LBB848_7:
	s_mov_b32 s3, s34
.LBB848_8:
	s_load_b128 s[4:7], s[0:1], 0x48
	v_lshrrev_b32_e32 v69, 5, v0
	v_bfe_u32 v66, v0, 4, 1
	v_and_b32_e32 v68, 15, v0
	v_and_b32_e32 v70, 31, v0
	;; [unrolled: 1-line block ×3, first 2 shown]
	s_mul_i32 s33, s15, 3
	v_lshl_or_b32 v1, v69, 1, v66
	v_lshlrev_b32_e32 v2, 3, v68
	v_cmp_gt_u32_e64 s2, 8, v68
	s_delay_alu instid0(VALU_DEP_3) | instskip(NEXT) | instid1(VALU_DEP_3)
	v_cmp_gt_u32_e32 vcc_lo, 3, v1
	v_lshlrev_b32_e32 v65, 1, v2
	s_delay_alu instid0(VALU_DEP_3)
	s_and_b32 s17, s2, vcc_lo
	s_waitcnt lgkmcnt(0)
	s_and_saveexec_b32 s7, s17
	s_cbranch_execz .LBB848_10
; %bb.9:
	s_load_b64 s[20:21], s[0:1], 0x0
	v_add_lshl_u32 v2, v1, s33, 6
	s_mul_hi_i32 s23, s3, s4
	s_mul_i32 s22, s3, s4
	v_lshlrev_b32_e32 v6, 10, v68
	s_lshl_b64 s[22:23], s[22:23], 1
	v_ashrrev_i32_e32 v3, 31, v2
	v_lshlrev_b32_e32 v1, 6, v1
	v_lshlrev_b32_e32 v7, 10, v67
	v_and_b32_e32 v6, 0x3800, v6
	s_delay_alu instid0(VALU_DEP_4) | instskip(NEXT) | instid1(VALU_DEP_2)
	v_lshlrev_b64 v[2:3], 1, v[2:3]
	v_or3_b32 v1, v6, v7, v1
	s_waitcnt lgkmcnt(0)
	s_add_u32 s3, s20, s22
	s_addc_u32 s4, s21, s23
	s_delay_alu instid0(VALU_DEP_2) | instskip(SKIP_1) | instid1(VALU_DEP_2)
	v_add_co_u32 v2, vcc_lo, s3, v2
	v_add_co_ci_u32_e32 v3, vcc_lo, s4, v3, vcc_lo
	v_add_co_u32 v2, vcc_lo, v2, v65
	s_delay_alu instid0(VALU_DEP_2)
	v_add_co_ci_u32_e32 v3, vcc_lo, 0, v3, vcc_lo
	global_load_b128 v[2:5], v[2:3], off
	s_waitcnt vmcnt(0)
	ds_store_b128 v1, v[2:5]
.LBB848_10:
	s_or_b32 exec_lo, exec_lo, s7
	v_and_b32_e32 v1, 0xef, v0
	s_add_i32 s3, s18, 15
	s_clause 0x1
	s_load_b32 s4, s[0:1], 0x38
	s_load_b32 s35, s[0:1], 0x98
	s_ashr_i32 s7, s3, 31
	v_add_nc_u32_e32 v1, s16, v1
	s_lshr_b32 s7, s7, 28
	s_load_b32 s19, s[0:1], 0x1c
	s_add_i32 s3, s3, s7
	s_waitcnt lgkmcnt(0)
	v_ashrrev_i32_e32 v2, 31, v1
	v_or_b32_e32 v3, 16, v1
	s_ashr_i32 s3, s3, 4
	v_cmp_gt_i32_e32 vcc_lo, s18, v1
	s_add_i32 s3, s3, -1
	v_lshrrev_b32_e32 v2, 28, v2
	s_barrier
	buffer_gl0_inv
	s_mul_i32 s15, s15, s6
	v_mul_lo_u16 v103, 0x56, v68
	v_add_nc_u32_e32 v4, v1, v2
	v_mbcnt_lo_u32_b32 v127, -1, 0
	s_mul_i32 s20, s34, s4
	s_delay_alu instid0(SALU_CYCLE_1) | instskip(NEXT) | instid1(VALU_DEP_2)
	s_ashr_i32 s21, s20, 31
	v_ashrrev_i32_e32 v4, 4, v4
	v_add_nc_u32_e32 v2, v3, v2
	s_lshl_b64 s[20:21], s[20:21], 2
	v_lshrrev_b16 v103, 8, v103
	s_add_u32 s17, s12, s20
	v_cndmask_b32_e32 v1, s3, v4, vcc_lo
	v_ashrrev_i32_e32 v2, 4, v2
	v_cmp_gt_i32_e32 vcc_lo, s18, v3
	s_addc_u32 s13, s13, s21
	s_ashr_i32 s20, s15, 31
	s_add_u32 s4, s8, s15
	s_addc_u32 s12, s9, s20
	v_cndmask_b32_e32 v3, s3, v2, vcc_lo
	v_ashrrev_i32_e32 v2, 31, v1
	s_lshl_b32 s6, s14, 4
	v_mul_lo_u16 v103, v103, 3
	s_ashr_i32 s7, s6, 31
	v_ashrrev_i32_e32 v4, 31, v3
	v_lshlrev_b64 v[1:2], 2, v[1:2]
	s_lshl_b64 s[6:7], s[6:7], 2
	v_sub_nc_u16 v103, v68, v103
	s_add_u32 s6, s17, s6
	v_lshlrev_b64 v[3:4], 2, v[3:4]
	s_addc_u32 s7, s13, s7
	v_add_co_u32 v1, vcc_lo, s17, v1
	v_add_co_ci_u32_e32 v2, vcc_lo, s13, v2, vcc_lo
	s_delay_alu instid0(VALU_DEP_3) | instskip(NEXT) | instid1(VALU_DEP_4)
	v_add_co_u32 v3, vcc_lo, s17, v3
	v_add_co_ci_u32_e32 v4, vcc_lo, s13, v4, vcc_lo
	s_clause 0x1
	global_load_b32 v5, v[1:2], off
	global_load_b32 v7, v[3:4], off
	s_or_b32 s8, s16, 32
	v_lshlrev_b32_e32 v1, 4, v0
	s_ashr_i32 s9, s8, 4
	s_cmp_lt_i32 s8, s18
	v_xor_b32_e32 v128, 16, v127
	s_cselect_b32 s8, s9, s3
	v_and_b32_e32 v1, 0xf0, v1
	s_ashr_i32 s9, s8, 31
	s_delay_alu instid0(SALU_CYCLE_1)
	s_lshl_b64 s[8:9], s[8:9], 2
	v_cmp_gt_i32_e32 vcc_lo, 32, v128
	s_add_u32 s8, s17, s8
	s_addc_u32 s9, s13, s9
	s_or_b32 s21, s16, 64
	v_add_co_u32 v1, s4, s4, v1
	s_ashr_i32 s22, s21, 4
	s_cmp_lt_i32 s21, s18
	v_add_co_ci_u32_e64 v2, null, s12, 0, s4
	s_cselect_b32 s22, s22, s3
	v_dual_cndmask_b32 v136, v127, v128 :: v_dual_and_b32 v103, 0xff, v103
	s_ashr_i32 s23, s22, 31
	s_delay_alu instid0(SALU_CYCLE_1) | instskip(NEXT) | instid1(VALU_DEP_1)
	s_lshl_b64 s[22:23], s[22:23], 2
	v_lshlrev_b32_e32 v115, 6, v103
	s_add_u32 s22, s17, s22
	s_addc_u32 s23, s13, s23
	s_or_b32 s21, s16, 0x60
	s_delay_alu instid0(SALU_CYCLE_1) | instskip(SKIP_2) | instid1(SALU_CYCLE_1)
	s_ashr_i32 s24, s21, 4
	s_cmp_lt_i32 s21, s18
	s_cselect_b32 s24, s24, s3
	s_ashr_i32 s25, s24, 31
	s_delay_alu instid0(SALU_CYCLE_1) | instskip(NEXT) | instid1(SALU_CYCLE_1)
	s_lshl_b64 s[24:25], s[24:25], 2
	s_add_u32 s24, s17, s24
	s_addc_u32 s25, s13, s25
	s_or_b32 s21, s16, 0x80
	s_delay_alu instid0(SALU_CYCLE_1) | instskip(SKIP_2) | instid1(SALU_CYCLE_1)
	s_ashr_i32 s26, s21, 4
	s_cmp_lt_i32 s21, s18
	s_cselect_b32 s26, s26, s3
	s_ashr_i32 s27, s26, 31
	s_delay_alu instid0(SALU_CYCLE_1) | instskip(NEXT) | instid1(SALU_CYCLE_1)
	s_lshl_b64 s[26:27], s[26:27], 2
	;; [unrolled: 10-line block ×3, first 2 shown]
	s_add_u32 s28, s17, s28
	s_addc_u32 s29, s13, s29
	s_clause 0x5
	s_load_b32 s12, s[6:7], 0x0
	s_load_b32 s4, s[8:9], 0x0
	s_load_b32 s6, s[22:23], 0x0
	s_load_b32 s7, s[24:25], 0x0
	s_load_b32 s8, s[26:27], 0x0
	s_load_b32 s9, s[28:29], 0x0
	s_or_b32 s21, s16, 0xc0
	s_delay_alu instid0(SALU_CYCLE_1) | instskip(SKIP_2) | instid1(SALU_CYCLE_1)
	s_ashr_i32 s22, s21, 4
	s_cmp_lt_i32 s21, s18
	s_cselect_b32 s22, s22, s3
	s_ashr_i32 s23, s22, 31
	s_delay_alu instid0(SALU_CYCLE_1) | instskip(NEXT) | instid1(SALU_CYCLE_1)
	s_lshl_b64 s[22:23], s[22:23], 2
	s_add_u32 s22, s17, s22
	s_addc_u32 s23, s13, s23
	s_or_b32 s21, s16, 0xe0
	s_delay_alu instid0(SALU_CYCLE_1) | instskip(SKIP_2) | instid1(SALU_CYCLE_1)
	s_ashr_i32 s24, s21, 4
	s_cmp_lt_i32 s21, s18
	s_cselect_b32 s24, s24, s3
	s_ashr_i32 s25, s24, 31
	s_delay_alu instid0(SALU_CYCLE_1)
	s_lshl_b64 s[24:25], s[24:25], 2
	s_waitcnt vmcnt(1)
	v_mad_i64_i32 v[3:4], null, v5, s5, v[1:2]
	s_waitcnt vmcnt(0)
	v_mad_i64_i32 v[5:6], null, v7, s5, v[1:2]
	v_lshlrev_b32_e32 v1, 4, v68
	s_clause 0x7
	global_load_b128 v[71:74], v[3:4], off
	global_load_b128 v[75:78], v[3:4], off offset:256
	global_load_b128 v[79:82], v[5:6], off
	global_load_b128 v[83:86], v[5:6], off offset:256
	global_load_b128 v[87:90], v[3:4], off offset:512
	;; [unrolled: 1-line block ×5, first 2 shown]
	v_lshl_or_b32 v1, v69, 8, v1
	s_load_b32 s3, s[22:23], 0x0
	s_add_u32 s22, s17, s24
	s_addc_u32 s23, s13, s25
	s_add_u32 s10, s10, s15
	s_addc_u32 s11, s11, s20
	v_add_co_u32 v1, s10, s10, v1
	s_delay_alu instid0(VALU_DEP_1) | instskip(SKIP_2) | instid1(VALU_DEP_1)
	v_add_co_ci_u32_e64 v2, null, s11, 0, s10
	s_load_b32 s10, s[22:23], 0x0
	s_waitcnt lgkmcnt(0)
	v_mad_i64_i32 v[3:4], null, s12, s5, v[1:2]
	v_mad_i64_i32 v[9:10], null, s7, s5, v[1:2]
	;; [unrolled: 1-line block ×7, first 2 shown]
	s_clause 0x5
	global_load_b128 v[49:52], v[3:4], off
	global_load_b128 v[53:56], v[3:4], off offset:16
	global_load_b128 v[41:44], v[5:6], off
	global_load_b128 v[45:48], v[5:6], off offset:16
	;; [unrolled: 2-line block ×3, first 2 shown]
	s_mov_b32 s4, 0
	v_mad_i64_i32 v[61:62], null, s10, s5, v[1:2]
	s_clause 0x9
	global_load_b128 v[1:4], v[9:10], off
	global_load_b128 v[5:8], v[9:10], off offset:16
	global_load_b128 v[9:12], v[13:14], off
	global_load_b128 v[13:16], v[13:14], off offset:16
	;; [unrolled: 2-line block ×5, first 2 shown]
	s_mov_b32 s5, s4
	s_mov_b32 s6, s4
	s_mov_b32 s7, s4
	s_mov_b32 s8, s4
	s_mov_b32 s9, s4
	s_mov_b32 s10, s4
	s_mov_b32 s11, s4
	v_and_b32_e32 v104, 0xe0, v0
	v_dual_mov_b32 v126, s11 :: v_dual_mov_b32 v123, s8
	v_dual_mov_b32 v125, s10 :: v_dual_mov_b32 v124, s9
	s_delay_alu instid0(VALU_DEP_3)
	v_add_nc_u32_e32 v111, s16, v104
	ds_load_b128 v[103:106], v115
	ds_load_b128 v[107:110], v115 offset:1024
	v_dual_mov_b32 v122, s7 :: v_dual_mov_b32 v121, s6
	v_mov_b32_e32 v120, s5
	v_or_b32_e32 v135, v111, v66
	ds_load_b128 v[111:114], v115 offset:2048
	ds_load_b128 v[115:118], v115 offset:3072
	v_mov_b32_e32 v119, s4
	s_waitcnt vmcnt(0) lgkmcnt(0)
	s_barrier
	v_or_b32_e32 v137, 2, v135
	v_or_b32_e32 v138, 4, v135
	;; [unrolled: 1-line block ×3, first 2 shown]
	v_cmp_gt_i32_e32 vcc_lo, s18, v135
	v_or_b32_e32 v140, 8, v135
	v_cmp_gt_i32_e64 s3, s18, v137
	v_or_b32_e32 v141, 10, v135
	v_cmp_gt_i32_e64 s4, s18, v138
	v_cmp_gt_i32_e64 s5, s18, v139
	v_or_b32_e32 v142, 12, v135
	v_or_b32_e32 v143, 14, v135
	v_cmp_gt_i32_e64 s6, s18, v140
	v_cmp_gt_i32_e64 s7, s18, v141
	v_or_b32_e32 v144, 16, v135
	v_or_b32_e32 v145, 18, v135
	v_cmp_gt_i32_e64 s8, s18, v142
	v_cmp_gt_i32_e64 s9, s18, v143
	buffer_gl0_inv
	v_cmp_gt_i32_e64 s10, s18, v144
	v_cmp_gt_i32_e64 s11, s18, v145
	v_wmma_f32_16x16x16_f16 v[127:134], v[71:78], v[103:110], v[119:126]
	v_wmma_f32_16x16x16_f16 v[119:126], v[79:86], v[103:110], v[119:126]
	v_or_b32_e32 v71, 20, v135
	v_or_b32_e32 v72, 22, v135
	s_delay_alu instid0(VALU_DEP_4)
	v_wmma_f32_16x16x16_f16 v[127:134], v[87:94], v[111:118], v[127:134]
	v_or_b32_e32 v73, 24, v135
	v_wmma_f32_16x16x16_f16 v[119:126], v[95:102], v[111:118], v[119:126]
	v_or_b32_e32 v74, 26, v135
	v_cmp_gt_i32_e64 s12, s18, v71
	v_dual_mul_f32 v83, s19, v128 :: v_dual_mul_f32 v84, s19, v127
	s_delay_alu instid0(VALU_DEP_4) | instskip(SKIP_1) | instid1(VALU_DEP_3)
	v_dual_mul_f32 v81, s19, v130 :: v_dual_mul_f32 v92, s19, v119
	v_mul_f32_e32 v82, s19, v129
	v_cndmask_b32_e64 v83, 0xff7fffff, v83, s3
	s_delay_alu instid0(VALU_DEP_4)
	v_cndmask_b32_e32 v84, 0xff7fffff, v84, vcc_lo
	v_dual_mul_f32 v79, s19, v132 :: v_dual_mul_f32 v90, s19, v121
	v_mul_f32_e32 v80, s19, v131
	v_cndmask_b32_e64 v82, 0xff7fffff, v82, s4
	v_cndmask_b32_e64 v81, 0xff7fffff, v81, s5
	v_max3_f32 v83, v84, 0xff7fffff, v83
	v_dual_mul_f32 v77, s19, v134 :: v_dual_mul_f32 v88, s19, v123
	v_mul_f32_e32 v78, s19, v133
	v_cndmask_b32_e64 v80, 0xff7fffff, v80, s6
	v_cndmask_b32_e64 v79, 0xff7fffff, v79, s7
	v_max3_f32 v81, v83, v82, v81
	v_mul_f32_e32 v91, s19, v120
	v_cndmask_b32_e64 v78, 0xff7fffff, v78, s8
	v_cndmask_b32_e64 v77, 0xff7fffff, v77, s9
	v_mul_f32_e32 v89, s19, v122
	v_max3_f32 v79, v81, v80, v79
	v_cndmask_b32_e64 v80, 0xff7fffff, v92, s10
	v_cndmask_b32_e64 v81, 0xff7fffff, v91, s11
	v_cmp_gt_i32_e64 s13, s18, v72
	v_or_b32_e32 v75, 28, v135
	v_max3_f32 v77, v79, v78, v77
	v_or_b32_e32 v76, 30, v135
	v_mul_f32_e32 v87, s19, v124
	v_cndmask_b32_e64 v71, 0xff7fffff, v90, s12
	v_cndmask_b32_e64 v72, 0xff7fffff, v89, s13
	v_max3_f32 v77, v77, v80, v81
	v_cmp_gt_i32_e64 s15, s18, v73
	v_cmp_gt_i32_e64 s16, s18, v74
	v_dual_mul_f32 v85, s19, v126 :: v_dual_mul_f32 v86, s19, v125
	s_delay_alu instid0(VALU_DEP_4) | instskip(NEXT) | instid1(VALU_DEP_4)
	v_max3_f32 v71, v77, v71, v72
	v_cndmask_b32_e64 v73, 0xff7fffff, v88, s15
	s_delay_alu instid0(VALU_DEP_4) | instskip(SKIP_2) | instid1(VALU_DEP_3)
	v_cndmask_b32_e64 v74, 0xff7fffff, v87, s16
	v_cmp_gt_i32_e64 s17, s18, v75
	v_cmp_gt_i32_e64 s18, s18, v76
	v_max3_f32 v71, v71, v73, v74
	s_delay_alu instid0(VALU_DEP_3) | instskip(NEXT) | instid1(VALU_DEP_3)
	v_cndmask_b32_e64 v72, 0xff7fffff, v86, s17
	v_cndmask_b32_e64 v75, 0xff7fffff, v85, s18
	v_lshlrev_b32_e32 v73, 2, v136
	s_delay_alu instid0(VALU_DEP_2) | instskip(SKIP_3) | instid1(VALU_DEP_1)
	v_max3_f32 v71, v71, v72, v75
	ds_bpermute_b32 v72, v73, v71
	s_waitcnt lgkmcnt(0)
	v_max_f32_e32 v72, v72, v72
	v_max_f32_e32 v71, v71, v72
	s_delay_alu instid0(VALU_DEP_1)
	v_fma_f32 v72, s19, v127, -v71
	v_fma_f32 v74, s19, v128, -v71
	;; [unrolled: 1-line block ×5, first 2 shown]
	v_mul_f32_e32 v72, 0x3fb8aa3b, v72
	v_mul_f32_e32 v74, 0x3fb8aa3b, v74
	v_fma_f32 v80, s19, v133, -v71
	s_delay_alu instid0(VALU_DEP_4) | instskip(NEXT) | instid1(VALU_DEP_4)
	v_dual_mul_f32 v76, 0x3fb8aa3b, v76 :: v_dual_mul_f32 v77, 0x3fb8aa3b, v77
	v_exp_f32_e32 v72, v72
	s_delay_alu instid0(VALU_DEP_3) | instskip(NEXT) | instid1(VALU_DEP_2)
	v_exp_f32_e32 v74, v74
	v_mul_f32_e32 v82, 0x3fb8aa3b, v80
	s_delay_alu instid0(VALU_DEP_2) | instskip(SKIP_1) | instid1(VALU_DEP_1)
	v_exp_f32_e32 v76, v76
	v_exp_f32_e32 v77, v77
	;; [unrolled: 1-line block ×3, first 2 shown]
	v_cndmask_b32_e32 v79, 0, v72, vcc_lo
	v_fma_f32 v72, s19, v132, -v71
	v_mul_f32_e32 v75, 0x3fb8aa3b, v75
	v_cndmask_b32_e64 v78, 0, v74, s3
	s_delay_alu instid0(TRANS32_DEP_3)
	v_cndmask_b32_e64 v80, 0, v76, s5
	v_add_f32_e32 v74, 0, v79
	v_mul_f32_e32 v72, 0x3fb8aa3b, v72
	v_exp_f32_e32 v75, v75
	v_cndmask_b32_e64 v83, 0, v77, s6
	v_cndmask_b32_e64 v85, 0, v84, s8
	v_add_f32_e32 v74, v74, v78
	v_exp_f32_e32 v72, v72
	v_cmp_gt_u32_e64 s3, 16, v70
	s_waitcnt_depctr 0xfff
	v_cndmask_b32_e64 v81, 0, v75, s4
	v_cndmask_b32_e64 v82, 0, v72, s7
	s_delay_alu instid0(VALU_DEP_2) | instskip(NEXT) | instid1(VALU_DEP_1)
	v_add_f32_e32 v74, v74, v81
	v_add_f32_e32 v74, v74, v80
	s_delay_alu instid0(VALU_DEP_1) | instskip(SKIP_4) | instid1(VALU_DEP_4)
	v_add_f32_e32 v72, v74, v83
	v_fma_f32 v75, s19, v134, -v71
	v_fma_f32 v76, s19, v119, -v71
	;; [unrolled: 1-line block ×4, first 2 shown]
	v_dual_add_f32 v72, v72, v82 :: v_dual_mul_f32 v75, 0x3fb8aa3b, v75
	s_delay_alu instid0(VALU_DEP_3) | instskip(SKIP_1) | instid1(VALU_DEP_3)
	v_dual_mul_f32 v76, 0x3fb8aa3b, v76 :: v_dual_mul_f32 v77, 0x3fb8aa3b, v77
	v_fma_f32 v86, s19, v122, -v71
	v_add_f32_e32 v72, v72, v85
	s_delay_alu instid0(VALU_DEP_4) | instskip(NEXT) | instid1(VALU_DEP_3)
	v_exp_f32_e32 v75, v75
	v_exp_f32_e32 v76, v76
	;; [unrolled: 1-line block ×3, first 2 shown]
	v_mul_f32_e32 v86, 0x3fb8aa3b, v86
	s_delay_alu instid0(VALU_DEP_1) | instskip(SKIP_3) | instid1(TRANS32_DEP_3)
	v_exp_f32_e32 v88, v86
	v_cndmask_b32_e64 v84, 0, v75, s9
	v_fma_f32 v75, s19, v123, -v71
	v_mul_f32_e32 v74, 0x3fb8aa3b, v74
	v_cndmask_b32_e64 v87, 0, v76, s10
	v_fma_f32 v76, s19, v124, -v71
	s_delay_alu instid0(VALU_DEP_4) | instskip(NEXT) | instid1(VALU_DEP_4)
	v_dual_add_f32 v72, v72, v84 :: v_dual_mul_f32 v75, 0x3fb8aa3b, v75
	v_exp_f32_e32 v74, v74
	v_cndmask_b32_e64 v86, 0, v77, s11
	v_fma_f32 v77, s19, v125, -v71
	s_delay_alu instid0(VALU_DEP_3) | instskip(SKIP_3) | instid1(VALU_DEP_3)
	v_add_f32_e32 v72, v72, v87
	v_mul_f32_e32 v76, 0x3fb8aa3b, v76
	v_exp_f32_e32 v75, v75
	v_cndmask_b32_e64 v88, 0, v88, s13
	v_add_f32_e32 v72, v72, v86
	s_delay_alu instid0(VALU_DEP_3) | instskip(NEXT) | instid1(TRANS32_DEP_3)
	v_exp_f32_e32 v76, v76
	v_cndmask_b32_e64 v89, 0, v74, s12
	v_mul_f32_e32 v74, 0x3fb8aa3b, v77
	v_fma_f32 v77, s19, v126, -v71
	s_delay_alu instid0(VALU_DEP_3) | instskip(NEXT) | instid1(VALU_DEP_3)
	v_add_f32_e32 v72, v72, v89
	v_exp_f32_e32 v74, v74
	s_delay_alu instid0(TRANS32_DEP_3) | instskip(NEXT) | instid1(VALU_DEP_3)
	v_cndmask_b32_e64 v91, 0, v75, s15
	v_mul_f32_e32 v75, 0x3fb8aa3b, v77
	s_delay_alu instid0(TRANS32_DEP_2) | instskip(SKIP_1) | instid1(VALU_DEP_3)
	v_cndmask_b32_e64 v90, 0, v76, s16
	v_add_f32_e32 v72, v72, v88
	v_exp_f32_e32 v75, v75
	s_delay_alu instid0(VALU_DEP_1) | instskip(NEXT) | instid1(TRANS32_DEP_2)
	v_add_f32_e32 v72, v72, v91
	v_cndmask_b32_e64 v93, 0, v74, s17
	s_delay_alu instid0(VALU_DEP_2) | instskip(SKIP_3) | instid1(VALU_DEP_1)
	v_add_f32_e32 v72, v72, v90
	s_waitcnt_depctr 0xfff
	v_cndmask_b32_e64 v92, 0, v75, s18
	v_add_f32_e32 v72, v72, v93
	v_add_f32_e32 v72, v72, v92
	ds_bpermute_b32 v73, v73, v72
	s_and_saveexec_b32 s4, s3
	s_cbranch_execz .LBB848_12
; %bb.11:
	v_mul_u32_u24_e32 v70, 0x44, v69
	s_waitcnt lgkmcnt(0)
	v_add_f32_e32 v72, v72, v73
	s_delay_alu instid0(VALU_DEP_2) | instskip(NEXT) | instid1(VALU_DEP_1)
	v_lshl_add_u32 v70, v68, 2, v70
	v_add_nc_u32_e32 v70, 0x4000, v70
	ds_store_2addr_b32 v70, v71, v72 offset1:136
.LBB848_12:
	s_or_b32 exec_lo, exec_lo, s4
	v_lshlrev_b32_e32 v70, 2, v68
	s_load_b32 s36, s[0:1], 0x94
	s_waitcnt lgkmcnt(0)
	s_barrier
	buffer_gl0_inv
	v_add_nc_u32_e32 v98, 0x4000, v70
	v_cmp_eq_u32_e32 vcc_lo, 1, v69
	v_cmp_eq_u32_e64 s4, 2, v69
	v_cmp_eq_u32_e64 s5, 3, v69
	;; [unrolled: 1-line block ×3, first 2 shown]
	ds_load_2addr_b32 v[70:71], v98 offset1:17
	ds_load_2addr_b32 v[72:73], v98 offset0:34 offset1:51
	ds_load_2addr_b32 v[74:75], v98 offset0:68 offset1:85
	;; [unrolled: 1-line block ×3, first 2 shown]
	v_cmp_eq_u32_e64 s7, 5, v69
	v_cmp_eq_u32_e64 s8, 7, v69
	s_waitcnt lgkmcnt(3)
	v_max3_f32 v76, v70, 0xff7fffff, v71
	s_waitcnt lgkmcnt(2)
	s_delay_alu instid0(VALU_DEP_1) | instskip(SKIP_1) | instid1(VALU_DEP_1)
	v_max3_f32 v76, v76, v72, v73
	s_waitcnt lgkmcnt(1)
	v_max3_f32 v76, v76, v74, v75
	s_waitcnt lgkmcnt(0)
	s_delay_alu instid0(VALU_DEP_1) | instskip(NEXT) | instid1(VALU_DEP_1)
	v_max3_f32 v76, v76, v94, v95
	v_sub_f32_e32 v77, v71, v76
	ds_load_2addr_b32 v[96:97], v98 offset0:136 offset1:153
	v_sub_f32_e32 v74, v74, v76
	v_sub_f32_e32 v70, v70, v76
	;; [unrolled: 1-line block ×3, first 2 shown]
	v_dual_sub_f32 v72, v72, v76 :: v_dual_mul_f32 v77, 0x3fb8aa3b, v77
	s_delay_alu instid0(VALU_DEP_4) | instskip(NEXT) | instid1(VALU_DEP_4)
	v_mul_f32_e32 v103, 0x3fb8aa3b, v74
	v_mul_f32_e32 v99, 0x3fb8aa3b, v70
	ds_load_2addr_b32 v[70:71], v98 offset0:170 offset1:187
	v_dual_mul_f32 v101, 0x3fb8aa3b, v72 :: v_dual_mul_f32 v94, 0x3fb8aa3b, v94
	v_exp_f32_e32 v102, v77
	v_exp_f32_e32 v99, v99
	s_delay_alu instid0(VALU_DEP_1) | instskip(NEXT) | instid1(VALU_DEP_1)
	v_exp_f32_e32 v101, v101
	v_exp_f32_e32 v94, v94
	s_waitcnt lgkmcnt(1)
	s_delay_alu instid0(TRANS32_DEP_3)
	v_fma_f32 v77, v99, v96, 0
	v_sub_f32_e32 v100, v73, v76
	ds_load_2addr_b32 v[72:73], v98 offset0:204 offset1:221
	v_fmac_f32_e32 v77, v102, v97
	v_exp_f32_e32 v97, v103
	s_waitcnt lgkmcnt(1)
	s_delay_alu instid0(VALU_DEP_1)
	v_dual_fmac_f32 v77, v101, v70 :: v_dual_sub_f32 v96, v75, v76
	ds_load_2addr_b32 v[74:75], v98 offset0:238 offset1:255
	v_sub_f32_e32 v70, v95, v76
	s_waitcnt lgkmcnt(0)
	s_barrier
	v_mul_f32_e32 v96, 0x3fb8aa3b, v96
	buffer_gl0_inv
	v_exp_f32_e32 v95, v96
	v_mul_f32_e32 v100, 0x3fb8aa3b, v100
	s_delay_alu instid0(VALU_DEP_1) | instskip(SKIP_3) | instid1(VALU_DEP_2)
	v_exp_f32_e32 v100, v100
	s_waitcnt_depctr 0xfff
	v_dual_fmac_f32 v77, v100, v71 :: v_dual_mul_f32 v70, 0x3fb8aa3b, v70
	v_cndmask_b32_e32 v71, v99, v102, vcc_lo
	v_fmac_f32_e32 v77, v97, v72
	s_delay_alu instid0(VALU_DEP_3) | instskip(NEXT) | instid1(VALU_DEP_1)
	v_exp_f32_e32 v96, v70
	v_fmac_f32_e32 v77, v95, v73
	s_delay_alu instid0(VALU_DEP_1) | instskip(SKIP_2) | instid1(VALU_DEP_1)
	v_fmac_f32_e32 v77, v94, v74
	s_waitcnt_depctr 0xfff
	v_fmac_f32_e32 v77, v96, v75
	v_add_f32_e32 v74, 0x358637bd, v77
	s_delay_alu instid0(VALU_DEP_1) | instskip(SKIP_1) | instid1(VALU_DEP_2)
	v_div_scale_f32 v98, null, v74, v74, 1.0
	v_div_scale_f32 v99, vcc_lo, 1.0, v74, 1.0
	v_rcp_f32_e32 v103, v98
	s_waitcnt_depctr 0xfff
	v_fma_f32 v70, -v98, v103, 1.0
	s_delay_alu instid0(VALU_DEP_1) | instskip(SKIP_2) | instid1(VALU_DEP_2)
	v_fmac_f32_e32 v103, v70, v103
	v_cndmask_b32_e64 v70, v71, v101, s4
	v_cmp_eq_u32_e64 s4, 6, v69
	v_cndmask_b32_e64 v71, v70, v100, s5
	s_delay_alu instid0(VALU_DEP_4) | instskip(NEXT) | instid1(VALU_DEP_2)
	v_dual_mul_f32 v101, v99, v103 :: v_dual_lshlrev_b32 v70, 2, v66
	v_cndmask_b32_e64 v71, v71, v97, s6
	s_delay_alu instid0(VALU_DEP_2) | instskip(NEXT) | instid1(VALU_DEP_3)
	v_or_b32_e32 v72, 1, v70
	v_fma_f32 v100, -v98, v101, v99
	v_cmp_eq_u32_e64 s5, 1, v70
	v_cmp_eq_u32_e64 s6, 2, v70
	v_cndmask_b32_e64 v95, v71, v95, s7
	v_or_b32_e32 v71, 3, v70
	v_fmac_f32_e32 v101, v100, v103
	v_cmp_eq_u32_e64 s10, 1, v72
	v_cmp_eq_u32_e64 s13, 2, v72
	v_cndmask_b32_e64 v94, v95, v94, s4
	v_cmp_eq_u32_e64 s12, 1, v71
	v_fma_f32 v97, -v98, v101, v99
	v_cmp_eq_u32_e64 s17, 2, v71
	v_cmp_eq_u32_e64 s15, 3, v72
	v_cndmask_b32_e64 v94, v94, v96, s8
	v_cmp_eq_u32_e64 s19, 3, v71
	v_div_fmas_f32 v95, v97, v103, v101
	v_cmp_eq_u32_e32 vcc_lo, 3, v70
	v_cmp_eq_u32_e64 s4, 4, v70
	v_cmp_eq_u32_e64 s20, 4, v72
	;; [unrolled: 1-line block ×3, first 2 shown]
	v_div_fixup_f32 v95, v95, v74, 1.0
	v_lshlrev_b32_e32 v73, 6, v68
	v_cmp_eq_u32_e64 s7, 5, v70
	v_cmp_eq_u32_e64 s21, 5, v72
	;; [unrolled: 1-line block ×3, first 2 shown]
	v_mul_f32_e32 v102, v94, v95
	v_lshl_or_b32 v75, v69, 11, v73
	v_or_b32_e32 v69, 2, v70
	v_cmp_eq_u32_e64 s26, 6, v72
	v_cmp_eq_u32_e64 s28, 6, v71
	v_fma_mixlo_f16 v94, v102, v79, 0
	v_fma_mixlo_f16 v95, v102, v81, 0
	;; [unrolled: 1-line block ×8, first 2 shown]
	v_lshl_or_b32 v74, v66, 4, v75
	v_fma_mixhi_f16 v94, v102, v78, 0
	v_fma_mixhi_f16 v95, v102, v80, 0
	;; [unrolled: 1-line block ×8, first 2 shown]
	ds_store_b128 v74, v[94:97]
	ds_store_b128 v74, v[98:101] offset:1024
	s_waitcnt lgkmcnt(0)
	s_barrier
	buffer_gl0_inv
	ds_load_b128 v[78:81], v75
	ds_load_b128 v[82:85], v75 offset:16
	ds_load_b128 v[86:89], v75 offset:1024
	;; [unrolled: 1-line block ×3, first 2 shown]
	v_cmp_eq_u32_e64 s11, 1, v69
	v_cmp_eq_u32_e64 s16, 2, v69
	v_cmp_eq_u32_e64 s18, 3, v69
	v_cmp_eq_u32_e64 s22, 4, v69
	v_cmp_eq_u32_e64 s24, 5, v69
	v_cmp_eq_u32_e64 s8, 6, v70
	v_cmp_eq_u32_e64 s27, 6, v69
	v_cmp_eq_u32_e64 s30, 7, v71
	v_cmp_eq_u32_e64 s31, 7, v72
	v_cmp_eq_u32_e64 s9, 7, v70
	v_cmp_eq_u32_e64 s29, 7, v69
	s_waitcnt lgkmcnt(3)
	v_lshrrev_b32_e32 v94, 16, v78
	s_waitcnt lgkmcnt(2)
	v_lshrrev_b32_e32 v98, 16, v82
	;; [unrolled: 2-line block ×4, first 2 shown]
	v_lshrrev_b32_e32 v95, 16, v79
	v_cndmask_b32_e64 v110, v78, v94, s5
	v_cndmask_b32_e64 v111, v82, v98, s5
	;; [unrolled: 1-line block ×8, first 2 shown]
	v_lshrrev_b32_e32 v99, 16, v83
	v_cndmask_b32_e64 v94, v86, v102, s5
	v_cndmask_b32_e64 v98, v90, v106, s5
	;; [unrolled: 1-line block ×15, first 2 shown]
	v_lshrrev_b32_e32 v103, 16, v87
	v_lshrrev_b32_e32 v107, 16, v91
	v_cndmask_b32_e64 v113, v115, v83, s16
	v_cndmask_b32_e64 v82, v94, v87, s6
	;; [unrolled: 1-line block ×7, first 2 shown]
	v_cndmask_b32_e32 v90, v102, v95, vcc_lo
	v_cndmask_b32_e32 v102, v106, v99, vcc_lo
	v_cndmask_b32_e64 v106, v110, v95, s15
	v_cndmask_b32_e64 v110, v111, v99, s15
	;; [unrolled: 1-line block ×4, first 2 shown]
	v_lshrrev_b32_e32 v96, 16, v80
	v_lshrrev_b32_e32 v100, 16, v84
	v_cndmask_b32_e64 v111, v112, v95, s18
	v_cndmask_b32_e64 v112, v113, v99, s18
	v_cndmask_b32_e32 v82, v82, v103, vcc_lo
	v_cndmask_b32_e32 v83, v83, v107, vcc_lo
	v_cndmask_b32_e64 v94, v94, v103, s15
	v_cndmask_b32_e64 v90, v90, v80, s4
	;; [unrolled: 1-line block ×7, first 2 shown]
	v_lshrrev_b32_e32 v104, 16, v88
	v_cndmask_b32_e64 v106, v111, v80, s22
	v_cndmask_b32_e64 v110, v112, v84, s22
	;; [unrolled: 1-line block ×11, first 2 shown]
	v_lshrrev_b32_e32 v97, 16, v81
	v_lshrrev_b32_e32 v101, 16, v85
	v_cndmask_b32_e64 v99, v106, v96, s24
	v_cndmask_b32_e64 v102, v110, v100, s24
	;; [unrolled: 1-line block ×7, first 2 shown]
	v_lshrrev_b32_e32 v105, 16, v89
	v_cndmask_b32_e64 v80, v80, v104, s7
	v_cndmask_b32_e64 v84, v84, v81, s8
	;; [unrolled: 1-line block ×16, first 2 shown]
	v_perm_b32 v81, v79, v78, 0x5040100
	v_perm_b32 v79, v95, v85, 0x5040100
	v_cndmask_b32_e64 v78, v119, v91, s16
	v_cndmask_b32_e64 v85, v117, v91, s13
	;; [unrolled: 1-line block ×3, first 2 shown]
	v_perm_b32 v80, v94, v90, 0x5040100
	v_cndmask_b32_e64 v90, v98, v103, s18
	v_cndmask_b32_e64 v86, v86, v103, s19
	;; [unrolled: 1-line block ×5, first 2 shown]
	v_lshrrev_b32_e32 v108, 16, v92
	v_cndmask_b32_e64 v90, v90, v88, s22
	v_cndmask_b32_e64 v86, v86, v88, s23
	;; [unrolled: 1-line block ×11, first 2 shown]
	v_lshrrev_b32_e32 v109, 16, v93
	v_cndmask_b32_e64 v82, v82, v93, s8
	v_cndmask_b32_e64 v88, v88, v89, s27
	;; [unrolled: 1-line block ×12, first 2 shown]
	v_perm_b32 v78, v84, v83, 0x5040100
	v_perm_b32 v85, v87, v86, 0x5040100
	;; [unrolled: 1-line block ×5, first 2 shown]
	s_mul_i32 s9, s35, 3
	s_mov_b32 s4, exec_lo
	ds_store_b128 v74, v[78:81]
	ds_store_b128 v74, v[82:85] offset:1024
	v_cmpx_gt_u32_e32 3, v0
	s_cbranch_execz .LBB848_14
; %bb.13:
	s_mul_i32 s5, s9, s34
	s_load_b128 s[16:19], s[0:1], 0x58
	v_add3_u32 v68, s5, s33, v68
	s_delay_alu instid0(VALU_DEP_1) | instskip(NEXT) | instid1(VALU_DEP_1)
	v_mad_u64_u32 v[78:79], null, v68, s36, s[14:15]
	v_ashrrev_i32_e32 v79, 31, v78
	s_delay_alu instid0(VALU_DEP_1) | instskip(SKIP_1) | instid1(VALU_DEP_1)
	v_lshlrev_b64 v[78:79], 2, v[78:79]
	s_waitcnt lgkmcnt(0)
	v_add_co_u32 v80, vcc_lo, s18, v78
	s_delay_alu instid0(VALU_DEP_2)
	v_add_co_ci_u32_e32 v81, vcc_lo, s19, v79, vcc_lo
	v_add_co_u32 v78, vcc_lo, s16, v78
	v_add_co_ci_u32_e32 v79, vcc_lo, s17, v79, vcc_lo
	global_store_b32 v[80:81], v76, off
	global_store_b32 v[78:79], v77, off
.LBB848_14:
	s_or_b32 exec_lo, exec_lo, s4
	s_waitcnt lgkmcnt(0)
	s_waitcnt_vscnt null, 0x0
	s_barrier
	buffer_gl0_inv
	ds_load_b128 v[84:87], v73
	ds_load_b128 v[88:91], v73 offset:16
	ds_load_b128 v[96:99], v73 offset:2064
	;; [unrolled: 1-line block ×5, first 2 shown]
	v_cmp_eq_u32_e32 vcc_lo, 1, v70
	v_mov_b32_e32 v76, 0
	ds_load_b128 v[112:115], v73 offset:6160
	ds_load_b128 v[108:111], v73 offset:6144
	;; [unrolled: 1-line block ×4, first 2 shown]
	v_cmp_eq_u32_e64 s5, 1, v69
	v_cmp_eq_u32_e64 s4, 1, v72
	;; [unrolled: 1-line block ×3, first 2 shown]
	v_mov_b32_e32 v77, v76
	v_mov_b32_e32 v78, v76
	;; [unrolled: 1-line block ×7, first 2 shown]
	v_cmp_eq_u32_e64 s7, 3, v72
	v_cmp_eq_u32_e64 s8, 7, v72
	s_waitcnt lgkmcnt(8)
	s_delay_alu instid0(VALU_DEP_3)
	v_wmma_f32_16x16x16_f16 v[76:83], v[49:56], v[84:91], v[76:83]
	ds_load_b128 v[53:56], v73 offset:10256
	ds_load_b128 v[49:52], v73 offset:10240
	s_waitcnt lgkmcnt(8)
	v_wmma_f32_16x16x16_f16 v[76:83], v[41:48], v[92:99], v[76:83]
	ds_load_b128 v[45:48], v73 offset:12304
	ds_load_b128 v[41:44], v73 offset:12288
	s_waitcnt lgkmcnt(8)
	v_wmma_f32_16x16x16_f16 v[76:83], v[33:40], v[100:107], v[76:83]
	ds_load_b128 v[37:40], v73 offset:14352
	ds_load_b128 v[33:36], v73 offset:14336
	s_waitcnt lgkmcnt(0)
	s_barrier
	buffer_gl0_inv
	v_wmma_f32_16x16x16_f16 v[76:83], v[1:8], v[108:115], v[76:83]
	s_delay_alu instid0(VALU_DEP_1) | instskip(NEXT) | instid1(VALU_DEP_1)
	v_wmma_f32_16x16x16_f16 v[76:83], v[9:16], v[116:123], v[76:83]
	v_wmma_f32_16x16x16_f16 v[76:83], v[17:24], v[49:56], v[76:83]
	s_delay_alu instid0(VALU_DEP_1) | instskip(NEXT) | instid1(VALU_DEP_1)
	v_wmma_f32_16x16x16_f16 v[76:83], v[25:32], v[41:48], v[76:83]
	v_wmma_f32_16x16x16_f16 v[76:83], v[57:64], v[33:40], v[76:83]
	s_delay_alu instid0(VALU_DEP_1) | instskip(NEXT) | instid1(VALU_DEP_2)
	v_cvt_f16_f32_e32 v1, v76
	v_cvt_f16_f32_e32 v2, v77
	s_delay_alu instid0(VALU_DEP_3) | instskip(NEXT) | instid1(VALU_DEP_4)
	v_cvt_f16_f32_e32 v3, v78
	v_cvt_f16_f32_e32 v4, v79
	;; [unrolled: 1-line block ×6, first 2 shown]
	v_pack_b32_f16 v1, v1, v2
	v_pack_b32_f16 v2, v3, v4
	;; [unrolled: 1-line block ×3, first 2 shown]
	s_delay_alu instid0(VALU_DEP_4)
	v_pack_b32_f16 v4, v7, v8
	ds_store_b128 v74, v[1:4]
	s_waitcnt lgkmcnt(0)
	s_barrier
	buffer_gl0_inv
	ds_load_b128 v[1:4], v75
	ds_load_b128 v[5:8], v75 offset:16
	s_waitcnt lgkmcnt(1)
	v_lshrrev_b32_e32 v9, 16, v1
	s_waitcnt lgkmcnt(0)
	v_lshrrev_b32_e32 v13, 16, v5
	v_lshrrev_b32_e32 v10, 16, v2
	;; [unrolled: 1-line block ×4, first 2 shown]
	v_cndmask_b32_e32 v17, v1, v9, vcc_lo
	v_cndmask_b32_e32 v18, v5, v13, vcc_lo
	v_cndmask_b32_e64 v21, v1, v9, s5
	v_cmp_eq_u32_e32 vcc_lo, 1, v71
	v_cndmask_b32_e64 v22, v5, v13, s5
	v_cmp_eq_u32_e64 s5, 2, v70
	v_cndmask_b32_e64 v19, v1, v9, s4
	v_cndmask_b32_e64 v20, v5, v13, s4
	v_cndmask_b32_e32 v1, v1, v9, vcc_lo
	v_cmp_eq_u32_e64 s4, 2, v71
	v_cndmask_b32_e32 v5, v5, v13, vcc_lo
	v_cndmask_b32_e64 v9, v17, v2, s5
	v_cmp_eq_u32_e32 vcc_lo, 3, v70
	v_cndmask_b32_e64 v13, v18, v6, s5
	v_cmp_eq_u32_e64 s5, 2, v69
	v_cndmask_b32_e64 v17, v19, v2, s6
	v_cndmask_b32_e64 v18, v20, v6, s6
	v_cmp_eq_u32_e64 s6, 3, v69
	v_cndmask_b32_e64 v1, v1, v2, s4
	v_cndmask_b32_e64 v19, v21, v2, s5
	;; [unrolled: 1-line block ×4, first 2 shown]
	v_cndmask_b32_e32 v5, v9, v10, vcc_lo
	v_cndmask_b32_e32 v6, v13, v14, vcc_lo
	v_cmp_eq_u32_e32 vcc_lo, 3, v71
	v_cndmask_b32_e64 v9, v17, v10, s7
	v_cndmask_b32_e64 v13, v18, v14, s7
	;; [unrolled: 1-line block ×3, first 2 shown]
	v_cmp_eq_u32_e64 s5, 4, v70
	v_cndmask_b32_e32 v1, v1, v10, vcc_lo
	v_cndmask_b32_e32 v2, v2, v14, vcc_lo
	v_cmp_eq_u32_e32 vcc_lo, 4, v72
	v_lshrrev_b32_e32 v15, 16, v7
	v_lshrrev_b32_e32 v16, 16, v8
	v_cndmask_b32_e64 v17, v19, v10, s6
	v_cmp_eq_u32_e64 s4, 4, v71
	v_cndmask_b32_e64 v5, v5, v3, s5
	v_cndmask_b32_e64 v6, v6, v7, s5
	v_cndmask_b32_e32 v9, v9, v3, vcc_lo
	v_cmp_eq_u32_e64 s5, 5, v72
	v_cndmask_b32_e32 v10, v13, v7, vcc_lo
	v_cmp_eq_u32_e32 vcc_lo, 4, v69
	v_cmp_eq_u32_e64 s6, 5, v70
	v_cndmask_b32_e64 v2, v2, v7, s4
	v_cndmask_b32_e64 v9, v9, v11, s5
	v_cndmask_b32_e64 v10, v10, v15, s5
	v_cndmask_b32_e32 v13, v17, v3, vcc_lo
	v_cmp_eq_u32_e64 s5, 5, v69
	v_cndmask_b32_e32 v14, v18, v7, vcc_lo
	v_cndmask_b32_e64 v1, v1, v3, s4
	v_cmp_eq_u32_e32 vcc_lo, 5, v71
	v_lshrrev_b32_e32 v12, 16, v4
	v_cndmask_b32_e64 v13, v13, v11, s5
	v_cndmask_b32_e64 v3, v14, v15, s5
	v_cmp_eq_u32_e64 s5, 6, v71
	v_cndmask_b32_e32 v1, v1, v11, vcc_lo
	v_cndmask_b32_e64 v5, v5, v11, s6
	v_cmp_eq_u32_e64 s7, 6, v70
	v_cndmask_b32_e64 v6, v6, v15, s6
	v_cmp_eq_u32_e64 s6, 6, v72
	v_cmp_eq_u32_e64 s4, 6, v69
	v_cndmask_b32_e64 v1, v1, v4, s5
	v_cndmask_b32_e32 v2, v2, v15, vcc_lo
	v_cmp_eq_u32_e32 vcc_lo, 7, v71
	v_cndmask_b32_e64 v5, v5, v4, s7
	v_cndmask_b32_e64 v9, v9, v4, s6
	;; [unrolled: 1-line block ×3, first 2 shown]
	v_cmp_eq_u32_e64 s7, 7, v70
	v_cndmask_b32_e32 v1, v1, v12, vcc_lo
	v_cndmask_b32_e64 v7, v13, v4, s4
	v_cndmask_b32_e64 v3, v3, v8, s4
	;; [unrolled: 1-line block ×3, first 2 shown]
	v_cmp_eq_u32_e64 s4, 7, v69
	v_cndmask_b32_e64 v4, v10, v8, s6
	v_cndmask_b32_e64 v5, v5, v12, s7
	;; [unrolled: 1-line block ×3, first 2 shown]
	v_cndmask_b32_e32 v2, v2, v16, vcc_lo
	v_cndmask_b32_e64 v7, v7, v12, s4
	v_cndmask_b32_e64 v3, v3, v16, s4
	;; [unrolled: 1-line block ×4, first 2 shown]
	v_cmp_gt_u32_e32 vcc_lo, 32, v0
	v_perm_b32 v4, v2, v1, 0x5040100
	v_perm_b32 v3, v3, v7, 0x5040100
	;; [unrolled: 1-line block ×4, first 2 shown]
	s_and_b32 s2, vcc_lo, s2
	ds_store_b128 v74, v[1:4]
	s_waitcnt lgkmcnt(0)
	s_barrier
	buffer_gl0_inv
	s_and_saveexec_b32 s4, s2
	s_cbranch_execz .LBB848_2
; %bb.15:
	s_load_b64 s[4:5], s[0:1], 0x68
	v_lshlrev_b32_e32 v0, 10, v0
	v_lshlrev_b32_e32 v2, 4, v67
	v_add_nc_u32_e32 v1, s33, v66
	s_lshl_b32 s0, s36, 6
	s_delay_alu instid0(SALU_CYCLE_1) | instskip(NEXT) | instid1(VALU_DEP_2)
	s_mul_i32 s1, s0, s34
	v_and_or_b32 v0, 0x3800, v0, v2
	s_mul_i32 s6, s1, s9
	v_mul_lo_u32 v1, v1, s0
	s_ashr_i32 s7, s6, 31
	s_delay_alu instid0(VALU_DEP_2) | instskip(SKIP_1) | instid1(VALU_DEP_2)
	v_lshl_or_b32 v3, v66, 6, v0
	s_lshl_b64 s[6:7], s[6:7], 1
	v_ashrrev_i32_e32 v2, 31, v1
	ds_load_b128 v[3:6], v3
	s_waitcnt lgkmcnt(0)
	s_add_u32 s1, s4, s6
	s_addc_u32 s2, s5, s7
	s_lshl_b32 s4, s14, 6
	v_lshlrev_b64 v[7:8], 1, v[1:2]
	s_ashr_i32 s5, s4, 31
	s_delay_alu instid0(SALU_CYCLE_1) | instskip(NEXT) | instid1(SALU_CYCLE_1)
	s_lshl_b64 s[4:5], s[4:5], 1
	s_add_u32 s1, s1, s4
	s_addc_u32 s2, s2, s5
	v_add_co_u32 v1, s1, s1, v65
	s_delay_alu instid0(VALU_DEP_1) | instskip(NEXT) | instid1(VALU_DEP_2)
	v_add_co_ci_u32_e64 v2, null, s2, 0, s1
	v_add_co_u32 v7, vcc_lo, v1, v7
	s_delay_alu instid0(VALU_DEP_2)
	v_add_co_ci_u32_e32 v8, vcc_lo, v2, v8, vcc_lo
	global_store_b128 v[7:8], v[3:6], off
	s_and_b32 exec_lo, exec_lo, s3
	s_cbranch_execz .LBB848_2
; %bb.16:
	ds_load_b128 v[3:6], v0 offset:128
	s_add_i32 s1, s33, 2
	s_delay_alu instid0(SALU_CYCLE_1) | instskip(NEXT) | instid1(SALU_CYCLE_1)
	s_mul_i32 s0, s1, s0
	s_ashr_i32 s1, s0, 31
	s_delay_alu instid0(SALU_CYCLE_1) | instskip(NEXT) | instid1(SALU_CYCLE_1)
	s_lshl_b64 s[0:1], s[0:1], 1
	v_add_co_u32 v0, vcc_lo, v1, s0
	v_add_co_ci_u32_e32 v1, vcc_lo, s1, v2, vcc_lo
	s_waitcnt lgkmcnt(0)
	global_store_b128 v[0:1], v[3:6], off
	s_nop 0
	s_sendmsg sendmsg(MSG_DEALLOC_VGPRS)
	s_endpgm
	.section	.rodata,"a",@progbits
	.p2align	6, 0x0
	.amdhsa_kernel _Z39paged_attention_ll4mi_QKV_mfma16_kernelIDF16_hLN4vllm18Fp8KVCacheDataTypeE1EDF16_Li16ELi64ELi256ELb0ELi3EL8MFMAType1EEvPKT_PKT0_S8_ifPKiSA_SA_iPKfiiiPfSD_PS3_PT2_iSC_SC_
		.amdhsa_group_segment_fixed_size 17472
		.amdhsa_private_segment_fixed_size 0
		.amdhsa_kernarg_size 400
		.amdhsa_user_sgpr_count 13
		.amdhsa_user_sgpr_dispatch_ptr 0
		.amdhsa_user_sgpr_queue_ptr 0
		.amdhsa_user_sgpr_kernarg_segment_ptr 1
		.amdhsa_user_sgpr_dispatch_id 0
		.amdhsa_user_sgpr_private_segment_size 0
		.amdhsa_wavefront_size32 1
		.amdhsa_uses_dynamic_stack 0
		.amdhsa_enable_private_segment 0
		.amdhsa_system_sgpr_workgroup_id_x 1
		.amdhsa_system_sgpr_workgroup_id_y 1
		.amdhsa_system_sgpr_workgroup_id_z 1
		.amdhsa_system_sgpr_workgroup_info 0
		.amdhsa_system_vgpr_workitem_id 0
		.amdhsa_next_free_vgpr 146
		.amdhsa_next_free_sgpr 37
		.amdhsa_reserve_vcc 1
		.amdhsa_float_round_mode_32 0
		.amdhsa_float_round_mode_16_64 0
		.amdhsa_float_denorm_mode_32 3
		.amdhsa_float_denorm_mode_16_64 3
		.amdhsa_dx10_clamp 1
		.amdhsa_ieee_mode 1
		.amdhsa_fp16_overflow 0
		.amdhsa_workgroup_processor_mode 1
		.amdhsa_memory_ordered 1
		.amdhsa_forward_progress 0
		.amdhsa_shared_vgpr_count 0
		.amdhsa_exception_fp_ieee_invalid_op 0
		.amdhsa_exception_fp_denorm_src 0
		.amdhsa_exception_fp_ieee_div_zero 0
		.amdhsa_exception_fp_ieee_overflow 0
		.amdhsa_exception_fp_ieee_underflow 0
		.amdhsa_exception_fp_ieee_inexact 0
		.amdhsa_exception_int_div_zero 0
	.end_amdhsa_kernel
	.section	.text._Z39paged_attention_ll4mi_QKV_mfma16_kernelIDF16_hLN4vllm18Fp8KVCacheDataTypeE1EDF16_Li16ELi64ELi256ELb0ELi3EL8MFMAType1EEvPKT_PKT0_S8_ifPKiSA_SA_iPKfiiiPfSD_PS3_PT2_iSC_SC_,"axG",@progbits,_Z39paged_attention_ll4mi_QKV_mfma16_kernelIDF16_hLN4vllm18Fp8KVCacheDataTypeE1EDF16_Li16ELi64ELi256ELb0ELi3EL8MFMAType1EEvPKT_PKT0_S8_ifPKiSA_SA_iPKfiiiPfSD_PS3_PT2_iSC_SC_,comdat
.Lfunc_end848:
	.size	_Z39paged_attention_ll4mi_QKV_mfma16_kernelIDF16_hLN4vllm18Fp8KVCacheDataTypeE1EDF16_Li16ELi64ELi256ELb0ELi3EL8MFMAType1EEvPKT_PKT0_S8_ifPKiSA_SA_iPKfiiiPfSD_PS3_PT2_iSC_SC_, .Lfunc_end848-_Z39paged_attention_ll4mi_QKV_mfma16_kernelIDF16_hLN4vllm18Fp8KVCacheDataTypeE1EDF16_Li16ELi64ELi256ELb0ELi3EL8MFMAType1EEvPKT_PKT0_S8_ifPKiSA_SA_iPKfiiiPfSD_PS3_PT2_iSC_SC_
                                        ; -- End function
	.section	.AMDGPU.csdata,"",@progbits
; Kernel info:
; codeLenInByte = 6428
; NumSgprs: 39
; NumVgprs: 146
; ScratchSize: 0
; MemoryBound: 0
; FloatMode: 240
; IeeeMode: 1
; LDSByteSize: 17472 bytes/workgroup (compile time only)
; SGPRBlocks: 4
; VGPRBlocks: 18
; NumSGPRsForWavesPerEU: 39
; NumVGPRsForWavesPerEU: 146
; Occupancy: 9
; WaveLimiterHint : 1
; COMPUTE_PGM_RSRC2:SCRATCH_EN: 0
; COMPUTE_PGM_RSRC2:USER_SGPR: 13
; COMPUTE_PGM_RSRC2:TRAP_HANDLER: 0
; COMPUTE_PGM_RSRC2:TGID_X_EN: 1
; COMPUTE_PGM_RSRC2:TGID_Y_EN: 1
; COMPUTE_PGM_RSRC2:TGID_Z_EN: 1
; COMPUTE_PGM_RSRC2:TIDIG_COMP_CNT: 0
	.section	.text._Z39paged_attention_ll4mi_QKV_mfma16_kernelIDF16_hLN4vllm18Fp8KVCacheDataTypeE1EDF16_Li16ELi64ELi256ELb0ELi4EL8MFMAType1EEvPKT_PKT0_S8_ifPKiSA_SA_iPKfiiiPfSD_PS3_PT2_iSC_SC_,"axG",@progbits,_Z39paged_attention_ll4mi_QKV_mfma16_kernelIDF16_hLN4vllm18Fp8KVCacheDataTypeE1EDF16_Li16ELi64ELi256ELb0ELi4EL8MFMAType1EEvPKT_PKT0_S8_ifPKiSA_SA_iPKfiiiPfSD_PS3_PT2_iSC_SC_,comdat
	.protected	_Z39paged_attention_ll4mi_QKV_mfma16_kernelIDF16_hLN4vllm18Fp8KVCacheDataTypeE1EDF16_Li16ELi64ELi256ELb0ELi4EL8MFMAType1EEvPKT_PKT0_S8_ifPKiSA_SA_iPKfiiiPfSD_PS3_PT2_iSC_SC_ ; -- Begin function _Z39paged_attention_ll4mi_QKV_mfma16_kernelIDF16_hLN4vllm18Fp8KVCacheDataTypeE1EDF16_Li16ELi64ELi256ELb0ELi4EL8MFMAType1EEvPKT_PKT0_S8_ifPKiSA_SA_iPKfiiiPfSD_PS3_PT2_iSC_SC_
	.globl	_Z39paged_attention_ll4mi_QKV_mfma16_kernelIDF16_hLN4vllm18Fp8KVCacheDataTypeE1EDF16_Li16ELi64ELi256ELb0ELi4EL8MFMAType1EEvPKT_PKT0_S8_ifPKiSA_SA_iPKfiiiPfSD_PS3_PT2_iSC_SC_
	.p2align	8
	.type	_Z39paged_attention_ll4mi_QKV_mfma16_kernelIDF16_hLN4vllm18Fp8KVCacheDataTypeE1EDF16_Li16ELi64ELi256ELb0ELi4EL8MFMAType1EEvPKT_PKT0_S8_ifPKiSA_SA_iPKfiiiPfSD_PS3_PT2_iSC_SC_,@function
_Z39paged_attention_ll4mi_QKV_mfma16_kernelIDF16_hLN4vllm18Fp8KVCacheDataTypeE1EDF16_Li16ELi64ELi256ELb0ELi4EL8MFMAType1EEvPKT_PKT0_S8_ifPKiSA_SA_iPKfiiiPfSD_PS3_PT2_iSC_SC_: ; @_Z39paged_attention_ll4mi_QKV_mfma16_kernelIDF16_hLN4vllm18Fp8KVCacheDataTypeE1EDF16_Li16ELi64ELi256ELb0ELi4EL8MFMAType1EEvPKT_PKT0_S8_ifPKiSA_SA_iPKfiiiPfSD_PS3_PT2_iSC_SC_
; %bb.0:
	s_load_b64 s[2:3], s[0:1], 0x30
	s_mov_b32 s34, s13
	s_waitcnt lgkmcnt(0)
	s_cmp_lg_u64 s[2:3], 0
	s_cselect_b32 s8, -1, 0
	s_ashr_i32 s35, s13, 31
	s_cmp_eq_u64 s[2:3], 0
	s_cbranch_scc1 .LBB849_3
; %bb.1:
	s_lshl_b64 s[4:5], s[34:35], 2
	s_delay_alu instid0(SALU_CYCLE_1) | instskip(SKIP_4) | instid1(SALU_CYCLE_1)
	s_add_u32 s4, s2, s4
	s_addc_u32 s5, s3, s5
	s_load_b64 s[4:5], s[4:5], 0x0
	s_waitcnt lgkmcnt(0)
	s_sub_i32 s4, s5, s4
	s_cmp_eq_u32 s4, 1
	s_cselect_b32 s4, -1, 0
	s_delay_alu instid0(SALU_CYCLE_1)
	s_and_not1_b32 vcc_lo, exec_lo, s4
	s_cbranch_vccz .LBB849_4
.LBB849_2:
	s_endpgm
.LBB849_3:
.LBB849_4:
	s_load_b64 s[4:5], s[0:1], 0x28
	s_lshl_b64 s[6:7], s[34:35], 2
	s_waitcnt lgkmcnt(0)
	s_add_u32 s4, s4, s6
	s_addc_u32 s5, s5, s7
	s_lshl_b32 s12, s14, 8
	s_load_b32 s24, s[4:5], 0x0
	s_waitcnt lgkmcnt(0)
	s_cmp_ge_i32 s12, s24
	s_cbranch_scc1 .LBB849_2
; %bb.5:
	s_clause 0x1
	s_load_b128 s[20:23], s[0:1], 0x8
	s_load_b64 s[4:5], s[0:1], 0x20
	s_and_not1_b32 vcc_lo, exec_lo, s8
	s_cbranch_vccnz .LBB849_7
; %bb.6:
	s_add_u32 s2, s2, s6
	s_addc_u32 s3, s3, s7
	s_load_b32 s3, s[2:3], 0x0
	s_branch .LBB849_8
.LBB849_7:
	s_mov_b32 s3, s34
.LBB849_8:
	s_load_b128 s[16:19], s[0:1], 0x48
	v_and_b32_e32 v69, 15, v0
	v_cmp_gt_u32_e32 vcc_lo, 64, v0
	v_lshrrev_b32_e32 v68, 5, v0
	v_and_b32_e32 v70, 31, v0
	v_and_b32_e32 v66, 1, v0
	v_lshlrev_b32_e32 v1, 3, v69
	v_cmp_gt_u32_e64 s2, 8, v69
	v_bfe_u32 v67, v0, 4, 1
	s_lshl_b32 s31, s15, 2
	s_delay_alu instid0(VALU_DEP_3) | instskip(NEXT) | instid1(VALU_DEP_3)
	v_lshlrev_b32_e32 v65, 1, v1
	s_and_b32 s7, vcc_lo, s2
	s_delay_alu instid0(SALU_CYCLE_1)
	s_and_saveexec_b32 s6, s7
	s_cbranch_execz .LBB849_10
; %bb.9:
	v_lshl_or_b32 v5, v68, 1, v67
	s_load_b64 s[8:9], s[0:1], 0x0
	s_waitcnt lgkmcnt(0)
	s_mul_hi_i32 s11, s3, s16
	s_mul_i32 s10, s3, s16
	v_lshlrev_b32_e32 v6, 10, v69
	v_or_b32_e32 v1, s31, v5
	s_lshl_b64 s[10:11], s[10:11], 1
	v_lshlrev_b32_e32 v5, 6, v5
	v_lshlrev_b32_e32 v7, 10, v66
	v_and_b32_e32 v6, 0x3800, v6
	v_lshlrev_b32_e32 v1, 6, v1
	s_delay_alu instid0(VALU_DEP_2) | instskip(NEXT) | instid1(VALU_DEP_2)
	v_or3_b32 v5, v6, v7, v5
	v_ashrrev_i32_e32 v2, 31, v1
	s_delay_alu instid0(VALU_DEP_1) | instskip(SKIP_2) | instid1(VALU_DEP_1)
	v_lshlrev_b64 v[1:2], 1, v[1:2]
	s_add_u32 s3, s8, s10
	s_addc_u32 s7, s9, s11
	v_add_co_u32 v1, vcc_lo, s3, v1
	s_delay_alu instid0(VALU_DEP_2) | instskip(NEXT) | instid1(VALU_DEP_2)
	v_add_co_ci_u32_e32 v2, vcc_lo, s7, v2, vcc_lo
	v_add_co_u32 v1, vcc_lo, v1, v65
	s_delay_alu instid0(VALU_DEP_2)
	v_add_co_ci_u32_e32 v2, vcc_lo, 0, v2, vcc_lo
	global_load_b128 v[1:4], v[1:2], off
	s_waitcnt vmcnt(0)
	ds_store_b128 v5, v[1:4]
.LBB849_10:
	s_or_b32 exec_lo, exec_lo, s6
	v_and_b32_e32 v1, 0xef, v0
	s_waitcnt lgkmcnt(0)
	s_add_i32 s3, s24, 15
	s_clause 0x1
	s_load_b32 s6, s[0:1], 0x38
	s_load_b32 s33, s[0:1], 0x98
	s_ashr_i32 s7, s3, 31
	v_add_nc_u32_e32 v1, s12, v1
	s_lshr_b32 s7, s7, 28
	s_load_b32 s19, s[0:1], 0x1c
	s_add_i32 s3, s3, s7
	s_waitcnt lgkmcnt(0)
	v_ashrrev_i32_e32 v2, 31, v1
	v_or_b32_e32 v3, 16, v1
	s_ashr_i32 s3, s3, 4
	v_cmp_gt_i32_e32 vcc_lo, s24, v1
	s_add_i32 s3, s3, -1
	v_lshrrev_b32_e32 v2, 28, v2
	s_barrier
	buffer_gl0_inv
	s_mul_i32 s27, s15, s18
	v_add_nc_u32_e32 v4, v1, v2
	s_mul_i32 s6, s34, s6
	s_delay_alu instid0(SALU_CYCLE_1) | instskip(NEXT) | instid1(VALU_DEP_1)
	s_ashr_i32 s7, s6, 31
	v_ashrrev_i32_e32 v4, 4, v4
	v_add_nc_u32_e32 v2, v3, v2
	s_lshl_b64 s[6:7], s[6:7], 2
	s_delay_alu instid0(SALU_CYCLE_1) | instskip(NEXT) | instid1(VALU_DEP_2)
	s_add_u32 s26, s4, s6
	v_cndmask_b32_e32 v1, s3, v4, vcc_lo
	s_delay_alu instid0(VALU_DEP_2)
	v_ashrrev_i32_e32 v2, 4, v2
	v_cmp_gt_i32_e32 vcc_lo, s24, v3
	s_addc_u32 s25, s5, s7
	s_ashr_i32 s28, s27, 31
	s_add_u32 s13, s20, s27
	s_addc_u32 s15, s21, s28
	v_cndmask_b32_e32 v3, s3, v2, vcc_lo
	v_ashrrev_i32_e32 v2, 31, v1
	s_lshl_b32 s4, s14, 4
	s_delay_alu instid0(SALU_CYCLE_1) | instskip(NEXT) | instid1(VALU_DEP_2)
	s_ashr_i32 s5, s4, 31
	v_ashrrev_i32_e32 v4, 31, v3
	s_delay_alu instid0(VALU_DEP_2) | instskip(SKIP_1) | instid1(SALU_CYCLE_1)
	v_lshlrev_b64 v[1:2], 2, v[1:2]
	s_lshl_b64 s[4:5], s[4:5], 2
	s_add_u32 s4, s26, s4
	s_delay_alu instid0(VALU_DEP_2) | instskip(SKIP_1) | instid1(VALU_DEP_2)
	v_lshlrev_b64 v[3:4], 2, v[3:4]
	s_addc_u32 s5, s25, s5
	v_add_co_u32 v1, vcc_lo, s26, v1
	v_add_co_ci_u32_e32 v2, vcc_lo, s25, v2, vcc_lo
	s_delay_alu instid0(VALU_DEP_3) | instskip(NEXT) | instid1(VALU_DEP_4)
	v_add_co_u32 v3, vcc_lo, s26, v3
	v_add_co_ci_u32_e32 v4, vcc_lo, s25, v4, vcc_lo
	s_clause 0x1
	global_load_b32 v5, v[1:2], off
	global_load_b32 v7, v[3:4], off
	s_or_b32 s6, s12, 32
	v_lshlrev_b32_e32 v1, 4, v0
	s_ashr_i32 s7, s6, 4
	s_cmp_lt_i32 s6, s24
	s_cselect_b32 s6, s7, s3
	s_delay_alu instid0(VALU_DEP_1) | instskip(SKIP_1) | instid1(SALU_CYCLE_1)
	v_and_b32_e32 v1, 0xf0, v1
	s_ashr_i32 s7, s6, 31
	s_lshl_b64 s[6:7], s[6:7], 2
	s_delay_alu instid0(SALU_CYCLE_1)
	s_add_u32 s6, s26, s6
	s_addc_u32 s7, s25, s7
	s_or_b32 s8, s12, 64
	v_add_co_u32 v1, s13, s13, v1
	s_ashr_i32 s9, s8, 4
	s_cmp_lt_i32 s8, s24
	v_add_co_ci_u32_e64 v2, null, s15, 0, s13
	s_cselect_b32 s8, s9, s3
	s_delay_alu instid0(SALU_CYCLE_1) | instskip(NEXT) | instid1(SALU_CYCLE_1)
	s_ashr_i32 s9, s8, 31
	s_lshl_b64 s[8:9], s[8:9], 2
	s_delay_alu instid0(SALU_CYCLE_1) | instskip(SKIP_2) | instid1(SALU_CYCLE_1)
	s_add_u32 s8, s26, s8
	s_addc_u32 s9, s25, s9
	s_or_b32 s10, s12, 0x60
	s_ashr_i32 s11, s10, 4
	s_cmp_lt_i32 s10, s24
	s_cselect_b32 s10, s11, s3
	s_delay_alu instid0(SALU_CYCLE_1) | instskip(NEXT) | instid1(SALU_CYCLE_1)
	s_ashr_i32 s11, s10, 31
	s_lshl_b64 s[10:11], s[10:11], 2
	s_delay_alu instid0(SALU_CYCLE_1) | instskip(SKIP_2) | instid1(SALU_CYCLE_1)
	s_add_u32 s10, s26, s10
	s_addc_u32 s11, s25, s11
	s_or_b32 s16, s12, 0x80
	s_ashr_i32 s18, s16, 4
	s_cmp_lt_i32 s16, s24
	;; [unrolled: 10-line block ×3, first 2 shown]
	s_cselect_b32 s20, s18, s3
	s_delay_alu instid0(SALU_CYCLE_1) | instskip(NEXT) | instid1(SALU_CYCLE_1)
	s_ashr_i32 s21, s20, 31
	s_lshl_b64 s[20:21], s[20:21], 2
	s_delay_alu instid0(SALU_CYCLE_1)
	s_add_u32 s38, s26, s20
	s_addc_u32 s39, s25, s21
	s_clause 0x5
	s_load_b32 s21, s[4:5], 0x0
	s_load_b32 s13, s[6:7], 0x0
	;; [unrolled: 1-line block ×6, first 2 shown]
	s_or_b32 s7, s12, 0xc0
	s_mov_b32 s4, 0
	s_ashr_i32 s8, s7, 4
	s_cmp_lt_i32 s7, s24
	s_mov_b32 s5, s4
	s_cselect_b32 s10, s8, s3
	s_mov_b32 s6, s4
	s_ashr_i32 s11, s10, 31
	s_mov_b32 s7, s4
	s_lshl_b64 s[36:37], s[10:11], 2
	s_mov_b32 s11, s4
	s_add_u32 s36, s26, s36
	s_addc_u32 s37, s25, s37
	s_or_b32 s29, s12, 0xe0
	s_mov_b32 s8, s4
	s_ashr_i32 s30, s29, 4
	s_mov_b32 s9, s4
	s_mov_b32 s10, s4
	s_cmp_lt_i32 s29, s24
	v_mov_b32_e32 v102, s11
	v_dual_mov_b32 v96, s5 :: v_dual_mov_b32 v101, s10
	v_dual_mov_b32 v100, s9 :: v_dual_mov_b32 v99, s8
	;; [unrolled: 1-line block ×3, first 2 shown]
	v_mov_b32_e32 v95, s4
	s_cselect_b32 s4, s30, s3
	s_delay_alu instid0(SALU_CYCLE_1) | instskip(NEXT) | instid1(SALU_CYCLE_1)
	s_ashr_i32 s5, s4, 31
	s_lshl_b64 s[4:5], s[4:5], 2
	s_delay_alu instid0(SALU_CYCLE_1)
	s_add_u32 s4, s26, s4
	s_addc_u32 s5, s25, s5
	s_add_u32 s6, s22, s27
	s_addc_u32 s7, s23, s28
	s_waitcnt vmcnt(1)
	v_mad_i64_i32 v[3:4], null, v5, s17, v[1:2]
	s_waitcnt vmcnt(0)
	v_mad_i64_i32 v[5:6], null, v7, s17, v[1:2]
	v_and_b32_e32 v1, 3, v0
	v_lshlrev_b32_e32 v2, 4, v69
	s_clause 0x7
	global_load_b128 v[57:60], v[3:4], off
	global_load_b128 v[61:64], v[3:4], off offset:256
	global_load_b128 v[71:74], v[5:6], off
	global_load_b128 v[75:78], v[5:6], off offset:256
	global_load_b128 v[79:82], v[3:4], off offset:512
	;; [unrolled: 1-line block ×5, first 2 shown]
	v_lshlrev_b32_e32 v121, 6, v1
	v_lshl_or_b32 v1, v68, 8, v2
	s_load_b32 s3, s[36:37], 0x0
	ds_load_b128 v[103:106], v121
	ds_load_b128 v[107:110], v121 offset:1024
	s_load_b32 s4, s[4:5], 0x0
	v_add_co_u32 v17, s6, s6, v1
	s_delay_alu instid0(VALU_DEP_1) | instskip(SKIP_1) | instid1(VALU_DEP_1)
	v_add_co_ci_u32_e64 v18, null, s7, 0, s6
	s_waitcnt lgkmcnt(0)
	v_mad_i64_i32 v[1:2], null, s21, s17, v[17:18]
	v_mad_i64_i32 v[3:4], null, s13, s17, v[17:18]
	;; [unrolled: 1-line block ×7, first 2 shown]
	s_clause 0x9
	global_load_b128 v[49:52], v[1:2], off
	global_load_b128 v[53:56], v[1:2], off offset:16
	global_load_b128 v[41:44], v[3:4], off
	global_load_b128 v[45:48], v[3:4], off offset:16
	global_load_b128 v[33:36], v[5:6], off
	global_load_b128 v[37:40], v[5:6], off offset:16
	global_load_b128 v[1:4], v[7:8], off
	global_load_b128 v[5:8], v[7:8], off offset:16
	global_load_b128 v[9:12], v[13:14], off
	global_load_b128 v[13:16], v[13:14], off offset:16
	v_mad_i64_i32 v[119:120], null, s4, s17, v[17:18]
	s_clause 0x3
	global_load_b128 v[17:20], v[21:22], off
	global_load_b128 v[21:24], v[21:22], off offset:16
	global_load_b128 v[25:28], v[29:30], off
	global_load_b128 v[29:32], v[29:30], off offset:16
	s_waitcnt vmcnt(20)
	v_wmma_f32_16x16x16_f16 v[111:118], v[57:64], v[103:110], v[95:102]
	s_clause 0x1
	global_load_b128 v[57:60], v[119:120], off
	global_load_b128 v[61:64], v[119:120], off offset:16
	s_waitcnt vmcnt(20)
	v_wmma_f32_16x16x16_f16 v[95:102], v[71:78], v[103:110], v[95:102]
	ds_load_b128 v[71:74], v121 offset:2048
	ds_load_b128 v[75:78], v121 offset:3072
	v_mbcnt_lo_u32_b32 v104, -1, 0
	s_waitcnt vmcnt(0) lgkmcnt(0)
	s_barrier
	buffer_gl0_inv
	v_xor_b32_e32 v105, 16, v104
	s_delay_alu instid0(VALU_DEP_1) | instskip(SKIP_4) | instid1(VALU_DEP_2)
	v_cmp_gt_i32_e32 vcc_lo, 32, v105
	v_cndmask_b32_e32 v104, v104, v105, vcc_lo
	v_wmma_f32_16x16x16_f16 v[95:102], v[87:94], v[71:78], v[95:102]
	v_and_b32_e32 v103, 0xe0, v0
	v_wmma_f32_16x16x16_f16 v[111:118], v[79:86], v[71:78], v[111:118]
	v_dual_mul_f32 v90, s19, v101 :: v_dual_add_nc_u32 v103, s12, v103
	s_delay_alu instid0(VALU_DEP_2) | instskip(NEXT) | instid1(VALU_DEP_3)
	v_dual_mul_f32 v94, s19, v97 :: v_dual_mul_f32 v87, s19, v112
	v_dual_mul_f32 v88, s19, v111 :: v_dual_mul_f32 v77, s19, v114
	s_delay_alu instid0(VALU_DEP_3) | instskip(SKIP_3) | instid1(VALU_DEP_4)
	v_or_b32_e32 v103, v103, v67
	v_dual_mul_f32 v78, s19, v113 :: v_dual_mul_f32 v75, s19, v116
	v_dual_mul_f32 v76, s19, v115 :: v_dual_mul_f32 v73, s19, v118
	v_mul_f32_e32 v92, s19, v99
	v_or_b32_e32 v105, 2, v103
	v_or_b32_e32 v106, 4, v103
	;; [unrolled: 1-line block ×3, first 2 shown]
	v_cmp_gt_i32_e64 s3, s24, v103
	v_or_b32_e32 v108, 8, v103
	v_cmp_gt_i32_e32 vcc_lo, s24, v105
	v_or_b32_e32 v109, 10, v103
	v_cmp_gt_i32_e64 s4, s24, v106
	v_cndmask_b32_e64 v88, 0xff7fffff, v88, s3
	v_cmp_gt_i32_e64 s5, s24, v107
	v_cndmask_b32_e32 v87, 0xff7fffff, v87, vcc_lo
	v_or_b32_e32 v79, 12, v103
	v_or_b32_e32 v80, 14, v103
	v_cndmask_b32_e64 v78, 0xff7fffff, v78, s4
	v_cndmask_b32_e64 v77, 0xff7fffff, v77, s5
	v_max3_f32 v87, v88, 0xff7fffff, v87
	v_cmp_gt_i32_e64 s6, s24, v108
	v_cmp_gt_i32_e64 s7, s24, v109
	v_or_b32_e32 v81, 16, v103
	v_or_b32_e32 v82, 18, v103
	v_mul_f32_e32 v74, s19, v117
	v_cndmask_b32_e64 v76, 0xff7fffff, v76, s6
	v_cndmask_b32_e64 v75, 0xff7fffff, v75, s7
	v_max3_f32 v77, v87, v78, v77
	v_cmp_gt_i32_e64 s8, s24, v79
	v_cmp_gt_i32_e64 s9, s24, v80
	v_or_b32_e32 v83, 20, v103
	v_or_b32_e32 v84, 22, v103
	;; [unrolled: 1-line block ×6, first 2 shown]
	v_mul_f32_e32 v105, s19, v96
	v_mul_f32_e32 v103, s19, v95
	v_cndmask_b32_e64 v74, 0xff7fffff, v74, s8
	v_cndmask_b32_e64 v73, 0xff7fffff, v73, s9
	v_max3_f32 v75, v77, v76, v75
	v_cmp_gt_i32_e64 s10, s24, v81
	v_cmp_gt_i32_e64 s11, s24, v82
	v_mul_f32_e32 v93, s19, v98
	v_cmp_gt_i32_e64 s12, s24, v83
	v_max3_f32 v73, v75, v74, v73
	v_cndmask_b32_e64 v76, 0xff7fffff, v103, s10
	v_cndmask_b32_e64 v77, 0xff7fffff, v105, s11
	v_cmp_gt_i32_e64 s13, s24, v84
	v_mul_f32_e32 v91, s19, v100
	v_cndmask_b32_e64 v74, 0xff7fffff, v94, s12
	v_cmp_gt_i32_e64 s15, s24, v85
	v_max3_f32 v73, v73, v76, v77
	v_cndmask_b32_e64 v75, 0xff7fffff, v93, s13
	v_cmp_gt_i32_e64 s16, s24, v86
	v_mul_f32_e32 v89, s19, v102
	v_cndmask_b32_e64 v76, 0xff7fffff, v92, s15
	v_cmp_gt_i32_e64 s17, s24, v71
	v_max3_f32 v73, v73, v74, v75
	v_cndmask_b32_e64 v77, 0xff7fffff, v91, s16
	v_cmp_gt_i32_e64 s18, s24, v72
	v_lshlrev_b32_e32 v74, 2, v104
	v_cndmask_b32_e64 v71, 0xff7fffff, v90, s17
	s_delay_alu instid0(VALU_DEP_4) | instskip(NEXT) | instid1(VALU_DEP_4)
	v_max3_f32 v73, v73, v76, v77
	v_cndmask_b32_e64 v72, 0xff7fffff, v89, s18
	s_delay_alu instid0(VALU_DEP_1) | instskip(SKIP_3) | instid1(VALU_DEP_1)
	v_max3_f32 v71, v73, v71, v72
	ds_bpermute_b32 v72, v74, v71
	s_waitcnt lgkmcnt(0)
	v_max_f32_e32 v72, v72, v72
	v_max_f32_e32 v71, v71, v72
	s_delay_alu instid0(VALU_DEP_1)
	v_fma_f32 v72, s19, v111, -v71
	v_fma_f32 v76, s19, v114, -v71
	;; [unrolled: 1-line block ×5, first 2 shown]
	v_mul_f32_e32 v72, 0x3fb8aa3b, v72
	v_mul_f32_e32 v76, 0x3fb8aa3b, v76
	v_fma_f32 v75, s19, v113, -v71
	v_mul_f32_e32 v79, 0x3fb8aa3b, v77
	v_mul_f32_e32 v87, 0x3fb8aa3b, v86
	v_exp_f32_e32 v72, v72
	v_exp_f32_e32 v76, v76
	v_fma_f32 v81, s19, v117, -v71
	v_exp_f32_e32 v82, v79
	v_exp_f32_e32 v87, v87
	v_fma_f32 v84, s19, v96, -v71
	s_delay_alu instid0(VALU_DEP_2) | instskip(SKIP_3) | instid1(TRANS32_DEP_3)
	v_mul_f32_e32 v81, 0x3fb8aa3b, v81
	v_cndmask_b32_e64 v78, 0, v72, s3
	v_fma_f32 v72, s19, v116, -v71
	v_mul_f32_e32 v73, 0x3fb8aa3b, v73
	v_cndmask_b32_e64 v79, 0, v76, s5
	v_fma_f32 v76, s19, v95, -v71
	s_delay_alu instid0(VALU_DEP_4) | instskip(NEXT) | instid1(VALU_DEP_4)
	v_dual_mul_f32 v75, 0x3fb8aa3b, v75 :: v_dual_mul_f32 v72, 0x3fb8aa3b, v72
	v_exp_f32_e32 v73, v73
	v_cndmask_b32_e64 v87, 0, v87, s13
	s_delay_alu instid0(VALU_DEP_3) | instskip(NEXT) | instid1(VALU_DEP_3)
	v_mul_f32_e32 v76, 0x3fb8aa3b, v76
	v_exp_f32_e32 v75, v75
	v_exp_f32_e32 v72, v72
	v_exp_f32_e32 v83, v81
	v_cndmask_b32_e64 v82, 0, v82, s6
	v_mul_f32_e32 v85, 0x3fb8aa3b, v84
	v_exp_f32_e32 v76, v76
	s_mov_b32 s3, exec_lo
	v_cndmask_b32_e32 v77, 0, v73, vcc_lo
	v_add_f32_e32 v73, 0, v78
	v_exp_f32_e32 v85, v85
	v_cndmask_b32_e64 v80, 0, v75, s4
	v_fma_f32 v75, s19, v118, -v71
	v_cndmask_b32_e64 v81, 0, v72, s7
	v_add_f32_e32 v73, v73, v77
	v_cndmask_b32_e64 v84, 0, v83, s8
	v_cndmask_b32_e64 v86, 0, v76, s10
	v_mul_f32_e32 v75, 0x3fb8aa3b, v75
	s_delay_alu instid0(VALU_DEP_4) | instskip(NEXT) | instid1(TRANS32_DEP_1)
	v_add_f32_e32 v73, v73, v80
	v_cndmask_b32_e64 v85, 0, v85, s11
	s_delay_alu instid0(VALU_DEP_3) | instskip(NEXT) | instid1(VALU_DEP_2)
	v_exp_f32_e32 v75, v75
	v_add_f32_e32 v73, v73, v79
	s_delay_alu instid0(VALU_DEP_1) | instskip(SKIP_3) | instid1(VALU_DEP_1)
	v_add_f32_e32 v72, v73, v82
	s_waitcnt_depctr 0xfff
	v_cndmask_b32_e64 v83, 0, v75, s9
	v_add_f32_e32 v72, v72, v81
	v_add_f32_e32 v72, v72, v84
	s_delay_alu instid0(VALU_DEP_1) | instskip(NEXT) | instid1(VALU_DEP_1)
	v_add_f32_e32 v72, v72, v83
	v_add_f32_e32 v72, v72, v86
	s_delay_alu instid0(VALU_DEP_1) | instskip(SKIP_4) | instid1(VALU_DEP_4)
	v_add_f32_e32 v72, v72, v85
	v_fma_f32 v73, s19, v97, -v71
	v_fma_f32 v75, s19, v99, -v71
	v_fma_f32 v76, s19, v100, -v71
	v_fma_f32 v89, s19, v101, -v71
	v_mul_f32_e32 v73, 0x3fb8aa3b, v73
	s_delay_alu instid0(VALU_DEP_3) | instskip(NEXT) | instid1(VALU_DEP_2)
	v_dual_mul_f32 v75, 0x3fb8aa3b, v75 :: v_dual_mul_f32 v76, 0x3fb8aa3b, v76
	v_exp_f32_e32 v73, v73
	s_delay_alu instid0(VALU_DEP_1) | instskip(NEXT) | instid1(VALU_DEP_1)
	v_exp_f32_e32 v75, v75
	v_exp_f32_e32 v76, v76
	s_delay_alu instid0(TRANS32_DEP_3)
	v_cndmask_b32_e64 v88, 0, v73, s12
	v_mul_f32_e32 v73, 0x3fb8aa3b, v89
	v_fma_f32 v89, s19, v102, -v71
	s_waitcnt_depctr 0xfff
	v_cndmask_b32_e64 v90, 0, v75, s15
	v_add_f32_e32 v72, v72, v88
	v_exp_f32_e32 v73, v73
	v_mul_f32_e32 v75, 0x3fb8aa3b, v89
	v_cndmask_b32_e64 v89, 0, v76, s16
	s_delay_alu instid0(VALU_DEP_3) | instskip(NEXT) | instid1(VALU_DEP_3)
	v_add_f32_e32 v72, v72, v87
	v_exp_f32_e32 v75, v75
	s_delay_alu instid0(VALU_DEP_1) | instskip(SKIP_4) | instid1(VALU_DEP_2)
	v_add_f32_e32 v72, v72, v90
	s_waitcnt_depctr 0xfff
	v_cndmask_b32_e64 v92, 0, v73, s17
	v_add_f32_e32 v72, v72, v89
	v_cndmask_b32_e64 v91, 0, v75, s18
	v_add_f32_e32 v72, v72, v92
	s_delay_alu instid0(VALU_DEP_1)
	v_add_f32_e32 v72, v72, v91
	ds_bpermute_b32 v73, v74, v72
	v_cmpx_gt_u32_e32 16, v70
	s_cbranch_execz .LBB849_12
; %bb.11:
	v_mul_u32_u24_e32 v70, 0x44, v68
	s_waitcnt lgkmcnt(0)
	v_add_f32_e32 v72, v72, v73
	s_delay_alu instid0(VALU_DEP_2) | instskip(NEXT) | instid1(VALU_DEP_1)
	v_lshl_add_u32 v70, v69, 2, v70
	v_add_nc_u32_e32 v70, 0x4000, v70
	ds_store_2addr_b32 v70, v71, v72 offset1:136
.LBB849_12:
	s_or_b32 exec_lo, exec_lo, s3
	v_lshlrev_b32_e32 v70, 2, v69
	s_load_b32 s35, s[0:1], 0x94
	s_waitcnt lgkmcnt(0)
	s_barrier
	buffer_gl0_inv
	v_add_nc_u32_e32 v74, 0x4000, v70
	v_cmp_eq_u32_e32 vcc_lo, 1, v68
	v_cmp_eq_u32_e64 s3, 2, v68
	v_cmp_eq_u32_e64 s4, 3, v68
	;; [unrolled: 1-line block ×3, first 2 shown]
	ds_load_2addr_b32 v[70:71], v74 offset1:17
	ds_load_2addr_b32 v[72:73], v74 offset0:34 offset1:51
	ds_load_2addr_b32 v[93:94], v74 offset0:68 offset1:85
	;; [unrolled: 1-line block ×3, first 2 shown]
	v_cmp_eq_u32_e64 s6, 5, v68
	v_cmp_eq_u32_e64 s7, 7, v68
	s_waitcnt lgkmcnt(3)
	v_max3_f32 v75, v70, 0xff7fffff, v71
	s_waitcnt lgkmcnt(2)
	s_delay_alu instid0(VALU_DEP_1) | instskip(SKIP_1) | instid1(VALU_DEP_1)
	v_max3_f32 v75, v75, v72, v73
	s_waitcnt lgkmcnt(1)
	v_max3_f32 v75, v75, v93, v94
	s_waitcnt lgkmcnt(0)
	s_delay_alu instid0(VALU_DEP_1) | instskip(NEXT) | instid1(VALU_DEP_1)
	v_max3_f32 v75, v75, v95, v96
	v_sub_f32_e32 v93, v93, v75
	ds_load_2addr_b32 v[97:98], v74 offset0:136 offset1:153
	v_sub_f32_e32 v70, v70, v75
	v_dual_sub_f32 v100, v73, v75 :: v_dual_mul_f32 v103, 0x3fb8aa3b, v93
	s_delay_alu instid0(VALU_DEP_2) | instskip(SKIP_3) | instid1(VALU_DEP_1)
	v_dual_sub_f32 v76, v71, v75 :: v_dual_mul_f32 v99, 0x3fb8aa3b, v70
	ds_load_2addr_b32 v[70:71], v74 offset0:170 offset1:187
	v_mul_f32_e32 v76, 0x3fb8aa3b, v76
	v_exp_f32_e32 v99, v99
	v_exp_f32_e32 v102, v76
	v_mul_f32_e32 v100, 0x3fb8aa3b, v100
	s_waitcnt lgkmcnt(1)
	s_waitcnt_depctr 0xfff
	v_fma_f32 v76, v99, v97, 0
	v_sub_f32_e32 v97, v94, v75
	v_sub_f32_e32 v72, v72, v75
	v_exp_f32_e32 v100, v100
	ds_load_2addr_b32 v[93:94], v74 offset0:238 offset1:255
	v_dual_fmac_f32 v76, v102, v98 :: v_dual_mul_f32 v101, 0x3fb8aa3b, v72
	ds_load_2addr_b32 v[72:73], v74 offset0:204 offset1:221
	v_dual_sub_f32 v74, v95, v75 :: v_dual_mul_f32 v95, 0x3fb8aa3b, v97
	v_exp_f32_e32 v97, v103
	v_exp_f32_e32 v101, v101
	s_waitcnt lgkmcnt(0)
	s_delay_alu instid0(VALU_DEP_1)
	v_mul_f32_e32 v74, 0x3fb8aa3b, v74
	v_exp_f32_e32 v95, v95
	s_barrier
	buffer_gl0_inv
	v_fmac_f32_e32 v76, v101, v70
	v_sub_f32_e32 v70, v96, v75
	v_exp_f32_e32 v96, v74
	s_delay_alu instid0(VALU_DEP_2) | instskip(NEXT) | instid1(VALU_DEP_2)
	v_fmac_f32_e32 v76, v100, v71
	v_mul_f32_e32 v70, 0x3fb8aa3b, v70
	s_delay_alu instid0(VALU_DEP_2) | instskip(NEXT) | instid1(VALU_DEP_2)
	v_dual_cndmask_b32 v71, v99, v102 :: v_dual_fmac_f32 v76, v97, v72
	v_exp_f32_e32 v98, v70
	v_lshlrev_b32_e32 v72, 6, v69
	s_delay_alu instid0(VALU_DEP_2) | instskip(NEXT) | instid1(VALU_DEP_2)
	v_dual_fmac_f32 v76, v95, v73 :: v_dual_lshlrev_b32 v69, 2, v67
	v_lshl_or_b32 v74, v68, 11, v72
	s_delay_alu instid0(VALU_DEP_2)
	v_cmp_eq_u32_e64 s8, 7, v69
	s_delay_alu instid0(TRANS32_DEP_2) | instid1(VALU_DEP_3)
	v_fmac_f32_e32 v76, v96, v93
	s_waitcnt_depctr 0xfff
	v_fmac_f32_e32 v76, v98, v94
	s_delay_alu instid0(VALU_DEP_1) | instskip(NEXT) | instid1(VALU_DEP_1)
	v_add_f32_e32 v73, 0x358637bd, v76
	v_div_scale_f32 v93, null, v73, v73, 1.0
	v_div_scale_f32 v99, vcc_lo, 1.0, v73, 1.0
	s_delay_alu instid0(VALU_DEP_2) | instskip(SKIP_2) | instid1(VALU_DEP_1)
	v_rcp_f32_e32 v94, v93
	s_waitcnt_depctr 0xfff
	v_fma_f32 v70, -v93, v94, 1.0
	v_fmac_f32_e32 v94, v70, v94
	v_cndmask_b32_e64 v70, v71, v101, s3
	v_cmp_eq_u32_e64 s3, 6, v68
	v_or_b32_e32 v71, 1, v69
	v_or_b32_e32 v68, 2, v69
	v_mul_f32_e32 v101, v99, v94
	v_cndmask_b32_e64 v70, v70, v100, s4
	v_cmp_eq_u32_e64 s4, 1, v69
	v_cmp_eq_u32_e64 s9, 1, v71
	;; [unrolled: 1-line block ×3, first 2 shown]
	v_fma_f32 v100, -v93, v101, v99
	v_cndmask_b32_e64 v70, v70, v97, s5
	v_cmp_eq_u32_e64 s5, 2, v69
	v_cmp_eq_u32_e64 s12, 2, v71
	;; [unrolled: 1-line block ×3, first 2 shown]
	v_fmac_f32_e32 v101, v100, v94
	v_cndmask_b32_e64 v95, v70, v95, s6
	v_or_b32_e32 v70, 3, v69
	v_cmp_eq_u32_e64 s13, 3, v71
	v_cmp_eq_u32_e64 s17, 3, v68
	v_fma_f32 v93, -v93, v101, v99
	v_cndmask_b32_e64 v95, v95, v96, s3
	v_cmp_eq_u32_e64 s11, 1, v70
	v_cmp_eq_u32_e64 s16, 2, v70
	;; [unrolled: 1-line block ×3, first 2 shown]
	v_div_fmas_f32 v93, v93, v94, v101
	v_cndmask_b32_e64 v94, v95, v98, s7
	v_cmp_eq_u32_e32 vcc_lo, 3, v69
	v_cmp_eq_u32_e64 s3, 4, v69
	v_cmp_eq_u32_e64 s19, 4, v71
	v_div_fixup_f32 v93, v93, v73, 1.0
	v_lshl_or_b32 v73, v67, 4, v74
	v_cmp_eq_u32_e64 s22, 4, v70
	v_cmp_eq_u32_e64 s6, 5, v69
	;; [unrolled: 1-line block ×3, first 2 shown]
	v_mul_f32_e32 v101, v94, v93
	v_cmp_eq_u32_e64 s21, 4, v68
	v_cmp_eq_u32_e64 s24, 5, v70
	;; [unrolled: 1-line block ×4, first 2 shown]
	v_fma_mixlo_f16 v93, v101, v78, 0
	v_fma_mixlo_f16 v94, v101, v80, 0
	;; [unrolled: 1-line block ×8, first 2 shown]
	v_fma_mixhi_f16 v93, v101, v77, 0
	v_fma_mixhi_f16 v94, v101, v79, 0
	;; [unrolled: 1-line block ×8, first 2 shown]
	ds_store_b128 v73, v[93:96]
	ds_store_b128 v73, v[97:100] offset:1024
	s_waitcnt lgkmcnt(0)
	s_barrier
	buffer_gl0_inv
	ds_load_b128 v[77:80], v74
	ds_load_b128 v[81:84], v74 offset:16
	ds_load_b128 v[85:88], v74 offset:1024
	ds_load_b128 v[89:92], v74 offset:1040
	v_cmp_eq_u32_e64 s27, 6, v70
	v_cmp_eq_u32_e64 s7, 6, v69
	;; [unrolled: 1-line block ×6, first 2 shown]
	s_waitcnt lgkmcnt(3)
	v_lshrrev_b32_e32 v93, 16, v77
	s_waitcnt lgkmcnt(2)
	v_lshrrev_b32_e32 v97, 16, v81
	;; [unrolled: 2-line block ×4, first 2 shown]
	v_lshrrev_b32_e32 v94, 16, v78
	v_cndmask_b32_e64 v109, v77, v93, s4
	v_cndmask_b32_e64 v110, v81, v97, s4
	v_cndmask_b32_e64 v111, v77, v93, s9
	v_cndmask_b32_e64 v112, v81, v97, s9
	v_cndmask_b32_e64 v113, v77, v93, s10
	v_cndmask_b32_e64 v114, v81, v97, s10
	v_cndmask_b32_e64 v77, v77, v93, s11
	v_cndmask_b32_e64 v81, v81, v97, s11
	v_lshrrev_b32_e32 v98, 16, v82
	v_cndmask_b32_e64 v93, v85, v101, s4
	v_cndmask_b32_e64 v97, v89, v105, s4
	;; [unrolled: 1-line block ×15, first 2 shown]
	v_lshrrev_b32_e32 v102, 16, v86
	v_lshrrev_b32_e32 v106, 16, v90
	v_cndmask_b32_e64 v112, v114, v82, s15
	v_cndmask_b32_e64 v81, v93, v86, s5
	;; [unrolled: 1-line block ×7, first 2 shown]
	v_cndmask_b32_e32 v89, v101, v94, vcc_lo
	v_cndmask_b32_e32 v101, v105, v98, vcc_lo
	v_cndmask_b32_e64 v105, v109, v94, s13
	v_cndmask_b32_e64 v109, v110, v98, s13
	;; [unrolled: 1-line block ×4, first 2 shown]
	v_lshrrev_b32_e32 v95, 16, v79
	v_lshrrev_b32_e32 v99, 16, v83
	v_cndmask_b32_e64 v110, v111, v94, s17
	v_cndmask_b32_e64 v111, v112, v98, s17
	v_cndmask_b32_e32 v81, v81, v102, vcc_lo
	v_cndmask_b32_e32 v82, v82, v106, vcc_lo
	v_cndmask_b32_e64 v93, v93, v102, s13
	v_cndmask_b32_e64 v89, v89, v79, s3
	;; [unrolled: 1-line block ×7, first 2 shown]
	v_lshrrev_b32_e32 v103, 16, v87
	v_cndmask_b32_e64 v105, v110, v79, s21
	v_cndmask_b32_e64 v109, v111, v83, s21
	;; [unrolled: 1-line block ×11, first 2 shown]
	v_lshrrev_b32_e32 v96, 16, v80
	v_lshrrev_b32_e32 v100, 16, v84
	v_cndmask_b32_e64 v98, v105, v95, s23
	v_cndmask_b32_e64 v101, v109, v99, s23
	;; [unrolled: 1-line block ×7, first 2 shown]
	v_lshrrev_b32_e32 v104, 16, v88
	v_cndmask_b32_e64 v79, v79, v103, s6
	v_cndmask_b32_e64 v83, v83, v80, s7
	;; [unrolled: 1-line block ×16, first 2 shown]
	v_perm_b32 v80, v78, v77, 0x5040100
	v_perm_b32 v78, v94, v84, 0x5040100
	v_cndmask_b32_e64 v77, v118, v90, s15
	v_cndmask_b32_e64 v84, v116, v90, s12
	v_cndmask_b32_e64 v95, v79, v104, s8
	v_perm_b32 v79, v93, v89, 0x5040100
	v_cndmask_b32_e64 v89, v97, v102, s17
	v_cndmask_b32_e64 v85, v85, v102, s18
	;; [unrolled: 1-line block ×5, first 2 shown]
	v_lshrrev_b32_e32 v107, 16, v91
	v_cndmask_b32_e64 v89, v89, v87, s21
	v_cndmask_b32_e64 v85, v85, v87, s22
	;; [unrolled: 1-line block ×11, first 2 shown]
	v_lshrrev_b32_e32 v108, 16, v92
	v_cndmask_b32_e64 v81, v81, v92, s7
	v_cndmask_b32_e64 v87, v87, v88, s26
	;; [unrolled: 1-line block ×12, first 2 shown]
	v_perm_b32 v77, v83, v82, 0x5040100
	v_perm_b32 v84, v86, v85, 0x5040100
	;; [unrolled: 1-line block ×5, first 2 shown]
	s_lshl_b32 s8, s33, 2
	s_mov_b32 s3, exec_lo
	ds_store_b128 v73, v[77:80]
	ds_store_b128 v73, v[81:84] offset:1024
	v_cmpx_gt_u32_e32 4, v0
	s_cbranch_execz .LBB849_14
; %bb.13:
	v_or_b32_e32 v77, s31, v0
	s_load_b128 s[4:7], s[0:1], 0x58
	s_delay_alu instid0(VALU_DEP_1) | instskip(NEXT) | instid1(VALU_DEP_1)
	v_mad_u64_u32 v[78:79], null, s8, s34, v[77:78]
	v_mad_u64_u32 v[79:80], null, v78, s35, s[14:15]
	s_delay_alu instid0(VALU_DEP_1) | instskip(NEXT) | instid1(VALU_DEP_1)
	v_ashrrev_i32_e32 v80, 31, v79
	v_lshlrev_b64 v[77:78], 2, v[79:80]
	s_waitcnt lgkmcnt(0)
	s_delay_alu instid0(VALU_DEP_1) | instskip(NEXT) | instid1(VALU_DEP_2)
	v_add_co_u32 v79, vcc_lo, s6, v77
	v_add_co_ci_u32_e32 v80, vcc_lo, s7, v78, vcc_lo
	v_add_co_u32 v77, vcc_lo, s4, v77
	v_add_co_ci_u32_e32 v78, vcc_lo, s5, v78, vcc_lo
	global_store_b32 v[79:80], v75, off
	global_store_b32 v[77:78], v76, off
.LBB849_14:
	s_or_b32 exec_lo, exec_lo, s3
	s_waitcnt lgkmcnt(0)
	s_waitcnt_vscnt null, 0x0
	s_barrier
	buffer_gl0_inv
	ds_load_b128 v[83:86], v72
	ds_load_b128 v[87:90], v72 offset:16
	ds_load_b128 v[95:98], v72 offset:2064
	;; [unrolled: 1-line block ×5, first 2 shown]
	v_cmp_eq_u32_e32 vcc_lo, 1, v69
	v_mov_b32_e32 v75, 0
	ds_load_b128 v[111:114], v72 offset:6160
	ds_load_b128 v[107:110], v72 offset:6144
	;; [unrolled: 1-line block ×4, first 2 shown]
	v_cmp_eq_u32_e64 s4, 1, v68
	v_cmp_eq_u32_e64 s3, 1, v71
	;; [unrolled: 1-line block ×3, first 2 shown]
	v_mov_b32_e32 v76, v75
	v_mov_b32_e32 v77, v75
	;; [unrolled: 1-line block ×7, first 2 shown]
	v_cmp_eq_u32_e64 s6, 3, v71
	v_cmp_eq_u32_e64 s7, 7, v71
	s_waitcnt lgkmcnt(8)
	s_delay_alu instid0(VALU_DEP_3)
	v_wmma_f32_16x16x16_f16 v[75:82], v[49:56], v[83:90], v[75:82]
	ds_load_b128 v[53:56], v72 offset:10256
	ds_load_b128 v[49:52], v72 offset:10240
	s_waitcnt lgkmcnt(8)
	v_wmma_f32_16x16x16_f16 v[75:82], v[41:48], v[91:98], v[75:82]
	ds_load_b128 v[45:48], v72 offset:12304
	ds_load_b128 v[41:44], v72 offset:12288
	s_waitcnt lgkmcnt(8)
	;; [unrolled: 4-line block ×3, first 2 shown]
	s_barrier
	buffer_gl0_inv
	v_wmma_f32_16x16x16_f16 v[75:82], v[1:8], v[107:114], v[75:82]
	s_delay_alu instid0(VALU_DEP_1) | instskip(NEXT) | instid1(VALU_DEP_1)
	v_wmma_f32_16x16x16_f16 v[75:82], v[9:16], v[115:122], v[75:82]
	v_wmma_f32_16x16x16_f16 v[75:82], v[17:24], v[49:56], v[75:82]
	s_delay_alu instid0(VALU_DEP_1) | instskip(NEXT) | instid1(VALU_DEP_1)
	v_wmma_f32_16x16x16_f16 v[75:82], v[25:32], v[41:48], v[75:82]
	v_wmma_f32_16x16x16_f16 v[75:82], v[57:64], v[33:40], v[75:82]
	s_delay_alu instid0(VALU_DEP_1) | instskip(NEXT) | instid1(VALU_DEP_2)
	v_cvt_f16_f32_e32 v1, v75
	v_cvt_f16_f32_e32 v2, v76
	s_delay_alu instid0(VALU_DEP_3) | instskip(NEXT) | instid1(VALU_DEP_4)
	v_cvt_f16_f32_e32 v3, v77
	v_cvt_f16_f32_e32 v4, v78
	;; [unrolled: 1-line block ×6, first 2 shown]
	v_pack_b32_f16 v1, v1, v2
	v_pack_b32_f16 v2, v3, v4
	;; [unrolled: 1-line block ×3, first 2 shown]
	s_delay_alu instid0(VALU_DEP_4)
	v_pack_b32_f16 v4, v7, v8
	ds_store_b128 v73, v[1:4]
	s_waitcnt lgkmcnt(0)
	s_barrier
	buffer_gl0_inv
	ds_load_b128 v[1:4], v74
	ds_load_b128 v[5:8], v74 offset:16
	s_waitcnt lgkmcnt(1)
	v_lshrrev_b32_e32 v9, 16, v1
	s_waitcnt lgkmcnt(0)
	v_lshrrev_b32_e32 v13, 16, v5
	v_lshrrev_b32_e32 v10, 16, v2
	;; [unrolled: 1-line block ×4, first 2 shown]
	v_cndmask_b32_e32 v17, v1, v9, vcc_lo
	v_cndmask_b32_e32 v18, v5, v13, vcc_lo
	v_cndmask_b32_e64 v21, v1, v9, s4
	v_cmp_eq_u32_e32 vcc_lo, 1, v70
	v_cndmask_b32_e64 v22, v5, v13, s4
	v_cmp_eq_u32_e64 s4, 2, v69
	v_cndmask_b32_e64 v19, v1, v9, s3
	v_cndmask_b32_e64 v20, v5, v13, s3
	v_cndmask_b32_e32 v1, v1, v9, vcc_lo
	v_cmp_eq_u32_e64 s3, 2, v70
	v_cndmask_b32_e32 v5, v5, v13, vcc_lo
	v_cndmask_b32_e64 v9, v17, v2, s4
	v_cmp_eq_u32_e32 vcc_lo, 3, v69
	v_cndmask_b32_e64 v13, v18, v6, s4
	v_cmp_eq_u32_e64 s4, 2, v68
	v_cndmask_b32_e64 v17, v19, v2, s5
	v_cndmask_b32_e64 v18, v20, v6, s5
	v_cmp_eq_u32_e64 s5, 3, v68
	v_cndmask_b32_e64 v1, v1, v2, s3
	v_cndmask_b32_e64 v19, v21, v2, s4
	v_cndmask_b32_e64 v20, v22, v6, s4
	v_cndmask_b32_e64 v2, v5, v6, s3
	v_cndmask_b32_e32 v5, v9, v10, vcc_lo
	v_cndmask_b32_e32 v6, v13, v14, vcc_lo
	v_cmp_eq_u32_e32 vcc_lo, 3, v70
	v_cndmask_b32_e64 v9, v17, v10, s6
	v_cndmask_b32_e64 v13, v18, v14, s6
	;; [unrolled: 1-line block ×3, first 2 shown]
	v_cmp_eq_u32_e64 s4, 4, v69
	v_cndmask_b32_e32 v1, v1, v10, vcc_lo
	v_cndmask_b32_e32 v2, v2, v14, vcc_lo
	v_cmp_eq_u32_e32 vcc_lo, 4, v71
	v_lshrrev_b32_e32 v15, 16, v7
	v_lshrrev_b32_e32 v16, 16, v8
	v_cndmask_b32_e64 v17, v19, v10, s5
	v_cmp_eq_u32_e64 s3, 4, v70
	v_cndmask_b32_e64 v5, v5, v3, s4
	v_cndmask_b32_e64 v6, v6, v7, s4
	v_cndmask_b32_e32 v9, v9, v3, vcc_lo
	v_cmp_eq_u32_e64 s4, 5, v71
	v_cndmask_b32_e32 v10, v13, v7, vcc_lo
	v_cmp_eq_u32_e32 vcc_lo, 4, v68
	v_cmp_eq_u32_e64 s5, 5, v69
	v_cndmask_b32_e64 v2, v2, v7, s3
	v_cndmask_b32_e64 v9, v9, v11, s4
	;; [unrolled: 1-line block ×3, first 2 shown]
	v_cndmask_b32_e32 v13, v17, v3, vcc_lo
	v_cmp_eq_u32_e64 s4, 5, v68
	v_cndmask_b32_e32 v14, v18, v7, vcc_lo
	v_cndmask_b32_e64 v1, v1, v3, s3
	v_cmp_eq_u32_e32 vcc_lo, 5, v70
	v_lshrrev_b32_e32 v12, 16, v4
	v_cndmask_b32_e64 v13, v13, v11, s4
	v_cndmask_b32_e64 v3, v14, v15, s4
	v_cmp_eq_u32_e64 s4, 6, v70
	v_cndmask_b32_e32 v1, v1, v11, vcc_lo
	v_cndmask_b32_e64 v5, v5, v11, s5
	v_cmp_eq_u32_e64 s6, 6, v69
	v_cndmask_b32_e64 v6, v6, v15, s5
	v_cmp_eq_u32_e64 s5, 6, v71
	v_cmp_eq_u32_e64 s3, 6, v68
	v_cndmask_b32_e64 v1, v1, v4, s4
	v_cndmask_b32_e32 v2, v2, v15, vcc_lo
	v_cmp_eq_u32_e32 vcc_lo, 7, v70
	v_cndmask_b32_e64 v5, v5, v4, s6
	v_cndmask_b32_e64 v9, v9, v4, s5
	v_cndmask_b32_e64 v6, v6, v8, s6
	v_cmp_eq_u32_e64 s6, 7, v69
	v_cndmask_b32_e32 v1, v1, v12, vcc_lo
	v_cndmask_b32_e64 v7, v13, v4, s3
	v_cndmask_b32_e64 v3, v3, v8, s3
	;; [unrolled: 1-line block ×3, first 2 shown]
	v_cmp_eq_u32_e64 s3, 7, v68
	v_cndmask_b32_e64 v4, v10, v8, s5
	v_cndmask_b32_e64 v5, v5, v12, s6
	;; [unrolled: 1-line block ×3, first 2 shown]
	v_cndmask_b32_e32 v2, v2, v16, vcc_lo
	v_cndmask_b32_e64 v7, v7, v12, s3
	v_cndmask_b32_e64 v3, v3, v16, s3
	;; [unrolled: 1-line block ×4, first 2 shown]
	v_cmp_gt_u32_e32 vcc_lo, 32, v0
	v_perm_b32 v4, v2, v1, 0x5040100
	v_perm_b32 v3, v3, v7, 0x5040100
	;; [unrolled: 1-line block ×4, first 2 shown]
	s_and_b32 s2, vcc_lo, s2
	ds_store_b128 v73, v[1:4]
	s_waitcnt lgkmcnt(0)
	s_barrier
	buffer_gl0_inv
	s_and_saveexec_b32 s3, s2
	s_cbranch_execz .LBB849_2
; %bb.15:
	s_load_b64 s[0:1], s[0:1], 0x68
	v_lshlrev_b32_e32 v0, 10, v0
	v_or_b32_e32 v1, s31, v67
	s_lshl_b32 s4, s35, 6
	v_lshlrev_b32_e32 v2, 4, v66
	s_mul_i32 s2, s4, s34
	v_lshlrev_b32_e32 v3, 6, v67
	v_mul_lo_u32 v8, v1, s4
	v_and_b32_e32 v0, 0x3800, v0
	v_or_b32_e32 v1, 2, v1
	s_mul_i32 s2, s2, s8
	s_delay_alu instid0(SALU_CYCLE_1) | instskip(NEXT) | instid1(VALU_DEP_2)
	s_ashr_i32 s3, s2, 31
	v_or3_b32 v4, v0, v2, v3
	s_lshl_b64 s[2:3], s[2:3], 1
	v_mul_lo_u32 v10, v1, s4
	v_ashrrev_i32_e32 v9, 31, v8
	ds_load_b128 v[0:3], v4
	ds_load_b128 v[4:7], v4 offset:128
	s_waitcnt lgkmcnt(0)
	s_add_u32 s2, s0, s2
	s_addc_u32 s3, s1, s3
	s_lshl_b32 s0, s14, 6
	v_ashrrev_i32_e32 v11, 31, v10
	s_ashr_i32 s1, s0, 31
	v_lshlrev_b64 v[8:9], 1, v[8:9]
	s_lshl_b64 s[0:1], s[0:1], 1
	s_delay_alu instid0(SALU_CYCLE_1) | instskip(SKIP_2) | instid1(VALU_DEP_1)
	s_add_u32 s0, s2, s0
	s_addc_u32 s1, s3, s1
	v_add_co_u32 v12, s0, s0, v65
	v_add_co_ci_u32_e64 v13, null, s1, 0, s0
	v_lshlrev_b64 v[10:11], 1, v[10:11]
	s_delay_alu instid0(VALU_DEP_3) | instskip(NEXT) | instid1(VALU_DEP_3)
	v_add_co_u32 v8, vcc_lo, v12, v8
	v_add_co_ci_u32_e32 v9, vcc_lo, v13, v9, vcc_lo
	s_delay_alu instid0(VALU_DEP_3) | instskip(NEXT) | instid1(VALU_DEP_4)
	v_add_co_u32 v10, vcc_lo, v12, v10
	v_add_co_ci_u32_e32 v11, vcc_lo, v13, v11, vcc_lo
	s_clause 0x1
	global_store_b128 v[8:9], v[0:3], off
	global_store_b128 v[10:11], v[4:7], off
	s_nop 0
	s_sendmsg sendmsg(MSG_DEALLOC_VGPRS)
	s_endpgm
	.section	.rodata,"a",@progbits
	.p2align	6, 0x0
	.amdhsa_kernel _Z39paged_attention_ll4mi_QKV_mfma16_kernelIDF16_hLN4vllm18Fp8KVCacheDataTypeE1EDF16_Li16ELi64ELi256ELb0ELi4EL8MFMAType1EEvPKT_PKT0_S8_ifPKiSA_SA_iPKfiiiPfSD_PS3_PT2_iSC_SC_
		.amdhsa_group_segment_fixed_size 17472
		.amdhsa_private_segment_fixed_size 0
		.amdhsa_kernarg_size 400
		.amdhsa_user_sgpr_count 13
		.amdhsa_user_sgpr_dispatch_ptr 0
		.amdhsa_user_sgpr_queue_ptr 0
		.amdhsa_user_sgpr_kernarg_segment_ptr 1
		.amdhsa_user_sgpr_dispatch_id 0
		.amdhsa_user_sgpr_private_segment_size 0
		.amdhsa_wavefront_size32 1
		.amdhsa_uses_dynamic_stack 0
		.amdhsa_enable_private_segment 0
		.amdhsa_system_sgpr_workgroup_id_x 1
		.amdhsa_system_sgpr_workgroup_id_y 1
		.amdhsa_system_sgpr_workgroup_id_z 1
		.amdhsa_system_sgpr_workgroup_info 0
		.amdhsa_system_vgpr_workitem_id 0
		.amdhsa_next_free_vgpr 123
		.amdhsa_next_free_sgpr 40
		.amdhsa_reserve_vcc 1
		.amdhsa_float_round_mode_32 0
		.amdhsa_float_round_mode_16_64 0
		.amdhsa_float_denorm_mode_32 3
		.amdhsa_float_denorm_mode_16_64 3
		.amdhsa_dx10_clamp 1
		.amdhsa_ieee_mode 1
		.amdhsa_fp16_overflow 0
		.amdhsa_workgroup_processor_mode 1
		.amdhsa_memory_ordered 1
		.amdhsa_forward_progress 0
		.amdhsa_shared_vgpr_count 0
		.amdhsa_exception_fp_ieee_invalid_op 0
		.amdhsa_exception_fp_denorm_src 0
		.amdhsa_exception_fp_ieee_div_zero 0
		.amdhsa_exception_fp_ieee_overflow 0
		.amdhsa_exception_fp_ieee_underflow 0
		.amdhsa_exception_fp_ieee_inexact 0
		.amdhsa_exception_int_div_zero 0
	.end_amdhsa_kernel
	.section	.text._Z39paged_attention_ll4mi_QKV_mfma16_kernelIDF16_hLN4vllm18Fp8KVCacheDataTypeE1EDF16_Li16ELi64ELi256ELb0ELi4EL8MFMAType1EEvPKT_PKT0_S8_ifPKiSA_SA_iPKfiiiPfSD_PS3_PT2_iSC_SC_,"axG",@progbits,_Z39paged_attention_ll4mi_QKV_mfma16_kernelIDF16_hLN4vllm18Fp8KVCacheDataTypeE1EDF16_Li16ELi64ELi256ELb0ELi4EL8MFMAType1EEvPKT_PKT0_S8_ifPKiSA_SA_iPKfiiiPfSD_PS3_PT2_iSC_SC_,comdat
.Lfunc_end849:
	.size	_Z39paged_attention_ll4mi_QKV_mfma16_kernelIDF16_hLN4vllm18Fp8KVCacheDataTypeE1EDF16_Li16ELi64ELi256ELb0ELi4EL8MFMAType1EEvPKT_PKT0_S8_ifPKiSA_SA_iPKfiiiPfSD_PS3_PT2_iSC_SC_, .Lfunc_end849-_Z39paged_attention_ll4mi_QKV_mfma16_kernelIDF16_hLN4vllm18Fp8KVCacheDataTypeE1EDF16_Li16ELi64ELi256ELb0ELi4EL8MFMAType1EEvPKT_PKT0_S8_ifPKiSA_SA_iPKfiiiPfSD_PS3_PT2_iSC_SC_
                                        ; -- End function
	.section	.AMDGPU.csdata,"",@progbits
; Kernel info:
; codeLenInByte = 6372
; NumSgprs: 42
; NumVgprs: 123
; ScratchSize: 0
; MemoryBound: 0
; FloatMode: 240
; IeeeMode: 1
; LDSByteSize: 17472 bytes/workgroup (compile time only)
; SGPRBlocks: 5
; VGPRBlocks: 15
; NumSGPRsForWavesPerEU: 42
; NumVGPRsForWavesPerEU: 123
; Occupancy: 10
; WaveLimiterHint : 1
; COMPUTE_PGM_RSRC2:SCRATCH_EN: 0
; COMPUTE_PGM_RSRC2:USER_SGPR: 13
; COMPUTE_PGM_RSRC2:TRAP_HANDLER: 0
; COMPUTE_PGM_RSRC2:TGID_X_EN: 1
; COMPUTE_PGM_RSRC2:TGID_Y_EN: 1
; COMPUTE_PGM_RSRC2:TGID_Z_EN: 1
; COMPUTE_PGM_RSRC2:TIDIG_COMP_CNT: 0
	.section	.text._Z38paged_attention_ll4mi_QKV_mfma4_kernelIDF16_hLN4vllm18Fp8KVCacheDataTypeE1EhLi32ELi64ELi256ELb1ELi1EEvPKT_PKT0_S7_ifPKiS9_S9_iPKfiiiPfSC_PS2_PT2_iSB_SB_,"axG",@progbits,_Z38paged_attention_ll4mi_QKV_mfma4_kernelIDF16_hLN4vllm18Fp8KVCacheDataTypeE1EhLi32ELi64ELi256ELb1ELi1EEvPKT_PKT0_S7_ifPKiS9_S9_iPKfiiiPfSC_PS2_PT2_iSB_SB_,comdat
	.protected	_Z38paged_attention_ll4mi_QKV_mfma4_kernelIDF16_hLN4vllm18Fp8KVCacheDataTypeE1EhLi32ELi64ELi256ELb1ELi1EEvPKT_PKT0_S7_ifPKiS9_S9_iPKfiiiPfSC_PS2_PT2_iSB_SB_ ; -- Begin function _Z38paged_attention_ll4mi_QKV_mfma4_kernelIDF16_hLN4vllm18Fp8KVCacheDataTypeE1EhLi32ELi64ELi256ELb1ELi1EEvPKT_PKT0_S7_ifPKiS9_S9_iPKfiiiPfSC_PS2_PT2_iSB_SB_
	.globl	_Z38paged_attention_ll4mi_QKV_mfma4_kernelIDF16_hLN4vllm18Fp8KVCacheDataTypeE1EhLi32ELi64ELi256ELb1ELi1EEvPKT_PKT0_S7_ifPKiS9_S9_iPKfiiiPfSC_PS2_PT2_iSB_SB_
	.p2align	8
	.type	_Z38paged_attention_ll4mi_QKV_mfma4_kernelIDF16_hLN4vllm18Fp8KVCacheDataTypeE1EhLi32ELi64ELi256ELb1ELi1EEvPKT_PKT0_S7_ifPKiS9_S9_iPKfiiiPfSC_PS2_PT2_iSB_SB_,@function
_Z38paged_attention_ll4mi_QKV_mfma4_kernelIDF16_hLN4vllm18Fp8KVCacheDataTypeE1EhLi32ELi64ELi256ELb1ELi1EEvPKT_PKT0_S7_ifPKiS9_S9_iPKfiiiPfSC_PS2_PT2_iSB_SB_: ; @_Z38paged_attention_ll4mi_QKV_mfma4_kernelIDF16_hLN4vllm18Fp8KVCacheDataTypeE1EhLi32ELi64ELi256ELb1ELi1EEvPKT_PKT0_S7_ifPKiS9_S9_iPKfiiiPfSC_PS2_PT2_iSB_SB_
; %bb.0:
	s_add_u32 s8, s0, 0x90
	s_addc_u32 s9, s1, 0
	s_getpc_b64 s[0:1]
	s_add_u32 s0, s0, __PRETTY_FUNCTION__._Z38paged_attention_ll4mi_QKV_mfma4_kernelIDF16_hLN4vllm18Fp8KVCacheDataTypeE1EhLi32ELi64ELi256ELb1ELi1EEvPKT_PKT0_S7_ifPKiS9_S9_iPKfiiiPfSC_PS2_PT2_iSB_SB_@rel32@lo+4
	s_addc_u32 s1, s1, __PRETTY_FUNCTION__._Z38paged_attention_ll4mi_QKV_mfma4_kernelIDF16_hLN4vllm18Fp8KVCacheDataTypeE1EhLi32ELi64ELi256ELb1ELi1EEvPKT_PKT0_S7_ifPKiS9_S9_iPKfiiiPfSC_PS2_PT2_iSB_SB_@rel32@hi+12
	s_delay_alu instid0(SALU_CYCLE_1) | instskip(SKIP_4) | instid1(SALU_CYCLE_1)
	v_dual_mov_b32 v0, s0 :: v_dual_mov_b32 v1, s1
	s_mov_b32 s32, 0
	s_getpc_b64 s[2:3]
	s_add_u32 s2, s2, __assert_fail@rel32@lo+4
	s_addc_u32 s3, s3, __assert_fail@rel32@hi+12
	s_swappc_b64 s[30:31], s[2:3]
	.section	.rodata,"a",@progbits
	.p2align	6, 0x0
	.amdhsa_kernel _Z38paged_attention_ll4mi_QKV_mfma4_kernelIDF16_hLN4vllm18Fp8KVCacheDataTypeE1EhLi32ELi64ELi256ELb1ELi1EEvPKT_PKT0_S7_ifPKiS9_S9_iPKfiiiPfSC_PS2_PT2_iSB_SB_
		.amdhsa_group_segment_fixed_size 0
		.amdhsa_private_segment_fixed_size 64
		.amdhsa_kernarg_size 400
		.amdhsa_user_sgpr_count 15
		.amdhsa_user_sgpr_dispatch_ptr 0
		.amdhsa_user_sgpr_queue_ptr 0
		.amdhsa_user_sgpr_kernarg_segment_ptr 1
		.amdhsa_user_sgpr_dispatch_id 0
		.amdhsa_user_sgpr_private_segment_size 0
		.amdhsa_wavefront_size32 1
		.amdhsa_uses_dynamic_stack 0
		.amdhsa_enable_private_segment 1
		.amdhsa_system_sgpr_workgroup_id_x 1
		.amdhsa_system_sgpr_workgroup_id_y 0
		.amdhsa_system_sgpr_workgroup_id_z 0
		.amdhsa_system_sgpr_workgroup_info 0
		.amdhsa_system_vgpr_workitem_id 0
		.amdhsa_next_free_vgpr 41
		.amdhsa_next_free_sgpr 34
		.amdhsa_reserve_vcc 1
		.amdhsa_float_round_mode_32 0
		.amdhsa_float_round_mode_16_64 0
		.amdhsa_float_denorm_mode_32 3
		.amdhsa_float_denorm_mode_16_64 3
		.amdhsa_dx10_clamp 1
		.amdhsa_ieee_mode 1
		.amdhsa_fp16_overflow 0
		.amdhsa_workgroup_processor_mode 1
		.amdhsa_memory_ordered 1
		.amdhsa_forward_progress 0
		.amdhsa_shared_vgpr_count 0
		.amdhsa_exception_fp_ieee_invalid_op 0
		.amdhsa_exception_fp_denorm_src 0
		.amdhsa_exception_fp_ieee_div_zero 0
		.amdhsa_exception_fp_ieee_overflow 0
		.amdhsa_exception_fp_ieee_underflow 0
		.amdhsa_exception_fp_ieee_inexact 0
		.amdhsa_exception_int_div_zero 0
	.end_amdhsa_kernel
	.section	.text._Z38paged_attention_ll4mi_QKV_mfma4_kernelIDF16_hLN4vllm18Fp8KVCacheDataTypeE1EhLi32ELi64ELi256ELb1ELi1EEvPKT_PKT0_S7_ifPKiS9_S9_iPKfiiiPfSC_PS2_PT2_iSB_SB_,"axG",@progbits,_Z38paged_attention_ll4mi_QKV_mfma4_kernelIDF16_hLN4vllm18Fp8KVCacheDataTypeE1EhLi32ELi64ELi256ELb1ELi1EEvPKT_PKT0_S7_ifPKiS9_S9_iPKfiiiPfSC_PS2_PT2_iSB_SB_,comdat
.Lfunc_end850:
	.size	_Z38paged_attention_ll4mi_QKV_mfma4_kernelIDF16_hLN4vllm18Fp8KVCacheDataTypeE1EhLi32ELi64ELi256ELb1ELi1EEvPKT_PKT0_S7_ifPKiS9_S9_iPKfiiiPfSC_PS2_PT2_iSB_SB_, .Lfunc_end850-_Z38paged_attention_ll4mi_QKV_mfma4_kernelIDF16_hLN4vllm18Fp8KVCacheDataTypeE1EhLi32ELi64ELi256ELb1ELi1EEvPKT_PKT0_S7_ifPKiS9_S9_iPKfiiiPfSC_PS2_PT2_iSB_SB_
                                        ; -- End function
	.section	.AMDGPU.csdata,"",@progbits
; Kernel info:
; codeLenInByte = 72
; NumSgprs: 36
; NumVgprs: 41
; ScratchSize: 64
; MemoryBound: 0
; FloatMode: 240
; IeeeMode: 1
; LDSByteSize: 0 bytes/workgroup (compile time only)
; SGPRBlocks: 4
; VGPRBlocks: 5
; NumSGPRsForWavesPerEU: 36
; NumVGPRsForWavesPerEU: 41
; Occupancy: 16
; WaveLimiterHint : 1
; COMPUTE_PGM_RSRC2:SCRATCH_EN: 1
; COMPUTE_PGM_RSRC2:USER_SGPR: 15
; COMPUTE_PGM_RSRC2:TRAP_HANDLER: 0
; COMPUTE_PGM_RSRC2:TGID_X_EN: 1
; COMPUTE_PGM_RSRC2:TGID_Y_EN: 0
; COMPUTE_PGM_RSRC2:TGID_Z_EN: 0
; COMPUTE_PGM_RSRC2:TIDIG_COMP_CNT: 0
	.section	.text._Z38paged_attention_ll4mi_QKV_mfma4_kernelIDF16_hLN4vllm18Fp8KVCacheDataTypeE1EhLi32ELi64ELi256ELb1ELi2EEvPKT_PKT0_S7_ifPKiS9_S9_iPKfiiiPfSC_PS2_PT2_iSB_SB_,"axG",@progbits,_Z38paged_attention_ll4mi_QKV_mfma4_kernelIDF16_hLN4vllm18Fp8KVCacheDataTypeE1EhLi32ELi64ELi256ELb1ELi2EEvPKT_PKT0_S7_ifPKiS9_S9_iPKfiiiPfSC_PS2_PT2_iSB_SB_,comdat
	.protected	_Z38paged_attention_ll4mi_QKV_mfma4_kernelIDF16_hLN4vllm18Fp8KVCacheDataTypeE1EhLi32ELi64ELi256ELb1ELi2EEvPKT_PKT0_S7_ifPKiS9_S9_iPKfiiiPfSC_PS2_PT2_iSB_SB_ ; -- Begin function _Z38paged_attention_ll4mi_QKV_mfma4_kernelIDF16_hLN4vllm18Fp8KVCacheDataTypeE1EhLi32ELi64ELi256ELb1ELi2EEvPKT_PKT0_S7_ifPKiS9_S9_iPKfiiiPfSC_PS2_PT2_iSB_SB_
	.globl	_Z38paged_attention_ll4mi_QKV_mfma4_kernelIDF16_hLN4vllm18Fp8KVCacheDataTypeE1EhLi32ELi64ELi256ELb1ELi2EEvPKT_PKT0_S7_ifPKiS9_S9_iPKfiiiPfSC_PS2_PT2_iSB_SB_
	.p2align	8
	.type	_Z38paged_attention_ll4mi_QKV_mfma4_kernelIDF16_hLN4vllm18Fp8KVCacheDataTypeE1EhLi32ELi64ELi256ELb1ELi2EEvPKT_PKT0_S7_ifPKiS9_S9_iPKfiiiPfSC_PS2_PT2_iSB_SB_,@function
_Z38paged_attention_ll4mi_QKV_mfma4_kernelIDF16_hLN4vllm18Fp8KVCacheDataTypeE1EhLi32ELi64ELi256ELb1ELi2EEvPKT_PKT0_S7_ifPKiS9_S9_iPKfiiiPfSC_PS2_PT2_iSB_SB_: ; @_Z38paged_attention_ll4mi_QKV_mfma4_kernelIDF16_hLN4vllm18Fp8KVCacheDataTypeE1EhLi32ELi64ELi256ELb1ELi2EEvPKT_PKT0_S7_ifPKiS9_S9_iPKfiiiPfSC_PS2_PT2_iSB_SB_
; %bb.0:
	s_add_u32 s8, s0, 0x90
	s_addc_u32 s9, s1, 0
	s_getpc_b64 s[0:1]
	s_add_u32 s0, s0, __PRETTY_FUNCTION__._Z38paged_attention_ll4mi_QKV_mfma4_kernelIDF16_hLN4vllm18Fp8KVCacheDataTypeE1EhLi32ELi64ELi256ELb1ELi2EEvPKT_PKT0_S7_ifPKiS9_S9_iPKfiiiPfSC_PS2_PT2_iSB_SB_@rel32@lo+4
	s_addc_u32 s1, s1, __PRETTY_FUNCTION__._Z38paged_attention_ll4mi_QKV_mfma4_kernelIDF16_hLN4vllm18Fp8KVCacheDataTypeE1EhLi32ELi64ELi256ELb1ELi2EEvPKT_PKT0_S7_ifPKiS9_S9_iPKfiiiPfSC_PS2_PT2_iSB_SB_@rel32@hi+12
	s_delay_alu instid0(SALU_CYCLE_1) | instskip(SKIP_4) | instid1(SALU_CYCLE_1)
	v_dual_mov_b32 v0, s0 :: v_dual_mov_b32 v1, s1
	s_mov_b32 s32, 0
	s_getpc_b64 s[2:3]
	s_add_u32 s2, s2, __assert_fail@rel32@lo+4
	s_addc_u32 s3, s3, __assert_fail@rel32@hi+12
	s_swappc_b64 s[30:31], s[2:3]
	.section	.rodata,"a",@progbits
	.p2align	6, 0x0
	.amdhsa_kernel _Z38paged_attention_ll4mi_QKV_mfma4_kernelIDF16_hLN4vllm18Fp8KVCacheDataTypeE1EhLi32ELi64ELi256ELb1ELi2EEvPKT_PKT0_S7_ifPKiS9_S9_iPKfiiiPfSC_PS2_PT2_iSB_SB_
		.amdhsa_group_segment_fixed_size 0
		.amdhsa_private_segment_fixed_size 64
		.amdhsa_kernarg_size 400
		.amdhsa_user_sgpr_count 15
		.amdhsa_user_sgpr_dispatch_ptr 0
		.amdhsa_user_sgpr_queue_ptr 0
		.amdhsa_user_sgpr_kernarg_segment_ptr 1
		.amdhsa_user_sgpr_dispatch_id 0
		.amdhsa_user_sgpr_private_segment_size 0
		.amdhsa_wavefront_size32 1
		.amdhsa_uses_dynamic_stack 0
		.amdhsa_enable_private_segment 1
		.amdhsa_system_sgpr_workgroup_id_x 1
		.amdhsa_system_sgpr_workgroup_id_y 0
		.amdhsa_system_sgpr_workgroup_id_z 0
		.amdhsa_system_sgpr_workgroup_info 0
		.amdhsa_system_vgpr_workitem_id 0
		.amdhsa_next_free_vgpr 41
		.amdhsa_next_free_sgpr 34
		.amdhsa_reserve_vcc 1
		.amdhsa_float_round_mode_32 0
		.amdhsa_float_round_mode_16_64 0
		.amdhsa_float_denorm_mode_32 3
		.amdhsa_float_denorm_mode_16_64 3
		.amdhsa_dx10_clamp 1
		.amdhsa_ieee_mode 1
		.amdhsa_fp16_overflow 0
		.amdhsa_workgroup_processor_mode 1
		.amdhsa_memory_ordered 1
		.amdhsa_forward_progress 0
		.amdhsa_shared_vgpr_count 0
		.amdhsa_exception_fp_ieee_invalid_op 0
		.amdhsa_exception_fp_denorm_src 0
		.amdhsa_exception_fp_ieee_div_zero 0
		.amdhsa_exception_fp_ieee_overflow 0
		.amdhsa_exception_fp_ieee_underflow 0
		.amdhsa_exception_fp_ieee_inexact 0
		.amdhsa_exception_int_div_zero 0
	.end_amdhsa_kernel
	.section	.text._Z38paged_attention_ll4mi_QKV_mfma4_kernelIDF16_hLN4vllm18Fp8KVCacheDataTypeE1EhLi32ELi64ELi256ELb1ELi2EEvPKT_PKT0_S7_ifPKiS9_S9_iPKfiiiPfSC_PS2_PT2_iSB_SB_,"axG",@progbits,_Z38paged_attention_ll4mi_QKV_mfma4_kernelIDF16_hLN4vllm18Fp8KVCacheDataTypeE1EhLi32ELi64ELi256ELb1ELi2EEvPKT_PKT0_S7_ifPKiS9_S9_iPKfiiiPfSC_PS2_PT2_iSB_SB_,comdat
.Lfunc_end851:
	.size	_Z38paged_attention_ll4mi_QKV_mfma4_kernelIDF16_hLN4vllm18Fp8KVCacheDataTypeE1EhLi32ELi64ELi256ELb1ELi2EEvPKT_PKT0_S7_ifPKiS9_S9_iPKfiiiPfSC_PS2_PT2_iSB_SB_, .Lfunc_end851-_Z38paged_attention_ll4mi_QKV_mfma4_kernelIDF16_hLN4vllm18Fp8KVCacheDataTypeE1EhLi32ELi64ELi256ELb1ELi2EEvPKT_PKT0_S7_ifPKiS9_S9_iPKfiiiPfSC_PS2_PT2_iSB_SB_
                                        ; -- End function
	.section	.AMDGPU.csdata,"",@progbits
; Kernel info:
; codeLenInByte = 72
; NumSgprs: 36
; NumVgprs: 41
; ScratchSize: 64
; MemoryBound: 0
; FloatMode: 240
; IeeeMode: 1
; LDSByteSize: 0 bytes/workgroup (compile time only)
; SGPRBlocks: 4
; VGPRBlocks: 5
; NumSGPRsForWavesPerEU: 36
; NumVGPRsForWavesPerEU: 41
; Occupancy: 16
; WaveLimiterHint : 1
; COMPUTE_PGM_RSRC2:SCRATCH_EN: 1
; COMPUTE_PGM_RSRC2:USER_SGPR: 15
; COMPUTE_PGM_RSRC2:TRAP_HANDLER: 0
; COMPUTE_PGM_RSRC2:TGID_X_EN: 1
; COMPUTE_PGM_RSRC2:TGID_Y_EN: 0
; COMPUTE_PGM_RSRC2:TGID_Z_EN: 0
; COMPUTE_PGM_RSRC2:TIDIG_COMP_CNT: 0
	.section	.text._Z38paged_attention_ll4mi_QKV_mfma4_kernelIDF16_hLN4vllm18Fp8KVCacheDataTypeE1EhLi32ELi64ELi256ELb1ELi3EEvPKT_PKT0_S7_ifPKiS9_S9_iPKfiiiPfSC_PS2_PT2_iSB_SB_,"axG",@progbits,_Z38paged_attention_ll4mi_QKV_mfma4_kernelIDF16_hLN4vllm18Fp8KVCacheDataTypeE1EhLi32ELi64ELi256ELb1ELi3EEvPKT_PKT0_S7_ifPKiS9_S9_iPKfiiiPfSC_PS2_PT2_iSB_SB_,comdat
	.protected	_Z38paged_attention_ll4mi_QKV_mfma4_kernelIDF16_hLN4vllm18Fp8KVCacheDataTypeE1EhLi32ELi64ELi256ELb1ELi3EEvPKT_PKT0_S7_ifPKiS9_S9_iPKfiiiPfSC_PS2_PT2_iSB_SB_ ; -- Begin function _Z38paged_attention_ll4mi_QKV_mfma4_kernelIDF16_hLN4vllm18Fp8KVCacheDataTypeE1EhLi32ELi64ELi256ELb1ELi3EEvPKT_PKT0_S7_ifPKiS9_S9_iPKfiiiPfSC_PS2_PT2_iSB_SB_
	.globl	_Z38paged_attention_ll4mi_QKV_mfma4_kernelIDF16_hLN4vllm18Fp8KVCacheDataTypeE1EhLi32ELi64ELi256ELb1ELi3EEvPKT_PKT0_S7_ifPKiS9_S9_iPKfiiiPfSC_PS2_PT2_iSB_SB_
	.p2align	8
	.type	_Z38paged_attention_ll4mi_QKV_mfma4_kernelIDF16_hLN4vllm18Fp8KVCacheDataTypeE1EhLi32ELi64ELi256ELb1ELi3EEvPKT_PKT0_S7_ifPKiS9_S9_iPKfiiiPfSC_PS2_PT2_iSB_SB_,@function
_Z38paged_attention_ll4mi_QKV_mfma4_kernelIDF16_hLN4vllm18Fp8KVCacheDataTypeE1EhLi32ELi64ELi256ELb1ELi3EEvPKT_PKT0_S7_ifPKiS9_S9_iPKfiiiPfSC_PS2_PT2_iSB_SB_: ; @_Z38paged_attention_ll4mi_QKV_mfma4_kernelIDF16_hLN4vllm18Fp8KVCacheDataTypeE1EhLi32ELi64ELi256ELb1ELi3EEvPKT_PKT0_S7_ifPKiS9_S9_iPKfiiiPfSC_PS2_PT2_iSB_SB_
; %bb.0:
	s_add_u32 s8, s0, 0x90
	s_addc_u32 s9, s1, 0
	s_getpc_b64 s[0:1]
	s_add_u32 s0, s0, __PRETTY_FUNCTION__._Z38paged_attention_ll4mi_QKV_mfma4_kernelIDF16_hLN4vllm18Fp8KVCacheDataTypeE1EhLi32ELi64ELi256ELb1ELi3EEvPKT_PKT0_S7_ifPKiS9_S9_iPKfiiiPfSC_PS2_PT2_iSB_SB_@rel32@lo+4
	s_addc_u32 s1, s1, __PRETTY_FUNCTION__._Z38paged_attention_ll4mi_QKV_mfma4_kernelIDF16_hLN4vllm18Fp8KVCacheDataTypeE1EhLi32ELi64ELi256ELb1ELi3EEvPKT_PKT0_S7_ifPKiS9_S9_iPKfiiiPfSC_PS2_PT2_iSB_SB_@rel32@hi+12
	s_delay_alu instid0(SALU_CYCLE_1) | instskip(SKIP_4) | instid1(SALU_CYCLE_1)
	v_dual_mov_b32 v0, s0 :: v_dual_mov_b32 v1, s1
	s_mov_b32 s32, 0
	s_getpc_b64 s[2:3]
	s_add_u32 s2, s2, __assert_fail@rel32@lo+4
	s_addc_u32 s3, s3, __assert_fail@rel32@hi+12
	s_swappc_b64 s[30:31], s[2:3]
	.section	.rodata,"a",@progbits
	.p2align	6, 0x0
	.amdhsa_kernel _Z38paged_attention_ll4mi_QKV_mfma4_kernelIDF16_hLN4vllm18Fp8KVCacheDataTypeE1EhLi32ELi64ELi256ELb1ELi3EEvPKT_PKT0_S7_ifPKiS9_S9_iPKfiiiPfSC_PS2_PT2_iSB_SB_
		.amdhsa_group_segment_fixed_size 0
		.amdhsa_private_segment_fixed_size 64
		.amdhsa_kernarg_size 400
		.amdhsa_user_sgpr_count 15
		.amdhsa_user_sgpr_dispatch_ptr 0
		.amdhsa_user_sgpr_queue_ptr 0
		.amdhsa_user_sgpr_kernarg_segment_ptr 1
		.amdhsa_user_sgpr_dispatch_id 0
		.amdhsa_user_sgpr_private_segment_size 0
		.amdhsa_wavefront_size32 1
		.amdhsa_uses_dynamic_stack 0
		.amdhsa_enable_private_segment 1
		.amdhsa_system_sgpr_workgroup_id_x 1
		.amdhsa_system_sgpr_workgroup_id_y 0
		.amdhsa_system_sgpr_workgroup_id_z 0
		.amdhsa_system_sgpr_workgroup_info 0
		.amdhsa_system_vgpr_workitem_id 0
		.amdhsa_next_free_vgpr 41
		.amdhsa_next_free_sgpr 34
		.amdhsa_reserve_vcc 1
		.amdhsa_float_round_mode_32 0
		.amdhsa_float_round_mode_16_64 0
		.amdhsa_float_denorm_mode_32 3
		.amdhsa_float_denorm_mode_16_64 3
		.amdhsa_dx10_clamp 1
		.amdhsa_ieee_mode 1
		.amdhsa_fp16_overflow 0
		.amdhsa_workgroup_processor_mode 1
		.amdhsa_memory_ordered 1
		.amdhsa_forward_progress 0
		.amdhsa_shared_vgpr_count 0
		.amdhsa_exception_fp_ieee_invalid_op 0
		.amdhsa_exception_fp_denorm_src 0
		.amdhsa_exception_fp_ieee_div_zero 0
		.amdhsa_exception_fp_ieee_overflow 0
		.amdhsa_exception_fp_ieee_underflow 0
		.amdhsa_exception_fp_ieee_inexact 0
		.amdhsa_exception_int_div_zero 0
	.end_amdhsa_kernel
	.section	.text._Z38paged_attention_ll4mi_QKV_mfma4_kernelIDF16_hLN4vllm18Fp8KVCacheDataTypeE1EhLi32ELi64ELi256ELb1ELi3EEvPKT_PKT0_S7_ifPKiS9_S9_iPKfiiiPfSC_PS2_PT2_iSB_SB_,"axG",@progbits,_Z38paged_attention_ll4mi_QKV_mfma4_kernelIDF16_hLN4vllm18Fp8KVCacheDataTypeE1EhLi32ELi64ELi256ELb1ELi3EEvPKT_PKT0_S7_ifPKiS9_S9_iPKfiiiPfSC_PS2_PT2_iSB_SB_,comdat
.Lfunc_end852:
	.size	_Z38paged_attention_ll4mi_QKV_mfma4_kernelIDF16_hLN4vllm18Fp8KVCacheDataTypeE1EhLi32ELi64ELi256ELb1ELi3EEvPKT_PKT0_S7_ifPKiS9_S9_iPKfiiiPfSC_PS2_PT2_iSB_SB_, .Lfunc_end852-_Z38paged_attention_ll4mi_QKV_mfma4_kernelIDF16_hLN4vllm18Fp8KVCacheDataTypeE1EhLi32ELi64ELi256ELb1ELi3EEvPKT_PKT0_S7_ifPKiS9_S9_iPKfiiiPfSC_PS2_PT2_iSB_SB_
                                        ; -- End function
	.section	.AMDGPU.csdata,"",@progbits
; Kernel info:
; codeLenInByte = 72
; NumSgprs: 36
; NumVgprs: 41
; ScratchSize: 64
; MemoryBound: 0
; FloatMode: 240
; IeeeMode: 1
; LDSByteSize: 0 bytes/workgroup (compile time only)
; SGPRBlocks: 4
; VGPRBlocks: 5
; NumSGPRsForWavesPerEU: 36
; NumVGPRsForWavesPerEU: 41
; Occupancy: 16
; WaveLimiterHint : 1
; COMPUTE_PGM_RSRC2:SCRATCH_EN: 1
; COMPUTE_PGM_RSRC2:USER_SGPR: 15
; COMPUTE_PGM_RSRC2:TRAP_HANDLER: 0
; COMPUTE_PGM_RSRC2:TGID_X_EN: 1
; COMPUTE_PGM_RSRC2:TGID_Y_EN: 0
; COMPUTE_PGM_RSRC2:TGID_Z_EN: 0
; COMPUTE_PGM_RSRC2:TIDIG_COMP_CNT: 0
	.section	.text._Z38paged_attention_ll4mi_QKV_mfma4_kernelIDF16_hLN4vllm18Fp8KVCacheDataTypeE1EhLi32ELi64ELi256ELb1ELi4EEvPKT_PKT0_S7_ifPKiS9_S9_iPKfiiiPfSC_PS2_PT2_iSB_SB_,"axG",@progbits,_Z38paged_attention_ll4mi_QKV_mfma4_kernelIDF16_hLN4vllm18Fp8KVCacheDataTypeE1EhLi32ELi64ELi256ELb1ELi4EEvPKT_PKT0_S7_ifPKiS9_S9_iPKfiiiPfSC_PS2_PT2_iSB_SB_,comdat
	.protected	_Z38paged_attention_ll4mi_QKV_mfma4_kernelIDF16_hLN4vllm18Fp8KVCacheDataTypeE1EhLi32ELi64ELi256ELb1ELi4EEvPKT_PKT0_S7_ifPKiS9_S9_iPKfiiiPfSC_PS2_PT2_iSB_SB_ ; -- Begin function _Z38paged_attention_ll4mi_QKV_mfma4_kernelIDF16_hLN4vllm18Fp8KVCacheDataTypeE1EhLi32ELi64ELi256ELb1ELi4EEvPKT_PKT0_S7_ifPKiS9_S9_iPKfiiiPfSC_PS2_PT2_iSB_SB_
	.globl	_Z38paged_attention_ll4mi_QKV_mfma4_kernelIDF16_hLN4vllm18Fp8KVCacheDataTypeE1EhLi32ELi64ELi256ELb1ELi4EEvPKT_PKT0_S7_ifPKiS9_S9_iPKfiiiPfSC_PS2_PT2_iSB_SB_
	.p2align	8
	.type	_Z38paged_attention_ll4mi_QKV_mfma4_kernelIDF16_hLN4vllm18Fp8KVCacheDataTypeE1EhLi32ELi64ELi256ELb1ELi4EEvPKT_PKT0_S7_ifPKiS9_S9_iPKfiiiPfSC_PS2_PT2_iSB_SB_,@function
_Z38paged_attention_ll4mi_QKV_mfma4_kernelIDF16_hLN4vllm18Fp8KVCacheDataTypeE1EhLi32ELi64ELi256ELb1ELi4EEvPKT_PKT0_S7_ifPKiS9_S9_iPKfiiiPfSC_PS2_PT2_iSB_SB_: ; @_Z38paged_attention_ll4mi_QKV_mfma4_kernelIDF16_hLN4vllm18Fp8KVCacheDataTypeE1EhLi32ELi64ELi256ELb1ELi4EEvPKT_PKT0_S7_ifPKiS9_S9_iPKfiiiPfSC_PS2_PT2_iSB_SB_
; %bb.0:
	s_add_u32 s8, s0, 0x90
	s_addc_u32 s9, s1, 0
	s_getpc_b64 s[0:1]
	s_add_u32 s0, s0, __PRETTY_FUNCTION__._Z38paged_attention_ll4mi_QKV_mfma4_kernelIDF16_hLN4vllm18Fp8KVCacheDataTypeE1EhLi32ELi64ELi256ELb1ELi4EEvPKT_PKT0_S7_ifPKiS9_S9_iPKfiiiPfSC_PS2_PT2_iSB_SB_@rel32@lo+4
	s_addc_u32 s1, s1, __PRETTY_FUNCTION__._Z38paged_attention_ll4mi_QKV_mfma4_kernelIDF16_hLN4vllm18Fp8KVCacheDataTypeE1EhLi32ELi64ELi256ELb1ELi4EEvPKT_PKT0_S7_ifPKiS9_S9_iPKfiiiPfSC_PS2_PT2_iSB_SB_@rel32@hi+12
	s_delay_alu instid0(SALU_CYCLE_1) | instskip(SKIP_4) | instid1(SALU_CYCLE_1)
	v_dual_mov_b32 v0, s0 :: v_dual_mov_b32 v1, s1
	s_mov_b32 s32, 0
	s_getpc_b64 s[2:3]
	s_add_u32 s2, s2, __assert_fail@rel32@lo+4
	s_addc_u32 s3, s3, __assert_fail@rel32@hi+12
	s_swappc_b64 s[30:31], s[2:3]
	.section	.rodata,"a",@progbits
	.p2align	6, 0x0
	.amdhsa_kernel _Z38paged_attention_ll4mi_QKV_mfma4_kernelIDF16_hLN4vllm18Fp8KVCacheDataTypeE1EhLi32ELi64ELi256ELb1ELi4EEvPKT_PKT0_S7_ifPKiS9_S9_iPKfiiiPfSC_PS2_PT2_iSB_SB_
		.amdhsa_group_segment_fixed_size 0
		.amdhsa_private_segment_fixed_size 64
		.amdhsa_kernarg_size 400
		.amdhsa_user_sgpr_count 15
		.amdhsa_user_sgpr_dispatch_ptr 0
		.amdhsa_user_sgpr_queue_ptr 0
		.amdhsa_user_sgpr_kernarg_segment_ptr 1
		.amdhsa_user_sgpr_dispatch_id 0
		.amdhsa_user_sgpr_private_segment_size 0
		.amdhsa_wavefront_size32 1
		.amdhsa_uses_dynamic_stack 0
		.amdhsa_enable_private_segment 1
		.amdhsa_system_sgpr_workgroup_id_x 1
		.amdhsa_system_sgpr_workgroup_id_y 0
		.amdhsa_system_sgpr_workgroup_id_z 0
		.amdhsa_system_sgpr_workgroup_info 0
		.amdhsa_system_vgpr_workitem_id 0
		.amdhsa_next_free_vgpr 41
		.amdhsa_next_free_sgpr 34
		.amdhsa_reserve_vcc 1
		.amdhsa_float_round_mode_32 0
		.amdhsa_float_round_mode_16_64 0
		.amdhsa_float_denorm_mode_32 3
		.amdhsa_float_denorm_mode_16_64 3
		.amdhsa_dx10_clamp 1
		.amdhsa_ieee_mode 1
		.amdhsa_fp16_overflow 0
		.amdhsa_workgroup_processor_mode 1
		.amdhsa_memory_ordered 1
		.amdhsa_forward_progress 0
		.amdhsa_shared_vgpr_count 0
		.amdhsa_exception_fp_ieee_invalid_op 0
		.amdhsa_exception_fp_denorm_src 0
		.amdhsa_exception_fp_ieee_div_zero 0
		.amdhsa_exception_fp_ieee_overflow 0
		.amdhsa_exception_fp_ieee_underflow 0
		.amdhsa_exception_fp_ieee_inexact 0
		.amdhsa_exception_int_div_zero 0
	.end_amdhsa_kernel
	.section	.text._Z38paged_attention_ll4mi_QKV_mfma4_kernelIDF16_hLN4vllm18Fp8KVCacheDataTypeE1EhLi32ELi64ELi256ELb1ELi4EEvPKT_PKT0_S7_ifPKiS9_S9_iPKfiiiPfSC_PS2_PT2_iSB_SB_,"axG",@progbits,_Z38paged_attention_ll4mi_QKV_mfma4_kernelIDF16_hLN4vllm18Fp8KVCacheDataTypeE1EhLi32ELi64ELi256ELb1ELi4EEvPKT_PKT0_S7_ifPKiS9_S9_iPKfiiiPfSC_PS2_PT2_iSB_SB_,comdat
.Lfunc_end853:
	.size	_Z38paged_attention_ll4mi_QKV_mfma4_kernelIDF16_hLN4vllm18Fp8KVCacheDataTypeE1EhLi32ELi64ELi256ELb1ELi4EEvPKT_PKT0_S7_ifPKiS9_S9_iPKfiiiPfSC_PS2_PT2_iSB_SB_, .Lfunc_end853-_Z38paged_attention_ll4mi_QKV_mfma4_kernelIDF16_hLN4vllm18Fp8KVCacheDataTypeE1EhLi32ELi64ELi256ELb1ELi4EEvPKT_PKT0_S7_ifPKiS9_S9_iPKfiiiPfSC_PS2_PT2_iSB_SB_
                                        ; -- End function
	.section	.AMDGPU.csdata,"",@progbits
; Kernel info:
; codeLenInByte = 72
; NumSgprs: 36
; NumVgprs: 41
; ScratchSize: 64
; MemoryBound: 0
; FloatMode: 240
; IeeeMode: 1
; LDSByteSize: 0 bytes/workgroup (compile time only)
; SGPRBlocks: 4
; VGPRBlocks: 5
; NumSGPRsForWavesPerEU: 36
; NumVGPRsForWavesPerEU: 41
; Occupancy: 16
; WaveLimiterHint : 1
; COMPUTE_PGM_RSRC2:SCRATCH_EN: 1
; COMPUTE_PGM_RSRC2:USER_SGPR: 15
; COMPUTE_PGM_RSRC2:TRAP_HANDLER: 0
; COMPUTE_PGM_RSRC2:TGID_X_EN: 1
; COMPUTE_PGM_RSRC2:TGID_Y_EN: 0
; COMPUTE_PGM_RSRC2:TGID_Z_EN: 0
; COMPUTE_PGM_RSRC2:TIDIG_COMP_CNT: 0
	.section	.text._Z39paged_attention_ll4mi_QKV_mfma16_kernelIDF16_hLN4vllm18Fp8KVCacheDataTypeE1EhLi32ELi64ELi256ELb1ELi5EL8MFMAType1EEvPKT_PKT0_S8_ifPKiSA_SA_iPKfiiiPfSD_PS3_PT2_iSC_SC_,"axG",@progbits,_Z39paged_attention_ll4mi_QKV_mfma16_kernelIDF16_hLN4vllm18Fp8KVCacheDataTypeE1EhLi32ELi64ELi256ELb1ELi5EL8MFMAType1EEvPKT_PKT0_S8_ifPKiSA_SA_iPKfiiiPfSD_PS3_PT2_iSC_SC_,comdat
	.protected	_Z39paged_attention_ll4mi_QKV_mfma16_kernelIDF16_hLN4vllm18Fp8KVCacheDataTypeE1EhLi32ELi64ELi256ELb1ELi5EL8MFMAType1EEvPKT_PKT0_S8_ifPKiSA_SA_iPKfiiiPfSD_PS3_PT2_iSC_SC_ ; -- Begin function _Z39paged_attention_ll4mi_QKV_mfma16_kernelIDF16_hLN4vllm18Fp8KVCacheDataTypeE1EhLi32ELi64ELi256ELb1ELi5EL8MFMAType1EEvPKT_PKT0_S8_ifPKiSA_SA_iPKfiiiPfSD_PS3_PT2_iSC_SC_
	.globl	_Z39paged_attention_ll4mi_QKV_mfma16_kernelIDF16_hLN4vllm18Fp8KVCacheDataTypeE1EhLi32ELi64ELi256ELb1ELi5EL8MFMAType1EEvPKT_PKT0_S8_ifPKiSA_SA_iPKfiiiPfSD_PS3_PT2_iSC_SC_
	.p2align	8
	.type	_Z39paged_attention_ll4mi_QKV_mfma16_kernelIDF16_hLN4vllm18Fp8KVCacheDataTypeE1EhLi32ELi64ELi256ELb1ELi5EL8MFMAType1EEvPKT_PKT0_S8_ifPKiSA_SA_iPKfiiiPfSD_PS3_PT2_iSC_SC_,@function
_Z39paged_attention_ll4mi_QKV_mfma16_kernelIDF16_hLN4vllm18Fp8KVCacheDataTypeE1EhLi32ELi64ELi256ELb1ELi5EL8MFMAType1EEvPKT_PKT0_S8_ifPKiSA_SA_iPKfiiiPfSD_PS3_PT2_iSC_SC_: ; @_Z39paged_attention_ll4mi_QKV_mfma16_kernelIDF16_hLN4vllm18Fp8KVCacheDataTypeE1EhLi32ELi64ELi256ELb1ELi5EL8MFMAType1EEvPKT_PKT0_S8_ifPKiSA_SA_iPKfiiiPfSD_PS3_PT2_iSC_SC_
; %bb.0:
	s_load_b64 s[2:3], s[0:1], 0x30
	s_mov_b32 s34, s13
	s_waitcnt lgkmcnt(0)
	s_cmp_lg_u64 s[2:3], 0
	s_cselect_b32 s6, -1, 0
	s_ashr_i32 s35, s13, 31
	s_cmp_eq_u64 s[2:3], 0
	s_cbranch_scc1 .LBB854_3
; %bb.1:
	s_lshl_b64 s[4:5], s[34:35], 2
	s_delay_alu instid0(SALU_CYCLE_1) | instskip(SKIP_4) | instid1(SALU_CYCLE_1)
	s_add_u32 s4, s2, s4
	s_addc_u32 s5, s3, s5
	s_load_b64 s[4:5], s[4:5], 0x0
	s_waitcnt lgkmcnt(0)
	s_sub_i32 s4, s5, s4
	s_cmp_eq_u32 s4, 1
	s_cselect_b32 s4, -1, 0
	s_delay_alu instid0(SALU_CYCLE_1)
	s_and_not1_b32 vcc_lo, exec_lo, s4
	s_cbranch_vccz .LBB854_4
.LBB854_2:
	s_nop 0
	s_sendmsg sendmsg(MSG_DEALLOC_VGPRS)
	s_endpgm
.LBB854_3:
.LBB854_4:
	s_load_b64 s[8:9], s[0:1], 0x28
	s_lshl_b64 s[4:5], s[34:35], 2
	s_waitcnt lgkmcnt(0)
	s_add_u32 s8, s8, s4
	s_addc_u32 s9, s9, s5
	s_lshl_b32 s16, s14, 8
	s_load_b32 s18, s[8:9], 0x0
	s_waitcnt lgkmcnt(0)
	s_cmp_ge_i32 s16, s18
	s_cbranch_scc1 .LBB854_2
; %bb.5:
	s_clause 0x1
	s_load_b128 s[8:11], s[0:1], 0x8
	s_load_b64 s[12:13], s[0:1], 0x20
	s_and_not1_b32 vcc_lo, exec_lo, s6
	s_cbranch_vccnz .LBB854_7
; %bb.6:
	s_add_u32 s2, s2, s4
	s_addc_u32 s3, s3, s5
	s_load_b32 s3, s[2:3], 0x0
	s_branch .LBB854_8
.LBB854_7:
	s_mov_b32 s3, s34
.LBB854_8:
	s_load_b128 s[4:7], s[0:1], 0x48
	v_lshrrev_b32_e32 v69, 5, v0
	v_bfe_u32 v66, v0, 4, 1
	v_and_b32_e32 v68, 15, v0
	v_and_b32_e32 v70, 31, v0
	v_and_b32_e32 v67, 1, v0
	s_mul_i32 s33, s15, 5
	v_lshl_or_b32 v1, v69, 1, v66
	v_lshlrev_b32_e32 v2, 3, v68
	v_cmp_gt_u32_e64 s2, 8, v68
	s_delay_alu instid0(VALU_DEP_3) | instskip(NEXT) | instid1(VALU_DEP_3)
	v_cmp_gt_u32_e32 vcc_lo, 5, v1
	v_lshlrev_b32_e32 v65, 1, v2
	s_delay_alu instid0(VALU_DEP_3)
	s_and_b32 s17, s2, vcc_lo
	s_waitcnt lgkmcnt(0)
	s_and_saveexec_b32 s7, s17
	s_cbranch_execz .LBB854_10
; %bb.9:
	s_load_b64 s[20:21], s[0:1], 0x0
	v_add_lshl_u32 v2, v1, s33, 6
	s_mul_hi_i32 s23, s3, s4
	s_mul_i32 s22, s3, s4
	v_lshlrev_b32_e32 v6, 10, v68
	s_lshl_b64 s[22:23], s[22:23], 1
	v_ashrrev_i32_e32 v3, 31, v2
	v_lshlrev_b32_e32 v1, 6, v1
	v_lshlrev_b32_e32 v7, 10, v67
	v_and_b32_e32 v6, 0x3800, v6
	s_delay_alu instid0(VALU_DEP_4) | instskip(NEXT) | instid1(VALU_DEP_2)
	v_lshlrev_b64 v[2:3], 1, v[2:3]
	v_or3_b32 v1, v6, v7, v1
	s_waitcnt lgkmcnt(0)
	s_add_u32 s3, s20, s22
	s_addc_u32 s4, s21, s23
	s_delay_alu instid0(VALU_DEP_2) | instskip(SKIP_1) | instid1(VALU_DEP_2)
	v_add_co_u32 v2, vcc_lo, s3, v2
	v_add_co_ci_u32_e32 v3, vcc_lo, s4, v3, vcc_lo
	v_add_co_u32 v2, vcc_lo, v2, v65
	s_delay_alu instid0(VALU_DEP_2)
	v_add_co_ci_u32_e32 v3, vcc_lo, 0, v3, vcc_lo
	global_load_b128 v[2:5], v[2:3], off
	s_waitcnt vmcnt(0)
	ds_store_b128 v1, v[2:5]
.LBB854_10:
	s_or_b32 exec_lo, exec_lo, s7
	v_and_b32_e32 v1, 0xef, v0
	s_add_i32 s3, s18, 31
	s_clause 0x1
	s_load_b32 s4, s[0:1], 0x38
	s_load_b32 s35, s[0:1], 0x98
	s_ashr_i32 s7, s3, 31
	v_add_nc_u32_e32 v1, s16, v1
	s_lshr_b32 s7, s7, 27
	s_load_b32 s19, s[0:1], 0x1c
	s_add_i32 s3, s3, s7
	s_waitcnt lgkmcnt(0)
	v_ashrrev_i32_e32 v2, 31, v1
	v_or_b32_e32 v3, 16, v1
	s_ashr_i32 s3, s3, 5
	v_cmp_gt_i32_e32 vcc_lo, s18, v1
	s_add_i32 s3, s3, -1
	v_lshrrev_b32_e32 v2, 27, v2
	s_barrier
	buffer_gl0_inv
	s_mul_i32 s15, s15, s6
	v_mul_lo_u16 v103, v68, 52
	v_add_nc_u32_e32 v4, v1, v2
	v_mbcnt_lo_u32_b32 v127, -1, 0
	s_mul_i32 s20, s34, s4
	s_delay_alu instid0(SALU_CYCLE_1) | instskip(NEXT) | instid1(VALU_DEP_2)
	s_ashr_i32 s21, s20, 31
	v_ashrrev_i32_e32 v4, 5, v4
	v_add_nc_u32_e32 v2, v3, v2
	s_lshl_b64 s[20:21], s[20:21], 2
	v_lshrrev_b16 v103, 8, v103
	s_add_u32 s17, s12, s20
	v_cndmask_b32_e32 v1, s3, v4, vcc_lo
	v_ashrrev_i32_e32 v2, 5, v2
	v_cmp_gt_i32_e32 vcc_lo, s18, v3
	s_addc_u32 s13, s13, s21
	s_ashr_i32 s20, s15, 31
	s_add_u32 s22, s8, s15
	s_addc_u32 s23, s9, s20
	v_cndmask_b32_e32 v3, s3, v2, vcc_lo
	v_ashrrev_i32_e32 v2, 31, v1
	s_lshl_b32 s6, s14, 3
	v_mul_lo_u16 v103, v103, 5
	s_ashr_i32 s7, s6, 31
	v_ashrrev_i32_e32 v4, 31, v3
	v_lshlrev_b64 v[1:2], 2, v[1:2]
	s_lshl_b64 s[6:7], s[6:7], 2
	v_sub_nc_u16 v103, v68, v103
	s_add_u32 s6, s17, s6
	v_lshlrev_b64 v[3:4], 2, v[3:4]
	s_addc_u32 s7, s13, s7
	v_add_co_u32 v1, vcc_lo, s17, v1
	v_add_co_ci_u32_e32 v2, vcc_lo, s13, v2, vcc_lo
	s_delay_alu instid0(VALU_DEP_3) | instskip(NEXT) | instid1(VALU_DEP_4)
	v_add_co_u32 v3, vcc_lo, s17, v3
	v_add_co_ci_u32_e32 v4, vcc_lo, s13, v4, vcc_lo
	s_clause 0x1
	global_load_b32 v5, v[1:2], off
	global_load_b32 v6, v[3:4], off
	s_or_b32 s4, s16, 32
	v_xor_b32_e32 v128, 16, v127
	s_ashr_i32 s8, s4, 5
	s_cmp_lt_i32 s4, s18
	s_cselect_b32 s8, s8, s3
	s_delay_alu instid0(SALU_CYCLE_1) | instskip(NEXT) | instid1(SALU_CYCLE_1)
	s_ashr_i32 s9, s8, 31
	s_lshl_b64 s[8:9], s[8:9], 2
	s_delay_alu instid0(SALU_CYCLE_1) | instskip(SKIP_2) | instid1(SALU_CYCLE_1)
	s_add_u32 s8, s17, s8
	s_addc_u32 s9, s13, s9
	s_or_b32 s4, s16, 64
	s_ashr_i32 s12, s4, 5
	s_cmp_lt_i32 s4, s18
	s_cselect_b32 s24, s12, s3
	s_delay_alu instid0(SALU_CYCLE_1) | instskip(NEXT) | instid1(SALU_CYCLE_1)
	s_ashr_i32 s25, s24, 31
	s_lshl_b64 s[24:25], s[24:25], 2
	s_delay_alu instid0(SALU_CYCLE_1) | instskip(SKIP_2) | instid1(SALU_CYCLE_1)
	s_add_u32 s24, s17, s24
	s_addc_u32 s25, s13, s25
	s_or_b32 s4, s16, 0x60
	;; [unrolled: 10-line block ×4, first 2 shown]
	s_ashr_i32 s12, s4, 5
	s_cmp_lt_i32 s4, s18
	s_cselect_b32 s30, s12, s3
	s_delay_alu instid0(SALU_CYCLE_1) | instskip(NEXT) | instid1(SALU_CYCLE_1)
	s_ashr_i32 s31, s30, 31
	s_lshl_b64 s[30:31], s[30:31], 2
	s_delay_alu instid0(SALU_CYCLE_1)
	s_add_u32 s30, s17, s30
	s_addc_u32 s31, s13, s31
	s_clause 0x5
	s_load_b32 s12, s[6:7], 0x0
	s_load_b32 s4, s[8:9], 0x0
	;; [unrolled: 1-line block ×6, first 2 shown]
	s_or_b32 s21, s16, 0xc0
	s_waitcnt vmcnt(1)
	v_mad_i64_i32 v[1:2], null, v5, s5, s[22:23]
	v_lshlrev_b32_e32 v5, 4, v68
	s_waitcnt vmcnt(0)
	v_mad_i64_i32 v[3:4], null, v6, s5, s[22:23]
	s_ashr_i32 s22, s21, 5
	s_cmp_lt_i32 s21, s18
	s_delay_alu instid0(VALU_DEP_3) | instskip(NEXT) | instid1(VALU_DEP_4)
	v_add_co_u32 v1, vcc_lo, v1, v5
	v_add_co_ci_u32_e32 v2, vcc_lo, 0, v2, vcc_lo
	s_delay_alu instid0(VALU_DEP_3) | instskip(NEXT) | instid1(VALU_DEP_4)
	v_add_co_u32 v3, vcc_lo, v3, v5
	v_add_co_ci_u32_e32 v4, vcc_lo, 0, v4, vcc_lo
	s_clause 0x7
	global_load_b128 v[71:74], v[1:2], off
	global_load_b128 v[75:78], v[1:2], off offset:512
	global_load_b128 v[79:82], v[3:4], off offset:256
	;; [unrolled: 1-line block ×7, first 2 shown]
	s_cselect_b32 s22, s22, s3
	v_lshlrev_b32_e32 v1, 5, v68
	s_ashr_i32 s23, s22, 31
	v_cmp_gt_i32_e32 vcc_lo, 32, v128
	s_lshl_b64 s[22:23], s[22:23], 2
	v_and_b32_e32 v103, 0xff, v103
	s_add_u32 s22, s17, s22
	s_addc_u32 s23, s13, s23
	v_cndmask_b32_e32 v136, v127, v128, vcc_lo
	s_or_b32 s21, s16, 0xe0
	v_lshl_or_b32 v1, v69, 9, v1
	s_ashr_i32 s24, s21, 5
	s_cmp_lt_i32 s21, s18
	v_lshlrev_b32_e32 v115, 6, v103
	s_cselect_b32 s24, s24, s3
	s_load_b32 s3, s[22:23], 0x0
	s_ashr_i32 s25, s24, 31
	s_delay_alu instid0(SALU_CYCLE_1) | instskip(NEXT) | instid1(SALU_CYCLE_1)
	s_lshl_b64 s[24:25], s[24:25], 2
	s_add_u32 s22, s17, s24
	s_addc_u32 s23, s13, s25
	s_add_u32 s10, s10, s15
	s_addc_u32 s11, s11, s20
	v_add_co_u32 v1, s10, s10, v1
	s_delay_alu instid0(VALU_DEP_1) | instskip(SKIP_2) | instid1(VALU_DEP_1)
	v_add_co_ci_u32_e64 v2, null, s11, 0, s10
	s_load_b32 s10, s[22:23], 0x0
	s_waitcnt lgkmcnt(0)
	v_mad_i64_i32 v[3:4], null, s12, s5, v[1:2]
	v_mad_i64_i32 v[9:10], null, s7, s5, v[1:2]
	;; [unrolled: 1-line block ×7, first 2 shown]
	s_clause 0x5
	global_load_b128 v[49:52], v[3:4], off
	global_load_b128 v[53:56], v[3:4], off offset:16
	global_load_b128 v[41:44], v[5:6], off
	global_load_b128 v[45:48], v[5:6], off offset:16
	;; [unrolled: 2-line block ×3, first 2 shown]
	s_mov_b32 s4, 0
	v_mad_i64_i32 v[61:62], null, s10, s5, v[1:2]
	s_clause 0x9
	global_load_b128 v[1:4], v[9:10], off
	global_load_b128 v[5:8], v[9:10], off offset:16
	global_load_b128 v[9:12], v[13:14], off
	global_load_b128 v[13:16], v[13:14], off offset:16
	;; [unrolled: 2-line block ×5, first 2 shown]
	s_mov_b32 s5, s4
	s_mov_b32 s6, s4
	;; [unrolled: 1-line block ×7, first 2 shown]
	v_and_b32_e32 v104, 0xe0, v0
	v_dual_mov_b32 v126, s11 :: v_dual_mov_b32 v123, s8
	v_dual_mov_b32 v125, s10 :: v_dual_mov_b32 v124, s9
	s_delay_alu instid0(VALU_DEP_3)
	v_add_nc_u32_e32 v111, s16, v104
	ds_load_b128 v[103:106], v115
	ds_load_b128 v[107:110], v115 offset:1024
	v_dual_mov_b32 v122, s7 :: v_dual_mov_b32 v121, s6
	v_mov_b32_e32 v120, s5
	v_or_b32_e32 v135, v111, v66
	ds_load_b128 v[111:114], v115 offset:2048
	ds_load_b128 v[115:118], v115 offset:3072
	v_mov_b32_e32 v119, s4
	s_waitcnt vmcnt(0) lgkmcnt(0)
	s_barrier
	v_or_b32_e32 v137, 2, v135
	v_or_b32_e32 v138, 4, v135
	;; [unrolled: 1-line block ×3, first 2 shown]
	v_cmp_gt_i32_e32 vcc_lo, s18, v135
	v_or_b32_e32 v140, 8, v135
	v_cmp_gt_i32_e64 s3, s18, v137
	v_or_b32_e32 v141, 10, v135
	v_cmp_gt_i32_e64 s4, s18, v138
	v_cmp_gt_i32_e64 s5, s18, v139
	v_or_b32_e32 v142, 12, v135
	v_or_b32_e32 v143, 14, v135
	v_cmp_gt_i32_e64 s6, s18, v140
	v_cmp_gt_i32_e64 s7, s18, v141
	v_or_b32_e32 v144, 16, v135
	v_or_b32_e32 v145, 18, v135
	v_cmp_gt_i32_e64 s8, s18, v142
	v_cmp_gt_i32_e64 s9, s18, v143
	buffer_gl0_inv
	v_cmp_gt_i32_e64 s10, s18, v144
	v_cmp_gt_i32_e64 s11, s18, v145
	v_wmma_f32_16x16x16_f16 v[127:134], v[71:78], v[103:110], v[119:126]
	v_wmma_f32_16x16x16_f16 v[119:126], v[79:86], v[103:110], v[119:126]
	v_or_b32_e32 v71, 20, v135
	v_or_b32_e32 v72, 22, v135
	s_delay_alu instid0(VALU_DEP_4)
	v_wmma_f32_16x16x16_f16 v[127:134], v[87:94], v[111:118], v[127:134]
	v_or_b32_e32 v73, 24, v135
	v_wmma_f32_16x16x16_f16 v[119:126], v[95:102], v[111:118], v[119:126]
	v_or_b32_e32 v74, 26, v135
	v_cmp_gt_i32_e64 s12, s18, v71
	v_dual_mul_f32 v84, s19, v127 :: v_dual_mul_f32 v83, s19, v128
	s_delay_alu instid0(VALU_DEP_4) | instskip(SKIP_2) | instid1(VALU_DEP_4)
	v_dual_mul_f32 v92, s19, v119 :: v_dual_mul_f32 v81, s19, v130
	v_mul_f32_e32 v90, s19, v121
	v_mul_f32_e32 v82, s19, v129
	v_cndmask_b32_e32 v84, 0xff7fffff, v84, vcc_lo
	v_cndmask_b32_e64 v83, 0xff7fffff, v83, s3
	v_dual_mul_f32 v79, s19, v132 :: v_dual_mul_f32 v88, s19, v123
	v_mul_f32_e32 v80, s19, v131
	v_cndmask_b32_e64 v82, 0xff7fffff, v82, s4
	v_cndmask_b32_e64 v81, 0xff7fffff, v81, s5
	v_max3_f32 v83, v84, 0xff7fffff, v83
	v_dual_mul_f32 v77, s19, v134 :: v_dual_mul_f32 v86, s19, v125
	v_mul_f32_e32 v78, s19, v133
	v_cndmask_b32_e64 v80, 0xff7fffff, v80, s6
	v_cndmask_b32_e64 v79, 0xff7fffff, v79, s7
	v_max3_f32 v81, v83, v82, v81
	v_mul_f32_e32 v91, s19, v120
	v_cndmask_b32_e64 v78, 0xff7fffff, v78, s8
	v_cndmask_b32_e64 v77, 0xff7fffff, v77, s9
	v_mul_f32_e32 v89, s19, v122
	v_max3_f32 v79, v81, v80, v79
	v_cndmask_b32_e64 v80, 0xff7fffff, v92, s10
	v_cndmask_b32_e64 v81, 0xff7fffff, v91, s11
	v_cmp_gt_i32_e64 s13, s18, v72
	v_or_b32_e32 v75, 28, v135
	v_max3_f32 v77, v79, v78, v77
	v_or_b32_e32 v76, 30, v135
	v_mul_f32_e32 v87, s19, v124
	v_cndmask_b32_e64 v71, 0xff7fffff, v90, s12
	v_cndmask_b32_e64 v72, 0xff7fffff, v89, s13
	v_max3_f32 v77, v77, v80, v81
	v_cmp_gt_i32_e64 s15, s18, v73
	v_cmp_gt_i32_e64 s16, s18, v74
	v_mul_f32_e32 v85, s19, v126
	v_cmp_gt_i32_e64 s17, s18, v75
	v_max3_f32 v71, v77, v71, v72
	v_cndmask_b32_e64 v73, 0xff7fffff, v88, s15
	v_cndmask_b32_e64 v74, 0xff7fffff, v87, s16
	v_cmp_gt_i32_e64 s18, s18, v76
	v_cndmask_b32_e64 v72, 0xff7fffff, v86, s17
	s_delay_alu instid0(VALU_DEP_3) | instskip(NEXT) | instid1(VALU_DEP_3)
	v_max3_f32 v71, v71, v73, v74
	v_cndmask_b32_e64 v75, 0xff7fffff, v85, s18
	v_lshlrev_b32_e32 v73, 2, v136
	s_delay_alu instid0(VALU_DEP_2) | instskip(SKIP_3) | instid1(VALU_DEP_1)
	v_max3_f32 v71, v71, v72, v75
	ds_bpermute_b32 v72, v73, v71
	s_waitcnt lgkmcnt(0)
	v_max_f32_e32 v72, v72, v72
	v_max_f32_e32 v71, v71, v72
	s_delay_alu instid0(VALU_DEP_1) | instskip(SKIP_2) | instid1(VALU_DEP_3)
	v_fma_f32 v72, s19, v127, -v71
	v_fma_f32 v74, s19, v128, -v71
	;; [unrolled: 1-line block ×3, first 2 shown]
	v_mul_f32_e32 v72, 0x3fb8aa3b, v72
	s_delay_alu instid0(VALU_DEP_2) | instskip(NEXT) | instid1(VALU_DEP_2)
	v_dual_mul_f32 v74, 0x3fb8aa3b, v74 :: v_dual_mul_f32 v75, 0x3fb8aa3b, v75
	v_exp_f32_e32 v72, v72
	s_delay_alu instid0(VALU_DEP_1) | instskip(NEXT) | instid1(VALU_DEP_1)
	v_exp_f32_e32 v74, v74
	v_exp_f32_e32 v75, v75
	s_delay_alu instid0(TRANS32_DEP_3)
	v_cndmask_b32_e32 v79, 0, v72, vcc_lo
	s_waitcnt_depctr 0xfff
	v_cndmask_b32_e64 v78, 0, v74, s3
	v_cndmask_b32_e64 v81, 0, v75, s4
	v_cmp_gt_u32_e64 s3, 16, v70
	v_add_f32_e32 v74, 0, v79
	s_delay_alu instid0(VALU_DEP_1) | instskip(NEXT) | instid1(VALU_DEP_1)
	v_add_f32_e32 v74, v74, v78
	v_add_f32_e32 v74, v74, v81
	v_fma_f32 v76, s19, v130, -v71
	v_fma_f32 v77, s19, v131, -v71
	;; [unrolled: 1-line block ×5, first 2 shown]
	s_delay_alu instid0(VALU_DEP_4) | instskip(NEXT) | instid1(VALU_DEP_4)
	v_dual_mul_f32 v76, 0x3fb8aa3b, v76 :: v_dual_mul_f32 v77, 0x3fb8aa3b, v77
	v_mul_f32_e32 v72, 0x3fb8aa3b, v72
	s_delay_alu instid0(VALU_DEP_4) | instskip(SKIP_1) | instid1(VALU_DEP_4)
	v_mul_f32_e32 v82, 0x3fb8aa3b, v80
	v_fma_f32 v86, s19, v122, -v71
	v_exp_f32_e32 v76, v76
	v_exp_f32_e32 v77, v77
	;; [unrolled: 1-line block ×4, first 2 shown]
	v_mul_f32_e32 v86, 0x3fb8aa3b, v86
	s_delay_alu instid0(VALU_DEP_1)
	v_exp_f32_e32 v88, v86
	v_cndmask_b32_e64 v80, 0, v76, s5
	v_mul_f32_e32 v75, 0x3fb8aa3b, v75
	v_fma_f32 v76, s19, v119, -v71
	v_cndmask_b32_e64 v83, 0, v77, s6
	v_fma_f32 v77, s19, v120, -v71
	v_add_f32_e32 v74, v74, v80
	v_exp_f32_e32 v75, v75
	v_mul_f32_e32 v76, 0x3fb8aa3b, v76
	v_cndmask_b32_e64 v82, 0, v72, s7
	s_delay_alu instid0(VALU_DEP_3) | instskip(SKIP_1) | instid1(VALU_DEP_4)
	v_dual_mul_f32 v77, 0x3fb8aa3b, v77 :: v_dual_add_f32 v72, v74, v83
	v_fma_f32 v74, s19, v121, -v71
	v_exp_f32_e32 v76, v76
	v_cndmask_b32_e64 v85, 0, v84, s8
	s_delay_alu instid0(VALU_DEP_3) | instskip(SKIP_1) | instid1(TRANS32_DEP_3)
	v_exp_f32_e32 v77, v77
	v_cndmask_b32_e64 v88, 0, v88, s13
	v_cndmask_b32_e64 v84, 0, v75, s9
	v_fma_f32 v75, s19, v123, -v71
	v_add_f32_e32 v72, v72, v82
	s_delay_alu instid0(VALU_DEP_2) | instskip(NEXT) | instid1(VALU_DEP_2)
	v_dual_mul_f32 v74, 0x3fb8aa3b, v74 :: v_dual_mul_f32 v75, 0x3fb8aa3b, v75
	v_add_f32_e32 v72, v72, v85
	s_delay_alu instid0(VALU_DEP_2)
	v_exp_f32_e32 v74, v74
	v_cndmask_b32_e64 v87, 0, v76, s10
	v_fma_f32 v76, s19, v124, -v71
	v_cndmask_b32_e64 v86, 0, v77, s11
	v_add_f32_e32 v72, v72, v84
	v_fma_f32 v77, s19, v125, -v71
	v_exp_f32_e32 v75, v75
	v_mul_f32_e32 v76, 0x3fb8aa3b, v76
	s_delay_alu instid0(VALU_DEP_3) | instskip(NEXT) | instid1(TRANS32_DEP_2)
	v_add_f32_e32 v72, v72, v87
	v_cndmask_b32_e64 v89, 0, v74, s12
	v_mul_f32_e32 v74, 0x3fb8aa3b, v77
	s_delay_alu instid0(VALU_DEP_4) | instskip(SKIP_2) | instid1(VALU_DEP_3)
	v_exp_f32_e32 v76, v76
	v_fma_f32 v77, s19, v126, -v71
	v_add_f32_e32 v72, v72, v86
	v_exp_f32_e32 v74, v74
	s_delay_alu instid0(TRANS32_DEP_3) | instskip(NEXT) | instid1(VALU_DEP_3)
	v_cndmask_b32_e64 v91, 0, v75, s15
	v_mul_f32_e32 v75, 0x3fb8aa3b, v77
	s_delay_alu instid0(VALU_DEP_3) | instskip(NEXT) | instid1(TRANS32_DEP_2)
	v_add_f32_e32 v72, v72, v89
	v_cndmask_b32_e64 v90, 0, v76, s16
	s_delay_alu instid0(VALU_DEP_3) | instskip(NEXT) | instid1(VALU_DEP_2)
	v_exp_f32_e32 v75, v75
	v_add_f32_e32 v72, v72, v88
	s_delay_alu instid0(TRANS32_DEP_2) | instskip(NEXT) | instid1(VALU_DEP_2)
	v_cndmask_b32_e64 v93, 0, v74, s17
	v_add_f32_e32 v72, v72, v91
	s_waitcnt_depctr 0xfff
	v_cndmask_b32_e64 v92, 0, v75, s18
	v_add_f32_e32 v72, v72, v90
	s_delay_alu instid0(VALU_DEP_1) | instskip(NEXT) | instid1(VALU_DEP_1)
	v_add_f32_e32 v72, v72, v93
	v_add_f32_e32 v72, v72, v92
	ds_bpermute_b32 v73, v73, v72
	s_and_saveexec_b32 s4, s3
	s_cbranch_execz .LBB854_12
; %bb.11:
	v_mul_u32_u24_e32 v70, 0x44, v69
	s_waitcnt lgkmcnt(0)
	v_add_f32_e32 v72, v72, v73
	s_delay_alu instid0(VALU_DEP_2) | instskip(NEXT) | instid1(VALU_DEP_1)
	v_lshl_add_u32 v70, v68, 2, v70
	v_add_nc_u32_e32 v70, 0x4000, v70
	ds_store_2addr_b32 v70, v71, v72 offset1:136
.LBB854_12:
	s_or_b32 exec_lo, exec_lo, s4
	v_lshlrev_b32_e32 v70, 2, v68
	s_load_b32 s36, s[0:1], 0x94
	s_waitcnt lgkmcnt(0)
	s_barrier
	buffer_gl0_inv
	v_add_nc_u32_e32 v98, 0x4000, v70
	v_cmp_eq_u32_e32 vcc_lo, 1, v69
	v_cmp_eq_u32_e64 s4, 2, v69
	v_cmp_eq_u32_e64 s5, 3, v69
	;; [unrolled: 1-line block ×3, first 2 shown]
	ds_load_2addr_b32 v[70:71], v98 offset1:17
	ds_load_2addr_b32 v[72:73], v98 offset0:34 offset1:51
	ds_load_2addr_b32 v[74:75], v98 offset0:68 offset1:85
	;; [unrolled: 1-line block ×3, first 2 shown]
	v_cmp_eq_u32_e64 s7, 5, v69
	v_cmp_eq_u32_e64 s8, 7, v69
	s_waitcnt lgkmcnt(3)
	v_max3_f32 v76, v70, 0xff7fffff, v71
	s_waitcnt lgkmcnt(2)
	s_delay_alu instid0(VALU_DEP_1) | instskip(SKIP_1) | instid1(VALU_DEP_1)
	v_max3_f32 v76, v76, v72, v73
	s_waitcnt lgkmcnt(1)
	v_max3_f32 v76, v76, v74, v75
	s_waitcnt lgkmcnt(0)
	s_delay_alu instid0(VALU_DEP_1) | instskip(NEXT) | instid1(VALU_DEP_1)
	v_max3_f32 v76, v76, v94, v95
	v_sub_f32_e32 v77, v71, v76
	ds_load_2addr_b32 v[96:97], v98 offset0:136 offset1:153
	v_sub_f32_e32 v74, v74, v76
	v_sub_f32_e32 v70, v70, v76
	;; [unrolled: 1-line block ×3, first 2 shown]
	v_dual_sub_f32 v72, v72, v76 :: v_dual_mul_f32 v77, 0x3fb8aa3b, v77
	s_delay_alu instid0(VALU_DEP_4) | instskip(NEXT) | instid1(VALU_DEP_4)
	v_mul_f32_e32 v103, 0x3fb8aa3b, v74
	v_mul_f32_e32 v99, 0x3fb8aa3b, v70
	ds_load_2addr_b32 v[70:71], v98 offset0:170 offset1:187
	v_dual_mul_f32 v101, 0x3fb8aa3b, v72 :: v_dual_mul_f32 v94, 0x3fb8aa3b, v94
	v_exp_f32_e32 v102, v77
	v_exp_f32_e32 v99, v99
	s_delay_alu instid0(VALU_DEP_1) | instskip(NEXT) | instid1(VALU_DEP_1)
	v_exp_f32_e32 v101, v101
	v_exp_f32_e32 v94, v94
	s_waitcnt lgkmcnt(1)
	s_delay_alu instid0(TRANS32_DEP_3)
	v_fma_f32 v77, v99, v96, 0
	v_sub_f32_e32 v100, v73, v76
	ds_load_2addr_b32 v[72:73], v98 offset0:204 offset1:221
	v_fmac_f32_e32 v77, v102, v97
	v_exp_f32_e32 v97, v103
	s_waitcnt lgkmcnt(1)
	s_delay_alu instid0(VALU_DEP_1)
	v_dual_fmac_f32 v77, v101, v70 :: v_dual_sub_f32 v96, v75, v76
	ds_load_2addr_b32 v[74:75], v98 offset0:238 offset1:255
	v_sub_f32_e32 v70, v95, v76
	s_waitcnt lgkmcnt(0)
	s_barrier
	v_mul_f32_e32 v96, 0x3fb8aa3b, v96
	buffer_gl0_inv
	v_exp_f32_e32 v95, v96
	v_mul_f32_e32 v100, 0x3fb8aa3b, v100
	s_delay_alu instid0(VALU_DEP_1) | instskip(SKIP_3) | instid1(VALU_DEP_2)
	v_exp_f32_e32 v100, v100
	s_waitcnt_depctr 0xfff
	v_dual_fmac_f32 v77, v100, v71 :: v_dual_mul_f32 v70, 0x3fb8aa3b, v70
	v_cndmask_b32_e32 v71, v99, v102, vcc_lo
	v_fmac_f32_e32 v77, v97, v72
	s_delay_alu instid0(VALU_DEP_3) | instskip(NEXT) | instid1(VALU_DEP_1)
	v_exp_f32_e32 v96, v70
	v_fmac_f32_e32 v77, v95, v73
	s_delay_alu instid0(VALU_DEP_1) | instskip(SKIP_2) | instid1(VALU_DEP_1)
	v_fmac_f32_e32 v77, v94, v74
	s_waitcnt_depctr 0xfff
	v_fmac_f32_e32 v77, v96, v75
	v_add_f32_e32 v74, 0x358637bd, v77
	s_delay_alu instid0(VALU_DEP_1) | instskip(SKIP_1) | instid1(VALU_DEP_2)
	v_div_scale_f32 v98, null, v74, v74, 1.0
	v_div_scale_f32 v99, vcc_lo, 1.0, v74, 1.0
	v_rcp_f32_e32 v103, v98
	s_waitcnt_depctr 0xfff
	v_fma_f32 v70, -v98, v103, 1.0
	s_delay_alu instid0(VALU_DEP_1) | instskip(SKIP_2) | instid1(VALU_DEP_2)
	v_fmac_f32_e32 v103, v70, v103
	v_cndmask_b32_e64 v70, v71, v101, s4
	v_cmp_eq_u32_e64 s4, 6, v69
	v_cndmask_b32_e64 v71, v70, v100, s5
	s_delay_alu instid0(VALU_DEP_4) | instskip(NEXT) | instid1(VALU_DEP_2)
	v_dual_mul_f32 v101, v99, v103 :: v_dual_lshlrev_b32 v70, 2, v66
	v_cndmask_b32_e64 v71, v71, v97, s6
	s_delay_alu instid0(VALU_DEP_2) | instskip(NEXT) | instid1(VALU_DEP_3)
	v_or_b32_e32 v72, 1, v70
	v_fma_f32 v100, -v98, v101, v99
	v_cmp_eq_u32_e64 s5, 1, v70
	v_cmp_eq_u32_e64 s6, 2, v70
	v_cndmask_b32_e64 v95, v71, v95, s7
	v_or_b32_e32 v71, 3, v70
	v_fmac_f32_e32 v101, v100, v103
	v_cmp_eq_u32_e64 s10, 1, v72
	v_cmp_eq_u32_e64 s13, 2, v72
	v_cndmask_b32_e64 v94, v95, v94, s4
	v_cmp_eq_u32_e64 s12, 1, v71
	v_fma_f32 v97, -v98, v101, v99
	v_cmp_eq_u32_e64 s17, 2, v71
	v_cmp_eq_u32_e64 s15, 3, v72
	v_cndmask_b32_e64 v94, v94, v96, s8
	v_cmp_eq_u32_e64 s19, 3, v71
	v_div_fmas_f32 v95, v97, v103, v101
	v_cmp_eq_u32_e32 vcc_lo, 3, v70
	v_cmp_eq_u32_e64 s4, 4, v70
	v_cmp_eq_u32_e64 s20, 4, v72
	;; [unrolled: 1-line block ×3, first 2 shown]
	v_div_fixup_f32 v95, v95, v74, 1.0
	v_lshlrev_b32_e32 v73, 6, v68
	v_cmp_eq_u32_e64 s7, 5, v70
	v_cmp_eq_u32_e64 s21, 5, v72
	;; [unrolled: 1-line block ×3, first 2 shown]
	v_mul_f32_e32 v102, v94, v95
	v_lshl_or_b32 v75, v69, 11, v73
	v_or_b32_e32 v69, 2, v70
	v_cmp_eq_u32_e64 s26, 6, v72
	v_cmp_eq_u32_e64 s28, 6, v71
	v_fma_mixlo_f16 v94, v102, v79, 0
	v_fma_mixlo_f16 v95, v102, v81, 0
	;; [unrolled: 1-line block ×8, first 2 shown]
	v_lshl_or_b32 v74, v66, 4, v75
	v_fma_mixhi_f16 v94, v102, v78, 0
	v_fma_mixhi_f16 v95, v102, v80, 0
	;; [unrolled: 1-line block ×8, first 2 shown]
	ds_store_b128 v74, v[94:97]
	ds_store_b128 v74, v[98:101] offset:1024
	s_waitcnt lgkmcnt(0)
	s_barrier
	buffer_gl0_inv
	ds_load_b128 v[78:81], v75
	ds_load_b128 v[82:85], v75 offset:16
	ds_load_b128 v[86:89], v75 offset:1024
	;; [unrolled: 1-line block ×3, first 2 shown]
	v_cmp_eq_u32_e64 s11, 1, v69
	v_cmp_eq_u32_e64 s16, 2, v69
	;; [unrolled: 1-line block ×11, first 2 shown]
	s_waitcnt lgkmcnt(3)
	v_lshrrev_b32_e32 v94, 16, v78
	s_waitcnt lgkmcnt(2)
	v_lshrrev_b32_e32 v98, 16, v82
	;; [unrolled: 2-line block ×4, first 2 shown]
	v_lshrrev_b32_e32 v95, 16, v79
	v_cndmask_b32_e64 v110, v78, v94, s5
	v_cndmask_b32_e64 v111, v82, v98, s5
	;; [unrolled: 1-line block ×8, first 2 shown]
	v_lshrrev_b32_e32 v99, 16, v83
	v_cndmask_b32_e64 v94, v86, v102, s5
	v_cndmask_b32_e64 v98, v90, v106, s5
	;; [unrolled: 1-line block ×15, first 2 shown]
	v_lshrrev_b32_e32 v103, 16, v87
	v_lshrrev_b32_e32 v107, 16, v91
	v_cndmask_b32_e64 v113, v115, v83, s16
	v_cndmask_b32_e64 v82, v94, v87, s6
	;; [unrolled: 1-line block ×7, first 2 shown]
	v_cndmask_b32_e32 v90, v102, v95, vcc_lo
	v_cndmask_b32_e32 v102, v106, v99, vcc_lo
	v_cndmask_b32_e64 v106, v110, v95, s15
	v_cndmask_b32_e64 v110, v111, v99, s15
	v_cndmask_b32_e64 v78, v78, v95, s19
	v_cndmask_b32_e64 v79, v79, v99, s19
	v_lshrrev_b32_e32 v96, 16, v80
	v_lshrrev_b32_e32 v100, 16, v84
	v_cndmask_b32_e64 v111, v112, v95, s18
	v_cndmask_b32_e64 v112, v113, v99, s18
	v_cndmask_b32_e32 v82, v82, v103, vcc_lo
	v_cndmask_b32_e32 v83, v83, v107, vcc_lo
	v_cndmask_b32_e64 v94, v94, v103, s15
	v_cndmask_b32_e64 v90, v90, v80, s4
	;; [unrolled: 1-line block ×7, first 2 shown]
	v_lshrrev_b32_e32 v104, 16, v88
	v_cndmask_b32_e64 v106, v111, v80, s22
	v_cndmask_b32_e64 v110, v112, v84, s22
	;; [unrolled: 1-line block ×11, first 2 shown]
	v_lshrrev_b32_e32 v97, 16, v81
	v_lshrrev_b32_e32 v101, 16, v85
	v_cndmask_b32_e64 v99, v106, v96, s24
	v_cndmask_b32_e64 v102, v110, v100, s24
	;; [unrolled: 1-line block ×7, first 2 shown]
	v_lshrrev_b32_e32 v105, 16, v89
	v_cndmask_b32_e64 v80, v80, v104, s7
	v_cndmask_b32_e64 v84, v84, v81, s8
	;; [unrolled: 1-line block ×16, first 2 shown]
	v_perm_b32 v81, v79, v78, 0x5040100
	v_perm_b32 v79, v95, v85, 0x5040100
	v_cndmask_b32_e64 v78, v119, v91, s16
	v_cndmask_b32_e64 v85, v117, v91, s13
	;; [unrolled: 1-line block ×3, first 2 shown]
	v_perm_b32 v80, v94, v90, 0x5040100
	v_cndmask_b32_e64 v90, v98, v103, s18
	v_cndmask_b32_e64 v86, v86, v103, s19
	v_cndmask_b32_e64 v87, v87, v107, s19
	v_cndmask_b32_e64 v78, v78, v107, s18
	v_cndmask_b32_e64 v85, v85, v107, s15
	v_lshrrev_b32_e32 v108, 16, v92
	v_cndmask_b32_e64 v90, v90, v88, s22
	v_cndmask_b32_e64 v86, v86, v88, s23
	;; [unrolled: 1-line block ×11, first 2 shown]
	v_lshrrev_b32_e32 v109, 16, v93
	v_cndmask_b32_e64 v82, v82, v93, s8
	v_cndmask_b32_e64 v88, v88, v89, s27
	v_cndmask_b32_e64 v86, v86, v89, s28
	v_cndmask_b32_e64 v87, v87, v93, s28
	v_cndmask_b32_e64 v78, v78, v93, s27
	v_cndmask_b32_e64 v85, v85, v93, s26
	v_cndmask_b32_e64 v88, v88, v105, s29
	v_cndmask_b32_e64 v86, v86, v105, s30
	v_cndmask_b32_e64 v87, v87, v109, s30
	v_cndmask_b32_e64 v89, v78, v109, s29
	v_cndmask_b32_e64 v90, v85, v109, s31
	v_cndmask_b32_e64 v82, v82, v109, s9
	v_perm_b32 v78, v84, v83, 0x5040100
	v_perm_b32 v85, v87, v86, 0x5040100
	v_perm_b32 v84, v89, v88, 0x5040100
	v_perm_b32 v83, v90, v97, 0x5040100
	v_perm_b32 v82, v82, v96, 0x5040100
	s_mul_i32 s9, s35, 5
	s_mov_b32 s4, exec_lo
	ds_store_b128 v74, v[78:81]
	ds_store_b128 v74, v[82:85] offset:1024
	v_cmpx_gt_u32_e32 5, v0
	s_cbranch_execz .LBB854_14
; %bb.13:
	s_mul_i32 s5, s9, s34
	s_load_b128 s[16:19], s[0:1], 0x58
	v_add3_u32 v68, s5, s33, v68
	s_delay_alu instid0(VALU_DEP_1) | instskip(NEXT) | instid1(VALU_DEP_1)
	v_mad_u64_u32 v[78:79], null, v68, s36, s[14:15]
	v_ashrrev_i32_e32 v79, 31, v78
	s_delay_alu instid0(VALU_DEP_1) | instskip(SKIP_1) | instid1(VALU_DEP_1)
	v_lshlrev_b64 v[78:79], 2, v[78:79]
	s_waitcnt lgkmcnt(0)
	v_add_co_u32 v80, vcc_lo, s18, v78
	s_delay_alu instid0(VALU_DEP_2)
	v_add_co_ci_u32_e32 v81, vcc_lo, s19, v79, vcc_lo
	v_add_co_u32 v78, vcc_lo, s16, v78
	v_add_co_ci_u32_e32 v79, vcc_lo, s17, v79, vcc_lo
	global_store_b32 v[80:81], v76, off
	global_store_b32 v[78:79], v77, off
.LBB854_14:
	s_or_b32 exec_lo, exec_lo, s4
	s_waitcnt lgkmcnt(0)
	s_waitcnt_vscnt null, 0x0
	s_barrier
	buffer_gl0_inv
	ds_load_b128 v[84:87], v73
	ds_load_b128 v[88:91], v73 offset:16
	ds_load_b128 v[96:99], v73 offset:2064
	;; [unrolled: 1-line block ×5, first 2 shown]
	v_cmp_eq_u32_e32 vcc_lo, 1, v70
	v_mov_b32_e32 v76, 0
	ds_load_b128 v[112:115], v73 offset:6160
	ds_load_b128 v[108:111], v73 offset:6144
	;; [unrolled: 1-line block ×4, first 2 shown]
	v_cmp_eq_u32_e64 s5, 1, v69
	v_cmp_eq_u32_e64 s4, 1, v72
	;; [unrolled: 1-line block ×3, first 2 shown]
	v_mov_b32_e32 v77, v76
	v_mov_b32_e32 v78, v76
	;; [unrolled: 1-line block ×7, first 2 shown]
	v_cmp_eq_u32_e64 s7, 3, v72
	v_cmp_eq_u32_e64 s8, 7, v72
	s_waitcnt lgkmcnt(8)
	s_delay_alu instid0(VALU_DEP_3)
	v_wmma_f32_16x16x16_f16 v[76:83], v[49:56], v[84:91], v[76:83]
	ds_load_b128 v[53:56], v73 offset:10256
	ds_load_b128 v[49:52], v73 offset:10240
	s_waitcnt lgkmcnt(8)
	v_wmma_f32_16x16x16_f16 v[76:83], v[41:48], v[92:99], v[76:83]
	ds_load_b128 v[45:48], v73 offset:12304
	ds_load_b128 v[41:44], v73 offset:12288
	s_waitcnt lgkmcnt(8)
	;; [unrolled: 4-line block ×3, first 2 shown]
	s_barrier
	buffer_gl0_inv
	v_wmma_f32_16x16x16_f16 v[76:83], v[1:8], v[108:115], v[76:83]
	s_delay_alu instid0(VALU_DEP_1) | instskip(NEXT) | instid1(VALU_DEP_1)
	v_wmma_f32_16x16x16_f16 v[76:83], v[9:16], v[116:123], v[76:83]
	v_wmma_f32_16x16x16_f16 v[76:83], v[17:24], v[49:56], v[76:83]
	s_delay_alu instid0(VALU_DEP_1) | instskip(NEXT) | instid1(VALU_DEP_1)
	v_wmma_f32_16x16x16_f16 v[76:83], v[25:32], v[41:48], v[76:83]
	v_wmma_f32_16x16x16_f16 v[76:83], v[57:64], v[33:40], v[76:83]
	s_delay_alu instid0(VALU_DEP_1) | instskip(NEXT) | instid1(VALU_DEP_2)
	v_cvt_f16_f32_e32 v1, v76
	v_cvt_f16_f32_e32 v2, v77
	s_delay_alu instid0(VALU_DEP_3) | instskip(NEXT) | instid1(VALU_DEP_4)
	v_cvt_f16_f32_e32 v3, v78
	v_cvt_f16_f32_e32 v4, v79
	;; [unrolled: 1-line block ×6, first 2 shown]
	v_pack_b32_f16 v1, v1, v2
	v_pack_b32_f16 v2, v3, v4
	;; [unrolled: 1-line block ×3, first 2 shown]
	s_delay_alu instid0(VALU_DEP_4)
	v_pack_b32_f16 v4, v7, v8
	ds_store_b128 v74, v[1:4]
	s_waitcnt lgkmcnt(0)
	s_barrier
	buffer_gl0_inv
	ds_load_b128 v[1:4], v75
	ds_load_b128 v[5:8], v75 offset:16
	s_waitcnt lgkmcnt(1)
	v_lshrrev_b32_e32 v9, 16, v1
	s_waitcnt lgkmcnt(0)
	v_lshrrev_b32_e32 v13, 16, v5
	v_lshrrev_b32_e32 v10, 16, v2
	v_lshrrev_b32_e32 v14, 16, v6
	v_lshrrev_b32_e32 v11, 16, v3
	v_cndmask_b32_e32 v17, v1, v9, vcc_lo
	v_cndmask_b32_e32 v18, v5, v13, vcc_lo
	v_cndmask_b32_e64 v21, v1, v9, s5
	v_cmp_eq_u32_e32 vcc_lo, 1, v71
	v_cndmask_b32_e64 v22, v5, v13, s5
	v_cmp_eq_u32_e64 s5, 2, v70
	v_cndmask_b32_e64 v19, v1, v9, s4
	v_cndmask_b32_e64 v20, v5, v13, s4
	v_cndmask_b32_e32 v1, v1, v9, vcc_lo
	v_cmp_eq_u32_e64 s4, 2, v71
	v_cndmask_b32_e32 v5, v5, v13, vcc_lo
	v_cndmask_b32_e64 v9, v17, v2, s5
	v_cmp_eq_u32_e32 vcc_lo, 3, v70
	v_cndmask_b32_e64 v13, v18, v6, s5
	v_cmp_eq_u32_e64 s5, 2, v69
	v_cndmask_b32_e64 v17, v19, v2, s6
	v_cndmask_b32_e64 v18, v20, v6, s6
	v_cmp_eq_u32_e64 s6, 3, v69
	v_cndmask_b32_e64 v1, v1, v2, s4
	v_cndmask_b32_e64 v19, v21, v2, s5
	;; [unrolled: 1-line block ×4, first 2 shown]
	v_cndmask_b32_e32 v5, v9, v10, vcc_lo
	v_cndmask_b32_e32 v6, v13, v14, vcc_lo
	v_cmp_eq_u32_e32 vcc_lo, 3, v71
	v_cndmask_b32_e64 v9, v17, v10, s7
	v_cndmask_b32_e64 v13, v18, v14, s7
	;; [unrolled: 1-line block ×3, first 2 shown]
	v_cmp_eq_u32_e64 s5, 4, v70
	v_cndmask_b32_e32 v1, v1, v10, vcc_lo
	v_cndmask_b32_e32 v2, v2, v14, vcc_lo
	v_cmp_eq_u32_e32 vcc_lo, 4, v72
	v_lshrrev_b32_e32 v15, 16, v7
	v_lshrrev_b32_e32 v16, 16, v8
	v_cndmask_b32_e64 v17, v19, v10, s6
	v_cmp_eq_u32_e64 s4, 4, v71
	v_cndmask_b32_e64 v5, v5, v3, s5
	v_cndmask_b32_e64 v6, v6, v7, s5
	v_cndmask_b32_e32 v9, v9, v3, vcc_lo
	v_cmp_eq_u32_e64 s5, 5, v72
	v_cndmask_b32_e32 v10, v13, v7, vcc_lo
	v_cmp_eq_u32_e32 vcc_lo, 4, v69
	v_cmp_eq_u32_e64 s6, 5, v70
	v_cndmask_b32_e64 v2, v2, v7, s4
	v_cndmask_b32_e64 v9, v9, v11, s5
	;; [unrolled: 1-line block ×3, first 2 shown]
	v_cndmask_b32_e32 v13, v17, v3, vcc_lo
	v_cmp_eq_u32_e64 s5, 5, v69
	v_cndmask_b32_e32 v14, v18, v7, vcc_lo
	v_cndmask_b32_e64 v1, v1, v3, s4
	v_cmp_eq_u32_e32 vcc_lo, 5, v71
	v_lshrrev_b32_e32 v12, 16, v4
	v_cndmask_b32_e64 v13, v13, v11, s5
	v_cndmask_b32_e64 v3, v14, v15, s5
	v_cmp_eq_u32_e64 s5, 6, v71
	v_cndmask_b32_e32 v1, v1, v11, vcc_lo
	v_cndmask_b32_e64 v5, v5, v11, s6
	v_cmp_eq_u32_e64 s7, 6, v70
	v_cndmask_b32_e64 v6, v6, v15, s6
	v_cmp_eq_u32_e64 s6, 6, v72
	v_cmp_eq_u32_e64 s4, 6, v69
	v_cndmask_b32_e64 v1, v1, v4, s5
	v_cndmask_b32_e32 v2, v2, v15, vcc_lo
	v_cmp_eq_u32_e32 vcc_lo, 7, v71
	v_cndmask_b32_e64 v5, v5, v4, s7
	v_cndmask_b32_e64 v9, v9, v4, s6
	;; [unrolled: 1-line block ×3, first 2 shown]
	v_cmp_eq_u32_e64 s7, 7, v70
	v_cndmask_b32_e32 v1, v1, v12, vcc_lo
	v_cndmask_b32_e64 v7, v13, v4, s4
	v_cndmask_b32_e64 v3, v3, v8, s4
	;; [unrolled: 1-line block ×3, first 2 shown]
	v_cmp_eq_u32_e64 s4, 7, v69
	v_cndmask_b32_e64 v4, v10, v8, s6
	v_cndmask_b32_e64 v5, v5, v12, s7
	;; [unrolled: 1-line block ×3, first 2 shown]
	v_cndmask_b32_e32 v2, v2, v16, vcc_lo
	v_cndmask_b32_e64 v7, v7, v12, s4
	v_cndmask_b32_e64 v3, v3, v16, s4
	;; [unrolled: 1-line block ×4, first 2 shown]
	v_cmp_gt_u32_e32 vcc_lo, 32, v0
	v_perm_b32 v4, v2, v1, 0x5040100
	v_perm_b32 v3, v3, v7, 0x5040100
	;; [unrolled: 1-line block ×4, first 2 shown]
	s_and_b32 s2, vcc_lo, s2
	ds_store_b128 v74, v[1:4]
	s_waitcnt lgkmcnt(0)
	s_barrier
	buffer_gl0_inv
	s_and_saveexec_b32 s4, s2
	s_cbranch_execz .LBB854_2
; %bb.15:
	s_load_b64 s[4:5], s[0:1], 0x68
	v_lshlrev_b32_e32 v0, 10, v0
	v_add_nc_u32_e32 v2, s33, v66
	v_lshlrev_b32_e32 v3, 4, v67
	s_lshl_b32 s0, s36, 6
	s_delay_alu instid0(SALU_CYCLE_1) | instskip(NEXT) | instid1(VALU_DEP_2)
	s_mul_i32 s1, s0, s34
	v_mul_lo_u32 v1, v2, s0
	s_delay_alu instid0(VALU_DEP_2) | instskip(SKIP_2) | instid1(SALU_CYCLE_1)
	v_and_or_b32 v0, 0x3800, v0, v3
	v_add_nc_u32_e32 v2, 2, v2
	s_mul_i32 s6, s1, s9
	s_ashr_i32 s7, s6, 31
	s_delay_alu instid0(VALU_DEP_2)
	v_lshl_or_b32 v7, v66, 6, v0
	s_lshl_b64 s[6:7], s[6:7], 1
	v_mul_lo_u32 v11, v2, s0
	v_ashrrev_i32_e32 v2, 31, v1
	ds_load_b128 v[3:6], v7
	ds_load_b128 v[7:10], v7 offset:128
	s_waitcnt lgkmcnt(0)
	s_add_u32 s1, s4, s6
	s_addc_u32 s2, s5, s7
	s_lshl_b32 s4, s14, 6
	v_ashrrev_i32_e32 v12, 31, v11
	s_ashr_i32 s5, s4, 31
	v_lshlrev_b64 v[13:14], 1, v[1:2]
	s_lshl_b64 s[4:5], s[4:5], 1
	s_delay_alu instid0(SALU_CYCLE_1) | instskip(SKIP_2) | instid1(VALU_DEP_1)
	s_add_u32 s1, s1, s4
	s_addc_u32 s2, s2, s5
	v_add_co_u32 v1, s1, s1, v65
	v_add_co_ci_u32_e64 v2, null, s2, 0, s1
	v_lshlrev_b64 v[11:12], 1, v[11:12]
	s_delay_alu instid0(VALU_DEP_3) | instskip(NEXT) | instid1(VALU_DEP_3)
	v_add_co_u32 v13, vcc_lo, v1, v13
	v_add_co_ci_u32_e32 v14, vcc_lo, v2, v14, vcc_lo
	s_delay_alu instid0(VALU_DEP_3) | instskip(NEXT) | instid1(VALU_DEP_4)
	v_add_co_u32 v11, vcc_lo, v1, v11
	v_add_co_ci_u32_e32 v12, vcc_lo, v2, v12, vcc_lo
	s_clause 0x1
	global_store_b128 v[13:14], v[3:6], off
	global_store_b128 v[11:12], v[7:10], off
	s_and_b32 exec_lo, exec_lo, s3
	s_cbranch_execz .LBB854_2
; %bb.16:
	ds_load_b128 v[3:6], v0 offset:256
	s_add_i32 s1, s33, 4
	s_delay_alu instid0(SALU_CYCLE_1) | instskip(NEXT) | instid1(SALU_CYCLE_1)
	s_mul_i32 s0, s1, s0
	s_ashr_i32 s1, s0, 31
	s_delay_alu instid0(SALU_CYCLE_1) | instskip(NEXT) | instid1(SALU_CYCLE_1)
	s_lshl_b64 s[0:1], s[0:1], 1
	v_add_co_u32 v0, vcc_lo, v1, s0
	v_add_co_ci_u32_e32 v1, vcc_lo, s1, v2, vcc_lo
	s_waitcnt lgkmcnt(0)
	global_store_b128 v[0:1], v[3:6], off
	s_nop 0
	s_sendmsg sendmsg(MSG_DEALLOC_VGPRS)
	s_endpgm
	.section	.rodata,"a",@progbits
	.p2align	6, 0x0
	.amdhsa_kernel _Z39paged_attention_ll4mi_QKV_mfma16_kernelIDF16_hLN4vllm18Fp8KVCacheDataTypeE1EhLi32ELi64ELi256ELb1ELi5EL8MFMAType1EEvPKT_PKT0_S8_ifPKiSA_SA_iPKfiiiPfSD_PS3_PT2_iSC_SC_
		.amdhsa_group_segment_fixed_size 17472
		.amdhsa_private_segment_fixed_size 0
		.amdhsa_kernarg_size 400
		.amdhsa_user_sgpr_count 13
		.amdhsa_user_sgpr_dispatch_ptr 0
		.amdhsa_user_sgpr_queue_ptr 0
		.amdhsa_user_sgpr_kernarg_segment_ptr 1
		.amdhsa_user_sgpr_dispatch_id 0
		.amdhsa_user_sgpr_private_segment_size 0
		.amdhsa_wavefront_size32 1
		.amdhsa_uses_dynamic_stack 0
		.amdhsa_enable_private_segment 0
		.amdhsa_system_sgpr_workgroup_id_x 1
		.amdhsa_system_sgpr_workgroup_id_y 1
		.amdhsa_system_sgpr_workgroup_id_z 1
		.amdhsa_system_sgpr_workgroup_info 0
		.amdhsa_system_vgpr_workitem_id 0
		.amdhsa_next_free_vgpr 146
		.amdhsa_next_free_sgpr 37
		.amdhsa_reserve_vcc 1
		.amdhsa_float_round_mode_32 0
		.amdhsa_float_round_mode_16_64 0
		.amdhsa_float_denorm_mode_32 3
		.amdhsa_float_denorm_mode_16_64 3
		.amdhsa_dx10_clamp 1
		.amdhsa_ieee_mode 1
		.amdhsa_fp16_overflow 0
		.amdhsa_workgroup_processor_mode 1
		.amdhsa_memory_ordered 1
		.amdhsa_forward_progress 0
		.amdhsa_shared_vgpr_count 0
		.amdhsa_exception_fp_ieee_invalid_op 0
		.amdhsa_exception_fp_denorm_src 0
		.amdhsa_exception_fp_ieee_div_zero 0
		.amdhsa_exception_fp_ieee_overflow 0
		.amdhsa_exception_fp_ieee_underflow 0
		.amdhsa_exception_fp_ieee_inexact 0
		.amdhsa_exception_int_div_zero 0
	.end_amdhsa_kernel
	.section	.text._Z39paged_attention_ll4mi_QKV_mfma16_kernelIDF16_hLN4vllm18Fp8KVCacheDataTypeE1EhLi32ELi64ELi256ELb1ELi5EL8MFMAType1EEvPKT_PKT0_S8_ifPKiSA_SA_iPKfiiiPfSD_PS3_PT2_iSC_SC_,"axG",@progbits,_Z39paged_attention_ll4mi_QKV_mfma16_kernelIDF16_hLN4vllm18Fp8KVCacheDataTypeE1EhLi32ELi64ELi256ELb1ELi5EL8MFMAType1EEvPKT_PKT0_S8_ifPKiSA_SA_iPKfiiiPfSD_PS3_PT2_iSC_SC_,comdat
.Lfunc_end854:
	.size	_Z39paged_attention_ll4mi_QKV_mfma16_kernelIDF16_hLN4vllm18Fp8KVCacheDataTypeE1EhLi32ELi64ELi256ELb1ELi5EL8MFMAType1EEvPKT_PKT0_S8_ifPKiSA_SA_iPKfiiiPfSD_PS3_PT2_iSC_SC_, .Lfunc_end854-_Z39paged_attention_ll4mi_QKV_mfma16_kernelIDF16_hLN4vllm18Fp8KVCacheDataTypeE1EhLi32ELi64ELi256ELb1ELi5EL8MFMAType1EEvPKT_PKT0_S8_ifPKiSA_SA_iPKfiiiPfSD_PS3_PT2_iSC_SC_
                                        ; -- End function
	.section	.AMDGPU.csdata,"",@progbits
; Kernel info:
; codeLenInByte = 6476
; NumSgprs: 39
; NumVgprs: 146
; ScratchSize: 0
; MemoryBound: 0
; FloatMode: 240
; IeeeMode: 1
; LDSByteSize: 17472 bytes/workgroup (compile time only)
; SGPRBlocks: 4
; VGPRBlocks: 18
; NumSGPRsForWavesPerEU: 39
; NumVGPRsForWavesPerEU: 146
; Occupancy: 9
; WaveLimiterHint : 1
; COMPUTE_PGM_RSRC2:SCRATCH_EN: 0
; COMPUTE_PGM_RSRC2:USER_SGPR: 13
; COMPUTE_PGM_RSRC2:TRAP_HANDLER: 0
; COMPUTE_PGM_RSRC2:TGID_X_EN: 1
; COMPUTE_PGM_RSRC2:TGID_Y_EN: 1
; COMPUTE_PGM_RSRC2:TGID_Z_EN: 1
; COMPUTE_PGM_RSRC2:TIDIG_COMP_CNT: 0
	.section	.text._Z39paged_attention_ll4mi_QKV_mfma16_kernelIDF16_hLN4vllm18Fp8KVCacheDataTypeE1EhLi32ELi64ELi256ELb1ELi6EL8MFMAType1EEvPKT_PKT0_S8_ifPKiSA_SA_iPKfiiiPfSD_PS3_PT2_iSC_SC_,"axG",@progbits,_Z39paged_attention_ll4mi_QKV_mfma16_kernelIDF16_hLN4vllm18Fp8KVCacheDataTypeE1EhLi32ELi64ELi256ELb1ELi6EL8MFMAType1EEvPKT_PKT0_S8_ifPKiSA_SA_iPKfiiiPfSD_PS3_PT2_iSC_SC_,comdat
	.protected	_Z39paged_attention_ll4mi_QKV_mfma16_kernelIDF16_hLN4vllm18Fp8KVCacheDataTypeE1EhLi32ELi64ELi256ELb1ELi6EL8MFMAType1EEvPKT_PKT0_S8_ifPKiSA_SA_iPKfiiiPfSD_PS3_PT2_iSC_SC_ ; -- Begin function _Z39paged_attention_ll4mi_QKV_mfma16_kernelIDF16_hLN4vllm18Fp8KVCacheDataTypeE1EhLi32ELi64ELi256ELb1ELi6EL8MFMAType1EEvPKT_PKT0_S8_ifPKiSA_SA_iPKfiiiPfSD_PS3_PT2_iSC_SC_
	.globl	_Z39paged_attention_ll4mi_QKV_mfma16_kernelIDF16_hLN4vllm18Fp8KVCacheDataTypeE1EhLi32ELi64ELi256ELb1ELi6EL8MFMAType1EEvPKT_PKT0_S8_ifPKiSA_SA_iPKfiiiPfSD_PS3_PT2_iSC_SC_
	.p2align	8
	.type	_Z39paged_attention_ll4mi_QKV_mfma16_kernelIDF16_hLN4vllm18Fp8KVCacheDataTypeE1EhLi32ELi64ELi256ELb1ELi6EL8MFMAType1EEvPKT_PKT0_S8_ifPKiSA_SA_iPKfiiiPfSD_PS3_PT2_iSC_SC_,@function
_Z39paged_attention_ll4mi_QKV_mfma16_kernelIDF16_hLN4vllm18Fp8KVCacheDataTypeE1EhLi32ELi64ELi256ELb1ELi6EL8MFMAType1EEvPKT_PKT0_S8_ifPKiSA_SA_iPKfiiiPfSD_PS3_PT2_iSC_SC_: ; @_Z39paged_attention_ll4mi_QKV_mfma16_kernelIDF16_hLN4vllm18Fp8KVCacheDataTypeE1EhLi32ELi64ELi256ELb1ELi6EL8MFMAType1EEvPKT_PKT0_S8_ifPKiSA_SA_iPKfiiiPfSD_PS3_PT2_iSC_SC_
; %bb.0:
	s_load_b64 s[2:3], s[0:1], 0x30
	s_mov_b32 s34, s13
	s_waitcnt lgkmcnt(0)
	s_cmp_lg_u64 s[2:3], 0
	s_cselect_b32 s6, -1, 0
	s_ashr_i32 s35, s13, 31
	s_cmp_eq_u64 s[2:3], 0
	s_cbranch_scc1 .LBB855_3
; %bb.1:
	s_lshl_b64 s[4:5], s[34:35], 2
	s_delay_alu instid0(SALU_CYCLE_1) | instskip(SKIP_4) | instid1(SALU_CYCLE_1)
	s_add_u32 s4, s2, s4
	s_addc_u32 s5, s3, s5
	s_load_b64 s[4:5], s[4:5], 0x0
	s_waitcnt lgkmcnt(0)
	s_sub_i32 s4, s5, s4
	s_cmp_eq_u32 s4, 1
	s_cselect_b32 s4, -1, 0
	s_delay_alu instid0(SALU_CYCLE_1)
	s_and_not1_b32 vcc_lo, exec_lo, s4
	s_cbranch_vccz .LBB855_4
.LBB855_2:
	s_endpgm
.LBB855_3:
.LBB855_4:
	s_load_b64 s[8:9], s[0:1], 0x28
	s_lshl_b64 s[4:5], s[34:35], 2
	s_waitcnt lgkmcnt(0)
	s_add_u32 s8, s8, s4
	s_addc_u32 s9, s9, s5
	s_lshl_b32 s16, s14, 8
	s_load_b32 s18, s[8:9], 0x0
	s_waitcnt lgkmcnt(0)
	s_cmp_ge_i32 s16, s18
	s_cbranch_scc1 .LBB855_2
; %bb.5:
	s_clause 0x1
	s_load_b128 s[8:11], s[0:1], 0x8
	s_load_b64 s[12:13], s[0:1], 0x20
	s_and_not1_b32 vcc_lo, exec_lo, s6
	s_cbranch_vccnz .LBB855_7
; %bb.6:
	s_add_u32 s2, s2, s4
	s_addc_u32 s3, s3, s5
	s_load_b32 s3, s[2:3], 0x0
	s_branch .LBB855_8
.LBB855_7:
	s_mov_b32 s3, s34
.LBB855_8:
	s_load_b128 s[4:7], s[0:1], 0x48
	v_and_b32_e32 v68, 15, v0
	v_cmp_gt_u32_e32 vcc_lo, 0x60, v0
	v_lshrrev_b32_e32 v69, 5, v0
	v_and_b32_e32 v70, 31, v0
	v_and_b32_e32 v67, 1, v0
	v_lshlrev_b32_e32 v1, 3, v68
	v_cmp_gt_u32_e64 s2, 8, v68
	v_bfe_u32 v66, v0, 4, 1
	s_mul_i32 s31, s15, 6
	s_delay_alu instid0(VALU_DEP_3) | instskip(NEXT) | instid1(VALU_DEP_3)
	v_lshlrev_b32_e32 v65, 1, v1
	s_and_b32 s17, vcc_lo, s2
	s_waitcnt lgkmcnt(0)
	s_and_saveexec_b32 s7, s17
	s_cbranch_execz .LBB855_10
; %bb.9:
	s_load_b64 s[20:21], s[0:1], 0x0
	v_lshl_or_b32 v5, v69, 1, v66
	s_mul_hi_i32 s23, s3, s4
	s_mul_i32 s22, s3, s4
	v_lshlrev_b32_e32 v6, 10, v68
	s_lshl_b64 s[22:23], s[22:23], 1
	v_add_lshl_u32 v1, v5, s31, 6
	v_lshlrev_b32_e32 v5, 6, v5
	v_lshlrev_b32_e32 v7, 10, v67
	v_and_b32_e32 v6, 0x3800, v6
	s_delay_alu instid0(VALU_DEP_4) | instskip(NEXT) | instid1(VALU_DEP_2)
	v_ashrrev_i32_e32 v2, 31, v1
	v_or3_b32 v5, v6, v7, v5
	s_delay_alu instid0(VALU_DEP_2) | instskip(SKIP_3) | instid1(VALU_DEP_1)
	v_lshlrev_b64 v[1:2], 1, v[1:2]
	s_waitcnt lgkmcnt(0)
	s_add_u32 s3, s20, s22
	s_addc_u32 s4, s21, s23
	v_add_co_u32 v1, vcc_lo, s3, v1
	s_delay_alu instid0(VALU_DEP_2) | instskip(NEXT) | instid1(VALU_DEP_2)
	v_add_co_ci_u32_e32 v2, vcc_lo, s4, v2, vcc_lo
	v_add_co_u32 v1, vcc_lo, v1, v65
	s_delay_alu instid0(VALU_DEP_2)
	v_add_co_ci_u32_e32 v2, vcc_lo, 0, v2, vcc_lo
	global_load_b128 v[1:4], v[1:2], off
	s_waitcnt vmcnt(0)
	ds_store_b128 v5, v[1:4]
.LBB855_10:
	s_or_b32 exec_lo, exec_lo, s7
	v_and_b32_e32 v1, 0xef, v0
	s_add_i32 s3, s18, 31
	s_clause 0x1
	s_load_b32 s4, s[0:1], 0x38
	s_load_b32 s33, s[0:1], 0x98
	s_ashr_i32 s7, s3, 31
	v_add_nc_u32_e32 v1, s16, v1
	s_lshr_b32 s7, s7, 27
	s_load_b32 s19, s[0:1], 0x1c
	s_add_i32 s3, s3, s7
	s_waitcnt lgkmcnt(0)
	v_ashrrev_i32_e32 v2, 31, v1
	v_or_b32_e32 v3, 16, v1
	s_ashr_i32 s3, s3, 5
	v_cmp_gt_i32_e32 vcc_lo, s18, v1
	s_add_i32 s3, s3, -1
	v_lshrrev_b32_e32 v2, 27, v2
	s_barrier
	buffer_gl0_inv
	s_mul_i32 s15, s15, s6
	v_mul_lo_u16 v103, v68, 43
	v_add_nc_u32_e32 v4, v1, v2
	v_mbcnt_lo_u32_b32 v127, -1, 0
	s_mul_i32 s20, s34, s4
	s_delay_alu instid0(SALU_CYCLE_1) | instskip(NEXT) | instid1(VALU_DEP_2)
	s_ashr_i32 s21, s20, 31
	v_ashrrev_i32_e32 v4, 5, v4
	v_add_nc_u32_e32 v2, v3, v2
	s_lshl_b64 s[20:21], s[20:21], 2
	v_lshrrev_b16 v103, 8, v103
	s_add_u32 s17, s12, s20
	v_cndmask_b32_e32 v1, s3, v4, vcc_lo
	v_ashrrev_i32_e32 v2, 5, v2
	v_cmp_gt_i32_e32 vcc_lo, s18, v3
	s_addc_u32 s13, s13, s21
	s_ashr_i32 s20, s15, 31
	s_add_u32 s22, s8, s15
	s_addc_u32 s23, s9, s20
	v_cndmask_b32_e32 v3, s3, v2, vcc_lo
	v_ashrrev_i32_e32 v2, 31, v1
	s_lshl_b32 s6, s14, 3
	v_mul_lo_u16 v103, v103, 6
	s_ashr_i32 s7, s6, 31
	v_ashrrev_i32_e32 v4, 31, v3
	v_lshlrev_b64 v[1:2], 2, v[1:2]
	s_lshl_b64 s[6:7], s[6:7], 2
	v_sub_nc_u16 v103, v68, v103
	s_add_u32 s6, s17, s6
	v_lshlrev_b64 v[3:4], 2, v[3:4]
	s_addc_u32 s7, s13, s7
	v_add_co_u32 v1, vcc_lo, s17, v1
	v_add_co_ci_u32_e32 v2, vcc_lo, s13, v2, vcc_lo
	s_delay_alu instid0(VALU_DEP_3) | instskip(NEXT) | instid1(VALU_DEP_4)
	v_add_co_u32 v3, vcc_lo, s17, v3
	v_add_co_ci_u32_e32 v4, vcc_lo, s13, v4, vcc_lo
	s_clause 0x1
	global_load_b32 v5, v[1:2], off
	global_load_b32 v6, v[3:4], off
	s_or_b32 s4, s16, 32
	v_xor_b32_e32 v128, 16, v127
	s_ashr_i32 s8, s4, 5
	s_cmp_lt_i32 s4, s18
	s_cselect_b32 s8, s8, s3
	s_delay_alu instid0(SALU_CYCLE_1) | instskip(NEXT) | instid1(SALU_CYCLE_1)
	s_ashr_i32 s9, s8, 31
	s_lshl_b64 s[8:9], s[8:9], 2
	s_delay_alu instid0(SALU_CYCLE_1) | instskip(SKIP_2) | instid1(SALU_CYCLE_1)
	s_add_u32 s8, s17, s8
	s_addc_u32 s9, s13, s9
	s_or_b32 s4, s16, 64
	s_ashr_i32 s12, s4, 5
	s_cmp_lt_i32 s4, s18
	s_cselect_b32 s24, s12, s3
	s_delay_alu instid0(SALU_CYCLE_1) | instskip(NEXT) | instid1(SALU_CYCLE_1)
	s_ashr_i32 s25, s24, 31
	s_lshl_b64 s[24:25], s[24:25], 2
	s_delay_alu instid0(SALU_CYCLE_1) | instskip(SKIP_2) | instid1(SALU_CYCLE_1)
	s_add_u32 s24, s17, s24
	s_addc_u32 s25, s13, s25
	s_or_b32 s4, s16, 0x60
	;; [unrolled: 10-line block ×4, first 2 shown]
	s_ashr_i32 s12, s4, 5
	s_cmp_lt_i32 s4, s18
	s_cselect_b32 s36, s12, s3
	s_delay_alu instid0(SALU_CYCLE_1) | instskip(NEXT) | instid1(SALU_CYCLE_1)
	s_ashr_i32 s37, s36, 31
	s_lshl_b64 s[36:37], s[36:37], 2
	s_delay_alu instid0(SALU_CYCLE_1)
	s_add_u32 s36, s17, s36
	s_addc_u32 s37, s13, s37
	s_clause 0x5
	s_load_b32 s12, s[6:7], 0x0
	s_load_b32 s4, s[8:9], 0x0
	;; [unrolled: 1-line block ×6, first 2 shown]
	s_or_b32 s21, s16, 0xc0
	s_waitcnt vmcnt(1)
	v_mad_i64_i32 v[1:2], null, v5, s5, s[22:23]
	v_lshlrev_b32_e32 v5, 4, v68
	s_waitcnt vmcnt(0)
	v_mad_i64_i32 v[3:4], null, v6, s5, s[22:23]
	s_ashr_i32 s22, s21, 5
	s_cmp_lt_i32 s21, s18
	s_delay_alu instid0(VALU_DEP_3) | instskip(NEXT) | instid1(VALU_DEP_4)
	v_add_co_u32 v1, vcc_lo, v1, v5
	v_add_co_ci_u32_e32 v2, vcc_lo, 0, v2, vcc_lo
	s_delay_alu instid0(VALU_DEP_3) | instskip(NEXT) | instid1(VALU_DEP_4)
	v_add_co_u32 v3, vcc_lo, v3, v5
	v_add_co_ci_u32_e32 v4, vcc_lo, 0, v4, vcc_lo
	s_clause 0x7
	global_load_b128 v[71:74], v[1:2], off
	global_load_b128 v[75:78], v[1:2], off offset:512
	global_load_b128 v[79:82], v[3:4], off offset:256
	;; [unrolled: 1-line block ×7, first 2 shown]
	s_cselect_b32 s22, s22, s3
	v_lshlrev_b32_e32 v1, 5, v68
	s_ashr_i32 s23, s22, 31
	v_cmp_gt_i32_e32 vcc_lo, 32, v128
	s_lshl_b64 s[22:23], s[22:23], 2
	v_and_b32_e32 v103, 0xff, v103
	s_add_u32 s22, s17, s22
	s_addc_u32 s23, s13, s23
	v_cndmask_b32_e32 v136, v127, v128, vcc_lo
	s_or_b32 s21, s16, 0xe0
	v_lshl_or_b32 v1, v69, 9, v1
	s_ashr_i32 s24, s21, 5
	s_cmp_lt_i32 s21, s18
	v_lshlrev_b32_e32 v115, 6, v103
	s_cselect_b32 s24, s24, s3
	s_load_b32 s3, s[22:23], 0x0
	s_ashr_i32 s25, s24, 31
	s_delay_alu instid0(SALU_CYCLE_1) | instskip(NEXT) | instid1(SALU_CYCLE_1)
	s_lshl_b64 s[24:25], s[24:25], 2
	s_add_u32 s22, s17, s24
	s_addc_u32 s23, s13, s25
	s_add_u32 s10, s10, s15
	s_addc_u32 s11, s11, s20
	v_add_co_u32 v1, s10, s10, v1
	s_delay_alu instid0(VALU_DEP_1) | instskip(SKIP_2) | instid1(VALU_DEP_1)
	v_add_co_ci_u32_e64 v2, null, s11, 0, s10
	s_load_b32 s10, s[22:23], 0x0
	s_waitcnt lgkmcnt(0)
	v_mad_i64_i32 v[3:4], null, s12, s5, v[1:2]
	v_mad_i64_i32 v[9:10], null, s7, s5, v[1:2]
	;; [unrolled: 1-line block ×7, first 2 shown]
	s_clause 0x5
	global_load_b128 v[49:52], v[3:4], off
	global_load_b128 v[53:56], v[3:4], off offset:16
	global_load_b128 v[41:44], v[5:6], off
	global_load_b128 v[45:48], v[5:6], off offset:16
	;; [unrolled: 2-line block ×3, first 2 shown]
	s_mov_b32 s4, 0
	v_mad_i64_i32 v[61:62], null, s10, s5, v[1:2]
	s_clause 0x9
	global_load_b128 v[1:4], v[9:10], off
	global_load_b128 v[5:8], v[9:10], off offset:16
	global_load_b128 v[9:12], v[13:14], off
	global_load_b128 v[13:16], v[13:14], off offset:16
	;; [unrolled: 2-line block ×5, first 2 shown]
	s_mov_b32 s5, s4
	s_mov_b32 s6, s4
	;; [unrolled: 1-line block ×7, first 2 shown]
	v_and_b32_e32 v104, 0xe0, v0
	v_dual_mov_b32 v126, s11 :: v_dual_mov_b32 v123, s8
	v_dual_mov_b32 v125, s10 :: v_dual_mov_b32 v124, s9
	s_delay_alu instid0(VALU_DEP_3)
	v_add_nc_u32_e32 v111, s16, v104
	ds_load_b128 v[103:106], v115
	ds_load_b128 v[107:110], v115 offset:1024
	v_dual_mov_b32 v122, s7 :: v_dual_mov_b32 v121, s6
	v_mov_b32_e32 v120, s5
	v_or_b32_e32 v135, v111, v66
	ds_load_b128 v[111:114], v115 offset:2048
	ds_load_b128 v[115:118], v115 offset:3072
	v_mov_b32_e32 v119, s4
	s_waitcnt vmcnt(0) lgkmcnt(0)
	s_barrier
	v_or_b32_e32 v137, 2, v135
	v_or_b32_e32 v138, 4, v135
	;; [unrolled: 1-line block ×3, first 2 shown]
	v_cmp_gt_i32_e32 vcc_lo, s18, v135
	v_or_b32_e32 v140, 8, v135
	v_cmp_gt_i32_e64 s3, s18, v137
	v_or_b32_e32 v141, 10, v135
	v_cmp_gt_i32_e64 s4, s18, v138
	v_cmp_gt_i32_e64 s5, s18, v139
	v_or_b32_e32 v142, 12, v135
	v_or_b32_e32 v143, 14, v135
	v_cmp_gt_i32_e64 s6, s18, v140
	v_cmp_gt_i32_e64 s7, s18, v141
	v_or_b32_e32 v144, 16, v135
	v_or_b32_e32 v145, 18, v135
	v_cmp_gt_i32_e64 s8, s18, v142
	v_cmp_gt_i32_e64 s9, s18, v143
	buffer_gl0_inv
	v_cmp_gt_i32_e64 s10, s18, v144
	v_cmp_gt_i32_e64 s11, s18, v145
	v_wmma_f32_16x16x16_f16 v[127:134], v[71:78], v[103:110], v[119:126]
	v_wmma_f32_16x16x16_f16 v[119:126], v[79:86], v[103:110], v[119:126]
	v_or_b32_e32 v71, 20, v135
	v_or_b32_e32 v72, 22, v135
	s_delay_alu instid0(VALU_DEP_4)
	v_wmma_f32_16x16x16_f16 v[127:134], v[87:94], v[111:118], v[127:134]
	v_or_b32_e32 v73, 24, v135
	v_wmma_f32_16x16x16_f16 v[119:126], v[95:102], v[111:118], v[119:126]
	v_or_b32_e32 v74, 26, v135
	v_cmp_gt_i32_e64 s12, s18, v71
	v_dual_mul_f32 v84, s19, v127 :: v_dual_mul_f32 v83, s19, v128
	s_delay_alu instid0(VALU_DEP_4) | instskip(SKIP_2) | instid1(VALU_DEP_4)
	v_dual_mul_f32 v92, s19, v119 :: v_dual_mul_f32 v81, s19, v130
	v_mul_f32_e32 v90, s19, v121
	v_mul_f32_e32 v82, s19, v129
	v_cndmask_b32_e32 v84, 0xff7fffff, v84, vcc_lo
	v_cndmask_b32_e64 v83, 0xff7fffff, v83, s3
	v_dual_mul_f32 v79, s19, v132 :: v_dual_mul_f32 v88, s19, v123
	v_mul_f32_e32 v80, s19, v131
	v_cndmask_b32_e64 v82, 0xff7fffff, v82, s4
	v_cndmask_b32_e64 v81, 0xff7fffff, v81, s5
	v_max3_f32 v83, v84, 0xff7fffff, v83
	v_dual_mul_f32 v77, s19, v134 :: v_dual_mul_f32 v86, s19, v125
	v_mul_f32_e32 v78, s19, v133
	v_cndmask_b32_e64 v80, 0xff7fffff, v80, s6
	v_cndmask_b32_e64 v79, 0xff7fffff, v79, s7
	v_max3_f32 v81, v83, v82, v81
	v_mul_f32_e32 v91, s19, v120
	v_cndmask_b32_e64 v78, 0xff7fffff, v78, s8
	v_cndmask_b32_e64 v77, 0xff7fffff, v77, s9
	v_mul_f32_e32 v89, s19, v122
	v_max3_f32 v79, v81, v80, v79
	v_cndmask_b32_e64 v80, 0xff7fffff, v92, s10
	v_cndmask_b32_e64 v81, 0xff7fffff, v91, s11
	v_cmp_gt_i32_e64 s13, s18, v72
	v_or_b32_e32 v75, 28, v135
	v_max3_f32 v77, v79, v78, v77
	v_or_b32_e32 v76, 30, v135
	v_mul_f32_e32 v87, s19, v124
	v_cndmask_b32_e64 v71, 0xff7fffff, v90, s12
	v_cndmask_b32_e64 v72, 0xff7fffff, v89, s13
	v_max3_f32 v77, v77, v80, v81
	v_cmp_gt_i32_e64 s15, s18, v73
	v_cmp_gt_i32_e64 s16, s18, v74
	v_mul_f32_e32 v85, s19, v126
	v_cmp_gt_i32_e64 s17, s18, v75
	v_max3_f32 v71, v77, v71, v72
	v_cndmask_b32_e64 v73, 0xff7fffff, v88, s15
	v_cndmask_b32_e64 v74, 0xff7fffff, v87, s16
	v_cmp_gt_i32_e64 s18, s18, v76
	v_cndmask_b32_e64 v72, 0xff7fffff, v86, s17
	s_delay_alu instid0(VALU_DEP_3) | instskip(NEXT) | instid1(VALU_DEP_3)
	v_max3_f32 v71, v71, v73, v74
	v_cndmask_b32_e64 v75, 0xff7fffff, v85, s18
	v_lshlrev_b32_e32 v73, 2, v136
	s_delay_alu instid0(VALU_DEP_2) | instskip(SKIP_3) | instid1(VALU_DEP_1)
	v_max3_f32 v71, v71, v72, v75
	ds_bpermute_b32 v72, v73, v71
	s_waitcnt lgkmcnt(0)
	v_max_f32_e32 v72, v72, v72
	v_max_f32_e32 v71, v71, v72
	s_delay_alu instid0(VALU_DEP_1) | instskip(SKIP_2) | instid1(VALU_DEP_3)
	v_fma_f32 v72, s19, v127, -v71
	v_fma_f32 v74, s19, v128, -v71
	;; [unrolled: 1-line block ×3, first 2 shown]
	v_mul_f32_e32 v72, 0x3fb8aa3b, v72
	s_delay_alu instid0(VALU_DEP_2) | instskip(NEXT) | instid1(VALU_DEP_2)
	v_dual_mul_f32 v74, 0x3fb8aa3b, v74 :: v_dual_mul_f32 v75, 0x3fb8aa3b, v75
	v_exp_f32_e32 v72, v72
	s_delay_alu instid0(VALU_DEP_1) | instskip(NEXT) | instid1(VALU_DEP_1)
	v_exp_f32_e32 v74, v74
	v_exp_f32_e32 v75, v75
	s_delay_alu instid0(TRANS32_DEP_3)
	v_cndmask_b32_e32 v79, 0, v72, vcc_lo
	s_waitcnt_depctr 0xfff
	v_cndmask_b32_e64 v78, 0, v74, s3
	v_cndmask_b32_e64 v81, 0, v75, s4
	s_mov_b32 s3, exec_lo
	v_add_f32_e32 v74, 0, v79
	s_delay_alu instid0(VALU_DEP_1) | instskip(NEXT) | instid1(VALU_DEP_1)
	v_add_f32_e32 v74, v74, v78
	v_add_f32_e32 v74, v74, v81
	v_fma_f32 v76, s19, v130, -v71
	v_fma_f32 v77, s19, v131, -v71
	;; [unrolled: 1-line block ×5, first 2 shown]
	s_delay_alu instid0(VALU_DEP_4) | instskip(NEXT) | instid1(VALU_DEP_4)
	v_dual_mul_f32 v76, 0x3fb8aa3b, v76 :: v_dual_mul_f32 v77, 0x3fb8aa3b, v77
	v_mul_f32_e32 v72, 0x3fb8aa3b, v72
	s_delay_alu instid0(VALU_DEP_4) | instskip(SKIP_1) | instid1(VALU_DEP_4)
	v_mul_f32_e32 v82, 0x3fb8aa3b, v80
	v_fma_f32 v86, s19, v122, -v71
	v_exp_f32_e32 v76, v76
	v_exp_f32_e32 v77, v77
	;; [unrolled: 1-line block ×4, first 2 shown]
	v_mul_f32_e32 v86, 0x3fb8aa3b, v86
	s_delay_alu instid0(VALU_DEP_1)
	v_exp_f32_e32 v88, v86
	v_cndmask_b32_e64 v80, 0, v76, s5
	v_mul_f32_e32 v75, 0x3fb8aa3b, v75
	v_fma_f32 v76, s19, v119, -v71
	v_cndmask_b32_e64 v83, 0, v77, s6
	v_fma_f32 v77, s19, v120, -v71
	v_add_f32_e32 v74, v74, v80
	v_exp_f32_e32 v75, v75
	v_mul_f32_e32 v76, 0x3fb8aa3b, v76
	v_cndmask_b32_e64 v82, 0, v72, s7
	s_delay_alu instid0(VALU_DEP_3) | instskip(SKIP_1) | instid1(VALU_DEP_4)
	v_dual_mul_f32 v77, 0x3fb8aa3b, v77 :: v_dual_add_f32 v72, v74, v83
	v_fma_f32 v74, s19, v121, -v71
	v_exp_f32_e32 v76, v76
	v_cndmask_b32_e64 v85, 0, v84, s8
	s_delay_alu instid0(VALU_DEP_3) | instskip(SKIP_1) | instid1(TRANS32_DEP_3)
	v_exp_f32_e32 v77, v77
	v_cndmask_b32_e64 v88, 0, v88, s13
	v_cndmask_b32_e64 v84, 0, v75, s9
	v_fma_f32 v75, s19, v123, -v71
	v_add_f32_e32 v72, v72, v82
	s_delay_alu instid0(VALU_DEP_2) | instskip(NEXT) | instid1(VALU_DEP_2)
	v_dual_mul_f32 v74, 0x3fb8aa3b, v74 :: v_dual_mul_f32 v75, 0x3fb8aa3b, v75
	v_add_f32_e32 v72, v72, v85
	s_delay_alu instid0(VALU_DEP_2)
	v_exp_f32_e32 v74, v74
	v_cndmask_b32_e64 v87, 0, v76, s10
	v_fma_f32 v76, s19, v124, -v71
	v_cndmask_b32_e64 v86, 0, v77, s11
	v_add_f32_e32 v72, v72, v84
	v_fma_f32 v77, s19, v125, -v71
	v_exp_f32_e32 v75, v75
	v_mul_f32_e32 v76, 0x3fb8aa3b, v76
	s_delay_alu instid0(VALU_DEP_3) | instskip(NEXT) | instid1(TRANS32_DEP_2)
	v_add_f32_e32 v72, v72, v87
	v_cndmask_b32_e64 v89, 0, v74, s12
	v_mul_f32_e32 v74, 0x3fb8aa3b, v77
	s_delay_alu instid0(VALU_DEP_4) | instskip(SKIP_2) | instid1(VALU_DEP_3)
	v_exp_f32_e32 v76, v76
	v_fma_f32 v77, s19, v126, -v71
	v_add_f32_e32 v72, v72, v86
	v_exp_f32_e32 v74, v74
	s_delay_alu instid0(TRANS32_DEP_3) | instskip(NEXT) | instid1(VALU_DEP_3)
	v_cndmask_b32_e64 v91, 0, v75, s15
	v_mul_f32_e32 v75, 0x3fb8aa3b, v77
	s_delay_alu instid0(VALU_DEP_3) | instskip(NEXT) | instid1(TRANS32_DEP_2)
	v_add_f32_e32 v72, v72, v89
	v_cndmask_b32_e64 v90, 0, v76, s16
	s_delay_alu instid0(VALU_DEP_3) | instskip(NEXT) | instid1(VALU_DEP_2)
	v_exp_f32_e32 v75, v75
	v_add_f32_e32 v72, v72, v88
	s_delay_alu instid0(TRANS32_DEP_2) | instskip(NEXT) | instid1(VALU_DEP_2)
	v_cndmask_b32_e64 v93, 0, v74, s17
	v_add_f32_e32 v72, v72, v91
	s_waitcnt_depctr 0xfff
	v_cndmask_b32_e64 v92, 0, v75, s18
	v_add_f32_e32 v72, v72, v90
	s_delay_alu instid0(VALU_DEP_1) | instskip(NEXT) | instid1(VALU_DEP_1)
	v_add_f32_e32 v72, v72, v93
	v_add_f32_e32 v72, v72, v92
	ds_bpermute_b32 v73, v73, v72
	v_cmpx_gt_u32_e32 16, v70
	s_cbranch_execz .LBB855_12
; %bb.11:
	v_mul_u32_u24_e32 v70, 0x44, v69
	s_waitcnt lgkmcnt(0)
	v_add_f32_e32 v72, v72, v73
	s_delay_alu instid0(VALU_DEP_2) | instskip(NEXT) | instid1(VALU_DEP_1)
	v_lshl_add_u32 v70, v68, 2, v70
	v_add_nc_u32_e32 v70, 0x4000, v70
	ds_store_2addr_b32 v70, v71, v72 offset1:136
.LBB855_12:
	s_or_b32 exec_lo, exec_lo, s3
	v_lshlrev_b32_e32 v70, 2, v68
	s_load_b32 s35, s[0:1], 0x94
	s_waitcnt lgkmcnt(0)
	s_barrier
	buffer_gl0_inv
	v_add_nc_u32_e32 v98, 0x4000, v70
	v_cmp_eq_u32_e32 vcc_lo, 1, v69
	v_cmp_eq_u32_e64 s3, 2, v69
	v_cmp_eq_u32_e64 s4, 3, v69
	;; [unrolled: 1-line block ×3, first 2 shown]
	ds_load_2addr_b32 v[70:71], v98 offset1:17
	ds_load_2addr_b32 v[72:73], v98 offset0:34 offset1:51
	ds_load_2addr_b32 v[74:75], v98 offset0:68 offset1:85
	;; [unrolled: 1-line block ×3, first 2 shown]
	v_cmp_eq_u32_e64 s6, 5, v69
	v_cmp_eq_u32_e64 s7, 7, v69
	s_waitcnt lgkmcnt(3)
	v_max3_f32 v76, v70, 0xff7fffff, v71
	s_waitcnt lgkmcnt(2)
	s_delay_alu instid0(VALU_DEP_1) | instskip(SKIP_1) | instid1(VALU_DEP_1)
	v_max3_f32 v76, v76, v72, v73
	s_waitcnt lgkmcnt(1)
	v_max3_f32 v76, v76, v74, v75
	s_waitcnt lgkmcnt(0)
	s_delay_alu instid0(VALU_DEP_1) | instskip(NEXT) | instid1(VALU_DEP_1)
	v_max3_f32 v76, v76, v94, v95
	v_sub_f32_e32 v77, v71, v76
	ds_load_2addr_b32 v[96:97], v98 offset0:136 offset1:153
	v_sub_f32_e32 v74, v74, v76
	v_sub_f32_e32 v70, v70, v76
	;; [unrolled: 1-line block ×3, first 2 shown]
	v_dual_sub_f32 v72, v72, v76 :: v_dual_mul_f32 v77, 0x3fb8aa3b, v77
	s_delay_alu instid0(VALU_DEP_4) | instskip(NEXT) | instid1(VALU_DEP_4)
	v_mul_f32_e32 v103, 0x3fb8aa3b, v74
	v_mul_f32_e32 v99, 0x3fb8aa3b, v70
	ds_load_2addr_b32 v[70:71], v98 offset0:170 offset1:187
	v_dual_mul_f32 v101, 0x3fb8aa3b, v72 :: v_dual_mul_f32 v94, 0x3fb8aa3b, v94
	v_exp_f32_e32 v102, v77
	v_exp_f32_e32 v99, v99
	s_delay_alu instid0(VALU_DEP_1) | instskip(NEXT) | instid1(VALU_DEP_1)
	v_exp_f32_e32 v101, v101
	v_exp_f32_e32 v94, v94
	s_waitcnt lgkmcnt(1)
	s_delay_alu instid0(TRANS32_DEP_3)
	v_fma_f32 v77, v99, v96, 0
	v_sub_f32_e32 v100, v73, v76
	ds_load_2addr_b32 v[72:73], v98 offset0:204 offset1:221
	v_fmac_f32_e32 v77, v102, v97
	v_exp_f32_e32 v97, v103
	s_waitcnt lgkmcnt(1)
	s_delay_alu instid0(VALU_DEP_1)
	v_dual_fmac_f32 v77, v101, v70 :: v_dual_sub_f32 v96, v75, v76
	ds_load_2addr_b32 v[74:75], v98 offset0:238 offset1:255
	v_sub_f32_e32 v70, v95, v76
	s_waitcnt lgkmcnt(0)
	s_barrier
	v_mul_f32_e32 v96, 0x3fb8aa3b, v96
	buffer_gl0_inv
	v_exp_f32_e32 v95, v96
	v_mul_f32_e32 v100, 0x3fb8aa3b, v100
	s_delay_alu instid0(VALU_DEP_1) | instskip(SKIP_3) | instid1(VALU_DEP_2)
	v_exp_f32_e32 v100, v100
	s_waitcnt_depctr 0xfff
	v_dual_fmac_f32 v77, v100, v71 :: v_dual_mul_f32 v70, 0x3fb8aa3b, v70
	v_cndmask_b32_e32 v71, v99, v102, vcc_lo
	v_fmac_f32_e32 v77, v97, v72
	s_delay_alu instid0(VALU_DEP_3) | instskip(NEXT) | instid1(VALU_DEP_1)
	v_exp_f32_e32 v96, v70
	v_fmac_f32_e32 v77, v95, v73
	s_delay_alu instid0(VALU_DEP_1) | instskip(SKIP_2) | instid1(VALU_DEP_1)
	v_fmac_f32_e32 v77, v94, v74
	s_waitcnt_depctr 0xfff
	v_fmac_f32_e32 v77, v96, v75
	v_add_f32_e32 v74, 0x358637bd, v77
	s_delay_alu instid0(VALU_DEP_1) | instskip(SKIP_1) | instid1(VALU_DEP_2)
	v_div_scale_f32 v98, null, v74, v74, 1.0
	v_div_scale_f32 v99, vcc_lo, 1.0, v74, 1.0
	v_rcp_f32_e32 v103, v98
	s_waitcnt_depctr 0xfff
	v_fma_f32 v70, -v98, v103, 1.0
	s_delay_alu instid0(VALU_DEP_1) | instskip(SKIP_2) | instid1(VALU_DEP_2)
	v_fmac_f32_e32 v103, v70, v103
	v_cndmask_b32_e64 v70, v71, v101, s3
	v_cmp_eq_u32_e64 s3, 6, v69
	v_cndmask_b32_e64 v71, v70, v100, s4
	s_delay_alu instid0(VALU_DEP_4) | instskip(NEXT) | instid1(VALU_DEP_2)
	v_dual_mul_f32 v101, v99, v103 :: v_dual_lshlrev_b32 v70, 2, v66
	v_cndmask_b32_e64 v71, v71, v97, s5
	s_delay_alu instid0(VALU_DEP_2) | instskip(NEXT) | instid1(VALU_DEP_3)
	v_or_b32_e32 v72, 1, v70
	v_fma_f32 v100, -v98, v101, v99
	v_cmp_eq_u32_e64 s4, 1, v70
	v_cmp_eq_u32_e64 s5, 2, v70
	v_cndmask_b32_e64 v95, v71, v95, s6
	v_or_b32_e32 v71, 3, v70
	v_fmac_f32_e32 v101, v100, v103
	v_cmp_eq_u32_e64 s9, 1, v72
	v_cmp_eq_u32_e64 s12, 2, v72
	v_cndmask_b32_e64 v94, v95, v94, s3
	v_cmp_eq_u32_e64 s11, 1, v71
	v_fma_f32 v97, -v98, v101, v99
	v_cmp_eq_u32_e64 s16, 2, v71
	v_cmp_eq_u32_e64 s13, 3, v72
	v_cndmask_b32_e64 v94, v94, v96, s7
	v_cmp_eq_u32_e64 s18, 3, v71
	v_div_fmas_f32 v95, v97, v103, v101
	v_cmp_eq_u32_e32 vcc_lo, 3, v70
	v_cmp_eq_u32_e64 s3, 4, v70
	v_cmp_eq_u32_e64 s19, 4, v72
	;; [unrolled: 1-line block ×3, first 2 shown]
	v_div_fixup_f32 v95, v95, v74, 1.0
	v_lshlrev_b32_e32 v73, 6, v68
	v_cmp_eq_u32_e64 s6, 5, v70
	v_cmp_eq_u32_e64 s20, 5, v72
	;; [unrolled: 1-line block ×3, first 2 shown]
	v_mul_f32_e32 v102, v94, v95
	v_lshl_or_b32 v75, v69, 11, v73
	v_or_b32_e32 v69, 2, v70
	v_cmp_eq_u32_e64 s25, 6, v72
	v_cmp_eq_u32_e64 s27, 6, v71
	v_fma_mixlo_f16 v94, v102, v79, 0
	v_fma_mixlo_f16 v95, v102, v81, 0
	v_fma_mixlo_f16 v96, v102, v83, 0
	v_fma_mixlo_f16 v97, v102, v85, 0
	v_fma_mixlo_f16 v98, v102, v87, 0
	v_fma_mixlo_f16 v99, v102, v89, 0
	v_fma_mixlo_f16 v100, v102, v91, 0
	v_fma_mixlo_f16 v101, v102, v93, 0
	v_lshl_or_b32 v74, v66, 4, v75
	v_fma_mixhi_f16 v94, v102, v78, 0
	v_fma_mixhi_f16 v95, v102, v80, 0
	;; [unrolled: 1-line block ×8, first 2 shown]
	ds_store_b128 v74, v[94:97]
	ds_store_b128 v74, v[98:101] offset:1024
	s_waitcnt lgkmcnt(0)
	s_barrier
	buffer_gl0_inv
	ds_load_b128 v[78:81], v75
	ds_load_b128 v[82:85], v75 offset:16
	ds_load_b128 v[86:89], v75 offset:1024
	ds_load_b128 v[90:93], v75 offset:1040
	v_cmp_eq_u32_e64 s10, 1, v69
	v_cmp_eq_u32_e64 s15, 2, v69
	;; [unrolled: 1-line block ×11, first 2 shown]
	s_waitcnt lgkmcnt(3)
	v_lshrrev_b32_e32 v94, 16, v78
	s_waitcnt lgkmcnt(2)
	v_lshrrev_b32_e32 v98, 16, v82
	;; [unrolled: 2-line block ×4, first 2 shown]
	v_lshrrev_b32_e32 v95, 16, v79
	v_cndmask_b32_e64 v110, v78, v94, s4
	v_cndmask_b32_e64 v111, v82, v98, s4
	;; [unrolled: 1-line block ×8, first 2 shown]
	v_lshrrev_b32_e32 v99, 16, v83
	v_cndmask_b32_e64 v94, v86, v102, s4
	v_cndmask_b32_e64 v98, v90, v106, s4
	;; [unrolled: 1-line block ×15, first 2 shown]
	v_lshrrev_b32_e32 v103, 16, v87
	v_lshrrev_b32_e32 v107, 16, v91
	v_cndmask_b32_e64 v113, v115, v83, s15
	v_cndmask_b32_e64 v82, v94, v87, s5
	;; [unrolled: 1-line block ×7, first 2 shown]
	v_cndmask_b32_e32 v90, v102, v95, vcc_lo
	v_cndmask_b32_e32 v102, v106, v99, vcc_lo
	v_cndmask_b32_e64 v106, v110, v95, s13
	v_cndmask_b32_e64 v110, v111, v99, s13
	;; [unrolled: 1-line block ×4, first 2 shown]
	v_lshrrev_b32_e32 v96, 16, v80
	v_lshrrev_b32_e32 v100, 16, v84
	v_cndmask_b32_e64 v111, v112, v95, s17
	v_cndmask_b32_e64 v112, v113, v99, s17
	v_cndmask_b32_e32 v82, v82, v103, vcc_lo
	v_cndmask_b32_e32 v83, v83, v107, vcc_lo
	v_cndmask_b32_e64 v94, v94, v103, s13
	v_cndmask_b32_e64 v90, v90, v80, s3
	;; [unrolled: 1-line block ×7, first 2 shown]
	v_lshrrev_b32_e32 v104, 16, v88
	v_cndmask_b32_e64 v106, v111, v80, s21
	v_cndmask_b32_e64 v110, v112, v84, s21
	;; [unrolled: 1-line block ×11, first 2 shown]
	v_lshrrev_b32_e32 v97, 16, v81
	v_lshrrev_b32_e32 v101, 16, v85
	v_cndmask_b32_e64 v99, v106, v96, s23
	v_cndmask_b32_e64 v102, v110, v100, s23
	;; [unrolled: 1-line block ×7, first 2 shown]
	v_lshrrev_b32_e32 v105, 16, v89
	v_cndmask_b32_e64 v80, v80, v104, s6
	v_cndmask_b32_e64 v84, v84, v81, s7
	;; [unrolled: 1-line block ×16, first 2 shown]
	v_perm_b32 v81, v79, v78, 0x5040100
	v_perm_b32 v79, v95, v85, 0x5040100
	v_cndmask_b32_e64 v78, v119, v91, s15
	v_cndmask_b32_e64 v85, v117, v91, s12
	;; [unrolled: 1-line block ×3, first 2 shown]
	v_perm_b32 v80, v94, v90, 0x5040100
	v_cndmask_b32_e64 v90, v98, v103, s17
	v_cndmask_b32_e64 v86, v86, v103, s18
	;; [unrolled: 1-line block ×5, first 2 shown]
	v_lshrrev_b32_e32 v108, 16, v92
	v_cndmask_b32_e64 v90, v90, v88, s21
	v_cndmask_b32_e64 v86, v86, v88, s22
	;; [unrolled: 1-line block ×11, first 2 shown]
	v_lshrrev_b32_e32 v109, 16, v93
	v_cndmask_b32_e64 v82, v82, v93, s7
	v_cndmask_b32_e64 v88, v88, v89, s26
	;; [unrolled: 1-line block ×12, first 2 shown]
	v_perm_b32 v78, v84, v83, 0x5040100
	v_perm_b32 v85, v87, v86, 0x5040100
	;; [unrolled: 1-line block ×5, first 2 shown]
	s_mul_i32 s8, s33, 6
	s_mov_b32 s3, exec_lo
	ds_store_b128 v74, v[78:81]
	ds_store_b128 v74, v[82:85] offset:1024
	v_cmpx_gt_u32_e32 6, v0
	s_cbranch_execz .LBB855_14
; %bb.13:
	s_mul_i32 s4, s8, s34
	s_delay_alu instid0(SALU_CYCLE_1) | instskip(SKIP_1) | instid1(VALU_DEP_1)
	v_add3_u32 v68, s4, s31, v68
	s_load_b128 s[4:7], s[0:1], 0x58
	v_mad_u64_u32 v[78:79], null, v68, s35, s[14:15]
	s_delay_alu instid0(VALU_DEP_1) | instskip(NEXT) | instid1(VALU_DEP_1)
	v_ashrrev_i32_e32 v79, 31, v78
	v_lshlrev_b64 v[78:79], 2, v[78:79]
	s_waitcnt lgkmcnt(0)
	s_delay_alu instid0(VALU_DEP_1) | instskip(NEXT) | instid1(VALU_DEP_2)
	v_add_co_u32 v80, vcc_lo, s6, v78
	v_add_co_ci_u32_e32 v81, vcc_lo, s7, v79, vcc_lo
	v_add_co_u32 v78, vcc_lo, s4, v78
	v_add_co_ci_u32_e32 v79, vcc_lo, s5, v79, vcc_lo
	global_store_b32 v[80:81], v76, off
	global_store_b32 v[78:79], v77, off
.LBB855_14:
	s_or_b32 exec_lo, exec_lo, s3
	s_waitcnt lgkmcnt(0)
	s_waitcnt_vscnt null, 0x0
	s_barrier
	buffer_gl0_inv
	ds_load_b128 v[84:87], v73
	ds_load_b128 v[88:91], v73 offset:16
	ds_load_b128 v[96:99], v73 offset:2064
	;; [unrolled: 1-line block ×5, first 2 shown]
	v_cmp_eq_u32_e32 vcc_lo, 1, v70
	v_mov_b32_e32 v76, 0
	ds_load_b128 v[112:115], v73 offset:6160
	ds_load_b128 v[108:111], v73 offset:6144
	ds_load_b128 v[120:123], v73 offset:8208
	ds_load_b128 v[116:119], v73 offset:8192
	v_cmp_eq_u32_e64 s4, 1, v69
	v_cmp_eq_u32_e64 s3, 1, v72
	;; [unrolled: 1-line block ×3, first 2 shown]
	v_mov_b32_e32 v77, v76
	v_mov_b32_e32 v78, v76
	;; [unrolled: 1-line block ×7, first 2 shown]
	v_cmp_eq_u32_e64 s6, 3, v72
	v_cmp_eq_u32_e64 s7, 7, v72
	s_waitcnt lgkmcnt(8)
	s_delay_alu instid0(VALU_DEP_3)
	v_wmma_f32_16x16x16_f16 v[76:83], v[49:56], v[84:91], v[76:83]
	ds_load_b128 v[53:56], v73 offset:10256
	ds_load_b128 v[49:52], v73 offset:10240
	s_waitcnt lgkmcnt(8)
	v_wmma_f32_16x16x16_f16 v[76:83], v[41:48], v[92:99], v[76:83]
	ds_load_b128 v[45:48], v73 offset:12304
	ds_load_b128 v[41:44], v73 offset:12288
	s_waitcnt lgkmcnt(8)
	;; [unrolled: 4-line block ×3, first 2 shown]
	s_barrier
	buffer_gl0_inv
	v_wmma_f32_16x16x16_f16 v[76:83], v[1:8], v[108:115], v[76:83]
	s_delay_alu instid0(VALU_DEP_1) | instskip(NEXT) | instid1(VALU_DEP_1)
	v_wmma_f32_16x16x16_f16 v[76:83], v[9:16], v[116:123], v[76:83]
	v_wmma_f32_16x16x16_f16 v[76:83], v[17:24], v[49:56], v[76:83]
	s_delay_alu instid0(VALU_DEP_1) | instskip(NEXT) | instid1(VALU_DEP_1)
	v_wmma_f32_16x16x16_f16 v[76:83], v[25:32], v[41:48], v[76:83]
	v_wmma_f32_16x16x16_f16 v[76:83], v[57:64], v[33:40], v[76:83]
	s_delay_alu instid0(VALU_DEP_1) | instskip(NEXT) | instid1(VALU_DEP_2)
	v_cvt_f16_f32_e32 v1, v76
	v_cvt_f16_f32_e32 v2, v77
	s_delay_alu instid0(VALU_DEP_3) | instskip(NEXT) | instid1(VALU_DEP_4)
	v_cvt_f16_f32_e32 v3, v78
	v_cvt_f16_f32_e32 v4, v79
	;; [unrolled: 1-line block ×6, first 2 shown]
	v_pack_b32_f16 v1, v1, v2
	v_pack_b32_f16 v2, v3, v4
	;; [unrolled: 1-line block ×3, first 2 shown]
	s_delay_alu instid0(VALU_DEP_4)
	v_pack_b32_f16 v4, v7, v8
	ds_store_b128 v74, v[1:4]
	s_waitcnt lgkmcnt(0)
	s_barrier
	buffer_gl0_inv
	ds_load_b128 v[1:4], v75
	ds_load_b128 v[5:8], v75 offset:16
	s_waitcnt lgkmcnt(1)
	v_lshrrev_b32_e32 v9, 16, v1
	s_waitcnt lgkmcnt(0)
	v_lshrrev_b32_e32 v13, 16, v5
	v_lshrrev_b32_e32 v10, 16, v2
	;; [unrolled: 1-line block ×4, first 2 shown]
	v_cndmask_b32_e32 v17, v1, v9, vcc_lo
	v_cndmask_b32_e32 v18, v5, v13, vcc_lo
	v_cndmask_b32_e64 v21, v1, v9, s4
	v_cmp_eq_u32_e32 vcc_lo, 1, v71
	v_cndmask_b32_e64 v22, v5, v13, s4
	v_cmp_eq_u32_e64 s4, 2, v70
	v_cndmask_b32_e64 v19, v1, v9, s3
	v_cndmask_b32_e64 v20, v5, v13, s3
	v_cndmask_b32_e32 v1, v1, v9, vcc_lo
	v_cmp_eq_u32_e64 s3, 2, v71
	v_cndmask_b32_e32 v5, v5, v13, vcc_lo
	v_cndmask_b32_e64 v9, v17, v2, s4
	v_cmp_eq_u32_e32 vcc_lo, 3, v70
	v_cndmask_b32_e64 v13, v18, v6, s4
	v_cmp_eq_u32_e64 s4, 2, v69
	v_cndmask_b32_e64 v17, v19, v2, s5
	v_cndmask_b32_e64 v18, v20, v6, s5
	v_cmp_eq_u32_e64 s5, 3, v69
	v_cndmask_b32_e64 v1, v1, v2, s3
	v_cndmask_b32_e64 v19, v21, v2, s4
	;; [unrolled: 1-line block ×4, first 2 shown]
	v_cndmask_b32_e32 v5, v9, v10, vcc_lo
	v_cndmask_b32_e32 v6, v13, v14, vcc_lo
	v_cmp_eq_u32_e32 vcc_lo, 3, v71
	v_cndmask_b32_e64 v9, v17, v10, s6
	v_cndmask_b32_e64 v13, v18, v14, s6
	;; [unrolled: 1-line block ×3, first 2 shown]
	v_cmp_eq_u32_e64 s4, 4, v70
	v_cndmask_b32_e32 v1, v1, v10, vcc_lo
	v_cndmask_b32_e32 v2, v2, v14, vcc_lo
	v_cmp_eq_u32_e32 vcc_lo, 4, v72
	v_lshrrev_b32_e32 v15, 16, v7
	v_lshrrev_b32_e32 v16, 16, v8
	v_cndmask_b32_e64 v17, v19, v10, s5
	v_cmp_eq_u32_e64 s3, 4, v71
	v_cndmask_b32_e64 v5, v5, v3, s4
	v_cndmask_b32_e64 v6, v6, v7, s4
	v_cndmask_b32_e32 v9, v9, v3, vcc_lo
	v_cmp_eq_u32_e64 s4, 5, v72
	v_cndmask_b32_e32 v10, v13, v7, vcc_lo
	v_cmp_eq_u32_e32 vcc_lo, 4, v69
	v_cmp_eq_u32_e64 s5, 5, v70
	v_cndmask_b32_e64 v2, v2, v7, s3
	v_cndmask_b32_e64 v9, v9, v11, s4
	;; [unrolled: 1-line block ×3, first 2 shown]
	v_cndmask_b32_e32 v13, v17, v3, vcc_lo
	v_cmp_eq_u32_e64 s4, 5, v69
	v_cndmask_b32_e32 v14, v18, v7, vcc_lo
	v_cndmask_b32_e64 v1, v1, v3, s3
	v_cmp_eq_u32_e32 vcc_lo, 5, v71
	v_lshrrev_b32_e32 v12, 16, v4
	v_cndmask_b32_e64 v13, v13, v11, s4
	v_cndmask_b32_e64 v3, v14, v15, s4
	v_cmp_eq_u32_e64 s4, 6, v71
	v_cndmask_b32_e32 v1, v1, v11, vcc_lo
	v_cndmask_b32_e64 v5, v5, v11, s5
	v_cmp_eq_u32_e64 s6, 6, v70
	v_cndmask_b32_e64 v6, v6, v15, s5
	v_cmp_eq_u32_e64 s5, 6, v72
	v_cmp_eq_u32_e64 s3, 6, v69
	v_cndmask_b32_e64 v1, v1, v4, s4
	v_cndmask_b32_e32 v2, v2, v15, vcc_lo
	v_cmp_eq_u32_e32 vcc_lo, 7, v71
	v_cndmask_b32_e64 v5, v5, v4, s6
	v_cndmask_b32_e64 v9, v9, v4, s5
	;; [unrolled: 1-line block ×3, first 2 shown]
	v_cmp_eq_u32_e64 s6, 7, v70
	v_cndmask_b32_e32 v1, v1, v12, vcc_lo
	v_cndmask_b32_e64 v7, v13, v4, s3
	v_cndmask_b32_e64 v3, v3, v8, s3
	;; [unrolled: 1-line block ×3, first 2 shown]
	v_cmp_eq_u32_e64 s3, 7, v69
	v_cndmask_b32_e64 v4, v10, v8, s5
	v_cndmask_b32_e64 v5, v5, v12, s6
	;; [unrolled: 1-line block ×3, first 2 shown]
	v_cndmask_b32_e32 v2, v2, v16, vcc_lo
	v_cndmask_b32_e64 v7, v7, v12, s3
	v_cndmask_b32_e64 v3, v3, v16, s3
	;; [unrolled: 1-line block ×4, first 2 shown]
	v_cmp_gt_u32_e32 vcc_lo, 32, v0
	v_perm_b32 v4, v2, v1, 0x5040100
	v_perm_b32 v3, v3, v7, 0x5040100
	;; [unrolled: 1-line block ×4, first 2 shown]
	s_and_b32 s2, vcc_lo, s2
	ds_store_b128 v74, v[1:4]
	s_waitcnt lgkmcnt(0)
	s_barrier
	buffer_gl0_inv
	s_and_saveexec_b32 s3, s2
	s_cbranch_execz .LBB855_2
; %bb.15:
	s_load_b64 s[0:1], s[0:1], 0x68
	s_lshl_b32 s4, s35, 6
	v_or_b32_e32 v3, s31, v66
	s_mul_i32 s2, s4, s34
	v_lshlrev_b32_e32 v0, 10, v0
	s_mul_i32 s2, s2, s8
	v_lshlrev_b32_e32 v1, 4, v67
	s_ashr_i32 s3, s2, 31
	v_mul_lo_u32 v12, v3, s4
	s_lshl_b64 s[2:3], s[2:3], 1
	v_lshlrev_b32_e32 v2, 6, v66
	v_and_b32_e32 v0, 0x3800, v0
	s_delay_alu instid0(VALU_DEP_1) | instskip(NEXT) | instid1(VALU_DEP_4)
	v_or3_b32 v8, v0, v1, v2
	v_ashrrev_i32_e32 v13, 31, v12
	ds_load_b128 v[0:3], v8
	ds_load_b128 v[4:7], v8 offset:128
	ds_load_b128 v[8:11], v8 offset:256
	s_waitcnt lgkmcnt(0)
	s_add_u32 s2, s0, s2
	s_addc_u32 s3, s1, s3
	s_lshl_b32 s0, s14, 6
	s_delay_alu instid0(SALU_CYCLE_1) | instskip(NEXT) | instid1(SALU_CYCLE_1)
	s_ashr_i32 s1, s0, 31
	s_lshl_b64 s[0:1], s[0:1], 1
	s_delay_alu instid0(SALU_CYCLE_1)
	s_add_u32 s0, s2, s0
	s_addc_u32 s1, s3, s1
	s_lshl_b32 s2, s35, 7
	v_add_co_u32 v18, s0, s0, v65
	v_add_nc_u32_e32 v14, s2, v12
	v_lshlrev_b64 v[12:13], 1, v[12:13]
	v_add_co_ci_u32_e64 v19, null, s1, 0, s0
	s_delay_alu instid0(VALU_DEP_3) | instskip(SKIP_1) | instid1(VALU_DEP_4)
	v_add_nc_u32_e32 v16, s2, v14
	v_ashrrev_i32_e32 v15, 31, v14
	v_add_co_u32 v12, vcc_lo, v18, v12
	s_delay_alu instid0(VALU_DEP_4) | instskip(NEXT) | instid1(VALU_DEP_4)
	v_add_co_ci_u32_e32 v13, vcc_lo, v19, v13, vcc_lo
	v_ashrrev_i32_e32 v17, 31, v16
	s_delay_alu instid0(VALU_DEP_4) | instskip(NEXT) | instid1(VALU_DEP_2)
	v_lshlrev_b64 v[14:15], 1, v[14:15]
	v_lshlrev_b64 v[16:17], 1, v[16:17]
	s_delay_alu instid0(VALU_DEP_2) | instskip(NEXT) | instid1(VALU_DEP_3)
	v_add_co_u32 v14, vcc_lo, v18, v14
	v_add_co_ci_u32_e32 v15, vcc_lo, v19, v15, vcc_lo
	s_delay_alu instid0(VALU_DEP_3) | instskip(NEXT) | instid1(VALU_DEP_4)
	v_add_co_u32 v16, vcc_lo, v18, v16
	v_add_co_ci_u32_e32 v17, vcc_lo, v19, v17, vcc_lo
	s_clause 0x2
	global_store_b128 v[12:13], v[0:3], off
	global_store_b128 v[14:15], v[4:7], off
	;; [unrolled: 1-line block ×3, first 2 shown]
	s_nop 0
	s_sendmsg sendmsg(MSG_DEALLOC_VGPRS)
	s_endpgm
	.section	.rodata,"a",@progbits
	.p2align	6, 0x0
	.amdhsa_kernel _Z39paged_attention_ll4mi_QKV_mfma16_kernelIDF16_hLN4vllm18Fp8KVCacheDataTypeE1EhLi32ELi64ELi256ELb1ELi6EL8MFMAType1EEvPKT_PKT0_S8_ifPKiSA_SA_iPKfiiiPfSD_PS3_PT2_iSC_SC_
		.amdhsa_group_segment_fixed_size 17472
		.amdhsa_private_segment_fixed_size 0
		.amdhsa_kernarg_size 400
		.amdhsa_user_sgpr_count 13
		.amdhsa_user_sgpr_dispatch_ptr 0
		.amdhsa_user_sgpr_queue_ptr 0
		.amdhsa_user_sgpr_kernarg_segment_ptr 1
		.amdhsa_user_sgpr_dispatch_id 0
		.amdhsa_user_sgpr_private_segment_size 0
		.amdhsa_wavefront_size32 1
		.amdhsa_uses_dynamic_stack 0
		.amdhsa_enable_private_segment 0
		.amdhsa_system_sgpr_workgroup_id_x 1
		.amdhsa_system_sgpr_workgroup_id_y 1
		.amdhsa_system_sgpr_workgroup_id_z 1
		.amdhsa_system_sgpr_workgroup_info 0
		.amdhsa_system_vgpr_workitem_id 0
		.amdhsa_next_free_vgpr 146
		.amdhsa_next_free_sgpr 38
		.amdhsa_reserve_vcc 1
		.amdhsa_float_round_mode_32 0
		.amdhsa_float_round_mode_16_64 0
		.amdhsa_float_denorm_mode_32 3
		.amdhsa_float_denorm_mode_16_64 3
		.amdhsa_dx10_clamp 1
		.amdhsa_ieee_mode 1
		.amdhsa_fp16_overflow 0
		.amdhsa_workgroup_processor_mode 1
		.amdhsa_memory_ordered 1
		.amdhsa_forward_progress 0
		.amdhsa_shared_vgpr_count 0
		.amdhsa_exception_fp_ieee_invalid_op 0
		.amdhsa_exception_fp_denorm_src 0
		.amdhsa_exception_fp_ieee_div_zero 0
		.amdhsa_exception_fp_ieee_overflow 0
		.amdhsa_exception_fp_ieee_underflow 0
		.amdhsa_exception_fp_ieee_inexact 0
		.amdhsa_exception_int_div_zero 0
	.end_amdhsa_kernel
	.section	.text._Z39paged_attention_ll4mi_QKV_mfma16_kernelIDF16_hLN4vllm18Fp8KVCacheDataTypeE1EhLi32ELi64ELi256ELb1ELi6EL8MFMAType1EEvPKT_PKT0_S8_ifPKiSA_SA_iPKfiiiPfSD_PS3_PT2_iSC_SC_,"axG",@progbits,_Z39paged_attention_ll4mi_QKV_mfma16_kernelIDF16_hLN4vllm18Fp8KVCacheDataTypeE1EhLi32ELi64ELi256ELb1ELi6EL8MFMAType1EEvPKT_PKT0_S8_ifPKiSA_SA_iPKfiiiPfSD_PS3_PT2_iSC_SC_,comdat
.Lfunc_end855:
	.size	_Z39paged_attention_ll4mi_QKV_mfma16_kernelIDF16_hLN4vllm18Fp8KVCacheDataTypeE1EhLi32ELi64ELi256ELb1ELi6EL8MFMAType1EEvPKT_PKT0_S8_ifPKiSA_SA_iPKfiiiPfSD_PS3_PT2_iSC_SC_, .Lfunc_end855-_Z39paged_attention_ll4mi_QKV_mfma16_kernelIDF16_hLN4vllm18Fp8KVCacheDataTypeE1EhLi32ELi64ELi256ELb1ELi6EL8MFMAType1EEvPKT_PKT0_S8_ifPKiSA_SA_iPKfiiiPfSD_PS3_PT2_iSC_SC_
                                        ; -- End function
	.section	.AMDGPU.csdata,"",@progbits
; Kernel info:
; codeLenInByte = 6452
; NumSgprs: 40
; NumVgprs: 146
; ScratchSize: 0
; MemoryBound: 0
; FloatMode: 240
; IeeeMode: 1
; LDSByteSize: 17472 bytes/workgroup (compile time only)
; SGPRBlocks: 4
; VGPRBlocks: 18
; NumSGPRsForWavesPerEU: 40
; NumVGPRsForWavesPerEU: 146
; Occupancy: 9
; WaveLimiterHint : 1
; COMPUTE_PGM_RSRC2:SCRATCH_EN: 0
; COMPUTE_PGM_RSRC2:USER_SGPR: 13
; COMPUTE_PGM_RSRC2:TRAP_HANDLER: 0
; COMPUTE_PGM_RSRC2:TGID_X_EN: 1
; COMPUTE_PGM_RSRC2:TGID_Y_EN: 1
; COMPUTE_PGM_RSRC2:TGID_Z_EN: 1
; COMPUTE_PGM_RSRC2:TIDIG_COMP_CNT: 0
	.section	.text._Z39paged_attention_ll4mi_QKV_mfma16_kernelIDF16_hLN4vllm18Fp8KVCacheDataTypeE1EhLi32ELi64ELi256ELb1ELi7EL8MFMAType1EEvPKT_PKT0_S8_ifPKiSA_SA_iPKfiiiPfSD_PS3_PT2_iSC_SC_,"axG",@progbits,_Z39paged_attention_ll4mi_QKV_mfma16_kernelIDF16_hLN4vllm18Fp8KVCacheDataTypeE1EhLi32ELi64ELi256ELb1ELi7EL8MFMAType1EEvPKT_PKT0_S8_ifPKiSA_SA_iPKfiiiPfSD_PS3_PT2_iSC_SC_,comdat
	.protected	_Z39paged_attention_ll4mi_QKV_mfma16_kernelIDF16_hLN4vllm18Fp8KVCacheDataTypeE1EhLi32ELi64ELi256ELb1ELi7EL8MFMAType1EEvPKT_PKT0_S8_ifPKiSA_SA_iPKfiiiPfSD_PS3_PT2_iSC_SC_ ; -- Begin function _Z39paged_attention_ll4mi_QKV_mfma16_kernelIDF16_hLN4vllm18Fp8KVCacheDataTypeE1EhLi32ELi64ELi256ELb1ELi7EL8MFMAType1EEvPKT_PKT0_S8_ifPKiSA_SA_iPKfiiiPfSD_PS3_PT2_iSC_SC_
	.globl	_Z39paged_attention_ll4mi_QKV_mfma16_kernelIDF16_hLN4vllm18Fp8KVCacheDataTypeE1EhLi32ELi64ELi256ELb1ELi7EL8MFMAType1EEvPKT_PKT0_S8_ifPKiSA_SA_iPKfiiiPfSD_PS3_PT2_iSC_SC_
	.p2align	8
	.type	_Z39paged_attention_ll4mi_QKV_mfma16_kernelIDF16_hLN4vllm18Fp8KVCacheDataTypeE1EhLi32ELi64ELi256ELb1ELi7EL8MFMAType1EEvPKT_PKT0_S8_ifPKiSA_SA_iPKfiiiPfSD_PS3_PT2_iSC_SC_,@function
_Z39paged_attention_ll4mi_QKV_mfma16_kernelIDF16_hLN4vllm18Fp8KVCacheDataTypeE1EhLi32ELi64ELi256ELb1ELi7EL8MFMAType1EEvPKT_PKT0_S8_ifPKiSA_SA_iPKfiiiPfSD_PS3_PT2_iSC_SC_: ; @_Z39paged_attention_ll4mi_QKV_mfma16_kernelIDF16_hLN4vllm18Fp8KVCacheDataTypeE1EhLi32ELi64ELi256ELb1ELi7EL8MFMAType1EEvPKT_PKT0_S8_ifPKiSA_SA_iPKfiiiPfSD_PS3_PT2_iSC_SC_
; %bb.0:
	s_load_b64 s[2:3], s[0:1], 0x30
	s_mov_b32 s34, s13
	s_waitcnt lgkmcnt(0)
	s_cmp_lg_u64 s[2:3], 0
	s_cselect_b32 s6, -1, 0
	s_ashr_i32 s35, s13, 31
	s_cmp_eq_u64 s[2:3], 0
	s_cbranch_scc1 .LBB856_3
; %bb.1:
	s_lshl_b64 s[4:5], s[34:35], 2
	s_delay_alu instid0(SALU_CYCLE_1) | instskip(SKIP_4) | instid1(SALU_CYCLE_1)
	s_add_u32 s4, s2, s4
	s_addc_u32 s5, s3, s5
	s_load_b64 s[4:5], s[4:5], 0x0
	s_waitcnt lgkmcnt(0)
	s_sub_i32 s4, s5, s4
	s_cmp_eq_u32 s4, 1
	s_cselect_b32 s4, -1, 0
	s_delay_alu instid0(SALU_CYCLE_1)
	s_and_not1_b32 vcc_lo, exec_lo, s4
	s_cbranch_vccz .LBB856_4
.LBB856_2:
	s_nop 0
	s_sendmsg sendmsg(MSG_DEALLOC_VGPRS)
	s_endpgm
.LBB856_3:
.LBB856_4:
	s_load_b64 s[8:9], s[0:1], 0x28
	s_lshl_b64 s[4:5], s[34:35], 2
	s_waitcnt lgkmcnt(0)
	s_add_u32 s8, s8, s4
	s_addc_u32 s9, s9, s5
	s_lshl_b32 s16, s14, 8
	s_load_b32 s18, s[8:9], 0x0
	s_waitcnt lgkmcnt(0)
	s_cmp_ge_i32 s16, s18
	s_cbranch_scc1 .LBB856_2
; %bb.5:
	s_clause 0x1
	s_load_b128 s[8:11], s[0:1], 0x8
	s_load_b64 s[12:13], s[0:1], 0x20
	s_and_not1_b32 vcc_lo, exec_lo, s6
	s_cbranch_vccnz .LBB856_7
; %bb.6:
	s_add_u32 s2, s2, s4
	s_addc_u32 s3, s3, s5
	s_load_b32 s3, s[2:3], 0x0
	s_branch .LBB856_8
.LBB856_7:
	s_mov_b32 s3, s34
.LBB856_8:
	s_load_b128 s[4:7], s[0:1], 0x48
	v_lshrrev_b32_e32 v69, 5, v0
	v_bfe_u32 v66, v0, 4, 1
	v_and_b32_e32 v68, 15, v0
	v_and_b32_e32 v70, 31, v0
	;; [unrolled: 1-line block ×3, first 2 shown]
	s_mul_i32 s33, s15, 7
	v_lshl_or_b32 v1, v69, 1, v66
	v_lshlrev_b32_e32 v2, 3, v68
	v_cmp_gt_u32_e64 s2, 8, v68
	s_delay_alu instid0(VALU_DEP_3) | instskip(NEXT) | instid1(VALU_DEP_3)
	v_cmp_gt_u32_e32 vcc_lo, 7, v1
	v_lshlrev_b32_e32 v65, 1, v2
	s_delay_alu instid0(VALU_DEP_3)
	s_and_b32 s17, s2, vcc_lo
	s_waitcnt lgkmcnt(0)
	s_and_saveexec_b32 s7, s17
	s_cbranch_execz .LBB856_10
; %bb.9:
	s_load_b64 s[20:21], s[0:1], 0x0
	v_add_lshl_u32 v2, v1, s33, 6
	s_mul_hi_i32 s23, s3, s4
	s_mul_i32 s22, s3, s4
	v_lshlrev_b32_e32 v6, 10, v68
	s_lshl_b64 s[22:23], s[22:23], 1
	v_ashrrev_i32_e32 v3, 31, v2
	v_lshlrev_b32_e32 v1, 6, v1
	v_lshlrev_b32_e32 v7, 10, v67
	v_and_b32_e32 v6, 0x3800, v6
	s_delay_alu instid0(VALU_DEP_4) | instskip(NEXT) | instid1(VALU_DEP_2)
	v_lshlrev_b64 v[2:3], 1, v[2:3]
	v_or3_b32 v1, v6, v7, v1
	s_waitcnt lgkmcnt(0)
	s_add_u32 s3, s20, s22
	s_addc_u32 s4, s21, s23
	s_delay_alu instid0(VALU_DEP_2) | instskip(SKIP_1) | instid1(VALU_DEP_2)
	v_add_co_u32 v2, vcc_lo, s3, v2
	v_add_co_ci_u32_e32 v3, vcc_lo, s4, v3, vcc_lo
	v_add_co_u32 v2, vcc_lo, v2, v65
	s_delay_alu instid0(VALU_DEP_2)
	v_add_co_ci_u32_e32 v3, vcc_lo, 0, v3, vcc_lo
	global_load_b128 v[2:5], v[2:3], off
	s_waitcnt vmcnt(0)
	ds_store_b128 v1, v[2:5]
.LBB856_10:
	s_or_b32 exec_lo, exec_lo, s7
	v_and_b32_e32 v1, 0xef, v0
	s_add_i32 s3, s18, 31
	s_clause 0x1
	s_load_b32 s4, s[0:1], 0x38
	s_load_b32 s35, s[0:1], 0x98
	s_ashr_i32 s7, s3, 31
	v_add_nc_u32_e32 v1, s16, v1
	s_lshr_b32 s7, s7, 27
	s_load_b32 s19, s[0:1], 0x1c
	s_add_i32 s3, s3, s7
	s_waitcnt lgkmcnt(0)
	v_ashrrev_i32_e32 v2, 31, v1
	v_or_b32_e32 v3, 16, v1
	s_ashr_i32 s3, s3, 5
	v_cmp_gt_i32_e32 vcc_lo, s18, v1
	s_add_i32 s3, s3, -1
	v_lshrrev_b32_e32 v2, 27, v2
	s_barrier
	buffer_gl0_inv
	s_mul_i32 s15, s15, s6
	v_mul_lo_u16 v103, v68, 37
	v_add_nc_u32_e32 v4, v1, v2
	v_mbcnt_lo_u32_b32 v127, -1, 0
	s_mul_i32 s20, s34, s4
	s_delay_alu instid0(SALU_CYCLE_1) | instskip(NEXT) | instid1(VALU_DEP_2)
	s_ashr_i32 s21, s20, 31
	v_ashrrev_i32_e32 v4, 5, v4
	v_add_nc_u32_e32 v2, v3, v2
	s_lshl_b64 s[20:21], s[20:21], 2
	v_lshrrev_b16 v103, 8, v103
	s_add_u32 s17, s12, s20
	v_cndmask_b32_e32 v1, s3, v4, vcc_lo
	v_ashrrev_i32_e32 v2, 5, v2
	v_cmp_gt_i32_e32 vcc_lo, s18, v3
	s_addc_u32 s13, s13, s21
	s_ashr_i32 s20, s15, 31
	s_add_u32 s22, s8, s15
	s_addc_u32 s23, s9, s20
	v_cndmask_b32_e32 v3, s3, v2, vcc_lo
	v_ashrrev_i32_e32 v2, 31, v1
	s_lshl_b32 s6, s14, 3
	v_mul_lo_u16 v103, v103, 7
	s_ashr_i32 s7, s6, 31
	v_ashrrev_i32_e32 v4, 31, v3
	v_lshlrev_b64 v[1:2], 2, v[1:2]
	s_lshl_b64 s[6:7], s[6:7], 2
	v_sub_nc_u16 v103, v68, v103
	s_add_u32 s6, s17, s6
	v_lshlrev_b64 v[3:4], 2, v[3:4]
	s_addc_u32 s7, s13, s7
	v_add_co_u32 v1, vcc_lo, s17, v1
	v_add_co_ci_u32_e32 v2, vcc_lo, s13, v2, vcc_lo
	s_delay_alu instid0(VALU_DEP_3) | instskip(NEXT) | instid1(VALU_DEP_4)
	v_add_co_u32 v3, vcc_lo, s17, v3
	v_add_co_ci_u32_e32 v4, vcc_lo, s13, v4, vcc_lo
	s_clause 0x1
	global_load_b32 v5, v[1:2], off
	global_load_b32 v6, v[3:4], off
	s_or_b32 s4, s16, 32
	v_xor_b32_e32 v128, 16, v127
	s_ashr_i32 s8, s4, 5
	s_cmp_lt_i32 s4, s18
	s_cselect_b32 s8, s8, s3
	s_delay_alu instid0(SALU_CYCLE_1) | instskip(NEXT) | instid1(SALU_CYCLE_1)
	s_ashr_i32 s9, s8, 31
	s_lshl_b64 s[8:9], s[8:9], 2
	s_delay_alu instid0(SALU_CYCLE_1) | instskip(SKIP_2) | instid1(SALU_CYCLE_1)
	s_add_u32 s8, s17, s8
	s_addc_u32 s9, s13, s9
	s_or_b32 s4, s16, 64
	s_ashr_i32 s12, s4, 5
	s_cmp_lt_i32 s4, s18
	s_cselect_b32 s24, s12, s3
	s_delay_alu instid0(SALU_CYCLE_1) | instskip(NEXT) | instid1(SALU_CYCLE_1)
	s_ashr_i32 s25, s24, 31
	s_lshl_b64 s[24:25], s[24:25], 2
	s_delay_alu instid0(SALU_CYCLE_1) | instskip(SKIP_2) | instid1(SALU_CYCLE_1)
	s_add_u32 s24, s17, s24
	s_addc_u32 s25, s13, s25
	s_or_b32 s4, s16, 0x60
	;; [unrolled: 10-line block ×4, first 2 shown]
	s_ashr_i32 s12, s4, 5
	s_cmp_lt_i32 s4, s18
	s_cselect_b32 s30, s12, s3
	s_delay_alu instid0(SALU_CYCLE_1) | instskip(NEXT) | instid1(SALU_CYCLE_1)
	s_ashr_i32 s31, s30, 31
	s_lshl_b64 s[30:31], s[30:31], 2
	s_delay_alu instid0(SALU_CYCLE_1)
	s_add_u32 s30, s17, s30
	s_addc_u32 s31, s13, s31
	s_clause 0x5
	s_load_b32 s12, s[6:7], 0x0
	s_load_b32 s4, s[8:9], 0x0
	;; [unrolled: 1-line block ×6, first 2 shown]
	s_or_b32 s21, s16, 0xc0
	s_waitcnt vmcnt(1)
	v_mad_i64_i32 v[1:2], null, v5, s5, s[22:23]
	v_lshlrev_b32_e32 v5, 4, v68
	s_waitcnt vmcnt(0)
	v_mad_i64_i32 v[3:4], null, v6, s5, s[22:23]
	s_ashr_i32 s22, s21, 5
	s_cmp_lt_i32 s21, s18
	s_delay_alu instid0(VALU_DEP_3) | instskip(NEXT) | instid1(VALU_DEP_4)
	v_add_co_u32 v1, vcc_lo, v1, v5
	v_add_co_ci_u32_e32 v2, vcc_lo, 0, v2, vcc_lo
	s_delay_alu instid0(VALU_DEP_3) | instskip(NEXT) | instid1(VALU_DEP_4)
	v_add_co_u32 v3, vcc_lo, v3, v5
	v_add_co_ci_u32_e32 v4, vcc_lo, 0, v4, vcc_lo
	s_clause 0x7
	global_load_b128 v[71:74], v[1:2], off
	global_load_b128 v[75:78], v[1:2], off offset:512
	global_load_b128 v[79:82], v[3:4], off offset:256
	;; [unrolled: 1-line block ×7, first 2 shown]
	s_cselect_b32 s22, s22, s3
	v_lshlrev_b32_e32 v1, 5, v68
	s_ashr_i32 s23, s22, 31
	v_cmp_gt_i32_e32 vcc_lo, 32, v128
	s_lshl_b64 s[22:23], s[22:23], 2
	v_and_b32_e32 v103, 0xff, v103
	s_add_u32 s22, s17, s22
	s_addc_u32 s23, s13, s23
	v_cndmask_b32_e32 v136, v127, v128, vcc_lo
	s_or_b32 s21, s16, 0xe0
	v_lshl_or_b32 v1, v69, 9, v1
	s_ashr_i32 s24, s21, 5
	s_cmp_lt_i32 s21, s18
	v_lshlrev_b32_e32 v115, 6, v103
	s_cselect_b32 s24, s24, s3
	s_load_b32 s3, s[22:23], 0x0
	s_ashr_i32 s25, s24, 31
	s_delay_alu instid0(SALU_CYCLE_1) | instskip(NEXT) | instid1(SALU_CYCLE_1)
	s_lshl_b64 s[24:25], s[24:25], 2
	s_add_u32 s22, s17, s24
	s_addc_u32 s23, s13, s25
	s_add_u32 s10, s10, s15
	s_addc_u32 s11, s11, s20
	v_add_co_u32 v1, s10, s10, v1
	s_delay_alu instid0(VALU_DEP_1) | instskip(SKIP_2) | instid1(VALU_DEP_1)
	v_add_co_ci_u32_e64 v2, null, s11, 0, s10
	s_load_b32 s10, s[22:23], 0x0
	s_waitcnt lgkmcnt(0)
	v_mad_i64_i32 v[3:4], null, s12, s5, v[1:2]
	v_mad_i64_i32 v[9:10], null, s7, s5, v[1:2]
	;; [unrolled: 1-line block ×7, first 2 shown]
	s_clause 0x5
	global_load_b128 v[49:52], v[3:4], off
	global_load_b128 v[53:56], v[3:4], off offset:16
	global_load_b128 v[41:44], v[5:6], off
	global_load_b128 v[45:48], v[5:6], off offset:16
	;; [unrolled: 2-line block ×3, first 2 shown]
	s_mov_b32 s4, 0
	v_mad_i64_i32 v[61:62], null, s10, s5, v[1:2]
	s_clause 0x9
	global_load_b128 v[1:4], v[9:10], off
	global_load_b128 v[5:8], v[9:10], off offset:16
	global_load_b128 v[9:12], v[13:14], off
	global_load_b128 v[13:16], v[13:14], off offset:16
	;; [unrolled: 2-line block ×5, first 2 shown]
	s_mov_b32 s5, s4
	s_mov_b32 s6, s4
	s_mov_b32 s7, s4
	s_mov_b32 s8, s4
	s_mov_b32 s9, s4
	s_mov_b32 s10, s4
	s_mov_b32 s11, s4
	v_and_b32_e32 v104, 0xe0, v0
	v_dual_mov_b32 v126, s11 :: v_dual_mov_b32 v123, s8
	v_dual_mov_b32 v125, s10 :: v_dual_mov_b32 v124, s9
	s_delay_alu instid0(VALU_DEP_3)
	v_add_nc_u32_e32 v111, s16, v104
	ds_load_b128 v[103:106], v115
	ds_load_b128 v[107:110], v115 offset:1024
	v_dual_mov_b32 v122, s7 :: v_dual_mov_b32 v121, s6
	v_mov_b32_e32 v120, s5
	v_or_b32_e32 v135, v111, v66
	ds_load_b128 v[111:114], v115 offset:2048
	ds_load_b128 v[115:118], v115 offset:3072
	v_mov_b32_e32 v119, s4
	s_waitcnt vmcnt(0) lgkmcnt(0)
	s_barrier
	v_or_b32_e32 v137, 2, v135
	v_or_b32_e32 v138, 4, v135
	;; [unrolled: 1-line block ×3, first 2 shown]
	v_cmp_gt_i32_e32 vcc_lo, s18, v135
	v_or_b32_e32 v140, 8, v135
	v_cmp_gt_i32_e64 s3, s18, v137
	v_or_b32_e32 v141, 10, v135
	v_cmp_gt_i32_e64 s4, s18, v138
	v_cmp_gt_i32_e64 s5, s18, v139
	v_or_b32_e32 v142, 12, v135
	v_or_b32_e32 v143, 14, v135
	v_cmp_gt_i32_e64 s6, s18, v140
	v_cmp_gt_i32_e64 s7, s18, v141
	v_or_b32_e32 v144, 16, v135
	v_or_b32_e32 v145, 18, v135
	v_cmp_gt_i32_e64 s8, s18, v142
	v_cmp_gt_i32_e64 s9, s18, v143
	buffer_gl0_inv
	v_cmp_gt_i32_e64 s10, s18, v144
	v_cmp_gt_i32_e64 s11, s18, v145
	v_wmma_f32_16x16x16_f16 v[127:134], v[71:78], v[103:110], v[119:126]
	v_wmma_f32_16x16x16_f16 v[119:126], v[79:86], v[103:110], v[119:126]
	v_or_b32_e32 v71, 20, v135
	v_or_b32_e32 v72, 22, v135
	s_delay_alu instid0(VALU_DEP_4)
	v_wmma_f32_16x16x16_f16 v[127:134], v[87:94], v[111:118], v[127:134]
	v_or_b32_e32 v73, 24, v135
	v_wmma_f32_16x16x16_f16 v[119:126], v[95:102], v[111:118], v[119:126]
	v_or_b32_e32 v74, 26, v135
	v_cmp_gt_i32_e64 s12, s18, v71
	v_dual_mul_f32 v84, s19, v127 :: v_dual_mul_f32 v83, s19, v128
	s_delay_alu instid0(VALU_DEP_4) | instskip(SKIP_2) | instid1(VALU_DEP_4)
	v_dual_mul_f32 v92, s19, v119 :: v_dual_mul_f32 v81, s19, v130
	v_mul_f32_e32 v90, s19, v121
	v_mul_f32_e32 v82, s19, v129
	v_cndmask_b32_e32 v84, 0xff7fffff, v84, vcc_lo
	v_cndmask_b32_e64 v83, 0xff7fffff, v83, s3
	v_dual_mul_f32 v79, s19, v132 :: v_dual_mul_f32 v88, s19, v123
	v_mul_f32_e32 v80, s19, v131
	v_cndmask_b32_e64 v82, 0xff7fffff, v82, s4
	v_cndmask_b32_e64 v81, 0xff7fffff, v81, s5
	v_max3_f32 v83, v84, 0xff7fffff, v83
	v_dual_mul_f32 v77, s19, v134 :: v_dual_mul_f32 v86, s19, v125
	v_mul_f32_e32 v78, s19, v133
	v_cndmask_b32_e64 v80, 0xff7fffff, v80, s6
	v_cndmask_b32_e64 v79, 0xff7fffff, v79, s7
	v_max3_f32 v81, v83, v82, v81
	v_mul_f32_e32 v91, s19, v120
	v_cndmask_b32_e64 v78, 0xff7fffff, v78, s8
	v_cndmask_b32_e64 v77, 0xff7fffff, v77, s9
	v_mul_f32_e32 v89, s19, v122
	v_max3_f32 v79, v81, v80, v79
	v_cndmask_b32_e64 v80, 0xff7fffff, v92, s10
	v_cndmask_b32_e64 v81, 0xff7fffff, v91, s11
	v_cmp_gt_i32_e64 s13, s18, v72
	v_or_b32_e32 v75, 28, v135
	v_max3_f32 v77, v79, v78, v77
	v_or_b32_e32 v76, 30, v135
	v_mul_f32_e32 v87, s19, v124
	v_cndmask_b32_e64 v71, 0xff7fffff, v90, s12
	v_cndmask_b32_e64 v72, 0xff7fffff, v89, s13
	v_max3_f32 v77, v77, v80, v81
	v_cmp_gt_i32_e64 s15, s18, v73
	v_cmp_gt_i32_e64 s16, s18, v74
	v_mul_f32_e32 v85, s19, v126
	v_cmp_gt_i32_e64 s17, s18, v75
	v_max3_f32 v71, v77, v71, v72
	v_cndmask_b32_e64 v73, 0xff7fffff, v88, s15
	v_cndmask_b32_e64 v74, 0xff7fffff, v87, s16
	v_cmp_gt_i32_e64 s18, s18, v76
	v_cndmask_b32_e64 v72, 0xff7fffff, v86, s17
	s_delay_alu instid0(VALU_DEP_3) | instskip(NEXT) | instid1(VALU_DEP_3)
	v_max3_f32 v71, v71, v73, v74
	v_cndmask_b32_e64 v75, 0xff7fffff, v85, s18
	v_lshlrev_b32_e32 v73, 2, v136
	s_delay_alu instid0(VALU_DEP_2) | instskip(SKIP_3) | instid1(VALU_DEP_1)
	v_max3_f32 v71, v71, v72, v75
	ds_bpermute_b32 v72, v73, v71
	s_waitcnt lgkmcnt(0)
	v_max_f32_e32 v72, v72, v72
	v_max_f32_e32 v71, v71, v72
	s_delay_alu instid0(VALU_DEP_1) | instskip(SKIP_2) | instid1(VALU_DEP_3)
	v_fma_f32 v72, s19, v127, -v71
	v_fma_f32 v74, s19, v128, -v71
	;; [unrolled: 1-line block ×3, first 2 shown]
	v_mul_f32_e32 v72, 0x3fb8aa3b, v72
	s_delay_alu instid0(VALU_DEP_2) | instskip(NEXT) | instid1(VALU_DEP_2)
	v_dual_mul_f32 v74, 0x3fb8aa3b, v74 :: v_dual_mul_f32 v75, 0x3fb8aa3b, v75
	v_exp_f32_e32 v72, v72
	s_delay_alu instid0(VALU_DEP_1) | instskip(NEXT) | instid1(VALU_DEP_1)
	v_exp_f32_e32 v74, v74
	v_exp_f32_e32 v75, v75
	s_delay_alu instid0(TRANS32_DEP_3)
	v_cndmask_b32_e32 v79, 0, v72, vcc_lo
	s_waitcnt_depctr 0xfff
	v_cndmask_b32_e64 v78, 0, v74, s3
	v_cndmask_b32_e64 v81, 0, v75, s4
	v_cmp_gt_u32_e64 s3, 16, v70
	v_add_f32_e32 v74, 0, v79
	s_delay_alu instid0(VALU_DEP_1) | instskip(NEXT) | instid1(VALU_DEP_1)
	v_add_f32_e32 v74, v74, v78
	v_add_f32_e32 v74, v74, v81
	v_fma_f32 v76, s19, v130, -v71
	v_fma_f32 v77, s19, v131, -v71
	;; [unrolled: 1-line block ×5, first 2 shown]
	s_delay_alu instid0(VALU_DEP_4) | instskip(NEXT) | instid1(VALU_DEP_4)
	v_dual_mul_f32 v76, 0x3fb8aa3b, v76 :: v_dual_mul_f32 v77, 0x3fb8aa3b, v77
	v_mul_f32_e32 v72, 0x3fb8aa3b, v72
	s_delay_alu instid0(VALU_DEP_4) | instskip(SKIP_1) | instid1(VALU_DEP_4)
	v_mul_f32_e32 v82, 0x3fb8aa3b, v80
	v_fma_f32 v86, s19, v122, -v71
	v_exp_f32_e32 v76, v76
	v_exp_f32_e32 v77, v77
	;; [unrolled: 1-line block ×4, first 2 shown]
	v_mul_f32_e32 v86, 0x3fb8aa3b, v86
	s_delay_alu instid0(VALU_DEP_1)
	v_exp_f32_e32 v88, v86
	v_cndmask_b32_e64 v80, 0, v76, s5
	v_mul_f32_e32 v75, 0x3fb8aa3b, v75
	v_fma_f32 v76, s19, v119, -v71
	v_cndmask_b32_e64 v83, 0, v77, s6
	v_fma_f32 v77, s19, v120, -v71
	v_add_f32_e32 v74, v74, v80
	v_exp_f32_e32 v75, v75
	v_mul_f32_e32 v76, 0x3fb8aa3b, v76
	v_cndmask_b32_e64 v82, 0, v72, s7
	s_delay_alu instid0(VALU_DEP_3) | instskip(SKIP_1) | instid1(VALU_DEP_4)
	v_dual_mul_f32 v77, 0x3fb8aa3b, v77 :: v_dual_add_f32 v72, v74, v83
	v_fma_f32 v74, s19, v121, -v71
	v_exp_f32_e32 v76, v76
	v_cndmask_b32_e64 v85, 0, v84, s8
	s_delay_alu instid0(VALU_DEP_3) | instskip(SKIP_1) | instid1(TRANS32_DEP_3)
	v_exp_f32_e32 v77, v77
	v_cndmask_b32_e64 v88, 0, v88, s13
	v_cndmask_b32_e64 v84, 0, v75, s9
	v_fma_f32 v75, s19, v123, -v71
	v_add_f32_e32 v72, v72, v82
	s_delay_alu instid0(VALU_DEP_2) | instskip(NEXT) | instid1(VALU_DEP_2)
	v_dual_mul_f32 v74, 0x3fb8aa3b, v74 :: v_dual_mul_f32 v75, 0x3fb8aa3b, v75
	v_add_f32_e32 v72, v72, v85
	s_delay_alu instid0(VALU_DEP_2)
	v_exp_f32_e32 v74, v74
	v_cndmask_b32_e64 v87, 0, v76, s10
	v_fma_f32 v76, s19, v124, -v71
	v_cndmask_b32_e64 v86, 0, v77, s11
	v_add_f32_e32 v72, v72, v84
	v_fma_f32 v77, s19, v125, -v71
	v_exp_f32_e32 v75, v75
	v_mul_f32_e32 v76, 0x3fb8aa3b, v76
	s_delay_alu instid0(VALU_DEP_3) | instskip(NEXT) | instid1(TRANS32_DEP_2)
	v_add_f32_e32 v72, v72, v87
	v_cndmask_b32_e64 v89, 0, v74, s12
	v_mul_f32_e32 v74, 0x3fb8aa3b, v77
	s_delay_alu instid0(VALU_DEP_4) | instskip(SKIP_2) | instid1(VALU_DEP_3)
	v_exp_f32_e32 v76, v76
	v_fma_f32 v77, s19, v126, -v71
	v_add_f32_e32 v72, v72, v86
	v_exp_f32_e32 v74, v74
	s_delay_alu instid0(TRANS32_DEP_3) | instskip(NEXT) | instid1(VALU_DEP_3)
	v_cndmask_b32_e64 v91, 0, v75, s15
	v_mul_f32_e32 v75, 0x3fb8aa3b, v77
	s_delay_alu instid0(VALU_DEP_3) | instskip(NEXT) | instid1(TRANS32_DEP_2)
	v_add_f32_e32 v72, v72, v89
	v_cndmask_b32_e64 v90, 0, v76, s16
	s_delay_alu instid0(VALU_DEP_3) | instskip(NEXT) | instid1(VALU_DEP_2)
	v_exp_f32_e32 v75, v75
	v_add_f32_e32 v72, v72, v88
	s_delay_alu instid0(TRANS32_DEP_2) | instskip(NEXT) | instid1(VALU_DEP_2)
	v_cndmask_b32_e64 v93, 0, v74, s17
	v_add_f32_e32 v72, v72, v91
	s_waitcnt_depctr 0xfff
	v_cndmask_b32_e64 v92, 0, v75, s18
	v_add_f32_e32 v72, v72, v90
	s_delay_alu instid0(VALU_DEP_1) | instskip(NEXT) | instid1(VALU_DEP_1)
	v_add_f32_e32 v72, v72, v93
	v_add_f32_e32 v72, v72, v92
	ds_bpermute_b32 v73, v73, v72
	s_and_saveexec_b32 s4, s3
	s_cbranch_execz .LBB856_12
; %bb.11:
	v_mul_u32_u24_e32 v70, 0x44, v69
	s_waitcnt lgkmcnt(0)
	v_add_f32_e32 v72, v72, v73
	s_delay_alu instid0(VALU_DEP_2) | instskip(NEXT) | instid1(VALU_DEP_1)
	v_lshl_add_u32 v70, v68, 2, v70
	v_add_nc_u32_e32 v70, 0x4000, v70
	ds_store_2addr_b32 v70, v71, v72 offset1:136
.LBB856_12:
	s_or_b32 exec_lo, exec_lo, s4
	v_lshlrev_b32_e32 v70, 2, v68
	s_load_b32 s36, s[0:1], 0x94
	s_waitcnt lgkmcnt(0)
	s_barrier
	buffer_gl0_inv
	v_add_nc_u32_e32 v98, 0x4000, v70
	v_cmp_eq_u32_e32 vcc_lo, 1, v69
	v_cmp_eq_u32_e64 s4, 2, v69
	v_cmp_eq_u32_e64 s5, 3, v69
	;; [unrolled: 1-line block ×3, first 2 shown]
	ds_load_2addr_b32 v[70:71], v98 offset1:17
	ds_load_2addr_b32 v[72:73], v98 offset0:34 offset1:51
	ds_load_2addr_b32 v[74:75], v98 offset0:68 offset1:85
	;; [unrolled: 1-line block ×3, first 2 shown]
	v_cmp_eq_u32_e64 s7, 5, v69
	v_cmp_eq_u32_e64 s8, 7, v69
	s_waitcnt lgkmcnt(3)
	v_max3_f32 v76, v70, 0xff7fffff, v71
	s_waitcnt lgkmcnt(2)
	s_delay_alu instid0(VALU_DEP_1) | instskip(SKIP_1) | instid1(VALU_DEP_1)
	v_max3_f32 v76, v76, v72, v73
	s_waitcnt lgkmcnt(1)
	v_max3_f32 v76, v76, v74, v75
	s_waitcnt lgkmcnt(0)
	s_delay_alu instid0(VALU_DEP_1) | instskip(NEXT) | instid1(VALU_DEP_1)
	v_max3_f32 v76, v76, v94, v95
	v_sub_f32_e32 v77, v71, v76
	ds_load_2addr_b32 v[96:97], v98 offset0:136 offset1:153
	v_sub_f32_e32 v74, v74, v76
	v_sub_f32_e32 v70, v70, v76
	v_sub_f32_e32 v94, v94, v76
	v_dual_sub_f32 v72, v72, v76 :: v_dual_mul_f32 v77, 0x3fb8aa3b, v77
	s_delay_alu instid0(VALU_DEP_4) | instskip(NEXT) | instid1(VALU_DEP_4)
	v_mul_f32_e32 v103, 0x3fb8aa3b, v74
	v_mul_f32_e32 v99, 0x3fb8aa3b, v70
	ds_load_2addr_b32 v[70:71], v98 offset0:170 offset1:187
	v_dual_mul_f32 v101, 0x3fb8aa3b, v72 :: v_dual_mul_f32 v94, 0x3fb8aa3b, v94
	v_exp_f32_e32 v102, v77
	v_exp_f32_e32 v99, v99
	s_delay_alu instid0(VALU_DEP_1) | instskip(NEXT) | instid1(VALU_DEP_1)
	v_exp_f32_e32 v101, v101
	v_exp_f32_e32 v94, v94
	s_waitcnt lgkmcnt(1)
	s_delay_alu instid0(TRANS32_DEP_3)
	v_fma_f32 v77, v99, v96, 0
	v_sub_f32_e32 v100, v73, v76
	ds_load_2addr_b32 v[72:73], v98 offset0:204 offset1:221
	v_fmac_f32_e32 v77, v102, v97
	v_exp_f32_e32 v97, v103
	s_waitcnt lgkmcnt(1)
	s_delay_alu instid0(VALU_DEP_1)
	v_dual_fmac_f32 v77, v101, v70 :: v_dual_sub_f32 v96, v75, v76
	ds_load_2addr_b32 v[74:75], v98 offset0:238 offset1:255
	v_sub_f32_e32 v70, v95, v76
	s_waitcnt lgkmcnt(0)
	s_barrier
	v_mul_f32_e32 v96, 0x3fb8aa3b, v96
	buffer_gl0_inv
	v_exp_f32_e32 v95, v96
	v_mul_f32_e32 v100, 0x3fb8aa3b, v100
	s_delay_alu instid0(VALU_DEP_1) | instskip(SKIP_3) | instid1(VALU_DEP_2)
	v_exp_f32_e32 v100, v100
	s_waitcnt_depctr 0xfff
	v_dual_fmac_f32 v77, v100, v71 :: v_dual_mul_f32 v70, 0x3fb8aa3b, v70
	v_cndmask_b32_e32 v71, v99, v102, vcc_lo
	v_fmac_f32_e32 v77, v97, v72
	s_delay_alu instid0(VALU_DEP_3) | instskip(NEXT) | instid1(VALU_DEP_1)
	v_exp_f32_e32 v96, v70
	v_fmac_f32_e32 v77, v95, v73
	s_delay_alu instid0(VALU_DEP_1) | instskip(SKIP_2) | instid1(VALU_DEP_1)
	v_fmac_f32_e32 v77, v94, v74
	s_waitcnt_depctr 0xfff
	v_fmac_f32_e32 v77, v96, v75
	v_add_f32_e32 v74, 0x358637bd, v77
	s_delay_alu instid0(VALU_DEP_1) | instskip(SKIP_1) | instid1(VALU_DEP_2)
	v_div_scale_f32 v98, null, v74, v74, 1.0
	v_div_scale_f32 v99, vcc_lo, 1.0, v74, 1.0
	v_rcp_f32_e32 v103, v98
	s_waitcnt_depctr 0xfff
	v_fma_f32 v70, -v98, v103, 1.0
	s_delay_alu instid0(VALU_DEP_1) | instskip(SKIP_2) | instid1(VALU_DEP_2)
	v_fmac_f32_e32 v103, v70, v103
	v_cndmask_b32_e64 v70, v71, v101, s4
	v_cmp_eq_u32_e64 s4, 6, v69
	v_cndmask_b32_e64 v71, v70, v100, s5
	s_delay_alu instid0(VALU_DEP_4) | instskip(NEXT) | instid1(VALU_DEP_2)
	v_dual_mul_f32 v101, v99, v103 :: v_dual_lshlrev_b32 v70, 2, v66
	v_cndmask_b32_e64 v71, v71, v97, s6
	s_delay_alu instid0(VALU_DEP_2) | instskip(NEXT) | instid1(VALU_DEP_3)
	v_or_b32_e32 v72, 1, v70
	v_fma_f32 v100, -v98, v101, v99
	v_cmp_eq_u32_e64 s5, 1, v70
	v_cmp_eq_u32_e64 s6, 2, v70
	v_cndmask_b32_e64 v95, v71, v95, s7
	v_or_b32_e32 v71, 3, v70
	v_fmac_f32_e32 v101, v100, v103
	v_cmp_eq_u32_e64 s10, 1, v72
	v_cmp_eq_u32_e64 s13, 2, v72
	v_cndmask_b32_e64 v94, v95, v94, s4
	v_cmp_eq_u32_e64 s12, 1, v71
	v_fma_f32 v97, -v98, v101, v99
	v_cmp_eq_u32_e64 s17, 2, v71
	v_cmp_eq_u32_e64 s15, 3, v72
	v_cndmask_b32_e64 v94, v94, v96, s8
	v_cmp_eq_u32_e64 s19, 3, v71
	v_div_fmas_f32 v95, v97, v103, v101
	v_cmp_eq_u32_e32 vcc_lo, 3, v70
	v_cmp_eq_u32_e64 s4, 4, v70
	v_cmp_eq_u32_e64 s20, 4, v72
	;; [unrolled: 1-line block ×3, first 2 shown]
	v_div_fixup_f32 v95, v95, v74, 1.0
	v_lshlrev_b32_e32 v73, 6, v68
	v_cmp_eq_u32_e64 s7, 5, v70
	v_cmp_eq_u32_e64 s21, 5, v72
	;; [unrolled: 1-line block ×3, first 2 shown]
	v_mul_f32_e32 v102, v94, v95
	v_lshl_or_b32 v75, v69, 11, v73
	v_or_b32_e32 v69, 2, v70
	v_cmp_eq_u32_e64 s26, 6, v72
	v_cmp_eq_u32_e64 s28, 6, v71
	v_fma_mixlo_f16 v94, v102, v79, 0
	v_fma_mixlo_f16 v95, v102, v81, 0
	;; [unrolled: 1-line block ×8, first 2 shown]
	v_lshl_or_b32 v74, v66, 4, v75
	v_fma_mixhi_f16 v94, v102, v78, 0
	v_fma_mixhi_f16 v95, v102, v80, 0
	;; [unrolled: 1-line block ×8, first 2 shown]
	ds_store_b128 v74, v[94:97]
	ds_store_b128 v74, v[98:101] offset:1024
	s_waitcnt lgkmcnt(0)
	s_barrier
	buffer_gl0_inv
	ds_load_b128 v[78:81], v75
	ds_load_b128 v[82:85], v75 offset:16
	ds_load_b128 v[86:89], v75 offset:1024
	;; [unrolled: 1-line block ×3, first 2 shown]
	v_cmp_eq_u32_e64 s11, 1, v69
	v_cmp_eq_u32_e64 s16, 2, v69
	;; [unrolled: 1-line block ×11, first 2 shown]
	s_waitcnt lgkmcnt(3)
	v_lshrrev_b32_e32 v94, 16, v78
	s_waitcnt lgkmcnt(2)
	v_lshrrev_b32_e32 v98, 16, v82
	;; [unrolled: 2-line block ×4, first 2 shown]
	v_lshrrev_b32_e32 v95, 16, v79
	v_cndmask_b32_e64 v110, v78, v94, s5
	v_cndmask_b32_e64 v111, v82, v98, s5
	;; [unrolled: 1-line block ×8, first 2 shown]
	v_lshrrev_b32_e32 v99, 16, v83
	v_cndmask_b32_e64 v94, v86, v102, s5
	v_cndmask_b32_e64 v98, v90, v106, s5
	;; [unrolled: 1-line block ×15, first 2 shown]
	v_lshrrev_b32_e32 v103, 16, v87
	v_lshrrev_b32_e32 v107, 16, v91
	v_cndmask_b32_e64 v113, v115, v83, s16
	v_cndmask_b32_e64 v82, v94, v87, s6
	v_cndmask_b32_e64 v83, v98, v91, s6
	v_cndmask_b32_e64 v94, v116, v87, s13
	v_cndmask_b32_e64 v98, v118, v87, s16
	v_cndmask_b32_e64 v86, v86, v87, s17
	v_cndmask_b32_e64 v87, v90, v91, s17
	v_cndmask_b32_e32 v90, v102, v95, vcc_lo
	v_cndmask_b32_e32 v102, v106, v99, vcc_lo
	v_cndmask_b32_e64 v106, v110, v95, s15
	v_cndmask_b32_e64 v110, v111, v99, s15
	;; [unrolled: 1-line block ×4, first 2 shown]
	v_lshrrev_b32_e32 v96, 16, v80
	v_lshrrev_b32_e32 v100, 16, v84
	v_cndmask_b32_e64 v111, v112, v95, s18
	v_cndmask_b32_e64 v112, v113, v99, s18
	v_cndmask_b32_e32 v82, v82, v103, vcc_lo
	v_cndmask_b32_e32 v83, v83, v107, vcc_lo
	v_cndmask_b32_e64 v94, v94, v103, s15
	v_cndmask_b32_e64 v90, v90, v80, s4
	v_cndmask_b32_e64 v95, v102, v84, s4
	v_cndmask_b32_e64 v99, v106, v80, s20
	v_cndmask_b32_e64 v102, v110, v84, s20
	v_cndmask_b32_e64 v78, v78, v80, s23
	v_cndmask_b32_e64 v79, v79, v84, s23
	v_lshrrev_b32_e32 v104, 16, v88
	v_cndmask_b32_e64 v106, v111, v80, s22
	v_cndmask_b32_e64 v110, v112, v84, s22
	;; [unrolled: 1-line block ×11, first 2 shown]
	v_lshrrev_b32_e32 v97, 16, v81
	v_lshrrev_b32_e32 v101, 16, v85
	v_cndmask_b32_e64 v99, v106, v96, s24
	v_cndmask_b32_e64 v102, v110, v100, s24
	;; [unrolled: 1-line block ×7, first 2 shown]
	v_lshrrev_b32_e32 v105, 16, v89
	v_cndmask_b32_e64 v80, v80, v104, s7
	v_cndmask_b32_e64 v84, v84, v81, s8
	;; [unrolled: 1-line block ×16, first 2 shown]
	v_perm_b32 v81, v79, v78, 0x5040100
	v_perm_b32 v79, v95, v85, 0x5040100
	v_cndmask_b32_e64 v78, v119, v91, s16
	v_cndmask_b32_e64 v85, v117, v91, s13
	;; [unrolled: 1-line block ×3, first 2 shown]
	v_perm_b32 v80, v94, v90, 0x5040100
	v_cndmask_b32_e64 v90, v98, v103, s18
	v_cndmask_b32_e64 v86, v86, v103, s19
	;; [unrolled: 1-line block ×5, first 2 shown]
	v_lshrrev_b32_e32 v108, 16, v92
	v_cndmask_b32_e64 v90, v90, v88, s22
	v_cndmask_b32_e64 v86, v86, v88, s23
	v_cndmask_b32_e64 v87, v87, v92, s23
	v_cndmask_b32_e64 v78, v78, v92, s22
	v_cndmask_b32_e64 v85, v85, v92, s20
	v_cndmask_b32_e64 v82, v82, v108, s7
	v_cndmask_b32_e64 v88, v90, v104, s24
	v_cndmask_b32_e64 v86, v86, v104, s25
	v_cndmask_b32_e64 v87, v87, v108, s25
	v_cndmask_b32_e64 v78, v78, v108, s24
	v_cndmask_b32_e64 v85, v85, v108, s21
	v_lshrrev_b32_e32 v109, 16, v93
	v_cndmask_b32_e64 v82, v82, v93, s8
	v_cndmask_b32_e64 v88, v88, v89, s27
	;; [unrolled: 1-line block ×12, first 2 shown]
	v_perm_b32 v78, v84, v83, 0x5040100
	v_perm_b32 v85, v87, v86, 0x5040100
	v_perm_b32 v84, v89, v88, 0x5040100
	v_perm_b32 v83, v90, v97, 0x5040100
	v_perm_b32 v82, v82, v96, 0x5040100
	s_mul_i32 s9, s35, 7
	s_mov_b32 s4, exec_lo
	ds_store_b128 v74, v[78:81]
	ds_store_b128 v74, v[82:85] offset:1024
	v_cmpx_gt_u32_e32 7, v0
	s_cbranch_execz .LBB856_14
; %bb.13:
	s_mul_i32 s5, s9, s34
	s_load_b128 s[16:19], s[0:1], 0x58
	v_add3_u32 v68, s5, s33, v68
	s_delay_alu instid0(VALU_DEP_1) | instskip(NEXT) | instid1(VALU_DEP_1)
	v_mad_u64_u32 v[78:79], null, v68, s36, s[14:15]
	v_ashrrev_i32_e32 v79, 31, v78
	s_delay_alu instid0(VALU_DEP_1) | instskip(SKIP_1) | instid1(VALU_DEP_1)
	v_lshlrev_b64 v[78:79], 2, v[78:79]
	s_waitcnt lgkmcnt(0)
	v_add_co_u32 v80, vcc_lo, s18, v78
	s_delay_alu instid0(VALU_DEP_2)
	v_add_co_ci_u32_e32 v81, vcc_lo, s19, v79, vcc_lo
	v_add_co_u32 v78, vcc_lo, s16, v78
	v_add_co_ci_u32_e32 v79, vcc_lo, s17, v79, vcc_lo
	global_store_b32 v[80:81], v76, off
	global_store_b32 v[78:79], v77, off
.LBB856_14:
	s_or_b32 exec_lo, exec_lo, s4
	s_waitcnt lgkmcnt(0)
	s_waitcnt_vscnt null, 0x0
	s_barrier
	buffer_gl0_inv
	ds_load_b128 v[84:87], v73
	ds_load_b128 v[88:91], v73 offset:16
	ds_load_b128 v[96:99], v73 offset:2064
	;; [unrolled: 1-line block ×5, first 2 shown]
	v_cmp_eq_u32_e32 vcc_lo, 1, v70
	v_mov_b32_e32 v76, 0
	ds_load_b128 v[112:115], v73 offset:6160
	ds_load_b128 v[108:111], v73 offset:6144
	;; [unrolled: 1-line block ×4, first 2 shown]
	v_cmp_eq_u32_e64 s5, 1, v69
	v_cmp_eq_u32_e64 s4, 1, v72
	;; [unrolled: 1-line block ×3, first 2 shown]
	v_mov_b32_e32 v77, v76
	v_mov_b32_e32 v78, v76
	v_mov_b32_e32 v79, v76
	v_mov_b32_e32 v80, v76
	v_mov_b32_e32 v81, v76
	v_mov_b32_e32 v82, v76
	v_mov_b32_e32 v83, v76
	v_cmp_eq_u32_e64 s7, 3, v72
	v_cmp_eq_u32_e64 s8, 7, v72
	s_waitcnt lgkmcnt(8)
	s_delay_alu instid0(VALU_DEP_3)
	v_wmma_f32_16x16x16_f16 v[76:83], v[49:56], v[84:91], v[76:83]
	ds_load_b128 v[53:56], v73 offset:10256
	ds_load_b128 v[49:52], v73 offset:10240
	s_waitcnt lgkmcnt(8)
	v_wmma_f32_16x16x16_f16 v[76:83], v[41:48], v[92:99], v[76:83]
	ds_load_b128 v[45:48], v73 offset:12304
	ds_load_b128 v[41:44], v73 offset:12288
	s_waitcnt lgkmcnt(8)
	;; [unrolled: 4-line block ×3, first 2 shown]
	s_barrier
	buffer_gl0_inv
	v_wmma_f32_16x16x16_f16 v[76:83], v[1:8], v[108:115], v[76:83]
	s_delay_alu instid0(VALU_DEP_1) | instskip(NEXT) | instid1(VALU_DEP_1)
	v_wmma_f32_16x16x16_f16 v[76:83], v[9:16], v[116:123], v[76:83]
	v_wmma_f32_16x16x16_f16 v[76:83], v[17:24], v[49:56], v[76:83]
	s_delay_alu instid0(VALU_DEP_1) | instskip(NEXT) | instid1(VALU_DEP_1)
	v_wmma_f32_16x16x16_f16 v[76:83], v[25:32], v[41:48], v[76:83]
	v_wmma_f32_16x16x16_f16 v[76:83], v[57:64], v[33:40], v[76:83]
	s_delay_alu instid0(VALU_DEP_1) | instskip(NEXT) | instid1(VALU_DEP_2)
	v_cvt_f16_f32_e32 v1, v76
	v_cvt_f16_f32_e32 v2, v77
	s_delay_alu instid0(VALU_DEP_3) | instskip(NEXT) | instid1(VALU_DEP_4)
	v_cvt_f16_f32_e32 v3, v78
	v_cvt_f16_f32_e32 v4, v79
	v_cvt_f16_f32_e32 v5, v80
	v_cvt_f16_f32_e32 v6, v81
	v_cvt_f16_f32_e32 v7, v82
	v_cvt_f16_f32_e32 v8, v83
	v_pack_b32_f16 v1, v1, v2
	v_pack_b32_f16 v2, v3, v4
	;; [unrolled: 1-line block ×3, first 2 shown]
	s_delay_alu instid0(VALU_DEP_4)
	v_pack_b32_f16 v4, v7, v8
	ds_store_b128 v74, v[1:4]
	s_waitcnt lgkmcnt(0)
	s_barrier
	buffer_gl0_inv
	ds_load_b128 v[1:4], v75
	ds_load_b128 v[5:8], v75 offset:16
	s_waitcnt lgkmcnt(1)
	v_lshrrev_b32_e32 v9, 16, v1
	s_waitcnt lgkmcnt(0)
	v_lshrrev_b32_e32 v13, 16, v5
	v_lshrrev_b32_e32 v10, 16, v2
	;; [unrolled: 1-line block ×4, first 2 shown]
	v_cndmask_b32_e32 v17, v1, v9, vcc_lo
	v_cndmask_b32_e32 v18, v5, v13, vcc_lo
	v_cndmask_b32_e64 v21, v1, v9, s5
	v_cmp_eq_u32_e32 vcc_lo, 1, v71
	v_cndmask_b32_e64 v22, v5, v13, s5
	v_cmp_eq_u32_e64 s5, 2, v70
	v_cndmask_b32_e64 v19, v1, v9, s4
	v_cndmask_b32_e64 v20, v5, v13, s4
	v_cndmask_b32_e32 v1, v1, v9, vcc_lo
	v_cmp_eq_u32_e64 s4, 2, v71
	v_cndmask_b32_e32 v5, v5, v13, vcc_lo
	v_cndmask_b32_e64 v9, v17, v2, s5
	v_cmp_eq_u32_e32 vcc_lo, 3, v70
	v_cndmask_b32_e64 v13, v18, v6, s5
	v_cmp_eq_u32_e64 s5, 2, v69
	v_cndmask_b32_e64 v17, v19, v2, s6
	v_cndmask_b32_e64 v18, v20, v6, s6
	v_cmp_eq_u32_e64 s6, 3, v69
	v_cndmask_b32_e64 v1, v1, v2, s4
	v_cndmask_b32_e64 v19, v21, v2, s5
	;; [unrolled: 1-line block ×4, first 2 shown]
	v_cndmask_b32_e32 v5, v9, v10, vcc_lo
	v_cndmask_b32_e32 v6, v13, v14, vcc_lo
	v_cmp_eq_u32_e32 vcc_lo, 3, v71
	v_cndmask_b32_e64 v9, v17, v10, s7
	v_cndmask_b32_e64 v13, v18, v14, s7
	;; [unrolled: 1-line block ×3, first 2 shown]
	v_cmp_eq_u32_e64 s5, 4, v70
	v_cndmask_b32_e32 v1, v1, v10, vcc_lo
	v_cndmask_b32_e32 v2, v2, v14, vcc_lo
	v_cmp_eq_u32_e32 vcc_lo, 4, v72
	v_lshrrev_b32_e32 v15, 16, v7
	v_lshrrev_b32_e32 v16, 16, v8
	v_cndmask_b32_e64 v17, v19, v10, s6
	v_cmp_eq_u32_e64 s4, 4, v71
	v_cndmask_b32_e64 v5, v5, v3, s5
	v_cndmask_b32_e64 v6, v6, v7, s5
	v_cndmask_b32_e32 v9, v9, v3, vcc_lo
	v_cmp_eq_u32_e64 s5, 5, v72
	v_cndmask_b32_e32 v10, v13, v7, vcc_lo
	v_cmp_eq_u32_e32 vcc_lo, 4, v69
	v_cmp_eq_u32_e64 s6, 5, v70
	v_cndmask_b32_e64 v2, v2, v7, s4
	v_cndmask_b32_e64 v9, v9, v11, s5
	;; [unrolled: 1-line block ×3, first 2 shown]
	v_cndmask_b32_e32 v13, v17, v3, vcc_lo
	v_cmp_eq_u32_e64 s5, 5, v69
	v_cndmask_b32_e32 v14, v18, v7, vcc_lo
	v_cndmask_b32_e64 v1, v1, v3, s4
	v_cmp_eq_u32_e32 vcc_lo, 5, v71
	v_lshrrev_b32_e32 v12, 16, v4
	v_cndmask_b32_e64 v13, v13, v11, s5
	v_cndmask_b32_e64 v3, v14, v15, s5
	v_cmp_eq_u32_e64 s5, 6, v71
	v_cndmask_b32_e32 v1, v1, v11, vcc_lo
	v_cndmask_b32_e64 v5, v5, v11, s6
	v_cmp_eq_u32_e64 s7, 6, v70
	v_cndmask_b32_e64 v6, v6, v15, s6
	v_cmp_eq_u32_e64 s6, 6, v72
	v_cmp_eq_u32_e64 s4, 6, v69
	v_cndmask_b32_e64 v1, v1, v4, s5
	v_cndmask_b32_e32 v2, v2, v15, vcc_lo
	v_cmp_eq_u32_e32 vcc_lo, 7, v71
	v_cndmask_b32_e64 v5, v5, v4, s7
	v_cndmask_b32_e64 v9, v9, v4, s6
	;; [unrolled: 1-line block ×3, first 2 shown]
	v_cmp_eq_u32_e64 s7, 7, v70
	v_cndmask_b32_e32 v1, v1, v12, vcc_lo
	v_cndmask_b32_e64 v7, v13, v4, s4
	v_cndmask_b32_e64 v3, v3, v8, s4
	;; [unrolled: 1-line block ×3, first 2 shown]
	v_cmp_eq_u32_e64 s4, 7, v69
	v_cndmask_b32_e64 v4, v10, v8, s6
	v_cndmask_b32_e64 v5, v5, v12, s7
	;; [unrolled: 1-line block ×3, first 2 shown]
	v_cndmask_b32_e32 v2, v2, v16, vcc_lo
	v_cndmask_b32_e64 v7, v7, v12, s4
	v_cndmask_b32_e64 v3, v3, v16, s4
	;; [unrolled: 1-line block ×4, first 2 shown]
	v_cmp_gt_u32_e32 vcc_lo, 32, v0
	v_perm_b32 v4, v2, v1, 0x5040100
	v_perm_b32 v3, v3, v7, 0x5040100
	v_perm_b32 v2, v8, v9, 0x5040100
	v_perm_b32 v1, v6, v5, 0x5040100
	s_and_b32 s2, vcc_lo, s2
	ds_store_b128 v74, v[1:4]
	s_waitcnt lgkmcnt(0)
	s_barrier
	buffer_gl0_inv
	s_and_saveexec_b32 s4, s2
	s_cbranch_execz .LBB856_2
; %bb.15:
	s_load_b64 s[4:5], s[0:1], 0x68
	v_lshlrev_b32_e32 v0, 10, v0
	v_add_nc_u32_e32 v2, s33, v66
	v_lshlrev_b32_e32 v3, 4, v67
	s_lshl_b32 s0, s36, 6
	s_delay_alu instid0(SALU_CYCLE_1) | instskip(NEXT) | instid1(VALU_DEP_2)
	s_mul_i32 s1, s0, s34
	v_mul_lo_u32 v1, v2, s0
	s_delay_alu instid0(VALU_DEP_2)
	v_and_or_b32 v0, 0x3800, v0, v3
	v_add_nc_u32_e32 v3, 2, v2
	s_mul_i32 s6, s1, s9
	v_add_nc_u32_e32 v4, 4, v2
	s_ashr_i32 s7, s6, 31
	v_lshl_or_b32 v11, v66, 6, v0
	s_lshl_b64 s[6:7], s[6:7], 1
	v_mul_lo_u32 v15, v3, s0
	v_mul_lo_u32 v17, v4, s0
	v_ashrrev_i32_e32 v2, 31, v1
	ds_load_b128 v[3:6], v11
	ds_load_b128 v[7:10], v11 offset:128
	ds_load_b128 v[11:14], v11 offset:256
	s_waitcnt lgkmcnt(0)
	s_add_u32 s1, s4, s6
	s_addc_u32 s2, s5, s7
	s_lshl_b32 s4, s14, 6
	v_ashrrev_i32_e32 v16, 31, v15
	s_ashr_i32 s5, s4, 31
	v_lshlrev_b64 v[19:20], 1, v[1:2]
	s_lshl_b64 s[4:5], s[4:5], 1
	v_ashrrev_i32_e32 v18, 31, v17
	s_add_u32 s1, s1, s4
	s_addc_u32 s2, s2, s5
	v_add_co_u32 v1, s1, s1, v65
	s_delay_alu instid0(VALU_DEP_1) | instskip(SKIP_1) | instid1(VALU_DEP_3)
	v_add_co_ci_u32_e64 v2, null, s2, 0, s1
	v_lshlrev_b64 v[15:16], 1, v[15:16]
	v_add_co_u32 v19, vcc_lo, v1, v19
	v_lshlrev_b64 v[17:18], 1, v[17:18]
	s_delay_alu instid0(VALU_DEP_4) | instskip(NEXT) | instid1(VALU_DEP_4)
	v_add_co_ci_u32_e32 v20, vcc_lo, v2, v20, vcc_lo
	v_add_co_u32 v15, vcc_lo, v1, v15
	v_add_co_ci_u32_e32 v16, vcc_lo, v2, v16, vcc_lo
	s_delay_alu instid0(VALU_DEP_4)
	v_add_co_u32 v17, vcc_lo, v1, v17
	v_add_co_ci_u32_e32 v18, vcc_lo, v2, v18, vcc_lo
	s_clause 0x2
	global_store_b128 v[19:20], v[3:6], off
	global_store_b128 v[15:16], v[7:10], off
	;; [unrolled: 1-line block ×3, first 2 shown]
	s_and_b32 exec_lo, exec_lo, s3
	s_cbranch_execz .LBB856_2
; %bb.16:
	ds_load_b128 v[3:6], v0 offset:384
	s_add_i32 s1, s33, 6
	s_delay_alu instid0(SALU_CYCLE_1) | instskip(NEXT) | instid1(SALU_CYCLE_1)
	s_mul_i32 s0, s1, s0
	s_ashr_i32 s1, s0, 31
	s_delay_alu instid0(SALU_CYCLE_1) | instskip(NEXT) | instid1(SALU_CYCLE_1)
	s_lshl_b64 s[0:1], s[0:1], 1
	v_add_co_u32 v0, vcc_lo, v1, s0
	v_add_co_ci_u32_e32 v1, vcc_lo, s1, v2, vcc_lo
	s_waitcnt lgkmcnt(0)
	global_store_b128 v[0:1], v[3:6], off
	s_nop 0
	s_sendmsg sendmsg(MSG_DEALLOC_VGPRS)
	s_endpgm
	.section	.rodata,"a",@progbits
	.p2align	6, 0x0
	.amdhsa_kernel _Z39paged_attention_ll4mi_QKV_mfma16_kernelIDF16_hLN4vllm18Fp8KVCacheDataTypeE1EhLi32ELi64ELi256ELb1ELi7EL8MFMAType1EEvPKT_PKT0_S8_ifPKiSA_SA_iPKfiiiPfSD_PS3_PT2_iSC_SC_
		.amdhsa_group_segment_fixed_size 17472
		.amdhsa_private_segment_fixed_size 0
		.amdhsa_kernarg_size 400
		.amdhsa_user_sgpr_count 13
		.amdhsa_user_sgpr_dispatch_ptr 0
		.amdhsa_user_sgpr_queue_ptr 0
		.amdhsa_user_sgpr_kernarg_segment_ptr 1
		.amdhsa_user_sgpr_dispatch_id 0
		.amdhsa_user_sgpr_private_segment_size 0
		.amdhsa_wavefront_size32 1
		.amdhsa_uses_dynamic_stack 0
		.amdhsa_enable_private_segment 0
		.amdhsa_system_sgpr_workgroup_id_x 1
		.amdhsa_system_sgpr_workgroup_id_y 1
		.amdhsa_system_sgpr_workgroup_id_z 1
		.amdhsa_system_sgpr_workgroup_info 0
		.amdhsa_system_vgpr_workitem_id 0
		.amdhsa_next_free_vgpr 146
		.amdhsa_next_free_sgpr 37
		.amdhsa_reserve_vcc 1
		.amdhsa_float_round_mode_32 0
		.amdhsa_float_round_mode_16_64 0
		.amdhsa_float_denorm_mode_32 3
		.amdhsa_float_denorm_mode_16_64 3
		.amdhsa_dx10_clamp 1
		.amdhsa_ieee_mode 1
		.amdhsa_fp16_overflow 0
		.amdhsa_workgroup_processor_mode 1
		.amdhsa_memory_ordered 1
		.amdhsa_forward_progress 0
		.amdhsa_shared_vgpr_count 0
		.amdhsa_exception_fp_ieee_invalid_op 0
		.amdhsa_exception_fp_denorm_src 0
		.amdhsa_exception_fp_ieee_div_zero 0
		.amdhsa_exception_fp_ieee_overflow 0
		.amdhsa_exception_fp_ieee_underflow 0
		.amdhsa_exception_fp_ieee_inexact 0
		.amdhsa_exception_int_div_zero 0
	.end_amdhsa_kernel
	.section	.text._Z39paged_attention_ll4mi_QKV_mfma16_kernelIDF16_hLN4vllm18Fp8KVCacheDataTypeE1EhLi32ELi64ELi256ELb1ELi7EL8MFMAType1EEvPKT_PKT0_S8_ifPKiSA_SA_iPKfiiiPfSD_PS3_PT2_iSC_SC_,"axG",@progbits,_Z39paged_attention_ll4mi_QKV_mfma16_kernelIDF16_hLN4vllm18Fp8KVCacheDataTypeE1EhLi32ELi64ELi256ELb1ELi7EL8MFMAType1EEvPKT_PKT0_S8_ifPKiSA_SA_iPKfiiiPfSD_PS3_PT2_iSC_SC_,comdat
.Lfunc_end856:
	.size	_Z39paged_attention_ll4mi_QKV_mfma16_kernelIDF16_hLN4vllm18Fp8KVCacheDataTypeE1EhLi32ELi64ELi256ELb1ELi7EL8MFMAType1EEvPKT_PKT0_S8_ifPKiSA_SA_iPKfiiiPfSD_PS3_PT2_iSC_SC_, .Lfunc_end856-_Z39paged_attention_ll4mi_QKV_mfma16_kernelIDF16_hLN4vllm18Fp8KVCacheDataTypeE1EhLi32ELi64ELi256ELb1ELi7EL8MFMAType1EEvPKT_PKT0_S8_ifPKiSA_SA_iPKfiiiPfSD_PS3_PT2_iSC_SC_
                                        ; -- End function
	.section	.AMDGPU.csdata,"",@progbits
; Kernel info:
; codeLenInByte = 6524
; NumSgprs: 39
; NumVgprs: 146
; ScratchSize: 0
; MemoryBound: 0
; FloatMode: 240
; IeeeMode: 1
; LDSByteSize: 17472 bytes/workgroup (compile time only)
; SGPRBlocks: 4
; VGPRBlocks: 18
; NumSGPRsForWavesPerEU: 39
; NumVGPRsForWavesPerEU: 146
; Occupancy: 9
; WaveLimiterHint : 1
; COMPUTE_PGM_RSRC2:SCRATCH_EN: 0
; COMPUTE_PGM_RSRC2:USER_SGPR: 13
; COMPUTE_PGM_RSRC2:TRAP_HANDLER: 0
; COMPUTE_PGM_RSRC2:TGID_X_EN: 1
; COMPUTE_PGM_RSRC2:TGID_Y_EN: 1
; COMPUTE_PGM_RSRC2:TGID_Z_EN: 1
; COMPUTE_PGM_RSRC2:TIDIG_COMP_CNT: 0
	.section	.text._Z39paged_attention_ll4mi_QKV_mfma16_kernelIDF16_hLN4vllm18Fp8KVCacheDataTypeE1EhLi32ELi64ELi256ELb1ELi8EL8MFMAType1EEvPKT_PKT0_S8_ifPKiSA_SA_iPKfiiiPfSD_PS3_PT2_iSC_SC_,"axG",@progbits,_Z39paged_attention_ll4mi_QKV_mfma16_kernelIDF16_hLN4vllm18Fp8KVCacheDataTypeE1EhLi32ELi64ELi256ELb1ELi8EL8MFMAType1EEvPKT_PKT0_S8_ifPKiSA_SA_iPKfiiiPfSD_PS3_PT2_iSC_SC_,comdat
	.protected	_Z39paged_attention_ll4mi_QKV_mfma16_kernelIDF16_hLN4vllm18Fp8KVCacheDataTypeE1EhLi32ELi64ELi256ELb1ELi8EL8MFMAType1EEvPKT_PKT0_S8_ifPKiSA_SA_iPKfiiiPfSD_PS3_PT2_iSC_SC_ ; -- Begin function _Z39paged_attention_ll4mi_QKV_mfma16_kernelIDF16_hLN4vllm18Fp8KVCacheDataTypeE1EhLi32ELi64ELi256ELb1ELi8EL8MFMAType1EEvPKT_PKT0_S8_ifPKiSA_SA_iPKfiiiPfSD_PS3_PT2_iSC_SC_
	.globl	_Z39paged_attention_ll4mi_QKV_mfma16_kernelIDF16_hLN4vllm18Fp8KVCacheDataTypeE1EhLi32ELi64ELi256ELb1ELi8EL8MFMAType1EEvPKT_PKT0_S8_ifPKiSA_SA_iPKfiiiPfSD_PS3_PT2_iSC_SC_
	.p2align	8
	.type	_Z39paged_attention_ll4mi_QKV_mfma16_kernelIDF16_hLN4vllm18Fp8KVCacheDataTypeE1EhLi32ELi64ELi256ELb1ELi8EL8MFMAType1EEvPKT_PKT0_S8_ifPKiSA_SA_iPKfiiiPfSD_PS3_PT2_iSC_SC_,@function
_Z39paged_attention_ll4mi_QKV_mfma16_kernelIDF16_hLN4vllm18Fp8KVCacheDataTypeE1EhLi32ELi64ELi256ELb1ELi8EL8MFMAType1EEvPKT_PKT0_S8_ifPKiSA_SA_iPKfiiiPfSD_PS3_PT2_iSC_SC_: ; @_Z39paged_attention_ll4mi_QKV_mfma16_kernelIDF16_hLN4vllm18Fp8KVCacheDataTypeE1EhLi32ELi64ELi256ELb1ELi8EL8MFMAType1EEvPKT_PKT0_S8_ifPKiSA_SA_iPKfiiiPfSD_PS3_PT2_iSC_SC_
; %bb.0:
	s_load_b64 s[2:3], s[0:1], 0x30
	s_mov_b32 s34, s13
	s_waitcnt lgkmcnt(0)
	s_cmp_lg_u64 s[2:3], 0
	s_cselect_b32 s8, -1, 0
	s_ashr_i32 s35, s13, 31
	s_cmp_eq_u64 s[2:3], 0
	s_cbranch_scc1 .LBB857_3
; %bb.1:
	s_lshl_b64 s[4:5], s[34:35], 2
	s_delay_alu instid0(SALU_CYCLE_1) | instskip(SKIP_4) | instid1(SALU_CYCLE_1)
	s_add_u32 s4, s2, s4
	s_addc_u32 s5, s3, s5
	s_load_b64 s[4:5], s[4:5], 0x0
	s_waitcnt lgkmcnt(0)
	s_sub_i32 s4, s5, s4
	s_cmp_eq_u32 s4, 1
	s_cselect_b32 s4, -1, 0
	s_delay_alu instid0(SALU_CYCLE_1)
	s_and_not1_b32 vcc_lo, exec_lo, s4
	s_cbranch_vccz .LBB857_4
.LBB857_2:
	s_endpgm
.LBB857_3:
.LBB857_4:
	s_load_b64 s[4:5], s[0:1], 0x28
	s_lshl_b64 s[6:7], s[34:35], 2
	s_waitcnt lgkmcnt(0)
	s_add_u32 s4, s4, s6
	s_addc_u32 s5, s5, s7
	s_lshl_b32 s12, s14, 8
	s_load_b32 s24, s[4:5], 0x0
	s_waitcnt lgkmcnt(0)
	s_cmp_ge_i32 s12, s24
	s_cbranch_scc1 .LBB857_2
; %bb.5:
	s_clause 0x1
	s_load_b128 s[20:23], s[0:1], 0x8
	s_load_b64 s[4:5], s[0:1], 0x20
	s_and_not1_b32 vcc_lo, exec_lo, s8
	s_cbranch_vccnz .LBB857_7
; %bb.6:
	s_add_u32 s2, s2, s6
	s_addc_u32 s3, s3, s7
	s_load_b32 s3, s[2:3], 0x0
	s_branch .LBB857_8
.LBB857_7:
	s_mov_b32 s3, s34
.LBB857_8:
	s_load_b128 s[16:19], s[0:1], 0x48
	v_and_b32_e32 v69, 15, v0
	v_cmp_gt_u32_e32 vcc_lo, 0x80, v0
	v_lshrrev_b32_e32 v68, 5, v0
	v_and_b32_e32 v70, 31, v0
	v_and_b32_e32 v66, 1, v0
	v_lshlrev_b32_e32 v1, 3, v69
	v_cmp_gt_u32_e64 s2, 8, v69
	v_bfe_u32 v67, v0, 4, 1
	s_lshl_b32 s31, s15, 3
	s_delay_alu instid0(VALU_DEP_3) | instskip(NEXT) | instid1(VALU_DEP_3)
	v_lshlrev_b32_e32 v65, 1, v1
	s_and_b32 s7, vcc_lo, s2
	s_delay_alu instid0(SALU_CYCLE_1)
	s_and_saveexec_b32 s6, s7
	s_cbranch_execz .LBB857_10
; %bb.9:
	v_lshl_or_b32 v5, v68, 1, v67
	s_load_b64 s[8:9], s[0:1], 0x0
	s_waitcnt lgkmcnt(0)
	s_mul_hi_i32 s11, s3, s16
	s_mul_i32 s10, s3, s16
	v_lshlrev_b32_e32 v6, 10, v69
	v_or_b32_e32 v1, s31, v5
	s_lshl_b64 s[10:11], s[10:11], 1
	v_lshlrev_b32_e32 v5, 6, v5
	v_lshlrev_b32_e32 v7, 10, v66
	v_and_b32_e32 v6, 0x3800, v6
	v_lshlrev_b32_e32 v1, 6, v1
	s_delay_alu instid0(VALU_DEP_2) | instskip(NEXT) | instid1(VALU_DEP_2)
	v_or3_b32 v5, v6, v7, v5
	v_ashrrev_i32_e32 v2, 31, v1
	s_delay_alu instid0(VALU_DEP_1) | instskip(SKIP_2) | instid1(VALU_DEP_1)
	v_lshlrev_b64 v[1:2], 1, v[1:2]
	s_add_u32 s3, s8, s10
	s_addc_u32 s7, s9, s11
	v_add_co_u32 v1, vcc_lo, s3, v1
	s_delay_alu instid0(VALU_DEP_2) | instskip(NEXT) | instid1(VALU_DEP_2)
	v_add_co_ci_u32_e32 v2, vcc_lo, s7, v2, vcc_lo
	v_add_co_u32 v1, vcc_lo, v1, v65
	s_delay_alu instid0(VALU_DEP_2)
	v_add_co_ci_u32_e32 v2, vcc_lo, 0, v2, vcc_lo
	global_load_b128 v[1:4], v[1:2], off
	s_waitcnt vmcnt(0)
	ds_store_b128 v5, v[1:4]
.LBB857_10:
	s_or_b32 exec_lo, exec_lo, s6
	v_and_b32_e32 v1, 0xef, v0
	s_waitcnt lgkmcnt(0)
	s_add_i32 s3, s24, 31
	s_clause 0x1
	s_load_b32 s6, s[0:1], 0x38
	s_load_b32 s33, s[0:1], 0x98
	s_ashr_i32 s7, s3, 31
	v_add_nc_u32_e32 v1, s12, v1
	s_lshr_b32 s7, s7, 27
	s_load_b32 s19, s[0:1], 0x1c
	s_add_i32 s3, s3, s7
	s_waitcnt lgkmcnt(0)
	v_ashrrev_i32_e32 v2, 31, v1
	v_or_b32_e32 v3, 16, v1
	s_ashr_i32 s3, s3, 5
	v_cmp_gt_i32_e32 vcc_lo, s24, v1
	s_add_i32 s3, s3, -1
	v_lshrrev_b32_e32 v2, 27, v2
	s_barrier
	buffer_gl0_inv
	s_mul_i32 s27, s15, s18
	v_add_nc_u32_e32 v4, v1, v2
	s_mul_i32 s6, s34, s6
	s_delay_alu instid0(SALU_CYCLE_1) | instskip(NEXT) | instid1(VALU_DEP_1)
	s_ashr_i32 s7, s6, 31
	v_ashrrev_i32_e32 v4, 5, v4
	v_add_nc_u32_e32 v2, v3, v2
	s_lshl_b64 s[6:7], s[6:7], 2
	s_delay_alu instid0(SALU_CYCLE_1) | instskip(NEXT) | instid1(VALU_DEP_2)
	s_add_u32 s26, s4, s6
	v_cndmask_b32_e32 v1, s3, v4, vcc_lo
	s_delay_alu instid0(VALU_DEP_2)
	v_ashrrev_i32_e32 v2, 5, v2
	v_cmp_gt_i32_e32 vcc_lo, s24, v3
	s_addc_u32 s25, s5, s7
	s_ashr_i32 s28, s27, 31
	s_add_u32 s4, s20, s27
	s_addc_u32 s5, s21, s28
	v_cndmask_b32_e32 v3, s3, v2, vcc_lo
	v_ashrrev_i32_e32 v2, 31, v1
	s_lshl_b32 s6, s14, 3
	s_delay_alu instid0(SALU_CYCLE_1) | instskip(NEXT) | instid1(VALU_DEP_2)
	s_ashr_i32 s7, s6, 31
	v_ashrrev_i32_e32 v4, 31, v3
	s_delay_alu instid0(VALU_DEP_2) | instskip(SKIP_1) | instid1(SALU_CYCLE_1)
	v_lshlrev_b64 v[1:2], 2, v[1:2]
	s_lshl_b64 s[6:7], s[6:7], 2
	s_add_u32 s6, s26, s6
	s_delay_alu instid0(VALU_DEP_2) | instskip(SKIP_1) | instid1(VALU_DEP_2)
	v_lshlrev_b64 v[3:4], 2, v[3:4]
	s_addc_u32 s7, s25, s7
	v_add_co_u32 v1, vcc_lo, s26, v1
	v_add_co_ci_u32_e32 v2, vcc_lo, s25, v2, vcc_lo
	s_delay_alu instid0(VALU_DEP_3) | instskip(NEXT) | instid1(VALU_DEP_4)
	v_add_co_u32 v3, vcc_lo, s26, v3
	v_add_co_ci_u32_e32 v4, vcc_lo, s25, v4, vcc_lo
	s_clause 0x1
	global_load_b32 v5, v[1:2], off
	global_load_b32 v6, v[3:4], off
	s_or_b32 s8, s12, 32
	s_delay_alu instid0(SALU_CYCLE_1) | instskip(SKIP_2) | instid1(SALU_CYCLE_1)
	s_ashr_i32 s9, s8, 5
	s_cmp_lt_i32 s8, s24
	s_cselect_b32 s8, s9, s3
	s_ashr_i32 s9, s8, 31
	s_delay_alu instid0(SALU_CYCLE_1) | instskip(NEXT) | instid1(SALU_CYCLE_1)
	s_lshl_b64 s[8:9], s[8:9], 2
	s_add_u32 s8, s26, s8
	s_addc_u32 s9, s25, s9
	s_or_b32 s10, s12, 64
	s_delay_alu instid0(SALU_CYCLE_1) | instskip(SKIP_2) | instid1(SALU_CYCLE_1)
	s_ashr_i32 s11, s10, 5
	s_cmp_lt_i32 s10, s24
	s_cselect_b32 s10, s11, s3
	s_ashr_i32 s11, s10, 31
	s_delay_alu instid0(SALU_CYCLE_1) | instskip(NEXT) | instid1(SALU_CYCLE_1)
	s_lshl_b64 s[10:11], s[10:11], 2
	s_add_u32 s10, s26, s10
	s_addc_u32 s11, s25, s11
	;; [unrolled: 10-line block ×5, first 2 shown]
	s_clause 0x5
	s_load_b32 s21, s[6:7], 0x0
	s_load_b32 s13, s[8:9], 0x0
	;; [unrolled: 1-line block ×6, first 2 shown]
	s_or_b32 s7, s12, 0xc0
	s_delay_alu instid0(SALU_CYCLE_1) | instskip(SKIP_2) | instid1(SALU_CYCLE_1)
	s_ashr_i32 s8, s7, 5
	s_cmp_lt_i32 s7, s24
	s_cselect_b32 s10, s8, s3
	s_ashr_i32 s11, s10, 31
	s_delay_alu instid0(SALU_CYCLE_1) | instskip(NEXT) | instid1(SALU_CYCLE_1)
	s_lshl_b64 s[36:37], s[10:11], 2
	s_add_u32 s36, s26, s36
	s_addc_u32 s37, s25, s37
	s_or_b32 s29, s12, 0xe0
	s_delay_alu instid0(SALU_CYCLE_1)
	s_ashr_i32 s30, s29, 5
	s_cmp_lt_i32 s29, s24
	s_waitcnt vmcnt(1)
	v_mad_i64_i32 v[1:2], null, v5, s17, s[4:5]
	s_waitcnt vmcnt(0)
	v_mad_i64_i32 v[3:4], null, v6, s17, s[4:5]
	s_mov_b32 s4, 0
	s_delay_alu instid0(SALU_CYCLE_1)
	s_mov_b32 s5, s4
	s_mov_b32 s6, s4
	;; [unrolled: 1-line block ×7, first 2 shown]
	s_delay_alu instid0(SALU_CYCLE_1) | instskip(SKIP_2) | instid1(VALU_DEP_3)
	v_dual_mov_b32 v102, s11 :: v_dual_lshlrev_b32 v5, 4, v69
	v_dual_mov_b32 v98, s7 :: v_dual_mov_b32 v101, s10
	v_mov_b32_e32 v100, s9
	v_add_co_u32 v1, vcc_lo, v1, v5
	v_add_co_ci_u32_e32 v2, vcc_lo, 0, v2, vcc_lo
	v_add_co_u32 v3, vcc_lo, v3, v5
	v_add_co_ci_u32_e32 v4, vcc_lo, 0, v4, vcc_lo
	s_clause 0x7
	global_load_b128 v[57:60], v[1:2], off
	global_load_b128 v[61:64], v[1:2], off offset:512
	global_load_b128 v[71:74], v[3:4], off offset:256
	;; [unrolled: 1-line block ×7, first 2 shown]
	v_dual_mov_b32 v96, s5 :: v_dual_and_b32 v1, 7, v0
	v_mov_b32_e32 v99, s8
	v_mov_b32_e32 v97, s6
	;; [unrolled: 1-line block ×3, first 2 shown]
	s_cselect_b32 s4, s30, s3
	v_lshlrev_b32_e32 v2, 5, v69
	s_ashr_i32 s5, s4, 31
	v_lshlrev_b32_e32 v121, 6, v1
	s_lshl_b64 s[4:5], s[4:5], 2
	s_load_b32 s3, s[36:37], 0x0
	s_add_u32 s4, s26, s4
	s_addc_u32 s5, s25, s5
	v_lshl_or_b32 v1, v68, 9, v2
	ds_load_b128 v[103:106], v121
	ds_load_b128 v[107:110], v121 offset:1024
	s_load_b32 s4, s[4:5], 0x0
	s_add_u32 s6, s22, s27
	s_addc_u32 s7, s23, s28
	v_add_co_u32 v17, s6, s6, v1
	s_delay_alu instid0(VALU_DEP_1) | instskip(SKIP_1) | instid1(VALU_DEP_1)
	v_add_co_ci_u32_e64 v18, null, s7, 0, s6
	s_waitcnt lgkmcnt(0)
	v_mad_i64_i32 v[1:2], null, s21, s17, v[17:18]
	v_mad_i64_i32 v[3:4], null, s13, s17, v[17:18]
	;; [unrolled: 1-line block ×7, first 2 shown]
	s_clause 0x9
	global_load_b128 v[49:52], v[1:2], off
	global_load_b128 v[53:56], v[1:2], off offset:16
	global_load_b128 v[41:44], v[3:4], off
	global_load_b128 v[45:48], v[3:4], off offset:16
	;; [unrolled: 2-line block ×5, first 2 shown]
	v_mad_i64_i32 v[119:120], null, s4, s17, v[17:18]
	s_clause 0x3
	global_load_b128 v[17:20], v[21:22], off
	global_load_b128 v[21:24], v[21:22], off offset:16
	global_load_b128 v[25:28], v[29:30], off
	global_load_b128 v[29:32], v[29:30], off offset:16
	s_waitcnt vmcnt(20)
	v_wmma_f32_16x16x16_f16 v[111:118], v[57:64], v[103:110], v[95:102]
	s_clause 0x1
	global_load_b128 v[57:60], v[119:120], off
	global_load_b128 v[61:64], v[119:120], off offset:16
	s_waitcnt vmcnt(20)
	v_wmma_f32_16x16x16_f16 v[95:102], v[71:78], v[103:110], v[95:102]
	ds_load_b128 v[71:74], v121 offset:2048
	ds_load_b128 v[75:78], v121 offset:3072
	v_mbcnt_lo_u32_b32 v104, -1, 0
	s_waitcnt vmcnt(0) lgkmcnt(0)
	s_barrier
	buffer_gl0_inv
	v_xor_b32_e32 v105, 16, v104
	s_delay_alu instid0(VALU_DEP_1) | instskip(SKIP_4) | instid1(VALU_DEP_2)
	v_cmp_gt_i32_e32 vcc_lo, 32, v105
	v_cndmask_b32_e32 v104, v104, v105, vcc_lo
	v_wmma_f32_16x16x16_f16 v[111:118], v[79:86], v[71:78], v[111:118]
	v_and_b32_e32 v103, 0xe0, v0
	v_wmma_f32_16x16x16_f16 v[95:102], v[87:94], v[71:78], v[95:102]
	v_dual_mul_f32 v78, s19, v113 :: v_dual_add_nc_u32 v103, s12, v103
	s_delay_alu instid0(VALU_DEP_2) | instskip(SKIP_1) | instid1(VALU_DEP_3)
	v_dual_mul_f32 v90, s19, v101 :: v_dual_mul_f32 v87, s19, v112
	v_dual_mul_f32 v88, s19, v111 :: v_dual_mul_f32 v77, s19, v114
	v_or_b32_e32 v103, v103, v67
	v_dual_mul_f32 v75, s19, v116 :: v_dual_mul_f32 v94, s19, v97
	v_dual_mul_f32 v76, s19, v115 :: v_dual_mul_f32 v73, s19, v118
	v_mul_f32_e32 v92, s19, v99
	s_delay_alu instid0(VALU_DEP_4)
	v_or_b32_e32 v105, 2, v103
	v_or_b32_e32 v106, 4, v103
	v_or_b32_e32 v107, 6, v103
	v_cmp_gt_i32_e64 s3, s24, v103
	v_or_b32_e32 v108, 8, v103
	v_cmp_gt_i32_e32 vcc_lo, s24, v105
	v_or_b32_e32 v109, 10, v103
	v_cmp_gt_i32_e64 s4, s24, v106
	v_cndmask_b32_e64 v88, 0xff7fffff, v88, s3
	v_cmp_gt_i32_e64 s5, s24, v107
	v_cndmask_b32_e32 v87, 0xff7fffff, v87, vcc_lo
	v_or_b32_e32 v79, 12, v103
	v_or_b32_e32 v80, 14, v103
	v_cndmask_b32_e64 v78, 0xff7fffff, v78, s4
	v_cndmask_b32_e64 v77, 0xff7fffff, v77, s5
	v_max3_f32 v87, v88, 0xff7fffff, v87
	v_cmp_gt_i32_e64 s6, s24, v108
	v_cmp_gt_i32_e64 s7, s24, v109
	v_or_b32_e32 v81, 16, v103
	v_or_b32_e32 v82, 18, v103
	v_mul_f32_e32 v74, s19, v117
	v_cndmask_b32_e64 v76, 0xff7fffff, v76, s6
	v_cndmask_b32_e64 v75, 0xff7fffff, v75, s7
	v_max3_f32 v77, v87, v78, v77
	v_cmp_gt_i32_e64 s8, s24, v79
	v_cmp_gt_i32_e64 s9, s24, v80
	v_or_b32_e32 v83, 20, v103
	v_or_b32_e32 v84, 22, v103
	;; [unrolled: 1-line block ×6, first 2 shown]
	v_mul_f32_e32 v105, s19, v96
	v_mul_f32_e32 v103, s19, v95
	v_cndmask_b32_e64 v74, 0xff7fffff, v74, s8
	v_cndmask_b32_e64 v73, 0xff7fffff, v73, s9
	v_max3_f32 v75, v77, v76, v75
	v_cmp_gt_i32_e64 s10, s24, v81
	v_cmp_gt_i32_e64 s11, s24, v82
	v_mul_f32_e32 v93, s19, v98
	v_cmp_gt_i32_e64 s12, s24, v83
	v_max3_f32 v73, v75, v74, v73
	v_cndmask_b32_e64 v76, 0xff7fffff, v103, s10
	v_cndmask_b32_e64 v77, 0xff7fffff, v105, s11
	v_cmp_gt_i32_e64 s13, s24, v84
	v_mul_f32_e32 v91, s19, v100
	v_cndmask_b32_e64 v74, 0xff7fffff, v94, s12
	v_cmp_gt_i32_e64 s15, s24, v85
	v_max3_f32 v73, v73, v76, v77
	v_cndmask_b32_e64 v75, 0xff7fffff, v93, s13
	v_cmp_gt_i32_e64 s16, s24, v86
	v_mul_f32_e32 v89, s19, v102
	v_cndmask_b32_e64 v76, 0xff7fffff, v92, s15
	v_cmp_gt_i32_e64 s17, s24, v71
	v_max3_f32 v73, v73, v74, v75
	v_cndmask_b32_e64 v77, 0xff7fffff, v91, s16
	v_cmp_gt_i32_e64 s18, s24, v72
	v_lshlrev_b32_e32 v74, 2, v104
	v_cndmask_b32_e64 v71, 0xff7fffff, v90, s17
	s_delay_alu instid0(VALU_DEP_4) | instskip(NEXT) | instid1(VALU_DEP_4)
	v_max3_f32 v73, v73, v76, v77
	v_cndmask_b32_e64 v72, 0xff7fffff, v89, s18
	s_delay_alu instid0(VALU_DEP_1) | instskip(SKIP_3) | instid1(VALU_DEP_1)
	v_max3_f32 v71, v73, v71, v72
	ds_bpermute_b32 v72, v74, v71
	s_waitcnt lgkmcnt(0)
	v_max_f32_e32 v72, v72, v72
	v_max_f32_e32 v71, v71, v72
	s_delay_alu instid0(VALU_DEP_1)
	v_fma_f32 v72, s19, v111, -v71
	v_fma_f32 v76, s19, v114, -v71
	;; [unrolled: 1-line block ×5, first 2 shown]
	v_mul_f32_e32 v72, 0x3fb8aa3b, v72
	v_mul_f32_e32 v76, 0x3fb8aa3b, v76
	v_fma_f32 v75, s19, v113, -v71
	v_mul_f32_e32 v79, 0x3fb8aa3b, v77
	v_mul_f32_e32 v85, 0x3fb8aa3b, v84
	v_exp_f32_e32 v72, v72
	v_exp_f32_e32 v76, v76
	v_fma_f32 v86, s19, v98, -v71
	v_exp_f32_e32 v82, v79
	v_exp_f32_e32 v85, v85
	v_fma_f32 v81, s19, v117, -v71
	s_delay_alu instid0(VALU_DEP_2) | instskip(SKIP_3) | instid1(TRANS32_DEP_3)
	v_mul_f32_e32 v87, 0x3fb8aa3b, v86
	v_cndmask_b32_e64 v78, 0, v72, s3
	v_fma_f32 v72, s19, v116, -v71
	v_mul_f32_e32 v73, 0x3fb8aa3b, v73
	v_cndmask_b32_e64 v79, 0, v76, s5
	v_fma_f32 v76, s19, v95, -v71
	s_delay_alu instid0(VALU_DEP_4) | instskip(NEXT) | instid1(VALU_DEP_4)
	v_dual_mul_f32 v75, 0x3fb8aa3b, v75 :: v_dual_mul_f32 v72, 0x3fb8aa3b, v72
	v_exp_f32_e32 v73, v73
	v_exp_f32_e32 v87, v87
	s_delay_alu instid0(VALU_DEP_2) | instskip(NEXT) | instid1(VALU_DEP_2)
	v_mul_f32_e32 v76, 0x3fb8aa3b, v76
	v_exp_f32_e32 v75, v75
	v_cndmask_b32_e64 v85, 0, v85, s11
	v_mul_f32_e32 v81, 0x3fb8aa3b, v81
	v_exp_f32_e32 v72, v72
	v_cndmask_b32_e64 v82, 0, v82, s6
	v_exp_f32_e32 v76, v76
	s_mov_b32 s3, exec_lo
	v_cndmask_b32_e32 v77, 0, v73, vcc_lo
	v_add_f32_e32 v73, 0, v78
	v_cndmask_b32_e64 v87, 0, v87, s13
	v_cndmask_b32_e64 v80, 0, v75, s4
	v_fma_f32 v75, s19, v118, -v71
	v_exp_f32_e32 v83, v81
	v_add_f32_e32 v73, v73, v77
	v_cndmask_b32_e64 v81, 0, v72, s7
	v_cndmask_b32_e64 v86, 0, v76, s10
	v_mul_f32_e32 v75, 0x3fb8aa3b, v75
	s_delay_alu instid0(VALU_DEP_4) | instskip(NEXT) | instid1(VALU_DEP_2)
	v_add_f32_e32 v73, v73, v80
	v_exp_f32_e32 v75, v75
	s_delay_alu instid0(TRANS32_DEP_2) | instskip(NEXT) | instid1(VALU_DEP_2)
	v_cndmask_b32_e64 v84, 0, v83, s8
	v_add_f32_e32 v73, v73, v79
	s_delay_alu instid0(VALU_DEP_1) | instskip(SKIP_3) | instid1(VALU_DEP_1)
	v_add_f32_e32 v72, v73, v82
	s_waitcnt_depctr 0xfff
	v_cndmask_b32_e64 v83, 0, v75, s9
	v_add_f32_e32 v72, v72, v81
	v_add_f32_e32 v72, v72, v84
	s_delay_alu instid0(VALU_DEP_1) | instskip(NEXT) | instid1(VALU_DEP_1)
	v_add_f32_e32 v72, v72, v83
	v_add_f32_e32 v72, v72, v86
	v_fma_f32 v73, s19, v97, -v71
	v_fma_f32 v75, s19, v99, -v71
	;; [unrolled: 1-line block ×4, first 2 shown]
	v_add_f32_e32 v72, v72, v85
	v_mul_f32_e32 v73, 0x3fb8aa3b, v73
	s_delay_alu instid0(VALU_DEP_4) | instskip(NEXT) | instid1(VALU_DEP_2)
	v_dual_mul_f32 v75, 0x3fb8aa3b, v75 :: v_dual_mul_f32 v76, 0x3fb8aa3b, v76
	v_exp_f32_e32 v73, v73
	s_delay_alu instid0(VALU_DEP_1) | instskip(NEXT) | instid1(VALU_DEP_1)
	v_exp_f32_e32 v75, v75
	v_exp_f32_e32 v76, v76
	s_delay_alu instid0(TRANS32_DEP_3)
	v_cndmask_b32_e64 v88, 0, v73, s12
	v_mul_f32_e32 v73, 0x3fb8aa3b, v89
	v_fma_f32 v89, s19, v102, -v71
	s_waitcnt_depctr 0xfff
	v_cndmask_b32_e64 v90, 0, v75, s15
	v_add_f32_e32 v72, v72, v88
	v_exp_f32_e32 v73, v73
	v_mul_f32_e32 v75, 0x3fb8aa3b, v89
	v_cndmask_b32_e64 v89, 0, v76, s16
	s_delay_alu instid0(VALU_DEP_3) | instskip(NEXT) | instid1(VALU_DEP_3)
	v_add_f32_e32 v72, v72, v87
	v_exp_f32_e32 v75, v75
	s_delay_alu instid0(VALU_DEP_1) | instskip(SKIP_4) | instid1(VALU_DEP_2)
	v_add_f32_e32 v72, v72, v90
	s_waitcnt_depctr 0xfff
	v_cndmask_b32_e64 v92, 0, v73, s17
	v_add_f32_e32 v72, v72, v89
	v_cndmask_b32_e64 v91, 0, v75, s18
	v_add_f32_e32 v72, v72, v92
	s_delay_alu instid0(VALU_DEP_1)
	v_add_f32_e32 v72, v72, v91
	ds_bpermute_b32 v73, v74, v72
	v_cmpx_gt_u32_e32 16, v70
	s_cbranch_execz .LBB857_12
; %bb.11:
	v_mul_u32_u24_e32 v70, 0x44, v68
	s_waitcnt lgkmcnt(0)
	v_add_f32_e32 v72, v72, v73
	s_delay_alu instid0(VALU_DEP_2) | instskip(NEXT) | instid1(VALU_DEP_1)
	v_lshl_add_u32 v70, v69, 2, v70
	v_add_nc_u32_e32 v70, 0x4000, v70
	ds_store_2addr_b32 v70, v71, v72 offset1:136
.LBB857_12:
	s_or_b32 exec_lo, exec_lo, s3
	v_lshlrev_b32_e32 v70, 2, v69
	s_load_b32 s35, s[0:1], 0x94
	s_waitcnt lgkmcnt(0)
	s_barrier
	buffer_gl0_inv
	v_add_nc_u32_e32 v74, 0x4000, v70
	v_cmp_eq_u32_e32 vcc_lo, 1, v68
	v_cmp_eq_u32_e64 s3, 2, v68
	v_cmp_eq_u32_e64 s4, 3, v68
	v_cmp_eq_u32_e64 s5, 4, v68
	ds_load_2addr_b32 v[70:71], v74 offset1:17
	ds_load_2addr_b32 v[72:73], v74 offset0:34 offset1:51
	ds_load_2addr_b32 v[93:94], v74 offset0:68 offset1:85
	;; [unrolled: 1-line block ×3, first 2 shown]
	v_cmp_eq_u32_e64 s6, 5, v68
	v_cmp_eq_u32_e64 s7, 7, v68
	s_waitcnt lgkmcnt(3)
	v_max3_f32 v75, v70, 0xff7fffff, v71
	s_waitcnt lgkmcnt(2)
	s_delay_alu instid0(VALU_DEP_1) | instskip(SKIP_1) | instid1(VALU_DEP_1)
	v_max3_f32 v75, v75, v72, v73
	s_waitcnt lgkmcnt(1)
	v_max3_f32 v75, v75, v93, v94
	s_waitcnt lgkmcnt(0)
	s_delay_alu instid0(VALU_DEP_1) | instskip(NEXT) | instid1(VALU_DEP_1)
	v_max3_f32 v75, v75, v95, v96
	v_sub_f32_e32 v93, v93, v75
	ds_load_2addr_b32 v[97:98], v74 offset0:136 offset1:153
	v_sub_f32_e32 v70, v70, v75
	v_dual_sub_f32 v100, v73, v75 :: v_dual_mul_f32 v103, 0x3fb8aa3b, v93
	s_delay_alu instid0(VALU_DEP_2) | instskip(SKIP_3) | instid1(VALU_DEP_1)
	v_dual_sub_f32 v76, v71, v75 :: v_dual_mul_f32 v99, 0x3fb8aa3b, v70
	ds_load_2addr_b32 v[70:71], v74 offset0:170 offset1:187
	v_mul_f32_e32 v76, 0x3fb8aa3b, v76
	v_exp_f32_e32 v99, v99
	v_exp_f32_e32 v102, v76
	v_mul_f32_e32 v100, 0x3fb8aa3b, v100
	s_waitcnt lgkmcnt(1)
	s_waitcnt_depctr 0xfff
	v_fma_f32 v76, v99, v97, 0
	v_sub_f32_e32 v97, v94, v75
	v_sub_f32_e32 v72, v72, v75
	v_exp_f32_e32 v100, v100
	ds_load_2addr_b32 v[93:94], v74 offset0:238 offset1:255
	v_dual_fmac_f32 v76, v102, v98 :: v_dual_mul_f32 v101, 0x3fb8aa3b, v72
	ds_load_2addr_b32 v[72:73], v74 offset0:204 offset1:221
	v_dual_sub_f32 v74, v95, v75 :: v_dual_mul_f32 v95, 0x3fb8aa3b, v97
	v_exp_f32_e32 v97, v103
	v_exp_f32_e32 v101, v101
	s_waitcnt lgkmcnt(0)
	s_delay_alu instid0(VALU_DEP_1)
	v_mul_f32_e32 v74, 0x3fb8aa3b, v74
	v_exp_f32_e32 v95, v95
	s_barrier
	buffer_gl0_inv
	v_fmac_f32_e32 v76, v101, v70
	v_sub_f32_e32 v70, v96, v75
	v_exp_f32_e32 v96, v74
	s_delay_alu instid0(VALU_DEP_2) | instskip(NEXT) | instid1(VALU_DEP_2)
	v_fmac_f32_e32 v76, v100, v71
	v_mul_f32_e32 v70, 0x3fb8aa3b, v70
	s_delay_alu instid0(VALU_DEP_2) | instskip(NEXT) | instid1(VALU_DEP_2)
	v_dual_cndmask_b32 v71, v99, v102 :: v_dual_fmac_f32 v76, v97, v72
	v_exp_f32_e32 v98, v70
	v_lshlrev_b32_e32 v72, 6, v69
	s_delay_alu instid0(VALU_DEP_2) | instskip(NEXT) | instid1(VALU_DEP_2)
	v_dual_fmac_f32 v76, v95, v73 :: v_dual_lshlrev_b32 v69, 2, v67
	v_lshl_or_b32 v74, v68, 11, v72
	s_delay_alu instid0(VALU_DEP_2)
	v_cmp_eq_u32_e64 s8, 7, v69
	s_delay_alu instid0(TRANS32_DEP_2) | instid1(VALU_DEP_3)
	v_fmac_f32_e32 v76, v96, v93
	s_waitcnt_depctr 0xfff
	v_fmac_f32_e32 v76, v98, v94
	s_delay_alu instid0(VALU_DEP_1) | instskip(NEXT) | instid1(VALU_DEP_1)
	v_add_f32_e32 v73, 0x358637bd, v76
	v_div_scale_f32 v93, null, v73, v73, 1.0
	v_div_scale_f32 v99, vcc_lo, 1.0, v73, 1.0
	s_delay_alu instid0(VALU_DEP_2) | instskip(SKIP_2) | instid1(VALU_DEP_1)
	v_rcp_f32_e32 v94, v93
	s_waitcnt_depctr 0xfff
	v_fma_f32 v70, -v93, v94, 1.0
	v_fmac_f32_e32 v94, v70, v94
	v_cndmask_b32_e64 v70, v71, v101, s3
	v_cmp_eq_u32_e64 s3, 6, v68
	v_or_b32_e32 v71, 1, v69
	v_or_b32_e32 v68, 2, v69
	v_mul_f32_e32 v101, v99, v94
	v_cndmask_b32_e64 v70, v70, v100, s4
	v_cmp_eq_u32_e64 s4, 1, v69
	v_cmp_eq_u32_e64 s9, 1, v71
	;; [unrolled: 1-line block ×3, first 2 shown]
	v_fma_f32 v100, -v93, v101, v99
	v_cndmask_b32_e64 v70, v70, v97, s5
	v_cmp_eq_u32_e64 s5, 2, v69
	v_cmp_eq_u32_e64 s12, 2, v71
	v_cmp_eq_u32_e64 s15, 2, v68
	v_fmac_f32_e32 v101, v100, v94
	v_cndmask_b32_e64 v95, v70, v95, s6
	v_or_b32_e32 v70, 3, v69
	v_cmp_eq_u32_e64 s13, 3, v71
	v_cmp_eq_u32_e64 s17, 3, v68
	v_fma_f32 v93, -v93, v101, v99
	v_cndmask_b32_e64 v95, v95, v96, s3
	v_cmp_eq_u32_e64 s11, 1, v70
	v_cmp_eq_u32_e64 s16, 2, v70
	v_cmp_eq_u32_e64 s18, 3, v70
	v_div_fmas_f32 v93, v93, v94, v101
	v_cndmask_b32_e64 v94, v95, v98, s7
	v_cmp_eq_u32_e32 vcc_lo, 3, v69
	v_cmp_eq_u32_e64 s3, 4, v69
	v_cmp_eq_u32_e64 s19, 4, v71
	v_div_fixup_f32 v93, v93, v73, 1.0
	v_lshl_or_b32 v73, v67, 4, v74
	v_cmp_eq_u32_e64 s22, 4, v70
	v_cmp_eq_u32_e64 s6, 5, v69
	;; [unrolled: 1-line block ×3, first 2 shown]
	v_mul_f32_e32 v101, v94, v93
	v_cmp_eq_u32_e64 s21, 4, v68
	v_cmp_eq_u32_e64 s24, 5, v70
	;; [unrolled: 1-line block ×4, first 2 shown]
	v_fma_mixlo_f16 v93, v101, v78, 0
	v_fma_mixlo_f16 v94, v101, v80, 0
	v_fma_mixlo_f16 v95, v101, v82, 0
	v_fma_mixlo_f16 v96, v101, v84, 0
	v_fma_mixlo_f16 v97, v101, v86, 0
	v_fma_mixlo_f16 v98, v101, v88, 0
	v_fma_mixlo_f16 v99, v101, v90, 0
	v_fma_mixlo_f16 v100, v101, v92, 0
	v_fma_mixhi_f16 v93, v101, v77, 0
	v_fma_mixhi_f16 v94, v101, v79, 0
	;; [unrolled: 1-line block ×8, first 2 shown]
	ds_store_b128 v73, v[93:96]
	ds_store_b128 v73, v[97:100] offset:1024
	s_waitcnt lgkmcnt(0)
	s_barrier
	buffer_gl0_inv
	ds_load_b128 v[77:80], v74
	ds_load_b128 v[81:84], v74 offset:16
	ds_load_b128 v[85:88], v74 offset:1024
	;; [unrolled: 1-line block ×3, first 2 shown]
	v_cmp_eq_u32_e64 s27, 6, v70
	v_cmp_eq_u32_e64 s7, 6, v69
	;; [unrolled: 1-line block ×6, first 2 shown]
	s_waitcnt lgkmcnt(3)
	v_lshrrev_b32_e32 v93, 16, v77
	s_waitcnt lgkmcnt(2)
	v_lshrrev_b32_e32 v97, 16, v81
	;; [unrolled: 2-line block ×4, first 2 shown]
	v_lshrrev_b32_e32 v94, 16, v78
	v_cndmask_b32_e64 v109, v77, v93, s4
	v_cndmask_b32_e64 v110, v81, v97, s4
	;; [unrolled: 1-line block ×8, first 2 shown]
	v_lshrrev_b32_e32 v98, 16, v82
	v_cndmask_b32_e64 v93, v85, v101, s4
	v_cndmask_b32_e64 v97, v89, v105, s4
	;; [unrolled: 1-line block ×15, first 2 shown]
	v_lshrrev_b32_e32 v102, 16, v86
	v_lshrrev_b32_e32 v106, 16, v90
	v_cndmask_b32_e64 v112, v114, v82, s15
	v_cndmask_b32_e64 v81, v93, v86, s5
	;; [unrolled: 1-line block ×7, first 2 shown]
	v_cndmask_b32_e32 v89, v101, v94, vcc_lo
	v_cndmask_b32_e32 v101, v105, v98, vcc_lo
	v_cndmask_b32_e64 v105, v109, v94, s13
	v_cndmask_b32_e64 v109, v110, v98, s13
	;; [unrolled: 1-line block ×4, first 2 shown]
	v_lshrrev_b32_e32 v95, 16, v79
	v_lshrrev_b32_e32 v99, 16, v83
	v_cndmask_b32_e64 v110, v111, v94, s17
	v_cndmask_b32_e64 v111, v112, v98, s17
	v_cndmask_b32_e32 v81, v81, v102, vcc_lo
	v_cndmask_b32_e32 v82, v82, v106, vcc_lo
	v_cndmask_b32_e64 v93, v93, v102, s13
	v_cndmask_b32_e64 v89, v89, v79, s3
	;; [unrolled: 1-line block ×7, first 2 shown]
	v_lshrrev_b32_e32 v103, 16, v87
	v_cndmask_b32_e64 v105, v110, v79, s21
	v_cndmask_b32_e64 v109, v111, v83, s21
	;; [unrolled: 1-line block ×11, first 2 shown]
	v_lshrrev_b32_e32 v96, 16, v80
	v_lshrrev_b32_e32 v100, 16, v84
	v_cndmask_b32_e64 v98, v105, v95, s23
	v_cndmask_b32_e64 v101, v109, v99, s23
	;; [unrolled: 1-line block ×7, first 2 shown]
	v_lshrrev_b32_e32 v104, 16, v88
	v_cndmask_b32_e64 v79, v79, v103, s6
	v_cndmask_b32_e64 v83, v83, v80, s7
	;; [unrolled: 1-line block ×16, first 2 shown]
	v_perm_b32 v80, v78, v77, 0x5040100
	v_perm_b32 v78, v94, v84, 0x5040100
	v_cndmask_b32_e64 v77, v118, v90, s15
	v_cndmask_b32_e64 v84, v116, v90, s12
	;; [unrolled: 1-line block ×3, first 2 shown]
	v_perm_b32 v79, v93, v89, 0x5040100
	v_cndmask_b32_e64 v89, v97, v102, s17
	v_cndmask_b32_e64 v85, v85, v102, s18
	;; [unrolled: 1-line block ×5, first 2 shown]
	v_lshrrev_b32_e32 v107, 16, v91
	v_cndmask_b32_e64 v89, v89, v87, s21
	v_cndmask_b32_e64 v85, v85, v87, s22
	;; [unrolled: 1-line block ×11, first 2 shown]
	v_lshrrev_b32_e32 v108, 16, v92
	v_cndmask_b32_e64 v81, v81, v92, s7
	v_cndmask_b32_e64 v87, v87, v88, s26
	v_cndmask_b32_e64 v85, v85, v88, s27
	v_cndmask_b32_e64 v86, v86, v92, s27
	v_cndmask_b32_e64 v77, v77, v92, s26
	v_cndmask_b32_e64 v84, v84, v92, s25
	v_cndmask_b32_e64 v87, v87, v104, s28
	v_cndmask_b32_e64 v85, v85, v104, s29
	v_cndmask_b32_e64 v86, v86, v108, s29
	v_cndmask_b32_e64 v88, v77, v108, s28
	v_cndmask_b32_e64 v89, v84, v108, s30
	v_cndmask_b32_e64 v81, v81, v108, s8
	v_perm_b32 v77, v83, v82, 0x5040100
	v_perm_b32 v84, v86, v85, 0x5040100
	;; [unrolled: 1-line block ×5, first 2 shown]
	s_lshl_b32 s8, s33, 3
	s_mov_b32 s3, exec_lo
	ds_store_b128 v73, v[77:80]
	ds_store_b128 v73, v[81:84] offset:1024
	v_cmpx_gt_u32_e32 8, v0
	s_cbranch_execz .LBB857_14
; %bb.13:
	v_or_b32_e32 v77, s31, v0
	s_load_b128 s[4:7], s[0:1], 0x58
	s_delay_alu instid0(VALU_DEP_1) | instskip(NEXT) | instid1(VALU_DEP_1)
	v_mad_u64_u32 v[78:79], null, s8, s34, v[77:78]
	v_mad_u64_u32 v[79:80], null, v78, s35, s[14:15]
	s_delay_alu instid0(VALU_DEP_1) | instskip(NEXT) | instid1(VALU_DEP_1)
	v_ashrrev_i32_e32 v80, 31, v79
	v_lshlrev_b64 v[77:78], 2, v[79:80]
	s_waitcnt lgkmcnt(0)
	s_delay_alu instid0(VALU_DEP_1) | instskip(NEXT) | instid1(VALU_DEP_2)
	v_add_co_u32 v79, vcc_lo, s6, v77
	v_add_co_ci_u32_e32 v80, vcc_lo, s7, v78, vcc_lo
	v_add_co_u32 v77, vcc_lo, s4, v77
	v_add_co_ci_u32_e32 v78, vcc_lo, s5, v78, vcc_lo
	global_store_b32 v[79:80], v75, off
	global_store_b32 v[77:78], v76, off
.LBB857_14:
	s_or_b32 exec_lo, exec_lo, s3
	s_waitcnt lgkmcnt(0)
	s_waitcnt_vscnt null, 0x0
	s_barrier
	buffer_gl0_inv
	ds_load_b128 v[83:86], v72
	ds_load_b128 v[87:90], v72 offset:16
	ds_load_b128 v[95:98], v72 offset:2064
	;; [unrolled: 1-line block ×5, first 2 shown]
	v_cmp_eq_u32_e32 vcc_lo, 1, v69
	v_mov_b32_e32 v75, 0
	ds_load_b128 v[111:114], v72 offset:6160
	ds_load_b128 v[107:110], v72 offset:6144
	ds_load_b128 v[119:122], v72 offset:8208
	ds_load_b128 v[115:118], v72 offset:8192
	v_cmp_eq_u32_e64 s4, 1, v68
	v_cmp_eq_u32_e64 s3, 1, v71
	;; [unrolled: 1-line block ×3, first 2 shown]
	v_mov_b32_e32 v76, v75
	v_mov_b32_e32 v77, v75
	;; [unrolled: 1-line block ×7, first 2 shown]
	v_cmp_eq_u32_e64 s6, 3, v71
	v_cmp_eq_u32_e64 s7, 7, v71
	s_waitcnt lgkmcnt(8)
	s_delay_alu instid0(VALU_DEP_3)
	v_wmma_f32_16x16x16_f16 v[75:82], v[49:56], v[83:90], v[75:82]
	ds_load_b128 v[53:56], v72 offset:10256
	ds_load_b128 v[49:52], v72 offset:10240
	s_waitcnt lgkmcnt(8)
	v_wmma_f32_16x16x16_f16 v[75:82], v[41:48], v[91:98], v[75:82]
	ds_load_b128 v[45:48], v72 offset:12304
	ds_load_b128 v[41:44], v72 offset:12288
	s_waitcnt lgkmcnt(8)
	;; [unrolled: 4-line block ×3, first 2 shown]
	s_barrier
	buffer_gl0_inv
	v_wmma_f32_16x16x16_f16 v[75:82], v[1:8], v[107:114], v[75:82]
	s_delay_alu instid0(VALU_DEP_1) | instskip(NEXT) | instid1(VALU_DEP_1)
	v_wmma_f32_16x16x16_f16 v[75:82], v[9:16], v[115:122], v[75:82]
	v_wmma_f32_16x16x16_f16 v[75:82], v[17:24], v[49:56], v[75:82]
	s_delay_alu instid0(VALU_DEP_1) | instskip(NEXT) | instid1(VALU_DEP_1)
	v_wmma_f32_16x16x16_f16 v[75:82], v[25:32], v[41:48], v[75:82]
	v_wmma_f32_16x16x16_f16 v[75:82], v[57:64], v[33:40], v[75:82]
	s_delay_alu instid0(VALU_DEP_1) | instskip(NEXT) | instid1(VALU_DEP_2)
	v_cvt_f16_f32_e32 v1, v75
	v_cvt_f16_f32_e32 v2, v76
	s_delay_alu instid0(VALU_DEP_3) | instskip(NEXT) | instid1(VALU_DEP_4)
	v_cvt_f16_f32_e32 v3, v77
	v_cvt_f16_f32_e32 v4, v78
	;; [unrolled: 1-line block ×6, first 2 shown]
	v_pack_b32_f16 v1, v1, v2
	v_pack_b32_f16 v2, v3, v4
	;; [unrolled: 1-line block ×3, first 2 shown]
	s_delay_alu instid0(VALU_DEP_4)
	v_pack_b32_f16 v4, v7, v8
	ds_store_b128 v73, v[1:4]
	s_waitcnt lgkmcnt(0)
	s_barrier
	buffer_gl0_inv
	ds_load_b128 v[1:4], v74
	ds_load_b128 v[5:8], v74 offset:16
	s_waitcnt lgkmcnt(1)
	v_lshrrev_b32_e32 v9, 16, v1
	s_waitcnt lgkmcnt(0)
	v_lshrrev_b32_e32 v13, 16, v5
	v_lshrrev_b32_e32 v10, 16, v2
	;; [unrolled: 1-line block ×4, first 2 shown]
	v_cndmask_b32_e32 v17, v1, v9, vcc_lo
	v_cndmask_b32_e32 v18, v5, v13, vcc_lo
	v_cndmask_b32_e64 v21, v1, v9, s4
	v_cmp_eq_u32_e32 vcc_lo, 1, v70
	v_cndmask_b32_e64 v22, v5, v13, s4
	v_cmp_eq_u32_e64 s4, 2, v69
	v_cndmask_b32_e64 v19, v1, v9, s3
	v_cndmask_b32_e64 v20, v5, v13, s3
	v_cndmask_b32_e32 v1, v1, v9, vcc_lo
	v_cmp_eq_u32_e64 s3, 2, v70
	v_cndmask_b32_e32 v5, v5, v13, vcc_lo
	v_cndmask_b32_e64 v9, v17, v2, s4
	v_cmp_eq_u32_e32 vcc_lo, 3, v69
	v_cndmask_b32_e64 v13, v18, v6, s4
	v_cmp_eq_u32_e64 s4, 2, v68
	v_cndmask_b32_e64 v17, v19, v2, s5
	v_cndmask_b32_e64 v18, v20, v6, s5
	v_cmp_eq_u32_e64 s5, 3, v68
	v_cndmask_b32_e64 v1, v1, v2, s3
	v_cndmask_b32_e64 v19, v21, v2, s4
	;; [unrolled: 1-line block ×4, first 2 shown]
	v_cndmask_b32_e32 v5, v9, v10, vcc_lo
	v_cndmask_b32_e32 v6, v13, v14, vcc_lo
	v_cmp_eq_u32_e32 vcc_lo, 3, v70
	v_cndmask_b32_e64 v9, v17, v10, s6
	v_cndmask_b32_e64 v13, v18, v14, s6
	;; [unrolled: 1-line block ×3, first 2 shown]
	v_cmp_eq_u32_e64 s4, 4, v69
	v_cndmask_b32_e32 v1, v1, v10, vcc_lo
	v_cndmask_b32_e32 v2, v2, v14, vcc_lo
	v_cmp_eq_u32_e32 vcc_lo, 4, v71
	v_lshrrev_b32_e32 v15, 16, v7
	v_lshrrev_b32_e32 v16, 16, v8
	v_cndmask_b32_e64 v17, v19, v10, s5
	v_cmp_eq_u32_e64 s3, 4, v70
	v_cndmask_b32_e64 v5, v5, v3, s4
	v_cndmask_b32_e64 v6, v6, v7, s4
	v_cndmask_b32_e32 v9, v9, v3, vcc_lo
	v_cmp_eq_u32_e64 s4, 5, v71
	v_cndmask_b32_e32 v10, v13, v7, vcc_lo
	v_cmp_eq_u32_e32 vcc_lo, 4, v68
	v_cmp_eq_u32_e64 s5, 5, v69
	v_cndmask_b32_e64 v2, v2, v7, s3
	v_cndmask_b32_e64 v9, v9, v11, s4
	;; [unrolled: 1-line block ×3, first 2 shown]
	v_cndmask_b32_e32 v13, v17, v3, vcc_lo
	v_cmp_eq_u32_e64 s4, 5, v68
	v_cndmask_b32_e32 v14, v18, v7, vcc_lo
	v_cndmask_b32_e64 v1, v1, v3, s3
	v_cmp_eq_u32_e32 vcc_lo, 5, v70
	v_lshrrev_b32_e32 v12, 16, v4
	v_cndmask_b32_e64 v13, v13, v11, s4
	v_cndmask_b32_e64 v3, v14, v15, s4
	v_cmp_eq_u32_e64 s4, 6, v70
	v_cndmask_b32_e32 v1, v1, v11, vcc_lo
	v_cndmask_b32_e64 v5, v5, v11, s5
	v_cmp_eq_u32_e64 s6, 6, v69
	v_cndmask_b32_e64 v6, v6, v15, s5
	v_cmp_eq_u32_e64 s5, 6, v71
	v_cmp_eq_u32_e64 s3, 6, v68
	v_cndmask_b32_e64 v1, v1, v4, s4
	v_cndmask_b32_e32 v2, v2, v15, vcc_lo
	v_cmp_eq_u32_e32 vcc_lo, 7, v70
	v_cndmask_b32_e64 v5, v5, v4, s6
	v_cndmask_b32_e64 v9, v9, v4, s5
	;; [unrolled: 1-line block ×3, first 2 shown]
	v_cmp_eq_u32_e64 s6, 7, v69
	v_cndmask_b32_e32 v1, v1, v12, vcc_lo
	v_cndmask_b32_e64 v7, v13, v4, s3
	v_cndmask_b32_e64 v3, v3, v8, s3
	;; [unrolled: 1-line block ×3, first 2 shown]
	v_cmp_eq_u32_e64 s3, 7, v68
	v_cndmask_b32_e64 v4, v10, v8, s5
	v_cndmask_b32_e64 v5, v5, v12, s6
	;; [unrolled: 1-line block ×3, first 2 shown]
	v_cndmask_b32_e32 v2, v2, v16, vcc_lo
	v_cndmask_b32_e64 v7, v7, v12, s3
	v_cndmask_b32_e64 v3, v3, v16, s3
	;; [unrolled: 1-line block ×4, first 2 shown]
	v_cmp_gt_u32_e32 vcc_lo, 32, v0
	v_perm_b32 v4, v2, v1, 0x5040100
	v_perm_b32 v3, v3, v7, 0x5040100
	;; [unrolled: 1-line block ×4, first 2 shown]
	s_and_b32 s2, vcc_lo, s2
	ds_store_b128 v73, v[1:4]
	s_waitcnt lgkmcnt(0)
	s_barrier
	buffer_gl0_inv
	s_and_saveexec_b32 s3, s2
	s_cbranch_execz .LBB857_2
; %bb.15:
	s_load_b64 s[0:1], s[0:1], 0x68
	s_lshl_b32 s4, s35, 6
	v_or_b32_e32 v2, s31, v67
	s_mul_i32 s2, s4, s34
	v_lshlrev_b32_e32 v1, 10, v0
	s_mul_i32 s2, s2, s8
	v_lshlrev_b32_e32 v3, 4, v66
	v_mul_lo_u32 v0, v2, s4
	s_ashr_i32 s3, s2, 31
	v_lshlrev_b32_e32 v4, 6, v67
	v_and_b32_e32 v1, 0x3800, v1
	v_or_b32_e32 v5, 2, v2
	s_lshl_b64 s[2:3], s[2:3], 1
	v_or_b32_e32 v6, 4, v2
	v_or_b32_e32 v7, 6, v2
	v_or3_b32 v12, v1, v3, v4
	v_ashrrev_i32_e32 v1, 31, v0
	v_mul_lo_u32 v2, v5, s4
	v_mul_lo_u32 v16, v6, s4
	;; [unrolled: 1-line block ×3, first 2 shown]
	s_waitcnt lgkmcnt(0)
	s_add_u32 s2, s0, s2
	s_addc_u32 s3, s1, s3
	s_lshl_b32 s0, s14, 6
	v_lshlrev_b64 v[0:1], 1, v[0:1]
	s_ashr_i32 s1, s0, 31
	v_ashrrev_i32_e32 v3, 31, v2
	s_lshl_b64 s[0:1], s[0:1], 1
	v_ashrrev_i32_e32 v17, 31, v16
	s_add_u32 s0, s2, s0
	s_addc_u32 s1, s3, s1
	v_add_co_u32 v24, s0, s0, v65
	s_delay_alu instid0(VALU_DEP_1) | instskip(SKIP_1) | instid1(VALU_DEP_3)
	v_add_co_ci_u32_e64 v25, null, s1, 0, s0
	v_lshlrev_b64 v[22:23], 1, v[2:3]
	v_add_co_u32 v18, vcc_lo, v24, v0
	s_delay_alu instid0(VALU_DEP_3)
	v_add_co_ci_u32_e32 v19, vcc_lo, v25, v1, vcc_lo
	ds_load_b128 v[0:3], v12
	ds_load_b128 v[4:7], v12 offset:128
	ds_load_b128 v[8:11], v12 offset:256
	;; [unrolled: 1-line block ×3, first 2 shown]
	v_ashrrev_i32_e32 v21, 31, v20
	v_lshlrev_b64 v[16:17], 1, v[16:17]
	v_add_co_u32 v22, vcc_lo, v24, v22
	v_add_co_ci_u32_e32 v23, vcc_lo, v25, v23, vcc_lo
	s_delay_alu instid0(VALU_DEP_4) | instskip(NEXT) | instid1(VALU_DEP_4)
	v_lshlrev_b64 v[20:21], 1, v[20:21]
	v_add_co_u32 v16, vcc_lo, v24, v16
	v_add_co_ci_u32_e32 v17, vcc_lo, v25, v17, vcc_lo
	s_delay_alu instid0(VALU_DEP_3) | instskip(NEXT) | instid1(VALU_DEP_4)
	v_add_co_u32 v20, vcc_lo, v24, v20
	v_add_co_ci_u32_e32 v21, vcc_lo, v25, v21, vcc_lo
	s_waitcnt lgkmcnt(3)
	global_store_b128 v[18:19], v[0:3], off
	s_waitcnt lgkmcnt(2)
	global_store_b128 v[22:23], v[4:7], off
	;; [unrolled: 2-line block ×4, first 2 shown]
	s_nop 0
	s_sendmsg sendmsg(MSG_DEALLOC_VGPRS)
	s_endpgm
	.section	.rodata,"a",@progbits
	.p2align	6, 0x0
	.amdhsa_kernel _Z39paged_attention_ll4mi_QKV_mfma16_kernelIDF16_hLN4vllm18Fp8KVCacheDataTypeE1EhLi32ELi64ELi256ELb1ELi8EL8MFMAType1EEvPKT_PKT0_S8_ifPKiSA_SA_iPKfiiiPfSD_PS3_PT2_iSC_SC_
		.amdhsa_group_segment_fixed_size 17472
		.amdhsa_private_segment_fixed_size 0
		.amdhsa_kernarg_size 400
		.amdhsa_user_sgpr_count 13
		.amdhsa_user_sgpr_dispatch_ptr 0
		.amdhsa_user_sgpr_queue_ptr 0
		.amdhsa_user_sgpr_kernarg_segment_ptr 1
		.amdhsa_user_sgpr_dispatch_id 0
		.amdhsa_user_sgpr_private_segment_size 0
		.amdhsa_wavefront_size32 1
		.amdhsa_uses_dynamic_stack 0
		.amdhsa_enable_private_segment 0
		.amdhsa_system_sgpr_workgroup_id_x 1
		.amdhsa_system_sgpr_workgroup_id_y 1
		.amdhsa_system_sgpr_workgroup_id_z 1
		.amdhsa_system_sgpr_workgroup_info 0
		.amdhsa_system_vgpr_workitem_id 0
		.amdhsa_next_free_vgpr 123
		.amdhsa_next_free_sgpr 42
		.amdhsa_reserve_vcc 1
		.amdhsa_float_round_mode_32 0
		.amdhsa_float_round_mode_16_64 0
		.amdhsa_float_denorm_mode_32 3
		.amdhsa_float_denorm_mode_16_64 3
		.amdhsa_dx10_clamp 1
		.amdhsa_ieee_mode 1
		.amdhsa_fp16_overflow 0
		.amdhsa_workgroup_processor_mode 1
		.amdhsa_memory_ordered 1
		.amdhsa_forward_progress 0
		.amdhsa_shared_vgpr_count 0
		.amdhsa_exception_fp_ieee_invalid_op 0
		.amdhsa_exception_fp_denorm_src 0
		.amdhsa_exception_fp_ieee_div_zero 0
		.amdhsa_exception_fp_ieee_overflow 0
		.amdhsa_exception_fp_ieee_underflow 0
		.amdhsa_exception_fp_ieee_inexact 0
		.amdhsa_exception_int_div_zero 0
	.end_amdhsa_kernel
	.section	.text._Z39paged_attention_ll4mi_QKV_mfma16_kernelIDF16_hLN4vllm18Fp8KVCacheDataTypeE1EhLi32ELi64ELi256ELb1ELi8EL8MFMAType1EEvPKT_PKT0_S8_ifPKiSA_SA_iPKfiiiPfSD_PS3_PT2_iSC_SC_,"axG",@progbits,_Z39paged_attention_ll4mi_QKV_mfma16_kernelIDF16_hLN4vllm18Fp8KVCacheDataTypeE1EhLi32ELi64ELi256ELb1ELi8EL8MFMAType1EEvPKT_PKT0_S8_ifPKiSA_SA_iPKfiiiPfSD_PS3_PT2_iSC_SC_,comdat
.Lfunc_end857:
	.size	_Z39paged_attention_ll4mi_QKV_mfma16_kernelIDF16_hLN4vllm18Fp8KVCacheDataTypeE1EhLi32ELi64ELi256ELb1ELi8EL8MFMAType1EEvPKT_PKT0_S8_ifPKiSA_SA_iPKfiiiPfSD_PS3_PT2_iSC_SC_, .Lfunc_end857-_Z39paged_attention_ll4mi_QKV_mfma16_kernelIDF16_hLN4vllm18Fp8KVCacheDataTypeE1EhLi32ELi64ELi256ELb1ELi8EL8MFMAType1EEvPKT_PKT0_S8_ifPKiSA_SA_iPKfiiiPfSD_PS3_PT2_iSC_SC_
                                        ; -- End function
	.section	.AMDGPU.csdata,"",@progbits
; Kernel info:
; codeLenInByte = 6500
; NumSgprs: 44
; NumVgprs: 123
; ScratchSize: 0
; MemoryBound: 0
; FloatMode: 240
; IeeeMode: 1
; LDSByteSize: 17472 bytes/workgroup (compile time only)
; SGPRBlocks: 5
; VGPRBlocks: 15
; NumSGPRsForWavesPerEU: 44
; NumVGPRsForWavesPerEU: 123
; Occupancy: 10
; WaveLimiterHint : 1
; COMPUTE_PGM_RSRC2:SCRATCH_EN: 0
; COMPUTE_PGM_RSRC2:USER_SGPR: 13
; COMPUTE_PGM_RSRC2:TRAP_HANDLER: 0
; COMPUTE_PGM_RSRC2:TGID_X_EN: 1
; COMPUTE_PGM_RSRC2:TGID_Y_EN: 1
; COMPUTE_PGM_RSRC2:TGID_Z_EN: 1
; COMPUTE_PGM_RSRC2:TIDIG_COMP_CNT: 0
	.section	.text._Z39paged_attention_ll4mi_QKV_mfma16_kernelIDF16_hLN4vllm18Fp8KVCacheDataTypeE1EhLi32ELi64ELi256ELb1ELi9EL8MFMAType1EEvPKT_PKT0_S8_ifPKiSA_SA_iPKfiiiPfSD_PS3_PT2_iSC_SC_,"axG",@progbits,_Z39paged_attention_ll4mi_QKV_mfma16_kernelIDF16_hLN4vllm18Fp8KVCacheDataTypeE1EhLi32ELi64ELi256ELb1ELi9EL8MFMAType1EEvPKT_PKT0_S8_ifPKiSA_SA_iPKfiiiPfSD_PS3_PT2_iSC_SC_,comdat
	.protected	_Z39paged_attention_ll4mi_QKV_mfma16_kernelIDF16_hLN4vllm18Fp8KVCacheDataTypeE1EhLi32ELi64ELi256ELb1ELi9EL8MFMAType1EEvPKT_PKT0_S8_ifPKiSA_SA_iPKfiiiPfSD_PS3_PT2_iSC_SC_ ; -- Begin function _Z39paged_attention_ll4mi_QKV_mfma16_kernelIDF16_hLN4vllm18Fp8KVCacheDataTypeE1EhLi32ELi64ELi256ELb1ELi9EL8MFMAType1EEvPKT_PKT0_S8_ifPKiSA_SA_iPKfiiiPfSD_PS3_PT2_iSC_SC_
	.globl	_Z39paged_attention_ll4mi_QKV_mfma16_kernelIDF16_hLN4vllm18Fp8KVCacheDataTypeE1EhLi32ELi64ELi256ELb1ELi9EL8MFMAType1EEvPKT_PKT0_S8_ifPKiSA_SA_iPKfiiiPfSD_PS3_PT2_iSC_SC_
	.p2align	8
	.type	_Z39paged_attention_ll4mi_QKV_mfma16_kernelIDF16_hLN4vllm18Fp8KVCacheDataTypeE1EhLi32ELi64ELi256ELb1ELi9EL8MFMAType1EEvPKT_PKT0_S8_ifPKiSA_SA_iPKfiiiPfSD_PS3_PT2_iSC_SC_,@function
_Z39paged_attention_ll4mi_QKV_mfma16_kernelIDF16_hLN4vllm18Fp8KVCacheDataTypeE1EhLi32ELi64ELi256ELb1ELi9EL8MFMAType1EEvPKT_PKT0_S8_ifPKiSA_SA_iPKfiiiPfSD_PS3_PT2_iSC_SC_: ; @_Z39paged_attention_ll4mi_QKV_mfma16_kernelIDF16_hLN4vllm18Fp8KVCacheDataTypeE1EhLi32ELi64ELi256ELb1ELi9EL8MFMAType1EEvPKT_PKT0_S8_ifPKiSA_SA_iPKfiiiPfSD_PS3_PT2_iSC_SC_
; %bb.0:
	s_load_b64 s[2:3], s[0:1], 0x30
	s_mov_b32 s34, s13
	s_waitcnt lgkmcnt(0)
	s_cmp_lg_u64 s[2:3], 0
	s_cselect_b32 s6, -1, 0
	s_ashr_i32 s35, s13, 31
	s_cmp_eq_u64 s[2:3], 0
	s_cbranch_scc1 .LBB858_3
; %bb.1:
	s_lshl_b64 s[4:5], s[34:35], 2
	s_delay_alu instid0(SALU_CYCLE_1) | instskip(SKIP_4) | instid1(SALU_CYCLE_1)
	s_add_u32 s4, s2, s4
	s_addc_u32 s5, s3, s5
	s_load_b64 s[4:5], s[4:5], 0x0
	s_waitcnt lgkmcnt(0)
	s_sub_i32 s4, s5, s4
	s_cmp_eq_u32 s4, 1
	s_cselect_b32 s4, -1, 0
	s_delay_alu instid0(SALU_CYCLE_1)
	s_and_not1_b32 vcc_lo, exec_lo, s4
	s_cbranch_vccz .LBB858_4
.LBB858_2:
	s_nop 0
	s_sendmsg sendmsg(MSG_DEALLOC_VGPRS)
	s_endpgm
.LBB858_3:
.LBB858_4:
	s_load_b64 s[8:9], s[0:1], 0x28
	s_lshl_b64 s[4:5], s[34:35], 2
	s_waitcnt lgkmcnt(0)
	s_add_u32 s8, s8, s4
	s_addc_u32 s9, s9, s5
	s_lshl_b32 s16, s14, 8
	s_load_b32 s18, s[8:9], 0x0
	s_waitcnt lgkmcnt(0)
	s_cmp_ge_i32 s16, s18
	s_cbranch_scc1 .LBB858_2
; %bb.5:
	s_clause 0x1
	s_load_b128 s[8:11], s[0:1], 0x8
	s_load_b64 s[12:13], s[0:1], 0x20
	s_and_not1_b32 vcc_lo, exec_lo, s6
	s_cbranch_vccnz .LBB858_7
; %bb.6:
	s_add_u32 s2, s2, s4
	s_addc_u32 s3, s3, s5
	s_load_b32 s3, s[2:3], 0x0
	s_branch .LBB858_8
.LBB858_7:
	s_mov_b32 s3, s34
.LBB858_8:
	s_load_b128 s[4:7], s[0:1], 0x48
	v_lshrrev_b32_e32 v69, 5, v0
	v_bfe_u32 v66, v0, 4, 1
	v_and_b32_e32 v68, 15, v0
	v_and_b32_e32 v70, 31, v0
	v_and_b32_e32 v67, 1, v0
	s_mul_i32 s33, s15, 9
	v_lshl_or_b32 v1, v69, 1, v66
	v_lshlrev_b32_e32 v2, 3, v68
	v_cmp_gt_u32_e64 s2, 8, v68
	s_delay_alu instid0(VALU_DEP_3) | instskip(NEXT) | instid1(VALU_DEP_3)
	v_cmp_gt_u32_e32 vcc_lo, 9, v1
	v_lshlrev_b32_e32 v65, 1, v2
	s_delay_alu instid0(VALU_DEP_3)
	s_and_b32 s17, s2, vcc_lo
	s_waitcnt lgkmcnt(0)
	s_and_saveexec_b32 s7, s17
	s_cbranch_execz .LBB858_10
; %bb.9:
	s_load_b64 s[20:21], s[0:1], 0x0
	v_add_lshl_u32 v2, v1, s33, 6
	s_mul_hi_i32 s23, s3, s4
	s_mul_i32 s22, s3, s4
	v_lshlrev_b32_e32 v6, 10, v68
	s_lshl_b64 s[22:23], s[22:23], 1
	v_ashrrev_i32_e32 v3, 31, v2
	v_lshlrev_b32_e32 v1, 6, v1
	v_lshlrev_b32_e32 v7, 10, v67
	v_and_b32_e32 v6, 0x3800, v6
	s_delay_alu instid0(VALU_DEP_4) | instskip(NEXT) | instid1(VALU_DEP_2)
	v_lshlrev_b64 v[2:3], 1, v[2:3]
	v_or3_b32 v1, v6, v7, v1
	s_waitcnt lgkmcnt(0)
	s_add_u32 s3, s20, s22
	s_addc_u32 s4, s21, s23
	s_delay_alu instid0(VALU_DEP_2) | instskip(SKIP_1) | instid1(VALU_DEP_2)
	v_add_co_u32 v2, vcc_lo, s3, v2
	v_add_co_ci_u32_e32 v3, vcc_lo, s4, v3, vcc_lo
	v_add_co_u32 v2, vcc_lo, v2, v65
	s_delay_alu instid0(VALU_DEP_2)
	v_add_co_ci_u32_e32 v3, vcc_lo, 0, v3, vcc_lo
	global_load_b128 v[2:5], v[2:3], off
	s_waitcnt vmcnt(0)
	ds_store_b128 v1, v[2:5]
.LBB858_10:
	s_or_b32 exec_lo, exec_lo, s7
	v_and_b32_e32 v1, 0xef, v0
	s_add_i32 s3, s18, 31
	s_clause 0x1
	s_load_b32 s4, s[0:1], 0x38
	s_load_b32 s35, s[0:1], 0x98
	s_ashr_i32 s7, s3, 31
	v_add_nc_u32_e32 v1, s16, v1
	s_lshr_b32 s7, s7, 27
	s_load_b32 s19, s[0:1], 0x1c
	v_add_nc_u32_e32 v103, -9, v68
	s_add_i32 s3, s3, s7
	v_ashrrev_i32_e32 v2, 31, v1
	v_or_b32_e32 v3, 16, v1
	s_ashr_i32 s3, s3, 5
	v_cmp_gt_i32_e32 vcc_lo, s18, v1
	s_add_i32 s3, s3, -1
	v_lshrrev_b32_e32 v2, 27, v2
	s_waitcnt lgkmcnt(0)
	s_barrier
	buffer_gl0_inv
	s_mul_i32 s15, s15, s6
	v_add_nc_u32_e32 v4, v1, v2
	v_mbcnt_lo_u32_b32 v127, -1, 0
	s_mul_i32 s20, s34, s4
	s_delay_alu instid0(SALU_CYCLE_1) | instskip(NEXT) | instid1(VALU_DEP_2)
	s_ashr_i32 s21, s20, 31
	v_ashrrev_i32_e32 v4, 5, v4
	v_add_nc_u32_e32 v2, v3, v2
	s_lshl_b64 s[20:21], s[20:21], 2
	v_xor_b32_e32 v128, 16, v127
	s_add_u32 s17, s12, s20
	v_cndmask_b32_e32 v1, s3, v4, vcc_lo
	v_ashrrev_i32_e32 v2, 5, v2
	v_cmp_gt_i32_e32 vcc_lo, s18, v3
	s_addc_u32 s13, s13, s21
	s_ashr_i32 s20, s15, 31
	s_add_u32 s22, s8, s15
	s_addc_u32 s23, s9, s20
	v_cndmask_b32_e32 v3, s3, v2, vcc_lo
	v_ashrrev_i32_e32 v2, 31, v1
	s_lshl_b32 s6, s14, 3
	s_delay_alu instid0(SALU_CYCLE_1) | instskip(NEXT) | instid1(VALU_DEP_2)
	s_ashr_i32 s7, s6, 31
	v_ashrrev_i32_e32 v4, 31, v3
	s_delay_alu instid0(VALU_DEP_2) | instskip(SKIP_1) | instid1(SALU_CYCLE_1)
	v_lshlrev_b64 v[1:2], 2, v[1:2]
	s_lshl_b64 s[6:7], s[6:7], 2
	s_add_u32 s6, s17, s6
	s_delay_alu instid0(VALU_DEP_2) | instskip(SKIP_1) | instid1(VALU_DEP_2)
	v_lshlrev_b64 v[3:4], 2, v[3:4]
	s_addc_u32 s7, s13, s7
	v_add_co_u32 v1, vcc_lo, s17, v1
	v_add_co_ci_u32_e32 v2, vcc_lo, s13, v2, vcc_lo
	s_delay_alu instid0(VALU_DEP_3) | instskip(NEXT) | instid1(VALU_DEP_4)
	v_add_co_u32 v3, vcc_lo, s17, v3
	v_add_co_ci_u32_e32 v4, vcc_lo, s13, v4, vcc_lo
	s_clause 0x1
	global_load_b32 v5, v[1:2], off
	global_load_b32 v6, v[3:4], off
	s_or_b32 s4, s16, 32
	s_delay_alu instid0(SALU_CYCLE_1) | instskip(SKIP_2) | instid1(SALU_CYCLE_1)
	s_ashr_i32 s8, s4, 5
	s_cmp_lt_i32 s4, s18
	s_cselect_b32 s8, s8, s3
	s_ashr_i32 s9, s8, 31
	s_delay_alu instid0(SALU_CYCLE_1) | instskip(NEXT) | instid1(SALU_CYCLE_1)
	s_lshl_b64 s[8:9], s[8:9], 2
	s_add_u32 s8, s17, s8
	s_addc_u32 s9, s13, s9
	s_or_b32 s4, s16, 64
	s_delay_alu instid0(SALU_CYCLE_1) | instskip(SKIP_2) | instid1(SALU_CYCLE_1)
	s_ashr_i32 s12, s4, 5
	s_cmp_lt_i32 s4, s18
	s_cselect_b32 s24, s12, s3
	s_ashr_i32 s25, s24, 31
	s_delay_alu instid0(SALU_CYCLE_1) | instskip(NEXT) | instid1(SALU_CYCLE_1)
	s_lshl_b64 s[24:25], s[24:25], 2
	s_add_u32 s24, s17, s24
	s_addc_u32 s25, s13, s25
	;; [unrolled: 10-line block ×5, first 2 shown]
	s_clause 0x5
	s_load_b32 s12, s[6:7], 0x0
	s_load_b32 s4, s[8:9], 0x0
	;; [unrolled: 1-line block ×6, first 2 shown]
	s_or_b32 s21, s16, 0xc0
	s_waitcnt vmcnt(1)
	v_mad_i64_i32 v[1:2], null, v5, s5, s[22:23]
	v_lshlrev_b32_e32 v5, 4, v68
	s_waitcnt vmcnt(0)
	v_mad_i64_i32 v[3:4], null, v6, s5, s[22:23]
	s_ashr_i32 s22, s21, 5
	s_cmp_lt_i32 s21, s18
	s_delay_alu instid0(VALU_DEP_3) | instskip(NEXT) | instid1(VALU_DEP_4)
	v_add_co_u32 v1, vcc_lo, v1, v5
	v_add_co_ci_u32_e32 v2, vcc_lo, 0, v2, vcc_lo
	s_delay_alu instid0(VALU_DEP_3) | instskip(NEXT) | instid1(VALU_DEP_4)
	v_add_co_u32 v3, vcc_lo, v3, v5
	v_add_co_ci_u32_e32 v4, vcc_lo, 0, v4, vcc_lo
	s_clause 0x7
	global_load_b128 v[71:74], v[1:2], off
	global_load_b128 v[75:78], v[1:2], off offset:512
	global_load_b128 v[79:82], v[3:4], off offset:256
	global_load_b128 v[83:86], v[3:4], off offset:768
	global_load_b128 v[87:90], v[1:2], off offset:1024
	global_load_b128 v[91:94], v[1:2], off offset:1536
	global_load_b128 v[95:98], v[3:4], off offset:1280
	global_load_b128 v[99:102], v[3:4], off offset:1792
	s_cselect_b32 s22, s22, s3
	v_lshlrev_b32_e32 v1, 5, v68
	s_ashr_i32 s23, s22, 31
	v_cmp_gt_u32_e32 vcc_lo, 9, v68
	s_lshl_b64 s[22:23], s[22:23], 2
	s_delay_alu instid0(SALU_CYCLE_1)
	s_add_u32 s22, s17, s22
	s_addc_u32 s23, s13, s23
	s_or_b32 s21, s16, 0xe0
	v_lshl_or_b32 v1, v69, 9, v1
	s_ashr_i32 s24, s21, 5
	s_cmp_lt_i32 s21, s18
	v_cndmask_b32_e32 v103, v103, v68, vcc_lo
	s_cselect_b32 s24, s24, s3
	s_load_b32 s3, s[22:23], 0x0
	s_ashr_i32 s25, s24, 31
	v_cmp_gt_i32_e32 vcc_lo, 32, v128
	s_lshl_b64 s[24:25], s[24:25], 2
	v_lshlrev_b32_e32 v115, 6, v103
	s_add_u32 s22, s17, s24
	s_addc_u32 s23, s13, s25
	v_cndmask_b32_e32 v136, v127, v128, vcc_lo
	s_add_u32 s10, s10, s15
	s_addc_u32 s11, s11, s20
	v_add_co_u32 v1, s10, s10, v1
	s_delay_alu instid0(VALU_DEP_1) | instskip(SKIP_2) | instid1(VALU_DEP_1)
	v_add_co_ci_u32_e64 v2, null, s11, 0, s10
	s_load_b32 s10, s[22:23], 0x0
	s_waitcnt lgkmcnt(0)
	v_mad_i64_i32 v[3:4], null, s12, s5, v[1:2]
	v_mad_i64_i32 v[9:10], null, s7, s5, v[1:2]
	;; [unrolled: 1-line block ×7, first 2 shown]
	s_clause 0x5
	global_load_b128 v[49:52], v[3:4], off
	global_load_b128 v[53:56], v[3:4], off offset:16
	global_load_b128 v[41:44], v[5:6], off
	global_load_b128 v[45:48], v[5:6], off offset:16
	;; [unrolled: 2-line block ×3, first 2 shown]
	s_mov_b32 s4, 0
	v_mad_i64_i32 v[61:62], null, s10, s5, v[1:2]
	s_clause 0x9
	global_load_b128 v[1:4], v[9:10], off
	global_load_b128 v[5:8], v[9:10], off offset:16
	global_load_b128 v[9:12], v[13:14], off
	global_load_b128 v[13:16], v[13:14], off offset:16
	;; [unrolled: 2-line block ×5, first 2 shown]
	s_mov_b32 s5, s4
	s_mov_b32 s6, s4
	s_mov_b32 s7, s4
	s_mov_b32 s8, s4
	s_mov_b32 s9, s4
	s_mov_b32 s10, s4
	s_mov_b32 s11, s4
	v_and_b32_e32 v104, 0xe0, v0
	v_dual_mov_b32 v126, s11 :: v_dual_mov_b32 v125, s10
	v_dual_mov_b32 v124, s9 :: v_dual_mov_b32 v123, s8
	s_delay_alu instid0(VALU_DEP_3)
	v_add_nc_u32_e32 v111, s16, v104
	ds_load_b128 v[103:106], v115
	ds_load_b128 v[107:110], v115 offset:1024
	v_dual_mov_b32 v122, s7 :: v_dual_mov_b32 v121, s6
	v_mov_b32_e32 v120, s5
	v_or_b32_e32 v135, v111, v66
	ds_load_b128 v[111:114], v115 offset:2048
	ds_load_b128 v[115:118], v115 offset:3072
	v_mov_b32_e32 v119, s4
	s_waitcnt vmcnt(0) lgkmcnt(0)
	s_barrier
	v_or_b32_e32 v137, 2, v135
	v_or_b32_e32 v138, 4, v135
	;; [unrolled: 1-line block ×3, first 2 shown]
	v_cmp_gt_i32_e32 vcc_lo, s18, v135
	v_or_b32_e32 v140, 8, v135
	v_cmp_gt_i32_e64 s3, s18, v137
	v_or_b32_e32 v141, 10, v135
	v_cmp_gt_i32_e64 s4, s18, v138
	v_cmp_gt_i32_e64 s5, s18, v139
	v_or_b32_e32 v142, 12, v135
	v_or_b32_e32 v143, 14, v135
	v_cmp_gt_i32_e64 s6, s18, v140
	v_cmp_gt_i32_e64 s7, s18, v141
	v_or_b32_e32 v144, 16, v135
	v_or_b32_e32 v145, 18, v135
	v_cmp_gt_i32_e64 s8, s18, v142
	v_cmp_gt_i32_e64 s9, s18, v143
	buffer_gl0_inv
	v_cmp_gt_i32_e64 s10, s18, v144
	v_cmp_gt_i32_e64 s11, s18, v145
	v_wmma_f32_16x16x16_f16 v[127:134], v[71:78], v[103:110], v[119:126]
	v_wmma_f32_16x16x16_f16 v[119:126], v[79:86], v[103:110], v[119:126]
	v_or_b32_e32 v71, 20, v135
	v_or_b32_e32 v72, 22, v135
	s_delay_alu instid0(VALU_DEP_4)
	v_wmma_f32_16x16x16_f16 v[127:134], v[87:94], v[111:118], v[127:134]
	v_or_b32_e32 v73, 24, v135
	v_wmma_f32_16x16x16_f16 v[119:126], v[95:102], v[111:118], v[119:126]
	v_or_b32_e32 v74, 26, v135
	v_cmp_gt_i32_e64 s12, s18, v71
	v_dual_mul_f32 v83, s19, v128 :: v_dual_mul_f32 v84, s19, v127
	s_delay_alu instid0(VALU_DEP_4) | instskip(SKIP_1) | instid1(VALU_DEP_3)
	v_dual_mul_f32 v81, s19, v130 :: v_dual_mul_f32 v92, s19, v119
	v_mul_f32_e32 v82, s19, v129
	v_cndmask_b32_e64 v83, 0xff7fffff, v83, s3
	s_delay_alu instid0(VALU_DEP_4)
	v_cndmask_b32_e32 v84, 0xff7fffff, v84, vcc_lo
	v_dual_mul_f32 v79, s19, v132 :: v_dual_mul_f32 v90, s19, v121
	v_mul_f32_e32 v80, s19, v131
	v_cndmask_b32_e64 v82, 0xff7fffff, v82, s4
	v_cndmask_b32_e64 v81, 0xff7fffff, v81, s5
	v_max3_f32 v83, v84, 0xff7fffff, v83
	v_dual_mul_f32 v77, s19, v134 :: v_dual_mul_f32 v88, s19, v123
	v_mul_f32_e32 v78, s19, v133
	v_cndmask_b32_e64 v80, 0xff7fffff, v80, s6
	v_cndmask_b32_e64 v79, 0xff7fffff, v79, s7
	v_max3_f32 v81, v83, v82, v81
	v_mul_f32_e32 v91, s19, v120
	v_cndmask_b32_e64 v78, 0xff7fffff, v78, s8
	v_cndmask_b32_e64 v77, 0xff7fffff, v77, s9
	v_mul_f32_e32 v89, s19, v122
	v_max3_f32 v79, v81, v80, v79
	v_cndmask_b32_e64 v80, 0xff7fffff, v92, s10
	v_cndmask_b32_e64 v81, 0xff7fffff, v91, s11
	v_cmp_gt_i32_e64 s13, s18, v72
	v_or_b32_e32 v75, 28, v135
	v_max3_f32 v77, v79, v78, v77
	v_or_b32_e32 v76, 30, v135
	v_mul_f32_e32 v87, s19, v124
	v_cndmask_b32_e64 v71, 0xff7fffff, v90, s12
	v_cndmask_b32_e64 v72, 0xff7fffff, v89, s13
	v_max3_f32 v77, v77, v80, v81
	v_cmp_gt_i32_e64 s15, s18, v73
	v_cmp_gt_i32_e64 s16, s18, v74
	v_dual_mul_f32 v85, s19, v126 :: v_dual_mul_f32 v86, s19, v125
	s_delay_alu instid0(VALU_DEP_4) | instskip(NEXT) | instid1(VALU_DEP_4)
	v_max3_f32 v71, v77, v71, v72
	v_cndmask_b32_e64 v73, 0xff7fffff, v88, s15
	s_delay_alu instid0(VALU_DEP_4) | instskip(SKIP_2) | instid1(VALU_DEP_3)
	v_cndmask_b32_e64 v74, 0xff7fffff, v87, s16
	v_cmp_gt_i32_e64 s17, s18, v75
	v_cmp_gt_i32_e64 s18, s18, v76
	v_max3_f32 v71, v71, v73, v74
	s_delay_alu instid0(VALU_DEP_3) | instskip(NEXT) | instid1(VALU_DEP_3)
	v_cndmask_b32_e64 v72, 0xff7fffff, v86, s17
	v_cndmask_b32_e64 v75, 0xff7fffff, v85, s18
	v_lshlrev_b32_e32 v73, 2, v136
	s_delay_alu instid0(VALU_DEP_2) | instskip(SKIP_3) | instid1(VALU_DEP_1)
	v_max3_f32 v71, v71, v72, v75
	ds_bpermute_b32 v72, v73, v71
	s_waitcnt lgkmcnt(0)
	v_max_f32_e32 v72, v72, v72
	v_max_f32_e32 v71, v71, v72
	s_delay_alu instid0(VALU_DEP_1)
	v_fma_f32 v72, s19, v127, -v71
	v_fma_f32 v74, s19, v128, -v71
	;; [unrolled: 1-line block ×5, first 2 shown]
	v_mul_f32_e32 v72, 0x3fb8aa3b, v72
	v_mul_f32_e32 v74, 0x3fb8aa3b, v74
	v_fma_f32 v80, s19, v133, -v71
	s_delay_alu instid0(VALU_DEP_4) | instskip(NEXT) | instid1(VALU_DEP_4)
	v_dual_mul_f32 v76, 0x3fb8aa3b, v76 :: v_dual_mul_f32 v77, 0x3fb8aa3b, v77
	v_exp_f32_e32 v72, v72
	s_delay_alu instid0(VALU_DEP_3) | instskip(NEXT) | instid1(VALU_DEP_2)
	v_exp_f32_e32 v74, v74
	v_mul_f32_e32 v82, 0x3fb8aa3b, v80
	s_delay_alu instid0(VALU_DEP_2) | instskip(SKIP_1) | instid1(VALU_DEP_1)
	v_exp_f32_e32 v76, v76
	v_exp_f32_e32 v77, v77
	;; [unrolled: 1-line block ×3, first 2 shown]
	v_cndmask_b32_e32 v79, 0, v72, vcc_lo
	v_fma_f32 v72, s19, v132, -v71
	v_mul_f32_e32 v75, 0x3fb8aa3b, v75
	v_cndmask_b32_e64 v78, 0, v74, s3
	s_delay_alu instid0(TRANS32_DEP_3)
	v_cndmask_b32_e64 v80, 0, v76, s5
	v_add_f32_e32 v74, 0, v79
	v_mul_f32_e32 v72, 0x3fb8aa3b, v72
	v_exp_f32_e32 v75, v75
	v_cndmask_b32_e64 v83, 0, v77, s6
	v_cndmask_b32_e64 v85, 0, v84, s8
	v_add_f32_e32 v74, v74, v78
	v_exp_f32_e32 v72, v72
	v_cmp_gt_u32_e64 s3, 16, v70
	s_waitcnt_depctr 0xfff
	v_cndmask_b32_e64 v81, 0, v75, s4
	v_cndmask_b32_e64 v82, 0, v72, s7
	s_delay_alu instid0(VALU_DEP_2) | instskip(NEXT) | instid1(VALU_DEP_1)
	v_add_f32_e32 v74, v74, v81
	v_add_f32_e32 v74, v74, v80
	s_delay_alu instid0(VALU_DEP_1) | instskip(SKIP_4) | instid1(VALU_DEP_4)
	v_add_f32_e32 v72, v74, v83
	v_fma_f32 v75, s19, v134, -v71
	v_fma_f32 v76, s19, v119, -v71
	;; [unrolled: 1-line block ×4, first 2 shown]
	v_dual_add_f32 v72, v72, v82 :: v_dual_mul_f32 v75, 0x3fb8aa3b, v75
	s_delay_alu instid0(VALU_DEP_3) | instskip(SKIP_1) | instid1(VALU_DEP_3)
	v_dual_mul_f32 v76, 0x3fb8aa3b, v76 :: v_dual_mul_f32 v77, 0x3fb8aa3b, v77
	v_fma_f32 v86, s19, v122, -v71
	v_add_f32_e32 v72, v72, v85
	s_delay_alu instid0(VALU_DEP_4) | instskip(NEXT) | instid1(VALU_DEP_3)
	v_exp_f32_e32 v75, v75
	v_exp_f32_e32 v76, v76
	;; [unrolled: 1-line block ×3, first 2 shown]
	v_mul_f32_e32 v86, 0x3fb8aa3b, v86
	s_delay_alu instid0(VALU_DEP_1) | instskip(SKIP_3) | instid1(TRANS32_DEP_3)
	v_exp_f32_e32 v88, v86
	v_cndmask_b32_e64 v84, 0, v75, s9
	v_fma_f32 v75, s19, v123, -v71
	v_mul_f32_e32 v74, 0x3fb8aa3b, v74
	v_cndmask_b32_e64 v87, 0, v76, s10
	v_fma_f32 v76, s19, v124, -v71
	s_delay_alu instid0(VALU_DEP_4) | instskip(NEXT) | instid1(VALU_DEP_4)
	v_dual_add_f32 v72, v72, v84 :: v_dual_mul_f32 v75, 0x3fb8aa3b, v75
	v_exp_f32_e32 v74, v74
	v_cndmask_b32_e64 v86, 0, v77, s11
	v_fma_f32 v77, s19, v125, -v71
	s_delay_alu instid0(VALU_DEP_3) | instskip(SKIP_3) | instid1(VALU_DEP_3)
	v_add_f32_e32 v72, v72, v87
	v_mul_f32_e32 v76, 0x3fb8aa3b, v76
	v_exp_f32_e32 v75, v75
	v_cndmask_b32_e64 v88, 0, v88, s13
	v_add_f32_e32 v72, v72, v86
	s_delay_alu instid0(VALU_DEP_3) | instskip(NEXT) | instid1(TRANS32_DEP_3)
	v_exp_f32_e32 v76, v76
	v_cndmask_b32_e64 v89, 0, v74, s12
	v_mul_f32_e32 v74, 0x3fb8aa3b, v77
	v_fma_f32 v77, s19, v126, -v71
	s_delay_alu instid0(VALU_DEP_3) | instskip(NEXT) | instid1(VALU_DEP_3)
	v_add_f32_e32 v72, v72, v89
	v_exp_f32_e32 v74, v74
	s_delay_alu instid0(TRANS32_DEP_3) | instskip(NEXT) | instid1(VALU_DEP_3)
	v_cndmask_b32_e64 v91, 0, v75, s15
	v_mul_f32_e32 v75, 0x3fb8aa3b, v77
	s_delay_alu instid0(TRANS32_DEP_2) | instskip(SKIP_1) | instid1(VALU_DEP_3)
	v_cndmask_b32_e64 v90, 0, v76, s16
	v_add_f32_e32 v72, v72, v88
	v_exp_f32_e32 v75, v75
	s_delay_alu instid0(VALU_DEP_1) | instskip(NEXT) | instid1(TRANS32_DEP_2)
	v_add_f32_e32 v72, v72, v91
	v_cndmask_b32_e64 v93, 0, v74, s17
	s_delay_alu instid0(VALU_DEP_2) | instskip(SKIP_3) | instid1(VALU_DEP_1)
	v_add_f32_e32 v72, v72, v90
	s_waitcnt_depctr 0xfff
	v_cndmask_b32_e64 v92, 0, v75, s18
	v_add_f32_e32 v72, v72, v93
	v_add_f32_e32 v72, v72, v92
	ds_bpermute_b32 v73, v73, v72
	s_and_saveexec_b32 s4, s3
	s_cbranch_execz .LBB858_12
; %bb.11:
	v_mul_u32_u24_e32 v70, 0x44, v69
	s_waitcnt lgkmcnt(0)
	v_add_f32_e32 v72, v72, v73
	s_delay_alu instid0(VALU_DEP_2) | instskip(NEXT) | instid1(VALU_DEP_1)
	v_lshl_add_u32 v70, v68, 2, v70
	v_add_nc_u32_e32 v70, 0x4000, v70
	ds_store_2addr_b32 v70, v71, v72 offset1:136
.LBB858_12:
	s_or_b32 exec_lo, exec_lo, s4
	v_lshlrev_b32_e32 v70, 2, v68
	s_load_b32 s36, s[0:1], 0x94
	s_waitcnt lgkmcnt(0)
	s_barrier
	buffer_gl0_inv
	v_add_nc_u32_e32 v98, 0x4000, v70
	v_cmp_eq_u32_e32 vcc_lo, 1, v69
	v_cmp_eq_u32_e64 s4, 2, v69
	v_cmp_eq_u32_e64 s5, 3, v69
	;; [unrolled: 1-line block ×3, first 2 shown]
	ds_load_2addr_b32 v[70:71], v98 offset1:17
	ds_load_2addr_b32 v[72:73], v98 offset0:34 offset1:51
	ds_load_2addr_b32 v[74:75], v98 offset0:68 offset1:85
	;; [unrolled: 1-line block ×3, first 2 shown]
	v_cmp_eq_u32_e64 s7, 5, v69
	v_cmp_eq_u32_e64 s8, 7, v69
	s_waitcnt lgkmcnt(3)
	v_max3_f32 v76, v70, 0xff7fffff, v71
	s_waitcnt lgkmcnt(2)
	s_delay_alu instid0(VALU_DEP_1) | instskip(SKIP_1) | instid1(VALU_DEP_1)
	v_max3_f32 v76, v76, v72, v73
	s_waitcnt lgkmcnt(1)
	v_max3_f32 v76, v76, v74, v75
	s_waitcnt lgkmcnt(0)
	s_delay_alu instid0(VALU_DEP_1) | instskip(NEXT) | instid1(VALU_DEP_1)
	v_max3_f32 v76, v76, v94, v95
	v_sub_f32_e32 v77, v71, v76
	ds_load_2addr_b32 v[96:97], v98 offset0:136 offset1:153
	v_sub_f32_e32 v74, v74, v76
	v_sub_f32_e32 v70, v70, v76
	;; [unrolled: 1-line block ×3, first 2 shown]
	v_dual_sub_f32 v72, v72, v76 :: v_dual_mul_f32 v77, 0x3fb8aa3b, v77
	s_delay_alu instid0(VALU_DEP_4) | instskip(NEXT) | instid1(VALU_DEP_4)
	v_mul_f32_e32 v103, 0x3fb8aa3b, v74
	v_mul_f32_e32 v99, 0x3fb8aa3b, v70
	ds_load_2addr_b32 v[70:71], v98 offset0:170 offset1:187
	v_dual_mul_f32 v101, 0x3fb8aa3b, v72 :: v_dual_mul_f32 v94, 0x3fb8aa3b, v94
	v_exp_f32_e32 v102, v77
	v_exp_f32_e32 v99, v99
	s_delay_alu instid0(VALU_DEP_1) | instskip(NEXT) | instid1(VALU_DEP_1)
	v_exp_f32_e32 v101, v101
	v_exp_f32_e32 v94, v94
	s_waitcnt lgkmcnt(1)
	s_delay_alu instid0(TRANS32_DEP_3)
	v_fma_f32 v77, v99, v96, 0
	v_sub_f32_e32 v100, v73, v76
	ds_load_2addr_b32 v[72:73], v98 offset0:204 offset1:221
	v_fmac_f32_e32 v77, v102, v97
	v_exp_f32_e32 v97, v103
	s_waitcnt lgkmcnt(1)
	s_delay_alu instid0(VALU_DEP_1)
	v_dual_fmac_f32 v77, v101, v70 :: v_dual_sub_f32 v96, v75, v76
	ds_load_2addr_b32 v[74:75], v98 offset0:238 offset1:255
	v_sub_f32_e32 v70, v95, v76
	s_waitcnt lgkmcnt(0)
	s_barrier
	v_mul_f32_e32 v96, 0x3fb8aa3b, v96
	buffer_gl0_inv
	v_exp_f32_e32 v95, v96
	v_mul_f32_e32 v100, 0x3fb8aa3b, v100
	s_delay_alu instid0(VALU_DEP_1) | instskip(SKIP_3) | instid1(VALU_DEP_2)
	v_exp_f32_e32 v100, v100
	s_waitcnt_depctr 0xfff
	v_dual_fmac_f32 v77, v100, v71 :: v_dual_mul_f32 v70, 0x3fb8aa3b, v70
	v_cndmask_b32_e32 v71, v99, v102, vcc_lo
	v_fmac_f32_e32 v77, v97, v72
	s_delay_alu instid0(VALU_DEP_3) | instskip(NEXT) | instid1(VALU_DEP_1)
	v_exp_f32_e32 v96, v70
	v_fmac_f32_e32 v77, v95, v73
	s_delay_alu instid0(VALU_DEP_1) | instskip(SKIP_2) | instid1(VALU_DEP_1)
	v_fmac_f32_e32 v77, v94, v74
	s_waitcnt_depctr 0xfff
	v_fmac_f32_e32 v77, v96, v75
	v_add_f32_e32 v74, 0x358637bd, v77
	s_delay_alu instid0(VALU_DEP_1) | instskip(SKIP_1) | instid1(VALU_DEP_2)
	v_div_scale_f32 v98, null, v74, v74, 1.0
	v_div_scale_f32 v99, vcc_lo, 1.0, v74, 1.0
	v_rcp_f32_e32 v103, v98
	s_waitcnt_depctr 0xfff
	v_fma_f32 v70, -v98, v103, 1.0
	s_delay_alu instid0(VALU_DEP_1) | instskip(SKIP_2) | instid1(VALU_DEP_2)
	v_fmac_f32_e32 v103, v70, v103
	v_cndmask_b32_e64 v70, v71, v101, s4
	v_cmp_eq_u32_e64 s4, 6, v69
	v_cndmask_b32_e64 v71, v70, v100, s5
	s_delay_alu instid0(VALU_DEP_4) | instskip(NEXT) | instid1(VALU_DEP_2)
	v_dual_mul_f32 v101, v99, v103 :: v_dual_lshlrev_b32 v70, 2, v66
	v_cndmask_b32_e64 v71, v71, v97, s6
	s_delay_alu instid0(VALU_DEP_2) | instskip(NEXT) | instid1(VALU_DEP_3)
	v_or_b32_e32 v72, 1, v70
	v_fma_f32 v100, -v98, v101, v99
	v_cmp_eq_u32_e64 s5, 1, v70
	v_cmp_eq_u32_e64 s6, 2, v70
	v_cndmask_b32_e64 v95, v71, v95, s7
	v_or_b32_e32 v71, 3, v70
	v_fmac_f32_e32 v101, v100, v103
	v_cmp_eq_u32_e64 s10, 1, v72
	v_cmp_eq_u32_e64 s13, 2, v72
	v_cndmask_b32_e64 v94, v95, v94, s4
	v_cmp_eq_u32_e64 s12, 1, v71
	v_fma_f32 v97, -v98, v101, v99
	v_cmp_eq_u32_e64 s17, 2, v71
	v_cmp_eq_u32_e64 s15, 3, v72
	v_cndmask_b32_e64 v94, v94, v96, s8
	v_cmp_eq_u32_e64 s19, 3, v71
	v_div_fmas_f32 v95, v97, v103, v101
	v_cmp_eq_u32_e32 vcc_lo, 3, v70
	v_cmp_eq_u32_e64 s4, 4, v70
	v_cmp_eq_u32_e64 s20, 4, v72
	;; [unrolled: 1-line block ×3, first 2 shown]
	v_div_fixup_f32 v95, v95, v74, 1.0
	v_lshlrev_b32_e32 v73, 6, v68
	v_cmp_eq_u32_e64 s7, 5, v70
	v_cmp_eq_u32_e64 s21, 5, v72
	;; [unrolled: 1-line block ×3, first 2 shown]
	v_mul_f32_e32 v102, v94, v95
	v_lshl_or_b32 v75, v69, 11, v73
	v_or_b32_e32 v69, 2, v70
	v_cmp_eq_u32_e64 s26, 6, v72
	v_cmp_eq_u32_e64 s28, 6, v71
	v_fma_mixlo_f16 v94, v102, v79, 0
	v_fma_mixlo_f16 v95, v102, v81, 0
	;; [unrolled: 1-line block ×8, first 2 shown]
	v_lshl_or_b32 v74, v66, 4, v75
	v_fma_mixhi_f16 v94, v102, v78, 0
	v_fma_mixhi_f16 v95, v102, v80, 0
	;; [unrolled: 1-line block ×8, first 2 shown]
	ds_store_b128 v74, v[94:97]
	ds_store_b128 v74, v[98:101] offset:1024
	s_waitcnt lgkmcnt(0)
	s_barrier
	buffer_gl0_inv
	ds_load_b128 v[78:81], v75
	ds_load_b128 v[82:85], v75 offset:16
	ds_load_b128 v[86:89], v75 offset:1024
	;; [unrolled: 1-line block ×3, first 2 shown]
	v_cmp_eq_u32_e64 s11, 1, v69
	v_cmp_eq_u32_e64 s16, 2, v69
	;; [unrolled: 1-line block ×11, first 2 shown]
	s_waitcnt lgkmcnt(3)
	v_lshrrev_b32_e32 v94, 16, v78
	s_waitcnt lgkmcnt(2)
	v_lshrrev_b32_e32 v98, 16, v82
	;; [unrolled: 2-line block ×4, first 2 shown]
	v_lshrrev_b32_e32 v95, 16, v79
	v_cndmask_b32_e64 v110, v78, v94, s5
	v_cndmask_b32_e64 v111, v82, v98, s5
	;; [unrolled: 1-line block ×8, first 2 shown]
	v_lshrrev_b32_e32 v99, 16, v83
	v_cndmask_b32_e64 v94, v86, v102, s5
	v_cndmask_b32_e64 v98, v90, v106, s5
	;; [unrolled: 1-line block ×15, first 2 shown]
	v_lshrrev_b32_e32 v103, 16, v87
	v_lshrrev_b32_e32 v107, 16, v91
	v_cndmask_b32_e64 v113, v115, v83, s16
	v_cndmask_b32_e64 v82, v94, v87, s6
	;; [unrolled: 1-line block ×7, first 2 shown]
	v_cndmask_b32_e32 v90, v102, v95, vcc_lo
	v_cndmask_b32_e32 v102, v106, v99, vcc_lo
	v_cndmask_b32_e64 v106, v110, v95, s15
	v_cndmask_b32_e64 v110, v111, v99, s15
	;; [unrolled: 1-line block ×4, first 2 shown]
	v_lshrrev_b32_e32 v96, 16, v80
	v_lshrrev_b32_e32 v100, 16, v84
	v_cndmask_b32_e64 v111, v112, v95, s18
	v_cndmask_b32_e64 v112, v113, v99, s18
	v_cndmask_b32_e32 v82, v82, v103, vcc_lo
	v_cndmask_b32_e32 v83, v83, v107, vcc_lo
	v_cndmask_b32_e64 v94, v94, v103, s15
	v_cndmask_b32_e64 v90, v90, v80, s4
	;; [unrolled: 1-line block ×7, first 2 shown]
	v_lshrrev_b32_e32 v104, 16, v88
	v_cndmask_b32_e64 v106, v111, v80, s22
	v_cndmask_b32_e64 v110, v112, v84, s22
	;; [unrolled: 1-line block ×11, first 2 shown]
	v_lshrrev_b32_e32 v97, 16, v81
	v_lshrrev_b32_e32 v101, 16, v85
	v_cndmask_b32_e64 v99, v106, v96, s24
	v_cndmask_b32_e64 v102, v110, v100, s24
	;; [unrolled: 1-line block ×7, first 2 shown]
	v_lshrrev_b32_e32 v105, 16, v89
	v_cndmask_b32_e64 v80, v80, v104, s7
	v_cndmask_b32_e64 v84, v84, v81, s8
	;; [unrolled: 1-line block ×16, first 2 shown]
	v_perm_b32 v81, v79, v78, 0x5040100
	v_perm_b32 v79, v95, v85, 0x5040100
	v_cndmask_b32_e64 v78, v119, v91, s16
	v_cndmask_b32_e64 v85, v117, v91, s13
	v_cndmask_b32_e64 v96, v80, v105, s9
	v_perm_b32 v80, v94, v90, 0x5040100
	v_cndmask_b32_e64 v90, v98, v103, s18
	v_cndmask_b32_e64 v86, v86, v103, s19
	;; [unrolled: 1-line block ×5, first 2 shown]
	v_lshrrev_b32_e32 v108, 16, v92
	v_cndmask_b32_e64 v90, v90, v88, s22
	v_cndmask_b32_e64 v86, v86, v88, s23
	;; [unrolled: 1-line block ×11, first 2 shown]
	v_lshrrev_b32_e32 v109, 16, v93
	v_cndmask_b32_e64 v82, v82, v93, s8
	v_cndmask_b32_e64 v88, v88, v89, s27
	;; [unrolled: 1-line block ×12, first 2 shown]
	v_perm_b32 v78, v84, v83, 0x5040100
	v_perm_b32 v85, v87, v86, 0x5040100
	;; [unrolled: 1-line block ×5, first 2 shown]
	s_mul_i32 s9, s35, 9
	s_mov_b32 s4, exec_lo
	ds_store_b128 v74, v[78:81]
	ds_store_b128 v74, v[82:85] offset:1024
	v_cmpx_gt_u32_e32 9, v0
	s_cbranch_execz .LBB858_14
; %bb.13:
	s_mul_i32 s5, s9, s34
	s_load_b128 s[16:19], s[0:1], 0x58
	v_add3_u32 v68, s5, s33, v68
	s_delay_alu instid0(VALU_DEP_1) | instskip(NEXT) | instid1(VALU_DEP_1)
	v_mad_u64_u32 v[78:79], null, v68, s36, s[14:15]
	v_ashrrev_i32_e32 v79, 31, v78
	s_delay_alu instid0(VALU_DEP_1) | instskip(SKIP_1) | instid1(VALU_DEP_1)
	v_lshlrev_b64 v[78:79], 2, v[78:79]
	s_waitcnt lgkmcnt(0)
	v_add_co_u32 v80, vcc_lo, s18, v78
	s_delay_alu instid0(VALU_DEP_2)
	v_add_co_ci_u32_e32 v81, vcc_lo, s19, v79, vcc_lo
	v_add_co_u32 v78, vcc_lo, s16, v78
	v_add_co_ci_u32_e32 v79, vcc_lo, s17, v79, vcc_lo
	global_store_b32 v[80:81], v76, off
	global_store_b32 v[78:79], v77, off
.LBB858_14:
	s_or_b32 exec_lo, exec_lo, s4
	s_waitcnt lgkmcnt(0)
	s_waitcnt_vscnt null, 0x0
	s_barrier
	buffer_gl0_inv
	ds_load_b128 v[84:87], v73
	ds_load_b128 v[88:91], v73 offset:16
	ds_load_b128 v[96:99], v73 offset:2064
	;; [unrolled: 1-line block ×5, first 2 shown]
	v_cmp_eq_u32_e32 vcc_lo, 1, v70
	v_mov_b32_e32 v76, 0
	ds_load_b128 v[112:115], v73 offset:6160
	ds_load_b128 v[108:111], v73 offset:6144
	;; [unrolled: 1-line block ×4, first 2 shown]
	v_cmp_eq_u32_e64 s5, 1, v69
	v_cmp_eq_u32_e64 s4, 1, v72
	;; [unrolled: 1-line block ×3, first 2 shown]
	v_mov_b32_e32 v77, v76
	v_mov_b32_e32 v78, v76
	;; [unrolled: 1-line block ×7, first 2 shown]
	v_cmp_eq_u32_e64 s7, 3, v72
	v_cmp_eq_u32_e64 s8, 7, v72
	s_waitcnt lgkmcnt(8)
	s_delay_alu instid0(VALU_DEP_3)
	v_wmma_f32_16x16x16_f16 v[76:83], v[49:56], v[84:91], v[76:83]
	ds_load_b128 v[53:56], v73 offset:10256
	ds_load_b128 v[49:52], v73 offset:10240
	s_waitcnt lgkmcnt(8)
	v_wmma_f32_16x16x16_f16 v[76:83], v[41:48], v[92:99], v[76:83]
	ds_load_b128 v[45:48], v73 offset:12304
	ds_load_b128 v[41:44], v73 offset:12288
	s_waitcnt lgkmcnt(8)
	;; [unrolled: 4-line block ×3, first 2 shown]
	s_barrier
	buffer_gl0_inv
	v_wmma_f32_16x16x16_f16 v[76:83], v[1:8], v[108:115], v[76:83]
	s_delay_alu instid0(VALU_DEP_1) | instskip(NEXT) | instid1(VALU_DEP_1)
	v_wmma_f32_16x16x16_f16 v[76:83], v[9:16], v[116:123], v[76:83]
	v_wmma_f32_16x16x16_f16 v[76:83], v[17:24], v[49:56], v[76:83]
	s_delay_alu instid0(VALU_DEP_1) | instskip(NEXT) | instid1(VALU_DEP_1)
	v_wmma_f32_16x16x16_f16 v[76:83], v[25:32], v[41:48], v[76:83]
	v_wmma_f32_16x16x16_f16 v[76:83], v[57:64], v[33:40], v[76:83]
	s_delay_alu instid0(VALU_DEP_1) | instskip(NEXT) | instid1(VALU_DEP_2)
	v_cvt_f16_f32_e32 v1, v76
	v_cvt_f16_f32_e32 v2, v77
	s_delay_alu instid0(VALU_DEP_3) | instskip(NEXT) | instid1(VALU_DEP_4)
	v_cvt_f16_f32_e32 v3, v78
	v_cvt_f16_f32_e32 v4, v79
	;; [unrolled: 1-line block ×6, first 2 shown]
	v_pack_b32_f16 v1, v1, v2
	v_pack_b32_f16 v2, v3, v4
	;; [unrolled: 1-line block ×3, first 2 shown]
	s_delay_alu instid0(VALU_DEP_4)
	v_pack_b32_f16 v4, v7, v8
	ds_store_b128 v74, v[1:4]
	s_waitcnt lgkmcnt(0)
	s_barrier
	buffer_gl0_inv
	ds_load_b128 v[1:4], v75
	ds_load_b128 v[5:8], v75 offset:16
	s_waitcnt lgkmcnt(1)
	v_lshrrev_b32_e32 v9, 16, v1
	s_waitcnt lgkmcnt(0)
	v_lshrrev_b32_e32 v13, 16, v5
	v_lshrrev_b32_e32 v10, 16, v2
	;; [unrolled: 1-line block ×4, first 2 shown]
	v_cndmask_b32_e32 v17, v1, v9, vcc_lo
	v_cndmask_b32_e32 v18, v5, v13, vcc_lo
	v_cndmask_b32_e64 v21, v1, v9, s5
	v_cmp_eq_u32_e32 vcc_lo, 1, v71
	v_cndmask_b32_e64 v22, v5, v13, s5
	v_cmp_eq_u32_e64 s5, 2, v70
	v_cndmask_b32_e64 v19, v1, v9, s4
	v_cndmask_b32_e64 v20, v5, v13, s4
	v_cndmask_b32_e32 v1, v1, v9, vcc_lo
	v_cmp_eq_u32_e64 s4, 2, v71
	v_cndmask_b32_e32 v5, v5, v13, vcc_lo
	v_cndmask_b32_e64 v9, v17, v2, s5
	v_cmp_eq_u32_e32 vcc_lo, 3, v70
	v_cndmask_b32_e64 v13, v18, v6, s5
	v_cmp_eq_u32_e64 s5, 2, v69
	v_cndmask_b32_e64 v17, v19, v2, s6
	v_cndmask_b32_e64 v18, v20, v6, s6
	v_cmp_eq_u32_e64 s6, 3, v69
	v_cndmask_b32_e64 v1, v1, v2, s4
	v_cndmask_b32_e64 v19, v21, v2, s5
	;; [unrolled: 1-line block ×4, first 2 shown]
	v_cndmask_b32_e32 v5, v9, v10, vcc_lo
	v_cndmask_b32_e32 v6, v13, v14, vcc_lo
	v_cmp_eq_u32_e32 vcc_lo, 3, v71
	v_cndmask_b32_e64 v9, v17, v10, s7
	v_cndmask_b32_e64 v13, v18, v14, s7
	;; [unrolled: 1-line block ×3, first 2 shown]
	v_cmp_eq_u32_e64 s5, 4, v70
	v_cndmask_b32_e32 v1, v1, v10, vcc_lo
	v_cndmask_b32_e32 v2, v2, v14, vcc_lo
	v_cmp_eq_u32_e32 vcc_lo, 4, v72
	v_lshrrev_b32_e32 v15, 16, v7
	v_lshrrev_b32_e32 v16, 16, v8
	v_cndmask_b32_e64 v17, v19, v10, s6
	v_cmp_eq_u32_e64 s4, 4, v71
	v_cndmask_b32_e64 v5, v5, v3, s5
	v_cndmask_b32_e64 v6, v6, v7, s5
	v_cndmask_b32_e32 v9, v9, v3, vcc_lo
	v_cmp_eq_u32_e64 s5, 5, v72
	v_cndmask_b32_e32 v10, v13, v7, vcc_lo
	v_cmp_eq_u32_e32 vcc_lo, 4, v69
	v_cmp_eq_u32_e64 s6, 5, v70
	v_cndmask_b32_e64 v2, v2, v7, s4
	v_cndmask_b32_e64 v9, v9, v11, s5
	;; [unrolled: 1-line block ×3, first 2 shown]
	v_cndmask_b32_e32 v13, v17, v3, vcc_lo
	v_cmp_eq_u32_e64 s5, 5, v69
	v_cndmask_b32_e32 v14, v18, v7, vcc_lo
	v_cndmask_b32_e64 v1, v1, v3, s4
	v_cmp_eq_u32_e32 vcc_lo, 5, v71
	v_lshrrev_b32_e32 v12, 16, v4
	v_cndmask_b32_e64 v13, v13, v11, s5
	v_cndmask_b32_e64 v3, v14, v15, s5
	v_cmp_eq_u32_e64 s5, 6, v71
	v_cndmask_b32_e32 v1, v1, v11, vcc_lo
	v_cndmask_b32_e64 v5, v5, v11, s6
	v_cmp_eq_u32_e64 s7, 6, v70
	v_cndmask_b32_e64 v6, v6, v15, s6
	v_cmp_eq_u32_e64 s6, 6, v72
	v_cmp_eq_u32_e64 s4, 6, v69
	v_cndmask_b32_e64 v1, v1, v4, s5
	v_cndmask_b32_e32 v2, v2, v15, vcc_lo
	v_cmp_eq_u32_e32 vcc_lo, 7, v71
	v_cndmask_b32_e64 v5, v5, v4, s7
	v_cndmask_b32_e64 v9, v9, v4, s6
	;; [unrolled: 1-line block ×3, first 2 shown]
	v_cmp_eq_u32_e64 s7, 7, v70
	v_cndmask_b32_e32 v1, v1, v12, vcc_lo
	v_cndmask_b32_e64 v7, v13, v4, s4
	v_cndmask_b32_e64 v3, v3, v8, s4
	;; [unrolled: 1-line block ×3, first 2 shown]
	v_cmp_eq_u32_e64 s4, 7, v69
	v_cndmask_b32_e64 v4, v10, v8, s6
	v_cndmask_b32_e64 v5, v5, v12, s7
	;; [unrolled: 1-line block ×3, first 2 shown]
	v_cndmask_b32_e32 v2, v2, v16, vcc_lo
	v_cndmask_b32_e64 v7, v7, v12, s4
	v_cndmask_b32_e64 v3, v3, v16, s4
	;; [unrolled: 1-line block ×4, first 2 shown]
	v_cmp_gt_u32_e32 vcc_lo, 32, v0
	v_perm_b32 v4, v2, v1, 0x5040100
	v_perm_b32 v3, v3, v7, 0x5040100
	;; [unrolled: 1-line block ×4, first 2 shown]
	s_and_b32 s2, vcc_lo, s2
	ds_store_b128 v74, v[1:4]
	s_waitcnt lgkmcnt(0)
	s_barrier
	buffer_gl0_inv
	s_and_saveexec_b32 s4, s2
	s_cbranch_execz .LBB858_2
; %bb.15:
	s_load_b64 s[4:5], s[0:1], 0x68
	v_lshlrev_b32_e32 v0, 10, v0
	v_lshlrev_b32_e32 v1, 4, v67
	s_lshl_b32 s0, s36, 6
	v_add_nc_u32_e32 v2, s33, v66
	s_mul_i32 s1, s0, s34
	s_delay_alu instid0(SALU_CYCLE_1) | instskip(SKIP_1) | instid1(VALU_DEP_2)
	s_mul_i32 s6, s1, s9
	v_and_or_b32 v0, 0x3800, v0, v1
	v_mul_lo_u32 v1, v2, s0
	s_ashr_i32 s7, s6, 31
	v_add_nc_u32_e32 v3, 2, v2
	s_lshl_b64 s[6:7], s[6:7], 1
	v_add_nc_u32_e32 v4, 4, v2
	v_add_nc_u32_e32 v5, 6, v2
	v_lshl_or_b32 v15, v66, 6, v0
	v_mul_lo_u32 v3, v3, s0
	v_ashrrev_i32_e32 v2, 31, v1
	v_mul_lo_u32 v19, v4, s0
	v_mul_lo_u32 v21, v5, s0
	s_waitcnt lgkmcnt(0)
	s_add_u32 s1, s4, s6
	s_addc_u32 s2, s5, s7
	s_lshl_b32 s4, s14, 6
	v_lshlrev_b64 v[5:6], 1, v[1:2]
	s_ashr_i32 s5, s4, 31
	v_ashrrev_i32_e32 v4, 31, v3
	s_lshl_b64 s[4:5], s[4:5], 1
	v_ashrrev_i32_e32 v20, 31, v19
	s_add_u32 s1, s1, s4
	s_addc_u32 s2, s2, s5
	v_add_co_u32 v1, s1, s1, v65
	s_delay_alu instid0(VALU_DEP_1) | instskip(SKIP_1) | instid1(VALU_DEP_3)
	v_add_co_ci_u32_e64 v2, null, s2, 0, s1
	v_lshlrev_b64 v[25:26], 1, v[3:4]
	v_add_co_u32 v23, vcc_lo, v1, v5
	s_delay_alu instid0(VALU_DEP_3)
	v_add_co_ci_u32_e32 v24, vcc_lo, v2, v6, vcc_lo
	ds_load_b128 v[3:6], v15
	ds_load_b128 v[7:10], v15 offset:128
	ds_load_b128 v[11:14], v15 offset:256
	;; [unrolled: 1-line block ×3, first 2 shown]
	v_ashrrev_i32_e32 v22, 31, v21
	v_lshlrev_b64 v[19:20], 1, v[19:20]
	v_add_co_u32 v25, vcc_lo, v1, v25
	v_add_co_ci_u32_e32 v26, vcc_lo, v2, v26, vcc_lo
	s_delay_alu instid0(VALU_DEP_4) | instskip(NEXT) | instid1(VALU_DEP_4)
	v_lshlrev_b64 v[21:22], 1, v[21:22]
	v_add_co_u32 v19, vcc_lo, v1, v19
	v_add_co_ci_u32_e32 v20, vcc_lo, v2, v20, vcc_lo
	s_delay_alu instid0(VALU_DEP_3) | instskip(NEXT) | instid1(VALU_DEP_4)
	v_add_co_u32 v21, vcc_lo, v1, v21
	v_add_co_ci_u32_e32 v22, vcc_lo, v2, v22, vcc_lo
	s_waitcnt lgkmcnt(3)
	global_store_b128 v[23:24], v[3:6], off
	s_waitcnt lgkmcnt(2)
	global_store_b128 v[25:26], v[7:10], off
	;; [unrolled: 2-line block ×4, first 2 shown]
	s_and_b32 exec_lo, exec_lo, s3
	s_cbranch_execz .LBB858_2
; %bb.16:
	ds_load_b128 v[3:6], v0 offset:512
	s_add_i32 s1, s33, 8
	s_delay_alu instid0(SALU_CYCLE_1) | instskip(NEXT) | instid1(SALU_CYCLE_1)
	s_mul_i32 s0, s1, s0
	s_ashr_i32 s1, s0, 31
	s_delay_alu instid0(SALU_CYCLE_1) | instskip(NEXT) | instid1(SALU_CYCLE_1)
	s_lshl_b64 s[0:1], s[0:1], 1
	v_add_co_u32 v0, vcc_lo, v1, s0
	v_add_co_ci_u32_e32 v1, vcc_lo, s1, v2, vcc_lo
	s_waitcnt lgkmcnt(0)
	global_store_b128 v[0:1], v[3:6], off
	s_nop 0
	s_sendmsg sendmsg(MSG_DEALLOC_VGPRS)
	s_endpgm
	.section	.rodata,"a",@progbits
	.p2align	6, 0x0
	.amdhsa_kernel _Z39paged_attention_ll4mi_QKV_mfma16_kernelIDF16_hLN4vllm18Fp8KVCacheDataTypeE1EhLi32ELi64ELi256ELb1ELi9EL8MFMAType1EEvPKT_PKT0_S8_ifPKiSA_SA_iPKfiiiPfSD_PS3_PT2_iSC_SC_
		.amdhsa_group_segment_fixed_size 17472
		.amdhsa_private_segment_fixed_size 0
		.amdhsa_kernarg_size 400
		.amdhsa_user_sgpr_count 13
		.amdhsa_user_sgpr_dispatch_ptr 0
		.amdhsa_user_sgpr_queue_ptr 0
		.amdhsa_user_sgpr_kernarg_segment_ptr 1
		.amdhsa_user_sgpr_dispatch_id 0
		.amdhsa_user_sgpr_private_segment_size 0
		.amdhsa_wavefront_size32 1
		.amdhsa_uses_dynamic_stack 0
		.amdhsa_enable_private_segment 0
		.amdhsa_system_sgpr_workgroup_id_x 1
		.amdhsa_system_sgpr_workgroup_id_y 1
		.amdhsa_system_sgpr_workgroup_id_z 1
		.amdhsa_system_sgpr_workgroup_info 0
		.amdhsa_system_vgpr_workitem_id 0
		.amdhsa_next_free_vgpr 146
		.amdhsa_next_free_sgpr 37
		.amdhsa_reserve_vcc 1
		.amdhsa_float_round_mode_32 0
		.amdhsa_float_round_mode_16_64 0
		.amdhsa_float_denorm_mode_32 3
		.amdhsa_float_denorm_mode_16_64 3
		.amdhsa_dx10_clamp 1
		.amdhsa_ieee_mode 1
		.amdhsa_fp16_overflow 0
		.amdhsa_workgroup_processor_mode 1
		.amdhsa_memory_ordered 1
		.amdhsa_forward_progress 0
		.amdhsa_shared_vgpr_count 0
		.amdhsa_exception_fp_ieee_invalid_op 0
		.amdhsa_exception_fp_denorm_src 0
		.amdhsa_exception_fp_ieee_div_zero 0
		.amdhsa_exception_fp_ieee_overflow 0
		.amdhsa_exception_fp_ieee_underflow 0
		.amdhsa_exception_fp_ieee_inexact 0
		.amdhsa_exception_int_div_zero 0
	.end_amdhsa_kernel
	.section	.text._Z39paged_attention_ll4mi_QKV_mfma16_kernelIDF16_hLN4vllm18Fp8KVCacheDataTypeE1EhLi32ELi64ELi256ELb1ELi9EL8MFMAType1EEvPKT_PKT0_S8_ifPKiSA_SA_iPKfiiiPfSD_PS3_PT2_iSC_SC_,"axG",@progbits,_Z39paged_attention_ll4mi_QKV_mfma16_kernelIDF16_hLN4vllm18Fp8KVCacheDataTypeE1EhLi32ELi64ELi256ELb1ELi9EL8MFMAType1EEvPKT_PKT0_S8_ifPKiSA_SA_iPKfiiiPfSD_PS3_PT2_iSC_SC_,comdat
.Lfunc_end858:
	.size	_Z39paged_attention_ll4mi_QKV_mfma16_kernelIDF16_hLN4vllm18Fp8KVCacheDataTypeE1EhLi32ELi64ELi256ELb1ELi9EL8MFMAType1EEvPKT_PKT0_S8_ifPKiSA_SA_iPKfiiiPfSD_PS3_PT2_iSC_SC_, .Lfunc_end858-_Z39paged_attention_ll4mi_QKV_mfma16_kernelIDF16_hLN4vllm18Fp8KVCacheDataTypeE1EhLi32ELi64ELi256ELb1ELi9EL8MFMAType1EEvPKT_PKT0_S8_ifPKiSA_SA_iPKfiiiPfSD_PS3_PT2_iSC_SC_
                                        ; -- End function
	.section	.AMDGPU.csdata,"",@progbits
; Kernel info:
; codeLenInByte = 6584
; NumSgprs: 39
; NumVgprs: 146
; ScratchSize: 0
; MemoryBound: 0
; FloatMode: 240
; IeeeMode: 1
; LDSByteSize: 17472 bytes/workgroup (compile time only)
; SGPRBlocks: 4
; VGPRBlocks: 18
; NumSGPRsForWavesPerEU: 39
; NumVGPRsForWavesPerEU: 146
; Occupancy: 9
; WaveLimiterHint : 1
; COMPUTE_PGM_RSRC2:SCRATCH_EN: 0
; COMPUTE_PGM_RSRC2:USER_SGPR: 13
; COMPUTE_PGM_RSRC2:TRAP_HANDLER: 0
; COMPUTE_PGM_RSRC2:TGID_X_EN: 1
; COMPUTE_PGM_RSRC2:TGID_Y_EN: 1
; COMPUTE_PGM_RSRC2:TGID_Z_EN: 1
; COMPUTE_PGM_RSRC2:TIDIG_COMP_CNT: 0
	.section	.text._Z39paged_attention_ll4mi_QKV_mfma16_kernelIDF16_hLN4vllm18Fp8KVCacheDataTypeE1EhLi32ELi64ELi256ELb1ELi10EL8MFMAType1EEvPKT_PKT0_S8_ifPKiSA_SA_iPKfiiiPfSD_PS3_PT2_iSC_SC_,"axG",@progbits,_Z39paged_attention_ll4mi_QKV_mfma16_kernelIDF16_hLN4vllm18Fp8KVCacheDataTypeE1EhLi32ELi64ELi256ELb1ELi10EL8MFMAType1EEvPKT_PKT0_S8_ifPKiSA_SA_iPKfiiiPfSD_PS3_PT2_iSC_SC_,comdat
	.protected	_Z39paged_attention_ll4mi_QKV_mfma16_kernelIDF16_hLN4vllm18Fp8KVCacheDataTypeE1EhLi32ELi64ELi256ELb1ELi10EL8MFMAType1EEvPKT_PKT0_S8_ifPKiSA_SA_iPKfiiiPfSD_PS3_PT2_iSC_SC_ ; -- Begin function _Z39paged_attention_ll4mi_QKV_mfma16_kernelIDF16_hLN4vllm18Fp8KVCacheDataTypeE1EhLi32ELi64ELi256ELb1ELi10EL8MFMAType1EEvPKT_PKT0_S8_ifPKiSA_SA_iPKfiiiPfSD_PS3_PT2_iSC_SC_
	.globl	_Z39paged_attention_ll4mi_QKV_mfma16_kernelIDF16_hLN4vllm18Fp8KVCacheDataTypeE1EhLi32ELi64ELi256ELb1ELi10EL8MFMAType1EEvPKT_PKT0_S8_ifPKiSA_SA_iPKfiiiPfSD_PS3_PT2_iSC_SC_
	.p2align	8
	.type	_Z39paged_attention_ll4mi_QKV_mfma16_kernelIDF16_hLN4vllm18Fp8KVCacheDataTypeE1EhLi32ELi64ELi256ELb1ELi10EL8MFMAType1EEvPKT_PKT0_S8_ifPKiSA_SA_iPKfiiiPfSD_PS3_PT2_iSC_SC_,@function
_Z39paged_attention_ll4mi_QKV_mfma16_kernelIDF16_hLN4vllm18Fp8KVCacheDataTypeE1EhLi32ELi64ELi256ELb1ELi10EL8MFMAType1EEvPKT_PKT0_S8_ifPKiSA_SA_iPKfiiiPfSD_PS3_PT2_iSC_SC_: ; @_Z39paged_attention_ll4mi_QKV_mfma16_kernelIDF16_hLN4vllm18Fp8KVCacheDataTypeE1EhLi32ELi64ELi256ELb1ELi10EL8MFMAType1EEvPKT_PKT0_S8_ifPKiSA_SA_iPKfiiiPfSD_PS3_PT2_iSC_SC_
; %bb.0:
	s_load_b64 s[2:3], s[0:1], 0x30
	s_mov_b32 s34, s13
	s_waitcnt lgkmcnt(0)
	s_cmp_lg_u64 s[2:3], 0
	s_cselect_b32 s6, -1, 0
	s_ashr_i32 s35, s13, 31
	s_cmp_eq_u64 s[2:3], 0
	s_cbranch_scc1 .LBB859_3
; %bb.1:
	s_lshl_b64 s[4:5], s[34:35], 2
	s_delay_alu instid0(SALU_CYCLE_1) | instskip(SKIP_4) | instid1(SALU_CYCLE_1)
	s_add_u32 s4, s2, s4
	s_addc_u32 s5, s3, s5
	s_load_b64 s[4:5], s[4:5], 0x0
	s_waitcnt lgkmcnt(0)
	s_sub_i32 s4, s5, s4
	s_cmp_eq_u32 s4, 1
	s_cselect_b32 s4, -1, 0
	s_delay_alu instid0(SALU_CYCLE_1)
	s_and_not1_b32 vcc_lo, exec_lo, s4
	s_cbranch_vccz .LBB859_4
.LBB859_2:
	s_endpgm
.LBB859_3:
.LBB859_4:
	s_load_b64 s[8:9], s[0:1], 0x28
	s_lshl_b64 s[4:5], s[34:35], 2
	s_waitcnt lgkmcnt(0)
	s_add_u32 s8, s8, s4
	s_addc_u32 s9, s9, s5
	s_lshl_b32 s16, s14, 8
	s_load_b32 s18, s[8:9], 0x0
	s_waitcnt lgkmcnt(0)
	s_cmp_ge_i32 s16, s18
	s_cbranch_scc1 .LBB859_2
; %bb.5:
	s_clause 0x1
	s_load_b128 s[8:11], s[0:1], 0x8
	s_load_b64 s[12:13], s[0:1], 0x20
	s_and_not1_b32 vcc_lo, exec_lo, s6
	s_cbranch_vccnz .LBB859_7
; %bb.6:
	s_add_u32 s2, s2, s4
	s_addc_u32 s3, s3, s5
	s_load_b32 s3, s[2:3], 0x0
	s_branch .LBB859_8
.LBB859_7:
	s_mov_b32 s3, s34
.LBB859_8:
	s_load_b128 s[4:7], s[0:1], 0x48
	v_and_b32_e32 v68, 15, v0
	v_cmp_gt_u32_e32 vcc_lo, 0xa0, v0
	v_lshrrev_b32_e32 v69, 5, v0
	v_and_b32_e32 v70, 31, v0
	v_and_b32_e32 v67, 1, v0
	v_lshlrev_b32_e32 v1, 3, v68
	v_cmp_gt_u32_e64 s2, 8, v68
	v_bfe_u32 v66, v0, 4, 1
	s_mul_i32 s31, s15, 10
	s_delay_alu instid0(VALU_DEP_3) | instskip(NEXT) | instid1(VALU_DEP_3)
	v_lshlrev_b32_e32 v65, 1, v1
	s_and_b32 s17, vcc_lo, s2
	s_waitcnt lgkmcnt(0)
	s_and_saveexec_b32 s7, s17
	s_cbranch_execz .LBB859_10
; %bb.9:
	s_load_b64 s[20:21], s[0:1], 0x0
	v_lshl_or_b32 v5, v69, 1, v66
	s_mul_hi_i32 s23, s3, s4
	s_mul_i32 s22, s3, s4
	v_lshlrev_b32_e32 v6, 10, v68
	s_lshl_b64 s[22:23], s[22:23], 1
	v_add_lshl_u32 v1, v5, s31, 6
	v_lshlrev_b32_e32 v5, 6, v5
	v_lshlrev_b32_e32 v7, 10, v67
	v_and_b32_e32 v6, 0x3800, v6
	s_delay_alu instid0(VALU_DEP_4) | instskip(NEXT) | instid1(VALU_DEP_2)
	v_ashrrev_i32_e32 v2, 31, v1
	v_or3_b32 v5, v6, v7, v5
	s_delay_alu instid0(VALU_DEP_2) | instskip(SKIP_3) | instid1(VALU_DEP_1)
	v_lshlrev_b64 v[1:2], 1, v[1:2]
	s_waitcnt lgkmcnt(0)
	s_add_u32 s3, s20, s22
	s_addc_u32 s4, s21, s23
	v_add_co_u32 v1, vcc_lo, s3, v1
	s_delay_alu instid0(VALU_DEP_2) | instskip(NEXT) | instid1(VALU_DEP_2)
	v_add_co_ci_u32_e32 v2, vcc_lo, s4, v2, vcc_lo
	v_add_co_u32 v1, vcc_lo, v1, v65
	s_delay_alu instid0(VALU_DEP_2)
	v_add_co_ci_u32_e32 v2, vcc_lo, 0, v2, vcc_lo
	global_load_b128 v[1:4], v[1:2], off
	s_waitcnt vmcnt(0)
	ds_store_b128 v5, v[1:4]
.LBB859_10:
	s_or_b32 exec_lo, exec_lo, s7
	v_and_b32_e32 v1, 0xef, v0
	s_add_i32 s3, s18, 31
	s_clause 0x1
	s_load_b32 s4, s[0:1], 0x38
	s_load_b32 s33, s[0:1], 0x98
	s_ashr_i32 s7, s3, 31
	v_add_nc_u32_e32 v1, s16, v1
	s_lshr_b32 s7, s7, 27
	s_load_b32 s19, s[0:1], 0x1c
	v_add_nc_u32_e32 v103, -10, v68
	s_add_i32 s3, s3, s7
	v_ashrrev_i32_e32 v2, 31, v1
	v_or_b32_e32 v3, 16, v1
	s_ashr_i32 s3, s3, 5
	v_cmp_gt_i32_e32 vcc_lo, s18, v1
	s_add_i32 s3, s3, -1
	v_lshrrev_b32_e32 v2, 27, v2
	s_waitcnt lgkmcnt(0)
	s_barrier
	buffer_gl0_inv
	s_mul_i32 s15, s15, s6
	v_add_nc_u32_e32 v4, v1, v2
	v_mbcnt_lo_u32_b32 v127, -1, 0
	s_mul_i32 s20, s34, s4
	s_delay_alu instid0(SALU_CYCLE_1) | instskip(NEXT) | instid1(VALU_DEP_2)
	s_ashr_i32 s21, s20, 31
	v_ashrrev_i32_e32 v4, 5, v4
	v_add_nc_u32_e32 v2, v3, v2
	s_lshl_b64 s[20:21], s[20:21], 2
	v_xor_b32_e32 v128, 16, v127
	s_add_u32 s17, s12, s20
	v_cndmask_b32_e32 v1, s3, v4, vcc_lo
	v_ashrrev_i32_e32 v2, 5, v2
	v_cmp_gt_i32_e32 vcc_lo, s18, v3
	s_addc_u32 s13, s13, s21
	s_ashr_i32 s20, s15, 31
	s_add_u32 s22, s8, s15
	s_addc_u32 s23, s9, s20
	v_cndmask_b32_e32 v3, s3, v2, vcc_lo
	v_ashrrev_i32_e32 v2, 31, v1
	s_lshl_b32 s6, s14, 3
	s_delay_alu instid0(SALU_CYCLE_1) | instskip(NEXT) | instid1(VALU_DEP_2)
	s_ashr_i32 s7, s6, 31
	v_ashrrev_i32_e32 v4, 31, v3
	s_delay_alu instid0(VALU_DEP_2) | instskip(SKIP_1) | instid1(SALU_CYCLE_1)
	v_lshlrev_b64 v[1:2], 2, v[1:2]
	s_lshl_b64 s[6:7], s[6:7], 2
	s_add_u32 s6, s17, s6
	s_delay_alu instid0(VALU_DEP_2) | instskip(SKIP_1) | instid1(VALU_DEP_2)
	v_lshlrev_b64 v[3:4], 2, v[3:4]
	s_addc_u32 s7, s13, s7
	v_add_co_u32 v1, vcc_lo, s17, v1
	v_add_co_ci_u32_e32 v2, vcc_lo, s13, v2, vcc_lo
	s_delay_alu instid0(VALU_DEP_3) | instskip(NEXT) | instid1(VALU_DEP_4)
	v_add_co_u32 v3, vcc_lo, s17, v3
	v_add_co_ci_u32_e32 v4, vcc_lo, s13, v4, vcc_lo
	s_clause 0x1
	global_load_b32 v5, v[1:2], off
	global_load_b32 v6, v[3:4], off
	s_or_b32 s4, s16, 32
	s_delay_alu instid0(SALU_CYCLE_1) | instskip(SKIP_2) | instid1(SALU_CYCLE_1)
	s_ashr_i32 s8, s4, 5
	s_cmp_lt_i32 s4, s18
	s_cselect_b32 s8, s8, s3
	s_ashr_i32 s9, s8, 31
	s_delay_alu instid0(SALU_CYCLE_1) | instskip(NEXT) | instid1(SALU_CYCLE_1)
	s_lshl_b64 s[8:9], s[8:9], 2
	s_add_u32 s8, s17, s8
	s_addc_u32 s9, s13, s9
	s_or_b32 s4, s16, 64
	s_delay_alu instid0(SALU_CYCLE_1) | instskip(SKIP_2) | instid1(SALU_CYCLE_1)
	s_ashr_i32 s12, s4, 5
	s_cmp_lt_i32 s4, s18
	s_cselect_b32 s24, s12, s3
	s_ashr_i32 s25, s24, 31
	s_delay_alu instid0(SALU_CYCLE_1) | instskip(NEXT) | instid1(SALU_CYCLE_1)
	s_lshl_b64 s[24:25], s[24:25], 2
	s_add_u32 s24, s17, s24
	s_addc_u32 s25, s13, s25
	;; [unrolled: 10-line block ×5, first 2 shown]
	s_clause 0x5
	s_load_b32 s12, s[6:7], 0x0
	s_load_b32 s4, s[8:9], 0x0
	;; [unrolled: 1-line block ×6, first 2 shown]
	s_or_b32 s21, s16, 0xc0
	s_waitcnt vmcnt(1)
	v_mad_i64_i32 v[1:2], null, v5, s5, s[22:23]
	v_lshlrev_b32_e32 v5, 4, v68
	s_waitcnt vmcnt(0)
	v_mad_i64_i32 v[3:4], null, v6, s5, s[22:23]
	s_ashr_i32 s22, s21, 5
	s_cmp_lt_i32 s21, s18
	s_delay_alu instid0(VALU_DEP_3) | instskip(NEXT) | instid1(VALU_DEP_4)
	v_add_co_u32 v1, vcc_lo, v1, v5
	v_add_co_ci_u32_e32 v2, vcc_lo, 0, v2, vcc_lo
	s_delay_alu instid0(VALU_DEP_3) | instskip(NEXT) | instid1(VALU_DEP_4)
	v_add_co_u32 v3, vcc_lo, v3, v5
	v_add_co_ci_u32_e32 v4, vcc_lo, 0, v4, vcc_lo
	s_clause 0x7
	global_load_b128 v[71:74], v[1:2], off
	global_load_b128 v[75:78], v[1:2], off offset:512
	global_load_b128 v[79:82], v[3:4], off offset:256
	;; [unrolled: 1-line block ×7, first 2 shown]
	s_cselect_b32 s22, s22, s3
	v_lshlrev_b32_e32 v1, 5, v68
	s_ashr_i32 s23, s22, 31
	v_cmp_gt_u32_e32 vcc_lo, 10, v68
	s_lshl_b64 s[22:23], s[22:23], 2
	s_delay_alu instid0(SALU_CYCLE_1)
	s_add_u32 s22, s17, s22
	s_addc_u32 s23, s13, s23
	s_or_b32 s21, s16, 0xe0
	v_lshl_or_b32 v1, v69, 9, v1
	s_ashr_i32 s24, s21, 5
	s_cmp_lt_i32 s21, s18
	v_cndmask_b32_e32 v103, v103, v68, vcc_lo
	s_cselect_b32 s24, s24, s3
	s_load_b32 s3, s[22:23], 0x0
	s_ashr_i32 s25, s24, 31
	v_cmp_gt_i32_e32 vcc_lo, 32, v128
	s_lshl_b64 s[24:25], s[24:25], 2
	v_lshlrev_b32_e32 v115, 6, v103
	s_add_u32 s22, s17, s24
	s_addc_u32 s23, s13, s25
	v_cndmask_b32_e32 v136, v127, v128, vcc_lo
	s_add_u32 s10, s10, s15
	s_addc_u32 s11, s11, s20
	v_add_co_u32 v1, s10, s10, v1
	s_delay_alu instid0(VALU_DEP_1) | instskip(SKIP_2) | instid1(VALU_DEP_1)
	v_add_co_ci_u32_e64 v2, null, s11, 0, s10
	s_load_b32 s10, s[22:23], 0x0
	s_waitcnt lgkmcnt(0)
	v_mad_i64_i32 v[3:4], null, s12, s5, v[1:2]
	v_mad_i64_i32 v[9:10], null, s7, s5, v[1:2]
	;; [unrolled: 1-line block ×7, first 2 shown]
	s_clause 0x5
	global_load_b128 v[49:52], v[3:4], off
	global_load_b128 v[53:56], v[3:4], off offset:16
	global_load_b128 v[41:44], v[5:6], off
	global_load_b128 v[45:48], v[5:6], off offset:16
	global_load_b128 v[33:36], v[7:8], off
	global_load_b128 v[37:40], v[7:8], off offset:16
	s_mov_b32 s4, 0
	v_mad_i64_i32 v[61:62], null, s10, s5, v[1:2]
	s_clause 0x9
	global_load_b128 v[1:4], v[9:10], off
	global_load_b128 v[5:8], v[9:10], off offset:16
	global_load_b128 v[9:12], v[13:14], off
	global_load_b128 v[13:16], v[13:14], off offset:16
	;; [unrolled: 2-line block ×5, first 2 shown]
	s_mov_b32 s5, s4
	s_mov_b32 s6, s4
	;; [unrolled: 1-line block ×7, first 2 shown]
	v_and_b32_e32 v104, 0xe0, v0
	v_dual_mov_b32 v126, s11 :: v_dual_mov_b32 v125, s10
	v_dual_mov_b32 v124, s9 :: v_dual_mov_b32 v123, s8
	s_delay_alu instid0(VALU_DEP_3)
	v_add_nc_u32_e32 v111, s16, v104
	ds_load_b128 v[103:106], v115
	ds_load_b128 v[107:110], v115 offset:1024
	v_dual_mov_b32 v122, s7 :: v_dual_mov_b32 v121, s6
	v_mov_b32_e32 v120, s5
	v_or_b32_e32 v135, v111, v66
	ds_load_b128 v[111:114], v115 offset:2048
	ds_load_b128 v[115:118], v115 offset:3072
	v_mov_b32_e32 v119, s4
	s_waitcnt vmcnt(0) lgkmcnt(0)
	s_barrier
	v_or_b32_e32 v137, 2, v135
	v_or_b32_e32 v138, 4, v135
	;; [unrolled: 1-line block ×3, first 2 shown]
	v_cmp_gt_i32_e32 vcc_lo, s18, v135
	v_or_b32_e32 v140, 8, v135
	v_cmp_gt_i32_e64 s3, s18, v137
	v_or_b32_e32 v141, 10, v135
	v_cmp_gt_i32_e64 s4, s18, v138
	v_cmp_gt_i32_e64 s5, s18, v139
	v_or_b32_e32 v142, 12, v135
	v_or_b32_e32 v143, 14, v135
	v_cmp_gt_i32_e64 s6, s18, v140
	v_cmp_gt_i32_e64 s7, s18, v141
	v_or_b32_e32 v144, 16, v135
	v_or_b32_e32 v145, 18, v135
	v_cmp_gt_i32_e64 s8, s18, v142
	v_cmp_gt_i32_e64 s9, s18, v143
	buffer_gl0_inv
	v_cmp_gt_i32_e64 s10, s18, v144
	v_cmp_gt_i32_e64 s11, s18, v145
	v_wmma_f32_16x16x16_f16 v[127:134], v[71:78], v[103:110], v[119:126]
	v_wmma_f32_16x16x16_f16 v[119:126], v[79:86], v[103:110], v[119:126]
	v_or_b32_e32 v71, 20, v135
	v_or_b32_e32 v72, 22, v135
	s_delay_alu instid0(VALU_DEP_4)
	v_wmma_f32_16x16x16_f16 v[127:134], v[87:94], v[111:118], v[127:134]
	v_or_b32_e32 v73, 24, v135
	v_wmma_f32_16x16x16_f16 v[119:126], v[95:102], v[111:118], v[119:126]
	v_or_b32_e32 v74, 26, v135
	v_cmp_gt_i32_e64 s12, s18, v71
	v_dual_mul_f32 v83, s19, v128 :: v_dual_mul_f32 v84, s19, v127
	s_delay_alu instid0(VALU_DEP_4) | instskip(SKIP_1) | instid1(VALU_DEP_3)
	v_dual_mul_f32 v81, s19, v130 :: v_dual_mul_f32 v92, s19, v119
	v_mul_f32_e32 v82, s19, v129
	v_cndmask_b32_e64 v83, 0xff7fffff, v83, s3
	s_delay_alu instid0(VALU_DEP_4)
	v_cndmask_b32_e32 v84, 0xff7fffff, v84, vcc_lo
	v_dual_mul_f32 v79, s19, v132 :: v_dual_mul_f32 v90, s19, v121
	v_mul_f32_e32 v80, s19, v131
	v_cndmask_b32_e64 v82, 0xff7fffff, v82, s4
	v_cndmask_b32_e64 v81, 0xff7fffff, v81, s5
	v_max3_f32 v83, v84, 0xff7fffff, v83
	v_dual_mul_f32 v77, s19, v134 :: v_dual_mul_f32 v88, s19, v123
	v_mul_f32_e32 v78, s19, v133
	v_cndmask_b32_e64 v80, 0xff7fffff, v80, s6
	v_cndmask_b32_e64 v79, 0xff7fffff, v79, s7
	v_max3_f32 v81, v83, v82, v81
	v_mul_f32_e32 v91, s19, v120
	v_cndmask_b32_e64 v78, 0xff7fffff, v78, s8
	v_cndmask_b32_e64 v77, 0xff7fffff, v77, s9
	v_mul_f32_e32 v89, s19, v122
	v_max3_f32 v79, v81, v80, v79
	v_cndmask_b32_e64 v80, 0xff7fffff, v92, s10
	v_cndmask_b32_e64 v81, 0xff7fffff, v91, s11
	v_cmp_gt_i32_e64 s13, s18, v72
	v_or_b32_e32 v75, 28, v135
	v_max3_f32 v77, v79, v78, v77
	v_or_b32_e32 v76, 30, v135
	v_mul_f32_e32 v87, s19, v124
	v_cndmask_b32_e64 v71, 0xff7fffff, v90, s12
	v_cndmask_b32_e64 v72, 0xff7fffff, v89, s13
	v_max3_f32 v77, v77, v80, v81
	v_cmp_gt_i32_e64 s15, s18, v73
	v_cmp_gt_i32_e64 s16, s18, v74
	v_dual_mul_f32 v85, s19, v126 :: v_dual_mul_f32 v86, s19, v125
	s_delay_alu instid0(VALU_DEP_4) | instskip(NEXT) | instid1(VALU_DEP_4)
	v_max3_f32 v71, v77, v71, v72
	v_cndmask_b32_e64 v73, 0xff7fffff, v88, s15
	s_delay_alu instid0(VALU_DEP_4) | instskip(SKIP_2) | instid1(VALU_DEP_3)
	v_cndmask_b32_e64 v74, 0xff7fffff, v87, s16
	v_cmp_gt_i32_e64 s17, s18, v75
	v_cmp_gt_i32_e64 s18, s18, v76
	v_max3_f32 v71, v71, v73, v74
	s_delay_alu instid0(VALU_DEP_3) | instskip(NEXT) | instid1(VALU_DEP_3)
	v_cndmask_b32_e64 v72, 0xff7fffff, v86, s17
	v_cndmask_b32_e64 v75, 0xff7fffff, v85, s18
	v_lshlrev_b32_e32 v73, 2, v136
	s_delay_alu instid0(VALU_DEP_2) | instskip(SKIP_3) | instid1(VALU_DEP_1)
	v_max3_f32 v71, v71, v72, v75
	ds_bpermute_b32 v72, v73, v71
	s_waitcnt lgkmcnt(0)
	v_max_f32_e32 v72, v72, v72
	v_max_f32_e32 v71, v71, v72
	s_delay_alu instid0(VALU_DEP_1)
	v_fma_f32 v72, s19, v127, -v71
	v_fma_f32 v74, s19, v128, -v71
	v_fma_f32 v75, s19, v129, -v71
	v_fma_f32 v76, s19, v130, -v71
	v_fma_f32 v77, s19, v131, -v71
	v_mul_f32_e32 v72, 0x3fb8aa3b, v72
	v_mul_f32_e32 v74, 0x3fb8aa3b, v74
	v_fma_f32 v80, s19, v133, -v71
	s_delay_alu instid0(VALU_DEP_4) | instskip(NEXT) | instid1(VALU_DEP_4)
	v_dual_mul_f32 v76, 0x3fb8aa3b, v76 :: v_dual_mul_f32 v77, 0x3fb8aa3b, v77
	v_exp_f32_e32 v72, v72
	s_delay_alu instid0(VALU_DEP_3) | instskip(NEXT) | instid1(VALU_DEP_2)
	v_exp_f32_e32 v74, v74
	v_mul_f32_e32 v82, 0x3fb8aa3b, v80
	s_delay_alu instid0(VALU_DEP_2) | instskip(SKIP_1) | instid1(VALU_DEP_1)
	v_exp_f32_e32 v76, v76
	v_exp_f32_e32 v77, v77
	v_exp_f32_e32 v84, v82
	v_cndmask_b32_e32 v79, 0, v72, vcc_lo
	v_fma_f32 v72, s19, v132, -v71
	v_mul_f32_e32 v75, 0x3fb8aa3b, v75
	v_cndmask_b32_e64 v78, 0, v74, s3
	s_delay_alu instid0(TRANS32_DEP_3)
	v_cndmask_b32_e64 v80, 0, v76, s5
	v_add_f32_e32 v74, 0, v79
	v_mul_f32_e32 v72, 0x3fb8aa3b, v72
	v_exp_f32_e32 v75, v75
	v_cndmask_b32_e64 v83, 0, v77, s6
	v_cndmask_b32_e64 v85, 0, v84, s8
	v_add_f32_e32 v74, v74, v78
	v_exp_f32_e32 v72, v72
	s_mov_b32 s3, exec_lo
	s_waitcnt_depctr 0xfff
	v_cndmask_b32_e64 v81, 0, v75, s4
	v_cndmask_b32_e64 v82, 0, v72, s7
	s_delay_alu instid0(VALU_DEP_2) | instskip(NEXT) | instid1(VALU_DEP_1)
	v_add_f32_e32 v74, v74, v81
	v_add_f32_e32 v74, v74, v80
	s_delay_alu instid0(VALU_DEP_1) | instskip(SKIP_4) | instid1(VALU_DEP_4)
	v_add_f32_e32 v72, v74, v83
	v_fma_f32 v75, s19, v134, -v71
	v_fma_f32 v76, s19, v119, -v71
	;; [unrolled: 1-line block ×4, first 2 shown]
	v_dual_add_f32 v72, v72, v82 :: v_dual_mul_f32 v75, 0x3fb8aa3b, v75
	s_delay_alu instid0(VALU_DEP_3) | instskip(SKIP_1) | instid1(VALU_DEP_3)
	v_dual_mul_f32 v76, 0x3fb8aa3b, v76 :: v_dual_mul_f32 v77, 0x3fb8aa3b, v77
	v_fma_f32 v86, s19, v122, -v71
	v_add_f32_e32 v72, v72, v85
	s_delay_alu instid0(VALU_DEP_4) | instskip(NEXT) | instid1(VALU_DEP_3)
	v_exp_f32_e32 v75, v75
	v_exp_f32_e32 v76, v76
	;; [unrolled: 1-line block ×3, first 2 shown]
	v_mul_f32_e32 v86, 0x3fb8aa3b, v86
	s_delay_alu instid0(VALU_DEP_1) | instskip(SKIP_3) | instid1(TRANS32_DEP_3)
	v_exp_f32_e32 v88, v86
	v_cndmask_b32_e64 v84, 0, v75, s9
	v_fma_f32 v75, s19, v123, -v71
	v_mul_f32_e32 v74, 0x3fb8aa3b, v74
	v_cndmask_b32_e64 v87, 0, v76, s10
	v_fma_f32 v76, s19, v124, -v71
	s_delay_alu instid0(VALU_DEP_4) | instskip(NEXT) | instid1(VALU_DEP_4)
	v_dual_add_f32 v72, v72, v84 :: v_dual_mul_f32 v75, 0x3fb8aa3b, v75
	v_exp_f32_e32 v74, v74
	v_cndmask_b32_e64 v86, 0, v77, s11
	v_fma_f32 v77, s19, v125, -v71
	s_delay_alu instid0(VALU_DEP_3) | instskip(SKIP_3) | instid1(VALU_DEP_3)
	v_add_f32_e32 v72, v72, v87
	v_mul_f32_e32 v76, 0x3fb8aa3b, v76
	v_exp_f32_e32 v75, v75
	v_cndmask_b32_e64 v88, 0, v88, s13
	v_add_f32_e32 v72, v72, v86
	s_delay_alu instid0(VALU_DEP_3) | instskip(NEXT) | instid1(TRANS32_DEP_3)
	v_exp_f32_e32 v76, v76
	v_cndmask_b32_e64 v89, 0, v74, s12
	v_mul_f32_e32 v74, 0x3fb8aa3b, v77
	v_fma_f32 v77, s19, v126, -v71
	s_delay_alu instid0(VALU_DEP_3) | instskip(NEXT) | instid1(VALU_DEP_3)
	v_add_f32_e32 v72, v72, v89
	v_exp_f32_e32 v74, v74
	s_delay_alu instid0(TRANS32_DEP_3) | instskip(NEXT) | instid1(VALU_DEP_3)
	v_cndmask_b32_e64 v91, 0, v75, s15
	v_mul_f32_e32 v75, 0x3fb8aa3b, v77
	s_delay_alu instid0(TRANS32_DEP_2) | instskip(SKIP_1) | instid1(VALU_DEP_3)
	v_cndmask_b32_e64 v90, 0, v76, s16
	v_add_f32_e32 v72, v72, v88
	v_exp_f32_e32 v75, v75
	s_delay_alu instid0(VALU_DEP_1) | instskip(NEXT) | instid1(TRANS32_DEP_2)
	v_add_f32_e32 v72, v72, v91
	v_cndmask_b32_e64 v93, 0, v74, s17
	s_delay_alu instid0(VALU_DEP_2) | instskip(SKIP_3) | instid1(VALU_DEP_1)
	v_add_f32_e32 v72, v72, v90
	s_waitcnt_depctr 0xfff
	v_cndmask_b32_e64 v92, 0, v75, s18
	v_add_f32_e32 v72, v72, v93
	v_add_f32_e32 v72, v72, v92
	ds_bpermute_b32 v73, v73, v72
	v_cmpx_gt_u32_e32 16, v70
	s_cbranch_execz .LBB859_12
; %bb.11:
	v_mul_u32_u24_e32 v70, 0x44, v69
	s_waitcnt lgkmcnt(0)
	v_add_f32_e32 v72, v72, v73
	s_delay_alu instid0(VALU_DEP_2) | instskip(NEXT) | instid1(VALU_DEP_1)
	v_lshl_add_u32 v70, v68, 2, v70
	v_add_nc_u32_e32 v70, 0x4000, v70
	ds_store_2addr_b32 v70, v71, v72 offset1:136
.LBB859_12:
	s_or_b32 exec_lo, exec_lo, s3
	v_lshlrev_b32_e32 v70, 2, v68
	s_load_b32 s35, s[0:1], 0x94
	s_waitcnt lgkmcnt(0)
	s_barrier
	buffer_gl0_inv
	v_add_nc_u32_e32 v98, 0x4000, v70
	v_cmp_eq_u32_e32 vcc_lo, 1, v69
	v_cmp_eq_u32_e64 s3, 2, v69
	v_cmp_eq_u32_e64 s4, 3, v69
	v_cmp_eq_u32_e64 s5, 4, v69
	ds_load_2addr_b32 v[70:71], v98 offset1:17
	ds_load_2addr_b32 v[72:73], v98 offset0:34 offset1:51
	ds_load_2addr_b32 v[74:75], v98 offset0:68 offset1:85
	;; [unrolled: 1-line block ×3, first 2 shown]
	v_cmp_eq_u32_e64 s6, 5, v69
	v_cmp_eq_u32_e64 s7, 7, v69
	s_waitcnt lgkmcnt(3)
	v_max3_f32 v76, v70, 0xff7fffff, v71
	s_waitcnt lgkmcnt(2)
	s_delay_alu instid0(VALU_DEP_1) | instskip(SKIP_1) | instid1(VALU_DEP_1)
	v_max3_f32 v76, v76, v72, v73
	s_waitcnt lgkmcnt(1)
	v_max3_f32 v76, v76, v74, v75
	s_waitcnt lgkmcnt(0)
	s_delay_alu instid0(VALU_DEP_1) | instskip(NEXT) | instid1(VALU_DEP_1)
	v_max3_f32 v76, v76, v94, v95
	v_sub_f32_e32 v77, v71, v76
	ds_load_2addr_b32 v[96:97], v98 offset0:136 offset1:153
	v_sub_f32_e32 v74, v74, v76
	v_sub_f32_e32 v70, v70, v76
	v_sub_f32_e32 v94, v94, v76
	v_dual_sub_f32 v72, v72, v76 :: v_dual_mul_f32 v77, 0x3fb8aa3b, v77
	s_delay_alu instid0(VALU_DEP_4) | instskip(NEXT) | instid1(VALU_DEP_4)
	v_mul_f32_e32 v103, 0x3fb8aa3b, v74
	v_mul_f32_e32 v99, 0x3fb8aa3b, v70
	ds_load_2addr_b32 v[70:71], v98 offset0:170 offset1:187
	v_dual_mul_f32 v101, 0x3fb8aa3b, v72 :: v_dual_mul_f32 v94, 0x3fb8aa3b, v94
	v_exp_f32_e32 v102, v77
	v_exp_f32_e32 v99, v99
	s_delay_alu instid0(VALU_DEP_1) | instskip(NEXT) | instid1(VALU_DEP_1)
	v_exp_f32_e32 v101, v101
	v_exp_f32_e32 v94, v94
	s_waitcnt lgkmcnt(1)
	s_delay_alu instid0(TRANS32_DEP_3)
	v_fma_f32 v77, v99, v96, 0
	v_sub_f32_e32 v100, v73, v76
	ds_load_2addr_b32 v[72:73], v98 offset0:204 offset1:221
	v_fmac_f32_e32 v77, v102, v97
	v_exp_f32_e32 v97, v103
	s_waitcnt lgkmcnt(1)
	s_delay_alu instid0(VALU_DEP_1)
	v_dual_fmac_f32 v77, v101, v70 :: v_dual_sub_f32 v96, v75, v76
	ds_load_2addr_b32 v[74:75], v98 offset0:238 offset1:255
	v_sub_f32_e32 v70, v95, v76
	s_waitcnt lgkmcnt(0)
	s_barrier
	v_mul_f32_e32 v96, 0x3fb8aa3b, v96
	buffer_gl0_inv
	v_exp_f32_e32 v95, v96
	v_mul_f32_e32 v100, 0x3fb8aa3b, v100
	s_delay_alu instid0(VALU_DEP_1) | instskip(SKIP_3) | instid1(VALU_DEP_2)
	v_exp_f32_e32 v100, v100
	s_waitcnt_depctr 0xfff
	v_dual_fmac_f32 v77, v100, v71 :: v_dual_mul_f32 v70, 0x3fb8aa3b, v70
	v_cndmask_b32_e32 v71, v99, v102, vcc_lo
	v_fmac_f32_e32 v77, v97, v72
	s_delay_alu instid0(VALU_DEP_3) | instskip(NEXT) | instid1(VALU_DEP_1)
	v_exp_f32_e32 v96, v70
	v_fmac_f32_e32 v77, v95, v73
	s_delay_alu instid0(VALU_DEP_1) | instskip(SKIP_2) | instid1(VALU_DEP_1)
	v_fmac_f32_e32 v77, v94, v74
	s_waitcnt_depctr 0xfff
	v_fmac_f32_e32 v77, v96, v75
	v_add_f32_e32 v74, 0x358637bd, v77
	s_delay_alu instid0(VALU_DEP_1) | instskip(SKIP_1) | instid1(VALU_DEP_2)
	v_div_scale_f32 v98, null, v74, v74, 1.0
	v_div_scale_f32 v99, vcc_lo, 1.0, v74, 1.0
	v_rcp_f32_e32 v103, v98
	s_waitcnt_depctr 0xfff
	v_fma_f32 v70, -v98, v103, 1.0
	s_delay_alu instid0(VALU_DEP_1) | instskip(SKIP_2) | instid1(VALU_DEP_2)
	v_fmac_f32_e32 v103, v70, v103
	v_cndmask_b32_e64 v70, v71, v101, s3
	v_cmp_eq_u32_e64 s3, 6, v69
	v_cndmask_b32_e64 v71, v70, v100, s4
	s_delay_alu instid0(VALU_DEP_4) | instskip(NEXT) | instid1(VALU_DEP_2)
	v_dual_mul_f32 v101, v99, v103 :: v_dual_lshlrev_b32 v70, 2, v66
	v_cndmask_b32_e64 v71, v71, v97, s5
	s_delay_alu instid0(VALU_DEP_2) | instskip(NEXT) | instid1(VALU_DEP_3)
	v_or_b32_e32 v72, 1, v70
	v_fma_f32 v100, -v98, v101, v99
	v_cmp_eq_u32_e64 s4, 1, v70
	v_cmp_eq_u32_e64 s5, 2, v70
	v_cndmask_b32_e64 v95, v71, v95, s6
	v_or_b32_e32 v71, 3, v70
	v_fmac_f32_e32 v101, v100, v103
	v_cmp_eq_u32_e64 s9, 1, v72
	v_cmp_eq_u32_e64 s12, 2, v72
	v_cndmask_b32_e64 v94, v95, v94, s3
	v_cmp_eq_u32_e64 s11, 1, v71
	v_fma_f32 v97, -v98, v101, v99
	v_cmp_eq_u32_e64 s16, 2, v71
	v_cmp_eq_u32_e64 s13, 3, v72
	v_cndmask_b32_e64 v94, v94, v96, s7
	v_cmp_eq_u32_e64 s18, 3, v71
	v_div_fmas_f32 v95, v97, v103, v101
	v_cmp_eq_u32_e32 vcc_lo, 3, v70
	v_cmp_eq_u32_e64 s3, 4, v70
	v_cmp_eq_u32_e64 s19, 4, v72
	;; [unrolled: 1-line block ×3, first 2 shown]
	v_div_fixup_f32 v95, v95, v74, 1.0
	v_lshlrev_b32_e32 v73, 6, v68
	v_cmp_eq_u32_e64 s6, 5, v70
	v_cmp_eq_u32_e64 s20, 5, v72
	;; [unrolled: 1-line block ×3, first 2 shown]
	v_mul_f32_e32 v102, v94, v95
	v_lshl_or_b32 v75, v69, 11, v73
	v_or_b32_e32 v69, 2, v70
	v_cmp_eq_u32_e64 s25, 6, v72
	v_cmp_eq_u32_e64 s27, 6, v71
	v_fma_mixlo_f16 v94, v102, v79, 0
	v_fma_mixlo_f16 v95, v102, v81, 0
	;; [unrolled: 1-line block ×8, first 2 shown]
	v_lshl_or_b32 v74, v66, 4, v75
	v_fma_mixhi_f16 v94, v102, v78, 0
	v_fma_mixhi_f16 v95, v102, v80, 0
	;; [unrolled: 1-line block ×8, first 2 shown]
	ds_store_b128 v74, v[94:97]
	ds_store_b128 v74, v[98:101] offset:1024
	s_waitcnt lgkmcnt(0)
	s_barrier
	buffer_gl0_inv
	ds_load_b128 v[78:81], v75
	ds_load_b128 v[82:85], v75 offset:16
	ds_load_b128 v[86:89], v75 offset:1024
	;; [unrolled: 1-line block ×3, first 2 shown]
	v_cmp_eq_u32_e64 s10, 1, v69
	v_cmp_eq_u32_e64 s15, 2, v69
	v_cmp_eq_u32_e64 s17, 3, v69
	v_cmp_eq_u32_e64 s21, 4, v69
	v_cmp_eq_u32_e64 s23, 5, v69
	v_cmp_eq_u32_e64 s7, 6, v70
	v_cmp_eq_u32_e64 s26, 6, v69
	v_cmp_eq_u32_e64 s29, 7, v71
	v_cmp_eq_u32_e64 s30, 7, v72
	v_cmp_eq_u32_e64 s8, 7, v70
	v_cmp_eq_u32_e64 s28, 7, v69
	s_waitcnt lgkmcnt(3)
	v_lshrrev_b32_e32 v94, 16, v78
	s_waitcnt lgkmcnt(2)
	v_lshrrev_b32_e32 v98, 16, v82
	s_waitcnt lgkmcnt(1)
	v_lshrrev_b32_e32 v102, 16, v86
	s_waitcnt lgkmcnt(0)
	v_lshrrev_b32_e32 v106, 16, v90
	v_lshrrev_b32_e32 v95, 16, v79
	v_cndmask_b32_e64 v110, v78, v94, s4
	v_cndmask_b32_e64 v111, v82, v98, s4
	v_cndmask_b32_e64 v112, v78, v94, s9
	v_cndmask_b32_e64 v113, v82, v98, s9
	v_cndmask_b32_e64 v114, v78, v94, s10
	v_cndmask_b32_e64 v115, v82, v98, s10
	v_cndmask_b32_e64 v78, v78, v94, s11
	v_cndmask_b32_e64 v82, v82, v98, s11
	v_lshrrev_b32_e32 v99, 16, v83
	v_cndmask_b32_e64 v94, v86, v102, s4
	v_cndmask_b32_e64 v98, v90, v106, s4
	;; [unrolled: 1-line block ×15, first 2 shown]
	v_lshrrev_b32_e32 v103, 16, v87
	v_lshrrev_b32_e32 v107, 16, v91
	v_cndmask_b32_e64 v113, v115, v83, s15
	v_cndmask_b32_e64 v82, v94, v87, s5
	;; [unrolled: 1-line block ×7, first 2 shown]
	v_cndmask_b32_e32 v90, v102, v95, vcc_lo
	v_cndmask_b32_e32 v102, v106, v99, vcc_lo
	v_cndmask_b32_e64 v106, v110, v95, s13
	v_cndmask_b32_e64 v110, v111, v99, s13
	;; [unrolled: 1-line block ×4, first 2 shown]
	v_lshrrev_b32_e32 v96, 16, v80
	v_lshrrev_b32_e32 v100, 16, v84
	v_cndmask_b32_e64 v111, v112, v95, s17
	v_cndmask_b32_e64 v112, v113, v99, s17
	v_cndmask_b32_e32 v82, v82, v103, vcc_lo
	v_cndmask_b32_e32 v83, v83, v107, vcc_lo
	v_cndmask_b32_e64 v94, v94, v103, s13
	v_cndmask_b32_e64 v90, v90, v80, s3
	;; [unrolled: 1-line block ×7, first 2 shown]
	v_lshrrev_b32_e32 v104, 16, v88
	v_cndmask_b32_e64 v106, v111, v80, s21
	v_cndmask_b32_e64 v110, v112, v84, s21
	;; [unrolled: 1-line block ×11, first 2 shown]
	v_lshrrev_b32_e32 v97, 16, v81
	v_lshrrev_b32_e32 v101, 16, v85
	v_cndmask_b32_e64 v99, v106, v96, s23
	v_cndmask_b32_e64 v102, v110, v100, s23
	v_cndmask_b32_e64 v83, v83, v104, s20
	v_cndmask_b32_e64 v94, v94, v81, s25
	v_cndmask_b32_e64 v95, v95, v85, s25
	v_cndmask_b32_e64 v78, v78, v81, s27
	v_cndmask_b32_e64 v79, v79, v85, s27
	v_lshrrev_b32_e32 v105, 16, v89
	v_cndmask_b32_e64 v80, v80, v104, s6
	v_cndmask_b32_e64 v84, v84, v81, s7
	;; [unrolled: 1-line block ×16, first 2 shown]
	v_perm_b32 v81, v79, v78, 0x5040100
	v_perm_b32 v79, v95, v85, 0x5040100
	v_cndmask_b32_e64 v78, v119, v91, s15
	v_cndmask_b32_e64 v85, v117, v91, s12
	;; [unrolled: 1-line block ×3, first 2 shown]
	v_perm_b32 v80, v94, v90, 0x5040100
	v_cndmask_b32_e64 v90, v98, v103, s17
	v_cndmask_b32_e64 v86, v86, v103, s18
	;; [unrolled: 1-line block ×5, first 2 shown]
	v_lshrrev_b32_e32 v108, 16, v92
	v_cndmask_b32_e64 v90, v90, v88, s21
	v_cndmask_b32_e64 v86, v86, v88, s22
	;; [unrolled: 1-line block ×11, first 2 shown]
	v_lshrrev_b32_e32 v109, 16, v93
	v_cndmask_b32_e64 v82, v82, v93, s7
	v_cndmask_b32_e64 v88, v88, v89, s26
	;; [unrolled: 1-line block ×12, first 2 shown]
	v_perm_b32 v78, v84, v83, 0x5040100
	v_perm_b32 v85, v87, v86, 0x5040100
	;; [unrolled: 1-line block ×5, first 2 shown]
	s_mul_i32 s8, s33, 10
	s_mov_b32 s3, exec_lo
	ds_store_b128 v74, v[78:81]
	ds_store_b128 v74, v[82:85] offset:1024
	v_cmpx_gt_u32_e32 10, v0
	s_cbranch_execz .LBB859_14
; %bb.13:
	s_mul_i32 s4, s8, s34
	s_delay_alu instid0(SALU_CYCLE_1) | instskip(SKIP_1) | instid1(VALU_DEP_1)
	v_add3_u32 v68, s4, s31, v68
	s_load_b128 s[4:7], s[0:1], 0x58
	v_mad_u64_u32 v[78:79], null, v68, s35, s[14:15]
	s_delay_alu instid0(VALU_DEP_1) | instskip(NEXT) | instid1(VALU_DEP_1)
	v_ashrrev_i32_e32 v79, 31, v78
	v_lshlrev_b64 v[78:79], 2, v[78:79]
	s_waitcnt lgkmcnt(0)
	s_delay_alu instid0(VALU_DEP_1) | instskip(NEXT) | instid1(VALU_DEP_2)
	v_add_co_u32 v80, vcc_lo, s6, v78
	v_add_co_ci_u32_e32 v81, vcc_lo, s7, v79, vcc_lo
	v_add_co_u32 v78, vcc_lo, s4, v78
	v_add_co_ci_u32_e32 v79, vcc_lo, s5, v79, vcc_lo
	global_store_b32 v[80:81], v76, off
	global_store_b32 v[78:79], v77, off
.LBB859_14:
	s_or_b32 exec_lo, exec_lo, s3
	s_waitcnt lgkmcnt(0)
	s_waitcnt_vscnt null, 0x0
	s_barrier
	buffer_gl0_inv
	ds_load_b128 v[84:87], v73
	ds_load_b128 v[88:91], v73 offset:16
	ds_load_b128 v[96:99], v73 offset:2064
	;; [unrolled: 1-line block ×5, first 2 shown]
	v_cmp_eq_u32_e32 vcc_lo, 1, v70
	v_mov_b32_e32 v76, 0
	ds_load_b128 v[112:115], v73 offset:6160
	ds_load_b128 v[108:111], v73 offset:6144
	;; [unrolled: 1-line block ×4, first 2 shown]
	v_cmp_eq_u32_e64 s4, 1, v69
	v_cmp_eq_u32_e64 s3, 1, v72
	;; [unrolled: 1-line block ×3, first 2 shown]
	v_mov_b32_e32 v77, v76
	v_mov_b32_e32 v78, v76
	;; [unrolled: 1-line block ×7, first 2 shown]
	v_cmp_eq_u32_e64 s6, 3, v72
	v_cmp_eq_u32_e64 s7, 7, v72
	s_waitcnt lgkmcnt(8)
	s_delay_alu instid0(VALU_DEP_3)
	v_wmma_f32_16x16x16_f16 v[76:83], v[49:56], v[84:91], v[76:83]
	ds_load_b128 v[53:56], v73 offset:10256
	ds_load_b128 v[49:52], v73 offset:10240
	s_waitcnt lgkmcnt(8)
	v_wmma_f32_16x16x16_f16 v[76:83], v[41:48], v[92:99], v[76:83]
	ds_load_b128 v[45:48], v73 offset:12304
	ds_load_b128 v[41:44], v73 offset:12288
	s_waitcnt lgkmcnt(8)
	;; [unrolled: 4-line block ×3, first 2 shown]
	s_barrier
	buffer_gl0_inv
	v_wmma_f32_16x16x16_f16 v[76:83], v[1:8], v[108:115], v[76:83]
	s_delay_alu instid0(VALU_DEP_1) | instskip(NEXT) | instid1(VALU_DEP_1)
	v_wmma_f32_16x16x16_f16 v[76:83], v[9:16], v[116:123], v[76:83]
	v_wmma_f32_16x16x16_f16 v[76:83], v[17:24], v[49:56], v[76:83]
	s_delay_alu instid0(VALU_DEP_1) | instskip(NEXT) | instid1(VALU_DEP_1)
	v_wmma_f32_16x16x16_f16 v[76:83], v[25:32], v[41:48], v[76:83]
	v_wmma_f32_16x16x16_f16 v[76:83], v[57:64], v[33:40], v[76:83]
	s_delay_alu instid0(VALU_DEP_1) | instskip(NEXT) | instid1(VALU_DEP_2)
	v_cvt_f16_f32_e32 v1, v76
	v_cvt_f16_f32_e32 v2, v77
	s_delay_alu instid0(VALU_DEP_3) | instskip(NEXT) | instid1(VALU_DEP_4)
	v_cvt_f16_f32_e32 v3, v78
	v_cvt_f16_f32_e32 v4, v79
	;; [unrolled: 1-line block ×6, first 2 shown]
	v_pack_b32_f16 v1, v1, v2
	v_pack_b32_f16 v2, v3, v4
	;; [unrolled: 1-line block ×3, first 2 shown]
	s_delay_alu instid0(VALU_DEP_4)
	v_pack_b32_f16 v4, v7, v8
	ds_store_b128 v74, v[1:4]
	s_waitcnt lgkmcnt(0)
	s_barrier
	buffer_gl0_inv
	ds_load_b128 v[1:4], v75
	ds_load_b128 v[5:8], v75 offset:16
	s_waitcnt lgkmcnt(1)
	v_lshrrev_b32_e32 v9, 16, v1
	s_waitcnt lgkmcnt(0)
	v_lshrrev_b32_e32 v13, 16, v5
	v_lshrrev_b32_e32 v10, 16, v2
	;; [unrolled: 1-line block ×4, first 2 shown]
	v_cndmask_b32_e32 v17, v1, v9, vcc_lo
	v_cndmask_b32_e32 v18, v5, v13, vcc_lo
	v_cndmask_b32_e64 v21, v1, v9, s4
	v_cmp_eq_u32_e32 vcc_lo, 1, v71
	v_cndmask_b32_e64 v22, v5, v13, s4
	v_cmp_eq_u32_e64 s4, 2, v70
	v_cndmask_b32_e64 v19, v1, v9, s3
	v_cndmask_b32_e64 v20, v5, v13, s3
	v_cndmask_b32_e32 v1, v1, v9, vcc_lo
	v_cmp_eq_u32_e64 s3, 2, v71
	v_cndmask_b32_e32 v5, v5, v13, vcc_lo
	v_cndmask_b32_e64 v9, v17, v2, s4
	v_cmp_eq_u32_e32 vcc_lo, 3, v70
	v_cndmask_b32_e64 v13, v18, v6, s4
	v_cmp_eq_u32_e64 s4, 2, v69
	v_cndmask_b32_e64 v17, v19, v2, s5
	v_cndmask_b32_e64 v18, v20, v6, s5
	v_cmp_eq_u32_e64 s5, 3, v69
	v_cndmask_b32_e64 v1, v1, v2, s3
	v_cndmask_b32_e64 v19, v21, v2, s4
	;; [unrolled: 1-line block ×4, first 2 shown]
	v_cndmask_b32_e32 v5, v9, v10, vcc_lo
	v_cndmask_b32_e32 v6, v13, v14, vcc_lo
	v_cmp_eq_u32_e32 vcc_lo, 3, v71
	v_cndmask_b32_e64 v9, v17, v10, s6
	v_cndmask_b32_e64 v13, v18, v14, s6
	;; [unrolled: 1-line block ×3, first 2 shown]
	v_cmp_eq_u32_e64 s4, 4, v70
	v_cndmask_b32_e32 v1, v1, v10, vcc_lo
	v_cndmask_b32_e32 v2, v2, v14, vcc_lo
	v_cmp_eq_u32_e32 vcc_lo, 4, v72
	v_lshrrev_b32_e32 v15, 16, v7
	v_lshrrev_b32_e32 v16, 16, v8
	v_cndmask_b32_e64 v17, v19, v10, s5
	v_cmp_eq_u32_e64 s3, 4, v71
	v_cndmask_b32_e64 v5, v5, v3, s4
	v_cndmask_b32_e64 v6, v6, v7, s4
	v_cndmask_b32_e32 v9, v9, v3, vcc_lo
	v_cmp_eq_u32_e64 s4, 5, v72
	v_cndmask_b32_e32 v10, v13, v7, vcc_lo
	v_cmp_eq_u32_e32 vcc_lo, 4, v69
	v_cmp_eq_u32_e64 s5, 5, v70
	v_cndmask_b32_e64 v2, v2, v7, s3
	v_cndmask_b32_e64 v9, v9, v11, s4
	;; [unrolled: 1-line block ×3, first 2 shown]
	v_cndmask_b32_e32 v13, v17, v3, vcc_lo
	v_cmp_eq_u32_e64 s4, 5, v69
	v_cndmask_b32_e32 v14, v18, v7, vcc_lo
	v_cndmask_b32_e64 v1, v1, v3, s3
	v_cmp_eq_u32_e32 vcc_lo, 5, v71
	v_lshrrev_b32_e32 v12, 16, v4
	v_cndmask_b32_e64 v13, v13, v11, s4
	v_cndmask_b32_e64 v3, v14, v15, s4
	v_cmp_eq_u32_e64 s4, 6, v71
	v_cndmask_b32_e32 v1, v1, v11, vcc_lo
	v_cndmask_b32_e64 v5, v5, v11, s5
	v_cmp_eq_u32_e64 s6, 6, v70
	v_cndmask_b32_e64 v6, v6, v15, s5
	v_cmp_eq_u32_e64 s5, 6, v72
	v_cmp_eq_u32_e64 s3, 6, v69
	v_cndmask_b32_e64 v1, v1, v4, s4
	v_cndmask_b32_e32 v2, v2, v15, vcc_lo
	v_cmp_eq_u32_e32 vcc_lo, 7, v71
	v_cndmask_b32_e64 v5, v5, v4, s6
	v_cndmask_b32_e64 v9, v9, v4, s5
	;; [unrolled: 1-line block ×3, first 2 shown]
	v_cmp_eq_u32_e64 s6, 7, v70
	v_cndmask_b32_e32 v1, v1, v12, vcc_lo
	v_cndmask_b32_e64 v7, v13, v4, s3
	v_cndmask_b32_e64 v3, v3, v8, s3
	v_cndmask_b32_e64 v2, v2, v8, s4
	v_cmp_eq_u32_e64 s3, 7, v69
	v_cndmask_b32_e64 v4, v10, v8, s5
	v_cndmask_b32_e64 v5, v5, v12, s6
	v_cndmask_b32_e64 v9, v9, v12, s7
	v_cndmask_b32_e32 v2, v2, v16, vcc_lo
	v_cndmask_b32_e64 v7, v7, v12, s3
	v_cndmask_b32_e64 v3, v3, v16, s3
	;; [unrolled: 1-line block ×4, first 2 shown]
	v_cmp_gt_u32_e32 vcc_lo, 32, v0
	v_perm_b32 v4, v2, v1, 0x5040100
	v_perm_b32 v3, v3, v7, 0x5040100
	v_perm_b32 v2, v8, v9, 0x5040100
	v_perm_b32 v1, v6, v5, 0x5040100
	s_and_b32 s2, vcc_lo, s2
	ds_store_b128 v74, v[1:4]
	s_waitcnt lgkmcnt(0)
	s_barrier
	buffer_gl0_inv
	s_and_saveexec_b32 s3, s2
	s_cbranch_execz .LBB859_2
; %bb.15:
	s_load_b64 s[0:1], s[0:1], 0x68
	s_lshl_b32 s4, s35, 6
	v_or_b32_e32 v2, s31, v66
	s_mul_i32 s2, s4, s34
	v_lshlrev_b32_e32 v0, 10, v0
	s_mul_i32 s2, s2, s8
	v_lshlrev_b32_e32 v1, 4, v67
	s_ashr_i32 s3, s2, 31
	v_mul_lo_u32 v20, v2, s4
	s_lshl_b64 s[2:3], s[2:3], 1
	v_lshlrev_b32_e32 v3, 6, v66
	v_and_b32_e32 v0, 0x3800, v0
	s_delay_alu instid0(VALU_DEP_1) | instskip(NEXT) | instid1(VALU_DEP_4)
	v_or3_b32 v16, v0, v1, v3
	v_ashrrev_i32_e32 v21, 31, v20
	ds_load_b128 v[0:3], v16
	ds_load_b128 v[4:7], v16 offset:128
	s_waitcnt lgkmcnt(0)
	s_add_u32 s2, s0, s2
	s_addc_u32 s3, s1, s3
	s_lshl_b32 s0, s14, 6
	ds_load_b128 v[8:11], v16 offset:256
	ds_load_b128 v[12:15], v16 offset:384
	;; [unrolled: 1-line block ×3, first 2 shown]
	s_ashr_i32 s1, s0, 31
	s_delay_alu instid0(SALU_CYCLE_1) | instskip(NEXT) | instid1(SALU_CYCLE_1)
	s_lshl_b64 s[0:1], s[0:1], 1
	s_add_u32 s0, s2, s0
	s_addc_u32 s1, s3, s1
	s_lshl_b32 s2, s35, 7
	v_add_co_u32 v30, s0, s0, v65
	v_add_nc_u32_e32 v22, s2, v20
	v_lshlrev_b64 v[20:21], 1, v[20:21]
	v_add_co_ci_u32_e64 v31, null, s1, 0, s0
	s_delay_alu instid0(VALU_DEP_3) | instskip(SKIP_1) | instid1(VALU_DEP_4)
	v_add_nc_u32_e32 v24, s2, v22
	v_ashrrev_i32_e32 v23, 31, v22
	v_add_co_u32 v20, vcc_lo, v30, v20
	s_delay_alu instid0(VALU_DEP_4) | instskip(NEXT) | instid1(VALU_DEP_4)
	v_add_co_ci_u32_e32 v21, vcc_lo, v31, v21, vcc_lo
	v_add_nc_u32_e32 v26, s2, v24
	v_ashrrev_i32_e32 v25, 31, v24
	v_lshlrev_b64 v[22:23], 1, v[22:23]
	s_delay_alu instid0(VALU_DEP_3) | instskip(SKIP_1) | instid1(VALU_DEP_4)
	v_add_nc_u32_e32 v28, s2, v26
	v_ashrrev_i32_e32 v27, 31, v26
	v_lshlrev_b64 v[24:25], 1, v[24:25]
	s_delay_alu instid0(VALU_DEP_4) | instskip(NEXT) | instid1(VALU_DEP_4)
	v_add_co_u32 v22, vcc_lo, v30, v22
	v_ashrrev_i32_e32 v29, 31, v28
	s_delay_alu instid0(VALU_DEP_4) | instskip(SKIP_2) | instid1(VALU_DEP_4)
	v_lshlrev_b64 v[26:27], 1, v[26:27]
	v_add_co_ci_u32_e32 v23, vcc_lo, v31, v23, vcc_lo
	v_add_co_u32 v24, vcc_lo, v30, v24
	v_lshlrev_b64 v[28:29], 1, v[28:29]
	v_add_co_ci_u32_e32 v25, vcc_lo, v31, v25, vcc_lo
	v_add_co_u32 v26, vcc_lo, v30, v26
	v_add_co_ci_u32_e32 v27, vcc_lo, v31, v27, vcc_lo
	s_delay_alu instid0(VALU_DEP_4)
	v_add_co_u32 v28, vcc_lo, v30, v28
	v_add_co_ci_u32_e32 v29, vcc_lo, v31, v29, vcc_lo
	s_clause 0x1
	global_store_b128 v[20:21], v[0:3], off
	global_store_b128 v[22:23], v[4:7], off
	s_waitcnt lgkmcnt(2)
	global_store_b128 v[24:25], v[8:11], off
	s_waitcnt lgkmcnt(1)
	;; [unrolled: 2-line block ×3, first 2 shown]
	global_store_b128 v[28:29], v[16:19], off
	s_nop 0
	s_sendmsg sendmsg(MSG_DEALLOC_VGPRS)
	s_endpgm
	.section	.rodata,"a",@progbits
	.p2align	6, 0x0
	.amdhsa_kernel _Z39paged_attention_ll4mi_QKV_mfma16_kernelIDF16_hLN4vllm18Fp8KVCacheDataTypeE1EhLi32ELi64ELi256ELb1ELi10EL8MFMAType1EEvPKT_PKT0_S8_ifPKiSA_SA_iPKfiiiPfSD_PS3_PT2_iSC_SC_
		.amdhsa_group_segment_fixed_size 17472
		.amdhsa_private_segment_fixed_size 0
		.amdhsa_kernarg_size 400
		.amdhsa_user_sgpr_count 13
		.amdhsa_user_sgpr_dispatch_ptr 0
		.amdhsa_user_sgpr_queue_ptr 0
		.amdhsa_user_sgpr_kernarg_segment_ptr 1
		.amdhsa_user_sgpr_dispatch_id 0
		.amdhsa_user_sgpr_private_segment_size 0
		.amdhsa_wavefront_size32 1
		.amdhsa_uses_dynamic_stack 0
		.amdhsa_enable_private_segment 0
		.amdhsa_system_sgpr_workgroup_id_x 1
		.amdhsa_system_sgpr_workgroup_id_y 1
		.amdhsa_system_sgpr_workgroup_id_z 1
		.amdhsa_system_sgpr_workgroup_info 0
		.amdhsa_system_vgpr_workitem_id 0
		.amdhsa_next_free_vgpr 146
		.amdhsa_next_free_sgpr 38
		.amdhsa_reserve_vcc 1
		.amdhsa_float_round_mode_32 0
		.amdhsa_float_round_mode_16_64 0
		.amdhsa_float_denorm_mode_32 3
		.amdhsa_float_denorm_mode_16_64 3
		.amdhsa_dx10_clamp 1
		.amdhsa_ieee_mode 1
		.amdhsa_fp16_overflow 0
		.amdhsa_workgroup_processor_mode 1
		.amdhsa_memory_ordered 1
		.amdhsa_forward_progress 0
		.amdhsa_shared_vgpr_count 0
		.amdhsa_exception_fp_ieee_invalid_op 0
		.amdhsa_exception_fp_denorm_src 0
		.amdhsa_exception_fp_ieee_div_zero 0
		.amdhsa_exception_fp_ieee_overflow 0
		.amdhsa_exception_fp_ieee_underflow 0
		.amdhsa_exception_fp_ieee_inexact 0
		.amdhsa_exception_int_div_zero 0
	.end_amdhsa_kernel
	.section	.text._Z39paged_attention_ll4mi_QKV_mfma16_kernelIDF16_hLN4vllm18Fp8KVCacheDataTypeE1EhLi32ELi64ELi256ELb1ELi10EL8MFMAType1EEvPKT_PKT0_S8_ifPKiSA_SA_iPKfiiiPfSD_PS3_PT2_iSC_SC_,"axG",@progbits,_Z39paged_attention_ll4mi_QKV_mfma16_kernelIDF16_hLN4vllm18Fp8KVCacheDataTypeE1EhLi32ELi64ELi256ELb1ELi10EL8MFMAType1EEvPKT_PKT0_S8_ifPKiSA_SA_iPKfiiiPfSD_PS3_PT2_iSC_SC_,comdat
.Lfunc_end859:
	.size	_Z39paged_attention_ll4mi_QKV_mfma16_kernelIDF16_hLN4vllm18Fp8KVCacheDataTypeE1EhLi32ELi64ELi256ELb1ELi10EL8MFMAType1EEvPKT_PKT0_S8_ifPKiSA_SA_iPKfiiiPfSD_PS3_PT2_iSC_SC_, .Lfunc_end859-_Z39paged_attention_ll4mi_QKV_mfma16_kernelIDF16_hLN4vllm18Fp8KVCacheDataTypeE1EhLi32ELi64ELi256ELb1ELi10EL8MFMAType1EEvPKT_PKT0_S8_ifPKiSA_SA_iPKfiiiPfSD_PS3_PT2_iSC_SC_
                                        ; -- End function
	.section	.AMDGPU.csdata,"",@progbits
; Kernel info:
; codeLenInByte = 6548
; NumSgprs: 40
; NumVgprs: 146
; ScratchSize: 0
; MemoryBound: 0
; FloatMode: 240
; IeeeMode: 1
; LDSByteSize: 17472 bytes/workgroup (compile time only)
; SGPRBlocks: 4
; VGPRBlocks: 18
; NumSGPRsForWavesPerEU: 40
; NumVGPRsForWavesPerEU: 146
; Occupancy: 9
; WaveLimiterHint : 1
; COMPUTE_PGM_RSRC2:SCRATCH_EN: 0
; COMPUTE_PGM_RSRC2:USER_SGPR: 13
; COMPUTE_PGM_RSRC2:TRAP_HANDLER: 0
; COMPUTE_PGM_RSRC2:TGID_X_EN: 1
; COMPUTE_PGM_RSRC2:TGID_Y_EN: 1
; COMPUTE_PGM_RSRC2:TGID_Z_EN: 1
; COMPUTE_PGM_RSRC2:TIDIG_COMP_CNT: 0
	.section	.text._Z39paged_attention_ll4mi_QKV_mfma16_kernelIDF16_hLN4vllm18Fp8KVCacheDataTypeE1EhLi32ELi64ELi256ELb1ELi11EL8MFMAType1EEvPKT_PKT0_S8_ifPKiSA_SA_iPKfiiiPfSD_PS3_PT2_iSC_SC_,"axG",@progbits,_Z39paged_attention_ll4mi_QKV_mfma16_kernelIDF16_hLN4vllm18Fp8KVCacheDataTypeE1EhLi32ELi64ELi256ELb1ELi11EL8MFMAType1EEvPKT_PKT0_S8_ifPKiSA_SA_iPKfiiiPfSD_PS3_PT2_iSC_SC_,comdat
	.protected	_Z39paged_attention_ll4mi_QKV_mfma16_kernelIDF16_hLN4vllm18Fp8KVCacheDataTypeE1EhLi32ELi64ELi256ELb1ELi11EL8MFMAType1EEvPKT_PKT0_S8_ifPKiSA_SA_iPKfiiiPfSD_PS3_PT2_iSC_SC_ ; -- Begin function _Z39paged_attention_ll4mi_QKV_mfma16_kernelIDF16_hLN4vllm18Fp8KVCacheDataTypeE1EhLi32ELi64ELi256ELb1ELi11EL8MFMAType1EEvPKT_PKT0_S8_ifPKiSA_SA_iPKfiiiPfSD_PS3_PT2_iSC_SC_
	.globl	_Z39paged_attention_ll4mi_QKV_mfma16_kernelIDF16_hLN4vllm18Fp8KVCacheDataTypeE1EhLi32ELi64ELi256ELb1ELi11EL8MFMAType1EEvPKT_PKT0_S8_ifPKiSA_SA_iPKfiiiPfSD_PS3_PT2_iSC_SC_
	.p2align	8
	.type	_Z39paged_attention_ll4mi_QKV_mfma16_kernelIDF16_hLN4vllm18Fp8KVCacheDataTypeE1EhLi32ELi64ELi256ELb1ELi11EL8MFMAType1EEvPKT_PKT0_S8_ifPKiSA_SA_iPKfiiiPfSD_PS3_PT2_iSC_SC_,@function
_Z39paged_attention_ll4mi_QKV_mfma16_kernelIDF16_hLN4vllm18Fp8KVCacheDataTypeE1EhLi32ELi64ELi256ELb1ELi11EL8MFMAType1EEvPKT_PKT0_S8_ifPKiSA_SA_iPKfiiiPfSD_PS3_PT2_iSC_SC_: ; @_Z39paged_attention_ll4mi_QKV_mfma16_kernelIDF16_hLN4vllm18Fp8KVCacheDataTypeE1EhLi32ELi64ELi256ELb1ELi11EL8MFMAType1EEvPKT_PKT0_S8_ifPKiSA_SA_iPKfiiiPfSD_PS3_PT2_iSC_SC_
; %bb.0:
	s_load_b64 s[2:3], s[0:1], 0x30
	s_mov_b32 s34, s13
	s_waitcnt lgkmcnt(0)
	s_cmp_lg_u64 s[2:3], 0
	s_cselect_b32 s6, -1, 0
	s_ashr_i32 s35, s13, 31
	s_cmp_eq_u64 s[2:3], 0
	s_cbranch_scc1 .LBB860_3
; %bb.1:
	s_lshl_b64 s[4:5], s[34:35], 2
	s_delay_alu instid0(SALU_CYCLE_1) | instskip(SKIP_4) | instid1(SALU_CYCLE_1)
	s_add_u32 s4, s2, s4
	s_addc_u32 s5, s3, s5
	s_load_b64 s[4:5], s[4:5], 0x0
	s_waitcnt lgkmcnt(0)
	s_sub_i32 s4, s5, s4
	s_cmp_eq_u32 s4, 1
	s_cselect_b32 s4, -1, 0
	s_delay_alu instid0(SALU_CYCLE_1)
	s_and_not1_b32 vcc_lo, exec_lo, s4
	s_cbranch_vccz .LBB860_4
.LBB860_2:
	s_nop 0
	s_sendmsg sendmsg(MSG_DEALLOC_VGPRS)
	s_endpgm
.LBB860_3:
.LBB860_4:
	s_load_b64 s[8:9], s[0:1], 0x28
	s_lshl_b64 s[4:5], s[34:35], 2
	s_waitcnt lgkmcnt(0)
	s_add_u32 s8, s8, s4
	s_addc_u32 s9, s9, s5
	s_lshl_b32 s16, s14, 8
	s_load_b32 s18, s[8:9], 0x0
	s_waitcnt lgkmcnt(0)
	s_cmp_ge_i32 s16, s18
	s_cbranch_scc1 .LBB860_2
; %bb.5:
	s_clause 0x1
	s_load_b128 s[8:11], s[0:1], 0x8
	s_load_b64 s[12:13], s[0:1], 0x20
	s_and_not1_b32 vcc_lo, exec_lo, s6
	s_cbranch_vccnz .LBB860_7
; %bb.6:
	s_add_u32 s2, s2, s4
	s_addc_u32 s3, s3, s5
	s_load_b32 s3, s[2:3], 0x0
	s_branch .LBB860_8
.LBB860_7:
	s_mov_b32 s3, s34
.LBB860_8:
	s_load_b128 s[4:7], s[0:1], 0x48
	v_lshrrev_b32_e32 v69, 5, v0
	v_bfe_u32 v66, v0, 4, 1
	v_and_b32_e32 v68, 15, v0
	v_and_b32_e32 v70, 31, v0
	;; [unrolled: 1-line block ×3, first 2 shown]
	s_mul_i32 s33, s15, 11
	v_lshl_or_b32 v1, v69, 1, v66
	v_lshlrev_b32_e32 v2, 3, v68
	v_cmp_gt_u32_e64 s2, 8, v68
	s_delay_alu instid0(VALU_DEP_3) | instskip(NEXT) | instid1(VALU_DEP_3)
	v_cmp_gt_u32_e32 vcc_lo, 11, v1
	v_lshlrev_b32_e32 v65, 1, v2
	s_delay_alu instid0(VALU_DEP_3)
	s_and_b32 s17, s2, vcc_lo
	s_waitcnt lgkmcnt(0)
	s_and_saveexec_b32 s7, s17
	s_cbranch_execz .LBB860_10
; %bb.9:
	s_load_b64 s[20:21], s[0:1], 0x0
	v_add_lshl_u32 v2, v1, s33, 6
	s_mul_hi_i32 s23, s3, s4
	s_mul_i32 s22, s3, s4
	v_lshlrev_b32_e32 v6, 10, v68
	s_lshl_b64 s[22:23], s[22:23], 1
	v_ashrrev_i32_e32 v3, 31, v2
	v_lshlrev_b32_e32 v1, 6, v1
	v_lshlrev_b32_e32 v7, 10, v67
	v_and_b32_e32 v6, 0x3800, v6
	s_delay_alu instid0(VALU_DEP_4) | instskip(NEXT) | instid1(VALU_DEP_2)
	v_lshlrev_b64 v[2:3], 1, v[2:3]
	v_or3_b32 v1, v6, v7, v1
	s_waitcnt lgkmcnt(0)
	s_add_u32 s3, s20, s22
	s_addc_u32 s4, s21, s23
	s_delay_alu instid0(VALU_DEP_2) | instskip(SKIP_1) | instid1(VALU_DEP_2)
	v_add_co_u32 v2, vcc_lo, s3, v2
	v_add_co_ci_u32_e32 v3, vcc_lo, s4, v3, vcc_lo
	v_add_co_u32 v2, vcc_lo, v2, v65
	s_delay_alu instid0(VALU_DEP_2)
	v_add_co_ci_u32_e32 v3, vcc_lo, 0, v3, vcc_lo
	global_load_b128 v[2:5], v[2:3], off
	s_waitcnt vmcnt(0)
	ds_store_b128 v1, v[2:5]
.LBB860_10:
	s_or_b32 exec_lo, exec_lo, s7
	v_and_b32_e32 v1, 0xef, v0
	s_add_i32 s3, s18, 31
	s_clause 0x1
	s_load_b32 s4, s[0:1], 0x38
	s_load_b32 s35, s[0:1], 0x98
	s_ashr_i32 s7, s3, 31
	v_add_nc_u32_e32 v1, s16, v1
	s_lshr_b32 s7, s7, 27
	s_load_b32 s19, s[0:1], 0x1c
	v_add_nc_u32_e32 v103, -11, v68
	s_add_i32 s3, s3, s7
	v_ashrrev_i32_e32 v2, 31, v1
	v_or_b32_e32 v3, 16, v1
	s_ashr_i32 s3, s3, 5
	v_cmp_gt_i32_e32 vcc_lo, s18, v1
	s_add_i32 s3, s3, -1
	v_lshrrev_b32_e32 v2, 27, v2
	s_waitcnt lgkmcnt(0)
	s_barrier
	buffer_gl0_inv
	s_mul_i32 s15, s15, s6
	v_add_nc_u32_e32 v4, v1, v2
	v_mbcnt_lo_u32_b32 v127, -1, 0
	s_mul_i32 s20, s34, s4
	s_delay_alu instid0(SALU_CYCLE_1) | instskip(NEXT) | instid1(VALU_DEP_2)
	s_ashr_i32 s21, s20, 31
	v_ashrrev_i32_e32 v4, 5, v4
	v_add_nc_u32_e32 v2, v3, v2
	s_lshl_b64 s[20:21], s[20:21], 2
	v_xor_b32_e32 v128, 16, v127
	s_add_u32 s17, s12, s20
	v_cndmask_b32_e32 v1, s3, v4, vcc_lo
	v_ashrrev_i32_e32 v2, 5, v2
	v_cmp_gt_i32_e32 vcc_lo, s18, v3
	s_addc_u32 s13, s13, s21
	s_ashr_i32 s20, s15, 31
	s_add_u32 s22, s8, s15
	s_addc_u32 s23, s9, s20
	v_cndmask_b32_e32 v3, s3, v2, vcc_lo
	v_ashrrev_i32_e32 v2, 31, v1
	s_lshl_b32 s6, s14, 3
	s_delay_alu instid0(SALU_CYCLE_1) | instskip(NEXT) | instid1(VALU_DEP_2)
	s_ashr_i32 s7, s6, 31
	v_ashrrev_i32_e32 v4, 31, v3
	s_delay_alu instid0(VALU_DEP_2) | instskip(SKIP_1) | instid1(SALU_CYCLE_1)
	v_lshlrev_b64 v[1:2], 2, v[1:2]
	s_lshl_b64 s[6:7], s[6:7], 2
	s_add_u32 s6, s17, s6
	s_delay_alu instid0(VALU_DEP_2) | instskip(SKIP_1) | instid1(VALU_DEP_2)
	v_lshlrev_b64 v[3:4], 2, v[3:4]
	s_addc_u32 s7, s13, s7
	v_add_co_u32 v1, vcc_lo, s17, v1
	v_add_co_ci_u32_e32 v2, vcc_lo, s13, v2, vcc_lo
	s_delay_alu instid0(VALU_DEP_3) | instskip(NEXT) | instid1(VALU_DEP_4)
	v_add_co_u32 v3, vcc_lo, s17, v3
	v_add_co_ci_u32_e32 v4, vcc_lo, s13, v4, vcc_lo
	s_clause 0x1
	global_load_b32 v5, v[1:2], off
	global_load_b32 v6, v[3:4], off
	s_or_b32 s4, s16, 32
	s_delay_alu instid0(SALU_CYCLE_1) | instskip(SKIP_2) | instid1(SALU_CYCLE_1)
	s_ashr_i32 s8, s4, 5
	s_cmp_lt_i32 s4, s18
	s_cselect_b32 s8, s8, s3
	s_ashr_i32 s9, s8, 31
	s_delay_alu instid0(SALU_CYCLE_1) | instskip(NEXT) | instid1(SALU_CYCLE_1)
	s_lshl_b64 s[8:9], s[8:9], 2
	s_add_u32 s8, s17, s8
	s_addc_u32 s9, s13, s9
	s_or_b32 s4, s16, 64
	s_delay_alu instid0(SALU_CYCLE_1) | instskip(SKIP_2) | instid1(SALU_CYCLE_1)
	s_ashr_i32 s12, s4, 5
	s_cmp_lt_i32 s4, s18
	s_cselect_b32 s24, s12, s3
	s_ashr_i32 s25, s24, 31
	s_delay_alu instid0(SALU_CYCLE_1) | instskip(NEXT) | instid1(SALU_CYCLE_1)
	s_lshl_b64 s[24:25], s[24:25], 2
	s_add_u32 s24, s17, s24
	s_addc_u32 s25, s13, s25
	;; [unrolled: 10-line block ×5, first 2 shown]
	s_clause 0x5
	s_load_b32 s12, s[6:7], 0x0
	s_load_b32 s4, s[8:9], 0x0
	;; [unrolled: 1-line block ×6, first 2 shown]
	s_or_b32 s21, s16, 0xc0
	s_waitcnt vmcnt(1)
	v_mad_i64_i32 v[1:2], null, v5, s5, s[22:23]
	v_lshlrev_b32_e32 v5, 4, v68
	s_waitcnt vmcnt(0)
	v_mad_i64_i32 v[3:4], null, v6, s5, s[22:23]
	s_ashr_i32 s22, s21, 5
	s_cmp_lt_i32 s21, s18
	s_delay_alu instid0(VALU_DEP_3) | instskip(NEXT) | instid1(VALU_DEP_4)
	v_add_co_u32 v1, vcc_lo, v1, v5
	v_add_co_ci_u32_e32 v2, vcc_lo, 0, v2, vcc_lo
	s_delay_alu instid0(VALU_DEP_3) | instskip(NEXT) | instid1(VALU_DEP_4)
	v_add_co_u32 v3, vcc_lo, v3, v5
	v_add_co_ci_u32_e32 v4, vcc_lo, 0, v4, vcc_lo
	s_clause 0x7
	global_load_b128 v[71:74], v[1:2], off
	global_load_b128 v[75:78], v[1:2], off offset:512
	global_load_b128 v[79:82], v[3:4], off offset:256
	;; [unrolled: 1-line block ×7, first 2 shown]
	s_cselect_b32 s22, s22, s3
	v_lshlrev_b32_e32 v1, 5, v68
	s_ashr_i32 s23, s22, 31
	v_cmp_gt_u32_e32 vcc_lo, 11, v68
	s_lshl_b64 s[22:23], s[22:23], 2
	s_delay_alu instid0(SALU_CYCLE_1)
	s_add_u32 s22, s17, s22
	s_addc_u32 s23, s13, s23
	s_or_b32 s21, s16, 0xe0
	v_lshl_or_b32 v1, v69, 9, v1
	s_ashr_i32 s24, s21, 5
	s_cmp_lt_i32 s21, s18
	v_cndmask_b32_e32 v103, v103, v68, vcc_lo
	s_cselect_b32 s24, s24, s3
	s_load_b32 s3, s[22:23], 0x0
	s_ashr_i32 s25, s24, 31
	v_cmp_gt_i32_e32 vcc_lo, 32, v128
	s_lshl_b64 s[24:25], s[24:25], 2
	v_lshlrev_b32_e32 v115, 6, v103
	s_add_u32 s22, s17, s24
	s_addc_u32 s23, s13, s25
	v_cndmask_b32_e32 v136, v127, v128, vcc_lo
	s_add_u32 s10, s10, s15
	s_addc_u32 s11, s11, s20
	v_add_co_u32 v1, s10, s10, v1
	s_delay_alu instid0(VALU_DEP_1) | instskip(SKIP_2) | instid1(VALU_DEP_1)
	v_add_co_ci_u32_e64 v2, null, s11, 0, s10
	s_load_b32 s10, s[22:23], 0x0
	s_waitcnt lgkmcnt(0)
	v_mad_i64_i32 v[3:4], null, s12, s5, v[1:2]
	v_mad_i64_i32 v[9:10], null, s7, s5, v[1:2]
	;; [unrolled: 1-line block ×7, first 2 shown]
	s_clause 0x5
	global_load_b128 v[49:52], v[3:4], off
	global_load_b128 v[53:56], v[3:4], off offset:16
	global_load_b128 v[41:44], v[5:6], off
	global_load_b128 v[45:48], v[5:6], off offset:16
	;; [unrolled: 2-line block ×3, first 2 shown]
	s_mov_b32 s4, 0
	v_mad_i64_i32 v[61:62], null, s10, s5, v[1:2]
	s_clause 0x9
	global_load_b128 v[1:4], v[9:10], off
	global_load_b128 v[5:8], v[9:10], off offset:16
	global_load_b128 v[9:12], v[13:14], off
	global_load_b128 v[13:16], v[13:14], off offset:16
	;; [unrolled: 2-line block ×5, first 2 shown]
	s_mov_b32 s5, s4
	s_mov_b32 s6, s4
	;; [unrolled: 1-line block ×7, first 2 shown]
	v_and_b32_e32 v104, 0xe0, v0
	v_dual_mov_b32 v126, s11 :: v_dual_mov_b32 v125, s10
	v_dual_mov_b32 v124, s9 :: v_dual_mov_b32 v123, s8
	s_delay_alu instid0(VALU_DEP_3)
	v_add_nc_u32_e32 v111, s16, v104
	ds_load_b128 v[103:106], v115
	ds_load_b128 v[107:110], v115 offset:1024
	v_dual_mov_b32 v122, s7 :: v_dual_mov_b32 v121, s6
	v_mov_b32_e32 v120, s5
	v_or_b32_e32 v135, v111, v66
	ds_load_b128 v[111:114], v115 offset:2048
	ds_load_b128 v[115:118], v115 offset:3072
	v_mov_b32_e32 v119, s4
	s_waitcnt vmcnt(0) lgkmcnt(0)
	s_barrier
	v_or_b32_e32 v137, 2, v135
	v_or_b32_e32 v138, 4, v135
	;; [unrolled: 1-line block ×3, first 2 shown]
	v_cmp_gt_i32_e32 vcc_lo, s18, v135
	v_or_b32_e32 v140, 8, v135
	v_cmp_gt_i32_e64 s3, s18, v137
	v_or_b32_e32 v141, 10, v135
	v_cmp_gt_i32_e64 s4, s18, v138
	v_cmp_gt_i32_e64 s5, s18, v139
	v_or_b32_e32 v142, 12, v135
	v_or_b32_e32 v143, 14, v135
	v_cmp_gt_i32_e64 s6, s18, v140
	v_cmp_gt_i32_e64 s7, s18, v141
	v_or_b32_e32 v144, 16, v135
	v_or_b32_e32 v145, 18, v135
	v_cmp_gt_i32_e64 s8, s18, v142
	v_cmp_gt_i32_e64 s9, s18, v143
	buffer_gl0_inv
	v_cmp_gt_i32_e64 s10, s18, v144
	v_cmp_gt_i32_e64 s11, s18, v145
	v_wmma_f32_16x16x16_f16 v[127:134], v[71:78], v[103:110], v[119:126]
	v_wmma_f32_16x16x16_f16 v[119:126], v[79:86], v[103:110], v[119:126]
	v_or_b32_e32 v71, 20, v135
	v_or_b32_e32 v72, 22, v135
	s_delay_alu instid0(VALU_DEP_4)
	v_wmma_f32_16x16x16_f16 v[127:134], v[87:94], v[111:118], v[127:134]
	v_or_b32_e32 v73, 24, v135
	v_wmma_f32_16x16x16_f16 v[119:126], v[95:102], v[111:118], v[119:126]
	v_or_b32_e32 v74, 26, v135
	v_cmp_gt_i32_e64 s12, s18, v71
	v_dual_mul_f32 v83, s19, v128 :: v_dual_mul_f32 v84, s19, v127
	s_delay_alu instid0(VALU_DEP_4) | instskip(SKIP_1) | instid1(VALU_DEP_3)
	v_dual_mul_f32 v81, s19, v130 :: v_dual_mul_f32 v92, s19, v119
	v_mul_f32_e32 v82, s19, v129
	v_cndmask_b32_e64 v83, 0xff7fffff, v83, s3
	s_delay_alu instid0(VALU_DEP_4)
	v_cndmask_b32_e32 v84, 0xff7fffff, v84, vcc_lo
	v_dual_mul_f32 v79, s19, v132 :: v_dual_mul_f32 v90, s19, v121
	v_mul_f32_e32 v80, s19, v131
	v_cndmask_b32_e64 v82, 0xff7fffff, v82, s4
	v_cndmask_b32_e64 v81, 0xff7fffff, v81, s5
	v_max3_f32 v83, v84, 0xff7fffff, v83
	v_dual_mul_f32 v77, s19, v134 :: v_dual_mul_f32 v88, s19, v123
	v_mul_f32_e32 v78, s19, v133
	v_cndmask_b32_e64 v80, 0xff7fffff, v80, s6
	v_cndmask_b32_e64 v79, 0xff7fffff, v79, s7
	v_max3_f32 v81, v83, v82, v81
	v_mul_f32_e32 v91, s19, v120
	v_cndmask_b32_e64 v78, 0xff7fffff, v78, s8
	v_cndmask_b32_e64 v77, 0xff7fffff, v77, s9
	v_mul_f32_e32 v89, s19, v122
	v_max3_f32 v79, v81, v80, v79
	v_cndmask_b32_e64 v80, 0xff7fffff, v92, s10
	v_cndmask_b32_e64 v81, 0xff7fffff, v91, s11
	v_cmp_gt_i32_e64 s13, s18, v72
	v_or_b32_e32 v75, 28, v135
	v_max3_f32 v77, v79, v78, v77
	v_or_b32_e32 v76, 30, v135
	v_mul_f32_e32 v87, s19, v124
	v_cndmask_b32_e64 v71, 0xff7fffff, v90, s12
	v_cndmask_b32_e64 v72, 0xff7fffff, v89, s13
	v_max3_f32 v77, v77, v80, v81
	v_cmp_gt_i32_e64 s15, s18, v73
	v_cmp_gt_i32_e64 s16, s18, v74
	v_dual_mul_f32 v85, s19, v126 :: v_dual_mul_f32 v86, s19, v125
	s_delay_alu instid0(VALU_DEP_4) | instskip(NEXT) | instid1(VALU_DEP_4)
	v_max3_f32 v71, v77, v71, v72
	v_cndmask_b32_e64 v73, 0xff7fffff, v88, s15
	s_delay_alu instid0(VALU_DEP_4) | instskip(SKIP_2) | instid1(VALU_DEP_3)
	v_cndmask_b32_e64 v74, 0xff7fffff, v87, s16
	v_cmp_gt_i32_e64 s17, s18, v75
	v_cmp_gt_i32_e64 s18, s18, v76
	v_max3_f32 v71, v71, v73, v74
	s_delay_alu instid0(VALU_DEP_3) | instskip(NEXT) | instid1(VALU_DEP_3)
	v_cndmask_b32_e64 v72, 0xff7fffff, v86, s17
	v_cndmask_b32_e64 v75, 0xff7fffff, v85, s18
	v_lshlrev_b32_e32 v73, 2, v136
	s_delay_alu instid0(VALU_DEP_2) | instskip(SKIP_3) | instid1(VALU_DEP_1)
	v_max3_f32 v71, v71, v72, v75
	ds_bpermute_b32 v72, v73, v71
	s_waitcnt lgkmcnt(0)
	v_max_f32_e32 v72, v72, v72
	v_max_f32_e32 v71, v71, v72
	s_delay_alu instid0(VALU_DEP_1)
	v_fma_f32 v72, s19, v127, -v71
	v_fma_f32 v74, s19, v128, -v71
	;; [unrolled: 1-line block ×5, first 2 shown]
	v_mul_f32_e32 v72, 0x3fb8aa3b, v72
	v_mul_f32_e32 v74, 0x3fb8aa3b, v74
	v_fma_f32 v80, s19, v133, -v71
	s_delay_alu instid0(VALU_DEP_4) | instskip(NEXT) | instid1(VALU_DEP_4)
	v_dual_mul_f32 v76, 0x3fb8aa3b, v76 :: v_dual_mul_f32 v77, 0x3fb8aa3b, v77
	v_exp_f32_e32 v72, v72
	s_delay_alu instid0(VALU_DEP_3) | instskip(NEXT) | instid1(VALU_DEP_2)
	v_exp_f32_e32 v74, v74
	v_mul_f32_e32 v82, 0x3fb8aa3b, v80
	s_delay_alu instid0(VALU_DEP_2) | instskip(SKIP_1) | instid1(VALU_DEP_1)
	v_exp_f32_e32 v76, v76
	v_exp_f32_e32 v77, v77
	;; [unrolled: 1-line block ×3, first 2 shown]
	v_cndmask_b32_e32 v79, 0, v72, vcc_lo
	v_fma_f32 v72, s19, v132, -v71
	v_mul_f32_e32 v75, 0x3fb8aa3b, v75
	v_cndmask_b32_e64 v78, 0, v74, s3
	s_delay_alu instid0(TRANS32_DEP_3)
	v_cndmask_b32_e64 v80, 0, v76, s5
	v_add_f32_e32 v74, 0, v79
	v_mul_f32_e32 v72, 0x3fb8aa3b, v72
	v_exp_f32_e32 v75, v75
	v_cndmask_b32_e64 v83, 0, v77, s6
	v_cndmask_b32_e64 v85, 0, v84, s8
	v_add_f32_e32 v74, v74, v78
	v_exp_f32_e32 v72, v72
	v_cmp_gt_u32_e64 s3, 16, v70
	s_waitcnt_depctr 0xfff
	v_cndmask_b32_e64 v81, 0, v75, s4
	v_cndmask_b32_e64 v82, 0, v72, s7
	s_delay_alu instid0(VALU_DEP_2) | instskip(NEXT) | instid1(VALU_DEP_1)
	v_add_f32_e32 v74, v74, v81
	v_add_f32_e32 v74, v74, v80
	s_delay_alu instid0(VALU_DEP_1) | instskip(SKIP_4) | instid1(VALU_DEP_4)
	v_add_f32_e32 v72, v74, v83
	v_fma_f32 v75, s19, v134, -v71
	v_fma_f32 v76, s19, v119, -v71
	;; [unrolled: 1-line block ×4, first 2 shown]
	v_dual_add_f32 v72, v72, v82 :: v_dual_mul_f32 v75, 0x3fb8aa3b, v75
	s_delay_alu instid0(VALU_DEP_3) | instskip(SKIP_1) | instid1(VALU_DEP_3)
	v_dual_mul_f32 v76, 0x3fb8aa3b, v76 :: v_dual_mul_f32 v77, 0x3fb8aa3b, v77
	v_fma_f32 v86, s19, v122, -v71
	v_add_f32_e32 v72, v72, v85
	s_delay_alu instid0(VALU_DEP_4) | instskip(NEXT) | instid1(VALU_DEP_3)
	v_exp_f32_e32 v75, v75
	v_exp_f32_e32 v76, v76
	;; [unrolled: 1-line block ×3, first 2 shown]
	v_mul_f32_e32 v86, 0x3fb8aa3b, v86
	s_delay_alu instid0(VALU_DEP_1) | instskip(SKIP_3) | instid1(TRANS32_DEP_3)
	v_exp_f32_e32 v88, v86
	v_cndmask_b32_e64 v84, 0, v75, s9
	v_fma_f32 v75, s19, v123, -v71
	v_mul_f32_e32 v74, 0x3fb8aa3b, v74
	v_cndmask_b32_e64 v87, 0, v76, s10
	v_fma_f32 v76, s19, v124, -v71
	s_delay_alu instid0(VALU_DEP_4) | instskip(NEXT) | instid1(VALU_DEP_4)
	v_dual_add_f32 v72, v72, v84 :: v_dual_mul_f32 v75, 0x3fb8aa3b, v75
	v_exp_f32_e32 v74, v74
	v_cndmask_b32_e64 v86, 0, v77, s11
	v_fma_f32 v77, s19, v125, -v71
	s_delay_alu instid0(VALU_DEP_3) | instskip(SKIP_3) | instid1(VALU_DEP_3)
	v_add_f32_e32 v72, v72, v87
	v_mul_f32_e32 v76, 0x3fb8aa3b, v76
	v_exp_f32_e32 v75, v75
	v_cndmask_b32_e64 v88, 0, v88, s13
	v_add_f32_e32 v72, v72, v86
	s_delay_alu instid0(VALU_DEP_3) | instskip(NEXT) | instid1(TRANS32_DEP_3)
	v_exp_f32_e32 v76, v76
	v_cndmask_b32_e64 v89, 0, v74, s12
	v_mul_f32_e32 v74, 0x3fb8aa3b, v77
	v_fma_f32 v77, s19, v126, -v71
	s_delay_alu instid0(VALU_DEP_3) | instskip(NEXT) | instid1(VALU_DEP_3)
	v_add_f32_e32 v72, v72, v89
	v_exp_f32_e32 v74, v74
	s_delay_alu instid0(TRANS32_DEP_3) | instskip(NEXT) | instid1(VALU_DEP_3)
	v_cndmask_b32_e64 v91, 0, v75, s15
	v_mul_f32_e32 v75, 0x3fb8aa3b, v77
	s_delay_alu instid0(TRANS32_DEP_2) | instskip(SKIP_1) | instid1(VALU_DEP_3)
	v_cndmask_b32_e64 v90, 0, v76, s16
	v_add_f32_e32 v72, v72, v88
	v_exp_f32_e32 v75, v75
	s_delay_alu instid0(VALU_DEP_1) | instskip(NEXT) | instid1(TRANS32_DEP_2)
	v_add_f32_e32 v72, v72, v91
	v_cndmask_b32_e64 v93, 0, v74, s17
	s_delay_alu instid0(VALU_DEP_2) | instskip(SKIP_3) | instid1(VALU_DEP_1)
	v_add_f32_e32 v72, v72, v90
	s_waitcnt_depctr 0xfff
	v_cndmask_b32_e64 v92, 0, v75, s18
	v_add_f32_e32 v72, v72, v93
	v_add_f32_e32 v72, v72, v92
	ds_bpermute_b32 v73, v73, v72
	s_and_saveexec_b32 s4, s3
	s_cbranch_execz .LBB860_12
; %bb.11:
	v_mul_u32_u24_e32 v70, 0x44, v69
	s_waitcnt lgkmcnt(0)
	v_add_f32_e32 v72, v72, v73
	s_delay_alu instid0(VALU_DEP_2) | instskip(NEXT) | instid1(VALU_DEP_1)
	v_lshl_add_u32 v70, v68, 2, v70
	v_add_nc_u32_e32 v70, 0x4000, v70
	ds_store_2addr_b32 v70, v71, v72 offset1:136
.LBB860_12:
	s_or_b32 exec_lo, exec_lo, s4
	v_lshlrev_b32_e32 v70, 2, v68
	s_load_b32 s36, s[0:1], 0x94
	s_waitcnt lgkmcnt(0)
	s_barrier
	buffer_gl0_inv
	v_add_nc_u32_e32 v98, 0x4000, v70
	v_cmp_eq_u32_e32 vcc_lo, 1, v69
	v_cmp_eq_u32_e64 s4, 2, v69
	v_cmp_eq_u32_e64 s5, 3, v69
	;; [unrolled: 1-line block ×3, first 2 shown]
	ds_load_2addr_b32 v[70:71], v98 offset1:17
	ds_load_2addr_b32 v[72:73], v98 offset0:34 offset1:51
	ds_load_2addr_b32 v[74:75], v98 offset0:68 offset1:85
	;; [unrolled: 1-line block ×3, first 2 shown]
	v_cmp_eq_u32_e64 s7, 5, v69
	v_cmp_eq_u32_e64 s8, 7, v69
	s_waitcnt lgkmcnt(3)
	v_max3_f32 v76, v70, 0xff7fffff, v71
	s_waitcnt lgkmcnt(2)
	s_delay_alu instid0(VALU_DEP_1) | instskip(SKIP_1) | instid1(VALU_DEP_1)
	v_max3_f32 v76, v76, v72, v73
	s_waitcnt lgkmcnt(1)
	v_max3_f32 v76, v76, v74, v75
	s_waitcnt lgkmcnt(0)
	s_delay_alu instid0(VALU_DEP_1) | instskip(NEXT) | instid1(VALU_DEP_1)
	v_max3_f32 v76, v76, v94, v95
	v_sub_f32_e32 v77, v71, v76
	ds_load_2addr_b32 v[96:97], v98 offset0:136 offset1:153
	v_sub_f32_e32 v74, v74, v76
	v_sub_f32_e32 v70, v70, v76
	;; [unrolled: 1-line block ×3, first 2 shown]
	v_dual_sub_f32 v72, v72, v76 :: v_dual_mul_f32 v77, 0x3fb8aa3b, v77
	s_delay_alu instid0(VALU_DEP_4) | instskip(NEXT) | instid1(VALU_DEP_4)
	v_mul_f32_e32 v103, 0x3fb8aa3b, v74
	v_mul_f32_e32 v99, 0x3fb8aa3b, v70
	ds_load_2addr_b32 v[70:71], v98 offset0:170 offset1:187
	v_dual_mul_f32 v101, 0x3fb8aa3b, v72 :: v_dual_mul_f32 v94, 0x3fb8aa3b, v94
	v_exp_f32_e32 v102, v77
	v_exp_f32_e32 v99, v99
	s_delay_alu instid0(VALU_DEP_1) | instskip(NEXT) | instid1(VALU_DEP_1)
	v_exp_f32_e32 v101, v101
	v_exp_f32_e32 v94, v94
	s_waitcnt lgkmcnt(1)
	s_delay_alu instid0(TRANS32_DEP_3)
	v_fma_f32 v77, v99, v96, 0
	v_sub_f32_e32 v100, v73, v76
	ds_load_2addr_b32 v[72:73], v98 offset0:204 offset1:221
	v_fmac_f32_e32 v77, v102, v97
	v_exp_f32_e32 v97, v103
	s_waitcnt lgkmcnt(1)
	s_delay_alu instid0(VALU_DEP_1)
	v_dual_fmac_f32 v77, v101, v70 :: v_dual_sub_f32 v96, v75, v76
	ds_load_2addr_b32 v[74:75], v98 offset0:238 offset1:255
	v_sub_f32_e32 v70, v95, v76
	s_waitcnt lgkmcnt(0)
	s_barrier
	v_mul_f32_e32 v96, 0x3fb8aa3b, v96
	buffer_gl0_inv
	v_exp_f32_e32 v95, v96
	v_mul_f32_e32 v100, 0x3fb8aa3b, v100
	s_delay_alu instid0(VALU_DEP_1) | instskip(SKIP_3) | instid1(VALU_DEP_2)
	v_exp_f32_e32 v100, v100
	s_waitcnt_depctr 0xfff
	v_dual_fmac_f32 v77, v100, v71 :: v_dual_mul_f32 v70, 0x3fb8aa3b, v70
	v_cndmask_b32_e32 v71, v99, v102, vcc_lo
	v_fmac_f32_e32 v77, v97, v72
	s_delay_alu instid0(VALU_DEP_3) | instskip(NEXT) | instid1(VALU_DEP_1)
	v_exp_f32_e32 v96, v70
	v_fmac_f32_e32 v77, v95, v73
	s_delay_alu instid0(VALU_DEP_1) | instskip(SKIP_2) | instid1(VALU_DEP_1)
	v_fmac_f32_e32 v77, v94, v74
	s_waitcnt_depctr 0xfff
	v_fmac_f32_e32 v77, v96, v75
	v_add_f32_e32 v74, 0x358637bd, v77
	s_delay_alu instid0(VALU_DEP_1) | instskip(SKIP_1) | instid1(VALU_DEP_2)
	v_div_scale_f32 v98, null, v74, v74, 1.0
	v_div_scale_f32 v99, vcc_lo, 1.0, v74, 1.0
	v_rcp_f32_e32 v103, v98
	s_waitcnt_depctr 0xfff
	v_fma_f32 v70, -v98, v103, 1.0
	s_delay_alu instid0(VALU_DEP_1) | instskip(SKIP_2) | instid1(VALU_DEP_2)
	v_fmac_f32_e32 v103, v70, v103
	v_cndmask_b32_e64 v70, v71, v101, s4
	v_cmp_eq_u32_e64 s4, 6, v69
	v_cndmask_b32_e64 v71, v70, v100, s5
	s_delay_alu instid0(VALU_DEP_4) | instskip(NEXT) | instid1(VALU_DEP_2)
	v_dual_mul_f32 v101, v99, v103 :: v_dual_lshlrev_b32 v70, 2, v66
	v_cndmask_b32_e64 v71, v71, v97, s6
	s_delay_alu instid0(VALU_DEP_2) | instskip(NEXT) | instid1(VALU_DEP_3)
	v_or_b32_e32 v72, 1, v70
	v_fma_f32 v100, -v98, v101, v99
	v_cmp_eq_u32_e64 s5, 1, v70
	v_cmp_eq_u32_e64 s6, 2, v70
	v_cndmask_b32_e64 v95, v71, v95, s7
	v_or_b32_e32 v71, 3, v70
	v_fmac_f32_e32 v101, v100, v103
	v_cmp_eq_u32_e64 s10, 1, v72
	v_cmp_eq_u32_e64 s13, 2, v72
	v_cndmask_b32_e64 v94, v95, v94, s4
	v_cmp_eq_u32_e64 s12, 1, v71
	v_fma_f32 v97, -v98, v101, v99
	v_cmp_eq_u32_e64 s17, 2, v71
	v_cmp_eq_u32_e64 s15, 3, v72
	v_cndmask_b32_e64 v94, v94, v96, s8
	v_cmp_eq_u32_e64 s19, 3, v71
	v_div_fmas_f32 v95, v97, v103, v101
	v_cmp_eq_u32_e32 vcc_lo, 3, v70
	v_cmp_eq_u32_e64 s4, 4, v70
	v_cmp_eq_u32_e64 s20, 4, v72
	;; [unrolled: 1-line block ×3, first 2 shown]
	v_div_fixup_f32 v95, v95, v74, 1.0
	v_lshlrev_b32_e32 v73, 6, v68
	v_cmp_eq_u32_e64 s7, 5, v70
	v_cmp_eq_u32_e64 s21, 5, v72
	;; [unrolled: 1-line block ×3, first 2 shown]
	v_mul_f32_e32 v102, v94, v95
	v_lshl_or_b32 v75, v69, 11, v73
	v_or_b32_e32 v69, 2, v70
	v_cmp_eq_u32_e64 s26, 6, v72
	v_cmp_eq_u32_e64 s28, 6, v71
	v_fma_mixlo_f16 v94, v102, v79, 0
	v_fma_mixlo_f16 v95, v102, v81, 0
	;; [unrolled: 1-line block ×8, first 2 shown]
	v_lshl_or_b32 v74, v66, 4, v75
	v_fma_mixhi_f16 v94, v102, v78, 0
	v_fma_mixhi_f16 v95, v102, v80, 0
	;; [unrolled: 1-line block ×8, first 2 shown]
	ds_store_b128 v74, v[94:97]
	ds_store_b128 v74, v[98:101] offset:1024
	s_waitcnt lgkmcnt(0)
	s_barrier
	buffer_gl0_inv
	ds_load_b128 v[78:81], v75
	ds_load_b128 v[82:85], v75 offset:16
	ds_load_b128 v[86:89], v75 offset:1024
	;; [unrolled: 1-line block ×3, first 2 shown]
	v_cmp_eq_u32_e64 s11, 1, v69
	v_cmp_eq_u32_e64 s16, 2, v69
	;; [unrolled: 1-line block ×11, first 2 shown]
	s_waitcnt lgkmcnt(3)
	v_lshrrev_b32_e32 v94, 16, v78
	s_waitcnt lgkmcnt(2)
	v_lshrrev_b32_e32 v98, 16, v82
	;; [unrolled: 2-line block ×4, first 2 shown]
	v_lshrrev_b32_e32 v95, 16, v79
	v_cndmask_b32_e64 v110, v78, v94, s5
	v_cndmask_b32_e64 v111, v82, v98, s5
	;; [unrolled: 1-line block ×8, first 2 shown]
	v_lshrrev_b32_e32 v99, 16, v83
	v_cndmask_b32_e64 v94, v86, v102, s5
	v_cndmask_b32_e64 v98, v90, v106, s5
	;; [unrolled: 1-line block ×15, first 2 shown]
	v_lshrrev_b32_e32 v103, 16, v87
	v_lshrrev_b32_e32 v107, 16, v91
	v_cndmask_b32_e64 v113, v115, v83, s16
	v_cndmask_b32_e64 v82, v94, v87, s6
	v_cndmask_b32_e64 v83, v98, v91, s6
	v_cndmask_b32_e64 v94, v116, v87, s13
	v_cndmask_b32_e64 v98, v118, v87, s16
	v_cndmask_b32_e64 v86, v86, v87, s17
	v_cndmask_b32_e64 v87, v90, v91, s17
	v_cndmask_b32_e32 v90, v102, v95, vcc_lo
	v_cndmask_b32_e32 v102, v106, v99, vcc_lo
	v_cndmask_b32_e64 v106, v110, v95, s15
	v_cndmask_b32_e64 v110, v111, v99, s15
	;; [unrolled: 1-line block ×4, first 2 shown]
	v_lshrrev_b32_e32 v96, 16, v80
	v_lshrrev_b32_e32 v100, 16, v84
	v_cndmask_b32_e64 v111, v112, v95, s18
	v_cndmask_b32_e64 v112, v113, v99, s18
	v_cndmask_b32_e32 v82, v82, v103, vcc_lo
	v_cndmask_b32_e32 v83, v83, v107, vcc_lo
	v_cndmask_b32_e64 v94, v94, v103, s15
	v_cndmask_b32_e64 v90, v90, v80, s4
	;; [unrolled: 1-line block ×7, first 2 shown]
	v_lshrrev_b32_e32 v104, 16, v88
	v_cndmask_b32_e64 v106, v111, v80, s22
	v_cndmask_b32_e64 v110, v112, v84, s22
	;; [unrolled: 1-line block ×11, first 2 shown]
	v_lshrrev_b32_e32 v97, 16, v81
	v_lshrrev_b32_e32 v101, 16, v85
	v_cndmask_b32_e64 v99, v106, v96, s24
	v_cndmask_b32_e64 v102, v110, v100, s24
	;; [unrolled: 1-line block ×7, first 2 shown]
	v_lshrrev_b32_e32 v105, 16, v89
	v_cndmask_b32_e64 v80, v80, v104, s7
	v_cndmask_b32_e64 v84, v84, v81, s8
	;; [unrolled: 1-line block ×16, first 2 shown]
	v_perm_b32 v81, v79, v78, 0x5040100
	v_perm_b32 v79, v95, v85, 0x5040100
	v_cndmask_b32_e64 v78, v119, v91, s16
	v_cndmask_b32_e64 v85, v117, v91, s13
	;; [unrolled: 1-line block ×3, first 2 shown]
	v_perm_b32 v80, v94, v90, 0x5040100
	v_cndmask_b32_e64 v90, v98, v103, s18
	v_cndmask_b32_e64 v86, v86, v103, s19
	v_cndmask_b32_e64 v87, v87, v107, s19
	v_cndmask_b32_e64 v78, v78, v107, s18
	v_cndmask_b32_e64 v85, v85, v107, s15
	v_lshrrev_b32_e32 v108, 16, v92
	v_cndmask_b32_e64 v90, v90, v88, s22
	v_cndmask_b32_e64 v86, v86, v88, s23
	;; [unrolled: 1-line block ×11, first 2 shown]
	v_lshrrev_b32_e32 v109, 16, v93
	v_cndmask_b32_e64 v82, v82, v93, s8
	v_cndmask_b32_e64 v88, v88, v89, s27
	;; [unrolled: 1-line block ×12, first 2 shown]
	v_perm_b32 v78, v84, v83, 0x5040100
	v_perm_b32 v85, v87, v86, 0x5040100
	;; [unrolled: 1-line block ×5, first 2 shown]
	s_mul_i32 s9, s35, 11
	s_mov_b32 s4, exec_lo
	ds_store_b128 v74, v[78:81]
	ds_store_b128 v74, v[82:85] offset:1024
	v_cmpx_gt_u32_e32 11, v0
	s_cbranch_execz .LBB860_14
; %bb.13:
	s_mul_i32 s5, s9, s34
	s_load_b128 s[16:19], s[0:1], 0x58
	v_add3_u32 v68, s5, s33, v68
	s_delay_alu instid0(VALU_DEP_1) | instskip(NEXT) | instid1(VALU_DEP_1)
	v_mad_u64_u32 v[78:79], null, v68, s36, s[14:15]
	v_ashrrev_i32_e32 v79, 31, v78
	s_delay_alu instid0(VALU_DEP_1) | instskip(SKIP_1) | instid1(VALU_DEP_1)
	v_lshlrev_b64 v[78:79], 2, v[78:79]
	s_waitcnt lgkmcnt(0)
	v_add_co_u32 v80, vcc_lo, s18, v78
	s_delay_alu instid0(VALU_DEP_2)
	v_add_co_ci_u32_e32 v81, vcc_lo, s19, v79, vcc_lo
	v_add_co_u32 v78, vcc_lo, s16, v78
	v_add_co_ci_u32_e32 v79, vcc_lo, s17, v79, vcc_lo
	global_store_b32 v[80:81], v76, off
	global_store_b32 v[78:79], v77, off
.LBB860_14:
	s_or_b32 exec_lo, exec_lo, s4
	s_waitcnt lgkmcnt(0)
	s_waitcnt_vscnt null, 0x0
	s_barrier
	buffer_gl0_inv
	ds_load_b128 v[84:87], v73
	ds_load_b128 v[88:91], v73 offset:16
	ds_load_b128 v[96:99], v73 offset:2064
	;; [unrolled: 1-line block ×5, first 2 shown]
	v_cmp_eq_u32_e32 vcc_lo, 1, v70
	v_mov_b32_e32 v76, 0
	ds_load_b128 v[112:115], v73 offset:6160
	ds_load_b128 v[108:111], v73 offset:6144
	;; [unrolled: 1-line block ×4, first 2 shown]
	v_cmp_eq_u32_e64 s5, 1, v69
	v_cmp_eq_u32_e64 s4, 1, v72
	;; [unrolled: 1-line block ×3, first 2 shown]
	v_mov_b32_e32 v77, v76
	v_mov_b32_e32 v78, v76
	;; [unrolled: 1-line block ×7, first 2 shown]
	v_cmp_eq_u32_e64 s7, 3, v72
	v_cmp_eq_u32_e64 s8, 7, v72
	s_waitcnt lgkmcnt(8)
	s_delay_alu instid0(VALU_DEP_3)
	v_wmma_f32_16x16x16_f16 v[76:83], v[49:56], v[84:91], v[76:83]
	ds_load_b128 v[53:56], v73 offset:10256
	ds_load_b128 v[49:52], v73 offset:10240
	s_waitcnt lgkmcnt(8)
	v_wmma_f32_16x16x16_f16 v[76:83], v[41:48], v[92:99], v[76:83]
	ds_load_b128 v[45:48], v73 offset:12304
	ds_load_b128 v[41:44], v73 offset:12288
	s_waitcnt lgkmcnt(8)
	;; [unrolled: 4-line block ×3, first 2 shown]
	s_barrier
	buffer_gl0_inv
	v_wmma_f32_16x16x16_f16 v[76:83], v[1:8], v[108:115], v[76:83]
	s_delay_alu instid0(VALU_DEP_1) | instskip(NEXT) | instid1(VALU_DEP_1)
	v_wmma_f32_16x16x16_f16 v[76:83], v[9:16], v[116:123], v[76:83]
	v_wmma_f32_16x16x16_f16 v[76:83], v[17:24], v[49:56], v[76:83]
	s_delay_alu instid0(VALU_DEP_1) | instskip(NEXT) | instid1(VALU_DEP_1)
	v_wmma_f32_16x16x16_f16 v[76:83], v[25:32], v[41:48], v[76:83]
	v_wmma_f32_16x16x16_f16 v[76:83], v[57:64], v[33:40], v[76:83]
	s_delay_alu instid0(VALU_DEP_1) | instskip(NEXT) | instid1(VALU_DEP_2)
	v_cvt_f16_f32_e32 v1, v76
	v_cvt_f16_f32_e32 v2, v77
	s_delay_alu instid0(VALU_DEP_3) | instskip(NEXT) | instid1(VALU_DEP_4)
	v_cvt_f16_f32_e32 v3, v78
	v_cvt_f16_f32_e32 v4, v79
	;; [unrolled: 1-line block ×6, first 2 shown]
	v_pack_b32_f16 v1, v1, v2
	v_pack_b32_f16 v2, v3, v4
	;; [unrolled: 1-line block ×3, first 2 shown]
	s_delay_alu instid0(VALU_DEP_4)
	v_pack_b32_f16 v4, v7, v8
	ds_store_b128 v74, v[1:4]
	s_waitcnt lgkmcnt(0)
	s_barrier
	buffer_gl0_inv
	ds_load_b128 v[1:4], v75
	ds_load_b128 v[5:8], v75 offset:16
	s_waitcnt lgkmcnt(1)
	v_lshrrev_b32_e32 v9, 16, v1
	s_waitcnt lgkmcnt(0)
	v_lshrrev_b32_e32 v13, 16, v5
	v_lshrrev_b32_e32 v10, 16, v2
	;; [unrolled: 1-line block ×4, first 2 shown]
	v_cndmask_b32_e32 v17, v1, v9, vcc_lo
	v_cndmask_b32_e32 v18, v5, v13, vcc_lo
	v_cndmask_b32_e64 v21, v1, v9, s5
	v_cmp_eq_u32_e32 vcc_lo, 1, v71
	v_cndmask_b32_e64 v22, v5, v13, s5
	v_cmp_eq_u32_e64 s5, 2, v70
	v_cndmask_b32_e64 v19, v1, v9, s4
	v_cndmask_b32_e64 v20, v5, v13, s4
	v_cndmask_b32_e32 v1, v1, v9, vcc_lo
	v_cmp_eq_u32_e64 s4, 2, v71
	v_cndmask_b32_e32 v5, v5, v13, vcc_lo
	v_cndmask_b32_e64 v9, v17, v2, s5
	v_cmp_eq_u32_e32 vcc_lo, 3, v70
	v_cndmask_b32_e64 v13, v18, v6, s5
	v_cmp_eq_u32_e64 s5, 2, v69
	v_cndmask_b32_e64 v17, v19, v2, s6
	v_cndmask_b32_e64 v18, v20, v6, s6
	v_cmp_eq_u32_e64 s6, 3, v69
	v_cndmask_b32_e64 v1, v1, v2, s4
	v_cndmask_b32_e64 v19, v21, v2, s5
	;; [unrolled: 1-line block ×4, first 2 shown]
	v_cndmask_b32_e32 v5, v9, v10, vcc_lo
	v_cndmask_b32_e32 v6, v13, v14, vcc_lo
	v_cmp_eq_u32_e32 vcc_lo, 3, v71
	v_cndmask_b32_e64 v9, v17, v10, s7
	v_cndmask_b32_e64 v13, v18, v14, s7
	;; [unrolled: 1-line block ×3, first 2 shown]
	v_cmp_eq_u32_e64 s5, 4, v70
	v_cndmask_b32_e32 v1, v1, v10, vcc_lo
	v_cndmask_b32_e32 v2, v2, v14, vcc_lo
	v_cmp_eq_u32_e32 vcc_lo, 4, v72
	v_lshrrev_b32_e32 v15, 16, v7
	v_lshrrev_b32_e32 v16, 16, v8
	v_cndmask_b32_e64 v17, v19, v10, s6
	v_cmp_eq_u32_e64 s4, 4, v71
	v_cndmask_b32_e64 v5, v5, v3, s5
	v_cndmask_b32_e64 v6, v6, v7, s5
	v_cndmask_b32_e32 v9, v9, v3, vcc_lo
	v_cmp_eq_u32_e64 s5, 5, v72
	v_cndmask_b32_e32 v10, v13, v7, vcc_lo
	v_cmp_eq_u32_e32 vcc_lo, 4, v69
	v_cmp_eq_u32_e64 s6, 5, v70
	v_cndmask_b32_e64 v2, v2, v7, s4
	v_cndmask_b32_e64 v9, v9, v11, s5
	;; [unrolled: 1-line block ×3, first 2 shown]
	v_cndmask_b32_e32 v13, v17, v3, vcc_lo
	v_cmp_eq_u32_e64 s5, 5, v69
	v_cndmask_b32_e32 v14, v18, v7, vcc_lo
	v_cndmask_b32_e64 v1, v1, v3, s4
	v_cmp_eq_u32_e32 vcc_lo, 5, v71
	v_lshrrev_b32_e32 v12, 16, v4
	v_cndmask_b32_e64 v13, v13, v11, s5
	v_cndmask_b32_e64 v3, v14, v15, s5
	v_cmp_eq_u32_e64 s5, 6, v71
	v_cndmask_b32_e32 v1, v1, v11, vcc_lo
	v_cndmask_b32_e64 v5, v5, v11, s6
	v_cmp_eq_u32_e64 s7, 6, v70
	v_cndmask_b32_e64 v6, v6, v15, s6
	v_cmp_eq_u32_e64 s6, 6, v72
	v_cmp_eq_u32_e64 s4, 6, v69
	v_cndmask_b32_e64 v1, v1, v4, s5
	v_cndmask_b32_e32 v2, v2, v15, vcc_lo
	v_cmp_eq_u32_e32 vcc_lo, 7, v71
	v_cndmask_b32_e64 v5, v5, v4, s7
	v_cndmask_b32_e64 v9, v9, v4, s6
	;; [unrolled: 1-line block ×3, first 2 shown]
	v_cmp_eq_u32_e64 s7, 7, v70
	v_cndmask_b32_e32 v1, v1, v12, vcc_lo
	v_cndmask_b32_e64 v7, v13, v4, s4
	v_cndmask_b32_e64 v3, v3, v8, s4
	;; [unrolled: 1-line block ×3, first 2 shown]
	v_cmp_eq_u32_e64 s4, 7, v69
	v_cndmask_b32_e64 v4, v10, v8, s6
	v_cndmask_b32_e64 v5, v5, v12, s7
	v_cndmask_b32_e64 v9, v9, v12, s8
	v_cndmask_b32_e32 v2, v2, v16, vcc_lo
	v_cndmask_b32_e64 v7, v7, v12, s4
	v_cndmask_b32_e64 v3, v3, v16, s4
	;; [unrolled: 1-line block ×4, first 2 shown]
	v_cmp_gt_u32_e32 vcc_lo, 32, v0
	v_perm_b32 v4, v2, v1, 0x5040100
	v_perm_b32 v3, v3, v7, 0x5040100
	;; [unrolled: 1-line block ×4, first 2 shown]
	s_and_b32 s2, vcc_lo, s2
	ds_store_b128 v74, v[1:4]
	s_waitcnt lgkmcnt(0)
	s_barrier
	buffer_gl0_inv
	s_and_saveexec_b32 s4, s2
	s_cbranch_execz .LBB860_2
; %bb.15:
	s_load_b64 s[4:5], s[0:1], 0x68
	v_lshlrev_b32_e32 v0, 10, v0
	v_lshlrev_b32_e32 v1, 4, v67
	s_lshl_b32 s0, s36, 6
	v_add_nc_u32_e32 v7, s33, v66
	s_mul_i32 s1, s0, s34
	s_delay_alu instid0(SALU_CYCLE_1) | instskip(SKIP_1) | instid1(VALU_DEP_2)
	s_mul_i32 s6, s1, s9
	v_and_or_b32 v0, 0x3800, v0, v1
	v_mul_lo_u32 v1, v7, s0
	v_add_nc_u32_e32 v2, 2, v7
	s_ashr_i32 s7, s6, 31
	v_add_nc_u32_e32 v4, 4, v7
	s_lshl_b64 s[6:7], s[6:7], 1
	v_add_nc_u32_e32 v8, 6, v7
	v_mul_lo_u32 v3, v2, s0
	v_lshl_or_b32 v19, v66, 6, v0
	v_ashrrev_i32_e32 v2, 31, v1
	v_mul_lo_u32 v11, v4, s0
	v_mul_lo_u32 v25, v8, s0
	s_waitcnt lgkmcnt(0)
	s_add_u32 s1, s4, s6
	s_addc_u32 s2, s5, s7
	s_lshl_b32 s4, s14, 6
	v_lshlrev_b64 v[5:6], 1, v[1:2]
	s_ashr_i32 s5, s4, 31
	v_ashrrev_i32_e32 v4, 31, v3
	s_lshl_b64 s[4:5], s[4:5], 1
	v_ashrrev_i32_e32 v12, 31, v11
	s_add_u32 s1, s1, s4
	s_addc_u32 s2, s2, s5
	v_add_co_u32 v1, s1, s1, v65
	s_delay_alu instid0(VALU_DEP_1) | instskip(SKIP_1) | instid1(VALU_DEP_3)
	v_add_co_ci_u32_e64 v2, null, s2, 0, s1
	v_lshlrev_b64 v[3:4], 1, v[3:4]
	v_add_co_u32 v23, vcc_lo, v1, v5
	v_add_nc_u32_e32 v5, 8, v7
	s_delay_alu instid0(VALU_DEP_4) | instskip(NEXT) | instid1(VALU_DEP_4)
	v_add_co_ci_u32_e32 v24, vcc_lo, v2, v6, vcc_lo
	v_add_co_u32 v27, vcc_lo, v1, v3
	s_delay_alu instid0(VALU_DEP_3)
	v_mul_lo_u32 v29, v5, s0
	v_add_co_ci_u32_e32 v28, vcc_lo, v2, v4, vcc_lo
	ds_load_b128 v[3:6], v19
	ds_load_b128 v[7:10], v19 offset:128
	v_lshlrev_b64 v[31:32], 1, v[11:12]
	ds_load_b128 v[11:14], v19 offset:256
	ds_load_b128 v[15:18], v19 offset:384
	;; [unrolled: 1-line block ×3, first 2 shown]
	v_ashrrev_i32_e32 v26, 31, v25
	v_ashrrev_i32_e32 v30, 31, v29
	v_add_co_u32 v31, vcc_lo, v1, v31
	s_delay_alu instid0(VALU_DEP_3) | instskip(NEXT) | instid1(VALU_DEP_3)
	v_lshlrev_b64 v[25:26], 1, v[25:26]
	v_lshlrev_b64 v[29:30], 1, v[29:30]
	v_add_co_ci_u32_e32 v32, vcc_lo, v2, v32, vcc_lo
	s_delay_alu instid0(VALU_DEP_3) | instskip(NEXT) | instid1(VALU_DEP_4)
	v_add_co_u32 v25, vcc_lo, v1, v25
	v_add_co_ci_u32_e32 v26, vcc_lo, v2, v26, vcc_lo
	s_delay_alu instid0(VALU_DEP_4)
	v_add_co_u32 v29, vcc_lo, v1, v29
	v_add_co_ci_u32_e32 v30, vcc_lo, v2, v30, vcc_lo
	s_waitcnt lgkmcnt(4)
	global_store_b128 v[23:24], v[3:6], off
	s_waitcnt lgkmcnt(3)
	global_store_b128 v[27:28], v[7:10], off
	;; [unrolled: 2-line block ×5, first 2 shown]
	s_and_b32 exec_lo, exec_lo, s3
	s_cbranch_execz .LBB860_2
; %bb.16:
	ds_load_b128 v[3:6], v0 offset:640
	s_add_i32 s1, s33, 10
	s_delay_alu instid0(SALU_CYCLE_1) | instskip(NEXT) | instid1(SALU_CYCLE_1)
	s_mul_i32 s0, s1, s0
	s_ashr_i32 s1, s0, 31
	s_delay_alu instid0(SALU_CYCLE_1) | instskip(NEXT) | instid1(SALU_CYCLE_1)
	s_lshl_b64 s[0:1], s[0:1], 1
	v_add_co_u32 v0, vcc_lo, v1, s0
	v_add_co_ci_u32_e32 v1, vcc_lo, s1, v2, vcc_lo
	s_waitcnt lgkmcnt(0)
	global_store_b128 v[0:1], v[3:6], off
	s_nop 0
	s_sendmsg sendmsg(MSG_DEALLOC_VGPRS)
	s_endpgm
	.section	.rodata,"a",@progbits
	.p2align	6, 0x0
	.amdhsa_kernel _Z39paged_attention_ll4mi_QKV_mfma16_kernelIDF16_hLN4vllm18Fp8KVCacheDataTypeE1EhLi32ELi64ELi256ELb1ELi11EL8MFMAType1EEvPKT_PKT0_S8_ifPKiSA_SA_iPKfiiiPfSD_PS3_PT2_iSC_SC_
		.amdhsa_group_segment_fixed_size 17472
		.amdhsa_private_segment_fixed_size 0
		.amdhsa_kernarg_size 400
		.amdhsa_user_sgpr_count 13
		.amdhsa_user_sgpr_dispatch_ptr 0
		.amdhsa_user_sgpr_queue_ptr 0
		.amdhsa_user_sgpr_kernarg_segment_ptr 1
		.amdhsa_user_sgpr_dispatch_id 0
		.amdhsa_user_sgpr_private_segment_size 0
		.amdhsa_wavefront_size32 1
		.amdhsa_uses_dynamic_stack 0
		.amdhsa_enable_private_segment 0
		.amdhsa_system_sgpr_workgroup_id_x 1
		.amdhsa_system_sgpr_workgroup_id_y 1
		.amdhsa_system_sgpr_workgroup_id_z 1
		.amdhsa_system_sgpr_workgroup_info 0
		.amdhsa_system_vgpr_workitem_id 0
		.amdhsa_next_free_vgpr 146
		.amdhsa_next_free_sgpr 37
		.amdhsa_reserve_vcc 1
		.amdhsa_float_round_mode_32 0
		.amdhsa_float_round_mode_16_64 0
		.amdhsa_float_denorm_mode_32 3
		.amdhsa_float_denorm_mode_16_64 3
		.amdhsa_dx10_clamp 1
		.amdhsa_ieee_mode 1
		.amdhsa_fp16_overflow 0
		.amdhsa_workgroup_processor_mode 1
		.amdhsa_memory_ordered 1
		.amdhsa_forward_progress 0
		.amdhsa_shared_vgpr_count 0
		.amdhsa_exception_fp_ieee_invalid_op 0
		.amdhsa_exception_fp_denorm_src 0
		.amdhsa_exception_fp_ieee_div_zero 0
		.amdhsa_exception_fp_ieee_overflow 0
		.amdhsa_exception_fp_ieee_underflow 0
		.amdhsa_exception_fp_ieee_inexact 0
		.amdhsa_exception_int_div_zero 0
	.end_amdhsa_kernel
	.section	.text._Z39paged_attention_ll4mi_QKV_mfma16_kernelIDF16_hLN4vllm18Fp8KVCacheDataTypeE1EhLi32ELi64ELi256ELb1ELi11EL8MFMAType1EEvPKT_PKT0_S8_ifPKiSA_SA_iPKfiiiPfSD_PS3_PT2_iSC_SC_,"axG",@progbits,_Z39paged_attention_ll4mi_QKV_mfma16_kernelIDF16_hLN4vllm18Fp8KVCacheDataTypeE1EhLi32ELi64ELi256ELb1ELi11EL8MFMAType1EEvPKT_PKT0_S8_ifPKiSA_SA_iPKfiiiPfSD_PS3_PT2_iSC_SC_,comdat
.Lfunc_end860:
	.size	_Z39paged_attention_ll4mi_QKV_mfma16_kernelIDF16_hLN4vllm18Fp8KVCacheDataTypeE1EhLi32ELi64ELi256ELb1ELi11EL8MFMAType1EEvPKT_PKT0_S8_ifPKiSA_SA_iPKfiiiPfSD_PS3_PT2_iSC_SC_, .Lfunc_end860-_Z39paged_attention_ll4mi_QKV_mfma16_kernelIDF16_hLN4vllm18Fp8KVCacheDataTypeE1EhLi32ELi64ELi256ELb1ELi11EL8MFMAType1EEvPKT_PKT0_S8_ifPKiSA_SA_iPKfiiiPfSD_PS3_PT2_iSC_SC_
                                        ; -- End function
	.section	.AMDGPU.csdata,"",@progbits
; Kernel info:
; codeLenInByte = 6648
; NumSgprs: 39
; NumVgprs: 146
; ScratchSize: 0
; MemoryBound: 0
; FloatMode: 240
; IeeeMode: 1
; LDSByteSize: 17472 bytes/workgroup (compile time only)
; SGPRBlocks: 4
; VGPRBlocks: 18
; NumSGPRsForWavesPerEU: 39
; NumVGPRsForWavesPerEU: 146
; Occupancy: 9
; WaveLimiterHint : 1
; COMPUTE_PGM_RSRC2:SCRATCH_EN: 0
; COMPUTE_PGM_RSRC2:USER_SGPR: 13
; COMPUTE_PGM_RSRC2:TRAP_HANDLER: 0
; COMPUTE_PGM_RSRC2:TGID_X_EN: 1
; COMPUTE_PGM_RSRC2:TGID_Y_EN: 1
; COMPUTE_PGM_RSRC2:TGID_Z_EN: 1
; COMPUTE_PGM_RSRC2:TIDIG_COMP_CNT: 0
	.section	.text._Z39paged_attention_ll4mi_QKV_mfma16_kernelIDF16_hLN4vllm18Fp8KVCacheDataTypeE1EhLi32ELi64ELi256ELb1ELi12EL8MFMAType1EEvPKT_PKT0_S8_ifPKiSA_SA_iPKfiiiPfSD_PS3_PT2_iSC_SC_,"axG",@progbits,_Z39paged_attention_ll4mi_QKV_mfma16_kernelIDF16_hLN4vllm18Fp8KVCacheDataTypeE1EhLi32ELi64ELi256ELb1ELi12EL8MFMAType1EEvPKT_PKT0_S8_ifPKiSA_SA_iPKfiiiPfSD_PS3_PT2_iSC_SC_,comdat
	.protected	_Z39paged_attention_ll4mi_QKV_mfma16_kernelIDF16_hLN4vllm18Fp8KVCacheDataTypeE1EhLi32ELi64ELi256ELb1ELi12EL8MFMAType1EEvPKT_PKT0_S8_ifPKiSA_SA_iPKfiiiPfSD_PS3_PT2_iSC_SC_ ; -- Begin function _Z39paged_attention_ll4mi_QKV_mfma16_kernelIDF16_hLN4vllm18Fp8KVCacheDataTypeE1EhLi32ELi64ELi256ELb1ELi12EL8MFMAType1EEvPKT_PKT0_S8_ifPKiSA_SA_iPKfiiiPfSD_PS3_PT2_iSC_SC_
	.globl	_Z39paged_attention_ll4mi_QKV_mfma16_kernelIDF16_hLN4vllm18Fp8KVCacheDataTypeE1EhLi32ELi64ELi256ELb1ELi12EL8MFMAType1EEvPKT_PKT0_S8_ifPKiSA_SA_iPKfiiiPfSD_PS3_PT2_iSC_SC_
	.p2align	8
	.type	_Z39paged_attention_ll4mi_QKV_mfma16_kernelIDF16_hLN4vllm18Fp8KVCacheDataTypeE1EhLi32ELi64ELi256ELb1ELi12EL8MFMAType1EEvPKT_PKT0_S8_ifPKiSA_SA_iPKfiiiPfSD_PS3_PT2_iSC_SC_,@function
_Z39paged_attention_ll4mi_QKV_mfma16_kernelIDF16_hLN4vllm18Fp8KVCacheDataTypeE1EhLi32ELi64ELi256ELb1ELi12EL8MFMAType1EEvPKT_PKT0_S8_ifPKiSA_SA_iPKfiiiPfSD_PS3_PT2_iSC_SC_: ; @_Z39paged_attention_ll4mi_QKV_mfma16_kernelIDF16_hLN4vllm18Fp8KVCacheDataTypeE1EhLi32ELi64ELi256ELb1ELi12EL8MFMAType1EEvPKT_PKT0_S8_ifPKiSA_SA_iPKfiiiPfSD_PS3_PT2_iSC_SC_
; %bb.0:
	s_load_b64 s[2:3], s[0:1], 0x30
	s_mov_b32 s34, s13
	s_waitcnt lgkmcnt(0)
	s_cmp_lg_u64 s[2:3], 0
	s_cselect_b32 s6, -1, 0
	s_ashr_i32 s35, s13, 31
	s_cmp_eq_u64 s[2:3], 0
	s_cbranch_scc1 .LBB861_3
; %bb.1:
	s_lshl_b64 s[4:5], s[34:35], 2
	s_delay_alu instid0(SALU_CYCLE_1) | instskip(SKIP_4) | instid1(SALU_CYCLE_1)
	s_add_u32 s4, s2, s4
	s_addc_u32 s5, s3, s5
	s_load_b64 s[4:5], s[4:5], 0x0
	s_waitcnt lgkmcnt(0)
	s_sub_i32 s4, s5, s4
	s_cmp_eq_u32 s4, 1
	s_cselect_b32 s4, -1, 0
	s_delay_alu instid0(SALU_CYCLE_1)
	s_and_not1_b32 vcc_lo, exec_lo, s4
	s_cbranch_vccz .LBB861_4
.LBB861_2:
	s_endpgm
.LBB861_3:
.LBB861_4:
	s_load_b64 s[8:9], s[0:1], 0x28
	s_lshl_b64 s[4:5], s[34:35], 2
	s_waitcnt lgkmcnt(0)
	s_add_u32 s8, s8, s4
	s_addc_u32 s9, s9, s5
	s_lshl_b32 s16, s14, 8
	s_load_b32 s18, s[8:9], 0x0
	s_waitcnt lgkmcnt(0)
	s_cmp_ge_i32 s16, s18
	s_cbranch_scc1 .LBB861_2
; %bb.5:
	s_clause 0x1
	s_load_b128 s[8:11], s[0:1], 0x8
	s_load_b64 s[12:13], s[0:1], 0x20
	s_and_not1_b32 vcc_lo, exec_lo, s6
	s_cbranch_vccnz .LBB861_7
; %bb.6:
	s_add_u32 s2, s2, s4
	s_addc_u32 s3, s3, s5
	s_load_b32 s3, s[2:3], 0x0
	s_branch .LBB861_8
.LBB861_7:
	s_mov_b32 s3, s34
.LBB861_8:
	s_load_b128 s[4:7], s[0:1], 0x48
	v_and_b32_e32 v68, 15, v0
	v_cmp_gt_u32_e32 vcc_lo, 0xc0, v0
	v_lshrrev_b32_e32 v69, 5, v0
	v_and_b32_e32 v70, 31, v0
	v_and_b32_e32 v67, 1, v0
	v_lshlrev_b32_e32 v1, 3, v68
	v_cmp_gt_u32_e64 s2, 8, v68
	v_bfe_u32 v66, v0, 4, 1
	s_mul_i32 s31, s15, 12
	s_delay_alu instid0(VALU_DEP_3) | instskip(NEXT) | instid1(VALU_DEP_3)
	v_lshlrev_b32_e32 v65, 1, v1
	s_and_b32 s17, vcc_lo, s2
	s_waitcnt lgkmcnt(0)
	s_and_saveexec_b32 s7, s17
	s_cbranch_execz .LBB861_10
; %bb.9:
	s_load_b64 s[20:21], s[0:1], 0x0
	v_lshl_or_b32 v5, v69, 1, v66
	s_mul_hi_i32 s23, s3, s4
	s_mul_i32 s22, s3, s4
	v_lshlrev_b32_e32 v6, 10, v68
	s_lshl_b64 s[22:23], s[22:23], 1
	v_add_lshl_u32 v1, v5, s31, 6
	v_lshlrev_b32_e32 v5, 6, v5
	v_lshlrev_b32_e32 v7, 10, v67
	v_and_b32_e32 v6, 0x3800, v6
	s_delay_alu instid0(VALU_DEP_4) | instskip(NEXT) | instid1(VALU_DEP_2)
	v_ashrrev_i32_e32 v2, 31, v1
	v_or3_b32 v5, v6, v7, v5
	s_delay_alu instid0(VALU_DEP_2) | instskip(SKIP_3) | instid1(VALU_DEP_1)
	v_lshlrev_b64 v[1:2], 1, v[1:2]
	s_waitcnt lgkmcnt(0)
	s_add_u32 s3, s20, s22
	s_addc_u32 s4, s21, s23
	v_add_co_u32 v1, vcc_lo, s3, v1
	s_delay_alu instid0(VALU_DEP_2) | instskip(NEXT) | instid1(VALU_DEP_2)
	v_add_co_ci_u32_e32 v2, vcc_lo, s4, v2, vcc_lo
	v_add_co_u32 v1, vcc_lo, v1, v65
	s_delay_alu instid0(VALU_DEP_2)
	v_add_co_ci_u32_e32 v2, vcc_lo, 0, v2, vcc_lo
	global_load_b128 v[1:4], v[1:2], off
	s_waitcnt vmcnt(0)
	ds_store_b128 v5, v[1:4]
.LBB861_10:
	s_or_b32 exec_lo, exec_lo, s7
	v_and_b32_e32 v1, 0xef, v0
	s_add_i32 s3, s18, 31
	s_clause 0x1
	s_load_b32 s4, s[0:1], 0x38
	s_load_b32 s33, s[0:1], 0x98
	s_ashr_i32 s7, s3, 31
	v_add_nc_u32_e32 v1, s16, v1
	s_lshr_b32 s7, s7, 27
	s_load_b32 s19, s[0:1], 0x1c
	v_add_nc_u32_e32 v103, -12, v68
	s_add_i32 s3, s3, s7
	v_ashrrev_i32_e32 v2, 31, v1
	v_or_b32_e32 v3, 16, v1
	s_ashr_i32 s3, s3, 5
	v_cmp_gt_i32_e32 vcc_lo, s18, v1
	s_add_i32 s3, s3, -1
	v_lshrrev_b32_e32 v2, 27, v2
	s_waitcnt lgkmcnt(0)
	s_barrier
	buffer_gl0_inv
	s_mul_i32 s15, s15, s6
	v_add_nc_u32_e32 v4, v1, v2
	v_mbcnt_lo_u32_b32 v127, -1, 0
	s_mul_i32 s20, s34, s4
	s_delay_alu instid0(SALU_CYCLE_1) | instskip(NEXT) | instid1(VALU_DEP_2)
	s_ashr_i32 s21, s20, 31
	v_ashrrev_i32_e32 v4, 5, v4
	v_add_nc_u32_e32 v2, v3, v2
	s_lshl_b64 s[20:21], s[20:21], 2
	v_xor_b32_e32 v128, 16, v127
	s_add_u32 s17, s12, s20
	v_cndmask_b32_e32 v1, s3, v4, vcc_lo
	v_ashrrev_i32_e32 v2, 5, v2
	v_cmp_gt_i32_e32 vcc_lo, s18, v3
	s_addc_u32 s13, s13, s21
	s_ashr_i32 s20, s15, 31
	s_add_u32 s22, s8, s15
	s_addc_u32 s23, s9, s20
	v_cndmask_b32_e32 v3, s3, v2, vcc_lo
	v_ashrrev_i32_e32 v2, 31, v1
	s_lshl_b32 s6, s14, 3
	s_delay_alu instid0(SALU_CYCLE_1) | instskip(NEXT) | instid1(VALU_DEP_2)
	s_ashr_i32 s7, s6, 31
	v_ashrrev_i32_e32 v4, 31, v3
	s_delay_alu instid0(VALU_DEP_2) | instskip(SKIP_1) | instid1(SALU_CYCLE_1)
	v_lshlrev_b64 v[1:2], 2, v[1:2]
	s_lshl_b64 s[6:7], s[6:7], 2
	s_add_u32 s6, s17, s6
	s_delay_alu instid0(VALU_DEP_2) | instskip(SKIP_1) | instid1(VALU_DEP_2)
	v_lshlrev_b64 v[3:4], 2, v[3:4]
	s_addc_u32 s7, s13, s7
	v_add_co_u32 v1, vcc_lo, s17, v1
	v_add_co_ci_u32_e32 v2, vcc_lo, s13, v2, vcc_lo
	s_delay_alu instid0(VALU_DEP_3) | instskip(NEXT) | instid1(VALU_DEP_4)
	v_add_co_u32 v3, vcc_lo, s17, v3
	v_add_co_ci_u32_e32 v4, vcc_lo, s13, v4, vcc_lo
	s_clause 0x1
	global_load_b32 v5, v[1:2], off
	global_load_b32 v6, v[3:4], off
	s_or_b32 s4, s16, 32
	s_delay_alu instid0(SALU_CYCLE_1) | instskip(SKIP_2) | instid1(SALU_CYCLE_1)
	s_ashr_i32 s8, s4, 5
	s_cmp_lt_i32 s4, s18
	s_cselect_b32 s8, s8, s3
	s_ashr_i32 s9, s8, 31
	s_delay_alu instid0(SALU_CYCLE_1) | instskip(NEXT) | instid1(SALU_CYCLE_1)
	s_lshl_b64 s[8:9], s[8:9], 2
	s_add_u32 s8, s17, s8
	s_addc_u32 s9, s13, s9
	s_or_b32 s4, s16, 64
	s_delay_alu instid0(SALU_CYCLE_1) | instskip(SKIP_2) | instid1(SALU_CYCLE_1)
	s_ashr_i32 s12, s4, 5
	s_cmp_lt_i32 s4, s18
	s_cselect_b32 s24, s12, s3
	s_ashr_i32 s25, s24, 31
	s_delay_alu instid0(SALU_CYCLE_1) | instskip(NEXT) | instid1(SALU_CYCLE_1)
	s_lshl_b64 s[24:25], s[24:25], 2
	s_add_u32 s24, s17, s24
	s_addc_u32 s25, s13, s25
	;; [unrolled: 10-line block ×5, first 2 shown]
	s_clause 0x5
	s_load_b32 s12, s[6:7], 0x0
	s_load_b32 s4, s[8:9], 0x0
	;; [unrolled: 1-line block ×6, first 2 shown]
	s_or_b32 s21, s16, 0xc0
	s_waitcnt vmcnt(1)
	v_mad_i64_i32 v[1:2], null, v5, s5, s[22:23]
	v_lshlrev_b32_e32 v5, 4, v68
	s_waitcnt vmcnt(0)
	v_mad_i64_i32 v[3:4], null, v6, s5, s[22:23]
	s_ashr_i32 s22, s21, 5
	s_cmp_lt_i32 s21, s18
	s_delay_alu instid0(VALU_DEP_3) | instskip(NEXT) | instid1(VALU_DEP_4)
	v_add_co_u32 v1, vcc_lo, v1, v5
	v_add_co_ci_u32_e32 v2, vcc_lo, 0, v2, vcc_lo
	s_delay_alu instid0(VALU_DEP_3) | instskip(NEXT) | instid1(VALU_DEP_4)
	v_add_co_u32 v3, vcc_lo, v3, v5
	v_add_co_ci_u32_e32 v4, vcc_lo, 0, v4, vcc_lo
	s_clause 0x7
	global_load_b128 v[71:74], v[1:2], off
	global_load_b128 v[75:78], v[1:2], off offset:512
	global_load_b128 v[79:82], v[3:4], off offset:256
	;; [unrolled: 1-line block ×7, first 2 shown]
	s_cselect_b32 s22, s22, s3
	v_lshlrev_b32_e32 v1, 5, v68
	s_ashr_i32 s23, s22, 31
	v_cmp_gt_u32_e32 vcc_lo, 12, v68
	s_lshl_b64 s[22:23], s[22:23], 2
	s_delay_alu instid0(SALU_CYCLE_1)
	s_add_u32 s22, s17, s22
	s_addc_u32 s23, s13, s23
	s_or_b32 s21, s16, 0xe0
	v_lshl_or_b32 v1, v69, 9, v1
	s_ashr_i32 s24, s21, 5
	s_cmp_lt_i32 s21, s18
	v_cndmask_b32_e32 v103, v103, v68, vcc_lo
	s_cselect_b32 s24, s24, s3
	s_load_b32 s3, s[22:23], 0x0
	s_ashr_i32 s25, s24, 31
	v_cmp_gt_i32_e32 vcc_lo, 32, v128
	s_lshl_b64 s[24:25], s[24:25], 2
	v_lshlrev_b32_e32 v115, 6, v103
	s_add_u32 s22, s17, s24
	s_addc_u32 s23, s13, s25
	v_cndmask_b32_e32 v136, v127, v128, vcc_lo
	s_add_u32 s10, s10, s15
	s_addc_u32 s11, s11, s20
	v_add_co_u32 v1, s10, s10, v1
	s_delay_alu instid0(VALU_DEP_1) | instskip(SKIP_2) | instid1(VALU_DEP_1)
	v_add_co_ci_u32_e64 v2, null, s11, 0, s10
	s_load_b32 s10, s[22:23], 0x0
	s_waitcnt lgkmcnt(0)
	v_mad_i64_i32 v[3:4], null, s12, s5, v[1:2]
	v_mad_i64_i32 v[9:10], null, s7, s5, v[1:2]
	;; [unrolled: 1-line block ×7, first 2 shown]
	s_clause 0x5
	global_load_b128 v[49:52], v[3:4], off
	global_load_b128 v[53:56], v[3:4], off offset:16
	global_load_b128 v[41:44], v[5:6], off
	global_load_b128 v[45:48], v[5:6], off offset:16
	;; [unrolled: 2-line block ×3, first 2 shown]
	s_mov_b32 s4, 0
	v_mad_i64_i32 v[61:62], null, s10, s5, v[1:2]
	s_clause 0x9
	global_load_b128 v[1:4], v[9:10], off
	global_load_b128 v[5:8], v[9:10], off offset:16
	global_load_b128 v[9:12], v[13:14], off
	global_load_b128 v[13:16], v[13:14], off offset:16
	;; [unrolled: 2-line block ×5, first 2 shown]
	s_mov_b32 s5, s4
	s_mov_b32 s6, s4
	;; [unrolled: 1-line block ×7, first 2 shown]
	v_and_b32_e32 v104, 0xe0, v0
	v_dual_mov_b32 v126, s11 :: v_dual_mov_b32 v125, s10
	v_dual_mov_b32 v124, s9 :: v_dual_mov_b32 v123, s8
	s_delay_alu instid0(VALU_DEP_3)
	v_add_nc_u32_e32 v111, s16, v104
	ds_load_b128 v[103:106], v115
	ds_load_b128 v[107:110], v115 offset:1024
	v_dual_mov_b32 v122, s7 :: v_dual_mov_b32 v121, s6
	v_mov_b32_e32 v120, s5
	v_or_b32_e32 v135, v111, v66
	ds_load_b128 v[111:114], v115 offset:2048
	ds_load_b128 v[115:118], v115 offset:3072
	v_mov_b32_e32 v119, s4
	s_waitcnt vmcnt(0) lgkmcnt(0)
	s_barrier
	v_or_b32_e32 v137, 2, v135
	v_or_b32_e32 v138, 4, v135
	;; [unrolled: 1-line block ×3, first 2 shown]
	v_cmp_gt_i32_e32 vcc_lo, s18, v135
	v_or_b32_e32 v140, 8, v135
	v_cmp_gt_i32_e64 s3, s18, v137
	v_or_b32_e32 v141, 10, v135
	v_cmp_gt_i32_e64 s4, s18, v138
	v_cmp_gt_i32_e64 s5, s18, v139
	v_or_b32_e32 v142, 12, v135
	v_or_b32_e32 v143, 14, v135
	v_cmp_gt_i32_e64 s6, s18, v140
	v_cmp_gt_i32_e64 s7, s18, v141
	v_or_b32_e32 v144, 16, v135
	v_or_b32_e32 v145, 18, v135
	v_cmp_gt_i32_e64 s8, s18, v142
	v_cmp_gt_i32_e64 s9, s18, v143
	buffer_gl0_inv
	v_cmp_gt_i32_e64 s10, s18, v144
	v_cmp_gt_i32_e64 s11, s18, v145
	v_wmma_f32_16x16x16_f16 v[127:134], v[71:78], v[103:110], v[119:126]
	v_wmma_f32_16x16x16_f16 v[119:126], v[79:86], v[103:110], v[119:126]
	v_or_b32_e32 v71, 20, v135
	v_or_b32_e32 v72, 22, v135
	s_delay_alu instid0(VALU_DEP_4)
	v_wmma_f32_16x16x16_f16 v[127:134], v[87:94], v[111:118], v[127:134]
	v_or_b32_e32 v73, 24, v135
	v_wmma_f32_16x16x16_f16 v[119:126], v[95:102], v[111:118], v[119:126]
	v_or_b32_e32 v74, 26, v135
	v_cmp_gt_i32_e64 s12, s18, v71
	v_dual_mul_f32 v83, s19, v128 :: v_dual_mul_f32 v84, s19, v127
	s_delay_alu instid0(VALU_DEP_4) | instskip(SKIP_1) | instid1(VALU_DEP_3)
	v_dual_mul_f32 v81, s19, v130 :: v_dual_mul_f32 v92, s19, v119
	v_mul_f32_e32 v82, s19, v129
	v_cndmask_b32_e64 v83, 0xff7fffff, v83, s3
	s_delay_alu instid0(VALU_DEP_4)
	v_cndmask_b32_e32 v84, 0xff7fffff, v84, vcc_lo
	v_dual_mul_f32 v79, s19, v132 :: v_dual_mul_f32 v90, s19, v121
	v_mul_f32_e32 v80, s19, v131
	v_cndmask_b32_e64 v82, 0xff7fffff, v82, s4
	v_cndmask_b32_e64 v81, 0xff7fffff, v81, s5
	v_max3_f32 v83, v84, 0xff7fffff, v83
	v_dual_mul_f32 v77, s19, v134 :: v_dual_mul_f32 v88, s19, v123
	v_mul_f32_e32 v78, s19, v133
	v_cndmask_b32_e64 v80, 0xff7fffff, v80, s6
	v_cndmask_b32_e64 v79, 0xff7fffff, v79, s7
	v_max3_f32 v81, v83, v82, v81
	v_mul_f32_e32 v91, s19, v120
	v_cndmask_b32_e64 v78, 0xff7fffff, v78, s8
	v_cndmask_b32_e64 v77, 0xff7fffff, v77, s9
	v_mul_f32_e32 v89, s19, v122
	v_max3_f32 v79, v81, v80, v79
	v_cndmask_b32_e64 v80, 0xff7fffff, v92, s10
	v_cndmask_b32_e64 v81, 0xff7fffff, v91, s11
	v_cmp_gt_i32_e64 s13, s18, v72
	v_or_b32_e32 v75, 28, v135
	v_max3_f32 v77, v79, v78, v77
	v_or_b32_e32 v76, 30, v135
	v_mul_f32_e32 v87, s19, v124
	v_cndmask_b32_e64 v71, 0xff7fffff, v90, s12
	v_cndmask_b32_e64 v72, 0xff7fffff, v89, s13
	v_max3_f32 v77, v77, v80, v81
	v_cmp_gt_i32_e64 s15, s18, v73
	v_cmp_gt_i32_e64 s16, s18, v74
	v_dual_mul_f32 v85, s19, v126 :: v_dual_mul_f32 v86, s19, v125
	s_delay_alu instid0(VALU_DEP_4) | instskip(NEXT) | instid1(VALU_DEP_4)
	v_max3_f32 v71, v77, v71, v72
	v_cndmask_b32_e64 v73, 0xff7fffff, v88, s15
	s_delay_alu instid0(VALU_DEP_4) | instskip(SKIP_2) | instid1(VALU_DEP_3)
	v_cndmask_b32_e64 v74, 0xff7fffff, v87, s16
	v_cmp_gt_i32_e64 s17, s18, v75
	v_cmp_gt_i32_e64 s18, s18, v76
	v_max3_f32 v71, v71, v73, v74
	s_delay_alu instid0(VALU_DEP_3) | instskip(NEXT) | instid1(VALU_DEP_3)
	v_cndmask_b32_e64 v72, 0xff7fffff, v86, s17
	v_cndmask_b32_e64 v75, 0xff7fffff, v85, s18
	v_lshlrev_b32_e32 v73, 2, v136
	s_delay_alu instid0(VALU_DEP_2) | instskip(SKIP_3) | instid1(VALU_DEP_1)
	v_max3_f32 v71, v71, v72, v75
	ds_bpermute_b32 v72, v73, v71
	s_waitcnt lgkmcnt(0)
	v_max_f32_e32 v72, v72, v72
	v_max_f32_e32 v71, v71, v72
	s_delay_alu instid0(VALU_DEP_1)
	v_fma_f32 v72, s19, v127, -v71
	v_fma_f32 v74, s19, v128, -v71
	;; [unrolled: 1-line block ×5, first 2 shown]
	v_mul_f32_e32 v72, 0x3fb8aa3b, v72
	v_mul_f32_e32 v74, 0x3fb8aa3b, v74
	v_fma_f32 v80, s19, v133, -v71
	s_delay_alu instid0(VALU_DEP_4) | instskip(NEXT) | instid1(VALU_DEP_4)
	v_dual_mul_f32 v76, 0x3fb8aa3b, v76 :: v_dual_mul_f32 v77, 0x3fb8aa3b, v77
	v_exp_f32_e32 v72, v72
	s_delay_alu instid0(VALU_DEP_3) | instskip(NEXT) | instid1(VALU_DEP_2)
	v_exp_f32_e32 v74, v74
	v_mul_f32_e32 v82, 0x3fb8aa3b, v80
	s_delay_alu instid0(VALU_DEP_2) | instskip(SKIP_1) | instid1(VALU_DEP_1)
	v_exp_f32_e32 v76, v76
	v_exp_f32_e32 v77, v77
	v_exp_f32_e32 v84, v82
	v_cndmask_b32_e32 v79, 0, v72, vcc_lo
	v_fma_f32 v72, s19, v132, -v71
	v_mul_f32_e32 v75, 0x3fb8aa3b, v75
	v_cndmask_b32_e64 v78, 0, v74, s3
	s_delay_alu instid0(TRANS32_DEP_3)
	v_cndmask_b32_e64 v80, 0, v76, s5
	v_add_f32_e32 v74, 0, v79
	v_mul_f32_e32 v72, 0x3fb8aa3b, v72
	v_exp_f32_e32 v75, v75
	v_cndmask_b32_e64 v83, 0, v77, s6
	v_cndmask_b32_e64 v85, 0, v84, s8
	v_add_f32_e32 v74, v74, v78
	v_exp_f32_e32 v72, v72
	s_mov_b32 s3, exec_lo
	s_waitcnt_depctr 0xfff
	v_cndmask_b32_e64 v81, 0, v75, s4
	v_cndmask_b32_e64 v82, 0, v72, s7
	s_delay_alu instid0(VALU_DEP_2) | instskip(NEXT) | instid1(VALU_DEP_1)
	v_add_f32_e32 v74, v74, v81
	v_add_f32_e32 v74, v74, v80
	s_delay_alu instid0(VALU_DEP_1) | instskip(SKIP_4) | instid1(VALU_DEP_4)
	v_add_f32_e32 v72, v74, v83
	v_fma_f32 v75, s19, v134, -v71
	v_fma_f32 v76, s19, v119, -v71
	;; [unrolled: 1-line block ×4, first 2 shown]
	v_dual_add_f32 v72, v72, v82 :: v_dual_mul_f32 v75, 0x3fb8aa3b, v75
	s_delay_alu instid0(VALU_DEP_3) | instskip(SKIP_1) | instid1(VALU_DEP_3)
	v_dual_mul_f32 v76, 0x3fb8aa3b, v76 :: v_dual_mul_f32 v77, 0x3fb8aa3b, v77
	v_fma_f32 v86, s19, v122, -v71
	v_add_f32_e32 v72, v72, v85
	s_delay_alu instid0(VALU_DEP_4) | instskip(NEXT) | instid1(VALU_DEP_3)
	v_exp_f32_e32 v75, v75
	v_exp_f32_e32 v76, v76
	;; [unrolled: 1-line block ×3, first 2 shown]
	v_mul_f32_e32 v86, 0x3fb8aa3b, v86
	s_delay_alu instid0(VALU_DEP_1) | instskip(SKIP_3) | instid1(TRANS32_DEP_3)
	v_exp_f32_e32 v88, v86
	v_cndmask_b32_e64 v84, 0, v75, s9
	v_fma_f32 v75, s19, v123, -v71
	v_mul_f32_e32 v74, 0x3fb8aa3b, v74
	v_cndmask_b32_e64 v87, 0, v76, s10
	v_fma_f32 v76, s19, v124, -v71
	s_delay_alu instid0(VALU_DEP_4) | instskip(NEXT) | instid1(VALU_DEP_4)
	v_dual_add_f32 v72, v72, v84 :: v_dual_mul_f32 v75, 0x3fb8aa3b, v75
	v_exp_f32_e32 v74, v74
	v_cndmask_b32_e64 v86, 0, v77, s11
	v_fma_f32 v77, s19, v125, -v71
	s_delay_alu instid0(VALU_DEP_3) | instskip(SKIP_3) | instid1(VALU_DEP_3)
	v_add_f32_e32 v72, v72, v87
	v_mul_f32_e32 v76, 0x3fb8aa3b, v76
	v_exp_f32_e32 v75, v75
	v_cndmask_b32_e64 v88, 0, v88, s13
	v_add_f32_e32 v72, v72, v86
	s_delay_alu instid0(VALU_DEP_3) | instskip(NEXT) | instid1(TRANS32_DEP_3)
	v_exp_f32_e32 v76, v76
	v_cndmask_b32_e64 v89, 0, v74, s12
	v_mul_f32_e32 v74, 0x3fb8aa3b, v77
	v_fma_f32 v77, s19, v126, -v71
	s_delay_alu instid0(VALU_DEP_3) | instskip(NEXT) | instid1(VALU_DEP_3)
	v_add_f32_e32 v72, v72, v89
	v_exp_f32_e32 v74, v74
	s_delay_alu instid0(TRANS32_DEP_3) | instskip(NEXT) | instid1(VALU_DEP_3)
	v_cndmask_b32_e64 v91, 0, v75, s15
	v_mul_f32_e32 v75, 0x3fb8aa3b, v77
	s_delay_alu instid0(TRANS32_DEP_2) | instskip(SKIP_1) | instid1(VALU_DEP_3)
	v_cndmask_b32_e64 v90, 0, v76, s16
	v_add_f32_e32 v72, v72, v88
	v_exp_f32_e32 v75, v75
	s_delay_alu instid0(VALU_DEP_1) | instskip(NEXT) | instid1(TRANS32_DEP_2)
	v_add_f32_e32 v72, v72, v91
	v_cndmask_b32_e64 v93, 0, v74, s17
	s_delay_alu instid0(VALU_DEP_2) | instskip(SKIP_3) | instid1(VALU_DEP_1)
	v_add_f32_e32 v72, v72, v90
	s_waitcnt_depctr 0xfff
	v_cndmask_b32_e64 v92, 0, v75, s18
	v_add_f32_e32 v72, v72, v93
	v_add_f32_e32 v72, v72, v92
	ds_bpermute_b32 v73, v73, v72
	v_cmpx_gt_u32_e32 16, v70
	s_cbranch_execz .LBB861_12
; %bb.11:
	v_mul_u32_u24_e32 v70, 0x44, v69
	s_waitcnt lgkmcnt(0)
	v_add_f32_e32 v72, v72, v73
	s_delay_alu instid0(VALU_DEP_2) | instskip(NEXT) | instid1(VALU_DEP_1)
	v_lshl_add_u32 v70, v68, 2, v70
	v_add_nc_u32_e32 v70, 0x4000, v70
	ds_store_2addr_b32 v70, v71, v72 offset1:136
.LBB861_12:
	s_or_b32 exec_lo, exec_lo, s3
	v_lshlrev_b32_e32 v70, 2, v68
	s_load_b32 s35, s[0:1], 0x94
	s_waitcnt lgkmcnt(0)
	s_barrier
	buffer_gl0_inv
	v_add_nc_u32_e32 v98, 0x4000, v70
	v_cmp_eq_u32_e32 vcc_lo, 1, v69
	v_cmp_eq_u32_e64 s3, 2, v69
	v_cmp_eq_u32_e64 s4, 3, v69
	;; [unrolled: 1-line block ×3, first 2 shown]
	ds_load_2addr_b32 v[70:71], v98 offset1:17
	ds_load_2addr_b32 v[72:73], v98 offset0:34 offset1:51
	ds_load_2addr_b32 v[74:75], v98 offset0:68 offset1:85
	;; [unrolled: 1-line block ×3, first 2 shown]
	v_cmp_eq_u32_e64 s6, 5, v69
	v_cmp_eq_u32_e64 s7, 7, v69
	s_waitcnt lgkmcnt(3)
	v_max3_f32 v76, v70, 0xff7fffff, v71
	s_waitcnt lgkmcnt(2)
	s_delay_alu instid0(VALU_DEP_1) | instskip(SKIP_1) | instid1(VALU_DEP_1)
	v_max3_f32 v76, v76, v72, v73
	s_waitcnt lgkmcnt(1)
	v_max3_f32 v76, v76, v74, v75
	s_waitcnt lgkmcnt(0)
	s_delay_alu instid0(VALU_DEP_1) | instskip(NEXT) | instid1(VALU_DEP_1)
	v_max3_f32 v76, v76, v94, v95
	v_sub_f32_e32 v77, v71, v76
	ds_load_2addr_b32 v[96:97], v98 offset0:136 offset1:153
	v_sub_f32_e32 v74, v74, v76
	v_sub_f32_e32 v70, v70, v76
	;; [unrolled: 1-line block ×3, first 2 shown]
	v_dual_sub_f32 v72, v72, v76 :: v_dual_mul_f32 v77, 0x3fb8aa3b, v77
	s_delay_alu instid0(VALU_DEP_4) | instskip(NEXT) | instid1(VALU_DEP_4)
	v_mul_f32_e32 v103, 0x3fb8aa3b, v74
	v_mul_f32_e32 v99, 0x3fb8aa3b, v70
	ds_load_2addr_b32 v[70:71], v98 offset0:170 offset1:187
	v_dual_mul_f32 v101, 0x3fb8aa3b, v72 :: v_dual_mul_f32 v94, 0x3fb8aa3b, v94
	v_exp_f32_e32 v102, v77
	v_exp_f32_e32 v99, v99
	s_delay_alu instid0(VALU_DEP_1) | instskip(NEXT) | instid1(VALU_DEP_1)
	v_exp_f32_e32 v101, v101
	v_exp_f32_e32 v94, v94
	s_waitcnt lgkmcnt(1)
	s_delay_alu instid0(TRANS32_DEP_3)
	v_fma_f32 v77, v99, v96, 0
	v_sub_f32_e32 v100, v73, v76
	ds_load_2addr_b32 v[72:73], v98 offset0:204 offset1:221
	v_fmac_f32_e32 v77, v102, v97
	v_exp_f32_e32 v97, v103
	s_waitcnt lgkmcnt(1)
	s_delay_alu instid0(VALU_DEP_1)
	v_dual_fmac_f32 v77, v101, v70 :: v_dual_sub_f32 v96, v75, v76
	ds_load_2addr_b32 v[74:75], v98 offset0:238 offset1:255
	v_sub_f32_e32 v70, v95, v76
	s_waitcnt lgkmcnt(0)
	s_barrier
	v_mul_f32_e32 v96, 0x3fb8aa3b, v96
	buffer_gl0_inv
	v_exp_f32_e32 v95, v96
	v_mul_f32_e32 v100, 0x3fb8aa3b, v100
	s_delay_alu instid0(VALU_DEP_1) | instskip(SKIP_3) | instid1(VALU_DEP_2)
	v_exp_f32_e32 v100, v100
	s_waitcnt_depctr 0xfff
	v_dual_fmac_f32 v77, v100, v71 :: v_dual_mul_f32 v70, 0x3fb8aa3b, v70
	v_cndmask_b32_e32 v71, v99, v102, vcc_lo
	v_fmac_f32_e32 v77, v97, v72
	s_delay_alu instid0(VALU_DEP_3) | instskip(NEXT) | instid1(VALU_DEP_1)
	v_exp_f32_e32 v96, v70
	v_fmac_f32_e32 v77, v95, v73
	s_delay_alu instid0(VALU_DEP_1) | instskip(SKIP_2) | instid1(VALU_DEP_1)
	v_fmac_f32_e32 v77, v94, v74
	s_waitcnt_depctr 0xfff
	v_fmac_f32_e32 v77, v96, v75
	v_add_f32_e32 v74, 0x358637bd, v77
	s_delay_alu instid0(VALU_DEP_1) | instskip(SKIP_1) | instid1(VALU_DEP_2)
	v_div_scale_f32 v98, null, v74, v74, 1.0
	v_div_scale_f32 v99, vcc_lo, 1.0, v74, 1.0
	v_rcp_f32_e32 v103, v98
	s_waitcnt_depctr 0xfff
	v_fma_f32 v70, -v98, v103, 1.0
	s_delay_alu instid0(VALU_DEP_1) | instskip(SKIP_2) | instid1(VALU_DEP_2)
	v_fmac_f32_e32 v103, v70, v103
	v_cndmask_b32_e64 v70, v71, v101, s3
	v_cmp_eq_u32_e64 s3, 6, v69
	v_cndmask_b32_e64 v71, v70, v100, s4
	s_delay_alu instid0(VALU_DEP_4) | instskip(NEXT) | instid1(VALU_DEP_2)
	v_dual_mul_f32 v101, v99, v103 :: v_dual_lshlrev_b32 v70, 2, v66
	v_cndmask_b32_e64 v71, v71, v97, s5
	s_delay_alu instid0(VALU_DEP_2) | instskip(NEXT) | instid1(VALU_DEP_3)
	v_or_b32_e32 v72, 1, v70
	v_fma_f32 v100, -v98, v101, v99
	v_cmp_eq_u32_e64 s4, 1, v70
	v_cmp_eq_u32_e64 s5, 2, v70
	v_cndmask_b32_e64 v95, v71, v95, s6
	v_or_b32_e32 v71, 3, v70
	v_fmac_f32_e32 v101, v100, v103
	v_cmp_eq_u32_e64 s9, 1, v72
	v_cmp_eq_u32_e64 s12, 2, v72
	v_cndmask_b32_e64 v94, v95, v94, s3
	v_cmp_eq_u32_e64 s11, 1, v71
	v_fma_f32 v97, -v98, v101, v99
	v_cmp_eq_u32_e64 s16, 2, v71
	v_cmp_eq_u32_e64 s13, 3, v72
	v_cndmask_b32_e64 v94, v94, v96, s7
	v_cmp_eq_u32_e64 s18, 3, v71
	v_div_fmas_f32 v95, v97, v103, v101
	v_cmp_eq_u32_e32 vcc_lo, 3, v70
	v_cmp_eq_u32_e64 s3, 4, v70
	v_cmp_eq_u32_e64 s19, 4, v72
	;; [unrolled: 1-line block ×3, first 2 shown]
	v_div_fixup_f32 v95, v95, v74, 1.0
	v_lshlrev_b32_e32 v73, 6, v68
	v_cmp_eq_u32_e64 s6, 5, v70
	v_cmp_eq_u32_e64 s20, 5, v72
	;; [unrolled: 1-line block ×3, first 2 shown]
	v_mul_f32_e32 v102, v94, v95
	v_lshl_or_b32 v75, v69, 11, v73
	v_or_b32_e32 v69, 2, v70
	v_cmp_eq_u32_e64 s25, 6, v72
	v_cmp_eq_u32_e64 s27, 6, v71
	v_fma_mixlo_f16 v94, v102, v79, 0
	v_fma_mixlo_f16 v95, v102, v81, 0
	;; [unrolled: 1-line block ×8, first 2 shown]
	v_lshl_or_b32 v74, v66, 4, v75
	v_fma_mixhi_f16 v94, v102, v78, 0
	v_fma_mixhi_f16 v95, v102, v80, 0
	;; [unrolled: 1-line block ×8, first 2 shown]
	ds_store_b128 v74, v[94:97]
	ds_store_b128 v74, v[98:101] offset:1024
	s_waitcnt lgkmcnt(0)
	s_barrier
	buffer_gl0_inv
	ds_load_b128 v[78:81], v75
	ds_load_b128 v[82:85], v75 offset:16
	ds_load_b128 v[86:89], v75 offset:1024
	;; [unrolled: 1-line block ×3, first 2 shown]
	v_cmp_eq_u32_e64 s10, 1, v69
	v_cmp_eq_u32_e64 s15, 2, v69
	;; [unrolled: 1-line block ×11, first 2 shown]
	s_waitcnt lgkmcnt(3)
	v_lshrrev_b32_e32 v94, 16, v78
	s_waitcnt lgkmcnt(2)
	v_lshrrev_b32_e32 v98, 16, v82
	;; [unrolled: 2-line block ×4, first 2 shown]
	v_lshrrev_b32_e32 v95, 16, v79
	v_cndmask_b32_e64 v110, v78, v94, s4
	v_cndmask_b32_e64 v111, v82, v98, s4
	;; [unrolled: 1-line block ×8, first 2 shown]
	v_lshrrev_b32_e32 v99, 16, v83
	v_cndmask_b32_e64 v94, v86, v102, s4
	v_cndmask_b32_e64 v98, v90, v106, s4
	;; [unrolled: 1-line block ×15, first 2 shown]
	v_lshrrev_b32_e32 v103, 16, v87
	v_lshrrev_b32_e32 v107, 16, v91
	v_cndmask_b32_e64 v113, v115, v83, s15
	v_cndmask_b32_e64 v82, v94, v87, s5
	;; [unrolled: 1-line block ×7, first 2 shown]
	v_cndmask_b32_e32 v90, v102, v95, vcc_lo
	v_cndmask_b32_e32 v102, v106, v99, vcc_lo
	v_cndmask_b32_e64 v106, v110, v95, s13
	v_cndmask_b32_e64 v110, v111, v99, s13
	;; [unrolled: 1-line block ×4, first 2 shown]
	v_lshrrev_b32_e32 v96, 16, v80
	v_lshrrev_b32_e32 v100, 16, v84
	v_cndmask_b32_e64 v111, v112, v95, s17
	v_cndmask_b32_e64 v112, v113, v99, s17
	v_cndmask_b32_e32 v82, v82, v103, vcc_lo
	v_cndmask_b32_e32 v83, v83, v107, vcc_lo
	v_cndmask_b32_e64 v94, v94, v103, s13
	v_cndmask_b32_e64 v90, v90, v80, s3
	v_cndmask_b32_e64 v95, v102, v84, s3
	v_cndmask_b32_e64 v99, v106, v80, s19
	v_cndmask_b32_e64 v102, v110, v84, s19
	v_cndmask_b32_e64 v78, v78, v80, s22
	v_cndmask_b32_e64 v79, v79, v84, s22
	v_lshrrev_b32_e32 v104, 16, v88
	v_cndmask_b32_e64 v106, v111, v80, s21
	v_cndmask_b32_e64 v110, v112, v84, s21
	;; [unrolled: 1-line block ×11, first 2 shown]
	v_lshrrev_b32_e32 v97, 16, v81
	v_lshrrev_b32_e32 v101, 16, v85
	v_cndmask_b32_e64 v99, v106, v96, s23
	v_cndmask_b32_e64 v102, v110, v100, s23
	;; [unrolled: 1-line block ×7, first 2 shown]
	v_lshrrev_b32_e32 v105, 16, v89
	v_cndmask_b32_e64 v80, v80, v104, s6
	v_cndmask_b32_e64 v84, v84, v81, s7
	;; [unrolled: 1-line block ×16, first 2 shown]
	v_perm_b32 v81, v79, v78, 0x5040100
	v_perm_b32 v79, v95, v85, 0x5040100
	v_cndmask_b32_e64 v78, v119, v91, s15
	v_cndmask_b32_e64 v85, v117, v91, s12
	;; [unrolled: 1-line block ×3, first 2 shown]
	v_perm_b32 v80, v94, v90, 0x5040100
	v_cndmask_b32_e64 v90, v98, v103, s17
	v_cndmask_b32_e64 v86, v86, v103, s18
	;; [unrolled: 1-line block ×5, first 2 shown]
	v_lshrrev_b32_e32 v108, 16, v92
	v_cndmask_b32_e64 v90, v90, v88, s21
	v_cndmask_b32_e64 v86, v86, v88, s22
	;; [unrolled: 1-line block ×11, first 2 shown]
	v_lshrrev_b32_e32 v109, 16, v93
	v_cndmask_b32_e64 v82, v82, v93, s7
	v_cndmask_b32_e64 v88, v88, v89, s26
	;; [unrolled: 1-line block ×12, first 2 shown]
	v_perm_b32 v78, v84, v83, 0x5040100
	v_perm_b32 v85, v87, v86, 0x5040100
	;; [unrolled: 1-line block ×5, first 2 shown]
	s_mul_i32 s8, s33, 12
	s_mov_b32 s3, exec_lo
	ds_store_b128 v74, v[78:81]
	ds_store_b128 v74, v[82:85] offset:1024
	v_cmpx_gt_u32_e32 12, v0
	s_cbranch_execz .LBB861_14
; %bb.13:
	s_mul_i32 s4, s8, s34
	s_delay_alu instid0(SALU_CYCLE_1) | instskip(SKIP_1) | instid1(VALU_DEP_1)
	v_add3_u32 v68, s4, s31, v68
	s_load_b128 s[4:7], s[0:1], 0x58
	v_mad_u64_u32 v[78:79], null, v68, s35, s[14:15]
	s_delay_alu instid0(VALU_DEP_1) | instskip(NEXT) | instid1(VALU_DEP_1)
	v_ashrrev_i32_e32 v79, 31, v78
	v_lshlrev_b64 v[78:79], 2, v[78:79]
	s_waitcnt lgkmcnt(0)
	s_delay_alu instid0(VALU_DEP_1) | instskip(NEXT) | instid1(VALU_DEP_2)
	v_add_co_u32 v80, vcc_lo, s6, v78
	v_add_co_ci_u32_e32 v81, vcc_lo, s7, v79, vcc_lo
	v_add_co_u32 v78, vcc_lo, s4, v78
	v_add_co_ci_u32_e32 v79, vcc_lo, s5, v79, vcc_lo
	global_store_b32 v[80:81], v76, off
	global_store_b32 v[78:79], v77, off
.LBB861_14:
	s_or_b32 exec_lo, exec_lo, s3
	s_waitcnt lgkmcnt(0)
	s_waitcnt_vscnt null, 0x0
	s_barrier
	buffer_gl0_inv
	ds_load_b128 v[84:87], v73
	ds_load_b128 v[88:91], v73 offset:16
	ds_load_b128 v[96:99], v73 offset:2064
	;; [unrolled: 1-line block ×5, first 2 shown]
	v_cmp_eq_u32_e32 vcc_lo, 1, v70
	v_mov_b32_e32 v76, 0
	ds_load_b128 v[112:115], v73 offset:6160
	ds_load_b128 v[108:111], v73 offset:6144
	ds_load_b128 v[120:123], v73 offset:8208
	ds_load_b128 v[116:119], v73 offset:8192
	v_cmp_eq_u32_e64 s4, 1, v69
	v_cmp_eq_u32_e64 s3, 1, v72
	;; [unrolled: 1-line block ×3, first 2 shown]
	v_mov_b32_e32 v77, v76
	v_mov_b32_e32 v78, v76
	;; [unrolled: 1-line block ×7, first 2 shown]
	v_cmp_eq_u32_e64 s6, 3, v72
	v_cmp_eq_u32_e64 s7, 7, v72
	s_waitcnt lgkmcnt(8)
	s_delay_alu instid0(VALU_DEP_3)
	v_wmma_f32_16x16x16_f16 v[76:83], v[49:56], v[84:91], v[76:83]
	ds_load_b128 v[53:56], v73 offset:10256
	ds_load_b128 v[49:52], v73 offset:10240
	s_waitcnt lgkmcnt(8)
	v_wmma_f32_16x16x16_f16 v[76:83], v[41:48], v[92:99], v[76:83]
	ds_load_b128 v[45:48], v73 offset:12304
	ds_load_b128 v[41:44], v73 offset:12288
	s_waitcnt lgkmcnt(8)
	;; [unrolled: 4-line block ×3, first 2 shown]
	s_barrier
	buffer_gl0_inv
	v_wmma_f32_16x16x16_f16 v[76:83], v[1:8], v[108:115], v[76:83]
	s_delay_alu instid0(VALU_DEP_1) | instskip(NEXT) | instid1(VALU_DEP_1)
	v_wmma_f32_16x16x16_f16 v[76:83], v[9:16], v[116:123], v[76:83]
	v_wmma_f32_16x16x16_f16 v[76:83], v[17:24], v[49:56], v[76:83]
	s_delay_alu instid0(VALU_DEP_1) | instskip(NEXT) | instid1(VALU_DEP_1)
	v_wmma_f32_16x16x16_f16 v[76:83], v[25:32], v[41:48], v[76:83]
	v_wmma_f32_16x16x16_f16 v[76:83], v[57:64], v[33:40], v[76:83]
	s_delay_alu instid0(VALU_DEP_1) | instskip(NEXT) | instid1(VALU_DEP_2)
	v_cvt_f16_f32_e32 v1, v76
	v_cvt_f16_f32_e32 v2, v77
	s_delay_alu instid0(VALU_DEP_3) | instskip(NEXT) | instid1(VALU_DEP_4)
	v_cvt_f16_f32_e32 v3, v78
	v_cvt_f16_f32_e32 v4, v79
	;; [unrolled: 1-line block ×6, first 2 shown]
	v_pack_b32_f16 v1, v1, v2
	v_pack_b32_f16 v2, v3, v4
	;; [unrolled: 1-line block ×3, first 2 shown]
	s_delay_alu instid0(VALU_DEP_4)
	v_pack_b32_f16 v4, v7, v8
	ds_store_b128 v74, v[1:4]
	s_waitcnt lgkmcnt(0)
	s_barrier
	buffer_gl0_inv
	ds_load_b128 v[1:4], v75
	ds_load_b128 v[5:8], v75 offset:16
	s_waitcnt lgkmcnt(1)
	v_lshrrev_b32_e32 v9, 16, v1
	s_waitcnt lgkmcnt(0)
	v_lshrrev_b32_e32 v13, 16, v5
	v_lshrrev_b32_e32 v10, 16, v2
	;; [unrolled: 1-line block ×4, first 2 shown]
	v_cndmask_b32_e32 v17, v1, v9, vcc_lo
	v_cndmask_b32_e32 v18, v5, v13, vcc_lo
	v_cndmask_b32_e64 v21, v1, v9, s4
	v_cmp_eq_u32_e32 vcc_lo, 1, v71
	v_cndmask_b32_e64 v22, v5, v13, s4
	v_cmp_eq_u32_e64 s4, 2, v70
	v_cndmask_b32_e64 v19, v1, v9, s3
	v_cndmask_b32_e64 v20, v5, v13, s3
	v_cndmask_b32_e32 v1, v1, v9, vcc_lo
	v_cmp_eq_u32_e64 s3, 2, v71
	v_cndmask_b32_e32 v5, v5, v13, vcc_lo
	v_cndmask_b32_e64 v9, v17, v2, s4
	v_cmp_eq_u32_e32 vcc_lo, 3, v70
	v_cndmask_b32_e64 v13, v18, v6, s4
	v_cmp_eq_u32_e64 s4, 2, v69
	v_cndmask_b32_e64 v17, v19, v2, s5
	v_cndmask_b32_e64 v18, v20, v6, s5
	v_cmp_eq_u32_e64 s5, 3, v69
	v_cndmask_b32_e64 v1, v1, v2, s3
	v_cndmask_b32_e64 v19, v21, v2, s4
	;; [unrolled: 1-line block ×4, first 2 shown]
	v_cndmask_b32_e32 v5, v9, v10, vcc_lo
	v_cndmask_b32_e32 v6, v13, v14, vcc_lo
	v_cmp_eq_u32_e32 vcc_lo, 3, v71
	v_cndmask_b32_e64 v9, v17, v10, s6
	v_cndmask_b32_e64 v13, v18, v14, s6
	;; [unrolled: 1-line block ×3, first 2 shown]
	v_cmp_eq_u32_e64 s4, 4, v70
	v_cndmask_b32_e32 v1, v1, v10, vcc_lo
	v_cndmask_b32_e32 v2, v2, v14, vcc_lo
	v_cmp_eq_u32_e32 vcc_lo, 4, v72
	v_lshrrev_b32_e32 v15, 16, v7
	v_lshrrev_b32_e32 v16, 16, v8
	v_cndmask_b32_e64 v17, v19, v10, s5
	v_cmp_eq_u32_e64 s3, 4, v71
	v_cndmask_b32_e64 v5, v5, v3, s4
	v_cndmask_b32_e64 v6, v6, v7, s4
	v_cndmask_b32_e32 v9, v9, v3, vcc_lo
	v_cmp_eq_u32_e64 s4, 5, v72
	v_cndmask_b32_e32 v10, v13, v7, vcc_lo
	v_cmp_eq_u32_e32 vcc_lo, 4, v69
	v_cmp_eq_u32_e64 s5, 5, v70
	v_cndmask_b32_e64 v2, v2, v7, s3
	v_cndmask_b32_e64 v9, v9, v11, s4
	;; [unrolled: 1-line block ×3, first 2 shown]
	v_cndmask_b32_e32 v13, v17, v3, vcc_lo
	v_cmp_eq_u32_e64 s4, 5, v69
	v_cndmask_b32_e32 v14, v18, v7, vcc_lo
	v_cndmask_b32_e64 v1, v1, v3, s3
	v_cmp_eq_u32_e32 vcc_lo, 5, v71
	v_lshrrev_b32_e32 v12, 16, v4
	v_cndmask_b32_e64 v13, v13, v11, s4
	v_cndmask_b32_e64 v3, v14, v15, s4
	v_cmp_eq_u32_e64 s4, 6, v71
	v_cndmask_b32_e32 v1, v1, v11, vcc_lo
	v_cndmask_b32_e64 v5, v5, v11, s5
	v_cmp_eq_u32_e64 s6, 6, v70
	v_cndmask_b32_e64 v6, v6, v15, s5
	v_cmp_eq_u32_e64 s5, 6, v72
	v_cmp_eq_u32_e64 s3, 6, v69
	v_cndmask_b32_e64 v1, v1, v4, s4
	v_cndmask_b32_e32 v2, v2, v15, vcc_lo
	v_cmp_eq_u32_e32 vcc_lo, 7, v71
	v_cndmask_b32_e64 v5, v5, v4, s6
	v_cndmask_b32_e64 v9, v9, v4, s5
	;; [unrolled: 1-line block ×3, first 2 shown]
	v_cmp_eq_u32_e64 s6, 7, v70
	v_cndmask_b32_e32 v1, v1, v12, vcc_lo
	v_cndmask_b32_e64 v7, v13, v4, s3
	v_cndmask_b32_e64 v3, v3, v8, s3
	;; [unrolled: 1-line block ×3, first 2 shown]
	v_cmp_eq_u32_e64 s3, 7, v69
	v_cndmask_b32_e64 v4, v10, v8, s5
	v_cndmask_b32_e64 v5, v5, v12, s6
	;; [unrolled: 1-line block ×3, first 2 shown]
	v_cndmask_b32_e32 v2, v2, v16, vcc_lo
	v_cndmask_b32_e64 v7, v7, v12, s3
	v_cndmask_b32_e64 v3, v3, v16, s3
	;; [unrolled: 1-line block ×4, first 2 shown]
	v_cmp_gt_u32_e32 vcc_lo, 32, v0
	v_perm_b32 v4, v2, v1, 0x5040100
	v_perm_b32 v3, v3, v7, 0x5040100
	;; [unrolled: 1-line block ×4, first 2 shown]
	s_and_b32 s2, vcc_lo, s2
	ds_store_b128 v74, v[1:4]
	s_waitcnt lgkmcnt(0)
	s_barrier
	buffer_gl0_inv
	s_and_saveexec_b32 s3, s2
	s_cbranch_execz .LBB861_2
; %bb.15:
	s_load_b64 s[0:1], s[0:1], 0x68
	v_lshlrev_b32_e32 v0, 10, v0
	s_lshl_b32 s4, s35, 6
	v_or_b32_e32 v3, s31, v66
	s_mul_i32 s2, s4, s34
	v_lshlrev_b32_e32 v1, 4, v67
	s_mul_i32 s2, s2, s8
	v_lshlrev_b32_e32 v2, 6, v66
	v_and_b32_e32 v0, 0x3800, v0
	s_ashr_i32 s3, s2, 31
	v_mul_lo_u32 v4, v3, s4
	s_lshl_b64 s[2:3], s[2:3], 1
	s_delay_alu instid0(VALU_DEP_2) | instskip(NEXT) | instid1(VALU_DEP_2)
	v_or3_b32 v16, v0, v1, v2
	v_ashrrev_i32_e32 v5, 31, v4
	ds_load_b128 v[0:3], v16
	s_waitcnt lgkmcnt(0)
	s_add_u32 s2, s0, s2
	s_addc_u32 s3, s1, s3
	s_lshl_b32 s0, s14, 6
	v_lshlrev_b64 v[5:6], 1, v[4:5]
	s_ashr_i32 s1, s0, 31
	s_delay_alu instid0(SALU_CYCLE_1) | instskip(NEXT) | instid1(SALU_CYCLE_1)
	s_lshl_b64 s[0:1], s[0:1], 1
	s_add_u32 s0, s2, s0
	s_addc_u32 s1, s3, s1
	s_lshl_b32 s2, s35, 7
	v_add_co_u32 v30, s0, s0, v65
	v_add_nc_u32_e32 v8, s2, v4
	v_add_co_ci_u32_e64 v31, null, s1, 0, s0
	s_delay_alu instid0(VALU_DEP_3) | instskip(NEXT) | instid1(VALU_DEP_3)
	v_add_co_u32 v12, vcc_lo, v30, v5
	v_add_nc_u32_e32 v10, s2, v8
	v_ashrrev_i32_e32 v9, 31, v8
	s_delay_alu instid0(VALU_DEP_4)
	v_add_co_ci_u32_e32 v13, vcc_lo, v31, v6, vcc_lo
	ds_load_b128 v[4:7], v16 offset:128
	v_ashrrev_i32_e32 v11, 31, v10
	v_lshlrev_b64 v[8:9], 1, v[8:9]
	v_add_nc_u32_e32 v14, s2, v10
	global_store_b128 v[12:13], v[0:3], off
	v_lshlrev_b64 v[0:1], 1, v[10:11]
	v_ashrrev_i32_e32 v15, 31, v14
	v_add_co_u32 v22, vcc_lo, v30, v8
	v_add_nc_u32_e32 v20, s2, v14
	v_add_co_ci_u32_e32 v23, vcc_lo, v31, v9, vcc_lo
	v_add_co_u32 v26, vcc_lo, v30, v0
	v_lshlrev_b64 v[24:25], 1, v[14:15]
	v_add_co_ci_u32_e32 v27, vcc_lo, v31, v1, vcc_lo
	ds_load_b128 v[0:3], v16 offset:256
	ds_load_b128 v[8:11], v16 offset:384
	;; [unrolled: 1-line block ×4, first 2 shown]
	v_add_nc_u32_e32 v28, s2, v20
	v_ashrrev_i32_e32 v21, 31, v20
	v_add_co_u32 v24, vcc_lo, v30, v24
	v_add_co_ci_u32_e32 v25, vcc_lo, v31, v25, vcc_lo
	s_delay_alu instid0(VALU_DEP_4) | instskip(NEXT) | instid1(VALU_DEP_4)
	v_ashrrev_i32_e32 v29, 31, v28
	v_lshlrev_b64 v[20:21], 1, v[20:21]
	s_delay_alu instid0(VALU_DEP_2) | instskip(NEXT) | instid1(VALU_DEP_2)
	v_lshlrev_b64 v[28:29], 1, v[28:29]
	v_add_co_u32 v20, vcc_lo, v30, v20
	s_delay_alu instid0(VALU_DEP_3) | instskip(NEXT) | instid1(VALU_DEP_3)
	v_add_co_ci_u32_e32 v21, vcc_lo, v31, v21, vcc_lo
	v_add_co_u32 v28, vcc_lo, v30, v28
	s_delay_alu instid0(VALU_DEP_4)
	v_add_co_ci_u32_e32 v29, vcc_lo, v31, v29, vcc_lo
	s_waitcnt lgkmcnt(4)
	global_store_b128 v[22:23], v[4:7], off
	s_waitcnt lgkmcnt(3)
	global_store_b128 v[26:27], v[0:3], off
	;; [unrolled: 2-line block ×5, first 2 shown]
	s_nop 0
	s_sendmsg sendmsg(MSG_DEALLOC_VGPRS)
	s_endpgm
	.section	.rodata,"a",@progbits
	.p2align	6, 0x0
	.amdhsa_kernel _Z39paged_attention_ll4mi_QKV_mfma16_kernelIDF16_hLN4vllm18Fp8KVCacheDataTypeE1EhLi32ELi64ELi256ELb1ELi12EL8MFMAType1EEvPKT_PKT0_S8_ifPKiSA_SA_iPKfiiiPfSD_PS3_PT2_iSC_SC_
		.amdhsa_group_segment_fixed_size 17472
		.amdhsa_private_segment_fixed_size 0
		.amdhsa_kernarg_size 400
		.amdhsa_user_sgpr_count 13
		.amdhsa_user_sgpr_dispatch_ptr 0
		.amdhsa_user_sgpr_queue_ptr 0
		.amdhsa_user_sgpr_kernarg_segment_ptr 1
		.amdhsa_user_sgpr_dispatch_id 0
		.amdhsa_user_sgpr_private_segment_size 0
		.amdhsa_wavefront_size32 1
		.amdhsa_uses_dynamic_stack 0
		.amdhsa_enable_private_segment 0
		.amdhsa_system_sgpr_workgroup_id_x 1
		.amdhsa_system_sgpr_workgroup_id_y 1
		.amdhsa_system_sgpr_workgroup_id_z 1
		.amdhsa_system_sgpr_workgroup_info 0
		.amdhsa_system_vgpr_workitem_id 0
		.amdhsa_next_free_vgpr 146
		.amdhsa_next_free_sgpr 38
		.amdhsa_reserve_vcc 1
		.amdhsa_float_round_mode_32 0
		.amdhsa_float_round_mode_16_64 0
		.amdhsa_float_denorm_mode_32 3
		.amdhsa_float_denorm_mode_16_64 3
		.amdhsa_dx10_clamp 1
		.amdhsa_ieee_mode 1
		.amdhsa_fp16_overflow 0
		.amdhsa_workgroup_processor_mode 1
		.amdhsa_memory_ordered 1
		.amdhsa_forward_progress 0
		.amdhsa_shared_vgpr_count 0
		.amdhsa_exception_fp_ieee_invalid_op 0
		.amdhsa_exception_fp_denorm_src 0
		.amdhsa_exception_fp_ieee_div_zero 0
		.amdhsa_exception_fp_ieee_overflow 0
		.amdhsa_exception_fp_ieee_underflow 0
		.amdhsa_exception_fp_ieee_inexact 0
		.amdhsa_exception_int_div_zero 0
	.end_amdhsa_kernel
	.section	.text._Z39paged_attention_ll4mi_QKV_mfma16_kernelIDF16_hLN4vllm18Fp8KVCacheDataTypeE1EhLi32ELi64ELi256ELb1ELi12EL8MFMAType1EEvPKT_PKT0_S8_ifPKiSA_SA_iPKfiiiPfSD_PS3_PT2_iSC_SC_,"axG",@progbits,_Z39paged_attention_ll4mi_QKV_mfma16_kernelIDF16_hLN4vllm18Fp8KVCacheDataTypeE1EhLi32ELi64ELi256ELb1ELi12EL8MFMAType1EEvPKT_PKT0_S8_ifPKiSA_SA_iPKfiiiPfSD_PS3_PT2_iSC_SC_,comdat
.Lfunc_end861:
	.size	_Z39paged_attention_ll4mi_QKV_mfma16_kernelIDF16_hLN4vllm18Fp8KVCacheDataTypeE1EhLi32ELi64ELi256ELb1ELi12EL8MFMAType1EEvPKT_PKT0_S8_ifPKiSA_SA_iPKfiiiPfSD_PS3_PT2_iSC_SC_, .Lfunc_end861-_Z39paged_attention_ll4mi_QKV_mfma16_kernelIDF16_hLN4vllm18Fp8KVCacheDataTypeE1EhLi32ELi64ELi256ELb1ELi12EL8MFMAType1EEvPKT_PKT0_S8_ifPKiSA_SA_iPKfiiiPfSD_PS3_PT2_iSC_SC_
                                        ; -- End function
	.section	.AMDGPU.csdata,"",@progbits
; Kernel info:
; codeLenInByte = 6596
; NumSgprs: 40
; NumVgprs: 146
; ScratchSize: 0
; MemoryBound: 0
; FloatMode: 240
; IeeeMode: 1
; LDSByteSize: 17472 bytes/workgroup (compile time only)
; SGPRBlocks: 4
; VGPRBlocks: 18
; NumSGPRsForWavesPerEU: 40
; NumVGPRsForWavesPerEU: 146
; Occupancy: 9
; WaveLimiterHint : 1
; COMPUTE_PGM_RSRC2:SCRATCH_EN: 0
; COMPUTE_PGM_RSRC2:USER_SGPR: 13
; COMPUTE_PGM_RSRC2:TRAP_HANDLER: 0
; COMPUTE_PGM_RSRC2:TGID_X_EN: 1
; COMPUTE_PGM_RSRC2:TGID_Y_EN: 1
; COMPUTE_PGM_RSRC2:TGID_Z_EN: 1
; COMPUTE_PGM_RSRC2:TIDIG_COMP_CNT: 0
	.section	.text._Z39paged_attention_ll4mi_QKV_mfma16_kernelIDF16_hLN4vllm18Fp8KVCacheDataTypeE1EhLi32ELi64ELi256ELb1ELi13EL8MFMAType1EEvPKT_PKT0_S8_ifPKiSA_SA_iPKfiiiPfSD_PS3_PT2_iSC_SC_,"axG",@progbits,_Z39paged_attention_ll4mi_QKV_mfma16_kernelIDF16_hLN4vllm18Fp8KVCacheDataTypeE1EhLi32ELi64ELi256ELb1ELi13EL8MFMAType1EEvPKT_PKT0_S8_ifPKiSA_SA_iPKfiiiPfSD_PS3_PT2_iSC_SC_,comdat
	.protected	_Z39paged_attention_ll4mi_QKV_mfma16_kernelIDF16_hLN4vllm18Fp8KVCacheDataTypeE1EhLi32ELi64ELi256ELb1ELi13EL8MFMAType1EEvPKT_PKT0_S8_ifPKiSA_SA_iPKfiiiPfSD_PS3_PT2_iSC_SC_ ; -- Begin function _Z39paged_attention_ll4mi_QKV_mfma16_kernelIDF16_hLN4vllm18Fp8KVCacheDataTypeE1EhLi32ELi64ELi256ELb1ELi13EL8MFMAType1EEvPKT_PKT0_S8_ifPKiSA_SA_iPKfiiiPfSD_PS3_PT2_iSC_SC_
	.globl	_Z39paged_attention_ll4mi_QKV_mfma16_kernelIDF16_hLN4vllm18Fp8KVCacheDataTypeE1EhLi32ELi64ELi256ELb1ELi13EL8MFMAType1EEvPKT_PKT0_S8_ifPKiSA_SA_iPKfiiiPfSD_PS3_PT2_iSC_SC_
	.p2align	8
	.type	_Z39paged_attention_ll4mi_QKV_mfma16_kernelIDF16_hLN4vllm18Fp8KVCacheDataTypeE1EhLi32ELi64ELi256ELb1ELi13EL8MFMAType1EEvPKT_PKT0_S8_ifPKiSA_SA_iPKfiiiPfSD_PS3_PT2_iSC_SC_,@function
_Z39paged_attention_ll4mi_QKV_mfma16_kernelIDF16_hLN4vllm18Fp8KVCacheDataTypeE1EhLi32ELi64ELi256ELb1ELi13EL8MFMAType1EEvPKT_PKT0_S8_ifPKiSA_SA_iPKfiiiPfSD_PS3_PT2_iSC_SC_: ; @_Z39paged_attention_ll4mi_QKV_mfma16_kernelIDF16_hLN4vllm18Fp8KVCacheDataTypeE1EhLi32ELi64ELi256ELb1ELi13EL8MFMAType1EEvPKT_PKT0_S8_ifPKiSA_SA_iPKfiiiPfSD_PS3_PT2_iSC_SC_
; %bb.0:
	s_load_b64 s[2:3], s[0:1], 0x30
	s_mov_b32 s34, s13
	s_waitcnt lgkmcnt(0)
	s_cmp_lg_u64 s[2:3], 0
	s_cselect_b32 s6, -1, 0
	s_ashr_i32 s35, s13, 31
	s_cmp_eq_u64 s[2:3], 0
	s_cbranch_scc1 .LBB862_3
; %bb.1:
	s_lshl_b64 s[4:5], s[34:35], 2
	s_delay_alu instid0(SALU_CYCLE_1) | instskip(SKIP_4) | instid1(SALU_CYCLE_1)
	s_add_u32 s4, s2, s4
	s_addc_u32 s5, s3, s5
	s_load_b64 s[4:5], s[4:5], 0x0
	s_waitcnt lgkmcnt(0)
	s_sub_i32 s4, s5, s4
	s_cmp_eq_u32 s4, 1
	s_cselect_b32 s4, -1, 0
	s_delay_alu instid0(SALU_CYCLE_1)
	s_and_not1_b32 vcc_lo, exec_lo, s4
	s_cbranch_vccz .LBB862_4
.LBB862_2:
	s_nop 0
	s_sendmsg sendmsg(MSG_DEALLOC_VGPRS)
	s_endpgm
.LBB862_3:
.LBB862_4:
	s_load_b64 s[8:9], s[0:1], 0x28
	s_lshl_b64 s[4:5], s[34:35], 2
	s_waitcnt lgkmcnt(0)
	s_add_u32 s8, s8, s4
	s_addc_u32 s9, s9, s5
	s_lshl_b32 s16, s14, 8
	s_load_b32 s18, s[8:9], 0x0
	s_waitcnt lgkmcnt(0)
	s_cmp_ge_i32 s16, s18
	s_cbranch_scc1 .LBB862_2
; %bb.5:
	s_clause 0x1
	s_load_b128 s[8:11], s[0:1], 0x8
	s_load_b64 s[12:13], s[0:1], 0x20
	s_and_not1_b32 vcc_lo, exec_lo, s6
	s_cbranch_vccnz .LBB862_7
; %bb.6:
	s_add_u32 s2, s2, s4
	s_addc_u32 s3, s3, s5
	s_load_b32 s3, s[2:3], 0x0
	s_branch .LBB862_8
.LBB862_7:
	s_mov_b32 s3, s34
.LBB862_8:
	s_load_b128 s[4:7], s[0:1], 0x48
	v_lshrrev_b32_e32 v69, 5, v0
	v_bfe_u32 v66, v0, 4, 1
	v_and_b32_e32 v68, 15, v0
	v_and_b32_e32 v70, 31, v0
	;; [unrolled: 1-line block ×3, first 2 shown]
	s_mul_i32 s33, s15, 13
	v_lshl_or_b32 v1, v69, 1, v66
	v_lshlrev_b32_e32 v2, 3, v68
	v_cmp_gt_u32_e64 s2, 8, v68
	s_delay_alu instid0(VALU_DEP_3) | instskip(NEXT) | instid1(VALU_DEP_3)
	v_cmp_gt_u32_e32 vcc_lo, 13, v1
	v_lshlrev_b32_e32 v65, 1, v2
	s_delay_alu instid0(VALU_DEP_3)
	s_and_b32 s17, s2, vcc_lo
	s_waitcnt lgkmcnt(0)
	s_and_saveexec_b32 s7, s17
	s_cbranch_execz .LBB862_10
; %bb.9:
	s_load_b64 s[20:21], s[0:1], 0x0
	v_add_lshl_u32 v2, v1, s33, 6
	s_mul_hi_i32 s23, s3, s4
	s_mul_i32 s22, s3, s4
	v_lshlrev_b32_e32 v6, 10, v68
	s_lshl_b64 s[22:23], s[22:23], 1
	v_ashrrev_i32_e32 v3, 31, v2
	v_lshlrev_b32_e32 v1, 6, v1
	v_lshlrev_b32_e32 v7, 10, v67
	v_and_b32_e32 v6, 0x3800, v6
	s_delay_alu instid0(VALU_DEP_4) | instskip(NEXT) | instid1(VALU_DEP_2)
	v_lshlrev_b64 v[2:3], 1, v[2:3]
	v_or3_b32 v1, v6, v7, v1
	s_waitcnt lgkmcnt(0)
	s_add_u32 s3, s20, s22
	s_addc_u32 s4, s21, s23
	s_delay_alu instid0(VALU_DEP_2) | instskip(SKIP_1) | instid1(VALU_DEP_2)
	v_add_co_u32 v2, vcc_lo, s3, v2
	v_add_co_ci_u32_e32 v3, vcc_lo, s4, v3, vcc_lo
	v_add_co_u32 v2, vcc_lo, v2, v65
	s_delay_alu instid0(VALU_DEP_2)
	v_add_co_ci_u32_e32 v3, vcc_lo, 0, v3, vcc_lo
	global_load_b128 v[2:5], v[2:3], off
	s_waitcnt vmcnt(0)
	ds_store_b128 v1, v[2:5]
.LBB862_10:
	s_or_b32 exec_lo, exec_lo, s7
	v_and_b32_e32 v1, 0xef, v0
	s_add_i32 s3, s18, 31
	s_clause 0x1
	s_load_b32 s4, s[0:1], 0x38
	s_load_b32 s35, s[0:1], 0x98
	s_ashr_i32 s7, s3, 31
	v_add_nc_u32_e32 v1, s16, v1
	s_lshr_b32 s7, s7, 27
	s_load_b32 s19, s[0:1], 0x1c
	v_add_nc_u32_e32 v103, -13, v68
	s_add_i32 s3, s3, s7
	v_ashrrev_i32_e32 v2, 31, v1
	v_or_b32_e32 v3, 16, v1
	s_ashr_i32 s3, s3, 5
	v_cmp_gt_i32_e32 vcc_lo, s18, v1
	s_add_i32 s3, s3, -1
	v_lshrrev_b32_e32 v2, 27, v2
	s_waitcnt lgkmcnt(0)
	s_barrier
	buffer_gl0_inv
	s_mul_i32 s15, s15, s6
	v_add_nc_u32_e32 v4, v1, v2
	v_mbcnt_lo_u32_b32 v127, -1, 0
	s_mul_i32 s20, s34, s4
	s_delay_alu instid0(SALU_CYCLE_1) | instskip(NEXT) | instid1(VALU_DEP_2)
	s_ashr_i32 s21, s20, 31
	v_ashrrev_i32_e32 v4, 5, v4
	v_add_nc_u32_e32 v2, v3, v2
	s_lshl_b64 s[20:21], s[20:21], 2
	v_xor_b32_e32 v128, 16, v127
	s_add_u32 s17, s12, s20
	v_cndmask_b32_e32 v1, s3, v4, vcc_lo
	v_ashrrev_i32_e32 v2, 5, v2
	v_cmp_gt_i32_e32 vcc_lo, s18, v3
	s_addc_u32 s13, s13, s21
	s_ashr_i32 s20, s15, 31
	s_add_u32 s22, s8, s15
	s_addc_u32 s23, s9, s20
	v_cndmask_b32_e32 v3, s3, v2, vcc_lo
	v_ashrrev_i32_e32 v2, 31, v1
	s_lshl_b32 s6, s14, 3
	s_delay_alu instid0(SALU_CYCLE_1) | instskip(NEXT) | instid1(VALU_DEP_2)
	s_ashr_i32 s7, s6, 31
	v_ashrrev_i32_e32 v4, 31, v3
	s_delay_alu instid0(VALU_DEP_2) | instskip(SKIP_1) | instid1(SALU_CYCLE_1)
	v_lshlrev_b64 v[1:2], 2, v[1:2]
	s_lshl_b64 s[6:7], s[6:7], 2
	s_add_u32 s6, s17, s6
	s_delay_alu instid0(VALU_DEP_2) | instskip(SKIP_1) | instid1(VALU_DEP_2)
	v_lshlrev_b64 v[3:4], 2, v[3:4]
	s_addc_u32 s7, s13, s7
	v_add_co_u32 v1, vcc_lo, s17, v1
	v_add_co_ci_u32_e32 v2, vcc_lo, s13, v2, vcc_lo
	s_delay_alu instid0(VALU_DEP_3) | instskip(NEXT) | instid1(VALU_DEP_4)
	v_add_co_u32 v3, vcc_lo, s17, v3
	v_add_co_ci_u32_e32 v4, vcc_lo, s13, v4, vcc_lo
	s_clause 0x1
	global_load_b32 v5, v[1:2], off
	global_load_b32 v6, v[3:4], off
	s_or_b32 s4, s16, 32
	s_delay_alu instid0(SALU_CYCLE_1) | instskip(SKIP_2) | instid1(SALU_CYCLE_1)
	s_ashr_i32 s8, s4, 5
	s_cmp_lt_i32 s4, s18
	s_cselect_b32 s8, s8, s3
	s_ashr_i32 s9, s8, 31
	s_delay_alu instid0(SALU_CYCLE_1) | instskip(NEXT) | instid1(SALU_CYCLE_1)
	s_lshl_b64 s[8:9], s[8:9], 2
	s_add_u32 s8, s17, s8
	s_addc_u32 s9, s13, s9
	s_or_b32 s4, s16, 64
	s_delay_alu instid0(SALU_CYCLE_1) | instskip(SKIP_2) | instid1(SALU_CYCLE_1)
	s_ashr_i32 s12, s4, 5
	s_cmp_lt_i32 s4, s18
	s_cselect_b32 s24, s12, s3
	s_ashr_i32 s25, s24, 31
	s_delay_alu instid0(SALU_CYCLE_1) | instskip(NEXT) | instid1(SALU_CYCLE_1)
	s_lshl_b64 s[24:25], s[24:25], 2
	s_add_u32 s24, s17, s24
	s_addc_u32 s25, s13, s25
	;; [unrolled: 10-line block ×5, first 2 shown]
	s_clause 0x5
	s_load_b32 s12, s[6:7], 0x0
	s_load_b32 s4, s[8:9], 0x0
	;; [unrolled: 1-line block ×6, first 2 shown]
	s_or_b32 s21, s16, 0xc0
	s_waitcnt vmcnt(1)
	v_mad_i64_i32 v[1:2], null, v5, s5, s[22:23]
	v_lshlrev_b32_e32 v5, 4, v68
	s_waitcnt vmcnt(0)
	v_mad_i64_i32 v[3:4], null, v6, s5, s[22:23]
	s_ashr_i32 s22, s21, 5
	s_cmp_lt_i32 s21, s18
	s_delay_alu instid0(VALU_DEP_3) | instskip(NEXT) | instid1(VALU_DEP_4)
	v_add_co_u32 v1, vcc_lo, v1, v5
	v_add_co_ci_u32_e32 v2, vcc_lo, 0, v2, vcc_lo
	s_delay_alu instid0(VALU_DEP_3) | instskip(NEXT) | instid1(VALU_DEP_4)
	v_add_co_u32 v3, vcc_lo, v3, v5
	v_add_co_ci_u32_e32 v4, vcc_lo, 0, v4, vcc_lo
	s_clause 0x7
	global_load_b128 v[71:74], v[1:2], off
	global_load_b128 v[75:78], v[1:2], off offset:512
	global_load_b128 v[79:82], v[3:4], off offset:256
	;; [unrolled: 1-line block ×7, first 2 shown]
	s_cselect_b32 s22, s22, s3
	v_lshlrev_b32_e32 v1, 5, v68
	s_ashr_i32 s23, s22, 31
	v_cmp_gt_u32_e32 vcc_lo, 13, v68
	s_lshl_b64 s[22:23], s[22:23], 2
	s_delay_alu instid0(SALU_CYCLE_1)
	s_add_u32 s22, s17, s22
	s_addc_u32 s23, s13, s23
	s_or_b32 s21, s16, 0xe0
	v_lshl_or_b32 v1, v69, 9, v1
	s_ashr_i32 s24, s21, 5
	s_cmp_lt_i32 s21, s18
	v_cndmask_b32_e32 v103, v103, v68, vcc_lo
	s_cselect_b32 s24, s24, s3
	s_load_b32 s3, s[22:23], 0x0
	s_ashr_i32 s25, s24, 31
	v_cmp_gt_i32_e32 vcc_lo, 32, v128
	s_lshl_b64 s[24:25], s[24:25], 2
	v_lshlrev_b32_e32 v115, 6, v103
	s_add_u32 s22, s17, s24
	s_addc_u32 s23, s13, s25
	v_cndmask_b32_e32 v136, v127, v128, vcc_lo
	s_add_u32 s10, s10, s15
	s_addc_u32 s11, s11, s20
	v_add_co_u32 v1, s10, s10, v1
	s_delay_alu instid0(VALU_DEP_1) | instskip(SKIP_2) | instid1(VALU_DEP_1)
	v_add_co_ci_u32_e64 v2, null, s11, 0, s10
	s_load_b32 s10, s[22:23], 0x0
	s_waitcnt lgkmcnt(0)
	v_mad_i64_i32 v[3:4], null, s12, s5, v[1:2]
	v_mad_i64_i32 v[9:10], null, s7, s5, v[1:2]
	;; [unrolled: 1-line block ×7, first 2 shown]
	s_clause 0x5
	global_load_b128 v[49:52], v[3:4], off
	global_load_b128 v[53:56], v[3:4], off offset:16
	global_load_b128 v[41:44], v[5:6], off
	global_load_b128 v[45:48], v[5:6], off offset:16
	;; [unrolled: 2-line block ×3, first 2 shown]
	s_mov_b32 s4, 0
	v_mad_i64_i32 v[61:62], null, s10, s5, v[1:2]
	s_clause 0x9
	global_load_b128 v[1:4], v[9:10], off
	global_load_b128 v[5:8], v[9:10], off offset:16
	global_load_b128 v[9:12], v[13:14], off
	global_load_b128 v[13:16], v[13:14], off offset:16
	;; [unrolled: 2-line block ×5, first 2 shown]
	s_mov_b32 s5, s4
	s_mov_b32 s6, s4
	s_mov_b32 s7, s4
	s_mov_b32 s8, s4
	s_mov_b32 s9, s4
	s_mov_b32 s10, s4
	s_mov_b32 s11, s4
	v_and_b32_e32 v104, 0xe0, v0
	v_dual_mov_b32 v126, s11 :: v_dual_mov_b32 v125, s10
	v_dual_mov_b32 v124, s9 :: v_dual_mov_b32 v123, s8
	s_delay_alu instid0(VALU_DEP_3)
	v_add_nc_u32_e32 v111, s16, v104
	ds_load_b128 v[103:106], v115
	ds_load_b128 v[107:110], v115 offset:1024
	v_dual_mov_b32 v122, s7 :: v_dual_mov_b32 v121, s6
	v_mov_b32_e32 v120, s5
	v_or_b32_e32 v135, v111, v66
	ds_load_b128 v[111:114], v115 offset:2048
	ds_load_b128 v[115:118], v115 offset:3072
	v_mov_b32_e32 v119, s4
	s_waitcnt vmcnt(0) lgkmcnt(0)
	s_barrier
	v_or_b32_e32 v137, 2, v135
	v_or_b32_e32 v138, 4, v135
	;; [unrolled: 1-line block ×3, first 2 shown]
	v_cmp_gt_i32_e32 vcc_lo, s18, v135
	v_or_b32_e32 v140, 8, v135
	v_cmp_gt_i32_e64 s3, s18, v137
	v_or_b32_e32 v141, 10, v135
	v_cmp_gt_i32_e64 s4, s18, v138
	v_cmp_gt_i32_e64 s5, s18, v139
	v_or_b32_e32 v142, 12, v135
	v_or_b32_e32 v143, 14, v135
	v_cmp_gt_i32_e64 s6, s18, v140
	v_cmp_gt_i32_e64 s7, s18, v141
	v_or_b32_e32 v144, 16, v135
	v_or_b32_e32 v145, 18, v135
	v_cmp_gt_i32_e64 s8, s18, v142
	v_cmp_gt_i32_e64 s9, s18, v143
	buffer_gl0_inv
	v_cmp_gt_i32_e64 s10, s18, v144
	v_cmp_gt_i32_e64 s11, s18, v145
	v_wmma_f32_16x16x16_f16 v[127:134], v[71:78], v[103:110], v[119:126]
	v_wmma_f32_16x16x16_f16 v[119:126], v[79:86], v[103:110], v[119:126]
	v_or_b32_e32 v71, 20, v135
	v_or_b32_e32 v72, 22, v135
	s_delay_alu instid0(VALU_DEP_4)
	v_wmma_f32_16x16x16_f16 v[127:134], v[87:94], v[111:118], v[127:134]
	v_or_b32_e32 v73, 24, v135
	v_wmma_f32_16x16x16_f16 v[119:126], v[95:102], v[111:118], v[119:126]
	v_or_b32_e32 v74, 26, v135
	v_cmp_gt_i32_e64 s12, s18, v71
	v_dual_mul_f32 v83, s19, v128 :: v_dual_mul_f32 v84, s19, v127
	s_delay_alu instid0(VALU_DEP_4) | instskip(SKIP_1) | instid1(VALU_DEP_3)
	v_dual_mul_f32 v81, s19, v130 :: v_dual_mul_f32 v92, s19, v119
	v_mul_f32_e32 v82, s19, v129
	v_cndmask_b32_e64 v83, 0xff7fffff, v83, s3
	s_delay_alu instid0(VALU_DEP_4)
	v_cndmask_b32_e32 v84, 0xff7fffff, v84, vcc_lo
	v_dual_mul_f32 v79, s19, v132 :: v_dual_mul_f32 v90, s19, v121
	v_mul_f32_e32 v80, s19, v131
	v_cndmask_b32_e64 v82, 0xff7fffff, v82, s4
	v_cndmask_b32_e64 v81, 0xff7fffff, v81, s5
	v_max3_f32 v83, v84, 0xff7fffff, v83
	v_dual_mul_f32 v77, s19, v134 :: v_dual_mul_f32 v88, s19, v123
	v_mul_f32_e32 v78, s19, v133
	v_cndmask_b32_e64 v80, 0xff7fffff, v80, s6
	v_cndmask_b32_e64 v79, 0xff7fffff, v79, s7
	v_max3_f32 v81, v83, v82, v81
	v_mul_f32_e32 v91, s19, v120
	v_cndmask_b32_e64 v78, 0xff7fffff, v78, s8
	v_cndmask_b32_e64 v77, 0xff7fffff, v77, s9
	v_mul_f32_e32 v89, s19, v122
	v_max3_f32 v79, v81, v80, v79
	v_cndmask_b32_e64 v80, 0xff7fffff, v92, s10
	v_cndmask_b32_e64 v81, 0xff7fffff, v91, s11
	v_cmp_gt_i32_e64 s13, s18, v72
	v_or_b32_e32 v75, 28, v135
	v_max3_f32 v77, v79, v78, v77
	v_or_b32_e32 v76, 30, v135
	v_mul_f32_e32 v87, s19, v124
	v_cndmask_b32_e64 v71, 0xff7fffff, v90, s12
	v_cndmask_b32_e64 v72, 0xff7fffff, v89, s13
	v_max3_f32 v77, v77, v80, v81
	v_cmp_gt_i32_e64 s15, s18, v73
	v_cmp_gt_i32_e64 s16, s18, v74
	v_dual_mul_f32 v85, s19, v126 :: v_dual_mul_f32 v86, s19, v125
	s_delay_alu instid0(VALU_DEP_4) | instskip(NEXT) | instid1(VALU_DEP_4)
	v_max3_f32 v71, v77, v71, v72
	v_cndmask_b32_e64 v73, 0xff7fffff, v88, s15
	s_delay_alu instid0(VALU_DEP_4) | instskip(SKIP_2) | instid1(VALU_DEP_3)
	v_cndmask_b32_e64 v74, 0xff7fffff, v87, s16
	v_cmp_gt_i32_e64 s17, s18, v75
	v_cmp_gt_i32_e64 s18, s18, v76
	v_max3_f32 v71, v71, v73, v74
	s_delay_alu instid0(VALU_DEP_3) | instskip(NEXT) | instid1(VALU_DEP_3)
	v_cndmask_b32_e64 v72, 0xff7fffff, v86, s17
	v_cndmask_b32_e64 v75, 0xff7fffff, v85, s18
	v_lshlrev_b32_e32 v73, 2, v136
	s_delay_alu instid0(VALU_DEP_2) | instskip(SKIP_3) | instid1(VALU_DEP_1)
	v_max3_f32 v71, v71, v72, v75
	ds_bpermute_b32 v72, v73, v71
	s_waitcnt lgkmcnt(0)
	v_max_f32_e32 v72, v72, v72
	v_max_f32_e32 v71, v71, v72
	s_delay_alu instid0(VALU_DEP_1)
	v_fma_f32 v72, s19, v127, -v71
	v_fma_f32 v74, s19, v128, -v71
	;; [unrolled: 1-line block ×5, first 2 shown]
	v_mul_f32_e32 v72, 0x3fb8aa3b, v72
	v_mul_f32_e32 v74, 0x3fb8aa3b, v74
	v_fma_f32 v80, s19, v133, -v71
	s_delay_alu instid0(VALU_DEP_4) | instskip(NEXT) | instid1(VALU_DEP_4)
	v_dual_mul_f32 v76, 0x3fb8aa3b, v76 :: v_dual_mul_f32 v77, 0x3fb8aa3b, v77
	v_exp_f32_e32 v72, v72
	s_delay_alu instid0(VALU_DEP_3) | instskip(NEXT) | instid1(VALU_DEP_2)
	v_exp_f32_e32 v74, v74
	v_mul_f32_e32 v82, 0x3fb8aa3b, v80
	s_delay_alu instid0(VALU_DEP_2) | instskip(SKIP_1) | instid1(VALU_DEP_1)
	v_exp_f32_e32 v76, v76
	v_exp_f32_e32 v77, v77
	;; [unrolled: 1-line block ×3, first 2 shown]
	v_cndmask_b32_e32 v79, 0, v72, vcc_lo
	v_fma_f32 v72, s19, v132, -v71
	v_mul_f32_e32 v75, 0x3fb8aa3b, v75
	v_cndmask_b32_e64 v78, 0, v74, s3
	s_delay_alu instid0(TRANS32_DEP_3)
	v_cndmask_b32_e64 v80, 0, v76, s5
	v_add_f32_e32 v74, 0, v79
	v_mul_f32_e32 v72, 0x3fb8aa3b, v72
	v_exp_f32_e32 v75, v75
	v_cndmask_b32_e64 v83, 0, v77, s6
	v_cndmask_b32_e64 v85, 0, v84, s8
	v_add_f32_e32 v74, v74, v78
	v_exp_f32_e32 v72, v72
	v_cmp_gt_u32_e64 s3, 16, v70
	s_waitcnt_depctr 0xfff
	v_cndmask_b32_e64 v81, 0, v75, s4
	v_cndmask_b32_e64 v82, 0, v72, s7
	s_delay_alu instid0(VALU_DEP_2) | instskip(NEXT) | instid1(VALU_DEP_1)
	v_add_f32_e32 v74, v74, v81
	v_add_f32_e32 v74, v74, v80
	s_delay_alu instid0(VALU_DEP_1) | instskip(SKIP_4) | instid1(VALU_DEP_4)
	v_add_f32_e32 v72, v74, v83
	v_fma_f32 v75, s19, v134, -v71
	v_fma_f32 v76, s19, v119, -v71
	;; [unrolled: 1-line block ×4, first 2 shown]
	v_dual_add_f32 v72, v72, v82 :: v_dual_mul_f32 v75, 0x3fb8aa3b, v75
	s_delay_alu instid0(VALU_DEP_3) | instskip(SKIP_1) | instid1(VALU_DEP_3)
	v_dual_mul_f32 v76, 0x3fb8aa3b, v76 :: v_dual_mul_f32 v77, 0x3fb8aa3b, v77
	v_fma_f32 v86, s19, v122, -v71
	v_add_f32_e32 v72, v72, v85
	s_delay_alu instid0(VALU_DEP_4) | instskip(NEXT) | instid1(VALU_DEP_3)
	v_exp_f32_e32 v75, v75
	v_exp_f32_e32 v76, v76
	;; [unrolled: 1-line block ×3, first 2 shown]
	v_mul_f32_e32 v86, 0x3fb8aa3b, v86
	s_delay_alu instid0(VALU_DEP_1) | instskip(SKIP_3) | instid1(TRANS32_DEP_3)
	v_exp_f32_e32 v88, v86
	v_cndmask_b32_e64 v84, 0, v75, s9
	v_fma_f32 v75, s19, v123, -v71
	v_mul_f32_e32 v74, 0x3fb8aa3b, v74
	v_cndmask_b32_e64 v87, 0, v76, s10
	v_fma_f32 v76, s19, v124, -v71
	s_delay_alu instid0(VALU_DEP_4) | instskip(NEXT) | instid1(VALU_DEP_4)
	v_dual_add_f32 v72, v72, v84 :: v_dual_mul_f32 v75, 0x3fb8aa3b, v75
	v_exp_f32_e32 v74, v74
	v_cndmask_b32_e64 v86, 0, v77, s11
	v_fma_f32 v77, s19, v125, -v71
	s_delay_alu instid0(VALU_DEP_3) | instskip(SKIP_3) | instid1(VALU_DEP_3)
	v_add_f32_e32 v72, v72, v87
	v_mul_f32_e32 v76, 0x3fb8aa3b, v76
	v_exp_f32_e32 v75, v75
	v_cndmask_b32_e64 v88, 0, v88, s13
	v_add_f32_e32 v72, v72, v86
	s_delay_alu instid0(VALU_DEP_3) | instskip(NEXT) | instid1(TRANS32_DEP_3)
	v_exp_f32_e32 v76, v76
	v_cndmask_b32_e64 v89, 0, v74, s12
	v_mul_f32_e32 v74, 0x3fb8aa3b, v77
	v_fma_f32 v77, s19, v126, -v71
	s_delay_alu instid0(VALU_DEP_3) | instskip(NEXT) | instid1(VALU_DEP_3)
	v_add_f32_e32 v72, v72, v89
	v_exp_f32_e32 v74, v74
	s_delay_alu instid0(TRANS32_DEP_3) | instskip(NEXT) | instid1(VALU_DEP_3)
	v_cndmask_b32_e64 v91, 0, v75, s15
	v_mul_f32_e32 v75, 0x3fb8aa3b, v77
	s_delay_alu instid0(TRANS32_DEP_2) | instskip(SKIP_1) | instid1(VALU_DEP_3)
	v_cndmask_b32_e64 v90, 0, v76, s16
	v_add_f32_e32 v72, v72, v88
	v_exp_f32_e32 v75, v75
	s_delay_alu instid0(VALU_DEP_1) | instskip(NEXT) | instid1(TRANS32_DEP_2)
	v_add_f32_e32 v72, v72, v91
	v_cndmask_b32_e64 v93, 0, v74, s17
	s_delay_alu instid0(VALU_DEP_2) | instskip(SKIP_3) | instid1(VALU_DEP_1)
	v_add_f32_e32 v72, v72, v90
	s_waitcnt_depctr 0xfff
	v_cndmask_b32_e64 v92, 0, v75, s18
	v_add_f32_e32 v72, v72, v93
	v_add_f32_e32 v72, v72, v92
	ds_bpermute_b32 v73, v73, v72
	s_and_saveexec_b32 s4, s3
	s_cbranch_execz .LBB862_12
; %bb.11:
	v_mul_u32_u24_e32 v70, 0x44, v69
	s_waitcnt lgkmcnt(0)
	v_add_f32_e32 v72, v72, v73
	s_delay_alu instid0(VALU_DEP_2) | instskip(NEXT) | instid1(VALU_DEP_1)
	v_lshl_add_u32 v70, v68, 2, v70
	v_add_nc_u32_e32 v70, 0x4000, v70
	ds_store_2addr_b32 v70, v71, v72 offset1:136
.LBB862_12:
	s_or_b32 exec_lo, exec_lo, s4
	v_lshlrev_b32_e32 v70, 2, v68
	s_load_b32 s36, s[0:1], 0x94
	s_waitcnt lgkmcnt(0)
	s_barrier
	buffer_gl0_inv
	v_add_nc_u32_e32 v98, 0x4000, v70
	v_cmp_eq_u32_e32 vcc_lo, 1, v69
	v_cmp_eq_u32_e64 s4, 2, v69
	v_cmp_eq_u32_e64 s5, 3, v69
	;; [unrolled: 1-line block ×3, first 2 shown]
	ds_load_2addr_b32 v[70:71], v98 offset1:17
	ds_load_2addr_b32 v[72:73], v98 offset0:34 offset1:51
	ds_load_2addr_b32 v[74:75], v98 offset0:68 offset1:85
	;; [unrolled: 1-line block ×3, first 2 shown]
	v_cmp_eq_u32_e64 s7, 5, v69
	v_cmp_eq_u32_e64 s8, 7, v69
	s_waitcnt lgkmcnt(3)
	v_max3_f32 v76, v70, 0xff7fffff, v71
	s_waitcnt lgkmcnt(2)
	s_delay_alu instid0(VALU_DEP_1) | instskip(SKIP_1) | instid1(VALU_DEP_1)
	v_max3_f32 v76, v76, v72, v73
	s_waitcnt lgkmcnt(1)
	v_max3_f32 v76, v76, v74, v75
	s_waitcnt lgkmcnt(0)
	s_delay_alu instid0(VALU_DEP_1) | instskip(NEXT) | instid1(VALU_DEP_1)
	v_max3_f32 v76, v76, v94, v95
	v_sub_f32_e32 v77, v71, v76
	ds_load_2addr_b32 v[96:97], v98 offset0:136 offset1:153
	v_sub_f32_e32 v74, v74, v76
	v_sub_f32_e32 v70, v70, v76
	;; [unrolled: 1-line block ×3, first 2 shown]
	v_dual_sub_f32 v72, v72, v76 :: v_dual_mul_f32 v77, 0x3fb8aa3b, v77
	s_delay_alu instid0(VALU_DEP_4) | instskip(NEXT) | instid1(VALU_DEP_4)
	v_mul_f32_e32 v103, 0x3fb8aa3b, v74
	v_mul_f32_e32 v99, 0x3fb8aa3b, v70
	ds_load_2addr_b32 v[70:71], v98 offset0:170 offset1:187
	v_dual_mul_f32 v101, 0x3fb8aa3b, v72 :: v_dual_mul_f32 v94, 0x3fb8aa3b, v94
	v_exp_f32_e32 v102, v77
	v_exp_f32_e32 v99, v99
	s_delay_alu instid0(VALU_DEP_1) | instskip(NEXT) | instid1(VALU_DEP_1)
	v_exp_f32_e32 v101, v101
	v_exp_f32_e32 v94, v94
	s_waitcnt lgkmcnt(1)
	s_delay_alu instid0(TRANS32_DEP_3)
	v_fma_f32 v77, v99, v96, 0
	v_sub_f32_e32 v100, v73, v76
	ds_load_2addr_b32 v[72:73], v98 offset0:204 offset1:221
	v_fmac_f32_e32 v77, v102, v97
	v_exp_f32_e32 v97, v103
	s_waitcnt lgkmcnt(1)
	s_delay_alu instid0(VALU_DEP_1)
	v_dual_fmac_f32 v77, v101, v70 :: v_dual_sub_f32 v96, v75, v76
	ds_load_2addr_b32 v[74:75], v98 offset0:238 offset1:255
	v_sub_f32_e32 v70, v95, v76
	s_waitcnt lgkmcnt(0)
	s_barrier
	v_mul_f32_e32 v96, 0x3fb8aa3b, v96
	buffer_gl0_inv
	v_exp_f32_e32 v95, v96
	v_mul_f32_e32 v100, 0x3fb8aa3b, v100
	s_delay_alu instid0(VALU_DEP_1) | instskip(SKIP_3) | instid1(VALU_DEP_2)
	v_exp_f32_e32 v100, v100
	s_waitcnt_depctr 0xfff
	v_dual_fmac_f32 v77, v100, v71 :: v_dual_mul_f32 v70, 0x3fb8aa3b, v70
	v_cndmask_b32_e32 v71, v99, v102, vcc_lo
	v_fmac_f32_e32 v77, v97, v72
	s_delay_alu instid0(VALU_DEP_3) | instskip(NEXT) | instid1(VALU_DEP_1)
	v_exp_f32_e32 v96, v70
	v_fmac_f32_e32 v77, v95, v73
	s_delay_alu instid0(VALU_DEP_1) | instskip(SKIP_2) | instid1(VALU_DEP_1)
	v_fmac_f32_e32 v77, v94, v74
	s_waitcnt_depctr 0xfff
	v_fmac_f32_e32 v77, v96, v75
	v_add_f32_e32 v74, 0x358637bd, v77
	s_delay_alu instid0(VALU_DEP_1) | instskip(SKIP_1) | instid1(VALU_DEP_2)
	v_div_scale_f32 v98, null, v74, v74, 1.0
	v_div_scale_f32 v99, vcc_lo, 1.0, v74, 1.0
	v_rcp_f32_e32 v103, v98
	s_waitcnt_depctr 0xfff
	v_fma_f32 v70, -v98, v103, 1.0
	s_delay_alu instid0(VALU_DEP_1) | instskip(SKIP_2) | instid1(VALU_DEP_2)
	v_fmac_f32_e32 v103, v70, v103
	v_cndmask_b32_e64 v70, v71, v101, s4
	v_cmp_eq_u32_e64 s4, 6, v69
	v_cndmask_b32_e64 v71, v70, v100, s5
	s_delay_alu instid0(VALU_DEP_4) | instskip(NEXT) | instid1(VALU_DEP_2)
	v_dual_mul_f32 v101, v99, v103 :: v_dual_lshlrev_b32 v70, 2, v66
	v_cndmask_b32_e64 v71, v71, v97, s6
	s_delay_alu instid0(VALU_DEP_2) | instskip(NEXT) | instid1(VALU_DEP_3)
	v_or_b32_e32 v72, 1, v70
	v_fma_f32 v100, -v98, v101, v99
	v_cmp_eq_u32_e64 s5, 1, v70
	v_cmp_eq_u32_e64 s6, 2, v70
	v_cndmask_b32_e64 v95, v71, v95, s7
	v_or_b32_e32 v71, 3, v70
	v_fmac_f32_e32 v101, v100, v103
	v_cmp_eq_u32_e64 s10, 1, v72
	v_cmp_eq_u32_e64 s13, 2, v72
	v_cndmask_b32_e64 v94, v95, v94, s4
	v_cmp_eq_u32_e64 s12, 1, v71
	v_fma_f32 v97, -v98, v101, v99
	v_cmp_eq_u32_e64 s17, 2, v71
	v_cmp_eq_u32_e64 s15, 3, v72
	v_cndmask_b32_e64 v94, v94, v96, s8
	v_cmp_eq_u32_e64 s19, 3, v71
	v_div_fmas_f32 v95, v97, v103, v101
	v_cmp_eq_u32_e32 vcc_lo, 3, v70
	v_cmp_eq_u32_e64 s4, 4, v70
	v_cmp_eq_u32_e64 s20, 4, v72
	;; [unrolled: 1-line block ×3, first 2 shown]
	v_div_fixup_f32 v95, v95, v74, 1.0
	v_lshlrev_b32_e32 v73, 6, v68
	v_cmp_eq_u32_e64 s7, 5, v70
	v_cmp_eq_u32_e64 s21, 5, v72
	;; [unrolled: 1-line block ×3, first 2 shown]
	v_mul_f32_e32 v102, v94, v95
	v_lshl_or_b32 v75, v69, 11, v73
	v_or_b32_e32 v69, 2, v70
	v_cmp_eq_u32_e64 s26, 6, v72
	v_cmp_eq_u32_e64 s28, 6, v71
	v_fma_mixlo_f16 v94, v102, v79, 0
	v_fma_mixlo_f16 v95, v102, v81, 0
	;; [unrolled: 1-line block ×8, first 2 shown]
	v_lshl_or_b32 v74, v66, 4, v75
	v_fma_mixhi_f16 v94, v102, v78, 0
	v_fma_mixhi_f16 v95, v102, v80, 0
	;; [unrolled: 1-line block ×8, first 2 shown]
	ds_store_b128 v74, v[94:97]
	ds_store_b128 v74, v[98:101] offset:1024
	s_waitcnt lgkmcnt(0)
	s_barrier
	buffer_gl0_inv
	ds_load_b128 v[78:81], v75
	ds_load_b128 v[82:85], v75 offset:16
	ds_load_b128 v[86:89], v75 offset:1024
	;; [unrolled: 1-line block ×3, first 2 shown]
	v_cmp_eq_u32_e64 s11, 1, v69
	v_cmp_eq_u32_e64 s16, 2, v69
	;; [unrolled: 1-line block ×11, first 2 shown]
	s_waitcnt lgkmcnt(3)
	v_lshrrev_b32_e32 v94, 16, v78
	s_waitcnt lgkmcnt(2)
	v_lshrrev_b32_e32 v98, 16, v82
	;; [unrolled: 2-line block ×4, first 2 shown]
	v_lshrrev_b32_e32 v95, 16, v79
	v_cndmask_b32_e64 v110, v78, v94, s5
	v_cndmask_b32_e64 v111, v82, v98, s5
	;; [unrolled: 1-line block ×8, first 2 shown]
	v_lshrrev_b32_e32 v99, 16, v83
	v_cndmask_b32_e64 v94, v86, v102, s5
	v_cndmask_b32_e64 v98, v90, v106, s5
	;; [unrolled: 1-line block ×15, first 2 shown]
	v_lshrrev_b32_e32 v103, 16, v87
	v_lshrrev_b32_e32 v107, 16, v91
	v_cndmask_b32_e64 v113, v115, v83, s16
	v_cndmask_b32_e64 v82, v94, v87, s6
	;; [unrolled: 1-line block ×7, first 2 shown]
	v_cndmask_b32_e32 v90, v102, v95, vcc_lo
	v_cndmask_b32_e32 v102, v106, v99, vcc_lo
	v_cndmask_b32_e64 v106, v110, v95, s15
	v_cndmask_b32_e64 v110, v111, v99, s15
	v_cndmask_b32_e64 v78, v78, v95, s19
	v_cndmask_b32_e64 v79, v79, v99, s19
	v_lshrrev_b32_e32 v96, 16, v80
	v_lshrrev_b32_e32 v100, 16, v84
	v_cndmask_b32_e64 v111, v112, v95, s18
	v_cndmask_b32_e64 v112, v113, v99, s18
	v_cndmask_b32_e32 v82, v82, v103, vcc_lo
	v_cndmask_b32_e32 v83, v83, v107, vcc_lo
	v_cndmask_b32_e64 v94, v94, v103, s15
	v_cndmask_b32_e64 v90, v90, v80, s4
	;; [unrolled: 1-line block ×7, first 2 shown]
	v_lshrrev_b32_e32 v104, 16, v88
	v_cndmask_b32_e64 v106, v111, v80, s22
	v_cndmask_b32_e64 v110, v112, v84, s22
	;; [unrolled: 1-line block ×11, first 2 shown]
	v_lshrrev_b32_e32 v97, 16, v81
	v_lshrrev_b32_e32 v101, 16, v85
	v_cndmask_b32_e64 v99, v106, v96, s24
	v_cndmask_b32_e64 v102, v110, v100, s24
	v_cndmask_b32_e64 v83, v83, v104, s21
	v_cndmask_b32_e64 v94, v94, v81, s26
	v_cndmask_b32_e64 v95, v95, v85, s26
	v_cndmask_b32_e64 v78, v78, v81, s28
	v_cndmask_b32_e64 v79, v79, v85, s28
	v_lshrrev_b32_e32 v105, 16, v89
	v_cndmask_b32_e64 v80, v80, v104, s7
	v_cndmask_b32_e64 v84, v84, v81, s8
	;; [unrolled: 1-line block ×16, first 2 shown]
	v_perm_b32 v81, v79, v78, 0x5040100
	v_perm_b32 v79, v95, v85, 0x5040100
	v_cndmask_b32_e64 v78, v119, v91, s16
	v_cndmask_b32_e64 v85, v117, v91, s13
	;; [unrolled: 1-line block ×3, first 2 shown]
	v_perm_b32 v80, v94, v90, 0x5040100
	v_cndmask_b32_e64 v90, v98, v103, s18
	v_cndmask_b32_e64 v86, v86, v103, s19
	;; [unrolled: 1-line block ×5, first 2 shown]
	v_lshrrev_b32_e32 v108, 16, v92
	v_cndmask_b32_e64 v90, v90, v88, s22
	v_cndmask_b32_e64 v86, v86, v88, s23
	;; [unrolled: 1-line block ×11, first 2 shown]
	v_lshrrev_b32_e32 v109, 16, v93
	v_cndmask_b32_e64 v82, v82, v93, s8
	v_cndmask_b32_e64 v88, v88, v89, s27
	;; [unrolled: 1-line block ×12, first 2 shown]
	v_perm_b32 v78, v84, v83, 0x5040100
	v_perm_b32 v85, v87, v86, 0x5040100
	;; [unrolled: 1-line block ×5, first 2 shown]
	s_mul_i32 s9, s35, 13
	s_mov_b32 s4, exec_lo
	ds_store_b128 v74, v[78:81]
	ds_store_b128 v74, v[82:85] offset:1024
	v_cmpx_gt_u32_e32 13, v0
	s_cbranch_execz .LBB862_14
; %bb.13:
	s_mul_i32 s5, s9, s34
	s_load_b128 s[16:19], s[0:1], 0x58
	v_add3_u32 v68, s5, s33, v68
	s_delay_alu instid0(VALU_DEP_1) | instskip(NEXT) | instid1(VALU_DEP_1)
	v_mad_u64_u32 v[78:79], null, v68, s36, s[14:15]
	v_ashrrev_i32_e32 v79, 31, v78
	s_delay_alu instid0(VALU_DEP_1) | instskip(SKIP_1) | instid1(VALU_DEP_1)
	v_lshlrev_b64 v[78:79], 2, v[78:79]
	s_waitcnt lgkmcnt(0)
	v_add_co_u32 v80, vcc_lo, s18, v78
	s_delay_alu instid0(VALU_DEP_2)
	v_add_co_ci_u32_e32 v81, vcc_lo, s19, v79, vcc_lo
	v_add_co_u32 v78, vcc_lo, s16, v78
	v_add_co_ci_u32_e32 v79, vcc_lo, s17, v79, vcc_lo
	global_store_b32 v[80:81], v76, off
	global_store_b32 v[78:79], v77, off
.LBB862_14:
	s_or_b32 exec_lo, exec_lo, s4
	s_waitcnt lgkmcnt(0)
	s_waitcnt_vscnt null, 0x0
	s_barrier
	buffer_gl0_inv
	ds_load_b128 v[84:87], v73
	ds_load_b128 v[88:91], v73 offset:16
	ds_load_b128 v[96:99], v73 offset:2064
	ds_load_b128 v[92:95], v73 offset:2048
	ds_load_b128 v[104:107], v73 offset:4112
	ds_load_b128 v[100:103], v73 offset:4096
	v_cmp_eq_u32_e32 vcc_lo, 1, v70
	v_mov_b32_e32 v76, 0
	ds_load_b128 v[112:115], v73 offset:6160
	ds_load_b128 v[108:111], v73 offset:6144
	ds_load_b128 v[120:123], v73 offset:8208
	ds_load_b128 v[116:119], v73 offset:8192
	v_cmp_eq_u32_e64 s5, 1, v69
	v_cmp_eq_u32_e64 s4, 1, v72
	;; [unrolled: 1-line block ×3, first 2 shown]
	v_mov_b32_e32 v77, v76
	v_mov_b32_e32 v78, v76
	;; [unrolled: 1-line block ×7, first 2 shown]
	v_cmp_eq_u32_e64 s7, 3, v72
	v_cmp_eq_u32_e64 s8, 7, v72
	s_waitcnt lgkmcnt(8)
	s_delay_alu instid0(VALU_DEP_3)
	v_wmma_f32_16x16x16_f16 v[76:83], v[49:56], v[84:91], v[76:83]
	ds_load_b128 v[53:56], v73 offset:10256
	ds_load_b128 v[49:52], v73 offset:10240
	s_waitcnt lgkmcnt(8)
	v_wmma_f32_16x16x16_f16 v[76:83], v[41:48], v[92:99], v[76:83]
	ds_load_b128 v[45:48], v73 offset:12304
	ds_load_b128 v[41:44], v73 offset:12288
	s_waitcnt lgkmcnt(8)
	;; [unrolled: 4-line block ×3, first 2 shown]
	s_barrier
	buffer_gl0_inv
	v_wmma_f32_16x16x16_f16 v[76:83], v[1:8], v[108:115], v[76:83]
	s_delay_alu instid0(VALU_DEP_1) | instskip(NEXT) | instid1(VALU_DEP_1)
	v_wmma_f32_16x16x16_f16 v[76:83], v[9:16], v[116:123], v[76:83]
	v_wmma_f32_16x16x16_f16 v[76:83], v[17:24], v[49:56], v[76:83]
	s_delay_alu instid0(VALU_DEP_1) | instskip(NEXT) | instid1(VALU_DEP_1)
	v_wmma_f32_16x16x16_f16 v[76:83], v[25:32], v[41:48], v[76:83]
	v_wmma_f32_16x16x16_f16 v[76:83], v[57:64], v[33:40], v[76:83]
	s_delay_alu instid0(VALU_DEP_1) | instskip(NEXT) | instid1(VALU_DEP_2)
	v_cvt_f16_f32_e32 v1, v76
	v_cvt_f16_f32_e32 v2, v77
	s_delay_alu instid0(VALU_DEP_3) | instskip(NEXT) | instid1(VALU_DEP_4)
	v_cvt_f16_f32_e32 v3, v78
	v_cvt_f16_f32_e32 v4, v79
	v_cvt_f16_f32_e32 v5, v80
	v_cvt_f16_f32_e32 v6, v81
	v_cvt_f16_f32_e32 v7, v82
	v_cvt_f16_f32_e32 v8, v83
	v_pack_b32_f16 v1, v1, v2
	v_pack_b32_f16 v2, v3, v4
	;; [unrolled: 1-line block ×3, first 2 shown]
	s_delay_alu instid0(VALU_DEP_4)
	v_pack_b32_f16 v4, v7, v8
	ds_store_b128 v74, v[1:4]
	s_waitcnt lgkmcnt(0)
	s_barrier
	buffer_gl0_inv
	ds_load_b128 v[1:4], v75
	ds_load_b128 v[5:8], v75 offset:16
	s_waitcnt lgkmcnt(1)
	v_lshrrev_b32_e32 v9, 16, v1
	s_waitcnt lgkmcnt(0)
	v_lshrrev_b32_e32 v13, 16, v5
	v_lshrrev_b32_e32 v10, 16, v2
	;; [unrolled: 1-line block ×4, first 2 shown]
	v_cndmask_b32_e32 v17, v1, v9, vcc_lo
	v_cndmask_b32_e32 v18, v5, v13, vcc_lo
	v_cndmask_b32_e64 v21, v1, v9, s5
	v_cmp_eq_u32_e32 vcc_lo, 1, v71
	v_cndmask_b32_e64 v22, v5, v13, s5
	v_cmp_eq_u32_e64 s5, 2, v70
	v_cndmask_b32_e64 v19, v1, v9, s4
	v_cndmask_b32_e64 v20, v5, v13, s4
	v_cndmask_b32_e32 v1, v1, v9, vcc_lo
	v_cmp_eq_u32_e64 s4, 2, v71
	v_cndmask_b32_e32 v5, v5, v13, vcc_lo
	v_cndmask_b32_e64 v9, v17, v2, s5
	v_cmp_eq_u32_e32 vcc_lo, 3, v70
	v_cndmask_b32_e64 v13, v18, v6, s5
	v_cmp_eq_u32_e64 s5, 2, v69
	v_cndmask_b32_e64 v17, v19, v2, s6
	v_cndmask_b32_e64 v18, v20, v6, s6
	v_cmp_eq_u32_e64 s6, 3, v69
	v_cndmask_b32_e64 v1, v1, v2, s4
	v_cndmask_b32_e64 v19, v21, v2, s5
	v_cndmask_b32_e64 v20, v22, v6, s5
	v_cndmask_b32_e64 v2, v5, v6, s4
	v_cndmask_b32_e32 v5, v9, v10, vcc_lo
	v_cndmask_b32_e32 v6, v13, v14, vcc_lo
	v_cmp_eq_u32_e32 vcc_lo, 3, v71
	v_cndmask_b32_e64 v9, v17, v10, s7
	v_cndmask_b32_e64 v13, v18, v14, s7
	;; [unrolled: 1-line block ×3, first 2 shown]
	v_cmp_eq_u32_e64 s5, 4, v70
	v_cndmask_b32_e32 v1, v1, v10, vcc_lo
	v_cndmask_b32_e32 v2, v2, v14, vcc_lo
	v_cmp_eq_u32_e32 vcc_lo, 4, v72
	v_lshrrev_b32_e32 v15, 16, v7
	v_lshrrev_b32_e32 v16, 16, v8
	v_cndmask_b32_e64 v17, v19, v10, s6
	v_cmp_eq_u32_e64 s4, 4, v71
	v_cndmask_b32_e64 v5, v5, v3, s5
	v_cndmask_b32_e64 v6, v6, v7, s5
	v_cndmask_b32_e32 v9, v9, v3, vcc_lo
	v_cmp_eq_u32_e64 s5, 5, v72
	v_cndmask_b32_e32 v10, v13, v7, vcc_lo
	v_cmp_eq_u32_e32 vcc_lo, 4, v69
	v_cmp_eq_u32_e64 s6, 5, v70
	v_cndmask_b32_e64 v2, v2, v7, s4
	v_cndmask_b32_e64 v9, v9, v11, s5
	;; [unrolled: 1-line block ×3, first 2 shown]
	v_cndmask_b32_e32 v13, v17, v3, vcc_lo
	v_cmp_eq_u32_e64 s5, 5, v69
	v_cndmask_b32_e32 v14, v18, v7, vcc_lo
	v_cndmask_b32_e64 v1, v1, v3, s4
	v_cmp_eq_u32_e32 vcc_lo, 5, v71
	v_lshrrev_b32_e32 v12, 16, v4
	v_cndmask_b32_e64 v13, v13, v11, s5
	v_cndmask_b32_e64 v3, v14, v15, s5
	v_cmp_eq_u32_e64 s5, 6, v71
	v_cndmask_b32_e32 v1, v1, v11, vcc_lo
	v_cndmask_b32_e64 v5, v5, v11, s6
	v_cmp_eq_u32_e64 s7, 6, v70
	v_cndmask_b32_e64 v6, v6, v15, s6
	v_cmp_eq_u32_e64 s6, 6, v72
	v_cmp_eq_u32_e64 s4, 6, v69
	v_cndmask_b32_e64 v1, v1, v4, s5
	v_cndmask_b32_e32 v2, v2, v15, vcc_lo
	v_cmp_eq_u32_e32 vcc_lo, 7, v71
	v_cndmask_b32_e64 v5, v5, v4, s7
	v_cndmask_b32_e64 v9, v9, v4, s6
	;; [unrolled: 1-line block ×3, first 2 shown]
	v_cmp_eq_u32_e64 s7, 7, v70
	v_cndmask_b32_e32 v1, v1, v12, vcc_lo
	v_cndmask_b32_e64 v7, v13, v4, s4
	v_cndmask_b32_e64 v3, v3, v8, s4
	;; [unrolled: 1-line block ×3, first 2 shown]
	v_cmp_eq_u32_e64 s4, 7, v69
	v_cndmask_b32_e64 v4, v10, v8, s6
	v_cndmask_b32_e64 v5, v5, v12, s7
	;; [unrolled: 1-line block ×3, first 2 shown]
	v_cndmask_b32_e32 v2, v2, v16, vcc_lo
	v_cndmask_b32_e64 v7, v7, v12, s4
	v_cndmask_b32_e64 v3, v3, v16, s4
	;; [unrolled: 1-line block ×4, first 2 shown]
	v_cmp_gt_u32_e32 vcc_lo, 32, v0
	v_perm_b32 v4, v2, v1, 0x5040100
	v_perm_b32 v3, v3, v7, 0x5040100
	;; [unrolled: 1-line block ×4, first 2 shown]
	s_and_b32 s2, vcc_lo, s2
	ds_store_b128 v74, v[1:4]
	s_waitcnt lgkmcnt(0)
	s_barrier
	buffer_gl0_inv
	s_and_saveexec_b32 s4, s2
	s_cbranch_execz .LBB862_2
; %bb.15:
	s_load_b64 s[4:5], s[0:1], 0x68
	v_lshlrev_b32_e32 v0, 10, v0
	v_lshlrev_b32_e32 v1, 4, v67
	s_lshl_b32 s0, s36, 6
	v_add_nc_u32_e32 v18, s33, v66
	s_mul_i32 s1, s0, s34
	s_delay_alu instid0(VALU_DEP_2) | instskip(SKIP_1) | instid1(VALU_DEP_2)
	v_and_or_b32 v0, 0x3800, v0, v1
	s_mul_i32 s6, s1, s9
	v_mul_lo_u32 v1, v18, s0
	s_ashr_i32 s7, s6, 31
	v_add_nc_u32_e32 v2, 2, v18
	v_lshl_or_b32 v19, v66, 6, v0
	s_lshl_b64 s[6:7], s[6:7], 1
	v_add_nc_u32_e32 v8, 4, v18
	v_add_nc_u32_e32 v15, 6, v18
	v_mul_lo_u32 v7, v2, s0
	ds_load_b128 v[3:6], v19
	v_ashrrev_i32_e32 v2, 31, v1
	v_mul_lo_u32 v11, v8, s0
	s_waitcnt lgkmcnt(0)
	s_add_u32 s1, s4, s6
	s_addc_u32 s2, s5, s7
	s_lshl_b32 s4, s14, 6
	v_lshlrev_b64 v[9:10], 1, v[1:2]
	s_ashr_i32 s5, s4, 31
	v_ashrrev_i32_e32 v8, 31, v7
	s_lshl_b64 s[4:5], s[4:5], 1
	v_ashrrev_i32_e32 v12, 31, v11
	s_add_u32 s1, s1, s4
	s_addc_u32 s2, s2, s5
	v_add_co_u32 v1, s1, s1, v65
	s_delay_alu instid0(VALU_DEP_1) | instskip(SKIP_1) | instid1(VALU_DEP_3)
	v_add_co_ci_u32_e64 v2, null, s2, 0, s1
	v_mul_lo_u32 v15, v15, s0
	v_add_co_u32 v13, vcc_lo, v1, v9
	s_delay_alu instid0(VALU_DEP_3)
	v_add_co_ci_u32_e32 v14, vcc_lo, v2, v10, vcc_lo
	v_lshlrev_b64 v[16:17], 1, v[7:8]
	ds_load_b128 v[7:10], v19 offset:128
	global_store_b128 v[13:14], v[3:6], off
	v_add_nc_u32_e32 v5, 8, v18
	v_lshlrev_b64 v[3:4], 1, v[11:12]
	v_add_co_u32 v23, vcc_lo, v1, v16
	v_ashrrev_i32_e32 v16, 31, v15
	s_delay_alu instid0(VALU_DEP_4) | instskip(SKIP_3) | instid1(VALU_DEP_3)
	v_mul_lo_u32 v25, v5, s0
	v_add_nc_u32_e32 v5, 10, v18
	v_add_co_ci_u32_e32 v24, vcc_lo, v2, v17, vcc_lo
	v_add_co_u32 v27, vcc_lo, v1, v3
	v_mul_lo_u32 v29, v5, s0
	v_add_co_ci_u32_e32 v28, vcc_lo, v2, v4, vcc_lo
	v_lshlrev_b64 v[31:32], 1, v[15:16]
	ds_load_b128 v[3:6], v19 offset:256
	ds_load_b128 v[11:14], v19 offset:384
	;; [unrolled: 1-line block ×4, first 2 shown]
	v_ashrrev_i32_e32 v26, 31, v25
	v_ashrrev_i32_e32 v30, 31, v29
	v_add_co_u32 v31, vcc_lo, v1, v31
	s_delay_alu instid0(VALU_DEP_3) | instskip(SKIP_1) | instid1(VALU_DEP_4)
	v_lshlrev_b64 v[25:26], 1, v[25:26]
	v_add_co_ci_u32_e32 v32, vcc_lo, v2, v32, vcc_lo
	v_lshlrev_b64 v[29:30], 1, v[29:30]
	s_delay_alu instid0(VALU_DEP_3) | instskip(NEXT) | instid1(VALU_DEP_4)
	v_add_co_u32 v25, vcc_lo, v1, v25
	v_add_co_ci_u32_e32 v26, vcc_lo, v2, v26, vcc_lo
	s_delay_alu instid0(VALU_DEP_3) | instskip(NEXT) | instid1(VALU_DEP_4)
	v_add_co_u32 v29, vcc_lo, v1, v29
	v_add_co_ci_u32_e32 v30, vcc_lo, v2, v30, vcc_lo
	s_waitcnt lgkmcnt(4)
	global_store_b128 v[23:24], v[7:10], off
	s_waitcnt lgkmcnt(3)
	global_store_b128 v[27:28], v[3:6], off
	;; [unrolled: 2-line block ×5, first 2 shown]
	s_and_b32 exec_lo, exec_lo, s3
	s_cbranch_execz .LBB862_2
; %bb.16:
	ds_load_b128 v[3:6], v0 offset:768
	s_add_i32 s1, s33, 12
	s_delay_alu instid0(SALU_CYCLE_1) | instskip(NEXT) | instid1(SALU_CYCLE_1)
	s_mul_i32 s0, s1, s0
	s_ashr_i32 s1, s0, 31
	s_delay_alu instid0(SALU_CYCLE_1) | instskip(NEXT) | instid1(SALU_CYCLE_1)
	s_lshl_b64 s[0:1], s[0:1], 1
	v_add_co_u32 v0, vcc_lo, v1, s0
	v_add_co_ci_u32_e32 v1, vcc_lo, s1, v2, vcc_lo
	s_waitcnt lgkmcnt(0)
	global_store_b128 v[0:1], v[3:6], off
	s_nop 0
	s_sendmsg sendmsg(MSG_DEALLOC_VGPRS)
	s_endpgm
	.section	.rodata,"a",@progbits
	.p2align	6, 0x0
	.amdhsa_kernel _Z39paged_attention_ll4mi_QKV_mfma16_kernelIDF16_hLN4vllm18Fp8KVCacheDataTypeE1EhLi32ELi64ELi256ELb1ELi13EL8MFMAType1EEvPKT_PKT0_S8_ifPKiSA_SA_iPKfiiiPfSD_PS3_PT2_iSC_SC_
		.amdhsa_group_segment_fixed_size 17472
		.amdhsa_private_segment_fixed_size 0
		.amdhsa_kernarg_size 400
		.amdhsa_user_sgpr_count 13
		.amdhsa_user_sgpr_dispatch_ptr 0
		.amdhsa_user_sgpr_queue_ptr 0
		.amdhsa_user_sgpr_kernarg_segment_ptr 1
		.amdhsa_user_sgpr_dispatch_id 0
		.amdhsa_user_sgpr_private_segment_size 0
		.amdhsa_wavefront_size32 1
		.amdhsa_uses_dynamic_stack 0
		.amdhsa_enable_private_segment 0
		.amdhsa_system_sgpr_workgroup_id_x 1
		.amdhsa_system_sgpr_workgroup_id_y 1
		.amdhsa_system_sgpr_workgroup_id_z 1
		.amdhsa_system_sgpr_workgroup_info 0
		.amdhsa_system_vgpr_workitem_id 0
		.amdhsa_next_free_vgpr 146
		.amdhsa_next_free_sgpr 37
		.amdhsa_reserve_vcc 1
		.amdhsa_float_round_mode_32 0
		.amdhsa_float_round_mode_16_64 0
		.amdhsa_float_denorm_mode_32 3
		.amdhsa_float_denorm_mode_16_64 3
		.amdhsa_dx10_clamp 1
		.amdhsa_ieee_mode 1
		.amdhsa_fp16_overflow 0
		.amdhsa_workgroup_processor_mode 1
		.amdhsa_memory_ordered 1
		.amdhsa_forward_progress 0
		.amdhsa_shared_vgpr_count 0
		.amdhsa_exception_fp_ieee_invalid_op 0
		.amdhsa_exception_fp_denorm_src 0
		.amdhsa_exception_fp_ieee_div_zero 0
		.amdhsa_exception_fp_ieee_overflow 0
		.amdhsa_exception_fp_ieee_underflow 0
		.amdhsa_exception_fp_ieee_inexact 0
		.amdhsa_exception_int_div_zero 0
	.end_amdhsa_kernel
	.section	.text._Z39paged_attention_ll4mi_QKV_mfma16_kernelIDF16_hLN4vllm18Fp8KVCacheDataTypeE1EhLi32ELi64ELi256ELb1ELi13EL8MFMAType1EEvPKT_PKT0_S8_ifPKiSA_SA_iPKfiiiPfSD_PS3_PT2_iSC_SC_,"axG",@progbits,_Z39paged_attention_ll4mi_QKV_mfma16_kernelIDF16_hLN4vllm18Fp8KVCacheDataTypeE1EhLi32ELi64ELi256ELb1ELi13EL8MFMAType1EEvPKT_PKT0_S8_ifPKiSA_SA_iPKfiiiPfSD_PS3_PT2_iSC_SC_,comdat
.Lfunc_end862:
	.size	_Z39paged_attention_ll4mi_QKV_mfma16_kernelIDF16_hLN4vllm18Fp8KVCacheDataTypeE1EhLi32ELi64ELi256ELb1ELi13EL8MFMAType1EEvPKT_PKT0_S8_ifPKiSA_SA_iPKfiiiPfSD_PS3_PT2_iSC_SC_, .Lfunc_end862-_Z39paged_attention_ll4mi_QKV_mfma16_kernelIDF16_hLN4vllm18Fp8KVCacheDataTypeE1EhLi32ELi64ELi256ELb1ELi13EL8MFMAType1EEvPKT_PKT0_S8_ifPKiSA_SA_iPKfiiiPfSD_PS3_PT2_iSC_SC_
                                        ; -- End function
	.section	.AMDGPU.csdata,"",@progbits
; Kernel info:
; codeLenInByte = 6700
; NumSgprs: 39
; NumVgprs: 146
; ScratchSize: 0
; MemoryBound: 0
; FloatMode: 240
; IeeeMode: 1
; LDSByteSize: 17472 bytes/workgroup (compile time only)
; SGPRBlocks: 4
; VGPRBlocks: 18
; NumSGPRsForWavesPerEU: 39
; NumVGPRsForWavesPerEU: 146
; Occupancy: 9
; WaveLimiterHint : 1
; COMPUTE_PGM_RSRC2:SCRATCH_EN: 0
; COMPUTE_PGM_RSRC2:USER_SGPR: 13
; COMPUTE_PGM_RSRC2:TRAP_HANDLER: 0
; COMPUTE_PGM_RSRC2:TGID_X_EN: 1
; COMPUTE_PGM_RSRC2:TGID_Y_EN: 1
; COMPUTE_PGM_RSRC2:TGID_Z_EN: 1
; COMPUTE_PGM_RSRC2:TIDIG_COMP_CNT: 0
	.section	.text._Z39paged_attention_ll4mi_QKV_mfma16_kernelIDF16_hLN4vllm18Fp8KVCacheDataTypeE1EhLi32ELi64ELi256ELb1ELi14EL8MFMAType1EEvPKT_PKT0_S8_ifPKiSA_SA_iPKfiiiPfSD_PS3_PT2_iSC_SC_,"axG",@progbits,_Z39paged_attention_ll4mi_QKV_mfma16_kernelIDF16_hLN4vllm18Fp8KVCacheDataTypeE1EhLi32ELi64ELi256ELb1ELi14EL8MFMAType1EEvPKT_PKT0_S8_ifPKiSA_SA_iPKfiiiPfSD_PS3_PT2_iSC_SC_,comdat
	.protected	_Z39paged_attention_ll4mi_QKV_mfma16_kernelIDF16_hLN4vllm18Fp8KVCacheDataTypeE1EhLi32ELi64ELi256ELb1ELi14EL8MFMAType1EEvPKT_PKT0_S8_ifPKiSA_SA_iPKfiiiPfSD_PS3_PT2_iSC_SC_ ; -- Begin function _Z39paged_attention_ll4mi_QKV_mfma16_kernelIDF16_hLN4vllm18Fp8KVCacheDataTypeE1EhLi32ELi64ELi256ELb1ELi14EL8MFMAType1EEvPKT_PKT0_S8_ifPKiSA_SA_iPKfiiiPfSD_PS3_PT2_iSC_SC_
	.globl	_Z39paged_attention_ll4mi_QKV_mfma16_kernelIDF16_hLN4vllm18Fp8KVCacheDataTypeE1EhLi32ELi64ELi256ELb1ELi14EL8MFMAType1EEvPKT_PKT0_S8_ifPKiSA_SA_iPKfiiiPfSD_PS3_PT2_iSC_SC_
	.p2align	8
	.type	_Z39paged_attention_ll4mi_QKV_mfma16_kernelIDF16_hLN4vllm18Fp8KVCacheDataTypeE1EhLi32ELi64ELi256ELb1ELi14EL8MFMAType1EEvPKT_PKT0_S8_ifPKiSA_SA_iPKfiiiPfSD_PS3_PT2_iSC_SC_,@function
_Z39paged_attention_ll4mi_QKV_mfma16_kernelIDF16_hLN4vllm18Fp8KVCacheDataTypeE1EhLi32ELi64ELi256ELb1ELi14EL8MFMAType1EEvPKT_PKT0_S8_ifPKiSA_SA_iPKfiiiPfSD_PS3_PT2_iSC_SC_: ; @_Z39paged_attention_ll4mi_QKV_mfma16_kernelIDF16_hLN4vllm18Fp8KVCacheDataTypeE1EhLi32ELi64ELi256ELb1ELi14EL8MFMAType1EEvPKT_PKT0_S8_ifPKiSA_SA_iPKfiiiPfSD_PS3_PT2_iSC_SC_
; %bb.0:
	s_load_b64 s[2:3], s[0:1], 0x30
	s_mov_b32 s34, s13
	s_waitcnt lgkmcnt(0)
	s_cmp_lg_u64 s[2:3], 0
	s_cselect_b32 s6, -1, 0
	s_ashr_i32 s35, s13, 31
	s_cmp_eq_u64 s[2:3], 0
	s_cbranch_scc1 .LBB863_3
; %bb.1:
	s_lshl_b64 s[4:5], s[34:35], 2
	s_delay_alu instid0(SALU_CYCLE_1) | instskip(SKIP_4) | instid1(SALU_CYCLE_1)
	s_add_u32 s4, s2, s4
	s_addc_u32 s5, s3, s5
	s_load_b64 s[4:5], s[4:5], 0x0
	s_waitcnt lgkmcnt(0)
	s_sub_i32 s4, s5, s4
	s_cmp_eq_u32 s4, 1
	s_cselect_b32 s4, -1, 0
	s_delay_alu instid0(SALU_CYCLE_1)
	s_and_not1_b32 vcc_lo, exec_lo, s4
	s_cbranch_vccz .LBB863_4
.LBB863_2:
	s_endpgm
.LBB863_3:
.LBB863_4:
	s_load_b64 s[8:9], s[0:1], 0x28
	s_lshl_b64 s[4:5], s[34:35], 2
	s_waitcnt lgkmcnt(0)
	s_add_u32 s8, s8, s4
	s_addc_u32 s9, s9, s5
	s_lshl_b32 s16, s14, 8
	s_load_b32 s18, s[8:9], 0x0
	s_waitcnt lgkmcnt(0)
	s_cmp_ge_i32 s16, s18
	s_cbranch_scc1 .LBB863_2
; %bb.5:
	s_clause 0x1
	s_load_b128 s[8:11], s[0:1], 0x8
	s_load_b64 s[12:13], s[0:1], 0x20
	s_and_not1_b32 vcc_lo, exec_lo, s6
	s_cbranch_vccnz .LBB863_7
; %bb.6:
	s_add_u32 s2, s2, s4
	s_addc_u32 s3, s3, s5
	s_load_b32 s3, s[2:3], 0x0
	s_branch .LBB863_8
.LBB863_7:
	s_mov_b32 s3, s34
.LBB863_8:
	s_load_b128 s[4:7], s[0:1], 0x48
	v_and_b32_e32 v68, 15, v0
	v_cmp_gt_u32_e32 vcc_lo, 0xe0, v0
	v_lshrrev_b32_e32 v69, 5, v0
	v_and_b32_e32 v70, 31, v0
	v_and_b32_e32 v67, 1, v0
	v_lshlrev_b32_e32 v1, 3, v68
	v_cmp_gt_u32_e64 s2, 8, v68
	v_bfe_u32 v66, v0, 4, 1
	s_mul_i32 s31, s15, 14
	s_delay_alu instid0(VALU_DEP_3) | instskip(NEXT) | instid1(VALU_DEP_3)
	v_lshlrev_b32_e32 v65, 1, v1
	s_and_b32 s17, vcc_lo, s2
	s_waitcnt lgkmcnt(0)
	s_and_saveexec_b32 s7, s17
	s_cbranch_execz .LBB863_10
; %bb.9:
	s_load_b64 s[20:21], s[0:1], 0x0
	v_lshl_or_b32 v5, v69, 1, v66
	s_mul_hi_i32 s23, s3, s4
	s_mul_i32 s22, s3, s4
	v_lshlrev_b32_e32 v6, 10, v68
	s_lshl_b64 s[22:23], s[22:23], 1
	v_add_lshl_u32 v1, v5, s31, 6
	v_lshlrev_b32_e32 v5, 6, v5
	v_lshlrev_b32_e32 v7, 10, v67
	v_and_b32_e32 v6, 0x3800, v6
	s_delay_alu instid0(VALU_DEP_4) | instskip(NEXT) | instid1(VALU_DEP_2)
	v_ashrrev_i32_e32 v2, 31, v1
	v_or3_b32 v5, v6, v7, v5
	s_delay_alu instid0(VALU_DEP_2) | instskip(SKIP_3) | instid1(VALU_DEP_1)
	v_lshlrev_b64 v[1:2], 1, v[1:2]
	s_waitcnt lgkmcnt(0)
	s_add_u32 s3, s20, s22
	s_addc_u32 s4, s21, s23
	v_add_co_u32 v1, vcc_lo, s3, v1
	s_delay_alu instid0(VALU_DEP_2) | instskip(NEXT) | instid1(VALU_DEP_2)
	v_add_co_ci_u32_e32 v2, vcc_lo, s4, v2, vcc_lo
	v_add_co_u32 v1, vcc_lo, v1, v65
	s_delay_alu instid0(VALU_DEP_2)
	v_add_co_ci_u32_e32 v2, vcc_lo, 0, v2, vcc_lo
	global_load_b128 v[1:4], v[1:2], off
	s_waitcnt vmcnt(0)
	ds_store_b128 v5, v[1:4]
.LBB863_10:
	s_or_b32 exec_lo, exec_lo, s7
	v_and_b32_e32 v1, 0xef, v0
	s_add_i32 s3, s18, 31
	s_clause 0x1
	s_load_b32 s4, s[0:1], 0x38
	s_load_b32 s33, s[0:1], 0x98
	s_ashr_i32 s7, s3, 31
	v_add_nc_u32_e32 v1, s16, v1
	s_lshr_b32 s7, s7, 27
	s_load_b32 s19, s[0:1], 0x1c
	v_add_nc_u32_e32 v103, -14, v68
	s_add_i32 s3, s3, s7
	v_ashrrev_i32_e32 v2, 31, v1
	v_or_b32_e32 v3, 16, v1
	s_ashr_i32 s3, s3, 5
	v_cmp_gt_i32_e32 vcc_lo, s18, v1
	s_add_i32 s3, s3, -1
	v_lshrrev_b32_e32 v2, 27, v2
	s_waitcnt lgkmcnt(0)
	s_barrier
	buffer_gl0_inv
	s_mul_i32 s15, s15, s6
	v_add_nc_u32_e32 v4, v1, v2
	v_mbcnt_lo_u32_b32 v127, -1, 0
	s_mul_i32 s20, s34, s4
	s_delay_alu instid0(SALU_CYCLE_1) | instskip(NEXT) | instid1(VALU_DEP_2)
	s_ashr_i32 s21, s20, 31
	v_ashrrev_i32_e32 v4, 5, v4
	v_add_nc_u32_e32 v2, v3, v2
	s_lshl_b64 s[20:21], s[20:21], 2
	v_xor_b32_e32 v128, 16, v127
	s_add_u32 s17, s12, s20
	v_cndmask_b32_e32 v1, s3, v4, vcc_lo
	v_ashrrev_i32_e32 v2, 5, v2
	v_cmp_gt_i32_e32 vcc_lo, s18, v3
	s_addc_u32 s13, s13, s21
	s_ashr_i32 s20, s15, 31
	s_add_u32 s22, s8, s15
	s_addc_u32 s23, s9, s20
	v_cndmask_b32_e32 v3, s3, v2, vcc_lo
	v_ashrrev_i32_e32 v2, 31, v1
	s_lshl_b32 s6, s14, 3
	s_delay_alu instid0(SALU_CYCLE_1) | instskip(NEXT) | instid1(VALU_DEP_2)
	s_ashr_i32 s7, s6, 31
	v_ashrrev_i32_e32 v4, 31, v3
	s_delay_alu instid0(VALU_DEP_2) | instskip(SKIP_1) | instid1(SALU_CYCLE_1)
	v_lshlrev_b64 v[1:2], 2, v[1:2]
	s_lshl_b64 s[6:7], s[6:7], 2
	s_add_u32 s6, s17, s6
	s_delay_alu instid0(VALU_DEP_2) | instskip(SKIP_1) | instid1(VALU_DEP_2)
	v_lshlrev_b64 v[3:4], 2, v[3:4]
	s_addc_u32 s7, s13, s7
	v_add_co_u32 v1, vcc_lo, s17, v1
	v_add_co_ci_u32_e32 v2, vcc_lo, s13, v2, vcc_lo
	s_delay_alu instid0(VALU_DEP_3) | instskip(NEXT) | instid1(VALU_DEP_4)
	v_add_co_u32 v3, vcc_lo, s17, v3
	v_add_co_ci_u32_e32 v4, vcc_lo, s13, v4, vcc_lo
	s_clause 0x1
	global_load_b32 v5, v[1:2], off
	global_load_b32 v6, v[3:4], off
	s_or_b32 s4, s16, 32
	s_delay_alu instid0(SALU_CYCLE_1) | instskip(SKIP_2) | instid1(SALU_CYCLE_1)
	s_ashr_i32 s8, s4, 5
	s_cmp_lt_i32 s4, s18
	s_cselect_b32 s8, s8, s3
	s_ashr_i32 s9, s8, 31
	s_delay_alu instid0(SALU_CYCLE_1) | instskip(NEXT) | instid1(SALU_CYCLE_1)
	s_lshl_b64 s[8:9], s[8:9], 2
	s_add_u32 s8, s17, s8
	s_addc_u32 s9, s13, s9
	s_or_b32 s4, s16, 64
	s_delay_alu instid0(SALU_CYCLE_1) | instskip(SKIP_2) | instid1(SALU_CYCLE_1)
	s_ashr_i32 s12, s4, 5
	s_cmp_lt_i32 s4, s18
	s_cselect_b32 s24, s12, s3
	s_ashr_i32 s25, s24, 31
	s_delay_alu instid0(SALU_CYCLE_1) | instskip(NEXT) | instid1(SALU_CYCLE_1)
	s_lshl_b64 s[24:25], s[24:25], 2
	s_add_u32 s24, s17, s24
	s_addc_u32 s25, s13, s25
	s_or_b32 s4, s16, 0x60
	s_delay_alu instid0(SALU_CYCLE_1) | instskip(SKIP_2) | instid1(SALU_CYCLE_1)
	s_ashr_i32 s12, s4, 5
	s_cmp_lt_i32 s4, s18
	s_cselect_b32 s26, s12, s3
	s_ashr_i32 s27, s26, 31
	s_delay_alu instid0(SALU_CYCLE_1) | instskip(NEXT) | instid1(SALU_CYCLE_1)
	s_lshl_b64 s[26:27], s[26:27], 2
	s_add_u32 s26, s17, s26
	s_addc_u32 s27, s13, s27
	s_or_b32 s4, s16, 0x80
	s_delay_alu instid0(SALU_CYCLE_1) | instskip(SKIP_2) | instid1(SALU_CYCLE_1)
	s_ashr_i32 s12, s4, 5
	s_cmp_lt_i32 s4, s18
	s_cselect_b32 s28, s12, s3
	s_ashr_i32 s29, s28, 31
	s_delay_alu instid0(SALU_CYCLE_1) | instskip(NEXT) | instid1(SALU_CYCLE_1)
	s_lshl_b64 s[28:29], s[28:29], 2
	s_add_u32 s28, s17, s28
	s_addc_u32 s29, s13, s29
	s_or_b32 s4, s16, 0xa0
	s_delay_alu instid0(SALU_CYCLE_1) | instskip(SKIP_2) | instid1(SALU_CYCLE_1)
	s_ashr_i32 s12, s4, 5
	s_cmp_lt_i32 s4, s18
	s_cselect_b32 s36, s12, s3
	s_ashr_i32 s37, s36, 31
	s_delay_alu instid0(SALU_CYCLE_1) | instskip(NEXT) | instid1(SALU_CYCLE_1)
	s_lshl_b64 s[36:37], s[36:37], 2
	s_add_u32 s36, s17, s36
	s_addc_u32 s37, s13, s37
	s_clause 0x5
	s_load_b32 s12, s[6:7], 0x0
	s_load_b32 s4, s[8:9], 0x0
	;; [unrolled: 1-line block ×6, first 2 shown]
	s_or_b32 s21, s16, 0xc0
	s_waitcnt vmcnt(1)
	v_mad_i64_i32 v[1:2], null, v5, s5, s[22:23]
	v_lshlrev_b32_e32 v5, 4, v68
	s_waitcnt vmcnt(0)
	v_mad_i64_i32 v[3:4], null, v6, s5, s[22:23]
	s_ashr_i32 s22, s21, 5
	s_cmp_lt_i32 s21, s18
	s_delay_alu instid0(VALU_DEP_3) | instskip(NEXT) | instid1(VALU_DEP_4)
	v_add_co_u32 v1, vcc_lo, v1, v5
	v_add_co_ci_u32_e32 v2, vcc_lo, 0, v2, vcc_lo
	s_delay_alu instid0(VALU_DEP_3) | instskip(NEXT) | instid1(VALU_DEP_4)
	v_add_co_u32 v3, vcc_lo, v3, v5
	v_add_co_ci_u32_e32 v4, vcc_lo, 0, v4, vcc_lo
	s_clause 0x7
	global_load_b128 v[71:74], v[1:2], off
	global_load_b128 v[75:78], v[1:2], off offset:512
	global_load_b128 v[79:82], v[3:4], off offset:256
	;; [unrolled: 1-line block ×7, first 2 shown]
	s_cselect_b32 s22, s22, s3
	v_lshlrev_b32_e32 v1, 5, v68
	s_ashr_i32 s23, s22, 31
	v_cmp_gt_u32_e32 vcc_lo, 14, v68
	s_lshl_b64 s[22:23], s[22:23], 2
	s_delay_alu instid0(SALU_CYCLE_1)
	s_add_u32 s22, s17, s22
	s_addc_u32 s23, s13, s23
	s_or_b32 s21, s16, 0xe0
	v_lshl_or_b32 v1, v69, 9, v1
	s_ashr_i32 s24, s21, 5
	s_cmp_lt_i32 s21, s18
	v_cndmask_b32_e32 v103, v103, v68, vcc_lo
	s_cselect_b32 s24, s24, s3
	s_load_b32 s3, s[22:23], 0x0
	s_ashr_i32 s25, s24, 31
	v_cmp_gt_i32_e32 vcc_lo, 32, v128
	s_lshl_b64 s[24:25], s[24:25], 2
	v_lshlrev_b32_e32 v115, 6, v103
	s_add_u32 s22, s17, s24
	s_addc_u32 s23, s13, s25
	v_cndmask_b32_e32 v136, v127, v128, vcc_lo
	s_add_u32 s10, s10, s15
	s_addc_u32 s11, s11, s20
	v_add_co_u32 v1, s10, s10, v1
	s_delay_alu instid0(VALU_DEP_1) | instskip(SKIP_2) | instid1(VALU_DEP_1)
	v_add_co_ci_u32_e64 v2, null, s11, 0, s10
	s_load_b32 s10, s[22:23], 0x0
	s_waitcnt lgkmcnt(0)
	v_mad_i64_i32 v[3:4], null, s12, s5, v[1:2]
	v_mad_i64_i32 v[9:10], null, s7, s5, v[1:2]
	;; [unrolled: 1-line block ×7, first 2 shown]
	s_clause 0x5
	global_load_b128 v[49:52], v[3:4], off
	global_load_b128 v[53:56], v[3:4], off offset:16
	global_load_b128 v[41:44], v[5:6], off
	global_load_b128 v[45:48], v[5:6], off offset:16
	;; [unrolled: 2-line block ×3, first 2 shown]
	s_mov_b32 s4, 0
	v_mad_i64_i32 v[61:62], null, s10, s5, v[1:2]
	s_clause 0x9
	global_load_b128 v[1:4], v[9:10], off
	global_load_b128 v[5:8], v[9:10], off offset:16
	global_load_b128 v[9:12], v[13:14], off
	global_load_b128 v[13:16], v[13:14], off offset:16
	;; [unrolled: 2-line block ×5, first 2 shown]
	s_mov_b32 s5, s4
	s_mov_b32 s6, s4
	;; [unrolled: 1-line block ×7, first 2 shown]
	v_and_b32_e32 v104, 0xe0, v0
	v_dual_mov_b32 v126, s11 :: v_dual_mov_b32 v125, s10
	v_dual_mov_b32 v124, s9 :: v_dual_mov_b32 v123, s8
	s_delay_alu instid0(VALU_DEP_3)
	v_add_nc_u32_e32 v111, s16, v104
	ds_load_b128 v[103:106], v115
	ds_load_b128 v[107:110], v115 offset:1024
	v_dual_mov_b32 v122, s7 :: v_dual_mov_b32 v121, s6
	v_mov_b32_e32 v120, s5
	v_or_b32_e32 v135, v111, v66
	ds_load_b128 v[111:114], v115 offset:2048
	ds_load_b128 v[115:118], v115 offset:3072
	v_mov_b32_e32 v119, s4
	s_waitcnt vmcnt(0) lgkmcnt(0)
	s_barrier
	v_or_b32_e32 v137, 2, v135
	v_or_b32_e32 v138, 4, v135
	;; [unrolled: 1-line block ×3, first 2 shown]
	v_cmp_gt_i32_e32 vcc_lo, s18, v135
	v_or_b32_e32 v140, 8, v135
	v_cmp_gt_i32_e64 s3, s18, v137
	v_or_b32_e32 v141, 10, v135
	v_cmp_gt_i32_e64 s4, s18, v138
	v_cmp_gt_i32_e64 s5, s18, v139
	v_or_b32_e32 v142, 12, v135
	v_or_b32_e32 v143, 14, v135
	v_cmp_gt_i32_e64 s6, s18, v140
	v_cmp_gt_i32_e64 s7, s18, v141
	v_or_b32_e32 v144, 16, v135
	v_or_b32_e32 v145, 18, v135
	v_cmp_gt_i32_e64 s8, s18, v142
	v_cmp_gt_i32_e64 s9, s18, v143
	buffer_gl0_inv
	v_cmp_gt_i32_e64 s10, s18, v144
	v_cmp_gt_i32_e64 s11, s18, v145
	v_wmma_f32_16x16x16_f16 v[127:134], v[71:78], v[103:110], v[119:126]
	v_wmma_f32_16x16x16_f16 v[119:126], v[79:86], v[103:110], v[119:126]
	v_or_b32_e32 v71, 20, v135
	v_or_b32_e32 v72, 22, v135
	s_delay_alu instid0(VALU_DEP_4)
	v_wmma_f32_16x16x16_f16 v[127:134], v[87:94], v[111:118], v[127:134]
	v_or_b32_e32 v73, 24, v135
	v_wmma_f32_16x16x16_f16 v[119:126], v[95:102], v[111:118], v[119:126]
	v_or_b32_e32 v74, 26, v135
	v_cmp_gt_i32_e64 s12, s18, v71
	v_dual_mul_f32 v83, s19, v128 :: v_dual_mul_f32 v84, s19, v127
	s_delay_alu instid0(VALU_DEP_4) | instskip(SKIP_1) | instid1(VALU_DEP_3)
	v_dual_mul_f32 v81, s19, v130 :: v_dual_mul_f32 v92, s19, v119
	v_mul_f32_e32 v82, s19, v129
	v_cndmask_b32_e64 v83, 0xff7fffff, v83, s3
	s_delay_alu instid0(VALU_DEP_4)
	v_cndmask_b32_e32 v84, 0xff7fffff, v84, vcc_lo
	v_dual_mul_f32 v79, s19, v132 :: v_dual_mul_f32 v90, s19, v121
	v_mul_f32_e32 v80, s19, v131
	v_cndmask_b32_e64 v82, 0xff7fffff, v82, s4
	v_cndmask_b32_e64 v81, 0xff7fffff, v81, s5
	v_max3_f32 v83, v84, 0xff7fffff, v83
	v_dual_mul_f32 v77, s19, v134 :: v_dual_mul_f32 v88, s19, v123
	v_mul_f32_e32 v78, s19, v133
	v_cndmask_b32_e64 v80, 0xff7fffff, v80, s6
	v_cndmask_b32_e64 v79, 0xff7fffff, v79, s7
	v_max3_f32 v81, v83, v82, v81
	v_mul_f32_e32 v91, s19, v120
	v_cndmask_b32_e64 v78, 0xff7fffff, v78, s8
	v_cndmask_b32_e64 v77, 0xff7fffff, v77, s9
	v_mul_f32_e32 v89, s19, v122
	v_max3_f32 v79, v81, v80, v79
	v_cndmask_b32_e64 v80, 0xff7fffff, v92, s10
	v_cndmask_b32_e64 v81, 0xff7fffff, v91, s11
	v_cmp_gt_i32_e64 s13, s18, v72
	v_or_b32_e32 v75, 28, v135
	v_max3_f32 v77, v79, v78, v77
	v_or_b32_e32 v76, 30, v135
	v_mul_f32_e32 v87, s19, v124
	v_cndmask_b32_e64 v71, 0xff7fffff, v90, s12
	v_cndmask_b32_e64 v72, 0xff7fffff, v89, s13
	v_max3_f32 v77, v77, v80, v81
	v_cmp_gt_i32_e64 s15, s18, v73
	v_cmp_gt_i32_e64 s16, s18, v74
	v_dual_mul_f32 v85, s19, v126 :: v_dual_mul_f32 v86, s19, v125
	s_delay_alu instid0(VALU_DEP_4) | instskip(NEXT) | instid1(VALU_DEP_4)
	v_max3_f32 v71, v77, v71, v72
	v_cndmask_b32_e64 v73, 0xff7fffff, v88, s15
	s_delay_alu instid0(VALU_DEP_4) | instskip(SKIP_2) | instid1(VALU_DEP_3)
	v_cndmask_b32_e64 v74, 0xff7fffff, v87, s16
	v_cmp_gt_i32_e64 s17, s18, v75
	v_cmp_gt_i32_e64 s18, s18, v76
	v_max3_f32 v71, v71, v73, v74
	s_delay_alu instid0(VALU_DEP_3) | instskip(NEXT) | instid1(VALU_DEP_3)
	v_cndmask_b32_e64 v72, 0xff7fffff, v86, s17
	v_cndmask_b32_e64 v75, 0xff7fffff, v85, s18
	v_lshlrev_b32_e32 v73, 2, v136
	s_delay_alu instid0(VALU_DEP_2) | instskip(SKIP_3) | instid1(VALU_DEP_1)
	v_max3_f32 v71, v71, v72, v75
	ds_bpermute_b32 v72, v73, v71
	s_waitcnt lgkmcnt(0)
	v_max_f32_e32 v72, v72, v72
	v_max_f32_e32 v71, v71, v72
	s_delay_alu instid0(VALU_DEP_1)
	v_fma_f32 v72, s19, v127, -v71
	v_fma_f32 v74, s19, v128, -v71
	;; [unrolled: 1-line block ×5, first 2 shown]
	v_mul_f32_e32 v72, 0x3fb8aa3b, v72
	v_mul_f32_e32 v74, 0x3fb8aa3b, v74
	v_fma_f32 v80, s19, v133, -v71
	s_delay_alu instid0(VALU_DEP_4) | instskip(NEXT) | instid1(VALU_DEP_4)
	v_dual_mul_f32 v76, 0x3fb8aa3b, v76 :: v_dual_mul_f32 v77, 0x3fb8aa3b, v77
	v_exp_f32_e32 v72, v72
	s_delay_alu instid0(VALU_DEP_3) | instskip(NEXT) | instid1(VALU_DEP_2)
	v_exp_f32_e32 v74, v74
	v_mul_f32_e32 v82, 0x3fb8aa3b, v80
	s_delay_alu instid0(VALU_DEP_2) | instskip(SKIP_1) | instid1(VALU_DEP_1)
	v_exp_f32_e32 v76, v76
	v_exp_f32_e32 v77, v77
	;; [unrolled: 1-line block ×3, first 2 shown]
	v_cndmask_b32_e32 v79, 0, v72, vcc_lo
	v_fma_f32 v72, s19, v132, -v71
	v_mul_f32_e32 v75, 0x3fb8aa3b, v75
	v_cndmask_b32_e64 v78, 0, v74, s3
	s_delay_alu instid0(TRANS32_DEP_3)
	v_cndmask_b32_e64 v80, 0, v76, s5
	v_add_f32_e32 v74, 0, v79
	v_mul_f32_e32 v72, 0x3fb8aa3b, v72
	v_exp_f32_e32 v75, v75
	v_cndmask_b32_e64 v83, 0, v77, s6
	v_cndmask_b32_e64 v85, 0, v84, s8
	v_add_f32_e32 v74, v74, v78
	v_exp_f32_e32 v72, v72
	s_mov_b32 s3, exec_lo
	s_waitcnt_depctr 0xfff
	v_cndmask_b32_e64 v81, 0, v75, s4
	v_cndmask_b32_e64 v82, 0, v72, s7
	s_delay_alu instid0(VALU_DEP_2) | instskip(NEXT) | instid1(VALU_DEP_1)
	v_add_f32_e32 v74, v74, v81
	v_add_f32_e32 v74, v74, v80
	s_delay_alu instid0(VALU_DEP_1) | instskip(SKIP_4) | instid1(VALU_DEP_4)
	v_add_f32_e32 v72, v74, v83
	v_fma_f32 v75, s19, v134, -v71
	v_fma_f32 v76, s19, v119, -v71
	;; [unrolled: 1-line block ×4, first 2 shown]
	v_dual_add_f32 v72, v72, v82 :: v_dual_mul_f32 v75, 0x3fb8aa3b, v75
	s_delay_alu instid0(VALU_DEP_3) | instskip(SKIP_1) | instid1(VALU_DEP_3)
	v_dual_mul_f32 v76, 0x3fb8aa3b, v76 :: v_dual_mul_f32 v77, 0x3fb8aa3b, v77
	v_fma_f32 v86, s19, v122, -v71
	v_add_f32_e32 v72, v72, v85
	s_delay_alu instid0(VALU_DEP_4) | instskip(NEXT) | instid1(VALU_DEP_3)
	v_exp_f32_e32 v75, v75
	v_exp_f32_e32 v76, v76
	;; [unrolled: 1-line block ×3, first 2 shown]
	v_mul_f32_e32 v86, 0x3fb8aa3b, v86
	s_delay_alu instid0(VALU_DEP_1) | instskip(SKIP_3) | instid1(TRANS32_DEP_3)
	v_exp_f32_e32 v88, v86
	v_cndmask_b32_e64 v84, 0, v75, s9
	v_fma_f32 v75, s19, v123, -v71
	v_mul_f32_e32 v74, 0x3fb8aa3b, v74
	v_cndmask_b32_e64 v87, 0, v76, s10
	v_fma_f32 v76, s19, v124, -v71
	s_delay_alu instid0(VALU_DEP_4) | instskip(NEXT) | instid1(VALU_DEP_4)
	v_dual_add_f32 v72, v72, v84 :: v_dual_mul_f32 v75, 0x3fb8aa3b, v75
	v_exp_f32_e32 v74, v74
	v_cndmask_b32_e64 v86, 0, v77, s11
	v_fma_f32 v77, s19, v125, -v71
	s_delay_alu instid0(VALU_DEP_3) | instskip(SKIP_3) | instid1(VALU_DEP_3)
	v_add_f32_e32 v72, v72, v87
	v_mul_f32_e32 v76, 0x3fb8aa3b, v76
	v_exp_f32_e32 v75, v75
	v_cndmask_b32_e64 v88, 0, v88, s13
	v_add_f32_e32 v72, v72, v86
	s_delay_alu instid0(VALU_DEP_3) | instskip(NEXT) | instid1(TRANS32_DEP_3)
	v_exp_f32_e32 v76, v76
	v_cndmask_b32_e64 v89, 0, v74, s12
	v_mul_f32_e32 v74, 0x3fb8aa3b, v77
	v_fma_f32 v77, s19, v126, -v71
	s_delay_alu instid0(VALU_DEP_3) | instskip(NEXT) | instid1(VALU_DEP_3)
	v_add_f32_e32 v72, v72, v89
	v_exp_f32_e32 v74, v74
	s_delay_alu instid0(TRANS32_DEP_3) | instskip(NEXT) | instid1(VALU_DEP_3)
	v_cndmask_b32_e64 v91, 0, v75, s15
	v_mul_f32_e32 v75, 0x3fb8aa3b, v77
	s_delay_alu instid0(TRANS32_DEP_2) | instskip(SKIP_1) | instid1(VALU_DEP_3)
	v_cndmask_b32_e64 v90, 0, v76, s16
	v_add_f32_e32 v72, v72, v88
	v_exp_f32_e32 v75, v75
	s_delay_alu instid0(VALU_DEP_1) | instskip(NEXT) | instid1(TRANS32_DEP_2)
	v_add_f32_e32 v72, v72, v91
	v_cndmask_b32_e64 v93, 0, v74, s17
	s_delay_alu instid0(VALU_DEP_2) | instskip(SKIP_3) | instid1(VALU_DEP_1)
	v_add_f32_e32 v72, v72, v90
	s_waitcnt_depctr 0xfff
	v_cndmask_b32_e64 v92, 0, v75, s18
	v_add_f32_e32 v72, v72, v93
	v_add_f32_e32 v72, v72, v92
	ds_bpermute_b32 v73, v73, v72
	v_cmpx_gt_u32_e32 16, v70
	s_cbranch_execz .LBB863_12
; %bb.11:
	v_mul_u32_u24_e32 v70, 0x44, v69
	s_waitcnt lgkmcnt(0)
	v_add_f32_e32 v72, v72, v73
	s_delay_alu instid0(VALU_DEP_2) | instskip(NEXT) | instid1(VALU_DEP_1)
	v_lshl_add_u32 v70, v68, 2, v70
	v_add_nc_u32_e32 v70, 0x4000, v70
	ds_store_2addr_b32 v70, v71, v72 offset1:136
.LBB863_12:
	s_or_b32 exec_lo, exec_lo, s3
	v_lshlrev_b32_e32 v70, 2, v68
	s_load_b32 s35, s[0:1], 0x94
	s_waitcnt lgkmcnt(0)
	s_barrier
	buffer_gl0_inv
	v_add_nc_u32_e32 v98, 0x4000, v70
	v_cmp_eq_u32_e32 vcc_lo, 1, v69
	v_cmp_eq_u32_e64 s3, 2, v69
	v_cmp_eq_u32_e64 s4, 3, v69
	;; [unrolled: 1-line block ×3, first 2 shown]
	ds_load_2addr_b32 v[70:71], v98 offset1:17
	ds_load_2addr_b32 v[72:73], v98 offset0:34 offset1:51
	ds_load_2addr_b32 v[74:75], v98 offset0:68 offset1:85
	;; [unrolled: 1-line block ×3, first 2 shown]
	v_cmp_eq_u32_e64 s6, 5, v69
	v_cmp_eq_u32_e64 s7, 7, v69
	s_waitcnt lgkmcnt(3)
	v_max3_f32 v76, v70, 0xff7fffff, v71
	s_waitcnt lgkmcnt(2)
	s_delay_alu instid0(VALU_DEP_1) | instskip(SKIP_1) | instid1(VALU_DEP_1)
	v_max3_f32 v76, v76, v72, v73
	s_waitcnt lgkmcnt(1)
	v_max3_f32 v76, v76, v74, v75
	s_waitcnt lgkmcnt(0)
	s_delay_alu instid0(VALU_DEP_1) | instskip(NEXT) | instid1(VALU_DEP_1)
	v_max3_f32 v76, v76, v94, v95
	v_sub_f32_e32 v77, v71, v76
	ds_load_2addr_b32 v[96:97], v98 offset0:136 offset1:153
	v_sub_f32_e32 v74, v74, v76
	v_sub_f32_e32 v70, v70, v76
	;; [unrolled: 1-line block ×3, first 2 shown]
	v_dual_sub_f32 v72, v72, v76 :: v_dual_mul_f32 v77, 0x3fb8aa3b, v77
	s_delay_alu instid0(VALU_DEP_4) | instskip(NEXT) | instid1(VALU_DEP_4)
	v_mul_f32_e32 v103, 0x3fb8aa3b, v74
	v_mul_f32_e32 v99, 0x3fb8aa3b, v70
	ds_load_2addr_b32 v[70:71], v98 offset0:170 offset1:187
	v_dual_mul_f32 v101, 0x3fb8aa3b, v72 :: v_dual_mul_f32 v94, 0x3fb8aa3b, v94
	v_exp_f32_e32 v102, v77
	v_exp_f32_e32 v99, v99
	s_delay_alu instid0(VALU_DEP_1) | instskip(NEXT) | instid1(VALU_DEP_1)
	v_exp_f32_e32 v101, v101
	v_exp_f32_e32 v94, v94
	s_waitcnt lgkmcnt(1)
	s_delay_alu instid0(TRANS32_DEP_3)
	v_fma_f32 v77, v99, v96, 0
	v_sub_f32_e32 v100, v73, v76
	ds_load_2addr_b32 v[72:73], v98 offset0:204 offset1:221
	v_fmac_f32_e32 v77, v102, v97
	v_exp_f32_e32 v97, v103
	s_waitcnt lgkmcnt(1)
	s_delay_alu instid0(VALU_DEP_1)
	v_dual_fmac_f32 v77, v101, v70 :: v_dual_sub_f32 v96, v75, v76
	ds_load_2addr_b32 v[74:75], v98 offset0:238 offset1:255
	v_sub_f32_e32 v70, v95, v76
	s_waitcnt lgkmcnt(0)
	s_barrier
	v_mul_f32_e32 v96, 0x3fb8aa3b, v96
	buffer_gl0_inv
	v_exp_f32_e32 v95, v96
	v_mul_f32_e32 v100, 0x3fb8aa3b, v100
	s_delay_alu instid0(VALU_DEP_1) | instskip(SKIP_3) | instid1(VALU_DEP_2)
	v_exp_f32_e32 v100, v100
	s_waitcnt_depctr 0xfff
	v_dual_fmac_f32 v77, v100, v71 :: v_dual_mul_f32 v70, 0x3fb8aa3b, v70
	v_cndmask_b32_e32 v71, v99, v102, vcc_lo
	v_fmac_f32_e32 v77, v97, v72
	s_delay_alu instid0(VALU_DEP_3) | instskip(NEXT) | instid1(VALU_DEP_1)
	v_exp_f32_e32 v96, v70
	v_fmac_f32_e32 v77, v95, v73
	s_delay_alu instid0(VALU_DEP_1) | instskip(SKIP_2) | instid1(VALU_DEP_1)
	v_fmac_f32_e32 v77, v94, v74
	s_waitcnt_depctr 0xfff
	v_fmac_f32_e32 v77, v96, v75
	v_add_f32_e32 v74, 0x358637bd, v77
	s_delay_alu instid0(VALU_DEP_1) | instskip(SKIP_1) | instid1(VALU_DEP_2)
	v_div_scale_f32 v98, null, v74, v74, 1.0
	v_div_scale_f32 v99, vcc_lo, 1.0, v74, 1.0
	v_rcp_f32_e32 v103, v98
	s_waitcnt_depctr 0xfff
	v_fma_f32 v70, -v98, v103, 1.0
	s_delay_alu instid0(VALU_DEP_1) | instskip(SKIP_2) | instid1(VALU_DEP_2)
	v_fmac_f32_e32 v103, v70, v103
	v_cndmask_b32_e64 v70, v71, v101, s3
	v_cmp_eq_u32_e64 s3, 6, v69
	v_cndmask_b32_e64 v71, v70, v100, s4
	s_delay_alu instid0(VALU_DEP_4) | instskip(NEXT) | instid1(VALU_DEP_2)
	v_dual_mul_f32 v101, v99, v103 :: v_dual_lshlrev_b32 v70, 2, v66
	v_cndmask_b32_e64 v71, v71, v97, s5
	s_delay_alu instid0(VALU_DEP_2) | instskip(NEXT) | instid1(VALU_DEP_3)
	v_or_b32_e32 v72, 1, v70
	v_fma_f32 v100, -v98, v101, v99
	v_cmp_eq_u32_e64 s4, 1, v70
	v_cmp_eq_u32_e64 s5, 2, v70
	v_cndmask_b32_e64 v95, v71, v95, s6
	v_or_b32_e32 v71, 3, v70
	v_fmac_f32_e32 v101, v100, v103
	v_cmp_eq_u32_e64 s9, 1, v72
	v_cmp_eq_u32_e64 s12, 2, v72
	v_cndmask_b32_e64 v94, v95, v94, s3
	v_cmp_eq_u32_e64 s11, 1, v71
	v_fma_f32 v97, -v98, v101, v99
	v_cmp_eq_u32_e64 s16, 2, v71
	v_cmp_eq_u32_e64 s13, 3, v72
	v_cndmask_b32_e64 v94, v94, v96, s7
	v_cmp_eq_u32_e64 s18, 3, v71
	v_div_fmas_f32 v95, v97, v103, v101
	v_cmp_eq_u32_e32 vcc_lo, 3, v70
	v_cmp_eq_u32_e64 s3, 4, v70
	v_cmp_eq_u32_e64 s19, 4, v72
	;; [unrolled: 1-line block ×3, first 2 shown]
	v_div_fixup_f32 v95, v95, v74, 1.0
	v_lshlrev_b32_e32 v73, 6, v68
	v_cmp_eq_u32_e64 s6, 5, v70
	v_cmp_eq_u32_e64 s20, 5, v72
	;; [unrolled: 1-line block ×3, first 2 shown]
	v_mul_f32_e32 v102, v94, v95
	v_lshl_or_b32 v75, v69, 11, v73
	v_or_b32_e32 v69, 2, v70
	v_cmp_eq_u32_e64 s25, 6, v72
	v_cmp_eq_u32_e64 s27, 6, v71
	v_fma_mixlo_f16 v94, v102, v79, 0
	v_fma_mixlo_f16 v95, v102, v81, 0
	;; [unrolled: 1-line block ×8, first 2 shown]
	v_lshl_or_b32 v74, v66, 4, v75
	v_fma_mixhi_f16 v94, v102, v78, 0
	v_fma_mixhi_f16 v95, v102, v80, 0
	;; [unrolled: 1-line block ×8, first 2 shown]
	ds_store_b128 v74, v[94:97]
	ds_store_b128 v74, v[98:101] offset:1024
	s_waitcnt lgkmcnt(0)
	s_barrier
	buffer_gl0_inv
	ds_load_b128 v[78:81], v75
	ds_load_b128 v[82:85], v75 offset:16
	ds_load_b128 v[86:89], v75 offset:1024
	ds_load_b128 v[90:93], v75 offset:1040
	v_cmp_eq_u32_e64 s10, 1, v69
	v_cmp_eq_u32_e64 s15, 2, v69
	;; [unrolled: 1-line block ×11, first 2 shown]
	s_waitcnt lgkmcnt(3)
	v_lshrrev_b32_e32 v94, 16, v78
	s_waitcnt lgkmcnt(2)
	v_lshrrev_b32_e32 v98, 16, v82
	;; [unrolled: 2-line block ×4, first 2 shown]
	v_lshrrev_b32_e32 v95, 16, v79
	v_cndmask_b32_e64 v110, v78, v94, s4
	v_cndmask_b32_e64 v111, v82, v98, s4
	;; [unrolled: 1-line block ×8, first 2 shown]
	v_lshrrev_b32_e32 v99, 16, v83
	v_cndmask_b32_e64 v94, v86, v102, s4
	v_cndmask_b32_e64 v98, v90, v106, s4
	;; [unrolled: 1-line block ×15, first 2 shown]
	v_lshrrev_b32_e32 v103, 16, v87
	v_lshrrev_b32_e32 v107, 16, v91
	v_cndmask_b32_e64 v113, v115, v83, s15
	v_cndmask_b32_e64 v82, v94, v87, s5
	;; [unrolled: 1-line block ×7, first 2 shown]
	v_cndmask_b32_e32 v90, v102, v95, vcc_lo
	v_cndmask_b32_e32 v102, v106, v99, vcc_lo
	v_cndmask_b32_e64 v106, v110, v95, s13
	v_cndmask_b32_e64 v110, v111, v99, s13
	;; [unrolled: 1-line block ×4, first 2 shown]
	v_lshrrev_b32_e32 v96, 16, v80
	v_lshrrev_b32_e32 v100, 16, v84
	v_cndmask_b32_e64 v111, v112, v95, s17
	v_cndmask_b32_e64 v112, v113, v99, s17
	v_cndmask_b32_e32 v82, v82, v103, vcc_lo
	v_cndmask_b32_e32 v83, v83, v107, vcc_lo
	v_cndmask_b32_e64 v94, v94, v103, s13
	v_cndmask_b32_e64 v90, v90, v80, s3
	;; [unrolled: 1-line block ×7, first 2 shown]
	v_lshrrev_b32_e32 v104, 16, v88
	v_cndmask_b32_e64 v106, v111, v80, s21
	v_cndmask_b32_e64 v110, v112, v84, s21
	;; [unrolled: 1-line block ×11, first 2 shown]
	v_lshrrev_b32_e32 v97, 16, v81
	v_lshrrev_b32_e32 v101, 16, v85
	v_cndmask_b32_e64 v99, v106, v96, s23
	v_cndmask_b32_e64 v102, v110, v100, s23
	;; [unrolled: 1-line block ×7, first 2 shown]
	v_lshrrev_b32_e32 v105, 16, v89
	v_cndmask_b32_e64 v80, v80, v104, s6
	v_cndmask_b32_e64 v84, v84, v81, s7
	;; [unrolled: 1-line block ×16, first 2 shown]
	v_perm_b32 v81, v79, v78, 0x5040100
	v_perm_b32 v79, v95, v85, 0x5040100
	v_cndmask_b32_e64 v78, v119, v91, s15
	v_cndmask_b32_e64 v85, v117, v91, s12
	;; [unrolled: 1-line block ×3, first 2 shown]
	v_perm_b32 v80, v94, v90, 0x5040100
	v_cndmask_b32_e64 v90, v98, v103, s17
	v_cndmask_b32_e64 v86, v86, v103, s18
	;; [unrolled: 1-line block ×5, first 2 shown]
	v_lshrrev_b32_e32 v108, 16, v92
	v_cndmask_b32_e64 v90, v90, v88, s21
	v_cndmask_b32_e64 v86, v86, v88, s22
	;; [unrolled: 1-line block ×11, first 2 shown]
	v_lshrrev_b32_e32 v109, 16, v93
	v_cndmask_b32_e64 v82, v82, v93, s7
	v_cndmask_b32_e64 v88, v88, v89, s26
	;; [unrolled: 1-line block ×12, first 2 shown]
	v_perm_b32 v78, v84, v83, 0x5040100
	v_perm_b32 v85, v87, v86, 0x5040100
	;; [unrolled: 1-line block ×5, first 2 shown]
	s_mul_i32 s8, s33, 14
	s_mov_b32 s3, exec_lo
	ds_store_b128 v74, v[78:81]
	ds_store_b128 v74, v[82:85] offset:1024
	v_cmpx_gt_u32_e32 14, v0
	s_cbranch_execz .LBB863_14
; %bb.13:
	s_mul_i32 s4, s8, s34
	s_delay_alu instid0(SALU_CYCLE_1) | instskip(SKIP_1) | instid1(VALU_DEP_1)
	v_add3_u32 v68, s4, s31, v68
	s_load_b128 s[4:7], s[0:1], 0x58
	v_mad_u64_u32 v[78:79], null, v68, s35, s[14:15]
	s_delay_alu instid0(VALU_DEP_1) | instskip(NEXT) | instid1(VALU_DEP_1)
	v_ashrrev_i32_e32 v79, 31, v78
	v_lshlrev_b64 v[78:79], 2, v[78:79]
	s_waitcnt lgkmcnt(0)
	s_delay_alu instid0(VALU_DEP_1) | instskip(NEXT) | instid1(VALU_DEP_2)
	v_add_co_u32 v80, vcc_lo, s6, v78
	v_add_co_ci_u32_e32 v81, vcc_lo, s7, v79, vcc_lo
	v_add_co_u32 v78, vcc_lo, s4, v78
	v_add_co_ci_u32_e32 v79, vcc_lo, s5, v79, vcc_lo
	global_store_b32 v[80:81], v76, off
	global_store_b32 v[78:79], v77, off
.LBB863_14:
	s_or_b32 exec_lo, exec_lo, s3
	s_waitcnt lgkmcnt(0)
	s_waitcnt_vscnt null, 0x0
	s_barrier
	buffer_gl0_inv
	ds_load_b128 v[84:87], v73
	ds_load_b128 v[88:91], v73 offset:16
	ds_load_b128 v[96:99], v73 offset:2064
	;; [unrolled: 1-line block ×5, first 2 shown]
	v_cmp_eq_u32_e32 vcc_lo, 1, v70
	v_mov_b32_e32 v76, 0
	ds_load_b128 v[112:115], v73 offset:6160
	ds_load_b128 v[108:111], v73 offset:6144
	;; [unrolled: 1-line block ×4, first 2 shown]
	v_cmp_eq_u32_e64 s4, 1, v69
	v_cmp_eq_u32_e64 s3, 1, v72
	;; [unrolled: 1-line block ×3, first 2 shown]
	v_mov_b32_e32 v77, v76
	v_mov_b32_e32 v78, v76
	;; [unrolled: 1-line block ×7, first 2 shown]
	v_cmp_eq_u32_e64 s6, 3, v72
	v_cmp_eq_u32_e64 s7, 7, v72
	s_waitcnt lgkmcnt(8)
	s_delay_alu instid0(VALU_DEP_3)
	v_wmma_f32_16x16x16_f16 v[76:83], v[49:56], v[84:91], v[76:83]
	ds_load_b128 v[53:56], v73 offset:10256
	ds_load_b128 v[49:52], v73 offset:10240
	s_waitcnt lgkmcnt(8)
	v_wmma_f32_16x16x16_f16 v[76:83], v[41:48], v[92:99], v[76:83]
	ds_load_b128 v[45:48], v73 offset:12304
	ds_load_b128 v[41:44], v73 offset:12288
	s_waitcnt lgkmcnt(8)
	;; [unrolled: 4-line block ×3, first 2 shown]
	s_barrier
	buffer_gl0_inv
	v_wmma_f32_16x16x16_f16 v[76:83], v[1:8], v[108:115], v[76:83]
	s_delay_alu instid0(VALU_DEP_1) | instskip(NEXT) | instid1(VALU_DEP_1)
	v_wmma_f32_16x16x16_f16 v[76:83], v[9:16], v[116:123], v[76:83]
	v_wmma_f32_16x16x16_f16 v[76:83], v[17:24], v[49:56], v[76:83]
	s_delay_alu instid0(VALU_DEP_1) | instskip(NEXT) | instid1(VALU_DEP_1)
	v_wmma_f32_16x16x16_f16 v[76:83], v[25:32], v[41:48], v[76:83]
	v_wmma_f32_16x16x16_f16 v[76:83], v[57:64], v[33:40], v[76:83]
	s_delay_alu instid0(VALU_DEP_1) | instskip(NEXT) | instid1(VALU_DEP_2)
	v_cvt_f16_f32_e32 v1, v76
	v_cvt_f16_f32_e32 v2, v77
	s_delay_alu instid0(VALU_DEP_3) | instskip(NEXT) | instid1(VALU_DEP_4)
	v_cvt_f16_f32_e32 v3, v78
	v_cvt_f16_f32_e32 v4, v79
	;; [unrolled: 1-line block ×6, first 2 shown]
	v_pack_b32_f16 v1, v1, v2
	v_pack_b32_f16 v2, v3, v4
	;; [unrolled: 1-line block ×3, first 2 shown]
	s_delay_alu instid0(VALU_DEP_4)
	v_pack_b32_f16 v4, v7, v8
	ds_store_b128 v74, v[1:4]
	s_waitcnt lgkmcnt(0)
	s_barrier
	buffer_gl0_inv
	ds_load_b128 v[1:4], v75
	ds_load_b128 v[5:8], v75 offset:16
	s_waitcnt lgkmcnt(1)
	v_lshrrev_b32_e32 v9, 16, v1
	s_waitcnt lgkmcnt(0)
	v_lshrrev_b32_e32 v13, 16, v5
	v_lshrrev_b32_e32 v10, 16, v2
	;; [unrolled: 1-line block ×4, first 2 shown]
	v_cndmask_b32_e32 v17, v1, v9, vcc_lo
	v_cndmask_b32_e32 v18, v5, v13, vcc_lo
	v_cndmask_b32_e64 v21, v1, v9, s4
	v_cmp_eq_u32_e32 vcc_lo, 1, v71
	v_cndmask_b32_e64 v22, v5, v13, s4
	v_cmp_eq_u32_e64 s4, 2, v70
	v_cndmask_b32_e64 v19, v1, v9, s3
	v_cndmask_b32_e64 v20, v5, v13, s3
	v_cndmask_b32_e32 v1, v1, v9, vcc_lo
	v_cmp_eq_u32_e64 s3, 2, v71
	v_cndmask_b32_e32 v5, v5, v13, vcc_lo
	v_cndmask_b32_e64 v9, v17, v2, s4
	v_cmp_eq_u32_e32 vcc_lo, 3, v70
	v_cndmask_b32_e64 v13, v18, v6, s4
	v_cmp_eq_u32_e64 s4, 2, v69
	v_cndmask_b32_e64 v17, v19, v2, s5
	v_cndmask_b32_e64 v18, v20, v6, s5
	v_cmp_eq_u32_e64 s5, 3, v69
	v_cndmask_b32_e64 v1, v1, v2, s3
	v_cndmask_b32_e64 v19, v21, v2, s4
	;; [unrolled: 1-line block ×4, first 2 shown]
	v_cndmask_b32_e32 v5, v9, v10, vcc_lo
	v_cndmask_b32_e32 v6, v13, v14, vcc_lo
	v_cmp_eq_u32_e32 vcc_lo, 3, v71
	v_cndmask_b32_e64 v9, v17, v10, s6
	v_cndmask_b32_e64 v13, v18, v14, s6
	v_cndmask_b32_e64 v18, v20, v14, s5
	v_cmp_eq_u32_e64 s4, 4, v70
	v_cndmask_b32_e32 v1, v1, v10, vcc_lo
	v_cndmask_b32_e32 v2, v2, v14, vcc_lo
	v_cmp_eq_u32_e32 vcc_lo, 4, v72
	v_lshrrev_b32_e32 v15, 16, v7
	v_lshrrev_b32_e32 v16, 16, v8
	v_cndmask_b32_e64 v17, v19, v10, s5
	v_cmp_eq_u32_e64 s3, 4, v71
	v_cndmask_b32_e64 v5, v5, v3, s4
	v_cndmask_b32_e64 v6, v6, v7, s4
	v_cndmask_b32_e32 v9, v9, v3, vcc_lo
	v_cmp_eq_u32_e64 s4, 5, v72
	v_cndmask_b32_e32 v10, v13, v7, vcc_lo
	v_cmp_eq_u32_e32 vcc_lo, 4, v69
	v_cmp_eq_u32_e64 s5, 5, v70
	v_cndmask_b32_e64 v2, v2, v7, s3
	v_cndmask_b32_e64 v9, v9, v11, s4
	;; [unrolled: 1-line block ×3, first 2 shown]
	v_cndmask_b32_e32 v13, v17, v3, vcc_lo
	v_cmp_eq_u32_e64 s4, 5, v69
	v_cndmask_b32_e32 v14, v18, v7, vcc_lo
	v_cndmask_b32_e64 v1, v1, v3, s3
	v_cmp_eq_u32_e32 vcc_lo, 5, v71
	v_lshrrev_b32_e32 v12, 16, v4
	v_cndmask_b32_e64 v13, v13, v11, s4
	v_cndmask_b32_e64 v3, v14, v15, s4
	v_cmp_eq_u32_e64 s4, 6, v71
	v_cndmask_b32_e32 v1, v1, v11, vcc_lo
	v_cndmask_b32_e64 v5, v5, v11, s5
	v_cmp_eq_u32_e64 s6, 6, v70
	v_cndmask_b32_e64 v6, v6, v15, s5
	v_cmp_eq_u32_e64 s5, 6, v72
	v_cmp_eq_u32_e64 s3, 6, v69
	v_cndmask_b32_e64 v1, v1, v4, s4
	v_cndmask_b32_e32 v2, v2, v15, vcc_lo
	v_cmp_eq_u32_e32 vcc_lo, 7, v71
	v_cndmask_b32_e64 v5, v5, v4, s6
	v_cndmask_b32_e64 v9, v9, v4, s5
	;; [unrolled: 1-line block ×3, first 2 shown]
	v_cmp_eq_u32_e64 s6, 7, v70
	v_cndmask_b32_e32 v1, v1, v12, vcc_lo
	v_cndmask_b32_e64 v7, v13, v4, s3
	v_cndmask_b32_e64 v3, v3, v8, s3
	;; [unrolled: 1-line block ×3, first 2 shown]
	v_cmp_eq_u32_e64 s3, 7, v69
	v_cndmask_b32_e64 v4, v10, v8, s5
	v_cndmask_b32_e64 v5, v5, v12, s6
	v_cndmask_b32_e64 v9, v9, v12, s7
	v_cndmask_b32_e32 v2, v2, v16, vcc_lo
	v_cndmask_b32_e64 v7, v7, v12, s3
	v_cndmask_b32_e64 v3, v3, v16, s3
	;; [unrolled: 1-line block ×4, first 2 shown]
	v_cmp_gt_u32_e32 vcc_lo, 32, v0
	v_perm_b32 v4, v2, v1, 0x5040100
	v_perm_b32 v3, v3, v7, 0x5040100
	;; [unrolled: 1-line block ×4, first 2 shown]
	s_and_b32 s2, vcc_lo, s2
	ds_store_b128 v74, v[1:4]
	s_waitcnt lgkmcnt(0)
	s_barrier
	buffer_gl0_inv
	s_and_saveexec_b32 s3, s2
	s_cbranch_execz .LBB863_2
; %bb.15:
	s_load_b64 s[0:1], s[0:1], 0x68
	v_lshlrev_b32_e32 v0, 10, v0
	s_lshl_b32 s4, s35, 6
	v_or_b32_e32 v3, s31, v66
	s_mul_i32 s2, s4, s34
	v_lshlrev_b32_e32 v1, 4, v67
	v_lshlrev_b32_e32 v2, 6, v66
	v_and_b32_e32 v0, 0x3800, v0
	s_mul_i32 s2, s2, s8
	v_mul_lo_u32 v8, v3, s4
	s_ashr_i32 s3, s2, 31
	s_delay_alu instid0(SALU_CYCLE_1)
	s_lshl_b64 s[2:3], s[2:3], 1
	v_or3_b32 v16, v0, v1, v2
	ds_load_b128 v[0:3], v16
	ds_load_b128 v[4:7], v16 offset:128
	v_ashrrev_i32_e32 v9, 31, v8
	s_waitcnt lgkmcnt(0)
	s_add_u32 s2, s0, s2
	s_addc_u32 s3, s1, s3
	s_lshl_b32 s0, s14, 6
	s_delay_alu instid0(SALU_CYCLE_1) | instskip(SKIP_2) | instid1(SALU_CYCLE_1)
	s_ashr_i32 s1, s0, 31
	v_lshlrev_b64 v[9:10], 1, v[8:9]
	s_lshl_b64 s[0:1], s[0:1], 1
	s_add_u32 s0, s2, s0
	s_addc_u32 s1, s3, s1
	s_lshl_b32 s2, s35, 7
	v_add_co_u32 v30, s0, s0, v65
	v_add_nc_u32_e32 v11, s2, v8
	v_add_co_ci_u32_e64 v31, null, s1, 0, s0
	s_delay_alu instid0(VALU_DEP_3) | instskip(NEXT) | instid1(VALU_DEP_3)
	v_add_co_u32 v9, vcc_lo, v30, v9
	v_add_nc_u32_e32 v8, s2, v11
	s_delay_alu instid0(VALU_DEP_3) | instskip(SKIP_1) | instid1(VALU_DEP_3)
	v_add_co_ci_u32_e32 v10, vcc_lo, v31, v10, vcc_lo
	v_ashrrev_i32_e32 v12, 31, v11
	v_add_nc_u32_e32 v13, s2, v8
	global_store_b128 v[9:10], v[0:3], off
	v_ashrrev_i32_e32 v9, 31, v8
	v_lshlrev_b64 v[11:12], 1, v[11:12]
	v_ashrrev_i32_e32 v14, 31, v13
	v_add_nc_u32_e32 v10, s2, v13
	s_delay_alu instid0(VALU_DEP_4) | instskip(NEXT) | instid1(VALU_DEP_4)
	v_lshlrev_b64 v[2:3], 1, v[8:9]
	v_add_co_u32 v0, vcc_lo, v30, v11
	s_delay_alu instid0(VALU_DEP_4)
	v_lshlrev_b64 v[8:9], 1, v[13:14]
	v_add_co_ci_u32_e32 v1, vcc_lo, v31, v12, vcc_lo
	v_ashrrev_i32_e32 v11, 31, v10
	v_add_co_u32 v22, vcc_lo, v30, v2
	v_add_nc_u32_e32 v20, s2, v10
	v_add_co_ci_u32_e32 v23, vcc_lo, v31, v3, vcc_lo
	v_add_co_u32 v24, vcc_lo, v30, v8
	global_store_b128 v[0:1], v[4:7], off
	v_add_co_ci_u32_e32 v25, vcc_lo, v31, v9, vcc_lo
	ds_load_b128 v[0:3], v16 offset:256
	ds_load_b128 v[4:7], v16 offset:384
	v_lshlrev_b64 v[26:27], 1, v[10:11]
	ds_load_b128 v[8:11], v16 offset:512
	ds_load_b128 v[12:15], v16 offset:640
	;; [unrolled: 1-line block ×3, first 2 shown]
	v_add_nc_u32_e32 v28, s2, v20
	v_ashrrev_i32_e32 v21, 31, v20
	v_add_co_u32 v26, vcc_lo, v30, v26
	s_delay_alu instid0(VALU_DEP_3) | instskip(NEXT) | instid1(VALU_DEP_3)
	v_ashrrev_i32_e32 v29, 31, v28
	v_lshlrev_b64 v[20:21], 1, v[20:21]
	v_add_co_ci_u32_e32 v27, vcc_lo, v31, v27, vcc_lo
	s_delay_alu instid0(VALU_DEP_3) | instskip(NEXT) | instid1(VALU_DEP_3)
	v_lshlrev_b64 v[28:29], 1, v[28:29]
	v_add_co_u32 v20, vcc_lo, v30, v20
	s_delay_alu instid0(VALU_DEP_4) | instskip(NEXT) | instid1(VALU_DEP_3)
	v_add_co_ci_u32_e32 v21, vcc_lo, v31, v21, vcc_lo
	v_add_co_u32 v28, vcc_lo, v30, v28
	s_delay_alu instid0(VALU_DEP_4)
	v_add_co_ci_u32_e32 v29, vcc_lo, v31, v29, vcc_lo
	s_waitcnt lgkmcnt(4)
	global_store_b128 v[22:23], v[0:3], off
	s_waitcnt lgkmcnt(3)
	global_store_b128 v[24:25], v[4:7], off
	;; [unrolled: 2-line block ×5, first 2 shown]
	s_nop 0
	s_sendmsg sendmsg(MSG_DEALLOC_VGPRS)
	s_endpgm
	.section	.rodata,"a",@progbits
	.p2align	6, 0x0
	.amdhsa_kernel _Z39paged_attention_ll4mi_QKV_mfma16_kernelIDF16_hLN4vllm18Fp8KVCacheDataTypeE1EhLi32ELi64ELi256ELb1ELi14EL8MFMAType1EEvPKT_PKT0_S8_ifPKiSA_SA_iPKfiiiPfSD_PS3_PT2_iSC_SC_
		.amdhsa_group_segment_fixed_size 17472
		.amdhsa_private_segment_fixed_size 0
		.amdhsa_kernarg_size 400
		.amdhsa_user_sgpr_count 13
		.amdhsa_user_sgpr_dispatch_ptr 0
		.amdhsa_user_sgpr_queue_ptr 0
		.amdhsa_user_sgpr_kernarg_segment_ptr 1
		.amdhsa_user_sgpr_dispatch_id 0
		.amdhsa_user_sgpr_private_segment_size 0
		.amdhsa_wavefront_size32 1
		.amdhsa_uses_dynamic_stack 0
		.amdhsa_enable_private_segment 0
		.amdhsa_system_sgpr_workgroup_id_x 1
		.amdhsa_system_sgpr_workgroup_id_y 1
		.amdhsa_system_sgpr_workgroup_id_z 1
		.amdhsa_system_sgpr_workgroup_info 0
		.amdhsa_system_vgpr_workitem_id 0
		.amdhsa_next_free_vgpr 146
		.amdhsa_next_free_sgpr 38
		.amdhsa_reserve_vcc 1
		.amdhsa_float_round_mode_32 0
		.amdhsa_float_round_mode_16_64 0
		.amdhsa_float_denorm_mode_32 3
		.amdhsa_float_denorm_mode_16_64 3
		.amdhsa_dx10_clamp 1
		.amdhsa_ieee_mode 1
		.amdhsa_fp16_overflow 0
		.amdhsa_workgroup_processor_mode 1
		.amdhsa_memory_ordered 1
		.amdhsa_forward_progress 0
		.amdhsa_shared_vgpr_count 0
		.amdhsa_exception_fp_ieee_invalid_op 0
		.amdhsa_exception_fp_denorm_src 0
		.amdhsa_exception_fp_ieee_div_zero 0
		.amdhsa_exception_fp_ieee_overflow 0
		.amdhsa_exception_fp_ieee_underflow 0
		.amdhsa_exception_fp_ieee_inexact 0
		.amdhsa_exception_int_div_zero 0
	.end_amdhsa_kernel
	.section	.text._Z39paged_attention_ll4mi_QKV_mfma16_kernelIDF16_hLN4vllm18Fp8KVCacheDataTypeE1EhLi32ELi64ELi256ELb1ELi14EL8MFMAType1EEvPKT_PKT0_S8_ifPKiSA_SA_iPKfiiiPfSD_PS3_PT2_iSC_SC_,"axG",@progbits,_Z39paged_attention_ll4mi_QKV_mfma16_kernelIDF16_hLN4vllm18Fp8KVCacheDataTypeE1EhLi32ELi64ELi256ELb1ELi14EL8MFMAType1EEvPKT_PKT0_S8_ifPKiSA_SA_iPKfiiiPfSD_PS3_PT2_iSC_SC_,comdat
.Lfunc_end863:
	.size	_Z39paged_attention_ll4mi_QKV_mfma16_kernelIDF16_hLN4vllm18Fp8KVCacheDataTypeE1EhLi32ELi64ELi256ELb1ELi14EL8MFMAType1EEvPKT_PKT0_S8_ifPKiSA_SA_iPKfiiiPfSD_PS3_PT2_iSC_SC_, .Lfunc_end863-_Z39paged_attention_ll4mi_QKV_mfma16_kernelIDF16_hLN4vllm18Fp8KVCacheDataTypeE1EhLi32ELi64ELi256ELb1ELi14EL8MFMAType1EEvPKT_PKT0_S8_ifPKiSA_SA_iPKfiiiPfSD_PS3_PT2_iSC_SC_
                                        ; -- End function
	.section	.AMDGPU.csdata,"",@progbits
; Kernel info:
; codeLenInByte = 6648
; NumSgprs: 40
; NumVgprs: 146
; ScratchSize: 0
; MemoryBound: 0
; FloatMode: 240
; IeeeMode: 1
; LDSByteSize: 17472 bytes/workgroup (compile time only)
; SGPRBlocks: 4
; VGPRBlocks: 18
; NumSGPRsForWavesPerEU: 40
; NumVGPRsForWavesPerEU: 146
; Occupancy: 9
; WaveLimiterHint : 1
; COMPUTE_PGM_RSRC2:SCRATCH_EN: 0
; COMPUTE_PGM_RSRC2:USER_SGPR: 13
; COMPUTE_PGM_RSRC2:TRAP_HANDLER: 0
; COMPUTE_PGM_RSRC2:TGID_X_EN: 1
; COMPUTE_PGM_RSRC2:TGID_Y_EN: 1
; COMPUTE_PGM_RSRC2:TGID_Z_EN: 1
; COMPUTE_PGM_RSRC2:TIDIG_COMP_CNT: 0
	.section	.text._Z39paged_attention_ll4mi_QKV_mfma16_kernelIDF16_hLN4vllm18Fp8KVCacheDataTypeE1EhLi32ELi64ELi256ELb1ELi15EL8MFMAType1EEvPKT_PKT0_S8_ifPKiSA_SA_iPKfiiiPfSD_PS3_PT2_iSC_SC_,"axG",@progbits,_Z39paged_attention_ll4mi_QKV_mfma16_kernelIDF16_hLN4vllm18Fp8KVCacheDataTypeE1EhLi32ELi64ELi256ELb1ELi15EL8MFMAType1EEvPKT_PKT0_S8_ifPKiSA_SA_iPKfiiiPfSD_PS3_PT2_iSC_SC_,comdat
	.protected	_Z39paged_attention_ll4mi_QKV_mfma16_kernelIDF16_hLN4vllm18Fp8KVCacheDataTypeE1EhLi32ELi64ELi256ELb1ELi15EL8MFMAType1EEvPKT_PKT0_S8_ifPKiSA_SA_iPKfiiiPfSD_PS3_PT2_iSC_SC_ ; -- Begin function _Z39paged_attention_ll4mi_QKV_mfma16_kernelIDF16_hLN4vllm18Fp8KVCacheDataTypeE1EhLi32ELi64ELi256ELb1ELi15EL8MFMAType1EEvPKT_PKT0_S8_ifPKiSA_SA_iPKfiiiPfSD_PS3_PT2_iSC_SC_
	.globl	_Z39paged_attention_ll4mi_QKV_mfma16_kernelIDF16_hLN4vllm18Fp8KVCacheDataTypeE1EhLi32ELi64ELi256ELb1ELi15EL8MFMAType1EEvPKT_PKT0_S8_ifPKiSA_SA_iPKfiiiPfSD_PS3_PT2_iSC_SC_
	.p2align	8
	.type	_Z39paged_attention_ll4mi_QKV_mfma16_kernelIDF16_hLN4vllm18Fp8KVCacheDataTypeE1EhLi32ELi64ELi256ELb1ELi15EL8MFMAType1EEvPKT_PKT0_S8_ifPKiSA_SA_iPKfiiiPfSD_PS3_PT2_iSC_SC_,@function
_Z39paged_attention_ll4mi_QKV_mfma16_kernelIDF16_hLN4vllm18Fp8KVCacheDataTypeE1EhLi32ELi64ELi256ELb1ELi15EL8MFMAType1EEvPKT_PKT0_S8_ifPKiSA_SA_iPKfiiiPfSD_PS3_PT2_iSC_SC_: ; @_Z39paged_attention_ll4mi_QKV_mfma16_kernelIDF16_hLN4vllm18Fp8KVCacheDataTypeE1EhLi32ELi64ELi256ELb1ELi15EL8MFMAType1EEvPKT_PKT0_S8_ifPKiSA_SA_iPKfiiiPfSD_PS3_PT2_iSC_SC_
; %bb.0:
	s_load_b64 s[2:3], s[0:1], 0x30
	s_mov_b32 s34, s13
	s_waitcnt lgkmcnt(0)
	s_cmp_lg_u64 s[2:3], 0
	s_cselect_b32 s6, -1, 0
	s_ashr_i32 s35, s13, 31
	s_cmp_eq_u64 s[2:3], 0
	s_cbranch_scc1 .LBB864_3
; %bb.1:
	s_lshl_b64 s[4:5], s[34:35], 2
	s_delay_alu instid0(SALU_CYCLE_1) | instskip(SKIP_4) | instid1(SALU_CYCLE_1)
	s_add_u32 s4, s2, s4
	s_addc_u32 s5, s3, s5
	s_load_b64 s[4:5], s[4:5], 0x0
	s_waitcnt lgkmcnt(0)
	s_sub_i32 s4, s5, s4
	s_cmp_eq_u32 s4, 1
	s_cselect_b32 s4, -1, 0
	s_delay_alu instid0(SALU_CYCLE_1)
	s_and_not1_b32 vcc_lo, exec_lo, s4
	s_cbranch_vccz .LBB864_4
.LBB864_2:
	s_nop 0
	s_sendmsg sendmsg(MSG_DEALLOC_VGPRS)
	s_endpgm
.LBB864_3:
.LBB864_4:
	s_load_b64 s[8:9], s[0:1], 0x28
	s_lshl_b64 s[4:5], s[34:35], 2
	s_waitcnt lgkmcnt(0)
	s_add_u32 s8, s8, s4
	s_addc_u32 s9, s9, s5
	s_lshl_b32 s16, s14, 8
	s_load_b32 s18, s[8:9], 0x0
	s_waitcnt lgkmcnt(0)
	s_cmp_ge_i32 s16, s18
	s_cbranch_scc1 .LBB864_2
; %bb.5:
	s_clause 0x1
	s_load_b128 s[8:11], s[0:1], 0x8
	s_load_b64 s[12:13], s[0:1], 0x20
	s_and_not1_b32 vcc_lo, exec_lo, s6
	s_cbranch_vccnz .LBB864_7
; %bb.6:
	s_add_u32 s2, s2, s4
	s_addc_u32 s3, s3, s5
	s_load_b32 s3, s[2:3], 0x0
	s_branch .LBB864_8
.LBB864_7:
	s_mov_b32 s3, s34
.LBB864_8:
	s_load_b128 s[4:7], s[0:1], 0x48
	v_lshrrev_b32_e32 v69, 5, v0
	v_bfe_u32 v66, v0, 4, 1
	v_and_b32_e32 v68, 15, v0
	v_and_b32_e32 v70, 31, v0
	;; [unrolled: 1-line block ×3, first 2 shown]
	s_mul_i32 s33, s15, 15
	v_lshl_or_b32 v1, v69, 1, v66
	v_lshlrev_b32_e32 v2, 3, v68
	v_cmp_gt_u32_e64 s2, 8, v68
	s_delay_alu instid0(VALU_DEP_3) | instskip(NEXT) | instid1(VALU_DEP_3)
	v_cmp_gt_u32_e32 vcc_lo, 15, v1
	v_lshlrev_b32_e32 v65, 1, v2
	s_delay_alu instid0(VALU_DEP_3)
	s_and_b32 s17, s2, vcc_lo
	s_waitcnt lgkmcnt(0)
	s_and_saveexec_b32 s7, s17
	s_cbranch_execz .LBB864_10
; %bb.9:
	s_load_b64 s[20:21], s[0:1], 0x0
	v_add_lshl_u32 v2, v1, s33, 6
	s_mul_hi_i32 s23, s3, s4
	s_mul_i32 s22, s3, s4
	v_lshlrev_b32_e32 v6, 10, v68
	s_lshl_b64 s[22:23], s[22:23], 1
	v_ashrrev_i32_e32 v3, 31, v2
	v_lshlrev_b32_e32 v1, 6, v1
	v_lshlrev_b32_e32 v7, 10, v67
	v_and_b32_e32 v6, 0x3800, v6
	s_delay_alu instid0(VALU_DEP_4) | instskip(NEXT) | instid1(VALU_DEP_2)
	v_lshlrev_b64 v[2:3], 1, v[2:3]
	v_or3_b32 v1, v6, v7, v1
	s_waitcnt lgkmcnt(0)
	s_add_u32 s3, s20, s22
	s_addc_u32 s4, s21, s23
	s_delay_alu instid0(VALU_DEP_2) | instskip(SKIP_1) | instid1(VALU_DEP_2)
	v_add_co_u32 v2, vcc_lo, s3, v2
	v_add_co_ci_u32_e32 v3, vcc_lo, s4, v3, vcc_lo
	v_add_co_u32 v2, vcc_lo, v2, v65
	s_delay_alu instid0(VALU_DEP_2)
	v_add_co_ci_u32_e32 v3, vcc_lo, 0, v3, vcc_lo
	global_load_b128 v[2:5], v[2:3], off
	s_waitcnt vmcnt(0)
	ds_store_b128 v1, v[2:5]
.LBB864_10:
	s_or_b32 exec_lo, exec_lo, s7
	v_and_b32_e32 v1, 0xef, v0
	s_add_i32 s3, s18, 31
	s_clause 0x1
	s_load_b32 s4, s[0:1], 0x38
	s_load_b32 s35, s[0:1], 0x98
	s_ashr_i32 s7, s3, 31
	v_add_nc_u32_e32 v1, s16, v1
	s_lshr_b32 s7, s7, 27
	s_load_b32 s19, s[0:1], 0x1c
	s_add_i32 s3, s3, s7
	s_waitcnt lgkmcnt(0)
	v_ashrrev_i32_e32 v2, 31, v1
	v_or_b32_e32 v3, 16, v1
	s_ashr_i32 s3, s3, 5
	v_cmp_gt_i32_e32 vcc_lo, s18, v1
	s_add_i32 s3, s3, -1
	v_lshrrev_b32_e32 v2, 27, v2
	s_barrier
	buffer_gl0_inv
	s_mul_i32 s15, s15, s6
	v_mbcnt_lo_u32_b32 v127, -1, 0
	v_add_nc_u32_e32 v4, v1, v2
	s_mul_i32 s20, s34, s4
	s_delay_alu instid0(SALU_CYCLE_1) | instskip(NEXT) | instid1(VALU_DEP_1)
	s_ashr_i32 s21, s20, 31
	v_ashrrev_i32_e32 v4, 5, v4
	v_add_nc_u32_e32 v2, v3, v2
	s_lshl_b64 s[20:21], s[20:21], 2
	v_xor_b32_e32 v128, 16, v127
	s_add_u32 s17, s12, s20
	v_cndmask_b32_e32 v1, s3, v4, vcc_lo
	v_ashrrev_i32_e32 v2, 5, v2
	v_cmp_gt_i32_e32 vcc_lo, s18, v3
	s_addc_u32 s13, s13, s21
	s_ashr_i32 s20, s15, 31
	s_add_u32 s22, s8, s15
	s_addc_u32 s23, s9, s20
	v_cndmask_b32_e32 v3, s3, v2, vcc_lo
	v_ashrrev_i32_e32 v2, 31, v1
	s_lshl_b32 s6, s14, 3
	s_delay_alu instid0(SALU_CYCLE_1) | instskip(NEXT) | instid1(VALU_DEP_2)
	s_ashr_i32 s7, s6, 31
	v_ashrrev_i32_e32 v4, 31, v3
	s_delay_alu instid0(VALU_DEP_2) | instskip(SKIP_1) | instid1(SALU_CYCLE_1)
	v_lshlrev_b64 v[1:2], 2, v[1:2]
	s_lshl_b64 s[6:7], s[6:7], 2
	s_add_u32 s6, s17, s6
	s_delay_alu instid0(VALU_DEP_2) | instskip(SKIP_1) | instid1(VALU_DEP_2)
	v_lshlrev_b64 v[3:4], 2, v[3:4]
	s_addc_u32 s7, s13, s7
	v_add_co_u32 v1, vcc_lo, s17, v1
	v_add_co_ci_u32_e32 v2, vcc_lo, s13, v2, vcc_lo
	s_delay_alu instid0(VALU_DEP_3) | instskip(NEXT) | instid1(VALU_DEP_4)
	v_add_co_u32 v3, vcc_lo, s17, v3
	v_add_co_ci_u32_e32 v4, vcc_lo, s13, v4, vcc_lo
	s_clause 0x1
	global_load_b32 v5, v[1:2], off
	global_load_b32 v6, v[3:4], off
	s_or_b32 s4, s16, 32
	s_delay_alu instid0(SALU_CYCLE_1) | instskip(SKIP_2) | instid1(SALU_CYCLE_1)
	s_ashr_i32 s8, s4, 5
	s_cmp_lt_i32 s4, s18
	s_cselect_b32 s8, s8, s3
	s_ashr_i32 s9, s8, 31
	s_delay_alu instid0(SALU_CYCLE_1) | instskip(NEXT) | instid1(SALU_CYCLE_1)
	s_lshl_b64 s[8:9], s[8:9], 2
	s_add_u32 s8, s17, s8
	s_addc_u32 s9, s13, s9
	s_or_b32 s4, s16, 64
	s_delay_alu instid0(SALU_CYCLE_1) | instskip(SKIP_2) | instid1(SALU_CYCLE_1)
	s_ashr_i32 s12, s4, 5
	s_cmp_lt_i32 s4, s18
	s_cselect_b32 s24, s12, s3
	s_ashr_i32 s25, s24, 31
	s_delay_alu instid0(SALU_CYCLE_1) | instskip(NEXT) | instid1(SALU_CYCLE_1)
	s_lshl_b64 s[24:25], s[24:25], 2
	s_add_u32 s24, s17, s24
	s_addc_u32 s25, s13, s25
	;; [unrolled: 10-line block ×5, first 2 shown]
	s_clause 0x5
	s_load_b32 s12, s[6:7], 0x0
	s_load_b32 s4, s[8:9], 0x0
	;; [unrolled: 1-line block ×6, first 2 shown]
	s_or_b32 s21, s16, 0xc0
	s_waitcnt vmcnt(1)
	v_mad_i64_i32 v[1:2], null, v5, s5, s[22:23]
	v_lshlrev_b32_e32 v5, 4, v68
	s_waitcnt vmcnt(0)
	v_mad_i64_i32 v[3:4], null, v6, s5, s[22:23]
	s_ashr_i32 s22, s21, 5
	s_cmp_lt_i32 s21, s18
	s_delay_alu instid0(VALU_DEP_3) | instskip(NEXT) | instid1(VALU_DEP_4)
	v_add_co_u32 v1, vcc_lo, v1, v5
	v_add_co_ci_u32_e32 v2, vcc_lo, 0, v2, vcc_lo
	s_delay_alu instid0(VALU_DEP_3) | instskip(NEXT) | instid1(VALU_DEP_4)
	v_add_co_u32 v3, vcc_lo, v3, v5
	v_add_co_ci_u32_e32 v4, vcc_lo, 0, v4, vcc_lo
	s_clause 0x7
	global_load_b128 v[71:74], v[1:2], off
	global_load_b128 v[75:78], v[1:2], off offset:512
	global_load_b128 v[79:82], v[3:4], off offset:256
	;; [unrolled: 1-line block ×7, first 2 shown]
	s_cselect_b32 s22, s22, s3
	v_lshlrev_b32_e32 v1, 5, v68
	s_ashr_i32 s23, s22, 31
	v_cmp_ne_u32_e32 vcc_lo, 15, v68
	s_lshl_b64 s[22:23], s[22:23], 2
	s_delay_alu instid0(SALU_CYCLE_1)
	s_add_u32 s22, s17, s22
	s_addc_u32 s23, s13, s23
	s_or_b32 s21, s16, 0xe0
	v_lshl_or_b32 v1, v69, 9, v1
	s_ashr_i32 s24, s21, 5
	s_cmp_lt_i32 s21, s18
	v_cndmask_b32_e32 v103, 0, v68, vcc_lo
	s_cselect_b32 s24, s24, s3
	s_load_b32 s3, s[22:23], 0x0
	s_ashr_i32 s25, s24, 31
	v_cmp_gt_i32_e32 vcc_lo, 32, v128
	s_lshl_b64 s[24:25], s[24:25], 2
	v_lshlrev_b32_e32 v115, 6, v103
	s_add_u32 s22, s17, s24
	s_addc_u32 s23, s13, s25
	v_cndmask_b32_e32 v136, v127, v128, vcc_lo
	s_add_u32 s10, s10, s15
	s_addc_u32 s11, s11, s20
	v_add_co_u32 v1, s10, s10, v1
	s_delay_alu instid0(VALU_DEP_1) | instskip(SKIP_2) | instid1(VALU_DEP_1)
	v_add_co_ci_u32_e64 v2, null, s11, 0, s10
	s_load_b32 s10, s[22:23], 0x0
	s_waitcnt lgkmcnt(0)
	v_mad_i64_i32 v[3:4], null, s12, s5, v[1:2]
	v_mad_i64_i32 v[9:10], null, s7, s5, v[1:2]
	;; [unrolled: 1-line block ×7, first 2 shown]
	s_clause 0x5
	global_load_b128 v[49:52], v[3:4], off
	global_load_b128 v[53:56], v[3:4], off offset:16
	global_load_b128 v[41:44], v[5:6], off
	global_load_b128 v[45:48], v[5:6], off offset:16
	;; [unrolled: 2-line block ×3, first 2 shown]
	s_mov_b32 s4, 0
	v_mad_i64_i32 v[61:62], null, s10, s5, v[1:2]
	s_clause 0x9
	global_load_b128 v[1:4], v[9:10], off
	global_load_b128 v[5:8], v[9:10], off offset:16
	global_load_b128 v[9:12], v[13:14], off
	global_load_b128 v[13:16], v[13:14], off offset:16
	;; [unrolled: 2-line block ×5, first 2 shown]
	s_mov_b32 s5, s4
	s_mov_b32 s6, s4
	;; [unrolled: 1-line block ×7, first 2 shown]
	v_and_b32_e32 v104, 0xe0, v0
	v_dual_mov_b32 v126, s11 :: v_dual_mov_b32 v125, s10
	v_dual_mov_b32 v124, s9 :: v_dual_mov_b32 v123, s8
	s_delay_alu instid0(VALU_DEP_3)
	v_add_nc_u32_e32 v111, s16, v104
	ds_load_b128 v[103:106], v115
	ds_load_b128 v[107:110], v115 offset:1024
	v_dual_mov_b32 v122, s7 :: v_dual_mov_b32 v121, s6
	v_mov_b32_e32 v120, s5
	v_or_b32_e32 v135, v111, v66
	ds_load_b128 v[111:114], v115 offset:2048
	ds_load_b128 v[115:118], v115 offset:3072
	v_mov_b32_e32 v119, s4
	s_waitcnt vmcnt(0) lgkmcnt(0)
	s_barrier
	v_or_b32_e32 v137, 2, v135
	v_or_b32_e32 v138, 4, v135
	;; [unrolled: 1-line block ×3, first 2 shown]
	v_cmp_gt_i32_e32 vcc_lo, s18, v135
	v_or_b32_e32 v140, 8, v135
	v_cmp_gt_i32_e64 s3, s18, v137
	v_or_b32_e32 v141, 10, v135
	v_cmp_gt_i32_e64 s4, s18, v138
	v_cmp_gt_i32_e64 s5, s18, v139
	v_or_b32_e32 v142, 12, v135
	v_or_b32_e32 v143, 14, v135
	v_cmp_gt_i32_e64 s6, s18, v140
	v_cmp_gt_i32_e64 s7, s18, v141
	v_or_b32_e32 v144, 16, v135
	v_or_b32_e32 v145, 18, v135
	v_cmp_gt_i32_e64 s8, s18, v142
	v_cmp_gt_i32_e64 s9, s18, v143
	buffer_gl0_inv
	v_cmp_gt_i32_e64 s10, s18, v144
	v_cmp_gt_i32_e64 s11, s18, v145
	v_wmma_f32_16x16x16_f16 v[127:134], v[71:78], v[103:110], v[119:126]
	v_wmma_f32_16x16x16_f16 v[119:126], v[79:86], v[103:110], v[119:126]
	v_or_b32_e32 v71, 20, v135
	v_or_b32_e32 v72, 22, v135
	s_delay_alu instid0(VALU_DEP_4)
	v_wmma_f32_16x16x16_f16 v[127:134], v[87:94], v[111:118], v[127:134]
	v_or_b32_e32 v73, 24, v135
	v_wmma_f32_16x16x16_f16 v[119:126], v[95:102], v[111:118], v[119:126]
	v_or_b32_e32 v74, 26, v135
	v_cmp_gt_i32_e64 s12, s18, v71
	v_dual_mul_f32 v84, s19, v127 :: v_dual_mul_f32 v83, s19, v128
	s_delay_alu instid0(VALU_DEP_4) | instskip(SKIP_2) | instid1(VALU_DEP_4)
	v_dual_mul_f32 v92, s19, v119 :: v_dual_mul_f32 v81, s19, v130
	v_mul_f32_e32 v90, s19, v121
	v_mul_f32_e32 v82, s19, v129
	v_cndmask_b32_e32 v84, 0xff7fffff, v84, vcc_lo
	v_cndmask_b32_e64 v83, 0xff7fffff, v83, s3
	v_dual_mul_f32 v79, s19, v132 :: v_dual_mul_f32 v88, s19, v123
	v_mul_f32_e32 v80, s19, v131
	v_cndmask_b32_e64 v82, 0xff7fffff, v82, s4
	v_cndmask_b32_e64 v81, 0xff7fffff, v81, s5
	v_max3_f32 v83, v84, 0xff7fffff, v83
	v_dual_mul_f32 v77, s19, v134 :: v_dual_mul_f32 v86, s19, v125
	v_mul_f32_e32 v78, s19, v133
	v_cndmask_b32_e64 v80, 0xff7fffff, v80, s6
	v_cndmask_b32_e64 v79, 0xff7fffff, v79, s7
	v_max3_f32 v81, v83, v82, v81
	v_mul_f32_e32 v91, s19, v120
	v_cndmask_b32_e64 v78, 0xff7fffff, v78, s8
	v_cndmask_b32_e64 v77, 0xff7fffff, v77, s9
	v_mul_f32_e32 v89, s19, v122
	v_max3_f32 v79, v81, v80, v79
	v_cndmask_b32_e64 v80, 0xff7fffff, v92, s10
	v_cndmask_b32_e64 v81, 0xff7fffff, v91, s11
	v_cmp_gt_i32_e64 s13, s18, v72
	v_or_b32_e32 v75, 28, v135
	v_max3_f32 v77, v79, v78, v77
	v_or_b32_e32 v76, 30, v135
	v_mul_f32_e32 v87, s19, v124
	v_cndmask_b32_e64 v71, 0xff7fffff, v90, s12
	v_cndmask_b32_e64 v72, 0xff7fffff, v89, s13
	v_max3_f32 v77, v77, v80, v81
	v_cmp_gt_i32_e64 s15, s18, v73
	v_cmp_gt_i32_e64 s16, s18, v74
	v_mul_f32_e32 v85, s19, v126
	v_cmp_gt_i32_e64 s17, s18, v75
	v_max3_f32 v71, v77, v71, v72
	v_cndmask_b32_e64 v73, 0xff7fffff, v88, s15
	v_cndmask_b32_e64 v74, 0xff7fffff, v87, s16
	v_cmp_gt_i32_e64 s18, s18, v76
	v_cndmask_b32_e64 v72, 0xff7fffff, v86, s17
	s_delay_alu instid0(VALU_DEP_3) | instskip(NEXT) | instid1(VALU_DEP_3)
	v_max3_f32 v71, v71, v73, v74
	v_cndmask_b32_e64 v75, 0xff7fffff, v85, s18
	v_lshlrev_b32_e32 v73, 2, v136
	s_delay_alu instid0(VALU_DEP_2) | instskip(SKIP_3) | instid1(VALU_DEP_1)
	v_max3_f32 v71, v71, v72, v75
	ds_bpermute_b32 v72, v73, v71
	s_waitcnt lgkmcnt(0)
	v_max_f32_e32 v72, v72, v72
	v_max_f32_e32 v71, v71, v72
	s_delay_alu instid0(VALU_DEP_1) | instskip(SKIP_2) | instid1(VALU_DEP_3)
	v_fma_f32 v72, s19, v127, -v71
	v_fma_f32 v74, s19, v128, -v71
	;; [unrolled: 1-line block ×3, first 2 shown]
	v_mul_f32_e32 v72, 0x3fb8aa3b, v72
	s_delay_alu instid0(VALU_DEP_2) | instskip(NEXT) | instid1(VALU_DEP_2)
	v_dual_mul_f32 v74, 0x3fb8aa3b, v74 :: v_dual_mul_f32 v75, 0x3fb8aa3b, v75
	v_exp_f32_e32 v72, v72
	s_delay_alu instid0(VALU_DEP_1) | instskip(NEXT) | instid1(VALU_DEP_1)
	v_exp_f32_e32 v74, v74
	v_exp_f32_e32 v75, v75
	s_delay_alu instid0(TRANS32_DEP_3)
	v_cndmask_b32_e32 v79, 0, v72, vcc_lo
	s_waitcnt_depctr 0xfff
	v_cndmask_b32_e64 v78, 0, v74, s3
	v_cndmask_b32_e64 v81, 0, v75, s4
	v_cmp_gt_u32_e64 s3, 16, v70
	v_add_f32_e32 v74, 0, v79
	s_delay_alu instid0(VALU_DEP_1) | instskip(NEXT) | instid1(VALU_DEP_1)
	v_add_f32_e32 v74, v74, v78
	v_add_f32_e32 v74, v74, v81
	v_fma_f32 v76, s19, v130, -v71
	v_fma_f32 v77, s19, v131, -v71
	v_fma_f32 v72, s19, v132, -v71
	v_fma_f32 v80, s19, v133, -v71
	v_fma_f32 v75, s19, v134, -v71
	s_delay_alu instid0(VALU_DEP_4) | instskip(NEXT) | instid1(VALU_DEP_4)
	v_dual_mul_f32 v76, 0x3fb8aa3b, v76 :: v_dual_mul_f32 v77, 0x3fb8aa3b, v77
	v_mul_f32_e32 v72, 0x3fb8aa3b, v72
	s_delay_alu instid0(VALU_DEP_4) | instskip(SKIP_1) | instid1(VALU_DEP_4)
	v_mul_f32_e32 v82, 0x3fb8aa3b, v80
	v_fma_f32 v86, s19, v122, -v71
	v_exp_f32_e32 v76, v76
	v_exp_f32_e32 v77, v77
	;; [unrolled: 1-line block ×4, first 2 shown]
	v_mul_f32_e32 v86, 0x3fb8aa3b, v86
	s_delay_alu instid0(VALU_DEP_1)
	v_exp_f32_e32 v88, v86
	v_cndmask_b32_e64 v80, 0, v76, s5
	v_mul_f32_e32 v75, 0x3fb8aa3b, v75
	v_fma_f32 v76, s19, v119, -v71
	v_cndmask_b32_e64 v83, 0, v77, s6
	v_fma_f32 v77, s19, v120, -v71
	v_add_f32_e32 v74, v74, v80
	v_exp_f32_e32 v75, v75
	v_mul_f32_e32 v76, 0x3fb8aa3b, v76
	v_cndmask_b32_e64 v82, 0, v72, s7
	s_delay_alu instid0(VALU_DEP_3) | instskip(SKIP_1) | instid1(VALU_DEP_4)
	v_dual_mul_f32 v77, 0x3fb8aa3b, v77 :: v_dual_add_f32 v72, v74, v83
	v_fma_f32 v74, s19, v121, -v71
	v_exp_f32_e32 v76, v76
	v_cndmask_b32_e64 v85, 0, v84, s8
	s_delay_alu instid0(VALU_DEP_3) | instskip(SKIP_1) | instid1(TRANS32_DEP_3)
	v_exp_f32_e32 v77, v77
	v_cndmask_b32_e64 v88, 0, v88, s13
	v_cndmask_b32_e64 v84, 0, v75, s9
	v_fma_f32 v75, s19, v123, -v71
	v_add_f32_e32 v72, v72, v82
	s_delay_alu instid0(VALU_DEP_2) | instskip(NEXT) | instid1(VALU_DEP_2)
	v_dual_mul_f32 v74, 0x3fb8aa3b, v74 :: v_dual_mul_f32 v75, 0x3fb8aa3b, v75
	v_add_f32_e32 v72, v72, v85
	s_delay_alu instid0(VALU_DEP_2)
	v_exp_f32_e32 v74, v74
	v_cndmask_b32_e64 v87, 0, v76, s10
	v_fma_f32 v76, s19, v124, -v71
	v_cndmask_b32_e64 v86, 0, v77, s11
	v_add_f32_e32 v72, v72, v84
	v_fma_f32 v77, s19, v125, -v71
	v_exp_f32_e32 v75, v75
	v_mul_f32_e32 v76, 0x3fb8aa3b, v76
	s_delay_alu instid0(VALU_DEP_3) | instskip(NEXT) | instid1(TRANS32_DEP_2)
	v_add_f32_e32 v72, v72, v87
	v_cndmask_b32_e64 v89, 0, v74, s12
	v_mul_f32_e32 v74, 0x3fb8aa3b, v77
	s_delay_alu instid0(VALU_DEP_4) | instskip(SKIP_2) | instid1(VALU_DEP_3)
	v_exp_f32_e32 v76, v76
	v_fma_f32 v77, s19, v126, -v71
	v_add_f32_e32 v72, v72, v86
	v_exp_f32_e32 v74, v74
	s_delay_alu instid0(TRANS32_DEP_3) | instskip(NEXT) | instid1(VALU_DEP_3)
	v_cndmask_b32_e64 v91, 0, v75, s15
	v_mul_f32_e32 v75, 0x3fb8aa3b, v77
	s_delay_alu instid0(VALU_DEP_3) | instskip(NEXT) | instid1(TRANS32_DEP_2)
	v_add_f32_e32 v72, v72, v89
	v_cndmask_b32_e64 v90, 0, v76, s16
	s_delay_alu instid0(VALU_DEP_3) | instskip(NEXT) | instid1(VALU_DEP_2)
	v_exp_f32_e32 v75, v75
	v_add_f32_e32 v72, v72, v88
	s_delay_alu instid0(TRANS32_DEP_2) | instskip(NEXT) | instid1(VALU_DEP_2)
	v_cndmask_b32_e64 v93, 0, v74, s17
	v_add_f32_e32 v72, v72, v91
	s_waitcnt_depctr 0xfff
	v_cndmask_b32_e64 v92, 0, v75, s18
	v_add_f32_e32 v72, v72, v90
	s_delay_alu instid0(VALU_DEP_1) | instskip(NEXT) | instid1(VALU_DEP_1)
	v_add_f32_e32 v72, v72, v93
	v_add_f32_e32 v72, v72, v92
	ds_bpermute_b32 v73, v73, v72
	s_and_saveexec_b32 s4, s3
	s_cbranch_execz .LBB864_12
; %bb.11:
	v_mul_u32_u24_e32 v70, 0x44, v69
	s_waitcnt lgkmcnt(0)
	v_add_f32_e32 v72, v72, v73
	s_delay_alu instid0(VALU_DEP_2) | instskip(NEXT) | instid1(VALU_DEP_1)
	v_lshl_add_u32 v70, v68, 2, v70
	v_add_nc_u32_e32 v70, 0x4000, v70
	ds_store_2addr_b32 v70, v71, v72 offset1:136
.LBB864_12:
	s_or_b32 exec_lo, exec_lo, s4
	v_lshlrev_b32_e32 v70, 2, v68
	s_load_b32 s36, s[0:1], 0x94
	s_waitcnt lgkmcnt(0)
	s_barrier
	buffer_gl0_inv
	v_add_nc_u32_e32 v98, 0x4000, v70
	v_cmp_eq_u32_e32 vcc_lo, 1, v69
	v_cmp_eq_u32_e64 s4, 2, v69
	v_cmp_eq_u32_e64 s5, 3, v69
	;; [unrolled: 1-line block ×3, first 2 shown]
	ds_load_2addr_b32 v[70:71], v98 offset1:17
	ds_load_2addr_b32 v[72:73], v98 offset0:34 offset1:51
	ds_load_2addr_b32 v[74:75], v98 offset0:68 offset1:85
	;; [unrolled: 1-line block ×3, first 2 shown]
	v_cmp_eq_u32_e64 s7, 5, v69
	v_cmp_eq_u32_e64 s8, 7, v69
	s_waitcnt lgkmcnt(3)
	v_max3_f32 v76, v70, 0xff7fffff, v71
	s_waitcnt lgkmcnt(2)
	s_delay_alu instid0(VALU_DEP_1) | instskip(SKIP_1) | instid1(VALU_DEP_1)
	v_max3_f32 v76, v76, v72, v73
	s_waitcnt lgkmcnt(1)
	v_max3_f32 v76, v76, v74, v75
	s_waitcnt lgkmcnt(0)
	s_delay_alu instid0(VALU_DEP_1) | instskip(NEXT) | instid1(VALU_DEP_1)
	v_max3_f32 v76, v76, v94, v95
	v_sub_f32_e32 v77, v71, v76
	ds_load_2addr_b32 v[96:97], v98 offset0:136 offset1:153
	v_sub_f32_e32 v74, v74, v76
	v_sub_f32_e32 v70, v70, v76
	;; [unrolled: 1-line block ×3, first 2 shown]
	v_dual_sub_f32 v72, v72, v76 :: v_dual_mul_f32 v77, 0x3fb8aa3b, v77
	s_delay_alu instid0(VALU_DEP_4) | instskip(NEXT) | instid1(VALU_DEP_4)
	v_mul_f32_e32 v103, 0x3fb8aa3b, v74
	v_mul_f32_e32 v99, 0x3fb8aa3b, v70
	ds_load_2addr_b32 v[70:71], v98 offset0:170 offset1:187
	v_dual_mul_f32 v101, 0x3fb8aa3b, v72 :: v_dual_mul_f32 v94, 0x3fb8aa3b, v94
	v_exp_f32_e32 v102, v77
	v_exp_f32_e32 v99, v99
	s_delay_alu instid0(VALU_DEP_1) | instskip(NEXT) | instid1(VALU_DEP_1)
	v_exp_f32_e32 v101, v101
	v_exp_f32_e32 v94, v94
	s_waitcnt lgkmcnt(1)
	s_delay_alu instid0(TRANS32_DEP_3)
	v_fma_f32 v77, v99, v96, 0
	v_sub_f32_e32 v100, v73, v76
	ds_load_2addr_b32 v[72:73], v98 offset0:204 offset1:221
	v_fmac_f32_e32 v77, v102, v97
	v_exp_f32_e32 v97, v103
	s_waitcnt lgkmcnt(1)
	s_delay_alu instid0(VALU_DEP_1)
	v_dual_fmac_f32 v77, v101, v70 :: v_dual_sub_f32 v96, v75, v76
	ds_load_2addr_b32 v[74:75], v98 offset0:238 offset1:255
	v_sub_f32_e32 v70, v95, v76
	s_waitcnt lgkmcnt(0)
	s_barrier
	v_mul_f32_e32 v96, 0x3fb8aa3b, v96
	buffer_gl0_inv
	v_exp_f32_e32 v95, v96
	v_mul_f32_e32 v100, 0x3fb8aa3b, v100
	s_delay_alu instid0(VALU_DEP_1) | instskip(SKIP_3) | instid1(VALU_DEP_2)
	v_exp_f32_e32 v100, v100
	s_waitcnt_depctr 0xfff
	v_dual_fmac_f32 v77, v100, v71 :: v_dual_mul_f32 v70, 0x3fb8aa3b, v70
	v_cndmask_b32_e32 v71, v99, v102, vcc_lo
	v_fmac_f32_e32 v77, v97, v72
	s_delay_alu instid0(VALU_DEP_3) | instskip(NEXT) | instid1(VALU_DEP_1)
	v_exp_f32_e32 v96, v70
	v_fmac_f32_e32 v77, v95, v73
	s_delay_alu instid0(VALU_DEP_1) | instskip(SKIP_2) | instid1(VALU_DEP_1)
	v_fmac_f32_e32 v77, v94, v74
	s_waitcnt_depctr 0xfff
	v_fmac_f32_e32 v77, v96, v75
	v_add_f32_e32 v74, 0x358637bd, v77
	s_delay_alu instid0(VALU_DEP_1) | instskip(SKIP_1) | instid1(VALU_DEP_2)
	v_div_scale_f32 v98, null, v74, v74, 1.0
	v_div_scale_f32 v99, vcc_lo, 1.0, v74, 1.0
	v_rcp_f32_e32 v103, v98
	s_waitcnt_depctr 0xfff
	v_fma_f32 v70, -v98, v103, 1.0
	s_delay_alu instid0(VALU_DEP_1) | instskip(SKIP_2) | instid1(VALU_DEP_2)
	v_fmac_f32_e32 v103, v70, v103
	v_cndmask_b32_e64 v70, v71, v101, s4
	v_cmp_eq_u32_e64 s4, 6, v69
	v_cndmask_b32_e64 v71, v70, v100, s5
	s_delay_alu instid0(VALU_DEP_4) | instskip(NEXT) | instid1(VALU_DEP_2)
	v_dual_mul_f32 v101, v99, v103 :: v_dual_lshlrev_b32 v70, 2, v66
	v_cndmask_b32_e64 v71, v71, v97, s6
	s_delay_alu instid0(VALU_DEP_2) | instskip(NEXT) | instid1(VALU_DEP_3)
	v_or_b32_e32 v72, 1, v70
	v_fma_f32 v100, -v98, v101, v99
	v_cmp_eq_u32_e64 s5, 1, v70
	v_cmp_eq_u32_e64 s6, 2, v70
	v_cndmask_b32_e64 v95, v71, v95, s7
	v_or_b32_e32 v71, 3, v70
	v_fmac_f32_e32 v101, v100, v103
	v_cmp_eq_u32_e64 s10, 1, v72
	v_cmp_eq_u32_e64 s13, 2, v72
	v_cndmask_b32_e64 v94, v95, v94, s4
	v_cmp_eq_u32_e64 s12, 1, v71
	v_fma_f32 v97, -v98, v101, v99
	v_cmp_eq_u32_e64 s17, 2, v71
	v_cmp_eq_u32_e64 s15, 3, v72
	v_cndmask_b32_e64 v94, v94, v96, s8
	v_cmp_eq_u32_e64 s19, 3, v71
	v_div_fmas_f32 v95, v97, v103, v101
	v_cmp_eq_u32_e32 vcc_lo, 3, v70
	v_cmp_eq_u32_e64 s4, 4, v70
	v_cmp_eq_u32_e64 s20, 4, v72
	;; [unrolled: 1-line block ×3, first 2 shown]
	v_div_fixup_f32 v95, v95, v74, 1.0
	v_lshlrev_b32_e32 v73, 6, v68
	v_cmp_eq_u32_e64 s7, 5, v70
	v_cmp_eq_u32_e64 s21, 5, v72
	;; [unrolled: 1-line block ×3, first 2 shown]
	v_mul_f32_e32 v102, v94, v95
	v_lshl_or_b32 v75, v69, 11, v73
	v_or_b32_e32 v69, 2, v70
	v_cmp_eq_u32_e64 s26, 6, v72
	v_cmp_eq_u32_e64 s28, 6, v71
	v_fma_mixlo_f16 v94, v102, v79, 0
	v_fma_mixlo_f16 v95, v102, v81, 0
	;; [unrolled: 1-line block ×8, first 2 shown]
	v_lshl_or_b32 v74, v66, 4, v75
	v_fma_mixhi_f16 v94, v102, v78, 0
	v_fma_mixhi_f16 v95, v102, v80, 0
	;; [unrolled: 1-line block ×8, first 2 shown]
	ds_store_b128 v74, v[94:97]
	ds_store_b128 v74, v[98:101] offset:1024
	s_waitcnt lgkmcnt(0)
	s_barrier
	buffer_gl0_inv
	ds_load_b128 v[78:81], v75
	ds_load_b128 v[82:85], v75 offset:16
	ds_load_b128 v[86:89], v75 offset:1024
	;; [unrolled: 1-line block ×3, first 2 shown]
	v_cmp_eq_u32_e64 s11, 1, v69
	v_cmp_eq_u32_e64 s16, 2, v69
	v_cmp_eq_u32_e64 s18, 3, v69
	v_cmp_eq_u32_e64 s22, 4, v69
	v_cmp_eq_u32_e64 s24, 5, v69
	v_cmp_eq_u32_e64 s8, 6, v70
	v_cmp_eq_u32_e64 s27, 6, v69
	v_cmp_eq_u32_e64 s30, 7, v71
	v_cmp_eq_u32_e64 s31, 7, v72
	v_cmp_eq_u32_e64 s9, 7, v70
	v_cmp_eq_u32_e64 s29, 7, v69
	s_waitcnt lgkmcnt(3)
	v_lshrrev_b32_e32 v94, 16, v78
	s_waitcnt lgkmcnt(2)
	v_lshrrev_b32_e32 v98, 16, v82
	;; [unrolled: 2-line block ×4, first 2 shown]
	v_lshrrev_b32_e32 v95, 16, v79
	v_cndmask_b32_e64 v110, v78, v94, s5
	v_cndmask_b32_e64 v111, v82, v98, s5
	;; [unrolled: 1-line block ×8, first 2 shown]
	v_lshrrev_b32_e32 v99, 16, v83
	v_cndmask_b32_e64 v94, v86, v102, s5
	v_cndmask_b32_e64 v98, v90, v106, s5
	;; [unrolled: 1-line block ×15, first 2 shown]
	v_lshrrev_b32_e32 v103, 16, v87
	v_lshrrev_b32_e32 v107, 16, v91
	v_cndmask_b32_e64 v113, v115, v83, s16
	v_cndmask_b32_e64 v82, v94, v87, s6
	;; [unrolled: 1-line block ×7, first 2 shown]
	v_cndmask_b32_e32 v90, v102, v95, vcc_lo
	v_cndmask_b32_e32 v102, v106, v99, vcc_lo
	v_cndmask_b32_e64 v106, v110, v95, s15
	v_cndmask_b32_e64 v110, v111, v99, s15
	;; [unrolled: 1-line block ×4, first 2 shown]
	v_lshrrev_b32_e32 v96, 16, v80
	v_lshrrev_b32_e32 v100, 16, v84
	v_cndmask_b32_e64 v111, v112, v95, s18
	v_cndmask_b32_e64 v112, v113, v99, s18
	v_cndmask_b32_e32 v82, v82, v103, vcc_lo
	v_cndmask_b32_e32 v83, v83, v107, vcc_lo
	v_cndmask_b32_e64 v94, v94, v103, s15
	v_cndmask_b32_e64 v90, v90, v80, s4
	v_cndmask_b32_e64 v95, v102, v84, s4
	v_cndmask_b32_e64 v99, v106, v80, s20
	v_cndmask_b32_e64 v102, v110, v84, s20
	v_cndmask_b32_e64 v78, v78, v80, s23
	v_cndmask_b32_e64 v79, v79, v84, s23
	v_lshrrev_b32_e32 v104, 16, v88
	v_cndmask_b32_e64 v106, v111, v80, s22
	v_cndmask_b32_e64 v110, v112, v84, s22
	;; [unrolled: 1-line block ×11, first 2 shown]
	v_lshrrev_b32_e32 v97, 16, v81
	v_lshrrev_b32_e32 v101, 16, v85
	v_cndmask_b32_e64 v99, v106, v96, s24
	v_cndmask_b32_e64 v102, v110, v100, s24
	;; [unrolled: 1-line block ×7, first 2 shown]
	v_lshrrev_b32_e32 v105, 16, v89
	v_cndmask_b32_e64 v80, v80, v104, s7
	v_cndmask_b32_e64 v84, v84, v81, s8
	;; [unrolled: 1-line block ×16, first 2 shown]
	v_perm_b32 v81, v79, v78, 0x5040100
	v_perm_b32 v79, v95, v85, 0x5040100
	v_cndmask_b32_e64 v78, v119, v91, s16
	v_cndmask_b32_e64 v85, v117, v91, s13
	;; [unrolled: 1-line block ×3, first 2 shown]
	v_perm_b32 v80, v94, v90, 0x5040100
	v_cndmask_b32_e64 v90, v98, v103, s18
	v_cndmask_b32_e64 v86, v86, v103, s19
	;; [unrolled: 1-line block ×5, first 2 shown]
	v_lshrrev_b32_e32 v108, 16, v92
	v_cndmask_b32_e64 v90, v90, v88, s22
	v_cndmask_b32_e64 v86, v86, v88, s23
	;; [unrolled: 1-line block ×11, first 2 shown]
	v_lshrrev_b32_e32 v109, 16, v93
	v_cndmask_b32_e64 v82, v82, v93, s8
	v_cndmask_b32_e64 v88, v88, v89, s27
	;; [unrolled: 1-line block ×12, first 2 shown]
	v_perm_b32 v78, v84, v83, 0x5040100
	v_perm_b32 v85, v87, v86, 0x5040100
	v_perm_b32 v84, v89, v88, 0x5040100
	v_perm_b32 v83, v90, v97, 0x5040100
	v_perm_b32 v82, v82, v96, 0x5040100
	s_mul_i32 s9, s35, 15
	s_mov_b32 s4, exec_lo
	ds_store_b128 v74, v[78:81]
	ds_store_b128 v74, v[82:85] offset:1024
	v_cmpx_gt_u32_e32 15, v0
	s_cbranch_execz .LBB864_14
; %bb.13:
	s_mul_i32 s5, s9, s34
	s_load_b128 s[16:19], s[0:1], 0x58
	v_add3_u32 v68, s5, s33, v68
	s_delay_alu instid0(VALU_DEP_1) | instskip(NEXT) | instid1(VALU_DEP_1)
	v_mad_u64_u32 v[78:79], null, v68, s36, s[14:15]
	v_ashrrev_i32_e32 v79, 31, v78
	s_delay_alu instid0(VALU_DEP_1) | instskip(SKIP_1) | instid1(VALU_DEP_1)
	v_lshlrev_b64 v[78:79], 2, v[78:79]
	s_waitcnt lgkmcnt(0)
	v_add_co_u32 v80, vcc_lo, s18, v78
	s_delay_alu instid0(VALU_DEP_2)
	v_add_co_ci_u32_e32 v81, vcc_lo, s19, v79, vcc_lo
	v_add_co_u32 v78, vcc_lo, s16, v78
	v_add_co_ci_u32_e32 v79, vcc_lo, s17, v79, vcc_lo
	global_store_b32 v[80:81], v76, off
	global_store_b32 v[78:79], v77, off
.LBB864_14:
	s_or_b32 exec_lo, exec_lo, s4
	s_waitcnt lgkmcnt(0)
	s_waitcnt_vscnt null, 0x0
	s_barrier
	buffer_gl0_inv
	ds_load_b128 v[84:87], v73
	ds_load_b128 v[88:91], v73 offset:16
	ds_load_b128 v[96:99], v73 offset:2064
	;; [unrolled: 1-line block ×5, first 2 shown]
	v_cmp_eq_u32_e32 vcc_lo, 1, v70
	v_mov_b32_e32 v76, 0
	ds_load_b128 v[112:115], v73 offset:6160
	ds_load_b128 v[108:111], v73 offset:6144
	;; [unrolled: 1-line block ×4, first 2 shown]
	v_cmp_eq_u32_e64 s5, 1, v69
	v_cmp_eq_u32_e64 s4, 1, v72
	;; [unrolled: 1-line block ×3, first 2 shown]
	v_mov_b32_e32 v77, v76
	v_mov_b32_e32 v78, v76
	;; [unrolled: 1-line block ×7, first 2 shown]
	v_cmp_eq_u32_e64 s7, 3, v72
	v_cmp_eq_u32_e64 s8, 7, v72
	s_waitcnt lgkmcnt(8)
	s_delay_alu instid0(VALU_DEP_3)
	v_wmma_f32_16x16x16_f16 v[76:83], v[49:56], v[84:91], v[76:83]
	ds_load_b128 v[53:56], v73 offset:10256
	ds_load_b128 v[49:52], v73 offset:10240
	s_waitcnt lgkmcnt(8)
	v_wmma_f32_16x16x16_f16 v[76:83], v[41:48], v[92:99], v[76:83]
	ds_load_b128 v[45:48], v73 offset:12304
	ds_load_b128 v[41:44], v73 offset:12288
	s_waitcnt lgkmcnt(8)
	;; [unrolled: 4-line block ×3, first 2 shown]
	s_barrier
	buffer_gl0_inv
	v_wmma_f32_16x16x16_f16 v[76:83], v[1:8], v[108:115], v[76:83]
	s_delay_alu instid0(VALU_DEP_1) | instskip(NEXT) | instid1(VALU_DEP_1)
	v_wmma_f32_16x16x16_f16 v[76:83], v[9:16], v[116:123], v[76:83]
	v_wmma_f32_16x16x16_f16 v[76:83], v[17:24], v[49:56], v[76:83]
	s_delay_alu instid0(VALU_DEP_1) | instskip(NEXT) | instid1(VALU_DEP_1)
	v_wmma_f32_16x16x16_f16 v[76:83], v[25:32], v[41:48], v[76:83]
	v_wmma_f32_16x16x16_f16 v[76:83], v[57:64], v[33:40], v[76:83]
	s_delay_alu instid0(VALU_DEP_1) | instskip(NEXT) | instid1(VALU_DEP_2)
	v_cvt_f16_f32_e32 v1, v76
	v_cvt_f16_f32_e32 v2, v77
	s_delay_alu instid0(VALU_DEP_3) | instskip(NEXT) | instid1(VALU_DEP_4)
	v_cvt_f16_f32_e32 v3, v78
	v_cvt_f16_f32_e32 v4, v79
	;; [unrolled: 1-line block ×6, first 2 shown]
	v_pack_b32_f16 v1, v1, v2
	v_pack_b32_f16 v2, v3, v4
	;; [unrolled: 1-line block ×3, first 2 shown]
	s_delay_alu instid0(VALU_DEP_4)
	v_pack_b32_f16 v4, v7, v8
	ds_store_b128 v74, v[1:4]
	s_waitcnt lgkmcnt(0)
	s_barrier
	buffer_gl0_inv
	ds_load_b128 v[1:4], v75
	ds_load_b128 v[5:8], v75 offset:16
	s_waitcnt lgkmcnt(1)
	v_lshrrev_b32_e32 v9, 16, v1
	s_waitcnt lgkmcnt(0)
	v_lshrrev_b32_e32 v13, 16, v5
	v_lshrrev_b32_e32 v10, 16, v2
	;; [unrolled: 1-line block ×4, first 2 shown]
	v_cndmask_b32_e32 v17, v1, v9, vcc_lo
	v_cndmask_b32_e32 v18, v5, v13, vcc_lo
	v_cndmask_b32_e64 v21, v1, v9, s5
	v_cmp_eq_u32_e32 vcc_lo, 1, v71
	v_cndmask_b32_e64 v22, v5, v13, s5
	v_cmp_eq_u32_e64 s5, 2, v70
	v_cndmask_b32_e64 v19, v1, v9, s4
	v_cndmask_b32_e64 v20, v5, v13, s4
	v_cndmask_b32_e32 v1, v1, v9, vcc_lo
	v_cmp_eq_u32_e64 s4, 2, v71
	v_cndmask_b32_e32 v5, v5, v13, vcc_lo
	v_cndmask_b32_e64 v9, v17, v2, s5
	v_cmp_eq_u32_e32 vcc_lo, 3, v70
	v_cndmask_b32_e64 v13, v18, v6, s5
	v_cmp_eq_u32_e64 s5, 2, v69
	v_cndmask_b32_e64 v17, v19, v2, s6
	v_cndmask_b32_e64 v18, v20, v6, s6
	v_cmp_eq_u32_e64 s6, 3, v69
	v_cndmask_b32_e64 v1, v1, v2, s4
	v_cndmask_b32_e64 v19, v21, v2, s5
	;; [unrolled: 1-line block ×4, first 2 shown]
	v_cndmask_b32_e32 v5, v9, v10, vcc_lo
	v_cndmask_b32_e32 v6, v13, v14, vcc_lo
	v_cmp_eq_u32_e32 vcc_lo, 3, v71
	v_cndmask_b32_e64 v9, v17, v10, s7
	v_cndmask_b32_e64 v13, v18, v14, s7
	;; [unrolled: 1-line block ×3, first 2 shown]
	v_cmp_eq_u32_e64 s5, 4, v70
	v_cndmask_b32_e32 v1, v1, v10, vcc_lo
	v_cndmask_b32_e32 v2, v2, v14, vcc_lo
	v_cmp_eq_u32_e32 vcc_lo, 4, v72
	v_lshrrev_b32_e32 v15, 16, v7
	v_lshrrev_b32_e32 v16, 16, v8
	v_cndmask_b32_e64 v17, v19, v10, s6
	v_cmp_eq_u32_e64 s4, 4, v71
	v_cndmask_b32_e64 v5, v5, v3, s5
	v_cndmask_b32_e64 v6, v6, v7, s5
	v_cndmask_b32_e32 v9, v9, v3, vcc_lo
	v_cmp_eq_u32_e64 s5, 5, v72
	v_cndmask_b32_e32 v10, v13, v7, vcc_lo
	v_cmp_eq_u32_e32 vcc_lo, 4, v69
	v_cmp_eq_u32_e64 s6, 5, v70
	v_cndmask_b32_e64 v2, v2, v7, s4
	v_cndmask_b32_e64 v9, v9, v11, s5
	;; [unrolled: 1-line block ×3, first 2 shown]
	v_cndmask_b32_e32 v13, v17, v3, vcc_lo
	v_cmp_eq_u32_e64 s5, 5, v69
	v_cndmask_b32_e32 v14, v18, v7, vcc_lo
	v_cndmask_b32_e64 v1, v1, v3, s4
	v_cmp_eq_u32_e32 vcc_lo, 5, v71
	v_lshrrev_b32_e32 v12, 16, v4
	v_cndmask_b32_e64 v13, v13, v11, s5
	v_cndmask_b32_e64 v3, v14, v15, s5
	v_cmp_eq_u32_e64 s5, 6, v71
	v_cndmask_b32_e32 v1, v1, v11, vcc_lo
	v_cndmask_b32_e64 v5, v5, v11, s6
	v_cmp_eq_u32_e64 s7, 6, v70
	v_cndmask_b32_e64 v6, v6, v15, s6
	v_cmp_eq_u32_e64 s6, 6, v72
	v_cmp_eq_u32_e64 s4, 6, v69
	v_cndmask_b32_e64 v1, v1, v4, s5
	v_cndmask_b32_e32 v2, v2, v15, vcc_lo
	v_cmp_eq_u32_e32 vcc_lo, 7, v71
	v_cndmask_b32_e64 v5, v5, v4, s7
	v_cndmask_b32_e64 v9, v9, v4, s6
	;; [unrolled: 1-line block ×3, first 2 shown]
	v_cmp_eq_u32_e64 s7, 7, v70
	v_cndmask_b32_e32 v1, v1, v12, vcc_lo
	v_cndmask_b32_e64 v7, v13, v4, s4
	v_cndmask_b32_e64 v3, v3, v8, s4
	;; [unrolled: 1-line block ×3, first 2 shown]
	v_cmp_eq_u32_e64 s4, 7, v69
	v_cndmask_b32_e64 v4, v10, v8, s6
	v_cndmask_b32_e64 v5, v5, v12, s7
	;; [unrolled: 1-line block ×3, first 2 shown]
	v_cndmask_b32_e32 v2, v2, v16, vcc_lo
	v_cndmask_b32_e64 v7, v7, v12, s4
	v_cndmask_b32_e64 v3, v3, v16, s4
	;; [unrolled: 1-line block ×4, first 2 shown]
	v_cmp_gt_u32_e32 vcc_lo, 32, v0
	v_perm_b32 v4, v2, v1, 0x5040100
	v_perm_b32 v3, v3, v7, 0x5040100
	;; [unrolled: 1-line block ×4, first 2 shown]
	s_and_b32 s2, vcc_lo, s2
	ds_store_b128 v74, v[1:4]
	s_waitcnt lgkmcnt(0)
	s_barrier
	buffer_gl0_inv
	s_and_saveexec_b32 s4, s2
	s_cbranch_execz .LBB864_2
; %bb.15:
	s_load_b64 s[4:5], s[0:1], 0x68
	v_add_nc_u32_e32 v20, s33, v66
	v_lshlrev_b32_e32 v0, 10, v0
	v_lshlrev_b32_e32 v1, 4, v67
	s_lshl_b32 s0, s36, 6
	s_delay_alu instid0(SALU_CYCLE_1)
	s_mul_i32 s1, s0, s34
	v_add_nc_u32_e32 v2, 2, v20
	s_mul_i32 s6, s1, s9
	v_and_or_b32 v0, 0x3800, v0, v1
	v_mul_lo_u32 v1, v20, s0
	s_ashr_i32 s7, s6, 31
	v_mul_lo_u32 v11, v2, s0
	s_lshl_b64 s[6:7], s[6:7], 1
	v_add_nc_u32_e32 v3, 4, v20
	v_lshl_or_b32 v21, v66, 6, v0
	v_add_nc_u32_e32 v16, 6, v20
	v_ashrrev_i32_e32 v2, 31, v1
	s_delay_alu instid0(VALU_DEP_4)
	v_mul_lo_u32 v13, v3, s0
	s_waitcnt lgkmcnt(0)
	s_add_u32 s1, s4, s6
	s_addc_u32 s2, s5, s7
	s_lshl_b32 s4, s14, 6
	ds_load_b128 v[3:6], v21
	ds_load_b128 v[7:10], v21 offset:128
	s_ashr_i32 s5, s4, 31
	v_ashrrev_i32_e32 v12, 31, v11
	s_lshl_b64 s[4:5], s[4:5], 1
	v_lshlrev_b64 v[14:15], 1, v[1:2]
	s_add_u32 s1, s1, s4
	s_addc_u32 s2, s2, s5
	v_add_co_u32 v1, s1, s1, v65
	s_delay_alu instid0(VALU_DEP_1) | instskip(SKIP_1) | instid1(VALU_DEP_3)
	v_add_co_ci_u32_e64 v2, null, s2, 0, s1
	v_lshlrev_b64 v[11:12], 1, v[11:12]
	v_add_co_u32 v18, vcc_lo, v1, v14
	v_mul_lo_u32 v16, v16, s0
	s_delay_alu instid0(VALU_DEP_4) | instskip(NEXT) | instid1(VALU_DEP_4)
	v_add_co_ci_u32_e32 v19, vcc_lo, v2, v15, vcc_lo
	v_add_co_u32 v11, vcc_lo, v1, v11
	v_ashrrev_i32_e32 v14, 31, v13
	v_add_co_ci_u32_e32 v12, vcc_lo, v2, v12, vcc_lo
	v_add_nc_u32_e32 v15, 8, v20
	v_ashrrev_i32_e32 v17, 31, v16
	s_waitcnt lgkmcnt(1)
	global_store_b128 v[18:19], v[3:6], off
	v_lshlrev_b64 v[3:4], 1, v[13:14]
	s_waitcnt lgkmcnt(0)
	global_store_b128 v[11:12], v[7:10], off
	v_mul_lo_u32 v11, v15, s0
	v_add_nc_u32_e32 v7, 10, v20
	v_lshlrev_b64 v[5:6], 1, v[16:17]
	v_add_co_u32 v23, vcc_lo, v1, v3
	v_add_nc_u32_e32 v3, 12, v20
	s_delay_alu instid0(VALU_DEP_4)
	v_mul_lo_u32 v25, v7, s0
	v_ashrrev_i32_e32 v12, 31, v11
	v_add_co_ci_u32_e32 v24, vcc_lo, v2, v4, vcc_lo
	v_add_co_u32 v27, vcc_lo, v1, v5
	v_mul_lo_u32 v29, v3, s0
	v_add_co_ci_u32_e32 v28, vcc_lo, v2, v6, vcc_lo
	ds_load_b128 v[3:6], v21 offset:256
	ds_load_b128 v[7:10], v21 offset:384
	v_lshlrev_b64 v[31:32], 1, v[11:12]
	ds_load_b128 v[11:14], v21 offset:512
	ds_load_b128 v[15:18], v21 offset:640
	ds_load_b128 v[19:22], v21 offset:768
	v_ashrrev_i32_e32 v26, 31, v25
	v_ashrrev_i32_e32 v30, 31, v29
	v_add_co_u32 v31, vcc_lo, v1, v31
	s_delay_alu instid0(VALU_DEP_3) | instskip(NEXT) | instid1(VALU_DEP_3)
	v_lshlrev_b64 v[25:26], 1, v[25:26]
	v_lshlrev_b64 v[29:30], 1, v[29:30]
	v_add_co_ci_u32_e32 v32, vcc_lo, v2, v32, vcc_lo
	s_delay_alu instid0(VALU_DEP_3) | instskip(NEXT) | instid1(VALU_DEP_4)
	v_add_co_u32 v25, vcc_lo, v1, v25
	v_add_co_ci_u32_e32 v26, vcc_lo, v2, v26, vcc_lo
	s_delay_alu instid0(VALU_DEP_4)
	v_add_co_u32 v29, vcc_lo, v1, v29
	v_add_co_ci_u32_e32 v30, vcc_lo, v2, v30, vcc_lo
	s_waitcnt lgkmcnt(4)
	global_store_b128 v[23:24], v[3:6], off
	s_waitcnt lgkmcnt(3)
	global_store_b128 v[27:28], v[7:10], off
	;; [unrolled: 2-line block ×5, first 2 shown]
	s_and_b32 exec_lo, exec_lo, s3
	s_cbranch_execz .LBB864_2
; %bb.16:
	ds_load_b128 v[3:6], v0 offset:896
	s_add_i32 s1, s33, 14
	s_delay_alu instid0(SALU_CYCLE_1) | instskip(NEXT) | instid1(SALU_CYCLE_1)
	s_mul_i32 s0, s1, s0
	s_ashr_i32 s1, s0, 31
	s_delay_alu instid0(SALU_CYCLE_1) | instskip(NEXT) | instid1(SALU_CYCLE_1)
	s_lshl_b64 s[0:1], s[0:1], 1
	v_add_co_u32 v0, vcc_lo, v1, s0
	v_add_co_ci_u32_e32 v1, vcc_lo, s1, v2, vcc_lo
	s_waitcnt lgkmcnt(0)
	global_store_b128 v[0:1], v[3:6], off
	s_nop 0
	s_sendmsg sendmsg(MSG_DEALLOC_VGPRS)
	s_endpgm
	.section	.rodata,"a",@progbits
	.p2align	6, 0x0
	.amdhsa_kernel _Z39paged_attention_ll4mi_QKV_mfma16_kernelIDF16_hLN4vllm18Fp8KVCacheDataTypeE1EhLi32ELi64ELi256ELb1ELi15EL8MFMAType1EEvPKT_PKT0_S8_ifPKiSA_SA_iPKfiiiPfSD_PS3_PT2_iSC_SC_
		.amdhsa_group_segment_fixed_size 17472
		.amdhsa_private_segment_fixed_size 0
		.amdhsa_kernarg_size 400
		.amdhsa_user_sgpr_count 13
		.amdhsa_user_sgpr_dispatch_ptr 0
		.amdhsa_user_sgpr_queue_ptr 0
		.amdhsa_user_sgpr_kernarg_segment_ptr 1
		.amdhsa_user_sgpr_dispatch_id 0
		.amdhsa_user_sgpr_private_segment_size 0
		.amdhsa_wavefront_size32 1
		.amdhsa_uses_dynamic_stack 0
		.amdhsa_enable_private_segment 0
		.amdhsa_system_sgpr_workgroup_id_x 1
		.amdhsa_system_sgpr_workgroup_id_y 1
		.amdhsa_system_sgpr_workgroup_id_z 1
		.amdhsa_system_sgpr_workgroup_info 0
		.amdhsa_system_vgpr_workitem_id 0
		.amdhsa_next_free_vgpr 146
		.amdhsa_next_free_sgpr 37
		.amdhsa_reserve_vcc 1
		.amdhsa_float_round_mode_32 0
		.amdhsa_float_round_mode_16_64 0
		.amdhsa_float_denorm_mode_32 3
		.amdhsa_float_denorm_mode_16_64 3
		.amdhsa_dx10_clamp 1
		.amdhsa_ieee_mode 1
		.amdhsa_fp16_overflow 0
		.amdhsa_workgroup_processor_mode 1
		.amdhsa_memory_ordered 1
		.amdhsa_forward_progress 0
		.amdhsa_shared_vgpr_count 0
		.amdhsa_exception_fp_ieee_invalid_op 0
		.amdhsa_exception_fp_denorm_src 0
		.amdhsa_exception_fp_ieee_div_zero 0
		.amdhsa_exception_fp_ieee_overflow 0
		.amdhsa_exception_fp_ieee_underflow 0
		.amdhsa_exception_fp_ieee_inexact 0
		.amdhsa_exception_int_div_zero 0
	.end_amdhsa_kernel
	.section	.text._Z39paged_attention_ll4mi_QKV_mfma16_kernelIDF16_hLN4vllm18Fp8KVCacheDataTypeE1EhLi32ELi64ELi256ELb1ELi15EL8MFMAType1EEvPKT_PKT0_S8_ifPKiSA_SA_iPKfiiiPfSD_PS3_PT2_iSC_SC_,"axG",@progbits,_Z39paged_attention_ll4mi_QKV_mfma16_kernelIDF16_hLN4vllm18Fp8KVCacheDataTypeE1EhLi32ELi64ELi256ELb1ELi15EL8MFMAType1EEvPKT_PKT0_S8_ifPKiSA_SA_iPKfiiiPfSD_PS3_PT2_iSC_SC_,comdat
.Lfunc_end864:
	.size	_Z39paged_attention_ll4mi_QKV_mfma16_kernelIDF16_hLN4vllm18Fp8KVCacheDataTypeE1EhLi32ELi64ELi256ELb1ELi15EL8MFMAType1EEvPKT_PKT0_S8_ifPKiSA_SA_iPKfiiiPfSD_PS3_PT2_iSC_SC_, .Lfunc_end864-_Z39paged_attention_ll4mi_QKV_mfma16_kernelIDF16_hLN4vllm18Fp8KVCacheDataTypeE1EhLi32ELi64ELi256ELb1ELi15EL8MFMAType1EEvPKT_PKT0_S8_ifPKiSA_SA_iPKfiiiPfSD_PS3_PT2_iSC_SC_
                                        ; -- End function
	.section	.AMDGPU.csdata,"",@progbits
; Kernel info:
; codeLenInByte = 6748
; NumSgprs: 39
; NumVgprs: 146
; ScratchSize: 0
; MemoryBound: 0
; FloatMode: 240
; IeeeMode: 1
; LDSByteSize: 17472 bytes/workgroup (compile time only)
; SGPRBlocks: 4
; VGPRBlocks: 18
; NumSGPRsForWavesPerEU: 39
; NumVGPRsForWavesPerEU: 146
; Occupancy: 9
; WaveLimiterHint : 1
; COMPUTE_PGM_RSRC2:SCRATCH_EN: 0
; COMPUTE_PGM_RSRC2:USER_SGPR: 13
; COMPUTE_PGM_RSRC2:TRAP_HANDLER: 0
; COMPUTE_PGM_RSRC2:TGID_X_EN: 1
; COMPUTE_PGM_RSRC2:TGID_Y_EN: 1
; COMPUTE_PGM_RSRC2:TGID_Z_EN: 1
; COMPUTE_PGM_RSRC2:TIDIG_COMP_CNT: 0
	.section	.text._Z39paged_attention_ll4mi_QKV_mfma16_kernelIDF16_hLN4vllm18Fp8KVCacheDataTypeE1EhLi32ELi64ELi256ELb1ELi16EL8MFMAType1EEvPKT_PKT0_S8_ifPKiSA_SA_iPKfiiiPfSD_PS3_PT2_iSC_SC_,"axG",@progbits,_Z39paged_attention_ll4mi_QKV_mfma16_kernelIDF16_hLN4vllm18Fp8KVCacheDataTypeE1EhLi32ELi64ELi256ELb1ELi16EL8MFMAType1EEvPKT_PKT0_S8_ifPKiSA_SA_iPKfiiiPfSD_PS3_PT2_iSC_SC_,comdat
	.protected	_Z39paged_attention_ll4mi_QKV_mfma16_kernelIDF16_hLN4vllm18Fp8KVCacheDataTypeE1EhLi32ELi64ELi256ELb1ELi16EL8MFMAType1EEvPKT_PKT0_S8_ifPKiSA_SA_iPKfiiiPfSD_PS3_PT2_iSC_SC_ ; -- Begin function _Z39paged_attention_ll4mi_QKV_mfma16_kernelIDF16_hLN4vllm18Fp8KVCacheDataTypeE1EhLi32ELi64ELi256ELb1ELi16EL8MFMAType1EEvPKT_PKT0_S8_ifPKiSA_SA_iPKfiiiPfSD_PS3_PT2_iSC_SC_
	.globl	_Z39paged_attention_ll4mi_QKV_mfma16_kernelIDF16_hLN4vllm18Fp8KVCacheDataTypeE1EhLi32ELi64ELi256ELb1ELi16EL8MFMAType1EEvPKT_PKT0_S8_ifPKiSA_SA_iPKfiiiPfSD_PS3_PT2_iSC_SC_
	.p2align	8
	.type	_Z39paged_attention_ll4mi_QKV_mfma16_kernelIDF16_hLN4vllm18Fp8KVCacheDataTypeE1EhLi32ELi64ELi256ELb1ELi16EL8MFMAType1EEvPKT_PKT0_S8_ifPKiSA_SA_iPKfiiiPfSD_PS3_PT2_iSC_SC_,@function
_Z39paged_attention_ll4mi_QKV_mfma16_kernelIDF16_hLN4vllm18Fp8KVCacheDataTypeE1EhLi32ELi64ELi256ELb1ELi16EL8MFMAType1EEvPKT_PKT0_S8_ifPKiSA_SA_iPKfiiiPfSD_PS3_PT2_iSC_SC_: ; @_Z39paged_attention_ll4mi_QKV_mfma16_kernelIDF16_hLN4vllm18Fp8KVCacheDataTypeE1EhLi32ELi64ELi256ELb1ELi16EL8MFMAType1EEvPKT_PKT0_S8_ifPKiSA_SA_iPKfiiiPfSD_PS3_PT2_iSC_SC_
; %bb.0:
	s_load_b64 s[2:3], s[0:1], 0x30
	s_mov_b32 s34, s13
	s_waitcnt lgkmcnt(0)
	s_cmp_lg_u64 s[2:3], 0
	s_cselect_b32 s8, -1, 0
	s_ashr_i32 s35, s13, 31
	s_cmp_eq_u64 s[2:3], 0
	s_cbranch_scc1 .LBB865_3
; %bb.1:
	s_lshl_b64 s[4:5], s[34:35], 2
	s_delay_alu instid0(SALU_CYCLE_1) | instskip(SKIP_4) | instid1(SALU_CYCLE_1)
	s_add_u32 s4, s2, s4
	s_addc_u32 s5, s3, s5
	s_load_b64 s[4:5], s[4:5], 0x0
	s_waitcnt lgkmcnt(0)
	s_sub_i32 s4, s5, s4
	s_cmp_eq_u32 s4, 1
	s_cselect_b32 s4, -1, 0
	s_delay_alu instid0(SALU_CYCLE_1)
	s_and_not1_b32 vcc_lo, exec_lo, s4
	s_cbranch_vccz .LBB865_4
.LBB865_2:
	s_endpgm
.LBB865_3:
.LBB865_4:
	s_load_b64 s[4:5], s[0:1], 0x28
	s_lshl_b64 s[6:7], s[34:35], 2
	s_waitcnt lgkmcnt(0)
	s_add_u32 s4, s4, s6
	s_addc_u32 s5, s5, s7
	s_lshl_b32 s12, s14, 8
	s_load_b32 s24, s[4:5], 0x0
	s_waitcnt lgkmcnt(0)
	s_cmp_ge_i32 s12, s24
	s_cbranch_scc1 .LBB865_2
; %bb.5:
	s_clause 0x1
	s_load_b128 s[20:23], s[0:1], 0x8
	s_load_b64 s[4:5], s[0:1], 0x20
	s_and_not1_b32 vcc_lo, exec_lo, s8
	s_cbranch_vccnz .LBB865_7
; %bb.6:
	s_add_u32 s2, s2, s6
	s_addc_u32 s3, s3, s7
	s_load_b32 s3, s[2:3], 0x0
	s_branch .LBB865_8
.LBB865_7:
	s_mov_b32 s3, s34
.LBB865_8:
	s_load_b128 s[16:19], s[0:1], 0x48
	v_and_b32_e32 v70, 15, v0
	v_cmp_gt_u32_e32 vcc_lo, 0x100, v0
	v_lshrrev_b32_e32 v69, 5, v0
	v_and_b32_e32 v71, 31, v0
	v_and_b32_e32 v67, 1, v0
	v_lshlrev_b32_e32 v1, 3, v70
	v_cmp_gt_u32_e64 s2, 8, v70
	v_bfe_u32 v66, v0, 4, 1
	s_lshl_b32 s31, s15, 4
	s_delay_alu instid0(VALU_DEP_3) | instskip(NEXT) | instid1(VALU_DEP_3)
	v_lshlrev_b32_e32 v65, 1, v1
	s_and_b32 s7, vcc_lo, s2
	s_delay_alu instid0(SALU_CYCLE_1)
	s_and_saveexec_b32 s6, s7
	s_cbranch_execz .LBB865_10
; %bb.9:
	v_lshl_or_b32 v5, v69, 1, v66
	s_load_b64 s[8:9], s[0:1], 0x0
	s_waitcnt lgkmcnt(0)
	s_mul_hi_i32 s11, s3, s16
	s_mul_i32 s10, s3, s16
	v_lshlrev_b32_e32 v6, 10, v70
	v_or_b32_e32 v1, s31, v5
	s_lshl_b64 s[10:11], s[10:11], 1
	v_lshlrev_b32_e32 v5, 6, v5
	v_lshlrev_b32_e32 v7, 10, v67
	v_and_b32_e32 v6, 0x3800, v6
	v_lshlrev_b32_e32 v1, 6, v1
	s_delay_alu instid0(VALU_DEP_2) | instskip(NEXT) | instid1(VALU_DEP_2)
	v_or3_b32 v5, v6, v7, v5
	v_ashrrev_i32_e32 v2, 31, v1
	s_delay_alu instid0(VALU_DEP_1) | instskip(SKIP_2) | instid1(VALU_DEP_1)
	v_lshlrev_b64 v[1:2], 1, v[1:2]
	s_add_u32 s3, s8, s10
	s_addc_u32 s7, s9, s11
	v_add_co_u32 v1, vcc_lo, s3, v1
	s_delay_alu instid0(VALU_DEP_2) | instskip(NEXT) | instid1(VALU_DEP_2)
	v_add_co_ci_u32_e32 v2, vcc_lo, s7, v2, vcc_lo
	v_add_co_u32 v1, vcc_lo, v1, v65
	s_delay_alu instid0(VALU_DEP_2)
	v_add_co_ci_u32_e32 v2, vcc_lo, 0, v2, vcc_lo
	global_load_b128 v[1:4], v[1:2], off
	s_waitcnt vmcnt(0)
	ds_store_b128 v5, v[1:4]
.LBB865_10:
	s_or_b32 exec_lo, exec_lo, s6
	v_and_b32_e32 v1, 0xef, v0
	s_waitcnt lgkmcnt(0)
	s_add_i32 s3, s24, 31
	s_clause 0x1
	s_load_b32 s6, s[0:1], 0x38
	s_load_b32 s33, s[0:1], 0x98
	s_ashr_i32 s7, s3, 31
	v_add_nc_u32_e32 v1, s12, v1
	s_lshr_b32 s7, s7, 27
	s_load_b32 s19, s[0:1], 0x1c
	s_add_i32 s3, s3, s7
	s_waitcnt lgkmcnt(0)
	v_ashrrev_i32_e32 v2, 31, v1
	v_or_b32_e32 v3, 16, v1
	s_ashr_i32 s3, s3, 5
	v_cmp_gt_i32_e32 vcc_lo, s24, v1
	s_add_i32 s3, s3, -1
	v_lshrrev_b32_e32 v2, 27, v2
	s_barrier
	buffer_gl0_inv
	s_mul_i32 s27, s15, s18
	v_add_nc_u32_e32 v4, v1, v2
	s_mul_i32 s6, s34, s6
	s_delay_alu instid0(SALU_CYCLE_1) | instskip(NEXT) | instid1(VALU_DEP_1)
	s_ashr_i32 s7, s6, 31
	v_ashrrev_i32_e32 v4, 5, v4
	v_add_nc_u32_e32 v2, v3, v2
	s_lshl_b64 s[6:7], s[6:7], 2
	s_delay_alu instid0(SALU_CYCLE_1) | instskip(NEXT) | instid1(VALU_DEP_2)
	s_add_u32 s26, s4, s6
	v_cndmask_b32_e32 v1, s3, v4, vcc_lo
	s_delay_alu instid0(VALU_DEP_2)
	v_ashrrev_i32_e32 v2, 5, v2
	v_cmp_gt_i32_e32 vcc_lo, s24, v3
	s_addc_u32 s25, s5, s7
	s_ashr_i32 s28, s27, 31
	s_add_u32 s4, s20, s27
	s_addc_u32 s5, s21, s28
	v_cndmask_b32_e32 v3, s3, v2, vcc_lo
	v_ashrrev_i32_e32 v2, 31, v1
	s_lshl_b32 s6, s14, 3
	s_delay_alu instid0(SALU_CYCLE_1) | instskip(NEXT) | instid1(VALU_DEP_2)
	s_ashr_i32 s7, s6, 31
	v_ashrrev_i32_e32 v4, 31, v3
	s_delay_alu instid0(VALU_DEP_2) | instskip(SKIP_1) | instid1(SALU_CYCLE_1)
	v_lshlrev_b64 v[1:2], 2, v[1:2]
	s_lshl_b64 s[6:7], s[6:7], 2
	s_add_u32 s6, s26, s6
	s_delay_alu instid0(VALU_DEP_2) | instskip(SKIP_1) | instid1(VALU_DEP_2)
	v_lshlrev_b64 v[3:4], 2, v[3:4]
	s_addc_u32 s7, s25, s7
	v_add_co_u32 v1, vcc_lo, s26, v1
	v_add_co_ci_u32_e32 v2, vcc_lo, s25, v2, vcc_lo
	s_delay_alu instid0(VALU_DEP_3) | instskip(NEXT) | instid1(VALU_DEP_4)
	v_add_co_u32 v3, vcc_lo, s26, v3
	v_add_co_ci_u32_e32 v4, vcc_lo, s25, v4, vcc_lo
	s_clause 0x1
	global_load_b32 v5, v[1:2], off
	global_load_b32 v6, v[3:4], off
	s_or_b32 s8, s12, 32
	s_delay_alu instid0(SALU_CYCLE_1) | instskip(SKIP_2) | instid1(SALU_CYCLE_1)
	s_ashr_i32 s9, s8, 5
	s_cmp_lt_i32 s8, s24
	s_cselect_b32 s8, s9, s3
	s_ashr_i32 s9, s8, 31
	s_delay_alu instid0(SALU_CYCLE_1) | instskip(NEXT) | instid1(SALU_CYCLE_1)
	s_lshl_b64 s[8:9], s[8:9], 2
	s_add_u32 s8, s26, s8
	s_addc_u32 s9, s25, s9
	s_or_b32 s10, s12, 64
	s_delay_alu instid0(SALU_CYCLE_1) | instskip(SKIP_2) | instid1(SALU_CYCLE_1)
	s_ashr_i32 s11, s10, 5
	s_cmp_lt_i32 s10, s24
	s_cselect_b32 s10, s11, s3
	s_ashr_i32 s11, s10, 31
	s_delay_alu instid0(SALU_CYCLE_1) | instskip(NEXT) | instid1(SALU_CYCLE_1)
	s_lshl_b64 s[10:11], s[10:11], 2
	s_add_u32 s10, s26, s10
	s_addc_u32 s11, s25, s11
	s_or_b32 s13, s12, 0x60
	s_delay_alu instid0(SALU_CYCLE_1) | instskip(SKIP_2) | instid1(SALU_CYCLE_1)
	s_ashr_i32 s15, s13, 5
	s_cmp_lt_i32 s13, s24
	s_cselect_b32 s20, s15, s3
	s_ashr_i32 s21, s20, 31
	s_delay_alu instid0(SALU_CYCLE_1) | instskip(NEXT) | instid1(SALU_CYCLE_1)
	s_lshl_b64 s[20:21], s[20:21], 2
	s_add_u32 s36, s26, s20
	s_addc_u32 s37, s25, s21
	s_or_b32 s13, s12, 0x80
	s_delay_alu instid0(SALU_CYCLE_1) | instskip(SKIP_2) | instid1(SALU_CYCLE_1)
	s_ashr_i32 s15, s13, 5
	s_cmp_lt_i32 s13, s24
	s_cselect_b32 s20, s15, s3
	s_ashr_i32 s21, s20, 31
	s_delay_alu instid0(SALU_CYCLE_1) | instskip(NEXT) | instid1(SALU_CYCLE_1)
	s_lshl_b64 s[20:21], s[20:21], 2
	s_add_u32 s38, s26, s20
	s_addc_u32 s39, s25, s21
	s_or_b32 s13, s12, 0xa0
	s_delay_alu instid0(SALU_CYCLE_1) | instskip(SKIP_2) | instid1(SALU_CYCLE_1)
	s_ashr_i32 s15, s13, 5
	s_cmp_lt_i32 s13, s24
	s_cselect_b32 s20, s15, s3
	s_ashr_i32 s21, s20, 31
	s_delay_alu instid0(SALU_CYCLE_1) | instskip(NEXT) | instid1(SALU_CYCLE_1)
	s_lshl_b64 s[20:21], s[20:21], 2
	s_add_u32 s40, s26, s20
	s_addc_u32 s41, s25, s21
	s_clause 0x5
	s_load_b32 s21, s[6:7], 0x0
	s_load_b32 s13, s[8:9], 0x0
	;; [unrolled: 1-line block ×6, first 2 shown]
	s_or_b32 s6, s12, 0xc0
	s_delay_alu instid0(SALU_CYCLE_1) | instskip(SKIP_2) | instid1(SALU_CYCLE_1)
	s_ashr_i32 s7, s6, 5
	s_cmp_lt_i32 s6, s24
	s_cselect_b32 s10, s7, s3
	s_ashr_i32 s11, s10, 31
	s_delay_alu instid0(SALU_CYCLE_1) | instskip(NEXT) | instid1(SALU_CYCLE_1)
	s_lshl_b64 s[10:11], s[10:11], 2
	s_add_u32 s36, s26, s10
	s_addc_u32 s37, s25, s11
	s_or_b32 s11, s12, 0xe0
	s_delay_alu instid0(SALU_CYCLE_1) | instskip(SKIP_2) | instid1(SALU_CYCLE_1)
	s_ashr_i32 s29, s11, 5
	s_cmp_lt_i32 s11, s24
	s_cselect_b32 s38, s29, s3
	s_ashr_i32 s39, s38, 31
	s_waitcnt vmcnt(1)
	v_mad_i64_i32 v[1:2], null, v5, s17, s[4:5]
	s_waitcnt vmcnt(0)
	v_mad_i64_i32 v[3:4], null, v6, s17, s[4:5]
	s_mov_b32 s4, 0
	s_delay_alu instid0(SALU_CYCLE_1)
	s_mov_b32 s5, s4
	s_mov_b32 s6, s4
	;; [unrolled: 1-line block ×7, first 2 shown]
	v_lshlrev_b32_e32 v5, 4, v70
	v_dual_mov_b32 v103, s11 :: v_dual_mov_b32 v98, s6
	v_dual_mov_b32 v101, s9 :: v_dual_lshlrev_b32 v68, 6, v70
	s_delay_alu instid0(VALU_DEP_3)
	v_add_co_u32 v1, vcc_lo, v1, v5
	v_add_co_ci_u32_e32 v2, vcc_lo, 0, v2, vcc_lo
	v_add_co_u32 v3, vcc_lo, v3, v5
	v_add_co_ci_u32_e32 v4, vcc_lo, 0, v4, vcc_lo
	s_clause 0x7
	global_load_b128 v[57:60], v[1:2], off
	global_load_b128 v[61:64], v[1:2], off offset:512
	global_load_b128 v[72:75], v[3:4], off offset:256
	;; [unrolled: 1-line block ×7, first 2 shown]
	v_dual_mov_b32 v96, s4 :: v_dual_lshlrev_b32 v1, 5, v70
	v_mov_b32_e32 v102, s10
	v_dual_mov_b32 v100, s8 :: v_dual_mov_b32 v99, s7
	v_mov_b32_e32 v97, s5
	s_lshl_b64 s[4:5], s[38:39], 2
	v_lshl_or_b32 v1, v69, 9, v1
	s_add_u32 s4, s26, s4
	s_addc_u32 s5, s25, s5
	s_load_b32 s3, s[36:37], 0x0
	ds_load_b128 v[104:107], v68
	ds_load_b128 v[108:111], v68 offset:1024
	s_load_b32 s4, s[4:5], 0x0
	s_add_u32 s6, s22, s27
	s_addc_u32 s7, s23, s28
	v_add_co_u32 v17, s6, s6, v1
	s_delay_alu instid0(VALU_DEP_1) | instskip(SKIP_1) | instid1(VALU_DEP_1)
	v_add_co_ci_u32_e64 v18, null, s7, 0, s6
	s_waitcnt lgkmcnt(0)
	v_mad_i64_i32 v[1:2], null, s21, s17, v[17:18]
	v_mad_i64_i32 v[3:4], null, s13, s17, v[17:18]
	;; [unrolled: 1-line block ×7, first 2 shown]
	s_clause 0x9
	global_load_b128 v[49:52], v[1:2], off
	global_load_b128 v[53:56], v[1:2], off offset:16
	global_load_b128 v[41:44], v[3:4], off
	global_load_b128 v[45:48], v[3:4], off offset:16
	;; [unrolled: 2-line block ×5, first 2 shown]
	v_mad_i64_i32 v[120:121], null, s4, s17, v[17:18]
	s_clause 0x3
	global_load_b128 v[17:20], v[21:22], off
	global_load_b128 v[21:24], v[21:22], off offset:16
	global_load_b128 v[25:28], v[29:30], off
	global_load_b128 v[29:32], v[29:30], off offset:16
	s_waitcnt vmcnt(20)
	v_wmma_f32_16x16x16_f16 v[112:119], v[57:64], v[104:111], v[96:103]
	s_clause 0x1
	global_load_b128 v[57:60], v[120:121], off
	global_load_b128 v[61:64], v[120:121], off offset:16
	s_waitcnt vmcnt(20)
	v_wmma_f32_16x16x16_f16 v[96:103], v[72:79], v[104:111], v[96:103]
	ds_load_b128 v[72:75], v68 offset:2048
	ds_load_b128 v[76:79], v68 offset:3072
	v_and_b32_e32 v104, 0xe0, v0
	v_mbcnt_lo_u32_b32 v105, -1, 0
	s_waitcnt vmcnt(0) lgkmcnt(0)
	s_barrier
	buffer_gl0_inv
	v_add_nc_u32_e32 v104, s12, v104
	v_xor_b32_e32 v106, 16, v105
	s_delay_alu instid0(VALU_DEP_2) | instskip(NEXT) | instid1(VALU_DEP_2)
	v_or_b32_e32 v104, v104, v66
	v_cmp_gt_i32_e32 vcc_lo, 32, v106
	s_delay_alu instid0(VALU_DEP_2)
	v_or_b32_e32 v107, 4, v104
	v_or_b32_e32 v108, 6, v104
	v_cmp_gt_i32_e64 s3, s24, v104
	v_or_b32_e32 v109, 8, v104
	v_wmma_f32_16x16x16_f16 v[112:119], v[80:87], v[72:79], v[112:119]
	v_cndmask_b32_e32 v105, v105, v106, vcc_lo
	v_or_b32_e32 v106, 2, v104
	v_wmma_f32_16x16x16_f16 v[96:103], v[88:95], v[72:79], v[96:103]
	v_or_b32_e32 v80, 10, v104
	v_dual_mul_f32 v78, s19, v116 :: v_dual_mul_f32 v79, s19, v115
	v_dual_mul_f32 v90, s19, v112 :: v_dual_mul_f32 v89, s19, v113
	s_delay_alu instid0(VALU_DEP_4) | instskip(SKIP_2) | instid1(VALU_DEP_4)
	v_mul_f32_e32 v92, s19, v102
	v_cmp_gt_i32_e32 vcc_lo, s24, v106
	v_dual_mul_f32 v77, s19, v117 :: v_dual_mul_f32 v88, s19, v114
	v_cndmask_b32_e64 v90, 0xff7fffff, v90, s3
	v_cmp_gt_i32_e64 s4, s24, v107
	v_cndmask_b32_e32 v89, 0xff7fffff, v89, vcc_lo
	v_cmp_gt_i32_e64 s5, s24, v108
	v_or_b32_e32 v81, 12, v104
	v_or_b32_e32 v82, 14, v104
	v_cndmask_b32_e64 v88, 0xff7fffff, v88, s4
	v_max3_f32 v89, v90, 0xff7fffff, v89
	v_cndmask_b32_e64 v79, 0xff7fffff, v79, s5
	v_cmp_gt_i32_e64 s6, s24, v109
	v_cmp_gt_i32_e64 s7, s24, v80
	v_or_b32_e32 v83, 16, v104
	v_or_b32_e32 v84, 18, v104
	v_dual_mul_f32 v75, s19, v119 :: v_dual_mul_f32 v76, s19, v118
	v_cndmask_b32_e64 v78, 0xff7fffff, v78, s6
	v_cndmask_b32_e64 v77, 0xff7fffff, v77, s7
	v_max3_f32 v79, v89, v88, v79
	v_cmp_gt_i32_e64 s8, s24, v81
	v_cmp_gt_i32_e64 s9, s24, v82
	v_or_b32_e32 v85, 20, v104
	v_or_b32_e32 v86, 22, v104
	;; [unrolled: 1-line block ×6, first 2 shown]
	v_dual_mul_f32 v95, s19, v99 :: v_dual_mul_f32 v104, s19, v97
	v_mul_f32_e32 v107, s19, v96
	v_cndmask_b32_e64 v76, 0xff7fffff, v76, s8
	v_cndmask_b32_e64 v75, 0xff7fffff, v75, s9
	v_max3_f32 v77, v79, v78, v77
	v_cmp_gt_i32_e64 s10, s24, v83
	v_cmp_gt_i32_e64 s11, s24, v84
	v_dual_mul_f32 v93, s19, v101 :: v_dual_mul_f32 v106, s19, v98
	s_delay_alu instid0(VALU_DEP_4) | instskip(NEXT) | instid1(VALU_DEP_4)
	v_max3_f32 v75, v77, v76, v75
	v_cndmask_b32_e64 v78, 0xff7fffff, v107, s10
	s_delay_alu instid0(VALU_DEP_4) | instskip(SKIP_3) | instid1(VALU_DEP_4)
	v_cndmask_b32_e64 v79, 0xff7fffff, v104, s11
	v_cmp_gt_i32_e64 s12, s24, v85
	v_cmp_gt_i32_e64 s13, s24, v86
	v_dual_mul_f32 v91, s19, v103 :: v_dual_mul_f32 v94, s19, v100
	v_max3_f32 v75, v75, v78, v79
	s_delay_alu instid0(VALU_DEP_4) | instskip(NEXT) | instid1(VALU_DEP_4)
	v_cndmask_b32_e64 v76, 0xff7fffff, v106, s12
	v_cndmask_b32_e64 v77, 0xff7fffff, v95, s13
	v_cmp_gt_i32_e64 s15, s24, v87
	v_cmp_gt_i32_e64 s16, s24, v72
	;; [unrolled: 1-line block ×4, first 2 shown]
	v_max3_f32 v75, v75, v76, v77
	v_cndmask_b32_e64 v78, 0xff7fffff, v94, s15
	v_cndmask_b32_e64 v72, 0xff7fffff, v93, s16
	;; [unrolled: 1-line block ×4, first 2 shown]
	s_delay_alu instid0(VALU_DEP_3) | instskip(SKIP_1) | instid1(VALU_DEP_2)
	v_max3_f32 v72, v75, v78, v72
	v_lshlrev_b32_e32 v75, 2, v105
	v_max3_f32 v72, v72, v73, v74
	ds_bpermute_b32 v73, v75, v72
	s_waitcnt lgkmcnt(0)
	v_max_f32_e32 v73, v73, v73
	s_delay_alu instid0(VALU_DEP_1) | instskip(NEXT) | instid1(VALU_DEP_1)
	v_max_f32_e32 v72, v72, v73
	v_fma_f32 v76, s19, v114, -v72
	v_fma_f32 v73, s19, v112, -v72
	;; [unrolled: 1-line block ×5, first 2 shown]
	v_mul_f32_e32 v76, 0x3fb8aa3b, v76
	v_fma_f32 v82, s19, v118, -v72
	v_mul_f32_e32 v74, 0x3fb8aa3b, v74
	v_fma_f32 v86, s19, v99, -v72
	v_fma_f32 v91, s19, v103, -v72
	v_exp_f32_e32 v76, v76
	v_mul_f32_e32 v82, 0x3fb8aa3b, v82
	v_exp_f32_e32 v74, v74
	v_mul_f32_e32 v88, 0x3fb8aa3b, v86
	v_fma_f32 v89, s19, v101, -v72
	s_delay_alu instid0(VALU_DEP_3) | instskip(NEXT) | instid1(VALU_DEP_2)
	v_exp_f32_e32 v84, v82
	v_exp_f32_e32 v90, v88
	s_delay_alu instid0(VALU_DEP_1)
	v_mul_f32_e32 v89, 0x3fb8aa3b, v89
	v_cndmask_b32_e64 v80, 0, v76, s4
	v_mul_f32_e32 v73, 0x3fb8aa3b, v73
	v_fma_f32 v76, s19, v119, -v72
	v_mul_f32_e32 v77, 0x3fb8aa3b, v77
	v_exp_f32_e32 v89, v89
	s_delay_alu instid0(VALU_DEP_3) | instskip(NEXT) | instid1(VALU_DEP_2)
	v_exp_f32_e32 v73, v73
	v_mul_f32_e32 v76, 0x3fb8aa3b, v76
	s_delay_alu instid0(VALU_DEP_2) | instskip(SKIP_2) | instid1(VALU_DEP_3)
	v_exp_f32_e32 v81, v77
	v_cndmask_b32_e32 v77, 0, v74, vcc_lo
	v_cndmask_b32_e64 v84, 0, v84, s8
	v_exp_f32_e32 v76, v76
	v_cndmask_b32_e64 v89, 0, v89, s16
	s_delay_alu instid0(TRANS32_DEP_3) | instskip(SKIP_2) | instid1(VALU_DEP_2)
	v_cndmask_b32_e64 v78, 0, v73, s3
	v_fma_f32 v73, s19, v117, -v72
	s_mov_b32 s3, exec_lo
	v_dual_add_f32 v74, 0, v78 :: v_dual_mul_f32 v79, 0x3fb8aa3b, v79
	s_delay_alu instid0(VALU_DEP_2) | instskip(NEXT) | instid1(VALU_DEP_2)
	v_mul_f32_e32 v73, 0x3fb8aa3b, v73
	v_add_f32_e32 v74, v74, v77
	s_delay_alu instid0(VALU_DEP_3) | instskip(NEXT) | instid1(VALU_DEP_2)
	v_exp_f32_e32 v83, v79
	v_exp_f32_e32 v73, v73
	v_cndmask_b32_e64 v79, 0, v81, s5
	v_fma_f32 v81, s19, v96, -v72
	s_delay_alu instid0(VALU_DEP_1) | instskip(NEXT) | instid1(VALU_DEP_1)
	v_dual_add_f32 v74, v74, v80 :: v_dual_mul_f32 v85, 0x3fb8aa3b, v81
	v_add_f32_e32 v74, v74, v79
	s_waitcnt_depctr 0xfff
	v_cndmask_b32_e64 v82, 0, v83, s6
	v_fma_f32 v83, s19, v97, -v72
	v_cndmask_b32_e64 v81, 0, v73, s7
	v_exp_f32_e32 v85, v85
	s_delay_alu instid0(VALU_DEP_2) | instskip(NEXT) | instid1(VALU_DEP_1)
	v_mul_f32_e32 v83, 0x3fb8aa3b, v83
	v_exp_f32_e32 v87, v83
	v_cndmask_b32_e64 v83, 0, v76, s9
	v_fma_f32 v76, s19, v100, -v72
	v_add_f32_e32 v73, v74, v82
	v_fma_f32 v74, s19, v98, -v72
	s_delay_alu instid0(TRANS32_DEP_2) | instskip(NEXT) | instid1(VALU_DEP_4)
	v_cndmask_b32_e64 v86, 0, v85, s10
	v_mul_f32_e32 v76, 0x3fb8aa3b, v76
	s_delay_alu instid0(VALU_DEP_3) | instskip(NEXT) | instid1(TRANS32_DEP_1)
	v_mul_f32_e32 v74, 0x3fb8aa3b, v74
	v_cndmask_b32_e64 v85, 0, v87, s11
	v_fma_f32 v87, s19, v102, -v72
	v_add_f32_e32 v73, v73, v81
	v_exp_f32_e32 v76, v76
	v_exp_f32_e32 v74, v74
	s_waitcnt_depctr 0xfff
	v_cndmask_b32_e64 v88, 0, v74, s12
	v_dual_mul_f32 v74, 0x3fb8aa3b, v87 :: v_dual_add_f32 v73, v73, v84
	v_cndmask_b32_e64 v87, 0, v90, s13
	v_cndmask_b32_e64 v90, 0, v76, s15
	v_mul_f32_e32 v76, 0x3fb8aa3b, v91
	s_delay_alu instid0(VALU_DEP_4) | instskip(SKIP_1) | instid1(VALU_DEP_2)
	v_exp_f32_e32 v74, v74
	v_add_f32_e32 v73, v73, v83
	v_exp_f32_e32 v76, v76
	s_delay_alu instid0(VALU_DEP_1) | instskip(SKIP_4) | instid1(VALU_DEP_2)
	v_add_f32_e32 v73, v73, v86
	s_waitcnt_depctr 0xfff
	v_cndmask_b32_e64 v92, 0, v74, s17
	v_add_f32_e32 v73, v73, v85
	v_cndmask_b32_e64 v91, 0, v76, s18
	v_add_f32_e32 v73, v73, v88
	s_delay_alu instid0(VALU_DEP_1) | instskip(NEXT) | instid1(VALU_DEP_1)
	v_add_f32_e32 v73, v73, v87
	v_add_f32_e32 v73, v73, v90
	s_delay_alu instid0(VALU_DEP_1) | instskip(NEXT) | instid1(VALU_DEP_1)
	v_add_f32_e32 v73, v73, v89
	v_add_f32_e32 v73, v73, v92
	s_delay_alu instid0(VALU_DEP_1)
	v_add_f32_e32 v73, v73, v91
	ds_bpermute_b32 v74, v75, v73
	v_cmpx_gt_u32_e32 16, v71
	s_cbranch_execz .LBB865_12
; %bb.11:
	v_mul_u32_u24_e32 v71, 0x44, v69
	s_waitcnt lgkmcnt(0)
	v_add_f32_e32 v73, v73, v74
	s_delay_alu instid0(VALU_DEP_2) | instskip(NEXT) | instid1(VALU_DEP_1)
	v_lshl_add_u32 v71, v70, 2, v71
	v_add_nc_u32_e32 v71, 0x4000, v71
	ds_store_2addr_b32 v71, v72, v73 offset1:136
.LBB865_12:
	s_or_b32 exec_lo, exec_lo, s3
	v_lshlrev_b32_e32 v70, 2, v70
	s_load_b32 s35, s[0:1], 0x94
	s_waitcnt lgkmcnt(0)
	s_barrier
	buffer_gl0_inv
	v_add_nc_u32_e32 v74, 0x4000, v70
	v_cmp_eq_u32_e32 vcc_lo, 1, v69
	v_cmp_eq_u32_e64 s3, 2, v69
	v_cmp_eq_u32_e64 s4, 3, v69
	;; [unrolled: 1-line block ×3, first 2 shown]
	ds_load_2addr_b32 v[70:71], v74 offset1:17
	ds_load_2addr_b32 v[72:73], v74 offset0:34 offset1:51
	ds_load_2addr_b32 v[93:94], v74 offset0:68 offset1:85
	;; [unrolled: 1-line block ×3, first 2 shown]
	v_cmp_eq_u32_e64 s6, 7, v69
	s_waitcnt lgkmcnt(3)
	v_max3_f32 v75, v70, 0xff7fffff, v71
	s_waitcnt lgkmcnt(2)
	s_delay_alu instid0(VALU_DEP_1) | instskip(SKIP_1) | instid1(VALU_DEP_1)
	v_max3_f32 v75, v75, v72, v73
	s_waitcnt lgkmcnt(1)
	v_max3_f32 v75, v75, v93, v94
	s_waitcnt lgkmcnt(0)
	s_delay_alu instid0(VALU_DEP_1) | instskip(NEXT) | instid1(VALU_DEP_1)
	v_max3_f32 v75, v75, v95, v96
	v_sub_f32_e32 v93, v93, v75
	ds_load_2addr_b32 v[97:98], v74 offset0:136 offset1:153
	v_sub_f32_e32 v70, v70, v75
	v_dual_sub_f32 v100, v73, v75 :: v_dual_mul_f32 v103, 0x3fb8aa3b, v93
	s_delay_alu instid0(VALU_DEP_2) | instskip(SKIP_3) | instid1(VALU_DEP_1)
	v_dual_sub_f32 v76, v71, v75 :: v_dual_mul_f32 v99, 0x3fb8aa3b, v70
	ds_load_2addr_b32 v[70:71], v74 offset0:170 offset1:187
	v_mul_f32_e32 v76, 0x3fb8aa3b, v76
	v_exp_f32_e32 v99, v99
	v_exp_f32_e32 v102, v76
	v_mul_f32_e32 v100, 0x3fb8aa3b, v100
	s_waitcnt lgkmcnt(1)
	s_waitcnt_depctr 0xfff
	v_fma_f32 v76, v99, v97, 0
	v_sub_f32_e32 v97, v94, v75
	v_sub_f32_e32 v72, v72, v75
	v_exp_f32_e32 v100, v100
	ds_load_2addr_b32 v[93:94], v74 offset0:238 offset1:255
	v_dual_fmac_f32 v76, v102, v98 :: v_dual_mul_f32 v101, 0x3fb8aa3b, v72
	ds_load_2addr_b32 v[72:73], v74 offset0:204 offset1:221
	v_dual_sub_f32 v74, v95, v75 :: v_dual_mul_f32 v95, 0x3fb8aa3b, v97
	v_exp_f32_e32 v97, v103
	v_exp_f32_e32 v101, v101
	s_waitcnt lgkmcnt(0)
	s_delay_alu instid0(VALU_DEP_1)
	v_mul_f32_e32 v74, 0x3fb8aa3b, v74
	v_exp_f32_e32 v95, v95
	s_barrier
	buffer_gl0_inv
	v_fmac_f32_e32 v76, v101, v70
	v_sub_f32_e32 v70, v96, v75
	v_exp_f32_e32 v96, v74
	s_delay_alu instid0(VALU_DEP_2) | instskip(NEXT) | instid1(VALU_DEP_2)
	v_fmac_f32_e32 v76, v100, v71
	v_mul_f32_e32 v70, 0x3fb8aa3b, v70
	s_delay_alu instid0(VALU_DEP_2) | instskip(NEXT) | instid1(VALU_DEP_2)
	v_dual_cndmask_b32 v71, v99, v102 :: v_dual_fmac_f32 v76, v97, v72
	v_exp_f32_e32 v98, v70
	s_delay_alu instid0(VALU_DEP_1) | instskip(SKIP_2) | instid1(VALU_DEP_1)
	v_fmac_f32_e32 v76, v95, v73
	s_waitcnt_depctr 0xfff
	v_fmac_f32_e32 v76, v96, v93
	v_fmac_f32_e32 v76, v98, v94
	s_delay_alu instid0(VALU_DEP_1) | instskip(NEXT) | instid1(VALU_DEP_1)
	v_add_f32_e32 v93, 0x358637bd, v76
	v_div_scale_f32 v94, null, v93, v93, 1.0
	v_div_scale_f32 v99, vcc_lo, 1.0, v93, 1.0
	s_delay_alu instid0(VALU_DEP_2) | instskip(SKIP_2) | instid1(VALU_DEP_1)
	v_rcp_f32_e32 v103, v94
	s_waitcnt_depctr 0xfff
	v_fma_f32 v70, -v94, v103, 1.0
	v_fmac_f32_e32 v103, v70, v103
	v_cndmask_b32_e64 v70, v71, v101, s3
	v_cmp_eq_u32_e64 s3, 4, v69
	v_lshlrev_b32_e32 v71, 2, v66
	s_delay_alu instid0(VALU_DEP_4) | instskip(NEXT) | instid1(VALU_DEP_4)
	v_mul_f32_e32 v101, v99, v103
	v_cndmask_b32_e64 v72, v70, v100, s4
	v_cmp_eq_u32_e64 s4, 6, v69
	v_lshl_or_b32 v70, v69, 11, v68
	v_or_b32_e32 v74, 1, v71
	v_fma_f32 v73, -v94, v101, v99
	v_cndmask_b32_e64 v72, v72, v97, s3
	v_cmp_eq_u32_e64 s3, 1, v71
	v_lshl_or_b32 v69, v66, 4, v70
	v_cmp_eq_u32_e64 s9, 1, v74
	v_fmac_f32_e32 v101, v73, v103
	v_cndmask_b32_e64 v95, v72, v95, s5
	v_or_b32_e32 v72, 2, v71
	v_or_b32_e32 v73, 3, v71
	v_cmp_eq_u32_e64 s12, 2, v74
	v_fma_f32 v94, -v94, v101, v99
	v_cndmask_b32_e64 v95, v95, v96, s4
	v_cmp_eq_u32_e64 s10, 1, v72
	v_cmp_eq_u32_e64 s11, 1, v73
	;; [unrolled: 1-line block ×3, first 2 shown]
	v_div_fmas_f32 v94, v94, v103, v101
	v_cndmask_b32_e64 v95, v95, v98, s6
	v_cmp_eq_u32_e32 vcc_lo, 2, v71
	v_cmp_eq_u32_e64 s16, 2, v73
	v_cmp_eq_u32_e64 s18, 3, v73
	v_div_fixup_f32 v93, v94, v93, 1.0
	v_cmp_eq_u32_e64 s4, 3, v71
	v_cmp_eq_u32_e64 s13, 3, v74
	;; [unrolled: 1-line block ×4, first 2 shown]
	v_mul_f32_e32 v101, v95, v93
	v_cmp_eq_u32_e64 s5, 4, v71
	v_cmp_eq_u32_e64 s19, 4, v74
	;; [unrolled: 1-line block ×4, first 2 shown]
	v_fma_mixlo_f16 v93, v101, v78, 0
	v_fma_mixlo_f16 v94, v101, v80, 0
	;; [unrolled: 1-line block ×8, first 2 shown]
	v_fma_mixhi_f16 v93, v101, v77, 0
	v_fma_mixhi_f16 v94, v101, v79, 0
	;; [unrolled: 1-line block ×8, first 2 shown]
	ds_store_b128 v69, v[93:96]
	ds_store_b128 v69, v[97:100] offset:1024
	s_waitcnt lgkmcnt(0)
	s_barrier
	buffer_gl0_inv
	ds_load_b128 v[77:80], v70
	ds_load_b128 v[81:84], v70 offset:16
	ds_load_b128 v[85:88], v70 offset:1024
	;; [unrolled: 1-line block ×3, first 2 shown]
	v_cmp_eq_u32_e64 s6, 5, v71
	v_cmp_eq_u32_e64 s20, 5, v74
	;; [unrolled: 1-line block ×11, first 2 shown]
	s_waitcnt lgkmcnt(3)
	v_lshrrev_b32_e32 v93, 16, v77
	s_waitcnt lgkmcnt(2)
	v_lshrrev_b32_e32 v97, 16, v81
	;; [unrolled: 2-line block ×4, first 2 shown]
	v_lshrrev_b32_e32 v94, 16, v78
	v_cndmask_b32_e64 v109, v77, v93, s3
	v_cndmask_b32_e64 v110, v81, v97, s3
	;; [unrolled: 1-line block ×8, first 2 shown]
	v_lshrrev_b32_e32 v98, 16, v82
	v_cndmask_b32_e64 v93, v85, v101, s3
	v_cndmask_b32_e64 v97, v89, v105, s3
	;; [unrolled: 1-line block ×5, first 2 shown]
	v_cndmask_b32_e32 v101, v109, v78, vcc_lo
	v_cndmask_b32_e64 v109, v111, v78, s12
	v_cndmask_b32_e64 v111, v113, v78, s15
	;; [unrolled: 1-line block ×4, first 2 shown]
	v_lshrrev_b32_e32 v102, 16, v86
	v_lshrrev_b32_e32 v106, 16, v90
	v_cndmask_b32_e64 v116, v89, v105, s9
	v_cndmask_b32_e64 v118, v89, v105, s10
	;; [unrolled: 1-line block ×3, first 2 shown]
	v_cndmask_b32_e32 v105, v110, v82, vcc_lo
	v_cndmask_b32_e64 v110, v112, v82, s12
	v_cndmask_b32_e64 v112, v114, v82, s15
	v_cndmask_b32_e32 v81, v93, v86, vcc_lo
	v_cndmask_b32_e32 v82, v97, v90, vcc_lo
	v_cndmask_b32_e64 v93, v115, v86, s12
	v_cndmask_b32_e64 v77, v77, v94, s18
	;; [unrolled: 1-line block ×3, first 2 shown]
	v_lshrrev_b32_e32 v95, 16, v79
	v_lshrrev_b32_e32 v99, 16, v83
	v_cndmask_b32_e64 v97, v117, v86, s15
	v_cndmask_b32_e64 v85, v85, v86, s16
	;; [unrolled: 1-line block ×14, first 2 shown]
	v_lshrrev_b32_e32 v103, 16, v87
	v_cndmask_b32_e64 v89, v89, v79, s5
	v_cndmask_b32_e64 v94, v101, v83, s5
	;; [unrolled: 1-line block ×11, first 2 shown]
	v_lshrrev_b32_e32 v96, 16, v80
	v_lshrrev_b32_e32 v100, 16, v84
	v_cndmask_b32_e64 v83, v89, v95, s6
	v_cndmask_b32_e64 v89, v94, v99, s6
	;; [unrolled: 1-line block ×9, first 2 shown]
	v_lshrrev_b32_e32 v104, 16, v88
	v_cndmask_b32_e64 v79, v79, v103, s6
	v_cndmask_b32_e64 v83, v83, v80, s7
	;; [unrolled: 1-line block ×19, first 2 shown]
	v_perm_b32 v80, v78, v77, 0x5040100
	v_cndmask_b32_e64 v77, v116, v90, s12
	v_cndmask_b32_e64 v95, v79, v104, s8
	v_perm_b32 v79, v93, v89, 0x5040100
	v_perm_b32 v78, v94, v84, 0x5040100
	v_cndmask_b32_e64 v84, v97, v102, s17
	v_cndmask_b32_e64 v85, v85, v102, s18
	;; [unrolled: 1-line block ×5, first 2 shown]
	v_lshrrev_b32_e32 v107, 16, v91
	v_cndmask_b32_e64 v84, v84, v87, s21
	v_cndmask_b32_e64 v85, v85, v87, s22
	;; [unrolled: 1-line block ×11, first 2 shown]
	v_lshrrev_b32_e32 v108, 16, v92
	v_cndmask_b32_e64 v81, v81, v92, s7
	v_cndmask_b32_e64 v84, v84, v88, s26
	;; [unrolled: 1-line block ×12, first 2 shown]
	v_perm_b32 v77, v83, v82, 0x5040100
	v_perm_b32 v84, v85, v84, 0x5040100
	;; [unrolled: 1-line block ×5, first 2 shown]
	s_lshl_b32 s8, s33, 4
	s_mov_b32 s3, exec_lo
	ds_store_b128 v69, v[77:80]
	ds_store_b128 v69, v[81:84] offset:1024
	v_cmpx_gt_u32_e32 16, v0
	s_cbranch_execz .LBB865_14
; %bb.13:
	v_or_b32_e32 v77, s31, v0
	s_load_b128 s[4:7], s[0:1], 0x58
	s_delay_alu instid0(VALU_DEP_1) | instskip(NEXT) | instid1(VALU_DEP_1)
	v_mad_u64_u32 v[78:79], null, s8, s34, v[77:78]
	v_mad_u64_u32 v[79:80], null, v78, s35, s[14:15]
	s_delay_alu instid0(VALU_DEP_1) | instskip(NEXT) | instid1(VALU_DEP_1)
	v_ashrrev_i32_e32 v80, 31, v79
	v_lshlrev_b64 v[77:78], 2, v[79:80]
	s_waitcnt lgkmcnt(0)
	s_delay_alu instid0(VALU_DEP_1) | instskip(NEXT) | instid1(VALU_DEP_2)
	v_add_co_u32 v79, vcc_lo, s6, v77
	v_add_co_ci_u32_e32 v80, vcc_lo, s7, v78, vcc_lo
	v_add_co_u32 v77, vcc_lo, s4, v77
	v_add_co_ci_u32_e32 v78, vcc_lo, s5, v78, vcc_lo
	global_store_b32 v[79:80], v75, off
	global_store_b32 v[77:78], v76, off
.LBB865_14:
	s_or_b32 exec_lo, exec_lo, s3
	s_waitcnt lgkmcnt(0)
	s_waitcnt_vscnt null, 0x0
	s_barrier
	buffer_gl0_inv
	ds_load_b128 v[83:86], v68
	ds_load_b128 v[87:90], v68 offset:16
	ds_load_b128 v[95:98], v68 offset:2064
	;; [unrolled: 1-line block ×5, first 2 shown]
	v_cmp_eq_u32_e32 vcc_lo, 1, v71
	v_mov_b32_e32 v75, 0
	ds_load_b128 v[111:114], v68 offset:6160
	ds_load_b128 v[107:110], v68 offset:6144
	ds_load_b128 v[119:122], v68 offset:8208
	ds_load_b128 v[115:118], v68 offset:8192
	v_cmp_eq_u32_e64 s4, 1, v72
	v_cmp_eq_u32_e64 s3, 1, v74
	;; [unrolled: 1-line block ×3, first 2 shown]
	v_mov_b32_e32 v76, v75
	v_mov_b32_e32 v77, v75
	;; [unrolled: 1-line block ×7, first 2 shown]
	v_cmp_eq_u32_e64 s6, 3, v74
	v_cmp_eq_u32_e64 s7, 7, v74
	s_waitcnt lgkmcnt(8)
	s_delay_alu instid0(VALU_DEP_3)
	v_wmma_f32_16x16x16_f16 v[75:82], v[49:56], v[83:90], v[75:82]
	ds_load_b128 v[53:56], v68 offset:10256
	ds_load_b128 v[49:52], v68 offset:10240
	s_waitcnt lgkmcnt(8)
	v_wmma_f32_16x16x16_f16 v[75:82], v[41:48], v[91:98], v[75:82]
	ds_load_b128 v[45:48], v68 offset:12304
	ds_load_b128 v[41:44], v68 offset:12288
	s_waitcnt lgkmcnt(8)
	;; [unrolled: 4-line block ×3, first 2 shown]
	s_barrier
	buffer_gl0_inv
	v_wmma_f32_16x16x16_f16 v[75:82], v[1:8], v[107:114], v[75:82]
	s_delay_alu instid0(VALU_DEP_1) | instskip(NEXT) | instid1(VALU_DEP_1)
	v_wmma_f32_16x16x16_f16 v[75:82], v[9:16], v[115:122], v[75:82]
	v_wmma_f32_16x16x16_f16 v[75:82], v[17:24], v[49:56], v[75:82]
	s_delay_alu instid0(VALU_DEP_1) | instskip(NEXT) | instid1(VALU_DEP_1)
	v_wmma_f32_16x16x16_f16 v[75:82], v[25:32], v[41:48], v[75:82]
	v_wmma_f32_16x16x16_f16 v[75:82], v[57:64], v[33:40], v[75:82]
	s_delay_alu instid0(VALU_DEP_1) | instskip(NEXT) | instid1(VALU_DEP_2)
	v_cvt_f16_f32_e32 v1, v75
	v_cvt_f16_f32_e32 v2, v76
	s_delay_alu instid0(VALU_DEP_3) | instskip(NEXT) | instid1(VALU_DEP_4)
	v_cvt_f16_f32_e32 v3, v77
	v_cvt_f16_f32_e32 v4, v78
	;; [unrolled: 1-line block ×6, first 2 shown]
	v_pack_b32_f16 v1, v1, v2
	v_pack_b32_f16 v2, v3, v4
	;; [unrolled: 1-line block ×3, first 2 shown]
	s_delay_alu instid0(VALU_DEP_4)
	v_pack_b32_f16 v4, v7, v8
	ds_store_b128 v69, v[1:4]
	s_waitcnt lgkmcnt(0)
	s_barrier
	buffer_gl0_inv
	ds_load_b128 v[1:4], v70
	ds_load_b128 v[5:8], v70 offset:16
	s_waitcnt lgkmcnt(1)
	v_lshrrev_b32_e32 v9, 16, v1
	s_waitcnt lgkmcnt(0)
	v_lshrrev_b32_e32 v13, 16, v5
	v_lshrrev_b32_e32 v10, 16, v2
	;; [unrolled: 1-line block ×4, first 2 shown]
	v_cndmask_b32_e32 v17, v1, v9, vcc_lo
	v_cndmask_b32_e32 v18, v5, v13, vcc_lo
	v_cndmask_b32_e64 v21, v1, v9, s4
	v_cmp_eq_u32_e32 vcc_lo, 1, v73
	v_cndmask_b32_e64 v22, v5, v13, s4
	v_cmp_eq_u32_e64 s4, 2, v71
	v_cndmask_b32_e64 v19, v1, v9, s3
	v_cndmask_b32_e64 v20, v5, v13, s3
	v_cndmask_b32_e32 v1, v1, v9, vcc_lo
	v_cmp_eq_u32_e64 s3, 2, v73
	v_cndmask_b32_e32 v5, v5, v13, vcc_lo
	v_cndmask_b32_e64 v9, v17, v2, s4
	v_cmp_eq_u32_e32 vcc_lo, 3, v71
	v_cndmask_b32_e64 v13, v18, v6, s4
	v_cmp_eq_u32_e64 s4, 2, v72
	v_cndmask_b32_e64 v17, v19, v2, s5
	v_cndmask_b32_e64 v18, v20, v6, s5
	v_cmp_eq_u32_e64 s5, 3, v72
	v_cndmask_b32_e64 v1, v1, v2, s3
	v_cndmask_b32_e64 v19, v21, v2, s4
	;; [unrolled: 1-line block ×4, first 2 shown]
	v_cndmask_b32_e32 v5, v9, v10, vcc_lo
	v_cndmask_b32_e32 v6, v13, v14, vcc_lo
	v_cmp_eq_u32_e32 vcc_lo, 3, v73
	v_cndmask_b32_e64 v9, v17, v10, s6
	v_cndmask_b32_e64 v13, v18, v14, s6
	;; [unrolled: 1-line block ×3, first 2 shown]
	v_cmp_eq_u32_e64 s4, 4, v71
	v_cndmask_b32_e32 v1, v1, v10, vcc_lo
	v_cndmask_b32_e32 v2, v2, v14, vcc_lo
	v_cmp_eq_u32_e32 vcc_lo, 4, v74
	v_lshrrev_b32_e32 v15, 16, v7
	v_lshrrev_b32_e32 v16, 16, v8
	v_cndmask_b32_e64 v17, v19, v10, s5
	v_cmp_eq_u32_e64 s3, 4, v73
	v_cndmask_b32_e64 v5, v5, v3, s4
	v_cndmask_b32_e64 v6, v6, v7, s4
	v_cndmask_b32_e32 v9, v9, v3, vcc_lo
	v_cmp_eq_u32_e64 s4, 5, v74
	v_cndmask_b32_e32 v10, v13, v7, vcc_lo
	v_cmp_eq_u32_e32 vcc_lo, 4, v72
	v_cmp_eq_u32_e64 s5, 5, v71
	v_cndmask_b32_e64 v2, v2, v7, s3
	v_cndmask_b32_e64 v9, v9, v11, s4
	;; [unrolled: 1-line block ×3, first 2 shown]
	v_cndmask_b32_e32 v13, v17, v3, vcc_lo
	v_cmp_eq_u32_e64 s4, 5, v72
	v_cndmask_b32_e32 v14, v18, v7, vcc_lo
	v_cndmask_b32_e64 v1, v1, v3, s3
	v_cmp_eq_u32_e32 vcc_lo, 5, v73
	v_lshrrev_b32_e32 v12, 16, v4
	v_cndmask_b32_e64 v13, v13, v11, s4
	v_cndmask_b32_e64 v3, v14, v15, s4
	v_cmp_eq_u32_e64 s4, 6, v73
	v_cndmask_b32_e32 v1, v1, v11, vcc_lo
	v_cndmask_b32_e64 v5, v5, v11, s5
	v_cmp_eq_u32_e64 s6, 6, v71
	v_cndmask_b32_e64 v6, v6, v15, s5
	v_cmp_eq_u32_e64 s5, 6, v74
	v_cmp_eq_u32_e64 s3, 6, v72
	v_cndmask_b32_e64 v1, v1, v4, s4
	v_cndmask_b32_e32 v2, v2, v15, vcc_lo
	v_cmp_eq_u32_e32 vcc_lo, 7, v73
	v_cndmask_b32_e64 v5, v5, v4, s6
	v_cndmask_b32_e64 v9, v9, v4, s5
	;; [unrolled: 1-line block ×3, first 2 shown]
	v_cmp_eq_u32_e64 s6, 7, v71
	v_cndmask_b32_e32 v1, v1, v12, vcc_lo
	v_cndmask_b32_e64 v7, v13, v4, s3
	v_cndmask_b32_e64 v3, v3, v8, s3
	;; [unrolled: 1-line block ×3, first 2 shown]
	v_cmp_eq_u32_e64 s3, 7, v72
	v_cndmask_b32_e64 v4, v10, v8, s5
	v_cndmask_b32_e64 v5, v5, v12, s6
	;; [unrolled: 1-line block ×3, first 2 shown]
	v_cndmask_b32_e32 v2, v2, v16, vcc_lo
	v_cndmask_b32_e64 v7, v7, v12, s3
	v_cndmask_b32_e64 v3, v3, v16, s3
	;; [unrolled: 1-line block ×4, first 2 shown]
	v_cmp_gt_u32_e32 vcc_lo, 32, v0
	v_perm_b32 v4, v2, v1, 0x5040100
	v_perm_b32 v3, v3, v7, 0x5040100
	;; [unrolled: 1-line block ×4, first 2 shown]
	s_and_b32 s2, vcc_lo, s2
	ds_store_b128 v69, v[1:4]
	s_waitcnt lgkmcnt(0)
	s_barrier
	buffer_gl0_inv
	s_and_saveexec_b32 s3, s2
	s_cbranch_execz .LBB865_2
; %bb.15:
	s_load_b64 s[0:1], s[0:1], 0x68
	v_lshlrev_b32_e32 v0, 10, v0
	s_lshl_b32 s4, s35, 6
	v_or_b32_e32 v23, s31, v66
	s_mul_i32 s2, s4, s34
	v_lshlrev_b32_e32 v1, 4, v67
	v_lshlrev_b32_e32 v2, 6, v66
	s_mul_i32 s2, s2, s8
	v_and_b32_e32 v0, 0x3800, v0
	v_mul_lo_u32 v8, v23, s4
	s_ashr_i32 s3, s2, 31
	v_or_b32_e32 v3, 2, v23
	s_lshl_b64 s[2:3], s[2:3], 1
	v_or3_b32 v27, v0, v1, v2
	v_or_b32_e32 v11, 4, v23
	v_or_b32_e32 v18, 6, v23
	v_mul_lo_u32 v10, v3, s4
	v_ashrrev_i32_e32 v9, 31, v8
	ds_load_b128 v[0:3], v27
	ds_load_b128 v[4:7], v27 offset:128
	v_mul_lo_u32 v12, v11, s4
	s_waitcnt lgkmcnt(0)
	s_add_u32 s2, s0, s2
	s_addc_u32 s3, s1, s3
	s_lshl_b32 s0, s14, 6
	v_lshlrev_b64 v[8:9], 1, v[8:9]
	s_ashr_i32 s1, s0, 31
	v_ashrrev_i32_e32 v11, 31, v10
	s_lshl_b64 s[0:1], s[0:1], 1
	v_ashrrev_i32_e32 v13, 31, v12
	s_add_u32 s0, s2, s0
	s_addc_u32 s1, s3, s1
	v_add_co_u32 v30, s0, s0, v65
	s_delay_alu instid0(VALU_DEP_1) | instskip(SKIP_1) | instid1(VALU_DEP_3)
	v_add_co_ci_u32_e64 v31, null, s1, 0, s0
	v_lshlrev_b64 v[16:17], 1, v[10:11]
	v_add_co_u32 v14, vcc_lo, v30, v8
	s_delay_alu instid0(VALU_DEP_3)
	v_add_co_ci_u32_e32 v15, vcc_lo, v31, v9, vcc_lo
	ds_load_b128 v[8:11], v27 offset:256
	v_mul_lo_u32 v18, v18, s4
	v_or_b32_e32 v19, 8, v23
	v_add_co_u32 v16, vcc_lo, v30, v16
	global_store_b128 v[14:15], v[0:3], off
	v_lshlrev_b64 v[0:1], 1, v[12:13]
	v_add_co_ci_u32_e32 v17, vcc_lo, v31, v17, vcc_lo
	v_mul_lo_u32 v12, v19, s4
	v_ashrrev_i32_e32 v19, 31, v18
	v_or_b32_e32 v14, 10, v23
	global_store_b128 v[16:17], v[4:7], off
	v_add_co_u32 v4, vcc_lo, v30, v0
	v_add_co_ci_u32_e32 v5, vcc_lo, v31, v1, vcc_lo
	ds_load_b128 v[0:3], v27 offset:384
	v_ashrrev_i32_e32 v13, 31, v12
	v_lshlrev_b64 v[6:7], 1, v[18:19]
	v_mul_lo_u32 v14, v14, s4
	s_waitcnt lgkmcnt(1)
	global_store_b128 v[4:5], v[8:11], off
	v_or_b32_e32 v8, 12, v23
	v_lshlrev_b64 v[4:5], 1, v[12:13]
	v_add_co_u32 v20, vcc_lo, v30, v6
	v_or_b32_e32 v6, 14, v23
	v_ashrrev_i32_e32 v15, 31, v14
	v_mul_lo_u32 v22, v8, s4
	v_add_co_ci_u32_e32 v21, vcc_lo, v31, v7, vcc_lo
	v_add_co_u32 v24, vcc_lo, v30, v4
	v_mul_lo_u32 v26, v6, s4
	v_add_co_ci_u32_e32 v25, vcc_lo, v31, v5, vcc_lo
	v_lshlrev_b64 v[28:29], 1, v[14:15]
	ds_load_b128 v[4:7], v27 offset:512
	ds_load_b128 v[8:11], v27 offset:640
	ds_load_b128 v[12:15], v27 offset:768
	ds_load_b128 v[16:19], v27 offset:896
	v_ashrrev_i32_e32 v23, 31, v22
	v_ashrrev_i32_e32 v27, 31, v26
	v_add_co_u32 v28, vcc_lo, v30, v28
	s_delay_alu instid0(VALU_DEP_3) | instskip(SKIP_1) | instid1(VALU_DEP_4)
	v_lshlrev_b64 v[22:23], 1, v[22:23]
	v_add_co_ci_u32_e32 v29, vcc_lo, v31, v29, vcc_lo
	v_lshlrev_b64 v[26:27], 1, v[26:27]
	s_delay_alu instid0(VALU_DEP_3) | instskip(NEXT) | instid1(VALU_DEP_4)
	v_add_co_u32 v22, vcc_lo, v30, v22
	v_add_co_ci_u32_e32 v23, vcc_lo, v31, v23, vcc_lo
	s_delay_alu instid0(VALU_DEP_3) | instskip(NEXT) | instid1(VALU_DEP_4)
	v_add_co_u32 v26, vcc_lo, v30, v26
	v_add_co_ci_u32_e32 v27, vcc_lo, v31, v27, vcc_lo
	s_waitcnt lgkmcnt(4)
	global_store_b128 v[20:21], v[0:3], off
	s_waitcnt lgkmcnt(3)
	global_store_b128 v[24:25], v[4:7], off
	;; [unrolled: 2-line block ×5, first 2 shown]
	s_nop 0
	s_sendmsg sendmsg(MSG_DEALLOC_VGPRS)
	s_endpgm
	.section	.rodata,"a",@progbits
	.p2align	6, 0x0
	.amdhsa_kernel _Z39paged_attention_ll4mi_QKV_mfma16_kernelIDF16_hLN4vllm18Fp8KVCacheDataTypeE1EhLi32ELi64ELi256ELb1ELi16EL8MFMAType1EEvPKT_PKT0_S8_ifPKiSA_SA_iPKfiiiPfSD_PS3_PT2_iSC_SC_
		.amdhsa_group_segment_fixed_size 17472
		.amdhsa_private_segment_fixed_size 0
		.amdhsa_kernarg_size 400
		.amdhsa_user_sgpr_count 13
		.amdhsa_user_sgpr_dispatch_ptr 0
		.amdhsa_user_sgpr_queue_ptr 0
		.amdhsa_user_sgpr_kernarg_segment_ptr 1
		.amdhsa_user_sgpr_dispatch_id 0
		.amdhsa_user_sgpr_private_segment_size 0
		.amdhsa_wavefront_size32 1
		.amdhsa_uses_dynamic_stack 0
		.amdhsa_enable_private_segment 0
		.amdhsa_system_sgpr_workgroup_id_x 1
		.amdhsa_system_sgpr_workgroup_id_y 1
		.amdhsa_system_sgpr_workgroup_id_z 1
		.amdhsa_system_sgpr_workgroup_info 0
		.amdhsa_system_vgpr_workitem_id 0
		.amdhsa_next_free_vgpr 123
		.amdhsa_next_free_sgpr 42
		.amdhsa_reserve_vcc 1
		.amdhsa_float_round_mode_32 0
		.amdhsa_float_round_mode_16_64 0
		.amdhsa_float_denorm_mode_32 3
		.amdhsa_float_denorm_mode_16_64 3
		.amdhsa_dx10_clamp 1
		.amdhsa_ieee_mode 1
		.amdhsa_fp16_overflow 0
		.amdhsa_workgroup_processor_mode 1
		.amdhsa_memory_ordered 1
		.amdhsa_forward_progress 0
		.amdhsa_shared_vgpr_count 0
		.amdhsa_exception_fp_ieee_invalid_op 0
		.amdhsa_exception_fp_denorm_src 0
		.amdhsa_exception_fp_ieee_div_zero 0
		.amdhsa_exception_fp_ieee_overflow 0
		.amdhsa_exception_fp_ieee_underflow 0
		.amdhsa_exception_fp_ieee_inexact 0
		.amdhsa_exception_int_div_zero 0
	.end_amdhsa_kernel
	.section	.text._Z39paged_attention_ll4mi_QKV_mfma16_kernelIDF16_hLN4vllm18Fp8KVCacheDataTypeE1EhLi32ELi64ELi256ELb1ELi16EL8MFMAType1EEvPKT_PKT0_S8_ifPKiSA_SA_iPKfiiiPfSD_PS3_PT2_iSC_SC_,"axG",@progbits,_Z39paged_attention_ll4mi_QKV_mfma16_kernelIDF16_hLN4vllm18Fp8KVCacheDataTypeE1EhLi32ELi64ELi256ELb1ELi16EL8MFMAType1EEvPKT_PKT0_S8_ifPKiSA_SA_iPKfiiiPfSD_PS3_PT2_iSC_SC_,comdat
.Lfunc_end865:
	.size	_Z39paged_attention_ll4mi_QKV_mfma16_kernelIDF16_hLN4vllm18Fp8KVCacheDataTypeE1EhLi32ELi64ELi256ELb1ELi16EL8MFMAType1EEvPKT_PKT0_S8_ifPKiSA_SA_iPKfiiiPfSD_PS3_PT2_iSC_SC_, .Lfunc_end865-_Z39paged_attention_ll4mi_QKV_mfma16_kernelIDF16_hLN4vllm18Fp8KVCacheDataTypeE1EhLi32ELi64ELi256ELb1ELi16EL8MFMAType1EEvPKT_PKT0_S8_ifPKiSA_SA_iPKfiiiPfSD_PS3_PT2_iSC_SC_
                                        ; -- End function
	.section	.AMDGPU.csdata,"",@progbits
; Kernel info:
; codeLenInByte = 6736
; NumSgprs: 44
; NumVgprs: 123
; ScratchSize: 0
; MemoryBound: 0
; FloatMode: 240
; IeeeMode: 1
; LDSByteSize: 17472 bytes/workgroup (compile time only)
; SGPRBlocks: 5
; VGPRBlocks: 15
; NumSGPRsForWavesPerEU: 44
; NumVGPRsForWavesPerEU: 123
; Occupancy: 10
; WaveLimiterHint : 1
; COMPUTE_PGM_RSRC2:SCRATCH_EN: 0
; COMPUTE_PGM_RSRC2:USER_SGPR: 13
; COMPUTE_PGM_RSRC2:TRAP_HANDLER: 0
; COMPUTE_PGM_RSRC2:TGID_X_EN: 1
; COMPUTE_PGM_RSRC2:TGID_Y_EN: 1
; COMPUTE_PGM_RSRC2:TGID_Z_EN: 1
; COMPUTE_PGM_RSRC2:TIDIG_COMP_CNT: 0
	.section	.text._Z39paged_attention_ll4mi_QKV_mfma16_kernelIDF16_hLN4vllm18Fp8KVCacheDataTypeE1EhLi32ELi64ELi256ELb1ELi1EL8MFMAType1EEvPKT_PKT0_S8_ifPKiSA_SA_iPKfiiiPfSD_PS3_PT2_iSC_SC_,"axG",@progbits,_Z39paged_attention_ll4mi_QKV_mfma16_kernelIDF16_hLN4vllm18Fp8KVCacheDataTypeE1EhLi32ELi64ELi256ELb1ELi1EL8MFMAType1EEvPKT_PKT0_S8_ifPKiSA_SA_iPKfiiiPfSD_PS3_PT2_iSC_SC_,comdat
	.protected	_Z39paged_attention_ll4mi_QKV_mfma16_kernelIDF16_hLN4vllm18Fp8KVCacheDataTypeE1EhLi32ELi64ELi256ELb1ELi1EL8MFMAType1EEvPKT_PKT0_S8_ifPKiSA_SA_iPKfiiiPfSD_PS3_PT2_iSC_SC_ ; -- Begin function _Z39paged_attention_ll4mi_QKV_mfma16_kernelIDF16_hLN4vllm18Fp8KVCacheDataTypeE1EhLi32ELi64ELi256ELb1ELi1EL8MFMAType1EEvPKT_PKT0_S8_ifPKiSA_SA_iPKfiiiPfSD_PS3_PT2_iSC_SC_
	.globl	_Z39paged_attention_ll4mi_QKV_mfma16_kernelIDF16_hLN4vllm18Fp8KVCacheDataTypeE1EhLi32ELi64ELi256ELb1ELi1EL8MFMAType1EEvPKT_PKT0_S8_ifPKiSA_SA_iPKfiiiPfSD_PS3_PT2_iSC_SC_
	.p2align	8
	.type	_Z39paged_attention_ll4mi_QKV_mfma16_kernelIDF16_hLN4vllm18Fp8KVCacheDataTypeE1EhLi32ELi64ELi256ELb1ELi1EL8MFMAType1EEvPKT_PKT0_S8_ifPKiSA_SA_iPKfiiiPfSD_PS3_PT2_iSC_SC_,@function
_Z39paged_attention_ll4mi_QKV_mfma16_kernelIDF16_hLN4vllm18Fp8KVCacheDataTypeE1EhLi32ELi64ELi256ELb1ELi1EL8MFMAType1EEvPKT_PKT0_S8_ifPKiSA_SA_iPKfiiiPfSD_PS3_PT2_iSC_SC_: ; @_Z39paged_attention_ll4mi_QKV_mfma16_kernelIDF16_hLN4vllm18Fp8KVCacheDataTypeE1EhLi32ELi64ELi256ELb1ELi1EL8MFMAType1EEvPKT_PKT0_S8_ifPKiSA_SA_iPKfiiiPfSD_PS3_PT2_iSC_SC_
; %bb.0:
	s_load_b64 s[4:5], s[0:1], 0x30
	s_mov_b32 s34, s13
	s_waitcnt lgkmcnt(0)
	s_cmp_lg_u64 s[4:5], 0
	s_cselect_b32 s6, -1, 0
	s_ashr_i32 s35, s13, 31
	s_cmp_eq_u64 s[4:5], 0
	s_cbranch_scc1 .LBB866_3
; %bb.1:
	s_lshl_b64 s[2:3], s[34:35], 2
	s_delay_alu instid0(SALU_CYCLE_1) | instskip(SKIP_4) | instid1(SALU_CYCLE_1)
	s_add_u32 s2, s4, s2
	s_addc_u32 s3, s5, s3
	s_load_b64 s[2:3], s[2:3], 0x0
	s_waitcnt lgkmcnt(0)
	s_sub_i32 s2, s3, s2
	s_cmp_eq_u32 s2, 1
	s_cselect_b32 s2, -1, 0
	s_delay_alu instid0(SALU_CYCLE_1)
	s_and_not1_b32 vcc_lo, exec_lo, s2
	s_cbranch_vccz .LBB866_4
.LBB866_2:
	s_endpgm
.LBB866_3:
.LBB866_4:
	s_load_b64 s[2:3], s[0:1], 0x28
	s_lshl_b64 s[8:9], s[34:35], 2
	s_waitcnt lgkmcnt(0)
	s_add_u32 s2, s2, s8
	s_addc_u32 s3, s3, s9
	s_lshl_b32 s12, s14, 8
	s_load_b32 s33, s[2:3], 0x0
	s_waitcnt lgkmcnt(0)
	s_cmp_ge_i32 s12, s33
	s_cbranch_scc1 .LBB866_2
; %bb.5:
	s_clause 0x1
	s_load_b128 s[28:31], s[0:1], 0x8
	s_load_b64 s[2:3], s[0:1], 0x20
	s_and_not1_b32 vcc_lo, exec_lo, s6
	s_mov_b64 s[6:7], s[34:35]
	s_cbranch_vccnz .LBB866_7
; %bb.6:
	s_add_u32 s4, s4, s8
	s_addc_u32 s5, s5, s9
	s_load_b32 s6, s[4:5], 0x0
.LBB866_7:
	s_load_b128 s[24:27], s[0:1], 0x48
	v_and_b32_e32 v73, 15, v0
	s_mov_b32 s13, exec_lo
                                        ; implicit-def: $sgpr16
                                        ; implicit-def: $sgpr4
	s_delay_alu instid0(VALU_DEP_1)
	v_cmpx_eq_u32_e32 0, v73
	s_cbranch_execz .LBB866_9
; %bb.8:
	s_load_b64 s[4:5], s[0:1], 0x0
	s_waitcnt lgkmcnt(0)
	s_mul_hi_i32 s7, s6, s24
	s_mul_i32 s6, s6, s24
	s_delay_alu instid0(SALU_CYCLE_1) | instskip(NEXT) | instid1(SALU_CYCLE_1)
	s_lshl_b64 s[6:7], s[6:7], 1
	s_add_u32 s6, s4, s6
	s_addc_u32 s7, s5, s7
	s_lshl_b32 s4, s15, 6
	s_delay_alu instid0(SALU_CYCLE_1) | instskip(NEXT) | instid1(SALU_CYCLE_1)
	s_ashr_i32 s5, s4, 31
	s_lshl_b64 s[4:5], s[4:5], 1
	s_delay_alu instid0(SALU_CYCLE_1)
	s_add_u32 s4, s6, s4
	s_addc_u32 s5, s7, s5
	s_clause 0x1
	s_load_b256 s[16:23], s[4:5], 0x0
	s_load_b256 s[4:11], s[4:5], 0x40
.LBB866_9:
	s_or_b32 exec_lo, exec_lo, s13
	v_and_b32_e32 v1, 0xef, v0
	s_waitcnt lgkmcnt(0)
	v_dual_mov_b32 v115, s23 :: v_dual_mov_b32 v108, s16
	v_mov_b32_e32 v114, s22
	s_add_i32 s13, s33, 31
	v_dual_mov_b32 v112, s20 :: v_dual_add_nc_u32 v1, s12, v1
	s_ashr_i32 s24, s13, 31
	s_load_b32 s27, s[0:1], 0x38
	s_lshr_b32 s24, s24, 27
	s_delay_alu instid0(VALU_DEP_1)
	v_ashrrev_i32_e32 v2, 31, v1
	v_or_b32_e32 v3, 16, v1
	s_add_i32 s13, s13, s24
	s_load_b32 s24, s[0:1], 0x1c
	s_ashr_i32 s13, s13, 5
	v_lshrrev_b32_e32 v2, 27, v2
	s_add_i32 s13, s13, -1
	v_cmp_gt_i32_e32 vcc_lo, s33, v1
	v_lshrrev_b32_e32 v66, 5, v0
	s_delay_alu instid0(VALU_DEP_3)
	v_dual_mov_b32 v111, s19 :: v_dual_add_nc_u32 v4, v1, v2
	v_mov_b32_e32 v113, s21
	v_mov_b32_e32 v109, s17
	v_and_b32_e32 v65, 0xe0, v0
	v_mbcnt_lo_u32_b32 v67, -1, 0
	v_ashrrev_i32_e32 v4, 5, v4
	v_add_nc_u32_e32 v2, v3, v2
	v_bfe_u32 v75, v0, 4, 1
	s_waitcnt lgkmcnt(0)
	s_mul_i32 s36, s34, s27
	v_xor_b32_e32 v68, 16, v67
	v_cndmask_b32_e32 v1, s13, v4, vcc_lo
	v_ashrrev_i32_e32 v2, 5, v2
	v_cmp_gt_i32_e32 vcc_lo, s33, v3
	s_ashr_i32 s37, s36, 31
	v_lshlrev_b32_e32 v74, 4, v73
	s_lshl_b64 s[36:37], s[36:37], 2
	v_mov_b32_e32 v110, s18
	v_cndmask_b32_e32 v3, s13, v2, vcc_lo
	v_ashrrev_i32_e32 v2, 31, v1
	s_add_u32 s36, s2, s36
	s_addc_u32 s35, s3, s37
	s_mul_i32 s37, s15, s26
	v_ashrrev_i32_e32 v4, 31, v3
	v_lshlrev_b64 v[1:2], 2, v[1:2]
	s_ashr_i32 s38, s37, 31
	s_add_u32 s40, s28, s37
	s_addc_u32 s41, s29, s38
	v_lshlrev_b64 v[3:4], 2, v[3:4]
	s_lshl_b32 s2, s14, 3
	v_add_co_u32 v1, vcc_lo, s36, v1
	v_add_co_ci_u32_e32 v2, vcc_lo, s35, v2, vcc_lo
	s_delay_alu instid0(VALU_DEP_3) | instskip(NEXT) | instid1(VALU_DEP_4)
	v_add_co_u32 v3, vcc_lo, s36, v3
	v_add_co_ci_u32_e32 v4, vcc_lo, s35, v4, vcc_lo
	s_clause 0x1
	global_load_b32 v5, v[1:2], off
	global_load_b32 v6, v[3:4], off
	s_ashr_i32 s3, s2, 31
	s_delay_alu instid0(SALU_CYCLE_1) | instskip(NEXT) | instid1(SALU_CYCLE_1)
	s_lshl_b64 s[2:3], s[2:3], 2
	s_add_u32 s2, s36, s2
	s_addc_u32 s3, s35, s3
	s_or_b32 s26, s12, 32
	s_delay_alu instid0(SALU_CYCLE_1) | instskip(SKIP_2) | instid1(SALU_CYCLE_1)
	s_ashr_i32 s27, s26, 5
	s_cmp_lt_i32 s26, s33
	s_cselect_b32 s26, s27, s13
	s_ashr_i32 s27, s26, 31
	s_delay_alu instid0(SALU_CYCLE_1) | instskip(NEXT) | instid1(SALU_CYCLE_1)
	s_lshl_b64 s[26:27], s[26:27], 2
	s_add_u32 s26, s36, s26
	s_addc_u32 s27, s35, s27
	s_or_b32 s28, s12, 64
	s_delay_alu instid0(SALU_CYCLE_1) | instskip(SKIP_2) | instid1(SALU_CYCLE_1)
	s_ashr_i32 s29, s28, 5
	s_cmp_lt_i32 s28, s33
	s_cselect_b32 s28, s29, s13
	;; [unrolled: 10-line block ×5, first 2 shown]
	s_ashr_i32 s29, s28, 31
	s_delay_alu instid0(SALU_CYCLE_1) | instskip(NEXT) | instid1(SALU_CYCLE_1)
	s_lshl_b64 s[28:29], s[28:29], 2
	s_add_u32 s48, s36, s28
	s_addc_u32 s49, s35, s29
	s_clause 0x5
	s_load_b32 s29, s[2:3], 0x0
	s_load_b32 s2, s[26:27], 0x0
	;; [unrolled: 1-line block ×6, first 2 shown]
	s_or_b32 s39, s12, 0xc0
	s_waitcnt vmcnt(1)
	v_mad_i64_i32 v[1:2], null, v5, s25, s[40:41]
	s_waitcnt vmcnt(0)
	v_mad_i64_i32 v[3:4], null, v6, s25, s[40:41]
	s_ashr_i32 s40, s39, 5
	s_cmp_lt_i32 s39, s33
	s_cselect_b32 s40, s40, s13
	s_delay_alu instid0(VALU_DEP_2) | instskip(NEXT) | instid1(VALU_DEP_3)
	v_add_co_u32 v1, vcc_lo, v1, v74
	v_add_co_ci_u32_e32 v2, vcc_lo, 0, v2, vcc_lo
	s_delay_alu instid0(VALU_DEP_3) | instskip(NEXT) | instid1(VALU_DEP_4)
	v_add_co_u32 v3, vcc_lo, v3, v74
	v_add_co_ci_u32_e32 v4, vcc_lo, 0, v4, vcc_lo
	s_clause 0x7
	global_load_b128 v[76:79], v[1:2], off
	global_load_b128 v[80:83], v[1:2], off offset:512
	global_load_b128 v[84:87], v[3:4], off offset:256
	;; [unrolled: 1-line block ×7, first 2 shown]
	s_ashr_i32 s41, s40, 31
	v_lshlrev_b32_e32 v1, 5, v73
	s_lshl_b64 s[40:41], s[40:41], 2
	v_cmp_gt_i32_e32 vcc_lo, 32, v68
	s_add_u32 s40, s36, s40
	s_addc_u32 s41, s35, s41
	s_or_b32 s39, s12, 0xe0
	v_lshl_or_b32 v1, v66, 9, v1
	s_ashr_i32 s42, s39, 5
	s_cmp_lt_i32 s39, s33
	s_cselect_b32 s42, s42, s13
	s_load_b32 s13, s[40:41], 0x0
	s_ashr_i32 s43, s42, 31
	s_delay_alu instid0(SALU_CYCLE_1) | instskip(NEXT) | instid1(SALU_CYCLE_1)
	s_lshl_b64 s[42:43], s[42:43], 2
	s_add_u32 s40, s36, s42
	s_addc_u32 s41, s35, s43
	s_add_u32 s30, s30, s37
	s_addc_u32 s31, s31, s38
	v_add_co_u32 v1, s30, s30, v1
	s_delay_alu instid0(VALU_DEP_1) | instskip(SKIP_3) | instid1(VALU_DEP_1)
	v_add_co_ci_u32_e64 v2, null, s31, 0, s30
	s_load_b32 s30, s[40:41], 0x0
	s_mov_b32 s36, 0
	s_waitcnt lgkmcnt(0)
	v_mad_i64_i32 v[3:4], null, s29, s25, v[1:2]
	v_mad_i64_i32 v[9:10], null, s26, s25, v[1:2]
	;; [unrolled: 1-line block ×7, first 2 shown]
	s_clause 0x5
	global_load_b128 v[49:52], v[3:4], off
	global_load_b128 v[53:56], v[3:4], off offset:16
	global_load_b128 v[41:44], v[5:6], off
	global_load_b128 v[45:48], v[5:6], off offset:16
	;; [unrolled: 2-line block ×3, first 2 shown]
	s_mov_b32 s43, s36
	s_mov_b32 s37, s36
	v_mad_i64_i32 v[61:62], null, s30, s25, v[1:2]
	s_clause 0x9
	global_load_b128 v[1:4], v[9:10], off
	global_load_b128 v[5:8], v[9:10], off offset:16
	global_load_b128 v[9:12], v[13:14], off
	global_load_b128 v[13:16], v[13:14], off offset:16
	;; [unrolled: 2-line block ×5, first 2 shown]
	s_mov_b32 s38, s36
	s_mov_b32 s39, s36
	;; [unrolled: 1-line block ×5, first 2 shown]
	v_mov_b32_e32 v123, s11
	v_mov_b32_e32 v131, s43
	v_dual_mov_b32 v121, s9 :: v_dual_mov_b32 v128, s40
	v_dual_mov_b32 v119, s7 :: v_dual_mov_b32 v126, s38
	;; [unrolled: 1-line block ×4, first 2 shown]
	v_mov_b32_e32 v127, s39
	v_dual_mov_b32 v125, s37 :: v_dual_mov_b32 v122, s10
	v_mov_b32_e32 v120, s8
	v_dual_mov_b32 v118, s6 :: v_dual_add_nc_u32 v65, s12, v65
	v_mov_b32_e32 v116, s4
	s_waitcnt vmcnt(0)
	s_barrier
	buffer_gl0_inv
	v_or_b32_e32 v65, v65, v75
	s_delay_alu instid0(VALU_DEP_1)
	v_or_b32_e32 v69, 4, v65
	v_or_b32_e32 v70, 6, v65
	;; [unrolled: 1-line block ×8, first 2 shown]
	v_cmp_gt_i32_e64 s3, s33, v69
	v_cmp_gt_i32_e64 s4, s33, v70
	;; [unrolled: 1-line block ×8, first 2 shown]
	v_wmma_f32_16x16x16_f16 v[132:139], v[76:83], v[108:115], v[124:131]
	v_or_b32_e32 v76, 20, v65
	v_or_b32_e32 v77, 22, v65
	;; [unrolled: 1-line block ×3, first 2 shown]
	s_delay_alu instid0(VALU_DEP_4)
	v_wmma_f32_16x16x16_f16 v[132:139], v[92:99], v[116:123], v[132:139]
	v_or_b32_e32 v79, 26, v65
	v_or_b32_e32 v80, 28, v65
	;; [unrolled: 1-line block ×3, first 2 shown]
	v_cmp_gt_i32_e64 s11, s33, v76
	v_mul_f32_e32 v82, s24, v139
	v_wmma_f32_16x16x16_f16 v[124:131], v[84:91], v[108:115], v[124:131]
	v_mul_f32_e32 v88, s24, v133
	v_mul_f32_e32 v86, s24, v135
	;; [unrolled: 1-line block ×3, first 2 shown]
	v_cmp_gt_i32_e64 s12, s33, v77
	v_wmma_f32_16x16x16_f16 v[124:131], v[100:107], v[116:123], v[124:131]
	v_cndmask_b32_e32 v67, v67, v68, vcc_lo
	v_or_b32_e32 v68, 2, v65
	v_cmp_gt_i32_e32 vcc_lo, s33, v65
	s_delay_alu instid0(VALU_DEP_4) | instskip(SKIP_1) | instid1(VALU_DEP_4)
	v_dual_mul_f32 v87, s24, v134 :: v_dual_mul_f32 v96, s24, v125
	v_dual_mul_f32 v90, s24, v131 :: v_dual_mul_f32 v89, s24, v132
	v_cmp_gt_i32_e64 s2, s33, v68
	v_dual_mul_f32 v85, s24, v136 :: v_dual_mul_f32 v94, s24, v127
	s_delay_alu instid0(VALU_DEP_4) | instskip(NEXT) | instid1(VALU_DEP_4)
	v_cndmask_b32_e64 v69, 0xff7fffff, v87, s3
	v_cndmask_b32_e32 v65, 0xff7fffff, v89, vcc_lo
	s_delay_alu instid0(VALU_DEP_4) | instskip(SKIP_3) | instid1(VALU_DEP_4)
	v_cndmask_b32_e64 v68, 0xff7fffff, v88, s2
	v_cndmask_b32_e64 v70, 0xff7fffff, v86, s4
	v_dual_mul_f32 v83, s24, v138 :: v_dual_mul_f32 v92, s24, v129
	v_cndmask_b32_e64 v71, 0xff7fffff, v84, s6
	v_max3_f32 v65, v65, 0xff7fffff, v68
	v_cndmask_b32_e64 v68, 0xff7fffff, v85, s5
	v_mul_f32_e32 v97, s24, v124
	v_mul_f32_e32 v95, s24, v126
	;; [unrolled: 1-line block ×3, first 2 shown]
	v_max3_f32 v65, v65, v69, v70
	v_cndmask_b32_e64 v69, 0xff7fffff, v83, s7
	v_cndmask_b32_e64 v70, 0xff7fffff, v82, s8
	v_cmp_gt_i32_e64 s13, s33, v78
	v_cmp_gt_i32_e64 s16, s33, v79
	v_max3_f32 v65, v65, v68, v71
	v_cndmask_b32_e64 v68, 0xff7fffff, v97, s9
	v_cndmask_b32_e64 v71, 0xff7fffff, v96, s10
	v_mul_f32_e32 v91, s24, v130
	v_cmp_gt_i32_e64 s17, s33, v80
	v_max3_f32 v65, v65, v69, v70
	v_cndmask_b32_e64 v69, 0xff7fffff, v95, s11
	v_cndmask_b32_e64 v70, 0xff7fffff, v94, s12
	v_cmp_gt_i32_e64 s18, s33, v81
	s_delay_alu instid0(VALU_DEP_4) | instskip(SKIP_2) | instid1(VALU_DEP_3)
	v_max3_f32 v65, v65, v68, v71
	v_cndmask_b32_e64 v68, 0xff7fffff, v93, s13
	v_cndmask_b32_e64 v71, 0xff7fffff, v92, s16
	v_max3_f32 v65, v65, v69, v70
	v_cndmask_b32_e64 v69, 0xff7fffff, v91, s17
	v_cndmask_b32_e64 v70, 0xff7fffff, v90, s18
	s_delay_alu instid0(VALU_DEP_3) | instskip(SKIP_1) | instid1(VALU_DEP_2)
	v_max3_f32 v65, v65, v68, v71
	v_lshlrev_b32_e32 v68, 2, v67
	v_max3_f32 v65, v65, v69, v70
	ds_bpermute_b32 v67, v68, v65
	s_waitcnt lgkmcnt(0)
	v_max_f32_e32 v67, v67, v67
	s_delay_alu instid0(VALU_DEP_1) | instskip(NEXT) | instid1(VALU_DEP_1)
	v_max_f32_e32 v65, v65, v67
	v_fma_f32 v80, s24, v124, -v65
	s_delay_alu instid0(VALU_DEP_1)
	v_mul_f32_e32 v80, 0x3fb8aa3b, v80
	v_fma_f32 v78, s24, v138, -v65
	v_fma_f32 v71, s24, v135, -v65
	;; [unrolled: 1-line block ×5, first 2 shown]
	v_mul_f32_e32 v78, 0x3fb8aa3b, v78
	v_exp_f32_e32 v80, v80
	v_mul_f32_e32 v67, 0x3fb8aa3b, v67
	v_fma_f32 v72, s24, v136, -v65
	v_mul_f32_e32 v70, 0x3fb8aa3b, v70
	v_exp_f32_e32 v78, v78
	s_delay_alu instid0(VALU_DEP_3) | instskip(NEXT) | instid1(VALU_DEP_2)
	v_exp_f32_e32 v67, v67
	v_mul_f32_e32 v72, 0x3fb8aa3b, v72
	s_delay_alu instid0(VALU_DEP_2) | instskip(SKIP_2) | instid1(VALU_DEP_3)
	v_exp_f32_e32 v76, v70
	v_cndmask_b32_e64 v88, 0, v80, s9
	v_fma_f32 v80, s24, v129, -v65
	v_exp_f32_e32 v79, v72
	v_cndmask_b32_e64 v86, 0, v78, s7
	v_fma_f32 v78, s24, v127, -v65
	v_mul_f32_e32 v71, 0x3fb8aa3b, v71
	s_delay_alu instid0(TRANS32_DEP_3) | instskip(SKIP_1) | instid1(TRANS32_DEP_2)
	v_cndmask_b32_e32 v70, 0, v67, vcc_lo
	v_fma_f32 v67, s24, v137, -v65
	v_cndmask_b32_e64 v72, 0, v76, s3
	v_mul_f32_e32 v78, 0x3fb8aa3b, v78
	v_exp_f32_e32 v71, v71
	v_dual_add_f32 v77, 0, v70 :: v_dual_mul_f32 v80, 0x3fb8aa3b, v80
	v_mul_f32_e32 v67, 0x3fb8aa3b, v67
	v_cndmask_b32_e64 v84, 0, v79, s5
	v_fma_f32 v79, s24, v125, -v65
	v_exp_f32_e32 v78, v78
	s_mov_b32 s3, exec_lo
	v_exp_f32_e32 v67, v67
	s_delay_alu instid0(TRANS32_DEP_3) | instskip(SKIP_2) | instid1(VALU_DEP_2)
	v_cndmask_b32_e64 v71, 0, v71, s4
	v_mul_f32_e32 v69, 0x3fb8aa3b, v69
	v_mul_f32_e32 v79, 0x3fb8aa3b, v79
	v_exp_f32_e32 v69, v69
	s_delay_alu instid0(VALU_DEP_1) | instskip(NEXT) | instid1(TRANS32_DEP_3)
	v_exp_f32_e32 v79, v79
	v_cndmask_b32_e64 v83, 0, v67, s6
	v_cndmask_b32_e64 v89, 0, v78, s12
	v_fma_f32 v78, s24, v131, -v65
	s_waitcnt_depctr 0xfff
	v_cndmask_b32_e64 v69, 0, v69, s2
	v_cndmask_b32_e64 v87, 0, v79, s10
	v_fma_f32 v79, s24, v130, -v65
	s_delay_alu instid0(VALU_DEP_3) | instskip(SKIP_1) | instid1(VALU_DEP_1)
	v_add_f32_e32 v76, v77, v69
	v_fma_f32 v77, s24, v139, -v65
	v_dual_add_f32 v76, v76, v72 :: v_dual_mul_f32 v77, 0x3fb8aa3b, v77
	s_delay_alu instid0(VALU_DEP_1) | instskip(NEXT) | instid1(VALU_DEP_1)
	v_add_f32_e32 v76, v76, v71
	v_add_f32_e32 v67, v76, v84
	v_fma_f32 v76, s24, v126, -v65
	s_delay_alu instid0(VALU_DEP_1) | instskip(NEXT) | instid1(VALU_DEP_1)
	v_dual_add_f32 v67, v67, v83 :: v_dual_mul_f32 v76, 0x3fb8aa3b, v76
	v_add_f32_e32 v67, v67, v86
	s_delay_alu instid0(VALU_DEP_2)
	v_exp_f32_e32 v76, v76
	s_waitcnt_depctr 0xfff
	v_cndmask_b32_e64 v90, 0, v76, s11
	v_mul_f32_e32 v76, 0x3fb8aa3b, v79
	v_exp_f32_e32 v77, v77
	v_exp_f32_e32 v79, v80
	s_delay_alu instid0(VALU_DEP_1) | instskip(NEXT) | instid1(TRANS32_DEP_3)
	v_exp_f32_e32 v76, v76
	v_cndmask_b32_e64 v85, 0, v77, s8
	v_fma_f32 v77, s24, v128, -v65
	s_waitcnt_depctr 0xfff
	v_cndmask_b32_e64 v91, 0, v79, s16
	v_cndmask_b32_e64 v94, 0, v76, s17
	v_add_f32_e32 v67, v67, v85
	v_dual_mul_f32 v77, 0x3fb8aa3b, v77 :: v_dual_and_b32 v76, 31, v0
	s_delay_alu instid0(VALU_DEP_2) | instskip(NEXT) | instid1(VALU_DEP_2)
	v_add_f32_e32 v67, v67, v88
	v_exp_f32_e32 v77, v77
	s_delay_alu instid0(VALU_DEP_2) | instskip(NEXT) | instid1(VALU_DEP_2)
	v_cmp_lt_u32_e64 s2, 15, v76
	v_add_f32_e32 v67, v67, v87
	s_delay_alu instid0(VALU_DEP_1) | instskip(SKIP_4) | instid1(VALU_DEP_2)
	v_add_f32_e32 v67, v67, v90
	s_waitcnt_depctr 0xfff
	v_cndmask_b32_e64 v92, 0, v77, s13
	v_mul_f32_e32 v77, 0x3fb8aa3b, v78
	v_add_f32_e32 v67, v67, v89
	v_exp_f32_e32 v77, v77
	s_delay_alu instid0(VALU_DEP_1) | instskip(NEXT) | instid1(VALU_DEP_1)
	v_add_f32_e32 v67, v67, v92
	v_add_f32_e32 v67, v67, v91
	s_waitcnt_depctr 0xfff
	v_cndmask_b32_e64 v93, 0, v77, s18
	v_add_f32_e32 v67, v67, v94
	s_delay_alu instid0(VALU_DEP_1)
	v_add_f32_e32 v67, v67, v93
	ds_bpermute_b32 v68, v68, v67
	v_cmpx_gt_u32_e32 16, v76
	s_cbranch_execz .LBB866_11
; %bb.10:
	v_mul_u32_u24_e32 v76, 0x44, v66
	s_waitcnt lgkmcnt(0)
	v_add_f32_e32 v67, v67, v68
	s_delay_alu instid0(VALU_DEP_2) | instskip(NEXT) | instid1(VALU_DEP_1)
	v_lshl_add_u32 v76, v73, 2, v76
	v_add_nc_u32_e32 v68, 0x4000, v76
	ds_store_2addr_b32 v68, v65, v67 offset1:136
.LBB866_11:
	s_or_b32 exec_lo, exec_lo, s3
	v_lshlrev_b32_e32 v65, 2, v73
	s_load_b64 s[36:37], s[0:1], 0x94
	s_waitcnt lgkmcnt(0)
	s_barrier
	buffer_gl0_inv
	v_add_nc_u32_e32 v65, 0x4000, v65
	v_cmp_eq_u32_e32 vcc_lo, 1, v66
	v_cmp_eq_u32_e64 s3, 2, v66
	v_cmp_eq_u32_e64 s5, 3, v66
	v_cmp_eq_u32_e64 s6, 4, v66
	ds_load_2addr_b32 v[76:77], v65 offset1:17
	ds_load_2addr_b32 v[78:79], v65 offset0:34 offset1:51
	ds_load_2addr_b32 v[80:81], v65 offset0:68 offset1:85
	;; [unrolled: 1-line block ×3, first 2 shown]
	v_cmp_eq_u32_e64 s7, 5, v66
	v_cmp_eq_u32_e64 s4, 6, v66
	s_waitcnt lgkmcnt(3)
	v_max3_f32 v67, v76, 0xff7fffff, v77
	s_waitcnt lgkmcnt(2)
	s_delay_alu instid0(VALU_DEP_1) | instskip(SKIP_1) | instid1(VALU_DEP_1)
	v_max3_f32 v67, v67, v78, v79
	s_waitcnt lgkmcnt(1)
	v_max3_f32 v67, v67, v80, v81
	s_waitcnt lgkmcnt(0)
	s_delay_alu instid0(VALU_DEP_1) | instskip(NEXT) | instid1(VALU_DEP_1)
	v_max3_f32 v67, v67, v95, v96
	v_sub_f32_e32 v82, v77, v67
	ds_load_2addr_b32 v[97:98], v65 offset0:136 offset1:153
	v_sub_f32_e32 v68, v76, v67
	ds_load_2addr_b32 v[76:77], v65 offset0:170 offset1:187
	v_sub_f32_e32 v80, v80, v67
	v_mul_f32_e32 v82, 0x3fb8aa3b, v82
	v_mul_f32_e32 v68, 0x3fb8aa3b, v68
	s_delay_alu instid0(VALU_DEP_3) | instskip(NEXT) | instid1(VALU_DEP_2)
	v_mul_f32_e32 v102, 0x3fb8aa3b, v80
	v_exp_f32_e32 v99, v68
	v_sub_f32_e32 v68, v79, v67
	s_delay_alu instid0(VALU_DEP_1) | instskip(NEXT) | instid1(VALU_DEP_1)
	v_dual_sub_f32 v78, v78, v67 :: v_dual_mul_f32 v101, 0x3fb8aa3b, v68
	v_mul_f32_e32 v100, 0x3fb8aa3b, v78
	ds_load_2addr_b32 v[78:79], v65 offset0:204 offset1:221
	s_waitcnt lgkmcnt(2)
	v_fma_f32 v68, v99, v97, 0
	v_sub_f32_e32 v97, v81, v67
	ds_load_2addr_b32 v[80:81], v65 offset0:238 offset1:255
	v_sub_f32_e32 v65, v95, v67
	v_exp_f32_e32 v82, v82
	v_exp_f32_e32 v101, v101
	v_mul_f32_e32 v95, 0x3fb8aa3b, v97
	v_exp_f32_e32 v97, v102
	v_mul_f32_e32 v65, 0x3fb8aa3b, v65
	v_exp_f32_e32 v100, v100
	s_waitcnt lgkmcnt(0)
	v_exp_f32_e32 v95, v95
	s_barrier
	buffer_gl0_inv
	v_fmac_f32_e32 v68, v82, v98
	s_delay_alu instid0(VALU_DEP_1) | instskip(SKIP_2) | instid1(VALU_DEP_2)
	v_fmac_f32_e32 v68, v100, v76
	v_sub_f32_e32 v76, v96, v67
	v_exp_f32_e32 v96, v65
	v_fmac_f32_e32 v68, v101, v77
	s_delay_alu instid0(VALU_DEP_2) | instskip(NEXT) | instid1(VALU_DEP_2)
	v_mul_f32_e32 v76, 0x3fb8aa3b, v76
	v_fmac_f32_e32 v68, v97, v78
	s_delay_alu instid0(VALU_DEP_2) | instskip(SKIP_1) | instid1(VALU_DEP_2)
	v_exp_f32_e32 v98, v76
	v_cndmask_b32_e32 v76, v99, v82, vcc_lo
	v_fmac_f32_e32 v68, v95, v79
	s_delay_alu instid0(TRANS32_DEP_2) | instid1(VALU_DEP_1)
	v_fmac_f32_e32 v68, v96, v80
	v_lshlrev_b32_e32 v80, 6, v73
	s_waitcnt_depctr 0xfff
	v_fmac_f32_e32 v68, v98, v81
	v_lshl_or_b32 v82, v66, 11, v80
	s_delay_alu instid0(VALU_DEP_2) | instskip(NEXT) | instid1(VALU_DEP_1)
	v_add_f32_e32 v81, 0x358637bd, v68
	v_div_scale_f32 v102, null, v81, v81, 1.0
	v_div_scale_f32 v99, vcc_lo, 1.0, v81, 1.0
	s_delay_alu instid0(VALU_DEP_2) | instskip(SKIP_2) | instid1(VALU_DEP_1)
	v_rcp_f32_e32 v103, v102
	s_waitcnt_depctr 0xfff
	v_fma_f32 v65, -v102, v103, 1.0
	v_fmac_f32_e32 v103, v65, v103
	v_cndmask_b32_e64 v65, v76, v100, s3
	v_cmp_eq_u32_e64 s3, 7, v66
	v_lshlrev_b32_e32 v76, 2, v75
	s_delay_alu instid0(VALU_DEP_4) | instskip(NEXT) | instid1(VALU_DEP_4)
	v_mul_f32_e32 v100, v99, v103
	v_cndmask_b32_e64 v77, v65, v101, s5
	v_mov_b32_e32 v65, 0
	s_delay_alu instid0(VALU_DEP_4)
	v_or_b32_e32 v79, 1, v76
	v_cmp_eq_u32_e64 s5, 1, v76
	v_fma_f32 v78, -v102, v100, v99
	v_cndmask_b32_e64 v97, v77, v97, s6
	v_or_b32_e32 v77, 2, v76
	v_cmp_eq_u32_e64 s9, 1, v79
	v_cmp_eq_u32_e64 s6, 2, v76
	v_fmac_f32_e32 v100, v78, v103
	v_cndmask_b32_e64 v66, v97, v95, s7
	v_or_b32_e32 v78, 3, v76
	v_cmp_eq_u32_e64 s10, 1, v77
	v_cmp_eq_u32_e64 s12, 2, v79
	v_fma_f32 v95, -v102, v100, v99
	v_cndmask_b32_e64 v66, v66, v96, s4
	v_cmp_eq_u32_e64 s11, 1, v78
	v_cmp_eq_u32_e64 s17, 2, v78
	;; [unrolled: 1-line block ×3, first 2 shown]
	v_div_fmas_f32 v95, v95, v103, v100
	v_cndmask_b32_e64 v66, v66, v98, s3
	v_cmp_eq_u32_e32 vcc_lo, 3, v76
	v_cmp_eq_u32_e64 s16, 2, v77
	v_cmp_eq_u32_e64 s19, 3, v78
	v_div_fixup_f32 v95, v95, v81, 1.0
	v_lshl_or_b32 v81, v75, 4, v82
	v_cmp_eq_u32_e64 s4, 4, v76
	v_cmp_eq_u32_e64 s18, 3, v77
	;; [unrolled: 1-line block ×3, first 2 shown]
	v_mul_f32_e32 v66, v66, v95
	v_cmp_eq_u32_e64 s23, 4, v78
	v_cmp_eq_u32_e64 s7, 5, v76
	;; [unrolled: 1-line block ×4, first 2 shown]
	v_fma_mixlo_f16 v95, v66, v70, 0
	v_fma_mixlo_f16 v96, v66, v72, 0
	;; [unrolled: 1-line block ×8, first 2 shown]
	v_fma_mixhi_f16 v95, v66, v69, 0
	v_fma_mixhi_f16 v96, v66, v71, 0
	;; [unrolled: 1-line block ×8, first 2 shown]
	ds_store_b128 v81, v[95:98]
	ds_store_b128 v81, v[99:102] offset:1024
	s_waitcnt lgkmcnt(0)
	s_barrier
	buffer_gl0_inv
	ds_load_b128 v[69:72], v82
	ds_load_b128 v[83:86], v82 offset:16
	ds_load_b128 v[87:90], v82 offset:1024
	;; [unrolled: 1-line block ×3, first 2 shown]
	v_cmp_eq_u32_e64 s25, 5, v78
	v_cmp_eq_u32_e64 s3, 6, v76
	;; [unrolled: 1-line block ×10, first 2 shown]
	s_waitcnt lgkmcnt(3)
	v_lshrrev_b32_e32 v66, 16, v69
	s_waitcnt lgkmcnt(2)
	v_lshrrev_b32_e32 v98, 16, v83
	;; [unrolled: 2-line block ×4, first 2 shown]
	v_lshrrev_b32_e32 v95, 16, v70
	v_cndmask_b32_e64 v110, v69, v66, s5
	v_cndmask_b32_e64 v111, v83, v98, s5
	v_cndmask_b32_e64 v112, v69, v66, s9
	v_cndmask_b32_e64 v113, v83, v98, s9
	v_cndmask_b32_e64 v114, v69, v66, s10
	v_cndmask_b32_e64 v66, v69, v66, s11
	v_cndmask_b32_e64 v69, v83, v98, s11
	v_lshrrev_b32_e32 v99, 16, v84
	v_cndmask_b32_e64 v115, v83, v98, s10
	v_cndmask_b32_e64 v83, v87, v102, s5
	;; [unrolled: 1-line block ×15, first 2 shown]
	v_lshrrev_b32_e32 v103, 16, v88
	v_lshrrev_b32_e32 v107, 16, v92
	v_cndmask_b32_e64 v112, v114, v70, s16
	v_cndmask_b32_e64 v113, v115, v84, s16
	;; [unrolled: 1-line block ×7, first 2 shown]
	v_cndmask_b32_e32 v88, v102, v95, vcc_lo
	v_cndmask_b32_e32 v102, v106, v99, vcc_lo
	v_cndmask_b32_e64 v106, v110, v95, s13
	v_cndmask_b32_e64 v110, v111, v99, s13
	v_cndmask_b32_e64 v66, v66, v95, s19
	v_cndmask_b32_e64 v69, v69, v99, s19
	v_lshrrev_b32_e32 v96, 16, v71
	v_lshrrev_b32_e32 v100, 16, v85
	v_cndmask_b32_e64 v111, v112, v95, s18
	v_cndmask_b32_e64 v112, v113, v99, s18
	v_cndmask_b32_e32 v70, v70, v103, vcc_lo
	v_cndmask_b32_e32 v83, v83, v107, vcc_lo
	v_cndmask_b32_e64 v84, v84, v103, s13
	v_cndmask_b32_e64 v88, v88, v71, s4
	;; [unrolled: 1-line block ×7, first 2 shown]
	v_lshrrev_b32_e32 v104, 16, v89
	v_lshrrev_b32_e32 v108, 16, v93
	v_cndmask_b32_e64 v106, v111, v71, s22
	v_cndmask_b32_e64 v110, v112, v85, s22
	v_cndmask_b32_e64 v70, v70, v89, s4
	v_cndmask_b32_e64 v71, v83, v93, s4
	v_cndmask_b32_e64 v83, v84, v89, s20
	v_cndmask_b32_e64 v84, v88, v96, s7
	v_cndmask_b32_e64 v85, v95, v100, s7
	v_cndmask_b32_e64 v88, v99, v96, s21
	v_cndmask_b32_e64 v95, v102, v100, s21
	v_cndmask_b32_e64 v66, v66, v96, s25
	v_cndmask_b32_e64 v69, v69, v100, s25
	v_lshrrev_b32_e32 v97, 16, v72
	v_lshrrev_b32_e32 v101, 16, v86
	v_cndmask_b32_e64 v99, v106, v96, s24
	v_cndmask_b32_e64 v102, v110, v100, s24
	;; [unrolled: 1-line block ×11, first 2 shown]
	v_lshrrev_b32_e32 v105, 16, v90
	v_cndmask_b32_e64 v96, v99, v72, s27
	v_cndmask_b32_e64 v99, v102, v86, s27
	;; [unrolled: 1-line block ×14, first 2 shown]
	v_perm_b32 v72, v69, v66, 0x5040100
	v_perm_b32 v70, v95, v85, 0x5040100
	v_cndmask_b32_e64 v66, v91, v92, s17
	v_cndmask_b32_e64 v69, v119, v92, s16
	;; [unrolled: 1-line block ×4, first 2 shown]
	v_perm_b32 v71, v96, v88, 0x5040100
	v_cndmask_b32_e64 v88, v98, v103, s18
	v_cndmask_b32_e64 v87, v87, v103, s19
	;; [unrolled: 1-line block ×15, first 2 shown]
	v_lshrrev_b32_e32 v109, 16, v94
	v_cndmask_b32_e64 v88, v88, v90, s27
	v_cndmask_b32_e64 v87, v87, v90, s28
	v_cndmask_b32_e64 v66, v66, v94, s28
	v_cndmask_b32_e64 v69, v69, v94, s27
	v_cndmask_b32_e64 v85, v85, v94, s26
	v_cndmask_b32_e64 v88, v88, v105, s29
	v_cndmask_b32_e64 v87, v87, v105, s30
	v_cndmask_b32_e64 v66, v66, v109, s30
	v_cndmask_b32_e64 v89, v69, v109, s29
	v_cndmask_b32_e64 v90, v85, v109, s31
	v_cndmask_b32_e64 v91, v86, v109, s8
	v_perm_b32 v69, v84, v83, 0x5040100
	v_perm_b32 v86, v66, v87, 0x5040100
	;; [unrolled: 1-line block ×5, first 2 shown]
	s_mov_b32 s3, exec_lo
	ds_store_b128 v81, v[69:72]
	ds_store_b128 v81, v[83:86] offset:1024
	v_cmpx_eq_u32_e32 0, v0
	s_cbranch_execz .LBB866_13
; %bb.12:
	s_load_b128 s[4:7], s[0:1], 0x58
	s_mul_i32 s8, s37, s34
	s_delay_alu instid0(SALU_CYCLE_1) | instskip(NEXT) | instid1(SALU_CYCLE_1)
	s_add_i32 s8, s8, s15
	s_mul_i32 s8, s8, s36
	s_delay_alu instid0(SALU_CYCLE_1) | instskip(NEXT) | instid1(SALU_CYCLE_1)
	s_add_i32 s8, s8, s14
	s_ashr_i32 s9, s8, 31
	s_delay_alu instid0(SALU_CYCLE_1)
	s_lshl_b64 s[8:9], s[8:9], 2
	s_waitcnt lgkmcnt(0)
	s_add_u32 s6, s6, s8
	s_addc_u32 s7, s7, s9
	s_add_u32 s4, s4, s8
	s_addc_u32 s5, s5, s9
	s_clause 0x1
	global_store_b32 v65, v67, s[6:7]
	global_store_b32 v65, v68, s[4:5]
.LBB866_13:
	s_or_b32 exec_lo, exec_lo, s3
	s_waitcnt lgkmcnt(0)
	s_waitcnt_vscnt null, 0x0
	s_barrier
	buffer_gl0_inv
	ds_load_b128 v[83:86], v80
	ds_load_b128 v[87:90], v80 offset:16
	ds_load_b128 v[95:98], v80 offset:2064
	;; [unrolled: 1-line block ×5, first 2 shown]
	v_mov_b32_e32 v66, v65
	v_mov_b32_e32 v67, v65
	;; [unrolled: 1-line block ×7, first 2 shown]
	ds_load_b128 v[111:114], v80 offset:6160
	ds_load_b128 v[107:110], v80 offset:6144
	;; [unrolled: 1-line block ×4, first 2 shown]
	v_cmp_eq_u32_e32 vcc_lo, 1, v76
	v_cmp_eq_u32_e64 s3, 1, v79
	v_cmp_eq_u32_e64 s4, 1, v78
	;; [unrolled: 1-line block ×5, first 2 shown]
	s_waitcnt lgkmcnt(8)
	v_wmma_f32_16x16x16_f16 v[65:72], v[49:56], v[83:90], v[65:72]
	ds_load_b128 v[53:56], v80 offset:10256
	ds_load_b128 v[49:52], v80 offset:10240
	s_waitcnt lgkmcnt(8)
	v_wmma_f32_16x16x16_f16 v[65:72], v[41:48], v[91:98], v[65:72]
	ds_load_b128 v[45:48], v80 offset:12304
	ds_load_b128 v[41:44], v80 offset:12288
	;; [unrolled: 4-line block ×3, first 2 shown]
	s_waitcnt lgkmcnt(0)
	s_barrier
	buffer_gl0_inv
	v_wmma_f32_16x16x16_f16 v[65:72], v[1:8], v[107:114], v[65:72]
	s_delay_alu instid0(VALU_DEP_1) | instskip(NEXT) | instid1(VALU_DEP_1)
	v_wmma_f32_16x16x16_f16 v[65:72], v[9:16], v[115:122], v[65:72]
	v_wmma_f32_16x16x16_f16 v[65:72], v[17:24], v[49:56], v[65:72]
	s_delay_alu instid0(VALU_DEP_1) | instskip(NEXT) | instid1(VALU_DEP_1)
	v_wmma_f32_16x16x16_f16 v[65:72], v[25:32], v[41:48], v[65:72]
	v_wmma_f32_16x16x16_f16 v[65:72], v[57:64], v[33:40], v[65:72]
	s_delay_alu instid0(VALU_DEP_1) | instskip(NEXT) | instid1(VALU_DEP_2)
	v_cvt_f16_f32_e32 v1, v65
	v_cvt_f16_f32_e32 v2, v66
	s_delay_alu instid0(VALU_DEP_3) | instskip(NEXT) | instid1(VALU_DEP_4)
	v_cvt_f16_f32_e32 v3, v67
	v_cvt_f16_f32_e32 v4, v68
	;; [unrolled: 1-line block ×6, first 2 shown]
	v_pack_b32_f16 v1, v1, v2
	v_pack_b32_f16 v2, v3, v4
	;; [unrolled: 1-line block ×3, first 2 shown]
	s_delay_alu instid0(VALU_DEP_4)
	v_pack_b32_f16 v4, v7, v8
	ds_store_b128 v81, v[1:4]
	s_waitcnt lgkmcnt(0)
	s_barrier
	buffer_gl0_inv
	ds_load_b128 v[1:4], v82
	ds_load_b128 v[5:8], v82 offset:16
	s_waitcnt lgkmcnt(1)
	v_lshrrev_b32_e32 v9, 16, v1
	s_waitcnt lgkmcnt(0)
	v_lshrrev_b32_e32 v13, 16, v5
	v_lshrrev_b32_e32 v16, 16, v8
	;; [unrolled: 1-line block ×4, first 2 shown]
	v_cndmask_b32_e32 v17, v1, v9, vcc_lo
	v_cndmask_b32_e32 v18, v5, v13, vcc_lo
	v_cmp_eq_u32_e32 vcc_lo, 1, v77
	v_cndmask_b32_e64 v19, v1, v9, s3
	v_cndmask_b32_e64 v20, v5, v13, s3
	v_cmp_eq_u32_e64 s3, 2, v77
	v_lshrrev_b32_e32 v11, 16, v3
	v_cndmask_b32_e32 v21, v1, v9, vcc_lo
	v_cndmask_b32_e32 v22, v5, v13, vcc_lo
	v_cndmask_b32_e64 v1, v1, v9, s4
	v_cmp_eq_u32_e32 vcc_lo, 2, v78
	v_cndmask_b32_e64 v5, v5, v13, s4
	v_cmp_eq_u32_e64 s4, 2, v79
	v_cndmask_b32_e64 v9, v17, v2, s5
	v_cndmask_b32_e64 v13, v18, v6, s5
	v_cmp_eq_u32_e64 s5, 3, v79
	v_cndmask_b32_e32 v1, v1, v2, vcc_lo
	v_cndmask_b32_e64 v17, v19, v2, s4
	v_cndmask_b32_e64 v18, v20, v6, s4
	;; [unrolled: 1-line block ×4, first 2 shown]
	v_cndmask_b32_e32 v2, v5, v6, vcc_lo
	v_cmp_eq_u32_e32 vcc_lo, 3, v77
	v_cmp_eq_u32_e64 s4, 3, v78
	v_cndmask_b32_e64 v5, v9, v10, s6
	v_cndmask_b32_e64 v6, v13, v14, s6
	;; [unrolled: 1-line block ×4, first 2 shown]
	v_cndmask_b32_e32 v17, v19, v10, vcc_lo
	v_cmp_eq_u32_e64 s3, 4, v77
	v_cndmask_b32_e32 v18, v20, v14, vcc_lo
	v_cndmask_b32_e64 v1, v1, v10, s4
	v_cmp_eq_u32_e32 vcc_lo, 4, v78
	v_cmp_eq_u32_e64 s5, 4, v76
	v_cndmask_b32_e64 v2, v2, v14, s4
	v_cmp_eq_u32_e64 s4, 4, v79
	v_lshrrev_b32_e32 v15, 16, v7
	v_cmp_eq_u32_e64 s6, 5, v76
	v_cndmask_b32_e64 v5, v5, v3, s5
	v_cndmask_b32_e64 v6, v6, v7, s5
	;; [unrolled: 1-line block ×6, first 2 shown]
	v_cmp_eq_u32_e64 s4, 5, v77
	v_cndmask_b32_e32 v1, v1, v3, vcc_lo
	v_cndmask_b32_e32 v2, v2, v7, vcc_lo
	v_cmp_eq_u32_e32 vcc_lo, 5, v78
	v_cmp_eq_u32_e64 s5, 5, v79
	v_cndmask_b32_e64 v5, v5, v11, s6
	v_cmp_eq_u32_e64 s3, 6, v76
	v_cndmask_b32_e64 v6, v6, v15, s6
	v_cndmask_b32_e64 v13, v13, v11, s4
	;; [unrolled: 1-line block ×3, first 2 shown]
	v_cndmask_b32_e32 v1, v1, v11, vcc_lo
	v_cmp_eq_u32_e64 s4, 6, v78
	v_cndmask_b32_e32 v2, v2, v15, vcc_lo
	v_cndmask_b32_e64 v9, v9, v11, s5
	v_cndmask_b32_e64 v10, v10, v15, s5
	v_cmp_eq_u32_e64 s5, 6, v79
	v_lshrrev_b32_e32 v12, 16, v4
	v_cndmask_b32_e64 v5, v5, v4, s3
	v_cndmask_b32_e64 v6, v6, v8, s3
	v_cmp_eq_u32_e64 s3, 7, v76
	v_cndmask_b32_e64 v1, v1, v4, s4
	v_cmp_eq_u32_e32 vcc_lo, 7, v78
	v_cndmask_b32_e64 v2, v2, v8, s4
	v_cndmask_b32_e64 v9, v9, v4, s5
	v_cmp_eq_u32_e64 s6, 7, v79
	v_cndmask_b32_e64 v7, v13, v4, s7
	v_cndmask_b32_e64 v3, v3, v8, s7
	v_cndmask_b32_e32 v2, v2, v16, vcc_lo
	v_cmp_eq_u32_e64 s4, 7, v77
	v_cndmask_b32_e64 v4, v10, v8, s5
	v_cndmask_b32_e64 v5, v5, v12, s3
	v_cndmask_b32_e32 v1, v1, v12, vcc_lo
	v_cndmask_b32_e64 v6, v6, v16, s3
	v_cmp_lt_u32_e32 vcc_lo, 31, v0
	v_cmp_lt_u32_e64 s3, 7, v73
	v_cndmask_b32_e64 v9, v9, v12, s6
	v_cndmask_b32_e64 v7, v7, v12, s4
	;; [unrolled: 1-line block ×4, first 2 shown]
	s_or_b32 s3, vcc_lo, s3
	v_perm_b32 v4, v2, v1, 0x5040100
	v_perm_b32 v1, v6, v5, 0x5040100
	;; [unrolled: 1-line block ×4, first 2 shown]
	s_or_b32 s2, s2, s3
	s_delay_alu instid0(SALU_CYCLE_1)
	s_xor_b32 s2, s2, -1
	ds_store_b128 v81, v[1:4]
	s_waitcnt lgkmcnt(0)
	s_barrier
	buffer_gl0_inv
	s_and_saveexec_b32 s3, s2
	s_cbranch_execz .LBB866_2
; %bb.14:
	s_load_b64 s[0:1], s[0:1], 0x68
	v_lshlrev_b32_e32 v1, 10, v0
	v_and_b32_e32 v0, 1, v0
	v_lshlrev_b32_e32 v2, 6, v75
	s_lshl_b32 s4, s36, 6
	s_delay_alu instid0(VALU_DEP_3) | instskip(NEXT) | instid1(VALU_DEP_3)
	v_and_b32_e32 v1, 0x3800, v1
	v_lshlrev_b32_e32 v0, 4, v0
	s_mul_i32 s2, s4, s34
	s_delay_alu instid0(SALU_CYCLE_1) | instskip(NEXT) | instid1(VALU_DEP_1)
	s_mul_i32 s2, s2, s37
	v_or3_b32 v0, v1, v2, v0
	s_ashr_i32 s3, s2, 31
	s_delay_alu instid0(SALU_CYCLE_1)
	s_lshl_b64 s[2:3], s[2:3], 1
	ds_load_b128 v[0:3], v0
	s_waitcnt lgkmcnt(0)
	s_add_u32 s5, s0, s2
	s_addc_u32 s3, s1, s3
	s_lshl_b32 s0, s14, 6
	s_mul_i32 s2, s4, s15
	s_ashr_i32 s1, s0, 31
	s_delay_alu instid0(SALU_CYCLE_1) | instskip(NEXT) | instid1(SALU_CYCLE_1)
	s_lshl_b64 s[0:1], s[0:1], 1
	s_add_u32 s4, s5, s0
	s_addc_u32 s5, s3, s1
	s_ashr_i32 s3, s2, 31
	s_delay_alu instid0(SALU_CYCLE_1) | instskip(NEXT) | instid1(SALU_CYCLE_1)
	s_lshl_b64 s[0:1], s[2:3], 1
	s_add_u32 s0, s4, s0
	s_addc_u32 s1, s5, s1
	global_store_b128 v74, v[0:3], s[0:1]
	s_nop 0
	s_sendmsg sendmsg(MSG_DEALLOC_VGPRS)
	s_endpgm
	.section	.rodata,"a",@progbits
	.p2align	6, 0x0
	.amdhsa_kernel _Z39paged_attention_ll4mi_QKV_mfma16_kernelIDF16_hLN4vllm18Fp8KVCacheDataTypeE1EhLi32ELi64ELi256ELb1ELi1EL8MFMAType1EEvPKT_PKT0_S8_ifPKiSA_SA_iPKfiiiPfSD_PS3_PT2_iSC_SC_
		.amdhsa_group_segment_fixed_size 17472
		.amdhsa_private_segment_fixed_size 0
		.amdhsa_kernarg_size 400
		.amdhsa_user_sgpr_count 13
		.amdhsa_user_sgpr_dispatch_ptr 0
		.amdhsa_user_sgpr_queue_ptr 0
		.amdhsa_user_sgpr_kernarg_segment_ptr 1
		.amdhsa_user_sgpr_dispatch_id 0
		.amdhsa_user_sgpr_private_segment_size 0
		.amdhsa_wavefront_size32 1
		.amdhsa_uses_dynamic_stack 0
		.amdhsa_enable_private_segment 0
		.amdhsa_system_sgpr_workgroup_id_x 1
		.amdhsa_system_sgpr_workgroup_id_y 1
		.amdhsa_system_sgpr_workgroup_id_z 1
		.amdhsa_system_sgpr_workgroup_info 0
		.amdhsa_system_vgpr_workitem_id 0
		.amdhsa_next_free_vgpr 144
		.amdhsa_next_free_sgpr 50
		.amdhsa_reserve_vcc 1
		.amdhsa_float_round_mode_32 0
		.amdhsa_float_round_mode_16_64 0
		.amdhsa_float_denorm_mode_32 3
		.amdhsa_float_denorm_mode_16_64 3
		.amdhsa_dx10_clamp 1
		.amdhsa_ieee_mode 1
		.amdhsa_fp16_overflow 0
		.amdhsa_workgroup_processor_mode 1
		.amdhsa_memory_ordered 1
		.amdhsa_forward_progress 0
		.amdhsa_shared_vgpr_count 0
		.amdhsa_exception_fp_ieee_invalid_op 0
		.amdhsa_exception_fp_denorm_src 0
		.amdhsa_exception_fp_ieee_div_zero 0
		.amdhsa_exception_fp_ieee_overflow 0
		.amdhsa_exception_fp_ieee_underflow 0
		.amdhsa_exception_fp_ieee_inexact 0
		.amdhsa_exception_int_div_zero 0
	.end_amdhsa_kernel
	.section	.text._Z39paged_attention_ll4mi_QKV_mfma16_kernelIDF16_hLN4vllm18Fp8KVCacheDataTypeE1EhLi32ELi64ELi256ELb1ELi1EL8MFMAType1EEvPKT_PKT0_S8_ifPKiSA_SA_iPKfiiiPfSD_PS3_PT2_iSC_SC_,"axG",@progbits,_Z39paged_attention_ll4mi_QKV_mfma16_kernelIDF16_hLN4vllm18Fp8KVCacheDataTypeE1EhLi32ELi64ELi256ELb1ELi1EL8MFMAType1EEvPKT_PKT0_S8_ifPKiSA_SA_iPKfiiiPfSD_PS3_PT2_iSC_SC_,comdat
.Lfunc_end866:
	.size	_Z39paged_attention_ll4mi_QKV_mfma16_kernelIDF16_hLN4vllm18Fp8KVCacheDataTypeE1EhLi32ELi64ELi256ELb1ELi1EL8MFMAType1EEvPKT_PKT0_S8_ifPKiSA_SA_iPKfiiiPfSD_PS3_PT2_iSC_SC_, .Lfunc_end866-_Z39paged_attention_ll4mi_QKV_mfma16_kernelIDF16_hLN4vllm18Fp8KVCacheDataTypeE1EhLi32ELi64ELi256ELb1ELi1EL8MFMAType1EEvPKT_PKT0_S8_ifPKiSA_SA_iPKfiiiPfSD_PS3_PT2_iSC_SC_
                                        ; -- End function
	.section	.AMDGPU.csdata,"",@progbits
; Kernel info:
; codeLenInByte = 6224
; NumSgprs: 52
; NumVgprs: 144
; ScratchSize: 0
; MemoryBound: 1
; FloatMode: 240
; IeeeMode: 1
; LDSByteSize: 17472 bytes/workgroup (compile time only)
; SGPRBlocks: 6
; VGPRBlocks: 17
; NumSGPRsForWavesPerEU: 52
; NumVGPRsForWavesPerEU: 144
; Occupancy: 10
; WaveLimiterHint : 1
; COMPUTE_PGM_RSRC2:SCRATCH_EN: 0
; COMPUTE_PGM_RSRC2:USER_SGPR: 13
; COMPUTE_PGM_RSRC2:TRAP_HANDLER: 0
; COMPUTE_PGM_RSRC2:TGID_X_EN: 1
; COMPUTE_PGM_RSRC2:TGID_Y_EN: 1
; COMPUTE_PGM_RSRC2:TGID_Z_EN: 1
; COMPUTE_PGM_RSRC2:TIDIG_COMP_CNT: 0
	.section	.text._Z39paged_attention_ll4mi_QKV_mfma16_kernelIDF16_hLN4vllm18Fp8KVCacheDataTypeE1EhLi32ELi64ELi256ELb1ELi2EL8MFMAType1EEvPKT_PKT0_S8_ifPKiSA_SA_iPKfiiiPfSD_PS3_PT2_iSC_SC_,"axG",@progbits,_Z39paged_attention_ll4mi_QKV_mfma16_kernelIDF16_hLN4vllm18Fp8KVCacheDataTypeE1EhLi32ELi64ELi256ELb1ELi2EL8MFMAType1EEvPKT_PKT0_S8_ifPKiSA_SA_iPKfiiiPfSD_PS3_PT2_iSC_SC_,comdat
	.protected	_Z39paged_attention_ll4mi_QKV_mfma16_kernelIDF16_hLN4vllm18Fp8KVCacheDataTypeE1EhLi32ELi64ELi256ELb1ELi2EL8MFMAType1EEvPKT_PKT0_S8_ifPKiSA_SA_iPKfiiiPfSD_PS3_PT2_iSC_SC_ ; -- Begin function _Z39paged_attention_ll4mi_QKV_mfma16_kernelIDF16_hLN4vllm18Fp8KVCacheDataTypeE1EhLi32ELi64ELi256ELb1ELi2EL8MFMAType1EEvPKT_PKT0_S8_ifPKiSA_SA_iPKfiiiPfSD_PS3_PT2_iSC_SC_
	.globl	_Z39paged_attention_ll4mi_QKV_mfma16_kernelIDF16_hLN4vllm18Fp8KVCacheDataTypeE1EhLi32ELi64ELi256ELb1ELi2EL8MFMAType1EEvPKT_PKT0_S8_ifPKiSA_SA_iPKfiiiPfSD_PS3_PT2_iSC_SC_
	.p2align	8
	.type	_Z39paged_attention_ll4mi_QKV_mfma16_kernelIDF16_hLN4vllm18Fp8KVCacheDataTypeE1EhLi32ELi64ELi256ELb1ELi2EL8MFMAType1EEvPKT_PKT0_S8_ifPKiSA_SA_iPKfiiiPfSD_PS3_PT2_iSC_SC_,@function
_Z39paged_attention_ll4mi_QKV_mfma16_kernelIDF16_hLN4vllm18Fp8KVCacheDataTypeE1EhLi32ELi64ELi256ELb1ELi2EL8MFMAType1EEvPKT_PKT0_S8_ifPKiSA_SA_iPKfiiiPfSD_PS3_PT2_iSC_SC_: ; @_Z39paged_attention_ll4mi_QKV_mfma16_kernelIDF16_hLN4vllm18Fp8KVCacheDataTypeE1EhLi32ELi64ELi256ELb1ELi2EL8MFMAType1EEvPKT_PKT0_S8_ifPKiSA_SA_iPKfiiiPfSD_PS3_PT2_iSC_SC_
; %bb.0:
	s_load_b64 s[2:3], s[0:1], 0x30
	s_mov_b32 s30, s13
	s_waitcnt lgkmcnt(0)
	s_cmp_lg_u64 s[2:3], 0
	s_cselect_b32 s6, -1, 0
	s_ashr_i32 s31, s13, 31
	s_cmp_eq_u64 s[2:3], 0
	s_cbranch_scc1 .LBB867_3
; %bb.1:
	s_lshl_b64 s[4:5], s[30:31], 2
	s_delay_alu instid0(SALU_CYCLE_1) | instskip(SKIP_4) | instid1(SALU_CYCLE_1)
	s_add_u32 s4, s2, s4
	s_addc_u32 s5, s3, s5
	s_load_b64 s[4:5], s[4:5], 0x0
	s_waitcnt lgkmcnt(0)
	s_sub_i32 s4, s5, s4
	s_cmp_eq_u32 s4, 1
	s_cselect_b32 s4, -1, 0
	s_delay_alu instid0(SALU_CYCLE_1)
	s_and_not1_b32 vcc_lo, exec_lo, s4
	s_cbranch_vccz .LBB867_4
.LBB867_2:
	s_endpgm
.LBB867_3:
.LBB867_4:
	s_load_b64 s[8:9], s[0:1], 0x28
	s_lshl_b64 s[4:5], s[30:31], 2
	s_waitcnt lgkmcnt(0)
	s_add_u32 s8, s8, s4
	s_addc_u32 s9, s9, s5
	s_lshl_b32 s16, s14, 8
	s_load_b32 s17, s[8:9], 0x0
	s_waitcnt lgkmcnt(0)
	s_cmp_ge_i32 s16, s17
	s_cbranch_scc1 .LBB867_2
; %bb.5:
	s_clause 0x1
	s_load_b128 s[8:11], s[0:1], 0x8
	s_load_b64 s[12:13], s[0:1], 0x20
	s_and_not1_b32 vcc_lo, exec_lo, s6
	s_cbranch_vccnz .LBB867_7
; %bb.6:
	s_add_u32 s2, s2, s4
	s_addc_u32 s3, s3, s5
	s_load_b32 s3, s[2:3], 0x0
	s_branch .LBB867_8
.LBB867_7:
	s_mov_b32 s3, s30
.LBB867_8:
	s_load_b128 s[4:7], s[0:1], 0x48
	v_and_b32_e32 v70, 15, v0
	v_bfe_u32 v69, v0, 4, 1
	s_lshl_b32 s33, s15, 1
	v_cmp_gt_u32_e32 vcc_lo, 32, v0
	v_and_b32_e32 v71, 31, v0
	v_lshlrev_b32_e32 v1, 3, v70
	v_cmp_gt_u32_e64 s2, 8, v70
	v_and_b32_e32 v68, 1, v0
	v_or_b32_e32 v67, s33, v69
	v_lshlrev_b32_e32 v66, 6, v69
	v_lshlrev_b32_e32 v65, 1, v1
	s_and_b32 s31, vcc_lo, s2
	s_delay_alu instid0(SALU_CYCLE_1)
	s_and_saveexec_b32 s2, s31
	s_cbranch_execz .LBB867_10
; %bb.9:
	s_load_b64 s[18:19], s[0:1], 0x0
	v_lshlrev_b32_e32 v1, 6, v67
	s_waitcnt lgkmcnt(0)
	s_mul_hi_i32 s21, s3, s4
	s_mul_i32 s20, s3, s4
	v_lshlrev_b32_e32 v5, 10, v70
	s_lshl_b64 s[20:21], s[20:21], 1
	v_ashrrev_i32_e32 v2, 31, v1
	v_lshlrev_b32_e32 v6, 10, v68
	s_delay_alu instid0(VALU_DEP_3) | instskip(NEXT) | instid1(VALU_DEP_3)
	v_and_b32_e32 v5, 0x3800, v5
	v_lshlrev_b64 v[1:2], 1, v[1:2]
	s_delay_alu instid0(VALU_DEP_2) | instskip(SKIP_2) | instid1(VALU_DEP_2)
	v_or3_b32 v5, v5, v6, v66
	s_add_u32 s3, s18, s20
	s_addc_u32 s4, s19, s21
	v_add_co_u32 v1, vcc_lo, s3, v1
	s_delay_alu instid0(VALU_DEP_3) | instskip(NEXT) | instid1(VALU_DEP_2)
	v_add_co_ci_u32_e32 v2, vcc_lo, s4, v2, vcc_lo
	v_add_co_u32 v1, vcc_lo, v1, v65
	s_delay_alu instid0(VALU_DEP_2)
	v_add_co_ci_u32_e32 v2, vcc_lo, 0, v2, vcc_lo
	global_load_b128 v[1:4], v[1:2], off
	s_waitcnt vmcnt(0)
	ds_store_b128 v5, v[1:4]
.LBB867_10:
	s_or_b32 exec_lo, exec_lo, s2
	v_and_b32_e32 v1, 0xef, v0
	s_add_i32 s2, s17, 31
	s_waitcnt lgkmcnt(0)
	s_clause 0x1
	s_load_b32 s3, s[0:1], 0x38
	s_load_b32 s34, s[0:1], 0x98
	s_ashr_i32 s4, s2, 31
	v_add_nc_u32_e32 v1, s16, v1
	s_lshr_b32 s4, s4, 27
	s_load_b32 s18, s[0:1], 0x1c
	s_add_i32 s2, s2, s4
	s_waitcnt lgkmcnt(0)
	v_ashrrev_i32_e32 v2, 31, v1
	v_or_b32_e32 v3, 16, v1
	s_ashr_i32 s2, s2, 5
	v_cmp_gt_i32_e32 vcc_lo, s17, v1
	s_add_i32 s2, s2, -1
	v_lshrrev_b32_e32 v2, 27, v2
	s_barrier
	buffer_gl0_inv
	s_mul_i32 s15, s15, s6
	v_lshrrev_b32_e32 v72, 5, v0
	v_add_nc_u32_e32 v4, v1, v2
	v_mbcnt_lo_u32_b32 v129, -1, 0
	s_mul_i32 s20, s30, s3
	v_and_b32_e32 v105, 0xe0, v0
	s_ashr_i32 s21, s20, 31
	v_ashrrev_i32_e32 v4, 5, v4
	v_add_nc_u32_e32 v2, v3, v2
	s_lshl_b64 s[20:21], s[20:21], 2
	v_xor_b32_e32 v130, 16, v129
	s_add_u32 s19, s12, s20
	v_cndmask_b32_e32 v1, s2, v4, vcc_lo
	v_ashrrev_i32_e32 v2, 5, v2
	v_cmp_gt_i32_e32 vcc_lo, s17, v3
	s_addc_u32 s12, s13, s21
	s_ashr_i32 s13, s15, 31
	s_add_u32 s20, s8, s15
	s_addc_u32 s21, s9, s13
	v_cndmask_b32_e32 v3, s2, v2, vcc_lo
	v_ashrrev_i32_e32 v2, 31, v1
	s_lshl_b32 s6, s14, 3
	v_add_nc_u32_e32 v121, s16, v105
	s_ashr_i32 s7, s6, 31
	v_ashrrev_i32_e32 v4, 31, v3
	v_lshlrev_b64 v[1:2], 2, v[1:2]
	s_lshl_b64 s[6:7], s[6:7], 2
	v_or_b32_e32 v137, v121, v69
	s_add_u32 s6, s19, s6
	v_lshlrev_b64 v[3:4], 2, v[3:4]
	s_addc_u32 s7, s12, s7
	v_add_co_u32 v1, vcc_lo, s19, v1
	v_add_co_ci_u32_e32 v2, vcc_lo, s12, v2, vcc_lo
	s_delay_alu instid0(VALU_DEP_3) | instskip(NEXT) | instid1(VALU_DEP_4)
	v_add_co_u32 v3, vcc_lo, s19, v3
	v_add_co_ci_u32_e32 v4, vcc_lo, s12, v4, vcc_lo
	s_clause 0x1
	global_load_b32 v5, v[1:2], off
	global_load_b32 v6, v[3:4], off
	s_or_b32 s3, s16, 32
	v_or_b32_e32 v139, 2, v137
	s_ashr_i32 s4, s3, 5
	s_cmp_lt_i32 s3, s17
	v_or_b32_e32 v140, 4, v137
	s_cselect_b32 s8, s4, s2
	v_or_b32_e32 v141, 6, v137
	s_ashr_i32 s9, s8, 31
	v_or_b32_e32 v142, 8, v137
	s_lshl_b64 s[8:9], s[8:9], 2
	v_or_b32_e32 v143, 10, v137
	s_add_u32 s22, s19, s8
	s_addc_u32 s23, s12, s9
	s_or_b32 s3, s16, 64
	v_or_b32_e32 v144, 12, v137
	s_ashr_i32 s4, s3, 5
	s_cmp_lt_i32 s3, s17
	v_or_b32_e32 v145, 14, v137
	s_cselect_b32 s8, s4, s2
	v_or_b32_e32 v146, 16, v137
	s_ashr_i32 s9, s8, 31
	v_or_b32_e32 v147, 18, v137
	s_lshl_b64 s[8:9], s[8:9], 2
	s_delay_alu instid0(SALU_CYCLE_1) | instskip(SKIP_2) | instid1(SALU_CYCLE_1)
	s_add_u32 s24, s19, s8
	s_addc_u32 s25, s12, s9
	s_or_b32 s3, s16, 0x60
	s_ashr_i32 s4, s3, 5
	s_cmp_lt_i32 s3, s17
	s_cselect_b32 s8, s4, s2
	s_delay_alu instid0(SALU_CYCLE_1) | instskip(NEXT) | instid1(SALU_CYCLE_1)
	s_ashr_i32 s9, s8, 31
	s_lshl_b64 s[8:9], s[8:9], 2
	s_delay_alu instid0(SALU_CYCLE_1) | instskip(SKIP_2) | instid1(SALU_CYCLE_1)
	s_add_u32 s26, s19, s8
	s_addc_u32 s27, s12, s9
	s_or_b32 s3, s16, 0x80
	s_ashr_i32 s4, s3, 5
	s_cmp_lt_i32 s3, s17
	s_cselect_b32 s8, s4, s2
	s_delay_alu instid0(SALU_CYCLE_1) | instskip(NEXT) | instid1(SALU_CYCLE_1)
	s_ashr_i32 s9, s8, 31
	s_lshl_b64 s[8:9], s[8:9], 2
	s_delay_alu instid0(SALU_CYCLE_1) | instskip(SKIP_2) | instid1(SALU_CYCLE_1)
	s_add_u32 s28, s19, s8
	s_addc_u32 s29, s12, s9
	s_or_b32 s3, s16, 0xa0
	s_ashr_i32 s4, s3, 5
	s_cmp_lt_i32 s3, s17
	s_cselect_b32 s8, s4, s2
	s_delay_alu instid0(SALU_CYCLE_1) | instskip(NEXT) | instid1(SALU_CYCLE_1)
	s_ashr_i32 s9, s8, 31
	s_lshl_b64 s[8:9], s[8:9], 2
	s_delay_alu instid0(SALU_CYCLE_1)
	s_add_u32 s36, s19, s8
	s_addc_u32 s37, s12, s9
	s_clause 0x5
	s_load_b32 s9, s[6:7], 0x0
	s_load_b32 s3, s[22:23], 0x0
	;; [unrolled: 1-line block ×6, first 2 shown]
	s_waitcnt vmcnt(1)
	v_mad_i64_i32 v[1:2], null, v5, s5, s[20:21]
	v_lshlrev_b32_e32 v5, 4, v70
	s_waitcnt vmcnt(0)
	v_mad_i64_i32 v[3:4], null, v6, s5, s[20:21]
	s_or_b32 s20, s16, 0xc0
	s_delay_alu instid0(SALU_CYCLE_1) | instskip(NEXT) | instid1(VALU_DEP_3)
	s_ashr_i32 s21, s20, 5
	v_add_co_u32 v1, vcc_lo, v1, v5
	s_delay_alu instid0(VALU_DEP_4) | instskip(NEXT) | instid1(VALU_DEP_3)
	v_add_co_ci_u32_e32 v2, vcc_lo, 0, v2, vcc_lo
	v_add_co_u32 v3, vcc_lo, v3, v5
	s_delay_alu instid0(VALU_DEP_4)
	v_add_co_ci_u32_e32 v4, vcc_lo, 0, v4, vcc_lo
	s_clause 0x7
	global_load_b128 v[73:76], v[1:2], off
	global_load_b128 v[77:80], v[1:2], off offset:512
	global_load_b128 v[81:84], v[3:4], off offset:256
	;; [unrolled: 1-line block ×7, first 2 shown]
	s_cmp_lt_i32 s20, s17
	v_lshlrev_b32_e32 v1, 5, v70
	s_cselect_b32 s20, s21, s2
	v_cmp_gt_i32_e32 vcc_lo, 32, v130
	s_ashr_i32 s21, s20, 31
	v_lshlrev_b32_e32 v117, 6, v68
	s_lshl_b64 s[20:21], s[20:21], 2
	v_lshl_or_b32 v1, v72, 9, v1
	v_cndmask_b32_e32 v138, v129, v130, vcc_lo
	s_add_u32 s20, s19, s20
	s_addc_u32 s21, s12, s21
	s_or_b32 s22, s16, 0xe0
	v_cmp_gt_i32_e32 vcc_lo, s17, v137
	s_ashr_i32 s23, s22, 5
	s_cmp_lt_i32 s22, s17
	s_cselect_b32 s22, s23, s2
	s_load_b32 s2, s[20:21], 0x0
	s_ashr_i32 s23, s22, 31
	s_delay_alu instid0(SALU_CYCLE_1) | instskip(NEXT) | instid1(SALU_CYCLE_1)
	s_lshl_b64 s[22:23], s[22:23], 2
	s_add_u32 s20, s19, s22
	s_addc_u32 s21, s12, s23
	s_add_u32 s10, s10, s15
	s_addc_u32 s11, s11, s13
	v_add_co_u32 v1, s10, s10, v1
	s_delay_alu instid0(VALU_DEP_1) | instskip(SKIP_2) | instid1(VALU_DEP_1)
	v_add_co_ci_u32_e64 v2, null, s11, 0, s10
	s_load_b32 s10, s[20:21], 0x0
	s_waitcnt lgkmcnt(0)
	v_mad_i64_i32 v[3:4], null, s9, s5, v[1:2]
	v_mad_i64_i32 v[9:10], null, s6, s5, v[1:2]
	;; [unrolled: 1-line block ×7, first 2 shown]
	s_clause 0x5
	global_load_b128 v[49:52], v[3:4], off
	global_load_b128 v[53:56], v[3:4], off offset:16
	global_load_b128 v[41:44], v[5:6], off
	global_load_b128 v[45:48], v[5:6], off offset:16
	;; [unrolled: 2-line block ×3, first 2 shown]
	s_mov_b32 s4, 0
	v_cmp_gt_i32_e64 s2, s17, v139
	v_mad_i64_i32 v[61:62], null, s10, s5, v[1:2]
	s_clause 0x9
	global_load_b128 v[1:4], v[9:10], off
	global_load_b128 v[5:8], v[9:10], off offset:16
	global_load_b128 v[9:12], v[13:14], off
	global_load_b128 v[13:16], v[13:14], off offset:16
	;; [unrolled: 2-line block ×5, first 2 shown]
	ds_load_b128 v[105:108], v117
	ds_load_b128 v[109:112], v117 offset:1024
	ds_load_b128 v[113:116], v117 offset:2048
	;; [unrolled: 1-line block ×3, first 2 shown]
	s_mov_b32 s11, s4
	s_mov_b32 s5, s4
	;; [unrolled: 1-line block ×7, first 2 shown]
	s_delay_alu instid0(SALU_CYCLE_1)
	v_dual_mov_b32 v128, s11 :: v_dual_mov_b32 v127, s10
	v_dual_mov_b32 v126, s9 :: v_dual_mov_b32 v125, s8
	;; [unrolled: 1-line block ×4, first 2 shown]
	v_cmp_gt_i32_e64 s3, s17, v140
	v_cmp_gt_i32_e64 s4, s17, v141
	;; [unrolled: 1-line block ×8, first 2 shown]
	s_waitcnt vmcnt(0) lgkmcnt(0)
	s_barrier
	buffer_gl0_inv
	v_wmma_f32_16x16x16_f16 v[129:136], v[73:80], v[105:112], v[121:128]
	v_wmma_f32_16x16x16_f16 v[121:128], v[81:88], v[105:112], v[121:128]
	v_or_b32_e32 v73, 20, v137
	v_or_b32_e32 v74, 22, v137
	s_delay_alu instid0(VALU_DEP_4)
	v_wmma_f32_16x16x16_f16 v[129:136], v[89:96], v[113:120], v[129:136]
	v_or_b32_e32 v75, 24, v137
	v_wmma_f32_16x16x16_f16 v[121:128], v[97:104], v[113:120], v[121:128]
	v_or_b32_e32 v76, 26, v137
	v_cmp_gt_i32_e64 s11, s17, v73
	v_dual_mul_f32 v85, s18, v130 :: v_dual_mul_f32 v86, s18, v129
	s_delay_alu instid0(VALU_DEP_4) | instskip(SKIP_1) | instid1(VALU_DEP_3)
	v_dual_mul_f32 v83, s18, v132 :: v_dual_mul_f32 v94, s18, v121
	v_mul_f32_e32 v84, s18, v131
	v_cndmask_b32_e64 v85, 0xff7fffff, v85, s2
	s_delay_alu instid0(VALU_DEP_4)
	v_cndmask_b32_e32 v86, 0xff7fffff, v86, vcc_lo
	v_dual_mul_f32 v81, s18, v134 :: v_dual_mul_f32 v92, s18, v123
	v_mul_f32_e32 v82, s18, v133
	v_cndmask_b32_e64 v84, 0xff7fffff, v84, s3
	v_cndmask_b32_e64 v83, 0xff7fffff, v83, s4
	v_max3_f32 v85, v86, 0xff7fffff, v85
	v_dual_mul_f32 v79, s18, v136 :: v_dual_mul_f32 v90, s18, v125
	v_mul_f32_e32 v80, s18, v135
	v_cndmask_b32_e64 v82, 0xff7fffff, v82, s5
	v_cndmask_b32_e64 v81, 0xff7fffff, v81, s6
	v_max3_f32 v83, v85, v84, v83
	v_mul_f32_e32 v93, s18, v122
	v_cndmask_b32_e64 v80, 0xff7fffff, v80, s7
	v_cndmask_b32_e64 v79, 0xff7fffff, v79, s8
	v_mul_f32_e32 v91, s18, v124
	v_max3_f32 v81, v83, v82, v81
	v_cndmask_b32_e64 v82, 0xff7fffff, v94, s9
	v_cndmask_b32_e64 v83, 0xff7fffff, v93, s10
	v_cmp_gt_i32_e64 s12, s17, v74
	v_or_b32_e32 v77, 28, v137
	v_max3_f32 v79, v81, v80, v79
	v_or_b32_e32 v78, 30, v137
	v_mul_f32_e32 v89, s18, v126
	v_cndmask_b32_e64 v73, 0xff7fffff, v92, s11
	v_cndmask_b32_e64 v74, 0xff7fffff, v91, s12
	v_max3_f32 v79, v79, v82, v83
	v_cmp_gt_i32_e64 s13, s17, v75
	v_cmp_gt_i32_e64 s15, s17, v76
	v_dual_mul_f32 v87, s18, v128 :: v_dual_mul_f32 v88, s18, v127
	s_delay_alu instid0(VALU_DEP_4) | instskip(NEXT) | instid1(VALU_DEP_4)
	v_max3_f32 v73, v79, v73, v74
	v_cndmask_b32_e64 v75, 0xff7fffff, v90, s13
	s_delay_alu instid0(VALU_DEP_4) | instskip(SKIP_2) | instid1(VALU_DEP_3)
	v_cndmask_b32_e64 v76, 0xff7fffff, v89, s15
	v_cmp_gt_i32_e64 s16, s17, v77
	v_cmp_gt_i32_e64 s17, s17, v78
	v_max3_f32 v73, v73, v75, v76
	s_delay_alu instid0(VALU_DEP_3) | instskip(NEXT) | instid1(VALU_DEP_3)
	v_cndmask_b32_e64 v74, 0xff7fffff, v88, s16
	v_cndmask_b32_e64 v77, 0xff7fffff, v87, s17
	v_lshlrev_b32_e32 v75, 2, v138
	s_delay_alu instid0(VALU_DEP_2) | instskip(SKIP_3) | instid1(VALU_DEP_1)
	v_max3_f32 v73, v73, v74, v77
	ds_bpermute_b32 v74, v75, v73
	s_waitcnt lgkmcnt(0)
	v_max_f32_e32 v74, v74, v74
	v_max_f32_e32 v73, v73, v74
	s_delay_alu instid0(VALU_DEP_1)
	v_fma_f32 v74, s18, v129, -v73
	v_fma_f32 v76, s18, v130, -v73
	;; [unrolled: 1-line block ×5, first 2 shown]
	v_mul_f32_e32 v74, 0x3fb8aa3b, v74
	s_delay_alu instid0(VALU_DEP_4) | instskip(NEXT) | instid1(VALU_DEP_4)
	v_dual_mul_f32 v76, 0x3fb8aa3b, v76 :: v_dual_mul_f32 v77, 0x3fb8aa3b, v77
	v_mul_f32_e32 v78, 0x3fb8aa3b, v78
	s_delay_alu instid0(VALU_DEP_4) | instskip(NEXT) | instid1(VALU_DEP_4)
	v_mul_f32_e32 v80, 0x3fb8aa3b, v80
	v_exp_f32_e32 v74, v74
	s_delay_alu instid0(VALU_DEP_3) | instskip(SKIP_4) | instid1(VALU_DEP_1)
	v_exp_f32_e32 v76, v76
	v_exp_f32_e32 v77, v77
	;; [unrolled: 1-line block ×3, first 2 shown]
	v_fma_f32 v83, s18, v135, -v73
	v_exp_f32_e32 v84, v80
	v_mul_f32_e32 v83, 0x3fb8aa3b, v83
	v_cndmask_b32_e32 v79, 0, v74, vcc_lo
	v_fma_f32 v74, s18, v134, -v73
	v_cndmask_b32_e64 v78, 0, v76, s2
	s_delay_alu instid0(TRANS32_DEP_3) | instskip(NEXT) | instid1(TRANS32_DEP_2)
	v_cndmask_b32_e64 v81, 0, v77, s3
	v_cndmask_b32_e64 v80, 0, v82, s4
	v_add_f32_e32 v76, 0, v79
	v_mul_f32_e32 v74, 0x3fb8aa3b, v74
	v_fma_f32 v82, s18, v121, -v73
	v_exp_f32_e32 v85, v83
	v_cndmask_b32_e64 v83, 0, v84, s5
	v_add_f32_e32 v76, v76, v78
	v_exp_f32_e32 v74, v74
	v_mul_f32_e32 v86, 0x3fb8aa3b, v82
	s_mov_b32 s2, exec_lo
	s_delay_alu instid0(VALU_DEP_2) | instskip(SKIP_4) | instid1(VALU_DEP_2)
	v_add_f32_e32 v76, v76, v81
	s_waitcnt_depctr 0xfff
	v_cndmask_b32_e64 v85, 0, v85, s7
	v_add_f32_e32 v76, v76, v80
	v_cndmask_b32_e64 v82, 0, v74, s6
	v_add_f32_e32 v74, v76, v83
	v_fma_f32 v77, s18, v136, -v73
	v_fma_f32 v84, s18, v122, -v73
	;; [unrolled: 1-line block ×5, first 2 shown]
	s_delay_alu instid0(VALU_DEP_4) | instskip(NEXT) | instid1(VALU_DEP_3)
	v_dual_mul_f32 v77, 0x3fb8aa3b, v77 :: v_dual_mul_f32 v84, 0x3fb8aa3b, v84
	v_dual_mul_f32 v76, 0x3fb8aa3b, v76 :: v_dual_mul_f32 v89, 0x3fb8aa3b, v87
	v_exp_f32_e32 v86, v86
	s_delay_alu instid0(VALU_DEP_2) | instskip(NEXT) | instid1(VALU_DEP_2)
	v_exp_f32_e32 v77, v77
	v_exp_f32_e32 v88, v84
	s_delay_alu instid0(VALU_DEP_1)
	v_exp_f32_e32 v76, v76
	v_exp_f32_e32 v91, v89
	v_fma_f32 v90, s18, v126, -v73
	v_cndmask_b32_e64 v87, 0, v86, s9
	v_cndmask_b32_e64 v84, 0, v77, s8
	v_fma_f32 v77, s18, v125, -v73
	v_add_f32_e32 v74, v74, v82
	s_delay_alu instid0(TRANS32_DEP_3) | instskip(SKIP_1) | instid1(TRANS32_DEP_2)
	v_cndmask_b32_e64 v86, 0, v88, s10
	v_fma_f32 v88, s18, v127, -v73
	v_cndmask_b32_e64 v89, 0, v76, s11
	v_mul_f32_e32 v77, 0x3fb8aa3b, v77
	v_add_f32_e32 v74, v74, v85
	v_mul_f32_e32 v90, 0x3fb8aa3b, v90
	v_mul_f32_e32 v76, 0x3fb8aa3b, v88
	v_cndmask_b32_e64 v88, 0, v91, s12
	v_exp_f32_e32 v77, v77
	s_delay_alu instid0(VALU_DEP_3) | instskip(NEXT) | instid1(VALU_DEP_2)
	v_exp_f32_e32 v90, v90
	v_exp_f32_e32 v76, v76
	s_delay_alu instid0(TRANS32_DEP_3)
	v_cndmask_b32_e64 v91, 0, v77, s13
	v_mul_f32_e32 v77, 0x3fb8aa3b, v92
	v_add_f32_e32 v74, v74, v84
	s_waitcnt_depctr 0xfff
	v_cndmask_b32_e64 v90, 0, v90, s15
	v_cndmask_b32_e64 v93, 0, v76, s16
	v_exp_f32_e32 v77, v77
	v_add_f32_e32 v74, v74, v87
	s_delay_alu instid0(VALU_DEP_1) | instskip(SKIP_3) | instid1(VALU_DEP_1)
	v_add_f32_e32 v74, v74, v86
	s_waitcnt_depctr 0xfff
	v_cndmask_b32_e64 v92, 0, v77, s17
	v_add_f32_e32 v74, v74, v89
	v_add_f32_e32 v74, v74, v88
	s_delay_alu instid0(VALU_DEP_1) | instskip(NEXT) | instid1(VALU_DEP_1)
	v_add_f32_e32 v74, v74, v91
	v_add_f32_e32 v74, v74, v90
	s_delay_alu instid0(VALU_DEP_1) | instskip(NEXT) | instid1(VALU_DEP_1)
	v_add_f32_e32 v74, v74, v93
	v_add_f32_e32 v74, v74, v92
	ds_bpermute_b32 v75, v75, v74
	v_cmpx_gt_u32_e32 16, v71
	s_cbranch_execz .LBB867_12
; %bb.11:
	v_mul_u32_u24_e32 v71, 0x44, v72
	s_waitcnt lgkmcnt(0)
	v_add_f32_e32 v74, v74, v75
	s_delay_alu instid0(VALU_DEP_2) | instskip(NEXT) | instid1(VALU_DEP_1)
	v_lshl_add_u32 v71, v70, 2, v71
	v_add_nc_u32_e32 v71, 0x4000, v71
	ds_store_2addr_b32 v71, v73, v74 offset1:136
.LBB867_12:
	s_or_b32 exec_lo, exec_lo, s2
	v_lshlrev_b32_e32 v71, 2, v70
	s_load_b32 s35, s[0:1], 0x94
	s_waitcnt lgkmcnt(0)
	s_barrier
	buffer_gl0_inv
	v_add_nc_u32_e32 v71, 0x4000, v71
	v_cmp_eq_u32_e32 vcc_lo, 1, v72
	v_cmp_eq_u32_e64 s2, 2, v72
	v_cmp_eq_u32_e64 s3, 3, v72
	;; [unrolled: 1-line block ×3, first 2 shown]
	ds_load_2addr_b32 v[73:74], v71 offset1:17
	ds_load_2addr_b32 v[94:95], v71 offset0:34 offset1:51
	ds_load_2addr_b32 v[96:97], v71 offset0:68 offset1:85
	;; [unrolled: 1-line block ×3, first 2 shown]
	v_cmp_eq_u32_e64 s5, 5, v72
	v_cmp_eq_u32_e64 s6, 7, v72
	s_waitcnt lgkmcnt(3)
	v_max3_f32 v75, v73, 0xff7fffff, v74
	s_waitcnt lgkmcnt(2)
	s_delay_alu instid0(VALU_DEP_1) | instskip(SKIP_1) | instid1(VALU_DEP_1)
	v_max3_f32 v75, v75, v94, v95
	s_waitcnt lgkmcnt(1)
	v_max3_f32 v75, v75, v96, v97
	s_waitcnt lgkmcnt(0)
	s_delay_alu instid0(VALU_DEP_1) | instskip(NEXT) | instid1(VALU_DEP_1)
	v_max3_f32 v76, v75, v98, v99
	v_sub_f32_e32 v96, v96, v76
	ds_load_2addr_b32 v[100:101], v71 offset0:136 offset1:153
	v_sub_f32_e32 v73, v73, v76
	v_sub_f32_e32 v75, v74, v76
	;; [unrolled: 1-line block ×3, first 2 shown]
	v_mul_f32_e32 v105, 0x3fb8aa3b, v96
	s_delay_alu instid0(VALU_DEP_4)
	v_mul_f32_e32 v77, 0x3fb8aa3b, v73
	ds_load_2addr_b32 v[73:74], v71 offset0:170 offset1:187
	v_mul_f32_e32 v103, 0x3fb8aa3b, v94
	v_exp_f32_e32 v102, v77
	v_sub_f32_e32 v77, v95, v76
	ds_load_2addr_b32 v[94:95], v71 offset0:204 offset1:221
	v_exp_f32_e32 v103, v103
	v_mul_f32_e32 v104, 0x3fb8aa3b, v77
	s_waitcnt lgkmcnt(2)
	v_fma_f32 v77, v102, v100, 0
	v_dual_sub_f32 v100, v97, v76 :: v_dual_mul_f32 v75, 0x3fb8aa3b, v75
	ds_load_2addr_b32 v[96:97], v71 offset0:238 offset1:255
	v_sub_f32_e32 v71, v98, v76
	v_exp_f32_e32 v104, v104
	v_mul_f32_e32 v98, 0x3fb8aa3b, v100
	v_exp_f32_e32 v75, v75
	v_exp_f32_e32 v100, v105
	v_mul_f32_e32 v71, 0x3fb8aa3b, v71
	s_waitcnt lgkmcnt(0)
	v_exp_f32_e32 v98, v98
	s_barrier
	buffer_gl0_inv
	v_fmac_f32_e32 v77, v75, v101
	s_delay_alu instid0(VALU_DEP_1) | instskip(SKIP_2) | instid1(VALU_DEP_2)
	v_fmac_f32_e32 v77, v103, v73
	v_sub_f32_e32 v73, v99, v76
	v_exp_f32_e32 v99, v71
	v_fmac_f32_e32 v77, v104, v74
	s_delay_alu instid0(VALU_DEP_2) | instskip(NEXT) | instid1(VALU_DEP_2)
	v_dual_mul_f32 v73, 0x3fb8aa3b, v73 :: v_dual_lshlrev_b32 v74, 6, v70
	v_dual_fmac_f32 v77, v100, v94 :: v_dual_lshlrev_b32 v70, 2, v69
	s_delay_alu instid0(VALU_DEP_2) | instskip(SKIP_1) | instid1(VALU_DEP_3)
	v_exp_f32_e32 v94, v73
	v_cndmask_b32_e32 v73, v102, v75, vcc_lo
	v_lshl_or_b32 v75, v72, 11, v74
	s_delay_alu instid0(VALU_DEP_3) | instskip(SKIP_1) | instid1(VALU_DEP_3)
	v_cmp_eq_u32_e64 s7, 7, v70
	v_fmac_f32_e32 v77, v98, v95
	v_lshl_or_b32 v69, v69, 4, v75
	s_delay_alu instid0(VALU_DEP_2)
	v_fmac_f32_e32 v77, v99, v96
	s_delay_alu instid0(TRANS32_DEP_1) | instid1(VALU_DEP_1)
	v_fmac_f32_e32 v77, v94, v97
	s_delay_alu instid0(VALU_DEP_1) | instskip(NEXT) | instid1(VALU_DEP_1)
	v_add_f32_e32 v95, 0x358637bd, v77
	v_div_scale_f32 v96, null, v95, v95, 1.0
	v_div_scale_f32 v101, vcc_lo, 1.0, v95, 1.0
	s_delay_alu instid0(VALU_DEP_2) | instskip(SKIP_2) | instid1(VALU_DEP_1)
	v_rcp_f32_e32 v97, v96
	s_waitcnt_depctr 0xfff
	v_fma_f32 v71, -v96, v97, 1.0
	v_fmac_f32_e32 v97, v71, v97
	v_cndmask_b32_e64 v71, v73, v103, s2
	v_cmp_eq_u32_e64 s2, 6, v72
	v_or_b32_e32 v73, 1, v70
	v_or_b32_e32 v72, 3, v70
	v_mul_f32_e32 v102, v101, v97
	v_cndmask_b32_e64 v71, v71, v104, s3
	v_cmp_eq_u32_e64 s3, 1, v70
	v_cmp_eq_u32_e64 s8, 1, v73
	;; [unrolled: 1-line block ×3, first 2 shown]
	v_fma_f32 v103, -v96, v102, v101
	v_cndmask_b32_e64 v100, v71, v100, s4
	v_or_b32_e32 v71, 2, v70
	v_cmp_eq_u32_e64 s4, 2, v70
	v_cmp_eq_u32_e64 s11, 2, v73
	v_fmac_f32_e32 v102, v103, v97
	v_cndmask_b32_e64 v98, v100, v98, s5
	v_cmp_eq_u32_e64 s9, 1, v71
	v_cmp_eq_u32_e64 s13, 2, v71
	;; [unrolled: 1-line block ×3, first 2 shown]
	v_fma_f32 v96, -v96, v102, v101
	v_cndmask_b32_e64 v98, v98, v99, s2
	v_cmp_eq_u32_e64 s12, 3, v73
	v_cmp_eq_u32_e64 s17, 3, v72
	;; [unrolled: 1-line block ×3, first 2 shown]
	v_div_fmas_f32 v96, v96, v97, v102
	v_cndmask_b32_e64 v94, v98, v94, s6
	v_cmp_eq_u32_e32 vcc_lo, 3, v70
	v_cmp_eq_u32_e64 s16, 3, v71
	v_cmp_eq_u32_e64 s18, 4, v73
	v_div_fixup_f32 v95, v96, v95, 1.0
	v_cmp_eq_u32_e64 s21, 4, v72
	v_cmp_eq_u32_e64 s5, 5, v70
	;; [unrolled: 1-line block ×4, first 2 shown]
	v_mul_f32_e32 v102, v94, v95
	v_cmp_eq_u32_e64 s23, 5, v72
	v_cmp_eq_u32_e64 s22, 5, v71
	;; [unrolled: 1-line block ×4, first 2 shown]
	v_fma_mixlo_f16 v94, v102, v79, 0
	v_fma_mixlo_f16 v95, v102, v81, 0
	;; [unrolled: 1-line block ×8, first 2 shown]
	v_fma_mixhi_f16 v94, v102, v78, 0
	v_fma_mixhi_f16 v95, v102, v80, 0
	v_fma_mixhi_f16 v96, v102, v82, 0
	v_fma_mixhi_f16 v97, v102, v84, 0
	v_fma_mixhi_f16 v98, v102, v86, 0
	v_fma_mixhi_f16 v99, v102, v88, 0
	v_fma_mixhi_f16 v100, v102, v90, 0
	v_fma_mixhi_f16 v101, v102, v92, 0
	ds_store_b128 v69, v[94:97]
	ds_store_b128 v69, v[98:101] offset:1024
	s_waitcnt lgkmcnt(0)
	s_barrier
	buffer_gl0_inv
	ds_load_b128 v[78:81], v75
	ds_load_b128 v[82:85], v75 offset:16
	ds_load_b128 v[86:89], v75 offset:1024
	;; [unrolled: 1-line block ×3, first 2 shown]
	v_cmp_eq_u32_e64 s6, 6, v70
	v_cmp_eq_u32_e64 s25, 6, v71
	;; [unrolled: 1-line block ×5, first 2 shown]
	s_waitcnt lgkmcnt(3)
	v_lshrrev_b32_e32 v94, 16, v78
	s_waitcnt lgkmcnt(2)
	v_lshrrev_b32_e32 v98, 16, v82
	;; [unrolled: 2-line block ×4, first 2 shown]
	v_lshrrev_b32_e32 v95, 16, v79
	v_cndmask_b32_e64 v110, v78, v94, s3
	v_cndmask_b32_e64 v111, v82, v98, s3
	;; [unrolled: 1-line block ×8, first 2 shown]
	v_lshrrev_b32_e32 v99, 16, v83
	v_cndmask_b32_e64 v94, v86, v102, s3
	v_cndmask_b32_e64 v98, v90, v106, s3
	;; [unrolled: 1-line block ×15, first 2 shown]
	v_lshrrev_b32_e32 v103, 16, v87
	v_lshrrev_b32_e32 v107, 16, v91
	v_cndmask_b32_e64 v113, v115, v83, s13
	v_cndmask_b32_e64 v82, v94, v87, s4
	;; [unrolled: 1-line block ×7, first 2 shown]
	v_cndmask_b32_e32 v90, v102, v95, vcc_lo
	v_cndmask_b32_e32 v102, v106, v99, vcc_lo
	v_cndmask_b32_e64 v106, v110, v95, s12
	v_cndmask_b32_e64 v110, v111, v99, s12
	;; [unrolled: 1-line block ×4, first 2 shown]
	v_lshrrev_b32_e32 v96, 16, v80
	v_lshrrev_b32_e32 v100, 16, v84
	v_cndmask_b32_e64 v111, v112, v95, s16
	v_cndmask_b32_e64 v112, v113, v99, s16
	v_cndmask_b32_e32 v82, v82, v103, vcc_lo
	v_cndmask_b32_e32 v83, v83, v107, vcc_lo
	v_cndmask_b32_e64 v94, v94, v103, s12
	v_cndmask_b32_e64 v90, v90, v80, s2
	;; [unrolled: 1-line block ×7, first 2 shown]
	v_lshrrev_b32_e32 v104, 16, v88
	v_cndmask_b32_e64 v106, v111, v80, s20
	v_cndmask_b32_e64 v110, v112, v84, s20
	;; [unrolled: 1-line block ×11, first 2 shown]
	v_lshrrev_b32_e32 v97, 16, v81
	v_lshrrev_b32_e32 v101, 16, v85
	v_cndmask_b32_e64 v99, v106, v96, s22
	v_cndmask_b32_e64 v102, v110, v100, s22
	;; [unrolled: 1-line block ×7, first 2 shown]
	v_lshrrev_b32_e32 v105, 16, v89
	v_cndmask_b32_e64 v80, v80, v104, s5
	v_cndmask_b32_e64 v84, v84, v81, s6
	;; [unrolled: 1-line block ×16, first 2 shown]
	v_perm_b32 v81, v79, v78, 0x5040100
	v_perm_b32 v79, v95, v85, 0x5040100
	v_cndmask_b32_e64 v78, v119, v91, s13
	v_cndmask_b32_e64 v85, v117, v91, s11
	;; [unrolled: 1-line block ×3, first 2 shown]
	v_perm_b32 v80, v94, v90, 0x5040100
	v_cndmask_b32_e64 v90, v98, v103, s16
	v_cndmask_b32_e64 v86, v86, v103, s17
	;; [unrolled: 1-line block ×5, first 2 shown]
	v_lshrrev_b32_e32 v108, 16, v92
	v_cndmask_b32_e64 v90, v90, v88, s20
	v_cndmask_b32_e64 v86, v86, v88, s21
	;; [unrolled: 1-line block ×11, first 2 shown]
	v_lshrrev_b32_e32 v109, 16, v93
	v_cndmask_b32_e64 v82, v82, v93, s6
	v_cndmask_b32_e64 v88, v88, v89, s25
	v_cndmask_b32_e64 v86, v86, v89, s26
	v_cndmask_b32_e64 v87, v87, v93, s26
	v_cndmask_b32_e64 v78, v78, v93, s25
	v_cndmask_b32_e64 v85, v85, v93, s24
	v_cndmask_b32_e64 v88, v88, v105, s27
	v_cndmask_b32_e64 v86, v86, v105, s28
	v_cndmask_b32_e64 v87, v87, v109, s28
	v_cndmask_b32_e64 v89, v78, v109, s27
	v_cndmask_b32_e64 v90, v85, v109, s29
	v_cndmask_b32_e64 v82, v82, v109, s7
	v_perm_b32 v78, v84, v83, 0x5040100
	v_perm_b32 v85, v87, v86, 0x5040100
	;; [unrolled: 1-line block ×5, first 2 shown]
	s_lshl_b32 s7, s34, 1
	s_mov_b32 s2, exec_lo
	ds_store_b128 v69, v[78:81]
	ds_store_b128 v69, v[82:85] offset:1024
	v_cmpx_gt_u32_e32 2, v0
	s_cbranch_execz .LBB867_14
; %bb.13:
	v_or_b32_e32 v78, s33, v0
	s_load_b128 s[8:11], s[0:1], 0x58
	s_delay_alu instid0(VALU_DEP_1) | instskip(NEXT) | instid1(VALU_DEP_1)
	v_mad_u64_u32 v[79:80], null, s7, s30, v[78:79]
	v_mad_u64_u32 v[80:81], null, v79, s35, s[14:15]
	s_delay_alu instid0(VALU_DEP_1) | instskip(NEXT) | instid1(VALU_DEP_1)
	v_ashrrev_i32_e32 v81, 31, v80
	v_lshlrev_b64 v[78:79], 2, v[80:81]
	s_waitcnt lgkmcnt(0)
	s_delay_alu instid0(VALU_DEP_1) | instskip(NEXT) | instid1(VALU_DEP_2)
	v_add_co_u32 v80, vcc_lo, s10, v78
	v_add_co_ci_u32_e32 v81, vcc_lo, s11, v79, vcc_lo
	v_add_co_u32 v78, vcc_lo, s8, v78
	v_add_co_ci_u32_e32 v79, vcc_lo, s9, v79, vcc_lo
	global_store_b32 v[80:81], v76, off
	global_store_b32 v[78:79], v77, off
.LBB867_14:
	s_or_b32 exec_lo, exec_lo, s2
	s_waitcnt lgkmcnt(0)
	s_waitcnt_vscnt null, 0x0
	s_barrier
	buffer_gl0_inv
	ds_load_b128 v[84:87], v74
	ds_load_b128 v[88:91], v74 offset:16
	ds_load_b128 v[96:99], v74 offset:2064
	;; [unrolled: 1-line block ×5, first 2 shown]
	v_cmp_eq_u32_e32 vcc_lo, 1, v70
	v_mov_b32_e32 v76, 0
	ds_load_b128 v[112:115], v74 offset:6160
	ds_load_b128 v[108:111], v74 offset:6144
	;; [unrolled: 1-line block ×4, first 2 shown]
	v_cmp_eq_u32_e64 s3, 1, v71
	v_cmp_eq_u32_e64 s2, 1, v73
	;; [unrolled: 1-line block ×3, first 2 shown]
	v_mov_b32_e32 v77, v76
	v_mov_b32_e32 v78, v76
	;; [unrolled: 1-line block ×7, first 2 shown]
	v_cmp_eq_u32_e64 s5, 3, v73
	v_cmp_eq_u32_e64 s6, 7, v73
	s_waitcnt lgkmcnt(8)
	s_delay_alu instid0(VALU_DEP_3)
	v_wmma_f32_16x16x16_f16 v[76:83], v[49:56], v[84:91], v[76:83]
	ds_load_b128 v[53:56], v74 offset:10256
	ds_load_b128 v[49:52], v74 offset:10240
	s_waitcnt lgkmcnt(8)
	v_wmma_f32_16x16x16_f16 v[76:83], v[41:48], v[92:99], v[76:83]
	ds_load_b128 v[45:48], v74 offset:12304
	ds_load_b128 v[41:44], v74 offset:12288
	s_waitcnt lgkmcnt(8)
	;; [unrolled: 4-line block ×3, first 2 shown]
	s_barrier
	buffer_gl0_inv
	v_wmma_f32_16x16x16_f16 v[76:83], v[1:8], v[108:115], v[76:83]
	s_delay_alu instid0(VALU_DEP_1) | instskip(NEXT) | instid1(VALU_DEP_1)
	v_wmma_f32_16x16x16_f16 v[76:83], v[9:16], v[116:123], v[76:83]
	v_wmma_f32_16x16x16_f16 v[76:83], v[17:24], v[49:56], v[76:83]
	s_delay_alu instid0(VALU_DEP_1) | instskip(NEXT) | instid1(VALU_DEP_1)
	v_wmma_f32_16x16x16_f16 v[76:83], v[25:32], v[41:48], v[76:83]
	v_wmma_f32_16x16x16_f16 v[76:83], v[57:64], v[33:40], v[76:83]
	s_delay_alu instid0(VALU_DEP_1) | instskip(NEXT) | instid1(VALU_DEP_2)
	v_cvt_f16_f32_e32 v1, v76
	v_cvt_f16_f32_e32 v2, v77
	s_delay_alu instid0(VALU_DEP_3) | instskip(NEXT) | instid1(VALU_DEP_4)
	v_cvt_f16_f32_e32 v3, v78
	v_cvt_f16_f32_e32 v4, v79
	;; [unrolled: 1-line block ×6, first 2 shown]
	v_pack_b32_f16 v1, v1, v2
	v_pack_b32_f16 v2, v3, v4
	;; [unrolled: 1-line block ×3, first 2 shown]
	s_delay_alu instid0(VALU_DEP_4)
	v_pack_b32_f16 v4, v7, v8
	ds_store_b128 v69, v[1:4]
	s_waitcnt lgkmcnt(0)
	s_barrier
	buffer_gl0_inv
	ds_load_b128 v[1:4], v75
	ds_load_b128 v[5:8], v75 offset:16
	s_waitcnt lgkmcnt(1)
	v_lshrrev_b32_e32 v9, 16, v1
	s_waitcnt lgkmcnt(0)
	v_lshrrev_b32_e32 v13, 16, v5
	v_lshrrev_b32_e32 v10, 16, v2
	;; [unrolled: 1-line block ×4, first 2 shown]
	v_cndmask_b32_e32 v17, v1, v9, vcc_lo
	v_cndmask_b32_e32 v18, v5, v13, vcc_lo
	v_cndmask_b32_e64 v21, v1, v9, s3
	v_cmp_eq_u32_e32 vcc_lo, 1, v72
	v_cndmask_b32_e64 v22, v5, v13, s3
	v_cmp_eq_u32_e64 s3, 2, v70
	v_cndmask_b32_e64 v19, v1, v9, s2
	v_cndmask_b32_e64 v20, v5, v13, s2
	v_cndmask_b32_e32 v1, v1, v9, vcc_lo
	v_cmp_eq_u32_e64 s2, 2, v72
	v_cndmask_b32_e32 v5, v5, v13, vcc_lo
	v_cndmask_b32_e64 v9, v17, v2, s3
	v_cmp_eq_u32_e32 vcc_lo, 3, v70
	v_cndmask_b32_e64 v13, v18, v6, s3
	v_cmp_eq_u32_e64 s3, 2, v71
	v_cndmask_b32_e64 v17, v19, v2, s4
	v_cndmask_b32_e64 v18, v20, v6, s4
	v_cmp_eq_u32_e64 s4, 3, v71
	v_cndmask_b32_e64 v1, v1, v2, s2
	v_cndmask_b32_e64 v19, v21, v2, s3
	;; [unrolled: 1-line block ×4, first 2 shown]
	v_cndmask_b32_e32 v5, v9, v10, vcc_lo
	v_cndmask_b32_e32 v6, v13, v14, vcc_lo
	v_cmp_eq_u32_e32 vcc_lo, 3, v72
	v_cndmask_b32_e64 v9, v17, v10, s5
	v_cndmask_b32_e64 v13, v18, v14, s5
	;; [unrolled: 1-line block ×3, first 2 shown]
	v_cmp_eq_u32_e64 s3, 4, v70
	v_cndmask_b32_e32 v1, v1, v10, vcc_lo
	v_cndmask_b32_e32 v2, v2, v14, vcc_lo
	v_cmp_eq_u32_e32 vcc_lo, 4, v73
	v_lshrrev_b32_e32 v15, 16, v7
	v_lshrrev_b32_e32 v16, 16, v8
	v_cndmask_b32_e64 v17, v19, v10, s4
	v_cmp_eq_u32_e64 s2, 4, v72
	v_cndmask_b32_e64 v5, v5, v3, s3
	v_cndmask_b32_e64 v6, v6, v7, s3
	v_cndmask_b32_e32 v9, v9, v3, vcc_lo
	v_cmp_eq_u32_e64 s3, 5, v73
	v_cndmask_b32_e32 v10, v13, v7, vcc_lo
	v_cmp_eq_u32_e32 vcc_lo, 4, v71
	v_cmp_eq_u32_e64 s4, 5, v70
	v_cndmask_b32_e64 v2, v2, v7, s2
	v_cndmask_b32_e64 v9, v9, v11, s3
	;; [unrolled: 1-line block ×3, first 2 shown]
	v_cndmask_b32_e32 v13, v17, v3, vcc_lo
	v_cmp_eq_u32_e64 s3, 5, v71
	v_cndmask_b32_e32 v14, v18, v7, vcc_lo
	v_cndmask_b32_e64 v1, v1, v3, s2
	v_cmp_eq_u32_e32 vcc_lo, 5, v72
	v_lshrrev_b32_e32 v12, 16, v4
	v_cndmask_b32_e64 v13, v13, v11, s3
	v_cndmask_b32_e64 v3, v14, v15, s3
	v_cmp_eq_u32_e64 s3, 6, v72
	v_cndmask_b32_e32 v1, v1, v11, vcc_lo
	v_cndmask_b32_e64 v5, v5, v11, s4
	v_cmp_eq_u32_e64 s5, 6, v70
	v_cndmask_b32_e64 v6, v6, v15, s4
	v_cmp_eq_u32_e64 s4, 6, v73
	v_cmp_eq_u32_e64 s2, 6, v71
	v_cndmask_b32_e64 v1, v1, v4, s3
	v_cndmask_b32_e32 v2, v2, v15, vcc_lo
	v_cmp_eq_u32_e32 vcc_lo, 7, v72
	v_cndmask_b32_e64 v5, v5, v4, s5
	v_cndmask_b32_e64 v9, v9, v4, s4
	;; [unrolled: 1-line block ×3, first 2 shown]
	v_cmp_eq_u32_e64 s5, 7, v70
	v_cndmask_b32_e32 v1, v1, v12, vcc_lo
	v_cndmask_b32_e64 v7, v13, v4, s2
	v_cndmask_b32_e64 v3, v3, v8, s2
	;; [unrolled: 1-line block ×3, first 2 shown]
	v_cmp_eq_u32_e64 s2, 7, v71
	v_cndmask_b32_e64 v4, v10, v8, s4
	v_cndmask_b32_e64 v5, v5, v12, s5
	;; [unrolled: 1-line block ×3, first 2 shown]
	v_cndmask_b32_e32 v2, v2, v16, vcc_lo
	v_cndmask_b32_e64 v7, v7, v12, s2
	v_cndmask_b32_e64 v3, v3, v16, s2
	;; [unrolled: 1-line block ×4, first 2 shown]
	v_perm_b32 v4, v2, v1, 0x5040100
	s_delay_alu instid0(VALU_DEP_4) | instskip(NEXT) | instid1(VALU_DEP_4)
	v_perm_b32 v3, v3, v7, 0x5040100
	v_perm_b32 v2, v8, v9, 0x5040100
	s_delay_alu instid0(VALU_DEP_4)
	v_perm_b32 v1, v6, v5, 0x5040100
	ds_store_b128 v69, v[1:4]
	s_waitcnt lgkmcnt(0)
	s_barrier
	buffer_gl0_inv
	s_and_saveexec_b32 s2, s31
	s_cbranch_execz .LBB867_2
; %bb.15:
	s_load_b64 s[0:1], s[0:1], 0x68
	v_lshlrev_b32_e32 v0, 10, v0
	s_lshl_b32 s2, s35, 6
	v_lshlrev_b32_e32 v1, 4, v68
	v_mul_lo_u32 v4, s2, v67
	s_mul_i32 s3, s2, s30
	v_and_b32_e32 v0, 0x3800, v0
	s_mul_i32 s2, s3, s7
	s_delay_alu instid0(SALU_CYCLE_1) | instskip(NEXT) | instid1(VALU_DEP_1)
	s_ashr_i32 s3, s2, 31
	v_or3_b32 v0, v0, v66, v1
	s_lshl_b64 s[2:3], s[2:3], 1
	s_delay_alu instid0(VALU_DEP_3)
	v_ashrrev_i32_e32 v5, 31, v4
	ds_load_b128 v[0:3], v0
	v_lshlrev_b64 v[4:5], 1, v[4:5]
	s_waitcnt lgkmcnt(0)
	s_add_u32 s2, s0, s2
	s_addc_u32 s3, s1, s3
	s_lshl_b32 s0, s14, 6
	s_delay_alu instid0(SALU_CYCLE_1) | instskip(NEXT) | instid1(SALU_CYCLE_1)
	s_ashr_i32 s1, s0, 31
	s_lshl_b64 s[0:1], s[0:1], 1
	s_delay_alu instid0(SALU_CYCLE_1) | instskip(SKIP_3) | instid1(VALU_DEP_2)
	s_add_u32 s0, s2, s0
	s_addc_u32 s1, s3, s1
	v_add_co_u32 v4, vcc_lo, s0, v4
	v_add_co_ci_u32_e32 v5, vcc_lo, s1, v5, vcc_lo
	v_add_co_u32 v4, vcc_lo, v4, v65
	s_delay_alu instid0(VALU_DEP_2)
	v_add_co_ci_u32_e32 v5, vcc_lo, 0, v5, vcc_lo
	global_store_b128 v[4:5], v[0:3], off
	s_nop 0
	s_sendmsg sendmsg(MSG_DEALLOC_VGPRS)
	s_endpgm
	.section	.rodata,"a",@progbits
	.p2align	6, 0x0
	.amdhsa_kernel _Z39paged_attention_ll4mi_QKV_mfma16_kernelIDF16_hLN4vllm18Fp8KVCacheDataTypeE1EhLi32ELi64ELi256ELb1ELi2EL8MFMAType1EEvPKT_PKT0_S8_ifPKiSA_SA_iPKfiiiPfSD_PS3_PT2_iSC_SC_
		.amdhsa_group_segment_fixed_size 17472
		.amdhsa_private_segment_fixed_size 0
		.amdhsa_kernarg_size 400
		.amdhsa_user_sgpr_count 13
		.amdhsa_user_sgpr_dispatch_ptr 0
		.amdhsa_user_sgpr_queue_ptr 0
		.amdhsa_user_sgpr_kernarg_segment_ptr 1
		.amdhsa_user_sgpr_dispatch_id 0
		.amdhsa_user_sgpr_private_segment_size 0
		.amdhsa_wavefront_size32 1
		.amdhsa_uses_dynamic_stack 0
		.amdhsa_enable_private_segment 0
		.amdhsa_system_sgpr_workgroup_id_x 1
		.amdhsa_system_sgpr_workgroup_id_y 1
		.amdhsa_system_sgpr_workgroup_id_z 1
		.amdhsa_system_sgpr_workgroup_info 0
		.amdhsa_system_vgpr_workitem_id 0
		.amdhsa_next_free_vgpr 148
		.amdhsa_next_free_sgpr 38
		.amdhsa_reserve_vcc 1
		.amdhsa_float_round_mode_32 0
		.amdhsa_float_round_mode_16_64 0
		.amdhsa_float_denorm_mode_32 3
		.amdhsa_float_denorm_mode_16_64 3
		.amdhsa_dx10_clamp 1
		.amdhsa_ieee_mode 1
		.amdhsa_fp16_overflow 0
		.amdhsa_workgroup_processor_mode 1
		.amdhsa_memory_ordered 1
		.amdhsa_forward_progress 0
		.amdhsa_shared_vgpr_count 0
		.amdhsa_exception_fp_ieee_invalid_op 0
		.amdhsa_exception_fp_denorm_src 0
		.amdhsa_exception_fp_ieee_div_zero 0
		.amdhsa_exception_fp_ieee_overflow 0
		.amdhsa_exception_fp_ieee_underflow 0
		.amdhsa_exception_fp_ieee_inexact 0
		.amdhsa_exception_int_div_zero 0
	.end_amdhsa_kernel
	.section	.text._Z39paged_attention_ll4mi_QKV_mfma16_kernelIDF16_hLN4vllm18Fp8KVCacheDataTypeE1EhLi32ELi64ELi256ELb1ELi2EL8MFMAType1EEvPKT_PKT0_S8_ifPKiSA_SA_iPKfiiiPfSD_PS3_PT2_iSC_SC_,"axG",@progbits,_Z39paged_attention_ll4mi_QKV_mfma16_kernelIDF16_hLN4vllm18Fp8KVCacheDataTypeE1EhLi32ELi64ELi256ELb1ELi2EL8MFMAType1EEvPKT_PKT0_S8_ifPKiSA_SA_iPKfiiiPfSD_PS3_PT2_iSC_SC_,comdat
.Lfunc_end867:
	.size	_Z39paged_attention_ll4mi_QKV_mfma16_kernelIDF16_hLN4vllm18Fp8KVCacheDataTypeE1EhLi32ELi64ELi256ELb1ELi2EL8MFMAType1EEvPKT_PKT0_S8_ifPKiSA_SA_iPKfiiiPfSD_PS3_PT2_iSC_SC_, .Lfunc_end867-_Z39paged_attention_ll4mi_QKV_mfma16_kernelIDF16_hLN4vllm18Fp8KVCacheDataTypeE1EhLi32ELi64ELi256ELb1ELi2EL8MFMAType1EEvPKT_PKT0_S8_ifPKiSA_SA_iPKfiiiPfSD_PS3_PT2_iSC_SC_
                                        ; -- End function
	.section	.AMDGPU.csdata,"",@progbits
; Kernel info:
; codeLenInByte = 6252
; NumSgprs: 40
; NumVgprs: 148
; ScratchSize: 0
; MemoryBound: 0
; FloatMode: 240
; IeeeMode: 1
; LDSByteSize: 17472 bytes/workgroup (compile time only)
; SGPRBlocks: 4
; VGPRBlocks: 18
; NumSGPRsForWavesPerEU: 40
; NumVGPRsForWavesPerEU: 148
; Occupancy: 9
; WaveLimiterHint : 1
; COMPUTE_PGM_RSRC2:SCRATCH_EN: 0
; COMPUTE_PGM_RSRC2:USER_SGPR: 13
; COMPUTE_PGM_RSRC2:TRAP_HANDLER: 0
; COMPUTE_PGM_RSRC2:TGID_X_EN: 1
; COMPUTE_PGM_RSRC2:TGID_Y_EN: 1
; COMPUTE_PGM_RSRC2:TGID_Z_EN: 1
; COMPUTE_PGM_RSRC2:TIDIG_COMP_CNT: 0
	.section	.text._Z39paged_attention_ll4mi_QKV_mfma16_kernelIDF16_hLN4vllm18Fp8KVCacheDataTypeE1EhLi32ELi64ELi256ELb1ELi3EL8MFMAType1EEvPKT_PKT0_S8_ifPKiSA_SA_iPKfiiiPfSD_PS3_PT2_iSC_SC_,"axG",@progbits,_Z39paged_attention_ll4mi_QKV_mfma16_kernelIDF16_hLN4vllm18Fp8KVCacheDataTypeE1EhLi32ELi64ELi256ELb1ELi3EL8MFMAType1EEvPKT_PKT0_S8_ifPKiSA_SA_iPKfiiiPfSD_PS3_PT2_iSC_SC_,comdat
	.protected	_Z39paged_attention_ll4mi_QKV_mfma16_kernelIDF16_hLN4vllm18Fp8KVCacheDataTypeE1EhLi32ELi64ELi256ELb1ELi3EL8MFMAType1EEvPKT_PKT0_S8_ifPKiSA_SA_iPKfiiiPfSD_PS3_PT2_iSC_SC_ ; -- Begin function _Z39paged_attention_ll4mi_QKV_mfma16_kernelIDF16_hLN4vllm18Fp8KVCacheDataTypeE1EhLi32ELi64ELi256ELb1ELi3EL8MFMAType1EEvPKT_PKT0_S8_ifPKiSA_SA_iPKfiiiPfSD_PS3_PT2_iSC_SC_
	.globl	_Z39paged_attention_ll4mi_QKV_mfma16_kernelIDF16_hLN4vllm18Fp8KVCacheDataTypeE1EhLi32ELi64ELi256ELb1ELi3EL8MFMAType1EEvPKT_PKT0_S8_ifPKiSA_SA_iPKfiiiPfSD_PS3_PT2_iSC_SC_
	.p2align	8
	.type	_Z39paged_attention_ll4mi_QKV_mfma16_kernelIDF16_hLN4vllm18Fp8KVCacheDataTypeE1EhLi32ELi64ELi256ELb1ELi3EL8MFMAType1EEvPKT_PKT0_S8_ifPKiSA_SA_iPKfiiiPfSD_PS3_PT2_iSC_SC_,@function
_Z39paged_attention_ll4mi_QKV_mfma16_kernelIDF16_hLN4vllm18Fp8KVCacheDataTypeE1EhLi32ELi64ELi256ELb1ELi3EL8MFMAType1EEvPKT_PKT0_S8_ifPKiSA_SA_iPKfiiiPfSD_PS3_PT2_iSC_SC_: ; @_Z39paged_attention_ll4mi_QKV_mfma16_kernelIDF16_hLN4vllm18Fp8KVCacheDataTypeE1EhLi32ELi64ELi256ELb1ELi3EL8MFMAType1EEvPKT_PKT0_S8_ifPKiSA_SA_iPKfiiiPfSD_PS3_PT2_iSC_SC_
; %bb.0:
	s_load_b64 s[2:3], s[0:1], 0x30
	s_mov_b32 s34, s13
	s_waitcnt lgkmcnt(0)
	s_cmp_lg_u64 s[2:3], 0
	s_cselect_b32 s6, -1, 0
	s_ashr_i32 s35, s13, 31
	s_cmp_eq_u64 s[2:3], 0
	s_cbranch_scc1 .LBB868_3
; %bb.1:
	s_lshl_b64 s[4:5], s[34:35], 2
	s_delay_alu instid0(SALU_CYCLE_1) | instskip(SKIP_4) | instid1(SALU_CYCLE_1)
	s_add_u32 s4, s2, s4
	s_addc_u32 s5, s3, s5
	s_load_b64 s[4:5], s[4:5], 0x0
	s_waitcnt lgkmcnt(0)
	s_sub_i32 s4, s5, s4
	s_cmp_eq_u32 s4, 1
	s_cselect_b32 s4, -1, 0
	s_delay_alu instid0(SALU_CYCLE_1)
	s_and_not1_b32 vcc_lo, exec_lo, s4
	s_cbranch_vccz .LBB868_4
.LBB868_2:
	s_nop 0
	s_sendmsg sendmsg(MSG_DEALLOC_VGPRS)
	s_endpgm
.LBB868_3:
.LBB868_4:
	s_load_b64 s[8:9], s[0:1], 0x28
	s_lshl_b64 s[4:5], s[34:35], 2
	s_waitcnt lgkmcnt(0)
	s_add_u32 s8, s8, s4
	s_addc_u32 s9, s9, s5
	s_lshl_b32 s16, s14, 8
	s_load_b32 s18, s[8:9], 0x0
	s_waitcnt lgkmcnt(0)
	s_cmp_ge_i32 s16, s18
	s_cbranch_scc1 .LBB868_2
; %bb.5:
	s_clause 0x1
	s_load_b128 s[8:11], s[0:1], 0x8
	s_load_b64 s[12:13], s[0:1], 0x20
	s_and_not1_b32 vcc_lo, exec_lo, s6
	s_cbranch_vccnz .LBB868_7
; %bb.6:
	s_add_u32 s2, s2, s4
	s_addc_u32 s3, s3, s5
	s_load_b32 s3, s[2:3], 0x0
	s_branch .LBB868_8
.LBB868_7:
	s_mov_b32 s3, s34
.LBB868_8:
	s_load_b128 s[4:7], s[0:1], 0x48
	v_lshrrev_b32_e32 v69, 5, v0
	v_bfe_u32 v66, v0, 4, 1
	v_and_b32_e32 v68, 15, v0
	v_and_b32_e32 v70, 31, v0
	;; [unrolled: 1-line block ×3, first 2 shown]
	s_mul_i32 s33, s15, 3
	v_lshl_or_b32 v1, v69, 1, v66
	v_lshlrev_b32_e32 v2, 3, v68
	v_cmp_gt_u32_e64 s2, 8, v68
	s_delay_alu instid0(VALU_DEP_3) | instskip(NEXT) | instid1(VALU_DEP_3)
	v_cmp_gt_u32_e32 vcc_lo, 3, v1
	v_lshlrev_b32_e32 v65, 1, v2
	s_delay_alu instid0(VALU_DEP_3)
	s_and_b32 s17, s2, vcc_lo
	s_waitcnt lgkmcnt(0)
	s_and_saveexec_b32 s7, s17
	s_cbranch_execz .LBB868_10
; %bb.9:
	s_load_b64 s[20:21], s[0:1], 0x0
	v_add_lshl_u32 v2, v1, s33, 6
	s_mul_hi_i32 s23, s3, s4
	s_mul_i32 s22, s3, s4
	v_lshlrev_b32_e32 v6, 10, v68
	s_lshl_b64 s[22:23], s[22:23], 1
	v_ashrrev_i32_e32 v3, 31, v2
	v_lshlrev_b32_e32 v1, 6, v1
	v_lshlrev_b32_e32 v7, 10, v67
	v_and_b32_e32 v6, 0x3800, v6
	s_delay_alu instid0(VALU_DEP_4) | instskip(NEXT) | instid1(VALU_DEP_2)
	v_lshlrev_b64 v[2:3], 1, v[2:3]
	v_or3_b32 v1, v6, v7, v1
	s_waitcnt lgkmcnt(0)
	s_add_u32 s3, s20, s22
	s_addc_u32 s4, s21, s23
	s_delay_alu instid0(VALU_DEP_2) | instskip(SKIP_1) | instid1(VALU_DEP_2)
	v_add_co_u32 v2, vcc_lo, s3, v2
	v_add_co_ci_u32_e32 v3, vcc_lo, s4, v3, vcc_lo
	v_add_co_u32 v2, vcc_lo, v2, v65
	s_delay_alu instid0(VALU_DEP_2)
	v_add_co_ci_u32_e32 v3, vcc_lo, 0, v3, vcc_lo
	global_load_b128 v[2:5], v[2:3], off
	s_waitcnt vmcnt(0)
	ds_store_b128 v1, v[2:5]
.LBB868_10:
	s_or_b32 exec_lo, exec_lo, s7
	v_and_b32_e32 v1, 0xef, v0
	s_add_i32 s3, s18, 31
	s_clause 0x1
	s_load_b32 s4, s[0:1], 0x38
	s_load_b32 s35, s[0:1], 0x98
	s_ashr_i32 s7, s3, 31
	v_add_nc_u32_e32 v1, s16, v1
	s_lshr_b32 s7, s7, 27
	s_load_b32 s19, s[0:1], 0x1c
	s_add_i32 s3, s3, s7
	s_waitcnt lgkmcnt(0)
	v_ashrrev_i32_e32 v2, 31, v1
	v_or_b32_e32 v3, 16, v1
	s_ashr_i32 s3, s3, 5
	v_cmp_gt_i32_e32 vcc_lo, s18, v1
	s_add_i32 s3, s3, -1
	v_lshrrev_b32_e32 v2, 27, v2
	s_barrier
	buffer_gl0_inv
	s_mul_i32 s15, s15, s6
	v_mul_lo_u16 v103, 0x56, v68
	v_add_nc_u32_e32 v4, v1, v2
	v_mbcnt_lo_u32_b32 v127, -1, 0
	s_mul_i32 s20, s34, s4
	s_delay_alu instid0(SALU_CYCLE_1) | instskip(NEXT) | instid1(VALU_DEP_2)
	s_ashr_i32 s21, s20, 31
	v_ashrrev_i32_e32 v4, 5, v4
	v_add_nc_u32_e32 v2, v3, v2
	s_lshl_b64 s[20:21], s[20:21], 2
	v_lshrrev_b16 v103, 8, v103
	s_add_u32 s17, s12, s20
	v_cndmask_b32_e32 v1, s3, v4, vcc_lo
	v_ashrrev_i32_e32 v2, 5, v2
	v_cmp_gt_i32_e32 vcc_lo, s18, v3
	s_addc_u32 s13, s13, s21
	s_ashr_i32 s20, s15, 31
	s_add_u32 s22, s8, s15
	s_addc_u32 s23, s9, s20
	v_cndmask_b32_e32 v3, s3, v2, vcc_lo
	v_ashrrev_i32_e32 v2, 31, v1
	s_lshl_b32 s6, s14, 3
	v_mul_lo_u16 v103, v103, 3
	s_ashr_i32 s7, s6, 31
	v_ashrrev_i32_e32 v4, 31, v3
	v_lshlrev_b64 v[1:2], 2, v[1:2]
	s_lshl_b64 s[6:7], s[6:7], 2
	v_sub_nc_u16 v103, v68, v103
	s_add_u32 s6, s17, s6
	v_lshlrev_b64 v[3:4], 2, v[3:4]
	s_addc_u32 s7, s13, s7
	v_add_co_u32 v1, vcc_lo, s17, v1
	v_add_co_ci_u32_e32 v2, vcc_lo, s13, v2, vcc_lo
	s_delay_alu instid0(VALU_DEP_3) | instskip(NEXT) | instid1(VALU_DEP_4)
	v_add_co_u32 v3, vcc_lo, s17, v3
	v_add_co_ci_u32_e32 v4, vcc_lo, s13, v4, vcc_lo
	s_clause 0x1
	global_load_b32 v5, v[1:2], off
	global_load_b32 v6, v[3:4], off
	s_or_b32 s4, s16, 32
	v_xor_b32_e32 v128, 16, v127
	s_ashr_i32 s8, s4, 5
	s_cmp_lt_i32 s4, s18
	s_cselect_b32 s8, s8, s3
	s_delay_alu instid0(SALU_CYCLE_1) | instskip(NEXT) | instid1(SALU_CYCLE_1)
	s_ashr_i32 s9, s8, 31
	s_lshl_b64 s[8:9], s[8:9], 2
	s_delay_alu instid0(SALU_CYCLE_1) | instskip(SKIP_2) | instid1(SALU_CYCLE_1)
	s_add_u32 s8, s17, s8
	s_addc_u32 s9, s13, s9
	s_or_b32 s4, s16, 64
	s_ashr_i32 s12, s4, 5
	s_cmp_lt_i32 s4, s18
	s_cselect_b32 s24, s12, s3
	s_delay_alu instid0(SALU_CYCLE_1) | instskip(NEXT) | instid1(SALU_CYCLE_1)
	s_ashr_i32 s25, s24, 31
	s_lshl_b64 s[24:25], s[24:25], 2
	s_delay_alu instid0(SALU_CYCLE_1) | instskip(SKIP_2) | instid1(SALU_CYCLE_1)
	s_add_u32 s24, s17, s24
	s_addc_u32 s25, s13, s25
	s_or_b32 s4, s16, 0x60
	;; [unrolled: 10-line block ×4, first 2 shown]
	s_ashr_i32 s12, s4, 5
	s_cmp_lt_i32 s4, s18
	s_cselect_b32 s30, s12, s3
	s_delay_alu instid0(SALU_CYCLE_1) | instskip(NEXT) | instid1(SALU_CYCLE_1)
	s_ashr_i32 s31, s30, 31
	s_lshl_b64 s[30:31], s[30:31], 2
	s_delay_alu instid0(SALU_CYCLE_1)
	s_add_u32 s30, s17, s30
	s_addc_u32 s31, s13, s31
	s_clause 0x5
	s_load_b32 s12, s[6:7], 0x0
	s_load_b32 s4, s[8:9], 0x0
	;; [unrolled: 1-line block ×6, first 2 shown]
	s_or_b32 s21, s16, 0xc0
	s_waitcnt vmcnt(1)
	v_mad_i64_i32 v[1:2], null, v5, s5, s[22:23]
	v_lshlrev_b32_e32 v5, 4, v68
	s_waitcnt vmcnt(0)
	v_mad_i64_i32 v[3:4], null, v6, s5, s[22:23]
	s_ashr_i32 s22, s21, 5
	s_cmp_lt_i32 s21, s18
	s_delay_alu instid0(VALU_DEP_3) | instskip(NEXT) | instid1(VALU_DEP_4)
	v_add_co_u32 v1, vcc_lo, v1, v5
	v_add_co_ci_u32_e32 v2, vcc_lo, 0, v2, vcc_lo
	s_delay_alu instid0(VALU_DEP_3) | instskip(NEXT) | instid1(VALU_DEP_4)
	v_add_co_u32 v3, vcc_lo, v3, v5
	v_add_co_ci_u32_e32 v4, vcc_lo, 0, v4, vcc_lo
	s_clause 0x7
	global_load_b128 v[71:74], v[1:2], off
	global_load_b128 v[75:78], v[1:2], off offset:512
	global_load_b128 v[79:82], v[3:4], off offset:256
	;; [unrolled: 1-line block ×7, first 2 shown]
	s_cselect_b32 s22, s22, s3
	v_lshlrev_b32_e32 v1, 5, v68
	s_ashr_i32 s23, s22, 31
	v_cmp_gt_i32_e32 vcc_lo, 32, v128
	s_lshl_b64 s[22:23], s[22:23], 2
	v_and_b32_e32 v103, 0xff, v103
	s_add_u32 s22, s17, s22
	s_addc_u32 s23, s13, s23
	v_cndmask_b32_e32 v136, v127, v128, vcc_lo
	s_or_b32 s21, s16, 0xe0
	v_lshl_or_b32 v1, v69, 9, v1
	s_ashr_i32 s24, s21, 5
	s_cmp_lt_i32 s21, s18
	v_lshlrev_b32_e32 v115, 6, v103
	s_cselect_b32 s24, s24, s3
	s_load_b32 s3, s[22:23], 0x0
	s_ashr_i32 s25, s24, 31
	s_delay_alu instid0(SALU_CYCLE_1) | instskip(NEXT) | instid1(SALU_CYCLE_1)
	s_lshl_b64 s[24:25], s[24:25], 2
	s_add_u32 s22, s17, s24
	s_addc_u32 s23, s13, s25
	s_add_u32 s10, s10, s15
	s_addc_u32 s11, s11, s20
	v_add_co_u32 v1, s10, s10, v1
	s_delay_alu instid0(VALU_DEP_1) | instskip(SKIP_2) | instid1(VALU_DEP_1)
	v_add_co_ci_u32_e64 v2, null, s11, 0, s10
	s_load_b32 s10, s[22:23], 0x0
	s_waitcnt lgkmcnt(0)
	v_mad_i64_i32 v[3:4], null, s12, s5, v[1:2]
	v_mad_i64_i32 v[9:10], null, s7, s5, v[1:2]
	;; [unrolled: 1-line block ×7, first 2 shown]
	s_clause 0x5
	global_load_b128 v[49:52], v[3:4], off
	global_load_b128 v[53:56], v[3:4], off offset:16
	global_load_b128 v[41:44], v[5:6], off
	global_load_b128 v[45:48], v[5:6], off offset:16
	;; [unrolled: 2-line block ×3, first 2 shown]
	s_mov_b32 s4, 0
	v_mad_i64_i32 v[61:62], null, s10, s5, v[1:2]
	s_clause 0x9
	global_load_b128 v[1:4], v[9:10], off
	global_load_b128 v[5:8], v[9:10], off offset:16
	global_load_b128 v[9:12], v[13:14], off
	global_load_b128 v[13:16], v[13:14], off offset:16
	;; [unrolled: 2-line block ×5, first 2 shown]
	s_mov_b32 s5, s4
	s_mov_b32 s6, s4
	;; [unrolled: 1-line block ×7, first 2 shown]
	v_and_b32_e32 v104, 0xe0, v0
	v_dual_mov_b32 v126, s11 :: v_dual_mov_b32 v123, s8
	v_dual_mov_b32 v125, s10 :: v_dual_mov_b32 v124, s9
	s_delay_alu instid0(VALU_DEP_3)
	v_add_nc_u32_e32 v111, s16, v104
	ds_load_b128 v[103:106], v115
	ds_load_b128 v[107:110], v115 offset:1024
	v_dual_mov_b32 v122, s7 :: v_dual_mov_b32 v121, s6
	v_mov_b32_e32 v120, s5
	v_or_b32_e32 v135, v111, v66
	ds_load_b128 v[111:114], v115 offset:2048
	ds_load_b128 v[115:118], v115 offset:3072
	v_mov_b32_e32 v119, s4
	s_waitcnt vmcnt(0) lgkmcnt(0)
	s_barrier
	v_or_b32_e32 v137, 2, v135
	v_or_b32_e32 v138, 4, v135
	;; [unrolled: 1-line block ×3, first 2 shown]
	v_cmp_gt_i32_e32 vcc_lo, s18, v135
	v_or_b32_e32 v140, 8, v135
	v_cmp_gt_i32_e64 s3, s18, v137
	v_or_b32_e32 v141, 10, v135
	v_cmp_gt_i32_e64 s4, s18, v138
	v_cmp_gt_i32_e64 s5, s18, v139
	v_or_b32_e32 v142, 12, v135
	v_or_b32_e32 v143, 14, v135
	v_cmp_gt_i32_e64 s6, s18, v140
	v_cmp_gt_i32_e64 s7, s18, v141
	v_or_b32_e32 v144, 16, v135
	v_or_b32_e32 v145, 18, v135
	v_cmp_gt_i32_e64 s8, s18, v142
	v_cmp_gt_i32_e64 s9, s18, v143
	buffer_gl0_inv
	v_cmp_gt_i32_e64 s10, s18, v144
	v_cmp_gt_i32_e64 s11, s18, v145
	v_wmma_f32_16x16x16_f16 v[127:134], v[71:78], v[103:110], v[119:126]
	v_wmma_f32_16x16x16_f16 v[119:126], v[79:86], v[103:110], v[119:126]
	v_or_b32_e32 v71, 20, v135
	v_or_b32_e32 v72, 22, v135
	s_delay_alu instid0(VALU_DEP_4)
	v_wmma_f32_16x16x16_f16 v[127:134], v[87:94], v[111:118], v[127:134]
	v_or_b32_e32 v73, 24, v135
	v_wmma_f32_16x16x16_f16 v[119:126], v[95:102], v[111:118], v[119:126]
	v_or_b32_e32 v74, 26, v135
	v_cmp_gt_i32_e64 s12, s18, v71
	v_dual_mul_f32 v84, s19, v127 :: v_dual_mul_f32 v83, s19, v128
	s_delay_alu instid0(VALU_DEP_4) | instskip(SKIP_2) | instid1(VALU_DEP_4)
	v_dual_mul_f32 v92, s19, v119 :: v_dual_mul_f32 v81, s19, v130
	v_mul_f32_e32 v90, s19, v121
	v_mul_f32_e32 v82, s19, v129
	v_cndmask_b32_e32 v84, 0xff7fffff, v84, vcc_lo
	v_cndmask_b32_e64 v83, 0xff7fffff, v83, s3
	v_dual_mul_f32 v79, s19, v132 :: v_dual_mul_f32 v88, s19, v123
	v_mul_f32_e32 v80, s19, v131
	v_cndmask_b32_e64 v82, 0xff7fffff, v82, s4
	v_cndmask_b32_e64 v81, 0xff7fffff, v81, s5
	v_max3_f32 v83, v84, 0xff7fffff, v83
	v_dual_mul_f32 v77, s19, v134 :: v_dual_mul_f32 v86, s19, v125
	v_mul_f32_e32 v78, s19, v133
	v_cndmask_b32_e64 v80, 0xff7fffff, v80, s6
	v_cndmask_b32_e64 v79, 0xff7fffff, v79, s7
	v_max3_f32 v81, v83, v82, v81
	v_mul_f32_e32 v91, s19, v120
	v_cndmask_b32_e64 v78, 0xff7fffff, v78, s8
	v_cndmask_b32_e64 v77, 0xff7fffff, v77, s9
	v_mul_f32_e32 v89, s19, v122
	v_max3_f32 v79, v81, v80, v79
	v_cndmask_b32_e64 v80, 0xff7fffff, v92, s10
	v_cndmask_b32_e64 v81, 0xff7fffff, v91, s11
	v_cmp_gt_i32_e64 s13, s18, v72
	v_or_b32_e32 v75, 28, v135
	v_max3_f32 v77, v79, v78, v77
	v_or_b32_e32 v76, 30, v135
	v_mul_f32_e32 v87, s19, v124
	v_cndmask_b32_e64 v71, 0xff7fffff, v90, s12
	v_cndmask_b32_e64 v72, 0xff7fffff, v89, s13
	v_max3_f32 v77, v77, v80, v81
	v_cmp_gt_i32_e64 s15, s18, v73
	v_cmp_gt_i32_e64 s16, s18, v74
	v_mul_f32_e32 v85, s19, v126
	v_cmp_gt_i32_e64 s17, s18, v75
	v_max3_f32 v71, v77, v71, v72
	v_cndmask_b32_e64 v73, 0xff7fffff, v88, s15
	v_cndmask_b32_e64 v74, 0xff7fffff, v87, s16
	v_cmp_gt_i32_e64 s18, s18, v76
	v_cndmask_b32_e64 v72, 0xff7fffff, v86, s17
	s_delay_alu instid0(VALU_DEP_3) | instskip(NEXT) | instid1(VALU_DEP_3)
	v_max3_f32 v71, v71, v73, v74
	v_cndmask_b32_e64 v75, 0xff7fffff, v85, s18
	v_lshlrev_b32_e32 v73, 2, v136
	s_delay_alu instid0(VALU_DEP_2) | instskip(SKIP_3) | instid1(VALU_DEP_1)
	v_max3_f32 v71, v71, v72, v75
	ds_bpermute_b32 v72, v73, v71
	s_waitcnt lgkmcnt(0)
	v_max_f32_e32 v72, v72, v72
	v_max_f32_e32 v71, v71, v72
	s_delay_alu instid0(VALU_DEP_1) | instskip(SKIP_2) | instid1(VALU_DEP_3)
	v_fma_f32 v72, s19, v127, -v71
	v_fma_f32 v74, s19, v128, -v71
	;; [unrolled: 1-line block ×3, first 2 shown]
	v_mul_f32_e32 v72, 0x3fb8aa3b, v72
	s_delay_alu instid0(VALU_DEP_2) | instskip(NEXT) | instid1(VALU_DEP_2)
	v_dual_mul_f32 v74, 0x3fb8aa3b, v74 :: v_dual_mul_f32 v75, 0x3fb8aa3b, v75
	v_exp_f32_e32 v72, v72
	s_delay_alu instid0(VALU_DEP_1) | instskip(NEXT) | instid1(VALU_DEP_1)
	v_exp_f32_e32 v74, v74
	v_exp_f32_e32 v75, v75
	s_delay_alu instid0(TRANS32_DEP_3)
	v_cndmask_b32_e32 v79, 0, v72, vcc_lo
	s_waitcnt_depctr 0xfff
	v_cndmask_b32_e64 v78, 0, v74, s3
	v_cndmask_b32_e64 v81, 0, v75, s4
	v_cmp_gt_u32_e64 s3, 16, v70
	v_add_f32_e32 v74, 0, v79
	s_delay_alu instid0(VALU_DEP_1) | instskip(NEXT) | instid1(VALU_DEP_1)
	v_add_f32_e32 v74, v74, v78
	v_add_f32_e32 v74, v74, v81
	v_fma_f32 v76, s19, v130, -v71
	v_fma_f32 v77, s19, v131, -v71
	;; [unrolled: 1-line block ×5, first 2 shown]
	s_delay_alu instid0(VALU_DEP_4) | instskip(NEXT) | instid1(VALU_DEP_4)
	v_dual_mul_f32 v76, 0x3fb8aa3b, v76 :: v_dual_mul_f32 v77, 0x3fb8aa3b, v77
	v_mul_f32_e32 v72, 0x3fb8aa3b, v72
	s_delay_alu instid0(VALU_DEP_4) | instskip(SKIP_1) | instid1(VALU_DEP_4)
	v_mul_f32_e32 v82, 0x3fb8aa3b, v80
	v_fma_f32 v86, s19, v122, -v71
	v_exp_f32_e32 v76, v76
	v_exp_f32_e32 v77, v77
	;; [unrolled: 1-line block ×4, first 2 shown]
	v_mul_f32_e32 v86, 0x3fb8aa3b, v86
	s_delay_alu instid0(VALU_DEP_1)
	v_exp_f32_e32 v88, v86
	v_cndmask_b32_e64 v80, 0, v76, s5
	v_mul_f32_e32 v75, 0x3fb8aa3b, v75
	v_fma_f32 v76, s19, v119, -v71
	v_cndmask_b32_e64 v83, 0, v77, s6
	v_fma_f32 v77, s19, v120, -v71
	v_add_f32_e32 v74, v74, v80
	v_exp_f32_e32 v75, v75
	v_mul_f32_e32 v76, 0x3fb8aa3b, v76
	v_cndmask_b32_e64 v82, 0, v72, s7
	s_delay_alu instid0(VALU_DEP_3) | instskip(SKIP_1) | instid1(VALU_DEP_4)
	v_dual_mul_f32 v77, 0x3fb8aa3b, v77 :: v_dual_add_f32 v72, v74, v83
	v_fma_f32 v74, s19, v121, -v71
	v_exp_f32_e32 v76, v76
	v_cndmask_b32_e64 v85, 0, v84, s8
	s_delay_alu instid0(VALU_DEP_3) | instskip(SKIP_1) | instid1(TRANS32_DEP_3)
	v_exp_f32_e32 v77, v77
	v_cndmask_b32_e64 v88, 0, v88, s13
	v_cndmask_b32_e64 v84, 0, v75, s9
	v_fma_f32 v75, s19, v123, -v71
	v_add_f32_e32 v72, v72, v82
	s_delay_alu instid0(VALU_DEP_2) | instskip(NEXT) | instid1(VALU_DEP_2)
	v_dual_mul_f32 v74, 0x3fb8aa3b, v74 :: v_dual_mul_f32 v75, 0x3fb8aa3b, v75
	v_add_f32_e32 v72, v72, v85
	s_delay_alu instid0(VALU_DEP_2)
	v_exp_f32_e32 v74, v74
	v_cndmask_b32_e64 v87, 0, v76, s10
	v_fma_f32 v76, s19, v124, -v71
	v_cndmask_b32_e64 v86, 0, v77, s11
	v_add_f32_e32 v72, v72, v84
	v_fma_f32 v77, s19, v125, -v71
	v_exp_f32_e32 v75, v75
	v_mul_f32_e32 v76, 0x3fb8aa3b, v76
	s_delay_alu instid0(VALU_DEP_3) | instskip(NEXT) | instid1(TRANS32_DEP_2)
	v_add_f32_e32 v72, v72, v87
	v_cndmask_b32_e64 v89, 0, v74, s12
	v_mul_f32_e32 v74, 0x3fb8aa3b, v77
	s_delay_alu instid0(VALU_DEP_4) | instskip(SKIP_2) | instid1(VALU_DEP_3)
	v_exp_f32_e32 v76, v76
	v_fma_f32 v77, s19, v126, -v71
	v_add_f32_e32 v72, v72, v86
	v_exp_f32_e32 v74, v74
	s_delay_alu instid0(TRANS32_DEP_3) | instskip(NEXT) | instid1(VALU_DEP_3)
	v_cndmask_b32_e64 v91, 0, v75, s15
	v_mul_f32_e32 v75, 0x3fb8aa3b, v77
	s_delay_alu instid0(VALU_DEP_3) | instskip(NEXT) | instid1(TRANS32_DEP_2)
	v_add_f32_e32 v72, v72, v89
	v_cndmask_b32_e64 v90, 0, v76, s16
	s_delay_alu instid0(VALU_DEP_3) | instskip(NEXT) | instid1(VALU_DEP_2)
	v_exp_f32_e32 v75, v75
	v_add_f32_e32 v72, v72, v88
	s_delay_alu instid0(TRANS32_DEP_2) | instskip(NEXT) | instid1(VALU_DEP_2)
	v_cndmask_b32_e64 v93, 0, v74, s17
	v_add_f32_e32 v72, v72, v91
	s_waitcnt_depctr 0xfff
	v_cndmask_b32_e64 v92, 0, v75, s18
	v_add_f32_e32 v72, v72, v90
	s_delay_alu instid0(VALU_DEP_1) | instskip(NEXT) | instid1(VALU_DEP_1)
	v_add_f32_e32 v72, v72, v93
	v_add_f32_e32 v72, v72, v92
	ds_bpermute_b32 v73, v73, v72
	s_and_saveexec_b32 s4, s3
	s_cbranch_execz .LBB868_12
; %bb.11:
	v_mul_u32_u24_e32 v70, 0x44, v69
	s_waitcnt lgkmcnt(0)
	v_add_f32_e32 v72, v72, v73
	s_delay_alu instid0(VALU_DEP_2) | instskip(NEXT) | instid1(VALU_DEP_1)
	v_lshl_add_u32 v70, v68, 2, v70
	v_add_nc_u32_e32 v70, 0x4000, v70
	ds_store_2addr_b32 v70, v71, v72 offset1:136
.LBB868_12:
	s_or_b32 exec_lo, exec_lo, s4
	v_lshlrev_b32_e32 v70, 2, v68
	s_load_b32 s36, s[0:1], 0x94
	s_waitcnt lgkmcnt(0)
	s_barrier
	buffer_gl0_inv
	v_add_nc_u32_e32 v98, 0x4000, v70
	v_cmp_eq_u32_e32 vcc_lo, 1, v69
	v_cmp_eq_u32_e64 s4, 2, v69
	v_cmp_eq_u32_e64 s5, 3, v69
	;; [unrolled: 1-line block ×3, first 2 shown]
	ds_load_2addr_b32 v[70:71], v98 offset1:17
	ds_load_2addr_b32 v[72:73], v98 offset0:34 offset1:51
	ds_load_2addr_b32 v[74:75], v98 offset0:68 offset1:85
	;; [unrolled: 1-line block ×3, first 2 shown]
	v_cmp_eq_u32_e64 s7, 5, v69
	v_cmp_eq_u32_e64 s8, 7, v69
	s_waitcnt lgkmcnt(3)
	v_max3_f32 v76, v70, 0xff7fffff, v71
	s_waitcnt lgkmcnt(2)
	s_delay_alu instid0(VALU_DEP_1) | instskip(SKIP_1) | instid1(VALU_DEP_1)
	v_max3_f32 v76, v76, v72, v73
	s_waitcnt lgkmcnt(1)
	v_max3_f32 v76, v76, v74, v75
	s_waitcnt lgkmcnt(0)
	s_delay_alu instid0(VALU_DEP_1) | instskip(NEXT) | instid1(VALU_DEP_1)
	v_max3_f32 v76, v76, v94, v95
	v_sub_f32_e32 v77, v71, v76
	ds_load_2addr_b32 v[96:97], v98 offset0:136 offset1:153
	v_sub_f32_e32 v74, v74, v76
	v_sub_f32_e32 v70, v70, v76
	;; [unrolled: 1-line block ×3, first 2 shown]
	v_dual_sub_f32 v72, v72, v76 :: v_dual_mul_f32 v77, 0x3fb8aa3b, v77
	s_delay_alu instid0(VALU_DEP_4) | instskip(NEXT) | instid1(VALU_DEP_4)
	v_mul_f32_e32 v103, 0x3fb8aa3b, v74
	v_mul_f32_e32 v99, 0x3fb8aa3b, v70
	ds_load_2addr_b32 v[70:71], v98 offset0:170 offset1:187
	v_dual_mul_f32 v101, 0x3fb8aa3b, v72 :: v_dual_mul_f32 v94, 0x3fb8aa3b, v94
	v_exp_f32_e32 v102, v77
	v_exp_f32_e32 v99, v99
	s_delay_alu instid0(VALU_DEP_1) | instskip(NEXT) | instid1(VALU_DEP_1)
	v_exp_f32_e32 v101, v101
	v_exp_f32_e32 v94, v94
	s_waitcnt lgkmcnt(1)
	s_delay_alu instid0(TRANS32_DEP_3)
	v_fma_f32 v77, v99, v96, 0
	v_sub_f32_e32 v100, v73, v76
	ds_load_2addr_b32 v[72:73], v98 offset0:204 offset1:221
	v_fmac_f32_e32 v77, v102, v97
	v_exp_f32_e32 v97, v103
	s_waitcnt lgkmcnt(1)
	s_delay_alu instid0(VALU_DEP_1)
	v_dual_fmac_f32 v77, v101, v70 :: v_dual_sub_f32 v96, v75, v76
	ds_load_2addr_b32 v[74:75], v98 offset0:238 offset1:255
	v_sub_f32_e32 v70, v95, v76
	s_waitcnt lgkmcnt(0)
	s_barrier
	v_mul_f32_e32 v96, 0x3fb8aa3b, v96
	buffer_gl0_inv
	v_exp_f32_e32 v95, v96
	v_mul_f32_e32 v100, 0x3fb8aa3b, v100
	s_delay_alu instid0(VALU_DEP_1) | instskip(SKIP_3) | instid1(VALU_DEP_2)
	v_exp_f32_e32 v100, v100
	s_waitcnt_depctr 0xfff
	v_dual_fmac_f32 v77, v100, v71 :: v_dual_mul_f32 v70, 0x3fb8aa3b, v70
	v_cndmask_b32_e32 v71, v99, v102, vcc_lo
	v_fmac_f32_e32 v77, v97, v72
	s_delay_alu instid0(VALU_DEP_3) | instskip(NEXT) | instid1(VALU_DEP_1)
	v_exp_f32_e32 v96, v70
	v_fmac_f32_e32 v77, v95, v73
	s_delay_alu instid0(VALU_DEP_1) | instskip(SKIP_2) | instid1(VALU_DEP_1)
	v_fmac_f32_e32 v77, v94, v74
	s_waitcnt_depctr 0xfff
	v_fmac_f32_e32 v77, v96, v75
	v_add_f32_e32 v74, 0x358637bd, v77
	s_delay_alu instid0(VALU_DEP_1) | instskip(SKIP_1) | instid1(VALU_DEP_2)
	v_div_scale_f32 v98, null, v74, v74, 1.0
	v_div_scale_f32 v99, vcc_lo, 1.0, v74, 1.0
	v_rcp_f32_e32 v103, v98
	s_waitcnt_depctr 0xfff
	v_fma_f32 v70, -v98, v103, 1.0
	s_delay_alu instid0(VALU_DEP_1) | instskip(SKIP_2) | instid1(VALU_DEP_2)
	v_fmac_f32_e32 v103, v70, v103
	v_cndmask_b32_e64 v70, v71, v101, s4
	v_cmp_eq_u32_e64 s4, 6, v69
	v_cndmask_b32_e64 v71, v70, v100, s5
	s_delay_alu instid0(VALU_DEP_4) | instskip(NEXT) | instid1(VALU_DEP_2)
	v_dual_mul_f32 v101, v99, v103 :: v_dual_lshlrev_b32 v70, 2, v66
	v_cndmask_b32_e64 v71, v71, v97, s6
	s_delay_alu instid0(VALU_DEP_2) | instskip(NEXT) | instid1(VALU_DEP_3)
	v_or_b32_e32 v72, 1, v70
	v_fma_f32 v100, -v98, v101, v99
	v_cmp_eq_u32_e64 s5, 1, v70
	v_cmp_eq_u32_e64 s6, 2, v70
	v_cndmask_b32_e64 v95, v71, v95, s7
	v_or_b32_e32 v71, 3, v70
	v_fmac_f32_e32 v101, v100, v103
	v_cmp_eq_u32_e64 s10, 1, v72
	v_cmp_eq_u32_e64 s13, 2, v72
	v_cndmask_b32_e64 v94, v95, v94, s4
	v_cmp_eq_u32_e64 s12, 1, v71
	v_fma_f32 v97, -v98, v101, v99
	v_cmp_eq_u32_e64 s17, 2, v71
	v_cmp_eq_u32_e64 s15, 3, v72
	v_cndmask_b32_e64 v94, v94, v96, s8
	v_cmp_eq_u32_e64 s19, 3, v71
	v_div_fmas_f32 v95, v97, v103, v101
	v_cmp_eq_u32_e32 vcc_lo, 3, v70
	v_cmp_eq_u32_e64 s4, 4, v70
	v_cmp_eq_u32_e64 s20, 4, v72
	;; [unrolled: 1-line block ×3, first 2 shown]
	v_div_fixup_f32 v95, v95, v74, 1.0
	v_lshlrev_b32_e32 v73, 6, v68
	v_cmp_eq_u32_e64 s7, 5, v70
	v_cmp_eq_u32_e64 s21, 5, v72
	;; [unrolled: 1-line block ×3, first 2 shown]
	v_mul_f32_e32 v102, v94, v95
	v_lshl_or_b32 v75, v69, 11, v73
	v_or_b32_e32 v69, 2, v70
	v_cmp_eq_u32_e64 s26, 6, v72
	v_cmp_eq_u32_e64 s28, 6, v71
	v_fma_mixlo_f16 v94, v102, v79, 0
	v_fma_mixlo_f16 v95, v102, v81, 0
	;; [unrolled: 1-line block ×8, first 2 shown]
	v_lshl_or_b32 v74, v66, 4, v75
	v_fma_mixhi_f16 v94, v102, v78, 0
	v_fma_mixhi_f16 v95, v102, v80, 0
	;; [unrolled: 1-line block ×8, first 2 shown]
	ds_store_b128 v74, v[94:97]
	ds_store_b128 v74, v[98:101] offset:1024
	s_waitcnt lgkmcnt(0)
	s_barrier
	buffer_gl0_inv
	ds_load_b128 v[78:81], v75
	ds_load_b128 v[82:85], v75 offset:16
	ds_load_b128 v[86:89], v75 offset:1024
	;; [unrolled: 1-line block ×3, first 2 shown]
	v_cmp_eq_u32_e64 s11, 1, v69
	v_cmp_eq_u32_e64 s16, 2, v69
	;; [unrolled: 1-line block ×11, first 2 shown]
	s_waitcnt lgkmcnt(3)
	v_lshrrev_b32_e32 v94, 16, v78
	s_waitcnt lgkmcnt(2)
	v_lshrrev_b32_e32 v98, 16, v82
	;; [unrolled: 2-line block ×4, first 2 shown]
	v_lshrrev_b32_e32 v95, 16, v79
	v_cndmask_b32_e64 v110, v78, v94, s5
	v_cndmask_b32_e64 v111, v82, v98, s5
	;; [unrolled: 1-line block ×8, first 2 shown]
	v_lshrrev_b32_e32 v99, 16, v83
	v_cndmask_b32_e64 v94, v86, v102, s5
	v_cndmask_b32_e64 v98, v90, v106, s5
	;; [unrolled: 1-line block ×15, first 2 shown]
	v_lshrrev_b32_e32 v103, 16, v87
	v_lshrrev_b32_e32 v107, 16, v91
	v_cndmask_b32_e64 v113, v115, v83, s16
	v_cndmask_b32_e64 v82, v94, v87, s6
	;; [unrolled: 1-line block ×7, first 2 shown]
	v_cndmask_b32_e32 v90, v102, v95, vcc_lo
	v_cndmask_b32_e32 v102, v106, v99, vcc_lo
	v_cndmask_b32_e64 v106, v110, v95, s15
	v_cndmask_b32_e64 v110, v111, v99, s15
	v_cndmask_b32_e64 v78, v78, v95, s19
	v_cndmask_b32_e64 v79, v79, v99, s19
	v_lshrrev_b32_e32 v96, 16, v80
	v_lshrrev_b32_e32 v100, 16, v84
	v_cndmask_b32_e64 v111, v112, v95, s18
	v_cndmask_b32_e64 v112, v113, v99, s18
	v_cndmask_b32_e32 v82, v82, v103, vcc_lo
	v_cndmask_b32_e32 v83, v83, v107, vcc_lo
	v_cndmask_b32_e64 v94, v94, v103, s15
	v_cndmask_b32_e64 v90, v90, v80, s4
	;; [unrolled: 1-line block ×7, first 2 shown]
	v_lshrrev_b32_e32 v104, 16, v88
	v_cndmask_b32_e64 v106, v111, v80, s22
	v_cndmask_b32_e64 v110, v112, v84, s22
	;; [unrolled: 1-line block ×11, first 2 shown]
	v_lshrrev_b32_e32 v97, 16, v81
	v_lshrrev_b32_e32 v101, 16, v85
	v_cndmask_b32_e64 v99, v106, v96, s24
	v_cndmask_b32_e64 v102, v110, v100, s24
	;; [unrolled: 1-line block ×7, first 2 shown]
	v_lshrrev_b32_e32 v105, 16, v89
	v_cndmask_b32_e64 v80, v80, v104, s7
	v_cndmask_b32_e64 v84, v84, v81, s8
	;; [unrolled: 1-line block ×16, first 2 shown]
	v_perm_b32 v81, v79, v78, 0x5040100
	v_perm_b32 v79, v95, v85, 0x5040100
	v_cndmask_b32_e64 v78, v119, v91, s16
	v_cndmask_b32_e64 v85, v117, v91, s13
	;; [unrolled: 1-line block ×3, first 2 shown]
	v_perm_b32 v80, v94, v90, 0x5040100
	v_cndmask_b32_e64 v90, v98, v103, s18
	v_cndmask_b32_e64 v86, v86, v103, s19
	;; [unrolled: 1-line block ×5, first 2 shown]
	v_lshrrev_b32_e32 v108, 16, v92
	v_cndmask_b32_e64 v90, v90, v88, s22
	v_cndmask_b32_e64 v86, v86, v88, s23
	;; [unrolled: 1-line block ×11, first 2 shown]
	v_lshrrev_b32_e32 v109, 16, v93
	v_cndmask_b32_e64 v82, v82, v93, s8
	v_cndmask_b32_e64 v88, v88, v89, s27
	v_cndmask_b32_e64 v86, v86, v89, s28
	v_cndmask_b32_e64 v87, v87, v93, s28
	v_cndmask_b32_e64 v78, v78, v93, s27
	v_cndmask_b32_e64 v85, v85, v93, s26
	v_cndmask_b32_e64 v88, v88, v105, s29
	v_cndmask_b32_e64 v86, v86, v105, s30
	v_cndmask_b32_e64 v87, v87, v109, s30
	v_cndmask_b32_e64 v89, v78, v109, s29
	v_cndmask_b32_e64 v90, v85, v109, s31
	v_cndmask_b32_e64 v82, v82, v109, s9
	v_perm_b32 v78, v84, v83, 0x5040100
	v_perm_b32 v85, v87, v86, 0x5040100
	;; [unrolled: 1-line block ×5, first 2 shown]
	s_mul_i32 s9, s35, 3
	s_mov_b32 s4, exec_lo
	ds_store_b128 v74, v[78:81]
	ds_store_b128 v74, v[82:85] offset:1024
	v_cmpx_gt_u32_e32 3, v0
	s_cbranch_execz .LBB868_14
; %bb.13:
	s_mul_i32 s5, s9, s34
	s_load_b128 s[16:19], s[0:1], 0x58
	v_add3_u32 v68, s5, s33, v68
	s_delay_alu instid0(VALU_DEP_1) | instskip(NEXT) | instid1(VALU_DEP_1)
	v_mad_u64_u32 v[78:79], null, v68, s36, s[14:15]
	v_ashrrev_i32_e32 v79, 31, v78
	s_delay_alu instid0(VALU_DEP_1) | instskip(SKIP_1) | instid1(VALU_DEP_1)
	v_lshlrev_b64 v[78:79], 2, v[78:79]
	s_waitcnt lgkmcnt(0)
	v_add_co_u32 v80, vcc_lo, s18, v78
	s_delay_alu instid0(VALU_DEP_2)
	v_add_co_ci_u32_e32 v81, vcc_lo, s19, v79, vcc_lo
	v_add_co_u32 v78, vcc_lo, s16, v78
	v_add_co_ci_u32_e32 v79, vcc_lo, s17, v79, vcc_lo
	global_store_b32 v[80:81], v76, off
	global_store_b32 v[78:79], v77, off
.LBB868_14:
	s_or_b32 exec_lo, exec_lo, s4
	s_waitcnt lgkmcnt(0)
	s_waitcnt_vscnt null, 0x0
	s_barrier
	buffer_gl0_inv
	ds_load_b128 v[84:87], v73
	ds_load_b128 v[88:91], v73 offset:16
	ds_load_b128 v[96:99], v73 offset:2064
	;; [unrolled: 1-line block ×5, first 2 shown]
	v_cmp_eq_u32_e32 vcc_lo, 1, v70
	v_mov_b32_e32 v76, 0
	ds_load_b128 v[112:115], v73 offset:6160
	ds_load_b128 v[108:111], v73 offset:6144
	;; [unrolled: 1-line block ×4, first 2 shown]
	v_cmp_eq_u32_e64 s5, 1, v69
	v_cmp_eq_u32_e64 s4, 1, v72
	;; [unrolled: 1-line block ×3, first 2 shown]
	v_mov_b32_e32 v77, v76
	v_mov_b32_e32 v78, v76
	;; [unrolled: 1-line block ×7, first 2 shown]
	v_cmp_eq_u32_e64 s7, 3, v72
	v_cmp_eq_u32_e64 s8, 7, v72
	s_waitcnt lgkmcnt(8)
	s_delay_alu instid0(VALU_DEP_3)
	v_wmma_f32_16x16x16_f16 v[76:83], v[49:56], v[84:91], v[76:83]
	ds_load_b128 v[53:56], v73 offset:10256
	ds_load_b128 v[49:52], v73 offset:10240
	s_waitcnt lgkmcnt(8)
	v_wmma_f32_16x16x16_f16 v[76:83], v[41:48], v[92:99], v[76:83]
	ds_load_b128 v[45:48], v73 offset:12304
	ds_load_b128 v[41:44], v73 offset:12288
	s_waitcnt lgkmcnt(8)
	;; [unrolled: 4-line block ×3, first 2 shown]
	s_barrier
	buffer_gl0_inv
	v_wmma_f32_16x16x16_f16 v[76:83], v[1:8], v[108:115], v[76:83]
	s_delay_alu instid0(VALU_DEP_1) | instskip(NEXT) | instid1(VALU_DEP_1)
	v_wmma_f32_16x16x16_f16 v[76:83], v[9:16], v[116:123], v[76:83]
	v_wmma_f32_16x16x16_f16 v[76:83], v[17:24], v[49:56], v[76:83]
	s_delay_alu instid0(VALU_DEP_1) | instskip(NEXT) | instid1(VALU_DEP_1)
	v_wmma_f32_16x16x16_f16 v[76:83], v[25:32], v[41:48], v[76:83]
	v_wmma_f32_16x16x16_f16 v[76:83], v[57:64], v[33:40], v[76:83]
	s_delay_alu instid0(VALU_DEP_1) | instskip(NEXT) | instid1(VALU_DEP_2)
	v_cvt_f16_f32_e32 v1, v76
	v_cvt_f16_f32_e32 v2, v77
	s_delay_alu instid0(VALU_DEP_3) | instskip(NEXT) | instid1(VALU_DEP_4)
	v_cvt_f16_f32_e32 v3, v78
	v_cvt_f16_f32_e32 v4, v79
	;; [unrolled: 1-line block ×6, first 2 shown]
	v_pack_b32_f16 v1, v1, v2
	v_pack_b32_f16 v2, v3, v4
	;; [unrolled: 1-line block ×3, first 2 shown]
	s_delay_alu instid0(VALU_DEP_4)
	v_pack_b32_f16 v4, v7, v8
	ds_store_b128 v74, v[1:4]
	s_waitcnt lgkmcnt(0)
	s_barrier
	buffer_gl0_inv
	ds_load_b128 v[1:4], v75
	ds_load_b128 v[5:8], v75 offset:16
	s_waitcnt lgkmcnt(1)
	v_lshrrev_b32_e32 v9, 16, v1
	s_waitcnt lgkmcnt(0)
	v_lshrrev_b32_e32 v13, 16, v5
	v_lshrrev_b32_e32 v10, 16, v2
	;; [unrolled: 1-line block ×4, first 2 shown]
	v_cndmask_b32_e32 v17, v1, v9, vcc_lo
	v_cndmask_b32_e32 v18, v5, v13, vcc_lo
	v_cndmask_b32_e64 v21, v1, v9, s5
	v_cmp_eq_u32_e32 vcc_lo, 1, v71
	v_cndmask_b32_e64 v22, v5, v13, s5
	v_cmp_eq_u32_e64 s5, 2, v70
	v_cndmask_b32_e64 v19, v1, v9, s4
	v_cndmask_b32_e64 v20, v5, v13, s4
	v_cndmask_b32_e32 v1, v1, v9, vcc_lo
	v_cmp_eq_u32_e64 s4, 2, v71
	v_cndmask_b32_e32 v5, v5, v13, vcc_lo
	v_cndmask_b32_e64 v9, v17, v2, s5
	v_cmp_eq_u32_e32 vcc_lo, 3, v70
	v_cndmask_b32_e64 v13, v18, v6, s5
	v_cmp_eq_u32_e64 s5, 2, v69
	v_cndmask_b32_e64 v17, v19, v2, s6
	v_cndmask_b32_e64 v18, v20, v6, s6
	v_cmp_eq_u32_e64 s6, 3, v69
	v_cndmask_b32_e64 v1, v1, v2, s4
	v_cndmask_b32_e64 v19, v21, v2, s5
	;; [unrolled: 1-line block ×4, first 2 shown]
	v_cndmask_b32_e32 v5, v9, v10, vcc_lo
	v_cndmask_b32_e32 v6, v13, v14, vcc_lo
	v_cmp_eq_u32_e32 vcc_lo, 3, v71
	v_cndmask_b32_e64 v9, v17, v10, s7
	v_cndmask_b32_e64 v13, v18, v14, s7
	;; [unrolled: 1-line block ×3, first 2 shown]
	v_cmp_eq_u32_e64 s5, 4, v70
	v_cndmask_b32_e32 v1, v1, v10, vcc_lo
	v_cndmask_b32_e32 v2, v2, v14, vcc_lo
	v_cmp_eq_u32_e32 vcc_lo, 4, v72
	v_lshrrev_b32_e32 v15, 16, v7
	v_lshrrev_b32_e32 v16, 16, v8
	v_cndmask_b32_e64 v17, v19, v10, s6
	v_cmp_eq_u32_e64 s4, 4, v71
	v_cndmask_b32_e64 v5, v5, v3, s5
	v_cndmask_b32_e64 v6, v6, v7, s5
	v_cndmask_b32_e32 v9, v9, v3, vcc_lo
	v_cmp_eq_u32_e64 s5, 5, v72
	v_cndmask_b32_e32 v10, v13, v7, vcc_lo
	v_cmp_eq_u32_e32 vcc_lo, 4, v69
	v_cmp_eq_u32_e64 s6, 5, v70
	v_cndmask_b32_e64 v2, v2, v7, s4
	v_cndmask_b32_e64 v9, v9, v11, s5
	;; [unrolled: 1-line block ×3, first 2 shown]
	v_cndmask_b32_e32 v13, v17, v3, vcc_lo
	v_cmp_eq_u32_e64 s5, 5, v69
	v_cndmask_b32_e32 v14, v18, v7, vcc_lo
	v_cndmask_b32_e64 v1, v1, v3, s4
	v_cmp_eq_u32_e32 vcc_lo, 5, v71
	v_lshrrev_b32_e32 v12, 16, v4
	v_cndmask_b32_e64 v13, v13, v11, s5
	v_cndmask_b32_e64 v3, v14, v15, s5
	v_cmp_eq_u32_e64 s5, 6, v71
	v_cndmask_b32_e32 v1, v1, v11, vcc_lo
	v_cndmask_b32_e64 v5, v5, v11, s6
	v_cmp_eq_u32_e64 s7, 6, v70
	v_cndmask_b32_e64 v6, v6, v15, s6
	v_cmp_eq_u32_e64 s6, 6, v72
	v_cmp_eq_u32_e64 s4, 6, v69
	v_cndmask_b32_e64 v1, v1, v4, s5
	v_cndmask_b32_e32 v2, v2, v15, vcc_lo
	v_cmp_eq_u32_e32 vcc_lo, 7, v71
	v_cndmask_b32_e64 v5, v5, v4, s7
	v_cndmask_b32_e64 v9, v9, v4, s6
	;; [unrolled: 1-line block ×3, first 2 shown]
	v_cmp_eq_u32_e64 s7, 7, v70
	v_cndmask_b32_e32 v1, v1, v12, vcc_lo
	v_cndmask_b32_e64 v7, v13, v4, s4
	v_cndmask_b32_e64 v3, v3, v8, s4
	;; [unrolled: 1-line block ×3, first 2 shown]
	v_cmp_eq_u32_e64 s4, 7, v69
	v_cndmask_b32_e64 v4, v10, v8, s6
	v_cndmask_b32_e64 v5, v5, v12, s7
	;; [unrolled: 1-line block ×3, first 2 shown]
	v_cndmask_b32_e32 v2, v2, v16, vcc_lo
	v_cndmask_b32_e64 v7, v7, v12, s4
	v_cndmask_b32_e64 v3, v3, v16, s4
	;; [unrolled: 1-line block ×4, first 2 shown]
	v_cmp_gt_u32_e32 vcc_lo, 32, v0
	v_perm_b32 v4, v2, v1, 0x5040100
	v_perm_b32 v3, v3, v7, 0x5040100
	v_perm_b32 v2, v8, v9, 0x5040100
	v_perm_b32 v1, v6, v5, 0x5040100
	s_and_b32 s2, vcc_lo, s2
	ds_store_b128 v74, v[1:4]
	s_waitcnt lgkmcnt(0)
	s_barrier
	buffer_gl0_inv
	s_and_saveexec_b32 s4, s2
	s_cbranch_execz .LBB868_2
; %bb.15:
	s_load_b64 s[4:5], s[0:1], 0x68
	v_lshlrev_b32_e32 v0, 10, v0
	v_lshlrev_b32_e32 v2, 4, v67
	v_add_nc_u32_e32 v1, s33, v66
	s_lshl_b32 s0, s36, 6
	s_delay_alu instid0(SALU_CYCLE_1) | instskip(NEXT) | instid1(VALU_DEP_2)
	s_mul_i32 s1, s0, s34
	v_and_or_b32 v0, 0x3800, v0, v2
	s_mul_i32 s6, s1, s9
	v_mul_lo_u32 v1, v1, s0
	s_ashr_i32 s7, s6, 31
	s_delay_alu instid0(VALU_DEP_2) | instskip(SKIP_1) | instid1(VALU_DEP_2)
	v_lshl_or_b32 v3, v66, 6, v0
	s_lshl_b64 s[6:7], s[6:7], 1
	v_ashrrev_i32_e32 v2, 31, v1
	ds_load_b128 v[3:6], v3
	s_waitcnt lgkmcnt(0)
	s_add_u32 s1, s4, s6
	s_addc_u32 s2, s5, s7
	s_lshl_b32 s4, s14, 6
	v_lshlrev_b64 v[7:8], 1, v[1:2]
	s_ashr_i32 s5, s4, 31
	s_delay_alu instid0(SALU_CYCLE_1) | instskip(NEXT) | instid1(SALU_CYCLE_1)
	s_lshl_b64 s[4:5], s[4:5], 1
	s_add_u32 s1, s1, s4
	s_addc_u32 s2, s2, s5
	v_add_co_u32 v1, s1, s1, v65
	s_delay_alu instid0(VALU_DEP_1) | instskip(NEXT) | instid1(VALU_DEP_2)
	v_add_co_ci_u32_e64 v2, null, s2, 0, s1
	v_add_co_u32 v7, vcc_lo, v1, v7
	s_delay_alu instid0(VALU_DEP_2)
	v_add_co_ci_u32_e32 v8, vcc_lo, v2, v8, vcc_lo
	global_store_b128 v[7:8], v[3:6], off
	s_and_b32 exec_lo, exec_lo, s3
	s_cbranch_execz .LBB868_2
; %bb.16:
	ds_load_b128 v[3:6], v0 offset:128
	s_add_i32 s1, s33, 2
	s_delay_alu instid0(SALU_CYCLE_1) | instskip(NEXT) | instid1(SALU_CYCLE_1)
	s_mul_i32 s0, s1, s0
	s_ashr_i32 s1, s0, 31
	s_delay_alu instid0(SALU_CYCLE_1) | instskip(NEXT) | instid1(SALU_CYCLE_1)
	s_lshl_b64 s[0:1], s[0:1], 1
	v_add_co_u32 v0, vcc_lo, v1, s0
	v_add_co_ci_u32_e32 v1, vcc_lo, s1, v2, vcc_lo
	s_waitcnt lgkmcnt(0)
	global_store_b128 v[0:1], v[3:6], off
	s_nop 0
	s_sendmsg sendmsg(MSG_DEALLOC_VGPRS)
	s_endpgm
	.section	.rodata,"a",@progbits
	.p2align	6, 0x0
	.amdhsa_kernel _Z39paged_attention_ll4mi_QKV_mfma16_kernelIDF16_hLN4vllm18Fp8KVCacheDataTypeE1EhLi32ELi64ELi256ELb1ELi3EL8MFMAType1EEvPKT_PKT0_S8_ifPKiSA_SA_iPKfiiiPfSD_PS3_PT2_iSC_SC_
		.amdhsa_group_segment_fixed_size 17472
		.amdhsa_private_segment_fixed_size 0
		.amdhsa_kernarg_size 400
		.amdhsa_user_sgpr_count 13
		.amdhsa_user_sgpr_dispatch_ptr 0
		.amdhsa_user_sgpr_queue_ptr 0
		.amdhsa_user_sgpr_kernarg_segment_ptr 1
		.amdhsa_user_sgpr_dispatch_id 0
		.amdhsa_user_sgpr_private_segment_size 0
		.amdhsa_wavefront_size32 1
		.amdhsa_uses_dynamic_stack 0
		.amdhsa_enable_private_segment 0
		.amdhsa_system_sgpr_workgroup_id_x 1
		.amdhsa_system_sgpr_workgroup_id_y 1
		.amdhsa_system_sgpr_workgroup_id_z 1
		.amdhsa_system_sgpr_workgroup_info 0
		.amdhsa_system_vgpr_workitem_id 0
		.amdhsa_next_free_vgpr 146
		.amdhsa_next_free_sgpr 37
		.amdhsa_reserve_vcc 1
		.amdhsa_float_round_mode_32 0
		.amdhsa_float_round_mode_16_64 0
		.amdhsa_float_denorm_mode_32 3
		.amdhsa_float_denorm_mode_16_64 3
		.amdhsa_dx10_clamp 1
		.amdhsa_ieee_mode 1
		.amdhsa_fp16_overflow 0
		.amdhsa_workgroup_processor_mode 1
		.amdhsa_memory_ordered 1
		.amdhsa_forward_progress 0
		.amdhsa_shared_vgpr_count 0
		.amdhsa_exception_fp_ieee_invalid_op 0
		.amdhsa_exception_fp_denorm_src 0
		.amdhsa_exception_fp_ieee_div_zero 0
		.amdhsa_exception_fp_ieee_overflow 0
		.amdhsa_exception_fp_ieee_underflow 0
		.amdhsa_exception_fp_ieee_inexact 0
		.amdhsa_exception_int_div_zero 0
	.end_amdhsa_kernel
	.section	.text._Z39paged_attention_ll4mi_QKV_mfma16_kernelIDF16_hLN4vllm18Fp8KVCacheDataTypeE1EhLi32ELi64ELi256ELb1ELi3EL8MFMAType1EEvPKT_PKT0_S8_ifPKiSA_SA_iPKfiiiPfSD_PS3_PT2_iSC_SC_,"axG",@progbits,_Z39paged_attention_ll4mi_QKV_mfma16_kernelIDF16_hLN4vllm18Fp8KVCacheDataTypeE1EhLi32ELi64ELi256ELb1ELi3EL8MFMAType1EEvPKT_PKT0_S8_ifPKiSA_SA_iPKfiiiPfSD_PS3_PT2_iSC_SC_,comdat
.Lfunc_end868:
	.size	_Z39paged_attention_ll4mi_QKV_mfma16_kernelIDF16_hLN4vllm18Fp8KVCacheDataTypeE1EhLi32ELi64ELi256ELb1ELi3EL8MFMAType1EEvPKT_PKT0_S8_ifPKiSA_SA_iPKfiiiPfSD_PS3_PT2_iSC_SC_, .Lfunc_end868-_Z39paged_attention_ll4mi_QKV_mfma16_kernelIDF16_hLN4vllm18Fp8KVCacheDataTypeE1EhLi32ELi64ELi256ELb1ELi3EL8MFMAType1EEvPKT_PKT0_S8_ifPKiSA_SA_iPKfiiiPfSD_PS3_PT2_iSC_SC_
                                        ; -- End function
	.section	.AMDGPU.csdata,"",@progbits
; Kernel info:
; codeLenInByte = 6420
; NumSgprs: 39
; NumVgprs: 146
; ScratchSize: 0
; MemoryBound: 0
; FloatMode: 240
; IeeeMode: 1
; LDSByteSize: 17472 bytes/workgroup (compile time only)
; SGPRBlocks: 4
; VGPRBlocks: 18
; NumSGPRsForWavesPerEU: 39
; NumVGPRsForWavesPerEU: 146
; Occupancy: 9
; WaveLimiterHint : 1
; COMPUTE_PGM_RSRC2:SCRATCH_EN: 0
; COMPUTE_PGM_RSRC2:USER_SGPR: 13
; COMPUTE_PGM_RSRC2:TRAP_HANDLER: 0
; COMPUTE_PGM_RSRC2:TGID_X_EN: 1
; COMPUTE_PGM_RSRC2:TGID_Y_EN: 1
; COMPUTE_PGM_RSRC2:TGID_Z_EN: 1
; COMPUTE_PGM_RSRC2:TIDIG_COMP_CNT: 0
	.section	.text._Z39paged_attention_ll4mi_QKV_mfma16_kernelIDF16_hLN4vllm18Fp8KVCacheDataTypeE1EhLi32ELi64ELi256ELb1ELi4EL8MFMAType1EEvPKT_PKT0_S8_ifPKiSA_SA_iPKfiiiPfSD_PS3_PT2_iSC_SC_,"axG",@progbits,_Z39paged_attention_ll4mi_QKV_mfma16_kernelIDF16_hLN4vllm18Fp8KVCacheDataTypeE1EhLi32ELi64ELi256ELb1ELi4EL8MFMAType1EEvPKT_PKT0_S8_ifPKiSA_SA_iPKfiiiPfSD_PS3_PT2_iSC_SC_,comdat
	.protected	_Z39paged_attention_ll4mi_QKV_mfma16_kernelIDF16_hLN4vllm18Fp8KVCacheDataTypeE1EhLi32ELi64ELi256ELb1ELi4EL8MFMAType1EEvPKT_PKT0_S8_ifPKiSA_SA_iPKfiiiPfSD_PS3_PT2_iSC_SC_ ; -- Begin function _Z39paged_attention_ll4mi_QKV_mfma16_kernelIDF16_hLN4vllm18Fp8KVCacheDataTypeE1EhLi32ELi64ELi256ELb1ELi4EL8MFMAType1EEvPKT_PKT0_S8_ifPKiSA_SA_iPKfiiiPfSD_PS3_PT2_iSC_SC_
	.globl	_Z39paged_attention_ll4mi_QKV_mfma16_kernelIDF16_hLN4vllm18Fp8KVCacheDataTypeE1EhLi32ELi64ELi256ELb1ELi4EL8MFMAType1EEvPKT_PKT0_S8_ifPKiSA_SA_iPKfiiiPfSD_PS3_PT2_iSC_SC_
	.p2align	8
	.type	_Z39paged_attention_ll4mi_QKV_mfma16_kernelIDF16_hLN4vllm18Fp8KVCacheDataTypeE1EhLi32ELi64ELi256ELb1ELi4EL8MFMAType1EEvPKT_PKT0_S8_ifPKiSA_SA_iPKfiiiPfSD_PS3_PT2_iSC_SC_,@function
_Z39paged_attention_ll4mi_QKV_mfma16_kernelIDF16_hLN4vllm18Fp8KVCacheDataTypeE1EhLi32ELi64ELi256ELb1ELi4EL8MFMAType1EEvPKT_PKT0_S8_ifPKiSA_SA_iPKfiiiPfSD_PS3_PT2_iSC_SC_: ; @_Z39paged_attention_ll4mi_QKV_mfma16_kernelIDF16_hLN4vllm18Fp8KVCacheDataTypeE1EhLi32ELi64ELi256ELb1ELi4EL8MFMAType1EEvPKT_PKT0_S8_ifPKiSA_SA_iPKfiiiPfSD_PS3_PT2_iSC_SC_
; %bb.0:
	s_load_b64 s[2:3], s[0:1], 0x30
	s_mov_b32 s34, s13
	s_waitcnt lgkmcnt(0)
	s_cmp_lg_u64 s[2:3], 0
	s_cselect_b32 s8, -1, 0
	s_ashr_i32 s35, s13, 31
	s_cmp_eq_u64 s[2:3], 0
	s_cbranch_scc1 .LBB869_3
; %bb.1:
	s_lshl_b64 s[4:5], s[34:35], 2
	s_delay_alu instid0(SALU_CYCLE_1) | instskip(SKIP_4) | instid1(SALU_CYCLE_1)
	s_add_u32 s4, s2, s4
	s_addc_u32 s5, s3, s5
	s_load_b64 s[4:5], s[4:5], 0x0
	s_waitcnt lgkmcnt(0)
	s_sub_i32 s4, s5, s4
	s_cmp_eq_u32 s4, 1
	s_cselect_b32 s4, -1, 0
	s_delay_alu instid0(SALU_CYCLE_1)
	s_and_not1_b32 vcc_lo, exec_lo, s4
	s_cbranch_vccz .LBB869_4
.LBB869_2:
	s_endpgm
.LBB869_3:
.LBB869_4:
	s_load_b64 s[4:5], s[0:1], 0x28
	s_lshl_b64 s[6:7], s[34:35], 2
	s_waitcnt lgkmcnt(0)
	s_add_u32 s4, s4, s6
	s_addc_u32 s5, s5, s7
	s_lshl_b32 s12, s14, 8
	s_load_b32 s24, s[4:5], 0x0
	s_waitcnt lgkmcnt(0)
	s_cmp_ge_i32 s12, s24
	s_cbranch_scc1 .LBB869_2
; %bb.5:
	s_clause 0x1
	s_load_b128 s[20:23], s[0:1], 0x8
	s_load_b64 s[4:5], s[0:1], 0x20
	s_and_not1_b32 vcc_lo, exec_lo, s8
	s_cbranch_vccnz .LBB869_7
; %bb.6:
	s_add_u32 s2, s2, s6
	s_addc_u32 s3, s3, s7
	s_load_b32 s3, s[2:3], 0x0
	s_branch .LBB869_8
.LBB869_7:
	s_mov_b32 s3, s34
.LBB869_8:
	s_load_b128 s[16:19], s[0:1], 0x48
	v_and_b32_e32 v69, 15, v0
	v_cmp_gt_u32_e32 vcc_lo, 64, v0
	v_lshrrev_b32_e32 v68, 5, v0
	v_and_b32_e32 v70, 31, v0
	v_and_b32_e32 v66, 1, v0
	v_lshlrev_b32_e32 v1, 3, v69
	v_cmp_gt_u32_e64 s2, 8, v69
	v_bfe_u32 v67, v0, 4, 1
	s_lshl_b32 s31, s15, 2
	s_delay_alu instid0(VALU_DEP_3) | instskip(NEXT) | instid1(VALU_DEP_3)
	v_lshlrev_b32_e32 v65, 1, v1
	s_and_b32 s7, vcc_lo, s2
	s_delay_alu instid0(SALU_CYCLE_1)
	s_and_saveexec_b32 s6, s7
	s_cbranch_execz .LBB869_10
; %bb.9:
	v_lshl_or_b32 v5, v68, 1, v67
	s_load_b64 s[8:9], s[0:1], 0x0
	s_waitcnt lgkmcnt(0)
	s_mul_hi_i32 s11, s3, s16
	s_mul_i32 s10, s3, s16
	v_lshlrev_b32_e32 v6, 10, v69
	v_or_b32_e32 v1, s31, v5
	s_lshl_b64 s[10:11], s[10:11], 1
	v_lshlrev_b32_e32 v5, 6, v5
	v_lshlrev_b32_e32 v7, 10, v66
	v_and_b32_e32 v6, 0x3800, v6
	v_lshlrev_b32_e32 v1, 6, v1
	s_delay_alu instid0(VALU_DEP_2) | instskip(NEXT) | instid1(VALU_DEP_2)
	v_or3_b32 v5, v6, v7, v5
	v_ashrrev_i32_e32 v2, 31, v1
	s_delay_alu instid0(VALU_DEP_1) | instskip(SKIP_2) | instid1(VALU_DEP_1)
	v_lshlrev_b64 v[1:2], 1, v[1:2]
	s_add_u32 s3, s8, s10
	s_addc_u32 s7, s9, s11
	v_add_co_u32 v1, vcc_lo, s3, v1
	s_delay_alu instid0(VALU_DEP_2) | instskip(NEXT) | instid1(VALU_DEP_2)
	v_add_co_ci_u32_e32 v2, vcc_lo, s7, v2, vcc_lo
	v_add_co_u32 v1, vcc_lo, v1, v65
	s_delay_alu instid0(VALU_DEP_2)
	v_add_co_ci_u32_e32 v2, vcc_lo, 0, v2, vcc_lo
	global_load_b128 v[1:4], v[1:2], off
	s_waitcnt vmcnt(0)
	ds_store_b128 v5, v[1:4]
.LBB869_10:
	s_or_b32 exec_lo, exec_lo, s6
	v_and_b32_e32 v1, 0xef, v0
	s_waitcnt lgkmcnt(0)
	s_add_i32 s3, s24, 31
	s_clause 0x1
	s_load_b32 s6, s[0:1], 0x38
	s_load_b32 s33, s[0:1], 0x98
	s_ashr_i32 s7, s3, 31
	v_add_nc_u32_e32 v1, s12, v1
	s_lshr_b32 s7, s7, 27
	s_load_b32 s19, s[0:1], 0x1c
	s_add_i32 s3, s3, s7
	s_waitcnt lgkmcnt(0)
	v_ashrrev_i32_e32 v2, 31, v1
	v_or_b32_e32 v3, 16, v1
	s_ashr_i32 s3, s3, 5
	v_cmp_gt_i32_e32 vcc_lo, s24, v1
	s_add_i32 s3, s3, -1
	v_lshrrev_b32_e32 v2, 27, v2
	s_barrier
	buffer_gl0_inv
	s_mul_i32 s27, s15, s18
	v_add_nc_u32_e32 v4, v1, v2
	s_mul_i32 s6, s34, s6
	s_delay_alu instid0(SALU_CYCLE_1) | instskip(NEXT) | instid1(VALU_DEP_1)
	s_ashr_i32 s7, s6, 31
	v_ashrrev_i32_e32 v4, 5, v4
	v_add_nc_u32_e32 v2, v3, v2
	s_lshl_b64 s[6:7], s[6:7], 2
	s_delay_alu instid0(SALU_CYCLE_1) | instskip(NEXT) | instid1(VALU_DEP_2)
	s_add_u32 s26, s4, s6
	v_cndmask_b32_e32 v1, s3, v4, vcc_lo
	s_delay_alu instid0(VALU_DEP_2)
	v_ashrrev_i32_e32 v2, 5, v2
	v_cmp_gt_i32_e32 vcc_lo, s24, v3
	s_addc_u32 s25, s5, s7
	s_ashr_i32 s28, s27, 31
	s_add_u32 s4, s20, s27
	s_addc_u32 s5, s21, s28
	v_cndmask_b32_e32 v3, s3, v2, vcc_lo
	v_ashrrev_i32_e32 v2, 31, v1
	s_lshl_b32 s6, s14, 3
	s_delay_alu instid0(SALU_CYCLE_1) | instskip(NEXT) | instid1(VALU_DEP_2)
	s_ashr_i32 s7, s6, 31
	v_ashrrev_i32_e32 v4, 31, v3
	s_delay_alu instid0(VALU_DEP_2) | instskip(SKIP_1) | instid1(SALU_CYCLE_1)
	v_lshlrev_b64 v[1:2], 2, v[1:2]
	s_lshl_b64 s[6:7], s[6:7], 2
	s_add_u32 s6, s26, s6
	s_delay_alu instid0(VALU_DEP_2) | instskip(SKIP_1) | instid1(VALU_DEP_2)
	v_lshlrev_b64 v[3:4], 2, v[3:4]
	s_addc_u32 s7, s25, s7
	v_add_co_u32 v1, vcc_lo, s26, v1
	v_add_co_ci_u32_e32 v2, vcc_lo, s25, v2, vcc_lo
	s_delay_alu instid0(VALU_DEP_3) | instskip(NEXT) | instid1(VALU_DEP_4)
	v_add_co_u32 v3, vcc_lo, s26, v3
	v_add_co_ci_u32_e32 v4, vcc_lo, s25, v4, vcc_lo
	s_clause 0x1
	global_load_b32 v5, v[1:2], off
	global_load_b32 v6, v[3:4], off
	s_or_b32 s8, s12, 32
	s_delay_alu instid0(SALU_CYCLE_1) | instskip(SKIP_2) | instid1(SALU_CYCLE_1)
	s_ashr_i32 s9, s8, 5
	s_cmp_lt_i32 s8, s24
	s_cselect_b32 s8, s9, s3
	s_ashr_i32 s9, s8, 31
	s_delay_alu instid0(SALU_CYCLE_1) | instskip(NEXT) | instid1(SALU_CYCLE_1)
	s_lshl_b64 s[8:9], s[8:9], 2
	s_add_u32 s8, s26, s8
	s_addc_u32 s9, s25, s9
	s_or_b32 s10, s12, 64
	s_delay_alu instid0(SALU_CYCLE_1) | instskip(SKIP_2) | instid1(SALU_CYCLE_1)
	s_ashr_i32 s11, s10, 5
	s_cmp_lt_i32 s10, s24
	s_cselect_b32 s10, s11, s3
	s_ashr_i32 s11, s10, 31
	s_delay_alu instid0(SALU_CYCLE_1) | instskip(NEXT) | instid1(SALU_CYCLE_1)
	s_lshl_b64 s[10:11], s[10:11], 2
	s_add_u32 s10, s26, s10
	s_addc_u32 s11, s25, s11
	;; [unrolled: 10-line block ×5, first 2 shown]
	s_clause 0x5
	s_load_b32 s21, s[6:7], 0x0
	s_load_b32 s13, s[8:9], 0x0
	;; [unrolled: 1-line block ×6, first 2 shown]
	s_or_b32 s7, s12, 0xc0
	s_delay_alu instid0(SALU_CYCLE_1) | instskip(SKIP_2) | instid1(SALU_CYCLE_1)
	s_ashr_i32 s8, s7, 5
	s_cmp_lt_i32 s7, s24
	s_cselect_b32 s10, s8, s3
	s_ashr_i32 s11, s10, 31
	s_delay_alu instid0(SALU_CYCLE_1) | instskip(NEXT) | instid1(SALU_CYCLE_1)
	s_lshl_b64 s[36:37], s[10:11], 2
	s_add_u32 s36, s26, s36
	s_addc_u32 s37, s25, s37
	s_or_b32 s29, s12, 0xe0
	s_delay_alu instid0(SALU_CYCLE_1)
	s_ashr_i32 s30, s29, 5
	s_cmp_lt_i32 s29, s24
	s_waitcnt vmcnt(1)
	v_mad_i64_i32 v[1:2], null, v5, s17, s[4:5]
	s_waitcnt vmcnt(0)
	v_mad_i64_i32 v[3:4], null, v6, s17, s[4:5]
	s_mov_b32 s4, 0
	s_delay_alu instid0(SALU_CYCLE_1)
	s_mov_b32 s5, s4
	s_mov_b32 s6, s4
	;; [unrolled: 1-line block ×7, first 2 shown]
	s_delay_alu instid0(SALU_CYCLE_1) | instskip(SKIP_2) | instid1(VALU_DEP_3)
	v_dual_mov_b32 v102, s11 :: v_dual_lshlrev_b32 v5, 4, v69
	v_dual_mov_b32 v98, s7 :: v_dual_mov_b32 v101, s10
	v_mov_b32_e32 v100, s9
	v_add_co_u32 v1, vcc_lo, v1, v5
	v_add_co_ci_u32_e32 v2, vcc_lo, 0, v2, vcc_lo
	v_add_co_u32 v3, vcc_lo, v3, v5
	v_add_co_ci_u32_e32 v4, vcc_lo, 0, v4, vcc_lo
	s_clause 0x7
	global_load_b128 v[57:60], v[1:2], off
	global_load_b128 v[61:64], v[1:2], off offset:512
	global_load_b128 v[71:74], v[3:4], off offset:256
	;; [unrolled: 1-line block ×7, first 2 shown]
	v_dual_mov_b32 v96, s5 :: v_dual_and_b32 v1, 3, v0
	v_mov_b32_e32 v99, s8
	v_mov_b32_e32 v97, s6
	;; [unrolled: 1-line block ×3, first 2 shown]
	s_cselect_b32 s4, s30, s3
	v_lshlrev_b32_e32 v2, 5, v69
	s_ashr_i32 s5, s4, 31
	v_lshlrev_b32_e32 v121, 6, v1
	s_lshl_b64 s[4:5], s[4:5], 2
	s_load_b32 s3, s[36:37], 0x0
	s_add_u32 s4, s26, s4
	s_addc_u32 s5, s25, s5
	v_lshl_or_b32 v1, v68, 9, v2
	ds_load_b128 v[103:106], v121
	ds_load_b128 v[107:110], v121 offset:1024
	s_load_b32 s4, s[4:5], 0x0
	s_add_u32 s6, s22, s27
	s_addc_u32 s7, s23, s28
	v_add_co_u32 v17, s6, s6, v1
	s_delay_alu instid0(VALU_DEP_1) | instskip(SKIP_1) | instid1(VALU_DEP_1)
	v_add_co_ci_u32_e64 v18, null, s7, 0, s6
	s_waitcnt lgkmcnt(0)
	v_mad_i64_i32 v[1:2], null, s21, s17, v[17:18]
	v_mad_i64_i32 v[3:4], null, s13, s17, v[17:18]
	;; [unrolled: 1-line block ×7, first 2 shown]
	s_clause 0x9
	global_load_b128 v[49:52], v[1:2], off
	global_load_b128 v[53:56], v[1:2], off offset:16
	global_load_b128 v[41:44], v[3:4], off
	global_load_b128 v[45:48], v[3:4], off offset:16
	;; [unrolled: 2-line block ×5, first 2 shown]
	v_mad_i64_i32 v[119:120], null, s4, s17, v[17:18]
	s_clause 0x3
	global_load_b128 v[17:20], v[21:22], off
	global_load_b128 v[21:24], v[21:22], off offset:16
	global_load_b128 v[25:28], v[29:30], off
	global_load_b128 v[29:32], v[29:30], off offset:16
	s_waitcnt vmcnt(20)
	v_wmma_f32_16x16x16_f16 v[111:118], v[57:64], v[103:110], v[95:102]
	s_clause 0x1
	global_load_b128 v[57:60], v[119:120], off
	global_load_b128 v[61:64], v[119:120], off offset:16
	s_waitcnt vmcnt(20)
	v_wmma_f32_16x16x16_f16 v[95:102], v[71:78], v[103:110], v[95:102]
	ds_load_b128 v[71:74], v121 offset:2048
	ds_load_b128 v[75:78], v121 offset:3072
	v_mbcnt_lo_u32_b32 v104, -1, 0
	s_waitcnt vmcnt(0) lgkmcnt(0)
	s_barrier
	buffer_gl0_inv
	v_xor_b32_e32 v105, 16, v104
	s_delay_alu instid0(VALU_DEP_1) | instskip(SKIP_4) | instid1(VALU_DEP_2)
	v_cmp_gt_i32_e32 vcc_lo, 32, v105
	v_cndmask_b32_e32 v104, v104, v105, vcc_lo
	v_wmma_f32_16x16x16_f16 v[111:118], v[79:86], v[71:78], v[111:118]
	v_and_b32_e32 v103, 0xe0, v0
	v_wmma_f32_16x16x16_f16 v[95:102], v[87:94], v[71:78], v[95:102]
	v_dual_mul_f32 v78, s19, v113 :: v_dual_add_nc_u32 v103, s12, v103
	s_delay_alu instid0(VALU_DEP_2) | instskip(SKIP_1) | instid1(VALU_DEP_3)
	v_dual_mul_f32 v90, s19, v101 :: v_dual_mul_f32 v87, s19, v112
	v_dual_mul_f32 v88, s19, v111 :: v_dual_mul_f32 v77, s19, v114
	v_or_b32_e32 v103, v103, v67
	v_dual_mul_f32 v75, s19, v116 :: v_dual_mul_f32 v94, s19, v97
	v_dual_mul_f32 v76, s19, v115 :: v_dual_mul_f32 v73, s19, v118
	v_mul_f32_e32 v92, s19, v99
	s_delay_alu instid0(VALU_DEP_4)
	v_or_b32_e32 v105, 2, v103
	v_or_b32_e32 v106, 4, v103
	;; [unrolled: 1-line block ×3, first 2 shown]
	v_cmp_gt_i32_e64 s3, s24, v103
	v_or_b32_e32 v108, 8, v103
	v_cmp_gt_i32_e32 vcc_lo, s24, v105
	v_or_b32_e32 v109, 10, v103
	v_cmp_gt_i32_e64 s4, s24, v106
	v_cndmask_b32_e64 v88, 0xff7fffff, v88, s3
	v_cmp_gt_i32_e64 s5, s24, v107
	v_cndmask_b32_e32 v87, 0xff7fffff, v87, vcc_lo
	v_or_b32_e32 v79, 12, v103
	v_or_b32_e32 v80, 14, v103
	v_cndmask_b32_e64 v78, 0xff7fffff, v78, s4
	v_cndmask_b32_e64 v77, 0xff7fffff, v77, s5
	v_max3_f32 v87, v88, 0xff7fffff, v87
	v_cmp_gt_i32_e64 s6, s24, v108
	v_cmp_gt_i32_e64 s7, s24, v109
	v_or_b32_e32 v81, 16, v103
	v_or_b32_e32 v82, 18, v103
	v_mul_f32_e32 v74, s19, v117
	v_cndmask_b32_e64 v76, 0xff7fffff, v76, s6
	v_cndmask_b32_e64 v75, 0xff7fffff, v75, s7
	v_max3_f32 v77, v87, v78, v77
	v_cmp_gt_i32_e64 s8, s24, v79
	v_cmp_gt_i32_e64 s9, s24, v80
	v_or_b32_e32 v83, 20, v103
	v_or_b32_e32 v84, 22, v103
	;; [unrolled: 1-line block ×6, first 2 shown]
	v_mul_f32_e32 v105, s19, v96
	v_mul_f32_e32 v103, s19, v95
	v_cndmask_b32_e64 v74, 0xff7fffff, v74, s8
	v_cndmask_b32_e64 v73, 0xff7fffff, v73, s9
	v_max3_f32 v75, v77, v76, v75
	v_cmp_gt_i32_e64 s10, s24, v81
	v_cmp_gt_i32_e64 s11, s24, v82
	v_mul_f32_e32 v93, s19, v98
	v_cmp_gt_i32_e64 s12, s24, v83
	v_max3_f32 v73, v75, v74, v73
	v_cndmask_b32_e64 v76, 0xff7fffff, v103, s10
	v_cndmask_b32_e64 v77, 0xff7fffff, v105, s11
	v_cmp_gt_i32_e64 s13, s24, v84
	v_mul_f32_e32 v91, s19, v100
	v_cndmask_b32_e64 v74, 0xff7fffff, v94, s12
	v_cmp_gt_i32_e64 s15, s24, v85
	v_max3_f32 v73, v73, v76, v77
	v_cndmask_b32_e64 v75, 0xff7fffff, v93, s13
	v_cmp_gt_i32_e64 s16, s24, v86
	v_mul_f32_e32 v89, s19, v102
	v_cndmask_b32_e64 v76, 0xff7fffff, v92, s15
	v_cmp_gt_i32_e64 s17, s24, v71
	v_max3_f32 v73, v73, v74, v75
	v_cndmask_b32_e64 v77, 0xff7fffff, v91, s16
	v_cmp_gt_i32_e64 s18, s24, v72
	v_lshlrev_b32_e32 v74, 2, v104
	v_cndmask_b32_e64 v71, 0xff7fffff, v90, s17
	s_delay_alu instid0(VALU_DEP_4) | instskip(NEXT) | instid1(VALU_DEP_4)
	v_max3_f32 v73, v73, v76, v77
	v_cndmask_b32_e64 v72, 0xff7fffff, v89, s18
	s_delay_alu instid0(VALU_DEP_1) | instskip(SKIP_3) | instid1(VALU_DEP_1)
	v_max3_f32 v71, v73, v71, v72
	ds_bpermute_b32 v72, v74, v71
	s_waitcnt lgkmcnt(0)
	v_max_f32_e32 v72, v72, v72
	v_max_f32_e32 v71, v71, v72
	s_delay_alu instid0(VALU_DEP_1)
	v_fma_f32 v72, s19, v111, -v71
	v_fma_f32 v76, s19, v114, -v71
	;; [unrolled: 1-line block ×5, first 2 shown]
	v_mul_f32_e32 v72, 0x3fb8aa3b, v72
	v_mul_f32_e32 v76, 0x3fb8aa3b, v76
	v_fma_f32 v75, s19, v113, -v71
	v_mul_f32_e32 v79, 0x3fb8aa3b, v77
	v_mul_f32_e32 v85, 0x3fb8aa3b, v84
	v_exp_f32_e32 v72, v72
	v_exp_f32_e32 v76, v76
	v_fma_f32 v86, s19, v98, -v71
	v_exp_f32_e32 v82, v79
	v_exp_f32_e32 v85, v85
	v_fma_f32 v81, s19, v117, -v71
	s_delay_alu instid0(VALU_DEP_2) | instskip(SKIP_3) | instid1(TRANS32_DEP_3)
	v_mul_f32_e32 v87, 0x3fb8aa3b, v86
	v_cndmask_b32_e64 v78, 0, v72, s3
	v_fma_f32 v72, s19, v116, -v71
	v_mul_f32_e32 v73, 0x3fb8aa3b, v73
	v_cndmask_b32_e64 v79, 0, v76, s5
	v_fma_f32 v76, s19, v95, -v71
	s_delay_alu instid0(VALU_DEP_4) | instskip(NEXT) | instid1(VALU_DEP_4)
	v_dual_mul_f32 v75, 0x3fb8aa3b, v75 :: v_dual_mul_f32 v72, 0x3fb8aa3b, v72
	v_exp_f32_e32 v73, v73
	v_exp_f32_e32 v87, v87
	s_delay_alu instid0(VALU_DEP_2) | instskip(NEXT) | instid1(VALU_DEP_2)
	v_mul_f32_e32 v76, 0x3fb8aa3b, v76
	v_exp_f32_e32 v75, v75
	v_cndmask_b32_e64 v85, 0, v85, s11
	v_mul_f32_e32 v81, 0x3fb8aa3b, v81
	v_exp_f32_e32 v72, v72
	v_cndmask_b32_e64 v82, 0, v82, s6
	v_exp_f32_e32 v76, v76
	s_mov_b32 s3, exec_lo
	v_cndmask_b32_e32 v77, 0, v73, vcc_lo
	v_add_f32_e32 v73, 0, v78
	v_cndmask_b32_e64 v87, 0, v87, s13
	v_cndmask_b32_e64 v80, 0, v75, s4
	v_fma_f32 v75, s19, v118, -v71
	v_exp_f32_e32 v83, v81
	v_add_f32_e32 v73, v73, v77
	v_cndmask_b32_e64 v81, 0, v72, s7
	v_cndmask_b32_e64 v86, 0, v76, s10
	v_mul_f32_e32 v75, 0x3fb8aa3b, v75
	s_delay_alu instid0(VALU_DEP_4) | instskip(NEXT) | instid1(VALU_DEP_2)
	v_add_f32_e32 v73, v73, v80
	v_exp_f32_e32 v75, v75
	s_delay_alu instid0(TRANS32_DEP_2) | instskip(NEXT) | instid1(VALU_DEP_2)
	v_cndmask_b32_e64 v84, 0, v83, s8
	v_add_f32_e32 v73, v73, v79
	s_delay_alu instid0(VALU_DEP_1) | instskip(SKIP_3) | instid1(VALU_DEP_1)
	v_add_f32_e32 v72, v73, v82
	s_waitcnt_depctr 0xfff
	v_cndmask_b32_e64 v83, 0, v75, s9
	v_add_f32_e32 v72, v72, v81
	v_add_f32_e32 v72, v72, v84
	s_delay_alu instid0(VALU_DEP_1) | instskip(NEXT) | instid1(VALU_DEP_1)
	v_add_f32_e32 v72, v72, v83
	v_add_f32_e32 v72, v72, v86
	v_fma_f32 v73, s19, v97, -v71
	v_fma_f32 v75, s19, v99, -v71
	;; [unrolled: 1-line block ×4, first 2 shown]
	v_add_f32_e32 v72, v72, v85
	v_mul_f32_e32 v73, 0x3fb8aa3b, v73
	s_delay_alu instid0(VALU_DEP_4) | instskip(NEXT) | instid1(VALU_DEP_2)
	v_dual_mul_f32 v75, 0x3fb8aa3b, v75 :: v_dual_mul_f32 v76, 0x3fb8aa3b, v76
	v_exp_f32_e32 v73, v73
	s_delay_alu instid0(VALU_DEP_1) | instskip(NEXT) | instid1(VALU_DEP_1)
	v_exp_f32_e32 v75, v75
	v_exp_f32_e32 v76, v76
	s_delay_alu instid0(TRANS32_DEP_3)
	v_cndmask_b32_e64 v88, 0, v73, s12
	v_mul_f32_e32 v73, 0x3fb8aa3b, v89
	v_fma_f32 v89, s19, v102, -v71
	s_waitcnt_depctr 0xfff
	v_cndmask_b32_e64 v90, 0, v75, s15
	v_add_f32_e32 v72, v72, v88
	v_exp_f32_e32 v73, v73
	v_mul_f32_e32 v75, 0x3fb8aa3b, v89
	v_cndmask_b32_e64 v89, 0, v76, s16
	s_delay_alu instid0(VALU_DEP_3) | instskip(NEXT) | instid1(VALU_DEP_3)
	v_add_f32_e32 v72, v72, v87
	v_exp_f32_e32 v75, v75
	s_delay_alu instid0(VALU_DEP_1) | instskip(SKIP_4) | instid1(VALU_DEP_2)
	v_add_f32_e32 v72, v72, v90
	s_waitcnt_depctr 0xfff
	v_cndmask_b32_e64 v92, 0, v73, s17
	v_add_f32_e32 v72, v72, v89
	v_cndmask_b32_e64 v91, 0, v75, s18
	v_add_f32_e32 v72, v72, v92
	s_delay_alu instid0(VALU_DEP_1)
	v_add_f32_e32 v72, v72, v91
	ds_bpermute_b32 v73, v74, v72
	v_cmpx_gt_u32_e32 16, v70
	s_cbranch_execz .LBB869_12
; %bb.11:
	v_mul_u32_u24_e32 v70, 0x44, v68
	s_waitcnt lgkmcnt(0)
	v_add_f32_e32 v72, v72, v73
	s_delay_alu instid0(VALU_DEP_2) | instskip(NEXT) | instid1(VALU_DEP_1)
	v_lshl_add_u32 v70, v69, 2, v70
	v_add_nc_u32_e32 v70, 0x4000, v70
	ds_store_2addr_b32 v70, v71, v72 offset1:136
.LBB869_12:
	s_or_b32 exec_lo, exec_lo, s3
	v_lshlrev_b32_e32 v70, 2, v69
	s_load_b32 s35, s[0:1], 0x94
	s_waitcnt lgkmcnt(0)
	s_barrier
	buffer_gl0_inv
	v_add_nc_u32_e32 v74, 0x4000, v70
	v_cmp_eq_u32_e32 vcc_lo, 1, v68
	v_cmp_eq_u32_e64 s3, 2, v68
	v_cmp_eq_u32_e64 s4, 3, v68
	;; [unrolled: 1-line block ×3, first 2 shown]
	ds_load_2addr_b32 v[70:71], v74 offset1:17
	ds_load_2addr_b32 v[72:73], v74 offset0:34 offset1:51
	ds_load_2addr_b32 v[93:94], v74 offset0:68 offset1:85
	ds_load_2addr_b32 v[95:96], v74 offset0:102 offset1:119
	v_cmp_eq_u32_e64 s6, 5, v68
	v_cmp_eq_u32_e64 s7, 7, v68
	s_waitcnt lgkmcnt(3)
	v_max3_f32 v75, v70, 0xff7fffff, v71
	s_waitcnt lgkmcnt(2)
	s_delay_alu instid0(VALU_DEP_1) | instskip(SKIP_1) | instid1(VALU_DEP_1)
	v_max3_f32 v75, v75, v72, v73
	s_waitcnt lgkmcnt(1)
	v_max3_f32 v75, v75, v93, v94
	s_waitcnt lgkmcnt(0)
	s_delay_alu instid0(VALU_DEP_1) | instskip(NEXT) | instid1(VALU_DEP_1)
	v_max3_f32 v75, v75, v95, v96
	v_sub_f32_e32 v93, v93, v75
	ds_load_2addr_b32 v[97:98], v74 offset0:136 offset1:153
	v_sub_f32_e32 v70, v70, v75
	v_dual_sub_f32 v100, v73, v75 :: v_dual_mul_f32 v103, 0x3fb8aa3b, v93
	s_delay_alu instid0(VALU_DEP_2) | instskip(SKIP_3) | instid1(VALU_DEP_1)
	v_dual_sub_f32 v76, v71, v75 :: v_dual_mul_f32 v99, 0x3fb8aa3b, v70
	ds_load_2addr_b32 v[70:71], v74 offset0:170 offset1:187
	v_mul_f32_e32 v76, 0x3fb8aa3b, v76
	v_exp_f32_e32 v99, v99
	v_exp_f32_e32 v102, v76
	v_mul_f32_e32 v100, 0x3fb8aa3b, v100
	s_waitcnt lgkmcnt(1)
	s_waitcnt_depctr 0xfff
	v_fma_f32 v76, v99, v97, 0
	v_sub_f32_e32 v97, v94, v75
	v_sub_f32_e32 v72, v72, v75
	v_exp_f32_e32 v100, v100
	ds_load_2addr_b32 v[93:94], v74 offset0:238 offset1:255
	v_dual_fmac_f32 v76, v102, v98 :: v_dual_mul_f32 v101, 0x3fb8aa3b, v72
	ds_load_2addr_b32 v[72:73], v74 offset0:204 offset1:221
	v_dual_sub_f32 v74, v95, v75 :: v_dual_mul_f32 v95, 0x3fb8aa3b, v97
	v_exp_f32_e32 v97, v103
	v_exp_f32_e32 v101, v101
	s_waitcnt lgkmcnt(0)
	s_delay_alu instid0(VALU_DEP_1)
	v_mul_f32_e32 v74, 0x3fb8aa3b, v74
	v_exp_f32_e32 v95, v95
	s_barrier
	buffer_gl0_inv
	v_fmac_f32_e32 v76, v101, v70
	v_sub_f32_e32 v70, v96, v75
	v_exp_f32_e32 v96, v74
	s_delay_alu instid0(VALU_DEP_2) | instskip(NEXT) | instid1(VALU_DEP_2)
	v_fmac_f32_e32 v76, v100, v71
	v_mul_f32_e32 v70, 0x3fb8aa3b, v70
	s_delay_alu instid0(VALU_DEP_2) | instskip(NEXT) | instid1(VALU_DEP_2)
	v_dual_cndmask_b32 v71, v99, v102 :: v_dual_fmac_f32 v76, v97, v72
	v_exp_f32_e32 v98, v70
	v_lshlrev_b32_e32 v72, 6, v69
	s_delay_alu instid0(VALU_DEP_2) | instskip(NEXT) | instid1(VALU_DEP_2)
	v_dual_fmac_f32 v76, v95, v73 :: v_dual_lshlrev_b32 v69, 2, v67
	v_lshl_or_b32 v74, v68, 11, v72
	s_delay_alu instid0(VALU_DEP_2)
	v_cmp_eq_u32_e64 s8, 7, v69
	s_delay_alu instid0(TRANS32_DEP_2) | instid1(VALU_DEP_3)
	v_fmac_f32_e32 v76, v96, v93
	s_waitcnt_depctr 0xfff
	v_fmac_f32_e32 v76, v98, v94
	s_delay_alu instid0(VALU_DEP_1) | instskip(NEXT) | instid1(VALU_DEP_1)
	v_add_f32_e32 v73, 0x358637bd, v76
	v_div_scale_f32 v93, null, v73, v73, 1.0
	v_div_scale_f32 v99, vcc_lo, 1.0, v73, 1.0
	s_delay_alu instid0(VALU_DEP_2) | instskip(SKIP_2) | instid1(VALU_DEP_1)
	v_rcp_f32_e32 v94, v93
	s_waitcnt_depctr 0xfff
	v_fma_f32 v70, -v93, v94, 1.0
	v_fmac_f32_e32 v94, v70, v94
	v_cndmask_b32_e64 v70, v71, v101, s3
	v_cmp_eq_u32_e64 s3, 6, v68
	v_or_b32_e32 v71, 1, v69
	v_or_b32_e32 v68, 2, v69
	v_mul_f32_e32 v101, v99, v94
	v_cndmask_b32_e64 v70, v70, v100, s4
	v_cmp_eq_u32_e64 s4, 1, v69
	v_cmp_eq_u32_e64 s9, 1, v71
	;; [unrolled: 1-line block ×3, first 2 shown]
	v_fma_f32 v100, -v93, v101, v99
	v_cndmask_b32_e64 v70, v70, v97, s5
	v_cmp_eq_u32_e64 s5, 2, v69
	v_cmp_eq_u32_e64 s12, 2, v71
	;; [unrolled: 1-line block ×3, first 2 shown]
	v_fmac_f32_e32 v101, v100, v94
	v_cndmask_b32_e64 v95, v70, v95, s6
	v_or_b32_e32 v70, 3, v69
	v_cmp_eq_u32_e64 s13, 3, v71
	v_cmp_eq_u32_e64 s17, 3, v68
	v_fma_f32 v93, -v93, v101, v99
	v_cndmask_b32_e64 v95, v95, v96, s3
	v_cmp_eq_u32_e64 s11, 1, v70
	v_cmp_eq_u32_e64 s16, 2, v70
	;; [unrolled: 1-line block ×3, first 2 shown]
	v_div_fmas_f32 v93, v93, v94, v101
	v_cndmask_b32_e64 v94, v95, v98, s7
	v_cmp_eq_u32_e32 vcc_lo, 3, v69
	v_cmp_eq_u32_e64 s3, 4, v69
	v_cmp_eq_u32_e64 s19, 4, v71
	v_div_fixup_f32 v93, v93, v73, 1.0
	v_lshl_or_b32 v73, v67, 4, v74
	v_cmp_eq_u32_e64 s22, 4, v70
	v_cmp_eq_u32_e64 s6, 5, v69
	;; [unrolled: 1-line block ×3, first 2 shown]
	v_mul_f32_e32 v101, v94, v93
	v_cmp_eq_u32_e64 s21, 4, v68
	v_cmp_eq_u32_e64 s24, 5, v70
	;; [unrolled: 1-line block ×4, first 2 shown]
	v_fma_mixlo_f16 v93, v101, v78, 0
	v_fma_mixlo_f16 v94, v101, v80, 0
	;; [unrolled: 1-line block ×8, first 2 shown]
	v_fma_mixhi_f16 v93, v101, v77, 0
	v_fma_mixhi_f16 v94, v101, v79, 0
	;; [unrolled: 1-line block ×8, first 2 shown]
	ds_store_b128 v73, v[93:96]
	ds_store_b128 v73, v[97:100] offset:1024
	s_waitcnt lgkmcnt(0)
	s_barrier
	buffer_gl0_inv
	ds_load_b128 v[77:80], v74
	ds_load_b128 v[81:84], v74 offset:16
	ds_load_b128 v[85:88], v74 offset:1024
	;; [unrolled: 1-line block ×3, first 2 shown]
	v_cmp_eq_u32_e64 s27, 6, v70
	v_cmp_eq_u32_e64 s7, 6, v69
	;; [unrolled: 1-line block ×6, first 2 shown]
	s_waitcnt lgkmcnt(3)
	v_lshrrev_b32_e32 v93, 16, v77
	s_waitcnt lgkmcnt(2)
	v_lshrrev_b32_e32 v97, 16, v81
	;; [unrolled: 2-line block ×4, first 2 shown]
	v_lshrrev_b32_e32 v94, 16, v78
	v_cndmask_b32_e64 v109, v77, v93, s4
	v_cndmask_b32_e64 v110, v81, v97, s4
	;; [unrolled: 1-line block ×8, first 2 shown]
	v_lshrrev_b32_e32 v98, 16, v82
	v_cndmask_b32_e64 v93, v85, v101, s4
	v_cndmask_b32_e64 v97, v89, v105, s4
	;; [unrolled: 1-line block ×15, first 2 shown]
	v_lshrrev_b32_e32 v102, 16, v86
	v_lshrrev_b32_e32 v106, 16, v90
	v_cndmask_b32_e64 v112, v114, v82, s15
	v_cndmask_b32_e64 v81, v93, v86, s5
	;; [unrolled: 1-line block ×7, first 2 shown]
	v_cndmask_b32_e32 v89, v101, v94, vcc_lo
	v_cndmask_b32_e32 v101, v105, v98, vcc_lo
	v_cndmask_b32_e64 v105, v109, v94, s13
	v_cndmask_b32_e64 v109, v110, v98, s13
	;; [unrolled: 1-line block ×4, first 2 shown]
	v_lshrrev_b32_e32 v95, 16, v79
	v_lshrrev_b32_e32 v99, 16, v83
	v_cndmask_b32_e64 v110, v111, v94, s17
	v_cndmask_b32_e64 v111, v112, v98, s17
	v_cndmask_b32_e32 v81, v81, v102, vcc_lo
	v_cndmask_b32_e32 v82, v82, v106, vcc_lo
	v_cndmask_b32_e64 v93, v93, v102, s13
	v_cndmask_b32_e64 v89, v89, v79, s3
	;; [unrolled: 1-line block ×7, first 2 shown]
	v_lshrrev_b32_e32 v103, 16, v87
	v_cndmask_b32_e64 v105, v110, v79, s21
	v_cndmask_b32_e64 v109, v111, v83, s21
	;; [unrolled: 1-line block ×11, first 2 shown]
	v_lshrrev_b32_e32 v96, 16, v80
	v_lshrrev_b32_e32 v100, 16, v84
	v_cndmask_b32_e64 v98, v105, v95, s23
	v_cndmask_b32_e64 v101, v109, v99, s23
	;; [unrolled: 1-line block ×7, first 2 shown]
	v_lshrrev_b32_e32 v104, 16, v88
	v_cndmask_b32_e64 v79, v79, v103, s6
	v_cndmask_b32_e64 v83, v83, v80, s7
	;; [unrolled: 1-line block ×16, first 2 shown]
	v_perm_b32 v80, v78, v77, 0x5040100
	v_perm_b32 v78, v94, v84, 0x5040100
	v_cndmask_b32_e64 v77, v118, v90, s15
	v_cndmask_b32_e64 v84, v116, v90, s12
	v_cndmask_b32_e64 v95, v79, v104, s8
	v_perm_b32 v79, v93, v89, 0x5040100
	v_cndmask_b32_e64 v89, v97, v102, s17
	v_cndmask_b32_e64 v85, v85, v102, s18
	;; [unrolled: 1-line block ×5, first 2 shown]
	v_lshrrev_b32_e32 v107, 16, v91
	v_cndmask_b32_e64 v89, v89, v87, s21
	v_cndmask_b32_e64 v85, v85, v87, s22
	;; [unrolled: 1-line block ×11, first 2 shown]
	v_lshrrev_b32_e32 v108, 16, v92
	v_cndmask_b32_e64 v81, v81, v92, s7
	v_cndmask_b32_e64 v87, v87, v88, s26
	;; [unrolled: 1-line block ×12, first 2 shown]
	v_perm_b32 v77, v83, v82, 0x5040100
	v_perm_b32 v84, v86, v85, 0x5040100
	;; [unrolled: 1-line block ×5, first 2 shown]
	s_lshl_b32 s8, s33, 2
	s_mov_b32 s3, exec_lo
	ds_store_b128 v73, v[77:80]
	ds_store_b128 v73, v[81:84] offset:1024
	v_cmpx_gt_u32_e32 4, v0
	s_cbranch_execz .LBB869_14
; %bb.13:
	v_or_b32_e32 v77, s31, v0
	s_load_b128 s[4:7], s[0:1], 0x58
	s_delay_alu instid0(VALU_DEP_1) | instskip(NEXT) | instid1(VALU_DEP_1)
	v_mad_u64_u32 v[78:79], null, s8, s34, v[77:78]
	v_mad_u64_u32 v[79:80], null, v78, s35, s[14:15]
	s_delay_alu instid0(VALU_DEP_1) | instskip(NEXT) | instid1(VALU_DEP_1)
	v_ashrrev_i32_e32 v80, 31, v79
	v_lshlrev_b64 v[77:78], 2, v[79:80]
	s_waitcnt lgkmcnt(0)
	s_delay_alu instid0(VALU_DEP_1) | instskip(NEXT) | instid1(VALU_DEP_2)
	v_add_co_u32 v79, vcc_lo, s6, v77
	v_add_co_ci_u32_e32 v80, vcc_lo, s7, v78, vcc_lo
	v_add_co_u32 v77, vcc_lo, s4, v77
	v_add_co_ci_u32_e32 v78, vcc_lo, s5, v78, vcc_lo
	global_store_b32 v[79:80], v75, off
	global_store_b32 v[77:78], v76, off
.LBB869_14:
	s_or_b32 exec_lo, exec_lo, s3
	s_waitcnt lgkmcnt(0)
	s_waitcnt_vscnt null, 0x0
	s_barrier
	buffer_gl0_inv
	ds_load_b128 v[83:86], v72
	ds_load_b128 v[87:90], v72 offset:16
	ds_load_b128 v[95:98], v72 offset:2064
	;; [unrolled: 1-line block ×5, first 2 shown]
	v_cmp_eq_u32_e32 vcc_lo, 1, v69
	v_mov_b32_e32 v75, 0
	ds_load_b128 v[111:114], v72 offset:6160
	ds_load_b128 v[107:110], v72 offset:6144
	ds_load_b128 v[119:122], v72 offset:8208
	ds_load_b128 v[115:118], v72 offset:8192
	v_cmp_eq_u32_e64 s4, 1, v68
	v_cmp_eq_u32_e64 s3, 1, v71
	;; [unrolled: 1-line block ×3, first 2 shown]
	v_mov_b32_e32 v76, v75
	v_mov_b32_e32 v77, v75
	;; [unrolled: 1-line block ×7, first 2 shown]
	v_cmp_eq_u32_e64 s6, 3, v71
	v_cmp_eq_u32_e64 s7, 7, v71
	s_waitcnt lgkmcnt(8)
	s_delay_alu instid0(VALU_DEP_3)
	v_wmma_f32_16x16x16_f16 v[75:82], v[49:56], v[83:90], v[75:82]
	ds_load_b128 v[53:56], v72 offset:10256
	ds_load_b128 v[49:52], v72 offset:10240
	s_waitcnt lgkmcnt(8)
	v_wmma_f32_16x16x16_f16 v[75:82], v[41:48], v[91:98], v[75:82]
	ds_load_b128 v[45:48], v72 offset:12304
	ds_load_b128 v[41:44], v72 offset:12288
	s_waitcnt lgkmcnt(8)
	v_wmma_f32_16x16x16_f16 v[75:82], v[33:40], v[99:106], v[75:82]
	ds_load_b128 v[37:40], v72 offset:14352
	ds_load_b128 v[33:36], v72 offset:14336
	s_waitcnt lgkmcnt(0)
	s_barrier
	buffer_gl0_inv
	v_wmma_f32_16x16x16_f16 v[75:82], v[1:8], v[107:114], v[75:82]
	s_delay_alu instid0(VALU_DEP_1) | instskip(NEXT) | instid1(VALU_DEP_1)
	v_wmma_f32_16x16x16_f16 v[75:82], v[9:16], v[115:122], v[75:82]
	v_wmma_f32_16x16x16_f16 v[75:82], v[17:24], v[49:56], v[75:82]
	s_delay_alu instid0(VALU_DEP_1) | instskip(NEXT) | instid1(VALU_DEP_1)
	v_wmma_f32_16x16x16_f16 v[75:82], v[25:32], v[41:48], v[75:82]
	v_wmma_f32_16x16x16_f16 v[75:82], v[57:64], v[33:40], v[75:82]
	s_delay_alu instid0(VALU_DEP_1) | instskip(NEXT) | instid1(VALU_DEP_2)
	v_cvt_f16_f32_e32 v1, v75
	v_cvt_f16_f32_e32 v2, v76
	s_delay_alu instid0(VALU_DEP_3) | instskip(NEXT) | instid1(VALU_DEP_4)
	v_cvt_f16_f32_e32 v3, v77
	v_cvt_f16_f32_e32 v4, v78
	;; [unrolled: 1-line block ×6, first 2 shown]
	v_pack_b32_f16 v1, v1, v2
	v_pack_b32_f16 v2, v3, v4
	;; [unrolled: 1-line block ×3, first 2 shown]
	s_delay_alu instid0(VALU_DEP_4)
	v_pack_b32_f16 v4, v7, v8
	ds_store_b128 v73, v[1:4]
	s_waitcnt lgkmcnt(0)
	s_barrier
	buffer_gl0_inv
	ds_load_b128 v[1:4], v74
	ds_load_b128 v[5:8], v74 offset:16
	s_waitcnt lgkmcnt(1)
	v_lshrrev_b32_e32 v9, 16, v1
	s_waitcnt lgkmcnt(0)
	v_lshrrev_b32_e32 v13, 16, v5
	v_lshrrev_b32_e32 v10, 16, v2
	;; [unrolled: 1-line block ×4, first 2 shown]
	v_cndmask_b32_e32 v17, v1, v9, vcc_lo
	v_cndmask_b32_e32 v18, v5, v13, vcc_lo
	v_cndmask_b32_e64 v21, v1, v9, s4
	v_cmp_eq_u32_e32 vcc_lo, 1, v70
	v_cndmask_b32_e64 v22, v5, v13, s4
	v_cmp_eq_u32_e64 s4, 2, v69
	v_cndmask_b32_e64 v19, v1, v9, s3
	v_cndmask_b32_e64 v20, v5, v13, s3
	v_cndmask_b32_e32 v1, v1, v9, vcc_lo
	v_cmp_eq_u32_e64 s3, 2, v70
	v_cndmask_b32_e32 v5, v5, v13, vcc_lo
	v_cndmask_b32_e64 v9, v17, v2, s4
	v_cmp_eq_u32_e32 vcc_lo, 3, v69
	v_cndmask_b32_e64 v13, v18, v6, s4
	v_cmp_eq_u32_e64 s4, 2, v68
	v_cndmask_b32_e64 v17, v19, v2, s5
	v_cndmask_b32_e64 v18, v20, v6, s5
	v_cmp_eq_u32_e64 s5, 3, v68
	v_cndmask_b32_e64 v1, v1, v2, s3
	v_cndmask_b32_e64 v19, v21, v2, s4
	;; [unrolled: 1-line block ×4, first 2 shown]
	v_cndmask_b32_e32 v5, v9, v10, vcc_lo
	v_cndmask_b32_e32 v6, v13, v14, vcc_lo
	v_cmp_eq_u32_e32 vcc_lo, 3, v70
	v_cndmask_b32_e64 v9, v17, v10, s6
	v_cndmask_b32_e64 v13, v18, v14, s6
	;; [unrolled: 1-line block ×3, first 2 shown]
	v_cmp_eq_u32_e64 s4, 4, v69
	v_cndmask_b32_e32 v1, v1, v10, vcc_lo
	v_cndmask_b32_e32 v2, v2, v14, vcc_lo
	v_cmp_eq_u32_e32 vcc_lo, 4, v71
	v_lshrrev_b32_e32 v15, 16, v7
	v_lshrrev_b32_e32 v16, 16, v8
	v_cndmask_b32_e64 v17, v19, v10, s5
	v_cmp_eq_u32_e64 s3, 4, v70
	v_cndmask_b32_e64 v5, v5, v3, s4
	v_cndmask_b32_e64 v6, v6, v7, s4
	v_cndmask_b32_e32 v9, v9, v3, vcc_lo
	v_cmp_eq_u32_e64 s4, 5, v71
	v_cndmask_b32_e32 v10, v13, v7, vcc_lo
	v_cmp_eq_u32_e32 vcc_lo, 4, v68
	v_cmp_eq_u32_e64 s5, 5, v69
	v_cndmask_b32_e64 v2, v2, v7, s3
	v_cndmask_b32_e64 v9, v9, v11, s4
	;; [unrolled: 1-line block ×3, first 2 shown]
	v_cndmask_b32_e32 v13, v17, v3, vcc_lo
	v_cmp_eq_u32_e64 s4, 5, v68
	v_cndmask_b32_e32 v14, v18, v7, vcc_lo
	v_cndmask_b32_e64 v1, v1, v3, s3
	v_cmp_eq_u32_e32 vcc_lo, 5, v70
	v_lshrrev_b32_e32 v12, 16, v4
	v_cndmask_b32_e64 v13, v13, v11, s4
	v_cndmask_b32_e64 v3, v14, v15, s4
	v_cmp_eq_u32_e64 s4, 6, v70
	v_cndmask_b32_e32 v1, v1, v11, vcc_lo
	v_cndmask_b32_e64 v5, v5, v11, s5
	v_cmp_eq_u32_e64 s6, 6, v69
	v_cndmask_b32_e64 v6, v6, v15, s5
	v_cmp_eq_u32_e64 s5, 6, v71
	v_cmp_eq_u32_e64 s3, 6, v68
	v_cndmask_b32_e64 v1, v1, v4, s4
	v_cndmask_b32_e32 v2, v2, v15, vcc_lo
	v_cmp_eq_u32_e32 vcc_lo, 7, v70
	v_cndmask_b32_e64 v5, v5, v4, s6
	v_cndmask_b32_e64 v9, v9, v4, s5
	;; [unrolled: 1-line block ×3, first 2 shown]
	v_cmp_eq_u32_e64 s6, 7, v69
	v_cndmask_b32_e32 v1, v1, v12, vcc_lo
	v_cndmask_b32_e64 v7, v13, v4, s3
	v_cndmask_b32_e64 v3, v3, v8, s3
	;; [unrolled: 1-line block ×3, first 2 shown]
	v_cmp_eq_u32_e64 s3, 7, v68
	v_cndmask_b32_e64 v4, v10, v8, s5
	v_cndmask_b32_e64 v5, v5, v12, s6
	;; [unrolled: 1-line block ×3, first 2 shown]
	v_cndmask_b32_e32 v2, v2, v16, vcc_lo
	v_cndmask_b32_e64 v7, v7, v12, s3
	v_cndmask_b32_e64 v3, v3, v16, s3
	v_cndmask_b32_e64 v8, v4, v16, s7
	v_cndmask_b32_e64 v6, v6, v16, s6
	v_cmp_gt_u32_e32 vcc_lo, 32, v0
	v_perm_b32 v4, v2, v1, 0x5040100
	v_perm_b32 v3, v3, v7, 0x5040100
	;; [unrolled: 1-line block ×4, first 2 shown]
	s_and_b32 s2, vcc_lo, s2
	ds_store_b128 v73, v[1:4]
	s_waitcnt lgkmcnt(0)
	s_barrier
	buffer_gl0_inv
	s_and_saveexec_b32 s3, s2
	s_cbranch_execz .LBB869_2
; %bb.15:
	s_load_b64 s[0:1], s[0:1], 0x68
	v_lshlrev_b32_e32 v0, 10, v0
	v_or_b32_e32 v1, s31, v67
	s_lshl_b32 s4, s35, 6
	v_lshlrev_b32_e32 v2, 4, v66
	s_mul_i32 s2, s4, s34
	v_lshlrev_b32_e32 v3, 6, v67
	v_mul_lo_u32 v8, v1, s4
	v_and_b32_e32 v0, 0x3800, v0
	v_or_b32_e32 v1, 2, v1
	s_mul_i32 s2, s2, s8
	s_delay_alu instid0(SALU_CYCLE_1) | instskip(NEXT) | instid1(VALU_DEP_2)
	s_ashr_i32 s3, s2, 31
	v_or3_b32 v4, v0, v2, v3
	s_lshl_b64 s[2:3], s[2:3], 1
	v_mul_lo_u32 v10, v1, s4
	v_ashrrev_i32_e32 v9, 31, v8
	ds_load_b128 v[0:3], v4
	ds_load_b128 v[4:7], v4 offset:128
	s_waitcnt lgkmcnt(0)
	s_add_u32 s2, s0, s2
	s_addc_u32 s3, s1, s3
	s_lshl_b32 s0, s14, 6
	v_ashrrev_i32_e32 v11, 31, v10
	s_ashr_i32 s1, s0, 31
	v_lshlrev_b64 v[8:9], 1, v[8:9]
	s_lshl_b64 s[0:1], s[0:1], 1
	s_delay_alu instid0(SALU_CYCLE_1) | instskip(SKIP_2) | instid1(VALU_DEP_1)
	s_add_u32 s0, s2, s0
	s_addc_u32 s1, s3, s1
	v_add_co_u32 v12, s0, s0, v65
	v_add_co_ci_u32_e64 v13, null, s1, 0, s0
	v_lshlrev_b64 v[10:11], 1, v[10:11]
	s_delay_alu instid0(VALU_DEP_3) | instskip(NEXT) | instid1(VALU_DEP_3)
	v_add_co_u32 v8, vcc_lo, v12, v8
	v_add_co_ci_u32_e32 v9, vcc_lo, v13, v9, vcc_lo
	s_delay_alu instid0(VALU_DEP_3) | instskip(NEXT) | instid1(VALU_DEP_4)
	v_add_co_u32 v10, vcc_lo, v12, v10
	v_add_co_ci_u32_e32 v11, vcc_lo, v13, v11, vcc_lo
	s_clause 0x1
	global_store_b128 v[8:9], v[0:3], off
	global_store_b128 v[10:11], v[4:7], off
	s_nop 0
	s_sendmsg sendmsg(MSG_DEALLOC_VGPRS)
	s_endpgm
	.section	.rodata,"a",@progbits
	.p2align	6, 0x0
	.amdhsa_kernel _Z39paged_attention_ll4mi_QKV_mfma16_kernelIDF16_hLN4vllm18Fp8KVCacheDataTypeE1EhLi32ELi64ELi256ELb1ELi4EL8MFMAType1EEvPKT_PKT0_S8_ifPKiSA_SA_iPKfiiiPfSD_PS3_PT2_iSC_SC_
		.amdhsa_group_segment_fixed_size 17472
		.amdhsa_private_segment_fixed_size 0
		.amdhsa_kernarg_size 400
		.amdhsa_user_sgpr_count 13
		.amdhsa_user_sgpr_dispatch_ptr 0
		.amdhsa_user_sgpr_queue_ptr 0
		.amdhsa_user_sgpr_kernarg_segment_ptr 1
		.amdhsa_user_sgpr_dispatch_id 0
		.amdhsa_user_sgpr_private_segment_size 0
		.amdhsa_wavefront_size32 1
		.amdhsa_uses_dynamic_stack 0
		.amdhsa_enable_private_segment 0
		.amdhsa_system_sgpr_workgroup_id_x 1
		.amdhsa_system_sgpr_workgroup_id_y 1
		.amdhsa_system_sgpr_workgroup_id_z 1
		.amdhsa_system_sgpr_workgroup_info 0
		.amdhsa_system_vgpr_workitem_id 0
		.amdhsa_next_free_vgpr 123
		.amdhsa_next_free_sgpr 42
		.amdhsa_reserve_vcc 1
		.amdhsa_float_round_mode_32 0
		.amdhsa_float_round_mode_16_64 0
		.amdhsa_float_denorm_mode_32 3
		.amdhsa_float_denorm_mode_16_64 3
		.amdhsa_dx10_clamp 1
		.amdhsa_ieee_mode 1
		.amdhsa_fp16_overflow 0
		.amdhsa_workgroup_processor_mode 1
		.amdhsa_memory_ordered 1
		.amdhsa_forward_progress 0
		.amdhsa_shared_vgpr_count 0
		.amdhsa_exception_fp_ieee_invalid_op 0
		.amdhsa_exception_fp_denorm_src 0
		.amdhsa_exception_fp_ieee_div_zero 0
		.amdhsa_exception_fp_ieee_overflow 0
		.amdhsa_exception_fp_ieee_underflow 0
		.amdhsa_exception_fp_ieee_inexact 0
		.amdhsa_exception_int_div_zero 0
	.end_amdhsa_kernel
	.section	.text._Z39paged_attention_ll4mi_QKV_mfma16_kernelIDF16_hLN4vllm18Fp8KVCacheDataTypeE1EhLi32ELi64ELi256ELb1ELi4EL8MFMAType1EEvPKT_PKT0_S8_ifPKiSA_SA_iPKfiiiPfSD_PS3_PT2_iSC_SC_,"axG",@progbits,_Z39paged_attention_ll4mi_QKV_mfma16_kernelIDF16_hLN4vllm18Fp8KVCacheDataTypeE1EhLi32ELi64ELi256ELb1ELi4EL8MFMAType1EEvPKT_PKT0_S8_ifPKiSA_SA_iPKfiiiPfSD_PS3_PT2_iSC_SC_,comdat
.Lfunc_end869:
	.size	_Z39paged_attention_ll4mi_QKV_mfma16_kernelIDF16_hLN4vllm18Fp8KVCacheDataTypeE1EhLi32ELi64ELi256ELb1ELi4EL8MFMAType1EEvPKT_PKT0_S8_ifPKiSA_SA_iPKfiiiPfSD_PS3_PT2_iSC_SC_, .Lfunc_end869-_Z39paged_attention_ll4mi_QKV_mfma16_kernelIDF16_hLN4vllm18Fp8KVCacheDataTypeE1EhLi32ELi64ELi256ELb1ELi4EL8MFMAType1EEvPKT_PKT0_S8_ifPKiSA_SA_iPKfiiiPfSD_PS3_PT2_iSC_SC_
                                        ; -- End function
	.section	.AMDGPU.csdata,"",@progbits
; Kernel info:
; codeLenInByte = 6380
; NumSgprs: 44
; NumVgprs: 123
; ScratchSize: 0
; MemoryBound: 0
; FloatMode: 240
; IeeeMode: 1
; LDSByteSize: 17472 bytes/workgroup (compile time only)
; SGPRBlocks: 5
; VGPRBlocks: 15
; NumSGPRsForWavesPerEU: 44
; NumVGPRsForWavesPerEU: 123
; Occupancy: 10
; WaveLimiterHint : 1
; COMPUTE_PGM_RSRC2:SCRATCH_EN: 0
; COMPUTE_PGM_RSRC2:USER_SGPR: 13
; COMPUTE_PGM_RSRC2:TRAP_HANDLER: 0
; COMPUTE_PGM_RSRC2:TGID_X_EN: 1
; COMPUTE_PGM_RSRC2:TGID_Y_EN: 1
; COMPUTE_PGM_RSRC2:TGID_Z_EN: 1
; COMPUTE_PGM_RSRC2:TIDIG_COMP_CNT: 0
	.section	.text._Z38paged_attention_ll4mi_QKV_mfma4_kernelIDF16_hLN4vllm18Fp8KVCacheDataTypeE1EhLi32ELi64ELi256ELb0ELi1EEvPKT_PKT0_S7_ifPKiS9_S9_iPKfiiiPfSC_PS2_PT2_iSB_SB_,"axG",@progbits,_Z38paged_attention_ll4mi_QKV_mfma4_kernelIDF16_hLN4vllm18Fp8KVCacheDataTypeE1EhLi32ELi64ELi256ELb0ELi1EEvPKT_PKT0_S7_ifPKiS9_S9_iPKfiiiPfSC_PS2_PT2_iSB_SB_,comdat
	.protected	_Z38paged_attention_ll4mi_QKV_mfma4_kernelIDF16_hLN4vllm18Fp8KVCacheDataTypeE1EhLi32ELi64ELi256ELb0ELi1EEvPKT_PKT0_S7_ifPKiS9_S9_iPKfiiiPfSC_PS2_PT2_iSB_SB_ ; -- Begin function _Z38paged_attention_ll4mi_QKV_mfma4_kernelIDF16_hLN4vllm18Fp8KVCacheDataTypeE1EhLi32ELi64ELi256ELb0ELi1EEvPKT_PKT0_S7_ifPKiS9_S9_iPKfiiiPfSC_PS2_PT2_iSB_SB_
	.globl	_Z38paged_attention_ll4mi_QKV_mfma4_kernelIDF16_hLN4vllm18Fp8KVCacheDataTypeE1EhLi32ELi64ELi256ELb0ELi1EEvPKT_PKT0_S7_ifPKiS9_S9_iPKfiiiPfSC_PS2_PT2_iSB_SB_
	.p2align	8
	.type	_Z38paged_attention_ll4mi_QKV_mfma4_kernelIDF16_hLN4vllm18Fp8KVCacheDataTypeE1EhLi32ELi64ELi256ELb0ELi1EEvPKT_PKT0_S7_ifPKiS9_S9_iPKfiiiPfSC_PS2_PT2_iSB_SB_,@function
_Z38paged_attention_ll4mi_QKV_mfma4_kernelIDF16_hLN4vllm18Fp8KVCacheDataTypeE1EhLi32ELi64ELi256ELb0ELi1EEvPKT_PKT0_S7_ifPKiS9_S9_iPKfiiiPfSC_PS2_PT2_iSB_SB_: ; @_Z38paged_attention_ll4mi_QKV_mfma4_kernelIDF16_hLN4vllm18Fp8KVCacheDataTypeE1EhLi32ELi64ELi256ELb0ELi1EEvPKT_PKT0_S7_ifPKiS9_S9_iPKfiiiPfSC_PS2_PT2_iSB_SB_
; %bb.0:
	s_add_u32 s8, s0, 0x90
	s_addc_u32 s9, s1, 0
	s_getpc_b64 s[0:1]
	s_add_u32 s0, s0, __PRETTY_FUNCTION__._Z38paged_attention_ll4mi_QKV_mfma4_kernelIDF16_hLN4vllm18Fp8KVCacheDataTypeE1EhLi32ELi64ELi256ELb0ELi1EEvPKT_PKT0_S7_ifPKiS9_S9_iPKfiiiPfSC_PS2_PT2_iSB_SB_@rel32@lo+4
	s_addc_u32 s1, s1, __PRETTY_FUNCTION__._Z38paged_attention_ll4mi_QKV_mfma4_kernelIDF16_hLN4vllm18Fp8KVCacheDataTypeE1EhLi32ELi64ELi256ELb0ELi1EEvPKT_PKT0_S7_ifPKiS9_S9_iPKfiiiPfSC_PS2_PT2_iSB_SB_@rel32@hi+12
	s_delay_alu instid0(SALU_CYCLE_1) | instskip(SKIP_4) | instid1(SALU_CYCLE_1)
	v_dual_mov_b32 v0, s0 :: v_dual_mov_b32 v1, s1
	s_mov_b32 s32, 0
	s_getpc_b64 s[2:3]
	s_add_u32 s2, s2, __assert_fail@rel32@lo+4
	s_addc_u32 s3, s3, __assert_fail@rel32@hi+12
	s_swappc_b64 s[30:31], s[2:3]
	.section	.rodata,"a",@progbits
	.p2align	6, 0x0
	.amdhsa_kernel _Z38paged_attention_ll4mi_QKV_mfma4_kernelIDF16_hLN4vllm18Fp8KVCacheDataTypeE1EhLi32ELi64ELi256ELb0ELi1EEvPKT_PKT0_S7_ifPKiS9_S9_iPKfiiiPfSC_PS2_PT2_iSB_SB_
		.amdhsa_group_segment_fixed_size 0
		.amdhsa_private_segment_fixed_size 64
		.amdhsa_kernarg_size 400
		.amdhsa_user_sgpr_count 15
		.amdhsa_user_sgpr_dispatch_ptr 0
		.amdhsa_user_sgpr_queue_ptr 0
		.amdhsa_user_sgpr_kernarg_segment_ptr 1
		.amdhsa_user_sgpr_dispatch_id 0
		.amdhsa_user_sgpr_private_segment_size 0
		.amdhsa_wavefront_size32 1
		.amdhsa_uses_dynamic_stack 0
		.amdhsa_enable_private_segment 1
		.amdhsa_system_sgpr_workgroup_id_x 1
		.amdhsa_system_sgpr_workgroup_id_y 0
		.amdhsa_system_sgpr_workgroup_id_z 0
		.amdhsa_system_sgpr_workgroup_info 0
		.amdhsa_system_vgpr_workitem_id 0
		.amdhsa_next_free_vgpr 41
		.amdhsa_next_free_sgpr 34
		.amdhsa_reserve_vcc 1
		.amdhsa_float_round_mode_32 0
		.amdhsa_float_round_mode_16_64 0
		.amdhsa_float_denorm_mode_32 3
		.amdhsa_float_denorm_mode_16_64 3
		.amdhsa_dx10_clamp 1
		.amdhsa_ieee_mode 1
		.amdhsa_fp16_overflow 0
		.amdhsa_workgroup_processor_mode 1
		.amdhsa_memory_ordered 1
		.amdhsa_forward_progress 0
		.amdhsa_shared_vgpr_count 0
		.amdhsa_exception_fp_ieee_invalid_op 0
		.amdhsa_exception_fp_denorm_src 0
		.amdhsa_exception_fp_ieee_div_zero 0
		.amdhsa_exception_fp_ieee_overflow 0
		.amdhsa_exception_fp_ieee_underflow 0
		.amdhsa_exception_fp_ieee_inexact 0
		.amdhsa_exception_int_div_zero 0
	.end_amdhsa_kernel
	.section	.text._Z38paged_attention_ll4mi_QKV_mfma4_kernelIDF16_hLN4vllm18Fp8KVCacheDataTypeE1EhLi32ELi64ELi256ELb0ELi1EEvPKT_PKT0_S7_ifPKiS9_S9_iPKfiiiPfSC_PS2_PT2_iSB_SB_,"axG",@progbits,_Z38paged_attention_ll4mi_QKV_mfma4_kernelIDF16_hLN4vllm18Fp8KVCacheDataTypeE1EhLi32ELi64ELi256ELb0ELi1EEvPKT_PKT0_S7_ifPKiS9_S9_iPKfiiiPfSC_PS2_PT2_iSB_SB_,comdat
.Lfunc_end870:
	.size	_Z38paged_attention_ll4mi_QKV_mfma4_kernelIDF16_hLN4vllm18Fp8KVCacheDataTypeE1EhLi32ELi64ELi256ELb0ELi1EEvPKT_PKT0_S7_ifPKiS9_S9_iPKfiiiPfSC_PS2_PT2_iSB_SB_, .Lfunc_end870-_Z38paged_attention_ll4mi_QKV_mfma4_kernelIDF16_hLN4vllm18Fp8KVCacheDataTypeE1EhLi32ELi64ELi256ELb0ELi1EEvPKT_PKT0_S7_ifPKiS9_S9_iPKfiiiPfSC_PS2_PT2_iSB_SB_
                                        ; -- End function
	.section	.AMDGPU.csdata,"",@progbits
; Kernel info:
; codeLenInByte = 72
; NumSgprs: 36
; NumVgprs: 41
; ScratchSize: 64
; MemoryBound: 0
; FloatMode: 240
; IeeeMode: 1
; LDSByteSize: 0 bytes/workgroup (compile time only)
; SGPRBlocks: 4
; VGPRBlocks: 5
; NumSGPRsForWavesPerEU: 36
; NumVGPRsForWavesPerEU: 41
; Occupancy: 16
; WaveLimiterHint : 1
; COMPUTE_PGM_RSRC2:SCRATCH_EN: 1
; COMPUTE_PGM_RSRC2:USER_SGPR: 15
; COMPUTE_PGM_RSRC2:TRAP_HANDLER: 0
; COMPUTE_PGM_RSRC2:TGID_X_EN: 1
; COMPUTE_PGM_RSRC2:TGID_Y_EN: 0
; COMPUTE_PGM_RSRC2:TGID_Z_EN: 0
; COMPUTE_PGM_RSRC2:TIDIG_COMP_CNT: 0
	.section	.text._Z38paged_attention_ll4mi_QKV_mfma4_kernelIDF16_hLN4vllm18Fp8KVCacheDataTypeE1EhLi32ELi64ELi256ELb0ELi2EEvPKT_PKT0_S7_ifPKiS9_S9_iPKfiiiPfSC_PS2_PT2_iSB_SB_,"axG",@progbits,_Z38paged_attention_ll4mi_QKV_mfma4_kernelIDF16_hLN4vllm18Fp8KVCacheDataTypeE1EhLi32ELi64ELi256ELb0ELi2EEvPKT_PKT0_S7_ifPKiS9_S9_iPKfiiiPfSC_PS2_PT2_iSB_SB_,comdat
	.protected	_Z38paged_attention_ll4mi_QKV_mfma4_kernelIDF16_hLN4vllm18Fp8KVCacheDataTypeE1EhLi32ELi64ELi256ELb0ELi2EEvPKT_PKT0_S7_ifPKiS9_S9_iPKfiiiPfSC_PS2_PT2_iSB_SB_ ; -- Begin function _Z38paged_attention_ll4mi_QKV_mfma4_kernelIDF16_hLN4vllm18Fp8KVCacheDataTypeE1EhLi32ELi64ELi256ELb0ELi2EEvPKT_PKT0_S7_ifPKiS9_S9_iPKfiiiPfSC_PS2_PT2_iSB_SB_
	.globl	_Z38paged_attention_ll4mi_QKV_mfma4_kernelIDF16_hLN4vllm18Fp8KVCacheDataTypeE1EhLi32ELi64ELi256ELb0ELi2EEvPKT_PKT0_S7_ifPKiS9_S9_iPKfiiiPfSC_PS2_PT2_iSB_SB_
	.p2align	8
	.type	_Z38paged_attention_ll4mi_QKV_mfma4_kernelIDF16_hLN4vllm18Fp8KVCacheDataTypeE1EhLi32ELi64ELi256ELb0ELi2EEvPKT_PKT0_S7_ifPKiS9_S9_iPKfiiiPfSC_PS2_PT2_iSB_SB_,@function
_Z38paged_attention_ll4mi_QKV_mfma4_kernelIDF16_hLN4vllm18Fp8KVCacheDataTypeE1EhLi32ELi64ELi256ELb0ELi2EEvPKT_PKT0_S7_ifPKiS9_S9_iPKfiiiPfSC_PS2_PT2_iSB_SB_: ; @_Z38paged_attention_ll4mi_QKV_mfma4_kernelIDF16_hLN4vllm18Fp8KVCacheDataTypeE1EhLi32ELi64ELi256ELb0ELi2EEvPKT_PKT0_S7_ifPKiS9_S9_iPKfiiiPfSC_PS2_PT2_iSB_SB_
; %bb.0:
	s_add_u32 s8, s0, 0x90
	s_addc_u32 s9, s1, 0
	s_getpc_b64 s[0:1]
	s_add_u32 s0, s0, __PRETTY_FUNCTION__._Z38paged_attention_ll4mi_QKV_mfma4_kernelIDF16_hLN4vllm18Fp8KVCacheDataTypeE1EhLi32ELi64ELi256ELb0ELi2EEvPKT_PKT0_S7_ifPKiS9_S9_iPKfiiiPfSC_PS2_PT2_iSB_SB_@rel32@lo+4
	s_addc_u32 s1, s1, __PRETTY_FUNCTION__._Z38paged_attention_ll4mi_QKV_mfma4_kernelIDF16_hLN4vllm18Fp8KVCacheDataTypeE1EhLi32ELi64ELi256ELb0ELi2EEvPKT_PKT0_S7_ifPKiS9_S9_iPKfiiiPfSC_PS2_PT2_iSB_SB_@rel32@hi+12
	s_delay_alu instid0(SALU_CYCLE_1) | instskip(SKIP_4) | instid1(SALU_CYCLE_1)
	v_dual_mov_b32 v0, s0 :: v_dual_mov_b32 v1, s1
	s_mov_b32 s32, 0
	s_getpc_b64 s[2:3]
	s_add_u32 s2, s2, __assert_fail@rel32@lo+4
	s_addc_u32 s3, s3, __assert_fail@rel32@hi+12
	s_swappc_b64 s[30:31], s[2:3]
	.section	.rodata,"a",@progbits
	.p2align	6, 0x0
	.amdhsa_kernel _Z38paged_attention_ll4mi_QKV_mfma4_kernelIDF16_hLN4vllm18Fp8KVCacheDataTypeE1EhLi32ELi64ELi256ELb0ELi2EEvPKT_PKT0_S7_ifPKiS9_S9_iPKfiiiPfSC_PS2_PT2_iSB_SB_
		.amdhsa_group_segment_fixed_size 0
		.amdhsa_private_segment_fixed_size 64
		.amdhsa_kernarg_size 400
		.amdhsa_user_sgpr_count 15
		.amdhsa_user_sgpr_dispatch_ptr 0
		.amdhsa_user_sgpr_queue_ptr 0
		.amdhsa_user_sgpr_kernarg_segment_ptr 1
		.amdhsa_user_sgpr_dispatch_id 0
		.amdhsa_user_sgpr_private_segment_size 0
		.amdhsa_wavefront_size32 1
		.amdhsa_uses_dynamic_stack 0
		.amdhsa_enable_private_segment 1
		.amdhsa_system_sgpr_workgroup_id_x 1
		.amdhsa_system_sgpr_workgroup_id_y 0
		.amdhsa_system_sgpr_workgroup_id_z 0
		.amdhsa_system_sgpr_workgroup_info 0
		.amdhsa_system_vgpr_workitem_id 0
		.amdhsa_next_free_vgpr 41
		.amdhsa_next_free_sgpr 34
		.amdhsa_reserve_vcc 1
		.amdhsa_float_round_mode_32 0
		.amdhsa_float_round_mode_16_64 0
		.amdhsa_float_denorm_mode_32 3
		.amdhsa_float_denorm_mode_16_64 3
		.amdhsa_dx10_clamp 1
		.amdhsa_ieee_mode 1
		.amdhsa_fp16_overflow 0
		.amdhsa_workgroup_processor_mode 1
		.amdhsa_memory_ordered 1
		.amdhsa_forward_progress 0
		.amdhsa_shared_vgpr_count 0
		.amdhsa_exception_fp_ieee_invalid_op 0
		.amdhsa_exception_fp_denorm_src 0
		.amdhsa_exception_fp_ieee_div_zero 0
		.amdhsa_exception_fp_ieee_overflow 0
		.amdhsa_exception_fp_ieee_underflow 0
		.amdhsa_exception_fp_ieee_inexact 0
		.amdhsa_exception_int_div_zero 0
	.end_amdhsa_kernel
	.section	.text._Z38paged_attention_ll4mi_QKV_mfma4_kernelIDF16_hLN4vllm18Fp8KVCacheDataTypeE1EhLi32ELi64ELi256ELb0ELi2EEvPKT_PKT0_S7_ifPKiS9_S9_iPKfiiiPfSC_PS2_PT2_iSB_SB_,"axG",@progbits,_Z38paged_attention_ll4mi_QKV_mfma4_kernelIDF16_hLN4vllm18Fp8KVCacheDataTypeE1EhLi32ELi64ELi256ELb0ELi2EEvPKT_PKT0_S7_ifPKiS9_S9_iPKfiiiPfSC_PS2_PT2_iSB_SB_,comdat
.Lfunc_end871:
	.size	_Z38paged_attention_ll4mi_QKV_mfma4_kernelIDF16_hLN4vllm18Fp8KVCacheDataTypeE1EhLi32ELi64ELi256ELb0ELi2EEvPKT_PKT0_S7_ifPKiS9_S9_iPKfiiiPfSC_PS2_PT2_iSB_SB_, .Lfunc_end871-_Z38paged_attention_ll4mi_QKV_mfma4_kernelIDF16_hLN4vllm18Fp8KVCacheDataTypeE1EhLi32ELi64ELi256ELb0ELi2EEvPKT_PKT0_S7_ifPKiS9_S9_iPKfiiiPfSC_PS2_PT2_iSB_SB_
                                        ; -- End function
	.section	.AMDGPU.csdata,"",@progbits
; Kernel info:
; codeLenInByte = 72
; NumSgprs: 36
; NumVgprs: 41
; ScratchSize: 64
; MemoryBound: 0
; FloatMode: 240
; IeeeMode: 1
; LDSByteSize: 0 bytes/workgroup (compile time only)
; SGPRBlocks: 4
; VGPRBlocks: 5
; NumSGPRsForWavesPerEU: 36
; NumVGPRsForWavesPerEU: 41
; Occupancy: 16
; WaveLimiterHint : 1
; COMPUTE_PGM_RSRC2:SCRATCH_EN: 1
; COMPUTE_PGM_RSRC2:USER_SGPR: 15
; COMPUTE_PGM_RSRC2:TRAP_HANDLER: 0
; COMPUTE_PGM_RSRC2:TGID_X_EN: 1
; COMPUTE_PGM_RSRC2:TGID_Y_EN: 0
; COMPUTE_PGM_RSRC2:TGID_Z_EN: 0
; COMPUTE_PGM_RSRC2:TIDIG_COMP_CNT: 0
	.section	.text._Z38paged_attention_ll4mi_QKV_mfma4_kernelIDF16_hLN4vllm18Fp8KVCacheDataTypeE1EhLi32ELi64ELi256ELb0ELi3EEvPKT_PKT0_S7_ifPKiS9_S9_iPKfiiiPfSC_PS2_PT2_iSB_SB_,"axG",@progbits,_Z38paged_attention_ll4mi_QKV_mfma4_kernelIDF16_hLN4vllm18Fp8KVCacheDataTypeE1EhLi32ELi64ELi256ELb0ELi3EEvPKT_PKT0_S7_ifPKiS9_S9_iPKfiiiPfSC_PS2_PT2_iSB_SB_,comdat
	.protected	_Z38paged_attention_ll4mi_QKV_mfma4_kernelIDF16_hLN4vllm18Fp8KVCacheDataTypeE1EhLi32ELi64ELi256ELb0ELi3EEvPKT_PKT0_S7_ifPKiS9_S9_iPKfiiiPfSC_PS2_PT2_iSB_SB_ ; -- Begin function _Z38paged_attention_ll4mi_QKV_mfma4_kernelIDF16_hLN4vllm18Fp8KVCacheDataTypeE1EhLi32ELi64ELi256ELb0ELi3EEvPKT_PKT0_S7_ifPKiS9_S9_iPKfiiiPfSC_PS2_PT2_iSB_SB_
	.globl	_Z38paged_attention_ll4mi_QKV_mfma4_kernelIDF16_hLN4vllm18Fp8KVCacheDataTypeE1EhLi32ELi64ELi256ELb0ELi3EEvPKT_PKT0_S7_ifPKiS9_S9_iPKfiiiPfSC_PS2_PT2_iSB_SB_
	.p2align	8
	.type	_Z38paged_attention_ll4mi_QKV_mfma4_kernelIDF16_hLN4vllm18Fp8KVCacheDataTypeE1EhLi32ELi64ELi256ELb0ELi3EEvPKT_PKT0_S7_ifPKiS9_S9_iPKfiiiPfSC_PS2_PT2_iSB_SB_,@function
_Z38paged_attention_ll4mi_QKV_mfma4_kernelIDF16_hLN4vllm18Fp8KVCacheDataTypeE1EhLi32ELi64ELi256ELb0ELi3EEvPKT_PKT0_S7_ifPKiS9_S9_iPKfiiiPfSC_PS2_PT2_iSB_SB_: ; @_Z38paged_attention_ll4mi_QKV_mfma4_kernelIDF16_hLN4vllm18Fp8KVCacheDataTypeE1EhLi32ELi64ELi256ELb0ELi3EEvPKT_PKT0_S7_ifPKiS9_S9_iPKfiiiPfSC_PS2_PT2_iSB_SB_
; %bb.0:
	s_add_u32 s8, s0, 0x90
	s_addc_u32 s9, s1, 0
	s_getpc_b64 s[0:1]
	s_add_u32 s0, s0, __PRETTY_FUNCTION__._Z38paged_attention_ll4mi_QKV_mfma4_kernelIDF16_hLN4vllm18Fp8KVCacheDataTypeE1EhLi32ELi64ELi256ELb0ELi3EEvPKT_PKT0_S7_ifPKiS9_S9_iPKfiiiPfSC_PS2_PT2_iSB_SB_@rel32@lo+4
	s_addc_u32 s1, s1, __PRETTY_FUNCTION__._Z38paged_attention_ll4mi_QKV_mfma4_kernelIDF16_hLN4vllm18Fp8KVCacheDataTypeE1EhLi32ELi64ELi256ELb0ELi3EEvPKT_PKT0_S7_ifPKiS9_S9_iPKfiiiPfSC_PS2_PT2_iSB_SB_@rel32@hi+12
	s_delay_alu instid0(SALU_CYCLE_1) | instskip(SKIP_4) | instid1(SALU_CYCLE_1)
	v_dual_mov_b32 v0, s0 :: v_dual_mov_b32 v1, s1
	s_mov_b32 s32, 0
	s_getpc_b64 s[2:3]
	s_add_u32 s2, s2, __assert_fail@rel32@lo+4
	s_addc_u32 s3, s3, __assert_fail@rel32@hi+12
	s_swappc_b64 s[30:31], s[2:3]
	.section	.rodata,"a",@progbits
	.p2align	6, 0x0
	.amdhsa_kernel _Z38paged_attention_ll4mi_QKV_mfma4_kernelIDF16_hLN4vllm18Fp8KVCacheDataTypeE1EhLi32ELi64ELi256ELb0ELi3EEvPKT_PKT0_S7_ifPKiS9_S9_iPKfiiiPfSC_PS2_PT2_iSB_SB_
		.amdhsa_group_segment_fixed_size 0
		.amdhsa_private_segment_fixed_size 64
		.amdhsa_kernarg_size 400
		.amdhsa_user_sgpr_count 15
		.amdhsa_user_sgpr_dispatch_ptr 0
		.amdhsa_user_sgpr_queue_ptr 0
		.amdhsa_user_sgpr_kernarg_segment_ptr 1
		.amdhsa_user_sgpr_dispatch_id 0
		.amdhsa_user_sgpr_private_segment_size 0
		.amdhsa_wavefront_size32 1
		.amdhsa_uses_dynamic_stack 0
		.amdhsa_enable_private_segment 1
		.amdhsa_system_sgpr_workgroup_id_x 1
		.amdhsa_system_sgpr_workgroup_id_y 0
		.amdhsa_system_sgpr_workgroup_id_z 0
		.amdhsa_system_sgpr_workgroup_info 0
		.amdhsa_system_vgpr_workitem_id 0
		.amdhsa_next_free_vgpr 41
		.amdhsa_next_free_sgpr 34
		.amdhsa_reserve_vcc 1
		.amdhsa_float_round_mode_32 0
		.amdhsa_float_round_mode_16_64 0
		.amdhsa_float_denorm_mode_32 3
		.amdhsa_float_denorm_mode_16_64 3
		.amdhsa_dx10_clamp 1
		.amdhsa_ieee_mode 1
		.amdhsa_fp16_overflow 0
		.amdhsa_workgroup_processor_mode 1
		.amdhsa_memory_ordered 1
		.amdhsa_forward_progress 0
		.amdhsa_shared_vgpr_count 0
		.amdhsa_exception_fp_ieee_invalid_op 0
		.amdhsa_exception_fp_denorm_src 0
		.amdhsa_exception_fp_ieee_div_zero 0
		.amdhsa_exception_fp_ieee_overflow 0
		.amdhsa_exception_fp_ieee_underflow 0
		.amdhsa_exception_fp_ieee_inexact 0
		.amdhsa_exception_int_div_zero 0
	.end_amdhsa_kernel
	.section	.text._Z38paged_attention_ll4mi_QKV_mfma4_kernelIDF16_hLN4vllm18Fp8KVCacheDataTypeE1EhLi32ELi64ELi256ELb0ELi3EEvPKT_PKT0_S7_ifPKiS9_S9_iPKfiiiPfSC_PS2_PT2_iSB_SB_,"axG",@progbits,_Z38paged_attention_ll4mi_QKV_mfma4_kernelIDF16_hLN4vllm18Fp8KVCacheDataTypeE1EhLi32ELi64ELi256ELb0ELi3EEvPKT_PKT0_S7_ifPKiS9_S9_iPKfiiiPfSC_PS2_PT2_iSB_SB_,comdat
.Lfunc_end872:
	.size	_Z38paged_attention_ll4mi_QKV_mfma4_kernelIDF16_hLN4vllm18Fp8KVCacheDataTypeE1EhLi32ELi64ELi256ELb0ELi3EEvPKT_PKT0_S7_ifPKiS9_S9_iPKfiiiPfSC_PS2_PT2_iSB_SB_, .Lfunc_end872-_Z38paged_attention_ll4mi_QKV_mfma4_kernelIDF16_hLN4vllm18Fp8KVCacheDataTypeE1EhLi32ELi64ELi256ELb0ELi3EEvPKT_PKT0_S7_ifPKiS9_S9_iPKfiiiPfSC_PS2_PT2_iSB_SB_
                                        ; -- End function
	.section	.AMDGPU.csdata,"",@progbits
; Kernel info:
; codeLenInByte = 72
; NumSgprs: 36
; NumVgprs: 41
; ScratchSize: 64
; MemoryBound: 0
; FloatMode: 240
; IeeeMode: 1
; LDSByteSize: 0 bytes/workgroup (compile time only)
; SGPRBlocks: 4
; VGPRBlocks: 5
; NumSGPRsForWavesPerEU: 36
; NumVGPRsForWavesPerEU: 41
; Occupancy: 16
; WaveLimiterHint : 1
; COMPUTE_PGM_RSRC2:SCRATCH_EN: 1
; COMPUTE_PGM_RSRC2:USER_SGPR: 15
; COMPUTE_PGM_RSRC2:TRAP_HANDLER: 0
; COMPUTE_PGM_RSRC2:TGID_X_EN: 1
; COMPUTE_PGM_RSRC2:TGID_Y_EN: 0
; COMPUTE_PGM_RSRC2:TGID_Z_EN: 0
; COMPUTE_PGM_RSRC2:TIDIG_COMP_CNT: 0
	.section	.text._Z38paged_attention_ll4mi_QKV_mfma4_kernelIDF16_hLN4vllm18Fp8KVCacheDataTypeE1EhLi32ELi64ELi256ELb0ELi4EEvPKT_PKT0_S7_ifPKiS9_S9_iPKfiiiPfSC_PS2_PT2_iSB_SB_,"axG",@progbits,_Z38paged_attention_ll4mi_QKV_mfma4_kernelIDF16_hLN4vllm18Fp8KVCacheDataTypeE1EhLi32ELi64ELi256ELb0ELi4EEvPKT_PKT0_S7_ifPKiS9_S9_iPKfiiiPfSC_PS2_PT2_iSB_SB_,comdat
	.protected	_Z38paged_attention_ll4mi_QKV_mfma4_kernelIDF16_hLN4vllm18Fp8KVCacheDataTypeE1EhLi32ELi64ELi256ELb0ELi4EEvPKT_PKT0_S7_ifPKiS9_S9_iPKfiiiPfSC_PS2_PT2_iSB_SB_ ; -- Begin function _Z38paged_attention_ll4mi_QKV_mfma4_kernelIDF16_hLN4vllm18Fp8KVCacheDataTypeE1EhLi32ELi64ELi256ELb0ELi4EEvPKT_PKT0_S7_ifPKiS9_S9_iPKfiiiPfSC_PS2_PT2_iSB_SB_
	.globl	_Z38paged_attention_ll4mi_QKV_mfma4_kernelIDF16_hLN4vllm18Fp8KVCacheDataTypeE1EhLi32ELi64ELi256ELb0ELi4EEvPKT_PKT0_S7_ifPKiS9_S9_iPKfiiiPfSC_PS2_PT2_iSB_SB_
	.p2align	8
	.type	_Z38paged_attention_ll4mi_QKV_mfma4_kernelIDF16_hLN4vllm18Fp8KVCacheDataTypeE1EhLi32ELi64ELi256ELb0ELi4EEvPKT_PKT0_S7_ifPKiS9_S9_iPKfiiiPfSC_PS2_PT2_iSB_SB_,@function
_Z38paged_attention_ll4mi_QKV_mfma4_kernelIDF16_hLN4vllm18Fp8KVCacheDataTypeE1EhLi32ELi64ELi256ELb0ELi4EEvPKT_PKT0_S7_ifPKiS9_S9_iPKfiiiPfSC_PS2_PT2_iSB_SB_: ; @_Z38paged_attention_ll4mi_QKV_mfma4_kernelIDF16_hLN4vllm18Fp8KVCacheDataTypeE1EhLi32ELi64ELi256ELb0ELi4EEvPKT_PKT0_S7_ifPKiS9_S9_iPKfiiiPfSC_PS2_PT2_iSB_SB_
; %bb.0:
	s_add_u32 s8, s0, 0x90
	s_addc_u32 s9, s1, 0
	s_getpc_b64 s[0:1]
	s_add_u32 s0, s0, __PRETTY_FUNCTION__._Z38paged_attention_ll4mi_QKV_mfma4_kernelIDF16_hLN4vllm18Fp8KVCacheDataTypeE1EhLi32ELi64ELi256ELb0ELi4EEvPKT_PKT0_S7_ifPKiS9_S9_iPKfiiiPfSC_PS2_PT2_iSB_SB_@rel32@lo+4
	s_addc_u32 s1, s1, __PRETTY_FUNCTION__._Z38paged_attention_ll4mi_QKV_mfma4_kernelIDF16_hLN4vllm18Fp8KVCacheDataTypeE1EhLi32ELi64ELi256ELb0ELi4EEvPKT_PKT0_S7_ifPKiS9_S9_iPKfiiiPfSC_PS2_PT2_iSB_SB_@rel32@hi+12
	s_delay_alu instid0(SALU_CYCLE_1) | instskip(SKIP_4) | instid1(SALU_CYCLE_1)
	v_dual_mov_b32 v0, s0 :: v_dual_mov_b32 v1, s1
	s_mov_b32 s32, 0
	s_getpc_b64 s[2:3]
	s_add_u32 s2, s2, __assert_fail@rel32@lo+4
	s_addc_u32 s3, s3, __assert_fail@rel32@hi+12
	s_swappc_b64 s[30:31], s[2:3]
	.section	.rodata,"a",@progbits
	.p2align	6, 0x0
	.amdhsa_kernel _Z38paged_attention_ll4mi_QKV_mfma4_kernelIDF16_hLN4vllm18Fp8KVCacheDataTypeE1EhLi32ELi64ELi256ELb0ELi4EEvPKT_PKT0_S7_ifPKiS9_S9_iPKfiiiPfSC_PS2_PT2_iSB_SB_
		.amdhsa_group_segment_fixed_size 0
		.amdhsa_private_segment_fixed_size 64
		.amdhsa_kernarg_size 400
		.amdhsa_user_sgpr_count 15
		.amdhsa_user_sgpr_dispatch_ptr 0
		.amdhsa_user_sgpr_queue_ptr 0
		.amdhsa_user_sgpr_kernarg_segment_ptr 1
		.amdhsa_user_sgpr_dispatch_id 0
		.amdhsa_user_sgpr_private_segment_size 0
		.amdhsa_wavefront_size32 1
		.amdhsa_uses_dynamic_stack 0
		.amdhsa_enable_private_segment 1
		.amdhsa_system_sgpr_workgroup_id_x 1
		.amdhsa_system_sgpr_workgroup_id_y 0
		.amdhsa_system_sgpr_workgroup_id_z 0
		.amdhsa_system_sgpr_workgroup_info 0
		.amdhsa_system_vgpr_workitem_id 0
		.amdhsa_next_free_vgpr 41
		.amdhsa_next_free_sgpr 34
		.amdhsa_reserve_vcc 1
		.amdhsa_float_round_mode_32 0
		.amdhsa_float_round_mode_16_64 0
		.amdhsa_float_denorm_mode_32 3
		.amdhsa_float_denorm_mode_16_64 3
		.amdhsa_dx10_clamp 1
		.amdhsa_ieee_mode 1
		.amdhsa_fp16_overflow 0
		.amdhsa_workgroup_processor_mode 1
		.amdhsa_memory_ordered 1
		.amdhsa_forward_progress 0
		.amdhsa_shared_vgpr_count 0
		.amdhsa_exception_fp_ieee_invalid_op 0
		.amdhsa_exception_fp_denorm_src 0
		.amdhsa_exception_fp_ieee_div_zero 0
		.amdhsa_exception_fp_ieee_overflow 0
		.amdhsa_exception_fp_ieee_underflow 0
		.amdhsa_exception_fp_ieee_inexact 0
		.amdhsa_exception_int_div_zero 0
	.end_amdhsa_kernel
	.section	.text._Z38paged_attention_ll4mi_QKV_mfma4_kernelIDF16_hLN4vllm18Fp8KVCacheDataTypeE1EhLi32ELi64ELi256ELb0ELi4EEvPKT_PKT0_S7_ifPKiS9_S9_iPKfiiiPfSC_PS2_PT2_iSB_SB_,"axG",@progbits,_Z38paged_attention_ll4mi_QKV_mfma4_kernelIDF16_hLN4vllm18Fp8KVCacheDataTypeE1EhLi32ELi64ELi256ELb0ELi4EEvPKT_PKT0_S7_ifPKiS9_S9_iPKfiiiPfSC_PS2_PT2_iSB_SB_,comdat
.Lfunc_end873:
	.size	_Z38paged_attention_ll4mi_QKV_mfma4_kernelIDF16_hLN4vllm18Fp8KVCacheDataTypeE1EhLi32ELi64ELi256ELb0ELi4EEvPKT_PKT0_S7_ifPKiS9_S9_iPKfiiiPfSC_PS2_PT2_iSB_SB_, .Lfunc_end873-_Z38paged_attention_ll4mi_QKV_mfma4_kernelIDF16_hLN4vllm18Fp8KVCacheDataTypeE1EhLi32ELi64ELi256ELb0ELi4EEvPKT_PKT0_S7_ifPKiS9_S9_iPKfiiiPfSC_PS2_PT2_iSB_SB_
                                        ; -- End function
	.section	.AMDGPU.csdata,"",@progbits
; Kernel info:
; codeLenInByte = 72
; NumSgprs: 36
; NumVgprs: 41
; ScratchSize: 64
; MemoryBound: 0
; FloatMode: 240
; IeeeMode: 1
; LDSByteSize: 0 bytes/workgroup (compile time only)
; SGPRBlocks: 4
; VGPRBlocks: 5
; NumSGPRsForWavesPerEU: 36
; NumVGPRsForWavesPerEU: 41
; Occupancy: 16
; WaveLimiterHint : 1
; COMPUTE_PGM_RSRC2:SCRATCH_EN: 1
; COMPUTE_PGM_RSRC2:USER_SGPR: 15
; COMPUTE_PGM_RSRC2:TRAP_HANDLER: 0
; COMPUTE_PGM_RSRC2:TGID_X_EN: 1
; COMPUTE_PGM_RSRC2:TGID_Y_EN: 0
; COMPUTE_PGM_RSRC2:TGID_Z_EN: 0
; COMPUTE_PGM_RSRC2:TIDIG_COMP_CNT: 0
	.section	.text._Z39paged_attention_ll4mi_QKV_mfma16_kernelIDF16_hLN4vllm18Fp8KVCacheDataTypeE1EhLi32ELi64ELi256ELb0ELi5EL8MFMAType1EEvPKT_PKT0_S8_ifPKiSA_SA_iPKfiiiPfSD_PS3_PT2_iSC_SC_,"axG",@progbits,_Z39paged_attention_ll4mi_QKV_mfma16_kernelIDF16_hLN4vllm18Fp8KVCacheDataTypeE1EhLi32ELi64ELi256ELb0ELi5EL8MFMAType1EEvPKT_PKT0_S8_ifPKiSA_SA_iPKfiiiPfSD_PS3_PT2_iSC_SC_,comdat
	.protected	_Z39paged_attention_ll4mi_QKV_mfma16_kernelIDF16_hLN4vllm18Fp8KVCacheDataTypeE1EhLi32ELi64ELi256ELb0ELi5EL8MFMAType1EEvPKT_PKT0_S8_ifPKiSA_SA_iPKfiiiPfSD_PS3_PT2_iSC_SC_ ; -- Begin function _Z39paged_attention_ll4mi_QKV_mfma16_kernelIDF16_hLN4vllm18Fp8KVCacheDataTypeE1EhLi32ELi64ELi256ELb0ELi5EL8MFMAType1EEvPKT_PKT0_S8_ifPKiSA_SA_iPKfiiiPfSD_PS3_PT2_iSC_SC_
	.globl	_Z39paged_attention_ll4mi_QKV_mfma16_kernelIDF16_hLN4vllm18Fp8KVCacheDataTypeE1EhLi32ELi64ELi256ELb0ELi5EL8MFMAType1EEvPKT_PKT0_S8_ifPKiSA_SA_iPKfiiiPfSD_PS3_PT2_iSC_SC_
	.p2align	8
	.type	_Z39paged_attention_ll4mi_QKV_mfma16_kernelIDF16_hLN4vllm18Fp8KVCacheDataTypeE1EhLi32ELi64ELi256ELb0ELi5EL8MFMAType1EEvPKT_PKT0_S8_ifPKiSA_SA_iPKfiiiPfSD_PS3_PT2_iSC_SC_,@function
_Z39paged_attention_ll4mi_QKV_mfma16_kernelIDF16_hLN4vllm18Fp8KVCacheDataTypeE1EhLi32ELi64ELi256ELb0ELi5EL8MFMAType1EEvPKT_PKT0_S8_ifPKiSA_SA_iPKfiiiPfSD_PS3_PT2_iSC_SC_: ; @_Z39paged_attention_ll4mi_QKV_mfma16_kernelIDF16_hLN4vllm18Fp8KVCacheDataTypeE1EhLi32ELi64ELi256ELb0ELi5EL8MFMAType1EEvPKT_PKT0_S8_ifPKiSA_SA_iPKfiiiPfSD_PS3_PT2_iSC_SC_
; %bb.0:
	s_load_b64 s[2:3], s[0:1], 0x30
	s_mov_b32 s34, s13
	s_waitcnt lgkmcnt(0)
	s_cmp_lg_u64 s[2:3], 0
	s_cselect_b32 s6, -1, 0
	s_ashr_i32 s35, s13, 31
	s_cmp_eq_u64 s[2:3], 0
	s_cbranch_scc1 .LBB874_3
; %bb.1:
	s_lshl_b64 s[4:5], s[34:35], 2
	s_delay_alu instid0(SALU_CYCLE_1) | instskip(SKIP_4) | instid1(SALU_CYCLE_1)
	s_add_u32 s4, s2, s4
	s_addc_u32 s5, s3, s5
	s_load_b64 s[4:5], s[4:5], 0x0
	s_waitcnt lgkmcnt(0)
	s_sub_i32 s4, s5, s4
	s_cmp_eq_u32 s4, 1
	s_cselect_b32 s4, -1, 0
	s_delay_alu instid0(SALU_CYCLE_1)
	s_and_not1_b32 vcc_lo, exec_lo, s4
	s_cbranch_vccz .LBB874_4
.LBB874_2:
	s_nop 0
	s_sendmsg sendmsg(MSG_DEALLOC_VGPRS)
	s_endpgm
.LBB874_3:
.LBB874_4:
	s_load_b64 s[8:9], s[0:1], 0x28
	s_lshl_b64 s[4:5], s[34:35], 2
	s_waitcnt lgkmcnt(0)
	s_add_u32 s8, s8, s4
	s_addc_u32 s9, s9, s5
	s_lshl_b32 s16, s14, 8
	s_load_b32 s18, s[8:9], 0x0
	s_waitcnt lgkmcnt(0)
	s_cmp_ge_i32 s16, s18
	s_cbranch_scc1 .LBB874_2
; %bb.5:
	s_clause 0x1
	s_load_b128 s[8:11], s[0:1], 0x8
	s_load_b64 s[12:13], s[0:1], 0x20
	s_and_not1_b32 vcc_lo, exec_lo, s6
	s_cbranch_vccnz .LBB874_7
; %bb.6:
	s_add_u32 s2, s2, s4
	s_addc_u32 s3, s3, s5
	s_load_b32 s3, s[2:3], 0x0
	s_branch .LBB874_8
.LBB874_7:
	s_mov_b32 s3, s34
.LBB874_8:
	s_load_b128 s[4:7], s[0:1], 0x48
	v_lshrrev_b32_e32 v69, 5, v0
	v_bfe_u32 v66, v0, 4, 1
	v_and_b32_e32 v68, 15, v0
	v_and_b32_e32 v70, 31, v0
	;; [unrolled: 1-line block ×3, first 2 shown]
	s_mul_i32 s33, s15, 5
	v_lshl_or_b32 v1, v69, 1, v66
	v_lshlrev_b32_e32 v2, 3, v68
	v_cmp_gt_u32_e64 s2, 8, v68
	s_delay_alu instid0(VALU_DEP_3) | instskip(NEXT) | instid1(VALU_DEP_3)
	v_cmp_gt_u32_e32 vcc_lo, 5, v1
	v_lshlrev_b32_e32 v65, 1, v2
	s_delay_alu instid0(VALU_DEP_3)
	s_and_b32 s17, s2, vcc_lo
	s_waitcnt lgkmcnt(0)
	s_and_saveexec_b32 s7, s17
	s_cbranch_execz .LBB874_10
; %bb.9:
	s_load_b64 s[20:21], s[0:1], 0x0
	v_add_lshl_u32 v2, v1, s33, 6
	s_mul_hi_i32 s23, s3, s4
	s_mul_i32 s22, s3, s4
	v_lshlrev_b32_e32 v6, 10, v68
	s_lshl_b64 s[22:23], s[22:23], 1
	v_ashrrev_i32_e32 v3, 31, v2
	v_lshlrev_b32_e32 v1, 6, v1
	v_lshlrev_b32_e32 v7, 10, v67
	v_and_b32_e32 v6, 0x3800, v6
	s_delay_alu instid0(VALU_DEP_4) | instskip(NEXT) | instid1(VALU_DEP_2)
	v_lshlrev_b64 v[2:3], 1, v[2:3]
	v_or3_b32 v1, v6, v7, v1
	s_waitcnt lgkmcnt(0)
	s_add_u32 s3, s20, s22
	s_addc_u32 s4, s21, s23
	s_delay_alu instid0(VALU_DEP_2) | instskip(SKIP_1) | instid1(VALU_DEP_2)
	v_add_co_u32 v2, vcc_lo, s3, v2
	v_add_co_ci_u32_e32 v3, vcc_lo, s4, v3, vcc_lo
	v_add_co_u32 v2, vcc_lo, v2, v65
	s_delay_alu instid0(VALU_DEP_2)
	v_add_co_ci_u32_e32 v3, vcc_lo, 0, v3, vcc_lo
	global_load_b128 v[2:5], v[2:3], off
	s_waitcnt vmcnt(0)
	ds_store_b128 v1, v[2:5]
.LBB874_10:
	s_or_b32 exec_lo, exec_lo, s7
	v_and_b32_e32 v1, 0xef, v0
	s_add_i32 s3, s18, 31
	s_clause 0x1
	s_load_b32 s4, s[0:1], 0x38
	s_load_b32 s35, s[0:1], 0x98
	s_ashr_i32 s7, s3, 31
	v_add_nc_u32_e32 v1, s16, v1
	s_lshr_b32 s7, s7, 27
	s_load_b32 s19, s[0:1], 0x1c
	s_add_i32 s3, s3, s7
	s_waitcnt lgkmcnt(0)
	v_ashrrev_i32_e32 v2, 31, v1
	v_or_b32_e32 v3, 16, v1
	s_ashr_i32 s3, s3, 5
	v_cmp_gt_i32_e32 vcc_lo, s18, v1
	s_add_i32 s3, s3, -1
	v_lshrrev_b32_e32 v2, 27, v2
	s_barrier
	buffer_gl0_inv
	s_mul_i32 s15, s15, s6
	v_mul_lo_u16 v103, v68, 52
	v_add_nc_u32_e32 v4, v1, v2
	v_mbcnt_lo_u32_b32 v127, -1, 0
	s_mul_i32 s20, s34, s4
	s_delay_alu instid0(SALU_CYCLE_1) | instskip(NEXT) | instid1(VALU_DEP_2)
	s_ashr_i32 s21, s20, 31
	v_ashrrev_i32_e32 v4, 5, v4
	v_add_nc_u32_e32 v2, v3, v2
	s_lshl_b64 s[20:21], s[20:21], 2
	v_lshrrev_b16 v103, 8, v103
	s_add_u32 s17, s12, s20
	v_cndmask_b32_e32 v1, s3, v4, vcc_lo
	v_ashrrev_i32_e32 v2, 5, v2
	v_cmp_gt_i32_e32 vcc_lo, s18, v3
	s_addc_u32 s13, s13, s21
	s_ashr_i32 s20, s15, 31
	s_add_u32 s22, s8, s15
	s_addc_u32 s23, s9, s20
	v_cndmask_b32_e32 v3, s3, v2, vcc_lo
	v_ashrrev_i32_e32 v2, 31, v1
	s_lshl_b32 s6, s14, 3
	v_mul_lo_u16 v103, v103, 5
	s_ashr_i32 s7, s6, 31
	v_ashrrev_i32_e32 v4, 31, v3
	v_lshlrev_b64 v[1:2], 2, v[1:2]
	s_lshl_b64 s[6:7], s[6:7], 2
	v_sub_nc_u16 v103, v68, v103
	s_add_u32 s6, s17, s6
	v_lshlrev_b64 v[3:4], 2, v[3:4]
	s_addc_u32 s7, s13, s7
	v_add_co_u32 v1, vcc_lo, s17, v1
	v_add_co_ci_u32_e32 v2, vcc_lo, s13, v2, vcc_lo
	s_delay_alu instid0(VALU_DEP_3) | instskip(NEXT) | instid1(VALU_DEP_4)
	v_add_co_u32 v3, vcc_lo, s17, v3
	v_add_co_ci_u32_e32 v4, vcc_lo, s13, v4, vcc_lo
	s_clause 0x1
	global_load_b32 v5, v[1:2], off
	global_load_b32 v6, v[3:4], off
	s_or_b32 s4, s16, 32
	v_xor_b32_e32 v128, 16, v127
	s_ashr_i32 s8, s4, 5
	s_cmp_lt_i32 s4, s18
	s_cselect_b32 s8, s8, s3
	s_delay_alu instid0(SALU_CYCLE_1) | instskip(NEXT) | instid1(SALU_CYCLE_1)
	s_ashr_i32 s9, s8, 31
	s_lshl_b64 s[8:9], s[8:9], 2
	s_delay_alu instid0(SALU_CYCLE_1) | instskip(SKIP_2) | instid1(SALU_CYCLE_1)
	s_add_u32 s8, s17, s8
	s_addc_u32 s9, s13, s9
	s_or_b32 s4, s16, 64
	s_ashr_i32 s12, s4, 5
	s_cmp_lt_i32 s4, s18
	s_cselect_b32 s24, s12, s3
	s_delay_alu instid0(SALU_CYCLE_1) | instskip(NEXT) | instid1(SALU_CYCLE_1)
	s_ashr_i32 s25, s24, 31
	s_lshl_b64 s[24:25], s[24:25], 2
	s_delay_alu instid0(SALU_CYCLE_1) | instskip(SKIP_2) | instid1(SALU_CYCLE_1)
	s_add_u32 s24, s17, s24
	s_addc_u32 s25, s13, s25
	s_or_b32 s4, s16, 0x60
	;; [unrolled: 10-line block ×4, first 2 shown]
	s_ashr_i32 s12, s4, 5
	s_cmp_lt_i32 s4, s18
	s_cselect_b32 s30, s12, s3
	s_delay_alu instid0(SALU_CYCLE_1) | instskip(NEXT) | instid1(SALU_CYCLE_1)
	s_ashr_i32 s31, s30, 31
	s_lshl_b64 s[30:31], s[30:31], 2
	s_delay_alu instid0(SALU_CYCLE_1)
	s_add_u32 s30, s17, s30
	s_addc_u32 s31, s13, s31
	s_clause 0x5
	s_load_b32 s12, s[6:7], 0x0
	s_load_b32 s4, s[8:9], 0x0
	s_load_b32 s6, s[24:25], 0x0
	s_load_b32 s7, s[26:27], 0x0
	s_load_b32 s8, s[28:29], 0x0
	s_load_b32 s9, s[30:31], 0x0
	s_or_b32 s21, s16, 0xc0
	s_waitcnt vmcnt(1)
	v_mad_i64_i32 v[1:2], null, v5, s5, s[22:23]
	v_lshlrev_b32_e32 v5, 4, v68
	s_waitcnt vmcnt(0)
	v_mad_i64_i32 v[3:4], null, v6, s5, s[22:23]
	s_ashr_i32 s22, s21, 5
	s_cmp_lt_i32 s21, s18
	s_delay_alu instid0(VALU_DEP_3) | instskip(NEXT) | instid1(VALU_DEP_4)
	v_add_co_u32 v1, vcc_lo, v1, v5
	v_add_co_ci_u32_e32 v2, vcc_lo, 0, v2, vcc_lo
	s_delay_alu instid0(VALU_DEP_3) | instskip(NEXT) | instid1(VALU_DEP_4)
	v_add_co_u32 v3, vcc_lo, v3, v5
	v_add_co_ci_u32_e32 v4, vcc_lo, 0, v4, vcc_lo
	s_clause 0x7
	global_load_b128 v[71:74], v[1:2], off
	global_load_b128 v[75:78], v[1:2], off offset:512
	global_load_b128 v[79:82], v[3:4], off offset:256
	;; [unrolled: 1-line block ×7, first 2 shown]
	s_cselect_b32 s22, s22, s3
	v_lshlrev_b32_e32 v1, 5, v68
	s_ashr_i32 s23, s22, 31
	v_cmp_gt_i32_e32 vcc_lo, 32, v128
	s_lshl_b64 s[22:23], s[22:23], 2
	v_and_b32_e32 v103, 0xff, v103
	s_add_u32 s22, s17, s22
	s_addc_u32 s23, s13, s23
	v_cndmask_b32_e32 v136, v127, v128, vcc_lo
	s_or_b32 s21, s16, 0xe0
	v_lshl_or_b32 v1, v69, 9, v1
	s_ashr_i32 s24, s21, 5
	s_cmp_lt_i32 s21, s18
	v_lshlrev_b32_e32 v115, 6, v103
	s_cselect_b32 s24, s24, s3
	s_load_b32 s3, s[22:23], 0x0
	s_ashr_i32 s25, s24, 31
	s_delay_alu instid0(SALU_CYCLE_1) | instskip(NEXT) | instid1(SALU_CYCLE_1)
	s_lshl_b64 s[24:25], s[24:25], 2
	s_add_u32 s22, s17, s24
	s_addc_u32 s23, s13, s25
	s_add_u32 s10, s10, s15
	s_addc_u32 s11, s11, s20
	v_add_co_u32 v1, s10, s10, v1
	s_delay_alu instid0(VALU_DEP_1) | instskip(SKIP_2) | instid1(VALU_DEP_1)
	v_add_co_ci_u32_e64 v2, null, s11, 0, s10
	s_load_b32 s10, s[22:23], 0x0
	s_waitcnt lgkmcnt(0)
	v_mad_i64_i32 v[3:4], null, s12, s5, v[1:2]
	v_mad_i64_i32 v[9:10], null, s7, s5, v[1:2]
	;; [unrolled: 1-line block ×7, first 2 shown]
	s_clause 0x5
	global_load_b128 v[49:52], v[3:4], off
	global_load_b128 v[53:56], v[3:4], off offset:16
	global_load_b128 v[41:44], v[5:6], off
	global_load_b128 v[45:48], v[5:6], off offset:16
	;; [unrolled: 2-line block ×3, first 2 shown]
	s_mov_b32 s4, 0
	v_mad_i64_i32 v[61:62], null, s10, s5, v[1:2]
	s_clause 0x9
	global_load_b128 v[1:4], v[9:10], off
	global_load_b128 v[5:8], v[9:10], off offset:16
	global_load_b128 v[9:12], v[13:14], off
	global_load_b128 v[13:16], v[13:14], off offset:16
	;; [unrolled: 2-line block ×5, first 2 shown]
	s_mov_b32 s5, s4
	s_mov_b32 s6, s4
	;; [unrolled: 1-line block ×7, first 2 shown]
	v_and_b32_e32 v104, 0xe0, v0
	v_dual_mov_b32 v126, s11 :: v_dual_mov_b32 v123, s8
	v_dual_mov_b32 v125, s10 :: v_dual_mov_b32 v124, s9
	s_delay_alu instid0(VALU_DEP_3)
	v_add_nc_u32_e32 v111, s16, v104
	ds_load_b128 v[103:106], v115
	ds_load_b128 v[107:110], v115 offset:1024
	v_dual_mov_b32 v122, s7 :: v_dual_mov_b32 v121, s6
	v_mov_b32_e32 v120, s5
	v_or_b32_e32 v135, v111, v66
	ds_load_b128 v[111:114], v115 offset:2048
	ds_load_b128 v[115:118], v115 offset:3072
	v_mov_b32_e32 v119, s4
	s_waitcnt vmcnt(0) lgkmcnt(0)
	s_barrier
	v_or_b32_e32 v137, 2, v135
	v_or_b32_e32 v138, 4, v135
	;; [unrolled: 1-line block ×3, first 2 shown]
	v_cmp_gt_i32_e32 vcc_lo, s18, v135
	v_or_b32_e32 v140, 8, v135
	v_cmp_gt_i32_e64 s3, s18, v137
	v_or_b32_e32 v141, 10, v135
	v_cmp_gt_i32_e64 s4, s18, v138
	v_cmp_gt_i32_e64 s5, s18, v139
	v_or_b32_e32 v142, 12, v135
	v_or_b32_e32 v143, 14, v135
	v_cmp_gt_i32_e64 s6, s18, v140
	v_cmp_gt_i32_e64 s7, s18, v141
	v_or_b32_e32 v144, 16, v135
	v_or_b32_e32 v145, 18, v135
	v_cmp_gt_i32_e64 s8, s18, v142
	v_cmp_gt_i32_e64 s9, s18, v143
	buffer_gl0_inv
	v_cmp_gt_i32_e64 s10, s18, v144
	v_cmp_gt_i32_e64 s11, s18, v145
	v_wmma_f32_16x16x16_f16 v[127:134], v[71:78], v[103:110], v[119:126]
	v_wmma_f32_16x16x16_f16 v[119:126], v[79:86], v[103:110], v[119:126]
	v_or_b32_e32 v71, 20, v135
	v_or_b32_e32 v72, 22, v135
	s_delay_alu instid0(VALU_DEP_4)
	v_wmma_f32_16x16x16_f16 v[127:134], v[87:94], v[111:118], v[127:134]
	v_or_b32_e32 v73, 24, v135
	v_wmma_f32_16x16x16_f16 v[119:126], v[95:102], v[111:118], v[119:126]
	v_or_b32_e32 v74, 26, v135
	v_cmp_gt_i32_e64 s12, s18, v71
	v_dual_mul_f32 v84, s19, v127 :: v_dual_mul_f32 v83, s19, v128
	s_delay_alu instid0(VALU_DEP_4) | instskip(SKIP_2) | instid1(VALU_DEP_4)
	v_dual_mul_f32 v92, s19, v119 :: v_dual_mul_f32 v81, s19, v130
	v_mul_f32_e32 v90, s19, v121
	v_mul_f32_e32 v82, s19, v129
	v_cndmask_b32_e32 v84, 0xff7fffff, v84, vcc_lo
	v_cndmask_b32_e64 v83, 0xff7fffff, v83, s3
	v_dual_mul_f32 v79, s19, v132 :: v_dual_mul_f32 v88, s19, v123
	v_mul_f32_e32 v80, s19, v131
	v_cndmask_b32_e64 v82, 0xff7fffff, v82, s4
	v_cndmask_b32_e64 v81, 0xff7fffff, v81, s5
	v_max3_f32 v83, v84, 0xff7fffff, v83
	v_dual_mul_f32 v77, s19, v134 :: v_dual_mul_f32 v86, s19, v125
	v_mul_f32_e32 v78, s19, v133
	v_cndmask_b32_e64 v80, 0xff7fffff, v80, s6
	v_cndmask_b32_e64 v79, 0xff7fffff, v79, s7
	v_max3_f32 v81, v83, v82, v81
	v_mul_f32_e32 v91, s19, v120
	v_cndmask_b32_e64 v78, 0xff7fffff, v78, s8
	v_cndmask_b32_e64 v77, 0xff7fffff, v77, s9
	v_mul_f32_e32 v89, s19, v122
	v_max3_f32 v79, v81, v80, v79
	v_cndmask_b32_e64 v80, 0xff7fffff, v92, s10
	v_cndmask_b32_e64 v81, 0xff7fffff, v91, s11
	v_cmp_gt_i32_e64 s13, s18, v72
	v_or_b32_e32 v75, 28, v135
	v_max3_f32 v77, v79, v78, v77
	v_or_b32_e32 v76, 30, v135
	v_mul_f32_e32 v87, s19, v124
	v_cndmask_b32_e64 v71, 0xff7fffff, v90, s12
	v_cndmask_b32_e64 v72, 0xff7fffff, v89, s13
	v_max3_f32 v77, v77, v80, v81
	v_cmp_gt_i32_e64 s15, s18, v73
	v_cmp_gt_i32_e64 s16, s18, v74
	v_mul_f32_e32 v85, s19, v126
	v_cmp_gt_i32_e64 s17, s18, v75
	v_max3_f32 v71, v77, v71, v72
	v_cndmask_b32_e64 v73, 0xff7fffff, v88, s15
	v_cndmask_b32_e64 v74, 0xff7fffff, v87, s16
	v_cmp_gt_i32_e64 s18, s18, v76
	v_cndmask_b32_e64 v72, 0xff7fffff, v86, s17
	s_delay_alu instid0(VALU_DEP_3) | instskip(NEXT) | instid1(VALU_DEP_3)
	v_max3_f32 v71, v71, v73, v74
	v_cndmask_b32_e64 v75, 0xff7fffff, v85, s18
	v_lshlrev_b32_e32 v73, 2, v136
	s_delay_alu instid0(VALU_DEP_2) | instskip(SKIP_3) | instid1(VALU_DEP_1)
	v_max3_f32 v71, v71, v72, v75
	ds_bpermute_b32 v72, v73, v71
	s_waitcnt lgkmcnt(0)
	v_max_f32_e32 v72, v72, v72
	v_max_f32_e32 v71, v71, v72
	s_delay_alu instid0(VALU_DEP_1) | instskip(SKIP_2) | instid1(VALU_DEP_3)
	v_fma_f32 v72, s19, v127, -v71
	v_fma_f32 v74, s19, v128, -v71
	;; [unrolled: 1-line block ×3, first 2 shown]
	v_mul_f32_e32 v72, 0x3fb8aa3b, v72
	s_delay_alu instid0(VALU_DEP_2) | instskip(NEXT) | instid1(VALU_DEP_2)
	v_dual_mul_f32 v74, 0x3fb8aa3b, v74 :: v_dual_mul_f32 v75, 0x3fb8aa3b, v75
	v_exp_f32_e32 v72, v72
	s_delay_alu instid0(VALU_DEP_1) | instskip(NEXT) | instid1(VALU_DEP_1)
	v_exp_f32_e32 v74, v74
	v_exp_f32_e32 v75, v75
	s_delay_alu instid0(TRANS32_DEP_3)
	v_cndmask_b32_e32 v79, 0, v72, vcc_lo
	s_waitcnt_depctr 0xfff
	v_cndmask_b32_e64 v78, 0, v74, s3
	v_cndmask_b32_e64 v81, 0, v75, s4
	v_cmp_gt_u32_e64 s3, 16, v70
	v_add_f32_e32 v74, 0, v79
	s_delay_alu instid0(VALU_DEP_1) | instskip(NEXT) | instid1(VALU_DEP_1)
	v_add_f32_e32 v74, v74, v78
	v_add_f32_e32 v74, v74, v81
	v_fma_f32 v76, s19, v130, -v71
	v_fma_f32 v77, s19, v131, -v71
	;; [unrolled: 1-line block ×5, first 2 shown]
	s_delay_alu instid0(VALU_DEP_4) | instskip(NEXT) | instid1(VALU_DEP_4)
	v_dual_mul_f32 v76, 0x3fb8aa3b, v76 :: v_dual_mul_f32 v77, 0x3fb8aa3b, v77
	v_mul_f32_e32 v72, 0x3fb8aa3b, v72
	s_delay_alu instid0(VALU_DEP_4) | instskip(SKIP_1) | instid1(VALU_DEP_4)
	v_mul_f32_e32 v82, 0x3fb8aa3b, v80
	v_fma_f32 v86, s19, v122, -v71
	v_exp_f32_e32 v76, v76
	v_exp_f32_e32 v77, v77
	;; [unrolled: 1-line block ×4, first 2 shown]
	v_mul_f32_e32 v86, 0x3fb8aa3b, v86
	s_delay_alu instid0(VALU_DEP_1)
	v_exp_f32_e32 v88, v86
	v_cndmask_b32_e64 v80, 0, v76, s5
	v_mul_f32_e32 v75, 0x3fb8aa3b, v75
	v_fma_f32 v76, s19, v119, -v71
	v_cndmask_b32_e64 v83, 0, v77, s6
	v_fma_f32 v77, s19, v120, -v71
	v_add_f32_e32 v74, v74, v80
	v_exp_f32_e32 v75, v75
	v_mul_f32_e32 v76, 0x3fb8aa3b, v76
	v_cndmask_b32_e64 v82, 0, v72, s7
	s_delay_alu instid0(VALU_DEP_3) | instskip(SKIP_1) | instid1(VALU_DEP_4)
	v_dual_mul_f32 v77, 0x3fb8aa3b, v77 :: v_dual_add_f32 v72, v74, v83
	v_fma_f32 v74, s19, v121, -v71
	v_exp_f32_e32 v76, v76
	v_cndmask_b32_e64 v85, 0, v84, s8
	s_delay_alu instid0(VALU_DEP_3) | instskip(SKIP_1) | instid1(TRANS32_DEP_3)
	v_exp_f32_e32 v77, v77
	v_cndmask_b32_e64 v88, 0, v88, s13
	v_cndmask_b32_e64 v84, 0, v75, s9
	v_fma_f32 v75, s19, v123, -v71
	v_add_f32_e32 v72, v72, v82
	s_delay_alu instid0(VALU_DEP_2) | instskip(NEXT) | instid1(VALU_DEP_2)
	v_dual_mul_f32 v74, 0x3fb8aa3b, v74 :: v_dual_mul_f32 v75, 0x3fb8aa3b, v75
	v_add_f32_e32 v72, v72, v85
	s_delay_alu instid0(VALU_DEP_2)
	v_exp_f32_e32 v74, v74
	v_cndmask_b32_e64 v87, 0, v76, s10
	v_fma_f32 v76, s19, v124, -v71
	v_cndmask_b32_e64 v86, 0, v77, s11
	v_add_f32_e32 v72, v72, v84
	v_fma_f32 v77, s19, v125, -v71
	v_exp_f32_e32 v75, v75
	v_mul_f32_e32 v76, 0x3fb8aa3b, v76
	s_delay_alu instid0(VALU_DEP_3) | instskip(NEXT) | instid1(TRANS32_DEP_2)
	v_add_f32_e32 v72, v72, v87
	v_cndmask_b32_e64 v89, 0, v74, s12
	v_mul_f32_e32 v74, 0x3fb8aa3b, v77
	s_delay_alu instid0(VALU_DEP_4) | instskip(SKIP_2) | instid1(VALU_DEP_3)
	v_exp_f32_e32 v76, v76
	v_fma_f32 v77, s19, v126, -v71
	v_add_f32_e32 v72, v72, v86
	v_exp_f32_e32 v74, v74
	s_delay_alu instid0(TRANS32_DEP_3) | instskip(NEXT) | instid1(VALU_DEP_3)
	v_cndmask_b32_e64 v91, 0, v75, s15
	v_mul_f32_e32 v75, 0x3fb8aa3b, v77
	s_delay_alu instid0(VALU_DEP_3) | instskip(NEXT) | instid1(TRANS32_DEP_2)
	v_add_f32_e32 v72, v72, v89
	v_cndmask_b32_e64 v90, 0, v76, s16
	s_delay_alu instid0(VALU_DEP_3) | instskip(NEXT) | instid1(VALU_DEP_2)
	v_exp_f32_e32 v75, v75
	v_add_f32_e32 v72, v72, v88
	s_delay_alu instid0(TRANS32_DEP_2) | instskip(NEXT) | instid1(VALU_DEP_2)
	v_cndmask_b32_e64 v93, 0, v74, s17
	v_add_f32_e32 v72, v72, v91
	s_waitcnt_depctr 0xfff
	v_cndmask_b32_e64 v92, 0, v75, s18
	v_add_f32_e32 v72, v72, v90
	s_delay_alu instid0(VALU_DEP_1) | instskip(NEXT) | instid1(VALU_DEP_1)
	v_add_f32_e32 v72, v72, v93
	v_add_f32_e32 v72, v72, v92
	ds_bpermute_b32 v73, v73, v72
	s_and_saveexec_b32 s4, s3
	s_cbranch_execz .LBB874_12
; %bb.11:
	v_mul_u32_u24_e32 v70, 0x44, v69
	s_waitcnt lgkmcnt(0)
	v_add_f32_e32 v72, v72, v73
	s_delay_alu instid0(VALU_DEP_2) | instskip(NEXT) | instid1(VALU_DEP_1)
	v_lshl_add_u32 v70, v68, 2, v70
	v_add_nc_u32_e32 v70, 0x4000, v70
	ds_store_2addr_b32 v70, v71, v72 offset1:136
.LBB874_12:
	s_or_b32 exec_lo, exec_lo, s4
	v_lshlrev_b32_e32 v70, 2, v68
	s_load_b32 s36, s[0:1], 0x94
	s_waitcnt lgkmcnt(0)
	s_barrier
	buffer_gl0_inv
	v_add_nc_u32_e32 v98, 0x4000, v70
	v_cmp_eq_u32_e32 vcc_lo, 1, v69
	v_cmp_eq_u32_e64 s4, 2, v69
	v_cmp_eq_u32_e64 s5, 3, v69
	;; [unrolled: 1-line block ×3, first 2 shown]
	ds_load_2addr_b32 v[70:71], v98 offset1:17
	ds_load_2addr_b32 v[72:73], v98 offset0:34 offset1:51
	ds_load_2addr_b32 v[74:75], v98 offset0:68 offset1:85
	;; [unrolled: 1-line block ×3, first 2 shown]
	v_cmp_eq_u32_e64 s7, 5, v69
	v_cmp_eq_u32_e64 s8, 7, v69
	s_waitcnt lgkmcnt(3)
	v_max3_f32 v76, v70, 0xff7fffff, v71
	s_waitcnt lgkmcnt(2)
	s_delay_alu instid0(VALU_DEP_1) | instskip(SKIP_1) | instid1(VALU_DEP_1)
	v_max3_f32 v76, v76, v72, v73
	s_waitcnt lgkmcnt(1)
	v_max3_f32 v76, v76, v74, v75
	s_waitcnt lgkmcnt(0)
	s_delay_alu instid0(VALU_DEP_1) | instskip(NEXT) | instid1(VALU_DEP_1)
	v_max3_f32 v76, v76, v94, v95
	v_sub_f32_e32 v77, v71, v76
	ds_load_2addr_b32 v[96:97], v98 offset0:136 offset1:153
	v_sub_f32_e32 v74, v74, v76
	v_sub_f32_e32 v70, v70, v76
	;; [unrolled: 1-line block ×3, first 2 shown]
	v_dual_sub_f32 v72, v72, v76 :: v_dual_mul_f32 v77, 0x3fb8aa3b, v77
	s_delay_alu instid0(VALU_DEP_4) | instskip(NEXT) | instid1(VALU_DEP_4)
	v_mul_f32_e32 v103, 0x3fb8aa3b, v74
	v_mul_f32_e32 v99, 0x3fb8aa3b, v70
	ds_load_2addr_b32 v[70:71], v98 offset0:170 offset1:187
	v_dual_mul_f32 v101, 0x3fb8aa3b, v72 :: v_dual_mul_f32 v94, 0x3fb8aa3b, v94
	v_exp_f32_e32 v102, v77
	v_exp_f32_e32 v99, v99
	s_delay_alu instid0(VALU_DEP_1) | instskip(NEXT) | instid1(VALU_DEP_1)
	v_exp_f32_e32 v101, v101
	v_exp_f32_e32 v94, v94
	s_waitcnt lgkmcnt(1)
	s_delay_alu instid0(TRANS32_DEP_3)
	v_fma_f32 v77, v99, v96, 0
	v_sub_f32_e32 v100, v73, v76
	ds_load_2addr_b32 v[72:73], v98 offset0:204 offset1:221
	v_fmac_f32_e32 v77, v102, v97
	v_exp_f32_e32 v97, v103
	s_waitcnt lgkmcnt(1)
	s_delay_alu instid0(VALU_DEP_1)
	v_dual_fmac_f32 v77, v101, v70 :: v_dual_sub_f32 v96, v75, v76
	ds_load_2addr_b32 v[74:75], v98 offset0:238 offset1:255
	v_sub_f32_e32 v70, v95, v76
	s_waitcnt lgkmcnt(0)
	s_barrier
	v_mul_f32_e32 v96, 0x3fb8aa3b, v96
	buffer_gl0_inv
	v_exp_f32_e32 v95, v96
	v_mul_f32_e32 v100, 0x3fb8aa3b, v100
	s_delay_alu instid0(VALU_DEP_1) | instskip(SKIP_3) | instid1(VALU_DEP_2)
	v_exp_f32_e32 v100, v100
	s_waitcnt_depctr 0xfff
	v_dual_fmac_f32 v77, v100, v71 :: v_dual_mul_f32 v70, 0x3fb8aa3b, v70
	v_cndmask_b32_e32 v71, v99, v102, vcc_lo
	v_fmac_f32_e32 v77, v97, v72
	s_delay_alu instid0(VALU_DEP_3) | instskip(NEXT) | instid1(VALU_DEP_1)
	v_exp_f32_e32 v96, v70
	v_fmac_f32_e32 v77, v95, v73
	s_delay_alu instid0(VALU_DEP_1) | instskip(SKIP_2) | instid1(VALU_DEP_1)
	v_fmac_f32_e32 v77, v94, v74
	s_waitcnt_depctr 0xfff
	v_fmac_f32_e32 v77, v96, v75
	v_add_f32_e32 v74, 0x358637bd, v77
	s_delay_alu instid0(VALU_DEP_1) | instskip(SKIP_1) | instid1(VALU_DEP_2)
	v_div_scale_f32 v98, null, v74, v74, 1.0
	v_div_scale_f32 v99, vcc_lo, 1.0, v74, 1.0
	v_rcp_f32_e32 v103, v98
	s_waitcnt_depctr 0xfff
	v_fma_f32 v70, -v98, v103, 1.0
	s_delay_alu instid0(VALU_DEP_1) | instskip(SKIP_2) | instid1(VALU_DEP_2)
	v_fmac_f32_e32 v103, v70, v103
	v_cndmask_b32_e64 v70, v71, v101, s4
	v_cmp_eq_u32_e64 s4, 6, v69
	v_cndmask_b32_e64 v71, v70, v100, s5
	s_delay_alu instid0(VALU_DEP_4) | instskip(NEXT) | instid1(VALU_DEP_2)
	v_dual_mul_f32 v101, v99, v103 :: v_dual_lshlrev_b32 v70, 2, v66
	v_cndmask_b32_e64 v71, v71, v97, s6
	s_delay_alu instid0(VALU_DEP_2) | instskip(NEXT) | instid1(VALU_DEP_3)
	v_or_b32_e32 v72, 1, v70
	v_fma_f32 v100, -v98, v101, v99
	v_cmp_eq_u32_e64 s5, 1, v70
	v_cmp_eq_u32_e64 s6, 2, v70
	v_cndmask_b32_e64 v95, v71, v95, s7
	v_or_b32_e32 v71, 3, v70
	v_fmac_f32_e32 v101, v100, v103
	v_cmp_eq_u32_e64 s10, 1, v72
	v_cmp_eq_u32_e64 s13, 2, v72
	v_cndmask_b32_e64 v94, v95, v94, s4
	v_cmp_eq_u32_e64 s12, 1, v71
	v_fma_f32 v97, -v98, v101, v99
	v_cmp_eq_u32_e64 s17, 2, v71
	v_cmp_eq_u32_e64 s15, 3, v72
	v_cndmask_b32_e64 v94, v94, v96, s8
	v_cmp_eq_u32_e64 s19, 3, v71
	v_div_fmas_f32 v95, v97, v103, v101
	v_cmp_eq_u32_e32 vcc_lo, 3, v70
	v_cmp_eq_u32_e64 s4, 4, v70
	v_cmp_eq_u32_e64 s20, 4, v72
	;; [unrolled: 1-line block ×3, first 2 shown]
	v_div_fixup_f32 v95, v95, v74, 1.0
	v_lshlrev_b32_e32 v73, 6, v68
	v_cmp_eq_u32_e64 s7, 5, v70
	v_cmp_eq_u32_e64 s21, 5, v72
	;; [unrolled: 1-line block ×3, first 2 shown]
	v_mul_f32_e32 v102, v94, v95
	v_lshl_or_b32 v75, v69, 11, v73
	v_or_b32_e32 v69, 2, v70
	v_cmp_eq_u32_e64 s26, 6, v72
	v_cmp_eq_u32_e64 s28, 6, v71
	v_fma_mixlo_f16 v94, v102, v79, 0
	v_fma_mixlo_f16 v95, v102, v81, 0
	;; [unrolled: 1-line block ×8, first 2 shown]
	v_lshl_or_b32 v74, v66, 4, v75
	v_fma_mixhi_f16 v94, v102, v78, 0
	v_fma_mixhi_f16 v95, v102, v80, 0
	;; [unrolled: 1-line block ×8, first 2 shown]
	ds_store_b128 v74, v[94:97]
	ds_store_b128 v74, v[98:101] offset:1024
	s_waitcnt lgkmcnt(0)
	s_barrier
	buffer_gl0_inv
	ds_load_b128 v[78:81], v75
	ds_load_b128 v[82:85], v75 offset:16
	ds_load_b128 v[86:89], v75 offset:1024
	;; [unrolled: 1-line block ×3, first 2 shown]
	v_cmp_eq_u32_e64 s11, 1, v69
	v_cmp_eq_u32_e64 s16, 2, v69
	;; [unrolled: 1-line block ×11, first 2 shown]
	s_waitcnt lgkmcnt(3)
	v_lshrrev_b32_e32 v94, 16, v78
	s_waitcnt lgkmcnt(2)
	v_lshrrev_b32_e32 v98, 16, v82
	s_waitcnt lgkmcnt(1)
	v_lshrrev_b32_e32 v102, 16, v86
	s_waitcnt lgkmcnt(0)
	v_lshrrev_b32_e32 v106, 16, v90
	v_lshrrev_b32_e32 v95, 16, v79
	v_cndmask_b32_e64 v110, v78, v94, s5
	v_cndmask_b32_e64 v111, v82, v98, s5
	;; [unrolled: 1-line block ×8, first 2 shown]
	v_lshrrev_b32_e32 v99, 16, v83
	v_cndmask_b32_e64 v94, v86, v102, s5
	v_cndmask_b32_e64 v98, v90, v106, s5
	;; [unrolled: 1-line block ×15, first 2 shown]
	v_lshrrev_b32_e32 v103, 16, v87
	v_lshrrev_b32_e32 v107, 16, v91
	v_cndmask_b32_e64 v113, v115, v83, s16
	v_cndmask_b32_e64 v82, v94, v87, s6
	;; [unrolled: 1-line block ×7, first 2 shown]
	v_cndmask_b32_e32 v90, v102, v95, vcc_lo
	v_cndmask_b32_e32 v102, v106, v99, vcc_lo
	v_cndmask_b32_e64 v106, v110, v95, s15
	v_cndmask_b32_e64 v110, v111, v99, s15
	;; [unrolled: 1-line block ×4, first 2 shown]
	v_lshrrev_b32_e32 v96, 16, v80
	v_lshrrev_b32_e32 v100, 16, v84
	v_cndmask_b32_e64 v111, v112, v95, s18
	v_cndmask_b32_e64 v112, v113, v99, s18
	v_cndmask_b32_e32 v82, v82, v103, vcc_lo
	v_cndmask_b32_e32 v83, v83, v107, vcc_lo
	v_cndmask_b32_e64 v94, v94, v103, s15
	v_cndmask_b32_e64 v90, v90, v80, s4
	v_cndmask_b32_e64 v95, v102, v84, s4
	v_cndmask_b32_e64 v99, v106, v80, s20
	v_cndmask_b32_e64 v102, v110, v84, s20
	v_cndmask_b32_e64 v78, v78, v80, s23
	v_cndmask_b32_e64 v79, v79, v84, s23
	v_lshrrev_b32_e32 v104, 16, v88
	v_cndmask_b32_e64 v106, v111, v80, s22
	v_cndmask_b32_e64 v110, v112, v84, s22
	;; [unrolled: 1-line block ×11, first 2 shown]
	v_lshrrev_b32_e32 v97, 16, v81
	v_lshrrev_b32_e32 v101, 16, v85
	v_cndmask_b32_e64 v99, v106, v96, s24
	v_cndmask_b32_e64 v102, v110, v100, s24
	;; [unrolled: 1-line block ×7, first 2 shown]
	v_lshrrev_b32_e32 v105, 16, v89
	v_cndmask_b32_e64 v80, v80, v104, s7
	v_cndmask_b32_e64 v84, v84, v81, s8
	;; [unrolled: 1-line block ×16, first 2 shown]
	v_perm_b32 v81, v79, v78, 0x5040100
	v_perm_b32 v79, v95, v85, 0x5040100
	v_cndmask_b32_e64 v78, v119, v91, s16
	v_cndmask_b32_e64 v85, v117, v91, s13
	;; [unrolled: 1-line block ×3, first 2 shown]
	v_perm_b32 v80, v94, v90, 0x5040100
	v_cndmask_b32_e64 v90, v98, v103, s18
	v_cndmask_b32_e64 v86, v86, v103, s19
	;; [unrolled: 1-line block ×5, first 2 shown]
	v_lshrrev_b32_e32 v108, 16, v92
	v_cndmask_b32_e64 v90, v90, v88, s22
	v_cndmask_b32_e64 v86, v86, v88, s23
	;; [unrolled: 1-line block ×11, first 2 shown]
	v_lshrrev_b32_e32 v109, 16, v93
	v_cndmask_b32_e64 v82, v82, v93, s8
	v_cndmask_b32_e64 v88, v88, v89, s27
	;; [unrolled: 1-line block ×12, first 2 shown]
	v_perm_b32 v78, v84, v83, 0x5040100
	v_perm_b32 v85, v87, v86, 0x5040100
	;; [unrolled: 1-line block ×5, first 2 shown]
	s_mul_i32 s9, s35, 5
	s_mov_b32 s4, exec_lo
	ds_store_b128 v74, v[78:81]
	ds_store_b128 v74, v[82:85] offset:1024
	v_cmpx_gt_u32_e32 5, v0
	s_cbranch_execz .LBB874_14
; %bb.13:
	s_mul_i32 s5, s9, s34
	s_load_b128 s[16:19], s[0:1], 0x58
	v_add3_u32 v68, s5, s33, v68
	s_delay_alu instid0(VALU_DEP_1) | instskip(NEXT) | instid1(VALU_DEP_1)
	v_mad_u64_u32 v[78:79], null, v68, s36, s[14:15]
	v_ashrrev_i32_e32 v79, 31, v78
	s_delay_alu instid0(VALU_DEP_1) | instskip(SKIP_1) | instid1(VALU_DEP_1)
	v_lshlrev_b64 v[78:79], 2, v[78:79]
	s_waitcnt lgkmcnt(0)
	v_add_co_u32 v80, vcc_lo, s18, v78
	s_delay_alu instid0(VALU_DEP_2)
	v_add_co_ci_u32_e32 v81, vcc_lo, s19, v79, vcc_lo
	v_add_co_u32 v78, vcc_lo, s16, v78
	v_add_co_ci_u32_e32 v79, vcc_lo, s17, v79, vcc_lo
	global_store_b32 v[80:81], v76, off
	global_store_b32 v[78:79], v77, off
.LBB874_14:
	s_or_b32 exec_lo, exec_lo, s4
	s_waitcnt lgkmcnt(0)
	s_waitcnt_vscnt null, 0x0
	s_barrier
	buffer_gl0_inv
	ds_load_b128 v[84:87], v73
	ds_load_b128 v[88:91], v73 offset:16
	ds_load_b128 v[96:99], v73 offset:2064
	;; [unrolled: 1-line block ×5, first 2 shown]
	v_cmp_eq_u32_e32 vcc_lo, 1, v70
	v_mov_b32_e32 v76, 0
	ds_load_b128 v[112:115], v73 offset:6160
	ds_load_b128 v[108:111], v73 offset:6144
	;; [unrolled: 1-line block ×4, first 2 shown]
	v_cmp_eq_u32_e64 s5, 1, v69
	v_cmp_eq_u32_e64 s4, 1, v72
	;; [unrolled: 1-line block ×3, first 2 shown]
	v_mov_b32_e32 v77, v76
	v_mov_b32_e32 v78, v76
	;; [unrolled: 1-line block ×7, first 2 shown]
	v_cmp_eq_u32_e64 s7, 3, v72
	v_cmp_eq_u32_e64 s8, 7, v72
	s_waitcnt lgkmcnt(8)
	s_delay_alu instid0(VALU_DEP_3)
	v_wmma_f32_16x16x16_f16 v[76:83], v[49:56], v[84:91], v[76:83]
	ds_load_b128 v[53:56], v73 offset:10256
	ds_load_b128 v[49:52], v73 offset:10240
	s_waitcnt lgkmcnt(8)
	v_wmma_f32_16x16x16_f16 v[76:83], v[41:48], v[92:99], v[76:83]
	ds_load_b128 v[45:48], v73 offset:12304
	ds_load_b128 v[41:44], v73 offset:12288
	s_waitcnt lgkmcnt(8)
	;; [unrolled: 4-line block ×3, first 2 shown]
	s_barrier
	buffer_gl0_inv
	v_wmma_f32_16x16x16_f16 v[76:83], v[1:8], v[108:115], v[76:83]
	s_delay_alu instid0(VALU_DEP_1) | instskip(NEXT) | instid1(VALU_DEP_1)
	v_wmma_f32_16x16x16_f16 v[76:83], v[9:16], v[116:123], v[76:83]
	v_wmma_f32_16x16x16_f16 v[76:83], v[17:24], v[49:56], v[76:83]
	s_delay_alu instid0(VALU_DEP_1) | instskip(NEXT) | instid1(VALU_DEP_1)
	v_wmma_f32_16x16x16_f16 v[76:83], v[25:32], v[41:48], v[76:83]
	v_wmma_f32_16x16x16_f16 v[76:83], v[57:64], v[33:40], v[76:83]
	s_delay_alu instid0(VALU_DEP_1) | instskip(NEXT) | instid1(VALU_DEP_2)
	v_cvt_f16_f32_e32 v1, v76
	v_cvt_f16_f32_e32 v2, v77
	s_delay_alu instid0(VALU_DEP_3) | instskip(NEXT) | instid1(VALU_DEP_4)
	v_cvt_f16_f32_e32 v3, v78
	v_cvt_f16_f32_e32 v4, v79
	;; [unrolled: 1-line block ×6, first 2 shown]
	v_pack_b32_f16 v1, v1, v2
	v_pack_b32_f16 v2, v3, v4
	;; [unrolled: 1-line block ×3, first 2 shown]
	s_delay_alu instid0(VALU_DEP_4)
	v_pack_b32_f16 v4, v7, v8
	ds_store_b128 v74, v[1:4]
	s_waitcnt lgkmcnt(0)
	s_barrier
	buffer_gl0_inv
	ds_load_b128 v[1:4], v75
	ds_load_b128 v[5:8], v75 offset:16
	s_waitcnt lgkmcnt(1)
	v_lshrrev_b32_e32 v9, 16, v1
	s_waitcnt lgkmcnt(0)
	v_lshrrev_b32_e32 v13, 16, v5
	v_lshrrev_b32_e32 v10, 16, v2
	;; [unrolled: 1-line block ×4, first 2 shown]
	v_cndmask_b32_e32 v17, v1, v9, vcc_lo
	v_cndmask_b32_e32 v18, v5, v13, vcc_lo
	v_cndmask_b32_e64 v21, v1, v9, s5
	v_cmp_eq_u32_e32 vcc_lo, 1, v71
	v_cndmask_b32_e64 v22, v5, v13, s5
	v_cmp_eq_u32_e64 s5, 2, v70
	v_cndmask_b32_e64 v19, v1, v9, s4
	v_cndmask_b32_e64 v20, v5, v13, s4
	v_cndmask_b32_e32 v1, v1, v9, vcc_lo
	v_cmp_eq_u32_e64 s4, 2, v71
	v_cndmask_b32_e32 v5, v5, v13, vcc_lo
	v_cndmask_b32_e64 v9, v17, v2, s5
	v_cmp_eq_u32_e32 vcc_lo, 3, v70
	v_cndmask_b32_e64 v13, v18, v6, s5
	v_cmp_eq_u32_e64 s5, 2, v69
	v_cndmask_b32_e64 v17, v19, v2, s6
	v_cndmask_b32_e64 v18, v20, v6, s6
	v_cmp_eq_u32_e64 s6, 3, v69
	v_cndmask_b32_e64 v1, v1, v2, s4
	v_cndmask_b32_e64 v19, v21, v2, s5
	;; [unrolled: 1-line block ×4, first 2 shown]
	v_cndmask_b32_e32 v5, v9, v10, vcc_lo
	v_cndmask_b32_e32 v6, v13, v14, vcc_lo
	v_cmp_eq_u32_e32 vcc_lo, 3, v71
	v_cndmask_b32_e64 v9, v17, v10, s7
	v_cndmask_b32_e64 v13, v18, v14, s7
	;; [unrolled: 1-line block ×3, first 2 shown]
	v_cmp_eq_u32_e64 s5, 4, v70
	v_cndmask_b32_e32 v1, v1, v10, vcc_lo
	v_cndmask_b32_e32 v2, v2, v14, vcc_lo
	v_cmp_eq_u32_e32 vcc_lo, 4, v72
	v_lshrrev_b32_e32 v15, 16, v7
	v_lshrrev_b32_e32 v16, 16, v8
	v_cndmask_b32_e64 v17, v19, v10, s6
	v_cmp_eq_u32_e64 s4, 4, v71
	v_cndmask_b32_e64 v5, v5, v3, s5
	v_cndmask_b32_e64 v6, v6, v7, s5
	v_cndmask_b32_e32 v9, v9, v3, vcc_lo
	v_cmp_eq_u32_e64 s5, 5, v72
	v_cndmask_b32_e32 v10, v13, v7, vcc_lo
	v_cmp_eq_u32_e32 vcc_lo, 4, v69
	v_cmp_eq_u32_e64 s6, 5, v70
	v_cndmask_b32_e64 v2, v2, v7, s4
	v_cndmask_b32_e64 v9, v9, v11, s5
	;; [unrolled: 1-line block ×3, first 2 shown]
	v_cndmask_b32_e32 v13, v17, v3, vcc_lo
	v_cmp_eq_u32_e64 s5, 5, v69
	v_cndmask_b32_e32 v14, v18, v7, vcc_lo
	v_cndmask_b32_e64 v1, v1, v3, s4
	v_cmp_eq_u32_e32 vcc_lo, 5, v71
	v_lshrrev_b32_e32 v12, 16, v4
	v_cndmask_b32_e64 v13, v13, v11, s5
	v_cndmask_b32_e64 v3, v14, v15, s5
	v_cmp_eq_u32_e64 s5, 6, v71
	v_cndmask_b32_e32 v1, v1, v11, vcc_lo
	v_cndmask_b32_e64 v5, v5, v11, s6
	v_cmp_eq_u32_e64 s7, 6, v70
	v_cndmask_b32_e64 v6, v6, v15, s6
	v_cmp_eq_u32_e64 s6, 6, v72
	v_cmp_eq_u32_e64 s4, 6, v69
	v_cndmask_b32_e64 v1, v1, v4, s5
	v_cndmask_b32_e32 v2, v2, v15, vcc_lo
	v_cmp_eq_u32_e32 vcc_lo, 7, v71
	v_cndmask_b32_e64 v5, v5, v4, s7
	v_cndmask_b32_e64 v9, v9, v4, s6
	;; [unrolled: 1-line block ×3, first 2 shown]
	v_cmp_eq_u32_e64 s7, 7, v70
	v_cndmask_b32_e32 v1, v1, v12, vcc_lo
	v_cndmask_b32_e64 v7, v13, v4, s4
	v_cndmask_b32_e64 v3, v3, v8, s4
	v_cndmask_b32_e64 v2, v2, v8, s5
	v_cmp_eq_u32_e64 s4, 7, v69
	v_cndmask_b32_e64 v4, v10, v8, s6
	v_cndmask_b32_e64 v5, v5, v12, s7
	;; [unrolled: 1-line block ×3, first 2 shown]
	v_cndmask_b32_e32 v2, v2, v16, vcc_lo
	v_cndmask_b32_e64 v7, v7, v12, s4
	v_cndmask_b32_e64 v3, v3, v16, s4
	;; [unrolled: 1-line block ×4, first 2 shown]
	v_cmp_gt_u32_e32 vcc_lo, 32, v0
	v_perm_b32 v4, v2, v1, 0x5040100
	v_perm_b32 v3, v3, v7, 0x5040100
	;; [unrolled: 1-line block ×4, first 2 shown]
	s_and_b32 s2, vcc_lo, s2
	ds_store_b128 v74, v[1:4]
	s_waitcnt lgkmcnt(0)
	s_barrier
	buffer_gl0_inv
	s_and_saveexec_b32 s4, s2
	s_cbranch_execz .LBB874_2
; %bb.15:
	s_load_b64 s[4:5], s[0:1], 0x68
	v_lshlrev_b32_e32 v0, 10, v0
	v_add_nc_u32_e32 v2, s33, v66
	v_lshlrev_b32_e32 v3, 4, v67
	s_lshl_b32 s0, s36, 6
	s_delay_alu instid0(SALU_CYCLE_1) | instskip(NEXT) | instid1(VALU_DEP_2)
	s_mul_i32 s1, s0, s34
	v_mul_lo_u32 v1, v2, s0
	s_delay_alu instid0(VALU_DEP_2) | instskip(SKIP_2) | instid1(SALU_CYCLE_1)
	v_and_or_b32 v0, 0x3800, v0, v3
	v_add_nc_u32_e32 v2, 2, v2
	s_mul_i32 s6, s1, s9
	s_ashr_i32 s7, s6, 31
	s_delay_alu instid0(VALU_DEP_2)
	v_lshl_or_b32 v7, v66, 6, v0
	s_lshl_b64 s[6:7], s[6:7], 1
	v_mul_lo_u32 v11, v2, s0
	v_ashrrev_i32_e32 v2, 31, v1
	ds_load_b128 v[3:6], v7
	ds_load_b128 v[7:10], v7 offset:128
	s_waitcnt lgkmcnt(0)
	s_add_u32 s1, s4, s6
	s_addc_u32 s2, s5, s7
	s_lshl_b32 s4, s14, 6
	v_ashrrev_i32_e32 v12, 31, v11
	s_ashr_i32 s5, s4, 31
	v_lshlrev_b64 v[13:14], 1, v[1:2]
	s_lshl_b64 s[4:5], s[4:5], 1
	s_delay_alu instid0(SALU_CYCLE_1) | instskip(SKIP_2) | instid1(VALU_DEP_1)
	s_add_u32 s1, s1, s4
	s_addc_u32 s2, s2, s5
	v_add_co_u32 v1, s1, s1, v65
	v_add_co_ci_u32_e64 v2, null, s2, 0, s1
	v_lshlrev_b64 v[11:12], 1, v[11:12]
	s_delay_alu instid0(VALU_DEP_3) | instskip(NEXT) | instid1(VALU_DEP_3)
	v_add_co_u32 v13, vcc_lo, v1, v13
	v_add_co_ci_u32_e32 v14, vcc_lo, v2, v14, vcc_lo
	s_delay_alu instid0(VALU_DEP_3) | instskip(NEXT) | instid1(VALU_DEP_4)
	v_add_co_u32 v11, vcc_lo, v1, v11
	v_add_co_ci_u32_e32 v12, vcc_lo, v2, v12, vcc_lo
	s_clause 0x1
	global_store_b128 v[13:14], v[3:6], off
	global_store_b128 v[11:12], v[7:10], off
	s_and_b32 exec_lo, exec_lo, s3
	s_cbranch_execz .LBB874_2
; %bb.16:
	ds_load_b128 v[3:6], v0 offset:256
	s_add_i32 s1, s33, 4
	s_delay_alu instid0(SALU_CYCLE_1) | instskip(NEXT) | instid1(SALU_CYCLE_1)
	s_mul_i32 s0, s1, s0
	s_ashr_i32 s1, s0, 31
	s_delay_alu instid0(SALU_CYCLE_1) | instskip(NEXT) | instid1(SALU_CYCLE_1)
	s_lshl_b64 s[0:1], s[0:1], 1
	v_add_co_u32 v0, vcc_lo, v1, s0
	v_add_co_ci_u32_e32 v1, vcc_lo, s1, v2, vcc_lo
	s_waitcnt lgkmcnt(0)
	global_store_b128 v[0:1], v[3:6], off
	s_nop 0
	s_sendmsg sendmsg(MSG_DEALLOC_VGPRS)
	s_endpgm
	.section	.rodata,"a",@progbits
	.p2align	6, 0x0
	.amdhsa_kernel _Z39paged_attention_ll4mi_QKV_mfma16_kernelIDF16_hLN4vllm18Fp8KVCacheDataTypeE1EhLi32ELi64ELi256ELb0ELi5EL8MFMAType1EEvPKT_PKT0_S8_ifPKiSA_SA_iPKfiiiPfSD_PS3_PT2_iSC_SC_
		.amdhsa_group_segment_fixed_size 17472
		.amdhsa_private_segment_fixed_size 0
		.amdhsa_kernarg_size 400
		.amdhsa_user_sgpr_count 13
		.amdhsa_user_sgpr_dispatch_ptr 0
		.amdhsa_user_sgpr_queue_ptr 0
		.amdhsa_user_sgpr_kernarg_segment_ptr 1
		.amdhsa_user_sgpr_dispatch_id 0
		.amdhsa_user_sgpr_private_segment_size 0
		.amdhsa_wavefront_size32 1
		.amdhsa_uses_dynamic_stack 0
		.amdhsa_enable_private_segment 0
		.amdhsa_system_sgpr_workgroup_id_x 1
		.amdhsa_system_sgpr_workgroup_id_y 1
		.amdhsa_system_sgpr_workgroup_id_z 1
		.amdhsa_system_sgpr_workgroup_info 0
		.amdhsa_system_vgpr_workitem_id 0
		.amdhsa_next_free_vgpr 146
		.amdhsa_next_free_sgpr 37
		.amdhsa_reserve_vcc 1
		.amdhsa_float_round_mode_32 0
		.amdhsa_float_round_mode_16_64 0
		.amdhsa_float_denorm_mode_32 3
		.amdhsa_float_denorm_mode_16_64 3
		.amdhsa_dx10_clamp 1
		.amdhsa_ieee_mode 1
		.amdhsa_fp16_overflow 0
		.amdhsa_workgroup_processor_mode 1
		.amdhsa_memory_ordered 1
		.amdhsa_forward_progress 0
		.amdhsa_shared_vgpr_count 0
		.amdhsa_exception_fp_ieee_invalid_op 0
		.amdhsa_exception_fp_denorm_src 0
		.amdhsa_exception_fp_ieee_div_zero 0
		.amdhsa_exception_fp_ieee_overflow 0
		.amdhsa_exception_fp_ieee_underflow 0
		.amdhsa_exception_fp_ieee_inexact 0
		.amdhsa_exception_int_div_zero 0
	.end_amdhsa_kernel
	.section	.text._Z39paged_attention_ll4mi_QKV_mfma16_kernelIDF16_hLN4vllm18Fp8KVCacheDataTypeE1EhLi32ELi64ELi256ELb0ELi5EL8MFMAType1EEvPKT_PKT0_S8_ifPKiSA_SA_iPKfiiiPfSD_PS3_PT2_iSC_SC_,"axG",@progbits,_Z39paged_attention_ll4mi_QKV_mfma16_kernelIDF16_hLN4vllm18Fp8KVCacheDataTypeE1EhLi32ELi64ELi256ELb0ELi5EL8MFMAType1EEvPKT_PKT0_S8_ifPKiSA_SA_iPKfiiiPfSD_PS3_PT2_iSC_SC_,comdat
.Lfunc_end874:
	.size	_Z39paged_attention_ll4mi_QKV_mfma16_kernelIDF16_hLN4vllm18Fp8KVCacheDataTypeE1EhLi32ELi64ELi256ELb0ELi5EL8MFMAType1EEvPKT_PKT0_S8_ifPKiSA_SA_iPKfiiiPfSD_PS3_PT2_iSC_SC_, .Lfunc_end874-_Z39paged_attention_ll4mi_QKV_mfma16_kernelIDF16_hLN4vllm18Fp8KVCacheDataTypeE1EhLi32ELi64ELi256ELb0ELi5EL8MFMAType1EEvPKT_PKT0_S8_ifPKiSA_SA_iPKfiiiPfSD_PS3_PT2_iSC_SC_
                                        ; -- End function
	.section	.AMDGPU.csdata,"",@progbits
; Kernel info:
; codeLenInByte = 6476
; NumSgprs: 39
; NumVgprs: 146
; ScratchSize: 0
; MemoryBound: 0
; FloatMode: 240
; IeeeMode: 1
; LDSByteSize: 17472 bytes/workgroup (compile time only)
; SGPRBlocks: 4
; VGPRBlocks: 18
; NumSGPRsForWavesPerEU: 39
; NumVGPRsForWavesPerEU: 146
; Occupancy: 9
; WaveLimiterHint : 1
; COMPUTE_PGM_RSRC2:SCRATCH_EN: 0
; COMPUTE_PGM_RSRC2:USER_SGPR: 13
; COMPUTE_PGM_RSRC2:TRAP_HANDLER: 0
; COMPUTE_PGM_RSRC2:TGID_X_EN: 1
; COMPUTE_PGM_RSRC2:TGID_Y_EN: 1
; COMPUTE_PGM_RSRC2:TGID_Z_EN: 1
; COMPUTE_PGM_RSRC2:TIDIG_COMP_CNT: 0
	.section	.text._Z39paged_attention_ll4mi_QKV_mfma16_kernelIDF16_hLN4vllm18Fp8KVCacheDataTypeE1EhLi32ELi64ELi256ELb0ELi6EL8MFMAType1EEvPKT_PKT0_S8_ifPKiSA_SA_iPKfiiiPfSD_PS3_PT2_iSC_SC_,"axG",@progbits,_Z39paged_attention_ll4mi_QKV_mfma16_kernelIDF16_hLN4vllm18Fp8KVCacheDataTypeE1EhLi32ELi64ELi256ELb0ELi6EL8MFMAType1EEvPKT_PKT0_S8_ifPKiSA_SA_iPKfiiiPfSD_PS3_PT2_iSC_SC_,comdat
	.protected	_Z39paged_attention_ll4mi_QKV_mfma16_kernelIDF16_hLN4vllm18Fp8KVCacheDataTypeE1EhLi32ELi64ELi256ELb0ELi6EL8MFMAType1EEvPKT_PKT0_S8_ifPKiSA_SA_iPKfiiiPfSD_PS3_PT2_iSC_SC_ ; -- Begin function _Z39paged_attention_ll4mi_QKV_mfma16_kernelIDF16_hLN4vllm18Fp8KVCacheDataTypeE1EhLi32ELi64ELi256ELb0ELi6EL8MFMAType1EEvPKT_PKT0_S8_ifPKiSA_SA_iPKfiiiPfSD_PS3_PT2_iSC_SC_
	.globl	_Z39paged_attention_ll4mi_QKV_mfma16_kernelIDF16_hLN4vllm18Fp8KVCacheDataTypeE1EhLi32ELi64ELi256ELb0ELi6EL8MFMAType1EEvPKT_PKT0_S8_ifPKiSA_SA_iPKfiiiPfSD_PS3_PT2_iSC_SC_
	.p2align	8
	.type	_Z39paged_attention_ll4mi_QKV_mfma16_kernelIDF16_hLN4vllm18Fp8KVCacheDataTypeE1EhLi32ELi64ELi256ELb0ELi6EL8MFMAType1EEvPKT_PKT0_S8_ifPKiSA_SA_iPKfiiiPfSD_PS3_PT2_iSC_SC_,@function
_Z39paged_attention_ll4mi_QKV_mfma16_kernelIDF16_hLN4vllm18Fp8KVCacheDataTypeE1EhLi32ELi64ELi256ELb0ELi6EL8MFMAType1EEvPKT_PKT0_S8_ifPKiSA_SA_iPKfiiiPfSD_PS3_PT2_iSC_SC_: ; @_Z39paged_attention_ll4mi_QKV_mfma16_kernelIDF16_hLN4vllm18Fp8KVCacheDataTypeE1EhLi32ELi64ELi256ELb0ELi6EL8MFMAType1EEvPKT_PKT0_S8_ifPKiSA_SA_iPKfiiiPfSD_PS3_PT2_iSC_SC_
; %bb.0:
	s_load_b64 s[2:3], s[0:1], 0x30
	s_mov_b32 s34, s13
	s_waitcnt lgkmcnt(0)
	s_cmp_lg_u64 s[2:3], 0
	s_cselect_b32 s6, -1, 0
	s_ashr_i32 s35, s13, 31
	s_cmp_eq_u64 s[2:3], 0
	s_cbranch_scc1 .LBB875_3
; %bb.1:
	s_lshl_b64 s[4:5], s[34:35], 2
	s_delay_alu instid0(SALU_CYCLE_1) | instskip(SKIP_4) | instid1(SALU_CYCLE_1)
	s_add_u32 s4, s2, s4
	s_addc_u32 s5, s3, s5
	s_load_b64 s[4:5], s[4:5], 0x0
	s_waitcnt lgkmcnt(0)
	s_sub_i32 s4, s5, s4
	s_cmp_eq_u32 s4, 1
	s_cselect_b32 s4, -1, 0
	s_delay_alu instid0(SALU_CYCLE_1)
	s_and_not1_b32 vcc_lo, exec_lo, s4
	s_cbranch_vccz .LBB875_4
.LBB875_2:
	s_endpgm
.LBB875_3:
.LBB875_4:
	s_load_b64 s[8:9], s[0:1], 0x28
	s_lshl_b64 s[4:5], s[34:35], 2
	s_waitcnt lgkmcnt(0)
	s_add_u32 s8, s8, s4
	s_addc_u32 s9, s9, s5
	s_lshl_b32 s16, s14, 8
	s_load_b32 s18, s[8:9], 0x0
	s_waitcnt lgkmcnt(0)
	s_cmp_ge_i32 s16, s18
	s_cbranch_scc1 .LBB875_2
; %bb.5:
	s_clause 0x1
	s_load_b128 s[8:11], s[0:1], 0x8
	s_load_b64 s[12:13], s[0:1], 0x20
	s_and_not1_b32 vcc_lo, exec_lo, s6
	s_cbranch_vccnz .LBB875_7
; %bb.6:
	s_add_u32 s2, s2, s4
	s_addc_u32 s3, s3, s5
	s_load_b32 s3, s[2:3], 0x0
	s_branch .LBB875_8
.LBB875_7:
	s_mov_b32 s3, s34
.LBB875_8:
	s_load_b128 s[4:7], s[0:1], 0x48
	v_and_b32_e32 v68, 15, v0
	v_cmp_gt_u32_e32 vcc_lo, 0x60, v0
	v_lshrrev_b32_e32 v69, 5, v0
	v_and_b32_e32 v70, 31, v0
	v_and_b32_e32 v67, 1, v0
	v_lshlrev_b32_e32 v1, 3, v68
	v_cmp_gt_u32_e64 s2, 8, v68
	v_bfe_u32 v66, v0, 4, 1
	s_mul_i32 s31, s15, 6
	s_delay_alu instid0(VALU_DEP_3) | instskip(NEXT) | instid1(VALU_DEP_3)
	v_lshlrev_b32_e32 v65, 1, v1
	s_and_b32 s17, vcc_lo, s2
	s_waitcnt lgkmcnt(0)
	s_and_saveexec_b32 s7, s17
	s_cbranch_execz .LBB875_10
; %bb.9:
	s_load_b64 s[20:21], s[0:1], 0x0
	v_lshl_or_b32 v5, v69, 1, v66
	s_mul_hi_i32 s23, s3, s4
	s_mul_i32 s22, s3, s4
	v_lshlrev_b32_e32 v6, 10, v68
	s_lshl_b64 s[22:23], s[22:23], 1
	v_add_lshl_u32 v1, v5, s31, 6
	v_lshlrev_b32_e32 v5, 6, v5
	v_lshlrev_b32_e32 v7, 10, v67
	v_and_b32_e32 v6, 0x3800, v6
	s_delay_alu instid0(VALU_DEP_4) | instskip(NEXT) | instid1(VALU_DEP_2)
	v_ashrrev_i32_e32 v2, 31, v1
	v_or3_b32 v5, v6, v7, v5
	s_delay_alu instid0(VALU_DEP_2) | instskip(SKIP_3) | instid1(VALU_DEP_1)
	v_lshlrev_b64 v[1:2], 1, v[1:2]
	s_waitcnt lgkmcnt(0)
	s_add_u32 s3, s20, s22
	s_addc_u32 s4, s21, s23
	v_add_co_u32 v1, vcc_lo, s3, v1
	s_delay_alu instid0(VALU_DEP_2) | instskip(NEXT) | instid1(VALU_DEP_2)
	v_add_co_ci_u32_e32 v2, vcc_lo, s4, v2, vcc_lo
	v_add_co_u32 v1, vcc_lo, v1, v65
	s_delay_alu instid0(VALU_DEP_2)
	v_add_co_ci_u32_e32 v2, vcc_lo, 0, v2, vcc_lo
	global_load_b128 v[1:4], v[1:2], off
	s_waitcnt vmcnt(0)
	ds_store_b128 v5, v[1:4]
.LBB875_10:
	s_or_b32 exec_lo, exec_lo, s7
	v_and_b32_e32 v1, 0xef, v0
	s_add_i32 s3, s18, 31
	s_clause 0x1
	s_load_b32 s4, s[0:1], 0x38
	s_load_b32 s33, s[0:1], 0x98
	s_ashr_i32 s7, s3, 31
	v_add_nc_u32_e32 v1, s16, v1
	s_lshr_b32 s7, s7, 27
	s_load_b32 s19, s[0:1], 0x1c
	s_add_i32 s3, s3, s7
	s_waitcnt lgkmcnt(0)
	v_ashrrev_i32_e32 v2, 31, v1
	v_or_b32_e32 v3, 16, v1
	s_ashr_i32 s3, s3, 5
	v_cmp_gt_i32_e32 vcc_lo, s18, v1
	s_add_i32 s3, s3, -1
	v_lshrrev_b32_e32 v2, 27, v2
	s_barrier
	buffer_gl0_inv
	s_mul_i32 s15, s15, s6
	v_mul_lo_u16 v103, v68, 43
	v_add_nc_u32_e32 v4, v1, v2
	v_mbcnt_lo_u32_b32 v127, -1, 0
	s_mul_i32 s20, s34, s4
	s_delay_alu instid0(SALU_CYCLE_1) | instskip(NEXT) | instid1(VALU_DEP_2)
	s_ashr_i32 s21, s20, 31
	v_ashrrev_i32_e32 v4, 5, v4
	v_add_nc_u32_e32 v2, v3, v2
	s_lshl_b64 s[20:21], s[20:21], 2
	v_lshrrev_b16 v103, 8, v103
	s_add_u32 s17, s12, s20
	v_cndmask_b32_e32 v1, s3, v4, vcc_lo
	v_ashrrev_i32_e32 v2, 5, v2
	v_cmp_gt_i32_e32 vcc_lo, s18, v3
	s_addc_u32 s13, s13, s21
	s_ashr_i32 s20, s15, 31
	s_add_u32 s22, s8, s15
	s_addc_u32 s23, s9, s20
	v_cndmask_b32_e32 v3, s3, v2, vcc_lo
	v_ashrrev_i32_e32 v2, 31, v1
	s_lshl_b32 s6, s14, 3
	v_mul_lo_u16 v103, v103, 6
	s_ashr_i32 s7, s6, 31
	v_ashrrev_i32_e32 v4, 31, v3
	v_lshlrev_b64 v[1:2], 2, v[1:2]
	s_lshl_b64 s[6:7], s[6:7], 2
	v_sub_nc_u16 v103, v68, v103
	s_add_u32 s6, s17, s6
	v_lshlrev_b64 v[3:4], 2, v[3:4]
	s_addc_u32 s7, s13, s7
	v_add_co_u32 v1, vcc_lo, s17, v1
	v_add_co_ci_u32_e32 v2, vcc_lo, s13, v2, vcc_lo
	s_delay_alu instid0(VALU_DEP_3) | instskip(NEXT) | instid1(VALU_DEP_4)
	v_add_co_u32 v3, vcc_lo, s17, v3
	v_add_co_ci_u32_e32 v4, vcc_lo, s13, v4, vcc_lo
	s_clause 0x1
	global_load_b32 v5, v[1:2], off
	global_load_b32 v6, v[3:4], off
	s_or_b32 s4, s16, 32
	v_xor_b32_e32 v128, 16, v127
	s_ashr_i32 s8, s4, 5
	s_cmp_lt_i32 s4, s18
	s_cselect_b32 s8, s8, s3
	s_delay_alu instid0(SALU_CYCLE_1) | instskip(NEXT) | instid1(SALU_CYCLE_1)
	s_ashr_i32 s9, s8, 31
	s_lshl_b64 s[8:9], s[8:9], 2
	s_delay_alu instid0(SALU_CYCLE_1) | instskip(SKIP_2) | instid1(SALU_CYCLE_1)
	s_add_u32 s8, s17, s8
	s_addc_u32 s9, s13, s9
	s_or_b32 s4, s16, 64
	s_ashr_i32 s12, s4, 5
	s_cmp_lt_i32 s4, s18
	s_cselect_b32 s24, s12, s3
	s_delay_alu instid0(SALU_CYCLE_1) | instskip(NEXT) | instid1(SALU_CYCLE_1)
	s_ashr_i32 s25, s24, 31
	s_lshl_b64 s[24:25], s[24:25], 2
	s_delay_alu instid0(SALU_CYCLE_1) | instskip(SKIP_2) | instid1(SALU_CYCLE_1)
	s_add_u32 s24, s17, s24
	s_addc_u32 s25, s13, s25
	s_or_b32 s4, s16, 0x60
	;; [unrolled: 10-line block ×4, first 2 shown]
	s_ashr_i32 s12, s4, 5
	s_cmp_lt_i32 s4, s18
	s_cselect_b32 s36, s12, s3
	s_delay_alu instid0(SALU_CYCLE_1) | instskip(NEXT) | instid1(SALU_CYCLE_1)
	s_ashr_i32 s37, s36, 31
	s_lshl_b64 s[36:37], s[36:37], 2
	s_delay_alu instid0(SALU_CYCLE_1)
	s_add_u32 s36, s17, s36
	s_addc_u32 s37, s13, s37
	s_clause 0x5
	s_load_b32 s12, s[6:7], 0x0
	s_load_b32 s4, s[8:9], 0x0
	;; [unrolled: 1-line block ×6, first 2 shown]
	s_or_b32 s21, s16, 0xc0
	s_waitcnt vmcnt(1)
	v_mad_i64_i32 v[1:2], null, v5, s5, s[22:23]
	v_lshlrev_b32_e32 v5, 4, v68
	s_waitcnt vmcnt(0)
	v_mad_i64_i32 v[3:4], null, v6, s5, s[22:23]
	s_ashr_i32 s22, s21, 5
	s_cmp_lt_i32 s21, s18
	s_delay_alu instid0(VALU_DEP_3) | instskip(NEXT) | instid1(VALU_DEP_4)
	v_add_co_u32 v1, vcc_lo, v1, v5
	v_add_co_ci_u32_e32 v2, vcc_lo, 0, v2, vcc_lo
	s_delay_alu instid0(VALU_DEP_3) | instskip(NEXT) | instid1(VALU_DEP_4)
	v_add_co_u32 v3, vcc_lo, v3, v5
	v_add_co_ci_u32_e32 v4, vcc_lo, 0, v4, vcc_lo
	s_clause 0x7
	global_load_b128 v[71:74], v[1:2], off
	global_load_b128 v[75:78], v[1:2], off offset:512
	global_load_b128 v[79:82], v[3:4], off offset:256
	;; [unrolled: 1-line block ×7, first 2 shown]
	s_cselect_b32 s22, s22, s3
	v_lshlrev_b32_e32 v1, 5, v68
	s_ashr_i32 s23, s22, 31
	v_cmp_gt_i32_e32 vcc_lo, 32, v128
	s_lshl_b64 s[22:23], s[22:23], 2
	v_and_b32_e32 v103, 0xff, v103
	s_add_u32 s22, s17, s22
	s_addc_u32 s23, s13, s23
	v_cndmask_b32_e32 v136, v127, v128, vcc_lo
	s_or_b32 s21, s16, 0xe0
	v_lshl_or_b32 v1, v69, 9, v1
	s_ashr_i32 s24, s21, 5
	s_cmp_lt_i32 s21, s18
	v_lshlrev_b32_e32 v115, 6, v103
	s_cselect_b32 s24, s24, s3
	s_load_b32 s3, s[22:23], 0x0
	s_ashr_i32 s25, s24, 31
	s_delay_alu instid0(SALU_CYCLE_1) | instskip(NEXT) | instid1(SALU_CYCLE_1)
	s_lshl_b64 s[24:25], s[24:25], 2
	s_add_u32 s22, s17, s24
	s_addc_u32 s23, s13, s25
	s_add_u32 s10, s10, s15
	s_addc_u32 s11, s11, s20
	v_add_co_u32 v1, s10, s10, v1
	s_delay_alu instid0(VALU_DEP_1) | instskip(SKIP_2) | instid1(VALU_DEP_1)
	v_add_co_ci_u32_e64 v2, null, s11, 0, s10
	s_load_b32 s10, s[22:23], 0x0
	s_waitcnt lgkmcnt(0)
	v_mad_i64_i32 v[3:4], null, s12, s5, v[1:2]
	v_mad_i64_i32 v[9:10], null, s7, s5, v[1:2]
	;; [unrolled: 1-line block ×7, first 2 shown]
	s_clause 0x5
	global_load_b128 v[49:52], v[3:4], off
	global_load_b128 v[53:56], v[3:4], off offset:16
	global_load_b128 v[41:44], v[5:6], off
	global_load_b128 v[45:48], v[5:6], off offset:16
	;; [unrolled: 2-line block ×3, first 2 shown]
	s_mov_b32 s4, 0
	v_mad_i64_i32 v[61:62], null, s10, s5, v[1:2]
	s_clause 0x9
	global_load_b128 v[1:4], v[9:10], off
	global_load_b128 v[5:8], v[9:10], off offset:16
	global_load_b128 v[9:12], v[13:14], off
	global_load_b128 v[13:16], v[13:14], off offset:16
	;; [unrolled: 2-line block ×5, first 2 shown]
	s_mov_b32 s5, s4
	s_mov_b32 s6, s4
	;; [unrolled: 1-line block ×7, first 2 shown]
	v_and_b32_e32 v104, 0xe0, v0
	v_dual_mov_b32 v126, s11 :: v_dual_mov_b32 v123, s8
	v_dual_mov_b32 v125, s10 :: v_dual_mov_b32 v124, s9
	s_delay_alu instid0(VALU_DEP_3)
	v_add_nc_u32_e32 v111, s16, v104
	ds_load_b128 v[103:106], v115
	ds_load_b128 v[107:110], v115 offset:1024
	v_dual_mov_b32 v122, s7 :: v_dual_mov_b32 v121, s6
	v_mov_b32_e32 v120, s5
	v_or_b32_e32 v135, v111, v66
	ds_load_b128 v[111:114], v115 offset:2048
	ds_load_b128 v[115:118], v115 offset:3072
	v_mov_b32_e32 v119, s4
	s_waitcnt vmcnt(0) lgkmcnt(0)
	s_barrier
	v_or_b32_e32 v137, 2, v135
	v_or_b32_e32 v138, 4, v135
	;; [unrolled: 1-line block ×3, first 2 shown]
	v_cmp_gt_i32_e32 vcc_lo, s18, v135
	v_or_b32_e32 v140, 8, v135
	v_cmp_gt_i32_e64 s3, s18, v137
	v_or_b32_e32 v141, 10, v135
	v_cmp_gt_i32_e64 s4, s18, v138
	v_cmp_gt_i32_e64 s5, s18, v139
	v_or_b32_e32 v142, 12, v135
	v_or_b32_e32 v143, 14, v135
	v_cmp_gt_i32_e64 s6, s18, v140
	v_cmp_gt_i32_e64 s7, s18, v141
	v_or_b32_e32 v144, 16, v135
	v_or_b32_e32 v145, 18, v135
	v_cmp_gt_i32_e64 s8, s18, v142
	v_cmp_gt_i32_e64 s9, s18, v143
	buffer_gl0_inv
	v_cmp_gt_i32_e64 s10, s18, v144
	v_cmp_gt_i32_e64 s11, s18, v145
	v_wmma_f32_16x16x16_f16 v[127:134], v[71:78], v[103:110], v[119:126]
	v_wmma_f32_16x16x16_f16 v[119:126], v[79:86], v[103:110], v[119:126]
	v_or_b32_e32 v71, 20, v135
	v_or_b32_e32 v72, 22, v135
	s_delay_alu instid0(VALU_DEP_4)
	v_wmma_f32_16x16x16_f16 v[127:134], v[87:94], v[111:118], v[127:134]
	v_or_b32_e32 v73, 24, v135
	v_wmma_f32_16x16x16_f16 v[119:126], v[95:102], v[111:118], v[119:126]
	v_or_b32_e32 v74, 26, v135
	v_cmp_gt_i32_e64 s12, s18, v71
	v_dual_mul_f32 v84, s19, v127 :: v_dual_mul_f32 v83, s19, v128
	s_delay_alu instid0(VALU_DEP_4) | instskip(SKIP_2) | instid1(VALU_DEP_4)
	v_dual_mul_f32 v92, s19, v119 :: v_dual_mul_f32 v81, s19, v130
	v_mul_f32_e32 v90, s19, v121
	v_mul_f32_e32 v82, s19, v129
	v_cndmask_b32_e32 v84, 0xff7fffff, v84, vcc_lo
	v_cndmask_b32_e64 v83, 0xff7fffff, v83, s3
	v_dual_mul_f32 v79, s19, v132 :: v_dual_mul_f32 v88, s19, v123
	v_mul_f32_e32 v80, s19, v131
	v_cndmask_b32_e64 v82, 0xff7fffff, v82, s4
	v_cndmask_b32_e64 v81, 0xff7fffff, v81, s5
	v_max3_f32 v83, v84, 0xff7fffff, v83
	v_dual_mul_f32 v77, s19, v134 :: v_dual_mul_f32 v86, s19, v125
	v_mul_f32_e32 v78, s19, v133
	v_cndmask_b32_e64 v80, 0xff7fffff, v80, s6
	v_cndmask_b32_e64 v79, 0xff7fffff, v79, s7
	v_max3_f32 v81, v83, v82, v81
	v_mul_f32_e32 v91, s19, v120
	v_cndmask_b32_e64 v78, 0xff7fffff, v78, s8
	v_cndmask_b32_e64 v77, 0xff7fffff, v77, s9
	v_mul_f32_e32 v89, s19, v122
	v_max3_f32 v79, v81, v80, v79
	v_cndmask_b32_e64 v80, 0xff7fffff, v92, s10
	v_cndmask_b32_e64 v81, 0xff7fffff, v91, s11
	v_cmp_gt_i32_e64 s13, s18, v72
	v_or_b32_e32 v75, 28, v135
	v_max3_f32 v77, v79, v78, v77
	v_or_b32_e32 v76, 30, v135
	v_mul_f32_e32 v87, s19, v124
	v_cndmask_b32_e64 v71, 0xff7fffff, v90, s12
	v_cndmask_b32_e64 v72, 0xff7fffff, v89, s13
	v_max3_f32 v77, v77, v80, v81
	v_cmp_gt_i32_e64 s15, s18, v73
	v_cmp_gt_i32_e64 s16, s18, v74
	v_mul_f32_e32 v85, s19, v126
	v_cmp_gt_i32_e64 s17, s18, v75
	v_max3_f32 v71, v77, v71, v72
	v_cndmask_b32_e64 v73, 0xff7fffff, v88, s15
	v_cndmask_b32_e64 v74, 0xff7fffff, v87, s16
	v_cmp_gt_i32_e64 s18, s18, v76
	v_cndmask_b32_e64 v72, 0xff7fffff, v86, s17
	s_delay_alu instid0(VALU_DEP_3) | instskip(NEXT) | instid1(VALU_DEP_3)
	v_max3_f32 v71, v71, v73, v74
	v_cndmask_b32_e64 v75, 0xff7fffff, v85, s18
	v_lshlrev_b32_e32 v73, 2, v136
	s_delay_alu instid0(VALU_DEP_2) | instskip(SKIP_3) | instid1(VALU_DEP_1)
	v_max3_f32 v71, v71, v72, v75
	ds_bpermute_b32 v72, v73, v71
	s_waitcnt lgkmcnt(0)
	v_max_f32_e32 v72, v72, v72
	v_max_f32_e32 v71, v71, v72
	s_delay_alu instid0(VALU_DEP_1) | instskip(SKIP_2) | instid1(VALU_DEP_3)
	v_fma_f32 v72, s19, v127, -v71
	v_fma_f32 v74, s19, v128, -v71
	;; [unrolled: 1-line block ×3, first 2 shown]
	v_mul_f32_e32 v72, 0x3fb8aa3b, v72
	s_delay_alu instid0(VALU_DEP_2) | instskip(NEXT) | instid1(VALU_DEP_2)
	v_dual_mul_f32 v74, 0x3fb8aa3b, v74 :: v_dual_mul_f32 v75, 0x3fb8aa3b, v75
	v_exp_f32_e32 v72, v72
	s_delay_alu instid0(VALU_DEP_1) | instskip(NEXT) | instid1(VALU_DEP_1)
	v_exp_f32_e32 v74, v74
	v_exp_f32_e32 v75, v75
	s_delay_alu instid0(TRANS32_DEP_3)
	v_cndmask_b32_e32 v79, 0, v72, vcc_lo
	s_waitcnt_depctr 0xfff
	v_cndmask_b32_e64 v78, 0, v74, s3
	v_cndmask_b32_e64 v81, 0, v75, s4
	s_mov_b32 s3, exec_lo
	v_add_f32_e32 v74, 0, v79
	s_delay_alu instid0(VALU_DEP_1) | instskip(NEXT) | instid1(VALU_DEP_1)
	v_add_f32_e32 v74, v74, v78
	v_add_f32_e32 v74, v74, v81
	v_fma_f32 v76, s19, v130, -v71
	v_fma_f32 v77, s19, v131, -v71
	;; [unrolled: 1-line block ×5, first 2 shown]
	s_delay_alu instid0(VALU_DEP_4) | instskip(NEXT) | instid1(VALU_DEP_4)
	v_dual_mul_f32 v76, 0x3fb8aa3b, v76 :: v_dual_mul_f32 v77, 0x3fb8aa3b, v77
	v_mul_f32_e32 v72, 0x3fb8aa3b, v72
	s_delay_alu instid0(VALU_DEP_4) | instskip(SKIP_1) | instid1(VALU_DEP_4)
	v_mul_f32_e32 v82, 0x3fb8aa3b, v80
	v_fma_f32 v86, s19, v122, -v71
	v_exp_f32_e32 v76, v76
	v_exp_f32_e32 v77, v77
	;; [unrolled: 1-line block ×4, first 2 shown]
	v_mul_f32_e32 v86, 0x3fb8aa3b, v86
	s_delay_alu instid0(VALU_DEP_1)
	v_exp_f32_e32 v88, v86
	v_cndmask_b32_e64 v80, 0, v76, s5
	v_mul_f32_e32 v75, 0x3fb8aa3b, v75
	v_fma_f32 v76, s19, v119, -v71
	v_cndmask_b32_e64 v83, 0, v77, s6
	v_fma_f32 v77, s19, v120, -v71
	v_add_f32_e32 v74, v74, v80
	v_exp_f32_e32 v75, v75
	v_mul_f32_e32 v76, 0x3fb8aa3b, v76
	v_cndmask_b32_e64 v82, 0, v72, s7
	s_delay_alu instid0(VALU_DEP_3) | instskip(SKIP_1) | instid1(VALU_DEP_4)
	v_dual_mul_f32 v77, 0x3fb8aa3b, v77 :: v_dual_add_f32 v72, v74, v83
	v_fma_f32 v74, s19, v121, -v71
	v_exp_f32_e32 v76, v76
	v_cndmask_b32_e64 v85, 0, v84, s8
	s_delay_alu instid0(VALU_DEP_3) | instskip(SKIP_1) | instid1(TRANS32_DEP_3)
	v_exp_f32_e32 v77, v77
	v_cndmask_b32_e64 v88, 0, v88, s13
	v_cndmask_b32_e64 v84, 0, v75, s9
	v_fma_f32 v75, s19, v123, -v71
	v_add_f32_e32 v72, v72, v82
	s_delay_alu instid0(VALU_DEP_2) | instskip(NEXT) | instid1(VALU_DEP_2)
	v_dual_mul_f32 v74, 0x3fb8aa3b, v74 :: v_dual_mul_f32 v75, 0x3fb8aa3b, v75
	v_add_f32_e32 v72, v72, v85
	s_delay_alu instid0(VALU_DEP_2)
	v_exp_f32_e32 v74, v74
	v_cndmask_b32_e64 v87, 0, v76, s10
	v_fma_f32 v76, s19, v124, -v71
	v_cndmask_b32_e64 v86, 0, v77, s11
	v_add_f32_e32 v72, v72, v84
	v_fma_f32 v77, s19, v125, -v71
	v_exp_f32_e32 v75, v75
	v_mul_f32_e32 v76, 0x3fb8aa3b, v76
	s_delay_alu instid0(VALU_DEP_3) | instskip(NEXT) | instid1(TRANS32_DEP_2)
	v_add_f32_e32 v72, v72, v87
	v_cndmask_b32_e64 v89, 0, v74, s12
	v_mul_f32_e32 v74, 0x3fb8aa3b, v77
	s_delay_alu instid0(VALU_DEP_4) | instskip(SKIP_2) | instid1(VALU_DEP_3)
	v_exp_f32_e32 v76, v76
	v_fma_f32 v77, s19, v126, -v71
	v_add_f32_e32 v72, v72, v86
	v_exp_f32_e32 v74, v74
	s_delay_alu instid0(TRANS32_DEP_3) | instskip(NEXT) | instid1(VALU_DEP_3)
	v_cndmask_b32_e64 v91, 0, v75, s15
	v_mul_f32_e32 v75, 0x3fb8aa3b, v77
	s_delay_alu instid0(VALU_DEP_3) | instskip(NEXT) | instid1(TRANS32_DEP_2)
	v_add_f32_e32 v72, v72, v89
	v_cndmask_b32_e64 v90, 0, v76, s16
	s_delay_alu instid0(VALU_DEP_3) | instskip(NEXT) | instid1(VALU_DEP_2)
	v_exp_f32_e32 v75, v75
	v_add_f32_e32 v72, v72, v88
	s_delay_alu instid0(TRANS32_DEP_2) | instskip(NEXT) | instid1(VALU_DEP_2)
	v_cndmask_b32_e64 v93, 0, v74, s17
	v_add_f32_e32 v72, v72, v91
	s_waitcnt_depctr 0xfff
	v_cndmask_b32_e64 v92, 0, v75, s18
	v_add_f32_e32 v72, v72, v90
	s_delay_alu instid0(VALU_DEP_1) | instskip(NEXT) | instid1(VALU_DEP_1)
	v_add_f32_e32 v72, v72, v93
	v_add_f32_e32 v72, v72, v92
	ds_bpermute_b32 v73, v73, v72
	v_cmpx_gt_u32_e32 16, v70
	s_cbranch_execz .LBB875_12
; %bb.11:
	v_mul_u32_u24_e32 v70, 0x44, v69
	s_waitcnt lgkmcnt(0)
	v_add_f32_e32 v72, v72, v73
	s_delay_alu instid0(VALU_DEP_2) | instskip(NEXT) | instid1(VALU_DEP_1)
	v_lshl_add_u32 v70, v68, 2, v70
	v_add_nc_u32_e32 v70, 0x4000, v70
	ds_store_2addr_b32 v70, v71, v72 offset1:136
.LBB875_12:
	s_or_b32 exec_lo, exec_lo, s3
	v_lshlrev_b32_e32 v70, 2, v68
	s_load_b32 s35, s[0:1], 0x94
	s_waitcnt lgkmcnt(0)
	s_barrier
	buffer_gl0_inv
	v_add_nc_u32_e32 v98, 0x4000, v70
	v_cmp_eq_u32_e32 vcc_lo, 1, v69
	v_cmp_eq_u32_e64 s3, 2, v69
	v_cmp_eq_u32_e64 s4, 3, v69
	v_cmp_eq_u32_e64 s5, 4, v69
	ds_load_2addr_b32 v[70:71], v98 offset1:17
	ds_load_2addr_b32 v[72:73], v98 offset0:34 offset1:51
	ds_load_2addr_b32 v[74:75], v98 offset0:68 offset1:85
	;; [unrolled: 1-line block ×3, first 2 shown]
	v_cmp_eq_u32_e64 s6, 5, v69
	v_cmp_eq_u32_e64 s7, 7, v69
	s_waitcnt lgkmcnt(3)
	v_max3_f32 v76, v70, 0xff7fffff, v71
	s_waitcnt lgkmcnt(2)
	s_delay_alu instid0(VALU_DEP_1) | instskip(SKIP_1) | instid1(VALU_DEP_1)
	v_max3_f32 v76, v76, v72, v73
	s_waitcnt lgkmcnt(1)
	v_max3_f32 v76, v76, v74, v75
	s_waitcnt lgkmcnt(0)
	s_delay_alu instid0(VALU_DEP_1) | instskip(NEXT) | instid1(VALU_DEP_1)
	v_max3_f32 v76, v76, v94, v95
	v_sub_f32_e32 v77, v71, v76
	ds_load_2addr_b32 v[96:97], v98 offset0:136 offset1:153
	v_sub_f32_e32 v74, v74, v76
	v_sub_f32_e32 v70, v70, v76
	;; [unrolled: 1-line block ×3, first 2 shown]
	v_dual_sub_f32 v72, v72, v76 :: v_dual_mul_f32 v77, 0x3fb8aa3b, v77
	s_delay_alu instid0(VALU_DEP_4) | instskip(NEXT) | instid1(VALU_DEP_4)
	v_mul_f32_e32 v103, 0x3fb8aa3b, v74
	v_mul_f32_e32 v99, 0x3fb8aa3b, v70
	ds_load_2addr_b32 v[70:71], v98 offset0:170 offset1:187
	v_dual_mul_f32 v101, 0x3fb8aa3b, v72 :: v_dual_mul_f32 v94, 0x3fb8aa3b, v94
	v_exp_f32_e32 v102, v77
	v_exp_f32_e32 v99, v99
	s_delay_alu instid0(VALU_DEP_1) | instskip(NEXT) | instid1(VALU_DEP_1)
	v_exp_f32_e32 v101, v101
	v_exp_f32_e32 v94, v94
	s_waitcnt lgkmcnt(1)
	s_delay_alu instid0(TRANS32_DEP_3)
	v_fma_f32 v77, v99, v96, 0
	v_sub_f32_e32 v100, v73, v76
	ds_load_2addr_b32 v[72:73], v98 offset0:204 offset1:221
	v_fmac_f32_e32 v77, v102, v97
	v_exp_f32_e32 v97, v103
	s_waitcnt lgkmcnt(1)
	s_delay_alu instid0(VALU_DEP_1)
	v_dual_fmac_f32 v77, v101, v70 :: v_dual_sub_f32 v96, v75, v76
	ds_load_2addr_b32 v[74:75], v98 offset0:238 offset1:255
	v_sub_f32_e32 v70, v95, v76
	s_waitcnt lgkmcnt(0)
	s_barrier
	v_mul_f32_e32 v96, 0x3fb8aa3b, v96
	buffer_gl0_inv
	v_exp_f32_e32 v95, v96
	v_mul_f32_e32 v100, 0x3fb8aa3b, v100
	s_delay_alu instid0(VALU_DEP_1) | instskip(SKIP_3) | instid1(VALU_DEP_2)
	v_exp_f32_e32 v100, v100
	s_waitcnt_depctr 0xfff
	v_dual_fmac_f32 v77, v100, v71 :: v_dual_mul_f32 v70, 0x3fb8aa3b, v70
	v_cndmask_b32_e32 v71, v99, v102, vcc_lo
	v_fmac_f32_e32 v77, v97, v72
	s_delay_alu instid0(VALU_DEP_3) | instskip(NEXT) | instid1(VALU_DEP_1)
	v_exp_f32_e32 v96, v70
	v_fmac_f32_e32 v77, v95, v73
	s_delay_alu instid0(VALU_DEP_1) | instskip(SKIP_2) | instid1(VALU_DEP_1)
	v_fmac_f32_e32 v77, v94, v74
	s_waitcnt_depctr 0xfff
	v_fmac_f32_e32 v77, v96, v75
	v_add_f32_e32 v74, 0x358637bd, v77
	s_delay_alu instid0(VALU_DEP_1) | instskip(SKIP_1) | instid1(VALU_DEP_2)
	v_div_scale_f32 v98, null, v74, v74, 1.0
	v_div_scale_f32 v99, vcc_lo, 1.0, v74, 1.0
	v_rcp_f32_e32 v103, v98
	s_waitcnt_depctr 0xfff
	v_fma_f32 v70, -v98, v103, 1.0
	s_delay_alu instid0(VALU_DEP_1) | instskip(SKIP_2) | instid1(VALU_DEP_2)
	v_fmac_f32_e32 v103, v70, v103
	v_cndmask_b32_e64 v70, v71, v101, s3
	v_cmp_eq_u32_e64 s3, 6, v69
	v_cndmask_b32_e64 v71, v70, v100, s4
	s_delay_alu instid0(VALU_DEP_4) | instskip(NEXT) | instid1(VALU_DEP_2)
	v_dual_mul_f32 v101, v99, v103 :: v_dual_lshlrev_b32 v70, 2, v66
	v_cndmask_b32_e64 v71, v71, v97, s5
	s_delay_alu instid0(VALU_DEP_2) | instskip(NEXT) | instid1(VALU_DEP_3)
	v_or_b32_e32 v72, 1, v70
	v_fma_f32 v100, -v98, v101, v99
	v_cmp_eq_u32_e64 s4, 1, v70
	v_cmp_eq_u32_e64 s5, 2, v70
	v_cndmask_b32_e64 v95, v71, v95, s6
	v_or_b32_e32 v71, 3, v70
	v_fmac_f32_e32 v101, v100, v103
	v_cmp_eq_u32_e64 s9, 1, v72
	v_cmp_eq_u32_e64 s12, 2, v72
	v_cndmask_b32_e64 v94, v95, v94, s3
	v_cmp_eq_u32_e64 s11, 1, v71
	v_fma_f32 v97, -v98, v101, v99
	v_cmp_eq_u32_e64 s16, 2, v71
	v_cmp_eq_u32_e64 s13, 3, v72
	v_cndmask_b32_e64 v94, v94, v96, s7
	v_cmp_eq_u32_e64 s18, 3, v71
	v_div_fmas_f32 v95, v97, v103, v101
	v_cmp_eq_u32_e32 vcc_lo, 3, v70
	v_cmp_eq_u32_e64 s3, 4, v70
	v_cmp_eq_u32_e64 s19, 4, v72
	;; [unrolled: 1-line block ×3, first 2 shown]
	v_div_fixup_f32 v95, v95, v74, 1.0
	v_lshlrev_b32_e32 v73, 6, v68
	v_cmp_eq_u32_e64 s6, 5, v70
	v_cmp_eq_u32_e64 s20, 5, v72
	;; [unrolled: 1-line block ×3, first 2 shown]
	v_mul_f32_e32 v102, v94, v95
	v_lshl_or_b32 v75, v69, 11, v73
	v_or_b32_e32 v69, 2, v70
	v_cmp_eq_u32_e64 s25, 6, v72
	v_cmp_eq_u32_e64 s27, 6, v71
	v_fma_mixlo_f16 v94, v102, v79, 0
	v_fma_mixlo_f16 v95, v102, v81, 0
	;; [unrolled: 1-line block ×8, first 2 shown]
	v_lshl_or_b32 v74, v66, 4, v75
	v_fma_mixhi_f16 v94, v102, v78, 0
	v_fma_mixhi_f16 v95, v102, v80, 0
	;; [unrolled: 1-line block ×8, first 2 shown]
	ds_store_b128 v74, v[94:97]
	ds_store_b128 v74, v[98:101] offset:1024
	s_waitcnt lgkmcnt(0)
	s_barrier
	buffer_gl0_inv
	ds_load_b128 v[78:81], v75
	ds_load_b128 v[82:85], v75 offset:16
	ds_load_b128 v[86:89], v75 offset:1024
	;; [unrolled: 1-line block ×3, first 2 shown]
	v_cmp_eq_u32_e64 s10, 1, v69
	v_cmp_eq_u32_e64 s15, 2, v69
	;; [unrolled: 1-line block ×11, first 2 shown]
	s_waitcnt lgkmcnt(3)
	v_lshrrev_b32_e32 v94, 16, v78
	s_waitcnt lgkmcnt(2)
	v_lshrrev_b32_e32 v98, 16, v82
	;; [unrolled: 2-line block ×4, first 2 shown]
	v_lshrrev_b32_e32 v95, 16, v79
	v_cndmask_b32_e64 v110, v78, v94, s4
	v_cndmask_b32_e64 v111, v82, v98, s4
	v_cndmask_b32_e64 v112, v78, v94, s9
	v_cndmask_b32_e64 v113, v82, v98, s9
	v_cndmask_b32_e64 v114, v78, v94, s10
	v_cndmask_b32_e64 v115, v82, v98, s10
	v_cndmask_b32_e64 v78, v78, v94, s11
	v_cndmask_b32_e64 v82, v82, v98, s11
	v_lshrrev_b32_e32 v99, 16, v83
	v_cndmask_b32_e64 v94, v86, v102, s4
	v_cndmask_b32_e64 v98, v90, v106, s4
	;; [unrolled: 1-line block ×15, first 2 shown]
	v_lshrrev_b32_e32 v103, 16, v87
	v_lshrrev_b32_e32 v107, 16, v91
	v_cndmask_b32_e64 v113, v115, v83, s15
	v_cndmask_b32_e64 v82, v94, v87, s5
	;; [unrolled: 1-line block ×7, first 2 shown]
	v_cndmask_b32_e32 v90, v102, v95, vcc_lo
	v_cndmask_b32_e32 v102, v106, v99, vcc_lo
	v_cndmask_b32_e64 v106, v110, v95, s13
	v_cndmask_b32_e64 v110, v111, v99, s13
	;; [unrolled: 1-line block ×4, first 2 shown]
	v_lshrrev_b32_e32 v96, 16, v80
	v_lshrrev_b32_e32 v100, 16, v84
	v_cndmask_b32_e64 v111, v112, v95, s17
	v_cndmask_b32_e64 v112, v113, v99, s17
	v_cndmask_b32_e32 v82, v82, v103, vcc_lo
	v_cndmask_b32_e32 v83, v83, v107, vcc_lo
	v_cndmask_b32_e64 v94, v94, v103, s13
	v_cndmask_b32_e64 v90, v90, v80, s3
	v_cndmask_b32_e64 v95, v102, v84, s3
	v_cndmask_b32_e64 v99, v106, v80, s19
	v_cndmask_b32_e64 v102, v110, v84, s19
	v_cndmask_b32_e64 v78, v78, v80, s22
	v_cndmask_b32_e64 v79, v79, v84, s22
	v_lshrrev_b32_e32 v104, 16, v88
	v_cndmask_b32_e64 v106, v111, v80, s21
	v_cndmask_b32_e64 v110, v112, v84, s21
	;; [unrolled: 1-line block ×11, first 2 shown]
	v_lshrrev_b32_e32 v97, 16, v81
	v_lshrrev_b32_e32 v101, 16, v85
	v_cndmask_b32_e64 v99, v106, v96, s23
	v_cndmask_b32_e64 v102, v110, v100, s23
	;; [unrolled: 1-line block ×7, first 2 shown]
	v_lshrrev_b32_e32 v105, 16, v89
	v_cndmask_b32_e64 v80, v80, v104, s6
	v_cndmask_b32_e64 v84, v84, v81, s7
	;; [unrolled: 1-line block ×16, first 2 shown]
	v_perm_b32 v81, v79, v78, 0x5040100
	v_perm_b32 v79, v95, v85, 0x5040100
	v_cndmask_b32_e64 v78, v119, v91, s15
	v_cndmask_b32_e64 v85, v117, v91, s12
	;; [unrolled: 1-line block ×3, first 2 shown]
	v_perm_b32 v80, v94, v90, 0x5040100
	v_cndmask_b32_e64 v90, v98, v103, s17
	v_cndmask_b32_e64 v86, v86, v103, s18
	;; [unrolled: 1-line block ×5, first 2 shown]
	v_lshrrev_b32_e32 v108, 16, v92
	v_cndmask_b32_e64 v90, v90, v88, s21
	v_cndmask_b32_e64 v86, v86, v88, s22
	;; [unrolled: 1-line block ×11, first 2 shown]
	v_lshrrev_b32_e32 v109, 16, v93
	v_cndmask_b32_e64 v82, v82, v93, s7
	v_cndmask_b32_e64 v88, v88, v89, s26
	;; [unrolled: 1-line block ×12, first 2 shown]
	v_perm_b32 v78, v84, v83, 0x5040100
	v_perm_b32 v85, v87, v86, 0x5040100
	;; [unrolled: 1-line block ×5, first 2 shown]
	s_mul_i32 s8, s33, 6
	s_mov_b32 s3, exec_lo
	ds_store_b128 v74, v[78:81]
	ds_store_b128 v74, v[82:85] offset:1024
	v_cmpx_gt_u32_e32 6, v0
	s_cbranch_execz .LBB875_14
; %bb.13:
	s_mul_i32 s4, s8, s34
	s_delay_alu instid0(SALU_CYCLE_1) | instskip(SKIP_1) | instid1(VALU_DEP_1)
	v_add3_u32 v68, s4, s31, v68
	s_load_b128 s[4:7], s[0:1], 0x58
	v_mad_u64_u32 v[78:79], null, v68, s35, s[14:15]
	s_delay_alu instid0(VALU_DEP_1) | instskip(NEXT) | instid1(VALU_DEP_1)
	v_ashrrev_i32_e32 v79, 31, v78
	v_lshlrev_b64 v[78:79], 2, v[78:79]
	s_waitcnt lgkmcnt(0)
	s_delay_alu instid0(VALU_DEP_1) | instskip(NEXT) | instid1(VALU_DEP_2)
	v_add_co_u32 v80, vcc_lo, s6, v78
	v_add_co_ci_u32_e32 v81, vcc_lo, s7, v79, vcc_lo
	v_add_co_u32 v78, vcc_lo, s4, v78
	v_add_co_ci_u32_e32 v79, vcc_lo, s5, v79, vcc_lo
	global_store_b32 v[80:81], v76, off
	global_store_b32 v[78:79], v77, off
.LBB875_14:
	s_or_b32 exec_lo, exec_lo, s3
	s_waitcnt lgkmcnt(0)
	s_waitcnt_vscnt null, 0x0
	s_barrier
	buffer_gl0_inv
	ds_load_b128 v[84:87], v73
	ds_load_b128 v[88:91], v73 offset:16
	ds_load_b128 v[96:99], v73 offset:2064
	;; [unrolled: 1-line block ×5, first 2 shown]
	v_cmp_eq_u32_e32 vcc_lo, 1, v70
	v_mov_b32_e32 v76, 0
	ds_load_b128 v[112:115], v73 offset:6160
	ds_load_b128 v[108:111], v73 offset:6144
	;; [unrolled: 1-line block ×4, first 2 shown]
	v_cmp_eq_u32_e64 s4, 1, v69
	v_cmp_eq_u32_e64 s3, 1, v72
	;; [unrolled: 1-line block ×3, first 2 shown]
	v_mov_b32_e32 v77, v76
	v_mov_b32_e32 v78, v76
	;; [unrolled: 1-line block ×7, first 2 shown]
	v_cmp_eq_u32_e64 s6, 3, v72
	v_cmp_eq_u32_e64 s7, 7, v72
	s_waitcnt lgkmcnt(8)
	s_delay_alu instid0(VALU_DEP_3)
	v_wmma_f32_16x16x16_f16 v[76:83], v[49:56], v[84:91], v[76:83]
	ds_load_b128 v[53:56], v73 offset:10256
	ds_load_b128 v[49:52], v73 offset:10240
	s_waitcnt lgkmcnt(8)
	v_wmma_f32_16x16x16_f16 v[76:83], v[41:48], v[92:99], v[76:83]
	ds_load_b128 v[45:48], v73 offset:12304
	ds_load_b128 v[41:44], v73 offset:12288
	s_waitcnt lgkmcnt(8)
	v_wmma_f32_16x16x16_f16 v[76:83], v[33:40], v[100:107], v[76:83]
	ds_load_b128 v[37:40], v73 offset:14352
	ds_load_b128 v[33:36], v73 offset:14336
	s_waitcnt lgkmcnt(0)
	s_barrier
	buffer_gl0_inv
	v_wmma_f32_16x16x16_f16 v[76:83], v[1:8], v[108:115], v[76:83]
	s_delay_alu instid0(VALU_DEP_1) | instskip(NEXT) | instid1(VALU_DEP_1)
	v_wmma_f32_16x16x16_f16 v[76:83], v[9:16], v[116:123], v[76:83]
	v_wmma_f32_16x16x16_f16 v[76:83], v[17:24], v[49:56], v[76:83]
	s_delay_alu instid0(VALU_DEP_1) | instskip(NEXT) | instid1(VALU_DEP_1)
	v_wmma_f32_16x16x16_f16 v[76:83], v[25:32], v[41:48], v[76:83]
	v_wmma_f32_16x16x16_f16 v[76:83], v[57:64], v[33:40], v[76:83]
	s_delay_alu instid0(VALU_DEP_1) | instskip(NEXT) | instid1(VALU_DEP_2)
	v_cvt_f16_f32_e32 v1, v76
	v_cvt_f16_f32_e32 v2, v77
	s_delay_alu instid0(VALU_DEP_3) | instskip(NEXT) | instid1(VALU_DEP_4)
	v_cvt_f16_f32_e32 v3, v78
	v_cvt_f16_f32_e32 v4, v79
	v_cvt_f16_f32_e32 v5, v80
	v_cvt_f16_f32_e32 v6, v81
	v_cvt_f16_f32_e32 v7, v82
	v_cvt_f16_f32_e32 v8, v83
	v_pack_b32_f16 v1, v1, v2
	v_pack_b32_f16 v2, v3, v4
	;; [unrolled: 1-line block ×3, first 2 shown]
	s_delay_alu instid0(VALU_DEP_4)
	v_pack_b32_f16 v4, v7, v8
	ds_store_b128 v74, v[1:4]
	s_waitcnt lgkmcnt(0)
	s_barrier
	buffer_gl0_inv
	ds_load_b128 v[1:4], v75
	ds_load_b128 v[5:8], v75 offset:16
	s_waitcnt lgkmcnt(1)
	v_lshrrev_b32_e32 v9, 16, v1
	s_waitcnt lgkmcnt(0)
	v_lshrrev_b32_e32 v13, 16, v5
	v_lshrrev_b32_e32 v10, 16, v2
	v_lshrrev_b32_e32 v14, 16, v6
	v_lshrrev_b32_e32 v11, 16, v3
	v_cndmask_b32_e32 v17, v1, v9, vcc_lo
	v_cndmask_b32_e32 v18, v5, v13, vcc_lo
	v_cndmask_b32_e64 v21, v1, v9, s4
	v_cmp_eq_u32_e32 vcc_lo, 1, v71
	v_cndmask_b32_e64 v22, v5, v13, s4
	v_cmp_eq_u32_e64 s4, 2, v70
	v_cndmask_b32_e64 v19, v1, v9, s3
	v_cndmask_b32_e64 v20, v5, v13, s3
	v_cndmask_b32_e32 v1, v1, v9, vcc_lo
	v_cmp_eq_u32_e64 s3, 2, v71
	v_cndmask_b32_e32 v5, v5, v13, vcc_lo
	v_cndmask_b32_e64 v9, v17, v2, s4
	v_cmp_eq_u32_e32 vcc_lo, 3, v70
	v_cndmask_b32_e64 v13, v18, v6, s4
	v_cmp_eq_u32_e64 s4, 2, v69
	v_cndmask_b32_e64 v17, v19, v2, s5
	v_cndmask_b32_e64 v18, v20, v6, s5
	v_cmp_eq_u32_e64 s5, 3, v69
	v_cndmask_b32_e64 v1, v1, v2, s3
	v_cndmask_b32_e64 v19, v21, v2, s4
	;; [unrolled: 1-line block ×4, first 2 shown]
	v_cndmask_b32_e32 v5, v9, v10, vcc_lo
	v_cndmask_b32_e32 v6, v13, v14, vcc_lo
	v_cmp_eq_u32_e32 vcc_lo, 3, v71
	v_cndmask_b32_e64 v9, v17, v10, s6
	v_cndmask_b32_e64 v13, v18, v14, s6
	;; [unrolled: 1-line block ×3, first 2 shown]
	v_cmp_eq_u32_e64 s4, 4, v70
	v_cndmask_b32_e32 v1, v1, v10, vcc_lo
	v_cndmask_b32_e32 v2, v2, v14, vcc_lo
	v_cmp_eq_u32_e32 vcc_lo, 4, v72
	v_lshrrev_b32_e32 v15, 16, v7
	v_lshrrev_b32_e32 v16, 16, v8
	v_cndmask_b32_e64 v17, v19, v10, s5
	v_cmp_eq_u32_e64 s3, 4, v71
	v_cndmask_b32_e64 v5, v5, v3, s4
	v_cndmask_b32_e64 v6, v6, v7, s4
	v_cndmask_b32_e32 v9, v9, v3, vcc_lo
	v_cmp_eq_u32_e64 s4, 5, v72
	v_cndmask_b32_e32 v10, v13, v7, vcc_lo
	v_cmp_eq_u32_e32 vcc_lo, 4, v69
	v_cmp_eq_u32_e64 s5, 5, v70
	v_cndmask_b32_e64 v2, v2, v7, s3
	v_cndmask_b32_e64 v9, v9, v11, s4
	v_cndmask_b32_e64 v10, v10, v15, s4
	v_cndmask_b32_e32 v13, v17, v3, vcc_lo
	v_cmp_eq_u32_e64 s4, 5, v69
	v_cndmask_b32_e32 v14, v18, v7, vcc_lo
	v_cndmask_b32_e64 v1, v1, v3, s3
	v_cmp_eq_u32_e32 vcc_lo, 5, v71
	v_lshrrev_b32_e32 v12, 16, v4
	v_cndmask_b32_e64 v13, v13, v11, s4
	v_cndmask_b32_e64 v3, v14, v15, s4
	v_cmp_eq_u32_e64 s4, 6, v71
	v_cndmask_b32_e32 v1, v1, v11, vcc_lo
	v_cndmask_b32_e64 v5, v5, v11, s5
	v_cmp_eq_u32_e64 s6, 6, v70
	v_cndmask_b32_e64 v6, v6, v15, s5
	v_cmp_eq_u32_e64 s5, 6, v72
	v_cmp_eq_u32_e64 s3, 6, v69
	v_cndmask_b32_e64 v1, v1, v4, s4
	v_cndmask_b32_e32 v2, v2, v15, vcc_lo
	v_cmp_eq_u32_e32 vcc_lo, 7, v71
	v_cndmask_b32_e64 v5, v5, v4, s6
	v_cndmask_b32_e64 v9, v9, v4, s5
	;; [unrolled: 1-line block ×3, first 2 shown]
	v_cmp_eq_u32_e64 s6, 7, v70
	v_cndmask_b32_e32 v1, v1, v12, vcc_lo
	v_cndmask_b32_e64 v7, v13, v4, s3
	v_cndmask_b32_e64 v3, v3, v8, s3
	;; [unrolled: 1-line block ×3, first 2 shown]
	v_cmp_eq_u32_e64 s3, 7, v69
	v_cndmask_b32_e64 v4, v10, v8, s5
	v_cndmask_b32_e64 v5, v5, v12, s6
	;; [unrolled: 1-line block ×3, first 2 shown]
	v_cndmask_b32_e32 v2, v2, v16, vcc_lo
	v_cndmask_b32_e64 v7, v7, v12, s3
	v_cndmask_b32_e64 v3, v3, v16, s3
	v_cndmask_b32_e64 v8, v4, v16, s7
	v_cndmask_b32_e64 v6, v6, v16, s6
	v_cmp_gt_u32_e32 vcc_lo, 32, v0
	v_perm_b32 v4, v2, v1, 0x5040100
	v_perm_b32 v3, v3, v7, 0x5040100
	;; [unrolled: 1-line block ×4, first 2 shown]
	s_and_b32 s2, vcc_lo, s2
	ds_store_b128 v74, v[1:4]
	s_waitcnt lgkmcnt(0)
	s_barrier
	buffer_gl0_inv
	s_and_saveexec_b32 s3, s2
	s_cbranch_execz .LBB875_2
; %bb.15:
	s_load_b64 s[0:1], s[0:1], 0x68
	s_lshl_b32 s4, s35, 6
	v_or_b32_e32 v3, s31, v66
	s_mul_i32 s2, s4, s34
	v_lshlrev_b32_e32 v0, 10, v0
	s_mul_i32 s2, s2, s8
	v_lshlrev_b32_e32 v1, 4, v67
	s_ashr_i32 s3, s2, 31
	v_mul_lo_u32 v12, v3, s4
	s_lshl_b64 s[2:3], s[2:3], 1
	v_lshlrev_b32_e32 v2, 6, v66
	v_and_b32_e32 v0, 0x3800, v0
	s_delay_alu instid0(VALU_DEP_1) | instskip(NEXT) | instid1(VALU_DEP_4)
	v_or3_b32 v8, v0, v1, v2
	v_ashrrev_i32_e32 v13, 31, v12
	ds_load_b128 v[0:3], v8
	ds_load_b128 v[4:7], v8 offset:128
	ds_load_b128 v[8:11], v8 offset:256
	s_waitcnt lgkmcnt(0)
	s_add_u32 s2, s0, s2
	s_addc_u32 s3, s1, s3
	s_lshl_b32 s0, s14, 6
	s_delay_alu instid0(SALU_CYCLE_1) | instskip(NEXT) | instid1(SALU_CYCLE_1)
	s_ashr_i32 s1, s0, 31
	s_lshl_b64 s[0:1], s[0:1], 1
	s_delay_alu instid0(SALU_CYCLE_1)
	s_add_u32 s0, s2, s0
	s_addc_u32 s1, s3, s1
	s_lshl_b32 s2, s35, 7
	v_add_co_u32 v18, s0, s0, v65
	v_add_nc_u32_e32 v14, s2, v12
	v_lshlrev_b64 v[12:13], 1, v[12:13]
	v_add_co_ci_u32_e64 v19, null, s1, 0, s0
	s_delay_alu instid0(VALU_DEP_3) | instskip(SKIP_1) | instid1(VALU_DEP_4)
	v_add_nc_u32_e32 v16, s2, v14
	v_ashrrev_i32_e32 v15, 31, v14
	v_add_co_u32 v12, vcc_lo, v18, v12
	s_delay_alu instid0(VALU_DEP_4) | instskip(NEXT) | instid1(VALU_DEP_4)
	v_add_co_ci_u32_e32 v13, vcc_lo, v19, v13, vcc_lo
	v_ashrrev_i32_e32 v17, 31, v16
	s_delay_alu instid0(VALU_DEP_4) | instskip(NEXT) | instid1(VALU_DEP_2)
	v_lshlrev_b64 v[14:15], 1, v[14:15]
	v_lshlrev_b64 v[16:17], 1, v[16:17]
	s_delay_alu instid0(VALU_DEP_2) | instskip(NEXT) | instid1(VALU_DEP_3)
	v_add_co_u32 v14, vcc_lo, v18, v14
	v_add_co_ci_u32_e32 v15, vcc_lo, v19, v15, vcc_lo
	s_delay_alu instid0(VALU_DEP_3) | instskip(NEXT) | instid1(VALU_DEP_4)
	v_add_co_u32 v16, vcc_lo, v18, v16
	v_add_co_ci_u32_e32 v17, vcc_lo, v19, v17, vcc_lo
	s_clause 0x2
	global_store_b128 v[12:13], v[0:3], off
	global_store_b128 v[14:15], v[4:7], off
	;; [unrolled: 1-line block ×3, first 2 shown]
	s_nop 0
	s_sendmsg sendmsg(MSG_DEALLOC_VGPRS)
	s_endpgm
	.section	.rodata,"a",@progbits
	.p2align	6, 0x0
	.amdhsa_kernel _Z39paged_attention_ll4mi_QKV_mfma16_kernelIDF16_hLN4vllm18Fp8KVCacheDataTypeE1EhLi32ELi64ELi256ELb0ELi6EL8MFMAType1EEvPKT_PKT0_S8_ifPKiSA_SA_iPKfiiiPfSD_PS3_PT2_iSC_SC_
		.amdhsa_group_segment_fixed_size 17472
		.amdhsa_private_segment_fixed_size 0
		.amdhsa_kernarg_size 400
		.amdhsa_user_sgpr_count 13
		.amdhsa_user_sgpr_dispatch_ptr 0
		.amdhsa_user_sgpr_queue_ptr 0
		.amdhsa_user_sgpr_kernarg_segment_ptr 1
		.amdhsa_user_sgpr_dispatch_id 0
		.amdhsa_user_sgpr_private_segment_size 0
		.amdhsa_wavefront_size32 1
		.amdhsa_uses_dynamic_stack 0
		.amdhsa_enable_private_segment 0
		.amdhsa_system_sgpr_workgroup_id_x 1
		.amdhsa_system_sgpr_workgroup_id_y 1
		.amdhsa_system_sgpr_workgroup_id_z 1
		.amdhsa_system_sgpr_workgroup_info 0
		.amdhsa_system_vgpr_workitem_id 0
		.amdhsa_next_free_vgpr 146
		.amdhsa_next_free_sgpr 38
		.amdhsa_reserve_vcc 1
		.amdhsa_float_round_mode_32 0
		.amdhsa_float_round_mode_16_64 0
		.amdhsa_float_denorm_mode_32 3
		.amdhsa_float_denorm_mode_16_64 3
		.amdhsa_dx10_clamp 1
		.amdhsa_ieee_mode 1
		.amdhsa_fp16_overflow 0
		.amdhsa_workgroup_processor_mode 1
		.amdhsa_memory_ordered 1
		.amdhsa_forward_progress 0
		.amdhsa_shared_vgpr_count 0
		.amdhsa_exception_fp_ieee_invalid_op 0
		.amdhsa_exception_fp_denorm_src 0
		.amdhsa_exception_fp_ieee_div_zero 0
		.amdhsa_exception_fp_ieee_overflow 0
		.amdhsa_exception_fp_ieee_underflow 0
		.amdhsa_exception_fp_ieee_inexact 0
		.amdhsa_exception_int_div_zero 0
	.end_amdhsa_kernel
	.section	.text._Z39paged_attention_ll4mi_QKV_mfma16_kernelIDF16_hLN4vllm18Fp8KVCacheDataTypeE1EhLi32ELi64ELi256ELb0ELi6EL8MFMAType1EEvPKT_PKT0_S8_ifPKiSA_SA_iPKfiiiPfSD_PS3_PT2_iSC_SC_,"axG",@progbits,_Z39paged_attention_ll4mi_QKV_mfma16_kernelIDF16_hLN4vllm18Fp8KVCacheDataTypeE1EhLi32ELi64ELi256ELb0ELi6EL8MFMAType1EEvPKT_PKT0_S8_ifPKiSA_SA_iPKfiiiPfSD_PS3_PT2_iSC_SC_,comdat
.Lfunc_end875:
	.size	_Z39paged_attention_ll4mi_QKV_mfma16_kernelIDF16_hLN4vllm18Fp8KVCacheDataTypeE1EhLi32ELi64ELi256ELb0ELi6EL8MFMAType1EEvPKT_PKT0_S8_ifPKiSA_SA_iPKfiiiPfSD_PS3_PT2_iSC_SC_, .Lfunc_end875-_Z39paged_attention_ll4mi_QKV_mfma16_kernelIDF16_hLN4vllm18Fp8KVCacheDataTypeE1EhLi32ELi64ELi256ELb0ELi6EL8MFMAType1EEvPKT_PKT0_S8_ifPKiSA_SA_iPKfiiiPfSD_PS3_PT2_iSC_SC_
                                        ; -- End function
	.section	.AMDGPU.csdata,"",@progbits
; Kernel info:
; codeLenInByte = 6452
; NumSgprs: 40
; NumVgprs: 146
; ScratchSize: 0
; MemoryBound: 0
; FloatMode: 240
; IeeeMode: 1
; LDSByteSize: 17472 bytes/workgroup (compile time only)
; SGPRBlocks: 4
; VGPRBlocks: 18
; NumSGPRsForWavesPerEU: 40
; NumVGPRsForWavesPerEU: 146
; Occupancy: 9
; WaveLimiterHint : 1
; COMPUTE_PGM_RSRC2:SCRATCH_EN: 0
; COMPUTE_PGM_RSRC2:USER_SGPR: 13
; COMPUTE_PGM_RSRC2:TRAP_HANDLER: 0
; COMPUTE_PGM_RSRC2:TGID_X_EN: 1
; COMPUTE_PGM_RSRC2:TGID_Y_EN: 1
; COMPUTE_PGM_RSRC2:TGID_Z_EN: 1
; COMPUTE_PGM_RSRC2:TIDIG_COMP_CNT: 0
	.section	.text._Z39paged_attention_ll4mi_QKV_mfma16_kernelIDF16_hLN4vllm18Fp8KVCacheDataTypeE1EhLi32ELi64ELi256ELb0ELi7EL8MFMAType1EEvPKT_PKT0_S8_ifPKiSA_SA_iPKfiiiPfSD_PS3_PT2_iSC_SC_,"axG",@progbits,_Z39paged_attention_ll4mi_QKV_mfma16_kernelIDF16_hLN4vllm18Fp8KVCacheDataTypeE1EhLi32ELi64ELi256ELb0ELi7EL8MFMAType1EEvPKT_PKT0_S8_ifPKiSA_SA_iPKfiiiPfSD_PS3_PT2_iSC_SC_,comdat
	.protected	_Z39paged_attention_ll4mi_QKV_mfma16_kernelIDF16_hLN4vllm18Fp8KVCacheDataTypeE1EhLi32ELi64ELi256ELb0ELi7EL8MFMAType1EEvPKT_PKT0_S8_ifPKiSA_SA_iPKfiiiPfSD_PS3_PT2_iSC_SC_ ; -- Begin function _Z39paged_attention_ll4mi_QKV_mfma16_kernelIDF16_hLN4vllm18Fp8KVCacheDataTypeE1EhLi32ELi64ELi256ELb0ELi7EL8MFMAType1EEvPKT_PKT0_S8_ifPKiSA_SA_iPKfiiiPfSD_PS3_PT2_iSC_SC_
	.globl	_Z39paged_attention_ll4mi_QKV_mfma16_kernelIDF16_hLN4vllm18Fp8KVCacheDataTypeE1EhLi32ELi64ELi256ELb0ELi7EL8MFMAType1EEvPKT_PKT0_S8_ifPKiSA_SA_iPKfiiiPfSD_PS3_PT2_iSC_SC_
	.p2align	8
	.type	_Z39paged_attention_ll4mi_QKV_mfma16_kernelIDF16_hLN4vllm18Fp8KVCacheDataTypeE1EhLi32ELi64ELi256ELb0ELi7EL8MFMAType1EEvPKT_PKT0_S8_ifPKiSA_SA_iPKfiiiPfSD_PS3_PT2_iSC_SC_,@function
_Z39paged_attention_ll4mi_QKV_mfma16_kernelIDF16_hLN4vllm18Fp8KVCacheDataTypeE1EhLi32ELi64ELi256ELb0ELi7EL8MFMAType1EEvPKT_PKT0_S8_ifPKiSA_SA_iPKfiiiPfSD_PS3_PT2_iSC_SC_: ; @_Z39paged_attention_ll4mi_QKV_mfma16_kernelIDF16_hLN4vllm18Fp8KVCacheDataTypeE1EhLi32ELi64ELi256ELb0ELi7EL8MFMAType1EEvPKT_PKT0_S8_ifPKiSA_SA_iPKfiiiPfSD_PS3_PT2_iSC_SC_
; %bb.0:
	s_load_b64 s[2:3], s[0:1], 0x30
	s_mov_b32 s34, s13
	s_waitcnt lgkmcnt(0)
	s_cmp_lg_u64 s[2:3], 0
	s_cselect_b32 s6, -1, 0
	s_ashr_i32 s35, s13, 31
	s_cmp_eq_u64 s[2:3], 0
	s_cbranch_scc1 .LBB876_3
; %bb.1:
	s_lshl_b64 s[4:5], s[34:35], 2
	s_delay_alu instid0(SALU_CYCLE_1) | instskip(SKIP_4) | instid1(SALU_CYCLE_1)
	s_add_u32 s4, s2, s4
	s_addc_u32 s5, s3, s5
	s_load_b64 s[4:5], s[4:5], 0x0
	s_waitcnt lgkmcnt(0)
	s_sub_i32 s4, s5, s4
	s_cmp_eq_u32 s4, 1
	s_cselect_b32 s4, -1, 0
	s_delay_alu instid0(SALU_CYCLE_1)
	s_and_not1_b32 vcc_lo, exec_lo, s4
	s_cbranch_vccz .LBB876_4
.LBB876_2:
	s_nop 0
	s_sendmsg sendmsg(MSG_DEALLOC_VGPRS)
	s_endpgm
.LBB876_3:
.LBB876_4:
	s_load_b64 s[8:9], s[0:1], 0x28
	s_lshl_b64 s[4:5], s[34:35], 2
	s_waitcnt lgkmcnt(0)
	s_add_u32 s8, s8, s4
	s_addc_u32 s9, s9, s5
	s_lshl_b32 s16, s14, 8
	s_load_b32 s18, s[8:9], 0x0
	s_waitcnt lgkmcnt(0)
	s_cmp_ge_i32 s16, s18
	s_cbranch_scc1 .LBB876_2
; %bb.5:
	s_clause 0x1
	s_load_b128 s[8:11], s[0:1], 0x8
	s_load_b64 s[12:13], s[0:1], 0x20
	s_and_not1_b32 vcc_lo, exec_lo, s6
	s_cbranch_vccnz .LBB876_7
; %bb.6:
	s_add_u32 s2, s2, s4
	s_addc_u32 s3, s3, s5
	s_load_b32 s3, s[2:3], 0x0
	s_branch .LBB876_8
.LBB876_7:
	s_mov_b32 s3, s34
.LBB876_8:
	s_load_b128 s[4:7], s[0:1], 0x48
	v_lshrrev_b32_e32 v69, 5, v0
	v_bfe_u32 v66, v0, 4, 1
	v_and_b32_e32 v68, 15, v0
	v_and_b32_e32 v70, 31, v0
	;; [unrolled: 1-line block ×3, first 2 shown]
	s_mul_i32 s33, s15, 7
	v_lshl_or_b32 v1, v69, 1, v66
	v_lshlrev_b32_e32 v2, 3, v68
	v_cmp_gt_u32_e64 s2, 8, v68
	s_delay_alu instid0(VALU_DEP_3) | instskip(NEXT) | instid1(VALU_DEP_3)
	v_cmp_gt_u32_e32 vcc_lo, 7, v1
	v_lshlrev_b32_e32 v65, 1, v2
	s_delay_alu instid0(VALU_DEP_3)
	s_and_b32 s17, s2, vcc_lo
	s_waitcnt lgkmcnt(0)
	s_and_saveexec_b32 s7, s17
	s_cbranch_execz .LBB876_10
; %bb.9:
	s_load_b64 s[20:21], s[0:1], 0x0
	v_add_lshl_u32 v2, v1, s33, 6
	s_mul_hi_i32 s23, s3, s4
	s_mul_i32 s22, s3, s4
	v_lshlrev_b32_e32 v6, 10, v68
	s_lshl_b64 s[22:23], s[22:23], 1
	v_ashrrev_i32_e32 v3, 31, v2
	v_lshlrev_b32_e32 v1, 6, v1
	v_lshlrev_b32_e32 v7, 10, v67
	v_and_b32_e32 v6, 0x3800, v6
	s_delay_alu instid0(VALU_DEP_4) | instskip(NEXT) | instid1(VALU_DEP_2)
	v_lshlrev_b64 v[2:3], 1, v[2:3]
	v_or3_b32 v1, v6, v7, v1
	s_waitcnt lgkmcnt(0)
	s_add_u32 s3, s20, s22
	s_addc_u32 s4, s21, s23
	s_delay_alu instid0(VALU_DEP_2) | instskip(SKIP_1) | instid1(VALU_DEP_2)
	v_add_co_u32 v2, vcc_lo, s3, v2
	v_add_co_ci_u32_e32 v3, vcc_lo, s4, v3, vcc_lo
	v_add_co_u32 v2, vcc_lo, v2, v65
	s_delay_alu instid0(VALU_DEP_2)
	v_add_co_ci_u32_e32 v3, vcc_lo, 0, v3, vcc_lo
	global_load_b128 v[2:5], v[2:3], off
	s_waitcnt vmcnt(0)
	ds_store_b128 v1, v[2:5]
.LBB876_10:
	s_or_b32 exec_lo, exec_lo, s7
	v_and_b32_e32 v1, 0xef, v0
	s_add_i32 s3, s18, 31
	s_clause 0x1
	s_load_b32 s4, s[0:1], 0x38
	s_load_b32 s35, s[0:1], 0x98
	s_ashr_i32 s7, s3, 31
	v_add_nc_u32_e32 v1, s16, v1
	s_lshr_b32 s7, s7, 27
	s_load_b32 s19, s[0:1], 0x1c
	s_add_i32 s3, s3, s7
	s_waitcnt lgkmcnt(0)
	v_ashrrev_i32_e32 v2, 31, v1
	v_or_b32_e32 v3, 16, v1
	s_ashr_i32 s3, s3, 5
	v_cmp_gt_i32_e32 vcc_lo, s18, v1
	s_add_i32 s3, s3, -1
	v_lshrrev_b32_e32 v2, 27, v2
	s_barrier
	buffer_gl0_inv
	s_mul_i32 s15, s15, s6
	v_mul_lo_u16 v103, v68, 37
	v_add_nc_u32_e32 v4, v1, v2
	v_mbcnt_lo_u32_b32 v127, -1, 0
	s_mul_i32 s20, s34, s4
	s_delay_alu instid0(SALU_CYCLE_1) | instskip(NEXT) | instid1(VALU_DEP_2)
	s_ashr_i32 s21, s20, 31
	v_ashrrev_i32_e32 v4, 5, v4
	v_add_nc_u32_e32 v2, v3, v2
	s_lshl_b64 s[20:21], s[20:21], 2
	v_lshrrev_b16 v103, 8, v103
	s_add_u32 s17, s12, s20
	v_cndmask_b32_e32 v1, s3, v4, vcc_lo
	v_ashrrev_i32_e32 v2, 5, v2
	v_cmp_gt_i32_e32 vcc_lo, s18, v3
	s_addc_u32 s13, s13, s21
	s_ashr_i32 s20, s15, 31
	s_add_u32 s22, s8, s15
	s_addc_u32 s23, s9, s20
	v_cndmask_b32_e32 v3, s3, v2, vcc_lo
	v_ashrrev_i32_e32 v2, 31, v1
	s_lshl_b32 s6, s14, 3
	v_mul_lo_u16 v103, v103, 7
	s_ashr_i32 s7, s6, 31
	v_ashrrev_i32_e32 v4, 31, v3
	v_lshlrev_b64 v[1:2], 2, v[1:2]
	s_lshl_b64 s[6:7], s[6:7], 2
	v_sub_nc_u16 v103, v68, v103
	s_add_u32 s6, s17, s6
	v_lshlrev_b64 v[3:4], 2, v[3:4]
	s_addc_u32 s7, s13, s7
	v_add_co_u32 v1, vcc_lo, s17, v1
	v_add_co_ci_u32_e32 v2, vcc_lo, s13, v2, vcc_lo
	s_delay_alu instid0(VALU_DEP_3) | instskip(NEXT) | instid1(VALU_DEP_4)
	v_add_co_u32 v3, vcc_lo, s17, v3
	v_add_co_ci_u32_e32 v4, vcc_lo, s13, v4, vcc_lo
	s_clause 0x1
	global_load_b32 v5, v[1:2], off
	global_load_b32 v6, v[3:4], off
	s_or_b32 s4, s16, 32
	v_xor_b32_e32 v128, 16, v127
	s_ashr_i32 s8, s4, 5
	s_cmp_lt_i32 s4, s18
	s_cselect_b32 s8, s8, s3
	s_delay_alu instid0(SALU_CYCLE_1) | instskip(NEXT) | instid1(SALU_CYCLE_1)
	s_ashr_i32 s9, s8, 31
	s_lshl_b64 s[8:9], s[8:9], 2
	s_delay_alu instid0(SALU_CYCLE_1) | instskip(SKIP_2) | instid1(SALU_CYCLE_1)
	s_add_u32 s8, s17, s8
	s_addc_u32 s9, s13, s9
	s_or_b32 s4, s16, 64
	s_ashr_i32 s12, s4, 5
	s_cmp_lt_i32 s4, s18
	s_cselect_b32 s24, s12, s3
	s_delay_alu instid0(SALU_CYCLE_1) | instskip(NEXT) | instid1(SALU_CYCLE_1)
	s_ashr_i32 s25, s24, 31
	s_lshl_b64 s[24:25], s[24:25], 2
	s_delay_alu instid0(SALU_CYCLE_1) | instskip(SKIP_2) | instid1(SALU_CYCLE_1)
	s_add_u32 s24, s17, s24
	s_addc_u32 s25, s13, s25
	s_or_b32 s4, s16, 0x60
	;; [unrolled: 10-line block ×4, first 2 shown]
	s_ashr_i32 s12, s4, 5
	s_cmp_lt_i32 s4, s18
	s_cselect_b32 s30, s12, s3
	s_delay_alu instid0(SALU_CYCLE_1) | instskip(NEXT) | instid1(SALU_CYCLE_1)
	s_ashr_i32 s31, s30, 31
	s_lshl_b64 s[30:31], s[30:31], 2
	s_delay_alu instid0(SALU_CYCLE_1)
	s_add_u32 s30, s17, s30
	s_addc_u32 s31, s13, s31
	s_clause 0x5
	s_load_b32 s12, s[6:7], 0x0
	s_load_b32 s4, s[8:9], 0x0
	s_load_b32 s6, s[24:25], 0x0
	s_load_b32 s7, s[26:27], 0x0
	s_load_b32 s8, s[28:29], 0x0
	s_load_b32 s9, s[30:31], 0x0
	s_or_b32 s21, s16, 0xc0
	s_waitcnt vmcnt(1)
	v_mad_i64_i32 v[1:2], null, v5, s5, s[22:23]
	v_lshlrev_b32_e32 v5, 4, v68
	s_waitcnt vmcnt(0)
	v_mad_i64_i32 v[3:4], null, v6, s5, s[22:23]
	s_ashr_i32 s22, s21, 5
	s_cmp_lt_i32 s21, s18
	s_delay_alu instid0(VALU_DEP_3) | instskip(NEXT) | instid1(VALU_DEP_4)
	v_add_co_u32 v1, vcc_lo, v1, v5
	v_add_co_ci_u32_e32 v2, vcc_lo, 0, v2, vcc_lo
	s_delay_alu instid0(VALU_DEP_3) | instskip(NEXT) | instid1(VALU_DEP_4)
	v_add_co_u32 v3, vcc_lo, v3, v5
	v_add_co_ci_u32_e32 v4, vcc_lo, 0, v4, vcc_lo
	s_clause 0x7
	global_load_b128 v[71:74], v[1:2], off
	global_load_b128 v[75:78], v[1:2], off offset:512
	global_load_b128 v[79:82], v[3:4], off offset:256
	;; [unrolled: 1-line block ×7, first 2 shown]
	s_cselect_b32 s22, s22, s3
	v_lshlrev_b32_e32 v1, 5, v68
	s_ashr_i32 s23, s22, 31
	v_cmp_gt_i32_e32 vcc_lo, 32, v128
	s_lshl_b64 s[22:23], s[22:23], 2
	v_and_b32_e32 v103, 0xff, v103
	s_add_u32 s22, s17, s22
	s_addc_u32 s23, s13, s23
	v_cndmask_b32_e32 v136, v127, v128, vcc_lo
	s_or_b32 s21, s16, 0xe0
	v_lshl_or_b32 v1, v69, 9, v1
	s_ashr_i32 s24, s21, 5
	s_cmp_lt_i32 s21, s18
	v_lshlrev_b32_e32 v115, 6, v103
	s_cselect_b32 s24, s24, s3
	s_load_b32 s3, s[22:23], 0x0
	s_ashr_i32 s25, s24, 31
	s_delay_alu instid0(SALU_CYCLE_1) | instskip(NEXT) | instid1(SALU_CYCLE_1)
	s_lshl_b64 s[24:25], s[24:25], 2
	s_add_u32 s22, s17, s24
	s_addc_u32 s23, s13, s25
	s_add_u32 s10, s10, s15
	s_addc_u32 s11, s11, s20
	v_add_co_u32 v1, s10, s10, v1
	s_delay_alu instid0(VALU_DEP_1) | instskip(SKIP_2) | instid1(VALU_DEP_1)
	v_add_co_ci_u32_e64 v2, null, s11, 0, s10
	s_load_b32 s10, s[22:23], 0x0
	s_waitcnt lgkmcnt(0)
	v_mad_i64_i32 v[3:4], null, s12, s5, v[1:2]
	v_mad_i64_i32 v[9:10], null, s7, s5, v[1:2]
	;; [unrolled: 1-line block ×7, first 2 shown]
	s_clause 0x5
	global_load_b128 v[49:52], v[3:4], off
	global_load_b128 v[53:56], v[3:4], off offset:16
	global_load_b128 v[41:44], v[5:6], off
	global_load_b128 v[45:48], v[5:6], off offset:16
	;; [unrolled: 2-line block ×3, first 2 shown]
	s_mov_b32 s4, 0
	v_mad_i64_i32 v[61:62], null, s10, s5, v[1:2]
	s_clause 0x9
	global_load_b128 v[1:4], v[9:10], off
	global_load_b128 v[5:8], v[9:10], off offset:16
	global_load_b128 v[9:12], v[13:14], off
	global_load_b128 v[13:16], v[13:14], off offset:16
	;; [unrolled: 2-line block ×5, first 2 shown]
	s_mov_b32 s5, s4
	s_mov_b32 s6, s4
	;; [unrolled: 1-line block ×7, first 2 shown]
	v_and_b32_e32 v104, 0xe0, v0
	v_dual_mov_b32 v126, s11 :: v_dual_mov_b32 v123, s8
	v_dual_mov_b32 v125, s10 :: v_dual_mov_b32 v124, s9
	s_delay_alu instid0(VALU_DEP_3)
	v_add_nc_u32_e32 v111, s16, v104
	ds_load_b128 v[103:106], v115
	ds_load_b128 v[107:110], v115 offset:1024
	v_dual_mov_b32 v122, s7 :: v_dual_mov_b32 v121, s6
	v_mov_b32_e32 v120, s5
	v_or_b32_e32 v135, v111, v66
	ds_load_b128 v[111:114], v115 offset:2048
	ds_load_b128 v[115:118], v115 offset:3072
	v_mov_b32_e32 v119, s4
	s_waitcnt vmcnt(0) lgkmcnt(0)
	s_barrier
	v_or_b32_e32 v137, 2, v135
	v_or_b32_e32 v138, 4, v135
	;; [unrolled: 1-line block ×3, first 2 shown]
	v_cmp_gt_i32_e32 vcc_lo, s18, v135
	v_or_b32_e32 v140, 8, v135
	v_cmp_gt_i32_e64 s3, s18, v137
	v_or_b32_e32 v141, 10, v135
	v_cmp_gt_i32_e64 s4, s18, v138
	v_cmp_gt_i32_e64 s5, s18, v139
	v_or_b32_e32 v142, 12, v135
	v_or_b32_e32 v143, 14, v135
	v_cmp_gt_i32_e64 s6, s18, v140
	v_cmp_gt_i32_e64 s7, s18, v141
	v_or_b32_e32 v144, 16, v135
	v_or_b32_e32 v145, 18, v135
	v_cmp_gt_i32_e64 s8, s18, v142
	v_cmp_gt_i32_e64 s9, s18, v143
	buffer_gl0_inv
	v_cmp_gt_i32_e64 s10, s18, v144
	v_cmp_gt_i32_e64 s11, s18, v145
	v_wmma_f32_16x16x16_f16 v[127:134], v[71:78], v[103:110], v[119:126]
	v_wmma_f32_16x16x16_f16 v[119:126], v[79:86], v[103:110], v[119:126]
	v_or_b32_e32 v71, 20, v135
	v_or_b32_e32 v72, 22, v135
	s_delay_alu instid0(VALU_DEP_4)
	v_wmma_f32_16x16x16_f16 v[127:134], v[87:94], v[111:118], v[127:134]
	v_or_b32_e32 v73, 24, v135
	v_wmma_f32_16x16x16_f16 v[119:126], v[95:102], v[111:118], v[119:126]
	v_or_b32_e32 v74, 26, v135
	v_cmp_gt_i32_e64 s12, s18, v71
	v_dual_mul_f32 v84, s19, v127 :: v_dual_mul_f32 v83, s19, v128
	s_delay_alu instid0(VALU_DEP_4) | instskip(SKIP_2) | instid1(VALU_DEP_4)
	v_dual_mul_f32 v92, s19, v119 :: v_dual_mul_f32 v81, s19, v130
	v_mul_f32_e32 v90, s19, v121
	v_mul_f32_e32 v82, s19, v129
	v_cndmask_b32_e32 v84, 0xff7fffff, v84, vcc_lo
	v_cndmask_b32_e64 v83, 0xff7fffff, v83, s3
	v_dual_mul_f32 v79, s19, v132 :: v_dual_mul_f32 v88, s19, v123
	v_mul_f32_e32 v80, s19, v131
	v_cndmask_b32_e64 v82, 0xff7fffff, v82, s4
	v_cndmask_b32_e64 v81, 0xff7fffff, v81, s5
	v_max3_f32 v83, v84, 0xff7fffff, v83
	v_dual_mul_f32 v77, s19, v134 :: v_dual_mul_f32 v86, s19, v125
	v_mul_f32_e32 v78, s19, v133
	v_cndmask_b32_e64 v80, 0xff7fffff, v80, s6
	v_cndmask_b32_e64 v79, 0xff7fffff, v79, s7
	v_max3_f32 v81, v83, v82, v81
	v_mul_f32_e32 v91, s19, v120
	v_cndmask_b32_e64 v78, 0xff7fffff, v78, s8
	v_cndmask_b32_e64 v77, 0xff7fffff, v77, s9
	v_mul_f32_e32 v89, s19, v122
	v_max3_f32 v79, v81, v80, v79
	v_cndmask_b32_e64 v80, 0xff7fffff, v92, s10
	v_cndmask_b32_e64 v81, 0xff7fffff, v91, s11
	v_cmp_gt_i32_e64 s13, s18, v72
	v_or_b32_e32 v75, 28, v135
	v_max3_f32 v77, v79, v78, v77
	v_or_b32_e32 v76, 30, v135
	v_mul_f32_e32 v87, s19, v124
	v_cndmask_b32_e64 v71, 0xff7fffff, v90, s12
	v_cndmask_b32_e64 v72, 0xff7fffff, v89, s13
	v_max3_f32 v77, v77, v80, v81
	v_cmp_gt_i32_e64 s15, s18, v73
	v_cmp_gt_i32_e64 s16, s18, v74
	v_mul_f32_e32 v85, s19, v126
	v_cmp_gt_i32_e64 s17, s18, v75
	v_max3_f32 v71, v77, v71, v72
	v_cndmask_b32_e64 v73, 0xff7fffff, v88, s15
	v_cndmask_b32_e64 v74, 0xff7fffff, v87, s16
	v_cmp_gt_i32_e64 s18, s18, v76
	v_cndmask_b32_e64 v72, 0xff7fffff, v86, s17
	s_delay_alu instid0(VALU_DEP_3) | instskip(NEXT) | instid1(VALU_DEP_3)
	v_max3_f32 v71, v71, v73, v74
	v_cndmask_b32_e64 v75, 0xff7fffff, v85, s18
	v_lshlrev_b32_e32 v73, 2, v136
	s_delay_alu instid0(VALU_DEP_2) | instskip(SKIP_3) | instid1(VALU_DEP_1)
	v_max3_f32 v71, v71, v72, v75
	ds_bpermute_b32 v72, v73, v71
	s_waitcnt lgkmcnt(0)
	v_max_f32_e32 v72, v72, v72
	v_max_f32_e32 v71, v71, v72
	s_delay_alu instid0(VALU_DEP_1) | instskip(SKIP_2) | instid1(VALU_DEP_3)
	v_fma_f32 v72, s19, v127, -v71
	v_fma_f32 v74, s19, v128, -v71
	;; [unrolled: 1-line block ×3, first 2 shown]
	v_mul_f32_e32 v72, 0x3fb8aa3b, v72
	s_delay_alu instid0(VALU_DEP_2) | instskip(NEXT) | instid1(VALU_DEP_2)
	v_dual_mul_f32 v74, 0x3fb8aa3b, v74 :: v_dual_mul_f32 v75, 0x3fb8aa3b, v75
	v_exp_f32_e32 v72, v72
	s_delay_alu instid0(VALU_DEP_1) | instskip(NEXT) | instid1(VALU_DEP_1)
	v_exp_f32_e32 v74, v74
	v_exp_f32_e32 v75, v75
	s_delay_alu instid0(TRANS32_DEP_3)
	v_cndmask_b32_e32 v79, 0, v72, vcc_lo
	s_waitcnt_depctr 0xfff
	v_cndmask_b32_e64 v78, 0, v74, s3
	v_cndmask_b32_e64 v81, 0, v75, s4
	v_cmp_gt_u32_e64 s3, 16, v70
	v_add_f32_e32 v74, 0, v79
	s_delay_alu instid0(VALU_DEP_1) | instskip(NEXT) | instid1(VALU_DEP_1)
	v_add_f32_e32 v74, v74, v78
	v_add_f32_e32 v74, v74, v81
	v_fma_f32 v76, s19, v130, -v71
	v_fma_f32 v77, s19, v131, -v71
	;; [unrolled: 1-line block ×5, first 2 shown]
	s_delay_alu instid0(VALU_DEP_4) | instskip(NEXT) | instid1(VALU_DEP_4)
	v_dual_mul_f32 v76, 0x3fb8aa3b, v76 :: v_dual_mul_f32 v77, 0x3fb8aa3b, v77
	v_mul_f32_e32 v72, 0x3fb8aa3b, v72
	s_delay_alu instid0(VALU_DEP_4) | instskip(SKIP_1) | instid1(VALU_DEP_4)
	v_mul_f32_e32 v82, 0x3fb8aa3b, v80
	v_fma_f32 v86, s19, v122, -v71
	v_exp_f32_e32 v76, v76
	v_exp_f32_e32 v77, v77
	;; [unrolled: 1-line block ×4, first 2 shown]
	v_mul_f32_e32 v86, 0x3fb8aa3b, v86
	s_delay_alu instid0(VALU_DEP_1)
	v_exp_f32_e32 v88, v86
	v_cndmask_b32_e64 v80, 0, v76, s5
	v_mul_f32_e32 v75, 0x3fb8aa3b, v75
	v_fma_f32 v76, s19, v119, -v71
	v_cndmask_b32_e64 v83, 0, v77, s6
	v_fma_f32 v77, s19, v120, -v71
	v_add_f32_e32 v74, v74, v80
	v_exp_f32_e32 v75, v75
	v_mul_f32_e32 v76, 0x3fb8aa3b, v76
	v_cndmask_b32_e64 v82, 0, v72, s7
	s_delay_alu instid0(VALU_DEP_3) | instskip(SKIP_1) | instid1(VALU_DEP_4)
	v_dual_mul_f32 v77, 0x3fb8aa3b, v77 :: v_dual_add_f32 v72, v74, v83
	v_fma_f32 v74, s19, v121, -v71
	v_exp_f32_e32 v76, v76
	v_cndmask_b32_e64 v85, 0, v84, s8
	s_delay_alu instid0(VALU_DEP_3) | instskip(SKIP_1) | instid1(TRANS32_DEP_3)
	v_exp_f32_e32 v77, v77
	v_cndmask_b32_e64 v88, 0, v88, s13
	v_cndmask_b32_e64 v84, 0, v75, s9
	v_fma_f32 v75, s19, v123, -v71
	v_add_f32_e32 v72, v72, v82
	s_delay_alu instid0(VALU_DEP_2) | instskip(NEXT) | instid1(VALU_DEP_2)
	v_dual_mul_f32 v74, 0x3fb8aa3b, v74 :: v_dual_mul_f32 v75, 0x3fb8aa3b, v75
	v_add_f32_e32 v72, v72, v85
	s_delay_alu instid0(VALU_DEP_2)
	v_exp_f32_e32 v74, v74
	v_cndmask_b32_e64 v87, 0, v76, s10
	v_fma_f32 v76, s19, v124, -v71
	v_cndmask_b32_e64 v86, 0, v77, s11
	v_add_f32_e32 v72, v72, v84
	v_fma_f32 v77, s19, v125, -v71
	v_exp_f32_e32 v75, v75
	v_mul_f32_e32 v76, 0x3fb8aa3b, v76
	s_delay_alu instid0(VALU_DEP_3) | instskip(NEXT) | instid1(TRANS32_DEP_2)
	v_add_f32_e32 v72, v72, v87
	v_cndmask_b32_e64 v89, 0, v74, s12
	v_mul_f32_e32 v74, 0x3fb8aa3b, v77
	s_delay_alu instid0(VALU_DEP_4) | instskip(SKIP_2) | instid1(VALU_DEP_3)
	v_exp_f32_e32 v76, v76
	v_fma_f32 v77, s19, v126, -v71
	v_add_f32_e32 v72, v72, v86
	v_exp_f32_e32 v74, v74
	s_delay_alu instid0(TRANS32_DEP_3) | instskip(NEXT) | instid1(VALU_DEP_3)
	v_cndmask_b32_e64 v91, 0, v75, s15
	v_mul_f32_e32 v75, 0x3fb8aa3b, v77
	s_delay_alu instid0(VALU_DEP_3) | instskip(NEXT) | instid1(TRANS32_DEP_2)
	v_add_f32_e32 v72, v72, v89
	v_cndmask_b32_e64 v90, 0, v76, s16
	s_delay_alu instid0(VALU_DEP_3) | instskip(NEXT) | instid1(VALU_DEP_2)
	v_exp_f32_e32 v75, v75
	v_add_f32_e32 v72, v72, v88
	s_delay_alu instid0(TRANS32_DEP_2) | instskip(NEXT) | instid1(VALU_DEP_2)
	v_cndmask_b32_e64 v93, 0, v74, s17
	v_add_f32_e32 v72, v72, v91
	s_waitcnt_depctr 0xfff
	v_cndmask_b32_e64 v92, 0, v75, s18
	v_add_f32_e32 v72, v72, v90
	s_delay_alu instid0(VALU_DEP_1) | instskip(NEXT) | instid1(VALU_DEP_1)
	v_add_f32_e32 v72, v72, v93
	v_add_f32_e32 v72, v72, v92
	ds_bpermute_b32 v73, v73, v72
	s_and_saveexec_b32 s4, s3
	s_cbranch_execz .LBB876_12
; %bb.11:
	v_mul_u32_u24_e32 v70, 0x44, v69
	s_waitcnt lgkmcnt(0)
	v_add_f32_e32 v72, v72, v73
	s_delay_alu instid0(VALU_DEP_2) | instskip(NEXT) | instid1(VALU_DEP_1)
	v_lshl_add_u32 v70, v68, 2, v70
	v_add_nc_u32_e32 v70, 0x4000, v70
	ds_store_2addr_b32 v70, v71, v72 offset1:136
.LBB876_12:
	s_or_b32 exec_lo, exec_lo, s4
	v_lshlrev_b32_e32 v70, 2, v68
	s_load_b32 s36, s[0:1], 0x94
	s_waitcnt lgkmcnt(0)
	s_barrier
	buffer_gl0_inv
	v_add_nc_u32_e32 v98, 0x4000, v70
	v_cmp_eq_u32_e32 vcc_lo, 1, v69
	v_cmp_eq_u32_e64 s4, 2, v69
	v_cmp_eq_u32_e64 s5, 3, v69
	;; [unrolled: 1-line block ×3, first 2 shown]
	ds_load_2addr_b32 v[70:71], v98 offset1:17
	ds_load_2addr_b32 v[72:73], v98 offset0:34 offset1:51
	ds_load_2addr_b32 v[74:75], v98 offset0:68 offset1:85
	;; [unrolled: 1-line block ×3, first 2 shown]
	v_cmp_eq_u32_e64 s7, 5, v69
	v_cmp_eq_u32_e64 s8, 7, v69
	s_waitcnt lgkmcnt(3)
	v_max3_f32 v76, v70, 0xff7fffff, v71
	s_waitcnt lgkmcnt(2)
	s_delay_alu instid0(VALU_DEP_1) | instskip(SKIP_1) | instid1(VALU_DEP_1)
	v_max3_f32 v76, v76, v72, v73
	s_waitcnt lgkmcnt(1)
	v_max3_f32 v76, v76, v74, v75
	s_waitcnt lgkmcnt(0)
	s_delay_alu instid0(VALU_DEP_1) | instskip(NEXT) | instid1(VALU_DEP_1)
	v_max3_f32 v76, v76, v94, v95
	v_sub_f32_e32 v77, v71, v76
	ds_load_2addr_b32 v[96:97], v98 offset0:136 offset1:153
	v_sub_f32_e32 v74, v74, v76
	v_sub_f32_e32 v70, v70, v76
	;; [unrolled: 1-line block ×3, first 2 shown]
	v_dual_sub_f32 v72, v72, v76 :: v_dual_mul_f32 v77, 0x3fb8aa3b, v77
	s_delay_alu instid0(VALU_DEP_4) | instskip(NEXT) | instid1(VALU_DEP_4)
	v_mul_f32_e32 v103, 0x3fb8aa3b, v74
	v_mul_f32_e32 v99, 0x3fb8aa3b, v70
	ds_load_2addr_b32 v[70:71], v98 offset0:170 offset1:187
	v_dual_mul_f32 v101, 0x3fb8aa3b, v72 :: v_dual_mul_f32 v94, 0x3fb8aa3b, v94
	v_exp_f32_e32 v102, v77
	v_exp_f32_e32 v99, v99
	s_delay_alu instid0(VALU_DEP_1) | instskip(NEXT) | instid1(VALU_DEP_1)
	v_exp_f32_e32 v101, v101
	v_exp_f32_e32 v94, v94
	s_waitcnt lgkmcnt(1)
	s_delay_alu instid0(TRANS32_DEP_3)
	v_fma_f32 v77, v99, v96, 0
	v_sub_f32_e32 v100, v73, v76
	ds_load_2addr_b32 v[72:73], v98 offset0:204 offset1:221
	v_fmac_f32_e32 v77, v102, v97
	v_exp_f32_e32 v97, v103
	s_waitcnt lgkmcnt(1)
	s_delay_alu instid0(VALU_DEP_1)
	v_dual_fmac_f32 v77, v101, v70 :: v_dual_sub_f32 v96, v75, v76
	ds_load_2addr_b32 v[74:75], v98 offset0:238 offset1:255
	v_sub_f32_e32 v70, v95, v76
	s_waitcnt lgkmcnt(0)
	s_barrier
	v_mul_f32_e32 v96, 0x3fb8aa3b, v96
	buffer_gl0_inv
	v_exp_f32_e32 v95, v96
	v_mul_f32_e32 v100, 0x3fb8aa3b, v100
	s_delay_alu instid0(VALU_DEP_1) | instskip(SKIP_3) | instid1(VALU_DEP_2)
	v_exp_f32_e32 v100, v100
	s_waitcnt_depctr 0xfff
	v_dual_fmac_f32 v77, v100, v71 :: v_dual_mul_f32 v70, 0x3fb8aa3b, v70
	v_cndmask_b32_e32 v71, v99, v102, vcc_lo
	v_fmac_f32_e32 v77, v97, v72
	s_delay_alu instid0(VALU_DEP_3) | instskip(NEXT) | instid1(VALU_DEP_1)
	v_exp_f32_e32 v96, v70
	v_fmac_f32_e32 v77, v95, v73
	s_delay_alu instid0(VALU_DEP_1) | instskip(SKIP_2) | instid1(VALU_DEP_1)
	v_fmac_f32_e32 v77, v94, v74
	s_waitcnt_depctr 0xfff
	v_fmac_f32_e32 v77, v96, v75
	v_add_f32_e32 v74, 0x358637bd, v77
	s_delay_alu instid0(VALU_DEP_1) | instskip(SKIP_1) | instid1(VALU_DEP_2)
	v_div_scale_f32 v98, null, v74, v74, 1.0
	v_div_scale_f32 v99, vcc_lo, 1.0, v74, 1.0
	v_rcp_f32_e32 v103, v98
	s_waitcnt_depctr 0xfff
	v_fma_f32 v70, -v98, v103, 1.0
	s_delay_alu instid0(VALU_DEP_1) | instskip(SKIP_2) | instid1(VALU_DEP_2)
	v_fmac_f32_e32 v103, v70, v103
	v_cndmask_b32_e64 v70, v71, v101, s4
	v_cmp_eq_u32_e64 s4, 6, v69
	v_cndmask_b32_e64 v71, v70, v100, s5
	s_delay_alu instid0(VALU_DEP_4) | instskip(NEXT) | instid1(VALU_DEP_2)
	v_dual_mul_f32 v101, v99, v103 :: v_dual_lshlrev_b32 v70, 2, v66
	v_cndmask_b32_e64 v71, v71, v97, s6
	s_delay_alu instid0(VALU_DEP_2) | instskip(NEXT) | instid1(VALU_DEP_3)
	v_or_b32_e32 v72, 1, v70
	v_fma_f32 v100, -v98, v101, v99
	v_cmp_eq_u32_e64 s5, 1, v70
	v_cmp_eq_u32_e64 s6, 2, v70
	v_cndmask_b32_e64 v95, v71, v95, s7
	v_or_b32_e32 v71, 3, v70
	v_fmac_f32_e32 v101, v100, v103
	v_cmp_eq_u32_e64 s10, 1, v72
	v_cmp_eq_u32_e64 s13, 2, v72
	v_cndmask_b32_e64 v94, v95, v94, s4
	v_cmp_eq_u32_e64 s12, 1, v71
	v_fma_f32 v97, -v98, v101, v99
	v_cmp_eq_u32_e64 s17, 2, v71
	v_cmp_eq_u32_e64 s15, 3, v72
	v_cndmask_b32_e64 v94, v94, v96, s8
	v_cmp_eq_u32_e64 s19, 3, v71
	v_div_fmas_f32 v95, v97, v103, v101
	v_cmp_eq_u32_e32 vcc_lo, 3, v70
	v_cmp_eq_u32_e64 s4, 4, v70
	v_cmp_eq_u32_e64 s20, 4, v72
	v_cmp_eq_u32_e64 s23, 4, v71
	v_div_fixup_f32 v95, v95, v74, 1.0
	v_lshlrev_b32_e32 v73, 6, v68
	v_cmp_eq_u32_e64 s7, 5, v70
	v_cmp_eq_u32_e64 s21, 5, v72
	;; [unrolled: 1-line block ×3, first 2 shown]
	v_mul_f32_e32 v102, v94, v95
	v_lshl_or_b32 v75, v69, 11, v73
	v_or_b32_e32 v69, 2, v70
	v_cmp_eq_u32_e64 s26, 6, v72
	v_cmp_eq_u32_e64 s28, 6, v71
	v_fma_mixlo_f16 v94, v102, v79, 0
	v_fma_mixlo_f16 v95, v102, v81, 0
	;; [unrolled: 1-line block ×8, first 2 shown]
	v_lshl_or_b32 v74, v66, 4, v75
	v_fma_mixhi_f16 v94, v102, v78, 0
	v_fma_mixhi_f16 v95, v102, v80, 0
	;; [unrolled: 1-line block ×8, first 2 shown]
	ds_store_b128 v74, v[94:97]
	ds_store_b128 v74, v[98:101] offset:1024
	s_waitcnt lgkmcnt(0)
	s_barrier
	buffer_gl0_inv
	ds_load_b128 v[78:81], v75
	ds_load_b128 v[82:85], v75 offset:16
	ds_load_b128 v[86:89], v75 offset:1024
	;; [unrolled: 1-line block ×3, first 2 shown]
	v_cmp_eq_u32_e64 s11, 1, v69
	v_cmp_eq_u32_e64 s16, 2, v69
	;; [unrolled: 1-line block ×11, first 2 shown]
	s_waitcnt lgkmcnt(3)
	v_lshrrev_b32_e32 v94, 16, v78
	s_waitcnt lgkmcnt(2)
	v_lshrrev_b32_e32 v98, 16, v82
	;; [unrolled: 2-line block ×4, first 2 shown]
	v_lshrrev_b32_e32 v95, 16, v79
	v_cndmask_b32_e64 v110, v78, v94, s5
	v_cndmask_b32_e64 v111, v82, v98, s5
	;; [unrolled: 1-line block ×8, first 2 shown]
	v_lshrrev_b32_e32 v99, 16, v83
	v_cndmask_b32_e64 v94, v86, v102, s5
	v_cndmask_b32_e64 v98, v90, v106, s5
	;; [unrolled: 1-line block ×15, first 2 shown]
	v_lshrrev_b32_e32 v103, 16, v87
	v_lshrrev_b32_e32 v107, 16, v91
	v_cndmask_b32_e64 v113, v115, v83, s16
	v_cndmask_b32_e64 v82, v94, v87, s6
	;; [unrolled: 1-line block ×7, first 2 shown]
	v_cndmask_b32_e32 v90, v102, v95, vcc_lo
	v_cndmask_b32_e32 v102, v106, v99, vcc_lo
	v_cndmask_b32_e64 v106, v110, v95, s15
	v_cndmask_b32_e64 v110, v111, v99, s15
	;; [unrolled: 1-line block ×4, first 2 shown]
	v_lshrrev_b32_e32 v96, 16, v80
	v_lshrrev_b32_e32 v100, 16, v84
	v_cndmask_b32_e64 v111, v112, v95, s18
	v_cndmask_b32_e64 v112, v113, v99, s18
	v_cndmask_b32_e32 v82, v82, v103, vcc_lo
	v_cndmask_b32_e32 v83, v83, v107, vcc_lo
	v_cndmask_b32_e64 v94, v94, v103, s15
	v_cndmask_b32_e64 v90, v90, v80, s4
	;; [unrolled: 1-line block ×7, first 2 shown]
	v_lshrrev_b32_e32 v104, 16, v88
	v_cndmask_b32_e64 v106, v111, v80, s22
	v_cndmask_b32_e64 v110, v112, v84, s22
	v_cndmask_b32_e64 v80, v82, v88, s4
	v_cndmask_b32_e64 v82, v83, v92, s4
	v_cndmask_b32_e64 v83, v94, v88, s20
	v_cndmask_b32_e64 v84, v90, v96, s7
	v_cndmask_b32_e64 v90, v95, v100, s7
	v_cndmask_b32_e64 v94, v99, v96, s21
	v_cndmask_b32_e64 v95, v102, v100, s21
	v_cndmask_b32_e64 v78, v78, v96, s25
	v_cndmask_b32_e64 v79, v79, v100, s25
	v_lshrrev_b32_e32 v97, 16, v81
	v_lshrrev_b32_e32 v101, 16, v85
	v_cndmask_b32_e64 v99, v106, v96, s24
	v_cndmask_b32_e64 v102, v110, v100, s24
	;; [unrolled: 1-line block ×7, first 2 shown]
	v_lshrrev_b32_e32 v105, 16, v89
	v_cndmask_b32_e64 v80, v80, v104, s7
	v_cndmask_b32_e64 v84, v84, v81, s8
	;; [unrolled: 1-line block ×16, first 2 shown]
	v_perm_b32 v81, v79, v78, 0x5040100
	v_perm_b32 v79, v95, v85, 0x5040100
	v_cndmask_b32_e64 v78, v119, v91, s16
	v_cndmask_b32_e64 v85, v117, v91, s13
	;; [unrolled: 1-line block ×3, first 2 shown]
	v_perm_b32 v80, v94, v90, 0x5040100
	v_cndmask_b32_e64 v90, v98, v103, s18
	v_cndmask_b32_e64 v86, v86, v103, s19
	;; [unrolled: 1-line block ×5, first 2 shown]
	v_lshrrev_b32_e32 v108, 16, v92
	v_cndmask_b32_e64 v90, v90, v88, s22
	v_cndmask_b32_e64 v86, v86, v88, s23
	;; [unrolled: 1-line block ×11, first 2 shown]
	v_lshrrev_b32_e32 v109, 16, v93
	v_cndmask_b32_e64 v82, v82, v93, s8
	v_cndmask_b32_e64 v88, v88, v89, s27
	;; [unrolled: 1-line block ×12, first 2 shown]
	v_perm_b32 v78, v84, v83, 0x5040100
	v_perm_b32 v85, v87, v86, 0x5040100
	;; [unrolled: 1-line block ×5, first 2 shown]
	s_mul_i32 s9, s35, 7
	s_mov_b32 s4, exec_lo
	ds_store_b128 v74, v[78:81]
	ds_store_b128 v74, v[82:85] offset:1024
	v_cmpx_gt_u32_e32 7, v0
	s_cbranch_execz .LBB876_14
; %bb.13:
	s_mul_i32 s5, s9, s34
	s_load_b128 s[16:19], s[0:1], 0x58
	v_add3_u32 v68, s5, s33, v68
	s_delay_alu instid0(VALU_DEP_1) | instskip(NEXT) | instid1(VALU_DEP_1)
	v_mad_u64_u32 v[78:79], null, v68, s36, s[14:15]
	v_ashrrev_i32_e32 v79, 31, v78
	s_delay_alu instid0(VALU_DEP_1) | instskip(SKIP_1) | instid1(VALU_DEP_1)
	v_lshlrev_b64 v[78:79], 2, v[78:79]
	s_waitcnt lgkmcnt(0)
	v_add_co_u32 v80, vcc_lo, s18, v78
	s_delay_alu instid0(VALU_DEP_2)
	v_add_co_ci_u32_e32 v81, vcc_lo, s19, v79, vcc_lo
	v_add_co_u32 v78, vcc_lo, s16, v78
	v_add_co_ci_u32_e32 v79, vcc_lo, s17, v79, vcc_lo
	global_store_b32 v[80:81], v76, off
	global_store_b32 v[78:79], v77, off
.LBB876_14:
	s_or_b32 exec_lo, exec_lo, s4
	s_waitcnt lgkmcnt(0)
	s_waitcnt_vscnt null, 0x0
	s_barrier
	buffer_gl0_inv
	ds_load_b128 v[84:87], v73
	ds_load_b128 v[88:91], v73 offset:16
	ds_load_b128 v[96:99], v73 offset:2064
	;; [unrolled: 1-line block ×5, first 2 shown]
	v_cmp_eq_u32_e32 vcc_lo, 1, v70
	v_mov_b32_e32 v76, 0
	ds_load_b128 v[112:115], v73 offset:6160
	ds_load_b128 v[108:111], v73 offset:6144
	;; [unrolled: 1-line block ×4, first 2 shown]
	v_cmp_eq_u32_e64 s5, 1, v69
	v_cmp_eq_u32_e64 s4, 1, v72
	;; [unrolled: 1-line block ×3, first 2 shown]
	v_mov_b32_e32 v77, v76
	v_mov_b32_e32 v78, v76
	;; [unrolled: 1-line block ×7, first 2 shown]
	v_cmp_eq_u32_e64 s7, 3, v72
	v_cmp_eq_u32_e64 s8, 7, v72
	s_waitcnt lgkmcnt(8)
	s_delay_alu instid0(VALU_DEP_3)
	v_wmma_f32_16x16x16_f16 v[76:83], v[49:56], v[84:91], v[76:83]
	ds_load_b128 v[53:56], v73 offset:10256
	ds_load_b128 v[49:52], v73 offset:10240
	s_waitcnt lgkmcnt(8)
	v_wmma_f32_16x16x16_f16 v[76:83], v[41:48], v[92:99], v[76:83]
	ds_load_b128 v[45:48], v73 offset:12304
	ds_load_b128 v[41:44], v73 offset:12288
	s_waitcnt lgkmcnt(8)
	;; [unrolled: 4-line block ×3, first 2 shown]
	s_barrier
	buffer_gl0_inv
	v_wmma_f32_16x16x16_f16 v[76:83], v[1:8], v[108:115], v[76:83]
	s_delay_alu instid0(VALU_DEP_1) | instskip(NEXT) | instid1(VALU_DEP_1)
	v_wmma_f32_16x16x16_f16 v[76:83], v[9:16], v[116:123], v[76:83]
	v_wmma_f32_16x16x16_f16 v[76:83], v[17:24], v[49:56], v[76:83]
	s_delay_alu instid0(VALU_DEP_1) | instskip(NEXT) | instid1(VALU_DEP_1)
	v_wmma_f32_16x16x16_f16 v[76:83], v[25:32], v[41:48], v[76:83]
	v_wmma_f32_16x16x16_f16 v[76:83], v[57:64], v[33:40], v[76:83]
	s_delay_alu instid0(VALU_DEP_1) | instskip(NEXT) | instid1(VALU_DEP_2)
	v_cvt_f16_f32_e32 v1, v76
	v_cvt_f16_f32_e32 v2, v77
	s_delay_alu instid0(VALU_DEP_3) | instskip(NEXT) | instid1(VALU_DEP_4)
	v_cvt_f16_f32_e32 v3, v78
	v_cvt_f16_f32_e32 v4, v79
	;; [unrolled: 1-line block ×6, first 2 shown]
	v_pack_b32_f16 v1, v1, v2
	v_pack_b32_f16 v2, v3, v4
	;; [unrolled: 1-line block ×3, first 2 shown]
	s_delay_alu instid0(VALU_DEP_4)
	v_pack_b32_f16 v4, v7, v8
	ds_store_b128 v74, v[1:4]
	s_waitcnt lgkmcnt(0)
	s_barrier
	buffer_gl0_inv
	ds_load_b128 v[1:4], v75
	ds_load_b128 v[5:8], v75 offset:16
	s_waitcnt lgkmcnt(1)
	v_lshrrev_b32_e32 v9, 16, v1
	s_waitcnt lgkmcnt(0)
	v_lshrrev_b32_e32 v13, 16, v5
	v_lshrrev_b32_e32 v10, 16, v2
	;; [unrolled: 1-line block ×4, first 2 shown]
	v_cndmask_b32_e32 v17, v1, v9, vcc_lo
	v_cndmask_b32_e32 v18, v5, v13, vcc_lo
	v_cndmask_b32_e64 v21, v1, v9, s5
	v_cmp_eq_u32_e32 vcc_lo, 1, v71
	v_cndmask_b32_e64 v22, v5, v13, s5
	v_cmp_eq_u32_e64 s5, 2, v70
	v_cndmask_b32_e64 v19, v1, v9, s4
	v_cndmask_b32_e64 v20, v5, v13, s4
	v_cndmask_b32_e32 v1, v1, v9, vcc_lo
	v_cmp_eq_u32_e64 s4, 2, v71
	v_cndmask_b32_e32 v5, v5, v13, vcc_lo
	v_cndmask_b32_e64 v9, v17, v2, s5
	v_cmp_eq_u32_e32 vcc_lo, 3, v70
	v_cndmask_b32_e64 v13, v18, v6, s5
	v_cmp_eq_u32_e64 s5, 2, v69
	v_cndmask_b32_e64 v17, v19, v2, s6
	v_cndmask_b32_e64 v18, v20, v6, s6
	v_cmp_eq_u32_e64 s6, 3, v69
	v_cndmask_b32_e64 v1, v1, v2, s4
	v_cndmask_b32_e64 v19, v21, v2, s5
	;; [unrolled: 1-line block ×4, first 2 shown]
	v_cndmask_b32_e32 v5, v9, v10, vcc_lo
	v_cndmask_b32_e32 v6, v13, v14, vcc_lo
	v_cmp_eq_u32_e32 vcc_lo, 3, v71
	v_cndmask_b32_e64 v9, v17, v10, s7
	v_cndmask_b32_e64 v13, v18, v14, s7
	v_cndmask_b32_e64 v18, v20, v14, s6
	v_cmp_eq_u32_e64 s5, 4, v70
	v_cndmask_b32_e32 v1, v1, v10, vcc_lo
	v_cndmask_b32_e32 v2, v2, v14, vcc_lo
	v_cmp_eq_u32_e32 vcc_lo, 4, v72
	v_lshrrev_b32_e32 v15, 16, v7
	v_lshrrev_b32_e32 v16, 16, v8
	v_cndmask_b32_e64 v17, v19, v10, s6
	v_cmp_eq_u32_e64 s4, 4, v71
	v_cndmask_b32_e64 v5, v5, v3, s5
	v_cndmask_b32_e64 v6, v6, v7, s5
	v_cndmask_b32_e32 v9, v9, v3, vcc_lo
	v_cmp_eq_u32_e64 s5, 5, v72
	v_cndmask_b32_e32 v10, v13, v7, vcc_lo
	v_cmp_eq_u32_e32 vcc_lo, 4, v69
	v_cmp_eq_u32_e64 s6, 5, v70
	v_cndmask_b32_e64 v2, v2, v7, s4
	v_cndmask_b32_e64 v9, v9, v11, s5
	;; [unrolled: 1-line block ×3, first 2 shown]
	v_cndmask_b32_e32 v13, v17, v3, vcc_lo
	v_cmp_eq_u32_e64 s5, 5, v69
	v_cndmask_b32_e32 v14, v18, v7, vcc_lo
	v_cndmask_b32_e64 v1, v1, v3, s4
	v_cmp_eq_u32_e32 vcc_lo, 5, v71
	v_lshrrev_b32_e32 v12, 16, v4
	v_cndmask_b32_e64 v13, v13, v11, s5
	v_cndmask_b32_e64 v3, v14, v15, s5
	v_cmp_eq_u32_e64 s5, 6, v71
	v_cndmask_b32_e32 v1, v1, v11, vcc_lo
	v_cndmask_b32_e64 v5, v5, v11, s6
	v_cmp_eq_u32_e64 s7, 6, v70
	v_cndmask_b32_e64 v6, v6, v15, s6
	v_cmp_eq_u32_e64 s6, 6, v72
	v_cmp_eq_u32_e64 s4, 6, v69
	v_cndmask_b32_e64 v1, v1, v4, s5
	v_cndmask_b32_e32 v2, v2, v15, vcc_lo
	v_cmp_eq_u32_e32 vcc_lo, 7, v71
	v_cndmask_b32_e64 v5, v5, v4, s7
	v_cndmask_b32_e64 v9, v9, v4, s6
	;; [unrolled: 1-line block ×3, first 2 shown]
	v_cmp_eq_u32_e64 s7, 7, v70
	v_cndmask_b32_e32 v1, v1, v12, vcc_lo
	v_cndmask_b32_e64 v7, v13, v4, s4
	v_cndmask_b32_e64 v3, v3, v8, s4
	;; [unrolled: 1-line block ×3, first 2 shown]
	v_cmp_eq_u32_e64 s4, 7, v69
	v_cndmask_b32_e64 v4, v10, v8, s6
	v_cndmask_b32_e64 v5, v5, v12, s7
	;; [unrolled: 1-line block ×3, first 2 shown]
	v_cndmask_b32_e32 v2, v2, v16, vcc_lo
	v_cndmask_b32_e64 v7, v7, v12, s4
	v_cndmask_b32_e64 v3, v3, v16, s4
	;; [unrolled: 1-line block ×4, first 2 shown]
	v_cmp_gt_u32_e32 vcc_lo, 32, v0
	v_perm_b32 v4, v2, v1, 0x5040100
	v_perm_b32 v3, v3, v7, 0x5040100
	;; [unrolled: 1-line block ×4, first 2 shown]
	s_and_b32 s2, vcc_lo, s2
	ds_store_b128 v74, v[1:4]
	s_waitcnt lgkmcnt(0)
	s_barrier
	buffer_gl0_inv
	s_and_saveexec_b32 s4, s2
	s_cbranch_execz .LBB876_2
; %bb.15:
	s_load_b64 s[4:5], s[0:1], 0x68
	v_lshlrev_b32_e32 v0, 10, v0
	v_add_nc_u32_e32 v2, s33, v66
	v_lshlrev_b32_e32 v3, 4, v67
	s_lshl_b32 s0, s36, 6
	s_delay_alu instid0(SALU_CYCLE_1) | instskip(NEXT) | instid1(VALU_DEP_2)
	s_mul_i32 s1, s0, s34
	v_mul_lo_u32 v1, v2, s0
	s_delay_alu instid0(VALU_DEP_2)
	v_and_or_b32 v0, 0x3800, v0, v3
	v_add_nc_u32_e32 v3, 2, v2
	s_mul_i32 s6, s1, s9
	v_add_nc_u32_e32 v4, 4, v2
	s_ashr_i32 s7, s6, 31
	v_lshl_or_b32 v11, v66, 6, v0
	s_lshl_b64 s[6:7], s[6:7], 1
	v_mul_lo_u32 v15, v3, s0
	v_mul_lo_u32 v17, v4, s0
	v_ashrrev_i32_e32 v2, 31, v1
	ds_load_b128 v[3:6], v11
	ds_load_b128 v[7:10], v11 offset:128
	ds_load_b128 v[11:14], v11 offset:256
	s_waitcnt lgkmcnt(0)
	s_add_u32 s1, s4, s6
	s_addc_u32 s2, s5, s7
	s_lshl_b32 s4, s14, 6
	v_ashrrev_i32_e32 v16, 31, v15
	s_ashr_i32 s5, s4, 31
	v_lshlrev_b64 v[19:20], 1, v[1:2]
	s_lshl_b64 s[4:5], s[4:5], 1
	v_ashrrev_i32_e32 v18, 31, v17
	s_add_u32 s1, s1, s4
	s_addc_u32 s2, s2, s5
	v_add_co_u32 v1, s1, s1, v65
	s_delay_alu instid0(VALU_DEP_1) | instskip(SKIP_1) | instid1(VALU_DEP_3)
	v_add_co_ci_u32_e64 v2, null, s2, 0, s1
	v_lshlrev_b64 v[15:16], 1, v[15:16]
	v_add_co_u32 v19, vcc_lo, v1, v19
	v_lshlrev_b64 v[17:18], 1, v[17:18]
	s_delay_alu instid0(VALU_DEP_4) | instskip(NEXT) | instid1(VALU_DEP_4)
	v_add_co_ci_u32_e32 v20, vcc_lo, v2, v20, vcc_lo
	v_add_co_u32 v15, vcc_lo, v1, v15
	v_add_co_ci_u32_e32 v16, vcc_lo, v2, v16, vcc_lo
	s_delay_alu instid0(VALU_DEP_4)
	v_add_co_u32 v17, vcc_lo, v1, v17
	v_add_co_ci_u32_e32 v18, vcc_lo, v2, v18, vcc_lo
	s_clause 0x2
	global_store_b128 v[19:20], v[3:6], off
	global_store_b128 v[15:16], v[7:10], off
	;; [unrolled: 1-line block ×3, first 2 shown]
	s_and_b32 exec_lo, exec_lo, s3
	s_cbranch_execz .LBB876_2
; %bb.16:
	ds_load_b128 v[3:6], v0 offset:384
	s_add_i32 s1, s33, 6
	s_delay_alu instid0(SALU_CYCLE_1) | instskip(NEXT) | instid1(SALU_CYCLE_1)
	s_mul_i32 s0, s1, s0
	s_ashr_i32 s1, s0, 31
	s_delay_alu instid0(SALU_CYCLE_1) | instskip(NEXT) | instid1(SALU_CYCLE_1)
	s_lshl_b64 s[0:1], s[0:1], 1
	v_add_co_u32 v0, vcc_lo, v1, s0
	v_add_co_ci_u32_e32 v1, vcc_lo, s1, v2, vcc_lo
	s_waitcnt lgkmcnt(0)
	global_store_b128 v[0:1], v[3:6], off
	s_nop 0
	s_sendmsg sendmsg(MSG_DEALLOC_VGPRS)
	s_endpgm
	.section	.rodata,"a",@progbits
	.p2align	6, 0x0
	.amdhsa_kernel _Z39paged_attention_ll4mi_QKV_mfma16_kernelIDF16_hLN4vllm18Fp8KVCacheDataTypeE1EhLi32ELi64ELi256ELb0ELi7EL8MFMAType1EEvPKT_PKT0_S8_ifPKiSA_SA_iPKfiiiPfSD_PS3_PT2_iSC_SC_
		.amdhsa_group_segment_fixed_size 17472
		.amdhsa_private_segment_fixed_size 0
		.amdhsa_kernarg_size 400
		.amdhsa_user_sgpr_count 13
		.amdhsa_user_sgpr_dispatch_ptr 0
		.amdhsa_user_sgpr_queue_ptr 0
		.amdhsa_user_sgpr_kernarg_segment_ptr 1
		.amdhsa_user_sgpr_dispatch_id 0
		.amdhsa_user_sgpr_private_segment_size 0
		.amdhsa_wavefront_size32 1
		.amdhsa_uses_dynamic_stack 0
		.amdhsa_enable_private_segment 0
		.amdhsa_system_sgpr_workgroup_id_x 1
		.amdhsa_system_sgpr_workgroup_id_y 1
		.amdhsa_system_sgpr_workgroup_id_z 1
		.amdhsa_system_sgpr_workgroup_info 0
		.amdhsa_system_vgpr_workitem_id 0
		.amdhsa_next_free_vgpr 146
		.amdhsa_next_free_sgpr 37
		.amdhsa_reserve_vcc 1
		.amdhsa_float_round_mode_32 0
		.amdhsa_float_round_mode_16_64 0
		.amdhsa_float_denorm_mode_32 3
		.amdhsa_float_denorm_mode_16_64 3
		.amdhsa_dx10_clamp 1
		.amdhsa_ieee_mode 1
		.amdhsa_fp16_overflow 0
		.amdhsa_workgroup_processor_mode 1
		.amdhsa_memory_ordered 1
		.amdhsa_forward_progress 0
		.amdhsa_shared_vgpr_count 0
		.amdhsa_exception_fp_ieee_invalid_op 0
		.amdhsa_exception_fp_denorm_src 0
		.amdhsa_exception_fp_ieee_div_zero 0
		.amdhsa_exception_fp_ieee_overflow 0
		.amdhsa_exception_fp_ieee_underflow 0
		.amdhsa_exception_fp_ieee_inexact 0
		.amdhsa_exception_int_div_zero 0
	.end_amdhsa_kernel
	.section	.text._Z39paged_attention_ll4mi_QKV_mfma16_kernelIDF16_hLN4vllm18Fp8KVCacheDataTypeE1EhLi32ELi64ELi256ELb0ELi7EL8MFMAType1EEvPKT_PKT0_S8_ifPKiSA_SA_iPKfiiiPfSD_PS3_PT2_iSC_SC_,"axG",@progbits,_Z39paged_attention_ll4mi_QKV_mfma16_kernelIDF16_hLN4vllm18Fp8KVCacheDataTypeE1EhLi32ELi64ELi256ELb0ELi7EL8MFMAType1EEvPKT_PKT0_S8_ifPKiSA_SA_iPKfiiiPfSD_PS3_PT2_iSC_SC_,comdat
.Lfunc_end876:
	.size	_Z39paged_attention_ll4mi_QKV_mfma16_kernelIDF16_hLN4vllm18Fp8KVCacheDataTypeE1EhLi32ELi64ELi256ELb0ELi7EL8MFMAType1EEvPKT_PKT0_S8_ifPKiSA_SA_iPKfiiiPfSD_PS3_PT2_iSC_SC_, .Lfunc_end876-_Z39paged_attention_ll4mi_QKV_mfma16_kernelIDF16_hLN4vllm18Fp8KVCacheDataTypeE1EhLi32ELi64ELi256ELb0ELi7EL8MFMAType1EEvPKT_PKT0_S8_ifPKiSA_SA_iPKfiiiPfSD_PS3_PT2_iSC_SC_
                                        ; -- End function
	.section	.AMDGPU.csdata,"",@progbits
; Kernel info:
; codeLenInByte = 6524
; NumSgprs: 39
; NumVgprs: 146
; ScratchSize: 0
; MemoryBound: 0
; FloatMode: 240
; IeeeMode: 1
; LDSByteSize: 17472 bytes/workgroup (compile time only)
; SGPRBlocks: 4
; VGPRBlocks: 18
; NumSGPRsForWavesPerEU: 39
; NumVGPRsForWavesPerEU: 146
; Occupancy: 9
; WaveLimiterHint : 1
; COMPUTE_PGM_RSRC2:SCRATCH_EN: 0
; COMPUTE_PGM_RSRC2:USER_SGPR: 13
; COMPUTE_PGM_RSRC2:TRAP_HANDLER: 0
; COMPUTE_PGM_RSRC2:TGID_X_EN: 1
; COMPUTE_PGM_RSRC2:TGID_Y_EN: 1
; COMPUTE_PGM_RSRC2:TGID_Z_EN: 1
; COMPUTE_PGM_RSRC2:TIDIG_COMP_CNT: 0
	.section	.text._Z39paged_attention_ll4mi_QKV_mfma16_kernelIDF16_hLN4vllm18Fp8KVCacheDataTypeE1EhLi32ELi64ELi256ELb0ELi8EL8MFMAType1EEvPKT_PKT0_S8_ifPKiSA_SA_iPKfiiiPfSD_PS3_PT2_iSC_SC_,"axG",@progbits,_Z39paged_attention_ll4mi_QKV_mfma16_kernelIDF16_hLN4vllm18Fp8KVCacheDataTypeE1EhLi32ELi64ELi256ELb0ELi8EL8MFMAType1EEvPKT_PKT0_S8_ifPKiSA_SA_iPKfiiiPfSD_PS3_PT2_iSC_SC_,comdat
	.protected	_Z39paged_attention_ll4mi_QKV_mfma16_kernelIDF16_hLN4vllm18Fp8KVCacheDataTypeE1EhLi32ELi64ELi256ELb0ELi8EL8MFMAType1EEvPKT_PKT0_S8_ifPKiSA_SA_iPKfiiiPfSD_PS3_PT2_iSC_SC_ ; -- Begin function _Z39paged_attention_ll4mi_QKV_mfma16_kernelIDF16_hLN4vllm18Fp8KVCacheDataTypeE1EhLi32ELi64ELi256ELb0ELi8EL8MFMAType1EEvPKT_PKT0_S8_ifPKiSA_SA_iPKfiiiPfSD_PS3_PT2_iSC_SC_
	.globl	_Z39paged_attention_ll4mi_QKV_mfma16_kernelIDF16_hLN4vllm18Fp8KVCacheDataTypeE1EhLi32ELi64ELi256ELb0ELi8EL8MFMAType1EEvPKT_PKT0_S8_ifPKiSA_SA_iPKfiiiPfSD_PS3_PT2_iSC_SC_
	.p2align	8
	.type	_Z39paged_attention_ll4mi_QKV_mfma16_kernelIDF16_hLN4vllm18Fp8KVCacheDataTypeE1EhLi32ELi64ELi256ELb0ELi8EL8MFMAType1EEvPKT_PKT0_S8_ifPKiSA_SA_iPKfiiiPfSD_PS3_PT2_iSC_SC_,@function
_Z39paged_attention_ll4mi_QKV_mfma16_kernelIDF16_hLN4vllm18Fp8KVCacheDataTypeE1EhLi32ELi64ELi256ELb0ELi8EL8MFMAType1EEvPKT_PKT0_S8_ifPKiSA_SA_iPKfiiiPfSD_PS3_PT2_iSC_SC_: ; @_Z39paged_attention_ll4mi_QKV_mfma16_kernelIDF16_hLN4vllm18Fp8KVCacheDataTypeE1EhLi32ELi64ELi256ELb0ELi8EL8MFMAType1EEvPKT_PKT0_S8_ifPKiSA_SA_iPKfiiiPfSD_PS3_PT2_iSC_SC_
; %bb.0:
	s_load_b64 s[2:3], s[0:1], 0x30
	s_mov_b32 s34, s13
	s_waitcnt lgkmcnt(0)
	s_cmp_lg_u64 s[2:3], 0
	s_cselect_b32 s8, -1, 0
	s_ashr_i32 s35, s13, 31
	s_cmp_eq_u64 s[2:3], 0
	s_cbranch_scc1 .LBB877_3
; %bb.1:
	s_lshl_b64 s[4:5], s[34:35], 2
	s_delay_alu instid0(SALU_CYCLE_1) | instskip(SKIP_4) | instid1(SALU_CYCLE_1)
	s_add_u32 s4, s2, s4
	s_addc_u32 s5, s3, s5
	s_load_b64 s[4:5], s[4:5], 0x0
	s_waitcnt lgkmcnt(0)
	s_sub_i32 s4, s5, s4
	s_cmp_eq_u32 s4, 1
	s_cselect_b32 s4, -1, 0
	s_delay_alu instid0(SALU_CYCLE_1)
	s_and_not1_b32 vcc_lo, exec_lo, s4
	s_cbranch_vccz .LBB877_4
.LBB877_2:
	s_endpgm
.LBB877_3:
.LBB877_4:
	s_load_b64 s[4:5], s[0:1], 0x28
	s_lshl_b64 s[6:7], s[34:35], 2
	s_waitcnt lgkmcnt(0)
	s_add_u32 s4, s4, s6
	s_addc_u32 s5, s5, s7
	s_lshl_b32 s12, s14, 8
	s_load_b32 s24, s[4:5], 0x0
	s_waitcnt lgkmcnt(0)
	s_cmp_ge_i32 s12, s24
	s_cbranch_scc1 .LBB877_2
; %bb.5:
	s_clause 0x1
	s_load_b128 s[20:23], s[0:1], 0x8
	s_load_b64 s[4:5], s[0:1], 0x20
	s_and_not1_b32 vcc_lo, exec_lo, s8
	s_cbranch_vccnz .LBB877_7
; %bb.6:
	s_add_u32 s2, s2, s6
	s_addc_u32 s3, s3, s7
	s_load_b32 s3, s[2:3], 0x0
	s_branch .LBB877_8
.LBB877_7:
	s_mov_b32 s3, s34
.LBB877_8:
	s_load_b128 s[16:19], s[0:1], 0x48
	v_and_b32_e32 v69, 15, v0
	v_cmp_gt_u32_e32 vcc_lo, 0x80, v0
	v_lshrrev_b32_e32 v68, 5, v0
	v_and_b32_e32 v70, 31, v0
	v_and_b32_e32 v66, 1, v0
	v_lshlrev_b32_e32 v1, 3, v69
	v_cmp_gt_u32_e64 s2, 8, v69
	v_bfe_u32 v67, v0, 4, 1
	s_lshl_b32 s31, s15, 3
	s_delay_alu instid0(VALU_DEP_3) | instskip(NEXT) | instid1(VALU_DEP_3)
	v_lshlrev_b32_e32 v65, 1, v1
	s_and_b32 s7, vcc_lo, s2
	s_delay_alu instid0(SALU_CYCLE_1)
	s_and_saveexec_b32 s6, s7
	s_cbranch_execz .LBB877_10
; %bb.9:
	v_lshl_or_b32 v5, v68, 1, v67
	s_load_b64 s[8:9], s[0:1], 0x0
	s_waitcnt lgkmcnt(0)
	s_mul_hi_i32 s11, s3, s16
	s_mul_i32 s10, s3, s16
	v_lshlrev_b32_e32 v6, 10, v69
	v_or_b32_e32 v1, s31, v5
	s_lshl_b64 s[10:11], s[10:11], 1
	v_lshlrev_b32_e32 v5, 6, v5
	v_lshlrev_b32_e32 v7, 10, v66
	v_and_b32_e32 v6, 0x3800, v6
	v_lshlrev_b32_e32 v1, 6, v1
	s_delay_alu instid0(VALU_DEP_2) | instskip(NEXT) | instid1(VALU_DEP_2)
	v_or3_b32 v5, v6, v7, v5
	v_ashrrev_i32_e32 v2, 31, v1
	s_delay_alu instid0(VALU_DEP_1) | instskip(SKIP_2) | instid1(VALU_DEP_1)
	v_lshlrev_b64 v[1:2], 1, v[1:2]
	s_add_u32 s3, s8, s10
	s_addc_u32 s7, s9, s11
	v_add_co_u32 v1, vcc_lo, s3, v1
	s_delay_alu instid0(VALU_DEP_2) | instskip(NEXT) | instid1(VALU_DEP_2)
	v_add_co_ci_u32_e32 v2, vcc_lo, s7, v2, vcc_lo
	v_add_co_u32 v1, vcc_lo, v1, v65
	s_delay_alu instid0(VALU_DEP_2)
	v_add_co_ci_u32_e32 v2, vcc_lo, 0, v2, vcc_lo
	global_load_b128 v[1:4], v[1:2], off
	s_waitcnt vmcnt(0)
	ds_store_b128 v5, v[1:4]
.LBB877_10:
	s_or_b32 exec_lo, exec_lo, s6
	v_and_b32_e32 v1, 0xef, v0
	s_waitcnt lgkmcnt(0)
	s_add_i32 s3, s24, 31
	s_clause 0x1
	s_load_b32 s6, s[0:1], 0x38
	s_load_b32 s33, s[0:1], 0x98
	s_ashr_i32 s7, s3, 31
	v_add_nc_u32_e32 v1, s12, v1
	s_lshr_b32 s7, s7, 27
	s_load_b32 s19, s[0:1], 0x1c
	s_add_i32 s3, s3, s7
	s_waitcnt lgkmcnt(0)
	v_ashrrev_i32_e32 v2, 31, v1
	v_or_b32_e32 v3, 16, v1
	s_ashr_i32 s3, s3, 5
	v_cmp_gt_i32_e32 vcc_lo, s24, v1
	s_add_i32 s3, s3, -1
	v_lshrrev_b32_e32 v2, 27, v2
	s_barrier
	buffer_gl0_inv
	s_mul_i32 s27, s15, s18
	v_add_nc_u32_e32 v4, v1, v2
	s_mul_i32 s6, s34, s6
	s_delay_alu instid0(SALU_CYCLE_1) | instskip(NEXT) | instid1(VALU_DEP_1)
	s_ashr_i32 s7, s6, 31
	v_ashrrev_i32_e32 v4, 5, v4
	v_add_nc_u32_e32 v2, v3, v2
	s_lshl_b64 s[6:7], s[6:7], 2
	s_delay_alu instid0(SALU_CYCLE_1) | instskip(NEXT) | instid1(VALU_DEP_2)
	s_add_u32 s26, s4, s6
	v_cndmask_b32_e32 v1, s3, v4, vcc_lo
	s_delay_alu instid0(VALU_DEP_2)
	v_ashrrev_i32_e32 v2, 5, v2
	v_cmp_gt_i32_e32 vcc_lo, s24, v3
	s_addc_u32 s25, s5, s7
	s_ashr_i32 s28, s27, 31
	s_add_u32 s4, s20, s27
	s_addc_u32 s5, s21, s28
	v_cndmask_b32_e32 v3, s3, v2, vcc_lo
	v_ashrrev_i32_e32 v2, 31, v1
	s_lshl_b32 s6, s14, 3
	s_delay_alu instid0(SALU_CYCLE_1) | instskip(NEXT) | instid1(VALU_DEP_2)
	s_ashr_i32 s7, s6, 31
	v_ashrrev_i32_e32 v4, 31, v3
	s_delay_alu instid0(VALU_DEP_2) | instskip(SKIP_1) | instid1(SALU_CYCLE_1)
	v_lshlrev_b64 v[1:2], 2, v[1:2]
	s_lshl_b64 s[6:7], s[6:7], 2
	s_add_u32 s6, s26, s6
	s_delay_alu instid0(VALU_DEP_2) | instskip(SKIP_1) | instid1(VALU_DEP_2)
	v_lshlrev_b64 v[3:4], 2, v[3:4]
	s_addc_u32 s7, s25, s7
	v_add_co_u32 v1, vcc_lo, s26, v1
	v_add_co_ci_u32_e32 v2, vcc_lo, s25, v2, vcc_lo
	s_delay_alu instid0(VALU_DEP_3) | instskip(NEXT) | instid1(VALU_DEP_4)
	v_add_co_u32 v3, vcc_lo, s26, v3
	v_add_co_ci_u32_e32 v4, vcc_lo, s25, v4, vcc_lo
	s_clause 0x1
	global_load_b32 v5, v[1:2], off
	global_load_b32 v6, v[3:4], off
	s_or_b32 s8, s12, 32
	s_delay_alu instid0(SALU_CYCLE_1) | instskip(SKIP_2) | instid1(SALU_CYCLE_1)
	s_ashr_i32 s9, s8, 5
	s_cmp_lt_i32 s8, s24
	s_cselect_b32 s8, s9, s3
	s_ashr_i32 s9, s8, 31
	s_delay_alu instid0(SALU_CYCLE_1) | instskip(NEXT) | instid1(SALU_CYCLE_1)
	s_lshl_b64 s[8:9], s[8:9], 2
	s_add_u32 s8, s26, s8
	s_addc_u32 s9, s25, s9
	s_or_b32 s10, s12, 64
	s_delay_alu instid0(SALU_CYCLE_1) | instskip(SKIP_2) | instid1(SALU_CYCLE_1)
	s_ashr_i32 s11, s10, 5
	s_cmp_lt_i32 s10, s24
	s_cselect_b32 s10, s11, s3
	s_ashr_i32 s11, s10, 31
	s_delay_alu instid0(SALU_CYCLE_1) | instskip(NEXT) | instid1(SALU_CYCLE_1)
	s_lshl_b64 s[10:11], s[10:11], 2
	s_add_u32 s10, s26, s10
	s_addc_u32 s11, s25, s11
	;; [unrolled: 10-line block ×5, first 2 shown]
	s_clause 0x5
	s_load_b32 s21, s[6:7], 0x0
	s_load_b32 s13, s[8:9], 0x0
	;; [unrolled: 1-line block ×6, first 2 shown]
	s_or_b32 s7, s12, 0xc0
	s_delay_alu instid0(SALU_CYCLE_1) | instskip(SKIP_2) | instid1(SALU_CYCLE_1)
	s_ashr_i32 s8, s7, 5
	s_cmp_lt_i32 s7, s24
	s_cselect_b32 s10, s8, s3
	s_ashr_i32 s11, s10, 31
	s_delay_alu instid0(SALU_CYCLE_1) | instskip(NEXT) | instid1(SALU_CYCLE_1)
	s_lshl_b64 s[36:37], s[10:11], 2
	s_add_u32 s36, s26, s36
	s_addc_u32 s37, s25, s37
	s_or_b32 s29, s12, 0xe0
	s_delay_alu instid0(SALU_CYCLE_1)
	s_ashr_i32 s30, s29, 5
	s_cmp_lt_i32 s29, s24
	s_waitcnt vmcnt(1)
	v_mad_i64_i32 v[1:2], null, v5, s17, s[4:5]
	s_waitcnt vmcnt(0)
	v_mad_i64_i32 v[3:4], null, v6, s17, s[4:5]
	s_mov_b32 s4, 0
	s_delay_alu instid0(SALU_CYCLE_1)
	s_mov_b32 s5, s4
	s_mov_b32 s6, s4
	;; [unrolled: 1-line block ×7, first 2 shown]
	s_delay_alu instid0(SALU_CYCLE_1) | instskip(SKIP_2) | instid1(VALU_DEP_3)
	v_dual_mov_b32 v102, s11 :: v_dual_lshlrev_b32 v5, 4, v69
	v_dual_mov_b32 v98, s7 :: v_dual_mov_b32 v101, s10
	v_mov_b32_e32 v100, s9
	v_add_co_u32 v1, vcc_lo, v1, v5
	v_add_co_ci_u32_e32 v2, vcc_lo, 0, v2, vcc_lo
	v_add_co_u32 v3, vcc_lo, v3, v5
	v_add_co_ci_u32_e32 v4, vcc_lo, 0, v4, vcc_lo
	s_clause 0x7
	global_load_b128 v[57:60], v[1:2], off
	global_load_b128 v[61:64], v[1:2], off offset:512
	global_load_b128 v[71:74], v[3:4], off offset:256
	;; [unrolled: 1-line block ×7, first 2 shown]
	v_dual_mov_b32 v96, s5 :: v_dual_and_b32 v1, 7, v0
	v_mov_b32_e32 v99, s8
	v_mov_b32_e32 v97, s6
	;; [unrolled: 1-line block ×3, first 2 shown]
	s_cselect_b32 s4, s30, s3
	v_lshlrev_b32_e32 v2, 5, v69
	s_ashr_i32 s5, s4, 31
	v_lshlrev_b32_e32 v121, 6, v1
	s_lshl_b64 s[4:5], s[4:5], 2
	s_load_b32 s3, s[36:37], 0x0
	s_add_u32 s4, s26, s4
	s_addc_u32 s5, s25, s5
	v_lshl_or_b32 v1, v68, 9, v2
	ds_load_b128 v[103:106], v121
	ds_load_b128 v[107:110], v121 offset:1024
	s_load_b32 s4, s[4:5], 0x0
	s_add_u32 s6, s22, s27
	s_addc_u32 s7, s23, s28
	v_add_co_u32 v17, s6, s6, v1
	s_delay_alu instid0(VALU_DEP_1) | instskip(SKIP_1) | instid1(VALU_DEP_1)
	v_add_co_ci_u32_e64 v18, null, s7, 0, s6
	s_waitcnt lgkmcnt(0)
	v_mad_i64_i32 v[1:2], null, s21, s17, v[17:18]
	v_mad_i64_i32 v[3:4], null, s13, s17, v[17:18]
	;; [unrolled: 1-line block ×7, first 2 shown]
	s_clause 0x9
	global_load_b128 v[49:52], v[1:2], off
	global_load_b128 v[53:56], v[1:2], off offset:16
	global_load_b128 v[41:44], v[3:4], off
	global_load_b128 v[45:48], v[3:4], off offset:16
	;; [unrolled: 2-line block ×5, first 2 shown]
	v_mad_i64_i32 v[119:120], null, s4, s17, v[17:18]
	s_clause 0x3
	global_load_b128 v[17:20], v[21:22], off
	global_load_b128 v[21:24], v[21:22], off offset:16
	global_load_b128 v[25:28], v[29:30], off
	global_load_b128 v[29:32], v[29:30], off offset:16
	s_waitcnt vmcnt(20)
	v_wmma_f32_16x16x16_f16 v[111:118], v[57:64], v[103:110], v[95:102]
	s_clause 0x1
	global_load_b128 v[57:60], v[119:120], off
	global_load_b128 v[61:64], v[119:120], off offset:16
	s_waitcnt vmcnt(20)
	v_wmma_f32_16x16x16_f16 v[95:102], v[71:78], v[103:110], v[95:102]
	ds_load_b128 v[71:74], v121 offset:2048
	ds_load_b128 v[75:78], v121 offset:3072
	v_mbcnt_lo_u32_b32 v104, -1, 0
	s_waitcnt vmcnt(0) lgkmcnt(0)
	s_barrier
	buffer_gl0_inv
	v_xor_b32_e32 v105, 16, v104
	s_delay_alu instid0(VALU_DEP_1) | instskip(SKIP_4) | instid1(VALU_DEP_2)
	v_cmp_gt_i32_e32 vcc_lo, 32, v105
	v_cndmask_b32_e32 v104, v104, v105, vcc_lo
	v_wmma_f32_16x16x16_f16 v[111:118], v[79:86], v[71:78], v[111:118]
	v_and_b32_e32 v103, 0xe0, v0
	v_wmma_f32_16x16x16_f16 v[95:102], v[87:94], v[71:78], v[95:102]
	v_dual_mul_f32 v78, s19, v113 :: v_dual_add_nc_u32 v103, s12, v103
	s_delay_alu instid0(VALU_DEP_2) | instskip(SKIP_1) | instid1(VALU_DEP_3)
	v_dual_mul_f32 v90, s19, v101 :: v_dual_mul_f32 v87, s19, v112
	v_dual_mul_f32 v88, s19, v111 :: v_dual_mul_f32 v77, s19, v114
	v_or_b32_e32 v103, v103, v67
	v_dual_mul_f32 v75, s19, v116 :: v_dual_mul_f32 v94, s19, v97
	v_dual_mul_f32 v76, s19, v115 :: v_dual_mul_f32 v73, s19, v118
	v_mul_f32_e32 v92, s19, v99
	s_delay_alu instid0(VALU_DEP_4)
	v_or_b32_e32 v105, 2, v103
	v_or_b32_e32 v106, 4, v103
	;; [unrolled: 1-line block ×3, first 2 shown]
	v_cmp_gt_i32_e64 s3, s24, v103
	v_or_b32_e32 v108, 8, v103
	v_cmp_gt_i32_e32 vcc_lo, s24, v105
	v_or_b32_e32 v109, 10, v103
	v_cmp_gt_i32_e64 s4, s24, v106
	v_cndmask_b32_e64 v88, 0xff7fffff, v88, s3
	v_cmp_gt_i32_e64 s5, s24, v107
	v_cndmask_b32_e32 v87, 0xff7fffff, v87, vcc_lo
	v_or_b32_e32 v79, 12, v103
	v_or_b32_e32 v80, 14, v103
	v_cndmask_b32_e64 v78, 0xff7fffff, v78, s4
	v_cndmask_b32_e64 v77, 0xff7fffff, v77, s5
	v_max3_f32 v87, v88, 0xff7fffff, v87
	v_cmp_gt_i32_e64 s6, s24, v108
	v_cmp_gt_i32_e64 s7, s24, v109
	v_or_b32_e32 v81, 16, v103
	v_or_b32_e32 v82, 18, v103
	v_mul_f32_e32 v74, s19, v117
	v_cndmask_b32_e64 v76, 0xff7fffff, v76, s6
	v_cndmask_b32_e64 v75, 0xff7fffff, v75, s7
	v_max3_f32 v77, v87, v78, v77
	v_cmp_gt_i32_e64 s8, s24, v79
	v_cmp_gt_i32_e64 s9, s24, v80
	v_or_b32_e32 v83, 20, v103
	v_or_b32_e32 v84, 22, v103
	;; [unrolled: 1-line block ×6, first 2 shown]
	v_mul_f32_e32 v105, s19, v96
	v_mul_f32_e32 v103, s19, v95
	v_cndmask_b32_e64 v74, 0xff7fffff, v74, s8
	v_cndmask_b32_e64 v73, 0xff7fffff, v73, s9
	v_max3_f32 v75, v77, v76, v75
	v_cmp_gt_i32_e64 s10, s24, v81
	v_cmp_gt_i32_e64 s11, s24, v82
	v_mul_f32_e32 v93, s19, v98
	v_cmp_gt_i32_e64 s12, s24, v83
	v_max3_f32 v73, v75, v74, v73
	v_cndmask_b32_e64 v76, 0xff7fffff, v103, s10
	v_cndmask_b32_e64 v77, 0xff7fffff, v105, s11
	v_cmp_gt_i32_e64 s13, s24, v84
	v_mul_f32_e32 v91, s19, v100
	v_cndmask_b32_e64 v74, 0xff7fffff, v94, s12
	v_cmp_gt_i32_e64 s15, s24, v85
	v_max3_f32 v73, v73, v76, v77
	v_cndmask_b32_e64 v75, 0xff7fffff, v93, s13
	v_cmp_gt_i32_e64 s16, s24, v86
	v_mul_f32_e32 v89, s19, v102
	v_cndmask_b32_e64 v76, 0xff7fffff, v92, s15
	v_cmp_gt_i32_e64 s17, s24, v71
	v_max3_f32 v73, v73, v74, v75
	v_cndmask_b32_e64 v77, 0xff7fffff, v91, s16
	v_cmp_gt_i32_e64 s18, s24, v72
	v_lshlrev_b32_e32 v74, 2, v104
	v_cndmask_b32_e64 v71, 0xff7fffff, v90, s17
	s_delay_alu instid0(VALU_DEP_4) | instskip(NEXT) | instid1(VALU_DEP_4)
	v_max3_f32 v73, v73, v76, v77
	v_cndmask_b32_e64 v72, 0xff7fffff, v89, s18
	s_delay_alu instid0(VALU_DEP_1) | instskip(SKIP_3) | instid1(VALU_DEP_1)
	v_max3_f32 v71, v73, v71, v72
	ds_bpermute_b32 v72, v74, v71
	s_waitcnt lgkmcnt(0)
	v_max_f32_e32 v72, v72, v72
	v_max_f32_e32 v71, v71, v72
	s_delay_alu instid0(VALU_DEP_1)
	v_fma_f32 v72, s19, v111, -v71
	v_fma_f32 v76, s19, v114, -v71
	;; [unrolled: 1-line block ×5, first 2 shown]
	v_mul_f32_e32 v72, 0x3fb8aa3b, v72
	v_mul_f32_e32 v76, 0x3fb8aa3b, v76
	v_fma_f32 v75, s19, v113, -v71
	v_mul_f32_e32 v79, 0x3fb8aa3b, v77
	v_mul_f32_e32 v85, 0x3fb8aa3b, v84
	v_exp_f32_e32 v72, v72
	v_exp_f32_e32 v76, v76
	v_fma_f32 v86, s19, v98, -v71
	v_exp_f32_e32 v82, v79
	v_exp_f32_e32 v85, v85
	v_fma_f32 v81, s19, v117, -v71
	s_delay_alu instid0(VALU_DEP_2) | instskip(SKIP_3) | instid1(TRANS32_DEP_3)
	v_mul_f32_e32 v87, 0x3fb8aa3b, v86
	v_cndmask_b32_e64 v78, 0, v72, s3
	v_fma_f32 v72, s19, v116, -v71
	v_mul_f32_e32 v73, 0x3fb8aa3b, v73
	v_cndmask_b32_e64 v79, 0, v76, s5
	v_fma_f32 v76, s19, v95, -v71
	s_delay_alu instid0(VALU_DEP_4) | instskip(NEXT) | instid1(VALU_DEP_4)
	v_dual_mul_f32 v75, 0x3fb8aa3b, v75 :: v_dual_mul_f32 v72, 0x3fb8aa3b, v72
	v_exp_f32_e32 v73, v73
	v_exp_f32_e32 v87, v87
	s_delay_alu instid0(VALU_DEP_2) | instskip(NEXT) | instid1(VALU_DEP_2)
	v_mul_f32_e32 v76, 0x3fb8aa3b, v76
	v_exp_f32_e32 v75, v75
	v_cndmask_b32_e64 v85, 0, v85, s11
	v_mul_f32_e32 v81, 0x3fb8aa3b, v81
	v_exp_f32_e32 v72, v72
	v_cndmask_b32_e64 v82, 0, v82, s6
	v_exp_f32_e32 v76, v76
	s_mov_b32 s3, exec_lo
	v_cndmask_b32_e32 v77, 0, v73, vcc_lo
	v_add_f32_e32 v73, 0, v78
	v_cndmask_b32_e64 v87, 0, v87, s13
	v_cndmask_b32_e64 v80, 0, v75, s4
	v_fma_f32 v75, s19, v118, -v71
	v_exp_f32_e32 v83, v81
	v_add_f32_e32 v73, v73, v77
	v_cndmask_b32_e64 v81, 0, v72, s7
	v_cndmask_b32_e64 v86, 0, v76, s10
	v_mul_f32_e32 v75, 0x3fb8aa3b, v75
	s_delay_alu instid0(VALU_DEP_4) | instskip(NEXT) | instid1(VALU_DEP_2)
	v_add_f32_e32 v73, v73, v80
	v_exp_f32_e32 v75, v75
	s_delay_alu instid0(TRANS32_DEP_2) | instskip(NEXT) | instid1(VALU_DEP_2)
	v_cndmask_b32_e64 v84, 0, v83, s8
	v_add_f32_e32 v73, v73, v79
	s_delay_alu instid0(VALU_DEP_1) | instskip(SKIP_3) | instid1(VALU_DEP_1)
	v_add_f32_e32 v72, v73, v82
	s_waitcnt_depctr 0xfff
	v_cndmask_b32_e64 v83, 0, v75, s9
	v_add_f32_e32 v72, v72, v81
	v_add_f32_e32 v72, v72, v84
	s_delay_alu instid0(VALU_DEP_1) | instskip(NEXT) | instid1(VALU_DEP_1)
	v_add_f32_e32 v72, v72, v83
	v_add_f32_e32 v72, v72, v86
	v_fma_f32 v73, s19, v97, -v71
	v_fma_f32 v75, s19, v99, -v71
	;; [unrolled: 1-line block ×4, first 2 shown]
	v_add_f32_e32 v72, v72, v85
	v_mul_f32_e32 v73, 0x3fb8aa3b, v73
	s_delay_alu instid0(VALU_DEP_4) | instskip(NEXT) | instid1(VALU_DEP_2)
	v_dual_mul_f32 v75, 0x3fb8aa3b, v75 :: v_dual_mul_f32 v76, 0x3fb8aa3b, v76
	v_exp_f32_e32 v73, v73
	s_delay_alu instid0(VALU_DEP_1) | instskip(NEXT) | instid1(VALU_DEP_1)
	v_exp_f32_e32 v75, v75
	v_exp_f32_e32 v76, v76
	s_delay_alu instid0(TRANS32_DEP_3)
	v_cndmask_b32_e64 v88, 0, v73, s12
	v_mul_f32_e32 v73, 0x3fb8aa3b, v89
	v_fma_f32 v89, s19, v102, -v71
	s_waitcnt_depctr 0xfff
	v_cndmask_b32_e64 v90, 0, v75, s15
	v_add_f32_e32 v72, v72, v88
	v_exp_f32_e32 v73, v73
	v_mul_f32_e32 v75, 0x3fb8aa3b, v89
	v_cndmask_b32_e64 v89, 0, v76, s16
	s_delay_alu instid0(VALU_DEP_3) | instskip(NEXT) | instid1(VALU_DEP_3)
	v_add_f32_e32 v72, v72, v87
	v_exp_f32_e32 v75, v75
	s_delay_alu instid0(VALU_DEP_1) | instskip(SKIP_4) | instid1(VALU_DEP_2)
	v_add_f32_e32 v72, v72, v90
	s_waitcnt_depctr 0xfff
	v_cndmask_b32_e64 v92, 0, v73, s17
	v_add_f32_e32 v72, v72, v89
	v_cndmask_b32_e64 v91, 0, v75, s18
	v_add_f32_e32 v72, v72, v92
	s_delay_alu instid0(VALU_DEP_1)
	v_add_f32_e32 v72, v72, v91
	ds_bpermute_b32 v73, v74, v72
	v_cmpx_gt_u32_e32 16, v70
	s_cbranch_execz .LBB877_12
; %bb.11:
	v_mul_u32_u24_e32 v70, 0x44, v68
	s_waitcnt lgkmcnt(0)
	v_add_f32_e32 v72, v72, v73
	s_delay_alu instid0(VALU_DEP_2) | instskip(NEXT) | instid1(VALU_DEP_1)
	v_lshl_add_u32 v70, v69, 2, v70
	v_add_nc_u32_e32 v70, 0x4000, v70
	ds_store_2addr_b32 v70, v71, v72 offset1:136
.LBB877_12:
	s_or_b32 exec_lo, exec_lo, s3
	v_lshlrev_b32_e32 v70, 2, v69
	s_load_b32 s35, s[0:1], 0x94
	s_waitcnt lgkmcnt(0)
	s_barrier
	buffer_gl0_inv
	v_add_nc_u32_e32 v74, 0x4000, v70
	v_cmp_eq_u32_e32 vcc_lo, 1, v68
	v_cmp_eq_u32_e64 s3, 2, v68
	v_cmp_eq_u32_e64 s4, 3, v68
	;; [unrolled: 1-line block ×3, first 2 shown]
	ds_load_2addr_b32 v[70:71], v74 offset1:17
	ds_load_2addr_b32 v[72:73], v74 offset0:34 offset1:51
	ds_load_2addr_b32 v[93:94], v74 offset0:68 offset1:85
	;; [unrolled: 1-line block ×3, first 2 shown]
	v_cmp_eq_u32_e64 s6, 5, v68
	v_cmp_eq_u32_e64 s7, 7, v68
	s_waitcnt lgkmcnt(3)
	v_max3_f32 v75, v70, 0xff7fffff, v71
	s_waitcnt lgkmcnt(2)
	s_delay_alu instid0(VALU_DEP_1) | instskip(SKIP_1) | instid1(VALU_DEP_1)
	v_max3_f32 v75, v75, v72, v73
	s_waitcnt lgkmcnt(1)
	v_max3_f32 v75, v75, v93, v94
	s_waitcnt lgkmcnt(0)
	s_delay_alu instid0(VALU_DEP_1) | instskip(NEXT) | instid1(VALU_DEP_1)
	v_max3_f32 v75, v75, v95, v96
	v_sub_f32_e32 v93, v93, v75
	ds_load_2addr_b32 v[97:98], v74 offset0:136 offset1:153
	v_sub_f32_e32 v70, v70, v75
	v_dual_sub_f32 v100, v73, v75 :: v_dual_mul_f32 v103, 0x3fb8aa3b, v93
	s_delay_alu instid0(VALU_DEP_2) | instskip(SKIP_3) | instid1(VALU_DEP_1)
	v_dual_sub_f32 v76, v71, v75 :: v_dual_mul_f32 v99, 0x3fb8aa3b, v70
	ds_load_2addr_b32 v[70:71], v74 offset0:170 offset1:187
	v_mul_f32_e32 v76, 0x3fb8aa3b, v76
	v_exp_f32_e32 v99, v99
	v_exp_f32_e32 v102, v76
	v_mul_f32_e32 v100, 0x3fb8aa3b, v100
	s_waitcnt lgkmcnt(1)
	s_waitcnt_depctr 0xfff
	v_fma_f32 v76, v99, v97, 0
	v_sub_f32_e32 v97, v94, v75
	v_sub_f32_e32 v72, v72, v75
	v_exp_f32_e32 v100, v100
	ds_load_2addr_b32 v[93:94], v74 offset0:238 offset1:255
	v_dual_fmac_f32 v76, v102, v98 :: v_dual_mul_f32 v101, 0x3fb8aa3b, v72
	ds_load_2addr_b32 v[72:73], v74 offset0:204 offset1:221
	v_dual_sub_f32 v74, v95, v75 :: v_dual_mul_f32 v95, 0x3fb8aa3b, v97
	v_exp_f32_e32 v97, v103
	v_exp_f32_e32 v101, v101
	s_waitcnt lgkmcnt(0)
	s_delay_alu instid0(VALU_DEP_1)
	v_mul_f32_e32 v74, 0x3fb8aa3b, v74
	v_exp_f32_e32 v95, v95
	s_barrier
	buffer_gl0_inv
	v_fmac_f32_e32 v76, v101, v70
	v_sub_f32_e32 v70, v96, v75
	v_exp_f32_e32 v96, v74
	s_delay_alu instid0(VALU_DEP_2) | instskip(NEXT) | instid1(VALU_DEP_2)
	v_fmac_f32_e32 v76, v100, v71
	v_mul_f32_e32 v70, 0x3fb8aa3b, v70
	s_delay_alu instid0(VALU_DEP_2) | instskip(NEXT) | instid1(VALU_DEP_2)
	v_dual_cndmask_b32 v71, v99, v102 :: v_dual_fmac_f32 v76, v97, v72
	v_exp_f32_e32 v98, v70
	v_lshlrev_b32_e32 v72, 6, v69
	s_delay_alu instid0(VALU_DEP_2) | instskip(NEXT) | instid1(VALU_DEP_2)
	v_dual_fmac_f32 v76, v95, v73 :: v_dual_lshlrev_b32 v69, 2, v67
	v_lshl_or_b32 v74, v68, 11, v72
	s_delay_alu instid0(VALU_DEP_2)
	v_cmp_eq_u32_e64 s8, 7, v69
	s_delay_alu instid0(TRANS32_DEP_2) | instid1(VALU_DEP_3)
	v_fmac_f32_e32 v76, v96, v93
	s_waitcnt_depctr 0xfff
	v_fmac_f32_e32 v76, v98, v94
	s_delay_alu instid0(VALU_DEP_1) | instskip(NEXT) | instid1(VALU_DEP_1)
	v_add_f32_e32 v73, 0x358637bd, v76
	v_div_scale_f32 v93, null, v73, v73, 1.0
	v_div_scale_f32 v99, vcc_lo, 1.0, v73, 1.0
	s_delay_alu instid0(VALU_DEP_2) | instskip(SKIP_2) | instid1(VALU_DEP_1)
	v_rcp_f32_e32 v94, v93
	s_waitcnt_depctr 0xfff
	v_fma_f32 v70, -v93, v94, 1.0
	v_fmac_f32_e32 v94, v70, v94
	v_cndmask_b32_e64 v70, v71, v101, s3
	v_cmp_eq_u32_e64 s3, 6, v68
	v_or_b32_e32 v71, 1, v69
	v_or_b32_e32 v68, 2, v69
	v_mul_f32_e32 v101, v99, v94
	v_cndmask_b32_e64 v70, v70, v100, s4
	v_cmp_eq_u32_e64 s4, 1, v69
	v_cmp_eq_u32_e64 s9, 1, v71
	v_cmp_eq_u32_e64 s10, 1, v68
	v_fma_f32 v100, -v93, v101, v99
	v_cndmask_b32_e64 v70, v70, v97, s5
	v_cmp_eq_u32_e64 s5, 2, v69
	v_cmp_eq_u32_e64 s12, 2, v71
	;; [unrolled: 1-line block ×3, first 2 shown]
	v_fmac_f32_e32 v101, v100, v94
	v_cndmask_b32_e64 v95, v70, v95, s6
	v_or_b32_e32 v70, 3, v69
	v_cmp_eq_u32_e64 s13, 3, v71
	v_cmp_eq_u32_e64 s17, 3, v68
	v_fma_f32 v93, -v93, v101, v99
	v_cndmask_b32_e64 v95, v95, v96, s3
	v_cmp_eq_u32_e64 s11, 1, v70
	v_cmp_eq_u32_e64 s16, 2, v70
	;; [unrolled: 1-line block ×3, first 2 shown]
	v_div_fmas_f32 v93, v93, v94, v101
	v_cndmask_b32_e64 v94, v95, v98, s7
	v_cmp_eq_u32_e32 vcc_lo, 3, v69
	v_cmp_eq_u32_e64 s3, 4, v69
	v_cmp_eq_u32_e64 s19, 4, v71
	v_div_fixup_f32 v93, v93, v73, 1.0
	v_lshl_or_b32 v73, v67, 4, v74
	v_cmp_eq_u32_e64 s22, 4, v70
	v_cmp_eq_u32_e64 s6, 5, v69
	;; [unrolled: 1-line block ×3, first 2 shown]
	v_mul_f32_e32 v101, v94, v93
	v_cmp_eq_u32_e64 s21, 4, v68
	v_cmp_eq_u32_e64 s24, 5, v70
	;; [unrolled: 1-line block ×4, first 2 shown]
	v_fma_mixlo_f16 v93, v101, v78, 0
	v_fma_mixlo_f16 v94, v101, v80, 0
	;; [unrolled: 1-line block ×8, first 2 shown]
	v_fma_mixhi_f16 v93, v101, v77, 0
	v_fma_mixhi_f16 v94, v101, v79, 0
	;; [unrolled: 1-line block ×8, first 2 shown]
	ds_store_b128 v73, v[93:96]
	ds_store_b128 v73, v[97:100] offset:1024
	s_waitcnt lgkmcnt(0)
	s_barrier
	buffer_gl0_inv
	ds_load_b128 v[77:80], v74
	ds_load_b128 v[81:84], v74 offset:16
	ds_load_b128 v[85:88], v74 offset:1024
	;; [unrolled: 1-line block ×3, first 2 shown]
	v_cmp_eq_u32_e64 s27, 6, v70
	v_cmp_eq_u32_e64 s7, 6, v69
	v_cmp_eq_u32_e64 s26, 6, v68
	v_cmp_eq_u32_e64 s29, 7, v70
	v_cmp_eq_u32_e64 s30, 7, v71
	v_cmp_eq_u32_e64 s28, 7, v68
	s_waitcnt lgkmcnt(3)
	v_lshrrev_b32_e32 v93, 16, v77
	s_waitcnt lgkmcnt(2)
	v_lshrrev_b32_e32 v97, 16, v81
	;; [unrolled: 2-line block ×4, first 2 shown]
	v_lshrrev_b32_e32 v94, 16, v78
	v_cndmask_b32_e64 v109, v77, v93, s4
	v_cndmask_b32_e64 v110, v81, v97, s4
	;; [unrolled: 1-line block ×8, first 2 shown]
	v_lshrrev_b32_e32 v98, 16, v82
	v_cndmask_b32_e64 v93, v85, v101, s4
	v_cndmask_b32_e64 v97, v89, v105, s4
	;; [unrolled: 1-line block ×15, first 2 shown]
	v_lshrrev_b32_e32 v102, 16, v86
	v_lshrrev_b32_e32 v106, 16, v90
	v_cndmask_b32_e64 v112, v114, v82, s15
	v_cndmask_b32_e64 v81, v93, v86, s5
	;; [unrolled: 1-line block ×7, first 2 shown]
	v_cndmask_b32_e32 v89, v101, v94, vcc_lo
	v_cndmask_b32_e32 v101, v105, v98, vcc_lo
	v_cndmask_b32_e64 v105, v109, v94, s13
	v_cndmask_b32_e64 v109, v110, v98, s13
	;; [unrolled: 1-line block ×4, first 2 shown]
	v_lshrrev_b32_e32 v95, 16, v79
	v_lshrrev_b32_e32 v99, 16, v83
	v_cndmask_b32_e64 v110, v111, v94, s17
	v_cndmask_b32_e64 v111, v112, v98, s17
	v_cndmask_b32_e32 v81, v81, v102, vcc_lo
	v_cndmask_b32_e32 v82, v82, v106, vcc_lo
	v_cndmask_b32_e64 v93, v93, v102, s13
	v_cndmask_b32_e64 v89, v89, v79, s3
	;; [unrolled: 1-line block ×7, first 2 shown]
	v_lshrrev_b32_e32 v103, 16, v87
	v_cndmask_b32_e64 v105, v110, v79, s21
	v_cndmask_b32_e64 v109, v111, v83, s21
	;; [unrolled: 1-line block ×11, first 2 shown]
	v_lshrrev_b32_e32 v96, 16, v80
	v_lshrrev_b32_e32 v100, 16, v84
	v_cndmask_b32_e64 v98, v105, v95, s23
	v_cndmask_b32_e64 v101, v109, v99, s23
	;; [unrolled: 1-line block ×7, first 2 shown]
	v_lshrrev_b32_e32 v104, 16, v88
	v_cndmask_b32_e64 v79, v79, v103, s6
	v_cndmask_b32_e64 v83, v83, v80, s7
	;; [unrolled: 1-line block ×16, first 2 shown]
	v_perm_b32 v80, v78, v77, 0x5040100
	v_perm_b32 v78, v94, v84, 0x5040100
	v_cndmask_b32_e64 v77, v118, v90, s15
	v_cndmask_b32_e64 v84, v116, v90, s12
	;; [unrolled: 1-line block ×3, first 2 shown]
	v_perm_b32 v79, v93, v89, 0x5040100
	v_cndmask_b32_e64 v89, v97, v102, s17
	v_cndmask_b32_e64 v85, v85, v102, s18
	;; [unrolled: 1-line block ×5, first 2 shown]
	v_lshrrev_b32_e32 v107, 16, v91
	v_cndmask_b32_e64 v89, v89, v87, s21
	v_cndmask_b32_e64 v85, v85, v87, s22
	;; [unrolled: 1-line block ×11, first 2 shown]
	v_lshrrev_b32_e32 v108, 16, v92
	v_cndmask_b32_e64 v81, v81, v92, s7
	v_cndmask_b32_e64 v87, v87, v88, s26
	;; [unrolled: 1-line block ×12, first 2 shown]
	v_perm_b32 v77, v83, v82, 0x5040100
	v_perm_b32 v84, v86, v85, 0x5040100
	;; [unrolled: 1-line block ×5, first 2 shown]
	s_lshl_b32 s8, s33, 3
	s_mov_b32 s3, exec_lo
	ds_store_b128 v73, v[77:80]
	ds_store_b128 v73, v[81:84] offset:1024
	v_cmpx_gt_u32_e32 8, v0
	s_cbranch_execz .LBB877_14
; %bb.13:
	v_or_b32_e32 v77, s31, v0
	s_load_b128 s[4:7], s[0:1], 0x58
	s_delay_alu instid0(VALU_DEP_1) | instskip(NEXT) | instid1(VALU_DEP_1)
	v_mad_u64_u32 v[78:79], null, s8, s34, v[77:78]
	v_mad_u64_u32 v[79:80], null, v78, s35, s[14:15]
	s_delay_alu instid0(VALU_DEP_1) | instskip(NEXT) | instid1(VALU_DEP_1)
	v_ashrrev_i32_e32 v80, 31, v79
	v_lshlrev_b64 v[77:78], 2, v[79:80]
	s_waitcnt lgkmcnt(0)
	s_delay_alu instid0(VALU_DEP_1) | instskip(NEXT) | instid1(VALU_DEP_2)
	v_add_co_u32 v79, vcc_lo, s6, v77
	v_add_co_ci_u32_e32 v80, vcc_lo, s7, v78, vcc_lo
	v_add_co_u32 v77, vcc_lo, s4, v77
	v_add_co_ci_u32_e32 v78, vcc_lo, s5, v78, vcc_lo
	global_store_b32 v[79:80], v75, off
	global_store_b32 v[77:78], v76, off
.LBB877_14:
	s_or_b32 exec_lo, exec_lo, s3
	s_waitcnt lgkmcnt(0)
	s_waitcnt_vscnt null, 0x0
	s_barrier
	buffer_gl0_inv
	ds_load_b128 v[83:86], v72
	ds_load_b128 v[87:90], v72 offset:16
	ds_load_b128 v[95:98], v72 offset:2064
	;; [unrolled: 1-line block ×5, first 2 shown]
	v_cmp_eq_u32_e32 vcc_lo, 1, v69
	v_mov_b32_e32 v75, 0
	ds_load_b128 v[111:114], v72 offset:6160
	ds_load_b128 v[107:110], v72 offset:6144
	;; [unrolled: 1-line block ×4, first 2 shown]
	v_cmp_eq_u32_e64 s4, 1, v68
	v_cmp_eq_u32_e64 s3, 1, v71
	v_cmp_eq_u32_e64 s5, 2, v71
	v_mov_b32_e32 v76, v75
	v_mov_b32_e32 v77, v75
	;; [unrolled: 1-line block ×7, first 2 shown]
	v_cmp_eq_u32_e64 s6, 3, v71
	v_cmp_eq_u32_e64 s7, 7, v71
	s_waitcnt lgkmcnt(8)
	s_delay_alu instid0(VALU_DEP_3)
	v_wmma_f32_16x16x16_f16 v[75:82], v[49:56], v[83:90], v[75:82]
	ds_load_b128 v[53:56], v72 offset:10256
	ds_load_b128 v[49:52], v72 offset:10240
	s_waitcnt lgkmcnt(8)
	v_wmma_f32_16x16x16_f16 v[75:82], v[41:48], v[91:98], v[75:82]
	ds_load_b128 v[45:48], v72 offset:12304
	ds_load_b128 v[41:44], v72 offset:12288
	s_waitcnt lgkmcnt(8)
	;; [unrolled: 4-line block ×3, first 2 shown]
	s_barrier
	buffer_gl0_inv
	v_wmma_f32_16x16x16_f16 v[75:82], v[1:8], v[107:114], v[75:82]
	s_delay_alu instid0(VALU_DEP_1) | instskip(NEXT) | instid1(VALU_DEP_1)
	v_wmma_f32_16x16x16_f16 v[75:82], v[9:16], v[115:122], v[75:82]
	v_wmma_f32_16x16x16_f16 v[75:82], v[17:24], v[49:56], v[75:82]
	s_delay_alu instid0(VALU_DEP_1) | instskip(NEXT) | instid1(VALU_DEP_1)
	v_wmma_f32_16x16x16_f16 v[75:82], v[25:32], v[41:48], v[75:82]
	v_wmma_f32_16x16x16_f16 v[75:82], v[57:64], v[33:40], v[75:82]
	s_delay_alu instid0(VALU_DEP_1) | instskip(NEXT) | instid1(VALU_DEP_2)
	v_cvt_f16_f32_e32 v1, v75
	v_cvt_f16_f32_e32 v2, v76
	s_delay_alu instid0(VALU_DEP_3) | instskip(NEXT) | instid1(VALU_DEP_4)
	v_cvt_f16_f32_e32 v3, v77
	v_cvt_f16_f32_e32 v4, v78
	v_cvt_f16_f32_e32 v5, v79
	v_cvt_f16_f32_e32 v6, v80
	v_cvt_f16_f32_e32 v7, v81
	v_cvt_f16_f32_e32 v8, v82
	v_pack_b32_f16 v1, v1, v2
	v_pack_b32_f16 v2, v3, v4
	;; [unrolled: 1-line block ×3, first 2 shown]
	s_delay_alu instid0(VALU_DEP_4)
	v_pack_b32_f16 v4, v7, v8
	ds_store_b128 v73, v[1:4]
	s_waitcnt lgkmcnt(0)
	s_barrier
	buffer_gl0_inv
	ds_load_b128 v[1:4], v74
	ds_load_b128 v[5:8], v74 offset:16
	s_waitcnt lgkmcnt(1)
	v_lshrrev_b32_e32 v9, 16, v1
	s_waitcnt lgkmcnt(0)
	v_lshrrev_b32_e32 v13, 16, v5
	v_lshrrev_b32_e32 v10, 16, v2
	;; [unrolled: 1-line block ×4, first 2 shown]
	v_cndmask_b32_e32 v17, v1, v9, vcc_lo
	v_cndmask_b32_e32 v18, v5, v13, vcc_lo
	v_cndmask_b32_e64 v21, v1, v9, s4
	v_cmp_eq_u32_e32 vcc_lo, 1, v70
	v_cndmask_b32_e64 v22, v5, v13, s4
	v_cmp_eq_u32_e64 s4, 2, v69
	v_cndmask_b32_e64 v19, v1, v9, s3
	v_cndmask_b32_e64 v20, v5, v13, s3
	v_cndmask_b32_e32 v1, v1, v9, vcc_lo
	v_cmp_eq_u32_e64 s3, 2, v70
	v_cndmask_b32_e32 v5, v5, v13, vcc_lo
	v_cndmask_b32_e64 v9, v17, v2, s4
	v_cmp_eq_u32_e32 vcc_lo, 3, v69
	v_cndmask_b32_e64 v13, v18, v6, s4
	v_cmp_eq_u32_e64 s4, 2, v68
	v_cndmask_b32_e64 v17, v19, v2, s5
	v_cndmask_b32_e64 v18, v20, v6, s5
	v_cmp_eq_u32_e64 s5, 3, v68
	v_cndmask_b32_e64 v1, v1, v2, s3
	v_cndmask_b32_e64 v19, v21, v2, s4
	;; [unrolled: 1-line block ×4, first 2 shown]
	v_cndmask_b32_e32 v5, v9, v10, vcc_lo
	v_cndmask_b32_e32 v6, v13, v14, vcc_lo
	v_cmp_eq_u32_e32 vcc_lo, 3, v70
	v_cndmask_b32_e64 v9, v17, v10, s6
	v_cndmask_b32_e64 v13, v18, v14, s6
	;; [unrolled: 1-line block ×3, first 2 shown]
	v_cmp_eq_u32_e64 s4, 4, v69
	v_cndmask_b32_e32 v1, v1, v10, vcc_lo
	v_cndmask_b32_e32 v2, v2, v14, vcc_lo
	v_cmp_eq_u32_e32 vcc_lo, 4, v71
	v_lshrrev_b32_e32 v15, 16, v7
	v_lshrrev_b32_e32 v16, 16, v8
	v_cndmask_b32_e64 v17, v19, v10, s5
	v_cmp_eq_u32_e64 s3, 4, v70
	v_cndmask_b32_e64 v5, v5, v3, s4
	v_cndmask_b32_e64 v6, v6, v7, s4
	v_cndmask_b32_e32 v9, v9, v3, vcc_lo
	v_cmp_eq_u32_e64 s4, 5, v71
	v_cndmask_b32_e32 v10, v13, v7, vcc_lo
	v_cmp_eq_u32_e32 vcc_lo, 4, v68
	v_cmp_eq_u32_e64 s5, 5, v69
	v_cndmask_b32_e64 v2, v2, v7, s3
	v_cndmask_b32_e64 v9, v9, v11, s4
	;; [unrolled: 1-line block ×3, first 2 shown]
	v_cndmask_b32_e32 v13, v17, v3, vcc_lo
	v_cmp_eq_u32_e64 s4, 5, v68
	v_cndmask_b32_e32 v14, v18, v7, vcc_lo
	v_cndmask_b32_e64 v1, v1, v3, s3
	v_cmp_eq_u32_e32 vcc_lo, 5, v70
	v_lshrrev_b32_e32 v12, 16, v4
	v_cndmask_b32_e64 v13, v13, v11, s4
	v_cndmask_b32_e64 v3, v14, v15, s4
	v_cmp_eq_u32_e64 s4, 6, v70
	v_cndmask_b32_e32 v1, v1, v11, vcc_lo
	v_cndmask_b32_e64 v5, v5, v11, s5
	v_cmp_eq_u32_e64 s6, 6, v69
	v_cndmask_b32_e64 v6, v6, v15, s5
	v_cmp_eq_u32_e64 s5, 6, v71
	v_cmp_eq_u32_e64 s3, 6, v68
	v_cndmask_b32_e64 v1, v1, v4, s4
	v_cndmask_b32_e32 v2, v2, v15, vcc_lo
	v_cmp_eq_u32_e32 vcc_lo, 7, v70
	v_cndmask_b32_e64 v5, v5, v4, s6
	v_cndmask_b32_e64 v9, v9, v4, s5
	;; [unrolled: 1-line block ×3, first 2 shown]
	v_cmp_eq_u32_e64 s6, 7, v69
	v_cndmask_b32_e32 v1, v1, v12, vcc_lo
	v_cndmask_b32_e64 v7, v13, v4, s3
	v_cndmask_b32_e64 v3, v3, v8, s3
	;; [unrolled: 1-line block ×3, first 2 shown]
	v_cmp_eq_u32_e64 s3, 7, v68
	v_cndmask_b32_e64 v4, v10, v8, s5
	v_cndmask_b32_e64 v5, v5, v12, s6
	v_cndmask_b32_e64 v9, v9, v12, s7
	v_cndmask_b32_e32 v2, v2, v16, vcc_lo
	v_cndmask_b32_e64 v7, v7, v12, s3
	v_cndmask_b32_e64 v3, v3, v16, s3
	;; [unrolled: 1-line block ×4, first 2 shown]
	v_cmp_gt_u32_e32 vcc_lo, 32, v0
	v_perm_b32 v4, v2, v1, 0x5040100
	v_perm_b32 v3, v3, v7, 0x5040100
	;; [unrolled: 1-line block ×4, first 2 shown]
	s_and_b32 s2, vcc_lo, s2
	ds_store_b128 v73, v[1:4]
	s_waitcnt lgkmcnt(0)
	s_barrier
	buffer_gl0_inv
	s_and_saveexec_b32 s3, s2
	s_cbranch_execz .LBB877_2
; %bb.15:
	s_load_b64 s[0:1], s[0:1], 0x68
	s_lshl_b32 s4, s35, 6
	v_or_b32_e32 v2, s31, v67
	s_mul_i32 s2, s4, s34
	v_lshlrev_b32_e32 v1, 10, v0
	s_mul_i32 s2, s2, s8
	v_lshlrev_b32_e32 v3, 4, v66
	v_mul_lo_u32 v0, v2, s4
	s_ashr_i32 s3, s2, 31
	v_lshlrev_b32_e32 v4, 6, v67
	v_and_b32_e32 v1, 0x3800, v1
	v_or_b32_e32 v5, 2, v2
	s_lshl_b64 s[2:3], s[2:3], 1
	v_or_b32_e32 v6, 4, v2
	v_or_b32_e32 v7, 6, v2
	v_or3_b32 v12, v1, v3, v4
	v_ashrrev_i32_e32 v1, 31, v0
	v_mul_lo_u32 v2, v5, s4
	v_mul_lo_u32 v16, v6, s4
	v_mul_lo_u32 v20, v7, s4
	s_waitcnt lgkmcnt(0)
	s_add_u32 s2, s0, s2
	s_addc_u32 s3, s1, s3
	s_lshl_b32 s0, s14, 6
	v_lshlrev_b64 v[0:1], 1, v[0:1]
	s_ashr_i32 s1, s0, 31
	v_ashrrev_i32_e32 v3, 31, v2
	s_lshl_b64 s[0:1], s[0:1], 1
	v_ashrrev_i32_e32 v17, 31, v16
	s_add_u32 s0, s2, s0
	s_addc_u32 s1, s3, s1
	v_add_co_u32 v24, s0, s0, v65
	s_delay_alu instid0(VALU_DEP_1) | instskip(SKIP_1) | instid1(VALU_DEP_3)
	v_add_co_ci_u32_e64 v25, null, s1, 0, s0
	v_lshlrev_b64 v[22:23], 1, v[2:3]
	v_add_co_u32 v18, vcc_lo, v24, v0
	s_delay_alu instid0(VALU_DEP_3)
	v_add_co_ci_u32_e32 v19, vcc_lo, v25, v1, vcc_lo
	ds_load_b128 v[0:3], v12
	ds_load_b128 v[4:7], v12 offset:128
	ds_load_b128 v[8:11], v12 offset:256
	;; [unrolled: 1-line block ×3, first 2 shown]
	v_ashrrev_i32_e32 v21, 31, v20
	v_lshlrev_b64 v[16:17], 1, v[16:17]
	v_add_co_u32 v22, vcc_lo, v24, v22
	v_add_co_ci_u32_e32 v23, vcc_lo, v25, v23, vcc_lo
	s_delay_alu instid0(VALU_DEP_4) | instskip(NEXT) | instid1(VALU_DEP_4)
	v_lshlrev_b64 v[20:21], 1, v[20:21]
	v_add_co_u32 v16, vcc_lo, v24, v16
	v_add_co_ci_u32_e32 v17, vcc_lo, v25, v17, vcc_lo
	s_delay_alu instid0(VALU_DEP_3) | instskip(NEXT) | instid1(VALU_DEP_4)
	v_add_co_u32 v20, vcc_lo, v24, v20
	v_add_co_ci_u32_e32 v21, vcc_lo, v25, v21, vcc_lo
	s_waitcnt lgkmcnt(3)
	global_store_b128 v[18:19], v[0:3], off
	s_waitcnt lgkmcnt(2)
	global_store_b128 v[22:23], v[4:7], off
	;; [unrolled: 2-line block ×4, first 2 shown]
	s_nop 0
	s_sendmsg sendmsg(MSG_DEALLOC_VGPRS)
	s_endpgm
	.section	.rodata,"a",@progbits
	.p2align	6, 0x0
	.amdhsa_kernel _Z39paged_attention_ll4mi_QKV_mfma16_kernelIDF16_hLN4vllm18Fp8KVCacheDataTypeE1EhLi32ELi64ELi256ELb0ELi8EL8MFMAType1EEvPKT_PKT0_S8_ifPKiSA_SA_iPKfiiiPfSD_PS3_PT2_iSC_SC_
		.amdhsa_group_segment_fixed_size 17472
		.amdhsa_private_segment_fixed_size 0
		.amdhsa_kernarg_size 400
		.amdhsa_user_sgpr_count 13
		.amdhsa_user_sgpr_dispatch_ptr 0
		.amdhsa_user_sgpr_queue_ptr 0
		.amdhsa_user_sgpr_kernarg_segment_ptr 1
		.amdhsa_user_sgpr_dispatch_id 0
		.amdhsa_user_sgpr_private_segment_size 0
		.amdhsa_wavefront_size32 1
		.amdhsa_uses_dynamic_stack 0
		.amdhsa_enable_private_segment 0
		.amdhsa_system_sgpr_workgroup_id_x 1
		.amdhsa_system_sgpr_workgroup_id_y 1
		.amdhsa_system_sgpr_workgroup_id_z 1
		.amdhsa_system_sgpr_workgroup_info 0
		.amdhsa_system_vgpr_workitem_id 0
		.amdhsa_next_free_vgpr 123
		.amdhsa_next_free_sgpr 42
		.amdhsa_reserve_vcc 1
		.amdhsa_float_round_mode_32 0
		.amdhsa_float_round_mode_16_64 0
		.amdhsa_float_denorm_mode_32 3
		.amdhsa_float_denorm_mode_16_64 3
		.amdhsa_dx10_clamp 1
		.amdhsa_ieee_mode 1
		.amdhsa_fp16_overflow 0
		.amdhsa_workgroup_processor_mode 1
		.amdhsa_memory_ordered 1
		.amdhsa_forward_progress 0
		.amdhsa_shared_vgpr_count 0
		.amdhsa_exception_fp_ieee_invalid_op 0
		.amdhsa_exception_fp_denorm_src 0
		.amdhsa_exception_fp_ieee_div_zero 0
		.amdhsa_exception_fp_ieee_overflow 0
		.amdhsa_exception_fp_ieee_underflow 0
		.amdhsa_exception_fp_ieee_inexact 0
		.amdhsa_exception_int_div_zero 0
	.end_amdhsa_kernel
	.section	.text._Z39paged_attention_ll4mi_QKV_mfma16_kernelIDF16_hLN4vllm18Fp8KVCacheDataTypeE1EhLi32ELi64ELi256ELb0ELi8EL8MFMAType1EEvPKT_PKT0_S8_ifPKiSA_SA_iPKfiiiPfSD_PS3_PT2_iSC_SC_,"axG",@progbits,_Z39paged_attention_ll4mi_QKV_mfma16_kernelIDF16_hLN4vllm18Fp8KVCacheDataTypeE1EhLi32ELi64ELi256ELb0ELi8EL8MFMAType1EEvPKT_PKT0_S8_ifPKiSA_SA_iPKfiiiPfSD_PS3_PT2_iSC_SC_,comdat
.Lfunc_end877:
	.size	_Z39paged_attention_ll4mi_QKV_mfma16_kernelIDF16_hLN4vllm18Fp8KVCacheDataTypeE1EhLi32ELi64ELi256ELb0ELi8EL8MFMAType1EEvPKT_PKT0_S8_ifPKiSA_SA_iPKfiiiPfSD_PS3_PT2_iSC_SC_, .Lfunc_end877-_Z39paged_attention_ll4mi_QKV_mfma16_kernelIDF16_hLN4vllm18Fp8KVCacheDataTypeE1EhLi32ELi64ELi256ELb0ELi8EL8MFMAType1EEvPKT_PKT0_S8_ifPKiSA_SA_iPKfiiiPfSD_PS3_PT2_iSC_SC_
                                        ; -- End function
	.section	.AMDGPU.csdata,"",@progbits
; Kernel info:
; codeLenInByte = 6500
; NumSgprs: 44
; NumVgprs: 123
; ScratchSize: 0
; MemoryBound: 0
; FloatMode: 240
; IeeeMode: 1
; LDSByteSize: 17472 bytes/workgroup (compile time only)
; SGPRBlocks: 5
; VGPRBlocks: 15
; NumSGPRsForWavesPerEU: 44
; NumVGPRsForWavesPerEU: 123
; Occupancy: 10
; WaveLimiterHint : 1
; COMPUTE_PGM_RSRC2:SCRATCH_EN: 0
; COMPUTE_PGM_RSRC2:USER_SGPR: 13
; COMPUTE_PGM_RSRC2:TRAP_HANDLER: 0
; COMPUTE_PGM_RSRC2:TGID_X_EN: 1
; COMPUTE_PGM_RSRC2:TGID_Y_EN: 1
; COMPUTE_PGM_RSRC2:TGID_Z_EN: 1
; COMPUTE_PGM_RSRC2:TIDIG_COMP_CNT: 0
	.section	.text._Z39paged_attention_ll4mi_QKV_mfma16_kernelIDF16_hLN4vllm18Fp8KVCacheDataTypeE1EhLi32ELi64ELi256ELb0ELi9EL8MFMAType1EEvPKT_PKT0_S8_ifPKiSA_SA_iPKfiiiPfSD_PS3_PT2_iSC_SC_,"axG",@progbits,_Z39paged_attention_ll4mi_QKV_mfma16_kernelIDF16_hLN4vllm18Fp8KVCacheDataTypeE1EhLi32ELi64ELi256ELb0ELi9EL8MFMAType1EEvPKT_PKT0_S8_ifPKiSA_SA_iPKfiiiPfSD_PS3_PT2_iSC_SC_,comdat
	.protected	_Z39paged_attention_ll4mi_QKV_mfma16_kernelIDF16_hLN4vllm18Fp8KVCacheDataTypeE1EhLi32ELi64ELi256ELb0ELi9EL8MFMAType1EEvPKT_PKT0_S8_ifPKiSA_SA_iPKfiiiPfSD_PS3_PT2_iSC_SC_ ; -- Begin function _Z39paged_attention_ll4mi_QKV_mfma16_kernelIDF16_hLN4vllm18Fp8KVCacheDataTypeE1EhLi32ELi64ELi256ELb0ELi9EL8MFMAType1EEvPKT_PKT0_S8_ifPKiSA_SA_iPKfiiiPfSD_PS3_PT2_iSC_SC_
	.globl	_Z39paged_attention_ll4mi_QKV_mfma16_kernelIDF16_hLN4vllm18Fp8KVCacheDataTypeE1EhLi32ELi64ELi256ELb0ELi9EL8MFMAType1EEvPKT_PKT0_S8_ifPKiSA_SA_iPKfiiiPfSD_PS3_PT2_iSC_SC_
	.p2align	8
	.type	_Z39paged_attention_ll4mi_QKV_mfma16_kernelIDF16_hLN4vllm18Fp8KVCacheDataTypeE1EhLi32ELi64ELi256ELb0ELi9EL8MFMAType1EEvPKT_PKT0_S8_ifPKiSA_SA_iPKfiiiPfSD_PS3_PT2_iSC_SC_,@function
_Z39paged_attention_ll4mi_QKV_mfma16_kernelIDF16_hLN4vllm18Fp8KVCacheDataTypeE1EhLi32ELi64ELi256ELb0ELi9EL8MFMAType1EEvPKT_PKT0_S8_ifPKiSA_SA_iPKfiiiPfSD_PS3_PT2_iSC_SC_: ; @_Z39paged_attention_ll4mi_QKV_mfma16_kernelIDF16_hLN4vllm18Fp8KVCacheDataTypeE1EhLi32ELi64ELi256ELb0ELi9EL8MFMAType1EEvPKT_PKT0_S8_ifPKiSA_SA_iPKfiiiPfSD_PS3_PT2_iSC_SC_
; %bb.0:
	s_load_b64 s[2:3], s[0:1], 0x30
	s_mov_b32 s34, s13
	s_waitcnt lgkmcnt(0)
	s_cmp_lg_u64 s[2:3], 0
	s_cselect_b32 s6, -1, 0
	s_ashr_i32 s35, s13, 31
	s_cmp_eq_u64 s[2:3], 0
	s_cbranch_scc1 .LBB878_3
; %bb.1:
	s_lshl_b64 s[4:5], s[34:35], 2
	s_delay_alu instid0(SALU_CYCLE_1) | instskip(SKIP_4) | instid1(SALU_CYCLE_1)
	s_add_u32 s4, s2, s4
	s_addc_u32 s5, s3, s5
	s_load_b64 s[4:5], s[4:5], 0x0
	s_waitcnt lgkmcnt(0)
	s_sub_i32 s4, s5, s4
	s_cmp_eq_u32 s4, 1
	s_cselect_b32 s4, -1, 0
	s_delay_alu instid0(SALU_CYCLE_1)
	s_and_not1_b32 vcc_lo, exec_lo, s4
	s_cbranch_vccz .LBB878_4
.LBB878_2:
	s_nop 0
	s_sendmsg sendmsg(MSG_DEALLOC_VGPRS)
	s_endpgm
.LBB878_3:
.LBB878_4:
	s_load_b64 s[8:9], s[0:1], 0x28
	s_lshl_b64 s[4:5], s[34:35], 2
	s_waitcnt lgkmcnt(0)
	s_add_u32 s8, s8, s4
	s_addc_u32 s9, s9, s5
	s_lshl_b32 s16, s14, 8
	s_load_b32 s18, s[8:9], 0x0
	s_waitcnt lgkmcnt(0)
	s_cmp_ge_i32 s16, s18
	s_cbranch_scc1 .LBB878_2
; %bb.5:
	s_clause 0x1
	s_load_b128 s[8:11], s[0:1], 0x8
	s_load_b64 s[12:13], s[0:1], 0x20
	s_and_not1_b32 vcc_lo, exec_lo, s6
	s_cbranch_vccnz .LBB878_7
; %bb.6:
	s_add_u32 s2, s2, s4
	s_addc_u32 s3, s3, s5
	s_load_b32 s3, s[2:3], 0x0
	s_branch .LBB878_8
.LBB878_7:
	s_mov_b32 s3, s34
.LBB878_8:
	s_load_b128 s[4:7], s[0:1], 0x48
	v_lshrrev_b32_e32 v69, 5, v0
	v_bfe_u32 v66, v0, 4, 1
	v_and_b32_e32 v68, 15, v0
	v_and_b32_e32 v70, 31, v0
	;; [unrolled: 1-line block ×3, first 2 shown]
	s_mul_i32 s33, s15, 9
	v_lshl_or_b32 v1, v69, 1, v66
	v_lshlrev_b32_e32 v2, 3, v68
	v_cmp_gt_u32_e64 s2, 8, v68
	s_delay_alu instid0(VALU_DEP_3) | instskip(NEXT) | instid1(VALU_DEP_3)
	v_cmp_gt_u32_e32 vcc_lo, 9, v1
	v_lshlrev_b32_e32 v65, 1, v2
	s_delay_alu instid0(VALU_DEP_3)
	s_and_b32 s17, s2, vcc_lo
	s_waitcnt lgkmcnt(0)
	s_and_saveexec_b32 s7, s17
	s_cbranch_execz .LBB878_10
; %bb.9:
	s_load_b64 s[20:21], s[0:1], 0x0
	v_add_lshl_u32 v2, v1, s33, 6
	s_mul_hi_i32 s23, s3, s4
	s_mul_i32 s22, s3, s4
	v_lshlrev_b32_e32 v6, 10, v68
	s_lshl_b64 s[22:23], s[22:23], 1
	v_ashrrev_i32_e32 v3, 31, v2
	v_lshlrev_b32_e32 v1, 6, v1
	v_lshlrev_b32_e32 v7, 10, v67
	v_and_b32_e32 v6, 0x3800, v6
	s_delay_alu instid0(VALU_DEP_4) | instskip(NEXT) | instid1(VALU_DEP_2)
	v_lshlrev_b64 v[2:3], 1, v[2:3]
	v_or3_b32 v1, v6, v7, v1
	s_waitcnt lgkmcnt(0)
	s_add_u32 s3, s20, s22
	s_addc_u32 s4, s21, s23
	s_delay_alu instid0(VALU_DEP_2) | instskip(SKIP_1) | instid1(VALU_DEP_2)
	v_add_co_u32 v2, vcc_lo, s3, v2
	v_add_co_ci_u32_e32 v3, vcc_lo, s4, v3, vcc_lo
	v_add_co_u32 v2, vcc_lo, v2, v65
	s_delay_alu instid0(VALU_DEP_2)
	v_add_co_ci_u32_e32 v3, vcc_lo, 0, v3, vcc_lo
	global_load_b128 v[2:5], v[2:3], off
	s_waitcnt vmcnt(0)
	ds_store_b128 v1, v[2:5]
.LBB878_10:
	s_or_b32 exec_lo, exec_lo, s7
	v_and_b32_e32 v1, 0xef, v0
	s_add_i32 s3, s18, 31
	s_clause 0x1
	s_load_b32 s4, s[0:1], 0x38
	s_load_b32 s35, s[0:1], 0x98
	s_ashr_i32 s7, s3, 31
	v_add_nc_u32_e32 v1, s16, v1
	s_lshr_b32 s7, s7, 27
	s_load_b32 s19, s[0:1], 0x1c
	v_add_nc_u32_e32 v103, -9, v68
	s_add_i32 s3, s3, s7
	v_ashrrev_i32_e32 v2, 31, v1
	v_or_b32_e32 v3, 16, v1
	s_ashr_i32 s3, s3, 5
	v_cmp_gt_i32_e32 vcc_lo, s18, v1
	s_add_i32 s3, s3, -1
	v_lshrrev_b32_e32 v2, 27, v2
	s_waitcnt lgkmcnt(0)
	s_barrier
	buffer_gl0_inv
	s_mul_i32 s15, s15, s6
	v_add_nc_u32_e32 v4, v1, v2
	v_mbcnt_lo_u32_b32 v127, -1, 0
	s_mul_i32 s20, s34, s4
	s_delay_alu instid0(SALU_CYCLE_1) | instskip(NEXT) | instid1(VALU_DEP_2)
	s_ashr_i32 s21, s20, 31
	v_ashrrev_i32_e32 v4, 5, v4
	v_add_nc_u32_e32 v2, v3, v2
	s_lshl_b64 s[20:21], s[20:21], 2
	v_xor_b32_e32 v128, 16, v127
	s_add_u32 s17, s12, s20
	v_cndmask_b32_e32 v1, s3, v4, vcc_lo
	v_ashrrev_i32_e32 v2, 5, v2
	v_cmp_gt_i32_e32 vcc_lo, s18, v3
	s_addc_u32 s13, s13, s21
	s_ashr_i32 s20, s15, 31
	s_add_u32 s22, s8, s15
	s_addc_u32 s23, s9, s20
	v_cndmask_b32_e32 v3, s3, v2, vcc_lo
	v_ashrrev_i32_e32 v2, 31, v1
	s_lshl_b32 s6, s14, 3
	s_delay_alu instid0(SALU_CYCLE_1) | instskip(NEXT) | instid1(VALU_DEP_2)
	s_ashr_i32 s7, s6, 31
	v_ashrrev_i32_e32 v4, 31, v3
	s_delay_alu instid0(VALU_DEP_2) | instskip(SKIP_1) | instid1(SALU_CYCLE_1)
	v_lshlrev_b64 v[1:2], 2, v[1:2]
	s_lshl_b64 s[6:7], s[6:7], 2
	s_add_u32 s6, s17, s6
	s_delay_alu instid0(VALU_DEP_2) | instskip(SKIP_1) | instid1(VALU_DEP_2)
	v_lshlrev_b64 v[3:4], 2, v[3:4]
	s_addc_u32 s7, s13, s7
	v_add_co_u32 v1, vcc_lo, s17, v1
	v_add_co_ci_u32_e32 v2, vcc_lo, s13, v2, vcc_lo
	s_delay_alu instid0(VALU_DEP_3) | instskip(NEXT) | instid1(VALU_DEP_4)
	v_add_co_u32 v3, vcc_lo, s17, v3
	v_add_co_ci_u32_e32 v4, vcc_lo, s13, v4, vcc_lo
	s_clause 0x1
	global_load_b32 v5, v[1:2], off
	global_load_b32 v6, v[3:4], off
	s_or_b32 s4, s16, 32
	s_delay_alu instid0(SALU_CYCLE_1) | instskip(SKIP_2) | instid1(SALU_CYCLE_1)
	s_ashr_i32 s8, s4, 5
	s_cmp_lt_i32 s4, s18
	s_cselect_b32 s8, s8, s3
	s_ashr_i32 s9, s8, 31
	s_delay_alu instid0(SALU_CYCLE_1) | instskip(NEXT) | instid1(SALU_CYCLE_1)
	s_lshl_b64 s[8:9], s[8:9], 2
	s_add_u32 s8, s17, s8
	s_addc_u32 s9, s13, s9
	s_or_b32 s4, s16, 64
	s_delay_alu instid0(SALU_CYCLE_1) | instskip(SKIP_2) | instid1(SALU_CYCLE_1)
	s_ashr_i32 s12, s4, 5
	s_cmp_lt_i32 s4, s18
	s_cselect_b32 s24, s12, s3
	s_ashr_i32 s25, s24, 31
	s_delay_alu instid0(SALU_CYCLE_1) | instskip(NEXT) | instid1(SALU_CYCLE_1)
	s_lshl_b64 s[24:25], s[24:25], 2
	s_add_u32 s24, s17, s24
	s_addc_u32 s25, s13, s25
	;; [unrolled: 10-line block ×5, first 2 shown]
	s_clause 0x5
	s_load_b32 s12, s[6:7], 0x0
	s_load_b32 s4, s[8:9], 0x0
	;; [unrolled: 1-line block ×6, first 2 shown]
	s_or_b32 s21, s16, 0xc0
	s_waitcnt vmcnt(1)
	v_mad_i64_i32 v[1:2], null, v5, s5, s[22:23]
	v_lshlrev_b32_e32 v5, 4, v68
	s_waitcnt vmcnt(0)
	v_mad_i64_i32 v[3:4], null, v6, s5, s[22:23]
	s_ashr_i32 s22, s21, 5
	s_cmp_lt_i32 s21, s18
	s_delay_alu instid0(VALU_DEP_3) | instskip(NEXT) | instid1(VALU_DEP_4)
	v_add_co_u32 v1, vcc_lo, v1, v5
	v_add_co_ci_u32_e32 v2, vcc_lo, 0, v2, vcc_lo
	s_delay_alu instid0(VALU_DEP_3) | instskip(NEXT) | instid1(VALU_DEP_4)
	v_add_co_u32 v3, vcc_lo, v3, v5
	v_add_co_ci_u32_e32 v4, vcc_lo, 0, v4, vcc_lo
	s_clause 0x7
	global_load_b128 v[71:74], v[1:2], off
	global_load_b128 v[75:78], v[1:2], off offset:512
	global_load_b128 v[79:82], v[3:4], off offset:256
	;; [unrolled: 1-line block ×7, first 2 shown]
	s_cselect_b32 s22, s22, s3
	v_lshlrev_b32_e32 v1, 5, v68
	s_ashr_i32 s23, s22, 31
	v_cmp_gt_u32_e32 vcc_lo, 9, v68
	s_lshl_b64 s[22:23], s[22:23], 2
	s_delay_alu instid0(SALU_CYCLE_1)
	s_add_u32 s22, s17, s22
	s_addc_u32 s23, s13, s23
	s_or_b32 s21, s16, 0xe0
	v_lshl_or_b32 v1, v69, 9, v1
	s_ashr_i32 s24, s21, 5
	s_cmp_lt_i32 s21, s18
	v_cndmask_b32_e32 v103, v103, v68, vcc_lo
	s_cselect_b32 s24, s24, s3
	s_load_b32 s3, s[22:23], 0x0
	s_ashr_i32 s25, s24, 31
	v_cmp_gt_i32_e32 vcc_lo, 32, v128
	s_lshl_b64 s[24:25], s[24:25], 2
	v_lshlrev_b32_e32 v115, 6, v103
	s_add_u32 s22, s17, s24
	s_addc_u32 s23, s13, s25
	v_cndmask_b32_e32 v136, v127, v128, vcc_lo
	s_add_u32 s10, s10, s15
	s_addc_u32 s11, s11, s20
	v_add_co_u32 v1, s10, s10, v1
	s_delay_alu instid0(VALU_DEP_1) | instskip(SKIP_2) | instid1(VALU_DEP_1)
	v_add_co_ci_u32_e64 v2, null, s11, 0, s10
	s_load_b32 s10, s[22:23], 0x0
	s_waitcnt lgkmcnt(0)
	v_mad_i64_i32 v[3:4], null, s12, s5, v[1:2]
	v_mad_i64_i32 v[9:10], null, s7, s5, v[1:2]
	;; [unrolled: 1-line block ×7, first 2 shown]
	s_clause 0x5
	global_load_b128 v[49:52], v[3:4], off
	global_load_b128 v[53:56], v[3:4], off offset:16
	global_load_b128 v[41:44], v[5:6], off
	global_load_b128 v[45:48], v[5:6], off offset:16
	;; [unrolled: 2-line block ×3, first 2 shown]
	s_mov_b32 s4, 0
	v_mad_i64_i32 v[61:62], null, s10, s5, v[1:2]
	s_clause 0x9
	global_load_b128 v[1:4], v[9:10], off
	global_load_b128 v[5:8], v[9:10], off offset:16
	global_load_b128 v[9:12], v[13:14], off
	global_load_b128 v[13:16], v[13:14], off offset:16
	;; [unrolled: 2-line block ×5, first 2 shown]
	s_mov_b32 s5, s4
	s_mov_b32 s6, s4
	;; [unrolled: 1-line block ×7, first 2 shown]
	v_and_b32_e32 v104, 0xe0, v0
	v_dual_mov_b32 v126, s11 :: v_dual_mov_b32 v125, s10
	v_dual_mov_b32 v124, s9 :: v_dual_mov_b32 v123, s8
	s_delay_alu instid0(VALU_DEP_3)
	v_add_nc_u32_e32 v111, s16, v104
	ds_load_b128 v[103:106], v115
	ds_load_b128 v[107:110], v115 offset:1024
	v_dual_mov_b32 v122, s7 :: v_dual_mov_b32 v121, s6
	v_mov_b32_e32 v120, s5
	v_or_b32_e32 v135, v111, v66
	ds_load_b128 v[111:114], v115 offset:2048
	ds_load_b128 v[115:118], v115 offset:3072
	v_mov_b32_e32 v119, s4
	s_waitcnt vmcnt(0) lgkmcnt(0)
	s_barrier
	v_or_b32_e32 v137, 2, v135
	v_or_b32_e32 v138, 4, v135
	;; [unrolled: 1-line block ×3, first 2 shown]
	v_cmp_gt_i32_e32 vcc_lo, s18, v135
	v_or_b32_e32 v140, 8, v135
	v_cmp_gt_i32_e64 s3, s18, v137
	v_or_b32_e32 v141, 10, v135
	v_cmp_gt_i32_e64 s4, s18, v138
	v_cmp_gt_i32_e64 s5, s18, v139
	v_or_b32_e32 v142, 12, v135
	v_or_b32_e32 v143, 14, v135
	v_cmp_gt_i32_e64 s6, s18, v140
	v_cmp_gt_i32_e64 s7, s18, v141
	v_or_b32_e32 v144, 16, v135
	v_or_b32_e32 v145, 18, v135
	v_cmp_gt_i32_e64 s8, s18, v142
	v_cmp_gt_i32_e64 s9, s18, v143
	buffer_gl0_inv
	v_cmp_gt_i32_e64 s10, s18, v144
	v_cmp_gt_i32_e64 s11, s18, v145
	v_wmma_f32_16x16x16_f16 v[127:134], v[71:78], v[103:110], v[119:126]
	v_wmma_f32_16x16x16_f16 v[119:126], v[79:86], v[103:110], v[119:126]
	v_or_b32_e32 v71, 20, v135
	v_or_b32_e32 v72, 22, v135
	s_delay_alu instid0(VALU_DEP_4)
	v_wmma_f32_16x16x16_f16 v[127:134], v[87:94], v[111:118], v[127:134]
	v_or_b32_e32 v73, 24, v135
	v_wmma_f32_16x16x16_f16 v[119:126], v[95:102], v[111:118], v[119:126]
	v_or_b32_e32 v74, 26, v135
	v_cmp_gt_i32_e64 s12, s18, v71
	v_dual_mul_f32 v83, s19, v128 :: v_dual_mul_f32 v84, s19, v127
	s_delay_alu instid0(VALU_DEP_4) | instskip(SKIP_1) | instid1(VALU_DEP_3)
	v_dual_mul_f32 v81, s19, v130 :: v_dual_mul_f32 v92, s19, v119
	v_mul_f32_e32 v82, s19, v129
	v_cndmask_b32_e64 v83, 0xff7fffff, v83, s3
	s_delay_alu instid0(VALU_DEP_4)
	v_cndmask_b32_e32 v84, 0xff7fffff, v84, vcc_lo
	v_dual_mul_f32 v79, s19, v132 :: v_dual_mul_f32 v90, s19, v121
	v_mul_f32_e32 v80, s19, v131
	v_cndmask_b32_e64 v82, 0xff7fffff, v82, s4
	v_cndmask_b32_e64 v81, 0xff7fffff, v81, s5
	v_max3_f32 v83, v84, 0xff7fffff, v83
	v_dual_mul_f32 v77, s19, v134 :: v_dual_mul_f32 v88, s19, v123
	v_mul_f32_e32 v78, s19, v133
	v_cndmask_b32_e64 v80, 0xff7fffff, v80, s6
	v_cndmask_b32_e64 v79, 0xff7fffff, v79, s7
	v_max3_f32 v81, v83, v82, v81
	v_mul_f32_e32 v91, s19, v120
	v_cndmask_b32_e64 v78, 0xff7fffff, v78, s8
	v_cndmask_b32_e64 v77, 0xff7fffff, v77, s9
	v_mul_f32_e32 v89, s19, v122
	v_max3_f32 v79, v81, v80, v79
	v_cndmask_b32_e64 v80, 0xff7fffff, v92, s10
	v_cndmask_b32_e64 v81, 0xff7fffff, v91, s11
	v_cmp_gt_i32_e64 s13, s18, v72
	v_or_b32_e32 v75, 28, v135
	v_max3_f32 v77, v79, v78, v77
	v_or_b32_e32 v76, 30, v135
	v_mul_f32_e32 v87, s19, v124
	v_cndmask_b32_e64 v71, 0xff7fffff, v90, s12
	v_cndmask_b32_e64 v72, 0xff7fffff, v89, s13
	v_max3_f32 v77, v77, v80, v81
	v_cmp_gt_i32_e64 s15, s18, v73
	v_cmp_gt_i32_e64 s16, s18, v74
	v_dual_mul_f32 v85, s19, v126 :: v_dual_mul_f32 v86, s19, v125
	s_delay_alu instid0(VALU_DEP_4) | instskip(NEXT) | instid1(VALU_DEP_4)
	v_max3_f32 v71, v77, v71, v72
	v_cndmask_b32_e64 v73, 0xff7fffff, v88, s15
	s_delay_alu instid0(VALU_DEP_4) | instskip(SKIP_2) | instid1(VALU_DEP_3)
	v_cndmask_b32_e64 v74, 0xff7fffff, v87, s16
	v_cmp_gt_i32_e64 s17, s18, v75
	v_cmp_gt_i32_e64 s18, s18, v76
	v_max3_f32 v71, v71, v73, v74
	s_delay_alu instid0(VALU_DEP_3) | instskip(NEXT) | instid1(VALU_DEP_3)
	v_cndmask_b32_e64 v72, 0xff7fffff, v86, s17
	v_cndmask_b32_e64 v75, 0xff7fffff, v85, s18
	v_lshlrev_b32_e32 v73, 2, v136
	s_delay_alu instid0(VALU_DEP_2) | instskip(SKIP_3) | instid1(VALU_DEP_1)
	v_max3_f32 v71, v71, v72, v75
	ds_bpermute_b32 v72, v73, v71
	s_waitcnt lgkmcnt(0)
	v_max_f32_e32 v72, v72, v72
	v_max_f32_e32 v71, v71, v72
	s_delay_alu instid0(VALU_DEP_1)
	v_fma_f32 v72, s19, v127, -v71
	v_fma_f32 v74, s19, v128, -v71
	;; [unrolled: 1-line block ×5, first 2 shown]
	v_mul_f32_e32 v72, 0x3fb8aa3b, v72
	v_mul_f32_e32 v74, 0x3fb8aa3b, v74
	v_fma_f32 v80, s19, v133, -v71
	s_delay_alu instid0(VALU_DEP_4) | instskip(NEXT) | instid1(VALU_DEP_4)
	v_dual_mul_f32 v76, 0x3fb8aa3b, v76 :: v_dual_mul_f32 v77, 0x3fb8aa3b, v77
	v_exp_f32_e32 v72, v72
	s_delay_alu instid0(VALU_DEP_3) | instskip(NEXT) | instid1(VALU_DEP_2)
	v_exp_f32_e32 v74, v74
	v_mul_f32_e32 v82, 0x3fb8aa3b, v80
	s_delay_alu instid0(VALU_DEP_2) | instskip(SKIP_1) | instid1(VALU_DEP_1)
	v_exp_f32_e32 v76, v76
	v_exp_f32_e32 v77, v77
	;; [unrolled: 1-line block ×3, first 2 shown]
	v_cndmask_b32_e32 v79, 0, v72, vcc_lo
	v_fma_f32 v72, s19, v132, -v71
	v_mul_f32_e32 v75, 0x3fb8aa3b, v75
	v_cndmask_b32_e64 v78, 0, v74, s3
	s_delay_alu instid0(TRANS32_DEP_3)
	v_cndmask_b32_e64 v80, 0, v76, s5
	v_add_f32_e32 v74, 0, v79
	v_mul_f32_e32 v72, 0x3fb8aa3b, v72
	v_exp_f32_e32 v75, v75
	v_cndmask_b32_e64 v83, 0, v77, s6
	v_cndmask_b32_e64 v85, 0, v84, s8
	v_add_f32_e32 v74, v74, v78
	v_exp_f32_e32 v72, v72
	v_cmp_gt_u32_e64 s3, 16, v70
	s_waitcnt_depctr 0xfff
	v_cndmask_b32_e64 v81, 0, v75, s4
	v_cndmask_b32_e64 v82, 0, v72, s7
	s_delay_alu instid0(VALU_DEP_2) | instskip(NEXT) | instid1(VALU_DEP_1)
	v_add_f32_e32 v74, v74, v81
	v_add_f32_e32 v74, v74, v80
	s_delay_alu instid0(VALU_DEP_1) | instskip(SKIP_4) | instid1(VALU_DEP_4)
	v_add_f32_e32 v72, v74, v83
	v_fma_f32 v75, s19, v134, -v71
	v_fma_f32 v76, s19, v119, -v71
	;; [unrolled: 1-line block ×4, first 2 shown]
	v_dual_add_f32 v72, v72, v82 :: v_dual_mul_f32 v75, 0x3fb8aa3b, v75
	s_delay_alu instid0(VALU_DEP_3) | instskip(SKIP_1) | instid1(VALU_DEP_3)
	v_dual_mul_f32 v76, 0x3fb8aa3b, v76 :: v_dual_mul_f32 v77, 0x3fb8aa3b, v77
	v_fma_f32 v86, s19, v122, -v71
	v_add_f32_e32 v72, v72, v85
	s_delay_alu instid0(VALU_DEP_4) | instskip(NEXT) | instid1(VALU_DEP_3)
	v_exp_f32_e32 v75, v75
	v_exp_f32_e32 v76, v76
	;; [unrolled: 1-line block ×3, first 2 shown]
	v_mul_f32_e32 v86, 0x3fb8aa3b, v86
	s_delay_alu instid0(VALU_DEP_1) | instskip(SKIP_3) | instid1(TRANS32_DEP_3)
	v_exp_f32_e32 v88, v86
	v_cndmask_b32_e64 v84, 0, v75, s9
	v_fma_f32 v75, s19, v123, -v71
	v_mul_f32_e32 v74, 0x3fb8aa3b, v74
	v_cndmask_b32_e64 v87, 0, v76, s10
	v_fma_f32 v76, s19, v124, -v71
	s_delay_alu instid0(VALU_DEP_4) | instskip(NEXT) | instid1(VALU_DEP_4)
	v_dual_add_f32 v72, v72, v84 :: v_dual_mul_f32 v75, 0x3fb8aa3b, v75
	v_exp_f32_e32 v74, v74
	v_cndmask_b32_e64 v86, 0, v77, s11
	v_fma_f32 v77, s19, v125, -v71
	s_delay_alu instid0(VALU_DEP_3) | instskip(SKIP_3) | instid1(VALU_DEP_3)
	v_add_f32_e32 v72, v72, v87
	v_mul_f32_e32 v76, 0x3fb8aa3b, v76
	v_exp_f32_e32 v75, v75
	v_cndmask_b32_e64 v88, 0, v88, s13
	v_add_f32_e32 v72, v72, v86
	s_delay_alu instid0(VALU_DEP_3) | instskip(NEXT) | instid1(TRANS32_DEP_3)
	v_exp_f32_e32 v76, v76
	v_cndmask_b32_e64 v89, 0, v74, s12
	v_mul_f32_e32 v74, 0x3fb8aa3b, v77
	v_fma_f32 v77, s19, v126, -v71
	s_delay_alu instid0(VALU_DEP_3) | instskip(NEXT) | instid1(VALU_DEP_3)
	v_add_f32_e32 v72, v72, v89
	v_exp_f32_e32 v74, v74
	s_delay_alu instid0(TRANS32_DEP_3) | instskip(NEXT) | instid1(VALU_DEP_3)
	v_cndmask_b32_e64 v91, 0, v75, s15
	v_mul_f32_e32 v75, 0x3fb8aa3b, v77
	s_delay_alu instid0(TRANS32_DEP_2) | instskip(SKIP_1) | instid1(VALU_DEP_3)
	v_cndmask_b32_e64 v90, 0, v76, s16
	v_add_f32_e32 v72, v72, v88
	v_exp_f32_e32 v75, v75
	s_delay_alu instid0(VALU_DEP_1) | instskip(NEXT) | instid1(TRANS32_DEP_2)
	v_add_f32_e32 v72, v72, v91
	v_cndmask_b32_e64 v93, 0, v74, s17
	s_delay_alu instid0(VALU_DEP_2) | instskip(SKIP_3) | instid1(VALU_DEP_1)
	v_add_f32_e32 v72, v72, v90
	s_waitcnt_depctr 0xfff
	v_cndmask_b32_e64 v92, 0, v75, s18
	v_add_f32_e32 v72, v72, v93
	v_add_f32_e32 v72, v72, v92
	ds_bpermute_b32 v73, v73, v72
	s_and_saveexec_b32 s4, s3
	s_cbranch_execz .LBB878_12
; %bb.11:
	v_mul_u32_u24_e32 v70, 0x44, v69
	s_waitcnt lgkmcnt(0)
	v_add_f32_e32 v72, v72, v73
	s_delay_alu instid0(VALU_DEP_2) | instskip(NEXT) | instid1(VALU_DEP_1)
	v_lshl_add_u32 v70, v68, 2, v70
	v_add_nc_u32_e32 v70, 0x4000, v70
	ds_store_2addr_b32 v70, v71, v72 offset1:136
.LBB878_12:
	s_or_b32 exec_lo, exec_lo, s4
	v_lshlrev_b32_e32 v70, 2, v68
	s_load_b32 s36, s[0:1], 0x94
	s_waitcnt lgkmcnt(0)
	s_barrier
	buffer_gl0_inv
	v_add_nc_u32_e32 v98, 0x4000, v70
	v_cmp_eq_u32_e32 vcc_lo, 1, v69
	v_cmp_eq_u32_e64 s4, 2, v69
	v_cmp_eq_u32_e64 s5, 3, v69
	;; [unrolled: 1-line block ×3, first 2 shown]
	ds_load_2addr_b32 v[70:71], v98 offset1:17
	ds_load_2addr_b32 v[72:73], v98 offset0:34 offset1:51
	ds_load_2addr_b32 v[74:75], v98 offset0:68 offset1:85
	;; [unrolled: 1-line block ×3, first 2 shown]
	v_cmp_eq_u32_e64 s7, 5, v69
	v_cmp_eq_u32_e64 s8, 7, v69
	s_waitcnt lgkmcnt(3)
	v_max3_f32 v76, v70, 0xff7fffff, v71
	s_waitcnt lgkmcnt(2)
	s_delay_alu instid0(VALU_DEP_1) | instskip(SKIP_1) | instid1(VALU_DEP_1)
	v_max3_f32 v76, v76, v72, v73
	s_waitcnt lgkmcnt(1)
	v_max3_f32 v76, v76, v74, v75
	s_waitcnt lgkmcnt(0)
	s_delay_alu instid0(VALU_DEP_1) | instskip(NEXT) | instid1(VALU_DEP_1)
	v_max3_f32 v76, v76, v94, v95
	v_sub_f32_e32 v77, v71, v76
	ds_load_2addr_b32 v[96:97], v98 offset0:136 offset1:153
	v_sub_f32_e32 v74, v74, v76
	v_sub_f32_e32 v70, v70, v76
	v_sub_f32_e32 v94, v94, v76
	v_dual_sub_f32 v72, v72, v76 :: v_dual_mul_f32 v77, 0x3fb8aa3b, v77
	s_delay_alu instid0(VALU_DEP_4) | instskip(NEXT) | instid1(VALU_DEP_4)
	v_mul_f32_e32 v103, 0x3fb8aa3b, v74
	v_mul_f32_e32 v99, 0x3fb8aa3b, v70
	ds_load_2addr_b32 v[70:71], v98 offset0:170 offset1:187
	v_dual_mul_f32 v101, 0x3fb8aa3b, v72 :: v_dual_mul_f32 v94, 0x3fb8aa3b, v94
	v_exp_f32_e32 v102, v77
	v_exp_f32_e32 v99, v99
	s_delay_alu instid0(VALU_DEP_1) | instskip(NEXT) | instid1(VALU_DEP_1)
	v_exp_f32_e32 v101, v101
	v_exp_f32_e32 v94, v94
	s_waitcnt lgkmcnt(1)
	s_delay_alu instid0(TRANS32_DEP_3)
	v_fma_f32 v77, v99, v96, 0
	v_sub_f32_e32 v100, v73, v76
	ds_load_2addr_b32 v[72:73], v98 offset0:204 offset1:221
	v_fmac_f32_e32 v77, v102, v97
	v_exp_f32_e32 v97, v103
	s_waitcnt lgkmcnt(1)
	s_delay_alu instid0(VALU_DEP_1)
	v_dual_fmac_f32 v77, v101, v70 :: v_dual_sub_f32 v96, v75, v76
	ds_load_2addr_b32 v[74:75], v98 offset0:238 offset1:255
	v_sub_f32_e32 v70, v95, v76
	s_waitcnt lgkmcnt(0)
	s_barrier
	v_mul_f32_e32 v96, 0x3fb8aa3b, v96
	buffer_gl0_inv
	v_exp_f32_e32 v95, v96
	v_mul_f32_e32 v100, 0x3fb8aa3b, v100
	s_delay_alu instid0(VALU_DEP_1) | instskip(SKIP_3) | instid1(VALU_DEP_2)
	v_exp_f32_e32 v100, v100
	s_waitcnt_depctr 0xfff
	v_dual_fmac_f32 v77, v100, v71 :: v_dual_mul_f32 v70, 0x3fb8aa3b, v70
	v_cndmask_b32_e32 v71, v99, v102, vcc_lo
	v_fmac_f32_e32 v77, v97, v72
	s_delay_alu instid0(VALU_DEP_3) | instskip(NEXT) | instid1(VALU_DEP_1)
	v_exp_f32_e32 v96, v70
	v_fmac_f32_e32 v77, v95, v73
	s_delay_alu instid0(VALU_DEP_1) | instskip(SKIP_2) | instid1(VALU_DEP_1)
	v_fmac_f32_e32 v77, v94, v74
	s_waitcnt_depctr 0xfff
	v_fmac_f32_e32 v77, v96, v75
	v_add_f32_e32 v74, 0x358637bd, v77
	s_delay_alu instid0(VALU_DEP_1) | instskip(SKIP_1) | instid1(VALU_DEP_2)
	v_div_scale_f32 v98, null, v74, v74, 1.0
	v_div_scale_f32 v99, vcc_lo, 1.0, v74, 1.0
	v_rcp_f32_e32 v103, v98
	s_waitcnt_depctr 0xfff
	v_fma_f32 v70, -v98, v103, 1.0
	s_delay_alu instid0(VALU_DEP_1) | instskip(SKIP_2) | instid1(VALU_DEP_2)
	v_fmac_f32_e32 v103, v70, v103
	v_cndmask_b32_e64 v70, v71, v101, s4
	v_cmp_eq_u32_e64 s4, 6, v69
	v_cndmask_b32_e64 v71, v70, v100, s5
	s_delay_alu instid0(VALU_DEP_4) | instskip(NEXT) | instid1(VALU_DEP_2)
	v_dual_mul_f32 v101, v99, v103 :: v_dual_lshlrev_b32 v70, 2, v66
	v_cndmask_b32_e64 v71, v71, v97, s6
	s_delay_alu instid0(VALU_DEP_2) | instskip(NEXT) | instid1(VALU_DEP_3)
	v_or_b32_e32 v72, 1, v70
	v_fma_f32 v100, -v98, v101, v99
	v_cmp_eq_u32_e64 s5, 1, v70
	v_cmp_eq_u32_e64 s6, 2, v70
	v_cndmask_b32_e64 v95, v71, v95, s7
	v_or_b32_e32 v71, 3, v70
	v_fmac_f32_e32 v101, v100, v103
	v_cmp_eq_u32_e64 s10, 1, v72
	v_cmp_eq_u32_e64 s13, 2, v72
	v_cndmask_b32_e64 v94, v95, v94, s4
	v_cmp_eq_u32_e64 s12, 1, v71
	v_fma_f32 v97, -v98, v101, v99
	v_cmp_eq_u32_e64 s17, 2, v71
	v_cmp_eq_u32_e64 s15, 3, v72
	v_cndmask_b32_e64 v94, v94, v96, s8
	v_cmp_eq_u32_e64 s19, 3, v71
	v_div_fmas_f32 v95, v97, v103, v101
	v_cmp_eq_u32_e32 vcc_lo, 3, v70
	v_cmp_eq_u32_e64 s4, 4, v70
	v_cmp_eq_u32_e64 s20, 4, v72
	;; [unrolled: 1-line block ×3, first 2 shown]
	v_div_fixup_f32 v95, v95, v74, 1.0
	v_lshlrev_b32_e32 v73, 6, v68
	v_cmp_eq_u32_e64 s7, 5, v70
	v_cmp_eq_u32_e64 s21, 5, v72
	v_cmp_eq_u32_e64 s25, 5, v71
	v_mul_f32_e32 v102, v94, v95
	v_lshl_or_b32 v75, v69, 11, v73
	v_or_b32_e32 v69, 2, v70
	v_cmp_eq_u32_e64 s26, 6, v72
	v_cmp_eq_u32_e64 s28, 6, v71
	v_fma_mixlo_f16 v94, v102, v79, 0
	v_fma_mixlo_f16 v95, v102, v81, 0
	;; [unrolled: 1-line block ×8, first 2 shown]
	v_lshl_or_b32 v74, v66, 4, v75
	v_fma_mixhi_f16 v94, v102, v78, 0
	v_fma_mixhi_f16 v95, v102, v80, 0
	;; [unrolled: 1-line block ×8, first 2 shown]
	ds_store_b128 v74, v[94:97]
	ds_store_b128 v74, v[98:101] offset:1024
	s_waitcnt lgkmcnt(0)
	s_barrier
	buffer_gl0_inv
	ds_load_b128 v[78:81], v75
	ds_load_b128 v[82:85], v75 offset:16
	ds_load_b128 v[86:89], v75 offset:1024
	;; [unrolled: 1-line block ×3, first 2 shown]
	v_cmp_eq_u32_e64 s11, 1, v69
	v_cmp_eq_u32_e64 s16, 2, v69
	v_cmp_eq_u32_e64 s18, 3, v69
	v_cmp_eq_u32_e64 s22, 4, v69
	v_cmp_eq_u32_e64 s24, 5, v69
	v_cmp_eq_u32_e64 s8, 6, v70
	v_cmp_eq_u32_e64 s27, 6, v69
	v_cmp_eq_u32_e64 s30, 7, v71
	v_cmp_eq_u32_e64 s31, 7, v72
	v_cmp_eq_u32_e64 s9, 7, v70
	v_cmp_eq_u32_e64 s29, 7, v69
	s_waitcnt lgkmcnt(3)
	v_lshrrev_b32_e32 v94, 16, v78
	s_waitcnt lgkmcnt(2)
	v_lshrrev_b32_e32 v98, 16, v82
	;; [unrolled: 2-line block ×4, first 2 shown]
	v_lshrrev_b32_e32 v95, 16, v79
	v_cndmask_b32_e64 v110, v78, v94, s5
	v_cndmask_b32_e64 v111, v82, v98, s5
	;; [unrolled: 1-line block ×8, first 2 shown]
	v_lshrrev_b32_e32 v99, 16, v83
	v_cndmask_b32_e64 v94, v86, v102, s5
	v_cndmask_b32_e64 v98, v90, v106, s5
	v_cndmask_b32_e64 v116, v86, v102, s10
	v_cndmask_b32_e64 v117, v90, v106, s10
	v_cndmask_b32_e64 v118, v86, v102, s11
	v_cndmask_b32_e64 v119, v90, v106, s11
	v_cndmask_b32_e64 v86, v86, v102, s12
	v_cndmask_b32_e64 v90, v90, v106, s12
	v_cndmask_b32_e64 v102, v110, v79, s6
	v_cndmask_b32_e64 v106, v111, v83, s6
	v_cndmask_b32_e64 v110, v112, v79, s13
	v_cndmask_b32_e64 v111, v113, v83, s13
	v_cndmask_b32_e64 v112, v114, v79, s16
	v_cndmask_b32_e64 v78, v78, v79, s17
	v_cndmask_b32_e64 v79, v82, v83, s17
	v_lshrrev_b32_e32 v103, 16, v87
	v_lshrrev_b32_e32 v107, 16, v91
	v_cndmask_b32_e64 v113, v115, v83, s16
	v_cndmask_b32_e64 v82, v94, v87, s6
	;; [unrolled: 1-line block ×7, first 2 shown]
	v_cndmask_b32_e32 v90, v102, v95, vcc_lo
	v_cndmask_b32_e32 v102, v106, v99, vcc_lo
	v_cndmask_b32_e64 v106, v110, v95, s15
	v_cndmask_b32_e64 v110, v111, v99, s15
	;; [unrolled: 1-line block ×4, first 2 shown]
	v_lshrrev_b32_e32 v96, 16, v80
	v_lshrrev_b32_e32 v100, 16, v84
	v_cndmask_b32_e64 v111, v112, v95, s18
	v_cndmask_b32_e64 v112, v113, v99, s18
	v_cndmask_b32_e32 v82, v82, v103, vcc_lo
	v_cndmask_b32_e32 v83, v83, v107, vcc_lo
	v_cndmask_b32_e64 v94, v94, v103, s15
	v_cndmask_b32_e64 v90, v90, v80, s4
	;; [unrolled: 1-line block ×7, first 2 shown]
	v_lshrrev_b32_e32 v104, 16, v88
	v_cndmask_b32_e64 v106, v111, v80, s22
	v_cndmask_b32_e64 v110, v112, v84, s22
	;; [unrolled: 1-line block ×11, first 2 shown]
	v_lshrrev_b32_e32 v97, 16, v81
	v_lshrrev_b32_e32 v101, 16, v85
	v_cndmask_b32_e64 v99, v106, v96, s24
	v_cndmask_b32_e64 v102, v110, v100, s24
	;; [unrolled: 1-line block ×7, first 2 shown]
	v_lshrrev_b32_e32 v105, 16, v89
	v_cndmask_b32_e64 v80, v80, v104, s7
	v_cndmask_b32_e64 v84, v84, v81, s8
	;; [unrolled: 1-line block ×16, first 2 shown]
	v_perm_b32 v81, v79, v78, 0x5040100
	v_perm_b32 v79, v95, v85, 0x5040100
	v_cndmask_b32_e64 v78, v119, v91, s16
	v_cndmask_b32_e64 v85, v117, v91, s13
	;; [unrolled: 1-line block ×3, first 2 shown]
	v_perm_b32 v80, v94, v90, 0x5040100
	v_cndmask_b32_e64 v90, v98, v103, s18
	v_cndmask_b32_e64 v86, v86, v103, s19
	;; [unrolled: 1-line block ×5, first 2 shown]
	v_lshrrev_b32_e32 v108, 16, v92
	v_cndmask_b32_e64 v90, v90, v88, s22
	v_cndmask_b32_e64 v86, v86, v88, s23
	;; [unrolled: 1-line block ×11, first 2 shown]
	v_lshrrev_b32_e32 v109, 16, v93
	v_cndmask_b32_e64 v82, v82, v93, s8
	v_cndmask_b32_e64 v88, v88, v89, s27
	v_cndmask_b32_e64 v86, v86, v89, s28
	v_cndmask_b32_e64 v87, v87, v93, s28
	v_cndmask_b32_e64 v78, v78, v93, s27
	v_cndmask_b32_e64 v85, v85, v93, s26
	v_cndmask_b32_e64 v88, v88, v105, s29
	v_cndmask_b32_e64 v86, v86, v105, s30
	v_cndmask_b32_e64 v87, v87, v109, s30
	v_cndmask_b32_e64 v89, v78, v109, s29
	v_cndmask_b32_e64 v90, v85, v109, s31
	v_cndmask_b32_e64 v82, v82, v109, s9
	v_perm_b32 v78, v84, v83, 0x5040100
	v_perm_b32 v85, v87, v86, 0x5040100
	;; [unrolled: 1-line block ×5, first 2 shown]
	s_mul_i32 s9, s35, 9
	s_mov_b32 s4, exec_lo
	ds_store_b128 v74, v[78:81]
	ds_store_b128 v74, v[82:85] offset:1024
	v_cmpx_gt_u32_e32 9, v0
	s_cbranch_execz .LBB878_14
; %bb.13:
	s_mul_i32 s5, s9, s34
	s_load_b128 s[16:19], s[0:1], 0x58
	v_add3_u32 v68, s5, s33, v68
	s_delay_alu instid0(VALU_DEP_1) | instskip(NEXT) | instid1(VALU_DEP_1)
	v_mad_u64_u32 v[78:79], null, v68, s36, s[14:15]
	v_ashrrev_i32_e32 v79, 31, v78
	s_delay_alu instid0(VALU_DEP_1) | instskip(SKIP_1) | instid1(VALU_DEP_1)
	v_lshlrev_b64 v[78:79], 2, v[78:79]
	s_waitcnt lgkmcnt(0)
	v_add_co_u32 v80, vcc_lo, s18, v78
	s_delay_alu instid0(VALU_DEP_2)
	v_add_co_ci_u32_e32 v81, vcc_lo, s19, v79, vcc_lo
	v_add_co_u32 v78, vcc_lo, s16, v78
	v_add_co_ci_u32_e32 v79, vcc_lo, s17, v79, vcc_lo
	global_store_b32 v[80:81], v76, off
	global_store_b32 v[78:79], v77, off
.LBB878_14:
	s_or_b32 exec_lo, exec_lo, s4
	s_waitcnt lgkmcnt(0)
	s_waitcnt_vscnt null, 0x0
	s_barrier
	buffer_gl0_inv
	ds_load_b128 v[84:87], v73
	ds_load_b128 v[88:91], v73 offset:16
	ds_load_b128 v[96:99], v73 offset:2064
	;; [unrolled: 1-line block ×5, first 2 shown]
	v_cmp_eq_u32_e32 vcc_lo, 1, v70
	v_mov_b32_e32 v76, 0
	ds_load_b128 v[112:115], v73 offset:6160
	ds_load_b128 v[108:111], v73 offset:6144
	ds_load_b128 v[120:123], v73 offset:8208
	ds_load_b128 v[116:119], v73 offset:8192
	v_cmp_eq_u32_e64 s5, 1, v69
	v_cmp_eq_u32_e64 s4, 1, v72
	;; [unrolled: 1-line block ×3, first 2 shown]
	v_mov_b32_e32 v77, v76
	v_mov_b32_e32 v78, v76
	;; [unrolled: 1-line block ×7, first 2 shown]
	v_cmp_eq_u32_e64 s7, 3, v72
	v_cmp_eq_u32_e64 s8, 7, v72
	s_waitcnt lgkmcnt(8)
	s_delay_alu instid0(VALU_DEP_3)
	v_wmma_f32_16x16x16_f16 v[76:83], v[49:56], v[84:91], v[76:83]
	ds_load_b128 v[53:56], v73 offset:10256
	ds_load_b128 v[49:52], v73 offset:10240
	s_waitcnt lgkmcnt(8)
	v_wmma_f32_16x16x16_f16 v[76:83], v[41:48], v[92:99], v[76:83]
	ds_load_b128 v[45:48], v73 offset:12304
	ds_load_b128 v[41:44], v73 offset:12288
	s_waitcnt lgkmcnt(8)
	;; [unrolled: 4-line block ×3, first 2 shown]
	s_barrier
	buffer_gl0_inv
	v_wmma_f32_16x16x16_f16 v[76:83], v[1:8], v[108:115], v[76:83]
	s_delay_alu instid0(VALU_DEP_1) | instskip(NEXT) | instid1(VALU_DEP_1)
	v_wmma_f32_16x16x16_f16 v[76:83], v[9:16], v[116:123], v[76:83]
	v_wmma_f32_16x16x16_f16 v[76:83], v[17:24], v[49:56], v[76:83]
	s_delay_alu instid0(VALU_DEP_1) | instskip(NEXT) | instid1(VALU_DEP_1)
	v_wmma_f32_16x16x16_f16 v[76:83], v[25:32], v[41:48], v[76:83]
	v_wmma_f32_16x16x16_f16 v[76:83], v[57:64], v[33:40], v[76:83]
	s_delay_alu instid0(VALU_DEP_1) | instskip(NEXT) | instid1(VALU_DEP_2)
	v_cvt_f16_f32_e32 v1, v76
	v_cvt_f16_f32_e32 v2, v77
	s_delay_alu instid0(VALU_DEP_3) | instskip(NEXT) | instid1(VALU_DEP_4)
	v_cvt_f16_f32_e32 v3, v78
	v_cvt_f16_f32_e32 v4, v79
	;; [unrolled: 1-line block ×6, first 2 shown]
	v_pack_b32_f16 v1, v1, v2
	v_pack_b32_f16 v2, v3, v4
	;; [unrolled: 1-line block ×3, first 2 shown]
	s_delay_alu instid0(VALU_DEP_4)
	v_pack_b32_f16 v4, v7, v8
	ds_store_b128 v74, v[1:4]
	s_waitcnt lgkmcnt(0)
	s_barrier
	buffer_gl0_inv
	ds_load_b128 v[1:4], v75
	ds_load_b128 v[5:8], v75 offset:16
	s_waitcnt lgkmcnt(1)
	v_lshrrev_b32_e32 v9, 16, v1
	s_waitcnt lgkmcnt(0)
	v_lshrrev_b32_e32 v13, 16, v5
	v_lshrrev_b32_e32 v10, 16, v2
	;; [unrolled: 1-line block ×4, first 2 shown]
	v_cndmask_b32_e32 v17, v1, v9, vcc_lo
	v_cndmask_b32_e32 v18, v5, v13, vcc_lo
	v_cndmask_b32_e64 v21, v1, v9, s5
	v_cmp_eq_u32_e32 vcc_lo, 1, v71
	v_cndmask_b32_e64 v22, v5, v13, s5
	v_cmp_eq_u32_e64 s5, 2, v70
	v_cndmask_b32_e64 v19, v1, v9, s4
	v_cndmask_b32_e64 v20, v5, v13, s4
	v_cndmask_b32_e32 v1, v1, v9, vcc_lo
	v_cmp_eq_u32_e64 s4, 2, v71
	v_cndmask_b32_e32 v5, v5, v13, vcc_lo
	v_cndmask_b32_e64 v9, v17, v2, s5
	v_cmp_eq_u32_e32 vcc_lo, 3, v70
	v_cndmask_b32_e64 v13, v18, v6, s5
	v_cmp_eq_u32_e64 s5, 2, v69
	v_cndmask_b32_e64 v17, v19, v2, s6
	v_cndmask_b32_e64 v18, v20, v6, s6
	v_cmp_eq_u32_e64 s6, 3, v69
	v_cndmask_b32_e64 v1, v1, v2, s4
	v_cndmask_b32_e64 v19, v21, v2, s5
	;; [unrolled: 1-line block ×4, first 2 shown]
	v_cndmask_b32_e32 v5, v9, v10, vcc_lo
	v_cndmask_b32_e32 v6, v13, v14, vcc_lo
	v_cmp_eq_u32_e32 vcc_lo, 3, v71
	v_cndmask_b32_e64 v9, v17, v10, s7
	v_cndmask_b32_e64 v13, v18, v14, s7
	;; [unrolled: 1-line block ×3, first 2 shown]
	v_cmp_eq_u32_e64 s5, 4, v70
	v_cndmask_b32_e32 v1, v1, v10, vcc_lo
	v_cndmask_b32_e32 v2, v2, v14, vcc_lo
	v_cmp_eq_u32_e32 vcc_lo, 4, v72
	v_lshrrev_b32_e32 v15, 16, v7
	v_lshrrev_b32_e32 v16, 16, v8
	v_cndmask_b32_e64 v17, v19, v10, s6
	v_cmp_eq_u32_e64 s4, 4, v71
	v_cndmask_b32_e64 v5, v5, v3, s5
	v_cndmask_b32_e64 v6, v6, v7, s5
	v_cndmask_b32_e32 v9, v9, v3, vcc_lo
	v_cmp_eq_u32_e64 s5, 5, v72
	v_cndmask_b32_e32 v10, v13, v7, vcc_lo
	v_cmp_eq_u32_e32 vcc_lo, 4, v69
	v_cmp_eq_u32_e64 s6, 5, v70
	v_cndmask_b32_e64 v2, v2, v7, s4
	v_cndmask_b32_e64 v9, v9, v11, s5
	;; [unrolled: 1-line block ×3, first 2 shown]
	v_cndmask_b32_e32 v13, v17, v3, vcc_lo
	v_cmp_eq_u32_e64 s5, 5, v69
	v_cndmask_b32_e32 v14, v18, v7, vcc_lo
	v_cndmask_b32_e64 v1, v1, v3, s4
	v_cmp_eq_u32_e32 vcc_lo, 5, v71
	v_lshrrev_b32_e32 v12, 16, v4
	v_cndmask_b32_e64 v13, v13, v11, s5
	v_cndmask_b32_e64 v3, v14, v15, s5
	v_cmp_eq_u32_e64 s5, 6, v71
	v_cndmask_b32_e32 v1, v1, v11, vcc_lo
	v_cndmask_b32_e64 v5, v5, v11, s6
	v_cmp_eq_u32_e64 s7, 6, v70
	v_cndmask_b32_e64 v6, v6, v15, s6
	v_cmp_eq_u32_e64 s6, 6, v72
	v_cmp_eq_u32_e64 s4, 6, v69
	v_cndmask_b32_e64 v1, v1, v4, s5
	v_cndmask_b32_e32 v2, v2, v15, vcc_lo
	v_cmp_eq_u32_e32 vcc_lo, 7, v71
	v_cndmask_b32_e64 v5, v5, v4, s7
	v_cndmask_b32_e64 v9, v9, v4, s6
	;; [unrolled: 1-line block ×3, first 2 shown]
	v_cmp_eq_u32_e64 s7, 7, v70
	v_cndmask_b32_e32 v1, v1, v12, vcc_lo
	v_cndmask_b32_e64 v7, v13, v4, s4
	v_cndmask_b32_e64 v3, v3, v8, s4
	v_cndmask_b32_e64 v2, v2, v8, s5
	v_cmp_eq_u32_e64 s4, 7, v69
	v_cndmask_b32_e64 v4, v10, v8, s6
	v_cndmask_b32_e64 v5, v5, v12, s7
	;; [unrolled: 1-line block ×3, first 2 shown]
	v_cndmask_b32_e32 v2, v2, v16, vcc_lo
	v_cndmask_b32_e64 v7, v7, v12, s4
	v_cndmask_b32_e64 v3, v3, v16, s4
	;; [unrolled: 1-line block ×4, first 2 shown]
	v_cmp_gt_u32_e32 vcc_lo, 32, v0
	v_perm_b32 v4, v2, v1, 0x5040100
	v_perm_b32 v3, v3, v7, 0x5040100
	;; [unrolled: 1-line block ×4, first 2 shown]
	s_and_b32 s2, vcc_lo, s2
	ds_store_b128 v74, v[1:4]
	s_waitcnt lgkmcnt(0)
	s_barrier
	buffer_gl0_inv
	s_and_saveexec_b32 s4, s2
	s_cbranch_execz .LBB878_2
; %bb.15:
	s_load_b64 s[4:5], s[0:1], 0x68
	v_lshlrev_b32_e32 v0, 10, v0
	v_lshlrev_b32_e32 v1, 4, v67
	s_lshl_b32 s0, s36, 6
	v_add_nc_u32_e32 v2, s33, v66
	s_mul_i32 s1, s0, s34
	s_delay_alu instid0(SALU_CYCLE_1) | instskip(SKIP_1) | instid1(VALU_DEP_2)
	s_mul_i32 s6, s1, s9
	v_and_or_b32 v0, 0x3800, v0, v1
	v_mul_lo_u32 v1, v2, s0
	s_ashr_i32 s7, s6, 31
	v_add_nc_u32_e32 v3, 2, v2
	s_lshl_b64 s[6:7], s[6:7], 1
	v_add_nc_u32_e32 v4, 4, v2
	v_add_nc_u32_e32 v5, 6, v2
	v_lshl_or_b32 v15, v66, 6, v0
	v_mul_lo_u32 v3, v3, s0
	v_ashrrev_i32_e32 v2, 31, v1
	v_mul_lo_u32 v19, v4, s0
	v_mul_lo_u32 v21, v5, s0
	s_waitcnt lgkmcnt(0)
	s_add_u32 s1, s4, s6
	s_addc_u32 s2, s5, s7
	s_lshl_b32 s4, s14, 6
	v_lshlrev_b64 v[5:6], 1, v[1:2]
	s_ashr_i32 s5, s4, 31
	v_ashrrev_i32_e32 v4, 31, v3
	s_lshl_b64 s[4:5], s[4:5], 1
	v_ashrrev_i32_e32 v20, 31, v19
	s_add_u32 s1, s1, s4
	s_addc_u32 s2, s2, s5
	v_add_co_u32 v1, s1, s1, v65
	s_delay_alu instid0(VALU_DEP_1) | instskip(SKIP_1) | instid1(VALU_DEP_3)
	v_add_co_ci_u32_e64 v2, null, s2, 0, s1
	v_lshlrev_b64 v[25:26], 1, v[3:4]
	v_add_co_u32 v23, vcc_lo, v1, v5
	s_delay_alu instid0(VALU_DEP_3)
	v_add_co_ci_u32_e32 v24, vcc_lo, v2, v6, vcc_lo
	ds_load_b128 v[3:6], v15
	ds_load_b128 v[7:10], v15 offset:128
	ds_load_b128 v[11:14], v15 offset:256
	;; [unrolled: 1-line block ×3, first 2 shown]
	v_ashrrev_i32_e32 v22, 31, v21
	v_lshlrev_b64 v[19:20], 1, v[19:20]
	v_add_co_u32 v25, vcc_lo, v1, v25
	v_add_co_ci_u32_e32 v26, vcc_lo, v2, v26, vcc_lo
	s_delay_alu instid0(VALU_DEP_4) | instskip(NEXT) | instid1(VALU_DEP_4)
	v_lshlrev_b64 v[21:22], 1, v[21:22]
	v_add_co_u32 v19, vcc_lo, v1, v19
	v_add_co_ci_u32_e32 v20, vcc_lo, v2, v20, vcc_lo
	s_delay_alu instid0(VALU_DEP_3) | instskip(NEXT) | instid1(VALU_DEP_4)
	v_add_co_u32 v21, vcc_lo, v1, v21
	v_add_co_ci_u32_e32 v22, vcc_lo, v2, v22, vcc_lo
	s_waitcnt lgkmcnt(3)
	global_store_b128 v[23:24], v[3:6], off
	s_waitcnt lgkmcnt(2)
	global_store_b128 v[25:26], v[7:10], off
	;; [unrolled: 2-line block ×4, first 2 shown]
	s_and_b32 exec_lo, exec_lo, s3
	s_cbranch_execz .LBB878_2
; %bb.16:
	ds_load_b128 v[3:6], v0 offset:512
	s_add_i32 s1, s33, 8
	s_delay_alu instid0(SALU_CYCLE_1) | instskip(NEXT) | instid1(SALU_CYCLE_1)
	s_mul_i32 s0, s1, s0
	s_ashr_i32 s1, s0, 31
	s_delay_alu instid0(SALU_CYCLE_1) | instskip(NEXT) | instid1(SALU_CYCLE_1)
	s_lshl_b64 s[0:1], s[0:1], 1
	v_add_co_u32 v0, vcc_lo, v1, s0
	v_add_co_ci_u32_e32 v1, vcc_lo, s1, v2, vcc_lo
	s_waitcnt lgkmcnt(0)
	global_store_b128 v[0:1], v[3:6], off
	s_nop 0
	s_sendmsg sendmsg(MSG_DEALLOC_VGPRS)
	s_endpgm
	.section	.rodata,"a",@progbits
	.p2align	6, 0x0
	.amdhsa_kernel _Z39paged_attention_ll4mi_QKV_mfma16_kernelIDF16_hLN4vllm18Fp8KVCacheDataTypeE1EhLi32ELi64ELi256ELb0ELi9EL8MFMAType1EEvPKT_PKT0_S8_ifPKiSA_SA_iPKfiiiPfSD_PS3_PT2_iSC_SC_
		.amdhsa_group_segment_fixed_size 17472
		.amdhsa_private_segment_fixed_size 0
		.amdhsa_kernarg_size 400
		.amdhsa_user_sgpr_count 13
		.amdhsa_user_sgpr_dispatch_ptr 0
		.amdhsa_user_sgpr_queue_ptr 0
		.amdhsa_user_sgpr_kernarg_segment_ptr 1
		.amdhsa_user_sgpr_dispatch_id 0
		.amdhsa_user_sgpr_private_segment_size 0
		.amdhsa_wavefront_size32 1
		.amdhsa_uses_dynamic_stack 0
		.amdhsa_enable_private_segment 0
		.amdhsa_system_sgpr_workgroup_id_x 1
		.amdhsa_system_sgpr_workgroup_id_y 1
		.amdhsa_system_sgpr_workgroup_id_z 1
		.amdhsa_system_sgpr_workgroup_info 0
		.amdhsa_system_vgpr_workitem_id 0
		.amdhsa_next_free_vgpr 146
		.amdhsa_next_free_sgpr 37
		.amdhsa_reserve_vcc 1
		.amdhsa_float_round_mode_32 0
		.amdhsa_float_round_mode_16_64 0
		.amdhsa_float_denorm_mode_32 3
		.amdhsa_float_denorm_mode_16_64 3
		.amdhsa_dx10_clamp 1
		.amdhsa_ieee_mode 1
		.amdhsa_fp16_overflow 0
		.amdhsa_workgroup_processor_mode 1
		.amdhsa_memory_ordered 1
		.amdhsa_forward_progress 0
		.amdhsa_shared_vgpr_count 0
		.amdhsa_exception_fp_ieee_invalid_op 0
		.amdhsa_exception_fp_denorm_src 0
		.amdhsa_exception_fp_ieee_div_zero 0
		.amdhsa_exception_fp_ieee_overflow 0
		.amdhsa_exception_fp_ieee_underflow 0
		.amdhsa_exception_fp_ieee_inexact 0
		.amdhsa_exception_int_div_zero 0
	.end_amdhsa_kernel
	.section	.text._Z39paged_attention_ll4mi_QKV_mfma16_kernelIDF16_hLN4vllm18Fp8KVCacheDataTypeE1EhLi32ELi64ELi256ELb0ELi9EL8MFMAType1EEvPKT_PKT0_S8_ifPKiSA_SA_iPKfiiiPfSD_PS3_PT2_iSC_SC_,"axG",@progbits,_Z39paged_attention_ll4mi_QKV_mfma16_kernelIDF16_hLN4vllm18Fp8KVCacheDataTypeE1EhLi32ELi64ELi256ELb0ELi9EL8MFMAType1EEvPKT_PKT0_S8_ifPKiSA_SA_iPKfiiiPfSD_PS3_PT2_iSC_SC_,comdat
.Lfunc_end878:
	.size	_Z39paged_attention_ll4mi_QKV_mfma16_kernelIDF16_hLN4vllm18Fp8KVCacheDataTypeE1EhLi32ELi64ELi256ELb0ELi9EL8MFMAType1EEvPKT_PKT0_S8_ifPKiSA_SA_iPKfiiiPfSD_PS3_PT2_iSC_SC_, .Lfunc_end878-_Z39paged_attention_ll4mi_QKV_mfma16_kernelIDF16_hLN4vllm18Fp8KVCacheDataTypeE1EhLi32ELi64ELi256ELb0ELi9EL8MFMAType1EEvPKT_PKT0_S8_ifPKiSA_SA_iPKfiiiPfSD_PS3_PT2_iSC_SC_
                                        ; -- End function
	.section	.AMDGPU.csdata,"",@progbits
; Kernel info:
; codeLenInByte = 6584
; NumSgprs: 39
; NumVgprs: 146
; ScratchSize: 0
; MemoryBound: 0
; FloatMode: 240
; IeeeMode: 1
; LDSByteSize: 17472 bytes/workgroup (compile time only)
; SGPRBlocks: 4
; VGPRBlocks: 18
; NumSGPRsForWavesPerEU: 39
; NumVGPRsForWavesPerEU: 146
; Occupancy: 9
; WaveLimiterHint : 1
; COMPUTE_PGM_RSRC2:SCRATCH_EN: 0
; COMPUTE_PGM_RSRC2:USER_SGPR: 13
; COMPUTE_PGM_RSRC2:TRAP_HANDLER: 0
; COMPUTE_PGM_RSRC2:TGID_X_EN: 1
; COMPUTE_PGM_RSRC2:TGID_Y_EN: 1
; COMPUTE_PGM_RSRC2:TGID_Z_EN: 1
; COMPUTE_PGM_RSRC2:TIDIG_COMP_CNT: 0
	.section	.text._Z39paged_attention_ll4mi_QKV_mfma16_kernelIDF16_hLN4vllm18Fp8KVCacheDataTypeE1EhLi32ELi64ELi256ELb0ELi10EL8MFMAType1EEvPKT_PKT0_S8_ifPKiSA_SA_iPKfiiiPfSD_PS3_PT2_iSC_SC_,"axG",@progbits,_Z39paged_attention_ll4mi_QKV_mfma16_kernelIDF16_hLN4vllm18Fp8KVCacheDataTypeE1EhLi32ELi64ELi256ELb0ELi10EL8MFMAType1EEvPKT_PKT0_S8_ifPKiSA_SA_iPKfiiiPfSD_PS3_PT2_iSC_SC_,comdat
	.protected	_Z39paged_attention_ll4mi_QKV_mfma16_kernelIDF16_hLN4vllm18Fp8KVCacheDataTypeE1EhLi32ELi64ELi256ELb0ELi10EL8MFMAType1EEvPKT_PKT0_S8_ifPKiSA_SA_iPKfiiiPfSD_PS3_PT2_iSC_SC_ ; -- Begin function _Z39paged_attention_ll4mi_QKV_mfma16_kernelIDF16_hLN4vllm18Fp8KVCacheDataTypeE1EhLi32ELi64ELi256ELb0ELi10EL8MFMAType1EEvPKT_PKT0_S8_ifPKiSA_SA_iPKfiiiPfSD_PS3_PT2_iSC_SC_
	.globl	_Z39paged_attention_ll4mi_QKV_mfma16_kernelIDF16_hLN4vllm18Fp8KVCacheDataTypeE1EhLi32ELi64ELi256ELb0ELi10EL8MFMAType1EEvPKT_PKT0_S8_ifPKiSA_SA_iPKfiiiPfSD_PS3_PT2_iSC_SC_
	.p2align	8
	.type	_Z39paged_attention_ll4mi_QKV_mfma16_kernelIDF16_hLN4vllm18Fp8KVCacheDataTypeE1EhLi32ELi64ELi256ELb0ELi10EL8MFMAType1EEvPKT_PKT0_S8_ifPKiSA_SA_iPKfiiiPfSD_PS3_PT2_iSC_SC_,@function
_Z39paged_attention_ll4mi_QKV_mfma16_kernelIDF16_hLN4vllm18Fp8KVCacheDataTypeE1EhLi32ELi64ELi256ELb0ELi10EL8MFMAType1EEvPKT_PKT0_S8_ifPKiSA_SA_iPKfiiiPfSD_PS3_PT2_iSC_SC_: ; @_Z39paged_attention_ll4mi_QKV_mfma16_kernelIDF16_hLN4vllm18Fp8KVCacheDataTypeE1EhLi32ELi64ELi256ELb0ELi10EL8MFMAType1EEvPKT_PKT0_S8_ifPKiSA_SA_iPKfiiiPfSD_PS3_PT2_iSC_SC_
; %bb.0:
	s_load_b64 s[2:3], s[0:1], 0x30
	s_mov_b32 s34, s13
	s_waitcnt lgkmcnt(0)
	s_cmp_lg_u64 s[2:3], 0
	s_cselect_b32 s6, -1, 0
	s_ashr_i32 s35, s13, 31
	s_cmp_eq_u64 s[2:3], 0
	s_cbranch_scc1 .LBB879_3
; %bb.1:
	s_lshl_b64 s[4:5], s[34:35], 2
	s_delay_alu instid0(SALU_CYCLE_1) | instskip(SKIP_4) | instid1(SALU_CYCLE_1)
	s_add_u32 s4, s2, s4
	s_addc_u32 s5, s3, s5
	s_load_b64 s[4:5], s[4:5], 0x0
	s_waitcnt lgkmcnt(0)
	s_sub_i32 s4, s5, s4
	s_cmp_eq_u32 s4, 1
	s_cselect_b32 s4, -1, 0
	s_delay_alu instid0(SALU_CYCLE_1)
	s_and_not1_b32 vcc_lo, exec_lo, s4
	s_cbranch_vccz .LBB879_4
.LBB879_2:
	s_endpgm
.LBB879_3:
.LBB879_4:
	s_load_b64 s[8:9], s[0:1], 0x28
	s_lshl_b64 s[4:5], s[34:35], 2
	s_waitcnt lgkmcnt(0)
	s_add_u32 s8, s8, s4
	s_addc_u32 s9, s9, s5
	s_lshl_b32 s16, s14, 8
	s_load_b32 s18, s[8:9], 0x0
	s_waitcnt lgkmcnt(0)
	s_cmp_ge_i32 s16, s18
	s_cbranch_scc1 .LBB879_2
; %bb.5:
	s_clause 0x1
	s_load_b128 s[8:11], s[0:1], 0x8
	s_load_b64 s[12:13], s[0:1], 0x20
	s_and_not1_b32 vcc_lo, exec_lo, s6
	s_cbranch_vccnz .LBB879_7
; %bb.6:
	s_add_u32 s2, s2, s4
	s_addc_u32 s3, s3, s5
	s_load_b32 s3, s[2:3], 0x0
	s_branch .LBB879_8
.LBB879_7:
	s_mov_b32 s3, s34
.LBB879_8:
	s_load_b128 s[4:7], s[0:1], 0x48
	v_and_b32_e32 v68, 15, v0
	v_cmp_gt_u32_e32 vcc_lo, 0xa0, v0
	v_lshrrev_b32_e32 v69, 5, v0
	v_and_b32_e32 v70, 31, v0
	v_and_b32_e32 v67, 1, v0
	v_lshlrev_b32_e32 v1, 3, v68
	v_cmp_gt_u32_e64 s2, 8, v68
	v_bfe_u32 v66, v0, 4, 1
	s_mul_i32 s31, s15, 10
	s_delay_alu instid0(VALU_DEP_3) | instskip(NEXT) | instid1(VALU_DEP_3)
	v_lshlrev_b32_e32 v65, 1, v1
	s_and_b32 s17, vcc_lo, s2
	s_waitcnt lgkmcnt(0)
	s_and_saveexec_b32 s7, s17
	s_cbranch_execz .LBB879_10
; %bb.9:
	s_load_b64 s[20:21], s[0:1], 0x0
	v_lshl_or_b32 v5, v69, 1, v66
	s_mul_hi_i32 s23, s3, s4
	s_mul_i32 s22, s3, s4
	v_lshlrev_b32_e32 v6, 10, v68
	s_lshl_b64 s[22:23], s[22:23], 1
	v_add_lshl_u32 v1, v5, s31, 6
	v_lshlrev_b32_e32 v5, 6, v5
	v_lshlrev_b32_e32 v7, 10, v67
	v_and_b32_e32 v6, 0x3800, v6
	s_delay_alu instid0(VALU_DEP_4) | instskip(NEXT) | instid1(VALU_DEP_2)
	v_ashrrev_i32_e32 v2, 31, v1
	v_or3_b32 v5, v6, v7, v5
	s_delay_alu instid0(VALU_DEP_2) | instskip(SKIP_3) | instid1(VALU_DEP_1)
	v_lshlrev_b64 v[1:2], 1, v[1:2]
	s_waitcnt lgkmcnt(0)
	s_add_u32 s3, s20, s22
	s_addc_u32 s4, s21, s23
	v_add_co_u32 v1, vcc_lo, s3, v1
	s_delay_alu instid0(VALU_DEP_2) | instskip(NEXT) | instid1(VALU_DEP_2)
	v_add_co_ci_u32_e32 v2, vcc_lo, s4, v2, vcc_lo
	v_add_co_u32 v1, vcc_lo, v1, v65
	s_delay_alu instid0(VALU_DEP_2)
	v_add_co_ci_u32_e32 v2, vcc_lo, 0, v2, vcc_lo
	global_load_b128 v[1:4], v[1:2], off
	s_waitcnt vmcnt(0)
	ds_store_b128 v5, v[1:4]
.LBB879_10:
	s_or_b32 exec_lo, exec_lo, s7
	v_and_b32_e32 v1, 0xef, v0
	s_add_i32 s3, s18, 31
	s_clause 0x1
	s_load_b32 s4, s[0:1], 0x38
	s_load_b32 s33, s[0:1], 0x98
	s_ashr_i32 s7, s3, 31
	v_add_nc_u32_e32 v1, s16, v1
	s_lshr_b32 s7, s7, 27
	s_load_b32 s19, s[0:1], 0x1c
	v_add_nc_u32_e32 v103, -10, v68
	s_add_i32 s3, s3, s7
	v_ashrrev_i32_e32 v2, 31, v1
	v_or_b32_e32 v3, 16, v1
	s_ashr_i32 s3, s3, 5
	v_cmp_gt_i32_e32 vcc_lo, s18, v1
	s_add_i32 s3, s3, -1
	v_lshrrev_b32_e32 v2, 27, v2
	s_waitcnt lgkmcnt(0)
	s_barrier
	buffer_gl0_inv
	s_mul_i32 s15, s15, s6
	v_add_nc_u32_e32 v4, v1, v2
	v_mbcnt_lo_u32_b32 v127, -1, 0
	s_mul_i32 s20, s34, s4
	s_delay_alu instid0(SALU_CYCLE_1) | instskip(NEXT) | instid1(VALU_DEP_2)
	s_ashr_i32 s21, s20, 31
	v_ashrrev_i32_e32 v4, 5, v4
	v_add_nc_u32_e32 v2, v3, v2
	s_lshl_b64 s[20:21], s[20:21], 2
	v_xor_b32_e32 v128, 16, v127
	s_add_u32 s17, s12, s20
	v_cndmask_b32_e32 v1, s3, v4, vcc_lo
	v_ashrrev_i32_e32 v2, 5, v2
	v_cmp_gt_i32_e32 vcc_lo, s18, v3
	s_addc_u32 s13, s13, s21
	s_ashr_i32 s20, s15, 31
	s_add_u32 s22, s8, s15
	s_addc_u32 s23, s9, s20
	v_cndmask_b32_e32 v3, s3, v2, vcc_lo
	v_ashrrev_i32_e32 v2, 31, v1
	s_lshl_b32 s6, s14, 3
	s_delay_alu instid0(SALU_CYCLE_1) | instskip(NEXT) | instid1(VALU_DEP_2)
	s_ashr_i32 s7, s6, 31
	v_ashrrev_i32_e32 v4, 31, v3
	s_delay_alu instid0(VALU_DEP_2) | instskip(SKIP_1) | instid1(SALU_CYCLE_1)
	v_lshlrev_b64 v[1:2], 2, v[1:2]
	s_lshl_b64 s[6:7], s[6:7], 2
	s_add_u32 s6, s17, s6
	s_delay_alu instid0(VALU_DEP_2) | instskip(SKIP_1) | instid1(VALU_DEP_2)
	v_lshlrev_b64 v[3:4], 2, v[3:4]
	s_addc_u32 s7, s13, s7
	v_add_co_u32 v1, vcc_lo, s17, v1
	v_add_co_ci_u32_e32 v2, vcc_lo, s13, v2, vcc_lo
	s_delay_alu instid0(VALU_DEP_3) | instskip(NEXT) | instid1(VALU_DEP_4)
	v_add_co_u32 v3, vcc_lo, s17, v3
	v_add_co_ci_u32_e32 v4, vcc_lo, s13, v4, vcc_lo
	s_clause 0x1
	global_load_b32 v5, v[1:2], off
	global_load_b32 v6, v[3:4], off
	s_or_b32 s4, s16, 32
	s_delay_alu instid0(SALU_CYCLE_1) | instskip(SKIP_2) | instid1(SALU_CYCLE_1)
	s_ashr_i32 s8, s4, 5
	s_cmp_lt_i32 s4, s18
	s_cselect_b32 s8, s8, s3
	s_ashr_i32 s9, s8, 31
	s_delay_alu instid0(SALU_CYCLE_1) | instskip(NEXT) | instid1(SALU_CYCLE_1)
	s_lshl_b64 s[8:9], s[8:9], 2
	s_add_u32 s8, s17, s8
	s_addc_u32 s9, s13, s9
	s_or_b32 s4, s16, 64
	s_delay_alu instid0(SALU_CYCLE_1) | instskip(SKIP_2) | instid1(SALU_CYCLE_1)
	s_ashr_i32 s12, s4, 5
	s_cmp_lt_i32 s4, s18
	s_cselect_b32 s24, s12, s3
	s_ashr_i32 s25, s24, 31
	s_delay_alu instid0(SALU_CYCLE_1) | instskip(NEXT) | instid1(SALU_CYCLE_1)
	s_lshl_b64 s[24:25], s[24:25], 2
	s_add_u32 s24, s17, s24
	s_addc_u32 s25, s13, s25
	;; [unrolled: 10-line block ×5, first 2 shown]
	s_clause 0x5
	s_load_b32 s12, s[6:7], 0x0
	s_load_b32 s4, s[8:9], 0x0
	s_load_b32 s6, s[24:25], 0x0
	s_load_b32 s7, s[26:27], 0x0
	s_load_b32 s8, s[28:29], 0x0
	s_load_b32 s9, s[36:37], 0x0
	s_or_b32 s21, s16, 0xc0
	s_waitcnt vmcnt(1)
	v_mad_i64_i32 v[1:2], null, v5, s5, s[22:23]
	v_lshlrev_b32_e32 v5, 4, v68
	s_waitcnt vmcnt(0)
	v_mad_i64_i32 v[3:4], null, v6, s5, s[22:23]
	s_ashr_i32 s22, s21, 5
	s_cmp_lt_i32 s21, s18
	s_delay_alu instid0(VALU_DEP_3) | instskip(NEXT) | instid1(VALU_DEP_4)
	v_add_co_u32 v1, vcc_lo, v1, v5
	v_add_co_ci_u32_e32 v2, vcc_lo, 0, v2, vcc_lo
	s_delay_alu instid0(VALU_DEP_3) | instskip(NEXT) | instid1(VALU_DEP_4)
	v_add_co_u32 v3, vcc_lo, v3, v5
	v_add_co_ci_u32_e32 v4, vcc_lo, 0, v4, vcc_lo
	s_clause 0x7
	global_load_b128 v[71:74], v[1:2], off
	global_load_b128 v[75:78], v[1:2], off offset:512
	global_load_b128 v[79:82], v[3:4], off offset:256
	;; [unrolled: 1-line block ×7, first 2 shown]
	s_cselect_b32 s22, s22, s3
	v_lshlrev_b32_e32 v1, 5, v68
	s_ashr_i32 s23, s22, 31
	v_cmp_gt_u32_e32 vcc_lo, 10, v68
	s_lshl_b64 s[22:23], s[22:23], 2
	s_delay_alu instid0(SALU_CYCLE_1)
	s_add_u32 s22, s17, s22
	s_addc_u32 s23, s13, s23
	s_or_b32 s21, s16, 0xe0
	v_lshl_or_b32 v1, v69, 9, v1
	s_ashr_i32 s24, s21, 5
	s_cmp_lt_i32 s21, s18
	v_cndmask_b32_e32 v103, v103, v68, vcc_lo
	s_cselect_b32 s24, s24, s3
	s_load_b32 s3, s[22:23], 0x0
	s_ashr_i32 s25, s24, 31
	v_cmp_gt_i32_e32 vcc_lo, 32, v128
	s_lshl_b64 s[24:25], s[24:25], 2
	v_lshlrev_b32_e32 v115, 6, v103
	s_add_u32 s22, s17, s24
	s_addc_u32 s23, s13, s25
	v_cndmask_b32_e32 v136, v127, v128, vcc_lo
	s_add_u32 s10, s10, s15
	s_addc_u32 s11, s11, s20
	v_add_co_u32 v1, s10, s10, v1
	s_delay_alu instid0(VALU_DEP_1) | instskip(SKIP_2) | instid1(VALU_DEP_1)
	v_add_co_ci_u32_e64 v2, null, s11, 0, s10
	s_load_b32 s10, s[22:23], 0x0
	s_waitcnt lgkmcnt(0)
	v_mad_i64_i32 v[3:4], null, s12, s5, v[1:2]
	v_mad_i64_i32 v[9:10], null, s7, s5, v[1:2]
	;; [unrolled: 1-line block ×7, first 2 shown]
	s_clause 0x5
	global_load_b128 v[49:52], v[3:4], off
	global_load_b128 v[53:56], v[3:4], off offset:16
	global_load_b128 v[41:44], v[5:6], off
	global_load_b128 v[45:48], v[5:6], off offset:16
	global_load_b128 v[33:36], v[7:8], off
	global_load_b128 v[37:40], v[7:8], off offset:16
	s_mov_b32 s4, 0
	v_mad_i64_i32 v[61:62], null, s10, s5, v[1:2]
	s_clause 0x9
	global_load_b128 v[1:4], v[9:10], off
	global_load_b128 v[5:8], v[9:10], off offset:16
	global_load_b128 v[9:12], v[13:14], off
	global_load_b128 v[13:16], v[13:14], off offset:16
	;; [unrolled: 2-line block ×5, first 2 shown]
	s_mov_b32 s5, s4
	s_mov_b32 s6, s4
	;; [unrolled: 1-line block ×7, first 2 shown]
	v_and_b32_e32 v104, 0xe0, v0
	v_dual_mov_b32 v126, s11 :: v_dual_mov_b32 v125, s10
	v_dual_mov_b32 v124, s9 :: v_dual_mov_b32 v123, s8
	s_delay_alu instid0(VALU_DEP_3)
	v_add_nc_u32_e32 v111, s16, v104
	ds_load_b128 v[103:106], v115
	ds_load_b128 v[107:110], v115 offset:1024
	v_dual_mov_b32 v122, s7 :: v_dual_mov_b32 v121, s6
	v_mov_b32_e32 v120, s5
	v_or_b32_e32 v135, v111, v66
	ds_load_b128 v[111:114], v115 offset:2048
	ds_load_b128 v[115:118], v115 offset:3072
	v_mov_b32_e32 v119, s4
	s_waitcnt vmcnt(0) lgkmcnt(0)
	s_barrier
	v_or_b32_e32 v137, 2, v135
	v_or_b32_e32 v138, 4, v135
	;; [unrolled: 1-line block ×3, first 2 shown]
	v_cmp_gt_i32_e32 vcc_lo, s18, v135
	v_or_b32_e32 v140, 8, v135
	v_cmp_gt_i32_e64 s3, s18, v137
	v_or_b32_e32 v141, 10, v135
	v_cmp_gt_i32_e64 s4, s18, v138
	v_cmp_gt_i32_e64 s5, s18, v139
	v_or_b32_e32 v142, 12, v135
	v_or_b32_e32 v143, 14, v135
	v_cmp_gt_i32_e64 s6, s18, v140
	v_cmp_gt_i32_e64 s7, s18, v141
	v_or_b32_e32 v144, 16, v135
	v_or_b32_e32 v145, 18, v135
	v_cmp_gt_i32_e64 s8, s18, v142
	v_cmp_gt_i32_e64 s9, s18, v143
	buffer_gl0_inv
	v_cmp_gt_i32_e64 s10, s18, v144
	v_cmp_gt_i32_e64 s11, s18, v145
	v_wmma_f32_16x16x16_f16 v[127:134], v[71:78], v[103:110], v[119:126]
	v_wmma_f32_16x16x16_f16 v[119:126], v[79:86], v[103:110], v[119:126]
	v_or_b32_e32 v71, 20, v135
	v_or_b32_e32 v72, 22, v135
	s_delay_alu instid0(VALU_DEP_4)
	v_wmma_f32_16x16x16_f16 v[127:134], v[87:94], v[111:118], v[127:134]
	v_or_b32_e32 v73, 24, v135
	v_wmma_f32_16x16x16_f16 v[119:126], v[95:102], v[111:118], v[119:126]
	v_or_b32_e32 v74, 26, v135
	v_cmp_gt_i32_e64 s12, s18, v71
	v_dual_mul_f32 v83, s19, v128 :: v_dual_mul_f32 v84, s19, v127
	s_delay_alu instid0(VALU_DEP_4) | instskip(SKIP_1) | instid1(VALU_DEP_3)
	v_dual_mul_f32 v81, s19, v130 :: v_dual_mul_f32 v92, s19, v119
	v_mul_f32_e32 v82, s19, v129
	v_cndmask_b32_e64 v83, 0xff7fffff, v83, s3
	s_delay_alu instid0(VALU_DEP_4)
	v_cndmask_b32_e32 v84, 0xff7fffff, v84, vcc_lo
	v_dual_mul_f32 v79, s19, v132 :: v_dual_mul_f32 v90, s19, v121
	v_mul_f32_e32 v80, s19, v131
	v_cndmask_b32_e64 v82, 0xff7fffff, v82, s4
	v_cndmask_b32_e64 v81, 0xff7fffff, v81, s5
	v_max3_f32 v83, v84, 0xff7fffff, v83
	v_dual_mul_f32 v77, s19, v134 :: v_dual_mul_f32 v88, s19, v123
	v_mul_f32_e32 v78, s19, v133
	v_cndmask_b32_e64 v80, 0xff7fffff, v80, s6
	v_cndmask_b32_e64 v79, 0xff7fffff, v79, s7
	v_max3_f32 v81, v83, v82, v81
	v_mul_f32_e32 v91, s19, v120
	v_cndmask_b32_e64 v78, 0xff7fffff, v78, s8
	v_cndmask_b32_e64 v77, 0xff7fffff, v77, s9
	v_mul_f32_e32 v89, s19, v122
	v_max3_f32 v79, v81, v80, v79
	v_cndmask_b32_e64 v80, 0xff7fffff, v92, s10
	v_cndmask_b32_e64 v81, 0xff7fffff, v91, s11
	v_cmp_gt_i32_e64 s13, s18, v72
	v_or_b32_e32 v75, 28, v135
	v_max3_f32 v77, v79, v78, v77
	v_or_b32_e32 v76, 30, v135
	v_mul_f32_e32 v87, s19, v124
	v_cndmask_b32_e64 v71, 0xff7fffff, v90, s12
	v_cndmask_b32_e64 v72, 0xff7fffff, v89, s13
	v_max3_f32 v77, v77, v80, v81
	v_cmp_gt_i32_e64 s15, s18, v73
	v_cmp_gt_i32_e64 s16, s18, v74
	v_dual_mul_f32 v85, s19, v126 :: v_dual_mul_f32 v86, s19, v125
	s_delay_alu instid0(VALU_DEP_4) | instskip(NEXT) | instid1(VALU_DEP_4)
	v_max3_f32 v71, v77, v71, v72
	v_cndmask_b32_e64 v73, 0xff7fffff, v88, s15
	s_delay_alu instid0(VALU_DEP_4) | instskip(SKIP_2) | instid1(VALU_DEP_3)
	v_cndmask_b32_e64 v74, 0xff7fffff, v87, s16
	v_cmp_gt_i32_e64 s17, s18, v75
	v_cmp_gt_i32_e64 s18, s18, v76
	v_max3_f32 v71, v71, v73, v74
	s_delay_alu instid0(VALU_DEP_3) | instskip(NEXT) | instid1(VALU_DEP_3)
	v_cndmask_b32_e64 v72, 0xff7fffff, v86, s17
	v_cndmask_b32_e64 v75, 0xff7fffff, v85, s18
	v_lshlrev_b32_e32 v73, 2, v136
	s_delay_alu instid0(VALU_DEP_2) | instskip(SKIP_3) | instid1(VALU_DEP_1)
	v_max3_f32 v71, v71, v72, v75
	ds_bpermute_b32 v72, v73, v71
	s_waitcnt lgkmcnt(0)
	v_max_f32_e32 v72, v72, v72
	v_max_f32_e32 v71, v71, v72
	s_delay_alu instid0(VALU_DEP_1)
	v_fma_f32 v72, s19, v127, -v71
	v_fma_f32 v74, s19, v128, -v71
	;; [unrolled: 1-line block ×5, first 2 shown]
	v_mul_f32_e32 v72, 0x3fb8aa3b, v72
	v_mul_f32_e32 v74, 0x3fb8aa3b, v74
	v_fma_f32 v80, s19, v133, -v71
	s_delay_alu instid0(VALU_DEP_4) | instskip(NEXT) | instid1(VALU_DEP_4)
	v_dual_mul_f32 v76, 0x3fb8aa3b, v76 :: v_dual_mul_f32 v77, 0x3fb8aa3b, v77
	v_exp_f32_e32 v72, v72
	s_delay_alu instid0(VALU_DEP_3) | instskip(NEXT) | instid1(VALU_DEP_2)
	v_exp_f32_e32 v74, v74
	v_mul_f32_e32 v82, 0x3fb8aa3b, v80
	s_delay_alu instid0(VALU_DEP_2) | instskip(SKIP_1) | instid1(VALU_DEP_1)
	v_exp_f32_e32 v76, v76
	v_exp_f32_e32 v77, v77
	;; [unrolled: 1-line block ×3, first 2 shown]
	v_cndmask_b32_e32 v79, 0, v72, vcc_lo
	v_fma_f32 v72, s19, v132, -v71
	v_mul_f32_e32 v75, 0x3fb8aa3b, v75
	v_cndmask_b32_e64 v78, 0, v74, s3
	s_delay_alu instid0(TRANS32_DEP_3)
	v_cndmask_b32_e64 v80, 0, v76, s5
	v_add_f32_e32 v74, 0, v79
	v_mul_f32_e32 v72, 0x3fb8aa3b, v72
	v_exp_f32_e32 v75, v75
	v_cndmask_b32_e64 v83, 0, v77, s6
	v_cndmask_b32_e64 v85, 0, v84, s8
	v_add_f32_e32 v74, v74, v78
	v_exp_f32_e32 v72, v72
	s_mov_b32 s3, exec_lo
	s_waitcnt_depctr 0xfff
	v_cndmask_b32_e64 v81, 0, v75, s4
	v_cndmask_b32_e64 v82, 0, v72, s7
	s_delay_alu instid0(VALU_DEP_2) | instskip(NEXT) | instid1(VALU_DEP_1)
	v_add_f32_e32 v74, v74, v81
	v_add_f32_e32 v74, v74, v80
	s_delay_alu instid0(VALU_DEP_1) | instskip(SKIP_4) | instid1(VALU_DEP_4)
	v_add_f32_e32 v72, v74, v83
	v_fma_f32 v75, s19, v134, -v71
	v_fma_f32 v76, s19, v119, -v71
	;; [unrolled: 1-line block ×4, first 2 shown]
	v_dual_add_f32 v72, v72, v82 :: v_dual_mul_f32 v75, 0x3fb8aa3b, v75
	s_delay_alu instid0(VALU_DEP_3) | instskip(SKIP_1) | instid1(VALU_DEP_3)
	v_dual_mul_f32 v76, 0x3fb8aa3b, v76 :: v_dual_mul_f32 v77, 0x3fb8aa3b, v77
	v_fma_f32 v86, s19, v122, -v71
	v_add_f32_e32 v72, v72, v85
	s_delay_alu instid0(VALU_DEP_4) | instskip(NEXT) | instid1(VALU_DEP_3)
	v_exp_f32_e32 v75, v75
	v_exp_f32_e32 v76, v76
	;; [unrolled: 1-line block ×3, first 2 shown]
	v_mul_f32_e32 v86, 0x3fb8aa3b, v86
	s_delay_alu instid0(VALU_DEP_1) | instskip(SKIP_3) | instid1(TRANS32_DEP_3)
	v_exp_f32_e32 v88, v86
	v_cndmask_b32_e64 v84, 0, v75, s9
	v_fma_f32 v75, s19, v123, -v71
	v_mul_f32_e32 v74, 0x3fb8aa3b, v74
	v_cndmask_b32_e64 v87, 0, v76, s10
	v_fma_f32 v76, s19, v124, -v71
	s_delay_alu instid0(VALU_DEP_4) | instskip(NEXT) | instid1(VALU_DEP_4)
	v_dual_add_f32 v72, v72, v84 :: v_dual_mul_f32 v75, 0x3fb8aa3b, v75
	v_exp_f32_e32 v74, v74
	v_cndmask_b32_e64 v86, 0, v77, s11
	v_fma_f32 v77, s19, v125, -v71
	s_delay_alu instid0(VALU_DEP_3) | instskip(SKIP_3) | instid1(VALU_DEP_3)
	v_add_f32_e32 v72, v72, v87
	v_mul_f32_e32 v76, 0x3fb8aa3b, v76
	v_exp_f32_e32 v75, v75
	v_cndmask_b32_e64 v88, 0, v88, s13
	v_add_f32_e32 v72, v72, v86
	s_delay_alu instid0(VALU_DEP_3) | instskip(NEXT) | instid1(TRANS32_DEP_3)
	v_exp_f32_e32 v76, v76
	v_cndmask_b32_e64 v89, 0, v74, s12
	v_mul_f32_e32 v74, 0x3fb8aa3b, v77
	v_fma_f32 v77, s19, v126, -v71
	s_delay_alu instid0(VALU_DEP_3) | instskip(NEXT) | instid1(VALU_DEP_3)
	v_add_f32_e32 v72, v72, v89
	v_exp_f32_e32 v74, v74
	s_delay_alu instid0(TRANS32_DEP_3) | instskip(NEXT) | instid1(VALU_DEP_3)
	v_cndmask_b32_e64 v91, 0, v75, s15
	v_mul_f32_e32 v75, 0x3fb8aa3b, v77
	s_delay_alu instid0(TRANS32_DEP_2) | instskip(SKIP_1) | instid1(VALU_DEP_3)
	v_cndmask_b32_e64 v90, 0, v76, s16
	v_add_f32_e32 v72, v72, v88
	v_exp_f32_e32 v75, v75
	s_delay_alu instid0(VALU_DEP_1) | instskip(NEXT) | instid1(TRANS32_DEP_2)
	v_add_f32_e32 v72, v72, v91
	v_cndmask_b32_e64 v93, 0, v74, s17
	s_delay_alu instid0(VALU_DEP_2) | instskip(SKIP_3) | instid1(VALU_DEP_1)
	v_add_f32_e32 v72, v72, v90
	s_waitcnt_depctr 0xfff
	v_cndmask_b32_e64 v92, 0, v75, s18
	v_add_f32_e32 v72, v72, v93
	v_add_f32_e32 v72, v72, v92
	ds_bpermute_b32 v73, v73, v72
	v_cmpx_gt_u32_e32 16, v70
	s_cbranch_execz .LBB879_12
; %bb.11:
	v_mul_u32_u24_e32 v70, 0x44, v69
	s_waitcnt lgkmcnt(0)
	v_add_f32_e32 v72, v72, v73
	s_delay_alu instid0(VALU_DEP_2) | instskip(NEXT) | instid1(VALU_DEP_1)
	v_lshl_add_u32 v70, v68, 2, v70
	v_add_nc_u32_e32 v70, 0x4000, v70
	ds_store_2addr_b32 v70, v71, v72 offset1:136
.LBB879_12:
	s_or_b32 exec_lo, exec_lo, s3
	v_lshlrev_b32_e32 v70, 2, v68
	s_load_b32 s35, s[0:1], 0x94
	s_waitcnt lgkmcnt(0)
	s_barrier
	buffer_gl0_inv
	v_add_nc_u32_e32 v98, 0x4000, v70
	v_cmp_eq_u32_e32 vcc_lo, 1, v69
	v_cmp_eq_u32_e64 s3, 2, v69
	v_cmp_eq_u32_e64 s4, 3, v69
	;; [unrolled: 1-line block ×3, first 2 shown]
	ds_load_2addr_b32 v[70:71], v98 offset1:17
	ds_load_2addr_b32 v[72:73], v98 offset0:34 offset1:51
	ds_load_2addr_b32 v[74:75], v98 offset0:68 offset1:85
	;; [unrolled: 1-line block ×3, first 2 shown]
	v_cmp_eq_u32_e64 s6, 5, v69
	v_cmp_eq_u32_e64 s7, 7, v69
	s_waitcnt lgkmcnt(3)
	v_max3_f32 v76, v70, 0xff7fffff, v71
	s_waitcnt lgkmcnt(2)
	s_delay_alu instid0(VALU_DEP_1) | instskip(SKIP_1) | instid1(VALU_DEP_1)
	v_max3_f32 v76, v76, v72, v73
	s_waitcnt lgkmcnt(1)
	v_max3_f32 v76, v76, v74, v75
	s_waitcnt lgkmcnt(0)
	s_delay_alu instid0(VALU_DEP_1) | instskip(NEXT) | instid1(VALU_DEP_1)
	v_max3_f32 v76, v76, v94, v95
	v_sub_f32_e32 v77, v71, v76
	ds_load_2addr_b32 v[96:97], v98 offset0:136 offset1:153
	v_sub_f32_e32 v74, v74, v76
	v_sub_f32_e32 v70, v70, v76
	;; [unrolled: 1-line block ×3, first 2 shown]
	v_dual_sub_f32 v72, v72, v76 :: v_dual_mul_f32 v77, 0x3fb8aa3b, v77
	s_delay_alu instid0(VALU_DEP_4) | instskip(NEXT) | instid1(VALU_DEP_4)
	v_mul_f32_e32 v103, 0x3fb8aa3b, v74
	v_mul_f32_e32 v99, 0x3fb8aa3b, v70
	ds_load_2addr_b32 v[70:71], v98 offset0:170 offset1:187
	v_dual_mul_f32 v101, 0x3fb8aa3b, v72 :: v_dual_mul_f32 v94, 0x3fb8aa3b, v94
	v_exp_f32_e32 v102, v77
	v_exp_f32_e32 v99, v99
	s_delay_alu instid0(VALU_DEP_1) | instskip(NEXT) | instid1(VALU_DEP_1)
	v_exp_f32_e32 v101, v101
	v_exp_f32_e32 v94, v94
	s_waitcnt lgkmcnt(1)
	s_delay_alu instid0(TRANS32_DEP_3)
	v_fma_f32 v77, v99, v96, 0
	v_sub_f32_e32 v100, v73, v76
	ds_load_2addr_b32 v[72:73], v98 offset0:204 offset1:221
	v_fmac_f32_e32 v77, v102, v97
	v_exp_f32_e32 v97, v103
	s_waitcnt lgkmcnt(1)
	s_delay_alu instid0(VALU_DEP_1)
	v_dual_fmac_f32 v77, v101, v70 :: v_dual_sub_f32 v96, v75, v76
	ds_load_2addr_b32 v[74:75], v98 offset0:238 offset1:255
	v_sub_f32_e32 v70, v95, v76
	s_waitcnt lgkmcnt(0)
	s_barrier
	v_mul_f32_e32 v96, 0x3fb8aa3b, v96
	buffer_gl0_inv
	v_exp_f32_e32 v95, v96
	v_mul_f32_e32 v100, 0x3fb8aa3b, v100
	s_delay_alu instid0(VALU_DEP_1) | instskip(SKIP_3) | instid1(VALU_DEP_2)
	v_exp_f32_e32 v100, v100
	s_waitcnt_depctr 0xfff
	v_dual_fmac_f32 v77, v100, v71 :: v_dual_mul_f32 v70, 0x3fb8aa3b, v70
	v_cndmask_b32_e32 v71, v99, v102, vcc_lo
	v_fmac_f32_e32 v77, v97, v72
	s_delay_alu instid0(VALU_DEP_3) | instskip(NEXT) | instid1(VALU_DEP_1)
	v_exp_f32_e32 v96, v70
	v_fmac_f32_e32 v77, v95, v73
	s_delay_alu instid0(VALU_DEP_1) | instskip(SKIP_2) | instid1(VALU_DEP_1)
	v_fmac_f32_e32 v77, v94, v74
	s_waitcnt_depctr 0xfff
	v_fmac_f32_e32 v77, v96, v75
	v_add_f32_e32 v74, 0x358637bd, v77
	s_delay_alu instid0(VALU_DEP_1) | instskip(SKIP_1) | instid1(VALU_DEP_2)
	v_div_scale_f32 v98, null, v74, v74, 1.0
	v_div_scale_f32 v99, vcc_lo, 1.0, v74, 1.0
	v_rcp_f32_e32 v103, v98
	s_waitcnt_depctr 0xfff
	v_fma_f32 v70, -v98, v103, 1.0
	s_delay_alu instid0(VALU_DEP_1) | instskip(SKIP_2) | instid1(VALU_DEP_2)
	v_fmac_f32_e32 v103, v70, v103
	v_cndmask_b32_e64 v70, v71, v101, s3
	v_cmp_eq_u32_e64 s3, 6, v69
	v_cndmask_b32_e64 v71, v70, v100, s4
	s_delay_alu instid0(VALU_DEP_4) | instskip(NEXT) | instid1(VALU_DEP_2)
	v_dual_mul_f32 v101, v99, v103 :: v_dual_lshlrev_b32 v70, 2, v66
	v_cndmask_b32_e64 v71, v71, v97, s5
	s_delay_alu instid0(VALU_DEP_2) | instskip(NEXT) | instid1(VALU_DEP_3)
	v_or_b32_e32 v72, 1, v70
	v_fma_f32 v100, -v98, v101, v99
	v_cmp_eq_u32_e64 s4, 1, v70
	v_cmp_eq_u32_e64 s5, 2, v70
	v_cndmask_b32_e64 v95, v71, v95, s6
	v_or_b32_e32 v71, 3, v70
	v_fmac_f32_e32 v101, v100, v103
	v_cmp_eq_u32_e64 s9, 1, v72
	v_cmp_eq_u32_e64 s12, 2, v72
	v_cndmask_b32_e64 v94, v95, v94, s3
	v_cmp_eq_u32_e64 s11, 1, v71
	v_fma_f32 v97, -v98, v101, v99
	v_cmp_eq_u32_e64 s16, 2, v71
	v_cmp_eq_u32_e64 s13, 3, v72
	v_cndmask_b32_e64 v94, v94, v96, s7
	v_cmp_eq_u32_e64 s18, 3, v71
	v_div_fmas_f32 v95, v97, v103, v101
	v_cmp_eq_u32_e32 vcc_lo, 3, v70
	v_cmp_eq_u32_e64 s3, 4, v70
	v_cmp_eq_u32_e64 s19, 4, v72
	;; [unrolled: 1-line block ×3, first 2 shown]
	v_div_fixup_f32 v95, v95, v74, 1.0
	v_lshlrev_b32_e32 v73, 6, v68
	v_cmp_eq_u32_e64 s6, 5, v70
	v_cmp_eq_u32_e64 s20, 5, v72
	;; [unrolled: 1-line block ×3, first 2 shown]
	v_mul_f32_e32 v102, v94, v95
	v_lshl_or_b32 v75, v69, 11, v73
	v_or_b32_e32 v69, 2, v70
	v_cmp_eq_u32_e64 s25, 6, v72
	v_cmp_eq_u32_e64 s27, 6, v71
	v_fma_mixlo_f16 v94, v102, v79, 0
	v_fma_mixlo_f16 v95, v102, v81, 0
	;; [unrolled: 1-line block ×8, first 2 shown]
	v_lshl_or_b32 v74, v66, 4, v75
	v_fma_mixhi_f16 v94, v102, v78, 0
	v_fma_mixhi_f16 v95, v102, v80, 0
	;; [unrolled: 1-line block ×8, first 2 shown]
	ds_store_b128 v74, v[94:97]
	ds_store_b128 v74, v[98:101] offset:1024
	s_waitcnt lgkmcnt(0)
	s_barrier
	buffer_gl0_inv
	ds_load_b128 v[78:81], v75
	ds_load_b128 v[82:85], v75 offset:16
	ds_load_b128 v[86:89], v75 offset:1024
	;; [unrolled: 1-line block ×3, first 2 shown]
	v_cmp_eq_u32_e64 s10, 1, v69
	v_cmp_eq_u32_e64 s15, 2, v69
	v_cmp_eq_u32_e64 s17, 3, v69
	v_cmp_eq_u32_e64 s21, 4, v69
	v_cmp_eq_u32_e64 s23, 5, v69
	v_cmp_eq_u32_e64 s7, 6, v70
	v_cmp_eq_u32_e64 s26, 6, v69
	v_cmp_eq_u32_e64 s29, 7, v71
	v_cmp_eq_u32_e64 s30, 7, v72
	v_cmp_eq_u32_e64 s8, 7, v70
	v_cmp_eq_u32_e64 s28, 7, v69
	s_waitcnt lgkmcnt(3)
	v_lshrrev_b32_e32 v94, 16, v78
	s_waitcnt lgkmcnt(2)
	v_lshrrev_b32_e32 v98, 16, v82
	;; [unrolled: 2-line block ×4, first 2 shown]
	v_lshrrev_b32_e32 v95, 16, v79
	v_cndmask_b32_e64 v110, v78, v94, s4
	v_cndmask_b32_e64 v111, v82, v98, s4
	;; [unrolled: 1-line block ×8, first 2 shown]
	v_lshrrev_b32_e32 v99, 16, v83
	v_cndmask_b32_e64 v94, v86, v102, s4
	v_cndmask_b32_e64 v98, v90, v106, s4
	;; [unrolled: 1-line block ×15, first 2 shown]
	v_lshrrev_b32_e32 v103, 16, v87
	v_lshrrev_b32_e32 v107, 16, v91
	v_cndmask_b32_e64 v113, v115, v83, s15
	v_cndmask_b32_e64 v82, v94, v87, s5
	;; [unrolled: 1-line block ×7, first 2 shown]
	v_cndmask_b32_e32 v90, v102, v95, vcc_lo
	v_cndmask_b32_e32 v102, v106, v99, vcc_lo
	v_cndmask_b32_e64 v106, v110, v95, s13
	v_cndmask_b32_e64 v110, v111, v99, s13
	;; [unrolled: 1-line block ×4, first 2 shown]
	v_lshrrev_b32_e32 v96, 16, v80
	v_lshrrev_b32_e32 v100, 16, v84
	v_cndmask_b32_e64 v111, v112, v95, s17
	v_cndmask_b32_e64 v112, v113, v99, s17
	v_cndmask_b32_e32 v82, v82, v103, vcc_lo
	v_cndmask_b32_e32 v83, v83, v107, vcc_lo
	v_cndmask_b32_e64 v94, v94, v103, s13
	v_cndmask_b32_e64 v90, v90, v80, s3
	;; [unrolled: 1-line block ×7, first 2 shown]
	v_lshrrev_b32_e32 v104, 16, v88
	v_cndmask_b32_e64 v106, v111, v80, s21
	v_cndmask_b32_e64 v110, v112, v84, s21
	;; [unrolled: 1-line block ×11, first 2 shown]
	v_lshrrev_b32_e32 v97, 16, v81
	v_lshrrev_b32_e32 v101, 16, v85
	v_cndmask_b32_e64 v99, v106, v96, s23
	v_cndmask_b32_e64 v102, v110, v100, s23
	;; [unrolled: 1-line block ×7, first 2 shown]
	v_lshrrev_b32_e32 v105, 16, v89
	v_cndmask_b32_e64 v80, v80, v104, s6
	v_cndmask_b32_e64 v84, v84, v81, s7
	;; [unrolled: 1-line block ×16, first 2 shown]
	v_perm_b32 v81, v79, v78, 0x5040100
	v_perm_b32 v79, v95, v85, 0x5040100
	v_cndmask_b32_e64 v78, v119, v91, s15
	v_cndmask_b32_e64 v85, v117, v91, s12
	;; [unrolled: 1-line block ×3, first 2 shown]
	v_perm_b32 v80, v94, v90, 0x5040100
	v_cndmask_b32_e64 v90, v98, v103, s17
	v_cndmask_b32_e64 v86, v86, v103, s18
	;; [unrolled: 1-line block ×5, first 2 shown]
	v_lshrrev_b32_e32 v108, 16, v92
	v_cndmask_b32_e64 v90, v90, v88, s21
	v_cndmask_b32_e64 v86, v86, v88, s22
	;; [unrolled: 1-line block ×11, first 2 shown]
	v_lshrrev_b32_e32 v109, 16, v93
	v_cndmask_b32_e64 v82, v82, v93, s7
	v_cndmask_b32_e64 v88, v88, v89, s26
	;; [unrolled: 1-line block ×12, first 2 shown]
	v_perm_b32 v78, v84, v83, 0x5040100
	v_perm_b32 v85, v87, v86, 0x5040100
	;; [unrolled: 1-line block ×5, first 2 shown]
	s_mul_i32 s8, s33, 10
	s_mov_b32 s3, exec_lo
	ds_store_b128 v74, v[78:81]
	ds_store_b128 v74, v[82:85] offset:1024
	v_cmpx_gt_u32_e32 10, v0
	s_cbranch_execz .LBB879_14
; %bb.13:
	s_mul_i32 s4, s8, s34
	s_delay_alu instid0(SALU_CYCLE_1) | instskip(SKIP_1) | instid1(VALU_DEP_1)
	v_add3_u32 v68, s4, s31, v68
	s_load_b128 s[4:7], s[0:1], 0x58
	v_mad_u64_u32 v[78:79], null, v68, s35, s[14:15]
	s_delay_alu instid0(VALU_DEP_1) | instskip(NEXT) | instid1(VALU_DEP_1)
	v_ashrrev_i32_e32 v79, 31, v78
	v_lshlrev_b64 v[78:79], 2, v[78:79]
	s_waitcnt lgkmcnt(0)
	s_delay_alu instid0(VALU_DEP_1) | instskip(NEXT) | instid1(VALU_DEP_2)
	v_add_co_u32 v80, vcc_lo, s6, v78
	v_add_co_ci_u32_e32 v81, vcc_lo, s7, v79, vcc_lo
	v_add_co_u32 v78, vcc_lo, s4, v78
	v_add_co_ci_u32_e32 v79, vcc_lo, s5, v79, vcc_lo
	global_store_b32 v[80:81], v76, off
	global_store_b32 v[78:79], v77, off
.LBB879_14:
	s_or_b32 exec_lo, exec_lo, s3
	s_waitcnt lgkmcnt(0)
	s_waitcnt_vscnt null, 0x0
	s_barrier
	buffer_gl0_inv
	ds_load_b128 v[84:87], v73
	ds_load_b128 v[88:91], v73 offset:16
	ds_load_b128 v[96:99], v73 offset:2064
	;; [unrolled: 1-line block ×5, first 2 shown]
	v_cmp_eq_u32_e32 vcc_lo, 1, v70
	v_mov_b32_e32 v76, 0
	ds_load_b128 v[112:115], v73 offset:6160
	ds_load_b128 v[108:111], v73 offset:6144
	;; [unrolled: 1-line block ×4, first 2 shown]
	v_cmp_eq_u32_e64 s4, 1, v69
	v_cmp_eq_u32_e64 s3, 1, v72
	;; [unrolled: 1-line block ×3, first 2 shown]
	v_mov_b32_e32 v77, v76
	v_mov_b32_e32 v78, v76
	;; [unrolled: 1-line block ×7, first 2 shown]
	v_cmp_eq_u32_e64 s6, 3, v72
	v_cmp_eq_u32_e64 s7, 7, v72
	s_waitcnt lgkmcnt(8)
	s_delay_alu instid0(VALU_DEP_3)
	v_wmma_f32_16x16x16_f16 v[76:83], v[49:56], v[84:91], v[76:83]
	ds_load_b128 v[53:56], v73 offset:10256
	ds_load_b128 v[49:52], v73 offset:10240
	s_waitcnt lgkmcnt(8)
	v_wmma_f32_16x16x16_f16 v[76:83], v[41:48], v[92:99], v[76:83]
	ds_load_b128 v[45:48], v73 offset:12304
	ds_load_b128 v[41:44], v73 offset:12288
	s_waitcnt lgkmcnt(8)
	;; [unrolled: 4-line block ×3, first 2 shown]
	s_barrier
	buffer_gl0_inv
	v_wmma_f32_16x16x16_f16 v[76:83], v[1:8], v[108:115], v[76:83]
	s_delay_alu instid0(VALU_DEP_1) | instskip(NEXT) | instid1(VALU_DEP_1)
	v_wmma_f32_16x16x16_f16 v[76:83], v[9:16], v[116:123], v[76:83]
	v_wmma_f32_16x16x16_f16 v[76:83], v[17:24], v[49:56], v[76:83]
	s_delay_alu instid0(VALU_DEP_1) | instskip(NEXT) | instid1(VALU_DEP_1)
	v_wmma_f32_16x16x16_f16 v[76:83], v[25:32], v[41:48], v[76:83]
	v_wmma_f32_16x16x16_f16 v[76:83], v[57:64], v[33:40], v[76:83]
	s_delay_alu instid0(VALU_DEP_1) | instskip(NEXT) | instid1(VALU_DEP_2)
	v_cvt_f16_f32_e32 v1, v76
	v_cvt_f16_f32_e32 v2, v77
	s_delay_alu instid0(VALU_DEP_3) | instskip(NEXT) | instid1(VALU_DEP_4)
	v_cvt_f16_f32_e32 v3, v78
	v_cvt_f16_f32_e32 v4, v79
	;; [unrolled: 1-line block ×6, first 2 shown]
	v_pack_b32_f16 v1, v1, v2
	v_pack_b32_f16 v2, v3, v4
	;; [unrolled: 1-line block ×3, first 2 shown]
	s_delay_alu instid0(VALU_DEP_4)
	v_pack_b32_f16 v4, v7, v8
	ds_store_b128 v74, v[1:4]
	s_waitcnt lgkmcnt(0)
	s_barrier
	buffer_gl0_inv
	ds_load_b128 v[1:4], v75
	ds_load_b128 v[5:8], v75 offset:16
	s_waitcnt lgkmcnt(1)
	v_lshrrev_b32_e32 v9, 16, v1
	s_waitcnt lgkmcnt(0)
	v_lshrrev_b32_e32 v13, 16, v5
	v_lshrrev_b32_e32 v10, 16, v2
	;; [unrolled: 1-line block ×4, first 2 shown]
	v_cndmask_b32_e32 v17, v1, v9, vcc_lo
	v_cndmask_b32_e32 v18, v5, v13, vcc_lo
	v_cndmask_b32_e64 v21, v1, v9, s4
	v_cmp_eq_u32_e32 vcc_lo, 1, v71
	v_cndmask_b32_e64 v22, v5, v13, s4
	v_cmp_eq_u32_e64 s4, 2, v70
	v_cndmask_b32_e64 v19, v1, v9, s3
	v_cndmask_b32_e64 v20, v5, v13, s3
	v_cndmask_b32_e32 v1, v1, v9, vcc_lo
	v_cmp_eq_u32_e64 s3, 2, v71
	v_cndmask_b32_e32 v5, v5, v13, vcc_lo
	v_cndmask_b32_e64 v9, v17, v2, s4
	v_cmp_eq_u32_e32 vcc_lo, 3, v70
	v_cndmask_b32_e64 v13, v18, v6, s4
	v_cmp_eq_u32_e64 s4, 2, v69
	v_cndmask_b32_e64 v17, v19, v2, s5
	v_cndmask_b32_e64 v18, v20, v6, s5
	v_cmp_eq_u32_e64 s5, 3, v69
	v_cndmask_b32_e64 v1, v1, v2, s3
	v_cndmask_b32_e64 v19, v21, v2, s4
	;; [unrolled: 1-line block ×4, first 2 shown]
	v_cndmask_b32_e32 v5, v9, v10, vcc_lo
	v_cndmask_b32_e32 v6, v13, v14, vcc_lo
	v_cmp_eq_u32_e32 vcc_lo, 3, v71
	v_cndmask_b32_e64 v9, v17, v10, s6
	v_cndmask_b32_e64 v13, v18, v14, s6
	;; [unrolled: 1-line block ×3, first 2 shown]
	v_cmp_eq_u32_e64 s4, 4, v70
	v_cndmask_b32_e32 v1, v1, v10, vcc_lo
	v_cndmask_b32_e32 v2, v2, v14, vcc_lo
	v_cmp_eq_u32_e32 vcc_lo, 4, v72
	v_lshrrev_b32_e32 v15, 16, v7
	v_lshrrev_b32_e32 v16, 16, v8
	v_cndmask_b32_e64 v17, v19, v10, s5
	v_cmp_eq_u32_e64 s3, 4, v71
	v_cndmask_b32_e64 v5, v5, v3, s4
	v_cndmask_b32_e64 v6, v6, v7, s4
	v_cndmask_b32_e32 v9, v9, v3, vcc_lo
	v_cmp_eq_u32_e64 s4, 5, v72
	v_cndmask_b32_e32 v10, v13, v7, vcc_lo
	v_cmp_eq_u32_e32 vcc_lo, 4, v69
	v_cmp_eq_u32_e64 s5, 5, v70
	v_cndmask_b32_e64 v2, v2, v7, s3
	v_cndmask_b32_e64 v9, v9, v11, s4
	;; [unrolled: 1-line block ×3, first 2 shown]
	v_cndmask_b32_e32 v13, v17, v3, vcc_lo
	v_cmp_eq_u32_e64 s4, 5, v69
	v_cndmask_b32_e32 v14, v18, v7, vcc_lo
	v_cndmask_b32_e64 v1, v1, v3, s3
	v_cmp_eq_u32_e32 vcc_lo, 5, v71
	v_lshrrev_b32_e32 v12, 16, v4
	v_cndmask_b32_e64 v13, v13, v11, s4
	v_cndmask_b32_e64 v3, v14, v15, s4
	v_cmp_eq_u32_e64 s4, 6, v71
	v_cndmask_b32_e32 v1, v1, v11, vcc_lo
	v_cndmask_b32_e64 v5, v5, v11, s5
	v_cmp_eq_u32_e64 s6, 6, v70
	v_cndmask_b32_e64 v6, v6, v15, s5
	v_cmp_eq_u32_e64 s5, 6, v72
	v_cmp_eq_u32_e64 s3, 6, v69
	v_cndmask_b32_e64 v1, v1, v4, s4
	v_cndmask_b32_e32 v2, v2, v15, vcc_lo
	v_cmp_eq_u32_e32 vcc_lo, 7, v71
	v_cndmask_b32_e64 v5, v5, v4, s6
	v_cndmask_b32_e64 v9, v9, v4, s5
	;; [unrolled: 1-line block ×3, first 2 shown]
	v_cmp_eq_u32_e64 s6, 7, v70
	v_cndmask_b32_e32 v1, v1, v12, vcc_lo
	v_cndmask_b32_e64 v7, v13, v4, s3
	v_cndmask_b32_e64 v3, v3, v8, s3
	;; [unrolled: 1-line block ×3, first 2 shown]
	v_cmp_eq_u32_e64 s3, 7, v69
	v_cndmask_b32_e64 v4, v10, v8, s5
	v_cndmask_b32_e64 v5, v5, v12, s6
	;; [unrolled: 1-line block ×3, first 2 shown]
	v_cndmask_b32_e32 v2, v2, v16, vcc_lo
	v_cndmask_b32_e64 v7, v7, v12, s3
	v_cndmask_b32_e64 v3, v3, v16, s3
	v_cndmask_b32_e64 v8, v4, v16, s7
	v_cndmask_b32_e64 v6, v6, v16, s6
	v_cmp_gt_u32_e32 vcc_lo, 32, v0
	v_perm_b32 v4, v2, v1, 0x5040100
	v_perm_b32 v3, v3, v7, 0x5040100
	;; [unrolled: 1-line block ×4, first 2 shown]
	s_and_b32 s2, vcc_lo, s2
	ds_store_b128 v74, v[1:4]
	s_waitcnt lgkmcnt(0)
	s_barrier
	buffer_gl0_inv
	s_and_saveexec_b32 s3, s2
	s_cbranch_execz .LBB879_2
; %bb.15:
	s_load_b64 s[0:1], s[0:1], 0x68
	s_lshl_b32 s4, s35, 6
	v_or_b32_e32 v2, s31, v66
	s_mul_i32 s2, s4, s34
	v_lshlrev_b32_e32 v0, 10, v0
	s_mul_i32 s2, s2, s8
	v_lshlrev_b32_e32 v1, 4, v67
	s_ashr_i32 s3, s2, 31
	v_mul_lo_u32 v20, v2, s4
	s_lshl_b64 s[2:3], s[2:3], 1
	v_lshlrev_b32_e32 v3, 6, v66
	v_and_b32_e32 v0, 0x3800, v0
	s_delay_alu instid0(VALU_DEP_1) | instskip(NEXT) | instid1(VALU_DEP_4)
	v_or3_b32 v16, v0, v1, v3
	v_ashrrev_i32_e32 v21, 31, v20
	ds_load_b128 v[0:3], v16
	ds_load_b128 v[4:7], v16 offset:128
	s_waitcnt lgkmcnt(0)
	s_add_u32 s2, s0, s2
	s_addc_u32 s3, s1, s3
	s_lshl_b32 s0, s14, 6
	ds_load_b128 v[8:11], v16 offset:256
	ds_load_b128 v[12:15], v16 offset:384
	;; [unrolled: 1-line block ×3, first 2 shown]
	s_ashr_i32 s1, s0, 31
	s_delay_alu instid0(SALU_CYCLE_1) | instskip(NEXT) | instid1(SALU_CYCLE_1)
	s_lshl_b64 s[0:1], s[0:1], 1
	s_add_u32 s0, s2, s0
	s_addc_u32 s1, s3, s1
	s_lshl_b32 s2, s35, 7
	v_add_co_u32 v30, s0, s0, v65
	v_add_nc_u32_e32 v22, s2, v20
	v_lshlrev_b64 v[20:21], 1, v[20:21]
	v_add_co_ci_u32_e64 v31, null, s1, 0, s0
	s_delay_alu instid0(VALU_DEP_3) | instskip(SKIP_1) | instid1(VALU_DEP_4)
	v_add_nc_u32_e32 v24, s2, v22
	v_ashrrev_i32_e32 v23, 31, v22
	v_add_co_u32 v20, vcc_lo, v30, v20
	s_delay_alu instid0(VALU_DEP_4) | instskip(NEXT) | instid1(VALU_DEP_4)
	v_add_co_ci_u32_e32 v21, vcc_lo, v31, v21, vcc_lo
	v_add_nc_u32_e32 v26, s2, v24
	v_ashrrev_i32_e32 v25, 31, v24
	v_lshlrev_b64 v[22:23], 1, v[22:23]
	s_delay_alu instid0(VALU_DEP_3) | instskip(SKIP_1) | instid1(VALU_DEP_4)
	v_add_nc_u32_e32 v28, s2, v26
	v_ashrrev_i32_e32 v27, 31, v26
	v_lshlrev_b64 v[24:25], 1, v[24:25]
	s_delay_alu instid0(VALU_DEP_4) | instskip(NEXT) | instid1(VALU_DEP_4)
	v_add_co_u32 v22, vcc_lo, v30, v22
	v_ashrrev_i32_e32 v29, 31, v28
	s_delay_alu instid0(VALU_DEP_4) | instskip(SKIP_2) | instid1(VALU_DEP_4)
	v_lshlrev_b64 v[26:27], 1, v[26:27]
	v_add_co_ci_u32_e32 v23, vcc_lo, v31, v23, vcc_lo
	v_add_co_u32 v24, vcc_lo, v30, v24
	v_lshlrev_b64 v[28:29], 1, v[28:29]
	v_add_co_ci_u32_e32 v25, vcc_lo, v31, v25, vcc_lo
	v_add_co_u32 v26, vcc_lo, v30, v26
	v_add_co_ci_u32_e32 v27, vcc_lo, v31, v27, vcc_lo
	s_delay_alu instid0(VALU_DEP_4)
	v_add_co_u32 v28, vcc_lo, v30, v28
	v_add_co_ci_u32_e32 v29, vcc_lo, v31, v29, vcc_lo
	s_clause 0x1
	global_store_b128 v[20:21], v[0:3], off
	global_store_b128 v[22:23], v[4:7], off
	s_waitcnt lgkmcnt(2)
	global_store_b128 v[24:25], v[8:11], off
	s_waitcnt lgkmcnt(1)
	global_store_b128 v[26:27], v[12:15], off
	s_waitcnt lgkmcnt(0)
	global_store_b128 v[28:29], v[16:19], off
	s_nop 0
	s_sendmsg sendmsg(MSG_DEALLOC_VGPRS)
	s_endpgm
	.section	.rodata,"a",@progbits
	.p2align	6, 0x0
	.amdhsa_kernel _Z39paged_attention_ll4mi_QKV_mfma16_kernelIDF16_hLN4vllm18Fp8KVCacheDataTypeE1EhLi32ELi64ELi256ELb0ELi10EL8MFMAType1EEvPKT_PKT0_S8_ifPKiSA_SA_iPKfiiiPfSD_PS3_PT2_iSC_SC_
		.amdhsa_group_segment_fixed_size 17472
		.amdhsa_private_segment_fixed_size 0
		.amdhsa_kernarg_size 400
		.amdhsa_user_sgpr_count 13
		.amdhsa_user_sgpr_dispatch_ptr 0
		.amdhsa_user_sgpr_queue_ptr 0
		.amdhsa_user_sgpr_kernarg_segment_ptr 1
		.amdhsa_user_sgpr_dispatch_id 0
		.amdhsa_user_sgpr_private_segment_size 0
		.amdhsa_wavefront_size32 1
		.amdhsa_uses_dynamic_stack 0
		.amdhsa_enable_private_segment 0
		.amdhsa_system_sgpr_workgroup_id_x 1
		.amdhsa_system_sgpr_workgroup_id_y 1
		.amdhsa_system_sgpr_workgroup_id_z 1
		.amdhsa_system_sgpr_workgroup_info 0
		.amdhsa_system_vgpr_workitem_id 0
		.amdhsa_next_free_vgpr 146
		.amdhsa_next_free_sgpr 38
		.amdhsa_reserve_vcc 1
		.amdhsa_float_round_mode_32 0
		.amdhsa_float_round_mode_16_64 0
		.amdhsa_float_denorm_mode_32 3
		.amdhsa_float_denorm_mode_16_64 3
		.amdhsa_dx10_clamp 1
		.amdhsa_ieee_mode 1
		.amdhsa_fp16_overflow 0
		.amdhsa_workgroup_processor_mode 1
		.amdhsa_memory_ordered 1
		.amdhsa_forward_progress 0
		.amdhsa_shared_vgpr_count 0
		.amdhsa_exception_fp_ieee_invalid_op 0
		.amdhsa_exception_fp_denorm_src 0
		.amdhsa_exception_fp_ieee_div_zero 0
		.amdhsa_exception_fp_ieee_overflow 0
		.amdhsa_exception_fp_ieee_underflow 0
		.amdhsa_exception_fp_ieee_inexact 0
		.amdhsa_exception_int_div_zero 0
	.end_amdhsa_kernel
	.section	.text._Z39paged_attention_ll4mi_QKV_mfma16_kernelIDF16_hLN4vllm18Fp8KVCacheDataTypeE1EhLi32ELi64ELi256ELb0ELi10EL8MFMAType1EEvPKT_PKT0_S8_ifPKiSA_SA_iPKfiiiPfSD_PS3_PT2_iSC_SC_,"axG",@progbits,_Z39paged_attention_ll4mi_QKV_mfma16_kernelIDF16_hLN4vllm18Fp8KVCacheDataTypeE1EhLi32ELi64ELi256ELb0ELi10EL8MFMAType1EEvPKT_PKT0_S8_ifPKiSA_SA_iPKfiiiPfSD_PS3_PT2_iSC_SC_,comdat
.Lfunc_end879:
	.size	_Z39paged_attention_ll4mi_QKV_mfma16_kernelIDF16_hLN4vllm18Fp8KVCacheDataTypeE1EhLi32ELi64ELi256ELb0ELi10EL8MFMAType1EEvPKT_PKT0_S8_ifPKiSA_SA_iPKfiiiPfSD_PS3_PT2_iSC_SC_, .Lfunc_end879-_Z39paged_attention_ll4mi_QKV_mfma16_kernelIDF16_hLN4vllm18Fp8KVCacheDataTypeE1EhLi32ELi64ELi256ELb0ELi10EL8MFMAType1EEvPKT_PKT0_S8_ifPKiSA_SA_iPKfiiiPfSD_PS3_PT2_iSC_SC_
                                        ; -- End function
	.section	.AMDGPU.csdata,"",@progbits
; Kernel info:
; codeLenInByte = 6548
; NumSgprs: 40
; NumVgprs: 146
; ScratchSize: 0
; MemoryBound: 0
; FloatMode: 240
; IeeeMode: 1
; LDSByteSize: 17472 bytes/workgroup (compile time only)
; SGPRBlocks: 4
; VGPRBlocks: 18
; NumSGPRsForWavesPerEU: 40
; NumVGPRsForWavesPerEU: 146
; Occupancy: 9
; WaveLimiterHint : 1
; COMPUTE_PGM_RSRC2:SCRATCH_EN: 0
; COMPUTE_PGM_RSRC2:USER_SGPR: 13
; COMPUTE_PGM_RSRC2:TRAP_HANDLER: 0
; COMPUTE_PGM_RSRC2:TGID_X_EN: 1
; COMPUTE_PGM_RSRC2:TGID_Y_EN: 1
; COMPUTE_PGM_RSRC2:TGID_Z_EN: 1
; COMPUTE_PGM_RSRC2:TIDIG_COMP_CNT: 0
	.section	.text._Z39paged_attention_ll4mi_QKV_mfma16_kernelIDF16_hLN4vllm18Fp8KVCacheDataTypeE1EhLi32ELi64ELi256ELb0ELi11EL8MFMAType1EEvPKT_PKT0_S8_ifPKiSA_SA_iPKfiiiPfSD_PS3_PT2_iSC_SC_,"axG",@progbits,_Z39paged_attention_ll4mi_QKV_mfma16_kernelIDF16_hLN4vllm18Fp8KVCacheDataTypeE1EhLi32ELi64ELi256ELb0ELi11EL8MFMAType1EEvPKT_PKT0_S8_ifPKiSA_SA_iPKfiiiPfSD_PS3_PT2_iSC_SC_,comdat
	.protected	_Z39paged_attention_ll4mi_QKV_mfma16_kernelIDF16_hLN4vllm18Fp8KVCacheDataTypeE1EhLi32ELi64ELi256ELb0ELi11EL8MFMAType1EEvPKT_PKT0_S8_ifPKiSA_SA_iPKfiiiPfSD_PS3_PT2_iSC_SC_ ; -- Begin function _Z39paged_attention_ll4mi_QKV_mfma16_kernelIDF16_hLN4vllm18Fp8KVCacheDataTypeE1EhLi32ELi64ELi256ELb0ELi11EL8MFMAType1EEvPKT_PKT0_S8_ifPKiSA_SA_iPKfiiiPfSD_PS3_PT2_iSC_SC_
	.globl	_Z39paged_attention_ll4mi_QKV_mfma16_kernelIDF16_hLN4vllm18Fp8KVCacheDataTypeE1EhLi32ELi64ELi256ELb0ELi11EL8MFMAType1EEvPKT_PKT0_S8_ifPKiSA_SA_iPKfiiiPfSD_PS3_PT2_iSC_SC_
	.p2align	8
	.type	_Z39paged_attention_ll4mi_QKV_mfma16_kernelIDF16_hLN4vllm18Fp8KVCacheDataTypeE1EhLi32ELi64ELi256ELb0ELi11EL8MFMAType1EEvPKT_PKT0_S8_ifPKiSA_SA_iPKfiiiPfSD_PS3_PT2_iSC_SC_,@function
_Z39paged_attention_ll4mi_QKV_mfma16_kernelIDF16_hLN4vllm18Fp8KVCacheDataTypeE1EhLi32ELi64ELi256ELb0ELi11EL8MFMAType1EEvPKT_PKT0_S8_ifPKiSA_SA_iPKfiiiPfSD_PS3_PT2_iSC_SC_: ; @_Z39paged_attention_ll4mi_QKV_mfma16_kernelIDF16_hLN4vllm18Fp8KVCacheDataTypeE1EhLi32ELi64ELi256ELb0ELi11EL8MFMAType1EEvPKT_PKT0_S8_ifPKiSA_SA_iPKfiiiPfSD_PS3_PT2_iSC_SC_
; %bb.0:
	s_load_b64 s[2:3], s[0:1], 0x30
	s_mov_b32 s34, s13
	s_waitcnt lgkmcnt(0)
	s_cmp_lg_u64 s[2:3], 0
	s_cselect_b32 s6, -1, 0
	s_ashr_i32 s35, s13, 31
	s_cmp_eq_u64 s[2:3], 0
	s_cbranch_scc1 .LBB880_3
; %bb.1:
	s_lshl_b64 s[4:5], s[34:35], 2
	s_delay_alu instid0(SALU_CYCLE_1) | instskip(SKIP_4) | instid1(SALU_CYCLE_1)
	s_add_u32 s4, s2, s4
	s_addc_u32 s5, s3, s5
	s_load_b64 s[4:5], s[4:5], 0x0
	s_waitcnt lgkmcnt(0)
	s_sub_i32 s4, s5, s4
	s_cmp_eq_u32 s4, 1
	s_cselect_b32 s4, -1, 0
	s_delay_alu instid0(SALU_CYCLE_1)
	s_and_not1_b32 vcc_lo, exec_lo, s4
	s_cbranch_vccz .LBB880_4
.LBB880_2:
	s_nop 0
	s_sendmsg sendmsg(MSG_DEALLOC_VGPRS)
	s_endpgm
.LBB880_3:
.LBB880_4:
	s_load_b64 s[8:9], s[0:1], 0x28
	s_lshl_b64 s[4:5], s[34:35], 2
	s_waitcnt lgkmcnt(0)
	s_add_u32 s8, s8, s4
	s_addc_u32 s9, s9, s5
	s_lshl_b32 s16, s14, 8
	s_load_b32 s18, s[8:9], 0x0
	s_waitcnt lgkmcnt(0)
	s_cmp_ge_i32 s16, s18
	s_cbranch_scc1 .LBB880_2
; %bb.5:
	s_clause 0x1
	s_load_b128 s[8:11], s[0:1], 0x8
	s_load_b64 s[12:13], s[0:1], 0x20
	s_and_not1_b32 vcc_lo, exec_lo, s6
	s_cbranch_vccnz .LBB880_7
; %bb.6:
	s_add_u32 s2, s2, s4
	s_addc_u32 s3, s3, s5
	s_load_b32 s3, s[2:3], 0x0
	s_branch .LBB880_8
.LBB880_7:
	s_mov_b32 s3, s34
.LBB880_8:
	s_load_b128 s[4:7], s[0:1], 0x48
	v_lshrrev_b32_e32 v69, 5, v0
	v_bfe_u32 v66, v0, 4, 1
	v_and_b32_e32 v68, 15, v0
	v_and_b32_e32 v70, 31, v0
	;; [unrolled: 1-line block ×3, first 2 shown]
	s_mul_i32 s33, s15, 11
	v_lshl_or_b32 v1, v69, 1, v66
	v_lshlrev_b32_e32 v2, 3, v68
	v_cmp_gt_u32_e64 s2, 8, v68
	s_delay_alu instid0(VALU_DEP_3) | instskip(NEXT) | instid1(VALU_DEP_3)
	v_cmp_gt_u32_e32 vcc_lo, 11, v1
	v_lshlrev_b32_e32 v65, 1, v2
	s_delay_alu instid0(VALU_DEP_3)
	s_and_b32 s17, s2, vcc_lo
	s_waitcnt lgkmcnt(0)
	s_and_saveexec_b32 s7, s17
	s_cbranch_execz .LBB880_10
; %bb.9:
	s_load_b64 s[20:21], s[0:1], 0x0
	v_add_lshl_u32 v2, v1, s33, 6
	s_mul_hi_i32 s23, s3, s4
	s_mul_i32 s22, s3, s4
	v_lshlrev_b32_e32 v6, 10, v68
	s_lshl_b64 s[22:23], s[22:23], 1
	v_ashrrev_i32_e32 v3, 31, v2
	v_lshlrev_b32_e32 v1, 6, v1
	v_lshlrev_b32_e32 v7, 10, v67
	v_and_b32_e32 v6, 0x3800, v6
	s_delay_alu instid0(VALU_DEP_4) | instskip(NEXT) | instid1(VALU_DEP_2)
	v_lshlrev_b64 v[2:3], 1, v[2:3]
	v_or3_b32 v1, v6, v7, v1
	s_waitcnt lgkmcnt(0)
	s_add_u32 s3, s20, s22
	s_addc_u32 s4, s21, s23
	s_delay_alu instid0(VALU_DEP_2) | instskip(SKIP_1) | instid1(VALU_DEP_2)
	v_add_co_u32 v2, vcc_lo, s3, v2
	v_add_co_ci_u32_e32 v3, vcc_lo, s4, v3, vcc_lo
	v_add_co_u32 v2, vcc_lo, v2, v65
	s_delay_alu instid0(VALU_DEP_2)
	v_add_co_ci_u32_e32 v3, vcc_lo, 0, v3, vcc_lo
	global_load_b128 v[2:5], v[2:3], off
	s_waitcnt vmcnt(0)
	ds_store_b128 v1, v[2:5]
.LBB880_10:
	s_or_b32 exec_lo, exec_lo, s7
	v_and_b32_e32 v1, 0xef, v0
	s_add_i32 s3, s18, 31
	s_clause 0x1
	s_load_b32 s4, s[0:1], 0x38
	s_load_b32 s35, s[0:1], 0x98
	s_ashr_i32 s7, s3, 31
	v_add_nc_u32_e32 v1, s16, v1
	s_lshr_b32 s7, s7, 27
	s_load_b32 s19, s[0:1], 0x1c
	v_add_nc_u32_e32 v103, -11, v68
	s_add_i32 s3, s3, s7
	v_ashrrev_i32_e32 v2, 31, v1
	v_or_b32_e32 v3, 16, v1
	s_ashr_i32 s3, s3, 5
	v_cmp_gt_i32_e32 vcc_lo, s18, v1
	s_add_i32 s3, s3, -1
	v_lshrrev_b32_e32 v2, 27, v2
	s_waitcnt lgkmcnt(0)
	s_barrier
	buffer_gl0_inv
	s_mul_i32 s15, s15, s6
	v_add_nc_u32_e32 v4, v1, v2
	v_mbcnt_lo_u32_b32 v127, -1, 0
	s_mul_i32 s20, s34, s4
	s_delay_alu instid0(SALU_CYCLE_1) | instskip(NEXT) | instid1(VALU_DEP_2)
	s_ashr_i32 s21, s20, 31
	v_ashrrev_i32_e32 v4, 5, v4
	v_add_nc_u32_e32 v2, v3, v2
	s_lshl_b64 s[20:21], s[20:21], 2
	v_xor_b32_e32 v128, 16, v127
	s_add_u32 s17, s12, s20
	v_cndmask_b32_e32 v1, s3, v4, vcc_lo
	v_ashrrev_i32_e32 v2, 5, v2
	v_cmp_gt_i32_e32 vcc_lo, s18, v3
	s_addc_u32 s13, s13, s21
	s_ashr_i32 s20, s15, 31
	s_add_u32 s22, s8, s15
	s_addc_u32 s23, s9, s20
	v_cndmask_b32_e32 v3, s3, v2, vcc_lo
	v_ashrrev_i32_e32 v2, 31, v1
	s_lshl_b32 s6, s14, 3
	s_delay_alu instid0(SALU_CYCLE_1) | instskip(NEXT) | instid1(VALU_DEP_2)
	s_ashr_i32 s7, s6, 31
	v_ashrrev_i32_e32 v4, 31, v3
	s_delay_alu instid0(VALU_DEP_2) | instskip(SKIP_1) | instid1(SALU_CYCLE_1)
	v_lshlrev_b64 v[1:2], 2, v[1:2]
	s_lshl_b64 s[6:7], s[6:7], 2
	s_add_u32 s6, s17, s6
	s_delay_alu instid0(VALU_DEP_2) | instskip(SKIP_1) | instid1(VALU_DEP_2)
	v_lshlrev_b64 v[3:4], 2, v[3:4]
	s_addc_u32 s7, s13, s7
	v_add_co_u32 v1, vcc_lo, s17, v1
	v_add_co_ci_u32_e32 v2, vcc_lo, s13, v2, vcc_lo
	s_delay_alu instid0(VALU_DEP_3) | instskip(NEXT) | instid1(VALU_DEP_4)
	v_add_co_u32 v3, vcc_lo, s17, v3
	v_add_co_ci_u32_e32 v4, vcc_lo, s13, v4, vcc_lo
	s_clause 0x1
	global_load_b32 v5, v[1:2], off
	global_load_b32 v6, v[3:4], off
	s_or_b32 s4, s16, 32
	s_delay_alu instid0(SALU_CYCLE_1) | instskip(SKIP_2) | instid1(SALU_CYCLE_1)
	s_ashr_i32 s8, s4, 5
	s_cmp_lt_i32 s4, s18
	s_cselect_b32 s8, s8, s3
	s_ashr_i32 s9, s8, 31
	s_delay_alu instid0(SALU_CYCLE_1) | instskip(NEXT) | instid1(SALU_CYCLE_1)
	s_lshl_b64 s[8:9], s[8:9], 2
	s_add_u32 s8, s17, s8
	s_addc_u32 s9, s13, s9
	s_or_b32 s4, s16, 64
	s_delay_alu instid0(SALU_CYCLE_1) | instskip(SKIP_2) | instid1(SALU_CYCLE_1)
	s_ashr_i32 s12, s4, 5
	s_cmp_lt_i32 s4, s18
	s_cselect_b32 s24, s12, s3
	s_ashr_i32 s25, s24, 31
	s_delay_alu instid0(SALU_CYCLE_1) | instskip(NEXT) | instid1(SALU_CYCLE_1)
	s_lshl_b64 s[24:25], s[24:25], 2
	s_add_u32 s24, s17, s24
	s_addc_u32 s25, s13, s25
	;; [unrolled: 10-line block ×5, first 2 shown]
	s_clause 0x5
	s_load_b32 s12, s[6:7], 0x0
	s_load_b32 s4, s[8:9], 0x0
	;; [unrolled: 1-line block ×6, first 2 shown]
	s_or_b32 s21, s16, 0xc0
	s_waitcnt vmcnt(1)
	v_mad_i64_i32 v[1:2], null, v5, s5, s[22:23]
	v_lshlrev_b32_e32 v5, 4, v68
	s_waitcnt vmcnt(0)
	v_mad_i64_i32 v[3:4], null, v6, s5, s[22:23]
	s_ashr_i32 s22, s21, 5
	s_cmp_lt_i32 s21, s18
	s_delay_alu instid0(VALU_DEP_3) | instskip(NEXT) | instid1(VALU_DEP_4)
	v_add_co_u32 v1, vcc_lo, v1, v5
	v_add_co_ci_u32_e32 v2, vcc_lo, 0, v2, vcc_lo
	s_delay_alu instid0(VALU_DEP_3) | instskip(NEXT) | instid1(VALU_DEP_4)
	v_add_co_u32 v3, vcc_lo, v3, v5
	v_add_co_ci_u32_e32 v4, vcc_lo, 0, v4, vcc_lo
	s_clause 0x7
	global_load_b128 v[71:74], v[1:2], off
	global_load_b128 v[75:78], v[1:2], off offset:512
	global_load_b128 v[79:82], v[3:4], off offset:256
	;; [unrolled: 1-line block ×7, first 2 shown]
	s_cselect_b32 s22, s22, s3
	v_lshlrev_b32_e32 v1, 5, v68
	s_ashr_i32 s23, s22, 31
	v_cmp_gt_u32_e32 vcc_lo, 11, v68
	s_lshl_b64 s[22:23], s[22:23], 2
	s_delay_alu instid0(SALU_CYCLE_1)
	s_add_u32 s22, s17, s22
	s_addc_u32 s23, s13, s23
	s_or_b32 s21, s16, 0xe0
	v_lshl_or_b32 v1, v69, 9, v1
	s_ashr_i32 s24, s21, 5
	s_cmp_lt_i32 s21, s18
	v_cndmask_b32_e32 v103, v103, v68, vcc_lo
	s_cselect_b32 s24, s24, s3
	s_load_b32 s3, s[22:23], 0x0
	s_ashr_i32 s25, s24, 31
	v_cmp_gt_i32_e32 vcc_lo, 32, v128
	s_lshl_b64 s[24:25], s[24:25], 2
	v_lshlrev_b32_e32 v115, 6, v103
	s_add_u32 s22, s17, s24
	s_addc_u32 s23, s13, s25
	v_cndmask_b32_e32 v136, v127, v128, vcc_lo
	s_add_u32 s10, s10, s15
	s_addc_u32 s11, s11, s20
	v_add_co_u32 v1, s10, s10, v1
	s_delay_alu instid0(VALU_DEP_1) | instskip(SKIP_2) | instid1(VALU_DEP_1)
	v_add_co_ci_u32_e64 v2, null, s11, 0, s10
	s_load_b32 s10, s[22:23], 0x0
	s_waitcnt lgkmcnt(0)
	v_mad_i64_i32 v[3:4], null, s12, s5, v[1:2]
	v_mad_i64_i32 v[9:10], null, s7, s5, v[1:2]
	v_mad_i64_i32 v[5:6], null, s4, s5, v[1:2]
	v_mad_i64_i32 v[13:14], null, s8, s5, v[1:2]
	v_mad_i64_i32 v[7:8], null, s6, s5, v[1:2]
	v_mad_i64_i32 v[21:22], null, s9, s5, v[1:2]
	v_mad_i64_i32 v[29:30], null, s3, s5, v[1:2]
	s_clause 0x5
	global_load_b128 v[49:52], v[3:4], off
	global_load_b128 v[53:56], v[3:4], off offset:16
	global_load_b128 v[41:44], v[5:6], off
	global_load_b128 v[45:48], v[5:6], off offset:16
	;; [unrolled: 2-line block ×3, first 2 shown]
	s_mov_b32 s4, 0
	v_mad_i64_i32 v[61:62], null, s10, s5, v[1:2]
	s_clause 0x9
	global_load_b128 v[1:4], v[9:10], off
	global_load_b128 v[5:8], v[9:10], off offset:16
	global_load_b128 v[9:12], v[13:14], off
	global_load_b128 v[13:16], v[13:14], off offset:16
	;; [unrolled: 2-line block ×5, first 2 shown]
	s_mov_b32 s5, s4
	s_mov_b32 s6, s4
	;; [unrolled: 1-line block ×7, first 2 shown]
	v_and_b32_e32 v104, 0xe0, v0
	v_dual_mov_b32 v126, s11 :: v_dual_mov_b32 v125, s10
	v_dual_mov_b32 v124, s9 :: v_dual_mov_b32 v123, s8
	s_delay_alu instid0(VALU_DEP_3)
	v_add_nc_u32_e32 v111, s16, v104
	ds_load_b128 v[103:106], v115
	ds_load_b128 v[107:110], v115 offset:1024
	v_dual_mov_b32 v122, s7 :: v_dual_mov_b32 v121, s6
	v_mov_b32_e32 v120, s5
	v_or_b32_e32 v135, v111, v66
	ds_load_b128 v[111:114], v115 offset:2048
	ds_load_b128 v[115:118], v115 offset:3072
	v_mov_b32_e32 v119, s4
	s_waitcnt vmcnt(0) lgkmcnt(0)
	s_barrier
	v_or_b32_e32 v137, 2, v135
	v_or_b32_e32 v138, 4, v135
	;; [unrolled: 1-line block ×3, first 2 shown]
	v_cmp_gt_i32_e32 vcc_lo, s18, v135
	v_or_b32_e32 v140, 8, v135
	v_cmp_gt_i32_e64 s3, s18, v137
	v_or_b32_e32 v141, 10, v135
	v_cmp_gt_i32_e64 s4, s18, v138
	v_cmp_gt_i32_e64 s5, s18, v139
	v_or_b32_e32 v142, 12, v135
	v_or_b32_e32 v143, 14, v135
	v_cmp_gt_i32_e64 s6, s18, v140
	v_cmp_gt_i32_e64 s7, s18, v141
	v_or_b32_e32 v144, 16, v135
	v_or_b32_e32 v145, 18, v135
	v_cmp_gt_i32_e64 s8, s18, v142
	v_cmp_gt_i32_e64 s9, s18, v143
	buffer_gl0_inv
	v_cmp_gt_i32_e64 s10, s18, v144
	v_cmp_gt_i32_e64 s11, s18, v145
	v_wmma_f32_16x16x16_f16 v[127:134], v[71:78], v[103:110], v[119:126]
	v_wmma_f32_16x16x16_f16 v[119:126], v[79:86], v[103:110], v[119:126]
	v_or_b32_e32 v71, 20, v135
	v_or_b32_e32 v72, 22, v135
	s_delay_alu instid0(VALU_DEP_4)
	v_wmma_f32_16x16x16_f16 v[127:134], v[87:94], v[111:118], v[127:134]
	v_or_b32_e32 v73, 24, v135
	v_wmma_f32_16x16x16_f16 v[119:126], v[95:102], v[111:118], v[119:126]
	v_or_b32_e32 v74, 26, v135
	v_cmp_gt_i32_e64 s12, s18, v71
	v_dual_mul_f32 v83, s19, v128 :: v_dual_mul_f32 v84, s19, v127
	s_delay_alu instid0(VALU_DEP_4) | instskip(SKIP_1) | instid1(VALU_DEP_3)
	v_dual_mul_f32 v81, s19, v130 :: v_dual_mul_f32 v92, s19, v119
	v_mul_f32_e32 v82, s19, v129
	v_cndmask_b32_e64 v83, 0xff7fffff, v83, s3
	s_delay_alu instid0(VALU_DEP_4)
	v_cndmask_b32_e32 v84, 0xff7fffff, v84, vcc_lo
	v_dual_mul_f32 v79, s19, v132 :: v_dual_mul_f32 v90, s19, v121
	v_mul_f32_e32 v80, s19, v131
	v_cndmask_b32_e64 v82, 0xff7fffff, v82, s4
	v_cndmask_b32_e64 v81, 0xff7fffff, v81, s5
	v_max3_f32 v83, v84, 0xff7fffff, v83
	v_dual_mul_f32 v77, s19, v134 :: v_dual_mul_f32 v88, s19, v123
	v_mul_f32_e32 v78, s19, v133
	v_cndmask_b32_e64 v80, 0xff7fffff, v80, s6
	v_cndmask_b32_e64 v79, 0xff7fffff, v79, s7
	v_max3_f32 v81, v83, v82, v81
	v_mul_f32_e32 v91, s19, v120
	v_cndmask_b32_e64 v78, 0xff7fffff, v78, s8
	v_cndmask_b32_e64 v77, 0xff7fffff, v77, s9
	v_mul_f32_e32 v89, s19, v122
	v_max3_f32 v79, v81, v80, v79
	v_cndmask_b32_e64 v80, 0xff7fffff, v92, s10
	v_cndmask_b32_e64 v81, 0xff7fffff, v91, s11
	v_cmp_gt_i32_e64 s13, s18, v72
	v_or_b32_e32 v75, 28, v135
	v_max3_f32 v77, v79, v78, v77
	v_or_b32_e32 v76, 30, v135
	v_mul_f32_e32 v87, s19, v124
	v_cndmask_b32_e64 v71, 0xff7fffff, v90, s12
	v_cndmask_b32_e64 v72, 0xff7fffff, v89, s13
	v_max3_f32 v77, v77, v80, v81
	v_cmp_gt_i32_e64 s15, s18, v73
	v_cmp_gt_i32_e64 s16, s18, v74
	v_dual_mul_f32 v85, s19, v126 :: v_dual_mul_f32 v86, s19, v125
	s_delay_alu instid0(VALU_DEP_4) | instskip(NEXT) | instid1(VALU_DEP_4)
	v_max3_f32 v71, v77, v71, v72
	v_cndmask_b32_e64 v73, 0xff7fffff, v88, s15
	s_delay_alu instid0(VALU_DEP_4) | instskip(SKIP_2) | instid1(VALU_DEP_3)
	v_cndmask_b32_e64 v74, 0xff7fffff, v87, s16
	v_cmp_gt_i32_e64 s17, s18, v75
	v_cmp_gt_i32_e64 s18, s18, v76
	v_max3_f32 v71, v71, v73, v74
	s_delay_alu instid0(VALU_DEP_3) | instskip(NEXT) | instid1(VALU_DEP_3)
	v_cndmask_b32_e64 v72, 0xff7fffff, v86, s17
	v_cndmask_b32_e64 v75, 0xff7fffff, v85, s18
	v_lshlrev_b32_e32 v73, 2, v136
	s_delay_alu instid0(VALU_DEP_2) | instskip(SKIP_3) | instid1(VALU_DEP_1)
	v_max3_f32 v71, v71, v72, v75
	ds_bpermute_b32 v72, v73, v71
	s_waitcnt lgkmcnt(0)
	v_max_f32_e32 v72, v72, v72
	v_max_f32_e32 v71, v71, v72
	s_delay_alu instid0(VALU_DEP_1)
	v_fma_f32 v72, s19, v127, -v71
	v_fma_f32 v74, s19, v128, -v71
	;; [unrolled: 1-line block ×5, first 2 shown]
	v_mul_f32_e32 v72, 0x3fb8aa3b, v72
	v_mul_f32_e32 v74, 0x3fb8aa3b, v74
	v_fma_f32 v80, s19, v133, -v71
	s_delay_alu instid0(VALU_DEP_4) | instskip(NEXT) | instid1(VALU_DEP_4)
	v_dual_mul_f32 v76, 0x3fb8aa3b, v76 :: v_dual_mul_f32 v77, 0x3fb8aa3b, v77
	v_exp_f32_e32 v72, v72
	s_delay_alu instid0(VALU_DEP_3) | instskip(NEXT) | instid1(VALU_DEP_2)
	v_exp_f32_e32 v74, v74
	v_mul_f32_e32 v82, 0x3fb8aa3b, v80
	s_delay_alu instid0(VALU_DEP_2) | instskip(SKIP_1) | instid1(VALU_DEP_1)
	v_exp_f32_e32 v76, v76
	v_exp_f32_e32 v77, v77
	;; [unrolled: 1-line block ×3, first 2 shown]
	v_cndmask_b32_e32 v79, 0, v72, vcc_lo
	v_fma_f32 v72, s19, v132, -v71
	v_mul_f32_e32 v75, 0x3fb8aa3b, v75
	v_cndmask_b32_e64 v78, 0, v74, s3
	s_delay_alu instid0(TRANS32_DEP_3)
	v_cndmask_b32_e64 v80, 0, v76, s5
	v_add_f32_e32 v74, 0, v79
	v_mul_f32_e32 v72, 0x3fb8aa3b, v72
	v_exp_f32_e32 v75, v75
	v_cndmask_b32_e64 v83, 0, v77, s6
	v_cndmask_b32_e64 v85, 0, v84, s8
	v_add_f32_e32 v74, v74, v78
	v_exp_f32_e32 v72, v72
	v_cmp_gt_u32_e64 s3, 16, v70
	s_waitcnt_depctr 0xfff
	v_cndmask_b32_e64 v81, 0, v75, s4
	v_cndmask_b32_e64 v82, 0, v72, s7
	s_delay_alu instid0(VALU_DEP_2) | instskip(NEXT) | instid1(VALU_DEP_1)
	v_add_f32_e32 v74, v74, v81
	v_add_f32_e32 v74, v74, v80
	s_delay_alu instid0(VALU_DEP_1) | instskip(SKIP_4) | instid1(VALU_DEP_4)
	v_add_f32_e32 v72, v74, v83
	v_fma_f32 v75, s19, v134, -v71
	v_fma_f32 v76, s19, v119, -v71
	;; [unrolled: 1-line block ×4, first 2 shown]
	v_dual_add_f32 v72, v72, v82 :: v_dual_mul_f32 v75, 0x3fb8aa3b, v75
	s_delay_alu instid0(VALU_DEP_3) | instskip(SKIP_1) | instid1(VALU_DEP_3)
	v_dual_mul_f32 v76, 0x3fb8aa3b, v76 :: v_dual_mul_f32 v77, 0x3fb8aa3b, v77
	v_fma_f32 v86, s19, v122, -v71
	v_add_f32_e32 v72, v72, v85
	s_delay_alu instid0(VALU_DEP_4) | instskip(NEXT) | instid1(VALU_DEP_3)
	v_exp_f32_e32 v75, v75
	v_exp_f32_e32 v76, v76
	;; [unrolled: 1-line block ×3, first 2 shown]
	v_mul_f32_e32 v86, 0x3fb8aa3b, v86
	s_delay_alu instid0(VALU_DEP_1) | instskip(SKIP_3) | instid1(TRANS32_DEP_3)
	v_exp_f32_e32 v88, v86
	v_cndmask_b32_e64 v84, 0, v75, s9
	v_fma_f32 v75, s19, v123, -v71
	v_mul_f32_e32 v74, 0x3fb8aa3b, v74
	v_cndmask_b32_e64 v87, 0, v76, s10
	v_fma_f32 v76, s19, v124, -v71
	s_delay_alu instid0(VALU_DEP_4) | instskip(NEXT) | instid1(VALU_DEP_4)
	v_dual_add_f32 v72, v72, v84 :: v_dual_mul_f32 v75, 0x3fb8aa3b, v75
	v_exp_f32_e32 v74, v74
	v_cndmask_b32_e64 v86, 0, v77, s11
	v_fma_f32 v77, s19, v125, -v71
	s_delay_alu instid0(VALU_DEP_3) | instskip(SKIP_3) | instid1(VALU_DEP_3)
	v_add_f32_e32 v72, v72, v87
	v_mul_f32_e32 v76, 0x3fb8aa3b, v76
	v_exp_f32_e32 v75, v75
	v_cndmask_b32_e64 v88, 0, v88, s13
	v_add_f32_e32 v72, v72, v86
	s_delay_alu instid0(VALU_DEP_3) | instskip(NEXT) | instid1(TRANS32_DEP_3)
	v_exp_f32_e32 v76, v76
	v_cndmask_b32_e64 v89, 0, v74, s12
	v_mul_f32_e32 v74, 0x3fb8aa3b, v77
	v_fma_f32 v77, s19, v126, -v71
	s_delay_alu instid0(VALU_DEP_3) | instskip(NEXT) | instid1(VALU_DEP_3)
	v_add_f32_e32 v72, v72, v89
	v_exp_f32_e32 v74, v74
	s_delay_alu instid0(TRANS32_DEP_3) | instskip(NEXT) | instid1(VALU_DEP_3)
	v_cndmask_b32_e64 v91, 0, v75, s15
	v_mul_f32_e32 v75, 0x3fb8aa3b, v77
	s_delay_alu instid0(TRANS32_DEP_2) | instskip(SKIP_1) | instid1(VALU_DEP_3)
	v_cndmask_b32_e64 v90, 0, v76, s16
	v_add_f32_e32 v72, v72, v88
	v_exp_f32_e32 v75, v75
	s_delay_alu instid0(VALU_DEP_1) | instskip(NEXT) | instid1(TRANS32_DEP_2)
	v_add_f32_e32 v72, v72, v91
	v_cndmask_b32_e64 v93, 0, v74, s17
	s_delay_alu instid0(VALU_DEP_2) | instskip(SKIP_3) | instid1(VALU_DEP_1)
	v_add_f32_e32 v72, v72, v90
	s_waitcnt_depctr 0xfff
	v_cndmask_b32_e64 v92, 0, v75, s18
	v_add_f32_e32 v72, v72, v93
	v_add_f32_e32 v72, v72, v92
	ds_bpermute_b32 v73, v73, v72
	s_and_saveexec_b32 s4, s3
	s_cbranch_execz .LBB880_12
; %bb.11:
	v_mul_u32_u24_e32 v70, 0x44, v69
	s_waitcnt lgkmcnt(0)
	v_add_f32_e32 v72, v72, v73
	s_delay_alu instid0(VALU_DEP_2) | instskip(NEXT) | instid1(VALU_DEP_1)
	v_lshl_add_u32 v70, v68, 2, v70
	v_add_nc_u32_e32 v70, 0x4000, v70
	ds_store_2addr_b32 v70, v71, v72 offset1:136
.LBB880_12:
	s_or_b32 exec_lo, exec_lo, s4
	v_lshlrev_b32_e32 v70, 2, v68
	s_load_b32 s36, s[0:1], 0x94
	s_waitcnt lgkmcnt(0)
	s_barrier
	buffer_gl0_inv
	v_add_nc_u32_e32 v98, 0x4000, v70
	v_cmp_eq_u32_e32 vcc_lo, 1, v69
	v_cmp_eq_u32_e64 s4, 2, v69
	v_cmp_eq_u32_e64 s5, 3, v69
	;; [unrolled: 1-line block ×3, first 2 shown]
	ds_load_2addr_b32 v[70:71], v98 offset1:17
	ds_load_2addr_b32 v[72:73], v98 offset0:34 offset1:51
	ds_load_2addr_b32 v[74:75], v98 offset0:68 offset1:85
	;; [unrolled: 1-line block ×3, first 2 shown]
	v_cmp_eq_u32_e64 s7, 5, v69
	v_cmp_eq_u32_e64 s8, 7, v69
	s_waitcnt lgkmcnt(3)
	v_max3_f32 v76, v70, 0xff7fffff, v71
	s_waitcnt lgkmcnt(2)
	s_delay_alu instid0(VALU_DEP_1) | instskip(SKIP_1) | instid1(VALU_DEP_1)
	v_max3_f32 v76, v76, v72, v73
	s_waitcnt lgkmcnt(1)
	v_max3_f32 v76, v76, v74, v75
	s_waitcnt lgkmcnt(0)
	s_delay_alu instid0(VALU_DEP_1) | instskip(NEXT) | instid1(VALU_DEP_1)
	v_max3_f32 v76, v76, v94, v95
	v_sub_f32_e32 v77, v71, v76
	ds_load_2addr_b32 v[96:97], v98 offset0:136 offset1:153
	v_sub_f32_e32 v74, v74, v76
	v_sub_f32_e32 v70, v70, v76
	;; [unrolled: 1-line block ×3, first 2 shown]
	v_dual_sub_f32 v72, v72, v76 :: v_dual_mul_f32 v77, 0x3fb8aa3b, v77
	s_delay_alu instid0(VALU_DEP_4) | instskip(NEXT) | instid1(VALU_DEP_4)
	v_mul_f32_e32 v103, 0x3fb8aa3b, v74
	v_mul_f32_e32 v99, 0x3fb8aa3b, v70
	ds_load_2addr_b32 v[70:71], v98 offset0:170 offset1:187
	v_dual_mul_f32 v101, 0x3fb8aa3b, v72 :: v_dual_mul_f32 v94, 0x3fb8aa3b, v94
	v_exp_f32_e32 v102, v77
	v_exp_f32_e32 v99, v99
	s_delay_alu instid0(VALU_DEP_1) | instskip(NEXT) | instid1(VALU_DEP_1)
	v_exp_f32_e32 v101, v101
	v_exp_f32_e32 v94, v94
	s_waitcnt lgkmcnt(1)
	s_delay_alu instid0(TRANS32_DEP_3)
	v_fma_f32 v77, v99, v96, 0
	v_sub_f32_e32 v100, v73, v76
	ds_load_2addr_b32 v[72:73], v98 offset0:204 offset1:221
	v_fmac_f32_e32 v77, v102, v97
	v_exp_f32_e32 v97, v103
	s_waitcnt lgkmcnt(1)
	s_delay_alu instid0(VALU_DEP_1)
	v_dual_fmac_f32 v77, v101, v70 :: v_dual_sub_f32 v96, v75, v76
	ds_load_2addr_b32 v[74:75], v98 offset0:238 offset1:255
	v_sub_f32_e32 v70, v95, v76
	s_waitcnt lgkmcnt(0)
	s_barrier
	v_mul_f32_e32 v96, 0x3fb8aa3b, v96
	buffer_gl0_inv
	v_exp_f32_e32 v95, v96
	v_mul_f32_e32 v100, 0x3fb8aa3b, v100
	s_delay_alu instid0(VALU_DEP_1) | instskip(SKIP_3) | instid1(VALU_DEP_2)
	v_exp_f32_e32 v100, v100
	s_waitcnt_depctr 0xfff
	v_dual_fmac_f32 v77, v100, v71 :: v_dual_mul_f32 v70, 0x3fb8aa3b, v70
	v_cndmask_b32_e32 v71, v99, v102, vcc_lo
	v_fmac_f32_e32 v77, v97, v72
	s_delay_alu instid0(VALU_DEP_3) | instskip(NEXT) | instid1(VALU_DEP_1)
	v_exp_f32_e32 v96, v70
	v_fmac_f32_e32 v77, v95, v73
	s_delay_alu instid0(VALU_DEP_1) | instskip(SKIP_2) | instid1(VALU_DEP_1)
	v_fmac_f32_e32 v77, v94, v74
	s_waitcnt_depctr 0xfff
	v_fmac_f32_e32 v77, v96, v75
	v_add_f32_e32 v74, 0x358637bd, v77
	s_delay_alu instid0(VALU_DEP_1) | instskip(SKIP_1) | instid1(VALU_DEP_2)
	v_div_scale_f32 v98, null, v74, v74, 1.0
	v_div_scale_f32 v99, vcc_lo, 1.0, v74, 1.0
	v_rcp_f32_e32 v103, v98
	s_waitcnt_depctr 0xfff
	v_fma_f32 v70, -v98, v103, 1.0
	s_delay_alu instid0(VALU_DEP_1) | instskip(SKIP_2) | instid1(VALU_DEP_2)
	v_fmac_f32_e32 v103, v70, v103
	v_cndmask_b32_e64 v70, v71, v101, s4
	v_cmp_eq_u32_e64 s4, 6, v69
	v_cndmask_b32_e64 v71, v70, v100, s5
	s_delay_alu instid0(VALU_DEP_4) | instskip(NEXT) | instid1(VALU_DEP_2)
	v_dual_mul_f32 v101, v99, v103 :: v_dual_lshlrev_b32 v70, 2, v66
	v_cndmask_b32_e64 v71, v71, v97, s6
	s_delay_alu instid0(VALU_DEP_2) | instskip(NEXT) | instid1(VALU_DEP_3)
	v_or_b32_e32 v72, 1, v70
	v_fma_f32 v100, -v98, v101, v99
	v_cmp_eq_u32_e64 s5, 1, v70
	v_cmp_eq_u32_e64 s6, 2, v70
	v_cndmask_b32_e64 v95, v71, v95, s7
	v_or_b32_e32 v71, 3, v70
	v_fmac_f32_e32 v101, v100, v103
	v_cmp_eq_u32_e64 s10, 1, v72
	v_cmp_eq_u32_e64 s13, 2, v72
	v_cndmask_b32_e64 v94, v95, v94, s4
	v_cmp_eq_u32_e64 s12, 1, v71
	v_fma_f32 v97, -v98, v101, v99
	v_cmp_eq_u32_e64 s17, 2, v71
	v_cmp_eq_u32_e64 s15, 3, v72
	v_cndmask_b32_e64 v94, v94, v96, s8
	v_cmp_eq_u32_e64 s19, 3, v71
	v_div_fmas_f32 v95, v97, v103, v101
	v_cmp_eq_u32_e32 vcc_lo, 3, v70
	v_cmp_eq_u32_e64 s4, 4, v70
	v_cmp_eq_u32_e64 s20, 4, v72
	;; [unrolled: 1-line block ×3, first 2 shown]
	v_div_fixup_f32 v95, v95, v74, 1.0
	v_lshlrev_b32_e32 v73, 6, v68
	v_cmp_eq_u32_e64 s7, 5, v70
	v_cmp_eq_u32_e64 s21, 5, v72
	;; [unrolled: 1-line block ×3, first 2 shown]
	v_mul_f32_e32 v102, v94, v95
	v_lshl_or_b32 v75, v69, 11, v73
	v_or_b32_e32 v69, 2, v70
	v_cmp_eq_u32_e64 s26, 6, v72
	v_cmp_eq_u32_e64 s28, 6, v71
	v_fma_mixlo_f16 v94, v102, v79, 0
	v_fma_mixlo_f16 v95, v102, v81, 0
	;; [unrolled: 1-line block ×8, first 2 shown]
	v_lshl_or_b32 v74, v66, 4, v75
	v_fma_mixhi_f16 v94, v102, v78, 0
	v_fma_mixhi_f16 v95, v102, v80, 0
	;; [unrolled: 1-line block ×8, first 2 shown]
	ds_store_b128 v74, v[94:97]
	ds_store_b128 v74, v[98:101] offset:1024
	s_waitcnt lgkmcnt(0)
	s_barrier
	buffer_gl0_inv
	ds_load_b128 v[78:81], v75
	ds_load_b128 v[82:85], v75 offset:16
	ds_load_b128 v[86:89], v75 offset:1024
	;; [unrolled: 1-line block ×3, first 2 shown]
	v_cmp_eq_u32_e64 s11, 1, v69
	v_cmp_eq_u32_e64 s16, 2, v69
	;; [unrolled: 1-line block ×11, first 2 shown]
	s_waitcnt lgkmcnt(3)
	v_lshrrev_b32_e32 v94, 16, v78
	s_waitcnt lgkmcnt(2)
	v_lshrrev_b32_e32 v98, 16, v82
	;; [unrolled: 2-line block ×4, first 2 shown]
	v_lshrrev_b32_e32 v95, 16, v79
	v_cndmask_b32_e64 v110, v78, v94, s5
	v_cndmask_b32_e64 v111, v82, v98, s5
	;; [unrolled: 1-line block ×8, first 2 shown]
	v_lshrrev_b32_e32 v99, 16, v83
	v_cndmask_b32_e64 v94, v86, v102, s5
	v_cndmask_b32_e64 v98, v90, v106, s5
	;; [unrolled: 1-line block ×15, first 2 shown]
	v_lshrrev_b32_e32 v103, 16, v87
	v_lshrrev_b32_e32 v107, 16, v91
	v_cndmask_b32_e64 v113, v115, v83, s16
	v_cndmask_b32_e64 v82, v94, v87, s6
	;; [unrolled: 1-line block ×7, first 2 shown]
	v_cndmask_b32_e32 v90, v102, v95, vcc_lo
	v_cndmask_b32_e32 v102, v106, v99, vcc_lo
	v_cndmask_b32_e64 v106, v110, v95, s15
	v_cndmask_b32_e64 v110, v111, v99, s15
	;; [unrolled: 1-line block ×4, first 2 shown]
	v_lshrrev_b32_e32 v96, 16, v80
	v_lshrrev_b32_e32 v100, 16, v84
	v_cndmask_b32_e64 v111, v112, v95, s18
	v_cndmask_b32_e64 v112, v113, v99, s18
	v_cndmask_b32_e32 v82, v82, v103, vcc_lo
	v_cndmask_b32_e32 v83, v83, v107, vcc_lo
	v_cndmask_b32_e64 v94, v94, v103, s15
	v_cndmask_b32_e64 v90, v90, v80, s4
	;; [unrolled: 1-line block ×7, first 2 shown]
	v_lshrrev_b32_e32 v104, 16, v88
	v_cndmask_b32_e64 v106, v111, v80, s22
	v_cndmask_b32_e64 v110, v112, v84, s22
	;; [unrolled: 1-line block ×11, first 2 shown]
	v_lshrrev_b32_e32 v97, 16, v81
	v_lshrrev_b32_e32 v101, 16, v85
	v_cndmask_b32_e64 v99, v106, v96, s24
	v_cndmask_b32_e64 v102, v110, v100, s24
	;; [unrolled: 1-line block ×7, first 2 shown]
	v_lshrrev_b32_e32 v105, 16, v89
	v_cndmask_b32_e64 v80, v80, v104, s7
	v_cndmask_b32_e64 v84, v84, v81, s8
	v_cndmask_b32_e64 v90, v90, v85, s8
	v_cndmask_b32_e64 v96, v99, v81, s27
	v_cndmask_b32_e64 v99, v102, v85, s27
	v_cndmask_b32_e64 v81, v83, v89, s26
	v_cndmask_b32_e64 v85, v94, v97, s31
	v_cndmask_b32_e64 v78, v78, v97, s30
	v_cndmask_b32_e64 v79, v79, v101, s30
	v_cndmask_b32_e64 v95, v95, v101, s31
	v_cndmask_b32_e64 v80, v80, v89, s8
	v_cndmask_b32_e64 v83, v84, v97, s9
	v_cndmask_b32_e64 v84, v90, v101, s9
	v_cndmask_b32_e64 v90, v96, v97, s29
	v_cndmask_b32_e64 v94, v99, v101, s29
	v_cndmask_b32_e64 v97, v81, v105, s31
	v_perm_b32 v81, v79, v78, 0x5040100
	v_perm_b32 v79, v95, v85, 0x5040100
	v_cndmask_b32_e64 v78, v119, v91, s16
	v_cndmask_b32_e64 v85, v117, v91, s13
	;; [unrolled: 1-line block ×3, first 2 shown]
	v_perm_b32 v80, v94, v90, 0x5040100
	v_cndmask_b32_e64 v90, v98, v103, s18
	v_cndmask_b32_e64 v86, v86, v103, s19
	v_cndmask_b32_e64 v87, v87, v107, s19
	v_cndmask_b32_e64 v78, v78, v107, s18
	v_cndmask_b32_e64 v85, v85, v107, s15
	v_lshrrev_b32_e32 v108, 16, v92
	v_cndmask_b32_e64 v90, v90, v88, s22
	v_cndmask_b32_e64 v86, v86, v88, s23
	;; [unrolled: 1-line block ×11, first 2 shown]
	v_lshrrev_b32_e32 v109, 16, v93
	v_cndmask_b32_e64 v82, v82, v93, s8
	v_cndmask_b32_e64 v88, v88, v89, s27
	;; [unrolled: 1-line block ×12, first 2 shown]
	v_perm_b32 v78, v84, v83, 0x5040100
	v_perm_b32 v85, v87, v86, 0x5040100
	;; [unrolled: 1-line block ×5, first 2 shown]
	s_mul_i32 s9, s35, 11
	s_mov_b32 s4, exec_lo
	ds_store_b128 v74, v[78:81]
	ds_store_b128 v74, v[82:85] offset:1024
	v_cmpx_gt_u32_e32 11, v0
	s_cbranch_execz .LBB880_14
; %bb.13:
	s_mul_i32 s5, s9, s34
	s_load_b128 s[16:19], s[0:1], 0x58
	v_add3_u32 v68, s5, s33, v68
	s_delay_alu instid0(VALU_DEP_1) | instskip(NEXT) | instid1(VALU_DEP_1)
	v_mad_u64_u32 v[78:79], null, v68, s36, s[14:15]
	v_ashrrev_i32_e32 v79, 31, v78
	s_delay_alu instid0(VALU_DEP_1) | instskip(SKIP_1) | instid1(VALU_DEP_1)
	v_lshlrev_b64 v[78:79], 2, v[78:79]
	s_waitcnt lgkmcnt(0)
	v_add_co_u32 v80, vcc_lo, s18, v78
	s_delay_alu instid0(VALU_DEP_2)
	v_add_co_ci_u32_e32 v81, vcc_lo, s19, v79, vcc_lo
	v_add_co_u32 v78, vcc_lo, s16, v78
	v_add_co_ci_u32_e32 v79, vcc_lo, s17, v79, vcc_lo
	global_store_b32 v[80:81], v76, off
	global_store_b32 v[78:79], v77, off
.LBB880_14:
	s_or_b32 exec_lo, exec_lo, s4
	s_waitcnt lgkmcnt(0)
	s_waitcnt_vscnt null, 0x0
	s_barrier
	buffer_gl0_inv
	ds_load_b128 v[84:87], v73
	ds_load_b128 v[88:91], v73 offset:16
	ds_load_b128 v[96:99], v73 offset:2064
	;; [unrolled: 1-line block ×5, first 2 shown]
	v_cmp_eq_u32_e32 vcc_lo, 1, v70
	v_mov_b32_e32 v76, 0
	ds_load_b128 v[112:115], v73 offset:6160
	ds_load_b128 v[108:111], v73 offset:6144
	;; [unrolled: 1-line block ×4, first 2 shown]
	v_cmp_eq_u32_e64 s5, 1, v69
	v_cmp_eq_u32_e64 s4, 1, v72
	;; [unrolled: 1-line block ×3, first 2 shown]
	v_mov_b32_e32 v77, v76
	v_mov_b32_e32 v78, v76
	;; [unrolled: 1-line block ×7, first 2 shown]
	v_cmp_eq_u32_e64 s7, 3, v72
	v_cmp_eq_u32_e64 s8, 7, v72
	s_waitcnt lgkmcnt(8)
	s_delay_alu instid0(VALU_DEP_3)
	v_wmma_f32_16x16x16_f16 v[76:83], v[49:56], v[84:91], v[76:83]
	ds_load_b128 v[53:56], v73 offset:10256
	ds_load_b128 v[49:52], v73 offset:10240
	s_waitcnt lgkmcnt(8)
	v_wmma_f32_16x16x16_f16 v[76:83], v[41:48], v[92:99], v[76:83]
	ds_load_b128 v[45:48], v73 offset:12304
	ds_load_b128 v[41:44], v73 offset:12288
	s_waitcnt lgkmcnt(8)
	;; [unrolled: 4-line block ×3, first 2 shown]
	s_barrier
	buffer_gl0_inv
	v_wmma_f32_16x16x16_f16 v[76:83], v[1:8], v[108:115], v[76:83]
	s_delay_alu instid0(VALU_DEP_1) | instskip(NEXT) | instid1(VALU_DEP_1)
	v_wmma_f32_16x16x16_f16 v[76:83], v[9:16], v[116:123], v[76:83]
	v_wmma_f32_16x16x16_f16 v[76:83], v[17:24], v[49:56], v[76:83]
	s_delay_alu instid0(VALU_DEP_1) | instskip(NEXT) | instid1(VALU_DEP_1)
	v_wmma_f32_16x16x16_f16 v[76:83], v[25:32], v[41:48], v[76:83]
	v_wmma_f32_16x16x16_f16 v[76:83], v[57:64], v[33:40], v[76:83]
	s_delay_alu instid0(VALU_DEP_1) | instskip(NEXT) | instid1(VALU_DEP_2)
	v_cvt_f16_f32_e32 v1, v76
	v_cvt_f16_f32_e32 v2, v77
	s_delay_alu instid0(VALU_DEP_3) | instskip(NEXT) | instid1(VALU_DEP_4)
	v_cvt_f16_f32_e32 v3, v78
	v_cvt_f16_f32_e32 v4, v79
	;; [unrolled: 1-line block ×6, first 2 shown]
	v_pack_b32_f16 v1, v1, v2
	v_pack_b32_f16 v2, v3, v4
	;; [unrolled: 1-line block ×3, first 2 shown]
	s_delay_alu instid0(VALU_DEP_4)
	v_pack_b32_f16 v4, v7, v8
	ds_store_b128 v74, v[1:4]
	s_waitcnt lgkmcnt(0)
	s_barrier
	buffer_gl0_inv
	ds_load_b128 v[1:4], v75
	ds_load_b128 v[5:8], v75 offset:16
	s_waitcnt lgkmcnt(1)
	v_lshrrev_b32_e32 v9, 16, v1
	s_waitcnt lgkmcnt(0)
	v_lshrrev_b32_e32 v13, 16, v5
	v_lshrrev_b32_e32 v10, 16, v2
	;; [unrolled: 1-line block ×4, first 2 shown]
	v_cndmask_b32_e32 v17, v1, v9, vcc_lo
	v_cndmask_b32_e32 v18, v5, v13, vcc_lo
	v_cndmask_b32_e64 v21, v1, v9, s5
	v_cmp_eq_u32_e32 vcc_lo, 1, v71
	v_cndmask_b32_e64 v22, v5, v13, s5
	v_cmp_eq_u32_e64 s5, 2, v70
	v_cndmask_b32_e64 v19, v1, v9, s4
	v_cndmask_b32_e64 v20, v5, v13, s4
	v_cndmask_b32_e32 v1, v1, v9, vcc_lo
	v_cmp_eq_u32_e64 s4, 2, v71
	v_cndmask_b32_e32 v5, v5, v13, vcc_lo
	v_cndmask_b32_e64 v9, v17, v2, s5
	v_cmp_eq_u32_e32 vcc_lo, 3, v70
	v_cndmask_b32_e64 v13, v18, v6, s5
	v_cmp_eq_u32_e64 s5, 2, v69
	v_cndmask_b32_e64 v17, v19, v2, s6
	v_cndmask_b32_e64 v18, v20, v6, s6
	v_cmp_eq_u32_e64 s6, 3, v69
	v_cndmask_b32_e64 v1, v1, v2, s4
	v_cndmask_b32_e64 v19, v21, v2, s5
	;; [unrolled: 1-line block ×4, first 2 shown]
	v_cndmask_b32_e32 v5, v9, v10, vcc_lo
	v_cndmask_b32_e32 v6, v13, v14, vcc_lo
	v_cmp_eq_u32_e32 vcc_lo, 3, v71
	v_cndmask_b32_e64 v9, v17, v10, s7
	v_cndmask_b32_e64 v13, v18, v14, s7
	;; [unrolled: 1-line block ×3, first 2 shown]
	v_cmp_eq_u32_e64 s5, 4, v70
	v_cndmask_b32_e32 v1, v1, v10, vcc_lo
	v_cndmask_b32_e32 v2, v2, v14, vcc_lo
	v_cmp_eq_u32_e32 vcc_lo, 4, v72
	v_lshrrev_b32_e32 v15, 16, v7
	v_lshrrev_b32_e32 v16, 16, v8
	v_cndmask_b32_e64 v17, v19, v10, s6
	v_cmp_eq_u32_e64 s4, 4, v71
	v_cndmask_b32_e64 v5, v5, v3, s5
	v_cndmask_b32_e64 v6, v6, v7, s5
	v_cndmask_b32_e32 v9, v9, v3, vcc_lo
	v_cmp_eq_u32_e64 s5, 5, v72
	v_cndmask_b32_e32 v10, v13, v7, vcc_lo
	v_cmp_eq_u32_e32 vcc_lo, 4, v69
	v_cmp_eq_u32_e64 s6, 5, v70
	v_cndmask_b32_e64 v2, v2, v7, s4
	v_cndmask_b32_e64 v9, v9, v11, s5
	;; [unrolled: 1-line block ×3, first 2 shown]
	v_cndmask_b32_e32 v13, v17, v3, vcc_lo
	v_cmp_eq_u32_e64 s5, 5, v69
	v_cndmask_b32_e32 v14, v18, v7, vcc_lo
	v_cndmask_b32_e64 v1, v1, v3, s4
	v_cmp_eq_u32_e32 vcc_lo, 5, v71
	v_lshrrev_b32_e32 v12, 16, v4
	v_cndmask_b32_e64 v13, v13, v11, s5
	v_cndmask_b32_e64 v3, v14, v15, s5
	v_cmp_eq_u32_e64 s5, 6, v71
	v_cndmask_b32_e32 v1, v1, v11, vcc_lo
	v_cndmask_b32_e64 v5, v5, v11, s6
	v_cmp_eq_u32_e64 s7, 6, v70
	v_cndmask_b32_e64 v6, v6, v15, s6
	v_cmp_eq_u32_e64 s6, 6, v72
	v_cmp_eq_u32_e64 s4, 6, v69
	v_cndmask_b32_e64 v1, v1, v4, s5
	v_cndmask_b32_e32 v2, v2, v15, vcc_lo
	v_cmp_eq_u32_e32 vcc_lo, 7, v71
	v_cndmask_b32_e64 v5, v5, v4, s7
	v_cndmask_b32_e64 v9, v9, v4, s6
	;; [unrolled: 1-line block ×3, first 2 shown]
	v_cmp_eq_u32_e64 s7, 7, v70
	v_cndmask_b32_e32 v1, v1, v12, vcc_lo
	v_cndmask_b32_e64 v7, v13, v4, s4
	v_cndmask_b32_e64 v3, v3, v8, s4
	;; [unrolled: 1-line block ×3, first 2 shown]
	v_cmp_eq_u32_e64 s4, 7, v69
	v_cndmask_b32_e64 v4, v10, v8, s6
	v_cndmask_b32_e64 v5, v5, v12, s7
	;; [unrolled: 1-line block ×3, first 2 shown]
	v_cndmask_b32_e32 v2, v2, v16, vcc_lo
	v_cndmask_b32_e64 v7, v7, v12, s4
	v_cndmask_b32_e64 v3, v3, v16, s4
	;; [unrolled: 1-line block ×4, first 2 shown]
	v_cmp_gt_u32_e32 vcc_lo, 32, v0
	v_perm_b32 v4, v2, v1, 0x5040100
	v_perm_b32 v3, v3, v7, 0x5040100
	;; [unrolled: 1-line block ×4, first 2 shown]
	s_and_b32 s2, vcc_lo, s2
	ds_store_b128 v74, v[1:4]
	s_waitcnt lgkmcnt(0)
	s_barrier
	buffer_gl0_inv
	s_and_saveexec_b32 s4, s2
	s_cbranch_execz .LBB880_2
; %bb.15:
	s_load_b64 s[4:5], s[0:1], 0x68
	v_lshlrev_b32_e32 v0, 10, v0
	v_lshlrev_b32_e32 v1, 4, v67
	s_lshl_b32 s0, s36, 6
	v_add_nc_u32_e32 v7, s33, v66
	s_mul_i32 s1, s0, s34
	s_delay_alu instid0(SALU_CYCLE_1) | instskip(SKIP_1) | instid1(VALU_DEP_2)
	s_mul_i32 s6, s1, s9
	v_and_or_b32 v0, 0x3800, v0, v1
	v_mul_lo_u32 v1, v7, s0
	v_add_nc_u32_e32 v2, 2, v7
	s_ashr_i32 s7, s6, 31
	v_add_nc_u32_e32 v4, 4, v7
	s_lshl_b64 s[6:7], s[6:7], 1
	v_add_nc_u32_e32 v8, 6, v7
	v_mul_lo_u32 v3, v2, s0
	v_lshl_or_b32 v19, v66, 6, v0
	v_ashrrev_i32_e32 v2, 31, v1
	v_mul_lo_u32 v11, v4, s0
	v_mul_lo_u32 v25, v8, s0
	s_waitcnt lgkmcnt(0)
	s_add_u32 s1, s4, s6
	s_addc_u32 s2, s5, s7
	s_lshl_b32 s4, s14, 6
	v_lshlrev_b64 v[5:6], 1, v[1:2]
	s_ashr_i32 s5, s4, 31
	v_ashrrev_i32_e32 v4, 31, v3
	s_lshl_b64 s[4:5], s[4:5], 1
	v_ashrrev_i32_e32 v12, 31, v11
	s_add_u32 s1, s1, s4
	s_addc_u32 s2, s2, s5
	v_add_co_u32 v1, s1, s1, v65
	s_delay_alu instid0(VALU_DEP_1) | instskip(SKIP_1) | instid1(VALU_DEP_3)
	v_add_co_ci_u32_e64 v2, null, s2, 0, s1
	v_lshlrev_b64 v[3:4], 1, v[3:4]
	v_add_co_u32 v23, vcc_lo, v1, v5
	v_add_nc_u32_e32 v5, 8, v7
	s_delay_alu instid0(VALU_DEP_4) | instskip(NEXT) | instid1(VALU_DEP_4)
	v_add_co_ci_u32_e32 v24, vcc_lo, v2, v6, vcc_lo
	v_add_co_u32 v27, vcc_lo, v1, v3
	s_delay_alu instid0(VALU_DEP_3)
	v_mul_lo_u32 v29, v5, s0
	v_add_co_ci_u32_e32 v28, vcc_lo, v2, v4, vcc_lo
	ds_load_b128 v[3:6], v19
	ds_load_b128 v[7:10], v19 offset:128
	v_lshlrev_b64 v[31:32], 1, v[11:12]
	ds_load_b128 v[11:14], v19 offset:256
	ds_load_b128 v[15:18], v19 offset:384
	;; [unrolled: 1-line block ×3, first 2 shown]
	v_ashrrev_i32_e32 v26, 31, v25
	v_ashrrev_i32_e32 v30, 31, v29
	v_add_co_u32 v31, vcc_lo, v1, v31
	s_delay_alu instid0(VALU_DEP_3) | instskip(NEXT) | instid1(VALU_DEP_3)
	v_lshlrev_b64 v[25:26], 1, v[25:26]
	v_lshlrev_b64 v[29:30], 1, v[29:30]
	v_add_co_ci_u32_e32 v32, vcc_lo, v2, v32, vcc_lo
	s_delay_alu instid0(VALU_DEP_3) | instskip(NEXT) | instid1(VALU_DEP_4)
	v_add_co_u32 v25, vcc_lo, v1, v25
	v_add_co_ci_u32_e32 v26, vcc_lo, v2, v26, vcc_lo
	s_delay_alu instid0(VALU_DEP_4)
	v_add_co_u32 v29, vcc_lo, v1, v29
	v_add_co_ci_u32_e32 v30, vcc_lo, v2, v30, vcc_lo
	s_waitcnt lgkmcnt(4)
	global_store_b128 v[23:24], v[3:6], off
	s_waitcnt lgkmcnt(3)
	global_store_b128 v[27:28], v[7:10], off
	;; [unrolled: 2-line block ×5, first 2 shown]
	s_and_b32 exec_lo, exec_lo, s3
	s_cbranch_execz .LBB880_2
; %bb.16:
	ds_load_b128 v[3:6], v0 offset:640
	s_add_i32 s1, s33, 10
	s_delay_alu instid0(SALU_CYCLE_1) | instskip(NEXT) | instid1(SALU_CYCLE_1)
	s_mul_i32 s0, s1, s0
	s_ashr_i32 s1, s0, 31
	s_delay_alu instid0(SALU_CYCLE_1) | instskip(NEXT) | instid1(SALU_CYCLE_1)
	s_lshl_b64 s[0:1], s[0:1], 1
	v_add_co_u32 v0, vcc_lo, v1, s0
	v_add_co_ci_u32_e32 v1, vcc_lo, s1, v2, vcc_lo
	s_waitcnt lgkmcnt(0)
	global_store_b128 v[0:1], v[3:6], off
	s_nop 0
	s_sendmsg sendmsg(MSG_DEALLOC_VGPRS)
	s_endpgm
	.section	.rodata,"a",@progbits
	.p2align	6, 0x0
	.amdhsa_kernel _Z39paged_attention_ll4mi_QKV_mfma16_kernelIDF16_hLN4vllm18Fp8KVCacheDataTypeE1EhLi32ELi64ELi256ELb0ELi11EL8MFMAType1EEvPKT_PKT0_S8_ifPKiSA_SA_iPKfiiiPfSD_PS3_PT2_iSC_SC_
		.amdhsa_group_segment_fixed_size 17472
		.amdhsa_private_segment_fixed_size 0
		.amdhsa_kernarg_size 400
		.amdhsa_user_sgpr_count 13
		.amdhsa_user_sgpr_dispatch_ptr 0
		.amdhsa_user_sgpr_queue_ptr 0
		.amdhsa_user_sgpr_kernarg_segment_ptr 1
		.amdhsa_user_sgpr_dispatch_id 0
		.amdhsa_user_sgpr_private_segment_size 0
		.amdhsa_wavefront_size32 1
		.amdhsa_uses_dynamic_stack 0
		.amdhsa_enable_private_segment 0
		.amdhsa_system_sgpr_workgroup_id_x 1
		.amdhsa_system_sgpr_workgroup_id_y 1
		.amdhsa_system_sgpr_workgroup_id_z 1
		.amdhsa_system_sgpr_workgroup_info 0
		.amdhsa_system_vgpr_workitem_id 0
		.amdhsa_next_free_vgpr 146
		.amdhsa_next_free_sgpr 37
		.amdhsa_reserve_vcc 1
		.amdhsa_float_round_mode_32 0
		.amdhsa_float_round_mode_16_64 0
		.amdhsa_float_denorm_mode_32 3
		.amdhsa_float_denorm_mode_16_64 3
		.amdhsa_dx10_clamp 1
		.amdhsa_ieee_mode 1
		.amdhsa_fp16_overflow 0
		.amdhsa_workgroup_processor_mode 1
		.amdhsa_memory_ordered 1
		.amdhsa_forward_progress 0
		.amdhsa_shared_vgpr_count 0
		.amdhsa_exception_fp_ieee_invalid_op 0
		.amdhsa_exception_fp_denorm_src 0
		.amdhsa_exception_fp_ieee_div_zero 0
		.amdhsa_exception_fp_ieee_overflow 0
		.amdhsa_exception_fp_ieee_underflow 0
		.amdhsa_exception_fp_ieee_inexact 0
		.amdhsa_exception_int_div_zero 0
	.end_amdhsa_kernel
	.section	.text._Z39paged_attention_ll4mi_QKV_mfma16_kernelIDF16_hLN4vllm18Fp8KVCacheDataTypeE1EhLi32ELi64ELi256ELb0ELi11EL8MFMAType1EEvPKT_PKT0_S8_ifPKiSA_SA_iPKfiiiPfSD_PS3_PT2_iSC_SC_,"axG",@progbits,_Z39paged_attention_ll4mi_QKV_mfma16_kernelIDF16_hLN4vllm18Fp8KVCacheDataTypeE1EhLi32ELi64ELi256ELb0ELi11EL8MFMAType1EEvPKT_PKT0_S8_ifPKiSA_SA_iPKfiiiPfSD_PS3_PT2_iSC_SC_,comdat
.Lfunc_end880:
	.size	_Z39paged_attention_ll4mi_QKV_mfma16_kernelIDF16_hLN4vllm18Fp8KVCacheDataTypeE1EhLi32ELi64ELi256ELb0ELi11EL8MFMAType1EEvPKT_PKT0_S8_ifPKiSA_SA_iPKfiiiPfSD_PS3_PT2_iSC_SC_, .Lfunc_end880-_Z39paged_attention_ll4mi_QKV_mfma16_kernelIDF16_hLN4vllm18Fp8KVCacheDataTypeE1EhLi32ELi64ELi256ELb0ELi11EL8MFMAType1EEvPKT_PKT0_S8_ifPKiSA_SA_iPKfiiiPfSD_PS3_PT2_iSC_SC_
                                        ; -- End function
	.section	.AMDGPU.csdata,"",@progbits
; Kernel info:
; codeLenInByte = 6648
; NumSgprs: 39
; NumVgprs: 146
; ScratchSize: 0
; MemoryBound: 0
; FloatMode: 240
; IeeeMode: 1
; LDSByteSize: 17472 bytes/workgroup (compile time only)
; SGPRBlocks: 4
; VGPRBlocks: 18
; NumSGPRsForWavesPerEU: 39
; NumVGPRsForWavesPerEU: 146
; Occupancy: 9
; WaveLimiterHint : 1
; COMPUTE_PGM_RSRC2:SCRATCH_EN: 0
; COMPUTE_PGM_RSRC2:USER_SGPR: 13
; COMPUTE_PGM_RSRC2:TRAP_HANDLER: 0
; COMPUTE_PGM_RSRC2:TGID_X_EN: 1
; COMPUTE_PGM_RSRC2:TGID_Y_EN: 1
; COMPUTE_PGM_RSRC2:TGID_Z_EN: 1
; COMPUTE_PGM_RSRC2:TIDIG_COMP_CNT: 0
	.section	.text._Z39paged_attention_ll4mi_QKV_mfma16_kernelIDF16_hLN4vllm18Fp8KVCacheDataTypeE1EhLi32ELi64ELi256ELb0ELi12EL8MFMAType1EEvPKT_PKT0_S8_ifPKiSA_SA_iPKfiiiPfSD_PS3_PT2_iSC_SC_,"axG",@progbits,_Z39paged_attention_ll4mi_QKV_mfma16_kernelIDF16_hLN4vllm18Fp8KVCacheDataTypeE1EhLi32ELi64ELi256ELb0ELi12EL8MFMAType1EEvPKT_PKT0_S8_ifPKiSA_SA_iPKfiiiPfSD_PS3_PT2_iSC_SC_,comdat
	.protected	_Z39paged_attention_ll4mi_QKV_mfma16_kernelIDF16_hLN4vllm18Fp8KVCacheDataTypeE1EhLi32ELi64ELi256ELb0ELi12EL8MFMAType1EEvPKT_PKT0_S8_ifPKiSA_SA_iPKfiiiPfSD_PS3_PT2_iSC_SC_ ; -- Begin function _Z39paged_attention_ll4mi_QKV_mfma16_kernelIDF16_hLN4vllm18Fp8KVCacheDataTypeE1EhLi32ELi64ELi256ELb0ELi12EL8MFMAType1EEvPKT_PKT0_S8_ifPKiSA_SA_iPKfiiiPfSD_PS3_PT2_iSC_SC_
	.globl	_Z39paged_attention_ll4mi_QKV_mfma16_kernelIDF16_hLN4vllm18Fp8KVCacheDataTypeE1EhLi32ELi64ELi256ELb0ELi12EL8MFMAType1EEvPKT_PKT0_S8_ifPKiSA_SA_iPKfiiiPfSD_PS3_PT2_iSC_SC_
	.p2align	8
	.type	_Z39paged_attention_ll4mi_QKV_mfma16_kernelIDF16_hLN4vllm18Fp8KVCacheDataTypeE1EhLi32ELi64ELi256ELb0ELi12EL8MFMAType1EEvPKT_PKT0_S8_ifPKiSA_SA_iPKfiiiPfSD_PS3_PT2_iSC_SC_,@function
_Z39paged_attention_ll4mi_QKV_mfma16_kernelIDF16_hLN4vllm18Fp8KVCacheDataTypeE1EhLi32ELi64ELi256ELb0ELi12EL8MFMAType1EEvPKT_PKT0_S8_ifPKiSA_SA_iPKfiiiPfSD_PS3_PT2_iSC_SC_: ; @_Z39paged_attention_ll4mi_QKV_mfma16_kernelIDF16_hLN4vllm18Fp8KVCacheDataTypeE1EhLi32ELi64ELi256ELb0ELi12EL8MFMAType1EEvPKT_PKT0_S8_ifPKiSA_SA_iPKfiiiPfSD_PS3_PT2_iSC_SC_
; %bb.0:
	s_load_b64 s[2:3], s[0:1], 0x30
	s_mov_b32 s34, s13
	s_waitcnt lgkmcnt(0)
	s_cmp_lg_u64 s[2:3], 0
	s_cselect_b32 s6, -1, 0
	s_ashr_i32 s35, s13, 31
	s_cmp_eq_u64 s[2:3], 0
	s_cbranch_scc1 .LBB881_3
; %bb.1:
	s_lshl_b64 s[4:5], s[34:35], 2
	s_delay_alu instid0(SALU_CYCLE_1) | instskip(SKIP_4) | instid1(SALU_CYCLE_1)
	s_add_u32 s4, s2, s4
	s_addc_u32 s5, s3, s5
	s_load_b64 s[4:5], s[4:5], 0x0
	s_waitcnt lgkmcnt(0)
	s_sub_i32 s4, s5, s4
	s_cmp_eq_u32 s4, 1
	s_cselect_b32 s4, -1, 0
	s_delay_alu instid0(SALU_CYCLE_1)
	s_and_not1_b32 vcc_lo, exec_lo, s4
	s_cbranch_vccz .LBB881_4
.LBB881_2:
	s_endpgm
.LBB881_3:
.LBB881_4:
	s_load_b64 s[8:9], s[0:1], 0x28
	s_lshl_b64 s[4:5], s[34:35], 2
	s_waitcnt lgkmcnt(0)
	s_add_u32 s8, s8, s4
	s_addc_u32 s9, s9, s5
	s_lshl_b32 s16, s14, 8
	s_load_b32 s18, s[8:9], 0x0
	s_waitcnt lgkmcnt(0)
	s_cmp_ge_i32 s16, s18
	s_cbranch_scc1 .LBB881_2
; %bb.5:
	s_clause 0x1
	s_load_b128 s[8:11], s[0:1], 0x8
	s_load_b64 s[12:13], s[0:1], 0x20
	s_and_not1_b32 vcc_lo, exec_lo, s6
	s_cbranch_vccnz .LBB881_7
; %bb.6:
	s_add_u32 s2, s2, s4
	s_addc_u32 s3, s3, s5
	s_load_b32 s3, s[2:3], 0x0
	s_branch .LBB881_8
.LBB881_7:
	s_mov_b32 s3, s34
.LBB881_8:
	s_load_b128 s[4:7], s[0:1], 0x48
	v_and_b32_e32 v68, 15, v0
	v_cmp_gt_u32_e32 vcc_lo, 0xc0, v0
	v_lshrrev_b32_e32 v69, 5, v0
	v_and_b32_e32 v70, 31, v0
	v_and_b32_e32 v67, 1, v0
	v_lshlrev_b32_e32 v1, 3, v68
	v_cmp_gt_u32_e64 s2, 8, v68
	v_bfe_u32 v66, v0, 4, 1
	s_mul_i32 s31, s15, 12
	s_delay_alu instid0(VALU_DEP_3) | instskip(NEXT) | instid1(VALU_DEP_3)
	v_lshlrev_b32_e32 v65, 1, v1
	s_and_b32 s17, vcc_lo, s2
	s_waitcnt lgkmcnt(0)
	s_and_saveexec_b32 s7, s17
	s_cbranch_execz .LBB881_10
; %bb.9:
	s_load_b64 s[20:21], s[0:1], 0x0
	v_lshl_or_b32 v5, v69, 1, v66
	s_mul_hi_i32 s23, s3, s4
	s_mul_i32 s22, s3, s4
	v_lshlrev_b32_e32 v6, 10, v68
	s_lshl_b64 s[22:23], s[22:23], 1
	v_add_lshl_u32 v1, v5, s31, 6
	v_lshlrev_b32_e32 v5, 6, v5
	v_lshlrev_b32_e32 v7, 10, v67
	v_and_b32_e32 v6, 0x3800, v6
	s_delay_alu instid0(VALU_DEP_4) | instskip(NEXT) | instid1(VALU_DEP_2)
	v_ashrrev_i32_e32 v2, 31, v1
	v_or3_b32 v5, v6, v7, v5
	s_delay_alu instid0(VALU_DEP_2) | instskip(SKIP_3) | instid1(VALU_DEP_1)
	v_lshlrev_b64 v[1:2], 1, v[1:2]
	s_waitcnt lgkmcnt(0)
	s_add_u32 s3, s20, s22
	s_addc_u32 s4, s21, s23
	v_add_co_u32 v1, vcc_lo, s3, v1
	s_delay_alu instid0(VALU_DEP_2) | instskip(NEXT) | instid1(VALU_DEP_2)
	v_add_co_ci_u32_e32 v2, vcc_lo, s4, v2, vcc_lo
	v_add_co_u32 v1, vcc_lo, v1, v65
	s_delay_alu instid0(VALU_DEP_2)
	v_add_co_ci_u32_e32 v2, vcc_lo, 0, v2, vcc_lo
	global_load_b128 v[1:4], v[1:2], off
	s_waitcnt vmcnt(0)
	ds_store_b128 v5, v[1:4]
.LBB881_10:
	s_or_b32 exec_lo, exec_lo, s7
	v_and_b32_e32 v1, 0xef, v0
	s_add_i32 s3, s18, 31
	s_clause 0x1
	s_load_b32 s4, s[0:1], 0x38
	s_load_b32 s33, s[0:1], 0x98
	s_ashr_i32 s7, s3, 31
	v_add_nc_u32_e32 v1, s16, v1
	s_lshr_b32 s7, s7, 27
	s_load_b32 s19, s[0:1], 0x1c
	v_add_nc_u32_e32 v103, -12, v68
	s_add_i32 s3, s3, s7
	v_ashrrev_i32_e32 v2, 31, v1
	v_or_b32_e32 v3, 16, v1
	s_ashr_i32 s3, s3, 5
	v_cmp_gt_i32_e32 vcc_lo, s18, v1
	s_add_i32 s3, s3, -1
	v_lshrrev_b32_e32 v2, 27, v2
	s_waitcnt lgkmcnt(0)
	s_barrier
	buffer_gl0_inv
	s_mul_i32 s15, s15, s6
	v_add_nc_u32_e32 v4, v1, v2
	v_mbcnt_lo_u32_b32 v127, -1, 0
	s_mul_i32 s20, s34, s4
	s_delay_alu instid0(SALU_CYCLE_1) | instskip(NEXT) | instid1(VALU_DEP_2)
	s_ashr_i32 s21, s20, 31
	v_ashrrev_i32_e32 v4, 5, v4
	v_add_nc_u32_e32 v2, v3, v2
	s_lshl_b64 s[20:21], s[20:21], 2
	v_xor_b32_e32 v128, 16, v127
	s_add_u32 s17, s12, s20
	v_cndmask_b32_e32 v1, s3, v4, vcc_lo
	v_ashrrev_i32_e32 v2, 5, v2
	v_cmp_gt_i32_e32 vcc_lo, s18, v3
	s_addc_u32 s13, s13, s21
	s_ashr_i32 s20, s15, 31
	s_add_u32 s22, s8, s15
	s_addc_u32 s23, s9, s20
	v_cndmask_b32_e32 v3, s3, v2, vcc_lo
	v_ashrrev_i32_e32 v2, 31, v1
	s_lshl_b32 s6, s14, 3
	s_delay_alu instid0(SALU_CYCLE_1) | instskip(NEXT) | instid1(VALU_DEP_2)
	s_ashr_i32 s7, s6, 31
	v_ashrrev_i32_e32 v4, 31, v3
	s_delay_alu instid0(VALU_DEP_2) | instskip(SKIP_1) | instid1(SALU_CYCLE_1)
	v_lshlrev_b64 v[1:2], 2, v[1:2]
	s_lshl_b64 s[6:7], s[6:7], 2
	s_add_u32 s6, s17, s6
	s_delay_alu instid0(VALU_DEP_2) | instskip(SKIP_1) | instid1(VALU_DEP_2)
	v_lshlrev_b64 v[3:4], 2, v[3:4]
	s_addc_u32 s7, s13, s7
	v_add_co_u32 v1, vcc_lo, s17, v1
	v_add_co_ci_u32_e32 v2, vcc_lo, s13, v2, vcc_lo
	s_delay_alu instid0(VALU_DEP_3) | instskip(NEXT) | instid1(VALU_DEP_4)
	v_add_co_u32 v3, vcc_lo, s17, v3
	v_add_co_ci_u32_e32 v4, vcc_lo, s13, v4, vcc_lo
	s_clause 0x1
	global_load_b32 v5, v[1:2], off
	global_load_b32 v6, v[3:4], off
	s_or_b32 s4, s16, 32
	s_delay_alu instid0(SALU_CYCLE_1) | instskip(SKIP_2) | instid1(SALU_CYCLE_1)
	s_ashr_i32 s8, s4, 5
	s_cmp_lt_i32 s4, s18
	s_cselect_b32 s8, s8, s3
	s_ashr_i32 s9, s8, 31
	s_delay_alu instid0(SALU_CYCLE_1) | instskip(NEXT) | instid1(SALU_CYCLE_1)
	s_lshl_b64 s[8:9], s[8:9], 2
	s_add_u32 s8, s17, s8
	s_addc_u32 s9, s13, s9
	s_or_b32 s4, s16, 64
	s_delay_alu instid0(SALU_CYCLE_1) | instskip(SKIP_2) | instid1(SALU_CYCLE_1)
	s_ashr_i32 s12, s4, 5
	s_cmp_lt_i32 s4, s18
	s_cselect_b32 s24, s12, s3
	s_ashr_i32 s25, s24, 31
	s_delay_alu instid0(SALU_CYCLE_1) | instskip(NEXT) | instid1(SALU_CYCLE_1)
	s_lshl_b64 s[24:25], s[24:25], 2
	s_add_u32 s24, s17, s24
	s_addc_u32 s25, s13, s25
	;; [unrolled: 10-line block ×5, first 2 shown]
	s_clause 0x5
	s_load_b32 s12, s[6:7], 0x0
	s_load_b32 s4, s[8:9], 0x0
	;; [unrolled: 1-line block ×6, first 2 shown]
	s_or_b32 s21, s16, 0xc0
	s_waitcnt vmcnt(1)
	v_mad_i64_i32 v[1:2], null, v5, s5, s[22:23]
	v_lshlrev_b32_e32 v5, 4, v68
	s_waitcnt vmcnt(0)
	v_mad_i64_i32 v[3:4], null, v6, s5, s[22:23]
	s_ashr_i32 s22, s21, 5
	s_cmp_lt_i32 s21, s18
	s_delay_alu instid0(VALU_DEP_3) | instskip(NEXT) | instid1(VALU_DEP_4)
	v_add_co_u32 v1, vcc_lo, v1, v5
	v_add_co_ci_u32_e32 v2, vcc_lo, 0, v2, vcc_lo
	s_delay_alu instid0(VALU_DEP_3) | instskip(NEXT) | instid1(VALU_DEP_4)
	v_add_co_u32 v3, vcc_lo, v3, v5
	v_add_co_ci_u32_e32 v4, vcc_lo, 0, v4, vcc_lo
	s_clause 0x7
	global_load_b128 v[71:74], v[1:2], off
	global_load_b128 v[75:78], v[1:2], off offset:512
	global_load_b128 v[79:82], v[3:4], off offset:256
	global_load_b128 v[83:86], v[3:4], off offset:768
	global_load_b128 v[87:90], v[1:2], off offset:1024
	global_load_b128 v[91:94], v[1:2], off offset:1536
	global_load_b128 v[95:98], v[3:4], off offset:1280
	global_load_b128 v[99:102], v[3:4], off offset:1792
	s_cselect_b32 s22, s22, s3
	v_lshlrev_b32_e32 v1, 5, v68
	s_ashr_i32 s23, s22, 31
	v_cmp_gt_u32_e32 vcc_lo, 12, v68
	s_lshl_b64 s[22:23], s[22:23], 2
	s_delay_alu instid0(SALU_CYCLE_1)
	s_add_u32 s22, s17, s22
	s_addc_u32 s23, s13, s23
	s_or_b32 s21, s16, 0xe0
	v_lshl_or_b32 v1, v69, 9, v1
	s_ashr_i32 s24, s21, 5
	s_cmp_lt_i32 s21, s18
	v_cndmask_b32_e32 v103, v103, v68, vcc_lo
	s_cselect_b32 s24, s24, s3
	s_load_b32 s3, s[22:23], 0x0
	s_ashr_i32 s25, s24, 31
	v_cmp_gt_i32_e32 vcc_lo, 32, v128
	s_lshl_b64 s[24:25], s[24:25], 2
	v_lshlrev_b32_e32 v115, 6, v103
	s_add_u32 s22, s17, s24
	s_addc_u32 s23, s13, s25
	v_cndmask_b32_e32 v136, v127, v128, vcc_lo
	s_add_u32 s10, s10, s15
	s_addc_u32 s11, s11, s20
	v_add_co_u32 v1, s10, s10, v1
	s_delay_alu instid0(VALU_DEP_1) | instskip(SKIP_2) | instid1(VALU_DEP_1)
	v_add_co_ci_u32_e64 v2, null, s11, 0, s10
	s_load_b32 s10, s[22:23], 0x0
	s_waitcnt lgkmcnt(0)
	v_mad_i64_i32 v[3:4], null, s12, s5, v[1:2]
	v_mad_i64_i32 v[9:10], null, s7, s5, v[1:2]
	;; [unrolled: 1-line block ×7, first 2 shown]
	s_clause 0x5
	global_load_b128 v[49:52], v[3:4], off
	global_load_b128 v[53:56], v[3:4], off offset:16
	global_load_b128 v[41:44], v[5:6], off
	global_load_b128 v[45:48], v[5:6], off offset:16
	;; [unrolled: 2-line block ×3, first 2 shown]
	s_mov_b32 s4, 0
	v_mad_i64_i32 v[61:62], null, s10, s5, v[1:2]
	s_clause 0x9
	global_load_b128 v[1:4], v[9:10], off
	global_load_b128 v[5:8], v[9:10], off offset:16
	global_load_b128 v[9:12], v[13:14], off
	global_load_b128 v[13:16], v[13:14], off offset:16
	;; [unrolled: 2-line block ×5, first 2 shown]
	s_mov_b32 s5, s4
	s_mov_b32 s6, s4
	;; [unrolled: 1-line block ×7, first 2 shown]
	v_and_b32_e32 v104, 0xe0, v0
	v_dual_mov_b32 v126, s11 :: v_dual_mov_b32 v125, s10
	v_dual_mov_b32 v124, s9 :: v_dual_mov_b32 v123, s8
	s_delay_alu instid0(VALU_DEP_3)
	v_add_nc_u32_e32 v111, s16, v104
	ds_load_b128 v[103:106], v115
	ds_load_b128 v[107:110], v115 offset:1024
	v_dual_mov_b32 v122, s7 :: v_dual_mov_b32 v121, s6
	v_mov_b32_e32 v120, s5
	v_or_b32_e32 v135, v111, v66
	ds_load_b128 v[111:114], v115 offset:2048
	ds_load_b128 v[115:118], v115 offset:3072
	v_mov_b32_e32 v119, s4
	s_waitcnt vmcnt(0) lgkmcnt(0)
	s_barrier
	v_or_b32_e32 v137, 2, v135
	v_or_b32_e32 v138, 4, v135
	;; [unrolled: 1-line block ×3, first 2 shown]
	v_cmp_gt_i32_e32 vcc_lo, s18, v135
	v_or_b32_e32 v140, 8, v135
	v_cmp_gt_i32_e64 s3, s18, v137
	v_or_b32_e32 v141, 10, v135
	v_cmp_gt_i32_e64 s4, s18, v138
	v_cmp_gt_i32_e64 s5, s18, v139
	v_or_b32_e32 v142, 12, v135
	v_or_b32_e32 v143, 14, v135
	v_cmp_gt_i32_e64 s6, s18, v140
	v_cmp_gt_i32_e64 s7, s18, v141
	v_or_b32_e32 v144, 16, v135
	v_or_b32_e32 v145, 18, v135
	v_cmp_gt_i32_e64 s8, s18, v142
	v_cmp_gt_i32_e64 s9, s18, v143
	buffer_gl0_inv
	v_cmp_gt_i32_e64 s10, s18, v144
	v_cmp_gt_i32_e64 s11, s18, v145
	v_wmma_f32_16x16x16_f16 v[127:134], v[71:78], v[103:110], v[119:126]
	v_wmma_f32_16x16x16_f16 v[119:126], v[79:86], v[103:110], v[119:126]
	v_or_b32_e32 v71, 20, v135
	v_or_b32_e32 v72, 22, v135
	s_delay_alu instid0(VALU_DEP_4)
	v_wmma_f32_16x16x16_f16 v[127:134], v[87:94], v[111:118], v[127:134]
	v_or_b32_e32 v73, 24, v135
	v_wmma_f32_16x16x16_f16 v[119:126], v[95:102], v[111:118], v[119:126]
	v_or_b32_e32 v74, 26, v135
	v_cmp_gt_i32_e64 s12, s18, v71
	v_dual_mul_f32 v83, s19, v128 :: v_dual_mul_f32 v84, s19, v127
	s_delay_alu instid0(VALU_DEP_4) | instskip(SKIP_1) | instid1(VALU_DEP_3)
	v_dual_mul_f32 v81, s19, v130 :: v_dual_mul_f32 v92, s19, v119
	v_mul_f32_e32 v82, s19, v129
	v_cndmask_b32_e64 v83, 0xff7fffff, v83, s3
	s_delay_alu instid0(VALU_DEP_4)
	v_cndmask_b32_e32 v84, 0xff7fffff, v84, vcc_lo
	v_dual_mul_f32 v79, s19, v132 :: v_dual_mul_f32 v90, s19, v121
	v_mul_f32_e32 v80, s19, v131
	v_cndmask_b32_e64 v82, 0xff7fffff, v82, s4
	v_cndmask_b32_e64 v81, 0xff7fffff, v81, s5
	v_max3_f32 v83, v84, 0xff7fffff, v83
	v_dual_mul_f32 v77, s19, v134 :: v_dual_mul_f32 v88, s19, v123
	v_mul_f32_e32 v78, s19, v133
	v_cndmask_b32_e64 v80, 0xff7fffff, v80, s6
	v_cndmask_b32_e64 v79, 0xff7fffff, v79, s7
	v_max3_f32 v81, v83, v82, v81
	v_mul_f32_e32 v91, s19, v120
	v_cndmask_b32_e64 v78, 0xff7fffff, v78, s8
	v_cndmask_b32_e64 v77, 0xff7fffff, v77, s9
	v_mul_f32_e32 v89, s19, v122
	v_max3_f32 v79, v81, v80, v79
	v_cndmask_b32_e64 v80, 0xff7fffff, v92, s10
	v_cndmask_b32_e64 v81, 0xff7fffff, v91, s11
	v_cmp_gt_i32_e64 s13, s18, v72
	v_or_b32_e32 v75, 28, v135
	v_max3_f32 v77, v79, v78, v77
	v_or_b32_e32 v76, 30, v135
	v_mul_f32_e32 v87, s19, v124
	v_cndmask_b32_e64 v71, 0xff7fffff, v90, s12
	v_cndmask_b32_e64 v72, 0xff7fffff, v89, s13
	v_max3_f32 v77, v77, v80, v81
	v_cmp_gt_i32_e64 s15, s18, v73
	v_cmp_gt_i32_e64 s16, s18, v74
	v_dual_mul_f32 v85, s19, v126 :: v_dual_mul_f32 v86, s19, v125
	s_delay_alu instid0(VALU_DEP_4) | instskip(NEXT) | instid1(VALU_DEP_4)
	v_max3_f32 v71, v77, v71, v72
	v_cndmask_b32_e64 v73, 0xff7fffff, v88, s15
	s_delay_alu instid0(VALU_DEP_4) | instskip(SKIP_2) | instid1(VALU_DEP_3)
	v_cndmask_b32_e64 v74, 0xff7fffff, v87, s16
	v_cmp_gt_i32_e64 s17, s18, v75
	v_cmp_gt_i32_e64 s18, s18, v76
	v_max3_f32 v71, v71, v73, v74
	s_delay_alu instid0(VALU_DEP_3) | instskip(NEXT) | instid1(VALU_DEP_3)
	v_cndmask_b32_e64 v72, 0xff7fffff, v86, s17
	v_cndmask_b32_e64 v75, 0xff7fffff, v85, s18
	v_lshlrev_b32_e32 v73, 2, v136
	s_delay_alu instid0(VALU_DEP_2) | instskip(SKIP_3) | instid1(VALU_DEP_1)
	v_max3_f32 v71, v71, v72, v75
	ds_bpermute_b32 v72, v73, v71
	s_waitcnt lgkmcnt(0)
	v_max_f32_e32 v72, v72, v72
	v_max_f32_e32 v71, v71, v72
	s_delay_alu instid0(VALU_DEP_1)
	v_fma_f32 v72, s19, v127, -v71
	v_fma_f32 v74, s19, v128, -v71
	;; [unrolled: 1-line block ×5, first 2 shown]
	v_mul_f32_e32 v72, 0x3fb8aa3b, v72
	v_mul_f32_e32 v74, 0x3fb8aa3b, v74
	v_fma_f32 v80, s19, v133, -v71
	s_delay_alu instid0(VALU_DEP_4) | instskip(NEXT) | instid1(VALU_DEP_4)
	v_dual_mul_f32 v76, 0x3fb8aa3b, v76 :: v_dual_mul_f32 v77, 0x3fb8aa3b, v77
	v_exp_f32_e32 v72, v72
	s_delay_alu instid0(VALU_DEP_3) | instskip(NEXT) | instid1(VALU_DEP_2)
	v_exp_f32_e32 v74, v74
	v_mul_f32_e32 v82, 0x3fb8aa3b, v80
	s_delay_alu instid0(VALU_DEP_2) | instskip(SKIP_1) | instid1(VALU_DEP_1)
	v_exp_f32_e32 v76, v76
	v_exp_f32_e32 v77, v77
	;; [unrolled: 1-line block ×3, first 2 shown]
	v_cndmask_b32_e32 v79, 0, v72, vcc_lo
	v_fma_f32 v72, s19, v132, -v71
	v_mul_f32_e32 v75, 0x3fb8aa3b, v75
	v_cndmask_b32_e64 v78, 0, v74, s3
	s_delay_alu instid0(TRANS32_DEP_3)
	v_cndmask_b32_e64 v80, 0, v76, s5
	v_add_f32_e32 v74, 0, v79
	v_mul_f32_e32 v72, 0x3fb8aa3b, v72
	v_exp_f32_e32 v75, v75
	v_cndmask_b32_e64 v83, 0, v77, s6
	v_cndmask_b32_e64 v85, 0, v84, s8
	v_add_f32_e32 v74, v74, v78
	v_exp_f32_e32 v72, v72
	s_mov_b32 s3, exec_lo
	s_waitcnt_depctr 0xfff
	v_cndmask_b32_e64 v81, 0, v75, s4
	v_cndmask_b32_e64 v82, 0, v72, s7
	s_delay_alu instid0(VALU_DEP_2) | instskip(NEXT) | instid1(VALU_DEP_1)
	v_add_f32_e32 v74, v74, v81
	v_add_f32_e32 v74, v74, v80
	s_delay_alu instid0(VALU_DEP_1) | instskip(SKIP_4) | instid1(VALU_DEP_4)
	v_add_f32_e32 v72, v74, v83
	v_fma_f32 v75, s19, v134, -v71
	v_fma_f32 v76, s19, v119, -v71
	;; [unrolled: 1-line block ×4, first 2 shown]
	v_dual_add_f32 v72, v72, v82 :: v_dual_mul_f32 v75, 0x3fb8aa3b, v75
	s_delay_alu instid0(VALU_DEP_3) | instskip(SKIP_1) | instid1(VALU_DEP_3)
	v_dual_mul_f32 v76, 0x3fb8aa3b, v76 :: v_dual_mul_f32 v77, 0x3fb8aa3b, v77
	v_fma_f32 v86, s19, v122, -v71
	v_add_f32_e32 v72, v72, v85
	s_delay_alu instid0(VALU_DEP_4) | instskip(NEXT) | instid1(VALU_DEP_3)
	v_exp_f32_e32 v75, v75
	v_exp_f32_e32 v76, v76
	;; [unrolled: 1-line block ×3, first 2 shown]
	v_mul_f32_e32 v86, 0x3fb8aa3b, v86
	s_delay_alu instid0(VALU_DEP_1) | instskip(SKIP_3) | instid1(TRANS32_DEP_3)
	v_exp_f32_e32 v88, v86
	v_cndmask_b32_e64 v84, 0, v75, s9
	v_fma_f32 v75, s19, v123, -v71
	v_mul_f32_e32 v74, 0x3fb8aa3b, v74
	v_cndmask_b32_e64 v87, 0, v76, s10
	v_fma_f32 v76, s19, v124, -v71
	s_delay_alu instid0(VALU_DEP_4) | instskip(NEXT) | instid1(VALU_DEP_4)
	v_dual_add_f32 v72, v72, v84 :: v_dual_mul_f32 v75, 0x3fb8aa3b, v75
	v_exp_f32_e32 v74, v74
	v_cndmask_b32_e64 v86, 0, v77, s11
	v_fma_f32 v77, s19, v125, -v71
	s_delay_alu instid0(VALU_DEP_3) | instskip(SKIP_3) | instid1(VALU_DEP_3)
	v_add_f32_e32 v72, v72, v87
	v_mul_f32_e32 v76, 0x3fb8aa3b, v76
	v_exp_f32_e32 v75, v75
	v_cndmask_b32_e64 v88, 0, v88, s13
	v_add_f32_e32 v72, v72, v86
	s_delay_alu instid0(VALU_DEP_3) | instskip(NEXT) | instid1(TRANS32_DEP_3)
	v_exp_f32_e32 v76, v76
	v_cndmask_b32_e64 v89, 0, v74, s12
	v_mul_f32_e32 v74, 0x3fb8aa3b, v77
	v_fma_f32 v77, s19, v126, -v71
	s_delay_alu instid0(VALU_DEP_3) | instskip(NEXT) | instid1(VALU_DEP_3)
	v_add_f32_e32 v72, v72, v89
	v_exp_f32_e32 v74, v74
	s_delay_alu instid0(TRANS32_DEP_3) | instskip(NEXT) | instid1(VALU_DEP_3)
	v_cndmask_b32_e64 v91, 0, v75, s15
	v_mul_f32_e32 v75, 0x3fb8aa3b, v77
	s_delay_alu instid0(TRANS32_DEP_2) | instskip(SKIP_1) | instid1(VALU_DEP_3)
	v_cndmask_b32_e64 v90, 0, v76, s16
	v_add_f32_e32 v72, v72, v88
	v_exp_f32_e32 v75, v75
	s_delay_alu instid0(VALU_DEP_1) | instskip(NEXT) | instid1(TRANS32_DEP_2)
	v_add_f32_e32 v72, v72, v91
	v_cndmask_b32_e64 v93, 0, v74, s17
	s_delay_alu instid0(VALU_DEP_2) | instskip(SKIP_3) | instid1(VALU_DEP_1)
	v_add_f32_e32 v72, v72, v90
	s_waitcnt_depctr 0xfff
	v_cndmask_b32_e64 v92, 0, v75, s18
	v_add_f32_e32 v72, v72, v93
	v_add_f32_e32 v72, v72, v92
	ds_bpermute_b32 v73, v73, v72
	v_cmpx_gt_u32_e32 16, v70
	s_cbranch_execz .LBB881_12
; %bb.11:
	v_mul_u32_u24_e32 v70, 0x44, v69
	s_waitcnt lgkmcnt(0)
	v_add_f32_e32 v72, v72, v73
	s_delay_alu instid0(VALU_DEP_2) | instskip(NEXT) | instid1(VALU_DEP_1)
	v_lshl_add_u32 v70, v68, 2, v70
	v_add_nc_u32_e32 v70, 0x4000, v70
	ds_store_2addr_b32 v70, v71, v72 offset1:136
.LBB881_12:
	s_or_b32 exec_lo, exec_lo, s3
	v_lshlrev_b32_e32 v70, 2, v68
	s_load_b32 s35, s[0:1], 0x94
	s_waitcnt lgkmcnt(0)
	s_barrier
	buffer_gl0_inv
	v_add_nc_u32_e32 v98, 0x4000, v70
	v_cmp_eq_u32_e32 vcc_lo, 1, v69
	v_cmp_eq_u32_e64 s3, 2, v69
	v_cmp_eq_u32_e64 s4, 3, v69
	;; [unrolled: 1-line block ×3, first 2 shown]
	ds_load_2addr_b32 v[70:71], v98 offset1:17
	ds_load_2addr_b32 v[72:73], v98 offset0:34 offset1:51
	ds_load_2addr_b32 v[74:75], v98 offset0:68 offset1:85
	;; [unrolled: 1-line block ×3, first 2 shown]
	v_cmp_eq_u32_e64 s6, 5, v69
	v_cmp_eq_u32_e64 s7, 7, v69
	s_waitcnt lgkmcnt(3)
	v_max3_f32 v76, v70, 0xff7fffff, v71
	s_waitcnt lgkmcnt(2)
	s_delay_alu instid0(VALU_DEP_1) | instskip(SKIP_1) | instid1(VALU_DEP_1)
	v_max3_f32 v76, v76, v72, v73
	s_waitcnt lgkmcnt(1)
	v_max3_f32 v76, v76, v74, v75
	s_waitcnt lgkmcnt(0)
	s_delay_alu instid0(VALU_DEP_1) | instskip(NEXT) | instid1(VALU_DEP_1)
	v_max3_f32 v76, v76, v94, v95
	v_sub_f32_e32 v77, v71, v76
	ds_load_2addr_b32 v[96:97], v98 offset0:136 offset1:153
	v_sub_f32_e32 v74, v74, v76
	v_sub_f32_e32 v70, v70, v76
	;; [unrolled: 1-line block ×3, first 2 shown]
	v_dual_sub_f32 v72, v72, v76 :: v_dual_mul_f32 v77, 0x3fb8aa3b, v77
	s_delay_alu instid0(VALU_DEP_4) | instskip(NEXT) | instid1(VALU_DEP_4)
	v_mul_f32_e32 v103, 0x3fb8aa3b, v74
	v_mul_f32_e32 v99, 0x3fb8aa3b, v70
	ds_load_2addr_b32 v[70:71], v98 offset0:170 offset1:187
	v_dual_mul_f32 v101, 0x3fb8aa3b, v72 :: v_dual_mul_f32 v94, 0x3fb8aa3b, v94
	v_exp_f32_e32 v102, v77
	v_exp_f32_e32 v99, v99
	s_delay_alu instid0(VALU_DEP_1) | instskip(NEXT) | instid1(VALU_DEP_1)
	v_exp_f32_e32 v101, v101
	v_exp_f32_e32 v94, v94
	s_waitcnt lgkmcnt(1)
	s_delay_alu instid0(TRANS32_DEP_3)
	v_fma_f32 v77, v99, v96, 0
	v_sub_f32_e32 v100, v73, v76
	ds_load_2addr_b32 v[72:73], v98 offset0:204 offset1:221
	v_fmac_f32_e32 v77, v102, v97
	v_exp_f32_e32 v97, v103
	s_waitcnt lgkmcnt(1)
	s_delay_alu instid0(VALU_DEP_1)
	v_dual_fmac_f32 v77, v101, v70 :: v_dual_sub_f32 v96, v75, v76
	ds_load_2addr_b32 v[74:75], v98 offset0:238 offset1:255
	v_sub_f32_e32 v70, v95, v76
	s_waitcnt lgkmcnt(0)
	s_barrier
	v_mul_f32_e32 v96, 0x3fb8aa3b, v96
	buffer_gl0_inv
	v_exp_f32_e32 v95, v96
	v_mul_f32_e32 v100, 0x3fb8aa3b, v100
	s_delay_alu instid0(VALU_DEP_1) | instskip(SKIP_3) | instid1(VALU_DEP_2)
	v_exp_f32_e32 v100, v100
	s_waitcnt_depctr 0xfff
	v_dual_fmac_f32 v77, v100, v71 :: v_dual_mul_f32 v70, 0x3fb8aa3b, v70
	v_cndmask_b32_e32 v71, v99, v102, vcc_lo
	v_fmac_f32_e32 v77, v97, v72
	s_delay_alu instid0(VALU_DEP_3) | instskip(NEXT) | instid1(VALU_DEP_1)
	v_exp_f32_e32 v96, v70
	v_fmac_f32_e32 v77, v95, v73
	s_delay_alu instid0(VALU_DEP_1) | instskip(SKIP_2) | instid1(VALU_DEP_1)
	v_fmac_f32_e32 v77, v94, v74
	s_waitcnt_depctr 0xfff
	v_fmac_f32_e32 v77, v96, v75
	v_add_f32_e32 v74, 0x358637bd, v77
	s_delay_alu instid0(VALU_DEP_1) | instskip(SKIP_1) | instid1(VALU_DEP_2)
	v_div_scale_f32 v98, null, v74, v74, 1.0
	v_div_scale_f32 v99, vcc_lo, 1.0, v74, 1.0
	v_rcp_f32_e32 v103, v98
	s_waitcnt_depctr 0xfff
	v_fma_f32 v70, -v98, v103, 1.0
	s_delay_alu instid0(VALU_DEP_1) | instskip(SKIP_2) | instid1(VALU_DEP_2)
	v_fmac_f32_e32 v103, v70, v103
	v_cndmask_b32_e64 v70, v71, v101, s3
	v_cmp_eq_u32_e64 s3, 6, v69
	v_cndmask_b32_e64 v71, v70, v100, s4
	s_delay_alu instid0(VALU_DEP_4) | instskip(NEXT) | instid1(VALU_DEP_2)
	v_dual_mul_f32 v101, v99, v103 :: v_dual_lshlrev_b32 v70, 2, v66
	v_cndmask_b32_e64 v71, v71, v97, s5
	s_delay_alu instid0(VALU_DEP_2) | instskip(NEXT) | instid1(VALU_DEP_3)
	v_or_b32_e32 v72, 1, v70
	v_fma_f32 v100, -v98, v101, v99
	v_cmp_eq_u32_e64 s4, 1, v70
	v_cmp_eq_u32_e64 s5, 2, v70
	v_cndmask_b32_e64 v95, v71, v95, s6
	v_or_b32_e32 v71, 3, v70
	v_fmac_f32_e32 v101, v100, v103
	v_cmp_eq_u32_e64 s9, 1, v72
	v_cmp_eq_u32_e64 s12, 2, v72
	v_cndmask_b32_e64 v94, v95, v94, s3
	v_cmp_eq_u32_e64 s11, 1, v71
	v_fma_f32 v97, -v98, v101, v99
	v_cmp_eq_u32_e64 s16, 2, v71
	v_cmp_eq_u32_e64 s13, 3, v72
	v_cndmask_b32_e64 v94, v94, v96, s7
	v_cmp_eq_u32_e64 s18, 3, v71
	v_div_fmas_f32 v95, v97, v103, v101
	v_cmp_eq_u32_e32 vcc_lo, 3, v70
	v_cmp_eq_u32_e64 s3, 4, v70
	v_cmp_eq_u32_e64 s19, 4, v72
	;; [unrolled: 1-line block ×3, first 2 shown]
	v_div_fixup_f32 v95, v95, v74, 1.0
	v_lshlrev_b32_e32 v73, 6, v68
	v_cmp_eq_u32_e64 s6, 5, v70
	v_cmp_eq_u32_e64 s20, 5, v72
	;; [unrolled: 1-line block ×3, first 2 shown]
	v_mul_f32_e32 v102, v94, v95
	v_lshl_or_b32 v75, v69, 11, v73
	v_or_b32_e32 v69, 2, v70
	v_cmp_eq_u32_e64 s25, 6, v72
	v_cmp_eq_u32_e64 s27, 6, v71
	v_fma_mixlo_f16 v94, v102, v79, 0
	v_fma_mixlo_f16 v95, v102, v81, 0
	;; [unrolled: 1-line block ×8, first 2 shown]
	v_lshl_or_b32 v74, v66, 4, v75
	v_fma_mixhi_f16 v94, v102, v78, 0
	v_fma_mixhi_f16 v95, v102, v80, 0
	v_fma_mixhi_f16 v96, v102, v82, 0
	v_fma_mixhi_f16 v97, v102, v84, 0
	v_fma_mixhi_f16 v98, v102, v86, 0
	v_fma_mixhi_f16 v99, v102, v88, 0
	v_fma_mixhi_f16 v100, v102, v90, 0
	v_fma_mixhi_f16 v101, v102, v92, 0
	ds_store_b128 v74, v[94:97]
	ds_store_b128 v74, v[98:101] offset:1024
	s_waitcnt lgkmcnt(0)
	s_barrier
	buffer_gl0_inv
	ds_load_b128 v[78:81], v75
	ds_load_b128 v[82:85], v75 offset:16
	ds_load_b128 v[86:89], v75 offset:1024
	;; [unrolled: 1-line block ×3, first 2 shown]
	v_cmp_eq_u32_e64 s10, 1, v69
	v_cmp_eq_u32_e64 s15, 2, v69
	;; [unrolled: 1-line block ×11, first 2 shown]
	s_waitcnt lgkmcnt(3)
	v_lshrrev_b32_e32 v94, 16, v78
	s_waitcnt lgkmcnt(2)
	v_lshrrev_b32_e32 v98, 16, v82
	;; [unrolled: 2-line block ×4, first 2 shown]
	v_lshrrev_b32_e32 v95, 16, v79
	v_cndmask_b32_e64 v110, v78, v94, s4
	v_cndmask_b32_e64 v111, v82, v98, s4
	;; [unrolled: 1-line block ×8, first 2 shown]
	v_lshrrev_b32_e32 v99, 16, v83
	v_cndmask_b32_e64 v94, v86, v102, s4
	v_cndmask_b32_e64 v98, v90, v106, s4
	;; [unrolled: 1-line block ×15, first 2 shown]
	v_lshrrev_b32_e32 v103, 16, v87
	v_lshrrev_b32_e32 v107, 16, v91
	v_cndmask_b32_e64 v113, v115, v83, s15
	v_cndmask_b32_e64 v82, v94, v87, s5
	;; [unrolled: 1-line block ×7, first 2 shown]
	v_cndmask_b32_e32 v90, v102, v95, vcc_lo
	v_cndmask_b32_e32 v102, v106, v99, vcc_lo
	v_cndmask_b32_e64 v106, v110, v95, s13
	v_cndmask_b32_e64 v110, v111, v99, s13
	;; [unrolled: 1-line block ×4, first 2 shown]
	v_lshrrev_b32_e32 v96, 16, v80
	v_lshrrev_b32_e32 v100, 16, v84
	v_cndmask_b32_e64 v111, v112, v95, s17
	v_cndmask_b32_e64 v112, v113, v99, s17
	v_cndmask_b32_e32 v82, v82, v103, vcc_lo
	v_cndmask_b32_e32 v83, v83, v107, vcc_lo
	v_cndmask_b32_e64 v94, v94, v103, s13
	v_cndmask_b32_e64 v90, v90, v80, s3
	;; [unrolled: 1-line block ×7, first 2 shown]
	v_lshrrev_b32_e32 v104, 16, v88
	v_cndmask_b32_e64 v106, v111, v80, s21
	v_cndmask_b32_e64 v110, v112, v84, s21
	;; [unrolled: 1-line block ×11, first 2 shown]
	v_lshrrev_b32_e32 v97, 16, v81
	v_lshrrev_b32_e32 v101, 16, v85
	v_cndmask_b32_e64 v99, v106, v96, s23
	v_cndmask_b32_e64 v102, v110, v100, s23
	v_cndmask_b32_e64 v83, v83, v104, s20
	v_cndmask_b32_e64 v94, v94, v81, s25
	v_cndmask_b32_e64 v95, v95, v85, s25
	v_cndmask_b32_e64 v78, v78, v81, s27
	v_cndmask_b32_e64 v79, v79, v85, s27
	v_lshrrev_b32_e32 v105, 16, v89
	v_cndmask_b32_e64 v80, v80, v104, s6
	v_cndmask_b32_e64 v84, v84, v81, s7
	;; [unrolled: 1-line block ×16, first 2 shown]
	v_perm_b32 v81, v79, v78, 0x5040100
	v_perm_b32 v79, v95, v85, 0x5040100
	v_cndmask_b32_e64 v78, v119, v91, s15
	v_cndmask_b32_e64 v85, v117, v91, s12
	;; [unrolled: 1-line block ×3, first 2 shown]
	v_perm_b32 v80, v94, v90, 0x5040100
	v_cndmask_b32_e64 v90, v98, v103, s17
	v_cndmask_b32_e64 v86, v86, v103, s18
	;; [unrolled: 1-line block ×5, first 2 shown]
	v_lshrrev_b32_e32 v108, 16, v92
	v_cndmask_b32_e64 v90, v90, v88, s21
	v_cndmask_b32_e64 v86, v86, v88, s22
	;; [unrolled: 1-line block ×11, first 2 shown]
	v_lshrrev_b32_e32 v109, 16, v93
	v_cndmask_b32_e64 v82, v82, v93, s7
	v_cndmask_b32_e64 v88, v88, v89, s26
	;; [unrolled: 1-line block ×12, first 2 shown]
	v_perm_b32 v78, v84, v83, 0x5040100
	v_perm_b32 v85, v87, v86, 0x5040100
	;; [unrolled: 1-line block ×5, first 2 shown]
	s_mul_i32 s8, s33, 12
	s_mov_b32 s3, exec_lo
	ds_store_b128 v74, v[78:81]
	ds_store_b128 v74, v[82:85] offset:1024
	v_cmpx_gt_u32_e32 12, v0
	s_cbranch_execz .LBB881_14
; %bb.13:
	s_mul_i32 s4, s8, s34
	s_delay_alu instid0(SALU_CYCLE_1) | instskip(SKIP_1) | instid1(VALU_DEP_1)
	v_add3_u32 v68, s4, s31, v68
	s_load_b128 s[4:7], s[0:1], 0x58
	v_mad_u64_u32 v[78:79], null, v68, s35, s[14:15]
	s_delay_alu instid0(VALU_DEP_1) | instskip(NEXT) | instid1(VALU_DEP_1)
	v_ashrrev_i32_e32 v79, 31, v78
	v_lshlrev_b64 v[78:79], 2, v[78:79]
	s_waitcnt lgkmcnt(0)
	s_delay_alu instid0(VALU_DEP_1) | instskip(NEXT) | instid1(VALU_DEP_2)
	v_add_co_u32 v80, vcc_lo, s6, v78
	v_add_co_ci_u32_e32 v81, vcc_lo, s7, v79, vcc_lo
	v_add_co_u32 v78, vcc_lo, s4, v78
	v_add_co_ci_u32_e32 v79, vcc_lo, s5, v79, vcc_lo
	global_store_b32 v[80:81], v76, off
	global_store_b32 v[78:79], v77, off
.LBB881_14:
	s_or_b32 exec_lo, exec_lo, s3
	s_waitcnt lgkmcnt(0)
	s_waitcnt_vscnt null, 0x0
	s_barrier
	buffer_gl0_inv
	ds_load_b128 v[84:87], v73
	ds_load_b128 v[88:91], v73 offset:16
	ds_load_b128 v[96:99], v73 offset:2064
	;; [unrolled: 1-line block ×5, first 2 shown]
	v_cmp_eq_u32_e32 vcc_lo, 1, v70
	v_mov_b32_e32 v76, 0
	ds_load_b128 v[112:115], v73 offset:6160
	ds_load_b128 v[108:111], v73 offset:6144
	;; [unrolled: 1-line block ×4, first 2 shown]
	v_cmp_eq_u32_e64 s4, 1, v69
	v_cmp_eq_u32_e64 s3, 1, v72
	;; [unrolled: 1-line block ×3, first 2 shown]
	v_mov_b32_e32 v77, v76
	v_mov_b32_e32 v78, v76
	;; [unrolled: 1-line block ×7, first 2 shown]
	v_cmp_eq_u32_e64 s6, 3, v72
	v_cmp_eq_u32_e64 s7, 7, v72
	s_waitcnt lgkmcnt(8)
	s_delay_alu instid0(VALU_DEP_3)
	v_wmma_f32_16x16x16_f16 v[76:83], v[49:56], v[84:91], v[76:83]
	ds_load_b128 v[53:56], v73 offset:10256
	ds_load_b128 v[49:52], v73 offset:10240
	s_waitcnt lgkmcnt(8)
	v_wmma_f32_16x16x16_f16 v[76:83], v[41:48], v[92:99], v[76:83]
	ds_load_b128 v[45:48], v73 offset:12304
	ds_load_b128 v[41:44], v73 offset:12288
	s_waitcnt lgkmcnt(8)
	v_wmma_f32_16x16x16_f16 v[76:83], v[33:40], v[100:107], v[76:83]
	ds_load_b128 v[37:40], v73 offset:14352
	ds_load_b128 v[33:36], v73 offset:14336
	s_waitcnt lgkmcnt(0)
	s_barrier
	buffer_gl0_inv
	v_wmma_f32_16x16x16_f16 v[76:83], v[1:8], v[108:115], v[76:83]
	s_delay_alu instid0(VALU_DEP_1) | instskip(NEXT) | instid1(VALU_DEP_1)
	v_wmma_f32_16x16x16_f16 v[76:83], v[9:16], v[116:123], v[76:83]
	v_wmma_f32_16x16x16_f16 v[76:83], v[17:24], v[49:56], v[76:83]
	s_delay_alu instid0(VALU_DEP_1) | instskip(NEXT) | instid1(VALU_DEP_1)
	v_wmma_f32_16x16x16_f16 v[76:83], v[25:32], v[41:48], v[76:83]
	v_wmma_f32_16x16x16_f16 v[76:83], v[57:64], v[33:40], v[76:83]
	s_delay_alu instid0(VALU_DEP_1) | instskip(NEXT) | instid1(VALU_DEP_2)
	v_cvt_f16_f32_e32 v1, v76
	v_cvt_f16_f32_e32 v2, v77
	s_delay_alu instid0(VALU_DEP_3) | instskip(NEXT) | instid1(VALU_DEP_4)
	v_cvt_f16_f32_e32 v3, v78
	v_cvt_f16_f32_e32 v4, v79
	;; [unrolled: 1-line block ×6, first 2 shown]
	v_pack_b32_f16 v1, v1, v2
	v_pack_b32_f16 v2, v3, v4
	;; [unrolled: 1-line block ×3, first 2 shown]
	s_delay_alu instid0(VALU_DEP_4)
	v_pack_b32_f16 v4, v7, v8
	ds_store_b128 v74, v[1:4]
	s_waitcnt lgkmcnt(0)
	s_barrier
	buffer_gl0_inv
	ds_load_b128 v[1:4], v75
	ds_load_b128 v[5:8], v75 offset:16
	s_waitcnt lgkmcnt(1)
	v_lshrrev_b32_e32 v9, 16, v1
	s_waitcnt lgkmcnt(0)
	v_lshrrev_b32_e32 v13, 16, v5
	v_lshrrev_b32_e32 v10, 16, v2
	;; [unrolled: 1-line block ×4, first 2 shown]
	v_cndmask_b32_e32 v17, v1, v9, vcc_lo
	v_cndmask_b32_e32 v18, v5, v13, vcc_lo
	v_cndmask_b32_e64 v21, v1, v9, s4
	v_cmp_eq_u32_e32 vcc_lo, 1, v71
	v_cndmask_b32_e64 v22, v5, v13, s4
	v_cmp_eq_u32_e64 s4, 2, v70
	v_cndmask_b32_e64 v19, v1, v9, s3
	v_cndmask_b32_e64 v20, v5, v13, s3
	v_cndmask_b32_e32 v1, v1, v9, vcc_lo
	v_cmp_eq_u32_e64 s3, 2, v71
	v_cndmask_b32_e32 v5, v5, v13, vcc_lo
	v_cndmask_b32_e64 v9, v17, v2, s4
	v_cmp_eq_u32_e32 vcc_lo, 3, v70
	v_cndmask_b32_e64 v13, v18, v6, s4
	v_cmp_eq_u32_e64 s4, 2, v69
	v_cndmask_b32_e64 v17, v19, v2, s5
	v_cndmask_b32_e64 v18, v20, v6, s5
	v_cmp_eq_u32_e64 s5, 3, v69
	v_cndmask_b32_e64 v1, v1, v2, s3
	v_cndmask_b32_e64 v19, v21, v2, s4
	;; [unrolled: 1-line block ×4, first 2 shown]
	v_cndmask_b32_e32 v5, v9, v10, vcc_lo
	v_cndmask_b32_e32 v6, v13, v14, vcc_lo
	v_cmp_eq_u32_e32 vcc_lo, 3, v71
	v_cndmask_b32_e64 v9, v17, v10, s6
	v_cndmask_b32_e64 v13, v18, v14, s6
	;; [unrolled: 1-line block ×3, first 2 shown]
	v_cmp_eq_u32_e64 s4, 4, v70
	v_cndmask_b32_e32 v1, v1, v10, vcc_lo
	v_cndmask_b32_e32 v2, v2, v14, vcc_lo
	v_cmp_eq_u32_e32 vcc_lo, 4, v72
	v_lshrrev_b32_e32 v15, 16, v7
	v_lshrrev_b32_e32 v16, 16, v8
	v_cndmask_b32_e64 v17, v19, v10, s5
	v_cmp_eq_u32_e64 s3, 4, v71
	v_cndmask_b32_e64 v5, v5, v3, s4
	v_cndmask_b32_e64 v6, v6, v7, s4
	v_cndmask_b32_e32 v9, v9, v3, vcc_lo
	v_cmp_eq_u32_e64 s4, 5, v72
	v_cndmask_b32_e32 v10, v13, v7, vcc_lo
	v_cmp_eq_u32_e32 vcc_lo, 4, v69
	v_cmp_eq_u32_e64 s5, 5, v70
	v_cndmask_b32_e64 v2, v2, v7, s3
	v_cndmask_b32_e64 v9, v9, v11, s4
	;; [unrolled: 1-line block ×3, first 2 shown]
	v_cndmask_b32_e32 v13, v17, v3, vcc_lo
	v_cmp_eq_u32_e64 s4, 5, v69
	v_cndmask_b32_e32 v14, v18, v7, vcc_lo
	v_cndmask_b32_e64 v1, v1, v3, s3
	v_cmp_eq_u32_e32 vcc_lo, 5, v71
	v_lshrrev_b32_e32 v12, 16, v4
	v_cndmask_b32_e64 v13, v13, v11, s4
	v_cndmask_b32_e64 v3, v14, v15, s4
	v_cmp_eq_u32_e64 s4, 6, v71
	v_cndmask_b32_e32 v1, v1, v11, vcc_lo
	v_cndmask_b32_e64 v5, v5, v11, s5
	v_cmp_eq_u32_e64 s6, 6, v70
	v_cndmask_b32_e64 v6, v6, v15, s5
	v_cmp_eq_u32_e64 s5, 6, v72
	v_cmp_eq_u32_e64 s3, 6, v69
	v_cndmask_b32_e64 v1, v1, v4, s4
	v_cndmask_b32_e32 v2, v2, v15, vcc_lo
	v_cmp_eq_u32_e32 vcc_lo, 7, v71
	v_cndmask_b32_e64 v5, v5, v4, s6
	v_cndmask_b32_e64 v9, v9, v4, s5
	;; [unrolled: 1-line block ×3, first 2 shown]
	v_cmp_eq_u32_e64 s6, 7, v70
	v_cndmask_b32_e32 v1, v1, v12, vcc_lo
	v_cndmask_b32_e64 v7, v13, v4, s3
	v_cndmask_b32_e64 v3, v3, v8, s3
	;; [unrolled: 1-line block ×3, first 2 shown]
	v_cmp_eq_u32_e64 s3, 7, v69
	v_cndmask_b32_e64 v4, v10, v8, s5
	v_cndmask_b32_e64 v5, v5, v12, s6
	;; [unrolled: 1-line block ×3, first 2 shown]
	v_cndmask_b32_e32 v2, v2, v16, vcc_lo
	v_cndmask_b32_e64 v7, v7, v12, s3
	v_cndmask_b32_e64 v3, v3, v16, s3
	;; [unrolled: 1-line block ×4, first 2 shown]
	v_cmp_gt_u32_e32 vcc_lo, 32, v0
	v_perm_b32 v4, v2, v1, 0x5040100
	v_perm_b32 v3, v3, v7, 0x5040100
	v_perm_b32 v2, v8, v9, 0x5040100
	v_perm_b32 v1, v6, v5, 0x5040100
	s_and_b32 s2, vcc_lo, s2
	ds_store_b128 v74, v[1:4]
	s_waitcnt lgkmcnt(0)
	s_barrier
	buffer_gl0_inv
	s_and_saveexec_b32 s3, s2
	s_cbranch_execz .LBB881_2
; %bb.15:
	s_load_b64 s[0:1], s[0:1], 0x68
	v_lshlrev_b32_e32 v0, 10, v0
	s_lshl_b32 s4, s35, 6
	v_or_b32_e32 v3, s31, v66
	s_mul_i32 s2, s4, s34
	v_lshlrev_b32_e32 v1, 4, v67
	s_mul_i32 s2, s2, s8
	v_lshlrev_b32_e32 v2, 6, v66
	v_and_b32_e32 v0, 0x3800, v0
	s_ashr_i32 s3, s2, 31
	v_mul_lo_u32 v4, v3, s4
	s_lshl_b64 s[2:3], s[2:3], 1
	s_delay_alu instid0(VALU_DEP_2) | instskip(NEXT) | instid1(VALU_DEP_2)
	v_or3_b32 v16, v0, v1, v2
	v_ashrrev_i32_e32 v5, 31, v4
	ds_load_b128 v[0:3], v16
	s_waitcnt lgkmcnt(0)
	s_add_u32 s2, s0, s2
	s_addc_u32 s3, s1, s3
	s_lshl_b32 s0, s14, 6
	v_lshlrev_b64 v[5:6], 1, v[4:5]
	s_ashr_i32 s1, s0, 31
	s_delay_alu instid0(SALU_CYCLE_1) | instskip(NEXT) | instid1(SALU_CYCLE_1)
	s_lshl_b64 s[0:1], s[0:1], 1
	s_add_u32 s0, s2, s0
	s_addc_u32 s1, s3, s1
	s_lshl_b32 s2, s35, 7
	v_add_co_u32 v30, s0, s0, v65
	v_add_nc_u32_e32 v8, s2, v4
	v_add_co_ci_u32_e64 v31, null, s1, 0, s0
	s_delay_alu instid0(VALU_DEP_3) | instskip(NEXT) | instid1(VALU_DEP_3)
	v_add_co_u32 v12, vcc_lo, v30, v5
	v_add_nc_u32_e32 v10, s2, v8
	v_ashrrev_i32_e32 v9, 31, v8
	s_delay_alu instid0(VALU_DEP_4)
	v_add_co_ci_u32_e32 v13, vcc_lo, v31, v6, vcc_lo
	ds_load_b128 v[4:7], v16 offset:128
	v_ashrrev_i32_e32 v11, 31, v10
	v_lshlrev_b64 v[8:9], 1, v[8:9]
	v_add_nc_u32_e32 v14, s2, v10
	global_store_b128 v[12:13], v[0:3], off
	v_lshlrev_b64 v[0:1], 1, v[10:11]
	v_ashrrev_i32_e32 v15, 31, v14
	v_add_co_u32 v22, vcc_lo, v30, v8
	v_add_nc_u32_e32 v20, s2, v14
	v_add_co_ci_u32_e32 v23, vcc_lo, v31, v9, vcc_lo
	v_add_co_u32 v26, vcc_lo, v30, v0
	v_lshlrev_b64 v[24:25], 1, v[14:15]
	v_add_co_ci_u32_e32 v27, vcc_lo, v31, v1, vcc_lo
	ds_load_b128 v[0:3], v16 offset:256
	ds_load_b128 v[8:11], v16 offset:384
	;; [unrolled: 1-line block ×4, first 2 shown]
	v_add_nc_u32_e32 v28, s2, v20
	v_ashrrev_i32_e32 v21, 31, v20
	v_add_co_u32 v24, vcc_lo, v30, v24
	v_add_co_ci_u32_e32 v25, vcc_lo, v31, v25, vcc_lo
	s_delay_alu instid0(VALU_DEP_4) | instskip(NEXT) | instid1(VALU_DEP_4)
	v_ashrrev_i32_e32 v29, 31, v28
	v_lshlrev_b64 v[20:21], 1, v[20:21]
	s_delay_alu instid0(VALU_DEP_2) | instskip(NEXT) | instid1(VALU_DEP_2)
	v_lshlrev_b64 v[28:29], 1, v[28:29]
	v_add_co_u32 v20, vcc_lo, v30, v20
	s_delay_alu instid0(VALU_DEP_3) | instskip(NEXT) | instid1(VALU_DEP_3)
	v_add_co_ci_u32_e32 v21, vcc_lo, v31, v21, vcc_lo
	v_add_co_u32 v28, vcc_lo, v30, v28
	s_delay_alu instid0(VALU_DEP_4)
	v_add_co_ci_u32_e32 v29, vcc_lo, v31, v29, vcc_lo
	s_waitcnt lgkmcnt(4)
	global_store_b128 v[22:23], v[4:7], off
	s_waitcnt lgkmcnt(3)
	global_store_b128 v[26:27], v[0:3], off
	;; [unrolled: 2-line block ×5, first 2 shown]
	s_nop 0
	s_sendmsg sendmsg(MSG_DEALLOC_VGPRS)
	s_endpgm
	.section	.rodata,"a",@progbits
	.p2align	6, 0x0
	.amdhsa_kernel _Z39paged_attention_ll4mi_QKV_mfma16_kernelIDF16_hLN4vllm18Fp8KVCacheDataTypeE1EhLi32ELi64ELi256ELb0ELi12EL8MFMAType1EEvPKT_PKT0_S8_ifPKiSA_SA_iPKfiiiPfSD_PS3_PT2_iSC_SC_
		.amdhsa_group_segment_fixed_size 17472
		.amdhsa_private_segment_fixed_size 0
		.amdhsa_kernarg_size 400
		.amdhsa_user_sgpr_count 13
		.amdhsa_user_sgpr_dispatch_ptr 0
		.amdhsa_user_sgpr_queue_ptr 0
		.amdhsa_user_sgpr_kernarg_segment_ptr 1
		.amdhsa_user_sgpr_dispatch_id 0
		.amdhsa_user_sgpr_private_segment_size 0
		.amdhsa_wavefront_size32 1
		.amdhsa_uses_dynamic_stack 0
		.amdhsa_enable_private_segment 0
		.amdhsa_system_sgpr_workgroup_id_x 1
		.amdhsa_system_sgpr_workgroup_id_y 1
		.amdhsa_system_sgpr_workgroup_id_z 1
		.amdhsa_system_sgpr_workgroup_info 0
		.amdhsa_system_vgpr_workitem_id 0
		.amdhsa_next_free_vgpr 146
		.amdhsa_next_free_sgpr 38
		.amdhsa_reserve_vcc 1
		.amdhsa_float_round_mode_32 0
		.amdhsa_float_round_mode_16_64 0
		.amdhsa_float_denorm_mode_32 3
		.amdhsa_float_denorm_mode_16_64 3
		.amdhsa_dx10_clamp 1
		.amdhsa_ieee_mode 1
		.amdhsa_fp16_overflow 0
		.amdhsa_workgroup_processor_mode 1
		.amdhsa_memory_ordered 1
		.amdhsa_forward_progress 0
		.amdhsa_shared_vgpr_count 0
		.amdhsa_exception_fp_ieee_invalid_op 0
		.amdhsa_exception_fp_denorm_src 0
		.amdhsa_exception_fp_ieee_div_zero 0
		.amdhsa_exception_fp_ieee_overflow 0
		.amdhsa_exception_fp_ieee_underflow 0
		.amdhsa_exception_fp_ieee_inexact 0
		.amdhsa_exception_int_div_zero 0
	.end_amdhsa_kernel
	.section	.text._Z39paged_attention_ll4mi_QKV_mfma16_kernelIDF16_hLN4vllm18Fp8KVCacheDataTypeE1EhLi32ELi64ELi256ELb0ELi12EL8MFMAType1EEvPKT_PKT0_S8_ifPKiSA_SA_iPKfiiiPfSD_PS3_PT2_iSC_SC_,"axG",@progbits,_Z39paged_attention_ll4mi_QKV_mfma16_kernelIDF16_hLN4vllm18Fp8KVCacheDataTypeE1EhLi32ELi64ELi256ELb0ELi12EL8MFMAType1EEvPKT_PKT0_S8_ifPKiSA_SA_iPKfiiiPfSD_PS3_PT2_iSC_SC_,comdat
.Lfunc_end881:
	.size	_Z39paged_attention_ll4mi_QKV_mfma16_kernelIDF16_hLN4vllm18Fp8KVCacheDataTypeE1EhLi32ELi64ELi256ELb0ELi12EL8MFMAType1EEvPKT_PKT0_S8_ifPKiSA_SA_iPKfiiiPfSD_PS3_PT2_iSC_SC_, .Lfunc_end881-_Z39paged_attention_ll4mi_QKV_mfma16_kernelIDF16_hLN4vllm18Fp8KVCacheDataTypeE1EhLi32ELi64ELi256ELb0ELi12EL8MFMAType1EEvPKT_PKT0_S8_ifPKiSA_SA_iPKfiiiPfSD_PS3_PT2_iSC_SC_
                                        ; -- End function
	.section	.AMDGPU.csdata,"",@progbits
; Kernel info:
; codeLenInByte = 6596
; NumSgprs: 40
; NumVgprs: 146
; ScratchSize: 0
; MemoryBound: 0
; FloatMode: 240
; IeeeMode: 1
; LDSByteSize: 17472 bytes/workgroup (compile time only)
; SGPRBlocks: 4
; VGPRBlocks: 18
; NumSGPRsForWavesPerEU: 40
; NumVGPRsForWavesPerEU: 146
; Occupancy: 9
; WaveLimiterHint : 1
; COMPUTE_PGM_RSRC2:SCRATCH_EN: 0
; COMPUTE_PGM_RSRC2:USER_SGPR: 13
; COMPUTE_PGM_RSRC2:TRAP_HANDLER: 0
; COMPUTE_PGM_RSRC2:TGID_X_EN: 1
; COMPUTE_PGM_RSRC2:TGID_Y_EN: 1
; COMPUTE_PGM_RSRC2:TGID_Z_EN: 1
; COMPUTE_PGM_RSRC2:TIDIG_COMP_CNT: 0
	.section	.text._Z39paged_attention_ll4mi_QKV_mfma16_kernelIDF16_hLN4vllm18Fp8KVCacheDataTypeE1EhLi32ELi64ELi256ELb0ELi13EL8MFMAType1EEvPKT_PKT0_S8_ifPKiSA_SA_iPKfiiiPfSD_PS3_PT2_iSC_SC_,"axG",@progbits,_Z39paged_attention_ll4mi_QKV_mfma16_kernelIDF16_hLN4vllm18Fp8KVCacheDataTypeE1EhLi32ELi64ELi256ELb0ELi13EL8MFMAType1EEvPKT_PKT0_S8_ifPKiSA_SA_iPKfiiiPfSD_PS3_PT2_iSC_SC_,comdat
	.protected	_Z39paged_attention_ll4mi_QKV_mfma16_kernelIDF16_hLN4vllm18Fp8KVCacheDataTypeE1EhLi32ELi64ELi256ELb0ELi13EL8MFMAType1EEvPKT_PKT0_S8_ifPKiSA_SA_iPKfiiiPfSD_PS3_PT2_iSC_SC_ ; -- Begin function _Z39paged_attention_ll4mi_QKV_mfma16_kernelIDF16_hLN4vllm18Fp8KVCacheDataTypeE1EhLi32ELi64ELi256ELb0ELi13EL8MFMAType1EEvPKT_PKT0_S8_ifPKiSA_SA_iPKfiiiPfSD_PS3_PT2_iSC_SC_
	.globl	_Z39paged_attention_ll4mi_QKV_mfma16_kernelIDF16_hLN4vllm18Fp8KVCacheDataTypeE1EhLi32ELi64ELi256ELb0ELi13EL8MFMAType1EEvPKT_PKT0_S8_ifPKiSA_SA_iPKfiiiPfSD_PS3_PT2_iSC_SC_
	.p2align	8
	.type	_Z39paged_attention_ll4mi_QKV_mfma16_kernelIDF16_hLN4vllm18Fp8KVCacheDataTypeE1EhLi32ELi64ELi256ELb0ELi13EL8MFMAType1EEvPKT_PKT0_S8_ifPKiSA_SA_iPKfiiiPfSD_PS3_PT2_iSC_SC_,@function
_Z39paged_attention_ll4mi_QKV_mfma16_kernelIDF16_hLN4vllm18Fp8KVCacheDataTypeE1EhLi32ELi64ELi256ELb0ELi13EL8MFMAType1EEvPKT_PKT0_S8_ifPKiSA_SA_iPKfiiiPfSD_PS3_PT2_iSC_SC_: ; @_Z39paged_attention_ll4mi_QKV_mfma16_kernelIDF16_hLN4vllm18Fp8KVCacheDataTypeE1EhLi32ELi64ELi256ELb0ELi13EL8MFMAType1EEvPKT_PKT0_S8_ifPKiSA_SA_iPKfiiiPfSD_PS3_PT2_iSC_SC_
; %bb.0:
	s_load_b64 s[2:3], s[0:1], 0x30
	s_mov_b32 s34, s13
	s_waitcnt lgkmcnt(0)
	s_cmp_lg_u64 s[2:3], 0
	s_cselect_b32 s6, -1, 0
	s_ashr_i32 s35, s13, 31
	s_cmp_eq_u64 s[2:3], 0
	s_cbranch_scc1 .LBB882_3
; %bb.1:
	s_lshl_b64 s[4:5], s[34:35], 2
	s_delay_alu instid0(SALU_CYCLE_1) | instskip(SKIP_4) | instid1(SALU_CYCLE_1)
	s_add_u32 s4, s2, s4
	s_addc_u32 s5, s3, s5
	s_load_b64 s[4:5], s[4:5], 0x0
	s_waitcnt lgkmcnt(0)
	s_sub_i32 s4, s5, s4
	s_cmp_eq_u32 s4, 1
	s_cselect_b32 s4, -1, 0
	s_delay_alu instid0(SALU_CYCLE_1)
	s_and_not1_b32 vcc_lo, exec_lo, s4
	s_cbranch_vccz .LBB882_4
.LBB882_2:
	s_nop 0
	s_sendmsg sendmsg(MSG_DEALLOC_VGPRS)
	s_endpgm
.LBB882_3:
.LBB882_4:
	s_load_b64 s[8:9], s[0:1], 0x28
	s_lshl_b64 s[4:5], s[34:35], 2
	s_waitcnt lgkmcnt(0)
	s_add_u32 s8, s8, s4
	s_addc_u32 s9, s9, s5
	s_lshl_b32 s16, s14, 8
	s_load_b32 s18, s[8:9], 0x0
	s_waitcnt lgkmcnt(0)
	s_cmp_ge_i32 s16, s18
	s_cbranch_scc1 .LBB882_2
; %bb.5:
	s_clause 0x1
	s_load_b128 s[8:11], s[0:1], 0x8
	s_load_b64 s[12:13], s[0:1], 0x20
	s_and_not1_b32 vcc_lo, exec_lo, s6
	s_cbranch_vccnz .LBB882_7
; %bb.6:
	s_add_u32 s2, s2, s4
	s_addc_u32 s3, s3, s5
	s_load_b32 s3, s[2:3], 0x0
	s_branch .LBB882_8
.LBB882_7:
	s_mov_b32 s3, s34
.LBB882_8:
	s_load_b128 s[4:7], s[0:1], 0x48
	v_lshrrev_b32_e32 v69, 5, v0
	v_bfe_u32 v66, v0, 4, 1
	v_and_b32_e32 v68, 15, v0
	v_and_b32_e32 v70, 31, v0
	;; [unrolled: 1-line block ×3, first 2 shown]
	s_mul_i32 s33, s15, 13
	v_lshl_or_b32 v1, v69, 1, v66
	v_lshlrev_b32_e32 v2, 3, v68
	v_cmp_gt_u32_e64 s2, 8, v68
	s_delay_alu instid0(VALU_DEP_3) | instskip(NEXT) | instid1(VALU_DEP_3)
	v_cmp_gt_u32_e32 vcc_lo, 13, v1
	v_lshlrev_b32_e32 v65, 1, v2
	s_delay_alu instid0(VALU_DEP_3)
	s_and_b32 s17, s2, vcc_lo
	s_waitcnt lgkmcnt(0)
	s_and_saveexec_b32 s7, s17
	s_cbranch_execz .LBB882_10
; %bb.9:
	s_load_b64 s[20:21], s[0:1], 0x0
	v_add_lshl_u32 v2, v1, s33, 6
	s_mul_hi_i32 s23, s3, s4
	s_mul_i32 s22, s3, s4
	v_lshlrev_b32_e32 v6, 10, v68
	s_lshl_b64 s[22:23], s[22:23], 1
	v_ashrrev_i32_e32 v3, 31, v2
	v_lshlrev_b32_e32 v1, 6, v1
	v_lshlrev_b32_e32 v7, 10, v67
	v_and_b32_e32 v6, 0x3800, v6
	s_delay_alu instid0(VALU_DEP_4) | instskip(NEXT) | instid1(VALU_DEP_2)
	v_lshlrev_b64 v[2:3], 1, v[2:3]
	v_or3_b32 v1, v6, v7, v1
	s_waitcnt lgkmcnt(0)
	s_add_u32 s3, s20, s22
	s_addc_u32 s4, s21, s23
	s_delay_alu instid0(VALU_DEP_2) | instskip(SKIP_1) | instid1(VALU_DEP_2)
	v_add_co_u32 v2, vcc_lo, s3, v2
	v_add_co_ci_u32_e32 v3, vcc_lo, s4, v3, vcc_lo
	v_add_co_u32 v2, vcc_lo, v2, v65
	s_delay_alu instid0(VALU_DEP_2)
	v_add_co_ci_u32_e32 v3, vcc_lo, 0, v3, vcc_lo
	global_load_b128 v[2:5], v[2:3], off
	s_waitcnt vmcnt(0)
	ds_store_b128 v1, v[2:5]
.LBB882_10:
	s_or_b32 exec_lo, exec_lo, s7
	v_and_b32_e32 v1, 0xef, v0
	s_add_i32 s3, s18, 31
	s_clause 0x1
	s_load_b32 s4, s[0:1], 0x38
	s_load_b32 s35, s[0:1], 0x98
	s_ashr_i32 s7, s3, 31
	v_add_nc_u32_e32 v1, s16, v1
	s_lshr_b32 s7, s7, 27
	s_load_b32 s19, s[0:1], 0x1c
	v_add_nc_u32_e32 v103, -13, v68
	s_add_i32 s3, s3, s7
	v_ashrrev_i32_e32 v2, 31, v1
	v_or_b32_e32 v3, 16, v1
	s_ashr_i32 s3, s3, 5
	v_cmp_gt_i32_e32 vcc_lo, s18, v1
	s_add_i32 s3, s3, -1
	v_lshrrev_b32_e32 v2, 27, v2
	s_waitcnt lgkmcnt(0)
	s_barrier
	buffer_gl0_inv
	s_mul_i32 s15, s15, s6
	v_add_nc_u32_e32 v4, v1, v2
	v_mbcnt_lo_u32_b32 v127, -1, 0
	s_mul_i32 s20, s34, s4
	s_delay_alu instid0(SALU_CYCLE_1) | instskip(NEXT) | instid1(VALU_DEP_2)
	s_ashr_i32 s21, s20, 31
	v_ashrrev_i32_e32 v4, 5, v4
	v_add_nc_u32_e32 v2, v3, v2
	s_lshl_b64 s[20:21], s[20:21], 2
	v_xor_b32_e32 v128, 16, v127
	s_add_u32 s17, s12, s20
	v_cndmask_b32_e32 v1, s3, v4, vcc_lo
	v_ashrrev_i32_e32 v2, 5, v2
	v_cmp_gt_i32_e32 vcc_lo, s18, v3
	s_addc_u32 s13, s13, s21
	s_ashr_i32 s20, s15, 31
	s_add_u32 s22, s8, s15
	s_addc_u32 s23, s9, s20
	v_cndmask_b32_e32 v3, s3, v2, vcc_lo
	v_ashrrev_i32_e32 v2, 31, v1
	s_lshl_b32 s6, s14, 3
	s_delay_alu instid0(SALU_CYCLE_1) | instskip(NEXT) | instid1(VALU_DEP_2)
	s_ashr_i32 s7, s6, 31
	v_ashrrev_i32_e32 v4, 31, v3
	s_delay_alu instid0(VALU_DEP_2) | instskip(SKIP_1) | instid1(SALU_CYCLE_1)
	v_lshlrev_b64 v[1:2], 2, v[1:2]
	s_lshl_b64 s[6:7], s[6:7], 2
	s_add_u32 s6, s17, s6
	s_delay_alu instid0(VALU_DEP_2) | instskip(SKIP_1) | instid1(VALU_DEP_2)
	v_lshlrev_b64 v[3:4], 2, v[3:4]
	s_addc_u32 s7, s13, s7
	v_add_co_u32 v1, vcc_lo, s17, v1
	v_add_co_ci_u32_e32 v2, vcc_lo, s13, v2, vcc_lo
	s_delay_alu instid0(VALU_DEP_3) | instskip(NEXT) | instid1(VALU_DEP_4)
	v_add_co_u32 v3, vcc_lo, s17, v3
	v_add_co_ci_u32_e32 v4, vcc_lo, s13, v4, vcc_lo
	s_clause 0x1
	global_load_b32 v5, v[1:2], off
	global_load_b32 v6, v[3:4], off
	s_or_b32 s4, s16, 32
	s_delay_alu instid0(SALU_CYCLE_1) | instskip(SKIP_2) | instid1(SALU_CYCLE_1)
	s_ashr_i32 s8, s4, 5
	s_cmp_lt_i32 s4, s18
	s_cselect_b32 s8, s8, s3
	s_ashr_i32 s9, s8, 31
	s_delay_alu instid0(SALU_CYCLE_1) | instskip(NEXT) | instid1(SALU_CYCLE_1)
	s_lshl_b64 s[8:9], s[8:9], 2
	s_add_u32 s8, s17, s8
	s_addc_u32 s9, s13, s9
	s_or_b32 s4, s16, 64
	s_delay_alu instid0(SALU_CYCLE_1) | instskip(SKIP_2) | instid1(SALU_CYCLE_1)
	s_ashr_i32 s12, s4, 5
	s_cmp_lt_i32 s4, s18
	s_cselect_b32 s24, s12, s3
	s_ashr_i32 s25, s24, 31
	s_delay_alu instid0(SALU_CYCLE_1) | instskip(NEXT) | instid1(SALU_CYCLE_1)
	s_lshl_b64 s[24:25], s[24:25], 2
	s_add_u32 s24, s17, s24
	s_addc_u32 s25, s13, s25
	;; [unrolled: 10-line block ×5, first 2 shown]
	s_clause 0x5
	s_load_b32 s12, s[6:7], 0x0
	s_load_b32 s4, s[8:9], 0x0
	;; [unrolled: 1-line block ×6, first 2 shown]
	s_or_b32 s21, s16, 0xc0
	s_waitcnt vmcnt(1)
	v_mad_i64_i32 v[1:2], null, v5, s5, s[22:23]
	v_lshlrev_b32_e32 v5, 4, v68
	s_waitcnt vmcnt(0)
	v_mad_i64_i32 v[3:4], null, v6, s5, s[22:23]
	s_ashr_i32 s22, s21, 5
	s_cmp_lt_i32 s21, s18
	s_delay_alu instid0(VALU_DEP_3) | instskip(NEXT) | instid1(VALU_DEP_4)
	v_add_co_u32 v1, vcc_lo, v1, v5
	v_add_co_ci_u32_e32 v2, vcc_lo, 0, v2, vcc_lo
	s_delay_alu instid0(VALU_DEP_3) | instskip(NEXT) | instid1(VALU_DEP_4)
	v_add_co_u32 v3, vcc_lo, v3, v5
	v_add_co_ci_u32_e32 v4, vcc_lo, 0, v4, vcc_lo
	s_clause 0x7
	global_load_b128 v[71:74], v[1:2], off
	global_load_b128 v[75:78], v[1:2], off offset:512
	global_load_b128 v[79:82], v[3:4], off offset:256
	;; [unrolled: 1-line block ×7, first 2 shown]
	s_cselect_b32 s22, s22, s3
	v_lshlrev_b32_e32 v1, 5, v68
	s_ashr_i32 s23, s22, 31
	v_cmp_gt_u32_e32 vcc_lo, 13, v68
	s_lshl_b64 s[22:23], s[22:23], 2
	s_delay_alu instid0(SALU_CYCLE_1)
	s_add_u32 s22, s17, s22
	s_addc_u32 s23, s13, s23
	s_or_b32 s21, s16, 0xe0
	v_lshl_or_b32 v1, v69, 9, v1
	s_ashr_i32 s24, s21, 5
	s_cmp_lt_i32 s21, s18
	v_cndmask_b32_e32 v103, v103, v68, vcc_lo
	s_cselect_b32 s24, s24, s3
	s_load_b32 s3, s[22:23], 0x0
	s_ashr_i32 s25, s24, 31
	v_cmp_gt_i32_e32 vcc_lo, 32, v128
	s_lshl_b64 s[24:25], s[24:25], 2
	v_lshlrev_b32_e32 v115, 6, v103
	s_add_u32 s22, s17, s24
	s_addc_u32 s23, s13, s25
	v_cndmask_b32_e32 v136, v127, v128, vcc_lo
	s_add_u32 s10, s10, s15
	s_addc_u32 s11, s11, s20
	v_add_co_u32 v1, s10, s10, v1
	s_delay_alu instid0(VALU_DEP_1) | instskip(SKIP_2) | instid1(VALU_DEP_1)
	v_add_co_ci_u32_e64 v2, null, s11, 0, s10
	s_load_b32 s10, s[22:23], 0x0
	s_waitcnt lgkmcnt(0)
	v_mad_i64_i32 v[3:4], null, s12, s5, v[1:2]
	v_mad_i64_i32 v[9:10], null, s7, s5, v[1:2]
	;; [unrolled: 1-line block ×7, first 2 shown]
	s_clause 0x5
	global_load_b128 v[49:52], v[3:4], off
	global_load_b128 v[53:56], v[3:4], off offset:16
	global_load_b128 v[41:44], v[5:6], off
	global_load_b128 v[45:48], v[5:6], off offset:16
	;; [unrolled: 2-line block ×3, first 2 shown]
	s_mov_b32 s4, 0
	v_mad_i64_i32 v[61:62], null, s10, s5, v[1:2]
	s_clause 0x9
	global_load_b128 v[1:4], v[9:10], off
	global_load_b128 v[5:8], v[9:10], off offset:16
	global_load_b128 v[9:12], v[13:14], off
	global_load_b128 v[13:16], v[13:14], off offset:16
	;; [unrolled: 2-line block ×5, first 2 shown]
	s_mov_b32 s5, s4
	s_mov_b32 s6, s4
	;; [unrolled: 1-line block ×7, first 2 shown]
	v_and_b32_e32 v104, 0xe0, v0
	v_dual_mov_b32 v126, s11 :: v_dual_mov_b32 v125, s10
	v_dual_mov_b32 v124, s9 :: v_dual_mov_b32 v123, s8
	s_delay_alu instid0(VALU_DEP_3)
	v_add_nc_u32_e32 v111, s16, v104
	ds_load_b128 v[103:106], v115
	ds_load_b128 v[107:110], v115 offset:1024
	v_dual_mov_b32 v122, s7 :: v_dual_mov_b32 v121, s6
	v_mov_b32_e32 v120, s5
	v_or_b32_e32 v135, v111, v66
	ds_load_b128 v[111:114], v115 offset:2048
	ds_load_b128 v[115:118], v115 offset:3072
	v_mov_b32_e32 v119, s4
	s_waitcnt vmcnt(0) lgkmcnt(0)
	s_barrier
	v_or_b32_e32 v137, 2, v135
	v_or_b32_e32 v138, 4, v135
	;; [unrolled: 1-line block ×3, first 2 shown]
	v_cmp_gt_i32_e32 vcc_lo, s18, v135
	v_or_b32_e32 v140, 8, v135
	v_cmp_gt_i32_e64 s3, s18, v137
	v_or_b32_e32 v141, 10, v135
	v_cmp_gt_i32_e64 s4, s18, v138
	v_cmp_gt_i32_e64 s5, s18, v139
	v_or_b32_e32 v142, 12, v135
	v_or_b32_e32 v143, 14, v135
	v_cmp_gt_i32_e64 s6, s18, v140
	v_cmp_gt_i32_e64 s7, s18, v141
	v_or_b32_e32 v144, 16, v135
	v_or_b32_e32 v145, 18, v135
	v_cmp_gt_i32_e64 s8, s18, v142
	v_cmp_gt_i32_e64 s9, s18, v143
	buffer_gl0_inv
	v_cmp_gt_i32_e64 s10, s18, v144
	v_cmp_gt_i32_e64 s11, s18, v145
	v_wmma_f32_16x16x16_f16 v[127:134], v[71:78], v[103:110], v[119:126]
	v_wmma_f32_16x16x16_f16 v[119:126], v[79:86], v[103:110], v[119:126]
	v_or_b32_e32 v71, 20, v135
	v_or_b32_e32 v72, 22, v135
	s_delay_alu instid0(VALU_DEP_4)
	v_wmma_f32_16x16x16_f16 v[127:134], v[87:94], v[111:118], v[127:134]
	v_or_b32_e32 v73, 24, v135
	v_wmma_f32_16x16x16_f16 v[119:126], v[95:102], v[111:118], v[119:126]
	v_or_b32_e32 v74, 26, v135
	v_cmp_gt_i32_e64 s12, s18, v71
	v_dual_mul_f32 v83, s19, v128 :: v_dual_mul_f32 v84, s19, v127
	s_delay_alu instid0(VALU_DEP_4) | instskip(SKIP_1) | instid1(VALU_DEP_3)
	v_dual_mul_f32 v81, s19, v130 :: v_dual_mul_f32 v92, s19, v119
	v_mul_f32_e32 v82, s19, v129
	v_cndmask_b32_e64 v83, 0xff7fffff, v83, s3
	s_delay_alu instid0(VALU_DEP_4)
	v_cndmask_b32_e32 v84, 0xff7fffff, v84, vcc_lo
	v_dual_mul_f32 v79, s19, v132 :: v_dual_mul_f32 v90, s19, v121
	v_mul_f32_e32 v80, s19, v131
	v_cndmask_b32_e64 v82, 0xff7fffff, v82, s4
	v_cndmask_b32_e64 v81, 0xff7fffff, v81, s5
	v_max3_f32 v83, v84, 0xff7fffff, v83
	v_dual_mul_f32 v77, s19, v134 :: v_dual_mul_f32 v88, s19, v123
	v_mul_f32_e32 v78, s19, v133
	v_cndmask_b32_e64 v80, 0xff7fffff, v80, s6
	v_cndmask_b32_e64 v79, 0xff7fffff, v79, s7
	v_max3_f32 v81, v83, v82, v81
	v_mul_f32_e32 v91, s19, v120
	v_cndmask_b32_e64 v78, 0xff7fffff, v78, s8
	v_cndmask_b32_e64 v77, 0xff7fffff, v77, s9
	v_mul_f32_e32 v89, s19, v122
	v_max3_f32 v79, v81, v80, v79
	v_cndmask_b32_e64 v80, 0xff7fffff, v92, s10
	v_cndmask_b32_e64 v81, 0xff7fffff, v91, s11
	v_cmp_gt_i32_e64 s13, s18, v72
	v_or_b32_e32 v75, 28, v135
	v_max3_f32 v77, v79, v78, v77
	v_or_b32_e32 v76, 30, v135
	v_mul_f32_e32 v87, s19, v124
	v_cndmask_b32_e64 v71, 0xff7fffff, v90, s12
	v_cndmask_b32_e64 v72, 0xff7fffff, v89, s13
	v_max3_f32 v77, v77, v80, v81
	v_cmp_gt_i32_e64 s15, s18, v73
	v_cmp_gt_i32_e64 s16, s18, v74
	v_dual_mul_f32 v85, s19, v126 :: v_dual_mul_f32 v86, s19, v125
	s_delay_alu instid0(VALU_DEP_4) | instskip(NEXT) | instid1(VALU_DEP_4)
	v_max3_f32 v71, v77, v71, v72
	v_cndmask_b32_e64 v73, 0xff7fffff, v88, s15
	s_delay_alu instid0(VALU_DEP_4) | instskip(SKIP_2) | instid1(VALU_DEP_3)
	v_cndmask_b32_e64 v74, 0xff7fffff, v87, s16
	v_cmp_gt_i32_e64 s17, s18, v75
	v_cmp_gt_i32_e64 s18, s18, v76
	v_max3_f32 v71, v71, v73, v74
	s_delay_alu instid0(VALU_DEP_3) | instskip(NEXT) | instid1(VALU_DEP_3)
	v_cndmask_b32_e64 v72, 0xff7fffff, v86, s17
	v_cndmask_b32_e64 v75, 0xff7fffff, v85, s18
	v_lshlrev_b32_e32 v73, 2, v136
	s_delay_alu instid0(VALU_DEP_2) | instskip(SKIP_3) | instid1(VALU_DEP_1)
	v_max3_f32 v71, v71, v72, v75
	ds_bpermute_b32 v72, v73, v71
	s_waitcnt lgkmcnt(0)
	v_max_f32_e32 v72, v72, v72
	v_max_f32_e32 v71, v71, v72
	s_delay_alu instid0(VALU_DEP_1)
	v_fma_f32 v72, s19, v127, -v71
	v_fma_f32 v74, s19, v128, -v71
	;; [unrolled: 1-line block ×5, first 2 shown]
	v_mul_f32_e32 v72, 0x3fb8aa3b, v72
	v_mul_f32_e32 v74, 0x3fb8aa3b, v74
	v_fma_f32 v80, s19, v133, -v71
	s_delay_alu instid0(VALU_DEP_4) | instskip(NEXT) | instid1(VALU_DEP_4)
	v_dual_mul_f32 v76, 0x3fb8aa3b, v76 :: v_dual_mul_f32 v77, 0x3fb8aa3b, v77
	v_exp_f32_e32 v72, v72
	s_delay_alu instid0(VALU_DEP_3) | instskip(NEXT) | instid1(VALU_DEP_2)
	v_exp_f32_e32 v74, v74
	v_mul_f32_e32 v82, 0x3fb8aa3b, v80
	s_delay_alu instid0(VALU_DEP_2) | instskip(SKIP_1) | instid1(VALU_DEP_1)
	v_exp_f32_e32 v76, v76
	v_exp_f32_e32 v77, v77
	;; [unrolled: 1-line block ×3, first 2 shown]
	v_cndmask_b32_e32 v79, 0, v72, vcc_lo
	v_fma_f32 v72, s19, v132, -v71
	v_mul_f32_e32 v75, 0x3fb8aa3b, v75
	v_cndmask_b32_e64 v78, 0, v74, s3
	s_delay_alu instid0(TRANS32_DEP_3)
	v_cndmask_b32_e64 v80, 0, v76, s5
	v_add_f32_e32 v74, 0, v79
	v_mul_f32_e32 v72, 0x3fb8aa3b, v72
	v_exp_f32_e32 v75, v75
	v_cndmask_b32_e64 v83, 0, v77, s6
	v_cndmask_b32_e64 v85, 0, v84, s8
	v_add_f32_e32 v74, v74, v78
	v_exp_f32_e32 v72, v72
	v_cmp_gt_u32_e64 s3, 16, v70
	s_waitcnt_depctr 0xfff
	v_cndmask_b32_e64 v81, 0, v75, s4
	v_cndmask_b32_e64 v82, 0, v72, s7
	s_delay_alu instid0(VALU_DEP_2) | instskip(NEXT) | instid1(VALU_DEP_1)
	v_add_f32_e32 v74, v74, v81
	v_add_f32_e32 v74, v74, v80
	s_delay_alu instid0(VALU_DEP_1) | instskip(SKIP_4) | instid1(VALU_DEP_4)
	v_add_f32_e32 v72, v74, v83
	v_fma_f32 v75, s19, v134, -v71
	v_fma_f32 v76, s19, v119, -v71
	;; [unrolled: 1-line block ×4, first 2 shown]
	v_dual_add_f32 v72, v72, v82 :: v_dual_mul_f32 v75, 0x3fb8aa3b, v75
	s_delay_alu instid0(VALU_DEP_3) | instskip(SKIP_1) | instid1(VALU_DEP_3)
	v_dual_mul_f32 v76, 0x3fb8aa3b, v76 :: v_dual_mul_f32 v77, 0x3fb8aa3b, v77
	v_fma_f32 v86, s19, v122, -v71
	v_add_f32_e32 v72, v72, v85
	s_delay_alu instid0(VALU_DEP_4) | instskip(NEXT) | instid1(VALU_DEP_3)
	v_exp_f32_e32 v75, v75
	v_exp_f32_e32 v76, v76
	;; [unrolled: 1-line block ×3, first 2 shown]
	v_mul_f32_e32 v86, 0x3fb8aa3b, v86
	s_delay_alu instid0(VALU_DEP_1) | instskip(SKIP_3) | instid1(TRANS32_DEP_3)
	v_exp_f32_e32 v88, v86
	v_cndmask_b32_e64 v84, 0, v75, s9
	v_fma_f32 v75, s19, v123, -v71
	v_mul_f32_e32 v74, 0x3fb8aa3b, v74
	v_cndmask_b32_e64 v87, 0, v76, s10
	v_fma_f32 v76, s19, v124, -v71
	s_delay_alu instid0(VALU_DEP_4) | instskip(NEXT) | instid1(VALU_DEP_4)
	v_dual_add_f32 v72, v72, v84 :: v_dual_mul_f32 v75, 0x3fb8aa3b, v75
	v_exp_f32_e32 v74, v74
	v_cndmask_b32_e64 v86, 0, v77, s11
	v_fma_f32 v77, s19, v125, -v71
	s_delay_alu instid0(VALU_DEP_3) | instskip(SKIP_3) | instid1(VALU_DEP_3)
	v_add_f32_e32 v72, v72, v87
	v_mul_f32_e32 v76, 0x3fb8aa3b, v76
	v_exp_f32_e32 v75, v75
	v_cndmask_b32_e64 v88, 0, v88, s13
	v_add_f32_e32 v72, v72, v86
	s_delay_alu instid0(VALU_DEP_3) | instskip(NEXT) | instid1(TRANS32_DEP_3)
	v_exp_f32_e32 v76, v76
	v_cndmask_b32_e64 v89, 0, v74, s12
	v_mul_f32_e32 v74, 0x3fb8aa3b, v77
	v_fma_f32 v77, s19, v126, -v71
	s_delay_alu instid0(VALU_DEP_3) | instskip(NEXT) | instid1(VALU_DEP_3)
	v_add_f32_e32 v72, v72, v89
	v_exp_f32_e32 v74, v74
	s_delay_alu instid0(TRANS32_DEP_3) | instskip(NEXT) | instid1(VALU_DEP_3)
	v_cndmask_b32_e64 v91, 0, v75, s15
	v_mul_f32_e32 v75, 0x3fb8aa3b, v77
	s_delay_alu instid0(TRANS32_DEP_2) | instskip(SKIP_1) | instid1(VALU_DEP_3)
	v_cndmask_b32_e64 v90, 0, v76, s16
	v_add_f32_e32 v72, v72, v88
	v_exp_f32_e32 v75, v75
	s_delay_alu instid0(VALU_DEP_1) | instskip(NEXT) | instid1(TRANS32_DEP_2)
	v_add_f32_e32 v72, v72, v91
	v_cndmask_b32_e64 v93, 0, v74, s17
	s_delay_alu instid0(VALU_DEP_2) | instskip(SKIP_3) | instid1(VALU_DEP_1)
	v_add_f32_e32 v72, v72, v90
	s_waitcnt_depctr 0xfff
	v_cndmask_b32_e64 v92, 0, v75, s18
	v_add_f32_e32 v72, v72, v93
	v_add_f32_e32 v72, v72, v92
	ds_bpermute_b32 v73, v73, v72
	s_and_saveexec_b32 s4, s3
	s_cbranch_execz .LBB882_12
; %bb.11:
	v_mul_u32_u24_e32 v70, 0x44, v69
	s_waitcnt lgkmcnt(0)
	v_add_f32_e32 v72, v72, v73
	s_delay_alu instid0(VALU_DEP_2) | instskip(NEXT) | instid1(VALU_DEP_1)
	v_lshl_add_u32 v70, v68, 2, v70
	v_add_nc_u32_e32 v70, 0x4000, v70
	ds_store_2addr_b32 v70, v71, v72 offset1:136
.LBB882_12:
	s_or_b32 exec_lo, exec_lo, s4
	v_lshlrev_b32_e32 v70, 2, v68
	s_load_b32 s36, s[0:1], 0x94
	s_waitcnt lgkmcnt(0)
	s_barrier
	buffer_gl0_inv
	v_add_nc_u32_e32 v98, 0x4000, v70
	v_cmp_eq_u32_e32 vcc_lo, 1, v69
	v_cmp_eq_u32_e64 s4, 2, v69
	v_cmp_eq_u32_e64 s5, 3, v69
	;; [unrolled: 1-line block ×3, first 2 shown]
	ds_load_2addr_b32 v[70:71], v98 offset1:17
	ds_load_2addr_b32 v[72:73], v98 offset0:34 offset1:51
	ds_load_2addr_b32 v[74:75], v98 offset0:68 offset1:85
	;; [unrolled: 1-line block ×3, first 2 shown]
	v_cmp_eq_u32_e64 s7, 5, v69
	v_cmp_eq_u32_e64 s8, 7, v69
	s_waitcnt lgkmcnt(3)
	v_max3_f32 v76, v70, 0xff7fffff, v71
	s_waitcnt lgkmcnt(2)
	s_delay_alu instid0(VALU_DEP_1) | instskip(SKIP_1) | instid1(VALU_DEP_1)
	v_max3_f32 v76, v76, v72, v73
	s_waitcnt lgkmcnt(1)
	v_max3_f32 v76, v76, v74, v75
	s_waitcnt lgkmcnt(0)
	s_delay_alu instid0(VALU_DEP_1) | instskip(NEXT) | instid1(VALU_DEP_1)
	v_max3_f32 v76, v76, v94, v95
	v_sub_f32_e32 v77, v71, v76
	ds_load_2addr_b32 v[96:97], v98 offset0:136 offset1:153
	v_sub_f32_e32 v74, v74, v76
	v_sub_f32_e32 v70, v70, v76
	v_sub_f32_e32 v94, v94, v76
	v_dual_sub_f32 v72, v72, v76 :: v_dual_mul_f32 v77, 0x3fb8aa3b, v77
	s_delay_alu instid0(VALU_DEP_4) | instskip(NEXT) | instid1(VALU_DEP_4)
	v_mul_f32_e32 v103, 0x3fb8aa3b, v74
	v_mul_f32_e32 v99, 0x3fb8aa3b, v70
	ds_load_2addr_b32 v[70:71], v98 offset0:170 offset1:187
	v_dual_mul_f32 v101, 0x3fb8aa3b, v72 :: v_dual_mul_f32 v94, 0x3fb8aa3b, v94
	v_exp_f32_e32 v102, v77
	v_exp_f32_e32 v99, v99
	s_delay_alu instid0(VALU_DEP_1) | instskip(NEXT) | instid1(VALU_DEP_1)
	v_exp_f32_e32 v101, v101
	v_exp_f32_e32 v94, v94
	s_waitcnt lgkmcnt(1)
	s_delay_alu instid0(TRANS32_DEP_3)
	v_fma_f32 v77, v99, v96, 0
	v_sub_f32_e32 v100, v73, v76
	ds_load_2addr_b32 v[72:73], v98 offset0:204 offset1:221
	v_fmac_f32_e32 v77, v102, v97
	v_exp_f32_e32 v97, v103
	s_waitcnt lgkmcnt(1)
	s_delay_alu instid0(VALU_DEP_1)
	v_dual_fmac_f32 v77, v101, v70 :: v_dual_sub_f32 v96, v75, v76
	ds_load_2addr_b32 v[74:75], v98 offset0:238 offset1:255
	v_sub_f32_e32 v70, v95, v76
	s_waitcnt lgkmcnt(0)
	s_barrier
	v_mul_f32_e32 v96, 0x3fb8aa3b, v96
	buffer_gl0_inv
	v_exp_f32_e32 v95, v96
	v_mul_f32_e32 v100, 0x3fb8aa3b, v100
	s_delay_alu instid0(VALU_DEP_1) | instskip(SKIP_3) | instid1(VALU_DEP_2)
	v_exp_f32_e32 v100, v100
	s_waitcnt_depctr 0xfff
	v_dual_fmac_f32 v77, v100, v71 :: v_dual_mul_f32 v70, 0x3fb8aa3b, v70
	v_cndmask_b32_e32 v71, v99, v102, vcc_lo
	v_fmac_f32_e32 v77, v97, v72
	s_delay_alu instid0(VALU_DEP_3) | instskip(NEXT) | instid1(VALU_DEP_1)
	v_exp_f32_e32 v96, v70
	v_fmac_f32_e32 v77, v95, v73
	s_delay_alu instid0(VALU_DEP_1) | instskip(SKIP_2) | instid1(VALU_DEP_1)
	v_fmac_f32_e32 v77, v94, v74
	s_waitcnt_depctr 0xfff
	v_fmac_f32_e32 v77, v96, v75
	v_add_f32_e32 v74, 0x358637bd, v77
	s_delay_alu instid0(VALU_DEP_1) | instskip(SKIP_1) | instid1(VALU_DEP_2)
	v_div_scale_f32 v98, null, v74, v74, 1.0
	v_div_scale_f32 v99, vcc_lo, 1.0, v74, 1.0
	v_rcp_f32_e32 v103, v98
	s_waitcnt_depctr 0xfff
	v_fma_f32 v70, -v98, v103, 1.0
	s_delay_alu instid0(VALU_DEP_1) | instskip(SKIP_2) | instid1(VALU_DEP_2)
	v_fmac_f32_e32 v103, v70, v103
	v_cndmask_b32_e64 v70, v71, v101, s4
	v_cmp_eq_u32_e64 s4, 6, v69
	v_cndmask_b32_e64 v71, v70, v100, s5
	s_delay_alu instid0(VALU_DEP_4) | instskip(NEXT) | instid1(VALU_DEP_2)
	v_dual_mul_f32 v101, v99, v103 :: v_dual_lshlrev_b32 v70, 2, v66
	v_cndmask_b32_e64 v71, v71, v97, s6
	s_delay_alu instid0(VALU_DEP_2) | instskip(NEXT) | instid1(VALU_DEP_3)
	v_or_b32_e32 v72, 1, v70
	v_fma_f32 v100, -v98, v101, v99
	v_cmp_eq_u32_e64 s5, 1, v70
	v_cmp_eq_u32_e64 s6, 2, v70
	v_cndmask_b32_e64 v95, v71, v95, s7
	v_or_b32_e32 v71, 3, v70
	v_fmac_f32_e32 v101, v100, v103
	v_cmp_eq_u32_e64 s10, 1, v72
	v_cmp_eq_u32_e64 s13, 2, v72
	v_cndmask_b32_e64 v94, v95, v94, s4
	v_cmp_eq_u32_e64 s12, 1, v71
	v_fma_f32 v97, -v98, v101, v99
	v_cmp_eq_u32_e64 s17, 2, v71
	v_cmp_eq_u32_e64 s15, 3, v72
	v_cndmask_b32_e64 v94, v94, v96, s8
	v_cmp_eq_u32_e64 s19, 3, v71
	v_div_fmas_f32 v95, v97, v103, v101
	v_cmp_eq_u32_e32 vcc_lo, 3, v70
	v_cmp_eq_u32_e64 s4, 4, v70
	v_cmp_eq_u32_e64 s20, 4, v72
	;; [unrolled: 1-line block ×3, first 2 shown]
	v_div_fixup_f32 v95, v95, v74, 1.0
	v_lshlrev_b32_e32 v73, 6, v68
	v_cmp_eq_u32_e64 s7, 5, v70
	v_cmp_eq_u32_e64 s21, 5, v72
	;; [unrolled: 1-line block ×3, first 2 shown]
	v_mul_f32_e32 v102, v94, v95
	v_lshl_or_b32 v75, v69, 11, v73
	v_or_b32_e32 v69, 2, v70
	v_cmp_eq_u32_e64 s26, 6, v72
	v_cmp_eq_u32_e64 s28, 6, v71
	v_fma_mixlo_f16 v94, v102, v79, 0
	v_fma_mixlo_f16 v95, v102, v81, 0
	;; [unrolled: 1-line block ×8, first 2 shown]
	v_lshl_or_b32 v74, v66, 4, v75
	v_fma_mixhi_f16 v94, v102, v78, 0
	v_fma_mixhi_f16 v95, v102, v80, 0
	;; [unrolled: 1-line block ×8, first 2 shown]
	ds_store_b128 v74, v[94:97]
	ds_store_b128 v74, v[98:101] offset:1024
	s_waitcnt lgkmcnt(0)
	s_barrier
	buffer_gl0_inv
	ds_load_b128 v[78:81], v75
	ds_load_b128 v[82:85], v75 offset:16
	ds_load_b128 v[86:89], v75 offset:1024
	;; [unrolled: 1-line block ×3, first 2 shown]
	v_cmp_eq_u32_e64 s11, 1, v69
	v_cmp_eq_u32_e64 s16, 2, v69
	;; [unrolled: 1-line block ×11, first 2 shown]
	s_waitcnt lgkmcnt(3)
	v_lshrrev_b32_e32 v94, 16, v78
	s_waitcnt lgkmcnt(2)
	v_lshrrev_b32_e32 v98, 16, v82
	;; [unrolled: 2-line block ×4, first 2 shown]
	v_lshrrev_b32_e32 v95, 16, v79
	v_cndmask_b32_e64 v110, v78, v94, s5
	v_cndmask_b32_e64 v111, v82, v98, s5
	;; [unrolled: 1-line block ×8, first 2 shown]
	v_lshrrev_b32_e32 v99, 16, v83
	v_cndmask_b32_e64 v94, v86, v102, s5
	v_cndmask_b32_e64 v98, v90, v106, s5
	;; [unrolled: 1-line block ×15, first 2 shown]
	v_lshrrev_b32_e32 v103, 16, v87
	v_lshrrev_b32_e32 v107, 16, v91
	v_cndmask_b32_e64 v113, v115, v83, s16
	v_cndmask_b32_e64 v82, v94, v87, s6
	;; [unrolled: 1-line block ×7, first 2 shown]
	v_cndmask_b32_e32 v90, v102, v95, vcc_lo
	v_cndmask_b32_e32 v102, v106, v99, vcc_lo
	v_cndmask_b32_e64 v106, v110, v95, s15
	v_cndmask_b32_e64 v110, v111, v99, s15
	;; [unrolled: 1-line block ×4, first 2 shown]
	v_lshrrev_b32_e32 v96, 16, v80
	v_lshrrev_b32_e32 v100, 16, v84
	v_cndmask_b32_e64 v111, v112, v95, s18
	v_cndmask_b32_e64 v112, v113, v99, s18
	v_cndmask_b32_e32 v82, v82, v103, vcc_lo
	v_cndmask_b32_e32 v83, v83, v107, vcc_lo
	v_cndmask_b32_e64 v94, v94, v103, s15
	v_cndmask_b32_e64 v90, v90, v80, s4
	;; [unrolled: 1-line block ×7, first 2 shown]
	v_lshrrev_b32_e32 v104, 16, v88
	v_cndmask_b32_e64 v106, v111, v80, s22
	v_cndmask_b32_e64 v110, v112, v84, s22
	;; [unrolled: 1-line block ×11, first 2 shown]
	v_lshrrev_b32_e32 v97, 16, v81
	v_lshrrev_b32_e32 v101, 16, v85
	v_cndmask_b32_e64 v99, v106, v96, s24
	v_cndmask_b32_e64 v102, v110, v100, s24
	;; [unrolled: 1-line block ×7, first 2 shown]
	v_lshrrev_b32_e32 v105, 16, v89
	v_cndmask_b32_e64 v80, v80, v104, s7
	v_cndmask_b32_e64 v84, v84, v81, s8
	;; [unrolled: 1-line block ×16, first 2 shown]
	v_perm_b32 v81, v79, v78, 0x5040100
	v_perm_b32 v79, v95, v85, 0x5040100
	v_cndmask_b32_e64 v78, v119, v91, s16
	v_cndmask_b32_e64 v85, v117, v91, s13
	;; [unrolled: 1-line block ×3, first 2 shown]
	v_perm_b32 v80, v94, v90, 0x5040100
	v_cndmask_b32_e64 v90, v98, v103, s18
	v_cndmask_b32_e64 v86, v86, v103, s19
	;; [unrolled: 1-line block ×5, first 2 shown]
	v_lshrrev_b32_e32 v108, 16, v92
	v_cndmask_b32_e64 v90, v90, v88, s22
	v_cndmask_b32_e64 v86, v86, v88, s23
	;; [unrolled: 1-line block ×11, first 2 shown]
	v_lshrrev_b32_e32 v109, 16, v93
	v_cndmask_b32_e64 v82, v82, v93, s8
	v_cndmask_b32_e64 v88, v88, v89, s27
	;; [unrolled: 1-line block ×12, first 2 shown]
	v_perm_b32 v78, v84, v83, 0x5040100
	v_perm_b32 v85, v87, v86, 0x5040100
	;; [unrolled: 1-line block ×5, first 2 shown]
	s_mul_i32 s9, s35, 13
	s_mov_b32 s4, exec_lo
	ds_store_b128 v74, v[78:81]
	ds_store_b128 v74, v[82:85] offset:1024
	v_cmpx_gt_u32_e32 13, v0
	s_cbranch_execz .LBB882_14
; %bb.13:
	s_mul_i32 s5, s9, s34
	s_load_b128 s[16:19], s[0:1], 0x58
	v_add3_u32 v68, s5, s33, v68
	s_delay_alu instid0(VALU_DEP_1) | instskip(NEXT) | instid1(VALU_DEP_1)
	v_mad_u64_u32 v[78:79], null, v68, s36, s[14:15]
	v_ashrrev_i32_e32 v79, 31, v78
	s_delay_alu instid0(VALU_DEP_1) | instskip(SKIP_1) | instid1(VALU_DEP_1)
	v_lshlrev_b64 v[78:79], 2, v[78:79]
	s_waitcnt lgkmcnt(0)
	v_add_co_u32 v80, vcc_lo, s18, v78
	s_delay_alu instid0(VALU_DEP_2)
	v_add_co_ci_u32_e32 v81, vcc_lo, s19, v79, vcc_lo
	v_add_co_u32 v78, vcc_lo, s16, v78
	v_add_co_ci_u32_e32 v79, vcc_lo, s17, v79, vcc_lo
	global_store_b32 v[80:81], v76, off
	global_store_b32 v[78:79], v77, off
.LBB882_14:
	s_or_b32 exec_lo, exec_lo, s4
	s_waitcnt lgkmcnt(0)
	s_waitcnt_vscnt null, 0x0
	s_barrier
	buffer_gl0_inv
	ds_load_b128 v[84:87], v73
	ds_load_b128 v[88:91], v73 offset:16
	ds_load_b128 v[96:99], v73 offset:2064
	;; [unrolled: 1-line block ×5, first 2 shown]
	v_cmp_eq_u32_e32 vcc_lo, 1, v70
	v_mov_b32_e32 v76, 0
	ds_load_b128 v[112:115], v73 offset:6160
	ds_load_b128 v[108:111], v73 offset:6144
	;; [unrolled: 1-line block ×4, first 2 shown]
	v_cmp_eq_u32_e64 s5, 1, v69
	v_cmp_eq_u32_e64 s4, 1, v72
	v_cmp_eq_u32_e64 s6, 2, v72
	v_mov_b32_e32 v77, v76
	v_mov_b32_e32 v78, v76
	v_mov_b32_e32 v79, v76
	v_mov_b32_e32 v80, v76
	v_mov_b32_e32 v81, v76
	v_mov_b32_e32 v82, v76
	v_mov_b32_e32 v83, v76
	v_cmp_eq_u32_e64 s7, 3, v72
	v_cmp_eq_u32_e64 s8, 7, v72
	s_waitcnt lgkmcnt(8)
	s_delay_alu instid0(VALU_DEP_3)
	v_wmma_f32_16x16x16_f16 v[76:83], v[49:56], v[84:91], v[76:83]
	ds_load_b128 v[53:56], v73 offset:10256
	ds_load_b128 v[49:52], v73 offset:10240
	s_waitcnt lgkmcnt(8)
	v_wmma_f32_16x16x16_f16 v[76:83], v[41:48], v[92:99], v[76:83]
	ds_load_b128 v[45:48], v73 offset:12304
	ds_load_b128 v[41:44], v73 offset:12288
	s_waitcnt lgkmcnt(8)
	;; [unrolled: 4-line block ×3, first 2 shown]
	s_barrier
	buffer_gl0_inv
	v_wmma_f32_16x16x16_f16 v[76:83], v[1:8], v[108:115], v[76:83]
	s_delay_alu instid0(VALU_DEP_1) | instskip(NEXT) | instid1(VALU_DEP_1)
	v_wmma_f32_16x16x16_f16 v[76:83], v[9:16], v[116:123], v[76:83]
	v_wmma_f32_16x16x16_f16 v[76:83], v[17:24], v[49:56], v[76:83]
	s_delay_alu instid0(VALU_DEP_1) | instskip(NEXT) | instid1(VALU_DEP_1)
	v_wmma_f32_16x16x16_f16 v[76:83], v[25:32], v[41:48], v[76:83]
	v_wmma_f32_16x16x16_f16 v[76:83], v[57:64], v[33:40], v[76:83]
	s_delay_alu instid0(VALU_DEP_1) | instskip(NEXT) | instid1(VALU_DEP_2)
	v_cvt_f16_f32_e32 v1, v76
	v_cvt_f16_f32_e32 v2, v77
	s_delay_alu instid0(VALU_DEP_3) | instskip(NEXT) | instid1(VALU_DEP_4)
	v_cvt_f16_f32_e32 v3, v78
	v_cvt_f16_f32_e32 v4, v79
	;; [unrolled: 1-line block ×6, first 2 shown]
	v_pack_b32_f16 v1, v1, v2
	v_pack_b32_f16 v2, v3, v4
	;; [unrolled: 1-line block ×3, first 2 shown]
	s_delay_alu instid0(VALU_DEP_4)
	v_pack_b32_f16 v4, v7, v8
	ds_store_b128 v74, v[1:4]
	s_waitcnt lgkmcnt(0)
	s_barrier
	buffer_gl0_inv
	ds_load_b128 v[1:4], v75
	ds_load_b128 v[5:8], v75 offset:16
	s_waitcnt lgkmcnt(1)
	v_lshrrev_b32_e32 v9, 16, v1
	s_waitcnt lgkmcnt(0)
	v_lshrrev_b32_e32 v13, 16, v5
	v_lshrrev_b32_e32 v10, 16, v2
	;; [unrolled: 1-line block ×4, first 2 shown]
	v_cndmask_b32_e32 v17, v1, v9, vcc_lo
	v_cndmask_b32_e32 v18, v5, v13, vcc_lo
	v_cndmask_b32_e64 v21, v1, v9, s5
	v_cmp_eq_u32_e32 vcc_lo, 1, v71
	v_cndmask_b32_e64 v22, v5, v13, s5
	v_cmp_eq_u32_e64 s5, 2, v70
	v_cndmask_b32_e64 v19, v1, v9, s4
	v_cndmask_b32_e64 v20, v5, v13, s4
	v_cndmask_b32_e32 v1, v1, v9, vcc_lo
	v_cmp_eq_u32_e64 s4, 2, v71
	v_cndmask_b32_e32 v5, v5, v13, vcc_lo
	v_cndmask_b32_e64 v9, v17, v2, s5
	v_cmp_eq_u32_e32 vcc_lo, 3, v70
	v_cndmask_b32_e64 v13, v18, v6, s5
	v_cmp_eq_u32_e64 s5, 2, v69
	v_cndmask_b32_e64 v17, v19, v2, s6
	v_cndmask_b32_e64 v18, v20, v6, s6
	v_cmp_eq_u32_e64 s6, 3, v69
	v_cndmask_b32_e64 v1, v1, v2, s4
	v_cndmask_b32_e64 v19, v21, v2, s5
	;; [unrolled: 1-line block ×4, first 2 shown]
	v_cndmask_b32_e32 v5, v9, v10, vcc_lo
	v_cndmask_b32_e32 v6, v13, v14, vcc_lo
	v_cmp_eq_u32_e32 vcc_lo, 3, v71
	v_cndmask_b32_e64 v9, v17, v10, s7
	v_cndmask_b32_e64 v13, v18, v14, s7
	v_cndmask_b32_e64 v18, v20, v14, s6
	v_cmp_eq_u32_e64 s5, 4, v70
	v_cndmask_b32_e32 v1, v1, v10, vcc_lo
	v_cndmask_b32_e32 v2, v2, v14, vcc_lo
	v_cmp_eq_u32_e32 vcc_lo, 4, v72
	v_lshrrev_b32_e32 v15, 16, v7
	v_lshrrev_b32_e32 v16, 16, v8
	v_cndmask_b32_e64 v17, v19, v10, s6
	v_cmp_eq_u32_e64 s4, 4, v71
	v_cndmask_b32_e64 v5, v5, v3, s5
	v_cndmask_b32_e64 v6, v6, v7, s5
	v_cndmask_b32_e32 v9, v9, v3, vcc_lo
	v_cmp_eq_u32_e64 s5, 5, v72
	v_cndmask_b32_e32 v10, v13, v7, vcc_lo
	v_cmp_eq_u32_e32 vcc_lo, 4, v69
	v_cmp_eq_u32_e64 s6, 5, v70
	v_cndmask_b32_e64 v2, v2, v7, s4
	v_cndmask_b32_e64 v9, v9, v11, s5
	;; [unrolled: 1-line block ×3, first 2 shown]
	v_cndmask_b32_e32 v13, v17, v3, vcc_lo
	v_cmp_eq_u32_e64 s5, 5, v69
	v_cndmask_b32_e32 v14, v18, v7, vcc_lo
	v_cndmask_b32_e64 v1, v1, v3, s4
	v_cmp_eq_u32_e32 vcc_lo, 5, v71
	v_lshrrev_b32_e32 v12, 16, v4
	v_cndmask_b32_e64 v13, v13, v11, s5
	v_cndmask_b32_e64 v3, v14, v15, s5
	v_cmp_eq_u32_e64 s5, 6, v71
	v_cndmask_b32_e32 v1, v1, v11, vcc_lo
	v_cndmask_b32_e64 v5, v5, v11, s6
	v_cmp_eq_u32_e64 s7, 6, v70
	v_cndmask_b32_e64 v6, v6, v15, s6
	v_cmp_eq_u32_e64 s6, 6, v72
	v_cmp_eq_u32_e64 s4, 6, v69
	v_cndmask_b32_e64 v1, v1, v4, s5
	v_cndmask_b32_e32 v2, v2, v15, vcc_lo
	v_cmp_eq_u32_e32 vcc_lo, 7, v71
	v_cndmask_b32_e64 v5, v5, v4, s7
	v_cndmask_b32_e64 v9, v9, v4, s6
	;; [unrolled: 1-line block ×3, first 2 shown]
	v_cmp_eq_u32_e64 s7, 7, v70
	v_cndmask_b32_e32 v1, v1, v12, vcc_lo
	v_cndmask_b32_e64 v7, v13, v4, s4
	v_cndmask_b32_e64 v3, v3, v8, s4
	;; [unrolled: 1-line block ×3, first 2 shown]
	v_cmp_eq_u32_e64 s4, 7, v69
	v_cndmask_b32_e64 v4, v10, v8, s6
	v_cndmask_b32_e64 v5, v5, v12, s7
	;; [unrolled: 1-line block ×3, first 2 shown]
	v_cndmask_b32_e32 v2, v2, v16, vcc_lo
	v_cndmask_b32_e64 v7, v7, v12, s4
	v_cndmask_b32_e64 v3, v3, v16, s4
	;; [unrolled: 1-line block ×4, first 2 shown]
	v_cmp_gt_u32_e32 vcc_lo, 32, v0
	v_perm_b32 v4, v2, v1, 0x5040100
	v_perm_b32 v3, v3, v7, 0x5040100
	v_perm_b32 v2, v8, v9, 0x5040100
	v_perm_b32 v1, v6, v5, 0x5040100
	s_and_b32 s2, vcc_lo, s2
	ds_store_b128 v74, v[1:4]
	s_waitcnt lgkmcnt(0)
	s_barrier
	buffer_gl0_inv
	s_and_saveexec_b32 s4, s2
	s_cbranch_execz .LBB882_2
; %bb.15:
	s_load_b64 s[4:5], s[0:1], 0x68
	v_lshlrev_b32_e32 v0, 10, v0
	v_lshlrev_b32_e32 v1, 4, v67
	s_lshl_b32 s0, s36, 6
	v_add_nc_u32_e32 v18, s33, v66
	s_mul_i32 s1, s0, s34
	s_delay_alu instid0(VALU_DEP_2) | instskip(SKIP_1) | instid1(VALU_DEP_2)
	v_and_or_b32 v0, 0x3800, v0, v1
	s_mul_i32 s6, s1, s9
	v_mul_lo_u32 v1, v18, s0
	s_ashr_i32 s7, s6, 31
	v_add_nc_u32_e32 v2, 2, v18
	v_lshl_or_b32 v19, v66, 6, v0
	s_lshl_b64 s[6:7], s[6:7], 1
	v_add_nc_u32_e32 v8, 4, v18
	v_add_nc_u32_e32 v15, 6, v18
	v_mul_lo_u32 v7, v2, s0
	ds_load_b128 v[3:6], v19
	v_ashrrev_i32_e32 v2, 31, v1
	v_mul_lo_u32 v11, v8, s0
	s_waitcnt lgkmcnt(0)
	s_add_u32 s1, s4, s6
	s_addc_u32 s2, s5, s7
	s_lshl_b32 s4, s14, 6
	v_lshlrev_b64 v[9:10], 1, v[1:2]
	s_ashr_i32 s5, s4, 31
	v_ashrrev_i32_e32 v8, 31, v7
	s_lshl_b64 s[4:5], s[4:5], 1
	v_ashrrev_i32_e32 v12, 31, v11
	s_add_u32 s1, s1, s4
	s_addc_u32 s2, s2, s5
	v_add_co_u32 v1, s1, s1, v65
	s_delay_alu instid0(VALU_DEP_1) | instskip(SKIP_1) | instid1(VALU_DEP_3)
	v_add_co_ci_u32_e64 v2, null, s2, 0, s1
	v_mul_lo_u32 v15, v15, s0
	v_add_co_u32 v13, vcc_lo, v1, v9
	s_delay_alu instid0(VALU_DEP_3)
	v_add_co_ci_u32_e32 v14, vcc_lo, v2, v10, vcc_lo
	v_lshlrev_b64 v[16:17], 1, v[7:8]
	ds_load_b128 v[7:10], v19 offset:128
	global_store_b128 v[13:14], v[3:6], off
	v_add_nc_u32_e32 v5, 8, v18
	v_lshlrev_b64 v[3:4], 1, v[11:12]
	v_add_co_u32 v23, vcc_lo, v1, v16
	v_ashrrev_i32_e32 v16, 31, v15
	s_delay_alu instid0(VALU_DEP_4) | instskip(SKIP_3) | instid1(VALU_DEP_3)
	v_mul_lo_u32 v25, v5, s0
	v_add_nc_u32_e32 v5, 10, v18
	v_add_co_ci_u32_e32 v24, vcc_lo, v2, v17, vcc_lo
	v_add_co_u32 v27, vcc_lo, v1, v3
	v_mul_lo_u32 v29, v5, s0
	v_add_co_ci_u32_e32 v28, vcc_lo, v2, v4, vcc_lo
	v_lshlrev_b64 v[31:32], 1, v[15:16]
	ds_load_b128 v[3:6], v19 offset:256
	ds_load_b128 v[11:14], v19 offset:384
	;; [unrolled: 1-line block ×4, first 2 shown]
	v_ashrrev_i32_e32 v26, 31, v25
	v_ashrrev_i32_e32 v30, 31, v29
	v_add_co_u32 v31, vcc_lo, v1, v31
	s_delay_alu instid0(VALU_DEP_3) | instskip(SKIP_1) | instid1(VALU_DEP_4)
	v_lshlrev_b64 v[25:26], 1, v[25:26]
	v_add_co_ci_u32_e32 v32, vcc_lo, v2, v32, vcc_lo
	v_lshlrev_b64 v[29:30], 1, v[29:30]
	s_delay_alu instid0(VALU_DEP_3) | instskip(NEXT) | instid1(VALU_DEP_4)
	v_add_co_u32 v25, vcc_lo, v1, v25
	v_add_co_ci_u32_e32 v26, vcc_lo, v2, v26, vcc_lo
	s_delay_alu instid0(VALU_DEP_3) | instskip(NEXT) | instid1(VALU_DEP_4)
	v_add_co_u32 v29, vcc_lo, v1, v29
	v_add_co_ci_u32_e32 v30, vcc_lo, v2, v30, vcc_lo
	s_waitcnt lgkmcnt(4)
	global_store_b128 v[23:24], v[7:10], off
	s_waitcnt lgkmcnt(3)
	global_store_b128 v[27:28], v[3:6], off
	;; [unrolled: 2-line block ×5, first 2 shown]
	s_and_b32 exec_lo, exec_lo, s3
	s_cbranch_execz .LBB882_2
; %bb.16:
	ds_load_b128 v[3:6], v0 offset:768
	s_add_i32 s1, s33, 12
	s_delay_alu instid0(SALU_CYCLE_1) | instskip(NEXT) | instid1(SALU_CYCLE_1)
	s_mul_i32 s0, s1, s0
	s_ashr_i32 s1, s0, 31
	s_delay_alu instid0(SALU_CYCLE_1) | instskip(NEXT) | instid1(SALU_CYCLE_1)
	s_lshl_b64 s[0:1], s[0:1], 1
	v_add_co_u32 v0, vcc_lo, v1, s0
	v_add_co_ci_u32_e32 v1, vcc_lo, s1, v2, vcc_lo
	s_waitcnt lgkmcnt(0)
	global_store_b128 v[0:1], v[3:6], off
	s_nop 0
	s_sendmsg sendmsg(MSG_DEALLOC_VGPRS)
	s_endpgm
	.section	.rodata,"a",@progbits
	.p2align	6, 0x0
	.amdhsa_kernel _Z39paged_attention_ll4mi_QKV_mfma16_kernelIDF16_hLN4vllm18Fp8KVCacheDataTypeE1EhLi32ELi64ELi256ELb0ELi13EL8MFMAType1EEvPKT_PKT0_S8_ifPKiSA_SA_iPKfiiiPfSD_PS3_PT2_iSC_SC_
		.amdhsa_group_segment_fixed_size 17472
		.amdhsa_private_segment_fixed_size 0
		.amdhsa_kernarg_size 400
		.amdhsa_user_sgpr_count 13
		.amdhsa_user_sgpr_dispatch_ptr 0
		.amdhsa_user_sgpr_queue_ptr 0
		.amdhsa_user_sgpr_kernarg_segment_ptr 1
		.amdhsa_user_sgpr_dispatch_id 0
		.amdhsa_user_sgpr_private_segment_size 0
		.amdhsa_wavefront_size32 1
		.amdhsa_uses_dynamic_stack 0
		.amdhsa_enable_private_segment 0
		.amdhsa_system_sgpr_workgroup_id_x 1
		.amdhsa_system_sgpr_workgroup_id_y 1
		.amdhsa_system_sgpr_workgroup_id_z 1
		.amdhsa_system_sgpr_workgroup_info 0
		.amdhsa_system_vgpr_workitem_id 0
		.amdhsa_next_free_vgpr 146
		.amdhsa_next_free_sgpr 37
		.amdhsa_reserve_vcc 1
		.amdhsa_float_round_mode_32 0
		.amdhsa_float_round_mode_16_64 0
		.amdhsa_float_denorm_mode_32 3
		.amdhsa_float_denorm_mode_16_64 3
		.amdhsa_dx10_clamp 1
		.amdhsa_ieee_mode 1
		.amdhsa_fp16_overflow 0
		.amdhsa_workgroup_processor_mode 1
		.amdhsa_memory_ordered 1
		.amdhsa_forward_progress 0
		.amdhsa_shared_vgpr_count 0
		.amdhsa_exception_fp_ieee_invalid_op 0
		.amdhsa_exception_fp_denorm_src 0
		.amdhsa_exception_fp_ieee_div_zero 0
		.amdhsa_exception_fp_ieee_overflow 0
		.amdhsa_exception_fp_ieee_underflow 0
		.amdhsa_exception_fp_ieee_inexact 0
		.amdhsa_exception_int_div_zero 0
	.end_amdhsa_kernel
	.section	.text._Z39paged_attention_ll4mi_QKV_mfma16_kernelIDF16_hLN4vllm18Fp8KVCacheDataTypeE1EhLi32ELi64ELi256ELb0ELi13EL8MFMAType1EEvPKT_PKT0_S8_ifPKiSA_SA_iPKfiiiPfSD_PS3_PT2_iSC_SC_,"axG",@progbits,_Z39paged_attention_ll4mi_QKV_mfma16_kernelIDF16_hLN4vllm18Fp8KVCacheDataTypeE1EhLi32ELi64ELi256ELb0ELi13EL8MFMAType1EEvPKT_PKT0_S8_ifPKiSA_SA_iPKfiiiPfSD_PS3_PT2_iSC_SC_,comdat
.Lfunc_end882:
	.size	_Z39paged_attention_ll4mi_QKV_mfma16_kernelIDF16_hLN4vllm18Fp8KVCacheDataTypeE1EhLi32ELi64ELi256ELb0ELi13EL8MFMAType1EEvPKT_PKT0_S8_ifPKiSA_SA_iPKfiiiPfSD_PS3_PT2_iSC_SC_, .Lfunc_end882-_Z39paged_attention_ll4mi_QKV_mfma16_kernelIDF16_hLN4vllm18Fp8KVCacheDataTypeE1EhLi32ELi64ELi256ELb0ELi13EL8MFMAType1EEvPKT_PKT0_S8_ifPKiSA_SA_iPKfiiiPfSD_PS3_PT2_iSC_SC_
                                        ; -- End function
	.section	.AMDGPU.csdata,"",@progbits
; Kernel info:
; codeLenInByte = 6700
; NumSgprs: 39
; NumVgprs: 146
; ScratchSize: 0
; MemoryBound: 0
; FloatMode: 240
; IeeeMode: 1
; LDSByteSize: 17472 bytes/workgroup (compile time only)
; SGPRBlocks: 4
; VGPRBlocks: 18
; NumSGPRsForWavesPerEU: 39
; NumVGPRsForWavesPerEU: 146
; Occupancy: 9
; WaveLimiterHint : 1
; COMPUTE_PGM_RSRC2:SCRATCH_EN: 0
; COMPUTE_PGM_RSRC2:USER_SGPR: 13
; COMPUTE_PGM_RSRC2:TRAP_HANDLER: 0
; COMPUTE_PGM_RSRC2:TGID_X_EN: 1
; COMPUTE_PGM_RSRC2:TGID_Y_EN: 1
; COMPUTE_PGM_RSRC2:TGID_Z_EN: 1
; COMPUTE_PGM_RSRC2:TIDIG_COMP_CNT: 0
	.section	.text._Z39paged_attention_ll4mi_QKV_mfma16_kernelIDF16_hLN4vllm18Fp8KVCacheDataTypeE1EhLi32ELi64ELi256ELb0ELi14EL8MFMAType1EEvPKT_PKT0_S8_ifPKiSA_SA_iPKfiiiPfSD_PS3_PT2_iSC_SC_,"axG",@progbits,_Z39paged_attention_ll4mi_QKV_mfma16_kernelIDF16_hLN4vllm18Fp8KVCacheDataTypeE1EhLi32ELi64ELi256ELb0ELi14EL8MFMAType1EEvPKT_PKT0_S8_ifPKiSA_SA_iPKfiiiPfSD_PS3_PT2_iSC_SC_,comdat
	.protected	_Z39paged_attention_ll4mi_QKV_mfma16_kernelIDF16_hLN4vllm18Fp8KVCacheDataTypeE1EhLi32ELi64ELi256ELb0ELi14EL8MFMAType1EEvPKT_PKT0_S8_ifPKiSA_SA_iPKfiiiPfSD_PS3_PT2_iSC_SC_ ; -- Begin function _Z39paged_attention_ll4mi_QKV_mfma16_kernelIDF16_hLN4vllm18Fp8KVCacheDataTypeE1EhLi32ELi64ELi256ELb0ELi14EL8MFMAType1EEvPKT_PKT0_S8_ifPKiSA_SA_iPKfiiiPfSD_PS3_PT2_iSC_SC_
	.globl	_Z39paged_attention_ll4mi_QKV_mfma16_kernelIDF16_hLN4vllm18Fp8KVCacheDataTypeE1EhLi32ELi64ELi256ELb0ELi14EL8MFMAType1EEvPKT_PKT0_S8_ifPKiSA_SA_iPKfiiiPfSD_PS3_PT2_iSC_SC_
	.p2align	8
	.type	_Z39paged_attention_ll4mi_QKV_mfma16_kernelIDF16_hLN4vllm18Fp8KVCacheDataTypeE1EhLi32ELi64ELi256ELb0ELi14EL8MFMAType1EEvPKT_PKT0_S8_ifPKiSA_SA_iPKfiiiPfSD_PS3_PT2_iSC_SC_,@function
_Z39paged_attention_ll4mi_QKV_mfma16_kernelIDF16_hLN4vllm18Fp8KVCacheDataTypeE1EhLi32ELi64ELi256ELb0ELi14EL8MFMAType1EEvPKT_PKT0_S8_ifPKiSA_SA_iPKfiiiPfSD_PS3_PT2_iSC_SC_: ; @_Z39paged_attention_ll4mi_QKV_mfma16_kernelIDF16_hLN4vllm18Fp8KVCacheDataTypeE1EhLi32ELi64ELi256ELb0ELi14EL8MFMAType1EEvPKT_PKT0_S8_ifPKiSA_SA_iPKfiiiPfSD_PS3_PT2_iSC_SC_
; %bb.0:
	s_load_b64 s[2:3], s[0:1], 0x30
	s_mov_b32 s34, s13
	s_waitcnt lgkmcnt(0)
	s_cmp_lg_u64 s[2:3], 0
	s_cselect_b32 s6, -1, 0
	s_ashr_i32 s35, s13, 31
	s_cmp_eq_u64 s[2:3], 0
	s_cbranch_scc1 .LBB883_3
; %bb.1:
	s_lshl_b64 s[4:5], s[34:35], 2
	s_delay_alu instid0(SALU_CYCLE_1) | instskip(SKIP_4) | instid1(SALU_CYCLE_1)
	s_add_u32 s4, s2, s4
	s_addc_u32 s5, s3, s5
	s_load_b64 s[4:5], s[4:5], 0x0
	s_waitcnt lgkmcnt(0)
	s_sub_i32 s4, s5, s4
	s_cmp_eq_u32 s4, 1
	s_cselect_b32 s4, -1, 0
	s_delay_alu instid0(SALU_CYCLE_1)
	s_and_not1_b32 vcc_lo, exec_lo, s4
	s_cbranch_vccz .LBB883_4
.LBB883_2:
	s_endpgm
.LBB883_3:
.LBB883_4:
	s_load_b64 s[8:9], s[0:1], 0x28
	s_lshl_b64 s[4:5], s[34:35], 2
	s_waitcnt lgkmcnt(0)
	s_add_u32 s8, s8, s4
	s_addc_u32 s9, s9, s5
	s_lshl_b32 s16, s14, 8
	s_load_b32 s18, s[8:9], 0x0
	s_waitcnt lgkmcnt(0)
	s_cmp_ge_i32 s16, s18
	s_cbranch_scc1 .LBB883_2
; %bb.5:
	s_clause 0x1
	s_load_b128 s[8:11], s[0:1], 0x8
	s_load_b64 s[12:13], s[0:1], 0x20
	s_and_not1_b32 vcc_lo, exec_lo, s6
	s_cbranch_vccnz .LBB883_7
; %bb.6:
	s_add_u32 s2, s2, s4
	s_addc_u32 s3, s3, s5
	s_load_b32 s3, s[2:3], 0x0
	s_branch .LBB883_8
.LBB883_7:
	s_mov_b32 s3, s34
.LBB883_8:
	s_load_b128 s[4:7], s[0:1], 0x48
	v_and_b32_e32 v68, 15, v0
	v_cmp_gt_u32_e32 vcc_lo, 0xe0, v0
	v_lshrrev_b32_e32 v69, 5, v0
	v_and_b32_e32 v70, 31, v0
	v_and_b32_e32 v67, 1, v0
	v_lshlrev_b32_e32 v1, 3, v68
	v_cmp_gt_u32_e64 s2, 8, v68
	v_bfe_u32 v66, v0, 4, 1
	s_mul_i32 s31, s15, 14
	s_delay_alu instid0(VALU_DEP_3) | instskip(NEXT) | instid1(VALU_DEP_3)
	v_lshlrev_b32_e32 v65, 1, v1
	s_and_b32 s17, vcc_lo, s2
	s_waitcnt lgkmcnt(0)
	s_and_saveexec_b32 s7, s17
	s_cbranch_execz .LBB883_10
; %bb.9:
	s_load_b64 s[20:21], s[0:1], 0x0
	v_lshl_or_b32 v5, v69, 1, v66
	s_mul_hi_i32 s23, s3, s4
	s_mul_i32 s22, s3, s4
	v_lshlrev_b32_e32 v6, 10, v68
	s_lshl_b64 s[22:23], s[22:23], 1
	v_add_lshl_u32 v1, v5, s31, 6
	v_lshlrev_b32_e32 v5, 6, v5
	v_lshlrev_b32_e32 v7, 10, v67
	v_and_b32_e32 v6, 0x3800, v6
	s_delay_alu instid0(VALU_DEP_4) | instskip(NEXT) | instid1(VALU_DEP_2)
	v_ashrrev_i32_e32 v2, 31, v1
	v_or3_b32 v5, v6, v7, v5
	s_delay_alu instid0(VALU_DEP_2) | instskip(SKIP_3) | instid1(VALU_DEP_1)
	v_lshlrev_b64 v[1:2], 1, v[1:2]
	s_waitcnt lgkmcnt(0)
	s_add_u32 s3, s20, s22
	s_addc_u32 s4, s21, s23
	v_add_co_u32 v1, vcc_lo, s3, v1
	s_delay_alu instid0(VALU_DEP_2) | instskip(NEXT) | instid1(VALU_DEP_2)
	v_add_co_ci_u32_e32 v2, vcc_lo, s4, v2, vcc_lo
	v_add_co_u32 v1, vcc_lo, v1, v65
	s_delay_alu instid0(VALU_DEP_2)
	v_add_co_ci_u32_e32 v2, vcc_lo, 0, v2, vcc_lo
	global_load_b128 v[1:4], v[1:2], off
	s_waitcnt vmcnt(0)
	ds_store_b128 v5, v[1:4]
.LBB883_10:
	s_or_b32 exec_lo, exec_lo, s7
	v_and_b32_e32 v1, 0xef, v0
	s_add_i32 s3, s18, 31
	s_clause 0x1
	s_load_b32 s4, s[0:1], 0x38
	s_load_b32 s33, s[0:1], 0x98
	s_ashr_i32 s7, s3, 31
	v_add_nc_u32_e32 v1, s16, v1
	s_lshr_b32 s7, s7, 27
	s_load_b32 s19, s[0:1], 0x1c
	v_add_nc_u32_e32 v103, -14, v68
	s_add_i32 s3, s3, s7
	v_ashrrev_i32_e32 v2, 31, v1
	v_or_b32_e32 v3, 16, v1
	s_ashr_i32 s3, s3, 5
	v_cmp_gt_i32_e32 vcc_lo, s18, v1
	s_add_i32 s3, s3, -1
	v_lshrrev_b32_e32 v2, 27, v2
	s_waitcnt lgkmcnt(0)
	s_barrier
	buffer_gl0_inv
	s_mul_i32 s15, s15, s6
	v_add_nc_u32_e32 v4, v1, v2
	v_mbcnt_lo_u32_b32 v127, -1, 0
	s_mul_i32 s20, s34, s4
	s_delay_alu instid0(SALU_CYCLE_1) | instskip(NEXT) | instid1(VALU_DEP_2)
	s_ashr_i32 s21, s20, 31
	v_ashrrev_i32_e32 v4, 5, v4
	v_add_nc_u32_e32 v2, v3, v2
	s_lshl_b64 s[20:21], s[20:21], 2
	v_xor_b32_e32 v128, 16, v127
	s_add_u32 s17, s12, s20
	v_cndmask_b32_e32 v1, s3, v4, vcc_lo
	v_ashrrev_i32_e32 v2, 5, v2
	v_cmp_gt_i32_e32 vcc_lo, s18, v3
	s_addc_u32 s13, s13, s21
	s_ashr_i32 s20, s15, 31
	s_add_u32 s22, s8, s15
	s_addc_u32 s23, s9, s20
	v_cndmask_b32_e32 v3, s3, v2, vcc_lo
	v_ashrrev_i32_e32 v2, 31, v1
	s_lshl_b32 s6, s14, 3
	s_delay_alu instid0(SALU_CYCLE_1) | instskip(NEXT) | instid1(VALU_DEP_2)
	s_ashr_i32 s7, s6, 31
	v_ashrrev_i32_e32 v4, 31, v3
	s_delay_alu instid0(VALU_DEP_2) | instskip(SKIP_1) | instid1(SALU_CYCLE_1)
	v_lshlrev_b64 v[1:2], 2, v[1:2]
	s_lshl_b64 s[6:7], s[6:7], 2
	s_add_u32 s6, s17, s6
	s_delay_alu instid0(VALU_DEP_2) | instskip(SKIP_1) | instid1(VALU_DEP_2)
	v_lshlrev_b64 v[3:4], 2, v[3:4]
	s_addc_u32 s7, s13, s7
	v_add_co_u32 v1, vcc_lo, s17, v1
	v_add_co_ci_u32_e32 v2, vcc_lo, s13, v2, vcc_lo
	s_delay_alu instid0(VALU_DEP_3) | instskip(NEXT) | instid1(VALU_DEP_4)
	v_add_co_u32 v3, vcc_lo, s17, v3
	v_add_co_ci_u32_e32 v4, vcc_lo, s13, v4, vcc_lo
	s_clause 0x1
	global_load_b32 v5, v[1:2], off
	global_load_b32 v6, v[3:4], off
	s_or_b32 s4, s16, 32
	s_delay_alu instid0(SALU_CYCLE_1) | instskip(SKIP_2) | instid1(SALU_CYCLE_1)
	s_ashr_i32 s8, s4, 5
	s_cmp_lt_i32 s4, s18
	s_cselect_b32 s8, s8, s3
	s_ashr_i32 s9, s8, 31
	s_delay_alu instid0(SALU_CYCLE_1) | instskip(NEXT) | instid1(SALU_CYCLE_1)
	s_lshl_b64 s[8:9], s[8:9], 2
	s_add_u32 s8, s17, s8
	s_addc_u32 s9, s13, s9
	s_or_b32 s4, s16, 64
	s_delay_alu instid0(SALU_CYCLE_1) | instskip(SKIP_2) | instid1(SALU_CYCLE_1)
	s_ashr_i32 s12, s4, 5
	s_cmp_lt_i32 s4, s18
	s_cselect_b32 s24, s12, s3
	s_ashr_i32 s25, s24, 31
	s_delay_alu instid0(SALU_CYCLE_1) | instskip(NEXT) | instid1(SALU_CYCLE_1)
	s_lshl_b64 s[24:25], s[24:25], 2
	s_add_u32 s24, s17, s24
	s_addc_u32 s25, s13, s25
	;; [unrolled: 10-line block ×5, first 2 shown]
	s_clause 0x5
	s_load_b32 s12, s[6:7], 0x0
	s_load_b32 s4, s[8:9], 0x0
	;; [unrolled: 1-line block ×6, first 2 shown]
	s_or_b32 s21, s16, 0xc0
	s_waitcnt vmcnt(1)
	v_mad_i64_i32 v[1:2], null, v5, s5, s[22:23]
	v_lshlrev_b32_e32 v5, 4, v68
	s_waitcnt vmcnt(0)
	v_mad_i64_i32 v[3:4], null, v6, s5, s[22:23]
	s_ashr_i32 s22, s21, 5
	s_cmp_lt_i32 s21, s18
	s_delay_alu instid0(VALU_DEP_3) | instskip(NEXT) | instid1(VALU_DEP_4)
	v_add_co_u32 v1, vcc_lo, v1, v5
	v_add_co_ci_u32_e32 v2, vcc_lo, 0, v2, vcc_lo
	s_delay_alu instid0(VALU_DEP_3) | instskip(NEXT) | instid1(VALU_DEP_4)
	v_add_co_u32 v3, vcc_lo, v3, v5
	v_add_co_ci_u32_e32 v4, vcc_lo, 0, v4, vcc_lo
	s_clause 0x7
	global_load_b128 v[71:74], v[1:2], off
	global_load_b128 v[75:78], v[1:2], off offset:512
	global_load_b128 v[79:82], v[3:4], off offset:256
	;; [unrolled: 1-line block ×7, first 2 shown]
	s_cselect_b32 s22, s22, s3
	v_lshlrev_b32_e32 v1, 5, v68
	s_ashr_i32 s23, s22, 31
	v_cmp_gt_u32_e32 vcc_lo, 14, v68
	s_lshl_b64 s[22:23], s[22:23], 2
	s_delay_alu instid0(SALU_CYCLE_1)
	s_add_u32 s22, s17, s22
	s_addc_u32 s23, s13, s23
	s_or_b32 s21, s16, 0xe0
	v_lshl_or_b32 v1, v69, 9, v1
	s_ashr_i32 s24, s21, 5
	s_cmp_lt_i32 s21, s18
	v_cndmask_b32_e32 v103, v103, v68, vcc_lo
	s_cselect_b32 s24, s24, s3
	s_load_b32 s3, s[22:23], 0x0
	s_ashr_i32 s25, s24, 31
	v_cmp_gt_i32_e32 vcc_lo, 32, v128
	s_lshl_b64 s[24:25], s[24:25], 2
	v_lshlrev_b32_e32 v115, 6, v103
	s_add_u32 s22, s17, s24
	s_addc_u32 s23, s13, s25
	v_cndmask_b32_e32 v136, v127, v128, vcc_lo
	s_add_u32 s10, s10, s15
	s_addc_u32 s11, s11, s20
	v_add_co_u32 v1, s10, s10, v1
	s_delay_alu instid0(VALU_DEP_1) | instskip(SKIP_2) | instid1(VALU_DEP_1)
	v_add_co_ci_u32_e64 v2, null, s11, 0, s10
	s_load_b32 s10, s[22:23], 0x0
	s_waitcnt lgkmcnt(0)
	v_mad_i64_i32 v[3:4], null, s12, s5, v[1:2]
	v_mad_i64_i32 v[9:10], null, s7, s5, v[1:2]
	;; [unrolled: 1-line block ×7, first 2 shown]
	s_clause 0x5
	global_load_b128 v[49:52], v[3:4], off
	global_load_b128 v[53:56], v[3:4], off offset:16
	global_load_b128 v[41:44], v[5:6], off
	global_load_b128 v[45:48], v[5:6], off offset:16
	;; [unrolled: 2-line block ×3, first 2 shown]
	s_mov_b32 s4, 0
	v_mad_i64_i32 v[61:62], null, s10, s5, v[1:2]
	s_clause 0x9
	global_load_b128 v[1:4], v[9:10], off
	global_load_b128 v[5:8], v[9:10], off offset:16
	global_load_b128 v[9:12], v[13:14], off
	global_load_b128 v[13:16], v[13:14], off offset:16
	;; [unrolled: 2-line block ×5, first 2 shown]
	s_mov_b32 s5, s4
	s_mov_b32 s6, s4
	;; [unrolled: 1-line block ×7, first 2 shown]
	v_and_b32_e32 v104, 0xe0, v0
	v_dual_mov_b32 v126, s11 :: v_dual_mov_b32 v125, s10
	v_dual_mov_b32 v124, s9 :: v_dual_mov_b32 v123, s8
	s_delay_alu instid0(VALU_DEP_3)
	v_add_nc_u32_e32 v111, s16, v104
	ds_load_b128 v[103:106], v115
	ds_load_b128 v[107:110], v115 offset:1024
	v_dual_mov_b32 v122, s7 :: v_dual_mov_b32 v121, s6
	v_mov_b32_e32 v120, s5
	v_or_b32_e32 v135, v111, v66
	ds_load_b128 v[111:114], v115 offset:2048
	ds_load_b128 v[115:118], v115 offset:3072
	v_mov_b32_e32 v119, s4
	s_waitcnt vmcnt(0) lgkmcnt(0)
	s_barrier
	v_or_b32_e32 v137, 2, v135
	v_or_b32_e32 v138, 4, v135
	;; [unrolled: 1-line block ×3, first 2 shown]
	v_cmp_gt_i32_e32 vcc_lo, s18, v135
	v_or_b32_e32 v140, 8, v135
	v_cmp_gt_i32_e64 s3, s18, v137
	v_or_b32_e32 v141, 10, v135
	v_cmp_gt_i32_e64 s4, s18, v138
	v_cmp_gt_i32_e64 s5, s18, v139
	v_or_b32_e32 v142, 12, v135
	v_or_b32_e32 v143, 14, v135
	v_cmp_gt_i32_e64 s6, s18, v140
	v_cmp_gt_i32_e64 s7, s18, v141
	v_or_b32_e32 v144, 16, v135
	v_or_b32_e32 v145, 18, v135
	v_cmp_gt_i32_e64 s8, s18, v142
	v_cmp_gt_i32_e64 s9, s18, v143
	buffer_gl0_inv
	v_cmp_gt_i32_e64 s10, s18, v144
	v_cmp_gt_i32_e64 s11, s18, v145
	v_wmma_f32_16x16x16_f16 v[127:134], v[71:78], v[103:110], v[119:126]
	v_wmma_f32_16x16x16_f16 v[119:126], v[79:86], v[103:110], v[119:126]
	v_or_b32_e32 v71, 20, v135
	v_or_b32_e32 v72, 22, v135
	s_delay_alu instid0(VALU_DEP_4)
	v_wmma_f32_16x16x16_f16 v[127:134], v[87:94], v[111:118], v[127:134]
	v_or_b32_e32 v73, 24, v135
	v_wmma_f32_16x16x16_f16 v[119:126], v[95:102], v[111:118], v[119:126]
	v_or_b32_e32 v74, 26, v135
	v_cmp_gt_i32_e64 s12, s18, v71
	v_dual_mul_f32 v83, s19, v128 :: v_dual_mul_f32 v84, s19, v127
	s_delay_alu instid0(VALU_DEP_4) | instskip(SKIP_1) | instid1(VALU_DEP_3)
	v_dual_mul_f32 v81, s19, v130 :: v_dual_mul_f32 v92, s19, v119
	v_mul_f32_e32 v82, s19, v129
	v_cndmask_b32_e64 v83, 0xff7fffff, v83, s3
	s_delay_alu instid0(VALU_DEP_4)
	v_cndmask_b32_e32 v84, 0xff7fffff, v84, vcc_lo
	v_dual_mul_f32 v79, s19, v132 :: v_dual_mul_f32 v90, s19, v121
	v_mul_f32_e32 v80, s19, v131
	v_cndmask_b32_e64 v82, 0xff7fffff, v82, s4
	v_cndmask_b32_e64 v81, 0xff7fffff, v81, s5
	v_max3_f32 v83, v84, 0xff7fffff, v83
	v_dual_mul_f32 v77, s19, v134 :: v_dual_mul_f32 v88, s19, v123
	v_mul_f32_e32 v78, s19, v133
	v_cndmask_b32_e64 v80, 0xff7fffff, v80, s6
	v_cndmask_b32_e64 v79, 0xff7fffff, v79, s7
	v_max3_f32 v81, v83, v82, v81
	v_mul_f32_e32 v91, s19, v120
	v_cndmask_b32_e64 v78, 0xff7fffff, v78, s8
	v_cndmask_b32_e64 v77, 0xff7fffff, v77, s9
	v_mul_f32_e32 v89, s19, v122
	v_max3_f32 v79, v81, v80, v79
	v_cndmask_b32_e64 v80, 0xff7fffff, v92, s10
	v_cndmask_b32_e64 v81, 0xff7fffff, v91, s11
	v_cmp_gt_i32_e64 s13, s18, v72
	v_or_b32_e32 v75, 28, v135
	v_max3_f32 v77, v79, v78, v77
	v_or_b32_e32 v76, 30, v135
	v_mul_f32_e32 v87, s19, v124
	v_cndmask_b32_e64 v71, 0xff7fffff, v90, s12
	v_cndmask_b32_e64 v72, 0xff7fffff, v89, s13
	v_max3_f32 v77, v77, v80, v81
	v_cmp_gt_i32_e64 s15, s18, v73
	v_cmp_gt_i32_e64 s16, s18, v74
	v_dual_mul_f32 v85, s19, v126 :: v_dual_mul_f32 v86, s19, v125
	s_delay_alu instid0(VALU_DEP_4) | instskip(NEXT) | instid1(VALU_DEP_4)
	v_max3_f32 v71, v77, v71, v72
	v_cndmask_b32_e64 v73, 0xff7fffff, v88, s15
	s_delay_alu instid0(VALU_DEP_4) | instskip(SKIP_2) | instid1(VALU_DEP_3)
	v_cndmask_b32_e64 v74, 0xff7fffff, v87, s16
	v_cmp_gt_i32_e64 s17, s18, v75
	v_cmp_gt_i32_e64 s18, s18, v76
	v_max3_f32 v71, v71, v73, v74
	s_delay_alu instid0(VALU_DEP_3) | instskip(NEXT) | instid1(VALU_DEP_3)
	v_cndmask_b32_e64 v72, 0xff7fffff, v86, s17
	v_cndmask_b32_e64 v75, 0xff7fffff, v85, s18
	v_lshlrev_b32_e32 v73, 2, v136
	s_delay_alu instid0(VALU_DEP_2) | instskip(SKIP_3) | instid1(VALU_DEP_1)
	v_max3_f32 v71, v71, v72, v75
	ds_bpermute_b32 v72, v73, v71
	s_waitcnt lgkmcnt(0)
	v_max_f32_e32 v72, v72, v72
	v_max_f32_e32 v71, v71, v72
	s_delay_alu instid0(VALU_DEP_1)
	v_fma_f32 v72, s19, v127, -v71
	v_fma_f32 v74, s19, v128, -v71
	;; [unrolled: 1-line block ×5, first 2 shown]
	v_mul_f32_e32 v72, 0x3fb8aa3b, v72
	v_mul_f32_e32 v74, 0x3fb8aa3b, v74
	v_fma_f32 v80, s19, v133, -v71
	s_delay_alu instid0(VALU_DEP_4) | instskip(NEXT) | instid1(VALU_DEP_4)
	v_dual_mul_f32 v76, 0x3fb8aa3b, v76 :: v_dual_mul_f32 v77, 0x3fb8aa3b, v77
	v_exp_f32_e32 v72, v72
	s_delay_alu instid0(VALU_DEP_3) | instskip(NEXT) | instid1(VALU_DEP_2)
	v_exp_f32_e32 v74, v74
	v_mul_f32_e32 v82, 0x3fb8aa3b, v80
	s_delay_alu instid0(VALU_DEP_2) | instskip(SKIP_1) | instid1(VALU_DEP_1)
	v_exp_f32_e32 v76, v76
	v_exp_f32_e32 v77, v77
	;; [unrolled: 1-line block ×3, first 2 shown]
	v_cndmask_b32_e32 v79, 0, v72, vcc_lo
	v_fma_f32 v72, s19, v132, -v71
	v_mul_f32_e32 v75, 0x3fb8aa3b, v75
	v_cndmask_b32_e64 v78, 0, v74, s3
	s_delay_alu instid0(TRANS32_DEP_3)
	v_cndmask_b32_e64 v80, 0, v76, s5
	v_add_f32_e32 v74, 0, v79
	v_mul_f32_e32 v72, 0x3fb8aa3b, v72
	v_exp_f32_e32 v75, v75
	v_cndmask_b32_e64 v83, 0, v77, s6
	v_cndmask_b32_e64 v85, 0, v84, s8
	v_add_f32_e32 v74, v74, v78
	v_exp_f32_e32 v72, v72
	s_mov_b32 s3, exec_lo
	s_waitcnt_depctr 0xfff
	v_cndmask_b32_e64 v81, 0, v75, s4
	v_cndmask_b32_e64 v82, 0, v72, s7
	s_delay_alu instid0(VALU_DEP_2) | instskip(NEXT) | instid1(VALU_DEP_1)
	v_add_f32_e32 v74, v74, v81
	v_add_f32_e32 v74, v74, v80
	s_delay_alu instid0(VALU_DEP_1) | instskip(SKIP_4) | instid1(VALU_DEP_4)
	v_add_f32_e32 v72, v74, v83
	v_fma_f32 v75, s19, v134, -v71
	v_fma_f32 v76, s19, v119, -v71
	;; [unrolled: 1-line block ×4, first 2 shown]
	v_dual_add_f32 v72, v72, v82 :: v_dual_mul_f32 v75, 0x3fb8aa3b, v75
	s_delay_alu instid0(VALU_DEP_3) | instskip(SKIP_1) | instid1(VALU_DEP_3)
	v_dual_mul_f32 v76, 0x3fb8aa3b, v76 :: v_dual_mul_f32 v77, 0x3fb8aa3b, v77
	v_fma_f32 v86, s19, v122, -v71
	v_add_f32_e32 v72, v72, v85
	s_delay_alu instid0(VALU_DEP_4) | instskip(NEXT) | instid1(VALU_DEP_3)
	v_exp_f32_e32 v75, v75
	v_exp_f32_e32 v76, v76
	v_exp_f32_e32 v77, v77
	v_mul_f32_e32 v86, 0x3fb8aa3b, v86
	s_delay_alu instid0(VALU_DEP_1) | instskip(SKIP_3) | instid1(TRANS32_DEP_3)
	v_exp_f32_e32 v88, v86
	v_cndmask_b32_e64 v84, 0, v75, s9
	v_fma_f32 v75, s19, v123, -v71
	v_mul_f32_e32 v74, 0x3fb8aa3b, v74
	v_cndmask_b32_e64 v87, 0, v76, s10
	v_fma_f32 v76, s19, v124, -v71
	s_delay_alu instid0(VALU_DEP_4) | instskip(NEXT) | instid1(VALU_DEP_4)
	v_dual_add_f32 v72, v72, v84 :: v_dual_mul_f32 v75, 0x3fb8aa3b, v75
	v_exp_f32_e32 v74, v74
	v_cndmask_b32_e64 v86, 0, v77, s11
	v_fma_f32 v77, s19, v125, -v71
	s_delay_alu instid0(VALU_DEP_3) | instskip(SKIP_3) | instid1(VALU_DEP_3)
	v_add_f32_e32 v72, v72, v87
	v_mul_f32_e32 v76, 0x3fb8aa3b, v76
	v_exp_f32_e32 v75, v75
	v_cndmask_b32_e64 v88, 0, v88, s13
	v_add_f32_e32 v72, v72, v86
	s_delay_alu instid0(VALU_DEP_3) | instskip(NEXT) | instid1(TRANS32_DEP_3)
	v_exp_f32_e32 v76, v76
	v_cndmask_b32_e64 v89, 0, v74, s12
	v_mul_f32_e32 v74, 0x3fb8aa3b, v77
	v_fma_f32 v77, s19, v126, -v71
	s_delay_alu instid0(VALU_DEP_3) | instskip(NEXT) | instid1(VALU_DEP_3)
	v_add_f32_e32 v72, v72, v89
	v_exp_f32_e32 v74, v74
	s_delay_alu instid0(TRANS32_DEP_3) | instskip(NEXT) | instid1(VALU_DEP_3)
	v_cndmask_b32_e64 v91, 0, v75, s15
	v_mul_f32_e32 v75, 0x3fb8aa3b, v77
	s_delay_alu instid0(TRANS32_DEP_2) | instskip(SKIP_1) | instid1(VALU_DEP_3)
	v_cndmask_b32_e64 v90, 0, v76, s16
	v_add_f32_e32 v72, v72, v88
	v_exp_f32_e32 v75, v75
	s_delay_alu instid0(VALU_DEP_1) | instskip(NEXT) | instid1(TRANS32_DEP_2)
	v_add_f32_e32 v72, v72, v91
	v_cndmask_b32_e64 v93, 0, v74, s17
	s_delay_alu instid0(VALU_DEP_2) | instskip(SKIP_3) | instid1(VALU_DEP_1)
	v_add_f32_e32 v72, v72, v90
	s_waitcnt_depctr 0xfff
	v_cndmask_b32_e64 v92, 0, v75, s18
	v_add_f32_e32 v72, v72, v93
	v_add_f32_e32 v72, v72, v92
	ds_bpermute_b32 v73, v73, v72
	v_cmpx_gt_u32_e32 16, v70
	s_cbranch_execz .LBB883_12
; %bb.11:
	v_mul_u32_u24_e32 v70, 0x44, v69
	s_waitcnt lgkmcnt(0)
	v_add_f32_e32 v72, v72, v73
	s_delay_alu instid0(VALU_DEP_2) | instskip(NEXT) | instid1(VALU_DEP_1)
	v_lshl_add_u32 v70, v68, 2, v70
	v_add_nc_u32_e32 v70, 0x4000, v70
	ds_store_2addr_b32 v70, v71, v72 offset1:136
.LBB883_12:
	s_or_b32 exec_lo, exec_lo, s3
	v_lshlrev_b32_e32 v70, 2, v68
	s_load_b32 s35, s[0:1], 0x94
	s_waitcnt lgkmcnt(0)
	s_barrier
	buffer_gl0_inv
	v_add_nc_u32_e32 v98, 0x4000, v70
	v_cmp_eq_u32_e32 vcc_lo, 1, v69
	v_cmp_eq_u32_e64 s3, 2, v69
	v_cmp_eq_u32_e64 s4, 3, v69
	;; [unrolled: 1-line block ×3, first 2 shown]
	ds_load_2addr_b32 v[70:71], v98 offset1:17
	ds_load_2addr_b32 v[72:73], v98 offset0:34 offset1:51
	ds_load_2addr_b32 v[74:75], v98 offset0:68 offset1:85
	;; [unrolled: 1-line block ×3, first 2 shown]
	v_cmp_eq_u32_e64 s6, 5, v69
	v_cmp_eq_u32_e64 s7, 7, v69
	s_waitcnt lgkmcnt(3)
	v_max3_f32 v76, v70, 0xff7fffff, v71
	s_waitcnt lgkmcnt(2)
	s_delay_alu instid0(VALU_DEP_1) | instskip(SKIP_1) | instid1(VALU_DEP_1)
	v_max3_f32 v76, v76, v72, v73
	s_waitcnt lgkmcnt(1)
	v_max3_f32 v76, v76, v74, v75
	s_waitcnt lgkmcnt(0)
	s_delay_alu instid0(VALU_DEP_1) | instskip(NEXT) | instid1(VALU_DEP_1)
	v_max3_f32 v76, v76, v94, v95
	v_sub_f32_e32 v77, v71, v76
	ds_load_2addr_b32 v[96:97], v98 offset0:136 offset1:153
	v_sub_f32_e32 v74, v74, v76
	v_sub_f32_e32 v70, v70, v76
	;; [unrolled: 1-line block ×3, first 2 shown]
	v_dual_sub_f32 v72, v72, v76 :: v_dual_mul_f32 v77, 0x3fb8aa3b, v77
	s_delay_alu instid0(VALU_DEP_4) | instskip(NEXT) | instid1(VALU_DEP_4)
	v_mul_f32_e32 v103, 0x3fb8aa3b, v74
	v_mul_f32_e32 v99, 0x3fb8aa3b, v70
	ds_load_2addr_b32 v[70:71], v98 offset0:170 offset1:187
	v_dual_mul_f32 v101, 0x3fb8aa3b, v72 :: v_dual_mul_f32 v94, 0x3fb8aa3b, v94
	v_exp_f32_e32 v102, v77
	v_exp_f32_e32 v99, v99
	s_delay_alu instid0(VALU_DEP_1) | instskip(NEXT) | instid1(VALU_DEP_1)
	v_exp_f32_e32 v101, v101
	v_exp_f32_e32 v94, v94
	s_waitcnt lgkmcnt(1)
	s_delay_alu instid0(TRANS32_DEP_3)
	v_fma_f32 v77, v99, v96, 0
	v_sub_f32_e32 v100, v73, v76
	ds_load_2addr_b32 v[72:73], v98 offset0:204 offset1:221
	v_fmac_f32_e32 v77, v102, v97
	v_exp_f32_e32 v97, v103
	s_waitcnt lgkmcnt(1)
	s_delay_alu instid0(VALU_DEP_1)
	v_dual_fmac_f32 v77, v101, v70 :: v_dual_sub_f32 v96, v75, v76
	ds_load_2addr_b32 v[74:75], v98 offset0:238 offset1:255
	v_sub_f32_e32 v70, v95, v76
	s_waitcnt lgkmcnt(0)
	s_barrier
	v_mul_f32_e32 v96, 0x3fb8aa3b, v96
	buffer_gl0_inv
	v_exp_f32_e32 v95, v96
	v_mul_f32_e32 v100, 0x3fb8aa3b, v100
	s_delay_alu instid0(VALU_DEP_1) | instskip(SKIP_3) | instid1(VALU_DEP_2)
	v_exp_f32_e32 v100, v100
	s_waitcnt_depctr 0xfff
	v_dual_fmac_f32 v77, v100, v71 :: v_dual_mul_f32 v70, 0x3fb8aa3b, v70
	v_cndmask_b32_e32 v71, v99, v102, vcc_lo
	v_fmac_f32_e32 v77, v97, v72
	s_delay_alu instid0(VALU_DEP_3) | instskip(NEXT) | instid1(VALU_DEP_1)
	v_exp_f32_e32 v96, v70
	v_fmac_f32_e32 v77, v95, v73
	s_delay_alu instid0(VALU_DEP_1) | instskip(SKIP_2) | instid1(VALU_DEP_1)
	v_fmac_f32_e32 v77, v94, v74
	s_waitcnt_depctr 0xfff
	v_fmac_f32_e32 v77, v96, v75
	v_add_f32_e32 v74, 0x358637bd, v77
	s_delay_alu instid0(VALU_DEP_1) | instskip(SKIP_1) | instid1(VALU_DEP_2)
	v_div_scale_f32 v98, null, v74, v74, 1.0
	v_div_scale_f32 v99, vcc_lo, 1.0, v74, 1.0
	v_rcp_f32_e32 v103, v98
	s_waitcnt_depctr 0xfff
	v_fma_f32 v70, -v98, v103, 1.0
	s_delay_alu instid0(VALU_DEP_1) | instskip(SKIP_2) | instid1(VALU_DEP_2)
	v_fmac_f32_e32 v103, v70, v103
	v_cndmask_b32_e64 v70, v71, v101, s3
	v_cmp_eq_u32_e64 s3, 6, v69
	v_cndmask_b32_e64 v71, v70, v100, s4
	s_delay_alu instid0(VALU_DEP_4) | instskip(NEXT) | instid1(VALU_DEP_2)
	v_dual_mul_f32 v101, v99, v103 :: v_dual_lshlrev_b32 v70, 2, v66
	v_cndmask_b32_e64 v71, v71, v97, s5
	s_delay_alu instid0(VALU_DEP_2) | instskip(NEXT) | instid1(VALU_DEP_3)
	v_or_b32_e32 v72, 1, v70
	v_fma_f32 v100, -v98, v101, v99
	v_cmp_eq_u32_e64 s4, 1, v70
	v_cmp_eq_u32_e64 s5, 2, v70
	v_cndmask_b32_e64 v95, v71, v95, s6
	v_or_b32_e32 v71, 3, v70
	v_fmac_f32_e32 v101, v100, v103
	v_cmp_eq_u32_e64 s9, 1, v72
	v_cmp_eq_u32_e64 s12, 2, v72
	v_cndmask_b32_e64 v94, v95, v94, s3
	v_cmp_eq_u32_e64 s11, 1, v71
	v_fma_f32 v97, -v98, v101, v99
	v_cmp_eq_u32_e64 s16, 2, v71
	v_cmp_eq_u32_e64 s13, 3, v72
	v_cndmask_b32_e64 v94, v94, v96, s7
	v_cmp_eq_u32_e64 s18, 3, v71
	v_div_fmas_f32 v95, v97, v103, v101
	v_cmp_eq_u32_e32 vcc_lo, 3, v70
	v_cmp_eq_u32_e64 s3, 4, v70
	v_cmp_eq_u32_e64 s19, 4, v72
	;; [unrolled: 1-line block ×3, first 2 shown]
	v_div_fixup_f32 v95, v95, v74, 1.0
	v_lshlrev_b32_e32 v73, 6, v68
	v_cmp_eq_u32_e64 s6, 5, v70
	v_cmp_eq_u32_e64 s20, 5, v72
	;; [unrolled: 1-line block ×3, first 2 shown]
	v_mul_f32_e32 v102, v94, v95
	v_lshl_or_b32 v75, v69, 11, v73
	v_or_b32_e32 v69, 2, v70
	v_cmp_eq_u32_e64 s25, 6, v72
	v_cmp_eq_u32_e64 s27, 6, v71
	v_fma_mixlo_f16 v94, v102, v79, 0
	v_fma_mixlo_f16 v95, v102, v81, 0
	v_fma_mixlo_f16 v96, v102, v83, 0
	v_fma_mixlo_f16 v97, v102, v85, 0
	v_fma_mixlo_f16 v98, v102, v87, 0
	v_fma_mixlo_f16 v99, v102, v89, 0
	v_fma_mixlo_f16 v100, v102, v91, 0
	v_fma_mixlo_f16 v101, v102, v93, 0
	v_lshl_or_b32 v74, v66, 4, v75
	v_fma_mixhi_f16 v94, v102, v78, 0
	v_fma_mixhi_f16 v95, v102, v80, 0
	;; [unrolled: 1-line block ×8, first 2 shown]
	ds_store_b128 v74, v[94:97]
	ds_store_b128 v74, v[98:101] offset:1024
	s_waitcnt lgkmcnt(0)
	s_barrier
	buffer_gl0_inv
	ds_load_b128 v[78:81], v75
	ds_load_b128 v[82:85], v75 offset:16
	ds_load_b128 v[86:89], v75 offset:1024
	;; [unrolled: 1-line block ×3, first 2 shown]
	v_cmp_eq_u32_e64 s10, 1, v69
	v_cmp_eq_u32_e64 s15, 2, v69
	;; [unrolled: 1-line block ×11, first 2 shown]
	s_waitcnt lgkmcnt(3)
	v_lshrrev_b32_e32 v94, 16, v78
	s_waitcnt lgkmcnt(2)
	v_lshrrev_b32_e32 v98, 16, v82
	;; [unrolled: 2-line block ×4, first 2 shown]
	v_lshrrev_b32_e32 v95, 16, v79
	v_cndmask_b32_e64 v110, v78, v94, s4
	v_cndmask_b32_e64 v111, v82, v98, s4
	v_cndmask_b32_e64 v112, v78, v94, s9
	v_cndmask_b32_e64 v113, v82, v98, s9
	v_cndmask_b32_e64 v114, v78, v94, s10
	v_cndmask_b32_e64 v115, v82, v98, s10
	v_cndmask_b32_e64 v78, v78, v94, s11
	v_cndmask_b32_e64 v82, v82, v98, s11
	v_lshrrev_b32_e32 v99, 16, v83
	v_cndmask_b32_e64 v94, v86, v102, s4
	v_cndmask_b32_e64 v98, v90, v106, s4
	;; [unrolled: 1-line block ×15, first 2 shown]
	v_lshrrev_b32_e32 v103, 16, v87
	v_lshrrev_b32_e32 v107, 16, v91
	v_cndmask_b32_e64 v113, v115, v83, s15
	v_cndmask_b32_e64 v82, v94, v87, s5
	;; [unrolled: 1-line block ×7, first 2 shown]
	v_cndmask_b32_e32 v90, v102, v95, vcc_lo
	v_cndmask_b32_e32 v102, v106, v99, vcc_lo
	v_cndmask_b32_e64 v106, v110, v95, s13
	v_cndmask_b32_e64 v110, v111, v99, s13
	;; [unrolled: 1-line block ×4, first 2 shown]
	v_lshrrev_b32_e32 v96, 16, v80
	v_lshrrev_b32_e32 v100, 16, v84
	v_cndmask_b32_e64 v111, v112, v95, s17
	v_cndmask_b32_e64 v112, v113, v99, s17
	v_cndmask_b32_e32 v82, v82, v103, vcc_lo
	v_cndmask_b32_e32 v83, v83, v107, vcc_lo
	v_cndmask_b32_e64 v94, v94, v103, s13
	v_cndmask_b32_e64 v90, v90, v80, s3
	;; [unrolled: 1-line block ×7, first 2 shown]
	v_lshrrev_b32_e32 v104, 16, v88
	v_cndmask_b32_e64 v106, v111, v80, s21
	v_cndmask_b32_e64 v110, v112, v84, s21
	;; [unrolled: 1-line block ×11, first 2 shown]
	v_lshrrev_b32_e32 v97, 16, v81
	v_lshrrev_b32_e32 v101, 16, v85
	v_cndmask_b32_e64 v99, v106, v96, s23
	v_cndmask_b32_e64 v102, v110, v100, s23
	;; [unrolled: 1-line block ×7, first 2 shown]
	v_lshrrev_b32_e32 v105, 16, v89
	v_cndmask_b32_e64 v80, v80, v104, s6
	v_cndmask_b32_e64 v84, v84, v81, s7
	;; [unrolled: 1-line block ×16, first 2 shown]
	v_perm_b32 v81, v79, v78, 0x5040100
	v_perm_b32 v79, v95, v85, 0x5040100
	v_cndmask_b32_e64 v78, v119, v91, s15
	v_cndmask_b32_e64 v85, v117, v91, s12
	;; [unrolled: 1-line block ×3, first 2 shown]
	v_perm_b32 v80, v94, v90, 0x5040100
	v_cndmask_b32_e64 v90, v98, v103, s17
	v_cndmask_b32_e64 v86, v86, v103, s18
	;; [unrolled: 1-line block ×5, first 2 shown]
	v_lshrrev_b32_e32 v108, 16, v92
	v_cndmask_b32_e64 v90, v90, v88, s21
	v_cndmask_b32_e64 v86, v86, v88, s22
	;; [unrolled: 1-line block ×11, first 2 shown]
	v_lshrrev_b32_e32 v109, 16, v93
	v_cndmask_b32_e64 v82, v82, v93, s7
	v_cndmask_b32_e64 v88, v88, v89, s26
	;; [unrolled: 1-line block ×12, first 2 shown]
	v_perm_b32 v78, v84, v83, 0x5040100
	v_perm_b32 v85, v87, v86, 0x5040100
	;; [unrolled: 1-line block ×5, first 2 shown]
	s_mul_i32 s8, s33, 14
	s_mov_b32 s3, exec_lo
	ds_store_b128 v74, v[78:81]
	ds_store_b128 v74, v[82:85] offset:1024
	v_cmpx_gt_u32_e32 14, v0
	s_cbranch_execz .LBB883_14
; %bb.13:
	s_mul_i32 s4, s8, s34
	s_delay_alu instid0(SALU_CYCLE_1) | instskip(SKIP_1) | instid1(VALU_DEP_1)
	v_add3_u32 v68, s4, s31, v68
	s_load_b128 s[4:7], s[0:1], 0x58
	v_mad_u64_u32 v[78:79], null, v68, s35, s[14:15]
	s_delay_alu instid0(VALU_DEP_1) | instskip(NEXT) | instid1(VALU_DEP_1)
	v_ashrrev_i32_e32 v79, 31, v78
	v_lshlrev_b64 v[78:79], 2, v[78:79]
	s_waitcnt lgkmcnt(0)
	s_delay_alu instid0(VALU_DEP_1) | instskip(NEXT) | instid1(VALU_DEP_2)
	v_add_co_u32 v80, vcc_lo, s6, v78
	v_add_co_ci_u32_e32 v81, vcc_lo, s7, v79, vcc_lo
	v_add_co_u32 v78, vcc_lo, s4, v78
	v_add_co_ci_u32_e32 v79, vcc_lo, s5, v79, vcc_lo
	global_store_b32 v[80:81], v76, off
	global_store_b32 v[78:79], v77, off
.LBB883_14:
	s_or_b32 exec_lo, exec_lo, s3
	s_waitcnt lgkmcnt(0)
	s_waitcnt_vscnt null, 0x0
	s_barrier
	buffer_gl0_inv
	ds_load_b128 v[84:87], v73
	ds_load_b128 v[88:91], v73 offset:16
	ds_load_b128 v[96:99], v73 offset:2064
	;; [unrolled: 1-line block ×5, first 2 shown]
	v_cmp_eq_u32_e32 vcc_lo, 1, v70
	v_mov_b32_e32 v76, 0
	ds_load_b128 v[112:115], v73 offset:6160
	ds_load_b128 v[108:111], v73 offset:6144
	;; [unrolled: 1-line block ×4, first 2 shown]
	v_cmp_eq_u32_e64 s4, 1, v69
	v_cmp_eq_u32_e64 s3, 1, v72
	;; [unrolled: 1-line block ×3, first 2 shown]
	v_mov_b32_e32 v77, v76
	v_mov_b32_e32 v78, v76
	;; [unrolled: 1-line block ×7, first 2 shown]
	v_cmp_eq_u32_e64 s6, 3, v72
	v_cmp_eq_u32_e64 s7, 7, v72
	s_waitcnt lgkmcnt(8)
	s_delay_alu instid0(VALU_DEP_3)
	v_wmma_f32_16x16x16_f16 v[76:83], v[49:56], v[84:91], v[76:83]
	ds_load_b128 v[53:56], v73 offset:10256
	ds_load_b128 v[49:52], v73 offset:10240
	s_waitcnt lgkmcnt(8)
	v_wmma_f32_16x16x16_f16 v[76:83], v[41:48], v[92:99], v[76:83]
	ds_load_b128 v[45:48], v73 offset:12304
	ds_load_b128 v[41:44], v73 offset:12288
	s_waitcnt lgkmcnt(8)
	;; [unrolled: 4-line block ×3, first 2 shown]
	s_barrier
	buffer_gl0_inv
	v_wmma_f32_16x16x16_f16 v[76:83], v[1:8], v[108:115], v[76:83]
	s_delay_alu instid0(VALU_DEP_1) | instskip(NEXT) | instid1(VALU_DEP_1)
	v_wmma_f32_16x16x16_f16 v[76:83], v[9:16], v[116:123], v[76:83]
	v_wmma_f32_16x16x16_f16 v[76:83], v[17:24], v[49:56], v[76:83]
	s_delay_alu instid0(VALU_DEP_1) | instskip(NEXT) | instid1(VALU_DEP_1)
	v_wmma_f32_16x16x16_f16 v[76:83], v[25:32], v[41:48], v[76:83]
	v_wmma_f32_16x16x16_f16 v[76:83], v[57:64], v[33:40], v[76:83]
	s_delay_alu instid0(VALU_DEP_1) | instskip(NEXT) | instid1(VALU_DEP_2)
	v_cvt_f16_f32_e32 v1, v76
	v_cvt_f16_f32_e32 v2, v77
	s_delay_alu instid0(VALU_DEP_3) | instskip(NEXT) | instid1(VALU_DEP_4)
	v_cvt_f16_f32_e32 v3, v78
	v_cvt_f16_f32_e32 v4, v79
	v_cvt_f16_f32_e32 v5, v80
	v_cvt_f16_f32_e32 v6, v81
	v_cvt_f16_f32_e32 v7, v82
	v_cvt_f16_f32_e32 v8, v83
	v_pack_b32_f16 v1, v1, v2
	v_pack_b32_f16 v2, v3, v4
	;; [unrolled: 1-line block ×3, first 2 shown]
	s_delay_alu instid0(VALU_DEP_4)
	v_pack_b32_f16 v4, v7, v8
	ds_store_b128 v74, v[1:4]
	s_waitcnt lgkmcnt(0)
	s_barrier
	buffer_gl0_inv
	ds_load_b128 v[1:4], v75
	ds_load_b128 v[5:8], v75 offset:16
	s_waitcnt lgkmcnt(1)
	v_lshrrev_b32_e32 v9, 16, v1
	s_waitcnt lgkmcnt(0)
	v_lshrrev_b32_e32 v13, 16, v5
	v_lshrrev_b32_e32 v10, 16, v2
	;; [unrolled: 1-line block ×4, first 2 shown]
	v_cndmask_b32_e32 v17, v1, v9, vcc_lo
	v_cndmask_b32_e32 v18, v5, v13, vcc_lo
	v_cndmask_b32_e64 v21, v1, v9, s4
	v_cmp_eq_u32_e32 vcc_lo, 1, v71
	v_cndmask_b32_e64 v22, v5, v13, s4
	v_cmp_eq_u32_e64 s4, 2, v70
	v_cndmask_b32_e64 v19, v1, v9, s3
	v_cndmask_b32_e64 v20, v5, v13, s3
	v_cndmask_b32_e32 v1, v1, v9, vcc_lo
	v_cmp_eq_u32_e64 s3, 2, v71
	v_cndmask_b32_e32 v5, v5, v13, vcc_lo
	v_cndmask_b32_e64 v9, v17, v2, s4
	v_cmp_eq_u32_e32 vcc_lo, 3, v70
	v_cndmask_b32_e64 v13, v18, v6, s4
	v_cmp_eq_u32_e64 s4, 2, v69
	v_cndmask_b32_e64 v17, v19, v2, s5
	v_cndmask_b32_e64 v18, v20, v6, s5
	v_cmp_eq_u32_e64 s5, 3, v69
	v_cndmask_b32_e64 v1, v1, v2, s3
	v_cndmask_b32_e64 v19, v21, v2, s4
	;; [unrolled: 1-line block ×4, first 2 shown]
	v_cndmask_b32_e32 v5, v9, v10, vcc_lo
	v_cndmask_b32_e32 v6, v13, v14, vcc_lo
	v_cmp_eq_u32_e32 vcc_lo, 3, v71
	v_cndmask_b32_e64 v9, v17, v10, s6
	v_cndmask_b32_e64 v13, v18, v14, s6
	;; [unrolled: 1-line block ×3, first 2 shown]
	v_cmp_eq_u32_e64 s4, 4, v70
	v_cndmask_b32_e32 v1, v1, v10, vcc_lo
	v_cndmask_b32_e32 v2, v2, v14, vcc_lo
	v_cmp_eq_u32_e32 vcc_lo, 4, v72
	v_lshrrev_b32_e32 v15, 16, v7
	v_lshrrev_b32_e32 v16, 16, v8
	v_cndmask_b32_e64 v17, v19, v10, s5
	v_cmp_eq_u32_e64 s3, 4, v71
	v_cndmask_b32_e64 v5, v5, v3, s4
	v_cndmask_b32_e64 v6, v6, v7, s4
	v_cndmask_b32_e32 v9, v9, v3, vcc_lo
	v_cmp_eq_u32_e64 s4, 5, v72
	v_cndmask_b32_e32 v10, v13, v7, vcc_lo
	v_cmp_eq_u32_e32 vcc_lo, 4, v69
	v_cmp_eq_u32_e64 s5, 5, v70
	v_cndmask_b32_e64 v2, v2, v7, s3
	v_cndmask_b32_e64 v9, v9, v11, s4
	;; [unrolled: 1-line block ×3, first 2 shown]
	v_cndmask_b32_e32 v13, v17, v3, vcc_lo
	v_cmp_eq_u32_e64 s4, 5, v69
	v_cndmask_b32_e32 v14, v18, v7, vcc_lo
	v_cndmask_b32_e64 v1, v1, v3, s3
	v_cmp_eq_u32_e32 vcc_lo, 5, v71
	v_lshrrev_b32_e32 v12, 16, v4
	v_cndmask_b32_e64 v13, v13, v11, s4
	v_cndmask_b32_e64 v3, v14, v15, s4
	v_cmp_eq_u32_e64 s4, 6, v71
	v_cndmask_b32_e32 v1, v1, v11, vcc_lo
	v_cndmask_b32_e64 v5, v5, v11, s5
	v_cmp_eq_u32_e64 s6, 6, v70
	v_cndmask_b32_e64 v6, v6, v15, s5
	v_cmp_eq_u32_e64 s5, 6, v72
	v_cmp_eq_u32_e64 s3, 6, v69
	v_cndmask_b32_e64 v1, v1, v4, s4
	v_cndmask_b32_e32 v2, v2, v15, vcc_lo
	v_cmp_eq_u32_e32 vcc_lo, 7, v71
	v_cndmask_b32_e64 v5, v5, v4, s6
	v_cndmask_b32_e64 v9, v9, v4, s5
	v_cndmask_b32_e64 v6, v6, v8, s6
	v_cmp_eq_u32_e64 s6, 7, v70
	v_cndmask_b32_e32 v1, v1, v12, vcc_lo
	v_cndmask_b32_e64 v7, v13, v4, s3
	v_cndmask_b32_e64 v3, v3, v8, s3
	;; [unrolled: 1-line block ×3, first 2 shown]
	v_cmp_eq_u32_e64 s3, 7, v69
	v_cndmask_b32_e64 v4, v10, v8, s5
	v_cndmask_b32_e64 v5, v5, v12, s6
	;; [unrolled: 1-line block ×3, first 2 shown]
	v_cndmask_b32_e32 v2, v2, v16, vcc_lo
	v_cndmask_b32_e64 v7, v7, v12, s3
	v_cndmask_b32_e64 v3, v3, v16, s3
	;; [unrolled: 1-line block ×4, first 2 shown]
	v_cmp_gt_u32_e32 vcc_lo, 32, v0
	v_perm_b32 v4, v2, v1, 0x5040100
	v_perm_b32 v3, v3, v7, 0x5040100
	;; [unrolled: 1-line block ×4, first 2 shown]
	s_and_b32 s2, vcc_lo, s2
	ds_store_b128 v74, v[1:4]
	s_waitcnt lgkmcnt(0)
	s_barrier
	buffer_gl0_inv
	s_and_saveexec_b32 s3, s2
	s_cbranch_execz .LBB883_2
; %bb.15:
	s_load_b64 s[0:1], s[0:1], 0x68
	v_lshlrev_b32_e32 v0, 10, v0
	s_lshl_b32 s4, s35, 6
	v_or_b32_e32 v3, s31, v66
	s_mul_i32 s2, s4, s34
	v_lshlrev_b32_e32 v1, 4, v67
	v_lshlrev_b32_e32 v2, 6, v66
	v_and_b32_e32 v0, 0x3800, v0
	s_mul_i32 s2, s2, s8
	v_mul_lo_u32 v8, v3, s4
	s_ashr_i32 s3, s2, 31
	s_delay_alu instid0(SALU_CYCLE_1)
	s_lshl_b64 s[2:3], s[2:3], 1
	v_or3_b32 v16, v0, v1, v2
	ds_load_b128 v[0:3], v16
	ds_load_b128 v[4:7], v16 offset:128
	v_ashrrev_i32_e32 v9, 31, v8
	s_waitcnt lgkmcnt(0)
	s_add_u32 s2, s0, s2
	s_addc_u32 s3, s1, s3
	s_lshl_b32 s0, s14, 6
	s_delay_alu instid0(SALU_CYCLE_1) | instskip(SKIP_2) | instid1(SALU_CYCLE_1)
	s_ashr_i32 s1, s0, 31
	v_lshlrev_b64 v[9:10], 1, v[8:9]
	s_lshl_b64 s[0:1], s[0:1], 1
	s_add_u32 s0, s2, s0
	s_addc_u32 s1, s3, s1
	s_lshl_b32 s2, s35, 7
	v_add_co_u32 v30, s0, s0, v65
	v_add_nc_u32_e32 v11, s2, v8
	v_add_co_ci_u32_e64 v31, null, s1, 0, s0
	s_delay_alu instid0(VALU_DEP_3) | instskip(NEXT) | instid1(VALU_DEP_3)
	v_add_co_u32 v9, vcc_lo, v30, v9
	v_add_nc_u32_e32 v8, s2, v11
	s_delay_alu instid0(VALU_DEP_3) | instskip(SKIP_1) | instid1(VALU_DEP_3)
	v_add_co_ci_u32_e32 v10, vcc_lo, v31, v10, vcc_lo
	v_ashrrev_i32_e32 v12, 31, v11
	v_add_nc_u32_e32 v13, s2, v8
	global_store_b128 v[9:10], v[0:3], off
	v_ashrrev_i32_e32 v9, 31, v8
	v_lshlrev_b64 v[11:12], 1, v[11:12]
	v_ashrrev_i32_e32 v14, 31, v13
	v_add_nc_u32_e32 v10, s2, v13
	s_delay_alu instid0(VALU_DEP_4) | instskip(NEXT) | instid1(VALU_DEP_4)
	v_lshlrev_b64 v[2:3], 1, v[8:9]
	v_add_co_u32 v0, vcc_lo, v30, v11
	s_delay_alu instid0(VALU_DEP_4)
	v_lshlrev_b64 v[8:9], 1, v[13:14]
	v_add_co_ci_u32_e32 v1, vcc_lo, v31, v12, vcc_lo
	v_ashrrev_i32_e32 v11, 31, v10
	v_add_co_u32 v22, vcc_lo, v30, v2
	v_add_nc_u32_e32 v20, s2, v10
	v_add_co_ci_u32_e32 v23, vcc_lo, v31, v3, vcc_lo
	v_add_co_u32 v24, vcc_lo, v30, v8
	global_store_b128 v[0:1], v[4:7], off
	v_add_co_ci_u32_e32 v25, vcc_lo, v31, v9, vcc_lo
	ds_load_b128 v[0:3], v16 offset:256
	ds_load_b128 v[4:7], v16 offset:384
	v_lshlrev_b64 v[26:27], 1, v[10:11]
	ds_load_b128 v[8:11], v16 offset:512
	ds_load_b128 v[12:15], v16 offset:640
	;; [unrolled: 1-line block ×3, first 2 shown]
	v_add_nc_u32_e32 v28, s2, v20
	v_ashrrev_i32_e32 v21, 31, v20
	v_add_co_u32 v26, vcc_lo, v30, v26
	s_delay_alu instid0(VALU_DEP_3) | instskip(NEXT) | instid1(VALU_DEP_3)
	v_ashrrev_i32_e32 v29, 31, v28
	v_lshlrev_b64 v[20:21], 1, v[20:21]
	v_add_co_ci_u32_e32 v27, vcc_lo, v31, v27, vcc_lo
	s_delay_alu instid0(VALU_DEP_3) | instskip(NEXT) | instid1(VALU_DEP_3)
	v_lshlrev_b64 v[28:29], 1, v[28:29]
	v_add_co_u32 v20, vcc_lo, v30, v20
	s_delay_alu instid0(VALU_DEP_4) | instskip(NEXT) | instid1(VALU_DEP_3)
	v_add_co_ci_u32_e32 v21, vcc_lo, v31, v21, vcc_lo
	v_add_co_u32 v28, vcc_lo, v30, v28
	s_delay_alu instid0(VALU_DEP_4)
	v_add_co_ci_u32_e32 v29, vcc_lo, v31, v29, vcc_lo
	s_waitcnt lgkmcnt(4)
	global_store_b128 v[22:23], v[0:3], off
	s_waitcnt lgkmcnt(3)
	global_store_b128 v[24:25], v[4:7], off
	;; [unrolled: 2-line block ×5, first 2 shown]
	s_nop 0
	s_sendmsg sendmsg(MSG_DEALLOC_VGPRS)
	s_endpgm
	.section	.rodata,"a",@progbits
	.p2align	6, 0x0
	.amdhsa_kernel _Z39paged_attention_ll4mi_QKV_mfma16_kernelIDF16_hLN4vllm18Fp8KVCacheDataTypeE1EhLi32ELi64ELi256ELb0ELi14EL8MFMAType1EEvPKT_PKT0_S8_ifPKiSA_SA_iPKfiiiPfSD_PS3_PT2_iSC_SC_
		.amdhsa_group_segment_fixed_size 17472
		.amdhsa_private_segment_fixed_size 0
		.amdhsa_kernarg_size 400
		.amdhsa_user_sgpr_count 13
		.amdhsa_user_sgpr_dispatch_ptr 0
		.amdhsa_user_sgpr_queue_ptr 0
		.amdhsa_user_sgpr_kernarg_segment_ptr 1
		.amdhsa_user_sgpr_dispatch_id 0
		.amdhsa_user_sgpr_private_segment_size 0
		.amdhsa_wavefront_size32 1
		.amdhsa_uses_dynamic_stack 0
		.amdhsa_enable_private_segment 0
		.amdhsa_system_sgpr_workgroup_id_x 1
		.amdhsa_system_sgpr_workgroup_id_y 1
		.amdhsa_system_sgpr_workgroup_id_z 1
		.amdhsa_system_sgpr_workgroup_info 0
		.amdhsa_system_vgpr_workitem_id 0
		.amdhsa_next_free_vgpr 146
		.amdhsa_next_free_sgpr 38
		.amdhsa_reserve_vcc 1
		.amdhsa_float_round_mode_32 0
		.amdhsa_float_round_mode_16_64 0
		.amdhsa_float_denorm_mode_32 3
		.amdhsa_float_denorm_mode_16_64 3
		.amdhsa_dx10_clamp 1
		.amdhsa_ieee_mode 1
		.amdhsa_fp16_overflow 0
		.amdhsa_workgroup_processor_mode 1
		.amdhsa_memory_ordered 1
		.amdhsa_forward_progress 0
		.amdhsa_shared_vgpr_count 0
		.amdhsa_exception_fp_ieee_invalid_op 0
		.amdhsa_exception_fp_denorm_src 0
		.amdhsa_exception_fp_ieee_div_zero 0
		.amdhsa_exception_fp_ieee_overflow 0
		.amdhsa_exception_fp_ieee_underflow 0
		.amdhsa_exception_fp_ieee_inexact 0
		.amdhsa_exception_int_div_zero 0
	.end_amdhsa_kernel
	.section	.text._Z39paged_attention_ll4mi_QKV_mfma16_kernelIDF16_hLN4vllm18Fp8KVCacheDataTypeE1EhLi32ELi64ELi256ELb0ELi14EL8MFMAType1EEvPKT_PKT0_S8_ifPKiSA_SA_iPKfiiiPfSD_PS3_PT2_iSC_SC_,"axG",@progbits,_Z39paged_attention_ll4mi_QKV_mfma16_kernelIDF16_hLN4vllm18Fp8KVCacheDataTypeE1EhLi32ELi64ELi256ELb0ELi14EL8MFMAType1EEvPKT_PKT0_S8_ifPKiSA_SA_iPKfiiiPfSD_PS3_PT2_iSC_SC_,comdat
.Lfunc_end883:
	.size	_Z39paged_attention_ll4mi_QKV_mfma16_kernelIDF16_hLN4vllm18Fp8KVCacheDataTypeE1EhLi32ELi64ELi256ELb0ELi14EL8MFMAType1EEvPKT_PKT0_S8_ifPKiSA_SA_iPKfiiiPfSD_PS3_PT2_iSC_SC_, .Lfunc_end883-_Z39paged_attention_ll4mi_QKV_mfma16_kernelIDF16_hLN4vllm18Fp8KVCacheDataTypeE1EhLi32ELi64ELi256ELb0ELi14EL8MFMAType1EEvPKT_PKT0_S8_ifPKiSA_SA_iPKfiiiPfSD_PS3_PT2_iSC_SC_
                                        ; -- End function
	.section	.AMDGPU.csdata,"",@progbits
; Kernel info:
; codeLenInByte = 6648
; NumSgprs: 40
; NumVgprs: 146
; ScratchSize: 0
; MemoryBound: 0
; FloatMode: 240
; IeeeMode: 1
; LDSByteSize: 17472 bytes/workgroup (compile time only)
; SGPRBlocks: 4
; VGPRBlocks: 18
; NumSGPRsForWavesPerEU: 40
; NumVGPRsForWavesPerEU: 146
; Occupancy: 9
; WaveLimiterHint : 1
; COMPUTE_PGM_RSRC2:SCRATCH_EN: 0
; COMPUTE_PGM_RSRC2:USER_SGPR: 13
; COMPUTE_PGM_RSRC2:TRAP_HANDLER: 0
; COMPUTE_PGM_RSRC2:TGID_X_EN: 1
; COMPUTE_PGM_RSRC2:TGID_Y_EN: 1
; COMPUTE_PGM_RSRC2:TGID_Z_EN: 1
; COMPUTE_PGM_RSRC2:TIDIG_COMP_CNT: 0
	.section	.text._Z39paged_attention_ll4mi_QKV_mfma16_kernelIDF16_hLN4vllm18Fp8KVCacheDataTypeE1EhLi32ELi64ELi256ELb0ELi15EL8MFMAType1EEvPKT_PKT0_S8_ifPKiSA_SA_iPKfiiiPfSD_PS3_PT2_iSC_SC_,"axG",@progbits,_Z39paged_attention_ll4mi_QKV_mfma16_kernelIDF16_hLN4vllm18Fp8KVCacheDataTypeE1EhLi32ELi64ELi256ELb0ELi15EL8MFMAType1EEvPKT_PKT0_S8_ifPKiSA_SA_iPKfiiiPfSD_PS3_PT2_iSC_SC_,comdat
	.protected	_Z39paged_attention_ll4mi_QKV_mfma16_kernelIDF16_hLN4vllm18Fp8KVCacheDataTypeE1EhLi32ELi64ELi256ELb0ELi15EL8MFMAType1EEvPKT_PKT0_S8_ifPKiSA_SA_iPKfiiiPfSD_PS3_PT2_iSC_SC_ ; -- Begin function _Z39paged_attention_ll4mi_QKV_mfma16_kernelIDF16_hLN4vllm18Fp8KVCacheDataTypeE1EhLi32ELi64ELi256ELb0ELi15EL8MFMAType1EEvPKT_PKT0_S8_ifPKiSA_SA_iPKfiiiPfSD_PS3_PT2_iSC_SC_
	.globl	_Z39paged_attention_ll4mi_QKV_mfma16_kernelIDF16_hLN4vllm18Fp8KVCacheDataTypeE1EhLi32ELi64ELi256ELb0ELi15EL8MFMAType1EEvPKT_PKT0_S8_ifPKiSA_SA_iPKfiiiPfSD_PS3_PT2_iSC_SC_
	.p2align	8
	.type	_Z39paged_attention_ll4mi_QKV_mfma16_kernelIDF16_hLN4vllm18Fp8KVCacheDataTypeE1EhLi32ELi64ELi256ELb0ELi15EL8MFMAType1EEvPKT_PKT0_S8_ifPKiSA_SA_iPKfiiiPfSD_PS3_PT2_iSC_SC_,@function
_Z39paged_attention_ll4mi_QKV_mfma16_kernelIDF16_hLN4vllm18Fp8KVCacheDataTypeE1EhLi32ELi64ELi256ELb0ELi15EL8MFMAType1EEvPKT_PKT0_S8_ifPKiSA_SA_iPKfiiiPfSD_PS3_PT2_iSC_SC_: ; @_Z39paged_attention_ll4mi_QKV_mfma16_kernelIDF16_hLN4vllm18Fp8KVCacheDataTypeE1EhLi32ELi64ELi256ELb0ELi15EL8MFMAType1EEvPKT_PKT0_S8_ifPKiSA_SA_iPKfiiiPfSD_PS3_PT2_iSC_SC_
; %bb.0:
	s_load_b64 s[2:3], s[0:1], 0x30
	s_mov_b32 s34, s13
	s_waitcnt lgkmcnt(0)
	s_cmp_lg_u64 s[2:3], 0
	s_cselect_b32 s6, -1, 0
	s_ashr_i32 s35, s13, 31
	s_cmp_eq_u64 s[2:3], 0
	s_cbranch_scc1 .LBB884_3
; %bb.1:
	s_lshl_b64 s[4:5], s[34:35], 2
	s_delay_alu instid0(SALU_CYCLE_1) | instskip(SKIP_4) | instid1(SALU_CYCLE_1)
	s_add_u32 s4, s2, s4
	s_addc_u32 s5, s3, s5
	s_load_b64 s[4:5], s[4:5], 0x0
	s_waitcnt lgkmcnt(0)
	s_sub_i32 s4, s5, s4
	s_cmp_eq_u32 s4, 1
	s_cselect_b32 s4, -1, 0
	s_delay_alu instid0(SALU_CYCLE_1)
	s_and_not1_b32 vcc_lo, exec_lo, s4
	s_cbranch_vccz .LBB884_4
.LBB884_2:
	s_nop 0
	s_sendmsg sendmsg(MSG_DEALLOC_VGPRS)
	s_endpgm
.LBB884_3:
.LBB884_4:
	s_load_b64 s[8:9], s[0:1], 0x28
	s_lshl_b64 s[4:5], s[34:35], 2
	s_waitcnt lgkmcnt(0)
	s_add_u32 s8, s8, s4
	s_addc_u32 s9, s9, s5
	s_lshl_b32 s16, s14, 8
	s_load_b32 s18, s[8:9], 0x0
	s_waitcnt lgkmcnt(0)
	s_cmp_ge_i32 s16, s18
	s_cbranch_scc1 .LBB884_2
; %bb.5:
	s_clause 0x1
	s_load_b128 s[8:11], s[0:1], 0x8
	s_load_b64 s[12:13], s[0:1], 0x20
	s_and_not1_b32 vcc_lo, exec_lo, s6
	s_cbranch_vccnz .LBB884_7
; %bb.6:
	s_add_u32 s2, s2, s4
	s_addc_u32 s3, s3, s5
	s_load_b32 s3, s[2:3], 0x0
	s_branch .LBB884_8
.LBB884_7:
	s_mov_b32 s3, s34
.LBB884_8:
	s_load_b128 s[4:7], s[0:1], 0x48
	v_lshrrev_b32_e32 v69, 5, v0
	v_bfe_u32 v66, v0, 4, 1
	v_and_b32_e32 v68, 15, v0
	v_and_b32_e32 v70, 31, v0
	;; [unrolled: 1-line block ×3, first 2 shown]
	s_mul_i32 s33, s15, 15
	v_lshl_or_b32 v1, v69, 1, v66
	v_lshlrev_b32_e32 v2, 3, v68
	v_cmp_gt_u32_e64 s2, 8, v68
	s_delay_alu instid0(VALU_DEP_3) | instskip(NEXT) | instid1(VALU_DEP_3)
	v_cmp_gt_u32_e32 vcc_lo, 15, v1
	v_lshlrev_b32_e32 v65, 1, v2
	s_delay_alu instid0(VALU_DEP_3)
	s_and_b32 s17, s2, vcc_lo
	s_waitcnt lgkmcnt(0)
	s_and_saveexec_b32 s7, s17
	s_cbranch_execz .LBB884_10
; %bb.9:
	s_load_b64 s[20:21], s[0:1], 0x0
	v_add_lshl_u32 v2, v1, s33, 6
	s_mul_hi_i32 s23, s3, s4
	s_mul_i32 s22, s3, s4
	v_lshlrev_b32_e32 v6, 10, v68
	s_lshl_b64 s[22:23], s[22:23], 1
	v_ashrrev_i32_e32 v3, 31, v2
	v_lshlrev_b32_e32 v1, 6, v1
	v_lshlrev_b32_e32 v7, 10, v67
	v_and_b32_e32 v6, 0x3800, v6
	s_delay_alu instid0(VALU_DEP_4) | instskip(NEXT) | instid1(VALU_DEP_2)
	v_lshlrev_b64 v[2:3], 1, v[2:3]
	v_or3_b32 v1, v6, v7, v1
	s_waitcnt lgkmcnt(0)
	s_add_u32 s3, s20, s22
	s_addc_u32 s4, s21, s23
	s_delay_alu instid0(VALU_DEP_2) | instskip(SKIP_1) | instid1(VALU_DEP_2)
	v_add_co_u32 v2, vcc_lo, s3, v2
	v_add_co_ci_u32_e32 v3, vcc_lo, s4, v3, vcc_lo
	v_add_co_u32 v2, vcc_lo, v2, v65
	s_delay_alu instid0(VALU_DEP_2)
	v_add_co_ci_u32_e32 v3, vcc_lo, 0, v3, vcc_lo
	global_load_b128 v[2:5], v[2:3], off
	s_waitcnt vmcnt(0)
	ds_store_b128 v1, v[2:5]
.LBB884_10:
	s_or_b32 exec_lo, exec_lo, s7
	v_and_b32_e32 v1, 0xef, v0
	s_add_i32 s3, s18, 31
	s_clause 0x1
	s_load_b32 s4, s[0:1], 0x38
	s_load_b32 s35, s[0:1], 0x98
	s_ashr_i32 s7, s3, 31
	v_add_nc_u32_e32 v1, s16, v1
	s_lshr_b32 s7, s7, 27
	s_load_b32 s19, s[0:1], 0x1c
	s_add_i32 s3, s3, s7
	s_waitcnt lgkmcnt(0)
	v_ashrrev_i32_e32 v2, 31, v1
	v_or_b32_e32 v3, 16, v1
	s_ashr_i32 s3, s3, 5
	v_cmp_gt_i32_e32 vcc_lo, s18, v1
	s_add_i32 s3, s3, -1
	v_lshrrev_b32_e32 v2, 27, v2
	s_barrier
	buffer_gl0_inv
	s_mul_i32 s15, s15, s6
	v_mbcnt_lo_u32_b32 v127, -1, 0
	v_add_nc_u32_e32 v4, v1, v2
	s_mul_i32 s20, s34, s4
	s_delay_alu instid0(SALU_CYCLE_1) | instskip(NEXT) | instid1(VALU_DEP_1)
	s_ashr_i32 s21, s20, 31
	v_ashrrev_i32_e32 v4, 5, v4
	v_add_nc_u32_e32 v2, v3, v2
	s_lshl_b64 s[20:21], s[20:21], 2
	v_xor_b32_e32 v128, 16, v127
	s_add_u32 s17, s12, s20
	v_cndmask_b32_e32 v1, s3, v4, vcc_lo
	v_ashrrev_i32_e32 v2, 5, v2
	v_cmp_gt_i32_e32 vcc_lo, s18, v3
	s_addc_u32 s13, s13, s21
	s_ashr_i32 s20, s15, 31
	s_add_u32 s22, s8, s15
	s_addc_u32 s23, s9, s20
	v_cndmask_b32_e32 v3, s3, v2, vcc_lo
	v_ashrrev_i32_e32 v2, 31, v1
	s_lshl_b32 s6, s14, 3
	s_delay_alu instid0(SALU_CYCLE_1) | instskip(NEXT) | instid1(VALU_DEP_2)
	s_ashr_i32 s7, s6, 31
	v_ashrrev_i32_e32 v4, 31, v3
	s_delay_alu instid0(VALU_DEP_2) | instskip(SKIP_1) | instid1(SALU_CYCLE_1)
	v_lshlrev_b64 v[1:2], 2, v[1:2]
	s_lshl_b64 s[6:7], s[6:7], 2
	s_add_u32 s6, s17, s6
	s_delay_alu instid0(VALU_DEP_2) | instskip(SKIP_1) | instid1(VALU_DEP_2)
	v_lshlrev_b64 v[3:4], 2, v[3:4]
	s_addc_u32 s7, s13, s7
	v_add_co_u32 v1, vcc_lo, s17, v1
	v_add_co_ci_u32_e32 v2, vcc_lo, s13, v2, vcc_lo
	s_delay_alu instid0(VALU_DEP_3) | instskip(NEXT) | instid1(VALU_DEP_4)
	v_add_co_u32 v3, vcc_lo, s17, v3
	v_add_co_ci_u32_e32 v4, vcc_lo, s13, v4, vcc_lo
	s_clause 0x1
	global_load_b32 v5, v[1:2], off
	global_load_b32 v6, v[3:4], off
	s_or_b32 s4, s16, 32
	s_delay_alu instid0(SALU_CYCLE_1) | instskip(SKIP_2) | instid1(SALU_CYCLE_1)
	s_ashr_i32 s8, s4, 5
	s_cmp_lt_i32 s4, s18
	s_cselect_b32 s8, s8, s3
	s_ashr_i32 s9, s8, 31
	s_delay_alu instid0(SALU_CYCLE_1) | instskip(NEXT) | instid1(SALU_CYCLE_1)
	s_lshl_b64 s[8:9], s[8:9], 2
	s_add_u32 s8, s17, s8
	s_addc_u32 s9, s13, s9
	s_or_b32 s4, s16, 64
	s_delay_alu instid0(SALU_CYCLE_1) | instskip(SKIP_2) | instid1(SALU_CYCLE_1)
	s_ashr_i32 s12, s4, 5
	s_cmp_lt_i32 s4, s18
	s_cselect_b32 s24, s12, s3
	s_ashr_i32 s25, s24, 31
	s_delay_alu instid0(SALU_CYCLE_1) | instskip(NEXT) | instid1(SALU_CYCLE_1)
	s_lshl_b64 s[24:25], s[24:25], 2
	s_add_u32 s24, s17, s24
	s_addc_u32 s25, s13, s25
	;; [unrolled: 10-line block ×5, first 2 shown]
	s_clause 0x5
	s_load_b32 s12, s[6:7], 0x0
	s_load_b32 s4, s[8:9], 0x0
	s_load_b32 s6, s[24:25], 0x0
	s_load_b32 s7, s[26:27], 0x0
	s_load_b32 s8, s[28:29], 0x0
	s_load_b32 s9, s[30:31], 0x0
	s_or_b32 s21, s16, 0xc0
	s_waitcnt vmcnt(1)
	v_mad_i64_i32 v[1:2], null, v5, s5, s[22:23]
	v_lshlrev_b32_e32 v5, 4, v68
	s_waitcnt vmcnt(0)
	v_mad_i64_i32 v[3:4], null, v6, s5, s[22:23]
	s_ashr_i32 s22, s21, 5
	s_cmp_lt_i32 s21, s18
	s_delay_alu instid0(VALU_DEP_3) | instskip(NEXT) | instid1(VALU_DEP_4)
	v_add_co_u32 v1, vcc_lo, v1, v5
	v_add_co_ci_u32_e32 v2, vcc_lo, 0, v2, vcc_lo
	s_delay_alu instid0(VALU_DEP_3) | instskip(NEXT) | instid1(VALU_DEP_4)
	v_add_co_u32 v3, vcc_lo, v3, v5
	v_add_co_ci_u32_e32 v4, vcc_lo, 0, v4, vcc_lo
	s_clause 0x7
	global_load_b128 v[71:74], v[1:2], off
	global_load_b128 v[75:78], v[1:2], off offset:512
	global_load_b128 v[79:82], v[3:4], off offset:256
	;; [unrolled: 1-line block ×7, first 2 shown]
	s_cselect_b32 s22, s22, s3
	v_lshlrev_b32_e32 v1, 5, v68
	s_ashr_i32 s23, s22, 31
	v_cmp_ne_u32_e32 vcc_lo, 15, v68
	s_lshl_b64 s[22:23], s[22:23], 2
	s_delay_alu instid0(SALU_CYCLE_1)
	s_add_u32 s22, s17, s22
	s_addc_u32 s23, s13, s23
	s_or_b32 s21, s16, 0xe0
	v_lshl_or_b32 v1, v69, 9, v1
	s_ashr_i32 s24, s21, 5
	s_cmp_lt_i32 s21, s18
	v_cndmask_b32_e32 v103, 0, v68, vcc_lo
	s_cselect_b32 s24, s24, s3
	s_load_b32 s3, s[22:23], 0x0
	s_ashr_i32 s25, s24, 31
	v_cmp_gt_i32_e32 vcc_lo, 32, v128
	s_lshl_b64 s[24:25], s[24:25], 2
	v_lshlrev_b32_e32 v115, 6, v103
	s_add_u32 s22, s17, s24
	s_addc_u32 s23, s13, s25
	v_cndmask_b32_e32 v136, v127, v128, vcc_lo
	s_add_u32 s10, s10, s15
	s_addc_u32 s11, s11, s20
	v_add_co_u32 v1, s10, s10, v1
	s_delay_alu instid0(VALU_DEP_1) | instskip(SKIP_2) | instid1(VALU_DEP_1)
	v_add_co_ci_u32_e64 v2, null, s11, 0, s10
	s_load_b32 s10, s[22:23], 0x0
	s_waitcnt lgkmcnt(0)
	v_mad_i64_i32 v[3:4], null, s12, s5, v[1:2]
	v_mad_i64_i32 v[9:10], null, s7, s5, v[1:2]
	;; [unrolled: 1-line block ×7, first 2 shown]
	s_clause 0x5
	global_load_b128 v[49:52], v[3:4], off
	global_load_b128 v[53:56], v[3:4], off offset:16
	global_load_b128 v[41:44], v[5:6], off
	global_load_b128 v[45:48], v[5:6], off offset:16
	;; [unrolled: 2-line block ×3, first 2 shown]
	s_mov_b32 s4, 0
	v_mad_i64_i32 v[61:62], null, s10, s5, v[1:2]
	s_clause 0x9
	global_load_b128 v[1:4], v[9:10], off
	global_load_b128 v[5:8], v[9:10], off offset:16
	global_load_b128 v[9:12], v[13:14], off
	global_load_b128 v[13:16], v[13:14], off offset:16
	;; [unrolled: 2-line block ×5, first 2 shown]
	s_mov_b32 s5, s4
	s_mov_b32 s6, s4
	;; [unrolled: 1-line block ×7, first 2 shown]
	v_and_b32_e32 v104, 0xe0, v0
	v_dual_mov_b32 v126, s11 :: v_dual_mov_b32 v125, s10
	v_dual_mov_b32 v124, s9 :: v_dual_mov_b32 v123, s8
	s_delay_alu instid0(VALU_DEP_3)
	v_add_nc_u32_e32 v111, s16, v104
	ds_load_b128 v[103:106], v115
	ds_load_b128 v[107:110], v115 offset:1024
	v_dual_mov_b32 v122, s7 :: v_dual_mov_b32 v121, s6
	v_mov_b32_e32 v120, s5
	v_or_b32_e32 v135, v111, v66
	ds_load_b128 v[111:114], v115 offset:2048
	ds_load_b128 v[115:118], v115 offset:3072
	v_mov_b32_e32 v119, s4
	s_waitcnt vmcnt(0) lgkmcnt(0)
	s_barrier
	v_or_b32_e32 v137, 2, v135
	v_or_b32_e32 v138, 4, v135
	;; [unrolled: 1-line block ×3, first 2 shown]
	v_cmp_gt_i32_e32 vcc_lo, s18, v135
	v_or_b32_e32 v140, 8, v135
	v_cmp_gt_i32_e64 s3, s18, v137
	v_or_b32_e32 v141, 10, v135
	v_cmp_gt_i32_e64 s4, s18, v138
	v_cmp_gt_i32_e64 s5, s18, v139
	v_or_b32_e32 v142, 12, v135
	v_or_b32_e32 v143, 14, v135
	v_cmp_gt_i32_e64 s6, s18, v140
	v_cmp_gt_i32_e64 s7, s18, v141
	v_or_b32_e32 v144, 16, v135
	v_or_b32_e32 v145, 18, v135
	v_cmp_gt_i32_e64 s8, s18, v142
	v_cmp_gt_i32_e64 s9, s18, v143
	buffer_gl0_inv
	v_cmp_gt_i32_e64 s10, s18, v144
	v_cmp_gt_i32_e64 s11, s18, v145
	v_wmma_f32_16x16x16_f16 v[127:134], v[71:78], v[103:110], v[119:126]
	v_wmma_f32_16x16x16_f16 v[119:126], v[79:86], v[103:110], v[119:126]
	v_or_b32_e32 v71, 20, v135
	v_or_b32_e32 v72, 22, v135
	s_delay_alu instid0(VALU_DEP_4)
	v_wmma_f32_16x16x16_f16 v[127:134], v[87:94], v[111:118], v[127:134]
	v_or_b32_e32 v73, 24, v135
	v_wmma_f32_16x16x16_f16 v[119:126], v[95:102], v[111:118], v[119:126]
	v_or_b32_e32 v74, 26, v135
	v_cmp_gt_i32_e64 s12, s18, v71
	v_dual_mul_f32 v84, s19, v127 :: v_dual_mul_f32 v83, s19, v128
	s_delay_alu instid0(VALU_DEP_4) | instskip(SKIP_2) | instid1(VALU_DEP_4)
	v_dual_mul_f32 v92, s19, v119 :: v_dual_mul_f32 v81, s19, v130
	v_mul_f32_e32 v90, s19, v121
	v_mul_f32_e32 v82, s19, v129
	v_cndmask_b32_e32 v84, 0xff7fffff, v84, vcc_lo
	v_cndmask_b32_e64 v83, 0xff7fffff, v83, s3
	v_dual_mul_f32 v79, s19, v132 :: v_dual_mul_f32 v88, s19, v123
	v_mul_f32_e32 v80, s19, v131
	v_cndmask_b32_e64 v82, 0xff7fffff, v82, s4
	v_cndmask_b32_e64 v81, 0xff7fffff, v81, s5
	v_max3_f32 v83, v84, 0xff7fffff, v83
	v_dual_mul_f32 v77, s19, v134 :: v_dual_mul_f32 v86, s19, v125
	v_mul_f32_e32 v78, s19, v133
	v_cndmask_b32_e64 v80, 0xff7fffff, v80, s6
	v_cndmask_b32_e64 v79, 0xff7fffff, v79, s7
	v_max3_f32 v81, v83, v82, v81
	v_mul_f32_e32 v91, s19, v120
	v_cndmask_b32_e64 v78, 0xff7fffff, v78, s8
	v_cndmask_b32_e64 v77, 0xff7fffff, v77, s9
	v_mul_f32_e32 v89, s19, v122
	v_max3_f32 v79, v81, v80, v79
	v_cndmask_b32_e64 v80, 0xff7fffff, v92, s10
	v_cndmask_b32_e64 v81, 0xff7fffff, v91, s11
	v_cmp_gt_i32_e64 s13, s18, v72
	v_or_b32_e32 v75, 28, v135
	v_max3_f32 v77, v79, v78, v77
	v_or_b32_e32 v76, 30, v135
	v_mul_f32_e32 v87, s19, v124
	v_cndmask_b32_e64 v71, 0xff7fffff, v90, s12
	v_cndmask_b32_e64 v72, 0xff7fffff, v89, s13
	v_max3_f32 v77, v77, v80, v81
	v_cmp_gt_i32_e64 s15, s18, v73
	v_cmp_gt_i32_e64 s16, s18, v74
	v_mul_f32_e32 v85, s19, v126
	v_cmp_gt_i32_e64 s17, s18, v75
	v_max3_f32 v71, v77, v71, v72
	v_cndmask_b32_e64 v73, 0xff7fffff, v88, s15
	v_cndmask_b32_e64 v74, 0xff7fffff, v87, s16
	v_cmp_gt_i32_e64 s18, s18, v76
	v_cndmask_b32_e64 v72, 0xff7fffff, v86, s17
	s_delay_alu instid0(VALU_DEP_3) | instskip(NEXT) | instid1(VALU_DEP_3)
	v_max3_f32 v71, v71, v73, v74
	v_cndmask_b32_e64 v75, 0xff7fffff, v85, s18
	v_lshlrev_b32_e32 v73, 2, v136
	s_delay_alu instid0(VALU_DEP_2) | instskip(SKIP_3) | instid1(VALU_DEP_1)
	v_max3_f32 v71, v71, v72, v75
	ds_bpermute_b32 v72, v73, v71
	s_waitcnt lgkmcnt(0)
	v_max_f32_e32 v72, v72, v72
	v_max_f32_e32 v71, v71, v72
	s_delay_alu instid0(VALU_DEP_1) | instskip(SKIP_2) | instid1(VALU_DEP_3)
	v_fma_f32 v72, s19, v127, -v71
	v_fma_f32 v74, s19, v128, -v71
	v_fma_f32 v75, s19, v129, -v71
	v_mul_f32_e32 v72, 0x3fb8aa3b, v72
	s_delay_alu instid0(VALU_DEP_2) | instskip(NEXT) | instid1(VALU_DEP_2)
	v_dual_mul_f32 v74, 0x3fb8aa3b, v74 :: v_dual_mul_f32 v75, 0x3fb8aa3b, v75
	v_exp_f32_e32 v72, v72
	s_delay_alu instid0(VALU_DEP_1) | instskip(NEXT) | instid1(VALU_DEP_1)
	v_exp_f32_e32 v74, v74
	v_exp_f32_e32 v75, v75
	s_delay_alu instid0(TRANS32_DEP_3)
	v_cndmask_b32_e32 v79, 0, v72, vcc_lo
	s_waitcnt_depctr 0xfff
	v_cndmask_b32_e64 v78, 0, v74, s3
	v_cndmask_b32_e64 v81, 0, v75, s4
	v_cmp_gt_u32_e64 s3, 16, v70
	v_add_f32_e32 v74, 0, v79
	s_delay_alu instid0(VALU_DEP_1) | instskip(NEXT) | instid1(VALU_DEP_1)
	v_add_f32_e32 v74, v74, v78
	v_add_f32_e32 v74, v74, v81
	v_fma_f32 v76, s19, v130, -v71
	v_fma_f32 v77, s19, v131, -v71
	;; [unrolled: 1-line block ×5, first 2 shown]
	s_delay_alu instid0(VALU_DEP_4) | instskip(NEXT) | instid1(VALU_DEP_4)
	v_dual_mul_f32 v76, 0x3fb8aa3b, v76 :: v_dual_mul_f32 v77, 0x3fb8aa3b, v77
	v_mul_f32_e32 v72, 0x3fb8aa3b, v72
	s_delay_alu instid0(VALU_DEP_4) | instskip(SKIP_1) | instid1(VALU_DEP_4)
	v_mul_f32_e32 v82, 0x3fb8aa3b, v80
	v_fma_f32 v86, s19, v122, -v71
	v_exp_f32_e32 v76, v76
	v_exp_f32_e32 v77, v77
	;; [unrolled: 1-line block ×4, first 2 shown]
	v_mul_f32_e32 v86, 0x3fb8aa3b, v86
	s_delay_alu instid0(VALU_DEP_1)
	v_exp_f32_e32 v88, v86
	v_cndmask_b32_e64 v80, 0, v76, s5
	v_mul_f32_e32 v75, 0x3fb8aa3b, v75
	v_fma_f32 v76, s19, v119, -v71
	v_cndmask_b32_e64 v83, 0, v77, s6
	v_fma_f32 v77, s19, v120, -v71
	v_add_f32_e32 v74, v74, v80
	v_exp_f32_e32 v75, v75
	v_mul_f32_e32 v76, 0x3fb8aa3b, v76
	v_cndmask_b32_e64 v82, 0, v72, s7
	s_delay_alu instid0(VALU_DEP_3) | instskip(SKIP_1) | instid1(VALU_DEP_4)
	v_dual_mul_f32 v77, 0x3fb8aa3b, v77 :: v_dual_add_f32 v72, v74, v83
	v_fma_f32 v74, s19, v121, -v71
	v_exp_f32_e32 v76, v76
	v_cndmask_b32_e64 v85, 0, v84, s8
	s_delay_alu instid0(VALU_DEP_3) | instskip(SKIP_1) | instid1(TRANS32_DEP_3)
	v_exp_f32_e32 v77, v77
	v_cndmask_b32_e64 v88, 0, v88, s13
	v_cndmask_b32_e64 v84, 0, v75, s9
	v_fma_f32 v75, s19, v123, -v71
	v_add_f32_e32 v72, v72, v82
	s_delay_alu instid0(VALU_DEP_2) | instskip(NEXT) | instid1(VALU_DEP_2)
	v_dual_mul_f32 v74, 0x3fb8aa3b, v74 :: v_dual_mul_f32 v75, 0x3fb8aa3b, v75
	v_add_f32_e32 v72, v72, v85
	s_delay_alu instid0(VALU_DEP_2)
	v_exp_f32_e32 v74, v74
	v_cndmask_b32_e64 v87, 0, v76, s10
	v_fma_f32 v76, s19, v124, -v71
	v_cndmask_b32_e64 v86, 0, v77, s11
	v_add_f32_e32 v72, v72, v84
	v_fma_f32 v77, s19, v125, -v71
	v_exp_f32_e32 v75, v75
	v_mul_f32_e32 v76, 0x3fb8aa3b, v76
	s_delay_alu instid0(VALU_DEP_3) | instskip(NEXT) | instid1(TRANS32_DEP_2)
	v_add_f32_e32 v72, v72, v87
	v_cndmask_b32_e64 v89, 0, v74, s12
	v_mul_f32_e32 v74, 0x3fb8aa3b, v77
	s_delay_alu instid0(VALU_DEP_4) | instskip(SKIP_2) | instid1(VALU_DEP_3)
	v_exp_f32_e32 v76, v76
	v_fma_f32 v77, s19, v126, -v71
	v_add_f32_e32 v72, v72, v86
	v_exp_f32_e32 v74, v74
	s_delay_alu instid0(TRANS32_DEP_3) | instskip(NEXT) | instid1(VALU_DEP_3)
	v_cndmask_b32_e64 v91, 0, v75, s15
	v_mul_f32_e32 v75, 0x3fb8aa3b, v77
	s_delay_alu instid0(VALU_DEP_3) | instskip(NEXT) | instid1(TRANS32_DEP_2)
	v_add_f32_e32 v72, v72, v89
	v_cndmask_b32_e64 v90, 0, v76, s16
	s_delay_alu instid0(VALU_DEP_3) | instskip(NEXT) | instid1(VALU_DEP_2)
	v_exp_f32_e32 v75, v75
	v_add_f32_e32 v72, v72, v88
	s_delay_alu instid0(TRANS32_DEP_2) | instskip(NEXT) | instid1(VALU_DEP_2)
	v_cndmask_b32_e64 v93, 0, v74, s17
	v_add_f32_e32 v72, v72, v91
	s_waitcnt_depctr 0xfff
	v_cndmask_b32_e64 v92, 0, v75, s18
	v_add_f32_e32 v72, v72, v90
	s_delay_alu instid0(VALU_DEP_1) | instskip(NEXT) | instid1(VALU_DEP_1)
	v_add_f32_e32 v72, v72, v93
	v_add_f32_e32 v72, v72, v92
	ds_bpermute_b32 v73, v73, v72
	s_and_saveexec_b32 s4, s3
	s_cbranch_execz .LBB884_12
; %bb.11:
	v_mul_u32_u24_e32 v70, 0x44, v69
	s_waitcnt lgkmcnt(0)
	v_add_f32_e32 v72, v72, v73
	s_delay_alu instid0(VALU_DEP_2) | instskip(NEXT) | instid1(VALU_DEP_1)
	v_lshl_add_u32 v70, v68, 2, v70
	v_add_nc_u32_e32 v70, 0x4000, v70
	ds_store_2addr_b32 v70, v71, v72 offset1:136
.LBB884_12:
	s_or_b32 exec_lo, exec_lo, s4
	v_lshlrev_b32_e32 v70, 2, v68
	s_load_b32 s36, s[0:1], 0x94
	s_waitcnt lgkmcnt(0)
	s_barrier
	buffer_gl0_inv
	v_add_nc_u32_e32 v98, 0x4000, v70
	v_cmp_eq_u32_e32 vcc_lo, 1, v69
	v_cmp_eq_u32_e64 s4, 2, v69
	v_cmp_eq_u32_e64 s5, 3, v69
	;; [unrolled: 1-line block ×3, first 2 shown]
	ds_load_2addr_b32 v[70:71], v98 offset1:17
	ds_load_2addr_b32 v[72:73], v98 offset0:34 offset1:51
	ds_load_2addr_b32 v[74:75], v98 offset0:68 offset1:85
	;; [unrolled: 1-line block ×3, first 2 shown]
	v_cmp_eq_u32_e64 s7, 5, v69
	v_cmp_eq_u32_e64 s8, 7, v69
	s_waitcnt lgkmcnt(3)
	v_max3_f32 v76, v70, 0xff7fffff, v71
	s_waitcnt lgkmcnt(2)
	s_delay_alu instid0(VALU_DEP_1) | instskip(SKIP_1) | instid1(VALU_DEP_1)
	v_max3_f32 v76, v76, v72, v73
	s_waitcnt lgkmcnt(1)
	v_max3_f32 v76, v76, v74, v75
	s_waitcnt lgkmcnt(0)
	s_delay_alu instid0(VALU_DEP_1) | instskip(NEXT) | instid1(VALU_DEP_1)
	v_max3_f32 v76, v76, v94, v95
	v_sub_f32_e32 v77, v71, v76
	ds_load_2addr_b32 v[96:97], v98 offset0:136 offset1:153
	v_sub_f32_e32 v74, v74, v76
	v_sub_f32_e32 v70, v70, v76
	;; [unrolled: 1-line block ×3, first 2 shown]
	v_dual_sub_f32 v72, v72, v76 :: v_dual_mul_f32 v77, 0x3fb8aa3b, v77
	s_delay_alu instid0(VALU_DEP_4) | instskip(NEXT) | instid1(VALU_DEP_4)
	v_mul_f32_e32 v103, 0x3fb8aa3b, v74
	v_mul_f32_e32 v99, 0x3fb8aa3b, v70
	ds_load_2addr_b32 v[70:71], v98 offset0:170 offset1:187
	v_dual_mul_f32 v101, 0x3fb8aa3b, v72 :: v_dual_mul_f32 v94, 0x3fb8aa3b, v94
	v_exp_f32_e32 v102, v77
	v_exp_f32_e32 v99, v99
	s_delay_alu instid0(VALU_DEP_1) | instskip(NEXT) | instid1(VALU_DEP_1)
	v_exp_f32_e32 v101, v101
	v_exp_f32_e32 v94, v94
	s_waitcnt lgkmcnt(1)
	s_delay_alu instid0(TRANS32_DEP_3)
	v_fma_f32 v77, v99, v96, 0
	v_sub_f32_e32 v100, v73, v76
	ds_load_2addr_b32 v[72:73], v98 offset0:204 offset1:221
	v_fmac_f32_e32 v77, v102, v97
	v_exp_f32_e32 v97, v103
	s_waitcnt lgkmcnt(1)
	s_delay_alu instid0(VALU_DEP_1)
	v_dual_fmac_f32 v77, v101, v70 :: v_dual_sub_f32 v96, v75, v76
	ds_load_2addr_b32 v[74:75], v98 offset0:238 offset1:255
	v_sub_f32_e32 v70, v95, v76
	s_waitcnt lgkmcnt(0)
	s_barrier
	v_mul_f32_e32 v96, 0x3fb8aa3b, v96
	buffer_gl0_inv
	v_exp_f32_e32 v95, v96
	v_mul_f32_e32 v100, 0x3fb8aa3b, v100
	s_delay_alu instid0(VALU_DEP_1) | instskip(SKIP_3) | instid1(VALU_DEP_2)
	v_exp_f32_e32 v100, v100
	s_waitcnt_depctr 0xfff
	v_dual_fmac_f32 v77, v100, v71 :: v_dual_mul_f32 v70, 0x3fb8aa3b, v70
	v_cndmask_b32_e32 v71, v99, v102, vcc_lo
	v_fmac_f32_e32 v77, v97, v72
	s_delay_alu instid0(VALU_DEP_3) | instskip(NEXT) | instid1(VALU_DEP_1)
	v_exp_f32_e32 v96, v70
	v_fmac_f32_e32 v77, v95, v73
	s_delay_alu instid0(VALU_DEP_1) | instskip(SKIP_2) | instid1(VALU_DEP_1)
	v_fmac_f32_e32 v77, v94, v74
	s_waitcnt_depctr 0xfff
	v_fmac_f32_e32 v77, v96, v75
	v_add_f32_e32 v74, 0x358637bd, v77
	s_delay_alu instid0(VALU_DEP_1) | instskip(SKIP_1) | instid1(VALU_DEP_2)
	v_div_scale_f32 v98, null, v74, v74, 1.0
	v_div_scale_f32 v99, vcc_lo, 1.0, v74, 1.0
	v_rcp_f32_e32 v103, v98
	s_waitcnt_depctr 0xfff
	v_fma_f32 v70, -v98, v103, 1.0
	s_delay_alu instid0(VALU_DEP_1) | instskip(SKIP_2) | instid1(VALU_DEP_2)
	v_fmac_f32_e32 v103, v70, v103
	v_cndmask_b32_e64 v70, v71, v101, s4
	v_cmp_eq_u32_e64 s4, 6, v69
	v_cndmask_b32_e64 v71, v70, v100, s5
	s_delay_alu instid0(VALU_DEP_4) | instskip(NEXT) | instid1(VALU_DEP_2)
	v_dual_mul_f32 v101, v99, v103 :: v_dual_lshlrev_b32 v70, 2, v66
	v_cndmask_b32_e64 v71, v71, v97, s6
	s_delay_alu instid0(VALU_DEP_2) | instskip(NEXT) | instid1(VALU_DEP_3)
	v_or_b32_e32 v72, 1, v70
	v_fma_f32 v100, -v98, v101, v99
	v_cmp_eq_u32_e64 s5, 1, v70
	v_cmp_eq_u32_e64 s6, 2, v70
	v_cndmask_b32_e64 v95, v71, v95, s7
	v_or_b32_e32 v71, 3, v70
	v_fmac_f32_e32 v101, v100, v103
	v_cmp_eq_u32_e64 s10, 1, v72
	v_cmp_eq_u32_e64 s13, 2, v72
	v_cndmask_b32_e64 v94, v95, v94, s4
	v_cmp_eq_u32_e64 s12, 1, v71
	v_fma_f32 v97, -v98, v101, v99
	v_cmp_eq_u32_e64 s17, 2, v71
	v_cmp_eq_u32_e64 s15, 3, v72
	v_cndmask_b32_e64 v94, v94, v96, s8
	v_cmp_eq_u32_e64 s19, 3, v71
	v_div_fmas_f32 v95, v97, v103, v101
	v_cmp_eq_u32_e32 vcc_lo, 3, v70
	v_cmp_eq_u32_e64 s4, 4, v70
	v_cmp_eq_u32_e64 s20, 4, v72
	;; [unrolled: 1-line block ×3, first 2 shown]
	v_div_fixup_f32 v95, v95, v74, 1.0
	v_lshlrev_b32_e32 v73, 6, v68
	v_cmp_eq_u32_e64 s7, 5, v70
	v_cmp_eq_u32_e64 s21, 5, v72
	v_cmp_eq_u32_e64 s25, 5, v71
	v_mul_f32_e32 v102, v94, v95
	v_lshl_or_b32 v75, v69, 11, v73
	v_or_b32_e32 v69, 2, v70
	v_cmp_eq_u32_e64 s26, 6, v72
	v_cmp_eq_u32_e64 s28, 6, v71
	v_fma_mixlo_f16 v94, v102, v79, 0
	v_fma_mixlo_f16 v95, v102, v81, 0
	;; [unrolled: 1-line block ×8, first 2 shown]
	v_lshl_or_b32 v74, v66, 4, v75
	v_fma_mixhi_f16 v94, v102, v78, 0
	v_fma_mixhi_f16 v95, v102, v80, 0
	;; [unrolled: 1-line block ×8, first 2 shown]
	ds_store_b128 v74, v[94:97]
	ds_store_b128 v74, v[98:101] offset:1024
	s_waitcnt lgkmcnt(0)
	s_barrier
	buffer_gl0_inv
	ds_load_b128 v[78:81], v75
	ds_load_b128 v[82:85], v75 offset:16
	ds_load_b128 v[86:89], v75 offset:1024
	;; [unrolled: 1-line block ×3, first 2 shown]
	v_cmp_eq_u32_e64 s11, 1, v69
	v_cmp_eq_u32_e64 s16, 2, v69
	;; [unrolled: 1-line block ×11, first 2 shown]
	s_waitcnt lgkmcnt(3)
	v_lshrrev_b32_e32 v94, 16, v78
	s_waitcnt lgkmcnt(2)
	v_lshrrev_b32_e32 v98, 16, v82
	;; [unrolled: 2-line block ×4, first 2 shown]
	v_lshrrev_b32_e32 v95, 16, v79
	v_cndmask_b32_e64 v110, v78, v94, s5
	v_cndmask_b32_e64 v111, v82, v98, s5
	;; [unrolled: 1-line block ×8, first 2 shown]
	v_lshrrev_b32_e32 v99, 16, v83
	v_cndmask_b32_e64 v94, v86, v102, s5
	v_cndmask_b32_e64 v98, v90, v106, s5
	;; [unrolled: 1-line block ×15, first 2 shown]
	v_lshrrev_b32_e32 v103, 16, v87
	v_lshrrev_b32_e32 v107, 16, v91
	v_cndmask_b32_e64 v113, v115, v83, s16
	v_cndmask_b32_e64 v82, v94, v87, s6
	;; [unrolled: 1-line block ×7, first 2 shown]
	v_cndmask_b32_e32 v90, v102, v95, vcc_lo
	v_cndmask_b32_e32 v102, v106, v99, vcc_lo
	v_cndmask_b32_e64 v106, v110, v95, s15
	v_cndmask_b32_e64 v110, v111, v99, s15
	v_cndmask_b32_e64 v78, v78, v95, s19
	v_cndmask_b32_e64 v79, v79, v99, s19
	v_lshrrev_b32_e32 v96, 16, v80
	v_lshrrev_b32_e32 v100, 16, v84
	v_cndmask_b32_e64 v111, v112, v95, s18
	v_cndmask_b32_e64 v112, v113, v99, s18
	v_cndmask_b32_e32 v82, v82, v103, vcc_lo
	v_cndmask_b32_e32 v83, v83, v107, vcc_lo
	v_cndmask_b32_e64 v94, v94, v103, s15
	v_cndmask_b32_e64 v90, v90, v80, s4
	;; [unrolled: 1-line block ×7, first 2 shown]
	v_lshrrev_b32_e32 v104, 16, v88
	v_cndmask_b32_e64 v106, v111, v80, s22
	v_cndmask_b32_e64 v110, v112, v84, s22
	;; [unrolled: 1-line block ×11, first 2 shown]
	v_lshrrev_b32_e32 v97, 16, v81
	v_lshrrev_b32_e32 v101, 16, v85
	v_cndmask_b32_e64 v99, v106, v96, s24
	v_cndmask_b32_e64 v102, v110, v100, s24
	v_cndmask_b32_e64 v83, v83, v104, s21
	v_cndmask_b32_e64 v94, v94, v81, s26
	v_cndmask_b32_e64 v95, v95, v85, s26
	v_cndmask_b32_e64 v78, v78, v81, s28
	v_cndmask_b32_e64 v79, v79, v85, s28
	v_lshrrev_b32_e32 v105, 16, v89
	v_cndmask_b32_e64 v80, v80, v104, s7
	v_cndmask_b32_e64 v84, v84, v81, s8
	;; [unrolled: 1-line block ×16, first 2 shown]
	v_perm_b32 v81, v79, v78, 0x5040100
	v_perm_b32 v79, v95, v85, 0x5040100
	v_cndmask_b32_e64 v78, v119, v91, s16
	v_cndmask_b32_e64 v85, v117, v91, s13
	;; [unrolled: 1-line block ×3, first 2 shown]
	v_perm_b32 v80, v94, v90, 0x5040100
	v_cndmask_b32_e64 v90, v98, v103, s18
	v_cndmask_b32_e64 v86, v86, v103, s19
	;; [unrolled: 1-line block ×5, first 2 shown]
	v_lshrrev_b32_e32 v108, 16, v92
	v_cndmask_b32_e64 v90, v90, v88, s22
	v_cndmask_b32_e64 v86, v86, v88, s23
	;; [unrolled: 1-line block ×11, first 2 shown]
	v_lshrrev_b32_e32 v109, 16, v93
	v_cndmask_b32_e64 v82, v82, v93, s8
	v_cndmask_b32_e64 v88, v88, v89, s27
	v_cndmask_b32_e64 v86, v86, v89, s28
	v_cndmask_b32_e64 v87, v87, v93, s28
	v_cndmask_b32_e64 v78, v78, v93, s27
	v_cndmask_b32_e64 v85, v85, v93, s26
	v_cndmask_b32_e64 v88, v88, v105, s29
	v_cndmask_b32_e64 v86, v86, v105, s30
	v_cndmask_b32_e64 v87, v87, v109, s30
	v_cndmask_b32_e64 v89, v78, v109, s29
	v_cndmask_b32_e64 v90, v85, v109, s31
	v_cndmask_b32_e64 v82, v82, v109, s9
	v_perm_b32 v78, v84, v83, 0x5040100
	v_perm_b32 v85, v87, v86, 0x5040100
	;; [unrolled: 1-line block ×5, first 2 shown]
	s_mul_i32 s9, s35, 15
	s_mov_b32 s4, exec_lo
	ds_store_b128 v74, v[78:81]
	ds_store_b128 v74, v[82:85] offset:1024
	v_cmpx_gt_u32_e32 15, v0
	s_cbranch_execz .LBB884_14
; %bb.13:
	s_mul_i32 s5, s9, s34
	s_load_b128 s[16:19], s[0:1], 0x58
	v_add3_u32 v68, s5, s33, v68
	s_delay_alu instid0(VALU_DEP_1) | instskip(NEXT) | instid1(VALU_DEP_1)
	v_mad_u64_u32 v[78:79], null, v68, s36, s[14:15]
	v_ashrrev_i32_e32 v79, 31, v78
	s_delay_alu instid0(VALU_DEP_1) | instskip(SKIP_1) | instid1(VALU_DEP_1)
	v_lshlrev_b64 v[78:79], 2, v[78:79]
	s_waitcnt lgkmcnt(0)
	v_add_co_u32 v80, vcc_lo, s18, v78
	s_delay_alu instid0(VALU_DEP_2)
	v_add_co_ci_u32_e32 v81, vcc_lo, s19, v79, vcc_lo
	v_add_co_u32 v78, vcc_lo, s16, v78
	v_add_co_ci_u32_e32 v79, vcc_lo, s17, v79, vcc_lo
	global_store_b32 v[80:81], v76, off
	global_store_b32 v[78:79], v77, off
.LBB884_14:
	s_or_b32 exec_lo, exec_lo, s4
	s_waitcnt lgkmcnt(0)
	s_waitcnt_vscnt null, 0x0
	s_barrier
	buffer_gl0_inv
	ds_load_b128 v[84:87], v73
	ds_load_b128 v[88:91], v73 offset:16
	ds_load_b128 v[96:99], v73 offset:2064
	;; [unrolled: 1-line block ×5, first 2 shown]
	v_cmp_eq_u32_e32 vcc_lo, 1, v70
	v_mov_b32_e32 v76, 0
	ds_load_b128 v[112:115], v73 offset:6160
	ds_load_b128 v[108:111], v73 offset:6144
	ds_load_b128 v[120:123], v73 offset:8208
	ds_load_b128 v[116:119], v73 offset:8192
	v_cmp_eq_u32_e64 s5, 1, v69
	v_cmp_eq_u32_e64 s4, 1, v72
	;; [unrolled: 1-line block ×3, first 2 shown]
	v_mov_b32_e32 v77, v76
	v_mov_b32_e32 v78, v76
	;; [unrolled: 1-line block ×7, first 2 shown]
	v_cmp_eq_u32_e64 s7, 3, v72
	v_cmp_eq_u32_e64 s8, 7, v72
	s_waitcnt lgkmcnt(8)
	s_delay_alu instid0(VALU_DEP_3)
	v_wmma_f32_16x16x16_f16 v[76:83], v[49:56], v[84:91], v[76:83]
	ds_load_b128 v[53:56], v73 offset:10256
	ds_load_b128 v[49:52], v73 offset:10240
	s_waitcnt lgkmcnt(8)
	v_wmma_f32_16x16x16_f16 v[76:83], v[41:48], v[92:99], v[76:83]
	ds_load_b128 v[45:48], v73 offset:12304
	ds_load_b128 v[41:44], v73 offset:12288
	s_waitcnt lgkmcnt(8)
	;; [unrolled: 4-line block ×3, first 2 shown]
	s_barrier
	buffer_gl0_inv
	v_wmma_f32_16x16x16_f16 v[76:83], v[1:8], v[108:115], v[76:83]
	s_delay_alu instid0(VALU_DEP_1) | instskip(NEXT) | instid1(VALU_DEP_1)
	v_wmma_f32_16x16x16_f16 v[76:83], v[9:16], v[116:123], v[76:83]
	v_wmma_f32_16x16x16_f16 v[76:83], v[17:24], v[49:56], v[76:83]
	s_delay_alu instid0(VALU_DEP_1) | instskip(NEXT) | instid1(VALU_DEP_1)
	v_wmma_f32_16x16x16_f16 v[76:83], v[25:32], v[41:48], v[76:83]
	v_wmma_f32_16x16x16_f16 v[76:83], v[57:64], v[33:40], v[76:83]
	s_delay_alu instid0(VALU_DEP_1) | instskip(NEXT) | instid1(VALU_DEP_2)
	v_cvt_f16_f32_e32 v1, v76
	v_cvt_f16_f32_e32 v2, v77
	s_delay_alu instid0(VALU_DEP_3) | instskip(NEXT) | instid1(VALU_DEP_4)
	v_cvt_f16_f32_e32 v3, v78
	v_cvt_f16_f32_e32 v4, v79
	;; [unrolled: 1-line block ×6, first 2 shown]
	v_pack_b32_f16 v1, v1, v2
	v_pack_b32_f16 v2, v3, v4
	;; [unrolled: 1-line block ×3, first 2 shown]
	s_delay_alu instid0(VALU_DEP_4)
	v_pack_b32_f16 v4, v7, v8
	ds_store_b128 v74, v[1:4]
	s_waitcnt lgkmcnt(0)
	s_barrier
	buffer_gl0_inv
	ds_load_b128 v[1:4], v75
	ds_load_b128 v[5:8], v75 offset:16
	s_waitcnt lgkmcnt(1)
	v_lshrrev_b32_e32 v9, 16, v1
	s_waitcnt lgkmcnt(0)
	v_lshrrev_b32_e32 v13, 16, v5
	v_lshrrev_b32_e32 v10, 16, v2
	;; [unrolled: 1-line block ×4, first 2 shown]
	v_cndmask_b32_e32 v17, v1, v9, vcc_lo
	v_cndmask_b32_e32 v18, v5, v13, vcc_lo
	v_cndmask_b32_e64 v21, v1, v9, s5
	v_cmp_eq_u32_e32 vcc_lo, 1, v71
	v_cndmask_b32_e64 v22, v5, v13, s5
	v_cmp_eq_u32_e64 s5, 2, v70
	v_cndmask_b32_e64 v19, v1, v9, s4
	v_cndmask_b32_e64 v20, v5, v13, s4
	v_cndmask_b32_e32 v1, v1, v9, vcc_lo
	v_cmp_eq_u32_e64 s4, 2, v71
	v_cndmask_b32_e32 v5, v5, v13, vcc_lo
	v_cndmask_b32_e64 v9, v17, v2, s5
	v_cmp_eq_u32_e32 vcc_lo, 3, v70
	v_cndmask_b32_e64 v13, v18, v6, s5
	v_cmp_eq_u32_e64 s5, 2, v69
	v_cndmask_b32_e64 v17, v19, v2, s6
	v_cndmask_b32_e64 v18, v20, v6, s6
	v_cmp_eq_u32_e64 s6, 3, v69
	v_cndmask_b32_e64 v1, v1, v2, s4
	v_cndmask_b32_e64 v19, v21, v2, s5
	;; [unrolled: 1-line block ×4, first 2 shown]
	v_cndmask_b32_e32 v5, v9, v10, vcc_lo
	v_cndmask_b32_e32 v6, v13, v14, vcc_lo
	v_cmp_eq_u32_e32 vcc_lo, 3, v71
	v_cndmask_b32_e64 v9, v17, v10, s7
	v_cndmask_b32_e64 v13, v18, v14, s7
	;; [unrolled: 1-line block ×3, first 2 shown]
	v_cmp_eq_u32_e64 s5, 4, v70
	v_cndmask_b32_e32 v1, v1, v10, vcc_lo
	v_cndmask_b32_e32 v2, v2, v14, vcc_lo
	v_cmp_eq_u32_e32 vcc_lo, 4, v72
	v_lshrrev_b32_e32 v15, 16, v7
	v_lshrrev_b32_e32 v16, 16, v8
	v_cndmask_b32_e64 v17, v19, v10, s6
	v_cmp_eq_u32_e64 s4, 4, v71
	v_cndmask_b32_e64 v5, v5, v3, s5
	v_cndmask_b32_e64 v6, v6, v7, s5
	v_cndmask_b32_e32 v9, v9, v3, vcc_lo
	v_cmp_eq_u32_e64 s5, 5, v72
	v_cndmask_b32_e32 v10, v13, v7, vcc_lo
	v_cmp_eq_u32_e32 vcc_lo, 4, v69
	v_cmp_eq_u32_e64 s6, 5, v70
	v_cndmask_b32_e64 v2, v2, v7, s4
	v_cndmask_b32_e64 v9, v9, v11, s5
	v_cndmask_b32_e64 v10, v10, v15, s5
	v_cndmask_b32_e32 v13, v17, v3, vcc_lo
	v_cmp_eq_u32_e64 s5, 5, v69
	v_cndmask_b32_e32 v14, v18, v7, vcc_lo
	v_cndmask_b32_e64 v1, v1, v3, s4
	v_cmp_eq_u32_e32 vcc_lo, 5, v71
	v_lshrrev_b32_e32 v12, 16, v4
	v_cndmask_b32_e64 v13, v13, v11, s5
	v_cndmask_b32_e64 v3, v14, v15, s5
	v_cmp_eq_u32_e64 s5, 6, v71
	v_cndmask_b32_e32 v1, v1, v11, vcc_lo
	v_cndmask_b32_e64 v5, v5, v11, s6
	v_cmp_eq_u32_e64 s7, 6, v70
	v_cndmask_b32_e64 v6, v6, v15, s6
	v_cmp_eq_u32_e64 s6, 6, v72
	v_cmp_eq_u32_e64 s4, 6, v69
	v_cndmask_b32_e64 v1, v1, v4, s5
	v_cndmask_b32_e32 v2, v2, v15, vcc_lo
	v_cmp_eq_u32_e32 vcc_lo, 7, v71
	v_cndmask_b32_e64 v5, v5, v4, s7
	v_cndmask_b32_e64 v9, v9, v4, s6
	;; [unrolled: 1-line block ×3, first 2 shown]
	v_cmp_eq_u32_e64 s7, 7, v70
	v_cndmask_b32_e32 v1, v1, v12, vcc_lo
	v_cndmask_b32_e64 v7, v13, v4, s4
	v_cndmask_b32_e64 v3, v3, v8, s4
	;; [unrolled: 1-line block ×3, first 2 shown]
	v_cmp_eq_u32_e64 s4, 7, v69
	v_cndmask_b32_e64 v4, v10, v8, s6
	v_cndmask_b32_e64 v5, v5, v12, s7
	;; [unrolled: 1-line block ×3, first 2 shown]
	v_cndmask_b32_e32 v2, v2, v16, vcc_lo
	v_cndmask_b32_e64 v7, v7, v12, s4
	v_cndmask_b32_e64 v3, v3, v16, s4
	;; [unrolled: 1-line block ×4, first 2 shown]
	v_cmp_gt_u32_e32 vcc_lo, 32, v0
	v_perm_b32 v4, v2, v1, 0x5040100
	v_perm_b32 v3, v3, v7, 0x5040100
	;; [unrolled: 1-line block ×4, first 2 shown]
	s_and_b32 s2, vcc_lo, s2
	ds_store_b128 v74, v[1:4]
	s_waitcnt lgkmcnt(0)
	s_barrier
	buffer_gl0_inv
	s_and_saveexec_b32 s4, s2
	s_cbranch_execz .LBB884_2
; %bb.15:
	s_load_b64 s[4:5], s[0:1], 0x68
	v_add_nc_u32_e32 v20, s33, v66
	v_lshlrev_b32_e32 v0, 10, v0
	v_lshlrev_b32_e32 v1, 4, v67
	s_lshl_b32 s0, s36, 6
	s_delay_alu instid0(SALU_CYCLE_1)
	s_mul_i32 s1, s0, s34
	v_add_nc_u32_e32 v2, 2, v20
	s_mul_i32 s6, s1, s9
	v_and_or_b32 v0, 0x3800, v0, v1
	v_mul_lo_u32 v1, v20, s0
	s_ashr_i32 s7, s6, 31
	v_mul_lo_u32 v11, v2, s0
	s_lshl_b64 s[6:7], s[6:7], 1
	v_add_nc_u32_e32 v3, 4, v20
	v_lshl_or_b32 v21, v66, 6, v0
	v_add_nc_u32_e32 v16, 6, v20
	v_ashrrev_i32_e32 v2, 31, v1
	s_delay_alu instid0(VALU_DEP_4)
	v_mul_lo_u32 v13, v3, s0
	s_waitcnt lgkmcnt(0)
	s_add_u32 s1, s4, s6
	s_addc_u32 s2, s5, s7
	s_lshl_b32 s4, s14, 6
	ds_load_b128 v[3:6], v21
	ds_load_b128 v[7:10], v21 offset:128
	s_ashr_i32 s5, s4, 31
	v_ashrrev_i32_e32 v12, 31, v11
	s_lshl_b64 s[4:5], s[4:5], 1
	v_lshlrev_b64 v[14:15], 1, v[1:2]
	s_add_u32 s1, s1, s4
	s_addc_u32 s2, s2, s5
	v_add_co_u32 v1, s1, s1, v65
	s_delay_alu instid0(VALU_DEP_1) | instskip(SKIP_1) | instid1(VALU_DEP_3)
	v_add_co_ci_u32_e64 v2, null, s2, 0, s1
	v_lshlrev_b64 v[11:12], 1, v[11:12]
	v_add_co_u32 v18, vcc_lo, v1, v14
	v_mul_lo_u32 v16, v16, s0
	s_delay_alu instid0(VALU_DEP_4) | instskip(NEXT) | instid1(VALU_DEP_4)
	v_add_co_ci_u32_e32 v19, vcc_lo, v2, v15, vcc_lo
	v_add_co_u32 v11, vcc_lo, v1, v11
	v_ashrrev_i32_e32 v14, 31, v13
	v_add_co_ci_u32_e32 v12, vcc_lo, v2, v12, vcc_lo
	v_add_nc_u32_e32 v15, 8, v20
	v_ashrrev_i32_e32 v17, 31, v16
	s_waitcnt lgkmcnt(1)
	global_store_b128 v[18:19], v[3:6], off
	v_lshlrev_b64 v[3:4], 1, v[13:14]
	s_waitcnt lgkmcnt(0)
	global_store_b128 v[11:12], v[7:10], off
	v_mul_lo_u32 v11, v15, s0
	v_add_nc_u32_e32 v7, 10, v20
	v_lshlrev_b64 v[5:6], 1, v[16:17]
	v_add_co_u32 v23, vcc_lo, v1, v3
	v_add_nc_u32_e32 v3, 12, v20
	s_delay_alu instid0(VALU_DEP_4)
	v_mul_lo_u32 v25, v7, s0
	v_ashrrev_i32_e32 v12, 31, v11
	v_add_co_ci_u32_e32 v24, vcc_lo, v2, v4, vcc_lo
	v_add_co_u32 v27, vcc_lo, v1, v5
	v_mul_lo_u32 v29, v3, s0
	v_add_co_ci_u32_e32 v28, vcc_lo, v2, v6, vcc_lo
	ds_load_b128 v[3:6], v21 offset:256
	ds_load_b128 v[7:10], v21 offset:384
	v_lshlrev_b64 v[31:32], 1, v[11:12]
	ds_load_b128 v[11:14], v21 offset:512
	ds_load_b128 v[15:18], v21 offset:640
	;; [unrolled: 1-line block ×3, first 2 shown]
	v_ashrrev_i32_e32 v26, 31, v25
	v_ashrrev_i32_e32 v30, 31, v29
	v_add_co_u32 v31, vcc_lo, v1, v31
	s_delay_alu instid0(VALU_DEP_3) | instskip(NEXT) | instid1(VALU_DEP_3)
	v_lshlrev_b64 v[25:26], 1, v[25:26]
	v_lshlrev_b64 v[29:30], 1, v[29:30]
	v_add_co_ci_u32_e32 v32, vcc_lo, v2, v32, vcc_lo
	s_delay_alu instid0(VALU_DEP_3) | instskip(NEXT) | instid1(VALU_DEP_4)
	v_add_co_u32 v25, vcc_lo, v1, v25
	v_add_co_ci_u32_e32 v26, vcc_lo, v2, v26, vcc_lo
	s_delay_alu instid0(VALU_DEP_4)
	v_add_co_u32 v29, vcc_lo, v1, v29
	v_add_co_ci_u32_e32 v30, vcc_lo, v2, v30, vcc_lo
	s_waitcnt lgkmcnt(4)
	global_store_b128 v[23:24], v[3:6], off
	s_waitcnt lgkmcnt(3)
	global_store_b128 v[27:28], v[7:10], off
	;; [unrolled: 2-line block ×5, first 2 shown]
	s_and_b32 exec_lo, exec_lo, s3
	s_cbranch_execz .LBB884_2
; %bb.16:
	ds_load_b128 v[3:6], v0 offset:896
	s_add_i32 s1, s33, 14
	s_delay_alu instid0(SALU_CYCLE_1) | instskip(NEXT) | instid1(SALU_CYCLE_1)
	s_mul_i32 s0, s1, s0
	s_ashr_i32 s1, s0, 31
	s_delay_alu instid0(SALU_CYCLE_1) | instskip(NEXT) | instid1(SALU_CYCLE_1)
	s_lshl_b64 s[0:1], s[0:1], 1
	v_add_co_u32 v0, vcc_lo, v1, s0
	v_add_co_ci_u32_e32 v1, vcc_lo, s1, v2, vcc_lo
	s_waitcnt lgkmcnt(0)
	global_store_b128 v[0:1], v[3:6], off
	s_nop 0
	s_sendmsg sendmsg(MSG_DEALLOC_VGPRS)
	s_endpgm
	.section	.rodata,"a",@progbits
	.p2align	6, 0x0
	.amdhsa_kernel _Z39paged_attention_ll4mi_QKV_mfma16_kernelIDF16_hLN4vllm18Fp8KVCacheDataTypeE1EhLi32ELi64ELi256ELb0ELi15EL8MFMAType1EEvPKT_PKT0_S8_ifPKiSA_SA_iPKfiiiPfSD_PS3_PT2_iSC_SC_
		.amdhsa_group_segment_fixed_size 17472
		.amdhsa_private_segment_fixed_size 0
		.amdhsa_kernarg_size 400
		.amdhsa_user_sgpr_count 13
		.amdhsa_user_sgpr_dispatch_ptr 0
		.amdhsa_user_sgpr_queue_ptr 0
		.amdhsa_user_sgpr_kernarg_segment_ptr 1
		.amdhsa_user_sgpr_dispatch_id 0
		.amdhsa_user_sgpr_private_segment_size 0
		.amdhsa_wavefront_size32 1
		.amdhsa_uses_dynamic_stack 0
		.amdhsa_enable_private_segment 0
		.amdhsa_system_sgpr_workgroup_id_x 1
		.amdhsa_system_sgpr_workgroup_id_y 1
		.amdhsa_system_sgpr_workgroup_id_z 1
		.amdhsa_system_sgpr_workgroup_info 0
		.amdhsa_system_vgpr_workitem_id 0
		.amdhsa_next_free_vgpr 146
		.amdhsa_next_free_sgpr 37
		.amdhsa_reserve_vcc 1
		.amdhsa_float_round_mode_32 0
		.amdhsa_float_round_mode_16_64 0
		.amdhsa_float_denorm_mode_32 3
		.amdhsa_float_denorm_mode_16_64 3
		.amdhsa_dx10_clamp 1
		.amdhsa_ieee_mode 1
		.amdhsa_fp16_overflow 0
		.amdhsa_workgroup_processor_mode 1
		.amdhsa_memory_ordered 1
		.amdhsa_forward_progress 0
		.amdhsa_shared_vgpr_count 0
		.amdhsa_exception_fp_ieee_invalid_op 0
		.amdhsa_exception_fp_denorm_src 0
		.amdhsa_exception_fp_ieee_div_zero 0
		.amdhsa_exception_fp_ieee_overflow 0
		.amdhsa_exception_fp_ieee_underflow 0
		.amdhsa_exception_fp_ieee_inexact 0
		.amdhsa_exception_int_div_zero 0
	.end_amdhsa_kernel
	.section	.text._Z39paged_attention_ll4mi_QKV_mfma16_kernelIDF16_hLN4vllm18Fp8KVCacheDataTypeE1EhLi32ELi64ELi256ELb0ELi15EL8MFMAType1EEvPKT_PKT0_S8_ifPKiSA_SA_iPKfiiiPfSD_PS3_PT2_iSC_SC_,"axG",@progbits,_Z39paged_attention_ll4mi_QKV_mfma16_kernelIDF16_hLN4vllm18Fp8KVCacheDataTypeE1EhLi32ELi64ELi256ELb0ELi15EL8MFMAType1EEvPKT_PKT0_S8_ifPKiSA_SA_iPKfiiiPfSD_PS3_PT2_iSC_SC_,comdat
.Lfunc_end884:
	.size	_Z39paged_attention_ll4mi_QKV_mfma16_kernelIDF16_hLN4vllm18Fp8KVCacheDataTypeE1EhLi32ELi64ELi256ELb0ELi15EL8MFMAType1EEvPKT_PKT0_S8_ifPKiSA_SA_iPKfiiiPfSD_PS3_PT2_iSC_SC_, .Lfunc_end884-_Z39paged_attention_ll4mi_QKV_mfma16_kernelIDF16_hLN4vllm18Fp8KVCacheDataTypeE1EhLi32ELi64ELi256ELb0ELi15EL8MFMAType1EEvPKT_PKT0_S8_ifPKiSA_SA_iPKfiiiPfSD_PS3_PT2_iSC_SC_
                                        ; -- End function
	.section	.AMDGPU.csdata,"",@progbits
; Kernel info:
; codeLenInByte = 6748
; NumSgprs: 39
; NumVgprs: 146
; ScratchSize: 0
; MemoryBound: 0
; FloatMode: 240
; IeeeMode: 1
; LDSByteSize: 17472 bytes/workgroup (compile time only)
; SGPRBlocks: 4
; VGPRBlocks: 18
; NumSGPRsForWavesPerEU: 39
; NumVGPRsForWavesPerEU: 146
; Occupancy: 9
; WaveLimiterHint : 1
; COMPUTE_PGM_RSRC2:SCRATCH_EN: 0
; COMPUTE_PGM_RSRC2:USER_SGPR: 13
; COMPUTE_PGM_RSRC2:TRAP_HANDLER: 0
; COMPUTE_PGM_RSRC2:TGID_X_EN: 1
; COMPUTE_PGM_RSRC2:TGID_Y_EN: 1
; COMPUTE_PGM_RSRC2:TGID_Z_EN: 1
; COMPUTE_PGM_RSRC2:TIDIG_COMP_CNT: 0
	.section	.text._Z39paged_attention_ll4mi_QKV_mfma16_kernelIDF16_hLN4vllm18Fp8KVCacheDataTypeE1EhLi32ELi64ELi256ELb0ELi16EL8MFMAType1EEvPKT_PKT0_S8_ifPKiSA_SA_iPKfiiiPfSD_PS3_PT2_iSC_SC_,"axG",@progbits,_Z39paged_attention_ll4mi_QKV_mfma16_kernelIDF16_hLN4vllm18Fp8KVCacheDataTypeE1EhLi32ELi64ELi256ELb0ELi16EL8MFMAType1EEvPKT_PKT0_S8_ifPKiSA_SA_iPKfiiiPfSD_PS3_PT2_iSC_SC_,comdat
	.protected	_Z39paged_attention_ll4mi_QKV_mfma16_kernelIDF16_hLN4vllm18Fp8KVCacheDataTypeE1EhLi32ELi64ELi256ELb0ELi16EL8MFMAType1EEvPKT_PKT0_S8_ifPKiSA_SA_iPKfiiiPfSD_PS3_PT2_iSC_SC_ ; -- Begin function _Z39paged_attention_ll4mi_QKV_mfma16_kernelIDF16_hLN4vllm18Fp8KVCacheDataTypeE1EhLi32ELi64ELi256ELb0ELi16EL8MFMAType1EEvPKT_PKT0_S8_ifPKiSA_SA_iPKfiiiPfSD_PS3_PT2_iSC_SC_
	.globl	_Z39paged_attention_ll4mi_QKV_mfma16_kernelIDF16_hLN4vllm18Fp8KVCacheDataTypeE1EhLi32ELi64ELi256ELb0ELi16EL8MFMAType1EEvPKT_PKT0_S8_ifPKiSA_SA_iPKfiiiPfSD_PS3_PT2_iSC_SC_
	.p2align	8
	.type	_Z39paged_attention_ll4mi_QKV_mfma16_kernelIDF16_hLN4vllm18Fp8KVCacheDataTypeE1EhLi32ELi64ELi256ELb0ELi16EL8MFMAType1EEvPKT_PKT0_S8_ifPKiSA_SA_iPKfiiiPfSD_PS3_PT2_iSC_SC_,@function
_Z39paged_attention_ll4mi_QKV_mfma16_kernelIDF16_hLN4vllm18Fp8KVCacheDataTypeE1EhLi32ELi64ELi256ELb0ELi16EL8MFMAType1EEvPKT_PKT0_S8_ifPKiSA_SA_iPKfiiiPfSD_PS3_PT2_iSC_SC_: ; @_Z39paged_attention_ll4mi_QKV_mfma16_kernelIDF16_hLN4vllm18Fp8KVCacheDataTypeE1EhLi32ELi64ELi256ELb0ELi16EL8MFMAType1EEvPKT_PKT0_S8_ifPKiSA_SA_iPKfiiiPfSD_PS3_PT2_iSC_SC_
; %bb.0:
	s_load_b64 s[2:3], s[0:1], 0x30
	s_mov_b32 s34, s13
	s_waitcnt lgkmcnt(0)
	s_cmp_lg_u64 s[2:3], 0
	s_cselect_b32 s8, -1, 0
	s_ashr_i32 s35, s13, 31
	s_cmp_eq_u64 s[2:3], 0
	s_cbranch_scc1 .LBB885_3
; %bb.1:
	s_lshl_b64 s[4:5], s[34:35], 2
	s_delay_alu instid0(SALU_CYCLE_1) | instskip(SKIP_4) | instid1(SALU_CYCLE_1)
	s_add_u32 s4, s2, s4
	s_addc_u32 s5, s3, s5
	s_load_b64 s[4:5], s[4:5], 0x0
	s_waitcnt lgkmcnt(0)
	s_sub_i32 s4, s5, s4
	s_cmp_eq_u32 s4, 1
	s_cselect_b32 s4, -1, 0
	s_delay_alu instid0(SALU_CYCLE_1)
	s_and_not1_b32 vcc_lo, exec_lo, s4
	s_cbranch_vccz .LBB885_4
.LBB885_2:
	s_endpgm
.LBB885_3:
.LBB885_4:
	s_load_b64 s[4:5], s[0:1], 0x28
	s_lshl_b64 s[6:7], s[34:35], 2
	s_waitcnt lgkmcnt(0)
	s_add_u32 s4, s4, s6
	s_addc_u32 s5, s5, s7
	s_lshl_b32 s12, s14, 8
	s_load_b32 s24, s[4:5], 0x0
	s_waitcnt lgkmcnt(0)
	s_cmp_ge_i32 s12, s24
	s_cbranch_scc1 .LBB885_2
; %bb.5:
	s_clause 0x1
	s_load_b128 s[20:23], s[0:1], 0x8
	s_load_b64 s[4:5], s[0:1], 0x20
	s_and_not1_b32 vcc_lo, exec_lo, s8
	s_cbranch_vccnz .LBB885_7
; %bb.6:
	s_add_u32 s2, s2, s6
	s_addc_u32 s3, s3, s7
	s_load_b32 s3, s[2:3], 0x0
	s_branch .LBB885_8
.LBB885_7:
	s_mov_b32 s3, s34
.LBB885_8:
	s_load_b128 s[16:19], s[0:1], 0x48
	v_and_b32_e32 v70, 15, v0
	v_cmp_gt_u32_e32 vcc_lo, 0x100, v0
	v_lshrrev_b32_e32 v69, 5, v0
	v_and_b32_e32 v71, 31, v0
	v_and_b32_e32 v67, 1, v0
	v_lshlrev_b32_e32 v1, 3, v70
	v_cmp_gt_u32_e64 s2, 8, v70
	v_bfe_u32 v66, v0, 4, 1
	s_lshl_b32 s31, s15, 4
	s_delay_alu instid0(VALU_DEP_3) | instskip(NEXT) | instid1(VALU_DEP_3)
	v_lshlrev_b32_e32 v65, 1, v1
	s_and_b32 s7, vcc_lo, s2
	s_delay_alu instid0(SALU_CYCLE_1)
	s_and_saveexec_b32 s6, s7
	s_cbranch_execz .LBB885_10
; %bb.9:
	v_lshl_or_b32 v5, v69, 1, v66
	s_load_b64 s[8:9], s[0:1], 0x0
	s_waitcnt lgkmcnt(0)
	s_mul_hi_i32 s11, s3, s16
	s_mul_i32 s10, s3, s16
	v_lshlrev_b32_e32 v6, 10, v70
	v_or_b32_e32 v1, s31, v5
	s_lshl_b64 s[10:11], s[10:11], 1
	v_lshlrev_b32_e32 v5, 6, v5
	v_lshlrev_b32_e32 v7, 10, v67
	v_and_b32_e32 v6, 0x3800, v6
	v_lshlrev_b32_e32 v1, 6, v1
	s_delay_alu instid0(VALU_DEP_2) | instskip(NEXT) | instid1(VALU_DEP_2)
	v_or3_b32 v5, v6, v7, v5
	v_ashrrev_i32_e32 v2, 31, v1
	s_delay_alu instid0(VALU_DEP_1) | instskip(SKIP_2) | instid1(VALU_DEP_1)
	v_lshlrev_b64 v[1:2], 1, v[1:2]
	s_add_u32 s3, s8, s10
	s_addc_u32 s7, s9, s11
	v_add_co_u32 v1, vcc_lo, s3, v1
	s_delay_alu instid0(VALU_DEP_2) | instskip(NEXT) | instid1(VALU_DEP_2)
	v_add_co_ci_u32_e32 v2, vcc_lo, s7, v2, vcc_lo
	v_add_co_u32 v1, vcc_lo, v1, v65
	s_delay_alu instid0(VALU_DEP_2)
	v_add_co_ci_u32_e32 v2, vcc_lo, 0, v2, vcc_lo
	global_load_b128 v[1:4], v[1:2], off
	s_waitcnt vmcnt(0)
	ds_store_b128 v5, v[1:4]
.LBB885_10:
	s_or_b32 exec_lo, exec_lo, s6
	v_and_b32_e32 v1, 0xef, v0
	s_waitcnt lgkmcnt(0)
	s_add_i32 s3, s24, 31
	s_clause 0x1
	s_load_b32 s6, s[0:1], 0x38
	s_load_b32 s33, s[0:1], 0x98
	s_ashr_i32 s7, s3, 31
	v_add_nc_u32_e32 v1, s12, v1
	s_lshr_b32 s7, s7, 27
	s_load_b32 s19, s[0:1], 0x1c
	s_add_i32 s3, s3, s7
	s_waitcnt lgkmcnt(0)
	v_ashrrev_i32_e32 v2, 31, v1
	v_or_b32_e32 v3, 16, v1
	s_ashr_i32 s3, s3, 5
	v_cmp_gt_i32_e32 vcc_lo, s24, v1
	s_add_i32 s3, s3, -1
	v_lshrrev_b32_e32 v2, 27, v2
	s_barrier
	buffer_gl0_inv
	s_mul_i32 s27, s15, s18
	v_add_nc_u32_e32 v4, v1, v2
	s_mul_i32 s6, s34, s6
	s_delay_alu instid0(SALU_CYCLE_1) | instskip(NEXT) | instid1(VALU_DEP_1)
	s_ashr_i32 s7, s6, 31
	v_ashrrev_i32_e32 v4, 5, v4
	v_add_nc_u32_e32 v2, v3, v2
	s_lshl_b64 s[6:7], s[6:7], 2
	s_delay_alu instid0(SALU_CYCLE_1) | instskip(NEXT) | instid1(VALU_DEP_2)
	s_add_u32 s26, s4, s6
	v_cndmask_b32_e32 v1, s3, v4, vcc_lo
	s_delay_alu instid0(VALU_DEP_2)
	v_ashrrev_i32_e32 v2, 5, v2
	v_cmp_gt_i32_e32 vcc_lo, s24, v3
	s_addc_u32 s25, s5, s7
	s_ashr_i32 s28, s27, 31
	s_add_u32 s4, s20, s27
	s_addc_u32 s5, s21, s28
	v_cndmask_b32_e32 v3, s3, v2, vcc_lo
	v_ashrrev_i32_e32 v2, 31, v1
	s_lshl_b32 s6, s14, 3
	s_delay_alu instid0(SALU_CYCLE_1) | instskip(NEXT) | instid1(VALU_DEP_2)
	s_ashr_i32 s7, s6, 31
	v_ashrrev_i32_e32 v4, 31, v3
	s_delay_alu instid0(VALU_DEP_2) | instskip(SKIP_1) | instid1(SALU_CYCLE_1)
	v_lshlrev_b64 v[1:2], 2, v[1:2]
	s_lshl_b64 s[6:7], s[6:7], 2
	s_add_u32 s6, s26, s6
	s_delay_alu instid0(VALU_DEP_2) | instskip(SKIP_1) | instid1(VALU_DEP_2)
	v_lshlrev_b64 v[3:4], 2, v[3:4]
	s_addc_u32 s7, s25, s7
	v_add_co_u32 v1, vcc_lo, s26, v1
	v_add_co_ci_u32_e32 v2, vcc_lo, s25, v2, vcc_lo
	s_delay_alu instid0(VALU_DEP_3) | instskip(NEXT) | instid1(VALU_DEP_4)
	v_add_co_u32 v3, vcc_lo, s26, v3
	v_add_co_ci_u32_e32 v4, vcc_lo, s25, v4, vcc_lo
	s_clause 0x1
	global_load_b32 v5, v[1:2], off
	global_load_b32 v6, v[3:4], off
	s_or_b32 s8, s12, 32
	s_delay_alu instid0(SALU_CYCLE_1) | instskip(SKIP_2) | instid1(SALU_CYCLE_1)
	s_ashr_i32 s9, s8, 5
	s_cmp_lt_i32 s8, s24
	s_cselect_b32 s8, s9, s3
	s_ashr_i32 s9, s8, 31
	s_delay_alu instid0(SALU_CYCLE_1) | instskip(NEXT) | instid1(SALU_CYCLE_1)
	s_lshl_b64 s[8:9], s[8:9], 2
	s_add_u32 s8, s26, s8
	s_addc_u32 s9, s25, s9
	s_or_b32 s10, s12, 64
	s_delay_alu instid0(SALU_CYCLE_1) | instskip(SKIP_2) | instid1(SALU_CYCLE_1)
	s_ashr_i32 s11, s10, 5
	s_cmp_lt_i32 s10, s24
	s_cselect_b32 s10, s11, s3
	s_ashr_i32 s11, s10, 31
	s_delay_alu instid0(SALU_CYCLE_1) | instskip(NEXT) | instid1(SALU_CYCLE_1)
	s_lshl_b64 s[10:11], s[10:11], 2
	s_add_u32 s10, s26, s10
	s_addc_u32 s11, s25, s11
	;; [unrolled: 10-line block ×5, first 2 shown]
	s_clause 0x5
	s_load_b32 s21, s[6:7], 0x0
	s_load_b32 s13, s[8:9], 0x0
	;; [unrolled: 1-line block ×6, first 2 shown]
	s_or_b32 s6, s12, 0xc0
	s_delay_alu instid0(SALU_CYCLE_1) | instskip(SKIP_2) | instid1(SALU_CYCLE_1)
	s_ashr_i32 s7, s6, 5
	s_cmp_lt_i32 s6, s24
	s_cselect_b32 s10, s7, s3
	s_ashr_i32 s11, s10, 31
	s_delay_alu instid0(SALU_CYCLE_1) | instskip(NEXT) | instid1(SALU_CYCLE_1)
	s_lshl_b64 s[10:11], s[10:11], 2
	s_add_u32 s36, s26, s10
	s_addc_u32 s37, s25, s11
	s_or_b32 s11, s12, 0xe0
	s_delay_alu instid0(SALU_CYCLE_1) | instskip(SKIP_2) | instid1(SALU_CYCLE_1)
	s_ashr_i32 s29, s11, 5
	s_cmp_lt_i32 s11, s24
	s_cselect_b32 s38, s29, s3
	s_ashr_i32 s39, s38, 31
	s_waitcnt vmcnt(1)
	v_mad_i64_i32 v[1:2], null, v5, s17, s[4:5]
	s_waitcnt vmcnt(0)
	v_mad_i64_i32 v[3:4], null, v6, s17, s[4:5]
	s_mov_b32 s4, 0
	s_delay_alu instid0(SALU_CYCLE_1)
	s_mov_b32 s5, s4
	s_mov_b32 s6, s4
	;; [unrolled: 1-line block ×7, first 2 shown]
	v_lshlrev_b32_e32 v5, 4, v70
	v_dual_mov_b32 v103, s11 :: v_dual_mov_b32 v98, s6
	v_dual_mov_b32 v101, s9 :: v_dual_lshlrev_b32 v68, 6, v70
	s_delay_alu instid0(VALU_DEP_3)
	v_add_co_u32 v1, vcc_lo, v1, v5
	v_add_co_ci_u32_e32 v2, vcc_lo, 0, v2, vcc_lo
	v_add_co_u32 v3, vcc_lo, v3, v5
	v_add_co_ci_u32_e32 v4, vcc_lo, 0, v4, vcc_lo
	s_clause 0x7
	global_load_b128 v[57:60], v[1:2], off
	global_load_b128 v[61:64], v[1:2], off offset:512
	global_load_b128 v[72:75], v[3:4], off offset:256
	;; [unrolled: 1-line block ×7, first 2 shown]
	v_dual_mov_b32 v96, s4 :: v_dual_lshlrev_b32 v1, 5, v70
	v_mov_b32_e32 v102, s10
	v_dual_mov_b32 v100, s8 :: v_dual_mov_b32 v99, s7
	v_mov_b32_e32 v97, s5
	s_lshl_b64 s[4:5], s[38:39], 2
	v_lshl_or_b32 v1, v69, 9, v1
	s_add_u32 s4, s26, s4
	s_addc_u32 s5, s25, s5
	s_load_b32 s3, s[36:37], 0x0
	ds_load_b128 v[104:107], v68
	ds_load_b128 v[108:111], v68 offset:1024
	s_load_b32 s4, s[4:5], 0x0
	s_add_u32 s6, s22, s27
	s_addc_u32 s7, s23, s28
	v_add_co_u32 v17, s6, s6, v1
	s_delay_alu instid0(VALU_DEP_1) | instskip(SKIP_1) | instid1(VALU_DEP_1)
	v_add_co_ci_u32_e64 v18, null, s7, 0, s6
	s_waitcnt lgkmcnt(0)
	v_mad_i64_i32 v[1:2], null, s21, s17, v[17:18]
	v_mad_i64_i32 v[3:4], null, s13, s17, v[17:18]
	;; [unrolled: 1-line block ×7, first 2 shown]
	s_clause 0x9
	global_load_b128 v[49:52], v[1:2], off
	global_load_b128 v[53:56], v[1:2], off offset:16
	global_load_b128 v[41:44], v[3:4], off
	global_load_b128 v[45:48], v[3:4], off offset:16
	global_load_b128 v[33:36], v[5:6], off
	global_load_b128 v[37:40], v[5:6], off offset:16
	global_load_b128 v[1:4], v[7:8], off
	global_load_b128 v[5:8], v[7:8], off offset:16
	global_load_b128 v[9:12], v[13:14], off
	global_load_b128 v[13:16], v[13:14], off offset:16
	v_mad_i64_i32 v[120:121], null, s4, s17, v[17:18]
	s_clause 0x3
	global_load_b128 v[17:20], v[21:22], off
	global_load_b128 v[21:24], v[21:22], off offset:16
	global_load_b128 v[25:28], v[29:30], off
	global_load_b128 v[29:32], v[29:30], off offset:16
	s_waitcnt vmcnt(20)
	v_wmma_f32_16x16x16_f16 v[112:119], v[57:64], v[104:111], v[96:103]
	s_clause 0x1
	global_load_b128 v[57:60], v[120:121], off
	global_load_b128 v[61:64], v[120:121], off offset:16
	s_waitcnt vmcnt(20)
	v_wmma_f32_16x16x16_f16 v[96:103], v[72:79], v[104:111], v[96:103]
	ds_load_b128 v[72:75], v68 offset:2048
	ds_load_b128 v[76:79], v68 offset:3072
	v_and_b32_e32 v104, 0xe0, v0
	v_mbcnt_lo_u32_b32 v105, -1, 0
	s_waitcnt vmcnt(0) lgkmcnt(0)
	s_barrier
	buffer_gl0_inv
	v_add_nc_u32_e32 v104, s12, v104
	v_xor_b32_e32 v106, 16, v105
	s_delay_alu instid0(VALU_DEP_2) | instskip(NEXT) | instid1(VALU_DEP_2)
	v_or_b32_e32 v104, v104, v66
	v_cmp_gt_i32_e32 vcc_lo, 32, v106
	s_delay_alu instid0(VALU_DEP_2)
	v_or_b32_e32 v107, 4, v104
	v_or_b32_e32 v108, 6, v104
	v_cmp_gt_i32_e64 s3, s24, v104
	v_or_b32_e32 v109, 8, v104
	v_wmma_f32_16x16x16_f16 v[112:119], v[80:87], v[72:79], v[112:119]
	v_cndmask_b32_e32 v105, v105, v106, vcc_lo
	v_or_b32_e32 v106, 2, v104
	v_wmma_f32_16x16x16_f16 v[96:103], v[88:95], v[72:79], v[96:103]
	v_or_b32_e32 v80, 10, v104
	v_dual_mul_f32 v78, s19, v116 :: v_dual_mul_f32 v79, s19, v115
	v_dual_mul_f32 v90, s19, v112 :: v_dual_mul_f32 v89, s19, v113
	s_delay_alu instid0(VALU_DEP_4) | instskip(SKIP_2) | instid1(VALU_DEP_4)
	v_mul_f32_e32 v92, s19, v102
	v_cmp_gt_i32_e32 vcc_lo, s24, v106
	v_dual_mul_f32 v77, s19, v117 :: v_dual_mul_f32 v88, s19, v114
	v_cndmask_b32_e64 v90, 0xff7fffff, v90, s3
	v_cmp_gt_i32_e64 s4, s24, v107
	v_cndmask_b32_e32 v89, 0xff7fffff, v89, vcc_lo
	v_cmp_gt_i32_e64 s5, s24, v108
	v_or_b32_e32 v81, 12, v104
	v_or_b32_e32 v82, 14, v104
	v_cndmask_b32_e64 v88, 0xff7fffff, v88, s4
	v_max3_f32 v89, v90, 0xff7fffff, v89
	v_cndmask_b32_e64 v79, 0xff7fffff, v79, s5
	v_cmp_gt_i32_e64 s6, s24, v109
	v_cmp_gt_i32_e64 s7, s24, v80
	v_or_b32_e32 v83, 16, v104
	v_or_b32_e32 v84, 18, v104
	v_dual_mul_f32 v75, s19, v119 :: v_dual_mul_f32 v76, s19, v118
	v_cndmask_b32_e64 v78, 0xff7fffff, v78, s6
	v_cndmask_b32_e64 v77, 0xff7fffff, v77, s7
	v_max3_f32 v79, v89, v88, v79
	v_cmp_gt_i32_e64 s8, s24, v81
	v_cmp_gt_i32_e64 s9, s24, v82
	v_or_b32_e32 v85, 20, v104
	v_or_b32_e32 v86, 22, v104
	;; [unrolled: 1-line block ×6, first 2 shown]
	v_dual_mul_f32 v95, s19, v99 :: v_dual_mul_f32 v104, s19, v97
	v_mul_f32_e32 v107, s19, v96
	v_cndmask_b32_e64 v76, 0xff7fffff, v76, s8
	v_cndmask_b32_e64 v75, 0xff7fffff, v75, s9
	v_max3_f32 v77, v79, v78, v77
	v_cmp_gt_i32_e64 s10, s24, v83
	v_cmp_gt_i32_e64 s11, s24, v84
	v_dual_mul_f32 v93, s19, v101 :: v_dual_mul_f32 v106, s19, v98
	s_delay_alu instid0(VALU_DEP_4) | instskip(NEXT) | instid1(VALU_DEP_4)
	v_max3_f32 v75, v77, v76, v75
	v_cndmask_b32_e64 v78, 0xff7fffff, v107, s10
	s_delay_alu instid0(VALU_DEP_4) | instskip(SKIP_3) | instid1(VALU_DEP_4)
	v_cndmask_b32_e64 v79, 0xff7fffff, v104, s11
	v_cmp_gt_i32_e64 s12, s24, v85
	v_cmp_gt_i32_e64 s13, s24, v86
	v_dual_mul_f32 v91, s19, v103 :: v_dual_mul_f32 v94, s19, v100
	v_max3_f32 v75, v75, v78, v79
	s_delay_alu instid0(VALU_DEP_4) | instskip(NEXT) | instid1(VALU_DEP_4)
	v_cndmask_b32_e64 v76, 0xff7fffff, v106, s12
	v_cndmask_b32_e64 v77, 0xff7fffff, v95, s13
	v_cmp_gt_i32_e64 s15, s24, v87
	v_cmp_gt_i32_e64 s16, s24, v72
	;; [unrolled: 1-line block ×4, first 2 shown]
	v_max3_f32 v75, v75, v76, v77
	v_cndmask_b32_e64 v78, 0xff7fffff, v94, s15
	v_cndmask_b32_e64 v72, 0xff7fffff, v93, s16
	;; [unrolled: 1-line block ×4, first 2 shown]
	s_delay_alu instid0(VALU_DEP_3) | instskip(SKIP_1) | instid1(VALU_DEP_2)
	v_max3_f32 v72, v75, v78, v72
	v_lshlrev_b32_e32 v75, 2, v105
	v_max3_f32 v72, v72, v73, v74
	ds_bpermute_b32 v73, v75, v72
	s_waitcnt lgkmcnt(0)
	v_max_f32_e32 v73, v73, v73
	s_delay_alu instid0(VALU_DEP_1) | instskip(NEXT) | instid1(VALU_DEP_1)
	v_max_f32_e32 v72, v72, v73
	v_fma_f32 v76, s19, v114, -v72
	v_fma_f32 v73, s19, v112, -v72
	;; [unrolled: 1-line block ×5, first 2 shown]
	v_mul_f32_e32 v76, 0x3fb8aa3b, v76
	v_fma_f32 v82, s19, v118, -v72
	v_mul_f32_e32 v74, 0x3fb8aa3b, v74
	v_fma_f32 v86, s19, v99, -v72
	v_fma_f32 v91, s19, v103, -v72
	v_exp_f32_e32 v76, v76
	v_mul_f32_e32 v82, 0x3fb8aa3b, v82
	v_exp_f32_e32 v74, v74
	v_mul_f32_e32 v88, 0x3fb8aa3b, v86
	v_fma_f32 v89, s19, v101, -v72
	s_delay_alu instid0(VALU_DEP_3) | instskip(NEXT) | instid1(VALU_DEP_2)
	v_exp_f32_e32 v84, v82
	v_exp_f32_e32 v90, v88
	s_delay_alu instid0(VALU_DEP_1)
	v_mul_f32_e32 v89, 0x3fb8aa3b, v89
	v_cndmask_b32_e64 v80, 0, v76, s4
	v_mul_f32_e32 v73, 0x3fb8aa3b, v73
	v_fma_f32 v76, s19, v119, -v72
	v_mul_f32_e32 v77, 0x3fb8aa3b, v77
	v_exp_f32_e32 v89, v89
	s_delay_alu instid0(VALU_DEP_3) | instskip(NEXT) | instid1(VALU_DEP_2)
	v_exp_f32_e32 v73, v73
	v_mul_f32_e32 v76, 0x3fb8aa3b, v76
	s_delay_alu instid0(VALU_DEP_2) | instskip(SKIP_2) | instid1(VALU_DEP_3)
	v_exp_f32_e32 v81, v77
	v_cndmask_b32_e32 v77, 0, v74, vcc_lo
	v_cndmask_b32_e64 v84, 0, v84, s8
	v_exp_f32_e32 v76, v76
	v_cndmask_b32_e64 v89, 0, v89, s16
	s_delay_alu instid0(TRANS32_DEP_3) | instskip(SKIP_2) | instid1(VALU_DEP_2)
	v_cndmask_b32_e64 v78, 0, v73, s3
	v_fma_f32 v73, s19, v117, -v72
	s_mov_b32 s3, exec_lo
	v_dual_add_f32 v74, 0, v78 :: v_dual_mul_f32 v79, 0x3fb8aa3b, v79
	s_delay_alu instid0(VALU_DEP_2) | instskip(NEXT) | instid1(VALU_DEP_2)
	v_mul_f32_e32 v73, 0x3fb8aa3b, v73
	v_add_f32_e32 v74, v74, v77
	s_delay_alu instid0(VALU_DEP_3) | instskip(NEXT) | instid1(VALU_DEP_2)
	v_exp_f32_e32 v83, v79
	v_exp_f32_e32 v73, v73
	v_cndmask_b32_e64 v79, 0, v81, s5
	v_fma_f32 v81, s19, v96, -v72
	s_delay_alu instid0(VALU_DEP_1) | instskip(NEXT) | instid1(VALU_DEP_1)
	v_dual_add_f32 v74, v74, v80 :: v_dual_mul_f32 v85, 0x3fb8aa3b, v81
	v_add_f32_e32 v74, v74, v79
	s_waitcnt_depctr 0xfff
	v_cndmask_b32_e64 v82, 0, v83, s6
	v_fma_f32 v83, s19, v97, -v72
	v_cndmask_b32_e64 v81, 0, v73, s7
	v_exp_f32_e32 v85, v85
	s_delay_alu instid0(VALU_DEP_2) | instskip(NEXT) | instid1(VALU_DEP_1)
	v_mul_f32_e32 v83, 0x3fb8aa3b, v83
	v_exp_f32_e32 v87, v83
	v_cndmask_b32_e64 v83, 0, v76, s9
	v_fma_f32 v76, s19, v100, -v72
	v_add_f32_e32 v73, v74, v82
	v_fma_f32 v74, s19, v98, -v72
	s_delay_alu instid0(TRANS32_DEP_2) | instskip(NEXT) | instid1(VALU_DEP_4)
	v_cndmask_b32_e64 v86, 0, v85, s10
	v_mul_f32_e32 v76, 0x3fb8aa3b, v76
	s_delay_alu instid0(VALU_DEP_3) | instskip(NEXT) | instid1(TRANS32_DEP_1)
	v_mul_f32_e32 v74, 0x3fb8aa3b, v74
	v_cndmask_b32_e64 v85, 0, v87, s11
	v_fma_f32 v87, s19, v102, -v72
	v_add_f32_e32 v73, v73, v81
	v_exp_f32_e32 v76, v76
	v_exp_f32_e32 v74, v74
	s_waitcnt_depctr 0xfff
	v_cndmask_b32_e64 v88, 0, v74, s12
	v_dual_mul_f32 v74, 0x3fb8aa3b, v87 :: v_dual_add_f32 v73, v73, v84
	v_cndmask_b32_e64 v87, 0, v90, s13
	v_cndmask_b32_e64 v90, 0, v76, s15
	v_mul_f32_e32 v76, 0x3fb8aa3b, v91
	s_delay_alu instid0(VALU_DEP_4) | instskip(SKIP_1) | instid1(VALU_DEP_2)
	v_exp_f32_e32 v74, v74
	v_add_f32_e32 v73, v73, v83
	v_exp_f32_e32 v76, v76
	s_delay_alu instid0(VALU_DEP_1) | instskip(SKIP_4) | instid1(VALU_DEP_2)
	v_add_f32_e32 v73, v73, v86
	s_waitcnt_depctr 0xfff
	v_cndmask_b32_e64 v92, 0, v74, s17
	v_add_f32_e32 v73, v73, v85
	v_cndmask_b32_e64 v91, 0, v76, s18
	v_add_f32_e32 v73, v73, v88
	s_delay_alu instid0(VALU_DEP_1) | instskip(NEXT) | instid1(VALU_DEP_1)
	v_add_f32_e32 v73, v73, v87
	v_add_f32_e32 v73, v73, v90
	s_delay_alu instid0(VALU_DEP_1) | instskip(NEXT) | instid1(VALU_DEP_1)
	v_add_f32_e32 v73, v73, v89
	v_add_f32_e32 v73, v73, v92
	s_delay_alu instid0(VALU_DEP_1)
	v_add_f32_e32 v73, v73, v91
	ds_bpermute_b32 v74, v75, v73
	v_cmpx_gt_u32_e32 16, v71
	s_cbranch_execz .LBB885_12
; %bb.11:
	v_mul_u32_u24_e32 v71, 0x44, v69
	s_waitcnt lgkmcnt(0)
	v_add_f32_e32 v73, v73, v74
	s_delay_alu instid0(VALU_DEP_2) | instskip(NEXT) | instid1(VALU_DEP_1)
	v_lshl_add_u32 v71, v70, 2, v71
	v_add_nc_u32_e32 v71, 0x4000, v71
	ds_store_2addr_b32 v71, v72, v73 offset1:136
.LBB885_12:
	s_or_b32 exec_lo, exec_lo, s3
	v_lshlrev_b32_e32 v70, 2, v70
	s_load_b32 s35, s[0:1], 0x94
	s_waitcnt lgkmcnt(0)
	s_barrier
	buffer_gl0_inv
	v_add_nc_u32_e32 v74, 0x4000, v70
	v_cmp_eq_u32_e32 vcc_lo, 1, v69
	v_cmp_eq_u32_e64 s3, 2, v69
	v_cmp_eq_u32_e64 s4, 3, v69
	;; [unrolled: 1-line block ×3, first 2 shown]
	ds_load_2addr_b32 v[70:71], v74 offset1:17
	ds_load_2addr_b32 v[72:73], v74 offset0:34 offset1:51
	ds_load_2addr_b32 v[93:94], v74 offset0:68 offset1:85
	;; [unrolled: 1-line block ×3, first 2 shown]
	v_cmp_eq_u32_e64 s6, 7, v69
	s_waitcnt lgkmcnt(3)
	v_max3_f32 v75, v70, 0xff7fffff, v71
	s_waitcnt lgkmcnt(2)
	s_delay_alu instid0(VALU_DEP_1) | instskip(SKIP_1) | instid1(VALU_DEP_1)
	v_max3_f32 v75, v75, v72, v73
	s_waitcnt lgkmcnt(1)
	v_max3_f32 v75, v75, v93, v94
	s_waitcnt lgkmcnt(0)
	s_delay_alu instid0(VALU_DEP_1) | instskip(NEXT) | instid1(VALU_DEP_1)
	v_max3_f32 v75, v75, v95, v96
	v_sub_f32_e32 v93, v93, v75
	ds_load_2addr_b32 v[97:98], v74 offset0:136 offset1:153
	v_sub_f32_e32 v70, v70, v75
	v_dual_sub_f32 v100, v73, v75 :: v_dual_mul_f32 v103, 0x3fb8aa3b, v93
	s_delay_alu instid0(VALU_DEP_2) | instskip(SKIP_3) | instid1(VALU_DEP_1)
	v_dual_sub_f32 v76, v71, v75 :: v_dual_mul_f32 v99, 0x3fb8aa3b, v70
	ds_load_2addr_b32 v[70:71], v74 offset0:170 offset1:187
	v_mul_f32_e32 v76, 0x3fb8aa3b, v76
	v_exp_f32_e32 v99, v99
	v_exp_f32_e32 v102, v76
	v_mul_f32_e32 v100, 0x3fb8aa3b, v100
	s_waitcnt lgkmcnt(1)
	s_waitcnt_depctr 0xfff
	v_fma_f32 v76, v99, v97, 0
	v_sub_f32_e32 v97, v94, v75
	v_sub_f32_e32 v72, v72, v75
	v_exp_f32_e32 v100, v100
	ds_load_2addr_b32 v[93:94], v74 offset0:238 offset1:255
	v_dual_fmac_f32 v76, v102, v98 :: v_dual_mul_f32 v101, 0x3fb8aa3b, v72
	ds_load_2addr_b32 v[72:73], v74 offset0:204 offset1:221
	v_dual_sub_f32 v74, v95, v75 :: v_dual_mul_f32 v95, 0x3fb8aa3b, v97
	v_exp_f32_e32 v97, v103
	v_exp_f32_e32 v101, v101
	s_waitcnt lgkmcnt(0)
	s_delay_alu instid0(VALU_DEP_1)
	v_mul_f32_e32 v74, 0x3fb8aa3b, v74
	v_exp_f32_e32 v95, v95
	s_barrier
	buffer_gl0_inv
	v_fmac_f32_e32 v76, v101, v70
	v_sub_f32_e32 v70, v96, v75
	v_exp_f32_e32 v96, v74
	s_delay_alu instid0(VALU_DEP_2) | instskip(NEXT) | instid1(VALU_DEP_2)
	v_fmac_f32_e32 v76, v100, v71
	v_mul_f32_e32 v70, 0x3fb8aa3b, v70
	s_delay_alu instid0(VALU_DEP_2) | instskip(NEXT) | instid1(VALU_DEP_2)
	v_dual_cndmask_b32 v71, v99, v102 :: v_dual_fmac_f32 v76, v97, v72
	v_exp_f32_e32 v98, v70
	s_delay_alu instid0(VALU_DEP_1) | instskip(SKIP_2) | instid1(VALU_DEP_1)
	v_fmac_f32_e32 v76, v95, v73
	s_waitcnt_depctr 0xfff
	v_fmac_f32_e32 v76, v96, v93
	v_fmac_f32_e32 v76, v98, v94
	s_delay_alu instid0(VALU_DEP_1) | instskip(NEXT) | instid1(VALU_DEP_1)
	v_add_f32_e32 v93, 0x358637bd, v76
	v_div_scale_f32 v94, null, v93, v93, 1.0
	v_div_scale_f32 v99, vcc_lo, 1.0, v93, 1.0
	s_delay_alu instid0(VALU_DEP_2) | instskip(SKIP_2) | instid1(VALU_DEP_1)
	v_rcp_f32_e32 v103, v94
	s_waitcnt_depctr 0xfff
	v_fma_f32 v70, -v94, v103, 1.0
	v_fmac_f32_e32 v103, v70, v103
	v_cndmask_b32_e64 v70, v71, v101, s3
	v_cmp_eq_u32_e64 s3, 4, v69
	v_lshlrev_b32_e32 v71, 2, v66
	s_delay_alu instid0(VALU_DEP_4) | instskip(NEXT) | instid1(VALU_DEP_4)
	v_mul_f32_e32 v101, v99, v103
	v_cndmask_b32_e64 v72, v70, v100, s4
	v_cmp_eq_u32_e64 s4, 6, v69
	v_lshl_or_b32 v70, v69, 11, v68
	v_or_b32_e32 v74, 1, v71
	v_fma_f32 v73, -v94, v101, v99
	v_cndmask_b32_e64 v72, v72, v97, s3
	v_cmp_eq_u32_e64 s3, 1, v71
	v_lshl_or_b32 v69, v66, 4, v70
	v_cmp_eq_u32_e64 s9, 1, v74
	v_fmac_f32_e32 v101, v73, v103
	v_cndmask_b32_e64 v95, v72, v95, s5
	v_or_b32_e32 v72, 2, v71
	v_or_b32_e32 v73, 3, v71
	v_cmp_eq_u32_e64 s12, 2, v74
	v_fma_f32 v94, -v94, v101, v99
	v_cndmask_b32_e64 v95, v95, v96, s4
	v_cmp_eq_u32_e64 s10, 1, v72
	v_cmp_eq_u32_e64 s11, 1, v73
	;; [unrolled: 1-line block ×3, first 2 shown]
	v_div_fmas_f32 v94, v94, v103, v101
	v_cndmask_b32_e64 v95, v95, v98, s6
	v_cmp_eq_u32_e32 vcc_lo, 2, v71
	v_cmp_eq_u32_e64 s16, 2, v73
	v_cmp_eq_u32_e64 s18, 3, v73
	v_div_fixup_f32 v93, v94, v93, 1.0
	v_cmp_eq_u32_e64 s4, 3, v71
	v_cmp_eq_u32_e64 s13, 3, v74
	;; [unrolled: 1-line block ×4, first 2 shown]
	v_mul_f32_e32 v101, v95, v93
	v_cmp_eq_u32_e64 s5, 4, v71
	v_cmp_eq_u32_e64 s19, 4, v74
	;; [unrolled: 1-line block ×4, first 2 shown]
	v_fma_mixlo_f16 v93, v101, v78, 0
	v_fma_mixlo_f16 v94, v101, v80, 0
	;; [unrolled: 1-line block ×8, first 2 shown]
	v_fma_mixhi_f16 v93, v101, v77, 0
	v_fma_mixhi_f16 v94, v101, v79, 0
	;; [unrolled: 1-line block ×8, first 2 shown]
	ds_store_b128 v69, v[93:96]
	ds_store_b128 v69, v[97:100] offset:1024
	s_waitcnt lgkmcnt(0)
	s_barrier
	buffer_gl0_inv
	ds_load_b128 v[77:80], v70
	ds_load_b128 v[81:84], v70 offset:16
	ds_load_b128 v[85:88], v70 offset:1024
	ds_load_b128 v[89:92], v70 offset:1040
	v_cmp_eq_u32_e64 s6, 5, v71
	v_cmp_eq_u32_e64 s20, 5, v74
	v_cmp_eq_u32_e64 s23, 5, v72
	v_cmp_eq_u32_e64 s27, 6, v73
	v_cmp_eq_u32_e64 s7, 6, v71
	v_cmp_eq_u32_e64 s25, 6, v74
	v_cmp_eq_u32_e64 s26, 6, v72
	v_cmp_eq_u32_e64 s29, 7, v73
	v_cmp_eq_u32_e64 s8, 7, v71
	v_cmp_eq_u32_e64 s28, 7, v72
	v_cmp_eq_u32_e64 s30, 7, v74
	s_waitcnt lgkmcnt(3)
	v_lshrrev_b32_e32 v93, 16, v77
	s_waitcnt lgkmcnt(2)
	v_lshrrev_b32_e32 v97, 16, v81
	;; [unrolled: 2-line block ×4, first 2 shown]
	v_lshrrev_b32_e32 v94, 16, v78
	v_cndmask_b32_e64 v109, v77, v93, s3
	v_cndmask_b32_e64 v110, v81, v97, s3
	;; [unrolled: 1-line block ×8, first 2 shown]
	v_lshrrev_b32_e32 v98, 16, v82
	v_cndmask_b32_e64 v93, v85, v101, s3
	v_cndmask_b32_e64 v97, v89, v105, s3
	;; [unrolled: 1-line block ×5, first 2 shown]
	v_cndmask_b32_e32 v101, v109, v78, vcc_lo
	v_cndmask_b32_e64 v109, v111, v78, s12
	v_cndmask_b32_e64 v111, v113, v78, s15
	;; [unrolled: 1-line block ×4, first 2 shown]
	v_lshrrev_b32_e32 v102, 16, v86
	v_lshrrev_b32_e32 v106, 16, v90
	v_cndmask_b32_e64 v116, v89, v105, s9
	v_cndmask_b32_e64 v118, v89, v105, s10
	;; [unrolled: 1-line block ×3, first 2 shown]
	v_cndmask_b32_e32 v105, v110, v82, vcc_lo
	v_cndmask_b32_e64 v110, v112, v82, s12
	v_cndmask_b32_e64 v112, v114, v82, s15
	v_cndmask_b32_e32 v81, v93, v86, vcc_lo
	v_cndmask_b32_e32 v82, v97, v90, vcc_lo
	v_cndmask_b32_e64 v93, v115, v86, s12
	v_cndmask_b32_e64 v77, v77, v94, s18
	v_cndmask_b32_e64 v78, v78, v98, s18
	v_lshrrev_b32_e32 v95, 16, v79
	v_lshrrev_b32_e32 v99, 16, v83
	v_cndmask_b32_e64 v97, v117, v86, s15
	v_cndmask_b32_e64 v85, v85, v86, s16
	v_cndmask_b32_e64 v86, v89, v90, s16
	v_cndmask_b32_e64 v89, v101, v94, s4
	v_cndmask_b32_e64 v101, v105, v98, s4
	v_cndmask_b32_e64 v105, v109, v94, s13
	v_cndmask_b32_e64 v109, v110, v98, s13
	v_cndmask_b32_e64 v110, v111, v94, s17
	v_cndmask_b32_e64 v111, v112, v98, s17
	v_cndmask_b32_e64 v81, v81, v102, s4
	v_cndmask_b32_e64 v82, v82, v106, s4
	v_cndmask_b32_e64 v93, v93, v102, s13
	v_cndmask_b32_e64 v77, v77, v79, s22
	v_cndmask_b32_e64 v78, v78, v83, s22
	v_lshrrev_b32_e32 v103, 16, v87
	v_cndmask_b32_e64 v89, v89, v79, s5
	v_cndmask_b32_e64 v94, v101, v83, s5
	;; [unrolled: 1-line block ×11, first 2 shown]
	v_lshrrev_b32_e32 v96, 16, v80
	v_lshrrev_b32_e32 v100, 16, v84
	v_cndmask_b32_e64 v83, v89, v95, s6
	v_cndmask_b32_e64 v89, v94, v99, s6
	;; [unrolled: 1-line block ×9, first 2 shown]
	v_lshrrev_b32_e32 v104, 16, v88
	v_cndmask_b32_e64 v79, v79, v103, s6
	v_cndmask_b32_e64 v83, v83, v80, s7
	;; [unrolled: 1-line block ×19, first 2 shown]
	v_perm_b32 v80, v78, v77, 0x5040100
	v_cndmask_b32_e64 v77, v116, v90, s12
	v_cndmask_b32_e64 v95, v79, v104, s8
	v_perm_b32 v79, v93, v89, 0x5040100
	v_perm_b32 v78, v94, v84, 0x5040100
	v_cndmask_b32_e64 v84, v97, v102, s17
	v_cndmask_b32_e64 v85, v85, v102, s18
	;; [unrolled: 1-line block ×5, first 2 shown]
	v_lshrrev_b32_e32 v107, 16, v91
	v_cndmask_b32_e64 v84, v84, v87, s21
	v_cndmask_b32_e64 v85, v85, v87, s22
	;; [unrolled: 1-line block ×11, first 2 shown]
	v_lshrrev_b32_e32 v108, 16, v92
	v_cndmask_b32_e64 v81, v81, v92, s7
	v_cndmask_b32_e64 v84, v84, v88, s26
	;; [unrolled: 1-line block ×12, first 2 shown]
	v_perm_b32 v77, v83, v82, 0x5040100
	v_perm_b32 v84, v85, v84, 0x5040100
	;; [unrolled: 1-line block ×5, first 2 shown]
	s_lshl_b32 s8, s33, 4
	s_mov_b32 s3, exec_lo
	ds_store_b128 v69, v[77:80]
	ds_store_b128 v69, v[81:84] offset:1024
	v_cmpx_gt_u32_e32 16, v0
	s_cbranch_execz .LBB885_14
; %bb.13:
	v_or_b32_e32 v77, s31, v0
	s_load_b128 s[4:7], s[0:1], 0x58
	s_delay_alu instid0(VALU_DEP_1) | instskip(NEXT) | instid1(VALU_DEP_1)
	v_mad_u64_u32 v[78:79], null, s8, s34, v[77:78]
	v_mad_u64_u32 v[79:80], null, v78, s35, s[14:15]
	s_delay_alu instid0(VALU_DEP_1) | instskip(NEXT) | instid1(VALU_DEP_1)
	v_ashrrev_i32_e32 v80, 31, v79
	v_lshlrev_b64 v[77:78], 2, v[79:80]
	s_waitcnt lgkmcnt(0)
	s_delay_alu instid0(VALU_DEP_1) | instskip(NEXT) | instid1(VALU_DEP_2)
	v_add_co_u32 v79, vcc_lo, s6, v77
	v_add_co_ci_u32_e32 v80, vcc_lo, s7, v78, vcc_lo
	v_add_co_u32 v77, vcc_lo, s4, v77
	v_add_co_ci_u32_e32 v78, vcc_lo, s5, v78, vcc_lo
	global_store_b32 v[79:80], v75, off
	global_store_b32 v[77:78], v76, off
.LBB885_14:
	s_or_b32 exec_lo, exec_lo, s3
	s_waitcnt lgkmcnt(0)
	s_waitcnt_vscnt null, 0x0
	s_barrier
	buffer_gl0_inv
	ds_load_b128 v[83:86], v68
	ds_load_b128 v[87:90], v68 offset:16
	ds_load_b128 v[95:98], v68 offset:2064
	;; [unrolled: 1-line block ×5, first 2 shown]
	v_cmp_eq_u32_e32 vcc_lo, 1, v71
	v_mov_b32_e32 v75, 0
	ds_load_b128 v[111:114], v68 offset:6160
	ds_load_b128 v[107:110], v68 offset:6144
	;; [unrolled: 1-line block ×4, first 2 shown]
	v_cmp_eq_u32_e64 s4, 1, v72
	v_cmp_eq_u32_e64 s3, 1, v74
	;; [unrolled: 1-line block ×3, first 2 shown]
	v_mov_b32_e32 v76, v75
	v_mov_b32_e32 v77, v75
	;; [unrolled: 1-line block ×7, first 2 shown]
	v_cmp_eq_u32_e64 s6, 3, v74
	v_cmp_eq_u32_e64 s7, 7, v74
	s_waitcnt lgkmcnt(8)
	s_delay_alu instid0(VALU_DEP_3)
	v_wmma_f32_16x16x16_f16 v[75:82], v[49:56], v[83:90], v[75:82]
	ds_load_b128 v[53:56], v68 offset:10256
	ds_load_b128 v[49:52], v68 offset:10240
	s_waitcnt lgkmcnt(8)
	v_wmma_f32_16x16x16_f16 v[75:82], v[41:48], v[91:98], v[75:82]
	ds_load_b128 v[45:48], v68 offset:12304
	ds_load_b128 v[41:44], v68 offset:12288
	s_waitcnt lgkmcnt(8)
	;; [unrolled: 4-line block ×3, first 2 shown]
	s_barrier
	buffer_gl0_inv
	v_wmma_f32_16x16x16_f16 v[75:82], v[1:8], v[107:114], v[75:82]
	s_delay_alu instid0(VALU_DEP_1) | instskip(NEXT) | instid1(VALU_DEP_1)
	v_wmma_f32_16x16x16_f16 v[75:82], v[9:16], v[115:122], v[75:82]
	v_wmma_f32_16x16x16_f16 v[75:82], v[17:24], v[49:56], v[75:82]
	s_delay_alu instid0(VALU_DEP_1) | instskip(NEXT) | instid1(VALU_DEP_1)
	v_wmma_f32_16x16x16_f16 v[75:82], v[25:32], v[41:48], v[75:82]
	v_wmma_f32_16x16x16_f16 v[75:82], v[57:64], v[33:40], v[75:82]
	s_delay_alu instid0(VALU_DEP_1) | instskip(NEXT) | instid1(VALU_DEP_2)
	v_cvt_f16_f32_e32 v1, v75
	v_cvt_f16_f32_e32 v2, v76
	s_delay_alu instid0(VALU_DEP_3) | instskip(NEXT) | instid1(VALU_DEP_4)
	v_cvt_f16_f32_e32 v3, v77
	v_cvt_f16_f32_e32 v4, v78
	;; [unrolled: 1-line block ×6, first 2 shown]
	v_pack_b32_f16 v1, v1, v2
	v_pack_b32_f16 v2, v3, v4
	;; [unrolled: 1-line block ×3, first 2 shown]
	s_delay_alu instid0(VALU_DEP_4)
	v_pack_b32_f16 v4, v7, v8
	ds_store_b128 v69, v[1:4]
	s_waitcnt lgkmcnt(0)
	s_barrier
	buffer_gl0_inv
	ds_load_b128 v[1:4], v70
	ds_load_b128 v[5:8], v70 offset:16
	s_waitcnt lgkmcnt(1)
	v_lshrrev_b32_e32 v9, 16, v1
	s_waitcnt lgkmcnt(0)
	v_lshrrev_b32_e32 v13, 16, v5
	v_lshrrev_b32_e32 v10, 16, v2
	v_lshrrev_b32_e32 v14, 16, v6
	v_lshrrev_b32_e32 v11, 16, v3
	v_cndmask_b32_e32 v17, v1, v9, vcc_lo
	v_cndmask_b32_e32 v18, v5, v13, vcc_lo
	v_cndmask_b32_e64 v21, v1, v9, s4
	v_cmp_eq_u32_e32 vcc_lo, 1, v73
	v_cndmask_b32_e64 v22, v5, v13, s4
	v_cmp_eq_u32_e64 s4, 2, v71
	v_cndmask_b32_e64 v19, v1, v9, s3
	v_cndmask_b32_e64 v20, v5, v13, s3
	v_cndmask_b32_e32 v1, v1, v9, vcc_lo
	v_cmp_eq_u32_e64 s3, 2, v73
	v_cndmask_b32_e32 v5, v5, v13, vcc_lo
	v_cndmask_b32_e64 v9, v17, v2, s4
	v_cmp_eq_u32_e32 vcc_lo, 3, v71
	v_cndmask_b32_e64 v13, v18, v6, s4
	v_cmp_eq_u32_e64 s4, 2, v72
	v_cndmask_b32_e64 v17, v19, v2, s5
	v_cndmask_b32_e64 v18, v20, v6, s5
	v_cmp_eq_u32_e64 s5, 3, v72
	v_cndmask_b32_e64 v1, v1, v2, s3
	v_cndmask_b32_e64 v19, v21, v2, s4
	;; [unrolled: 1-line block ×4, first 2 shown]
	v_cndmask_b32_e32 v5, v9, v10, vcc_lo
	v_cndmask_b32_e32 v6, v13, v14, vcc_lo
	v_cmp_eq_u32_e32 vcc_lo, 3, v73
	v_cndmask_b32_e64 v9, v17, v10, s6
	v_cndmask_b32_e64 v13, v18, v14, s6
	v_cndmask_b32_e64 v18, v20, v14, s5
	v_cmp_eq_u32_e64 s4, 4, v71
	v_cndmask_b32_e32 v1, v1, v10, vcc_lo
	v_cndmask_b32_e32 v2, v2, v14, vcc_lo
	v_cmp_eq_u32_e32 vcc_lo, 4, v74
	v_lshrrev_b32_e32 v15, 16, v7
	v_lshrrev_b32_e32 v16, 16, v8
	v_cndmask_b32_e64 v17, v19, v10, s5
	v_cmp_eq_u32_e64 s3, 4, v73
	v_cndmask_b32_e64 v5, v5, v3, s4
	v_cndmask_b32_e64 v6, v6, v7, s4
	v_cndmask_b32_e32 v9, v9, v3, vcc_lo
	v_cmp_eq_u32_e64 s4, 5, v74
	v_cndmask_b32_e32 v10, v13, v7, vcc_lo
	v_cmp_eq_u32_e32 vcc_lo, 4, v72
	v_cmp_eq_u32_e64 s5, 5, v71
	v_cndmask_b32_e64 v2, v2, v7, s3
	v_cndmask_b32_e64 v9, v9, v11, s4
	;; [unrolled: 1-line block ×3, first 2 shown]
	v_cndmask_b32_e32 v13, v17, v3, vcc_lo
	v_cmp_eq_u32_e64 s4, 5, v72
	v_cndmask_b32_e32 v14, v18, v7, vcc_lo
	v_cndmask_b32_e64 v1, v1, v3, s3
	v_cmp_eq_u32_e32 vcc_lo, 5, v73
	v_lshrrev_b32_e32 v12, 16, v4
	v_cndmask_b32_e64 v13, v13, v11, s4
	v_cndmask_b32_e64 v3, v14, v15, s4
	v_cmp_eq_u32_e64 s4, 6, v73
	v_cndmask_b32_e32 v1, v1, v11, vcc_lo
	v_cndmask_b32_e64 v5, v5, v11, s5
	v_cmp_eq_u32_e64 s6, 6, v71
	v_cndmask_b32_e64 v6, v6, v15, s5
	v_cmp_eq_u32_e64 s5, 6, v74
	v_cmp_eq_u32_e64 s3, 6, v72
	v_cndmask_b32_e64 v1, v1, v4, s4
	v_cndmask_b32_e32 v2, v2, v15, vcc_lo
	v_cmp_eq_u32_e32 vcc_lo, 7, v73
	v_cndmask_b32_e64 v5, v5, v4, s6
	v_cndmask_b32_e64 v9, v9, v4, s5
	;; [unrolled: 1-line block ×3, first 2 shown]
	v_cmp_eq_u32_e64 s6, 7, v71
	v_cndmask_b32_e32 v1, v1, v12, vcc_lo
	v_cndmask_b32_e64 v7, v13, v4, s3
	v_cndmask_b32_e64 v3, v3, v8, s3
	;; [unrolled: 1-line block ×3, first 2 shown]
	v_cmp_eq_u32_e64 s3, 7, v72
	v_cndmask_b32_e64 v4, v10, v8, s5
	v_cndmask_b32_e64 v5, v5, v12, s6
	;; [unrolled: 1-line block ×3, first 2 shown]
	v_cndmask_b32_e32 v2, v2, v16, vcc_lo
	v_cndmask_b32_e64 v7, v7, v12, s3
	v_cndmask_b32_e64 v3, v3, v16, s3
	;; [unrolled: 1-line block ×4, first 2 shown]
	v_cmp_gt_u32_e32 vcc_lo, 32, v0
	v_perm_b32 v4, v2, v1, 0x5040100
	v_perm_b32 v3, v3, v7, 0x5040100
	;; [unrolled: 1-line block ×4, first 2 shown]
	s_and_b32 s2, vcc_lo, s2
	ds_store_b128 v69, v[1:4]
	s_waitcnt lgkmcnt(0)
	s_barrier
	buffer_gl0_inv
	s_and_saveexec_b32 s3, s2
	s_cbranch_execz .LBB885_2
; %bb.15:
	s_load_b64 s[0:1], s[0:1], 0x68
	v_lshlrev_b32_e32 v0, 10, v0
	s_lshl_b32 s4, s35, 6
	v_or_b32_e32 v23, s31, v66
	s_mul_i32 s2, s4, s34
	v_lshlrev_b32_e32 v1, 4, v67
	v_lshlrev_b32_e32 v2, 6, v66
	s_mul_i32 s2, s2, s8
	v_and_b32_e32 v0, 0x3800, v0
	v_mul_lo_u32 v8, v23, s4
	s_ashr_i32 s3, s2, 31
	v_or_b32_e32 v3, 2, v23
	s_lshl_b64 s[2:3], s[2:3], 1
	v_or3_b32 v27, v0, v1, v2
	v_or_b32_e32 v11, 4, v23
	v_or_b32_e32 v18, 6, v23
	v_mul_lo_u32 v10, v3, s4
	v_ashrrev_i32_e32 v9, 31, v8
	ds_load_b128 v[0:3], v27
	ds_load_b128 v[4:7], v27 offset:128
	v_mul_lo_u32 v12, v11, s4
	s_waitcnt lgkmcnt(0)
	s_add_u32 s2, s0, s2
	s_addc_u32 s3, s1, s3
	s_lshl_b32 s0, s14, 6
	v_lshlrev_b64 v[8:9], 1, v[8:9]
	s_ashr_i32 s1, s0, 31
	v_ashrrev_i32_e32 v11, 31, v10
	s_lshl_b64 s[0:1], s[0:1], 1
	v_ashrrev_i32_e32 v13, 31, v12
	s_add_u32 s0, s2, s0
	s_addc_u32 s1, s3, s1
	v_add_co_u32 v30, s0, s0, v65
	s_delay_alu instid0(VALU_DEP_1) | instskip(SKIP_1) | instid1(VALU_DEP_3)
	v_add_co_ci_u32_e64 v31, null, s1, 0, s0
	v_lshlrev_b64 v[16:17], 1, v[10:11]
	v_add_co_u32 v14, vcc_lo, v30, v8
	s_delay_alu instid0(VALU_DEP_3)
	v_add_co_ci_u32_e32 v15, vcc_lo, v31, v9, vcc_lo
	ds_load_b128 v[8:11], v27 offset:256
	v_mul_lo_u32 v18, v18, s4
	v_or_b32_e32 v19, 8, v23
	v_add_co_u32 v16, vcc_lo, v30, v16
	global_store_b128 v[14:15], v[0:3], off
	v_lshlrev_b64 v[0:1], 1, v[12:13]
	v_add_co_ci_u32_e32 v17, vcc_lo, v31, v17, vcc_lo
	v_mul_lo_u32 v12, v19, s4
	v_ashrrev_i32_e32 v19, 31, v18
	v_or_b32_e32 v14, 10, v23
	global_store_b128 v[16:17], v[4:7], off
	v_add_co_u32 v4, vcc_lo, v30, v0
	v_add_co_ci_u32_e32 v5, vcc_lo, v31, v1, vcc_lo
	ds_load_b128 v[0:3], v27 offset:384
	v_ashrrev_i32_e32 v13, 31, v12
	v_lshlrev_b64 v[6:7], 1, v[18:19]
	v_mul_lo_u32 v14, v14, s4
	s_waitcnt lgkmcnt(1)
	global_store_b128 v[4:5], v[8:11], off
	v_or_b32_e32 v8, 12, v23
	v_lshlrev_b64 v[4:5], 1, v[12:13]
	v_add_co_u32 v20, vcc_lo, v30, v6
	v_or_b32_e32 v6, 14, v23
	v_ashrrev_i32_e32 v15, 31, v14
	v_mul_lo_u32 v22, v8, s4
	v_add_co_ci_u32_e32 v21, vcc_lo, v31, v7, vcc_lo
	v_add_co_u32 v24, vcc_lo, v30, v4
	v_mul_lo_u32 v26, v6, s4
	v_add_co_ci_u32_e32 v25, vcc_lo, v31, v5, vcc_lo
	v_lshlrev_b64 v[28:29], 1, v[14:15]
	ds_load_b128 v[4:7], v27 offset:512
	ds_load_b128 v[8:11], v27 offset:640
	;; [unrolled: 1-line block ×4, first 2 shown]
	v_ashrrev_i32_e32 v23, 31, v22
	v_ashrrev_i32_e32 v27, 31, v26
	v_add_co_u32 v28, vcc_lo, v30, v28
	s_delay_alu instid0(VALU_DEP_3) | instskip(SKIP_1) | instid1(VALU_DEP_4)
	v_lshlrev_b64 v[22:23], 1, v[22:23]
	v_add_co_ci_u32_e32 v29, vcc_lo, v31, v29, vcc_lo
	v_lshlrev_b64 v[26:27], 1, v[26:27]
	s_delay_alu instid0(VALU_DEP_3) | instskip(NEXT) | instid1(VALU_DEP_4)
	v_add_co_u32 v22, vcc_lo, v30, v22
	v_add_co_ci_u32_e32 v23, vcc_lo, v31, v23, vcc_lo
	s_delay_alu instid0(VALU_DEP_3) | instskip(NEXT) | instid1(VALU_DEP_4)
	v_add_co_u32 v26, vcc_lo, v30, v26
	v_add_co_ci_u32_e32 v27, vcc_lo, v31, v27, vcc_lo
	s_waitcnt lgkmcnt(4)
	global_store_b128 v[20:21], v[0:3], off
	s_waitcnt lgkmcnt(3)
	global_store_b128 v[24:25], v[4:7], off
	;; [unrolled: 2-line block ×5, first 2 shown]
	s_nop 0
	s_sendmsg sendmsg(MSG_DEALLOC_VGPRS)
	s_endpgm
	.section	.rodata,"a",@progbits
	.p2align	6, 0x0
	.amdhsa_kernel _Z39paged_attention_ll4mi_QKV_mfma16_kernelIDF16_hLN4vllm18Fp8KVCacheDataTypeE1EhLi32ELi64ELi256ELb0ELi16EL8MFMAType1EEvPKT_PKT0_S8_ifPKiSA_SA_iPKfiiiPfSD_PS3_PT2_iSC_SC_
		.amdhsa_group_segment_fixed_size 17472
		.amdhsa_private_segment_fixed_size 0
		.amdhsa_kernarg_size 400
		.amdhsa_user_sgpr_count 13
		.amdhsa_user_sgpr_dispatch_ptr 0
		.amdhsa_user_sgpr_queue_ptr 0
		.amdhsa_user_sgpr_kernarg_segment_ptr 1
		.amdhsa_user_sgpr_dispatch_id 0
		.amdhsa_user_sgpr_private_segment_size 0
		.amdhsa_wavefront_size32 1
		.amdhsa_uses_dynamic_stack 0
		.amdhsa_enable_private_segment 0
		.amdhsa_system_sgpr_workgroup_id_x 1
		.amdhsa_system_sgpr_workgroup_id_y 1
		.amdhsa_system_sgpr_workgroup_id_z 1
		.amdhsa_system_sgpr_workgroup_info 0
		.amdhsa_system_vgpr_workitem_id 0
		.amdhsa_next_free_vgpr 123
		.amdhsa_next_free_sgpr 42
		.amdhsa_reserve_vcc 1
		.amdhsa_float_round_mode_32 0
		.amdhsa_float_round_mode_16_64 0
		.amdhsa_float_denorm_mode_32 3
		.amdhsa_float_denorm_mode_16_64 3
		.amdhsa_dx10_clamp 1
		.amdhsa_ieee_mode 1
		.amdhsa_fp16_overflow 0
		.amdhsa_workgroup_processor_mode 1
		.amdhsa_memory_ordered 1
		.amdhsa_forward_progress 0
		.amdhsa_shared_vgpr_count 0
		.amdhsa_exception_fp_ieee_invalid_op 0
		.amdhsa_exception_fp_denorm_src 0
		.amdhsa_exception_fp_ieee_div_zero 0
		.amdhsa_exception_fp_ieee_overflow 0
		.amdhsa_exception_fp_ieee_underflow 0
		.amdhsa_exception_fp_ieee_inexact 0
		.amdhsa_exception_int_div_zero 0
	.end_amdhsa_kernel
	.section	.text._Z39paged_attention_ll4mi_QKV_mfma16_kernelIDF16_hLN4vllm18Fp8KVCacheDataTypeE1EhLi32ELi64ELi256ELb0ELi16EL8MFMAType1EEvPKT_PKT0_S8_ifPKiSA_SA_iPKfiiiPfSD_PS3_PT2_iSC_SC_,"axG",@progbits,_Z39paged_attention_ll4mi_QKV_mfma16_kernelIDF16_hLN4vllm18Fp8KVCacheDataTypeE1EhLi32ELi64ELi256ELb0ELi16EL8MFMAType1EEvPKT_PKT0_S8_ifPKiSA_SA_iPKfiiiPfSD_PS3_PT2_iSC_SC_,comdat
.Lfunc_end885:
	.size	_Z39paged_attention_ll4mi_QKV_mfma16_kernelIDF16_hLN4vllm18Fp8KVCacheDataTypeE1EhLi32ELi64ELi256ELb0ELi16EL8MFMAType1EEvPKT_PKT0_S8_ifPKiSA_SA_iPKfiiiPfSD_PS3_PT2_iSC_SC_, .Lfunc_end885-_Z39paged_attention_ll4mi_QKV_mfma16_kernelIDF16_hLN4vllm18Fp8KVCacheDataTypeE1EhLi32ELi64ELi256ELb0ELi16EL8MFMAType1EEvPKT_PKT0_S8_ifPKiSA_SA_iPKfiiiPfSD_PS3_PT2_iSC_SC_
                                        ; -- End function
	.section	.AMDGPU.csdata,"",@progbits
; Kernel info:
; codeLenInByte = 6736
; NumSgprs: 44
; NumVgprs: 123
; ScratchSize: 0
; MemoryBound: 0
; FloatMode: 240
; IeeeMode: 1
; LDSByteSize: 17472 bytes/workgroup (compile time only)
; SGPRBlocks: 5
; VGPRBlocks: 15
; NumSGPRsForWavesPerEU: 44
; NumVGPRsForWavesPerEU: 123
; Occupancy: 10
; WaveLimiterHint : 1
; COMPUTE_PGM_RSRC2:SCRATCH_EN: 0
; COMPUTE_PGM_RSRC2:USER_SGPR: 13
; COMPUTE_PGM_RSRC2:TRAP_HANDLER: 0
; COMPUTE_PGM_RSRC2:TGID_X_EN: 1
; COMPUTE_PGM_RSRC2:TGID_Y_EN: 1
; COMPUTE_PGM_RSRC2:TGID_Z_EN: 1
; COMPUTE_PGM_RSRC2:TIDIG_COMP_CNT: 0
	.section	.text._Z39paged_attention_ll4mi_QKV_mfma16_kernelIDF16_hLN4vllm18Fp8KVCacheDataTypeE1EhLi32ELi64ELi256ELb0ELi1EL8MFMAType1EEvPKT_PKT0_S8_ifPKiSA_SA_iPKfiiiPfSD_PS3_PT2_iSC_SC_,"axG",@progbits,_Z39paged_attention_ll4mi_QKV_mfma16_kernelIDF16_hLN4vllm18Fp8KVCacheDataTypeE1EhLi32ELi64ELi256ELb0ELi1EL8MFMAType1EEvPKT_PKT0_S8_ifPKiSA_SA_iPKfiiiPfSD_PS3_PT2_iSC_SC_,comdat
	.protected	_Z39paged_attention_ll4mi_QKV_mfma16_kernelIDF16_hLN4vllm18Fp8KVCacheDataTypeE1EhLi32ELi64ELi256ELb0ELi1EL8MFMAType1EEvPKT_PKT0_S8_ifPKiSA_SA_iPKfiiiPfSD_PS3_PT2_iSC_SC_ ; -- Begin function _Z39paged_attention_ll4mi_QKV_mfma16_kernelIDF16_hLN4vllm18Fp8KVCacheDataTypeE1EhLi32ELi64ELi256ELb0ELi1EL8MFMAType1EEvPKT_PKT0_S8_ifPKiSA_SA_iPKfiiiPfSD_PS3_PT2_iSC_SC_
	.globl	_Z39paged_attention_ll4mi_QKV_mfma16_kernelIDF16_hLN4vllm18Fp8KVCacheDataTypeE1EhLi32ELi64ELi256ELb0ELi1EL8MFMAType1EEvPKT_PKT0_S8_ifPKiSA_SA_iPKfiiiPfSD_PS3_PT2_iSC_SC_
	.p2align	8
	.type	_Z39paged_attention_ll4mi_QKV_mfma16_kernelIDF16_hLN4vllm18Fp8KVCacheDataTypeE1EhLi32ELi64ELi256ELb0ELi1EL8MFMAType1EEvPKT_PKT0_S8_ifPKiSA_SA_iPKfiiiPfSD_PS3_PT2_iSC_SC_,@function
_Z39paged_attention_ll4mi_QKV_mfma16_kernelIDF16_hLN4vllm18Fp8KVCacheDataTypeE1EhLi32ELi64ELi256ELb0ELi1EL8MFMAType1EEvPKT_PKT0_S8_ifPKiSA_SA_iPKfiiiPfSD_PS3_PT2_iSC_SC_: ; @_Z39paged_attention_ll4mi_QKV_mfma16_kernelIDF16_hLN4vllm18Fp8KVCacheDataTypeE1EhLi32ELi64ELi256ELb0ELi1EL8MFMAType1EEvPKT_PKT0_S8_ifPKiSA_SA_iPKfiiiPfSD_PS3_PT2_iSC_SC_
; %bb.0:
	s_load_b64 s[4:5], s[0:1], 0x30
	s_mov_b32 s34, s13
	s_waitcnt lgkmcnt(0)
	s_cmp_lg_u64 s[4:5], 0
	s_cselect_b32 s6, -1, 0
	s_ashr_i32 s35, s13, 31
	s_cmp_eq_u64 s[4:5], 0
	s_cbranch_scc1 .LBB886_3
; %bb.1:
	s_lshl_b64 s[2:3], s[34:35], 2
	s_delay_alu instid0(SALU_CYCLE_1) | instskip(SKIP_4) | instid1(SALU_CYCLE_1)
	s_add_u32 s2, s4, s2
	s_addc_u32 s3, s5, s3
	s_load_b64 s[2:3], s[2:3], 0x0
	s_waitcnt lgkmcnt(0)
	s_sub_i32 s2, s3, s2
	s_cmp_eq_u32 s2, 1
	s_cselect_b32 s2, -1, 0
	s_delay_alu instid0(SALU_CYCLE_1)
	s_and_not1_b32 vcc_lo, exec_lo, s2
	s_cbranch_vccz .LBB886_4
.LBB886_2:
	s_endpgm
.LBB886_3:
.LBB886_4:
	s_load_b64 s[2:3], s[0:1], 0x28
	s_lshl_b64 s[8:9], s[34:35], 2
	s_waitcnt lgkmcnt(0)
	s_add_u32 s2, s2, s8
	s_addc_u32 s3, s3, s9
	s_lshl_b32 s12, s14, 8
	s_load_b32 s33, s[2:3], 0x0
	s_waitcnt lgkmcnt(0)
	s_cmp_ge_i32 s12, s33
	s_cbranch_scc1 .LBB886_2
; %bb.5:
	s_clause 0x1
	s_load_b128 s[28:31], s[0:1], 0x8
	s_load_b64 s[2:3], s[0:1], 0x20
	s_and_not1_b32 vcc_lo, exec_lo, s6
	s_mov_b64 s[6:7], s[34:35]
	s_cbranch_vccnz .LBB886_7
; %bb.6:
	s_add_u32 s4, s4, s8
	s_addc_u32 s5, s5, s9
	s_load_b32 s6, s[4:5], 0x0
.LBB886_7:
	s_load_b128 s[24:27], s[0:1], 0x48
	v_and_b32_e32 v73, 15, v0
	s_mov_b32 s13, exec_lo
                                        ; implicit-def: $sgpr16
                                        ; implicit-def: $sgpr4
	s_delay_alu instid0(VALU_DEP_1)
	v_cmpx_eq_u32_e32 0, v73
	s_cbranch_execz .LBB886_9
; %bb.8:
	s_load_b64 s[4:5], s[0:1], 0x0
	s_waitcnt lgkmcnt(0)
	s_mul_hi_i32 s7, s6, s24
	s_mul_i32 s6, s6, s24
	s_delay_alu instid0(SALU_CYCLE_1) | instskip(NEXT) | instid1(SALU_CYCLE_1)
	s_lshl_b64 s[6:7], s[6:7], 1
	s_add_u32 s6, s4, s6
	s_addc_u32 s7, s5, s7
	s_lshl_b32 s4, s15, 6
	s_delay_alu instid0(SALU_CYCLE_1) | instskip(NEXT) | instid1(SALU_CYCLE_1)
	s_ashr_i32 s5, s4, 31
	s_lshl_b64 s[4:5], s[4:5], 1
	s_delay_alu instid0(SALU_CYCLE_1)
	s_add_u32 s4, s6, s4
	s_addc_u32 s5, s7, s5
	s_clause 0x1
	s_load_b256 s[16:23], s[4:5], 0x0
	s_load_b256 s[4:11], s[4:5], 0x40
.LBB886_9:
	s_or_b32 exec_lo, exec_lo, s13
	v_and_b32_e32 v1, 0xef, v0
	s_waitcnt lgkmcnt(0)
	v_dual_mov_b32 v115, s23 :: v_dual_mov_b32 v108, s16
	v_mov_b32_e32 v114, s22
	s_add_i32 s13, s33, 31
	v_dual_mov_b32 v112, s20 :: v_dual_add_nc_u32 v1, s12, v1
	s_ashr_i32 s24, s13, 31
	s_load_b32 s27, s[0:1], 0x38
	s_lshr_b32 s24, s24, 27
	s_delay_alu instid0(VALU_DEP_1)
	v_ashrrev_i32_e32 v2, 31, v1
	v_or_b32_e32 v3, 16, v1
	s_add_i32 s13, s13, s24
	s_load_b32 s24, s[0:1], 0x1c
	s_ashr_i32 s13, s13, 5
	v_lshrrev_b32_e32 v2, 27, v2
	s_add_i32 s13, s13, -1
	v_cmp_gt_i32_e32 vcc_lo, s33, v1
	v_lshrrev_b32_e32 v66, 5, v0
	s_delay_alu instid0(VALU_DEP_3)
	v_dual_mov_b32 v111, s19 :: v_dual_add_nc_u32 v4, v1, v2
	v_mov_b32_e32 v113, s21
	v_mov_b32_e32 v109, s17
	v_and_b32_e32 v65, 0xe0, v0
	v_mbcnt_lo_u32_b32 v67, -1, 0
	v_ashrrev_i32_e32 v4, 5, v4
	v_add_nc_u32_e32 v2, v3, v2
	v_bfe_u32 v75, v0, 4, 1
	s_waitcnt lgkmcnt(0)
	s_mul_i32 s36, s34, s27
	v_xor_b32_e32 v68, 16, v67
	v_cndmask_b32_e32 v1, s13, v4, vcc_lo
	v_ashrrev_i32_e32 v2, 5, v2
	v_cmp_gt_i32_e32 vcc_lo, s33, v3
	s_ashr_i32 s37, s36, 31
	v_lshlrev_b32_e32 v74, 4, v73
	s_lshl_b64 s[36:37], s[36:37], 2
	v_mov_b32_e32 v110, s18
	v_cndmask_b32_e32 v3, s13, v2, vcc_lo
	v_ashrrev_i32_e32 v2, 31, v1
	s_add_u32 s36, s2, s36
	s_addc_u32 s35, s3, s37
	s_mul_i32 s37, s15, s26
	v_ashrrev_i32_e32 v4, 31, v3
	v_lshlrev_b64 v[1:2], 2, v[1:2]
	s_ashr_i32 s38, s37, 31
	s_add_u32 s40, s28, s37
	s_addc_u32 s41, s29, s38
	v_lshlrev_b64 v[3:4], 2, v[3:4]
	s_lshl_b32 s2, s14, 3
	v_add_co_u32 v1, vcc_lo, s36, v1
	v_add_co_ci_u32_e32 v2, vcc_lo, s35, v2, vcc_lo
	s_delay_alu instid0(VALU_DEP_3) | instskip(NEXT) | instid1(VALU_DEP_4)
	v_add_co_u32 v3, vcc_lo, s36, v3
	v_add_co_ci_u32_e32 v4, vcc_lo, s35, v4, vcc_lo
	s_clause 0x1
	global_load_b32 v5, v[1:2], off
	global_load_b32 v6, v[3:4], off
	s_ashr_i32 s3, s2, 31
	s_delay_alu instid0(SALU_CYCLE_1) | instskip(NEXT) | instid1(SALU_CYCLE_1)
	s_lshl_b64 s[2:3], s[2:3], 2
	s_add_u32 s2, s36, s2
	s_addc_u32 s3, s35, s3
	s_or_b32 s26, s12, 32
	s_delay_alu instid0(SALU_CYCLE_1) | instskip(SKIP_2) | instid1(SALU_CYCLE_1)
	s_ashr_i32 s27, s26, 5
	s_cmp_lt_i32 s26, s33
	s_cselect_b32 s26, s27, s13
	s_ashr_i32 s27, s26, 31
	s_delay_alu instid0(SALU_CYCLE_1) | instskip(NEXT) | instid1(SALU_CYCLE_1)
	s_lshl_b64 s[26:27], s[26:27], 2
	s_add_u32 s26, s36, s26
	s_addc_u32 s27, s35, s27
	s_or_b32 s28, s12, 64
	s_delay_alu instid0(SALU_CYCLE_1) | instskip(SKIP_2) | instid1(SALU_CYCLE_1)
	s_ashr_i32 s29, s28, 5
	s_cmp_lt_i32 s28, s33
	s_cselect_b32 s28, s29, s13
	;; [unrolled: 10-line block ×5, first 2 shown]
	s_ashr_i32 s29, s28, 31
	s_delay_alu instid0(SALU_CYCLE_1) | instskip(NEXT) | instid1(SALU_CYCLE_1)
	s_lshl_b64 s[28:29], s[28:29], 2
	s_add_u32 s48, s36, s28
	s_addc_u32 s49, s35, s29
	s_clause 0x5
	s_load_b32 s29, s[2:3], 0x0
	s_load_b32 s2, s[26:27], 0x0
	;; [unrolled: 1-line block ×6, first 2 shown]
	s_or_b32 s39, s12, 0xc0
	s_waitcnt vmcnt(1)
	v_mad_i64_i32 v[1:2], null, v5, s25, s[40:41]
	s_waitcnt vmcnt(0)
	v_mad_i64_i32 v[3:4], null, v6, s25, s[40:41]
	s_ashr_i32 s40, s39, 5
	s_cmp_lt_i32 s39, s33
	s_cselect_b32 s40, s40, s13
	s_delay_alu instid0(VALU_DEP_2) | instskip(NEXT) | instid1(VALU_DEP_3)
	v_add_co_u32 v1, vcc_lo, v1, v74
	v_add_co_ci_u32_e32 v2, vcc_lo, 0, v2, vcc_lo
	s_delay_alu instid0(VALU_DEP_3) | instskip(NEXT) | instid1(VALU_DEP_4)
	v_add_co_u32 v3, vcc_lo, v3, v74
	v_add_co_ci_u32_e32 v4, vcc_lo, 0, v4, vcc_lo
	s_clause 0x7
	global_load_b128 v[76:79], v[1:2], off
	global_load_b128 v[80:83], v[1:2], off offset:512
	global_load_b128 v[84:87], v[3:4], off offset:256
	;; [unrolled: 1-line block ×7, first 2 shown]
	s_ashr_i32 s41, s40, 31
	v_lshlrev_b32_e32 v1, 5, v73
	s_lshl_b64 s[40:41], s[40:41], 2
	v_cmp_gt_i32_e32 vcc_lo, 32, v68
	s_add_u32 s40, s36, s40
	s_addc_u32 s41, s35, s41
	s_or_b32 s39, s12, 0xe0
	v_lshl_or_b32 v1, v66, 9, v1
	s_ashr_i32 s42, s39, 5
	s_cmp_lt_i32 s39, s33
	s_cselect_b32 s42, s42, s13
	s_load_b32 s13, s[40:41], 0x0
	s_ashr_i32 s43, s42, 31
	s_delay_alu instid0(SALU_CYCLE_1) | instskip(NEXT) | instid1(SALU_CYCLE_1)
	s_lshl_b64 s[42:43], s[42:43], 2
	s_add_u32 s40, s36, s42
	s_addc_u32 s41, s35, s43
	s_add_u32 s30, s30, s37
	s_addc_u32 s31, s31, s38
	v_add_co_u32 v1, s30, s30, v1
	s_delay_alu instid0(VALU_DEP_1) | instskip(SKIP_3) | instid1(VALU_DEP_1)
	v_add_co_ci_u32_e64 v2, null, s31, 0, s30
	s_load_b32 s30, s[40:41], 0x0
	s_mov_b32 s36, 0
	s_waitcnt lgkmcnt(0)
	v_mad_i64_i32 v[3:4], null, s29, s25, v[1:2]
	v_mad_i64_i32 v[9:10], null, s26, s25, v[1:2]
	;; [unrolled: 1-line block ×7, first 2 shown]
	s_clause 0x5
	global_load_b128 v[49:52], v[3:4], off
	global_load_b128 v[53:56], v[3:4], off offset:16
	global_load_b128 v[41:44], v[5:6], off
	global_load_b128 v[45:48], v[5:6], off offset:16
	;; [unrolled: 2-line block ×3, first 2 shown]
	s_mov_b32 s43, s36
	s_mov_b32 s37, s36
	v_mad_i64_i32 v[61:62], null, s30, s25, v[1:2]
	s_clause 0x9
	global_load_b128 v[1:4], v[9:10], off
	global_load_b128 v[5:8], v[9:10], off offset:16
	global_load_b128 v[9:12], v[13:14], off
	global_load_b128 v[13:16], v[13:14], off offset:16
	global_load_b128 v[17:20], v[21:22], off
	global_load_b128 v[21:24], v[21:22], off offset:16
	global_load_b128 v[25:28], v[29:30], off
	global_load_b128 v[29:32], v[29:30], off offset:16
	global_load_b128 v[57:60], v[61:62], off
	global_load_b128 v[61:64], v[61:62], off offset:16
	s_mov_b32 s38, s36
	s_mov_b32 s39, s36
	;; [unrolled: 1-line block ×5, first 2 shown]
	v_mov_b32_e32 v123, s11
	v_mov_b32_e32 v131, s43
	v_dual_mov_b32 v121, s9 :: v_dual_mov_b32 v128, s40
	v_dual_mov_b32 v119, s7 :: v_dual_mov_b32 v126, s38
	;; [unrolled: 1-line block ×4, first 2 shown]
	v_mov_b32_e32 v127, s39
	v_dual_mov_b32 v125, s37 :: v_dual_mov_b32 v122, s10
	v_mov_b32_e32 v120, s8
	v_dual_mov_b32 v118, s6 :: v_dual_add_nc_u32 v65, s12, v65
	v_mov_b32_e32 v116, s4
	s_waitcnt vmcnt(0)
	s_barrier
	buffer_gl0_inv
	v_or_b32_e32 v65, v65, v75
	s_delay_alu instid0(VALU_DEP_1)
	v_or_b32_e32 v69, 4, v65
	v_or_b32_e32 v70, 6, v65
	;; [unrolled: 1-line block ×8, first 2 shown]
	v_cmp_gt_i32_e64 s3, s33, v69
	v_cmp_gt_i32_e64 s4, s33, v70
	;; [unrolled: 1-line block ×8, first 2 shown]
	v_wmma_f32_16x16x16_f16 v[132:139], v[76:83], v[108:115], v[124:131]
	v_or_b32_e32 v76, 20, v65
	v_or_b32_e32 v77, 22, v65
	;; [unrolled: 1-line block ×3, first 2 shown]
	s_delay_alu instid0(VALU_DEP_4)
	v_wmma_f32_16x16x16_f16 v[132:139], v[92:99], v[116:123], v[132:139]
	v_or_b32_e32 v79, 26, v65
	v_or_b32_e32 v80, 28, v65
	;; [unrolled: 1-line block ×3, first 2 shown]
	v_cmp_gt_i32_e64 s11, s33, v76
	v_mul_f32_e32 v82, s24, v139
	v_wmma_f32_16x16x16_f16 v[124:131], v[84:91], v[108:115], v[124:131]
	v_mul_f32_e32 v88, s24, v133
	v_mul_f32_e32 v86, s24, v135
	;; [unrolled: 1-line block ×3, first 2 shown]
	v_cmp_gt_i32_e64 s12, s33, v77
	v_wmma_f32_16x16x16_f16 v[124:131], v[100:107], v[116:123], v[124:131]
	v_cndmask_b32_e32 v67, v67, v68, vcc_lo
	v_or_b32_e32 v68, 2, v65
	v_cmp_gt_i32_e32 vcc_lo, s33, v65
	s_delay_alu instid0(VALU_DEP_4) | instskip(SKIP_1) | instid1(VALU_DEP_4)
	v_dual_mul_f32 v87, s24, v134 :: v_dual_mul_f32 v96, s24, v125
	v_dual_mul_f32 v90, s24, v131 :: v_dual_mul_f32 v89, s24, v132
	v_cmp_gt_i32_e64 s2, s33, v68
	v_dual_mul_f32 v85, s24, v136 :: v_dual_mul_f32 v94, s24, v127
	s_delay_alu instid0(VALU_DEP_4) | instskip(NEXT) | instid1(VALU_DEP_4)
	v_cndmask_b32_e64 v69, 0xff7fffff, v87, s3
	v_cndmask_b32_e32 v65, 0xff7fffff, v89, vcc_lo
	s_delay_alu instid0(VALU_DEP_4) | instskip(SKIP_3) | instid1(VALU_DEP_4)
	v_cndmask_b32_e64 v68, 0xff7fffff, v88, s2
	v_cndmask_b32_e64 v70, 0xff7fffff, v86, s4
	v_dual_mul_f32 v83, s24, v138 :: v_dual_mul_f32 v92, s24, v129
	v_cndmask_b32_e64 v71, 0xff7fffff, v84, s6
	v_max3_f32 v65, v65, 0xff7fffff, v68
	v_cndmask_b32_e64 v68, 0xff7fffff, v85, s5
	v_mul_f32_e32 v97, s24, v124
	v_mul_f32_e32 v95, s24, v126
	;; [unrolled: 1-line block ×3, first 2 shown]
	v_max3_f32 v65, v65, v69, v70
	v_cndmask_b32_e64 v69, 0xff7fffff, v83, s7
	v_cndmask_b32_e64 v70, 0xff7fffff, v82, s8
	v_cmp_gt_i32_e64 s13, s33, v78
	v_cmp_gt_i32_e64 s16, s33, v79
	v_max3_f32 v65, v65, v68, v71
	v_cndmask_b32_e64 v68, 0xff7fffff, v97, s9
	v_cndmask_b32_e64 v71, 0xff7fffff, v96, s10
	v_mul_f32_e32 v91, s24, v130
	v_cmp_gt_i32_e64 s17, s33, v80
	v_max3_f32 v65, v65, v69, v70
	v_cndmask_b32_e64 v69, 0xff7fffff, v95, s11
	v_cndmask_b32_e64 v70, 0xff7fffff, v94, s12
	v_cmp_gt_i32_e64 s18, s33, v81
	s_delay_alu instid0(VALU_DEP_4) | instskip(SKIP_2) | instid1(VALU_DEP_3)
	v_max3_f32 v65, v65, v68, v71
	v_cndmask_b32_e64 v68, 0xff7fffff, v93, s13
	v_cndmask_b32_e64 v71, 0xff7fffff, v92, s16
	v_max3_f32 v65, v65, v69, v70
	v_cndmask_b32_e64 v69, 0xff7fffff, v91, s17
	v_cndmask_b32_e64 v70, 0xff7fffff, v90, s18
	s_delay_alu instid0(VALU_DEP_3) | instskip(SKIP_1) | instid1(VALU_DEP_2)
	v_max3_f32 v65, v65, v68, v71
	v_lshlrev_b32_e32 v68, 2, v67
	v_max3_f32 v65, v65, v69, v70
	ds_bpermute_b32 v67, v68, v65
	s_waitcnt lgkmcnt(0)
	v_max_f32_e32 v67, v67, v67
	s_delay_alu instid0(VALU_DEP_1) | instskip(NEXT) | instid1(VALU_DEP_1)
	v_max_f32_e32 v65, v65, v67
	v_fma_f32 v80, s24, v124, -v65
	s_delay_alu instid0(VALU_DEP_1)
	v_mul_f32_e32 v80, 0x3fb8aa3b, v80
	v_fma_f32 v78, s24, v138, -v65
	v_fma_f32 v71, s24, v135, -v65
	;; [unrolled: 1-line block ×5, first 2 shown]
	v_mul_f32_e32 v78, 0x3fb8aa3b, v78
	v_exp_f32_e32 v80, v80
	v_mul_f32_e32 v67, 0x3fb8aa3b, v67
	v_fma_f32 v72, s24, v136, -v65
	v_mul_f32_e32 v70, 0x3fb8aa3b, v70
	v_exp_f32_e32 v78, v78
	s_delay_alu instid0(VALU_DEP_3) | instskip(NEXT) | instid1(VALU_DEP_2)
	v_exp_f32_e32 v67, v67
	v_mul_f32_e32 v72, 0x3fb8aa3b, v72
	s_delay_alu instid0(VALU_DEP_2) | instskip(SKIP_2) | instid1(VALU_DEP_3)
	v_exp_f32_e32 v76, v70
	v_cndmask_b32_e64 v88, 0, v80, s9
	v_fma_f32 v80, s24, v129, -v65
	v_exp_f32_e32 v79, v72
	v_cndmask_b32_e64 v86, 0, v78, s7
	v_fma_f32 v78, s24, v127, -v65
	v_mul_f32_e32 v71, 0x3fb8aa3b, v71
	s_delay_alu instid0(TRANS32_DEP_3) | instskip(SKIP_1) | instid1(TRANS32_DEP_2)
	v_cndmask_b32_e32 v70, 0, v67, vcc_lo
	v_fma_f32 v67, s24, v137, -v65
	v_cndmask_b32_e64 v72, 0, v76, s3
	v_mul_f32_e32 v78, 0x3fb8aa3b, v78
	v_exp_f32_e32 v71, v71
	v_dual_add_f32 v77, 0, v70 :: v_dual_mul_f32 v80, 0x3fb8aa3b, v80
	v_mul_f32_e32 v67, 0x3fb8aa3b, v67
	v_cndmask_b32_e64 v84, 0, v79, s5
	v_fma_f32 v79, s24, v125, -v65
	v_exp_f32_e32 v78, v78
	s_mov_b32 s3, exec_lo
	v_exp_f32_e32 v67, v67
	s_delay_alu instid0(TRANS32_DEP_3) | instskip(SKIP_2) | instid1(VALU_DEP_2)
	v_cndmask_b32_e64 v71, 0, v71, s4
	v_mul_f32_e32 v69, 0x3fb8aa3b, v69
	v_mul_f32_e32 v79, 0x3fb8aa3b, v79
	v_exp_f32_e32 v69, v69
	s_delay_alu instid0(VALU_DEP_1) | instskip(NEXT) | instid1(TRANS32_DEP_3)
	v_exp_f32_e32 v79, v79
	v_cndmask_b32_e64 v83, 0, v67, s6
	v_cndmask_b32_e64 v89, 0, v78, s12
	v_fma_f32 v78, s24, v131, -v65
	s_waitcnt_depctr 0xfff
	v_cndmask_b32_e64 v69, 0, v69, s2
	v_cndmask_b32_e64 v87, 0, v79, s10
	v_fma_f32 v79, s24, v130, -v65
	s_delay_alu instid0(VALU_DEP_3) | instskip(SKIP_1) | instid1(VALU_DEP_1)
	v_add_f32_e32 v76, v77, v69
	v_fma_f32 v77, s24, v139, -v65
	v_dual_add_f32 v76, v76, v72 :: v_dual_mul_f32 v77, 0x3fb8aa3b, v77
	s_delay_alu instid0(VALU_DEP_1) | instskip(NEXT) | instid1(VALU_DEP_1)
	v_add_f32_e32 v76, v76, v71
	v_add_f32_e32 v67, v76, v84
	v_fma_f32 v76, s24, v126, -v65
	s_delay_alu instid0(VALU_DEP_1) | instskip(NEXT) | instid1(VALU_DEP_1)
	v_dual_add_f32 v67, v67, v83 :: v_dual_mul_f32 v76, 0x3fb8aa3b, v76
	v_add_f32_e32 v67, v67, v86
	s_delay_alu instid0(VALU_DEP_2)
	v_exp_f32_e32 v76, v76
	s_waitcnt_depctr 0xfff
	v_cndmask_b32_e64 v90, 0, v76, s11
	v_mul_f32_e32 v76, 0x3fb8aa3b, v79
	v_exp_f32_e32 v77, v77
	v_exp_f32_e32 v79, v80
	s_delay_alu instid0(VALU_DEP_1) | instskip(NEXT) | instid1(TRANS32_DEP_3)
	v_exp_f32_e32 v76, v76
	v_cndmask_b32_e64 v85, 0, v77, s8
	v_fma_f32 v77, s24, v128, -v65
	s_waitcnt_depctr 0xfff
	v_cndmask_b32_e64 v91, 0, v79, s16
	v_cndmask_b32_e64 v94, 0, v76, s17
	v_add_f32_e32 v67, v67, v85
	v_dual_mul_f32 v77, 0x3fb8aa3b, v77 :: v_dual_and_b32 v76, 31, v0
	s_delay_alu instid0(VALU_DEP_2) | instskip(NEXT) | instid1(VALU_DEP_2)
	v_add_f32_e32 v67, v67, v88
	v_exp_f32_e32 v77, v77
	s_delay_alu instid0(VALU_DEP_2) | instskip(NEXT) | instid1(VALU_DEP_2)
	v_cmp_lt_u32_e64 s2, 15, v76
	v_add_f32_e32 v67, v67, v87
	s_delay_alu instid0(VALU_DEP_1) | instskip(SKIP_4) | instid1(VALU_DEP_2)
	v_add_f32_e32 v67, v67, v90
	s_waitcnt_depctr 0xfff
	v_cndmask_b32_e64 v92, 0, v77, s13
	v_mul_f32_e32 v77, 0x3fb8aa3b, v78
	v_add_f32_e32 v67, v67, v89
	v_exp_f32_e32 v77, v77
	s_delay_alu instid0(VALU_DEP_1) | instskip(NEXT) | instid1(VALU_DEP_1)
	v_add_f32_e32 v67, v67, v92
	v_add_f32_e32 v67, v67, v91
	s_waitcnt_depctr 0xfff
	v_cndmask_b32_e64 v93, 0, v77, s18
	v_add_f32_e32 v67, v67, v94
	s_delay_alu instid0(VALU_DEP_1)
	v_add_f32_e32 v67, v67, v93
	ds_bpermute_b32 v68, v68, v67
	v_cmpx_gt_u32_e32 16, v76
	s_cbranch_execz .LBB886_11
; %bb.10:
	v_mul_u32_u24_e32 v76, 0x44, v66
	s_waitcnt lgkmcnt(0)
	v_add_f32_e32 v67, v67, v68
	s_delay_alu instid0(VALU_DEP_2) | instskip(NEXT) | instid1(VALU_DEP_1)
	v_lshl_add_u32 v76, v73, 2, v76
	v_add_nc_u32_e32 v68, 0x4000, v76
	ds_store_2addr_b32 v68, v65, v67 offset1:136
.LBB886_11:
	s_or_b32 exec_lo, exec_lo, s3
	v_lshlrev_b32_e32 v65, 2, v73
	s_load_b64 s[36:37], s[0:1], 0x94
	s_waitcnt lgkmcnt(0)
	s_barrier
	buffer_gl0_inv
	v_add_nc_u32_e32 v65, 0x4000, v65
	v_cmp_eq_u32_e32 vcc_lo, 1, v66
	v_cmp_eq_u32_e64 s3, 2, v66
	v_cmp_eq_u32_e64 s5, 3, v66
	;; [unrolled: 1-line block ×3, first 2 shown]
	ds_load_2addr_b32 v[76:77], v65 offset1:17
	ds_load_2addr_b32 v[78:79], v65 offset0:34 offset1:51
	ds_load_2addr_b32 v[80:81], v65 offset0:68 offset1:85
	;; [unrolled: 1-line block ×3, first 2 shown]
	v_cmp_eq_u32_e64 s7, 5, v66
	v_cmp_eq_u32_e64 s4, 6, v66
	s_waitcnt lgkmcnt(3)
	v_max3_f32 v67, v76, 0xff7fffff, v77
	s_waitcnt lgkmcnt(2)
	s_delay_alu instid0(VALU_DEP_1) | instskip(SKIP_1) | instid1(VALU_DEP_1)
	v_max3_f32 v67, v67, v78, v79
	s_waitcnt lgkmcnt(1)
	v_max3_f32 v67, v67, v80, v81
	s_waitcnt lgkmcnt(0)
	s_delay_alu instid0(VALU_DEP_1) | instskip(NEXT) | instid1(VALU_DEP_1)
	v_max3_f32 v67, v67, v95, v96
	v_sub_f32_e32 v82, v77, v67
	ds_load_2addr_b32 v[97:98], v65 offset0:136 offset1:153
	v_sub_f32_e32 v68, v76, v67
	ds_load_2addr_b32 v[76:77], v65 offset0:170 offset1:187
	v_sub_f32_e32 v80, v80, v67
	v_mul_f32_e32 v82, 0x3fb8aa3b, v82
	v_mul_f32_e32 v68, 0x3fb8aa3b, v68
	s_delay_alu instid0(VALU_DEP_3) | instskip(NEXT) | instid1(VALU_DEP_2)
	v_mul_f32_e32 v102, 0x3fb8aa3b, v80
	v_exp_f32_e32 v99, v68
	v_sub_f32_e32 v68, v79, v67
	s_delay_alu instid0(VALU_DEP_1) | instskip(NEXT) | instid1(VALU_DEP_1)
	v_dual_sub_f32 v78, v78, v67 :: v_dual_mul_f32 v101, 0x3fb8aa3b, v68
	v_mul_f32_e32 v100, 0x3fb8aa3b, v78
	ds_load_2addr_b32 v[78:79], v65 offset0:204 offset1:221
	s_waitcnt lgkmcnt(2)
	v_fma_f32 v68, v99, v97, 0
	v_sub_f32_e32 v97, v81, v67
	ds_load_2addr_b32 v[80:81], v65 offset0:238 offset1:255
	v_sub_f32_e32 v65, v95, v67
	v_exp_f32_e32 v82, v82
	v_exp_f32_e32 v101, v101
	v_mul_f32_e32 v95, 0x3fb8aa3b, v97
	v_exp_f32_e32 v97, v102
	v_mul_f32_e32 v65, 0x3fb8aa3b, v65
	v_exp_f32_e32 v100, v100
	s_waitcnt lgkmcnt(0)
	v_exp_f32_e32 v95, v95
	s_barrier
	buffer_gl0_inv
	v_fmac_f32_e32 v68, v82, v98
	s_delay_alu instid0(VALU_DEP_1) | instskip(SKIP_2) | instid1(VALU_DEP_2)
	v_fmac_f32_e32 v68, v100, v76
	v_sub_f32_e32 v76, v96, v67
	v_exp_f32_e32 v96, v65
	v_fmac_f32_e32 v68, v101, v77
	s_delay_alu instid0(VALU_DEP_2) | instskip(NEXT) | instid1(VALU_DEP_2)
	v_mul_f32_e32 v76, 0x3fb8aa3b, v76
	v_fmac_f32_e32 v68, v97, v78
	s_delay_alu instid0(VALU_DEP_2) | instskip(SKIP_1) | instid1(VALU_DEP_2)
	v_exp_f32_e32 v98, v76
	v_cndmask_b32_e32 v76, v99, v82, vcc_lo
	v_fmac_f32_e32 v68, v95, v79
	s_delay_alu instid0(TRANS32_DEP_2) | instid1(VALU_DEP_1)
	v_fmac_f32_e32 v68, v96, v80
	v_lshlrev_b32_e32 v80, 6, v73
	s_waitcnt_depctr 0xfff
	v_fmac_f32_e32 v68, v98, v81
	v_lshl_or_b32 v82, v66, 11, v80
	s_delay_alu instid0(VALU_DEP_2) | instskip(NEXT) | instid1(VALU_DEP_1)
	v_add_f32_e32 v81, 0x358637bd, v68
	v_div_scale_f32 v102, null, v81, v81, 1.0
	v_div_scale_f32 v99, vcc_lo, 1.0, v81, 1.0
	s_delay_alu instid0(VALU_DEP_2) | instskip(SKIP_2) | instid1(VALU_DEP_1)
	v_rcp_f32_e32 v103, v102
	s_waitcnt_depctr 0xfff
	v_fma_f32 v65, -v102, v103, 1.0
	v_fmac_f32_e32 v103, v65, v103
	v_cndmask_b32_e64 v65, v76, v100, s3
	v_cmp_eq_u32_e64 s3, 7, v66
	v_lshlrev_b32_e32 v76, 2, v75
	s_delay_alu instid0(VALU_DEP_4) | instskip(NEXT) | instid1(VALU_DEP_4)
	v_mul_f32_e32 v100, v99, v103
	v_cndmask_b32_e64 v77, v65, v101, s5
	v_mov_b32_e32 v65, 0
	s_delay_alu instid0(VALU_DEP_4)
	v_or_b32_e32 v79, 1, v76
	v_cmp_eq_u32_e64 s5, 1, v76
	v_fma_f32 v78, -v102, v100, v99
	v_cndmask_b32_e64 v97, v77, v97, s6
	v_or_b32_e32 v77, 2, v76
	v_cmp_eq_u32_e64 s9, 1, v79
	v_cmp_eq_u32_e64 s6, 2, v76
	v_fmac_f32_e32 v100, v78, v103
	v_cndmask_b32_e64 v66, v97, v95, s7
	v_or_b32_e32 v78, 3, v76
	v_cmp_eq_u32_e64 s10, 1, v77
	v_cmp_eq_u32_e64 s12, 2, v79
	v_fma_f32 v95, -v102, v100, v99
	v_cndmask_b32_e64 v66, v66, v96, s4
	v_cmp_eq_u32_e64 s11, 1, v78
	v_cmp_eq_u32_e64 s17, 2, v78
	v_cmp_eq_u32_e64 s13, 3, v79
	v_div_fmas_f32 v95, v95, v103, v100
	v_cndmask_b32_e64 v66, v66, v98, s3
	v_cmp_eq_u32_e32 vcc_lo, 3, v76
	v_cmp_eq_u32_e64 s16, 2, v77
	v_cmp_eq_u32_e64 s19, 3, v78
	v_div_fixup_f32 v95, v95, v81, 1.0
	v_lshl_or_b32 v81, v75, 4, v82
	v_cmp_eq_u32_e64 s4, 4, v76
	v_cmp_eq_u32_e64 s18, 3, v77
	;; [unrolled: 1-line block ×3, first 2 shown]
	v_mul_f32_e32 v66, v66, v95
	v_cmp_eq_u32_e64 s23, 4, v78
	v_cmp_eq_u32_e64 s7, 5, v76
	;; [unrolled: 1-line block ×4, first 2 shown]
	v_fma_mixlo_f16 v95, v66, v70, 0
	v_fma_mixlo_f16 v96, v66, v72, 0
	;; [unrolled: 1-line block ×8, first 2 shown]
	v_fma_mixhi_f16 v95, v66, v69, 0
	v_fma_mixhi_f16 v96, v66, v71, 0
	;; [unrolled: 1-line block ×8, first 2 shown]
	ds_store_b128 v81, v[95:98]
	ds_store_b128 v81, v[99:102] offset:1024
	s_waitcnt lgkmcnt(0)
	s_barrier
	buffer_gl0_inv
	ds_load_b128 v[69:72], v82
	ds_load_b128 v[83:86], v82 offset:16
	ds_load_b128 v[87:90], v82 offset:1024
	;; [unrolled: 1-line block ×3, first 2 shown]
	v_cmp_eq_u32_e64 s25, 5, v78
	v_cmp_eq_u32_e64 s3, 6, v76
	;; [unrolled: 1-line block ×10, first 2 shown]
	s_waitcnt lgkmcnt(3)
	v_lshrrev_b32_e32 v66, 16, v69
	s_waitcnt lgkmcnt(2)
	v_lshrrev_b32_e32 v98, 16, v83
	;; [unrolled: 2-line block ×4, first 2 shown]
	v_lshrrev_b32_e32 v95, 16, v70
	v_cndmask_b32_e64 v110, v69, v66, s5
	v_cndmask_b32_e64 v111, v83, v98, s5
	v_cndmask_b32_e64 v112, v69, v66, s9
	v_cndmask_b32_e64 v113, v83, v98, s9
	v_cndmask_b32_e64 v114, v69, v66, s10
	v_cndmask_b32_e64 v66, v69, v66, s11
	v_cndmask_b32_e64 v69, v83, v98, s11
	v_lshrrev_b32_e32 v99, 16, v84
	v_cndmask_b32_e64 v115, v83, v98, s10
	v_cndmask_b32_e64 v83, v87, v102, s5
	;; [unrolled: 1-line block ×15, first 2 shown]
	v_lshrrev_b32_e32 v103, 16, v88
	v_lshrrev_b32_e32 v107, 16, v92
	v_cndmask_b32_e64 v112, v114, v70, s16
	v_cndmask_b32_e64 v113, v115, v84, s16
	;; [unrolled: 1-line block ×7, first 2 shown]
	v_cndmask_b32_e32 v88, v102, v95, vcc_lo
	v_cndmask_b32_e32 v102, v106, v99, vcc_lo
	v_cndmask_b32_e64 v106, v110, v95, s13
	v_cndmask_b32_e64 v110, v111, v99, s13
	;; [unrolled: 1-line block ×4, first 2 shown]
	v_lshrrev_b32_e32 v96, 16, v71
	v_lshrrev_b32_e32 v100, 16, v85
	v_cndmask_b32_e64 v111, v112, v95, s18
	v_cndmask_b32_e64 v112, v113, v99, s18
	v_cndmask_b32_e32 v70, v70, v103, vcc_lo
	v_cndmask_b32_e32 v83, v83, v107, vcc_lo
	v_cndmask_b32_e64 v84, v84, v103, s13
	v_cndmask_b32_e64 v88, v88, v71, s4
	;; [unrolled: 1-line block ×7, first 2 shown]
	v_lshrrev_b32_e32 v104, 16, v89
	v_lshrrev_b32_e32 v108, 16, v93
	v_cndmask_b32_e64 v106, v111, v71, s22
	v_cndmask_b32_e64 v110, v112, v85, s22
	;; [unrolled: 1-line block ×11, first 2 shown]
	v_lshrrev_b32_e32 v97, 16, v72
	v_lshrrev_b32_e32 v101, 16, v86
	v_cndmask_b32_e64 v99, v106, v96, s24
	v_cndmask_b32_e64 v102, v110, v100, s24
	;; [unrolled: 1-line block ×11, first 2 shown]
	v_lshrrev_b32_e32 v105, 16, v90
	v_cndmask_b32_e64 v96, v99, v72, s27
	v_cndmask_b32_e64 v99, v102, v86, s27
	;; [unrolled: 1-line block ×14, first 2 shown]
	v_perm_b32 v72, v69, v66, 0x5040100
	v_perm_b32 v70, v95, v85, 0x5040100
	v_cndmask_b32_e64 v66, v91, v92, s17
	v_cndmask_b32_e64 v69, v119, v92, s16
	;; [unrolled: 1-line block ×4, first 2 shown]
	v_perm_b32 v71, v96, v88, 0x5040100
	v_cndmask_b32_e64 v88, v98, v103, s18
	v_cndmask_b32_e64 v87, v87, v103, s19
	;; [unrolled: 1-line block ×15, first 2 shown]
	v_lshrrev_b32_e32 v109, 16, v94
	v_cndmask_b32_e64 v88, v88, v90, s27
	v_cndmask_b32_e64 v87, v87, v90, s28
	;; [unrolled: 1-line block ×11, first 2 shown]
	v_perm_b32 v69, v84, v83, 0x5040100
	v_perm_b32 v86, v66, v87, 0x5040100
	;; [unrolled: 1-line block ×5, first 2 shown]
	s_mov_b32 s3, exec_lo
	ds_store_b128 v81, v[69:72]
	ds_store_b128 v81, v[83:86] offset:1024
	v_cmpx_eq_u32_e32 0, v0
	s_cbranch_execz .LBB886_13
; %bb.12:
	s_load_b128 s[4:7], s[0:1], 0x58
	s_mul_i32 s8, s37, s34
	s_delay_alu instid0(SALU_CYCLE_1) | instskip(NEXT) | instid1(SALU_CYCLE_1)
	s_add_i32 s8, s8, s15
	s_mul_i32 s8, s8, s36
	s_delay_alu instid0(SALU_CYCLE_1) | instskip(NEXT) | instid1(SALU_CYCLE_1)
	s_add_i32 s8, s8, s14
	s_ashr_i32 s9, s8, 31
	s_delay_alu instid0(SALU_CYCLE_1)
	s_lshl_b64 s[8:9], s[8:9], 2
	s_waitcnt lgkmcnt(0)
	s_add_u32 s6, s6, s8
	s_addc_u32 s7, s7, s9
	s_add_u32 s4, s4, s8
	s_addc_u32 s5, s5, s9
	s_clause 0x1
	global_store_b32 v65, v67, s[6:7]
	global_store_b32 v65, v68, s[4:5]
.LBB886_13:
	s_or_b32 exec_lo, exec_lo, s3
	s_waitcnt lgkmcnt(0)
	s_waitcnt_vscnt null, 0x0
	s_barrier
	buffer_gl0_inv
	ds_load_b128 v[83:86], v80
	ds_load_b128 v[87:90], v80 offset:16
	ds_load_b128 v[95:98], v80 offset:2064
	;; [unrolled: 1-line block ×5, first 2 shown]
	v_mov_b32_e32 v66, v65
	v_mov_b32_e32 v67, v65
	;; [unrolled: 1-line block ×7, first 2 shown]
	ds_load_b128 v[111:114], v80 offset:6160
	ds_load_b128 v[107:110], v80 offset:6144
	;; [unrolled: 1-line block ×4, first 2 shown]
	v_cmp_eq_u32_e32 vcc_lo, 1, v76
	v_cmp_eq_u32_e64 s3, 1, v79
	v_cmp_eq_u32_e64 s4, 1, v78
	;; [unrolled: 1-line block ×5, first 2 shown]
	s_waitcnt lgkmcnt(8)
	v_wmma_f32_16x16x16_f16 v[65:72], v[49:56], v[83:90], v[65:72]
	ds_load_b128 v[53:56], v80 offset:10256
	ds_load_b128 v[49:52], v80 offset:10240
	s_waitcnt lgkmcnt(8)
	v_wmma_f32_16x16x16_f16 v[65:72], v[41:48], v[91:98], v[65:72]
	ds_load_b128 v[45:48], v80 offset:12304
	ds_load_b128 v[41:44], v80 offset:12288
	;; [unrolled: 4-line block ×3, first 2 shown]
	s_waitcnt lgkmcnt(0)
	s_barrier
	buffer_gl0_inv
	v_wmma_f32_16x16x16_f16 v[65:72], v[1:8], v[107:114], v[65:72]
	s_delay_alu instid0(VALU_DEP_1) | instskip(NEXT) | instid1(VALU_DEP_1)
	v_wmma_f32_16x16x16_f16 v[65:72], v[9:16], v[115:122], v[65:72]
	v_wmma_f32_16x16x16_f16 v[65:72], v[17:24], v[49:56], v[65:72]
	s_delay_alu instid0(VALU_DEP_1) | instskip(NEXT) | instid1(VALU_DEP_1)
	v_wmma_f32_16x16x16_f16 v[65:72], v[25:32], v[41:48], v[65:72]
	v_wmma_f32_16x16x16_f16 v[65:72], v[57:64], v[33:40], v[65:72]
	s_delay_alu instid0(VALU_DEP_1) | instskip(NEXT) | instid1(VALU_DEP_2)
	v_cvt_f16_f32_e32 v1, v65
	v_cvt_f16_f32_e32 v2, v66
	s_delay_alu instid0(VALU_DEP_3) | instskip(NEXT) | instid1(VALU_DEP_4)
	v_cvt_f16_f32_e32 v3, v67
	v_cvt_f16_f32_e32 v4, v68
	;; [unrolled: 1-line block ×6, first 2 shown]
	v_pack_b32_f16 v1, v1, v2
	v_pack_b32_f16 v2, v3, v4
	;; [unrolled: 1-line block ×3, first 2 shown]
	s_delay_alu instid0(VALU_DEP_4)
	v_pack_b32_f16 v4, v7, v8
	ds_store_b128 v81, v[1:4]
	s_waitcnt lgkmcnt(0)
	s_barrier
	buffer_gl0_inv
	ds_load_b128 v[1:4], v82
	ds_load_b128 v[5:8], v82 offset:16
	s_waitcnt lgkmcnt(1)
	v_lshrrev_b32_e32 v9, 16, v1
	s_waitcnt lgkmcnt(0)
	v_lshrrev_b32_e32 v13, 16, v5
	v_lshrrev_b32_e32 v16, 16, v8
	;; [unrolled: 1-line block ×4, first 2 shown]
	v_cndmask_b32_e32 v17, v1, v9, vcc_lo
	v_cndmask_b32_e32 v18, v5, v13, vcc_lo
	v_cmp_eq_u32_e32 vcc_lo, 1, v77
	v_cndmask_b32_e64 v19, v1, v9, s3
	v_cndmask_b32_e64 v20, v5, v13, s3
	v_cmp_eq_u32_e64 s3, 2, v77
	v_lshrrev_b32_e32 v11, 16, v3
	v_cndmask_b32_e32 v21, v1, v9, vcc_lo
	v_cndmask_b32_e32 v22, v5, v13, vcc_lo
	v_cndmask_b32_e64 v1, v1, v9, s4
	v_cmp_eq_u32_e32 vcc_lo, 2, v78
	v_cndmask_b32_e64 v5, v5, v13, s4
	v_cmp_eq_u32_e64 s4, 2, v79
	v_cndmask_b32_e64 v9, v17, v2, s5
	v_cndmask_b32_e64 v13, v18, v6, s5
	v_cmp_eq_u32_e64 s5, 3, v79
	v_cndmask_b32_e32 v1, v1, v2, vcc_lo
	v_cndmask_b32_e64 v17, v19, v2, s4
	v_cndmask_b32_e64 v18, v20, v6, s4
	;; [unrolled: 1-line block ×4, first 2 shown]
	v_cndmask_b32_e32 v2, v5, v6, vcc_lo
	v_cmp_eq_u32_e32 vcc_lo, 3, v77
	v_cmp_eq_u32_e64 s4, 3, v78
	v_cndmask_b32_e64 v5, v9, v10, s6
	v_cndmask_b32_e64 v6, v13, v14, s6
	;; [unrolled: 1-line block ×4, first 2 shown]
	v_cndmask_b32_e32 v17, v19, v10, vcc_lo
	v_cmp_eq_u32_e64 s3, 4, v77
	v_cndmask_b32_e32 v18, v20, v14, vcc_lo
	v_cndmask_b32_e64 v1, v1, v10, s4
	v_cmp_eq_u32_e32 vcc_lo, 4, v78
	v_cmp_eq_u32_e64 s5, 4, v76
	v_cndmask_b32_e64 v2, v2, v14, s4
	v_cmp_eq_u32_e64 s4, 4, v79
	v_lshrrev_b32_e32 v15, 16, v7
	v_cmp_eq_u32_e64 s6, 5, v76
	v_cndmask_b32_e64 v5, v5, v3, s5
	v_cndmask_b32_e64 v6, v6, v7, s5
	;; [unrolled: 1-line block ×6, first 2 shown]
	v_cmp_eq_u32_e64 s4, 5, v77
	v_cndmask_b32_e32 v1, v1, v3, vcc_lo
	v_cndmask_b32_e32 v2, v2, v7, vcc_lo
	v_cmp_eq_u32_e32 vcc_lo, 5, v78
	v_cmp_eq_u32_e64 s5, 5, v79
	v_cndmask_b32_e64 v5, v5, v11, s6
	v_cmp_eq_u32_e64 s3, 6, v76
	v_cndmask_b32_e64 v6, v6, v15, s6
	v_cndmask_b32_e64 v13, v13, v11, s4
	;; [unrolled: 1-line block ×3, first 2 shown]
	v_cndmask_b32_e32 v1, v1, v11, vcc_lo
	v_cmp_eq_u32_e64 s4, 6, v78
	v_cndmask_b32_e32 v2, v2, v15, vcc_lo
	v_cndmask_b32_e64 v9, v9, v11, s5
	v_cndmask_b32_e64 v10, v10, v15, s5
	v_cmp_eq_u32_e64 s5, 6, v79
	v_lshrrev_b32_e32 v12, 16, v4
	v_cndmask_b32_e64 v5, v5, v4, s3
	v_cndmask_b32_e64 v6, v6, v8, s3
	v_cmp_eq_u32_e64 s3, 7, v76
	v_cndmask_b32_e64 v1, v1, v4, s4
	v_cmp_eq_u32_e32 vcc_lo, 7, v78
	v_cndmask_b32_e64 v2, v2, v8, s4
	v_cndmask_b32_e64 v9, v9, v4, s5
	v_cmp_eq_u32_e64 s6, 7, v79
	v_cndmask_b32_e64 v7, v13, v4, s7
	v_cndmask_b32_e64 v3, v3, v8, s7
	v_cndmask_b32_e32 v2, v2, v16, vcc_lo
	v_cmp_eq_u32_e64 s4, 7, v77
	v_cndmask_b32_e64 v4, v10, v8, s5
	v_cndmask_b32_e64 v5, v5, v12, s3
	v_cndmask_b32_e32 v1, v1, v12, vcc_lo
	v_cndmask_b32_e64 v6, v6, v16, s3
	v_cmp_lt_u32_e32 vcc_lo, 31, v0
	v_cmp_lt_u32_e64 s3, 7, v73
	v_cndmask_b32_e64 v9, v9, v12, s6
	v_cndmask_b32_e64 v7, v7, v12, s4
	;; [unrolled: 1-line block ×4, first 2 shown]
	s_or_b32 s3, vcc_lo, s3
	v_perm_b32 v4, v2, v1, 0x5040100
	v_perm_b32 v1, v6, v5, 0x5040100
	v_perm_b32 v3, v3, v7, 0x5040100
	v_perm_b32 v2, v8, v9, 0x5040100
	s_or_b32 s2, s2, s3
	s_delay_alu instid0(SALU_CYCLE_1)
	s_xor_b32 s2, s2, -1
	ds_store_b128 v81, v[1:4]
	s_waitcnt lgkmcnt(0)
	s_barrier
	buffer_gl0_inv
	s_and_saveexec_b32 s3, s2
	s_cbranch_execz .LBB886_2
; %bb.14:
	s_load_b64 s[0:1], s[0:1], 0x68
	v_lshlrev_b32_e32 v1, 10, v0
	v_and_b32_e32 v0, 1, v0
	v_lshlrev_b32_e32 v2, 6, v75
	s_lshl_b32 s4, s36, 6
	s_delay_alu instid0(VALU_DEP_3) | instskip(NEXT) | instid1(VALU_DEP_3)
	v_and_b32_e32 v1, 0x3800, v1
	v_lshlrev_b32_e32 v0, 4, v0
	s_mul_i32 s2, s4, s34
	s_delay_alu instid0(SALU_CYCLE_1) | instskip(NEXT) | instid1(VALU_DEP_1)
	s_mul_i32 s2, s2, s37
	v_or3_b32 v0, v1, v2, v0
	s_ashr_i32 s3, s2, 31
	s_delay_alu instid0(SALU_CYCLE_1)
	s_lshl_b64 s[2:3], s[2:3], 1
	ds_load_b128 v[0:3], v0
	s_waitcnt lgkmcnt(0)
	s_add_u32 s5, s0, s2
	s_addc_u32 s3, s1, s3
	s_lshl_b32 s0, s14, 6
	s_mul_i32 s2, s4, s15
	s_ashr_i32 s1, s0, 31
	s_delay_alu instid0(SALU_CYCLE_1) | instskip(NEXT) | instid1(SALU_CYCLE_1)
	s_lshl_b64 s[0:1], s[0:1], 1
	s_add_u32 s4, s5, s0
	s_addc_u32 s5, s3, s1
	s_ashr_i32 s3, s2, 31
	s_delay_alu instid0(SALU_CYCLE_1) | instskip(NEXT) | instid1(SALU_CYCLE_1)
	s_lshl_b64 s[0:1], s[2:3], 1
	s_add_u32 s0, s4, s0
	s_addc_u32 s1, s5, s1
	global_store_b128 v74, v[0:3], s[0:1]
	s_nop 0
	s_sendmsg sendmsg(MSG_DEALLOC_VGPRS)
	s_endpgm
	.section	.rodata,"a",@progbits
	.p2align	6, 0x0
	.amdhsa_kernel _Z39paged_attention_ll4mi_QKV_mfma16_kernelIDF16_hLN4vllm18Fp8KVCacheDataTypeE1EhLi32ELi64ELi256ELb0ELi1EL8MFMAType1EEvPKT_PKT0_S8_ifPKiSA_SA_iPKfiiiPfSD_PS3_PT2_iSC_SC_
		.amdhsa_group_segment_fixed_size 17472
		.amdhsa_private_segment_fixed_size 0
		.amdhsa_kernarg_size 400
		.amdhsa_user_sgpr_count 13
		.amdhsa_user_sgpr_dispatch_ptr 0
		.amdhsa_user_sgpr_queue_ptr 0
		.amdhsa_user_sgpr_kernarg_segment_ptr 1
		.amdhsa_user_sgpr_dispatch_id 0
		.amdhsa_user_sgpr_private_segment_size 0
		.amdhsa_wavefront_size32 1
		.amdhsa_uses_dynamic_stack 0
		.amdhsa_enable_private_segment 0
		.amdhsa_system_sgpr_workgroup_id_x 1
		.amdhsa_system_sgpr_workgroup_id_y 1
		.amdhsa_system_sgpr_workgroup_id_z 1
		.amdhsa_system_sgpr_workgroup_info 0
		.amdhsa_system_vgpr_workitem_id 0
		.amdhsa_next_free_vgpr 144
		.amdhsa_next_free_sgpr 50
		.amdhsa_reserve_vcc 1
		.amdhsa_float_round_mode_32 0
		.amdhsa_float_round_mode_16_64 0
		.amdhsa_float_denorm_mode_32 3
		.amdhsa_float_denorm_mode_16_64 3
		.amdhsa_dx10_clamp 1
		.amdhsa_ieee_mode 1
		.amdhsa_fp16_overflow 0
		.amdhsa_workgroup_processor_mode 1
		.amdhsa_memory_ordered 1
		.amdhsa_forward_progress 0
		.amdhsa_shared_vgpr_count 0
		.amdhsa_exception_fp_ieee_invalid_op 0
		.amdhsa_exception_fp_denorm_src 0
		.amdhsa_exception_fp_ieee_div_zero 0
		.amdhsa_exception_fp_ieee_overflow 0
		.amdhsa_exception_fp_ieee_underflow 0
		.amdhsa_exception_fp_ieee_inexact 0
		.amdhsa_exception_int_div_zero 0
	.end_amdhsa_kernel
	.section	.text._Z39paged_attention_ll4mi_QKV_mfma16_kernelIDF16_hLN4vllm18Fp8KVCacheDataTypeE1EhLi32ELi64ELi256ELb0ELi1EL8MFMAType1EEvPKT_PKT0_S8_ifPKiSA_SA_iPKfiiiPfSD_PS3_PT2_iSC_SC_,"axG",@progbits,_Z39paged_attention_ll4mi_QKV_mfma16_kernelIDF16_hLN4vllm18Fp8KVCacheDataTypeE1EhLi32ELi64ELi256ELb0ELi1EL8MFMAType1EEvPKT_PKT0_S8_ifPKiSA_SA_iPKfiiiPfSD_PS3_PT2_iSC_SC_,comdat
.Lfunc_end886:
	.size	_Z39paged_attention_ll4mi_QKV_mfma16_kernelIDF16_hLN4vllm18Fp8KVCacheDataTypeE1EhLi32ELi64ELi256ELb0ELi1EL8MFMAType1EEvPKT_PKT0_S8_ifPKiSA_SA_iPKfiiiPfSD_PS3_PT2_iSC_SC_, .Lfunc_end886-_Z39paged_attention_ll4mi_QKV_mfma16_kernelIDF16_hLN4vllm18Fp8KVCacheDataTypeE1EhLi32ELi64ELi256ELb0ELi1EL8MFMAType1EEvPKT_PKT0_S8_ifPKiSA_SA_iPKfiiiPfSD_PS3_PT2_iSC_SC_
                                        ; -- End function
	.section	.AMDGPU.csdata,"",@progbits
; Kernel info:
; codeLenInByte = 6224
; NumSgprs: 52
; NumVgprs: 144
; ScratchSize: 0
; MemoryBound: 1
; FloatMode: 240
; IeeeMode: 1
; LDSByteSize: 17472 bytes/workgroup (compile time only)
; SGPRBlocks: 6
; VGPRBlocks: 17
; NumSGPRsForWavesPerEU: 52
; NumVGPRsForWavesPerEU: 144
; Occupancy: 10
; WaveLimiterHint : 1
; COMPUTE_PGM_RSRC2:SCRATCH_EN: 0
; COMPUTE_PGM_RSRC2:USER_SGPR: 13
; COMPUTE_PGM_RSRC2:TRAP_HANDLER: 0
; COMPUTE_PGM_RSRC2:TGID_X_EN: 1
; COMPUTE_PGM_RSRC2:TGID_Y_EN: 1
; COMPUTE_PGM_RSRC2:TGID_Z_EN: 1
; COMPUTE_PGM_RSRC2:TIDIG_COMP_CNT: 0
	.section	.text._Z39paged_attention_ll4mi_QKV_mfma16_kernelIDF16_hLN4vllm18Fp8KVCacheDataTypeE1EhLi32ELi64ELi256ELb0ELi2EL8MFMAType1EEvPKT_PKT0_S8_ifPKiSA_SA_iPKfiiiPfSD_PS3_PT2_iSC_SC_,"axG",@progbits,_Z39paged_attention_ll4mi_QKV_mfma16_kernelIDF16_hLN4vllm18Fp8KVCacheDataTypeE1EhLi32ELi64ELi256ELb0ELi2EL8MFMAType1EEvPKT_PKT0_S8_ifPKiSA_SA_iPKfiiiPfSD_PS3_PT2_iSC_SC_,comdat
	.protected	_Z39paged_attention_ll4mi_QKV_mfma16_kernelIDF16_hLN4vllm18Fp8KVCacheDataTypeE1EhLi32ELi64ELi256ELb0ELi2EL8MFMAType1EEvPKT_PKT0_S8_ifPKiSA_SA_iPKfiiiPfSD_PS3_PT2_iSC_SC_ ; -- Begin function _Z39paged_attention_ll4mi_QKV_mfma16_kernelIDF16_hLN4vllm18Fp8KVCacheDataTypeE1EhLi32ELi64ELi256ELb0ELi2EL8MFMAType1EEvPKT_PKT0_S8_ifPKiSA_SA_iPKfiiiPfSD_PS3_PT2_iSC_SC_
	.globl	_Z39paged_attention_ll4mi_QKV_mfma16_kernelIDF16_hLN4vllm18Fp8KVCacheDataTypeE1EhLi32ELi64ELi256ELb0ELi2EL8MFMAType1EEvPKT_PKT0_S8_ifPKiSA_SA_iPKfiiiPfSD_PS3_PT2_iSC_SC_
	.p2align	8
	.type	_Z39paged_attention_ll4mi_QKV_mfma16_kernelIDF16_hLN4vllm18Fp8KVCacheDataTypeE1EhLi32ELi64ELi256ELb0ELi2EL8MFMAType1EEvPKT_PKT0_S8_ifPKiSA_SA_iPKfiiiPfSD_PS3_PT2_iSC_SC_,@function
_Z39paged_attention_ll4mi_QKV_mfma16_kernelIDF16_hLN4vllm18Fp8KVCacheDataTypeE1EhLi32ELi64ELi256ELb0ELi2EL8MFMAType1EEvPKT_PKT0_S8_ifPKiSA_SA_iPKfiiiPfSD_PS3_PT2_iSC_SC_: ; @_Z39paged_attention_ll4mi_QKV_mfma16_kernelIDF16_hLN4vllm18Fp8KVCacheDataTypeE1EhLi32ELi64ELi256ELb0ELi2EL8MFMAType1EEvPKT_PKT0_S8_ifPKiSA_SA_iPKfiiiPfSD_PS3_PT2_iSC_SC_
; %bb.0:
	s_load_b64 s[2:3], s[0:1], 0x30
	s_mov_b32 s30, s13
	s_waitcnt lgkmcnt(0)
	s_cmp_lg_u64 s[2:3], 0
	s_cselect_b32 s6, -1, 0
	s_ashr_i32 s31, s13, 31
	s_cmp_eq_u64 s[2:3], 0
	s_cbranch_scc1 .LBB887_3
; %bb.1:
	s_lshl_b64 s[4:5], s[30:31], 2
	s_delay_alu instid0(SALU_CYCLE_1) | instskip(SKIP_4) | instid1(SALU_CYCLE_1)
	s_add_u32 s4, s2, s4
	s_addc_u32 s5, s3, s5
	s_load_b64 s[4:5], s[4:5], 0x0
	s_waitcnt lgkmcnt(0)
	s_sub_i32 s4, s5, s4
	s_cmp_eq_u32 s4, 1
	s_cselect_b32 s4, -1, 0
	s_delay_alu instid0(SALU_CYCLE_1)
	s_and_not1_b32 vcc_lo, exec_lo, s4
	s_cbranch_vccz .LBB887_4
.LBB887_2:
	s_endpgm
.LBB887_3:
.LBB887_4:
	s_load_b64 s[8:9], s[0:1], 0x28
	s_lshl_b64 s[4:5], s[30:31], 2
	s_waitcnt lgkmcnt(0)
	s_add_u32 s8, s8, s4
	s_addc_u32 s9, s9, s5
	s_lshl_b32 s16, s14, 8
	s_load_b32 s17, s[8:9], 0x0
	s_waitcnt lgkmcnt(0)
	s_cmp_ge_i32 s16, s17
	s_cbranch_scc1 .LBB887_2
; %bb.5:
	s_clause 0x1
	s_load_b128 s[8:11], s[0:1], 0x8
	s_load_b64 s[12:13], s[0:1], 0x20
	s_and_not1_b32 vcc_lo, exec_lo, s6
	s_cbranch_vccnz .LBB887_7
; %bb.6:
	s_add_u32 s2, s2, s4
	s_addc_u32 s3, s3, s5
	s_load_b32 s3, s[2:3], 0x0
	s_branch .LBB887_8
.LBB887_7:
	s_mov_b32 s3, s30
.LBB887_8:
	s_load_b128 s[4:7], s[0:1], 0x48
	v_and_b32_e32 v70, 15, v0
	v_bfe_u32 v69, v0, 4, 1
	s_lshl_b32 s33, s15, 1
	v_cmp_gt_u32_e32 vcc_lo, 32, v0
	v_and_b32_e32 v71, 31, v0
	v_lshlrev_b32_e32 v1, 3, v70
	v_cmp_gt_u32_e64 s2, 8, v70
	v_and_b32_e32 v68, 1, v0
	v_or_b32_e32 v67, s33, v69
	v_lshlrev_b32_e32 v66, 6, v69
	v_lshlrev_b32_e32 v65, 1, v1
	s_and_b32 s31, vcc_lo, s2
	s_delay_alu instid0(SALU_CYCLE_1)
	s_and_saveexec_b32 s2, s31
	s_cbranch_execz .LBB887_10
; %bb.9:
	s_load_b64 s[18:19], s[0:1], 0x0
	v_lshlrev_b32_e32 v1, 6, v67
	s_waitcnt lgkmcnt(0)
	s_mul_hi_i32 s21, s3, s4
	s_mul_i32 s20, s3, s4
	v_lshlrev_b32_e32 v5, 10, v70
	s_lshl_b64 s[20:21], s[20:21], 1
	v_ashrrev_i32_e32 v2, 31, v1
	v_lshlrev_b32_e32 v6, 10, v68
	s_delay_alu instid0(VALU_DEP_3) | instskip(NEXT) | instid1(VALU_DEP_3)
	v_and_b32_e32 v5, 0x3800, v5
	v_lshlrev_b64 v[1:2], 1, v[1:2]
	s_delay_alu instid0(VALU_DEP_2) | instskip(SKIP_2) | instid1(VALU_DEP_2)
	v_or3_b32 v5, v5, v6, v66
	s_add_u32 s3, s18, s20
	s_addc_u32 s4, s19, s21
	v_add_co_u32 v1, vcc_lo, s3, v1
	s_delay_alu instid0(VALU_DEP_3) | instskip(NEXT) | instid1(VALU_DEP_2)
	v_add_co_ci_u32_e32 v2, vcc_lo, s4, v2, vcc_lo
	v_add_co_u32 v1, vcc_lo, v1, v65
	s_delay_alu instid0(VALU_DEP_2)
	v_add_co_ci_u32_e32 v2, vcc_lo, 0, v2, vcc_lo
	global_load_b128 v[1:4], v[1:2], off
	s_waitcnt vmcnt(0)
	ds_store_b128 v5, v[1:4]
.LBB887_10:
	s_or_b32 exec_lo, exec_lo, s2
	v_and_b32_e32 v1, 0xef, v0
	s_add_i32 s2, s17, 31
	s_waitcnt lgkmcnt(0)
	s_clause 0x1
	s_load_b32 s3, s[0:1], 0x38
	s_load_b32 s34, s[0:1], 0x98
	s_ashr_i32 s4, s2, 31
	v_add_nc_u32_e32 v1, s16, v1
	s_lshr_b32 s4, s4, 27
	s_load_b32 s18, s[0:1], 0x1c
	s_add_i32 s2, s2, s4
	s_waitcnt lgkmcnt(0)
	v_ashrrev_i32_e32 v2, 31, v1
	v_or_b32_e32 v3, 16, v1
	s_ashr_i32 s2, s2, 5
	v_cmp_gt_i32_e32 vcc_lo, s17, v1
	s_add_i32 s2, s2, -1
	v_lshrrev_b32_e32 v2, 27, v2
	s_barrier
	buffer_gl0_inv
	s_mul_i32 s15, s15, s6
	v_lshrrev_b32_e32 v72, 5, v0
	v_add_nc_u32_e32 v4, v1, v2
	v_mbcnt_lo_u32_b32 v129, -1, 0
	s_mul_i32 s20, s30, s3
	v_and_b32_e32 v105, 0xe0, v0
	s_ashr_i32 s21, s20, 31
	v_ashrrev_i32_e32 v4, 5, v4
	v_add_nc_u32_e32 v2, v3, v2
	s_lshl_b64 s[20:21], s[20:21], 2
	v_xor_b32_e32 v130, 16, v129
	s_add_u32 s19, s12, s20
	v_cndmask_b32_e32 v1, s2, v4, vcc_lo
	v_ashrrev_i32_e32 v2, 5, v2
	v_cmp_gt_i32_e32 vcc_lo, s17, v3
	s_addc_u32 s12, s13, s21
	s_ashr_i32 s13, s15, 31
	s_add_u32 s20, s8, s15
	s_addc_u32 s21, s9, s13
	v_cndmask_b32_e32 v3, s2, v2, vcc_lo
	v_ashrrev_i32_e32 v2, 31, v1
	s_lshl_b32 s6, s14, 3
	v_add_nc_u32_e32 v121, s16, v105
	s_ashr_i32 s7, s6, 31
	v_ashrrev_i32_e32 v4, 31, v3
	v_lshlrev_b64 v[1:2], 2, v[1:2]
	s_lshl_b64 s[6:7], s[6:7], 2
	v_or_b32_e32 v137, v121, v69
	s_add_u32 s6, s19, s6
	v_lshlrev_b64 v[3:4], 2, v[3:4]
	s_addc_u32 s7, s12, s7
	v_add_co_u32 v1, vcc_lo, s19, v1
	v_add_co_ci_u32_e32 v2, vcc_lo, s12, v2, vcc_lo
	s_delay_alu instid0(VALU_DEP_3) | instskip(NEXT) | instid1(VALU_DEP_4)
	v_add_co_u32 v3, vcc_lo, s19, v3
	v_add_co_ci_u32_e32 v4, vcc_lo, s12, v4, vcc_lo
	s_clause 0x1
	global_load_b32 v5, v[1:2], off
	global_load_b32 v6, v[3:4], off
	s_or_b32 s3, s16, 32
	v_or_b32_e32 v139, 2, v137
	s_ashr_i32 s4, s3, 5
	s_cmp_lt_i32 s3, s17
	v_or_b32_e32 v140, 4, v137
	s_cselect_b32 s8, s4, s2
	v_or_b32_e32 v141, 6, v137
	s_ashr_i32 s9, s8, 31
	v_or_b32_e32 v142, 8, v137
	s_lshl_b64 s[8:9], s[8:9], 2
	v_or_b32_e32 v143, 10, v137
	s_add_u32 s22, s19, s8
	s_addc_u32 s23, s12, s9
	s_or_b32 s3, s16, 64
	v_or_b32_e32 v144, 12, v137
	s_ashr_i32 s4, s3, 5
	s_cmp_lt_i32 s3, s17
	v_or_b32_e32 v145, 14, v137
	s_cselect_b32 s8, s4, s2
	v_or_b32_e32 v146, 16, v137
	s_ashr_i32 s9, s8, 31
	v_or_b32_e32 v147, 18, v137
	s_lshl_b64 s[8:9], s[8:9], 2
	s_delay_alu instid0(SALU_CYCLE_1) | instskip(SKIP_2) | instid1(SALU_CYCLE_1)
	s_add_u32 s24, s19, s8
	s_addc_u32 s25, s12, s9
	s_or_b32 s3, s16, 0x60
	s_ashr_i32 s4, s3, 5
	s_cmp_lt_i32 s3, s17
	s_cselect_b32 s8, s4, s2
	s_delay_alu instid0(SALU_CYCLE_1) | instskip(NEXT) | instid1(SALU_CYCLE_1)
	s_ashr_i32 s9, s8, 31
	s_lshl_b64 s[8:9], s[8:9], 2
	s_delay_alu instid0(SALU_CYCLE_1) | instskip(SKIP_2) | instid1(SALU_CYCLE_1)
	s_add_u32 s26, s19, s8
	s_addc_u32 s27, s12, s9
	s_or_b32 s3, s16, 0x80
	s_ashr_i32 s4, s3, 5
	s_cmp_lt_i32 s3, s17
	s_cselect_b32 s8, s4, s2
	s_delay_alu instid0(SALU_CYCLE_1) | instskip(NEXT) | instid1(SALU_CYCLE_1)
	s_ashr_i32 s9, s8, 31
	;; [unrolled: 10-line block ×3, first 2 shown]
	s_lshl_b64 s[8:9], s[8:9], 2
	s_delay_alu instid0(SALU_CYCLE_1)
	s_add_u32 s36, s19, s8
	s_addc_u32 s37, s12, s9
	s_clause 0x5
	s_load_b32 s9, s[6:7], 0x0
	s_load_b32 s3, s[22:23], 0x0
	;; [unrolled: 1-line block ×6, first 2 shown]
	s_waitcnt vmcnt(1)
	v_mad_i64_i32 v[1:2], null, v5, s5, s[20:21]
	v_lshlrev_b32_e32 v5, 4, v70
	s_waitcnt vmcnt(0)
	v_mad_i64_i32 v[3:4], null, v6, s5, s[20:21]
	s_or_b32 s20, s16, 0xc0
	s_delay_alu instid0(SALU_CYCLE_1) | instskip(NEXT) | instid1(VALU_DEP_3)
	s_ashr_i32 s21, s20, 5
	v_add_co_u32 v1, vcc_lo, v1, v5
	s_delay_alu instid0(VALU_DEP_4) | instskip(NEXT) | instid1(VALU_DEP_3)
	v_add_co_ci_u32_e32 v2, vcc_lo, 0, v2, vcc_lo
	v_add_co_u32 v3, vcc_lo, v3, v5
	s_delay_alu instid0(VALU_DEP_4)
	v_add_co_ci_u32_e32 v4, vcc_lo, 0, v4, vcc_lo
	s_clause 0x7
	global_load_b128 v[73:76], v[1:2], off
	global_load_b128 v[77:80], v[1:2], off offset:512
	global_load_b128 v[81:84], v[3:4], off offset:256
	;; [unrolled: 1-line block ×7, first 2 shown]
	s_cmp_lt_i32 s20, s17
	v_lshlrev_b32_e32 v1, 5, v70
	s_cselect_b32 s20, s21, s2
	v_cmp_gt_i32_e32 vcc_lo, 32, v130
	s_ashr_i32 s21, s20, 31
	v_lshlrev_b32_e32 v117, 6, v68
	s_lshl_b64 s[20:21], s[20:21], 2
	v_lshl_or_b32 v1, v72, 9, v1
	v_cndmask_b32_e32 v138, v129, v130, vcc_lo
	s_add_u32 s20, s19, s20
	s_addc_u32 s21, s12, s21
	s_or_b32 s22, s16, 0xe0
	v_cmp_gt_i32_e32 vcc_lo, s17, v137
	s_ashr_i32 s23, s22, 5
	s_cmp_lt_i32 s22, s17
	s_cselect_b32 s22, s23, s2
	s_load_b32 s2, s[20:21], 0x0
	s_ashr_i32 s23, s22, 31
	s_delay_alu instid0(SALU_CYCLE_1) | instskip(NEXT) | instid1(SALU_CYCLE_1)
	s_lshl_b64 s[22:23], s[22:23], 2
	s_add_u32 s20, s19, s22
	s_addc_u32 s21, s12, s23
	s_add_u32 s10, s10, s15
	s_addc_u32 s11, s11, s13
	v_add_co_u32 v1, s10, s10, v1
	s_delay_alu instid0(VALU_DEP_1) | instskip(SKIP_2) | instid1(VALU_DEP_1)
	v_add_co_ci_u32_e64 v2, null, s11, 0, s10
	s_load_b32 s10, s[20:21], 0x0
	s_waitcnt lgkmcnt(0)
	v_mad_i64_i32 v[3:4], null, s9, s5, v[1:2]
	v_mad_i64_i32 v[9:10], null, s6, s5, v[1:2]
	;; [unrolled: 1-line block ×7, first 2 shown]
	s_clause 0x5
	global_load_b128 v[49:52], v[3:4], off
	global_load_b128 v[53:56], v[3:4], off offset:16
	global_load_b128 v[41:44], v[5:6], off
	global_load_b128 v[45:48], v[5:6], off offset:16
	;; [unrolled: 2-line block ×3, first 2 shown]
	s_mov_b32 s4, 0
	v_cmp_gt_i32_e64 s2, s17, v139
	v_mad_i64_i32 v[61:62], null, s10, s5, v[1:2]
	s_clause 0x9
	global_load_b128 v[1:4], v[9:10], off
	global_load_b128 v[5:8], v[9:10], off offset:16
	global_load_b128 v[9:12], v[13:14], off
	global_load_b128 v[13:16], v[13:14], off offset:16
	;; [unrolled: 2-line block ×5, first 2 shown]
	ds_load_b128 v[105:108], v117
	ds_load_b128 v[109:112], v117 offset:1024
	ds_load_b128 v[113:116], v117 offset:2048
	;; [unrolled: 1-line block ×3, first 2 shown]
	s_mov_b32 s11, s4
	s_mov_b32 s5, s4
	s_mov_b32 s6, s4
	s_mov_b32 s7, s4
	s_mov_b32 s8, s4
	s_mov_b32 s9, s4
	s_mov_b32 s10, s4
	s_delay_alu instid0(SALU_CYCLE_1)
	v_dual_mov_b32 v128, s11 :: v_dual_mov_b32 v127, s10
	v_dual_mov_b32 v126, s9 :: v_dual_mov_b32 v125, s8
	;; [unrolled: 1-line block ×4, first 2 shown]
	v_cmp_gt_i32_e64 s3, s17, v140
	v_cmp_gt_i32_e64 s4, s17, v141
	;; [unrolled: 1-line block ×8, first 2 shown]
	s_waitcnt vmcnt(0) lgkmcnt(0)
	s_barrier
	buffer_gl0_inv
	v_wmma_f32_16x16x16_f16 v[129:136], v[73:80], v[105:112], v[121:128]
	v_wmma_f32_16x16x16_f16 v[121:128], v[81:88], v[105:112], v[121:128]
	v_or_b32_e32 v73, 20, v137
	v_or_b32_e32 v74, 22, v137
	s_delay_alu instid0(VALU_DEP_4)
	v_wmma_f32_16x16x16_f16 v[129:136], v[89:96], v[113:120], v[129:136]
	v_or_b32_e32 v75, 24, v137
	v_wmma_f32_16x16x16_f16 v[121:128], v[97:104], v[113:120], v[121:128]
	v_or_b32_e32 v76, 26, v137
	v_cmp_gt_i32_e64 s11, s17, v73
	v_dual_mul_f32 v85, s18, v130 :: v_dual_mul_f32 v86, s18, v129
	s_delay_alu instid0(VALU_DEP_4) | instskip(SKIP_1) | instid1(VALU_DEP_3)
	v_dual_mul_f32 v83, s18, v132 :: v_dual_mul_f32 v94, s18, v121
	v_mul_f32_e32 v84, s18, v131
	v_cndmask_b32_e64 v85, 0xff7fffff, v85, s2
	s_delay_alu instid0(VALU_DEP_4)
	v_cndmask_b32_e32 v86, 0xff7fffff, v86, vcc_lo
	v_dual_mul_f32 v81, s18, v134 :: v_dual_mul_f32 v92, s18, v123
	v_mul_f32_e32 v82, s18, v133
	v_cndmask_b32_e64 v84, 0xff7fffff, v84, s3
	v_cndmask_b32_e64 v83, 0xff7fffff, v83, s4
	v_max3_f32 v85, v86, 0xff7fffff, v85
	v_dual_mul_f32 v79, s18, v136 :: v_dual_mul_f32 v90, s18, v125
	v_mul_f32_e32 v80, s18, v135
	v_cndmask_b32_e64 v82, 0xff7fffff, v82, s5
	v_cndmask_b32_e64 v81, 0xff7fffff, v81, s6
	v_max3_f32 v83, v85, v84, v83
	v_mul_f32_e32 v93, s18, v122
	v_cndmask_b32_e64 v80, 0xff7fffff, v80, s7
	v_cndmask_b32_e64 v79, 0xff7fffff, v79, s8
	v_mul_f32_e32 v91, s18, v124
	v_max3_f32 v81, v83, v82, v81
	v_cndmask_b32_e64 v82, 0xff7fffff, v94, s9
	v_cndmask_b32_e64 v83, 0xff7fffff, v93, s10
	v_cmp_gt_i32_e64 s12, s17, v74
	v_or_b32_e32 v77, 28, v137
	v_max3_f32 v79, v81, v80, v79
	v_or_b32_e32 v78, 30, v137
	v_mul_f32_e32 v89, s18, v126
	v_cndmask_b32_e64 v73, 0xff7fffff, v92, s11
	v_cndmask_b32_e64 v74, 0xff7fffff, v91, s12
	v_max3_f32 v79, v79, v82, v83
	v_cmp_gt_i32_e64 s13, s17, v75
	v_cmp_gt_i32_e64 s15, s17, v76
	v_dual_mul_f32 v87, s18, v128 :: v_dual_mul_f32 v88, s18, v127
	s_delay_alu instid0(VALU_DEP_4) | instskip(NEXT) | instid1(VALU_DEP_4)
	v_max3_f32 v73, v79, v73, v74
	v_cndmask_b32_e64 v75, 0xff7fffff, v90, s13
	s_delay_alu instid0(VALU_DEP_4) | instskip(SKIP_2) | instid1(VALU_DEP_3)
	v_cndmask_b32_e64 v76, 0xff7fffff, v89, s15
	v_cmp_gt_i32_e64 s16, s17, v77
	v_cmp_gt_i32_e64 s17, s17, v78
	v_max3_f32 v73, v73, v75, v76
	s_delay_alu instid0(VALU_DEP_3) | instskip(NEXT) | instid1(VALU_DEP_3)
	v_cndmask_b32_e64 v74, 0xff7fffff, v88, s16
	v_cndmask_b32_e64 v77, 0xff7fffff, v87, s17
	v_lshlrev_b32_e32 v75, 2, v138
	s_delay_alu instid0(VALU_DEP_2) | instskip(SKIP_3) | instid1(VALU_DEP_1)
	v_max3_f32 v73, v73, v74, v77
	ds_bpermute_b32 v74, v75, v73
	s_waitcnt lgkmcnt(0)
	v_max_f32_e32 v74, v74, v74
	v_max_f32_e32 v73, v73, v74
	s_delay_alu instid0(VALU_DEP_1)
	v_fma_f32 v74, s18, v129, -v73
	v_fma_f32 v76, s18, v130, -v73
	;; [unrolled: 1-line block ×5, first 2 shown]
	v_mul_f32_e32 v74, 0x3fb8aa3b, v74
	s_delay_alu instid0(VALU_DEP_4) | instskip(NEXT) | instid1(VALU_DEP_4)
	v_dual_mul_f32 v76, 0x3fb8aa3b, v76 :: v_dual_mul_f32 v77, 0x3fb8aa3b, v77
	v_mul_f32_e32 v78, 0x3fb8aa3b, v78
	s_delay_alu instid0(VALU_DEP_4) | instskip(NEXT) | instid1(VALU_DEP_4)
	v_mul_f32_e32 v80, 0x3fb8aa3b, v80
	v_exp_f32_e32 v74, v74
	s_delay_alu instid0(VALU_DEP_3) | instskip(SKIP_4) | instid1(VALU_DEP_1)
	v_exp_f32_e32 v76, v76
	v_exp_f32_e32 v77, v77
	;; [unrolled: 1-line block ×3, first 2 shown]
	v_fma_f32 v83, s18, v135, -v73
	v_exp_f32_e32 v84, v80
	v_mul_f32_e32 v83, 0x3fb8aa3b, v83
	v_cndmask_b32_e32 v79, 0, v74, vcc_lo
	v_fma_f32 v74, s18, v134, -v73
	v_cndmask_b32_e64 v78, 0, v76, s2
	s_delay_alu instid0(TRANS32_DEP_3) | instskip(NEXT) | instid1(TRANS32_DEP_2)
	v_cndmask_b32_e64 v81, 0, v77, s3
	v_cndmask_b32_e64 v80, 0, v82, s4
	v_add_f32_e32 v76, 0, v79
	v_mul_f32_e32 v74, 0x3fb8aa3b, v74
	v_fma_f32 v82, s18, v121, -v73
	v_exp_f32_e32 v85, v83
	v_cndmask_b32_e64 v83, 0, v84, s5
	v_add_f32_e32 v76, v76, v78
	v_exp_f32_e32 v74, v74
	v_mul_f32_e32 v86, 0x3fb8aa3b, v82
	s_mov_b32 s2, exec_lo
	s_delay_alu instid0(VALU_DEP_2) | instskip(SKIP_4) | instid1(VALU_DEP_2)
	v_add_f32_e32 v76, v76, v81
	s_waitcnt_depctr 0xfff
	v_cndmask_b32_e64 v85, 0, v85, s7
	v_add_f32_e32 v76, v76, v80
	v_cndmask_b32_e64 v82, 0, v74, s6
	v_add_f32_e32 v74, v76, v83
	v_fma_f32 v77, s18, v136, -v73
	v_fma_f32 v84, s18, v122, -v73
	;; [unrolled: 1-line block ×5, first 2 shown]
	s_delay_alu instid0(VALU_DEP_4) | instskip(NEXT) | instid1(VALU_DEP_3)
	v_dual_mul_f32 v77, 0x3fb8aa3b, v77 :: v_dual_mul_f32 v84, 0x3fb8aa3b, v84
	v_dual_mul_f32 v76, 0x3fb8aa3b, v76 :: v_dual_mul_f32 v89, 0x3fb8aa3b, v87
	v_exp_f32_e32 v86, v86
	s_delay_alu instid0(VALU_DEP_2) | instskip(NEXT) | instid1(VALU_DEP_2)
	v_exp_f32_e32 v77, v77
	v_exp_f32_e32 v88, v84
	s_delay_alu instid0(VALU_DEP_1)
	v_exp_f32_e32 v76, v76
	v_exp_f32_e32 v91, v89
	v_fma_f32 v90, s18, v126, -v73
	v_cndmask_b32_e64 v87, 0, v86, s9
	v_cndmask_b32_e64 v84, 0, v77, s8
	v_fma_f32 v77, s18, v125, -v73
	v_add_f32_e32 v74, v74, v82
	s_delay_alu instid0(TRANS32_DEP_3) | instskip(SKIP_1) | instid1(TRANS32_DEP_2)
	v_cndmask_b32_e64 v86, 0, v88, s10
	v_fma_f32 v88, s18, v127, -v73
	v_cndmask_b32_e64 v89, 0, v76, s11
	v_mul_f32_e32 v77, 0x3fb8aa3b, v77
	v_add_f32_e32 v74, v74, v85
	v_mul_f32_e32 v90, 0x3fb8aa3b, v90
	v_mul_f32_e32 v76, 0x3fb8aa3b, v88
	v_cndmask_b32_e64 v88, 0, v91, s12
	v_exp_f32_e32 v77, v77
	s_delay_alu instid0(VALU_DEP_3) | instskip(NEXT) | instid1(VALU_DEP_2)
	v_exp_f32_e32 v90, v90
	v_exp_f32_e32 v76, v76
	s_delay_alu instid0(TRANS32_DEP_3)
	v_cndmask_b32_e64 v91, 0, v77, s13
	v_mul_f32_e32 v77, 0x3fb8aa3b, v92
	v_add_f32_e32 v74, v74, v84
	s_waitcnt_depctr 0xfff
	v_cndmask_b32_e64 v90, 0, v90, s15
	v_cndmask_b32_e64 v93, 0, v76, s16
	v_exp_f32_e32 v77, v77
	v_add_f32_e32 v74, v74, v87
	s_delay_alu instid0(VALU_DEP_1) | instskip(SKIP_3) | instid1(VALU_DEP_1)
	v_add_f32_e32 v74, v74, v86
	s_waitcnt_depctr 0xfff
	v_cndmask_b32_e64 v92, 0, v77, s17
	v_add_f32_e32 v74, v74, v89
	v_add_f32_e32 v74, v74, v88
	s_delay_alu instid0(VALU_DEP_1) | instskip(NEXT) | instid1(VALU_DEP_1)
	v_add_f32_e32 v74, v74, v91
	v_add_f32_e32 v74, v74, v90
	s_delay_alu instid0(VALU_DEP_1) | instskip(NEXT) | instid1(VALU_DEP_1)
	v_add_f32_e32 v74, v74, v93
	v_add_f32_e32 v74, v74, v92
	ds_bpermute_b32 v75, v75, v74
	v_cmpx_gt_u32_e32 16, v71
	s_cbranch_execz .LBB887_12
; %bb.11:
	v_mul_u32_u24_e32 v71, 0x44, v72
	s_waitcnt lgkmcnt(0)
	v_add_f32_e32 v74, v74, v75
	s_delay_alu instid0(VALU_DEP_2) | instskip(NEXT) | instid1(VALU_DEP_1)
	v_lshl_add_u32 v71, v70, 2, v71
	v_add_nc_u32_e32 v71, 0x4000, v71
	ds_store_2addr_b32 v71, v73, v74 offset1:136
.LBB887_12:
	s_or_b32 exec_lo, exec_lo, s2
	v_lshlrev_b32_e32 v71, 2, v70
	s_load_b32 s35, s[0:1], 0x94
	s_waitcnt lgkmcnt(0)
	s_barrier
	buffer_gl0_inv
	v_add_nc_u32_e32 v71, 0x4000, v71
	v_cmp_eq_u32_e32 vcc_lo, 1, v72
	v_cmp_eq_u32_e64 s2, 2, v72
	v_cmp_eq_u32_e64 s3, 3, v72
	;; [unrolled: 1-line block ×3, first 2 shown]
	ds_load_2addr_b32 v[73:74], v71 offset1:17
	ds_load_2addr_b32 v[94:95], v71 offset0:34 offset1:51
	ds_load_2addr_b32 v[96:97], v71 offset0:68 offset1:85
	;; [unrolled: 1-line block ×3, first 2 shown]
	v_cmp_eq_u32_e64 s5, 5, v72
	v_cmp_eq_u32_e64 s6, 7, v72
	s_waitcnt lgkmcnt(3)
	v_max3_f32 v75, v73, 0xff7fffff, v74
	s_waitcnt lgkmcnt(2)
	s_delay_alu instid0(VALU_DEP_1) | instskip(SKIP_1) | instid1(VALU_DEP_1)
	v_max3_f32 v75, v75, v94, v95
	s_waitcnt lgkmcnt(1)
	v_max3_f32 v75, v75, v96, v97
	s_waitcnt lgkmcnt(0)
	s_delay_alu instid0(VALU_DEP_1) | instskip(NEXT) | instid1(VALU_DEP_1)
	v_max3_f32 v76, v75, v98, v99
	v_sub_f32_e32 v96, v96, v76
	ds_load_2addr_b32 v[100:101], v71 offset0:136 offset1:153
	v_sub_f32_e32 v73, v73, v76
	v_sub_f32_e32 v75, v74, v76
	v_sub_f32_e32 v94, v94, v76
	v_mul_f32_e32 v105, 0x3fb8aa3b, v96
	s_delay_alu instid0(VALU_DEP_4)
	v_mul_f32_e32 v77, 0x3fb8aa3b, v73
	ds_load_2addr_b32 v[73:74], v71 offset0:170 offset1:187
	v_mul_f32_e32 v103, 0x3fb8aa3b, v94
	v_exp_f32_e32 v102, v77
	v_sub_f32_e32 v77, v95, v76
	ds_load_2addr_b32 v[94:95], v71 offset0:204 offset1:221
	v_exp_f32_e32 v103, v103
	v_mul_f32_e32 v104, 0x3fb8aa3b, v77
	s_waitcnt lgkmcnt(2)
	v_fma_f32 v77, v102, v100, 0
	v_dual_sub_f32 v100, v97, v76 :: v_dual_mul_f32 v75, 0x3fb8aa3b, v75
	ds_load_2addr_b32 v[96:97], v71 offset0:238 offset1:255
	v_sub_f32_e32 v71, v98, v76
	v_exp_f32_e32 v104, v104
	v_mul_f32_e32 v98, 0x3fb8aa3b, v100
	v_exp_f32_e32 v75, v75
	v_exp_f32_e32 v100, v105
	v_mul_f32_e32 v71, 0x3fb8aa3b, v71
	s_waitcnt lgkmcnt(0)
	v_exp_f32_e32 v98, v98
	s_barrier
	buffer_gl0_inv
	v_fmac_f32_e32 v77, v75, v101
	s_delay_alu instid0(VALU_DEP_1) | instskip(SKIP_2) | instid1(VALU_DEP_2)
	v_fmac_f32_e32 v77, v103, v73
	v_sub_f32_e32 v73, v99, v76
	v_exp_f32_e32 v99, v71
	v_fmac_f32_e32 v77, v104, v74
	s_delay_alu instid0(VALU_DEP_2) | instskip(NEXT) | instid1(VALU_DEP_2)
	v_dual_mul_f32 v73, 0x3fb8aa3b, v73 :: v_dual_lshlrev_b32 v74, 6, v70
	v_dual_fmac_f32 v77, v100, v94 :: v_dual_lshlrev_b32 v70, 2, v69
	s_delay_alu instid0(VALU_DEP_2) | instskip(SKIP_1) | instid1(VALU_DEP_3)
	v_exp_f32_e32 v94, v73
	v_cndmask_b32_e32 v73, v102, v75, vcc_lo
	v_lshl_or_b32 v75, v72, 11, v74
	s_delay_alu instid0(VALU_DEP_3) | instskip(SKIP_1) | instid1(VALU_DEP_3)
	v_cmp_eq_u32_e64 s7, 7, v70
	v_fmac_f32_e32 v77, v98, v95
	v_lshl_or_b32 v69, v69, 4, v75
	s_delay_alu instid0(VALU_DEP_2)
	v_fmac_f32_e32 v77, v99, v96
	s_delay_alu instid0(TRANS32_DEP_1) | instid1(VALU_DEP_1)
	v_fmac_f32_e32 v77, v94, v97
	s_delay_alu instid0(VALU_DEP_1) | instskip(NEXT) | instid1(VALU_DEP_1)
	v_add_f32_e32 v95, 0x358637bd, v77
	v_div_scale_f32 v96, null, v95, v95, 1.0
	v_div_scale_f32 v101, vcc_lo, 1.0, v95, 1.0
	s_delay_alu instid0(VALU_DEP_2) | instskip(SKIP_2) | instid1(VALU_DEP_1)
	v_rcp_f32_e32 v97, v96
	s_waitcnt_depctr 0xfff
	v_fma_f32 v71, -v96, v97, 1.0
	v_fmac_f32_e32 v97, v71, v97
	v_cndmask_b32_e64 v71, v73, v103, s2
	v_cmp_eq_u32_e64 s2, 6, v72
	v_or_b32_e32 v73, 1, v70
	v_or_b32_e32 v72, 3, v70
	v_mul_f32_e32 v102, v101, v97
	v_cndmask_b32_e64 v71, v71, v104, s3
	v_cmp_eq_u32_e64 s3, 1, v70
	v_cmp_eq_u32_e64 s8, 1, v73
	;; [unrolled: 1-line block ×3, first 2 shown]
	v_fma_f32 v103, -v96, v102, v101
	v_cndmask_b32_e64 v100, v71, v100, s4
	v_or_b32_e32 v71, 2, v70
	v_cmp_eq_u32_e64 s4, 2, v70
	v_cmp_eq_u32_e64 s11, 2, v73
	v_fmac_f32_e32 v102, v103, v97
	v_cndmask_b32_e64 v98, v100, v98, s5
	v_cmp_eq_u32_e64 s9, 1, v71
	v_cmp_eq_u32_e64 s13, 2, v71
	;; [unrolled: 1-line block ×3, first 2 shown]
	v_fma_f32 v96, -v96, v102, v101
	v_cndmask_b32_e64 v98, v98, v99, s2
	v_cmp_eq_u32_e64 s12, 3, v73
	v_cmp_eq_u32_e64 s17, 3, v72
	;; [unrolled: 1-line block ×3, first 2 shown]
	v_div_fmas_f32 v96, v96, v97, v102
	v_cndmask_b32_e64 v94, v98, v94, s6
	v_cmp_eq_u32_e32 vcc_lo, 3, v70
	v_cmp_eq_u32_e64 s16, 3, v71
	v_cmp_eq_u32_e64 s18, 4, v73
	v_div_fixup_f32 v95, v96, v95, 1.0
	v_cmp_eq_u32_e64 s21, 4, v72
	v_cmp_eq_u32_e64 s5, 5, v70
	;; [unrolled: 1-line block ×4, first 2 shown]
	v_mul_f32_e32 v102, v94, v95
	v_cmp_eq_u32_e64 s23, 5, v72
	v_cmp_eq_u32_e64 s22, 5, v71
	;; [unrolled: 1-line block ×4, first 2 shown]
	v_fma_mixlo_f16 v94, v102, v79, 0
	v_fma_mixlo_f16 v95, v102, v81, 0
	;; [unrolled: 1-line block ×8, first 2 shown]
	v_fma_mixhi_f16 v94, v102, v78, 0
	v_fma_mixhi_f16 v95, v102, v80, 0
	;; [unrolled: 1-line block ×8, first 2 shown]
	ds_store_b128 v69, v[94:97]
	ds_store_b128 v69, v[98:101] offset:1024
	s_waitcnt lgkmcnt(0)
	s_barrier
	buffer_gl0_inv
	ds_load_b128 v[78:81], v75
	ds_load_b128 v[82:85], v75 offset:16
	ds_load_b128 v[86:89], v75 offset:1024
	;; [unrolled: 1-line block ×3, first 2 shown]
	v_cmp_eq_u32_e64 s6, 6, v70
	v_cmp_eq_u32_e64 s25, 6, v71
	;; [unrolled: 1-line block ×5, first 2 shown]
	s_waitcnt lgkmcnt(3)
	v_lshrrev_b32_e32 v94, 16, v78
	s_waitcnt lgkmcnt(2)
	v_lshrrev_b32_e32 v98, 16, v82
	;; [unrolled: 2-line block ×4, first 2 shown]
	v_lshrrev_b32_e32 v95, 16, v79
	v_cndmask_b32_e64 v110, v78, v94, s3
	v_cndmask_b32_e64 v111, v82, v98, s3
	;; [unrolled: 1-line block ×8, first 2 shown]
	v_lshrrev_b32_e32 v99, 16, v83
	v_cndmask_b32_e64 v94, v86, v102, s3
	v_cndmask_b32_e64 v98, v90, v106, s3
	;; [unrolled: 1-line block ×15, first 2 shown]
	v_lshrrev_b32_e32 v103, 16, v87
	v_lshrrev_b32_e32 v107, 16, v91
	v_cndmask_b32_e64 v113, v115, v83, s13
	v_cndmask_b32_e64 v82, v94, v87, s4
	;; [unrolled: 1-line block ×7, first 2 shown]
	v_cndmask_b32_e32 v90, v102, v95, vcc_lo
	v_cndmask_b32_e32 v102, v106, v99, vcc_lo
	v_cndmask_b32_e64 v106, v110, v95, s12
	v_cndmask_b32_e64 v110, v111, v99, s12
	;; [unrolled: 1-line block ×4, first 2 shown]
	v_lshrrev_b32_e32 v96, 16, v80
	v_lshrrev_b32_e32 v100, 16, v84
	v_cndmask_b32_e64 v111, v112, v95, s16
	v_cndmask_b32_e64 v112, v113, v99, s16
	v_cndmask_b32_e32 v82, v82, v103, vcc_lo
	v_cndmask_b32_e32 v83, v83, v107, vcc_lo
	v_cndmask_b32_e64 v94, v94, v103, s12
	v_cndmask_b32_e64 v90, v90, v80, s2
	;; [unrolled: 1-line block ×7, first 2 shown]
	v_lshrrev_b32_e32 v104, 16, v88
	v_cndmask_b32_e64 v106, v111, v80, s20
	v_cndmask_b32_e64 v110, v112, v84, s20
	;; [unrolled: 1-line block ×11, first 2 shown]
	v_lshrrev_b32_e32 v97, 16, v81
	v_lshrrev_b32_e32 v101, 16, v85
	v_cndmask_b32_e64 v99, v106, v96, s22
	v_cndmask_b32_e64 v102, v110, v100, s22
	v_cndmask_b32_e64 v83, v83, v104, s19
	v_cndmask_b32_e64 v94, v94, v81, s24
	v_cndmask_b32_e64 v95, v95, v85, s24
	v_cndmask_b32_e64 v78, v78, v81, s26
	v_cndmask_b32_e64 v79, v79, v85, s26
	v_lshrrev_b32_e32 v105, 16, v89
	v_cndmask_b32_e64 v80, v80, v104, s5
	v_cndmask_b32_e64 v84, v84, v81, s6
	;; [unrolled: 1-line block ×16, first 2 shown]
	v_perm_b32 v81, v79, v78, 0x5040100
	v_perm_b32 v79, v95, v85, 0x5040100
	v_cndmask_b32_e64 v78, v119, v91, s13
	v_cndmask_b32_e64 v85, v117, v91, s11
	;; [unrolled: 1-line block ×3, first 2 shown]
	v_perm_b32 v80, v94, v90, 0x5040100
	v_cndmask_b32_e64 v90, v98, v103, s16
	v_cndmask_b32_e64 v86, v86, v103, s17
	;; [unrolled: 1-line block ×5, first 2 shown]
	v_lshrrev_b32_e32 v108, 16, v92
	v_cndmask_b32_e64 v90, v90, v88, s20
	v_cndmask_b32_e64 v86, v86, v88, s21
	;; [unrolled: 1-line block ×11, first 2 shown]
	v_lshrrev_b32_e32 v109, 16, v93
	v_cndmask_b32_e64 v82, v82, v93, s6
	v_cndmask_b32_e64 v88, v88, v89, s25
	;; [unrolled: 1-line block ×12, first 2 shown]
	v_perm_b32 v78, v84, v83, 0x5040100
	v_perm_b32 v85, v87, v86, 0x5040100
	;; [unrolled: 1-line block ×5, first 2 shown]
	s_lshl_b32 s7, s34, 1
	s_mov_b32 s2, exec_lo
	ds_store_b128 v69, v[78:81]
	ds_store_b128 v69, v[82:85] offset:1024
	v_cmpx_gt_u32_e32 2, v0
	s_cbranch_execz .LBB887_14
; %bb.13:
	v_or_b32_e32 v78, s33, v0
	s_load_b128 s[8:11], s[0:1], 0x58
	s_delay_alu instid0(VALU_DEP_1) | instskip(NEXT) | instid1(VALU_DEP_1)
	v_mad_u64_u32 v[79:80], null, s7, s30, v[78:79]
	v_mad_u64_u32 v[80:81], null, v79, s35, s[14:15]
	s_delay_alu instid0(VALU_DEP_1) | instskip(NEXT) | instid1(VALU_DEP_1)
	v_ashrrev_i32_e32 v81, 31, v80
	v_lshlrev_b64 v[78:79], 2, v[80:81]
	s_waitcnt lgkmcnt(0)
	s_delay_alu instid0(VALU_DEP_1) | instskip(NEXT) | instid1(VALU_DEP_2)
	v_add_co_u32 v80, vcc_lo, s10, v78
	v_add_co_ci_u32_e32 v81, vcc_lo, s11, v79, vcc_lo
	v_add_co_u32 v78, vcc_lo, s8, v78
	v_add_co_ci_u32_e32 v79, vcc_lo, s9, v79, vcc_lo
	global_store_b32 v[80:81], v76, off
	global_store_b32 v[78:79], v77, off
.LBB887_14:
	s_or_b32 exec_lo, exec_lo, s2
	s_waitcnt lgkmcnt(0)
	s_waitcnt_vscnt null, 0x0
	s_barrier
	buffer_gl0_inv
	ds_load_b128 v[84:87], v74
	ds_load_b128 v[88:91], v74 offset:16
	ds_load_b128 v[96:99], v74 offset:2064
	;; [unrolled: 1-line block ×5, first 2 shown]
	v_cmp_eq_u32_e32 vcc_lo, 1, v70
	v_mov_b32_e32 v76, 0
	ds_load_b128 v[112:115], v74 offset:6160
	ds_load_b128 v[108:111], v74 offset:6144
	;; [unrolled: 1-line block ×4, first 2 shown]
	v_cmp_eq_u32_e64 s3, 1, v71
	v_cmp_eq_u32_e64 s2, 1, v73
	v_cmp_eq_u32_e64 s4, 2, v73
	v_mov_b32_e32 v77, v76
	v_mov_b32_e32 v78, v76
	;; [unrolled: 1-line block ×7, first 2 shown]
	v_cmp_eq_u32_e64 s5, 3, v73
	v_cmp_eq_u32_e64 s6, 7, v73
	s_waitcnt lgkmcnt(8)
	s_delay_alu instid0(VALU_DEP_3)
	v_wmma_f32_16x16x16_f16 v[76:83], v[49:56], v[84:91], v[76:83]
	ds_load_b128 v[53:56], v74 offset:10256
	ds_load_b128 v[49:52], v74 offset:10240
	s_waitcnt lgkmcnt(8)
	v_wmma_f32_16x16x16_f16 v[76:83], v[41:48], v[92:99], v[76:83]
	ds_load_b128 v[45:48], v74 offset:12304
	ds_load_b128 v[41:44], v74 offset:12288
	s_waitcnt lgkmcnt(8)
	;; [unrolled: 4-line block ×3, first 2 shown]
	s_barrier
	buffer_gl0_inv
	v_wmma_f32_16x16x16_f16 v[76:83], v[1:8], v[108:115], v[76:83]
	s_delay_alu instid0(VALU_DEP_1) | instskip(NEXT) | instid1(VALU_DEP_1)
	v_wmma_f32_16x16x16_f16 v[76:83], v[9:16], v[116:123], v[76:83]
	v_wmma_f32_16x16x16_f16 v[76:83], v[17:24], v[49:56], v[76:83]
	s_delay_alu instid0(VALU_DEP_1) | instskip(NEXT) | instid1(VALU_DEP_1)
	v_wmma_f32_16x16x16_f16 v[76:83], v[25:32], v[41:48], v[76:83]
	v_wmma_f32_16x16x16_f16 v[76:83], v[57:64], v[33:40], v[76:83]
	s_delay_alu instid0(VALU_DEP_1) | instskip(NEXT) | instid1(VALU_DEP_2)
	v_cvt_f16_f32_e32 v1, v76
	v_cvt_f16_f32_e32 v2, v77
	s_delay_alu instid0(VALU_DEP_3) | instskip(NEXT) | instid1(VALU_DEP_4)
	v_cvt_f16_f32_e32 v3, v78
	v_cvt_f16_f32_e32 v4, v79
	;; [unrolled: 1-line block ×6, first 2 shown]
	v_pack_b32_f16 v1, v1, v2
	v_pack_b32_f16 v2, v3, v4
	;; [unrolled: 1-line block ×3, first 2 shown]
	s_delay_alu instid0(VALU_DEP_4)
	v_pack_b32_f16 v4, v7, v8
	ds_store_b128 v69, v[1:4]
	s_waitcnt lgkmcnt(0)
	s_barrier
	buffer_gl0_inv
	ds_load_b128 v[1:4], v75
	ds_load_b128 v[5:8], v75 offset:16
	s_waitcnt lgkmcnt(1)
	v_lshrrev_b32_e32 v9, 16, v1
	s_waitcnt lgkmcnt(0)
	v_lshrrev_b32_e32 v13, 16, v5
	v_lshrrev_b32_e32 v10, 16, v2
	;; [unrolled: 1-line block ×4, first 2 shown]
	v_cndmask_b32_e32 v17, v1, v9, vcc_lo
	v_cndmask_b32_e32 v18, v5, v13, vcc_lo
	v_cndmask_b32_e64 v21, v1, v9, s3
	v_cmp_eq_u32_e32 vcc_lo, 1, v72
	v_cndmask_b32_e64 v22, v5, v13, s3
	v_cmp_eq_u32_e64 s3, 2, v70
	v_cndmask_b32_e64 v19, v1, v9, s2
	v_cndmask_b32_e64 v20, v5, v13, s2
	v_cndmask_b32_e32 v1, v1, v9, vcc_lo
	v_cmp_eq_u32_e64 s2, 2, v72
	v_cndmask_b32_e32 v5, v5, v13, vcc_lo
	v_cndmask_b32_e64 v9, v17, v2, s3
	v_cmp_eq_u32_e32 vcc_lo, 3, v70
	v_cndmask_b32_e64 v13, v18, v6, s3
	v_cmp_eq_u32_e64 s3, 2, v71
	v_cndmask_b32_e64 v17, v19, v2, s4
	v_cndmask_b32_e64 v18, v20, v6, s4
	v_cmp_eq_u32_e64 s4, 3, v71
	v_cndmask_b32_e64 v1, v1, v2, s2
	v_cndmask_b32_e64 v19, v21, v2, s3
	;; [unrolled: 1-line block ×4, first 2 shown]
	v_cndmask_b32_e32 v5, v9, v10, vcc_lo
	v_cndmask_b32_e32 v6, v13, v14, vcc_lo
	v_cmp_eq_u32_e32 vcc_lo, 3, v72
	v_cndmask_b32_e64 v9, v17, v10, s5
	v_cndmask_b32_e64 v13, v18, v14, s5
	;; [unrolled: 1-line block ×3, first 2 shown]
	v_cmp_eq_u32_e64 s3, 4, v70
	v_cndmask_b32_e32 v1, v1, v10, vcc_lo
	v_cndmask_b32_e32 v2, v2, v14, vcc_lo
	v_cmp_eq_u32_e32 vcc_lo, 4, v73
	v_lshrrev_b32_e32 v15, 16, v7
	v_lshrrev_b32_e32 v16, 16, v8
	v_cndmask_b32_e64 v17, v19, v10, s4
	v_cmp_eq_u32_e64 s2, 4, v72
	v_cndmask_b32_e64 v5, v5, v3, s3
	v_cndmask_b32_e64 v6, v6, v7, s3
	v_cndmask_b32_e32 v9, v9, v3, vcc_lo
	v_cmp_eq_u32_e64 s3, 5, v73
	v_cndmask_b32_e32 v10, v13, v7, vcc_lo
	v_cmp_eq_u32_e32 vcc_lo, 4, v71
	v_cmp_eq_u32_e64 s4, 5, v70
	v_cndmask_b32_e64 v2, v2, v7, s2
	v_cndmask_b32_e64 v9, v9, v11, s3
	;; [unrolled: 1-line block ×3, first 2 shown]
	v_cndmask_b32_e32 v13, v17, v3, vcc_lo
	v_cmp_eq_u32_e64 s3, 5, v71
	v_cndmask_b32_e32 v14, v18, v7, vcc_lo
	v_cndmask_b32_e64 v1, v1, v3, s2
	v_cmp_eq_u32_e32 vcc_lo, 5, v72
	v_lshrrev_b32_e32 v12, 16, v4
	v_cndmask_b32_e64 v13, v13, v11, s3
	v_cndmask_b32_e64 v3, v14, v15, s3
	v_cmp_eq_u32_e64 s3, 6, v72
	v_cndmask_b32_e32 v1, v1, v11, vcc_lo
	v_cndmask_b32_e64 v5, v5, v11, s4
	v_cmp_eq_u32_e64 s5, 6, v70
	v_cndmask_b32_e64 v6, v6, v15, s4
	v_cmp_eq_u32_e64 s4, 6, v73
	v_cmp_eq_u32_e64 s2, 6, v71
	v_cndmask_b32_e64 v1, v1, v4, s3
	v_cndmask_b32_e32 v2, v2, v15, vcc_lo
	v_cmp_eq_u32_e32 vcc_lo, 7, v72
	v_cndmask_b32_e64 v5, v5, v4, s5
	v_cndmask_b32_e64 v9, v9, v4, s4
	;; [unrolled: 1-line block ×3, first 2 shown]
	v_cmp_eq_u32_e64 s5, 7, v70
	v_cndmask_b32_e32 v1, v1, v12, vcc_lo
	v_cndmask_b32_e64 v7, v13, v4, s2
	v_cndmask_b32_e64 v3, v3, v8, s2
	;; [unrolled: 1-line block ×3, first 2 shown]
	v_cmp_eq_u32_e64 s2, 7, v71
	v_cndmask_b32_e64 v4, v10, v8, s4
	v_cndmask_b32_e64 v5, v5, v12, s5
	;; [unrolled: 1-line block ×3, first 2 shown]
	v_cndmask_b32_e32 v2, v2, v16, vcc_lo
	v_cndmask_b32_e64 v7, v7, v12, s2
	v_cndmask_b32_e64 v3, v3, v16, s2
	;; [unrolled: 1-line block ×4, first 2 shown]
	v_perm_b32 v4, v2, v1, 0x5040100
	s_delay_alu instid0(VALU_DEP_4) | instskip(NEXT) | instid1(VALU_DEP_4)
	v_perm_b32 v3, v3, v7, 0x5040100
	v_perm_b32 v2, v8, v9, 0x5040100
	s_delay_alu instid0(VALU_DEP_4)
	v_perm_b32 v1, v6, v5, 0x5040100
	ds_store_b128 v69, v[1:4]
	s_waitcnt lgkmcnt(0)
	s_barrier
	buffer_gl0_inv
	s_and_saveexec_b32 s2, s31
	s_cbranch_execz .LBB887_2
; %bb.15:
	s_load_b64 s[0:1], s[0:1], 0x68
	v_lshlrev_b32_e32 v0, 10, v0
	s_lshl_b32 s2, s35, 6
	v_lshlrev_b32_e32 v1, 4, v68
	v_mul_lo_u32 v4, s2, v67
	s_mul_i32 s3, s2, s30
	v_and_b32_e32 v0, 0x3800, v0
	s_mul_i32 s2, s3, s7
	s_delay_alu instid0(SALU_CYCLE_1) | instskip(NEXT) | instid1(VALU_DEP_1)
	s_ashr_i32 s3, s2, 31
	v_or3_b32 v0, v0, v66, v1
	s_lshl_b64 s[2:3], s[2:3], 1
	s_delay_alu instid0(VALU_DEP_3)
	v_ashrrev_i32_e32 v5, 31, v4
	ds_load_b128 v[0:3], v0
	v_lshlrev_b64 v[4:5], 1, v[4:5]
	s_waitcnt lgkmcnt(0)
	s_add_u32 s2, s0, s2
	s_addc_u32 s3, s1, s3
	s_lshl_b32 s0, s14, 6
	s_delay_alu instid0(SALU_CYCLE_1) | instskip(NEXT) | instid1(SALU_CYCLE_1)
	s_ashr_i32 s1, s0, 31
	s_lshl_b64 s[0:1], s[0:1], 1
	s_delay_alu instid0(SALU_CYCLE_1) | instskip(SKIP_3) | instid1(VALU_DEP_2)
	s_add_u32 s0, s2, s0
	s_addc_u32 s1, s3, s1
	v_add_co_u32 v4, vcc_lo, s0, v4
	v_add_co_ci_u32_e32 v5, vcc_lo, s1, v5, vcc_lo
	v_add_co_u32 v4, vcc_lo, v4, v65
	s_delay_alu instid0(VALU_DEP_2)
	v_add_co_ci_u32_e32 v5, vcc_lo, 0, v5, vcc_lo
	global_store_b128 v[4:5], v[0:3], off
	s_nop 0
	s_sendmsg sendmsg(MSG_DEALLOC_VGPRS)
	s_endpgm
	.section	.rodata,"a",@progbits
	.p2align	6, 0x0
	.amdhsa_kernel _Z39paged_attention_ll4mi_QKV_mfma16_kernelIDF16_hLN4vllm18Fp8KVCacheDataTypeE1EhLi32ELi64ELi256ELb0ELi2EL8MFMAType1EEvPKT_PKT0_S8_ifPKiSA_SA_iPKfiiiPfSD_PS3_PT2_iSC_SC_
		.amdhsa_group_segment_fixed_size 17472
		.amdhsa_private_segment_fixed_size 0
		.amdhsa_kernarg_size 400
		.amdhsa_user_sgpr_count 13
		.amdhsa_user_sgpr_dispatch_ptr 0
		.amdhsa_user_sgpr_queue_ptr 0
		.amdhsa_user_sgpr_kernarg_segment_ptr 1
		.amdhsa_user_sgpr_dispatch_id 0
		.amdhsa_user_sgpr_private_segment_size 0
		.amdhsa_wavefront_size32 1
		.amdhsa_uses_dynamic_stack 0
		.amdhsa_enable_private_segment 0
		.amdhsa_system_sgpr_workgroup_id_x 1
		.amdhsa_system_sgpr_workgroup_id_y 1
		.amdhsa_system_sgpr_workgroup_id_z 1
		.amdhsa_system_sgpr_workgroup_info 0
		.amdhsa_system_vgpr_workitem_id 0
		.amdhsa_next_free_vgpr 148
		.amdhsa_next_free_sgpr 38
		.amdhsa_reserve_vcc 1
		.amdhsa_float_round_mode_32 0
		.amdhsa_float_round_mode_16_64 0
		.amdhsa_float_denorm_mode_32 3
		.amdhsa_float_denorm_mode_16_64 3
		.amdhsa_dx10_clamp 1
		.amdhsa_ieee_mode 1
		.amdhsa_fp16_overflow 0
		.amdhsa_workgroup_processor_mode 1
		.amdhsa_memory_ordered 1
		.amdhsa_forward_progress 0
		.amdhsa_shared_vgpr_count 0
		.amdhsa_exception_fp_ieee_invalid_op 0
		.amdhsa_exception_fp_denorm_src 0
		.amdhsa_exception_fp_ieee_div_zero 0
		.amdhsa_exception_fp_ieee_overflow 0
		.amdhsa_exception_fp_ieee_underflow 0
		.amdhsa_exception_fp_ieee_inexact 0
		.amdhsa_exception_int_div_zero 0
	.end_amdhsa_kernel
	.section	.text._Z39paged_attention_ll4mi_QKV_mfma16_kernelIDF16_hLN4vllm18Fp8KVCacheDataTypeE1EhLi32ELi64ELi256ELb0ELi2EL8MFMAType1EEvPKT_PKT0_S8_ifPKiSA_SA_iPKfiiiPfSD_PS3_PT2_iSC_SC_,"axG",@progbits,_Z39paged_attention_ll4mi_QKV_mfma16_kernelIDF16_hLN4vllm18Fp8KVCacheDataTypeE1EhLi32ELi64ELi256ELb0ELi2EL8MFMAType1EEvPKT_PKT0_S8_ifPKiSA_SA_iPKfiiiPfSD_PS3_PT2_iSC_SC_,comdat
.Lfunc_end887:
	.size	_Z39paged_attention_ll4mi_QKV_mfma16_kernelIDF16_hLN4vllm18Fp8KVCacheDataTypeE1EhLi32ELi64ELi256ELb0ELi2EL8MFMAType1EEvPKT_PKT0_S8_ifPKiSA_SA_iPKfiiiPfSD_PS3_PT2_iSC_SC_, .Lfunc_end887-_Z39paged_attention_ll4mi_QKV_mfma16_kernelIDF16_hLN4vllm18Fp8KVCacheDataTypeE1EhLi32ELi64ELi256ELb0ELi2EL8MFMAType1EEvPKT_PKT0_S8_ifPKiSA_SA_iPKfiiiPfSD_PS3_PT2_iSC_SC_
                                        ; -- End function
	.section	.AMDGPU.csdata,"",@progbits
; Kernel info:
; codeLenInByte = 6252
; NumSgprs: 40
; NumVgprs: 148
; ScratchSize: 0
; MemoryBound: 0
; FloatMode: 240
; IeeeMode: 1
; LDSByteSize: 17472 bytes/workgroup (compile time only)
; SGPRBlocks: 4
; VGPRBlocks: 18
; NumSGPRsForWavesPerEU: 40
; NumVGPRsForWavesPerEU: 148
; Occupancy: 9
; WaveLimiterHint : 1
; COMPUTE_PGM_RSRC2:SCRATCH_EN: 0
; COMPUTE_PGM_RSRC2:USER_SGPR: 13
; COMPUTE_PGM_RSRC2:TRAP_HANDLER: 0
; COMPUTE_PGM_RSRC2:TGID_X_EN: 1
; COMPUTE_PGM_RSRC2:TGID_Y_EN: 1
; COMPUTE_PGM_RSRC2:TGID_Z_EN: 1
; COMPUTE_PGM_RSRC2:TIDIG_COMP_CNT: 0
	.section	.text._Z39paged_attention_ll4mi_QKV_mfma16_kernelIDF16_hLN4vllm18Fp8KVCacheDataTypeE1EhLi32ELi64ELi256ELb0ELi3EL8MFMAType1EEvPKT_PKT0_S8_ifPKiSA_SA_iPKfiiiPfSD_PS3_PT2_iSC_SC_,"axG",@progbits,_Z39paged_attention_ll4mi_QKV_mfma16_kernelIDF16_hLN4vllm18Fp8KVCacheDataTypeE1EhLi32ELi64ELi256ELb0ELi3EL8MFMAType1EEvPKT_PKT0_S8_ifPKiSA_SA_iPKfiiiPfSD_PS3_PT2_iSC_SC_,comdat
	.protected	_Z39paged_attention_ll4mi_QKV_mfma16_kernelIDF16_hLN4vllm18Fp8KVCacheDataTypeE1EhLi32ELi64ELi256ELb0ELi3EL8MFMAType1EEvPKT_PKT0_S8_ifPKiSA_SA_iPKfiiiPfSD_PS3_PT2_iSC_SC_ ; -- Begin function _Z39paged_attention_ll4mi_QKV_mfma16_kernelIDF16_hLN4vllm18Fp8KVCacheDataTypeE1EhLi32ELi64ELi256ELb0ELi3EL8MFMAType1EEvPKT_PKT0_S8_ifPKiSA_SA_iPKfiiiPfSD_PS3_PT2_iSC_SC_
	.globl	_Z39paged_attention_ll4mi_QKV_mfma16_kernelIDF16_hLN4vllm18Fp8KVCacheDataTypeE1EhLi32ELi64ELi256ELb0ELi3EL8MFMAType1EEvPKT_PKT0_S8_ifPKiSA_SA_iPKfiiiPfSD_PS3_PT2_iSC_SC_
	.p2align	8
	.type	_Z39paged_attention_ll4mi_QKV_mfma16_kernelIDF16_hLN4vllm18Fp8KVCacheDataTypeE1EhLi32ELi64ELi256ELb0ELi3EL8MFMAType1EEvPKT_PKT0_S8_ifPKiSA_SA_iPKfiiiPfSD_PS3_PT2_iSC_SC_,@function
_Z39paged_attention_ll4mi_QKV_mfma16_kernelIDF16_hLN4vllm18Fp8KVCacheDataTypeE1EhLi32ELi64ELi256ELb0ELi3EL8MFMAType1EEvPKT_PKT0_S8_ifPKiSA_SA_iPKfiiiPfSD_PS3_PT2_iSC_SC_: ; @_Z39paged_attention_ll4mi_QKV_mfma16_kernelIDF16_hLN4vllm18Fp8KVCacheDataTypeE1EhLi32ELi64ELi256ELb0ELi3EL8MFMAType1EEvPKT_PKT0_S8_ifPKiSA_SA_iPKfiiiPfSD_PS3_PT2_iSC_SC_
; %bb.0:
	s_load_b64 s[2:3], s[0:1], 0x30
	s_mov_b32 s34, s13
	s_waitcnt lgkmcnt(0)
	s_cmp_lg_u64 s[2:3], 0
	s_cselect_b32 s6, -1, 0
	s_ashr_i32 s35, s13, 31
	s_cmp_eq_u64 s[2:3], 0
	s_cbranch_scc1 .LBB888_3
; %bb.1:
	s_lshl_b64 s[4:5], s[34:35], 2
	s_delay_alu instid0(SALU_CYCLE_1) | instskip(SKIP_4) | instid1(SALU_CYCLE_1)
	s_add_u32 s4, s2, s4
	s_addc_u32 s5, s3, s5
	s_load_b64 s[4:5], s[4:5], 0x0
	s_waitcnt lgkmcnt(0)
	s_sub_i32 s4, s5, s4
	s_cmp_eq_u32 s4, 1
	s_cselect_b32 s4, -1, 0
	s_delay_alu instid0(SALU_CYCLE_1)
	s_and_not1_b32 vcc_lo, exec_lo, s4
	s_cbranch_vccz .LBB888_4
.LBB888_2:
	s_nop 0
	s_sendmsg sendmsg(MSG_DEALLOC_VGPRS)
	s_endpgm
.LBB888_3:
.LBB888_4:
	s_load_b64 s[8:9], s[0:1], 0x28
	s_lshl_b64 s[4:5], s[34:35], 2
	s_waitcnt lgkmcnt(0)
	s_add_u32 s8, s8, s4
	s_addc_u32 s9, s9, s5
	s_lshl_b32 s16, s14, 8
	s_load_b32 s18, s[8:9], 0x0
	s_waitcnt lgkmcnt(0)
	s_cmp_ge_i32 s16, s18
	s_cbranch_scc1 .LBB888_2
; %bb.5:
	s_clause 0x1
	s_load_b128 s[8:11], s[0:1], 0x8
	s_load_b64 s[12:13], s[0:1], 0x20
	s_and_not1_b32 vcc_lo, exec_lo, s6
	s_cbranch_vccnz .LBB888_7
; %bb.6:
	s_add_u32 s2, s2, s4
	s_addc_u32 s3, s3, s5
	s_load_b32 s3, s[2:3], 0x0
	s_branch .LBB888_8
.LBB888_7:
	s_mov_b32 s3, s34
.LBB888_8:
	s_load_b128 s[4:7], s[0:1], 0x48
	v_lshrrev_b32_e32 v69, 5, v0
	v_bfe_u32 v66, v0, 4, 1
	v_and_b32_e32 v68, 15, v0
	v_and_b32_e32 v70, 31, v0
	v_and_b32_e32 v67, 1, v0
	s_mul_i32 s33, s15, 3
	v_lshl_or_b32 v1, v69, 1, v66
	v_lshlrev_b32_e32 v2, 3, v68
	v_cmp_gt_u32_e64 s2, 8, v68
	s_delay_alu instid0(VALU_DEP_3) | instskip(NEXT) | instid1(VALU_DEP_3)
	v_cmp_gt_u32_e32 vcc_lo, 3, v1
	v_lshlrev_b32_e32 v65, 1, v2
	s_delay_alu instid0(VALU_DEP_3)
	s_and_b32 s17, s2, vcc_lo
	s_waitcnt lgkmcnt(0)
	s_and_saveexec_b32 s7, s17
	s_cbranch_execz .LBB888_10
; %bb.9:
	s_load_b64 s[20:21], s[0:1], 0x0
	v_add_lshl_u32 v2, v1, s33, 6
	s_mul_hi_i32 s23, s3, s4
	s_mul_i32 s22, s3, s4
	v_lshlrev_b32_e32 v6, 10, v68
	s_lshl_b64 s[22:23], s[22:23], 1
	v_ashrrev_i32_e32 v3, 31, v2
	v_lshlrev_b32_e32 v1, 6, v1
	v_lshlrev_b32_e32 v7, 10, v67
	v_and_b32_e32 v6, 0x3800, v6
	s_delay_alu instid0(VALU_DEP_4) | instskip(NEXT) | instid1(VALU_DEP_2)
	v_lshlrev_b64 v[2:3], 1, v[2:3]
	v_or3_b32 v1, v6, v7, v1
	s_waitcnt lgkmcnt(0)
	s_add_u32 s3, s20, s22
	s_addc_u32 s4, s21, s23
	s_delay_alu instid0(VALU_DEP_2) | instskip(SKIP_1) | instid1(VALU_DEP_2)
	v_add_co_u32 v2, vcc_lo, s3, v2
	v_add_co_ci_u32_e32 v3, vcc_lo, s4, v3, vcc_lo
	v_add_co_u32 v2, vcc_lo, v2, v65
	s_delay_alu instid0(VALU_DEP_2)
	v_add_co_ci_u32_e32 v3, vcc_lo, 0, v3, vcc_lo
	global_load_b128 v[2:5], v[2:3], off
	s_waitcnt vmcnt(0)
	ds_store_b128 v1, v[2:5]
.LBB888_10:
	s_or_b32 exec_lo, exec_lo, s7
	v_and_b32_e32 v1, 0xef, v0
	s_add_i32 s3, s18, 31
	s_clause 0x1
	s_load_b32 s4, s[0:1], 0x38
	s_load_b32 s35, s[0:1], 0x98
	s_ashr_i32 s7, s3, 31
	v_add_nc_u32_e32 v1, s16, v1
	s_lshr_b32 s7, s7, 27
	s_load_b32 s19, s[0:1], 0x1c
	s_add_i32 s3, s3, s7
	s_waitcnt lgkmcnt(0)
	v_ashrrev_i32_e32 v2, 31, v1
	v_or_b32_e32 v3, 16, v1
	s_ashr_i32 s3, s3, 5
	v_cmp_gt_i32_e32 vcc_lo, s18, v1
	s_add_i32 s3, s3, -1
	v_lshrrev_b32_e32 v2, 27, v2
	s_barrier
	buffer_gl0_inv
	s_mul_i32 s15, s15, s6
	v_mul_lo_u16 v103, 0x56, v68
	v_add_nc_u32_e32 v4, v1, v2
	v_mbcnt_lo_u32_b32 v127, -1, 0
	s_mul_i32 s20, s34, s4
	s_delay_alu instid0(SALU_CYCLE_1) | instskip(NEXT) | instid1(VALU_DEP_2)
	s_ashr_i32 s21, s20, 31
	v_ashrrev_i32_e32 v4, 5, v4
	v_add_nc_u32_e32 v2, v3, v2
	s_lshl_b64 s[20:21], s[20:21], 2
	v_lshrrev_b16 v103, 8, v103
	s_add_u32 s17, s12, s20
	v_cndmask_b32_e32 v1, s3, v4, vcc_lo
	v_ashrrev_i32_e32 v2, 5, v2
	v_cmp_gt_i32_e32 vcc_lo, s18, v3
	s_addc_u32 s13, s13, s21
	s_ashr_i32 s20, s15, 31
	s_add_u32 s22, s8, s15
	s_addc_u32 s23, s9, s20
	v_cndmask_b32_e32 v3, s3, v2, vcc_lo
	v_ashrrev_i32_e32 v2, 31, v1
	s_lshl_b32 s6, s14, 3
	v_mul_lo_u16 v103, v103, 3
	s_ashr_i32 s7, s6, 31
	v_ashrrev_i32_e32 v4, 31, v3
	v_lshlrev_b64 v[1:2], 2, v[1:2]
	s_lshl_b64 s[6:7], s[6:7], 2
	v_sub_nc_u16 v103, v68, v103
	s_add_u32 s6, s17, s6
	v_lshlrev_b64 v[3:4], 2, v[3:4]
	s_addc_u32 s7, s13, s7
	v_add_co_u32 v1, vcc_lo, s17, v1
	v_add_co_ci_u32_e32 v2, vcc_lo, s13, v2, vcc_lo
	s_delay_alu instid0(VALU_DEP_3) | instskip(NEXT) | instid1(VALU_DEP_4)
	v_add_co_u32 v3, vcc_lo, s17, v3
	v_add_co_ci_u32_e32 v4, vcc_lo, s13, v4, vcc_lo
	s_clause 0x1
	global_load_b32 v5, v[1:2], off
	global_load_b32 v6, v[3:4], off
	s_or_b32 s4, s16, 32
	v_xor_b32_e32 v128, 16, v127
	s_ashr_i32 s8, s4, 5
	s_cmp_lt_i32 s4, s18
	s_cselect_b32 s8, s8, s3
	s_delay_alu instid0(SALU_CYCLE_1) | instskip(NEXT) | instid1(SALU_CYCLE_1)
	s_ashr_i32 s9, s8, 31
	s_lshl_b64 s[8:9], s[8:9], 2
	s_delay_alu instid0(SALU_CYCLE_1) | instskip(SKIP_2) | instid1(SALU_CYCLE_1)
	s_add_u32 s8, s17, s8
	s_addc_u32 s9, s13, s9
	s_or_b32 s4, s16, 64
	s_ashr_i32 s12, s4, 5
	s_cmp_lt_i32 s4, s18
	s_cselect_b32 s24, s12, s3
	s_delay_alu instid0(SALU_CYCLE_1) | instskip(NEXT) | instid1(SALU_CYCLE_1)
	s_ashr_i32 s25, s24, 31
	s_lshl_b64 s[24:25], s[24:25], 2
	s_delay_alu instid0(SALU_CYCLE_1) | instskip(SKIP_2) | instid1(SALU_CYCLE_1)
	s_add_u32 s24, s17, s24
	s_addc_u32 s25, s13, s25
	s_or_b32 s4, s16, 0x60
	;; [unrolled: 10-line block ×4, first 2 shown]
	s_ashr_i32 s12, s4, 5
	s_cmp_lt_i32 s4, s18
	s_cselect_b32 s30, s12, s3
	s_delay_alu instid0(SALU_CYCLE_1) | instskip(NEXT) | instid1(SALU_CYCLE_1)
	s_ashr_i32 s31, s30, 31
	s_lshl_b64 s[30:31], s[30:31], 2
	s_delay_alu instid0(SALU_CYCLE_1)
	s_add_u32 s30, s17, s30
	s_addc_u32 s31, s13, s31
	s_clause 0x5
	s_load_b32 s12, s[6:7], 0x0
	s_load_b32 s4, s[8:9], 0x0
	;; [unrolled: 1-line block ×6, first 2 shown]
	s_or_b32 s21, s16, 0xc0
	s_waitcnt vmcnt(1)
	v_mad_i64_i32 v[1:2], null, v5, s5, s[22:23]
	v_lshlrev_b32_e32 v5, 4, v68
	s_waitcnt vmcnt(0)
	v_mad_i64_i32 v[3:4], null, v6, s5, s[22:23]
	s_ashr_i32 s22, s21, 5
	s_cmp_lt_i32 s21, s18
	s_delay_alu instid0(VALU_DEP_3) | instskip(NEXT) | instid1(VALU_DEP_4)
	v_add_co_u32 v1, vcc_lo, v1, v5
	v_add_co_ci_u32_e32 v2, vcc_lo, 0, v2, vcc_lo
	s_delay_alu instid0(VALU_DEP_3) | instskip(NEXT) | instid1(VALU_DEP_4)
	v_add_co_u32 v3, vcc_lo, v3, v5
	v_add_co_ci_u32_e32 v4, vcc_lo, 0, v4, vcc_lo
	s_clause 0x7
	global_load_b128 v[71:74], v[1:2], off
	global_load_b128 v[75:78], v[1:2], off offset:512
	global_load_b128 v[79:82], v[3:4], off offset:256
	;; [unrolled: 1-line block ×7, first 2 shown]
	s_cselect_b32 s22, s22, s3
	v_lshlrev_b32_e32 v1, 5, v68
	s_ashr_i32 s23, s22, 31
	v_cmp_gt_i32_e32 vcc_lo, 32, v128
	s_lshl_b64 s[22:23], s[22:23], 2
	v_and_b32_e32 v103, 0xff, v103
	s_add_u32 s22, s17, s22
	s_addc_u32 s23, s13, s23
	v_cndmask_b32_e32 v136, v127, v128, vcc_lo
	s_or_b32 s21, s16, 0xe0
	v_lshl_or_b32 v1, v69, 9, v1
	s_ashr_i32 s24, s21, 5
	s_cmp_lt_i32 s21, s18
	v_lshlrev_b32_e32 v115, 6, v103
	s_cselect_b32 s24, s24, s3
	s_load_b32 s3, s[22:23], 0x0
	s_ashr_i32 s25, s24, 31
	s_delay_alu instid0(SALU_CYCLE_1) | instskip(NEXT) | instid1(SALU_CYCLE_1)
	s_lshl_b64 s[24:25], s[24:25], 2
	s_add_u32 s22, s17, s24
	s_addc_u32 s23, s13, s25
	s_add_u32 s10, s10, s15
	s_addc_u32 s11, s11, s20
	v_add_co_u32 v1, s10, s10, v1
	s_delay_alu instid0(VALU_DEP_1) | instskip(SKIP_2) | instid1(VALU_DEP_1)
	v_add_co_ci_u32_e64 v2, null, s11, 0, s10
	s_load_b32 s10, s[22:23], 0x0
	s_waitcnt lgkmcnt(0)
	v_mad_i64_i32 v[3:4], null, s12, s5, v[1:2]
	v_mad_i64_i32 v[9:10], null, s7, s5, v[1:2]
	;; [unrolled: 1-line block ×7, first 2 shown]
	s_clause 0x5
	global_load_b128 v[49:52], v[3:4], off
	global_load_b128 v[53:56], v[3:4], off offset:16
	global_load_b128 v[41:44], v[5:6], off
	global_load_b128 v[45:48], v[5:6], off offset:16
	;; [unrolled: 2-line block ×3, first 2 shown]
	s_mov_b32 s4, 0
	v_mad_i64_i32 v[61:62], null, s10, s5, v[1:2]
	s_clause 0x9
	global_load_b128 v[1:4], v[9:10], off
	global_load_b128 v[5:8], v[9:10], off offset:16
	global_load_b128 v[9:12], v[13:14], off
	global_load_b128 v[13:16], v[13:14], off offset:16
	;; [unrolled: 2-line block ×5, first 2 shown]
	s_mov_b32 s5, s4
	s_mov_b32 s6, s4
	;; [unrolled: 1-line block ×7, first 2 shown]
	v_and_b32_e32 v104, 0xe0, v0
	v_dual_mov_b32 v126, s11 :: v_dual_mov_b32 v123, s8
	v_dual_mov_b32 v125, s10 :: v_dual_mov_b32 v124, s9
	s_delay_alu instid0(VALU_DEP_3)
	v_add_nc_u32_e32 v111, s16, v104
	ds_load_b128 v[103:106], v115
	ds_load_b128 v[107:110], v115 offset:1024
	v_dual_mov_b32 v122, s7 :: v_dual_mov_b32 v121, s6
	v_mov_b32_e32 v120, s5
	v_or_b32_e32 v135, v111, v66
	ds_load_b128 v[111:114], v115 offset:2048
	ds_load_b128 v[115:118], v115 offset:3072
	v_mov_b32_e32 v119, s4
	s_waitcnt vmcnt(0) lgkmcnt(0)
	s_barrier
	v_or_b32_e32 v137, 2, v135
	v_or_b32_e32 v138, 4, v135
	v_or_b32_e32 v139, 6, v135
	v_cmp_gt_i32_e32 vcc_lo, s18, v135
	v_or_b32_e32 v140, 8, v135
	v_cmp_gt_i32_e64 s3, s18, v137
	v_or_b32_e32 v141, 10, v135
	v_cmp_gt_i32_e64 s4, s18, v138
	v_cmp_gt_i32_e64 s5, s18, v139
	v_or_b32_e32 v142, 12, v135
	v_or_b32_e32 v143, 14, v135
	v_cmp_gt_i32_e64 s6, s18, v140
	v_cmp_gt_i32_e64 s7, s18, v141
	v_or_b32_e32 v144, 16, v135
	v_or_b32_e32 v145, 18, v135
	v_cmp_gt_i32_e64 s8, s18, v142
	v_cmp_gt_i32_e64 s9, s18, v143
	buffer_gl0_inv
	v_cmp_gt_i32_e64 s10, s18, v144
	v_cmp_gt_i32_e64 s11, s18, v145
	v_wmma_f32_16x16x16_f16 v[127:134], v[71:78], v[103:110], v[119:126]
	v_wmma_f32_16x16x16_f16 v[119:126], v[79:86], v[103:110], v[119:126]
	v_or_b32_e32 v71, 20, v135
	v_or_b32_e32 v72, 22, v135
	s_delay_alu instid0(VALU_DEP_4)
	v_wmma_f32_16x16x16_f16 v[127:134], v[87:94], v[111:118], v[127:134]
	v_or_b32_e32 v73, 24, v135
	v_wmma_f32_16x16x16_f16 v[119:126], v[95:102], v[111:118], v[119:126]
	v_or_b32_e32 v74, 26, v135
	v_cmp_gt_i32_e64 s12, s18, v71
	v_dual_mul_f32 v84, s19, v127 :: v_dual_mul_f32 v83, s19, v128
	s_delay_alu instid0(VALU_DEP_4) | instskip(SKIP_2) | instid1(VALU_DEP_4)
	v_dual_mul_f32 v92, s19, v119 :: v_dual_mul_f32 v81, s19, v130
	v_mul_f32_e32 v90, s19, v121
	v_mul_f32_e32 v82, s19, v129
	v_cndmask_b32_e32 v84, 0xff7fffff, v84, vcc_lo
	v_cndmask_b32_e64 v83, 0xff7fffff, v83, s3
	v_dual_mul_f32 v79, s19, v132 :: v_dual_mul_f32 v88, s19, v123
	v_mul_f32_e32 v80, s19, v131
	v_cndmask_b32_e64 v82, 0xff7fffff, v82, s4
	v_cndmask_b32_e64 v81, 0xff7fffff, v81, s5
	v_max3_f32 v83, v84, 0xff7fffff, v83
	v_dual_mul_f32 v77, s19, v134 :: v_dual_mul_f32 v86, s19, v125
	v_mul_f32_e32 v78, s19, v133
	v_cndmask_b32_e64 v80, 0xff7fffff, v80, s6
	v_cndmask_b32_e64 v79, 0xff7fffff, v79, s7
	v_max3_f32 v81, v83, v82, v81
	v_mul_f32_e32 v91, s19, v120
	v_cndmask_b32_e64 v78, 0xff7fffff, v78, s8
	v_cndmask_b32_e64 v77, 0xff7fffff, v77, s9
	v_mul_f32_e32 v89, s19, v122
	v_max3_f32 v79, v81, v80, v79
	v_cndmask_b32_e64 v80, 0xff7fffff, v92, s10
	v_cndmask_b32_e64 v81, 0xff7fffff, v91, s11
	v_cmp_gt_i32_e64 s13, s18, v72
	v_or_b32_e32 v75, 28, v135
	v_max3_f32 v77, v79, v78, v77
	v_or_b32_e32 v76, 30, v135
	v_mul_f32_e32 v87, s19, v124
	v_cndmask_b32_e64 v71, 0xff7fffff, v90, s12
	v_cndmask_b32_e64 v72, 0xff7fffff, v89, s13
	v_max3_f32 v77, v77, v80, v81
	v_cmp_gt_i32_e64 s15, s18, v73
	v_cmp_gt_i32_e64 s16, s18, v74
	v_mul_f32_e32 v85, s19, v126
	v_cmp_gt_i32_e64 s17, s18, v75
	v_max3_f32 v71, v77, v71, v72
	v_cndmask_b32_e64 v73, 0xff7fffff, v88, s15
	v_cndmask_b32_e64 v74, 0xff7fffff, v87, s16
	v_cmp_gt_i32_e64 s18, s18, v76
	v_cndmask_b32_e64 v72, 0xff7fffff, v86, s17
	s_delay_alu instid0(VALU_DEP_3) | instskip(NEXT) | instid1(VALU_DEP_3)
	v_max3_f32 v71, v71, v73, v74
	v_cndmask_b32_e64 v75, 0xff7fffff, v85, s18
	v_lshlrev_b32_e32 v73, 2, v136
	s_delay_alu instid0(VALU_DEP_2) | instskip(SKIP_3) | instid1(VALU_DEP_1)
	v_max3_f32 v71, v71, v72, v75
	ds_bpermute_b32 v72, v73, v71
	s_waitcnt lgkmcnt(0)
	v_max_f32_e32 v72, v72, v72
	v_max_f32_e32 v71, v71, v72
	s_delay_alu instid0(VALU_DEP_1) | instskip(SKIP_2) | instid1(VALU_DEP_3)
	v_fma_f32 v72, s19, v127, -v71
	v_fma_f32 v74, s19, v128, -v71
	;; [unrolled: 1-line block ×3, first 2 shown]
	v_mul_f32_e32 v72, 0x3fb8aa3b, v72
	s_delay_alu instid0(VALU_DEP_2) | instskip(NEXT) | instid1(VALU_DEP_2)
	v_dual_mul_f32 v74, 0x3fb8aa3b, v74 :: v_dual_mul_f32 v75, 0x3fb8aa3b, v75
	v_exp_f32_e32 v72, v72
	s_delay_alu instid0(VALU_DEP_1) | instskip(NEXT) | instid1(VALU_DEP_1)
	v_exp_f32_e32 v74, v74
	v_exp_f32_e32 v75, v75
	s_delay_alu instid0(TRANS32_DEP_3)
	v_cndmask_b32_e32 v79, 0, v72, vcc_lo
	s_waitcnt_depctr 0xfff
	v_cndmask_b32_e64 v78, 0, v74, s3
	v_cndmask_b32_e64 v81, 0, v75, s4
	v_cmp_gt_u32_e64 s3, 16, v70
	v_add_f32_e32 v74, 0, v79
	s_delay_alu instid0(VALU_DEP_1) | instskip(NEXT) | instid1(VALU_DEP_1)
	v_add_f32_e32 v74, v74, v78
	v_add_f32_e32 v74, v74, v81
	v_fma_f32 v76, s19, v130, -v71
	v_fma_f32 v77, s19, v131, -v71
	;; [unrolled: 1-line block ×5, first 2 shown]
	s_delay_alu instid0(VALU_DEP_4) | instskip(NEXT) | instid1(VALU_DEP_4)
	v_dual_mul_f32 v76, 0x3fb8aa3b, v76 :: v_dual_mul_f32 v77, 0x3fb8aa3b, v77
	v_mul_f32_e32 v72, 0x3fb8aa3b, v72
	s_delay_alu instid0(VALU_DEP_4) | instskip(SKIP_1) | instid1(VALU_DEP_4)
	v_mul_f32_e32 v82, 0x3fb8aa3b, v80
	v_fma_f32 v86, s19, v122, -v71
	v_exp_f32_e32 v76, v76
	v_exp_f32_e32 v77, v77
	;; [unrolled: 1-line block ×4, first 2 shown]
	v_mul_f32_e32 v86, 0x3fb8aa3b, v86
	s_delay_alu instid0(VALU_DEP_1)
	v_exp_f32_e32 v88, v86
	v_cndmask_b32_e64 v80, 0, v76, s5
	v_mul_f32_e32 v75, 0x3fb8aa3b, v75
	v_fma_f32 v76, s19, v119, -v71
	v_cndmask_b32_e64 v83, 0, v77, s6
	v_fma_f32 v77, s19, v120, -v71
	v_add_f32_e32 v74, v74, v80
	v_exp_f32_e32 v75, v75
	v_mul_f32_e32 v76, 0x3fb8aa3b, v76
	v_cndmask_b32_e64 v82, 0, v72, s7
	s_delay_alu instid0(VALU_DEP_3) | instskip(SKIP_1) | instid1(VALU_DEP_4)
	v_dual_mul_f32 v77, 0x3fb8aa3b, v77 :: v_dual_add_f32 v72, v74, v83
	v_fma_f32 v74, s19, v121, -v71
	v_exp_f32_e32 v76, v76
	v_cndmask_b32_e64 v85, 0, v84, s8
	s_delay_alu instid0(VALU_DEP_3) | instskip(SKIP_1) | instid1(TRANS32_DEP_3)
	v_exp_f32_e32 v77, v77
	v_cndmask_b32_e64 v88, 0, v88, s13
	v_cndmask_b32_e64 v84, 0, v75, s9
	v_fma_f32 v75, s19, v123, -v71
	v_add_f32_e32 v72, v72, v82
	s_delay_alu instid0(VALU_DEP_2) | instskip(NEXT) | instid1(VALU_DEP_2)
	v_dual_mul_f32 v74, 0x3fb8aa3b, v74 :: v_dual_mul_f32 v75, 0x3fb8aa3b, v75
	v_add_f32_e32 v72, v72, v85
	s_delay_alu instid0(VALU_DEP_2)
	v_exp_f32_e32 v74, v74
	v_cndmask_b32_e64 v87, 0, v76, s10
	v_fma_f32 v76, s19, v124, -v71
	v_cndmask_b32_e64 v86, 0, v77, s11
	v_add_f32_e32 v72, v72, v84
	v_fma_f32 v77, s19, v125, -v71
	v_exp_f32_e32 v75, v75
	v_mul_f32_e32 v76, 0x3fb8aa3b, v76
	s_delay_alu instid0(VALU_DEP_3) | instskip(NEXT) | instid1(TRANS32_DEP_2)
	v_add_f32_e32 v72, v72, v87
	v_cndmask_b32_e64 v89, 0, v74, s12
	v_mul_f32_e32 v74, 0x3fb8aa3b, v77
	s_delay_alu instid0(VALU_DEP_4) | instskip(SKIP_2) | instid1(VALU_DEP_3)
	v_exp_f32_e32 v76, v76
	v_fma_f32 v77, s19, v126, -v71
	v_add_f32_e32 v72, v72, v86
	v_exp_f32_e32 v74, v74
	s_delay_alu instid0(TRANS32_DEP_3) | instskip(NEXT) | instid1(VALU_DEP_3)
	v_cndmask_b32_e64 v91, 0, v75, s15
	v_mul_f32_e32 v75, 0x3fb8aa3b, v77
	s_delay_alu instid0(VALU_DEP_3) | instskip(NEXT) | instid1(TRANS32_DEP_2)
	v_add_f32_e32 v72, v72, v89
	v_cndmask_b32_e64 v90, 0, v76, s16
	s_delay_alu instid0(VALU_DEP_3) | instskip(NEXT) | instid1(VALU_DEP_2)
	v_exp_f32_e32 v75, v75
	v_add_f32_e32 v72, v72, v88
	s_delay_alu instid0(TRANS32_DEP_2) | instskip(NEXT) | instid1(VALU_DEP_2)
	v_cndmask_b32_e64 v93, 0, v74, s17
	v_add_f32_e32 v72, v72, v91
	s_waitcnt_depctr 0xfff
	v_cndmask_b32_e64 v92, 0, v75, s18
	v_add_f32_e32 v72, v72, v90
	s_delay_alu instid0(VALU_DEP_1) | instskip(NEXT) | instid1(VALU_DEP_1)
	v_add_f32_e32 v72, v72, v93
	v_add_f32_e32 v72, v72, v92
	ds_bpermute_b32 v73, v73, v72
	s_and_saveexec_b32 s4, s3
	s_cbranch_execz .LBB888_12
; %bb.11:
	v_mul_u32_u24_e32 v70, 0x44, v69
	s_waitcnt lgkmcnt(0)
	v_add_f32_e32 v72, v72, v73
	s_delay_alu instid0(VALU_DEP_2) | instskip(NEXT) | instid1(VALU_DEP_1)
	v_lshl_add_u32 v70, v68, 2, v70
	v_add_nc_u32_e32 v70, 0x4000, v70
	ds_store_2addr_b32 v70, v71, v72 offset1:136
.LBB888_12:
	s_or_b32 exec_lo, exec_lo, s4
	v_lshlrev_b32_e32 v70, 2, v68
	s_load_b32 s36, s[0:1], 0x94
	s_waitcnt lgkmcnt(0)
	s_barrier
	buffer_gl0_inv
	v_add_nc_u32_e32 v98, 0x4000, v70
	v_cmp_eq_u32_e32 vcc_lo, 1, v69
	v_cmp_eq_u32_e64 s4, 2, v69
	v_cmp_eq_u32_e64 s5, 3, v69
	;; [unrolled: 1-line block ×3, first 2 shown]
	ds_load_2addr_b32 v[70:71], v98 offset1:17
	ds_load_2addr_b32 v[72:73], v98 offset0:34 offset1:51
	ds_load_2addr_b32 v[74:75], v98 offset0:68 offset1:85
	;; [unrolled: 1-line block ×3, first 2 shown]
	v_cmp_eq_u32_e64 s7, 5, v69
	v_cmp_eq_u32_e64 s8, 7, v69
	s_waitcnt lgkmcnt(3)
	v_max3_f32 v76, v70, 0xff7fffff, v71
	s_waitcnt lgkmcnt(2)
	s_delay_alu instid0(VALU_DEP_1) | instskip(SKIP_1) | instid1(VALU_DEP_1)
	v_max3_f32 v76, v76, v72, v73
	s_waitcnt lgkmcnt(1)
	v_max3_f32 v76, v76, v74, v75
	s_waitcnt lgkmcnt(0)
	s_delay_alu instid0(VALU_DEP_1) | instskip(NEXT) | instid1(VALU_DEP_1)
	v_max3_f32 v76, v76, v94, v95
	v_sub_f32_e32 v77, v71, v76
	ds_load_2addr_b32 v[96:97], v98 offset0:136 offset1:153
	v_sub_f32_e32 v74, v74, v76
	v_sub_f32_e32 v70, v70, v76
	;; [unrolled: 1-line block ×3, first 2 shown]
	v_dual_sub_f32 v72, v72, v76 :: v_dual_mul_f32 v77, 0x3fb8aa3b, v77
	s_delay_alu instid0(VALU_DEP_4) | instskip(NEXT) | instid1(VALU_DEP_4)
	v_mul_f32_e32 v103, 0x3fb8aa3b, v74
	v_mul_f32_e32 v99, 0x3fb8aa3b, v70
	ds_load_2addr_b32 v[70:71], v98 offset0:170 offset1:187
	v_dual_mul_f32 v101, 0x3fb8aa3b, v72 :: v_dual_mul_f32 v94, 0x3fb8aa3b, v94
	v_exp_f32_e32 v102, v77
	v_exp_f32_e32 v99, v99
	s_delay_alu instid0(VALU_DEP_1) | instskip(NEXT) | instid1(VALU_DEP_1)
	v_exp_f32_e32 v101, v101
	v_exp_f32_e32 v94, v94
	s_waitcnt lgkmcnt(1)
	s_delay_alu instid0(TRANS32_DEP_3)
	v_fma_f32 v77, v99, v96, 0
	v_sub_f32_e32 v100, v73, v76
	ds_load_2addr_b32 v[72:73], v98 offset0:204 offset1:221
	v_fmac_f32_e32 v77, v102, v97
	v_exp_f32_e32 v97, v103
	s_waitcnt lgkmcnt(1)
	s_delay_alu instid0(VALU_DEP_1)
	v_dual_fmac_f32 v77, v101, v70 :: v_dual_sub_f32 v96, v75, v76
	ds_load_2addr_b32 v[74:75], v98 offset0:238 offset1:255
	v_sub_f32_e32 v70, v95, v76
	s_waitcnt lgkmcnt(0)
	s_barrier
	v_mul_f32_e32 v96, 0x3fb8aa3b, v96
	buffer_gl0_inv
	v_exp_f32_e32 v95, v96
	v_mul_f32_e32 v100, 0x3fb8aa3b, v100
	s_delay_alu instid0(VALU_DEP_1) | instskip(SKIP_3) | instid1(VALU_DEP_2)
	v_exp_f32_e32 v100, v100
	s_waitcnt_depctr 0xfff
	v_dual_fmac_f32 v77, v100, v71 :: v_dual_mul_f32 v70, 0x3fb8aa3b, v70
	v_cndmask_b32_e32 v71, v99, v102, vcc_lo
	v_fmac_f32_e32 v77, v97, v72
	s_delay_alu instid0(VALU_DEP_3) | instskip(NEXT) | instid1(VALU_DEP_1)
	v_exp_f32_e32 v96, v70
	v_fmac_f32_e32 v77, v95, v73
	s_delay_alu instid0(VALU_DEP_1) | instskip(SKIP_2) | instid1(VALU_DEP_1)
	v_fmac_f32_e32 v77, v94, v74
	s_waitcnt_depctr 0xfff
	v_fmac_f32_e32 v77, v96, v75
	v_add_f32_e32 v74, 0x358637bd, v77
	s_delay_alu instid0(VALU_DEP_1) | instskip(SKIP_1) | instid1(VALU_DEP_2)
	v_div_scale_f32 v98, null, v74, v74, 1.0
	v_div_scale_f32 v99, vcc_lo, 1.0, v74, 1.0
	v_rcp_f32_e32 v103, v98
	s_waitcnt_depctr 0xfff
	v_fma_f32 v70, -v98, v103, 1.0
	s_delay_alu instid0(VALU_DEP_1) | instskip(SKIP_2) | instid1(VALU_DEP_2)
	v_fmac_f32_e32 v103, v70, v103
	v_cndmask_b32_e64 v70, v71, v101, s4
	v_cmp_eq_u32_e64 s4, 6, v69
	v_cndmask_b32_e64 v71, v70, v100, s5
	s_delay_alu instid0(VALU_DEP_4) | instskip(NEXT) | instid1(VALU_DEP_2)
	v_dual_mul_f32 v101, v99, v103 :: v_dual_lshlrev_b32 v70, 2, v66
	v_cndmask_b32_e64 v71, v71, v97, s6
	s_delay_alu instid0(VALU_DEP_2) | instskip(NEXT) | instid1(VALU_DEP_3)
	v_or_b32_e32 v72, 1, v70
	v_fma_f32 v100, -v98, v101, v99
	v_cmp_eq_u32_e64 s5, 1, v70
	v_cmp_eq_u32_e64 s6, 2, v70
	v_cndmask_b32_e64 v95, v71, v95, s7
	v_or_b32_e32 v71, 3, v70
	v_fmac_f32_e32 v101, v100, v103
	v_cmp_eq_u32_e64 s10, 1, v72
	v_cmp_eq_u32_e64 s13, 2, v72
	v_cndmask_b32_e64 v94, v95, v94, s4
	v_cmp_eq_u32_e64 s12, 1, v71
	v_fma_f32 v97, -v98, v101, v99
	v_cmp_eq_u32_e64 s17, 2, v71
	v_cmp_eq_u32_e64 s15, 3, v72
	v_cndmask_b32_e64 v94, v94, v96, s8
	v_cmp_eq_u32_e64 s19, 3, v71
	v_div_fmas_f32 v95, v97, v103, v101
	v_cmp_eq_u32_e32 vcc_lo, 3, v70
	v_cmp_eq_u32_e64 s4, 4, v70
	v_cmp_eq_u32_e64 s20, 4, v72
	;; [unrolled: 1-line block ×3, first 2 shown]
	v_div_fixup_f32 v95, v95, v74, 1.0
	v_lshlrev_b32_e32 v73, 6, v68
	v_cmp_eq_u32_e64 s7, 5, v70
	v_cmp_eq_u32_e64 s21, 5, v72
	;; [unrolled: 1-line block ×3, first 2 shown]
	v_mul_f32_e32 v102, v94, v95
	v_lshl_or_b32 v75, v69, 11, v73
	v_or_b32_e32 v69, 2, v70
	v_cmp_eq_u32_e64 s26, 6, v72
	v_cmp_eq_u32_e64 s28, 6, v71
	v_fma_mixlo_f16 v94, v102, v79, 0
	v_fma_mixlo_f16 v95, v102, v81, 0
	;; [unrolled: 1-line block ×8, first 2 shown]
	v_lshl_or_b32 v74, v66, 4, v75
	v_fma_mixhi_f16 v94, v102, v78, 0
	v_fma_mixhi_f16 v95, v102, v80, 0
	;; [unrolled: 1-line block ×8, first 2 shown]
	ds_store_b128 v74, v[94:97]
	ds_store_b128 v74, v[98:101] offset:1024
	s_waitcnt lgkmcnt(0)
	s_barrier
	buffer_gl0_inv
	ds_load_b128 v[78:81], v75
	ds_load_b128 v[82:85], v75 offset:16
	ds_load_b128 v[86:89], v75 offset:1024
	;; [unrolled: 1-line block ×3, first 2 shown]
	v_cmp_eq_u32_e64 s11, 1, v69
	v_cmp_eq_u32_e64 s16, 2, v69
	;; [unrolled: 1-line block ×11, first 2 shown]
	s_waitcnt lgkmcnt(3)
	v_lshrrev_b32_e32 v94, 16, v78
	s_waitcnt lgkmcnt(2)
	v_lshrrev_b32_e32 v98, 16, v82
	;; [unrolled: 2-line block ×4, first 2 shown]
	v_lshrrev_b32_e32 v95, 16, v79
	v_cndmask_b32_e64 v110, v78, v94, s5
	v_cndmask_b32_e64 v111, v82, v98, s5
	;; [unrolled: 1-line block ×8, first 2 shown]
	v_lshrrev_b32_e32 v99, 16, v83
	v_cndmask_b32_e64 v94, v86, v102, s5
	v_cndmask_b32_e64 v98, v90, v106, s5
	;; [unrolled: 1-line block ×15, first 2 shown]
	v_lshrrev_b32_e32 v103, 16, v87
	v_lshrrev_b32_e32 v107, 16, v91
	v_cndmask_b32_e64 v113, v115, v83, s16
	v_cndmask_b32_e64 v82, v94, v87, s6
	;; [unrolled: 1-line block ×7, first 2 shown]
	v_cndmask_b32_e32 v90, v102, v95, vcc_lo
	v_cndmask_b32_e32 v102, v106, v99, vcc_lo
	v_cndmask_b32_e64 v106, v110, v95, s15
	v_cndmask_b32_e64 v110, v111, v99, s15
	;; [unrolled: 1-line block ×4, first 2 shown]
	v_lshrrev_b32_e32 v96, 16, v80
	v_lshrrev_b32_e32 v100, 16, v84
	v_cndmask_b32_e64 v111, v112, v95, s18
	v_cndmask_b32_e64 v112, v113, v99, s18
	v_cndmask_b32_e32 v82, v82, v103, vcc_lo
	v_cndmask_b32_e32 v83, v83, v107, vcc_lo
	v_cndmask_b32_e64 v94, v94, v103, s15
	v_cndmask_b32_e64 v90, v90, v80, s4
	v_cndmask_b32_e64 v95, v102, v84, s4
	v_cndmask_b32_e64 v99, v106, v80, s20
	v_cndmask_b32_e64 v102, v110, v84, s20
	v_cndmask_b32_e64 v78, v78, v80, s23
	v_cndmask_b32_e64 v79, v79, v84, s23
	v_lshrrev_b32_e32 v104, 16, v88
	v_cndmask_b32_e64 v106, v111, v80, s22
	v_cndmask_b32_e64 v110, v112, v84, s22
	;; [unrolled: 1-line block ×11, first 2 shown]
	v_lshrrev_b32_e32 v97, 16, v81
	v_lshrrev_b32_e32 v101, 16, v85
	v_cndmask_b32_e64 v99, v106, v96, s24
	v_cndmask_b32_e64 v102, v110, v100, s24
	;; [unrolled: 1-line block ×7, first 2 shown]
	v_lshrrev_b32_e32 v105, 16, v89
	v_cndmask_b32_e64 v80, v80, v104, s7
	v_cndmask_b32_e64 v84, v84, v81, s8
	;; [unrolled: 1-line block ×16, first 2 shown]
	v_perm_b32 v81, v79, v78, 0x5040100
	v_perm_b32 v79, v95, v85, 0x5040100
	v_cndmask_b32_e64 v78, v119, v91, s16
	v_cndmask_b32_e64 v85, v117, v91, s13
	;; [unrolled: 1-line block ×3, first 2 shown]
	v_perm_b32 v80, v94, v90, 0x5040100
	v_cndmask_b32_e64 v90, v98, v103, s18
	v_cndmask_b32_e64 v86, v86, v103, s19
	;; [unrolled: 1-line block ×5, first 2 shown]
	v_lshrrev_b32_e32 v108, 16, v92
	v_cndmask_b32_e64 v90, v90, v88, s22
	v_cndmask_b32_e64 v86, v86, v88, s23
	;; [unrolled: 1-line block ×11, first 2 shown]
	v_lshrrev_b32_e32 v109, 16, v93
	v_cndmask_b32_e64 v82, v82, v93, s8
	v_cndmask_b32_e64 v88, v88, v89, s27
	;; [unrolled: 1-line block ×12, first 2 shown]
	v_perm_b32 v78, v84, v83, 0x5040100
	v_perm_b32 v85, v87, v86, 0x5040100
	;; [unrolled: 1-line block ×5, first 2 shown]
	s_mul_i32 s9, s35, 3
	s_mov_b32 s4, exec_lo
	ds_store_b128 v74, v[78:81]
	ds_store_b128 v74, v[82:85] offset:1024
	v_cmpx_gt_u32_e32 3, v0
	s_cbranch_execz .LBB888_14
; %bb.13:
	s_mul_i32 s5, s9, s34
	s_load_b128 s[16:19], s[0:1], 0x58
	v_add3_u32 v68, s5, s33, v68
	s_delay_alu instid0(VALU_DEP_1) | instskip(NEXT) | instid1(VALU_DEP_1)
	v_mad_u64_u32 v[78:79], null, v68, s36, s[14:15]
	v_ashrrev_i32_e32 v79, 31, v78
	s_delay_alu instid0(VALU_DEP_1) | instskip(SKIP_1) | instid1(VALU_DEP_1)
	v_lshlrev_b64 v[78:79], 2, v[78:79]
	s_waitcnt lgkmcnt(0)
	v_add_co_u32 v80, vcc_lo, s18, v78
	s_delay_alu instid0(VALU_DEP_2)
	v_add_co_ci_u32_e32 v81, vcc_lo, s19, v79, vcc_lo
	v_add_co_u32 v78, vcc_lo, s16, v78
	v_add_co_ci_u32_e32 v79, vcc_lo, s17, v79, vcc_lo
	global_store_b32 v[80:81], v76, off
	global_store_b32 v[78:79], v77, off
.LBB888_14:
	s_or_b32 exec_lo, exec_lo, s4
	s_waitcnt lgkmcnt(0)
	s_waitcnt_vscnt null, 0x0
	s_barrier
	buffer_gl0_inv
	ds_load_b128 v[84:87], v73
	ds_load_b128 v[88:91], v73 offset:16
	ds_load_b128 v[96:99], v73 offset:2064
	;; [unrolled: 1-line block ×5, first 2 shown]
	v_cmp_eq_u32_e32 vcc_lo, 1, v70
	v_mov_b32_e32 v76, 0
	ds_load_b128 v[112:115], v73 offset:6160
	ds_load_b128 v[108:111], v73 offset:6144
	;; [unrolled: 1-line block ×4, first 2 shown]
	v_cmp_eq_u32_e64 s5, 1, v69
	v_cmp_eq_u32_e64 s4, 1, v72
	;; [unrolled: 1-line block ×3, first 2 shown]
	v_mov_b32_e32 v77, v76
	v_mov_b32_e32 v78, v76
	;; [unrolled: 1-line block ×7, first 2 shown]
	v_cmp_eq_u32_e64 s7, 3, v72
	v_cmp_eq_u32_e64 s8, 7, v72
	s_waitcnt lgkmcnt(8)
	s_delay_alu instid0(VALU_DEP_3)
	v_wmma_f32_16x16x16_f16 v[76:83], v[49:56], v[84:91], v[76:83]
	ds_load_b128 v[53:56], v73 offset:10256
	ds_load_b128 v[49:52], v73 offset:10240
	s_waitcnt lgkmcnt(8)
	v_wmma_f32_16x16x16_f16 v[76:83], v[41:48], v[92:99], v[76:83]
	ds_load_b128 v[45:48], v73 offset:12304
	ds_load_b128 v[41:44], v73 offset:12288
	s_waitcnt lgkmcnt(8)
	;; [unrolled: 4-line block ×3, first 2 shown]
	s_barrier
	buffer_gl0_inv
	v_wmma_f32_16x16x16_f16 v[76:83], v[1:8], v[108:115], v[76:83]
	s_delay_alu instid0(VALU_DEP_1) | instskip(NEXT) | instid1(VALU_DEP_1)
	v_wmma_f32_16x16x16_f16 v[76:83], v[9:16], v[116:123], v[76:83]
	v_wmma_f32_16x16x16_f16 v[76:83], v[17:24], v[49:56], v[76:83]
	s_delay_alu instid0(VALU_DEP_1) | instskip(NEXT) | instid1(VALU_DEP_1)
	v_wmma_f32_16x16x16_f16 v[76:83], v[25:32], v[41:48], v[76:83]
	v_wmma_f32_16x16x16_f16 v[76:83], v[57:64], v[33:40], v[76:83]
	s_delay_alu instid0(VALU_DEP_1) | instskip(NEXT) | instid1(VALU_DEP_2)
	v_cvt_f16_f32_e32 v1, v76
	v_cvt_f16_f32_e32 v2, v77
	s_delay_alu instid0(VALU_DEP_3) | instskip(NEXT) | instid1(VALU_DEP_4)
	v_cvt_f16_f32_e32 v3, v78
	v_cvt_f16_f32_e32 v4, v79
	;; [unrolled: 1-line block ×6, first 2 shown]
	v_pack_b32_f16 v1, v1, v2
	v_pack_b32_f16 v2, v3, v4
	;; [unrolled: 1-line block ×3, first 2 shown]
	s_delay_alu instid0(VALU_DEP_4)
	v_pack_b32_f16 v4, v7, v8
	ds_store_b128 v74, v[1:4]
	s_waitcnt lgkmcnt(0)
	s_barrier
	buffer_gl0_inv
	ds_load_b128 v[1:4], v75
	ds_load_b128 v[5:8], v75 offset:16
	s_waitcnt lgkmcnt(1)
	v_lshrrev_b32_e32 v9, 16, v1
	s_waitcnt lgkmcnt(0)
	v_lshrrev_b32_e32 v13, 16, v5
	v_lshrrev_b32_e32 v10, 16, v2
	;; [unrolled: 1-line block ×4, first 2 shown]
	v_cndmask_b32_e32 v17, v1, v9, vcc_lo
	v_cndmask_b32_e32 v18, v5, v13, vcc_lo
	v_cndmask_b32_e64 v21, v1, v9, s5
	v_cmp_eq_u32_e32 vcc_lo, 1, v71
	v_cndmask_b32_e64 v22, v5, v13, s5
	v_cmp_eq_u32_e64 s5, 2, v70
	v_cndmask_b32_e64 v19, v1, v9, s4
	v_cndmask_b32_e64 v20, v5, v13, s4
	v_cndmask_b32_e32 v1, v1, v9, vcc_lo
	v_cmp_eq_u32_e64 s4, 2, v71
	v_cndmask_b32_e32 v5, v5, v13, vcc_lo
	v_cndmask_b32_e64 v9, v17, v2, s5
	v_cmp_eq_u32_e32 vcc_lo, 3, v70
	v_cndmask_b32_e64 v13, v18, v6, s5
	v_cmp_eq_u32_e64 s5, 2, v69
	v_cndmask_b32_e64 v17, v19, v2, s6
	v_cndmask_b32_e64 v18, v20, v6, s6
	v_cmp_eq_u32_e64 s6, 3, v69
	v_cndmask_b32_e64 v1, v1, v2, s4
	v_cndmask_b32_e64 v19, v21, v2, s5
	;; [unrolled: 1-line block ×4, first 2 shown]
	v_cndmask_b32_e32 v5, v9, v10, vcc_lo
	v_cndmask_b32_e32 v6, v13, v14, vcc_lo
	v_cmp_eq_u32_e32 vcc_lo, 3, v71
	v_cndmask_b32_e64 v9, v17, v10, s7
	v_cndmask_b32_e64 v13, v18, v14, s7
	;; [unrolled: 1-line block ×3, first 2 shown]
	v_cmp_eq_u32_e64 s5, 4, v70
	v_cndmask_b32_e32 v1, v1, v10, vcc_lo
	v_cndmask_b32_e32 v2, v2, v14, vcc_lo
	v_cmp_eq_u32_e32 vcc_lo, 4, v72
	v_lshrrev_b32_e32 v15, 16, v7
	v_lshrrev_b32_e32 v16, 16, v8
	v_cndmask_b32_e64 v17, v19, v10, s6
	v_cmp_eq_u32_e64 s4, 4, v71
	v_cndmask_b32_e64 v5, v5, v3, s5
	v_cndmask_b32_e64 v6, v6, v7, s5
	v_cndmask_b32_e32 v9, v9, v3, vcc_lo
	v_cmp_eq_u32_e64 s5, 5, v72
	v_cndmask_b32_e32 v10, v13, v7, vcc_lo
	v_cmp_eq_u32_e32 vcc_lo, 4, v69
	v_cmp_eq_u32_e64 s6, 5, v70
	v_cndmask_b32_e64 v2, v2, v7, s4
	v_cndmask_b32_e64 v9, v9, v11, s5
	;; [unrolled: 1-line block ×3, first 2 shown]
	v_cndmask_b32_e32 v13, v17, v3, vcc_lo
	v_cmp_eq_u32_e64 s5, 5, v69
	v_cndmask_b32_e32 v14, v18, v7, vcc_lo
	v_cndmask_b32_e64 v1, v1, v3, s4
	v_cmp_eq_u32_e32 vcc_lo, 5, v71
	v_lshrrev_b32_e32 v12, 16, v4
	v_cndmask_b32_e64 v13, v13, v11, s5
	v_cndmask_b32_e64 v3, v14, v15, s5
	v_cmp_eq_u32_e64 s5, 6, v71
	v_cndmask_b32_e32 v1, v1, v11, vcc_lo
	v_cndmask_b32_e64 v5, v5, v11, s6
	v_cmp_eq_u32_e64 s7, 6, v70
	v_cndmask_b32_e64 v6, v6, v15, s6
	v_cmp_eq_u32_e64 s6, 6, v72
	v_cmp_eq_u32_e64 s4, 6, v69
	v_cndmask_b32_e64 v1, v1, v4, s5
	v_cndmask_b32_e32 v2, v2, v15, vcc_lo
	v_cmp_eq_u32_e32 vcc_lo, 7, v71
	v_cndmask_b32_e64 v5, v5, v4, s7
	v_cndmask_b32_e64 v9, v9, v4, s6
	;; [unrolled: 1-line block ×3, first 2 shown]
	v_cmp_eq_u32_e64 s7, 7, v70
	v_cndmask_b32_e32 v1, v1, v12, vcc_lo
	v_cndmask_b32_e64 v7, v13, v4, s4
	v_cndmask_b32_e64 v3, v3, v8, s4
	;; [unrolled: 1-line block ×3, first 2 shown]
	v_cmp_eq_u32_e64 s4, 7, v69
	v_cndmask_b32_e64 v4, v10, v8, s6
	v_cndmask_b32_e64 v5, v5, v12, s7
	;; [unrolled: 1-line block ×3, first 2 shown]
	v_cndmask_b32_e32 v2, v2, v16, vcc_lo
	v_cndmask_b32_e64 v7, v7, v12, s4
	v_cndmask_b32_e64 v3, v3, v16, s4
	;; [unrolled: 1-line block ×4, first 2 shown]
	v_cmp_gt_u32_e32 vcc_lo, 32, v0
	v_perm_b32 v4, v2, v1, 0x5040100
	v_perm_b32 v3, v3, v7, 0x5040100
	;; [unrolled: 1-line block ×4, first 2 shown]
	s_and_b32 s2, vcc_lo, s2
	ds_store_b128 v74, v[1:4]
	s_waitcnt lgkmcnt(0)
	s_barrier
	buffer_gl0_inv
	s_and_saveexec_b32 s4, s2
	s_cbranch_execz .LBB888_2
; %bb.15:
	s_load_b64 s[4:5], s[0:1], 0x68
	v_lshlrev_b32_e32 v0, 10, v0
	v_lshlrev_b32_e32 v2, 4, v67
	v_add_nc_u32_e32 v1, s33, v66
	s_lshl_b32 s0, s36, 6
	s_delay_alu instid0(SALU_CYCLE_1) | instskip(NEXT) | instid1(VALU_DEP_2)
	s_mul_i32 s1, s0, s34
	v_and_or_b32 v0, 0x3800, v0, v2
	s_mul_i32 s6, s1, s9
	v_mul_lo_u32 v1, v1, s0
	s_ashr_i32 s7, s6, 31
	s_delay_alu instid0(VALU_DEP_2) | instskip(SKIP_1) | instid1(VALU_DEP_2)
	v_lshl_or_b32 v3, v66, 6, v0
	s_lshl_b64 s[6:7], s[6:7], 1
	v_ashrrev_i32_e32 v2, 31, v1
	ds_load_b128 v[3:6], v3
	s_waitcnt lgkmcnt(0)
	s_add_u32 s1, s4, s6
	s_addc_u32 s2, s5, s7
	s_lshl_b32 s4, s14, 6
	v_lshlrev_b64 v[7:8], 1, v[1:2]
	s_ashr_i32 s5, s4, 31
	s_delay_alu instid0(SALU_CYCLE_1) | instskip(NEXT) | instid1(SALU_CYCLE_1)
	s_lshl_b64 s[4:5], s[4:5], 1
	s_add_u32 s1, s1, s4
	s_addc_u32 s2, s2, s5
	v_add_co_u32 v1, s1, s1, v65
	s_delay_alu instid0(VALU_DEP_1) | instskip(NEXT) | instid1(VALU_DEP_2)
	v_add_co_ci_u32_e64 v2, null, s2, 0, s1
	v_add_co_u32 v7, vcc_lo, v1, v7
	s_delay_alu instid0(VALU_DEP_2)
	v_add_co_ci_u32_e32 v8, vcc_lo, v2, v8, vcc_lo
	global_store_b128 v[7:8], v[3:6], off
	s_and_b32 exec_lo, exec_lo, s3
	s_cbranch_execz .LBB888_2
; %bb.16:
	ds_load_b128 v[3:6], v0 offset:128
	s_add_i32 s1, s33, 2
	s_delay_alu instid0(SALU_CYCLE_1) | instskip(NEXT) | instid1(SALU_CYCLE_1)
	s_mul_i32 s0, s1, s0
	s_ashr_i32 s1, s0, 31
	s_delay_alu instid0(SALU_CYCLE_1) | instskip(NEXT) | instid1(SALU_CYCLE_1)
	s_lshl_b64 s[0:1], s[0:1], 1
	v_add_co_u32 v0, vcc_lo, v1, s0
	v_add_co_ci_u32_e32 v1, vcc_lo, s1, v2, vcc_lo
	s_waitcnt lgkmcnt(0)
	global_store_b128 v[0:1], v[3:6], off
	s_nop 0
	s_sendmsg sendmsg(MSG_DEALLOC_VGPRS)
	s_endpgm
	.section	.rodata,"a",@progbits
	.p2align	6, 0x0
	.amdhsa_kernel _Z39paged_attention_ll4mi_QKV_mfma16_kernelIDF16_hLN4vllm18Fp8KVCacheDataTypeE1EhLi32ELi64ELi256ELb0ELi3EL8MFMAType1EEvPKT_PKT0_S8_ifPKiSA_SA_iPKfiiiPfSD_PS3_PT2_iSC_SC_
		.amdhsa_group_segment_fixed_size 17472
		.amdhsa_private_segment_fixed_size 0
		.amdhsa_kernarg_size 400
		.amdhsa_user_sgpr_count 13
		.amdhsa_user_sgpr_dispatch_ptr 0
		.amdhsa_user_sgpr_queue_ptr 0
		.amdhsa_user_sgpr_kernarg_segment_ptr 1
		.amdhsa_user_sgpr_dispatch_id 0
		.amdhsa_user_sgpr_private_segment_size 0
		.amdhsa_wavefront_size32 1
		.amdhsa_uses_dynamic_stack 0
		.amdhsa_enable_private_segment 0
		.amdhsa_system_sgpr_workgroup_id_x 1
		.amdhsa_system_sgpr_workgroup_id_y 1
		.amdhsa_system_sgpr_workgroup_id_z 1
		.amdhsa_system_sgpr_workgroup_info 0
		.amdhsa_system_vgpr_workitem_id 0
		.amdhsa_next_free_vgpr 146
		.amdhsa_next_free_sgpr 37
		.amdhsa_reserve_vcc 1
		.amdhsa_float_round_mode_32 0
		.amdhsa_float_round_mode_16_64 0
		.amdhsa_float_denorm_mode_32 3
		.amdhsa_float_denorm_mode_16_64 3
		.amdhsa_dx10_clamp 1
		.amdhsa_ieee_mode 1
		.amdhsa_fp16_overflow 0
		.amdhsa_workgroup_processor_mode 1
		.amdhsa_memory_ordered 1
		.amdhsa_forward_progress 0
		.amdhsa_shared_vgpr_count 0
		.amdhsa_exception_fp_ieee_invalid_op 0
		.amdhsa_exception_fp_denorm_src 0
		.amdhsa_exception_fp_ieee_div_zero 0
		.amdhsa_exception_fp_ieee_overflow 0
		.amdhsa_exception_fp_ieee_underflow 0
		.amdhsa_exception_fp_ieee_inexact 0
		.amdhsa_exception_int_div_zero 0
	.end_amdhsa_kernel
	.section	.text._Z39paged_attention_ll4mi_QKV_mfma16_kernelIDF16_hLN4vllm18Fp8KVCacheDataTypeE1EhLi32ELi64ELi256ELb0ELi3EL8MFMAType1EEvPKT_PKT0_S8_ifPKiSA_SA_iPKfiiiPfSD_PS3_PT2_iSC_SC_,"axG",@progbits,_Z39paged_attention_ll4mi_QKV_mfma16_kernelIDF16_hLN4vllm18Fp8KVCacheDataTypeE1EhLi32ELi64ELi256ELb0ELi3EL8MFMAType1EEvPKT_PKT0_S8_ifPKiSA_SA_iPKfiiiPfSD_PS3_PT2_iSC_SC_,comdat
.Lfunc_end888:
	.size	_Z39paged_attention_ll4mi_QKV_mfma16_kernelIDF16_hLN4vllm18Fp8KVCacheDataTypeE1EhLi32ELi64ELi256ELb0ELi3EL8MFMAType1EEvPKT_PKT0_S8_ifPKiSA_SA_iPKfiiiPfSD_PS3_PT2_iSC_SC_, .Lfunc_end888-_Z39paged_attention_ll4mi_QKV_mfma16_kernelIDF16_hLN4vllm18Fp8KVCacheDataTypeE1EhLi32ELi64ELi256ELb0ELi3EL8MFMAType1EEvPKT_PKT0_S8_ifPKiSA_SA_iPKfiiiPfSD_PS3_PT2_iSC_SC_
                                        ; -- End function
	.section	.AMDGPU.csdata,"",@progbits
; Kernel info:
; codeLenInByte = 6420
; NumSgprs: 39
; NumVgprs: 146
; ScratchSize: 0
; MemoryBound: 0
; FloatMode: 240
; IeeeMode: 1
; LDSByteSize: 17472 bytes/workgroup (compile time only)
; SGPRBlocks: 4
; VGPRBlocks: 18
; NumSGPRsForWavesPerEU: 39
; NumVGPRsForWavesPerEU: 146
; Occupancy: 9
; WaveLimiterHint : 1
; COMPUTE_PGM_RSRC2:SCRATCH_EN: 0
; COMPUTE_PGM_RSRC2:USER_SGPR: 13
; COMPUTE_PGM_RSRC2:TRAP_HANDLER: 0
; COMPUTE_PGM_RSRC2:TGID_X_EN: 1
; COMPUTE_PGM_RSRC2:TGID_Y_EN: 1
; COMPUTE_PGM_RSRC2:TGID_Z_EN: 1
; COMPUTE_PGM_RSRC2:TIDIG_COMP_CNT: 0
	.section	.text._Z39paged_attention_ll4mi_QKV_mfma16_kernelIDF16_hLN4vllm18Fp8KVCacheDataTypeE1EhLi32ELi64ELi256ELb0ELi4EL8MFMAType1EEvPKT_PKT0_S8_ifPKiSA_SA_iPKfiiiPfSD_PS3_PT2_iSC_SC_,"axG",@progbits,_Z39paged_attention_ll4mi_QKV_mfma16_kernelIDF16_hLN4vllm18Fp8KVCacheDataTypeE1EhLi32ELi64ELi256ELb0ELi4EL8MFMAType1EEvPKT_PKT0_S8_ifPKiSA_SA_iPKfiiiPfSD_PS3_PT2_iSC_SC_,comdat
	.protected	_Z39paged_attention_ll4mi_QKV_mfma16_kernelIDF16_hLN4vllm18Fp8KVCacheDataTypeE1EhLi32ELi64ELi256ELb0ELi4EL8MFMAType1EEvPKT_PKT0_S8_ifPKiSA_SA_iPKfiiiPfSD_PS3_PT2_iSC_SC_ ; -- Begin function _Z39paged_attention_ll4mi_QKV_mfma16_kernelIDF16_hLN4vllm18Fp8KVCacheDataTypeE1EhLi32ELi64ELi256ELb0ELi4EL8MFMAType1EEvPKT_PKT0_S8_ifPKiSA_SA_iPKfiiiPfSD_PS3_PT2_iSC_SC_
	.globl	_Z39paged_attention_ll4mi_QKV_mfma16_kernelIDF16_hLN4vllm18Fp8KVCacheDataTypeE1EhLi32ELi64ELi256ELb0ELi4EL8MFMAType1EEvPKT_PKT0_S8_ifPKiSA_SA_iPKfiiiPfSD_PS3_PT2_iSC_SC_
	.p2align	8
	.type	_Z39paged_attention_ll4mi_QKV_mfma16_kernelIDF16_hLN4vllm18Fp8KVCacheDataTypeE1EhLi32ELi64ELi256ELb0ELi4EL8MFMAType1EEvPKT_PKT0_S8_ifPKiSA_SA_iPKfiiiPfSD_PS3_PT2_iSC_SC_,@function
_Z39paged_attention_ll4mi_QKV_mfma16_kernelIDF16_hLN4vllm18Fp8KVCacheDataTypeE1EhLi32ELi64ELi256ELb0ELi4EL8MFMAType1EEvPKT_PKT0_S8_ifPKiSA_SA_iPKfiiiPfSD_PS3_PT2_iSC_SC_: ; @_Z39paged_attention_ll4mi_QKV_mfma16_kernelIDF16_hLN4vllm18Fp8KVCacheDataTypeE1EhLi32ELi64ELi256ELb0ELi4EL8MFMAType1EEvPKT_PKT0_S8_ifPKiSA_SA_iPKfiiiPfSD_PS3_PT2_iSC_SC_
; %bb.0:
	s_load_b64 s[2:3], s[0:1], 0x30
	s_mov_b32 s34, s13
	s_waitcnt lgkmcnt(0)
	s_cmp_lg_u64 s[2:3], 0
	s_cselect_b32 s8, -1, 0
	s_ashr_i32 s35, s13, 31
	s_cmp_eq_u64 s[2:3], 0
	s_cbranch_scc1 .LBB889_3
; %bb.1:
	s_lshl_b64 s[4:5], s[34:35], 2
	s_delay_alu instid0(SALU_CYCLE_1) | instskip(SKIP_4) | instid1(SALU_CYCLE_1)
	s_add_u32 s4, s2, s4
	s_addc_u32 s5, s3, s5
	s_load_b64 s[4:5], s[4:5], 0x0
	s_waitcnt lgkmcnt(0)
	s_sub_i32 s4, s5, s4
	s_cmp_eq_u32 s4, 1
	s_cselect_b32 s4, -1, 0
	s_delay_alu instid0(SALU_CYCLE_1)
	s_and_not1_b32 vcc_lo, exec_lo, s4
	s_cbranch_vccz .LBB889_4
.LBB889_2:
	s_endpgm
.LBB889_3:
.LBB889_4:
	s_load_b64 s[4:5], s[0:1], 0x28
	s_lshl_b64 s[6:7], s[34:35], 2
	s_waitcnt lgkmcnt(0)
	s_add_u32 s4, s4, s6
	s_addc_u32 s5, s5, s7
	s_lshl_b32 s12, s14, 8
	s_load_b32 s24, s[4:5], 0x0
	s_waitcnt lgkmcnt(0)
	s_cmp_ge_i32 s12, s24
	s_cbranch_scc1 .LBB889_2
; %bb.5:
	s_clause 0x1
	s_load_b128 s[20:23], s[0:1], 0x8
	s_load_b64 s[4:5], s[0:1], 0x20
	s_and_not1_b32 vcc_lo, exec_lo, s8
	s_cbranch_vccnz .LBB889_7
; %bb.6:
	s_add_u32 s2, s2, s6
	s_addc_u32 s3, s3, s7
	s_load_b32 s3, s[2:3], 0x0
	s_branch .LBB889_8
.LBB889_7:
	s_mov_b32 s3, s34
.LBB889_8:
	s_load_b128 s[16:19], s[0:1], 0x48
	v_and_b32_e32 v69, 15, v0
	v_cmp_gt_u32_e32 vcc_lo, 64, v0
	v_lshrrev_b32_e32 v68, 5, v0
	v_and_b32_e32 v70, 31, v0
	v_and_b32_e32 v66, 1, v0
	v_lshlrev_b32_e32 v1, 3, v69
	v_cmp_gt_u32_e64 s2, 8, v69
	v_bfe_u32 v67, v0, 4, 1
	s_lshl_b32 s31, s15, 2
	s_delay_alu instid0(VALU_DEP_3) | instskip(NEXT) | instid1(VALU_DEP_3)
	v_lshlrev_b32_e32 v65, 1, v1
	s_and_b32 s7, vcc_lo, s2
	s_delay_alu instid0(SALU_CYCLE_1)
	s_and_saveexec_b32 s6, s7
	s_cbranch_execz .LBB889_10
; %bb.9:
	v_lshl_or_b32 v5, v68, 1, v67
	s_load_b64 s[8:9], s[0:1], 0x0
	s_waitcnt lgkmcnt(0)
	s_mul_hi_i32 s11, s3, s16
	s_mul_i32 s10, s3, s16
	v_lshlrev_b32_e32 v6, 10, v69
	v_or_b32_e32 v1, s31, v5
	s_lshl_b64 s[10:11], s[10:11], 1
	v_lshlrev_b32_e32 v5, 6, v5
	v_lshlrev_b32_e32 v7, 10, v66
	v_and_b32_e32 v6, 0x3800, v6
	v_lshlrev_b32_e32 v1, 6, v1
	s_delay_alu instid0(VALU_DEP_2) | instskip(NEXT) | instid1(VALU_DEP_2)
	v_or3_b32 v5, v6, v7, v5
	v_ashrrev_i32_e32 v2, 31, v1
	s_delay_alu instid0(VALU_DEP_1) | instskip(SKIP_2) | instid1(VALU_DEP_1)
	v_lshlrev_b64 v[1:2], 1, v[1:2]
	s_add_u32 s3, s8, s10
	s_addc_u32 s7, s9, s11
	v_add_co_u32 v1, vcc_lo, s3, v1
	s_delay_alu instid0(VALU_DEP_2) | instskip(NEXT) | instid1(VALU_DEP_2)
	v_add_co_ci_u32_e32 v2, vcc_lo, s7, v2, vcc_lo
	v_add_co_u32 v1, vcc_lo, v1, v65
	s_delay_alu instid0(VALU_DEP_2)
	v_add_co_ci_u32_e32 v2, vcc_lo, 0, v2, vcc_lo
	global_load_b128 v[1:4], v[1:2], off
	s_waitcnt vmcnt(0)
	ds_store_b128 v5, v[1:4]
.LBB889_10:
	s_or_b32 exec_lo, exec_lo, s6
	v_and_b32_e32 v1, 0xef, v0
	s_waitcnt lgkmcnt(0)
	s_add_i32 s3, s24, 31
	s_clause 0x1
	s_load_b32 s6, s[0:1], 0x38
	s_load_b32 s33, s[0:1], 0x98
	s_ashr_i32 s7, s3, 31
	v_add_nc_u32_e32 v1, s12, v1
	s_lshr_b32 s7, s7, 27
	s_load_b32 s19, s[0:1], 0x1c
	s_add_i32 s3, s3, s7
	s_waitcnt lgkmcnt(0)
	v_ashrrev_i32_e32 v2, 31, v1
	v_or_b32_e32 v3, 16, v1
	s_ashr_i32 s3, s3, 5
	v_cmp_gt_i32_e32 vcc_lo, s24, v1
	s_add_i32 s3, s3, -1
	v_lshrrev_b32_e32 v2, 27, v2
	s_barrier
	buffer_gl0_inv
	s_mul_i32 s27, s15, s18
	v_add_nc_u32_e32 v4, v1, v2
	s_mul_i32 s6, s34, s6
	s_delay_alu instid0(SALU_CYCLE_1) | instskip(NEXT) | instid1(VALU_DEP_1)
	s_ashr_i32 s7, s6, 31
	v_ashrrev_i32_e32 v4, 5, v4
	v_add_nc_u32_e32 v2, v3, v2
	s_lshl_b64 s[6:7], s[6:7], 2
	s_delay_alu instid0(SALU_CYCLE_1) | instskip(NEXT) | instid1(VALU_DEP_2)
	s_add_u32 s26, s4, s6
	v_cndmask_b32_e32 v1, s3, v4, vcc_lo
	s_delay_alu instid0(VALU_DEP_2)
	v_ashrrev_i32_e32 v2, 5, v2
	v_cmp_gt_i32_e32 vcc_lo, s24, v3
	s_addc_u32 s25, s5, s7
	s_ashr_i32 s28, s27, 31
	s_add_u32 s4, s20, s27
	s_addc_u32 s5, s21, s28
	v_cndmask_b32_e32 v3, s3, v2, vcc_lo
	v_ashrrev_i32_e32 v2, 31, v1
	s_lshl_b32 s6, s14, 3
	s_delay_alu instid0(SALU_CYCLE_1) | instskip(NEXT) | instid1(VALU_DEP_2)
	s_ashr_i32 s7, s6, 31
	v_ashrrev_i32_e32 v4, 31, v3
	s_delay_alu instid0(VALU_DEP_2) | instskip(SKIP_1) | instid1(SALU_CYCLE_1)
	v_lshlrev_b64 v[1:2], 2, v[1:2]
	s_lshl_b64 s[6:7], s[6:7], 2
	s_add_u32 s6, s26, s6
	s_delay_alu instid0(VALU_DEP_2) | instskip(SKIP_1) | instid1(VALU_DEP_2)
	v_lshlrev_b64 v[3:4], 2, v[3:4]
	s_addc_u32 s7, s25, s7
	v_add_co_u32 v1, vcc_lo, s26, v1
	v_add_co_ci_u32_e32 v2, vcc_lo, s25, v2, vcc_lo
	s_delay_alu instid0(VALU_DEP_3) | instskip(NEXT) | instid1(VALU_DEP_4)
	v_add_co_u32 v3, vcc_lo, s26, v3
	v_add_co_ci_u32_e32 v4, vcc_lo, s25, v4, vcc_lo
	s_clause 0x1
	global_load_b32 v5, v[1:2], off
	global_load_b32 v6, v[3:4], off
	s_or_b32 s8, s12, 32
	s_delay_alu instid0(SALU_CYCLE_1) | instskip(SKIP_2) | instid1(SALU_CYCLE_1)
	s_ashr_i32 s9, s8, 5
	s_cmp_lt_i32 s8, s24
	s_cselect_b32 s8, s9, s3
	s_ashr_i32 s9, s8, 31
	s_delay_alu instid0(SALU_CYCLE_1) | instskip(NEXT) | instid1(SALU_CYCLE_1)
	s_lshl_b64 s[8:9], s[8:9], 2
	s_add_u32 s8, s26, s8
	s_addc_u32 s9, s25, s9
	s_or_b32 s10, s12, 64
	s_delay_alu instid0(SALU_CYCLE_1) | instskip(SKIP_2) | instid1(SALU_CYCLE_1)
	s_ashr_i32 s11, s10, 5
	s_cmp_lt_i32 s10, s24
	s_cselect_b32 s10, s11, s3
	s_ashr_i32 s11, s10, 31
	s_delay_alu instid0(SALU_CYCLE_1) | instskip(NEXT) | instid1(SALU_CYCLE_1)
	s_lshl_b64 s[10:11], s[10:11], 2
	s_add_u32 s10, s26, s10
	s_addc_u32 s11, s25, s11
	;; [unrolled: 10-line block ×5, first 2 shown]
	s_clause 0x5
	s_load_b32 s21, s[6:7], 0x0
	s_load_b32 s13, s[8:9], 0x0
	;; [unrolled: 1-line block ×6, first 2 shown]
	s_or_b32 s7, s12, 0xc0
	s_delay_alu instid0(SALU_CYCLE_1) | instskip(SKIP_2) | instid1(SALU_CYCLE_1)
	s_ashr_i32 s8, s7, 5
	s_cmp_lt_i32 s7, s24
	s_cselect_b32 s10, s8, s3
	s_ashr_i32 s11, s10, 31
	s_delay_alu instid0(SALU_CYCLE_1) | instskip(NEXT) | instid1(SALU_CYCLE_1)
	s_lshl_b64 s[36:37], s[10:11], 2
	s_add_u32 s36, s26, s36
	s_addc_u32 s37, s25, s37
	s_or_b32 s29, s12, 0xe0
	s_delay_alu instid0(SALU_CYCLE_1)
	s_ashr_i32 s30, s29, 5
	s_cmp_lt_i32 s29, s24
	s_waitcnt vmcnt(1)
	v_mad_i64_i32 v[1:2], null, v5, s17, s[4:5]
	s_waitcnt vmcnt(0)
	v_mad_i64_i32 v[3:4], null, v6, s17, s[4:5]
	s_mov_b32 s4, 0
	s_delay_alu instid0(SALU_CYCLE_1)
	s_mov_b32 s5, s4
	s_mov_b32 s6, s4
	;; [unrolled: 1-line block ×7, first 2 shown]
	s_delay_alu instid0(SALU_CYCLE_1) | instskip(SKIP_2) | instid1(VALU_DEP_3)
	v_dual_mov_b32 v102, s11 :: v_dual_lshlrev_b32 v5, 4, v69
	v_dual_mov_b32 v98, s7 :: v_dual_mov_b32 v101, s10
	v_mov_b32_e32 v100, s9
	v_add_co_u32 v1, vcc_lo, v1, v5
	v_add_co_ci_u32_e32 v2, vcc_lo, 0, v2, vcc_lo
	v_add_co_u32 v3, vcc_lo, v3, v5
	v_add_co_ci_u32_e32 v4, vcc_lo, 0, v4, vcc_lo
	s_clause 0x7
	global_load_b128 v[57:60], v[1:2], off
	global_load_b128 v[61:64], v[1:2], off offset:512
	global_load_b128 v[71:74], v[3:4], off offset:256
	;; [unrolled: 1-line block ×7, first 2 shown]
	v_dual_mov_b32 v96, s5 :: v_dual_and_b32 v1, 3, v0
	v_mov_b32_e32 v99, s8
	v_mov_b32_e32 v97, s6
	;; [unrolled: 1-line block ×3, first 2 shown]
	s_cselect_b32 s4, s30, s3
	v_lshlrev_b32_e32 v2, 5, v69
	s_ashr_i32 s5, s4, 31
	v_lshlrev_b32_e32 v121, 6, v1
	s_lshl_b64 s[4:5], s[4:5], 2
	s_load_b32 s3, s[36:37], 0x0
	s_add_u32 s4, s26, s4
	s_addc_u32 s5, s25, s5
	v_lshl_or_b32 v1, v68, 9, v2
	ds_load_b128 v[103:106], v121
	ds_load_b128 v[107:110], v121 offset:1024
	s_load_b32 s4, s[4:5], 0x0
	s_add_u32 s6, s22, s27
	s_addc_u32 s7, s23, s28
	v_add_co_u32 v17, s6, s6, v1
	s_delay_alu instid0(VALU_DEP_1) | instskip(SKIP_1) | instid1(VALU_DEP_1)
	v_add_co_ci_u32_e64 v18, null, s7, 0, s6
	s_waitcnt lgkmcnt(0)
	v_mad_i64_i32 v[1:2], null, s21, s17, v[17:18]
	v_mad_i64_i32 v[3:4], null, s13, s17, v[17:18]
	;; [unrolled: 1-line block ×7, first 2 shown]
	s_clause 0x9
	global_load_b128 v[49:52], v[1:2], off
	global_load_b128 v[53:56], v[1:2], off offset:16
	global_load_b128 v[41:44], v[3:4], off
	global_load_b128 v[45:48], v[3:4], off offset:16
	;; [unrolled: 2-line block ×5, first 2 shown]
	v_mad_i64_i32 v[119:120], null, s4, s17, v[17:18]
	s_clause 0x3
	global_load_b128 v[17:20], v[21:22], off
	global_load_b128 v[21:24], v[21:22], off offset:16
	global_load_b128 v[25:28], v[29:30], off
	global_load_b128 v[29:32], v[29:30], off offset:16
	s_waitcnt vmcnt(20)
	v_wmma_f32_16x16x16_f16 v[111:118], v[57:64], v[103:110], v[95:102]
	s_clause 0x1
	global_load_b128 v[57:60], v[119:120], off
	global_load_b128 v[61:64], v[119:120], off offset:16
	s_waitcnt vmcnt(20)
	v_wmma_f32_16x16x16_f16 v[95:102], v[71:78], v[103:110], v[95:102]
	ds_load_b128 v[71:74], v121 offset:2048
	ds_load_b128 v[75:78], v121 offset:3072
	v_mbcnt_lo_u32_b32 v104, -1, 0
	s_waitcnt vmcnt(0) lgkmcnt(0)
	s_barrier
	buffer_gl0_inv
	v_xor_b32_e32 v105, 16, v104
	s_delay_alu instid0(VALU_DEP_1) | instskip(SKIP_4) | instid1(VALU_DEP_2)
	v_cmp_gt_i32_e32 vcc_lo, 32, v105
	v_cndmask_b32_e32 v104, v104, v105, vcc_lo
	v_wmma_f32_16x16x16_f16 v[111:118], v[79:86], v[71:78], v[111:118]
	v_and_b32_e32 v103, 0xe0, v0
	v_wmma_f32_16x16x16_f16 v[95:102], v[87:94], v[71:78], v[95:102]
	v_dual_mul_f32 v78, s19, v113 :: v_dual_add_nc_u32 v103, s12, v103
	s_delay_alu instid0(VALU_DEP_2) | instskip(SKIP_1) | instid1(VALU_DEP_3)
	v_dual_mul_f32 v90, s19, v101 :: v_dual_mul_f32 v87, s19, v112
	v_dual_mul_f32 v88, s19, v111 :: v_dual_mul_f32 v77, s19, v114
	v_or_b32_e32 v103, v103, v67
	v_dual_mul_f32 v75, s19, v116 :: v_dual_mul_f32 v94, s19, v97
	v_dual_mul_f32 v76, s19, v115 :: v_dual_mul_f32 v73, s19, v118
	v_mul_f32_e32 v92, s19, v99
	s_delay_alu instid0(VALU_DEP_4)
	v_or_b32_e32 v105, 2, v103
	v_or_b32_e32 v106, 4, v103
	v_or_b32_e32 v107, 6, v103
	v_cmp_gt_i32_e64 s3, s24, v103
	v_or_b32_e32 v108, 8, v103
	v_cmp_gt_i32_e32 vcc_lo, s24, v105
	v_or_b32_e32 v109, 10, v103
	v_cmp_gt_i32_e64 s4, s24, v106
	v_cndmask_b32_e64 v88, 0xff7fffff, v88, s3
	v_cmp_gt_i32_e64 s5, s24, v107
	v_cndmask_b32_e32 v87, 0xff7fffff, v87, vcc_lo
	v_or_b32_e32 v79, 12, v103
	v_or_b32_e32 v80, 14, v103
	v_cndmask_b32_e64 v78, 0xff7fffff, v78, s4
	v_cndmask_b32_e64 v77, 0xff7fffff, v77, s5
	v_max3_f32 v87, v88, 0xff7fffff, v87
	v_cmp_gt_i32_e64 s6, s24, v108
	v_cmp_gt_i32_e64 s7, s24, v109
	v_or_b32_e32 v81, 16, v103
	v_or_b32_e32 v82, 18, v103
	v_mul_f32_e32 v74, s19, v117
	v_cndmask_b32_e64 v76, 0xff7fffff, v76, s6
	v_cndmask_b32_e64 v75, 0xff7fffff, v75, s7
	v_max3_f32 v77, v87, v78, v77
	v_cmp_gt_i32_e64 s8, s24, v79
	v_cmp_gt_i32_e64 s9, s24, v80
	v_or_b32_e32 v83, 20, v103
	v_or_b32_e32 v84, 22, v103
	;; [unrolled: 1-line block ×6, first 2 shown]
	v_mul_f32_e32 v105, s19, v96
	v_mul_f32_e32 v103, s19, v95
	v_cndmask_b32_e64 v74, 0xff7fffff, v74, s8
	v_cndmask_b32_e64 v73, 0xff7fffff, v73, s9
	v_max3_f32 v75, v77, v76, v75
	v_cmp_gt_i32_e64 s10, s24, v81
	v_cmp_gt_i32_e64 s11, s24, v82
	v_mul_f32_e32 v93, s19, v98
	v_cmp_gt_i32_e64 s12, s24, v83
	v_max3_f32 v73, v75, v74, v73
	v_cndmask_b32_e64 v76, 0xff7fffff, v103, s10
	v_cndmask_b32_e64 v77, 0xff7fffff, v105, s11
	v_cmp_gt_i32_e64 s13, s24, v84
	v_mul_f32_e32 v91, s19, v100
	v_cndmask_b32_e64 v74, 0xff7fffff, v94, s12
	v_cmp_gt_i32_e64 s15, s24, v85
	v_max3_f32 v73, v73, v76, v77
	v_cndmask_b32_e64 v75, 0xff7fffff, v93, s13
	v_cmp_gt_i32_e64 s16, s24, v86
	v_mul_f32_e32 v89, s19, v102
	v_cndmask_b32_e64 v76, 0xff7fffff, v92, s15
	v_cmp_gt_i32_e64 s17, s24, v71
	v_max3_f32 v73, v73, v74, v75
	v_cndmask_b32_e64 v77, 0xff7fffff, v91, s16
	v_cmp_gt_i32_e64 s18, s24, v72
	v_lshlrev_b32_e32 v74, 2, v104
	v_cndmask_b32_e64 v71, 0xff7fffff, v90, s17
	s_delay_alu instid0(VALU_DEP_4) | instskip(NEXT) | instid1(VALU_DEP_4)
	v_max3_f32 v73, v73, v76, v77
	v_cndmask_b32_e64 v72, 0xff7fffff, v89, s18
	s_delay_alu instid0(VALU_DEP_1) | instskip(SKIP_3) | instid1(VALU_DEP_1)
	v_max3_f32 v71, v73, v71, v72
	ds_bpermute_b32 v72, v74, v71
	s_waitcnt lgkmcnt(0)
	v_max_f32_e32 v72, v72, v72
	v_max_f32_e32 v71, v71, v72
	s_delay_alu instid0(VALU_DEP_1)
	v_fma_f32 v72, s19, v111, -v71
	v_fma_f32 v76, s19, v114, -v71
	;; [unrolled: 1-line block ×5, first 2 shown]
	v_mul_f32_e32 v72, 0x3fb8aa3b, v72
	v_mul_f32_e32 v76, 0x3fb8aa3b, v76
	v_fma_f32 v75, s19, v113, -v71
	v_mul_f32_e32 v79, 0x3fb8aa3b, v77
	v_mul_f32_e32 v85, 0x3fb8aa3b, v84
	v_exp_f32_e32 v72, v72
	v_exp_f32_e32 v76, v76
	v_fma_f32 v86, s19, v98, -v71
	v_exp_f32_e32 v82, v79
	v_exp_f32_e32 v85, v85
	v_fma_f32 v81, s19, v117, -v71
	s_delay_alu instid0(VALU_DEP_2) | instskip(SKIP_3) | instid1(TRANS32_DEP_3)
	v_mul_f32_e32 v87, 0x3fb8aa3b, v86
	v_cndmask_b32_e64 v78, 0, v72, s3
	v_fma_f32 v72, s19, v116, -v71
	v_mul_f32_e32 v73, 0x3fb8aa3b, v73
	v_cndmask_b32_e64 v79, 0, v76, s5
	v_fma_f32 v76, s19, v95, -v71
	s_delay_alu instid0(VALU_DEP_4) | instskip(NEXT) | instid1(VALU_DEP_4)
	v_dual_mul_f32 v75, 0x3fb8aa3b, v75 :: v_dual_mul_f32 v72, 0x3fb8aa3b, v72
	v_exp_f32_e32 v73, v73
	v_exp_f32_e32 v87, v87
	s_delay_alu instid0(VALU_DEP_2) | instskip(NEXT) | instid1(VALU_DEP_2)
	v_mul_f32_e32 v76, 0x3fb8aa3b, v76
	v_exp_f32_e32 v75, v75
	v_cndmask_b32_e64 v85, 0, v85, s11
	v_mul_f32_e32 v81, 0x3fb8aa3b, v81
	v_exp_f32_e32 v72, v72
	v_cndmask_b32_e64 v82, 0, v82, s6
	v_exp_f32_e32 v76, v76
	s_mov_b32 s3, exec_lo
	v_cndmask_b32_e32 v77, 0, v73, vcc_lo
	v_add_f32_e32 v73, 0, v78
	v_cndmask_b32_e64 v87, 0, v87, s13
	v_cndmask_b32_e64 v80, 0, v75, s4
	v_fma_f32 v75, s19, v118, -v71
	v_exp_f32_e32 v83, v81
	v_add_f32_e32 v73, v73, v77
	v_cndmask_b32_e64 v81, 0, v72, s7
	v_cndmask_b32_e64 v86, 0, v76, s10
	v_mul_f32_e32 v75, 0x3fb8aa3b, v75
	s_delay_alu instid0(VALU_DEP_4) | instskip(NEXT) | instid1(VALU_DEP_2)
	v_add_f32_e32 v73, v73, v80
	v_exp_f32_e32 v75, v75
	s_delay_alu instid0(TRANS32_DEP_2) | instskip(NEXT) | instid1(VALU_DEP_2)
	v_cndmask_b32_e64 v84, 0, v83, s8
	v_add_f32_e32 v73, v73, v79
	s_delay_alu instid0(VALU_DEP_1) | instskip(SKIP_3) | instid1(VALU_DEP_1)
	v_add_f32_e32 v72, v73, v82
	s_waitcnt_depctr 0xfff
	v_cndmask_b32_e64 v83, 0, v75, s9
	v_add_f32_e32 v72, v72, v81
	v_add_f32_e32 v72, v72, v84
	s_delay_alu instid0(VALU_DEP_1) | instskip(NEXT) | instid1(VALU_DEP_1)
	v_add_f32_e32 v72, v72, v83
	v_add_f32_e32 v72, v72, v86
	v_fma_f32 v73, s19, v97, -v71
	v_fma_f32 v75, s19, v99, -v71
	v_fma_f32 v76, s19, v100, -v71
	v_fma_f32 v89, s19, v101, -v71
	v_add_f32_e32 v72, v72, v85
	v_mul_f32_e32 v73, 0x3fb8aa3b, v73
	s_delay_alu instid0(VALU_DEP_4) | instskip(NEXT) | instid1(VALU_DEP_2)
	v_dual_mul_f32 v75, 0x3fb8aa3b, v75 :: v_dual_mul_f32 v76, 0x3fb8aa3b, v76
	v_exp_f32_e32 v73, v73
	s_delay_alu instid0(VALU_DEP_1) | instskip(NEXT) | instid1(VALU_DEP_1)
	v_exp_f32_e32 v75, v75
	v_exp_f32_e32 v76, v76
	s_delay_alu instid0(TRANS32_DEP_3)
	v_cndmask_b32_e64 v88, 0, v73, s12
	v_mul_f32_e32 v73, 0x3fb8aa3b, v89
	v_fma_f32 v89, s19, v102, -v71
	s_waitcnt_depctr 0xfff
	v_cndmask_b32_e64 v90, 0, v75, s15
	v_add_f32_e32 v72, v72, v88
	v_exp_f32_e32 v73, v73
	v_mul_f32_e32 v75, 0x3fb8aa3b, v89
	v_cndmask_b32_e64 v89, 0, v76, s16
	s_delay_alu instid0(VALU_DEP_3) | instskip(NEXT) | instid1(VALU_DEP_3)
	v_add_f32_e32 v72, v72, v87
	v_exp_f32_e32 v75, v75
	s_delay_alu instid0(VALU_DEP_1) | instskip(SKIP_4) | instid1(VALU_DEP_2)
	v_add_f32_e32 v72, v72, v90
	s_waitcnt_depctr 0xfff
	v_cndmask_b32_e64 v92, 0, v73, s17
	v_add_f32_e32 v72, v72, v89
	v_cndmask_b32_e64 v91, 0, v75, s18
	v_add_f32_e32 v72, v72, v92
	s_delay_alu instid0(VALU_DEP_1)
	v_add_f32_e32 v72, v72, v91
	ds_bpermute_b32 v73, v74, v72
	v_cmpx_gt_u32_e32 16, v70
	s_cbranch_execz .LBB889_12
; %bb.11:
	v_mul_u32_u24_e32 v70, 0x44, v68
	s_waitcnt lgkmcnt(0)
	v_add_f32_e32 v72, v72, v73
	s_delay_alu instid0(VALU_DEP_2) | instskip(NEXT) | instid1(VALU_DEP_1)
	v_lshl_add_u32 v70, v69, 2, v70
	v_add_nc_u32_e32 v70, 0x4000, v70
	ds_store_2addr_b32 v70, v71, v72 offset1:136
.LBB889_12:
	s_or_b32 exec_lo, exec_lo, s3
	v_lshlrev_b32_e32 v70, 2, v69
	s_load_b32 s35, s[0:1], 0x94
	s_waitcnt lgkmcnt(0)
	s_barrier
	buffer_gl0_inv
	v_add_nc_u32_e32 v74, 0x4000, v70
	v_cmp_eq_u32_e32 vcc_lo, 1, v68
	v_cmp_eq_u32_e64 s3, 2, v68
	v_cmp_eq_u32_e64 s4, 3, v68
	;; [unrolled: 1-line block ×3, first 2 shown]
	ds_load_2addr_b32 v[70:71], v74 offset1:17
	ds_load_2addr_b32 v[72:73], v74 offset0:34 offset1:51
	ds_load_2addr_b32 v[93:94], v74 offset0:68 offset1:85
	;; [unrolled: 1-line block ×3, first 2 shown]
	v_cmp_eq_u32_e64 s6, 5, v68
	v_cmp_eq_u32_e64 s7, 7, v68
	s_waitcnt lgkmcnt(3)
	v_max3_f32 v75, v70, 0xff7fffff, v71
	s_waitcnt lgkmcnt(2)
	s_delay_alu instid0(VALU_DEP_1) | instskip(SKIP_1) | instid1(VALU_DEP_1)
	v_max3_f32 v75, v75, v72, v73
	s_waitcnt lgkmcnt(1)
	v_max3_f32 v75, v75, v93, v94
	s_waitcnt lgkmcnt(0)
	s_delay_alu instid0(VALU_DEP_1) | instskip(NEXT) | instid1(VALU_DEP_1)
	v_max3_f32 v75, v75, v95, v96
	v_sub_f32_e32 v93, v93, v75
	ds_load_2addr_b32 v[97:98], v74 offset0:136 offset1:153
	v_sub_f32_e32 v70, v70, v75
	v_dual_sub_f32 v100, v73, v75 :: v_dual_mul_f32 v103, 0x3fb8aa3b, v93
	s_delay_alu instid0(VALU_DEP_2) | instskip(SKIP_3) | instid1(VALU_DEP_1)
	v_dual_sub_f32 v76, v71, v75 :: v_dual_mul_f32 v99, 0x3fb8aa3b, v70
	ds_load_2addr_b32 v[70:71], v74 offset0:170 offset1:187
	v_mul_f32_e32 v76, 0x3fb8aa3b, v76
	v_exp_f32_e32 v99, v99
	v_exp_f32_e32 v102, v76
	v_mul_f32_e32 v100, 0x3fb8aa3b, v100
	s_waitcnt lgkmcnt(1)
	s_waitcnt_depctr 0xfff
	v_fma_f32 v76, v99, v97, 0
	v_sub_f32_e32 v97, v94, v75
	v_sub_f32_e32 v72, v72, v75
	v_exp_f32_e32 v100, v100
	ds_load_2addr_b32 v[93:94], v74 offset0:238 offset1:255
	v_dual_fmac_f32 v76, v102, v98 :: v_dual_mul_f32 v101, 0x3fb8aa3b, v72
	ds_load_2addr_b32 v[72:73], v74 offset0:204 offset1:221
	v_dual_sub_f32 v74, v95, v75 :: v_dual_mul_f32 v95, 0x3fb8aa3b, v97
	v_exp_f32_e32 v97, v103
	v_exp_f32_e32 v101, v101
	s_waitcnt lgkmcnt(0)
	s_delay_alu instid0(VALU_DEP_1)
	v_mul_f32_e32 v74, 0x3fb8aa3b, v74
	v_exp_f32_e32 v95, v95
	s_barrier
	buffer_gl0_inv
	v_fmac_f32_e32 v76, v101, v70
	v_sub_f32_e32 v70, v96, v75
	v_exp_f32_e32 v96, v74
	s_delay_alu instid0(VALU_DEP_2) | instskip(NEXT) | instid1(VALU_DEP_2)
	v_fmac_f32_e32 v76, v100, v71
	v_mul_f32_e32 v70, 0x3fb8aa3b, v70
	s_delay_alu instid0(VALU_DEP_2) | instskip(NEXT) | instid1(VALU_DEP_2)
	v_dual_cndmask_b32 v71, v99, v102 :: v_dual_fmac_f32 v76, v97, v72
	v_exp_f32_e32 v98, v70
	v_lshlrev_b32_e32 v72, 6, v69
	s_delay_alu instid0(VALU_DEP_2) | instskip(NEXT) | instid1(VALU_DEP_2)
	v_dual_fmac_f32 v76, v95, v73 :: v_dual_lshlrev_b32 v69, 2, v67
	v_lshl_or_b32 v74, v68, 11, v72
	s_delay_alu instid0(VALU_DEP_2)
	v_cmp_eq_u32_e64 s8, 7, v69
	s_delay_alu instid0(TRANS32_DEP_2) | instid1(VALU_DEP_3)
	v_fmac_f32_e32 v76, v96, v93
	s_waitcnt_depctr 0xfff
	v_fmac_f32_e32 v76, v98, v94
	s_delay_alu instid0(VALU_DEP_1) | instskip(NEXT) | instid1(VALU_DEP_1)
	v_add_f32_e32 v73, 0x358637bd, v76
	v_div_scale_f32 v93, null, v73, v73, 1.0
	v_div_scale_f32 v99, vcc_lo, 1.0, v73, 1.0
	s_delay_alu instid0(VALU_DEP_2) | instskip(SKIP_2) | instid1(VALU_DEP_1)
	v_rcp_f32_e32 v94, v93
	s_waitcnt_depctr 0xfff
	v_fma_f32 v70, -v93, v94, 1.0
	v_fmac_f32_e32 v94, v70, v94
	v_cndmask_b32_e64 v70, v71, v101, s3
	v_cmp_eq_u32_e64 s3, 6, v68
	v_or_b32_e32 v71, 1, v69
	v_or_b32_e32 v68, 2, v69
	v_mul_f32_e32 v101, v99, v94
	v_cndmask_b32_e64 v70, v70, v100, s4
	v_cmp_eq_u32_e64 s4, 1, v69
	v_cmp_eq_u32_e64 s9, 1, v71
	;; [unrolled: 1-line block ×3, first 2 shown]
	v_fma_f32 v100, -v93, v101, v99
	v_cndmask_b32_e64 v70, v70, v97, s5
	v_cmp_eq_u32_e64 s5, 2, v69
	v_cmp_eq_u32_e64 s12, 2, v71
	;; [unrolled: 1-line block ×3, first 2 shown]
	v_fmac_f32_e32 v101, v100, v94
	v_cndmask_b32_e64 v95, v70, v95, s6
	v_or_b32_e32 v70, 3, v69
	v_cmp_eq_u32_e64 s13, 3, v71
	v_cmp_eq_u32_e64 s17, 3, v68
	v_fma_f32 v93, -v93, v101, v99
	v_cndmask_b32_e64 v95, v95, v96, s3
	v_cmp_eq_u32_e64 s11, 1, v70
	v_cmp_eq_u32_e64 s16, 2, v70
	;; [unrolled: 1-line block ×3, first 2 shown]
	v_div_fmas_f32 v93, v93, v94, v101
	v_cndmask_b32_e64 v94, v95, v98, s7
	v_cmp_eq_u32_e32 vcc_lo, 3, v69
	v_cmp_eq_u32_e64 s3, 4, v69
	v_cmp_eq_u32_e64 s19, 4, v71
	v_div_fixup_f32 v93, v93, v73, 1.0
	v_lshl_or_b32 v73, v67, 4, v74
	v_cmp_eq_u32_e64 s22, 4, v70
	v_cmp_eq_u32_e64 s6, 5, v69
	;; [unrolled: 1-line block ×3, first 2 shown]
	v_mul_f32_e32 v101, v94, v93
	v_cmp_eq_u32_e64 s21, 4, v68
	v_cmp_eq_u32_e64 s24, 5, v70
	;; [unrolled: 1-line block ×4, first 2 shown]
	v_fma_mixlo_f16 v93, v101, v78, 0
	v_fma_mixlo_f16 v94, v101, v80, 0
	;; [unrolled: 1-line block ×8, first 2 shown]
	v_fma_mixhi_f16 v93, v101, v77, 0
	v_fma_mixhi_f16 v94, v101, v79, 0
	v_fma_mixhi_f16 v95, v101, v81, 0
	v_fma_mixhi_f16 v96, v101, v83, 0
	v_fma_mixhi_f16 v97, v101, v85, 0
	v_fma_mixhi_f16 v98, v101, v87, 0
	v_fma_mixhi_f16 v99, v101, v89, 0
	v_fma_mixhi_f16 v100, v101, v91, 0
	ds_store_b128 v73, v[93:96]
	ds_store_b128 v73, v[97:100] offset:1024
	s_waitcnt lgkmcnt(0)
	s_barrier
	buffer_gl0_inv
	ds_load_b128 v[77:80], v74
	ds_load_b128 v[81:84], v74 offset:16
	ds_load_b128 v[85:88], v74 offset:1024
	;; [unrolled: 1-line block ×3, first 2 shown]
	v_cmp_eq_u32_e64 s27, 6, v70
	v_cmp_eq_u32_e64 s7, 6, v69
	;; [unrolled: 1-line block ×6, first 2 shown]
	s_waitcnt lgkmcnt(3)
	v_lshrrev_b32_e32 v93, 16, v77
	s_waitcnt lgkmcnt(2)
	v_lshrrev_b32_e32 v97, 16, v81
	;; [unrolled: 2-line block ×4, first 2 shown]
	v_lshrrev_b32_e32 v94, 16, v78
	v_cndmask_b32_e64 v109, v77, v93, s4
	v_cndmask_b32_e64 v110, v81, v97, s4
	;; [unrolled: 1-line block ×8, first 2 shown]
	v_lshrrev_b32_e32 v98, 16, v82
	v_cndmask_b32_e64 v93, v85, v101, s4
	v_cndmask_b32_e64 v97, v89, v105, s4
	;; [unrolled: 1-line block ×15, first 2 shown]
	v_lshrrev_b32_e32 v102, 16, v86
	v_lshrrev_b32_e32 v106, 16, v90
	v_cndmask_b32_e64 v112, v114, v82, s15
	v_cndmask_b32_e64 v81, v93, v86, s5
	;; [unrolled: 1-line block ×7, first 2 shown]
	v_cndmask_b32_e32 v89, v101, v94, vcc_lo
	v_cndmask_b32_e32 v101, v105, v98, vcc_lo
	v_cndmask_b32_e64 v105, v109, v94, s13
	v_cndmask_b32_e64 v109, v110, v98, s13
	;; [unrolled: 1-line block ×4, first 2 shown]
	v_lshrrev_b32_e32 v95, 16, v79
	v_lshrrev_b32_e32 v99, 16, v83
	v_cndmask_b32_e64 v110, v111, v94, s17
	v_cndmask_b32_e64 v111, v112, v98, s17
	v_cndmask_b32_e32 v81, v81, v102, vcc_lo
	v_cndmask_b32_e32 v82, v82, v106, vcc_lo
	v_cndmask_b32_e64 v93, v93, v102, s13
	v_cndmask_b32_e64 v89, v89, v79, s3
	;; [unrolled: 1-line block ×7, first 2 shown]
	v_lshrrev_b32_e32 v103, 16, v87
	v_cndmask_b32_e64 v105, v110, v79, s21
	v_cndmask_b32_e64 v109, v111, v83, s21
	v_cndmask_b32_e64 v79, v81, v87, s3
	v_cndmask_b32_e64 v81, v82, v91, s3
	v_cndmask_b32_e64 v82, v93, v87, s19
	v_cndmask_b32_e64 v83, v89, v95, s6
	v_cndmask_b32_e64 v89, v94, v99, s6
	v_cndmask_b32_e64 v93, v98, v95, s20
	v_cndmask_b32_e64 v94, v101, v99, s20
	v_cndmask_b32_e64 v77, v77, v95, s24
	v_cndmask_b32_e64 v78, v78, v99, s24
	v_lshrrev_b32_e32 v96, 16, v80
	v_lshrrev_b32_e32 v100, 16, v84
	v_cndmask_b32_e64 v98, v105, v95, s23
	v_cndmask_b32_e64 v101, v109, v99, s23
	;; [unrolled: 1-line block ×7, first 2 shown]
	v_lshrrev_b32_e32 v104, 16, v88
	v_cndmask_b32_e64 v79, v79, v103, s6
	v_cndmask_b32_e64 v83, v83, v80, s7
	;; [unrolled: 1-line block ×16, first 2 shown]
	v_perm_b32 v80, v78, v77, 0x5040100
	v_perm_b32 v78, v94, v84, 0x5040100
	v_cndmask_b32_e64 v77, v118, v90, s15
	v_cndmask_b32_e64 v84, v116, v90, s12
	;; [unrolled: 1-line block ×3, first 2 shown]
	v_perm_b32 v79, v93, v89, 0x5040100
	v_cndmask_b32_e64 v89, v97, v102, s17
	v_cndmask_b32_e64 v85, v85, v102, s18
	;; [unrolled: 1-line block ×5, first 2 shown]
	v_lshrrev_b32_e32 v107, 16, v91
	v_cndmask_b32_e64 v89, v89, v87, s21
	v_cndmask_b32_e64 v85, v85, v87, s22
	;; [unrolled: 1-line block ×11, first 2 shown]
	v_lshrrev_b32_e32 v108, 16, v92
	v_cndmask_b32_e64 v81, v81, v92, s7
	v_cndmask_b32_e64 v87, v87, v88, s26
	;; [unrolled: 1-line block ×12, first 2 shown]
	v_perm_b32 v77, v83, v82, 0x5040100
	v_perm_b32 v84, v86, v85, 0x5040100
	;; [unrolled: 1-line block ×5, first 2 shown]
	s_lshl_b32 s8, s33, 2
	s_mov_b32 s3, exec_lo
	ds_store_b128 v73, v[77:80]
	ds_store_b128 v73, v[81:84] offset:1024
	v_cmpx_gt_u32_e32 4, v0
	s_cbranch_execz .LBB889_14
; %bb.13:
	v_or_b32_e32 v77, s31, v0
	s_load_b128 s[4:7], s[0:1], 0x58
	s_delay_alu instid0(VALU_DEP_1) | instskip(NEXT) | instid1(VALU_DEP_1)
	v_mad_u64_u32 v[78:79], null, s8, s34, v[77:78]
	v_mad_u64_u32 v[79:80], null, v78, s35, s[14:15]
	s_delay_alu instid0(VALU_DEP_1) | instskip(NEXT) | instid1(VALU_DEP_1)
	v_ashrrev_i32_e32 v80, 31, v79
	v_lshlrev_b64 v[77:78], 2, v[79:80]
	s_waitcnt lgkmcnt(0)
	s_delay_alu instid0(VALU_DEP_1) | instskip(NEXT) | instid1(VALU_DEP_2)
	v_add_co_u32 v79, vcc_lo, s6, v77
	v_add_co_ci_u32_e32 v80, vcc_lo, s7, v78, vcc_lo
	v_add_co_u32 v77, vcc_lo, s4, v77
	v_add_co_ci_u32_e32 v78, vcc_lo, s5, v78, vcc_lo
	global_store_b32 v[79:80], v75, off
	global_store_b32 v[77:78], v76, off
.LBB889_14:
	s_or_b32 exec_lo, exec_lo, s3
	s_waitcnt lgkmcnt(0)
	s_waitcnt_vscnt null, 0x0
	s_barrier
	buffer_gl0_inv
	ds_load_b128 v[83:86], v72
	ds_load_b128 v[87:90], v72 offset:16
	ds_load_b128 v[95:98], v72 offset:2064
	;; [unrolled: 1-line block ×5, first 2 shown]
	v_cmp_eq_u32_e32 vcc_lo, 1, v69
	v_mov_b32_e32 v75, 0
	ds_load_b128 v[111:114], v72 offset:6160
	ds_load_b128 v[107:110], v72 offset:6144
	ds_load_b128 v[119:122], v72 offset:8208
	ds_load_b128 v[115:118], v72 offset:8192
	v_cmp_eq_u32_e64 s4, 1, v68
	v_cmp_eq_u32_e64 s3, 1, v71
	;; [unrolled: 1-line block ×3, first 2 shown]
	v_mov_b32_e32 v76, v75
	v_mov_b32_e32 v77, v75
	;; [unrolled: 1-line block ×7, first 2 shown]
	v_cmp_eq_u32_e64 s6, 3, v71
	v_cmp_eq_u32_e64 s7, 7, v71
	s_waitcnt lgkmcnt(8)
	s_delay_alu instid0(VALU_DEP_3)
	v_wmma_f32_16x16x16_f16 v[75:82], v[49:56], v[83:90], v[75:82]
	ds_load_b128 v[53:56], v72 offset:10256
	ds_load_b128 v[49:52], v72 offset:10240
	s_waitcnt lgkmcnt(8)
	v_wmma_f32_16x16x16_f16 v[75:82], v[41:48], v[91:98], v[75:82]
	ds_load_b128 v[45:48], v72 offset:12304
	ds_load_b128 v[41:44], v72 offset:12288
	s_waitcnt lgkmcnt(8)
	v_wmma_f32_16x16x16_f16 v[75:82], v[33:40], v[99:106], v[75:82]
	ds_load_b128 v[37:40], v72 offset:14352
	ds_load_b128 v[33:36], v72 offset:14336
	s_waitcnt lgkmcnt(0)
	s_barrier
	buffer_gl0_inv
	v_wmma_f32_16x16x16_f16 v[75:82], v[1:8], v[107:114], v[75:82]
	s_delay_alu instid0(VALU_DEP_1) | instskip(NEXT) | instid1(VALU_DEP_1)
	v_wmma_f32_16x16x16_f16 v[75:82], v[9:16], v[115:122], v[75:82]
	v_wmma_f32_16x16x16_f16 v[75:82], v[17:24], v[49:56], v[75:82]
	s_delay_alu instid0(VALU_DEP_1) | instskip(NEXT) | instid1(VALU_DEP_1)
	v_wmma_f32_16x16x16_f16 v[75:82], v[25:32], v[41:48], v[75:82]
	v_wmma_f32_16x16x16_f16 v[75:82], v[57:64], v[33:40], v[75:82]
	s_delay_alu instid0(VALU_DEP_1) | instskip(NEXT) | instid1(VALU_DEP_2)
	v_cvt_f16_f32_e32 v1, v75
	v_cvt_f16_f32_e32 v2, v76
	s_delay_alu instid0(VALU_DEP_3) | instskip(NEXT) | instid1(VALU_DEP_4)
	v_cvt_f16_f32_e32 v3, v77
	v_cvt_f16_f32_e32 v4, v78
	;; [unrolled: 1-line block ×6, first 2 shown]
	v_pack_b32_f16 v1, v1, v2
	v_pack_b32_f16 v2, v3, v4
	v_pack_b32_f16 v3, v5, v6
	s_delay_alu instid0(VALU_DEP_4)
	v_pack_b32_f16 v4, v7, v8
	ds_store_b128 v73, v[1:4]
	s_waitcnt lgkmcnt(0)
	s_barrier
	buffer_gl0_inv
	ds_load_b128 v[1:4], v74
	ds_load_b128 v[5:8], v74 offset:16
	s_waitcnt lgkmcnt(1)
	v_lshrrev_b32_e32 v9, 16, v1
	s_waitcnt lgkmcnt(0)
	v_lshrrev_b32_e32 v13, 16, v5
	v_lshrrev_b32_e32 v10, 16, v2
	;; [unrolled: 1-line block ×4, first 2 shown]
	v_cndmask_b32_e32 v17, v1, v9, vcc_lo
	v_cndmask_b32_e32 v18, v5, v13, vcc_lo
	v_cndmask_b32_e64 v21, v1, v9, s4
	v_cmp_eq_u32_e32 vcc_lo, 1, v70
	v_cndmask_b32_e64 v22, v5, v13, s4
	v_cmp_eq_u32_e64 s4, 2, v69
	v_cndmask_b32_e64 v19, v1, v9, s3
	v_cndmask_b32_e64 v20, v5, v13, s3
	v_cndmask_b32_e32 v1, v1, v9, vcc_lo
	v_cmp_eq_u32_e64 s3, 2, v70
	v_cndmask_b32_e32 v5, v5, v13, vcc_lo
	v_cndmask_b32_e64 v9, v17, v2, s4
	v_cmp_eq_u32_e32 vcc_lo, 3, v69
	v_cndmask_b32_e64 v13, v18, v6, s4
	v_cmp_eq_u32_e64 s4, 2, v68
	v_cndmask_b32_e64 v17, v19, v2, s5
	v_cndmask_b32_e64 v18, v20, v6, s5
	v_cmp_eq_u32_e64 s5, 3, v68
	v_cndmask_b32_e64 v1, v1, v2, s3
	v_cndmask_b32_e64 v19, v21, v2, s4
	;; [unrolled: 1-line block ×4, first 2 shown]
	v_cndmask_b32_e32 v5, v9, v10, vcc_lo
	v_cndmask_b32_e32 v6, v13, v14, vcc_lo
	v_cmp_eq_u32_e32 vcc_lo, 3, v70
	v_cndmask_b32_e64 v9, v17, v10, s6
	v_cndmask_b32_e64 v13, v18, v14, s6
	;; [unrolled: 1-line block ×3, first 2 shown]
	v_cmp_eq_u32_e64 s4, 4, v69
	v_cndmask_b32_e32 v1, v1, v10, vcc_lo
	v_cndmask_b32_e32 v2, v2, v14, vcc_lo
	v_cmp_eq_u32_e32 vcc_lo, 4, v71
	v_lshrrev_b32_e32 v15, 16, v7
	v_lshrrev_b32_e32 v16, 16, v8
	v_cndmask_b32_e64 v17, v19, v10, s5
	v_cmp_eq_u32_e64 s3, 4, v70
	v_cndmask_b32_e64 v5, v5, v3, s4
	v_cndmask_b32_e64 v6, v6, v7, s4
	v_cndmask_b32_e32 v9, v9, v3, vcc_lo
	v_cmp_eq_u32_e64 s4, 5, v71
	v_cndmask_b32_e32 v10, v13, v7, vcc_lo
	v_cmp_eq_u32_e32 vcc_lo, 4, v68
	v_cmp_eq_u32_e64 s5, 5, v69
	v_cndmask_b32_e64 v2, v2, v7, s3
	v_cndmask_b32_e64 v9, v9, v11, s4
	;; [unrolled: 1-line block ×3, first 2 shown]
	v_cndmask_b32_e32 v13, v17, v3, vcc_lo
	v_cmp_eq_u32_e64 s4, 5, v68
	v_cndmask_b32_e32 v14, v18, v7, vcc_lo
	v_cndmask_b32_e64 v1, v1, v3, s3
	v_cmp_eq_u32_e32 vcc_lo, 5, v70
	v_lshrrev_b32_e32 v12, 16, v4
	v_cndmask_b32_e64 v13, v13, v11, s4
	v_cndmask_b32_e64 v3, v14, v15, s4
	v_cmp_eq_u32_e64 s4, 6, v70
	v_cndmask_b32_e32 v1, v1, v11, vcc_lo
	v_cndmask_b32_e64 v5, v5, v11, s5
	v_cmp_eq_u32_e64 s6, 6, v69
	v_cndmask_b32_e64 v6, v6, v15, s5
	v_cmp_eq_u32_e64 s5, 6, v71
	v_cmp_eq_u32_e64 s3, 6, v68
	v_cndmask_b32_e64 v1, v1, v4, s4
	v_cndmask_b32_e32 v2, v2, v15, vcc_lo
	v_cmp_eq_u32_e32 vcc_lo, 7, v70
	v_cndmask_b32_e64 v5, v5, v4, s6
	v_cndmask_b32_e64 v9, v9, v4, s5
	;; [unrolled: 1-line block ×3, first 2 shown]
	v_cmp_eq_u32_e64 s6, 7, v69
	v_cndmask_b32_e32 v1, v1, v12, vcc_lo
	v_cndmask_b32_e64 v7, v13, v4, s3
	v_cndmask_b32_e64 v3, v3, v8, s3
	;; [unrolled: 1-line block ×3, first 2 shown]
	v_cmp_eq_u32_e64 s3, 7, v68
	v_cndmask_b32_e64 v4, v10, v8, s5
	v_cndmask_b32_e64 v5, v5, v12, s6
	;; [unrolled: 1-line block ×3, first 2 shown]
	v_cndmask_b32_e32 v2, v2, v16, vcc_lo
	v_cndmask_b32_e64 v7, v7, v12, s3
	v_cndmask_b32_e64 v3, v3, v16, s3
	;; [unrolled: 1-line block ×4, first 2 shown]
	v_cmp_gt_u32_e32 vcc_lo, 32, v0
	v_perm_b32 v4, v2, v1, 0x5040100
	v_perm_b32 v3, v3, v7, 0x5040100
	;; [unrolled: 1-line block ×4, first 2 shown]
	s_and_b32 s2, vcc_lo, s2
	ds_store_b128 v73, v[1:4]
	s_waitcnt lgkmcnt(0)
	s_barrier
	buffer_gl0_inv
	s_and_saveexec_b32 s3, s2
	s_cbranch_execz .LBB889_2
; %bb.15:
	s_load_b64 s[0:1], s[0:1], 0x68
	v_lshlrev_b32_e32 v0, 10, v0
	v_or_b32_e32 v1, s31, v67
	s_lshl_b32 s4, s35, 6
	v_lshlrev_b32_e32 v2, 4, v66
	s_mul_i32 s2, s4, s34
	v_lshlrev_b32_e32 v3, 6, v67
	v_mul_lo_u32 v8, v1, s4
	v_and_b32_e32 v0, 0x3800, v0
	v_or_b32_e32 v1, 2, v1
	s_mul_i32 s2, s2, s8
	s_delay_alu instid0(SALU_CYCLE_1) | instskip(NEXT) | instid1(VALU_DEP_2)
	s_ashr_i32 s3, s2, 31
	v_or3_b32 v4, v0, v2, v3
	s_lshl_b64 s[2:3], s[2:3], 1
	v_mul_lo_u32 v10, v1, s4
	v_ashrrev_i32_e32 v9, 31, v8
	ds_load_b128 v[0:3], v4
	ds_load_b128 v[4:7], v4 offset:128
	s_waitcnt lgkmcnt(0)
	s_add_u32 s2, s0, s2
	s_addc_u32 s3, s1, s3
	s_lshl_b32 s0, s14, 6
	v_ashrrev_i32_e32 v11, 31, v10
	s_ashr_i32 s1, s0, 31
	v_lshlrev_b64 v[8:9], 1, v[8:9]
	s_lshl_b64 s[0:1], s[0:1], 1
	s_delay_alu instid0(SALU_CYCLE_1) | instskip(SKIP_2) | instid1(VALU_DEP_1)
	s_add_u32 s0, s2, s0
	s_addc_u32 s1, s3, s1
	v_add_co_u32 v12, s0, s0, v65
	v_add_co_ci_u32_e64 v13, null, s1, 0, s0
	v_lshlrev_b64 v[10:11], 1, v[10:11]
	s_delay_alu instid0(VALU_DEP_3) | instskip(NEXT) | instid1(VALU_DEP_3)
	v_add_co_u32 v8, vcc_lo, v12, v8
	v_add_co_ci_u32_e32 v9, vcc_lo, v13, v9, vcc_lo
	s_delay_alu instid0(VALU_DEP_3) | instskip(NEXT) | instid1(VALU_DEP_4)
	v_add_co_u32 v10, vcc_lo, v12, v10
	v_add_co_ci_u32_e32 v11, vcc_lo, v13, v11, vcc_lo
	s_clause 0x1
	global_store_b128 v[8:9], v[0:3], off
	global_store_b128 v[10:11], v[4:7], off
	s_nop 0
	s_sendmsg sendmsg(MSG_DEALLOC_VGPRS)
	s_endpgm
	.section	.rodata,"a",@progbits
	.p2align	6, 0x0
	.amdhsa_kernel _Z39paged_attention_ll4mi_QKV_mfma16_kernelIDF16_hLN4vllm18Fp8KVCacheDataTypeE1EhLi32ELi64ELi256ELb0ELi4EL8MFMAType1EEvPKT_PKT0_S8_ifPKiSA_SA_iPKfiiiPfSD_PS3_PT2_iSC_SC_
		.amdhsa_group_segment_fixed_size 17472
		.amdhsa_private_segment_fixed_size 0
		.amdhsa_kernarg_size 400
		.amdhsa_user_sgpr_count 13
		.amdhsa_user_sgpr_dispatch_ptr 0
		.amdhsa_user_sgpr_queue_ptr 0
		.amdhsa_user_sgpr_kernarg_segment_ptr 1
		.amdhsa_user_sgpr_dispatch_id 0
		.amdhsa_user_sgpr_private_segment_size 0
		.amdhsa_wavefront_size32 1
		.amdhsa_uses_dynamic_stack 0
		.amdhsa_enable_private_segment 0
		.amdhsa_system_sgpr_workgroup_id_x 1
		.amdhsa_system_sgpr_workgroup_id_y 1
		.amdhsa_system_sgpr_workgroup_id_z 1
		.amdhsa_system_sgpr_workgroup_info 0
		.amdhsa_system_vgpr_workitem_id 0
		.amdhsa_next_free_vgpr 123
		.amdhsa_next_free_sgpr 42
		.amdhsa_reserve_vcc 1
		.amdhsa_float_round_mode_32 0
		.amdhsa_float_round_mode_16_64 0
		.amdhsa_float_denorm_mode_32 3
		.amdhsa_float_denorm_mode_16_64 3
		.amdhsa_dx10_clamp 1
		.amdhsa_ieee_mode 1
		.amdhsa_fp16_overflow 0
		.amdhsa_workgroup_processor_mode 1
		.amdhsa_memory_ordered 1
		.amdhsa_forward_progress 0
		.amdhsa_shared_vgpr_count 0
		.amdhsa_exception_fp_ieee_invalid_op 0
		.amdhsa_exception_fp_denorm_src 0
		.amdhsa_exception_fp_ieee_div_zero 0
		.amdhsa_exception_fp_ieee_overflow 0
		.amdhsa_exception_fp_ieee_underflow 0
		.amdhsa_exception_fp_ieee_inexact 0
		.amdhsa_exception_int_div_zero 0
	.end_amdhsa_kernel
	.section	.text._Z39paged_attention_ll4mi_QKV_mfma16_kernelIDF16_hLN4vllm18Fp8KVCacheDataTypeE1EhLi32ELi64ELi256ELb0ELi4EL8MFMAType1EEvPKT_PKT0_S8_ifPKiSA_SA_iPKfiiiPfSD_PS3_PT2_iSC_SC_,"axG",@progbits,_Z39paged_attention_ll4mi_QKV_mfma16_kernelIDF16_hLN4vllm18Fp8KVCacheDataTypeE1EhLi32ELi64ELi256ELb0ELi4EL8MFMAType1EEvPKT_PKT0_S8_ifPKiSA_SA_iPKfiiiPfSD_PS3_PT2_iSC_SC_,comdat
.Lfunc_end889:
	.size	_Z39paged_attention_ll4mi_QKV_mfma16_kernelIDF16_hLN4vllm18Fp8KVCacheDataTypeE1EhLi32ELi64ELi256ELb0ELi4EL8MFMAType1EEvPKT_PKT0_S8_ifPKiSA_SA_iPKfiiiPfSD_PS3_PT2_iSC_SC_, .Lfunc_end889-_Z39paged_attention_ll4mi_QKV_mfma16_kernelIDF16_hLN4vllm18Fp8KVCacheDataTypeE1EhLi32ELi64ELi256ELb0ELi4EL8MFMAType1EEvPKT_PKT0_S8_ifPKiSA_SA_iPKfiiiPfSD_PS3_PT2_iSC_SC_
                                        ; -- End function
	.section	.AMDGPU.csdata,"",@progbits
; Kernel info:
; codeLenInByte = 6380
; NumSgprs: 44
; NumVgprs: 123
; ScratchSize: 0
; MemoryBound: 0
; FloatMode: 240
; IeeeMode: 1
; LDSByteSize: 17472 bytes/workgroup (compile time only)
; SGPRBlocks: 5
; VGPRBlocks: 15
; NumSGPRsForWavesPerEU: 44
; NumVGPRsForWavesPerEU: 123
; Occupancy: 10
; WaveLimiterHint : 1
; COMPUTE_PGM_RSRC2:SCRATCH_EN: 0
; COMPUTE_PGM_RSRC2:USER_SGPR: 13
; COMPUTE_PGM_RSRC2:TRAP_HANDLER: 0
; COMPUTE_PGM_RSRC2:TGID_X_EN: 1
; COMPUTE_PGM_RSRC2:TGID_Y_EN: 1
; COMPUTE_PGM_RSRC2:TGID_Z_EN: 1
; COMPUTE_PGM_RSRC2:TIDIG_COMP_CNT: 0
	.section	.text._Z38paged_attention_ll4mi_QKV_mfma4_kernelIDF16_hLN4vllm18Fp8KVCacheDataTypeE1EDF16_Li32ELi64ELi256ELb1ELi1EEvPKT_PKT0_S7_ifPKiS9_S9_iPKfiiiPfSC_PS2_PT2_iSB_SB_,"axG",@progbits,_Z38paged_attention_ll4mi_QKV_mfma4_kernelIDF16_hLN4vllm18Fp8KVCacheDataTypeE1EDF16_Li32ELi64ELi256ELb1ELi1EEvPKT_PKT0_S7_ifPKiS9_S9_iPKfiiiPfSC_PS2_PT2_iSB_SB_,comdat
	.protected	_Z38paged_attention_ll4mi_QKV_mfma4_kernelIDF16_hLN4vllm18Fp8KVCacheDataTypeE1EDF16_Li32ELi64ELi256ELb1ELi1EEvPKT_PKT0_S7_ifPKiS9_S9_iPKfiiiPfSC_PS2_PT2_iSB_SB_ ; -- Begin function _Z38paged_attention_ll4mi_QKV_mfma4_kernelIDF16_hLN4vllm18Fp8KVCacheDataTypeE1EDF16_Li32ELi64ELi256ELb1ELi1EEvPKT_PKT0_S7_ifPKiS9_S9_iPKfiiiPfSC_PS2_PT2_iSB_SB_
	.globl	_Z38paged_attention_ll4mi_QKV_mfma4_kernelIDF16_hLN4vllm18Fp8KVCacheDataTypeE1EDF16_Li32ELi64ELi256ELb1ELi1EEvPKT_PKT0_S7_ifPKiS9_S9_iPKfiiiPfSC_PS2_PT2_iSB_SB_
	.p2align	8
	.type	_Z38paged_attention_ll4mi_QKV_mfma4_kernelIDF16_hLN4vllm18Fp8KVCacheDataTypeE1EDF16_Li32ELi64ELi256ELb1ELi1EEvPKT_PKT0_S7_ifPKiS9_S9_iPKfiiiPfSC_PS2_PT2_iSB_SB_,@function
_Z38paged_attention_ll4mi_QKV_mfma4_kernelIDF16_hLN4vllm18Fp8KVCacheDataTypeE1EDF16_Li32ELi64ELi256ELb1ELi1EEvPKT_PKT0_S7_ifPKiS9_S9_iPKfiiiPfSC_PS2_PT2_iSB_SB_: ; @_Z38paged_attention_ll4mi_QKV_mfma4_kernelIDF16_hLN4vllm18Fp8KVCacheDataTypeE1EDF16_Li32ELi64ELi256ELb1ELi1EEvPKT_PKT0_S7_ifPKiS9_S9_iPKfiiiPfSC_PS2_PT2_iSB_SB_
; %bb.0:
	s_add_u32 s8, s0, 0x90
	s_addc_u32 s9, s1, 0
	s_getpc_b64 s[0:1]
	s_add_u32 s0, s0, __PRETTY_FUNCTION__._Z38paged_attention_ll4mi_QKV_mfma4_kernelIDF16_hLN4vllm18Fp8KVCacheDataTypeE1EDF16_Li32ELi64ELi256ELb1ELi1EEvPKT_PKT0_S7_ifPKiS9_S9_iPKfiiiPfSC_PS2_PT2_iSB_SB_@rel32@lo+4
	s_addc_u32 s1, s1, __PRETTY_FUNCTION__._Z38paged_attention_ll4mi_QKV_mfma4_kernelIDF16_hLN4vllm18Fp8KVCacheDataTypeE1EDF16_Li32ELi64ELi256ELb1ELi1EEvPKT_PKT0_S7_ifPKiS9_S9_iPKfiiiPfSC_PS2_PT2_iSB_SB_@rel32@hi+12
	s_delay_alu instid0(SALU_CYCLE_1) | instskip(SKIP_4) | instid1(SALU_CYCLE_1)
	v_dual_mov_b32 v0, s0 :: v_dual_mov_b32 v1, s1
	s_mov_b32 s32, 0
	s_getpc_b64 s[2:3]
	s_add_u32 s2, s2, __assert_fail@rel32@lo+4
	s_addc_u32 s3, s3, __assert_fail@rel32@hi+12
	s_swappc_b64 s[30:31], s[2:3]
	.section	.rodata,"a",@progbits
	.p2align	6, 0x0
	.amdhsa_kernel _Z38paged_attention_ll4mi_QKV_mfma4_kernelIDF16_hLN4vllm18Fp8KVCacheDataTypeE1EDF16_Li32ELi64ELi256ELb1ELi1EEvPKT_PKT0_S7_ifPKiS9_S9_iPKfiiiPfSC_PS2_PT2_iSB_SB_
		.amdhsa_group_segment_fixed_size 0
		.amdhsa_private_segment_fixed_size 64
		.amdhsa_kernarg_size 400
		.amdhsa_user_sgpr_count 15
		.amdhsa_user_sgpr_dispatch_ptr 0
		.amdhsa_user_sgpr_queue_ptr 0
		.amdhsa_user_sgpr_kernarg_segment_ptr 1
		.amdhsa_user_sgpr_dispatch_id 0
		.amdhsa_user_sgpr_private_segment_size 0
		.amdhsa_wavefront_size32 1
		.amdhsa_uses_dynamic_stack 0
		.amdhsa_enable_private_segment 1
		.amdhsa_system_sgpr_workgroup_id_x 1
		.amdhsa_system_sgpr_workgroup_id_y 0
		.amdhsa_system_sgpr_workgroup_id_z 0
		.amdhsa_system_sgpr_workgroup_info 0
		.amdhsa_system_vgpr_workitem_id 0
		.amdhsa_next_free_vgpr 41
		.amdhsa_next_free_sgpr 34
		.amdhsa_reserve_vcc 1
		.amdhsa_float_round_mode_32 0
		.amdhsa_float_round_mode_16_64 0
		.amdhsa_float_denorm_mode_32 3
		.amdhsa_float_denorm_mode_16_64 3
		.amdhsa_dx10_clamp 1
		.amdhsa_ieee_mode 1
		.amdhsa_fp16_overflow 0
		.amdhsa_workgroup_processor_mode 1
		.amdhsa_memory_ordered 1
		.amdhsa_forward_progress 0
		.amdhsa_shared_vgpr_count 0
		.amdhsa_exception_fp_ieee_invalid_op 0
		.amdhsa_exception_fp_denorm_src 0
		.amdhsa_exception_fp_ieee_div_zero 0
		.amdhsa_exception_fp_ieee_overflow 0
		.amdhsa_exception_fp_ieee_underflow 0
		.amdhsa_exception_fp_ieee_inexact 0
		.amdhsa_exception_int_div_zero 0
	.end_amdhsa_kernel
	.section	.text._Z38paged_attention_ll4mi_QKV_mfma4_kernelIDF16_hLN4vllm18Fp8KVCacheDataTypeE1EDF16_Li32ELi64ELi256ELb1ELi1EEvPKT_PKT0_S7_ifPKiS9_S9_iPKfiiiPfSC_PS2_PT2_iSB_SB_,"axG",@progbits,_Z38paged_attention_ll4mi_QKV_mfma4_kernelIDF16_hLN4vllm18Fp8KVCacheDataTypeE1EDF16_Li32ELi64ELi256ELb1ELi1EEvPKT_PKT0_S7_ifPKiS9_S9_iPKfiiiPfSC_PS2_PT2_iSB_SB_,comdat
.Lfunc_end890:
	.size	_Z38paged_attention_ll4mi_QKV_mfma4_kernelIDF16_hLN4vllm18Fp8KVCacheDataTypeE1EDF16_Li32ELi64ELi256ELb1ELi1EEvPKT_PKT0_S7_ifPKiS9_S9_iPKfiiiPfSC_PS2_PT2_iSB_SB_, .Lfunc_end890-_Z38paged_attention_ll4mi_QKV_mfma4_kernelIDF16_hLN4vllm18Fp8KVCacheDataTypeE1EDF16_Li32ELi64ELi256ELb1ELi1EEvPKT_PKT0_S7_ifPKiS9_S9_iPKfiiiPfSC_PS2_PT2_iSB_SB_
                                        ; -- End function
	.section	.AMDGPU.csdata,"",@progbits
; Kernel info:
; codeLenInByte = 72
; NumSgprs: 36
; NumVgprs: 41
; ScratchSize: 64
; MemoryBound: 0
; FloatMode: 240
; IeeeMode: 1
; LDSByteSize: 0 bytes/workgroup (compile time only)
; SGPRBlocks: 4
; VGPRBlocks: 5
; NumSGPRsForWavesPerEU: 36
; NumVGPRsForWavesPerEU: 41
; Occupancy: 16
; WaveLimiterHint : 1
; COMPUTE_PGM_RSRC2:SCRATCH_EN: 1
; COMPUTE_PGM_RSRC2:USER_SGPR: 15
; COMPUTE_PGM_RSRC2:TRAP_HANDLER: 0
; COMPUTE_PGM_RSRC2:TGID_X_EN: 1
; COMPUTE_PGM_RSRC2:TGID_Y_EN: 0
; COMPUTE_PGM_RSRC2:TGID_Z_EN: 0
; COMPUTE_PGM_RSRC2:TIDIG_COMP_CNT: 0
	.section	.text._Z38paged_attention_ll4mi_QKV_mfma4_kernelIDF16_hLN4vllm18Fp8KVCacheDataTypeE1EDF16_Li32ELi64ELi256ELb1ELi2EEvPKT_PKT0_S7_ifPKiS9_S9_iPKfiiiPfSC_PS2_PT2_iSB_SB_,"axG",@progbits,_Z38paged_attention_ll4mi_QKV_mfma4_kernelIDF16_hLN4vllm18Fp8KVCacheDataTypeE1EDF16_Li32ELi64ELi256ELb1ELi2EEvPKT_PKT0_S7_ifPKiS9_S9_iPKfiiiPfSC_PS2_PT2_iSB_SB_,comdat
	.protected	_Z38paged_attention_ll4mi_QKV_mfma4_kernelIDF16_hLN4vllm18Fp8KVCacheDataTypeE1EDF16_Li32ELi64ELi256ELb1ELi2EEvPKT_PKT0_S7_ifPKiS9_S9_iPKfiiiPfSC_PS2_PT2_iSB_SB_ ; -- Begin function _Z38paged_attention_ll4mi_QKV_mfma4_kernelIDF16_hLN4vllm18Fp8KVCacheDataTypeE1EDF16_Li32ELi64ELi256ELb1ELi2EEvPKT_PKT0_S7_ifPKiS9_S9_iPKfiiiPfSC_PS2_PT2_iSB_SB_
	.globl	_Z38paged_attention_ll4mi_QKV_mfma4_kernelIDF16_hLN4vllm18Fp8KVCacheDataTypeE1EDF16_Li32ELi64ELi256ELb1ELi2EEvPKT_PKT0_S7_ifPKiS9_S9_iPKfiiiPfSC_PS2_PT2_iSB_SB_
	.p2align	8
	.type	_Z38paged_attention_ll4mi_QKV_mfma4_kernelIDF16_hLN4vllm18Fp8KVCacheDataTypeE1EDF16_Li32ELi64ELi256ELb1ELi2EEvPKT_PKT0_S7_ifPKiS9_S9_iPKfiiiPfSC_PS2_PT2_iSB_SB_,@function
_Z38paged_attention_ll4mi_QKV_mfma4_kernelIDF16_hLN4vllm18Fp8KVCacheDataTypeE1EDF16_Li32ELi64ELi256ELb1ELi2EEvPKT_PKT0_S7_ifPKiS9_S9_iPKfiiiPfSC_PS2_PT2_iSB_SB_: ; @_Z38paged_attention_ll4mi_QKV_mfma4_kernelIDF16_hLN4vllm18Fp8KVCacheDataTypeE1EDF16_Li32ELi64ELi256ELb1ELi2EEvPKT_PKT0_S7_ifPKiS9_S9_iPKfiiiPfSC_PS2_PT2_iSB_SB_
; %bb.0:
	s_add_u32 s8, s0, 0x90
	s_addc_u32 s9, s1, 0
	s_getpc_b64 s[0:1]
	s_add_u32 s0, s0, __PRETTY_FUNCTION__._Z38paged_attention_ll4mi_QKV_mfma4_kernelIDF16_hLN4vllm18Fp8KVCacheDataTypeE1EDF16_Li32ELi64ELi256ELb1ELi2EEvPKT_PKT0_S7_ifPKiS9_S9_iPKfiiiPfSC_PS2_PT2_iSB_SB_@rel32@lo+4
	s_addc_u32 s1, s1, __PRETTY_FUNCTION__._Z38paged_attention_ll4mi_QKV_mfma4_kernelIDF16_hLN4vllm18Fp8KVCacheDataTypeE1EDF16_Li32ELi64ELi256ELb1ELi2EEvPKT_PKT0_S7_ifPKiS9_S9_iPKfiiiPfSC_PS2_PT2_iSB_SB_@rel32@hi+12
	s_delay_alu instid0(SALU_CYCLE_1) | instskip(SKIP_4) | instid1(SALU_CYCLE_1)
	v_dual_mov_b32 v0, s0 :: v_dual_mov_b32 v1, s1
	s_mov_b32 s32, 0
	s_getpc_b64 s[2:3]
	s_add_u32 s2, s2, __assert_fail@rel32@lo+4
	s_addc_u32 s3, s3, __assert_fail@rel32@hi+12
	s_swappc_b64 s[30:31], s[2:3]
	.section	.rodata,"a",@progbits
	.p2align	6, 0x0
	.amdhsa_kernel _Z38paged_attention_ll4mi_QKV_mfma4_kernelIDF16_hLN4vllm18Fp8KVCacheDataTypeE1EDF16_Li32ELi64ELi256ELb1ELi2EEvPKT_PKT0_S7_ifPKiS9_S9_iPKfiiiPfSC_PS2_PT2_iSB_SB_
		.amdhsa_group_segment_fixed_size 0
		.amdhsa_private_segment_fixed_size 64
		.amdhsa_kernarg_size 400
		.amdhsa_user_sgpr_count 15
		.amdhsa_user_sgpr_dispatch_ptr 0
		.amdhsa_user_sgpr_queue_ptr 0
		.amdhsa_user_sgpr_kernarg_segment_ptr 1
		.amdhsa_user_sgpr_dispatch_id 0
		.amdhsa_user_sgpr_private_segment_size 0
		.amdhsa_wavefront_size32 1
		.amdhsa_uses_dynamic_stack 0
		.amdhsa_enable_private_segment 1
		.amdhsa_system_sgpr_workgroup_id_x 1
		.amdhsa_system_sgpr_workgroup_id_y 0
		.amdhsa_system_sgpr_workgroup_id_z 0
		.amdhsa_system_sgpr_workgroup_info 0
		.amdhsa_system_vgpr_workitem_id 0
		.amdhsa_next_free_vgpr 41
		.amdhsa_next_free_sgpr 34
		.amdhsa_reserve_vcc 1
		.amdhsa_float_round_mode_32 0
		.amdhsa_float_round_mode_16_64 0
		.amdhsa_float_denorm_mode_32 3
		.amdhsa_float_denorm_mode_16_64 3
		.amdhsa_dx10_clamp 1
		.amdhsa_ieee_mode 1
		.amdhsa_fp16_overflow 0
		.amdhsa_workgroup_processor_mode 1
		.amdhsa_memory_ordered 1
		.amdhsa_forward_progress 0
		.amdhsa_shared_vgpr_count 0
		.amdhsa_exception_fp_ieee_invalid_op 0
		.amdhsa_exception_fp_denorm_src 0
		.amdhsa_exception_fp_ieee_div_zero 0
		.amdhsa_exception_fp_ieee_overflow 0
		.amdhsa_exception_fp_ieee_underflow 0
		.amdhsa_exception_fp_ieee_inexact 0
		.amdhsa_exception_int_div_zero 0
	.end_amdhsa_kernel
	.section	.text._Z38paged_attention_ll4mi_QKV_mfma4_kernelIDF16_hLN4vllm18Fp8KVCacheDataTypeE1EDF16_Li32ELi64ELi256ELb1ELi2EEvPKT_PKT0_S7_ifPKiS9_S9_iPKfiiiPfSC_PS2_PT2_iSB_SB_,"axG",@progbits,_Z38paged_attention_ll4mi_QKV_mfma4_kernelIDF16_hLN4vllm18Fp8KVCacheDataTypeE1EDF16_Li32ELi64ELi256ELb1ELi2EEvPKT_PKT0_S7_ifPKiS9_S9_iPKfiiiPfSC_PS2_PT2_iSB_SB_,comdat
.Lfunc_end891:
	.size	_Z38paged_attention_ll4mi_QKV_mfma4_kernelIDF16_hLN4vllm18Fp8KVCacheDataTypeE1EDF16_Li32ELi64ELi256ELb1ELi2EEvPKT_PKT0_S7_ifPKiS9_S9_iPKfiiiPfSC_PS2_PT2_iSB_SB_, .Lfunc_end891-_Z38paged_attention_ll4mi_QKV_mfma4_kernelIDF16_hLN4vllm18Fp8KVCacheDataTypeE1EDF16_Li32ELi64ELi256ELb1ELi2EEvPKT_PKT0_S7_ifPKiS9_S9_iPKfiiiPfSC_PS2_PT2_iSB_SB_
                                        ; -- End function
	.section	.AMDGPU.csdata,"",@progbits
; Kernel info:
; codeLenInByte = 72
; NumSgprs: 36
; NumVgprs: 41
; ScratchSize: 64
; MemoryBound: 0
; FloatMode: 240
; IeeeMode: 1
; LDSByteSize: 0 bytes/workgroup (compile time only)
; SGPRBlocks: 4
; VGPRBlocks: 5
; NumSGPRsForWavesPerEU: 36
; NumVGPRsForWavesPerEU: 41
; Occupancy: 16
; WaveLimiterHint : 1
; COMPUTE_PGM_RSRC2:SCRATCH_EN: 1
; COMPUTE_PGM_RSRC2:USER_SGPR: 15
; COMPUTE_PGM_RSRC2:TRAP_HANDLER: 0
; COMPUTE_PGM_RSRC2:TGID_X_EN: 1
; COMPUTE_PGM_RSRC2:TGID_Y_EN: 0
; COMPUTE_PGM_RSRC2:TGID_Z_EN: 0
; COMPUTE_PGM_RSRC2:TIDIG_COMP_CNT: 0
	.section	.text._Z38paged_attention_ll4mi_QKV_mfma4_kernelIDF16_hLN4vllm18Fp8KVCacheDataTypeE1EDF16_Li32ELi64ELi256ELb1ELi3EEvPKT_PKT0_S7_ifPKiS9_S9_iPKfiiiPfSC_PS2_PT2_iSB_SB_,"axG",@progbits,_Z38paged_attention_ll4mi_QKV_mfma4_kernelIDF16_hLN4vllm18Fp8KVCacheDataTypeE1EDF16_Li32ELi64ELi256ELb1ELi3EEvPKT_PKT0_S7_ifPKiS9_S9_iPKfiiiPfSC_PS2_PT2_iSB_SB_,comdat
	.protected	_Z38paged_attention_ll4mi_QKV_mfma4_kernelIDF16_hLN4vllm18Fp8KVCacheDataTypeE1EDF16_Li32ELi64ELi256ELb1ELi3EEvPKT_PKT0_S7_ifPKiS9_S9_iPKfiiiPfSC_PS2_PT2_iSB_SB_ ; -- Begin function _Z38paged_attention_ll4mi_QKV_mfma4_kernelIDF16_hLN4vllm18Fp8KVCacheDataTypeE1EDF16_Li32ELi64ELi256ELb1ELi3EEvPKT_PKT0_S7_ifPKiS9_S9_iPKfiiiPfSC_PS2_PT2_iSB_SB_
	.globl	_Z38paged_attention_ll4mi_QKV_mfma4_kernelIDF16_hLN4vllm18Fp8KVCacheDataTypeE1EDF16_Li32ELi64ELi256ELb1ELi3EEvPKT_PKT0_S7_ifPKiS9_S9_iPKfiiiPfSC_PS2_PT2_iSB_SB_
	.p2align	8
	.type	_Z38paged_attention_ll4mi_QKV_mfma4_kernelIDF16_hLN4vllm18Fp8KVCacheDataTypeE1EDF16_Li32ELi64ELi256ELb1ELi3EEvPKT_PKT0_S7_ifPKiS9_S9_iPKfiiiPfSC_PS2_PT2_iSB_SB_,@function
_Z38paged_attention_ll4mi_QKV_mfma4_kernelIDF16_hLN4vllm18Fp8KVCacheDataTypeE1EDF16_Li32ELi64ELi256ELb1ELi3EEvPKT_PKT0_S7_ifPKiS9_S9_iPKfiiiPfSC_PS2_PT2_iSB_SB_: ; @_Z38paged_attention_ll4mi_QKV_mfma4_kernelIDF16_hLN4vllm18Fp8KVCacheDataTypeE1EDF16_Li32ELi64ELi256ELb1ELi3EEvPKT_PKT0_S7_ifPKiS9_S9_iPKfiiiPfSC_PS2_PT2_iSB_SB_
; %bb.0:
	s_add_u32 s8, s0, 0x90
	s_addc_u32 s9, s1, 0
	s_getpc_b64 s[0:1]
	s_add_u32 s0, s0, __PRETTY_FUNCTION__._Z38paged_attention_ll4mi_QKV_mfma4_kernelIDF16_hLN4vllm18Fp8KVCacheDataTypeE1EDF16_Li32ELi64ELi256ELb1ELi3EEvPKT_PKT0_S7_ifPKiS9_S9_iPKfiiiPfSC_PS2_PT2_iSB_SB_@rel32@lo+4
	s_addc_u32 s1, s1, __PRETTY_FUNCTION__._Z38paged_attention_ll4mi_QKV_mfma4_kernelIDF16_hLN4vllm18Fp8KVCacheDataTypeE1EDF16_Li32ELi64ELi256ELb1ELi3EEvPKT_PKT0_S7_ifPKiS9_S9_iPKfiiiPfSC_PS2_PT2_iSB_SB_@rel32@hi+12
	s_delay_alu instid0(SALU_CYCLE_1) | instskip(SKIP_4) | instid1(SALU_CYCLE_1)
	v_dual_mov_b32 v0, s0 :: v_dual_mov_b32 v1, s1
	s_mov_b32 s32, 0
	s_getpc_b64 s[2:3]
	s_add_u32 s2, s2, __assert_fail@rel32@lo+4
	s_addc_u32 s3, s3, __assert_fail@rel32@hi+12
	s_swappc_b64 s[30:31], s[2:3]
	.section	.rodata,"a",@progbits
	.p2align	6, 0x0
	.amdhsa_kernel _Z38paged_attention_ll4mi_QKV_mfma4_kernelIDF16_hLN4vllm18Fp8KVCacheDataTypeE1EDF16_Li32ELi64ELi256ELb1ELi3EEvPKT_PKT0_S7_ifPKiS9_S9_iPKfiiiPfSC_PS2_PT2_iSB_SB_
		.amdhsa_group_segment_fixed_size 0
		.amdhsa_private_segment_fixed_size 64
		.amdhsa_kernarg_size 400
		.amdhsa_user_sgpr_count 15
		.amdhsa_user_sgpr_dispatch_ptr 0
		.amdhsa_user_sgpr_queue_ptr 0
		.amdhsa_user_sgpr_kernarg_segment_ptr 1
		.amdhsa_user_sgpr_dispatch_id 0
		.amdhsa_user_sgpr_private_segment_size 0
		.amdhsa_wavefront_size32 1
		.amdhsa_uses_dynamic_stack 0
		.amdhsa_enable_private_segment 1
		.amdhsa_system_sgpr_workgroup_id_x 1
		.amdhsa_system_sgpr_workgroup_id_y 0
		.amdhsa_system_sgpr_workgroup_id_z 0
		.amdhsa_system_sgpr_workgroup_info 0
		.amdhsa_system_vgpr_workitem_id 0
		.amdhsa_next_free_vgpr 41
		.amdhsa_next_free_sgpr 34
		.amdhsa_reserve_vcc 1
		.amdhsa_float_round_mode_32 0
		.amdhsa_float_round_mode_16_64 0
		.amdhsa_float_denorm_mode_32 3
		.amdhsa_float_denorm_mode_16_64 3
		.amdhsa_dx10_clamp 1
		.amdhsa_ieee_mode 1
		.amdhsa_fp16_overflow 0
		.amdhsa_workgroup_processor_mode 1
		.amdhsa_memory_ordered 1
		.amdhsa_forward_progress 0
		.amdhsa_shared_vgpr_count 0
		.amdhsa_exception_fp_ieee_invalid_op 0
		.amdhsa_exception_fp_denorm_src 0
		.amdhsa_exception_fp_ieee_div_zero 0
		.amdhsa_exception_fp_ieee_overflow 0
		.amdhsa_exception_fp_ieee_underflow 0
		.amdhsa_exception_fp_ieee_inexact 0
		.amdhsa_exception_int_div_zero 0
	.end_amdhsa_kernel
	.section	.text._Z38paged_attention_ll4mi_QKV_mfma4_kernelIDF16_hLN4vllm18Fp8KVCacheDataTypeE1EDF16_Li32ELi64ELi256ELb1ELi3EEvPKT_PKT0_S7_ifPKiS9_S9_iPKfiiiPfSC_PS2_PT2_iSB_SB_,"axG",@progbits,_Z38paged_attention_ll4mi_QKV_mfma4_kernelIDF16_hLN4vllm18Fp8KVCacheDataTypeE1EDF16_Li32ELi64ELi256ELb1ELi3EEvPKT_PKT0_S7_ifPKiS9_S9_iPKfiiiPfSC_PS2_PT2_iSB_SB_,comdat
.Lfunc_end892:
	.size	_Z38paged_attention_ll4mi_QKV_mfma4_kernelIDF16_hLN4vllm18Fp8KVCacheDataTypeE1EDF16_Li32ELi64ELi256ELb1ELi3EEvPKT_PKT0_S7_ifPKiS9_S9_iPKfiiiPfSC_PS2_PT2_iSB_SB_, .Lfunc_end892-_Z38paged_attention_ll4mi_QKV_mfma4_kernelIDF16_hLN4vllm18Fp8KVCacheDataTypeE1EDF16_Li32ELi64ELi256ELb1ELi3EEvPKT_PKT0_S7_ifPKiS9_S9_iPKfiiiPfSC_PS2_PT2_iSB_SB_
                                        ; -- End function
	.section	.AMDGPU.csdata,"",@progbits
; Kernel info:
; codeLenInByte = 72
; NumSgprs: 36
; NumVgprs: 41
; ScratchSize: 64
; MemoryBound: 0
; FloatMode: 240
; IeeeMode: 1
; LDSByteSize: 0 bytes/workgroup (compile time only)
; SGPRBlocks: 4
; VGPRBlocks: 5
; NumSGPRsForWavesPerEU: 36
; NumVGPRsForWavesPerEU: 41
; Occupancy: 16
; WaveLimiterHint : 1
; COMPUTE_PGM_RSRC2:SCRATCH_EN: 1
; COMPUTE_PGM_RSRC2:USER_SGPR: 15
; COMPUTE_PGM_RSRC2:TRAP_HANDLER: 0
; COMPUTE_PGM_RSRC2:TGID_X_EN: 1
; COMPUTE_PGM_RSRC2:TGID_Y_EN: 0
; COMPUTE_PGM_RSRC2:TGID_Z_EN: 0
; COMPUTE_PGM_RSRC2:TIDIG_COMP_CNT: 0
	.section	.text._Z38paged_attention_ll4mi_QKV_mfma4_kernelIDF16_hLN4vllm18Fp8KVCacheDataTypeE1EDF16_Li32ELi64ELi256ELb1ELi4EEvPKT_PKT0_S7_ifPKiS9_S9_iPKfiiiPfSC_PS2_PT2_iSB_SB_,"axG",@progbits,_Z38paged_attention_ll4mi_QKV_mfma4_kernelIDF16_hLN4vllm18Fp8KVCacheDataTypeE1EDF16_Li32ELi64ELi256ELb1ELi4EEvPKT_PKT0_S7_ifPKiS9_S9_iPKfiiiPfSC_PS2_PT2_iSB_SB_,comdat
	.protected	_Z38paged_attention_ll4mi_QKV_mfma4_kernelIDF16_hLN4vllm18Fp8KVCacheDataTypeE1EDF16_Li32ELi64ELi256ELb1ELi4EEvPKT_PKT0_S7_ifPKiS9_S9_iPKfiiiPfSC_PS2_PT2_iSB_SB_ ; -- Begin function _Z38paged_attention_ll4mi_QKV_mfma4_kernelIDF16_hLN4vllm18Fp8KVCacheDataTypeE1EDF16_Li32ELi64ELi256ELb1ELi4EEvPKT_PKT0_S7_ifPKiS9_S9_iPKfiiiPfSC_PS2_PT2_iSB_SB_
	.globl	_Z38paged_attention_ll4mi_QKV_mfma4_kernelIDF16_hLN4vllm18Fp8KVCacheDataTypeE1EDF16_Li32ELi64ELi256ELb1ELi4EEvPKT_PKT0_S7_ifPKiS9_S9_iPKfiiiPfSC_PS2_PT2_iSB_SB_
	.p2align	8
	.type	_Z38paged_attention_ll4mi_QKV_mfma4_kernelIDF16_hLN4vllm18Fp8KVCacheDataTypeE1EDF16_Li32ELi64ELi256ELb1ELi4EEvPKT_PKT0_S7_ifPKiS9_S9_iPKfiiiPfSC_PS2_PT2_iSB_SB_,@function
_Z38paged_attention_ll4mi_QKV_mfma4_kernelIDF16_hLN4vllm18Fp8KVCacheDataTypeE1EDF16_Li32ELi64ELi256ELb1ELi4EEvPKT_PKT0_S7_ifPKiS9_S9_iPKfiiiPfSC_PS2_PT2_iSB_SB_: ; @_Z38paged_attention_ll4mi_QKV_mfma4_kernelIDF16_hLN4vllm18Fp8KVCacheDataTypeE1EDF16_Li32ELi64ELi256ELb1ELi4EEvPKT_PKT0_S7_ifPKiS9_S9_iPKfiiiPfSC_PS2_PT2_iSB_SB_
; %bb.0:
	s_add_u32 s8, s0, 0x90
	s_addc_u32 s9, s1, 0
	s_getpc_b64 s[0:1]
	s_add_u32 s0, s0, __PRETTY_FUNCTION__._Z38paged_attention_ll4mi_QKV_mfma4_kernelIDF16_hLN4vllm18Fp8KVCacheDataTypeE1EDF16_Li32ELi64ELi256ELb1ELi4EEvPKT_PKT0_S7_ifPKiS9_S9_iPKfiiiPfSC_PS2_PT2_iSB_SB_@rel32@lo+4
	s_addc_u32 s1, s1, __PRETTY_FUNCTION__._Z38paged_attention_ll4mi_QKV_mfma4_kernelIDF16_hLN4vllm18Fp8KVCacheDataTypeE1EDF16_Li32ELi64ELi256ELb1ELi4EEvPKT_PKT0_S7_ifPKiS9_S9_iPKfiiiPfSC_PS2_PT2_iSB_SB_@rel32@hi+12
	s_delay_alu instid0(SALU_CYCLE_1) | instskip(SKIP_4) | instid1(SALU_CYCLE_1)
	v_dual_mov_b32 v0, s0 :: v_dual_mov_b32 v1, s1
	s_mov_b32 s32, 0
	s_getpc_b64 s[2:3]
	s_add_u32 s2, s2, __assert_fail@rel32@lo+4
	s_addc_u32 s3, s3, __assert_fail@rel32@hi+12
	s_swappc_b64 s[30:31], s[2:3]
	.section	.rodata,"a",@progbits
	.p2align	6, 0x0
	.amdhsa_kernel _Z38paged_attention_ll4mi_QKV_mfma4_kernelIDF16_hLN4vllm18Fp8KVCacheDataTypeE1EDF16_Li32ELi64ELi256ELb1ELi4EEvPKT_PKT0_S7_ifPKiS9_S9_iPKfiiiPfSC_PS2_PT2_iSB_SB_
		.amdhsa_group_segment_fixed_size 0
		.amdhsa_private_segment_fixed_size 64
		.amdhsa_kernarg_size 400
		.amdhsa_user_sgpr_count 15
		.amdhsa_user_sgpr_dispatch_ptr 0
		.amdhsa_user_sgpr_queue_ptr 0
		.amdhsa_user_sgpr_kernarg_segment_ptr 1
		.amdhsa_user_sgpr_dispatch_id 0
		.amdhsa_user_sgpr_private_segment_size 0
		.amdhsa_wavefront_size32 1
		.amdhsa_uses_dynamic_stack 0
		.amdhsa_enable_private_segment 1
		.amdhsa_system_sgpr_workgroup_id_x 1
		.amdhsa_system_sgpr_workgroup_id_y 0
		.amdhsa_system_sgpr_workgroup_id_z 0
		.amdhsa_system_sgpr_workgroup_info 0
		.amdhsa_system_vgpr_workitem_id 0
		.amdhsa_next_free_vgpr 41
		.amdhsa_next_free_sgpr 34
		.amdhsa_reserve_vcc 1
		.amdhsa_float_round_mode_32 0
		.amdhsa_float_round_mode_16_64 0
		.amdhsa_float_denorm_mode_32 3
		.amdhsa_float_denorm_mode_16_64 3
		.amdhsa_dx10_clamp 1
		.amdhsa_ieee_mode 1
		.amdhsa_fp16_overflow 0
		.amdhsa_workgroup_processor_mode 1
		.amdhsa_memory_ordered 1
		.amdhsa_forward_progress 0
		.amdhsa_shared_vgpr_count 0
		.amdhsa_exception_fp_ieee_invalid_op 0
		.amdhsa_exception_fp_denorm_src 0
		.amdhsa_exception_fp_ieee_div_zero 0
		.amdhsa_exception_fp_ieee_overflow 0
		.amdhsa_exception_fp_ieee_underflow 0
		.amdhsa_exception_fp_ieee_inexact 0
		.amdhsa_exception_int_div_zero 0
	.end_amdhsa_kernel
	.section	.text._Z38paged_attention_ll4mi_QKV_mfma4_kernelIDF16_hLN4vllm18Fp8KVCacheDataTypeE1EDF16_Li32ELi64ELi256ELb1ELi4EEvPKT_PKT0_S7_ifPKiS9_S9_iPKfiiiPfSC_PS2_PT2_iSB_SB_,"axG",@progbits,_Z38paged_attention_ll4mi_QKV_mfma4_kernelIDF16_hLN4vllm18Fp8KVCacheDataTypeE1EDF16_Li32ELi64ELi256ELb1ELi4EEvPKT_PKT0_S7_ifPKiS9_S9_iPKfiiiPfSC_PS2_PT2_iSB_SB_,comdat
.Lfunc_end893:
	.size	_Z38paged_attention_ll4mi_QKV_mfma4_kernelIDF16_hLN4vllm18Fp8KVCacheDataTypeE1EDF16_Li32ELi64ELi256ELb1ELi4EEvPKT_PKT0_S7_ifPKiS9_S9_iPKfiiiPfSC_PS2_PT2_iSB_SB_, .Lfunc_end893-_Z38paged_attention_ll4mi_QKV_mfma4_kernelIDF16_hLN4vllm18Fp8KVCacheDataTypeE1EDF16_Li32ELi64ELi256ELb1ELi4EEvPKT_PKT0_S7_ifPKiS9_S9_iPKfiiiPfSC_PS2_PT2_iSB_SB_
                                        ; -- End function
	.section	.AMDGPU.csdata,"",@progbits
; Kernel info:
; codeLenInByte = 72
; NumSgprs: 36
; NumVgprs: 41
; ScratchSize: 64
; MemoryBound: 0
; FloatMode: 240
; IeeeMode: 1
; LDSByteSize: 0 bytes/workgroup (compile time only)
; SGPRBlocks: 4
; VGPRBlocks: 5
; NumSGPRsForWavesPerEU: 36
; NumVGPRsForWavesPerEU: 41
; Occupancy: 16
; WaveLimiterHint : 1
; COMPUTE_PGM_RSRC2:SCRATCH_EN: 1
; COMPUTE_PGM_RSRC2:USER_SGPR: 15
; COMPUTE_PGM_RSRC2:TRAP_HANDLER: 0
; COMPUTE_PGM_RSRC2:TGID_X_EN: 1
; COMPUTE_PGM_RSRC2:TGID_Y_EN: 0
; COMPUTE_PGM_RSRC2:TGID_Z_EN: 0
; COMPUTE_PGM_RSRC2:TIDIG_COMP_CNT: 0
	.section	.text._Z39paged_attention_ll4mi_QKV_mfma16_kernelIDF16_hLN4vllm18Fp8KVCacheDataTypeE1EDF16_Li32ELi64ELi256ELb1ELi5EL8MFMAType1EEvPKT_PKT0_S8_ifPKiSA_SA_iPKfiiiPfSD_PS3_PT2_iSC_SC_,"axG",@progbits,_Z39paged_attention_ll4mi_QKV_mfma16_kernelIDF16_hLN4vllm18Fp8KVCacheDataTypeE1EDF16_Li32ELi64ELi256ELb1ELi5EL8MFMAType1EEvPKT_PKT0_S8_ifPKiSA_SA_iPKfiiiPfSD_PS3_PT2_iSC_SC_,comdat
	.protected	_Z39paged_attention_ll4mi_QKV_mfma16_kernelIDF16_hLN4vllm18Fp8KVCacheDataTypeE1EDF16_Li32ELi64ELi256ELb1ELi5EL8MFMAType1EEvPKT_PKT0_S8_ifPKiSA_SA_iPKfiiiPfSD_PS3_PT2_iSC_SC_ ; -- Begin function _Z39paged_attention_ll4mi_QKV_mfma16_kernelIDF16_hLN4vllm18Fp8KVCacheDataTypeE1EDF16_Li32ELi64ELi256ELb1ELi5EL8MFMAType1EEvPKT_PKT0_S8_ifPKiSA_SA_iPKfiiiPfSD_PS3_PT2_iSC_SC_
	.globl	_Z39paged_attention_ll4mi_QKV_mfma16_kernelIDF16_hLN4vllm18Fp8KVCacheDataTypeE1EDF16_Li32ELi64ELi256ELb1ELi5EL8MFMAType1EEvPKT_PKT0_S8_ifPKiSA_SA_iPKfiiiPfSD_PS3_PT2_iSC_SC_
	.p2align	8
	.type	_Z39paged_attention_ll4mi_QKV_mfma16_kernelIDF16_hLN4vllm18Fp8KVCacheDataTypeE1EDF16_Li32ELi64ELi256ELb1ELi5EL8MFMAType1EEvPKT_PKT0_S8_ifPKiSA_SA_iPKfiiiPfSD_PS3_PT2_iSC_SC_,@function
_Z39paged_attention_ll4mi_QKV_mfma16_kernelIDF16_hLN4vllm18Fp8KVCacheDataTypeE1EDF16_Li32ELi64ELi256ELb1ELi5EL8MFMAType1EEvPKT_PKT0_S8_ifPKiSA_SA_iPKfiiiPfSD_PS3_PT2_iSC_SC_: ; @_Z39paged_attention_ll4mi_QKV_mfma16_kernelIDF16_hLN4vllm18Fp8KVCacheDataTypeE1EDF16_Li32ELi64ELi256ELb1ELi5EL8MFMAType1EEvPKT_PKT0_S8_ifPKiSA_SA_iPKfiiiPfSD_PS3_PT2_iSC_SC_
; %bb.0:
	s_load_b64 s[2:3], s[0:1], 0x30
	s_mov_b32 s34, s13
	s_waitcnt lgkmcnt(0)
	s_cmp_lg_u64 s[2:3], 0
	s_cselect_b32 s6, -1, 0
	s_ashr_i32 s35, s13, 31
	s_cmp_eq_u64 s[2:3], 0
	s_cbranch_scc1 .LBB894_3
; %bb.1:
	s_lshl_b64 s[4:5], s[34:35], 2
	s_delay_alu instid0(SALU_CYCLE_1) | instskip(SKIP_4) | instid1(SALU_CYCLE_1)
	s_add_u32 s4, s2, s4
	s_addc_u32 s5, s3, s5
	s_load_b64 s[4:5], s[4:5], 0x0
	s_waitcnt lgkmcnt(0)
	s_sub_i32 s4, s5, s4
	s_cmp_eq_u32 s4, 1
	s_cselect_b32 s4, -1, 0
	s_delay_alu instid0(SALU_CYCLE_1)
	s_and_not1_b32 vcc_lo, exec_lo, s4
	s_cbranch_vccz .LBB894_4
.LBB894_2:
	s_nop 0
	s_sendmsg sendmsg(MSG_DEALLOC_VGPRS)
	s_endpgm
.LBB894_3:
.LBB894_4:
	s_load_b64 s[8:9], s[0:1], 0x28
	s_lshl_b64 s[4:5], s[34:35], 2
	s_waitcnt lgkmcnt(0)
	s_add_u32 s8, s8, s4
	s_addc_u32 s9, s9, s5
	s_lshl_b32 s16, s14, 8
	s_load_b32 s18, s[8:9], 0x0
	s_waitcnt lgkmcnt(0)
	s_cmp_ge_i32 s16, s18
	s_cbranch_scc1 .LBB894_2
; %bb.5:
	s_clause 0x1
	s_load_b128 s[8:11], s[0:1], 0x8
	s_load_b64 s[12:13], s[0:1], 0x20
	s_and_not1_b32 vcc_lo, exec_lo, s6
	s_cbranch_vccnz .LBB894_7
; %bb.6:
	s_add_u32 s2, s2, s4
	s_addc_u32 s3, s3, s5
	s_load_b32 s3, s[2:3], 0x0
	s_branch .LBB894_8
.LBB894_7:
	s_mov_b32 s3, s34
.LBB894_8:
	s_load_b128 s[4:7], s[0:1], 0x48
	v_lshrrev_b32_e32 v69, 5, v0
	v_bfe_u32 v66, v0, 4, 1
	v_and_b32_e32 v68, 15, v0
	v_and_b32_e32 v70, 31, v0
	;; [unrolled: 1-line block ×3, first 2 shown]
	s_mul_i32 s33, s15, 5
	v_lshl_or_b32 v1, v69, 1, v66
	v_lshlrev_b32_e32 v2, 3, v68
	v_cmp_gt_u32_e64 s2, 8, v68
	s_delay_alu instid0(VALU_DEP_3) | instskip(NEXT) | instid1(VALU_DEP_3)
	v_cmp_gt_u32_e32 vcc_lo, 5, v1
	v_lshlrev_b32_e32 v65, 1, v2
	s_delay_alu instid0(VALU_DEP_3)
	s_and_b32 s17, s2, vcc_lo
	s_waitcnt lgkmcnt(0)
	s_and_saveexec_b32 s7, s17
	s_cbranch_execz .LBB894_10
; %bb.9:
	s_load_b64 s[20:21], s[0:1], 0x0
	v_add_lshl_u32 v2, v1, s33, 6
	s_mul_hi_i32 s23, s3, s4
	s_mul_i32 s22, s3, s4
	v_lshlrev_b32_e32 v6, 10, v68
	s_lshl_b64 s[22:23], s[22:23], 1
	v_ashrrev_i32_e32 v3, 31, v2
	v_lshlrev_b32_e32 v1, 6, v1
	v_lshlrev_b32_e32 v7, 10, v67
	v_and_b32_e32 v6, 0x3800, v6
	s_delay_alu instid0(VALU_DEP_4) | instskip(NEXT) | instid1(VALU_DEP_2)
	v_lshlrev_b64 v[2:3], 1, v[2:3]
	v_or3_b32 v1, v6, v7, v1
	s_waitcnt lgkmcnt(0)
	s_add_u32 s3, s20, s22
	s_addc_u32 s4, s21, s23
	s_delay_alu instid0(VALU_DEP_2) | instskip(SKIP_1) | instid1(VALU_DEP_2)
	v_add_co_u32 v2, vcc_lo, s3, v2
	v_add_co_ci_u32_e32 v3, vcc_lo, s4, v3, vcc_lo
	v_add_co_u32 v2, vcc_lo, v2, v65
	s_delay_alu instid0(VALU_DEP_2)
	v_add_co_ci_u32_e32 v3, vcc_lo, 0, v3, vcc_lo
	global_load_b128 v[2:5], v[2:3], off
	s_waitcnt vmcnt(0)
	ds_store_b128 v1, v[2:5]
.LBB894_10:
	s_or_b32 exec_lo, exec_lo, s7
	v_and_b32_e32 v1, 0xef, v0
	s_add_i32 s3, s18, 31
	s_clause 0x1
	s_load_b32 s4, s[0:1], 0x38
	s_load_b32 s35, s[0:1], 0x98
	s_ashr_i32 s7, s3, 31
	v_add_nc_u32_e32 v1, s16, v1
	s_lshr_b32 s7, s7, 27
	s_load_b32 s19, s[0:1], 0x1c
	s_add_i32 s3, s3, s7
	s_waitcnt lgkmcnt(0)
	v_ashrrev_i32_e32 v2, 31, v1
	v_or_b32_e32 v3, 16, v1
	s_ashr_i32 s3, s3, 5
	v_cmp_gt_i32_e32 vcc_lo, s18, v1
	s_add_i32 s3, s3, -1
	v_lshrrev_b32_e32 v2, 27, v2
	s_barrier
	buffer_gl0_inv
	s_mul_i32 s15, s15, s6
	v_mul_lo_u16 v103, v68, 52
	v_add_nc_u32_e32 v4, v1, v2
	v_mbcnt_lo_u32_b32 v127, -1, 0
	s_mul_i32 s20, s34, s4
	s_delay_alu instid0(SALU_CYCLE_1) | instskip(NEXT) | instid1(VALU_DEP_2)
	s_ashr_i32 s21, s20, 31
	v_ashrrev_i32_e32 v4, 5, v4
	v_add_nc_u32_e32 v2, v3, v2
	s_lshl_b64 s[20:21], s[20:21], 2
	v_lshrrev_b16 v103, 8, v103
	s_add_u32 s17, s12, s20
	v_cndmask_b32_e32 v1, s3, v4, vcc_lo
	v_ashrrev_i32_e32 v2, 5, v2
	v_cmp_gt_i32_e32 vcc_lo, s18, v3
	s_addc_u32 s13, s13, s21
	s_ashr_i32 s20, s15, 31
	s_add_u32 s22, s8, s15
	s_addc_u32 s23, s9, s20
	v_cndmask_b32_e32 v3, s3, v2, vcc_lo
	v_ashrrev_i32_e32 v2, 31, v1
	s_lshl_b32 s6, s14, 3
	v_mul_lo_u16 v103, v103, 5
	s_ashr_i32 s7, s6, 31
	v_ashrrev_i32_e32 v4, 31, v3
	v_lshlrev_b64 v[1:2], 2, v[1:2]
	s_lshl_b64 s[6:7], s[6:7], 2
	v_sub_nc_u16 v103, v68, v103
	s_add_u32 s6, s17, s6
	v_lshlrev_b64 v[3:4], 2, v[3:4]
	s_addc_u32 s7, s13, s7
	v_add_co_u32 v1, vcc_lo, s17, v1
	v_add_co_ci_u32_e32 v2, vcc_lo, s13, v2, vcc_lo
	s_delay_alu instid0(VALU_DEP_3) | instskip(NEXT) | instid1(VALU_DEP_4)
	v_add_co_u32 v3, vcc_lo, s17, v3
	v_add_co_ci_u32_e32 v4, vcc_lo, s13, v4, vcc_lo
	s_clause 0x1
	global_load_b32 v5, v[1:2], off
	global_load_b32 v6, v[3:4], off
	s_or_b32 s4, s16, 32
	v_xor_b32_e32 v128, 16, v127
	s_ashr_i32 s8, s4, 5
	s_cmp_lt_i32 s4, s18
	s_cselect_b32 s8, s8, s3
	s_delay_alu instid0(SALU_CYCLE_1) | instskip(NEXT) | instid1(SALU_CYCLE_1)
	s_ashr_i32 s9, s8, 31
	s_lshl_b64 s[8:9], s[8:9], 2
	s_delay_alu instid0(SALU_CYCLE_1) | instskip(SKIP_2) | instid1(SALU_CYCLE_1)
	s_add_u32 s8, s17, s8
	s_addc_u32 s9, s13, s9
	s_or_b32 s4, s16, 64
	s_ashr_i32 s12, s4, 5
	s_cmp_lt_i32 s4, s18
	s_cselect_b32 s24, s12, s3
	s_delay_alu instid0(SALU_CYCLE_1) | instskip(NEXT) | instid1(SALU_CYCLE_1)
	s_ashr_i32 s25, s24, 31
	s_lshl_b64 s[24:25], s[24:25], 2
	s_delay_alu instid0(SALU_CYCLE_1) | instskip(SKIP_2) | instid1(SALU_CYCLE_1)
	s_add_u32 s24, s17, s24
	s_addc_u32 s25, s13, s25
	s_or_b32 s4, s16, 0x60
	;; [unrolled: 10-line block ×4, first 2 shown]
	s_ashr_i32 s12, s4, 5
	s_cmp_lt_i32 s4, s18
	s_cselect_b32 s30, s12, s3
	s_delay_alu instid0(SALU_CYCLE_1) | instskip(NEXT) | instid1(SALU_CYCLE_1)
	s_ashr_i32 s31, s30, 31
	s_lshl_b64 s[30:31], s[30:31], 2
	s_delay_alu instid0(SALU_CYCLE_1)
	s_add_u32 s30, s17, s30
	s_addc_u32 s31, s13, s31
	s_clause 0x5
	s_load_b32 s12, s[6:7], 0x0
	s_load_b32 s4, s[8:9], 0x0
	;; [unrolled: 1-line block ×6, first 2 shown]
	s_or_b32 s21, s16, 0xc0
	s_waitcnt vmcnt(1)
	v_mad_i64_i32 v[1:2], null, v5, s5, s[22:23]
	v_lshlrev_b32_e32 v5, 4, v68
	s_waitcnt vmcnt(0)
	v_mad_i64_i32 v[3:4], null, v6, s5, s[22:23]
	s_ashr_i32 s22, s21, 5
	s_cmp_lt_i32 s21, s18
	s_delay_alu instid0(VALU_DEP_3) | instskip(NEXT) | instid1(VALU_DEP_4)
	v_add_co_u32 v1, vcc_lo, v1, v5
	v_add_co_ci_u32_e32 v2, vcc_lo, 0, v2, vcc_lo
	s_delay_alu instid0(VALU_DEP_3) | instskip(NEXT) | instid1(VALU_DEP_4)
	v_add_co_u32 v3, vcc_lo, v3, v5
	v_add_co_ci_u32_e32 v4, vcc_lo, 0, v4, vcc_lo
	s_clause 0x7
	global_load_b128 v[71:74], v[1:2], off
	global_load_b128 v[75:78], v[1:2], off offset:512
	global_load_b128 v[79:82], v[3:4], off offset:256
	;; [unrolled: 1-line block ×7, first 2 shown]
	s_cselect_b32 s22, s22, s3
	v_lshlrev_b32_e32 v1, 5, v68
	s_ashr_i32 s23, s22, 31
	v_cmp_gt_i32_e32 vcc_lo, 32, v128
	s_lshl_b64 s[22:23], s[22:23], 2
	v_and_b32_e32 v103, 0xff, v103
	s_add_u32 s22, s17, s22
	s_addc_u32 s23, s13, s23
	v_cndmask_b32_e32 v136, v127, v128, vcc_lo
	s_or_b32 s21, s16, 0xe0
	v_lshl_or_b32 v1, v69, 9, v1
	s_ashr_i32 s24, s21, 5
	s_cmp_lt_i32 s21, s18
	v_lshlrev_b32_e32 v115, 6, v103
	s_cselect_b32 s24, s24, s3
	s_load_b32 s3, s[22:23], 0x0
	s_ashr_i32 s25, s24, 31
	s_delay_alu instid0(SALU_CYCLE_1) | instskip(NEXT) | instid1(SALU_CYCLE_1)
	s_lshl_b64 s[24:25], s[24:25], 2
	s_add_u32 s22, s17, s24
	s_addc_u32 s23, s13, s25
	s_add_u32 s10, s10, s15
	s_addc_u32 s11, s11, s20
	v_add_co_u32 v1, s10, s10, v1
	s_delay_alu instid0(VALU_DEP_1) | instskip(SKIP_2) | instid1(VALU_DEP_1)
	v_add_co_ci_u32_e64 v2, null, s11, 0, s10
	s_load_b32 s10, s[22:23], 0x0
	s_waitcnt lgkmcnt(0)
	v_mad_i64_i32 v[3:4], null, s12, s5, v[1:2]
	v_mad_i64_i32 v[9:10], null, s7, s5, v[1:2]
	;; [unrolled: 1-line block ×7, first 2 shown]
	s_clause 0x5
	global_load_b128 v[49:52], v[3:4], off
	global_load_b128 v[53:56], v[3:4], off offset:16
	global_load_b128 v[41:44], v[5:6], off
	global_load_b128 v[45:48], v[5:6], off offset:16
	global_load_b128 v[33:36], v[7:8], off
	global_load_b128 v[37:40], v[7:8], off offset:16
	s_mov_b32 s4, 0
	v_mad_i64_i32 v[61:62], null, s10, s5, v[1:2]
	s_clause 0x9
	global_load_b128 v[1:4], v[9:10], off
	global_load_b128 v[5:8], v[9:10], off offset:16
	global_load_b128 v[9:12], v[13:14], off
	global_load_b128 v[13:16], v[13:14], off offset:16
	;; [unrolled: 2-line block ×5, first 2 shown]
	s_mov_b32 s5, s4
	s_mov_b32 s6, s4
	;; [unrolled: 1-line block ×7, first 2 shown]
	v_and_b32_e32 v104, 0xe0, v0
	v_dual_mov_b32 v126, s11 :: v_dual_mov_b32 v123, s8
	v_dual_mov_b32 v125, s10 :: v_dual_mov_b32 v124, s9
	s_delay_alu instid0(VALU_DEP_3)
	v_add_nc_u32_e32 v111, s16, v104
	ds_load_b128 v[103:106], v115
	ds_load_b128 v[107:110], v115 offset:1024
	v_dual_mov_b32 v122, s7 :: v_dual_mov_b32 v121, s6
	v_mov_b32_e32 v120, s5
	v_or_b32_e32 v135, v111, v66
	ds_load_b128 v[111:114], v115 offset:2048
	ds_load_b128 v[115:118], v115 offset:3072
	v_mov_b32_e32 v119, s4
	s_waitcnt vmcnt(0) lgkmcnt(0)
	s_barrier
	v_or_b32_e32 v137, 2, v135
	v_or_b32_e32 v138, 4, v135
	;; [unrolled: 1-line block ×3, first 2 shown]
	v_cmp_gt_i32_e32 vcc_lo, s18, v135
	v_or_b32_e32 v140, 8, v135
	v_cmp_gt_i32_e64 s3, s18, v137
	v_or_b32_e32 v141, 10, v135
	v_cmp_gt_i32_e64 s4, s18, v138
	v_cmp_gt_i32_e64 s5, s18, v139
	v_or_b32_e32 v142, 12, v135
	v_or_b32_e32 v143, 14, v135
	v_cmp_gt_i32_e64 s6, s18, v140
	v_cmp_gt_i32_e64 s7, s18, v141
	v_or_b32_e32 v144, 16, v135
	v_or_b32_e32 v145, 18, v135
	v_cmp_gt_i32_e64 s8, s18, v142
	v_cmp_gt_i32_e64 s9, s18, v143
	buffer_gl0_inv
	v_cmp_gt_i32_e64 s10, s18, v144
	v_cmp_gt_i32_e64 s11, s18, v145
	v_wmma_f32_16x16x16_f16 v[127:134], v[71:78], v[103:110], v[119:126]
	v_wmma_f32_16x16x16_f16 v[119:126], v[79:86], v[103:110], v[119:126]
	v_or_b32_e32 v71, 20, v135
	v_or_b32_e32 v72, 22, v135
	s_delay_alu instid0(VALU_DEP_4)
	v_wmma_f32_16x16x16_f16 v[127:134], v[87:94], v[111:118], v[127:134]
	v_or_b32_e32 v73, 24, v135
	v_wmma_f32_16x16x16_f16 v[119:126], v[95:102], v[111:118], v[119:126]
	v_or_b32_e32 v74, 26, v135
	v_cmp_gt_i32_e64 s12, s18, v71
	v_dual_mul_f32 v84, s19, v127 :: v_dual_mul_f32 v83, s19, v128
	s_delay_alu instid0(VALU_DEP_4) | instskip(SKIP_2) | instid1(VALU_DEP_4)
	v_dual_mul_f32 v92, s19, v119 :: v_dual_mul_f32 v81, s19, v130
	v_mul_f32_e32 v90, s19, v121
	v_mul_f32_e32 v82, s19, v129
	v_cndmask_b32_e32 v84, 0xff7fffff, v84, vcc_lo
	v_cndmask_b32_e64 v83, 0xff7fffff, v83, s3
	v_dual_mul_f32 v79, s19, v132 :: v_dual_mul_f32 v88, s19, v123
	v_mul_f32_e32 v80, s19, v131
	v_cndmask_b32_e64 v82, 0xff7fffff, v82, s4
	v_cndmask_b32_e64 v81, 0xff7fffff, v81, s5
	v_max3_f32 v83, v84, 0xff7fffff, v83
	v_dual_mul_f32 v77, s19, v134 :: v_dual_mul_f32 v86, s19, v125
	v_mul_f32_e32 v78, s19, v133
	v_cndmask_b32_e64 v80, 0xff7fffff, v80, s6
	v_cndmask_b32_e64 v79, 0xff7fffff, v79, s7
	v_max3_f32 v81, v83, v82, v81
	v_mul_f32_e32 v91, s19, v120
	v_cndmask_b32_e64 v78, 0xff7fffff, v78, s8
	v_cndmask_b32_e64 v77, 0xff7fffff, v77, s9
	v_mul_f32_e32 v89, s19, v122
	v_max3_f32 v79, v81, v80, v79
	v_cndmask_b32_e64 v80, 0xff7fffff, v92, s10
	v_cndmask_b32_e64 v81, 0xff7fffff, v91, s11
	v_cmp_gt_i32_e64 s13, s18, v72
	v_or_b32_e32 v75, 28, v135
	v_max3_f32 v77, v79, v78, v77
	v_or_b32_e32 v76, 30, v135
	v_mul_f32_e32 v87, s19, v124
	v_cndmask_b32_e64 v71, 0xff7fffff, v90, s12
	v_cndmask_b32_e64 v72, 0xff7fffff, v89, s13
	v_max3_f32 v77, v77, v80, v81
	v_cmp_gt_i32_e64 s15, s18, v73
	v_cmp_gt_i32_e64 s16, s18, v74
	v_mul_f32_e32 v85, s19, v126
	v_cmp_gt_i32_e64 s17, s18, v75
	v_max3_f32 v71, v77, v71, v72
	v_cndmask_b32_e64 v73, 0xff7fffff, v88, s15
	v_cndmask_b32_e64 v74, 0xff7fffff, v87, s16
	v_cmp_gt_i32_e64 s18, s18, v76
	v_cndmask_b32_e64 v72, 0xff7fffff, v86, s17
	s_delay_alu instid0(VALU_DEP_3) | instskip(NEXT) | instid1(VALU_DEP_3)
	v_max3_f32 v71, v71, v73, v74
	v_cndmask_b32_e64 v75, 0xff7fffff, v85, s18
	v_lshlrev_b32_e32 v73, 2, v136
	s_delay_alu instid0(VALU_DEP_2) | instskip(SKIP_3) | instid1(VALU_DEP_1)
	v_max3_f32 v71, v71, v72, v75
	ds_bpermute_b32 v72, v73, v71
	s_waitcnt lgkmcnt(0)
	v_max_f32_e32 v72, v72, v72
	v_max_f32_e32 v71, v71, v72
	s_delay_alu instid0(VALU_DEP_1) | instskip(SKIP_2) | instid1(VALU_DEP_3)
	v_fma_f32 v72, s19, v127, -v71
	v_fma_f32 v74, s19, v128, -v71
	;; [unrolled: 1-line block ×3, first 2 shown]
	v_mul_f32_e32 v72, 0x3fb8aa3b, v72
	s_delay_alu instid0(VALU_DEP_2) | instskip(NEXT) | instid1(VALU_DEP_2)
	v_dual_mul_f32 v74, 0x3fb8aa3b, v74 :: v_dual_mul_f32 v75, 0x3fb8aa3b, v75
	v_exp_f32_e32 v72, v72
	s_delay_alu instid0(VALU_DEP_1) | instskip(NEXT) | instid1(VALU_DEP_1)
	v_exp_f32_e32 v74, v74
	v_exp_f32_e32 v75, v75
	s_delay_alu instid0(TRANS32_DEP_3)
	v_cndmask_b32_e32 v79, 0, v72, vcc_lo
	s_waitcnt_depctr 0xfff
	v_cndmask_b32_e64 v78, 0, v74, s3
	v_cndmask_b32_e64 v81, 0, v75, s4
	v_cmp_gt_u32_e64 s3, 16, v70
	v_add_f32_e32 v74, 0, v79
	s_delay_alu instid0(VALU_DEP_1) | instskip(NEXT) | instid1(VALU_DEP_1)
	v_add_f32_e32 v74, v74, v78
	v_add_f32_e32 v74, v74, v81
	v_fma_f32 v76, s19, v130, -v71
	v_fma_f32 v77, s19, v131, -v71
	;; [unrolled: 1-line block ×5, first 2 shown]
	s_delay_alu instid0(VALU_DEP_4) | instskip(NEXT) | instid1(VALU_DEP_4)
	v_dual_mul_f32 v76, 0x3fb8aa3b, v76 :: v_dual_mul_f32 v77, 0x3fb8aa3b, v77
	v_mul_f32_e32 v72, 0x3fb8aa3b, v72
	s_delay_alu instid0(VALU_DEP_4) | instskip(SKIP_1) | instid1(VALU_DEP_4)
	v_mul_f32_e32 v82, 0x3fb8aa3b, v80
	v_fma_f32 v86, s19, v122, -v71
	v_exp_f32_e32 v76, v76
	v_exp_f32_e32 v77, v77
	;; [unrolled: 1-line block ×4, first 2 shown]
	v_mul_f32_e32 v86, 0x3fb8aa3b, v86
	s_delay_alu instid0(VALU_DEP_1)
	v_exp_f32_e32 v88, v86
	v_cndmask_b32_e64 v80, 0, v76, s5
	v_mul_f32_e32 v75, 0x3fb8aa3b, v75
	v_fma_f32 v76, s19, v119, -v71
	v_cndmask_b32_e64 v83, 0, v77, s6
	v_fma_f32 v77, s19, v120, -v71
	v_add_f32_e32 v74, v74, v80
	v_exp_f32_e32 v75, v75
	v_mul_f32_e32 v76, 0x3fb8aa3b, v76
	v_cndmask_b32_e64 v82, 0, v72, s7
	s_delay_alu instid0(VALU_DEP_3) | instskip(SKIP_1) | instid1(VALU_DEP_4)
	v_dual_mul_f32 v77, 0x3fb8aa3b, v77 :: v_dual_add_f32 v72, v74, v83
	v_fma_f32 v74, s19, v121, -v71
	v_exp_f32_e32 v76, v76
	v_cndmask_b32_e64 v85, 0, v84, s8
	s_delay_alu instid0(VALU_DEP_3) | instskip(SKIP_1) | instid1(TRANS32_DEP_3)
	v_exp_f32_e32 v77, v77
	v_cndmask_b32_e64 v88, 0, v88, s13
	v_cndmask_b32_e64 v84, 0, v75, s9
	v_fma_f32 v75, s19, v123, -v71
	v_add_f32_e32 v72, v72, v82
	s_delay_alu instid0(VALU_DEP_2) | instskip(NEXT) | instid1(VALU_DEP_2)
	v_dual_mul_f32 v74, 0x3fb8aa3b, v74 :: v_dual_mul_f32 v75, 0x3fb8aa3b, v75
	v_add_f32_e32 v72, v72, v85
	s_delay_alu instid0(VALU_DEP_2)
	v_exp_f32_e32 v74, v74
	v_cndmask_b32_e64 v87, 0, v76, s10
	v_fma_f32 v76, s19, v124, -v71
	v_cndmask_b32_e64 v86, 0, v77, s11
	v_add_f32_e32 v72, v72, v84
	v_fma_f32 v77, s19, v125, -v71
	v_exp_f32_e32 v75, v75
	v_mul_f32_e32 v76, 0x3fb8aa3b, v76
	s_delay_alu instid0(VALU_DEP_3) | instskip(NEXT) | instid1(TRANS32_DEP_2)
	v_add_f32_e32 v72, v72, v87
	v_cndmask_b32_e64 v89, 0, v74, s12
	v_mul_f32_e32 v74, 0x3fb8aa3b, v77
	s_delay_alu instid0(VALU_DEP_4) | instskip(SKIP_2) | instid1(VALU_DEP_3)
	v_exp_f32_e32 v76, v76
	v_fma_f32 v77, s19, v126, -v71
	v_add_f32_e32 v72, v72, v86
	v_exp_f32_e32 v74, v74
	s_delay_alu instid0(TRANS32_DEP_3) | instskip(NEXT) | instid1(VALU_DEP_3)
	v_cndmask_b32_e64 v91, 0, v75, s15
	v_mul_f32_e32 v75, 0x3fb8aa3b, v77
	s_delay_alu instid0(VALU_DEP_3) | instskip(NEXT) | instid1(TRANS32_DEP_2)
	v_add_f32_e32 v72, v72, v89
	v_cndmask_b32_e64 v90, 0, v76, s16
	s_delay_alu instid0(VALU_DEP_3) | instskip(NEXT) | instid1(VALU_DEP_2)
	v_exp_f32_e32 v75, v75
	v_add_f32_e32 v72, v72, v88
	s_delay_alu instid0(TRANS32_DEP_2) | instskip(NEXT) | instid1(VALU_DEP_2)
	v_cndmask_b32_e64 v93, 0, v74, s17
	v_add_f32_e32 v72, v72, v91
	s_waitcnt_depctr 0xfff
	v_cndmask_b32_e64 v92, 0, v75, s18
	v_add_f32_e32 v72, v72, v90
	s_delay_alu instid0(VALU_DEP_1) | instskip(NEXT) | instid1(VALU_DEP_1)
	v_add_f32_e32 v72, v72, v93
	v_add_f32_e32 v72, v72, v92
	ds_bpermute_b32 v73, v73, v72
	s_and_saveexec_b32 s4, s3
	s_cbranch_execz .LBB894_12
; %bb.11:
	v_mul_u32_u24_e32 v70, 0x44, v69
	s_waitcnt lgkmcnt(0)
	v_add_f32_e32 v72, v72, v73
	s_delay_alu instid0(VALU_DEP_2) | instskip(NEXT) | instid1(VALU_DEP_1)
	v_lshl_add_u32 v70, v68, 2, v70
	v_add_nc_u32_e32 v70, 0x4000, v70
	ds_store_2addr_b32 v70, v71, v72 offset1:136
.LBB894_12:
	s_or_b32 exec_lo, exec_lo, s4
	v_lshlrev_b32_e32 v70, 2, v68
	s_load_b32 s36, s[0:1], 0x94
	s_waitcnt lgkmcnt(0)
	s_barrier
	buffer_gl0_inv
	v_add_nc_u32_e32 v98, 0x4000, v70
	v_cmp_eq_u32_e32 vcc_lo, 1, v69
	v_cmp_eq_u32_e64 s4, 2, v69
	v_cmp_eq_u32_e64 s5, 3, v69
	v_cmp_eq_u32_e64 s6, 4, v69
	ds_load_2addr_b32 v[70:71], v98 offset1:17
	ds_load_2addr_b32 v[72:73], v98 offset0:34 offset1:51
	ds_load_2addr_b32 v[74:75], v98 offset0:68 offset1:85
	;; [unrolled: 1-line block ×3, first 2 shown]
	v_cmp_eq_u32_e64 s7, 5, v69
	v_cmp_eq_u32_e64 s8, 7, v69
	s_waitcnt lgkmcnt(3)
	v_max3_f32 v76, v70, 0xff7fffff, v71
	s_waitcnt lgkmcnt(2)
	s_delay_alu instid0(VALU_DEP_1) | instskip(SKIP_1) | instid1(VALU_DEP_1)
	v_max3_f32 v76, v76, v72, v73
	s_waitcnt lgkmcnt(1)
	v_max3_f32 v76, v76, v74, v75
	s_waitcnt lgkmcnt(0)
	s_delay_alu instid0(VALU_DEP_1) | instskip(NEXT) | instid1(VALU_DEP_1)
	v_max3_f32 v76, v76, v94, v95
	v_sub_f32_e32 v77, v71, v76
	ds_load_2addr_b32 v[96:97], v98 offset0:136 offset1:153
	v_sub_f32_e32 v74, v74, v76
	v_sub_f32_e32 v70, v70, v76
	;; [unrolled: 1-line block ×3, first 2 shown]
	v_dual_sub_f32 v72, v72, v76 :: v_dual_mul_f32 v77, 0x3fb8aa3b, v77
	s_delay_alu instid0(VALU_DEP_4) | instskip(NEXT) | instid1(VALU_DEP_4)
	v_mul_f32_e32 v103, 0x3fb8aa3b, v74
	v_mul_f32_e32 v99, 0x3fb8aa3b, v70
	ds_load_2addr_b32 v[70:71], v98 offset0:170 offset1:187
	v_dual_mul_f32 v101, 0x3fb8aa3b, v72 :: v_dual_mul_f32 v94, 0x3fb8aa3b, v94
	v_exp_f32_e32 v102, v77
	v_exp_f32_e32 v99, v99
	s_delay_alu instid0(VALU_DEP_1) | instskip(NEXT) | instid1(VALU_DEP_1)
	v_exp_f32_e32 v101, v101
	v_exp_f32_e32 v94, v94
	s_waitcnt lgkmcnt(1)
	s_delay_alu instid0(TRANS32_DEP_3)
	v_fma_f32 v77, v99, v96, 0
	v_sub_f32_e32 v100, v73, v76
	ds_load_2addr_b32 v[72:73], v98 offset0:204 offset1:221
	v_fmac_f32_e32 v77, v102, v97
	v_exp_f32_e32 v97, v103
	s_waitcnt lgkmcnt(1)
	s_delay_alu instid0(VALU_DEP_1)
	v_dual_fmac_f32 v77, v101, v70 :: v_dual_sub_f32 v96, v75, v76
	ds_load_2addr_b32 v[74:75], v98 offset0:238 offset1:255
	v_sub_f32_e32 v70, v95, v76
	s_waitcnt lgkmcnt(0)
	s_barrier
	v_mul_f32_e32 v96, 0x3fb8aa3b, v96
	buffer_gl0_inv
	v_exp_f32_e32 v95, v96
	v_mul_f32_e32 v100, 0x3fb8aa3b, v100
	s_delay_alu instid0(VALU_DEP_1) | instskip(SKIP_3) | instid1(VALU_DEP_2)
	v_exp_f32_e32 v100, v100
	s_waitcnt_depctr 0xfff
	v_dual_fmac_f32 v77, v100, v71 :: v_dual_mul_f32 v70, 0x3fb8aa3b, v70
	v_cndmask_b32_e32 v71, v99, v102, vcc_lo
	v_fmac_f32_e32 v77, v97, v72
	s_delay_alu instid0(VALU_DEP_3) | instskip(NEXT) | instid1(VALU_DEP_1)
	v_exp_f32_e32 v96, v70
	v_fmac_f32_e32 v77, v95, v73
	s_delay_alu instid0(VALU_DEP_1) | instskip(SKIP_2) | instid1(VALU_DEP_1)
	v_fmac_f32_e32 v77, v94, v74
	s_waitcnt_depctr 0xfff
	v_fmac_f32_e32 v77, v96, v75
	v_add_f32_e32 v74, 0x358637bd, v77
	s_delay_alu instid0(VALU_DEP_1) | instskip(SKIP_1) | instid1(VALU_DEP_2)
	v_div_scale_f32 v98, null, v74, v74, 1.0
	v_div_scale_f32 v99, vcc_lo, 1.0, v74, 1.0
	v_rcp_f32_e32 v103, v98
	s_waitcnt_depctr 0xfff
	v_fma_f32 v70, -v98, v103, 1.0
	s_delay_alu instid0(VALU_DEP_1) | instskip(SKIP_2) | instid1(VALU_DEP_2)
	v_fmac_f32_e32 v103, v70, v103
	v_cndmask_b32_e64 v70, v71, v101, s4
	v_cmp_eq_u32_e64 s4, 6, v69
	v_cndmask_b32_e64 v71, v70, v100, s5
	s_delay_alu instid0(VALU_DEP_4) | instskip(NEXT) | instid1(VALU_DEP_2)
	v_dual_mul_f32 v101, v99, v103 :: v_dual_lshlrev_b32 v70, 2, v66
	v_cndmask_b32_e64 v71, v71, v97, s6
	s_delay_alu instid0(VALU_DEP_2) | instskip(NEXT) | instid1(VALU_DEP_3)
	v_or_b32_e32 v72, 1, v70
	v_fma_f32 v100, -v98, v101, v99
	v_cmp_eq_u32_e64 s5, 1, v70
	v_cmp_eq_u32_e64 s6, 2, v70
	v_cndmask_b32_e64 v95, v71, v95, s7
	v_or_b32_e32 v71, 3, v70
	v_fmac_f32_e32 v101, v100, v103
	v_cmp_eq_u32_e64 s10, 1, v72
	v_cmp_eq_u32_e64 s13, 2, v72
	v_cndmask_b32_e64 v94, v95, v94, s4
	v_cmp_eq_u32_e64 s12, 1, v71
	v_fma_f32 v97, -v98, v101, v99
	v_cmp_eq_u32_e64 s17, 2, v71
	v_cmp_eq_u32_e64 s15, 3, v72
	v_cndmask_b32_e64 v94, v94, v96, s8
	v_cmp_eq_u32_e64 s19, 3, v71
	v_div_fmas_f32 v95, v97, v103, v101
	v_cmp_eq_u32_e32 vcc_lo, 3, v70
	v_cmp_eq_u32_e64 s4, 4, v70
	v_cmp_eq_u32_e64 s20, 4, v72
	;; [unrolled: 1-line block ×3, first 2 shown]
	v_div_fixup_f32 v95, v95, v74, 1.0
	v_lshlrev_b32_e32 v73, 6, v68
	v_cmp_eq_u32_e64 s7, 5, v70
	v_cmp_eq_u32_e64 s21, 5, v72
	;; [unrolled: 1-line block ×3, first 2 shown]
	v_mul_f32_e32 v102, v94, v95
	v_lshl_or_b32 v75, v69, 11, v73
	v_or_b32_e32 v69, 2, v70
	v_cmp_eq_u32_e64 s26, 6, v72
	v_cmp_eq_u32_e64 s28, 6, v71
	v_fma_mixlo_f16 v94, v102, v79, 0
	v_fma_mixlo_f16 v95, v102, v81, 0
	;; [unrolled: 1-line block ×8, first 2 shown]
	v_lshl_or_b32 v74, v66, 4, v75
	v_fma_mixhi_f16 v94, v102, v78, 0
	v_fma_mixhi_f16 v95, v102, v80, 0
	;; [unrolled: 1-line block ×8, first 2 shown]
	ds_store_b128 v74, v[94:97]
	ds_store_b128 v74, v[98:101] offset:1024
	s_waitcnt lgkmcnt(0)
	s_barrier
	buffer_gl0_inv
	ds_load_b128 v[78:81], v75
	ds_load_b128 v[82:85], v75 offset:16
	ds_load_b128 v[86:89], v75 offset:1024
	;; [unrolled: 1-line block ×3, first 2 shown]
	v_cmp_eq_u32_e64 s11, 1, v69
	v_cmp_eq_u32_e64 s16, 2, v69
	;; [unrolled: 1-line block ×11, first 2 shown]
	s_waitcnt lgkmcnt(3)
	v_lshrrev_b32_e32 v94, 16, v78
	s_waitcnt lgkmcnt(2)
	v_lshrrev_b32_e32 v98, 16, v82
	;; [unrolled: 2-line block ×4, first 2 shown]
	v_lshrrev_b32_e32 v95, 16, v79
	v_cndmask_b32_e64 v110, v78, v94, s5
	v_cndmask_b32_e64 v111, v82, v98, s5
	;; [unrolled: 1-line block ×8, first 2 shown]
	v_lshrrev_b32_e32 v99, 16, v83
	v_cndmask_b32_e64 v94, v86, v102, s5
	v_cndmask_b32_e64 v98, v90, v106, s5
	;; [unrolled: 1-line block ×15, first 2 shown]
	v_lshrrev_b32_e32 v103, 16, v87
	v_lshrrev_b32_e32 v107, 16, v91
	v_cndmask_b32_e64 v113, v115, v83, s16
	v_cndmask_b32_e64 v82, v94, v87, s6
	;; [unrolled: 1-line block ×7, first 2 shown]
	v_cndmask_b32_e32 v90, v102, v95, vcc_lo
	v_cndmask_b32_e32 v102, v106, v99, vcc_lo
	v_cndmask_b32_e64 v106, v110, v95, s15
	v_cndmask_b32_e64 v110, v111, v99, s15
	;; [unrolled: 1-line block ×4, first 2 shown]
	v_lshrrev_b32_e32 v96, 16, v80
	v_lshrrev_b32_e32 v100, 16, v84
	v_cndmask_b32_e64 v111, v112, v95, s18
	v_cndmask_b32_e64 v112, v113, v99, s18
	v_cndmask_b32_e32 v82, v82, v103, vcc_lo
	v_cndmask_b32_e32 v83, v83, v107, vcc_lo
	v_cndmask_b32_e64 v94, v94, v103, s15
	v_cndmask_b32_e64 v90, v90, v80, s4
	v_cndmask_b32_e64 v95, v102, v84, s4
	v_cndmask_b32_e64 v99, v106, v80, s20
	v_cndmask_b32_e64 v102, v110, v84, s20
	v_cndmask_b32_e64 v78, v78, v80, s23
	v_cndmask_b32_e64 v79, v79, v84, s23
	v_lshrrev_b32_e32 v104, 16, v88
	v_cndmask_b32_e64 v106, v111, v80, s22
	v_cndmask_b32_e64 v110, v112, v84, s22
	;; [unrolled: 1-line block ×11, first 2 shown]
	v_lshrrev_b32_e32 v97, 16, v81
	v_lshrrev_b32_e32 v101, 16, v85
	v_cndmask_b32_e64 v99, v106, v96, s24
	v_cndmask_b32_e64 v102, v110, v100, s24
	;; [unrolled: 1-line block ×7, first 2 shown]
	v_lshrrev_b32_e32 v105, 16, v89
	v_cndmask_b32_e64 v80, v80, v104, s7
	v_cndmask_b32_e64 v84, v84, v81, s8
	;; [unrolled: 1-line block ×16, first 2 shown]
	v_perm_b32 v81, v79, v78, 0x5040100
	v_perm_b32 v79, v95, v85, 0x5040100
	v_cndmask_b32_e64 v78, v119, v91, s16
	v_cndmask_b32_e64 v85, v117, v91, s13
	;; [unrolled: 1-line block ×3, first 2 shown]
	v_perm_b32 v80, v94, v90, 0x5040100
	v_cndmask_b32_e64 v90, v98, v103, s18
	v_cndmask_b32_e64 v86, v86, v103, s19
	;; [unrolled: 1-line block ×5, first 2 shown]
	v_lshrrev_b32_e32 v108, 16, v92
	v_cndmask_b32_e64 v90, v90, v88, s22
	v_cndmask_b32_e64 v86, v86, v88, s23
	;; [unrolled: 1-line block ×11, first 2 shown]
	v_lshrrev_b32_e32 v109, 16, v93
	v_cndmask_b32_e64 v82, v82, v93, s8
	v_cndmask_b32_e64 v88, v88, v89, s27
	;; [unrolled: 1-line block ×12, first 2 shown]
	v_perm_b32 v78, v84, v83, 0x5040100
	v_perm_b32 v85, v87, v86, 0x5040100
	;; [unrolled: 1-line block ×5, first 2 shown]
	s_mul_i32 s9, s35, 5
	s_mov_b32 s4, exec_lo
	ds_store_b128 v74, v[78:81]
	ds_store_b128 v74, v[82:85] offset:1024
	v_cmpx_gt_u32_e32 5, v0
	s_cbranch_execz .LBB894_14
; %bb.13:
	s_mul_i32 s5, s9, s34
	s_load_b128 s[16:19], s[0:1], 0x58
	v_add3_u32 v68, s5, s33, v68
	s_delay_alu instid0(VALU_DEP_1) | instskip(NEXT) | instid1(VALU_DEP_1)
	v_mad_u64_u32 v[78:79], null, v68, s36, s[14:15]
	v_ashrrev_i32_e32 v79, 31, v78
	s_delay_alu instid0(VALU_DEP_1) | instskip(SKIP_1) | instid1(VALU_DEP_1)
	v_lshlrev_b64 v[78:79], 2, v[78:79]
	s_waitcnt lgkmcnt(0)
	v_add_co_u32 v80, vcc_lo, s18, v78
	s_delay_alu instid0(VALU_DEP_2)
	v_add_co_ci_u32_e32 v81, vcc_lo, s19, v79, vcc_lo
	v_add_co_u32 v78, vcc_lo, s16, v78
	v_add_co_ci_u32_e32 v79, vcc_lo, s17, v79, vcc_lo
	global_store_b32 v[80:81], v76, off
	global_store_b32 v[78:79], v77, off
.LBB894_14:
	s_or_b32 exec_lo, exec_lo, s4
	s_waitcnt lgkmcnt(0)
	s_waitcnt_vscnt null, 0x0
	s_barrier
	buffer_gl0_inv
	ds_load_b128 v[84:87], v73
	ds_load_b128 v[88:91], v73 offset:16
	ds_load_b128 v[96:99], v73 offset:2064
	;; [unrolled: 1-line block ×5, first 2 shown]
	v_cmp_eq_u32_e32 vcc_lo, 1, v70
	v_mov_b32_e32 v76, 0
	ds_load_b128 v[112:115], v73 offset:6160
	ds_load_b128 v[108:111], v73 offset:6144
	;; [unrolled: 1-line block ×4, first 2 shown]
	v_cmp_eq_u32_e64 s5, 1, v69
	v_cmp_eq_u32_e64 s4, 1, v72
	;; [unrolled: 1-line block ×3, first 2 shown]
	v_mov_b32_e32 v77, v76
	v_mov_b32_e32 v78, v76
	;; [unrolled: 1-line block ×7, first 2 shown]
	v_cmp_eq_u32_e64 s7, 3, v72
	v_cmp_eq_u32_e64 s8, 7, v72
	s_waitcnt lgkmcnt(8)
	s_delay_alu instid0(VALU_DEP_3)
	v_wmma_f32_16x16x16_f16 v[76:83], v[49:56], v[84:91], v[76:83]
	ds_load_b128 v[53:56], v73 offset:10256
	ds_load_b128 v[49:52], v73 offset:10240
	s_waitcnt lgkmcnt(8)
	v_wmma_f32_16x16x16_f16 v[76:83], v[41:48], v[92:99], v[76:83]
	ds_load_b128 v[45:48], v73 offset:12304
	ds_load_b128 v[41:44], v73 offset:12288
	s_waitcnt lgkmcnt(8)
	;; [unrolled: 4-line block ×3, first 2 shown]
	s_barrier
	buffer_gl0_inv
	v_wmma_f32_16x16x16_f16 v[76:83], v[1:8], v[108:115], v[76:83]
	s_delay_alu instid0(VALU_DEP_1) | instskip(NEXT) | instid1(VALU_DEP_1)
	v_wmma_f32_16x16x16_f16 v[76:83], v[9:16], v[116:123], v[76:83]
	v_wmma_f32_16x16x16_f16 v[76:83], v[17:24], v[49:56], v[76:83]
	s_delay_alu instid0(VALU_DEP_1) | instskip(NEXT) | instid1(VALU_DEP_1)
	v_wmma_f32_16x16x16_f16 v[76:83], v[25:32], v[41:48], v[76:83]
	v_wmma_f32_16x16x16_f16 v[76:83], v[57:64], v[33:40], v[76:83]
	s_delay_alu instid0(VALU_DEP_1) | instskip(NEXT) | instid1(VALU_DEP_2)
	v_cvt_f16_f32_e32 v1, v76
	v_cvt_f16_f32_e32 v2, v77
	s_delay_alu instid0(VALU_DEP_3) | instskip(NEXT) | instid1(VALU_DEP_4)
	v_cvt_f16_f32_e32 v3, v78
	v_cvt_f16_f32_e32 v4, v79
	;; [unrolled: 1-line block ×6, first 2 shown]
	v_pack_b32_f16 v1, v1, v2
	v_pack_b32_f16 v2, v3, v4
	;; [unrolled: 1-line block ×3, first 2 shown]
	s_delay_alu instid0(VALU_DEP_4)
	v_pack_b32_f16 v4, v7, v8
	ds_store_b128 v74, v[1:4]
	s_waitcnt lgkmcnt(0)
	s_barrier
	buffer_gl0_inv
	ds_load_b128 v[1:4], v75
	ds_load_b128 v[5:8], v75 offset:16
	s_waitcnt lgkmcnt(1)
	v_lshrrev_b32_e32 v9, 16, v1
	s_waitcnt lgkmcnt(0)
	v_lshrrev_b32_e32 v13, 16, v5
	v_lshrrev_b32_e32 v10, 16, v2
	;; [unrolled: 1-line block ×4, first 2 shown]
	v_cndmask_b32_e32 v17, v1, v9, vcc_lo
	v_cndmask_b32_e32 v18, v5, v13, vcc_lo
	v_cndmask_b32_e64 v21, v1, v9, s5
	v_cmp_eq_u32_e32 vcc_lo, 1, v71
	v_cndmask_b32_e64 v22, v5, v13, s5
	v_cmp_eq_u32_e64 s5, 2, v70
	v_cndmask_b32_e64 v19, v1, v9, s4
	v_cndmask_b32_e64 v20, v5, v13, s4
	v_cndmask_b32_e32 v1, v1, v9, vcc_lo
	v_cmp_eq_u32_e64 s4, 2, v71
	v_cndmask_b32_e32 v5, v5, v13, vcc_lo
	v_cndmask_b32_e64 v9, v17, v2, s5
	v_cmp_eq_u32_e32 vcc_lo, 3, v70
	v_cndmask_b32_e64 v13, v18, v6, s5
	v_cmp_eq_u32_e64 s5, 2, v69
	v_cndmask_b32_e64 v17, v19, v2, s6
	v_cndmask_b32_e64 v18, v20, v6, s6
	v_cmp_eq_u32_e64 s6, 3, v69
	v_cndmask_b32_e64 v1, v1, v2, s4
	v_cndmask_b32_e64 v19, v21, v2, s5
	v_cndmask_b32_e64 v20, v22, v6, s5
	v_cndmask_b32_e64 v2, v5, v6, s4
	v_cndmask_b32_e32 v5, v9, v10, vcc_lo
	v_cndmask_b32_e32 v6, v13, v14, vcc_lo
	v_cmp_eq_u32_e32 vcc_lo, 3, v71
	v_cndmask_b32_e64 v9, v17, v10, s7
	v_cndmask_b32_e64 v13, v18, v14, s7
	;; [unrolled: 1-line block ×3, first 2 shown]
	v_cmp_eq_u32_e64 s5, 4, v70
	v_cndmask_b32_e32 v1, v1, v10, vcc_lo
	v_cndmask_b32_e32 v2, v2, v14, vcc_lo
	v_cmp_eq_u32_e32 vcc_lo, 4, v72
	v_lshrrev_b32_e32 v15, 16, v7
	v_lshrrev_b32_e32 v16, 16, v8
	v_cndmask_b32_e64 v17, v19, v10, s6
	v_cmp_eq_u32_e64 s4, 4, v71
	v_cndmask_b32_e64 v5, v5, v3, s5
	v_cndmask_b32_e64 v6, v6, v7, s5
	v_cndmask_b32_e32 v9, v9, v3, vcc_lo
	v_cmp_eq_u32_e64 s5, 5, v72
	v_cndmask_b32_e32 v10, v13, v7, vcc_lo
	v_cmp_eq_u32_e32 vcc_lo, 4, v69
	v_cmp_eq_u32_e64 s6, 5, v70
	v_cndmask_b32_e64 v2, v2, v7, s4
	v_cndmask_b32_e64 v9, v9, v11, s5
	;; [unrolled: 1-line block ×3, first 2 shown]
	v_cndmask_b32_e32 v13, v17, v3, vcc_lo
	v_cmp_eq_u32_e64 s5, 5, v69
	v_cndmask_b32_e32 v14, v18, v7, vcc_lo
	v_cndmask_b32_e64 v1, v1, v3, s4
	v_cmp_eq_u32_e32 vcc_lo, 5, v71
	v_lshrrev_b32_e32 v12, 16, v4
	v_cndmask_b32_e64 v13, v13, v11, s5
	v_cndmask_b32_e64 v3, v14, v15, s5
	v_cmp_eq_u32_e64 s5, 6, v71
	v_cndmask_b32_e32 v1, v1, v11, vcc_lo
	v_cndmask_b32_e64 v5, v5, v11, s6
	v_cmp_eq_u32_e64 s7, 6, v70
	v_cndmask_b32_e64 v6, v6, v15, s6
	v_cmp_eq_u32_e64 s6, 6, v72
	v_cmp_eq_u32_e64 s4, 6, v69
	v_cndmask_b32_e64 v1, v1, v4, s5
	v_cndmask_b32_e32 v2, v2, v15, vcc_lo
	v_cmp_eq_u32_e32 vcc_lo, 7, v71
	v_cndmask_b32_e64 v5, v5, v4, s7
	v_cndmask_b32_e64 v9, v9, v4, s6
	;; [unrolled: 1-line block ×3, first 2 shown]
	v_cmp_eq_u32_e64 s7, 7, v70
	v_cndmask_b32_e32 v1, v1, v12, vcc_lo
	v_cndmask_b32_e64 v7, v13, v4, s4
	v_cndmask_b32_e64 v3, v3, v8, s4
	;; [unrolled: 1-line block ×3, first 2 shown]
	v_cmp_eq_u32_e64 s4, 7, v69
	v_cndmask_b32_e64 v4, v10, v8, s6
	v_cndmask_b32_e64 v5, v5, v12, s7
	;; [unrolled: 1-line block ×3, first 2 shown]
	v_cndmask_b32_e32 v2, v2, v16, vcc_lo
	v_cndmask_b32_e64 v7, v7, v12, s4
	v_cndmask_b32_e64 v3, v3, v16, s4
	;; [unrolled: 1-line block ×4, first 2 shown]
	v_cmp_gt_u32_e32 vcc_lo, 32, v0
	v_perm_b32 v4, v2, v1, 0x5040100
	v_perm_b32 v3, v3, v7, 0x5040100
	;; [unrolled: 1-line block ×4, first 2 shown]
	s_and_b32 s2, vcc_lo, s2
	ds_store_b128 v74, v[1:4]
	s_waitcnt lgkmcnt(0)
	s_barrier
	buffer_gl0_inv
	s_and_saveexec_b32 s4, s2
	s_cbranch_execz .LBB894_2
; %bb.15:
	s_load_b64 s[4:5], s[0:1], 0x68
	v_lshlrev_b32_e32 v0, 10, v0
	v_add_nc_u32_e32 v2, s33, v66
	v_lshlrev_b32_e32 v3, 4, v67
	s_lshl_b32 s0, s36, 6
	s_delay_alu instid0(SALU_CYCLE_1) | instskip(NEXT) | instid1(VALU_DEP_2)
	s_mul_i32 s1, s0, s34
	v_mul_lo_u32 v1, v2, s0
	s_delay_alu instid0(VALU_DEP_2) | instskip(SKIP_2) | instid1(SALU_CYCLE_1)
	v_and_or_b32 v0, 0x3800, v0, v3
	v_add_nc_u32_e32 v2, 2, v2
	s_mul_i32 s6, s1, s9
	s_ashr_i32 s7, s6, 31
	s_delay_alu instid0(VALU_DEP_2)
	v_lshl_or_b32 v7, v66, 6, v0
	s_lshl_b64 s[6:7], s[6:7], 1
	v_mul_lo_u32 v11, v2, s0
	v_ashrrev_i32_e32 v2, 31, v1
	ds_load_b128 v[3:6], v7
	ds_load_b128 v[7:10], v7 offset:128
	s_waitcnt lgkmcnt(0)
	s_add_u32 s1, s4, s6
	s_addc_u32 s2, s5, s7
	s_lshl_b32 s4, s14, 6
	v_ashrrev_i32_e32 v12, 31, v11
	s_ashr_i32 s5, s4, 31
	v_lshlrev_b64 v[13:14], 1, v[1:2]
	s_lshl_b64 s[4:5], s[4:5], 1
	s_delay_alu instid0(SALU_CYCLE_1) | instskip(SKIP_2) | instid1(VALU_DEP_1)
	s_add_u32 s1, s1, s4
	s_addc_u32 s2, s2, s5
	v_add_co_u32 v1, s1, s1, v65
	v_add_co_ci_u32_e64 v2, null, s2, 0, s1
	v_lshlrev_b64 v[11:12], 1, v[11:12]
	s_delay_alu instid0(VALU_DEP_3) | instskip(NEXT) | instid1(VALU_DEP_3)
	v_add_co_u32 v13, vcc_lo, v1, v13
	v_add_co_ci_u32_e32 v14, vcc_lo, v2, v14, vcc_lo
	s_delay_alu instid0(VALU_DEP_3) | instskip(NEXT) | instid1(VALU_DEP_4)
	v_add_co_u32 v11, vcc_lo, v1, v11
	v_add_co_ci_u32_e32 v12, vcc_lo, v2, v12, vcc_lo
	s_clause 0x1
	global_store_b128 v[13:14], v[3:6], off
	global_store_b128 v[11:12], v[7:10], off
	s_and_b32 exec_lo, exec_lo, s3
	s_cbranch_execz .LBB894_2
; %bb.16:
	ds_load_b128 v[3:6], v0 offset:256
	s_add_i32 s1, s33, 4
	s_delay_alu instid0(SALU_CYCLE_1) | instskip(NEXT) | instid1(SALU_CYCLE_1)
	s_mul_i32 s0, s1, s0
	s_ashr_i32 s1, s0, 31
	s_delay_alu instid0(SALU_CYCLE_1) | instskip(NEXT) | instid1(SALU_CYCLE_1)
	s_lshl_b64 s[0:1], s[0:1], 1
	v_add_co_u32 v0, vcc_lo, v1, s0
	v_add_co_ci_u32_e32 v1, vcc_lo, s1, v2, vcc_lo
	s_waitcnt lgkmcnt(0)
	global_store_b128 v[0:1], v[3:6], off
	s_nop 0
	s_sendmsg sendmsg(MSG_DEALLOC_VGPRS)
	s_endpgm
	.section	.rodata,"a",@progbits
	.p2align	6, 0x0
	.amdhsa_kernel _Z39paged_attention_ll4mi_QKV_mfma16_kernelIDF16_hLN4vllm18Fp8KVCacheDataTypeE1EDF16_Li32ELi64ELi256ELb1ELi5EL8MFMAType1EEvPKT_PKT0_S8_ifPKiSA_SA_iPKfiiiPfSD_PS3_PT2_iSC_SC_
		.amdhsa_group_segment_fixed_size 17472
		.amdhsa_private_segment_fixed_size 0
		.amdhsa_kernarg_size 400
		.amdhsa_user_sgpr_count 13
		.amdhsa_user_sgpr_dispatch_ptr 0
		.amdhsa_user_sgpr_queue_ptr 0
		.amdhsa_user_sgpr_kernarg_segment_ptr 1
		.amdhsa_user_sgpr_dispatch_id 0
		.amdhsa_user_sgpr_private_segment_size 0
		.amdhsa_wavefront_size32 1
		.amdhsa_uses_dynamic_stack 0
		.amdhsa_enable_private_segment 0
		.amdhsa_system_sgpr_workgroup_id_x 1
		.amdhsa_system_sgpr_workgroup_id_y 1
		.amdhsa_system_sgpr_workgroup_id_z 1
		.amdhsa_system_sgpr_workgroup_info 0
		.amdhsa_system_vgpr_workitem_id 0
		.amdhsa_next_free_vgpr 146
		.amdhsa_next_free_sgpr 37
		.amdhsa_reserve_vcc 1
		.amdhsa_float_round_mode_32 0
		.amdhsa_float_round_mode_16_64 0
		.amdhsa_float_denorm_mode_32 3
		.amdhsa_float_denorm_mode_16_64 3
		.amdhsa_dx10_clamp 1
		.amdhsa_ieee_mode 1
		.amdhsa_fp16_overflow 0
		.amdhsa_workgroup_processor_mode 1
		.amdhsa_memory_ordered 1
		.amdhsa_forward_progress 0
		.amdhsa_shared_vgpr_count 0
		.amdhsa_exception_fp_ieee_invalid_op 0
		.amdhsa_exception_fp_denorm_src 0
		.amdhsa_exception_fp_ieee_div_zero 0
		.amdhsa_exception_fp_ieee_overflow 0
		.amdhsa_exception_fp_ieee_underflow 0
		.amdhsa_exception_fp_ieee_inexact 0
		.amdhsa_exception_int_div_zero 0
	.end_amdhsa_kernel
	.section	.text._Z39paged_attention_ll4mi_QKV_mfma16_kernelIDF16_hLN4vllm18Fp8KVCacheDataTypeE1EDF16_Li32ELi64ELi256ELb1ELi5EL8MFMAType1EEvPKT_PKT0_S8_ifPKiSA_SA_iPKfiiiPfSD_PS3_PT2_iSC_SC_,"axG",@progbits,_Z39paged_attention_ll4mi_QKV_mfma16_kernelIDF16_hLN4vllm18Fp8KVCacheDataTypeE1EDF16_Li32ELi64ELi256ELb1ELi5EL8MFMAType1EEvPKT_PKT0_S8_ifPKiSA_SA_iPKfiiiPfSD_PS3_PT2_iSC_SC_,comdat
.Lfunc_end894:
	.size	_Z39paged_attention_ll4mi_QKV_mfma16_kernelIDF16_hLN4vllm18Fp8KVCacheDataTypeE1EDF16_Li32ELi64ELi256ELb1ELi5EL8MFMAType1EEvPKT_PKT0_S8_ifPKiSA_SA_iPKfiiiPfSD_PS3_PT2_iSC_SC_, .Lfunc_end894-_Z39paged_attention_ll4mi_QKV_mfma16_kernelIDF16_hLN4vllm18Fp8KVCacheDataTypeE1EDF16_Li32ELi64ELi256ELb1ELi5EL8MFMAType1EEvPKT_PKT0_S8_ifPKiSA_SA_iPKfiiiPfSD_PS3_PT2_iSC_SC_
                                        ; -- End function
	.section	.AMDGPU.csdata,"",@progbits
; Kernel info:
; codeLenInByte = 6476
; NumSgprs: 39
; NumVgprs: 146
; ScratchSize: 0
; MemoryBound: 0
; FloatMode: 240
; IeeeMode: 1
; LDSByteSize: 17472 bytes/workgroup (compile time only)
; SGPRBlocks: 4
; VGPRBlocks: 18
; NumSGPRsForWavesPerEU: 39
; NumVGPRsForWavesPerEU: 146
; Occupancy: 9
; WaveLimiterHint : 1
; COMPUTE_PGM_RSRC2:SCRATCH_EN: 0
; COMPUTE_PGM_RSRC2:USER_SGPR: 13
; COMPUTE_PGM_RSRC2:TRAP_HANDLER: 0
; COMPUTE_PGM_RSRC2:TGID_X_EN: 1
; COMPUTE_PGM_RSRC2:TGID_Y_EN: 1
; COMPUTE_PGM_RSRC2:TGID_Z_EN: 1
; COMPUTE_PGM_RSRC2:TIDIG_COMP_CNT: 0
	.section	.text._Z39paged_attention_ll4mi_QKV_mfma16_kernelIDF16_hLN4vllm18Fp8KVCacheDataTypeE1EDF16_Li32ELi64ELi256ELb1ELi6EL8MFMAType1EEvPKT_PKT0_S8_ifPKiSA_SA_iPKfiiiPfSD_PS3_PT2_iSC_SC_,"axG",@progbits,_Z39paged_attention_ll4mi_QKV_mfma16_kernelIDF16_hLN4vllm18Fp8KVCacheDataTypeE1EDF16_Li32ELi64ELi256ELb1ELi6EL8MFMAType1EEvPKT_PKT0_S8_ifPKiSA_SA_iPKfiiiPfSD_PS3_PT2_iSC_SC_,comdat
	.protected	_Z39paged_attention_ll4mi_QKV_mfma16_kernelIDF16_hLN4vllm18Fp8KVCacheDataTypeE1EDF16_Li32ELi64ELi256ELb1ELi6EL8MFMAType1EEvPKT_PKT0_S8_ifPKiSA_SA_iPKfiiiPfSD_PS3_PT2_iSC_SC_ ; -- Begin function _Z39paged_attention_ll4mi_QKV_mfma16_kernelIDF16_hLN4vllm18Fp8KVCacheDataTypeE1EDF16_Li32ELi64ELi256ELb1ELi6EL8MFMAType1EEvPKT_PKT0_S8_ifPKiSA_SA_iPKfiiiPfSD_PS3_PT2_iSC_SC_
	.globl	_Z39paged_attention_ll4mi_QKV_mfma16_kernelIDF16_hLN4vllm18Fp8KVCacheDataTypeE1EDF16_Li32ELi64ELi256ELb1ELi6EL8MFMAType1EEvPKT_PKT0_S8_ifPKiSA_SA_iPKfiiiPfSD_PS3_PT2_iSC_SC_
	.p2align	8
	.type	_Z39paged_attention_ll4mi_QKV_mfma16_kernelIDF16_hLN4vllm18Fp8KVCacheDataTypeE1EDF16_Li32ELi64ELi256ELb1ELi6EL8MFMAType1EEvPKT_PKT0_S8_ifPKiSA_SA_iPKfiiiPfSD_PS3_PT2_iSC_SC_,@function
_Z39paged_attention_ll4mi_QKV_mfma16_kernelIDF16_hLN4vllm18Fp8KVCacheDataTypeE1EDF16_Li32ELi64ELi256ELb1ELi6EL8MFMAType1EEvPKT_PKT0_S8_ifPKiSA_SA_iPKfiiiPfSD_PS3_PT2_iSC_SC_: ; @_Z39paged_attention_ll4mi_QKV_mfma16_kernelIDF16_hLN4vllm18Fp8KVCacheDataTypeE1EDF16_Li32ELi64ELi256ELb1ELi6EL8MFMAType1EEvPKT_PKT0_S8_ifPKiSA_SA_iPKfiiiPfSD_PS3_PT2_iSC_SC_
; %bb.0:
	s_load_b64 s[2:3], s[0:1], 0x30
	s_mov_b32 s34, s13
	s_waitcnt lgkmcnt(0)
	s_cmp_lg_u64 s[2:3], 0
	s_cselect_b32 s6, -1, 0
	s_ashr_i32 s35, s13, 31
	s_cmp_eq_u64 s[2:3], 0
	s_cbranch_scc1 .LBB895_3
; %bb.1:
	s_lshl_b64 s[4:5], s[34:35], 2
	s_delay_alu instid0(SALU_CYCLE_1) | instskip(SKIP_4) | instid1(SALU_CYCLE_1)
	s_add_u32 s4, s2, s4
	s_addc_u32 s5, s3, s5
	s_load_b64 s[4:5], s[4:5], 0x0
	s_waitcnt lgkmcnt(0)
	s_sub_i32 s4, s5, s4
	s_cmp_eq_u32 s4, 1
	s_cselect_b32 s4, -1, 0
	s_delay_alu instid0(SALU_CYCLE_1)
	s_and_not1_b32 vcc_lo, exec_lo, s4
	s_cbranch_vccz .LBB895_4
.LBB895_2:
	s_endpgm
.LBB895_3:
.LBB895_4:
	s_load_b64 s[8:9], s[0:1], 0x28
	s_lshl_b64 s[4:5], s[34:35], 2
	s_waitcnt lgkmcnt(0)
	s_add_u32 s8, s8, s4
	s_addc_u32 s9, s9, s5
	s_lshl_b32 s16, s14, 8
	s_load_b32 s18, s[8:9], 0x0
	s_waitcnt lgkmcnt(0)
	s_cmp_ge_i32 s16, s18
	s_cbranch_scc1 .LBB895_2
; %bb.5:
	s_clause 0x1
	s_load_b128 s[8:11], s[0:1], 0x8
	s_load_b64 s[12:13], s[0:1], 0x20
	s_and_not1_b32 vcc_lo, exec_lo, s6
	s_cbranch_vccnz .LBB895_7
; %bb.6:
	s_add_u32 s2, s2, s4
	s_addc_u32 s3, s3, s5
	s_load_b32 s3, s[2:3], 0x0
	s_branch .LBB895_8
.LBB895_7:
	s_mov_b32 s3, s34
.LBB895_8:
	s_load_b128 s[4:7], s[0:1], 0x48
	v_and_b32_e32 v68, 15, v0
	v_cmp_gt_u32_e32 vcc_lo, 0x60, v0
	v_lshrrev_b32_e32 v69, 5, v0
	v_and_b32_e32 v70, 31, v0
	v_and_b32_e32 v67, 1, v0
	v_lshlrev_b32_e32 v1, 3, v68
	v_cmp_gt_u32_e64 s2, 8, v68
	v_bfe_u32 v66, v0, 4, 1
	s_mul_i32 s31, s15, 6
	s_delay_alu instid0(VALU_DEP_3) | instskip(NEXT) | instid1(VALU_DEP_3)
	v_lshlrev_b32_e32 v65, 1, v1
	s_and_b32 s17, vcc_lo, s2
	s_waitcnt lgkmcnt(0)
	s_and_saveexec_b32 s7, s17
	s_cbranch_execz .LBB895_10
; %bb.9:
	s_load_b64 s[20:21], s[0:1], 0x0
	v_lshl_or_b32 v5, v69, 1, v66
	s_mul_hi_i32 s23, s3, s4
	s_mul_i32 s22, s3, s4
	v_lshlrev_b32_e32 v6, 10, v68
	s_lshl_b64 s[22:23], s[22:23], 1
	v_add_lshl_u32 v1, v5, s31, 6
	v_lshlrev_b32_e32 v5, 6, v5
	v_lshlrev_b32_e32 v7, 10, v67
	v_and_b32_e32 v6, 0x3800, v6
	s_delay_alu instid0(VALU_DEP_4) | instskip(NEXT) | instid1(VALU_DEP_2)
	v_ashrrev_i32_e32 v2, 31, v1
	v_or3_b32 v5, v6, v7, v5
	s_delay_alu instid0(VALU_DEP_2) | instskip(SKIP_3) | instid1(VALU_DEP_1)
	v_lshlrev_b64 v[1:2], 1, v[1:2]
	s_waitcnt lgkmcnt(0)
	s_add_u32 s3, s20, s22
	s_addc_u32 s4, s21, s23
	v_add_co_u32 v1, vcc_lo, s3, v1
	s_delay_alu instid0(VALU_DEP_2) | instskip(NEXT) | instid1(VALU_DEP_2)
	v_add_co_ci_u32_e32 v2, vcc_lo, s4, v2, vcc_lo
	v_add_co_u32 v1, vcc_lo, v1, v65
	s_delay_alu instid0(VALU_DEP_2)
	v_add_co_ci_u32_e32 v2, vcc_lo, 0, v2, vcc_lo
	global_load_b128 v[1:4], v[1:2], off
	s_waitcnt vmcnt(0)
	ds_store_b128 v5, v[1:4]
.LBB895_10:
	s_or_b32 exec_lo, exec_lo, s7
	v_and_b32_e32 v1, 0xef, v0
	s_add_i32 s3, s18, 31
	s_clause 0x1
	s_load_b32 s4, s[0:1], 0x38
	s_load_b32 s33, s[0:1], 0x98
	s_ashr_i32 s7, s3, 31
	v_add_nc_u32_e32 v1, s16, v1
	s_lshr_b32 s7, s7, 27
	s_load_b32 s19, s[0:1], 0x1c
	s_add_i32 s3, s3, s7
	s_waitcnt lgkmcnt(0)
	v_ashrrev_i32_e32 v2, 31, v1
	v_or_b32_e32 v3, 16, v1
	s_ashr_i32 s3, s3, 5
	v_cmp_gt_i32_e32 vcc_lo, s18, v1
	s_add_i32 s3, s3, -1
	v_lshrrev_b32_e32 v2, 27, v2
	s_barrier
	buffer_gl0_inv
	s_mul_i32 s15, s15, s6
	v_mul_lo_u16 v103, v68, 43
	v_add_nc_u32_e32 v4, v1, v2
	v_mbcnt_lo_u32_b32 v127, -1, 0
	s_mul_i32 s20, s34, s4
	s_delay_alu instid0(SALU_CYCLE_1) | instskip(NEXT) | instid1(VALU_DEP_2)
	s_ashr_i32 s21, s20, 31
	v_ashrrev_i32_e32 v4, 5, v4
	v_add_nc_u32_e32 v2, v3, v2
	s_lshl_b64 s[20:21], s[20:21], 2
	v_lshrrev_b16 v103, 8, v103
	s_add_u32 s17, s12, s20
	v_cndmask_b32_e32 v1, s3, v4, vcc_lo
	v_ashrrev_i32_e32 v2, 5, v2
	v_cmp_gt_i32_e32 vcc_lo, s18, v3
	s_addc_u32 s13, s13, s21
	s_ashr_i32 s20, s15, 31
	s_add_u32 s22, s8, s15
	s_addc_u32 s23, s9, s20
	v_cndmask_b32_e32 v3, s3, v2, vcc_lo
	v_ashrrev_i32_e32 v2, 31, v1
	s_lshl_b32 s6, s14, 3
	v_mul_lo_u16 v103, v103, 6
	s_ashr_i32 s7, s6, 31
	v_ashrrev_i32_e32 v4, 31, v3
	v_lshlrev_b64 v[1:2], 2, v[1:2]
	s_lshl_b64 s[6:7], s[6:7], 2
	v_sub_nc_u16 v103, v68, v103
	s_add_u32 s6, s17, s6
	v_lshlrev_b64 v[3:4], 2, v[3:4]
	s_addc_u32 s7, s13, s7
	v_add_co_u32 v1, vcc_lo, s17, v1
	v_add_co_ci_u32_e32 v2, vcc_lo, s13, v2, vcc_lo
	s_delay_alu instid0(VALU_DEP_3) | instskip(NEXT) | instid1(VALU_DEP_4)
	v_add_co_u32 v3, vcc_lo, s17, v3
	v_add_co_ci_u32_e32 v4, vcc_lo, s13, v4, vcc_lo
	s_clause 0x1
	global_load_b32 v5, v[1:2], off
	global_load_b32 v6, v[3:4], off
	s_or_b32 s4, s16, 32
	v_xor_b32_e32 v128, 16, v127
	s_ashr_i32 s8, s4, 5
	s_cmp_lt_i32 s4, s18
	s_cselect_b32 s8, s8, s3
	s_delay_alu instid0(SALU_CYCLE_1) | instskip(NEXT) | instid1(SALU_CYCLE_1)
	s_ashr_i32 s9, s8, 31
	s_lshl_b64 s[8:9], s[8:9], 2
	s_delay_alu instid0(SALU_CYCLE_1) | instskip(SKIP_2) | instid1(SALU_CYCLE_1)
	s_add_u32 s8, s17, s8
	s_addc_u32 s9, s13, s9
	s_or_b32 s4, s16, 64
	s_ashr_i32 s12, s4, 5
	s_cmp_lt_i32 s4, s18
	s_cselect_b32 s24, s12, s3
	s_delay_alu instid0(SALU_CYCLE_1) | instskip(NEXT) | instid1(SALU_CYCLE_1)
	s_ashr_i32 s25, s24, 31
	s_lshl_b64 s[24:25], s[24:25], 2
	s_delay_alu instid0(SALU_CYCLE_1) | instskip(SKIP_2) | instid1(SALU_CYCLE_1)
	s_add_u32 s24, s17, s24
	s_addc_u32 s25, s13, s25
	s_or_b32 s4, s16, 0x60
	;; [unrolled: 10-line block ×4, first 2 shown]
	s_ashr_i32 s12, s4, 5
	s_cmp_lt_i32 s4, s18
	s_cselect_b32 s36, s12, s3
	s_delay_alu instid0(SALU_CYCLE_1) | instskip(NEXT) | instid1(SALU_CYCLE_1)
	s_ashr_i32 s37, s36, 31
	s_lshl_b64 s[36:37], s[36:37], 2
	s_delay_alu instid0(SALU_CYCLE_1)
	s_add_u32 s36, s17, s36
	s_addc_u32 s37, s13, s37
	s_clause 0x5
	s_load_b32 s12, s[6:7], 0x0
	s_load_b32 s4, s[8:9], 0x0
	;; [unrolled: 1-line block ×6, first 2 shown]
	s_or_b32 s21, s16, 0xc0
	s_waitcnt vmcnt(1)
	v_mad_i64_i32 v[1:2], null, v5, s5, s[22:23]
	v_lshlrev_b32_e32 v5, 4, v68
	s_waitcnt vmcnt(0)
	v_mad_i64_i32 v[3:4], null, v6, s5, s[22:23]
	s_ashr_i32 s22, s21, 5
	s_cmp_lt_i32 s21, s18
	s_delay_alu instid0(VALU_DEP_3) | instskip(NEXT) | instid1(VALU_DEP_4)
	v_add_co_u32 v1, vcc_lo, v1, v5
	v_add_co_ci_u32_e32 v2, vcc_lo, 0, v2, vcc_lo
	s_delay_alu instid0(VALU_DEP_3) | instskip(NEXT) | instid1(VALU_DEP_4)
	v_add_co_u32 v3, vcc_lo, v3, v5
	v_add_co_ci_u32_e32 v4, vcc_lo, 0, v4, vcc_lo
	s_clause 0x7
	global_load_b128 v[71:74], v[1:2], off
	global_load_b128 v[75:78], v[1:2], off offset:512
	global_load_b128 v[79:82], v[3:4], off offset:256
	global_load_b128 v[83:86], v[3:4], off offset:768
	global_load_b128 v[87:90], v[1:2], off offset:1024
	global_load_b128 v[91:94], v[1:2], off offset:1536
	global_load_b128 v[95:98], v[3:4], off offset:1280
	global_load_b128 v[99:102], v[3:4], off offset:1792
	s_cselect_b32 s22, s22, s3
	v_lshlrev_b32_e32 v1, 5, v68
	s_ashr_i32 s23, s22, 31
	v_cmp_gt_i32_e32 vcc_lo, 32, v128
	s_lshl_b64 s[22:23], s[22:23], 2
	v_and_b32_e32 v103, 0xff, v103
	s_add_u32 s22, s17, s22
	s_addc_u32 s23, s13, s23
	v_cndmask_b32_e32 v136, v127, v128, vcc_lo
	s_or_b32 s21, s16, 0xe0
	v_lshl_or_b32 v1, v69, 9, v1
	s_ashr_i32 s24, s21, 5
	s_cmp_lt_i32 s21, s18
	v_lshlrev_b32_e32 v115, 6, v103
	s_cselect_b32 s24, s24, s3
	s_load_b32 s3, s[22:23], 0x0
	s_ashr_i32 s25, s24, 31
	s_delay_alu instid0(SALU_CYCLE_1) | instskip(NEXT) | instid1(SALU_CYCLE_1)
	s_lshl_b64 s[24:25], s[24:25], 2
	s_add_u32 s22, s17, s24
	s_addc_u32 s23, s13, s25
	s_add_u32 s10, s10, s15
	s_addc_u32 s11, s11, s20
	v_add_co_u32 v1, s10, s10, v1
	s_delay_alu instid0(VALU_DEP_1) | instskip(SKIP_2) | instid1(VALU_DEP_1)
	v_add_co_ci_u32_e64 v2, null, s11, 0, s10
	s_load_b32 s10, s[22:23], 0x0
	s_waitcnt lgkmcnt(0)
	v_mad_i64_i32 v[3:4], null, s12, s5, v[1:2]
	v_mad_i64_i32 v[9:10], null, s7, s5, v[1:2]
	v_mad_i64_i32 v[5:6], null, s4, s5, v[1:2]
	v_mad_i64_i32 v[13:14], null, s8, s5, v[1:2]
	v_mad_i64_i32 v[7:8], null, s6, s5, v[1:2]
	v_mad_i64_i32 v[21:22], null, s9, s5, v[1:2]
	v_mad_i64_i32 v[29:30], null, s3, s5, v[1:2]
	s_clause 0x5
	global_load_b128 v[49:52], v[3:4], off
	global_load_b128 v[53:56], v[3:4], off offset:16
	global_load_b128 v[41:44], v[5:6], off
	global_load_b128 v[45:48], v[5:6], off offset:16
	;; [unrolled: 2-line block ×3, first 2 shown]
	s_mov_b32 s4, 0
	v_mad_i64_i32 v[61:62], null, s10, s5, v[1:2]
	s_clause 0x9
	global_load_b128 v[1:4], v[9:10], off
	global_load_b128 v[5:8], v[9:10], off offset:16
	global_load_b128 v[9:12], v[13:14], off
	global_load_b128 v[13:16], v[13:14], off offset:16
	;; [unrolled: 2-line block ×5, first 2 shown]
	s_mov_b32 s5, s4
	s_mov_b32 s6, s4
	s_mov_b32 s7, s4
	s_mov_b32 s8, s4
	s_mov_b32 s9, s4
	s_mov_b32 s10, s4
	s_mov_b32 s11, s4
	v_and_b32_e32 v104, 0xe0, v0
	v_dual_mov_b32 v126, s11 :: v_dual_mov_b32 v123, s8
	v_dual_mov_b32 v125, s10 :: v_dual_mov_b32 v124, s9
	s_delay_alu instid0(VALU_DEP_3)
	v_add_nc_u32_e32 v111, s16, v104
	ds_load_b128 v[103:106], v115
	ds_load_b128 v[107:110], v115 offset:1024
	v_dual_mov_b32 v122, s7 :: v_dual_mov_b32 v121, s6
	v_mov_b32_e32 v120, s5
	v_or_b32_e32 v135, v111, v66
	ds_load_b128 v[111:114], v115 offset:2048
	ds_load_b128 v[115:118], v115 offset:3072
	v_mov_b32_e32 v119, s4
	s_waitcnt vmcnt(0) lgkmcnt(0)
	s_barrier
	v_or_b32_e32 v137, 2, v135
	v_or_b32_e32 v138, 4, v135
	;; [unrolled: 1-line block ×3, first 2 shown]
	v_cmp_gt_i32_e32 vcc_lo, s18, v135
	v_or_b32_e32 v140, 8, v135
	v_cmp_gt_i32_e64 s3, s18, v137
	v_or_b32_e32 v141, 10, v135
	v_cmp_gt_i32_e64 s4, s18, v138
	v_cmp_gt_i32_e64 s5, s18, v139
	v_or_b32_e32 v142, 12, v135
	v_or_b32_e32 v143, 14, v135
	v_cmp_gt_i32_e64 s6, s18, v140
	v_cmp_gt_i32_e64 s7, s18, v141
	v_or_b32_e32 v144, 16, v135
	v_or_b32_e32 v145, 18, v135
	v_cmp_gt_i32_e64 s8, s18, v142
	v_cmp_gt_i32_e64 s9, s18, v143
	buffer_gl0_inv
	v_cmp_gt_i32_e64 s10, s18, v144
	v_cmp_gt_i32_e64 s11, s18, v145
	v_wmma_f32_16x16x16_f16 v[127:134], v[71:78], v[103:110], v[119:126]
	v_wmma_f32_16x16x16_f16 v[119:126], v[79:86], v[103:110], v[119:126]
	v_or_b32_e32 v71, 20, v135
	v_or_b32_e32 v72, 22, v135
	s_delay_alu instid0(VALU_DEP_4)
	v_wmma_f32_16x16x16_f16 v[127:134], v[87:94], v[111:118], v[127:134]
	v_or_b32_e32 v73, 24, v135
	v_wmma_f32_16x16x16_f16 v[119:126], v[95:102], v[111:118], v[119:126]
	v_or_b32_e32 v74, 26, v135
	v_cmp_gt_i32_e64 s12, s18, v71
	v_dual_mul_f32 v84, s19, v127 :: v_dual_mul_f32 v83, s19, v128
	s_delay_alu instid0(VALU_DEP_4) | instskip(SKIP_2) | instid1(VALU_DEP_4)
	v_dual_mul_f32 v92, s19, v119 :: v_dual_mul_f32 v81, s19, v130
	v_mul_f32_e32 v90, s19, v121
	v_mul_f32_e32 v82, s19, v129
	v_cndmask_b32_e32 v84, 0xff7fffff, v84, vcc_lo
	v_cndmask_b32_e64 v83, 0xff7fffff, v83, s3
	v_dual_mul_f32 v79, s19, v132 :: v_dual_mul_f32 v88, s19, v123
	v_mul_f32_e32 v80, s19, v131
	v_cndmask_b32_e64 v82, 0xff7fffff, v82, s4
	v_cndmask_b32_e64 v81, 0xff7fffff, v81, s5
	v_max3_f32 v83, v84, 0xff7fffff, v83
	v_dual_mul_f32 v77, s19, v134 :: v_dual_mul_f32 v86, s19, v125
	v_mul_f32_e32 v78, s19, v133
	v_cndmask_b32_e64 v80, 0xff7fffff, v80, s6
	v_cndmask_b32_e64 v79, 0xff7fffff, v79, s7
	v_max3_f32 v81, v83, v82, v81
	v_mul_f32_e32 v91, s19, v120
	v_cndmask_b32_e64 v78, 0xff7fffff, v78, s8
	v_cndmask_b32_e64 v77, 0xff7fffff, v77, s9
	v_mul_f32_e32 v89, s19, v122
	v_max3_f32 v79, v81, v80, v79
	v_cndmask_b32_e64 v80, 0xff7fffff, v92, s10
	v_cndmask_b32_e64 v81, 0xff7fffff, v91, s11
	v_cmp_gt_i32_e64 s13, s18, v72
	v_or_b32_e32 v75, 28, v135
	v_max3_f32 v77, v79, v78, v77
	v_or_b32_e32 v76, 30, v135
	v_mul_f32_e32 v87, s19, v124
	v_cndmask_b32_e64 v71, 0xff7fffff, v90, s12
	v_cndmask_b32_e64 v72, 0xff7fffff, v89, s13
	v_max3_f32 v77, v77, v80, v81
	v_cmp_gt_i32_e64 s15, s18, v73
	v_cmp_gt_i32_e64 s16, s18, v74
	v_mul_f32_e32 v85, s19, v126
	v_cmp_gt_i32_e64 s17, s18, v75
	v_max3_f32 v71, v77, v71, v72
	v_cndmask_b32_e64 v73, 0xff7fffff, v88, s15
	v_cndmask_b32_e64 v74, 0xff7fffff, v87, s16
	v_cmp_gt_i32_e64 s18, s18, v76
	v_cndmask_b32_e64 v72, 0xff7fffff, v86, s17
	s_delay_alu instid0(VALU_DEP_3) | instskip(NEXT) | instid1(VALU_DEP_3)
	v_max3_f32 v71, v71, v73, v74
	v_cndmask_b32_e64 v75, 0xff7fffff, v85, s18
	v_lshlrev_b32_e32 v73, 2, v136
	s_delay_alu instid0(VALU_DEP_2) | instskip(SKIP_3) | instid1(VALU_DEP_1)
	v_max3_f32 v71, v71, v72, v75
	ds_bpermute_b32 v72, v73, v71
	s_waitcnt lgkmcnt(0)
	v_max_f32_e32 v72, v72, v72
	v_max_f32_e32 v71, v71, v72
	s_delay_alu instid0(VALU_DEP_1) | instskip(SKIP_2) | instid1(VALU_DEP_3)
	v_fma_f32 v72, s19, v127, -v71
	v_fma_f32 v74, s19, v128, -v71
	;; [unrolled: 1-line block ×3, first 2 shown]
	v_mul_f32_e32 v72, 0x3fb8aa3b, v72
	s_delay_alu instid0(VALU_DEP_2) | instskip(NEXT) | instid1(VALU_DEP_2)
	v_dual_mul_f32 v74, 0x3fb8aa3b, v74 :: v_dual_mul_f32 v75, 0x3fb8aa3b, v75
	v_exp_f32_e32 v72, v72
	s_delay_alu instid0(VALU_DEP_1) | instskip(NEXT) | instid1(VALU_DEP_1)
	v_exp_f32_e32 v74, v74
	v_exp_f32_e32 v75, v75
	s_delay_alu instid0(TRANS32_DEP_3)
	v_cndmask_b32_e32 v79, 0, v72, vcc_lo
	s_waitcnt_depctr 0xfff
	v_cndmask_b32_e64 v78, 0, v74, s3
	v_cndmask_b32_e64 v81, 0, v75, s4
	s_mov_b32 s3, exec_lo
	v_add_f32_e32 v74, 0, v79
	s_delay_alu instid0(VALU_DEP_1) | instskip(NEXT) | instid1(VALU_DEP_1)
	v_add_f32_e32 v74, v74, v78
	v_add_f32_e32 v74, v74, v81
	v_fma_f32 v76, s19, v130, -v71
	v_fma_f32 v77, s19, v131, -v71
	;; [unrolled: 1-line block ×5, first 2 shown]
	s_delay_alu instid0(VALU_DEP_4) | instskip(NEXT) | instid1(VALU_DEP_4)
	v_dual_mul_f32 v76, 0x3fb8aa3b, v76 :: v_dual_mul_f32 v77, 0x3fb8aa3b, v77
	v_mul_f32_e32 v72, 0x3fb8aa3b, v72
	s_delay_alu instid0(VALU_DEP_4) | instskip(SKIP_1) | instid1(VALU_DEP_4)
	v_mul_f32_e32 v82, 0x3fb8aa3b, v80
	v_fma_f32 v86, s19, v122, -v71
	v_exp_f32_e32 v76, v76
	v_exp_f32_e32 v77, v77
	;; [unrolled: 1-line block ×4, first 2 shown]
	v_mul_f32_e32 v86, 0x3fb8aa3b, v86
	s_delay_alu instid0(VALU_DEP_1)
	v_exp_f32_e32 v88, v86
	v_cndmask_b32_e64 v80, 0, v76, s5
	v_mul_f32_e32 v75, 0x3fb8aa3b, v75
	v_fma_f32 v76, s19, v119, -v71
	v_cndmask_b32_e64 v83, 0, v77, s6
	v_fma_f32 v77, s19, v120, -v71
	v_add_f32_e32 v74, v74, v80
	v_exp_f32_e32 v75, v75
	v_mul_f32_e32 v76, 0x3fb8aa3b, v76
	v_cndmask_b32_e64 v82, 0, v72, s7
	s_delay_alu instid0(VALU_DEP_3) | instskip(SKIP_1) | instid1(VALU_DEP_4)
	v_dual_mul_f32 v77, 0x3fb8aa3b, v77 :: v_dual_add_f32 v72, v74, v83
	v_fma_f32 v74, s19, v121, -v71
	v_exp_f32_e32 v76, v76
	v_cndmask_b32_e64 v85, 0, v84, s8
	s_delay_alu instid0(VALU_DEP_3) | instskip(SKIP_1) | instid1(TRANS32_DEP_3)
	v_exp_f32_e32 v77, v77
	v_cndmask_b32_e64 v88, 0, v88, s13
	v_cndmask_b32_e64 v84, 0, v75, s9
	v_fma_f32 v75, s19, v123, -v71
	v_add_f32_e32 v72, v72, v82
	s_delay_alu instid0(VALU_DEP_2) | instskip(NEXT) | instid1(VALU_DEP_2)
	v_dual_mul_f32 v74, 0x3fb8aa3b, v74 :: v_dual_mul_f32 v75, 0x3fb8aa3b, v75
	v_add_f32_e32 v72, v72, v85
	s_delay_alu instid0(VALU_DEP_2)
	v_exp_f32_e32 v74, v74
	v_cndmask_b32_e64 v87, 0, v76, s10
	v_fma_f32 v76, s19, v124, -v71
	v_cndmask_b32_e64 v86, 0, v77, s11
	v_add_f32_e32 v72, v72, v84
	v_fma_f32 v77, s19, v125, -v71
	v_exp_f32_e32 v75, v75
	v_mul_f32_e32 v76, 0x3fb8aa3b, v76
	s_delay_alu instid0(VALU_DEP_3) | instskip(NEXT) | instid1(TRANS32_DEP_2)
	v_add_f32_e32 v72, v72, v87
	v_cndmask_b32_e64 v89, 0, v74, s12
	v_mul_f32_e32 v74, 0x3fb8aa3b, v77
	s_delay_alu instid0(VALU_DEP_4) | instskip(SKIP_2) | instid1(VALU_DEP_3)
	v_exp_f32_e32 v76, v76
	v_fma_f32 v77, s19, v126, -v71
	v_add_f32_e32 v72, v72, v86
	v_exp_f32_e32 v74, v74
	s_delay_alu instid0(TRANS32_DEP_3) | instskip(NEXT) | instid1(VALU_DEP_3)
	v_cndmask_b32_e64 v91, 0, v75, s15
	v_mul_f32_e32 v75, 0x3fb8aa3b, v77
	s_delay_alu instid0(VALU_DEP_3) | instskip(NEXT) | instid1(TRANS32_DEP_2)
	v_add_f32_e32 v72, v72, v89
	v_cndmask_b32_e64 v90, 0, v76, s16
	s_delay_alu instid0(VALU_DEP_3) | instskip(NEXT) | instid1(VALU_DEP_2)
	v_exp_f32_e32 v75, v75
	v_add_f32_e32 v72, v72, v88
	s_delay_alu instid0(TRANS32_DEP_2) | instskip(NEXT) | instid1(VALU_DEP_2)
	v_cndmask_b32_e64 v93, 0, v74, s17
	v_add_f32_e32 v72, v72, v91
	s_waitcnt_depctr 0xfff
	v_cndmask_b32_e64 v92, 0, v75, s18
	v_add_f32_e32 v72, v72, v90
	s_delay_alu instid0(VALU_DEP_1) | instskip(NEXT) | instid1(VALU_DEP_1)
	v_add_f32_e32 v72, v72, v93
	v_add_f32_e32 v72, v72, v92
	ds_bpermute_b32 v73, v73, v72
	v_cmpx_gt_u32_e32 16, v70
	s_cbranch_execz .LBB895_12
; %bb.11:
	v_mul_u32_u24_e32 v70, 0x44, v69
	s_waitcnt lgkmcnt(0)
	v_add_f32_e32 v72, v72, v73
	s_delay_alu instid0(VALU_DEP_2) | instskip(NEXT) | instid1(VALU_DEP_1)
	v_lshl_add_u32 v70, v68, 2, v70
	v_add_nc_u32_e32 v70, 0x4000, v70
	ds_store_2addr_b32 v70, v71, v72 offset1:136
.LBB895_12:
	s_or_b32 exec_lo, exec_lo, s3
	v_lshlrev_b32_e32 v70, 2, v68
	s_load_b32 s35, s[0:1], 0x94
	s_waitcnt lgkmcnt(0)
	s_barrier
	buffer_gl0_inv
	v_add_nc_u32_e32 v98, 0x4000, v70
	v_cmp_eq_u32_e32 vcc_lo, 1, v69
	v_cmp_eq_u32_e64 s3, 2, v69
	v_cmp_eq_u32_e64 s4, 3, v69
	;; [unrolled: 1-line block ×3, first 2 shown]
	ds_load_2addr_b32 v[70:71], v98 offset1:17
	ds_load_2addr_b32 v[72:73], v98 offset0:34 offset1:51
	ds_load_2addr_b32 v[74:75], v98 offset0:68 offset1:85
	ds_load_2addr_b32 v[94:95], v98 offset0:102 offset1:119
	v_cmp_eq_u32_e64 s6, 5, v69
	v_cmp_eq_u32_e64 s7, 7, v69
	s_waitcnt lgkmcnt(3)
	v_max3_f32 v76, v70, 0xff7fffff, v71
	s_waitcnt lgkmcnt(2)
	s_delay_alu instid0(VALU_DEP_1) | instskip(SKIP_1) | instid1(VALU_DEP_1)
	v_max3_f32 v76, v76, v72, v73
	s_waitcnt lgkmcnt(1)
	v_max3_f32 v76, v76, v74, v75
	s_waitcnt lgkmcnt(0)
	s_delay_alu instid0(VALU_DEP_1) | instskip(NEXT) | instid1(VALU_DEP_1)
	v_max3_f32 v76, v76, v94, v95
	v_sub_f32_e32 v77, v71, v76
	ds_load_2addr_b32 v[96:97], v98 offset0:136 offset1:153
	v_sub_f32_e32 v74, v74, v76
	v_sub_f32_e32 v70, v70, v76
	;; [unrolled: 1-line block ×3, first 2 shown]
	v_dual_sub_f32 v72, v72, v76 :: v_dual_mul_f32 v77, 0x3fb8aa3b, v77
	s_delay_alu instid0(VALU_DEP_4) | instskip(NEXT) | instid1(VALU_DEP_4)
	v_mul_f32_e32 v103, 0x3fb8aa3b, v74
	v_mul_f32_e32 v99, 0x3fb8aa3b, v70
	ds_load_2addr_b32 v[70:71], v98 offset0:170 offset1:187
	v_dual_mul_f32 v101, 0x3fb8aa3b, v72 :: v_dual_mul_f32 v94, 0x3fb8aa3b, v94
	v_exp_f32_e32 v102, v77
	v_exp_f32_e32 v99, v99
	s_delay_alu instid0(VALU_DEP_1) | instskip(NEXT) | instid1(VALU_DEP_1)
	v_exp_f32_e32 v101, v101
	v_exp_f32_e32 v94, v94
	s_waitcnt lgkmcnt(1)
	s_delay_alu instid0(TRANS32_DEP_3)
	v_fma_f32 v77, v99, v96, 0
	v_sub_f32_e32 v100, v73, v76
	ds_load_2addr_b32 v[72:73], v98 offset0:204 offset1:221
	v_fmac_f32_e32 v77, v102, v97
	v_exp_f32_e32 v97, v103
	s_waitcnt lgkmcnt(1)
	s_delay_alu instid0(VALU_DEP_1)
	v_dual_fmac_f32 v77, v101, v70 :: v_dual_sub_f32 v96, v75, v76
	ds_load_2addr_b32 v[74:75], v98 offset0:238 offset1:255
	v_sub_f32_e32 v70, v95, v76
	s_waitcnt lgkmcnt(0)
	s_barrier
	v_mul_f32_e32 v96, 0x3fb8aa3b, v96
	buffer_gl0_inv
	v_exp_f32_e32 v95, v96
	v_mul_f32_e32 v100, 0x3fb8aa3b, v100
	s_delay_alu instid0(VALU_DEP_1) | instskip(SKIP_3) | instid1(VALU_DEP_2)
	v_exp_f32_e32 v100, v100
	s_waitcnt_depctr 0xfff
	v_dual_fmac_f32 v77, v100, v71 :: v_dual_mul_f32 v70, 0x3fb8aa3b, v70
	v_cndmask_b32_e32 v71, v99, v102, vcc_lo
	v_fmac_f32_e32 v77, v97, v72
	s_delay_alu instid0(VALU_DEP_3) | instskip(NEXT) | instid1(VALU_DEP_1)
	v_exp_f32_e32 v96, v70
	v_fmac_f32_e32 v77, v95, v73
	s_delay_alu instid0(VALU_DEP_1) | instskip(SKIP_2) | instid1(VALU_DEP_1)
	v_fmac_f32_e32 v77, v94, v74
	s_waitcnt_depctr 0xfff
	v_fmac_f32_e32 v77, v96, v75
	v_add_f32_e32 v74, 0x358637bd, v77
	s_delay_alu instid0(VALU_DEP_1) | instskip(SKIP_1) | instid1(VALU_DEP_2)
	v_div_scale_f32 v98, null, v74, v74, 1.0
	v_div_scale_f32 v99, vcc_lo, 1.0, v74, 1.0
	v_rcp_f32_e32 v103, v98
	s_waitcnt_depctr 0xfff
	v_fma_f32 v70, -v98, v103, 1.0
	s_delay_alu instid0(VALU_DEP_1) | instskip(SKIP_2) | instid1(VALU_DEP_2)
	v_fmac_f32_e32 v103, v70, v103
	v_cndmask_b32_e64 v70, v71, v101, s3
	v_cmp_eq_u32_e64 s3, 6, v69
	v_cndmask_b32_e64 v71, v70, v100, s4
	s_delay_alu instid0(VALU_DEP_4) | instskip(NEXT) | instid1(VALU_DEP_2)
	v_dual_mul_f32 v101, v99, v103 :: v_dual_lshlrev_b32 v70, 2, v66
	v_cndmask_b32_e64 v71, v71, v97, s5
	s_delay_alu instid0(VALU_DEP_2) | instskip(NEXT) | instid1(VALU_DEP_3)
	v_or_b32_e32 v72, 1, v70
	v_fma_f32 v100, -v98, v101, v99
	v_cmp_eq_u32_e64 s4, 1, v70
	v_cmp_eq_u32_e64 s5, 2, v70
	v_cndmask_b32_e64 v95, v71, v95, s6
	v_or_b32_e32 v71, 3, v70
	v_fmac_f32_e32 v101, v100, v103
	v_cmp_eq_u32_e64 s9, 1, v72
	v_cmp_eq_u32_e64 s12, 2, v72
	v_cndmask_b32_e64 v94, v95, v94, s3
	v_cmp_eq_u32_e64 s11, 1, v71
	v_fma_f32 v97, -v98, v101, v99
	v_cmp_eq_u32_e64 s16, 2, v71
	v_cmp_eq_u32_e64 s13, 3, v72
	v_cndmask_b32_e64 v94, v94, v96, s7
	v_cmp_eq_u32_e64 s18, 3, v71
	v_div_fmas_f32 v95, v97, v103, v101
	v_cmp_eq_u32_e32 vcc_lo, 3, v70
	v_cmp_eq_u32_e64 s3, 4, v70
	v_cmp_eq_u32_e64 s19, 4, v72
	v_cmp_eq_u32_e64 s22, 4, v71
	v_div_fixup_f32 v95, v95, v74, 1.0
	v_lshlrev_b32_e32 v73, 6, v68
	v_cmp_eq_u32_e64 s6, 5, v70
	v_cmp_eq_u32_e64 s20, 5, v72
	;; [unrolled: 1-line block ×3, first 2 shown]
	v_mul_f32_e32 v102, v94, v95
	v_lshl_or_b32 v75, v69, 11, v73
	v_or_b32_e32 v69, 2, v70
	v_cmp_eq_u32_e64 s25, 6, v72
	v_cmp_eq_u32_e64 s27, 6, v71
	v_fma_mixlo_f16 v94, v102, v79, 0
	v_fma_mixlo_f16 v95, v102, v81, 0
	;; [unrolled: 1-line block ×8, first 2 shown]
	v_lshl_or_b32 v74, v66, 4, v75
	v_fma_mixhi_f16 v94, v102, v78, 0
	v_fma_mixhi_f16 v95, v102, v80, 0
	;; [unrolled: 1-line block ×8, first 2 shown]
	ds_store_b128 v74, v[94:97]
	ds_store_b128 v74, v[98:101] offset:1024
	s_waitcnt lgkmcnt(0)
	s_barrier
	buffer_gl0_inv
	ds_load_b128 v[78:81], v75
	ds_load_b128 v[82:85], v75 offset:16
	ds_load_b128 v[86:89], v75 offset:1024
	;; [unrolled: 1-line block ×3, first 2 shown]
	v_cmp_eq_u32_e64 s10, 1, v69
	v_cmp_eq_u32_e64 s15, 2, v69
	;; [unrolled: 1-line block ×11, first 2 shown]
	s_waitcnt lgkmcnt(3)
	v_lshrrev_b32_e32 v94, 16, v78
	s_waitcnt lgkmcnt(2)
	v_lshrrev_b32_e32 v98, 16, v82
	;; [unrolled: 2-line block ×4, first 2 shown]
	v_lshrrev_b32_e32 v95, 16, v79
	v_cndmask_b32_e64 v110, v78, v94, s4
	v_cndmask_b32_e64 v111, v82, v98, s4
	;; [unrolled: 1-line block ×8, first 2 shown]
	v_lshrrev_b32_e32 v99, 16, v83
	v_cndmask_b32_e64 v94, v86, v102, s4
	v_cndmask_b32_e64 v98, v90, v106, s4
	;; [unrolled: 1-line block ×15, first 2 shown]
	v_lshrrev_b32_e32 v103, 16, v87
	v_lshrrev_b32_e32 v107, 16, v91
	v_cndmask_b32_e64 v113, v115, v83, s15
	v_cndmask_b32_e64 v82, v94, v87, s5
	;; [unrolled: 1-line block ×7, first 2 shown]
	v_cndmask_b32_e32 v90, v102, v95, vcc_lo
	v_cndmask_b32_e32 v102, v106, v99, vcc_lo
	v_cndmask_b32_e64 v106, v110, v95, s13
	v_cndmask_b32_e64 v110, v111, v99, s13
	;; [unrolled: 1-line block ×4, first 2 shown]
	v_lshrrev_b32_e32 v96, 16, v80
	v_lshrrev_b32_e32 v100, 16, v84
	v_cndmask_b32_e64 v111, v112, v95, s17
	v_cndmask_b32_e64 v112, v113, v99, s17
	v_cndmask_b32_e32 v82, v82, v103, vcc_lo
	v_cndmask_b32_e32 v83, v83, v107, vcc_lo
	v_cndmask_b32_e64 v94, v94, v103, s13
	v_cndmask_b32_e64 v90, v90, v80, s3
	;; [unrolled: 1-line block ×7, first 2 shown]
	v_lshrrev_b32_e32 v104, 16, v88
	v_cndmask_b32_e64 v106, v111, v80, s21
	v_cndmask_b32_e64 v110, v112, v84, s21
	;; [unrolled: 1-line block ×11, first 2 shown]
	v_lshrrev_b32_e32 v97, 16, v81
	v_lshrrev_b32_e32 v101, 16, v85
	v_cndmask_b32_e64 v99, v106, v96, s23
	v_cndmask_b32_e64 v102, v110, v100, s23
	;; [unrolled: 1-line block ×7, first 2 shown]
	v_lshrrev_b32_e32 v105, 16, v89
	v_cndmask_b32_e64 v80, v80, v104, s6
	v_cndmask_b32_e64 v84, v84, v81, s7
	;; [unrolled: 1-line block ×16, first 2 shown]
	v_perm_b32 v81, v79, v78, 0x5040100
	v_perm_b32 v79, v95, v85, 0x5040100
	v_cndmask_b32_e64 v78, v119, v91, s15
	v_cndmask_b32_e64 v85, v117, v91, s12
	v_cndmask_b32_e64 v96, v80, v105, s8
	v_perm_b32 v80, v94, v90, 0x5040100
	v_cndmask_b32_e64 v90, v98, v103, s17
	v_cndmask_b32_e64 v86, v86, v103, s18
	;; [unrolled: 1-line block ×5, first 2 shown]
	v_lshrrev_b32_e32 v108, 16, v92
	v_cndmask_b32_e64 v90, v90, v88, s21
	v_cndmask_b32_e64 v86, v86, v88, s22
	;; [unrolled: 1-line block ×11, first 2 shown]
	v_lshrrev_b32_e32 v109, 16, v93
	v_cndmask_b32_e64 v82, v82, v93, s7
	v_cndmask_b32_e64 v88, v88, v89, s26
	;; [unrolled: 1-line block ×12, first 2 shown]
	v_perm_b32 v78, v84, v83, 0x5040100
	v_perm_b32 v85, v87, v86, 0x5040100
	;; [unrolled: 1-line block ×5, first 2 shown]
	s_mul_i32 s8, s33, 6
	s_mov_b32 s3, exec_lo
	ds_store_b128 v74, v[78:81]
	ds_store_b128 v74, v[82:85] offset:1024
	v_cmpx_gt_u32_e32 6, v0
	s_cbranch_execz .LBB895_14
; %bb.13:
	s_mul_i32 s4, s8, s34
	s_delay_alu instid0(SALU_CYCLE_1) | instskip(SKIP_1) | instid1(VALU_DEP_1)
	v_add3_u32 v68, s4, s31, v68
	s_load_b128 s[4:7], s[0:1], 0x58
	v_mad_u64_u32 v[78:79], null, v68, s35, s[14:15]
	s_delay_alu instid0(VALU_DEP_1) | instskip(NEXT) | instid1(VALU_DEP_1)
	v_ashrrev_i32_e32 v79, 31, v78
	v_lshlrev_b64 v[78:79], 2, v[78:79]
	s_waitcnt lgkmcnt(0)
	s_delay_alu instid0(VALU_DEP_1) | instskip(NEXT) | instid1(VALU_DEP_2)
	v_add_co_u32 v80, vcc_lo, s6, v78
	v_add_co_ci_u32_e32 v81, vcc_lo, s7, v79, vcc_lo
	v_add_co_u32 v78, vcc_lo, s4, v78
	v_add_co_ci_u32_e32 v79, vcc_lo, s5, v79, vcc_lo
	global_store_b32 v[80:81], v76, off
	global_store_b32 v[78:79], v77, off
.LBB895_14:
	s_or_b32 exec_lo, exec_lo, s3
	s_waitcnt lgkmcnt(0)
	s_waitcnt_vscnt null, 0x0
	s_barrier
	buffer_gl0_inv
	ds_load_b128 v[84:87], v73
	ds_load_b128 v[88:91], v73 offset:16
	ds_load_b128 v[96:99], v73 offset:2064
	;; [unrolled: 1-line block ×5, first 2 shown]
	v_cmp_eq_u32_e32 vcc_lo, 1, v70
	v_mov_b32_e32 v76, 0
	ds_load_b128 v[112:115], v73 offset:6160
	ds_load_b128 v[108:111], v73 offset:6144
	;; [unrolled: 1-line block ×4, first 2 shown]
	v_cmp_eq_u32_e64 s4, 1, v69
	v_cmp_eq_u32_e64 s3, 1, v72
	;; [unrolled: 1-line block ×3, first 2 shown]
	v_mov_b32_e32 v77, v76
	v_mov_b32_e32 v78, v76
	;; [unrolled: 1-line block ×7, first 2 shown]
	v_cmp_eq_u32_e64 s6, 3, v72
	v_cmp_eq_u32_e64 s7, 7, v72
	s_waitcnt lgkmcnt(8)
	s_delay_alu instid0(VALU_DEP_3)
	v_wmma_f32_16x16x16_f16 v[76:83], v[49:56], v[84:91], v[76:83]
	ds_load_b128 v[53:56], v73 offset:10256
	ds_load_b128 v[49:52], v73 offset:10240
	s_waitcnt lgkmcnt(8)
	v_wmma_f32_16x16x16_f16 v[76:83], v[41:48], v[92:99], v[76:83]
	ds_load_b128 v[45:48], v73 offset:12304
	ds_load_b128 v[41:44], v73 offset:12288
	s_waitcnt lgkmcnt(8)
	;; [unrolled: 4-line block ×3, first 2 shown]
	s_barrier
	buffer_gl0_inv
	v_wmma_f32_16x16x16_f16 v[76:83], v[1:8], v[108:115], v[76:83]
	s_delay_alu instid0(VALU_DEP_1) | instskip(NEXT) | instid1(VALU_DEP_1)
	v_wmma_f32_16x16x16_f16 v[76:83], v[9:16], v[116:123], v[76:83]
	v_wmma_f32_16x16x16_f16 v[76:83], v[17:24], v[49:56], v[76:83]
	s_delay_alu instid0(VALU_DEP_1) | instskip(NEXT) | instid1(VALU_DEP_1)
	v_wmma_f32_16x16x16_f16 v[76:83], v[25:32], v[41:48], v[76:83]
	v_wmma_f32_16x16x16_f16 v[76:83], v[57:64], v[33:40], v[76:83]
	s_delay_alu instid0(VALU_DEP_1) | instskip(NEXT) | instid1(VALU_DEP_2)
	v_cvt_f16_f32_e32 v1, v76
	v_cvt_f16_f32_e32 v2, v77
	s_delay_alu instid0(VALU_DEP_3) | instskip(NEXT) | instid1(VALU_DEP_4)
	v_cvt_f16_f32_e32 v3, v78
	v_cvt_f16_f32_e32 v4, v79
	v_cvt_f16_f32_e32 v5, v80
	v_cvt_f16_f32_e32 v6, v81
	v_cvt_f16_f32_e32 v7, v82
	v_cvt_f16_f32_e32 v8, v83
	v_pack_b32_f16 v1, v1, v2
	v_pack_b32_f16 v2, v3, v4
	;; [unrolled: 1-line block ×3, first 2 shown]
	s_delay_alu instid0(VALU_DEP_4)
	v_pack_b32_f16 v4, v7, v8
	ds_store_b128 v74, v[1:4]
	s_waitcnt lgkmcnt(0)
	s_barrier
	buffer_gl0_inv
	ds_load_b128 v[1:4], v75
	ds_load_b128 v[5:8], v75 offset:16
	s_waitcnt lgkmcnt(1)
	v_lshrrev_b32_e32 v9, 16, v1
	s_waitcnt lgkmcnt(0)
	v_lshrrev_b32_e32 v13, 16, v5
	v_lshrrev_b32_e32 v10, 16, v2
	;; [unrolled: 1-line block ×4, first 2 shown]
	v_cndmask_b32_e32 v17, v1, v9, vcc_lo
	v_cndmask_b32_e32 v18, v5, v13, vcc_lo
	v_cndmask_b32_e64 v21, v1, v9, s4
	v_cmp_eq_u32_e32 vcc_lo, 1, v71
	v_cndmask_b32_e64 v22, v5, v13, s4
	v_cmp_eq_u32_e64 s4, 2, v70
	v_cndmask_b32_e64 v19, v1, v9, s3
	v_cndmask_b32_e64 v20, v5, v13, s3
	v_cndmask_b32_e32 v1, v1, v9, vcc_lo
	v_cmp_eq_u32_e64 s3, 2, v71
	v_cndmask_b32_e32 v5, v5, v13, vcc_lo
	v_cndmask_b32_e64 v9, v17, v2, s4
	v_cmp_eq_u32_e32 vcc_lo, 3, v70
	v_cndmask_b32_e64 v13, v18, v6, s4
	v_cmp_eq_u32_e64 s4, 2, v69
	v_cndmask_b32_e64 v17, v19, v2, s5
	v_cndmask_b32_e64 v18, v20, v6, s5
	v_cmp_eq_u32_e64 s5, 3, v69
	v_cndmask_b32_e64 v1, v1, v2, s3
	v_cndmask_b32_e64 v19, v21, v2, s4
	v_cndmask_b32_e64 v20, v22, v6, s4
	v_cndmask_b32_e64 v2, v5, v6, s3
	v_cndmask_b32_e32 v5, v9, v10, vcc_lo
	v_cndmask_b32_e32 v6, v13, v14, vcc_lo
	v_cmp_eq_u32_e32 vcc_lo, 3, v71
	v_cndmask_b32_e64 v9, v17, v10, s6
	v_cndmask_b32_e64 v13, v18, v14, s6
	;; [unrolled: 1-line block ×3, first 2 shown]
	v_cmp_eq_u32_e64 s4, 4, v70
	v_cndmask_b32_e32 v1, v1, v10, vcc_lo
	v_cndmask_b32_e32 v2, v2, v14, vcc_lo
	v_cmp_eq_u32_e32 vcc_lo, 4, v72
	v_lshrrev_b32_e32 v15, 16, v7
	v_lshrrev_b32_e32 v16, 16, v8
	v_cndmask_b32_e64 v17, v19, v10, s5
	v_cmp_eq_u32_e64 s3, 4, v71
	v_cndmask_b32_e64 v5, v5, v3, s4
	v_cndmask_b32_e64 v6, v6, v7, s4
	v_cndmask_b32_e32 v9, v9, v3, vcc_lo
	v_cmp_eq_u32_e64 s4, 5, v72
	v_cndmask_b32_e32 v10, v13, v7, vcc_lo
	v_cmp_eq_u32_e32 vcc_lo, 4, v69
	v_cmp_eq_u32_e64 s5, 5, v70
	v_cndmask_b32_e64 v2, v2, v7, s3
	v_cndmask_b32_e64 v9, v9, v11, s4
	;; [unrolled: 1-line block ×3, first 2 shown]
	v_cndmask_b32_e32 v13, v17, v3, vcc_lo
	v_cmp_eq_u32_e64 s4, 5, v69
	v_cndmask_b32_e32 v14, v18, v7, vcc_lo
	v_cndmask_b32_e64 v1, v1, v3, s3
	v_cmp_eq_u32_e32 vcc_lo, 5, v71
	v_lshrrev_b32_e32 v12, 16, v4
	v_cndmask_b32_e64 v13, v13, v11, s4
	v_cndmask_b32_e64 v3, v14, v15, s4
	v_cmp_eq_u32_e64 s4, 6, v71
	v_cndmask_b32_e32 v1, v1, v11, vcc_lo
	v_cndmask_b32_e64 v5, v5, v11, s5
	v_cmp_eq_u32_e64 s6, 6, v70
	v_cndmask_b32_e64 v6, v6, v15, s5
	v_cmp_eq_u32_e64 s5, 6, v72
	v_cmp_eq_u32_e64 s3, 6, v69
	v_cndmask_b32_e64 v1, v1, v4, s4
	v_cndmask_b32_e32 v2, v2, v15, vcc_lo
	v_cmp_eq_u32_e32 vcc_lo, 7, v71
	v_cndmask_b32_e64 v5, v5, v4, s6
	v_cndmask_b32_e64 v9, v9, v4, s5
	;; [unrolled: 1-line block ×3, first 2 shown]
	v_cmp_eq_u32_e64 s6, 7, v70
	v_cndmask_b32_e32 v1, v1, v12, vcc_lo
	v_cndmask_b32_e64 v7, v13, v4, s3
	v_cndmask_b32_e64 v3, v3, v8, s3
	;; [unrolled: 1-line block ×3, first 2 shown]
	v_cmp_eq_u32_e64 s3, 7, v69
	v_cndmask_b32_e64 v4, v10, v8, s5
	v_cndmask_b32_e64 v5, v5, v12, s6
	;; [unrolled: 1-line block ×3, first 2 shown]
	v_cndmask_b32_e32 v2, v2, v16, vcc_lo
	v_cndmask_b32_e64 v7, v7, v12, s3
	v_cndmask_b32_e64 v3, v3, v16, s3
	;; [unrolled: 1-line block ×4, first 2 shown]
	v_cmp_gt_u32_e32 vcc_lo, 32, v0
	v_perm_b32 v4, v2, v1, 0x5040100
	v_perm_b32 v3, v3, v7, 0x5040100
	;; [unrolled: 1-line block ×4, first 2 shown]
	s_and_b32 s2, vcc_lo, s2
	ds_store_b128 v74, v[1:4]
	s_waitcnt lgkmcnt(0)
	s_barrier
	buffer_gl0_inv
	s_and_saveexec_b32 s3, s2
	s_cbranch_execz .LBB895_2
; %bb.15:
	s_load_b64 s[0:1], s[0:1], 0x68
	s_lshl_b32 s4, s35, 6
	v_or_b32_e32 v3, s31, v66
	s_mul_i32 s2, s4, s34
	v_lshlrev_b32_e32 v0, 10, v0
	s_mul_i32 s2, s2, s8
	v_lshlrev_b32_e32 v1, 4, v67
	s_ashr_i32 s3, s2, 31
	v_mul_lo_u32 v12, v3, s4
	s_lshl_b64 s[2:3], s[2:3], 1
	v_lshlrev_b32_e32 v2, 6, v66
	v_and_b32_e32 v0, 0x3800, v0
	s_delay_alu instid0(VALU_DEP_1) | instskip(NEXT) | instid1(VALU_DEP_4)
	v_or3_b32 v8, v0, v1, v2
	v_ashrrev_i32_e32 v13, 31, v12
	ds_load_b128 v[0:3], v8
	ds_load_b128 v[4:7], v8 offset:128
	ds_load_b128 v[8:11], v8 offset:256
	s_waitcnt lgkmcnt(0)
	s_add_u32 s2, s0, s2
	s_addc_u32 s3, s1, s3
	s_lshl_b32 s0, s14, 6
	s_delay_alu instid0(SALU_CYCLE_1) | instskip(NEXT) | instid1(SALU_CYCLE_1)
	s_ashr_i32 s1, s0, 31
	s_lshl_b64 s[0:1], s[0:1], 1
	s_delay_alu instid0(SALU_CYCLE_1)
	s_add_u32 s0, s2, s0
	s_addc_u32 s1, s3, s1
	s_lshl_b32 s2, s35, 7
	v_add_co_u32 v18, s0, s0, v65
	v_add_nc_u32_e32 v14, s2, v12
	v_lshlrev_b64 v[12:13], 1, v[12:13]
	v_add_co_ci_u32_e64 v19, null, s1, 0, s0
	s_delay_alu instid0(VALU_DEP_3) | instskip(SKIP_1) | instid1(VALU_DEP_4)
	v_add_nc_u32_e32 v16, s2, v14
	v_ashrrev_i32_e32 v15, 31, v14
	v_add_co_u32 v12, vcc_lo, v18, v12
	s_delay_alu instid0(VALU_DEP_4) | instskip(NEXT) | instid1(VALU_DEP_4)
	v_add_co_ci_u32_e32 v13, vcc_lo, v19, v13, vcc_lo
	v_ashrrev_i32_e32 v17, 31, v16
	s_delay_alu instid0(VALU_DEP_4) | instskip(NEXT) | instid1(VALU_DEP_2)
	v_lshlrev_b64 v[14:15], 1, v[14:15]
	v_lshlrev_b64 v[16:17], 1, v[16:17]
	s_delay_alu instid0(VALU_DEP_2) | instskip(NEXT) | instid1(VALU_DEP_3)
	v_add_co_u32 v14, vcc_lo, v18, v14
	v_add_co_ci_u32_e32 v15, vcc_lo, v19, v15, vcc_lo
	s_delay_alu instid0(VALU_DEP_3) | instskip(NEXT) | instid1(VALU_DEP_4)
	v_add_co_u32 v16, vcc_lo, v18, v16
	v_add_co_ci_u32_e32 v17, vcc_lo, v19, v17, vcc_lo
	s_clause 0x2
	global_store_b128 v[12:13], v[0:3], off
	global_store_b128 v[14:15], v[4:7], off
	;; [unrolled: 1-line block ×3, first 2 shown]
	s_nop 0
	s_sendmsg sendmsg(MSG_DEALLOC_VGPRS)
	s_endpgm
	.section	.rodata,"a",@progbits
	.p2align	6, 0x0
	.amdhsa_kernel _Z39paged_attention_ll4mi_QKV_mfma16_kernelIDF16_hLN4vllm18Fp8KVCacheDataTypeE1EDF16_Li32ELi64ELi256ELb1ELi6EL8MFMAType1EEvPKT_PKT0_S8_ifPKiSA_SA_iPKfiiiPfSD_PS3_PT2_iSC_SC_
		.amdhsa_group_segment_fixed_size 17472
		.amdhsa_private_segment_fixed_size 0
		.amdhsa_kernarg_size 400
		.amdhsa_user_sgpr_count 13
		.amdhsa_user_sgpr_dispatch_ptr 0
		.amdhsa_user_sgpr_queue_ptr 0
		.amdhsa_user_sgpr_kernarg_segment_ptr 1
		.amdhsa_user_sgpr_dispatch_id 0
		.amdhsa_user_sgpr_private_segment_size 0
		.amdhsa_wavefront_size32 1
		.amdhsa_uses_dynamic_stack 0
		.amdhsa_enable_private_segment 0
		.amdhsa_system_sgpr_workgroup_id_x 1
		.amdhsa_system_sgpr_workgroup_id_y 1
		.amdhsa_system_sgpr_workgroup_id_z 1
		.amdhsa_system_sgpr_workgroup_info 0
		.amdhsa_system_vgpr_workitem_id 0
		.amdhsa_next_free_vgpr 146
		.amdhsa_next_free_sgpr 38
		.amdhsa_reserve_vcc 1
		.amdhsa_float_round_mode_32 0
		.amdhsa_float_round_mode_16_64 0
		.amdhsa_float_denorm_mode_32 3
		.amdhsa_float_denorm_mode_16_64 3
		.amdhsa_dx10_clamp 1
		.amdhsa_ieee_mode 1
		.amdhsa_fp16_overflow 0
		.amdhsa_workgroup_processor_mode 1
		.amdhsa_memory_ordered 1
		.amdhsa_forward_progress 0
		.amdhsa_shared_vgpr_count 0
		.amdhsa_exception_fp_ieee_invalid_op 0
		.amdhsa_exception_fp_denorm_src 0
		.amdhsa_exception_fp_ieee_div_zero 0
		.amdhsa_exception_fp_ieee_overflow 0
		.amdhsa_exception_fp_ieee_underflow 0
		.amdhsa_exception_fp_ieee_inexact 0
		.amdhsa_exception_int_div_zero 0
	.end_amdhsa_kernel
	.section	.text._Z39paged_attention_ll4mi_QKV_mfma16_kernelIDF16_hLN4vllm18Fp8KVCacheDataTypeE1EDF16_Li32ELi64ELi256ELb1ELi6EL8MFMAType1EEvPKT_PKT0_S8_ifPKiSA_SA_iPKfiiiPfSD_PS3_PT2_iSC_SC_,"axG",@progbits,_Z39paged_attention_ll4mi_QKV_mfma16_kernelIDF16_hLN4vllm18Fp8KVCacheDataTypeE1EDF16_Li32ELi64ELi256ELb1ELi6EL8MFMAType1EEvPKT_PKT0_S8_ifPKiSA_SA_iPKfiiiPfSD_PS3_PT2_iSC_SC_,comdat
.Lfunc_end895:
	.size	_Z39paged_attention_ll4mi_QKV_mfma16_kernelIDF16_hLN4vllm18Fp8KVCacheDataTypeE1EDF16_Li32ELi64ELi256ELb1ELi6EL8MFMAType1EEvPKT_PKT0_S8_ifPKiSA_SA_iPKfiiiPfSD_PS3_PT2_iSC_SC_, .Lfunc_end895-_Z39paged_attention_ll4mi_QKV_mfma16_kernelIDF16_hLN4vllm18Fp8KVCacheDataTypeE1EDF16_Li32ELi64ELi256ELb1ELi6EL8MFMAType1EEvPKT_PKT0_S8_ifPKiSA_SA_iPKfiiiPfSD_PS3_PT2_iSC_SC_
                                        ; -- End function
	.section	.AMDGPU.csdata,"",@progbits
; Kernel info:
; codeLenInByte = 6452
; NumSgprs: 40
; NumVgprs: 146
; ScratchSize: 0
; MemoryBound: 0
; FloatMode: 240
; IeeeMode: 1
; LDSByteSize: 17472 bytes/workgroup (compile time only)
; SGPRBlocks: 4
; VGPRBlocks: 18
; NumSGPRsForWavesPerEU: 40
; NumVGPRsForWavesPerEU: 146
; Occupancy: 9
; WaveLimiterHint : 1
; COMPUTE_PGM_RSRC2:SCRATCH_EN: 0
; COMPUTE_PGM_RSRC2:USER_SGPR: 13
; COMPUTE_PGM_RSRC2:TRAP_HANDLER: 0
; COMPUTE_PGM_RSRC2:TGID_X_EN: 1
; COMPUTE_PGM_RSRC2:TGID_Y_EN: 1
; COMPUTE_PGM_RSRC2:TGID_Z_EN: 1
; COMPUTE_PGM_RSRC2:TIDIG_COMP_CNT: 0
	.section	.text._Z39paged_attention_ll4mi_QKV_mfma16_kernelIDF16_hLN4vllm18Fp8KVCacheDataTypeE1EDF16_Li32ELi64ELi256ELb1ELi7EL8MFMAType1EEvPKT_PKT0_S8_ifPKiSA_SA_iPKfiiiPfSD_PS3_PT2_iSC_SC_,"axG",@progbits,_Z39paged_attention_ll4mi_QKV_mfma16_kernelIDF16_hLN4vllm18Fp8KVCacheDataTypeE1EDF16_Li32ELi64ELi256ELb1ELi7EL8MFMAType1EEvPKT_PKT0_S8_ifPKiSA_SA_iPKfiiiPfSD_PS3_PT2_iSC_SC_,comdat
	.protected	_Z39paged_attention_ll4mi_QKV_mfma16_kernelIDF16_hLN4vllm18Fp8KVCacheDataTypeE1EDF16_Li32ELi64ELi256ELb1ELi7EL8MFMAType1EEvPKT_PKT0_S8_ifPKiSA_SA_iPKfiiiPfSD_PS3_PT2_iSC_SC_ ; -- Begin function _Z39paged_attention_ll4mi_QKV_mfma16_kernelIDF16_hLN4vllm18Fp8KVCacheDataTypeE1EDF16_Li32ELi64ELi256ELb1ELi7EL8MFMAType1EEvPKT_PKT0_S8_ifPKiSA_SA_iPKfiiiPfSD_PS3_PT2_iSC_SC_
	.globl	_Z39paged_attention_ll4mi_QKV_mfma16_kernelIDF16_hLN4vllm18Fp8KVCacheDataTypeE1EDF16_Li32ELi64ELi256ELb1ELi7EL8MFMAType1EEvPKT_PKT0_S8_ifPKiSA_SA_iPKfiiiPfSD_PS3_PT2_iSC_SC_
	.p2align	8
	.type	_Z39paged_attention_ll4mi_QKV_mfma16_kernelIDF16_hLN4vllm18Fp8KVCacheDataTypeE1EDF16_Li32ELi64ELi256ELb1ELi7EL8MFMAType1EEvPKT_PKT0_S8_ifPKiSA_SA_iPKfiiiPfSD_PS3_PT2_iSC_SC_,@function
_Z39paged_attention_ll4mi_QKV_mfma16_kernelIDF16_hLN4vllm18Fp8KVCacheDataTypeE1EDF16_Li32ELi64ELi256ELb1ELi7EL8MFMAType1EEvPKT_PKT0_S8_ifPKiSA_SA_iPKfiiiPfSD_PS3_PT2_iSC_SC_: ; @_Z39paged_attention_ll4mi_QKV_mfma16_kernelIDF16_hLN4vllm18Fp8KVCacheDataTypeE1EDF16_Li32ELi64ELi256ELb1ELi7EL8MFMAType1EEvPKT_PKT0_S8_ifPKiSA_SA_iPKfiiiPfSD_PS3_PT2_iSC_SC_
; %bb.0:
	s_load_b64 s[2:3], s[0:1], 0x30
	s_mov_b32 s34, s13
	s_waitcnt lgkmcnt(0)
	s_cmp_lg_u64 s[2:3], 0
	s_cselect_b32 s6, -1, 0
	s_ashr_i32 s35, s13, 31
	s_cmp_eq_u64 s[2:3], 0
	s_cbranch_scc1 .LBB896_3
; %bb.1:
	s_lshl_b64 s[4:5], s[34:35], 2
	s_delay_alu instid0(SALU_CYCLE_1) | instskip(SKIP_4) | instid1(SALU_CYCLE_1)
	s_add_u32 s4, s2, s4
	s_addc_u32 s5, s3, s5
	s_load_b64 s[4:5], s[4:5], 0x0
	s_waitcnt lgkmcnt(0)
	s_sub_i32 s4, s5, s4
	s_cmp_eq_u32 s4, 1
	s_cselect_b32 s4, -1, 0
	s_delay_alu instid0(SALU_CYCLE_1)
	s_and_not1_b32 vcc_lo, exec_lo, s4
	s_cbranch_vccz .LBB896_4
.LBB896_2:
	s_nop 0
	s_sendmsg sendmsg(MSG_DEALLOC_VGPRS)
	s_endpgm
.LBB896_3:
.LBB896_4:
	s_load_b64 s[8:9], s[0:1], 0x28
	s_lshl_b64 s[4:5], s[34:35], 2
	s_waitcnt lgkmcnt(0)
	s_add_u32 s8, s8, s4
	s_addc_u32 s9, s9, s5
	s_lshl_b32 s16, s14, 8
	s_load_b32 s18, s[8:9], 0x0
	s_waitcnt lgkmcnt(0)
	s_cmp_ge_i32 s16, s18
	s_cbranch_scc1 .LBB896_2
; %bb.5:
	s_clause 0x1
	s_load_b128 s[8:11], s[0:1], 0x8
	s_load_b64 s[12:13], s[0:1], 0x20
	s_and_not1_b32 vcc_lo, exec_lo, s6
	s_cbranch_vccnz .LBB896_7
; %bb.6:
	s_add_u32 s2, s2, s4
	s_addc_u32 s3, s3, s5
	s_load_b32 s3, s[2:3], 0x0
	s_branch .LBB896_8
.LBB896_7:
	s_mov_b32 s3, s34
.LBB896_8:
	s_load_b128 s[4:7], s[0:1], 0x48
	v_lshrrev_b32_e32 v69, 5, v0
	v_bfe_u32 v66, v0, 4, 1
	v_and_b32_e32 v68, 15, v0
	v_and_b32_e32 v70, 31, v0
	;; [unrolled: 1-line block ×3, first 2 shown]
	s_mul_i32 s33, s15, 7
	v_lshl_or_b32 v1, v69, 1, v66
	v_lshlrev_b32_e32 v2, 3, v68
	v_cmp_gt_u32_e64 s2, 8, v68
	s_delay_alu instid0(VALU_DEP_3) | instskip(NEXT) | instid1(VALU_DEP_3)
	v_cmp_gt_u32_e32 vcc_lo, 7, v1
	v_lshlrev_b32_e32 v65, 1, v2
	s_delay_alu instid0(VALU_DEP_3)
	s_and_b32 s17, s2, vcc_lo
	s_waitcnt lgkmcnt(0)
	s_and_saveexec_b32 s7, s17
	s_cbranch_execz .LBB896_10
; %bb.9:
	s_load_b64 s[20:21], s[0:1], 0x0
	v_add_lshl_u32 v2, v1, s33, 6
	s_mul_hi_i32 s23, s3, s4
	s_mul_i32 s22, s3, s4
	v_lshlrev_b32_e32 v6, 10, v68
	s_lshl_b64 s[22:23], s[22:23], 1
	v_ashrrev_i32_e32 v3, 31, v2
	v_lshlrev_b32_e32 v1, 6, v1
	v_lshlrev_b32_e32 v7, 10, v67
	v_and_b32_e32 v6, 0x3800, v6
	s_delay_alu instid0(VALU_DEP_4) | instskip(NEXT) | instid1(VALU_DEP_2)
	v_lshlrev_b64 v[2:3], 1, v[2:3]
	v_or3_b32 v1, v6, v7, v1
	s_waitcnt lgkmcnt(0)
	s_add_u32 s3, s20, s22
	s_addc_u32 s4, s21, s23
	s_delay_alu instid0(VALU_DEP_2) | instskip(SKIP_1) | instid1(VALU_DEP_2)
	v_add_co_u32 v2, vcc_lo, s3, v2
	v_add_co_ci_u32_e32 v3, vcc_lo, s4, v3, vcc_lo
	v_add_co_u32 v2, vcc_lo, v2, v65
	s_delay_alu instid0(VALU_DEP_2)
	v_add_co_ci_u32_e32 v3, vcc_lo, 0, v3, vcc_lo
	global_load_b128 v[2:5], v[2:3], off
	s_waitcnt vmcnt(0)
	ds_store_b128 v1, v[2:5]
.LBB896_10:
	s_or_b32 exec_lo, exec_lo, s7
	v_and_b32_e32 v1, 0xef, v0
	s_add_i32 s3, s18, 31
	s_clause 0x1
	s_load_b32 s4, s[0:1], 0x38
	s_load_b32 s35, s[0:1], 0x98
	s_ashr_i32 s7, s3, 31
	v_add_nc_u32_e32 v1, s16, v1
	s_lshr_b32 s7, s7, 27
	s_load_b32 s19, s[0:1], 0x1c
	s_add_i32 s3, s3, s7
	s_waitcnt lgkmcnt(0)
	v_ashrrev_i32_e32 v2, 31, v1
	v_or_b32_e32 v3, 16, v1
	s_ashr_i32 s3, s3, 5
	v_cmp_gt_i32_e32 vcc_lo, s18, v1
	s_add_i32 s3, s3, -1
	v_lshrrev_b32_e32 v2, 27, v2
	s_barrier
	buffer_gl0_inv
	s_mul_i32 s15, s15, s6
	v_mul_lo_u16 v103, v68, 37
	v_add_nc_u32_e32 v4, v1, v2
	v_mbcnt_lo_u32_b32 v127, -1, 0
	s_mul_i32 s20, s34, s4
	s_delay_alu instid0(SALU_CYCLE_1) | instskip(NEXT) | instid1(VALU_DEP_2)
	s_ashr_i32 s21, s20, 31
	v_ashrrev_i32_e32 v4, 5, v4
	v_add_nc_u32_e32 v2, v3, v2
	s_lshl_b64 s[20:21], s[20:21], 2
	v_lshrrev_b16 v103, 8, v103
	s_add_u32 s17, s12, s20
	v_cndmask_b32_e32 v1, s3, v4, vcc_lo
	v_ashrrev_i32_e32 v2, 5, v2
	v_cmp_gt_i32_e32 vcc_lo, s18, v3
	s_addc_u32 s13, s13, s21
	s_ashr_i32 s20, s15, 31
	s_add_u32 s22, s8, s15
	s_addc_u32 s23, s9, s20
	v_cndmask_b32_e32 v3, s3, v2, vcc_lo
	v_ashrrev_i32_e32 v2, 31, v1
	s_lshl_b32 s6, s14, 3
	v_mul_lo_u16 v103, v103, 7
	s_ashr_i32 s7, s6, 31
	v_ashrrev_i32_e32 v4, 31, v3
	v_lshlrev_b64 v[1:2], 2, v[1:2]
	s_lshl_b64 s[6:7], s[6:7], 2
	v_sub_nc_u16 v103, v68, v103
	s_add_u32 s6, s17, s6
	v_lshlrev_b64 v[3:4], 2, v[3:4]
	s_addc_u32 s7, s13, s7
	v_add_co_u32 v1, vcc_lo, s17, v1
	v_add_co_ci_u32_e32 v2, vcc_lo, s13, v2, vcc_lo
	s_delay_alu instid0(VALU_DEP_3) | instskip(NEXT) | instid1(VALU_DEP_4)
	v_add_co_u32 v3, vcc_lo, s17, v3
	v_add_co_ci_u32_e32 v4, vcc_lo, s13, v4, vcc_lo
	s_clause 0x1
	global_load_b32 v5, v[1:2], off
	global_load_b32 v6, v[3:4], off
	s_or_b32 s4, s16, 32
	v_xor_b32_e32 v128, 16, v127
	s_ashr_i32 s8, s4, 5
	s_cmp_lt_i32 s4, s18
	s_cselect_b32 s8, s8, s3
	s_delay_alu instid0(SALU_CYCLE_1) | instskip(NEXT) | instid1(SALU_CYCLE_1)
	s_ashr_i32 s9, s8, 31
	s_lshl_b64 s[8:9], s[8:9], 2
	s_delay_alu instid0(SALU_CYCLE_1) | instskip(SKIP_2) | instid1(SALU_CYCLE_1)
	s_add_u32 s8, s17, s8
	s_addc_u32 s9, s13, s9
	s_or_b32 s4, s16, 64
	s_ashr_i32 s12, s4, 5
	s_cmp_lt_i32 s4, s18
	s_cselect_b32 s24, s12, s3
	s_delay_alu instid0(SALU_CYCLE_1) | instskip(NEXT) | instid1(SALU_CYCLE_1)
	s_ashr_i32 s25, s24, 31
	s_lshl_b64 s[24:25], s[24:25], 2
	s_delay_alu instid0(SALU_CYCLE_1) | instskip(SKIP_2) | instid1(SALU_CYCLE_1)
	s_add_u32 s24, s17, s24
	s_addc_u32 s25, s13, s25
	s_or_b32 s4, s16, 0x60
	;; [unrolled: 10-line block ×4, first 2 shown]
	s_ashr_i32 s12, s4, 5
	s_cmp_lt_i32 s4, s18
	s_cselect_b32 s30, s12, s3
	s_delay_alu instid0(SALU_CYCLE_1) | instskip(NEXT) | instid1(SALU_CYCLE_1)
	s_ashr_i32 s31, s30, 31
	s_lshl_b64 s[30:31], s[30:31], 2
	s_delay_alu instid0(SALU_CYCLE_1)
	s_add_u32 s30, s17, s30
	s_addc_u32 s31, s13, s31
	s_clause 0x5
	s_load_b32 s12, s[6:7], 0x0
	s_load_b32 s4, s[8:9], 0x0
	;; [unrolled: 1-line block ×6, first 2 shown]
	s_or_b32 s21, s16, 0xc0
	s_waitcnt vmcnt(1)
	v_mad_i64_i32 v[1:2], null, v5, s5, s[22:23]
	v_lshlrev_b32_e32 v5, 4, v68
	s_waitcnt vmcnt(0)
	v_mad_i64_i32 v[3:4], null, v6, s5, s[22:23]
	s_ashr_i32 s22, s21, 5
	s_cmp_lt_i32 s21, s18
	s_delay_alu instid0(VALU_DEP_3) | instskip(NEXT) | instid1(VALU_DEP_4)
	v_add_co_u32 v1, vcc_lo, v1, v5
	v_add_co_ci_u32_e32 v2, vcc_lo, 0, v2, vcc_lo
	s_delay_alu instid0(VALU_DEP_3) | instskip(NEXT) | instid1(VALU_DEP_4)
	v_add_co_u32 v3, vcc_lo, v3, v5
	v_add_co_ci_u32_e32 v4, vcc_lo, 0, v4, vcc_lo
	s_clause 0x7
	global_load_b128 v[71:74], v[1:2], off
	global_load_b128 v[75:78], v[1:2], off offset:512
	global_load_b128 v[79:82], v[3:4], off offset:256
	;; [unrolled: 1-line block ×7, first 2 shown]
	s_cselect_b32 s22, s22, s3
	v_lshlrev_b32_e32 v1, 5, v68
	s_ashr_i32 s23, s22, 31
	v_cmp_gt_i32_e32 vcc_lo, 32, v128
	s_lshl_b64 s[22:23], s[22:23], 2
	v_and_b32_e32 v103, 0xff, v103
	s_add_u32 s22, s17, s22
	s_addc_u32 s23, s13, s23
	v_cndmask_b32_e32 v136, v127, v128, vcc_lo
	s_or_b32 s21, s16, 0xe0
	v_lshl_or_b32 v1, v69, 9, v1
	s_ashr_i32 s24, s21, 5
	s_cmp_lt_i32 s21, s18
	v_lshlrev_b32_e32 v115, 6, v103
	s_cselect_b32 s24, s24, s3
	s_load_b32 s3, s[22:23], 0x0
	s_ashr_i32 s25, s24, 31
	s_delay_alu instid0(SALU_CYCLE_1) | instskip(NEXT) | instid1(SALU_CYCLE_1)
	s_lshl_b64 s[24:25], s[24:25], 2
	s_add_u32 s22, s17, s24
	s_addc_u32 s23, s13, s25
	s_add_u32 s10, s10, s15
	s_addc_u32 s11, s11, s20
	v_add_co_u32 v1, s10, s10, v1
	s_delay_alu instid0(VALU_DEP_1) | instskip(SKIP_2) | instid1(VALU_DEP_1)
	v_add_co_ci_u32_e64 v2, null, s11, 0, s10
	s_load_b32 s10, s[22:23], 0x0
	s_waitcnt lgkmcnt(0)
	v_mad_i64_i32 v[3:4], null, s12, s5, v[1:2]
	v_mad_i64_i32 v[9:10], null, s7, s5, v[1:2]
	;; [unrolled: 1-line block ×7, first 2 shown]
	s_clause 0x5
	global_load_b128 v[49:52], v[3:4], off
	global_load_b128 v[53:56], v[3:4], off offset:16
	global_load_b128 v[41:44], v[5:6], off
	global_load_b128 v[45:48], v[5:6], off offset:16
	;; [unrolled: 2-line block ×3, first 2 shown]
	s_mov_b32 s4, 0
	v_mad_i64_i32 v[61:62], null, s10, s5, v[1:2]
	s_clause 0x9
	global_load_b128 v[1:4], v[9:10], off
	global_load_b128 v[5:8], v[9:10], off offset:16
	global_load_b128 v[9:12], v[13:14], off
	global_load_b128 v[13:16], v[13:14], off offset:16
	;; [unrolled: 2-line block ×5, first 2 shown]
	s_mov_b32 s5, s4
	s_mov_b32 s6, s4
	;; [unrolled: 1-line block ×7, first 2 shown]
	v_and_b32_e32 v104, 0xe0, v0
	v_dual_mov_b32 v126, s11 :: v_dual_mov_b32 v123, s8
	v_dual_mov_b32 v125, s10 :: v_dual_mov_b32 v124, s9
	s_delay_alu instid0(VALU_DEP_3)
	v_add_nc_u32_e32 v111, s16, v104
	ds_load_b128 v[103:106], v115
	ds_load_b128 v[107:110], v115 offset:1024
	v_dual_mov_b32 v122, s7 :: v_dual_mov_b32 v121, s6
	v_mov_b32_e32 v120, s5
	v_or_b32_e32 v135, v111, v66
	ds_load_b128 v[111:114], v115 offset:2048
	ds_load_b128 v[115:118], v115 offset:3072
	v_mov_b32_e32 v119, s4
	s_waitcnt vmcnt(0) lgkmcnt(0)
	s_barrier
	v_or_b32_e32 v137, 2, v135
	v_or_b32_e32 v138, 4, v135
	;; [unrolled: 1-line block ×3, first 2 shown]
	v_cmp_gt_i32_e32 vcc_lo, s18, v135
	v_or_b32_e32 v140, 8, v135
	v_cmp_gt_i32_e64 s3, s18, v137
	v_or_b32_e32 v141, 10, v135
	v_cmp_gt_i32_e64 s4, s18, v138
	v_cmp_gt_i32_e64 s5, s18, v139
	v_or_b32_e32 v142, 12, v135
	v_or_b32_e32 v143, 14, v135
	v_cmp_gt_i32_e64 s6, s18, v140
	v_cmp_gt_i32_e64 s7, s18, v141
	v_or_b32_e32 v144, 16, v135
	v_or_b32_e32 v145, 18, v135
	v_cmp_gt_i32_e64 s8, s18, v142
	v_cmp_gt_i32_e64 s9, s18, v143
	buffer_gl0_inv
	v_cmp_gt_i32_e64 s10, s18, v144
	v_cmp_gt_i32_e64 s11, s18, v145
	v_wmma_f32_16x16x16_f16 v[127:134], v[71:78], v[103:110], v[119:126]
	v_wmma_f32_16x16x16_f16 v[119:126], v[79:86], v[103:110], v[119:126]
	v_or_b32_e32 v71, 20, v135
	v_or_b32_e32 v72, 22, v135
	s_delay_alu instid0(VALU_DEP_4)
	v_wmma_f32_16x16x16_f16 v[127:134], v[87:94], v[111:118], v[127:134]
	v_or_b32_e32 v73, 24, v135
	v_wmma_f32_16x16x16_f16 v[119:126], v[95:102], v[111:118], v[119:126]
	v_or_b32_e32 v74, 26, v135
	v_cmp_gt_i32_e64 s12, s18, v71
	v_dual_mul_f32 v84, s19, v127 :: v_dual_mul_f32 v83, s19, v128
	s_delay_alu instid0(VALU_DEP_4) | instskip(SKIP_2) | instid1(VALU_DEP_4)
	v_dual_mul_f32 v92, s19, v119 :: v_dual_mul_f32 v81, s19, v130
	v_mul_f32_e32 v90, s19, v121
	v_mul_f32_e32 v82, s19, v129
	v_cndmask_b32_e32 v84, 0xff7fffff, v84, vcc_lo
	v_cndmask_b32_e64 v83, 0xff7fffff, v83, s3
	v_dual_mul_f32 v79, s19, v132 :: v_dual_mul_f32 v88, s19, v123
	v_mul_f32_e32 v80, s19, v131
	v_cndmask_b32_e64 v82, 0xff7fffff, v82, s4
	v_cndmask_b32_e64 v81, 0xff7fffff, v81, s5
	v_max3_f32 v83, v84, 0xff7fffff, v83
	v_dual_mul_f32 v77, s19, v134 :: v_dual_mul_f32 v86, s19, v125
	v_mul_f32_e32 v78, s19, v133
	v_cndmask_b32_e64 v80, 0xff7fffff, v80, s6
	v_cndmask_b32_e64 v79, 0xff7fffff, v79, s7
	v_max3_f32 v81, v83, v82, v81
	v_mul_f32_e32 v91, s19, v120
	v_cndmask_b32_e64 v78, 0xff7fffff, v78, s8
	v_cndmask_b32_e64 v77, 0xff7fffff, v77, s9
	v_mul_f32_e32 v89, s19, v122
	v_max3_f32 v79, v81, v80, v79
	v_cndmask_b32_e64 v80, 0xff7fffff, v92, s10
	v_cndmask_b32_e64 v81, 0xff7fffff, v91, s11
	v_cmp_gt_i32_e64 s13, s18, v72
	v_or_b32_e32 v75, 28, v135
	v_max3_f32 v77, v79, v78, v77
	v_or_b32_e32 v76, 30, v135
	v_mul_f32_e32 v87, s19, v124
	v_cndmask_b32_e64 v71, 0xff7fffff, v90, s12
	v_cndmask_b32_e64 v72, 0xff7fffff, v89, s13
	v_max3_f32 v77, v77, v80, v81
	v_cmp_gt_i32_e64 s15, s18, v73
	v_cmp_gt_i32_e64 s16, s18, v74
	v_mul_f32_e32 v85, s19, v126
	v_cmp_gt_i32_e64 s17, s18, v75
	v_max3_f32 v71, v77, v71, v72
	v_cndmask_b32_e64 v73, 0xff7fffff, v88, s15
	v_cndmask_b32_e64 v74, 0xff7fffff, v87, s16
	v_cmp_gt_i32_e64 s18, s18, v76
	v_cndmask_b32_e64 v72, 0xff7fffff, v86, s17
	s_delay_alu instid0(VALU_DEP_3) | instskip(NEXT) | instid1(VALU_DEP_3)
	v_max3_f32 v71, v71, v73, v74
	v_cndmask_b32_e64 v75, 0xff7fffff, v85, s18
	v_lshlrev_b32_e32 v73, 2, v136
	s_delay_alu instid0(VALU_DEP_2) | instskip(SKIP_3) | instid1(VALU_DEP_1)
	v_max3_f32 v71, v71, v72, v75
	ds_bpermute_b32 v72, v73, v71
	s_waitcnt lgkmcnt(0)
	v_max_f32_e32 v72, v72, v72
	v_max_f32_e32 v71, v71, v72
	s_delay_alu instid0(VALU_DEP_1) | instskip(SKIP_2) | instid1(VALU_DEP_3)
	v_fma_f32 v72, s19, v127, -v71
	v_fma_f32 v74, s19, v128, -v71
	;; [unrolled: 1-line block ×3, first 2 shown]
	v_mul_f32_e32 v72, 0x3fb8aa3b, v72
	s_delay_alu instid0(VALU_DEP_2) | instskip(NEXT) | instid1(VALU_DEP_2)
	v_dual_mul_f32 v74, 0x3fb8aa3b, v74 :: v_dual_mul_f32 v75, 0x3fb8aa3b, v75
	v_exp_f32_e32 v72, v72
	s_delay_alu instid0(VALU_DEP_1) | instskip(NEXT) | instid1(VALU_DEP_1)
	v_exp_f32_e32 v74, v74
	v_exp_f32_e32 v75, v75
	s_delay_alu instid0(TRANS32_DEP_3)
	v_cndmask_b32_e32 v79, 0, v72, vcc_lo
	s_waitcnt_depctr 0xfff
	v_cndmask_b32_e64 v78, 0, v74, s3
	v_cndmask_b32_e64 v81, 0, v75, s4
	v_cmp_gt_u32_e64 s3, 16, v70
	v_add_f32_e32 v74, 0, v79
	s_delay_alu instid0(VALU_DEP_1) | instskip(NEXT) | instid1(VALU_DEP_1)
	v_add_f32_e32 v74, v74, v78
	v_add_f32_e32 v74, v74, v81
	v_fma_f32 v76, s19, v130, -v71
	v_fma_f32 v77, s19, v131, -v71
	;; [unrolled: 1-line block ×5, first 2 shown]
	s_delay_alu instid0(VALU_DEP_4) | instskip(NEXT) | instid1(VALU_DEP_4)
	v_dual_mul_f32 v76, 0x3fb8aa3b, v76 :: v_dual_mul_f32 v77, 0x3fb8aa3b, v77
	v_mul_f32_e32 v72, 0x3fb8aa3b, v72
	s_delay_alu instid0(VALU_DEP_4) | instskip(SKIP_1) | instid1(VALU_DEP_4)
	v_mul_f32_e32 v82, 0x3fb8aa3b, v80
	v_fma_f32 v86, s19, v122, -v71
	v_exp_f32_e32 v76, v76
	v_exp_f32_e32 v77, v77
	;; [unrolled: 1-line block ×4, first 2 shown]
	v_mul_f32_e32 v86, 0x3fb8aa3b, v86
	s_delay_alu instid0(VALU_DEP_1)
	v_exp_f32_e32 v88, v86
	v_cndmask_b32_e64 v80, 0, v76, s5
	v_mul_f32_e32 v75, 0x3fb8aa3b, v75
	v_fma_f32 v76, s19, v119, -v71
	v_cndmask_b32_e64 v83, 0, v77, s6
	v_fma_f32 v77, s19, v120, -v71
	v_add_f32_e32 v74, v74, v80
	v_exp_f32_e32 v75, v75
	v_mul_f32_e32 v76, 0x3fb8aa3b, v76
	v_cndmask_b32_e64 v82, 0, v72, s7
	s_delay_alu instid0(VALU_DEP_3) | instskip(SKIP_1) | instid1(VALU_DEP_4)
	v_dual_mul_f32 v77, 0x3fb8aa3b, v77 :: v_dual_add_f32 v72, v74, v83
	v_fma_f32 v74, s19, v121, -v71
	v_exp_f32_e32 v76, v76
	v_cndmask_b32_e64 v85, 0, v84, s8
	s_delay_alu instid0(VALU_DEP_3) | instskip(SKIP_1) | instid1(TRANS32_DEP_3)
	v_exp_f32_e32 v77, v77
	v_cndmask_b32_e64 v88, 0, v88, s13
	v_cndmask_b32_e64 v84, 0, v75, s9
	v_fma_f32 v75, s19, v123, -v71
	v_add_f32_e32 v72, v72, v82
	s_delay_alu instid0(VALU_DEP_2) | instskip(NEXT) | instid1(VALU_DEP_2)
	v_dual_mul_f32 v74, 0x3fb8aa3b, v74 :: v_dual_mul_f32 v75, 0x3fb8aa3b, v75
	v_add_f32_e32 v72, v72, v85
	s_delay_alu instid0(VALU_DEP_2)
	v_exp_f32_e32 v74, v74
	v_cndmask_b32_e64 v87, 0, v76, s10
	v_fma_f32 v76, s19, v124, -v71
	v_cndmask_b32_e64 v86, 0, v77, s11
	v_add_f32_e32 v72, v72, v84
	v_fma_f32 v77, s19, v125, -v71
	v_exp_f32_e32 v75, v75
	v_mul_f32_e32 v76, 0x3fb8aa3b, v76
	s_delay_alu instid0(VALU_DEP_3) | instskip(NEXT) | instid1(TRANS32_DEP_2)
	v_add_f32_e32 v72, v72, v87
	v_cndmask_b32_e64 v89, 0, v74, s12
	v_mul_f32_e32 v74, 0x3fb8aa3b, v77
	s_delay_alu instid0(VALU_DEP_4) | instskip(SKIP_2) | instid1(VALU_DEP_3)
	v_exp_f32_e32 v76, v76
	v_fma_f32 v77, s19, v126, -v71
	v_add_f32_e32 v72, v72, v86
	v_exp_f32_e32 v74, v74
	s_delay_alu instid0(TRANS32_DEP_3) | instskip(NEXT) | instid1(VALU_DEP_3)
	v_cndmask_b32_e64 v91, 0, v75, s15
	v_mul_f32_e32 v75, 0x3fb8aa3b, v77
	s_delay_alu instid0(VALU_DEP_3) | instskip(NEXT) | instid1(TRANS32_DEP_2)
	v_add_f32_e32 v72, v72, v89
	v_cndmask_b32_e64 v90, 0, v76, s16
	s_delay_alu instid0(VALU_DEP_3) | instskip(NEXT) | instid1(VALU_DEP_2)
	v_exp_f32_e32 v75, v75
	v_add_f32_e32 v72, v72, v88
	s_delay_alu instid0(TRANS32_DEP_2) | instskip(NEXT) | instid1(VALU_DEP_2)
	v_cndmask_b32_e64 v93, 0, v74, s17
	v_add_f32_e32 v72, v72, v91
	s_waitcnt_depctr 0xfff
	v_cndmask_b32_e64 v92, 0, v75, s18
	v_add_f32_e32 v72, v72, v90
	s_delay_alu instid0(VALU_DEP_1) | instskip(NEXT) | instid1(VALU_DEP_1)
	v_add_f32_e32 v72, v72, v93
	v_add_f32_e32 v72, v72, v92
	ds_bpermute_b32 v73, v73, v72
	s_and_saveexec_b32 s4, s3
	s_cbranch_execz .LBB896_12
; %bb.11:
	v_mul_u32_u24_e32 v70, 0x44, v69
	s_waitcnt lgkmcnt(0)
	v_add_f32_e32 v72, v72, v73
	s_delay_alu instid0(VALU_DEP_2) | instskip(NEXT) | instid1(VALU_DEP_1)
	v_lshl_add_u32 v70, v68, 2, v70
	v_add_nc_u32_e32 v70, 0x4000, v70
	ds_store_2addr_b32 v70, v71, v72 offset1:136
.LBB896_12:
	s_or_b32 exec_lo, exec_lo, s4
	v_lshlrev_b32_e32 v70, 2, v68
	s_load_b32 s36, s[0:1], 0x94
	s_waitcnt lgkmcnt(0)
	s_barrier
	buffer_gl0_inv
	v_add_nc_u32_e32 v98, 0x4000, v70
	v_cmp_eq_u32_e32 vcc_lo, 1, v69
	v_cmp_eq_u32_e64 s4, 2, v69
	v_cmp_eq_u32_e64 s5, 3, v69
	;; [unrolled: 1-line block ×3, first 2 shown]
	ds_load_2addr_b32 v[70:71], v98 offset1:17
	ds_load_2addr_b32 v[72:73], v98 offset0:34 offset1:51
	ds_load_2addr_b32 v[74:75], v98 offset0:68 offset1:85
	;; [unrolled: 1-line block ×3, first 2 shown]
	v_cmp_eq_u32_e64 s7, 5, v69
	v_cmp_eq_u32_e64 s8, 7, v69
	s_waitcnt lgkmcnt(3)
	v_max3_f32 v76, v70, 0xff7fffff, v71
	s_waitcnt lgkmcnt(2)
	s_delay_alu instid0(VALU_DEP_1) | instskip(SKIP_1) | instid1(VALU_DEP_1)
	v_max3_f32 v76, v76, v72, v73
	s_waitcnt lgkmcnt(1)
	v_max3_f32 v76, v76, v74, v75
	s_waitcnt lgkmcnt(0)
	s_delay_alu instid0(VALU_DEP_1) | instskip(NEXT) | instid1(VALU_DEP_1)
	v_max3_f32 v76, v76, v94, v95
	v_sub_f32_e32 v77, v71, v76
	ds_load_2addr_b32 v[96:97], v98 offset0:136 offset1:153
	v_sub_f32_e32 v74, v74, v76
	v_sub_f32_e32 v70, v70, v76
	;; [unrolled: 1-line block ×3, first 2 shown]
	v_dual_sub_f32 v72, v72, v76 :: v_dual_mul_f32 v77, 0x3fb8aa3b, v77
	s_delay_alu instid0(VALU_DEP_4) | instskip(NEXT) | instid1(VALU_DEP_4)
	v_mul_f32_e32 v103, 0x3fb8aa3b, v74
	v_mul_f32_e32 v99, 0x3fb8aa3b, v70
	ds_load_2addr_b32 v[70:71], v98 offset0:170 offset1:187
	v_dual_mul_f32 v101, 0x3fb8aa3b, v72 :: v_dual_mul_f32 v94, 0x3fb8aa3b, v94
	v_exp_f32_e32 v102, v77
	v_exp_f32_e32 v99, v99
	s_delay_alu instid0(VALU_DEP_1) | instskip(NEXT) | instid1(VALU_DEP_1)
	v_exp_f32_e32 v101, v101
	v_exp_f32_e32 v94, v94
	s_waitcnt lgkmcnt(1)
	s_delay_alu instid0(TRANS32_DEP_3)
	v_fma_f32 v77, v99, v96, 0
	v_sub_f32_e32 v100, v73, v76
	ds_load_2addr_b32 v[72:73], v98 offset0:204 offset1:221
	v_fmac_f32_e32 v77, v102, v97
	v_exp_f32_e32 v97, v103
	s_waitcnt lgkmcnt(1)
	s_delay_alu instid0(VALU_DEP_1)
	v_dual_fmac_f32 v77, v101, v70 :: v_dual_sub_f32 v96, v75, v76
	ds_load_2addr_b32 v[74:75], v98 offset0:238 offset1:255
	v_sub_f32_e32 v70, v95, v76
	s_waitcnt lgkmcnt(0)
	s_barrier
	v_mul_f32_e32 v96, 0x3fb8aa3b, v96
	buffer_gl0_inv
	v_exp_f32_e32 v95, v96
	v_mul_f32_e32 v100, 0x3fb8aa3b, v100
	s_delay_alu instid0(VALU_DEP_1) | instskip(SKIP_3) | instid1(VALU_DEP_2)
	v_exp_f32_e32 v100, v100
	s_waitcnt_depctr 0xfff
	v_dual_fmac_f32 v77, v100, v71 :: v_dual_mul_f32 v70, 0x3fb8aa3b, v70
	v_cndmask_b32_e32 v71, v99, v102, vcc_lo
	v_fmac_f32_e32 v77, v97, v72
	s_delay_alu instid0(VALU_DEP_3) | instskip(NEXT) | instid1(VALU_DEP_1)
	v_exp_f32_e32 v96, v70
	v_fmac_f32_e32 v77, v95, v73
	s_delay_alu instid0(VALU_DEP_1) | instskip(SKIP_2) | instid1(VALU_DEP_1)
	v_fmac_f32_e32 v77, v94, v74
	s_waitcnt_depctr 0xfff
	v_fmac_f32_e32 v77, v96, v75
	v_add_f32_e32 v74, 0x358637bd, v77
	s_delay_alu instid0(VALU_DEP_1) | instskip(SKIP_1) | instid1(VALU_DEP_2)
	v_div_scale_f32 v98, null, v74, v74, 1.0
	v_div_scale_f32 v99, vcc_lo, 1.0, v74, 1.0
	v_rcp_f32_e32 v103, v98
	s_waitcnt_depctr 0xfff
	v_fma_f32 v70, -v98, v103, 1.0
	s_delay_alu instid0(VALU_DEP_1) | instskip(SKIP_2) | instid1(VALU_DEP_2)
	v_fmac_f32_e32 v103, v70, v103
	v_cndmask_b32_e64 v70, v71, v101, s4
	v_cmp_eq_u32_e64 s4, 6, v69
	v_cndmask_b32_e64 v71, v70, v100, s5
	s_delay_alu instid0(VALU_DEP_4) | instskip(NEXT) | instid1(VALU_DEP_2)
	v_dual_mul_f32 v101, v99, v103 :: v_dual_lshlrev_b32 v70, 2, v66
	v_cndmask_b32_e64 v71, v71, v97, s6
	s_delay_alu instid0(VALU_DEP_2) | instskip(NEXT) | instid1(VALU_DEP_3)
	v_or_b32_e32 v72, 1, v70
	v_fma_f32 v100, -v98, v101, v99
	v_cmp_eq_u32_e64 s5, 1, v70
	v_cmp_eq_u32_e64 s6, 2, v70
	v_cndmask_b32_e64 v95, v71, v95, s7
	v_or_b32_e32 v71, 3, v70
	v_fmac_f32_e32 v101, v100, v103
	v_cmp_eq_u32_e64 s10, 1, v72
	v_cmp_eq_u32_e64 s13, 2, v72
	v_cndmask_b32_e64 v94, v95, v94, s4
	v_cmp_eq_u32_e64 s12, 1, v71
	v_fma_f32 v97, -v98, v101, v99
	v_cmp_eq_u32_e64 s17, 2, v71
	v_cmp_eq_u32_e64 s15, 3, v72
	v_cndmask_b32_e64 v94, v94, v96, s8
	v_cmp_eq_u32_e64 s19, 3, v71
	v_div_fmas_f32 v95, v97, v103, v101
	v_cmp_eq_u32_e32 vcc_lo, 3, v70
	v_cmp_eq_u32_e64 s4, 4, v70
	v_cmp_eq_u32_e64 s20, 4, v72
	;; [unrolled: 1-line block ×3, first 2 shown]
	v_div_fixup_f32 v95, v95, v74, 1.0
	v_lshlrev_b32_e32 v73, 6, v68
	v_cmp_eq_u32_e64 s7, 5, v70
	v_cmp_eq_u32_e64 s21, 5, v72
	;; [unrolled: 1-line block ×3, first 2 shown]
	v_mul_f32_e32 v102, v94, v95
	v_lshl_or_b32 v75, v69, 11, v73
	v_or_b32_e32 v69, 2, v70
	v_cmp_eq_u32_e64 s26, 6, v72
	v_cmp_eq_u32_e64 s28, 6, v71
	v_fma_mixlo_f16 v94, v102, v79, 0
	v_fma_mixlo_f16 v95, v102, v81, 0
	;; [unrolled: 1-line block ×8, first 2 shown]
	v_lshl_or_b32 v74, v66, 4, v75
	v_fma_mixhi_f16 v94, v102, v78, 0
	v_fma_mixhi_f16 v95, v102, v80, 0
	;; [unrolled: 1-line block ×8, first 2 shown]
	ds_store_b128 v74, v[94:97]
	ds_store_b128 v74, v[98:101] offset:1024
	s_waitcnt lgkmcnt(0)
	s_barrier
	buffer_gl0_inv
	ds_load_b128 v[78:81], v75
	ds_load_b128 v[82:85], v75 offset:16
	ds_load_b128 v[86:89], v75 offset:1024
	;; [unrolled: 1-line block ×3, first 2 shown]
	v_cmp_eq_u32_e64 s11, 1, v69
	v_cmp_eq_u32_e64 s16, 2, v69
	;; [unrolled: 1-line block ×11, first 2 shown]
	s_waitcnt lgkmcnt(3)
	v_lshrrev_b32_e32 v94, 16, v78
	s_waitcnt lgkmcnt(2)
	v_lshrrev_b32_e32 v98, 16, v82
	;; [unrolled: 2-line block ×4, first 2 shown]
	v_lshrrev_b32_e32 v95, 16, v79
	v_cndmask_b32_e64 v110, v78, v94, s5
	v_cndmask_b32_e64 v111, v82, v98, s5
	;; [unrolled: 1-line block ×8, first 2 shown]
	v_lshrrev_b32_e32 v99, 16, v83
	v_cndmask_b32_e64 v94, v86, v102, s5
	v_cndmask_b32_e64 v98, v90, v106, s5
	v_cndmask_b32_e64 v116, v86, v102, s10
	v_cndmask_b32_e64 v117, v90, v106, s10
	v_cndmask_b32_e64 v118, v86, v102, s11
	v_cndmask_b32_e64 v119, v90, v106, s11
	v_cndmask_b32_e64 v86, v86, v102, s12
	v_cndmask_b32_e64 v90, v90, v106, s12
	v_cndmask_b32_e64 v102, v110, v79, s6
	v_cndmask_b32_e64 v106, v111, v83, s6
	v_cndmask_b32_e64 v110, v112, v79, s13
	v_cndmask_b32_e64 v111, v113, v83, s13
	v_cndmask_b32_e64 v112, v114, v79, s16
	v_cndmask_b32_e64 v78, v78, v79, s17
	v_cndmask_b32_e64 v79, v82, v83, s17
	v_lshrrev_b32_e32 v103, 16, v87
	v_lshrrev_b32_e32 v107, 16, v91
	v_cndmask_b32_e64 v113, v115, v83, s16
	v_cndmask_b32_e64 v82, v94, v87, s6
	;; [unrolled: 1-line block ×7, first 2 shown]
	v_cndmask_b32_e32 v90, v102, v95, vcc_lo
	v_cndmask_b32_e32 v102, v106, v99, vcc_lo
	v_cndmask_b32_e64 v106, v110, v95, s15
	v_cndmask_b32_e64 v110, v111, v99, s15
	;; [unrolled: 1-line block ×4, first 2 shown]
	v_lshrrev_b32_e32 v96, 16, v80
	v_lshrrev_b32_e32 v100, 16, v84
	v_cndmask_b32_e64 v111, v112, v95, s18
	v_cndmask_b32_e64 v112, v113, v99, s18
	v_cndmask_b32_e32 v82, v82, v103, vcc_lo
	v_cndmask_b32_e32 v83, v83, v107, vcc_lo
	v_cndmask_b32_e64 v94, v94, v103, s15
	v_cndmask_b32_e64 v90, v90, v80, s4
	;; [unrolled: 1-line block ×7, first 2 shown]
	v_lshrrev_b32_e32 v104, 16, v88
	v_cndmask_b32_e64 v106, v111, v80, s22
	v_cndmask_b32_e64 v110, v112, v84, s22
	;; [unrolled: 1-line block ×11, first 2 shown]
	v_lshrrev_b32_e32 v97, 16, v81
	v_lshrrev_b32_e32 v101, 16, v85
	v_cndmask_b32_e64 v99, v106, v96, s24
	v_cndmask_b32_e64 v102, v110, v100, s24
	;; [unrolled: 1-line block ×7, first 2 shown]
	v_lshrrev_b32_e32 v105, 16, v89
	v_cndmask_b32_e64 v80, v80, v104, s7
	v_cndmask_b32_e64 v84, v84, v81, s8
	;; [unrolled: 1-line block ×16, first 2 shown]
	v_perm_b32 v81, v79, v78, 0x5040100
	v_perm_b32 v79, v95, v85, 0x5040100
	v_cndmask_b32_e64 v78, v119, v91, s16
	v_cndmask_b32_e64 v85, v117, v91, s13
	v_cndmask_b32_e64 v96, v80, v105, s9
	v_perm_b32 v80, v94, v90, 0x5040100
	v_cndmask_b32_e64 v90, v98, v103, s18
	v_cndmask_b32_e64 v86, v86, v103, s19
	v_cndmask_b32_e64 v87, v87, v107, s19
	v_cndmask_b32_e64 v78, v78, v107, s18
	v_cndmask_b32_e64 v85, v85, v107, s15
	v_lshrrev_b32_e32 v108, 16, v92
	v_cndmask_b32_e64 v90, v90, v88, s22
	v_cndmask_b32_e64 v86, v86, v88, s23
	;; [unrolled: 1-line block ×11, first 2 shown]
	v_lshrrev_b32_e32 v109, 16, v93
	v_cndmask_b32_e64 v82, v82, v93, s8
	v_cndmask_b32_e64 v88, v88, v89, s27
	;; [unrolled: 1-line block ×12, first 2 shown]
	v_perm_b32 v78, v84, v83, 0x5040100
	v_perm_b32 v85, v87, v86, 0x5040100
	;; [unrolled: 1-line block ×5, first 2 shown]
	s_mul_i32 s9, s35, 7
	s_mov_b32 s4, exec_lo
	ds_store_b128 v74, v[78:81]
	ds_store_b128 v74, v[82:85] offset:1024
	v_cmpx_gt_u32_e32 7, v0
	s_cbranch_execz .LBB896_14
; %bb.13:
	s_mul_i32 s5, s9, s34
	s_load_b128 s[16:19], s[0:1], 0x58
	v_add3_u32 v68, s5, s33, v68
	s_delay_alu instid0(VALU_DEP_1) | instskip(NEXT) | instid1(VALU_DEP_1)
	v_mad_u64_u32 v[78:79], null, v68, s36, s[14:15]
	v_ashrrev_i32_e32 v79, 31, v78
	s_delay_alu instid0(VALU_DEP_1) | instskip(SKIP_1) | instid1(VALU_DEP_1)
	v_lshlrev_b64 v[78:79], 2, v[78:79]
	s_waitcnt lgkmcnt(0)
	v_add_co_u32 v80, vcc_lo, s18, v78
	s_delay_alu instid0(VALU_DEP_2)
	v_add_co_ci_u32_e32 v81, vcc_lo, s19, v79, vcc_lo
	v_add_co_u32 v78, vcc_lo, s16, v78
	v_add_co_ci_u32_e32 v79, vcc_lo, s17, v79, vcc_lo
	global_store_b32 v[80:81], v76, off
	global_store_b32 v[78:79], v77, off
.LBB896_14:
	s_or_b32 exec_lo, exec_lo, s4
	s_waitcnt lgkmcnt(0)
	s_waitcnt_vscnt null, 0x0
	s_barrier
	buffer_gl0_inv
	ds_load_b128 v[84:87], v73
	ds_load_b128 v[88:91], v73 offset:16
	ds_load_b128 v[96:99], v73 offset:2064
	;; [unrolled: 1-line block ×5, first 2 shown]
	v_cmp_eq_u32_e32 vcc_lo, 1, v70
	v_mov_b32_e32 v76, 0
	ds_load_b128 v[112:115], v73 offset:6160
	ds_load_b128 v[108:111], v73 offset:6144
	;; [unrolled: 1-line block ×4, first 2 shown]
	v_cmp_eq_u32_e64 s5, 1, v69
	v_cmp_eq_u32_e64 s4, 1, v72
	;; [unrolled: 1-line block ×3, first 2 shown]
	v_mov_b32_e32 v77, v76
	v_mov_b32_e32 v78, v76
	;; [unrolled: 1-line block ×7, first 2 shown]
	v_cmp_eq_u32_e64 s7, 3, v72
	v_cmp_eq_u32_e64 s8, 7, v72
	s_waitcnt lgkmcnt(8)
	s_delay_alu instid0(VALU_DEP_3)
	v_wmma_f32_16x16x16_f16 v[76:83], v[49:56], v[84:91], v[76:83]
	ds_load_b128 v[53:56], v73 offset:10256
	ds_load_b128 v[49:52], v73 offset:10240
	s_waitcnt lgkmcnt(8)
	v_wmma_f32_16x16x16_f16 v[76:83], v[41:48], v[92:99], v[76:83]
	ds_load_b128 v[45:48], v73 offset:12304
	ds_load_b128 v[41:44], v73 offset:12288
	s_waitcnt lgkmcnt(8)
	;; [unrolled: 4-line block ×3, first 2 shown]
	s_barrier
	buffer_gl0_inv
	v_wmma_f32_16x16x16_f16 v[76:83], v[1:8], v[108:115], v[76:83]
	s_delay_alu instid0(VALU_DEP_1) | instskip(NEXT) | instid1(VALU_DEP_1)
	v_wmma_f32_16x16x16_f16 v[76:83], v[9:16], v[116:123], v[76:83]
	v_wmma_f32_16x16x16_f16 v[76:83], v[17:24], v[49:56], v[76:83]
	s_delay_alu instid0(VALU_DEP_1) | instskip(NEXT) | instid1(VALU_DEP_1)
	v_wmma_f32_16x16x16_f16 v[76:83], v[25:32], v[41:48], v[76:83]
	v_wmma_f32_16x16x16_f16 v[76:83], v[57:64], v[33:40], v[76:83]
	s_delay_alu instid0(VALU_DEP_1) | instskip(NEXT) | instid1(VALU_DEP_2)
	v_cvt_f16_f32_e32 v1, v76
	v_cvt_f16_f32_e32 v2, v77
	s_delay_alu instid0(VALU_DEP_3) | instskip(NEXT) | instid1(VALU_DEP_4)
	v_cvt_f16_f32_e32 v3, v78
	v_cvt_f16_f32_e32 v4, v79
	;; [unrolled: 1-line block ×6, first 2 shown]
	v_pack_b32_f16 v1, v1, v2
	v_pack_b32_f16 v2, v3, v4
	;; [unrolled: 1-line block ×3, first 2 shown]
	s_delay_alu instid0(VALU_DEP_4)
	v_pack_b32_f16 v4, v7, v8
	ds_store_b128 v74, v[1:4]
	s_waitcnt lgkmcnt(0)
	s_barrier
	buffer_gl0_inv
	ds_load_b128 v[1:4], v75
	ds_load_b128 v[5:8], v75 offset:16
	s_waitcnt lgkmcnt(1)
	v_lshrrev_b32_e32 v9, 16, v1
	s_waitcnt lgkmcnt(0)
	v_lshrrev_b32_e32 v13, 16, v5
	v_lshrrev_b32_e32 v10, 16, v2
	;; [unrolled: 1-line block ×4, first 2 shown]
	v_cndmask_b32_e32 v17, v1, v9, vcc_lo
	v_cndmask_b32_e32 v18, v5, v13, vcc_lo
	v_cndmask_b32_e64 v21, v1, v9, s5
	v_cmp_eq_u32_e32 vcc_lo, 1, v71
	v_cndmask_b32_e64 v22, v5, v13, s5
	v_cmp_eq_u32_e64 s5, 2, v70
	v_cndmask_b32_e64 v19, v1, v9, s4
	v_cndmask_b32_e64 v20, v5, v13, s4
	v_cndmask_b32_e32 v1, v1, v9, vcc_lo
	v_cmp_eq_u32_e64 s4, 2, v71
	v_cndmask_b32_e32 v5, v5, v13, vcc_lo
	v_cndmask_b32_e64 v9, v17, v2, s5
	v_cmp_eq_u32_e32 vcc_lo, 3, v70
	v_cndmask_b32_e64 v13, v18, v6, s5
	v_cmp_eq_u32_e64 s5, 2, v69
	v_cndmask_b32_e64 v17, v19, v2, s6
	v_cndmask_b32_e64 v18, v20, v6, s6
	v_cmp_eq_u32_e64 s6, 3, v69
	v_cndmask_b32_e64 v1, v1, v2, s4
	v_cndmask_b32_e64 v19, v21, v2, s5
	;; [unrolled: 1-line block ×4, first 2 shown]
	v_cndmask_b32_e32 v5, v9, v10, vcc_lo
	v_cndmask_b32_e32 v6, v13, v14, vcc_lo
	v_cmp_eq_u32_e32 vcc_lo, 3, v71
	v_cndmask_b32_e64 v9, v17, v10, s7
	v_cndmask_b32_e64 v13, v18, v14, s7
	;; [unrolled: 1-line block ×3, first 2 shown]
	v_cmp_eq_u32_e64 s5, 4, v70
	v_cndmask_b32_e32 v1, v1, v10, vcc_lo
	v_cndmask_b32_e32 v2, v2, v14, vcc_lo
	v_cmp_eq_u32_e32 vcc_lo, 4, v72
	v_lshrrev_b32_e32 v15, 16, v7
	v_lshrrev_b32_e32 v16, 16, v8
	v_cndmask_b32_e64 v17, v19, v10, s6
	v_cmp_eq_u32_e64 s4, 4, v71
	v_cndmask_b32_e64 v5, v5, v3, s5
	v_cndmask_b32_e64 v6, v6, v7, s5
	v_cndmask_b32_e32 v9, v9, v3, vcc_lo
	v_cmp_eq_u32_e64 s5, 5, v72
	v_cndmask_b32_e32 v10, v13, v7, vcc_lo
	v_cmp_eq_u32_e32 vcc_lo, 4, v69
	v_cmp_eq_u32_e64 s6, 5, v70
	v_cndmask_b32_e64 v2, v2, v7, s4
	v_cndmask_b32_e64 v9, v9, v11, s5
	;; [unrolled: 1-line block ×3, first 2 shown]
	v_cndmask_b32_e32 v13, v17, v3, vcc_lo
	v_cmp_eq_u32_e64 s5, 5, v69
	v_cndmask_b32_e32 v14, v18, v7, vcc_lo
	v_cndmask_b32_e64 v1, v1, v3, s4
	v_cmp_eq_u32_e32 vcc_lo, 5, v71
	v_lshrrev_b32_e32 v12, 16, v4
	v_cndmask_b32_e64 v13, v13, v11, s5
	v_cndmask_b32_e64 v3, v14, v15, s5
	v_cmp_eq_u32_e64 s5, 6, v71
	v_cndmask_b32_e32 v1, v1, v11, vcc_lo
	v_cndmask_b32_e64 v5, v5, v11, s6
	v_cmp_eq_u32_e64 s7, 6, v70
	v_cndmask_b32_e64 v6, v6, v15, s6
	v_cmp_eq_u32_e64 s6, 6, v72
	v_cmp_eq_u32_e64 s4, 6, v69
	v_cndmask_b32_e64 v1, v1, v4, s5
	v_cndmask_b32_e32 v2, v2, v15, vcc_lo
	v_cmp_eq_u32_e32 vcc_lo, 7, v71
	v_cndmask_b32_e64 v5, v5, v4, s7
	v_cndmask_b32_e64 v9, v9, v4, s6
	;; [unrolled: 1-line block ×3, first 2 shown]
	v_cmp_eq_u32_e64 s7, 7, v70
	v_cndmask_b32_e32 v1, v1, v12, vcc_lo
	v_cndmask_b32_e64 v7, v13, v4, s4
	v_cndmask_b32_e64 v3, v3, v8, s4
	;; [unrolled: 1-line block ×3, first 2 shown]
	v_cmp_eq_u32_e64 s4, 7, v69
	v_cndmask_b32_e64 v4, v10, v8, s6
	v_cndmask_b32_e64 v5, v5, v12, s7
	;; [unrolled: 1-line block ×3, first 2 shown]
	v_cndmask_b32_e32 v2, v2, v16, vcc_lo
	v_cndmask_b32_e64 v7, v7, v12, s4
	v_cndmask_b32_e64 v3, v3, v16, s4
	;; [unrolled: 1-line block ×4, first 2 shown]
	v_cmp_gt_u32_e32 vcc_lo, 32, v0
	v_perm_b32 v4, v2, v1, 0x5040100
	v_perm_b32 v3, v3, v7, 0x5040100
	;; [unrolled: 1-line block ×4, first 2 shown]
	s_and_b32 s2, vcc_lo, s2
	ds_store_b128 v74, v[1:4]
	s_waitcnt lgkmcnt(0)
	s_barrier
	buffer_gl0_inv
	s_and_saveexec_b32 s4, s2
	s_cbranch_execz .LBB896_2
; %bb.15:
	s_load_b64 s[4:5], s[0:1], 0x68
	v_lshlrev_b32_e32 v0, 10, v0
	v_add_nc_u32_e32 v2, s33, v66
	v_lshlrev_b32_e32 v3, 4, v67
	s_lshl_b32 s0, s36, 6
	s_delay_alu instid0(SALU_CYCLE_1) | instskip(NEXT) | instid1(VALU_DEP_2)
	s_mul_i32 s1, s0, s34
	v_mul_lo_u32 v1, v2, s0
	s_delay_alu instid0(VALU_DEP_2)
	v_and_or_b32 v0, 0x3800, v0, v3
	v_add_nc_u32_e32 v3, 2, v2
	s_mul_i32 s6, s1, s9
	v_add_nc_u32_e32 v4, 4, v2
	s_ashr_i32 s7, s6, 31
	v_lshl_or_b32 v11, v66, 6, v0
	s_lshl_b64 s[6:7], s[6:7], 1
	v_mul_lo_u32 v15, v3, s0
	v_mul_lo_u32 v17, v4, s0
	v_ashrrev_i32_e32 v2, 31, v1
	ds_load_b128 v[3:6], v11
	ds_load_b128 v[7:10], v11 offset:128
	ds_load_b128 v[11:14], v11 offset:256
	s_waitcnt lgkmcnt(0)
	s_add_u32 s1, s4, s6
	s_addc_u32 s2, s5, s7
	s_lshl_b32 s4, s14, 6
	v_ashrrev_i32_e32 v16, 31, v15
	s_ashr_i32 s5, s4, 31
	v_lshlrev_b64 v[19:20], 1, v[1:2]
	s_lshl_b64 s[4:5], s[4:5], 1
	v_ashrrev_i32_e32 v18, 31, v17
	s_add_u32 s1, s1, s4
	s_addc_u32 s2, s2, s5
	v_add_co_u32 v1, s1, s1, v65
	s_delay_alu instid0(VALU_DEP_1) | instskip(SKIP_1) | instid1(VALU_DEP_3)
	v_add_co_ci_u32_e64 v2, null, s2, 0, s1
	v_lshlrev_b64 v[15:16], 1, v[15:16]
	v_add_co_u32 v19, vcc_lo, v1, v19
	v_lshlrev_b64 v[17:18], 1, v[17:18]
	s_delay_alu instid0(VALU_DEP_4) | instskip(NEXT) | instid1(VALU_DEP_4)
	v_add_co_ci_u32_e32 v20, vcc_lo, v2, v20, vcc_lo
	v_add_co_u32 v15, vcc_lo, v1, v15
	v_add_co_ci_u32_e32 v16, vcc_lo, v2, v16, vcc_lo
	s_delay_alu instid0(VALU_DEP_4)
	v_add_co_u32 v17, vcc_lo, v1, v17
	v_add_co_ci_u32_e32 v18, vcc_lo, v2, v18, vcc_lo
	s_clause 0x2
	global_store_b128 v[19:20], v[3:6], off
	global_store_b128 v[15:16], v[7:10], off
	;; [unrolled: 1-line block ×3, first 2 shown]
	s_and_b32 exec_lo, exec_lo, s3
	s_cbranch_execz .LBB896_2
; %bb.16:
	ds_load_b128 v[3:6], v0 offset:384
	s_add_i32 s1, s33, 6
	s_delay_alu instid0(SALU_CYCLE_1) | instskip(NEXT) | instid1(SALU_CYCLE_1)
	s_mul_i32 s0, s1, s0
	s_ashr_i32 s1, s0, 31
	s_delay_alu instid0(SALU_CYCLE_1) | instskip(NEXT) | instid1(SALU_CYCLE_1)
	s_lshl_b64 s[0:1], s[0:1], 1
	v_add_co_u32 v0, vcc_lo, v1, s0
	v_add_co_ci_u32_e32 v1, vcc_lo, s1, v2, vcc_lo
	s_waitcnt lgkmcnt(0)
	global_store_b128 v[0:1], v[3:6], off
	s_nop 0
	s_sendmsg sendmsg(MSG_DEALLOC_VGPRS)
	s_endpgm
	.section	.rodata,"a",@progbits
	.p2align	6, 0x0
	.amdhsa_kernel _Z39paged_attention_ll4mi_QKV_mfma16_kernelIDF16_hLN4vllm18Fp8KVCacheDataTypeE1EDF16_Li32ELi64ELi256ELb1ELi7EL8MFMAType1EEvPKT_PKT0_S8_ifPKiSA_SA_iPKfiiiPfSD_PS3_PT2_iSC_SC_
		.amdhsa_group_segment_fixed_size 17472
		.amdhsa_private_segment_fixed_size 0
		.amdhsa_kernarg_size 400
		.amdhsa_user_sgpr_count 13
		.amdhsa_user_sgpr_dispatch_ptr 0
		.amdhsa_user_sgpr_queue_ptr 0
		.amdhsa_user_sgpr_kernarg_segment_ptr 1
		.amdhsa_user_sgpr_dispatch_id 0
		.amdhsa_user_sgpr_private_segment_size 0
		.amdhsa_wavefront_size32 1
		.amdhsa_uses_dynamic_stack 0
		.amdhsa_enable_private_segment 0
		.amdhsa_system_sgpr_workgroup_id_x 1
		.amdhsa_system_sgpr_workgroup_id_y 1
		.amdhsa_system_sgpr_workgroup_id_z 1
		.amdhsa_system_sgpr_workgroup_info 0
		.amdhsa_system_vgpr_workitem_id 0
		.amdhsa_next_free_vgpr 146
		.amdhsa_next_free_sgpr 37
		.amdhsa_reserve_vcc 1
		.amdhsa_float_round_mode_32 0
		.amdhsa_float_round_mode_16_64 0
		.amdhsa_float_denorm_mode_32 3
		.amdhsa_float_denorm_mode_16_64 3
		.amdhsa_dx10_clamp 1
		.amdhsa_ieee_mode 1
		.amdhsa_fp16_overflow 0
		.amdhsa_workgroup_processor_mode 1
		.amdhsa_memory_ordered 1
		.amdhsa_forward_progress 0
		.amdhsa_shared_vgpr_count 0
		.amdhsa_exception_fp_ieee_invalid_op 0
		.amdhsa_exception_fp_denorm_src 0
		.amdhsa_exception_fp_ieee_div_zero 0
		.amdhsa_exception_fp_ieee_overflow 0
		.amdhsa_exception_fp_ieee_underflow 0
		.amdhsa_exception_fp_ieee_inexact 0
		.amdhsa_exception_int_div_zero 0
	.end_amdhsa_kernel
	.section	.text._Z39paged_attention_ll4mi_QKV_mfma16_kernelIDF16_hLN4vllm18Fp8KVCacheDataTypeE1EDF16_Li32ELi64ELi256ELb1ELi7EL8MFMAType1EEvPKT_PKT0_S8_ifPKiSA_SA_iPKfiiiPfSD_PS3_PT2_iSC_SC_,"axG",@progbits,_Z39paged_attention_ll4mi_QKV_mfma16_kernelIDF16_hLN4vllm18Fp8KVCacheDataTypeE1EDF16_Li32ELi64ELi256ELb1ELi7EL8MFMAType1EEvPKT_PKT0_S8_ifPKiSA_SA_iPKfiiiPfSD_PS3_PT2_iSC_SC_,comdat
.Lfunc_end896:
	.size	_Z39paged_attention_ll4mi_QKV_mfma16_kernelIDF16_hLN4vllm18Fp8KVCacheDataTypeE1EDF16_Li32ELi64ELi256ELb1ELi7EL8MFMAType1EEvPKT_PKT0_S8_ifPKiSA_SA_iPKfiiiPfSD_PS3_PT2_iSC_SC_, .Lfunc_end896-_Z39paged_attention_ll4mi_QKV_mfma16_kernelIDF16_hLN4vllm18Fp8KVCacheDataTypeE1EDF16_Li32ELi64ELi256ELb1ELi7EL8MFMAType1EEvPKT_PKT0_S8_ifPKiSA_SA_iPKfiiiPfSD_PS3_PT2_iSC_SC_
                                        ; -- End function
	.section	.AMDGPU.csdata,"",@progbits
; Kernel info:
; codeLenInByte = 6524
; NumSgprs: 39
; NumVgprs: 146
; ScratchSize: 0
; MemoryBound: 0
; FloatMode: 240
; IeeeMode: 1
; LDSByteSize: 17472 bytes/workgroup (compile time only)
; SGPRBlocks: 4
; VGPRBlocks: 18
; NumSGPRsForWavesPerEU: 39
; NumVGPRsForWavesPerEU: 146
; Occupancy: 9
; WaveLimiterHint : 1
; COMPUTE_PGM_RSRC2:SCRATCH_EN: 0
; COMPUTE_PGM_RSRC2:USER_SGPR: 13
; COMPUTE_PGM_RSRC2:TRAP_HANDLER: 0
; COMPUTE_PGM_RSRC2:TGID_X_EN: 1
; COMPUTE_PGM_RSRC2:TGID_Y_EN: 1
; COMPUTE_PGM_RSRC2:TGID_Z_EN: 1
; COMPUTE_PGM_RSRC2:TIDIG_COMP_CNT: 0
	.section	.text._Z39paged_attention_ll4mi_QKV_mfma16_kernelIDF16_hLN4vllm18Fp8KVCacheDataTypeE1EDF16_Li32ELi64ELi256ELb1ELi8EL8MFMAType1EEvPKT_PKT0_S8_ifPKiSA_SA_iPKfiiiPfSD_PS3_PT2_iSC_SC_,"axG",@progbits,_Z39paged_attention_ll4mi_QKV_mfma16_kernelIDF16_hLN4vllm18Fp8KVCacheDataTypeE1EDF16_Li32ELi64ELi256ELb1ELi8EL8MFMAType1EEvPKT_PKT0_S8_ifPKiSA_SA_iPKfiiiPfSD_PS3_PT2_iSC_SC_,comdat
	.protected	_Z39paged_attention_ll4mi_QKV_mfma16_kernelIDF16_hLN4vllm18Fp8KVCacheDataTypeE1EDF16_Li32ELi64ELi256ELb1ELi8EL8MFMAType1EEvPKT_PKT0_S8_ifPKiSA_SA_iPKfiiiPfSD_PS3_PT2_iSC_SC_ ; -- Begin function _Z39paged_attention_ll4mi_QKV_mfma16_kernelIDF16_hLN4vllm18Fp8KVCacheDataTypeE1EDF16_Li32ELi64ELi256ELb1ELi8EL8MFMAType1EEvPKT_PKT0_S8_ifPKiSA_SA_iPKfiiiPfSD_PS3_PT2_iSC_SC_
	.globl	_Z39paged_attention_ll4mi_QKV_mfma16_kernelIDF16_hLN4vllm18Fp8KVCacheDataTypeE1EDF16_Li32ELi64ELi256ELb1ELi8EL8MFMAType1EEvPKT_PKT0_S8_ifPKiSA_SA_iPKfiiiPfSD_PS3_PT2_iSC_SC_
	.p2align	8
	.type	_Z39paged_attention_ll4mi_QKV_mfma16_kernelIDF16_hLN4vllm18Fp8KVCacheDataTypeE1EDF16_Li32ELi64ELi256ELb1ELi8EL8MFMAType1EEvPKT_PKT0_S8_ifPKiSA_SA_iPKfiiiPfSD_PS3_PT2_iSC_SC_,@function
_Z39paged_attention_ll4mi_QKV_mfma16_kernelIDF16_hLN4vllm18Fp8KVCacheDataTypeE1EDF16_Li32ELi64ELi256ELb1ELi8EL8MFMAType1EEvPKT_PKT0_S8_ifPKiSA_SA_iPKfiiiPfSD_PS3_PT2_iSC_SC_: ; @_Z39paged_attention_ll4mi_QKV_mfma16_kernelIDF16_hLN4vllm18Fp8KVCacheDataTypeE1EDF16_Li32ELi64ELi256ELb1ELi8EL8MFMAType1EEvPKT_PKT0_S8_ifPKiSA_SA_iPKfiiiPfSD_PS3_PT2_iSC_SC_
; %bb.0:
	s_load_b64 s[2:3], s[0:1], 0x30
	s_mov_b32 s34, s13
	s_waitcnt lgkmcnt(0)
	s_cmp_lg_u64 s[2:3], 0
	s_cselect_b32 s8, -1, 0
	s_ashr_i32 s35, s13, 31
	s_cmp_eq_u64 s[2:3], 0
	s_cbranch_scc1 .LBB897_3
; %bb.1:
	s_lshl_b64 s[4:5], s[34:35], 2
	s_delay_alu instid0(SALU_CYCLE_1) | instskip(SKIP_4) | instid1(SALU_CYCLE_1)
	s_add_u32 s4, s2, s4
	s_addc_u32 s5, s3, s5
	s_load_b64 s[4:5], s[4:5], 0x0
	s_waitcnt lgkmcnt(0)
	s_sub_i32 s4, s5, s4
	s_cmp_eq_u32 s4, 1
	s_cselect_b32 s4, -1, 0
	s_delay_alu instid0(SALU_CYCLE_1)
	s_and_not1_b32 vcc_lo, exec_lo, s4
	s_cbranch_vccz .LBB897_4
.LBB897_2:
	s_endpgm
.LBB897_3:
.LBB897_4:
	s_load_b64 s[4:5], s[0:1], 0x28
	s_lshl_b64 s[6:7], s[34:35], 2
	s_waitcnt lgkmcnt(0)
	s_add_u32 s4, s4, s6
	s_addc_u32 s5, s5, s7
	s_lshl_b32 s12, s14, 8
	s_load_b32 s24, s[4:5], 0x0
	s_waitcnt lgkmcnt(0)
	s_cmp_ge_i32 s12, s24
	s_cbranch_scc1 .LBB897_2
; %bb.5:
	s_clause 0x1
	s_load_b128 s[20:23], s[0:1], 0x8
	s_load_b64 s[4:5], s[0:1], 0x20
	s_and_not1_b32 vcc_lo, exec_lo, s8
	s_cbranch_vccnz .LBB897_7
; %bb.6:
	s_add_u32 s2, s2, s6
	s_addc_u32 s3, s3, s7
	s_load_b32 s3, s[2:3], 0x0
	s_branch .LBB897_8
.LBB897_7:
	s_mov_b32 s3, s34
.LBB897_8:
	s_load_b128 s[16:19], s[0:1], 0x48
	v_and_b32_e32 v69, 15, v0
	v_cmp_gt_u32_e32 vcc_lo, 0x80, v0
	v_lshrrev_b32_e32 v68, 5, v0
	v_and_b32_e32 v70, 31, v0
	v_and_b32_e32 v66, 1, v0
	v_lshlrev_b32_e32 v1, 3, v69
	v_cmp_gt_u32_e64 s2, 8, v69
	v_bfe_u32 v67, v0, 4, 1
	s_lshl_b32 s31, s15, 3
	s_delay_alu instid0(VALU_DEP_3) | instskip(NEXT) | instid1(VALU_DEP_3)
	v_lshlrev_b32_e32 v65, 1, v1
	s_and_b32 s7, vcc_lo, s2
	s_delay_alu instid0(SALU_CYCLE_1)
	s_and_saveexec_b32 s6, s7
	s_cbranch_execz .LBB897_10
; %bb.9:
	v_lshl_or_b32 v5, v68, 1, v67
	s_load_b64 s[8:9], s[0:1], 0x0
	s_waitcnt lgkmcnt(0)
	s_mul_hi_i32 s11, s3, s16
	s_mul_i32 s10, s3, s16
	v_lshlrev_b32_e32 v6, 10, v69
	v_or_b32_e32 v1, s31, v5
	s_lshl_b64 s[10:11], s[10:11], 1
	v_lshlrev_b32_e32 v5, 6, v5
	v_lshlrev_b32_e32 v7, 10, v66
	v_and_b32_e32 v6, 0x3800, v6
	v_lshlrev_b32_e32 v1, 6, v1
	s_delay_alu instid0(VALU_DEP_2) | instskip(NEXT) | instid1(VALU_DEP_2)
	v_or3_b32 v5, v6, v7, v5
	v_ashrrev_i32_e32 v2, 31, v1
	s_delay_alu instid0(VALU_DEP_1) | instskip(SKIP_2) | instid1(VALU_DEP_1)
	v_lshlrev_b64 v[1:2], 1, v[1:2]
	s_add_u32 s3, s8, s10
	s_addc_u32 s7, s9, s11
	v_add_co_u32 v1, vcc_lo, s3, v1
	s_delay_alu instid0(VALU_DEP_2) | instskip(NEXT) | instid1(VALU_DEP_2)
	v_add_co_ci_u32_e32 v2, vcc_lo, s7, v2, vcc_lo
	v_add_co_u32 v1, vcc_lo, v1, v65
	s_delay_alu instid0(VALU_DEP_2)
	v_add_co_ci_u32_e32 v2, vcc_lo, 0, v2, vcc_lo
	global_load_b128 v[1:4], v[1:2], off
	s_waitcnt vmcnt(0)
	ds_store_b128 v5, v[1:4]
.LBB897_10:
	s_or_b32 exec_lo, exec_lo, s6
	v_and_b32_e32 v1, 0xef, v0
	s_waitcnt lgkmcnt(0)
	s_add_i32 s3, s24, 31
	s_clause 0x1
	s_load_b32 s6, s[0:1], 0x38
	s_load_b32 s33, s[0:1], 0x98
	s_ashr_i32 s7, s3, 31
	v_add_nc_u32_e32 v1, s12, v1
	s_lshr_b32 s7, s7, 27
	s_load_b32 s19, s[0:1], 0x1c
	s_add_i32 s3, s3, s7
	s_waitcnt lgkmcnt(0)
	v_ashrrev_i32_e32 v2, 31, v1
	v_or_b32_e32 v3, 16, v1
	s_ashr_i32 s3, s3, 5
	v_cmp_gt_i32_e32 vcc_lo, s24, v1
	s_add_i32 s3, s3, -1
	v_lshrrev_b32_e32 v2, 27, v2
	s_barrier
	buffer_gl0_inv
	s_mul_i32 s27, s15, s18
	v_add_nc_u32_e32 v4, v1, v2
	s_mul_i32 s6, s34, s6
	s_delay_alu instid0(SALU_CYCLE_1) | instskip(NEXT) | instid1(VALU_DEP_1)
	s_ashr_i32 s7, s6, 31
	v_ashrrev_i32_e32 v4, 5, v4
	v_add_nc_u32_e32 v2, v3, v2
	s_lshl_b64 s[6:7], s[6:7], 2
	s_delay_alu instid0(SALU_CYCLE_1) | instskip(NEXT) | instid1(VALU_DEP_2)
	s_add_u32 s26, s4, s6
	v_cndmask_b32_e32 v1, s3, v4, vcc_lo
	s_delay_alu instid0(VALU_DEP_2)
	v_ashrrev_i32_e32 v2, 5, v2
	v_cmp_gt_i32_e32 vcc_lo, s24, v3
	s_addc_u32 s25, s5, s7
	s_ashr_i32 s28, s27, 31
	s_add_u32 s4, s20, s27
	s_addc_u32 s5, s21, s28
	v_cndmask_b32_e32 v3, s3, v2, vcc_lo
	v_ashrrev_i32_e32 v2, 31, v1
	s_lshl_b32 s6, s14, 3
	s_delay_alu instid0(SALU_CYCLE_1) | instskip(NEXT) | instid1(VALU_DEP_2)
	s_ashr_i32 s7, s6, 31
	v_ashrrev_i32_e32 v4, 31, v3
	s_delay_alu instid0(VALU_DEP_2) | instskip(SKIP_1) | instid1(SALU_CYCLE_1)
	v_lshlrev_b64 v[1:2], 2, v[1:2]
	s_lshl_b64 s[6:7], s[6:7], 2
	s_add_u32 s6, s26, s6
	s_delay_alu instid0(VALU_DEP_2) | instskip(SKIP_1) | instid1(VALU_DEP_2)
	v_lshlrev_b64 v[3:4], 2, v[3:4]
	s_addc_u32 s7, s25, s7
	v_add_co_u32 v1, vcc_lo, s26, v1
	v_add_co_ci_u32_e32 v2, vcc_lo, s25, v2, vcc_lo
	s_delay_alu instid0(VALU_DEP_3) | instskip(NEXT) | instid1(VALU_DEP_4)
	v_add_co_u32 v3, vcc_lo, s26, v3
	v_add_co_ci_u32_e32 v4, vcc_lo, s25, v4, vcc_lo
	s_clause 0x1
	global_load_b32 v5, v[1:2], off
	global_load_b32 v6, v[3:4], off
	s_or_b32 s8, s12, 32
	s_delay_alu instid0(SALU_CYCLE_1) | instskip(SKIP_2) | instid1(SALU_CYCLE_1)
	s_ashr_i32 s9, s8, 5
	s_cmp_lt_i32 s8, s24
	s_cselect_b32 s8, s9, s3
	s_ashr_i32 s9, s8, 31
	s_delay_alu instid0(SALU_CYCLE_1) | instskip(NEXT) | instid1(SALU_CYCLE_1)
	s_lshl_b64 s[8:9], s[8:9], 2
	s_add_u32 s8, s26, s8
	s_addc_u32 s9, s25, s9
	s_or_b32 s10, s12, 64
	s_delay_alu instid0(SALU_CYCLE_1) | instskip(SKIP_2) | instid1(SALU_CYCLE_1)
	s_ashr_i32 s11, s10, 5
	s_cmp_lt_i32 s10, s24
	s_cselect_b32 s10, s11, s3
	s_ashr_i32 s11, s10, 31
	s_delay_alu instid0(SALU_CYCLE_1) | instskip(NEXT) | instid1(SALU_CYCLE_1)
	s_lshl_b64 s[10:11], s[10:11], 2
	s_add_u32 s10, s26, s10
	s_addc_u32 s11, s25, s11
	;; [unrolled: 10-line block ×5, first 2 shown]
	s_clause 0x5
	s_load_b32 s21, s[6:7], 0x0
	s_load_b32 s13, s[8:9], 0x0
	;; [unrolled: 1-line block ×6, first 2 shown]
	s_or_b32 s7, s12, 0xc0
	s_delay_alu instid0(SALU_CYCLE_1) | instskip(SKIP_2) | instid1(SALU_CYCLE_1)
	s_ashr_i32 s8, s7, 5
	s_cmp_lt_i32 s7, s24
	s_cselect_b32 s10, s8, s3
	s_ashr_i32 s11, s10, 31
	s_delay_alu instid0(SALU_CYCLE_1) | instskip(NEXT) | instid1(SALU_CYCLE_1)
	s_lshl_b64 s[36:37], s[10:11], 2
	s_add_u32 s36, s26, s36
	s_addc_u32 s37, s25, s37
	s_or_b32 s29, s12, 0xe0
	s_delay_alu instid0(SALU_CYCLE_1)
	s_ashr_i32 s30, s29, 5
	s_cmp_lt_i32 s29, s24
	s_waitcnt vmcnt(1)
	v_mad_i64_i32 v[1:2], null, v5, s17, s[4:5]
	s_waitcnt vmcnt(0)
	v_mad_i64_i32 v[3:4], null, v6, s17, s[4:5]
	s_mov_b32 s4, 0
	s_delay_alu instid0(SALU_CYCLE_1)
	s_mov_b32 s5, s4
	s_mov_b32 s6, s4
	;; [unrolled: 1-line block ×7, first 2 shown]
	s_delay_alu instid0(SALU_CYCLE_1) | instskip(SKIP_2) | instid1(VALU_DEP_3)
	v_dual_mov_b32 v102, s11 :: v_dual_lshlrev_b32 v5, 4, v69
	v_dual_mov_b32 v98, s7 :: v_dual_mov_b32 v101, s10
	v_mov_b32_e32 v100, s9
	v_add_co_u32 v1, vcc_lo, v1, v5
	v_add_co_ci_u32_e32 v2, vcc_lo, 0, v2, vcc_lo
	v_add_co_u32 v3, vcc_lo, v3, v5
	v_add_co_ci_u32_e32 v4, vcc_lo, 0, v4, vcc_lo
	s_clause 0x7
	global_load_b128 v[57:60], v[1:2], off
	global_load_b128 v[61:64], v[1:2], off offset:512
	global_load_b128 v[71:74], v[3:4], off offset:256
	;; [unrolled: 1-line block ×7, first 2 shown]
	v_dual_mov_b32 v96, s5 :: v_dual_and_b32 v1, 7, v0
	v_mov_b32_e32 v99, s8
	v_mov_b32_e32 v97, s6
	;; [unrolled: 1-line block ×3, first 2 shown]
	s_cselect_b32 s4, s30, s3
	v_lshlrev_b32_e32 v2, 5, v69
	s_ashr_i32 s5, s4, 31
	v_lshlrev_b32_e32 v121, 6, v1
	s_lshl_b64 s[4:5], s[4:5], 2
	s_load_b32 s3, s[36:37], 0x0
	s_add_u32 s4, s26, s4
	s_addc_u32 s5, s25, s5
	v_lshl_or_b32 v1, v68, 9, v2
	ds_load_b128 v[103:106], v121
	ds_load_b128 v[107:110], v121 offset:1024
	s_load_b32 s4, s[4:5], 0x0
	s_add_u32 s6, s22, s27
	s_addc_u32 s7, s23, s28
	v_add_co_u32 v17, s6, s6, v1
	s_delay_alu instid0(VALU_DEP_1) | instskip(SKIP_1) | instid1(VALU_DEP_1)
	v_add_co_ci_u32_e64 v18, null, s7, 0, s6
	s_waitcnt lgkmcnt(0)
	v_mad_i64_i32 v[1:2], null, s21, s17, v[17:18]
	v_mad_i64_i32 v[3:4], null, s13, s17, v[17:18]
	;; [unrolled: 1-line block ×7, first 2 shown]
	s_clause 0x9
	global_load_b128 v[49:52], v[1:2], off
	global_load_b128 v[53:56], v[1:2], off offset:16
	global_load_b128 v[41:44], v[3:4], off
	global_load_b128 v[45:48], v[3:4], off offset:16
	;; [unrolled: 2-line block ×5, first 2 shown]
	v_mad_i64_i32 v[119:120], null, s4, s17, v[17:18]
	s_clause 0x3
	global_load_b128 v[17:20], v[21:22], off
	global_load_b128 v[21:24], v[21:22], off offset:16
	global_load_b128 v[25:28], v[29:30], off
	global_load_b128 v[29:32], v[29:30], off offset:16
	s_waitcnt vmcnt(20)
	v_wmma_f32_16x16x16_f16 v[111:118], v[57:64], v[103:110], v[95:102]
	s_clause 0x1
	global_load_b128 v[57:60], v[119:120], off
	global_load_b128 v[61:64], v[119:120], off offset:16
	s_waitcnt vmcnt(20)
	v_wmma_f32_16x16x16_f16 v[95:102], v[71:78], v[103:110], v[95:102]
	ds_load_b128 v[71:74], v121 offset:2048
	ds_load_b128 v[75:78], v121 offset:3072
	v_mbcnt_lo_u32_b32 v104, -1, 0
	s_waitcnt vmcnt(0) lgkmcnt(0)
	s_barrier
	buffer_gl0_inv
	v_xor_b32_e32 v105, 16, v104
	s_delay_alu instid0(VALU_DEP_1) | instskip(SKIP_4) | instid1(VALU_DEP_2)
	v_cmp_gt_i32_e32 vcc_lo, 32, v105
	v_cndmask_b32_e32 v104, v104, v105, vcc_lo
	v_wmma_f32_16x16x16_f16 v[111:118], v[79:86], v[71:78], v[111:118]
	v_and_b32_e32 v103, 0xe0, v0
	v_wmma_f32_16x16x16_f16 v[95:102], v[87:94], v[71:78], v[95:102]
	v_dual_mul_f32 v78, s19, v113 :: v_dual_add_nc_u32 v103, s12, v103
	s_delay_alu instid0(VALU_DEP_2) | instskip(SKIP_1) | instid1(VALU_DEP_3)
	v_dual_mul_f32 v90, s19, v101 :: v_dual_mul_f32 v87, s19, v112
	v_dual_mul_f32 v88, s19, v111 :: v_dual_mul_f32 v77, s19, v114
	v_or_b32_e32 v103, v103, v67
	v_dual_mul_f32 v75, s19, v116 :: v_dual_mul_f32 v94, s19, v97
	v_dual_mul_f32 v76, s19, v115 :: v_dual_mul_f32 v73, s19, v118
	v_mul_f32_e32 v92, s19, v99
	s_delay_alu instid0(VALU_DEP_4)
	v_or_b32_e32 v105, 2, v103
	v_or_b32_e32 v106, 4, v103
	;; [unrolled: 1-line block ×3, first 2 shown]
	v_cmp_gt_i32_e64 s3, s24, v103
	v_or_b32_e32 v108, 8, v103
	v_cmp_gt_i32_e32 vcc_lo, s24, v105
	v_or_b32_e32 v109, 10, v103
	v_cmp_gt_i32_e64 s4, s24, v106
	v_cndmask_b32_e64 v88, 0xff7fffff, v88, s3
	v_cmp_gt_i32_e64 s5, s24, v107
	v_cndmask_b32_e32 v87, 0xff7fffff, v87, vcc_lo
	v_or_b32_e32 v79, 12, v103
	v_or_b32_e32 v80, 14, v103
	v_cndmask_b32_e64 v78, 0xff7fffff, v78, s4
	v_cndmask_b32_e64 v77, 0xff7fffff, v77, s5
	v_max3_f32 v87, v88, 0xff7fffff, v87
	v_cmp_gt_i32_e64 s6, s24, v108
	v_cmp_gt_i32_e64 s7, s24, v109
	v_or_b32_e32 v81, 16, v103
	v_or_b32_e32 v82, 18, v103
	v_mul_f32_e32 v74, s19, v117
	v_cndmask_b32_e64 v76, 0xff7fffff, v76, s6
	v_cndmask_b32_e64 v75, 0xff7fffff, v75, s7
	v_max3_f32 v77, v87, v78, v77
	v_cmp_gt_i32_e64 s8, s24, v79
	v_cmp_gt_i32_e64 s9, s24, v80
	v_or_b32_e32 v83, 20, v103
	v_or_b32_e32 v84, 22, v103
	;; [unrolled: 1-line block ×6, first 2 shown]
	v_mul_f32_e32 v105, s19, v96
	v_mul_f32_e32 v103, s19, v95
	v_cndmask_b32_e64 v74, 0xff7fffff, v74, s8
	v_cndmask_b32_e64 v73, 0xff7fffff, v73, s9
	v_max3_f32 v75, v77, v76, v75
	v_cmp_gt_i32_e64 s10, s24, v81
	v_cmp_gt_i32_e64 s11, s24, v82
	v_mul_f32_e32 v93, s19, v98
	v_cmp_gt_i32_e64 s12, s24, v83
	v_max3_f32 v73, v75, v74, v73
	v_cndmask_b32_e64 v76, 0xff7fffff, v103, s10
	v_cndmask_b32_e64 v77, 0xff7fffff, v105, s11
	v_cmp_gt_i32_e64 s13, s24, v84
	v_mul_f32_e32 v91, s19, v100
	v_cndmask_b32_e64 v74, 0xff7fffff, v94, s12
	v_cmp_gt_i32_e64 s15, s24, v85
	v_max3_f32 v73, v73, v76, v77
	v_cndmask_b32_e64 v75, 0xff7fffff, v93, s13
	v_cmp_gt_i32_e64 s16, s24, v86
	v_mul_f32_e32 v89, s19, v102
	v_cndmask_b32_e64 v76, 0xff7fffff, v92, s15
	v_cmp_gt_i32_e64 s17, s24, v71
	v_max3_f32 v73, v73, v74, v75
	v_cndmask_b32_e64 v77, 0xff7fffff, v91, s16
	v_cmp_gt_i32_e64 s18, s24, v72
	v_lshlrev_b32_e32 v74, 2, v104
	v_cndmask_b32_e64 v71, 0xff7fffff, v90, s17
	s_delay_alu instid0(VALU_DEP_4) | instskip(NEXT) | instid1(VALU_DEP_4)
	v_max3_f32 v73, v73, v76, v77
	v_cndmask_b32_e64 v72, 0xff7fffff, v89, s18
	s_delay_alu instid0(VALU_DEP_1) | instskip(SKIP_3) | instid1(VALU_DEP_1)
	v_max3_f32 v71, v73, v71, v72
	ds_bpermute_b32 v72, v74, v71
	s_waitcnt lgkmcnt(0)
	v_max_f32_e32 v72, v72, v72
	v_max_f32_e32 v71, v71, v72
	s_delay_alu instid0(VALU_DEP_1)
	v_fma_f32 v72, s19, v111, -v71
	v_fma_f32 v76, s19, v114, -v71
	;; [unrolled: 1-line block ×5, first 2 shown]
	v_mul_f32_e32 v72, 0x3fb8aa3b, v72
	v_mul_f32_e32 v76, 0x3fb8aa3b, v76
	v_fma_f32 v75, s19, v113, -v71
	v_mul_f32_e32 v79, 0x3fb8aa3b, v77
	v_mul_f32_e32 v85, 0x3fb8aa3b, v84
	v_exp_f32_e32 v72, v72
	v_exp_f32_e32 v76, v76
	v_fma_f32 v86, s19, v98, -v71
	v_exp_f32_e32 v82, v79
	v_exp_f32_e32 v85, v85
	v_fma_f32 v81, s19, v117, -v71
	s_delay_alu instid0(VALU_DEP_2) | instskip(SKIP_3) | instid1(TRANS32_DEP_3)
	v_mul_f32_e32 v87, 0x3fb8aa3b, v86
	v_cndmask_b32_e64 v78, 0, v72, s3
	v_fma_f32 v72, s19, v116, -v71
	v_mul_f32_e32 v73, 0x3fb8aa3b, v73
	v_cndmask_b32_e64 v79, 0, v76, s5
	v_fma_f32 v76, s19, v95, -v71
	s_delay_alu instid0(VALU_DEP_4) | instskip(NEXT) | instid1(VALU_DEP_4)
	v_dual_mul_f32 v75, 0x3fb8aa3b, v75 :: v_dual_mul_f32 v72, 0x3fb8aa3b, v72
	v_exp_f32_e32 v73, v73
	v_exp_f32_e32 v87, v87
	s_delay_alu instid0(VALU_DEP_2) | instskip(NEXT) | instid1(VALU_DEP_2)
	v_mul_f32_e32 v76, 0x3fb8aa3b, v76
	v_exp_f32_e32 v75, v75
	v_cndmask_b32_e64 v85, 0, v85, s11
	v_mul_f32_e32 v81, 0x3fb8aa3b, v81
	v_exp_f32_e32 v72, v72
	v_cndmask_b32_e64 v82, 0, v82, s6
	v_exp_f32_e32 v76, v76
	s_mov_b32 s3, exec_lo
	v_cndmask_b32_e32 v77, 0, v73, vcc_lo
	v_add_f32_e32 v73, 0, v78
	v_cndmask_b32_e64 v87, 0, v87, s13
	v_cndmask_b32_e64 v80, 0, v75, s4
	v_fma_f32 v75, s19, v118, -v71
	v_exp_f32_e32 v83, v81
	v_add_f32_e32 v73, v73, v77
	v_cndmask_b32_e64 v81, 0, v72, s7
	v_cndmask_b32_e64 v86, 0, v76, s10
	v_mul_f32_e32 v75, 0x3fb8aa3b, v75
	s_delay_alu instid0(VALU_DEP_4) | instskip(NEXT) | instid1(VALU_DEP_2)
	v_add_f32_e32 v73, v73, v80
	v_exp_f32_e32 v75, v75
	s_delay_alu instid0(TRANS32_DEP_2) | instskip(NEXT) | instid1(VALU_DEP_2)
	v_cndmask_b32_e64 v84, 0, v83, s8
	v_add_f32_e32 v73, v73, v79
	s_delay_alu instid0(VALU_DEP_1) | instskip(SKIP_3) | instid1(VALU_DEP_1)
	v_add_f32_e32 v72, v73, v82
	s_waitcnt_depctr 0xfff
	v_cndmask_b32_e64 v83, 0, v75, s9
	v_add_f32_e32 v72, v72, v81
	v_add_f32_e32 v72, v72, v84
	s_delay_alu instid0(VALU_DEP_1) | instskip(NEXT) | instid1(VALU_DEP_1)
	v_add_f32_e32 v72, v72, v83
	v_add_f32_e32 v72, v72, v86
	v_fma_f32 v73, s19, v97, -v71
	v_fma_f32 v75, s19, v99, -v71
	;; [unrolled: 1-line block ×4, first 2 shown]
	v_add_f32_e32 v72, v72, v85
	v_mul_f32_e32 v73, 0x3fb8aa3b, v73
	s_delay_alu instid0(VALU_DEP_4) | instskip(NEXT) | instid1(VALU_DEP_2)
	v_dual_mul_f32 v75, 0x3fb8aa3b, v75 :: v_dual_mul_f32 v76, 0x3fb8aa3b, v76
	v_exp_f32_e32 v73, v73
	s_delay_alu instid0(VALU_DEP_1) | instskip(NEXT) | instid1(VALU_DEP_1)
	v_exp_f32_e32 v75, v75
	v_exp_f32_e32 v76, v76
	s_delay_alu instid0(TRANS32_DEP_3)
	v_cndmask_b32_e64 v88, 0, v73, s12
	v_mul_f32_e32 v73, 0x3fb8aa3b, v89
	v_fma_f32 v89, s19, v102, -v71
	s_waitcnt_depctr 0xfff
	v_cndmask_b32_e64 v90, 0, v75, s15
	v_add_f32_e32 v72, v72, v88
	v_exp_f32_e32 v73, v73
	v_mul_f32_e32 v75, 0x3fb8aa3b, v89
	v_cndmask_b32_e64 v89, 0, v76, s16
	s_delay_alu instid0(VALU_DEP_3) | instskip(NEXT) | instid1(VALU_DEP_3)
	v_add_f32_e32 v72, v72, v87
	v_exp_f32_e32 v75, v75
	s_delay_alu instid0(VALU_DEP_1) | instskip(SKIP_4) | instid1(VALU_DEP_2)
	v_add_f32_e32 v72, v72, v90
	s_waitcnt_depctr 0xfff
	v_cndmask_b32_e64 v92, 0, v73, s17
	v_add_f32_e32 v72, v72, v89
	v_cndmask_b32_e64 v91, 0, v75, s18
	v_add_f32_e32 v72, v72, v92
	s_delay_alu instid0(VALU_DEP_1)
	v_add_f32_e32 v72, v72, v91
	ds_bpermute_b32 v73, v74, v72
	v_cmpx_gt_u32_e32 16, v70
	s_cbranch_execz .LBB897_12
; %bb.11:
	v_mul_u32_u24_e32 v70, 0x44, v68
	s_waitcnt lgkmcnt(0)
	v_add_f32_e32 v72, v72, v73
	s_delay_alu instid0(VALU_DEP_2) | instskip(NEXT) | instid1(VALU_DEP_1)
	v_lshl_add_u32 v70, v69, 2, v70
	v_add_nc_u32_e32 v70, 0x4000, v70
	ds_store_2addr_b32 v70, v71, v72 offset1:136
.LBB897_12:
	s_or_b32 exec_lo, exec_lo, s3
	v_lshlrev_b32_e32 v70, 2, v69
	s_load_b32 s35, s[0:1], 0x94
	s_waitcnt lgkmcnt(0)
	s_barrier
	buffer_gl0_inv
	v_add_nc_u32_e32 v74, 0x4000, v70
	v_cmp_eq_u32_e32 vcc_lo, 1, v68
	v_cmp_eq_u32_e64 s3, 2, v68
	v_cmp_eq_u32_e64 s4, 3, v68
	;; [unrolled: 1-line block ×3, first 2 shown]
	ds_load_2addr_b32 v[70:71], v74 offset1:17
	ds_load_2addr_b32 v[72:73], v74 offset0:34 offset1:51
	ds_load_2addr_b32 v[93:94], v74 offset0:68 offset1:85
	;; [unrolled: 1-line block ×3, first 2 shown]
	v_cmp_eq_u32_e64 s6, 5, v68
	v_cmp_eq_u32_e64 s7, 7, v68
	s_waitcnt lgkmcnt(3)
	v_max3_f32 v75, v70, 0xff7fffff, v71
	s_waitcnt lgkmcnt(2)
	s_delay_alu instid0(VALU_DEP_1) | instskip(SKIP_1) | instid1(VALU_DEP_1)
	v_max3_f32 v75, v75, v72, v73
	s_waitcnt lgkmcnt(1)
	v_max3_f32 v75, v75, v93, v94
	s_waitcnt lgkmcnt(0)
	s_delay_alu instid0(VALU_DEP_1) | instskip(NEXT) | instid1(VALU_DEP_1)
	v_max3_f32 v75, v75, v95, v96
	v_sub_f32_e32 v93, v93, v75
	ds_load_2addr_b32 v[97:98], v74 offset0:136 offset1:153
	v_sub_f32_e32 v70, v70, v75
	v_dual_sub_f32 v100, v73, v75 :: v_dual_mul_f32 v103, 0x3fb8aa3b, v93
	s_delay_alu instid0(VALU_DEP_2) | instskip(SKIP_3) | instid1(VALU_DEP_1)
	v_dual_sub_f32 v76, v71, v75 :: v_dual_mul_f32 v99, 0x3fb8aa3b, v70
	ds_load_2addr_b32 v[70:71], v74 offset0:170 offset1:187
	v_mul_f32_e32 v76, 0x3fb8aa3b, v76
	v_exp_f32_e32 v99, v99
	v_exp_f32_e32 v102, v76
	v_mul_f32_e32 v100, 0x3fb8aa3b, v100
	s_waitcnt lgkmcnt(1)
	s_waitcnt_depctr 0xfff
	v_fma_f32 v76, v99, v97, 0
	v_sub_f32_e32 v97, v94, v75
	v_sub_f32_e32 v72, v72, v75
	v_exp_f32_e32 v100, v100
	ds_load_2addr_b32 v[93:94], v74 offset0:238 offset1:255
	v_dual_fmac_f32 v76, v102, v98 :: v_dual_mul_f32 v101, 0x3fb8aa3b, v72
	ds_load_2addr_b32 v[72:73], v74 offset0:204 offset1:221
	v_dual_sub_f32 v74, v95, v75 :: v_dual_mul_f32 v95, 0x3fb8aa3b, v97
	v_exp_f32_e32 v97, v103
	v_exp_f32_e32 v101, v101
	s_waitcnt lgkmcnt(0)
	s_delay_alu instid0(VALU_DEP_1)
	v_mul_f32_e32 v74, 0x3fb8aa3b, v74
	v_exp_f32_e32 v95, v95
	s_barrier
	buffer_gl0_inv
	v_fmac_f32_e32 v76, v101, v70
	v_sub_f32_e32 v70, v96, v75
	v_exp_f32_e32 v96, v74
	s_delay_alu instid0(VALU_DEP_2) | instskip(NEXT) | instid1(VALU_DEP_2)
	v_fmac_f32_e32 v76, v100, v71
	v_mul_f32_e32 v70, 0x3fb8aa3b, v70
	s_delay_alu instid0(VALU_DEP_2) | instskip(NEXT) | instid1(VALU_DEP_2)
	v_dual_cndmask_b32 v71, v99, v102 :: v_dual_fmac_f32 v76, v97, v72
	v_exp_f32_e32 v98, v70
	v_lshlrev_b32_e32 v72, 6, v69
	s_delay_alu instid0(VALU_DEP_2) | instskip(NEXT) | instid1(VALU_DEP_2)
	v_dual_fmac_f32 v76, v95, v73 :: v_dual_lshlrev_b32 v69, 2, v67
	v_lshl_or_b32 v74, v68, 11, v72
	s_delay_alu instid0(VALU_DEP_2)
	v_cmp_eq_u32_e64 s8, 7, v69
	s_delay_alu instid0(TRANS32_DEP_2) | instid1(VALU_DEP_3)
	v_fmac_f32_e32 v76, v96, v93
	s_waitcnt_depctr 0xfff
	v_fmac_f32_e32 v76, v98, v94
	s_delay_alu instid0(VALU_DEP_1) | instskip(NEXT) | instid1(VALU_DEP_1)
	v_add_f32_e32 v73, 0x358637bd, v76
	v_div_scale_f32 v93, null, v73, v73, 1.0
	v_div_scale_f32 v99, vcc_lo, 1.0, v73, 1.0
	s_delay_alu instid0(VALU_DEP_2) | instskip(SKIP_2) | instid1(VALU_DEP_1)
	v_rcp_f32_e32 v94, v93
	s_waitcnt_depctr 0xfff
	v_fma_f32 v70, -v93, v94, 1.0
	v_fmac_f32_e32 v94, v70, v94
	v_cndmask_b32_e64 v70, v71, v101, s3
	v_cmp_eq_u32_e64 s3, 6, v68
	v_or_b32_e32 v71, 1, v69
	v_or_b32_e32 v68, 2, v69
	v_mul_f32_e32 v101, v99, v94
	v_cndmask_b32_e64 v70, v70, v100, s4
	v_cmp_eq_u32_e64 s4, 1, v69
	v_cmp_eq_u32_e64 s9, 1, v71
	;; [unrolled: 1-line block ×3, first 2 shown]
	v_fma_f32 v100, -v93, v101, v99
	v_cndmask_b32_e64 v70, v70, v97, s5
	v_cmp_eq_u32_e64 s5, 2, v69
	v_cmp_eq_u32_e64 s12, 2, v71
	;; [unrolled: 1-line block ×3, first 2 shown]
	v_fmac_f32_e32 v101, v100, v94
	v_cndmask_b32_e64 v95, v70, v95, s6
	v_or_b32_e32 v70, 3, v69
	v_cmp_eq_u32_e64 s13, 3, v71
	v_cmp_eq_u32_e64 s17, 3, v68
	v_fma_f32 v93, -v93, v101, v99
	v_cndmask_b32_e64 v95, v95, v96, s3
	v_cmp_eq_u32_e64 s11, 1, v70
	v_cmp_eq_u32_e64 s16, 2, v70
	v_cmp_eq_u32_e64 s18, 3, v70
	v_div_fmas_f32 v93, v93, v94, v101
	v_cndmask_b32_e64 v94, v95, v98, s7
	v_cmp_eq_u32_e32 vcc_lo, 3, v69
	v_cmp_eq_u32_e64 s3, 4, v69
	v_cmp_eq_u32_e64 s19, 4, v71
	v_div_fixup_f32 v93, v93, v73, 1.0
	v_lshl_or_b32 v73, v67, 4, v74
	v_cmp_eq_u32_e64 s22, 4, v70
	v_cmp_eq_u32_e64 s6, 5, v69
	;; [unrolled: 1-line block ×3, first 2 shown]
	v_mul_f32_e32 v101, v94, v93
	v_cmp_eq_u32_e64 s21, 4, v68
	v_cmp_eq_u32_e64 s24, 5, v70
	;; [unrolled: 1-line block ×4, first 2 shown]
	v_fma_mixlo_f16 v93, v101, v78, 0
	v_fma_mixlo_f16 v94, v101, v80, 0
	;; [unrolled: 1-line block ×8, first 2 shown]
	v_fma_mixhi_f16 v93, v101, v77, 0
	v_fma_mixhi_f16 v94, v101, v79, 0
	;; [unrolled: 1-line block ×8, first 2 shown]
	ds_store_b128 v73, v[93:96]
	ds_store_b128 v73, v[97:100] offset:1024
	s_waitcnt lgkmcnt(0)
	s_barrier
	buffer_gl0_inv
	ds_load_b128 v[77:80], v74
	ds_load_b128 v[81:84], v74 offset:16
	ds_load_b128 v[85:88], v74 offset:1024
	;; [unrolled: 1-line block ×3, first 2 shown]
	v_cmp_eq_u32_e64 s27, 6, v70
	v_cmp_eq_u32_e64 s7, 6, v69
	;; [unrolled: 1-line block ×6, first 2 shown]
	s_waitcnt lgkmcnt(3)
	v_lshrrev_b32_e32 v93, 16, v77
	s_waitcnt lgkmcnt(2)
	v_lshrrev_b32_e32 v97, 16, v81
	s_waitcnt lgkmcnt(1)
	v_lshrrev_b32_e32 v101, 16, v85
	s_waitcnt lgkmcnt(0)
	v_lshrrev_b32_e32 v105, 16, v89
	v_lshrrev_b32_e32 v94, 16, v78
	v_cndmask_b32_e64 v109, v77, v93, s4
	v_cndmask_b32_e64 v110, v81, v97, s4
	;; [unrolled: 1-line block ×8, first 2 shown]
	v_lshrrev_b32_e32 v98, 16, v82
	v_cndmask_b32_e64 v93, v85, v101, s4
	v_cndmask_b32_e64 v97, v89, v105, s4
	;; [unrolled: 1-line block ×15, first 2 shown]
	v_lshrrev_b32_e32 v102, 16, v86
	v_lshrrev_b32_e32 v106, 16, v90
	v_cndmask_b32_e64 v112, v114, v82, s15
	v_cndmask_b32_e64 v81, v93, v86, s5
	;; [unrolled: 1-line block ×7, first 2 shown]
	v_cndmask_b32_e32 v89, v101, v94, vcc_lo
	v_cndmask_b32_e32 v101, v105, v98, vcc_lo
	v_cndmask_b32_e64 v105, v109, v94, s13
	v_cndmask_b32_e64 v109, v110, v98, s13
	;; [unrolled: 1-line block ×4, first 2 shown]
	v_lshrrev_b32_e32 v95, 16, v79
	v_lshrrev_b32_e32 v99, 16, v83
	v_cndmask_b32_e64 v110, v111, v94, s17
	v_cndmask_b32_e64 v111, v112, v98, s17
	v_cndmask_b32_e32 v81, v81, v102, vcc_lo
	v_cndmask_b32_e32 v82, v82, v106, vcc_lo
	v_cndmask_b32_e64 v93, v93, v102, s13
	v_cndmask_b32_e64 v89, v89, v79, s3
	;; [unrolled: 1-line block ×7, first 2 shown]
	v_lshrrev_b32_e32 v103, 16, v87
	v_cndmask_b32_e64 v105, v110, v79, s21
	v_cndmask_b32_e64 v109, v111, v83, s21
	;; [unrolled: 1-line block ×11, first 2 shown]
	v_lshrrev_b32_e32 v96, 16, v80
	v_lshrrev_b32_e32 v100, 16, v84
	v_cndmask_b32_e64 v98, v105, v95, s23
	v_cndmask_b32_e64 v101, v109, v99, s23
	;; [unrolled: 1-line block ×7, first 2 shown]
	v_lshrrev_b32_e32 v104, 16, v88
	v_cndmask_b32_e64 v79, v79, v103, s6
	v_cndmask_b32_e64 v83, v83, v80, s7
	;; [unrolled: 1-line block ×16, first 2 shown]
	v_perm_b32 v80, v78, v77, 0x5040100
	v_perm_b32 v78, v94, v84, 0x5040100
	v_cndmask_b32_e64 v77, v118, v90, s15
	v_cndmask_b32_e64 v84, v116, v90, s12
	;; [unrolled: 1-line block ×3, first 2 shown]
	v_perm_b32 v79, v93, v89, 0x5040100
	v_cndmask_b32_e64 v89, v97, v102, s17
	v_cndmask_b32_e64 v85, v85, v102, s18
	;; [unrolled: 1-line block ×5, first 2 shown]
	v_lshrrev_b32_e32 v107, 16, v91
	v_cndmask_b32_e64 v89, v89, v87, s21
	v_cndmask_b32_e64 v85, v85, v87, s22
	;; [unrolled: 1-line block ×11, first 2 shown]
	v_lshrrev_b32_e32 v108, 16, v92
	v_cndmask_b32_e64 v81, v81, v92, s7
	v_cndmask_b32_e64 v87, v87, v88, s26
	;; [unrolled: 1-line block ×12, first 2 shown]
	v_perm_b32 v77, v83, v82, 0x5040100
	v_perm_b32 v84, v86, v85, 0x5040100
	;; [unrolled: 1-line block ×5, first 2 shown]
	s_lshl_b32 s8, s33, 3
	s_mov_b32 s3, exec_lo
	ds_store_b128 v73, v[77:80]
	ds_store_b128 v73, v[81:84] offset:1024
	v_cmpx_gt_u32_e32 8, v0
	s_cbranch_execz .LBB897_14
; %bb.13:
	v_or_b32_e32 v77, s31, v0
	s_load_b128 s[4:7], s[0:1], 0x58
	s_delay_alu instid0(VALU_DEP_1) | instskip(NEXT) | instid1(VALU_DEP_1)
	v_mad_u64_u32 v[78:79], null, s8, s34, v[77:78]
	v_mad_u64_u32 v[79:80], null, v78, s35, s[14:15]
	s_delay_alu instid0(VALU_DEP_1) | instskip(NEXT) | instid1(VALU_DEP_1)
	v_ashrrev_i32_e32 v80, 31, v79
	v_lshlrev_b64 v[77:78], 2, v[79:80]
	s_waitcnt lgkmcnt(0)
	s_delay_alu instid0(VALU_DEP_1) | instskip(NEXT) | instid1(VALU_DEP_2)
	v_add_co_u32 v79, vcc_lo, s6, v77
	v_add_co_ci_u32_e32 v80, vcc_lo, s7, v78, vcc_lo
	v_add_co_u32 v77, vcc_lo, s4, v77
	v_add_co_ci_u32_e32 v78, vcc_lo, s5, v78, vcc_lo
	global_store_b32 v[79:80], v75, off
	global_store_b32 v[77:78], v76, off
.LBB897_14:
	s_or_b32 exec_lo, exec_lo, s3
	s_waitcnt lgkmcnt(0)
	s_waitcnt_vscnt null, 0x0
	s_barrier
	buffer_gl0_inv
	ds_load_b128 v[83:86], v72
	ds_load_b128 v[87:90], v72 offset:16
	ds_load_b128 v[95:98], v72 offset:2064
	;; [unrolled: 1-line block ×5, first 2 shown]
	v_cmp_eq_u32_e32 vcc_lo, 1, v69
	v_mov_b32_e32 v75, 0
	ds_load_b128 v[111:114], v72 offset:6160
	ds_load_b128 v[107:110], v72 offset:6144
	;; [unrolled: 1-line block ×4, first 2 shown]
	v_cmp_eq_u32_e64 s4, 1, v68
	v_cmp_eq_u32_e64 s3, 1, v71
	;; [unrolled: 1-line block ×3, first 2 shown]
	v_mov_b32_e32 v76, v75
	v_mov_b32_e32 v77, v75
	;; [unrolled: 1-line block ×7, first 2 shown]
	v_cmp_eq_u32_e64 s6, 3, v71
	v_cmp_eq_u32_e64 s7, 7, v71
	s_waitcnt lgkmcnt(8)
	s_delay_alu instid0(VALU_DEP_3)
	v_wmma_f32_16x16x16_f16 v[75:82], v[49:56], v[83:90], v[75:82]
	ds_load_b128 v[53:56], v72 offset:10256
	ds_load_b128 v[49:52], v72 offset:10240
	s_waitcnt lgkmcnt(8)
	v_wmma_f32_16x16x16_f16 v[75:82], v[41:48], v[91:98], v[75:82]
	ds_load_b128 v[45:48], v72 offset:12304
	ds_load_b128 v[41:44], v72 offset:12288
	s_waitcnt lgkmcnt(8)
	;; [unrolled: 4-line block ×3, first 2 shown]
	s_barrier
	buffer_gl0_inv
	v_wmma_f32_16x16x16_f16 v[75:82], v[1:8], v[107:114], v[75:82]
	s_delay_alu instid0(VALU_DEP_1) | instskip(NEXT) | instid1(VALU_DEP_1)
	v_wmma_f32_16x16x16_f16 v[75:82], v[9:16], v[115:122], v[75:82]
	v_wmma_f32_16x16x16_f16 v[75:82], v[17:24], v[49:56], v[75:82]
	s_delay_alu instid0(VALU_DEP_1) | instskip(NEXT) | instid1(VALU_DEP_1)
	v_wmma_f32_16x16x16_f16 v[75:82], v[25:32], v[41:48], v[75:82]
	v_wmma_f32_16x16x16_f16 v[75:82], v[57:64], v[33:40], v[75:82]
	s_delay_alu instid0(VALU_DEP_1) | instskip(NEXT) | instid1(VALU_DEP_2)
	v_cvt_f16_f32_e32 v1, v75
	v_cvt_f16_f32_e32 v2, v76
	s_delay_alu instid0(VALU_DEP_3) | instskip(NEXT) | instid1(VALU_DEP_4)
	v_cvt_f16_f32_e32 v3, v77
	v_cvt_f16_f32_e32 v4, v78
	;; [unrolled: 1-line block ×6, first 2 shown]
	v_pack_b32_f16 v1, v1, v2
	v_pack_b32_f16 v2, v3, v4
	;; [unrolled: 1-line block ×3, first 2 shown]
	s_delay_alu instid0(VALU_DEP_4)
	v_pack_b32_f16 v4, v7, v8
	ds_store_b128 v73, v[1:4]
	s_waitcnt lgkmcnt(0)
	s_barrier
	buffer_gl0_inv
	ds_load_b128 v[1:4], v74
	ds_load_b128 v[5:8], v74 offset:16
	s_waitcnt lgkmcnt(1)
	v_lshrrev_b32_e32 v9, 16, v1
	s_waitcnt lgkmcnt(0)
	v_lshrrev_b32_e32 v13, 16, v5
	v_lshrrev_b32_e32 v10, 16, v2
	;; [unrolled: 1-line block ×4, first 2 shown]
	v_cndmask_b32_e32 v17, v1, v9, vcc_lo
	v_cndmask_b32_e32 v18, v5, v13, vcc_lo
	v_cndmask_b32_e64 v21, v1, v9, s4
	v_cmp_eq_u32_e32 vcc_lo, 1, v70
	v_cndmask_b32_e64 v22, v5, v13, s4
	v_cmp_eq_u32_e64 s4, 2, v69
	v_cndmask_b32_e64 v19, v1, v9, s3
	v_cndmask_b32_e64 v20, v5, v13, s3
	v_cndmask_b32_e32 v1, v1, v9, vcc_lo
	v_cmp_eq_u32_e64 s3, 2, v70
	v_cndmask_b32_e32 v5, v5, v13, vcc_lo
	v_cndmask_b32_e64 v9, v17, v2, s4
	v_cmp_eq_u32_e32 vcc_lo, 3, v69
	v_cndmask_b32_e64 v13, v18, v6, s4
	v_cmp_eq_u32_e64 s4, 2, v68
	v_cndmask_b32_e64 v17, v19, v2, s5
	v_cndmask_b32_e64 v18, v20, v6, s5
	v_cmp_eq_u32_e64 s5, 3, v68
	v_cndmask_b32_e64 v1, v1, v2, s3
	v_cndmask_b32_e64 v19, v21, v2, s4
	;; [unrolled: 1-line block ×4, first 2 shown]
	v_cndmask_b32_e32 v5, v9, v10, vcc_lo
	v_cndmask_b32_e32 v6, v13, v14, vcc_lo
	v_cmp_eq_u32_e32 vcc_lo, 3, v70
	v_cndmask_b32_e64 v9, v17, v10, s6
	v_cndmask_b32_e64 v13, v18, v14, s6
	;; [unrolled: 1-line block ×3, first 2 shown]
	v_cmp_eq_u32_e64 s4, 4, v69
	v_cndmask_b32_e32 v1, v1, v10, vcc_lo
	v_cndmask_b32_e32 v2, v2, v14, vcc_lo
	v_cmp_eq_u32_e32 vcc_lo, 4, v71
	v_lshrrev_b32_e32 v15, 16, v7
	v_lshrrev_b32_e32 v16, 16, v8
	v_cndmask_b32_e64 v17, v19, v10, s5
	v_cmp_eq_u32_e64 s3, 4, v70
	v_cndmask_b32_e64 v5, v5, v3, s4
	v_cndmask_b32_e64 v6, v6, v7, s4
	v_cndmask_b32_e32 v9, v9, v3, vcc_lo
	v_cmp_eq_u32_e64 s4, 5, v71
	v_cndmask_b32_e32 v10, v13, v7, vcc_lo
	v_cmp_eq_u32_e32 vcc_lo, 4, v68
	v_cmp_eq_u32_e64 s5, 5, v69
	v_cndmask_b32_e64 v2, v2, v7, s3
	v_cndmask_b32_e64 v9, v9, v11, s4
	;; [unrolled: 1-line block ×3, first 2 shown]
	v_cndmask_b32_e32 v13, v17, v3, vcc_lo
	v_cmp_eq_u32_e64 s4, 5, v68
	v_cndmask_b32_e32 v14, v18, v7, vcc_lo
	v_cndmask_b32_e64 v1, v1, v3, s3
	v_cmp_eq_u32_e32 vcc_lo, 5, v70
	v_lshrrev_b32_e32 v12, 16, v4
	v_cndmask_b32_e64 v13, v13, v11, s4
	v_cndmask_b32_e64 v3, v14, v15, s4
	v_cmp_eq_u32_e64 s4, 6, v70
	v_cndmask_b32_e32 v1, v1, v11, vcc_lo
	v_cndmask_b32_e64 v5, v5, v11, s5
	v_cmp_eq_u32_e64 s6, 6, v69
	v_cndmask_b32_e64 v6, v6, v15, s5
	v_cmp_eq_u32_e64 s5, 6, v71
	v_cmp_eq_u32_e64 s3, 6, v68
	v_cndmask_b32_e64 v1, v1, v4, s4
	v_cndmask_b32_e32 v2, v2, v15, vcc_lo
	v_cmp_eq_u32_e32 vcc_lo, 7, v70
	v_cndmask_b32_e64 v5, v5, v4, s6
	v_cndmask_b32_e64 v9, v9, v4, s5
	;; [unrolled: 1-line block ×3, first 2 shown]
	v_cmp_eq_u32_e64 s6, 7, v69
	v_cndmask_b32_e32 v1, v1, v12, vcc_lo
	v_cndmask_b32_e64 v7, v13, v4, s3
	v_cndmask_b32_e64 v3, v3, v8, s3
	;; [unrolled: 1-line block ×3, first 2 shown]
	v_cmp_eq_u32_e64 s3, 7, v68
	v_cndmask_b32_e64 v4, v10, v8, s5
	v_cndmask_b32_e64 v5, v5, v12, s6
	;; [unrolled: 1-line block ×3, first 2 shown]
	v_cndmask_b32_e32 v2, v2, v16, vcc_lo
	v_cndmask_b32_e64 v7, v7, v12, s3
	v_cndmask_b32_e64 v3, v3, v16, s3
	;; [unrolled: 1-line block ×4, first 2 shown]
	v_cmp_gt_u32_e32 vcc_lo, 32, v0
	v_perm_b32 v4, v2, v1, 0x5040100
	v_perm_b32 v3, v3, v7, 0x5040100
	v_perm_b32 v2, v8, v9, 0x5040100
	v_perm_b32 v1, v6, v5, 0x5040100
	s_and_b32 s2, vcc_lo, s2
	ds_store_b128 v73, v[1:4]
	s_waitcnt lgkmcnt(0)
	s_barrier
	buffer_gl0_inv
	s_and_saveexec_b32 s3, s2
	s_cbranch_execz .LBB897_2
; %bb.15:
	s_load_b64 s[0:1], s[0:1], 0x68
	s_lshl_b32 s4, s35, 6
	v_or_b32_e32 v2, s31, v67
	s_mul_i32 s2, s4, s34
	v_lshlrev_b32_e32 v1, 10, v0
	s_mul_i32 s2, s2, s8
	v_lshlrev_b32_e32 v3, 4, v66
	v_mul_lo_u32 v0, v2, s4
	s_ashr_i32 s3, s2, 31
	v_lshlrev_b32_e32 v4, 6, v67
	v_and_b32_e32 v1, 0x3800, v1
	v_or_b32_e32 v5, 2, v2
	s_lshl_b64 s[2:3], s[2:3], 1
	v_or_b32_e32 v6, 4, v2
	v_or_b32_e32 v7, 6, v2
	v_or3_b32 v12, v1, v3, v4
	v_ashrrev_i32_e32 v1, 31, v0
	v_mul_lo_u32 v2, v5, s4
	v_mul_lo_u32 v16, v6, s4
	;; [unrolled: 1-line block ×3, first 2 shown]
	s_waitcnt lgkmcnt(0)
	s_add_u32 s2, s0, s2
	s_addc_u32 s3, s1, s3
	s_lshl_b32 s0, s14, 6
	v_lshlrev_b64 v[0:1], 1, v[0:1]
	s_ashr_i32 s1, s0, 31
	v_ashrrev_i32_e32 v3, 31, v2
	s_lshl_b64 s[0:1], s[0:1], 1
	v_ashrrev_i32_e32 v17, 31, v16
	s_add_u32 s0, s2, s0
	s_addc_u32 s1, s3, s1
	v_add_co_u32 v24, s0, s0, v65
	s_delay_alu instid0(VALU_DEP_1) | instskip(SKIP_1) | instid1(VALU_DEP_3)
	v_add_co_ci_u32_e64 v25, null, s1, 0, s0
	v_lshlrev_b64 v[22:23], 1, v[2:3]
	v_add_co_u32 v18, vcc_lo, v24, v0
	s_delay_alu instid0(VALU_DEP_3)
	v_add_co_ci_u32_e32 v19, vcc_lo, v25, v1, vcc_lo
	ds_load_b128 v[0:3], v12
	ds_load_b128 v[4:7], v12 offset:128
	ds_load_b128 v[8:11], v12 offset:256
	ds_load_b128 v[12:15], v12 offset:384
	v_ashrrev_i32_e32 v21, 31, v20
	v_lshlrev_b64 v[16:17], 1, v[16:17]
	v_add_co_u32 v22, vcc_lo, v24, v22
	v_add_co_ci_u32_e32 v23, vcc_lo, v25, v23, vcc_lo
	s_delay_alu instid0(VALU_DEP_4) | instskip(NEXT) | instid1(VALU_DEP_4)
	v_lshlrev_b64 v[20:21], 1, v[20:21]
	v_add_co_u32 v16, vcc_lo, v24, v16
	v_add_co_ci_u32_e32 v17, vcc_lo, v25, v17, vcc_lo
	s_delay_alu instid0(VALU_DEP_3) | instskip(NEXT) | instid1(VALU_DEP_4)
	v_add_co_u32 v20, vcc_lo, v24, v20
	v_add_co_ci_u32_e32 v21, vcc_lo, v25, v21, vcc_lo
	s_waitcnt lgkmcnt(3)
	global_store_b128 v[18:19], v[0:3], off
	s_waitcnt lgkmcnt(2)
	global_store_b128 v[22:23], v[4:7], off
	;; [unrolled: 2-line block ×4, first 2 shown]
	s_nop 0
	s_sendmsg sendmsg(MSG_DEALLOC_VGPRS)
	s_endpgm
	.section	.rodata,"a",@progbits
	.p2align	6, 0x0
	.amdhsa_kernel _Z39paged_attention_ll4mi_QKV_mfma16_kernelIDF16_hLN4vllm18Fp8KVCacheDataTypeE1EDF16_Li32ELi64ELi256ELb1ELi8EL8MFMAType1EEvPKT_PKT0_S8_ifPKiSA_SA_iPKfiiiPfSD_PS3_PT2_iSC_SC_
		.amdhsa_group_segment_fixed_size 17472
		.amdhsa_private_segment_fixed_size 0
		.amdhsa_kernarg_size 400
		.amdhsa_user_sgpr_count 13
		.amdhsa_user_sgpr_dispatch_ptr 0
		.amdhsa_user_sgpr_queue_ptr 0
		.amdhsa_user_sgpr_kernarg_segment_ptr 1
		.amdhsa_user_sgpr_dispatch_id 0
		.amdhsa_user_sgpr_private_segment_size 0
		.amdhsa_wavefront_size32 1
		.amdhsa_uses_dynamic_stack 0
		.amdhsa_enable_private_segment 0
		.amdhsa_system_sgpr_workgroup_id_x 1
		.amdhsa_system_sgpr_workgroup_id_y 1
		.amdhsa_system_sgpr_workgroup_id_z 1
		.amdhsa_system_sgpr_workgroup_info 0
		.amdhsa_system_vgpr_workitem_id 0
		.amdhsa_next_free_vgpr 123
		.amdhsa_next_free_sgpr 42
		.amdhsa_reserve_vcc 1
		.amdhsa_float_round_mode_32 0
		.amdhsa_float_round_mode_16_64 0
		.amdhsa_float_denorm_mode_32 3
		.amdhsa_float_denorm_mode_16_64 3
		.amdhsa_dx10_clamp 1
		.amdhsa_ieee_mode 1
		.amdhsa_fp16_overflow 0
		.amdhsa_workgroup_processor_mode 1
		.amdhsa_memory_ordered 1
		.amdhsa_forward_progress 0
		.amdhsa_shared_vgpr_count 0
		.amdhsa_exception_fp_ieee_invalid_op 0
		.amdhsa_exception_fp_denorm_src 0
		.amdhsa_exception_fp_ieee_div_zero 0
		.amdhsa_exception_fp_ieee_overflow 0
		.amdhsa_exception_fp_ieee_underflow 0
		.amdhsa_exception_fp_ieee_inexact 0
		.amdhsa_exception_int_div_zero 0
	.end_amdhsa_kernel
	.section	.text._Z39paged_attention_ll4mi_QKV_mfma16_kernelIDF16_hLN4vllm18Fp8KVCacheDataTypeE1EDF16_Li32ELi64ELi256ELb1ELi8EL8MFMAType1EEvPKT_PKT0_S8_ifPKiSA_SA_iPKfiiiPfSD_PS3_PT2_iSC_SC_,"axG",@progbits,_Z39paged_attention_ll4mi_QKV_mfma16_kernelIDF16_hLN4vllm18Fp8KVCacheDataTypeE1EDF16_Li32ELi64ELi256ELb1ELi8EL8MFMAType1EEvPKT_PKT0_S8_ifPKiSA_SA_iPKfiiiPfSD_PS3_PT2_iSC_SC_,comdat
.Lfunc_end897:
	.size	_Z39paged_attention_ll4mi_QKV_mfma16_kernelIDF16_hLN4vllm18Fp8KVCacheDataTypeE1EDF16_Li32ELi64ELi256ELb1ELi8EL8MFMAType1EEvPKT_PKT0_S8_ifPKiSA_SA_iPKfiiiPfSD_PS3_PT2_iSC_SC_, .Lfunc_end897-_Z39paged_attention_ll4mi_QKV_mfma16_kernelIDF16_hLN4vllm18Fp8KVCacheDataTypeE1EDF16_Li32ELi64ELi256ELb1ELi8EL8MFMAType1EEvPKT_PKT0_S8_ifPKiSA_SA_iPKfiiiPfSD_PS3_PT2_iSC_SC_
                                        ; -- End function
	.section	.AMDGPU.csdata,"",@progbits
; Kernel info:
; codeLenInByte = 6500
; NumSgprs: 44
; NumVgprs: 123
; ScratchSize: 0
; MemoryBound: 0
; FloatMode: 240
; IeeeMode: 1
; LDSByteSize: 17472 bytes/workgroup (compile time only)
; SGPRBlocks: 5
; VGPRBlocks: 15
; NumSGPRsForWavesPerEU: 44
; NumVGPRsForWavesPerEU: 123
; Occupancy: 10
; WaveLimiterHint : 1
; COMPUTE_PGM_RSRC2:SCRATCH_EN: 0
; COMPUTE_PGM_RSRC2:USER_SGPR: 13
; COMPUTE_PGM_RSRC2:TRAP_HANDLER: 0
; COMPUTE_PGM_RSRC2:TGID_X_EN: 1
; COMPUTE_PGM_RSRC2:TGID_Y_EN: 1
; COMPUTE_PGM_RSRC2:TGID_Z_EN: 1
; COMPUTE_PGM_RSRC2:TIDIG_COMP_CNT: 0
	.section	.text._Z39paged_attention_ll4mi_QKV_mfma16_kernelIDF16_hLN4vllm18Fp8KVCacheDataTypeE1EDF16_Li32ELi64ELi256ELb1ELi9EL8MFMAType1EEvPKT_PKT0_S8_ifPKiSA_SA_iPKfiiiPfSD_PS3_PT2_iSC_SC_,"axG",@progbits,_Z39paged_attention_ll4mi_QKV_mfma16_kernelIDF16_hLN4vllm18Fp8KVCacheDataTypeE1EDF16_Li32ELi64ELi256ELb1ELi9EL8MFMAType1EEvPKT_PKT0_S8_ifPKiSA_SA_iPKfiiiPfSD_PS3_PT2_iSC_SC_,comdat
	.protected	_Z39paged_attention_ll4mi_QKV_mfma16_kernelIDF16_hLN4vllm18Fp8KVCacheDataTypeE1EDF16_Li32ELi64ELi256ELb1ELi9EL8MFMAType1EEvPKT_PKT0_S8_ifPKiSA_SA_iPKfiiiPfSD_PS3_PT2_iSC_SC_ ; -- Begin function _Z39paged_attention_ll4mi_QKV_mfma16_kernelIDF16_hLN4vllm18Fp8KVCacheDataTypeE1EDF16_Li32ELi64ELi256ELb1ELi9EL8MFMAType1EEvPKT_PKT0_S8_ifPKiSA_SA_iPKfiiiPfSD_PS3_PT2_iSC_SC_
	.globl	_Z39paged_attention_ll4mi_QKV_mfma16_kernelIDF16_hLN4vllm18Fp8KVCacheDataTypeE1EDF16_Li32ELi64ELi256ELb1ELi9EL8MFMAType1EEvPKT_PKT0_S8_ifPKiSA_SA_iPKfiiiPfSD_PS3_PT2_iSC_SC_
	.p2align	8
	.type	_Z39paged_attention_ll4mi_QKV_mfma16_kernelIDF16_hLN4vllm18Fp8KVCacheDataTypeE1EDF16_Li32ELi64ELi256ELb1ELi9EL8MFMAType1EEvPKT_PKT0_S8_ifPKiSA_SA_iPKfiiiPfSD_PS3_PT2_iSC_SC_,@function
_Z39paged_attention_ll4mi_QKV_mfma16_kernelIDF16_hLN4vllm18Fp8KVCacheDataTypeE1EDF16_Li32ELi64ELi256ELb1ELi9EL8MFMAType1EEvPKT_PKT0_S8_ifPKiSA_SA_iPKfiiiPfSD_PS3_PT2_iSC_SC_: ; @_Z39paged_attention_ll4mi_QKV_mfma16_kernelIDF16_hLN4vllm18Fp8KVCacheDataTypeE1EDF16_Li32ELi64ELi256ELb1ELi9EL8MFMAType1EEvPKT_PKT0_S8_ifPKiSA_SA_iPKfiiiPfSD_PS3_PT2_iSC_SC_
; %bb.0:
	s_load_b64 s[2:3], s[0:1], 0x30
	s_mov_b32 s34, s13
	s_waitcnt lgkmcnt(0)
	s_cmp_lg_u64 s[2:3], 0
	s_cselect_b32 s6, -1, 0
	s_ashr_i32 s35, s13, 31
	s_cmp_eq_u64 s[2:3], 0
	s_cbranch_scc1 .LBB898_3
; %bb.1:
	s_lshl_b64 s[4:5], s[34:35], 2
	s_delay_alu instid0(SALU_CYCLE_1) | instskip(SKIP_4) | instid1(SALU_CYCLE_1)
	s_add_u32 s4, s2, s4
	s_addc_u32 s5, s3, s5
	s_load_b64 s[4:5], s[4:5], 0x0
	s_waitcnt lgkmcnt(0)
	s_sub_i32 s4, s5, s4
	s_cmp_eq_u32 s4, 1
	s_cselect_b32 s4, -1, 0
	s_delay_alu instid0(SALU_CYCLE_1)
	s_and_not1_b32 vcc_lo, exec_lo, s4
	s_cbranch_vccz .LBB898_4
.LBB898_2:
	s_nop 0
	s_sendmsg sendmsg(MSG_DEALLOC_VGPRS)
	s_endpgm
.LBB898_3:
.LBB898_4:
	s_load_b64 s[8:9], s[0:1], 0x28
	s_lshl_b64 s[4:5], s[34:35], 2
	s_waitcnt lgkmcnt(0)
	s_add_u32 s8, s8, s4
	s_addc_u32 s9, s9, s5
	s_lshl_b32 s16, s14, 8
	s_load_b32 s18, s[8:9], 0x0
	s_waitcnt lgkmcnt(0)
	s_cmp_ge_i32 s16, s18
	s_cbranch_scc1 .LBB898_2
; %bb.5:
	s_clause 0x1
	s_load_b128 s[8:11], s[0:1], 0x8
	s_load_b64 s[12:13], s[0:1], 0x20
	s_and_not1_b32 vcc_lo, exec_lo, s6
	s_cbranch_vccnz .LBB898_7
; %bb.6:
	s_add_u32 s2, s2, s4
	s_addc_u32 s3, s3, s5
	s_load_b32 s3, s[2:3], 0x0
	s_branch .LBB898_8
.LBB898_7:
	s_mov_b32 s3, s34
.LBB898_8:
	s_load_b128 s[4:7], s[0:1], 0x48
	v_lshrrev_b32_e32 v69, 5, v0
	v_bfe_u32 v66, v0, 4, 1
	v_and_b32_e32 v68, 15, v0
	v_and_b32_e32 v70, 31, v0
	;; [unrolled: 1-line block ×3, first 2 shown]
	s_mul_i32 s33, s15, 9
	v_lshl_or_b32 v1, v69, 1, v66
	v_lshlrev_b32_e32 v2, 3, v68
	v_cmp_gt_u32_e64 s2, 8, v68
	s_delay_alu instid0(VALU_DEP_3) | instskip(NEXT) | instid1(VALU_DEP_3)
	v_cmp_gt_u32_e32 vcc_lo, 9, v1
	v_lshlrev_b32_e32 v65, 1, v2
	s_delay_alu instid0(VALU_DEP_3)
	s_and_b32 s17, s2, vcc_lo
	s_waitcnt lgkmcnt(0)
	s_and_saveexec_b32 s7, s17
	s_cbranch_execz .LBB898_10
; %bb.9:
	s_load_b64 s[20:21], s[0:1], 0x0
	v_add_lshl_u32 v2, v1, s33, 6
	s_mul_hi_i32 s23, s3, s4
	s_mul_i32 s22, s3, s4
	v_lshlrev_b32_e32 v6, 10, v68
	s_lshl_b64 s[22:23], s[22:23], 1
	v_ashrrev_i32_e32 v3, 31, v2
	v_lshlrev_b32_e32 v1, 6, v1
	v_lshlrev_b32_e32 v7, 10, v67
	v_and_b32_e32 v6, 0x3800, v6
	s_delay_alu instid0(VALU_DEP_4) | instskip(NEXT) | instid1(VALU_DEP_2)
	v_lshlrev_b64 v[2:3], 1, v[2:3]
	v_or3_b32 v1, v6, v7, v1
	s_waitcnt lgkmcnt(0)
	s_add_u32 s3, s20, s22
	s_addc_u32 s4, s21, s23
	s_delay_alu instid0(VALU_DEP_2) | instskip(SKIP_1) | instid1(VALU_DEP_2)
	v_add_co_u32 v2, vcc_lo, s3, v2
	v_add_co_ci_u32_e32 v3, vcc_lo, s4, v3, vcc_lo
	v_add_co_u32 v2, vcc_lo, v2, v65
	s_delay_alu instid0(VALU_DEP_2)
	v_add_co_ci_u32_e32 v3, vcc_lo, 0, v3, vcc_lo
	global_load_b128 v[2:5], v[2:3], off
	s_waitcnt vmcnt(0)
	ds_store_b128 v1, v[2:5]
.LBB898_10:
	s_or_b32 exec_lo, exec_lo, s7
	v_and_b32_e32 v1, 0xef, v0
	s_add_i32 s3, s18, 31
	s_clause 0x1
	s_load_b32 s4, s[0:1], 0x38
	s_load_b32 s35, s[0:1], 0x98
	s_ashr_i32 s7, s3, 31
	v_add_nc_u32_e32 v1, s16, v1
	s_lshr_b32 s7, s7, 27
	s_load_b32 s19, s[0:1], 0x1c
	v_add_nc_u32_e32 v103, -9, v68
	s_add_i32 s3, s3, s7
	v_ashrrev_i32_e32 v2, 31, v1
	v_or_b32_e32 v3, 16, v1
	s_ashr_i32 s3, s3, 5
	v_cmp_gt_i32_e32 vcc_lo, s18, v1
	s_add_i32 s3, s3, -1
	v_lshrrev_b32_e32 v2, 27, v2
	s_waitcnt lgkmcnt(0)
	s_barrier
	buffer_gl0_inv
	s_mul_i32 s15, s15, s6
	v_add_nc_u32_e32 v4, v1, v2
	v_mbcnt_lo_u32_b32 v127, -1, 0
	s_mul_i32 s20, s34, s4
	s_delay_alu instid0(SALU_CYCLE_1) | instskip(NEXT) | instid1(VALU_DEP_2)
	s_ashr_i32 s21, s20, 31
	v_ashrrev_i32_e32 v4, 5, v4
	v_add_nc_u32_e32 v2, v3, v2
	s_lshl_b64 s[20:21], s[20:21], 2
	v_xor_b32_e32 v128, 16, v127
	s_add_u32 s17, s12, s20
	v_cndmask_b32_e32 v1, s3, v4, vcc_lo
	v_ashrrev_i32_e32 v2, 5, v2
	v_cmp_gt_i32_e32 vcc_lo, s18, v3
	s_addc_u32 s13, s13, s21
	s_ashr_i32 s20, s15, 31
	s_add_u32 s22, s8, s15
	s_addc_u32 s23, s9, s20
	v_cndmask_b32_e32 v3, s3, v2, vcc_lo
	v_ashrrev_i32_e32 v2, 31, v1
	s_lshl_b32 s6, s14, 3
	s_delay_alu instid0(SALU_CYCLE_1) | instskip(NEXT) | instid1(VALU_DEP_2)
	s_ashr_i32 s7, s6, 31
	v_ashrrev_i32_e32 v4, 31, v3
	s_delay_alu instid0(VALU_DEP_2) | instskip(SKIP_1) | instid1(SALU_CYCLE_1)
	v_lshlrev_b64 v[1:2], 2, v[1:2]
	s_lshl_b64 s[6:7], s[6:7], 2
	s_add_u32 s6, s17, s6
	s_delay_alu instid0(VALU_DEP_2) | instskip(SKIP_1) | instid1(VALU_DEP_2)
	v_lshlrev_b64 v[3:4], 2, v[3:4]
	s_addc_u32 s7, s13, s7
	v_add_co_u32 v1, vcc_lo, s17, v1
	v_add_co_ci_u32_e32 v2, vcc_lo, s13, v2, vcc_lo
	s_delay_alu instid0(VALU_DEP_3) | instskip(NEXT) | instid1(VALU_DEP_4)
	v_add_co_u32 v3, vcc_lo, s17, v3
	v_add_co_ci_u32_e32 v4, vcc_lo, s13, v4, vcc_lo
	s_clause 0x1
	global_load_b32 v5, v[1:2], off
	global_load_b32 v6, v[3:4], off
	s_or_b32 s4, s16, 32
	s_delay_alu instid0(SALU_CYCLE_1) | instskip(SKIP_2) | instid1(SALU_CYCLE_1)
	s_ashr_i32 s8, s4, 5
	s_cmp_lt_i32 s4, s18
	s_cselect_b32 s8, s8, s3
	s_ashr_i32 s9, s8, 31
	s_delay_alu instid0(SALU_CYCLE_1) | instskip(NEXT) | instid1(SALU_CYCLE_1)
	s_lshl_b64 s[8:9], s[8:9], 2
	s_add_u32 s8, s17, s8
	s_addc_u32 s9, s13, s9
	s_or_b32 s4, s16, 64
	s_delay_alu instid0(SALU_CYCLE_1) | instskip(SKIP_2) | instid1(SALU_CYCLE_1)
	s_ashr_i32 s12, s4, 5
	s_cmp_lt_i32 s4, s18
	s_cselect_b32 s24, s12, s3
	s_ashr_i32 s25, s24, 31
	s_delay_alu instid0(SALU_CYCLE_1) | instskip(NEXT) | instid1(SALU_CYCLE_1)
	s_lshl_b64 s[24:25], s[24:25], 2
	s_add_u32 s24, s17, s24
	s_addc_u32 s25, s13, s25
	;; [unrolled: 10-line block ×5, first 2 shown]
	s_clause 0x5
	s_load_b32 s12, s[6:7], 0x0
	s_load_b32 s4, s[8:9], 0x0
	;; [unrolled: 1-line block ×6, first 2 shown]
	s_or_b32 s21, s16, 0xc0
	s_waitcnt vmcnt(1)
	v_mad_i64_i32 v[1:2], null, v5, s5, s[22:23]
	v_lshlrev_b32_e32 v5, 4, v68
	s_waitcnt vmcnt(0)
	v_mad_i64_i32 v[3:4], null, v6, s5, s[22:23]
	s_ashr_i32 s22, s21, 5
	s_cmp_lt_i32 s21, s18
	s_delay_alu instid0(VALU_DEP_3) | instskip(NEXT) | instid1(VALU_DEP_4)
	v_add_co_u32 v1, vcc_lo, v1, v5
	v_add_co_ci_u32_e32 v2, vcc_lo, 0, v2, vcc_lo
	s_delay_alu instid0(VALU_DEP_3) | instskip(NEXT) | instid1(VALU_DEP_4)
	v_add_co_u32 v3, vcc_lo, v3, v5
	v_add_co_ci_u32_e32 v4, vcc_lo, 0, v4, vcc_lo
	s_clause 0x7
	global_load_b128 v[71:74], v[1:2], off
	global_load_b128 v[75:78], v[1:2], off offset:512
	global_load_b128 v[79:82], v[3:4], off offset:256
	;; [unrolled: 1-line block ×7, first 2 shown]
	s_cselect_b32 s22, s22, s3
	v_lshlrev_b32_e32 v1, 5, v68
	s_ashr_i32 s23, s22, 31
	v_cmp_gt_u32_e32 vcc_lo, 9, v68
	s_lshl_b64 s[22:23], s[22:23], 2
	s_delay_alu instid0(SALU_CYCLE_1)
	s_add_u32 s22, s17, s22
	s_addc_u32 s23, s13, s23
	s_or_b32 s21, s16, 0xe0
	v_lshl_or_b32 v1, v69, 9, v1
	s_ashr_i32 s24, s21, 5
	s_cmp_lt_i32 s21, s18
	v_cndmask_b32_e32 v103, v103, v68, vcc_lo
	s_cselect_b32 s24, s24, s3
	s_load_b32 s3, s[22:23], 0x0
	s_ashr_i32 s25, s24, 31
	v_cmp_gt_i32_e32 vcc_lo, 32, v128
	s_lshl_b64 s[24:25], s[24:25], 2
	v_lshlrev_b32_e32 v115, 6, v103
	s_add_u32 s22, s17, s24
	s_addc_u32 s23, s13, s25
	v_cndmask_b32_e32 v136, v127, v128, vcc_lo
	s_add_u32 s10, s10, s15
	s_addc_u32 s11, s11, s20
	v_add_co_u32 v1, s10, s10, v1
	s_delay_alu instid0(VALU_DEP_1) | instskip(SKIP_2) | instid1(VALU_DEP_1)
	v_add_co_ci_u32_e64 v2, null, s11, 0, s10
	s_load_b32 s10, s[22:23], 0x0
	s_waitcnt lgkmcnt(0)
	v_mad_i64_i32 v[3:4], null, s12, s5, v[1:2]
	v_mad_i64_i32 v[9:10], null, s7, s5, v[1:2]
	;; [unrolled: 1-line block ×7, first 2 shown]
	s_clause 0x5
	global_load_b128 v[49:52], v[3:4], off
	global_load_b128 v[53:56], v[3:4], off offset:16
	global_load_b128 v[41:44], v[5:6], off
	global_load_b128 v[45:48], v[5:6], off offset:16
	;; [unrolled: 2-line block ×3, first 2 shown]
	s_mov_b32 s4, 0
	v_mad_i64_i32 v[61:62], null, s10, s5, v[1:2]
	s_clause 0x9
	global_load_b128 v[1:4], v[9:10], off
	global_load_b128 v[5:8], v[9:10], off offset:16
	global_load_b128 v[9:12], v[13:14], off
	global_load_b128 v[13:16], v[13:14], off offset:16
	;; [unrolled: 2-line block ×5, first 2 shown]
	s_mov_b32 s5, s4
	s_mov_b32 s6, s4
	;; [unrolled: 1-line block ×7, first 2 shown]
	v_and_b32_e32 v104, 0xe0, v0
	v_dual_mov_b32 v126, s11 :: v_dual_mov_b32 v125, s10
	v_dual_mov_b32 v124, s9 :: v_dual_mov_b32 v123, s8
	s_delay_alu instid0(VALU_DEP_3)
	v_add_nc_u32_e32 v111, s16, v104
	ds_load_b128 v[103:106], v115
	ds_load_b128 v[107:110], v115 offset:1024
	v_dual_mov_b32 v122, s7 :: v_dual_mov_b32 v121, s6
	v_mov_b32_e32 v120, s5
	v_or_b32_e32 v135, v111, v66
	ds_load_b128 v[111:114], v115 offset:2048
	ds_load_b128 v[115:118], v115 offset:3072
	v_mov_b32_e32 v119, s4
	s_waitcnt vmcnt(0) lgkmcnt(0)
	s_barrier
	v_or_b32_e32 v137, 2, v135
	v_or_b32_e32 v138, 4, v135
	;; [unrolled: 1-line block ×3, first 2 shown]
	v_cmp_gt_i32_e32 vcc_lo, s18, v135
	v_or_b32_e32 v140, 8, v135
	v_cmp_gt_i32_e64 s3, s18, v137
	v_or_b32_e32 v141, 10, v135
	v_cmp_gt_i32_e64 s4, s18, v138
	v_cmp_gt_i32_e64 s5, s18, v139
	v_or_b32_e32 v142, 12, v135
	v_or_b32_e32 v143, 14, v135
	v_cmp_gt_i32_e64 s6, s18, v140
	v_cmp_gt_i32_e64 s7, s18, v141
	v_or_b32_e32 v144, 16, v135
	v_or_b32_e32 v145, 18, v135
	v_cmp_gt_i32_e64 s8, s18, v142
	v_cmp_gt_i32_e64 s9, s18, v143
	buffer_gl0_inv
	v_cmp_gt_i32_e64 s10, s18, v144
	v_cmp_gt_i32_e64 s11, s18, v145
	v_wmma_f32_16x16x16_f16 v[127:134], v[71:78], v[103:110], v[119:126]
	v_wmma_f32_16x16x16_f16 v[119:126], v[79:86], v[103:110], v[119:126]
	v_or_b32_e32 v71, 20, v135
	v_or_b32_e32 v72, 22, v135
	s_delay_alu instid0(VALU_DEP_4)
	v_wmma_f32_16x16x16_f16 v[127:134], v[87:94], v[111:118], v[127:134]
	v_or_b32_e32 v73, 24, v135
	v_wmma_f32_16x16x16_f16 v[119:126], v[95:102], v[111:118], v[119:126]
	v_or_b32_e32 v74, 26, v135
	v_cmp_gt_i32_e64 s12, s18, v71
	v_dual_mul_f32 v83, s19, v128 :: v_dual_mul_f32 v84, s19, v127
	s_delay_alu instid0(VALU_DEP_4) | instskip(SKIP_1) | instid1(VALU_DEP_3)
	v_dual_mul_f32 v81, s19, v130 :: v_dual_mul_f32 v92, s19, v119
	v_mul_f32_e32 v82, s19, v129
	v_cndmask_b32_e64 v83, 0xff7fffff, v83, s3
	s_delay_alu instid0(VALU_DEP_4)
	v_cndmask_b32_e32 v84, 0xff7fffff, v84, vcc_lo
	v_dual_mul_f32 v79, s19, v132 :: v_dual_mul_f32 v90, s19, v121
	v_mul_f32_e32 v80, s19, v131
	v_cndmask_b32_e64 v82, 0xff7fffff, v82, s4
	v_cndmask_b32_e64 v81, 0xff7fffff, v81, s5
	v_max3_f32 v83, v84, 0xff7fffff, v83
	v_dual_mul_f32 v77, s19, v134 :: v_dual_mul_f32 v88, s19, v123
	v_mul_f32_e32 v78, s19, v133
	v_cndmask_b32_e64 v80, 0xff7fffff, v80, s6
	v_cndmask_b32_e64 v79, 0xff7fffff, v79, s7
	v_max3_f32 v81, v83, v82, v81
	v_mul_f32_e32 v91, s19, v120
	v_cndmask_b32_e64 v78, 0xff7fffff, v78, s8
	v_cndmask_b32_e64 v77, 0xff7fffff, v77, s9
	v_mul_f32_e32 v89, s19, v122
	v_max3_f32 v79, v81, v80, v79
	v_cndmask_b32_e64 v80, 0xff7fffff, v92, s10
	v_cndmask_b32_e64 v81, 0xff7fffff, v91, s11
	v_cmp_gt_i32_e64 s13, s18, v72
	v_or_b32_e32 v75, 28, v135
	v_max3_f32 v77, v79, v78, v77
	v_or_b32_e32 v76, 30, v135
	v_mul_f32_e32 v87, s19, v124
	v_cndmask_b32_e64 v71, 0xff7fffff, v90, s12
	v_cndmask_b32_e64 v72, 0xff7fffff, v89, s13
	v_max3_f32 v77, v77, v80, v81
	v_cmp_gt_i32_e64 s15, s18, v73
	v_cmp_gt_i32_e64 s16, s18, v74
	v_dual_mul_f32 v85, s19, v126 :: v_dual_mul_f32 v86, s19, v125
	s_delay_alu instid0(VALU_DEP_4) | instskip(NEXT) | instid1(VALU_DEP_4)
	v_max3_f32 v71, v77, v71, v72
	v_cndmask_b32_e64 v73, 0xff7fffff, v88, s15
	s_delay_alu instid0(VALU_DEP_4) | instskip(SKIP_2) | instid1(VALU_DEP_3)
	v_cndmask_b32_e64 v74, 0xff7fffff, v87, s16
	v_cmp_gt_i32_e64 s17, s18, v75
	v_cmp_gt_i32_e64 s18, s18, v76
	v_max3_f32 v71, v71, v73, v74
	s_delay_alu instid0(VALU_DEP_3) | instskip(NEXT) | instid1(VALU_DEP_3)
	v_cndmask_b32_e64 v72, 0xff7fffff, v86, s17
	v_cndmask_b32_e64 v75, 0xff7fffff, v85, s18
	v_lshlrev_b32_e32 v73, 2, v136
	s_delay_alu instid0(VALU_DEP_2) | instskip(SKIP_3) | instid1(VALU_DEP_1)
	v_max3_f32 v71, v71, v72, v75
	ds_bpermute_b32 v72, v73, v71
	s_waitcnt lgkmcnt(0)
	v_max_f32_e32 v72, v72, v72
	v_max_f32_e32 v71, v71, v72
	s_delay_alu instid0(VALU_DEP_1)
	v_fma_f32 v72, s19, v127, -v71
	v_fma_f32 v74, s19, v128, -v71
	;; [unrolled: 1-line block ×5, first 2 shown]
	v_mul_f32_e32 v72, 0x3fb8aa3b, v72
	v_mul_f32_e32 v74, 0x3fb8aa3b, v74
	v_fma_f32 v80, s19, v133, -v71
	s_delay_alu instid0(VALU_DEP_4) | instskip(NEXT) | instid1(VALU_DEP_4)
	v_dual_mul_f32 v76, 0x3fb8aa3b, v76 :: v_dual_mul_f32 v77, 0x3fb8aa3b, v77
	v_exp_f32_e32 v72, v72
	s_delay_alu instid0(VALU_DEP_3) | instskip(NEXT) | instid1(VALU_DEP_2)
	v_exp_f32_e32 v74, v74
	v_mul_f32_e32 v82, 0x3fb8aa3b, v80
	s_delay_alu instid0(VALU_DEP_2) | instskip(SKIP_1) | instid1(VALU_DEP_1)
	v_exp_f32_e32 v76, v76
	v_exp_f32_e32 v77, v77
	;; [unrolled: 1-line block ×3, first 2 shown]
	v_cndmask_b32_e32 v79, 0, v72, vcc_lo
	v_fma_f32 v72, s19, v132, -v71
	v_mul_f32_e32 v75, 0x3fb8aa3b, v75
	v_cndmask_b32_e64 v78, 0, v74, s3
	s_delay_alu instid0(TRANS32_DEP_3)
	v_cndmask_b32_e64 v80, 0, v76, s5
	v_add_f32_e32 v74, 0, v79
	v_mul_f32_e32 v72, 0x3fb8aa3b, v72
	v_exp_f32_e32 v75, v75
	v_cndmask_b32_e64 v83, 0, v77, s6
	v_cndmask_b32_e64 v85, 0, v84, s8
	v_add_f32_e32 v74, v74, v78
	v_exp_f32_e32 v72, v72
	v_cmp_gt_u32_e64 s3, 16, v70
	s_waitcnt_depctr 0xfff
	v_cndmask_b32_e64 v81, 0, v75, s4
	v_cndmask_b32_e64 v82, 0, v72, s7
	s_delay_alu instid0(VALU_DEP_2) | instskip(NEXT) | instid1(VALU_DEP_1)
	v_add_f32_e32 v74, v74, v81
	v_add_f32_e32 v74, v74, v80
	s_delay_alu instid0(VALU_DEP_1) | instskip(SKIP_4) | instid1(VALU_DEP_4)
	v_add_f32_e32 v72, v74, v83
	v_fma_f32 v75, s19, v134, -v71
	v_fma_f32 v76, s19, v119, -v71
	v_fma_f32 v77, s19, v120, -v71
	v_fma_f32 v74, s19, v121, -v71
	v_dual_add_f32 v72, v72, v82 :: v_dual_mul_f32 v75, 0x3fb8aa3b, v75
	s_delay_alu instid0(VALU_DEP_3) | instskip(SKIP_1) | instid1(VALU_DEP_3)
	v_dual_mul_f32 v76, 0x3fb8aa3b, v76 :: v_dual_mul_f32 v77, 0x3fb8aa3b, v77
	v_fma_f32 v86, s19, v122, -v71
	v_add_f32_e32 v72, v72, v85
	s_delay_alu instid0(VALU_DEP_4) | instskip(NEXT) | instid1(VALU_DEP_3)
	v_exp_f32_e32 v75, v75
	v_exp_f32_e32 v76, v76
	;; [unrolled: 1-line block ×3, first 2 shown]
	v_mul_f32_e32 v86, 0x3fb8aa3b, v86
	s_delay_alu instid0(VALU_DEP_1) | instskip(SKIP_3) | instid1(TRANS32_DEP_3)
	v_exp_f32_e32 v88, v86
	v_cndmask_b32_e64 v84, 0, v75, s9
	v_fma_f32 v75, s19, v123, -v71
	v_mul_f32_e32 v74, 0x3fb8aa3b, v74
	v_cndmask_b32_e64 v87, 0, v76, s10
	v_fma_f32 v76, s19, v124, -v71
	s_delay_alu instid0(VALU_DEP_4) | instskip(NEXT) | instid1(VALU_DEP_4)
	v_dual_add_f32 v72, v72, v84 :: v_dual_mul_f32 v75, 0x3fb8aa3b, v75
	v_exp_f32_e32 v74, v74
	v_cndmask_b32_e64 v86, 0, v77, s11
	v_fma_f32 v77, s19, v125, -v71
	s_delay_alu instid0(VALU_DEP_3) | instskip(SKIP_3) | instid1(VALU_DEP_3)
	v_add_f32_e32 v72, v72, v87
	v_mul_f32_e32 v76, 0x3fb8aa3b, v76
	v_exp_f32_e32 v75, v75
	v_cndmask_b32_e64 v88, 0, v88, s13
	v_add_f32_e32 v72, v72, v86
	s_delay_alu instid0(VALU_DEP_3) | instskip(NEXT) | instid1(TRANS32_DEP_3)
	v_exp_f32_e32 v76, v76
	v_cndmask_b32_e64 v89, 0, v74, s12
	v_mul_f32_e32 v74, 0x3fb8aa3b, v77
	v_fma_f32 v77, s19, v126, -v71
	s_delay_alu instid0(VALU_DEP_3) | instskip(NEXT) | instid1(VALU_DEP_3)
	v_add_f32_e32 v72, v72, v89
	v_exp_f32_e32 v74, v74
	s_delay_alu instid0(TRANS32_DEP_3) | instskip(NEXT) | instid1(VALU_DEP_3)
	v_cndmask_b32_e64 v91, 0, v75, s15
	v_mul_f32_e32 v75, 0x3fb8aa3b, v77
	s_delay_alu instid0(TRANS32_DEP_2) | instskip(SKIP_1) | instid1(VALU_DEP_3)
	v_cndmask_b32_e64 v90, 0, v76, s16
	v_add_f32_e32 v72, v72, v88
	v_exp_f32_e32 v75, v75
	s_delay_alu instid0(VALU_DEP_1) | instskip(NEXT) | instid1(TRANS32_DEP_2)
	v_add_f32_e32 v72, v72, v91
	v_cndmask_b32_e64 v93, 0, v74, s17
	s_delay_alu instid0(VALU_DEP_2) | instskip(SKIP_3) | instid1(VALU_DEP_1)
	v_add_f32_e32 v72, v72, v90
	s_waitcnt_depctr 0xfff
	v_cndmask_b32_e64 v92, 0, v75, s18
	v_add_f32_e32 v72, v72, v93
	v_add_f32_e32 v72, v72, v92
	ds_bpermute_b32 v73, v73, v72
	s_and_saveexec_b32 s4, s3
	s_cbranch_execz .LBB898_12
; %bb.11:
	v_mul_u32_u24_e32 v70, 0x44, v69
	s_waitcnt lgkmcnt(0)
	v_add_f32_e32 v72, v72, v73
	s_delay_alu instid0(VALU_DEP_2) | instskip(NEXT) | instid1(VALU_DEP_1)
	v_lshl_add_u32 v70, v68, 2, v70
	v_add_nc_u32_e32 v70, 0x4000, v70
	ds_store_2addr_b32 v70, v71, v72 offset1:136
.LBB898_12:
	s_or_b32 exec_lo, exec_lo, s4
	v_lshlrev_b32_e32 v70, 2, v68
	s_load_b32 s36, s[0:1], 0x94
	s_waitcnt lgkmcnt(0)
	s_barrier
	buffer_gl0_inv
	v_add_nc_u32_e32 v98, 0x4000, v70
	v_cmp_eq_u32_e32 vcc_lo, 1, v69
	v_cmp_eq_u32_e64 s4, 2, v69
	v_cmp_eq_u32_e64 s5, 3, v69
	;; [unrolled: 1-line block ×3, first 2 shown]
	ds_load_2addr_b32 v[70:71], v98 offset1:17
	ds_load_2addr_b32 v[72:73], v98 offset0:34 offset1:51
	ds_load_2addr_b32 v[74:75], v98 offset0:68 offset1:85
	;; [unrolled: 1-line block ×3, first 2 shown]
	v_cmp_eq_u32_e64 s7, 5, v69
	v_cmp_eq_u32_e64 s8, 7, v69
	s_waitcnt lgkmcnt(3)
	v_max3_f32 v76, v70, 0xff7fffff, v71
	s_waitcnt lgkmcnt(2)
	s_delay_alu instid0(VALU_DEP_1) | instskip(SKIP_1) | instid1(VALU_DEP_1)
	v_max3_f32 v76, v76, v72, v73
	s_waitcnt lgkmcnt(1)
	v_max3_f32 v76, v76, v74, v75
	s_waitcnt lgkmcnt(0)
	s_delay_alu instid0(VALU_DEP_1) | instskip(NEXT) | instid1(VALU_DEP_1)
	v_max3_f32 v76, v76, v94, v95
	v_sub_f32_e32 v77, v71, v76
	ds_load_2addr_b32 v[96:97], v98 offset0:136 offset1:153
	v_sub_f32_e32 v74, v74, v76
	v_sub_f32_e32 v70, v70, v76
	;; [unrolled: 1-line block ×3, first 2 shown]
	v_dual_sub_f32 v72, v72, v76 :: v_dual_mul_f32 v77, 0x3fb8aa3b, v77
	s_delay_alu instid0(VALU_DEP_4) | instskip(NEXT) | instid1(VALU_DEP_4)
	v_mul_f32_e32 v103, 0x3fb8aa3b, v74
	v_mul_f32_e32 v99, 0x3fb8aa3b, v70
	ds_load_2addr_b32 v[70:71], v98 offset0:170 offset1:187
	v_dual_mul_f32 v101, 0x3fb8aa3b, v72 :: v_dual_mul_f32 v94, 0x3fb8aa3b, v94
	v_exp_f32_e32 v102, v77
	v_exp_f32_e32 v99, v99
	s_delay_alu instid0(VALU_DEP_1) | instskip(NEXT) | instid1(VALU_DEP_1)
	v_exp_f32_e32 v101, v101
	v_exp_f32_e32 v94, v94
	s_waitcnt lgkmcnt(1)
	s_delay_alu instid0(TRANS32_DEP_3)
	v_fma_f32 v77, v99, v96, 0
	v_sub_f32_e32 v100, v73, v76
	ds_load_2addr_b32 v[72:73], v98 offset0:204 offset1:221
	v_fmac_f32_e32 v77, v102, v97
	v_exp_f32_e32 v97, v103
	s_waitcnt lgkmcnt(1)
	s_delay_alu instid0(VALU_DEP_1)
	v_dual_fmac_f32 v77, v101, v70 :: v_dual_sub_f32 v96, v75, v76
	ds_load_2addr_b32 v[74:75], v98 offset0:238 offset1:255
	v_sub_f32_e32 v70, v95, v76
	s_waitcnt lgkmcnt(0)
	s_barrier
	v_mul_f32_e32 v96, 0x3fb8aa3b, v96
	buffer_gl0_inv
	v_exp_f32_e32 v95, v96
	v_mul_f32_e32 v100, 0x3fb8aa3b, v100
	s_delay_alu instid0(VALU_DEP_1) | instskip(SKIP_3) | instid1(VALU_DEP_2)
	v_exp_f32_e32 v100, v100
	s_waitcnt_depctr 0xfff
	v_dual_fmac_f32 v77, v100, v71 :: v_dual_mul_f32 v70, 0x3fb8aa3b, v70
	v_cndmask_b32_e32 v71, v99, v102, vcc_lo
	v_fmac_f32_e32 v77, v97, v72
	s_delay_alu instid0(VALU_DEP_3) | instskip(NEXT) | instid1(VALU_DEP_1)
	v_exp_f32_e32 v96, v70
	v_fmac_f32_e32 v77, v95, v73
	s_delay_alu instid0(VALU_DEP_1) | instskip(SKIP_2) | instid1(VALU_DEP_1)
	v_fmac_f32_e32 v77, v94, v74
	s_waitcnt_depctr 0xfff
	v_fmac_f32_e32 v77, v96, v75
	v_add_f32_e32 v74, 0x358637bd, v77
	s_delay_alu instid0(VALU_DEP_1) | instskip(SKIP_1) | instid1(VALU_DEP_2)
	v_div_scale_f32 v98, null, v74, v74, 1.0
	v_div_scale_f32 v99, vcc_lo, 1.0, v74, 1.0
	v_rcp_f32_e32 v103, v98
	s_waitcnt_depctr 0xfff
	v_fma_f32 v70, -v98, v103, 1.0
	s_delay_alu instid0(VALU_DEP_1) | instskip(SKIP_2) | instid1(VALU_DEP_2)
	v_fmac_f32_e32 v103, v70, v103
	v_cndmask_b32_e64 v70, v71, v101, s4
	v_cmp_eq_u32_e64 s4, 6, v69
	v_cndmask_b32_e64 v71, v70, v100, s5
	s_delay_alu instid0(VALU_DEP_4) | instskip(NEXT) | instid1(VALU_DEP_2)
	v_dual_mul_f32 v101, v99, v103 :: v_dual_lshlrev_b32 v70, 2, v66
	v_cndmask_b32_e64 v71, v71, v97, s6
	s_delay_alu instid0(VALU_DEP_2) | instskip(NEXT) | instid1(VALU_DEP_3)
	v_or_b32_e32 v72, 1, v70
	v_fma_f32 v100, -v98, v101, v99
	v_cmp_eq_u32_e64 s5, 1, v70
	v_cmp_eq_u32_e64 s6, 2, v70
	v_cndmask_b32_e64 v95, v71, v95, s7
	v_or_b32_e32 v71, 3, v70
	v_fmac_f32_e32 v101, v100, v103
	v_cmp_eq_u32_e64 s10, 1, v72
	v_cmp_eq_u32_e64 s13, 2, v72
	v_cndmask_b32_e64 v94, v95, v94, s4
	v_cmp_eq_u32_e64 s12, 1, v71
	v_fma_f32 v97, -v98, v101, v99
	v_cmp_eq_u32_e64 s17, 2, v71
	v_cmp_eq_u32_e64 s15, 3, v72
	v_cndmask_b32_e64 v94, v94, v96, s8
	v_cmp_eq_u32_e64 s19, 3, v71
	v_div_fmas_f32 v95, v97, v103, v101
	v_cmp_eq_u32_e32 vcc_lo, 3, v70
	v_cmp_eq_u32_e64 s4, 4, v70
	v_cmp_eq_u32_e64 s20, 4, v72
	;; [unrolled: 1-line block ×3, first 2 shown]
	v_div_fixup_f32 v95, v95, v74, 1.0
	v_lshlrev_b32_e32 v73, 6, v68
	v_cmp_eq_u32_e64 s7, 5, v70
	v_cmp_eq_u32_e64 s21, 5, v72
	;; [unrolled: 1-line block ×3, first 2 shown]
	v_mul_f32_e32 v102, v94, v95
	v_lshl_or_b32 v75, v69, 11, v73
	v_or_b32_e32 v69, 2, v70
	v_cmp_eq_u32_e64 s26, 6, v72
	v_cmp_eq_u32_e64 s28, 6, v71
	v_fma_mixlo_f16 v94, v102, v79, 0
	v_fma_mixlo_f16 v95, v102, v81, 0
	;; [unrolled: 1-line block ×8, first 2 shown]
	v_lshl_or_b32 v74, v66, 4, v75
	v_fma_mixhi_f16 v94, v102, v78, 0
	v_fma_mixhi_f16 v95, v102, v80, 0
	v_fma_mixhi_f16 v96, v102, v82, 0
	v_fma_mixhi_f16 v97, v102, v84, 0
	v_fma_mixhi_f16 v98, v102, v86, 0
	v_fma_mixhi_f16 v99, v102, v88, 0
	v_fma_mixhi_f16 v100, v102, v90, 0
	v_fma_mixhi_f16 v101, v102, v92, 0
	ds_store_b128 v74, v[94:97]
	ds_store_b128 v74, v[98:101] offset:1024
	s_waitcnt lgkmcnt(0)
	s_barrier
	buffer_gl0_inv
	ds_load_b128 v[78:81], v75
	ds_load_b128 v[82:85], v75 offset:16
	ds_load_b128 v[86:89], v75 offset:1024
	;; [unrolled: 1-line block ×3, first 2 shown]
	v_cmp_eq_u32_e64 s11, 1, v69
	v_cmp_eq_u32_e64 s16, 2, v69
	;; [unrolled: 1-line block ×11, first 2 shown]
	s_waitcnt lgkmcnt(3)
	v_lshrrev_b32_e32 v94, 16, v78
	s_waitcnt lgkmcnt(2)
	v_lshrrev_b32_e32 v98, 16, v82
	;; [unrolled: 2-line block ×4, first 2 shown]
	v_lshrrev_b32_e32 v95, 16, v79
	v_cndmask_b32_e64 v110, v78, v94, s5
	v_cndmask_b32_e64 v111, v82, v98, s5
	;; [unrolled: 1-line block ×8, first 2 shown]
	v_lshrrev_b32_e32 v99, 16, v83
	v_cndmask_b32_e64 v94, v86, v102, s5
	v_cndmask_b32_e64 v98, v90, v106, s5
	;; [unrolled: 1-line block ×15, first 2 shown]
	v_lshrrev_b32_e32 v103, 16, v87
	v_lshrrev_b32_e32 v107, 16, v91
	v_cndmask_b32_e64 v113, v115, v83, s16
	v_cndmask_b32_e64 v82, v94, v87, s6
	;; [unrolled: 1-line block ×7, first 2 shown]
	v_cndmask_b32_e32 v90, v102, v95, vcc_lo
	v_cndmask_b32_e32 v102, v106, v99, vcc_lo
	v_cndmask_b32_e64 v106, v110, v95, s15
	v_cndmask_b32_e64 v110, v111, v99, s15
	;; [unrolled: 1-line block ×4, first 2 shown]
	v_lshrrev_b32_e32 v96, 16, v80
	v_lshrrev_b32_e32 v100, 16, v84
	v_cndmask_b32_e64 v111, v112, v95, s18
	v_cndmask_b32_e64 v112, v113, v99, s18
	v_cndmask_b32_e32 v82, v82, v103, vcc_lo
	v_cndmask_b32_e32 v83, v83, v107, vcc_lo
	v_cndmask_b32_e64 v94, v94, v103, s15
	v_cndmask_b32_e64 v90, v90, v80, s4
	v_cndmask_b32_e64 v95, v102, v84, s4
	v_cndmask_b32_e64 v99, v106, v80, s20
	v_cndmask_b32_e64 v102, v110, v84, s20
	v_cndmask_b32_e64 v78, v78, v80, s23
	v_cndmask_b32_e64 v79, v79, v84, s23
	v_lshrrev_b32_e32 v104, 16, v88
	v_cndmask_b32_e64 v106, v111, v80, s22
	v_cndmask_b32_e64 v110, v112, v84, s22
	;; [unrolled: 1-line block ×11, first 2 shown]
	v_lshrrev_b32_e32 v97, 16, v81
	v_lshrrev_b32_e32 v101, 16, v85
	v_cndmask_b32_e64 v99, v106, v96, s24
	v_cndmask_b32_e64 v102, v110, v100, s24
	;; [unrolled: 1-line block ×7, first 2 shown]
	v_lshrrev_b32_e32 v105, 16, v89
	v_cndmask_b32_e64 v80, v80, v104, s7
	v_cndmask_b32_e64 v84, v84, v81, s8
	;; [unrolled: 1-line block ×16, first 2 shown]
	v_perm_b32 v81, v79, v78, 0x5040100
	v_perm_b32 v79, v95, v85, 0x5040100
	v_cndmask_b32_e64 v78, v119, v91, s16
	v_cndmask_b32_e64 v85, v117, v91, s13
	;; [unrolled: 1-line block ×3, first 2 shown]
	v_perm_b32 v80, v94, v90, 0x5040100
	v_cndmask_b32_e64 v90, v98, v103, s18
	v_cndmask_b32_e64 v86, v86, v103, s19
	;; [unrolled: 1-line block ×5, first 2 shown]
	v_lshrrev_b32_e32 v108, 16, v92
	v_cndmask_b32_e64 v90, v90, v88, s22
	v_cndmask_b32_e64 v86, v86, v88, s23
	;; [unrolled: 1-line block ×11, first 2 shown]
	v_lshrrev_b32_e32 v109, 16, v93
	v_cndmask_b32_e64 v82, v82, v93, s8
	v_cndmask_b32_e64 v88, v88, v89, s27
	v_cndmask_b32_e64 v86, v86, v89, s28
	v_cndmask_b32_e64 v87, v87, v93, s28
	v_cndmask_b32_e64 v78, v78, v93, s27
	v_cndmask_b32_e64 v85, v85, v93, s26
	v_cndmask_b32_e64 v88, v88, v105, s29
	v_cndmask_b32_e64 v86, v86, v105, s30
	v_cndmask_b32_e64 v87, v87, v109, s30
	v_cndmask_b32_e64 v89, v78, v109, s29
	v_cndmask_b32_e64 v90, v85, v109, s31
	v_cndmask_b32_e64 v82, v82, v109, s9
	v_perm_b32 v78, v84, v83, 0x5040100
	v_perm_b32 v85, v87, v86, 0x5040100
	;; [unrolled: 1-line block ×5, first 2 shown]
	s_mul_i32 s9, s35, 9
	s_mov_b32 s4, exec_lo
	ds_store_b128 v74, v[78:81]
	ds_store_b128 v74, v[82:85] offset:1024
	v_cmpx_gt_u32_e32 9, v0
	s_cbranch_execz .LBB898_14
; %bb.13:
	s_mul_i32 s5, s9, s34
	s_load_b128 s[16:19], s[0:1], 0x58
	v_add3_u32 v68, s5, s33, v68
	s_delay_alu instid0(VALU_DEP_1) | instskip(NEXT) | instid1(VALU_DEP_1)
	v_mad_u64_u32 v[78:79], null, v68, s36, s[14:15]
	v_ashrrev_i32_e32 v79, 31, v78
	s_delay_alu instid0(VALU_DEP_1) | instskip(SKIP_1) | instid1(VALU_DEP_1)
	v_lshlrev_b64 v[78:79], 2, v[78:79]
	s_waitcnt lgkmcnt(0)
	v_add_co_u32 v80, vcc_lo, s18, v78
	s_delay_alu instid0(VALU_DEP_2)
	v_add_co_ci_u32_e32 v81, vcc_lo, s19, v79, vcc_lo
	v_add_co_u32 v78, vcc_lo, s16, v78
	v_add_co_ci_u32_e32 v79, vcc_lo, s17, v79, vcc_lo
	global_store_b32 v[80:81], v76, off
	global_store_b32 v[78:79], v77, off
.LBB898_14:
	s_or_b32 exec_lo, exec_lo, s4
	s_waitcnt lgkmcnt(0)
	s_waitcnt_vscnt null, 0x0
	s_barrier
	buffer_gl0_inv
	ds_load_b128 v[84:87], v73
	ds_load_b128 v[88:91], v73 offset:16
	ds_load_b128 v[96:99], v73 offset:2064
	;; [unrolled: 1-line block ×5, first 2 shown]
	v_cmp_eq_u32_e32 vcc_lo, 1, v70
	v_mov_b32_e32 v76, 0
	ds_load_b128 v[112:115], v73 offset:6160
	ds_load_b128 v[108:111], v73 offset:6144
	;; [unrolled: 1-line block ×4, first 2 shown]
	v_cmp_eq_u32_e64 s5, 1, v69
	v_cmp_eq_u32_e64 s4, 1, v72
	;; [unrolled: 1-line block ×3, first 2 shown]
	v_mov_b32_e32 v77, v76
	v_mov_b32_e32 v78, v76
	;; [unrolled: 1-line block ×7, first 2 shown]
	v_cmp_eq_u32_e64 s7, 3, v72
	v_cmp_eq_u32_e64 s8, 7, v72
	s_waitcnt lgkmcnt(8)
	s_delay_alu instid0(VALU_DEP_3)
	v_wmma_f32_16x16x16_f16 v[76:83], v[49:56], v[84:91], v[76:83]
	ds_load_b128 v[53:56], v73 offset:10256
	ds_load_b128 v[49:52], v73 offset:10240
	s_waitcnt lgkmcnt(8)
	v_wmma_f32_16x16x16_f16 v[76:83], v[41:48], v[92:99], v[76:83]
	ds_load_b128 v[45:48], v73 offset:12304
	ds_load_b128 v[41:44], v73 offset:12288
	s_waitcnt lgkmcnt(8)
	;; [unrolled: 4-line block ×3, first 2 shown]
	s_barrier
	buffer_gl0_inv
	v_wmma_f32_16x16x16_f16 v[76:83], v[1:8], v[108:115], v[76:83]
	s_delay_alu instid0(VALU_DEP_1) | instskip(NEXT) | instid1(VALU_DEP_1)
	v_wmma_f32_16x16x16_f16 v[76:83], v[9:16], v[116:123], v[76:83]
	v_wmma_f32_16x16x16_f16 v[76:83], v[17:24], v[49:56], v[76:83]
	s_delay_alu instid0(VALU_DEP_1) | instskip(NEXT) | instid1(VALU_DEP_1)
	v_wmma_f32_16x16x16_f16 v[76:83], v[25:32], v[41:48], v[76:83]
	v_wmma_f32_16x16x16_f16 v[76:83], v[57:64], v[33:40], v[76:83]
	s_delay_alu instid0(VALU_DEP_1) | instskip(NEXT) | instid1(VALU_DEP_2)
	v_cvt_f16_f32_e32 v1, v76
	v_cvt_f16_f32_e32 v2, v77
	s_delay_alu instid0(VALU_DEP_3) | instskip(NEXT) | instid1(VALU_DEP_4)
	v_cvt_f16_f32_e32 v3, v78
	v_cvt_f16_f32_e32 v4, v79
	;; [unrolled: 1-line block ×6, first 2 shown]
	v_pack_b32_f16 v1, v1, v2
	v_pack_b32_f16 v2, v3, v4
	;; [unrolled: 1-line block ×3, first 2 shown]
	s_delay_alu instid0(VALU_DEP_4)
	v_pack_b32_f16 v4, v7, v8
	ds_store_b128 v74, v[1:4]
	s_waitcnt lgkmcnt(0)
	s_barrier
	buffer_gl0_inv
	ds_load_b128 v[1:4], v75
	ds_load_b128 v[5:8], v75 offset:16
	s_waitcnt lgkmcnt(1)
	v_lshrrev_b32_e32 v9, 16, v1
	s_waitcnt lgkmcnt(0)
	v_lshrrev_b32_e32 v13, 16, v5
	v_lshrrev_b32_e32 v10, 16, v2
	;; [unrolled: 1-line block ×4, first 2 shown]
	v_cndmask_b32_e32 v17, v1, v9, vcc_lo
	v_cndmask_b32_e32 v18, v5, v13, vcc_lo
	v_cndmask_b32_e64 v21, v1, v9, s5
	v_cmp_eq_u32_e32 vcc_lo, 1, v71
	v_cndmask_b32_e64 v22, v5, v13, s5
	v_cmp_eq_u32_e64 s5, 2, v70
	v_cndmask_b32_e64 v19, v1, v9, s4
	v_cndmask_b32_e64 v20, v5, v13, s4
	v_cndmask_b32_e32 v1, v1, v9, vcc_lo
	v_cmp_eq_u32_e64 s4, 2, v71
	v_cndmask_b32_e32 v5, v5, v13, vcc_lo
	v_cndmask_b32_e64 v9, v17, v2, s5
	v_cmp_eq_u32_e32 vcc_lo, 3, v70
	v_cndmask_b32_e64 v13, v18, v6, s5
	v_cmp_eq_u32_e64 s5, 2, v69
	v_cndmask_b32_e64 v17, v19, v2, s6
	v_cndmask_b32_e64 v18, v20, v6, s6
	v_cmp_eq_u32_e64 s6, 3, v69
	v_cndmask_b32_e64 v1, v1, v2, s4
	v_cndmask_b32_e64 v19, v21, v2, s5
	;; [unrolled: 1-line block ×4, first 2 shown]
	v_cndmask_b32_e32 v5, v9, v10, vcc_lo
	v_cndmask_b32_e32 v6, v13, v14, vcc_lo
	v_cmp_eq_u32_e32 vcc_lo, 3, v71
	v_cndmask_b32_e64 v9, v17, v10, s7
	v_cndmask_b32_e64 v13, v18, v14, s7
	;; [unrolled: 1-line block ×3, first 2 shown]
	v_cmp_eq_u32_e64 s5, 4, v70
	v_cndmask_b32_e32 v1, v1, v10, vcc_lo
	v_cndmask_b32_e32 v2, v2, v14, vcc_lo
	v_cmp_eq_u32_e32 vcc_lo, 4, v72
	v_lshrrev_b32_e32 v15, 16, v7
	v_lshrrev_b32_e32 v16, 16, v8
	v_cndmask_b32_e64 v17, v19, v10, s6
	v_cmp_eq_u32_e64 s4, 4, v71
	v_cndmask_b32_e64 v5, v5, v3, s5
	v_cndmask_b32_e64 v6, v6, v7, s5
	v_cndmask_b32_e32 v9, v9, v3, vcc_lo
	v_cmp_eq_u32_e64 s5, 5, v72
	v_cndmask_b32_e32 v10, v13, v7, vcc_lo
	v_cmp_eq_u32_e32 vcc_lo, 4, v69
	v_cmp_eq_u32_e64 s6, 5, v70
	v_cndmask_b32_e64 v2, v2, v7, s4
	v_cndmask_b32_e64 v9, v9, v11, s5
	;; [unrolled: 1-line block ×3, first 2 shown]
	v_cndmask_b32_e32 v13, v17, v3, vcc_lo
	v_cmp_eq_u32_e64 s5, 5, v69
	v_cndmask_b32_e32 v14, v18, v7, vcc_lo
	v_cndmask_b32_e64 v1, v1, v3, s4
	v_cmp_eq_u32_e32 vcc_lo, 5, v71
	v_lshrrev_b32_e32 v12, 16, v4
	v_cndmask_b32_e64 v13, v13, v11, s5
	v_cndmask_b32_e64 v3, v14, v15, s5
	v_cmp_eq_u32_e64 s5, 6, v71
	v_cndmask_b32_e32 v1, v1, v11, vcc_lo
	v_cndmask_b32_e64 v5, v5, v11, s6
	v_cmp_eq_u32_e64 s7, 6, v70
	v_cndmask_b32_e64 v6, v6, v15, s6
	v_cmp_eq_u32_e64 s6, 6, v72
	v_cmp_eq_u32_e64 s4, 6, v69
	v_cndmask_b32_e64 v1, v1, v4, s5
	v_cndmask_b32_e32 v2, v2, v15, vcc_lo
	v_cmp_eq_u32_e32 vcc_lo, 7, v71
	v_cndmask_b32_e64 v5, v5, v4, s7
	v_cndmask_b32_e64 v9, v9, v4, s6
	;; [unrolled: 1-line block ×3, first 2 shown]
	v_cmp_eq_u32_e64 s7, 7, v70
	v_cndmask_b32_e32 v1, v1, v12, vcc_lo
	v_cndmask_b32_e64 v7, v13, v4, s4
	v_cndmask_b32_e64 v3, v3, v8, s4
	;; [unrolled: 1-line block ×3, first 2 shown]
	v_cmp_eq_u32_e64 s4, 7, v69
	v_cndmask_b32_e64 v4, v10, v8, s6
	v_cndmask_b32_e64 v5, v5, v12, s7
	;; [unrolled: 1-line block ×3, first 2 shown]
	v_cndmask_b32_e32 v2, v2, v16, vcc_lo
	v_cndmask_b32_e64 v7, v7, v12, s4
	v_cndmask_b32_e64 v3, v3, v16, s4
	;; [unrolled: 1-line block ×4, first 2 shown]
	v_cmp_gt_u32_e32 vcc_lo, 32, v0
	v_perm_b32 v4, v2, v1, 0x5040100
	v_perm_b32 v3, v3, v7, 0x5040100
	;; [unrolled: 1-line block ×4, first 2 shown]
	s_and_b32 s2, vcc_lo, s2
	ds_store_b128 v74, v[1:4]
	s_waitcnt lgkmcnt(0)
	s_barrier
	buffer_gl0_inv
	s_and_saveexec_b32 s4, s2
	s_cbranch_execz .LBB898_2
; %bb.15:
	s_load_b64 s[4:5], s[0:1], 0x68
	v_lshlrev_b32_e32 v0, 10, v0
	v_lshlrev_b32_e32 v1, 4, v67
	s_lshl_b32 s0, s36, 6
	v_add_nc_u32_e32 v2, s33, v66
	s_mul_i32 s1, s0, s34
	s_delay_alu instid0(SALU_CYCLE_1) | instskip(SKIP_1) | instid1(VALU_DEP_2)
	s_mul_i32 s6, s1, s9
	v_and_or_b32 v0, 0x3800, v0, v1
	v_mul_lo_u32 v1, v2, s0
	s_ashr_i32 s7, s6, 31
	v_add_nc_u32_e32 v3, 2, v2
	s_lshl_b64 s[6:7], s[6:7], 1
	v_add_nc_u32_e32 v4, 4, v2
	v_add_nc_u32_e32 v5, 6, v2
	v_lshl_or_b32 v15, v66, 6, v0
	v_mul_lo_u32 v3, v3, s0
	v_ashrrev_i32_e32 v2, 31, v1
	v_mul_lo_u32 v19, v4, s0
	v_mul_lo_u32 v21, v5, s0
	s_waitcnt lgkmcnt(0)
	s_add_u32 s1, s4, s6
	s_addc_u32 s2, s5, s7
	s_lshl_b32 s4, s14, 6
	v_lshlrev_b64 v[5:6], 1, v[1:2]
	s_ashr_i32 s5, s4, 31
	v_ashrrev_i32_e32 v4, 31, v3
	s_lshl_b64 s[4:5], s[4:5], 1
	v_ashrrev_i32_e32 v20, 31, v19
	s_add_u32 s1, s1, s4
	s_addc_u32 s2, s2, s5
	v_add_co_u32 v1, s1, s1, v65
	s_delay_alu instid0(VALU_DEP_1) | instskip(SKIP_1) | instid1(VALU_DEP_3)
	v_add_co_ci_u32_e64 v2, null, s2, 0, s1
	v_lshlrev_b64 v[25:26], 1, v[3:4]
	v_add_co_u32 v23, vcc_lo, v1, v5
	s_delay_alu instid0(VALU_DEP_3)
	v_add_co_ci_u32_e32 v24, vcc_lo, v2, v6, vcc_lo
	ds_load_b128 v[3:6], v15
	ds_load_b128 v[7:10], v15 offset:128
	ds_load_b128 v[11:14], v15 offset:256
	;; [unrolled: 1-line block ×3, first 2 shown]
	v_ashrrev_i32_e32 v22, 31, v21
	v_lshlrev_b64 v[19:20], 1, v[19:20]
	v_add_co_u32 v25, vcc_lo, v1, v25
	v_add_co_ci_u32_e32 v26, vcc_lo, v2, v26, vcc_lo
	s_delay_alu instid0(VALU_DEP_4) | instskip(NEXT) | instid1(VALU_DEP_4)
	v_lshlrev_b64 v[21:22], 1, v[21:22]
	v_add_co_u32 v19, vcc_lo, v1, v19
	v_add_co_ci_u32_e32 v20, vcc_lo, v2, v20, vcc_lo
	s_delay_alu instid0(VALU_DEP_3) | instskip(NEXT) | instid1(VALU_DEP_4)
	v_add_co_u32 v21, vcc_lo, v1, v21
	v_add_co_ci_u32_e32 v22, vcc_lo, v2, v22, vcc_lo
	s_waitcnt lgkmcnt(3)
	global_store_b128 v[23:24], v[3:6], off
	s_waitcnt lgkmcnt(2)
	global_store_b128 v[25:26], v[7:10], off
	;; [unrolled: 2-line block ×4, first 2 shown]
	s_and_b32 exec_lo, exec_lo, s3
	s_cbranch_execz .LBB898_2
; %bb.16:
	ds_load_b128 v[3:6], v0 offset:512
	s_add_i32 s1, s33, 8
	s_delay_alu instid0(SALU_CYCLE_1) | instskip(NEXT) | instid1(SALU_CYCLE_1)
	s_mul_i32 s0, s1, s0
	s_ashr_i32 s1, s0, 31
	s_delay_alu instid0(SALU_CYCLE_1) | instskip(NEXT) | instid1(SALU_CYCLE_1)
	s_lshl_b64 s[0:1], s[0:1], 1
	v_add_co_u32 v0, vcc_lo, v1, s0
	v_add_co_ci_u32_e32 v1, vcc_lo, s1, v2, vcc_lo
	s_waitcnt lgkmcnt(0)
	global_store_b128 v[0:1], v[3:6], off
	s_nop 0
	s_sendmsg sendmsg(MSG_DEALLOC_VGPRS)
	s_endpgm
	.section	.rodata,"a",@progbits
	.p2align	6, 0x0
	.amdhsa_kernel _Z39paged_attention_ll4mi_QKV_mfma16_kernelIDF16_hLN4vllm18Fp8KVCacheDataTypeE1EDF16_Li32ELi64ELi256ELb1ELi9EL8MFMAType1EEvPKT_PKT0_S8_ifPKiSA_SA_iPKfiiiPfSD_PS3_PT2_iSC_SC_
		.amdhsa_group_segment_fixed_size 17472
		.amdhsa_private_segment_fixed_size 0
		.amdhsa_kernarg_size 400
		.amdhsa_user_sgpr_count 13
		.amdhsa_user_sgpr_dispatch_ptr 0
		.amdhsa_user_sgpr_queue_ptr 0
		.amdhsa_user_sgpr_kernarg_segment_ptr 1
		.amdhsa_user_sgpr_dispatch_id 0
		.amdhsa_user_sgpr_private_segment_size 0
		.amdhsa_wavefront_size32 1
		.amdhsa_uses_dynamic_stack 0
		.amdhsa_enable_private_segment 0
		.amdhsa_system_sgpr_workgroup_id_x 1
		.amdhsa_system_sgpr_workgroup_id_y 1
		.amdhsa_system_sgpr_workgroup_id_z 1
		.amdhsa_system_sgpr_workgroup_info 0
		.amdhsa_system_vgpr_workitem_id 0
		.amdhsa_next_free_vgpr 146
		.amdhsa_next_free_sgpr 37
		.amdhsa_reserve_vcc 1
		.amdhsa_float_round_mode_32 0
		.amdhsa_float_round_mode_16_64 0
		.amdhsa_float_denorm_mode_32 3
		.amdhsa_float_denorm_mode_16_64 3
		.amdhsa_dx10_clamp 1
		.amdhsa_ieee_mode 1
		.amdhsa_fp16_overflow 0
		.amdhsa_workgroup_processor_mode 1
		.amdhsa_memory_ordered 1
		.amdhsa_forward_progress 0
		.amdhsa_shared_vgpr_count 0
		.amdhsa_exception_fp_ieee_invalid_op 0
		.amdhsa_exception_fp_denorm_src 0
		.amdhsa_exception_fp_ieee_div_zero 0
		.amdhsa_exception_fp_ieee_overflow 0
		.amdhsa_exception_fp_ieee_underflow 0
		.amdhsa_exception_fp_ieee_inexact 0
		.amdhsa_exception_int_div_zero 0
	.end_amdhsa_kernel
	.section	.text._Z39paged_attention_ll4mi_QKV_mfma16_kernelIDF16_hLN4vllm18Fp8KVCacheDataTypeE1EDF16_Li32ELi64ELi256ELb1ELi9EL8MFMAType1EEvPKT_PKT0_S8_ifPKiSA_SA_iPKfiiiPfSD_PS3_PT2_iSC_SC_,"axG",@progbits,_Z39paged_attention_ll4mi_QKV_mfma16_kernelIDF16_hLN4vllm18Fp8KVCacheDataTypeE1EDF16_Li32ELi64ELi256ELb1ELi9EL8MFMAType1EEvPKT_PKT0_S8_ifPKiSA_SA_iPKfiiiPfSD_PS3_PT2_iSC_SC_,comdat
.Lfunc_end898:
	.size	_Z39paged_attention_ll4mi_QKV_mfma16_kernelIDF16_hLN4vllm18Fp8KVCacheDataTypeE1EDF16_Li32ELi64ELi256ELb1ELi9EL8MFMAType1EEvPKT_PKT0_S8_ifPKiSA_SA_iPKfiiiPfSD_PS3_PT2_iSC_SC_, .Lfunc_end898-_Z39paged_attention_ll4mi_QKV_mfma16_kernelIDF16_hLN4vllm18Fp8KVCacheDataTypeE1EDF16_Li32ELi64ELi256ELb1ELi9EL8MFMAType1EEvPKT_PKT0_S8_ifPKiSA_SA_iPKfiiiPfSD_PS3_PT2_iSC_SC_
                                        ; -- End function
	.section	.AMDGPU.csdata,"",@progbits
; Kernel info:
; codeLenInByte = 6584
; NumSgprs: 39
; NumVgprs: 146
; ScratchSize: 0
; MemoryBound: 0
; FloatMode: 240
; IeeeMode: 1
; LDSByteSize: 17472 bytes/workgroup (compile time only)
; SGPRBlocks: 4
; VGPRBlocks: 18
; NumSGPRsForWavesPerEU: 39
; NumVGPRsForWavesPerEU: 146
; Occupancy: 9
; WaveLimiterHint : 1
; COMPUTE_PGM_RSRC2:SCRATCH_EN: 0
; COMPUTE_PGM_RSRC2:USER_SGPR: 13
; COMPUTE_PGM_RSRC2:TRAP_HANDLER: 0
; COMPUTE_PGM_RSRC2:TGID_X_EN: 1
; COMPUTE_PGM_RSRC2:TGID_Y_EN: 1
; COMPUTE_PGM_RSRC2:TGID_Z_EN: 1
; COMPUTE_PGM_RSRC2:TIDIG_COMP_CNT: 0
	.section	.text._Z39paged_attention_ll4mi_QKV_mfma16_kernelIDF16_hLN4vllm18Fp8KVCacheDataTypeE1EDF16_Li32ELi64ELi256ELb1ELi10EL8MFMAType1EEvPKT_PKT0_S8_ifPKiSA_SA_iPKfiiiPfSD_PS3_PT2_iSC_SC_,"axG",@progbits,_Z39paged_attention_ll4mi_QKV_mfma16_kernelIDF16_hLN4vllm18Fp8KVCacheDataTypeE1EDF16_Li32ELi64ELi256ELb1ELi10EL8MFMAType1EEvPKT_PKT0_S8_ifPKiSA_SA_iPKfiiiPfSD_PS3_PT2_iSC_SC_,comdat
	.protected	_Z39paged_attention_ll4mi_QKV_mfma16_kernelIDF16_hLN4vllm18Fp8KVCacheDataTypeE1EDF16_Li32ELi64ELi256ELb1ELi10EL8MFMAType1EEvPKT_PKT0_S8_ifPKiSA_SA_iPKfiiiPfSD_PS3_PT2_iSC_SC_ ; -- Begin function _Z39paged_attention_ll4mi_QKV_mfma16_kernelIDF16_hLN4vllm18Fp8KVCacheDataTypeE1EDF16_Li32ELi64ELi256ELb1ELi10EL8MFMAType1EEvPKT_PKT0_S8_ifPKiSA_SA_iPKfiiiPfSD_PS3_PT2_iSC_SC_
	.globl	_Z39paged_attention_ll4mi_QKV_mfma16_kernelIDF16_hLN4vllm18Fp8KVCacheDataTypeE1EDF16_Li32ELi64ELi256ELb1ELi10EL8MFMAType1EEvPKT_PKT0_S8_ifPKiSA_SA_iPKfiiiPfSD_PS3_PT2_iSC_SC_
	.p2align	8
	.type	_Z39paged_attention_ll4mi_QKV_mfma16_kernelIDF16_hLN4vllm18Fp8KVCacheDataTypeE1EDF16_Li32ELi64ELi256ELb1ELi10EL8MFMAType1EEvPKT_PKT0_S8_ifPKiSA_SA_iPKfiiiPfSD_PS3_PT2_iSC_SC_,@function
_Z39paged_attention_ll4mi_QKV_mfma16_kernelIDF16_hLN4vllm18Fp8KVCacheDataTypeE1EDF16_Li32ELi64ELi256ELb1ELi10EL8MFMAType1EEvPKT_PKT0_S8_ifPKiSA_SA_iPKfiiiPfSD_PS3_PT2_iSC_SC_: ; @_Z39paged_attention_ll4mi_QKV_mfma16_kernelIDF16_hLN4vllm18Fp8KVCacheDataTypeE1EDF16_Li32ELi64ELi256ELb1ELi10EL8MFMAType1EEvPKT_PKT0_S8_ifPKiSA_SA_iPKfiiiPfSD_PS3_PT2_iSC_SC_
; %bb.0:
	s_load_b64 s[2:3], s[0:1], 0x30
	s_mov_b32 s34, s13
	s_waitcnt lgkmcnt(0)
	s_cmp_lg_u64 s[2:3], 0
	s_cselect_b32 s6, -1, 0
	s_ashr_i32 s35, s13, 31
	s_cmp_eq_u64 s[2:3], 0
	s_cbranch_scc1 .LBB899_3
; %bb.1:
	s_lshl_b64 s[4:5], s[34:35], 2
	s_delay_alu instid0(SALU_CYCLE_1) | instskip(SKIP_4) | instid1(SALU_CYCLE_1)
	s_add_u32 s4, s2, s4
	s_addc_u32 s5, s3, s5
	s_load_b64 s[4:5], s[4:5], 0x0
	s_waitcnt lgkmcnt(0)
	s_sub_i32 s4, s5, s4
	s_cmp_eq_u32 s4, 1
	s_cselect_b32 s4, -1, 0
	s_delay_alu instid0(SALU_CYCLE_1)
	s_and_not1_b32 vcc_lo, exec_lo, s4
	s_cbranch_vccz .LBB899_4
.LBB899_2:
	s_endpgm
.LBB899_3:
.LBB899_4:
	s_load_b64 s[8:9], s[0:1], 0x28
	s_lshl_b64 s[4:5], s[34:35], 2
	s_waitcnt lgkmcnt(0)
	s_add_u32 s8, s8, s4
	s_addc_u32 s9, s9, s5
	s_lshl_b32 s16, s14, 8
	s_load_b32 s18, s[8:9], 0x0
	s_waitcnt lgkmcnt(0)
	s_cmp_ge_i32 s16, s18
	s_cbranch_scc1 .LBB899_2
; %bb.5:
	s_clause 0x1
	s_load_b128 s[8:11], s[0:1], 0x8
	s_load_b64 s[12:13], s[0:1], 0x20
	s_and_not1_b32 vcc_lo, exec_lo, s6
	s_cbranch_vccnz .LBB899_7
; %bb.6:
	s_add_u32 s2, s2, s4
	s_addc_u32 s3, s3, s5
	s_load_b32 s3, s[2:3], 0x0
	s_branch .LBB899_8
.LBB899_7:
	s_mov_b32 s3, s34
.LBB899_8:
	s_load_b128 s[4:7], s[0:1], 0x48
	v_and_b32_e32 v68, 15, v0
	v_cmp_gt_u32_e32 vcc_lo, 0xa0, v0
	v_lshrrev_b32_e32 v69, 5, v0
	v_and_b32_e32 v70, 31, v0
	v_and_b32_e32 v67, 1, v0
	v_lshlrev_b32_e32 v1, 3, v68
	v_cmp_gt_u32_e64 s2, 8, v68
	v_bfe_u32 v66, v0, 4, 1
	s_mul_i32 s31, s15, 10
	s_delay_alu instid0(VALU_DEP_3) | instskip(NEXT) | instid1(VALU_DEP_3)
	v_lshlrev_b32_e32 v65, 1, v1
	s_and_b32 s17, vcc_lo, s2
	s_waitcnt lgkmcnt(0)
	s_and_saveexec_b32 s7, s17
	s_cbranch_execz .LBB899_10
; %bb.9:
	s_load_b64 s[20:21], s[0:1], 0x0
	v_lshl_or_b32 v5, v69, 1, v66
	s_mul_hi_i32 s23, s3, s4
	s_mul_i32 s22, s3, s4
	v_lshlrev_b32_e32 v6, 10, v68
	s_lshl_b64 s[22:23], s[22:23], 1
	v_add_lshl_u32 v1, v5, s31, 6
	v_lshlrev_b32_e32 v5, 6, v5
	v_lshlrev_b32_e32 v7, 10, v67
	v_and_b32_e32 v6, 0x3800, v6
	s_delay_alu instid0(VALU_DEP_4) | instskip(NEXT) | instid1(VALU_DEP_2)
	v_ashrrev_i32_e32 v2, 31, v1
	v_or3_b32 v5, v6, v7, v5
	s_delay_alu instid0(VALU_DEP_2) | instskip(SKIP_3) | instid1(VALU_DEP_1)
	v_lshlrev_b64 v[1:2], 1, v[1:2]
	s_waitcnt lgkmcnt(0)
	s_add_u32 s3, s20, s22
	s_addc_u32 s4, s21, s23
	v_add_co_u32 v1, vcc_lo, s3, v1
	s_delay_alu instid0(VALU_DEP_2) | instskip(NEXT) | instid1(VALU_DEP_2)
	v_add_co_ci_u32_e32 v2, vcc_lo, s4, v2, vcc_lo
	v_add_co_u32 v1, vcc_lo, v1, v65
	s_delay_alu instid0(VALU_DEP_2)
	v_add_co_ci_u32_e32 v2, vcc_lo, 0, v2, vcc_lo
	global_load_b128 v[1:4], v[1:2], off
	s_waitcnt vmcnt(0)
	ds_store_b128 v5, v[1:4]
.LBB899_10:
	s_or_b32 exec_lo, exec_lo, s7
	v_and_b32_e32 v1, 0xef, v0
	s_add_i32 s3, s18, 31
	s_clause 0x1
	s_load_b32 s4, s[0:1], 0x38
	s_load_b32 s33, s[0:1], 0x98
	s_ashr_i32 s7, s3, 31
	v_add_nc_u32_e32 v1, s16, v1
	s_lshr_b32 s7, s7, 27
	s_load_b32 s19, s[0:1], 0x1c
	v_add_nc_u32_e32 v103, -10, v68
	s_add_i32 s3, s3, s7
	v_ashrrev_i32_e32 v2, 31, v1
	v_or_b32_e32 v3, 16, v1
	s_ashr_i32 s3, s3, 5
	v_cmp_gt_i32_e32 vcc_lo, s18, v1
	s_add_i32 s3, s3, -1
	v_lshrrev_b32_e32 v2, 27, v2
	s_waitcnt lgkmcnt(0)
	s_barrier
	buffer_gl0_inv
	s_mul_i32 s15, s15, s6
	v_add_nc_u32_e32 v4, v1, v2
	v_mbcnt_lo_u32_b32 v127, -1, 0
	s_mul_i32 s20, s34, s4
	s_delay_alu instid0(SALU_CYCLE_1) | instskip(NEXT) | instid1(VALU_DEP_2)
	s_ashr_i32 s21, s20, 31
	v_ashrrev_i32_e32 v4, 5, v4
	v_add_nc_u32_e32 v2, v3, v2
	s_lshl_b64 s[20:21], s[20:21], 2
	v_xor_b32_e32 v128, 16, v127
	s_add_u32 s17, s12, s20
	v_cndmask_b32_e32 v1, s3, v4, vcc_lo
	v_ashrrev_i32_e32 v2, 5, v2
	v_cmp_gt_i32_e32 vcc_lo, s18, v3
	s_addc_u32 s13, s13, s21
	s_ashr_i32 s20, s15, 31
	s_add_u32 s22, s8, s15
	s_addc_u32 s23, s9, s20
	v_cndmask_b32_e32 v3, s3, v2, vcc_lo
	v_ashrrev_i32_e32 v2, 31, v1
	s_lshl_b32 s6, s14, 3
	s_delay_alu instid0(SALU_CYCLE_1) | instskip(NEXT) | instid1(VALU_DEP_2)
	s_ashr_i32 s7, s6, 31
	v_ashrrev_i32_e32 v4, 31, v3
	s_delay_alu instid0(VALU_DEP_2) | instskip(SKIP_1) | instid1(SALU_CYCLE_1)
	v_lshlrev_b64 v[1:2], 2, v[1:2]
	s_lshl_b64 s[6:7], s[6:7], 2
	s_add_u32 s6, s17, s6
	s_delay_alu instid0(VALU_DEP_2) | instskip(SKIP_1) | instid1(VALU_DEP_2)
	v_lshlrev_b64 v[3:4], 2, v[3:4]
	s_addc_u32 s7, s13, s7
	v_add_co_u32 v1, vcc_lo, s17, v1
	v_add_co_ci_u32_e32 v2, vcc_lo, s13, v2, vcc_lo
	s_delay_alu instid0(VALU_DEP_3) | instskip(NEXT) | instid1(VALU_DEP_4)
	v_add_co_u32 v3, vcc_lo, s17, v3
	v_add_co_ci_u32_e32 v4, vcc_lo, s13, v4, vcc_lo
	s_clause 0x1
	global_load_b32 v5, v[1:2], off
	global_load_b32 v6, v[3:4], off
	s_or_b32 s4, s16, 32
	s_delay_alu instid0(SALU_CYCLE_1) | instskip(SKIP_2) | instid1(SALU_CYCLE_1)
	s_ashr_i32 s8, s4, 5
	s_cmp_lt_i32 s4, s18
	s_cselect_b32 s8, s8, s3
	s_ashr_i32 s9, s8, 31
	s_delay_alu instid0(SALU_CYCLE_1) | instskip(NEXT) | instid1(SALU_CYCLE_1)
	s_lshl_b64 s[8:9], s[8:9], 2
	s_add_u32 s8, s17, s8
	s_addc_u32 s9, s13, s9
	s_or_b32 s4, s16, 64
	s_delay_alu instid0(SALU_CYCLE_1) | instskip(SKIP_2) | instid1(SALU_CYCLE_1)
	s_ashr_i32 s12, s4, 5
	s_cmp_lt_i32 s4, s18
	s_cselect_b32 s24, s12, s3
	s_ashr_i32 s25, s24, 31
	s_delay_alu instid0(SALU_CYCLE_1) | instskip(NEXT) | instid1(SALU_CYCLE_1)
	s_lshl_b64 s[24:25], s[24:25], 2
	s_add_u32 s24, s17, s24
	s_addc_u32 s25, s13, s25
	;; [unrolled: 10-line block ×5, first 2 shown]
	s_clause 0x5
	s_load_b32 s12, s[6:7], 0x0
	s_load_b32 s4, s[8:9], 0x0
	;; [unrolled: 1-line block ×6, first 2 shown]
	s_or_b32 s21, s16, 0xc0
	s_waitcnt vmcnt(1)
	v_mad_i64_i32 v[1:2], null, v5, s5, s[22:23]
	v_lshlrev_b32_e32 v5, 4, v68
	s_waitcnt vmcnt(0)
	v_mad_i64_i32 v[3:4], null, v6, s5, s[22:23]
	s_ashr_i32 s22, s21, 5
	s_cmp_lt_i32 s21, s18
	s_delay_alu instid0(VALU_DEP_3) | instskip(NEXT) | instid1(VALU_DEP_4)
	v_add_co_u32 v1, vcc_lo, v1, v5
	v_add_co_ci_u32_e32 v2, vcc_lo, 0, v2, vcc_lo
	s_delay_alu instid0(VALU_DEP_3) | instskip(NEXT) | instid1(VALU_DEP_4)
	v_add_co_u32 v3, vcc_lo, v3, v5
	v_add_co_ci_u32_e32 v4, vcc_lo, 0, v4, vcc_lo
	s_clause 0x7
	global_load_b128 v[71:74], v[1:2], off
	global_load_b128 v[75:78], v[1:2], off offset:512
	global_load_b128 v[79:82], v[3:4], off offset:256
	global_load_b128 v[83:86], v[3:4], off offset:768
	global_load_b128 v[87:90], v[1:2], off offset:1024
	global_load_b128 v[91:94], v[1:2], off offset:1536
	global_load_b128 v[95:98], v[3:4], off offset:1280
	global_load_b128 v[99:102], v[3:4], off offset:1792
	s_cselect_b32 s22, s22, s3
	v_lshlrev_b32_e32 v1, 5, v68
	s_ashr_i32 s23, s22, 31
	v_cmp_gt_u32_e32 vcc_lo, 10, v68
	s_lshl_b64 s[22:23], s[22:23], 2
	s_delay_alu instid0(SALU_CYCLE_1)
	s_add_u32 s22, s17, s22
	s_addc_u32 s23, s13, s23
	s_or_b32 s21, s16, 0xe0
	v_lshl_or_b32 v1, v69, 9, v1
	s_ashr_i32 s24, s21, 5
	s_cmp_lt_i32 s21, s18
	v_cndmask_b32_e32 v103, v103, v68, vcc_lo
	s_cselect_b32 s24, s24, s3
	s_load_b32 s3, s[22:23], 0x0
	s_ashr_i32 s25, s24, 31
	v_cmp_gt_i32_e32 vcc_lo, 32, v128
	s_lshl_b64 s[24:25], s[24:25], 2
	v_lshlrev_b32_e32 v115, 6, v103
	s_add_u32 s22, s17, s24
	s_addc_u32 s23, s13, s25
	v_cndmask_b32_e32 v136, v127, v128, vcc_lo
	s_add_u32 s10, s10, s15
	s_addc_u32 s11, s11, s20
	v_add_co_u32 v1, s10, s10, v1
	s_delay_alu instid0(VALU_DEP_1) | instskip(SKIP_2) | instid1(VALU_DEP_1)
	v_add_co_ci_u32_e64 v2, null, s11, 0, s10
	s_load_b32 s10, s[22:23], 0x0
	s_waitcnt lgkmcnt(0)
	v_mad_i64_i32 v[3:4], null, s12, s5, v[1:2]
	v_mad_i64_i32 v[9:10], null, s7, s5, v[1:2]
	;; [unrolled: 1-line block ×7, first 2 shown]
	s_clause 0x5
	global_load_b128 v[49:52], v[3:4], off
	global_load_b128 v[53:56], v[3:4], off offset:16
	global_load_b128 v[41:44], v[5:6], off
	global_load_b128 v[45:48], v[5:6], off offset:16
	;; [unrolled: 2-line block ×3, first 2 shown]
	s_mov_b32 s4, 0
	v_mad_i64_i32 v[61:62], null, s10, s5, v[1:2]
	s_clause 0x9
	global_load_b128 v[1:4], v[9:10], off
	global_load_b128 v[5:8], v[9:10], off offset:16
	global_load_b128 v[9:12], v[13:14], off
	global_load_b128 v[13:16], v[13:14], off offset:16
	global_load_b128 v[17:20], v[21:22], off
	global_load_b128 v[21:24], v[21:22], off offset:16
	global_load_b128 v[25:28], v[29:30], off
	global_load_b128 v[29:32], v[29:30], off offset:16
	global_load_b128 v[57:60], v[61:62], off
	global_load_b128 v[61:64], v[61:62], off offset:16
	s_mov_b32 s5, s4
	s_mov_b32 s6, s4
	s_mov_b32 s7, s4
	s_mov_b32 s8, s4
	s_mov_b32 s9, s4
	s_mov_b32 s10, s4
	s_mov_b32 s11, s4
	v_and_b32_e32 v104, 0xe0, v0
	v_dual_mov_b32 v126, s11 :: v_dual_mov_b32 v125, s10
	v_dual_mov_b32 v124, s9 :: v_dual_mov_b32 v123, s8
	s_delay_alu instid0(VALU_DEP_3)
	v_add_nc_u32_e32 v111, s16, v104
	ds_load_b128 v[103:106], v115
	ds_load_b128 v[107:110], v115 offset:1024
	v_dual_mov_b32 v122, s7 :: v_dual_mov_b32 v121, s6
	v_mov_b32_e32 v120, s5
	v_or_b32_e32 v135, v111, v66
	ds_load_b128 v[111:114], v115 offset:2048
	ds_load_b128 v[115:118], v115 offset:3072
	v_mov_b32_e32 v119, s4
	s_waitcnt vmcnt(0) lgkmcnt(0)
	s_barrier
	v_or_b32_e32 v137, 2, v135
	v_or_b32_e32 v138, 4, v135
	;; [unrolled: 1-line block ×3, first 2 shown]
	v_cmp_gt_i32_e32 vcc_lo, s18, v135
	v_or_b32_e32 v140, 8, v135
	v_cmp_gt_i32_e64 s3, s18, v137
	v_or_b32_e32 v141, 10, v135
	v_cmp_gt_i32_e64 s4, s18, v138
	v_cmp_gt_i32_e64 s5, s18, v139
	v_or_b32_e32 v142, 12, v135
	v_or_b32_e32 v143, 14, v135
	v_cmp_gt_i32_e64 s6, s18, v140
	v_cmp_gt_i32_e64 s7, s18, v141
	v_or_b32_e32 v144, 16, v135
	v_or_b32_e32 v145, 18, v135
	v_cmp_gt_i32_e64 s8, s18, v142
	v_cmp_gt_i32_e64 s9, s18, v143
	buffer_gl0_inv
	v_cmp_gt_i32_e64 s10, s18, v144
	v_cmp_gt_i32_e64 s11, s18, v145
	v_wmma_f32_16x16x16_f16 v[127:134], v[71:78], v[103:110], v[119:126]
	v_wmma_f32_16x16x16_f16 v[119:126], v[79:86], v[103:110], v[119:126]
	v_or_b32_e32 v71, 20, v135
	v_or_b32_e32 v72, 22, v135
	s_delay_alu instid0(VALU_DEP_4)
	v_wmma_f32_16x16x16_f16 v[127:134], v[87:94], v[111:118], v[127:134]
	v_or_b32_e32 v73, 24, v135
	v_wmma_f32_16x16x16_f16 v[119:126], v[95:102], v[111:118], v[119:126]
	v_or_b32_e32 v74, 26, v135
	v_cmp_gt_i32_e64 s12, s18, v71
	v_dual_mul_f32 v83, s19, v128 :: v_dual_mul_f32 v84, s19, v127
	s_delay_alu instid0(VALU_DEP_4) | instskip(SKIP_1) | instid1(VALU_DEP_3)
	v_dual_mul_f32 v81, s19, v130 :: v_dual_mul_f32 v92, s19, v119
	v_mul_f32_e32 v82, s19, v129
	v_cndmask_b32_e64 v83, 0xff7fffff, v83, s3
	s_delay_alu instid0(VALU_DEP_4)
	v_cndmask_b32_e32 v84, 0xff7fffff, v84, vcc_lo
	v_dual_mul_f32 v79, s19, v132 :: v_dual_mul_f32 v90, s19, v121
	v_mul_f32_e32 v80, s19, v131
	v_cndmask_b32_e64 v82, 0xff7fffff, v82, s4
	v_cndmask_b32_e64 v81, 0xff7fffff, v81, s5
	v_max3_f32 v83, v84, 0xff7fffff, v83
	v_dual_mul_f32 v77, s19, v134 :: v_dual_mul_f32 v88, s19, v123
	v_mul_f32_e32 v78, s19, v133
	v_cndmask_b32_e64 v80, 0xff7fffff, v80, s6
	v_cndmask_b32_e64 v79, 0xff7fffff, v79, s7
	v_max3_f32 v81, v83, v82, v81
	v_mul_f32_e32 v91, s19, v120
	v_cndmask_b32_e64 v78, 0xff7fffff, v78, s8
	v_cndmask_b32_e64 v77, 0xff7fffff, v77, s9
	v_mul_f32_e32 v89, s19, v122
	v_max3_f32 v79, v81, v80, v79
	v_cndmask_b32_e64 v80, 0xff7fffff, v92, s10
	v_cndmask_b32_e64 v81, 0xff7fffff, v91, s11
	v_cmp_gt_i32_e64 s13, s18, v72
	v_or_b32_e32 v75, 28, v135
	v_max3_f32 v77, v79, v78, v77
	v_or_b32_e32 v76, 30, v135
	v_mul_f32_e32 v87, s19, v124
	v_cndmask_b32_e64 v71, 0xff7fffff, v90, s12
	v_cndmask_b32_e64 v72, 0xff7fffff, v89, s13
	v_max3_f32 v77, v77, v80, v81
	v_cmp_gt_i32_e64 s15, s18, v73
	v_cmp_gt_i32_e64 s16, s18, v74
	v_dual_mul_f32 v85, s19, v126 :: v_dual_mul_f32 v86, s19, v125
	s_delay_alu instid0(VALU_DEP_4) | instskip(NEXT) | instid1(VALU_DEP_4)
	v_max3_f32 v71, v77, v71, v72
	v_cndmask_b32_e64 v73, 0xff7fffff, v88, s15
	s_delay_alu instid0(VALU_DEP_4) | instskip(SKIP_2) | instid1(VALU_DEP_3)
	v_cndmask_b32_e64 v74, 0xff7fffff, v87, s16
	v_cmp_gt_i32_e64 s17, s18, v75
	v_cmp_gt_i32_e64 s18, s18, v76
	v_max3_f32 v71, v71, v73, v74
	s_delay_alu instid0(VALU_DEP_3) | instskip(NEXT) | instid1(VALU_DEP_3)
	v_cndmask_b32_e64 v72, 0xff7fffff, v86, s17
	v_cndmask_b32_e64 v75, 0xff7fffff, v85, s18
	v_lshlrev_b32_e32 v73, 2, v136
	s_delay_alu instid0(VALU_DEP_2) | instskip(SKIP_3) | instid1(VALU_DEP_1)
	v_max3_f32 v71, v71, v72, v75
	ds_bpermute_b32 v72, v73, v71
	s_waitcnt lgkmcnt(0)
	v_max_f32_e32 v72, v72, v72
	v_max_f32_e32 v71, v71, v72
	s_delay_alu instid0(VALU_DEP_1)
	v_fma_f32 v72, s19, v127, -v71
	v_fma_f32 v74, s19, v128, -v71
	;; [unrolled: 1-line block ×5, first 2 shown]
	v_mul_f32_e32 v72, 0x3fb8aa3b, v72
	v_mul_f32_e32 v74, 0x3fb8aa3b, v74
	v_fma_f32 v80, s19, v133, -v71
	s_delay_alu instid0(VALU_DEP_4) | instskip(NEXT) | instid1(VALU_DEP_4)
	v_dual_mul_f32 v76, 0x3fb8aa3b, v76 :: v_dual_mul_f32 v77, 0x3fb8aa3b, v77
	v_exp_f32_e32 v72, v72
	s_delay_alu instid0(VALU_DEP_3) | instskip(NEXT) | instid1(VALU_DEP_2)
	v_exp_f32_e32 v74, v74
	v_mul_f32_e32 v82, 0x3fb8aa3b, v80
	s_delay_alu instid0(VALU_DEP_2) | instskip(SKIP_1) | instid1(VALU_DEP_1)
	v_exp_f32_e32 v76, v76
	v_exp_f32_e32 v77, v77
	;; [unrolled: 1-line block ×3, first 2 shown]
	v_cndmask_b32_e32 v79, 0, v72, vcc_lo
	v_fma_f32 v72, s19, v132, -v71
	v_mul_f32_e32 v75, 0x3fb8aa3b, v75
	v_cndmask_b32_e64 v78, 0, v74, s3
	s_delay_alu instid0(TRANS32_DEP_3)
	v_cndmask_b32_e64 v80, 0, v76, s5
	v_add_f32_e32 v74, 0, v79
	v_mul_f32_e32 v72, 0x3fb8aa3b, v72
	v_exp_f32_e32 v75, v75
	v_cndmask_b32_e64 v83, 0, v77, s6
	v_cndmask_b32_e64 v85, 0, v84, s8
	v_add_f32_e32 v74, v74, v78
	v_exp_f32_e32 v72, v72
	s_mov_b32 s3, exec_lo
	s_waitcnt_depctr 0xfff
	v_cndmask_b32_e64 v81, 0, v75, s4
	v_cndmask_b32_e64 v82, 0, v72, s7
	s_delay_alu instid0(VALU_DEP_2) | instskip(NEXT) | instid1(VALU_DEP_1)
	v_add_f32_e32 v74, v74, v81
	v_add_f32_e32 v74, v74, v80
	s_delay_alu instid0(VALU_DEP_1) | instskip(SKIP_4) | instid1(VALU_DEP_4)
	v_add_f32_e32 v72, v74, v83
	v_fma_f32 v75, s19, v134, -v71
	v_fma_f32 v76, s19, v119, -v71
	;; [unrolled: 1-line block ×4, first 2 shown]
	v_dual_add_f32 v72, v72, v82 :: v_dual_mul_f32 v75, 0x3fb8aa3b, v75
	s_delay_alu instid0(VALU_DEP_3) | instskip(SKIP_1) | instid1(VALU_DEP_3)
	v_dual_mul_f32 v76, 0x3fb8aa3b, v76 :: v_dual_mul_f32 v77, 0x3fb8aa3b, v77
	v_fma_f32 v86, s19, v122, -v71
	v_add_f32_e32 v72, v72, v85
	s_delay_alu instid0(VALU_DEP_4) | instskip(NEXT) | instid1(VALU_DEP_3)
	v_exp_f32_e32 v75, v75
	v_exp_f32_e32 v76, v76
	;; [unrolled: 1-line block ×3, first 2 shown]
	v_mul_f32_e32 v86, 0x3fb8aa3b, v86
	s_delay_alu instid0(VALU_DEP_1) | instskip(SKIP_3) | instid1(TRANS32_DEP_3)
	v_exp_f32_e32 v88, v86
	v_cndmask_b32_e64 v84, 0, v75, s9
	v_fma_f32 v75, s19, v123, -v71
	v_mul_f32_e32 v74, 0x3fb8aa3b, v74
	v_cndmask_b32_e64 v87, 0, v76, s10
	v_fma_f32 v76, s19, v124, -v71
	s_delay_alu instid0(VALU_DEP_4) | instskip(NEXT) | instid1(VALU_DEP_4)
	v_dual_add_f32 v72, v72, v84 :: v_dual_mul_f32 v75, 0x3fb8aa3b, v75
	v_exp_f32_e32 v74, v74
	v_cndmask_b32_e64 v86, 0, v77, s11
	v_fma_f32 v77, s19, v125, -v71
	s_delay_alu instid0(VALU_DEP_3) | instskip(SKIP_3) | instid1(VALU_DEP_3)
	v_add_f32_e32 v72, v72, v87
	v_mul_f32_e32 v76, 0x3fb8aa3b, v76
	v_exp_f32_e32 v75, v75
	v_cndmask_b32_e64 v88, 0, v88, s13
	v_add_f32_e32 v72, v72, v86
	s_delay_alu instid0(VALU_DEP_3) | instskip(NEXT) | instid1(TRANS32_DEP_3)
	v_exp_f32_e32 v76, v76
	v_cndmask_b32_e64 v89, 0, v74, s12
	v_mul_f32_e32 v74, 0x3fb8aa3b, v77
	v_fma_f32 v77, s19, v126, -v71
	s_delay_alu instid0(VALU_DEP_3) | instskip(NEXT) | instid1(VALU_DEP_3)
	v_add_f32_e32 v72, v72, v89
	v_exp_f32_e32 v74, v74
	s_delay_alu instid0(TRANS32_DEP_3) | instskip(NEXT) | instid1(VALU_DEP_3)
	v_cndmask_b32_e64 v91, 0, v75, s15
	v_mul_f32_e32 v75, 0x3fb8aa3b, v77
	s_delay_alu instid0(TRANS32_DEP_2) | instskip(SKIP_1) | instid1(VALU_DEP_3)
	v_cndmask_b32_e64 v90, 0, v76, s16
	v_add_f32_e32 v72, v72, v88
	v_exp_f32_e32 v75, v75
	s_delay_alu instid0(VALU_DEP_1) | instskip(NEXT) | instid1(TRANS32_DEP_2)
	v_add_f32_e32 v72, v72, v91
	v_cndmask_b32_e64 v93, 0, v74, s17
	s_delay_alu instid0(VALU_DEP_2) | instskip(SKIP_3) | instid1(VALU_DEP_1)
	v_add_f32_e32 v72, v72, v90
	s_waitcnt_depctr 0xfff
	v_cndmask_b32_e64 v92, 0, v75, s18
	v_add_f32_e32 v72, v72, v93
	v_add_f32_e32 v72, v72, v92
	ds_bpermute_b32 v73, v73, v72
	v_cmpx_gt_u32_e32 16, v70
	s_cbranch_execz .LBB899_12
; %bb.11:
	v_mul_u32_u24_e32 v70, 0x44, v69
	s_waitcnt lgkmcnt(0)
	v_add_f32_e32 v72, v72, v73
	s_delay_alu instid0(VALU_DEP_2) | instskip(NEXT) | instid1(VALU_DEP_1)
	v_lshl_add_u32 v70, v68, 2, v70
	v_add_nc_u32_e32 v70, 0x4000, v70
	ds_store_2addr_b32 v70, v71, v72 offset1:136
.LBB899_12:
	s_or_b32 exec_lo, exec_lo, s3
	v_lshlrev_b32_e32 v70, 2, v68
	s_load_b32 s35, s[0:1], 0x94
	s_waitcnt lgkmcnt(0)
	s_barrier
	buffer_gl0_inv
	v_add_nc_u32_e32 v98, 0x4000, v70
	v_cmp_eq_u32_e32 vcc_lo, 1, v69
	v_cmp_eq_u32_e64 s3, 2, v69
	v_cmp_eq_u32_e64 s4, 3, v69
	;; [unrolled: 1-line block ×3, first 2 shown]
	ds_load_2addr_b32 v[70:71], v98 offset1:17
	ds_load_2addr_b32 v[72:73], v98 offset0:34 offset1:51
	ds_load_2addr_b32 v[74:75], v98 offset0:68 offset1:85
	ds_load_2addr_b32 v[94:95], v98 offset0:102 offset1:119
	v_cmp_eq_u32_e64 s6, 5, v69
	v_cmp_eq_u32_e64 s7, 7, v69
	s_waitcnt lgkmcnt(3)
	v_max3_f32 v76, v70, 0xff7fffff, v71
	s_waitcnt lgkmcnt(2)
	s_delay_alu instid0(VALU_DEP_1) | instskip(SKIP_1) | instid1(VALU_DEP_1)
	v_max3_f32 v76, v76, v72, v73
	s_waitcnt lgkmcnt(1)
	v_max3_f32 v76, v76, v74, v75
	s_waitcnt lgkmcnt(0)
	s_delay_alu instid0(VALU_DEP_1) | instskip(NEXT) | instid1(VALU_DEP_1)
	v_max3_f32 v76, v76, v94, v95
	v_sub_f32_e32 v77, v71, v76
	ds_load_2addr_b32 v[96:97], v98 offset0:136 offset1:153
	v_sub_f32_e32 v74, v74, v76
	v_sub_f32_e32 v70, v70, v76
	;; [unrolled: 1-line block ×3, first 2 shown]
	v_dual_sub_f32 v72, v72, v76 :: v_dual_mul_f32 v77, 0x3fb8aa3b, v77
	s_delay_alu instid0(VALU_DEP_4) | instskip(NEXT) | instid1(VALU_DEP_4)
	v_mul_f32_e32 v103, 0x3fb8aa3b, v74
	v_mul_f32_e32 v99, 0x3fb8aa3b, v70
	ds_load_2addr_b32 v[70:71], v98 offset0:170 offset1:187
	v_dual_mul_f32 v101, 0x3fb8aa3b, v72 :: v_dual_mul_f32 v94, 0x3fb8aa3b, v94
	v_exp_f32_e32 v102, v77
	v_exp_f32_e32 v99, v99
	s_delay_alu instid0(VALU_DEP_1) | instskip(NEXT) | instid1(VALU_DEP_1)
	v_exp_f32_e32 v101, v101
	v_exp_f32_e32 v94, v94
	s_waitcnt lgkmcnt(1)
	s_delay_alu instid0(TRANS32_DEP_3)
	v_fma_f32 v77, v99, v96, 0
	v_sub_f32_e32 v100, v73, v76
	ds_load_2addr_b32 v[72:73], v98 offset0:204 offset1:221
	v_fmac_f32_e32 v77, v102, v97
	v_exp_f32_e32 v97, v103
	s_waitcnt lgkmcnt(1)
	s_delay_alu instid0(VALU_DEP_1)
	v_dual_fmac_f32 v77, v101, v70 :: v_dual_sub_f32 v96, v75, v76
	ds_load_2addr_b32 v[74:75], v98 offset0:238 offset1:255
	v_sub_f32_e32 v70, v95, v76
	s_waitcnt lgkmcnt(0)
	s_barrier
	v_mul_f32_e32 v96, 0x3fb8aa3b, v96
	buffer_gl0_inv
	v_exp_f32_e32 v95, v96
	v_mul_f32_e32 v100, 0x3fb8aa3b, v100
	s_delay_alu instid0(VALU_DEP_1) | instskip(SKIP_3) | instid1(VALU_DEP_2)
	v_exp_f32_e32 v100, v100
	s_waitcnt_depctr 0xfff
	v_dual_fmac_f32 v77, v100, v71 :: v_dual_mul_f32 v70, 0x3fb8aa3b, v70
	v_cndmask_b32_e32 v71, v99, v102, vcc_lo
	v_fmac_f32_e32 v77, v97, v72
	s_delay_alu instid0(VALU_DEP_3) | instskip(NEXT) | instid1(VALU_DEP_1)
	v_exp_f32_e32 v96, v70
	v_fmac_f32_e32 v77, v95, v73
	s_delay_alu instid0(VALU_DEP_1) | instskip(SKIP_2) | instid1(VALU_DEP_1)
	v_fmac_f32_e32 v77, v94, v74
	s_waitcnt_depctr 0xfff
	v_fmac_f32_e32 v77, v96, v75
	v_add_f32_e32 v74, 0x358637bd, v77
	s_delay_alu instid0(VALU_DEP_1) | instskip(SKIP_1) | instid1(VALU_DEP_2)
	v_div_scale_f32 v98, null, v74, v74, 1.0
	v_div_scale_f32 v99, vcc_lo, 1.0, v74, 1.0
	v_rcp_f32_e32 v103, v98
	s_waitcnt_depctr 0xfff
	v_fma_f32 v70, -v98, v103, 1.0
	s_delay_alu instid0(VALU_DEP_1) | instskip(SKIP_2) | instid1(VALU_DEP_2)
	v_fmac_f32_e32 v103, v70, v103
	v_cndmask_b32_e64 v70, v71, v101, s3
	v_cmp_eq_u32_e64 s3, 6, v69
	v_cndmask_b32_e64 v71, v70, v100, s4
	s_delay_alu instid0(VALU_DEP_4) | instskip(NEXT) | instid1(VALU_DEP_2)
	v_dual_mul_f32 v101, v99, v103 :: v_dual_lshlrev_b32 v70, 2, v66
	v_cndmask_b32_e64 v71, v71, v97, s5
	s_delay_alu instid0(VALU_DEP_2) | instskip(NEXT) | instid1(VALU_DEP_3)
	v_or_b32_e32 v72, 1, v70
	v_fma_f32 v100, -v98, v101, v99
	v_cmp_eq_u32_e64 s4, 1, v70
	v_cmp_eq_u32_e64 s5, 2, v70
	v_cndmask_b32_e64 v95, v71, v95, s6
	v_or_b32_e32 v71, 3, v70
	v_fmac_f32_e32 v101, v100, v103
	v_cmp_eq_u32_e64 s9, 1, v72
	v_cmp_eq_u32_e64 s12, 2, v72
	v_cndmask_b32_e64 v94, v95, v94, s3
	v_cmp_eq_u32_e64 s11, 1, v71
	v_fma_f32 v97, -v98, v101, v99
	v_cmp_eq_u32_e64 s16, 2, v71
	v_cmp_eq_u32_e64 s13, 3, v72
	v_cndmask_b32_e64 v94, v94, v96, s7
	v_cmp_eq_u32_e64 s18, 3, v71
	v_div_fmas_f32 v95, v97, v103, v101
	v_cmp_eq_u32_e32 vcc_lo, 3, v70
	v_cmp_eq_u32_e64 s3, 4, v70
	v_cmp_eq_u32_e64 s19, 4, v72
	;; [unrolled: 1-line block ×3, first 2 shown]
	v_div_fixup_f32 v95, v95, v74, 1.0
	v_lshlrev_b32_e32 v73, 6, v68
	v_cmp_eq_u32_e64 s6, 5, v70
	v_cmp_eq_u32_e64 s20, 5, v72
	v_cmp_eq_u32_e64 s24, 5, v71
	v_mul_f32_e32 v102, v94, v95
	v_lshl_or_b32 v75, v69, 11, v73
	v_or_b32_e32 v69, 2, v70
	v_cmp_eq_u32_e64 s25, 6, v72
	v_cmp_eq_u32_e64 s27, 6, v71
	v_fma_mixlo_f16 v94, v102, v79, 0
	v_fma_mixlo_f16 v95, v102, v81, 0
	;; [unrolled: 1-line block ×8, first 2 shown]
	v_lshl_or_b32 v74, v66, 4, v75
	v_fma_mixhi_f16 v94, v102, v78, 0
	v_fma_mixhi_f16 v95, v102, v80, 0
	;; [unrolled: 1-line block ×8, first 2 shown]
	ds_store_b128 v74, v[94:97]
	ds_store_b128 v74, v[98:101] offset:1024
	s_waitcnt lgkmcnt(0)
	s_barrier
	buffer_gl0_inv
	ds_load_b128 v[78:81], v75
	ds_load_b128 v[82:85], v75 offset:16
	ds_load_b128 v[86:89], v75 offset:1024
	;; [unrolled: 1-line block ×3, first 2 shown]
	v_cmp_eq_u32_e64 s10, 1, v69
	v_cmp_eq_u32_e64 s15, 2, v69
	;; [unrolled: 1-line block ×11, first 2 shown]
	s_waitcnt lgkmcnt(3)
	v_lshrrev_b32_e32 v94, 16, v78
	s_waitcnt lgkmcnt(2)
	v_lshrrev_b32_e32 v98, 16, v82
	;; [unrolled: 2-line block ×4, first 2 shown]
	v_lshrrev_b32_e32 v95, 16, v79
	v_cndmask_b32_e64 v110, v78, v94, s4
	v_cndmask_b32_e64 v111, v82, v98, s4
	;; [unrolled: 1-line block ×8, first 2 shown]
	v_lshrrev_b32_e32 v99, 16, v83
	v_cndmask_b32_e64 v94, v86, v102, s4
	v_cndmask_b32_e64 v98, v90, v106, s4
	v_cndmask_b32_e64 v116, v86, v102, s9
	v_cndmask_b32_e64 v117, v90, v106, s9
	v_cndmask_b32_e64 v118, v86, v102, s10
	v_cndmask_b32_e64 v119, v90, v106, s10
	v_cndmask_b32_e64 v86, v86, v102, s11
	v_cndmask_b32_e64 v90, v90, v106, s11
	v_cndmask_b32_e64 v102, v110, v79, s5
	v_cndmask_b32_e64 v106, v111, v83, s5
	v_cndmask_b32_e64 v110, v112, v79, s12
	v_cndmask_b32_e64 v111, v113, v83, s12
	v_cndmask_b32_e64 v112, v114, v79, s15
	v_cndmask_b32_e64 v78, v78, v79, s16
	v_cndmask_b32_e64 v79, v82, v83, s16
	v_lshrrev_b32_e32 v103, 16, v87
	v_lshrrev_b32_e32 v107, 16, v91
	v_cndmask_b32_e64 v113, v115, v83, s15
	v_cndmask_b32_e64 v82, v94, v87, s5
	v_cndmask_b32_e64 v83, v98, v91, s5
	v_cndmask_b32_e64 v94, v116, v87, s12
	v_cndmask_b32_e64 v98, v118, v87, s15
	v_cndmask_b32_e64 v86, v86, v87, s16
	v_cndmask_b32_e64 v87, v90, v91, s16
	v_cndmask_b32_e32 v90, v102, v95, vcc_lo
	v_cndmask_b32_e32 v102, v106, v99, vcc_lo
	v_cndmask_b32_e64 v106, v110, v95, s13
	v_cndmask_b32_e64 v110, v111, v99, s13
	;; [unrolled: 1-line block ×4, first 2 shown]
	v_lshrrev_b32_e32 v96, 16, v80
	v_lshrrev_b32_e32 v100, 16, v84
	v_cndmask_b32_e64 v111, v112, v95, s17
	v_cndmask_b32_e64 v112, v113, v99, s17
	v_cndmask_b32_e32 v82, v82, v103, vcc_lo
	v_cndmask_b32_e32 v83, v83, v107, vcc_lo
	v_cndmask_b32_e64 v94, v94, v103, s13
	v_cndmask_b32_e64 v90, v90, v80, s3
	;; [unrolled: 1-line block ×7, first 2 shown]
	v_lshrrev_b32_e32 v104, 16, v88
	v_cndmask_b32_e64 v106, v111, v80, s21
	v_cndmask_b32_e64 v110, v112, v84, s21
	;; [unrolled: 1-line block ×11, first 2 shown]
	v_lshrrev_b32_e32 v97, 16, v81
	v_lshrrev_b32_e32 v101, 16, v85
	v_cndmask_b32_e64 v99, v106, v96, s23
	v_cndmask_b32_e64 v102, v110, v100, s23
	;; [unrolled: 1-line block ×7, first 2 shown]
	v_lshrrev_b32_e32 v105, 16, v89
	v_cndmask_b32_e64 v80, v80, v104, s6
	v_cndmask_b32_e64 v84, v84, v81, s7
	;; [unrolled: 1-line block ×16, first 2 shown]
	v_perm_b32 v81, v79, v78, 0x5040100
	v_perm_b32 v79, v95, v85, 0x5040100
	v_cndmask_b32_e64 v78, v119, v91, s15
	v_cndmask_b32_e64 v85, v117, v91, s12
	;; [unrolled: 1-line block ×3, first 2 shown]
	v_perm_b32 v80, v94, v90, 0x5040100
	v_cndmask_b32_e64 v90, v98, v103, s17
	v_cndmask_b32_e64 v86, v86, v103, s18
	v_cndmask_b32_e64 v87, v87, v107, s18
	v_cndmask_b32_e64 v78, v78, v107, s17
	v_cndmask_b32_e64 v85, v85, v107, s13
	v_lshrrev_b32_e32 v108, 16, v92
	v_cndmask_b32_e64 v90, v90, v88, s21
	v_cndmask_b32_e64 v86, v86, v88, s22
	;; [unrolled: 1-line block ×11, first 2 shown]
	v_lshrrev_b32_e32 v109, 16, v93
	v_cndmask_b32_e64 v82, v82, v93, s7
	v_cndmask_b32_e64 v88, v88, v89, s26
	;; [unrolled: 1-line block ×12, first 2 shown]
	v_perm_b32 v78, v84, v83, 0x5040100
	v_perm_b32 v85, v87, v86, 0x5040100
	;; [unrolled: 1-line block ×5, first 2 shown]
	s_mul_i32 s8, s33, 10
	s_mov_b32 s3, exec_lo
	ds_store_b128 v74, v[78:81]
	ds_store_b128 v74, v[82:85] offset:1024
	v_cmpx_gt_u32_e32 10, v0
	s_cbranch_execz .LBB899_14
; %bb.13:
	s_mul_i32 s4, s8, s34
	s_delay_alu instid0(SALU_CYCLE_1) | instskip(SKIP_1) | instid1(VALU_DEP_1)
	v_add3_u32 v68, s4, s31, v68
	s_load_b128 s[4:7], s[0:1], 0x58
	v_mad_u64_u32 v[78:79], null, v68, s35, s[14:15]
	s_delay_alu instid0(VALU_DEP_1) | instskip(NEXT) | instid1(VALU_DEP_1)
	v_ashrrev_i32_e32 v79, 31, v78
	v_lshlrev_b64 v[78:79], 2, v[78:79]
	s_waitcnt lgkmcnt(0)
	s_delay_alu instid0(VALU_DEP_1) | instskip(NEXT) | instid1(VALU_DEP_2)
	v_add_co_u32 v80, vcc_lo, s6, v78
	v_add_co_ci_u32_e32 v81, vcc_lo, s7, v79, vcc_lo
	v_add_co_u32 v78, vcc_lo, s4, v78
	v_add_co_ci_u32_e32 v79, vcc_lo, s5, v79, vcc_lo
	global_store_b32 v[80:81], v76, off
	global_store_b32 v[78:79], v77, off
.LBB899_14:
	s_or_b32 exec_lo, exec_lo, s3
	s_waitcnt lgkmcnt(0)
	s_waitcnt_vscnt null, 0x0
	s_barrier
	buffer_gl0_inv
	ds_load_b128 v[84:87], v73
	ds_load_b128 v[88:91], v73 offset:16
	ds_load_b128 v[96:99], v73 offset:2064
	;; [unrolled: 1-line block ×5, first 2 shown]
	v_cmp_eq_u32_e32 vcc_lo, 1, v70
	v_mov_b32_e32 v76, 0
	ds_load_b128 v[112:115], v73 offset:6160
	ds_load_b128 v[108:111], v73 offset:6144
	;; [unrolled: 1-line block ×4, first 2 shown]
	v_cmp_eq_u32_e64 s4, 1, v69
	v_cmp_eq_u32_e64 s3, 1, v72
	;; [unrolled: 1-line block ×3, first 2 shown]
	v_mov_b32_e32 v77, v76
	v_mov_b32_e32 v78, v76
	;; [unrolled: 1-line block ×7, first 2 shown]
	v_cmp_eq_u32_e64 s6, 3, v72
	v_cmp_eq_u32_e64 s7, 7, v72
	s_waitcnt lgkmcnt(8)
	s_delay_alu instid0(VALU_DEP_3)
	v_wmma_f32_16x16x16_f16 v[76:83], v[49:56], v[84:91], v[76:83]
	ds_load_b128 v[53:56], v73 offset:10256
	ds_load_b128 v[49:52], v73 offset:10240
	s_waitcnt lgkmcnt(8)
	v_wmma_f32_16x16x16_f16 v[76:83], v[41:48], v[92:99], v[76:83]
	ds_load_b128 v[45:48], v73 offset:12304
	ds_load_b128 v[41:44], v73 offset:12288
	s_waitcnt lgkmcnt(8)
	v_wmma_f32_16x16x16_f16 v[76:83], v[33:40], v[100:107], v[76:83]
	ds_load_b128 v[37:40], v73 offset:14352
	ds_load_b128 v[33:36], v73 offset:14336
	s_waitcnt lgkmcnt(0)
	s_barrier
	buffer_gl0_inv
	v_wmma_f32_16x16x16_f16 v[76:83], v[1:8], v[108:115], v[76:83]
	s_delay_alu instid0(VALU_DEP_1) | instskip(NEXT) | instid1(VALU_DEP_1)
	v_wmma_f32_16x16x16_f16 v[76:83], v[9:16], v[116:123], v[76:83]
	v_wmma_f32_16x16x16_f16 v[76:83], v[17:24], v[49:56], v[76:83]
	s_delay_alu instid0(VALU_DEP_1) | instskip(NEXT) | instid1(VALU_DEP_1)
	v_wmma_f32_16x16x16_f16 v[76:83], v[25:32], v[41:48], v[76:83]
	v_wmma_f32_16x16x16_f16 v[76:83], v[57:64], v[33:40], v[76:83]
	s_delay_alu instid0(VALU_DEP_1) | instskip(NEXT) | instid1(VALU_DEP_2)
	v_cvt_f16_f32_e32 v1, v76
	v_cvt_f16_f32_e32 v2, v77
	s_delay_alu instid0(VALU_DEP_3) | instskip(NEXT) | instid1(VALU_DEP_4)
	v_cvt_f16_f32_e32 v3, v78
	v_cvt_f16_f32_e32 v4, v79
	;; [unrolled: 1-line block ×6, first 2 shown]
	v_pack_b32_f16 v1, v1, v2
	v_pack_b32_f16 v2, v3, v4
	v_pack_b32_f16 v3, v5, v6
	s_delay_alu instid0(VALU_DEP_4)
	v_pack_b32_f16 v4, v7, v8
	ds_store_b128 v74, v[1:4]
	s_waitcnt lgkmcnt(0)
	s_barrier
	buffer_gl0_inv
	ds_load_b128 v[1:4], v75
	ds_load_b128 v[5:8], v75 offset:16
	s_waitcnt lgkmcnt(1)
	v_lshrrev_b32_e32 v9, 16, v1
	s_waitcnt lgkmcnt(0)
	v_lshrrev_b32_e32 v13, 16, v5
	v_lshrrev_b32_e32 v10, 16, v2
	;; [unrolled: 1-line block ×4, first 2 shown]
	v_cndmask_b32_e32 v17, v1, v9, vcc_lo
	v_cndmask_b32_e32 v18, v5, v13, vcc_lo
	v_cndmask_b32_e64 v21, v1, v9, s4
	v_cmp_eq_u32_e32 vcc_lo, 1, v71
	v_cndmask_b32_e64 v22, v5, v13, s4
	v_cmp_eq_u32_e64 s4, 2, v70
	v_cndmask_b32_e64 v19, v1, v9, s3
	v_cndmask_b32_e64 v20, v5, v13, s3
	v_cndmask_b32_e32 v1, v1, v9, vcc_lo
	v_cmp_eq_u32_e64 s3, 2, v71
	v_cndmask_b32_e32 v5, v5, v13, vcc_lo
	v_cndmask_b32_e64 v9, v17, v2, s4
	v_cmp_eq_u32_e32 vcc_lo, 3, v70
	v_cndmask_b32_e64 v13, v18, v6, s4
	v_cmp_eq_u32_e64 s4, 2, v69
	v_cndmask_b32_e64 v17, v19, v2, s5
	v_cndmask_b32_e64 v18, v20, v6, s5
	v_cmp_eq_u32_e64 s5, 3, v69
	v_cndmask_b32_e64 v1, v1, v2, s3
	v_cndmask_b32_e64 v19, v21, v2, s4
	;; [unrolled: 1-line block ×4, first 2 shown]
	v_cndmask_b32_e32 v5, v9, v10, vcc_lo
	v_cndmask_b32_e32 v6, v13, v14, vcc_lo
	v_cmp_eq_u32_e32 vcc_lo, 3, v71
	v_cndmask_b32_e64 v9, v17, v10, s6
	v_cndmask_b32_e64 v13, v18, v14, s6
	;; [unrolled: 1-line block ×3, first 2 shown]
	v_cmp_eq_u32_e64 s4, 4, v70
	v_cndmask_b32_e32 v1, v1, v10, vcc_lo
	v_cndmask_b32_e32 v2, v2, v14, vcc_lo
	v_cmp_eq_u32_e32 vcc_lo, 4, v72
	v_lshrrev_b32_e32 v15, 16, v7
	v_lshrrev_b32_e32 v16, 16, v8
	v_cndmask_b32_e64 v17, v19, v10, s5
	v_cmp_eq_u32_e64 s3, 4, v71
	v_cndmask_b32_e64 v5, v5, v3, s4
	v_cndmask_b32_e64 v6, v6, v7, s4
	v_cndmask_b32_e32 v9, v9, v3, vcc_lo
	v_cmp_eq_u32_e64 s4, 5, v72
	v_cndmask_b32_e32 v10, v13, v7, vcc_lo
	v_cmp_eq_u32_e32 vcc_lo, 4, v69
	v_cmp_eq_u32_e64 s5, 5, v70
	v_cndmask_b32_e64 v2, v2, v7, s3
	v_cndmask_b32_e64 v9, v9, v11, s4
	;; [unrolled: 1-line block ×3, first 2 shown]
	v_cndmask_b32_e32 v13, v17, v3, vcc_lo
	v_cmp_eq_u32_e64 s4, 5, v69
	v_cndmask_b32_e32 v14, v18, v7, vcc_lo
	v_cndmask_b32_e64 v1, v1, v3, s3
	v_cmp_eq_u32_e32 vcc_lo, 5, v71
	v_lshrrev_b32_e32 v12, 16, v4
	v_cndmask_b32_e64 v13, v13, v11, s4
	v_cndmask_b32_e64 v3, v14, v15, s4
	v_cmp_eq_u32_e64 s4, 6, v71
	v_cndmask_b32_e32 v1, v1, v11, vcc_lo
	v_cndmask_b32_e64 v5, v5, v11, s5
	v_cmp_eq_u32_e64 s6, 6, v70
	v_cndmask_b32_e64 v6, v6, v15, s5
	v_cmp_eq_u32_e64 s5, 6, v72
	v_cmp_eq_u32_e64 s3, 6, v69
	v_cndmask_b32_e64 v1, v1, v4, s4
	v_cndmask_b32_e32 v2, v2, v15, vcc_lo
	v_cmp_eq_u32_e32 vcc_lo, 7, v71
	v_cndmask_b32_e64 v5, v5, v4, s6
	v_cndmask_b32_e64 v9, v9, v4, s5
	;; [unrolled: 1-line block ×3, first 2 shown]
	v_cmp_eq_u32_e64 s6, 7, v70
	v_cndmask_b32_e32 v1, v1, v12, vcc_lo
	v_cndmask_b32_e64 v7, v13, v4, s3
	v_cndmask_b32_e64 v3, v3, v8, s3
	;; [unrolled: 1-line block ×3, first 2 shown]
	v_cmp_eq_u32_e64 s3, 7, v69
	v_cndmask_b32_e64 v4, v10, v8, s5
	v_cndmask_b32_e64 v5, v5, v12, s6
	;; [unrolled: 1-line block ×3, first 2 shown]
	v_cndmask_b32_e32 v2, v2, v16, vcc_lo
	v_cndmask_b32_e64 v7, v7, v12, s3
	v_cndmask_b32_e64 v3, v3, v16, s3
	;; [unrolled: 1-line block ×4, first 2 shown]
	v_cmp_gt_u32_e32 vcc_lo, 32, v0
	v_perm_b32 v4, v2, v1, 0x5040100
	v_perm_b32 v3, v3, v7, 0x5040100
	;; [unrolled: 1-line block ×4, first 2 shown]
	s_and_b32 s2, vcc_lo, s2
	ds_store_b128 v74, v[1:4]
	s_waitcnt lgkmcnt(0)
	s_barrier
	buffer_gl0_inv
	s_and_saveexec_b32 s3, s2
	s_cbranch_execz .LBB899_2
; %bb.15:
	s_load_b64 s[0:1], s[0:1], 0x68
	s_lshl_b32 s4, s35, 6
	v_or_b32_e32 v2, s31, v66
	s_mul_i32 s2, s4, s34
	v_lshlrev_b32_e32 v0, 10, v0
	s_mul_i32 s2, s2, s8
	v_lshlrev_b32_e32 v1, 4, v67
	s_ashr_i32 s3, s2, 31
	v_mul_lo_u32 v20, v2, s4
	s_lshl_b64 s[2:3], s[2:3], 1
	v_lshlrev_b32_e32 v3, 6, v66
	v_and_b32_e32 v0, 0x3800, v0
	s_delay_alu instid0(VALU_DEP_1) | instskip(NEXT) | instid1(VALU_DEP_4)
	v_or3_b32 v16, v0, v1, v3
	v_ashrrev_i32_e32 v21, 31, v20
	ds_load_b128 v[0:3], v16
	ds_load_b128 v[4:7], v16 offset:128
	s_waitcnt lgkmcnt(0)
	s_add_u32 s2, s0, s2
	s_addc_u32 s3, s1, s3
	s_lshl_b32 s0, s14, 6
	ds_load_b128 v[8:11], v16 offset:256
	ds_load_b128 v[12:15], v16 offset:384
	;; [unrolled: 1-line block ×3, first 2 shown]
	s_ashr_i32 s1, s0, 31
	s_delay_alu instid0(SALU_CYCLE_1) | instskip(NEXT) | instid1(SALU_CYCLE_1)
	s_lshl_b64 s[0:1], s[0:1], 1
	s_add_u32 s0, s2, s0
	s_addc_u32 s1, s3, s1
	s_lshl_b32 s2, s35, 7
	v_add_co_u32 v30, s0, s0, v65
	v_add_nc_u32_e32 v22, s2, v20
	v_lshlrev_b64 v[20:21], 1, v[20:21]
	v_add_co_ci_u32_e64 v31, null, s1, 0, s0
	s_delay_alu instid0(VALU_DEP_3) | instskip(SKIP_1) | instid1(VALU_DEP_4)
	v_add_nc_u32_e32 v24, s2, v22
	v_ashrrev_i32_e32 v23, 31, v22
	v_add_co_u32 v20, vcc_lo, v30, v20
	s_delay_alu instid0(VALU_DEP_4) | instskip(NEXT) | instid1(VALU_DEP_4)
	v_add_co_ci_u32_e32 v21, vcc_lo, v31, v21, vcc_lo
	v_add_nc_u32_e32 v26, s2, v24
	v_ashrrev_i32_e32 v25, 31, v24
	v_lshlrev_b64 v[22:23], 1, v[22:23]
	s_delay_alu instid0(VALU_DEP_3) | instskip(SKIP_1) | instid1(VALU_DEP_4)
	v_add_nc_u32_e32 v28, s2, v26
	v_ashrrev_i32_e32 v27, 31, v26
	v_lshlrev_b64 v[24:25], 1, v[24:25]
	s_delay_alu instid0(VALU_DEP_4) | instskip(NEXT) | instid1(VALU_DEP_4)
	v_add_co_u32 v22, vcc_lo, v30, v22
	v_ashrrev_i32_e32 v29, 31, v28
	s_delay_alu instid0(VALU_DEP_4) | instskip(SKIP_2) | instid1(VALU_DEP_4)
	v_lshlrev_b64 v[26:27], 1, v[26:27]
	v_add_co_ci_u32_e32 v23, vcc_lo, v31, v23, vcc_lo
	v_add_co_u32 v24, vcc_lo, v30, v24
	v_lshlrev_b64 v[28:29], 1, v[28:29]
	v_add_co_ci_u32_e32 v25, vcc_lo, v31, v25, vcc_lo
	v_add_co_u32 v26, vcc_lo, v30, v26
	v_add_co_ci_u32_e32 v27, vcc_lo, v31, v27, vcc_lo
	s_delay_alu instid0(VALU_DEP_4)
	v_add_co_u32 v28, vcc_lo, v30, v28
	v_add_co_ci_u32_e32 v29, vcc_lo, v31, v29, vcc_lo
	s_clause 0x1
	global_store_b128 v[20:21], v[0:3], off
	global_store_b128 v[22:23], v[4:7], off
	s_waitcnt lgkmcnt(2)
	global_store_b128 v[24:25], v[8:11], off
	s_waitcnt lgkmcnt(1)
	;; [unrolled: 2-line block ×3, first 2 shown]
	global_store_b128 v[28:29], v[16:19], off
	s_nop 0
	s_sendmsg sendmsg(MSG_DEALLOC_VGPRS)
	s_endpgm
	.section	.rodata,"a",@progbits
	.p2align	6, 0x0
	.amdhsa_kernel _Z39paged_attention_ll4mi_QKV_mfma16_kernelIDF16_hLN4vllm18Fp8KVCacheDataTypeE1EDF16_Li32ELi64ELi256ELb1ELi10EL8MFMAType1EEvPKT_PKT0_S8_ifPKiSA_SA_iPKfiiiPfSD_PS3_PT2_iSC_SC_
		.amdhsa_group_segment_fixed_size 17472
		.amdhsa_private_segment_fixed_size 0
		.amdhsa_kernarg_size 400
		.amdhsa_user_sgpr_count 13
		.amdhsa_user_sgpr_dispatch_ptr 0
		.amdhsa_user_sgpr_queue_ptr 0
		.amdhsa_user_sgpr_kernarg_segment_ptr 1
		.amdhsa_user_sgpr_dispatch_id 0
		.amdhsa_user_sgpr_private_segment_size 0
		.amdhsa_wavefront_size32 1
		.amdhsa_uses_dynamic_stack 0
		.amdhsa_enable_private_segment 0
		.amdhsa_system_sgpr_workgroup_id_x 1
		.amdhsa_system_sgpr_workgroup_id_y 1
		.amdhsa_system_sgpr_workgroup_id_z 1
		.amdhsa_system_sgpr_workgroup_info 0
		.amdhsa_system_vgpr_workitem_id 0
		.amdhsa_next_free_vgpr 146
		.amdhsa_next_free_sgpr 38
		.amdhsa_reserve_vcc 1
		.amdhsa_float_round_mode_32 0
		.amdhsa_float_round_mode_16_64 0
		.amdhsa_float_denorm_mode_32 3
		.amdhsa_float_denorm_mode_16_64 3
		.amdhsa_dx10_clamp 1
		.amdhsa_ieee_mode 1
		.amdhsa_fp16_overflow 0
		.amdhsa_workgroup_processor_mode 1
		.amdhsa_memory_ordered 1
		.amdhsa_forward_progress 0
		.amdhsa_shared_vgpr_count 0
		.amdhsa_exception_fp_ieee_invalid_op 0
		.amdhsa_exception_fp_denorm_src 0
		.amdhsa_exception_fp_ieee_div_zero 0
		.amdhsa_exception_fp_ieee_overflow 0
		.amdhsa_exception_fp_ieee_underflow 0
		.amdhsa_exception_fp_ieee_inexact 0
		.amdhsa_exception_int_div_zero 0
	.end_amdhsa_kernel
	.section	.text._Z39paged_attention_ll4mi_QKV_mfma16_kernelIDF16_hLN4vllm18Fp8KVCacheDataTypeE1EDF16_Li32ELi64ELi256ELb1ELi10EL8MFMAType1EEvPKT_PKT0_S8_ifPKiSA_SA_iPKfiiiPfSD_PS3_PT2_iSC_SC_,"axG",@progbits,_Z39paged_attention_ll4mi_QKV_mfma16_kernelIDF16_hLN4vllm18Fp8KVCacheDataTypeE1EDF16_Li32ELi64ELi256ELb1ELi10EL8MFMAType1EEvPKT_PKT0_S8_ifPKiSA_SA_iPKfiiiPfSD_PS3_PT2_iSC_SC_,comdat
.Lfunc_end899:
	.size	_Z39paged_attention_ll4mi_QKV_mfma16_kernelIDF16_hLN4vllm18Fp8KVCacheDataTypeE1EDF16_Li32ELi64ELi256ELb1ELi10EL8MFMAType1EEvPKT_PKT0_S8_ifPKiSA_SA_iPKfiiiPfSD_PS3_PT2_iSC_SC_, .Lfunc_end899-_Z39paged_attention_ll4mi_QKV_mfma16_kernelIDF16_hLN4vllm18Fp8KVCacheDataTypeE1EDF16_Li32ELi64ELi256ELb1ELi10EL8MFMAType1EEvPKT_PKT0_S8_ifPKiSA_SA_iPKfiiiPfSD_PS3_PT2_iSC_SC_
                                        ; -- End function
	.section	.AMDGPU.csdata,"",@progbits
; Kernel info:
; codeLenInByte = 6548
; NumSgprs: 40
; NumVgprs: 146
; ScratchSize: 0
; MemoryBound: 0
; FloatMode: 240
; IeeeMode: 1
; LDSByteSize: 17472 bytes/workgroup (compile time only)
; SGPRBlocks: 4
; VGPRBlocks: 18
; NumSGPRsForWavesPerEU: 40
; NumVGPRsForWavesPerEU: 146
; Occupancy: 9
; WaveLimiterHint : 1
; COMPUTE_PGM_RSRC2:SCRATCH_EN: 0
; COMPUTE_PGM_RSRC2:USER_SGPR: 13
; COMPUTE_PGM_RSRC2:TRAP_HANDLER: 0
; COMPUTE_PGM_RSRC2:TGID_X_EN: 1
; COMPUTE_PGM_RSRC2:TGID_Y_EN: 1
; COMPUTE_PGM_RSRC2:TGID_Z_EN: 1
; COMPUTE_PGM_RSRC2:TIDIG_COMP_CNT: 0
	.section	.text._Z39paged_attention_ll4mi_QKV_mfma16_kernelIDF16_hLN4vllm18Fp8KVCacheDataTypeE1EDF16_Li32ELi64ELi256ELb1ELi11EL8MFMAType1EEvPKT_PKT0_S8_ifPKiSA_SA_iPKfiiiPfSD_PS3_PT2_iSC_SC_,"axG",@progbits,_Z39paged_attention_ll4mi_QKV_mfma16_kernelIDF16_hLN4vllm18Fp8KVCacheDataTypeE1EDF16_Li32ELi64ELi256ELb1ELi11EL8MFMAType1EEvPKT_PKT0_S8_ifPKiSA_SA_iPKfiiiPfSD_PS3_PT2_iSC_SC_,comdat
	.protected	_Z39paged_attention_ll4mi_QKV_mfma16_kernelIDF16_hLN4vllm18Fp8KVCacheDataTypeE1EDF16_Li32ELi64ELi256ELb1ELi11EL8MFMAType1EEvPKT_PKT0_S8_ifPKiSA_SA_iPKfiiiPfSD_PS3_PT2_iSC_SC_ ; -- Begin function _Z39paged_attention_ll4mi_QKV_mfma16_kernelIDF16_hLN4vllm18Fp8KVCacheDataTypeE1EDF16_Li32ELi64ELi256ELb1ELi11EL8MFMAType1EEvPKT_PKT0_S8_ifPKiSA_SA_iPKfiiiPfSD_PS3_PT2_iSC_SC_
	.globl	_Z39paged_attention_ll4mi_QKV_mfma16_kernelIDF16_hLN4vllm18Fp8KVCacheDataTypeE1EDF16_Li32ELi64ELi256ELb1ELi11EL8MFMAType1EEvPKT_PKT0_S8_ifPKiSA_SA_iPKfiiiPfSD_PS3_PT2_iSC_SC_
	.p2align	8
	.type	_Z39paged_attention_ll4mi_QKV_mfma16_kernelIDF16_hLN4vllm18Fp8KVCacheDataTypeE1EDF16_Li32ELi64ELi256ELb1ELi11EL8MFMAType1EEvPKT_PKT0_S8_ifPKiSA_SA_iPKfiiiPfSD_PS3_PT2_iSC_SC_,@function
_Z39paged_attention_ll4mi_QKV_mfma16_kernelIDF16_hLN4vllm18Fp8KVCacheDataTypeE1EDF16_Li32ELi64ELi256ELb1ELi11EL8MFMAType1EEvPKT_PKT0_S8_ifPKiSA_SA_iPKfiiiPfSD_PS3_PT2_iSC_SC_: ; @_Z39paged_attention_ll4mi_QKV_mfma16_kernelIDF16_hLN4vllm18Fp8KVCacheDataTypeE1EDF16_Li32ELi64ELi256ELb1ELi11EL8MFMAType1EEvPKT_PKT0_S8_ifPKiSA_SA_iPKfiiiPfSD_PS3_PT2_iSC_SC_
; %bb.0:
	s_load_b64 s[2:3], s[0:1], 0x30
	s_mov_b32 s34, s13
	s_waitcnt lgkmcnt(0)
	s_cmp_lg_u64 s[2:3], 0
	s_cselect_b32 s6, -1, 0
	s_ashr_i32 s35, s13, 31
	s_cmp_eq_u64 s[2:3], 0
	s_cbranch_scc1 .LBB900_3
; %bb.1:
	s_lshl_b64 s[4:5], s[34:35], 2
	s_delay_alu instid0(SALU_CYCLE_1) | instskip(SKIP_4) | instid1(SALU_CYCLE_1)
	s_add_u32 s4, s2, s4
	s_addc_u32 s5, s3, s5
	s_load_b64 s[4:5], s[4:5], 0x0
	s_waitcnt lgkmcnt(0)
	s_sub_i32 s4, s5, s4
	s_cmp_eq_u32 s4, 1
	s_cselect_b32 s4, -1, 0
	s_delay_alu instid0(SALU_CYCLE_1)
	s_and_not1_b32 vcc_lo, exec_lo, s4
	s_cbranch_vccz .LBB900_4
.LBB900_2:
	s_nop 0
	s_sendmsg sendmsg(MSG_DEALLOC_VGPRS)
	s_endpgm
.LBB900_3:
.LBB900_4:
	s_load_b64 s[8:9], s[0:1], 0x28
	s_lshl_b64 s[4:5], s[34:35], 2
	s_waitcnt lgkmcnt(0)
	s_add_u32 s8, s8, s4
	s_addc_u32 s9, s9, s5
	s_lshl_b32 s16, s14, 8
	s_load_b32 s18, s[8:9], 0x0
	s_waitcnt lgkmcnt(0)
	s_cmp_ge_i32 s16, s18
	s_cbranch_scc1 .LBB900_2
; %bb.5:
	s_clause 0x1
	s_load_b128 s[8:11], s[0:1], 0x8
	s_load_b64 s[12:13], s[0:1], 0x20
	s_and_not1_b32 vcc_lo, exec_lo, s6
	s_cbranch_vccnz .LBB900_7
; %bb.6:
	s_add_u32 s2, s2, s4
	s_addc_u32 s3, s3, s5
	s_load_b32 s3, s[2:3], 0x0
	s_branch .LBB900_8
.LBB900_7:
	s_mov_b32 s3, s34
.LBB900_8:
	s_load_b128 s[4:7], s[0:1], 0x48
	v_lshrrev_b32_e32 v69, 5, v0
	v_bfe_u32 v66, v0, 4, 1
	v_and_b32_e32 v68, 15, v0
	v_and_b32_e32 v70, 31, v0
	v_and_b32_e32 v67, 1, v0
	s_mul_i32 s33, s15, 11
	v_lshl_or_b32 v1, v69, 1, v66
	v_lshlrev_b32_e32 v2, 3, v68
	v_cmp_gt_u32_e64 s2, 8, v68
	s_delay_alu instid0(VALU_DEP_3) | instskip(NEXT) | instid1(VALU_DEP_3)
	v_cmp_gt_u32_e32 vcc_lo, 11, v1
	v_lshlrev_b32_e32 v65, 1, v2
	s_delay_alu instid0(VALU_DEP_3)
	s_and_b32 s17, s2, vcc_lo
	s_waitcnt lgkmcnt(0)
	s_and_saveexec_b32 s7, s17
	s_cbranch_execz .LBB900_10
; %bb.9:
	s_load_b64 s[20:21], s[0:1], 0x0
	v_add_lshl_u32 v2, v1, s33, 6
	s_mul_hi_i32 s23, s3, s4
	s_mul_i32 s22, s3, s4
	v_lshlrev_b32_e32 v6, 10, v68
	s_lshl_b64 s[22:23], s[22:23], 1
	v_ashrrev_i32_e32 v3, 31, v2
	v_lshlrev_b32_e32 v1, 6, v1
	v_lshlrev_b32_e32 v7, 10, v67
	v_and_b32_e32 v6, 0x3800, v6
	s_delay_alu instid0(VALU_DEP_4) | instskip(NEXT) | instid1(VALU_DEP_2)
	v_lshlrev_b64 v[2:3], 1, v[2:3]
	v_or3_b32 v1, v6, v7, v1
	s_waitcnt lgkmcnt(0)
	s_add_u32 s3, s20, s22
	s_addc_u32 s4, s21, s23
	s_delay_alu instid0(VALU_DEP_2) | instskip(SKIP_1) | instid1(VALU_DEP_2)
	v_add_co_u32 v2, vcc_lo, s3, v2
	v_add_co_ci_u32_e32 v3, vcc_lo, s4, v3, vcc_lo
	v_add_co_u32 v2, vcc_lo, v2, v65
	s_delay_alu instid0(VALU_DEP_2)
	v_add_co_ci_u32_e32 v3, vcc_lo, 0, v3, vcc_lo
	global_load_b128 v[2:5], v[2:3], off
	s_waitcnt vmcnt(0)
	ds_store_b128 v1, v[2:5]
.LBB900_10:
	s_or_b32 exec_lo, exec_lo, s7
	v_and_b32_e32 v1, 0xef, v0
	s_add_i32 s3, s18, 31
	s_clause 0x1
	s_load_b32 s4, s[0:1], 0x38
	s_load_b32 s35, s[0:1], 0x98
	s_ashr_i32 s7, s3, 31
	v_add_nc_u32_e32 v1, s16, v1
	s_lshr_b32 s7, s7, 27
	s_load_b32 s19, s[0:1], 0x1c
	v_add_nc_u32_e32 v103, -11, v68
	s_add_i32 s3, s3, s7
	v_ashrrev_i32_e32 v2, 31, v1
	v_or_b32_e32 v3, 16, v1
	s_ashr_i32 s3, s3, 5
	v_cmp_gt_i32_e32 vcc_lo, s18, v1
	s_add_i32 s3, s3, -1
	v_lshrrev_b32_e32 v2, 27, v2
	s_waitcnt lgkmcnt(0)
	s_barrier
	buffer_gl0_inv
	s_mul_i32 s15, s15, s6
	v_add_nc_u32_e32 v4, v1, v2
	v_mbcnt_lo_u32_b32 v127, -1, 0
	s_mul_i32 s20, s34, s4
	s_delay_alu instid0(SALU_CYCLE_1) | instskip(NEXT) | instid1(VALU_DEP_2)
	s_ashr_i32 s21, s20, 31
	v_ashrrev_i32_e32 v4, 5, v4
	v_add_nc_u32_e32 v2, v3, v2
	s_lshl_b64 s[20:21], s[20:21], 2
	v_xor_b32_e32 v128, 16, v127
	s_add_u32 s17, s12, s20
	v_cndmask_b32_e32 v1, s3, v4, vcc_lo
	v_ashrrev_i32_e32 v2, 5, v2
	v_cmp_gt_i32_e32 vcc_lo, s18, v3
	s_addc_u32 s13, s13, s21
	s_ashr_i32 s20, s15, 31
	s_add_u32 s22, s8, s15
	s_addc_u32 s23, s9, s20
	v_cndmask_b32_e32 v3, s3, v2, vcc_lo
	v_ashrrev_i32_e32 v2, 31, v1
	s_lshl_b32 s6, s14, 3
	s_delay_alu instid0(SALU_CYCLE_1) | instskip(NEXT) | instid1(VALU_DEP_2)
	s_ashr_i32 s7, s6, 31
	v_ashrrev_i32_e32 v4, 31, v3
	s_delay_alu instid0(VALU_DEP_2) | instskip(SKIP_1) | instid1(SALU_CYCLE_1)
	v_lshlrev_b64 v[1:2], 2, v[1:2]
	s_lshl_b64 s[6:7], s[6:7], 2
	s_add_u32 s6, s17, s6
	s_delay_alu instid0(VALU_DEP_2) | instskip(SKIP_1) | instid1(VALU_DEP_2)
	v_lshlrev_b64 v[3:4], 2, v[3:4]
	s_addc_u32 s7, s13, s7
	v_add_co_u32 v1, vcc_lo, s17, v1
	v_add_co_ci_u32_e32 v2, vcc_lo, s13, v2, vcc_lo
	s_delay_alu instid0(VALU_DEP_3) | instskip(NEXT) | instid1(VALU_DEP_4)
	v_add_co_u32 v3, vcc_lo, s17, v3
	v_add_co_ci_u32_e32 v4, vcc_lo, s13, v4, vcc_lo
	s_clause 0x1
	global_load_b32 v5, v[1:2], off
	global_load_b32 v6, v[3:4], off
	s_or_b32 s4, s16, 32
	s_delay_alu instid0(SALU_CYCLE_1) | instskip(SKIP_2) | instid1(SALU_CYCLE_1)
	s_ashr_i32 s8, s4, 5
	s_cmp_lt_i32 s4, s18
	s_cselect_b32 s8, s8, s3
	s_ashr_i32 s9, s8, 31
	s_delay_alu instid0(SALU_CYCLE_1) | instskip(NEXT) | instid1(SALU_CYCLE_1)
	s_lshl_b64 s[8:9], s[8:9], 2
	s_add_u32 s8, s17, s8
	s_addc_u32 s9, s13, s9
	s_or_b32 s4, s16, 64
	s_delay_alu instid0(SALU_CYCLE_1) | instskip(SKIP_2) | instid1(SALU_CYCLE_1)
	s_ashr_i32 s12, s4, 5
	s_cmp_lt_i32 s4, s18
	s_cselect_b32 s24, s12, s3
	s_ashr_i32 s25, s24, 31
	s_delay_alu instid0(SALU_CYCLE_1) | instskip(NEXT) | instid1(SALU_CYCLE_1)
	s_lshl_b64 s[24:25], s[24:25], 2
	s_add_u32 s24, s17, s24
	s_addc_u32 s25, s13, s25
	;; [unrolled: 10-line block ×5, first 2 shown]
	s_clause 0x5
	s_load_b32 s12, s[6:7], 0x0
	s_load_b32 s4, s[8:9], 0x0
	;; [unrolled: 1-line block ×6, first 2 shown]
	s_or_b32 s21, s16, 0xc0
	s_waitcnt vmcnt(1)
	v_mad_i64_i32 v[1:2], null, v5, s5, s[22:23]
	v_lshlrev_b32_e32 v5, 4, v68
	s_waitcnt vmcnt(0)
	v_mad_i64_i32 v[3:4], null, v6, s5, s[22:23]
	s_ashr_i32 s22, s21, 5
	s_cmp_lt_i32 s21, s18
	s_delay_alu instid0(VALU_DEP_3) | instskip(NEXT) | instid1(VALU_DEP_4)
	v_add_co_u32 v1, vcc_lo, v1, v5
	v_add_co_ci_u32_e32 v2, vcc_lo, 0, v2, vcc_lo
	s_delay_alu instid0(VALU_DEP_3) | instskip(NEXT) | instid1(VALU_DEP_4)
	v_add_co_u32 v3, vcc_lo, v3, v5
	v_add_co_ci_u32_e32 v4, vcc_lo, 0, v4, vcc_lo
	s_clause 0x7
	global_load_b128 v[71:74], v[1:2], off
	global_load_b128 v[75:78], v[1:2], off offset:512
	global_load_b128 v[79:82], v[3:4], off offset:256
	;; [unrolled: 1-line block ×7, first 2 shown]
	s_cselect_b32 s22, s22, s3
	v_lshlrev_b32_e32 v1, 5, v68
	s_ashr_i32 s23, s22, 31
	v_cmp_gt_u32_e32 vcc_lo, 11, v68
	s_lshl_b64 s[22:23], s[22:23], 2
	s_delay_alu instid0(SALU_CYCLE_1)
	s_add_u32 s22, s17, s22
	s_addc_u32 s23, s13, s23
	s_or_b32 s21, s16, 0xe0
	v_lshl_or_b32 v1, v69, 9, v1
	s_ashr_i32 s24, s21, 5
	s_cmp_lt_i32 s21, s18
	v_cndmask_b32_e32 v103, v103, v68, vcc_lo
	s_cselect_b32 s24, s24, s3
	s_load_b32 s3, s[22:23], 0x0
	s_ashr_i32 s25, s24, 31
	v_cmp_gt_i32_e32 vcc_lo, 32, v128
	s_lshl_b64 s[24:25], s[24:25], 2
	v_lshlrev_b32_e32 v115, 6, v103
	s_add_u32 s22, s17, s24
	s_addc_u32 s23, s13, s25
	v_cndmask_b32_e32 v136, v127, v128, vcc_lo
	s_add_u32 s10, s10, s15
	s_addc_u32 s11, s11, s20
	v_add_co_u32 v1, s10, s10, v1
	s_delay_alu instid0(VALU_DEP_1) | instskip(SKIP_2) | instid1(VALU_DEP_1)
	v_add_co_ci_u32_e64 v2, null, s11, 0, s10
	s_load_b32 s10, s[22:23], 0x0
	s_waitcnt lgkmcnt(0)
	v_mad_i64_i32 v[3:4], null, s12, s5, v[1:2]
	v_mad_i64_i32 v[9:10], null, s7, s5, v[1:2]
	;; [unrolled: 1-line block ×7, first 2 shown]
	s_clause 0x5
	global_load_b128 v[49:52], v[3:4], off
	global_load_b128 v[53:56], v[3:4], off offset:16
	global_load_b128 v[41:44], v[5:6], off
	global_load_b128 v[45:48], v[5:6], off offset:16
	global_load_b128 v[33:36], v[7:8], off
	global_load_b128 v[37:40], v[7:8], off offset:16
	s_mov_b32 s4, 0
	v_mad_i64_i32 v[61:62], null, s10, s5, v[1:2]
	s_clause 0x9
	global_load_b128 v[1:4], v[9:10], off
	global_load_b128 v[5:8], v[9:10], off offset:16
	global_load_b128 v[9:12], v[13:14], off
	global_load_b128 v[13:16], v[13:14], off offset:16
	;; [unrolled: 2-line block ×5, first 2 shown]
	s_mov_b32 s5, s4
	s_mov_b32 s6, s4
	;; [unrolled: 1-line block ×7, first 2 shown]
	v_and_b32_e32 v104, 0xe0, v0
	v_dual_mov_b32 v126, s11 :: v_dual_mov_b32 v125, s10
	v_dual_mov_b32 v124, s9 :: v_dual_mov_b32 v123, s8
	s_delay_alu instid0(VALU_DEP_3)
	v_add_nc_u32_e32 v111, s16, v104
	ds_load_b128 v[103:106], v115
	ds_load_b128 v[107:110], v115 offset:1024
	v_dual_mov_b32 v122, s7 :: v_dual_mov_b32 v121, s6
	v_mov_b32_e32 v120, s5
	v_or_b32_e32 v135, v111, v66
	ds_load_b128 v[111:114], v115 offset:2048
	ds_load_b128 v[115:118], v115 offset:3072
	v_mov_b32_e32 v119, s4
	s_waitcnt vmcnt(0) lgkmcnt(0)
	s_barrier
	v_or_b32_e32 v137, 2, v135
	v_or_b32_e32 v138, 4, v135
	v_or_b32_e32 v139, 6, v135
	v_cmp_gt_i32_e32 vcc_lo, s18, v135
	v_or_b32_e32 v140, 8, v135
	v_cmp_gt_i32_e64 s3, s18, v137
	v_or_b32_e32 v141, 10, v135
	v_cmp_gt_i32_e64 s4, s18, v138
	v_cmp_gt_i32_e64 s5, s18, v139
	v_or_b32_e32 v142, 12, v135
	v_or_b32_e32 v143, 14, v135
	v_cmp_gt_i32_e64 s6, s18, v140
	v_cmp_gt_i32_e64 s7, s18, v141
	v_or_b32_e32 v144, 16, v135
	v_or_b32_e32 v145, 18, v135
	v_cmp_gt_i32_e64 s8, s18, v142
	v_cmp_gt_i32_e64 s9, s18, v143
	buffer_gl0_inv
	v_cmp_gt_i32_e64 s10, s18, v144
	v_cmp_gt_i32_e64 s11, s18, v145
	v_wmma_f32_16x16x16_f16 v[127:134], v[71:78], v[103:110], v[119:126]
	v_wmma_f32_16x16x16_f16 v[119:126], v[79:86], v[103:110], v[119:126]
	v_or_b32_e32 v71, 20, v135
	v_or_b32_e32 v72, 22, v135
	s_delay_alu instid0(VALU_DEP_4)
	v_wmma_f32_16x16x16_f16 v[127:134], v[87:94], v[111:118], v[127:134]
	v_or_b32_e32 v73, 24, v135
	v_wmma_f32_16x16x16_f16 v[119:126], v[95:102], v[111:118], v[119:126]
	v_or_b32_e32 v74, 26, v135
	v_cmp_gt_i32_e64 s12, s18, v71
	v_dual_mul_f32 v83, s19, v128 :: v_dual_mul_f32 v84, s19, v127
	s_delay_alu instid0(VALU_DEP_4) | instskip(SKIP_1) | instid1(VALU_DEP_3)
	v_dual_mul_f32 v81, s19, v130 :: v_dual_mul_f32 v92, s19, v119
	v_mul_f32_e32 v82, s19, v129
	v_cndmask_b32_e64 v83, 0xff7fffff, v83, s3
	s_delay_alu instid0(VALU_DEP_4)
	v_cndmask_b32_e32 v84, 0xff7fffff, v84, vcc_lo
	v_dual_mul_f32 v79, s19, v132 :: v_dual_mul_f32 v90, s19, v121
	v_mul_f32_e32 v80, s19, v131
	v_cndmask_b32_e64 v82, 0xff7fffff, v82, s4
	v_cndmask_b32_e64 v81, 0xff7fffff, v81, s5
	v_max3_f32 v83, v84, 0xff7fffff, v83
	v_dual_mul_f32 v77, s19, v134 :: v_dual_mul_f32 v88, s19, v123
	v_mul_f32_e32 v78, s19, v133
	v_cndmask_b32_e64 v80, 0xff7fffff, v80, s6
	v_cndmask_b32_e64 v79, 0xff7fffff, v79, s7
	v_max3_f32 v81, v83, v82, v81
	v_mul_f32_e32 v91, s19, v120
	v_cndmask_b32_e64 v78, 0xff7fffff, v78, s8
	v_cndmask_b32_e64 v77, 0xff7fffff, v77, s9
	v_mul_f32_e32 v89, s19, v122
	v_max3_f32 v79, v81, v80, v79
	v_cndmask_b32_e64 v80, 0xff7fffff, v92, s10
	v_cndmask_b32_e64 v81, 0xff7fffff, v91, s11
	v_cmp_gt_i32_e64 s13, s18, v72
	v_or_b32_e32 v75, 28, v135
	v_max3_f32 v77, v79, v78, v77
	v_or_b32_e32 v76, 30, v135
	v_mul_f32_e32 v87, s19, v124
	v_cndmask_b32_e64 v71, 0xff7fffff, v90, s12
	v_cndmask_b32_e64 v72, 0xff7fffff, v89, s13
	v_max3_f32 v77, v77, v80, v81
	v_cmp_gt_i32_e64 s15, s18, v73
	v_cmp_gt_i32_e64 s16, s18, v74
	v_dual_mul_f32 v85, s19, v126 :: v_dual_mul_f32 v86, s19, v125
	s_delay_alu instid0(VALU_DEP_4) | instskip(NEXT) | instid1(VALU_DEP_4)
	v_max3_f32 v71, v77, v71, v72
	v_cndmask_b32_e64 v73, 0xff7fffff, v88, s15
	s_delay_alu instid0(VALU_DEP_4) | instskip(SKIP_2) | instid1(VALU_DEP_3)
	v_cndmask_b32_e64 v74, 0xff7fffff, v87, s16
	v_cmp_gt_i32_e64 s17, s18, v75
	v_cmp_gt_i32_e64 s18, s18, v76
	v_max3_f32 v71, v71, v73, v74
	s_delay_alu instid0(VALU_DEP_3) | instskip(NEXT) | instid1(VALU_DEP_3)
	v_cndmask_b32_e64 v72, 0xff7fffff, v86, s17
	v_cndmask_b32_e64 v75, 0xff7fffff, v85, s18
	v_lshlrev_b32_e32 v73, 2, v136
	s_delay_alu instid0(VALU_DEP_2) | instskip(SKIP_3) | instid1(VALU_DEP_1)
	v_max3_f32 v71, v71, v72, v75
	ds_bpermute_b32 v72, v73, v71
	s_waitcnt lgkmcnt(0)
	v_max_f32_e32 v72, v72, v72
	v_max_f32_e32 v71, v71, v72
	s_delay_alu instid0(VALU_DEP_1)
	v_fma_f32 v72, s19, v127, -v71
	v_fma_f32 v74, s19, v128, -v71
	v_fma_f32 v75, s19, v129, -v71
	v_fma_f32 v76, s19, v130, -v71
	v_fma_f32 v77, s19, v131, -v71
	v_mul_f32_e32 v72, 0x3fb8aa3b, v72
	v_mul_f32_e32 v74, 0x3fb8aa3b, v74
	v_fma_f32 v80, s19, v133, -v71
	s_delay_alu instid0(VALU_DEP_4) | instskip(NEXT) | instid1(VALU_DEP_4)
	v_dual_mul_f32 v76, 0x3fb8aa3b, v76 :: v_dual_mul_f32 v77, 0x3fb8aa3b, v77
	v_exp_f32_e32 v72, v72
	s_delay_alu instid0(VALU_DEP_3) | instskip(NEXT) | instid1(VALU_DEP_2)
	v_exp_f32_e32 v74, v74
	v_mul_f32_e32 v82, 0x3fb8aa3b, v80
	s_delay_alu instid0(VALU_DEP_2) | instskip(SKIP_1) | instid1(VALU_DEP_1)
	v_exp_f32_e32 v76, v76
	v_exp_f32_e32 v77, v77
	;; [unrolled: 1-line block ×3, first 2 shown]
	v_cndmask_b32_e32 v79, 0, v72, vcc_lo
	v_fma_f32 v72, s19, v132, -v71
	v_mul_f32_e32 v75, 0x3fb8aa3b, v75
	v_cndmask_b32_e64 v78, 0, v74, s3
	s_delay_alu instid0(TRANS32_DEP_3)
	v_cndmask_b32_e64 v80, 0, v76, s5
	v_add_f32_e32 v74, 0, v79
	v_mul_f32_e32 v72, 0x3fb8aa3b, v72
	v_exp_f32_e32 v75, v75
	v_cndmask_b32_e64 v83, 0, v77, s6
	v_cndmask_b32_e64 v85, 0, v84, s8
	v_add_f32_e32 v74, v74, v78
	v_exp_f32_e32 v72, v72
	v_cmp_gt_u32_e64 s3, 16, v70
	s_waitcnt_depctr 0xfff
	v_cndmask_b32_e64 v81, 0, v75, s4
	v_cndmask_b32_e64 v82, 0, v72, s7
	s_delay_alu instid0(VALU_DEP_2) | instskip(NEXT) | instid1(VALU_DEP_1)
	v_add_f32_e32 v74, v74, v81
	v_add_f32_e32 v74, v74, v80
	s_delay_alu instid0(VALU_DEP_1) | instskip(SKIP_4) | instid1(VALU_DEP_4)
	v_add_f32_e32 v72, v74, v83
	v_fma_f32 v75, s19, v134, -v71
	v_fma_f32 v76, s19, v119, -v71
	;; [unrolled: 1-line block ×4, first 2 shown]
	v_dual_add_f32 v72, v72, v82 :: v_dual_mul_f32 v75, 0x3fb8aa3b, v75
	s_delay_alu instid0(VALU_DEP_3) | instskip(SKIP_1) | instid1(VALU_DEP_3)
	v_dual_mul_f32 v76, 0x3fb8aa3b, v76 :: v_dual_mul_f32 v77, 0x3fb8aa3b, v77
	v_fma_f32 v86, s19, v122, -v71
	v_add_f32_e32 v72, v72, v85
	s_delay_alu instid0(VALU_DEP_4) | instskip(NEXT) | instid1(VALU_DEP_3)
	v_exp_f32_e32 v75, v75
	v_exp_f32_e32 v76, v76
	;; [unrolled: 1-line block ×3, first 2 shown]
	v_mul_f32_e32 v86, 0x3fb8aa3b, v86
	s_delay_alu instid0(VALU_DEP_1) | instskip(SKIP_3) | instid1(TRANS32_DEP_3)
	v_exp_f32_e32 v88, v86
	v_cndmask_b32_e64 v84, 0, v75, s9
	v_fma_f32 v75, s19, v123, -v71
	v_mul_f32_e32 v74, 0x3fb8aa3b, v74
	v_cndmask_b32_e64 v87, 0, v76, s10
	v_fma_f32 v76, s19, v124, -v71
	s_delay_alu instid0(VALU_DEP_4) | instskip(NEXT) | instid1(VALU_DEP_4)
	v_dual_add_f32 v72, v72, v84 :: v_dual_mul_f32 v75, 0x3fb8aa3b, v75
	v_exp_f32_e32 v74, v74
	v_cndmask_b32_e64 v86, 0, v77, s11
	v_fma_f32 v77, s19, v125, -v71
	s_delay_alu instid0(VALU_DEP_3) | instskip(SKIP_3) | instid1(VALU_DEP_3)
	v_add_f32_e32 v72, v72, v87
	v_mul_f32_e32 v76, 0x3fb8aa3b, v76
	v_exp_f32_e32 v75, v75
	v_cndmask_b32_e64 v88, 0, v88, s13
	v_add_f32_e32 v72, v72, v86
	s_delay_alu instid0(VALU_DEP_3) | instskip(NEXT) | instid1(TRANS32_DEP_3)
	v_exp_f32_e32 v76, v76
	v_cndmask_b32_e64 v89, 0, v74, s12
	v_mul_f32_e32 v74, 0x3fb8aa3b, v77
	v_fma_f32 v77, s19, v126, -v71
	s_delay_alu instid0(VALU_DEP_3) | instskip(NEXT) | instid1(VALU_DEP_3)
	v_add_f32_e32 v72, v72, v89
	v_exp_f32_e32 v74, v74
	s_delay_alu instid0(TRANS32_DEP_3) | instskip(NEXT) | instid1(VALU_DEP_3)
	v_cndmask_b32_e64 v91, 0, v75, s15
	v_mul_f32_e32 v75, 0x3fb8aa3b, v77
	s_delay_alu instid0(TRANS32_DEP_2) | instskip(SKIP_1) | instid1(VALU_DEP_3)
	v_cndmask_b32_e64 v90, 0, v76, s16
	v_add_f32_e32 v72, v72, v88
	v_exp_f32_e32 v75, v75
	s_delay_alu instid0(VALU_DEP_1) | instskip(NEXT) | instid1(TRANS32_DEP_2)
	v_add_f32_e32 v72, v72, v91
	v_cndmask_b32_e64 v93, 0, v74, s17
	s_delay_alu instid0(VALU_DEP_2) | instskip(SKIP_3) | instid1(VALU_DEP_1)
	v_add_f32_e32 v72, v72, v90
	s_waitcnt_depctr 0xfff
	v_cndmask_b32_e64 v92, 0, v75, s18
	v_add_f32_e32 v72, v72, v93
	v_add_f32_e32 v72, v72, v92
	ds_bpermute_b32 v73, v73, v72
	s_and_saveexec_b32 s4, s3
	s_cbranch_execz .LBB900_12
; %bb.11:
	v_mul_u32_u24_e32 v70, 0x44, v69
	s_waitcnt lgkmcnt(0)
	v_add_f32_e32 v72, v72, v73
	s_delay_alu instid0(VALU_DEP_2) | instskip(NEXT) | instid1(VALU_DEP_1)
	v_lshl_add_u32 v70, v68, 2, v70
	v_add_nc_u32_e32 v70, 0x4000, v70
	ds_store_2addr_b32 v70, v71, v72 offset1:136
.LBB900_12:
	s_or_b32 exec_lo, exec_lo, s4
	v_lshlrev_b32_e32 v70, 2, v68
	s_load_b32 s36, s[0:1], 0x94
	s_waitcnt lgkmcnt(0)
	s_barrier
	buffer_gl0_inv
	v_add_nc_u32_e32 v98, 0x4000, v70
	v_cmp_eq_u32_e32 vcc_lo, 1, v69
	v_cmp_eq_u32_e64 s4, 2, v69
	v_cmp_eq_u32_e64 s5, 3, v69
	;; [unrolled: 1-line block ×3, first 2 shown]
	ds_load_2addr_b32 v[70:71], v98 offset1:17
	ds_load_2addr_b32 v[72:73], v98 offset0:34 offset1:51
	ds_load_2addr_b32 v[74:75], v98 offset0:68 offset1:85
	;; [unrolled: 1-line block ×3, first 2 shown]
	v_cmp_eq_u32_e64 s7, 5, v69
	v_cmp_eq_u32_e64 s8, 7, v69
	s_waitcnt lgkmcnt(3)
	v_max3_f32 v76, v70, 0xff7fffff, v71
	s_waitcnt lgkmcnt(2)
	s_delay_alu instid0(VALU_DEP_1) | instskip(SKIP_1) | instid1(VALU_DEP_1)
	v_max3_f32 v76, v76, v72, v73
	s_waitcnt lgkmcnt(1)
	v_max3_f32 v76, v76, v74, v75
	s_waitcnt lgkmcnt(0)
	s_delay_alu instid0(VALU_DEP_1) | instskip(NEXT) | instid1(VALU_DEP_1)
	v_max3_f32 v76, v76, v94, v95
	v_sub_f32_e32 v77, v71, v76
	ds_load_2addr_b32 v[96:97], v98 offset0:136 offset1:153
	v_sub_f32_e32 v74, v74, v76
	v_sub_f32_e32 v70, v70, v76
	;; [unrolled: 1-line block ×3, first 2 shown]
	v_dual_sub_f32 v72, v72, v76 :: v_dual_mul_f32 v77, 0x3fb8aa3b, v77
	s_delay_alu instid0(VALU_DEP_4) | instskip(NEXT) | instid1(VALU_DEP_4)
	v_mul_f32_e32 v103, 0x3fb8aa3b, v74
	v_mul_f32_e32 v99, 0x3fb8aa3b, v70
	ds_load_2addr_b32 v[70:71], v98 offset0:170 offset1:187
	v_dual_mul_f32 v101, 0x3fb8aa3b, v72 :: v_dual_mul_f32 v94, 0x3fb8aa3b, v94
	v_exp_f32_e32 v102, v77
	v_exp_f32_e32 v99, v99
	s_delay_alu instid0(VALU_DEP_1) | instskip(NEXT) | instid1(VALU_DEP_1)
	v_exp_f32_e32 v101, v101
	v_exp_f32_e32 v94, v94
	s_waitcnt lgkmcnt(1)
	s_delay_alu instid0(TRANS32_DEP_3)
	v_fma_f32 v77, v99, v96, 0
	v_sub_f32_e32 v100, v73, v76
	ds_load_2addr_b32 v[72:73], v98 offset0:204 offset1:221
	v_fmac_f32_e32 v77, v102, v97
	v_exp_f32_e32 v97, v103
	s_waitcnt lgkmcnt(1)
	s_delay_alu instid0(VALU_DEP_1)
	v_dual_fmac_f32 v77, v101, v70 :: v_dual_sub_f32 v96, v75, v76
	ds_load_2addr_b32 v[74:75], v98 offset0:238 offset1:255
	v_sub_f32_e32 v70, v95, v76
	s_waitcnt lgkmcnt(0)
	s_barrier
	v_mul_f32_e32 v96, 0x3fb8aa3b, v96
	buffer_gl0_inv
	v_exp_f32_e32 v95, v96
	v_mul_f32_e32 v100, 0x3fb8aa3b, v100
	s_delay_alu instid0(VALU_DEP_1) | instskip(SKIP_3) | instid1(VALU_DEP_2)
	v_exp_f32_e32 v100, v100
	s_waitcnt_depctr 0xfff
	v_dual_fmac_f32 v77, v100, v71 :: v_dual_mul_f32 v70, 0x3fb8aa3b, v70
	v_cndmask_b32_e32 v71, v99, v102, vcc_lo
	v_fmac_f32_e32 v77, v97, v72
	s_delay_alu instid0(VALU_DEP_3) | instskip(NEXT) | instid1(VALU_DEP_1)
	v_exp_f32_e32 v96, v70
	v_fmac_f32_e32 v77, v95, v73
	s_delay_alu instid0(VALU_DEP_1) | instskip(SKIP_2) | instid1(VALU_DEP_1)
	v_fmac_f32_e32 v77, v94, v74
	s_waitcnt_depctr 0xfff
	v_fmac_f32_e32 v77, v96, v75
	v_add_f32_e32 v74, 0x358637bd, v77
	s_delay_alu instid0(VALU_DEP_1) | instskip(SKIP_1) | instid1(VALU_DEP_2)
	v_div_scale_f32 v98, null, v74, v74, 1.0
	v_div_scale_f32 v99, vcc_lo, 1.0, v74, 1.0
	v_rcp_f32_e32 v103, v98
	s_waitcnt_depctr 0xfff
	v_fma_f32 v70, -v98, v103, 1.0
	s_delay_alu instid0(VALU_DEP_1) | instskip(SKIP_2) | instid1(VALU_DEP_2)
	v_fmac_f32_e32 v103, v70, v103
	v_cndmask_b32_e64 v70, v71, v101, s4
	v_cmp_eq_u32_e64 s4, 6, v69
	v_cndmask_b32_e64 v71, v70, v100, s5
	s_delay_alu instid0(VALU_DEP_4) | instskip(NEXT) | instid1(VALU_DEP_2)
	v_dual_mul_f32 v101, v99, v103 :: v_dual_lshlrev_b32 v70, 2, v66
	v_cndmask_b32_e64 v71, v71, v97, s6
	s_delay_alu instid0(VALU_DEP_2) | instskip(NEXT) | instid1(VALU_DEP_3)
	v_or_b32_e32 v72, 1, v70
	v_fma_f32 v100, -v98, v101, v99
	v_cmp_eq_u32_e64 s5, 1, v70
	v_cmp_eq_u32_e64 s6, 2, v70
	v_cndmask_b32_e64 v95, v71, v95, s7
	v_or_b32_e32 v71, 3, v70
	v_fmac_f32_e32 v101, v100, v103
	v_cmp_eq_u32_e64 s10, 1, v72
	v_cmp_eq_u32_e64 s13, 2, v72
	v_cndmask_b32_e64 v94, v95, v94, s4
	v_cmp_eq_u32_e64 s12, 1, v71
	v_fma_f32 v97, -v98, v101, v99
	v_cmp_eq_u32_e64 s17, 2, v71
	v_cmp_eq_u32_e64 s15, 3, v72
	v_cndmask_b32_e64 v94, v94, v96, s8
	v_cmp_eq_u32_e64 s19, 3, v71
	v_div_fmas_f32 v95, v97, v103, v101
	v_cmp_eq_u32_e32 vcc_lo, 3, v70
	v_cmp_eq_u32_e64 s4, 4, v70
	v_cmp_eq_u32_e64 s20, 4, v72
	v_cmp_eq_u32_e64 s23, 4, v71
	v_div_fixup_f32 v95, v95, v74, 1.0
	v_lshlrev_b32_e32 v73, 6, v68
	v_cmp_eq_u32_e64 s7, 5, v70
	v_cmp_eq_u32_e64 s21, 5, v72
	;; [unrolled: 1-line block ×3, first 2 shown]
	v_mul_f32_e32 v102, v94, v95
	v_lshl_or_b32 v75, v69, 11, v73
	v_or_b32_e32 v69, 2, v70
	v_cmp_eq_u32_e64 s26, 6, v72
	v_cmp_eq_u32_e64 s28, 6, v71
	v_fma_mixlo_f16 v94, v102, v79, 0
	v_fma_mixlo_f16 v95, v102, v81, 0
	;; [unrolled: 1-line block ×8, first 2 shown]
	v_lshl_or_b32 v74, v66, 4, v75
	v_fma_mixhi_f16 v94, v102, v78, 0
	v_fma_mixhi_f16 v95, v102, v80, 0
	;; [unrolled: 1-line block ×8, first 2 shown]
	ds_store_b128 v74, v[94:97]
	ds_store_b128 v74, v[98:101] offset:1024
	s_waitcnt lgkmcnt(0)
	s_barrier
	buffer_gl0_inv
	ds_load_b128 v[78:81], v75
	ds_load_b128 v[82:85], v75 offset:16
	ds_load_b128 v[86:89], v75 offset:1024
	ds_load_b128 v[90:93], v75 offset:1040
	v_cmp_eq_u32_e64 s11, 1, v69
	v_cmp_eq_u32_e64 s16, 2, v69
	;; [unrolled: 1-line block ×11, first 2 shown]
	s_waitcnt lgkmcnt(3)
	v_lshrrev_b32_e32 v94, 16, v78
	s_waitcnt lgkmcnt(2)
	v_lshrrev_b32_e32 v98, 16, v82
	;; [unrolled: 2-line block ×4, first 2 shown]
	v_lshrrev_b32_e32 v95, 16, v79
	v_cndmask_b32_e64 v110, v78, v94, s5
	v_cndmask_b32_e64 v111, v82, v98, s5
	;; [unrolled: 1-line block ×8, first 2 shown]
	v_lshrrev_b32_e32 v99, 16, v83
	v_cndmask_b32_e64 v94, v86, v102, s5
	v_cndmask_b32_e64 v98, v90, v106, s5
	;; [unrolled: 1-line block ×15, first 2 shown]
	v_lshrrev_b32_e32 v103, 16, v87
	v_lshrrev_b32_e32 v107, 16, v91
	v_cndmask_b32_e64 v113, v115, v83, s16
	v_cndmask_b32_e64 v82, v94, v87, s6
	;; [unrolled: 1-line block ×7, first 2 shown]
	v_cndmask_b32_e32 v90, v102, v95, vcc_lo
	v_cndmask_b32_e32 v102, v106, v99, vcc_lo
	v_cndmask_b32_e64 v106, v110, v95, s15
	v_cndmask_b32_e64 v110, v111, v99, s15
	;; [unrolled: 1-line block ×4, first 2 shown]
	v_lshrrev_b32_e32 v96, 16, v80
	v_lshrrev_b32_e32 v100, 16, v84
	v_cndmask_b32_e64 v111, v112, v95, s18
	v_cndmask_b32_e64 v112, v113, v99, s18
	v_cndmask_b32_e32 v82, v82, v103, vcc_lo
	v_cndmask_b32_e32 v83, v83, v107, vcc_lo
	v_cndmask_b32_e64 v94, v94, v103, s15
	v_cndmask_b32_e64 v90, v90, v80, s4
	;; [unrolled: 1-line block ×7, first 2 shown]
	v_lshrrev_b32_e32 v104, 16, v88
	v_cndmask_b32_e64 v106, v111, v80, s22
	v_cndmask_b32_e64 v110, v112, v84, s22
	;; [unrolled: 1-line block ×11, first 2 shown]
	v_lshrrev_b32_e32 v97, 16, v81
	v_lshrrev_b32_e32 v101, 16, v85
	v_cndmask_b32_e64 v99, v106, v96, s24
	v_cndmask_b32_e64 v102, v110, v100, s24
	;; [unrolled: 1-line block ×7, first 2 shown]
	v_lshrrev_b32_e32 v105, 16, v89
	v_cndmask_b32_e64 v80, v80, v104, s7
	v_cndmask_b32_e64 v84, v84, v81, s8
	;; [unrolled: 1-line block ×16, first 2 shown]
	v_perm_b32 v81, v79, v78, 0x5040100
	v_perm_b32 v79, v95, v85, 0x5040100
	v_cndmask_b32_e64 v78, v119, v91, s16
	v_cndmask_b32_e64 v85, v117, v91, s13
	;; [unrolled: 1-line block ×3, first 2 shown]
	v_perm_b32 v80, v94, v90, 0x5040100
	v_cndmask_b32_e64 v90, v98, v103, s18
	v_cndmask_b32_e64 v86, v86, v103, s19
	;; [unrolled: 1-line block ×5, first 2 shown]
	v_lshrrev_b32_e32 v108, 16, v92
	v_cndmask_b32_e64 v90, v90, v88, s22
	v_cndmask_b32_e64 v86, v86, v88, s23
	;; [unrolled: 1-line block ×11, first 2 shown]
	v_lshrrev_b32_e32 v109, 16, v93
	v_cndmask_b32_e64 v82, v82, v93, s8
	v_cndmask_b32_e64 v88, v88, v89, s27
	v_cndmask_b32_e64 v86, v86, v89, s28
	v_cndmask_b32_e64 v87, v87, v93, s28
	v_cndmask_b32_e64 v78, v78, v93, s27
	v_cndmask_b32_e64 v85, v85, v93, s26
	v_cndmask_b32_e64 v88, v88, v105, s29
	v_cndmask_b32_e64 v86, v86, v105, s30
	v_cndmask_b32_e64 v87, v87, v109, s30
	v_cndmask_b32_e64 v89, v78, v109, s29
	v_cndmask_b32_e64 v90, v85, v109, s31
	v_cndmask_b32_e64 v82, v82, v109, s9
	v_perm_b32 v78, v84, v83, 0x5040100
	v_perm_b32 v85, v87, v86, 0x5040100
	;; [unrolled: 1-line block ×5, first 2 shown]
	s_mul_i32 s9, s35, 11
	s_mov_b32 s4, exec_lo
	ds_store_b128 v74, v[78:81]
	ds_store_b128 v74, v[82:85] offset:1024
	v_cmpx_gt_u32_e32 11, v0
	s_cbranch_execz .LBB900_14
; %bb.13:
	s_mul_i32 s5, s9, s34
	s_load_b128 s[16:19], s[0:1], 0x58
	v_add3_u32 v68, s5, s33, v68
	s_delay_alu instid0(VALU_DEP_1) | instskip(NEXT) | instid1(VALU_DEP_1)
	v_mad_u64_u32 v[78:79], null, v68, s36, s[14:15]
	v_ashrrev_i32_e32 v79, 31, v78
	s_delay_alu instid0(VALU_DEP_1) | instskip(SKIP_1) | instid1(VALU_DEP_1)
	v_lshlrev_b64 v[78:79], 2, v[78:79]
	s_waitcnt lgkmcnt(0)
	v_add_co_u32 v80, vcc_lo, s18, v78
	s_delay_alu instid0(VALU_DEP_2)
	v_add_co_ci_u32_e32 v81, vcc_lo, s19, v79, vcc_lo
	v_add_co_u32 v78, vcc_lo, s16, v78
	v_add_co_ci_u32_e32 v79, vcc_lo, s17, v79, vcc_lo
	global_store_b32 v[80:81], v76, off
	global_store_b32 v[78:79], v77, off
.LBB900_14:
	s_or_b32 exec_lo, exec_lo, s4
	s_waitcnt lgkmcnt(0)
	s_waitcnt_vscnt null, 0x0
	s_barrier
	buffer_gl0_inv
	ds_load_b128 v[84:87], v73
	ds_load_b128 v[88:91], v73 offset:16
	ds_load_b128 v[96:99], v73 offset:2064
	;; [unrolled: 1-line block ×5, first 2 shown]
	v_cmp_eq_u32_e32 vcc_lo, 1, v70
	v_mov_b32_e32 v76, 0
	ds_load_b128 v[112:115], v73 offset:6160
	ds_load_b128 v[108:111], v73 offset:6144
	;; [unrolled: 1-line block ×4, first 2 shown]
	v_cmp_eq_u32_e64 s5, 1, v69
	v_cmp_eq_u32_e64 s4, 1, v72
	;; [unrolled: 1-line block ×3, first 2 shown]
	v_mov_b32_e32 v77, v76
	v_mov_b32_e32 v78, v76
	;; [unrolled: 1-line block ×7, first 2 shown]
	v_cmp_eq_u32_e64 s7, 3, v72
	v_cmp_eq_u32_e64 s8, 7, v72
	s_waitcnt lgkmcnt(8)
	s_delay_alu instid0(VALU_DEP_3)
	v_wmma_f32_16x16x16_f16 v[76:83], v[49:56], v[84:91], v[76:83]
	ds_load_b128 v[53:56], v73 offset:10256
	ds_load_b128 v[49:52], v73 offset:10240
	s_waitcnt lgkmcnt(8)
	v_wmma_f32_16x16x16_f16 v[76:83], v[41:48], v[92:99], v[76:83]
	ds_load_b128 v[45:48], v73 offset:12304
	ds_load_b128 v[41:44], v73 offset:12288
	s_waitcnt lgkmcnt(8)
	;; [unrolled: 4-line block ×3, first 2 shown]
	s_barrier
	buffer_gl0_inv
	v_wmma_f32_16x16x16_f16 v[76:83], v[1:8], v[108:115], v[76:83]
	s_delay_alu instid0(VALU_DEP_1) | instskip(NEXT) | instid1(VALU_DEP_1)
	v_wmma_f32_16x16x16_f16 v[76:83], v[9:16], v[116:123], v[76:83]
	v_wmma_f32_16x16x16_f16 v[76:83], v[17:24], v[49:56], v[76:83]
	s_delay_alu instid0(VALU_DEP_1) | instskip(NEXT) | instid1(VALU_DEP_1)
	v_wmma_f32_16x16x16_f16 v[76:83], v[25:32], v[41:48], v[76:83]
	v_wmma_f32_16x16x16_f16 v[76:83], v[57:64], v[33:40], v[76:83]
	s_delay_alu instid0(VALU_DEP_1) | instskip(NEXT) | instid1(VALU_DEP_2)
	v_cvt_f16_f32_e32 v1, v76
	v_cvt_f16_f32_e32 v2, v77
	s_delay_alu instid0(VALU_DEP_3) | instskip(NEXT) | instid1(VALU_DEP_4)
	v_cvt_f16_f32_e32 v3, v78
	v_cvt_f16_f32_e32 v4, v79
	;; [unrolled: 1-line block ×6, first 2 shown]
	v_pack_b32_f16 v1, v1, v2
	v_pack_b32_f16 v2, v3, v4
	;; [unrolled: 1-line block ×3, first 2 shown]
	s_delay_alu instid0(VALU_DEP_4)
	v_pack_b32_f16 v4, v7, v8
	ds_store_b128 v74, v[1:4]
	s_waitcnt lgkmcnt(0)
	s_barrier
	buffer_gl0_inv
	ds_load_b128 v[1:4], v75
	ds_load_b128 v[5:8], v75 offset:16
	s_waitcnt lgkmcnt(1)
	v_lshrrev_b32_e32 v9, 16, v1
	s_waitcnt lgkmcnt(0)
	v_lshrrev_b32_e32 v13, 16, v5
	v_lshrrev_b32_e32 v10, 16, v2
	;; [unrolled: 1-line block ×4, first 2 shown]
	v_cndmask_b32_e32 v17, v1, v9, vcc_lo
	v_cndmask_b32_e32 v18, v5, v13, vcc_lo
	v_cndmask_b32_e64 v21, v1, v9, s5
	v_cmp_eq_u32_e32 vcc_lo, 1, v71
	v_cndmask_b32_e64 v22, v5, v13, s5
	v_cmp_eq_u32_e64 s5, 2, v70
	v_cndmask_b32_e64 v19, v1, v9, s4
	v_cndmask_b32_e64 v20, v5, v13, s4
	v_cndmask_b32_e32 v1, v1, v9, vcc_lo
	v_cmp_eq_u32_e64 s4, 2, v71
	v_cndmask_b32_e32 v5, v5, v13, vcc_lo
	v_cndmask_b32_e64 v9, v17, v2, s5
	v_cmp_eq_u32_e32 vcc_lo, 3, v70
	v_cndmask_b32_e64 v13, v18, v6, s5
	v_cmp_eq_u32_e64 s5, 2, v69
	v_cndmask_b32_e64 v17, v19, v2, s6
	v_cndmask_b32_e64 v18, v20, v6, s6
	v_cmp_eq_u32_e64 s6, 3, v69
	v_cndmask_b32_e64 v1, v1, v2, s4
	v_cndmask_b32_e64 v19, v21, v2, s5
	;; [unrolled: 1-line block ×4, first 2 shown]
	v_cndmask_b32_e32 v5, v9, v10, vcc_lo
	v_cndmask_b32_e32 v6, v13, v14, vcc_lo
	v_cmp_eq_u32_e32 vcc_lo, 3, v71
	v_cndmask_b32_e64 v9, v17, v10, s7
	v_cndmask_b32_e64 v13, v18, v14, s7
	;; [unrolled: 1-line block ×3, first 2 shown]
	v_cmp_eq_u32_e64 s5, 4, v70
	v_cndmask_b32_e32 v1, v1, v10, vcc_lo
	v_cndmask_b32_e32 v2, v2, v14, vcc_lo
	v_cmp_eq_u32_e32 vcc_lo, 4, v72
	v_lshrrev_b32_e32 v15, 16, v7
	v_lshrrev_b32_e32 v16, 16, v8
	v_cndmask_b32_e64 v17, v19, v10, s6
	v_cmp_eq_u32_e64 s4, 4, v71
	v_cndmask_b32_e64 v5, v5, v3, s5
	v_cndmask_b32_e64 v6, v6, v7, s5
	v_cndmask_b32_e32 v9, v9, v3, vcc_lo
	v_cmp_eq_u32_e64 s5, 5, v72
	v_cndmask_b32_e32 v10, v13, v7, vcc_lo
	v_cmp_eq_u32_e32 vcc_lo, 4, v69
	v_cmp_eq_u32_e64 s6, 5, v70
	v_cndmask_b32_e64 v2, v2, v7, s4
	v_cndmask_b32_e64 v9, v9, v11, s5
	;; [unrolled: 1-line block ×3, first 2 shown]
	v_cndmask_b32_e32 v13, v17, v3, vcc_lo
	v_cmp_eq_u32_e64 s5, 5, v69
	v_cndmask_b32_e32 v14, v18, v7, vcc_lo
	v_cndmask_b32_e64 v1, v1, v3, s4
	v_cmp_eq_u32_e32 vcc_lo, 5, v71
	v_lshrrev_b32_e32 v12, 16, v4
	v_cndmask_b32_e64 v13, v13, v11, s5
	v_cndmask_b32_e64 v3, v14, v15, s5
	v_cmp_eq_u32_e64 s5, 6, v71
	v_cndmask_b32_e32 v1, v1, v11, vcc_lo
	v_cndmask_b32_e64 v5, v5, v11, s6
	v_cmp_eq_u32_e64 s7, 6, v70
	v_cndmask_b32_e64 v6, v6, v15, s6
	v_cmp_eq_u32_e64 s6, 6, v72
	v_cmp_eq_u32_e64 s4, 6, v69
	v_cndmask_b32_e64 v1, v1, v4, s5
	v_cndmask_b32_e32 v2, v2, v15, vcc_lo
	v_cmp_eq_u32_e32 vcc_lo, 7, v71
	v_cndmask_b32_e64 v5, v5, v4, s7
	v_cndmask_b32_e64 v9, v9, v4, s6
	;; [unrolled: 1-line block ×3, first 2 shown]
	v_cmp_eq_u32_e64 s7, 7, v70
	v_cndmask_b32_e32 v1, v1, v12, vcc_lo
	v_cndmask_b32_e64 v7, v13, v4, s4
	v_cndmask_b32_e64 v3, v3, v8, s4
	;; [unrolled: 1-line block ×3, first 2 shown]
	v_cmp_eq_u32_e64 s4, 7, v69
	v_cndmask_b32_e64 v4, v10, v8, s6
	v_cndmask_b32_e64 v5, v5, v12, s7
	v_cndmask_b32_e64 v9, v9, v12, s8
	v_cndmask_b32_e32 v2, v2, v16, vcc_lo
	v_cndmask_b32_e64 v7, v7, v12, s4
	v_cndmask_b32_e64 v3, v3, v16, s4
	;; [unrolled: 1-line block ×4, first 2 shown]
	v_cmp_gt_u32_e32 vcc_lo, 32, v0
	v_perm_b32 v4, v2, v1, 0x5040100
	v_perm_b32 v3, v3, v7, 0x5040100
	;; [unrolled: 1-line block ×4, first 2 shown]
	s_and_b32 s2, vcc_lo, s2
	ds_store_b128 v74, v[1:4]
	s_waitcnt lgkmcnt(0)
	s_barrier
	buffer_gl0_inv
	s_and_saveexec_b32 s4, s2
	s_cbranch_execz .LBB900_2
; %bb.15:
	s_load_b64 s[4:5], s[0:1], 0x68
	v_lshlrev_b32_e32 v0, 10, v0
	v_lshlrev_b32_e32 v1, 4, v67
	s_lshl_b32 s0, s36, 6
	v_add_nc_u32_e32 v7, s33, v66
	s_mul_i32 s1, s0, s34
	s_delay_alu instid0(SALU_CYCLE_1) | instskip(SKIP_1) | instid1(VALU_DEP_2)
	s_mul_i32 s6, s1, s9
	v_and_or_b32 v0, 0x3800, v0, v1
	v_mul_lo_u32 v1, v7, s0
	v_add_nc_u32_e32 v2, 2, v7
	s_ashr_i32 s7, s6, 31
	v_add_nc_u32_e32 v4, 4, v7
	s_lshl_b64 s[6:7], s[6:7], 1
	v_add_nc_u32_e32 v8, 6, v7
	v_mul_lo_u32 v3, v2, s0
	v_lshl_or_b32 v19, v66, 6, v0
	v_ashrrev_i32_e32 v2, 31, v1
	v_mul_lo_u32 v11, v4, s0
	v_mul_lo_u32 v25, v8, s0
	s_waitcnt lgkmcnt(0)
	s_add_u32 s1, s4, s6
	s_addc_u32 s2, s5, s7
	s_lshl_b32 s4, s14, 6
	v_lshlrev_b64 v[5:6], 1, v[1:2]
	s_ashr_i32 s5, s4, 31
	v_ashrrev_i32_e32 v4, 31, v3
	s_lshl_b64 s[4:5], s[4:5], 1
	v_ashrrev_i32_e32 v12, 31, v11
	s_add_u32 s1, s1, s4
	s_addc_u32 s2, s2, s5
	v_add_co_u32 v1, s1, s1, v65
	s_delay_alu instid0(VALU_DEP_1) | instskip(SKIP_1) | instid1(VALU_DEP_3)
	v_add_co_ci_u32_e64 v2, null, s2, 0, s1
	v_lshlrev_b64 v[3:4], 1, v[3:4]
	v_add_co_u32 v23, vcc_lo, v1, v5
	v_add_nc_u32_e32 v5, 8, v7
	s_delay_alu instid0(VALU_DEP_4) | instskip(NEXT) | instid1(VALU_DEP_4)
	v_add_co_ci_u32_e32 v24, vcc_lo, v2, v6, vcc_lo
	v_add_co_u32 v27, vcc_lo, v1, v3
	s_delay_alu instid0(VALU_DEP_3)
	v_mul_lo_u32 v29, v5, s0
	v_add_co_ci_u32_e32 v28, vcc_lo, v2, v4, vcc_lo
	ds_load_b128 v[3:6], v19
	ds_load_b128 v[7:10], v19 offset:128
	v_lshlrev_b64 v[31:32], 1, v[11:12]
	ds_load_b128 v[11:14], v19 offset:256
	ds_load_b128 v[15:18], v19 offset:384
	;; [unrolled: 1-line block ×3, first 2 shown]
	v_ashrrev_i32_e32 v26, 31, v25
	v_ashrrev_i32_e32 v30, 31, v29
	v_add_co_u32 v31, vcc_lo, v1, v31
	s_delay_alu instid0(VALU_DEP_3) | instskip(NEXT) | instid1(VALU_DEP_3)
	v_lshlrev_b64 v[25:26], 1, v[25:26]
	v_lshlrev_b64 v[29:30], 1, v[29:30]
	v_add_co_ci_u32_e32 v32, vcc_lo, v2, v32, vcc_lo
	s_delay_alu instid0(VALU_DEP_3) | instskip(NEXT) | instid1(VALU_DEP_4)
	v_add_co_u32 v25, vcc_lo, v1, v25
	v_add_co_ci_u32_e32 v26, vcc_lo, v2, v26, vcc_lo
	s_delay_alu instid0(VALU_DEP_4)
	v_add_co_u32 v29, vcc_lo, v1, v29
	v_add_co_ci_u32_e32 v30, vcc_lo, v2, v30, vcc_lo
	s_waitcnt lgkmcnt(4)
	global_store_b128 v[23:24], v[3:6], off
	s_waitcnt lgkmcnt(3)
	global_store_b128 v[27:28], v[7:10], off
	;; [unrolled: 2-line block ×5, first 2 shown]
	s_and_b32 exec_lo, exec_lo, s3
	s_cbranch_execz .LBB900_2
; %bb.16:
	ds_load_b128 v[3:6], v0 offset:640
	s_add_i32 s1, s33, 10
	s_delay_alu instid0(SALU_CYCLE_1) | instskip(NEXT) | instid1(SALU_CYCLE_1)
	s_mul_i32 s0, s1, s0
	s_ashr_i32 s1, s0, 31
	s_delay_alu instid0(SALU_CYCLE_1) | instskip(NEXT) | instid1(SALU_CYCLE_1)
	s_lshl_b64 s[0:1], s[0:1], 1
	v_add_co_u32 v0, vcc_lo, v1, s0
	v_add_co_ci_u32_e32 v1, vcc_lo, s1, v2, vcc_lo
	s_waitcnt lgkmcnt(0)
	global_store_b128 v[0:1], v[3:6], off
	s_nop 0
	s_sendmsg sendmsg(MSG_DEALLOC_VGPRS)
	s_endpgm
	.section	.rodata,"a",@progbits
	.p2align	6, 0x0
	.amdhsa_kernel _Z39paged_attention_ll4mi_QKV_mfma16_kernelIDF16_hLN4vllm18Fp8KVCacheDataTypeE1EDF16_Li32ELi64ELi256ELb1ELi11EL8MFMAType1EEvPKT_PKT0_S8_ifPKiSA_SA_iPKfiiiPfSD_PS3_PT2_iSC_SC_
		.amdhsa_group_segment_fixed_size 17472
		.amdhsa_private_segment_fixed_size 0
		.amdhsa_kernarg_size 400
		.amdhsa_user_sgpr_count 13
		.amdhsa_user_sgpr_dispatch_ptr 0
		.amdhsa_user_sgpr_queue_ptr 0
		.amdhsa_user_sgpr_kernarg_segment_ptr 1
		.amdhsa_user_sgpr_dispatch_id 0
		.amdhsa_user_sgpr_private_segment_size 0
		.amdhsa_wavefront_size32 1
		.amdhsa_uses_dynamic_stack 0
		.amdhsa_enable_private_segment 0
		.amdhsa_system_sgpr_workgroup_id_x 1
		.amdhsa_system_sgpr_workgroup_id_y 1
		.amdhsa_system_sgpr_workgroup_id_z 1
		.amdhsa_system_sgpr_workgroup_info 0
		.amdhsa_system_vgpr_workitem_id 0
		.amdhsa_next_free_vgpr 146
		.amdhsa_next_free_sgpr 37
		.amdhsa_reserve_vcc 1
		.amdhsa_float_round_mode_32 0
		.amdhsa_float_round_mode_16_64 0
		.amdhsa_float_denorm_mode_32 3
		.amdhsa_float_denorm_mode_16_64 3
		.amdhsa_dx10_clamp 1
		.amdhsa_ieee_mode 1
		.amdhsa_fp16_overflow 0
		.amdhsa_workgroup_processor_mode 1
		.amdhsa_memory_ordered 1
		.amdhsa_forward_progress 0
		.amdhsa_shared_vgpr_count 0
		.amdhsa_exception_fp_ieee_invalid_op 0
		.amdhsa_exception_fp_denorm_src 0
		.amdhsa_exception_fp_ieee_div_zero 0
		.amdhsa_exception_fp_ieee_overflow 0
		.amdhsa_exception_fp_ieee_underflow 0
		.amdhsa_exception_fp_ieee_inexact 0
		.amdhsa_exception_int_div_zero 0
	.end_amdhsa_kernel
	.section	.text._Z39paged_attention_ll4mi_QKV_mfma16_kernelIDF16_hLN4vllm18Fp8KVCacheDataTypeE1EDF16_Li32ELi64ELi256ELb1ELi11EL8MFMAType1EEvPKT_PKT0_S8_ifPKiSA_SA_iPKfiiiPfSD_PS3_PT2_iSC_SC_,"axG",@progbits,_Z39paged_attention_ll4mi_QKV_mfma16_kernelIDF16_hLN4vllm18Fp8KVCacheDataTypeE1EDF16_Li32ELi64ELi256ELb1ELi11EL8MFMAType1EEvPKT_PKT0_S8_ifPKiSA_SA_iPKfiiiPfSD_PS3_PT2_iSC_SC_,comdat
.Lfunc_end900:
	.size	_Z39paged_attention_ll4mi_QKV_mfma16_kernelIDF16_hLN4vllm18Fp8KVCacheDataTypeE1EDF16_Li32ELi64ELi256ELb1ELi11EL8MFMAType1EEvPKT_PKT0_S8_ifPKiSA_SA_iPKfiiiPfSD_PS3_PT2_iSC_SC_, .Lfunc_end900-_Z39paged_attention_ll4mi_QKV_mfma16_kernelIDF16_hLN4vllm18Fp8KVCacheDataTypeE1EDF16_Li32ELi64ELi256ELb1ELi11EL8MFMAType1EEvPKT_PKT0_S8_ifPKiSA_SA_iPKfiiiPfSD_PS3_PT2_iSC_SC_
                                        ; -- End function
	.section	.AMDGPU.csdata,"",@progbits
; Kernel info:
; codeLenInByte = 6648
; NumSgprs: 39
; NumVgprs: 146
; ScratchSize: 0
; MemoryBound: 0
; FloatMode: 240
; IeeeMode: 1
; LDSByteSize: 17472 bytes/workgroup (compile time only)
; SGPRBlocks: 4
; VGPRBlocks: 18
; NumSGPRsForWavesPerEU: 39
; NumVGPRsForWavesPerEU: 146
; Occupancy: 9
; WaveLimiterHint : 1
; COMPUTE_PGM_RSRC2:SCRATCH_EN: 0
; COMPUTE_PGM_RSRC2:USER_SGPR: 13
; COMPUTE_PGM_RSRC2:TRAP_HANDLER: 0
; COMPUTE_PGM_RSRC2:TGID_X_EN: 1
; COMPUTE_PGM_RSRC2:TGID_Y_EN: 1
; COMPUTE_PGM_RSRC2:TGID_Z_EN: 1
; COMPUTE_PGM_RSRC2:TIDIG_COMP_CNT: 0
	.section	.text._Z39paged_attention_ll4mi_QKV_mfma16_kernelIDF16_hLN4vllm18Fp8KVCacheDataTypeE1EDF16_Li32ELi64ELi256ELb1ELi12EL8MFMAType1EEvPKT_PKT0_S8_ifPKiSA_SA_iPKfiiiPfSD_PS3_PT2_iSC_SC_,"axG",@progbits,_Z39paged_attention_ll4mi_QKV_mfma16_kernelIDF16_hLN4vllm18Fp8KVCacheDataTypeE1EDF16_Li32ELi64ELi256ELb1ELi12EL8MFMAType1EEvPKT_PKT0_S8_ifPKiSA_SA_iPKfiiiPfSD_PS3_PT2_iSC_SC_,comdat
	.protected	_Z39paged_attention_ll4mi_QKV_mfma16_kernelIDF16_hLN4vllm18Fp8KVCacheDataTypeE1EDF16_Li32ELi64ELi256ELb1ELi12EL8MFMAType1EEvPKT_PKT0_S8_ifPKiSA_SA_iPKfiiiPfSD_PS3_PT2_iSC_SC_ ; -- Begin function _Z39paged_attention_ll4mi_QKV_mfma16_kernelIDF16_hLN4vllm18Fp8KVCacheDataTypeE1EDF16_Li32ELi64ELi256ELb1ELi12EL8MFMAType1EEvPKT_PKT0_S8_ifPKiSA_SA_iPKfiiiPfSD_PS3_PT2_iSC_SC_
	.globl	_Z39paged_attention_ll4mi_QKV_mfma16_kernelIDF16_hLN4vllm18Fp8KVCacheDataTypeE1EDF16_Li32ELi64ELi256ELb1ELi12EL8MFMAType1EEvPKT_PKT0_S8_ifPKiSA_SA_iPKfiiiPfSD_PS3_PT2_iSC_SC_
	.p2align	8
	.type	_Z39paged_attention_ll4mi_QKV_mfma16_kernelIDF16_hLN4vllm18Fp8KVCacheDataTypeE1EDF16_Li32ELi64ELi256ELb1ELi12EL8MFMAType1EEvPKT_PKT0_S8_ifPKiSA_SA_iPKfiiiPfSD_PS3_PT2_iSC_SC_,@function
_Z39paged_attention_ll4mi_QKV_mfma16_kernelIDF16_hLN4vllm18Fp8KVCacheDataTypeE1EDF16_Li32ELi64ELi256ELb1ELi12EL8MFMAType1EEvPKT_PKT0_S8_ifPKiSA_SA_iPKfiiiPfSD_PS3_PT2_iSC_SC_: ; @_Z39paged_attention_ll4mi_QKV_mfma16_kernelIDF16_hLN4vllm18Fp8KVCacheDataTypeE1EDF16_Li32ELi64ELi256ELb1ELi12EL8MFMAType1EEvPKT_PKT0_S8_ifPKiSA_SA_iPKfiiiPfSD_PS3_PT2_iSC_SC_
; %bb.0:
	s_load_b64 s[2:3], s[0:1], 0x30
	s_mov_b32 s34, s13
	s_waitcnt lgkmcnt(0)
	s_cmp_lg_u64 s[2:3], 0
	s_cselect_b32 s6, -1, 0
	s_ashr_i32 s35, s13, 31
	s_cmp_eq_u64 s[2:3], 0
	s_cbranch_scc1 .LBB901_3
; %bb.1:
	s_lshl_b64 s[4:5], s[34:35], 2
	s_delay_alu instid0(SALU_CYCLE_1) | instskip(SKIP_4) | instid1(SALU_CYCLE_1)
	s_add_u32 s4, s2, s4
	s_addc_u32 s5, s3, s5
	s_load_b64 s[4:5], s[4:5], 0x0
	s_waitcnt lgkmcnt(0)
	s_sub_i32 s4, s5, s4
	s_cmp_eq_u32 s4, 1
	s_cselect_b32 s4, -1, 0
	s_delay_alu instid0(SALU_CYCLE_1)
	s_and_not1_b32 vcc_lo, exec_lo, s4
	s_cbranch_vccz .LBB901_4
.LBB901_2:
	s_endpgm
.LBB901_3:
.LBB901_4:
	s_load_b64 s[8:9], s[0:1], 0x28
	s_lshl_b64 s[4:5], s[34:35], 2
	s_waitcnt lgkmcnt(0)
	s_add_u32 s8, s8, s4
	s_addc_u32 s9, s9, s5
	s_lshl_b32 s16, s14, 8
	s_load_b32 s18, s[8:9], 0x0
	s_waitcnt lgkmcnt(0)
	s_cmp_ge_i32 s16, s18
	s_cbranch_scc1 .LBB901_2
; %bb.5:
	s_clause 0x1
	s_load_b128 s[8:11], s[0:1], 0x8
	s_load_b64 s[12:13], s[0:1], 0x20
	s_and_not1_b32 vcc_lo, exec_lo, s6
	s_cbranch_vccnz .LBB901_7
; %bb.6:
	s_add_u32 s2, s2, s4
	s_addc_u32 s3, s3, s5
	s_load_b32 s3, s[2:3], 0x0
	s_branch .LBB901_8
.LBB901_7:
	s_mov_b32 s3, s34
.LBB901_8:
	s_load_b128 s[4:7], s[0:1], 0x48
	v_and_b32_e32 v68, 15, v0
	v_cmp_gt_u32_e32 vcc_lo, 0xc0, v0
	v_lshrrev_b32_e32 v69, 5, v0
	v_and_b32_e32 v70, 31, v0
	v_and_b32_e32 v67, 1, v0
	v_lshlrev_b32_e32 v1, 3, v68
	v_cmp_gt_u32_e64 s2, 8, v68
	v_bfe_u32 v66, v0, 4, 1
	s_mul_i32 s31, s15, 12
	s_delay_alu instid0(VALU_DEP_3) | instskip(NEXT) | instid1(VALU_DEP_3)
	v_lshlrev_b32_e32 v65, 1, v1
	s_and_b32 s17, vcc_lo, s2
	s_waitcnt lgkmcnt(0)
	s_and_saveexec_b32 s7, s17
	s_cbranch_execz .LBB901_10
; %bb.9:
	s_load_b64 s[20:21], s[0:1], 0x0
	v_lshl_or_b32 v5, v69, 1, v66
	s_mul_hi_i32 s23, s3, s4
	s_mul_i32 s22, s3, s4
	v_lshlrev_b32_e32 v6, 10, v68
	s_lshl_b64 s[22:23], s[22:23], 1
	v_add_lshl_u32 v1, v5, s31, 6
	v_lshlrev_b32_e32 v5, 6, v5
	v_lshlrev_b32_e32 v7, 10, v67
	v_and_b32_e32 v6, 0x3800, v6
	s_delay_alu instid0(VALU_DEP_4) | instskip(NEXT) | instid1(VALU_DEP_2)
	v_ashrrev_i32_e32 v2, 31, v1
	v_or3_b32 v5, v6, v7, v5
	s_delay_alu instid0(VALU_DEP_2) | instskip(SKIP_3) | instid1(VALU_DEP_1)
	v_lshlrev_b64 v[1:2], 1, v[1:2]
	s_waitcnt lgkmcnt(0)
	s_add_u32 s3, s20, s22
	s_addc_u32 s4, s21, s23
	v_add_co_u32 v1, vcc_lo, s3, v1
	s_delay_alu instid0(VALU_DEP_2) | instskip(NEXT) | instid1(VALU_DEP_2)
	v_add_co_ci_u32_e32 v2, vcc_lo, s4, v2, vcc_lo
	v_add_co_u32 v1, vcc_lo, v1, v65
	s_delay_alu instid0(VALU_DEP_2)
	v_add_co_ci_u32_e32 v2, vcc_lo, 0, v2, vcc_lo
	global_load_b128 v[1:4], v[1:2], off
	s_waitcnt vmcnt(0)
	ds_store_b128 v5, v[1:4]
.LBB901_10:
	s_or_b32 exec_lo, exec_lo, s7
	v_and_b32_e32 v1, 0xef, v0
	s_add_i32 s3, s18, 31
	s_clause 0x1
	s_load_b32 s4, s[0:1], 0x38
	s_load_b32 s33, s[0:1], 0x98
	s_ashr_i32 s7, s3, 31
	v_add_nc_u32_e32 v1, s16, v1
	s_lshr_b32 s7, s7, 27
	s_load_b32 s19, s[0:1], 0x1c
	v_add_nc_u32_e32 v103, -12, v68
	s_add_i32 s3, s3, s7
	v_ashrrev_i32_e32 v2, 31, v1
	v_or_b32_e32 v3, 16, v1
	s_ashr_i32 s3, s3, 5
	v_cmp_gt_i32_e32 vcc_lo, s18, v1
	s_add_i32 s3, s3, -1
	v_lshrrev_b32_e32 v2, 27, v2
	s_waitcnt lgkmcnt(0)
	s_barrier
	buffer_gl0_inv
	s_mul_i32 s15, s15, s6
	v_add_nc_u32_e32 v4, v1, v2
	v_mbcnt_lo_u32_b32 v127, -1, 0
	s_mul_i32 s20, s34, s4
	s_delay_alu instid0(SALU_CYCLE_1) | instskip(NEXT) | instid1(VALU_DEP_2)
	s_ashr_i32 s21, s20, 31
	v_ashrrev_i32_e32 v4, 5, v4
	v_add_nc_u32_e32 v2, v3, v2
	s_lshl_b64 s[20:21], s[20:21], 2
	v_xor_b32_e32 v128, 16, v127
	s_add_u32 s17, s12, s20
	v_cndmask_b32_e32 v1, s3, v4, vcc_lo
	v_ashrrev_i32_e32 v2, 5, v2
	v_cmp_gt_i32_e32 vcc_lo, s18, v3
	s_addc_u32 s13, s13, s21
	s_ashr_i32 s20, s15, 31
	s_add_u32 s22, s8, s15
	s_addc_u32 s23, s9, s20
	v_cndmask_b32_e32 v3, s3, v2, vcc_lo
	v_ashrrev_i32_e32 v2, 31, v1
	s_lshl_b32 s6, s14, 3
	s_delay_alu instid0(SALU_CYCLE_1) | instskip(NEXT) | instid1(VALU_DEP_2)
	s_ashr_i32 s7, s6, 31
	v_ashrrev_i32_e32 v4, 31, v3
	s_delay_alu instid0(VALU_DEP_2) | instskip(SKIP_1) | instid1(SALU_CYCLE_1)
	v_lshlrev_b64 v[1:2], 2, v[1:2]
	s_lshl_b64 s[6:7], s[6:7], 2
	s_add_u32 s6, s17, s6
	s_delay_alu instid0(VALU_DEP_2) | instskip(SKIP_1) | instid1(VALU_DEP_2)
	v_lshlrev_b64 v[3:4], 2, v[3:4]
	s_addc_u32 s7, s13, s7
	v_add_co_u32 v1, vcc_lo, s17, v1
	v_add_co_ci_u32_e32 v2, vcc_lo, s13, v2, vcc_lo
	s_delay_alu instid0(VALU_DEP_3) | instskip(NEXT) | instid1(VALU_DEP_4)
	v_add_co_u32 v3, vcc_lo, s17, v3
	v_add_co_ci_u32_e32 v4, vcc_lo, s13, v4, vcc_lo
	s_clause 0x1
	global_load_b32 v5, v[1:2], off
	global_load_b32 v6, v[3:4], off
	s_or_b32 s4, s16, 32
	s_delay_alu instid0(SALU_CYCLE_1) | instskip(SKIP_2) | instid1(SALU_CYCLE_1)
	s_ashr_i32 s8, s4, 5
	s_cmp_lt_i32 s4, s18
	s_cselect_b32 s8, s8, s3
	s_ashr_i32 s9, s8, 31
	s_delay_alu instid0(SALU_CYCLE_1) | instskip(NEXT) | instid1(SALU_CYCLE_1)
	s_lshl_b64 s[8:9], s[8:9], 2
	s_add_u32 s8, s17, s8
	s_addc_u32 s9, s13, s9
	s_or_b32 s4, s16, 64
	s_delay_alu instid0(SALU_CYCLE_1) | instskip(SKIP_2) | instid1(SALU_CYCLE_1)
	s_ashr_i32 s12, s4, 5
	s_cmp_lt_i32 s4, s18
	s_cselect_b32 s24, s12, s3
	s_ashr_i32 s25, s24, 31
	s_delay_alu instid0(SALU_CYCLE_1) | instskip(NEXT) | instid1(SALU_CYCLE_1)
	s_lshl_b64 s[24:25], s[24:25], 2
	s_add_u32 s24, s17, s24
	s_addc_u32 s25, s13, s25
	;; [unrolled: 10-line block ×5, first 2 shown]
	s_clause 0x5
	s_load_b32 s12, s[6:7], 0x0
	s_load_b32 s4, s[8:9], 0x0
	;; [unrolled: 1-line block ×6, first 2 shown]
	s_or_b32 s21, s16, 0xc0
	s_waitcnt vmcnt(1)
	v_mad_i64_i32 v[1:2], null, v5, s5, s[22:23]
	v_lshlrev_b32_e32 v5, 4, v68
	s_waitcnt vmcnt(0)
	v_mad_i64_i32 v[3:4], null, v6, s5, s[22:23]
	s_ashr_i32 s22, s21, 5
	s_cmp_lt_i32 s21, s18
	s_delay_alu instid0(VALU_DEP_3) | instskip(NEXT) | instid1(VALU_DEP_4)
	v_add_co_u32 v1, vcc_lo, v1, v5
	v_add_co_ci_u32_e32 v2, vcc_lo, 0, v2, vcc_lo
	s_delay_alu instid0(VALU_DEP_3) | instskip(NEXT) | instid1(VALU_DEP_4)
	v_add_co_u32 v3, vcc_lo, v3, v5
	v_add_co_ci_u32_e32 v4, vcc_lo, 0, v4, vcc_lo
	s_clause 0x7
	global_load_b128 v[71:74], v[1:2], off
	global_load_b128 v[75:78], v[1:2], off offset:512
	global_load_b128 v[79:82], v[3:4], off offset:256
	;; [unrolled: 1-line block ×7, first 2 shown]
	s_cselect_b32 s22, s22, s3
	v_lshlrev_b32_e32 v1, 5, v68
	s_ashr_i32 s23, s22, 31
	v_cmp_gt_u32_e32 vcc_lo, 12, v68
	s_lshl_b64 s[22:23], s[22:23], 2
	s_delay_alu instid0(SALU_CYCLE_1)
	s_add_u32 s22, s17, s22
	s_addc_u32 s23, s13, s23
	s_or_b32 s21, s16, 0xe0
	v_lshl_or_b32 v1, v69, 9, v1
	s_ashr_i32 s24, s21, 5
	s_cmp_lt_i32 s21, s18
	v_cndmask_b32_e32 v103, v103, v68, vcc_lo
	s_cselect_b32 s24, s24, s3
	s_load_b32 s3, s[22:23], 0x0
	s_ashr_i32 s25, s24, 31
	v_cmp_gt_i32_e32 vcc_lo, 32, v128
	s_lshl_b64 s[24:25], s[24:25], 2
	v_lshlrev_b32_e32 v115, 6, v103
	s_add_u32 s22, s17, s24
	s_addc_u32 s23, s13, s25
	v_cndmask_b32_e32 v136, v127, v128, vcc_lo
	s_add_u32 s10, s10, s15
	s_addc_u32 s11, s11, s20
	v_add_co_u32 v1, s10, s10, v1
	s_delay_alu instid0(VALU_DEP_1) | instskip(SKIP_2) | instid1(VALU_DEP_1)
	v_add_co_ci_u32_e64 v2, null, s11, 0, s10
	s_load_b32 s10, s[22:23], 0x0
	s_waitcnt lgkmcnt(0)
	v_mad_i64_i32 v[3:4], null, s12, s5, v[1:2]
	v_mad_i64_i32 v[9:10], null, s7, s5, v[1:2]
	;; [unrolled: 1-line block ×7, first 2 shown]
	s_clause 0x5
	global_load_b128 v[49:52], v[3:4], off
	global_load_b128 v[53:56], v[3:4], off offset:16
	global_load_b128 v[41:44], v[5:6], off
	global_load_b128 v[45:48], v[5:6], off offset:16
	;; [unrolled: 2-line block ×3, first 2 shown]
	s_mov_b32 s4, 0
	v_mad_i64_i32 v[61:62], null, s10, s5, v[1:2]
	s_clause 0x9
	global_load_b128 v[1:4], v[9:10], off
	global_load_b128 v[5:8], v[9:10], off offset:16
	global_load_b128 v[9:12], v[13:14], off
	global_load_b128 v[13:16], v[13:14], off offset:16
	global_load_b128 v[17:20], v[21:22], off
	global_load_b128 v[21:24], v[21:22], off offset:16
	global_load_b128 v[25:28], v[29:30], off
	global_load_b128 v[29:32], v[29:30], off offset:16
	global_load_b128 v[57:60], v[61:62], off
	global_load_b128 v[61:64], v[61:62], off offset:16
	s_mov_b32 s5, s4
	s_mov_b32 s6, s4
	;; [unrolled: 1-line block ×7, first 2 shown]
	v_and_b32_e32 v104, 0xe0, v0
	v_dual_mov_b32 v126, s11 :: v_dual_mov_b32 v125, s10
	v_dual_mov_b32 v124, s9 :: v_dual_mov_b32 v123, s8
	s_delay_alu instid0(VALU_DEP_3)
	v_add_nc_u32_e32 v111, s16, v104
	ds_load_b128 v[103:106], v115
	ds_load_b128 v[107:110], v115 offset:1024
	v_dual_mov_b32 v122, s7 :: v_dual_mov_b32 v121, s6
	v_mov_b32_e32 v120, s5
	v_or_b32_e32 v135, v111, v66
	ds_load_b128 v[111:114], v115 offset:2048
	ds_load_b128 v[115:118], v115 offset:3072
	v_mov_b32_e32 v119, s4
	s_waitcnt vmcnt(0) lgkmcnt(0)
	s_barrier
	v_or_b32_e32 v137, 2, v135
	v_or_b32_e32 v138, 4, v135
	;; [unrolled: 1-line block ×3, first 2 shown]
	v_cmp_gt_i32_e32 vcc_lo, s18, v135
	v_or_b32_e32 v140, 8, v135
	v_cmp_gt_i32_e64 s3, s18, v137
	v_or_b32_e32 v141, 10, v135
	v_cmp_gt_i32_e64 s4, s18, v138
	v_cmp_gt_i32_e64 s5, s18, v139
	v_or_b32_e32 v142, 12, v135
	v_or_b32_e32 v143, 14, v135
	v_cmp_gt_i32_e64 s6, s18, v140
	v_cmp_gt_i32_e64 s7, s18, v141
	v_or_b32_e32 v144, 16, v135
	v_or_b32_e32 v145, 18, v135
	v_cmp_gt_i32_e64 s8, s18, v142
	v_cmp_gt_i32_e64 s9, s18, v143
	buffer_gl0_inv
	v_cmp_gt_i32_e64 s10, s18, v144
	v_cmp_gt_i32_e64 s11, s18, v145
	v_wmma_f32_16x16x16_f16 v[127:134], v[71:78], v[103:110], v[119:126]
	v_wmma_f32_16x16x16_f16 v[119:126], v[79:86], v[103:110], v[119:126]
	v_or_b32_e32 v71, 20, v135
	v_or_b32_e32 v72, 22, v135
	s_delay_alu instid0(VALU_DEP_4)
	v_wmma_f32_16x16x16_f16 v[127:134], v[87:94], v[111:118], v[127:134]
	v_or_b32_e32 v73, 24, v135
	v_wmma_f32_16x16x16_f16 v[119:126], v[95:102], v[111:118], v[119:126]
	v_or_b32_e32 v74, 26, v135
	v_cmp_gt_i32_e64 s12, s18, v71
	v_dual_mul_f32 v83, s19, v128 :: v_dual_mul_f32 v84, s19, v127
	s_delay_alu instid0(VALU_DEP_4) | instskip(SKIP_1) | instid1(VALU_DEP_3)
	v_dual_mul_f32 v81, s19, v130 :: v_dual_mul_f32 v92, s19, v119
	v_mul_f32_e32 v82, s19, v129
	v_cndmask_b32_e64 v83, 0xff7fffff, v83, s3
	s_delay_alu instid0(VALU_DEP_4)
	v_cndmask_b32_e32 v84, 0xff7fffff, v84, vcc_lo
	v_dual_mul_f32 v79, s19, v132 :: v_dual_mul_f32 v90, s19, v121
	v_mul_f32_e32 v80, s19, v131
	v_cndmask_b32_e64 v82, 0xff7fffff, v82, s4
	v_cndmask_b32_e64 v81, 0xff7fffff, v81, s5
	v_max3_f32 v83, v84, 0xff7fffff, v83
	v_dual_mul_f32 v77, s19, v134 :: v_dual_mul_f32 v88, s19, v123
	v_mul_f32_e32 v78, s19, v133
	v_cndmask_b32_e64 v80, 0xff7fffff, v80, s6
	v_cndmask_b32_e64 v79, 0xff7fffff, v79, s7
	v_max3_f32 v81, v83, v82, v81
	v_mul_f32_e32 v91, s19, v120
	v_cndmask_b32_e64 v78, 0xff7fffff, v78, s8
	v_cndmask_b32_e64 v77, 0xff7fffff, v77, s9
	v_mul_f32_e32 v89, s19, v122
	v_max3_f32 v79, v81, v80, v79
	v_cndmask_b32_e64 v80, 0xff7fffff, v92, s10
	v_cndmask_b32_e64 v81, 0xff7fffff, v91, s11
	v_cmp_gt_i32_e64 s13, s18, v72
	v_or_b32_e32 v75, 28, v135
	v_max3_f32 v77, v79, v78, v77
	v_or_b32_e32 v76, 30, v135
	v_mul_f32_e32 v87, s19, v124
	v_cndmask_b32_e64 v71, 0xff7fffff, v90, s12
	v_cndmask_b32_e64 v72, 0xff7fffff, v89, s13
	v_max3_f32 v77, v77, v80, v81
	v_cmp_gt_i32_e64 s15, s18, v73
	v_cmp_gt_i32_e64 s16, s18, v74
	v_dual_mul_f32 v85, s19, v126 :: v_dual_mul_f32 v86, s19, v125
	s_delay_alu instid0(VALU_DEP_4) | instskip(NEXT) | instid1(VALU_DEP_4)
	v_max3_f32 v71, v77, v71, v72
	v_cndmask_b32_e64 v73, 0xff7fffff, v88, s15
	s_delay_alu instid0(VALU_DEP_4) | instskip(SKIP_2) | instid1(VALU_DEP_3)
	v_cndmask_b32_e64 v74, 0xff7fffff, v87, s16
	v_cmp_gt_i32_e64 s17, s18, v75
	v_cmp_gt_i32_e64 s18, s18, v76
	v_max3_f32 v71, v71, v73, v74
	s_delay_alu instid0(VALU_DEP_3) | instskip(NEXT) | instid1(VALU_DEP_3)
	v_cndmask_b32_e64 v72, 0xff7fffff, v86, s17
	v_cndmask_b32_e64 v75, 0xff7fffff, v85, s18
	v_lshlrev_b32_e32 v73, 2, v136
	s_delay_alu instid0(VALU_DEP_2) | instskip(SKIP_3) | instid1(VALU_DEP_1)
	v_max3_f32 v71, v71, v72, v75
	ds_bpermute_b32 v72, v73, v71
	s_waitcnt lgkmcnt(0)
	v_max_f32_e32 v72, v72, v72
	v_max_f32_e32 v71, v71, v72
	s_delay_alu instid0(VALU_DEP_1)
	v_fma_f32 v72, s19, v127, -v71
	v_fma_f32 v74, s19, v128, -v71
	;; [unrolled: 1-line block ×5, first 2 shown]
	v_mul_f32_e32 v72, 0x3fb8aa3b, v72
	v_mul_f32_e32 v74, 0x3fb8aa3b, v74
	v_fma_f32 v80, s19, v133, -v71
	s_delay_alu instid0(VALU_DEP_4) | instskip(NEXT) | instid1(VALU_DEP_4)
	v_dual_mul_f32 v76, 0x3fb8aa3b, v76 :: v_dual_mul_f32 v77, 0x3fb8aa3b, v77
	v_exp_f32_e32 v72, v72
	s_delay_alu instid0(VALU_DEP_3) | instskip(NEXT) | instid1(VALU_DEP_2)
	v_exp_f32_e32 v74, v74
	v_mul_f32_e32 v82, 0x3fb8aa3b, v80
	s_delay_alu instid0(VALU_DEP_2) | instskip(SKIP_1) | instid1(VALU_DEP_1)
	v_exp_f32_e32 v76, v76
	v_exp_f32_e32 v77, v77
	;; [unrolled: 1-line block ×3, first 2 shown]
	v_cndmask_b32_e32 v79, 0, v72, vcc_lo
	v_fma_f32 v72, s19, v132, -v71
	v_mul_f32_e32 v75, 0x3fb8aa3b, v75
	v_cndmask_b32_e64 v78, 0, v74, s3
	s_delay_alu instid0(TRANS32_DEP_3)
	v_cndmask_b32_e64 v80, 0, v76, s5
	v_add_f32_e32 v74, 0, v79
	v_mul_f32_e32 v72, 0x3fb8aa3b, v72
	v_exp_f32_e32 v75, v75
	v_cndmask_b32_e64 v83, 0, v77, s6
	v_cndmask_b32_e64 v85, 0, v84, s8
	v_add_f32_e32 v74, v74, v78
	v_exp_f32_e32 v72, v72
	s_mov_b32 s3, exec_lo
	s_waitcnt_depctr 0xfff
	v_cndmask_b32_e64 v81, 0, v75, s4
	v_cndmask_b32_e64 v82, 0, v72, s7
	s_delay_alu instid0(VALU_DEP_2) | instskip(NEXT) | instid1(VALU_DEP_1)
	v_add_f32_e32 v74, v74, v81
	v_add_f32_e32 v74, v74, v80
	s_delay_alu instid0(VALU_DEP_1) | instskip(SKIP_4) | instid1(VALU_DEP_4)
	v_add_f32_e32 v72, v74, v83
	v_fma_f32 v75, s19, v134, -v71
	v_fma_f32 v76, s19, v119, -v71
	;; [unrolled: 1-line block ×4, first 2 shown]
	v_dual_add_f32 v72, v72, v82 :: v_dual_mul_f32 v75, 0x3fb8aa3b, v75
	s_delay_alu instid0(VALU_DEP_3) | instskip(SKIP_1) | instid1(VALU_DEP_3)
	v_dual_mul_f32 v76, 0x3fb8aa3b, v76 :: v_dual_mul_f32 v77, 0x3fb8aa3b, v77
	v_fma_f32 v86, s19, v122, -v71
	v_add_f32_e32 v72, v72, v85
	s_delay_alu instid0(VALU_DEP_4) | instskip(NEXT) | instid1(VALU_DEP_3)
	v_exp_f32_e32 v75, v75
	v_exp_f32_e32 v76, v76
	;; [unrolled: 1-line block ×3, first 2 shown]
	v_mul_f32_e32 v86, 0x3fb8aa3b, v86
	s_delay_alu instid0(VALU_DEP_1) | instskip(SKIP_3) | instid1(TRANS32_DEP_3)
	v_exp_f32_e32 v88, v86
	v_cndmask_b32_e64 v84, 0, v75, s9
	v_fma_f32 v75, s19, v123, -v71
	v_mul_f32_e32 v74, 0x3fb8aa3b, v74
	v_cndmask_b32_e64 v87, 0, v76, s10
	v_fma_f32 v76, s19, v124, -v71
	s_delay_alu instid0(VALU_DEP_4) | instskip(NEXT) | instid1(VALU_DEP_4)
	v_dual_add_f32 v72, v72, v84 :: v_dual_mul_f32 v75, 0x3fb8aa3b, v75
	v_exp_f32_e32 v74, v74
	v_cndmask_b32_e64 v86, 0, v77, s11
	v_fma_f32 v77, s19, v125, -v71
	s_delay_alu instid0(VALU_DEP_3) | instskip(SKIP_3) | instid1(VALU_DEP_3)
	v_add_f32_e32 v72, v72, v87
	v_mul_f32_e32 v76, 0x3fb8aa3b, v76
	v_exp_f32_e32 v75, v75
	v_cndmask_b32_e64 v88, 0, v88, s13
	v_add_f32_e32 v72, v72, v86
	s_delay_alu instid0(VALU_DEP_3) | instskip(NEXT) | instid1(TRANS32_DEP_3)
	v_exp_f32_e32 v76, v76
	v_cndmask_b32_e64 v89, 0, v74, s12
	v_mul_f32_e32 v74, 0x3fb8aa3b, v77
	v_fma_f32 v77, s19, v126, -v71
	s_delay_alu instid0(VALU_DEP_3) | instskip(NEXT) | instid1(VALU_DEP_3)
	v_add_f32_e32 v72, v72, v89
	v_exp_f32_e32 v74, v74
	s_delay_alu instid0(TRANS32_DEP_3) | instskip(NEXT) | instid1(VALU_DEP_3)
	v_cndmask_b32_e64 v91, 0, v75, s15
	v_mul_f32_e32 v75, 0x3fb8aa3b, v77
	s_delay_alu instid0(TRANS32_DEP_2) | instskip(SKIP_1) | instid1(VALU_DEP_3)
	v_cndmask_b32_e64 v90, 0, v76, s16
	v_add_f32_e32 v72, v72, v88
	v_exp_f32_e32 v75, v75
	s_delay_alu instid0(VALU_DEP_1) | instskip(NEXT) | instid1(TRANS32_DEP_2)
	v_add_f32_e32 v72, v72, v91
	v_cndmask_b32_e64 v93, 0, v74, s17
	s_delay_alu instid0(VALU_DEP_2) | instskip(SKIP_3) | instid1(VALU_DEP_1)
	v_add_f32_e32 v72, v72, v90
	s_waitcnt_depctr 0xfff
	v_cndmask_b32_e64 v92, 0, v75, s18
	v_add_f32_e32 v72, v72, v93
	v_add_f32_e32 v72, v72, v92
	ds_bpermute_b32 v73, v73, v72
	v_cmpx_gt_u32_e32 16, v70
	s_cbranch_execz .LBB901_12
; %bb.11:
	v_mul_u32_u24_e32 v70, 0x44, v69
	s_waitcnt lgkmcnt(0)
	v_add_f32_e32 v72, v72, v73
	s_delay_alu instid0(VALU_DEP_2) | instskip(NEXT) | instid1(VALU_DEP_1)
	v_lshl_add_u32 v70, v68, 2, v70
	v_add_nc_u32_e32 v70, 0x4000, v70
	ds_store_2addr_b32 v70, v71, v72 offset1:136
.LBB901_12:
	s_or_b32 exec_lo, exec_lo, s3
	v_lshlrev_b32_e32 v70, 2, v68
	s_load_b32 s35, s[0:1], 0x94
	s_waitcnt lgkmcnt(0)
	s_barrier
	buffer_gl0_inv
	v_add_nc_u32_e32 v98, 0x4000, v70
	v_cmp_eq_u32_e32 vcc_lo, 1, v69
	v_cmp_eq_u32_e64 s3, 2, v69
	v_cmp_eq_u32_e64 s4, 3, v69
	;; [unrolled: 1-line block ×3, first 2 shown]
	ds_load_2addr_b32 v[70:71], v98 offset1:17
	ds_load_2addr_b32 v[72:73], v98 offset0:34 offset1:51
	ds_load_2addr_b32 v[74:75], v98 offset0:68 offset1:85
	;; [unrolled: 1-line block ×3, first 2 shown]
	v_cmp_eq_u32_e64 s6, 5, v69
	v_cmp_eq_u32_e64 s7, 7, v69
	s_waitcnt lgkmcnt(3)
	v_max3_f32 v76, v70, 0xff7fffff, v71
	s_waitcnt lgkmcnt(2)
	s_delay_alu instid0(VALU_DEP_1) | instskip(SKIP_1) | instid1(VALU_DEP_1)
	v_max3_f32 v76, v76, v72, v73
	s_waitcnt lgkmcnt(1)
	v_max3_f32 v76, v76, v74, v75
	s_waitcnt lgkmcnt(0)
	s_delay_alu instid0(VALU_DEP_1) | instskip(NEXT) | instid1(VALU_DEP_1)
	v_max3_f32 v76, v76, v94, v95
	v_sub_f32_e32 v77, v71, v76
	ds_load_2addr_b32 v[96:97], v98 offset0:136 offset1:153
	v_sub_f32_e32 v74, v74, v76
	v_sub_f32_e32 v70, v70, v76
	;; [unrolled: 1-line block ×3, first 2 shown]
	v_dual_sub_f32 v72, v72, v76 :: v_dual_mul_f32 v77, 0x3fb8aa3b, v77
	s_delay_alu instid0(VALU_DEP_4) | instskip(NEXT) | instid1(VALU_DEP_4)
	v_mul_f32_e32 v103, 0x3fb8aa3b, v74
	v_mul_f32_e32 v99, 0x3fb8aa3b, v70
	ds_load_2addr_b32 v[70:71], v98 offset0:170 offset1:187
	v_dual_mul_f32 v101, 0x3fb8aa3b, v72 :: v_dual_mul_f32 v94, 0x3fb8aa3b, v94
	v_exp_f32_e32 v102, v77
	v_exp_f32_e32 v99, v99
	s_delay_alu instid0(VALU_DEP_1) | instskip(NEXT) | instid1(VALU_DEP_1)
	v_exp_f32_e32 v101, v101
	v_exp_f32_e32 v94, v94
	s_waitcnt lgkmcnt(1)
	s_delay_alu instid0(TRANS32_DEP_3)
	v_fma_f32 v77, v99, v96, 0
	v_sub_f32_e32 v100, v73, v76
	ds_load_2addr_b32 v[72:73], v98 offset0:204 offset1:221
	v_fmac_f32_e32 v77, v102, v97
	v_exp_f32_e32 v97, v103
	s_waitcnt lgkmcnt(1)
	s_delay_alu instid0(VALU_DEP_1)
	v_dual_fmac_f32 v77, v101, v70 :: v_dual_sub_f32 v96, v75, v76
	ds_load_2addr_b32 v[74:75], v98 offset0:238 offset1:255
	v_sub_f32_e32 v70, v95, v76
	s_waitcnt lgkmcnt(0)
	s_barrier
	v_mul_f32_e32 v96, 0x3fb8aa3b, v96
	buffer_gl0_inv
	v_exp_f32_e32 v95, v96
	v_mul_f32_e32 v100, 0x3fb8aa3b, v100
	s_delay_alu instid0(VALU_DEP_1) | instskip(SKIP_3) | instid1(VALU_DEP_2)
	v_exp_f32_e32 v100, v100
	s_waitcnt_depctr 0xfff
	v_dual_fmac_f32 v77, v100, v71 :: v_dual_mul_f32 v70, 0x3fb8aa3b, v70
	v_cndmask_b32_e32 v71, v99, v102, vcc_lo
	v_fmac_f32_e32 v77, v97, v72
	s_delay_alu instid0(VALU_DEP_3) | instskip(NEXT) | instid1(VALU_DEP_1)
	v_exp_f32_e32 v96, v70
	v_fmac_f32_e32 v77, v95, v73
	s_delay_alu instid0(VALU_DEP_1) | instskip(SKIP_2) | instid1(VALU_DEP_1)
	v_fmac_f32_e32 v77, v94, v74
	s_waitcnt_depctr 0xfff
	v_fmac_f32_e32 v77, v96, v75
	v_add_f32_e32 v74, 0x358637bd, v77
	s_delay_alu instid0(VALU_DEP_1) | instskip(SKIP_1) | instid1(VALU_DEP_2)
	v_div_scale_f32 v98, null, v74, v74, 1.0
	v_div_scale_f32 v99, vcc_lo, 1.0, v74, 1.0
	v_rcp_f32_e32 v103, v98
	s_waitcnt_depctr 0xfff
	v_fma_f32 v70, -v98, v103, 1.0
	s_delay_alu instid0(VALU_DEP_1) | instskip(SKIP_2) | instid1(VALU_DEP_2)
	v_fmac_f32_e32 v103, v70, v103
	v_cndmask_b32_e64 v70, v71, v101, s3
	v_cmp_eq_u32_e64 s3, 6, v69
	v_cndmask_b32_e64 v71, v70, v100, s4
	s_delay_alu instid0(VALU_DEP_4) | instskip(NEXT) | instid1(VALU_DEP_2)
	v_dual_mul_f32 v101, v99, v103 :: v_dual_lshlrev_b32 v70, 2, v66
	v_cndmask_b32_e64 v71, v71, v97, s5
	s_delay_alu instid0(VALU_DEP_2) | instskip(NEXT) | instid1(VALU_DEP_3)
	v_or_b32_e32 v72, 1, v70
	v_fma_f32 v100, -v98, v101, v99
	v_cmp_eq_u32_e64 s4, 1, v70
	v_cmp_eq_u32_e64 s5, 2, v70
	v_cndmask_b32_e64 v95, v71, v95, s6
	v_or_b32_e32 v71, 3, v70
	v_fmac_f32_e32 v101, v100, v103
	v_cmp_eq_u32_e64 s9, 1, v72
	v_cmp_eq_u32_e64 s12, 2, v72
	v_cndmask_b32_e64 v94, v95, v94, s3
	v_cmp_eq_u32_e64 s11, 1, v71
	v_fma_f32 v97, -v98, v101, v99
	v_cmp_eq_u32_e64 s16, 2, v71
	v_cmp_eq_u32_e64 s13, 3, v72
	v_cndmask_b32_e64 v94, v94, v96, s7
	v_cmp_eq_u32_e64 s18, 3, v71
	v_div_fmas_f32 v95, v97, v103, v101
	v_cmp_eq_u32_e32 vcc_lo, 3, v70
	v_cmp_eq_u32_e64 s3, 4, v70
	v_cmp_eq_u32_e64 s19, 4, v72
	;; [unrolled: 1-line block ×3, first 2 shown]
	v_div_fixup_f32 v95, v95, v74, 1.0
	v_lshlrev_b32_e32 v73, 6, v68
	v_cmp_eq_u32_e64 s6, 5, v70
	v_cmp_eq_u32_e64 s20, 5, v72
	;; [unrolled: 1-line block ×3, first 2 shown]
	v_mul_f32_e32 v102, v94, v95
	v_lshl_or_b32 v75, v69, 11, v73
	v_or_b32_e32 v69, 2, v70
	v_cmp_eq_u32_e64 s25, 6, v72
	v_cmp_eq_u32_e64 s27, 6, v71
	v_fma_mixlo_f16 v94, v102, v79, 0
	v_fma_mixlo_f16 v95, v102, v81, 0
	;; [unrolled: 1-line block ×8, first 2 shown]
	v_lshl_or_b32 v74, v66, 4, v75
	v_fma_mixhi_f16 v94, v102, v78, 0
	v_fma_mixhi_f16 v95, v102, v80, 0
	;; [unrolled: 1-line block ×8, first 2 shown]
	ds_store_b128 v74, v[94:97]
	ds_store_b128 v74, v[98:101] offset:1024
	s_waitcnt lgkmcnt(0)
	s_barrier
	buffer_gl0_inv
	ds_load_b128 v[78:81], v75
	ds_load_b128 v[82:85], v75 offset:16
	ds_load_b128 v[86:89], v75 offset:1024
	;; [unrolled: 1-line block ×3, first 2 shown]
	v_cmp_eq_u32_e64 s10, 1, v69
	v_cmp_eq_u32_e64 s15, 2, v69
	;; [unrolled: 1-line block ×11, first 2 shown]
	s_waitcnt lgkmcnt(3)
	v_lshrrev_b32_e32 v94, 16, v78
	s_waitcnt lgkmcnt(2)
	v_lshrrev_b32_e32 v98, 16, v82
	;; [unrolled: 2-line block ×4, first 2 shown]
	v_lshrrev_b32_e32 v95, 16, v79
	v_cndmask_b32_e64 v110, v78, v94, s4
	v_cndmask_b32_e64 v111, v82, v98, s4
	;; [unrolled: 1-line block ×8, first 2 shown]
	v_lshrrev_b32_e32 v99, 16, v83
	v_cndmask_b32_e64 v94, v86, v102, s4
	v_cndmask_b32_e64 v98, v90, v106, s4
	v_cndmask_b32_e64 v116, v86, v102, s9
	v_cndmask_b32_e64 v117, v90, v106, s9
	v_cndmask_b32_e64 v118, v86, v102, s10
	v_cndmask_b32_e64 v119, v90, v106, s10
	v_cndmask_b32_e64 v86, v86, v102, s11
	v_cndmask_b32_e64 v90, v90, v106, s11
	v_cndmask_b32_e64 v102, v110, v79, s5
	v_cndmask_b32_e64 v106, v111, v83, s5
	v_cndmask_b32_e64 v110, v112, v79, s12
	v_cndmask_b32_e64 v111, v113, v83, s12
	v_cndmask_b32_e64 v112, v114, v79, s15
	v_cndmask_b32_e64 v78, v78, v79, s16
	v_cndmask_b32_e64 v79, v82, v83, s16
	v_lshrrev_b32_e32 v103, 16, v87
	v_lshrrev_b32_e32 v107, 16, v91
	v_cndmask_b32_e64 v113, v115, v83, s15
	v_cndmask_b32_e64 v82, v94, v87, s5
	;; [unrolled: 1-line block ×7, first 2 shown]
	v_cndmask_b32_e32 v90, v102, v95, vcc_lo
	v_cndmask_b32_e32 v102, v106, v99, vcc_lo
	v_cndmask_b32_e64 v106, v110, v95, s13
	v_cndmask_b32_e64 v110, v111, v99, s13
	;; [unrolled: 1-line block ×4, first 2 shown]
	v_lshrrev_b32_e32 v96, 16, v80
	v_lshrrev_b32_e32 v100, 16, v84
	v_cndmask_b32_e64 v111, v112, v95, s17
	v_cndmask_b32_e64 v112, v113, v99, s17
	v_cndmask_b32_e32 v82, v82, v103, vcc_lo
	v_cndmask_b32_e32 v83, v83, v107, vcc_lo
	v_cndmask_b32_e64 v94, v94, v103, s13
	v_cndmask_b32_e64 v90, v90, v80, s3
	;; [unrolled: 1-line block ×7, first 2 shown]
	v_lshrrev_b32_e32 v104, 16, v88
	v_cndmask_b32_e64 v106, v111, v80, s21
	v_cndmask_b32_e64 v110, v112, v84, s21
	;; [unrolled: 1-line block ×11, first 2 shown]
	v_lshrrev_b32_e32 v97, 16, v81
	v_lshrrev_b32_e32 v101, 16, v85
	v_cndmask_b32_e64 v99, v106, v96, s23
	v_cndmask_b32_e64 v102, v110, v100, s23
	;; [unrolled: 1-line block ×7, first 2 shown]
	v_lshrrev_b32_e32 v105, 16, v89
	v_cndmask_b32_e64 v80, v80, v104, s6
	v_cndmask_b32_e64 v84, v84, v81, s7
	;; [unrolled: 1-line block ×16, first 2 shown]
	v_perm_b32 v81, v79, v78, 0x5040100
	v_perm_b32 v79, v95, v85, 0x5040100
	v_cndmask_b32_e64 v78, v119, v91, s15
	v_cndmask_b32_e64 v85, v117, v91, s12
	;; [unrolled: 1-line block ×3, first 2 shown]
	v_perm_b32 v80, v94, v90, 0x5040100
	v_cndmask_b32_e64 v90, v98, v103, s17
	v_cndmask_b32_e64 v86, v86, v103, s18
	;; [unrolled: 1-line block ×5, first 2 shown]
	v_lshrrev_b32_e32 v108, 16, v92
	v_cndmask_b32_e64 v90, v90, v88, s21
	v_cndmask_b32_e64 v86, v86, v88, s22
	;; [unrolled: 1-line block ×11, first 2 shown]
	v_lshrrev_b32_e32 v109, 16, v93
	v_cndmask_b32_e64 v82, v82, v93, s7
	v_cndmask_b32_e64 v88, v88, v89, s26
	;; [unrolled: 1-line block ×12, first 2 shown]
	v_perm_b32 v78, v84, v83, 0x5040100
	v_perm_b32 v85, v87, v86, 0x5040100
	;; [unrolled: 1-line block ×5, first 2 shown]
	s_mul_i32 s8, s33, 12
	s_mov_b32 s3, exec_lo
	ds_store_b128 v74, v[78:81]
	ds_store_b128 v74, v[82:85] offset:1024
	v_cmpx_gt_u32_e32 12, v0
	s_cbranch_execz .LBB901_14
; %bb.13:
	s_mul_i32 s4, s8, s34
	s_delay_alu instid0(SALU_CYCLE_1) | instskip(SKIP_1) | instid1(VALU_DEP_1)
	v_add3_u32 v68, s4, s31, v68
	s_load_b128 s[4:7], s[0:1], 0x58
	v_mad_u64_u32 v[78:79], null, v68, s35, s[14:15]
	s_delay_alu instid0(VALU_DEP_1) | instskip(NEXT) | instid1(VALU_DEP_1)
	v_ashrrev_i32_e32 v79, 31, v78
	v_lshlrev_b64 v[78:79], 2, v[78:79]
	s_waitcnt lgkmcnt(0)
	s_delay_alu instid0(VALU_DEP_1) | instskip(NEXT) | instid1(VALU_DEP_2)
	v_add_co_u32 v80, vcc_lo, s6, v78
	v_add_co_ci_u32_e32 v81, vcc_lo, s7, v79, vcc_lo
	v_add_co_u32 v78, vcc_lo, s4, v78
	v_add_co_ci_u32_e32 v79, vcc_lo, s5, v79, vcc_lo
	global_store_b32 v[80:81], v76, off
	global_store_b32 v[78:79], v77, off
.LBB901_14:
	s_or_b32 exec_lo, exec_lo, s3
	s_waitcnt lgkmcnt(0)
	s_waitcnt_vscnt null, 0x0
	s_barrier
	buffer_gl0_inv
	ds_load_b128 v[84:87], v73
	ds_load_b128 v[88:91], v73 offset:16
	ds_load_b128 v[96:99], v73 offset:2064
	;; [unrolled: 1-line block ×5, first 2 shown]
	v_cmp_eq_u32_e32 vcc_lo, 1, v70
	v_mov_b32_e32 v76, 0
	ds_load_b128 v[112:115], v73 offset:6160
	ds_load_b128 v[108:111], v73 offset:6144
	;; [unrolled: 1-line block ×4, first 2 shown]
	v_cmp_eq_u32_e64 s4, 1, v69
	v_cmp_eq_u32_e64 s3, 1, v72
	;; [unrolled: 1-line block ×3, first 2 shown]
	v_mov_b32_e32 v77, v76
	v_mov_b32_e32 v78, v76
	;; [unrolled: 1-line block ×7, first 2 shown]
	v_cmp_eq_u32_e64 s6, 3, v72
	v_cmp_eq_u32_e64 s7, 7, v72
	s_waitcnt lgkmcnt(8)
	s_delay_alu instid0(VALU_DEP_3)
	v_wmma_f32_16x16x16_f16 v[76:83], v[49:56], v[84:91], v[76:83]
	ds_load_b128 v[53:56], v73 offset:10256
	ds_load_b128 v[49:52], v73 offset:10240
	s_waitcnt lgkmcnt(8)
	v_wmma_f32_16x16x16_f16 v[76:83], v[41:48], v[92:99], v[76:83]
	ds_load_b128 v[45:48], v73 offset:12304
	ds_load_b128 v[41:44], v73 offset:12288
	s_waitcnt lgkmcnt(8)
	;; [unrolled: 4-line block ×3, first 2 shown]
	s_barrier
	buffer_gl0_inv
	v_wmma_f32_16x16x16_f16 v[76:83], v[1:8], v[108:115], v[76:83]
	s_delay_alu instid0(VALU_DEP_1) | instskip(NEXT) | instid1(VALU_DEP_1)
	v_wmma_f32_16x16x16_f16 v[76:83], v[9:16], v[116:123], v[76:83]
	v_wmma_f32_16x16x16_f16 v[76:83], v[17:24], v[49:56], v[76:83]
	s_delay_alu instid0(VALU_DEP_1) | instskip(NEXT) | instid1(VALU_DEP_1)
	v_wmma_f32_16x16x16_f16 v[76:83], v[25:32], v[41:48], v[76:83]
	v_wmma_f32_16x16x16_f16 v[76:83], v[57:64], v[33:40], v[76:83]
	s_delay_alu instid0(VALU_DEP_1) | instskip(NEXT) | instid1(VALU_DEP_2)
	v_cvt_f16_f32_e32 v1, v76
	v_cvt_f16_f32_e32 v2, v77
	s_delay_alu instid0(VALU_DEP_3) | instskip(NEXT) | instid1(VALU_DEP_4)
	v_cvt_f16_f32_e32 v3, v78
	v_cvt_f16_f32_e32 v4, v79
	;; [unrolled: 1-line block ×6, first 2 shown]
	v_pack_b32_f16 v1, v1, v2
	v_pack_b32_f16 v2, v3, v4
	;; [unrolled: 1-line block ×3, first 2 shown]
	s_delay_alu instid0(VALU_DEP_4)
	v_pack_b32_f16 v4, v7, v8
	ds_store_b128 v74, v[1:4]
	s_waitcnt lgkmcnt(0)
	s_barrier
	buffer_gl0_inv
	ds_load_b128 v[1:4], v75
	ds_load_b128 v[5:8], v75 offset:16
	s_waitcnt lgkmcnt(1)
	v_lshrrev_b32_e32 v9, 16, v1
	s_waitcnt lgkmcnt(0)
	v_lshrrev_b32_e32 v13, 16, v5
	v_lshrrev_b32_e32 v10, 16, v2
	;; [unrolled: 1-line block ×4, first 2 shown]
	v_cndmask_b32_e32 v17, v1, v9, vcc_lo
	v_cndmask_b32_e32 v18, v5, v13, vcc_lo
	v_cndmask_b32_e64 v21, v1, v9, s4
	v_cmp_eq_u32_e32 vcc_lo, 1, v71
	v_cndmask_b32_e64 v22, v5, v13, s4
	v_cmp_eq_u32_e64 s4, 2, v70
	v_cndmask_b32_e64 v19, v1, v9, s3
	v_cndmask_b32_e64 v20, v5, v13, s3
	v_cndmask_b32_e32 v1, v1, v9, vcc_lo
	v_cmp_eq_u32_e64 s3, 2, v71
	v_cndmask_b32_e32 v5, v5, v13, vcc_lo
	v_cndmask_b32_e64 v9, v17, v2, s4
	v_cmp_eq_u32_e32 vcc_lo, 3, v70
	v_cndmask_b32_e64 v13, v18, v6, s4
	v_cmp_eq_u32_e64 s4, 2, v69
	v_cndmask_b32_e64 v17, v19, v2, s5
	v_cndmask_b32_e64 v18, v20, v6, s5
	v_cmp_eq_u32_e64 s5, 3, v69
	v_cndmask_b32_e64 v1, v1, v2, s3
	v_cndmask_b32_e64 v19, v21, v2, s4
	;; [unrolled: 1-line block ×4, first 2 shown]
	v_cndmask_b32_e32 v5, v9, v10, vcc_lo
	v_cndmask_b32_e32 v6, v13, v14, vcc_lo
	v_cmp_eq_u32_e32 vcc_lo, 3, v71
	v_cndmask_b32_e64 v9, v17, v10, s6
	v_cndmask_b32_e64 v13, v18, v14, s6
	;; [unrolled: 1-line block ×3, first 2 shown]
	v_cmp_eq_u32_e64 s4, 4, v70
	v_cndmask_b32_e32 v1, v1, v10, vcc_lo
	v_cndmask_b32_e32 v2, v2, v14, vcc_lo
	v_cmp_eq_u32_e32 vcc_lo, 4, v72
	v_lshrrev_b32_e32 v15, 16, v7
	v_lshrrev_b32_e32 v16, 16, v8
	v_cndmask_b32_e64 v17, v19, v10, s5
	v_cmp_eq_u32_e64 s3, 4, v71
	v_cndmask_b32_e64 v5, v5, v3, s4
	v_cndmask_b32_e64 v6, v6, v7, s4
	v_cndmask_b32_e32 v9, v9, v3, vcc_lo
	v_cmp_eq_u32_e64 s4, 5, v72
	v_cndmask_b32_e32 v10, v13, v7, vcc_lo
	v_cmp_eq_u32_e32 vcc_lo, 4, v69
	v_cmp_eq_u32_e64 s5, 5, v70
	v_cndmask_b32_e64 v2, v2, v7, s3
	v_cndmask_b32_e64 v9, v9, v11, s4
	;; [unrolled: 1-line block ×3, first 2 shown]
	v_cndmask_b32_e32 v13, v17, v3, vcc_lo
	v_cmp_eq_u32_e64 s4, 5, v69
	v_cndmask_b32_e32 v14, v18, v7, vcc_lo
	v_cndmask_b32_e64 v1, v1, v3, s3
	v_cmp_eq_u32_e32 vcc_lo, 5, v71
	v_lshrrev_b32_e32 v12, 16, v4
	v_cndmask_b32_e64 v13, v13, v11, s4
	v_cndmask_b32_e64 v3, v14, v15, s4
	v_cmp_eq_u32_e64 s4, 6, v71
	v_cndmask_b32_e32 v1, v1, v11, vcc_lo
	v_cndmask_b32_e64 v5, v5, v11, s5
	v_cmp_eq_u32_e64 s6, 6, v70
	v_cndmask_b32_e64 v6, v6, v15, s5
	v_cmp_eq_u32_e64 s5, 6, v72
	v_cmp_eq_u32_e64 s3, 6, v69
	v_cndmask_b32_e64 v1, v1, v4, s4
	v_cndmask_b32_e32 v2, v2, v15, vcc_lo
	v_cmp_eq_u32_e32 vcc_lo, 7, v71
	v_cndmask_b32_e64 v5, v5, v4, s6
	v_cndmask_b32_e64 v9, v9, v4, s5
	v_cndmask_b32_e64 v6, v6, v8, s6
	v_cmp_eq_u32_e64 s6, 7, v70
	v_cndmask_b32_e32 v1, v1, v12, vcc_lo
	v_cndmask_b32_e64 v7, v13, v4, s3
	v_cndmask_b32_e64 v3, v3, v8, s3
	v_cndmask_b32_e64 v2, v2, v8, s4
	v_cmp_eq_u32_e64 s3, 7, v69
	v_cndmask_b32_e64 v4, v10, v8, s5
	v_cndmask_b32_e64 v5, v5, v12, s6
	v_cndmask_b32_e64 v9, v9, v12, s7
	v_cndmask_b32_e32 v2, v2, v16, vcc_lo
	v_cndmask_b32_e64 v7, v7, v12, s3
	v_cndmask_b32_e64 v3, v3, v16, s3
	v_cndmask_b32_e64 v8, v4, v16, s7
	v_cndmask_b32_e64 v6, v6, v16, s6
	v_cmp_gt_u32_e32 vcc_lo, 32, v0
	v_perm_b32 v4, v2, v1, 0x5040100
	v_perm_b32 v3, v3, v7, 0x5040100
	;; [unrolled: 1-line block ×4, first 2 shown]
	s_and_b32 s2, vcc_lo, s2
	ds_store_b128 v74, v[1:4]
	s_waitcnt lgkmcnt(0)
	s_barrier
	buffer_gl0_inv
	s_and_saveexec_b32 s3, s2
	s_cbranch_execz .LBB901_2
; %bb.15:
	s_load_b64 s[0:1], s[0:1], 0x68
	v_lshlrev_b32_e32 v0, 10, v0
	s_lshl_b32 s4, s35, 6
	v_or_b32_e32 v3, s31, v66
	s_mul_i32 s2, s4, s34
	v_lshlrev_b32_e32 v1, 4, v67
	s_mul_i32 s2, s2, s8
	v_lshlrev_b32_e32 v2, 6, v66
	v_and_b32_e32 v0, 0x3800, v0
	s_ashr_i32 s3, s2, 31
	v_mul_lo_u32 v4, v3, s4
	s_lshl_b64 s[2:3], s[2:3], 1
	s_delay_alu instid0(VALU_DEP_2) | instskip(NEXT) | instid1(VALU_DEP_2)
	v_or3_b32 v16, v0, v1, v2
	v_ashrrev_i32_e32 v5, 31, v4
	ds_load_b128 v[0:3], v16
	s_waitcnt lgkmcnt(0)
	s_add_u32 s2, s0, s2
	s_addc_u32 s3, s1, s3
	s_lshl_b32 s0, s14, 6
	v_lshlrev_b64 v[5:6], 1, v[4:5]
	s_ashr_i32 s1, s0, 31
	s_delay_alu instid0(SALU_CYCLE_1) | instskip(NEXT) | instid1(SALU_CYCLE_1)
	s_lshl_b64 s[0:1], s[0:1], 1
	s_add_u32 s0, s2, s0
	s_addc_u32 s1, s3, s1
	s_lshl_b32 s2, s35, 7
	v_add_co_u32 v30, s0, s0, v65
	v_add_nc_u32_e32 v8, s2, v4
	v_add_co_ci_u32_e64 v31, null, s1, 0, s0
	s_delay_alu instid0(VALU_DEP_3) | instskip(NEXT) | instid1(VALU_DEP_3)
	v_add_co_u32 v12, vcc_lo, v30, v5
	v_add_nc_u32_e32 v10, s2, v8
	v_ashrrev_i32_e32 v9, 31, v8
	s_delay_alu instid0(VALU_DEP_4)
	v_add_co_ci_u32_e32 v13, vcc_lo, v31, v6, vcc_lo
	ds_load_b128 v[4:7], v16 offset:128
	v_ashrrev_i32_e32 v11, 31, v10
	v_lshlrev_b64 v[8:9], 1, v[8:9]
	v_add_nc_u32_e32 v14, s2, v10
	global_store_b128 v[12:13], v[0:3], off
	v_lshlrev_b64 v[0:1], 1, v[10:11]
	v_ashrrev_i32_e32 v15, 31, v14
	v_add_co_u32 v22, vcc_lo, v30, v8
	v_add_nc_u32_e32 v20, s2, v14
	v_add_co_ci_u32_e32 v23, vcc_lo, v31, v9, vcc_lo
	v_add_co_u32 v26, vcc_lo, v30, v0
	v_lshlrev_b64 v[24:25], 1, v[14:15]
	v_add_co_ci_u32_e32 v27, vcc_lo, v31, v1, vcc_lo
	ds_load_b128 v[0:3], v16 offset:256
	ds_load_b128 v[8:11], v16 offset:384
	;; [unrolled: 1-line block ×4, first 2 shown]
	v_add_nc_u32_e32 v28, s2, v20
	v_ashrrev_i32_e32 v21, 31, v20
	v_add_co_u32 v24, vcc_lo, v30, v24
	v_add_co_ci_u32_e32 v25, vcc_lo, v31, v25, vcc_lo
	s_delay_alu instid0(VALU_DEP_4) | instskip(NEXT) | instid1(VALU_DEP_4)
	v_ashrrev_i32_e32 v29, 31, v28
	v_lshlrev_b64 v[20:21], 1, v[20:21]
	s_delay_alu instid0(VALU_DEP_2) | instskip(NEXT) | instid1(VALU_DEP_2)
	v_lshlrev_b64 v[28:29], 1, v[28:29]
	v_add_co_u32 v20, vcc_lo, v30, v20
	s_delay_alu instid0(VALU_DEP_3) | instskip(NEXT) | instid1(VALU_DEP_3)
	v_add_co_ci_u32_e32 v21, vcc_lo, v31, v21, vcc_lo
	v_add_co_u32 v28, vcc_lo, v30, v28
	s_delay_alu instid0(VALU_DEP_4)
	v_add_co_ci_u32_e32 v29, vcc_lo, v31, v29, vcc_lo
	s_waitcnt lgkmcnt(4)
	global_store_b128 v[22:23], v[4:7], off
	s_waitcnt lgkmcnt(3)
	global_store_b128 v[26:27], v[0:3], off
	;; [unrolled: 2-line block ×5, first 2 shown]
	s_nop 0
	s_sendmsg sendmsg(MSG_DEALLOC_VGPRS)
	s_endpgm
	.section	.rodata,"a",@progbits
	.p2align	6, 0x0
	.amdhsa_kernel _Z39paged_attention_ll4mi_QKV_mfma16_kernelIDF16_hLN4vllm18Fp8KVCacheDataTypeE1EDF16_Li32ELi64ELi256ELb1ELi12EL8MFMAType1EEvPKT_PKT0_S8_ifPKiSA_SA_iPKfiiiPfSD_PS3_PT2_iSC_SC_
		.amdhsa_group_segment_fixed_size 17472
		.amdhsa_private_segment_fixed_size 0
		.amdhsa_kernarg_size 400
		.amdhsa_user_sgpr_count 13
		.amdhsa_user_sgpr_dispatch_ptr 0
		.amdhsa_user_sgpr_queue_ptr 0
		.amdhsa_user_sgpr_kernarg_segment_ptr 1
		.amdhsa_user_sgpr_dispatch_id 0
		.amdhsa_user_sgpr_private_segment_size 0
		.amdhsa_wavefront_size32 1
		.amdhsa_uses_dynamic_stack 0
		.amdhsa_enable_private_segment 0
		.amdhsa_system_sgpr_workgroup_id_x 1
		.amdhsa_system_sgpr_workgroup_id_y 1
		.amdhsa_system_sgpr_workgroup_id_z 1
		.amdhsa_system_sgpr_workgroup_info 0
		.amdhsa_system_vgpr_workitem_id 0
		.amdhsa_next_free_vgpr 146
		.amdhsa_next_free_sgpr 38
		.amdhsa_reserve_vcc 1
		.amdhsa_float_round_mode_32 0
		.amdhsa_float_round_mode_16_64 0
		.amdhsa_float_denorm_mode_32 3
		.amdhsa_float_denorm_mode_16_64 3
		.amdhsa_dx10_clamp 1
		.amdhsa_ieee_mode 1
		.amdhsa_fp16_overflow 0
		.amdhsa_workgroup_processor_mode 1
		.amdhsa_memory_ordered 1
		.amdhsa_forward_progress 0
		.amdhsa_shared_vgpr_count 0
		.amdhsa_exception_fp_ieee_invalid_op 0
		.amdhsa_exception_fp_denorm_src 0
		.amdhsa_exception_fp_ieee_div_zero 0
		.amdhsa_exception_fp_ieee_overflow 0
		.amdhsa_exception_fp_ieee_underflow 0
		.amdhsa_exception_fp_ieee_inexact 0
		.amdhsa_exception_int_div_zero 0
	.end_amdhsa_kernel
	.section	.text._Z39paged_attention_ll4mi_QKV_mfma16_kernelIDF16_hLN4vllm18Fp8KVCacheDataTypeE1EDF16_Li32ELi64ELi256ELb1ELi12EL8MFMAType1EEvPKT_PKT0_S8_ifPKiSA_SA_iPKfiiiPfSD_PS3_PT2_iSC_SC_,"axG",@progbits,_Z39paged_attention_ll4mi_QKV_mfma16_kernelIDF16_hLN4vllm18Fp8KVCacheDataTypeE1EDF16_Li32ELi64ELi256ELb1ELi12EL8MFMAType1EEvPKT_PKT0_S8_ifPKiSA_SA_iPKfiiiPfSD_PS3_PT2_iSC_SC_,comdat
.Lfunc_end901:
	.size	_Z39paged_attention_ll4mi_QKV_mfma16_kernelIDF16_hLN4vllm18Fp8KVCacheDataTypeE1EDF16_Li32ELi64ELi256ELb1ELi12EL8MFMAType1EEvPKT_PKT0_S8_ifPKiSA_SA_iPKfiiiPfSD_PS3_PT2_iSC_SC_, .Lfunc_end901-_Z39paged_attention_ll4mi_QKV_mfma16_kernelIDF16_hLN4vllm18Fp8KVCacheDataTypeE1EDF16_Li32ELi64ELi256ELb1ELi12EL8MFMAType1EEvPKT_PKT0_S8_ifPKiSA_SA_iPKfiiiPfSD_PS3_PT2_iSC_SC_
                                        ; -- End function
	.section	.AMDGPU.csdata,"",@progbits
; Kernel info:
; codeLenInByte = 6596
; NumSgprs: 40
; NumVgprs: 146
; ScratchSize: 0
; MemoryBound: 0
; FloatMode: 240
; IeeeMode: 1
; LDSByteSize: 17472 bytes/workgroup (compile time only)
; SGPRBlocks: 4
; VGPRBlocks: 18
; NumSGPRsForWavesPerEU: 40
; NumVGPRsForWavesPerEU: 146
; Occupancy: 9
; WaveLimiterHint : 1
; COMPUTE_PGM_RSRC2:SCRATCH_EN: 0
; COMPUTE_PGM_RSRC2:USER_SGPR: 13
; COMPUTE_PGM_RSRC2:TRAP_HANDLER: 0
; COMPUTE_PGM_RSRC2:TGID_X_EN: 1
; COMPUTE_PGM_RSRC2:TGID_Y_EN: 1
; COMPUTE_PGM_RSRC2:TGID_Z_EN: 1
; COMPUTE_PGM_RSRC2:TIDIG_COMP_CNT: 0
	.section	.text._Z39paged_attention_ll4mi_QKV_mfma16_kernelIDF16_hLN4vllm18Fp8KVCacheDataTypeE1EDF16_Li32ELi64ELi256ELb1ELi13EL8MFMAType1EEvPKT_PKT0_S8_ifPKiSA_SA_iPKfiiiPfSD_PS3_PT2_iSC_SC_,"axG",@progbits,_Z39paged_attention_ll4mi_QKV_mfma16_kernelIDF16_hLN4vllm18Fp8KVCacheDataTypeE1EDF16_Li32ELi64ELi256ELb1ELi13EL8MFMAType1EEvPKT_PKT0_S8_ifPKiSA_SA_iPKfiiiPfSD_PS3_PT2_iSC_SC_,comdat
	.protected	_Z39paged_attention_ll4mi_QKV_mfma16_kernelIDF16_hLN4vllm18Fp8KVCacheDataTypeE1EDF16_Li32ELi64ELi256ELb1ELi13EL8MFMAType1EEvPKT_PKT0_S8_ifPKiSA_SA_iPKfiiiPfSD_PS3_PT2_iSC_SC_ ; -- Begin function _Z39paged_attention_ll4mi_QKV_mfma16_kernelIDF16_hLN4vllm18Fp8KVCacheDataTypeE1EDF16_Li32ELi64ELi256ELb1ELi13EL8MFMAType1EEvPKT_PKT0_S8_ifPKiSA_SA_iPKfiiiPfSD_PS3_PT2_iSC_SC_
	.globl	_Z39paged_attention_ll4mi_QKV_mfma16_kernelIDF16_hLN4vllm18Fp8KVCacheDataTypeE1EDF16_Li32ELi64ELi256ELb1ELi13EL8MFMAType1EEvPKT_PKT0_S8_ifPKiSA_SA_iPKfiiiPfSD_PS3_PT2_iSC_SC_
	.p2align	8
	.type	_Z39paged_attention_ll4mi_QKV_mfma16_kernelIDF16_hLN4vllm18Fp8KVCacheDataTypeE1EDF16_Li32ELi64ELi256ELb1ELi13EL8MFMAType1EEvPKT_PKT0_S8_ifPKiSA_SA_iPKfiiiPfSD_PS3_PT2_iSC_SC_,@function
_Z39paged_attention_ll4mi_QKV_mfma16_kernelIDF16_hLN4vllm18Fp8KVCacheDataTypeE1EDF16_Li32ELi64ELi256ELb1ELi13EL8MFMAType1EEvPKT_PKT0_S8_ifPKiSA_SA_iPKfiiiPfSD_PS3_PT2_iSC_SC_: ; @_Z39paged_attention_ll4mi_QKV_mfma16_kernelIDF16_hLN4vllm18Fp8KVCacheDataTypeE1EDF16_Li32ELi64ELi256ELb1ELi13EL8MFMAType1EEvPKT_PKT0_S8_ifPKiSA_SA_iPKfiiiPfSD_PS3_PT2_iSC_SC_
; %bb.0:
	s_load_b64 s[2:3], s[0:1], 0x30
	s_mov_b32 s34, s13
	s_waitcnt lgkmcnt(0)
	s_cmp_lg_u64 s[2:3], 0
	s_cselect_b32 s6, -1, 0
	s_ashr_i32 s35, s13, 31
	s_cmp_eq_u64 s[2:3], 0
	s_cbranch_scc1 .LBB902_3
; %bb.1:
	s_lshl_b64 s[4:5], s[34:35], 2
	s_delay_alu instid0(SALU_CYCLE_1) | instskip(SKIP_4) | instid1(SALU_CYCLE_1)
	s_add_u32 s4, s2, s4
	s_addc_u32 s5, s3, s5
	s_load_b64 s[4:5], s[4:5], 0x0
	s_waitcnt lgkmcnt(0)
	s_sub_i32 s4, s5, s4
	s_cmp_eq_u32 s4, 1
	s_cselect_b32 s4, -1, 0
	s_delay_alu instid0(SALU_CYCLE_1)
	s_and_not1_b32 vcc_lo, exec_lo, s4
	s_cbranch_vccz .LBB902_4
.LBB902_2:
	s_nop 0
	s_sendmsg sendmsg(MSG_DEALLOC_VGPRS)
	s_endpgm
.LBB902_3:
.LBB902_4:
	s_load_b64 s[8:9], s[0:1], 0x28
	s_lshl_b64 s[4:5], s[34:35], 2
	s_waitcnt lgkmcnt(0)
	s_add_u32 s8, s8, s4
	s_addc_u32 s9, s9, s5
	s_lshl_b32 s16, s14, 8
	s_load_b32 s18, s[8:9], 0x0
	s_waitcnt lgkmcnt(0)
	s_cmp_ge_i32 s16, s18
	s_cbranch_scc1 .LBB902_2
; %bb.5:
	s_clause 0x1
	s_load_b128 s[8:11], s[0:1], 0x8
	s_load_b64 s[12:13], s[0:1], 0x20
	s_and_not1_b32 vcc_lo, exec_lo, s6
	s_cbranch_vccnz .LBB902_7
; %bb.6:
	s_add_u32 s2, s2, s4
	s_addc_u32 s3, s3, s5
	s_load_b32 s3, s[2:3], 0x0
	s_branch .LBB902_8
.LBB902_7:
	s_mov_b32 s3, s34
.LBB902_8:
	s_load_b128 s[4:7], s[0:1], 0x48
	v_lshrrev_b32_e32 v69, 5, v0
	v_bfe_u32 v66, v0, 4, 1
	v_and_b32_e32 v68, 15, v0
	v_and_b32_e32 v70, 31, v0
	v_and_b32_e32 v67, 1, v0
	s_mul_i32 s33, s15, 13
	v_lshl_or_b32 v1, v69, 1, v66
	v_lshlrev_b32_e32 v2, 3, v68
	v_cmp_gt_u32_e64 s2, 8, v68
	s_delay_alu instid0(VALU_DEP_3) | instskip(NEXT) | instid1(VALU_DEP_3)
	v_cmp_gt_u32_e32 vcc_lo, 13, v1
	v_lshlrev_b32_e32 v65, 1, v2
	s_delay_alu instid0(VALU_DEP_3)
	s_and_b32 s17, s2, vcc_lo
	s_waitcnt lgkmcnt(0)
	s_and_saveexec_b32 s7, s17
	s_cbranch_execz .LBB902_10
; %bb.9:
	s_load_b64 s[20:21], s[0:1], 0x0
	v_add_lshl_u32 v2, v1, s33, 6
	s_mul_hi_i32 s23, s3, s4
	s_mul_i32 s22, s3, s4
	v_lshlrev_b32_e32 v6, 10, v68
	s_lshl_b64 s[22:23], s[22:23], 1
	v_ashrrev_i32_e32 v3, 31, v2
	v_lshlrev_b32_e32 v1, 6, v1
	v_lshlrev_b32_e32 v7, 10, v67
	v_and_b32_e32 v6, 0x3800, v6
	s_delay_alu instid0(VALU_DEP_4) | instskip(NEXT) | instid1(VALU_DEP_2)
	v_lshlrev_b64 v[2:3], 1, v[2:3]
	v_or3_b32 v1, v6, v7, v1
	s_waitcnt lgkmcnt(0)
	s_add_u32 s3, s20, s22
	s_addc_u32 s4, s21, s23
	s_delay_alu instid0(VALU_DEP_2) | instskip(SKIP_1) | instid1(VALU_DEP_2)
	v_add_co_u32 v2, vcc_lo, s3, v2
	v_add_co_ci_u32_e32 v3, vcc_lo, s4, v3, vcc_lo
	v_add_co_u32 v2, vcc_lo, v2, v65
	s_delay_alu instid0(VALU_DEP_2)
	v_add_co_ci_u32_e32 v3, vcc_lo, 0, v3, vcc_lo
	global_load_b128 v[2:5], v[2:3], off
	s_waitcnt vmcnt(0)
	ds_store_b128 v1, v[2:5]
.LBB902_10:
	s_or_b32 exec_lo, exec_lo, s7
	v_and_b32_e32 v1, 0xef, v0
	s_add_i32 s3, s18, 31
	s_clause 0x1
	s_load_b32 s4, s[0:1], 0x38
	s_load_b32 s35, s[0:1], 0x98
	s_ashr_i32 s7, s3, 31
	v_add_nc_u32_e32 v1, s16, v1
	s_lshr_b32 s7, s7, 27
	s_load_b32 s19, s[0:1], 0x1c
	v_add_nc_u32_e32 v103, -13, v68
	s_add_i32 s3, s3, s7
	v_ashrrev_i32_e32 v2, 31, v1
	v_or_b32_e32 v3, 16, v1
	s_ashr_i32 s3, s3, 5
	v_cmp_gt_i32_e32 vcc_lo, s18, v1
	s_add_i32 s3, s3, -1
	v_lshrrev_b32_e32 v2, 27, v2
	s_waitcnt lgkmcnt(0)
	s_barrier
	buffer_gl0_inv
	s_mul_i32 s15, s15, s6
	v_add_nc_u32_e32 v4, v1, v2
	v_mbcnt_lo_u32_b32 v127, -1, 0
	s_mul_i32 s20, s34, s4
	s_delay_alu instid0(SALU_CYCLE_1) | instskip(NEXT) | instid1(VALU_DEP_2)
	s_ashr_i32 s21, s20, 31
	v_ashrrev_i32_e32 v4, 5, v4
	v_add_nc_u32_e32 v2, v3, v2
	s_lshl_b64 s[20:21], s[20:21], 2
	v_xor_b32_e32 v128, 16, v127
	s_add_u32 s17, s12, s20
	v_cndmask_b32_e32 v1, s3, v4, vcc_lo
	v_ashrrev_i32_e32 v2, 5, v2
	v_cmp_gt_i32_e32 vcc_lo, s18, v3
	s_addc_u32 s13, s13, s21
	s_ashr_i32 s20, s15, 31
	s_add_u32 s22, s8, s15
	s_addc_u32 s23, s9, s20
	v_cndmask_b32_e32 v3, s3, v2, vcc_lo
	v_ashrrev_i32_e32 v2, 31, v1
	s_lshl_b32 s6, s14, 3
	s_delay_alu instid0(SALU_CYCLE_1) | instskip(NEXT) | instid1(VALU_DEP_2)
	s_ashr_i32 s7, s6, 31
	v_ashrrev_i32_e32 v4, 31, v3
	s_delay_alu instid0(VALU_DEP_2) | instskip(SKIP_1) | instid1(SALU_CYCLE_1)
	v_lshlrev_b64 v[1:2], 2, v[1:2]
	s_lshl_b64 s[6:7], s[6:7], 2
	s_add_u32 s6, s17, s6
	s_delay_alu instid0(VALU_DEP_2) | instskip(SKIP_1) | instid1(VALU_DEP_2)
	v_lshlrev_b64 v[3:4], 2, v[3:4]
	s_addc_u32 s7, s13, s7
	v_add_co_u32 v1, vcc_lo, s17, v1
	v_add_co_ci_u32_e32 v2, vcc_lo, s13, v2, vcc_lo
	s_delay_alu instid0(VALU_DEP_3) | instskip(NEXT) | instid1(VALU_DEP_4)
	v_add_co_u32 v3, vcc_lo, s17, v3
	v_add_co_ci_u32_e32 v4, vcc_lo, s13, v4, vcc_lo
	s_clause 0x1
	global_load_b32 v5, v[1:2], off
	global_load_b32 v6, v[3:4], off
	s_or_b32 s4, s16, 32
	s_delay_alu instid0(SALU_CYCLE_1) | instskip(SKIP_2) | instid1(SALU_CYCLE_1)
	s_ashr_i32 s8, s4, 5
	s_cmp_lt_i32 s4, s18
	s_cselect_b32 s8, s8, s3
	s_ashr_i32 s9, s8, 31
	s_delay_alu instid0(SALU_CYCLE_1) | instskip(NEXT) | instid1(SALU_CYCLE_1)
	s_lshl_b64 s[8:9], s[8:9], 2
	s_add_u32 s8, s17, s8
	s_addc_u32 s9, s13, s9
	s_or_b32 s4, s16, 64
	s_delay_alu instid0(SALU_CYCLE_1) | instskip(SKIP_2) | instid1(SALU_CYCLE_1)
	s_ashr_i32 s12, s4, 5
	s_cmp_lt_i32 s4, s18
	s_cselect_b32 s24, s12, s3
	s_ashr_i32 s25, s24, 31
	s_delay_alu instid0(SALU_CYCLE_1) | instskip(NEXT) | instid1(SALU_CYCLE_1)
	s_lshl_b64 s[24:25], s[24:25], 2
	s_add_u32 s24, s17, s24
	s_addc_u32 s25, s13, s25
	;; [unrolled: 10-line block ×5, first 2 shown]
	s_clause 0x5
	s_load_b32 s12, s[6:7], 0x0
	s_load_b32 s4, s[8:9], 0x0
	s_load_b32 s6, s[24:25], 0x0
	s_load_b32 s7, s[26:27], 0x0
	s_load_b32 s8, s[28:29], 0x0
	s_load_b32 s9, s[30:31], 0x0
	s_or_b32 s21, s16, 0xc0
	s_waitcnt vmcnt(1)
	v_mad_i64_i32 v[1:2], null, v5, s5, s[22:23]
	v_lshlrev_b32_e32 v5, 4, v68
	s_waitcnt vmcnt(0)
	v_mad_i64_i32 v[3:4], null, v6, s5, s[22:23]
	s_ashr_i32 s22, s21, 5
	s_cmp_lt_i32 s21, s18
	s_delay_alu instid0(VALU_DEP_3) | instskip(NEXT) | instid1(VALU_DEP_4)
	v_add_co_u32 v1, vcc_lo, v1, v5
	v_add_co_ci_u32_e32 v2, vcc_lo, 0, v2, vcc_lo
	s_delay_alu instid0(VALU_DEP_3) | instskip(NEXT) | instid1(VALU_DEP_4)
	v_add_co_u32 v3, vcc_lo, v3, v5
	v_add_co_ci_u32_e32 v4, vcc_lo, 0, v4, vcc_lo
	s_clause 0x7
	global_load_b128 v[71:74], v[1:2], off
	global_load_b128 v[75:78], v[1:2], off offset:512
	global_load_b128 v[79:82], v[3:4], off offset:256
	;; [unrolled: 1-line block ×7, first 2 shown]
	s_cselect_b32 s22, s22, s3
	v_lshlrev_b32_e32 v1, 5, v68
	s_ashr_i32 s23, s22, 31
	v_cmp_gt_u32_e32 vcc_lo, 13, v68
	s_lshl_b64 s[22:23], s[22:23], 2
	s_delay_alu instid0(SALU_CYCLE_1)
	s_add_u32 s22, s17, s22
	s_addc_u32 s23, s13, s23
	s_or_b32 s21, s16, 0xe0
	v_lshl_or_b32 v1, v69, 9, v1
	s_ashr_i32 s24, s21, 5
	s_cmp_lt_i32 s21, s18
	v_cndmask_b32_e32 v103, v103, v68, vcc_lo
	s_cselect_b32 s24, s24, s3
	s_load_b32 s3, s[22:23], 0x0
	s_ashr_i32 s25, s24, 31
	v_cmp_gt_i32_e32 vcc_lo, 32, v128
	s_lshl_b64 s[24:25], s[24:25], 2
	v_lshlrev_b32_e32 v115, 6, v103
	s_add_u32 s22, s17, s24
	s_addc_u32 s23, s13, s25
	v_cndmask_b32_e32 v136, v127, v128, vcc_lo
	s_add_u32 s10, s10, s15
	s_addc_u32 s11, s11, s20
	v_add_co_u32 v1, s10, s10, v1
	s_delay_alu instid0(VALU_DEP_1) | instskip(SKIP_2) | instid1(VALU_DEP_1)
	v_add_co_ci_u32_e64 v2, null, s11, 0, s10
	s_load_b32 s10, s[22:23], 0x0
	s_waitcnt lgkmcnt(0)
	v_mad_i64_i32 v[3:4], null, s12, s5, v[1:2]
	v_mad_i64_i32 v[9:10], null, s7, s5, v[1:2]
	;; [unrolled: 1-line block ×7, first 2 shown]
	s_clause 0x5
	global_load_b128 v[49:52], v[3:4], off
	global_load_b128 v[53:56], v[3:4], off offset:16
	global_load_b128 v[41:44], v[5:6], off
	global_load_b128 v[45:48], v[5:6], off offset:16
	;; [unrolled: 2-line block ×3, first 2 shown]
	s_mov_b32 s4, 0
	v_mad_i64_i32 v[61:62], null, s10, s5, v[1:2]
	s_clause 0x9
	global_load_b128 v[1:4], v[9:10], off
	global_load_b128 v[5:8], v[9:10], off offset:16
	global_load_b128 v[9:12], v[13:14], off
	global_load_b128 v[13:16], v[13:14], off offset:16
	;; [unrolled: 2-line block ×5, first 2 shown]
	s_mov_b32 s5, s4
	s_mov_b32 s6, s4
	s_mov_b32 s7, s4
	s_mov_b32 s8, s4
	s_mov_b32 s9, s4
	s_mov_b32 s10, s4
	s_mov_b32 s11, s4
	v_and_b32_e32 v104, 0xe0, v0
	v_dual_mov_b32 v126, s11 :: v_dual_mov_b32 v125, s10
	v_dual_mov_b32 v124, s9 :: v_dual_mov_b32 v123, s8
	s_delay_alu instid0(VALU_DEP_3)
	v_add_nc_u32_e32 v111, s16, v104
	ds_load_b128 v[103:106], v115
	ds_load_b128 v[107:110], v115 offset:1024
	v_dual_mov_b32 v122, s7 :: v_dual_mov_b32 v121, s6
	v_mov_b32_e32 v120, s5
	v_or_b32_e32 v135, v111, v66
	ds_load_b128 v[111:114], v115 offset:2048
	ds_load_b128 v[115:118], v115 offset:3072
	v_mov_b32_e32 v119, s4
	s_waitcnt vmcnt(0) lgkmcnt(0)
	s_barrier
	v_or_b32_e32 v137, 2, v135
	v_or_b32_e32 v138, 4, v135
	;; [unrolled: 1-line block ×3, first 2 shown]
	v_cmp_gt_i32_e32 vcc_lo, s18, v135
	v_or_b32_e32 v140, 8, v135
	v_cmp_gt_i32_e64 s3, s18, v137
	v_or_b32_e32 v141, 10, v135
	v_cmp_gt_i32_e64 s4, s18, v138
	v_cmp_gt_i32_e64 s5, s18, v139
	v_or_b32_e32 v142, 12, v135
	v_or_b32_e32 v143, 14, v135
	v_cmp_gt_i32_e64 s6, s18, v140
	v_cmp_gt_i32_e64 s7, s18, v141
	v_or_b32_e32 v144, 16, v135
	v_or_b32_e32 v145, 18, v135
	v_cmp_gt_i32_e64 s8, s18, v142
	v_cmp_gt_i32_e64 s9, s18, v143
	buffer_gl0_inv
	v_cmp_gt_i32_e64 s10, s18, v144
	v_cmp_gt_i32_e64 s11, s18, v145
	v_wmma_f32_16x16x16_f16 v[127:134], v[71:78], v[103:110], v[119:126]
	v_wmma_f32_16x16x16_f16 v[119:126], v[79:86], v[103:110], v[119:126]
	v_or_b32_e32 v71, 20, v135
	v_or_b32_e32 v72, 22, v135
	s_delay_alu instid0(VALU_DEP_4)
	v_wmma_f32_16x16x16_f16 v[127:134], v[87:94], v[111:118], v[127:134]
	v_or_b32_e32 v73, 24, v135
	v_wmma_f32_16x16x16_f16 v[119:126], v[95:102], v[111:118], v[119:126]
	v_or_b32_e32 v74, 26, v135
	v_cmp_gt_i32_e64 s12, s18, v71
	v_dual_mul_f32 v83, s19, v128 :: v_dual_mul_f32 v84, s19, v127
	s_delay_alu instid0(VALU_DEP_4) | instskip(SKIP_1) | instid1(VALU_DEP_3)
	v_dual_mul_f32 v81, s19, v130 :: v_dual_mul_f32 v92, s19, v119
	v_mul_f32_e32 v82, s19, v129
	v_cndmask_b32_e64 v83, 0xff7fffff, v83, s3
	s_delay_alu instid0(VALU_DEP_4)
	v_cndmask_b32_e32 v84, 0xff7fffff, v84, vcc_lo
	v_dual_mul_f32 v79, s19, v132 :: v_dual_mul_f32 v90, s19, v121
	v_mul_f32_e32 v80, s19, v131
	v_cndmask_b32_e64 v82, 0xff7fffff, v82, s4
	v_cndmask_b32_e64 v81, 0xff7fffff, v81, s5
	v_max3_f32 v83, v84, 0xff7fffff, v83
	v_dual_mul_f32 v77, s19, v134 :: v_dual_mul_f32 v88, s19, v123
	v_mul_f32_e32 v78, s19, v133
	v_cndmask_b32_e64 v80, 0xff7fffff, v80, s6
	v_cndmask_b32_e64 v79, 0xff7fffff, v79, s7
	v_max3_f32 v81, v83, v82, v81
	v_mul_f32_e32 v91, s19, v120
	v_cndmask_b32_e64 v78, 0xff7fffff, v78, s8
	v_cndmask_b32_e64 v77, 0xff7fffff, v77, s9
	v_mul_f32_e32 v89, s19, v122
	v_max3_f32 v79, v81, v80, v79
	v_cndmask_b32_e64 v80, 0xff7fffff, v92, s10
	v_cndmask_b32_e64 v81, 0xff7fffff, v91, s11
	v_cmp_gt_i32_e64 s13, s18, v72
	v_or_b32_e32 v75, 28, v135
	v_max3_f32 v77, v79, v78, v77
	v_or_b32_e32 v76, 30, v135
	v_mul_f32_e32 v87, s19, v124
	v_cndmask_b32_e64 v71, 0xff7fffff, v90, s12
	v_cndmask_b32_e64 v72, 0xff7fffff, v89, s13
	v_max3_f32 v77, v77, v80, v81
	v_cmp_gt_i32_e64 s15, s18, v73
	v_cmp_gt_i32_e64 s16, s18, v74
	v_dual_mul_f32 v85, s19, v126 :: v_dual_mul_f32 v86, s19, v125
	s_delay_alu instid0(VALU_DEP_4) | instskip(NEXT) | instid1(VALU_DEP_4)
	v_max3_f32 v71, v77, v71, v72
	v_cndmask_b32_e64 v73, 0xff7fffff, v88, s15
	s_delay_alu instid0(VALU_DEP_4) | instskip(SKIP_2) | instid1(VALU_DEP_3)
	v_cndmask_b32_e64 v74, 0xff7fffff, v87, s16
	v_cmp_gt_i32_e64 s17, s18, v75
	v_cmp_gt_i32_e64 s18, s18, v76
	v_max3_f32 v71, v71, v73, v74
	s_delay_alu instid0(VALU_DEP_3) | instskip(NEXT) | instid1(VALU_DEP_3)
	v_cndmask_b32_e64 v72, 0xff7fffff, v86, s17
	v_cndmask_b32_e64 v75, 0xff7fffff, v85, s18
	v_lshlrev_b32_e32 v73, 2, v136
	s_delay_alu instid0(VALU_DEP_2) | instskip(SKIP_3) | instid1(VALU_DEP_1)
	v_max3_f32 v71, v71, v72, v75
	ds_bpermute_b32 v72, v73, v71
	s_waitcnt lgkmcnt(0)
	v_max_f32_e32 v72, v72, v72
	v_max_f32_e32 v71, v71, v72
	s_delay_alu instid0(VALU_DEP_1)
	v_fma_f32 v72, s19, v127, -v71
	v_fma_f32 v74, s19, v128, -v71
	;; [unrolled: 1-line block ×5, first 2 shown]
	v_mul_f32_e32 v72, 0x3fb8aa3b, v72
	v_mul_f32_e32 v74, 0x3fb8aa3b, v74
	v_fma_f32 v80, s19, v133, -v71
	s_delay_alu instid0(VALU_DEP_4) | instskip(NEXT) | instid1(VALU_DEP_4)
	v_dual_mul_f32 v76, 0x3fb8aa3b, v76 :: v_dual_mul_f32 v77, 0x3fb8aa3b, v77
	v_exp_f32_e32 v72, v72
	s_delay_alu instid0(VALU_DEP_3) | instskip(NEXT) | instid1(VALU_DEP_2)
	v_exp_f32_e32 v74, v74
	v_mul_f32_e32 v82, 0x3fb8aa3b, v80
	s_delay_alu instid0(VALU_DEP_2) | instskip(SKIP_1) | instid1(VALU_DEP_1)
	v_exp_f32_e32 v76, v76
	v_exp_f32_e32 v77, v77
	;; [unrolled: 1-line block ×3, first 2 shown]
	v_cndmask_b32_e32 v79, 0, v72, vcc_lo
	v_fma_f32 v72, s19, v132, -v71
	v_mul_f32_e32 v75, 0x3fb8aa3b, v75
	v_cndmask_b32_e64 v78, 0, v74, s3
	s_delay_alu instid0(TRANS32_DEP_3)
	v_cndmask_b32_e64 v80, 0, v76, s5
	v_add_f32_e32 v74, 0, v79
	v_mul_f32_e32 v72, 0x3fb8aa3b, v72
	v_exp_f32_e32 v75, v75
	v_cndmask_b32_e64 v83, 0, v77, s6
	v_cndmask_b32_e64 v85, 0, v84, s8
	v_add_f32_e32 v74, v74, v78
	v_exp_f32_e32 v72, v72
	v_cmp_gt_u32_e64 s3, 16, v70
	s_waitcnt_depctr 0xfff
	v_cndmask_b32_e64 v81, 0, v75, s4
	v_cndmask_b32_e64 v82, 0, v72, s7
	s_delay_alu instid0(VALU_DEP_2) | instskip(NEXT) | instid1(VALU_DEP_1)
	v_add_f32_e32 v74, v74, v81
	v_add_f32_e32 v74, v74, v80
	s_delay_alu instid0(VALU_DEP_1) | instskip(SKIP_4) | instid1(VALU_DEP_4)
	v_add_f32_e32 v72, v74, v83
	v_fma_f32 v75, s19, v134, -v71
	v_fma_f32 v76, s19, v119, -v71
	;; [unrolled: 1-line block ×4, first 2 shown]
	v_dual_add_f32 v72, v72, v82 :: v_dual_mul_f32 v75, 0x3fb8aa3b, v75
	s_delay_alu instid0(VALU_DEP_3) | instskip(SKIP_1) | instid1(VALU_DEP_3)
	v_dual_mul_f32 v76, 0x3fb8aa3b, v76 :: v_dual_mul_f32 v77, 0x3fb8aa3b, v77
	v_fma_f32 v86, s19, v122, -v71
	v_add_f32_e32 v72, v72, v85
	s_delay_alu instid0(VALU_DEP_4) | instskip(NEXT) | instid1(VALU_DEP_3)
	v_exp_f32_e32 v75, v75
	v_exp_f32_e32 v76, v76
	;; [unrolled: 1-line block ×3, first 2 shown]
	v_mul_f32_e32 v86, 0x3fb8aa3b, v86
	s_delay_alu instid0(VALU_DEP_1) | instskip(SKIP_3) | instid1(TRANS32_DEP_3)
	v_exp_f32_e32 v88, v86
	v_cndmask_b32_e64 v84, 0, v75, s9
	v_fma_f32 v75, s19, v123, -v71
	v_mul_f32_e32 v74, 0x3fb8aa3b, v74
	v_cndmask_b32_e64 v87, 0, v76, s10
	v_fma_f32 v76, s19, v124, -v71
	s_delay_alu instid0(VALU_DEP_4) | instskip(NEXT) | instid1(VALU_DEP_4)
	v_dual_add_f32 v72, v72, v84 :: v_dual_mul_f32 v75, 0x3fb8aa3b, v75
	v_exp_f32_e32 v74, v74
	v_cndmask_b32_e64 v86, 0, v77, s11
	v_fma_f32 v77, s19, v125, -v71
	s_delay_alu instid0(VALU_DEP_3) | instskip(SKIP_3) | instid1(VALU_DEP_3)
	v_add_f32_e32 v72, v72, v87
	v_mul_f32_e32 v76, 0x3fb8aa3b, v76
	v_exp_f32_e32 v75, v75
	v_cndmask_b32_e64 v88, 0, v88, s13
	v_add_f32_e32 v72, v72, v86
	s_delay_alu instid0(VALU_DEP_3) | instskip(NEXT) | instid1(TRANS32_DEP_3)
	v_exp_f32_e32 v76, v76
	v_cndmask_b32_e64 v89, 0, v74, s12
	v_mul_f32_e32 v74, 0x3fb8aa3b, v77
	v_fma_f32 v77, s19, v126, -v71
	s_delay_alu instid0(VALU_DEP_3) | instskip(NEXT) | instid1(VALU_DEP_3)
	v_add_f32_e32 v72, v72, v89
	v_exp_f32_e32 v74, v74
	s_delay_alu instid0(TRANS32_DEP_3) | instskip(NEXT) | instid1(VALU_DEP_3)
	v_cndmask_b32_e64 v91, 0, v75, s15
	v_mul_f32_e32 v75, 0x3fb8aa3b, v77
	s_delay_alu instid0(TRANS32_DEP_2) | instskip(SKIP_1) | instid1(VALU_DEP_3)
	v_cndmask_b32_e64 v90, 0, v76, s16
	v_add_f32_e32 v72, v72, v88
	v_exp_f32_e32 v75, v75
	s_delay_alu instid0(VALU_DEP_1) | instskip(NEXT) | instid1(TRANS32_DEP_2)
	v_add_f32_e32 v72, v72, v91
	v_cndmask_b32_e64 v93, 0, v74, s17
	s_delay_alu instid0(VALU_DEP_2) | instskip(SKIP_3) | instid1(VALU_DEP_1)
	v_add_f32_e32 v72, v72, v90
	s_waitcnt_depctr 0xfff
	v_cndmask_b32_e64 v92, 0, v75, s18
	v_add_f32_e32 v72, v72, v93
	v_add_f32_e32 v72, v72, v92
	ds_bpermute_b32 v73, v73, v72
	s_and_saveexec_b32 s4, s3
	s_cbranch_execz .LBB902_12
; %bb.11:
	v_mul_u32_u24_e32 v70, 0x44, v69
	s_waitcnt lgkmcnt(0)
	v_add_f32_e32 v72, v72, v73
	s_delay_alu instid0(VALU_DEP_2) | instskip(NEXT) | instid1(VALU_DEP_1)
	v_lshl_add_u32 v70, v68, 2, v70
	v_add_nc_u32_e32 v70, 0x4000, v70
	ds_store_2addr_b32 v70, v71, v72 offset1:136
.LBB902_12:
	s_or_b32 exec_lo, exec_lo, s4
	v_lshlrev_b32_e32 v70, 2, v68
	s_load_b32 s36, s[0:1], 0x94
	s_waitcnt lgkmcnt(0)
	s_barrier
	buffer_gl0_inv
	v_add_nc_u32_e32 v98, 0x4000, v70
	v_cmp_eq_u32_e32 vcc_lo, 1, v69
	v_cmp_eq_u32_e64 s4, 2, v69
	v_cmp_eq_u32_e64 s5, 3, v69
	v_cmp_eq_u32_e64 s6, 4, v69
	ds_load_2addr_b32 v[70:71], v98 offset1:17
	ds_load_2addr_b32 v[72:73], v98 offset0:34 offset1:51
	ds_load_2addr_b32 v[74:75], v98 offset0:68 offset1:85
	;; [unrolled: 1-line block ×3, first 2 shown]
	v_cmp_eq_u32_e64 s7, 5, v69
	v_cmp_eq_u32_e64 s8, 7, v69
	s_waitcnt lgkmcnt(3)
	v_max3_f32 v76, v70, 0xff7fffff, v71
	s_waitcnt lgkmcnt(2)
	s_delay_alu instid0(VALU_DEP_1) | instskip(SKIP_1) | instid1(VALU_DEP_1)
	v_max3_f32 v76, v76, v72, v73
	s_waitcnt lgkmcnt(1)
	v_max3_f32 v76, v76, v74, v75
	s_waitcnt lgkmcnt(0)
	s_delay_alu instid0(VALU_DEP_1) | instskip(NEXT) | instid1(VALU_DEP_1)
	v_max3_f32 v76, v76, v94, v95
	v_sub_f32_e32 v77, v71, v76
	ds_load_2addr_b32 v[96:97], v98 offset0:136 offset1:153
	v_sub_f32_e32 v74, v74, v76
	v_sub_f32_e32 v70, v70, v76
	;; [unrolled: 1-line block ×3, first 2 shown]
	v_dual_sub_f32 v72, v72, v76 :: v_dual_mul_f32 v77, 0x3fb8aa3b, v77
	s_delay_alu instid0(VALU_DEP_4) | instskip(NEXT) | instid1(VALU_DEP_4)
	v_mul_f32_e32 v103, 0x3fb8aa3b, v74
	v_mul_f32_e32 v99, 0x3fb8aa3b, v70
	ds_load_2addr_b32 v[70:71], v98 offset0:170 offset1:187
	v_dual_mul_f32 v101, 0x3fb8aa3b, v72 :: v_dual_mul_f32 v94, 0x3fb8aa3b, v94
	v_exp_f32_e32 v102, v77
	v_exp_f32_e32 v99, v99
	s_delay_alu instid0(VALU_DEP_1) | instskip(NEXT) | instid1(VALU_DEP_1)
	v_exp_f32_e32 v101, v101
	v_exp_f32_e32 v94, v94
	s_waitcnt lgkmcnt(1)
	s_delay_alu instid0(TRANS32_DEP_3)
	v_fma_f32 v77, v99, v96, 0
	v_sub_f32_e32 v100, v73, v76
	ds_load_2addr_b32 v[72:73], v98 offset0:204 offset1:221
	v_fmac_f32_e32 v77, v102, v97
	v_exp_f32_e32 v97, v103
	s_waitcnt lgkmcnt(1)
	s_delay_alu instid0(VALU_DEP_1)
	v_dual_fmac_f32 v77, v101, v70 :: v_dual_sub_f32 v96, v75, v76
	ds_load_2addr_b32 v[74:75], v98 offset0:238 offset1:255
	v_sub_f32_e32 v70, v95, v76
	s_waitcnt lgkmcnt(0)
	s_barrier
	v_mul_f32_e32 v96, 0x3fb8aa3b, v96
	buffer_gl0_inv
	v_exp_f32_e32 v95, v96
	v_mul_f32_e32 v100, 0x3fb8aa3b, v100
	s_delay_alu instid0(VALU_DEP_1) | instskip(SKIP_3) | instid1(VALU_DEP_2)
	v_exp_f32_e32 v100, v100
	s_waitcnt_depctr 0xfff
	v_dual_fmac_f32 v77, v100, v71 :: v_dual_mul_f32 v70, 0x3fb8aa3b, v70
	v_cndmask_b32_e32 v71, v99, v102, vcc_lo
	v_fmac_f32_e32 v77, v97, v72
	s_delay_alu instid0(VALU_DEP_3) | instskip(NEXT) | instid1(VALU_DEP_1)
	v_exp_f32_e32 v96, v70
	v_fmac_f32_e32 v77, v95, v73
	s_delay_alu instid0(VALU_DEP_1) | instskip(SKIP_2) | instid1(VALU_DEP_1)
	v_fmac_f32_e32 v77, v94, v74
	s_waitcnt_depctr 0xfff
	v_fmac_f32_e32 v77, v96, v75
	v_add_f32_e32 v74, 0x358637bd, v77
	s_delay_alu instid0(VALU_DEP_1) | instskip(SKIP_1) | instid1(VALU_DEP_2)
	v_div_scale_f32 v98, null, v74, v74, 1.0
	v_div_scale_f32 v99, vcc_lo, 1.0, v74, 1.0
	v_rcp_f32_e32 v103, v98
	s_waitcnt_depctr 0xfff
	v_fma_f32 v70, -v98, v103, 1.0
	s_delay_alu instid0(VALU_DEP_1) | instskip(SKIP_2) | instid1(VALU_DEP_2)
	v_fmac_f32_e32 v103, v70, v103
	v_cndmask_b32_e64 v70, v71, v101, s4
	v_cmp_eq_u32_e64 s4, 6, v69
	v_cndmask_b32_e64 v71, v70, v100, s5
	s_delay_alu instid0(VALU_DEP_4) | instskip(NEXT) | instid1(VALU_DEP_2)
	v_dual_mul_f32 v101, v99, v103 :: v_dual_lshlrev_b32 v70, 2, v66
	v_cndmask_b32_e64 v71, v71, v97, s6
	s_delay_alu instid0(VALU_DEP_2) | instskip(NEXT) | instid1(VALU_DEP_3)
	v_or_b32_e32 v72, 1, v70
	v_fma_f32 v100, -v98, v101, v99
	v_cmp_eq_u32_e64 s5, 1, v70
	v_cmp_eq_u32_e64 s6, 2, v70
	v_cndmask_b32_e64 v95, v71, v95, s7
	v_or_b32_e32 v71, 3, v70
	v_fmac_f32_e32 v101, v100, v103
	v_cmp_eq_u32_e64 s10, 1, v72
	v_cmp_eq_u32_e64 s13, 2, v72
	v_cndmask_b32_e64 v94, v95, v94, s4
	v_cmp_eq_u32_e64 s12, 1, v71
	v_fma_f32 v97, -v98, v101, v99
	v_cmp_eq_u32_e64 s17, 2, v71
	v_cmp_eq_u32_e64 s15, 3, v72
	v_cndmask_b32_e64 v94, v94, v96, s8
	v_cmp_eq_u32_e64 s19, 3, v71
	v_div_fmas_f32 v95, v97, v103, v101
	v_cmp_eq_u32_e32 vcc_lo, 3, v70
	v_cmp_eq_u32_e64 s4, 4, v70
	v_cmp_eq_u32_e64 s20, 4, v72
	;; [unrolled: 1-line block ×3, first 2 shown]
	v_div_fixup_f32 v95, v95, v74, 1.0
	v_lshlrev_b32_e32 v73, 6, v68
	v_cmp_eq_u32_e64 s7, 5, v70
	v_cmp_eq_u32_e64 s21, 5, v72
	;; [unrolled: 1-line block ×3, first 2 shown]
	v_mul_f32_e32 v102, v94, v95
	v_lshl_or_b32 v75, v69, 11, v73
	v_or_b32_e32 v69, 2, v70
	v_cmp_eq_u32_e64 s26, 6, v72
	v_cmp_eq_u32_e64 s28, 6, v71
	v_fma_mixlo_f16 v94, v102, v79, 0
	v_fma_mixlo_f16 v95, v102, v81, 0
	;; [unrolled: 1-line block ×8, first 2 shown]
	v_lshl_or_b32 v74, v66, 4, v75
	v_fma_mixhi_f16 v94, v102, v78, 0
	v_fma_mixhi_f16 v95, v102, v80, 0
	;; [unrolled: 1-line block ×8, first 2 shown]
	ds_store_b128 v74, v[94:97]
	ds_store_b128 v74, v[98:101] offset:1024
	s_waitcnt lgkmcnt(0)
	s_barrier
	buffer_gl0_inv
	ds_load_b128 v[78:81], v75
	ds_load_b128 v[82:85], v75 offset:16
	ds_load_b128 v[86:89], v75 offset:1024
	;; [unrolled: 1-line block ×3, first 2 shown]
	v_cmp_eq_u32_e64 s11, 1, v69
	v_cmp_eq_u32_e64 s16, 2, v69
	;; [unrolled: 1-line block ×11, first 2 shown]
	s_waitcnt lgkmcnt(3)
	v_lshrrev_b32_e32 v94, 16, v78
	s_waitcnt lgkmcnt(2)
	v_lshrrev_b32_e32 v98, 16, v82
	;; [unrolled: 2-line block ×4, first 2 shown]
	v_lshrrev_b32_e32 v95, 16, v79
	v_cndmask_b32_e64 v110, v78, v94, s5
	v_cndmask_b32_e64 v111, v82, v98, s5
	;; [unrolled: 1-line block ×8, first 2 shown]
	v_lshrrev_b32_e32 v99, 16, v83
	v_cndmask_b32_e64 v94, v86, v102, s5
	v_cndmask_b32_e64 v98, v90, v106, s5
	;; [unrolled: 1-line block ×15, first 2 shown]
	v_lshrrev_b32_e32 v103, 16, v87
	v_lshrrev_b32_e32 v107, 16, v91
	v_cndmask_b32_e64 v113, v115, v83, s16
	v_cndmask_b32_e64 v82, v94, v87, s6
	;; [unrolled: 1-line block ×7, first 2 shown]
	v_cndmask_b32_e32 v90, v102, v95, vcc_lo
	v_cndmask_b32_e32 v102, v106, v99, vcc_lo
	v_cndmask_b32_e64 v106, v110, v95, s15
	v_cndmask_b32_e64 v110, v111, v99, s15
	;; [unrolled: 1-line block ×4, first 2 shown]
	v_lshrrev_b32_e32 v96, 16, v80
	v_lshrrev_b32_e32 v100, 16, v84
	v_cndmask_b32_e64 v111, v112, v95, s18
	v_cndmask_b32_e64 v112, v113, v99, s18
	v_cndmask_b32_e32 v82, v82, v103, vcc_lo
	v_cndmask_b32_e32 v83, v83, v107, vcc_lo
	v_cndmask_b32_e64 v94, v94, v103, s15
	v_cndmask_b32_e64 v90, v90, v80, s4
	;; [unrolled: 1-line block ×7, first 2 shown]
	v_lshrrev_b32_e32 v104, 16, v88
	v_cndmask_b32_e64 v106, v111, v80, s22
	v_cndmask_b32_e64 v110, v112, v84, s22
	;; [unrolled: 1-line block ×11, first 2 shown]
	v_lshrrev_b32_e32 v97, 16, v81
	v_lshrrev_b32_e32 v101, 16, v85
	v_cndmask_b32_e64 v99, v106, v96, s24
	v_cndmask_b32_e64 v102, v110, v100, s24
	;; [unrolled: 1-line block ×7, first 2 shown]
	v_lshrrev_b32_e32 v105, 16, v89
	v_cndmask_b32_e64 v80, v80, v104, s7
	v_cndmask_b32_e64 v84, v84, v81, s8
	;; [unrolled: 1-line block ×16, first 2 shown]
	v_perm_b32 v81, v79, v78, 0x5040100
	v_perm_b32 v79, v95, v85, 0x5040100
	v_cndmask_b32_e64 v78, v119, v91, s16
	v_cndmask_b32_e64 v85, v117, v91, s13
	;; [unrolled: 1-line block ×3, first 2 shown]
	v_perm_b32 v80, v94, v90, 0x5040100
	v_cndmask_b32_e64 v90, v98, v103, s18
	v_cndmask_b32_e64 v86, v86, v103, s19
	;; [unrolled: 1-line block ×5, first 2 shown]
	v_lshrrev_b32_e32 v108, 16, v92
	v_cndmask_b32_e64 v90, v90, v88, s22
	v_cndmask_b32_e64 v86, v86, v88, s23
	;; [unrolled: 1-line block ×11, first 2 shown]
	v_lshrrev_b32_e32 v109, 16, v93
	v_cndmask_b32_e64 v82, v82, v93, s8
	v_cndmask_b32_e64 v88, v88, v89, s27
	;; [unrolled: 1-line block ×12, first 2 shown]
	v_perm_b32 v78, v84, v83, 0x5040100
	v_perm_b32 v85, v87, v86, 0x5040100
	;; [unrolled: 1-line block ×5, first 2 shown]
	s_mul_i32 s9, s35, 13
	s_mov_b32 s4, exec_lo
	ds_store_b128 v74, v[78:81]
	ds_store_b128 v74, v[82:85] offset:1024
	v_cmpx_gt_u32_e32 13, v0
	s_cbranch_execz .LBB902_14
; %bb.13:
	s_mul_i32 s5, s9, s34
	s_load_b128 s[16:19], s[0:1], 0x58
	v_add3_u32 v68, s5, s33, v68
	s_delay_alu instid0(VALU_DEP_1) | instskip(NEXT) | instid1(VALU_DEP_1)
	v_mad_u64_u32 v[78:79], null, v68, s36, s[14:15]
	v_ashrrev_i32_e32 v79, 31, v78
	s_delay_alu instid0(VALU_DEP_1) | instskip(SKIP_1) | instid1(VALU_DEP_1)
	v_lshlrev_b64 v[78:79], 2, v[78:79]
	s_waitcnt lgkmcnt(0)
	v_add_co_u32 v80, vcc_lo, s18, v78
	s_delay_alu instid0(VALU_DEP_2)
	v_add_co_ci_u32_e32 v81, vcc_lo, s19, v79, vcc_lo
	v_add_co_u32 v78, vcc_lo, s16, v78
	v_add_co_ci_u32_e32 v79, vcc_lo, s17, v79, vcc_lo
	global_store_b32 v[80:81], v76, off
	global_store_b32 v[78:79], v77, off
.LBB902_14:
	s_or_b32 exec_lo, exec_lo, s4
	s_waitcnt lgkmcnt(0)
	s_waitcnt_vscnt null, 0x0
	s_barrier
	buffer_gl0_inv
	ds_load_b128 v[84:87], v73
	ds_load_b128 v[88:91], v73 offset:16
	ds_load_b128 v[96:99], v73 offset:2064
	;; [unrolled: 1-line block ×5, first 2 shown]
	v_cmp_eq_u32_e32 vcc_lo, 1, v70
	v_mov_b32_e32 v76, 0
	ds_load_b128 v[112:115], v73 offset:6160
	ds_load_b128 v[108:111], v73 offset:6144
	;; [unrolled: 1-line block ×4, first 2 shown]
	v_cmp_eq_u32_e64 s5, 1, v69
	v_cmp_eq_u32_e64 s4, 1, v72
	;; [unrolled: 1-line block ×3, first 2 shown]
	v_mov_b32_e32 v77, v76
	v_mov_b32_e32 v78, v76
	;; [unrolled: 1-line block ×7, first 2 shown]
	v_cmp_eq_u32_e64 s7, 3, v72
	v_cmp_eq_u32_e64 s8, 7, v72
	s_waitcnt lgkmcnt(8)
	s_delay_alu instid0(VALU_DEP_3)
	v_wmma_f32_16x16x16_f16 v[76:83], v[49:56], v[84:91], v[76:83]
	ds_load_b128 v[53:56], v73 offset:10256
	ds_load_b128 v[49:52], v73 offset:10240
	s_waitcnt lgkmcnt(8)
	v_wmma_f32_16x16x16_f16 v[76:83], v[41:48], v[92:99], v[76:83]
	ds_load_b128 v[45:48], v73 offset:12304
	ds_load_b128 v[41:44], v73 offset:12288
	s_waitcnt lgkmcnt(8)
	;; [unrolled: 4-line block ×3, first 2 shown]
	s_barrier
	buffer_gl0_inv
	v_wmma_f32_16x16x16_f16 v[76:83], v[1:8], v[108:115], v[76:83]
	s_delay_alu instid0(VALU_DEP_1) | instskip(NEXT) | instid1(VALU_DEP_1)
	v_wmma_f32_16x16x16_f16 v[76:83], v[9:16], v[116:123], v[76:83]
	v_wmma_f32_16x16x16_f16 v[76:83], v[17:24], v[49:56], v[76:83]
	s_delay_alu instid0(VALU_DEP_1) | instskip(NEXT) | instid1(VALU_DEP_1)
	v_wmma_f32_16x16x16_f16 v[76:83], v[25:32], v[41:48], v[76:83]
	v_wmma_f32_16x16x16_f16 v[76:83], v[57:64], v[33:40], v[76:83]
	s_delay_alu instid0(VALU_DEP_1) | instskip(NEXT) | instid1(VALU_DEP_2)
	v_cvt_f16_f32_e32 v1, v76
	v_cvt_f16_f32_e32 v2, v77
	s_delay_alu instid0(VALU_DEP_3) | instskip(NEXT) | instid1(VALU_DEP_4)
	v_cvt_f16_f32_e32 v3, v78
	v_cvt_f16_f32_e32 v4, v79
	;; [unrolled: 1-line block ×6, first 2 shown]
	v_pack_b32_f16 v1, v1, v2
	v_pack_b32_f16 v2, v3, v4
	;; [unrolled: 1-line block ×3, first 2 shown]
	s_delay_alu instid0(VALU_DEP_4)
	v_pack_b32_f16 v4, v7, v8
	ds_store_b128 v74, v[1:4]
	s_waitcnt lgkmcnt(0)
	s_barrier
	buffer_gl0_inv
	ds_load_b128 v[1:4], v75
	ds_load_b128 v[5:8], v75 offset:16
	s_waitcnt lgkmcnt(1)
	v_lshrrev_b32_e32 v9, 16, v1
	s_waitcnt lgkmcnt(0)
	v_lshrrev_b32_e32 v13, 16, v5
	v_lshrrev_b32_e32 v10, 16, v2
	;; [unrolled: 1-line block ×4, first 2 shown]
	v_cndmask_b32_e32 v17, v1, v9, vcc_lo
	v_cndmask_b32_e32 v18, v5, v13, vcc_lo
	v_cndmask_b32_e64 v21, v1, v9, s5
	v_cmp_eq_u32_e32 vcc_lo, 1, v71
	v_cndmask_b32_e64 v22, v5, v13, s5
	v_cmp_eq_u32_e64 s5, 2, v70
	v_cndmask_b32_e64 v19, v1, v9, s4
	v_cndmask_b32_e64 v20, v5, v13, s4
	v_cndmask_b32_e32 v1, v1, v9, vcc_lo
	v_cmp_eq_u32_e64 s4, 2, v71
	v_cndmask_b32_e32 v5, v5, v13, vcc_lo
	v_cndmask_b32_e64 v9, v17, v2, s5
	v_cmp_eq_u32_e32 vcc_lo, 3, v70
	v_cndmask_b32_e64 v13, v18, v6, s5
	v_cmp_eq_u32_e64 s5, 2, v69
	v_cndmask_b32_e64 v17, v19, v2, s6
	v_cndmask_b32_e64 v18, v20, v6, s6
	v_cmp_eq_u32_e64 s6, 3, v69
	v_cndmask_b32_e64 v1, v1, v2, s4
	v_cndmask_b32_e64 v19, v21, v2, s5
	;; [unrolled: 1-line block ×4, first 2 shown]
	v_cndmask_b32_e32 v5, v9, v10, vcc_lo
	v_cndmask_b32_e32 v6, v13, v14, vcc_lo
	v_cmp_eq_u32_e32 vcc_lo, 3, v71
	v_cndmask_b32_e64 v9, v17, v10, s7
	v_cndmask_b32_e64 v13, v18, v14, s7
	;; [unrolled: 1-line block ×3, first 2 shown]
	v_cmp_eq_u32_e64 s5, 4, v70
	v_cndmask_b32_e32 v1, v1, v10, vcc_lo
	v_cndmask_b32_e32 v2, v2, v14, vcc_lo
	v_cmp_eq_u32_e32 vcc_lo, 4, v72
	v_lshrrev_b32_e32 v15, 16, v7
	v_lshrrev_b32_e32 v16, 16, v8
	v_cndmask_b32_e64 v17, v19, v10, s6
	v_cmp_eq_u32_e64 s4, 4, v71
	v_cndmask_b32_e64 v5, v5, v3, s5
	v_cndmask_b32_e64 v6, v6, v7, s5
	v_cndmask_b32_e32 v9, v9, v3, vcc_lo
	v_cmp_eq_u32_e64 s5, 5, v72
	v_cndmask_b32_e32 v10, v13, v7, vcc_lo
	v_cmp_eq_u32_e32 vcc_lo, 4, v69
	v_cmp_eq_u32_e64 s6, 5, v70
	v_cndmask_b32_e64 v2, v2, v7, s4
	v_cndmask_b32_e64 v9, v9, v11, s5
	;; [unrolled: 1-line block ×3, first 2 shown]
	v_cndmask_b32_e32 v13, v17, v3, vcc_lo
	v_cmp_eq_u32_e64 s5, 5, v69
	v_cndmask_b32_e32 v14, v18, v7, vcc_lo
	v_cndmask_b32_e64 v1, v1, v3, s4
	v_cmp_eq_u32_e32 vcc_lo, 5, v71
	v_lshrrev_b32_e32 v12, 16, v4
	v_cndmask_b32_e64 v13, v13, v11, s5
	v_cndmask_b32_e64 v3, v14, v15, s5
	v_cmp_eq_u32_e64 s5, 6, v71
	v_cndmask_b32_e32 v1, v1, v11, vcc_lo
	v_cndmask_b32_e64 v5, v5, v11, s6
	v_cmp_eq_u32_e64 s7, 6, v70
	v_cndmask_b32_e64 v6, v6, v15, s6
	v_cmp_eq_u32_e64 s6, 6, v72
	v_cmp_eq_u32_e64 s4, 6, v69
	v_cndmask_b32_e64 v1, v1, v4, s5
	v_cndmask_b32_e32 v2, v2, v15, vcc_lo
	v_cmp_eq_u32_e32 vcc_lo, 7, v71
	v_cndmask_b32_e64 v5, v5, v4, s7
	v_cndmask_b32_e64 v9, v9, v4, s6
	;; [unrolled: 1-line block ×3, first 2 shown]
	v_cmp_eq_u32_e64 s7, 7, v70
	v_cndmask_b32_e32 v1, v1, v12, vcc_lo
	v_cndmask_b32_e64 v7, v13, v4, s4
	v_cndmask_b32_e64 v3, v3, v8, s4
	;; [unrolled: 1-line block ×3, first 2 shown]
	v_cmp_eq_u32_e64 s4, 7, v69
	v_cndmask_b32_e64 v4, v10, v8, s6
	v_cndmask_b32_e64 v5, v5, v12, s7
	;; [unrolled: 1-line block ×3, first 2 shown]
	v_cndmask_b32_e32 v2, v2, v16, vcc_lo
	v_cndmask_b32_e64 v7, v7, v12, s4
	v_cndmask_b32_e64 v3, v3, v16, s4
	;; [unrolled: 1-line block ×4, first 2 shown]
	v_cmp_gt_u32_e32 vcc_lo, 32, v0
	v_perm_b32 v4, v2, v1, 0x5040100
	v_perm_b32 v3, v3, v7, 0x5040100
	;; [unrolled: 1-line block ×4, first 2 shown]
	s_and_b32 s2, vcc_lo, s2
	ds_store_b128 v74, v[1:4]
	s_waitcnt lgkmcnt(0)
	s_barrier
	buffer_gl0_inv
	s_and_saveexec_b32 s4, s2
	s_cbranch_execz .LBB902_2
; %bb.15:
	s_load_b64 s[4:5], s[0:1], 0x68
	v_lshlrev_b32_e32 v0, 10, v0
	v_lshlrev_b32_e32 v1, 4, v67
	s_lshl_b32 s0, s36, 6
	v_add_nc_u32_e32 v18, s33, v66
	s_mul_i32 s1, s0, s34
	s_delay_alu instid0(VALU_DEP_2) | instskip(SKIP_1) | instid1(VALU_DEP_2)
	v_and_or_b32 v0, 0x3800, v0, v1
	s_mul_i32 s6, s1, s9
	v_mul_lo_u32 v1, v18, s0
	s_ashr_i32 s7, s6, 31
	v_add_nc_u32_e32 v2, 2, v18
	v_lshl_or_b32 v19, v66, 6, v0
	s_lshl_b64 s[6:7], s[6:7], 1
	v_add_nc_u32_e32 v8, 4, v18
	v_add_nc_u32_e32 v15, 6, v18
	v_mul_lo_u32 v7, v2, s0
	ds_load_b128 v[3:6], v19
	v_ashrrev_i32_e32 v2, 31, v1
	v_mul_lo_u32 v11, v8, s0
	s_waitcnt lgkmcnt(0)
	s_add_u32 s1, s4, s6
	s_addc_u32 s2, s5, s7
	s_lshl_b32 s4, s14, 6
	v_lshlrev_b64 v[9:10], 1, v[1:2]
	s_ashr_i32 s5, s4, 31
	v_ashrrev_i32_e32 v8, 31, v7
	s_lshl_b64 s[4:5], s[4:5], 1
	v_ashrrev_i32_e32 v12, 31, v11
	s_add_u32 s1, s1, s4
	s_addc_u32 s2, s2, s5
	v_add_co_u32 v1, s1, s1, v65
	s_delay_alu instid0(VALU_DEP_1) | instskip(SKIP_1) | instid1(VALU_DEP_3)
	v_add_co_ci_u32_e64 v2, null, s2, 0, s1
	v_mul_lo_u32 v15, v15, s0
	v_add_co_u32 v13, vcc_lo, v1, v9
	s_delay_alu instid0(VALU_DEP_3)
	v_add_co_ci_u32_e32 v14, vcc_lo, v2, v10, vcc_lo
	v_lshlrev_b64 v[16:17], 1, v[7:8]
	ds_load_b128 v[7:10], v19 offset:128
	global_store_b128 v[13:14], v[3:6], off
	v_add_nc_u32_e32 v5, 8, v18
	v_lshlrev_b64 v[3:4], 1, v[11:12]
	v_add_co_u32 v23, vcc_lo, v1, v16
	v_ashrrev_i32_e32 v16, 31, v15
	s_delay_alu instid0(VALU_DEP_4) | instskip(SKIP_3) | instid1(VALU_DEP_3)
	v_mul_lo_u32 v25, v5, s0
	v_add_nc_u32_e32 v5, 10, v18
	v_add_co_ci_u32_e32 v24, vcc_lo, v2, v17, vcc_lo
	v_add_co_u32 v27, vcc_lo, v1, v3
	v_mul_lo_u32 v29, v5, s0
	v_add_co_ci_u32_e32 v28, vcc_lo, v2, v4, vcc_lo
	v_lshlrev_b64 v[31:32], 1, v[15:16]
	ds_load_b128 v[3:6], v19 offset:256
	ds_load_b128 v[11:14], v19 offset:384
	;; [unrolled: 1-line block ×4, first 2 shown]
	v_ashrrev_i32_e32 v26, 31, v25
	v_ashrrev_i32_e32 v30, 31, v29
	v_add_co_u32 v31, vcc_lo, v1, v31
	s_delay_alu instid0(VALU_DEP_3) | instskip(SKIP_1) | instid1(VALU_DEP_4)
	v_lshlrev_b64 v[25:26], 1, v[25:26]
	v_add_co_ci_u32_e32 v32, vcc_lo, v2, v32, vcc_lo
	v_lshlrev_b64 v[29:30], 1, v[29:30]
	s_delay_alu instid0(VALU_DEP_3) | instskip(NEXT) | instid1(VALU_DEP_4)
	v_add_co_u32 v25, vcc_lo, v1, v25
	v_add_co_ci_u32_e32 v26, vcc_lo, v2, v26, vcc_lo
	s_delay_alu instid0(VALU_DEP_3) | instskip(NEXT) | instid1(VALU_DEP_4)
	v_add_co_u32 v29, vcc_lo, v1, v29
	v_add_co_ci_u32_e32 v30, vcc_lo, v2, v30, vcc_lo
	s_waitcnt lgkmcnt(4)
	global_store_b128 v[23:24], v[7:10], off
	s_waitcnt lgkmcnt(3)
	global_store_b128 v[27:28], v[3:6], off
	;; [unrolled: 2-line block ×5, first 2 shown]
	s_and_b32 exec_lo, exec_lo, s3
	s_cbranch_execz .LBB902_2
; %bb.16:
	ds_load_b128 v[3:6], v0 offset:768
	s_add_i32 s1, s33, 12
	s_delay_alu instid0(SALU_CYCLE_1) | instskip(NEXT) | instid1(SALU_CYCLE_1)
	s_mul_i32 s0, s1, s0
	s_ashr_i32 s1, s0, 31
	s_delay_alu instid0(SALU_CYCLE_1) | instskip(NEXT) | instid1(SALU_CYCLE_1)
	s_lshl_b64 s[0:1], s[0:1], 1
	v_add_co_u32 v0, vcc_lo, v1, s0
	v_add_co_ci_u32_e32 v1, vcc_lo, s1, v2, vcc_lo
	s_waitcnt lgkmcnt(0)
	global_store_b128 v[0:1], v[3:6], off
	s_nop 0
	s_sendmsg sendmsg(MSG_DEALLOC_VGPRS)
	s_endpgm
	.section	.rodata,"a",@progbits
	.p2align	6, 0x0
	.amdhsa_kernel _Z39paged_attention_ll4mi_QKV_mfma16_kernelIDF16_hLN4vllm18Fp8KVCacheDataTypeE1EDF16_Li32ELi64ELi256ELb1ELi13EL8MFMAType1EEvPKT_PKT0_S8_ifPKiSA_SA_iPKfiiiPfSD_PS3_PT2_iSC_SC_
		.amdhsa_group_segment_fixed_size 17472
		.amdhsa_private_segment_fixed_size 0
		.amdhsa_kernarg_size 400
		.amdhsa_user_sgpr_count 13
		.amdhsa_user_sgpr_dispatch_ptr 0
		.amdhsa_user_sgpr_queue_ptr 0
		.amdhsa_user_sgpr_kernarg_segment_ptr 1
		.amdhsa_user_sgpr_dispatch_id 0
		.amdhsa_user_sgpr_private_segment_size 0
		.amdhsa_wavefront_size32 1
		.amdhsa_uses_dynamic_stack 0
		.amdhsa_enable_private_segment 0
		.amdhsa_system_sgpr_workgroup_id_x 1
		.amdhsa_system_sgpr_workgroup_id_y 1
		.amdhsa_system_sgpr_workgroup_id_z 1
		.amdhsa_system_sgpr_workgroup_info 0
		.amdhsa_system_vgpr_workitem_id 0
		.amdhsa_next_free_vgpr 146
		.amdhsa_next_free_sgpr 37
		.amdhsa_reserve_vcc 1
		.amdhsa_float_round_mode_32 0
		.amdhsa_float_round_mode_16_64 0
		.amdhsa_float_denorm_mode_32 3
		.amdhsa_float_denorm_mode_16_64 3
		.amdhsa_dx10_clamp 1
		.amdhsa_ieee_mode 1
		.amdhsa_fp16_overflow 0
		.amdhsa_workgroup_processor_mode 1
		.amdhsa_memory_ordered 1
		.amdhsa_forward_progress 0
		.amdhsa_shared_vgpr_count 0
		.amdhsa_exception_fp_ieee_invalid_op 0
		.amdhsa_exception_fp_denorm_src 0
		.amdhsa_exception_fp_ieee_div_zero 0
		.amdhsa_exception_fp_ieee_overflow 0
		.amdhsa_exception_fp_ieee_underflow 0
		.amdhsa_exception_fp_ieee_inexact 0
		.amdhsa_exception_int_div_zero 0
	.end_amdhsa_kernel
	.section	.text._Z39paged_attention_ll4mi_QKV_mfma16_kernelIDF16_hLN4vllm18Fp8KVCacheDataTypeE1EDF16_Li32ELi64ELi256ELb1ELi13EL8MFMAType1EEvPKT_PKT0_S8_ifPKiSA_SA_iPKfiiiPfSD_PS3_PT2_iSC_SC_,"axG",@progbits,_Z39paged_attention_ll4mi_QKV_mfma16_kernelIDF16_hLN4vllm18Fp8KVCacheDataTypeE1EDF16_Li32ELi64ELi256ELb1ELi13EL8MFMAType1EEvPKT_PKT0_S8_ifPKiSA_SA_iPKfiiiPfSD_PS3_PT2_iSC_SC_,comdat
.Lfunc_end902:
	.size	_Z39paged_attention_ll4mi_QKV_mfma16_kernelIDF16_hLN4vllm18Fp8KVCacheDataTypeE1EDF16_Li32ELi64ELi256ELb1ELi13EL8MFMAType1EEvPKT_PKT0_S8_ifPKiSA_SA_iPKfiiiPfSD_PS3_PT2_iSC_SC_, .Lfunc_end902-_Z39paged_attention_ll4mi_QKV_mfma16_kernelIDF16_hLN4vllm18Fp8KVCacheDataTypeE1EDF16_Li32ELi64ELi256ELb1ELi13EL8MFMAType1EEvPKT_PKT0_S8_ifPKiSA_SA_iPKfiiiPfSD_PS3_PT2_iSC_SC_
                                        ; -- End function
	.section	.AMDGPU.csdata,"",@progbits
; Kernel info:
; codeLenInByte = 6700
; NumSgprs: 39
; NumVgprs: 146
; ScratchSize: 0
; MemoryBound: 0
; FloatMode: 240
; IeeeMode: 1
; LDSByteSize: 17472 bytes/workgroup (compile time only)
; SGPRBlocks: 4
; VGPRBlocks: 18
; NumSGPRsForWavesPerEU: 39
; NumVGPRsForWavesPerEU: 146
; Occupancy: 9
; WaveLimiterHint : 1
; COMPUTE_PGM_RSRC2:SCRATCH_EN: 0
; COMPUTE_PGM_RSRC2:USER_SGPR: 13
; COMPUTE_PGM_RSRC2:TRAP_HANDLER: 0
; COMPUTE_PGM_RSRC2:TGID_X_EN: 1
; COMPUTE_PGM_RSRC2:TGID_Y_EN: 1
; COMPUTE_PGM_RSRC2:TGID_Z_EN: 1
; COMPUTE_PGM_RSRC2:TIDIG_COMP_CNT: 0
	.section	.text._Z39paged_attention_ll4mi_QKV_mfma16_kernelIDF16_hLN4vllm18Fp8KVCacheDataTypeE1EDF16_Li32ELi64ELi256ELb1ELi14EL8MFMAType1EEvPKT_PKT0_S8_ifPKiSA_SA_iPKfiiiPfSD_PS3_PT2_iSC_SC_,"axG",@progbits,_Z39paged_attention_ll4mi_QKV_mfma16_kernelIDF16_hLN4vllm18Fp8KVCacheDataTypeE1EDF16_Li32ELi64ELi256ELb1ELi14EL8MFMAType1EEvPKT_PKT0_S8_ifPKiSA_SA_iPKfiiiPfSD_PS3_PT2_iSC_SC_,comdat
	.protected	_Z39paged_attention_ll4mi_QKV_mfma16_kernelIDF16_hLN4vllm18Fp8KVCacheDataTypeE1EDF16_Li32ELi64ELi256ELb1ELi14EL8MFMAType1EEvPKT_PKT0_S8_ifPKiSA_SA_iPKfiiiPfSD_PS3_PT2_iSC_SC_ ; -- Begin function _Z39paged_attention_ll4mi_QKV_mfma16_kernelIDF16_hLN4vllm18Fp8KVCacheDataTypeE1EDF16_Li32ELi64ELi256ELb1ELi14EL8MFMAType1EEvPKT_PKT0_S8_ifPKiSA_SA_iPKfiiiPfSD_PS3_PT2_iSC_SC_
	.globl	_Z39paged_attention_ll4mi_QKV_mfma16_kernelIDF16_hLN4vllm18Fp8KVCacheDataTypeE1EDF16_Li32ELi64ELi256ELb1ELi14EL8MFMAType1EEvPKT_PKT0_S8_ifPKiSA_SA_iPKfiiiPfSD_PS3_PT2_iSC_SC_
	.p2align	8
	.type	_Z39paged_attention_ll4mi_QKV_mfma16_kernelIDF16_hLN4vllm18Fp8KVCacheDataTypeE1EDF16_Li32ELi64ELi256ELb1ELi14EL8MFMAType1EEvPKT_PKT0_S8_ifPKiSA_SA_iPKfiiiPfSD_PS3_PT2_iSC_SC_,@function
_Z39paged_attention_ll4mi_QKV_mfma16_kernelIDF16_hLN4vllm18Fp8KVCacheDataTypeE1EDF16_Li32ELi64ELi256ELb1ELi14EL8MFMAType1EEvPKT_PKT0_S8_ifPKiSA_SA_iPKfiiiPfSD_PS3_PT2_iSC_SC_: ; @_Z39paged_attention_ll4mi_QKV_mfma16_kernelIDF16_hLN4vllm18Fp8KVCacheDataTypeE1EDF16_Li32ELi64ELi256ELb1ELi14EL8MFMAType1EEvPKT_PKT0_S8_ifPKiSA_SA_iPKfiiiPfSD_PS3_PT2_iSC_SC_
; %bb.0:
	s_load_b64 s[2:3], s[0:1], 0x30
	s_mov_b32 s34, s13
	s_waitcnt lgkmcnt(0)
	s_cmp_lg_u64 s[2:3], 0
	s_cselect_b32 s6, -1, 0
	s_ashr_i32 s35, s13, 31
	s_cmp_eq_u64 s[2:3], 0
	s_cbranch_scc1 .LBB903_3
; %bb.1:
	s_lshl_b64 s[4:5], s[34:35], 2
	s_delay_alu instid0(SALU_CYCLE_1) | instskip(SKIP_4) | instid1(SALU_CYCLE_1)
	s_add_u32 s4, s2, s4
	s_addc_u32 s5, s3, s5
	s_load_b64 s[4:5], s[4:5], 0x0
	s_waitcnt lgkmcnt(0)
	s_sub_i32 s4, s5, s4
	s_cmp_eq_u32 s4, 1
	s_cselect_b32 s4, -1, 0
	s_delay_alu instid0(SALU_CYCLE_1)
	s_and_not1_b32 vcc_lo, exec_lo, s4
	s_cbranch_vccz .LBB903_4
.LBB903_2:
	s_endpgm
.LBB903_3:
.LBB903_4:
	s_load_b64 s[8:9], s[0:1], 0x28
	s_lshl_b64 s[4:5], s[34:35], 2
	s_waitcnt lgkmcnt(0)
	s_add_u32 s8, s8, s4
	s_addc_u32 s9, s9, s5
	s_lshl_b32 s16, s14, 8
	s_load_b32 s18, s[8:9], 0x0
	s_waitcnt lgkmcnt(0)
	s_cmp_ge_i32 s16, s18
	s_cbranch_scc1 .LBB903_2
; %bb.5:
	s_clause 0x1
	s_load_b128 s[8:11], s[0:1], 0x8
	s_load_b64 s[12:13], s[0:1], 0x20
	s_and_not1_b32 vcc_lo, exec_lo, s6
	s_cbranch_vccnz .LBB903_7
; %bb.6:
	s_add_u32 s2, s2, s4
	s_addc_u32 s3, s3, s5
	s_load_b32 s3, s[2:3], 0x0
	s_branch .LBB903_8
.LBB903_7:
	s_mov_b32 s3, s34
.LBB903_8:
	s_load_b128 s[4:7], s[0:1], 0x48
	v_and_b32_e32 v68, 15, v0
	v_cmp_gt_u32_e32 vcc_lo, 0xe0, v0
	v_lshrrev_b32_e32 v69, 5, v0
	v_and_b32_e32 v70, 31, v0
	v_and_b32_e32 v67, 1, v0
	v_lshlrev_b32_e32 v1, 3, v68
	v_cmp_gt_u32_e64 s2, 8, v68
	v_bfe_u32 v66, v0, 4, 1
	s_mul_i32 s31, s15, 14
	s_delay_alu instid0(VALU_DEP_3) | instskip(NEXT) | instid1(VALU_DEP_3)
	v_lshlrev_b32_e32 v65, 1, v1
	s_and_b32 s17, vcc_lo, s2
	s_waitcnt lgkmcnt(0)
	s_and_saveexec_b32 s7, s17
	s_cbranch_execz .LBB903_10
; %bb.9:
	s_load_b64 s[20:21], s[0:1], 0x0
	v_lshl_or_b32 v5, v69, 1, v66
	s_mul_hi_i32 s23, s3, s4
	s_mul_i32 s22, s3, s4
	v_lshlrev_b32_e32 v6, 10, v68
	s_lshl_b64 s[22:23], s[22:23], 1
	v_add_lshl_u32 v1, v5, s31, 6
	v_lshlrev_b32_e32 v5, 6, v5
	v_lshlrev_b32_e32 v7, 10, v67
	v_and_b32_e32 v6, 0x3800, v6
	s_delay_alu instid0(VALU_DEP_4) | instskip(NEXT) | instid1(VALU_DEP_2)
	v_ashrrev_i32_e32 v2, 31, v1
	v_or3_b32 v5, v6, v7, v5
	s_delay_alu instid0(VALU_DEP_2) | instskip(SKIP_3) | instid1(VALU_DEP_1)
	v_lshlrev_b64 v[1:2], 1, v[1:2]
	s_waitcnt lgkmcnt(0)
	s_add_u32 s3, s20, s22
	s_addc_u32 s4, s21, s23
	v_add_co_u32 v1, vcc_lo, s3, v1
	s_delay_alu instid0(VALU_DEP_2) | instskip(NEXT) | instid1(VALU_DEP_2)
	v_add_co_ci_u32_e32 v2, vcc_lo, s4, v2, vcc_lo
	v_add_co_u32 v1, vcc_lo, v1, v65
	s_delay_alu instid0(VALU_DEP_2)
	v_add_co_ci_u32_e32 v2, vcc_lo, 0, v2, vcc_lo
	global_load_b128 v[1:4], v[1:2], off
	s_waitcnt vmcnt(0)
	ds_store_b128 v5, v[1:4]
.LBB903_10:
	s_or_b32 exec_lo, exec_lo, s7
	v_and_b32_e32 v1, 0xef, v0
	s_add_i32 s3, s18, 31
	s_clause 0x1
	s_load_b32 s4, s[0:1], 0x38
	s_load_b32 s33, s[0:1], 0x98
	s_ashr_i32 s7, s3, 31
	v_add_nc_u32_e32 v1, s16, v1
	s_lshr_b32 s7, s7, 27
	s_load_b32 s19, s[0:1], 0x1c
	v_add_nc_u32_e32 v103, -14, v68
	s_add_i32 s3, s3, s7
	v_ashrrev_i32_e32 v2, 31, v1
	v_or_b32_e32 v3, 16, v1
	s_ashr_i32 s3, s3, 5
	v_cmp_gt_i32_e32 vcc_lo, s18, v1
	s_add_i32 s3, s3, -1
	v_lshrrev_b32_e32 v2, 27, v2
	s_waitcnt lgkmcnt(0)
	s_barrier
	buffer_gl0_inv
	s_mul_i32 s15, s15, s6
	v_add_nc_u32_e32 v4, v1, v2
	v_mbcnt_lo_u32_b32 v127, -1, 0
	s_mul_i32 s20, s34, s4
	s_delay_alu instid0(SALU_CYCLE_1) | instskip(NEXT) | instid1(VALU_DEP_2)
	s_ashr_i32 s21, s20, 31
	v_ashrrev_i32_e32 v4, 5, v4
	v_add_nc_u32_e32 v2, v3, v2
	s_lshl_b64 s[20:21], s[20:21], 2
	v_xor_b32_e32 v128, 16, v127
	s_add_u32 s17, s12, s20
	v_cndmask_b32_e32 v1, s3, v4, vcc_lo
	v_ashrrev_i32_e32 v2, 5, v2
	v_cmp_gt_i32_e32 vcc_lo, s18, v3
	s_addc_u32 s13, s13, s21
	s_ashr_i32 s20, s15, 31
	s_add_u32 s22, s8, s15
	s_addc_u32 s23, s9, s20
	v_cndmask_b32_e32 v3, s3, v2, vcc_lo
	v_ashrrev_i32_e32 v2, 31, v1
	s_lshl_b32 s6, s14, 3
	s_delay_alu instid0(SALU_CYCLE_1) | instskip(NEXT) | instid1(VALU_DEP_2)
	s_ashr_i32 s7, s6, 31
	v_ashrrev_i32_e32 v4, 31, v3
	s_delay_alu instid0(VALU_DEP_2) | instskip(SKIP_1) | instid1(SALU_CYCLE_1)
	v_lshlrev_b64 v[1:2], 2, v[1:2]
	s_lshl_b64 s[6:7], s[6:7], 2
	s_add_u32 s6, s17, s6
	s_delay_alu instid0(VALU_DEP_2) | instskip(SKIP_1) | instid1(VALU_DEP_2)
	v_lshlrev_b64 v[3:4], 2, v[3:4]
	s_addc_u32 s7, s13, s7
	v_add_co_u32 v1, vcc_lo, s17, v1
	v_add_co_ci_u32_e32 v2, vcc_lo, s13, v2, vcc_lo
	s_delay_alu instid0(VALU_DEP_3) | instskip(NEXT) | instid1(VALU_DEP_4)
	v_add_co_u32 v3, vcc_lo, s17, v3
	v_add_co_ci_u32_e32 v4, vcc_lo, s13, v4, vcc_lo
	s_clause 0x1
	global_load_b32 v5, v[1:2], off
	global_load_b32 v6, v[3:4], off
	s_or_b32 s4, s16, 32
	s_delay_alu instid0(SALU_CYCLE_1) | instskip(SKIP_2) | instid1(SALU_CYCLE_1)
	s_ashr_i32 s8, s4, 5
	s_cmp_lt_i32 s4, s18
	s_cselect_b32 s8, s8, s3
	s_ashr_i32 s9, s8, 31
	s_delay_alu instid0(SALU_CYCLE_1) | instskip(NEXT) | instid1(SALU_CYCLE_1)
	s_lshl_b64 s[8:9], s[8:9], 2
	s_add_u32 s8, s17, s8
	s_addc_u32 s9, s13, s9
	s_or_b32 s4, s16, 64
	s_delay_alu instid0(SALU_CYCLE_1) | instskip(SKIP_2) | instid1(SALU_CYCLE_1)
	s_ashr_i32 s12, s4, 5
	s_cmp_lt_i32 s4, s18
	s_cselect_b32 s24, s12, s3
	s_ashr_i32 s25, s24, 31
	s_delay_alu instid0(SALU_CYCLE_1) | instskip(NEXT) | instid1(SALU_CYCLE_1)
	s_lshl_b64 s[24:25], s[24:25], 2
	s_add_u32 s24, s17, s24
	s_addc_u32 s25, s13, s25
	;; [unrolled: 10-line block ×5, first 2 shown]
	s_clause 0x5
	s_load_b32 s12, s[6:7], 0x0
	s_load_b32 s4, s[8:9], 0x0
	;; [unrolled: 1-line block ×6, first 2 shown]
	s_or_b32 s21, s16, 0xc0
	s_waitcnt vmcnt(1)
	v_mad_i64_i32 v[1:2], null, v5, s5, s[22:23]
	v_lshlrev_b32_e32 v5, 4, v68
	s_waitcnt vmcnt(0)
	v_mad_i64_i32 v[3:4], null, v6, s5, s[22:23]
	s_ashr_i32 s22, s21, 5
	s_cmp_lt_i32 s21, s18
	s_delay_alu instid0(VALU_DEP_3) | instskip(NEXT) | instid1(VALU_DEP_4)
	v_add_co_u32 v1, vcc_lo, v1, v5
	v_add_co_ci_u32_e32 v2, vcc_lo, 0, v2, vcc_lo
	s_delay_alu instid0(VALU_DEP_3) | instskip(NEXT) | instid1(VALU_DEP_4)
	v_add_co_u32 v3, vcc_lo, v3, v5
	v_add_co_ci_u32_e32 v4, vcc_lo, 0, v4, vcc_lo
	s_clause 0x7
	global_load_b128 v[71:74], v[1:2], off
	global_load_b128 v[75:78], v[1:2], off offset:512
	global_load_b128 v[79:82], v[3:4], off offset:256
	;; [unrolled: 1-line block ×7, first 2 shown]
	s_cselect_b32 s22, s22, s3
	v_lshlrev_b32_e32 v1, 5, v68
	s_ashr_i32 s23, s22, 31
	v_cmp_gt_u32_e32 vcc_lo, 14, v68
	s_lshl_b64 s[22:23], s[22:23], 2
	s_delay_alu instid0(SALU_CYCLE_1)
	s_add_u32 s22, s17, s22
	s_addc_u32 s23, s13, s23
	s_or_b32 s21, s16, 0xe0
	v_lshl_or_b32 v1, v69, 9, v1
	s_ashr_i32 s24, s21, 5
	s_cmp_lt_i32 s21, s18
	v_cndmask_b32_e32 v103, v103, v68, vcc_lo
	s_cselect_b32 s24, s24, s3
	s_load_b32 s3, s[22:23], 0x0
	s_ashr_i32 s25, s24, 31
	v_cmp_gt_i32_e32 vcc_lo, 32, v128
	s_lshl_b64 s[24:25], s[24:25], 2
	v_lshlrev_b32_e32 v115, 6, v103
	s_add_u32 s22, s17, s24
	s_addc_u32 s23, s13, s25
	v_cndmask_b32_e32 v136, v127, v128, vcc_lo
	s_add_u32 s10, s10, s15
	s_addc_u32 s11, s11, s20
	v_add_co_u32 v1, s10, s10, v1
	s_delay_alu instid0(VALU_DEP_1) | instskip(SKIP_2) | instid1(VALU_DEP_1)
	v_add_co_ci_u32_e64 v2, null, s11, 0, s10
	s_load_b32 s10, s[22:23], 0x0
	s_waitcnt lgkmcnt(0)
	v_mad_i64_i32 v[3:4], null, s12, s5, v[1:2]
	v_mad_i64_i32 v[9:10], null, s7, s5, v[1:2]
	;; [unrolled: 1-line block ×7, first 2 shown]
	s_clause 0x5
	global_load_b128 v[49:52], v[3:4], off
	global_load_b128 v[53:56], v[3:4], off offset:16
	global_load_b128 v[41:44], v[5:6], off
	global_load_b128 v[45:48], v[5:6], off offset:16
	;; [unrolled: 2-line block ×3, first 2 shown]
	s_mov_b32 s4, 0
	v_mad_i64_i32 v[61:62], null, s10, s5, v[1:2]
	s_clause 0x9
	global_load_b128 v[1:4], v[9:10], off
	global_load_b128 v[5:8], v[9:10], off offset:16
	global_load_b128 v[9:12], v[13:14], off
	global_load_b128 v[13:16], v[13:14], off offset:16
	;; [unrolled: 2-line block ×5, first 2 shown]
	s_mov_b32 s5, s4
	s_mov_b32 s6, s4
	;; [unrolled: 1-line block ×7, first 2 shown]
	v_and_b32_e32 v104, 0xe0, v0
	v_dual_mov_b32 v126, s11 :: v_dual_mov_b32 v125, s10
	v_dual_mov_b32 v124, s9 :: v_dual_mov_b32 v123, s8
	s_delay_alu instid0(VALU_DEP_3)
	v_add_nc_u32_e32 v111, s16, v104
	ds_load_b128 v[103:106], v115
	ds_load_b128 v[107:110], v115 offset:1024
	v_dual_mov_b32 v122, s7 :: v_dual_mov_b32 v121, s6
	v_mov_b32_e32 v120, s5
	v_or_b32_e32 v135, v111, v66
	ds_load_b128 v[111:114], v115 offset:2048
	ds_load_b128 v[115:118], v115 offset:3072
	v_mov_b32_e32 v119, s4
	s_waitcnt vmcnt(0) lgkmcnt(0)
	s_barrier
	v_or_b32_e32 v137, 2, v135
	v_or_b32_e32 v138, 4, v135
	;; [unrolled: 1-line block ×3, first 2 shown]
	v_cmp_gt_i32_e32 vcc_lo, s18, v135
	v_or_b32_e32 v140, 8, v135
	v_cmp_gt_i32_e64 s3, s18, v137
	v_or_b32_e32 v141, 10, v135
	v_cmp_gt_i32_e64 s4, s18, v138
	v_cmp_gt_i32_e64 s5, s18, v139
	v_or_b32_e32 v142, 12, v135
	v_or_b32_e32 v143, 14, v135
	v_cmp_gt_i32_e64 s6, s18, v140
	v_cmp_gt_i32_e64 s7, s18, v141
	v_or_b32_e32 v144, 16, v135
	v_or_b32_e32 v145, 18, v135
	v_cmp_gt_i32_e64 s8, s18, v142
	v_cmp_gt_i32_e64 s9, s18, v143
	buffer_gl0_inv
	v_cmp_gt_i32_e64 s10, s18, v144
	v_cmp_gt_i32_e64 s11, s18, v145
	v_wmma_f32_16x16x16_f16 v[127:134], v[71:78], v[103:110], v[119:126]
	v_wmma_f32_16x16x16_f16 v[119:126], v[79:86], v[103:110], v[119:126]
	v_or_b32_e32 v71, 20, v135
	v_or_b32_e32 v72, 22, v135
	s_delay_alu instid0(VALU_DEP_4)
	v_wmma_f32_16x16x16_f16 v[127:134], v[87:94], v[111:118], v[127:134]
	v_or_b32_e32 v73, 24, v135
	v_wmma_f32_16x16x16_f16 v[119:126], v[95:102], v[111:118], v[119:126]
	v_or_b32_e32 v74, 26, v135
	v_cmp_gt_i32_e64 s12, s18, v71
	v_dual_mul_f32 v83, s19, v128 :: v_dual_mul_f32 v84, s19, v127
	s_delay_alu instid0(VALU_DEP_4) | instskip(SKIP_1) | instid1(VALU_DEP_3)
	v_dual_mul_f32 v81, s19, v130 :: v_dual_mul_f32 v92, s19, v119
	v_mul_f32_e32 v82, s19, v129
	v_cndmask_b32_e64 v83, 0xff7fffff, v83, s3
	s_delay_alu instid0(VALU_DEP_4)
	v_cndmask_b32_e32 v84, 0xff7fffff, v84, vcc_lo
	v_dual_mul_f32 v79, s19, v132 :: v_dual_mul_f32 v90, s19, v121
	v_mul_f32_e32 v80, s19, v131
	v_cndmask_b32_e64 v82, 0xff7fffff, v82, s4
	v_cndmask_b32_e64 v81, 0xff7fffff, v81, s5
	v_max3_f32 v83, v84, 0xff7fffff, v83
	v_dual_mul_f32 v77, s19, v134 :: v_dual_mul_f32 v88, s19, v123
	v_mul_f32_e32 v78, s19, v133
	v_cndmask_b32_e64 v80, 0xff7fffff, v80, s6
	v_cndmask_b32_e64 v79, 0xff7fffff, v79, s7
	v_max3_f32 v81, v83, v82, v81
	v_mul_f32_e32 v91, s19, v120
	v_cndmask_b32_e64 v78, 0xff7fffff, v78, s8
	v_cndmask_b32_e64 v77, 0xff7fffff, v77, s9
	v_mul_f32_e32 v89, s19, v122
	v_max3_f32 v79, v81, v80, v79
	v_cndmask_b32_e64 v80, 0xff7fffff, v92, s10
	v_cndmask_b32_e64 v81, 0xff7fffff, v91, s11
	v_cmp_gt_i32_e64 s13, s18, v72
	v_or_b32_e32 v75, 28, v135
	v_max3_f32 v77, v79, v78, v77
	v_or_b32_e32 v76, 30, v135
	v_mul_f32_e32 v87, s19, v124
	v_cndmask_b32_e64 v71, 0xff7fffff, v90, s12
	v_cndmask_b32_e64 v72, 0xff7fffff, v89, s13
	v_max3_f32 v77, v77, v80, v81
	v_cmp_gt_i32_e64 s15, s18, v73
	v_cmp_gt_i32_e64 s16, s18, v74
	v_dual_mul_f32 v85, s19, v126 :: v_dual_mul_f32 v86, s19, v125
	s_delay_alu instid0(VALU_DEP_4) | instskip(NEXT) | instid1(VALU_DEP_4)
	v_max3_f32 v71, v77, v71, v72
	v_cndmask_b32_e64 v73, 0xff7fffff, v88, s15
	s_delay_alu instid0(VALU_DEP_4) | instskip(SKIP_2) | instid1(VALU_DEP_3)
	v_cndmask_b32_e64 v74, 0xff7fffff, v87, s16
	v_cmp_gt_i32_e64 s17, s18, v75
	v_cmp_gt_i32_e64 s18, s18, v76
	v_max3_f32 v71, v71, v73, v74
	s_delay_alu instid0(VALU_DEP_3) | instskip(NEXT) | instid1(VALU_DEP_3)
	v_cndmask_b32_e64 v72, 0xff7fffff, v86, s17
	v_cndmask_b32_e64 v75, 0xff7fffff, v85, s18
	v_lshlrev_b32_e32 v73, 2, v136
	s_delay_alu instid0(VALU_DEP_2) | instskip(SKIP_3) | instid1(VALU_DEP_1)
	v_max3_f32 v71, v71, v72, v75
	ds_bpermute_b32 v72, v73, v71
	s_waitcnt lgkmcnt(0)
	v_max_f32_e32 v72, v72, v72
	v_max_f32_e32 v71, v71, v72
	s_delay_alu instid0(VALU_DEP_1)
	v_fma_f32 v72, s19, v127, -v71
	v_fma_f32 v74, s19, v128, -v71
	;; [unrolled: 1-line block ×5, first 2 shown]
	v_mul_f32_e32 v72, 0x3fb8aa3b, v72
	v_mul_f32_e32 v74, 0x3fb8aa3b, v74
	v_fma_f32 v80, s19, v133, -v71
	s_delay_alu instid0(VALU_DEP_4) | instskip(NEXT) | instid1(VALU_DEP_4)
	v_dual_mul_f32 v76, 0x3fb8aa3b, v76 :: v_dual_mul_f32 v77, 0x3fb8aa3b, v77
	v_exp_f32_e32 v72, v72
	s_delay_alu instid0(VALU_DEP_3) | instskip(NEXT) | instid1(VALU_DEP_2)
	v_exp_f32_e32 v74, v74
	v_mul_f32_e32 v82, 0x3fb8aa3b, v80
	s_delay_alu instid0(VALU_DEP_2) | instskip(SKIP_1) | instid1(VALU_DEP_1)
	v_exp_f32_e32 v76, v76
	v_exp_f32_e32 v77, v77
	;; [unrolled: 1-line block ×3, first 2 shown]
	v_cndmask_b32_e32 v79, 0, v72, vcc_lo
	v_fma_f32 v72, s19, v132, -v71
	v_mul_f32_e32 v75, 0x3fb8aa3b, v75
	v_cndmask_b32_e64 v78, 0, v74, s3
	s_delay_alu instid0(TRANS32_DEP_3)
	v_cndmask_b32_e64 v80, 0, v76, s5
	v_add_f32_e32 v74, 0, v79
	v_mul_f32_e32 v72, 0x3fb8aa3b, v72
	v_exp_f32_e32 v75, v75
	v_cndmask_b32_e64 v83, 0, v77, s6
	v_cndmask_b32_e64 v85, 0, v84, s8
	v_add_f32_e32 v74, v74, v78
	v_exp_f32_e32 v72, v72
	s_mov_b32 s3, exec_lo
	s_waitcnt_depctr 0xfff
	v_cndmask_b32_e64 v81, 0, v75, s4
	v_cndmask_b32_e64 v82, 0, v72, s7
	s_delay_alu instid0(VALU_DEP_2) | instskip(NEXT) | instid1(VALU_DEP_1)
	v_add_f32_e32 v74, v74, v81
	v_add_f32_e32 v74, v74, v80
	s_delay_alu instid0(VALU_DEP_1) | instskip(SKIP_4) | instid1(VALU_DEP_4)
	v_add_f32_e32 v72, v74, v83
	v_fma_f32 v75, s19, v134, -v71
	v_fma_f32 v76, s19, v119, -v71
	;; [unrolled: 1-line block ×4, first 2 shown]
	v_dual_add_f32 v72, v72, v82 :: v_dual_mul_f32 v75, 0x3fb8aa3b, v75
	s_delay_alu instid0(VALU_DEP_3) | instskip(SKIP_1) | instid1(VALU_DEP_3)
	v_dual_mul_f32 v76, 0x3fb8aa3b, v76 :: v_dual_mul_f32 v77, 0x3fb8aa3b, v77
	v_fma_f32 v86, s19, v122, -v71
	v_add_f32_e32 v72, v72, v85
	s_delay_alu instid0(VALU_DEP_4) | instskip(NEXT) | instid1(VALU_DEP_3)
	v_exp_f32_e32 v75, v75
	v_exp_f32_e32 v76, v76
	;; [unrolled: 1-line block ×3, first 2 shown]
	v_mul_f32_e32 v86, 0x3fb8aa3b, v86
	s_delay_alu instid0(VALU_DEP_1) | instskip(SKIP_3) | instid1(TRANS32_DEP_3)
	v_exp_f32_e32 v88, v86
	v_cndmask_b32_e64 v84, 0, v75, s9
	v_fma_f32 v75, s19, v123, -v71
	v_mul_f32_e32 v74, 0x3fb8aa3b, v74
	v_cndmask_b32_e64 v87, 0, v76, s10
	v_fma_f32 v76, s19, v124, -v71
	s_delay_alu instid0(VALU_DEP_4) | instskip(NEXT) | instid1(VALU_DEP_4)
	v_dual_add_f32 v72, v72, v84 :: v_dual_mul_f32 v75, 0x3fb8aa3b, v75
	v_exp_f32_e32 v74, v74
	v_cndmask_b32_e64 v86, 0, v77, s11
	v_fma_f32 v77, s19, v125, -v71
	s_delay_alu instid0(VALU_DEP_3) | instskip(SKIP_3) | instid1(VALU_DEP_3)
	v_add_f32_e32 v72, v72, v87
	v_mul_f32_e32 v76, 0x3fb8aa3b, v76
	v_exp_f32_e32 v75, v75
	v_cndmask_b32_e64 v88, 0, v88, s13
	v_add_f32_e32 v72, v72, v86
	s_delay_alu instid0(VALU_DEP_3) | instskip(NEXT) | instid1(TRANS32_DEP_3)
	v_exp_f32_e32 v76, v76
	v_cndmask_b32_e64 v89, 0, v74, s12
	v_mul_f32_e32 v74, 0x3fb8aa3b, v77
	v_fma_f32 v77, s19, v126, -v71
	s_delay_alu instid0(VALU_DEP_3) | instskip(NEXT) | instid1(VALU_DEP_3)
	v_add_f32_e32 v72, v72, v89
	v_exp_f32_e32 v74, v74
	s_delay_alu instid0(TRANS32_DEP_3) | instskip(NEXT) | instid1(VALU_DEP_3)
	v_cndmask_b32_e64 v91, 0, v75, s15
	v_mul_f32_e32 v75, 0x3fb8aa3b, v77
	s_delay_alu instid0(TRANS32_DEP_2) | instskip(SKIP_1) | instid1(VALU_DEP_3)
	v_cndmask_b32_e64 v90, 0, v76, s16
	v_add_f32_e32 v72, v72, v88
	v_exp_f32_e32 v75, v75
	s_delay_alu instid0(VALU_DEP_1) | instskip(NEXT) | instid1(TRANS32_DEP_2)
	v_add_f32_e32 v72, v72, v91
	v_cndmask_b32_e64 v93, 0, v74, s17
	s_delay_alu instid0(VALU_DEP_2) | instskip(SKIP_3) | instid1(VALU_DEP_1)
	v_add_f32_e32 v72, v72, v90
	s_waitcnt_depctr 0xfff
	v_cndmask_b32_e64 v92, 0, v75, s18
	v_add_f32_e32 v72, v72, v93
	v_add_f32_e32 v72, v72, v92
	ds_bpermute_b32 v73, v73, v72
	v_cmpx_gt_u32_e32 16, v70
	s_cbranch_execz .LBB903_12
; %bb.11:
	v_mul_u32_u24_e32 v70, 0x44, v69
	s_waitcnt lgkmcnt(0)
	v_add_f32_e32 v72, v72, v73
	s_delay_alu instid0(VALU_DEP_2) | instskip(NEXT) | instid1(VALU_DEP_1)
	v_lshl_add_u32 v70, v68, 2, v70
	v_add_nc_u32_e32 v70, 0x4000, v70
	ds_store_2addr_b32 v70, v71, v72 offset1:136
.LBB903_12:
	s_or_b32 exec_lo, exec_lo, s3
	v_lshlrev_b32_e32 v70, 2, v68
	s_load_b32 s35, s[0:1], 0x94
	s_waitcnt lgkmcnt(0)
	s_barrier
	buffer_gl0_inv
	v_add_nc_u32_e32 v98, 0x4000, v70
	v_cmp_eq_u32_e32 vcc_lo, 1, v69
	v_cmp_eq_u32_e64 s3, 2, v69
	v_cmp_eq_u32_e64 s4, 3, v69
	v_cmp_eq_u32_e64 s5, 4, v69
	ds_load_2addr_b32 v[70:71], v98 offset1:17
	ds_load_2addr_b32 v[72:73], v98 offset0:34 offset1:51
	ds_load_2addr_b32 v[74:75], v98 offset0:68 offset1:85
	;; [unrolled: 1-line block ×3, first 2 shown]
	v_cmp_eq_u32_e64 s6, 5, v69
	v_cmp_eq_u32_e64 s7, 7, v69
	s_waitcnt lgkmcnt(3)
	v_max3_f32 v76, v70, 0xff7fffff, v71
	s_waitcnt lgkmcnt(2)
	s_delay_alu instid0(VALU_DEP_1) | instskip(SKIP_1) | instid1(VALU_DEP_1)
	v_max3_f32 v76, v76, v72, v73
	s_waitcnt lgkmcnt(1)
	v_max3_f32 v76, v76, v74, v75
	s_waitcnt lgkmcnt(0)
	s_delay_alu instid0(VALU_DEP_1) | instskip(NEXT) | instid1(VALU_DEP_1)
	v_max3_f32 v76, v76, v94, v95
	v_sub_f32_e32 v77, v71, v76
	ds_load_2addr_b32 v[96:97], v98 offset0:136 offset1:153
	v_sub_f32_e32 v74, v74, v76
	v_sub_f32_e32 v70, v70, v76
	;; [unrolled: 1-line block ×3, first 2 shown]
	v_dual_sub_f32 v72, v72, v76 :: v_dual_mul_f32 v77, 0x3fb8aa3b, v77
	s_delay_alu instid0(VALU_DEP_4) | instskip(NEXT) | instid1(VALU_DEP_4)
	v_mul_f32_e32 v103, 0x3fb8aa3b, v74
	v_mul_f32_e32 v99, 0x3fb8aa3b, v70
	ds_load_2addr_b32 v[70:71], v98 offset0:170 offset1:187
	v_dual_mul_f32 v101, 0x3fb8aa3b, v72 :: v_dual_mul_f32 v94, 0x3fb8aa3b, v94
	v_exp_f32_e32 v102, v77
	v_exp_f32_e32 v99, v99
	s_delay_alu instid0(VALU_DEP_1) | instskip(NEXT) | instid1(VALU_DEP_1)
	v_exp_f32_e32 v101, v101
	v_exp_f32_e32 v94, v94
	s_waitcnt lgkmcnt(1)
	s_delay_alu instid0(TRANS32_DEP_3)
	v_fma_f32 v77, v99, v96, 0
	v_sub_f32_e32 v100, v73, v76
	ds_load_2addr_b32 v[72:73], v98 offset0:204 offset1:221
	v_fmac_f32_e32 v77, v102, v97
	v_exp_f32_e32 v97, v103
	s_waitcnt lgkmcnt(1)
	s_delay_alu instid0(VALU_DEP_1)
	v_dual_fmac_f32 v77, v101, v70 :: v_dual_sub_f32 v96, v75, v76
	ds_load_2addr_b32 v[74:75], v98 offset0:238 offset1:255
	v_sub_f32_e32 v70, v95, v76
	s_waitcnt lgkmcnt(0)
	s_barrier
	v_mul_f32_e32 v96, 0x3fb8aa3b, v96
	buffer_gl0_inv
	v_exp_f32_e32 v95, v96
	v_mul_f32_e32 v100, 0x3fb8aa3b, v100
	s_delay_alu instid0(VALU_DEP_1) | instskip(SKIP_3) | instid1(VALU_DEP_2)
	v_exp_f32_e32 v100, v100
	s_waitcnt_depctr 0xfff
	v_dual_fmac_f32 v77, v100, v71 :: v_dual_mul_f32 v70, 0x3fb8aa3b, v70
	v_cndmask_b32_e32 v71, v99, v102, vcc_lo
	v_fmac_f32_e32 v77, v97, v72
	s_delay_alu instid0(VALU_DEP_3) | instskip(NEXT) | instid1(VALU_DEP_1)
	v_exp_f32_e32 v96, v70
	v_fmac_f32_e32 v77, v95, v73
	s_delay_alu instid0(VALU_DEP_1) | instskip(SKIP_2) | instid1(VALU_DEP_1)
	v_fmac_f32_e32 v77, v94, v74
	s_waitcnt_depctr 0xfff
	v_fmac_f32_e32 v77, v96, v75
	v_add_f32_e32 v74, 0x358637bd, v77
	s_delay_alu instid0(VALU_DEP_1) | instskip(SKIP_1) | instid1(VALU_DEP_2)
	v_div_scale_f32 v98, null, v74, v74, 1.0
	v_div_scale_f32 v99, vcc_lo, 1.0, v74, 1.0
	v_rcp_f32_e32 v103, v98
	s_waitcnt_depctr 0xfff
	v_fma_f32 v70, -v98, v103, 1.0
	s_delay_alu instid0(VALU_DEP_1) | instskip(SKIP_2) | instid1(VALU_DEP_2)
	v_fmac_f32_e32 v103, v70, v103
	v_cndmask_b32_e64 v70, v71, v101, s3
	v_cmp_eq_u32_e64 s3, 6, v69
	v_cndmask_b32_e64 v71, v70, v100, s4
	s_delay_alu instid0(VALU_DEP_4) | instskip(NEXT) | instid1(VALU_DEP_2)
	v_dual_mul_f32 v101, v99, v103 :: v_dual_lshlrev_b32 v70, 2, v66
	v_cndmask_b32_e64 v71, v71, v97, s5
	s_delay_alu instid0(VALU_DEP_2) | instskip(NEXT) | instid1(VALU_DEP_3)
	v_or_b32_e32 v72, 1, v70
	v_fma_f32 v100, -v98, v101, v99
	v_cmp_eq_u32_e64 s4, 1, v70
	v_cmp_eq_u32_e64 s5, 2, v70
	v_cndmask_b32_e64 v95, v71, v95, s6
	v_or_b32_e32 v71, 3, v70
	v_fmac_f32_e32 v101, v100, v103
	v_cmp_eq_u32_e64 s9, 1, v72
	v_cmp_eq_u32_e64 s12, 2, v72
	v_cndmask_b32_e64 v94, v95, v94, s3
	v_cmp_eq_u32_e64 s11, 1, v71
	v_fma_f32 v97, -v98, v101, v99
	v_cmp_eq_u32_e64 s16, 2, v71
	v_cmp_eq_u32_e64 s13, 3, v72
	v_cndmask_b32_e64 v94, v94, v96, s7
	v_cmp_eq_u32_e64 s18, 3, v71
	v_div_fmas_f32 v95, v97, v103, v101
	v_cmp_eq_u32_e32 vcc_lo, 3, v70
	v_cmp_eq_u32_e64 s3, 4, v70
	v_cmp_eq_u32_e64 s19, 4, v72
	;; [unrolled: 1-line block ×3, first 2 shown]
	v_div_fixup_f32 v95, v95, v74, 1.0
	v_lshlrev_b32_e32 v73, 6, v68
	v_cmp_eq_u32_e64 s6, 5, v70
	v_cmp_eq_u32_e64 s20, 5, v72
	;; [unrolled: 1-line block ×3, first 2 shown]
	v_mul_f32_e32 v102, v94, v95
	v_lshl_or_b32 v75, v69, 11, v73
	v_or_b32_e32 v69, 2, v70
	v_cmp_eq_u32_e64 s25, 6, v72
	v_cmp_eq_u32_e64 s27, 6, v71
	v_fma_mixlo_f16 v94, v102, v79, 0
	v_fma_mixlo_f16 v95, v102, v81, 0
	;; [unrolled: 1-line block ×8, first 2 shown]
	v_lshl_or_b32 v74, v66, 4, v75
	v_fma_mixhi_f16 v94, v102, v78, 0
	v_fma_mixhi_f16 v95, v102, v80, 0
	;; [unrolled: 1-line block ×8, first 2 shown]
	ds_store_b128 v74, v[94:97]
	ds_store_b128 v74, v[98:101] offset:1024
	s_waitcnt lgkmcnt(0)
	s_barrier
	buffer_gl0_inv
	ds_load_b128 v[78:81], v75
	ds_load_b128 v[82:85], v75 offset:16
	ds_load_b128 v[86:89], v75 offset:1024
	;; [unrolled: 1-line block ×3, first 2 shown]
	v_cmp_eq_u32_e64 s10, 1, v69
	v_cmp_eq_u32_e64 s15, 2, v69
	;; [unrolled: 1-line block ×11, first 2 shown]
	s_waitcnt lgkmcnt(3)
	v_lshrrev_b32_e32 v94, 16, v78
	s_waitcnt lgkmcnt(2)
	v_lshrrev_b32_e32 v98, 16, v82
	;; [unrolled: 2-line block ×4, first 2 shown]
	v_lshrrev_b32_e32 v95, 16, v79
	v_cndmask_b32_e64 v110, v78, v94, s4
	v_cndmask_b32_e64 v111, v82, v98, s4
	;; [unrolled: 1-line block ×8, first 2 shown]
	v_lshrrev_b32_e32 v99, 16, v83
	v_cndmask_b32_e64 v94, v86, v102, s4
	v_cndmask_b32_e64 v98, v90, v106, s4
	;; [unrolled: 1-line block ×15, first 2 shown]
	v_lshrrev_b32_e32 v103, 16, v87
	v_lshrrev_b32_e32 v107, 16, v91
	v_cndmask_b32_e64 v113, v115, v83, s15
	v_cndmask_b32_e64 v82, v94, v87, s5
	;; [unrolled: 1-line block ×7, first 2 shown]
	v_cndmask_b32_e32 v90, v102, v95, vcc_lo
	v_cndmask_b32_e32 v102, v106, v99, vcc_lo
	v_cndmask_b32_e64 v106, v110, v95, s13
	v_cndmask_b32_e64 v110, v111, v99, s13
	;; [unrolled: 1-line block ×4, first 2 shown]
	v_lshrrev_b32_e32 v96, 16, v80
	v_lshrrev_b32_e32 v100, 16, v84
	v_cndmask_b32_e64 v111, v112, v95, s17
	v_cndmask_b32_e64 v112, v113, v99, s17
	v_cndmask_b32_e32 v82, v82, v103, vcc_lo
	v_cndmask_b32_e32 v83, v83, v107, vcc_lo
	v_cndmask_b32_e64 v94, v94, v103, s13
	v_cndmask_b32_e64 v90, v90, v80, s3
	v_cndmask_b32_e64 v95, v102, v84, s3
	v_cndmask_b32_e64 v99, v106, v80, s19
	v_cndmask_b32_e64 v102, v110, v84, s19
	v_cndmask_b32_e64 v78, v78, v80, s22
	v_cndmask_b32_e64 v79, v79, v84, s22
	v_lshrrev_b32_e32 v104, 16, v88
	v_cndmask_b32_e64 v106, v111, v80, s21
	v_cndmask_b32_e64 v110, v112, v84, s21
	v_cndmask_b32_e64 v80, v82, v88, s3
	v_cndmask_b32_e64 v82, v83, v92, s3
	v_cndmask_b32_e64 v83, v94, v88, s19
	v_cndmask_b32_e64 v84, v90, v96, s6
	v_cndmask_b32_e64 v90, v95, v100, s6
	v_cndmask_b32_e64 v94, v99, v96, s20
	v_cndmask_b32_e64 v95, v102, v100, s20
	v_cndmask_b32_e64 v78, v78, v96, s24
	v_cndmask_b32_e64 v79, v79, v100, s24
	v_lshrrev_b32_e32 v97, 16, v81
	v_lshrrev_b32_e32 v101, 16, v85
	v_cndmask_b32_e64 v99, v106, v96, s23
	v_cndmask_b32_e64 v102, v110, v100, s23
	;; [unrolled: 1-line block ×7, first 2 shown]
	v_lshrrev_b32_e32 v105, 16, v89
	v_cndmask_b32_e64 v80, v80, v104, s6
	v_cndmask_b32_e64 v84, v84, v81, s7
	;; [unrolled: 1-line block ×16, first 2 shown]
	v_perm_b32 v81, v79, v78, 0x5040100
	v_perm_b32 v79, v95, v85, 0x5040100
	v_cndmask_b32_e64 v78, v119, v91, s15
	v_cndmask_b32_e64 v85, v117, v91, s12
	;; [unrolled: 1-line block ×3, first 2 shown]
	v_perm_b32 v80, v94, v90, 0x5040100
	v_cndmask_b32_e64 v90, v98, v103, s17
	v_cndmask_b32_e64 v86, v86, v103, s18
	v_cndmask_b32_e64 v87, v87, v107, s18
	v_cndmask_b32_e64 v78, v78, v107, s17
	v_cndmask_b32_e64 v85, v85, v107, s13
	v_lshrrev_b32_e32 v108, 16, v92
	v_cndmask_b32_e64 v90, v90, v88, s21
	v_cndmask_b32_e64 v86, v86, v88, s22
	;; [unrolled: 1-line block ×11, first 2 shown]
	v_lshrrev_b32_e32 v109, 16, v93
	v_cndmask_b32_e64 v82, v82, v93, s7
	v_cndmask_b32_e64 v88, v88, v89, s26
	;; [unrolled: 1-line block ×12, first 2 shown]
	v_perm_b32 v78, v84, v83, 0x5040100
	v_perm_b32 v85, v87, v86, 0x5040100
	v_perm_b32 v84, v89, v88, 0x5040100
	v_perm_b32 v83, v90, v97, 0x5040100
	v_perm_b32 v82, v82, v96, 0x5040100
	s_mul_i32 s8, s33, 14
	s_mov_b32 s3, exec_lo
	ds_store_b128 v74, v[78:81]
	ds_store_b128 v74, v[82:85] offset:1024
	v_cmpx_gt_u32_e32 14, v0
	s_cbranch_execz .LBB903_14
; %bb.13:
	s_mul_i32 s4, s8, s34
	s_delay_alu instid0(SALU_CYCLE_1) | instskip(SKIP_1) | instid1(VALU_DEP_1)
	v_add3_u32 v68, s4, s31, v68
	s_load_b128 s[4:7], s[0:1], 0x58
	v_mad_u64_u32 v[78:79], null, v68, s35, s[14:15]
	s_delay_alu instid0(VALU_DEP_1) | instskip(NEXT) | instid1(VALU_DEP_1)
	v_ashrrev_i32_e32 v79, 31, v78
	v_lshlrev_b64 v[78:79], 2, v[78:79]
	s_waitcnt lgkmcnt(0)
	s_delay_alu instid0(VALU_DEP_1) | instskip(NEXT) | instid1(VALU_DEP_2)
	v_add_co_u32 v80, vcc_lo, s6, v78
	v_add_co_ci_u32_e32 v81, vcc_lo, s7, v79, vcc_lo
	v_add_co_u32 v78, vcc_lo, s4, v78
	v_add_co_ci_u32_e32 v79, vcc_lo, s5, v79, vcc_lo
	global_store_b32 v[80:81], v76, off
	global_store_b32 v[78:79], v77, off
.LBB903_14:
	s_or_b32 exec_lo, exec_lo, s3
	s_waitcnt lgkmcnt(0)
	s_waitcnt_vscnt null, 0x0
	s_barrier
	buffer_gl0_inv
	ds_load_b128 v[84:87], v73
	ds_load_b128 v[88:91], v73 offset:16
	ds_load_b128 v[96:99], v73 offset:2064
	;; [unrolled: 1-line block ×5, first 2 shown]
	v_cmp_eq_u32_e32 vcc_lo, 1, v70
	v_mov_b32_e32 v76, 0
	ds_load_b128 v[112:115], v73 offset:6160
	ds_load_b128 v[108:111], v73 offset:6144
	;; [unrolled: 1-line block ×4, first 2 shown]
	v_cmp_eq_u32_e64 s4, 1, v69
	v_cmp_eq_u32_e64 s3, 1, v72
	;; [unrolled: 1-line block ×3, first 2 shown]
	v_mov_b32_e32 v77, v76
	v_mov_b32_e32 v78, v76
	;; [unrolled: 1-line block ×7, first 2 shown]
	v_cmp_eq_u32_e64 s6, 3, v72
	v_cmp_eq_u32_e64 s7, 7, v72
	s_waitcnt lgkmcnt(8)
	s_delay_alu instid0(VALU_DEP_3)
	v_wmma_f32_16x16x16_f16 v[76:83], v[49:56], v[84:91], v[76:83]
	ds_load_b128 v[53:56], v73 offset:10256
	ds_load_b128 v[49:52], v73 offset:10240
	s_waitcnt lgkmcnt(8)
	v_wmma_f32_16x16x16_f16 v[76:83], v[41:48], v[92:99], v[76:83]
	ds_load_b128 v[45:48], v73 offset:12304
	ds_load_b128 v[41:44], v73 offset:12288
	s_waitcnt lgkmcnt(8)
	;; [unrolled: 4-line block ×3, first 2 shown]
	s_barrier
	buffer_gl0_inv
	v_wmma_f32_16x16x16_f16 v[76:83], v[1:8], v[108:115], v[76:83]
	s_delay_alu instid0(VALU_DEP_1) | instskip(NEXT) | instid1(VALU_DEP_1)
	v_wmma_f32_16x16x16_f16 v[76:83], v[9:16], v[116:123], v[76:83]
	v_wmma_f32_16x16x16_f16 v[76:83], v[17:24], v[49:56], v[76:83]
	s_delay_alu instid0(VALU_DEP_1) | instskip(NEXT) | instid1(VALU_DEP_1)
	v_wmma_f32_16x16x16_f16 v[76:83], v[25:32], v[41:48], v[76:83]
	v_wmma_f32_16x16x16_f16 v[76:83], v[57:64], v[33:40], v[76:83]
	s_delay_alu instid0(VALU_DEP_1) | instskip(NEXT) | instid1(VALU_DEP_2)
	v_cvt_f16_f32_e32 v1, v76
	v_cvt_f16_f32_e32 v2, v77
	s_delay_alu instid0(VALU_DEP_3) | instskip(NEXT) | instid1(VALU_DEP_4)
	v_cvt_f16_f32_e32 v3, v78
	v_cvt_f16_f32_e32 v4, v79
	v_cvt_f16_f32_e32 v5, v80
	v_cvt_f16_f32_e32 v6, v81
	v_cvt_f16_f32_e32 v7, v82
	v_cvt_f16_f32_e32 v8, v83
	v_pack_b32_f16 v1, v1, v2
	v_pack_b32_f16 v2, v3, v4
	;; [unrolled: 1-line block ×3, first 2 shown]
	s_delay_alu instid0(VALU_DEP_4)
	v_pack_b32_f16 v4, v7, v8
	ds_store_b128 v74, v[1:4]
	s_waitcnt lgkmcnt(0)
	s_barrier
	buffer_gl0_inv
	ds_load_b128 v[1:4], v75
	ds_load_b128 v[5:8], v75 offset:16
	s_waitcnt lgkmcnt(1)
	v_lshrrev_b32_e32 v9, 16, v1
	s_waitcnt lgkmcnt(0)
	v_lshrrev_b32_e32 v13, 16, v5
	v_lshrrev_b32_e32 v10, 16, v2
	;; [unrolled: 1-line block ×4, first 2 shown]
	v_cndmask_b32_e32 v17, v1, v9, vcc_lo
	v_cndmask_b32_e32 v18, v5, v13, vcc_lo
	v_cndmask_b32_e64 v21, v1, v9, s4
	v_cmp_eq_u32_e32 vcc_lo, 1, v71
	v_cndmask_b32_e64 v22, v5, v13, s4
	v_cmp_eq_u32_e64 s4, 2, v70
	v_cndmask_b32_e64 v19, v1, v9, s3
	v_cndmask_b32_e64 v20, v5, v13, s3
	v_cndmask_b32_e32 v1, v1, v9, vcc_lo
	v_cmp_eq_u32_e64 s3, 2, v71
	v_cndmask_b32_e32 v5, v5, v13, vcc_lo
	v_cndmask_b32_e64 v9, v17, v2, s4
	v_cmp_eq_u32_e32 vcc_lo, 3, v70
	v_cndmask_b32_e64 v13, v18, v6, s4
	v_cmp_eq_u32_e64 s4, 2, v69
	v_cndmask_b32_e64 v17, v19, v2, s5
	v_cndmask_b32_e64 v18, v20, v6, s5
	v_cmp_eq_u32_e64 s5, 3, v69
	v_cndmask_b32_e64 v1, v1, v2, s3
	v_cndmask_b32_e64 v19, v21, v2, s4
	;; [unrolled: 1-line block ×4, first 2 shown]
	v_cndmask_b32_e32 v5, v9, v10, vcc_lo
	v_cndmask_b32_e32 v6, v13, v14, vcc_lo
	v_cmp_eq_u32_e32 vcc_lo, 3, v71
	v_cndmask_b32_e64 v9, v17, v10, s6
	v_cndmask_b32_e64 v13, v18, v14, s6
	;; [unrolled: 1-line block ×3, first 2 shown]
	v_cmp_eq_u32_e64 s4, 4, v70
	v_cndmask_b32_e32 v1, v1, v10, vcc_lo
	v_cndmask_b32_e32 v2, v2, v14, vcc_lo
	v_cmp_eq_u32_e32 vcc_lo, 4, v72
	v_lshrrev_b32_e32 v15, 16, v7
	v_lshrrev_b32_e32 v16, 16, v8
	v_cndmask_b32_e64 v17, v19, v10, s5
	v_cmp_eq_u32_e64 s3, 4, v71
	v_cndmask_b32_e64 v5, v5, v3, s4
	v_cndmask_b32_e64 v6, v6, v7, s4
	v_cndmask_b32_e32 v9, v9, v3, vcc_lo
	v_cmp_eq_u32_e64 s4, 5, v72
	v_cndmask_b32_e32 v10, v13, v7, vcc_lo
	v_cmp_eq_u32_e32 vcc_lo, 4, v69
	v_cmp_eq_u32_e64 s5, 5, v70
	v_cndmask_b32_e64 v2, v2, v7, s3
	v_cndmask_b32_e64 v9, v9, v11, s4
	;; [unrolled: 1-line block ×3, first 2 shown]
	v_cndmask_b32_e32 v13, v17, v3, vcc_lo
	v_cmp_eq_u32_e64 s4, 5, v69
	v_cndmask_b32_e32 v14, v18, v7, vcc_lo
	v_cndmask_b32_e64 v1, v1, v3, s3
	v_cmp_eq_u32_e32 vcc_lo, 5, v71
	v_lshrrev_b32_e32 v12, 16, v4
	v_cndmask_b32_e64 v13, v13, v11, s4
	v_cndmask_b32_e64 v3, v14, v15, s4
	v_cmp_eq_u32_e64 s4, 6, v71
	v_cndmask_b32_e32 v1, v1, v11, vcc_lo
	v_cndmask_b32_e64 v5, v5, v11, s5
	v_cmp_eq_u32_e64 s6, 6, v70
	v_cndmask_b32_e64 v6, v6, v15, s5
	v_cmp_eq_u32_e64 s5, 6, v72
	v_cmp_eq_u32_e64 s3, 6, v69
	v_cndmask_b32_e64 v1, v1, v4, s4
	v_cndmask_b32_e32 v2, v2, v15, vcc_lo
	v_cmp_eq_u32_e32 vcc_lo, 7, v71
	v_cndmask_b32_e64 v5, v5, v4, s6
	v_cndmask_b32_e64 v9, v9, v4, s5
	;; [unrolled: 1-line block ×3, first 2 shown]
	v_cmp_eq_u32_e64 s6, 7, v70
	v_cndmask_b32_e32 v1, v1, v12, vcc_lo
	v_cndmask_b32_e64 v7, v13, v4, s3
	v_cndmask_b32_e64 v3, v3, v8, s3
	;; [unrolled: 1-line block ×3, first 2 shown]
	v_cmp_eq_u32_e64 s3, 7, v69
	v_cndmask_b32_e64 v4, v10, v8, s5
	v_cndmask_b32_e64 v5, v5, v12, s6
	;; [unrolled: 1-line block ×3, first 2 shown]
	v_cndmask_b32_e32 v2, v2, v16, vcc_lo
	v_cndmask_b32_e64 v7, v7, v12, s3
	v_cndmask_b32_e64 v3, v3, v16, s3
	;; [unrolled: 1-line block ×4, first 2 shown]
	v_cmp_gt_u32_e32 vcc_lo, 32, v0
	v_perm_b32 v4, v2, v1, 0x5040100
	v_perm_b32 v3, v3, v7, 0x5040100
	;; [unrolled: 1-line block ×4, first 2 shown]
	s_and_b32 s2, vcc_lo, s2
	ds_store_b128 v74, v[1:4]
	s_waitcnt lgkmcnt(0)
	s_barrier
	buffer_gl0_inv
	s_and_saveexec_b32 s3, s2
	s_cbranch_execz .LBB903_2
; %bb.15:
	s_load_b64 s[0:1], s[0:1], 0x68
	v_lshlrev_b32_e32 v0, 10, v0
	s_lshl_b32 s4, s35, 6
	v_or_b32_e32 v3, s31, v66
	s_mul_i32 s2, s4, s34
	v_lshlrev_b32_e32 v1, 4, v67
	v_lshlrev_b32_e32 v2, 6, v66
	v_and_b32_e32 v0, 0x3800, v0
	s_mul_i32 s2, s2, s8
	v_mul_lo_u32 v8, v3, s4
	s_ashr_i32 s3, s2, 31
	s_delay_alu instid0(SALU_CYCLE_1)
	s_lshl_b64 s[2:3], s[2:3], 1
	v_or3_b32 v16, v0, v1, v2
	ds_load_b128 v[0:3], v16
	ds_load_b128 v[4:7], v16 offset:128
	v_ashrrev_i32_e32 v9, 31, v8
	s_waitcnt lgkmcnt(0)
	s_add_u32 s2, s0, s2
	s_addc_u32 s3, s1, s3
	s_lshl_b32 s0, s14, 6
	s_delay_alu instid0(SALU_CYCLE_1) | instskip(SKIP_2) | instid1(SALU_CYCLE_1)
	s_ashr_i32 s1, s0, 31
	v_lshlrev_b64 v[9:10], 1, v[8:9]
	s_lshl_b64 s[0:1], s[0:1], 1
	s_add_u32 s0, s2, s0
	s_addc_u32 s1, s3, s1
	s_lshl_b32 s2, s35, 7
	v_add_co_u32 v30, s0, s0, v65
	v_add_nc_u32_e32 v11, s2, v8
	v_add_co_ci_u32_e64 v31, null, s1, 0, s0
	s_delay_alu instid0(VALU_DEP_3) | instskip(NEXT) | instid1(VALU_DEP_3)
	v_add_co_u32 v9, vcc_lo, v30, v9
	v_add_nc_u32_e32 v8, s2, v11
	s_delay_alu instid0(VALU_DEP_3) | instskip(SKIP_1) | instid1(VALU_DEP_3)
	v_add_co_ci_u32_e32 v10, vcc_lo, v31, v10, vcc_lo
	v_ashrrev_i32_e32 v12, 31, v11
	v_add_nc_u32_e32 v13, s2, v8
	global_store_b128 v[9:10], v[0:3], off
	v_ashrrev_i32_e32 v9, 31, v8
	v_lshlrev_b64 v[11:12], 1, v[11:12]
	v_ashrrev_i32_e32 v14, 31, v13
	v_add_nc_u32_e32 v10, s2, v13
	s_delay_alu instid0(VALU_DEP_4) | instskip(NEXT) | instid1(VALU_DEP_4)
	v_lshlrev_b64 v[2:3], 1, v[8:9]
	v_add_co_u32 v0, vcc_lo, v30, v11
	s_delay_alu instid0(VALU_DEP_4)
	v_lshlrev_b64 v[8:9], 1, v[13:14]
	v_add_co_ci_u32_e32 v1, vcc_lo, v31, v12, vcc_lo
	v_ashrrev_i32_e32 v11, 31, v10
	v_add_co_u32 v22, vcc_lo, v30, v2
	v_add_nc_u32_e32 v20, s2, v10
	v_add_co_ci_u32_e32 v23, vcc_lo, v31, v3, vcc_lo
	v_add_co_u32 v24, vcc_lo, v30, v8
	global_store_b128 v[0:1], v[4:7], off
	v_add_co_ci_u32_e32 v25, vcc_lo, v31, v9, vcc_lo
	ds_load_b128 v[0:3], v16 offset:256
	ds_load_b128 v[4:7], v16 offset:384
	v_lshlrev_b64 v[26:27], 1, v[10:11]
	ds_load_b128 v[8:11], v16 offset:512
	ds_load_b128 v[12:15], v16 offset:640
	;; [unrolled: 1-line block ×3, first 2 shown]
	v_add_nc_u32_e32 v28, s2, v20
	v_ashrrev_i32_e32 v21, 31, v20
	v_add_co_u32 v26, vcc_lo, v30, v26
	s_delay_alu instid0(VALU_DEP_3) | instskip(NEXT) | instid1(VALU_DEP_3)
	v_ashrrev_i32_e32 v29, 31, v28
	v_lshlrev_b64 v[20:21], 1, v[20:21]
	v_add_co_ci_u32_e32 v27, vcc_lo, v31, v27, vcc_lo
	s_delay_alu instid0(VALU_DEP_3) | instskip(NEXT) | instid1(VALU_DEP_3)
	v_lshlrev_b64 v[28:29], 1, v[28:29]
	v_add_co_u32 v20, vcc_lo, v30, v20
	s_delay_alu instid0(VALU_DEP_4) | instskip(NEXT) | instid1(VALU_DEP_3)
	v_add_co_ci_u32_e32 v21, vcc_lo, v31, v21, vcc_lo
	v_add_co_u32 v28, vcc_lo, v30, v28
	s_delay_alu instid0(VALU_DEP_4)
	v_add_co_ci_u32_e32 v29, vcc_lo, v31, v29, vcc_lo
	s_waitcnt lgkmcnt(4)
	global_store_b128 v[22:23], v[0:3], off
	s_waitcnt lgkmcnt(3)
	global_store_b128 v[24:25], v[4:7], off
	s_waitcnt lgkmcnt(2)
	global_store_b128 v[26:27], v[8:11], off
	s_waitcnt lgkmcnt(1)
	global_store_b128 v[20:21], v[12:15], off
	s_waitcnt lgkmcnt(0)
	global_store_b128 v[28:29], v[16:19], off
	s_nop 0
	s_sendmsg sendmsg(MSG_DEALLOC_VGPRS)
	s_endpgm
	.section	.rodata,"a",@progbits
	.p2align	6, 0x0
	.amdhsa_kernel _Z39paged_attention_ll4mi_QKV_mfma16_kernelIDF16_hLN4vllm18Fp8KVCacheDataTypeE1EDF16_Li32ELi64ELi256ELb1ELi14EL8MFMAType1EEvPKT_PKT0_S8_ifPKiSA_SA_iPKfiiiPfSD_PS3_PT2_iSC_SC_
		.amdhsa_group_segment_fixed_size 17472
		.amdhsa_private_segment_fixed_size 0
		.amdhsa_kernarg_size 400
		.amdhsa_user_sgpr_count 13
		.amdhsa_user_sgpr_dispatch_ptr 0
		.amdhsa_user_sgpr_queue_ptr 0
		.amdhsa_user_sgpr_kernarg_segment_ptr 1
		.amdhsa_user_sgpr_dispatch_id 0
		.amdhsa_user_sgpr_private_segment_size 0
		.amdhsa_wavefront_size32 1
		.amdhsa_uses_dynamic_stack 0
		.amdhsa_enable_private_segment 0
		.amdhsa_system_sgpr_workgroup_id_x 1
		.amdhsa_system_sgpr_workgroup_id_y 1
		.amdhsa_system_sgpr_workgroup_id_z 1
		.amdhsa_system_sgpr_workgroup_info 0
		.amdhsa_system_vgpr_workitem_id 0
		.amdhsa_next_free_vgpr 146
		.amdhsa_next_free_sgpr 38
		.amdhsa_reserve_vcc 1
		.amdhsa_float_round_mode_32 0
		.amdhsa_float_round_mode_16_64 0
		.amdhsa_float_denorm_mode_32 3
		.amdhsa_float_denorm_mode_16_64 3
		.amdhsa_dx10_clamp 1
		.amdhsa_ieee_mode 1
		.amdhsa_fp16_overflow 0
		.amdhsa_workgroup_processor_mode 1
		.amdhsa_memory_ordered 1
		.amdhsa_forward_progress 0
		.amdhsa_shared_vgpr_count 0
		.amdhsa_exception_fp_ieee_invalid_op 0
		.amdhsa_exception_fp_denorm_src 0
		.amdhsa_exception_fp_ieee_div_zero 0
		.amdhsa_exception_fp_ieee_overflow 0
		.amdhsa_exception_fp_ieee_underflow 0
		.amdhsa_exception_fp_ieee_inexact 0
		.amdhsa_exception_int_div_zero 0
	.end_amdhsa_kernel
	.section	.text._Z39paged_attention_ll4mi_QKV_mfma16_kernelIDF16_hLN4vllm18Fp8KVCacheDataTypeE1EDF16_Li32ELi64ELi256ELb1ELi14EL8MFMAType1EEvPKT_PKT0_S8_ifPKiSA_SA_iPKfiiiPfSD_PS3_PT2_iSC_SC_,"axG",@progbits,_Z39paged_attention_ll4mi_QKV_mfma16_kernelIDF16_hLN4vllm18Fp8KVCacheDataTypeE1EDF16_Li32ELi64ELi256ELb1ELi14EL8MFMAType1EEvPKT_PKT0_S8_ifPKiSA_SA_iPKfiiiPfSD_PS3_PT2_iSC_SC_,comdat
.Lfunc_end903:
	.size	_Z39paged_attention_ll4mi_QKV_mfma16_kernelIDF16_hLN4vllm18Fp8KVCacheDataTypeE1EDF16_Li32ELi64ELi256ELb1ELi14EL8MFMAType1EEvPKT_PKT0_S8_ifPKiSA_SA_iPKfiiiPfSD_PS3_PT2_iSC_SC_, .Lfunc_end903-_Z39paged_attention_ll4mi_QKV_mfma16_kernelIDF16_hLN4vllm18Fp8KVCacheDataTypeE1EDF16_Li32ELi64ELi256ELb1ELi14EL8MFMAType1EEvPKT_PKT0_S8_ifPKiSA_SA_iPKfiiiPfSD_PS3_PT2_iSC_SC_
                                        ; -- End function
	.section	.AMDGPU.csdata,"",@progbits
; Kernel info:
; codeLenInByte = 6648
; NumSgprs: 40
; NumVgprs: 146
; ScratchSize: 0
; MemoryBound: 0
; FloatMode: 240
; IeeeMode: 1
; LDSByteSize: 17472 bytes/workgroup (compile time only)
; SGPRBlocks: 4
; VGPRBlocks: 18
; NumSGPRsForWavesPerEU: 40
; NumVGPRsForWavesPerEU: 146
; Occupancy: 9
; WaveLimiterHint : 1
; COMPUTE_PGM_RSRC2:SCRATCH_EN: 0
; COMPUTE_PGM_RSRC2:USER_SGPR: 13
; COMPUTE_PGM_RSRC2:TRAP_HANDLER: 0
; COMPUTE_PGM_RSRC2:TGID_X_EN: 1
; COMPUTE_PGM_RSRC2:TGID_Y_EN: 1
; COMPUTE_PGM_RSRC2:TGID_Z_EN: 1
; COMPUTE_PGM_RSRC2:TIDIG_COMP_CNT: 0
	.section	.text._Z39paged_attention_ll4mi_QKV_mfma16_kernelIDF16_hLN4vllm18Fp8KVCacheDataTypeE1EDF16_Li32ELi64ELi256ELb1ELi15EL8MFMAType1EEvPKT_PKT0_S8_ifPKiSA_SA_iPKfiiiPfSD_PS3_PT2_iSC_SC_,"axG",@progbits,_Z39paged_attention_ll4mi_QKV_mfma16_kernelIDF16_hLN4vllm18Fp8KVCacheDataTypeE1EDF16_Li32ELi64ELi256ELb1ELi15EL8MFMAType1EEvPKT_PKT0_S8_ifPKiSA_SA_iPKfiiiPfSD_PS3_PT2_iSC_SC_,comdat
	.protected	_Z39paged_attention_ll4mi_QKV_mfma16_kernelIDF16_hLN4vllm18Fp8KVCacheDataTypeE1EDF16_Li32ELi64ELi256ELb1ELi15EL8MFMAType1EEvPKT_PKT0_S8_ifPKiSA_SA_iPKfiiiPfSD_PS3_PT2_iSC_SC_ ; -- Begin function _Z39paged_attention_ll4mi_QKV_mfma16_kernelIDF16_hLN4vllm18Fp8KVCacheDataTypeE1EDF16_Li32ELi64ELi256ELb1ELi15EL8MFMAType1EEvPKT_PKT0_S8_ifPKiSA_SA_iPKfiiiPfSD_PS3_PT2_iSC_SC_
	.globl	_Z39paged_attention_ll4mi_QKV_mfma16_kernelIDF16_hLN4vllm18Fp8KVCacheDataTypeE1EDF16_Li32ELi64ELi256ELb1ELi15EL8MFMAType1EEvPKT_PKT0_S8_ifPKiSA_SA_iPKfiiiPfSD_PS3_PT2_iSC_SC_
	.p2align	8
	.type	_Z39paged_attention_ll4mi_QKV_mfma16_kernelIDF16_hLN4vllm18Fp8KVCacheDataTypeE1EDF16_Li32ELi64ELi256ELb1ELi15EL8MFMAType1EEvPKT_PKT0_S8_ifPKiSA_SA_iPKfiiiPfSD_PS3_PT2_iSC_SC_,@function
_Z39paged_attention_ll4mi_QKV_mfma16_kernelIDF16_hLN4vllm18Fp8KVCacheDataTypeE1EDF16_Li32ELi64ELi256ELb1ELi15EL8MFMAType1EEvPKT_PKT0_S8_ifPKiSA_SA_iPKfiiiPfSD_PS3_PT2_iSC_SC_: ; @_Z39paged_attention_ll4mi_QKV_mfma16_kernelIDF16_hLN4vllm18Fp8KVCacheDataTypeE1EDF16_Li32ELi64ELi256ELb1ELi15EL8MFMAType1EEvPKT_PKT0_S8_ifPKiSA_SA_iPKfiiiPfSD_PS3_PT2_iSC_SC_
; %bb.0:
	s_load_b64 s[2:3], s[0:1], 0x30
	s_mov_b32 s34, s13
	s_waitcnt lgkmcnt(0)
	s_cmp_lg_u64 s[2:3], 0
	s_cselect_b32 s6, -1, 0
	s_ashr_i32 s35, s13, 31
	s_cmp_eq_u64 s[2:3], 0
	s_cbranch_scc1 .LBB904_3
; %bb.1:
	s_lshl_b64 s[4:5], s[34:35], 2
	s_delay_alu instid0(SALU_CYCLE_1) | instskip(SKIP_4) | instid1(SALU_CYCLE_1)
	s_add_u32 s4, s2, s4
	s_addc_u32 s5, s3, s5
	s_load_b64 s[4:5], s[4:5], 0x0
	s_waitcnt lgkmcnt(0)
	s_sub_i32 s4, s5, s4
	s_cmp_eq_u32 s4, 1
	s_cselect_b32 s4, -1, 0
	s_delay_alu instid0(SALU_CYCLE_1)
	s_and_not1_b32 vcc_lo, exec_lo, s4
	s_cbranch_vccz .LBB904_4
.LBB904_2:
	s_nop 0
	s_sendmsg sendmsg(MSG_DEALLOC_VGPRS)
	s_endpgm
.LBB904_3:
.LBB904_4:
	s_load_b64 s[8:9], s[0:1], 0x28
	s_lshl_b64 s[4:5], s[34:35], 2
	s_waitcnt lgkmcnt(0)
	s_add_u32 s8, s8, s4
	s_addc_u32 s9, s9, s5
	s_lshl_b32 s16, s14, 8
	s_load_b32 s18, s[8:9], 0x0
	s_waitcnt lgkmcnt(0)
	s_cmp_ge_i32 s16, s18
	s_cbranch_scc1 .LBB904_2
; %bb.5:
	s_clause 0x1
	s_load_b128 s[8:11], s[0:1], 0x8
	s_load_b64 s[12:13], s[0:1], 0x20
	s_and_not1_b32 vcc_lo, exec_lo, s6
	s_cbranch_vccnz .LBB904_7
; %bb.6:
	s_add_u32 s2, s2, s4
	s_addc_u32 s3, s3, s5
	s_load_b32 s3, s[2:3], 0x0
	s_branch .LBB904_8
.LBB904_7:
	s_mov_b32 s3, s34
.LBB904_8:
	s_load_b128 s[4:7], s[0:1], 0x48
	v_lshrrev_b32_e32 v69, 5, v0
	v_bfe_u32 v66, v0, 4, 1
	v_and_b32_e32 v68, 15, v0
	v_and_b32_e32 v70, 31, v0
	;; [unrolled: 1-line block ×3, first 2 shown]
	s_mul_i32 s33, s15, 15
	v_lshl_or_b32 v1, v69, 1, v66
	v_lshlrev_b32_e32 v2, 3, v68
	v_cmp_gt_u32_e64 s2, 8, v68
	s_delay_alu instid0(VALU_DEP_3) | instskip(NEXT) | instid1(VALU_DEP_3)
	v_cmp_gt_u32_e32 vcc_lo, 15, v1
	v_lshlrev_b32_e32 v65, 1, v2
	s_delay_alu instid0(VALU_DEP_3)
	s_and_b32 s17, s2, vcc_lo
	s_waitcnt lgkmcnt(0)
	s_and_saveexec_b32 s7, s17
	s_cbranch_execz .LBB904_10
; %bb.9:
	s_load_b64 s[20:21], s[0:1], 0x0
	v_add_lshl_u32 v2, v1, s33, 6
	s_mul_hi_i32 s23, s3, s4
	s_mul_i32 s22, s3, s4
	v_lshlrev_b32_e32 v6, 10, v68
	s_lshl_b64 s[22:23], s[22:23], 1
	v_ashrrev_i32_e32 v3, 31, v2
	v_lshlrev_b32_e32 v1, 6, v1
	v_lshlrev_b32_e32 v7, 10, v67
	v_and_b32_e32 v6, 0x3800, v6
	s_delay_alu instid0(VALU_DEP_4) | instskip(NEXT) | instid1(VALU_DEP_2)
	v_lshlrev_b64 v[2:3], 1, v[2:3]
	v_or3_b32 v1, v6, v7, v1
	s_waitcnt lgkmcnt(0)
	s_add_u32 s3, s20, s22
	s_addc_u32 s4, s21, s23
	s_delay_alu instid0(VALU_DEP_2) | instskip(SKIP_1) | instid1(VALU_DEP_2)
	v_add_co_u32 v2, vcc_lo, s3, v2
	v_add_co_ci_u32_e32 v3, vcc_lo, s4, v3, vcc_lo
	v_add_co_u32 v2, vcc_lo, v2, v65
	s_delay_alu instid0(VALU_DEP_2)
	v_add_co_ci_u32_e32 v3, vcc_lo, 0, v3, vcc_lo
	global_load_b128 v[2:5], v[2:3], off
	s_waitcnt vmcnt(0)
	ds_store_b128 v1, v[2:5]
.LBB904_10:
	s_or_b32 exec_lo, exec_lo, s7
	v_and_b32_e32 v1, 0xef, v0
	s_add_i32 s3, s18, 31
	s_clause 0x1
	s_load_b32 s4, s[0:1], 0x38
	s_load_b32 s35, s[0:1], 0x98
	s_ashr_i32 s7, s3, 31
	v_add_nc_u32_e32 v1, s16, v1
	s_lshr_b32 s7, s7, 27
	s_load_b32 s19, s[0:1], 0x1c
	s_add_i32 s3, s3, s7
	s_waitcnt lgkmcnt(0)
	v_ashrrev_i32_e32 v2, 31, v1
	v_or_b32_e32 v3, 16, v1
	s_ashr_i32 s3, s3, 5
	v_cmp_gt_i32_e32 vcc_lo, s18, v1
	s_add_i32 s3, s3, -1
	v_lshrrev_b32_e32 v2, 27, v2
	s_barrier
	buffer_gl0_inv
	s_mul_i32 s15, s15, s6
	v_mbcnt_lo_u32_b32 v127, -1, 0
	v_add_nc_u32_e32 v4, v1, v2
	s_mul_i32 s20, s34, s4
	s_delay_alu instid0(SALU_CYCLE_1) | instskip(NEXT) | instid1(VALU_DEP_1)
	s_ashr_i32 s21, s20, 31
	v_ashrrev_i32_e32 v4, 5, v4
	v_add_nc_u32_e32 v2, v3, v2
	s_lshl_b64 s[20:21], s[20:21], 2
	v_xor_b32_e32 v128, 16, v127
	s_add_u32 s17, s12, s20
	v_cndmask_b32_e32 v1, s3, v4, vcc_lo
	v_ashrrev_i32_e32 v2, 5, v2
	v_cmp_gt_i32_e32 vcc_lo, s18, v3
	s_addc_u32 s13, s13, s21
	s_ashr_i32 s20, s15, 31
	s_add_u32 s22, s8, s15
	s_addc_u32 s23, s9, s20
	v_cndmask_b32_e32 v3, s3, v2, vcc_lo
	v_ashrrev_i32_e32 v2, 31, v1
	s_lshl_b32 s6, s14, 3
	s_delay_alu instid0(SALU_CYCLE_1) | instskip(NEXT) | instid1(VALU_DEP_2)
	s_ashr_i32 s7, s6, 31
	v_ashrrev_i32_e32 v4, 31, v3
	s_delay_alu instid0(VALU_DEP_2) | instskip(SKIP_1) | instid1(SALU_CYCLE_1)
	v_lshlrev_b64 v[1:2], 2, v[1:2]
	s_lshl_b64 s[6:7], s[6:7], 2
	s_add_u32 s6, s17, s6
	s_delay_alu instid0(VALU_DEP_2) | instskip(SKIP_1) | instid1(VALU_DEP_2)
	v_lshlrev_b64 v[3:4], 2, v[3:4]
	s_addc_u32 s7, s13, s7
	v_add_co_u32 v1, vcc_lo, s17, v1
	v_add_co_ci_u32_e32 v2, vcc_lo, s13, v2, vcc_lo
	s_delay_alu instid0(VALU_DEP_3) | instskip(NEXT) | instid1(VALU_DEP_4)
	v_add_co_u32 v3, vcc_lo, s17, v3
	v_add_co_ci_u32_e32 v4, vcc_lo, s13, v4, vcc_lo
	s_clause 0x1
	global_load_b32 v5, v[1:2], off
	global_load_b32 v6, v[3:4], off
	s_or_b32 s4, s16, 32
	s_delay_alu instid0(SALU_CYCLE_1) | instskip(SKIP_2) | instid1(SALU_CYCLE_1)
	s_ashr_i32 s8, s4, 5
	s_cmp_lt_i32 s4, s18
	s_cselect_b32 s8, s8, s3
	s_ashr_i32 s9, s8, 31
	s_delay_alu instid0(SALU_CYCLE_1) | instskip(NEXT) | instid1(SALU_CYCLE_1)
	s_lshl_b64 s[8:9], s[8:9], 2
	s_add_u32 s8, s17, s8
	s_addc_u32 s9, s13, s9
	s_or_b32 s4, s16, 64
	s_delay_alu instid0(SALU_CYCLE_1) | instskip(SKIP_2) | instid1(SALU_CYCLE_1)
	s_ashr_i32 s12, s4, 5
	s_cmp_lt_i32 s4, s18
	s_cselect_b32 s24, s12, s3
	s_ashr_i32 s25, s24, 31
	s_delay_alu instid0(SALU_CYCLE_1) | instskip(NEXT) | instid1(SALU_CYCLE_1)
	s_lshl_b64 s[24:25], s[24:25], 2
	s_add_u32 s24, s17, s24
	s_addc_u32 s25, s13, s25
	;; [unrolled: 10-line block ×5, first 2 shown]
	s_clause 0x5
	s_load_b32 s12, s[6:7], 0x0
	s_load_b32 s4, s[8:9], 0x0
	;; [unrolled: 1-line block ×6, first 2 shown]
	s_or_b32 s21, s16, 0xc0
	s_waitcnt vmcnt(1)
	v_mad_i64_i32 v[1:2], null, v5, s5, s[22:23]
	v_lshlrev_b32_e32 v5, 4, v68
	s_waitcnt vmcnt(0)
	v_mad_i64_i32 v[3:4], null, v6, s5, s[22:23]
	s_ashr_i32 s22, s21, 5
	s_cmp_lt_i32 s21, s18
	s_delay_alu instid0(VALU_DEP_3) | instskip(NEXT) | instid1(VALU_DEP_4)
	v_add_co_u32 v1, vcc_lo, v1, v5
	v_add_co_ci_u32_e32 v2, vcc_lo, 0, v2, vcc_lo
	s_delay_alu instid0(VALU_DEP_3) | instskip(NEXT) | instid1(VALU_DEP_4)
	v_add_co_u32 v3, vcc_lo, v3, v5
	v_add_co_ci_u32_e32 v4, vcc_lo, 0, v4, vcc_lo
	s_clause 0x7
	global_load_b128 v[71:74], v[1:2], off
	global_load_b128 v[75:78], v[1:2], off offset:512
	global_load_b128 v[79:82], v[3:4], off offset:256
	;; [unrolled: 1-line block ×7, first 2 shown]
	s_cselect_b32 s22, s22, s3
	v_lshlrev_b32_e32 v1, 5, v68
	s_ashr_i32 s23, s22, 31
	v_cmp_ne_u32_e32 vcc_lo, 15, v68
	s_lshl_b64 s[22:23], s[22:23], 2
	s_delay_alu instid0(SALU_CYCLE_1)
	s_add_u32 s22, s17, s22
	s_addc_u32 s23, s13, s23
	s_or_b32 s21, s16, 0xe0
	v_lshl_or_b32 v1, v69, 9, v1
	s_ashr_i32 s24, s21, 5
	s_cmp_lt_i32 s21, s18
	v_cndmask_b32_e32 v103, 0, v68, vcc_lo
	s_cselect_b32 s24, s24, s3
	s_load_b32 s3, s[22:23], 0x0
	s_ashr_i32 s25, s24, 31
	v_cmp_gt_i32_e32 vcc_lo, 32, v128
	s_lshl_b64 s[24:25], s[24:25], 2
	v_lshlrev_b32_e32 v115, 6, v103
	s_add_u32 s22, s17, s24
	s_addc_u32 s23, s13, s25
	v_cndmask_b32_e32 v136, v127, v128, vcc_lo
	s_add_u32 s10, s10, s15
	s_addc_u32 s11, s11, s20
	v_add_co_u32 v1, s10, s10, v1
	s_delay_alu instid0(VALU_DEP_1) | instskip(SKIP_2) | instid1(VALU_DEP_1)
	v_add_co_ci_u32_e64 v2, null, s11, 0, s10
	s_load_b32 s10, s[22:23], 0x0
	s_waitcnt lgkmcnt(0)
	v_mad_i64_i32 v[3:4], null, s12, s5, v[1:2]
	v_mad_i64_i32 v[9:10], null, s7, s5, v[1:2]
	v_mad_i64_i32 v[5:6], null, s4, s5, v[1:2]
	v_mad_i64_i32 v[13:14], null, s8, s5, v[1:2]
	v_mad_i64_i32 v[7:8], null, s6, s5, v[1:2]
	v_mad_i64_i32 v[21:22], null, s9, s5, v[1:2]
	v_mad_i64_i32 v[29:30], null, s3, s5, v[1:2]
	s_clause 0x5
	global_load_b128 v[49:52], v[3:4], off
	global_load_b128 v[53:56], v[3:4], off offset:16
	global_load_b128 v[41:44], v[5:6], off
	global_load_b128 v[45:48], v[5:6], off offset:16
	;; [unrolled: 2-line block ×3, first 2 shown]
	s_mov_b32 s4, 0
	v_mad_i64_i32 v[61:62], null, s10, s5, v[1:2]
	s_clause 0x9
	global_load_b128 v[1:4], v[9:10], off
	global_load_b128 v[5:8], v[9:10], off offset:16
	global_load_b128 v[9:12], v[13:14], off
	global_load_b128 v[13:16], v[13:14], off offset:16
	;; [unrolled: 2-line block ×5, first 2 shown]
	s_mov_b32 s5, s4
	s_mov_b32 s6, s4
	;; [unrolled: 1-line block ×7, first 2 shown]
	v_and_b32_e32 v104, 0xe0, v0
	v_dual_mov_b32 v126, s11 :: v_dual_mov_b32 v125, s10
	v_dual_mov_b32 v124, s9 :: v_dual_mov_b32 v123, s8
	s_delay_alu instid0(VALU_DEP_3)
	v_add_nc_u32_e32 v111, s16, v104
	ds_load_b128 v[103:106], v115
	ds_load_b128 v[107:110], v115 offset:1024
	v_dual_mov_b32 v122, s7 :: v_dual_mov_b32 v121, s6
	v_mov_b32_e32 v120, s5
	v_or_b32_e32 v135, v111, v66
	ds_load_b128 v[111:114], v115 offset:2048
	ds_load_b128 v[115:118], v115 offset:3072
	v_mov_b32_e32 v119, s4
	s_waitcnt vmcnt(0) lgkmcnt(0)
	s_barrier
	v_or_b32_e32 v137, 2, v135
	v_or_b32_e32 v138, 4, v135
	;; [unrolled: 1-line block ×3, first 2 shown]
	v_cmp_gt_i32_e32 vcc_lo, s18, v135
	v_or_b32_e32 v140, 8, v135
	v_cmp_gt_i32_e64 s3, s18, v137
	v_or_b32_e32 v141, 10, v135
	v_cmp_gt_i32_e64 s4, s18, v138
	v_cmp_gt_i32_e64 s5, s18, v139
	v_or_b32_e32 v142, 12, v135
	v_or_b32_e32 v143, 14, v135
	v_cmp_gt_i32_e64 s6, s18, v140
	v_cmp_gt_i32_e64 s7, s18, v141
	v_or_b32_e32 v144, 16, v135
	v_or_b32_e32 v145, 18, v135
	v_cmp_gt_i32_e64 s8, s18, v142
	v_cmp_gt_i32_e64 s9, s18, v143
	buffer_gl0_inv
	v_cmp_gt_i32_e64 s10, s18, v144
	v_cmp_gt_i32_e64 s11, s18, v145
	v_wmma_f32_16x16x16_f16 v[127:134], v[71:78], v[103:110], v[119:126]
	v_wmma_f32_16x16x16_f16 v[119:126], v[79:86], v[103:110], v[119:126]
	v_or_b32_e32 v71, 20, v135
	v_or_b32_e32 v72, 22, v135
	s_delay_alu instid0(VALU_DEP_4)
	v_wmma_f32_16x16x16_f16 v[127:134], v[87:94], v[111:118], v[127:134]
	v_or_b32_e32 v73, 24, v135
	v_wmma_f32_16x16x16_f16 v[119:126], v[95:102], v[111:118], v[119:126]
	v_or_b32_e32 v74, 26, v135
	v_cmp_gt_i32_e64 s12, s18, v71
	v_dual_mul_f32 v84, s19, v127 :: v_dual_mul_f32 v83, s19, v128
	s_delay_alu instid0(VALU_DEP_4) | instskip(SKIP_2) | instid1(VALU_DEP_4)
	v_dual_mul_f32 v92, s19, v119 :: v_dual_mul_f32 v81, s19, v130
	v_mul_f32_e32 v90, s19, v121
	v_mul_f32_e32 v82, s19, v129
	v_cndmask_b32_e32 v84, 0xff7fffff, v84, vcc_lo
	v_cndmask_b32_e64 v83, 0xff7fffff, v83, s3
	v_dual_mul_f32 v79, s19, v132 :: v_dual_mul_f32 v88, s19, v123
	v_mul_f32_e32 v80, s19, v131
	v_cndmask_b32_e64 v82, 0xff7fffff, v82, s4
	v_cndmask_b32_e64 v81, 0xff7fffff, v81, s5
	v_max3_f32 v83, v84, 0xff7fffff, v83
	v_dual_mul_f32 v77, s19, v134 :: v_dual_mul_f32 v86, s19, v125
	v_mul_f32_e32 v78, s19, v133
	v_cndmask_b32_e64 v80, 0xff7fffff, v80, s6
	v_cndmask_b32_e64 v79, 0xff7fffff, v79, s7
	v_max3_f32 v81, v83, v82, v81
	v_mul_f32_e32 v91, s19, v120
	v_cndmask_b32_e64 v78, 0xff7fffff, v78, s8
	v_cndmask_b32_e64 v77, 0xff7fffff, v77, s9
	v_mul_f32_e32 v89, s19, v122
	v_max3_f32 v79, v81, v80, v79
	v_cndmask_b32_e64 v80, 0xff7fffff, v92, s10
	v_cndmask_b32_e64 v81, 0xff7fffff, v91, s11
	v_cmp_gt_i32_e64 s13, s18, v72
	v_or_b32_e32 v75, 28, v135
	v_max3_f32 v77, v79, v78, v77
	v_or_b32_e32 v76, 30, v135
	v_mul_f32_e32 v87, s19, v124
	v_cndmask_b32_e64 v71, 0xff7fffff, v90, s12
	v_cndmask_b32_e64 v72, 0xff7fffff, v89, s13
	v_max3_f32 v77, v77, v80, v81
	v_cmp_gt_i32_e64 s15, s18, v73
	v_cmp_gt_i32_e64 s16, s18, v74
	v_mul_f32_e32 v85, s19, v126
	v_cmp_gt_i32_e64 s17, s18, v75
	v_max3_f32 v71, v77, v71, v72
	v_cndmask_b32_e64 v73, 0xff7fffff, v88, s15
	v_cndmask_b32_e64 v74, 0xff7fffff, v87, s16
	v_cmp_gt_i32_e64 s18, s18, v76
	v_cndmask_b32_e64 v72, 0xff7fffff, v86, s17
	s_delay_alu instid0(VALU_DEP_3) | instskip(NEXT) | instid1(VALU_DEP_3)
	v_max3_f32 v71, v71, v73, v74
	v_cndmask_b32_e64 v75, 0xff7fffff, v85, s18
	v_lshlrev_b32_e32 v73, 2, v136
	s_delay_alu instid0(VALU_DEP_2) | instskip(SKIP_3) | instid1(VALU_DEP_1)
	v_max3_f32 v71, v71, v72, v75
	ds_bpermute_b32 v72, v73, v71
	s_waitcnt lgkmcnt(0)
	v_max_f32_e32 v72, v72, v72
	v_max_f32_e32 v71, v71, v72
	s_delay_alu instid0(VALU_DEP_1) | instskip(SKIP_2) | instid1(VALU_DEP_3)
	v_fma_f32 v72, s19, v127, -v71
	v_fma_f32 v74, s19, v128, -v71
	;; [unrolled: 1-line block ×3, first 2 shown]
	v_mul_f32_e32 v72, 0x3fb8aa3b, v72
	s_delay_alu instid0(VALU_DEP_2) | instskip(NEXT) | instid1(VALU_DEP_2)
	v_dual_mul_f32 v74, 0x3fb8aa3b, v74 :: v_dual_mul_f32 v75, 0x3fb8aa3b, v75
	v_exp_f32_e32 v72, v72
	s_delay_alu instid0(VALU_DEP_1) | instskip(NEXT) | instid1(VALU_DEP_1)
	v_exp_f32_e32 v74, v74
	v_exp_f32_e32 v75, v75
	s_delay_alu instid0(TRANS32_DEP_3)
	v_cndmask_b32_e32 v79, 0, v72, vcc_lo
	s_waitcnt_depctr 0xfff
	v_cndmask_b32_e64 v78, 0, v74, s3
	v_cndmask_b32_e64 v81, 0, v75, s4
	v_cmp_gt_u32_e64 s3, 16, v70
	v_add_f32_e32 v74, 0, v79
	s_delay_alu instid0(VALU_DEP_1) | instskip(NEXT) | instid1(VALU_DEP_1)
	v_add_f32_e32 v74, v74, v78
	v_add_f32_e32 v74, v74, v81
	v_fma_f32 v76, s19, v130, -v71
	v_fma_f32 v77, s19, v131, -v71
	;; [unrolled: 1-line block ×5, first 2 shown]
	s_delay_alu instid0(VALU_DEP_4) | instskip(NEXT) | instid1(VALU_DEP_4)
	v_dual_mul_f32 v76, 0x3fb8aa3b, v76 :: v_dual_mul_f32 v77, 0x3fb8aa3b, v77
	v_mul_f32_e32 v72, 0x3fb8aa3b, v72
	s_delay_alu instid0(VALU_DEP_4) | instskip(SKIP_1) | instid1(VALU_DEP_4)
	v_mul_f32_e32 v82, 0x3fb8aa3b, v80
	v_fma_f32 v86, s19, v122, -v71
	v_exp_f32_e32 v76, v76
	v_exp_f32_e32 v77, v77
	;; [unrolled: 1-line block ×4, first 2 shown]
	v_mul_f32_e32 v86, 0x3fb8aa3b, v86
	s_delay_alu instid0(VALU_DEP_1)
	v_exp_f32_e32 v88, v86
	v_cndmask_b32_e64 v80, 0, v76, s5
	v_mul_f32_e32 v75, 0x3fb8aa3b, v75
	v_fma_f32 v76, s19, v119, -v71
	v_cndmask_b32_e64 v83, 0, v77, s6
	v_fma_f32 v77, s19, v120, -v71
	v_add_f32_e32 v74, v74, v80
	v_exp_f32_e32 v75, v75
	v_mul_f32_e32 v76, 0x3fb8aa3b, v76
	v_cndmask_b32_e64 v82, 0, v72, s7
	s_delay_alu instid0(VALU_DEP_3) | instskip(SKIP_1) | instid1(VALU_DEP_4)
	v_dual_mul_f32 v77, 0x3fb8aa3b, v77 :: v_dual_add_f32 v72, v74, v83
	v_fma_f32 v74, s19, v121, -v71
	v_exp_f32_e32 v76, v76
	v_cndmask_b32_e64 v85, 0, v84, s8
	s_delay_alu instid0(VALU_DEP_3) | instskip(SKIP_1) | instid1(TRANS32_DEP_3)
	v_exp_f32_e32 v77, v77
	v_cndmask_b32_e64 v88, 0, v88, s13
	v_cndmask_b32_e64 v84, 0, v75, s9
	v_fma_f32 v75, s19, v123, -v71
	v_add_f32_e32 v72, v72, v82
	s_delay_alu instid0(VALU_DEP_2) | instskip(NEXT) | instid1(VALU_DEP_2)
	v_dual_mul_f32 v74, 0x3fb8aa3b, v74 :: v_dual_mul_f32 v75, 0x3fb8aa3b, v75
	v_add_f32_e32 v72, v72, v85
	s_delay_alu instid0(VALU_DEP_2)
	v_exp_f32_e32 v74, v74
	v_cndmask_b32_e64 v87, 0, v76, s10
	v_fma_f32 v76, s19, v124, -v71
	v_cndmask_b32_e64 v86, 0, v77, s11
	v_add_f32_e32 v72, v72, v84
	v_fma_f32 v77, s19, v125, -v71
	v_exp_f32_e32 v75, v75
	v_mul_f32_e32 v76, 0x3fb8aa3b, v76
	s_delay_alu instid0(VALU_DEP_3) | instskip(NEXT) | instid1(TRANS32_DEP_2)
	v_add_f32_e32 v72, v72, v87
	v_cndmask_b32_e64 v89, 0, v74, s12
	v_mul_f32_e32 v74, 0x3fb8aa3b, v77
	s_delay_alu instid0(VALU_DEP_4) | instskip(SKIP_2) | instid1(VALU_DEP_3)
	v_exp_f32_e32 v76, v76
	v_fma_f32 v77, s19, v126, -v71
	v_add_f32_e32 v72, v72, v86
	v_exp_f32_e32 v74, v74
	s_delay_alu instid0(TRANS32_DEP_3) | instskip(NEXT) | instid1(VALU_DEP_3)
	v_cndmask_b32_e64 v91, 0, v75, s15
	v_mul_f32_e32 v75, 0x3fb8aa3b, v77
	s_delay_alu instid0(VALU_DEP_3) | instskip(NEXT) | instid1(TRANS32_DEP_2)
	v_add_f32_e32 v72, v72, v89
	v_cndmask_b32_e64 v90, 0, v76, s16
	s_delay_alu instid0(VALU_DEP_3) | instskip(NEXT) | instid1(VALU_DEP_2)
	v_exp_f32_e32 v75, v75
	v_add_f32_e32 v72, v72, v88
	s_delay_alu instid0(TRANS32_DEP_2) | instskip(NEXT) | instid1(VALU_DEP_2)
	v_cndmask_b32_e64 v93, 0, v74, s17
	v_add_f32_e32 v72, v72, v91
	s_waitcnt_depctr 0xfff
	v_cndmask_b32_e64 v92, 0, v75, s18
	v_add_f32_e32 v72, v72, v90
	s_delay_alu instid0(VALU_DEP_1) | instskip(NEXT) | instid1(VALU_DEP_1)
	v_add_f32_e32 v72, v72, v93
	v_add_f32_e32 v72, v72, v92
	ds_bpermute_b32 v73, v73, v72
	s_and_saveexec_b32 s4, s3
	s_cbranch_execz .LBB904_12
; %bb.11:
	v_mul_u32_u24_e32 v70, 0x44, v69
	s_waitcnt lgkmcnt(0)
	v_add_f32_e32 v72, v72, v73
	s_delay_alu instid0(VALU_DEP_2) | instskip(NEXT) | instid1(VALU_DEP_1)
	v_lshl_add_u32 v70, v68, 2, v70
	v_add_nc_u32_e32 v70, 0x4000, v70
	ds_store_2addr_b32 v70, v71, v72 offset1:136
.LBB904_12:
	s_or_b32 exec_lo, exec_lo, s4
	v_lshlrev_b32_e32 v70, 2, v68
	s_load_b32 s36, s[0:1], 0x94
	s_waitcnt lgkmcnt(0)
	s_barrier
	buffer_gl0_inv
	v_add_nc_u32_e32 v98, 0x4000, v70
	v_cmp_eq_u32_e32 vcc_lo, 1, v69
	v_cmp_eq_u32_e64 s4, 2, v69
	v_cmp_eq_u32_e64 s5, 3, v69
	;; [unrolled: 1-line block ×3, first 2 shown]
	ds_load_2addr_b32 v[70:71], v98 offset1:17
	ds_load_2addr_b32 v[72:73], v98 offset0:34 offset1:51
	ds_load_2addr_b32 v[74:75], v98 offset0:68 offset1:85
	;; [unrolled: 1-line block ×3, first 2 shown]
	v_cmp_eq_u32_e64 s7, 5, v69
	v_cmp_eq_u32_e64 s8, 7, v69
	s_waitcnt lgkmcnt(3)
	v_max3_f32 v76, v70, 0xff7fffff, v71
	s_waitcnt lgkmcnt(2)
	s_delay_alu instid0(VALU_DEP_1) | instskip(SKIP_1) | instid1(VALU_DEP_1)
	v_max3_f32 v76, v76, v72, v73
	s_waitcnt lgkmcnt(1)
	v_max3_f32 v76, v76, v74, v75
	s_waitcnt lgkmcnt(0)
	s_delay_alu instid0(VALU_DEP_1) | instskip(NEXT) | instid1(VALU_DEP_1)
	v_max3_f32 v76, v76, v94, v95
	v_sub_f32_e32 v77, v71, v76
	ds_load_2addr_b32 v[96:97], v98 offset0:136 offset1:153
	v_sub_f32_e32 v74, v74, v76
	v_sub_f32_e32 v70, v70, v76
	v_sub_f32_e32 v94, v94, v76
	v_dual_sub_f32 v72, v72, v76 :: v_dual_mul_f32 v77, 0x3fb8aa3b, v77
	s_delay_alu instid0(VALU_DEP_4) | instskip(NEXT) | instid1(VALU_DEP_4)
	v_mul_f32_e32 v103, 0x3fb8aa3b, v74
	v_mul_f32_e32 v99, 0x3fb8aa3b, v70
	ds_load_2addr_b32 v[70:71], v98 offset0:170 offset1:187
	v_dual_mul_f32 v101, 0x3fb8aa3b, v72 :: v_dual_mul_f32 v94, 0x3fb8aa3b, v94
	v_exp_f32_e32 v102, v77
	v_exp_f32_e32 v99, v99
	s_delay_alu instid0(VALU_DEP_1) | instskip(NEXT) | instid1(VALU_DEP_1)
	v_exp_f32_e32 v101, v101
	v_exp_f32_e32 v94, v94
	s_waitcnt lgkmcnt(1)
	s_delay_alu instid0(TRANS32_DEP_3)
	v_fma_f32 v77, v99, v96, 0
	v_sub_f32_e32 v100, v73, v76
	ds_load_2addr_b32 v[72:73], v98 offset0:204 offset1:221
	v_fmac_f32_e32 v77, v102, v97
	v_exp_f32_e32 v97, v103
	s_waitcnt lgkmcnt(1)
	s_delay_alu instid0(VALU_DEP_1)
	v_dual_fmac_f32 v77, v101, v70 :: v_dual_sub_f32 v96, v75, v76
	ds_load_2addr_b32 v[74:75], v98 offset0:238 offset1:255
	v_sub_f32_e32 v70, v95, v76
	s_waitcnt lgkmcnt(0)
	s_barrier
	v_mul_f32_e32 v96, 0x3fb8aa3b, v96
	buffer_gl0_inv
	v_exp_f32_e32 v95, v96
	v_mul_f32_e32 v100, 0x3fb8aa3b, v100
	s_delay_alu instid0(VALU_DEP_1) | instskip(SKIP_3) | instid1(VALU_DEP_2)
	v_exp_f32_e32 v100, v100
	s_waitcnt_depctr 0xfff
	v_dual_fmac_f32 v77, v100, v71 :: v_dual_mul_f32 v70, 0x3fb8aa3b, v70
	v_cndmask_b32_e32 v71, v99, v102, vcc_lo
	v_fmac_f32_e32 v77, v97, v72
	s_delay_alu instid0(VALU_DEP_3) | instskip(NEXT) | instid1(VALU_DEP_1)
	v_exp_f32_e32 v96, v70
	v_fmac_f32_e32 v77, v95, v73
	s_delay_alu instid0(VALU_DEP_1) | instskip(SKIP_2) | instid1(VALU_DEP_1)
	v_fmac_f32_e32 v77, v94, v74
	s_waitcnt_depctr 0xfff
	v_fmac_f32_e32 v77, v96, v75
	v_add_f32_e32 v74, 0x358637bd, v77
	s_delay_alu instid0(VALU_DEP_1) | instskip(SKIP_1) | instid1(VALU_DEP_2)
	v_div_scale_f32 v98, null, v74, v74, 1.0
	v_div_scale_f32 v99, vcc_lo, 1.0, v74, 1.0
	v_rcp_f32_e32 v103, v98
	s_waitcnt_depctr 0xfff
	v_fma_f32 v70, -v98, v103, 1.0
	s_delay_alu instid0(VALU_DEP_1) | instskip(SKIP_2) | instid1(VALU_DEP_2)
	v_fmac_f32_e32 v103, v70, v103
	v_cndmask_b32_e64 v70, v71, v101, s4
	v_cmp_eq_u32_e64 s4, 6, v69
	v_cndmask_b32_e64 v71, v70, v100, s5
	s_delay_alu instid0(VALU_DEP_4) | instskip(NEXT) | instid1(VALU_DEP_2)
	v_dual_mul_f32 v101, v99, v103 :: v_dual_lshlrev_b32 v70, 2, v66
	v_cndmask_b32_e64 v71, v71, v97, s6
	s_delay_alu instid0(VALU_DEP_2) | instskip(NEXT) | instid1(VALU_DEP_3)
	v_or_b32_e32 v72, 1, v70
	v_fma_f32 v100, -v98, v101, v99
	v_cmp_eq_u32_e64 s5, 1, v70
	v_cmp_eq_u32_e64 s6, 2, v70
	v_cndmask_b32_e64 v95, v71, v95, s7
	v_or_b32_e32 v71, 3, v70
	v_fmac_f32_e32 v101, v100, v103
	v_cmp_eq_u32_e64 s10, 1, v72
	v_cmp_eq_u32_e64 s13, 2, v72
	v_cndmask_b32_e64 v94, v95, v94, s4
	v_cmp_eq_u32_e64 s12, 1, v71
	v_fma_f32 v97, -v98, v101, v99
	v_cmp_eq_u32_e64 s17, 2, v71
	v_cmp_eq_u32_e64 s15, 3, v72
	v_cndmask_b32_e64 v94, v94, v96, s8
	v_cmp_eq_u32_e64 s19, 3, v71
	v_div_fmas_f32 v95, v97, v103, v101
	v_cmp_eq_u32_e32 vcc_lo, 3, v70
	v_cmp_eq_u32_e64 s4, 4, v70
	v_cmp_eq_u32_e64 s20, 4, v72
	;; [unrolled: 1-line block ×3, first 2 shown]
	v_div_fixup_f32 v95, v95, v74, 1.0
	v_lshlrev_b32_e32 v73, 6, v68
	v_cmp_eq_u32_e64 s7, 5, v70
	v_cmp_eq_u32_e64 s21, 5, v72
	;; [unrolled: 1-line block ×3, first 2 shown]
	v_mul_f32_e32 v102, v94, v95
	v_lshl_or_b32 v75, v69, 11, v73
	v_or_b32_e32 v69, 2, v70
	v_cmp_eq_u32_e64 s26, 6, v72
	v_cmp_eq_u32_e64 s28, 6, v71
	v_fma_mixlo_f16 v94, v102, v79, 0
	v_fma_mixlo_f16 v95, v102, v81, 0
	;; [unrolled: 1-line block ×8, first 2 shown]
	v_lshl_or_b32 v74, v66, 4, v75
	v_fma_mixhi_f16 v94, v102, v78, 0
	v_fma_mixhi_f16 v95, v102, v80, 0
	;; [unrolled: 1-line block ×8, first 2 shown]
	ds_store_b128 v74, v[94:97]
	ds_store_b128 v74, v[98:101] offset:1024
	s_waitcnt lgkmcnt(0)
	s_barrier
	buffer_gl0_inv
	ds_load_b128 v[78:81], v75
	ds_load_b128 v[82:85], v75 offset:16
	ds_load_b128 v[86:89], v75 offset:1024
	;; [unrolled: 1-line block ×3, first 2 shown]
	v_cmp_eq_u32_e64 s11, 1, v69
	v_cmp_eq_u32_e64 s16, 2, v69
	;; [unrolled: 1-line block ×11, first 2 shown]
	s_waitcnt lgkmcnt(3)
	v_lshrrev_b32_e32 v94, 16, v78
	s_waitcnt lgkmcnt(2)
	v_lshrrev_b32_e32 v98, 16, v82
	;; [unrolled: 2-line block ×4, first 2 shown]
	v_lshrrev_b32_e32 v95, 16, v79
	v_cndmask_b32_e64 v110, v78, v94, s5
	v_cndmask_b32_e64 v111, v82, v98, s5
	;; [unrolled: 1-line block ×8, first 2 shown]
	v_lshrrev_b32_e32 v99, 16, v83
	v_cndmask_b32_e64 v94, v86, v102, s5
	v_cndmask_b32_e64 v98, v90, v106, s5
	;; [unrolled: 1-line block ×15, first 2 shown]
	v_lshrrev_b32_e32 v103, 16, v87
	v_lshrrev_b32_e32 v107, 16, v91
	v_cndmask_b32_e64 v113, v115, v83, s16
	v_cndmask_b32_e64 v82, v94, v87, s6
	;; [unrolled: 1-line block ×7, first 2 shown]
	v_cndmask_b32_e32 v90, v102, v95, vcc_lo
	v_cndmask_b32_e32 v102, v106, v99, vcc_lo
	v_cndmask_b32_e64 v106, v110, v95, s15
	v_cndmask_b32_e64 v110, v111, v99, s15
	;; [unrolled: 1-line block ×4, first 2 shown]
	v_lshrrev_b32_e32 v96, 16, v80
	v_lshrrev_b32_e32 v100, 16, v84
	v_cndmask_b32_e64 v111, v112, v95, s18
	v_cndmask_b32_e64 v112, v113, v99, s18
	v_cndmask_b32_e32 v82, v82, v103, vcc_lo
	v_cndmask_b32_e32 v83, v83, v107, vcc_lo
	v_cndmask_b32_e64 v94, v94, v103, s15
	v_cndmask_b32_e64 v90, v90, v80, s4
	;; [unrolled: 1-line block ×7, first 2 shown]
	v_lshrrev_b32_e32 v104, 16, v88
	v_cndmask_b32_e64 v106, v111, v80, s22
	v_cndmask_b32_e64 v110, v112, v84, s22
	v_cndmask_b32_e64 v80, v82, v88, s4
	v_cndmask_b32_e64 v82, v83, v92, s4
	v_cndmask_b32_e64 v83, v94, v88, s20
	v_cndmask_b32_e64 v84, v90, v96, s7
	v_cndmask_b32_e64 v90, v95, v100, s7
	v_cndmask_b32_e64 v94, v99, v96, s21
	v_cndmask_b32_e64 v95, v102, v100, s21
	v_cndmask_b32_e64 v78, v78, v96, s25
	v_cndmask_b32_e64 v79, v79, v100, s25
	v_lshrrev_b32_e32 v97, 16, v81
	v_lshrrev_b32_e32 v101, 16, v85
	v_cndmask_b32_e64 v99, v106, v96, s24
	v_cndmask_b32_e64 v102, v110, v100, s24
	;; [unrolled: 1-line block ×7, first 2 shown]
	v_lshrrev_b32_e32 v105, 16, v89
	v_cndmask_b32_e64 v80, v80, v104, s7
	v_cndmask_b32_e64 v84, v84, v81, s8
	;; [unrolled: 1-line block ×16, first 2 shown]
	v_perm_b32 v81, v79, v78, 0x5040100
	v_perm_b32 v79, v95, v85, 0x5040100
	v_cndmask_b32_e64 v78, v119, v91, s16
	v_cndmask_b32_e64 v85, v117, v91, s13
	;; [unrolled: 1-line block ×3, first 2 shown]
	v_perm_b32 v80, v94, v90, 0x5040100
	v_cndmask_b32_e64 v90, v98, v103, s18
	v_cndmask_b32_e64 v86, v86, v103, s19
	;; [unrolled: 1-line block ×5, first 2 shown]
	v_lshrrev_b32_e32 v108, 16, v92
	v_cndmask_b32_e64 v90, v90, v88, s22
	v_cndmask_b32_e64 v86, v86, v88, s23
	;; [unrolled: 1-line block ×11, first 2 shown]
	v_lshrrev_b32_e32 v109, 16, v93
	v_cndmask_b32_e64 v82, v82, v93, s8
	v_cndmask_b32_e64 v88, v88, v89, s27
	;; [unrolled: 1-line block ×12, first 2 shown]
	v_perm_b32 v78, v84, v83, 0x5040100
	v_perm_b32 v85, v87, v86, 0x5040100
	;; [unrolled: 1-line block ×5, first 2 shown]
	s_mul_i32 s9, s35, 15
	s_mov_b32 s4, exec_lo
	ds_store_b128 v74, v[78:81]
	ds_store_b128 v74, v[82:85] offset:1024
	v_cmpx_gt_u32_e32 15, v0
	s_cbranch_execz .LBB904_14
; %bb.13:
	s_mul_i32 s5, s9, s34
	s_load_b128 s[16:19], s[0:1], 0x58
	v_add3_u32 v68, s5, s33, v68
	s_delay_alu instid0(VALU_DEP_1) | instskip(NEXT) | instid1(VALU_DEP_1)
	v_mad_u64_u32 v[78:79], null, v68, s36, s[14:15]
	v_ashrrev_i32_e32 v79, 31, v78
	s_delay_alu instid0(VALU_DEP_1) | instskip(SKIP_1) | instid1(VALU_DEP_1)
	v_lshlrev_b64 v[78:79], 2, v[78:79]
	s_waitcnt lgkmcnt(0)
	v_add_co_u32 v80, vcc_lo, s18, v78
	s_delay_alu instid0(VALU_DEP_2)
	v_add_co_ci_u32_e32 v81, vcc_lo, s19, v79, vcc_lo
	v_add_co_u32 v78, vcc_lo, s16, v78
	v_add_co_ci_u32_e32 v79, vcc_lo, s17, v79, vcc_lo
	global_store_b32 v[80:81], v76, off
	global_store_b32 v[78:79], v77, off
.LBB904_14:
	s_or_b32 exec_lo, exec_lo, s4
	s_waitcnt lgkmcnt(0)
	s_waitcnt_vscnt null, 0x0
	s_barrier
	buffer_gl0_inv
	ds_load_b128 v[84:87], v73
	ds_load_b128 v[88:91], v73 offset:16
	ds_load_b128 v[96:99], v73 offset:2064
	;; [unrolled: 1-line block ×5, first 2 shown]
	v_cmp_eq_u32_e32 vcc_lo, 1, v70
	v_mov_b32_e32 v76, 0
	ds_load_b128 v[112:115], v73 offset:6160
	ds_load_b128 v[108:111], v73 offset:6144
	;; [unrolled: 1-line block ×4, first 2 shown]
	v_cmp_eq_u32_e64 s5, 1, v69
	v_cmp_eq_u32_e64 s4, 1, v72
	;; [unrolled: 1-line block ×3, first 2 shown]
	v_mov_b32_e32 v77, v76
	v_mov_b32_e32 v78, v76
	;; [unrolled: 1-line block ×7, first 2 shown]
	v_cmp_eq_u32_e64 s7, 3, v72
	v_cmp_eq_u32_e64 s8, 7, v72
	s_waitcnt lgkmcnt(8)
	s_delay_alu instid0(VALU_DEP_3)
	v_wmma_f32_16x16x16_f16 v[76:83], v[49:56], v[84:91], v[76:83]
	ds_load_b128 v[53:56], v73 offset:10256
	ds_load_b128 v[49:52], v73 offset:10240
	s_waitcnt lgkmcnt(8)
	v_wmma_f32_16x16x16_f16 v[76:83], v[41:48], v[92:99], v[76:83]
	ds_load_b128 v[45:48], v73 offset:12304
	ds_load_b128 v[41:44], v73 offset:12288
	s_waitcnt lgkmcnt(8)
	;; [unrolled: 4-line block ×3, first 2 shown]
	s_barrier
	buffer_gl0_inv
	v_wmma_f32_16x16x16_f16 v[76:83], v[1:8], v[108:115], v[76:83]
	s_delay_alu instid0(VALU_DEP_1) | instskip(NEXT) | instid1(VALU_DEP_1)
	v_wmma_f32_16x16x16_f16 v[76:83], v[9:16], v[116:123], v[76:83]
	v_wmma_f32_16x16x16_f16 v[76:83], v[17:24], v[49:56], v[76:83]
	s_delay_alu instid0(VALU_DEP_1) | instskip(NEXT) | instid1(VALU_DEP_1)
	v_wmma_f32_16x16x16_f16 v[76:83], v[25:32], v[41:48], v[76:83]
	v_wmma_f32_16x16x16_f16 v[76:83], v[57:64], v[33:40], v[76:83]
	s_delay_alu instid0(VALU_DEP_1) | instskip(NEXT) | instid1(VALU_DEP_2)
	v_cvt_f16_f32_e32 v1, v76
	v_cvt_f16_f32_e32 v2, v77
	s_delay_alu instid0(VALU_DEP_3) | instskip(NEXT) | instid1(VALU_DEP_4)
	v_cvt_f16_f32_e32 v3, v78
	v_cvt_f16_f32_e32 v4, v79
	;; [unrolled: 1-line block ×6, first 2 shown]
	v_pack_b32_f16 v1, v1, v2
	v_pack_b32_f16 v2, v3, v4
	;; [unrolled: 1-line block ×3, first 2 shown]
	s_delay_alu instid0(VALU_DEP_4)
	v_pack_b32_f16 v4, v7, v8
	ds_store_b128 v74, v[1:4]
	s_waitcnt lgkmcnt(0)
	s_barrier
	buffer_gl0_inv
	ds_load_b128 v[1:4], v75
	ds_load_b128 v[5:8], v75 offset:16
	s_waitcnt lgkmcnt(1)
	v_lshrrev_b32_e32 v9, 16, v1
	s_waitcnt lgkmcnt(0)
	v_lshrrev_b32_e32 v13, 16, v5
	v_lshrrev_b32_e32 v10, 16, v2
	;; [unrolled: 1-line block ×4, first 2 shown]
	v_cndmask_b32_e32 v17, v1, v9, vcc_lo
	v_cndmask_b32_e32 v18, v5, v13, vcc_lo
	v_cndmask_b32_e64 v21, v1, v9, s5
	v_cmp_eq_u32_e32 vcc_lo, 1, v71
	v_cndmask_b32_e64 v22, v5, v13, s5
	v_cmp_eq_u32_e64 s5, 2, v70
	v_cndmask_b32_e64 v19, v1, v9, s4
	v_cndmask_b32_e64 v20, v5, v13, s4
	v_cndmask_b32_e32 v1, v1, v9, vcc_lo
	v_cmp_eq_u32_e64 s4, 2, v71
	v_cndmask_b32_e32 v5, v5, v13, vcc_lo
	v_cndmask_b32_e64 v9, v17, v2, s5
	v_cmp_eq_u32_e32 vcc_lo, 3, v70
	v_cndmask_b32_e64 v13, v18, v6, s5
	v_cmp_eq_u32_e64 s5, 2, v69
	v_cndmask_b32_e64 v17, v19, v2, s6
	v_cndmask_b32_e64 v18, v20, v6, s6
	v_cmp_eq_u32_e64 s6, 3, v69
	v_cndmask_b32_e64 v1, v1, v2, s4
	v_cndmask_b32_e64 v19, v21, v2, s5
	;; [unrolled: 1-line block ×4, first 2 shown]
	v_cndmask_b32_e32 v5, v9, v10, vcc_lo
	v_cndmask_b32_e32 v6, v13, v14, vcc_lo
	v_cmp_eq_u32_e32 vcc_lo, 3, v71
	v_cndmask_b32_e64 v9, v17, v10, s7
	v_cndmask_b32_e64 v13, v18, v14, s7
	;; [unrolled: 1-line block ×3, first 2 shown]
	v_cmp_eq_u32_e64 s5, 4, v70
	v_cndmask_b32_e32 v1, v1, v10, vcc_lo
	v_cndmask_b32_e32 v2, v2, v14, vcc_lo
	v_cmp_eq_u32_e32 vcc_lo, 4, v72
	v_lshrrev_b32_e32 v15, 16, v7
	v_lshrrev_b32_e32 v16, 16, v8
	v_cndmask_b32_e64 v17, v19, v10, s6
	v_cmp_eq_u32_e64 s4, 4, v71
	v_cndmask_b32_e64 v5, v5, v3, s5
	v_cndmask_b32_e64 v6, v6, v7, s5
	v_cndmask_b32_e32 v9, v9, v3, vcc_lo
	v_cmp_eq_u32_e64 s5, 5, v72
	v_cndmask_b32_e32 v10, v13, v7, vcc_lo
	v_cmp_eq_u32_e32 vcc_lo, 4, v69
	v_cmp_eq_u32_e64 s6, 5, v70
	v_cndmask_b32_e64 v2, v2, v7, s4
	v_cndmask_b32_e64 v9, v9, v11, s5
	;; [unrolled: 1-line block ×3, first 2 shown]
	v_cndmask_b32_e32 v13, v17, v3, vcc_lo
	v_cmp_eq_u32_e64 s5, 5, v69
	v_cndmask_b32_e32 v14, v18, v7, vcc_lo
	v_cndmask_b32_e64 v1, v1, v3, s4
	v_cmp_eq_u32_e32 vcc_lo, 5, v71
	v_lshrrev_b32_e32 v12, 16, v4
	v_cndmask_b32_e64 v13, v13, v11, s5
	v_cndmask_b32_e64 v3, v14, v15, s5
	v_cmp_eq_u32_e64 s5, 6, v71
	v_cndmask_b32_e32 v1, v1, v11, vcc_lo
	v_cndmask_b32_e64 v5, v5, v11, s6
	v_cmp_eq_u32_e64 s7, 6, v70
	v_cndmask_b32_e64 v6, v6, v15, s6
	v_cmp_eq_u32_e64 s6, 6, v72
	v_cmp_eq_u32_e64 s4, 6, v69
	v_cndmask_b32_e64 v1, v1, v4, s5
	v_cndmask_b32_e32 v2, v2, v15, vcc_lo
	v_cmp_eq_u32_e32 vcc_lo, 7, v71
	v_cndmask_b32_e64 v5, v5, v4, s7
	v_cndmask_b32_e64 v9, v9, v4, s6
	;; [unrolled: 1-line block ×3, first 2 shown]
	v_cmp_eq_u32_e64 s7, 7, v70
	v_cndmask_b32_e32 v1, v1, v12, vcc_lo
	v_cndmask_b32_e64 v7, v13, v4, s4
	v_cndmask_b32_e64 v3, v3, v8, s4
	;; [unrolled: 1-line block ×3, first 2 shown]
	v_cmp_eq_u32_e64 s4, 7, v69
	v_cndmask_b32_e64 v4, v10, v8, s6
	v_cndmask_b32_e64 v5, v5, v12, s7
	;; [unrolled: 1-line block ×3, first 2 shown]
	v_cndmask_b32_e32 v2, v2, v16, vcc_lo
	v_cndmask_b32_e64 v7, v7, v12, s4
	v_cndmask_b32_e64 v3, v3, v16, s4
	;; [unrolled: 1-line block ×4, first 2 shown]
	v_cmp_gt_u32_e32 vcc_lo, 32, v0
	v_perm_b32 v4, v2, v1, 0x5040100
	v_perm_b32 v3, v3, v7, 0x5040100
	v_perm_b32 v2, v8, v9, 0x5040100
	v_perm_b32 v1, v6, v5, 0x5040100
	s_and_b32 s2, vcc_lo, s2
	ds_store_b128 v74, v[1:4]
	s_waitcnt lgkmcnt(0)
	s_barrier
	buffer_gl0_inv
	s_and_saveexec_b32 s4, s2
	s_cbranch_execz .LBB904_2
; %bb.15:
	s_load_b64 s[4:5], s[0:1], 0x68
	v_add_nc_u32_e32 v20, s33, v66
	v_lshlrev_b32_e32 v0, 10, v0
	v_lshlrev_b32_e32 v1, 4, v67
	s_lshl_b32 s0, s36, 6
	s_delay_alu instid0(SALU_CYCLE_1)
	s_mul_i32 s1, s0, s34
	v_add_nc_u32_e32 v2, 2, v20
	s_mul_i32 s6, s1, s9
	v_and_or_b32 v0, 0x3800, v0, v1
	v_mul_lo_u32 v1, v20, s0
	s_ashr_i32 s7, s6, 31
	v_mul_lo_u32 v11, v2, s0
	s_lshl_b64 s[6:7], s[6:7], 1
	v_add_nc_u32_e32 v3, 4, v20
	v_lshl_or_b32 v21, v66, 6, v0
	v_add_nc_u32_e32 v16, 6, v20
	v_ashrrev_i32_e32 v2, 31, v1
	s_delay_alu instid0(VALU_DEP_4)
	v_mul_lo_u32 v13, v3, s0
	s_waitcnt lgkmcnt(0)
	s_add_u32 s1, s4, s6
	s_addc_u32 s2, s5, s7
	s_lshl_b32 s4, s14, 6
	ds_load_b128 v[3:6], v21
	ds_load_b128 v[7:10], v21 offset:128
	s_ashr_i32 s5, s4, 31
	v_ashrrev_i32_e32 v12, 31, v11
	s_lshl_b64 s[4:5], s[4:5], 1
	v_lshlrev_b64 v[14:15], 1, v[1:2]
	s_add_u32 s1, s1, s4
	s_addc_u32 s2, s2, s5
	v_add_co_u32 v1, s1, s1, v65
	s_delay_alu instid0(VALU_DEP_1) | instskip(SKIP_1) | instid1(VALU_DEP_3)
	v_add_co_ci_u32_e64 v2, null, s2, 0, s1
	v_lshlrev_b64 v[11:12], 1, v[11:12]
	v_add_co_u32 v18, vcc_lo, v1, v14
	v_mul_lo_u32 v16, v16, s0
	s_delay_alu instid0(VALU_DEP_4) | instskip(NEXT) | instid1(VALU_DEP_4)
	v_add_co_ci_u32_e32 v19, vcc_lo, v2, v15, vcc_lo
	v_add_co_u32 v11, vcc_lo, v1, v11
	v_ashrrev_i32_e32 v14, 31, v13
	v_add_co_ci_u32_e32 v12, vcc_lo, v2, v12, vcc_lo
	v_add_nc_u32_e32 v15, 8, v20
	v_ashrrev_i32_e32 v17, 31, v16
	s_waitcnt lgkmcnt(1)
	global_store_b128 v[18:19], v[3:6], off
	v_lshlrev_b64 v[3:4], 1, v[13:14]
	s_waitcnt lgkmcnt(0)
	global_store_b128 v[11:12], v[7:10], off
	v_mul_lo_u32 v11, v15, s0
	v_add_nc_u32_e32 v7, 10, v20
	v_lshlrev_b64 v[5:6], 1, v[16:17]
	v_add_co_u32 v23, vcc_lo, v1, v3
	v_add_nc_u32_e32 v3, 12, v20
	s_delay_alu instid0(VALU_DEP_4)
	v_mul_lo_u32 v25, v7, s0
	v_ashrrev_i32_e32 v12, 31, v11
	v_add_co_ci_u32_e32 v24, vcc_lo, v2, v4, vcc_lo
	v_add_co_u32 v27, vcc_lo, v1, v5
	v_mul_lo_u32 v29, v3, s0
	v_add_co_ci_u32_e32 v28, vcc_lo, v2, v6, vcc_lo
	ds_load_b128 v[3:6], v21 offset:256
	ds_load_b128 v[7:10], v21 offset:384
	v_lshlrev_b64 v[31:32], 1, v[11:12]
	ds_load_b128 v[11:14], v21 offset:512
	ds_load_b128 v[15:18], v21 offset:640
	;; [unrolled: 1-line block ×3, first 2 shown]
	v_ashrrev_i32_e32 v26, 31, v25
	v_ashrrev_i32_e32 v30, 31, v29
	v_add_co_u32 v31, vcc_lo, v1, v31
	s_delay_alu instid0(VALU_DEP_3) | instskip(NEXT) | instid1(VALU_DEP_3)
	v_lshlrev_b64 v[25:26], 1, v[25:26]
	v_lshlrev_b64 v[29:30], 1, v[29:30]
	v_add_co_ci_u32_e32 v32, vcc_lo, v2, v32, vcc_lo
	s_delay_alu instid0(VALU_DEP_3) | instskip(NEXT) | instid1(VALU_DEP_4)
	v_add_co_u32 v25, vcc_lo, v1, v25
	v_add_co_ci_u32_e32 v26, vcc_lo, v2, v26, vcc_lo
	s_delay_alu instid0(VALU_DEP_4)
	v_add_co_u32 v29, vcc_lo, v1, v29
	v_add_co_ci_u32_e32 v30, vcc_lo, v2, v30, vcc_lo
	s_waitcnt lgkmcnt(4)
	global_store_b128 v[23:24], v[3:6], off
	s_waitcnt lgkmcnt(3)
	global_store_b128 v[27:28], v[7:10], off
	;; [unrolled: 2-line block ×5, first 2 shown]
	s_and_b32 exec_lo, exec_lo, s3
	s_cbranch_execz .LBB904_2
; %bb.16:
	ds_load_b128 v[3:6], v0 offset:896
	s_add_i32 s1, s33, 14
	s_delay_alu instid0(SALU_CYCLE_1) | instskip(NEXT) | instid1(SALU_CYCLE_1)
	s_mul_i32 s0, s1, s0
	s_ashr_i32 s1, s0, 31
	s_delay_alu instid0(SALU_CYCLE_1) | instskip(NEXT) | instid1(SALU_CYCLE_1)
	s_lshl_b64 s[0:1], s[0:1], 1
	v_add_co_u32 v0, vcc_lo, v1, s0
	v_add_co_ci_u32_e32 v1, vcc_lo, s1, v2, vcc_lo
	s_waitcnt lgkmcnt(0)
	global_store_b128 v[0:1], v[3:6], off
	s_nop 0
	s_sendmsg sendmsg(MSG_DEALLOC_VGPRS)
	s_endpgm
	.section	.rodata,"a",@progbits
	.p2align	6, 0x0
	.amdhsa_kernel _Z39paged_attention_ll4mi_QKV_mfma16_kernelIDF16_hLN4vllm18Fp8KVCacheDataTypeE1EDF16_Li32ELi64ELi256ELb1ELi15EL8MFMAType1EEvPKT_PKT0_S8_ifPKiSA_SA_iPKfiiiPfSD_PS3_PT2_iSC_SC_
		.amdhsa_group_segment_fixed_size 17472
		.amdhsa_private_segment_fixed_size 0
		.amdhsa_kernarg_size 400
		.amdhsa_user_sgpr_count 13
		.amdhsa_user_sgpr_dispatch_ptr 0
		.amdhsa_user_sgpr_queue_ptr 0
		.amdhsa_user_sgpr_kernarg_segment_ptr 1
		.amdhsa_user_sgpr_dispatch_id 0
		.amdhsa_user_sgpr_private_segment_size 0
		.amdhsa_wavefront_size32 1
		.amdhsa_uses_dynamic_stack 0
		.amdhsa_enable_private_segment 0
		.amdhsa_system_sgpr_workgroup_id_x 1
		.amdhsa_system_sgpr_workgroup_id_y 1
		.amdhsa_system_sgpr_workgroup_id_z 1
		.amdhsa_system_sgpr_workgroup_info 0
		.amdhsa_system_vgpr_workitem_id 0
		.amdhsa_next_free_vgpr 146
		.amdhsa_next_free_sgpr 37
		.amdhsa_reserve_vcc 1
		.amdhsa_float_round_mode_32 0
		.amdhsa_float_round_mode_16_64 0
		.amdhsa_float_denorm_mode_32 3
		.amdhsa_float_denorm_mode_16_64 3
		.amdhsa_dx10_clamp 1
		.amdhsa_ieee_mode 1
		.amdhsa_fp16_overflow 0
		.amdhsa_workgroup_processor_mode 1
		.amdhsa_memory_ordered 1
		.amdhsa_forward_progress 0
		.amdhsa_shared_vgpr_count 0
		.amdhsa_exception_fp_ieee_invalid_op 0
		.amdhsa_exception_fp_denorm_src 0
		.amdhsa_exception_fp_ieee_div_zero 0
		.amdhsa_exception_fp_ieee_overflow 0
		.amdhsa_exception_fp_ieee_underflow 0
		.amdhsa_exception_fp_ieee_inexact 0
		.amdhsa_exception_int_div_zero 0
	.end_amdhsa_kernel
	.section	.text._Z39paged_attention_ll4mi_QKV_mfma16_kernelIDF16_hLN4vllm18Fp8KVCacheDataTypeE1EDF16_Li32ELi64ELi256ELb1ELi15EL8MFMAType1EEvPKT_PKT0_S8_ifPKiSA_SA_iPKfiiiPfSD_PS3_PT2_iSC_SC_,"axG",@progbits,_Z39paged_attention_ll4mi_QKV_mfma16_kernelIDF16_hLN4vllm18Fp8KVCacheDataTypeE1EDF16_Li32ELi64ELi256ELb1ELi15EL8MFMAType1EEvPKT_PKT0_S8_ifPKiSA_SA_iPKfiiiPfSD_PS3_PT2_iSC_SC_,comdat
.Lfunc_end904:
	.size	_Z39paged_attention_ll4mi_QKV_mfma16_kernelIDF16_hLN4vllm18Fp8KVCacheDataTypeE1EDF16_Li32ELi64ELi256ELb1ELi15EL8MFMAType1EEvPKT_PKT0_S8_ifPKiSA_SA_iPKfiiiPfSD_PS3_PT2_iSC_SC_, .Lfunc_end904-_Z39paged_attention_ll4mi_QKV_mfma16_kernelIDF16_hLN4vllm18Fp8KVCacheDataTypeE1EDF16_Li32ELi64ELi256ELb1ELi15EL8MFMAType1EEvPKT_PKT0_S8_ifPKiSA_SA_iPKfiiiPfSD_PS3_PT2_iSC_SC_
                                        ; -- End function
	.section	.AMDGPU.csdata,"",@progbits
; Kernel info:
; codeLenInByte = 6748
; NumSgprs: 39
; NumVgprs: 146
; ScratchSize: 0
; MemoryBound: 0
; FloatMode: 240
; IeeeMode: 1
; LDSByteSize: 17472 bytes/workgroup (compile time only)
; SGPRBlocks: 4
; VGPRBlocks: 18
; NumSGPRsForWavesPerEU: 39
; NumVGPRsForWavesPerEU: 146
; Occupancy: 9
; WaveLimiterHint : 1
; COMPUTE_PGM_RSRC2:SCRATCH_EN: 0
; COMPUTE_PGM_RSRC2:USER_SGPR: 13
; COMPUTE_PGM_RSRC2:TRAP_HANDLER: 0
; COMPUTE_PGM_RSRC2:TGID_X_EN: 1
; COMPUTE_PGM_RSRC2:TGID_Y_EN: 1
; COMPUTE_PGM_RSRC2:TGID_Z_EN: 1
; COMPUTE_PGM_RSRC2:TIDIG_COMP_CNT: 0
	.section	.text._Z39paged_attention_ll4mi_QKV_mfma16_kernelIDF16_hLN4vllm18Fp8KVCacheDataTypeE1EDF16_Li32ELi64ELi256ELb1ELi16EL8MFMAType1EEvPKT_PKT0_S8_ifPKiSA_SA_iPKfiiiPfSD_PS3_PT2_iSC_SC_,"axG",@progbits,_Z39paged_attention_ll4mi_QKV_mfma16_kernelIDF16_hLN4vllm18Fp8KVCacheDataTypeE1EDF16_Li32ELi64ELi256ELb1ELi16EL8MFMAType1EEvPKT_PKT0_S8_ifPKiSA_SA_iPKfiiiPfSD_PS3_PT2_iSC_SC_,comdat
	.protected	_Z39paged_attention_ll4mi_QKV_mfma16_kernelIDF16_hLN4vllm18Fp8KVCacheDataTypeE1EDF16_Li32ELi64ELi256ELb1ELi16EL8MFMAType1EEvPKT_PKT0_S8_ifPKiSA_SA_iPKfiiiPfSD_PS3_PT2_iSC_SC_ ; -- Begin function _Z39paged_attention_ll4mi_QKV_mfma16_kernelIDF16_hLN4vllm18Fp8KVCacheDataTypeE1EDF16_Li32ELi64ELi256ELb1ELi16EL8MFMAType1EEvPKT_PKT0_S8_ifPKiSA_SA_iPKfiiiPfSD_PS3_PT2_iSC_SC_
	.globl	_Z39paged_attention_ll4mi_QKV_mfma16_kernelIDF16_hLN4vllm18Fp8KVCacheDataTypeE1EDF16_Li32ELi64ELi256ELb1ELi16EL8MFMAType1EEvPKT_PKT0_S8_ifPKiSA_SA_iPKfiiiPfSD_PS3_PT2_iSC_SC_
	.p2align	8
	.type	_Z39paged_attention_ll4mi_QKV_mfma16_kernelIDF16_hLN4vllm18Fp8KVCacheDataTypeE1EDF16_Li32ELi64ELi256ELb1ELi16EL8MFMAType1EEvPKT_PKT0_S8_ifPKiSA_SA_iPKfiiiPfSD_PS3_PT2_iSC_SC_,@function
_Z39paged_attention_ll4mi_QKV_mfma16_kernelIDF16_hLN4vllm18Fp8KVCacheDataTypeE1EDF16_Li32ELi64ELi256ELb1ELi16EL8MFMAType1EEvPKT_PKT0_S8_ifPKiSA_SA_iPKfiiiPfSD_PS3_PT2_iSC_SC_: ; @_Z39paged_attention_ll4mi_QKV_mfma16_kernelIDF16_hLN4vllm18Fp8KVCacheDataTypeE1EDF16_Li32ELi64ELi256ELb1ELi16EL8MFMAType1EEvPKT_PKT0_S8_ifPKiSA_SA_iPKfiiiPfSD_PS3_PT2_iSC_SC_
; %bb.0:
	s_load_b64 s[2:3], s[0:1], 0x30
	s_mov_b32 s34, s13
	s_waitcnt lgkmcnt(0)
	s_cmp_lg_u64 s[2:3], 0
	s_cselect_b32 s8, -1, 0
	s_ashr_i32 s35, s13, 31
	s_cmp_eq_u64 s[2:3], 0
	s_cbranch_scc1 .LBB905_3
; %bb.1:
	s_lshl_b64 s[4:5], s[34:35], 2
	s_delay_alu instid0(SALU_CYCLE_1) | instskip(SKIP_4) | instid1(SALU_CYCLE_1)
	s_add_u32 s4, s2, s4
	s_addc_u32 s5, s3, s5
	s_load_b64 s[4:5], s[4:5], 0x0
	s_waitcnt lgkmcnt(0)
	s_sub_i32 s4, s5, s4
	s_cmp_eq_u32 s4, 1
	s_cselect_b32 s4, -1, 0
	s_delay_alu instid0(SALU_CYCLE_1)
	s_and_not1_b32 vcc_lo, exec_lo, s4
	s_cbranch_vccz .LBB905_4
.LBB905_2:
	s_endpgm
.LBB905_3:
.LBB905_4:
	s_load_b64 s[4:5], s[0:1], 0x28
	s_lshl_b64 s[6:7], s[34:35], 2
	s_waitcnt lgkmcnt(0)
	s_add_u32 s4, s4, s6
	s_addc_u32 s5, s5, s7
	s_lshl_b32 s12, s14, 8
	s_load_b32 s24, s[4:5], 0x0
	s_waitcnt lgkmcnt(0)
	s_cmp_ge_i32 s12, s24
	s_cbranch_scc1 .LBB905_2
; %bb.5:
	s_clause 0x1
	s_load_b128 s[20:23], s[0:1], 0x8
	s_load_b64 s[4:5], s[0:1], 0x20
	s_and_not1_b32 vcc_lo, exec_lo, s8
	s_cbranch_vccnz .LBB905_7
; %bb.6:
	s_add_u32 s2, s2, s6
	s_addc_u32 s3, s3, s7
	s_load_b32 s3, s[2:3], 0x0
	s_branch .LBB905_8
.LBB905_7:
	s_mov_b32 s3, s34
.LBB905_8:
	s_load_b128 s[16:19], s[0:1], 0x48
	v_and_b32_e32 v70, 15, v0
	v_cmp_gt_u32_e32 vcc_lo, 0x100, v0
	v_lshrrev_b32_e32 v69, 5, v0
	v_and_b32_e32 v71, 31, v0
	v_and_b32_e32 v67, 1, v0
	v_lshlrev_b32_e32 v1, 3, v70
	v_cmp_gt_u32_e64 s2, 8, v70
	v_bfe_u32 v66, v0, 4, 1
	s_lshl_b32 s31, s15, 4
	s_delay_alu instid0(VALU_DEP_3) | instskip(NEXT) | instid1(VALU_DEP_3)
	v_lshlrev_b32_e32 v65, 1, v1
	s_and_b32 s7, vcc_lo, s2
	s_delay_alu instid0(SALU_CYCLE_1)
	s_and_saveexec_b32 s6, s7
	s_cbranch_execz .LBB905_10
; %bb.9:
	v_lshl_or_b32 v5, v69, 1, v66
	s_load_b64 s[8:9], s[0:1], 0x0
	s_waitcnt lgkmcnt(0)
	s_mul_hi_i32 s11, s3, s16
	s_mul_i32 s10, s3, s16
	v_lshlrev_b32_e32 v6, 10, v70
	v_or_b32_e32 v1, s31, v5
	s_lshl_b64 s[10:11], s[10:11], 1
	v_lshlrev_b32_e32 v5, 6, v5
	v_lshlrev_b32_e32 v7, 10, v67
	v_and_b32_e32 v6, 0x3800, v6
	v_lshlrev_b32_e32 v1, 6, v1
	s_delay_alu instid0(VALU_DEP_2) | instskip(NEXT) | instid1(VALU_DEP_2)
	v_or3_b32 v5, v6, v7, v5
	v_ashrrev_i32_e32 v2, 31, v1
	s_delay_alu instid0(VALU_DEP_1) | instskip(SKIP_2) | instid1(VALU_DEP_1)
	v_lshlrev_b64 v[1:2], 1, v[1:2]
	s_add_u32 s3, s8, s10
	s_addc_u32 s7, s9, s11
	v_add_co_u32 v1, vcc_lo, s3, v1
	s_delay_alu instid0(VALU_DEP_2) | instskip(NEXT) | instid1(VALU_DEP_2)
	v_add_co_ci_u32_e32 v2, vcc_lo, s7, v2, vcc_lo
	v_add_co_u32 v1, vcc_lo, v1, v65
	s_delay_alu instid0(VALU_DEP_2)
	v_add_co_ci_u32_e32 v2, vcc_lo, 0, v2, vcc_lo
	global_load_b128 v[1:4], v[1:2], off
	s_waitcnt vmcnt(0)
	ds_store_b128 v5, v[1:4]
.LBB905_10:
	s_or_b32 exec_lo, exec_lo, s6
	v_and_b32_e32 v1, 0xef, v0
	s_waitcnt lgkmcnt(0)
	s_add_i32 s3, s24, 31
	s_clause 0x1
	s_load_b32 s6, s[0:1], 0x38
	s_load_b32 s33, s[0:1], 0x98
	s_ashr_i32 s7, s3, 31
	v_add_nc_u32_e32 v1, s12, v1
	s_lshr_b32 s7, s7, 27
	s_load_b32 s19, s[0:1], 0x1c
	s_add_i32 s3, s3, s7
	s_waitcnt lgkmcnt(0)
	v_ashrrev_i32_e32 v2, 31, v1
	v_or_b32_e32 v3, 16, v1
	s_ashr_i32 s3, s3, 5
	v_cmp_gt_i32_e32 vcc_lo, s24, v1
	s_add_i32 s3, s3, -1
	v_lshrrev_b32_e32 v2, 27, v2
	s_barrier
	buffer_gl0_inv
	s_mul_i32 s27, s15, s18
	v_add_nc_u32_e32 v4, v1, v2
	s_mul_i32 s6, s34, s6
	s_delay_alu instid0(SALU_CYCLE_1) | instskip(NEXT) | instid1(VALU_DEP_1)
	s_ashr_i32 s7, s6, 31
	v_ashrrev_i32_e32 v4, 5, v4
	v_add_nc_u32_e32 v2, v3, v2
	s_lshl_b64 s[6:7], s[6:7], 2
	s_delay_alu instid0(SALU_CYCLE_1) | instskip(NEXT) | instid1(VALU_DEP_2)
	s_add_u32 s26, s4, s6
	v_cndmask_b32_e32 v1, s3, v4, vcc_lo
	s_delay_alu instid0(VALU_DEP_2)
	v_ashrrev_i32_e32 v2, 5, v2
	v_cmp_gt_i32_e32 vcc_lo, s24, v3
	s_addc_u32 s25, s5, s7
	s_ashr_i32 s28, s27, 31
	s_add_u32 s4, s20, s27
	s_addc_u32 s5, s21, s28
	v_cndmask_b32_e32 v3, s3, v2, vcc_lo
	v_ashrrev_i32_e32 v2, 31, v1
	s_lshl_b32 s6, s14, 3
	s_delay_alu instid0(SALU_CYCLE_1) | instskip(NEXT) | instid1(VALU_DEP_2)
	s_ashr_i32 s7, s6, 31
	v_ashrrev_i32_e32 v4, 31, v3
	s_delay_alu instid0(VALU_DEP_2) | instskip(SKIP_1) | instid1(SALU_CYCLE_1)
	v_lshlrev_b64 v[1:2], 2, v[1:2]
	s_lshl_b64 s[6:7], s[6:7], 2
	s_add_u32 s6, s26, s6
	s_delay_alu instid0(VALU_DEP_2) | instskip(SKIP_1) | instid1(VALU_DEP_2)
	v_lshlrev_b64 v[3:4], 2, v[3:4]
	s_addc_u32 s7, s25, s7
	v_add_co_u32 v1, vcc_lo, s26, v1
	v_add_co_ci_u32_e32 v2, vcc_lo, s25, v2, vcc_lo
	s_delay_alu instid0(VALU_DEP_3) | instskip(NEXT) | instid1(VALU_DEP_4)
	v_add_co_u32 v3, vcc_lo, s26, v3
	v_add_co_ci_u32_e32 v4, vcc_lo, s25, v4, vcc_lo
	s_clause 0x1
	global_load_b32 v5, v[1:2], off
	global_load_b32 v6, v[3:4], off
	s_or_b32 s8, s12, 32
	s_delay_alu instid0(SALU_CYCLE_1) | instskip(SKIP_2) | instid1(SALU_CYCLE_1)
	s_ashr_i32 s9, s8, 5
	s_cmp_lt_i32 s8, s24
	s_cselect_b32 s8, s9, s3
	s_ashr_i32 s9, s8, 31
	s_delay_alu instid0(SALU_CYCLE_1) | instskip(NEXT) | instid1(SALU_CYCLE_1)
	s_lshl_b64 s[8:9], s[8:9], 2
	s_add_u32 s8, s26, s8
	s_addc_u32 s9, s25, s9
	s_or_b32 s10, s12, 64
	s_delay_alu instid0(SALU_CYCLE_1) | instskip(SKIP_2) | instid1(SALU_CYCLE_1)
	s_ashr_i32 s11, s10, 5
	s_cmp_lt_i32 s10, s24
	s_cselect_b32 s10, s11, s3
	s_ashr_i32 s11, s10, 31
	s_delay_alu instid0(SALU_CYCLE_1) | instskip(NEXT) | instid1(SALU_CYCLE_1)
	s_lshl_b64 s[10:11], s[10:11], 2
	s_add_u32 s10, s26, s10
	s_addc_u32 s11, s25, s11
	;; [unrolled: 10-line block ×5, first 2 shown]
	s_clause 0x5
	s_load_b32 s21, s[6:7], 0x0
	s_load_b32 s13, s[8:9], 0x0
	;; [unrolled: 1-line block ×6, first 2 shown]
	s_or_b32 s6, s12, 0xc0
	s_delay_alu instid0(SALU_CYCLE_1) | instskip(SKIP_2) | instid1(SALU_CYCLE_1)
	s_ashr_i32 s7, s6, 5
	s_cmp_lt_i32 s6, s24
	s_cselect_b32 s10, s7, s3
	s_ashr_i32 s11, s10, 31
	s_delay_alu instid0(SALU_CYCLE_1) | instskip(NEXT) | instid1(SALU_CYCLE_1)
	s_lshl_b64 s[10:11], s[10:11], 2
	s_add_u32 s36, s26, s10
	s_addc_u32 s37, s25, s11
	s_or_b32 s11, s12, 0xe0
	s_delay_alu instid0(SALU_CYCLE_1) | instskip(SKIP_2) | instid1(SALU_CYCLE_1)
	s_ashr_i32 s29, s11, 5
	s_cmp_lt_i32 s11, s24
	s_cselect_b32 s38, s29, s3
	s_ashr_i32 s39, s38, 31
	s_waitcnt vmcnt(1)
	v_mad_i64_i32 v[1:2], null, v5, s17, s[4:5]
	s_waitcnt vmcnt(0)
	v_mad_i64_i32 v[3:4], null, v6, s17, s[4:5]
	s_mov_b32 s4, 0
	s_delay_alu instid0(SALU_CYCLE_1)
	s_mov_b32 s5, s4
	s_mov_b32 s6, s4
	s_mov_b32 s7, s4
	s_mov_b32 s8, s4
	s_mov_b32 s9, s4
	s_mov_b32 s10, s4
	s_mov_b32 s11, s4
	v_lshlrev_b32_e32 v5, 4, v70
	v_dual_mov_b32 v103, s11 :: v_dual_mov_b32 v98, s6
	v_dual_mov_b32 v101, s9 :: v_dual_lshlrev_b32 v68, 6, v70
	s_delay_alu instid0(VALU_DEP_3)
	v_add_co_u32 v1, vcc_lo, v1, v5
	v_add_co_ci_u32_e32 v2, vcc_lo, 0, v2, vcc_lo
	v_add_co_u32 v3, vcc_lo, v3, v5
	v_add_co_ci_u32_e32 v4, vcc_lo, 0, v4, vcc_lo
	s_clause 0x7
	global_load_b128 v[57:60], v[1:2], off
	global_load_b128 v[61:64], v[1:2], off offset:512
	global_load_b128 v[72:75], v[3:4], off offset:256
	;; [unrolled: 1-line block ×7, first 2 shown]
	v_dual_mov_b32 v96, s4 :: v_dual_lshlrev_b32 v1, 5, v70
	v_mov_b32_e32 v102, s10
	v_dual_mov_b32 v100, s8 :: v_dual_mov_b32 v99, s7
	v_mov_b32_e32 v97, s5
	s_lshl_b64 s[4:5], s[38:39], 2
	v_lshl_or_b32 v1, v69, 9, v1
	s_add_u32 s4, s26, s4
	s_addc_u32 s5, s25, s5
	s_load_b32 s3, s[36:37], 0x0
	ds_load_b128 v[104:107], v68
	ds_load_b128 v[108:111], v68 offset:1024
	s_load_b32 s4, s[4:5], 0x0
	s_add_u32 s6, s22, s27
	s_addc_u32 s7, s23, s28
	v_add_co_u32 v17, s6, s6, v1
	s_delay_alu instid0(VALU_DEP_1) | instskip(SKIP_1) | instid1(VALU_DEP_1)
	v_add_co_ci_u32_e64 v18, null, s7, 0, s6
	s_waitcnt lgkmcnt(0)
	v_mad_i64_i32 v[1:2], null, s21, s17, v[17:18]
	v_mad_i64_i32 v[3:4], null, s13, s17, v[17:18]
	;; [unrolled: 1-line block ×7, first 2 shown]
	s_clause 0x9
	global_load_b128 v[49:52], v[1:2], off
	global_load_b128 v[53:56], v[1:2], off offset:16
	global_load_b128 v[41:44], v[3:4], off
	global_load_b128 v[45:48], v[3:4], off offset:16
	;; [unrolled: 2-line block ×5, first 2 shown]
	v_mad_i64_i32 v[120:121], null, s4, s17, v[17:18]
	s_clause 0x3
	global_load_b128 v[17:20], v[21:22], off
	global_load_b128 v[21:24], v[21:22], off offset:16
	global_load_b128 v[25:28], v[29:30], off
	global_load_b128 v[29:32], v[29:30], off offset:16
	s_waitcnt vmcnt(20)
	v_wmma_f32_16x16x16_f16 v[112:119], v[57:64], v[104:111], v[96:103]
	s_clause 0x1
	global_load_b128 v[57:60], v[120:121], off
	global_load_b128 v[61:64], v[120:121], off offset:16
	s_waitcnt vmcnt(20)
	v_wmma_f32_16x16x16_f16 v[96:103], v[72:79], v[104:111], v[96:103]
	ds_load_b128 v[72:75], v68 offset:2048
	ds_load_b128 v[76:79], v68 offset:3072
	v_and_b32_e32 v104, 0xe0, v0
	v_mbcnt_lo_u32_b32 v105, -1, 0
	s_waitcnt vmcnt(0) lgkmcnt(0)
	s_barrier
	buffer_gl0_inv
	v_add_nc_u32_e32 v104, s12, v104
	v_xor_b32_e32 v106, 16, v105
	s_delay_alu instid0(VALU_DEP_2) | instskip(NEXT) | instid1(VALU_DEP_2)
	v_or_b32_e32 v104, v104, v66
	v_cmp_gt_i32_e32 vcc_lo, 32, v106
	s_delay_alu instid0(VALU_DEP_2)
	v_or_b32_e32 v107, 4, v104
	v_or_b32_e32 v108, 6, v104
	v_cmp_gt_i32_e64 s3, s24, v104
	v_or_b32_e32 v109, 8, v104
	v_wmma_f32_16x16x16_f16 v[112:119], v[80:87], v[72:79], v[112:119]
	v_cndmask_b32_e32 v105, v105, v106, vcc_lo
	v_or_b32_e32 v106, 2, v104
	v_wmma_f32_16x16x16_f16 v[96:103], v[88:95], v[72:79], v[96:103]
	v_or_b32_e32 v80, 10, v104
	v_dual_mul_f32 v78, s19, v116 :: v_dual_mul_f32 v79, s19, v115
	v_dual_mul_f32 v90, s19, v112 :: v_dual_mul_f32 v89, s19, v113
	s_delay_alu instid0(VALU_DEP_4) | instskip(SKIP_2) | instid1(VALU_DEP_4)
	v_mul_f32_e32 v92, s19, v102
	v_cmp_gt_i32_e32 vcc_lo, s24, v106
	v_dual_mul_f32 v77, s19, v117 :: v_dual_mul_f32 v88, s19, v114
	v_cndmask_b32_e64 v90, 0xff7fffff, v90, s3
	v_cmp_gt_i32_e64 s4, s24, v107
	v_cndmask_b32_e32 v89, 0xff7fffff, v89, vcc_lo
	v_cmp_gt_i32_e64 s5, s24, v108
	v_or_b32_e32 v81, 12, v104
	v_or_b32_e32 v82, 14, v104
	v_cndmask_b32_e64 v88, 0xff7fffff, v88, s4
	v_max3_f32 v89, v90, 0xff7fffff, v89
	v_cndmask_b32_e64 v79, 0xff7fffff, v79, s5
	v_cmp_gt_i32_e64 s6, s24, v109
	v_cmp_gt_i32_e64 s7, s24, v80
	v_or_b32_e32 v83, 16, v104
	v_or_b32_e32 v84, 18, v104
	v_dual_mul_f32 v75, s19, v119 :: v_dual_mul_f32 v76, s19, v118
	v_cndmask_b32_e64 v78, 0xff7fffff, v78, s6
	v_cndmask_b32_e64 v77, 0xff7fffff, v77, s7
	v_max3_f32 v79, v89, v88, v79
	v_cmp_gt_i32_e64 s8, s24, v81
	v_cmp_gt_i32_e64 s9, s24, v82
	v_or_b32_e32 v85, 20, v104
	v_or_b32_e32 v86, 22, v104
	;; [unrolled: 1-line block ×6, first 2 shown]
	v_dual_mul_f32 v95, s19, v99 :: v_dual_mul_f32 v104, s19, v97
	v_mul_f32_e32 v107, s19, v96
	v_cndmask_b32_e64 v76, 0xff7fffff, v76, s8
	v_cndmask_b32_e64 v75, 0xff7fffff, v75, s9
	v_max3_f32 v77, v79, v78, v77
	v_cmp_gt_i32_e64 s10, s24, v83
	v_cmp_gt_i32_e64 s11, s24, v84
	v_dual_mul_f32 v93, s19, v101 :: v_dual_mul_f32 v106, s19, v98
	s_delay_alu instid0(VALU_DEP_4) | instskip(NEXT) | instid1(VALU_DEP_4)
	v_max3_f32 v75, v77, v76, v75
	v_cndmask_b32_e64 v78, 0xff7fffff, v107, s10
	s_delay_alu instid0(VALU_DEP_4) | instskip(SKIP_3) | instid1(VALU_DEP_4)
	v_cndmask_b32_e64 v79, 0xff7fffff, v104, s11
	v_cmp_gt_i32_e64 s12, s24, v85
	v_cmp_gt_i32_e64 s13, s24, v86
	v_dual_mul_f32 v91, s19, v103 :: v_dual_mul_f32 v94, s19, v100
	v_max3_f32 v75, v75, v78, v79
	s_delay_alu instid0(VALU_DEP_4) | instskip(NEXT) | instid1(VALU_DEP_4)
	v_cndmask_b32_e64 v76, 0xff7fffff, v106, s12
	v_cndmask_b32_e64 v77, 0xff7fffff, v95, s13
	v_cmp_gt_i32_e64 s15, s24, v87
	v_cmp_gt_i32_e64 s16, s24, v72
	v_cmp_gt_i32_e64 s17, s24, v73
	v_cmp_gt_i32_e64 s18, s24, v74
	v_max3_f32 v75, v75, v76, v77
	v_cndmask_b32_e64 v78, 0xff7fffff, v94, s15
	v_cndmask_b32_e64 v72, 0xff7fffff, v93, s16
	;; [unrolled: 1-line block ×4, first 2 shown]
	s_delay_alu instid0(VALU_DEP_3) | instskip(SKIP_1) | instid1(VALU_DEP_2)
	v_max3_f32 v72, v75, v78, v72
	v_lshlrev_b32_e32 v75, 2, v105
	v_max3_f32 v72, v72, v73, v74
	ds_bpermute_b32 v73, v75, v72
	s_waitcnt lgkmcnt(0)
	v_max_f32_e32 v73, v73, v73
	s_delay_alu instid0(VALU_DEP_1) | instskip(NEXT) | instid1(VALU_DEP_1)
	v_max_f32_e32 v72, v72, v73
	v_fma_f32 v76, s19, v114, -v72
	v_fma_f32 v73, s19, v112, -v72
	;; [unrolled: 1-line block ×5, first 2 shown]
	v_mul_f32_e32 v76, 0x3fb8aa3b, v76
	v_fma_f32 v82, s19, v118, -v72
	v_mul_f32_e32 v74, 0x3fb8aa3b, v74
	v_fma_f32 v86, s19, v99, -v72
	v_fma_f32 v91, s19, v103, -v72
	v_exp_f32_e32 v76, v76
	v_mul_f32_e32 v82, 0x3fb8aa3b, v82
	v_exp_f32_e32 v74, v74
	v_mul_f32_e32 v88, 0x3fb8aa3b, v86
	v_fma_f32 v89, s19, v101, -v72
	s_delay_alu instid0(VALU_DEP_3) | instskip(NEXT) | instid1(VALU_DEP_2)
	v_exp_f32_e32 v84, v82
	v_exp_f32_e32 v90, v88
	s_delay_alu instid0(VALU_DEP_1)
	v_mul_f32_e32 v89, 0x3fb8aa3b, v89
	v_cndmask_b32_e64 v80, 0, v76, s4
	v_mul_f32_e32 v73, 0x3fb8aa3b, v73
	v_fma_f32 v76, s19, v119, -v72
	v_mul_f32_e32 v77, 0x3fb8aa3b, v77
	v_exp_f32_e32 v89, v89
	s_delay_alu instid0(VALU_DEP_3) | instskip(NEXT) | instid1(VALU_DEP_2)
	v_exp_f32_e32 v73, v73
	v_mul_f32_e32 v76, 0x3fb8aa3b, v76
	s_delay_alu instid0(VALU_DEP_2) | instskip(SKIP_2) | instid1(VALU_DEP_3)
	v_exp_f32_e32 v81, v77
	v_cndmask_b32_e32 v77, 0, v74, vcc_lo
	v_cndmask_b32_e64 v84, 0, v84, s8
	v_exp_f32_e32 v76, v76
	v_cndmask_b32_e64 v89, 0, v89, s16
	s_delay_alu instid0(TRANS32_DEP_3) | instskip(SKIP_2) | instid1(VALU_DEP_2)
	v_cndmask_b32_e64 v78, 0, v73, s3
	v_fma_f32 v73, s19, v117, -v72
	s_mov_b32 s3, exec_lo
	v_dual_add_f32 v74, 0, v78 :: v_dual_mul_f32 v79, 0x3fb8aa3b, v79
	s_delay_alu instid0(VALU_DEP_2) | instskip(NEXT) | instid1(VALU_DEP_2)
	v_mul_f32_e32 v73, 0x3fb8aa3b, v73
	v_add_f32_e32 v74, v74, v77
	s_delay_alu instid0(VALU_DEP_3) | instskip(NEXT) | instid1(VALU_DEP_2)
	v_exp_f32_e32 v83, v79
	v_exp_f32_e32 v73, v73
	v_cndmask_b32_e64 v79, 0, v81, s5
	v_fma_f32 v81, s19, v96, -v72
	s_delay_alu instid0(VALU_DEP_1) | instskip(NEXT) | instid1(VALU_DEP_1)
	v_dual_add_f32 v74, v74, v80 :: v_dual_mul_f32 v85, 0x3fb8aa3b, v81
	v_add_f32_e32 v74, v74, v79
	s_waitcnt_depctr 0xfff
	v_cndmask_b32_e64 v82, 0, v83, s6
	v_fma_f32 v83, s19, v97, -v72
	v_cndmask_b32_e64 v81, 0, v73, s7
	v_exp_f32_e32 v85, v85
	s_delay_alu instid0(VALU_DEP_2) | instskip(NEXT) | instid1(VALU_DEP_1)
	v_mul_f32_e32 v83, 0x3fb8aa3b, v83
	v_exp_f32_e32 v87, v83
	v_cndmask_b32_e64 v83, 0, v76, s9
	v_fma_f32 v76, s19, v100, -v72
	v_add_f32_e32 v73, v74, v82
	v_fma_f32 v74, s19, v98, -v72
	s_delay_alu instid0(TRANS32_DEP_2) | instskip(NEXT) | instid1(VALU_DEP_4)
	v_cndmask_b32_e64 v86, 0, v85, s10
	v_mul_f32_e32 v76, 0x3fb8aa3b, v76
	s_delay_alu instid0(VALU_DEP_3) | instskip(NEXT) | instid1(TRANS32_DEP_1)
	v_mul_f32_e32 v74, 0x3fb8aa3b, v74
	v_cndmask_b32_e64 v85, 0, v87, s11
	v_fma_f32 v87, s19, v102, -v72
	v_add_f32_e32 v73, v73, v81
	v_exp_f32_e32 v76, v76
	v_exp_f32_e32 v74, v74
	s_waitcnt_depctr 0xfff
	v_cndmask_b32_e64 v88, 0, v74, s12
	v_dual_mul_f32 v74, 0x3fb8aa3b, v87 :: v_dual_add_f32 v73, v73, v84
	v_cndmask_b32_e64 v87, 0, v90, s13
	v_cndmask_b32_e64 v90, 0, v76, s15
	v_mul_f32_e32 v76, 0x3fb8aa3b, v91
	s_delay_alu instid0(VALU_DEP_4) | instskip(SKIP_1) | instid1(VALU_DEP_2)
	v_exp_f32_e32 v74, v74
	v_add_f32_e32 v73, v73, v83
	v_exp_f32_e32 v76, v76
	s_delay_alu instid0(VALU_DEP_1) | instskip(SKIP_4) | instid1(VALU_DEP_2)
	v_add_f32_e32 v73, v73, v86
	s_waitcnt_depctr 0xfff
	v_cndmask_b32_e64 v92, 0, v74, s17
	v_add_f32_e32 v73, v73, v85
	v_cndmask_b32_e64 v91, 0, v76, s18
	v_add_f32_e32 v73, v73, v88
	s_delay_alu instid0(VALU_DEP_1) | instskip(NEXT) | instid1(VALU_DEP_1)
	v_add_f32_e32 v73, v73, v87
	v_add_f32_e32 v73, v73, v90
	s_delay_alu instid0(VALU_DEP_1) | instskip(NEXT) | instid1(VALU_DEP_1)
	v_add_f32_e32 v73, v73, v89
	v_add_f32_e32 v73, v73, v92
	s_delay_alu instid0(VALU_DEP_1)
	v_add_f32_e32 v73, v73, v91
	ds_bpermute_b32 v74, v75, v73
	v_cmpx_gt_u32_e32 16, v71
	s_cbranch_execz .LBB905_12
; %bb.11:
	v_mul_u32_u24_e32 v71, 0x44, v69
	s_waitcnt lgkmcnt(0)
	v_add_f32_e32 v73, v73, v74
	s_delay_alu instid0(VALU_DEP_2) | instskip(NEXT) | instid1(VALU_DEP_1)
	v_lshl_add_u32 v71, v70, 2, v71
	v_add_nc_u32_e32 v71, 0x4000, v71
	ds_store_2addr_b32 v71, v72, v73 offset1:136
.LBB905_12:
	s_or_b32 exec_lo, exec_lo, s3
	v_lshlrev_b32_e32 v70, 2, v70
	s_load_b32 s35, s[0:1], 0x94
	s_waitcnt lgkmcnt(0)
	s_barrier
	buffer_gl0_inv
	v_add_nc_u32_e32 v74, 0x4000, v70
	v_cmp_eq_u32_e32 vcc_lo, 1, v69
	v_cmp_eq_u32_e64 s3, 2, v69
	v_cmp_eq_u32_e64 s4, 3, v69
	;; [unrolled: 1-line block ×3, first 2 shown]
	ds_load_2addr_b32 v[70:71], v74 offset1:17
	ds_load_2addr_b32 v[72:73], v74 offset0:34 offset1:51
	ds_load_2addr_b32 v[93:94], v74 offset0:68 offset1:85
	;; [unrolled: 1-line block ×3, first 2 shown]
	v_cmp_eq_u32_e64 s6, 7, v69
	s_waitcnt lgkmcnt(3)
	v_max3_f32 v75, v70, 0xff7fffff, v71
	s_waitcnt lgkmcnt(2)
	s_delay_alu instid0(VALU_DEP_1) | instskip(SKIP_1) | instid1(VALU_DEP_1)
	v_max3_f32 v75, v75, v72, v73
	s_waitcnt lgkmcnt(1)
	v_max3_f32 v75, v75, v93, v94
	s_waitcnt lgkmcnt(0)
	s_delay_alu instid0(VALU_DEP_1) | instskip(NEXT) | instid1(VALU_DEP_1)
	v_max3_f32 v75, v75, v95, v96
	v_sub_f32_e32 v93, v93, v75
	ds_load_2addr_b32 v[97:98], v74 offset0:136 offset1:153
	v_sub_f32_e32 v70, v70, v75
	v_dual_sub_f32 v100, v73, v75 :: v_dual_mul_f32 v103, 0x3fb8aa3b, v93
	s_delay_alu instid0(VALU_DEP_2) | instskip(SKIP_3) | instid1(VALU_DEP_1)
	v_dual_sub_f32 v76, v71, v75 :: v_dual_mul_f32 v99, 0x3fb8aa3b, v70
	ds_load_2addr_b32 v[70:71], v74 offset0:170 offset1:187
	v_mul_f32_e32 v76, 0x3fb8aa3b, v76
	v_exp_f32_e32 v99, v99
	v_exp_f32_e32 v102, v76
	v_mul_f32_e32 v100, 0x3fb8aa3b, v100
	s_waitcnt lgkmcnt(1)
	s_waitcnt_depctr 0xfff
	v_fma_f32 v76, v99, v97, 0
	v_sub_f32_e32 v97, v94, v75
	v_sub_f32_e32 v72, v72, v75
	v_exp_f32_e32 v100, v100
	ds_load_2addr_b32 v[93:94], v74 offset0:238 offset1:255
	v_dual_fmac_f32 v76, v102, v98 :: v_dual_mul_f32 v101, 0x3fb8aa3b, v72
	ds_load_2addr_b32 v[72:73], v74 offset0:204 offset1:221
	v_dual_sub_f32 v74, v95, v75 :: v_dual_mul_f32 v95, 0x3fb8aa3b, v97
	v_exp_f32_e32 v97, v103
	v_exp_f32_e32 v101, v101
	s_waitcnt lgkmcnt(0)
	s_delay_alu instid0(VALU_DEP_1)
	v_mul_f32_e32 v74, 0x3fb8aa3b, v74
	v_exp_f32_e32 v95, v95
	s_barrier
	buffer_gl0_inv
	v_fmac_f32_e32 v76, v101, v70
	v_sub_f32_e32 v70, v96, v75
	v_exp_f32_e32 v96, v74
	s_delay_alu instid0(VALU_DEP_2) | instskip(NEXT) | instid1(VALU_DEP_2)
	v_fmac_f32_e32 v76, v100, v71
	v_mul_f32_e32 v70, 0x3fb8aa3b, v70
	s_delay_alu instid0(VALU_DEP_2) | instskip(NEXT) | instid1(VALU_DEP_2)
	v_dual_cndmask_b32 v71, v99, v102 :: v_dual_fmac_f32 v76, v97, v72
	v_exp_f32_e32 v98, v70
	s_delay_alu instid0(VALU_DEP_1) | instskip(SKIP_2) | instid1(VALU_DEP_1)
	v_fmac_f32_e32 v76, v95, v73
	s_waitcnt_depctr 0xfff
	v_fmac_f32_e32 v76, v96, v93
	v_fmac_f32_e32 v76, v98, v94
	s_delay_alu instid0(VALU_DEP_1) | instskip(NEXT) | instid1(VALU_DEP_1)
	v_add_f32_e32 v93, 0x358637bd, v76
	v_div_scale_f32 v94, null, v93, v93, 1.0
	v_div_scale_f32 v99, vcc_lo, 1.0, v93, 1.0
	s_delay_alu instid0(VALU_DEP_2) | instskip(SKIP_2) | instid1(VALU_DEP_1)
	v_rcp_f32_e32 v103, v94
	s_waitcnt_depctr 0xfff
	v_fma_f32 v70, -v94, v103, 1.0
	v_fmac_f32_e32 v103, v70, v103
	v_cndmask_b32_e64 v70, v71, v101, s3
	v_cmp_eq_u32_e64 s3, 4, v69
	v_lshlrev_b32_e32 v71, 2, v66
	s_delay_alu instid0(VALU_DEP_4) | instskip(NEXT) | instid1(VALU_DEP_4)
	v_mul_f32_e32 v101, v99, v103
	v_cndmask_b32_e64 v72, v70, v100, s4
	v_cmp_eq_u32_e64 s4, 6, v69
	v_lshl_or_b32 v70, v69, 11, v68
	v_or_b32_e32 v74, 1, v71
	v_fma_f32 v73, -v94, v101, v99
	v_cndmask_b32_e64 v72, v72, v97, s3
	v_cmp_eq_u32_e64 s3, 1, v71
	v_lshl_or_b32 v69, v66, 4, v70
	v_cmp_eq_u32_e64 s9, 1, v74
	v_fmac_f32_e32 v101, v73, v103
	v_cndmask_b32_e64 v95, v72, v95, s5
	v_or_b32_e32 v72, 2, v71
	v_or_b32_e32 v73, 3, v71
	v_cmp_eq_u32_e64 s12, 2, v74
	v_fma_f32 v94, -v94, v101, v99
	v_cndmask_b32_e64 v95, v95, v96, s4
	v_cmp_eq_u32_e64 s10, 1, v72
	v_cmp_eq_u32_e64 s11, 1, v73
	;; [unrolled: 1-line block ×3, first 2 shown]
	v_div_fmas_f32 v94, v94, v103, v101
	v_cndmask_b32_e64 v95, v95, v98, s6
	v_cmp_eq_u32_e32 vcc_lo, 2, v71
	v_cmp_eq_u32_e64 s16, 2, v73
	v_cmp_eq_u32_e64 s18, 3, v73
	v_div_fixup_f32 v93, v94, v93, 1.0
	v_cmp_eq_u32_e64 s4, 3, v71
	v_cmp_eq_u32_e64 s13, 3, v74
	;; [unrolled: 1-line block ×4, first 2 shown]
	v_mul_f32_e32 v101, v95, v93
	v_cmp_eq_u32_e64 s5, 4, v71
	v_cmp_eq_u32_e64 s19, 4, v74
	;; [unrolled: 1-line block ×4, first 2 shown]
	v_fma_mixlo_f16 v93, v101, v78, 0
	v_fma_mixlo_f16 v94, v101, v80, 0
	;; [unrolled: 1-line block ×8, first 2 shown]
	v_fma_mixhi_f16 v93, v101, v77, 0
	v_fma_mixhi_f16 v94, v101, v79, 0
	;; [unrolled: 1-line block ×8, first 2 shown]
	ds_store_b128 v69, v[93:96]
	ds_store_b128 v69, v[97:100] offset:1024
	s_waitcnt lgkmcnt(0)
	s_barrier
	buffer_gl0_inv
	ds_load_b128 v[77:80], v70
	ds_load_b128 v[81:84], v70 offset:16
	ds_load_b128 v[85:88], v70 offset:1024
	;; [unrolled: 1-line block ×3, first 2 shown]
	v_cmp_eq_u32_e64 s6, 5, v71
	v_cmp_eq_u32_e64 s20, 5, v74
	v_cmp_eq_u32_e64 s23, 5, v72
	v_cmp_eq_u32_e64 s27, 6, v73
	v_cmp_eq_u32_e64 s7, 6, v71
	v_cmp_eq_u32_e64 s25, 6, v74
	v_cmp_eq_u32_e64 s26, 6, v72
	v_cmp_eq_u32_e64 s29, 7, v73
	v_cmp_eq_u32_e64 s8, 7, v71
	v_cmp_eq_u32_e64 s28, 7, v72
	v_cmp_eq_u32_e64 s30, 7, v74
	s_waitcnt lgkmcnt(3)
	v_lshrrev_b32_e32 v93, 16, v77
	s_waitcnt lgkmcnt(2)
	v_lshrrev_b32_e32 v97, 16, v81
	;; [unrolled: 2-line block ×4, first 2 shown]
	v_lshrrev_b32_e32 v94, 16, v78
	v_cndmask_b32_e64 v109, v77, v93, s3
	v_cndmask_b32_e64 v110, v81, v97, s3
	;; [unrolled: 1-line block ×8, first 2 shown]
	v_lshrrev_b32_e32 v98, 16, v82
	v_cndmask_b32_e64 v93, v85, v101, s3
	v_cndmask_b32_e64 v97, v89, v105, s3
	;; [unrolled: 1-line block ×5, first 2 shown]
	v_cndmask_b32_e32 v101, v109, v78, vcc_lo
	v_cndmask_b32_e64 v109, v111, v78, s12
	v_cndmask_b32_e64 v111, v113, v78, s15
	;; [unrolled: 1-line block ×4, first 2 shown]
	v_lshrrev_b32_e32 v102, 16, v86
	v_lshrrev_b32_e32 v106, 16, v90
	v_cndmask_b32_e64 v116, v89, v105, s9
	v_cndmask_b32_e64 v118, v89, v105, s10
	v_cndmask_b32_e64 v89, v89, v105, s11
	v_cndmask_b32_e32 v105, v110, v82, vcc_lo
	v_cndmask_b32_e64 v110, v112, v82, s12
	v_cndmask_b32_e64 v112, v114, v82, s15
	v_cndmask_b32_e32 v81, v93, v86, vcc_lo
	v_cndmask_b32_e32 v82, v97, v90, vcc_lo
	v_cndmask_b32_e64 v93, v115, v86, s12
	v_cndmask_b32_e64 v77, v77, v94, s18
	;; [unrolled: 1-line block ×3, first 2 shown]
	v_lshrrev_b32_e32 v95, 16, v79
	v_lshrrev_b32_e32 v99, 16, v83
	v_cndmask_b32_e64 v97, v117, v86, s15
	v_cndmask_b32_e64 v85, v85, v86, s16
	;; [unrolled: 1-line block ×14, first 2 shown]
	v_lshrrev_b32_e32 v103, 16, v87
	v_cndmask_b32_e64 v89, v89, v79, s5
	v_cndmask_b32_e64 v94, v101, v83, s5
	;; [unrolled: 1-line block ×11, first 2 shown]
	v_lshrrev_b32_e32 v96, 16, v80
	v_lshrrev_b32_e32 v100, 16, v84
	v_cndmask_b32_e64 v83, v89, v95, s6
	v_cndmask_b32_e64 v89, v94, v99, s6
	;; [unrolled: 1-line block ×9, first 2 shown]
	v_lshrrev_b32_e32 v104, 16, v88
	v_cndmask_b32_e64 v79, v79, v103, s6
	v_cndmask_b32_e64 v83, v83, v80, s7
	;; [unrolled: 1-line block ×19, first 2 shown]
	v_perm_b32 v80, v78, v77, 0x5040100
	v_cndmask_b32_e64 v77, v116, v90, s12
	v_cndmask_b32_e64 v95, v79, v104, s8
	v_perm_b32 v79, v93, v89, 0x5040100
	v_perm_b32 v78, v94, v84, 0x5040100
	v_cndmask_b32_e64 v84, v97, v102, s17
	v_cndmask_b32_e64 v85, v85, v102, s18
	v_cndmask_b32_e64 v86, v86, v106, s18
	v_cndmask_b32_e64 v89, v113, v106, s17
	v_cndmask_b32_e64 v77, v77, v106, s13
	v_lshrrev_b32_e32 v107, 16, v91
	v_cndmask_b32_e64 v84, v84, v87, s21
	v_cndmask_b32_e64 v85, v85, v87, s22
	;; [unrolled: 1-line block ×11, first 2 shown]
	v_lshrrev_b32_e32 v108, 16, v92
	v_cndmask_b32_e64 v81, v81, v92, s7
	v_cndmask_b32_e64 v84, v84, v88, s26
	;; [unrolled: 1-line block ×12, first 2 shown]
	v_perm_b32 v77, v83, v82, 0x5040100
	v_perm_b32 v84, v85, v84, 0x5040100
	;; [unrolled: 1-line block ×5, first 2 shown]
	s_lshl_b32 s8, s33, 4
	s_mov_b32 s3, exec_lo
	ds_store_b128 v69, v[77:80]
	ds_store_b128 v69, v[81:84] offset:1024
	v_cmpx_gt_u32_e32 16, v0
	s_cbranch_execz .LBB905_14
; %bb.13:
	v_or_b32_e32 v77, s31, v0
	s_load_b128 s[4:7], s[0:1], 0x58
	s_delay_alu instid0(VALU_DEP_1) | instskip(NEXT) | instid1(VALU_DEP_1)
	v_mad_u64_u32 v[78:79], null, s8, s34, v[77:78]
	v_mad_u64_u32 v[79:80], null, v78, s35, s[14:15]
	s_delay_alu instid0(VALU_DEP_1) | instskip(NEXT) | instid1(VALU_DEP_1)
	v_ashrrev_i32_e32 v80, 31, v79
	v_lshlrev_b64 v[77:78], 2, v[79:80]
	s_waitcnt lgkmcnt(0)
	s_delay_alu instid0(VALU_DEP_1) | instskip(NEXT) | instid1(VALU_DEP_2)
	v_add_co_u32 v79, vcc_lo, s6, v77
	v_add_co_ci_u32_e32 v80, vcc_lo, s7, v78, vcc_lo
	v_add_co_u32 v77, vcc_lo, s4, v77
	v_add_co_ci_u32_e32 v78, vcc_lo, s5, v78, vcc_lo
	global_store_b32 v[79:80], v75, off
	global_store_b32 v[77:78], v76, off
.LBB905_14:
	s_or_b32 exec_lo, exec_lo, s3
	s_waitcnt lgkmcnt(0)
	s_waitcnt_vscnt null, 0x0
	s_barrier
	buffer_gl0_inv
	ds_load_b128 v[83:86], v68
	ds_load_b128 v[87:90], v68 offset:16
	ds_load_b128 v[95:98], v68 offset:2064
	;; [unrolled: 1-line block ×5, first 2 shown]
	v_cmp_eq_u32_e32 vcc_lo, 1, v71
	v_mov_b32_e32 v75, 0
	ds_load_b128 v[111:114], v68 offset:6160
	ds_load_b128 v[107:110], v68 offset:6144
	;; [unrolled: 1-line block ×4, first 2 shown]
	v_cmp_eq_u32_e64 s4, 1, v72
	v_cmp_eq_u32_e64 s3, 1, v74
	;; [unrolled: 1-line block ×3, first 2 shown]
	v_mov_b32_e32 v76, v75
	v_mov_b32_e32 v77, v75
	;; [unrolled: 1-line block ×7, first 2 shown]
	v_cmp_eq_u32_e64 s6, 3, v74
	v_cmp_eq_u32_e64 s7, 7, v74
	s_waitcnt lgkmcnt(8)
	s_delay_alu instid0(VALU_DEP_3)
	v_wmma_f32_16x16x16_f16 v[75:82], v[49:56], v[83:90], v[75:82]
	ds_load_b128 v[53:56], v68 offset:10256
	ds_load_b128 v[49:52], v68 offset:10240
	s_waitcnt lgkmcnt(8)
	v_wmma_f32_16x16x16_f16 v[75:82], v[41:48], v[91:98], v[75:82]
	ds_load_b128 v[45:48], v68 offset:12304
	ds_load_b128 v[41:44], v68 offset:12288
	s_waitcnt lgkmcnt(8)
	;; [unrolled: 4-line block ×3, first 2 shown]
	s_barrier
	buffer_gl0_inv
	v_wmma_f32_16x16x16_f16 v[75:82], v[1:8], v[107:114], v[75:82]
	s_delay_alu instid0(VALU_DEP_1) | instskip(NEXT) | instid1(VALU_DEP_1)
	v_wmma_f32_16x16x16_f16 v[75:82], v[9:16], v[115:122], v[75:82]
	v_wmma_f32_16x16x16_f16 v[75:82], v[17:24], v[49:56], v[75:82]
	s_delay_alu instid0(VALU_DEP_1) | instskip(NEXT) | instid1(VALU_DEP_1)
	v_wmma_f32_16x16x16_f16 v[75:82], v[25:32], v[41:48], v[75:82]
	v_wmma_f32_16x16x16_f16 v[75:82], v[57:64], v[33:40], v[75:82]
	s_delay_alu instid0(VALU_DEP_1) | instskip(NEXT) | instid1(VALU_DEP_2)
	v_cvt_f16_f32_e32 v1, v75
	v_cvt_f16_f32_e32 v2, v76
	s_delay_alu instid0(VALU_DEP_3) | instskip(NEXT) | instid1(VALU_DEP_4)
	v_cvt_f16_f32_e32 v3, v77
	v_cvt_f16_f32_e32 v4, v78
	v_cvt_f16_f32_e32 v5, v79
	v_cvt_f16_f32_e32 v6, v80
	v_cvt_f16_f32_e32 v7, v81
	v_cvt_f16_f32_e32 v8, v82
	v_pack_b32_f16 v1, v1, v2
	v_pack_b32_f16 v2, v3, v4
	;; [unrolled: 1-line block ×3, first 2 shown]
	s_delay_alu instid0(VALU_DEP_4)
	v_pack_b32_f16 v4, v7, v8
	ds_store_b128 v69, v[1:4]
	s_waitcnt lgkmcnt(0)
	s_barrier
	buffer_gl0_inv
	ds_load_b128 v[1:4], v70
	ds_load_b128 v[5:8], v70 offset:16
	s_waitcnt lgkmcnt(1)
	v_lshrrev_b32_e32 v9, 16, v1
	s_waitcnt lgkmcnt(0)
	v_lshrrev_b32_e32 v13, 16, v5
	v_lshrrev_b32_e32 v10, 16, v2
	;; [unrolled: 1-line block ×4, first 2 shown]
	v_cndmask_b32_e32 v17, v1, v9, vcc_lo
	v_cndmask_b32_e32 v18, v5, v13, vcc_lo
	v_cndmask_b32_e64 v21, v1, v9, s4
	v_cmp_eq_u32_e32 vcc_lo, 1, v73
	v_cndmask_b32_e64 v22, v5, v13, s4
	v_cmp_eq_u32_e64 s4, 2, v71
	v_cndmask_b32_e64 v19, v1, v9, s3
	v_cndmask_b32_e64 v20, v5, v13, s3
	v_cndmask_b32_e32 v1, v1, v9, vcc_lo
	v_cmp_eq_u32_e64 s3, 2, v73
	v_cndmask_b32_e32 v5, v5, v13, vcc_lo
	v_cndmask_b32_e64 v9, v17, v2, s4
	v_cmp_eq_u32_e32 vcc_lo, 3, v71
	v_cndmask_b32_e64 v13, v18, v6, s4
	v_cmp_eq_u32_e64 s4, 2, v72
	v_cndmask_b32_e64 v17, v19, v2, s5
	v_cndmask_b32_e64 v18, v20, v6, s5
	v_cmp_eq_u32_e64 s5, 3, v72
	v_cndmask_b32_e64 v1, v1, v2, s3
	v_cndmask_b32_e64 v19, v21, v2, s4
	;; [unrolled: 1-line block ×4, first 2 shown]
	v_cndmask_b32_e32 v5, v9, v10, vcc_lo
	v_cndmask_b32_e32 v6, v13, v14, vcc_lo
	v_cmp_eq_u32_e32 vcc_lo, 3, v73
	v_cndmask_b32_e64 v9, v17, v10, s6
	v_cndmask_b32_e64 v13, v18, v14, s6
	v_cndmask_b32_e64 v18, v20, v14, s5
	v_cmp_eq_u32_e64 s4, 4, v71
	v_cndmask_b32_e32 v1, v1, v10, vcc_lo
	v_cndmask_b32_e32 v2, v2, v14, vcc_lo
	v_cmp_eq_u32_e32 vcc_lo, 4, v74
	v_lshrrev_b32_e32 v15, 16, v7
	v_lshrrev_b32_e32 v16, 16, v8
	v_cndmask_b32_e64 v17, v19, v10, s5
	v_cmp_eq_u32_e64 s3, 4, v73
	v_cndmask_b32_e64 v5, v5, v3, s4
	v_cndmask_b32_e64 v6, v6, v7, s4
	v_cndmask_b32_e32 v9, v9, v3, vcc_lo
	v_cmp_eq_u32_e64 s4, 5, v74
	v_cndmask_b32_e32 v10, v13, v7, vcc_lo
	v_cmp_eq_u32_e32 vcc_lo, 4, v72
	v_cmp_eq_u32_e64 s5, 5, v71
	v_cndmask_b32_e64 v2, v2, v7, s3
	v_cndmask_b32_e64 v9, v9, v11, s4
	;; [unrolled: 1-line block ×3, first 2 shown]
	v_cndmask_b32_e32 v13, v17, v3, vcc_lo
	v_cmp_eq_u32_e64 s4, 5, v72
	v_cndmask_b32_e32 v14, v18, v7, vcc_lo
	v_cndmask_b32_e64 v1, v1, v3, s3
	v_cmp_eq_u32_e32 vcc_lo, 5, v73
	v_lshrrev_b32_e32 v12, 16, v4
	v_cndmask_b32_e64 v13, v13, v11, s4
	v_cndmask_b32_e64 v3, v14, v15, s4
	v_cmp_eq_u32_e64 s4, 6, v73
	v_cndmask_b32_e32 v1, v1, v11, vcc_lo
	v_cndmask_b32_e64 v5, v5, v11, s5
	v_cmp_eq_u32_e64 s6, 6, v71
	v_cndmask_b32_e64 v6, v6, v15, s5
	v_cmp_eq_u32_e64 s5, 6, v74
	v_cmp_eq_u32_e64 s3, 6, v72
	v_cndmask_b32_e64 v1, v1, v4, s4
	v_cndmask_b32_e32 v2, v2, v15, vcc_lo
	v_cmp_eq_u32_e32 vcc_lo, 7, v73
	v_cndmask_b32_e64 v5, v5, v4, s6
	v_cndmask_b32_e64 v9, v9, v4, s5
	;; [unrolled: 1-line block ×3, first 2 shown]
	v_cmp_eq_u32_e64 s6, 7, v71
	v_cndmask_b32_e32 v1, v1, v12, vcc_lo
	v_cndmask_b32_e64 v7, v13, v4, s3
	v_cndmask_b32_e64 v3, v3, v8, s3
	;; [unrolled: 1-line block ×3, first 2 shown]
	v_cmp_eq_u32_e64 s3, 7, v72
	v_cndmask_b32_e64 v4, v10, v8, s5
	v_cndmask_b32_e64 v5, v5, v12, s6
	;; [unrolled: 1-line block ×3, first 2 shown]
	v_cndmask_b32_e32 v2, v2, v16, vcc_lo
	v_cndmask_b32_e64 v7, v7, v12, s3
	v_cndmask_b32_e64 v3, v3, v16, s3
	;; [unrolled: 1-line block ×4, first 2 shown]
	v_cmp_gt_u32_e32 vcc_lo, 32, v0
	v_perm_b32 v4, v2, v1, 0x5040100
	v_perm_b32 v3, v3, v7, 0x5040100
	;; [unrolled: 1-line block ×4, first 2 shown]
	s_and_b32 s2, vcc_lo, s2
	ds_store_b128 v69, v[1:4]
	s_waitcnt lgkmcnt(0)
	s_barrier
	buffer_gl0_inv
	s_and_saveexec_b32 s3, s2
	s_cbranch_execz .LBB905_2
; %bb.15:
	s_load_b64 s[0:1], s[0:1], 0x68
	v_lshlrev_b32_e32 v0, 10, v0
	s_lshl_b32 s4, s35, 6
	v_or_b32_e32 v23, s31, v66
	s_mul_i32 s2, s4, s34
	v_lshlrev_b32_e32 v1, 4, v67
	v_lshlrev_b32_e32 v2, 6, v66
	s_mul_i32 s2, s2, s8
	v_and_b32_e32 v0, 0x3800, v0
	v_mul_lo_u32 v8, v23, s4
	s_ashr_i32 s3, s2, 31
	v_or_b32_e32 v3, 2, v23
	s_lshl_b64 s[2:3], s[2:3], 1
	v_or3_b32 v27, v0, v1, v2
	v_or_b32_e32 v11, 4, v23
	v_or_b32_e32 v18, 6, v23
	v_mul_lo_u32 v10, v3, s4
	v_ashrrev_i32_e32 v9, 31, v8
	ds_load_b128 v[0:3], v27
	ds_load_b128 v[4:7], v27 offset:128
	v_mul_lo_u32 v12, v11, s4
	s_waitcnt lgkmcnt(0)
	s_add_u32 s2, s0, s2
	s_addc_u32 s3, s1, s3
	s_lshl_b32 s0, s14, 6
	v_lshlrev_b64 v[8:9], 1, v[8:9]
	s_ashr_i32 s1, s0, 31
	v_ashrrev_i32_e32 v11, 31, v10
	s_lshl_b64 s[0:1], s[0:1], 1
	v_ashrrev_i32_e32 v13, 31, v12
	s_add_u32 s0, s2, s0
	s_addc_u32 s1, s3, s1
	v_add_co_u32 v30, s0, s0, v65
	s_delay_alu instid0(VALU_DEP_1) | instskip(SKIP_1) | instid1(VALU_DEP_3)
	v_add_co_ci_u32_e64 v31, null, s1, 0, s0
	v_lshlrev_b64 v[16:17], 1, v[10:11]
	v_add_co_u32 v14, vcc_lo, v30, v8
	s_delay_alu instid0(VALU_DEP_3)
	v_add_co_ci_u32_e32 v15, vcc_lo, v31, v9, vcc_lo
	ds_load_b128 v[8:11], v27 offset:256
	v_mul_lo_u32 v18, v18, s4
	v_or_b32_e32 v19, 8, v23
	v_add_co_u32 v16, vcc_lo, v30, v16
	global_store_b128 v[14:15], v[0:3], off
	v_lshlrev_b64 v[0:1], 1, v[12:13]
	v_add_co_ci_u32_e32 v17, vcc_lo, v31, v17, vcc_lo
	v_mul_lo_u32 v12, v19, s4
	v_ashrrev_i32_e32 v19, 31, v18
	v_or_b32_e32 v14, 10, v23
	global_store_b128 v[16:17], v[4:7], off
	v_add_co_u32 v4, vcc_lo, v30, v0
	v_add_co_ci_u32_e32 v5, vcc_lo, v31, v1, vcc_lo
	ds_load_b128 v[0:3], v27 offset:384
	v_ashrrev_i32_e32 v13, 31, v12
	v_lshlrev_b64 v[6:7], 1, v[18:19]
	v_mul_lo_u32 v14, v14, s4
	s_waitcnt lgkmcnt(1)
	global_store_b128 v[4:5], v[8:11], off
	v_or_b32_e32 v8, 12, v23
	v_lshlrev_b64 v[4:5], 1, v[12:13]
	v_add_co_u32 v20, vcc_lo, v30, v6
	v_or_b32_e32 v6, 14, v23
	v_ashrrev_i32_e32 v15, 31, v14
	v_mul_lo_u32 v22, v8, s4
	v_add_co_ci_u32_e32 v21, vcc_lo, v31, v7, vcc_lo
	v_add_co_u32 v24, vcc_lo, v30, v4
	v_mul_lo_u32 v26, v6, s4
	v_add_co_ci_u32_e32 v25, vcc_lo, v31, v5, vcc_lo
	v_lshlrev_b64 v[28:29], 1, v[14:15]
	ds_load_b128 v[4:7], v27 offset:512
	ds_load_b128 v[8:11], v27 offset:640
	;; [unrolled: 1-line block ×4, first 2 shown]
	v_ashrrev_i32_e32 v23, 31, v22
	v_ashrrev_i32_e32 v27, 31, v26
	v_add_co_u32 v28, vcc_lo, v30, v28
	s_delay_alu instid0(VALU_DEP_3) | instskip(SKIP_1) | instid1(VALU_DEP_4)
	v_lshlrev_b64 v[22:23], 1, v[22:23]
	v_add_co_ci_u32_e32 v29, vcc_lo, v31, v29, vcc_lo
	v_lshlrev_b64 v[26:27], 1, v[26:27]
	s_delay_alu instid0(VALU_DEP_3) | instskip(NEXT) | instid1(VALU_DEP_4)
	v_add_co_u32 v22, vcc_lo, v30, v22
	v_add_co_ci_u32_e32 v23, vcc_lo, v31, v23, vcc_lo
	s_delay_alu instid0(VALU_DEP_3) | instskip(NEXT) | instid1(VALU_DEP_4)
	v_add_co_u32 v26, vcc_lo, v30, v26
	v_add_co_ci_u32_e32 v27, vcc_lo, v31, v27, vcc_lo
	s_waitcnt lgkmcnt(4)
	global_store_b128 v[20:21], v[0:3], off
	s_waitcnt lgkmcnt(3)
	global_store_b128 v[24:25], v[4:7], off
	;; [unrolled: 2-line block ×5, first 2 shown]
	s_nop 0
	s_sendmsg sendmsg(MSG_DEALLOC_VGPRS)
	s_endpgm
	.section	.rodata,"a",@progbits
	.p2align	6, 0x0
	.amdhsa_kernel _Z39paged_attention_ll4mi_QKV_mfma16_kernelIDF16_hLN4vllm18Fp8KVCacheDataTypeE1EDF16_Li32ELi64ELi256ELb1ELi16EL8MFMAType1EEvPKT_PKT0_S8_ifPKiSA_SA_iPKfiiiPfSD_PS3_PT2_iSC_SC_
		.amdhsa_group_segment_fixed_size 17472
		.amdhsa_private_segment_fixed_size 0
		.amdhsa_kernarg_size 400
		.amdhsa_user_sgpr_count 13
		.amdhsa_user_sgpr_dispatch_ptr 0
		.amdhsa_user_sgpr_queue_ptr 0
		.amdhsa_user_sgpr_kernarg_segment_ptr 1
		.amdhsa_user_sgpr_dispatch_id 0
		.amdhsa_user_sgpr_private_segment_size 0
		.amdhsa_wavefront_size32 1
		.amdhsa_uses_dynamic_stack 0
		.amdhsa_enable_private_segment 0
		.amdhsa_system_sgpr_workgroup_id_x 1
		.amdhsa_system_sgpr_workgroup_id_y 1
		.amdhsa_system_sgpr_workgroup_id_z 1
		.amdhsa_system_sgpr_workgroup_info 0
		.amdhsa_system_vgpr_workitem_id 0
		.amdhsa_next_free_vgpr 123
		.amdhsa_next_free_sgpr 42
		.amdhsa_reserve_vcc 1
		.amdhsa_float_round_mode_32 0
		.amdhsa_float_round_mode_16_64 0
		.amdhsa_float_denorm_mode_32 3
		.amdhsa_float_denorm_mode_16_64 3
		.amdhsa_dx10_clamp 1
		.amdhsa_ieee_mode 1
		.amdhsa_fp16_overflow 0
		.amdhsa_workgroup_processor_mode 1
		.amdhsa_memory_ordered 1
		.amdhsa_forward_progress 0
		.amdhsa_shared_vgpr_count 0
		.amdhsa_exception_fp_ieee_invalid_op 0
		.amdhsa_exception_fp_denorm_src 0
		.amdhsa_exception_fp_ieee_div_zero 0
		.amdhsa_exception_fp_ieee_overflow 0
		.amdhsa_exception_fp_ieee_underflow 0
		.amdhsa_exception_fp_ieee_inexact 0
		.amdhsa_exception_int_div_zero 0
	.end_amdhsa_kernel
	.section	.text._Z39paged_attention_ll4mi_QKV_mfma16_kernelIDF16_hLN4vllm18Fp8KVCacheDataTypeE1EDF16_Li32ELi64ELi256ELb1ELi16EL8MFMAType1EEvPKT_PKT0_S8_ifPKiSA_SA_iPKfiiiPfSD_PS3_PT2_iSC_SC_,"axG",@progbits,_Z39paged_attention_ll4mi_QKV_mfma16_kernelIDF16_hLN4vllm18Fp8KVCacheDataTypeE1EDF16_Li32ELi64ELi256ELb1ELi16EL8MFMAType1EEvPKT_PKT0_S8_ifPKiSA_SA_iPKfiiiPfSD_PS3_PT2_iSC_SC_,comdat
.Lfunc_end905:
	.size	_Z39paged_attention_ll4mi_QKV_mfma16_kernelIDF16_hLN4vllm18Fp8KVCacheDataTypeE1EDF16_Li32ELi64ELi256ELb1ELi16EL8MFMAType1EEvPKT_PKT0_S8_ifPKiSA_SA_iPKfiiiPfSD_PS3_PT2_iSC_SC_, .Lfunc_end905-_Z39paged_attention_ll4mi_QKV_mfma16_kernelIDF16_hLN4vllm18Fp8KVCacheDataTypeE1EDF16_Li32ELi64ELi256ELb1ELi16EL8MFMAType1EEvPKT_PKT0_S8_ifPKiSA_SA_iPKfiiiPfSD_PS3_PT2_iSC_SC_
                                        ; -- End function
	.section	.AMDGPU.csdata,"",@progbits
; Kernel info:
; codeLenInByte = 6736
; NumSgprs: 44
; NumVgprs: 123
; ScratchSize: 0
; MemoryBound: 0
; FloatMode: 240
; IeeeMode: 1
; LDSByteSize: 17472 bytes/workgroup (compile time only)
; SGPRBlocks: 5
; VGPRBlocks: 15
; NumSGPRsForWavesPerEU: 44
; NumVGPRsForWavesPerEU: 123
; Occupancy: 10
; WaveLimiterHint : 1
; COMPUTE_PGM_RSRC2:SCRATCH_EN: 0
; COMPUTE_PGM_RSRC2:USER_SGPR: 13
; COMPUTE_PGM_RSRC2:TRAP_HANDLER: 0
; COMPUTE_PGM_RSRC2:TGID_X_EN: 1
; COMPUTE_PGM_RSRC2:TGID_Y_EN: 1
; COMPUTE_PGM_RSRC2:TGID_Z_EN: 1
; COMPUTE_PGM_RSRC2:TIDIG_COMP_CNT: 0
	.section	.text._Z39paged_attention_ll4mi_QKV_mfma16_kernelIDF16_hLN4vllm18Fp8KVCacheDataTypeE1EDF16_Li32ELi64ELi256ELb1ELi1EL8MFMAType1EEvPKT_PKT0_S8_ifPKiSA_SA_iPKfiiiPfSD_PS3_PT2_iSC_SC_,"axG",@progbits,_Z39paged_attention_ll4mi_QKV_mfma16_kernelIDF16_hLN4vllm18Fp8KVCacheDataTypeE1EDF16_Li32ELi64ELi256ELb1ELi1EL8MFMAType1EEvPKT_PKT0_S8_ifPKiSA_SA_iPKfiiiPfSD_PS3_PT2_iSC_SC_,comdat
	.protected	_Z39paged_attention_ll4mi_QKV_mfma16_kernelIDF16_hLN4vllm18Fp8KVCacheDataTypeE1EDF16_Li32ELi64ELi256ELb1ELi1EL8MFMAType1EEvPKT_PKT0_S8_ifPKiSA_SA_iPKfiiiPfSD_PS3_PT2_iSC_SC_ ; -- Begin function _Z39paged_attention_ll4mi_QKV_mfma16_kernelIDF16_hLN4vllm18Fp8KVCacheDataTypeE1EDF16_Li32ELi64ELi256ELb1ELi1EL8MFMAType1EEvPKT_PKT0_S8_ifPKiSA_SA_iPKfiiiPfSD_PS3_PT2_iSC_SC_
	.globl	_Z39paged_attention_ll4mi_QKV_mfma16_kernelIDF16_hLN4vllm18Fp8KVCacheDataTypeE1EDF16_Li32ELi64ELi256ELb1ELi1EL8MFMAType1EEvPKT_PKT0_S8_ifPKiSA_SA_iPKfiiiPfSD_PS3_PT2_iSC_SC_
	.p2align	8
	.type	_Z39paged_attention_ll4mi_QKV_mfma16_kernelIDF16_hLN4vllm18Fp8KVCacheDataTypeE1EDF16_Li32ELi64ELi256ELb1ELi1EL8MFMAType1EEvPKT_PKT0_S8_ifPKiSA_SA_iPKfiiiPfSD_PS3_PT2_iSC_SC_,@function
_Z39paged_attention_ll4mi_QKV_mfma16_kernelIDF16_hLN4vllm18Fp8KVCacheDataTypeE1EDF16_Li32ELi64ELi256ELb1ELi1EL8MFMAType1EEvPKT_PKT0_S8_ifPKiSA_SA_iPKfiiiPfSD_PS3_PT2_iSC_SC_: ; @_Z39paged_attention_ll4mi_QKV_mfma16_kernelIDF16_hLN4vllm18Fp8KVCacheDataTypeE1EDF16_Li32ELi64ELi256ELb1ELi1EL8MFMAType1EEvPKT_PKT0_S8_ifPKiSA_SA_iPKfiiiPfSD_PS3_PT2_iSC_SC_
; %bb.0:
	s_load_b64 s[4:5], s[0:1], 0x30
	s_mov_b32 s34, s13
	s_waitcnt lgkmcnt(0)
	s_cmp_lg_u64 s[4:5], 0
	s_cselect_b32 s6, -1, 0
	s_ashr_i32 s35, s13, 31
	s_cmp_eq_u64 s[4:5], 0
	s_cbranch_scc1 .LBB906_3
; %bb.1:
	s_lshl_b64 s[2:3], s[34:35], 2
	s_delay_alu instid0(SALU_CYCLE_1) | instskip(SKIP_4) | instid1(SALU_CYCLE_1)
	s_add_u32 s2, s4, s2
	s_addc_u32 s3, s5, s3
	s_load_b64 s[2:3], s[2:3], 0x0
	s_waitcnt lgkmcnt(0)
	s_sub_i32 s2, s3, s2
	s_cmp_eq_u32 s2, 1
	s_cselect_b32 s2, -1, 0
	s_delay_alu instid0(SALU_CYCLE_1)
	s_and_not1_b32 vcc_lo, exec_lo, s2
	s_cbranch_vccz .LBB906_4
.LBB906_2:
	s_endpgm
.LBB906_3:
.LBB906_4:
	s_load_b64 s[2:3], s[0:1], 0x28
	s_lshl_b64 s[8:9], s[34:35], 2
	s_waitcnt lgkmcnt(0)
	s_add_u32 s2, s2, s8
	s_addc_u32 s3, s3, s9
	s_lshl_b32 s12, s14, 8
	s_load_b32 s33, s[2:3], 0x0
	s_waitcnt lgkmcnt(0)
	s_cmp_ge_i32 s12, s33
	s_cbranch_scc1 .LBB906_2
; %bb.5:
	s_clause 0x1
	s_load_b128 s[28:31], s[0:1], 0x8
	s_load_b64 s[2:3], s[0:1], 0x20
	s_and_not1_b32 vcc_lo, exec_lo, s6
	s_mov_b64 s[6:7], s[34:35]
	s_cbranch_vccnz .LBB906_7
; %bb.6:
	s_add_u32 s4, s4, s8
	s_addc_u32 s5, s5, s9
	s_load_b32 s6, s[4:5], 0x0
.LBB906_7:
	s_load_b128 s[24:27], s[0:1], 0x48
	v_and_b32_e32 v73, 15, v0
	s_mov_b32 s13, exec_lo
                                        ; implicit-def: $sgpr16
                                        ; implicit-def: $sgpr4
	s_delay_alu instid0(VALU_DEP_1)
	v_cmpx_eq_u32_e32 0, v73
	s_cbranch_execz .LBB906_9
; %bb.8:
	s_load_b64 s[4:5], s[0:1], 0x0
	s_waitcnt lgkmcnt(0)
	s_mul_hi_i32 s7, s6, s24
	s_mul_i32 s6, s6, s24
	s_delay_alu instid0(SALU_CYCLE_1) | instskip(NEXT) | instid1(SALU_CYCLE_1)
	s_lshl_b64 s[6:7], s[6:7], 1
	s_add_u32 s6, s4, s6
	s_addc_u32 s7, s5, s7
	s_lshl_b32 s4, s15, 6
	s_delay_alu instid0(SALU_CYCLE_1) | instskip(NEXT) | instid1(SALU_CYCLE_1)
	s_ashr_i32 s5, s4, 31
	s_lshl_b64 s[4:5], s[4:5], 1
	s_delay_alu instid0(SALU_CYCLE_1)
	s_add_u32 s4, s6, s4
	s_addc_u32 s5, s7, s5
	s_clause 0x1
	s_load_b256 s[16:23], s[4:5], 0x0
	s_load_b256 s[4:11], s[4:5], 0x40
.LBB906_9:
	s_or_b32 exec_lo, exec_lo, s13
	v_and_b32_e32 v1, 0xef, v0
	s_waitcnt lgkmcnt(0)
	v_dual_mov_b32 v115, s23 :: v_dual_mov_b32 v108, s16
	v_mov_b32_e32 v114, s22
	s_add_i32 s13, s33, 31
	v_dual_mov_b32 v112, s20 :: v_dual_add_nc_u32 v1, s12, v1
	s_ashr_i32 s24, s13, 31
	s_load_b32 s27, s[0:1], 0x38
	s_lshr_b32 s24, s24, 27
	s_delay_alu instid0(VALU_DEP_1)
	v_ashrrev_i32_e32 v2, 31, v1
	v_or_b32_e32 v3, 16, v1
	s_add_i32 s13, s13, s24
	s_load_b32 s24, s[0:1], 0x1c
	s_ashr_i32 s13, s13, 5
	v_lshrrev_b32_e32 v2, 27, v2
	s_add_i32 s13, s13, -1
	v_cmp_gt_i32_e32 vcc_lo, s33, v1
	v_lshrrev_b32_e32 v66, 5, v0
	s_delay_alu instid0(VALU_DEP_3)
	v_dual_mov_b32 v111, s19 :: v_dual_add_nc_u32 v4, v1, v2
	v_mov_b32_e32 v113, s21
	v_mov_b32_e32 v109, s17
	v_and_b32_e32 v65, 0xe0, v0
	v_mbcnt_lo_u32_b32 v67, -1, 0
	v_ashrrev_i32_e32 v4, 5, v4
	v_add_nc_u32_e32 v2, v3, v2
	v_bfe_u32 v75, v0, 4, 1
	s_waitcnt lgkmcnt(0)
	s_mul_i32 s36, s34, s27
	v_xor_b32_e32 v68, 16, v67
	v_cndmask_b32_e32 v1, s13, v4, vcc_lo
	v_ashrrev_i32_e32 v2, 5, v2
	v_cmp_gt_i32_e32 vcc_lo, s33, v3
	s_ashr_i32 s37, s36, 31
	v_lshlrev_b32_e32 v74, 4, v73
	s_lshl_b64 s[36:37], s[36:37], 2
	v_mov_b32_e32 v110, s18
	v_cndmask_b32_e32 v3, s13, v2, vcc_lo
	v_ashrrev_i32_e32 v2, 31, v1
	s_add_u32 s36, s2, s36
	s_addc_u32 s35, s3, s37
	s_mul_i32 s37, s15, s26
	v_ashrrev_i32_e32 v4, 31, v3
	v_lshlrev_b64 v[1:2], 2, v[1:2]
	s_ashr_i32 s38, s37, 31
	s_add_u32 s40, s28, s37
	s_addc_u32 s41, s29, s38
	v_lshlrev_b64 v[3:4], 2, v[3:4]
	s_lshl_b32 s2, s14, 3
	v_add_co_u32 v1, vcc_lo, s36, v1
	v_add_co_ci_u32_e32 v2, vcc_lo, s35, v2, vcc_lo
	s_delay_alu instid0(VALU_DEP_3) | instskip(NEXT) | instid1(VALU_DEP_4)
	v_add_co_u32 v3, vcc_lo, s36, v3
	v_add_co_ci_u32_e32 v4, vcc_lo, s35, v4, vcc_lo
	s_clause 0x1
	global_load_b32 v5, v[1:2], off
	global_load_b32 v6, v[3:4], off
	s_ashr_i32 s3, s2, 31
	s_delay_alu instid0(SALU_CYCLE_1) | instskip(NEXT) | instid1(SALU_CYCLE_1)
	s_lshl_b64 s[2:3], s[2:3], 2
	s_add_u32 s2, s36, s2
	s_addc_u32 s3, s35, s3
	s_or_b32 s26, s12, 32
	s_delay_alu instid0(SALU_CYCLE_1) | instskip(SKIP_2) | instid1(SALU_CYCLE_1)
	s_ashr_i32 s27, s26, 5
	s_cmp_lt_i32 s26, s33
	s_cselect_b32 s26, s27, s13
	s_ashr_i32 s27, s26, 31
	s_delay_alu instid0(SALU_CYCLE_1) | instskip(NEXT) | instid1(SALU_CYCLE_1)
	s_lshl_b64 s[26:27], s[26:27], 2
	s_add_u32 s26, s36, s26
	s_addc_u32 s27, s35, s27
	s_or_b32 s28, s12, 64
	s_delay_alu instid0(SALU_CYCLE_1) | instskip(SKIP_2) | instid1(SALU_CYCLE_1)
	s_ashr_i32 s29, s28, 5
	s_cmp_lt_i32 s28, s33
	s_cselect_b32 s28, s29, s13
	;; [unrolled: 10-line block ×5, first 2 shown]
	s_ashr_i32 s29, s28, 31
	s_delay_alu instid0(SALU_CYCLE_1) | instskip(NEXT) | instid1(SALU_CYCLE_1)
	s_lshl_b64 s[28:29], s[28:29], 2
	s_add_u32 s48, s36, s28
	s_addc_u32 s49, s35, s29
	s_clause 0x5
	s_load_b32 s29, s[2:3], 0x0
	s_load_b32 s2, s[26:27], 0x0
	;; [unrolled: 1-line block ×6, first 2 shown]
	s_or_b32 s39, s12, 0xc0
	s_waitcnt vmcnt(1)
	v_mad_i64_i32 v[1:2], null, v5, s25, s[40:41]
	s_waitcnt vmcnt(0)
	v_mad_i64_i32 v[3:4], null, v6, s25, s[40:41]
	s_ashr_i32 s40, s39, 5
	s_cmp_lt_i32 s39, s33
	s_cselect_b32 s40, s40, s13
	s_delay_alu instid0(VALU_DEP_2) | instskip(NEXT) | instid1(VALU_DEP_3)
	v_add_co_u32 v1, vcc_lo, v1, v74
	v_add_co_ci_u32_e32 v2, vcc_lo, 0, v2, vcc_lo
	s_delay_alu instid0(VALU_DEP_3) | instskip(NEXT) | instid1(VALU_DEP_4)
	v_add_co_u32 v3, vcc_lo, v3, v74
	v_add_co_ci_u32_e32 v4, vcc_lo, 0, v4, vcc_lo
	s_clause 0x7
	global_load_b128 v[76:79], v[1:2], off
	global_load_b128 v[80:83], v[1:2], off offset:512
	global_load_b128 v[84:87], v[3:4], off offset:256
	;; [unrolled: 1-line block ×7, first 2 shown]
	s_ashr_i32 s41, s40, 31
	v_lshlrev_b32_e32 v1, 5, v73
	s_lshl_b64 s[40:41], s[40:41], 2
	v_cmp_gt_i32_e32 vcc_lo, 32, v68
	s_add_u32 s40, s36, s40
	s_addc_u32 s41, s35, s41
	s_or_b32 s39, s12, 0xe0
	v_lshl_or_b32 v1, v66, 9, v1
	s_ashr_i32 s42, s39, 5
	s_cmp_lt_i32 s39, s33
	s_cselect_b32 s42, s42, s13
	s_load_b32 s13, s[40:41], 0x0
	s_ashr_i32 s43, s42, 31
	s_delay_alu instid0(SALU_CYCLE_1) | instskip(NEXT) | instid1(SALU_CYCLE_1)
	s_lshl_b64 s[42:43], s[42:43], 2
	s_add_u32 s40, s36, s42
	s_addc_u32 s41, s35, s43
	s_add_u32 s30, s30, s37
	s_addc_u32 s31, s31, s38
	v_add_co_u32 v1, s30, s30, v1
	s_delay_alu instid0(VALU_DEP_1) | instskip(SKIP_3) | instid1(VALU_DEP_1)
	v_add_co_ci_u32_e64 v2, null, s31, 0, s30
	s_load_b32 s30, s[40:41], 0x0
	s_mov_b32 s36, 0
	s_waitcnt lgkmcnt(0)
	v_mad_i64_i32 v[3:4], null, s29, s25, v[1:2]
	v_mad_i64_i32 v[9:10], null, s26, s25, v[1:2]
	;; [unrolled: 1-line block ×7, first 2 shown]
	s_clause 0x5
	global_load_b128 v[49:52], v[3:4], off
	global_load_b128 v[53:56], v[3:4], off offset:16
	global_load_b128 v[41:44], v[5:6], off
	global_load_b128 v[45:48], v[5:6], off offset:16
	;; [unrolled: 2-line block ×3, first 2 shown]
	s_mov_b32 s43, s36
	s_mov_b32 s37, s36
	v_mad_i64_i32 v[61:62], null, s30, s25, v[1:2]
	s_clause 0x9
	global_load_b128 v[1:4], v[9:10], off
	global_load_b128 v[5:8], v[9:10], off offset:16
	global_load_b128 v[9:12], v[13:14], off
	global_load_b128 v[13:16], v[13:14], off offset:16
	;; [unrolled: 2-line block ×5, first 2 shown]
	s_mov_b32 s38, s36
	s_mov_b32 s39, s36
	;; [unrolled: 1-line block ×5, first 2 shown]
	v_mov_b32_e32 v123, s11
	v_mov_b32_e32 v131, s43
	v_dual_mov_b32 v121, s9 :: v_dual_mov_b32 v128, s40
	v_dual_mov_b32 v119, s7 :: v_dual_mov_b32 v126, s38
	v_dual_mov_b32 v117, s5 :: v_dual_mov_b32 v124, s36
	v_dual_mov_b32 v130, s42 :: v_dual_mov_b32 v129, s41
	v_mov_b32_e32 v127, s39
	v_dual_mov_b32 v125, s37 :: v_dual_mov_b32 v122, s10
	v_mov_b32_e32 v120, s8
	v_dual_mov_b32 v118, s6 :: v_dual_add_nc_u32 v65, s12, v65
	v_mov_b32_e32 v116, s4
	s_waitcnt vmcnt(0)
	s_barrier
	buffer_gl0_inv
	v_or_b32_e32 v65, v65, v75
	s_delay_alu instid0(VALU_DEP_1)
	v_or_b32_e32 v69, 4, v65
	v_or_b32_e32 v70, 6, v65
	;; [unrolled: 1-line block ×8, first 2 shown]
	v_cmp_gt_i32_e64 s3, s33, v69
	v_cmp_gt_i32_e64 s4, s33, v70
	;; [unrolled: 1-line block ×8, first 2 shown]
	v_wmma_f32_16x16x16_f16 v[132:139], v[76:83], v[108:115], v[124:131]
	v_or_b32_e32 v76, 20, v65
	v_or_b32_e32 v77, 22, v65
	;; [unrolled: 1-line block ×3, first 2 shown]
	s_delay_alu instid0(VALU_DEP_4)
	v_wmma_f32_16x16x16_f16 v[132:139], v[92:99], v[116:123], v[132:139]
	v_or_b32_e32 v79, 26, v65
	v_or_b32_e32 v80, 28, v65
	;; [unrolled: 1-line block ×3, first 2 shown]
	v_cmp_gt_i32_e64 s11, s33, v76
	v_mul_f32_e32 v82, s24, v139
	v_wmma_f32_16x16x16_f16 v[124:131], v[84:91], v[108:115], v[124:131]
	v_mul_f32_e32 v88, s24, v133
	v_mul_f32_e32 v86, s24, v135
	;; [unrolled: 1-line block ×3, first 2 shown]
	v_cmp_gt_i32_e64 s12, s33, v77
	v_wmma_f32_16x16x16_f16 v[124:131], v[100:107], v[116:123], v[124:131]
	v_cndmask_b32_e32 v67, v67, v68, vcc_lo
	v_or_b32_e32 v68, 2, v65
	v_cmp_gt_i32_e32 vcc_lo, s33, v65
	s_delay_alu instid0(VALU_DEP_4) | instskip(SKIP_1) | instid1(VALU_DEP_4)
	v_dual_mul_f32 v87, s24, v134 :: v_dual_mul_f32 v96, s24, v125
	v_dual_mul_f32 v90, s24, v131 :: v_dual_mul_f32 v89, s24, v132
	v_cmp_gt_i32_e64 s2, s33, v68
	v_dual_mul_f32 v85, s24, v136 :: v_dual_mul_f32 v94, s24, v127
	s_delay_alu instid0(VALU_DEP_4) | instskip(NEXT) | instid1(VALU_DEP_4)
	v_cndmask_b32_e64 v69, 0xff7fffff, v87, s3
	v_cndmask_b32_e32 v65, 0xff7fffff, v89, vcc_lo
	s_delay_alu instid0(VALU_DEP_4) | instskip(SKIP_3) | instid1(VALU_DEP_4)
	v_cndmask_b32_e64 v68, 0xff7fffff, v88, s2
	v_cndmask_b32_e64 v70, 0xff7fffff, v86, s4
	v_dual_mul_f32 v83, s24, v138 :: v_dual_mul_f32 v92, s24, v129
	v_cndmask_b32_e64 v71, 0xff7fffff, v84, s6
	v_max3_f32 v65, v65, 0xff7fffff, v68
	v_cndmask_b32_e64 v68, 0xff7fffff, v85, s5
	v_mul_f32_e32 v97, s24, v124
	v_mul_f32_e32 v95, s24, v126
	;; [unrolled: 1-line block ×3, first 2 shown]
	v_max3_f32 v65, v65, v69, v70
	v_cndmask_b32_e64 v69, 0xff7fffff, v83, s7
	v_cndmask_b32_e64 v70, 0xff7fffff, v82, s8
	v_cmp_gt_i32_e64 s13, s33, v78
	v_cmp_gt_i32_e64 s16, s33, v79
	v_max3_f32 v65, v65, v68, v71
	v_cndmask_b32_e64 v68, 0xff7fffff, v97, s9
	v_cndmask_b32_e64 v71, 0xff7fffff, v96, s10
	v_mul_f32_e32 v91, s24, v130
	v_cmp_gt_i32_e64 s17, s33, v80
	v_max3_f32 v65, v65, v69, v70
	v_cndmask_b32_e64 v69, 0xff7fffff, v95, s11
	v_cndmask_b32_e64 v70, 0xff7fffff, v94, s12
	v_cmp_gt_i32_e64 s18, s33, v81
	s_delay_alu instid0(VALU_DEP_4) | instskip(SKIP_2) | instid1(VALU_DEP_3)
	v_max3_f32 v65, v65, v68, v71
	v_cndmask_b32_e64 v68, 0xff7fffff, v93, s13
	v_cndmask_b32_e64 v71, 0xff7fffff, v92, s16
	v_max3_f32 v65, v65, v69, v70
	v_cndmask_b32_e64 v69, 0xff7fffff, v91, s17
	v_cndmask_b32_e64 v70, 0xff7fffff, v90, s18
	s_delay_alu instid0(VALU_DEP_3) | instskip(SKIP_1) | instid1(VALU_DEP_2)
	v_max3_f32 v65, v65, v68, v71
	v_lshlrev_b32_e32 v68, 2, v67
	v_max3_f32 v65, v65, v69, v70
	ds_bpermute_b32 v67, v68, v65
	s_waitcnt lgkmcnt(0)
	v_max_f32_e32 v67, v67, v67
	s_delay_alu instid0(VALU_DEP_1) | instskip(NEXT) | instid1(VALU_DEP_1)
	v_max_f32_e32 v65, v65, v67
	v_fma_f32 v80, s24, v124, -v65
	s_delay_alu instid0(VALU_DEP_1)
	v_mul_f32_e32 v80, 0x3fb8aa3b, v80
	v_fma_f32 v78, s24, v138, -v65
	v_fma_f32 v71, s24, v135, -v65
	;; [unrolled: 1-line block ×5, first 2 shown]
	v_mul_f32_e32 v78, 0x3fb8aa3b, v78
	v_exp_f32_e32 v80, v80
	v_mul_f32_e32 v67, 0x3fb8aa3b, v67
	v_fma_f32 v72, s24, v136, -v65
	v_mul_f32_e32 v70, 0x3fb8aa3b, v70
	v_exp_f32_e32 v78, v78
	s_delay_alu instid0(VALU_DEP_3) | instskip(NEXT) | instid1(VALU_DEP_2)
	v_exp_f32_e32 v67, v67
	v_mul_f32_e32 v72, 0x3fb8aa3b, v72
	s_delay_alu instid0(VALU_DEP_2) | instskip(SKIP_2) | instid1(VALU_DEP_3)
	v_exp_f32_e32 v76, v70
	v_cndmask_b32_e64 v88, 0, v80, s9
	v_fma_f32 v80, s24, v129, -v65
	v_exp_f32_e32 v79, v72
	v_cndmask_b32_e64 v86, 0, v78, s7
	v_fma_f32 v78, s24, v127, -v65
	v_mul_f32_e32 v71, 0x3fb8aa3b, v71
	s_delay_alu instid0(TRANS32_DEP_3) | instskip(SKIP_1) | instid1(TRANS32_DEP_2)
	v_cndmask_b32_e32 v70, 0, v67, vcc_lo
	v_fma_f32 v67, s24, v137, -v65
	v_cndmask_b32_e64 v72, 0, v76, s3
	v_mul_f32_e32 v78, 0x3fb8aa3b, v78
	v_exp_f32_e32 v71, v71
	v_dual_add_f32 v77, 0, v70 :: v_dual_mul_f32 v80, 0x3fb8aa3b, v80
	v_mul_f32_e32 v67, 0x3fb8aa3b, v67
	v_cndmask_b32_e64 v84, 0, v79, s5
	v_fma_f32 v79, s24, v125, -v65
	v_exp_f32_e32 v78, v78
	s_mov_b32 s3, exec_lo
	v_exp_f32_e32 v67, v67
	s_delay_alu instid0(TRANS32_DEP_3) | instskip(SKIP_2) | instid1(VALU_DEP_2)
	v_cndmask_b32_e64 v71, 0, v71, s4
	v_mul_f32_e32 v69, 0x3fb8aa3b, v69
	v_mul_f32_e32 v79, 0x3fb8aa3b, v79
	v_exp_f32_e32 v69, v69
	s_delay_alu instid0(VALU_DEP_1) | instskip(NEXT) | instid1(TRANS32_DEP_3)
	v_exp_f32_e32 v79, v79
	v_cndmask_b32_e64 v83, 0, v67, s6
	v_cndmask_b32_e64 v89, 0, v78, s12
	v_fma_f32 v78, s24, v131, -v65
	s_waitcnt_depctr 0xfff
	v_cndmask_b32_e64 v69, 0, v69, s2
	v_cndmask_b32_e64 v87, 0, v79, s10
	v_fma_f32 v79, s24, v130, -v65
	s_delay_alu instid0(VALU_DEP_3) | instskip(SKIP_1) | instid1(VALU_DEP_1)
	v_add_f32_e32 v76, v77, v69
	v_fma_f32 v77, s24, v139, -v65
	v_dual_add_f32 v76, v76, v72 :: v_dual_mul_f32 v77, 0x3fb8aa3b, v77
	s_delay_alu instid0(VALU_DEP_1) | instskip(NEXT) | instid1(VALU_DEP_1)
	v_add_f32_e32 v76, v76, v71
	v_add_f32_e32 v67, v76, v84
	v_fma_f32 v76, s24, v126, -v65
	s_delay_alu instid0(VALU_DEP_1) | instskip(NEXT) | instid1(VALU_DEP_1)
	v_dual_add_f32 v67, v67, v83 :: v_dual_mul_f32 v76, 0x3fb8aa3b, v76
	v_add_f32_e32 v67, v67, v86
	s_delay_alu instid0(VALU_DEP_2)
	v_exp_f32_e32 v76, v76
	s_waitcnt_depctr 0xfff
	v_cndmask_b32_e64 v90, 0, v76, s11
	v_mul_f32_e32 v76, 0x3fb8aa3b, v79
	v_exp_f32_e32 v77, v77
	v_exp_f32_e32 v79, v80
	s_delay_alu instid0(VALU_DEP_1) | instskip(NEXT) | instid1(TRANS32_DEP_3)
	v_exp_f32_e32 v76, v76
	v_cndmask_b32_e64 v85, 0, v77, s8
	v_fma_f32 v77, s24, v128, -v65
	s_waitcnt_depctr 0xfff
	v_cndmask_b32_e64 v91, 0, v79, s16
	v_cndmask_b32_e64 v94, 0, v76, s17
	v_add_f32_e32 v67, v67, v85
	v_dual_mul_f32 v77, 0x3fb8aa3b, v77 :: v_dual_and_b32 v76, 31, v0
	s_delay_alu instid0(VALU_DEP_2) | instskip(NEXT) | instid1(VALU_DEP_2)
	v_add_f32_e32 v67, v67, v88
	v_exp_f32_e32 v77, v77
	s_delay_alu instid0(VALU_DEP_2) | instskip(NEXT) | instid1(VALU_DEP_2)
	v_cmp_lt_u32_e64 s2, 15, v76
	v_add_f32_e32 v67, v67, v87
	s_delay_alu instid0(VALU_DEP_1) | instskip(SKIP_4) | instid1(VALU_DEP_2)
	v_add_f32_e32 v67, v67, v90
	s_waitcnt_depctr 0xfff
	v_cndmask_b32_e64 v92, 0, v77, s13
	v_mul_f32_e32 v77, 0x3fb8aa3b, v78
	v_add_f32_e32 v67, v67, v89
	v_exp_f32_e32 v77, v77
	s_delay_alu instid0(VALU_DEP_1) | instskip(NEXT) | instid1(VALU_DEP_1)
	v_add_f32_e32 v67, v67, v92
	v_add_f32_e32 v67, v67, v91
	s_waitcnt_depctr 0xfff
	v_cndmask_b32_e64 v93, 0, v77, s18
	v_add_f32_e32 v67, v67, v94
	s_delay_alu instid0(VALU_DEP_1)
	v_add_f32_e32 v67, v67, v93
	ds_bpermute_b32 v68, v68, v67
	v_cmpx_gt_u32_e32 16, v76
	s_cbranch_execz .LBB906_11
; %bb.10:
	v_mul_u32_u24_e32 v76, 0x44, v66
	s_waitcnt lgkmcnt(0)
	v_add_f32_e32 v67, v67, v68
	s_delay_alu instid0(VALU_DEP_2) | instskip(NEXT) | instid1(VALU_DEP_1)
	v_lshl_add_u32 v76, v73, 2, v76
	v_add_nc_u32_e32 v68, 0x4000, v76
	ds_store_2addr_b32 v68, v65, v67 offset1:136
.LBB906_11:
	s_or_b32 exec_lo, exec_lo, s3
	v_lshlrev_b32_e32 v65, 2, v73
	s_load_b64 s[36:37], s[0:1], 0x94
	s_waitcnt lgkmcnt(0)
	s_barrier
	buffer_gl0_inv
	v_add_nc_u32_e32 v65, 0x4000, v65
	v_cmp_eq_u32_e32 vcc_lo, 1, v66
	v_cmp_eq_u32_e64 s3, 2, v66
	v_cmp_eq_u32_e64 s5, 3, v66
	;; [unrolled: 1-line block ×3, first 2 shown]
	ds_load_2addr_b32 v[76:77], v65 offset1:17
	ds_load_2addr_b32 v[78:79], v65 offset0:34 offset1:51
	ds_load_2addr_b32 v[80:81], v65 offset0:68 offset1:85
	;; [unrolled: 1-line block ×3, first 2 shown]
	v_cmp_eq_u32_e64 s7, 5, v66
	v_cmp_eq_u32_e64 s4, 6, v66
	s_waitcnt lgkmcnt(3)
	v_max3_f32 v67, v76, 0xff7fffff, v77
	s_waitcnt lgkmcnt(2)
	s_delay_alu instid0(VALU_DEP_1) | instskip(SKIP_1) | instid1(VALU_DEP_1)
	v_max3_f32 v67, v67, v78, v79
	s_waitcnt lgkmcnt(1)
	v_max3_f32 v67, v67, v80, v81
	s_waitcnt lgkmcnt(0)
	s_delay_alu instid0(VALU_DEP_1) | instskip(NEXT) | instid1(VALU_DEP_1)
	v_max3_f32 v67, v67, v95, v96
	v_sub_f32_e32 v82, v77, v67
	ds_load_2addr_b32 v[97:98], v65 offset0:136 offset1:153
	v_sub_f32_e32 v68, v76, v67
	ds_load_2addr_b32 v[76:77], v65 offset0:170 offset1:187
	v_sub_f32_e32 v80, v80, v67
	v_mul_f32_e32 v82, 0x3fb8aa3b, v82
	v_mul_f32_e32 v68, 0x3fb8aa3b, v68
	s_delay_alu instid0(VALU_DEP_3) | instskip(NEXT) | instid1(VALU_DEP_2)
	v_mul_f32_e32 v102, 0x3fb8aa3b, v80
	v_exp_f32_e32 v99, v68
	v_sub_f32_e32 v68, v79, v67
	s_delay_alu instid0(VALU_DEP_1) | instskip(NEXT) | instid1(VALU_DEP_1)
	v_dual_sub_f32 v78, v78, v67 :: v_dual_mul_f32 v101, 0x3fb8aa3b, v68
	v_mul_f32_e32 v100, 0x3fb8aa3b, v78
	ds_load_2addr_b32 v[78:79], v65 offset0:204 offset1:221
	s_waitcnt lgkmcnt(2)
	v_fma_f32 v68, v99, v97, 0
	v_sub_f32_e32 v97, v81, v67
	ds_load_2addr_b32 v[80:81], v65 offset0:238 offset1:255
	v_sub_f32_e32 v65, v95, v67
	v_exp_f32_e32 v82, v82
	v_exp_f32_e32 v101, v101
	v_mul_f32_e32 v95, 0x3fb8aa3b, v97
	v_exp_f32_e32 v97, v102
	v_mul_f32_e32 v65, 0x3fb8aa3b, v65
	v_exp_f32_e32 v100, v100
	s_waitcnt lgkmcnt(0)
	v_exp_f32_e32 v95, v95
	s_barrier
	buffer_gl0_inv
	v_fmac_f32_e32 v68, v82, v98
	s_delay_alu instid0(VALU_DEP_1) | instskip(SKIP_2) | instid1(VALU_DEP_2)
	v_fmac_f32_e32 v68, v100, v76
	v_sub_f32_e32 v76, v96, v67
	v_exp_f32_e32 v96, v65
	v_fmac_f32_e32 v68, v101, v77
	s_delay_alu instid0(VALU_DEP_2) | instskip(NEXT) | instid1(VALU_DEP_2)
	v_mul_f32_e32 v76, 0x3fb8aa3b, v76
	v_fmac_f32_e32 v68, v97, v78
	s_delay_alu instid0(VALU_DEP_2) | instskip(SKIP_1) | instid1(VALU_DEP_2)
	v_exp_f32_e32 v98, v76
	v_cndmask_b32_e32 v76, v99, v82, vcc_lo
	v_fmac_f32_e32 v68, v95, v79
	s_delay_alu instid0(TRANS32_DEP_2) | instid1(VALU_DEP_1)
	v_fmac_f32_e32 v68, v96, v80
	v_lshlrev_b32_e32 v80, 6, v73
	s_waitcnt_depctr 0xfff
	v_fmac_f32_e32 v68, v98, v81
	v_lshl_or_b32 v82, v66, 11, v80
	s_delay_alu instid0(VALU_DEP_2) | instskip(NEXT) | instid1(VALU_DEP_1)
	v_add_f32_e32 v81, 0x358637bd, v68
	v_div_scale_f32 v102, null, v81, v81, 1.0
	v_div_scale_f32 v99, vcc_lo, 1.0, v81, 1.0
	s_delay_alu instid0(VALU_DEP_2) | instskip(SKIP_2) | instid1(VALU_DEP_1)
	v_rcp_f32_e32 v103, v102
	s_waitcnt_depctr 0xfff
	v_fma_f32 v65, -v102, v103, 1.0
	v_fmac_f32_e32 v103, v65, v103
	v_cndmask_b32_e64 v65, v76, v100, s3
	v_cmp_eq_u32_e64 s3, 7, v66
	v_lshlrev_b32_e32 v76, 2, v75
	s_delay_alu instid0(VALU_DEP_4) | instskip(NEXT) | instid1(VALU_DEP_4)
	v_mul_f32_e32 v100, v99, v103
	v_cndmask_b32_e64 v77, v65, v101, s5
	v_mov_b32_e32 v65, 0
	s_delay_alu instid0(VALU_DEP_4)
	v_or_b32_e32 v79, 1, v76
	v_cmp_eq_u32_e64 s5, 1, v76
	v_fma_f32 v78, -v102, v100, v99
	v_cndmask_b32_e64 v97, v77, v97, s6
	v_or_b32_e32 v77, 2, v76
	v_cmp_eq_u32_e64 s9, 1, v79
	v_cmp_eq_u32_e64 s6, 2, v76
	v_fmac_f32_e32 v100, v78, v103
	v_cndmask_b32_e64 v66, v97, v95, s7
	v_or_b32_e32 v78, 3, v76
	v_cmp_eq_u32_e64 s10, 1, v77
	v_cmp_eq_u32_e64 s12, 2, v79
	v_fma_f32 v95, -v102, v100, v99
	v_cndmask_b32_e64 v66, v66, v96, s4
	v_cmp_eq_u32_e64 s11, 1, v78
	v_cmp_eq_u32_e64 s17, 2, v78
	;; [unrolled: 1-line block ×3, first 2 shown]
	v_div_fmas_f32 v95, v95, v103, v100
	v_cndmask_b32_e64 v66, v66, v98, s3
	v_cmp_eq_u32_e32 vcc_lo, 3, v76
	v_cmp_eq_u32_e64 s16, 2, v77
	v_cmp_eq_u32_e64 s19, 3, v78
	v_div_fixup_f32 v95, v95, v81, 1.0
	v_lshl_or_b32 v81, v75, 4, v82
	v_cmp_eq_u32_e64 s4, 4, v76
	v_cmp_eq_u32_e64 s18, 3, v77
	;; [unrolled: 1-line block ×3, first 2 shown]
	v_mul_f32_e32 v66, v66, v95
	v_cmp_eq_u32_e64 s23, 4, v78
	v_cmp_eq_u32_e64 s7, 5, v76
	;; [unrolled: 1-line block ×4, first 2 shown]
	v_fma_mixlo_f16 v95, v66, v70, 0
	v_fma_mixlo_f16 v96, v66, v72, 0
	v_fma_mixlo_f16 v97, v66, v84, 0
	v_fma_mixlo_f16 v98, v66, v86, 0
	v_fma_mixlo_f16 v99, v66, v88, 0
	v_fma_mixlo_f16 v100, v66, v90, 0
	v_fma_mixlo_f16 v101, v66, v92, 0
	v_fma_mixlo_f16 v102, v66, v94, 0
	v_fma_mixhi_f16 v95, v66, v69, 0
	v_fma_mixhi_f16 v96, v66, v71, 0
	;; [unrolled: 1-line block ×8, first 2 shown]
	ds_store_b128 v81, v[95:98]
	ds_store_b128 v81, v[99:102] offset:1024
	s_waitcnt lgkmcnt(0)
	s_barrier
	buffer_gl0_inv
	ds_load_b128 v[69:72], v82
	ds_load_b128 v[83:86], v82 offset:16
	ds_load_b128 v[87:90], v82 offset:1024
	ds_load_b128 v[91:94], v82 offset:1040
	v_cmp_eq_u32_e64 s25, 5, v78
	v_cmp_eq_u32_e64 s3, 6, v76
	;; [unrolled: 1-line block ×10, first 2 shown]
	s_waitcnt lgkmcnt(3)
	v_lshrrev_b32_e32 v66, 16, v69
	s_waitcnt lgkmcnt(2)
	v_lshrrev_b32_e32 v98, 16, v83
	;; [unrolled: 2-line block ×4, first 2 shown]
	v_lshrrev_b32_e32 v95, 16, v70
	v_cndmask_b32_e64 v110, v69, v66, s5
	v_cndmask_b32_e64 v111, v83, v98, s5
	;; [unrolled: 1-line block ×7, first 2 shown]
	v_lshrrev_b32_e32 v99, 16, v84
	v_cndmask_b32_e64 v115, v83, v98, s10
	v_cndmask_b32_e64 v83, v87, v102, s5
	;; [unrolled: 1-line block ×15, first 2 shown]
	v_lshrrev_b32_e32 v103, 16, v88
	v_lshrrev_b32_e32 v107, 16, v92
	v_cndmask_b32_e64 v112, v114, v70, s16
	v_cndmask_b32_e64 v113, v115, v84, s16
	;; [unrolled: 1-line block ×7, first 2 shown]
	v_cndmask_b32_e32 v88, v102, v95, vcc_lo
	v_cndmask_b32_e32 v102, v106, v99, vcc_lo
	v_cndmask_b32_e64 v106, v110, v95, s13
	v_cndmask_b32_e64 v110, v111, v99, s13
	;; [unrolled: 1-line block ×4, first 2 shown]
	v_lshrrev_b32_e32 v96, 16, v71
	v_lshrrev_b32_e32 v100, 16, v85
	v_cndmask_b32_e64 v111, v112, v95, s18
	v_cndmask_b32_e64 v112, v113, v99, s18
	v_cndmask_b32_e32 v70, v70, v103, vcc_lo
	v_cndmask_b32_e32 v83, v83, v107, vcc_lo
	v_cndmask_b32_e64 v84, v84, v103, s13
	v_cndmask_b32_e64 v88, v88, v71, s4
	;; [unrolled: 1-line block ×7, first 2 shown]
	v_lshrrev_b32_e32 v104, 16, v89
	v_lshrrev_b32_e32 v108, 16, v93
	v_cndmask_b32_e64 v106, v111, v71, s22
	v_cndmask_b32_e64 v110, v112, v85, s22
	;; [unrolled: 1-line block ×11, first 2 shown]
	v_lshrrev_b32_e32 v97, 16, v72
	v_lshrrev_b32_e32 v101, 16, v86
	v_cndmask_b32_e64 v99, v106, v96, s24
	v_cndmask_b32_e64 v102, v110, v100, s24
	;; [unrolled: 1-line block ×11, first 2 shown]
	v_lshrrev_b32_e32 v105, 16, v90
	v_cndmask_b32_e64 v96, v99, v72, s27
	v_cndmask_b32_e64 v99, v102, v86, s27
	;; [unrolled: 1-line block ×14, first 2 shown]
	v_perm_b32 v72, v69, v66, 0x5040100
	v_perm_b32 v70, v95, v85, 0x5040100
	v_cndmask_b32_e64 v66, v91, v92, s17
	v_cndmask_b32_e64 v69, v119, v92, s16
	;; [unrolled: 1-line block ×4, first 2 shown]
	v_perm_b32 v71, v96, v88, 0x5040100
	v_cndmask_b32_e64 v88, v98, v103, s18
	v_cndmask_b32_e64 v87, v87, v103, s19
	;; [unrolled: 1-line block ×15, first 2 shown]
	v_lshrrev_b32_e32 v109, 16, v94
	v_cndmask_b32_e64 v88, v88, v90, s27
	v_cndmask_b32_e64 v87, v87, v90, s28
	;; [unrolled: 1-line block ×11, first 2 shown]
	v_perm_b32 v69, v84, v83, 0x5040100
	v_perm_b32 v86, v66, v87, 0x5040100
	;; [unrolled: 1-line block ×5, first 2 shown]
	s_mov_b32 s3, exec_lo
	ds_store_b128 v81, v[69:72]
	ds_store_b128 v81, v[83:86] offset:1024
	v_cmpx_eq_u32_e32 0, v0
	s_cbranch_execz .LBB906_13
; %bb.12:
	s_load_b128 s[4:7], s[0:1], 0x58
	s_mul_i32 s8, s37, s34
	s_delay_alu instid0(SALU_CYCLE_1) | instskip(NEXT) | instid1(SALU_CYCLE_1)
	s_add_i32 s8, s8, s15
	s_mul_i32 s8, s8, s36
	s_delay_alu instid0(SALU_CYCLE_1) | instskip(NEXT) | instid1(SALU_CYCLE_1)
	s_add_i32 s8, s8, s14
	s_ashr_i32 s9, s8, 31
	s_delay_alu instid0(SALU_CYCLE_1)
	s_lshl_b64 s[8:9], s[8:9], 2
	s_waitcnt lgkmcnt(0)
	s_add_u32 s6, s6, s8
	s_addc_u32 s7, s7, s9
	s_add_u32 s4, s4, s8
	s_addc_u32 s5, s5, s9
	s_clause 0x1
	global_store_b32 v65, v67, s[6:7]
	global_store_b32 v65, v68, s[4:5]
.LBB906_13:
	s_or_b32 exec_lo, exec_lo, s3
	s_waitcnt lgkmcnt(0)
	s_waitcnt_vscnt null, 0x0
	s_barrier
	buffer_gl0_inv
	ds_load_b128 v[83:86], v80
	ds_load_b128 v[87:90], v80 offset:16
	ds_load_b128 v[95:98], v80 offset:2064
	;; [unrolled: 1-line block ×5, first 2 shown]
	v_mov_b32_e32 v66, v65
	v_mov_b32_e32 v67, v65
	;; [unrolled: 1-line block ×7, first 2 shown]
	ds_load_b128 v[111:114], v80 offset:6160
	ds_load_b128 v[107:110], v80 offset:6144
	;; [unrolled: 1-line block ×4, first 2 shown]
	v_cmp_eq_u32_e32 vcc_lo, 1, v76
	v_cmp_eq_u32_e64 s3, 1, v79
	v_cmp_eq_u32_e64 s4, 1, v78
	;; [unrolled: 1-line block ×5, first 2 shown]
	s_waitcnt lgkmcnt(8)
	v_wmma_f32_16x16x16_f16 v[65:72], v[49:56], v[83:90], v[65:72]
	ds_load_b128 v[53:56], v80 offset:10256
	ds_load_b128 v[49:52], v80 offset:10240
	s_waitcnt lgkmcnt(8)
	v_wmma_f32_16x16x16_f16 v[65:72], v[41:48], v[91:98], v[65:72]
	ds_load_b128 v[45:48], v80 offset:12304
	ds_load_b128 v[41:44], v80 offset:12288
	;; [unrolled: 4-line block ×3, first 2 shown]
	s_waitcnt lgkmcnt(0)
	s_barrier
	buffer_gl0_inv
	v_wmma_f32_16x16x16_f16 v[65:72], v[1:8], v[107:114], v[65:72]
	s_delay_alu instid0(VALU_DEP_1) | instskip(NEXT) | instid1(VALU_DEP_1)
	v_wmma_f32_16x16x16_f16 v[65:72], v[9:16], v[115:122], v[65:72]
	v_wmma_f32_16x16x16_f16 v[65:72], v[17:24], v[49:56], v[65:72]
	s_delay_alu instid0(VALU_DEP_1) | instskip(NEXT) | instid1(VALU_DEP_1)
	v_wmma_f32_16x16x16_f16 v[65:72], v[25:32], v[41:48], v[65:72]
	v_wmma_f32_16x16x16_f16 v[65:72], v[57:64], v[33:40], v[65:72]
	s_delay_alu instid0(VALU_DEP_1) | instskip(NEXT) | instid1(VALU_DEP_2)
	v_cvt_f16_f32_e32 v1, v65
	v_cvt_f16_f32_e32 v2, v66
	s_delay_alu instid0(VALU_DEP_3) | instskip(NEXT) | instid1(VALU_DEP_4)
	v_cvt_f16_f32_e32 v3, v67
	v_cvt_f16_f32_e32 v4, v68
	;; [unrolled: 1-line block ×6, first 2 shown]
	v_pack_b32_f16 v1, v1, v2
	v_pack_b32_f16 v2, v3, v4
	;; [unrolled: 1-line block ×3, first 2 shown]
	s_delay_alu instid0(VALU_DEP_4)
	v_pack_b32_f16 v4, v7, v8
	ds_store_b128 v81, v[1:4]
	s_waitcnt lgkmcnt(0)
	s_barrier
	buffer_gl0_inv
	ds_load_b128 v[1:4], v82
	ds_load_b128 v[5:8], v82 offset:16
	s_waitcnt lgkmcnt(1)
	v_lshrrev_b32_e32 v9, 16, v1
	s_waitcnt lgkmcnt(0)
	v_lshrrev_b32_e32 v13, 16, v5
	v_lshrrev_b32_e32 v16, 16, v8
	;; [unrolled: 1-line block ×4, first 2 shown]
	v_cndmask_b32_e32 v17, v1, v9, vcc_lo
	v_cndmask_b32_e32 v18, v5, v13, vcc_lo
	v_cmp_eq_u32_e32 vcc_lo, 1, v77
	v_cndmask_b32_e64 v19, v1, v9, s3
	v_cndmask_b32_e64 v20, v5, v13, s3
	v_cmp_eq_u32_e64 s3, 2, v77
	v_lshrrev_b32_e32 v11, 16, v3
	v_cndmask_b32_e32 v21, v1, v9, vcc_lo
	v_cndmask_b32_e32 v22, v5, v13, vcc_lo
	v_cndmask_b32_e64 v1, v1, v9, s4
	v_cmp_eq_u32_e32 vcc_lo, 2, v78
	v_cndmask_b32_e64 v5, v5, v13, s4
	v_cmp_eq_u32_e64 s4, 2, v79
	v_cndmask_b32_e64 v9, v17, v2, s5
	v_cndmask_b32_e64 v13, v18, v6, s5
	v_cmp_eq_u32_e64 s5, 3, v79
	v_cndmask_b32_e32 v1, v1, v2, vcc_lo
	v_cndmask_b32_e64 v17, v19, v2, s4
	v_cndmask_b32_e64 v18, v20, v6, s4
	;; [unrolled: 1-line block ×4, first 2 shown]
	v_cndmask_b32_e32 v2, v5, v6, vcc_lo
	v_cmp_eq_u32_e32 vcc_lo, 3, v77
	v_cmp_eq_u32_e64 s4, 3, v78
	v_cndmask_b32_e64 v5, v9, v10, s6
	v_cndmask_b32_e64 v6, v13, v14, s6
	;; [unrolled: 1-line block ×4, first 2 shown]
	v_cndmask_b32_e32 v17, v19, v10, vcc_lo
	v_cmp_eq_u32_e64 s3, 4, v77
	v_cndmask_b32_e32 v18, v20, v14, vcc_lo
	v_cndmask_b32_e64 v1, v1, v10, s4
	v_cmp_eq_u32_e32 vcc_lo, 4, v78
	v_cmp_eq_u32_e64 s5, 4, v76
	v_cndmask_b32_e64 v2, v2, v14, s4
	v_cmp_eq_u32_e64 s4, 4, v79
	v_lshrrev_b32_e32 v15, 16, v7
	v_cmp_eq_u32_e64 s6, 5, v76
	v_cndmask_b32_e64 v5, v5, v3, s5
	v_cndmask_b32_e64 v6, v6, v7, s5
	;; [unrolled: 1-line block ×6, first 2 shown]
	v_cmp_eq_u32_e64 s4, 5, v77
	v_cndmask_b32_e32 v1, v1, v3, vcc_lo
	v_cndmask_b32_e32 v2, v2, v7, vcc_lo
	v_cmp_eq_u32_e32 vcc_lo, 5, v78
	v_cmp_eq_u32_e64 s5, 5, v79
	v_cndmask_b32_e64 v5, v5, v11, s6
	v_cmp_eq_u32_e64 s3, 6, v76
	v_cndmask_b32_e64 v6, v6, v15, s6
	v_cndmask_b32_e64 v13, v13, v11, s4
	v_cndmask_b32_e64 v3, v14, v15, s4
	v_cndmask_b32_e32 v1, v1, v11, vcc_lo
	v_cmp_eq_u32_e64 s4, 6, v78
	v_cndmask_b32_e32 v2, v2, v15, vcc_lo
	v_cndmask_b32_e64 v9, v9, v11, s5
	v_cndmask_b32_e64 v10, v10, v15, s5
	v_cmp_eq_u32_e64 s5, 6, v79
	v_lshrrev_b32_e32 v12, 16, v4
	v_cndmask_b32_e64 v5, v5, v4, s3
	v_cndmask_b32_e64 v6, v6, v8, s3
	v_cmp_eq_u32_e64 s3, 7, v76
	v_cndmask_b32_e64 v1, v1, v4, s4
	v_cmp_eq_u32_e32 vcc_lo, 7, v78
	v_cndmask_b32_e64 v2, v2, v8, s4
	v_cndmask_b32_e64 v9, v9, v4, s5
	v_cmp_eq_u32_e64 s6, 7, v79
	v_cndmask_b32_e64 v7, v13, v4, s7
	v_cndmask_b32_e64 v3, v3, v8, s7
	v_cndmask_b32_e32 v2, v2, v16, vcc_lo
	v_cmp_eq_u32_e64 s4, 7, v77
	v_cndmask_b32_e64 v4, v10, v8, s5
	v_cndmask_b32_e64 v5, v5, v12, s3
	v_cndmask_b32_e32 v1, v1, v12, vcc_lo
	v_cndmask_b32_e64 v6, v6, v16, s3
	v_cmp_lt_u32_e32 vcc_lo, 31, v0
	v_cmp_lt_u32_e64 s3, 7, v73
	v_cndmask_b32_e64 v9, v9, v12, s6
	v_cndmask_b32_e64 v7, v7, v12, s4
	;; [unrolled: 1-line block ×4, first 2 shown]
	s_or_b32 s3, vcc_lo, s3
	v_perm_b32 v4, v2, v1, 0x5040100
	v_perm_b32 v1, v6, v5, 0x5040100
	;; [unrolled: 1-line block ×4, first 2 shown]
	s_or_b32 s2, s2, s3
	s_delay_alu instid0(SALU_CYCLE_1)
	s_xor_b32 s2, s2, -1
	ds_store_b128 v81, v[1:4]
	s_waitcnt lgkmcnt(0)
	s_barrier
	buffer_gl0_inv
	s_and_saveexec_b32 s3, s2
	s_cbranch_execz .LBB906_2
; %bb.14:
	s_load_b64 s[0:1], s[0:1], 0x68
	v_lshlrev_b32_e32 v1, 10, v0
	v_and_b32_e32 v0, 1, v0
	v_lshlrev_b32_e32 v2, 6, v75
	s_lshl_b32 s4, s36, 6
	s_delay_alu instid0(VALU_DEP_3) | instskip(NEXT) | instid1(VALU_DEP_3)
	v_and_b32_e32 v1, 0x3800, v1
	v_lshlrev_b32_e32 v0, 4, v0
	s_mul_i32 s2, s4, s34
	s_delay_alu instid0(SALU_CYCLE_1) | instskip(NEXT) | instid1(VALU_DEP_1)
	s_mul_i32 s2, s2, s37
	v_or3_b32 v0, v1, v2, v0
	s_ashr_i32 s3, s2, 31
	s_delay_alu instid0(SALU_CYCLE_1)
	s_lshl_b64 s[2:3], s[2:3], 1
	ds_load_b128 v[0:3], v0
	s_waitcnt lgkmcnt(0)
	s_add_u32 s5, s0, s2
	s_addc_u32 s3, s1, s3
	s_lshl_b32 s0, s14, 6
	s_mul_i32 s2, s4, s15
	s_ashr_i32 s1, s0, 31
	s_delay_alu instid0(SALU_CYCLE_1) | instskip(NEXT) | instid1(SALU_CYCLE_1)
	s_lshl_b64 s[0:1], s[0:1], 1
	s_add_u32 s4, s5, s0
	s_addc_u32 s5, s3, s1
	s_ashr_i32 s3, s2, 31
	s_delay_alu instid0(SALU_CYCLE_1) | instskip(NEXT) | instid1(SALU_CYCLE_1)
	s_lshl_b64 s[0:1], s[2:3], 1
	s_add_u32 s0, s4, s0
	s_addc_u32 s1, s5, s1
	global_store_b128 v74, v[0:3], s[0:1]
	s_nop 0
	s_sendmsg sendmsg(MSG_DEALLOC_VGPRS)
	s_endpgm
	.section	.rodata,"a",@progbits
	.p2align	6, 0x0
	.amdhsa_kernel _Z39paged_attention_ll4mi_QKV_mfma16_kernelIDF16_hLN4vllm18Fp8KVCacheDataTypeE1EDF16_Li32ELi64ELi256ELb1ELi1EL8MFMAType1EEvPKT_PKT0_S8_ifPKiSA_SA_iPKfiiiPfSD_PS3_PT2_iSC_SC_
		.amdhsa_group_segment_fixed_size 17472
		.amdhsa_private_segment_fixed_size 0
		.amdhsa_kernarg_size 400
		.amdhsa_user_sgpr_count 13
		.amdhsa_user_sgpr_dispatch_ptr 0
		.amdhsa_user_sgpr_queue_ptr 0
		.amdhsa_user_sgpr_kernarg_segment_ptr 1
		.amdhsa_user_sgpr_dispatch_id 0
		.amdhsa_user_sgpr_private_segment_size 0
		.amdhsa_wavefront_size32 1
		.amdhsa_uses_dynamic_stack 0
		.amdhsa_enable_private_segment 0
		.amdhsa_system_sgpr_workgroup_id_x 1
		.amdhsa_system_sgpr_workgroup_id_y 1
		.amdhsa_system_sgpr_workgroup_id_z 1
		.amdhsa_system_sgpr_workgroup_info 0
		.amdhsa_system_vgpr_workitem_id 0
		.amdhsa_next_free_vgpr 144
		.amdhsa_next_free_sgpr 50
		.amdhsa_reserve_vcc 1
		.amdhsa_float_round_mode_32 0
		.amdhsa_float_round_mode_16_64 0
		.amdhsa_float_denorm_mode_32 3
		.amdhsa_float_denorm_mode_16_64 3
		.amdhsa_dx10_clamp 1
		.amdhsa_ieee_mode 1
		.amdhsa_fp16_overflow 0
		.amdhsa_workgroup_processor_mode 1
		.amdhsa_memory_ordered 1
		.amdhsa_forward_progress 0
		.amdhsa_shared_vgpr_count 0
		.amdhsa_exception_fp_ieee_invalid_op 0
		.amdhsa_exception_fp_denorm_src 0
		.amdhsa_exception_fp_ieee_div_zero 0
		.amdhsa_exception_fp_ieee_overflow 0
		.amdhsa_exception_fp_ieee_underflow 0
		.amdhsa_exception_fp_ieee_inexact 0
		.amdhsa_exception_int_div_zero 0
	.end_amdhsa_kernel
	.section	.text._Z39paged_attention_ll4mi_QKV_mfma16_kernelIDF16_hLN4vllm18Fp8KVCacheDataTypeE1EDF16_Li32ELi64ELi256ELb1ELi1EL8MFMAType1EEvPKT_PKT0_S8_ifPKiSA_SA_iPKfiiiPfSD_PS3_PT2_iSC_SC_,"axG",@progbits,_Z39paged_attention_ll4mi_QKV_mfma16_kernelIDF16_hLN4vllm18Fp8KVCacheDataTypeE1EDF16_Li32ELi64ELi256ELb1ELi1EL8MFMAType1EEvPKT_PKT0_S8_ifPKiSA_SA_iPKfiiiPfSD_PS3_PT2_iSC_SC_,comdat
.Lfunc_end906:
	.size	_Z39paged_attention_ll4mi_QKV_mfma16_kernelIDF16_hLN4vllm18Fp8KVCacheDataTypeE1EDF16_Li32ELi64ELi256ELb1ELi1EL8MFMAType1EEvPKT_PKT0_S8_ifPKiSA_SA_iPKfiiiPfSD_PS3_PT2_iSC_SC_, .Lfunc_end906-_Z39paged_attention_ll4mi_QKV_mfma16_kernelIDF16_hLN4vllm18Fp8KVCacheDataTypeE1EDF16_Li32ELi64ELi256ELb1ELi1EL8MFMAType1EEvPKT_PKT0_S8_ifPKiSA_SA_iPKfiiiPfSD_PS3_PT2_iSC_SC_
                                        ; -- End function
	.section	.AMDGPU.csdata,"",@progbits
; Kernel info:
; codeLenInByte = 6224
; NumSgprs: 52
; NumVgprs: 144
; ScratchSize: 0
; MemoryBound: 1
; FloatMode: 240
; IeeeMode: 1
; LDSByteSize: 17472 bytes/workgroup (compile time only)
; SGPRBlocks: 6
; VGPRBlocks: 17
; NumSGPRsForWavesPerEU: 52
; NumVGPRsForWavesPerEU: 144
; Occupancy: 10
; WaveLimiterHint : 1
; COMPUTE_PGM_RSRC2:SCRATCH_EN: 0
; COMPUTE_PGM_RSRC2:USER_SGPR: 13
; COMPUTE_PGM_RSRC2:TRAP_HANDLER: 0
; COMPUTE_PGM_RSRC2:TGID_X_EN: 1
; COMPUTE_PGM_RSRC2:TGID_Y_EN: 1
; COMPUTE_PGM_RSRC2:TGID_Z_EN: 1
; COMPUTE_PGM_RSRC2:TIDIG_COMP_CNT: 0
	.section	.text._Z39paged_attention_ll4mi_QKV_mfma16_kernelIDF16_hLN4vllm18Fp8KVCacheDataTypeE1EDF16_Li32ELi64ELi256ELb1ELi2EL8MFMAType1EEvPKT_PKT0_S8_ifPKiSA_SA_iPKfiiiPfSD_PS3_PT2_iSC_SC_,"axG",@progbits,_Z39paged_attention_ll4mi_QKV_mfma16_kernelIDF16_hLN4vllm18Fp8KVCacheDataTypeE1EDF16_Li32ELi64ELi256ELb1ELi2EL8MFMAType1EEvPKT_PKT0_S8_ifPKiSA_SA_iPKfiiiPfSD_PS3_PT2_iSC_SC_,comdat
	.protected	_Z39paged_attention_ll4mi_QKV_mfma16_kernelIDF16_hLN4vllm18Fp8KVCacheDataTypeE1EDF16_Li32ELi64ELi256ELb1ELi2EL8MFMAType1EEvPKT_PKT0_S8_ifPKiSA_SA_iPKfiiiPfSD_PS3_PT2_iSC_SC_ ; -- Begin function _Z39paged_attention_ll4mi_QKV_mfma16_kernelIDF16_hLN4vllm18Fp8KVCacheDataTypeE1EDF16_Li32ELi64ELi256ELb1ELi2EL8MFMAType1EEvPKT_PKT0_S8_ifPKiSA_SA_iPKfiiiPfSD_PS3_PT2_iSC_SC_
	.globl	_Z39paged_attention_ll4mi_QKV_mfma16_kernelIDF16_hLN4vllm18Fp8KVCacheDataTypeE1EDF16_Li32ELi64ELi256ELb1ELi2EL8MFMAType1EEvPKT_PKT0_S8_ifPKiSA_SA_iPKfiiiPfSD_PS3_PT2_iSC_SC_
	.p2align	8
	.type	_Z39paged_attention_ll4mi_QKV_mfma16_kernelIDF16_hLN4vllm18Fp8KVCacheDataTypeE1EDF16_Li32ELi64ELi256ELb1ELi2EL8MFMAType1EEvPKT_PKT0_S8_ifPKiSA_SA_iPKfiiiPfSD_PS3_PT2_iSC_SC_,@function
_Z39paged_attention_ll4mi_QKV_mfma16_kernelIDF16_hLN4vllm18Fp8KVCacheDataTypeE1EDF16_Li32ELi64ELi256ELb1ELi2EL8MFMAType1EEvPKT_PKT0_S8_ifPKiSA_SA_iPKfiiiPfSD_PS3_PT2_iSC_SC_: ; @_Z39paged_attention_ll4mi_QKV_mfma16_kernelIDF16_hLN4vllm18Fp8KVCacheDataTypeE1EDF16_Li32ELi64ELi256ELb1ELi2EL8MFMAType1EEvPKT_PKT0_S8_ifPKiSA_SA_iPKfiiiPfSD_PS3_PT2_iSC_SC_
; %bb.0:
	s_load_b64 s[2:3], s[0:1], 0x30
	s_mov_b32 s30, s13
	s_waitcnt lgkmcnt(0)
	s_cmp_lg_u64 s[2:3], 0
	s_cselect_b32 s6, -1, 0
	s_ashr_i32 s31, s13, 31
	s_cmp_eq_u64 s[2:3], 0
	s_cbranch_scc1 .LBB907_3
; %bb.1:
	s_lshl_b64 s[4:5], s[30:31], 2
	s_delay_alu instid0(SALU_CYCLE_1) | instskip(SKIP_4) | instid1(SALU_CYCLE_1)
	s_add_u32 s4, s2, s4
	s_addc_u32 s5, s3, s5
	s_load_b64 s[4:5], s[4:5], 0x0
	s_waitcnt lgkmcnt(0)
	s_sub_i32 s4, s5, s4
	s_cmp_eq_u32 s4, 1
	s_cselect_b32 s4, -1, 0
	s_delay_alu instid0(SALU_CYCLE_1)
	s_and_not1_b32 vcc_lo, exec_lo, s4
	s_cbranch_vccz .LBB907_4
.LBB907_2:
	s_endpgm
.LBB907_3:
.LBB907_4:
	s_load_b64 s[8:9], s[0:1], 0x28
	s_lshl_b64 s[4:5], s[30:31], 2
	s_waitcnt lgkmcnt(0)
	s_add_u32 s8, s8, s4
	s_addc_u32 s9, s9, s5
	s_lshl_b32 s16, s14, 8
	s_load_b32 s17, s[8:9], 0x0
	s_waitcnt lgkmcnt(0)
	s_cmp_ge_i32 s16, s17
	s_cbranch_scc1 .LBB907_2
; %bb.5:
	s_clause 0x1
	s_load_b128 s[8:11], s[0:1], 0x8
	s_load_b64 s[12:13], s[0:1], 0x20
	s_and_not1_b32 vcc_lo, exec_lo, s6
	s_cbranch_vccnz .LBB907_7
; %bb.6:
	s_add_u32 s2, s2, s4
	s_addc_u32 s3, s3, s5
	s_load_b32 s3, s[2:3], 0x0
	s_branch .LBB907_8
.LBB907_7:
	s_mov_b32 s3, s30
.LBB907_8:
	s_load_b128 s[4:7], s[0:1], 0x48
	v_and_b32_e32 v70, 15, v0
	v_bfe_u32 v69, v0, 4, 1
	s_lshl_b32 s33, s15, 1
	v_cmp_gt_u32_e32 vcc_lo, 32, v0
	v_and_b32_e32 v71, 31, v0
	v_lshlrev_b32_e32 v1, 3, v70
	v_cmp_gt_u32_e64 s2, 8, v70
	v_and_b32_e32 v68, 1, v0
	v_or_b32_e32 v67, s33, v69
	v_lshlrev_b32_e32 v66, 6, v69
	v_lshlrev_b32_e32 v65, 1, v1
	s_and_b32 s31, vcc_lo, s2
	s_delay_alu instid0(SALU_CYCLE_1)
	s_and_saveexec_b32 s2, s31
	s_cbranch_execz .LBB907_10
; %bb.9:
	s_load_b64 s[18:19], s[0:1], 0x0
	v_lshlrev_b32_e32 v1, 6, v67
	s_waitcnt lgkmcnt(0)
	s_mul_hi_i32 s21, s3, s4
	s_mul_i32 s20, s3, s4
	v_lshlrev_b32_e32 v5, 10, v70
	s_lshl_b64 s[20:21], s[20:21], 1
	v_ashrrev_i32_e32 v2, 31, v1
	v_lshlrev_b32_e32 v6, 10, v68
	s_delay_alu instid0(VALU_DEP_3) | instskip(NEXT) | instid1(VALU_DEP_3)
	v_and_b32_e32 v5, 0x3800, v5
	v_lshlrev_b64 v[1:2], 1, v[1:2]
	s_delay_alu instid0(VALU_DEP_2) | instskip(SKIP_2) | instid1(VALU_DEP_2)
	v_or3_b32 v5, v5, v6, v66
	s_add_u32 s3, s18, s20
	s_addc_u32 s4, s19, s21
	v_add_co_u32 v1, vcc_lo, s3, v1
	s_delay_alu instid0(VALU_DEP_3) | instskip(NEXT) | instid1(VALU_DEP_2)
	v_add_co_ci_u32_e32 v2, vcc_lo, s4, v2, vcc_lo
	v_add_co_u32 v1, vcc_lo, v1, v65
	s_delay_alu instid0(VALU_DEP_2)
	v_add_co_ci_u32_e32 v2, vcc_lo, 0, v2, vcc_lo
	global_load_b128 v[1:4], v[1:2], off
	s_waitcnt vmcnt(0)
	ds_store_b128 v5, v[1:4]
.LBB907_10:
	s_or_b32 exec_lo, exec_lo, s2
	v_and_b32_e32 v1, 0xef, v0
	s_add_i32 s2, s17, 31
	s_waitcnt lgkmcnt(0)
	s_clause 0x1
	s_load_b32 s3, s[0:1], 0x38
	s_load_b32 s34, s[0:1], 0x98
	s_ashr_i32 s4, s2, 31
	v_add_nc_u32_e32 v1, s16, v1
	s_lshr_b32 s4, s4, 27
	s_load_b32 s18, s[0:1], 0x1c
	s_add_i32 s2, s2, s4
	s_waitcnt lgkmcnt(0)
	v_ashrrev_i32_e32 v2, 31, v1
	v_or_b32_e32 v3, 16, v1
	s_ashr_i32 s2, s2, 5
	v_cmp_gt_i32_e32 vcc_lo, s17, v1
	s_add_i32 s2, s2, -1
	v_lshrrev_b32_e32 v2, 27, v2
	s_barrier
	buffer_gl0_inv
	s_mul_i32 s15, s15, s6
	v_lshrrev_b32_e32 v72, 5, v0
	v_add_nc_u32_e32 v4, v1, v2
	v_mbcnt_lo_u32_b32 v129, -1, 0
	s_mul_i32 s20, s30, s3
	v_and_b32_e32 v105, 0xe0, v0
	s_ashr_i32 s21, s20, 31
	v_ashrrev_i32_e32 v4, 5, v4
	v_add_nc_u32_e32 v2, v3, v2
	s_lshl_b64 s[20:21], s[20:21], 2
	v_xor_b32_e32 v130, 16, v129
	s_add_u32 s19, s12, s20
	v_cndmask_b32_e32 v1, s2, v4, vcc_lo
	v_ashrrev_i32_e32 v2, 5, v2
	v_cmp_gt_i32_e32 vcc_lo, s17, v3
	s_addc_u32 s12, s13, s21
	s_ashr_i32 s13, s15, 31
	s_add_u32 s20, s8, s15
	s_addc_u32 s21, s9, s13
	v_cndmask_b32_e32 v3, s2, v2, vcc_lo
	v_ashrrev_i32_e32 v2, 31, v1
	s_lshl_b32 s6, s14, 3
	v_add_nc_u32_e32 v121, s16, v105
	s_ashr_i32 s7, s6, 31
	v_ashrrev_i32_e32 v4, 31, v3
	v_lshlrev_b64 v[1:2], 2, v[1:2]
	s_lshl_b64 s[6:7], s[6:7], 2
	v_or_b32_e32 v137, v121, v69
	s_add_u32 s6, s19, s6
	v_lshlrev_b64 v[3:4], 2, v[3:4]
	s_addc_u32 s7, s12, s7
	v_add_co_u32 v1, vcc_lo, s19, v1
	v_add_co_ci_u32_e32 v2, vcc_lo, s12, v2, vcc_lo
	s_delay_alu instid0(VALU_DEP_3) | instskip(NEXT) | instid1(VALU_DEP_4)
	v_add_co_u32 v3, vcc_lo, s19, v3
	v_add_co_ci_u32_e32 v4, vcc_lo, s12, v4, vcc_lo
	s_clause 0x1
	global_load_b32 v5, v[1:2], off
	global_load_b32 v6, v[3:4], off
	s_or_b32 s3, s16, 32
	v_or_b32_e32 v139, 2, v137
	s_ashr_i32 s4, s3, 5
	s_cmp_lt_i32 s3, s17
	v_or_b32_e32 v140, 4, v137
	s_cselect_b32 s8, s4, s2
	v_or_b32_e32 v141, 6, v137
	s_ashr_i32 s9, s8, 31
	v_or_b32_e32 v142, 8, v137
	s_lshl_b64 s[8:9], s[8:9], 2
	v_or_b32_e32 v143, 10, v137
	s_add_u32 s22, s19, s8
	s_addc_u32 s23, s12, s9
	s_or_b32 s3, s16, 64
	v_or_b32_e32 v144, 12, v137
	s_ashr_i32 s4, s3, 5
	s_cmp_lt_i32 s3, s17
	v_or_b32_e32 v145, 14, v137
	s_cselect_b32 s8, s4, s2
	v_or_b32_e32 v146, 16, v137
	s_ashr_i32 s9, s8, 31
	v_or_b32_e32 v147, 18, v137
	s_lshl_b64 s[8:9], s[8:9], 2
	s_delay_alu instid0(SALU_CYCLE_1) | instskip(SKIP_2) | instid1(SALU_CYCLE_1)
	s_add_u32 s24, s19, s8
	s_addc_u32 s25, s12, s9
	s_or_b32 s3, s16, 0x60
	s_ashr_i32 s4, s3, 5
	s_cmp_lt_i32 s3, s17
	s_cselect_b32 s8, s4, s2
	s_delay_alu instid0(SALU_CYCLE_1) | instskip(NEXT) | instid1(SALU_CYCLE_1)
	s_ashr_i32 s9, s8, 31
	s_lshl_b64 s[8:9], s[8:9], 2
	s_delay_alu instid0(SALU_CYCLE_1) | instskip(SKIP_2) | instid1(SALU_CYCLE_1)
	s_add_u32 s26, s19, s8
	s_addc_u32 s27, s12, s9
	s_or_b32 s3, s16, 0x80
	s_ashr_i32 s4, s3, 5
	s_cmp_lt_i32 s3, s17
	s_cselect_b32 s8, s4, s2
	s_delay_alu instid0(SALU_CYCLE_1) | instskip(NEXT) | instid1(SALU_CYCLE_1)
	s_ashr_i32 s9, s8, 31
	;; [unrolled: 10-line block ×3, first 2 shown]
	s_lshl_b64 s[8:9], s[8:9], 2
	s_delay_alu instid0(SALU_CYCLE_1)
	s_add_u32 s36, s19, s8
	s_addc_u32 s37, s12, s9
	s_clause 0x5
	s_load_b32 s9, s[6:7], 0x0
	s_load_b32 s3, s[22:23], 0x0
	;; [unrolled: 1-line block ×6, first 2 shown]
	s_waitcnt vmcnt(1)
	v_mad_i64_i32 v[1:2], null, v5, s5, s[20:21]
	v_lshlrev_b32_e32 v5, 4, v70
	s_waitcnt vmcnt(0)
	v_mad_i64_i32 v[3:4], null, v6, s5, s[20:21]
	s_or_b32 s20, s16, 0xc0
	s_delay_alu instid0(SALU_CYCLE_1) | instskip(NEXT) | instid1(VALU_DEP_3)
	s_ashr_i32 s21, s20, 5
	v_add_co_u32 v1, vcc_lo, v1, v5
	s_delay_alu instid0(VALU_DEP_4) | instskip(NEXT) | instid1(VALU_DEP_3)
	v_add_co_ci_u32_e32 v2, vcc_lo, 0, v2, vcc_lo
	v_add_co_u32 v3, vcc_lo, v3, v5
	s_delay_alu instid0(VALU_DEP_4)
	v_add_co_ci_u32_e32 v4, vcc_lo, 0, v4, vcc_lo
	s_clause 0x7
	global_load_b128 v[73:76], v[1:2], off
	global_load_b128 v[77:80], v[1:2], off offset:512
	global_load_b128 v[81:84], v[3:4], off offset:256
	;; [unrolled: 1-line block ×7, first 2 shown]
	s_cmp_lt_i32 s20, s17
	v_lshlrev_b32_e32 v1, 5, v70
	s_cselect_b32 s20, s21, s2
	v_cmp_gt_i32_e32 vcc_lo, 32, v130
	s_ashr_i32 s21, s20, 31
	v_lshlrev_b32_e32 v117, 6, v68
	s_lshl_b64 s[20:21], s[20:21], 2
	v_lshl_or_b32 v1, v72, 9, v1
	v_cndmask_b32_e32 v138, v129, v130, vcc_lo
	s_add_u32 s20, s19, s20
	s_addc_u32 s21, s12, s21
	s_or_b32 s22, s16, 0xe0
	v_cmp_gt_i32_e32 vcc_lo, s17, v137
	s_ashr_i32 s23, s22, 5
	s_cmp_lt_i32 s22, s17
	s_cselect_b32 s22, s23, s2
	s_load_b32 s2, s[20:21], 0x0
	s_ashr_i32 s23, s22, 31
	s_delay_alu instid0(SALU_CYCLE_1) | instskip(NEXT) | instid1(SALU_CYCLE_1)
	s_lshl_b64 s[22:23], s[22:23], 2
	s_add_u32 s20, s19, s22
	s_addc_u32 s21, s12, s23
	s_add_u32 s10, s10, s15
	s_addc_u32 s11, s11, s13
	v_add_co_u32 v1, s10, s10, v1
	s_delay_alu instid0(VALU_DEP_1) | instskip(SKIP_2) | instid1(VALU_DEP_1)
	v_add_co_ci_u32_e64 v2, null, s11, 0, s10
	s_load_b32 s10, s[20:21], 0x0
	s_waitcnt lgkmcnt(0)
	v_mad_i64_i32 v[3:4], null, s9, s5, v[1:2]
	v_mad_i64_i32 v[9:10], null, s6, s5, v[1:2]
	;; [unrolled: 1-line block ×7, first 2 shown]
	s_clause 0x5
	global_load_b128 v[49:52], v[3:4], off
	global_load_b128 v[53:56], v[3:4], off offset:16
	global_load_b128 v[41:44], v[5:6], off
	global_load_b128 v[45:48], v[5:6], off offset:16
	;; [unrolled: 2-line block ×3, first 2 shown]
	s_mov_b32 s4, 0
	v_cmp_gt_i32_e64 s2, s17, v139
	v_mad_i64_i32 v[61:62], null, s10, s5, v[1:2]
	s_clause 0x9
	global_load_b128 v[1:4], v[9:10], off
	global_load_b128 v[5:8], v[9:10], off offset:16
	global_load_b128 v[9:12], v[13:14], off
	global_load_b128 v[13:16], v[13:14], off offset:16
	;; [unrolled: 2-line block ×5, first 2 shown]
	ds_load_b128 v[105:108], v117
	ds_load_b128 v[109:112], v117 offset:1024
	ds_load_b128 v[113:116], v117 offset:2048
	;; [unrolled: 1-line block ×3, first 2 shown]
	s_mov_b32 s11, s4
	s_mov_b32 s5, s4
	s_mov_b32 s6, s4
	s_mov_b32 s7, s4
	s_mov_b32 s8, s4
	s_mov_b32 s9, s4
	s_mov_b32 s10, s4
	s_delay_alu instid0(SALU_CYCLE_1)
	v_dual_mov_b32 v128, s11 :: v_dual_mov_b32 v127, s10
	v_dual_mov_b32 v126, s9 :: v_dual_mov_b32 v125, s8
	;; [unrolled: 1-line block ×4, first 2 shown]
	v_cmp_gt_i32_e64 s3, s17, v140
	v_cmp_gt_i32_e64 s4, s17, v141
	;; [unrolled: 1-line block ×8, first 2 shown]
	s_waitcnt vmcnt(0) lgkmcnt(0)
	s_barrier
	buffer_gl0_inv
	v_wmma_f32_16x16x16_f16 v[129:136], v[73:80], v[105:112], v[121:128]
	v_wmma_f32_16x16x16_f16 v[121:128], v[81:88], v[105:112], v[121:128]
	v_or_b32_e32 v73, 20, v137
	v_or_b32_e32 v74, 22, v137
	s_delay_alu instid0(VALU_DEP_4)
	v_wmma_f32_16x16x16_f16 v[129:136], v[89:96], v[113:120], v[129:136]
	v_or_b32_e32 v75, 24, v137
	v_wmma_f32_16x16x16_f16 v[121:128], v[97:104], v[113:120], v[121:128]
	v_or_b32_e32 v76, 26, v137
	v_cmp_gt_i32_e64 s11, s17, v73
	v_dual_mul_f32 v85, s18, v130 :: v_dual_mul_f32 v86, s18, v129
	s_delay_alu instid0(VALU_DEP_4) | instskip(SKIP_1) | instid1(VALU_DEP_3)
	v_dual_mul_f32 v83, s18, v132 :: v_dual_mul_f32 v94, s18, v121
	v_mul_f32_e32 v84, s18, v131
	v_cndmask_b32_e64 v85, 0xff7fffff, v85, s2
	s_delay_alu instid0(VALU_DEP_4)
	v_cndmask_b32_e32 v86, 0xff7fffff, v86, vcc_lo
	v_dual_mul_f32 v81, s18, v134 :: v_dual_mul_f32 v92, s18, v123
	v_mul_f32_e32 v82, s18, v133
	v_cndmask_b32_e64 v84, 0xff7fffff, v84, s3
	v_cndmask_b32_e64 v83, 0xff7fffff, v83, s4
	v_max3_f32 v85, v86, 0xff7fffff, v85
	v_dual_mul_f32 v79, s18, v136 :: v_dual_mul_f32 v90, s18, v125
	v_mul_f32_e32 v80, s18, v135
	v_cndmask_b32_e64 v82, 0xff7fffff, v82, s5
	v_cndmask_b32_e64 v81, 0xff7fffff, v81, s6
	v_max3_f32 v83, v85, v84, v83
	v_mul_f32_e32 v93, s18, v122
	v_cndmask_b32_e64 v80, 0xff7fffff, v80, s7
	v_cndmask_b32_e64 v79, 0xff7fffff, v79, s8
	v_mul_f32_e32 v91, s18, v124
	v_max3_f32 v81, v83, v82, v81
	v_cndmask_b32_e64 v82, 0xff7fffff, v94, s9
	v_cndmask_b32_e64 v83, 0xff7fffff, v93, s10
	v_cmp_gt_i32_e64 s12, s17, v74
	v_or_b32_e32 v77, 28, v137
	v_max3_f32 v79, v81, v80, v79
	v_or_b32_e32 v78, 30, v137
	v_mul_f32_e32 v89, s18, v126
	v_cndmask_b32_e64 v73, 0xff7fffff, v92, s11
	v_cndmask_b32_e64 v74, 0xff7fffff, v91, s12
	v_max3_f32 v79, v79, v82, v83
	v_cmp_gt_i32_e64 s13, s17, v75
	v_cmp_gt_i32_e64 s15, s17, v76
	v_dual_mul_f32 v87, s18, v128 :: v_dual_mul_f32 v88, s18, v127
	s_delay_alu instid0(VALU_DEP_4) | instskip(NEXT) | instid1(VALU_DEP_4)
	v_max3_f32 v73, v79, v73, v74
	v_cndmask_b32_e64 v75, 0xff7fffff, v90, s13
	s_delay_alu instid0(VALU_DEP_4) | instskip(SKIP_2) | instid1(VALU_DEP_3)
	v_cndmask_b32_e64 v76, 0xff7fffff, v89, s15
	v_cmp_gt_i32_e64 s16, s17, v77
	v_cmp_gt_i32_e64 s17, s17, v78
	v_max3_f32 v73, v73, v75, v76
	s_delay_alu instid0(VALU_DEP_3) | instskip(NEXT) | instid1(VALU_DEP_3)
	v_cndmask_b32_e64 v74, 0xff7fffff, v88, s16
	v_cndmask_b32_e64 v77, 0xff7fffff, v87, s17
	v_lshlrev_b32_e32 v75, 2, v138
	s_delay_alu instid0(VALU_DEP_2) | instskip(SKIP_3) | instid1(VALU_DEP_1)
	v_max3_f32 v73, v73, v74, v77
	ds_bpermute_b32 v74, v75, v73
	s_waitcnt lgkmcnt(0)
	v_max_f32_e32 v74, v74, v74
	v_max_f32_e32 v73, v73, v74
	s_delay_alu instid0(VALU_DEP_1)
	v_fma_f32 v74, s18, v129, -v73
	v_fma_f32 v76, s18, v130, -v73
	;; [unrolled: 1-line block ×5, first 2 shown]
	v_mul_f32_e32 v74, 0x3fb8aa3b, v74
	s_delay_alu instid0(VALU_DEP_4) | instskip(NEXT) | instid1(VALU_DEP_4)
	v_dual_mul_f32 v76, 0x3fb8aa3b, v76 :: v_dual_mul_f32 v77, 0x3fb8aa3b, v77
	v_mul_f32_e32 v78, 0x3fb8aa3b, v78
	s_delay_alu instid0(VALU_DEP_4) | instskip(NEXT) | instid1(VALU_DEP_4)
	v_mul_f32_e32 v80, 0x3fb8aa3b, v80
	v_exp_f32_e32 v74, v74
	s_delay_alu instid0(VALU_DEP_3) | instskip(SKIP_4) | instid1(VALU_DEP_1)
	v_exp_f32_e32 v76, v76
	v_exp_f32_e32 v77, v77
	;; [unrolled: 1-line block ×3, first 2 shown]
	v_fma_f32 v83, s18, v135, -v73
	v_exp_f32_e32 v84, v80
	v_mul_f32_e32 v83, 0x3fb8aa3b, v83
	v_cndmask_b32_e32 v79, 0, v74, vcc_lo
	v_fma_f32 v74, s18, v134, -v73
	v_cndmask_b32_e64 v78, 0, v76, s2
	s_delay_alu instid0(TRANS32_DEP_3) | instskip(NEXT) | instid1(TRANS32_DEP_2)
	v_cndmask_b32_e64 v81, 0, v77, s3
	v_cndmask_b32_e64 v80, 0, v82, s4
	v_add_f32_e32 v76, 0, v79
	v_mul_f32_e32 v74, 0x3fb8aa3b, v74
	v_fma_f32 v82, s18, v121, -v73
	v_exp_f32_e32 v85, v83
	v_cndmask_b32_e64 v83, 0, v84, s5
	v_add_f32_e32 v76, v76, v78
	v_exp_f32_e32 v74, v74
	v_mul_f32_e32 v86, 0x3fb8aa3b, v82
	s_mov_b32 s2, exec_lo
	s_delay_alu instid0(VALU_DEP_2) | instskip(SKIP_4) | instid1(VALU_DEP_2)
	v_add_f32_e32 v76, v76, v81
	s_waitcnt_depctr 0xfff
	v_cndmask_b32_e64 v85, 0, v85, s7
	v_add_f32_e32 v76, v76, v80
	v_cndmask_b32_e64 v82, 0, v74, s6
	v_add_f32_e32 v74, v76, v83
	v_fma_f32 v77, s18, v136, -v73
	v_fma_f32 v84, s18, v122, -v73
	;; [unrolled: 1-line block ×5, first 2 shown]
	s_delay_alu instid0(VALU_DEP_4) | instskip(NEXT) | instid1(VALU_DEP_3)
	v_dual_mul_f32 v77, 0x3fb8aa3b, v77 :: v_dual_mul_f32 v84, 0x3fb8aa3b, v84
	v_dual_mul_f32 v76, 0x3fb8aa3b, v76 :: v_dual_mul_f32 v89, 0x3fb8aa3b, v87
	v_exp_f32_e32 v86, v86
	s_delay_alu instid0(VALU_DEP_2) | instskip(NEXT) | instid1(VALU_DEP_2)
	v_exp_f32_e32 v77, v77
	v_exp_f32_e32 v88, v84
	s_delay_alu instid0(VALU_DEP_1)
	v_exp_f32_e32 v76, v76
	v_exp_f32_e32 v91, v89
	v_fma_f32 v90, s18, v126, -v73
	v_cndmask_b32_e64 v87, 0, v86, s9
	v_cndmask_b32_e64 v84, 0, v77, s8
	v_fma_f32 v77, s18, v125, -v73
	v_add_f32_e32 v74, v74, v82
	s_delay_alu instid0(TRANS32_DEP_3) | instskip(SKIP_1) | instid1(TRANS32_DEP_2)
	v_cndmask_b32_e64 v86, 0, v88, s10
	v_fma_f32 v88, s18, v127, -v73
	v_cndmask_b32_e64 v89, 0, v76, s11
	v_mul_f32_e32 v77, 0x3fb8aa3b, v77
	v_add_f32_e32 v74, v74, v85
	v_mul_f32_e32 v90, 0x3fb8aa3b, v90
	v_mul_f32_e32 v76, 0x3fb8aa3b, v88
	v_cndmask_b32_e64 v88, 0, v91, s12
	v_exp_f32_e32 v77, v77
	s_delay_alu instid0(VALU_DEP_3) | instskip(NEXT) | instid1(VALU_DEP_2)
	v_exp_f32_e32 v90, v90
	v_exp_f32_e32 v76, v76
	s_delay_alu instid0(TRANS32_DEP_3)
	v_cndmask_b32_e64 v91, 0, v77, s13
	v_mul_f32_e32 v77, 0x3fb8aa3b, v92
	v_add_f32_e32 v74, v74, v84
	s_waitcnt_depctr 0xfff
	v_cndmask_b32_e64 v90, 0, v90, s15
	v_cndmask_b32_e64 v93, 0, v76, s16
	v_exp_f32_e32 v77, v77
	v_add_f32_e32 v74, v74, v87
	s_delay_alu instid0(VALU_DEP_1) | instskip(SKIP_3) | instid1(VALU_DEP_1)
	v_add_f32_e32 v74, v74, v86
	s_waitcnt_depctr 0xfff
	v_cndmask_b32_e64 v92, 0, v77, s17
	v_add_f32_e32 v74, v74, v89
	v_add_f32_e32 v74, v74, v88
	s_delay_alu instid0(VALU_DEP_1) | instskip(NEXT) | instid1(VALU_DEP_1)
	v_add_f32_e32 v74, v74, v91
	v_add_f32_e32 v74, v74, v90
	s_delay_alu instid0(VALU_DEP_1) | instskip(NEXT) | instid1(VALU_DEP_1)
	v_add_f32_e32 v74, v74, v93
	v_add_f32_e32 v74, v74, v92
	ds_bpermute_b32 v75, v75, v74
	v_cmpx_gt_u32_e32 16, v71
	s_cbranch_execz .LBB907_12
; %bb.11:
	v_mul_u32_u24_e32 v71, 0x44, v72
	s_waitcnt lgkmcnt(0)
	v_add_f32_e32 v74, v74, v75
	s_delay_alu instid0(VALU_DEP_2) | instskip(NEXT) | instid1(VALU_DEP_1)
	v_lshl_add_u32 v71, v70, 2, v71
	v_add_nc_u32_e32 v71, 0x4000, v71
	ds_store_2addr_b32 v71, v73, v74 offset1:136
.LBB907_12:
	s_or_b32 exec_lo, exec_lo, s2
	v_lshlrev_b32_e32 v71, 2, v70
	s_load_b32 s35, s[0:1], 0x94
	s_waitcnt lgkmcnt(0)
	s_barrier
	buffer_gl0_inv
	v_add_nc_u32_e32 v71, 0x4000, v71
	v_cmp_eq_u32_e32 vcc_lo, 1, v72
	v_cmp_eq_u32_e64 s2, 2, v72
	v_cmp_eq_u32_e64 s3, 3, v72
	;; [unrolled: 1-line block ×3, first 2 shown]
	ds_load_2addr_b32 v[73:74], v71 offset1:17
	ds_load_2addr_b32 v[94:95], v71 offset0:34 offset1:51
	ds_load_2addr_b32 v[96:97], v71 offset0:68 offset1:85
	;; [unrolled: 1-line block ×3, first 2 shown]
	v_cmp_eq_u32_e64 s5, 5, v72
	v_cmp_eq_u32_e64 s6, 7, v72
	s_waitcnt lgkmcnt(3)
	v_max3_f32 v75, v73, 0xff7fffff, v74
	s_waitcnt lgkmcnt(2)
	s_delay_alu instid0(VALU_DEP_1) | instskip(SKIP_1) | instid1(VALU_DEP_1)
	v_max3_f32 v75, v75, v94, v95
	s_waitcnt lgkmcnt(1)
	v_max3_f32 v75, v75, v96, v97
	s_waitcnt lgkmcnt(0)
	s_delay_alu instid0(VALU_DEP_1) | instskip(NEXT) | instid1(VALU_DEP_1)
	v_max3_f32 v76, v75, v98, v99
	v_sub_f32_e32 v96, v96, v76
	ds_load_2addr_b32 v[100:101], v71 offset0:136 offset1:153
	v_sub_f32_e32 v73, v73, v76
	v_sub_f32_e32 v75, v74, v76
	;; [unrolled: 1-line block ×3, first 2 shown]
	v_mul_f32_e32 v105, 0x3fb8aa3b, v96
	s_delay_alu instid0(VALU_DEP_4)
	v_mul_f32_e32 v77, 0x3fb8aa3b, v73
	ds_load_2addr_b32 v[73:74], v71 offset0:170 offset1:187
	v_mul_f32_e32 v103, 0x3fb8aa3b, v94
	v_exp_f32_e32 v102, v77
	v_sub_f32_e32 v77, v95, v76
	ds_load_2addr_b32 v[94:95], v71 offset0:204 offset1:221
	v_exp_f32_e32 v103, v103
	v_mul_f32_e32 v104, 0x3fb8aa3b, v77
	s_waitcnt lgkmcnt(2)
	v_fma_f32 v77, v102, v100, 0
	v_dual_sub_f32 v100, v97, v76 :: v_dual_mul_f32 v75, 0x3fb8aa3b, v75
	ds_load_2addr_b32 v[96:97], v71 offset0:238 offset1:255
	v_sub_f32_e32 v71, v98, v76
	v_exp_f32_e32 v104, v104
	v_mul_f32_e32 v98, 0x3fb8aa3b, v100
	v_exp_f32_e32 v75, v75
	v_exp_f32_e32 v100, v105
	v_mul_f32_e32 v71, 0x3fb8aa3b, v71
	s_waitcnt lgkmcnt(0)
	v_exp_f32_e32 v98, v98
	s_barrier
	buffer_gl0_inv
	v_fmac_f32_e32 v77, v75, v101
	s_delay_alu instid0(VALU_DEP_1) | instskip(SKIP_2) | instid1(VALU_DEP_2)
	v_fmac_f32_e32 v77, v103, v73
	v_sub_f32_e32 v73, v99, v76
	v_exp_f32_e32 v99, v71
	v_fmac_f32_e32 v77, v104, v74
	s_delay_alu instid0(VALU_DEP_2) | instskip(NEXT) | instid1(VALU_DEP_2)
	v_dual_mul_f32 v73, 0x3fb8aa3b, v73 :: v_dual_lshlrev_b32 v74, 6, v70
	v_dual_fmac_f32 v77, v100, v94 :: v_dual_lshlrev_b32 v70, 2, v69
	s_delay_alu instid0(VALU_DEP_2) | instskip(SKIP_1) | instid1(VALU_DEP_3)
	v_exp_f32_e32 v94, v73
	v_cndmask_b32_e32 v73, v102, v75, vcc_lo
	v_lshl_or_b32 v75, v72, 11, v74
	s_delay_alu instid0(VALU_DEP_3) | instskip(SKIP_1) | instid1(VALU_DEP_3)
	v_cmp_eq_u32_e64 s7, 7, v70
	v_fmac_f32_e32 v77, v98, v95
	v_lshl_or_b32 v69, v69, 4, v75
	s_delay_alu instid0(VALU_DEP_2)
	v_fmac_f32_e32 v77, v99, v96
	s_delay_alu instid0(TRANS32_DEP_1) | instid1(VALU_DEP_1)
	v_fmac_f32_e32 v77, v94, v97
	s_delay_alu instid0(VALU_DEP_1) | instskip(NEXT) | instid1(VALU_DEP_1)
	v_add_f32_e32 v95, 0x358637bd, v77
	v_div_scale_f32 v96, null, v95, v95, 1.0
	v_div_scale_f32 v101, vcc_lo, 1.0, v95, 1.0
	s_delay_alu instid0(VALU_DEP_2) | instskip(SKIP_2) | instid1(VALU_DEP_1)
	v_rcp_f32_e32 v97, v96
	s_waitcnt_depctr 0xfff
	v_fma_f32 v71, -v96, v97, 1.0
	v_fmac_f32_e32 v97, v71, v97
	v_cndmask_b32_e64 v71, v73, v103, s2
	v_cmp_eq_u32_e64 s2, 6, v72
	v_or_b32_e32 v73, 1, v70
	v_or_b32_e32 v72, 3, v70
	v_mul_f32_e32 v102, v101, v97
	v_cndmask_b32_e64 v71, v71, v104, s3
	v_cmp_eq_u32_e64 s3, 1, v70
	v_cmp_eq_u32_e64 s8, 1, v73
	;; [unrolled: 1-line block ×3, first 2 shown]
	v_fma_f32 v103, -v96, v102, v101
	v_cndmask_b32_e64 v100, v71, v100, s4
	v_or_b32_e32 v71, 2, v70
	v_cmp_eq_u32_e64 s4, 2, v70
	v_cmp_eq_u32_e64 s11, 2, v73
	v_fmac_f32_e32 v102, v103, v97
	v_cndmask_b32_e64 v98, v100, v98, s5
	v_cmp_eq_u32_e64 s9, 1, v71
	v_cmp_eq_u32_e64 s13, 2, v71
	;; [unrolled: 1-line block ×3, first 2 shown]
	v_fma_f32 v96, -v96, v102, v101
	v_cndmask_b32_e64 v98, v98, v99, s2
	v_cmp_eq_u32_e64 s12, 3, v73
	v_cmp_eq_u32_e64 s17, 3, v72
	;; [unrolled: 1-line block ×3, first 2 shown]
	v_div_fmas_f32 v96, v96, v97, v102
	v_cndmask_b32_e64 v94, v98, v94, s6
	v_cmp_eq_u32_e32 vcc_lo, 3, v70
	v_cmp_eq_u32_e64 s16, 3, v71
	v_cmp_eq_u32_e64 s18, 4, v73
	v_div_fixup_f32 v95, v96, v95, 1.0
	v_cmp_eq_u32_e64 s21, 4, v72
	v_cmp_eq_u32_e64 s5, 5, v70
	v_cmp_eq_u32_e64 s19, 5, v73
	v_cmp_eq_u32_e64 s20, 4, v71
	v_mul_f32_e32 v102, v94, v95
	v_cmp_eq_u32_e64 s23, 5, v72
	v_cmp_eq_u32_e64 s22, 5, v71
	;; [unrolled: 1-line block ×4, first 2 shown]
	v_fma_mixlo_f16 v94, v102, v79, 0
	v_fma_mixlo_f16 v95, v102, v81, 0
	;; [unrolled: 1-line block ×8, first 2 shown]
	v_fma_mixhi_f16 v94, v102, v78, 0
	v_fma_mixhi_f16 v95, v102, v80, 0
	;; [unrolled: 1-line block ×8, first 2 shown]
	ds_store_b128 v69, v[94:97]
	ds_store_b128 v69, v[98:101] offset:1024
	s_waitcnt lgkmcnt(0)
	s_barrier
	buffer_gl0_inv
	ds_load_b128 v[78:81], v75
	ds_load_b128 v[82:85], v75 offset:16
	ds_load_b128 v[86:89], v75 offset:1024
	;; [unrolled: 1-line block ×3, first 2 shown]
	v_cmp_eq_u32_e64 s6, 6, v70
	v_cmp_eq_u32_e64 s25, 6, v71
	;; [unrolled: 1-line block ×5, first 2 shown]
	s_waitcnt lgkmcnt(3)
	v_lshrrev_b32_e32 v94, 16, v78
	s_waitcnt lgkmcnt(2)
	v_lshrrev_b32_e32 v98, 16, v82
	;; [unrolled: 2-line block ×4, first 2 shown]
	v_lshrrev_b32_e32 v95, 16, v79
	v_cndmask_b32_e64 v110, v78, v94, s3
	v_cndmask_b32_e64 v111, v82, v98, s3
	;; [unrolled: 1-line block ×8, first 2 shown]
	v_lshrrev_b32_e32 v99, 16, v83
	v_cndmask_b32_e64 v94, v86, v102, s3
	v_cndmask_b32_e64 v98, v90, v106, s3
	;; [unrolled: 1-line block ×15, first 2 shown]
	v_lshrrev_b32_e32 v103, 16, v87
	v_lshrrev_b32_e32 v107, 16, v91
	v_cndmask_b32_e64 v113, v115, v83, s13
	v_cndmask_b32_e64 v82, v94, v87, s4
	;; [unrolled: 1-line block ×7, first 2 shown]
	v_cndmask_b32_e32 v90, v102, v95, vcc_lo
	v_cndmask_b32_e32 v102, v106, v99, vcc_lo
	v_cndmask_b32_e64 v106, v110, v95, s12
	v_cndmask_b32_e64 v110, v111, v99, s12
	;; [unrolled: 1-line block ×4, first 2 shown]
	v_lshrrev_b32_e32 v96, 16, v80
	v_lshrrev_b32_e32 v100, 16, v84
	v_cndmask_b32_e64 v111, v112, v95, s16
	v_cndmask_b32_e64 v112, v113, v99, s16
	v_cndmask_b32_e32 v82, v82, v103, vcc_lo
	v_cndmask_b32_e32 v83, v83, v107, vcc_lo
	v_cndmask_b32_e64 v94, v94, v103, s12
	v_cndmask_b32_e64 v90, v90, v80, s2
	;; [unrolled: 1-line block ×7, first 2 shown]
	v_lshrrev_b32_e32 v104, 16, v88
	v_cndmask_b32_e64 v106, v111, v80, s20
	v_cndmask_b32_e64 v110, v112, v84, s20
	v_cndmask_b32_e64 v80, v82, v88, s2
	v_cndmask_b32_e64 v82, v83, v92, s2
	v_cndmask_b32_e64 v83, v94, v88, s18
	v_cndmask_b32_e64 v84, v90, v96, s5
	v_cndmask_b32_e64 v90, v95, v100, s5
	v_cndmask_b32_e64 v94, v99, v96, s19
	v_cndmask_b32_e64 v95, v102, v100, s19
	v_cndmask_b32_e64 v78, v78, v96, s23
	v_cndmask_b32_e64 v79, v79, v100, s23
	v_lshrrev_b32_e32 v97, 16, v81
	v_lshrrev_b32_e32 v101, 16, v85
	v_cndmask_b32_e64 v99, v106, v96, s22
	v_cndmask_b32_e64 v102, v110, v100, s22
	v_cndmask_b32_e64 v83, v83, v104, s19
	v_cndmask_b32_e64 v94, v94, v81, s24
	v_cndmask_b32_e64 v95, v95, v85, s24
	v_cndmask_b32_e64 v78, v78, v81, s26
	v_cndmask_b32_e64 v79, v79, v85, s26
	v_lshrrev_b32_e32 v105, 16, v89
	v_cndmask_b32_e64 v80, v80, v104, s5
	v_cndmask_b32_e64 v84, v84, v81, s6
	;; [unrolled: 1-line block ×16, first 2 shown]
	v_perm_b32 v81, v79, v78, 0x5040100
	v_perm_b32 v79, v95, v85, 0x5040100
	v_cndmask_b32_e64 v78, v119, v91, s13
	v_cndmask_b32_e64 v85, v117, v91, s11
	;; [unrolled: 1-line block ×3, first 2 shown]
	v_perm_b32 v80, v94, v90, 0x5040100
	v_cndmask_b32_e64 v90, v98, v103, s16
	v_cndmask_b32_e64 v86, v86, v103, s17
	;; [unrolled: 1-line block ×5, first 2 shown]
	v_lshrrev_b32_e32 v108, 16, v92
	v_cndmask_b32_e64 v90, v90, v88, s20
	v_cndmask_b32_e64 v86, v86, v88, s21
	;; [unrolled: 1-line block ×11, first 2 shown]
	v_lshrrev_b32_e32 v109, 16, v93
	v_cndmask_b32_e64 v82, v82, v93, s6
	v_cndmask_b32_e64 v88, v88, v89, s25
	;; [unrolled: 1-line block ×12, first 2 shown]
	v_perm_b32 v78, v84, v83, 0x5040100
	v_perm_b32 v85, v87, v86, 0x5040100
	;; [unrolled: 1-line block ×5, first 2 shown]
	s_lshl_b32 s7, s34, 1
	s_mov_b32 s2, exec_lo
	ds_store_b128 v69, v[78:81]
	ds_store_b128 v69, v[82:85] offset:1024
	v_cmpx_gt_u32_e32 2, v0
	s_cbranch_execz .LBB907_14
; %bb.13:
	v_or_b32_e32 v78, s33, v0
	s_load_b128 s[8:11], s[0:1], 0x58
	s_delay_alu instid0(VALU_DEP_1) | instskip(NEXT) | instid1(VALU_DEP_1)
	v_mad_u64_u32 v[79:80], null, s7, s30, v[78:79]
	v_mad_u64_u32 v[80:81], null, v79, s35, s[14:15]
	s_delay_alu instid0(VALU_DEP_1) | instskip(NEXT) | instid1(VALU_DEP_1)
	v_ashrrev_i32_e32 v81, 31, v80
	v_lshlrev_b64 v[78:79], 2, v[80:81]
	s_waitcnt lgkmcnt(0)
	s_delay_alu instid0(VALU_DEP_1) | instskip(NEXT) | instid1(VALU_DEP_2)
	v_add_co_u32 v80, vcc_lo, s10, v78
	v_add_co_ci_u32_e32 v81, vcc_lo, s11, v79, vcc_lo
	v_add_co_u32 v78, vcc_lo, s8, v78
	v_add_co_ci_u32_e32 v79, vcc_lo, s9, v79, vcc_lo
	global_store_b32 v[80:81], v76, off
	global_store_b32 v[78:79], v77, off
.LBB907_14:
	s_or_b32 exec_lo, exec_lo, s2
	s_waitcnt lgkmcnt(0)
	s_waitcnt_vscnt null, 0x0
	s_barrier
	buffer_gl0_inv
	ds_load_b128 v[84:87], v74
	ds_load_b128 v[88:91], v74 offset:16
	ds_load_b128 v[96:99], v74 offset:2064
	;; [unrolled: 1-line block ×5, first 2 shown]
	v_cmp_eq_u32_e32 vcc_lo, 1, v70
	v_mov_b32_e32 v76, 0
	ds_load_b128 v[112:115], v74 offset:6160
	ds_load_b128 v[108:111], v74 offset:6144
	;; [unrolled: 1-line block ×4, first 2 shown]
	v_cmp_eq_u32_e64 s3, 1, v71
	v_cmp_eq_u32_e64 s2, 1, v73
	;; [unrolled: 1-line block ×3, first 2 shown]
	v_mov_b32_e32 v77, v76
	v_mov_b32_e32 v78, v76
	;; [unrolled: 1-line block ×7, first 2 shown]
	v_cmp_eq_u32_e64 s5, 3, v73
	v_cmp_eq_u32_e64 s6, 7, v73
	s_waitcnt lgkmcnt(8)
	s_delay_alu instid0(VALU_DEP_3)
	v_wmma_f32_16x16x16_f16 v[76:83], v[49:56], v[84:91], v[76:83]
	ds_load_b128 v[53:56], v74 offset:10256
	ds_load_b128 v[49:52], v74 offset:10240
	s_waitcnt lgkmcnt(8)
	v_wmma_f32_16x16x16_f16 v[76:83], v[41:48], v[92:99], v[76:83]
	ds_load_b128 v[45:48], v74 offset:12304
	ds_load_b128 v[41:44], v74 offset:12288
	s_waitcnt lgkmcnt(8)
	;; [unrolled: 4-line block ×3, first 2 shown]
	s_barrier
	buffer_gl0_inv
	v_wmma_f32_16x16x16_f16 v[76:83], v[1:8], v[108:115], v[76:83]
	s_delay_alu instid0(VALU_DEP_1) | instskip(NEXT) | instid1(VALU_DEP_1)
	v_wmma_f32_16x16x16_f16 v[76:83], v[9:16], v[116:123], v[76:83]
	v_wmma_f32_16x16x16_f16 v[76:83], v[17:24], v[49:56], v[76:83]
	s_delay_alu instid0(VALU_DEP_1) | instskip(NEXT) | instid1(VALU_DEP_1)
	v_wmma_f32_16x16x16_f16 v[76:83], v[25:32], v[41:48], v[76:83]
	v_wmma_f32_16x16x16_f16 v[76:83], v[57:64], v[33:40], v[76:83]
	s_delay_alu instid0(VALU_DEP_1) | instskip(NEXT) | instid1(VALU_DEP_2)
	v_cvt_f16_f32_e32 v1, v76
	v_cvt_f16_f32_e32 v2, v77
	s_delay_alu instid0(VALU_DEP_3) | instskip(NEXT) | instid1(VALU_DEP_4)
	v_cvt_f16_f32_e32 v3, v78
	v_cvt_f16_f32_e32 v4, v79
	;; [unrolled: 1-line block ×6, first 2 shown]
	v_pack_b32_f16 v1, v1, v2
	v_pack_b32_f16 v2, v3, v4
	;; [unrolled: 1-line block ×3, first 2 shown]
	s_delay_alu instid0(VALU_DEP_4)
	v_pack_b32_f16 v4, v7, v8
	ds_store_b128 v69, v[1:4]
	s_waitcnt lgkmcnt(0)
	s_barrier
	buffer_gl0_inv
	ds_load_b128 v[1:4], v75
	ds_load_b128 v[5:8], v75 offset:16
	s_waitcnt lgkmcnt(1)
	v_lshrrev_b32_e32 v9, 16, v1
	s_waitcnt lgkmcnt(0)
	v_lshrrev_b32_e32 v13, 16, v5
	v_lshrrev_b32_e32 v10, 16, v2
	;; [unrolled: 1-line block ×4, first 2 shown]
	v_cndmask_b32_e32 v17, v1, v9, vcc_lo
	v_cndmask_b32_e32 v18, v5, v13, vcc_lo
	v_cndmask_b32_e64 v21, v1, v9, s3
	v_cmp_eq_u32_e32 vcc_lo, 1, v72
	v_cndmask_b32_e64 v22, v5, v13, s3
	v_cmp_eq_u32_e64 s3, 2, v70
	v_cndmask_b32_e64 v19, v1, v9, s2
	v_cndmask_b32_e64 v20, v5, v13, s2
	v_cndmask_b32_e32 v1, v1, v9, vcc_lo
	v_cmp_eq_u32_e64 s2, 2, v72
	v_cndmask_b32_e32 v5, v5, v13, vcc_lo
	v_cndmask_b32_e64 v9, v17, v2, s3
	v_cmp_eq_u32_e32 vcc_lo, 3, v70
	v_cndmask_b32_e64 v13, v18, v6, s3
	v_cmp_eq_u32_e64 s3, 2, v71
	v_cndmask_b32_e64 v17, v19, v2, s4
	v_cndmask_b32_e64 v18, v20, v6, s4
	v_cmp_eq_u32_e64 s4, 3, v71
	v_cndmask_b32_e64 v1, v1, v2, s2
	v_cndmask_b32_e64 v19, v21, v2, s3
	;; [unrolled: 1-line block ×4, first 2 shown]
	v_cndmask_b32_e32 v5, v9, v10, vcc_lo
	v_cndmask_b32_e32 v6, v13, v14, vcc_lo
	v_cmp_eq_u32_e32 vcc_lo, 3, v72
	v_cndmask_b32_e64 v9, v17, v10, s5
	v_cndmask_b32_e64 v13, v18, v14, s5
	;; [unrolled: 1-line block ×3, first 2 shown]
	v_cmp_eq_u32_e64 s3, 4, v70
	v_cndmask_b32_e32 v1, v1, v10, vcc_lo
	v_cndmask_b32_e32 v2, v2, v14, vcc_lo
	v_cmp_eq_u32_e32 vcc_lo, 4, v73
	v_lshrrev_b32_e32 v15, 16, v7
	v_lshrrev_b32_e32 v16, 16, v8
	v_cndmask_b32_e64 v17, v19, v10, s4
	v_cmp_eq_u32_e64 s2, 4, v72
	v_cndmask_b32_e64 v5, v5, v3, s3
	v_cndmask_b32_e64 v6, v6, v7, s3
	v_cndmask_b32_e32 v9, v9, v3, vcc_lo
	v_cmp_eq_u32_e64 s3, 5, v73
	v_cndmask_b32_e32 v10, v13, v7, vcc_lo
	v_cmp_eq_u32_e32 vcc_lo, 4, v71
	v_cmp_eq_u32_e64 s4, 5, v70
	v_cndmask_b32_e64 v2, v2, v7, s2
	v_cndmask_b32_e64 v9, v9, v11, s3
	;; [unrolled: 1-line block ×3, first 2 shown]
	v_cndmask_b32_e32 v13, v17, v3, vcc_lo
	v_cmp_eq_u32_e64 s3, 5, v71
	v_cndmask_b32_e32 v14, v18, v7, vcc_lo
	v_cndmask_b32_e64 v1, v1, v3, s2
	v_cmp_eq_u32_e32 vcc_lo, 5, v72
	v_lshrrev_b32_e32 v12, 16, v4
	v_cndmask_b32_e64 v13, v13, v11, s3
	v_cndmask_b32_e64 v3, v14, v15, s3
	v_cmp_eq_u32_e64 s3, 6, v72
	v_cndmask_b32_e32 v1, v1, v11, vcc_lo
	v_cndmask_b32_e64 v5, v5, v11, s4
	v_cmp_eq_u32_e64 s5, 6, v70
	v_cndmask_b32_e64 v6, v6, v15, s4
	v_cmp_eq_u32_e64 s4, 6, v73
	v_cmp_eq_u32_e64 s2, 6, v71
	v_cndmask_b32_e64 v1, v1, v4, s3
	v_cndmask_b32_e32 v2, v2, v15, vcc_lo
	v_cmp_eq_u32_e32 vcc_lo, 7, v72
	v_cndmask_b32_e64 v5, v5, v4, s5
	v_cndmask_b32_e64 v9, v9, v4, s4
	;; [unrolled: 1-line block ×3, first 2 shown]
	v_cmp_eq_u32_e64 s5, 7, v70
	v_cndmask_b32_e32 v1, v1, v12, vcc_lo
	v_cndmask_b32_e64 v7, v13, v4, s2
	v_cndmask_b32_e64 v3, v3, v8, s2
	;; [unrolled: 1-line block ×3, first 2 shown]
	v_cmp_eq_u32_e64 s2, 7, v71
	v_cndmask_b32_e64 v4, v10, v8, s4
	v_cndmask_b32_e64 v5, v5, v12, s5
	;; [unrolled: 1-line block ×3, first 2 shown]
	v_cndmask_b32_e32 v2, v2, v16, vcc_lo
	v_cndmask_b32_e64 v7, v7, v12, s2
	v_cndmask_b32_e64 v3, v3, v16, s2
	;; [unrolled: 1-line block ×4, first 2 shown]
	v_perm_b32 v4, v2, v1, 0x5040100
	s_delay_alu instid0(VALU_DEP_4) | instskip(NEXT) | instid1(VALU_DEP_4)
	v_perm_b32 v3, v3, v7, 0x5040100
	v_perm_b32 v2, v8, v9, 0x5040100
	s_delay_alu instid0(VALU_DEP_4)
	v_perm_b32 v1, v6, v5, 0x5040100
	ds_store_b128 v69, v[1:4]
	s_waitcnt lgkmcnt(0)
	s_barrier
	buffer_gl0_inv
	s_and_saveexec_b32 s2, s31
	s_cbranch_execz .LBB907_2
; %bb.15:
	s_load_b64 s[0:1], s[0:1], 0x68
	v_lshlrev_b32_e32 v0, 10, v0
	s_lshl_b32 s2, s35, 6
	v_lshlrev_b32_e32 v1, 4, v68
	v_mul_lo_u32 v4, s2, v67
	s_mul_i32 s3, s2, s30
	v_and_b32_e32 v0, 0x3800, v0
	s_mul_i32 s2, s3, s7
	s_delay_alu instid0(SALU_CYCLE_1) | instskip(NEXT) | instid1(VALU_DEP_1)
	s_ashr_i32 s3, s2, 31
	v_or3_b32 v0, v0, v66, v1
	s_lshl_b64 s[2:3], s[2:3], 1
	s_delay_alu instid0(VALU_DEP_3)
	v_ashrrev_i32_e32 v5, 31, v4
	ds_load_b128 v[0:3], v0
	v_lshlrev_b64 v[4:5], 1, v[4:5]
	s_waitcnt lgkmcnt(0)
	s_add_u32 s2, s0, s2
	s_addc_u32 s3, s1, s3
	s_lshl_b32 s0, s14, 6
	s_delay_alu instid0(SALU_CYCLE_1) | instskip(NEXT) | instid1(SALU_CYCLE_1)
	s_ashr_i32 s1, s0, 31
	s_lshl_b64 s[0:1], s[0:1], 1
	s_delay_alu instid0(SALU_CYCLE_1) | instskip(SKIP_3) | instid1(VALU_DEP_2)
	s_add_u32 s0, s2, s0
	s_addc_u32 s1, s3, s1
	v_add_co_u32 v4, vcc_lo, s0, v4
	v_add_co_ci_u32_e32 v5, vcc_lo, s1, v5, vcc_lo
	v_add_co_u32 v4, vcc_lo, v4, v65
	s_delay_alu instid0(VALU_DEP_2)
	v_add_co_ci_u32_e32 v5, vcc_lo, 0, v5, vcc_lo
	global_store_b128 v[4:5], v[0:3], off
	s_nop 0
	s_sendmsg sendmsg(MSG_DEALLOC_VGPRS)
	s_endpgm
	.section	.rodata,"a",@progbits
	.p2align	6, 0x0
	.amdhsa_kernel _Z39paged_attention_ll4mi_QKV_mfma16_kernelIDF16_hLN4vllm18Fp8KVCacheDataTypeE1EDF16_Li32ELi64ELi256ELb1ELi2EL8MFMAType1EEvPKT_PKT0_S8_ifPKiSA_SA_iPKfiiiPfSD_PS3_PT2_iSC_SC_
		.amdhsa_group_segment_fixed_size 17472
		.amdhsa_private_segment_fixed_size 0
		.amdhsa_kernarg_size 400
		.amdhsa_user_sgpr_count 13
		.amdhsa_user_sgpr_dispatch_ptr 0
		.amdhsa_user_sgpr_queue_ptr 0
		.amdhsa_user_sgpr_kernarg_segment_ptr 1
		.amdhsa_user_sgpr_dispatch_id 0
		.amdhsa_user_sgpr_private_segment_size 0
		.amdhsa_wavefront_size32 1
		.amdhsa_uses_dynamic_stack 0
		.amdhsa_enable_private_segment 0
		.amdhsa_system_sgpr_workgroup_id_x 1
		.amdhsa_system_sgpr_workgroup_id_y 1
		.amdhsa_system_sgpr_workgroup_id_z 1
		.amdhsa_system_sgpr_workgroup_info 0
		.amdhsa_system_vgpr_workitem_id 0
		.amdhsa_next_free_vgpr 148
		.amdhsa_next_free_sgpr 38
		.amdhsa_reserve_vcc 1
		.amdhsa_float_round_mode_32 0
		.amdhsa_float_round_mode_16_64 0
		.amdhsa_float_denorm_mode_32 3
		.amdhsa_float_denorm_mode_16_64 3
		.amdhsa_dx10_clamp 1
		.amdhsa_ieee_mode 1
		.amdhsa_fp16_overflow 0
		.amdhsa_workgroup_processor_mode 1
		.amdhsa_memory_ordered 1
		.amdhsa_forward_progress 0
		.amdhsa_shared_vgpr_count 0
		.amdhsa_exception_fp_ieee_invalid_op 0
		.amdhsa_exception_fp_denorm_src 0
		.amdhsa_exception_fp_ieee_div_zero 0
		.amdhsa_exception_fp_ieee_overflow 0
		.amdhsa_exception_fp_ieee_underflow 0
		.amdhsa_exception_fp_ieee_inexact 0
		.amdhsa_exception_int_div_zero 0
	.end_amdhsa_kernel
	.section	.text._Z39paged_attention_ll4mi_QKV_mfma16_kernelIDF16_hLN4vllm18Fp8KVCacheDataTypeE1EDF16_Li32ELi64ELi256ELb1ELi2EL8MFMAType1EEvPKT_PKT0_S8_ifPKiSA_SA_iPKfiiiPfSD_PS3_PT2_iSC_SC_,"axG",@progbits,_Z39paged_attention_ll4mi_QKV_mfma16_kernelIDF16_hLN4vllm18Fp8KVCacheDataTypeE1EDF16_Li32ELi64ELi256ELb1ELi2EL8MFMAType1EEvPKT_PKT0_S8_ifPKiSA_SA_iPKfiiiPfSD_PS3_PT2_iSC_SC_,comdat
.Lfunc_end907:
	.size	_Z39paged_attention_ll4mi_QKV_mfma16_kernelIDF16_hLN4vllm18Fp8KVCacheDataTypeE1EDF16_Li32ELi64ELi256ELb1ELi2EL8MFMAType1EEvPKT_PKT0_S8_ifPKiSA_SA_iPKfiiiPfSD_PS3_PT2_iSC_SC_, .Lfunc_end907-_Z39paged_attention_ll4mi_QKV_mfma16_kernelIDF16_hLN4vllm18Fp8KVCacheDataTypeE1EDF16_Li32ELi64ELi256ELb1ELi2EL8MFMAType1EEvPKT_PKT0_S8_ifPKiSA_SA_iPKfiiiPfSD_PS3_PT2_iSC_SC_
                                        ; -- End function
	.section	.AMDGPU.csdata,"",@progbits
; Kernel info:
; codeLenInByte = 6252
; NumSgprs: 40
; NumVgprs: 148
; ScratchSize: 0
; MemoryBound: 0
; FloatMode: 240
; IeeeMode: 1
; LDSByteSize: 17472 bytes/workgroup (compile time only)
; SGPRBlocks: 4
; VGPRBlocks: 18
; NumSGPRsForWavesPerEU: 40
; NumVGPRsForWavesPerEU: 148
; Occupancy: 9
; WaveLimiterHint : 1
; COMPUTE_PGM_RSRC2:SCRATCH_EN: 0
; COMPUTE_PGM_RSRC2:USER_SGPR: 13
; COMPUTE_PGM_RSRC2:TRAP_HANDLER: 0
; COMPUTE_PGM_RSRC2:TGID_X_EN: 1
; COMPUTE_PGM_RSRC2:TGID_Y_EN: 1
; COMPUTE_PGM_RSRC2:TGID_Z_EN: 1
; COMPUTE_PGM_RSRC2:TIDIG_COMP_CNT: 0
	.section	.text._Z39paged_attention_ll4mi_QKV_mfma16_kernelIDF16_hLN4vllm18Fp8KVCacheDataTypeE1EDF16_Li32ELi64ELi256ELb1ELi3EL8MFMAType1EEvPKT_PKT0_S8_ifPKiSA_SA_iPKfiiiPfSD_PS3_PT2_iSC_SC_,"axG",@progbits,_Z39paged_attention_ll4mi_QKV_mfma16_kernelIDF16_hLN4vllm18Fp8KVCacheDataTypeE1EDF16_Li32ELi64ELi256ELb1ELi3EL8MFMAType1EEvPKT_PKT0_S8_ifPKiSA_SA_iPKfiiiPfSD_PS3_PT2_iSC_SC_,comdat
	.protected	_Z39paged_attention_ll4mi_QKV_mfma16_kernelIDF16_hLN4vllm18Fp8KVCacheDataTypeE1EDF16_Li32ELi64ELi256ELb1ELi3EL8MFMAType1EEvPKT_PKT0_S8_ifPKiSA_SA_iPKfiiiPfSD_PS3_PT2_iSC_SC_ ; -- Begin function _Z39paged_attention_ll4mi_QKV_mfma16_kernelIDF16_hLN4vllm18Fp8KVCacheDataTypeE1EDF16_Li32ELi64ELi256ELb1ELi3EL8MFMAType1EEvPKT_PKT0_S8_ifPKiSA_SA_iPKfiiiPfSD_PS3_PT2_iSC_SC_
	.globl	_Z39paged_attention_ll4mi_QKV_mfma16_kernelIDF16_hLN4vllm18Fp8KVCacheDataTypeE1EDF16_Li32ELi64ELi256ELb1ELi3EL8MFMAType1EEvPKT_PKT0_S8_ifPKiSA_SA_iPKfiiiPfSD_PS3_PT2_iSC_SC_
	.p2align	8
	.type	_Z39paged_attention_ll4mi_QKV_mfma16_kernelIDF16_hLN4vllm18Fp8KVCacheDataTypeE1EDF16_Li32ELi64ELi256ELb1ELi3EL8MFMAType1EEvPKT_PKT0_S8_ifPKiSA_SA_iPKfiiiPfSD_PS3_PT2_iSC_SC_,@function
_Z39paged_attention_ll4mi_QKV_mfma16_kernelIDF16_hLN4vllm18Fp8KVCacheDataTypeE1EDF16_Li32ELi64ELi256ELb1ELi3EL8MFMAType1EEvPKT_PKT0_S8_ifPKiSA_SA_iPKfiiiPfSD_PS3_PT2_iSC_SC_: ; @_Z39paged_attention_ll4mi_QKV_mfma16_kernelIDF16_hLN4vllm18Fp8KVCacheDataTypeE1EDF16_Li32ELi64ELi256ELb1ELi3EL8MFMAType1EEvPKT_PKT0_S8_ifPKiSA_SA_iPKfiiiPfSD_PS3_PT2_iSC_SC_
; %bb.0:
	s_load_b64 s[2:3], s[0:1], 0x30
	s_mov_b32 s34, s13
	s_waitcnt lgkmcnt(0)
	s_cmp_lg_u64 s[2:3], 0
	s_cselect_b32 s6, -1, 0
	s_ashr_i32 s35, s13, 31
	s_cmp_eq_u64 s[2:3], 0
	s_cbranch_scc1 .LBB908_3
; %bb.1:
	s_lshl_b64 s[4:5], s[34:35], 2
	s_delay_alu instid0(SALU_CYCLE_1) | instskip(SKIP_4) | instid1(SALU_CYCLE_1)
	s_add_u32 s4, s2, s4
	s_addc_u32 s5, s3, s5
	s_load_b64 s[4:5], s[4:5], 0x0
	s_waitcnt lgkmcnt(0)
	s_sub_i32 s4, s5, s4
	s_cmp_eq_u32 s4, 1
	s_cselect_b32 s4, -1, 0
	s_delay_alu instid0(SALU_CYCLE_1)
	s_and_not1_b32 vcc_lo, exec_lo, s4
	s_cbranch_vccz .LBB908_4
.LBB908_2:
	s_nop 0
	s_sendmsg sendmsg(MSG_DEALLOC_VGPRS)
	s_endpgm
.LBB908_3:
.LBB908_4:
	s_load_b64 s[8:9], s[0:1], 0x28
	s_lshl_b64 s[4:5], s[34:35], 2
	s_waitcnt lgkmcnt(0)
	s_add_u32 s8, s8, s4
	s_addc_u32 s9, s9, s5
	s_lshl_b32 s16, s14, 8
	s_load_b32 s18, s[8:9], 0x0
	s_waitcnt lgkmcnt(0)
	s_cmp_ge_i32 s16, s18
	s_cbranch_scc1 .LBB908_2
; %bb.5:
	s_clause 0x1
	s_load_b128 s[8:11], s[0:1], 0x8
	s_load_b64 s[12:13], s[0:1], 0x20
	s_and_not1_b32 vcc_lo, exec_lo, s6
	s_cbranch_vccnz .LBB908_7
; %bb.6:
	s_add_u32 s2, s2, s4
	s_addc_u32 s3, s3, s5
	s_load_b32 s3, s[2:3], 0x0
	s_branch .LBB908_8
.LBB908_7:
	s_mov_b32 s3, s34
.LBB908_8:
	s_load_b128 s[4:7], s[0:1], 0x48
	v_lshrrev_b32_e32 v69, 5, v0
	v_bfe_u32 v66, v0, 4, 1
	v_and_b32_e32 v68, 15, v0
	v_and_b32_e32 v70, 31, v0
	;; [unrolled: 1-line block ×3, first 2 shown]
	s_mul_i32 s33, s15, 3
	v_lshl_or_b32 v1, v69, 1, v66
	v_lshlrev_b32_e32 v2, 3, v68
	v_cmp_gt_u32_e64 s2, 8, v68
	s_delay_alu instid0(VALU_DEP_3) | instskip(NEXT) | instid1(VALU_DEP_3)
	v_cmp_gt_u32_e32 vcc_lo, 3, v1
	v_lshlrev_b32_e32 v65, 1, v2
	s_delay_alu instid0(VALU_DEP_3)
	s_and_b32 s17, s2, vcc_lo
	s_waitcnt lgkmcnt(0)
	s_and_saveexec_b32 s7, s17
	s_cbranch_execz .LBB908_10
; %bb.9:
	s_load_b64 s[20:21], s[0:1], 0x0
	v_add_lshl_u32 v2, v1, s33, 6
	s_mul_hi_i32 s23, s3, s4
	s_mul_i32 s22, s3, s4
	v_lshlrev_b32_e32 v6, 10, v68
	s_lshl_b64 s[22:23], s[22:23], 1
	v_ashrrev_i32_e32 v3, 31, v2
	v_lshlrev_b32_e32 v1, 6, v1
	v_lshlrev_b32_e32 v7, 10, v67
	v_and_b32_e32 v6, 0x3800, v6
	s_delay_alu instid0(VALU_DEP_4) | instskip(NEXT) | instid1(VALU_DEP_2)
	v_lshlrev_b64 v[2:3], 1, v[2:3]
	v_or3_b32 v1, v6, v7, v1
	s_waitcnt lgkmcnt(0)
	s_add_u32 s3, s20, s22
	s_addc_u32 s4, s21, s23
	s_delay_alu instid0(VALU_DEP_2) | instskip(SKIP_1) | instid1(VALU_DEP_2)
	v_add_co_u32 v2, vcc_lo, s3, v2
	v_add_co_ci_u32_e32 v3, vcc_lo, s4, v3, vcc_lo
	v_add_co_u32 v2, vcc_lo, v2, v65
	s_delay_alu instid0(VALU_DEP_2)
	v_add_co_ci_u32_e32 v3, vcc_lo, 0, v3, vcc_lo
	global_load_b128 v[2:5], v[2:3], off
	s_waitcnt vmcnt(0)
	ds_store_b128 v1, v[2:5]
.LBB908_10:
	s_or_b32 exec_lo, exec_lo, s7
	v_and_b32_e32 v1, 0xef, v0
	s_add_i32 s3, s18, 31
	s_clause 0x1
	s_load_b32 s4, s[0:1], 0x38
	s_load_b32 s35, s[0:1], 0x98
	s_ashr_i32 s7, s3, 31
	v_add_nc_u32_e32 v1, s16, v1
	s_lshr_b32 s7, s7, 27
	s_load_b32 s19, s[0:1], 0x1c
	s_add_i32 s3, s3, s7
	s_waitcnt lgkmcnt(0)
	v_ashrrev_i32_e32 v2, 31, v1
	v_or_b32_e32 v3, 16, v1
	s_ashr_i32 s3, s3, 5
	v_cmp_gt_i32_e32 vcc_lo, s18, v1
	s_add_i32 s3, s3, -1
	v_lshrrev_b32_e32 v2, 27, v2
	s_barrier
	buffer_gl0_inv
	s_mul_i32 s15, s15, s6
	v_mul_lo_u16 v103, 0x56, v68
	v_add_nc_u32_e32 v4, v1, v2
	v_mbcnt_lo_u32_b32 v127, -1, 0
	s_mul_i32 s20, s34, s4
	s_delay_alu instid0(SALU_CYCLE_1) | instskip(NEXT) | instid1(VALU_DEP_2)
	s_ashr_i32 s21, s20, 31
	v_ashrrev_i32_e32 v4, 5, v4
	v_add_nc_u32_e32 v2, v3, v2
	s_lshl_b64 s[20:21], s[20:21], 2
	v_lshrrev_b16 v103, 8, v103
	s_add_u32 s17, s12, s20
	v_cndmask_b32_e32 v1, s3, v4, vcc_lo
	v_ashrrev_i32_e32 v2, 5, v2
	v_cmp_gt_i32_e32 vcc_lo, s18, v3
	s_addc_u32 s13, s13, s21
	s_ashr_i32 s20, s15, 31
	s_add_u32 s22, s8, s15
	s_addc_u32 s23, s9, s20
	v_cndmask_b32_e32 v3, s3, v2, vcc_lo
	v_ashrrev_i32_e32 v2, 31, v1
	s_lshl_b32 s6, s14, 3
	v_mul_lo_u16 v103, v103, 3
	s_ashr_i32 s7, s6, 31
	v_ashrrev_i32_e32 v4, 31, v3
	v_lshlrev_b64 v[1:2], 2, v[1:2]
	s_lshl_b64 s[6:7], s[6:7], 2
	v_sub_nc_u16 v103, v68, v103
	s_add_u32 s6, s17, s6
	v_lshlrev_b64 v[3:4], 2, v[3:4]
	s_addc_u32 s7, s13, s7
	v_add_co_u32 v1, vcc_lo, s17, v1
	v_add_co_ci_u32_e32 v2, vcc_lo, s13, v2, vcc_lo
	s_delay_alu instid0(VALU_DEP_3) | instskip(NEXT) | instid1(VALU_DEP_4)
	v_add_co_u32 v3, vcc_lo, s17, v3
	v_add_co_ci_u32_e32 v4, vcc_lo, s13, v4, vcc_lo
	s_clause 0x1
	global_load_b32 v5, v[1:2], off
	global_load_b32 v6, v[3:4], off
	s_or_b32 s4, s16, 32
	v_xor_b32_e32 v128, 16, v127
	s_ashr_i32 s8, s4, 5
	s_cmp_lt_i32 s4, s18
	s_cselect_b32 s8, s8, s3
	s_delay_alu instid0(SALU_CYCLE_1) | instskip(NEXT) | instid1(SALU_CYCLE_1)
	s_ashr_i32 s9, s8, 31
	s_lshl_b64 s[8:9], s[8:9], 2
	s_delay_alu instid0(SALU_CYCLE_1) | instskip(SKIP_2) | instid1(SALU_CYCLE_1)
	s_add_u32 s8, s17, s8
	s_addc_u32 s9, s13, s9
	s_or_b32 s4, s16, 64
	s_ashr_i32 s12, s4, 5
	s_cmp_lt_i32 s4, s18
	s_cselect_b32 s24, s12, s3
	s_delay_alu instid0(SALU_CYCLE_1) | instskip(NEXT) | instid1(SALU_CYCLE_1)
	s_ashr_i32 s25, s24, 31
	s_lshl_b64 s[24:25], s[24:25], 2
	s_delay_alu instid0(SALU_CYCLE_1) | instskip(SKIP_2) | instid1(SALU_CYCLE_1)
	s_add_u32 s24, s17, s24
	s_addc_u32 s25, s13, s25
	s_or_b32 s4, s16, 0x60
	;; [unrolled: 10-line block ×4, first 2 shown]
	s_ashr_i32 s12, s4, 5
	s_cmp_lt_i32 s4, s18
	s_cselect_b32 s30, s12, s3
	s_delay_alu instid0(SALU_CYCLE_1) | instskip(NEXT) | instid1(SALU_CYCLE_1)
	s_ashr_i32 s31, s30, 31
	s_lshl_b64 s[30:31], s[30:31], 2
	s_delay_alu instid0(SALU_CYCLE_1)
	s_add_u32 s30, s17, s30
	s_addc_u32 s31, s13, s31
	s_clause 0x5
	s_load_b32 s12, s[6:7], 0x0
	s_load_b32 s4, s[8:9], 0x0
	;; [unrolled: 1-line block ×6, first 2 shown]
	s_or_b32 s21, s16, 0xc0
	s_waitcnt vmcnt(1)
	v_mad_i64_i32 v[1:2], null, v5, s5, s[22:23]
	v_lshlrev_b32_e32 v5, 4, v68
	s_waitcnt vmcnt(0)
	v_mad_i64_i32 v[3:4], null, v6, s5, s[22:23]
	s_ashr_i32 s22, s21, 5
	s_cmp_lt_i32 s21, s18
	s_delay_alu instid0(VALU_DEP_3) | instskip(NEXT) | instid1(VALU_DEP_4)
	v_add_co_u32 v1, vcc_lo, v1, v5
	v_add_co_ci_u32_e32 v2, vcc_lo, 0, v2, vcc_lo
	s_delay_alu instid0(VALU_DEP_3) | instskip(NEXT) | instid1(VALU_DEP_4)
	v_add_co_u32 v3, vcc_lo, v3, v5
	v_add_co_ci_u32_e32 v4, vcc_lo, 0, v4, vcc_lo
	s_clause 0x7
	global_load_b128 v[71:74], v[1:2], off
	global_load_b128 v[75:78], v[1:2], off offset:512
	global_load_b128 v[79:82], v[3:4], off offset:256
	;; [unrolled: 1-line block ×7, first 2 shown]
	s_cselect_b32 s22, s22, s3
	v_lshlrev_b32_e32 v1, 5, v68
	s_ashr_i32 s23, s22, 31
	v_cmp_gt_i32_e32 vcc_lo, 32, v128
	s_lshl_b64 s[22:23], s[22:23], 2
	v_and_b32_e32 v103, 0xff, v103
	s_add_u32 s22, s17, s22
	s_addc_u32 s23, s13, s23
	v_cndmask_b32_e32 v136, v127, v128, vcc_lo
	s_or_b32 s21, s16, 0xe0
	v_lshl_or_b32 v1, v69, 9, v1
	s_ashr_i32 s24, s21, 5
	s_cmp_lt_i32 s21, s18
	v_lshlrev_b32_e32 v115, 6, v103
	s_cselect_b32 s24, s24, s3
	s_load_b32 s3, s[22:23], 0x0
	s_ashr_i32 s25, s24, 31
	s_delay_alu instid0(SALU_CYCLE_1) | instskip(NEXT) | instid1(SALU_CYCLE_1)
	s_lshl_b64 s[24:25], s[24:25], 2
	s_add_u32 s22, s17, s24
	s_addc_u32 s23, s13, s25
	s_add_u32 s10, s10, s15
	s_addc_u32 s11, s11, s20
	v_add_co_u32 v1, s10, s10, v1
	s_delay_alu instid0(VALU_DEP_1) | instskip(SKIP_2) | instid1(VALU_DEP_1)
	v_add_co_ci_u32_e64 v2, null, s11, 0, s10
	s_load_b32 s10, s[22:23], 0x0
	s_waitcnt lgkmcnt(0)
	v_mad_i64_i32 v[3:4], null, s12, s5, v[1:2]
	v_mad_i64_i32 v[9:10], null, s7, s5, v[1:2]
	;; [unrolled: 1-line block ×7, first 2 shown]
	s_clause 0x5
	global_load_b128 v[49:52], v[3:4], off
	global_load_b128 v[53:56], v[3:4], off offset:16
	global_load_b128 v[41:44], v[5:6], off
	global_load_b128 v[45:48], v[5:6], off offset:16
	;; [unrolled: 2-line block ×3, first 2 shown]
	s_mov_b32 s4, 0
	v_mad_i64_i32 v[61:62], null, s10, s5, v[1:2]
	s_clause 0x9
	global_load_b128 v[1:4], v[9:10], off
	global_load_b128 v[5:8], v[9:10], off offset:16
	global_load_b128 v[9:12], v[13:14], off
	global_load_b128 v[13:16], v[13:14], off offset:16
	;; [unrolled: 2-line block ×5, first 2 shown]
	s_mov_b32 s5, s4
	s_mov_b32 s6, s4
	;; [unrolled: 1-line block ×7, first 2 shown]
	v_and_b32_e32 v104, 0xe0, v0
	v_dual_mov_b32 v126, s11 :: v_dual_mov_b32 v123, s8
	v_dual_mov_b32 v125, s10 :: v_dual_mov_b32 v124, s9
	s_delay_alu instid0(VALU_DEP_3)
	v_add_nc_u32_e32 v111, s16, v104
	ds_load_b128 v[103:106], v115
	ds_load_b128 v[107:110], v115 offset:1024
	v_dual_mov_b32 v122, s7 :: v_dual_mov_b32 v121, s6
	v_mov_b32_e32 v120, s5
	v_or_b32_e32 v135, v111, v66
	ds_load_b128 v[111:114], v115 offset:2048
	ds_load_b128 v[115:118], v115 offset:3072
	v_mov_b32_e32 v119, s4
	s_waitcnt vmcnt(0) lgkmcnt(0)
	s_barrier
	v_or_b32_e32 v137, 2, v135
	v_or_b32_e32 v138, 4, v135
	;; [unrolled: 1-line block ×3, first 2 shown]
	v_cmp_gt_i32_e32 vcc_lo, s18, v135
	v_or_b32_e32 v140, 8, v135
	v_cmp_gt_i32_e64 s3, s18, v137
	v_or_b32_e32 v141, 10, v135
	v_cmp_gt_i32_e64 s4, s18, v138
	v_cmp_gt_i32_e64 s5, s18, v139
	v_or_b32_e32 v142, 12, v135
	v_or_b32_e32 v143, 14, v135
	v_cmp_gt_i32_e64 s6, s18, v140
	v_cmp_gt_i32_e64 s7, s18, v141
	v_or_b32_e32 v144, 16, v135
	v_or_b32_e32 v145, 18, v135
	v_cmp_gt_i32_e64 s8, s18, v142
	v_cmp_gt_i32_e64 s9, s18, v143
	buffer_gl0_inv
	v_cmp_gt_i32_e64 s10, s18, v144
	v_cmp_gt_i32_e64 s11, s18, v145
	v_wmma_f32_16x16x16_f16 v[127:134], v[71:78], v[103:110], v[119:126]
	v_wmma_f32_16x16x16_f16 v[119:126], v[79:86], v[103:110], v[119:126]
	v_or_b32_e32 v71, 20, v135
	v_or_b32_e32 v72, 22, v135
	s_delay_alu instid0(VALU_DEP_4)
	v_wmma_f32_16x16x16_f16 v[127:134], v[87:94], v[111:118], v[127:134]
	v_or_b32_e32 v73, 24, v135
	v_wmma_f32_16x16x16_f16 v[119:126], v[95:102], v[111:118], v[119:126]
	v_or_b32_e32 v74, 26, v135
	v_cmp_gt_i32_e64 s12, s18, v71
	v_dual_mul_f32 v84, s19, v127 :: v_dual_mul_f32 v83, s19, v128
	s_delay_alu instid0(VALU_DEP_4) | instskip(SKIP_2) | instid1(VALU_DEP_4)
	v_dual_mul_f32 v92, s19, v119 :: v_dual_mul_f32 v81, s19, v130
	v_mul_f32_e32 v90, s19, v121
	v_mul_f32_e32 v82, s19, v129
	v_cndmask_b32_e32 v84, 0xff7fffff, v84, vcc_lo
	v_cndmask_b32_e64 v83, 0xff7fffff, v83, s3
	v_dual_mul_f32 v79, s19, v132 :: v_dual_mul_f32 v88, s19, v123
	v_mul_f32_e32 v80, s19, v131
	v_cndmask_b32_e64 v82, 0xff7fffff, v82, s4
	v_cndmask_b32_e64 v81, 0xff7fffff, v81, s5
	v_max3_f32 v83, v84, 0xff7fffff, v83
	v_dual_mul_f32 v77, s19, v134 :: v_dual_mul_f32 v86, s19, v125
	v_mul_f32_e32 v78, s19, v133
	v_cndmask_b32_e64 v80, 0xff7fffff, v80, s6
	v_cndmask_b32_e64 v79, 0xff7fffff, v79, s7
	v_max3_f32 v81, v83, v82, v81
	v_mul_f32_e32 v91, s19, v120
	v_cndmask_b32_e64 v78, 0xff7fffff, v78, s8
	v_cndmask_b32_e64 v77, 0xff7fffff, v77, s9
	v_mul_f32_e32 v89, s19, v122
	v_max3_f32 v79, v81, v80, v79
	v_cndmask_b32_e64 v80, 0xff7fffff, v92, s10
	v_cndmask_b32_e64 v81, 0xff7fffff, v91, s11
	v_cmp_gt_i32_e64 s13, s18, v72
	v_or_b32_e32 v75, 28, v135
	v_max3_f32 v77, v79, v78, v77
	v_or_b32_e32 v76, 30, v135
	v_mul_f32_e32 v87, s19, v124
	v_cndmask_b32_e64 v71, 0xff7fffff, v90, s12
	v_cndmask_b32_e64 v72, 0xff7fffff, v89, s13
	v_max3_f32 v77, v77, v80, v81
	v_cmp_gt_i32_e64 s15, s18, v73
	v_cmp_gt_i32_e64 s16, s18, v74
	v_mul_f32_e32 v85, s19, v126
	v_cmp_gt_i32_e64 s17, s18, v75
	v_max3_f32 v71, v77, v71, v72
	v_cndmask_b32_e64 v73, 0xff7fffff, v88, s15
	v_cndmask_b32_e64 v74, 0xff7fffff, v87, s16
	v_cmp_gt_i32_e64 s18, s18, v76
	v_cndmask_b32_e64 v72, 0xff7fffff, v86, s17
	s_delay_alu instid0(VALU_DEP_3) | instskip(NEXT) | instid1(VALU_DEP_3)
	v_max3_f32 v71, v71, v73, v74
	v_cndmask_b32_e64 v75, 0xff7fffff, v85, s18
	v_lshlrev_b32_e32 v73, 2, v136
	s_delay_alu instid0(VALU_DEP_2) | instskip(SKIP_3) | instid1(VALU_DEP_1)
	v_max3_f32 v71, v71, v72, v75
	ds_bpermute_b32 v72, v73, v71
	s_waitcnt lgkmcnt(0)
	v_max_f32_e32 v72, v72, v72
	v_max_f32_e32 v71, v71, v72
	s_delay_alu instid0(VALU_DEP_1) | instskip(SKIP_2) | instid1(VALU_DEP_3)
	v_fma_f32 v72, s19, v127, -v71
	v_fma_f32 v74, s19, v128, -v71
	;; [unrolled: 1-line block ×3, first 2 shown]
	v_mul_f32_e32 v72, 0x3fb8aa3b, v72
	s_delay_alu instid0(VALU_DEP_2) | instskip(NEXT) | instid1(VALU_DEP_2)
	v_dual_mul_f32 v74, 0x3fb8aa3b, v74 :: v_dual_mul_f32 v75, 0x3fb8aa3b, v75
	v_exp_f32_e32 v72, v72
	s_delay_alu instid0(VALU_DEP_1) | instskip(NEXT) | instid1(VALU_DEP_1)
	v_exp_f32_e32 v74, v74
	v_exp_f32_e32 v75, v75
	s_delay_alu instid0(TRANS32_DEP_3)
	v_cndmask_b32_e32 v79, 0, v72, vcc_lo
	s_waitcnt_depctr 0xfff
	v_cndmask_b32_e64 v78, 0, v74, s3
	v_cndmask_b32_e64 v81, 0, v75, s4
	v_cmp_gt_u32_e64 s3, 16, v70
	v_add_f32_e32 v74, 0, v79
	s_delay_alu instid0(VALU_DEP_1) | instskip(NEXT) | instid1(VALU_DEP_1)
	v_add_f32_e32 v74, v74, v78
	v_add_f32_e32 v74, v74, v81
	v_fma_f32 v76, s19, v130, -v71
	v_fma_f32 v77, s19, v131, -v71
	;; [unrolled: 1-line block ×5, first 2 shown]
	s_delay_alu instid0(VALU_DEP_4) | instskip(NEXT) | instid1(VALU_DEP_4)
	v_dual_mul_f32 v76, 0x3fb8aa3b, v76 :: v_dual_mul_f32 v77, 0x3fb8aa3b, v77
	v_mul_f32_e32 v72, 0x3fb8aa3b, v72
	s_delay_alu instid0(VALU_DEP_4) | instskip(SKIP_1) | instid1(VALU_DEP_4)
	v_mul_f32_e32 v82, 0x3fb8aa3b, v80
	v_fma_f32 v86, s19, v122, -v71
	v_exp_f32_e32 v76, v76
	v_exp_f32_e32 v77, v77
	;; [unrolled: 1-line block ×4, first 2 shown]
	v_mul_f32_e32 v86, 0x3fb8aa3b, v86
	s_delay_alu instid0(VALU_DEP_1)
	v_exp_f32_e32 v88, v86
	v_cndmask_b32_e64 v80, 0, v76, s5
	v_mul_f32_e32 v75, 0x3fb8aa3b, v75
	v_fma_f32 v76, s19, v119, -v71
	v_cndmask_b32_e64 v83, 0, v77, s6
	v_fma_f32 v77, s19, v120, -v71
	v_add_f32_e32 v74, v74, v80
	v_exp_f32_e32 v75, v75
	v_mul_f32_e32 v76, 0x3fb8aa3b, v76
	v_cndmask_b32_e64 v82, 0, v72, s7
	s_delay_alu instid0(VALU_DEP_3) | instskip(SKIP_1) | instid1(VALU_DEP_4)
	v_dual_mul_f32 v77, 0x3fb8aa3b, v77 :: v_dual_add_f32 v72, v74, v83
	v_fma_f32 v74, s19, v121, -v71
	v_exp_f32_e32 v76, v76
	v_cndmask_b32_e64 v85, 0, v84, s8
	s_delay_alu instid0(VALU_DEP_3) | instskip(SKIP_1) | instid1(TRANS32_DEP_3)
	v_exp_f32_e32 v77, v77
	v_cndmask_b32_e64 v88, 0, v88, s13
	v_cndmask_b32_e64 v84, 0, v75, s9
	v_fma_f32 v75, s19, v123, -v71
	v_add_f32_e32 v72, v72, v82
	s_delay_alu instid0(VALU_DEP_2) | instskip(NEXT) | instid1(VALU_DEP_2)
	v_dual_mul_f32 v74, 0x3fb8aa3b, v74 :: v_dual_mul_f32 v75, 0x3fb8aa3b, v75
	v_add_f32_e32 v72, v72, v85
	s_delay_alu instid0(VALU_DEP_2)
	v_exp_f32_e32 v74, v74
	v_cndmask_b32_e64 v87, 0, v76, s10
	v_fma_f32 v76, s19, v124, -v71
	v_cndmask_b32_e64 v86, 0, v77, s11
	v_add_f32_e32 v72, v72, v84
	v_fma_f32 v77, s19, v125, -v71
	v_exp_f32_e32 v75, v75
	v_mul_f32_e32 v76, 0x3fb8aa3b, v76
	s_delay_alu instid0(VALU_DEP_3) | instskip(NEXT) | instid1(TRANS32_DEP_2)
	v_add_f32_e32 v72, v72, v87
	v_cndmask_b32_e64 v89, 0, v74, s12
	v_mul_f32_e32 v74, 0x3fb8aa3b, v77
	s_delay_alu instid0(VALU_DEP_4) | instskip(SKIP_2) | instid1(VALU_DEP_3)
	v_exp_f32_e32 v76, v76
	v_fma_f32 v77, s19, v126, -v71
	v_add_f32_e32 v72, v72, v86
	v_exp_f32_e32 v74, v74
	s_delay_alu instid0(TRANS32_DEP_3) | instskip(NEXT) | instid1(VALU_DEP_3)
	v_cndmask_b32_e64 v91, 0, v75, s15
	v_mul_f32_e32 v75, 0x3fb8aa3b, v77
	s_delay_alu instid0(VALU_DEP_3) | instskip(NEXT) | instid1(TRANS32_DEP_2)
	v_add_f32_e32 v72, v72, v89
	v_cndmask_b32_e64 v90, 0, v76, s16
	s_delay_alu instid0(VALU_DEP_3) | instskip(NEXT) | instid1(VALU_DEP_2)
	v_exp_f32_e32 v75, v75
	v_add_f32_e32 v72, v72, v88
	s_delay_alu instid0(TRANS32_DEP_2) | instskip(NEXT) | instid1(VALU_DEP_2)
	v_cndmask_b32_e64 v93, 0, v74, s17
	v_add_f32_e32 v72, v72, v91
	s_waitcnt_depctr 0xfff
	v_cndmask_b32_e64 v92, 0, v75, s18
	v_add_f32_e32 v72, v72, v90
	s_delay_alu instid0(VALU_DEP_1) | instskip(NEXT) | instid1(VALU_DEP_1)
	v_add_f32_e32 v72, v72, v93
	v_add_f32_e32 v72, v72, v92
	ds_bpermute_b32 v73, v73, v72
	s_and_saveexec_b32 s4, s3
	s_cbranch_execz .LBB908_12
; %bb.11:
	v_mul_u32_u24_e32 v70, 0x44, v69
	s_waitcnt lgkmcnt(0)
	v_add_f32_e32 v72, v72, v73
	s_delay_alu instid0(VALU_DEP_2) | instskip(NEXT) | instid1(VALU_DEP_1)
	v_lshl_add_u32 v70, v68, 2, v70
	v_add_nc_u32_e32 v70, 0x4000, v70
	ds_store_2addr_b32 v70, v71, v72 offset1:136
.LBB908_12:
	s_or_b32 exec_lo, exec_lo, s4
	v_lshlrev_b32_e32 v70, 2, v68
	s_load_b32 s36, s[0:1], 0x94
	s_waitcnt lgkmcnt(0)
	s_barrier
	buffer_gl0_inv
	v_add_nc_u32_e32 v98, 0x4000, v70
	v_cmp_eq_u32_e32 vcc_lo, 1, v69
	v_cmp_eq_u32_e64 s4, 2, v69
	v_cmp_eq_u32_e64 s5, 3, v69
	v_cmp_eq_u32_e64 s6, 4, v69
	ds_load_2addr_b32 v[70:71], v98 offset1:17
	ds_load_2addr_b32 v[72:73], v98 offset0:34 offset1:51
	ds_load_2addr_b32 v[74:75], v98 offset0:68 offset1:85
	;; [unrolled: 1-line block ×3, first 2 shown]
	v_cmp_eq_u32_e64 s7, 5, v69
	v_cmp_eq_u32_e64 s8, 7, v69
	s_waitcnt lgkmcnt(3)
	v_max3_f32 v76, v70, 0xff7fffff, v71
	s_waitcnt lgkmcnt(2)
	s_delay_alu instid0(VALU_DEP_1) | instskip(SKIP_1) | instid1(VALU_DEP_1)
	v_max3_f32 v76, v76, v72, v73
	s_waitcnt lgkmcnt(1)
	v_max3_f32 v76, v76, v74, v75
	s_waitcnt lgkmcnt(0)
	s_delay_alu instid0(VALU_DEP_1) | instskip(NEXT) | instid1(VALU_DEP_1)
	v_max3_f32 v76, v76, v94, v95
	v_sub_f32_e32 v77, v71, v76
	ds_load_2addr_b32 v[96:97], v98 offset0:136 offset1:153
	v_sub_f32_e32 v74, v74, v76
	v_sub_f32_e32 v70, v70, v76
	;; [unrolled: 1-line block ×3, first 2 shown]
	v_dual_sub_f32 v72, v72, v76 :: v_dual_mul_f32 v77, 0x3fb8aa3b, v77
	s_delay_alu instid0(VALU_DEP_4) | instskip(NEXT) | instid1(VALU_DEP_4)
	v_mul_f32_e32 v103, 0x3fb8aa3b, v74
	v_mul_f32_e32 v99, 0x3fb8aa3b, v70
	ds_load_2addr_b32 v[70:71], v98 offset0:170 offset1:187
	v_dual_mul_f32 v101, 0x3fb8aa3b, v72 :: v_dual_mul_f32 v94, 0x3fb8aa3b, v94
	v_exp_f32_e32 v102, v77
	v_exp_f32_e32 v99, v99
	s_delay_alu instid0(VALU_DEP_1) | instskip(NEXT) | instid1(VALU_DEP_1)
	v_exp_f32_e32 v101, v101
	v_exp_f32_e32 v94, v94
	s_waitcnt lgkmcnt(1)
	s_delay_alu instid0(TRANS32_DEP_3)
	v_fma_f32 v77, v99, v96, 0
	v_sub_f32_e32 v100, v73, v76
	ds_load_2addr_b32 v[72:73], v98 offset0:204 offset1:221
	v_fmac_f32_e32 v77, v102, v97
	v_exp_f32_e32 v97, v103
	s_waitcnt lgkmcnt(1)
	s_delay_alu instid0(VALU_DEP_1)
	v_dual_fmac_f32 v77, v101, v70 :: v_dual_sub_f32 v96, v75, v76
	ds_load_2addr_b32 v[74:75], v98 offset0:238 offset1:255
	v_sub_f32_e32 v70, v95, v76
	s_waitcnt lgkmcnt(0)
	s_barrier
	v_mul_f32_e32 v96, 0x3fb8aa3b, v96
	buffer_gl0_inv
	v_exp_f32_e32 v95, v96
	v_mul_f32_e32 v100, 0x3fb8aa3b, v100
	s_delay_alu instid0(VALU_DEP_1) | instskip(SKIP_3) | instid1(VALU_DEP_2)
	v_exp_f32_e32 v100, v100
	s_waitcnt_depctr 0xfff
	v_dual_fmac_f32 v77, v100, v71 :: v_dual_mul_f32 v70, 0x3fb8aa3b, v70
	v_cndmask_b32_e32 v71, v99, v102, vcc_lo
	v_fmac_f32_e32 v77, v97, v72
	s_delay_alu instid0(VALU_DEP_3) | instskip(NEXT) | instid1(VALU_DEP_1)
	v_exp_f32_e32 v96, v70
	v_fmac_f32_e32 v77, v95, v73
	s_delay_alu instid0(VALU_DEP_1) | instskip(SKIP_2) | instid1(VALU_DEP_1)
	v_fmac_f32_e32 v77, v94, v74
	s_waitcnt_depctr 0xfff
	v_fmac_f32_e32 v77, v96, v75
	v_add_f32_e32 v74, 0x358637bd, v77
	s_delay_alu instid0(VALU_DEP_1) | instskip(SKIP_1) | instid1(VALU_DEP_2)
	v_div_scale_f32 v98, null, v74, v74, 1.0
	v_div_scale_f32 v99, vcc_lo, 1.0, v74, 1.0
	v_rcp_f32_e32 v103, v98
	s_waitcnt_depctr 0xfff
	v_fma_f32 v70, -v98, v103, 1.0
	s_delay_alu instid0(VALU_DEP_1) | instskip(SKIP_2) | instid1(VALU_DEP_2)
	v_fmac_f32_e32 v103, v70, v103
	v_cndmask_b32_e64 v70, v71, v101, s4
	v_cmp_eq_u32_e64 s4, 6, v69
	v_cndmask_b32_e64 v71, v70, v100, s5
	s_delay_alu instid0(VALU_DEP_4) | instskip(NEXT) | instid1(VALU_DEP_2)
	v_dual_mul_f32 v101, v99, v103 :: v_dual_lshlrev_b32 v70, 2, v66
	v_cndmask_b32_e64 v71, v71, v97, s6
	s_delay_alu instid0(VALU_DEP_2) | instskip(NEXT) | instid1(VALU_DEP_3)
	v_or_b32_e32 v72, 1, v70
	v_fma_f32 v100, -v98, v101, v99
	v_cmp_eq_u32_e64 s5, 1, v70
	v_cmp_eq_u32_e64 s6, 2, v70
	v_cndmask_b32_e64 v95, v71, v95, s7
	v_or_b32_e32 v71, 3, v70
	v_fmac_f32_e32 v101, v100, v103
	v_cmp_eq_u32_e64 s10, 1, v72
	v_cmp_eq_u32_e64 s13, 2, v72
	v_cndmask_b32_e64 v94, v95, v94, s4
	v_cmp_eq_u32_e64 s12, 1, v71
	v_fma_f32 v97, -v98, v101, v99
	v_cmp_eq_u32_e64 s17, 2, v71
	v_cmp_eq_u32_e64 s15, 3, v72
	v_cndmask_b32_e64 v94, v94, v96, s8
	v_cmp_eq_u32_e64 s19, 3, v71
	v_div_fmas_f32 v95, v97, v103, v101
	v_cmp_eq_u32_e32 vcc_lo, 3, v70
	v_cmp_eq_u32_e64 s4, 4, v70
	v_cmp_eq_u32_e64 s20, 4, v72
	v_cmp_eq_u32_e64 s23, 4, v71
	v_div_fixup_f32 v95, v95, v74, 1.0
	v_lshlrev_b32_e32 v73, 6, v68
	v_cmp_eq_u32_e64 s7, 5, v70
	v_cmp_eq_u32_e64 s21, 5, v72
	;; [unrolled: 1-line block ×3, first 2 shown]
	v_mul_f32_e32 v102, v94, v95
	v_lshl_or_b32 v75, v69, 11, v73
	v_or_b32_e32 v69, 2, v70
	v_cmp_eq_u32_e64 s26, 6, v72
	v_cmp_eq_u32_e64 s28, 6, v71
	v_fma_mixlo_f16 v94, v102, v79, 0
	v_fma_mixlo_f16 v95, v102, v81, 0
	;; [unrolled: 1-line block ×8, first 2 shown]
	v_lshl_or_b32 v74, v66, 4, v75
	v_fma_mixhi_f16 v94, v102, v78, 0
	v_fma_mixhi_f16 v95, v102, v80, 0
	v_fma_mixhi_f16 v96, v102, v82, 0
	v_fma_mixhi_f16 v97, v102, v84, 0
	v_fma_mixhi_f16 v98, v102, v86, 0
	v_fma_mixhi_f16 v99, v102, v88, 0
	v_fma_mixhi_f16 v100, v102, v90, 0
	v_fma_mixhi_f16 v101, v102, v92, 0
	ds_store_b128 v74, v[94:97]
	ds_store_b128 v74, v[98:101] offset:1024
	s_waitcnt lgkmcnt(0)
	s_barrier
	buffer_gl0_inv
	ds_load_b128 v[78:81], v75
	ds_load_b128 v[82:85], v75 offset:16
	ds_load_b128 v[86:89], v75 offset:1024
	;; [unrolled: 1-line block ×3, first 2 shown]
	v_cmp_eq_u32_e64 s11, 1, v69
	v_cmp_eq_u32_e64 s16, 2, v69
	;; [unrolled: 1-line block ×11, first 2 shown]
	s_waitcnt lgkmcnt(3)
	v_lshrrev_b32_e32 v94, 16, v78
	s_waitcnt lgkmcnt(2)
	v_lshrrev_b32_e32 v98, 16, v82
	;; [unrolled: 2-line block ×4, first 2 shown]
	v_lshrrev_b32_e32 v95, 16, v79
	v_cndmask_b32_e64 v110, v78, v94, s5
	v_cndmask_b32_e64 v111, v82, v98, s5
	;; [unrolled: 1-line block ×8, first 2 shown]
	v_lshrrev_b32_e32 v99, 16, v83
	v_cndmask_b32_e64 v94, v86, v102, s5
	v_cndmask_b32_e64 v98, v90, v106, s5
	;; [unrolled: 1-line block ×15, first 2 shown]
	v_lshrrev_b32_e32 v103, 16, v87
	v_lshrrev_b32_e32 v107, 16, v91
	v_cndmask_b32_e64 v113, v115, v83, s16
	v_cndmask_b32_e64 v82, v94, v87, s6
	;; [unrolled: 1-line block ×7, first 2 shown]
	v_cndmask_b32_e32 v90, v102, v95, vcc_lo
	v_cndmask_b32_e32 v102, v106, v99, vcc_lo
	v_cndmask_b32_e64 v106, v110, v95, s15
	v_cndmask_b32_e64 v110, v111, v99, s15
	;; [unrolled: 1-line block ×4, first 2 shown]
	v_lshrrev_b32_e32 v96, 16, v80
	v_lshrrev_b32_e32 v100, 16, v84
	v_cndmask_b32_e64 v111, v112, v95, s18
	v_cndmask_b32_e64 v112, v113, v99, s18
	v_cndmask_b32_e32 v82, v82, v103, vcc_lo
	v_cndmask_b32_e32 v83, v83, v107, vcc_lo
	v_cndmask_b32_e64 v94, v94, v103, s15
	v_cndmask_b32_e64 v90, v90, v80, s4
	;; [unrolled: 1-line block ×7, first 2 shown]
	v_lshrrev_b32_e32 v104, 16, v88
	v_cndmask_b32_e64 v106, v111, v80, s22
	v_cndmask_b32_e64 v110, v112, v84, s22
	;; [unrolled: 1-line block ×11, first 2 shown]
	v_lshrrev_b32_e32 v97, 16, v81
	v_lshrrev_b32_e32 v101, 16, v85
	v_cndmask_b32_e64 v99, v106, v96, s24
	v_cndmask_b32_e64 v102, v110, v100, s24
	v_cndmask_b32_e64 v83, v83, v104, s21
	v_cndmask_b32_e64 v94, v94, v81, s26
	v_cndmask_b32_e64 v95, v95, v85, s26
	v_cndmask_b32_e64 v78, v78, v81, s28
	v_cndmask_b32_e64 v79, v79, v85, s28
	v_lshrrev_b32_e32 v105, 16, v89
	v_cndmask_b32_e64 v80, v80, v104, s7
	v_cndmask_b32_e64 v84, v84, v81, s8
	v_cndmask_b32_e64 v90, v90, v85, s8
	v_cndmask_b32_e64 v96, v99, v81, s27
	v_cndmask_b32_e64 v99, v102, v85, s27
	v_cndmask_b32_e64 v81, v83, v89, s26
	v_cndmask_b32_e64 v85, v94, v97, s31
	v_cndmask_b32_e64 v78, v78, v97, s30
	v_cndmask_b32_e64 v79, v79, v101, s30
	v_cndmask_b32_e64 v95, v95, v101, s31
	v_cndmask_b32_e64 v80, v80, v89, s8
	v_cndmask_b32_e64 v83, v84, v97, s9
	v_cndmask_b32_e64 v84, v90, v101, s9
	v_cndmask_b32_e64 v90, v96, v97, s29
	v_cndmask_b32_e64 v94, v99, v101, s29
	v_cndmask_b32_e64 v97, v81, v105, s31
	v_perm_b32 v81, v79, v78, 0x5040100
	v_perm_b32 v79, v95, v85, 0x5040100
	v_cndmask_b32_e64 v78, v119, v91, s16
	v_cndmask_b32_e64 v85, v117, v91, s13
	;; [unrolled: 1-line block ×3, first 2 shown]
	v_perm_b32 v80, v94, v90, 0x5040100
	v_cndmask_b32_e64 v90, v98, v103, s18
	v_cndmask_b32_e64 v86, v86, v103, s19
	;; [unrolled: 1-line block ×5, first 2 shown]
	v_lshrrev_b32_e32 v108, 16, v92
	v_cndmask_b32_e64 v90, v90, v88, s22
	v_cndmask_b32_e64 v86, v86, v88, s23
	;; [unrolled: 1-line block ×11, first 2 shown]
	v_lshrrev_b32_e32 v109, 16, v93
	v_cndmask_b32_e64 v82, v82, v93, s8
	v_cndmask_b32_e64 v88, v88, v89, s27
	v_cndmask_b32_e64 v86, v86, v89, s28
	v_cndmask_b32_e64 v87, v87, v93, s28
	v_cndmask_b32_e64 v78, v78, v93, s27
	v_cndmask_b32_e64 v85, v85, v93, s26
	v_cndmask_b32_e64 v88, v88, v105, s29
	v_cndmask_b32_e64 v86, v86, v105, s30
	v_cndmask_b32_e64 v87, v87, v109, s30
	v_cndmask_b32_e64 v89, v78, v109, s29
	v_cndmask_b32_e64 v90, v85, v109, s31
	v_cndmask_b32_e64 v82, v82, v109, s9
	v_perm_b32 v78, v84, v83, 0x5040100
	v_perm_b32 v85, v87, v86, 0x5040100
	;; [unrolled: 1-line block ×5, first 2 shown]
	s_mul_i32 s9, s35, 3
	s_mov_b32 s4, exec_lo
	ds_store_b128 v74, v[78:81]
	ds_store_b128 v74, v[82:85] offset:1024
	v_cmpx_gt_u32_e32 3, v0
	s_cbranch_execz .LBB908_14
; %bb.13:
	s_mul_i32 s5, s9, s34
	s_load_b128 s[16:19], s[0:1], 0x58
	v_add3_u32 v68, s5, s33, v68
	s_delay_alu instid0(VALU_DEP_1) | instskip(NEXT) | instid1(VALU_DEP_1)
	v_mad_u64_u32 v[78:79], null, v68, s36, s[14:15]
	v_ashrrev_i32_e32 v79, 31, v78
	s_delay_alu instid0(VALU_DEP_1) | instskip(SKIP_1) | instid1(VALU_DEP_1)
	v_lshlrev_b64 v[78:79], 2, v[78:79]
	s_waitcnt lgkmcnt(0)
	v_add_co_u32 v80, vcc_lo, s18, v78
	s_delay_alu instid0(VALU_DEP_2)
	v_add_co_ci_u32_e32 v81, vcc_lo, s19, v79, vcc_lo
	v_add_co_u32 v78, vcc_lo, s16, v78
	v_add_co_ci_u32_e32 v79, vcc_lo, s17, v79, vcc_lo
	global_store_b32 v[80:81], v76, off
	global_store_b32 v[78:79], v77, off
.LBB908_14:
	s_or_b32 exec_lo, exec_lo, s4
	s_waitcnt lgkmcnt(0)
	s_waitcnt_vscnt null, 0x0
	s_barrier
	buffer_gl0_inv
	ds_load_b128 v[84:87], v73
	ds_load_b128 v[88:91], v73 offset:16
	ds_load_b128 v[96:99], v73 offset:2064
	;; [unrolled: 1-line block ×5, first 2 shown]
	v_cmp_eq_u32_e32 vcc_lo, 1, v70
	v_mov_b32_e32 v76, 0
	ds_load_b128 v[112:115], v73 offset:6160
	ds_load_b128 v[108:111], v73 offset:6144
	;; [unrolled: 1-line block ×4, first 2 shown]
	v_cmp_eq_u32_e64 s5, 1, v69
	v_cmp_eq_u32_e64 s4, 1, v72
	;; [unrolled: 1-line block ×3, first 2 shown]
	v_mov_b32_e32 v77, v76
	v_mov_b32_e32 v78, v76
	;; [unrolled: 1-line block ×7, first 2 shown]
	v_cmp_eq_u32_e64 s7, 3, v72
	v_cmp_eq_u32_e64 s8, 7, v72
	s_waitcnt lgkmcnt(8)
	s_delay_alu instid0(VALU_DEP_3)
	v_wmma_f32_16x16x16_f16 v[76:83], v[49:56], v[84:91], v[76:83]
	ds_load_b128 v[53:56], v73 offset:10256
	ds_load_b128 v[49:52], v73 offset:10240
	s_waitcnt lgkmcnt(8)
	v_wmma_f32_16x16x16_f16 v[76:83], v[41:48], v[92:99], v[76:83]
	ds_load_b128 v[45:48], v73 offset:12304
	ds_load_b128 v[41:44], v73 offset:12288
	s_waitcnt lgkmcnt(8)
	;; [unrolled: 4-line block ×3, first 2 shown]
	s_barrier
	buffer_gl0_inv
	v_wmma_f32_16x16x16_f16 v[76:83], v[1:8], v[108:115], v[76:83]
	s_delay_alu instid0(VALU_DEP_1) | instskip(NEXT) | instid1(VALU_DEP_1)
	v_wmma_f32_16x16x16_f16 v[76:83], v[9:16], v[116:123], v[76:83]
	v_wmma_f32_16x16x16_f16 v[76:83], v[17:24], v[49:56], v[76:83]
	s_delay_alu instid0(VALU_DEP_1) | instskip(NEXT) | instid1(VALU_DEP_1)
	v_wmma_f32_16x16x16_f16 v[76:83], v[25:32], v[41:48], v[76:83]
	v_wmma_f32_16x16x16_f16 v[76:83], v[57:64], v[33:40], v[76:83]
	s_delay_alu instid0(VALU_DEP_1) | instskip(NEXT) | instid1(VALU_DEP_2)
	v_cvt_f16_f32_e32 v1, v76
	v_cvt_f16_f32_e32 v2, v77
	s_delay_alu instid0(VALU_DEP_3) | instskip(NEXT) | instid1(VALU_DEP_4)
	v_cvt_f16_f32_e32 v3, v78
	v_cvt_f16_f32_e32 v4, v79
	;; [unrolled: 1-line block ×6, first 2 shown]
	v_pack_b32_f16 v1, v1, v2
	v_pack_b32_f16 v2, v3, v4
	;; [unrolled: 1-line block ×3, first 2 shown]
	s_delay_alu instid0(VALU_DEP_4)
	v_pack_b32_f16 v4, v7, v8
	ds_store_b128 v74, v[1:4]
	s_waitcnt lgkmcnt(0)
	s_barrier
	buffer_gl0_inv
	ds_load_b128 v[1:4], v75
	ds_load_b128 v[5:8], v75 offset:16
	s_waitcnt lgkmcnt(1)
	v_lshrrev_b32_e32 v9, 16, v1
	s_waitcnt lgkmcnt(0)
	v_lshrrev_b32_e32 v13, 16, v5
	v_lshrrev_b32_e32 v10, 16, v2
	;; [unrolled: 1-line block ×4, first 2 shown]
	v_cndmask_b32_e32 v17, v1, v9, vcc_lo
	v_cndmask_b32_e32 v18, v5, v13, vcc_lo
	v_cndmask_b32_e64 v21, v1, v9, s5
	v_cmp_eq_u32_e32 vcc_lo, 1, v71
	v_cndmask_b32_e64 v22, v5, v13, s5
	v_cmp_eq_u32_e64 s5, 2, v70
	v_cndmask_b32_e64 v19, v1, v9, s4
	v_cndmask_b32_e64 v20, v5, v13, s4
	v_cndmask_b32_e32 v1, v1, v9, vcc_lo
	v_cmp_eq_u32_e64 s4, 2, v71
	v_cndmask_b32_e32 v5, v5, v13, vcc_lo
	v_cndmask_b32_e64 v9, v17, v2, s5
	v_cmp_eq_u32_e32 vcc_lo, 3, v70
	v_cndmask_b32_e64 v13, v18, v6, s5
	v_cmp_eq_u32_e64 s5, 2, v69
	v_cndmask_b32_e64 v17, v19, v2, s6
	v_cndmask_b32_e64 v18, v20, v6, s6
	v_cmp_eq_u32_e64 s6, 3, v69
	v_cndmask_b32_e64 v1, v1, v2, s4
	v_cndmask_b32_e64 v19, v21, v2, s5
	;; [unrolled: 1-line block ×4, first 2 shown]
	v_cndmask_b32_e32 v5, v9, v10, vcc_lo
	v_cndmask_b32_e32 v6, v13, v14, vcc_lo
	v_cmp_eq_u32_e32 vcc_lo, 3, v71
	v_cndmask_b32_e64 v9, v17, v10, s7
	v_cndmask_b32_e64 v13, v18, v14, s7
	;; [unrolled: 1-line block ×3, first 2 shown]
	v_cmp_eq_u32_e64 s5, 4, v70
	v_cndmask_b32_e32 v1, v1, v10, vcc_lo
	v_cndmask_b32_e32 v2, v2, v14, vcc_lo
	v_cmp_eq_u32_e32 vcc_lo, 4, v72
	v_lshrrev_b32_e32 v15, 16, v7
	v_lshrrev_b32_e32 v16, 16, v8
	v_cndmask_b32_e64 v17, v19, v10, s6
	v_cmp_eq_u32_e64 s4, 4, v71
	v_cndmask_b32_e64 v5, v5, v3, s5
	v_cndmask_b32_e64 v6, v6, v7, s5
	v_cndmask_b32_e32 v9, v9, v3, vcc_lo
	v_cmp_eq_u32_e64 s5, 5, v72
	v_cndmask_b32_e32 v10, v13, v7, vcc_lo
	v_cmp_eq_u32_e32 vcc_lo, 4, v69
	v_cmp_eq_u32_e64 s6, 5, v70
	v_cndmask_b32_e64 v2, v2, v7, s4
	v_cndmask_b32_e64 v9, v9, v11, s5
	v_cndmask_b32_e64 v10, v10, v15, s5
	v_cndmask_b32_e32 v13, v17, v3, vcc_lo
	v_cmp_eq_u32_e64 s5, 5, v69
	v_cndmask_b32_e32 v14, v18, v7, vcc_lo
	v_cndmask_b32_e64 v1, v1, v3, s4
	v_cmp_eq_u32_e32 vcc_lo, 5, v71
	v_lshrrev_b32_e32 v12, 16, v4
	v_cndmask_b32_e64 v13, v13, v11, s5
	v_cndmask_b32_e64 v3, v14, v15, s5
	v_cmp_eq_u32_e64 s5, 6, v71
	v_cndmask_b32_e32 v1, v1, v11, vcc_lo
	v_cndmask_b32_e64 v5, v5, v11, s6
	v_cmp_eq_u32_e64 s7, 6, v70
	v_cndmask_b32_e64 v6, v6, v15, s6
	v_cmp_eq_u32_e64 s6, 6, v72
	v_cmp_eq_u32_e64 s4, 6, v69
	v_cndmask_b32_e64 v1, v1, v4, s5
	v_cndmask_b32_e32 v2, v2, v15, vcc_lo
	v_cmp_eq_u32_e32 vcc_lo, 7, v71
	v_cndmask_b32_e64 v5, v5, v4, s7
	v_cndmask_b32_e64 v9, v9, v4, s6
	;; [unrolled: 1-line block ×3, first 2 shown]
	v_cmp_eq_u32_e64 s7, 7, v70
	v_cndmask_b32_e32 v1, v1, v12, vcc_lo
	v_cndmask_b32_e64 v7, v13, v4, s4
	v_cndmask_b32_e64 v3, v3, v8, s4
	;; [unrolled: 1-line block ×3, first 2 shown]
	v_cmp_eq_u32_e64 s4, 7, v69
	v_cndmask_b32_e64 v4, v10, v8, s6
	v_cndmask_b32_e64 v5, v5, v12, s7
	;; [unrolled: 1-line block ×3, first 2 shown]
	v_cndmask_b32_e32 v2, v2, v16, vcc_lo
	v_cndmask_b32_e64 v7, v7, v12, s4
	v_cndmask_b32_e64 v3, v3, v16, s4
	;; [unrolled: 1-line block ×4, first 2 shown]
	v_cmp_gt_u32_e32 vcc_lo, 32, v0
	v_perm_b32 v4, v2, v1, 0x5040100
	v_perm_b32 v3, v3, v7, 0x5040100
	;; [unrolled: 1-line block ×4, first 2 shown]
	s_and_b32 s2, vcc_lo, s2
	ds_store_b128 v74, v[1:4]
	s_waitcnt lgkmcnt(0)
	s_barrier
	buffer_gl0_inv
	s_and_saveexec_b32 s4, s2
	s_cbranch_execz .LBB908_2
; %bb.15:
	s_load_b64 s[4:5], s[0:1], 0x68
	v_lshlrev_b32_e32 v0, 10, v0
	v_lshlrev_b32_e32 v2, 4, v67
	v_add_nc_u32_e32 v1, s33, v66
	s_lshl_b32 s0, s36, 6
	s_delay_alu instid0(SALU_CYCLE_1) | instskip(NEXT) | instid1(VALU_DEP_2)
	s_mul_i32 s1, s0, s34
	v_and_or_b32 v0, 0x3800, v0, v2
	s_mul_i32 s6, s1, s9
	v_mul_lo_u32 v1, v1, s0
	s_ashr_i32 s7, s6, 31
	s_delay_alu instid0(VALU_DEP_2) | instskip(SKIP_1) | instid1(VALU_DEP_2)
	v_lshl_or_b32 v3, v66, 6, v0
	s_lshl_b64 s[6:7], s[6:7], 1
	v_ashrrev_i32_e32 v2, 31, v1
	ds_load_b128 v[3:6], v3
	s_waitcnt lgkmcnt(0)
	s_add_u32 s1, s4, s6
	s_addc_u32 s2, s5, s7
	s_lshl_b32 s4, s14, 6
	v_lshlrev_b64 v[7:8], 1, v[1:2]
	s_ashr_i32 s5, s4, 31
	s_delay_alu instid0(SALU_CYCLE_1) | instskip(NEXT) | instid1(SALU_CYCLE_1)
	s_lshl_b64 s[4:5], s[4:5], 1
	s_add_u32 s1, s1, s4
	s_addc_u32 s2, s2, s5
	v_add_co_u32 v1, s1, s1, v65
	s_delay_alu instid0(VALU_DEP_1) | instskip(NEXT) | instid1(VALU_DEP_2)
	v_add_co_ci_u32_e64 v2, null, s2, 0, s1
	v_add_co_u32 v7, vcc_lo, v1, v7
	s_delay_alu instid0(VALU_DEP_2)
	v_add_co_ci_u32_e32 v8, vcc_lo, v2, v8, vcc_lo
	global_store_b128 v[7:8], v[3:6], off
	s_and_b32 exec_lo, exec_lo, s3
	s_cbranch_execz .LBB908_2
; %bb.16:
	ds_load_b128 v[3:6], v0 offset:128
	s_add_i32 s1, s33, 2
	s_delay_alu instid0(SALU_CYCLE_1) | instskip(NEXT) | instid1(SALU_CYCLE_1)
	s_mul_i32 s0, s1, s0
	s_ashr_i32 s1, s0, 31
	s_delay_alu instid0(SALU_CYCLE_1) | instskip(NEXT) | instid1(SALU_CYCLE_1)
	s_lshl_b64 s[0:1], s[0:1], 1
	v_add_co_u32 v0, vcc_lo, v1, s0
	v_add_co_ci_u32_e32 v1, vcc_lo, s1, v2, vcc_lo
	s_waitcnt lgkmcnt(0)
	global_store_b128 v[0:1], v[3:6], off
	s_nop 0
	s_sendmsg sendmsg(MSG_DEALLOC_VGPRS)
	s_endpgm
	.section	.rodata,"a",@progbits
	.p2align	6, 0x0
	.amdhsa_kernel _Z39paged_attention_ll4mi_QKV_mfma16_kernelIDF16_hLN4vllm18Fp8KVCacheDataTypeE1EDF16_Li32ELi64ELi256ELb1ELi3EL8MFMAType1EEvPKT_PKT0_S8_ifPKiSA_SA_iPKfiiiPfSD_PS3_PT2_iSC_SC_
		.amdhsa_group_segment_fixed_size 17472
		.amdhsa_private_segment_fixed_size 0
		.amdhsa_kernarg_size 400
		.amdhsa_user_sgpr_count 13
		.amdhsa_user_sgpr_dispatch_ptr 0
		.amdhsa_user_sgpr_queue_ptr 0
		.amdhsa_user_sgpr_kernarg_segment_ptr 1
		.amdhsa_user_sgpr_dispatch_id 0
		.amdhsa_user_sgpr_private_segment_size 0
		.amdhsa_wavefront_size32 1
		.amdhsa_uses_dynamic_stack 0
		.amdhsa_enable_private_segment 0
		.amdhsa_system_sgpr_workgroup_id_x 1
		.amdhsa_system_sgpr_workgroup_id_y 1
		.amdhsa_system_sgpr_workgroup_id_z 1
		.amdhsa_system_sgpr_workgroup_info 0
		.amdhsa_system_vgpr_workitem_id 0
		.amdhsa_next_free_vgpr 146
		.amdhsa_next_free_sgpr 37
		.amdhsa_reserve_vcc 1
		.amdhsa_float_round_mode_32 0
		.amdhsa_float_round_mode_16_64 0
		.amdhsa_float_denorm_mode_32 3
		.amdhsa_float_denorm_mode_16_64 3
		.amdhsa_dx10_clamp 1
		.amdhsa_ieee_mode 1
		.amdhsa_fp16_overflow 0
		.amdhsa_workgroup_processor_mode 1
		.amdhsa_memory_ordered 1
		.amdhsa_forward_progress 0
		.amdhsa_shared_vgpr_count 0
		.amdhsa_exception_fp_ieee_invalid_op 0
		.amdhsa_exception_fp_denorm_src 0
		.amdhsa_exception_fp_ieee_div_zero 0
		.amdhsa_exception_fp_ieee_overflow 0
		.amdhsa_exception_fp_ieee_underflow 0
		.amdhsa_exception_fp_ieee_inexact 0
		.amdhsa_exception_int_div_zero 0
	.end_amdhsa_kernel
	.section	.text._Z39paged_attention_ll4mi_QKV_mfma16_kernelIDF16_hLN4vllm18Fp8KVCacheDataTypeE1EDF16_Li32ELi64ELi256ELb1ELi3EL8MFMAType1EEvPKT_PKT0_S8_ifPKiSA_SA_iPKfiiiPfSD_PS3_PT2_iSC_SC_,"axG",@progbits,_Z39paged_attention_ll4mi_QKV_mfma16_kernelIDF16_hLN4vllm18Fp8KVCacheDataTypeE1EDF16_Li32ELi64ELi256ELb1ELi3EL8MFMAType1EEvPKT_PKT0_S8_ifPKiSA_SA_iPKfiiiPfSD_PS3_PT2_iSC_SC_,comdat
.Lfunc_end908:
	.size	_Z39paged_attention_ll4mi_QKV_mfma16_kernelIDF16_hLN4vllm18Fp8KVCacheDataTypeE1EDF16_Li32ELi64ELi256ELb1ELi3EL8MFMAType1EEvPKT_PKT0_S8_ifPKiSA_SA_iPKfiiiPfSD_PS3_PT2_iSC_SC_, .Lfunc_end908-_Z39paged_attention_ll4mi_QKV_mfma16_kernelIDF16_hLN4vllm18Fp8KVCacheDataTypeE1EDF16_Li32ELi64ELi256ELb1ELi3EL8MFMAType1EEvPKT_PKT0_S8_ifPKiSA_SA_iPKfiiiPfSD_PS3_PT2_iSC_SC_
                                        ; -- End function
	.section	.AMDGPU.csdata,"",@progbits
; Kernel info:
; codeLenInByte = 6420
; NumSgprs: 39
; NumVgprs: 146
; ScratchSize: 0
; MemoryBound: 0
; FloatMode: 240
; IeeeMode: 1
; LDSByteSize: 17472 bytes/workgroup (compile time only)
; SGPRBlocks: 4
; VGPRBlocks: 18
; NumSGPRsForWavesPerEU: 39
; NumVGPRsForWavesPerEU: 146
; Occupancy: 9
; WaveLimiterHint : 1
; COMPUTE_PGM_RSRC2:SCRATCH_EN: 0
; COMPUTE_PGM_RSRC2:USER_SGPR: 13
; COMPUTE_PGM_RSRC2:TRAP_HANDLER: 0
; COMPUTE_PGM_RSRC2:TGID_X_EN: 1
; COMPUTE_PGM_RSRC2:TGID_Y_EN: 1
; COMPUTE_PGM_RSRC2:TGID_Z_EN: 1
; COMPUTE_PGM_RSRC2:TIDIG_COMP_CNT: 0
	.section	.text._Z39paged_attention_ll4mi_QKV_mfma16_kernelIDF16_hLN4vllm18Fp8KVCacheDataTypeE1EDF16_Li32ELi64ELi256ELb1ELi4EL8MFMAType1EEvPKT_PKT0_S8_ifPKiSA_SA_iPKfiiiPfSD_PS3_PT2_iSC_SC_,"axG",@progbits,_Z39paged_attention_ll4mi_QKV_mfma16_kernelIDF16_hLN4vllm18Fp8KVCacheDataTypeE1EDF16_Li32ELi64ELi256ELb1ELi4EL8MFMAType1EEvPKT_PKT0_S8_ifPKiSA_SA_iPKfiiiPfSD_PS3_PT2_iSC_SC_,comdat
	.protected	_Z39paged_attention_ll4mi_QKV_mfma16_kernelIDF16_hLN4vllm18Fp8KVCacheDataTypeE1EDF16_Li32ELi64ELi256ELb1ELi4EL8MFMAType1EEvPKT_PKT0_S8_ifPKiSA_SA_iPKfiiiPfSD_PS3_PT2_iSC_SC_ ; -- Begin function _Z39paged_attention_ll4mi_QKV_mfma16_kernelIDF16_hLN4vllm18Fp8KVCacheDataTypeE1EDF16_Li32ELi64ELi256ELb1ELi4EL8MFMAType1EEvPKT_PKT0_S8_ifPKiSA_SA_iPKfiiiPfSD_PS3_PT2_iSC_SC_
	.globl	_Z39paged_attention_ll4mi_QKV_mfma16_kernelIDF16_hLN4vllm18Fp8KVCacheDataTypeE1EDF16_Li32ELi64ELi256ELb1ELi4EL8MFMAType1EEvPKT_PKT0_S8_ifPKiSA_SA_iPKfiiiPfSD_PS3_PT2_iSC_SC_
	.p2align	8
	.type	_Z39paged_attention_ll4mi_QKV_mfma16_kernelIDF16_hLN4vllm18Fp8KVCacheDataTypeE1EDF16_Li32ELi64ELi256ELb1ELi4EL8MFMAType1EEvPKT_PKT0_S8_ifPKiSA_SA_iPKfiiiPfSD_PS3_PT2_iSC_SC_,@function
_Z39paged_attention_ll4mi_QKV_mfma16_kernelIDF16_hLN4vllm18Fp8KVCacheDataTypeE1EDF16_Li32ELi64ELi256ELb1ELi4EL8MFMAType1EEvPKT_PKT0_S8_ifPKiSA_SA_iPKfiiiPfSD_PS3_PT2_iSC_SC_: ; @_Z39paged_attention_ll4mi_QKV_mfma16_kernelIDF16_hLN4vllm18Fp8KVCacheDataTypeE1EDF16_Li32ELi64ELi256ELb1ELi4EL8MFMAType1EEvPKT_PKT0_S8_ifPKiSA_SA_iPKfiiiPfSD_PS3_PT2_iSC_SC_
; %bb.0:
	s_load_b64 s[2:3], s[0:1], 0x30
	s_mov_b32 s34, s13
	s_waitcnt lgkmcnt(0)
	s_cmp_lg_u64 s[2:3], 0
	s_cselect_b32 s8, -1, 0
	s_ashr_i32 s35, s13, 31
	s_cmp_eq_u64 s[2:3], 0
	s_cbranch_scc1 .LBB909_3
; %bb.1:
	s_lshl_b64 s[4:5], s[34:35], 2
	s_delay_alu instid0(SALU_CYCLE_1) | instskip(SKIP_4) | instid1(SALU_CYCLE_1)
	s_add_u32 s4, s2, s4
	s_addc_u32 s5, s3, s5
	s_load_b64 s[4:5], s[4:5], 0x0
	s_waitcnt lgkmcnt(0)
	s_sub_i32 s4, s5, s4
	s_cmp_eq_u32 s4, 1
	s_cselect_b32 s4, -1, 0
	s_delay_alu instid0(SALU_CYCLE_1)
	s_and_not1_b32 vcc_lo, exec_lo, s4
	s_cbranch_vccz .LBB909_4
.LBB909_2:
	s_endpgm
.LBB909_3:
.LBB909_4:
	s_load_b64 s[4:5], s[0:1], 0x28
	s_lshl_b64 s[6:7], s[34:35], 2
	s_waitcnt lgkmcnt(0)
	s_add_u32 s4, s4, s6
	s_addc_u32 s5, s5, s7
	s_lshl_b32 s12, s14, 8
	s_load_b32 s24, s[4:5], 0x0
	s_waitcnt lgkmcnt(0)
	s_cmp_ge_i32 s12, s24
	s_cbranch_scc1 .LBB909_2
; %bb.5:
	s_clause 0x1
	s_load_b128 s[20:23], s[0:1], 0x8
	s_load_b64 s[4:5], s[0:1], 0x20
	s_and_not1_b32 vcc_lo, exec_lo, s8
	s_cbranch_vccnz .LBB909_7
; %bb.6:
	s_add_u32 s2, s2, s6
	s_addc_u32 s3, s3, s7
	s_load_b32 s3, s[2:3], 0x0
	s_branch .LBB909_8
.LBB909_7:
	s_mov_b32 s3, s34
.LBB909_8:
	s_load_b128 s[16:19], s[0:1], 0x48
	v_and_b32_e32 v69, 15, v0
	v_cmp_gt_u32_e32 vcc_lo, 64, v0
	v_lshrrev_b32_e32 v68, 5, v0
	v_and_b32_e32 v70, 31, v0
	v_and_b32_e32 v66, 1, v0
	v_lshlrev_b32_e32 v1, 3, v69
	v_cmp_gt_u32_e64 s2, 8, v69
	v_bfe_u32 v67, v0, 4, 1
	s_lshl_b32 s31, s15, 2
	s_delay_alu instid0(VALU_DEP_3) | instskip(NEXT) | instid1(VALU_DEP_3)
	v_lshlrev_b32_e32 v65, 1, v1
	s_and_b32 s7, vcc_lo, s2
	s_delay_alu instid0(SALU_CYCLE_1)
	s_and_saveexec_b32 s6, s7
	s_cbranch_execz .LBB909_10
; %bb.9:
	v_lshl_or_b32 v5, v68, 1, v67
	s_load_b64 s[8:9], s[0:1], 0x0
	s_waitcnt lgkmcnt(0)
	s_mul_hi_i32 s11, s3, s16
	s_mul_i32 s10, s3, s16
	v_lshlrev_b32_e32 v6, 10, v69
	v_or_b32_e32 v1, s31, v5
	s_lshl_b64 s[10:11], s[10:11], 1
	v_lshlrev_b32_e32 v5, 6, v5
	v_lshlrev_b32_e32 v7, 10, v66
	v_and_b32_e32 v6, 0x3800, v6
	v_lshlrev_b32_e32 v1, 6, v1
	s_delay_alu instid0(VALU_DEP_2) | instskip(NEXT) | instid1(VALU_DEP_2)
	v_or3_b32 v5, v6, v7, v5
	v_ashrrev_i32_e32 v2, 31, v1
	s_delay_alu instid0(VALU_DEP_1) | instskip(SKIP_2) | instid1(VALU_DEP_1)
	v_lshlrev_b64 v[1:2], 1, v[1:2]
	s_add_u32 s3, s8, s10
	s_addc_u32 s7, s9, s11
	v_add_co_u32 v1, vcc_lo, s3, v1
	s_delay_alu instid0(VALU_DEP_2) | instskip(NEXT) | instid1(VALU_DEP_2)
	v_add_co_ci_u32_e32 v2, vcc_lo, s7, v2, vcc_lo
	v_add_co_u32 v1, vcc_lo, v1, v65
	s_delay_alu instid0(VALU_DEP_2)
	v_add_co_ci_u32_e32 v2, vcc_lo, 0, v2, vcc_lo
	global_load_b128 v[1:4], v[1:2], off
	s_waitcnt vmcnt(0)
	ds_store_b128 v5, v[1:4]
.LBB909_10:
	s_or_b32 exec_lo, exec_lo, s6
	v_and_b32_e32 v1, 0xef, v0
	s_waitcnt lgkmcnt(0)
	s_add_i32 s3, s24, 31
	s_clause 0x1
	s_load_b32 s6, s[0:1], 0x38
	s_load_b32 s33, s[0:1], 0x98
	s_ashr_i32 s7, s3, 31
	v_add_nc_u32_e32 v1, s12, v1
	s_lshr_b32 s7, s7, 27
	s_load_b32 s19, s[0:1], 0x1c
	s_add_i32 s3, s3, s7
	s_waitcnt lgkmcnt(0)
	v_ashrrev_i32_e32 v2, 31, v1
	v_or_b32_e32 v3, 16, v1
	s_ashr_i32 s3, s3, 5
	v_cmp_gt_i32_e32 vcc_lo, s24, v1
	s_add_i32 s3, s3, -1
	v_lshrrev_b32_e32 v2, 27, v2
	s_barrier
	buffer_gl0_inv
	s_mul_i32 s27, s15, s18
	v_add_nc_u32_e32 v4, v1, v2
	s_mul_i32 s6, s34, s6
	s_delay_alu instid0(SALU_CYCLE_1) | instskip(NEXT) | instid1(VALU_DEP_1)
	s_ashr_i32 s7, s6, 31
	v_ashrrev_i32_e32 v4, 5, v4
	v_add_nc_u32_e32 v2, v3, v2
	s_lshl_b64 s[6:7], s[6:7], 2
	s_delay_alu instid0(SALU_CYCLE_1) | instskip(NEXT) | instid1(VALU_DEP_2)
	s_add_u32 s26, s4, s6
	v_cndmask_b32_e32 v1, s3, v4, vcc_lo
	s_delay_alu instid0(VALU_DEP_2)
	v_ashrrev_i32_e32 v2, 5, v2
	v_cmp_gt_i32_e32 vcc_lo, s24, v3
	s_addc_u32 s25, s5, s7
	s_ashr_i32 s28, s27, 31
	s_add_u32 s4, s20, s27
	s_addc_u32 s5, s21, s28
	v_cndmask_b32_e32 v3, s3, v2, vcc_lo
	v_ashrrev_i32_e32 v2, 31, v1
	s_lshl_b32 s6, s14, 3
	s_delay_alu instid0(SALU_CYCLE_1) | instskip(NEXT) | instid1(VALU_DEP_2)
	s_ashr_i32 s7, s6, 31
	v_ashrrev_i32_e32 v4, 31, v3
	s_delay_alu instid0(VALU_DEP_2) | instskip(SKIP_1) | instid1(SALU_CYCLE_1)
	v_lshlrev_b64 v[1:2], 2, v[1:2]
	s_lshl_b64 s[6:7], s[6:7], 2
	s_add_u32 s6, s26, s6
	s_delay_alu instid0(VALU_DEP_2) | instskip(SKIP_1) | instid1(VALU_DEP_2)
	v_lshlrev_b64 v[3:4], 2, v[3:4]
	s_addc_u32 s7, s25, s7
	v_add_co_u32 v1, vcc_lo, s26, v1
	v_add_co_ci_u32_e32 v2, vcc_lo, s25, v2, vcc_lo
	s_delay_alu instid0(VALU_DEP_3) | instskip(NEXT) | instid1(VALU_DEP_4)
	v_add_co_u32 v3, vcc_lo, s26, v3
	v_add_co_ci_u32_e32 v4, vcc_lo, s25, v4, vcc_lo
	s_clause 0x1
	global_load_b32 v5, v[1:2], off
	global_load_b32 v6, v[3:4], off
	s_or_b32 s8, s12, 32
	s_delay_alu instid0(SALU_CYCLE_1) | instskip(SKIP_2) | instid1(SALU_CYCLE_1)
	s_ashr_i32 s9, s8, 5
	s_cmp_lt_i32 s8, s24
	s_cselect_b32 s8, s9, s3
	s_ashr_i32 s9, s8, 31
	s_delay_alu instid0(SALU_CYCLE_1) | instskip(NEXT) | instid1(SALU_CYCLE_1)
	s_lshl_b64 s[8:9], s[8:9], 2
	s_add_u32 s8, s26, s8
	s_addc_u32 s9, s25, s9
	s_or_b32 s10, s12, 64
	s_delay_alu instid0(SALU_CYCLE_1) | instskip(SKIP_2) | instid1(SALU_CYCLE_1)
	s_ashr_i32 s11, s10, 5
	s_cmp_lt_i32 s10, s24
	s_cselect_b32 s10, s11, s3
	s_ashr_i32 s11, s10, 31
	s_delay_alu instid0(SALU_CYCLE_1) | instskip(NEXT) | instid1(SALU_CYCLE_1)
	s_lshl_b64 s[10:11], s[10:11], 2
	s_add_u32 s10, s26, s10
	s_addc_u32 s11, s25, s11
	;; [unrolled: 10-line block ×5, first 2 shown]
	s_clause 0x5
	s_load_b32 s21, s[6:7], 0x0
	s_load_b32 s13, s[8:9], 0x0
	;; [unrolled: 1-line block ×6, first 2 shown]
	s_or_b32 s7, s12, 0xc0
	s_delay_alu instid0(SALU_CYCLE_1) | instskip(SKIP_2) | instid1(SALU_CYCLE_1)
	s_ashr_i32 s8, s7, 5
	s_cmp_lt_i32 s7, s24
	s_cselect_b32 s10, s8, s3
	s_ashr_i32 s11, s10, 31
	s_delay_alu instid0(SALU_CYCLE_1) | instskip(NEXT) | instid1(SALU_CYCLE_1)
	s_lshl_b64 s[36:37], s[10:11], 2
	s_add_u32 s36, s26, s36
	s_addc_u32 s37, s25, s37
	s_or_b32 s29, s12, 0xe0
	s_delay_alu instid0(SALU_CYCLE_1)
	s_ashr_i32 s30, s29, 5
	s_cmp_lt_i32 s29, s24
	s_waitcnt vmcnt(1)
	v_mad_i64_i32 v[1:2], null, v5, s17, s[4:5]
	s_waitcnt vmcnt(0)
	v_mad_i64_i32 v[3:4], null, v6, s17, s[4:5]
	s_mov_b32 s4, 0
	s_delay_alu instid0(SALU_CYCLE_1)
	s_mov_b32 s5, s4
	s_mov_b32 s6, s4
	;; [unrolled: 1-line block ×7, first 2 shown]
	s_delay_alu instid0(SALU_CYCLE_1) | instskip(SKIP_2) | instid1(VALU_DEP_3)
	v_dual_mov_b32 v102, s11 :: v_dual_lshlrev_b32 v5, 4, v69
	v_dual_mov_b32 v98, s7 :: v_dual_mov_b32 v101, s10
	v_mov_b32_e32 v100, s9
	v_add_co_u32 v1, vcc_lo, v1, v5
	v_add_co_ci_u32_e32 v2, vcc_lo, 0, v2, vcc_lo
	v_add_co_u32 v3, vcc_lo, v3, v5
	v_add_co_ci_u32_e32 v4, vcc_lo, 0, v4, vcc_lo
	s_clause 0x7
	global_load_b128 v[57:60], v[1:2], off
	global_load_b128 v[61:64], v[1:2], off offset:512
	global_load_b128 v[71:74], v[3:4], off offset:256
	;; [unrolled: 1-line block ×7, first 2 shown]
	v_dual_mov_b32 v96, s5 :: v_dual_and_b32 v1, 3, v0
	v_mov_b32_e32 v99, s8
	v_mov_b32_e32 v97, s6
	;; [unrolled: 1-line block ×3, first 2 shown]
	s_cselect_b32 s4, s30, s3
	v_lshlrev_b32_e32 v2, 5, v69
	s_ashr_i32 s5, s4, 31
	v_lshlrev_b32_e32 v121, 6, v1
	s_lshl_b64 s[4:5], s[4:5], 2
	s_load_b32 s3, s[36:37], 0x0
	s_add_u32 s4, s26, s4
	s_addc_u32 s5, s25, s5
	v_lshl_or_b32 v1, v68, 9, v2
	ds_load_b128 v[103:106], v121
	ds_load_b128 v[107:110], v121 offset:1024
	s_load_b32 s4, s[4:5], 0x0
	s_add_u32 s6, s22, s27
	s_addc_u32 s7, s23, s28
	v_add_co_u32 v17, s6, s6, v1
	s_delay_alu instid0(VALU_DEP_1) | instskip(SKIP_1) | instid1(VALU_DEP_1)
	v_add_co_ci_u32_e64 v18, null, s7, 0, s6
	s_waitcnt lgkmcnt(0)
	v_mad_i64_i32 v[1:2], null, s21, s17, v[17:18]
	v_mad_i64_i32 v[3:4], null, s13, s17, v[17:18]
	;; [unrolled: 1-line block ×7, first 2 shown]
	s_clause 0x9
	global_load_b128 v[49:52], v[1:2], off
	global_load_b128 v[53:56], v[1:2], off offset:16
	global_load_b128 v[41:44], v[3:4], off
	global_load_b128 v[45:48], v[3:4], off offset:16
	;; [unrolled: 2-line block ×5, first 2 shown]
	v_mad_i64_i32 v[119:120], null, s4, s17, v[17:18]
	s_clause 0x3
	global_load_b128 v[17:20], v[21:22], off
	global_load_b128 v[21:24], v[21:22], off offset:16
	global_load_b128 v[25:28], v[29:30], off
	global_load_b128 v[29:32], v[29:30], off offset:16
	s_waitcnt vmcnt(20)
	v_wmma_f32_16x16x16_f16 v[111:118], v[57:64], v[103:110], v[95:102]
	s_clause 0x1
	global_load_b128 v[57:60], v[119:120], off
	global_load_b128 v[61:64], v[119:120], off offset:16
	s_waitcnt vmcnt(20)
	v_wmma_f32_16x16x16_f16 v[95:102], v[71:78], v[103:110], v[95:102]
	ds_load_b128 v[71:74], v121 offset:2048
	ds_load_b128 v[75:78], v121 offset:3072
	v_mbcnt_lo_u32_b32 v104, -1, 0
	s_waitcnt vmcnt(0) lgkmcnt(0)
	s_barrier
	buffer_gl0_inv
	v_xor_b32_e32 v105, 16, v104
	s_delay_alu instid0(VALU_DEP_1) | instskip(SKIP_4) | instid1(VALU_DEP_2)
	v_cmp_gt_i32_e32 vcc_lo, 32, v105
	v_cndmask_b32_e32 v104, v104, v105, vcc_lo
	v_wmma_f32_16x16x16_f16 v[111:118], v[79:86], v[71:78], v[111:118]
	v_and_b32_e32 v103, 0xe0, v0
	v_wmma_f32_16x16x16_f16 v[95:102], v[87:94], v[71:78], v[95:102]
	v_dual_mul_f32 v78, s19, v113 :: v_dual_add_nc_u32 v103, s12, v103
	s_delay_alu instid0(VALU_DEP_2) | instskip(SKIP_1) | instid1(VALU_DEP_3)
	v_dual_mul_f32 v90, s19, v101 :: v_dual_mul_f32 v87, s19, v112
	v_dual_mul_f32 v88, s19, v111 :: v_dual_mul_f32 v77, s19, v114
	v_or_b32_e32 v103, v103, v67
	v_dual_mul_f32 v75, s19, v116 :: v_dual_mul_f32 v94, s19, v97
	v_dual_mul_f32 v76, s19, v115 :: v_dual_mul_f32 v73, s19, v118
	v_mul_f32_e32 v92, s19, v99
	s_delay_alu instid0(VALU_DEP_4)
	v_or_b32_e32 v105, 2, v103
	v_or_b32_e32 v106, 4, v103
	;; [unrolled: 1-line block ×3, first 2 shown]
	v_cmp_gt_i32_e64 s3, s24, v103
	v_or_b32_e32 v108, 8, v103
	v_cmp_gt_i32_e32 vcc_lo, s24, v105
	v_or_b32_e32 v109, 10, v103
	v_cmp_gt_i32_e64 s4, s24, v106
	v_cndmask_b32_e64 v88, 0xff7fffff, v88, s3
	v_cmp_gt_i32_e64 s5, s24, v107
	v_cndmask_b32_e32 v87, 0xff7fffff, v87, vcc_lo
	v_or_b32_e32 v79, 12, v103
	v_or_b32_e32 v80, 14, v103
	v_cndmask_b32_e64 v78, 0xff7fffff, v78, s4
	v_cndmask_b32_e64 v77, 0xff7fffff, v77, s5
	v_max3_f32 v87, v88, 0xff7fffff, v87
	v_cmp_gt_i32_e64 s6, s24, v108
	v_cmp_gt_i32_e64 s7, s24, v109
	v_or_b32_e32 v81, 16, v103
	v_or_b32_e32 v82, 18, v103
	v_mul_f32_e32 v74, s19, v117
	v_cndmask_b32_e64 v76, 0xff7fffff, v76, s6
	v_cndmask_b32_e64 v75, 0xff7fffff, v75, s7
	v_max3_f32 v77, v87, v78, v77
	v_cmp_gt_i32_e64 s8, s24, v79
	v_cmp_gt_i32_e64 s9, s24, v80
	v_or_b32_e32 v83, 20, v103
	v_or_b32_e32 v84, 22, v103
	;; [unrolled: 1-line block ×6, first 2 shown]
	v_mul_f32_e32 v105, s19, v96
	v_mul_f32_e32 v103, s19, v95
	v_cndmask_b32_e64 v74, 0xff7fffff, v74, s8
	v_cndmask_b32_e64 v73, 0xff7fffff, v73, s9
	v_max3_f32 v75, v77, v76, v75
	v_cmp_gt_i32_e64 s10, s24, v81
	v_cmp_gt_i32_e64 s11, s24, v82
	v_mul_f32_e32 v93, s19, v98
	v_cmp_gt_i32_e64 s12, s24, v83
	v_max3_f32 v73, v75, v74, v73
	v_cndmask_b32_e64 v76, 0xff7fffff, v103, s10
	v_cndmask_b32_e64 v77, 0xff7fffff, v105, s11
	v_cmp_gt_i32_e64 s13, s24, v84
	v_mul_f32_e32 v91, s19, v100
	v_cndmask_b32_e64 v74, 0xff7fffff, v94, s12
	v_cmp_gt_i32_e64 s15, s24, v85
	v_max3_f32 v73, v73, v76, v77
	v_cndmask_b32_e64 v75, 0xff7fffff, v93, s13
	v_cmp_gt_i32_e64 s16, s24, v86
	v_mul_f32_e32 v89, s19, v102
	v_cndmask_b32_e64 v76, 0xff7fffff, v92, s15
	v_cmp_gt_i32_e64 s17, s24, v71
	v_max3_f32 v73, v73, v74, v75
	v_cndmask_b32_e64 v77, 0xff7fffff, v91, s16
	v_cmp_gt_i32_e64 s18, s24, v72
	v_lshlrev_b32_e32 v74, 2, v104
	v_cndmask_b32_e64 v71, 0xff7fffff, v90, s17
	s_delay_alu instid0(VALU_DEP_4) | instskip(NEXT) | instid1(VALU_DEP_4)
	v_max3_f32 v73, v73, v76, v77
	v_cndmask_b32_e64 v72, 0xff7fffff, v89, s18
	s_delay_alu instid0(VALU_DEP_1) | instskip(SKIP_3) | instid1(VALU_DEP_1)
	v_max3_f32 v71, v73, v71, v72
	ds_bpermute_b32 v72, v74, v71
	s_waitcnt lgkmcnt(0)
	v_max_f32_e32 v72, v72, v72
	v_max_f32_e32 v71, v71, v72
	s_delay_alu instid0(VALU_DEP_1)
	v_fma_f32 v72, s19, v111, -v71
	v_fma_f32 v76, s19, v114, -v71
	;; [unrolled: 1-line block ×5, first 2 shown]
	v_mul_f32_e32 v72, 0x3fb8aa3b, v72
	v_mul_f32_e32 v76, 0x3fb8aa3b, v76
	v_fma_f32 v75, s19, v113, -v71
	v_mul_f32_e32 v79, 0x3fb8aa3b, v77
	v_mul_f32_e32 v85, 0x3fb8aa3b, v84
	v_exp_f32_e32 v72, v72
	v_exp_f32_e32 v76, v76
	v_fma_f32 v86, s19, v98, -v71
	v_exp_f32_e32 v82, v79
	v_exp_f32_e32 v85, v85
	v_fma_f32 v81, s19, v117, -v71
	s_delay_alu instid0(VALU_DEP_2) | instskip(SKIP_3) | instid1(TRANS32_DEP_3)
	v_mul_f32_e32 v87, 0x3fb8aa3b, v86
	v_cndmask_b32_e64 v78, 0, v72, s3
	v_fma_f32 v72, s19, v116, -v71
	v_mul_f32_e32 v73, 0x3fb8aa3b, v73
	v_cndmask_b32_e64 v79, 0, v76, s5
	v_fma_f32 v76, s19, v95, -v71
	s_delay_alu instid0(VALU_DEP_4) | instskip(NEXT) | instid1(VALU_DEP_4)
	v_dual_mul_f32 v75, 0x3fb8aa3b, v75 :: v_dual_mul_f32 v72, 0x3fb8aa3b, v72
	v_exp_f32_e32 v73, v73
	v_exp_f32_e32 v87, v87
	s_delay_alu instid0(VALU_DEP_2) | instskip(NEXT) | instid1(VALU_DEP_2)
	v_mul_f32_e32 v76, 0x3fb8aa3b, v76
	v_exp_f32_e32 v75, v75
	v_cndmask_b32_e64 v85, 0, v85, s11
	v_mul_f32_e32 v81, 0x3fb8aa3b, v81
	v_exp_f32_e32 v72, v72
	v_cndmask_b32_e64 v82, 0, v82, s6
	v_exp_f32_e32 v76, v76
	s_mov_b32 s3, exec_lo
	v_cndmask_b32_e32 v77, 0, v73, vcc_lo
	v_add_f32_e32 v73, 0, v78
	v_cndmask_b32_e64 v87, 0, v87, s13
	v_cndmask_b32_e64 v80, 0, v75, s4
	v_fma_f32 v75, s19, v118, -v71
	v_exp_f32_e32 v83, v81
	v_add_f32_e32 v73, v73, v77
	v_cndmask_b32_e64 v81, 0, v72, s7
	v_cndmask_b32_e64 v86, 0, v76, s10
	v_mul_f32_e32 v75, 0x3fb8aa3b, v75
	s_delay_alu instid0(VALU_DEP_4) | instskip(NEXT) | instid1(VALU_DEP_2)
	v_add_f32_e32 v73, v73, v80
	v_exp_f32_e32 v75, v75
	s_delay_alu instid0(TRANS32_DEP_2) | instskip(NEXT) | instid1(VALU_DEP_2)
	v_cndmask_b32_e64 v84, 0, v83, s8
	v_add_f32_e32 v73, v73, v79
	s_delay_alu instid0(VALU_DEP_1) | instskip(SKIP_3) | instid1(VALU_DEP_1)
	v_add_f32_e32 v72, v73, v82
	s_waitcnt_depctr 0xfff
	v_cndmask_b32_e64 v83, 0, v75, s9
	v_add_f32_e32 v72, v72, v81
	v_add_f32_e32 v72, v72, v84
	s_delay_alu instid0(VALU_DEP_1) | instskip(NEXT) | instid1(VALU_DEP_1)
	v_add_f32_e32 v72, v72, v83
	v_add_f32_e32 v72, v72, v86
	v_fma_f32 v73, s19, v97, -v71
	v_fma_f32 v75, s19, v99, -v71
	;; [unrolled: 1-line block ×4, first 2 shown]
	v_add_f32_e32 v72, v72, v85
	v_mul_f32_e32 v73, 0x3fb8aa3b, v73
	s_delay_alu instid0(VALU_DEP_4) | instskip(NEXT) | instid1(VALU_DEP_2)
	v_dual_mul_f32 v75, 0x3fb8aa3b, v75 :: v_dual_mul_f32 v76, 0x3fb8aa3b, v76
	v_exp_f32_e32 v73, v73
	s_delay_alu instid0(VALU_DEP_1) | instskip(NEXT) | instid1(VALU_DEP_1)
	v_exp_f32_e32 v75, v75
	v_exp_f32_e32 v76, v76
	s_delay_alu instid0(TRANS32_DEP_3)
	v_cndmask_b32_e64 v88, 0, v73, s12
	v_mul_f32_e32 v73, 0x3fb8aa3b, v89
	v_fma_f32 v89, s19, v102, -v71
	s_waitcnt_depctr 0xfff
	v_cndmask_b32_e64 v90, 0, v75, s15
	v_add_f32_e32 v72, v72, v88
	v_exp_f32_e32 v73, v73
	v_mul_f32_e32 v75, 0x3fb8aa3b, v89
	v_cndmask_b32_e64 v89, 0, v76, s16
	s_delay_alu instid0(VALU_DEP_3) | instskip(NEXT) | instid1(VALU_DEP_3)
	v_add_f32_e32 v72, v72, v87
	v_exp_f32_e32 v75, v75
	s_delay_alu instid0(VALU_DEP_1) | instskip(SKIP_4) | instid1(VALU_DEP_2)
	v_add_f32_e32 v72, v72, v90
	s_waitcnt_depctr 0xfff
	v_cndmask_b32_e64 v92, 0, v73, s17
	v_add_f32_e32 v72, v72, v89
	v_cndmask_b32_e64 v91, 0, v75, s18
	v_add_f32_e32 v72, v72, v92
	s_delay_alu instid0(VALU_DEP_1)
	v_add_f32_e32 v72, v72, v91
	ds_bpermute_b32 v73, v74, v72
	v_cmpx_gt_u32_e32 16, v70
	s_cbranch_execz .LBB909_12
; %bb.11:
	v_mul_u32_u24_e32 v70, 0x44, v68
	s_waitcnt lgkmcnt(0)
	v_add_f32_e32 v72, v72, v73
	s_delay_alu instid0(VALU_DEP_2) | instskip(NEXT) | instid1(VALU_DEP_1)
	v_lshl_add_u32 v70, v69, 2, v70
	v_add_nc_u32_e32 v70, 0x4000, v70
	ds_store_2addr_b32 v70, v71, v72 offset1:136
.LBB909_12:
	s_or_b32 exec_lo, exec_lo, s3
	v_lshlrev_b32_e32 v70, 2, v69
	s_load_b32 s35, s[0:1], 0x94
	s_waitcnt lgkmcnt(0)
	s_barrier
	buffer_gl0_inv
	v_add_nc_u32_e32 v74, 0x4000, v70
	v_cmp_eq_u32_e32 vcc_lo, 1, v68
	v_cmp_eq_u32_e64 s3, 2, v68
	v_cmp_eq_u32_e64 s4, 3, v68
	;; [unrolled: 1-line block ×3, first 2 shown]
	ds_load_2addr_b32 v[70:71], v74 offset1:17
	ds_load_2addr_b32 v[72:73], v74 offset0:34 offset1:51
	ds_load_2addr_b32 v[93:94], v74 offset0:68 offset1:85
	ds_load_2addr_b32 v[95:96], v74 offset0:102 offset1:119
	v_cmp_eq_u32_e64 s6, 5, v68
	v_cmp_eq_u32_e64 s7, 7, v68
	s_waitcnt lgkmcnt(3)
	v_max3_f32 v75, v70, 0xff7fffff, v71
	s_waitcnt lgkmcnt(2)
	s_delay_alu instid0(VALU_DEP_1) | instskip(SKIP_1) | instid1(VALU_DEP_1)
	v_max3_f32 v75, v75, v72, v73
	s_waitcnt lgkmcnt(1)
	v_max3_f32 v75, v75, v93, v94
	s_waitcnt lgkmcnt(0)
	s_delay_alu instid0(VALU_DEP_1) | instskip(NEXT) | instid1(VALU_DEP_1)
	v_max3_f32 v75, v75, v95, v96
	v_sub_f32_e32 v93, v93, v75
	ds_load_2addr_b32 v[97:98], v74 offset0:136 offset1:153
	v_sub_f32_e32 v70, v70, v75
	v_dual_sub_f32 v100, v73, v75 :: v_dual_mul_f32 v103, 0x3fb8aa3b, v93
	s_delay_alu instid0(VALU_DEP_2) | instskip(SKIP_3) | instid1(VALU_DEP_1)
	v_dual_sub_f32 v76, v71, v75 :: v_dual_mul_f32 v99, 0x3fb8aa3b, v70
	ds_load_2addr_b32 v[70:71], v74 offset0:170 offset1:187
	v_mul_f32_e32 v76, 0x3fb8aa3b, v76
	v_exp_f32_e32 v99, v99
	v_exp_f32_e32 v102, v76
	v_mul_f32_e32 v100, 0x3fb8aa3b, v100
	s_waitcnt lgkmcnt(1)
	s_waitcnt_depctr 0xfff
	v_fma_f32 v76, v99, v97, 0
	v_sub_f32_e32 v97, v94, v75
	v_sub_f32_e32 v72, v72, v75
	v_exp_f32_e32 v100, v100
	ds_load_2addr_b32 v[93:94], v74 offset0:238 offset1:255
	v_dual_fmac_f32 v76, v102, v98 :: v_dual_mul_f32 v101, 0x3fb8aa3b, v72
	ds_load_2addr_b32 v[72:73], v74 offset0:204 offset1:221
	v_dual_sub_f32 v74, v95, v75 :: v_dual_mul_f32 v95, 0x3fb8aa3b, v97
	v_exp_f32_e32 v97, v103
	v_exp_f32_e32 v101, v101
	s_waitcnt lgkmcnt(0)
	s_delay_alu instid0(VALU_DEP_1)
	v_mul_f32_e32 v74, 0x3fb8aa3b, v74
	v_exp_f32_e32 v95, v95
	s_barrier
	buffer_gl0_inv
	v_fmac_f32_e32 v76, v101, v70
	v_sub_f32_e32 v70, v96, v75
	v_exp_f32_e32 v96, v74
	s_delay_alu instid0(VALU_DEP_2) | instskip(NEXT) | instid1(VALU_DEP_2)
	v_fmac_f32_e32 v76, v100, v71
	v_mul_f32_e32 v70, 0x3fb8aa3b, v70
	s_delay_alu instid0(VALU_DEP_2) | instskip(NEXT) | instid1(VALU_DEP_2)
	v_dual_cndmask_b32 v71, v99, v102 :: v_dual_fmac_f32 v76, v97, v72
	v_exp_f32_e32 v98, v70
	v_lshlrev_b32_e32 v72, 6, v69
	s_delay_alu instid0(VALU_DEP_2) | instskip(NEXT) | instid1(VALU_DEP_2)
	v_dual_fmac_f32 v76, v95, v73 :: v_dual_lshlrev_b32 v69, 2, v67
	v_lshl_or_b32 v74, v68, 11, v72
	s_delay_alu instid0(VALU_DEP_2)
	v_cmp_eq_u32_e64 s8, 7, v69
	s_delay_alu instid0(TRANS32_DEP_2) | instid1(VALU_DEP_3)
	v_fmac_f32_e32 v76, v96, v93
	s_waitcnt_depctr 0xfff
	v_fmac_f32_e32 v76, v98, v94
	s_delay_alu instid0(VALU_DEP_1) | instskip(NEXT) | instid1(VALU_DEP_1)
	v_add_f32_e32 v73, 0x358637bd, v76
	v_div_scale_f32 v93, null, v73, v73, 1.0
	v_div_scale_f32 v99, vcc_lo, 1.0, v73, 1.0
	s_delay_alu instid0(VALU_DEP_2) | instskip(SKIP_2) | instid1(VALU_DEP_1)
	v_rcp_f32_e32 v94, v93
	s_waitcnt_depctr 0xfff
	v_fma_f32 v70, -v93, v94, 1.0
	v_fmac_f32_e32 v94, v70, v94
	v_cndmask_b32_e64 v70, v71, v101, s3
	v_cmp_eq_u32_e64 s3, 6, v68
	v_or_b32_e32 v71, 1, v69
	v_or_b32_e32 v68, 2, v69
	v_mul_f32_e32 v101, v99, v94
	v_cndmask_b32_e64 v70, v70, v100, s4
	v_cmp_eq_u32_e64 s4, 1, v69
	v_cmp_eq_u32_e64 s9, 1, v71
	;; [unrolled: 1-line block ×3, first 2 shown]
	v_fma_f32 v100, -v93, v101, v99
	v_cndmask_b32_e64 v70, v70, v97, s5
	v_cmp_eq_u32_e64 s5, 2, v69
	v_cmp_eq_u32_e64 s12, 2, v71
	;; [unrolled: 1-line block ×3, first 2 shown]
	v_fmac_f32_e32 v101, v100, v94
	v_cndmask_b32_e64 v95, v70, v95, s6
	v_or_b32_e32 v70, 3, v69
	v_cmp_eq_u32_e64 s13, 3, v71
	v_cmp_eq_u32_e64 s17, 3, v68
	v_fma_f32 v93, -v93, v101, v99
	v_cndmask_b32_e64 v95, v95, v96, s3
	v_cmp_eq_u32_e64 s11, 1, v70
	v_cmp_eq_u32_e64 s16, 2, v70
	v_cmp_eq_u32_e64 s18, 3, v70
	v_div_fmas_f32 v93, v93, v94, v101
	v_cndmask_b32_e64 v94, v95, v98, s7
	v_cmp_eq_u32_e32 vcc_lo, 3, v69
	v_cmp_eq_u32_e64 s3, 4, v69
	v_cmp_eq_u32_e64 s19, 4, v71
	v_div_fixup_f32 v93, v93, v73, 1.0
	v_lshl_or_b32 v73, v67, 4, v74
	v_cmp_eq_u32_e64 s22, 4, v70
	v_cmp_eq_u32_e64 s6, 5, v69
	;; [unrolled: 1-line block ×3, first 2 shown]
	v_mul_f32_e32 v101, v94, v93
	v_cmp_eq_u32_e64 s21, 4, v68
	v_cmp_eq_u32_e64 s24, 5, v70
	;; [unrolled: 1-line block ×4, first 2 shown]
	v_fma_mixlo_f16 v93, v101, v78, 0
	v_fma_mixlo_f16 v94, v101, v80, 0
	;; [unrolled: 1-line block ×8, first 2 shown]
	v_fma_mixhi_f16 v93, v101, v77, 0
	v_fma_mixhi_f16 v94, v101, v79, 0
	;; [unrolled: 1-line block ×8, first 2 shown]
	ds_store_b128 v73, v[93:96]
	ds_store_b128 v73, v[97:100] offset:1024
	s_waitcnt lgkmcnt(0)
	s_barrier
	buffer_gl0_inv
	ds_load_b128 v[77:80], v74
	ds_load_b128 v[81:84], v74 offset:16
	ds_load_b128 v[85:88], v74 offset:1024
	;; [unrolled: 1-line block ×3, first 2 shown]
	v_cmp_eq_u32_e64 s27, 6, v70
	v_cmp_eq_u32_e64 s7, 6, v69
	;; [unrolled: 1-line block ×6, first 2 shown]
	s_waitcnt lgkmcnt(3)
	v_lshrrev_b32_e32 v93, 16, v77
	s_waitcnt lgkmcnt(2)
	v_lshrrev_b32_e32 v97, 16, v81
	;; [unrolled: 2-line block ×4, first 2 shown]
	v_lshrrev_b32_e32 v94, 16, v78
	v_cndmask_b32_e64 v109, v77, v93, s4
	v_cndmask_b32_e64 v110, v81, v97, s4
	;; [unrolled: 1-line block ×8, first 2 shown]
	v_lshrrev_b32_e32 v98, 16, v82
	v_cndmask_b32_e64 v93, v85, v101, s4
	v_cndmask_b32_e64 v97, v89, v105, s4
	;; [unrolled: 1-line block ×15, first 2 shown]
	v_lshrrev_b32_e32 v102, 16, v86
	v_lshrrev_b32_e32 v106, 16, v90
	v_cndmask_b32_e64 v112, v114, v82, s15
	v_cndmask_b32_e64 v81, v93, v86, s5
	;; [unrolled: 1-line block ×7, first 2 shown]
	v_cndmask_b32_e32 v89, v101, v94, vcc_lo
	v_cndmask_b32_e32 v101, v105, v98, vcc_lo
	v_cndmask_b32_e64 v105, v109, v94, s13
	v_cndmask_b32_e64 v109, v110, v98, s13
	;; [unrolled: 1-line block ×4, first 2 shown]
	v_lshrrev_b32_e32 v95, 16, v79
	v_lshrrev_b32_e32 v99, 16, v83
	v_cndmask_b32_e64 v110, v111, v94, s17
	v_cndmask_b32_e64 v111, v112, v98, s17
	v_cndmask_b32_e32 v81, v81, v102, vcc_lo
	v_cndmask_b32_e32 v82, v82, v106, vcc_lo
	v_cndmask_b32_e64 v93, v93, v102, s13
	v_cndmask_b32_e64 v89, v89, v79, s3
	;; [unrolled: 1-line block ×7, first 2 shown]
	v_lshrrev_b32_e32 v103, 16, v87
	v_cndmask_b32_e64 v105, v110, v79, s21
	v_cndmask_b32_e64 v109, v111, v83, s21
	;; [unrolled: 1-line block ×11, first 2 shown]
	v_lshrrev_b32_e32 v96, 16, v80
	v_lshrrev_b32_e32 v100, 16, v84
	v_cndmask_b32_e64 v98, v105, v95, s23
	v_cndmask_b32_e64 v101, v109, v99, s23
	;; [unrolled: 1-line block ×7, first 2 shown]
	v_lshrrev_b32_e32 v104, 16, v88
	v_cndmask_b32_e64 v79, v79, v103, s6
	v_cndmask_b32_e64 v83, v83, v80, s7
	;; [unrolled: 1-line block ×16, first 2 shown]
	v_perm_b32 v80, v78, v77, 0x5040100
	v_perm_b32 v78, v94, v84, 0x5040100
	v_cndmask_b32_e64 v77, v118, v90, s15
	v_cndmask_b32_e64 v84, v116, v90, s12
	;; [unrolled: 1-line block ×3, first 2 shown]
	v_perm_b32 v79, v93, v89, 0x5040100
	v_cndmask_b32_e64 v89, v97, v102, s17
	v_cndmask_b32_e64 v85, v85, v102, s18
	;; [unrolled: 1-line block ×5, first 2 shown]
	v_lshrrev_b32_e32 v107, 16, v91
	v_cndmask_b32_e64 v89, v89, v87, s21
	v_cndmask_b32_e64 v85, v85, v87, s22
	;; [unrolled: 1-line block ×11, first 2 shown]
	v_lshrrev_b32_e32 v108, 16, v92
	v_cndmask_b32_e64 v81, v81, v92, s7
	v_cndmask_b32_e64 v87, v87, v88, s26
	;; [unrolled: 1-line block ×12, first 2 shown]
	v_perm_b32 v77, v83, v82, 0x5040100
	v_perm_b32 v84, v86, v85, 0x5040100
	;; [unrolled: 1-line block ×5, first 2 shown]
	s_lshl_b32 s8, s33, 2
	s_mov_b32 s3, exec_lo
	ds_store_b128 v73, v[77:80]
	ds_store_b128 v73, v[81:84] offset:1024
	v_cmpx_gt_u32_e32 4, v0
	s_cbranch_execz .LBB909_14
; %bb.13:
	v_or_b32_e32 v77, s31, v0
	s_load_b128 s[4:7], s[0:1], 0x58
	s_delay_alu instid0(VALU_DEP_1) | instskip(NEXT) | instid1(VALU_DEP_1)
	v_mad_u64_u32 v[78:79], null, s8, s34, v[77:78]
	v_mad_u64_u32 v[79:80], null, v78, s35, s[14:15]
	s_delay_alu instid0(VALU_DEP_1) | instskip(NEXT) | instid1(VALU_DEP_1)
	v_ashrrev_i32_e32 v80, 31, v79
	v_lshlrev_b64 v[77:78], 2, v[79:80]
	s_waitcnt lgkmcnt(0)
	s_delay_alu instid0(VALU_DEP_1) | instskip(NEXT) | instid1(VALU_DEP_2)
	v_add_co_u32 v79, vcc_lo, s6, v77
	v_add_co_ci_u32_e32 v80, vcc_lo, s7, v78, vcc_lo
	v_add_co_u32 v77, vcc_lo, s4, v77
	v_add_co_ci_u32_e32 v78, vcc_lo, s5, v78, vcc_lo
	global_store_b32 v[79:80], v75, off
	global_store_b32 v[77:78], v76, off
.LBB909_14:
	s_or_b32 exec_lo, exec_lo, s3
	s_waitcnt lgkmcnt(0)
	s_waitcnt_vscnt null, 0x0
	s_barrier
	buffer_gl0_inv
	ds_load_b128 v[83:86], v72
	ds_load_b128 v[87:90], v72 offset:16
	ds_load_b128 v[95:98], v72 offset:2064
	;; [unrolled: 1-line block ×5, first 2 shown]
	v_cmp_eq_u32_e32 vcc_lo, 1, v69
	v_mov_b32_e32 v75, 0
	ds_load_b128 v[111:114], v72 offset:6160
	ds_load_b128 v[107:110], v72 offset:6144
	;; [unrolled: 1-line block ×4, first 2 shown]
	v_cmp_eq_u32_e64 s4, 1, v68
	v_cmp_eq_u32_e64 s3, 1, v71
	;; [unrolled: 1-line block ×3, first 2 shown]
	v_mov_b32_e32 v76, v75
	v_mov_b32_e32 v77, v75
	;; [unrolled: 1-line block ×7, first 2 shown]
	v_cmp_eq_u32_e64 s6, 3, v71
	v_cmp_eq_u32_e64 s7, 7, v71
	s_waitcnt lgkmcnt(8)
	s_delay_alu instid0(VALU_DEP_3)
	v_wmma_f32_16x16x16_f16 v[75:82], v[49:56], v[83:90], v[75:82]
	ds_load_b128 v[53:56], v72 offset:10256
	ds_load_b128 v[49:52], v72 offset:10240
	s_waitcnt lgkmcnt(8)
	v_wmma_f32_16x16x16_f16 v[75:82], v[41:48], v[91:98], v[75:82]
	ds_load_b128 v[45:48], v72 offset:12304
	ds_load_b128 v[41:44], v72 offset:12288
	s_waitcnt lgkmcnt(8)
	v_wmma_f32_16x16x16_f16 v[75:82], v[33:40], v[99:106], v[75:82]
	ds_load_b128 v[37:40], v72 offset:14352
	ds_load_b128 v[33:36], v72 offset:14336
	s_waitcnt lgkmcnt(0)
	s_barrier
	buffer_gl0_inv
	v_wmma_f32_16x16x16_f16 v[75:82], v[1:8], v[107:114], v[75:82]
	s_delay_alu instid0(VALU_DEP_1) | instskip(NEXT) | instid1(VALU_DEP_1)
	v_wmma_f32_16x16x16_f16 v[75:82], v[9:16], v[115:122], v[75:82]
	v_wmma_f32_16x16x16_f16 v[75:82], v[17:24], v[49:56], v[75:82]
	s_delay_alu instid0(VALU_DEP_1) | instskip(NEXT) | instid1(VALU_DEP_1)
	v_wmma_f32_16x16x16_f16 v[75:82], v[25:32], v[41:48], v[75:82]
	v_wmma_f32_16x16x16_f16 v[75:82], v[57:64], v[33:40], v[75:82]
	s_delay_alu instid0(VALU_DEP_1) | instskip(NEXT) | instid1(VALU_DEP_2)
	v_cvt_f16_f32_e32 v1, v75
	v_cvt_f16_f32_e32 v2, v76
	s_delay_alu instid0(VALU_DEP_3) | instskip(NEXT) | instid1(VALU_DEP_4)
	v_cvt_f16_f32_e32 v3, v77
	v_cvt_f16_f32_e32 v4, v78
	;; [unrolled: 1-line block ×6, first 2 shown]
	v_pack_b32_f16 v1, v1, v2
	v_pack_b32_f16 v2, v3, v4
	;; [unrolled: 1-line block ×3, first 2 shown]
	s_delay_alu instid0(VALU_DEP_4)
	v_pack_b32_f16 v4, v7, v8
	ds_store_b128 v73, v[1:4]
	s_waitcnt lgkmcnt(0)
	s_barrier
	buffer_gl0_inv
	ds_load_b128 v[1:4], v74
	ds_load_b128 v[5:8], v74 offset:16
	s_waitcnt lgkmcnt(1)
	v_lshrrev_b32_e32 v9, 16, v1
	s_waitcnt lgkmcnt(0)
	v_lshrrev_b32_e32 v13, 16, v5
	v_lshrrev_b32_e32 v10, 16, v2
	;; [unrolled: 1-line block ×4, first 2 shown]
	v_cndmask_b32_e32 v17, v1, v9, vcc_lo
	v_cndmask_b32_e32 v18, v5, v13, vcc_lo
	v_cndmask_b32_e64 v21, v1, v9, s4
	v_cmp_eq_u32_e32 vcc_lo, 1, v70
	v_cndmask_b32_e64 v22, v5, v13, s4
	v_cmp_eq_u32_e64 s4, 2, v69
	v_cndmask_b32_e64 v19, v1, v9, s3
	v_cndmask_b32_e64 v20, v5, v13, s3
	v_cndmask_b32_e32 v1, v1, v9, vcc_lo
	v_cmp_eq_u32_e64 s3, 2, v70
	v_cndmask_b32_e32 v5, v5, v13, vcc_lo
	v_cndmask_b32_e64 v9, v17, v2, s4
	v_cmp_eq_u32_e32 vcc_lo, 3, v69
	v_cndmask_b32_e64 v13, v18, v6, s4
	v_cmp_eq_u32_e64 s4, 2, v68
	v_cndmask_b32_e64 v17, v19, v2, s5
	v_cndmask_b32_e64 v18, v20, v6, s5
	v_cmp_eq_u32_e64 s5, 3, v68
	v_cndmask_b32_e64 v1, v1, v2, s3
	v_cndmask_b32_e64 v19, v21, v2, s4
	;; [unrolled: 1-line block ×4, first 2 shown]
	v_cndmask_b32_e32 v5, v9, v10, vcc_lo
	v_cndmask_b32_e32 v6, v13, v14, vcc_lo
	v_cmp_eq_u32_e32 vcc_lo, 3, v70
	v_cndmask_b32_e64 v9, v17, v10, s6
	v_cndmask_b32_e64 v13, v18, v14, s6
	;; [unrolled: 1-line block ×3, first 2 shown]
	v_cmp_eq_u32_e64 s4, 4, v69
	v_cndmask_b32_e32 v1, v1, v10, vcc_lo
	v_cndmask_b32_e32 v2, v2, v14, vcc_lo
	v_cmp_eq_u32_e32 vcc_lo, 4, v71
	v_lshrrev_b32_e32 v15, 16, v7
	v_lshrrev_b32_e32 v16, 16, v8
	v_cndmask_b32_e64 v17, v19, v10, s5
	v_cmp_eq_u32_e64 s3, 4, v70
	v_cndmask_b32_e64 v5, v5, v3, s4
	v_cndmask_b32_e64 v6, v6, v7, s4
	v_cndmask_b32_e32 v9, v9, v3, vcc_lo
	v_cmp_eq_u32_e64 s4, 5, v71
	v_cndmask_b32_e32 v10, v13, v7, vcc_lo
	v_cmp_eq_u32_e32 vcc_lo, 4, v68
	v_cmp_eq_u32_e64 s5, 5, v69
	v_cndmask_b32_e64 v2, v2, v7, s3
	v_cndmask_b32_e64 v9, v9, v11, s4
	;; [unrolled: 1-line block ×3, first 2 shown]
	v_cndmask_b32_e32 v13, v17, v3, vcc_lo
	v_cmp_eq_u32_e64 s4, 5, v68
	v_cndmask_b32_e32 v14, v18, v7, vcc_lo
	v_cndmask_b32_e64 v1, v1, v3, s3
	v_cmp_eq_u32_e32 vcc_lo, 5, v70
	v_lshrrev_b32_e32 v12, 16, v4
	v_cndmask_b32_e64 v13, v13, v11, s4
	v_cndmask_b32_e64 v3, v14, v15, s4
	v_cmp_eq_u32_e64 s4, 6, v70
	v_cndmask_b32_e32 v1, v1, v11, vcc_lo
	v_cndmask_b32_e64 v5, v5, v11, s5
	v_cmp_eq_u32_e64 s6, 6, v69
	v_cndmask_b32_e64 v6, v6, v15, s5
	v_cmp_eq_u32_e64 s5, 6, v71
	v_cmp_eq_u32_e64 s3, 6, v68
	v_cndmask_b32_e64 v1, v1, v4, s4
	v_cndmask_b32_e32 v2, v2, v15, vcc_lo
	v_cmp_eq_u32_e32 vcc_lo, 7, v70
	v_cndmask_b32_e64 v5, v5, v4, s6
	v_cndmask_b32_e64 v9, v9, v4, s5
	;; [unrolled: 1-line block ×3, first 2 shown]
	v_cmp_eq_u32_e64 s6, 7, v69
	v_cndmask_b32_e32 v1, v1, v12, vcc_lo
	v_cndmask_b32_e64 v7, v13, v4, s3
	v_cndmask_b32_e64 v3, v3, v8, s3
	;; [unrolled: 1-line block ×3, first 2 shown]
	v_cmp_eq_u32_e64 s3, 7, v68
	v_cndmask_b32_e64 v4, v10, v8, s5
	v_cndmask_b32_e64 v5, v5, v12, s6
	;; [unrolled: 1-line block ×3, first 2 shown]
	v_cndmask_b32_e32 v2, v2, v16, vcc_lo
	v_cndmask_b32_e64 v7, v7, v12, s3
	v_cndmask_b32_e64 v3, v3, v16, s3
	;; [unrolled: 1-line block ×4, first 2 shown]
	v_cmp_gt_u32_e32 vcc_lo, 32, v0
	v_perm_b32 v4, v2, v1, 0x5040100
	v_perm_b32 v3, v3, v7, 0x5040100
	;; [unrolled: 1-line block ×4, first 2 shown]
	s_and_b32 s2, vcc_lo, s2
	ds_store_b128 v73, v[1:4]
	s_waitcnt lgkmcnt(0)
	s_barrier
	buffer_gl0_inv
	s_and_saveexec_b32 s3, s2
	s_cbranch_execz .LBB909_2
; %bb.15:
	s_load_b64 s[0:1], s[0:1], 0x68
	v_lshlrev_b32_e32 v0, 10, v0
	v_or_b32_e32 v1, s31, v67
	s_lshl_b32 s4, s35, 6
	v_lshlrev_b32_e32 v2, 4, v66
	s_mul_i32 s2, s4, s34
	v_lshlrev_b32_e32 v3, 6, v67
	v_mul_lo_u32 v8, v1, s4
	v_and_b32_e32 v0, 0x3800, v0
	v_or_b32_e32 v1, 2, v1
	s_mul_i32 s2, s2, s8
	s_delay_alu instid0(SALU_CYCLE_1) | instskip(NEXT) | instid1(VALU_DEP_2)
	s_ashr_i32 s3, s2, 31
	v_or3_b32 v4, v0, v2, v3
	s_lshl_b64 s[2:3], s[2:3], 1
	v_mul_lo_u32 v10, v1, s4
	v_ashrrev_i32_e32 v9, 31, v8
	ds_load_b128 v[0:3], v4
	ds_load_b128 v[4:7], v4 offset:128
	s_waitcnt lgkmcnt(0)
	s_add_u32 s2, s0, s2
	s_addc_u32 s3, s1, s3
	s_lshl_b32 s0, s14, 6
	v_ashrrev_i32_e32 v11, 31, v10
	s_ashr_i32 s1, s0, 31
	v_lshlrev_b64 v[8:9], 1, v[8:9]
	s_lshl_b64 s[0:1], s[0:1], 1
	s_delay_alu instid0(SALU_CYCLE_1) | instskip(SKIP_2) | instid1(VALU_DEP_1)
	s_add_u32 s0, s2, s0
	s_addc_u32 s1, s3, s1
	v_add_co_u32 v12, s0, s0, v65
	v_add_co_ci_u32_e64 v13, null, s1, 0, s0
	v_lshlrev_b64 v[10:11], 1, v[10:11]
	s_delay_alu instid0(VALU_DEP_3) | instskip(NEXT) | instid1(VALU_DEP_3)
	v_add_co_u32 v8, vcc_lo, v12, v8
	v_add_co_ci_u32_e32 v9, vcc_lo, v13, v9, vcc_lo
	s_delay_alu instid0(VALU_DEP_3) | instskip(NEXT) | instid1(VALU_DEP_4)
	v_add_co_u32 v10, vcc_lo, v12, v10
	v_add_co_ci_u32_e32 v11, vcc_lo, v13, v11, vcc_lo
	s_clause 0x1
	global_store_b128 v[8:9], v[0:3], off
	global_store_b128 v[10:11], v[4:7], off
	s_nop 0
	s_sendmsg sendmsg(MSG_DEALLOC_VGPRS)
	s_endpgm
	.section	.rodata,"a",@progbits
	.p2align	6, 0x0
	.amdhsa_kernel _Z39paged_attention_ll4mi_QKV_mfma16_kernelIDF16_hLN4vllm18Fp8KVCacheDataTypeE1EDF16_Li32ELi64ELi256ELb1ELi4EL8MFMAType1EEvPKT_PKT0_S8_ifPKiSA_SA_iPKfiiiPfSD_PS3_PT2_iSC_SC_
		.amdhsa_group_segment_fixed_size 17472
		.amdhsa_private_segment_fixed_size 0
		.amdhsa_kernarg_size 400
		.amdhsa_user_sgpr_count 13
		.amdhsa_user_sgpr_dispatch_ptr 0
		.amdhsa_user_sgpr_queue_ptr 0
		.amdhsa_user_sgpr_kernarg_segment_ptr 1
		.amdhsa_user_sgpr_dispatch_id 0
		.amdhsa_user_sgpr_private_segment_size 0
		.amdhsa_wavefront_size32 1
		.amdhsa_uses_dynamic_stack 0
		.amdhsa_enable_private_segment 0
		.amdhsa_system_sgpr_workgroup_id_x 1
		.amdhsa_system_sgpr_workgroup_id_y 1
		.amdhsa_system_sgpr_workgroup_id_z 1
		.amdhsa_system_sgpr_workgroup_info 0
		.amdhsa_system_vgpr_workitem_id 0
		.amdhsa_next_free_vgpr 123
		.amdhsa_next_free_sgpr 42
		.amdhsa_reserve_vcc 1
		.amdhsa_float_round_mode_32 0
		.amdhsa_float_round_mode_16_64 0
		.amdhsa_float_denorm_mode_32 3
		.amdhsa_float_denorm_mode_16_64 3
		.amdhsa_dx10_clamp 1
		.amdhsa_ieee_mode 1
		.amdhsa_fp16_overflow 0
		.amdhsa_workgroup_processor_mode 1
		.amdhsa_memory_ordered 1
		.amdhsa_forward_progress 0
		.amdhsa_shared_vgpr_count 0
		.amdhsa_exception_fp_ieee_invalid_op 0
		.amdhsa_exception_fp_denorm_src 0
		.amdhsa_exception_fp_ieee_div_zero 0
		.amdhsa_exception_fp_ieee_overflow 0
		.amdhsa_exception_fp_ieee_underflow 0
		.amdhsa_exception_fp_ieee_inexact 0
		.amdhsa_exception_int_div_zero 0
	.end_amdhsa_kernel
	.section	.text._Z39paged_attention_ll4mi_QKV_mfma16_kernelIDF16_hLN4vllm18Fp8KVCacheDataTypeE1EDF16_Li32ELi64ELi256ELb1ELi4EL8MFMAType1EEvPKT_PKT0_S8_ifPKiSA_SA_iPKfiiiPfSD_PS3_PT2_iSC_SC_,"axG",@progbits,_Z39paged_attention_ll4mi_QKV_mfma16_kernelIDF16_hLN4vllm18Fp8KVCacheDataTypeE1EDF16_Li32ELi64ELi256ELb1ELi4EL8MFMAType1EEvPKT_PKT0_S8_ifPKiSA_SA_iPKfiiiPfSD_PS3_PT2_iSC_SC_,comdat
.Lfunc_end909:
	.size	_Z39paged_attention_ll4mi_QKV_mfma16_kernelIDF16_hLN4vllm18Fp8KVCacheDataTypeE1EDF16_Li32ELi64ELi256ELb1ELi4EL8MFMAType1EEvPKT_PKT0_S8_ifPKiSA_SA_iPKfiiiPfSD_PS3_PT2_iSC_SC_, .Lfunc_end909-_Z39paged_attention_ll4mi_QKV_mfma16_kernelIDF16_hLN4vllm18Fp8KVCacheDataTypeE1EDF16_Li32ELi64ELi256ELb1ELi4EL8MFMAType1EEvPKT_PKT0_S8_ifPKiSA_SA_iPKfiiiPfSD_PS3_PT2_iSC_SC_
                                        ; -- End function
	.section	.AMDGPU.csdata,"",@progbits
; Kernel info:
; codeLenInByte = 6380
; NumSgprs: 44
; NumVgprs: 123
; ScratchSize: 0
; MemoryBound: 0
; FloatMode: 240
; IeeeMode: 1
; LDSByteSize: 17472 bytes/workgroup (compile time only)
; SGPRBlocks: 5
; VGPRBlocks: 15
; NumSGPRsForWavesPerEU: 44
; NumVGPRsForWavesPerEU: 123
; Occupancy: 10
; WaveLimiterHint : 1
; COMPUTE_PGM_RSRC2:SCRATCH_EN: 0
; COMPUTE_PGM_RSRC2:USER_SGPR: 13
; COMPUTE_PGM_RSRC2:TRAP_HANDLER: 0
; COMPUTE_PGM_RSRC2:TGID_X_EN: 1
; COMPUTE_PGM_RSRC2:TGID_Y_EN: 1
; COMPUTE_PGM_RSRC2:TGID_Z_EN: 1
; COMPUTE_PGM_RSRC2:TIDIG_COMP_CNT: 0
	.section	.text._Z38paged_attention_ll4mi_QKV_mfma4_kernelIDF16_hLN4vllm18Fp8KVCacheDataTypeE1EDF16_Li32ELi64ELi256ELb0ELi1EEvPKT_PKT0_S7_ifPKiS9_S9_iPKfiiiPfSC_PS2_PT2_iSB_SB_,"axG",@progbits,_Z38paged_attention_ll4mi_QKV_mfma4_kernelIDF16_hLN4vllm18Fp8KVCacheDataTypeE1EDF16_Li32ELi64ELi256ELb0ELi1EEvPKT_PKT0_S7_ifPKiS9_S9_iPKfiiiPfSC_PS2_PT2_iSB_SB_,comdat
	.protected	_Z38paged_attention_ll4mi_QKV_mfma4_kernelIDF16_hLN4vllm18Fp8KVCacheDataTypeE1EDF16_Li32ELi64ELi256ELb0ELi1EEvPKT_PKT0_S7_ifPKiS9_S9_iPKfiiiPfSC_PS2_PT2_iSB_SB_ ; -- Begin function _Z38paged_attention_ll4mi_QKV_mfma4_kernelIDF16_hLN4vllm18Fp8KVCacheDataTypeE1EDF16_Li32ELi64ELi256ELb0ELi1EEvPKT_PKT0_S7_ifPKiS9_S9_iPKfiiiPfSC_PS2_PT2_iSB_SB_
	.globl	_Z38paged_attention_ll4mi_QKV_mfma4_kernelIDF16_hLN4vllm18Fp8KVCacheDataTypeE1EDF16_Li32ELi64ELi256ELb0ELi1EEvPKT_PKT0_S7_ifPKiS9_S9_iPKfiiiPfSC_PS2_PT2_iSB_SB_
	.p2align	8
	.type	_Z38paged_attention_ll4mi_QKV_mfma4_kernelIDF16_hLN4vllm18Fp8KVCacheDataTypeE1EDF16_Li32ELi64ELi256ELb0ELi1EEvPKT_PKT0_S7_ifPKiS9_S9_iPKfiiiPfSC_PS2_PT2_iSB_SB_,@function
_Z38paged_attention_ll4mi_QKV_mfma4_kernelIDF16_hLN4vllm18Fp8KVCacheDataTypeE1EDF16_Li32ELi64ELi256ELb0ELi1EEvPKT_PKT0_S7_ifPKiS9_S9_iPKfiiiPfSC_PS2_PT2_iSB_SB_: ; @_Z38paged_attention_ll4mi_QKV_mfma4_kernelIDF16_hLN4vllm18Fp8KVCacheDataTypeE1EDF16_Li32ELi64ELi256ELb0ELi1EEvPKT_PKT0_S7_ifPKiS9_S9_iPKfiiiPfSC_PS2_PT2_iSB_SB_
; %bb.0:
	s_add_u32 s8, s0, 0x90
	s_addc_u32 s9, s1, 0
	s_getpc_b64 s[0:1]
	s_add_u32 s0, s0, __PRETTY_FUNCTION__._Z38paged_attention_ll4mi_QKV_mfma4_kernelIDF16_hLN4vllm18Fp8KVCacheDataTypeE1EDF16_Li32ELi64ELi256ELb0ELi1EEvPKT_PKT0_S7_ifPKiS9_S9_iPKfiiiPfSC_PS2_PT2_iSB_SB_@rel32@lo+4
	s_addc_u32 s1, s1, __PRETTY_FUNCTION__._Z38paged_attention_ll4mi_QKV_mfma4_kernelIDF16_hLN4vllm18Fp8KVCacheDataTypeE1EDF16_Li32ELi64ELi256ELb0ELi1EEvPKT_PKT0_S7_ifPKiS9_S9_iPKfiiiPfSC_PS2_PT2_iSB_SB_@rel32@hi+12
	s_delay_alu instid0(SALU_CYCLE_1) | instskip(SKIP_4) | instid1(SALU_CYCLE_1)
	v_dual_mov_b32 v0, s0 :: v_dual_mov_b32 v1, s1
	s_mov_b32 s32, 0
	s_getpc_b64 s[2:3]
	s_add_u32 s2, s2, __assert_fail@rel32@lo+4
	s_addc_u32 s3, s3, __assert_fail@rel32@hi+12
	s_swappc_b64 s[30:31], s[2:3]
	.section	.rodata,"a",@progbits
	.p2align	6, 0x0
	.amdhsa_kernel _Z38paged_attention_ll4mi_QKV_mfma4_kernelIDF16_hLN4vllm18Fp8KVCacheDataTypeE1EDF16_Li32ELi64ELi256ELb0ELi1EEvPKT_PKT0_S7_ifPKiS9_S9_iPKfiiiPfSC_PS2_PT2_iSB_SB_
		.amdhsa_group_segment_fixed_size 0
		.amdhsa_private_segment_fixed_size 64
		.amdhsa_kernarg_size 400
		.amdhsa_user_sgpr_count 15
		.amdhsa_user_sgpr_dispatch_ptr 0
		.amdhsa_user_sgpr_queue_ptr 0
		.amdhsa_user_sgpr_kernarg_segment_ptr 1
		.amdhsa_user_sgpr_dispatch_id 0
		.amdhsa_user_sgpr_private_segment_size 0
		.amdhsa_wavefront_size32 1
		.amdhsa_uses_dynamic_stack 0
		.amdhsa_enable_private_segment 1
		.amdhsa_system_sgpr_workgroup_id_x 1
		.amdhsa_system_sgpr_workgroup_id_y 0
		.amdhsa_system_sgpr_workgroup_id_z 0
		.amdhsa_system_sgpr_workgroup_info 0
		.amdhsa_system_vgpr_workitem_id 0
		.amdhsa_next_free_vgpr 41
		.amdhsa_next_free_sgpr 34
		.amdhsa_reserve_vcc 1
		.amdhsa_float_round_mode_32 0
		.amdhsa_float_round_mode_16_64 0
		.amdhsa_float_denorm_mode_32 3
		.amdhsa_float_denorm_mode_16_64 3
		.amdhsa_dx10_clamp 1
		.amdhsa_ieee_mode 1
		.amdhsa_fp16_overflow 0
		.amdhsa_workgroup_processor_mode 1
		.amdhsa_memory_ordered 1
		.amdhsa_forward_progress 0
		.amdhsa_shared_vgpr_count 0
		.amdhsa_exception_fp_ieee_invalid_op 0
		.amdhsa_exception_fp_denorm_src 0
		.amdhsa_exception_fp_ieee_div_zero 0
		.amdhsa_exception_fp_ieee_overflow 0
		.amdhsa_exception_fp_ieee_underflow 0
		.amdhsa_exception_fp_ieee_inexact 0
		.amdhsa_exception_int_div_zero 0
	.end_amdhsa_kernel
	.section	.text._Z38paged_attention_ll4mi_QKV_mfma4_kernelIDF16_hLN4vllm18Fp8KVCacheDataTypeE1EDF16_Li32ELi64ELi256ELb0ELi1EEvPKT_PKT0_S7_ifPKiS9_S9_iPKfiiiPfSC_PS2_PT2_iSB_SB_,"axG",@progbits,_Z38paged_attention_ll4mi_QKV_mfma4_kernelIDF16_hLN4vllm18Fp8KVCacheDataTypeE1EDF16_Li32ELi64ELi256ELb0ELi1EEvPKT_PKT0_S7_ifPKiS9_S9_iPKfiiiPfSC_PS2_PT2_iSB_SB_,comdat
.Lfunc_end910:
	.size	_Z38paged_attention_ll4mi_QKV_mfma4_kernelIDF16_hLN4vllm18Fp8KVCacheDataTypeE1EDF16_Li32ELi64ELi256ELb0ELi1EEvPKT_PKT0_S7_ifPKiS9_S9_iPKfiiiPfSC_PS2_PT2_iSB_SB_, .Lfunc_end910-_Z38paged_attention_ll4mi_QKV_mfma4_kernelIDF16_hLN4vllm18Fp8KVCacheDataTypeE1EDF16_Li32ELi64ELi256ELb0ELi1EEvPKT_PKT0_S7_ifPKiS9_S9_iPKfiiiPfSC_PS2_PT2_iSB_SB_
                                        ; -- End function
	.section	.AMDGPU.csdata,"",@progbits
; Kernel info:
; codeLenInByte = 72
; NumSgprs: 36
; NumVgprs: 41
; ScratchSize: 64
; MemoryBound: 0
; FloatMode: 240
; IeeeMode: 1
; LDSByteSize: 0 bytes/workgroup (compile time only)
; SGPRBlocks: 4
; VGPRBlocks: 5
; NumSGPRsForWavesPerEU: 36
; NumVGPRsForWavesPerEU: 41
; Occupancy: 16
; WaveLimiterHint : 1
; COMPUTE_PGM_RSRC2:SCRATCH_EN: 1
; COMPUTE_PGM_RSRC2:USER_SGPR: 15
; COMPUTE_PGM_RSRC2:TRAP_HANDLER: 0
; COMPUTE_PGM_RSRC2:TGID_X_EN: 1
; COMPUTE_PGM_RSRC2:TGID_Y_EN: 0
; COMPUTE_PGM_RSRC2:TGID_Z_EN: 0
; COMPUTE_PGM_RSRC2:TIDIG_COMP_CNT: 0
	.section	.text._Z38paged_attention_ll4mi_QKV_mfma4_kernelIDF16_hLN4vllm18Fp8KVCacheDataTypeE1EDF16_Li32ELi64ELi256ELb0ELi2EEvPKT_PKT0_S7_ifPKiS9_S9_iPKfiiiPfSC_PS2_PT2_iSB_SB_,"axG",@progbits,_Z38paged_attention_ll4mi_QKV_mfma4_kernelIDF16_hLN4vllm18Fp8KVCacheDataTypeE1EDF16_Li32ELi64ELi256ELb0ELi2EEvPKT_PKT0_S7_ifPKiS9_S9_iPKfiiiPfSC_PS2_PT2_iSB_SB_,comdat
	.protected	_Z38paged_attention_ll4mi_QKV_mfma4_kernelIDF16_hLN4vllm18Fp8KVCacheDataTypeE1EDF16_Li32ELi64ELi256ELb0ELi2EEvPKT_PKT0_S7_ifPKiS9_S9_iPKfiiiPfSC_PS2_PT2_iSB_SB_ ; -- Begin function _Z38paged_attention_ll4mi_QKV_mfma4_kernelIDF16_hLN4vllm18Fp8KVCacheDataTypeE1EDF16_Li32ELi64ELi256ELb0ELi2EEvPKT_PKT0_S7_ifPKiS9_S9_iPKfiiiPfSC_PS2_PT2_iSB_SB_
	.globl	_Z38paged_attention_ll4mi_QKV_mfma4_kernelIDF16_hLN4vllm18Fp8KVCacheDataTypeE1EDF16_Li32ELi64ELi256ELb0ELi2EEvPKT_PKT0_S7_ifPKiS9_S9_iPKfiiiPfSC_PS2_PT2_iSB_SB_
	.p2align	8
	.type	_Z38paged_attention_ll4mi_QKV_mfma4_kernelIDF16_hLN4vllm18Fp8KVCacheDataTypeE1EDF16_Li32ELi64ELi256ELb0ELi2EEvPKT_PKT0_S7_ifPKiS9_S9_iPKfiiiPfSC_PS2_PT2_iSB_SB_,@function
_Z38paged_attention_ll4mi_QKV_mfma4_kernelIDF16_hLN4vllm18Fp8KVCacheDataTypeE1EDF16_Li32ELi64ELi256ELb0ELi2EEvPKT_PKT0_S7_ifPKiS9_S9_iPKfiiiPfSC_PS2_PT2_iSB_SB_: ; @_Z38paged_attention_ll4mi_QKV_mfma4_kernelIDF16_hLN4vllm18Fp8KVCacheDataTypeE1EDF16_Li32ELi64ELi256ELb0ELi2EEvPKT_PKT0_S7_ifPKiS9_S9_iPKfiiiPfSC_PS2_PT2_iSB_SB_
; %bb.0:
	s_add_u32 s8, s0, 0x90
	s_addc_u32 s9, s1, 0
	s_getpc_b64 s[0:1]
	s_add_u32 s0, s0, __PRETTY_FUNCTION__._Z38paged_attention_ll4mi_QKV_mfma4_kernelIDF16_hLN4vllm18Fp8KVCacheDataTypeE1EDF16_Li32ELi64ELi256ELb0ELi2EEvPKT_PKT0_S7_ifPKiS9_S9_iPKfiiiPfSC_PS2_PT2_iSB_SB_@rel32@lo+4
	s_addc_u32 s1, s1, __PRETTY_FUNCTION__._Z38paged_attention_ll4mi_QKV_mfma4_kernelIDF16_hLN4vllm18Fp8KVCacheDataTypeE1EDF16_Li32ELi64ELi256ELb0ELi2EEvPKT_PKT0_S7_ifPKiS9_S9_iPKfiiiPfSC_PS2_PT2_iSB_SB_@rel32@hi+12
	s_delay_alu instid0(SALU_CYCLE_1) | instskip(SKIP_4) | instid1(SALU_CYCLE_1)
	v_dual_mov_b32 v0, s0 :: v_dual_mov_b32 v1, s1
	s_mov_b32 s32, 0
	s_getpc_b64 s[2:3]
	s_add_u32 s2, s2, __assert_fail@rel32@lo+4
	s_addc_u32 s3, s3, __assert_fail@rel32@hi+12
	s_swappc_b64 s[30:31], s[2:3]
	.section	.rodata,"a",@progbits
	.p2align	6, 0x0
	.amdhsa_kernel _Z38paged_attention_ll4mi_QKV_mfma4_kernelIDF16_hLN4vllm18Fp8KVCacheDataTypeE1EDF16_Li32ELi64ELi256ELb0ELi2EEvPKT_PKT0_S7_ifPKiS9_S9_iPKfiiiPfSC_PS2_PT2_iSB_SB_
		.amdhsa_group_segment_fixed_size 0
		.amdhsa_private_segment_fixed_size 64
		.amdhsa_kernarg_size 400
		.amdhsa_user_sgpr_count 15
		.amdhsa_user_sgpr_dispatch_ptr 0
		.amdhsa_user_sgpr_queue_ptr 0
		.amdhsa_user_sgpr_kernarg_segment_ptr 1
		.amdhsa_user_sgpr_dispatch_id 0
		.amdhsa_user_sgpr_private_segment_size 0
		.amdhsa_wavefront_size32 1
		.amdhsa_uses_dynamic_stack 0
		.amdhsa_enable_private_segment 1
		.amdhsa_system_sgpr_workgroup_id_x 1
		.amdhsa_system_sgpr_workgroup_id_y 0
		.amdhsa_system_sgpr_workgroup_id_z 0
		.amdhsa_system_sgpr_workgroup_info 0
		.amdhsa_system_vgpr_workitem_id 0
		.amdhsa_next_free_vgpr 41
		.amdhsa_next_free_sgpr 34
		.amdhsa_reserve_vcc 1
		.amdhsa_float_round_mode_32 0
		.amdhsa_float_round_mode_16_64 0
		.amdhsa_float_denorm_mode_32 3
		.amdhsa_float_denorm_mode_16_64 3
		.amdhsa_dx10_clamp 1
		.amdhsa_ieee_mode 1
		.amdhsa_fp16_overflow 0
		.amdhsa_workgroup_processor_mode 1
		.amdhsa_memory_ordered 1
		.amdhsa_forward_progress 0
		.amdhsa_shared_vgpr_count 0
		.amdhsa_exception_fp_ieee_invalid_op 0
		.amdhsa_exception_fp_denorm_src 0
		.amdhsa_exception_fp_ieee_div_zero 0
		.amdhsa_exception_fp_ieee_overflow 0
		.amdhsa_exception_fp_ieee_underflow 0
		.amdhsa_exception_fp_ieee_inexact 0
		.amdhsa_exception_int_div_zero 0
	.end_amdhsa_kernel
	.section	.text._Z38paged_attention_ll4mi_QKV_mfma4_kernelIDF16_hLN4vllm18Fp8KVCacheDataTypeE1EDF16_Li32ELi64ELi256ELb0ELi2EEvPKT_PKT0_S7_ifPKiS9_S9_iPKfiiiPfSC_PS2_PT2_iSB_SB_,"axG",@progbits,_Z38paged_attention_ll4mi_QKV_mfma4_kernelIDF16_hLN4vllm18Fp8KVCacheDataTypeE1EDF16_Li32ELi64ELi256ELb0ELi2EEvPKT_PKT0_S7_ifPKiS9_S9_iPKfiiiPfSC_PS2_PT2_iSB_SB_,comdat
.Lfunc_end911:
	.size	_Z38paged_attention_ll4mi_QKV_mfma4_kernelIDF16_hLN4vllm18Fp8KVCacheDataTypeE1EDF16_Li32ELi64ELi256ELb0ELi2EEvPKT_PKT0_S7_ifPKiS9_S9_iPKfiiiPfSC_PS2_PT2_iSB_SB_, .Lfunc_end911-_Z38paged_attention_ll4mi_QKV_mfma4_kernelIDF16_hLN4vllm18Fp8KVCacheDataTypeE1EDF16_Li32ELi64ELi256ELb0ELi2EEvPKT_PKT0_S7_ifPKiS9_S9_iPKfiiiPfSC_PS2_PT2_iSB_SB_
                                        ; -- End function
	.section	.AMDGPU.csdata,"",@progbits
; Kernel info:
; codeLenInByte = 72
; NumSgprs: 36
; NumVgprs: 41
; ScratchSize: 64
; MemoryBound: 0
; FloatMode: 240
; IeeeMode: 1
; LDSByteSize: 0 bytes/workgroup (compile time only)
; SGPRBlocks: 4
; VGPRBlocks: 5
; NumSGPRsForWavesPerEU: 36
; NumVGPRsForWavesPerEU: 41
; Occupancy: 16
; WaveLimiterHint : 1
; COMPUTE_PGM_RSRC2:SCRATCH_EN: 1
; COMPUTE_PGM_RSRC2:USER_SGPR: 15
; COMPUTE_PGM_RSRC2:TRAP_HANDLER: 0
; COMPUTE_PGM_RSRC2:TGID_X_EN: 1
; COMPUTE_PGM_RSRC2:TGID_Y_EN: 0
; COMPUTE_PGM_RSRC2:TGID_Z_EN: 0
; COMPUTE_PGM_RSRC2:TIDIG_COMP_CNT: 0
	.section	.text._Z38paged_attention_ll4mi_QKV_mfma4_kernelIDF16_hLN4vllm18Fp8KVCacheDataTypeE1EDF16_Li32ELi64ELi256ELb0ELi3EEvPKT_PKT0_S7_ifPKiS9_S9_iPKfiiiPfSC_PS2_PT2_iSB_SB_,"axG",@progbits,_Z38paged_attention_ll4mi_QKV_mfma4_kernelIDF16_hLN4vllm18Fp8KVCacheDataTypeE1EDF16_Li32ELi64ELi256ELb0ELi3EEvPKT_PKT0_S7_ifPKiS9_S9_iPKfiiiPfSC_PS2_PT2_iSB_SB_,comdat
	.protected	_Z38paged_attention_ll4mi_QKV_mfma4_kernelIDF16_hLN4vllm18Fp8KVCacheDataTypeE1EDF16_Li32ELi64ELi256ELb0ELi3EEvPKT_PKT0_S7_ifPKiS9_S9_iPKfiiiPfSC_PS2_PT2_iSB_SB_ ; -- Begin function _Z38paged_attention_ll4mi_QKV_mfma4_kernelIDF16_hLN4vllm18Fp8KVCacheDataTypeE1EDF16_Li32ELi64ELi256ELb0ELi3EEvPKT_PKT0_S7_ifPKiS9_S9_iPKfiiiPfSC_PS2_PT2_iSB_SB_
	.globl	_Z38paged_attention_ll4mi_QKV_mfma4_kernelIDF16_hLN4vllm18Fp8KVCacheDataTypeE1EDF16_Li32ELi64ELi256ELb0ELi3EEvPKT_PKT0_S7_ifPKiS9_S9_iPKfiiiPfSC_PS2_PT2_iSB_SB_
	.p2align	8
	.type	_Z38paged_attention_ll4mi_QKV_mfma4_kernelIDF16_hLN4vllm18Fp8KVCacheDataTypeE1EDF16_Li32ELi64ELi256ELb0ELi3EEvPKT_PKT0_S7_ifPKiS9_S9_iPKfiiiPfSC_PS2_PT2_iSB_SB_,@function
_Z38paged_attention_ll4mi_QKV_mfma4_kernelIDF16_hLN4vllm18Fp8KVCacheDataTypeE1EDF16_Li32ELi64ELi256ELb0ELi3EEvPKT_PKT0_S7_ifPKiS9_S9_iPKfiiiPfSC_PS2_PT2_iSB_SB_: ; @_Z38paged_attention_ll4mi_QKV_mfma4_kernelIDF16_hLN4vllm18Fp8KVCacheDataTypeE1EDF16_Li32ELi64ELi256ELb0ELi3EEvPKT_PKT0_S7_ifPKiS9_S9_iPKfiiiPfSC_PS2_PT2_iSB_SB_
; %bb.0:
	s_add_u32 s8, s0, 0x90
	s_addc_u32 s9, s1, 0
	s_getpc_b64 s[0:1]
	s_add_u32 s0, s0, __PRETTY_FUNCTION__._Z38paged_attention_ll4mi_QKV_mfma4_kernelIDF16_hLN4vllm18Fp8KVCacheDataTypeE1EDF16_Li32ELi64ELi256ELb0ELi3EEvPKT_PKT0_S7_ifPKiS9_S9_iPKfiiiPfSC_PS2_PT2_iSB_SB_@rel32@lo+4
	s_addc_u32 s1, s1, __PRETTY_FUNCTION__._Z38paged_attention_ll4mi_QKV_mfma4_kernelIDF16_hLN4vllm18Fp8KVCacheDataTypeE1EDF16_Li32ELi64ELi256ELb0ELi3EEvPKT_PKT0_S7_ifPKiS9_S9_iPKfiiiPfSC_PS2_PT2_iSB_SB_@rel32@hi+12
	s_delay_alu instid0(SALU_CYCLE_1) | instskip(SKIP_4) | instid1(SALU_CYCLE_1)
	v_dual_mov_b32 v0, s0 :: v_dual_mov_b32 v1, s1
	s_mov_b32 s32, 0
	s_getpc_b64 s[2:3]
	s_add_u32 s2, s2, __assert_fail@rel32@lo+4
	s_addc_u32 s3, s3, __assert_fail@rel32@hi+12
	s_swappc_b64 s[30:31], s[2:3]
	.section	.rodata,"a",@progbits
	.p2align	6, 0x0
	.amdhsa_kernel _Z38paged_attention_ll4mi_QKV_mfma4_kernelIDF16_hLN4vllm18Fp8KVCacheDataTypeE1EDF16_Li32ELi64ELi256ELb0ELi3EEvPKT_PKT0_S7_ifPKiS9_S9_iPKfiiiPfSC_PS2_PT2_iSB_SB_
		.amdhsa_group_segment_fixed_size 0
		.amdhsa_private_segment_fixed_size 64
		.amdhsa_kernarg_size 400
		.amdhsa_user_sgpr_count 15
		.amdhsa_user_sgpr_dispatch_ptr 0
		.amdhsa_user_sgpr_queue_ptr 0
		.amdhsa_user_sgpr_kernarg_segment_ptr 1
		.amdhsa_user_sgpr_dispatch_id 0
		.amdhsa_user_sgpr_private_segment_size 0
		.amdhsa_wavefront_size32 1
		.amdhsa_uses_dynamic_stack 0
		.amdhsa_enable_private_segment 1
		.amdhsa_system_sgpr_workgroup_id_x 1
		.amdhsa_system_sgpr_workgroup_id_y 0
		.amdhsa_system_sgpr_workgroup_id_z 0
		.amdhsa_system_sgpr_workgroup_info 0
		.amdhsa_system_vgpr_workitem_id 0
		.amdhsa_next_free_vgpr 41
		.amdhsa_next_free_sgpr 34
		.amdhsa_reserve_vcc 1
		.amdhsa_float_round_mode_32 0
		.amdhsa_float_round_mode_16_64 0
		.amdhsa_float_denorm_mode_32 3
		.amdhsa_float_denorm_mode_16_64 3
		.amdhsa_dx10_clamp 1
		.amdhsa_ieee_mode 1
		.amdhsa_fp16_overflow 0
		.amdhsa_workgroup_processor_mode 1
		.amdhsa_memory_ordered 1
		.amdhsa_forward_progress 0
		.amdhsa_shared_vgpr_count 0
		.amdhsa_exception_fp_ieee_invalid_op 0
		.amdhsa_exception_fp_denorm_src 0
		.amdhsa_exception_fp_ieee_div_zero 0
		.amdhsa_exception_fp_ieee_overflow 0
		.amdhsa_exception_fp_ieee_underflow 0
		.amdhsa_exception_fp_ieee_inexact 0
		.amdhsa_exception_int_div_zero 0
	.end_amdhsa_kernel
	.section	.text._Z38paged_attention_ll4mi_QKV_mfma4_kernelIDF16_hLN4vllm18Fp8KVCacheDataTypeE1EDF16_Li32ELi64ELi256ELb0ELi3EEvPKT_PKT0_S7_ifPKiS9_S9_iPKfiiiPfSC_PS2_PT2_iSB_SB_,"axG",@progbits,_Z38paged_attention_ll4mi_QKV_mfma4_kernelIDF16_hLN4vllm18Fp8KVCacheDataTypeE1EDF16_Li32ELi64ELi256ELb0ELi3EEvPKT_PKT0_S7_ifPKiS9_S9_iPKfiiiPfSC_PS2_PT2_iSB_SB_,comdat
.Lfunc_end912:
	.size	_Z38paged_attention_ll4mi_QKV_mfma4_kernelIDF16_hLN4vllm18Fp8KVCacheDataTypeE1EDF16_Li32ELi64ELi256ELb0ELi3EEvPKT_PKT0_S7_ifPKiS9_S9_iPKfiiiPfSC_PS2_PT2_iSB_SB_, .Lfunc_end912-_Z38paged_attention_ll4mi_QKV_mfma4_kernelIDF16_hLN4vllm18Fp8KVCacheDataTypeE1EDF16_Li32ELi64ELi256ELb0ELi3EEvPKT_PKT0_S7_ifPKiS9_S9_iPKfiiiPfSC_PS2_PT2_iSB_SB_
                                        ; -- End function
	.section	.AMDGPU.csdata,"",@progbits
; Kernel info:
; codeLenInByte = 72
; NumSgprs: 36
; NumVgprs: 41
; ScratchSize: 64
; MemoryBound: 0
; FloatMode: 240
; IeeeMode: 1
; LDSByteSize: 0 bytes/workgroup (compile time only)
; SGPRBlocks: 4
; VGPRBlocks: 5
; NumSGPRsForWavesPerEU: 36
; NumVGPRsForWavesPerEU: 41
; Occupancy: 16
; WaveLimiterHint : 1
; COMPUTE_PGM_RSRC2:SCRATCH_EN: 1
; COMPUTE_PGM_RSRC2:USER_SGPR: 15
; COMPUTE_PGM_RSRC2:TRAP_HANDLER: 0
; COMPUTE_PGM_RSRC2:TGID_X_EN: 1
; COMPUTE_PGM_RSRC2:TGID_Y_EN: 0
; COMPUTE_PGM_RSRC2:TGID_Z_EN: 0
; COMPUTE_PGM_RSRC2:TIDIG_COMP_CNT: 0
	.section	.text._Z38paged_attention_ll4mi_QKV_mfma4_kernelIDF16_hLN4vllm18Fp8KVCacheDataTypeE1EDF16_Li32ELi64ELi256ELb0ELi4EEvPKT_PKT0_S7_ifPKiS9_S9_iPKfiiiPfSC_PS2_PT2_iSB_SB_,"axG",@progbits,_Z38paged_attention_ll4mi_QKV_mfma4_kernelIDF16_hLN4vllm18Fp8KVCacheDataTypeE1EDF16_Li32ELi64ELi256ELb0ELi4EEvPKT_PKT0_S7_ifPKiS9_S9_iPKfiiiPfSC_PS2_PT2_iSB_SB_,comdat
	.protected	_Z38paged_attention_ll4mi_QKV_mfma4_kernelIDF16_hLN4vllm18Fp8KVCacheDataTypeE1EDF16_Li32ELi64ELi256ELb0ELi4EEvPKT_PKT0_S7_ifPKiS9_S9_iPKfiiiPfSC_PS2_PT2_iSB_SB_ ; -- Begin function _Z38paged_attention_ll4mi_QKV_mfma4_kernelIDF16_hLN4vllm18Fp8KVCacheDataTypeE1EDF16_Li32ELi64ELi256ELb0ELi4EEvPKT_PKT0_S7_ifPKiS9_S9_iPKfiiiPfSC_PS2_PT2_iSB_SB_
	.globl	_Z38paged_attention_ll4mi_QKV_mfma4_kernelIDF16_hLN4vllm18Fp8KVCacheDataTypeE1EDF16_Li32ELi64ELi256ELb0ELi4EEvPKT_PKT0_S7_ifPKiS9_S9_iPKfiiiPfSC_PS2_PT2_iSB_SB_
	.p2align	8
	.type	_Z38paged_attention_ll4mi_QKV_mfma4_kernelIDF16_hLN4vllm18Fp8KVCacheDataTypeE1EDF16_Li32ELi64ELi256ELb0ELi4EEvPKT_PKT0_S7_ifPKiS9_S9_iPKfiiiPfSC_PS2_PT2_iSB_SB_,@function
_Z38paged_attention_ll4mi_QKV_mfma4_kernelIDF16_hLN4vllm18Fp8KVCacheDataTypeE1EDF16_Li32ELi64ELi256ELb0ELi4EEvPKT_PKT0_S7_ifPKiS9_S9_iPKfiiiPfSC_PS2_PT2_iSB_SB_: ; @_Z38paged_attention_ll4mi_QKV_mfma4_kernelIDF16_hLN4vllm18Fp8KVCacheDataTypeE1EDF16_Li32ELi64ELi256ELb0ELi4EEvPKT_PKT0_S7_ifPKiS9_S9_iPKfiiiPfSC_PS2_PT2_iSB_SB_
; %bb.0:
	s_add_u32 s8, s0, 0x90
	s_addc_u32 s9, s1, 0
	s_getpc_b64 s[0:1]
	s_add_u32 s0, s0, __PRETTY_FUNCTION__._Z38paged_attention_ll4mi_QKV_mfma4_kernelIDF16_hLN4vllm18Fp8KVCacheDataTypeE1EDF16_Li32ELi64ELi256ELb0ELi4EEvPKT_PKT0_S7_ifPKiS9_S9_iPKfiiiPfSC_PS2_PT2_iSB_SB_@rel32@lo+4
	s_addc_u32 s1, s1, __PRETTY_FUNCTION__._Z38paged_attention_ll4mi_QKV_mfma4_kernelIDF16_hLN4vllm18Fp8KVCacheDataTypeE1EDF16_Li32ELi64ELi256ELb0ELi4EEvPKT_PKT0_S7_ifPKiS9_S9_iPKfiiiPfSC_PS2_PT2_iSB_SB_@rel32@hi+12
	s_delay_alu instid0(SALU_CYCLE_1) | instskip(SKIP_4) | instid1(SALU_CYCLE_1)
	v_dual_mov_b32 v0, s0 :: v_dual_mov_b32 v1, s1
	s_mov_b32 s32, 0
	s_getpc_b64 s[2:3]
	s_add_u32 s2, s2, __assert_fail@rel32@lo+4
	s_addc_u32 s3, s3, __assert_fail@rel32@hi+12
	s_swappc_b64 s[30:31], s[2:3]
	.section	.rodata,"a",@progbits
	.p2align	6, 0x0
	.amdhsa_kernel _Z38paged_attention_ll4mi_QKV_mfma4_kernelIDF16_hLN4vllm18Fp8KVCacheDataTypeE1EDF16_Li32ELi64ELi256ELb0ELi4EEvPKT_PKT0_S7_ifPKiS9_S9_iPKfiiiPfSC_PS2_PT2_iSB_SB_
		.amdhsa_group_segment_fixed_size 0
		.amdhsa_private_segment_fixed_size 64
		.amdhsa_kernarg_size 400
		.amdhsa_user_sgpr_count 15
		.amdhsa_user_sgpr_dispatch_ptr 0
		.amdhsa_user_sgpr_queue_ptr 0
		.amdhsa_user_sgpr_kernarg_segment_ptr 1
		.amdhsa_user_sgpr_dispatch_id 0
		.amdhsa_user_sgpr_private_segment_size 0
		.amdhsa_wavefront_size32 1
		.amdhsa_uses_dynamic_stack 0
		.amdhsa_enable_private_segment 1
		.amdhsa_system_sgpr_workgroup_id_x 1
		.amdhsa_system_sgpr_workgroup_id_y 0
		.amdhsa_system_sgpr_workgroup_id_z 0
		.amdhsa_system_sgpr_workgroup_info 0
		.amdhsa_system_vgpr_workitem_id 0
		.amdhsa_next_free_vgpr 41
		.amdhsa_next_free_sgpr 34
		.amdhsa_reserve_vcc 1
		.amdhsa_float_round_mode_32 0
		.amdhsa_float_round_mode_16_64 0
		.amdhsa_float_denorm_mode_32 3
		.amdhsa_float_denorm_mode_16_64 3
		.amdhsa_dx10_clamp 1
		.amdhsa_ieee_mode 1
		.amdhsa_fp16_overflow 0
		.amdhsa_workgroup_processor_mode 1
		.amdhsa_memory_ordered 1
		.amdhsa_forward_progress 0
		.amdhsa_shared_vgpr_count 0
		.amdhsa_exception_fp_ieee_invalid_op 0
		.amdhsa_exception_fp_denorm_src 0
		.amdhsa_exception_fp_ieee_div_zero 0
		.amdhsa_exception_fp_ieee_overflow 0
		.amdhsa_exception_fp_ieee_underflow 0
		.amdhsa_exception_fp_ieee_inexact 0
		.amdhsa_exception_int_div_zero 0
	.end_amdhsa_kernel
	.section	.text._Z38paged_attention_ll4mi_QKV_mfma4_kernelIDF16_hLN4vllm18Fp8KVCacheDataTypeE1EDF16_Li32ELi64ELi256ELb0ELi4EEvPKT_PKT0_S7_ifPKiS9_S9_iPKfiiiPfSC_PS2_PT2_iSB_SB_,"axG",@progbits,_Z38paged_attention_ll4mi_QKV_mfma4_kernelIDF16_hLN4vllm18Fp8KVCacheDataTypeE1EDF16_Li32ELi64ELi256ELb0ELi4EEvPKT_PKT0_S7_ifPKiS9_S9_iPKfiiiPfSC_PS2_PT2_iSB_SB_,comdat
.Lfunc_end913:
	.size	_Z38paged_attention_ll4mi_QKV_mfma4_kernelIDF16_hLN4vllm18Fp8KVCacheDataTypeE1EDF16_Li32ELi64ELi256ELb0ELi4EEvPKT_PKT0_S7_ifPKiS9_S9_iPKfiiiPfSC_PS2_PT2_iSB_SB_, .Lfunc_end913-_Z38paged_attention_ll4mi_QKV_mfma4_kernelIDF16_hLN4vllm18Fp8KVCacheDataTypeE1EDF16_Li32ELi64ELi256ELb0ELi4EEvPKT_PKT0_S7_ifPKiS9_S9_iPKfiiiPfSC_PS2_PT2_iSB_SB_
                                        ; -- End function
	.section	.AMDGPU.csdata,"",@progbits
; Kernel info:
; codeLenInByte = 72
; NumSgprs: 36
; NumVgprs: 41
; ScratchSize: 64
; MemoryBound: 0
; FloatMode: 240
; IeeeMode: 1
; LDSByteSize: 0 bytes/workgroup (compile time only)
; SGPRBlocks: 4
; VGPRBlocks: 5
; NumSGPRsForWavesPerEU: 36
; NumVGPRsForWavesPerEU: 41
; Occupancy: 16
; WaveLimiterHint : 1
; COMPUTE_PGM_RSRC2:SCRATCH_EN: 1
; COMPUTE_PGM_RSRC2:USER_SGPR: 15
; COMPUTE_PGM_RSRC2:TRAP_HANDLER: 0
; COMPUTE_PGM_RSRC2:TGID_X_EN: 1
; COMPUTE_PGM_RSRC2:TGID_Y_EN: 0
; COMPUTE_PGM_RSRC2:TGID_Z_EN: 0
; COMPUTE_PGM_RSRC2:TIDIG_COMP_CNT: 0
	.section	.text._Z39paged_attention_ll4mi_QKV_mfma16_kernelIDF16_hLN4vllm18Fp8KVCacheDataTypeE1EDF16_Li32ELi64ELi256ELb0ELi5EL8MFMAType1EEvPKT_PKT0_S8_ifPKiSA_SA_iPKfiiiPfSD_PS3_PT2_iSC_SC_,"axG",@progbits,_Z39paged_attention_ll4mi_QKV_mfma16_kernelIDF16_hLN4vllm18Fp8KVCacheDataTypeE1EDF16_Li32ELi64ELi256ELb0ELi5EL8MFMAType1EEvPKT_PKT0_S8_ifPKiSA_SA_iPKfiiiPfSD_PS3_PT2_iSC_SC_,comdat
	.protected	_Z39paged_attention_ll4mi_QKV_mfma16_kernelIDF16_hLN4vllm18Fp8KVCacheDataTypeE1EDF16_Li32ELi64ELi256ELb0ELi5EL8MFMAType1EEvPKT_PKT0_S8_ifPKiSA_SA_iPKfiiiPfSD_PS3_PT2_iSC_SC_ ; -- Begin function _Z39paged_attention_ll4mi_QKV_mfma16_kernelIDF16_hLN4vllm18Fp8KVCacheDataTypeE1EDF16_Li32ELi64ELi256ELb0ELi5EL8MFMAType1EEvPKT_PKT0_S8_ifPKiSA_SA_iPKfiiiPfSD_PS3_PT2_iSC_SC_
	.globl	_Z39paged_attention_ll4mi_QKV_mfma16_kernelIDF16_hLN4vllm18Fp8KVCacheDataTypeE1EDF16_Li32ELi64ELi256ELb0ELi5EL8MFMAType1EEvPKT_PKT0_S8_ifPKiSA_SA_iPKfiiiPfSD_PS3_PT2_iSC_SC_
	.p2align	8
	.type	_Z39paged_attention_ll4mi_QKV_mfma16_kernelIDF16_hLN4vllm18Fp8KVCacheDataTypeE1EDF16_Li32ELi64ELi256ELb0ELi5EL8MFMAType1EEvPKT_PKT0_S8_ifPKiSA_SA_iPKfiiiPfSD_PS3_PT2_iSC_SC_,@function
_Z39paged_attention_ll4mi_QKV_mfma16_kernelIDF16_hLN4vllm18Fp8KVCacheDataTypeE1EDF16_Li32ELi64ELi256ELb0ELi5EL8MFMAType1EEvPKT_PKT0_S8_ifPKiSA_SA_iPKfiiiPfSD_PS3_PT2_iSC_SC_: ; @_Z39paged_attention_ll4mi_QKV_mfma16_kernelIDF16_hLN4vllm18Fp8KVCacheDataTypeE1EDF16_Li32ELi64ELi256ELb0ELi5EL8MFMAType1EEvPKT_PKT0_S8_ifPKiSA_SA_iPKfiiiPfSD_PS3_PT2_iSC_SC_
; %bb.0:
	s_load_b64 s[2:3], s[0:1], 0x30
	s_mov_b32 s34, s13
	s_waitcnt lgkmcnt(0)
	s_cmp_lg_u64 s[2:3], 0
	s_cselect_b32 s6, -1, 0
	s_ashr_i32 s35, s13, 31
	s_cmp_eq_u64 s[2:3], 0
	s_cbranch_scc1 .LBB914_3
; %bb.1:
	s_lshl_b64 s[4:5], s[34:35], 2
	s_delay_alu instid0(SALU_CYCLE_1) | instskip(SKIP_4) | instid1(SALU_CYCLE_1)
	s_add_u32 s4, s2, s4
	s_addc_u32 s5, s3, s5
	s_load_b64 s[4:5], s[4:5], 0x0
	s_waitcnt lgkmcnt(0)
	s_sub_i32 s4, s5, s4
	s_cmp_eq_u32 s4, 1
	s_cselect_b32 s4, -1, 0
	s_delay_alu instid0(SALU_CYCLE_1)
	s_and_not1_b32 vcc_lo, exec_lo, s4
	s_cbranch_vccz .LBB914_4
.LBB914_2:
	s_nop 0
	s_sendmsg sendmsg(MSG_DEALLOC_VGPRS)
	s_endpgm
.LBB914_3:
.LBB914_4:
	s_load_b64 s[8:9], s[0:1], 0x28
	s_lshl_b64 s[4:5], s[34:35], 2
	s_waitcnt lgkmcnt(0)
	s_add_u32 s8, s8, s4
	s_addc_u32 s9, s9, s5
	s_lshl_b32 s16, s14, 8
	s_load_b32 s18, s[8:9], 0x0
	s_waitcnt lgkmcnt(0)
	s_cmp_ge_i32 s16, s18
	s_cbranch_scc1 .LBB914_2
; %bb.5:
	s_clause 0x1
	s_load_b128 s[8:11], s[0:1], 0x8
	s_load_b64 s[12:13], s[0:1], 0x20
	s_and_not1_b32 vcc_lo, exec_lo, s6
	s_cbranch_vccnz .LBB914_7
; %bb.6:
	s_add_u32 s2, s2, s4
	s_addc_u32 s3, s3, s5
	s_load_b32 s3, s[2:3], 0x0
	s_branch .LBB914_8
.LBB914_7:
	s_mov_b32 s3, s34
.LBB914_8:
	s_load_b128 s[4:7], s[0:1], 0x48
	v_lshrrev_b32_e32 v69, 5, v0
	v_bfe_u32 v66, v0, 4, 1
	v_and_b32_e32 v68, 15, v0
	v_and_b32_e32 v70, 31, v0
	v_and_b32_e32 v67, 1, v0
	s_mul_i32 s33, s15, 5
	v_lshl_or_b32 v1, v69, 1, v66
	v_lshlrev_b32_e32 v2, 3, v68
	v_cmp_gt_u32_e64 s2, 8, v68
	s_delay_alu instid0(VALU_DEP_3) | instskip(NEXT) | instid1(VALU_DEP_3)
	v_cmp_gt_u32_e32 vcc_lo, 5, v1
	v_lshlrev_b32_e32 v65, 1, v2
	s_delay_alu instid0(VALU_DEP_3)
	s_and_b32 s17, s2, vcc_lo
	s_waitcnt lgkmcnt(0)
	s_and_saveexec_b32 s7, s17
	s_cbranch_execz .LBB914_10
; %bb.9:
	s_load_b64 s[20:21], s[0:1], 0x0
	v_add_lshl_u32 v2, v1, s33, 6
	s_mul_hi_i32 s23, s3, s4
	s_mul_i32 s22, s3, s4
	v_lshlrev_b32_e32 v6, 10, v68
	s_lshl_b64 s[22:23], s[22:23], 1
	v_ashrrev_i32_e32 v3, 31, v2
	v_lshlrev_b32_e32 v1, 6, v1
	v_lshlrev_b32_e32 v7, 10, v67
	v_and_b32_e32 v6, 0x3800, v6
	s_delay_alu instid0(VALU_DEP_4) | instskip(NEXT) | instid1(VALU_DEP_2)
	v_lshlrev_b64 v[2:3], 1, v[2:3]
	v_or3_b32 v1, v6, v7, v1
	s_waitcnt lgkmcnt(0)
	s_add_u32 s3, s20, s22
	s_addc_u32 s4, s21, s23
	s_delay_alu instid0(VALU_DEP_2) | instskip(SKIP_1) | instid1(VALU_DEP_2)
	v_add_co_u32 v2, vcc_lo, s3, v2
	v_add_co_ci_u32_e32 v3, vcc_lo, s4, v3, vcc_lo
	v_add_co_u32 v2, vcc_lo, v2, v65
	s_delay_alu instid0(VALU_DEP_2)
	v_add_co_ci_u32_e32 v3, vcc_lo, 0, v3, vcc_lo
	global_load_b128 v[2:5], v[2:3], off
	s_waitcnt vmcnt(0)
	ds_store_b128 v1, v[2:5]
.LBB914_10:
	s_or_b32 exec_lo, exec_lo, s7
	v_and_b32_e32 v1, 0xef, v0
	s_add_i32 s3, s18, 31
	s_clause 0x1
	s_load_b32 s4, s[0:1], 0x38
	s_load_b32 s35, s[0:1], 0x98
	s_ashr_i32 s7, s3, 31
	v_add_nc_u32_e32 v1, s16, v1
	s_lshr_b32 s7, s7, 27
	s_load_b32 s19, s[0:1], 0x1c
	s_add_i32 s3, s3, s7
	s_waitcnt lgkmcnt(0)
	v_ashrrev_i32_e32 v2, 31, v1
	v_or_b32_e32 v3, 16, v1
	s_ashr_i32 s3, s3, 5
	v_cmp_gt_i32_e32 vcc_lo, s18, v1
	s_add_i32 s3, s3, -1
	v_lshrrev_b32_e32 v2, 27, v2
	s_barrier
	buffer_gl0_inv
	s_mul_i32 s15, s15, s6
	v_mul_lo_u16 v103, v68, 52
	v_add_nc_u32_e32 v4, v1, v2
	v_mbcnt_lo_u32_b32 v127, -1, 0
	s_mul_i32 s20, s34, s4
	s_delay_alu instid0(SALU_CYCLE_1) | instskip(NEXT) | instid1(VALU_DEP_2)
	s_ashr_i32 s21, s20, 31
	v_ashrrev_i32_e32 v4, 5, v4
	v_add_nc_u32_e32 v2, v3, v2
	s_lshl_b64 s[20:21], s[20:21], 2
	v_lshrrev_b16 v103, 8, v103
	s_add_u32 s17, s12, s20
	v_cndmask_b32_e32 v1, s3, v4, vcc_lo
	v_ashrrev_i32_e32 v2, 5, v2
	v_cmp_gt_i32_e32 vcc_lo, s18, v3
	s_addc_u32 s13, s13, s21
	s_ashr_i32 s20, s15, 31
	s_add_u32 s22, s8, s15
	s_addc_u32 s23, s9, s20
	v_cndmask_b32_e32 v3, s3, v2, vcc_lo
	v_ashrrev_i32_e32 v2, 31, v1
	s_lshl_b32 s6, s14, 3
	v_mul_lo_u16 v103, v103, 5
	s_ashr_i32 s7, s6, 31
	v_ashrrev_i32_e32 v4, 31, v3
	v_lshlrev_b64 v[1:2], 2, v[1:2]
	s_lshl_b64 s[6:7], s[6:7], 2
	v_sub_nc_u16 v103, v68, v103
	s_add_u32 s6, s17, s6
	v_lshlrev_b64 v[3:4], 2, v[3:4]
	s_addc_u32 s7, s13, s7
	v_add_co_u32 v1, vcc_lo, s17, v1
	v_add_co_ci_u32_e32 v2, vcc_lo, s13, v2, vcc_lo
	s_delay_alu instid0(VALU_DEP_3) | instskip(NEXT) | instid1(VALU_DEP_4)
	v_add_co_u32 v3, vcc_lo, s17, v3
	v_add_co_ci_u32_e32 v4, vcc_lo, s13, v4, vcc_lo
	s_clause 0x1
	global_load_b32 v5, v[1:2], off
	global_load_b32 v6, v[3:4], off
	s_or_b32 s4, s16, 32
	v_xor_b32_e32 v128, 16, v127
	s_ashr_i32 s8, s4, 5
	s_cmp_lt_i32 s4, s18
	s_cselect_b32 s8, s8, s3
	s_delay_alu instid0(SALU_CYCLE_1) | instskip(NEXT) | instid1(SALU_CYCLE_1)
	s_ashr_i32 s9, s8, 31
	s_lshl_b64 s[8:9], s[8:9], 2
	s_delay_alu instid0(SALU_CYCLE_1) | instskip(SKIP_2) | instid1(SALU_CYCLE_1)
	s_add_u32 s8, s17, s8
	s_addc_u32 s9, s13, s9
	s_or_b32 s4, s16, 64
	s_ashr_i32 s12, s4, 5
	s_cmp_lt_i32 s4, s18
	s_cselect_b32 s24, s12, s3
	s_delay_alu instid0(SALU_CYCLE_1) | instskip(NEXT) | instid1(SALU_CYCLE_1)
	s_ashr_i32 s25, s24, 31
	s_lshl_b64 s[24:25], s[24:25], 2
	s_delay_alu instid0(SALU_CYCLE_1) | instskip(SKIP_2) | instid1(SALU_CYCLE_1)
	s_add_u32 s24, s17, s24
	s_addc_u32 s25, s13, s25
	s_or_b32 s4, s16, 0x60
	s_ashr_i32 s12, s4, 5
	s_cmp_lt_i32 s4, s18
	s_cselect_b32 s26, s12, s3
	s_delay_alu instid0(SALU_CYCLE_1) | instskip(NEXT) | instid1(SALU_CYCLE_1)
	s_ashr_i32 s27, s26, 31
	s_lshl_b64 s[26:27], s[26:27], 2
	s_delay_alu instid0(SALU_CYCLE_1) | instskip(SKIP_2) | instid1(SALU_CYCLE_1)
	s_add_u32 s26, s17, s26
	s_addc_u32 s27, s13, s27
	s_or_b32 s4, s16, 0x80
	s_ashr_i32 s12, s4, 5
	s_cmp_lt_i32 s4, s18
	s_cselect_b32 s28, s12, s3
	s_delay_alu instid0(SALU_CYCLE_1) | instskip(NEXT) | instid1(SALU_CYCLE_1)
	s_ashr_i32 s29, s28, 31
	s_lshl_b64 s[28:29], s[28:29], 2
	s_delay_alu instid0(SALU_CYCLE_1) | instskip(SKIP_2) | instid1(SALU_CYCLE_1)
	s_add_u32 s28, s17, s28
	s_addc_u32 s29, s13, s29
	s_or_b32 s4, s16, 0xa0
	s_ashr_i32 s12, s4, 5
	s_cmp_lt_i32 s4, s18
	s_cselect_b32 s30, s12, s3
	s_delay_alu instid0(SALU_CYCLE_1) | instskip(NEXT) | instid1(SALU_CYCLE_1)
	s_ashr_i32 s31, s30, 31
	s_lshl_b64 s[30:31], s[30:31], 2
	s_delay_alu instid0(SALU_CYCLE_1)
	s_add_u32 s30, s17, s30
	s_addc_u32 s31, s13, s31
	s_clause 0x5
	s_load_b32 s12, s[6:7], 0x0
	s_load_b32 s4, s[8:9], 0x0
	;; [unrolled: 1-line block ×6, first 2 shown]
	s_or_b32 s21, s16, 0xc0
	s_waitcnt vmcnt(1)
	v_mad_i64_i32 v[1:2], null, v5, s5, s[22:23]
	v_lshlrev_b32_e32 v5, 4, v68
	s_waitcnt vmcnt(0)
	v_mad_i64_i32 v[3:4], null, v6, s5, s[22:23]
	s_ashr_i32 s22, s21, 5
	s_cmp_lt_i32 s21, s18
	s_delay_alu instid0(VALU_DEP_3) | instskip(NEXT) | instid1(VALU_DEP_4)
	v_add_co_u32 v1, vcc_lo, v1, v5
	v_add_co_ci_u32_e32 v2, vcc_lo, 0, v2, vcc_lo
	s_delay_alu instid0(VALU_DEP_3) | instskip(NEXT) | instid1(VALU_DEP_4)
	v_add_co_u32 v3, vcc_lo, v3, v5
	v_add_co_ci_u32_e32 v4, vcc_lo, 0, v4, vcc_lo
	s_clause 0x7
	global_load_b128 v[71:74], v[1:2], off
	global_load_b128 v[75:78], v[1:2], off offset:512
	global_load_b128 v[79:82], v[3:4], off offset:256
	;; [unrolled: 1-line block ×7, first 2 shown]
	s_cselect_b32 s22, s22, s3
	v_lshlrev_b32_e32 v1, 5, v68
	s_ashr_i32 s23, s22, 31
	v_cmp_gt_i32_e32 vcc_lo, 32, v128
	s_lshl_b64 s[22:23], s[22:23], 2
	v_and_b32_e32 v103, 0xff, v103
	s_add_u32 s22, s17, s22
	s_addc_u32 s23, s13, s23
	v_cndmask_b32_e32 v136, v127, v128, vcc_lo
	s_or_b32 s21, s16, 0xe0
	v_lshl_or_b32 v1, v69, 9, v1
	s_ashr_i32 s24, s21, 5
	s_cmp_lt_i32 s21, s18
	v_lshlrev_b32_e32 v115, 6, v103
	s_cselect_b32 s24, s24, s3
	s_load_b32 s3, s[22:23], 0x0
	s_ashr_i32 s25, s24, 31
	s_delay_alu instid0(SALU_CYCLE_1) | instskip(NEXT) | instid1(SALU_CYCLE_1)
	s_lshl_b64 s[24:25], s[24:25], 2
	s_add_u32 s22, s17, s24
	s_addc_u32 s23, s13, s25
	s_add_u32 s10, s10, s15
	s_addc_u32 s11, s11, s20
	v_add_co_u32 v1, s10, s10, v1
	s_delay_alu instid0(VALU_DEP_1) | instskip(SKIP_2) | instid1(VALU_DEP_1)
	v_add_co_ci_u32_e64 v2, null, s11, 0, s10
	s_load_b32 s10, s[22:23], 0x0
	s_waitcnt lgkmcnt(0)
	v_mad_i64_i32 v[3:4], null, s12, s5, v[1:2]
	v_mad_i64_i32 v[9:10], null, s7, s5, v[1:2]
	;; [unrolled: 1-line block ×7, first 2 shown]
	s_clause 0x5
	global_load_b128 v[49:52], v[3:4], off
	global_load_b128 v[53:56], v[3:4], off offset:16
	global_load_b128 v[41:44], v[5:6], off
	global_load_b128 v[45:48], v[5:6], off offset:16
	;; [unrolled: 2-line block ×3, first 2 shown]
	s_mov_b32 s4, 0
	v_mad_i64_i32 v[61:62], null, s10, s5, v[1:2]
	s_clause 0x9
	global_load_b128 v[1:4], v[9:10], off
	global_load_b128 v[5:8], v[9:10], off offset:16
	global_load_b128 v[9:12], v[13:14], off
	global_load_b128 v[13:16], v[13:14], off offset:16
	global_load_b128 v[17:20], v[21:22], off
	global_load_b128 v[21:24], v[21:22], off offset:16
	global_load_b128 v[25:28], v[29:30], off
	global_load_b128 v[29:32], v[29:30], off offset:16
	global_load_b128 v[57:60], v[61:62], off
	global_load_b128 v[61:64], v[61:62], off offset:16
	s_mov_b32 s5, s4
	s_mov_b32 s6, s4
	;; [unrolled: 1-line block ×7, first 2 shown]
	v_and_b32_e32 v104, 0xe0, v0
	v_dual_mov_b32 v126, s11 :: v_dual_mov_b32 v123, s8
	v_dual_mov_b32 v125, s10 :: v_dual_mov_b32 v124, s9
	s_delay_alu instid0(VALU_DEP_3)
	v_add_nc_u32_e32 v111, s16, v104
	ds_load_b128 v[103:106], v115
	ds_load_b128 v[107:110], v115 offset:1024
	v_dual_mov_b32 v122, s7 :: v_dual_mov_b32 v121, s6
	v_mov_b32_e32 v120, s5
	v_or_b32_e32 v135, v111, v66
	ds_load_b128 v[111:114], v115 offset:2048
	ds_load_b128 v[115:118], v115 offset:3072
	v_mov_b32_e32 v119, s4
	s_waitcnt vmcnt(0) lgkmcnt(0)
	s_barrier
	v_or_b32_e32 v137, 2, v135
	v_or_b32_e32 v138, 4, v135
	;; [unrolled: 1-line block ×3, first 2 shown]
	v_cmp_gt_i32_e32 vcc_lo, s18, v135
	v_or_b32_e32 v140, 8, v135
	v_cmp_gt_i32_e64 s3, s18, v137
	v_or_b32_e32 v141, 10, v135
	v_cmp_gt_i32_e64 s4, s18, v138
	v_cmp_gt_i32_e64 s5, s18, v139
	v_or_b32_e32 v142, 12, v135
	v_or_b32_e32 v143, 14, v135
	v_cmp_gt_i32_e64 s6, s18, v140
	v_cmp_gt_i32_e64 s7, s18, v141
	v_or_b32_e32 v144, 16, v135
	v_or_b32_e32 v145, 18, v135
	v_cmp_gt_i32_e64 s8, s18, v142
	v_cmp_gt_i32_e64 s9, s18, v143
	buffer_gl0_inv
	v_cmp_gt_i32_e64 s10, s18, v144
	v_cmp_gt_i32_e64 s11, s18, v145
	v_wmma_f32_16x16x16_f16 v[127:134], v[71:78], v[103:110], v[119:126]
	v_wmma_f32_16x16x16_f16 v[119:126], v[79:86], v[103:110], v[119:126]
	v_or_b32_e32 v71, 20, v135
	v_or_b32_e32 v72, 22, v135
	s_delay_alu instid0(VALU_DEP_4)
	v_wmma_f32_16x16x16_f16 v[127:134], v[87:94], v[111:118], v[127:134]
	v_or_b32_e32 v73, 24, v135
	v_wmma_f32_16x16x16_f16 v[119:126], v[95:102], v[111:118], v[119:126]
	v_or_b32_e32 v74, 26, v135
	v_cmp_gt_i32_e64 s12, s18, v71
	v_dual_mul_f32 v84, s19, v127 :: v_dual_mul_f32 v83, s19, v128
	s_delay_alu instid0(VALU_DEP_4) | instskip(SKIP_2) | instid1(VALU_DEP_4)
	v_dual_mul_f32 v92, s19, v119 :: v_dual_mul_f32 v81, s19, v130
	v_mul_f32_e32 v90, s19, v121
	v_mul_f32_e32 v82, s19, v129
	v_cndmask_b32_e32 v84, 0xff7fffff, v84, vcc_lo
	v_cndmask_b32_e64 v83, 0xff7fffff, v83, s3
	v_dual_mul_f32 v79, s19, v132 :: v_dual_mul_f32 v88, s19, v123
	v_mul_f32_e32 v80, s19, v131
	v_cndmask_b32_e64 v82, 0xff7fffff, v82, s4
	v_cndmask_b32_e64 v81, 0xff7fffff, v81, s5
	v_max3_f32 v83, v84, 0xff7fffff, v83
	v_dual_mul_f32 v77, s19, v134 :: v_dual_mul_f32 v86, s19, v125
	v_mul_f32_e32 v78, s19, v133
	v_cndmask_b32_e64 v80, 0xff7fffff, v80, s6
	v_cndmask_b32_e64 v79, 0xff7fffff, v79, s7
	v_max3_f32 v81, v83, v82, v81
	v_mul_f32_e32 v91, s19, v120
	v_cndmask_b32_e64 v78, 0xff7fffff, v78, s8
	v_cndmask_b32_e64 v77, 0xff7fffff, v77, s9
	v_mul_f32_e32 v89, s19, v122
	v_max3_f32 v79, v81, v80, v79
	v_cndmask_b32_e64 v80, 0xff7fffff, v92, s10
	v_cndmask_b32_e64 v81, 0xff7fffff, v91, s11
	v_cmp_gt_i32_e64 s13, s18, v72
	v_or_b32_e32 v75, 28, v135
	v_max3_f32 v77, v79, v78, v77
	v_or_b32_e32 v76, 30, v135
	v_mul_f32_e32 v87, s19, v124
	v_cndmask_b32_e64 v71, 0xff7fffff, v90, s12
	v_cndmask_b32_e64 v72, 0xff7fffff, v89, s13
	v_max3_f32 v77, v77, v80, v81
	v_cmp_gt_i32_e64 s15, s18, v73
	v_cmp_gt_i32_e64 s16, s18, v74
	v_mul_f32_e32 v85, s19, v126
	v_cmp_gt_i32_e64 s17, s18, v75
	v_max3_f32 v71, v77, v71, v72
	v_cndmask_b32_e64 v73, 0xff7fffff, v88, s15
	v_cndmask_b32_e64 v74, 0xff7fffff, v87, s16
	v_cmp_gt_i32_e64 s18, s18, v76
	v_cndmask_b32_e64 v72, 0xff7fffff, v86, s17
	s_delay_alu instid0(VALU_DEP_3) | instskip(NEXT) | instid1(VALU_DEP_3)
	v_max3_f32 v71, v71, v73, v74
	v_cndmask_b32_e64 v75, 0xff7fffff, v85, s18
	v_lshlrev_b32_e32 v73, 2, v136
	s_delay_alu instid0(VALU_DEP_2) | instskip(SKIP_3) | instid1(VALU_DEP_1)
	v_max3_f32 v71, v71, v72, v75
	ds_bpermute_b32 v72, v73, v71
	s_waitcnt lgkmcnt(0)
	v_max_f32_e32 v72, v72, v72
	v_max_f32_e32 v71, v71, v72
	s_delay_alu instid0(VALU_DEP_1) | instskip(SKIP_2) | instid1(VALU_DEP_3)
	v_fma_f32 v72, s19, v127, -v71
	v_fma_f32 v74, s19, v128, -v71
	;; [unrolled: 1-line block ×3, first 2 shown]
	v_mul_f32_e32 v72, 0x3fb8aa3b, v72
	s_delay_alu instid0(VALU_DEP_2) | instskip(NEXT) | instid1(VALU_DEP_2)
	v_dual_mul_f32 v74, 0x3fb8aa3b, v74 :: v_dual_mul_f32 v75, 0x3fb8aa3b, v75
	v_exp_f32_e32 v72, v72
	s_delay_alu instid0(VALU_DEP_1) | instskip(NEXT) | instid1(VALU_DEP_1)
	v_exp_f32_e32 v74, v74
	v_exp_f32_e32 v75, v75
	s_delay_alu instid0(TRANS32_DEP_3)
	v_cndmask_b32_e32 v79, 0, v72, vcc_lo
	s_waitcnt_depctr 0xfff
	v_cndmask_b32_e64 v78, 0, v74, s3
	v_cndmask_b32_e64 v81, 0, v75, s4
	v_cmp_gt_u32_e64 s3, 16, v70
	v_add_f32_e32 v74, 0, v79
	s_delay_alu instid0(VALU_DEP_1) | instskip(NEXT) | instid1(VALU_DEP_1)
	v_add_f32_e32 v74, v74, v78
	v_add_f32_e32 v74, v74, v81
	v_fma_f32 v76, s19, v130, -v71
	v_fma_f32 v77, s19, v131, -v71
	;; [unrolled: 1-line block ×5, first 2 shown]
	s_delay_alu instid0(VALU_DEP_4) | instskip(NEXT) | instid1(VALU_DEP_4)
	v_dual_mul_f32 v76, 0x3fb8aa3b, v76 :: v_dual_mul_f32 v77, 0x3fb8aa3b, v77
	v_mul_f32_e32 v72, 0x3fb8aa3b, v72
	s_delay_alu instid0(VALU_DEP_4) | instskip(SKIP_1) | instid1(VALU_DEP_4)
	v_mul_f32_e32 v82, 0x3fb8aa3b, v80
	v_fma_f32 v86, s19, v122, -v71
	v_exp_f32_e32 v76, v76
	v_exp_f32_e32 v77, v77
	;; [unrolled: 1-line block ×4, first 2 shown]
	v_mul_f32_e32 v86, 0x3fb8aa3b, v86
	s_delay_alu instid0(VALU_DEP_1)
	v_exp_f32_e32 v88, v86
	v_cndmask_b32_e64 v80, 0, v76, s5
	v_mul_f32_e32 v75, 0x3fb8aa3b, v75
	v_fma_f32 v76, s19, v119, -v71
	v_cndmask_b32_e64 v83, 0, v77, s6
	v_fma_f32 v77, s19, v120, -v71
	v_add_f32_e32 v74, v74, v80
	v_exp_f32_e32 v75, v75
	v_mul_f32_e32 v76, 0x3fb8aa3b, v76
	v_cndmask_b32_e64 v82, 0, v72, s7
	s_delay_alu instid0(VALU_DEP_3) | instskip(SKIP_1) | instid1(VALU_DEP_4)
	v_dual_mul_f32 v77, 0x3fb8aa3b, v77 :: v_dual_add_f32 v72, v74, v83
	v_fma_f32 v74, s19, v121, -v71
	v_exp_f32_e32 v76, v76
	v_cndmask_b32_e64 v85, 0, v84, s8
	s_delay_alu instid0(VALU_DEP_3) | instskip(SKIP_1) | instid1(TRANS32_DEP_3)
	v_exp_f32_e32 v77, v77
	v_cndmask_b32_e64 v88, 0, v88, s13
	v_cndmask_b32_e64 v84, 0, v75, s9
	v_fma_f32 v75, s19, v123, -v71
	v_add_f32_e32 v72, v72, v82
	s_delay_alu instid0(VALU_DEP_2) | instskip(NEXT) | instid1(VALU_DEP_2)
	v_dual_mul_f32 v74, 0x3fb8aa3b, v74 :: v_dual_mul_f32 v75, 0x3fb8aa3b, v75
	v_add_f32_e32 v72, v72, v85
	s_delay_alu instid0(VALU_DEP_2)
	v_exp_f32_e32 v74, v74
	v_cndmask_b32_e64 v87, 0, v76, s10
	v_fma_f32 v76, s19, v124, -v71
	v_cndmask_b32_e64 v86, 0, v77, s11
	v_add_f32_e32 v72, v72, v84
	v_fma_f32 v77, s19, v125, -v71
	v_exp_f32_e32 v75, v75
	v_mul_f32_e32 v76, 0x3fb8aa3b, v76
	s_delay_alu instid0(VALU_DEP_3) | instskip(NEXT) | instid1(TRANS32_DEP_2)
	v_add_f32_e32 v72, v72, v87
	v_cndmask_b32_e64 v89, 0, v74, s12
	v_mul_f32_e32 v74, 0x3fb8aa3b, v77
	s_delay_alu instid0(VALU_DEP_4) | instskip(SKIP_2) | instid1(VALU_DEP_3)
	v_exp_f32_e32 v76, v76
	v_fma_f32 v77, s19, v126, -v71
	v_add_f32_e32 v72, v72, v86
	v_exp_f32_e32 v74, v74
	s_delay_alu instid0(TRANS32_DEP_3) | instskip(NEXT) | instid1(VALU_DEP_3)
	v_cndmask_b32_e64 v91, 0, v75, s15
	v_mul_f32_e32 v75, 0x3fb8aa3b, v77
	s_delay_alu instid0(VALU_DEP_3) | instskip(NEXT) | instid1(TRANS32_DEP_2)
	v_add_f32_e32 v72, v72, v89
	v_cndmask_b32_e64 v90, 0, v76, s16
	s_delay_alu instid0(VALU_DEP_3) | instskip(NEXT) | instid1(VALU_DEP_2)
	v_exp_f32_e32 v75, v75
	v_add_f32_e32 v72, v72, v88
	s_delay_alu instid0(TRANS32_DEP_2) | instskip(NEXT) | instid1(VALU_DEP_2)
	v_cndmask_b32_e64 v93, 0, v74, s17
	v_add_f32_e32 v72, v72, v91
	s_waitcnt_depctr 0xfff
	v_cndmask_b32_e64 v92, 0, v75, s18
	v_add_f32_e32 v72, v72, v90
	s_delay_alu instid0(VALU_DEP_1) | instskip(NEXT) | instid1(VALU_DEP_1)
	v_add_f32_e32 v72, v72, v93
	v_add_f32_e32 v72, v72, v92
	ds_bpermute_b32 v73, v73, v72
	s_and_saveexec_b32 s4, s3
	s_cbranch_execz .LBB914_12
; %bb.11:
	v_mul_u32_u24_e32 v70, 0x44, v69
	s_waitcnt lgkmcnt(0)
	v_add_f32_e32 v72, v72, v73
	s_delay_alu instid0(VALU_DEP_2) | instskip(NEXT) | instid1(VALU_DEP_1)
	v_lshl_add_u32 v70, v68, 2, v70
	v_add_nc_u32_e32 v70, 0x4000, v70
	ds_store_2addr_b32 v70, v71, v72 offset1:136
.LBB914_12:
	s_or_b32 exec_lo, exec_lo, s4
	v_lshlrev_b32_e32 v70, 2, v68
	s_load_b32 s36, s[0:1], 0x94
	s_waitcnt lgkmcnt(0)
	s_barrier
	buffer_gl0_inv
	v_add_nc_u32_e32 v98, 0x4000, v70
	v_cmp_eq_u32_e32 vcc_lo, 1, v69
	v_cmp_eq_u32_e64 s4, 2, v69
	v_cmp_eq_u32_e64 s5, 3, v69
	;; [unrolled: 1-line block ×3, first 2 shown]
	ds_load_2addr_b32 v[70:71], v98 offset1:17
	ds_load_2addr_b32 v[72:73], v98 offset0:34 offset1:51
	ds_load_2addr_b32 v[74:75], v98 offset0:68 offset1:85
	ds_load_2addr_b32 v[94:95], v98 offset0:102 offset1:119
	v_cmp_eq_u32_e64 s7, 5, v69
	v_cmp_eq_u32_e64 s8, 7, v69
	s_waitcnt lgkmcnt(3)
	v_max3_f32 v76, v70, 0xff7fffff, v71
	s_waitcnt lgkmcnt(2)
	s_delay_alu instid0(VALU_DEP_1) | instskip(SKIP_1) | instid1(VALU_DEP_1)
	v_max3_f32 v76, v76, v72, v73
	s_waitcnt lgkmcnt(1)
	v_max3_f32 v76, v76, v74, v75
	s_waitcnt lgkmcnt(0)
	s_delay_alu instid0(VALU_DEP_1) | instskip(NEXT) | instid1(VALU_DEP_1)
	v_max3_f32 v76, v76, v94, v95
	v_sub_f32_e32 v77, v71, v76
	ds_load_2addr_b32 v[96:97], v98 offset0:136 offset1:153
	v_sub_f32_e32 v74, v74, v76
	v_sub_f32_e32 v70, v70, v76
	;; [unrolled: 1-line block ×3, first 2 shown]
	v_dual_sub_f32 v72, v72, v76 :: v_dual_mul_f32 v77, 0x3fb8aa3b, v77
	s_delay_alu instid0(VALU_DEP_4) | instskip(NEXT) | instid1(VALU_DEP_4)
	v_mul_f32_e32 v103, 0x3fb8aa3b, v74
	v_mul_f32_e32 v99, 0x3fb8aa3b, v70
	ds_load_2addr_b32 v[70:71], v98 offset0:170 offset1:187
	v_dual_mul_f32 v101, 0x3fb8aa3b, v72 :: v_dual_mul_f32 v94, 0x3fb8aa3b, v94
	v_exp_f32_e32 v102, v77
	v_exp_f32_e32 v99, v99
	s_delay_alu instid0(VALU_DEP_1) | instskip(NEXT) | instid1(VALU_DEP_1)
	v_exp_f32_e32 v101, v101
	v_exp_f32_e32 v94, v94
	s_waitcnt lgkmcnt(1)
	s_delay_alu instid0(TRANS32_DEP_3)
	v_fma_f32 v77, v99, v96, 0
	v_sub_f32_e32 v100, v73, v76
	ds_load_2addr_b32 v[72:73], v98 offset0:204 offset1:221
	v_fmac_f32_e32 v77, v102, v97
	v_exp_f32_e32 v97, v103
	s_waitcnt lgkmcnt(1)
	s_delay_alu instid0(VALU_DEP_1)
	v_dual_fmac_f32 v77, v101, v70 :: v_dual_sub_f32 v96, v75, v76
	ds_load_2addr_b32 v[74:75], v98 offset0:238 offset1:255
	v_sub_f32_e32 v70, v95, v76
	s_waitcnt lgkmcnt(0)
	s_barrier
	v_mul_f32_e32 v96, 0x3fb8aa3b, v96
	buffer_gl0_inv
	v_exp_f32_e32 v95, v96
	v_mul_f32_e32 v100, 0x3fb8aa3b, v100
	s_delay_alu instid0(VALU_DEP_1) | instskip(SKIP_3) | instid1(VALU_DEP_2)
	v_exp_f32_e32 v100, v100
	s_waitcnt_depctr 0xfff
	v_dual_fmac_f32 v77, v100, v71 :: v_dual_mul_f32 v70, 0x3fb8aa3b, v70
	v_cndmask_b32_e32 v71, v99, v102, vcc_lo
	v_fmac_f32_e32 v77, v97, v72
	s_delay_alu instid0(VALU_DEP_3) | instskip(NEXT) | instid1(VALU_DEP_1)
	v_exp_f32_e32 v96, v70
	v_fmac_f32_e32 v77, v95, v73
	s_delay_alu instid0(VALU_DEP_1) | instskip(SKIP_2) | instid1(VALU_DEP_1)
	v_fmac_f32_e32 v77, v94, v74
	s_waitcnt_depctr 0xfff
	v_fmac_f32_e32 v77, v96, v75
	v_add_f32_e32 v74, 0x358637bd, v77
	s_delay_alu instid0(VALU_DEP_1) | instskip(SKIP_1) | instid1(VALU_DEP_2)
	v_div_scale_f32 v98, null, v74, v74, 1.0
	v_div_scale_f32 v99, vcc_lo, 1.0, v74, 1.0
	v_rcp_f32_e32 v103, v98
	s_waitcnt_depctr 0xfff
	v_fma_f32 v70, -v98, v103, 1.0
	s_delay_alu instid0(VALU_DEP_1) | instskip(SKIP_2) | instid1(VALU_DEP_2)
	v_fmac_f32_e32 v103, v70, v103
	v_cndmask_b32_e64 v70, v71, v101, s4
	v_cmp_eq_u32_e64 s4, 6, v69
	v_cndmask_b32_e64 v71, v70, v100, s5
	s_delay_alu instid0(VALU_DEP_4) | instskip(NEXT) | instid1(VALU_DEP_2)
	v_dual_mul_f32 v101, v99, v103 :: v_dual_lshlrev_b32 v70, 2, v66
	v_cndmask_b32_e64 v71, v71, v97, s6
	s_delay_alu instid0(VALU_DEP_2) | instskip(NEXT) | instid1(VALU_DEP_3)
	v_or_b32_e32 v72, 1, v70
	v_fma_f32 v100, -v98, v101, v99
	v_cmp_eq_u32_e64 s5, 1, v70
	v_cmp_eq_u32_e64 s6, 2, v70
	v_cndmask_b32_e64 v95, v71, v95, s7
	v_or_b32_e32 v71, 3, v70
	v_fmac_f32_e32 v101, v100, v103
	v_cmp_eq_u32_e64 s10, 1, v72
	v_cmp_eq_u32_e64 s13, 2, v72
	v_cndmask_b32_e64 v94, v95, v94, s4
	v_cmp_eq_u32_e64 s12, 1, v71
	v_fma_f32 v97, -v98, v101, v99
	v_cmp_eq_u32_e64 s17, 2, v71
	v_cmp_eq_u32_e64 s15, 3, v72
	v_cndmask_b32_e64 v94, v94, v96, s8
	v_cmp_eq_u32_e64 s19, 3, v71
	v_div_fmas_f32 v95, v97, v103, v101
	v_cmp_eq_u32_e32 vcc_lo, 3, v70
	v_cmp_eq_u32_e64 s4, 4, v70
	v_cmp_eq_u32_e64 s20, 4, v72
	;; [unrolled: 1-line block ×3, first 2 shown]
	v_div_fixup_f32 v95, v95, v74, 1.0
	v_lshlrev_b32_e32 v73, 6, v68
	v_cmp_eq_u32_e64 s7, 5, v70
	v_cmp_eq_u32_e64 s21, 5, v72
	;; [unrolled: 1-line block ×3, first 2 shown]
	v_mul_f32_e32 v102, v94, v95
	v_lshl_or_b32 v75, v69, 11, v73
	v_or_b32_e32 v69, 2, v70
	v_cmp_eq_u32_e64 s26, 6, v72
	v_cmp_eq_u32_e64 s28, 6, v71
	v_fma_mixlo_f16 v94, v102, v79, 0
	v_fma_mixlo_f16 v95, v102, v81, 0
	;; [unrolled: 1-line block ×8, first 2 shown]
	v_lshl_or_b32 v74, v66, 4, v75
	v_fma_mixhi_f16 v94, v102, v78, 0
	v_fma_mixhi_f16 v95, v102, v80, 0
	;; [unrolled: 1-line block ×8, first 2 shown]
	ds_store_b128 v74, v[94:97]
	ds_store_b128 v74, v[98:101] offset:1024
	s_waitcnt lgkmcnt(0)
	s_barrier
	buffer_gl0_inv
	ds_load_b128 v[78:81], v75
	ds_load_b128 v[82:85], v75 offset:16
	ds_load_b128 v[86:89], v75 offset:1024
	;; [unrolled: 1-line block ×3, first 2 shown]
	v_cmp_eq_u32_e64 s11, 1, v69
	v_cmp_eq_u32_e64 s16, 2, v69
	;; [unrolled: 1-line block ×11, first 2 shown]
	s_waitcnt lgkmcnt(3)
	v_lshrrev_b32_e32 v94, 16, v78
	s_waitcnt lgkmcnt(2)
	v_lshrrev_b32_e32 v98, 16, v82
	;; [unrolled: 2-line block ×4, first 2 shown]
	v_lshrrev_b32_e32 v95, 16, v79
	v_cndmask_b32_e64 v110, v78, v94, s5
	v_cndmask_b32_e64 v111, v82, v98, s5
	;; [unrolled: 1-line block ×8, first 2 shown]
	v_lshrrev_b32_e32 v99, 16, v83
	v_cndmask_b32_e64 v94, v86, v102, s5
	v_cndmask_b32_e64 v98, v90, v106, s5
	v_cndmask_b32_e64 v116, v86, v102, s10
	v_cndmask_b32_e64 v117, v90, v106, s10
	v_cndmask_b32_e64 v118, v86, v102, s11
	v_cndmask_b32_e64 v119, v90, v106, s11
	v_cndmask_b32_e64 v86, v86, v102, s12
	v_cndmask_b32_e64 v90, v90, v106, s12
	v_cndmask_b32_e64 v102, v110, v79, s6
	v_cndmask_b32_e64 v106, v111, v83, s6
	v_cndmask_b32_e64 v110, v112, v79, s13
	v_cndmask_b32_e64 v111, v113, v83, s13
	v_cndmask_b32_e64 v112, v114, v79, s16
	v_cndmask_b32_e64 v78, v78, v79, s17
	v_cndmask_b32_e64 v79, v82, v83, s17
	v_lshrrev_b32_e32 v103, 16, v87
	v_lshrrev_b32_e32 v107, 16, v91
	v_cndmask_b32_e64 v113, v115, v83, s16
	v_cndmask_b32_e64 v82, v94, v87, s6
	;; [unrolled: 1-line block ×7, first 2 shown]
	v_cndmask_b32_e32 v90, v102, v95, vcc_lo
	v_cndmask_b32_e32 v102, v106, v99, vcc_lo
	v_cndmask_b32_e64 v106, v110, v95, s15
	v_cndmask_b32_e64 v110, v111, v99, s15
	v_cndmask_b32_e64 v78, v78, v95, s19
	v_cndmask_b32_e64 v79, v79, v99, s19
	v_lshrrev_b32_e32 v96, 16, v80
	v_lshrrev_b32_e32 v100, 16, v84
	v_cndmask_b32_e64 v111, v112, v95, s18
	v_cndmask_b32_e64 v112, v113, v99, s18
	v_cndmask_b32_e32 v82, v82, v103, vcc_lo
	v_cndmask_b32_e32 v83, v83, v107, vcc_lo
	v_cndmask_b32_e64 v94, v94, v103, s15
	v_cndmask_b32_e64 v90, v90, v80, s4
	;; [unrolled: 1-line block ×7, first 2 shown]
	v_lshrrev_b32_e32 v104, 16, v88
	v_cndmask_b32_e64 v106, v111, v80, s22
	v_cndmask_b32_e64 v110, v112, v84, s22
	;; [unrolled: 1-line block ×11, first 2 shown]
	v_lshrrev_b32_e32 v97, 16, v81
	v_lshrrev_b32_e32 v101, 16, v85
	v_cndmask_b32_e64 v99, v106, v96, s24
	v_cndmask_b32_e64 v102, v110, v100, s24
	;; [unrolled: 1-line block ×7, first 2 shown]
	v_lshrrev_b32_e32 v105, 16, v89
	v_cndmask_b32_e64 v80, v80, v104, s7
	v_cndmask_b32_e64 v84, v84, v81, s8
	;; [unrolled: 1-line block ×16, first 2 shown]
	v_perm_b32 v81, v79, v78, 0x5040100
	v_perm_b32 v79, v95, v85, 0x5040100
	v_cndmask_b32_e64 v78, v119, v91, s16
	v_cndmask_b32_e64 v85, v117, v91, s13
	;; [unrolled: 1-line block ×3, first 2 shown]
	v_perm_b32 v80, v94, v90, 0x5040100
	v_cndmask_b32_e64 v90, v98, v103, s18
	v_cndmask_b32_e64 v86, v86, v103, s19
	;; [unrolled: 1-line block ×5, first 2 shown]
	v_lshrrev_b32_e32 v108, 16, v92
	v_cndmask_b32_e64 v90, v90, v88, s22
	v_cndmask_b32_e64 v86, v86, v88, s23
	;; [unrolled: 1-line block ×11, first 2 shown]
	v_lshrrev_b32_e32 v109, 16, v93
	v_cndmask_b32_e64 v82, v82, v93, s8
	v_cndmask_b32_e64 v88, v88, v89, s27
	;; [unrolled: 1-line block ×12, first 2 shown]
	v_perm_b32 v78, v84, v83, 0x5040100
	v_perm_b32 v85, v87, v86, 0x5040100
	;; [unrolled: 1-line block ×5, first 2 shown]
	s_mul_i32 s9, s35, 5
	s_mov_b32 s4, exec_lo
	ds_store_b128 v74, v[78:81]
	ds_store_b128 v74, v[82:85] offset:1024
	v_cmpx_gt_u32_e32 5, v0
	s_cbranch_execz .LBB914_14
; %bb.13:
	s_mul_i32 s5, s9, s34
	s_load_b128 s[16:19], s[0:1], 0x58
	v_add3_u32 v68, s5, s33, v68
	s_delay_alu instid0(VALU_DEP_1) | instskip(NEXT) | instid1(VALU_DEP_1)
	v_mad_u64_u32 v[78:79], null, v68, s36, s[14:15]
	v_ashrrev_i32_e32 v79, 31, v78
	s_delay_alu instid0(VALU_DEP_1) | instskip(SKIP_1) | instid1(VALU_DEP_1)
	v_lshlrev_b64 v[78:79], 2, v[78:79]
	s_waitcnt lgkmcnt(0)
	v_add_co_u32 v80, vcc_lo, s18, v78
	s_delay_alu instid0(VALU_DEP_2)
	v_add_co_ci_u32_e32 v81, vcc_lo, s19, v79, vcc_lo
	v_add_co_u32 v78, vcc_lo, s16, v78
	v_add_co_ci_u32_e32 v79, vcc_lo, s17, v79, vcc_lo
	global_store_b32 v[80:81], v76, off
	global_store_b32 v[78:79], v77, off
.LBB914_14:
	s_or_b32 exec_lo, exec_lo, s4
	s_waitcnt lgkmcnt(0)
	s_waitcnt_vscnt null, 0x0
	s_barrier
	buffer_gl0_inv
	ds_load_b128 v[84:87], v73
	ds_load_b128 v[88:91], v73 offset:16
	ds_load_b128 v[96:99], v73 offset:2064
	;; [unrolled: 1-line block ×5, first 2 shown]
	v_cmp_eq_u32_e32 vcc_lo, 1, v70
	v_mov_b32_e32 v76, 0
	ds_load_b128 v[112:115], v73 offset:6160
	ds_load_b128 v[108:111], v73 offset:6144
	;; [unrolled: 1-line block ×4, first 2 shown]
	v_cmp_eq_u32_e64 s5, 1, v69
	v_cmp_eq_u32_e64 s4, 1, v72
	;; [unrolled: 1-line block ×3, first 2 shown]
	v_mov_b32_e32 v77, v76
	v_mov_b32_e32 v78, v76
	;; [unrolled: 1-line block ×7, first 2 shown]
	v_cmp_eq_u32_e64 s7, 3, v72
	v_cmp_eq_u32_e64 s8, 7, v72
	s_waitcnt lgkmcnt(8)
	s_delay_alu instid0(VALU_DEP_3)
	v_wmma_f32_16x16x16_f16 v[76:83], v[49:56], v[84:91], v[76:83]
	ds_load_b128 v[53:56], v73 offset:10256
	ds_load_b128 v[49:52], v73 offset:10240
	s_waitcnt lgkmcnt(8)
	v_wmma_f32_16x16x16_f16 v[76:83], v[41:48], v[92:99], v[76:83]
	ds_load_b128 v[45:48], v73 offset:12304
	ds_load_b128 v[41:44], v73 offset:12288
	s_waitcnt lgkmcnt(8)
	;; [unrolled: 4-line block ×3, first 2 shown]
	s_barrier
	buffer_gl0_inv
	v_wmma_f32_16x16x16_f16 v[76:83], v[1:8], v[108:115], v[76:83]
	s_delay_alu instid0(VALU_DEP_1) | instskip(NEXT) | instid1(VALU_DEP_1)
	v_wmma_f32_16x16x16_f16 v[76:83], v[9:16], v[116:123], v[76:83]
	v_wmma_f32_16x16x16_f16 v[76:83], v[17:24], v[49:56], v[76:83]
	s_delay_alu instid0(VALU_DEP_1) | instskip(NEXT) | instid1(VALU_DEP_1)
	v_wmma_f32_16x16x16_f16 v[76:83], v[25:32], v[41:48], v[76:83]
	v_wmma_f32_16x16x16_f16 v[76:83], v[57:64], v[33:40], v[76:83]
	s_delay_alu instid0(VALU_DEP_1) | instskip(NEXT) | instid1(VALU_DEP_2)
	v_cvt_f16_f32_e32 v1, v76
	v_cvt_f16_f32_e32 v2, v77
	s_delay_alu instid0(VALU_DEP_3) | instskip(NEXT) | instid1(VALU_DEP_4)
	v_cvt_f16_f32_e32 v3, v78
	v_cvt_f16_f32_e32 v4, v79
	;; [unrolled: 1-line block ×6, first 2 shown]
	v_pack_b32_f16 v1, v1, v2
	v_pack_b32_f16 v2, v3, v4
	;; [unrolled: 1-line block ×3, first 2 shown]
	s_delay_alu instid0(VALU_DEP_4)
	v_pack_b32_f16 v4, v7, v8
	ds_store_b128 v74, v[1:4]
	s_waitcnt lgkmcnt(0)
	s_barrier
	buffer_gl0_inv
	ds_load_b128 v[1:4], v75
	ds_load_b128 v[5:8], v75 offset:16
	s_waitcnt lgkmcnt(1)
	v_lshrrev_b32_e32 v9, 16, v1
	s_waitcnt lgkmcnt(0)
	v_lshrrev_b32_e32 v13, 16, v5
	v_lshrrev_b32_e32 v10, 16, v2
	;; [unrolled: 1-line block ×4, first 2 shown]
	v_cndmask_b32_e32 v17, v1, v9, vcc_lo
	v_cndmask_b32_e32 v18, v5, v13, vcc_lo
	v_cndmask_b32_e64 v21, v1, v9, s5
	v_cmp_eq_u32_e32 vcc_lo, 1, v71
	v_cndmask_b32_e64 v22, v5, v13, s5
	v_cmp_eq_u32_e64 s5, 2, v70
	v_cndmask_b32_e64 v19, v1, v9, s4
	v_cndmask_b32_e64 v20, v5, v13, s4
	v_cndmask_b32_e32 v1, v1, v9, vcc_lo
	v_cmp_eq_u32_e64 s4, 2, v71
	v_cndmask_b32_e32 v5, v5, v13, vcc_lo
	v_cndmask_b32_e64 v9, v17, v2, s5
	v_cmp_eq_u32_e32 vcc_lo, 3, v70
	v_cndmask_b32_e64 v13, v18, v6, s5
	v_cmp_eq_u32_e64 s5, 2, v69
	v_cndmask_b32_e64 v17, v19, v2, s6
	v_cndmask_b32_e64 v18, v20, v6, s6
	v_cmp_eq_u32_e64 s6, 3, v69
	v_cndmask_b32_e64 v1, v1, v2, s4
	v_cndmask_b32_e64 v19, v21, v2, s5
	;; [unrolled: 1-line block ×4, first 2 shown]
	v_cndmask_b32_e32 v5, v9, v10, vcc_lo
	v_cndmask_b32_e32 v6, v13, v14, vcc_lo
	v_cmp_eq_u32_e32 vcc_lo, 3, v71
	v_cndmask_b32_e64 v9, v17, v10, s7
	v_cndmask_b32_e64 v13, v18, v14, s7
	;; [unrolled: 1-line block ×3, first 2 shown]
	v_cmp_eq_u32_e64 s5, 4, v70
	v_cndmask_b32_e32 v1, v1, v10, vcc_lo
	v_cndmask_b32_e32 v2, v2, v14, vcc_lo
	v_cmp_eq_u32_e32 vcc_lo, 4, v72
	v_lshrrev_b32_e32 v15, 16, v7
	v_lshrrev_b32_e32 v16, 16, v8
	v_cndmask_b32_e64 v17, v19, v10, s6
	v_cmp_eq_u32_e64 s4, 4, v71
	v_cndmask_b32_e64 v5, v5, v3, s5
	v_cndmask_b32_e64 v6, v6, v7, s5
	v_cndmask_b32_e32 v9, v9, v3, vcc_lo
	v_cmp_eq_u32_e64 s5, 5, v72
	v_cndmask_b32_e32 v10, v13, v7, vcc_lo
	v_cmp_eq_u32_e32 vcc_lo, 4, v69
	v_cmp_eq_u32_e64 s6, 5, v70
	v_cndmask_b32_e64 v2, v2, v7, s4
	v_cndmask_b32_e64 v9, v9, v11, s5
	;; [unrolled: 1-line block ×3, first 2 shown]
	v_cndmask_b32_e32 v13, v17, v3, vcc_lo
	v_cmp_eq_u32_e64 s5, 5, v69
	v_cndmask_b32_e32 v14, v18, v7, vcc_lo
	v_cndmask_b32_e64 v1, v1, v3, s4
	v_cmp_eq_u32_e32 vcc_lo, 5, v71
	v_lshrrev_b32_e32 v12, 16, v4
	v_cndmask_b32_e64 v13, v13, v11, s5
	v_cndmask_b32_e64 v3, v14, v15, s5
	v_cmp_eq_u32_e64 s5, 6, v71
	v_cndmask_b32_e32 v1, v1, v11, vcc_lo
	v_cndmask_b32_e64 v5, v5, v11, s6
	v_cmp_eq_u32_e64 s7, 6, v70
	v_cndmask_b32_e64 v6, v6, v15, s6
	v_cmp_eq_u32_e64 s6, 6, v72
	v_cmp_eq_u32_e64 s4, 6, v69
	v_cndmask_b32_e64 v1, v1, v4, s5
	v_cndmask_b32_e32 v2, v2, v15, vcc_lo
	v_cmp_eq_u32_e32 vcc_lo, 7, v71
	v_cndmask_b32_e64 v5, v5, v4, s7
	v_cndmask_b32_e64 v9, v9, v4, s6
	;; [unrolled: 1-line block ×3, first 2 shown]
	v_cmp_eq_u32_e64 s7, 7, v70
	v_cndmask_b32_e32 v1, v1, v12, vcc_lo
	v_cndmask_b32_e64 v7, v13, v4, s4
	v_cndmask_b32_e64 v3, v3, v8, s4
	;; [unrolled: 1-line block ×3, first 2 shown]
	v_cmp_eq_u32_e64 s4, 7, v69
	v_cndmask_b32_e64 v4, v10, v8, s6
	v_cndmask_b32_e64 v5, v5, v12, s7
	;; [unrolled: 1-line block ×3, first 2 shown]
	v_cndmask_b32_e32 v2, v2, v16, vcc_lo
	v_cndmask_b32_e64 v7, v7, v12, s4
	v_cndmask_b32_e64 v3, v3, v16, s4
	;; [unrolled: 1-line block ×4, first 2 shown]
	v_cmp_gt_u32_e32 vcc_lo, 32, v0
	v_perm_b32 v4, v2, v1, 0x5040100
	v_perm_b32 v3, v3, v7, 0x5040100
	;; [unrolled: 1-line block ×4, first 2 shown]
	s_and_b32 s2, vcc_lo, s2
	ds_store_b128 v74, v[1:4]
	s_waitcnt lgkmcnt(0)
	s_barrier
	buffer_gl0_inv
	s_and_saveexec_b32 s4, s2
	s_cbranch_execz .LBB914_2
; %bb.15:
	s_load_b64 s[4:5], s[0:1], 0x68
	v_lshlrev_b32_e32 v0, 10, v0
	v_add_nc_u32_e32 v2, s33, v66
	v_lshlrev_b32_e32 v3, 4, v67
	s_lshl_b32 s0, s36, 6
	s_delay_alu instid0(SALU_CYCLE_1) | instskip(NEXT) | instid1(VALU_DEP_2)
	s_mul_i32 s1, s0, s34
	v_mul_lo_u32 v1, v2, s0
	s_delay_alu instid0(VALU_DEP_2) | instskip(SKIP_2) | instid1(SALU_CYCLE_1)
	v_and_or_b32 v0, 0x3800, v0, v3
	v_add_nc_u32_e32 v2, 2, v2
	s_mul_i32 s6, s1, s9
	s_ashr_i32 s7, s6, 31
	s_delay_alu instid0(VALU_DEP_2)
	v_lshl_or_b32 v7, v66, 6, v0
	s_lshl_b64 s[6:7], s[6:7], 1
	v_mul_lo_u32 v11, v2, s0
	v_ashrrev_i32_e32 v2, 31, v1
	ds_load_b128 v[3:6], v7
	ds_load_b128 v[7:10], v7 offset:128
	s_waitcnt lgkmcnt(0)
	s_add_u32 s1, s4, s6
	s_addc_u32 s2, s5, s7
	s_lshl_b32 s4, s14, 6
	v_ashrrev_i32_e32 v12, 31, v11
	s_ashr_i32 s5, s4, 31
	v_lshlrev_b64 v[13:14], 1, v[1:2]
	s_lshl_b64 s[4:5], s[4:5], 1
	s_delay_alu instid0(SALU_CYCLE_1) | instskip(SKIP_2) | instid1(VALU_DEP_1)
	s_add_u32 s1, s1, s4
	s_addc_u32 s2, s2, s5
	v_add_co_u32 v1, s1, s1, v65
	v_add_co_ci_u32_e64 v2, null, s2, 0, s1
	v_lshlrev_b64 v[11:12], 1, v[11:12]
	s_delay_alu instid0(VALU_DEP_3) | instskip(NEXT) | instid1(VALU_DEP_3)
	v_add_co_u32 v13, vcc_lo, v1, v13
	v_add_co_ci_u32_e32 v14, vcc_lo, v2, v14, vcc_lo
	s_delay_alu instid0(VALU_DEP_3) | instskip(NEXT) | instid1(VALU_DEP_4)
	v_add_co_u32 v11, vcc_lo, v1, v11
	v_add_co_ci_u32_e32 v12, vcc_lo, v2, v12, vcc_lo
	s_clause 0x1
	global_store_b128 v[13:14], v[3:6], off
	global_store_b128 v[11:12], v[7:10], off
	s_and_b32 exec_lo, exec_lo, s3
	s_cbranch_execz .LBB914_2
; %bb.16:
	ds_load_b128 v[3:6], v0 offset:256
	s_add_i32 s1, s33, 4
	s_delay_alu instid0(SALU_CYCLE_1) | instskip(NEXT) | instid1(SALU_CYCLE_1)
	s_mul_i32 s0, s1, s0
	s_ashr_i32 s1, s0, 31
	s_delay_alu instid0(SALU_CYCLE_1) | instskip(NEXT) | instid1(SALU_CYCLE_1)
	s_lshl_b64 s[0:1], s[0:1], 1
	v_add_co_u32 v0, vcc_lo, v1, s0
	v_add_co_ci_u32_e32 v1, vcc_lo, s1, v2, vcc_lo
	s_waitcnt lgkmcnt(0)
	global_store_b128 v[0:1], v[3:6], off
	s_nop 0
	s_sendmsg sendmsg(MSG_DEALLOC_VGPRS)
	s_endpgm
	.section	.rodata,"a",@progbits
	.p2align	6, 0x0
	.amdhsa_kernel _Z39paged_attention_ll4mi_QKV_mfma16_kernelIDF16_hLN4vllm18Fp8KVCacheDataTypeE1EDF16_Li32ELi64ELi256ELb0ELi5EL8MFMAType1EEvPKT_PKT0_S8_ifPKiSA_SA_iPKfiiiPfSD_PS3_PT2_iSC_SC_
		.amdhsa_group_segment_fixed_size 17472
		.amdhsa_private_segment_fixed_size 0
		.amdhsa_kernarg_size 400
		.amdhsa_user_sgpr_count 13
		.amdhsa_user_sgpr_dispatch_ptr 0
		.amdhsa_user_sgpr_queue_ptr 0
		.amdhsa_user_sgpr_kernarg_segment_ptr 1
		.amdhsa_user_sgpr_dispatch_id 0
		.amdhsa_user_sgpr_private_segment_size 0
		.amdhsa_wavefront_size32 1
		.amdhsa_uses_dynamic_stack 0
		.amdhsa_enable_private_segment 0
		.amdhsa_system_sgpr_workgroup_id_x 1
		.amdhsa_system_sgpr_workgroup_id_y 1
		.amdhsa_system_sgpr_workgroup_id_z 1
		.amdhsa_system_sgpr_workgroup_info 0
		.amdhsa_system_vgpr_workitem_id 0
		.amdhsa_next_free_vgpr 146
		.amdhsa_next_free_sgpr 37
		.amdhsa_reserve_vcc 1
		.amdhsa_float_round_mode_32 0
		.amdhsa_float_round_mode_16_64 0
		.amdhsa_float_denorm_mode_32 3
		.amdhsa_float_denorm_mode_16_64 3
		.amdhsa_dx10_clamp 1
		.amdhsa_ieee_mode 1
		.amdhsa_fp16_overflow 0
		.amdhsa_workgroup_processor_mode 1
		.amdhsa_memory_ordered 1
		.amdhsa_forward_progress 0
		.amdhsa_shared_vgpr_count 0
		.amdhsa_exception_fp_ieee_invalid_op 0
		.amdhsa_exception_fp_denorm_src 0
		.amdhsa_exception_fp_ieee_div_zero 0
		.amdhsa_exception_fp_ieee_overflow 0
		.amdhsa_exception_fp_ieee_underflow 0
		.amdhsa_exception_fp_ieee_inexact 0
		.amdhsa_exception_int_div_zero 0
	.end_amdhsa_kernel
	.section	.text._Z39paged_attention_ll4mi_QKV_mfma16_kernelIDF16_hLN4vllm18Fp8KVCacheDataTypeE1EDF16_Li32ELi64ELi256ELb0ELi5EL8MFMAType1EEvPKT_PKT0_S8_ifPKiSA_SA_iPKfiiiPfSD_PS3_PT2_iSC_SC_,"axG",@progbits,_Z39paged_attention_ll4mi_QKV_mfma16_kernelIDF16_hLN4vllm18Fp8KVCacheDataTypeE1EDF16_Li32ELi64ELi256ELb0ELi5EL8MFMAType1EEvPKT_PKT0_S8_ifPKiSA_SA_iPKfiiiPfSD_PS3_PT2_iSC_SC_,comdat
.Lfunc_end914:
	.size	_Z39paged_attention_ll4mi_QKV_mfma16_kernelIDF16_hLN4vllm18Fp8KVCacheDataTypeE1EDF16_Li32ELi64ELi256ELb0ELi5EL8MFMAType1EEvPKT_PKT0_S8_ifPKiSA_SA_iPKfiiiPfSD_PS3_PT2_iSC_SC_, .Lfunc_end914-_Z39paged_attention_ll4mi_QKV_mfma16_kernelIDF16_hLN4vllm18Fp8KVCacheDataTypeE1EDF16_Li32ELi64ELi256ELb0ELi5EL8MFMAType1EEvPKT_PKT0_S8_ifPKiSA_SA_iPKfiiiPfSD_PS3_PT2_iSC_SC_
                                        ; -- End function
	.section	.AMDGPU.csdata,"",@progbits
; Kernel info:
; codeLenInByte = 6476
; NumSgprs: 39
; NumVgprs: 146
; ScratchSize: 0
; MemoryBound: 0
; FloatMode: 240
; IeeeMode: 1
; LDSByteSize: 17472 bytes/workgroup (compile time only)
; SGPRBlocks: 4
; VGPRBlocks: 18
; NumSGPRsForWavesPerEU: 39
; NumVGPRsForWavesPerEU: 146
; Occupancy: 9
; WaveLimiterHint : 1
; COMPUTE_PGM_RSRC2:SCRATCH_EN: 0
; COMPUTE_PGM_RSRC2:USER_SGPR: 13
; COMPUTE_PGM_RSRC2:TRAP_HANDLER: 0
; COMPUTE_PGM_RSRC2:TGID_X_EN: 1
; COMPUTE_PGM_RSRC2:TGID_Y_EN: 1
; COMPUTE_PGM_RSRC2:TGID_Z_EN: 1
; COMPUTE_PGM_RSRC2:TIDIG_COMP_CNT: 0
	.section	.text._Z39paged_attention_ll4mi_QKV_mfma16_kernelIDF16_hLN4vllm18Fp8KVCacheDataTypeE1EDF16_Li32ELi64ELi256ELb0ELi6EL8MFMAType1EEvPKT_PKT0_S8_ifPKiSA_SA_iPKfiiiPfSD_PS3_PT2_iSC_SC_,"axG",@progbits,_Z39paged_attention_ll4mi_QKV_mfma16_kernelIDF16_hLN4vllm18Fp8KVCacheDataTypeE1EDF16_Li32ELi64ELi256ELb0ELi6EL8MFMAType1EEvPKT_PKT0_S8_ifPKiSA_SA_iPKfiiiPfSD_PS3_PT2_iSC_SC_,comdat
	.protected	_Z39paged_attention_ll4mi_QKV_mfma16_kernelIDF16_hLN4vllm18Fp8KVCacheDataTypeE1EDF16_Li32ELi64ELi256ELb0ELi6EL8MFMAType1EEvPKT_PKT0_S8_ifPKiSA_SA_iPKfiiiPfSD_PS3_PT2_iSC_SC_ ; -- Begin function _Z39paged_attention_ll4mi_QKV_mfma16_kernelIDF16_hLN4vllm18Fp8KVCacheDataTypeE1EDF16_Li32ELi64ELi256ELb0ELi6EL8MFMAType1EEvPKT_PKT0_S8_ifPKiSA_SA_iPKfiiiPfSD_PS3_PT2_iSC_SC_
	.globl	_Z39paged_attention_ll4mi_QKV_mfma16_kernelIDF16_hLN4vllm18Fp8KVCacheDataTypeE1EDF16_Li32ELi64ELi256ELb0ELi6EL8MFMAType1EEvPKT_PKT0_S8_ifPKiSA_SA_iPKfiiiPfSD_PS3_PT2_iSC_SC_
	.p2align	8
	.type	_Z39paged_attention_ll4mi_QKV_mfma16_kernelIDF16_hLN4vllm18Fp8KVCacheDataTypeE1EDF16_Li32ELi64ELi256ELb0ELi6EL8MFMAType1EEvPKT_PKT0_S8_ifPKiSA_SA_iPKfiiiPfSD_PS3_PT2_iSC_SC_,@function
_Z39paged_attention_ll4mi_QKV_mfma16_kernelIDF16_hLN4vllm18Fp8KVCacheDataTypeE1EDF16_Li32ELi64ELi256ELb0ELi6EL8MFMAType1EEvPKT_PKT0_S8_ifPKiSA_SA_iPKfiiiPfSD_PS3_PT2_iSC_SC_: ; @_Z39paged_attention_ll4mi_QKV_mfma16_kernelIDF16_hLN4vllm18Fp8KVCacheDataTypeE1EDF16_Li32ELi64ELi256ELb0ELi6EL8MFMAType1EEvPKT_PKT0_S8_ifPKiSA_SA_iPKfiiiPfSD_PS3_PT2_iSC_SC_
; %bb.0:
	s_load_b64 s[2:3], s[0:1], 0x30
	s_mov_b32 s34, s13
	s_waitcnt lgkmcnt(0)
	s_cmp_lg_u64 s[2:3], 0
	s_cselect_b32 s6, -1, 0
	s_ashr_i32 s35, s13, 31
	s_cmp_eq_u64 s[2:3], 0
	s_cbranch_scc1 .LBB915_3
; %bb.1:
	s_lshl_b64 s[4:5], s[34:35], 2
	s_delay_alu instid0(SALU_CYCLE_1) | instskip(SKIP_4) | instid1(SALU_CYCLE_1)
	s_add_u32 s4, s2, s4
	s_addc_u32 s5, s3, s5
	s_load_b64 s[4:5], s[4:5], 0x0
	s_waitcnt lgkmcnt(0)
	s_sub_i32 s4, s5, s4
	s_cmp_eq_u32 s4, 1
	s_cselect_b32 s4, -1, 0
	s_delay_alu instid0(SALU_CYCLE_1)
	s_and_not1_b32 vcc_lo, exec_lo, s4
	s_cbranch_vccz .LBB915_4
.LBB915_2:
	s_endpgm
.LBB915_3:
.LBB915_4:
	s_load_b64 s[8:9], s[0:1], 0x28
	s_lshl_b64 s[4:5], s[34:35], 2
	s_waitcnt lgkmcnt(0)
	s_add_u32 s8, s8, s4
	s_addc_u32 s9, s9, s5
	s_lshl_b32 s16, s14, 8
	s_load_b32 s18, s[8:9], 0x0
	s_waitcnt lgkmcnt(0)
	s_cmp_ge_i32 s16, s18
	s_cbranch_scc1 .LBB915_2
; %bb.5:
	s_clause 0x1
	s_load_b128 s[8:11], s[0:1], 0x8
	s_load_b64 s[12:13], s[0:1], 0x20
	s_and_not1_b32 vcc_lo, exec_lo, s6
	s_cbranch_vccnz .LBB915_7
; %bb.6:
	s_add_u32 s2, s2, s4
	s_addc_u32 s3, s3, s5
	s_load_b32 s3, s[2:3], 0x0
	s_branch .LBB915_8
.LBB915_7:
	s_mov_b32 s3, s34
.LBB915_8:
	s_load_b128 s[4:7], s[0:1], 0x48
	v_and_b32_e32 v68, 15, v0
	v_cmp_gt_u32_e32 vcc_lo, 0x60, v0
	v_lshrrev_b32_e32 v69, 5, v0
	v_and_b32_e32 v70, 31, v0
	v_and_b32_e32 v67, 1, v0
	v_lshlrev_b32_e32 v1, 3, v68
	v_cmp_gt_u32_e64 s2, 8, v68
	v_bfe_u32 v66, v0, 4, 1
	s_mul_i32 s31, s15, 6
	s_delay_alu instid0(VALU_DEP_3) | instskip(NEXT) | instid1(VALU_DEP_3)
	v_lshlrev_b32_e32 v65, 1, v1
	s_and_b32 s17, vcc_lo, s2
	s_waitcnt lgkmcnt(0)
	s_and_saveexec_b32 s7, s17
	s_cbranch_execz .LBB915_10
; %bb.9:
	s_load_b64 s[20:21], s[0:1], 0x0
	v_lshl_or_b32 v5, v69, 1, v66
	s_mul_hi_i32 s23, s3, s4
	s_mul_i32 s22, s3, s4
	v_lshlrev_b32_e32 v6, 10, v68
	s_lshl_b64 s[22:23], s[22:23], 1
	v_add_lshl_u32 v1, v5, s31, 6
	v_lshlrev_b32_e32 v5, 6, v5
	v_lshlrev_b32_e32 v7, 10, v67
	v_and_b32_e32 v6, 0x3800, v6
	s_delay_alu instid0(VALU_DEP_4) | instskip(NEXT) | instid1(VALU_DEP_2)
	v_ashrrev_i32_e32 v2, 31, v1
	v_or3_b32 v5, v6, v7, v5
	s_delay_alu instid0(VALU_DEP_2) | instskip(SKIP_3) | instid1(VALU_DEP_1)
	v_lshlrev_b64 v[1:2], 1, v[1:2]
	s_waitcnt lgkmcnt(0)
	s_add_u32 s3, s20, s22
	s_addc_u32 s4, s21, s23
	v_add_co_u32 v1, vcc_lo, s3, v1
	s_delay_alu instid0(VALU_DEP_2) | instskip(NEXT) | instid1(VALU_DEP_2)
	v_add_co_ci_u32_e32 v2, vcc_lo, s4, v2, vcc_lo
	v_add_co_u32 v1, vcc_lo, v1, v65
	s_delay_alu instid0(VALU_DEP_2)
	v_add_co_ci_u32_e32 v2, vcc_lo, 0, v2, vcc_lo
	global_load_b128 v[1:4], v[1:2], off
	s_waitcnt vmcnt(0)
	ds_store_b128 v5, v[1:4]
.LBB915_10:
	s_or_b32 exec_lo, exec_lo, s7
	v_and_b32_e32 v1, 0xef, v0
	s_add_i32 s3, s18, 31
	s_clause 0x1
	s_load_b32 s4, s[0:1], 0x38
	s_load_b32 s33, s[0:1], 0x98
	s_ashr_i32 s7, s3, 31
	v_add_nc_u32_e32 v1, s16, v1
	s_lshr_b32 s7, s7, 27
	s_load_b32 s19, s[0:1], 0x1c
	s_add_i32 s3, s3, s7
	s_waitcnt lgkmcnt(0)
	v_ashrrev_i32_e32 v2, 31, v1
	v_or_b32_e32 v3, 16, v1
	s_ashr_i32 s3, s3, 5
	v_cmp_gt_i32_e32 vcc_lo, s18, v1
	s_add_i32 s3, s3, -1
	v_lshrrev_b32_e32 v2, 27, v2
	s_barrier
	buffer_gl0_inv
	s_mul_i32 s15, s15, s6
	v_mul_lo_u16 v103, v68, 43
	v_add_nc_u32_e32 v4, v1, v2
	v_mbcnt_lo_u32_b32 v127, -1, 0
	s_mul_i32 s20, s34, s4
	s_delay_alu instid0(SALU_CYCLE_1) | instskip(NEXT) | instid1(VALU_DEP_2)
	s_ashr_i32 s21, s20, 31
	v_ashrrev_i32_e32 v4, 5, v4
	v_add_nc_u32_e32 v2, v3, v2
	s_lshl_b64 s[20:21], s[20:21], 2
	v_lshrrev_b16 v103, 8, v103
	s_add_u32 s17, s12, s20
	v_cndmask_b32_e32 v1, s3, v4, vcc_lo
	v_ashrrev_i32_e32 v2, 5, v2
	v_cmp_gt_i32_e32 vcc_lo, s18, v3
	s_addc_u32 s13, s13, s21
	s_ashr_i32 s20, s15, 31
	s_add_u32 s22, s8, s15
	s_addc_u32 s23, s9, s20
	v_cndmask_b32_e32 v3, s3, v2, vcc_lo
	v_ashrrev_i32_e32 v2, 31, v1
	s_lshl_b32 s6, s14, 3
	v_mul_lo_u16 v103, v103, 6
	s_ashr_i32 s7, s6, 31
	v_ashrrev_i32_e32 v4, 31, v3
	v_lshlrev_b64 v[1:2], 2, v[1:2]
	s_lshl_b64 s[6:7], s[6:7], 2
	v_sub_nc_u16 v103, v68, v103
	s_add_u32 s6, s17, s6
	v_lshlrev_b64 v[3:4], 2, v[3:4]
	s_addc_u32 s7, s13, s7
	v_add_co_u32 v1, vcc_lo, s17, v1
	v_add_co_ci_u32_e32 v2, vcc_lo, s13, v2, vcc_lo
	s_delay_alu instid0(VALU_DEP_3) | instskip(NEXT) | instid1(VALU_DEP_4)
	v_add_co_u32 v3, vcc_lo, s17, v3
	v_add_co_ci_u32_e32 v4, vcc_lo, s13, v4, vcc_lo
	s_clause 0x1
	global_load_b32 v5, v[1:2], off
	global_load_b32 v6, v[3:4], off
	s_or_b32 s4, s16, 32
	v_xor_b32_e32 v128, 16, v127
	s_ashr_i32 s8, s4, 5
	s_cmp_lt_i32 s4, s18
	s_cselect_b32 s8, s8, s3
	s_delay_alu instid0(SALU_CYCLE_1) | instskip(NEXT) | instid1(SALU_CYCLE_1)
	s_ashr_i32 s9, s8, 31
	s_lshl_b64 s[8:9], s[8:9], 2
	s_delay_alu instid0(SALU_CYCLE_1) | instskip(SKIP_2) | instid1(SALU_CYCLE_1)
	s_add_u32 s8, s17, s8
	s_addc_u32 s9, s13, s9
	s_or_b32 s4, s16, 64
	s_ashr_i32 s12, s4, 5
	s_cmp_lt_i32 s4, s18
	s_cselect_b32 s24, s12, s3
	s_delay_alu instid0(SALU_CYCLE_1) | instskip(NEXT) | instid1(SALU_CYCLE_1)
	s_ashr_i32 s25, s24, 31
	s_lshl_b64 s[24:25], s[24:25], 2
	s_delay_alu instid0(SALU_CYCLE_1) | instskip(SKIP_2) | instid1(SALU_CYCLE_1)
	s_add_u32 s24, s17, s24
	s_addc_u32 s25, s13, s25
	s_or_b32 s4, s16, 0x60
	;; [unrolled: 10-line block ×4, first 2 shown]
	s_ashr_i32 s12, s4, 5
	s_cmp_lt_i32 s4, s18
	s_cselect_b32 s36, s12, s3
	s_delay_alu instid0(SALU_CYCLE_1) | instskip(NEXT) | instid1(SALU_CYCLE_1)
	s_ashr_i32 s37, s36, 31
	s_lshl_b64 s[36:37], s[36:37], 2
	s_delay_alu instid0(SALU_CYCLE_1)
	s_add_u32 s36, s17, s36
	s_addc_u32 s37, s13, s37
	s_clause 0x5
	s_load_b32 s12, s[6:7], 0x0
	s_load_b32 s4, s[8:9], 0x0
	s_load_b32 s6, s[24:25], 0x0
	s_load_b32 s7, s[26:27], 0x0
	s_load_b32 s8, s[28:29], 0x0
	s_load_b32 s9, s[36:37], 0x0
	s_or_b32 s21, s16, 0xc0
	s_waitcnt vmcnt(1)
	v_mad_i64_i32 v[1:2], null, v5, s5, s[22:23]
	v_lshlrev_b32_e32 v5, 4, v68
	s_waitcnt vmcnt(0)
	v_mad_i64_i32 v[3:4], null, v6, s5, s[22:23]
	s_ashr_i32 s22, s21, 5
	s_cmp_lt_i32 s21, s18
	s_delay_alu instid0(VALU_DEP_3) | instskip(NEXT) | instid1(VALU_DEP_4)
	v_add_co_u32 v1, vcc_lo, v1, v5
	v_add_co_ci_u32_e32 v2, vcc_lo, 0, v2, vcc_lo
	s_delay_alu instid0(VALU_DEP_3) | instskip(NEXT) | instid1(VALU_DEP_4)
	v_add_co_u32 v3, vcc_lo, v3, v5
	v_add_co_ci_u32_e32 v4, vcc_lo, 0, v4, vcc_lo
	s_clause 0x7
	global_load_b128 v[71:74], v[1:2], off
	global_load_b128 v[75:78], v[1:2], off offset:512
	global_load_b128 v[79:82], v[3:4], off offset:256
	;; [unrolled: 1-line block ×7, first 2 shown]
	s_cselect_b32 s22, s22, s3
	v_lshlrev_b32_e32 v1, 5, v68
	s_ashr_i32 s23, s22, 31
	v_cmp_gt_i32_e32 vcc_lo, 32, v128
	s_lshl_b64 s[22:23], s[22:23], 2
	v_and_b32_e32 v103, 0xff, v103
	s_add_u32 s22, s17, s22
	s_addc_u32 s23, s13, s23
	v_cndmask_b32_e32 v136, v127, v128, vcc_lo
	s_or_b32 s21, s16, 0xe0
	v_lshl_or_b32 v1, v69, 9, v1
	s_ashr_i32 s24, s21, 5
	s_cmp_lt_i32 s21, s18
	v_lshlrev_b32_e32 v115, 6, v103
	s_cselect_b32 s24, s24, s3
	s_load_b32 s3, s[22:23], 0x0
	s_ashr_i32 s25, s24, 31
	s_delay_alu instid0(SALU_CYCLE_1) | instskip(NEXT) | instid1(SALU_CYCLE_1)
	s_lshl_b64 s[24:25], s[24:25], 2
	s_add_u32 s22, s17, s24
	s_addc_u32 s23, s13, s25
	s_add_u32 s10, s10, s15
	s_addc_u32 s11, s11, s20
	v_add_co_u32 v1, s10, s10, v1
	s_delay_alu instid0(VALU_DEP_1) | instskip(SKIP_2) | instid1(VALU_DEP_1)
	v_add_co_ci_u32_e64 v2, null, s11, 0, s10
	s_load_b32 s10, s[22:23], 0x0
	s_waitcnt lgkmcnt(0)
	v_mad_i64_i32 v[3:4], null, s12, s5, v[1:2]
	v_mad_i64_i32 v[9:10], null, s7, s5, v[1:2]
	;; [unrolled: 1-line block ×7, first 2 shown]
	s_clause 0x5
	global_load_b128 v[49:52], v[3:4], off
	global_load_b128 v[53:56], v[3:4], off offset:16
	global_load_b128 v[41:44], v[5:6], off
	global_load_b128 v[45:48], v[5:6], off offset:16
	;; [unrolled: 2-line block ×3, first 2 shown]
	s_mov_b32 s4, 0
	v_mad_i64_i32 v[61:62], null, s10, s5, v[1:2]
	s_clause 0x9
	global_load_b128 v[1:4], v[9:10], off
	global_load_b128 v[5:8], v[9:10], off offset:16
	global_load_b128 v[9:12], v[13:14], off
	global_load_b128 v[13:16], v[13:14], off offset:16
	;; [unrolled: 2-line block ×5, first 2 shown]
	s_mov_b32 s5, s4
	s_mov_b32 s6, s4
	;; [unrolled: 1-line block ×7, first 2 shown]
	v_and_b32_e32 v104, 0xe0, v0
	v_dual_mov_b32 v126, s11 :: v_dual_mov_b32 v123, s8
	v_dual_mov_b32 v125, s10 :: v_dual_mov_b32 v124, s9
	s_delay_alu instid0(VALU_DEP_3)
	v_add_nc_u32_e32 v111, s16, v104
	ds_load_b128 v[103:106], v115
	ds_load_b128 v[107:110], v115 offset:1024
	v_dual_mov_b32 v122, s7 :: v_dual_mov_b32 v121, s6
	v_mov_b32_e32 v120, s5
	v_or_b32_e32 v135, v111, v66
	ds_load_b128 v[111:114], v115 offset:2048
	ds_load_b128 v[115:118], v115 offset:3072
	v_mov_b32_e32 v119, s4
	s_waitcnt vmcnt(0) lgkmcnt(0)
	s_barrier
	v_or_b32_e32 v137, 2, v135
	v_or_b32_e32 v138, 4, v135
	;; [unrolled: 1-line block ×3, first 2 shown]
	v_cmp_gt_i32_e32 vcc_lo, s18, v135
	v_or_b32_e32 v140, 8, v135
	v_cmp_gt_i32_e64 s3, s18, v137
	v_or_b32_e32 v141, 10, v135
	v_cmp_gt_i32_e64 s4, s18, v138
	v_cmp_gt_i32_e64 s5, s18, v139
	v_or_b32_e32 v142, 12, v135
	v_or_b32_e32 v143, 14, v135
	v_cmp_gt_i32_e64 s6, s18, v140
	v_cmp_gt_i32_e64 s7, s18, v141
	v_or_b32_e32 v144, 16, v135
	v_or_b32_e32 v145, 18, v135
	v_cmp_gt_i32_e64 s8, s18, v142
	v_cmp_gt_i32_e64 s9, s18, v143
	buffer_gl0_inv
	v_cmp_gt_i32_e64 s10, s18, v144
	v_cmp_gt_i32_e64 s11, s18, v145
	v_wmma_f32_16x16x16_f16 v[127:134], v[71:78], v[103:110], v[119:126]
	v_wmma_f32_16x16x16_f16 v[119:126], v[79:86], v[103:110], v[119:126]
	v_or_b32_e32 v71, 20, v135
	v_or_b32_e32 v72, 22, v135
	s_delay_alu instid0(VALU_DEP_4)
	v_wmma_f32_16x16x16_f16 v[127:134], v[87:94], v[111:118], v[127:134]
	v_or_b32_e32 v73, 24, v135
	v_wmma_f32_16x16x16_f16 v[119:126], v[95:102], v[111:118], v[119:126]
	v_or_b32_e32 v74, 26, v135
	v_cmp_gt_i32_e64 s12, s18, v71
	v_dual_mul_f32 v84, s19, v127 :: v_dual_mul_f32 v83, s19, v128
	s_delay_alu instid0(VALU_DEP_4) | instskip(SKIP_2) | instid1(VALU_DEP_4)
	v_dual_mul_f32 v92, s19, v119 :: v_dual_mul_f32 v81, s19, v130
	v_mul_f32_e32 v90, s19, v121
	v_mul_f32_e32 v82, s19, v129
	v_cndmask_b32_e32 v84, 0xff7fffff, v84, vcc_lo
	v_cndmask_b32_e64 v83, 0xff7fffff, v83, s3
	v_dual_mul_f32 v79, s19, v132 :: v_dual_mul_f32 v88, s19, v123
	v_mul_f32_e32 v80, s19, v131
	v_cndmask_b32_e64 v82, 0xff7fffff, v82, s4
	v_cndmask_b32_e64 v81, 0xff7fffff, v81, s5
	v_max3_f32 v83, v84, 0xff7fffff, v83
	v_dual_mul_f32 v77, s19, v134 :: v_dual_mul_f32 v86, s19, v125
	v_mul_f32_e32 v78, s19, v133
	v_cndmask_b32_e64 v80, 0xff7fffff, v80, s6
	v_cndmask_b32_e64 v79, 0xff7fffff, v79, s7
	v_max3_f32 v81, v83, v82, v81
	v_mul_f32_e32 v91, s19, v120
	v_cndmask_b32_e64 v78, 0xff7fffff, v78, s8
	v_cndmask_b32_e64 v77, 0xff7fffff, v77, s9
	v_mul_f32_e32 v89, s19, v122
	v_max3_f32 v79, v81, v80, v79
	v_cndmask_b32_e64 v80, 0xff7fffff, v92, s10
	v_cndmask_b32_e64 v81, 0xff7fffff, v91, s11
	v_cmp_gt_i32_e64 s13, s18, v72
	v_or_b32_e32 v75, 28, v135
	v_max3_f32 v77, v79, v78, v77
	v_or_b32_e32 v76, 30, v135
	v_mul_f32_e32 v87, s19, v124
	v_cndmask_b32_e64 v71, 0xff7fffff, v90, s12
	v_cndmask_b32_e64 v72, 0xff7fffff, v89, s13
	v_max3_f32 v77, v77, v80, v81
	v_cmp_gt_i32_e64 s15, s18, v73
	v_cmp_gt_i32_e64 s16, s18, v74
	v_mul_f32_e32 v85, s19, v126
	v_cmp_gt_i32_e64 s17, s18, v75
	v_max3_f32 v71, v77, v71, v72
	v_cndmask_b32_e64 v73, 0xff7fffff, v88, s15
	v_cndmask_b32_e64 v74, 0xff7fffff, v87, s16
	v_cmp_gt_i32_e64 s18, s18, v76
	v_cndmask_b32_e64 v72, 0xff7fffff, v86, s17
	s_delay_alu instid0(VALU_DEP_3) | instskip(NEXT) | instid1(VALU_DEP_3)
	v_max3_f32 v71, v71, v73, v74
	v_cndmask_b32_e64 v75, 0xff7fffff, v85, s18
	v_lshlrev_b32_e32 v73, 2, v136
	s_delay_alu instid0(VALU_DEP_2) | instskip(SKIP_3) | instid1(VALU_DEP_1)
	v_max3_f32 v71, v71, v72, v75
	ds_bpermute_b32 v72, v73, v71
	s_waitcnt lgkmcnt(0)
	v_max_f32_e32 v72, v72, v72
	v_max_f32_e32 v71, v71, v72
	s_delay_alu instid0(VALU_DEP_1) | instskip(SKIP_2) | instid1(VALU_DEP_3)
	v_fma_f32 v72, s19, v127, -v71
	v_fma_f32 v74, s19, v128, -v71
	;; [unrolled: 1-line block ×3, first 2 shown]
	v_mul_f32_e32 v72, 0x3fb8aa3b, v72
	s_delay_alu instid0(VALU_DEP_2) | instskip(NEXT) | instid1(VALU_DEP_2)
	v_dual_mul_f32 v74, 0x3fb8aa3b, v74 :: v_dual_mul_f32 v75, 0x3fb8aa3b, v75
	v_exp_f32_e32 v72, v72
	s_delay_alu instid0(VALU_DEP_1) | instskip(NEXT) | instid1(VALU_DEP_1)
	v_exp_f32_e32 v74, v74
	v_exp_f32_e32 v75, v75
	s_delay_alu instid0(TRANS32_DEP_3)
	v_cndmask_b32_e32 v79, 0, v72, vcc_lo
	s_waitcnt_depctr 0xfff
	v_cndmask_b32_e64 v78, 0, v74, s3
	v_cndmask_b32_e64 v81, 0, v75, s4
	s_mov_b32 s3, exec_lo
	v_add_f32_e32 v74, 0, v79
	s_delay_alu instid0(VALU_DEP_1) | instskip(NEXT) | instid1(VALU_DEP_1)
	v_add_f32_e32 v74, v74, v78
	v_add_f32_e32 v74, v74, v81
	v_fma_f32 v76, s19, v130, -v71
	v_fma_f32 v77, s19, v131, -v71
	;; [unrolled: 1-line block ×5, first 2 shown]
	s_delay_alu instid0(VALU_DEP_4) | instskip(NEXT) | instid1(VALU_DEP_4)
	v_dual_mul_f32 v76, 0x3fb8aa3b, v76 :: v_dual_mul_f32 v77, 0x3fb8aa3b, v77
	v_mul_f32_e32 v72, 0x3fb8aa3b, v72
	s_delay_alu instid0(VALU_DEP_4) | instskip(SKIP_1) | instid1(VALU_DEP_4)
	v_mul_f32_e32 v82, 0x3fb8aa3b, v80
	v_fma_f32 v86, s19, v122, -v71
	v_exp_f32_e32 v76, v76
	v_exp_f32_e32 v77, v77
	;; [unrolled: 1-line block ×4, first 2 shown]
	v_mul_f32_e32 v86, 0x3fb8aa3b, v86
	s_delay_alu instid0(VALU_DEP_1)
	v_exp_f32_e32 v88, v86
	v_cndmask_b32_e64 v80, 0, v76, s5
	v_mul_f32_e32 v75, 0x3fb8aa3b, v75
	v_fma_f32 v76, s19, v119, -v71
	v_cndmask_b32_e64 v83, 0, v77, s6
	v_fma_f32 v77, s19, v120, -v71
	v_add_f32_e32 v74, v74, v80
	v_exp_f32_e32 v75, v75
	v_mul_f32_e32 v76, 0x3fb8aa3b, v76
	v_cndmask_b32_e64 v82, 0, v72, s7
	s_delay_alu instid0(VALU_DEP_3) | instskip(SKIP_1) | instid1(VALU_DEP_4)
	v_dual_mul_f32 v77, 0x3fb8aa3b, v77 :: v_dual_add_f32 v72, v74, v83
	v_fma_f32 v74, s19, v121, -v71
	v_exp_f32_e32 v76, v76
	v_cndmask_b32_e64 v85, 0, v84, s8
	s_delay_alu instid0(VALU_DEP_3) | instskip(SKIP_1) | instid1(TRANS32_DEP_3)
	v_exp_f32_e32 v77, v77
	v_cndmask_b32_e64 v88, 0, v88, s13
	v_cndmask_b32_e64 v84, 0, v75, s9
	v_fma_f32 v75, s19, v123, -v71
	v_add_f32_e32 v72, v72, v82
	s_delay_alu instid0(VALU_DEP_2) | instskip(NEXT) | instid1(VALU_DEP_2)
	v_dual_mul_f32 v74, 0x3fb8aa3b, v74 :: v_dual_mul_f32 v75, 0x3fb8aa3b, v75
	v_add_f32_e32 v72, v72, v85
	s_delay_alu instid0(VALU_DEP_2)
	v_exp_f32_e32 v74, v74
	v_cndmask_b32_e64 v87, 0, v76, s10
	v_fma_f32 v76, s19, v124, -v71
	v_cndmask_b32_e64 v86, 0, v77, s11
	v_add_f32_e32 v72, v72, v84
	v_fma_f32 v77, s19, v125, -v71
	v_exp_f32_e32 v75, v75
	v_mul_f32_e32 v76, 0x3fb8aa3b, v76
	s_delay_alu instid0(VALU_DEP_3) | instskip(NEXT) | instid1(TRANS32_DEP_2)
	v_add_f32_e32 v72, v72, v87
	v_cndmask_b32_e64 v89, 0, v74, s12
	v_mul_f32_e32 v74, 0x3fb8aa3b, v77
	s_delay_alu instid0(VALU_DEP_4) | instskip(SKIP_2) | instid1(VALU_DEP_3)
	v_exp_f32_e32 v76, v76
	v_fma_f32 v77, s19, v126, -v71
	v_add_f32_e32 v72, v72, v86
	v_exp_f32_e32 v74, v74
	s_delay_alu instid0(TRANS32_DEP_3) | instskip(NEXT) | instid1(VALU_DEP_3)
	v_cndmask_b32_e64 v91, 0, v75, s15
	v_mul_f32_e32 v75, 0x3fb8aa3b, v77
	s_delay_alu instid0(VALU_DEP_3) | instskip(NEXT) | instid1(TRANS32_DEP_2)
	v_add_f32_e32 v72, v72, v89
	v_cndmask_b32_e64 v90, 0, v76, s16
	s_delay_alu instid0(VALU_DEP_3) | instskip(NEXT) | instid1(VALU_DEP_2)
	v_exp_f32_e32 v75, v75
	v_add_f32_e32 v72, v72, v88
	s_delay_alu instid0(TRANS32_DEP_2) | instskip(NEXT) | instid1(VALU_DEP_2)
	v_cndmask_b32_e64 v93, 0, v74, s17
	v_add_f32_e32 v72, v72, v91
	s_waitcnt_depctr 0xfff
	v_cndmask_b32_e64 v92, 0, v75, s18
	v_add_f32_e32 v72, v72, v90
	s_delay_alu instid0(VALU_DEP_1) | instskip(NEXT) | instid1(VALU_DEP_1)
	v_add_f32_e32 v72, v72, v93
	v_add_f32_e32 v72, v72, v92
	ds_bpermute_b32 v73, v73, v72
	v_cmpx_gt_u32_e32 16, v70
	s_cbranch_execz .LBB915_12
; %bb.11:
	v_mul_u32_u24_e32 v70, 0x44, v69
	s_waitcnt lgkmcnt(0)
	v_add_f32_e32 v72, v72, v73
	s_delay_alu instid0(VALU_DEP_2) | instskip(NEXT) | instid1(VALU_DEP_1)
	v_lshl_add_u32 v70, v68, 2, v70
	v_add_nc_u32_e32 v70, 0x4000, v70
	ds_store_2addr_b32 v70, v71, v72 offset1:136
.LBB915_12:
	s_or_b32 exec_lo, exec_lo, s3
	v_lshlrev_b32_e32 v70, 2, v68
	s_load_b32 s35, s[0:1], 0x94
	s_waitcnt lgkmcnt(0)
	s_barrier
	buffer_gl0_inv
	v_add_nc_u32_e32 v98, 0x4000, v70
	v_cmp_eq_u32_e32 vcc_lo, 1, v69
	v_cmp_eq_u32_e64 s3, 2, v69
	v_cmp_eq_u32_e64 s4, 3, v69
	;; [unrolled: 1-line block ×3, first 2 shown]
	ds_load_2addr_b32 v[70:71], v98 offset1:17
	ds_load_2addr_b32 v[72:73], v98 offset0:34 offset1:51
	ds_load_2addr_b32 v[74:75], v98 offset0:68 offset1:85
	;; [unrolled: 1-line block ×3, first 2 shown]
	v_cmp_eq_u32_e64 s6, 5, v69
	v_cmp_eq_u32_e64 s7, 7, v69
	s_waitcnt lgkmcnt(3)
	v_max3_f32 v76, v70, 0xff7fffff, v71
	s_waitcnt lgkmcnt(2)
	s_delay_alu instid0(VALU_DEP_1) | instskip(SKIP_1) | instid1(VALU_DEP_1)
	v_max3_f32 v76, v76, v72, v73
	s_waitcnt lgkmcnt(1)
	v_max3_f32 v76, v76, v74, v75
	s_waitcnt lgkmcnt(0)
	s_delay_alu instid0(VALU_DEP_1) | instskip(NEXT) | instid1(VALU_DEP_1)
	v_max3_f32 v76, v76, v94, v95
	v_sub_f32_e32 v77, v71, v76
	ds_load_2addr_b32 v[96:97], v98 offset0:136 offset1:153
	v_sub_f32_e32 v74, v74, v76
	v_sub_f32_e32 v70, v70, v76
	;; [unrolled: 1-line block ×3, first 2 shown]
	v_dual_sub_f32 v72, v72, v76 :: v_dual_mul_f32 v77, 0x3fb8aa3b, v77
	s_delay_alu instid0(VALU_DEP_4) | instskip(NEXT) | instid1(VALU_DEP_4)
	v_mul_f32_e32 v103, 0x3fb8aa3b, v74
	v_mul_f32_e32 v99, 0x3fb8aa3b, v70
	ds_load_2addr_b32 v[70:71], v98 offset0:170 offset1:187
	v_dual_mul_f32 v101, 0x3fb8aa3b, v72 :: v_dual_mul_f32 v94, 0x3fb8aa3b, v94
	v_exp_f32_e32 v102, v77
	v_exp_f32_e32 v99, v99
	s_delay_alu instid0(VALU_DEP_1) | instskip(NEXT) | instid1(VALU_DEP_1)
	v_exp_f32_e32 v101, v101
	v_exp_f32_e32 v94, v94
	s_waitcnt lgkmcnt(1)
	s_delay_alu instid0(TRANS32_DEP_3)
	v_fma_f32 v77, v99, v96, 0
	v_sub_f32_e32 v100, v73, v76
	ds_load_2addr_b32 v[72:73], v98 offset0:204 offset1:221
	v_fmac_f32_e32 v77, v102, v97
	v_exp_f32_e32 v97, v103
	s_waitcnt lgkmcnt(1)
	s_delay_alu instid0(VALU_DEP_1)
	v_dual_fmac_f32 v77, v101, v70 :: v_dual_sub_f32 v96, v75, v76
	ds_load_2addr_b32 v[74:75], v98 offset0:238 offset1:255
	v_sub_f32_e32 v70, v95, v76
	s_waitcnt lgkmcnt(0)
	s_barrier
	v_mul_f32_e32 v96, 0x3fb8aa3b, v96
	buffer_gl0_inv
	v_exp_f32_e32 v95, v96
	v_mul_f32_e32 v100, 0x3fb8aa3b, v100
	s_delay_alu instid0(VALU_DEP_1) | instskip(SKIP_3) | instid1(VALU_DEP_2)
	v_exp_f32_e32 v100, v100
	s_waitcnt_depctr 0xfff
	v_dual_fmac_f32 v77, v100, v71 :: v_dual_mul_f32 v70, 0x3fb8aa3b, v70
	v_cndmask_b32_e32 v71, v99, v102, vcc_lo
	v_fmac_f32_e32 v77, v97, v72
	s_delay_alu instid0(VALU_DEP_3) | instskip(NEXT) | instid1(VALU_DEP_1)
	v_exp_f32_e32 v96, v70
	v_fmac_f32_e32 v77, v95, v73
	s_delay_alu instid0(VALU_DEP_1) | instskip(SKIP_2) | instid1(VALU_DEP_1)
	v_fmac_f32_e32 v77, v94, v74
	s_waitcnt_depctr 0xfff
	v_fmac_f32_e32 v77, v96, v75
	v_add_f32_e32 v74, 0x358637bd, v77
	s_delay_alu instid0(VALU_DEP_1) | instskip(SKIP_1) | instid1(VALU_DEP_2)
	v_div_scale_f32 v98, null, v74, v74, 1.0
	v_div_scale_f32 v99, vcc_lo, 1.0, v74, 1.0
	v_rcp_f32_e32 v103, v98
	s_waitcnt_depctr 0xfff
	v_fma_f32 v70, -v98, v103, 1.0
	s_delay_alu instid0(VALU_DEP_1) | instskip(SKIP_2) | instid1(VALU_DEP_2)
	v_fmac_f32_e32 v103, v70, v103
	v_cndmask_b32_e64 v70, v71, v101, s3
	v_cmp_eq_u32_e64 s3, 6, v69
	v_cndmask_b32_e64 v71, v70, v100, s4
	s_delay_alu instid0(VALU_DEP_4) | instskip(NEXT) | instid1(VALU_DEP_2)
	v_dual_mul_f32 v101, v99, v103 :: v_dual_lshlrev_b32 v70, 2, v66
	v_cndmask_b32_e64 v71, v71, v97, s5
	s_delay_alu instid0(VALU_DEP_2) | instskip(NEXT) | instid1(VALU_DEP_3)
	v_or_b32_e32 v72, 1, v70
	v_fma_f32 v100, -v98, v101, v99
	v_cmp_eq_u32_e64 s4, 1, v70
	v_cmp_eq_u32_e64 s5, 2, v70
	v_cndmask_b32_e64 v95, v71, v95, s6
	v_or_b32_e32 v71, 3, v70
	v_fmac_f32_e32 v101, v100, v103
	v_cmp_eq_u32_e64 s9, 1, v72
	v_cmp_eq_u32_e64 s12, 2, v72
	v_cndmask_b32_e64 v94, v95, v94, s3
	v_cmp_eq_u32_e64 s11, 1, v71
	v_fma_f32 v97, -v98, v101, v99
	v_cmp_eq_u32_e64 s16, 2, v71
	v_cmp_eq_u32_e64 s13, 3, v72
	v_cndmask_b32_e64 v94, v94, v96, s7
	v_cmp_eq_u32_e64 s18, 3, v71
	v_div_fmas_f32 v95, v97, v103, v101
	v_cmp_eq_u32_e32 vcc_lo, 3, v70
	v_cmp_eq_u32_e64 s3, 4, v70
	v_cmp_eq_u32_e64 s19, 4, v72
	v_cmp_eq_u32_e64 s22, 4, v71
	v_div_fixup_f32 v95, v95, v74, 1.0
	v_lshlrev_b32_e32 v73, 6, v68
	v_cmp_eq_u32_e64 s6, 5, v70
	v_cmp_eq_u32_e64 s20, 5, v72
	;; [unrolled: 1-line block ×3, first 2 shown]
	v_mul_f32_e32 v102, v94, v95
	v_lshl_or_b32 v75, v69, 11, v73
	v_or_b32_e32 v69, 2, v70
	v_cmp_eq_u32_e64 s25, 6, v72
	v_cmp_eq_u32_e64 s27, 6, v71
	v_fma_mixlo_f16 v94, v102, v79, 0
	v_fma_mixlo_f16 v95, v102, v81, 0
	;; [unrolled: 1-line block ×8, first 2 shown]
	v_lshl_or_b32 v74, v66, 4, v75
	v_fma_mixhi_f16 v94, v102, v78, 0
	v_fma_mixhi_f16 v95, v102, v80, 0
	v_fma_mixhi_f16 v96, v102, v82, 0
	v_fma_mixhi_f16 v97, v102, v84, 0
	v_fma_mixhi_f16 v98, v102, v86, 0
	v_fma_mixhi_f16 v99, v102, v88, 0
	v_fma_mixhi_f16 v100, v102, v90, 0
	v_fma_mixhi_f16 v101, v102, v92, 0
	ds_store_b128 v74, v[94:97]
	ds_store_b128 v74, v[98:101] offset:1024
	s_waitcnt lgkmcnt(0)
	s_barrier
	buffer_gl0_inv
	ds_load_b128 v[78:81], v75
	ds_load_b128 v[82:85], v75 offset:16
	ds_load_b128 v[86:89], v75 offset:1024
	;; [unrolled: 1-line block ×3, first 2 shown]
	v_cmp_eq_u32_e64 s10, 1, v69
	v_cmp_eq_u32_e64 s15, 2, v69
	;; [unrolled: 1-line block ×11, first 2 shown]
	s_waitcnt lgkmcnt(3)
	v_lshrrev_b32_e32 v94, 16, v78
	s_waitcnt lgkmcnt(2)
	v_lshrrev_b32_e32 v98, 16, v82
	;; [unrolled: 2-line block ×4, first 2 shown]
	v_lshrrev_b32_e32 v95, 16, v79
	v_cndmask_b32_e64 v110, v78, v94, s4
	v_cndmask_b32_e64 v111, v82, v98, s4
	;; [unrolled: 1-line block ×8, first 2 shown]
	v_lshrrev_b32_e32 v99, 16, v83
	v_cndmask_b32_e64 v94, v86, v102, s4
	v_cndmask_b32_e64 v98, v90, v106, s4
	;; [unrolled: 1-line block ×15, first 2 shown]
	v_lshrrev_b32_e32 v103, 16, v87
	v_lshrrev_b32_e32 v107, 16, v91
	v_cndmask_b32_e64 v113, v115, v83, s15
	v_cndmask_b32_e64 v82, v94, v87, s5
	;; [unrolled: 1-line block ×7, first 2 shown]
	v_cndmask_b32_e32 v90, v102, v95, vcc_lo
	v_cndmask_b32_e32 v102, v106, v99, vcc_lo
	v_cndmask_b32_e64 v106, v110, v95, s13
	v_cndmask_b32_e64 v110, v111, v99, s13
	;; [unrolled: 1-line block ×4, first 2 shown]
	v_lshrrev_b32_e32 v96, 16, v80
	v_lshrrev_b32_e32 v100, 16, v84
	v_cndmask_b32_e64 v111, v112, v95, s17
	v_cndmask_b32_e64 v112, v113, v99, s17
	v_cndmask_b32_e32 v82, v82, v103, vcc_lo
	v_cndmask_b32_e32 v83, v83, v107, vcc_lo
	v_cndmask_b32_e64 v94, v94, v103, s13
	v_cndmask_b32_e64 v90, v90, v80, s3
	;; [unrolled: 1-line block ×7, first 2 shown]
	v_lshrrev_b32_e32 v104, 16, v88
	v_cndmask_b32_e64 v106, v111, v80, s21
	v_cndmask_b32_e64 v110, v112, v84, s21
	;; [unrolled: 1-line block ×11, first 2 shown]
	v_lshrrev_b32_e32 v97, 16, v81
	v_lshrrev_b32_e32 v101, 16, v85
	v_cndmask_b32_e64 v99, v106, v96, s23
	v_cndmask_b32_e64 v102, v110, v100, s23
	;; [unrolled: 1-line block ×7, first 2 shown]
	v_lshrrev_b32_e32 v105, 16, v89
	v_cndmask_b32_e64 v80, v80, v104, s6
	v_cndmask_b32_e64 v84, v84, v81, s7
	;; [unrolled: 1-line block ×16, first 2 shown]
	v_perm_b32 v81, v79, v78, 0x5040100
	v_perm_b32 v79, v95, v85, 0x5040100
	v_cndmask_b32_e64 v78, v119, v91, s15
	v_cndmask_b32_e64 v85, v117, v91, s12
	;; [unrolled: 1-line block ×3, first 2 shown]
	v_perm_b32 v80, v94, v90, 0x5040100
	v_cndmask_b32_e64 v90, v98, v103, s17
	v_cndmask_b32_e64 v86, v86, v103, s18
	;; [unrolled: 1-line block ×5, first 2 shown]
	v_lshrrev_b32_e32 v108, 16, v92
	v_cndmask_b32_e64 v90, v90, v88, s21
	v_cndmask_b32_e64 v86, v86, v88, s22
	;; [unrolled: 1-line block ×11, first 2 shown]
	v_lshrrev_b32_e32 v109, 16, v93
	v_cndmask_b32_e64 v82, v82, v93, s7
	v_cndmask_b32_e64 v88, v88, v89, s26
	;; [unrolled: 1-line block ×12, first 2 shown]
	v_perm_b32 v78, v84, v83, 0x5040100
	v_perm_b32 v85, v87, v86, 0x5040100
	;; [unrolled: 1-line block ×5, first 2 shown]
	s_mul_i32 s8, s33, 6
	s_mov_b32 s3, exec_lo
	ds_store_b128 v74, v[78:81]
	ds_store_b128 v74, v[82:85] offset:1024
	v_cmpx_gt_u32_e32 6, v0
	s_cbranch_execz .LBB915_14
; %bb.13:
	s_mul_i32 s4, s8, s34
	s_delay_alu instid0(SALU_CYCLE_1) | instskip(SKIP_1) | instid1(VALU_DEP_1)
	v_add3_u32 v68, s4, s31, v68
	s_load_b128 s[4:7], s[0:1], 0x58
	v_mad_u64_u32 v[78:79], null, v68, s35, s[14:15]
	s_delay_alu instid0(VALU_DEP_1) | instskip(NEXT) | instid1(VALU_DEP_1)
	v_ashrrev_i32_e32 v79, 31, v78
	v_lshlrev_b64 v[78:79], 2, v[78:79]
	s_waitcnt lgkmcnt(0)
	s_delay_alu instid0(VALU_DEP_1) | instskip(NEXT) | instid1(VALU_DEP_2)
	v_add_co_u32 v80, vcc_lo, s6, v78
	v_add_co_ci_u32_e32 v81, vcc_lo, s7, v79, vcc_lo
	v_add_co_u32 v78, vcc_lo, s4, v78
	v_add_co_ci_u32_e32 v79, vcc_lo, s5, v79, vcc_lo
	global_store_b32 v[80:81], v76, off
	global_store_b32 v[78:79], v77, off
.LBB915_14:
	s_or_b32 exec_lo, exec_lo, s3
	s_waitcnt lgkmcnt(0)
	s_waitcnt_vscnt null, 0x0
	s_barrier
	buffer_gl0_inv
	ds_load_b128 v[84:87], v73
	ds_load_b128 v[88:91], v73 offset:16
	ds_load_b128 v[96:99], v73 offset:2064
	ds_load_b128 v[92:95], v73 offset:2048
	ds_load_b128 v[104:107], v73 offset:4112
	ds_load_b128 v[100:103], v73 offset:4096
	v_cmp_eq_u32_e32 vcc_lo, 1, v70
	v_mov_b32_e32 v76, 0
	ds_load_b128 v[112:115], v73 offset:6160
	ds_load_b128 v[108:111], v73 offset:6144
	;; [unrolled: 1-line block ×4, first 2 shown]
	v_cmp_eq_u32_e64 s4, 1, v69
	v_cmp_eq_u32_e64 s3, 1, v72
	;; [unrolled: 1-line block ×3, first 2 shown]
	v_mov_b32_e32 v77, v76
	v_mov_b32_e32 v78, v76
	;; [unrolled: 1-line block ×7, first 2 shown]
	v_cmp_eq_u32_e64 s6, 3, v72
	v_cmp_eq_u32_e64 s7, 7, v72
	s_waitcnt lgkmcnt(8)
	s_delay_alu instid0(VALU_DEP_3)
	v_wmma_f32_16x16x16_f16 v[76:83], v[49:56], v[84:91], v[76:83]
	ds_load_b128 v[53:56], v73 offset:10256
	ds_load_b128 v[49:52], v73 offset:10240
	s_waitcnt lgkmcnt(8)
	v_wmma_f32_16x16x16_f16 v[76:83], v[41:48], v[92:99], v[76:83]
	ds_load_b128 v[45:48], v73 offset:12304
	ds_load_b128 v[41:44], v73 offset:12288
	s_waitcnt lgkmcnt(8)
	;; [unrolled: 4-line block ×3, first 2 shown]
	s_barrier
	buffer_gl0_inv
	v_wmma_f32_16x16x16_f16 v[76:83], v[1:8], v[108:115], v[76:83]
	s_delay_alu instid0(VALU_DEP_1) | instskip(NEXT) | instid1(VALU_DEP_1)
	v_wmma_f32_16x16x16_f16 v[76:83], v[9:16], v[116:123], v[76:83]
	v_wmma_f32_16x16x16_f16 v[76:83], v[17:24], v[49:56], v[76:83]
	s_delay_alu instid0(VALU_DEP_1) | instskip(NEXT) | instid1(VALU_DEP_1)
	v_wmma_f32_16x16x16_f16 v[76:83], v[25:32], v[41:48], v[76:83]
	v_wmma_f32_16x16x16_f16 v[76:83], v[57:64], v[33:40], v[76:83]
	s_delay_alu instid0(VALU_DEP_1) | instskip(NEXT) | instid1(VALU_DEP_2)
	v_cvt_f16_f32_e32 v1, v76
	v_cvt_f16_f32_e32 v2, v77
	s_delay_alu instid0(VALU_DEP_3) | instskip(NEXT) | instid1(VALU_DEP_4)
	v_cvt_f16_f32_e32 v3, v78
	v_cvt_f16_f32_e32 v4, v79
	;; [unrolled: 1-line block ×6, first 2 shown]
	v_pack_b32_f16 v1, v1, v2
	v_pack_b32_f16 v2, v3, v4
	;; [unrolled: 1-line block ×3, first 2 shown]
	s_delay_alu instid0(VALU_DEP_4)
	v_pack_b32_f16 v4, v7, v8
	ds_store_b128 v74, v[1:4]
	s_waitcnt lgkmcnt(0)
	s_barrier
	buffer_gl0_inv
	ds_load_b128 v[1:4], v75
	ds_load_b128 v[5:8], v75 offset:16
	s_waitcnt lgkmcnt(1)
	v_lshrrev_b32_e32 v9, 16, v1
	s_waitcnt lgkmcnt(0)
	v_lshrrev_b32_e32 v13, 16, v5
	v_lshrrev_b32_e32 v10, 16, v2
	;; [unrolled: 1-line block ×4, first 2 shown]
	v_cndmask_b32_e32 v17, v1, v9, vcc_lo
	v_cndmask_b32_e32 v18, v5, v13, vcc_lo
	v_cndmask_b32_e64 v21, v1, v9, s4
	v_cmp_eq_u32_e32 vcc_lo, 1, v71
	v_cndmask_b32_e64 v22, v5, v13, s4
	v_cmp_eq_u32_e64 s4, 2, v70
	v_cndmask_b32_e64 v19, v1, v9, s3
	v_cndmask_b32_e64 v20, v5, v13, s3
	v_cndmask_b32_e32 v1, v1, v9, vcc_lo
	v_cmp_eq_u32_e64 s3, 2, v71
	v_cndmask_b32_e32 v5, v5, v13, vcc_lo
	v_cndmask_b32_e64 v9, v17, v2, s4
	v_cmp_eq_u32_e32 vcc_lo, 3, v70
	v_cndmask_b32_e64 v13, v18, v6, s4
	v_cmp_eq_u32_e64 s4, 2, v69
	v_cndmask_b32_e64 v17, v19, v2, s5
	v_cndmask_b32_e64 v18, v20, v6, s5
	v_cmp_eq_u32_e64 s5, 3, v69
	v_cndmask_b32_e64 v1, v1, v2, s3
	v_cndmask_b32_e64 v19, v21, v2, s4
	;; [unrolled: 1-line block ×4, first 2 shown]
	v_cndmask_b32_e32 v5, v9, v10, vcc_lo
	v_cndmask_b32_e32 v6, v13, v14, vcc_lo
	v_cmp_eq_u32_e32 vcc_lo, 3, v71
	v_cndmask_b32_e64 v9, v17, v10, s6
	v_cndmask_b32_e64 v13, v18, v14, s6
	;; [unrolled: 1-line block ×3, first 2 shown]
	v_cmp_eq_u32_e64 s4, 4, v70
	v_cndmask_b32_e32 v1, v1, v10, vcc_lo
	v_cndmask_b32_e32 v2, v2, v14, vcc_lo
	v_cmp_eq_u32_e32 vcc_lo, 4, v72
	v_lshrrev_b32_e32 v15, 16, v7
	v_lshrrev_b32_e32 v16, 16, v8
	v_cndmask_b32_e64 v17, v19, v10, s5
	v_cmp_eq_u32_e64 s3, 4, v71
	v_cndmask_b32_e64 v5, v5, v3, s4
	v_cndmask_b32_e64 v6, v6, v7, s4
	v_cndmask_b32_e32 v9, v9, v3, vcc_lo
	v_cmp_eq_u32_e64 s4, 5, v72
	v_cndmask_b32_e32 v10, v13, v7, vcc_lo
	v_cmp_eq_u32_e32 vcc_lo, 4, v69
	v_cmp_eq_u32_e64 s5, 5, v70
	v_cndmask_b32_e64 v2, v2, v7, s3
	v_cndmask_b32_e64 v9, v9, v11, s4
	;; [unrolled: 1-line block ×3, first 2 shown]
	v_cndmask_b32_e32 v13, v17, v3, vcc_lo
	v_cmp_eq_u32_e64 s4, 5, v69
	v_cndmask_b32_e32 v14, v18, v7, vcc_lo
	v_cndmask_b32_e64 v1, v1, v3, s3
	v_cmp_eq_u32_e32 vcc_lo, 5, v71
	v_lshrrev_b32_e32 v12, 16, v4
	v_cndmask_b32_e64 v13, v13, v11, s4
	v_cndmask_b32_e64 v3, v14, v15, s4
	v_cmp_eq_u32_e64 s4, 6, v71
	v_cndmask_b32_e32 v1, v1, v11, vcc_lo
	v_cndmask_b32_e64 v5, v5, v11, s5
	v_cmp_eq_u32_e64 s6, 6, v70
	v_cndmask_b32_e64 v6, v6, v15, s5
	v_cmp_eq_u32_e64 s5, 6, v72
	v_cmp_eq_u32_e64 s3, 6, v69
	v_cndmask_b32_e64 v1, v1, v4, s4
	v_cndmask_b32_e32 v2, v2, v15, vcc_lo
	v_cmp_eq_u32_e32 vcc_lo, 7, v71
	v_cndmask_b32_e64 v5, v5, v4, s6
	v_cndmask_b32_e64 v9, v9, v4, s5
	;; [unrolled: 1-line block ×3, first 2 shown]
	v_cmp_eq_u32_e64 s6, 7, v70
	v_cndmask_b32_e32 v1, v1, v12, vcc_lo
	v_cndmask_b32_e64 v7, v13, v4, s3
	v_cndmask_b32_e64 v3, v3, v8, s3
	;; [unrolled: 1-line block ×3, first 2 shown]
	v_cmp_eq_u32_e64 s3, 7, v69
	v_cndmask_b32_e64 v4, v10, v8, s5
	v_cndmask_b32_e64 v5, v5, v12, s6
	v_cndmask_b32_e64 v9, v9, v12, s7
	v_cndmask_b32_e32 v2, v2, v16, vcc_lo
	v_cndmask_b32_e64 v7, v7, v12, s3
	v_cndmask_b32_e64 v3, v3, v16, s3
	;; [unrolled: 1-line block ×4, first 2 shown]
	v_cmp_gt_u32_e32 vcc_lo, 32, v0
	v_perm_b32 v4, v2, v1, 0x5040100
	v_perm_b32 v3, v3, v7, 0x5040100
	;; [unrolled: 1-line block ×4, first 2 shown]
	s_and_b32 s2, vcc_lo, s2
	ds_store_b128 v74, v[1:4]
	s_waitcnt lgkmcnt(0)
	s_barrier
	buffer_gl0_inv
	s_and_saveexec_b32 s3, s2
	s_cbranch_execz .LBB915_2
; %bb.15:
	s_load_b64 s[0:1], s[0:1], 0x68
	s_lshl_b32 s4, s35, 6
	v_or_b32_e32 v3, s31, v66
	s_mul_i32 s2, s4, s34
	v_lshlrev_b32_e32 v0, 10, v0
	s_mul_i32 s2, s2, s8
	v_lshlrev_b32_e32 v1, 4, v67
	s_ashr_i32 s3, s2, 31
	v_mul_lo_u32 v12, v3, s4
	s_lshl_b64 s[2:3], s[2:3], 1
	v_lshlrev_b32_e32 v2, 6, v66
	v_and_b32_e32 v0, 0x3800, v0
	s_delay_alu instid0(VALU_DEP_1) | instskip(NEXT) | instid1(VALU_DEP_4)
	v_or3_b32 v8, v0, v1, v2
	v_ashrrev_i32_e32 v13, 31, v12
	ds_load_b128 v[0:3], v8
	ds_load_b128 v[4:7], v8 offset:128
	ds_load_b128 v[8:11], v8 offset:256
	s_waitcnt lgkmcnt(0)
	s_add_u32 s2, s0, s2
	s_addc_u32 s3, s1, s3
	s_lshl_b32 s0, s14, 6
	s_delay_alu instid0(SALU_CYCLE_1) | instskip(NEXT) | instid1(SALU_CYCLE_1)
	s_ashr_i32 s1, s0, 31
	s_lshl_b64 s[0:1], s[0:1], 1
	s_delay_alu instid0(SALU_CYCLE_1)
	s_add_u32 s0, s2, s0
	s_addc_u32 s1, s3, s1
	s_lshl_b32 s2, s35, 7
	v_add_co_u32 v18, s0, s0, v65
	v_add_nc_u32_e32 v14, s2, v12
	v_lshlrev_b64 v[12:13], 1, v[12:13]
	v_add_co_ci_u32_e64 v19, null, s1, 0, s0
	s_delay_alu instid0(VALU_DEP_3) | instskip(SKIP_1) | instid1(VALU_DEP_4)
	v_add_nc_u32_e32 v16, s2, v14
	v_ashrrev_i32_e32 v15, 31, v14
	v_add_co_u32 v12, vcc_lo, v18, v12
	s_delay_alu instid0(VALU_DEP_4) | instskip(NEXT) | instid1(VALU_DEP_4)
	v_add_co_ci_u32_e32 v13, vcc_lo, v19, v13, vcc_lo
	v_ashrrev_i32_e32 v17, 31, v16
	s_delay_alu instid0(VALU_DEP_4) | instskip(NEXT) | instid1(VALU_DEP_2)
	v_lshlrev_b64 v[14:15], 1, v[14:15]
	v_lshlrev_b64 v[16:17], 1, v[16:17]
	s_delay_alu instid0(VALU_DEP_2) | instskip(NEXT) | instid1(VALU_DEP_3)
	v_add_co_u32 v14, vcc_lo, v18, v14
	v_add_co_ci_u32_e32 v15, vcc_lo, v19, v15, vcc_lo
	s_delay_alu instid0(VALU_DEP_3) | instskip(NEXT) | instid1(VALU_DEP_4)
	v_add_co_u32 v16, vcc_lo, v18, v16
	v_add_co_ci_u32_e32 v17, vcc_lo, v19, v17, vcc_lo
	s_clause 0x2
	global_store_b128 v[12:13], v[0:3], off
	global_store_b128 v[14:15], v[4:7], off
	;; [unrolled: 1-line block ×3, first 2 shown]
	s_nop 0
	s_sendmsg sendmsg(MSG_DEALLOC_VGPRS)
	s_endpgm
	.section	.rodata,"a",@progbits
	.p2align	6, 0x0
	.amdhsa_kernel _Z39paged_attention_ll4mi_QKV_mfma16_kernelIDF16_hLN4vllm18Fp8KVCacheDataTypeE1EDF16_Li32ELi64ELi256ELb0ELi6EL8MFMAType1EEvPKT_PKT0_S8_ifPKiSA_SA_iPKfiiiPfSD_PS3_PT2_iSC_SC_
		.amdhsa_group_segment_fixed_size 17472
		.amdhsa_private_segment_fixed_size 0
		.amdhsa_kernarg_size 400
		.amdhsa_user_sgpr_count 13
		.amdhsa_user_sgpr_dispatch_ptr 0
		.amdhsa_user_sgpr_queue_ptr 0
		.amdhsa_user_sgpr_kernarg_segment_ptr 1
		.amdhsa_user_sgpr_dispatch_id 0
		.amdhsa_user_sgpr_private_segment_size 0
		.amdhsa_wavefront_size32 1
		.amdhsa_uses_dynamic_stack 0
		.amdhsa_enable_private_segment 0
		.amdhsa_system_sgpr_workgroup_id_x 1
		.amdhsa_system_sgpr_workgroup_id_y 1
		.amdhsa_system_sgpr_workgroup_id_z 1
		.amdhsa_system_sgpr_workgroup_info 0
		.amdhsa_system_vgpr_workitem_id 0
		.amdhsa_next_free_vgpr 146
		.amdhsa_next_free_sgpr 38
		.amdhsa_reserve_vcc 1
		.amdhsa_float_round_mode_32 0
		.amdhsa_float_round_mode_16_64 0
		.amdhsa_float_denorm_mode_32 3
		.amdhsa_float_denorm_mode_16_64 3
		.amdhsa_dx10_clamp 1
		.amdhsa_ieee_mode 1
		.amdhsa_fp16_overflow 0
		.amdhsa_workgroup_processor_mode 1
		.amdhsa_memory_ordered 1
		.amdhsa_forward_progress 0
		.amdhsa_shared_vgpr_count 0
		.amdhsa_exception_fp_ieee_invalid_op 0
		.amdhsa_exception_fp_denorm_src 0
		.amdhsa_exception_fp_ieee_div_zero 0
		.amdhsa_exception_fp_ieee_overflow 0
		.amdhsa_exception_fp_ieee_underflow 0
		.amdhsa_exception_fp_ieee_inexact 0
		.amdhsa_exception_int_div_zero 0
	.end_amdhsa_kernel
	.section	.text._Z39paged_attention_ll4mi_QKV_mfma16_kernelIDF16_hLN4vllm18Fp8KVCacheDataTypeE1EDF16_Li32ELi64ELi256ELb0ELi6EL8MFMAType1EEvPKT_PKT0_S8_ifPKiSA_SA_iPKfiiiPfSD_PS3_PT2_iSC_SC_,"axG",@progbits,_Z39paged_attention_ll4mi_QKV_mfma16_kernelIDF16_hLN4vllm18Fp8KVCacheDataTypeE1EDF16_Li32ELi64ELi256ELb0ELi6EL8MFMAType1EEvPKT_PKT0_S8_ifPKiSA_SA_iPKfiiiPfSD_PS3_PT2_iSC_SC_,comdat
.Lfunc_end915:
	.size	_Z39paged_attention_ll4mi_QKV_mfma16_kernelIDF16_hLN4vllm18Fp8KVCacheDataTypeE1EDF16_Li32ELi64ELi256ELb0ELi6EL8MFMAType1EEvPKT_PKT0_S8_ifPKiSA_SA_iPKfiiiPfSD_PS3_PT2_iSC_SC_, .Lfunc_end915-_Z39paged_attention_ll4mi_QKV_mfma16_kernelIDF16_hLN4vllm18Fp8KVCacheDataTypeE1EDF16_Li32ELi64ELi256ELb0ELi6EL8MFMAType1EEvPKT_PKT0_S8_ifPKiSA_SA_iPKfiiiPfSD_PS3_PT2_iSC_SC_
                                        ; -- End function
	.section	.AMDGPU.csdata,"",@progbits
; Kernel info:
; codeLenInByte = 6452
; NumSgprs: 40
; NumVgprs: 146
; ScratchSize: 0
; MemoryBound: 0
; FloatMode: 240
; IeeeMode: 1
; LDSByteSize: 17472 bytes/workgroup (compile time only)
; SGPRBlocks: 4
; VGPRBlocks: 18
; NumSGPRsForWavesPerEU: 40
; NumVGPRsForWavesPerEU: 146
; Occupancy: 9
; WaveLimiterHint : 1
; COMPUTE_PGM_RSRC2:SCRATCH_EN: 0
; COMPUTE_PGM_RSRC2:USER_SGPR: 13
; COMPUTE_PGM_RSRC2:TRAP_HANDLER: 0
; COMPUTE_PGM_RSRC2:TGID_X_EN: 1
; COMPUTE_PGM_RSRC2:TGID_Y_EN: 1
; COMPUTE_PGM_RSRC2:TGID_Z_EN: 1
; COMPUTE_PGM_RSRC2:TIDIG_COMP_CNT: 0
	.section	.text._Z39paged_attention_ll4mi_QKV_mfma16_kernelIDF16_hLN4vllm18Fp8KVCacheDataTypeE1EDF16_Li32ELi64ELi256ELb0ELi7EL8MFMAType1EEvPKT_PKT0_S8_ifPKiSA_SA_iPKfiiiPfSD_PS3_PT2_iSC_SC_,"axG",@progbits,_Z39paged_attention_ll4mi_QKV_mfma16_kernelIDF16_hLN4vllm18Fp8KVCacheDataTypeE1EDF16_Li32ELi64ELi256ELb0ELi7EL8MFMAType1EEvPKT_PKT0_S8_ifPKiSA_SA_iPKfiiiPfSD_PS3_PT2_iSC_SC_,comdat
	.protected	_Z39paged_attention_ll4mi_QKV_mfma16_kernelIDF16_hLN4vllm18Fp8KVCacheDataTypeE1EDF16_Li32ELi64ELi256ELb0ELi7EL8MFMAType1EEvPKT_PKT0_S8_ifPKiSA_SA_iPKfiiiPfSD_PS3_PT2_iSC_SC_ ; -- Begin function _Z39paged_attention_ll4mi_QKV_mfma16_kernelIDF16_hLN4vllm18Fp8KVCacheDataTypeE1EDF16_Li32ELi64ELi256ELb0ELi7EL8MFMAType1EEvPKT_PKT0_S8_ifPKiSA_SA_iPKfiiiPfSD_PS3_PT2_iSC_SC_
	.globl	_Z39paged_attention_ll4mi_QKV_mfma16_kernelIDF16_hLN4vllm18Fp8KVCacheDataTypeE1EDF16_Li32ELi64ELi256ELb0ELi7EL8MFMAType1EEvPKT_PKT0_S8_ifPKiSA_SA_iPKfiiiPfSD_PS3_PT2_iSC_SC_
	.p2align	8
	.type	_Z39paged_attention_ll4mi_QKV_mfma16_kernelIDF16_hLN4vllm18Fp8KVCacheDataTypeE1EDF16_Li32ELi64ELi256ELb0ELi7EL8MFMAType1EEvPKT_PKT0_S8_ifPKiSA_SA_iPKfiiiPfSD_PS3_PT2_iSC_SC_,@function
_Z39paged_attention_ll4mi_QKV_mfma16_kernelIDF16_hLN4vllm18Fp8KVCacheDataTypeE1EDF16_Li32ELi64ELi256ELb0ELi7EL8MFMAType1EEvPKT_PKT0_S8_ifPKiSA_SA_iPKfiiiPfSD_PS3_PT2_iSC_SC_: ; @_Z39paged_attention_ll4mi_QKV_mfma16_kernelIDF16_hLN4vllm18Fp8KVCacheDataTypeE1EDF16_Li32ELi64ELi256ELb0ELi7EL8MFMAType1EEvPKT_PKT0_S8_ifPKiSA_SA_iPKfiiiPfSD_PS3_PT2_iSC_SC_
; %bb.0:
	s_load_b64 s[2:3], s[0:1], 0x30
	s_mov_b32 s34, s13
	s_waitcnt lgkmcnt(0)
	s_cmp_lg_u64 s[2:3], 0
	s_cselect_b32 s6, -1, 0
	s_ashr_i32 s35, s13, 31
	s_cmp_eq_u64 s[2:3], 0
	s_cbranch_scc1 .LBB916_3
; %bb.1:
	s_lshl_b64 s[4:5], s[34:35], 2
	s_delay_alu instid0(SALU_CYCLE_1) | instskip(SKIP_4) | instid1(SALU_CYCLE_1)
	s_add_u32 s4, s2, s4
	s_addc_u32 s5, s3, s5
	s_load_b64 s[4:5], s[4:5], 0x0
	s_waitcnt lgkmcnt(0)
	s_sub_i32 s4, s5, s4
	s_cmp_eq_u32 s4, 1
	s_cselect_b32 s4, -1, 0
	s_delay_alu instid0(SALU_CYCLE_1)
	s_and_not1_b32 vcc_lo, exec_lo, s4
	s_cbranch_vccz .LBB916_4
.LBB916_2:
	s_nop 0
	s_sendmsg sendmsg(MSG_DEALLOC_VGPRS)
	s_endpgm
.LBB916_3:
.LBB916_4:
	s_load_b64 s[8:9], s[0:1], 0x28
	s_lshl_b64 s[4:5], s[34:35], 2
	s_waitcnt lgkmcnt(0)
	s_add_u32 s8, s8, s4
	s_addc_u32 s9, s9, s5
	s_lshl_b32 s16, s14, 8
	s_load_b32 s18, s[8:9], 0x0
	s_waitcnt lgkmcnt(0)
	s_cmp_ge_i32 s16, s18
	s_cbranch_scc1 .LBB916_2
; %bb.5:
	s_clause 0x1
	s_load_b128 s[8:11], s[0:1], 0x8
	s_load_b64 s[12:13], s[0:1], 0x20
	s_and_not1_b32 vcc_lo, exec_lo, s6
	s_cbranch_vccnz .LBB916_7
; %bb.6:
	s_add_u32 s2, s2, s4
	s_addc_u32 s3, s3, s5
	s_load_b32 s3, s[2:3], 0x0
	s_branch .LBB916_8
.LBB916_7:
	s_mov_b32 s3, s34
.LBB916_8:
	s_load_b128 s[4:7], s[0:1], 0x48
	v_lshrrev_b32_e32 v69, 5, v0
	v_bfe_u32 v66, v0, 4, 1
	v_and_b32_e32 v68, 15, v0
	v_and_b32_e32 v70, 31, v0
	;; [unrolled: 1-line block ×3, first 2 shown]
	s_mul_i32 s33, s15, 7
	v_lshl_or_b32 v1, v69, 1, v66
	v_lshlrev_b32_e32 v2, 3, v68
	v_cmp_gt_u32_e64 s2, 8, v68
	s_delay_alu instid0(VALU_DEP_3) | instskip(NEXT) | instid1(VALU_DEP_3)
	v_cmp_gt_u32_e32 vcc_lo, 7, v1
	v_lshlrev_b32_e32 v65, 1, v2
	s_delay_alu instid0(VALU_DEP_3)
	s_and_b32 s17, s2, vcc_lo
	s_waitcnt lgkmcnt(0)
	s_and_saveexec_b32 s7, s17
	s_cbranch_execz .LBB916_10
; %bb.9:
	s_load_b64 s[20:21], s[0:1], 0x0
	v_add_lshl_u32 v2, v1, s33, 6
	s_mul_hi_i32 s23, s3, s4
	s_mul_i32 s22, s3, s4
	v_lshlrev_b32_e32 v6, 10, v68
	s_lshl_b64 s[22:23], s[22:23], 1
	v_ashrrev_i32_e32 v3, 31, v2
	v_lshlrev_b32_e32 v1, 6, v1
	v_lshlrev_b32_e32 v7, 10, v67
	v_and_b32_e32 v6, 0x3800, v6
	s_delay_alu instid0(VALU_DEP_4) | instskip(NEXT) | instid1(VALU_DEP_2)
	v_lshlrev_b64 v[2:3], 1, v[2:3]
	v_or3_b32 v1, v6, v7, v1
	s_waitcnt lgkmcnt(0)
	s_add_u32 s3, s20, s22
	s_addc_u32 s4, s21, s23
	s_delay_alu instid0(VALU_DEP_2) | instskip(SKIP_1) | instid1(VALU_DEP_2)
	v_add_co_u32 v2, vcc_lo, s3, v2
	v_add_co_ci_u32_e32 v3, vcc_lo, s4, v3, vcc_lo
	v_add_co_u32 v2, vcc_lo, v2, v65
	s_delay_alu instid0(VALU_DEP_2)
	v_add_co_ci_u32_e32 v3, vcc_lo, 0, v3, vcc_lo
	global_load_b128 v[2:5], v[2:3], off
	s_waitcnt vmcnt(0)
	ds_store_b128 v1, v[2:5]
.LBB916_10:
	s_or_b32 exec_lo, exec_lo, s7
	v_and_b32_e32 v1, 0xef, v0
	s_add_i32 s3, s18, 31
	s_clause 0x1
	s_load_b32 s4, s[0:1], 0x38
	s_load_b32 s35, s[0:1], 0x98
	s_ashr_i32 s7, s3, 31
	v_add_nc_u32_e32 v1, s16, v1
	s_lshr_b32 s7, s7, 27
	s_load_b32 s19, s[0:1], 0x1c
	s_add_i32 s3, s3, s7
	s_waitcnt lgkmcnt(0)
	v_ashrrev_i32_e32 v2, 31, v1
	v_or_b32_e32 v3, 16, v1
	s_ashr_i32 s3, s3, 5
	v_cmp_gt_i32_e32 vcc_lo, s18, v1
	s_add_i32 s3, s3, -1
	v_lshrrev_b32_e32 v2, 27, v2
	s_barrier
	buffer_gl0_inv
	s_mul_i32 s15, s15, s6
	v_mul_lo_u16 v103, v68, 37
	v_add_nc_u32_e32 v4, v1, v2
	v_mbcnt_lo_u32_b32 v127, -1, 0
	s_mul_i32 s20, s34, s4
	s_delay_alu instid0(SALU_CYCLE_1) | instskip(NEXT) | instid1(VALU_DEP_2)
	s_ashr_i32 s21, s20, 31
	v_ashrrev_i32_e32 v4, 5, v4
	v_add_nc_u32_e32 v2, v3, v2
	s_lshl_b64 s[20:21], s[20:21], 2
	v_lshrrev_b16 v103, 8, v103
	s_add_u32 s17, s12, s20
	v_cndmask_b32_e32 v1, s3, v4, vcc_lo
	v_ashrrev_i32_e32 v2, 5, v2
	v_cmp_gt_i32_e32 vcc_lo, s18, v3
	s_addc_u32 s13, s13, s21
	s_ashr_i32 s20, s15, 31
	s_add_u32 s22, s8, s15
	s_addc_u32 s23, s9, s20
	v_cndmask_b32_e32 v3, s3, v2, vcc_lo
	v_ashrrev_i32_e32 v2, 31, v1
	s_lshl_b32 s6, s14, 3
	v_mul_lo_u16 v103, v103, 7
	s_ashr_i32 s7, s6, 31
	v_ashrrev_i32_e32 v4, 31, v3
	v_lshlrev_b64 v[1:2], 2, v[1:2]
	s_lshl_b64 s[6:7], s[6:7], 2
	v_sub_nc_u16 v103, v68, v103
	s_add_u32 s6, s17, s6
	v_lshlrev_b64 v[3:4], 2, v[3:4]
	s_addc_u32 s7, s13, s7
	v_add_co_u32 v1, vcc_lo, s17, v1
	v_add_co_ci_u32_e32 v2, vcc_lo, s13, v2, vcc_lo
	s_delay_alu instid0(VALU_DEP_3) | instskip(NEXT) | instid1(VALU_DEP_4)
	v_add_co_u32 v3, vcc_lo, s17, v3
	v_add_co_ci_u32_e32 v4, vcc_lo, s13, v4, vcc_lo
	s_clause 0x1
	global_load_b32 v5, v[1:2], off
	global_load_b32 v6, v[3:4], off
	s_or_b32 s4, s16, 32
	v_xor_b32_e32 v128, 16, v127
	s_ashr_i32 s8, s4, 5
	s_cmp_lt_i32 s4, s18
	s_cselect_b32 s8, s8, s3
	s_delay_alu instid0(SALU_CYCLE_1) | instskip(NEXT) | instid1(SALU_CYCLE_1)
	s_ashr_i32 s9, s8, 31
	s_lshl_b64 s[8:9], s[8:9], 2
	s_delay_alu instid0(SALU_CYCLE_1) | instskip(SKIP_2) | instid1(SALU_CYCLE_1)
	s_add_u32 s8, s17, s8
	s_addc_u32 s9, s13, s9
	s_or_b32 s4, s16, 64
	s_ashr_i32 s12, s4, 5
	s_cmp_lt_i32 s4, s18
	s_cselect_b32 s24, s12, s3
	s_delay_alu instid0(SALU_CYCLE_1) | instskip(NEXT) | instid1(SALU_CYCLE_1)
	s_ashr_i32 s25, s24, 31
	s_lshl_b64 s[24:25], s[24:25], 2
	s_delay_alu instid0(SALU_CYCLE_1) | instskip(SKIP_2) | instid1(SALU_CYCLE_1)
	s_add_u32 s24, s17, s24
	s_addc_u32 s25, s13, s25
	s_or_b32 s4, s16, 0x60
	;; [unrolled: 10-line block ×4, first 2 shown]
	s_ashr_i32 s12, s4, 5
	s_cmp_lt_i32 s4, s18
	s_cselect_b32 s30, s12, s3
	s_delay_alu instid0(SALU_CYCLE_1) | instskip(NEXT) | instid1(SALU_CYCLE_1)
	s_ashr_i32 s31, s30, 31
	s_lshl_b64 s[30:31], s[30:31], 2
	s_delay_alu instid0(SALU_CYCLE_1)
	s_add_u32 s30, s17, s30
	s_addc_u32 s31, s13, s31
	s_clause 0x5
	s_load_b32 s12, s[6:7], 0x0
	s_load_b32 s4, s[8:9], 0x0
	;; [unrolled: 1-line block ×6, first 2 shown]
	s_or_b32 s21, s16, 0xc0
	s_waitcnt vmcnt(1)
	v_mad_i64_i32 v[1:2], null, v5, s5, s[22:23]
	v_lshlrev_b32_e32 v5, 4, v68
	s_waitcnt vmcnt(0)
	v_mad_i64_i32 v[3:4], null, v6, s5, s[22:23]
	s_ashr_i32 s22, s21, 5
	s_cmp_lt_i32 s21, s18
	s_delay_alu instid0(VALU_DEP_3) | instskip(NEXT) | instid1(VALU_DEP_4)
	v_add_co_u32 v1, vcc_lo, v1, v5
	v_add_co_ci_u32_e32 v2, vcc_lo, 0, v2, vcc_lo
	s_delay_alu instid0(VALU_DEP_3) | instskip(NEXT) | instid1(VALU_DEP_4)
	v_add_co_u32 v3, vcc_lo, v3, v5
	v_add_co_ci_u32_e32 v4, vcc_lo, 0, v4, vcc_lo
	s_clause 0x7
	global_load_b128 v[71:74], v[1:2], off
	global_load_b128 v[75:78], v[1:2], off offset:512
	global_load_b128 v[79:82], v[3:4], off offset:256
	;; [unrolled: 1-line block ×7, first 2 shown]
	s_cselect_b32 s22, s22, s3
	v_lshlrev_b32_e32 v1, 5, v68
	s_ashr_i32 s23, s22, 31
	v_cmp_gt_i32_e32 vcc_lo, 32, v128
	s_lshl_b64 s[22:23], s[22:23], 2
	v_and_b32_e32 v103, 0xff, v103
	s_add_u32 s22, s17, s22
	s_addc_u32 s23, s13, s23
	v_cndmask_b32_e32 v136, v127, v128, vcc_lo
	s_or_b32 s21, s16, 0xe0
	v_lshl_or_b32 v1, v69, 9, v1
	s_ashr_i32 s24, s21, 5
	s_cmp_lt_i32 s21, s18
	v_lshlrev_b32_e32 v115, 6, v103
	s_cselect_b32 s24, s24, s3
	s_load_b32 s3, s[22:23], 0x0
	s_ashr_i32 s25, s24, 31
	s_delay_alu instid0(SALU_CYCLE_1) | instskip(NEXT) | instid1(SALU_CYCLE_1)
	s_lshl_b64 s[24:25], s[24:25], 2
	s_add_u32 s22, s17, s24
	s_addc_u32 s23, s13, s25
	s_add_u32 s10, s10, s15
	s_addc_u32 s11, s11, s20
	v_add_co_u32 v1, s10, s10, v1
	s_delay_alu instid0(VALU_DEP_1) | instskip(SKIP_2) | instid1(VALU_DEP_1)
	v_add_co_ci_u32_e64 v2, null, s11, 0, s10
	s_load_b32 s10, s[22:23], 0x0
	s_waitcnt lgkmcnt(0)
	v_mad_i64_i32 v[3:4], null, s12, s5, v[1:2]
	v_mad_i64_i32 v[9:10], null, s7, s5, v[1:2]
	;; [unrolled: 1-line block ×7, first 2 shown]
	s_clause 0x5
	global_load_b128 v[49:52], v[3:4], off
	global_load_b128 v[53:56], v[3:4], off offset:16
	global_load_b128 v[41:44], v[5:6], off
	global_load_b128 v[45:48], v[5:6], off offset:16
	;; [unrolled: 2-line block ×3, first 2 shown]
	s_mov_b32 s4, 0
	v_mad_i64_i32 v[61:62], null, s10, s5, v[1:2]
	s_clause 0x9
	global_load_b128 v[1:4], v[9:10], off
	global_load_b128 v[5:8], v[9:10], off offset:16
	global_load_b128 v[9:12], v[13:14], off
	global_load_b128 v[13:16], v[13:14], off offset:16
	global_load_b128 v[17:20], v[21:22], off
	global_load_b128 v[21:24], v[21:22], off offset:16
	global_load_b128 v[25:28], v[29:30], off
	global_load_b128 v[29:32], v[29:30], off offset:16
	global_load_b128 v[57:60], v[61:62], off
	global_load_b128 v[61:64], v[61:62], off offset:16
	s_mov_b32 s5, s4
	s_mov_b32 s6, s4
	;; [unrolled: 1-line block ×7, first 2 shown]
	v_and_b32_e32 v104, 0xe0, v0
	v_dual_mov_b32 v126, s11 :: v_dual_mov_b32 v123, s8
	v_dual_mov_b32 v125, s10 :: v_dual_mov_b32 v124, s9
	s_delay_alu instid0(VALU_DEP_3)
	v_add_nc_u32_e32 v111, s16, v104
	ds_load_b128 v[103:106], v115
	ds_load_b128 v[107:110], v115 offset:1024
	v_dual_mov_b32 v122, s7 :: v_dual_mov_b32 v121, s6
	v_mov_b32_e32 v120, s5
	v_or_b32_e32 v135, v111, v66
	ds_load_b128 v[111:114], v115 offset:2048
	ds_load_b128 v[115:118], v115 offset:3072
	v_mov_b32_e32 v119, s4
	s_waitcnt vmcnt(0) lgkmcnt(0)
	s_barrier
	v_or_b32_e32 v137, 2, v135
	v_or_b32_e32 v138, 4, v135
	v_or_b32_e32 v139, 6, v135
	v_cmp_gt_i32_e32 vcc_lo, s18, v135
	v_or_b32_e32 v140, 8, v135
	v_cmp_gt_i32_e64 s3, s18, v137
	v_or_b32_e32 v141, 10, v135
	v_cmp_gt_i32_e64 s4, s18, v138
	v_cmp_gt_i32_e64 s5, s18, v139
	v_or_b32_e32 v142, 12, v135
	v_or_b32_e32 v143, 14, v135
	v_cmp_gt_i32_e64 s6, s18, v140
	v_cmp_gt_i32_e64 s7, s18, v141
	v_or_b32_e32 v144, 16, v135
	v_or_b32_e32 v145, 18, v135
	v_cmp_gt_i32_e64 s8, s18, v142
	v_cmp_gt_i32_e64 s9, s18, v143
	buffer_gl0_inv
	v_cmp_gt_i32_e64 s10, s18, v144
	v_cmp_gt_i32_e64 s11, s18, v145
	v_wmma_f32_16x16x16_f16 v[127:134], v[71:78], v[103:110], v[119:126]
	v_wmma_f32_16x16x16_f16 v[119:126], v[79:86], v[103:110], v[119:126]
	v_or_b32_e32 v71, 20, v135
	v_or_b32_e32 v72, 22, v135
	s_delay_alu instid0(VALU_DEP_4)
	v_wmma_f32_16x16x16_f16 v[127:134], v[87:94], v[111:118], v[127:134]
	v_or_b32_e32 v73, 24, v135
	v_wmma_f32_16x16x16_f16 v[119:126], v[95:102], v[111:118], v[119:126]
	v_or_b32_e32 v74, 26, v135
	v_cmp_gt_i32_e64 s12, s18, v71
	v_dual_mul_f32 v84, s19, v127 :: v_dual_mul_f32 v83, s19, v128
	s_delay_alu instid0(VALU_DEP_4) | instskip(SKIP_2) | instid1(VALU_DEP_4)
	v_dual_mul_f32 v92, s19, v119 :: v_dual_mul_f32 v81, s19, v130
	v_mul_f32_e32 v90, s19, v121
	v_mul_f32_e32 v82, s19, v129
	v_cndmask_b32_e32 v84, 0xff7fffff, v84, vcc_lo
	v_cndmask_b32_e64 v83, 0xff7fffff, v83, s3
	v_dual_mul_f32 v79, s19, v132 :: v_dual_mul_f32 v88, s19, v123
	v_mul_f32_e32 v80, s19, v131
	v_cndmask_b32_e64 v82, 0xff7fffff, v82, s4
	v_cndmask_b32_e64 v81, 0xff7fffff, v81, s5
	v_max3_f32 v83, v84, 0xff7fffff, v83
	v_dual_mul_f32 v77, s19, v134 :: v_dual_mul_f32 v86, s19, v125
	v_mul_f32_e32 v78, s19, v133
	v_cndmask_b32_e64 v80, 0xff7fffff, v80, s6
	v_cndmask_b32_e64 v79, 0xff7fffff, v79, s7
	v_max3_f32 v81, v83, v82, v81
	v_mul_f32_e32 v91, s19, v120
	v_cndmask_b32_e64 v78, 0xff7fffff, v78, s8
	v_cndmask_b32_e64 v77, 0xff7fffff, v77, s9
	v_mul_f32_e32 v89, s19, v122
	v_max3_f32 v79, v81, v80, v79
	v_cndmask_b32_e64 v80, 0xff7fffff, v92, s10
	v_cndmask_b32_e64 v81, 0xff7fffff, v91, s11
	v_cmp_gt_i32_e64 s13, s18, v72
	v_or_b32_e32 v75, 28, v135
	v_max3_f32 v77, v79, v78, v77
	v_or_b32_e32 v76, 30, v135
	v_mul_f32_e32 v87, s19, v124
	v_cndmask_b32_e64 v71, 0xff7fffff, v90, s12
	v_cndmask_b32_e64 v72, 0xff7fffff, v89, s13
	v_max3_f32 v77, v77, v80, v81
	v_cmp_gt_i32_e64 s15, s18, v73
	v_cmp_gt_i32_e64 s16, s18, v74
	v_mul_f32_e32 v85, s19, v126
	v_cmp_gt_i32_e64 s17, s18, v75
	v_max3_f32 v71, v77, v71, v72
	v_cndmask_b32_e64 v73, 0xff7fffff, v88, s15
	v_cndmask_b32_e64 v74, 0xff7fffff, v87, s16
	v_cmp_gt_i32_e64 s18, s18, v76
	v_cndmask_b32_e64 v72, 0xff7fffff, v86, s17
	s_delay_alu instid0(VALU_DEP_3) | instskip(NEXT) | instid1(VALU_DEP_3)
	v_max3_f32 v71, v71, v73, v74
	v_cndmask_b32_e64 v75, 0xff7fffff, v85, s18
	v_lshlrev_b32_e32 v73, 2, v136
	s_delay_alu instid0(VALU_DEP_2) | instskip(SKIP_3) | instid1(VALU_DEP_1)
	v_max3_f32 v71, v71, v72, v75
	ds_bpermute_b32 v72, v73, v71
	s_waitcnt lgkmcnt(0)
	v_max_f32_e32 v72, v72, v72
	v_max_f32_e32 v71, v71, v72
	s_delay_alu instid0(VALU_DEP_1) | instskip(SKIP_2) | instid1(VALU_DEP_3)
	v_fma_f32 v72, s19, v127, -v71
	v_fma_f32 v74, s19, v128, -v71
	v_fma_f32 v75, s19, v129, -v71
	v_mul_f32_e32 v72, 0x3fb8aa3b, v72
	s_delay_alu instid0(VALU_DEP_2) | instskip(NEXT) | instid1(VALU_DEP_2)
	v_dual_mul_f32 v74, 0x3fb8aa3b, v74 :: v_dual_mul_f32 v75, 0x3fb8aa3b, v75
	v_exp_f32_e32 v72, v72
	s_delay_alu instid0(VALU_DEP_1) | instskip(NEXT) | instid1(VALU_DEP_1)
	v_exp_f32_e32 v74, v74
	v_exp_f32_e32 v75, v75
	s_delay_alu instid0(TRANS32_DEP_3)
	v_cndmask_b32_e32 v79, 0, v72, vcc_lo
	s_waitcnt_depctr 0xfff
	v_cndmask_b32_e64 v78, 0, v74, s3
	v_cndmask_b32_e64 v81, 0, v75, s4
	v_cmp_gt_u32_e64 s3, 16, v70
	v_add_f32_e32 v74, 0, v79
	s_delay_alu instid0(VALU_DEP_1) | instskip(NEXT) | instid1(VALU_DEP_1)
	v_add_f32_e32 v74, v74, v78
	v_add_f32_e32 v74, v74, v81
	v_fma_f32 v76, s19, v130, -v71
	v_fma_f32 v77, s19, v131, -v71
	v_fma_f32 v72, s19, v132, -v71
	v_fma_f32 v80, s19, v133, -v71
	v_fma_f32 v75, s19, v134, -v71
	s_delay_alu instid0(VALU_DEP_4) | instskip(NEXT) | instid1(VALU_DEP_4)
	v_dual_mul_f32 v76, 0x3fb8aa3b, v76 :: v_dual_mul_f32 v77, 0x3fb8aa3b, v77
	v_mul_f32_e32 v72, 0x3fb8aa3b, v72
	s_delay_alu instid0(VALU_DEP_4) | instskip(SKIP_1) | instid1(VALU_DEP_4)
	v_mul_f32_e32 v82, 0x3fb8aa3b, v80
	v_fma_f32 v86, s19, v122, -v71
	v_exp_f32_e32 v76, v76
	v_exp_f32_e32 v77, v77
	;; [unrolled: 1-line block ×4, first 2 shown]
	v_mul_f32_e32 v86, 0x3fb8aa3b, v86
	s_delay_alu instid0(VALU_DEP_1)
	v_exp_f32_e32 v88, v86
	v_cndmask_b32_e64 v80, 0, v76, s5
	v_mul_f32_e32 v75, 0x3fb8aa3b, v75
	v_fma_f32 v76, s19, v119, -v71
	v_cndmask_b32_e64 v83, 0, v77, s6
	v_fma_f32 v77, s19, v120, -v71
	v_add_f32_e32 v74, v74, v80
	v_exp_f32_e32 v75, v75
	v_mul_f32_e32 v76, 0x3fb8aa3b, v76
	v_cndmask_b32_e64 v82, 0, v72, s7
	s_delay_alu instid0(VALU_DEP_3) | instskip(SKIP_1) | instid1(VALU_DEP_4)
	v_dual_mul_f32 v77, 0x3fb8aa3b, v77 :: v_dual_add_f32 v72, v74, v83
	v_fma_f32 v74, s19, v121, -v71
	v_exp_f32_e32 v76, v76
	v_cndmask_b32_e64 v85, 0, v84, s8
	s_delay_alu instid0(VALU_DEP_3) | instskip(SKIP_1) | instid1(TRANS32_DEP_3)
	v_exp_f32_e32 v77, v77
	v_cndmask_b32_e64 v88, 0, v88, s13
	v_cndmask_b32_e64 v84, 0, v75, s9
	v_fma_f32 v75, s19, v123, -v71
	v_add_f32_e32 v72, v72, v82
	s_delay_alu instid0(VALU_DEP_2) | instskip(NEXT) | instid1(VALU_DEP_2)
	v_dual_mul_f32 v74, 0x3fb8aa3b, v74 :: v_dual_mul_f32 v75, 0x3fb8aa3b, v75
	v_add_f32_e32 v72, v72, v85
	s_delay_alu instid0(VALU_DEP_2)
	v_exp_f32_e32 v74, v74
	v_cndmask_b32_e64 v87, 0, v76, s10
	v_fma_f32 v76, s19, v124, -v71
	v_cndmask_b32_e64 v86, 0, v77, s11
	v_add_f32_e32 v72, v72, v84
	v_fma_f32 v77, s19, v125, -v71
	v_exp_f32_e32 v75, v75
	v_mul_f32_e32 v76, 0x3fb8aa3b, v76
	s_delay_alu instid0(VALU_DEP_3) | instskip(NEXT) | instid1(TRANS32_DEP_2)
	v_add_f32_e32 v72, v72, v87
	v_cndmask_b32_e64 v89, 0, v74, s12
	v_mul_f32_e32 v74, 0x3fb8aa3b, v77
	s_delay_alu instid0(VALU_DEP_4) | instskip(SKIP_2) | instid1(VALU_DEP_3)
	v_exp_f32_e32 v76, v76
	v_fma_f32 v77, s19, v126, -v71
	v_add_f32_e32 v72, v72, v86
	v_exp_f32_e32 v74, v74
	s_delay_alu instid0(TRANS32_DEP_3) | instskip(NEXT) | instid1(VALU_DEP_3)
	v_cndmask_b32_e64 v91, 0, v75, s15
	v_mul_f32_e32 v75, 0x3fb8aa3b, v77
	s_delay_alu instid0(VALU_DEP_3) | instskip(NEXT) | instid1(TRANS32_DEP_2)
	v_add_f32_e32 v72, v72, v89
	v_cndmask_b32_e64 v90, 0, v76, s16
	s_delay_alu instid0(VALU_DEP_3) | instskip(NEXT) | instid1(VALU_DEP_2)
	v_exp_f32_e32 v75, v75
	v_add_f32_e32 v72, v72, v88
	s_delay_alu instid0(TRANS32_DEP_2) | instskip(NEXT) | instid1(VALU_DEP_2)
	v_cndmask_b32_e64 v93, 0, v74, s17
	v_add_f32_e32 v72, v72, v91
	s_waitcnt_depctr 0xfff
	v_cndmask_b32_e64 v92, 0, v75, s18
	v_add_f32_e32 v72, v72, v90
	s_delay_alu instid0(VALU_DEP_1) | instskip(NEXT) | instid1(VALU_DEP_1)
	v_add_f32_e32 v72, v72, v93
	v_add_f32_e32 v72, v72, v92
	ds_bpermute_b32 v73, v73, v72
	s_and_saveexec_b32 s4, s3
	s_cbranch_execz .LBB916_12
; %bb.11:
	v_mul_u32_u24_e32 v70, 0x44, v69
	s_waitcnt lgkmcnt(0)
	v_add_f32_e32 v72, v72, v73
	s_delay_alu instid0(VALU_DEP_2) | instskip(NEXT) | instid1(VALU_DEP_1)
	v_lshl_add_u32 v70, v68, 2, v70
	v_add_nc_u32_e32 v70, 0x4000, v70
	ds_store_2addr_b32 v70, v71, v72 offset1:136
.LBB916_12:
	s_or_b32 exec_lo, exec_lo, s4
	v_lshlrev_b32_e32 v70, 2, v68
	s_load_b32 s36, s[0:1], 0x94
	s_waitcnt lgkmcnt(0)
	s_barrier
	buffer_gl0_inv
	v_add_nc_u32_e32 v98, 0x4000, v70
	v_cmp_eq_u32_e32 vcc_lo, 1, v69
	v_cmp_eq_u32_e64 s4, 2, v69
	v_cmp_eq_u32_e64 s5, 3, v69
	;; [unrolled: 1-line block ×3, first 2 shown]
	ds_load_2addr_b32 v[70:71], v98 offset1:17
	ds_load_2addr_b32 v[72:73], v98 offset0:34 offset1:51
	ds_load_2addr_b32 v[74:75], v98 offset0:68 offset1:85
	ds_load_2addr_b32 v[94:95], v98 offset0:102 offset1:119
	v_cmp_eq_u32_e64 s7, 5, v69
	v_cmp_eq_u32_e64 s8, 7, v69
	s_waitcnt lgkmcnt(3)
	v_max3_f32 v76, v70, 0xff7fffff, v71
	s_waitcnt lgkmcnt(2)
	s_delay_alu instid0(VALU_DEP_1) | instskip(SKIP_1) | instid1(VALU_DEP_1)
	v_max3_f32 v76, v76, v72, v73
	s_waitcnt lgkmcnt(1)
	v_max3_f32 v76, v76, v74, v75
	s_waitcnt lgkmcnt(0)
	s_delay_alu instid0(VALU_DEP_1) | instskip(NEXT) | instid1(VALU_DEP_1)
	v_max3_f32 v76, v76, v94, v95
	v_sub_f32_e32 v77, v71, v76
	ds_load_2addr_b32 v[96:97], v98 offset0:136 offset1:153
	v_sub_f32_e32 v74, v74, v76
	v_sub_f32_e32 v70, v70, v76
	;; [unrolled: 1-line block ×3, first 2 shown]
	v_dual_sub_f32 v72, v72, v76 :: v_dual_mul_f32 v77, 0x3fb8aa3b, v77
	s_delay_alu instid0(VALU_DEP_4) | instskip(NEXT) | instid1(VALU_DEP_4)
	v_mul_f32_e32 v103, 0x3fb8aa3b, v74
	v_mul_f32_e32 v99, 0x3fb8aa3b, v70
	ds_load_2addr_b32 v[70:71], v98 offset0:170 offset1:187
	v_dual_mul_f32 v101, 0x3fb8aa3b, v72 :: v_dual_mul_f32 v94, 0x3fb8aa3b, v94
	v_exp_f32_e32 v102, v77
	v_exp_f32_e32 v99, v99
	s_delay_alu instid0(VALU_DEP_1) | instskip(NEXT) | instid1(VALU_DEP_1)
	v_exp_f32_e32 v101, v101
	v_exp_f32_e32 v94, v94
	s_waitcnt lgkmcnt(1)
	s_delay_alu instid0(TRANS32_DEP_3)
	v_fma_f32 v77, v99, v96, 0
	v_sub_f32_e32 v100, v73, v76
	ds_load_2addr_b32 v[72:73], v98 offset0:204 offset1:221
	v_fmac_f32_e32 v77, v102, v97
	v_exp_f32_e32 v97, v103
	s_waitcnt lgkmcnt(1)
	s_delay_alu instid0(VALU_DEP_1)
	v_dual_fmac_f32 v77, v101, v70 :: v_dual_sub_f32 v96, v75, v76
	ds_load_2addr_b32 v[74:75], v98 offset0:238 offset1:255
	v_sub_f32_e32 v70, v95, v76
	s_waitcnt lgkmcnt(0)
	s_barrier
	v_mul_f32_e32 v96, 0x3fb8aa3b, v96
	buffer_gl0_inv
	v_exp_f32_e32 v95, v96
	v_mul_f32_e32 v100, 0x3fb8aa3b, v100
	s_delay_alu instid0(VALU_DEP_1) | instskip(SKIP_3) | instid1(VALU_DEP_2)
	v_exp_f32_e32 v100, v100
	s_waitcnt_depctr 0xfff
	v_dual_fmac_f32 v77, v100, v71 :: v_dual_mul_f32 v70, 0x3fb8aa3b, v70
	v_cndmask_b32_e32 v71, v99, v102, vcc_lo
	v_fmac_f32_e32 v77, v97, v72
	s_delay_alu instid0(VALU_DEP_3) | instskip(NEXT) | instid1(VALU_DEP_1)
	v_exp_f32_e32 v96, v70
	v_fmac_f32_e32 v77, v95, v73
	s_delay_alu instid0(VALU_DEP_1) | instskip(SKIP_2) | instid1(VALU_DEP_1)
	v_fmac_f32_e32 v77, v94, v74
	s_waitcnt_depctr 0xfff
	v_fmac_f32_e32 v77, v96, v75
	v_add_f32_e32 v74, 0x358637bd, v77
	s_delay_alu instid0(VALU_DEP_1) | instskip(SKIP_1) | instid1(VALU_DEP_2)
	v_div_scale_f32 v98, null, v74, v74, 1.0
	v_div_scale_f32 v99, vcc_lo, 1.0, v74, 1.0
	v_rcp_f32_e32 v103, v98
	s_waitcnt_depctr 0xfff
	v_fma_f32 v70, -v98, v103, 1.0
	s_delay_alu instid0(VALU_DEP_1) | instskip(SKIP_2) | instid1(VALU_DEP_2)
	v_fmac_f32_e32 v103, v70, v103
	v_cndmask_b32_e64 v70, v71, v101, s4
	v_cmp_eq_u32_e64 s4, 6, v69
	v_cndmask_b32_e64 v71, v70, v100, s5
	s_delay_alu instid0(VALU_DEP_4) | instskip(NEXT) | instid1(VALU_DEP_2)
	v_dual_mul_f32 v101, v99, v103 :: v_dual_lshlrev_b32 v70, 2, v66
	v_cndmask_b32_e64 v71, v71, v97, s6
	s_delay_alu instid0(VALU_DEP_2) | instskip(NEXT) | instid1(VALU_DEP_3)
	v_or_b32_e32 v72, 1, v70
	v_fma_f32 v100, -v98, v101, v99
	v_cmp_eq_u32_e64 s5, 1, v70
	v_cmp_eq_u32_e64 s6, 2, v70
	v_cndmask_b32_e64 v95, v71, v95, s7
	v_or_b32_e32 v71, 3, v70
	v_fmac_f32_e32 v101, v100, v103
	v_cmp_eq_u32_e64 s10, 1, v72
	v_cmp_eq_u32_e64 s13, 2, v72
	v_cndmask_b32_e64 v94, v95, v94, s4
	v_cmp_eq_u32_e64 s12, 1, v71
	v_fma_f32 v97, -v98, v101, v99
	v_cmp_eq_u32_e64 s17, 2, v71
	v_cmp_eq_u32_e64 s15, 3, v72
	v_cndmask_b32_e64 v94, v94, v96, s8
	v_cmp_eq_u32_e64 s19, 3, v71
	v_div_fmas_f32 v95, v97, v103, v101
	v_cmp_eq_u32_e32 vcc_lo, 3, v70
	v_cmp_eq_u32_e64 s4, 4, v70
	v_cmp_eq_u32_e64 s20, 4, v72
	;; [unrolled: 1-line block ×3, first 2 shown]
	v_div_fixup_f32 v95, v95, v74, 1.0
	v_lshlrev_b32_e32 v73, 6, v68
	v_cmp_eq_u32_e64 s7, 5, v70
	v_cmp_eq_u32_e64 s21, 5, v72
	;; [unrolled: 1-line block ×3, first 2 shown]
	v_mul_f32_e32 v102, v94, v95
	v_lshl_or_b32 v75, v69, 11, v73
	v_or_b32_e32 v69, 2, v70
	v_cmp_eq_u32_e64 s26, 6, v72
	v_cmp_eq_u32_e64 s28, 6, v71
	v_fma_mixlo_f16 v94, v102, v79, 0
	v_fma_mixlo_f16 v95, v102, v81, 0
	;; [unrolled: 1-line block ×8, first 2 shown]
	v_lshl_or_b32 v74, v66, 4, v75
	v_fma_mixhi_f16 v94, v102, v78, 0
	v_fma_mixhi_f16 v95, v102, v80, 0
	;; [unrolled: 1-line block ×8, first 2 shown]
	ds_store_b128 v74, v[94:97]
	ds_store_b128 v74, v[98:101] offset:1024
	s_waitcnt lgkmcnt(0)
	s_barrier
	buffer_gl0_inv
	ds_load_b128 v[78:81], v75
	ds_load_b128 v[82:85], v75 offset:16
	ds_load_b128 v[86:89], v75 offset:1024
	;; [unrolled: 1-line block ×3, first 2 shown]
	v_cmp_eq_u32_e64 s11, 1, v69
	v_cmp_eq_u32_e64 s16, 2, v69
	v_cmp_eq_u32_e64 s18, 3, v69
	v_cmp_eq_u32_e64 s22, 4, v69
	v_cmp_eq_u32_e64 s24, 5, v69
	v_cmp_eq_u32_e64 s8, 6, v70
	v_cmp_eq_u32_e64 s27, 6, v69
	v_cmp_eq_u32_e64 s30, 7, v71
	v_cmp_eq_u32_e64 s31, 7, v72
	v_cmp_eq_u32_e64 s9, 7, v70
	v_cmp_eq_u32_e64 s29, 7, v69
	s_waitcnt lgkmcnt(3)
	v_lshrrev_b32_e32 v94, 16, v78
	s_waitcnt lgkmcnt(2)
	v_lshrrev_b32_e32 v98, 16, v82
	;; [unrolled: 2-line block ×4, first 2 shown]
	v_lshrrev_b32_e32 v95, 16, v79
	v_cndmask_b32_e64 v110, v78, v94, s5
	v_cndmask_b32_e64 v111, v82, v98, s5
	;; [unrolled: 1-line block ×8, first 2 shown]
	v_lshrrev_b32_e32 v99, 16, v83
	v_cndmask_b32_e64 v94, v86, v102, s5
	v_cndmask_b32_e64 v98, v90, v106, s5
	;; [unrolled: 1-line block ×15, first 2 shown]
	v_lshrrev_b32_e32 v103, 16, v87
	v_lshrrev_b32_e32 v107, 16, v91
	v_cndmask_b32_e64 v113, v115, v83, s16
	v_cndmask_b32_e64 v82, v94, v87, s6
	;; [unrolled: 1-line block ×7, first 2 shown]
	v_cndmask_b32_e32 v90, v102, v95, vcc_lo
	v_cndmask_b32_e32 v102, v106, v99, vcc_lo
	v_cndmask_b32_e64 v106, v110, v95, s15
	v_cndmask_b32_e64 v110, v111, v99, s15
	;; [unrolled: 1-line block ×4, first 2 shown]
	v_lshrrev_b32_e32 v96, 16, v80
	v_lshrrev_b32_e32 v100, 16, v84
	v_cndmask_b32_e64 v111, v112, v95, s18
	v_cndmask_b32_e64 v112, v113, v99, s18
	v_cndmask_b32_e32 v82, v82, v103, vcc_lo
	v_cndmask_b32_e32 v83, v83, v107, vcc_lo
	v_cndmask_b32_e64 v94, v94, v103, s15
	v_cndmask_b32_e64 v90, v90, v80, s4
	v_cndmask_b32_e64 v95, v102, v84, s4
	v_cndmask_b32_e64 v99, v106, v80, s20
	v_cndmask_b32_e64 v102, v110, v84, s20
	v_cndmask_b32_e64 v78, v78, v80, s23
	v_cndmask_b32_e64 v79, v79, v84, s23
	v_lshrrev_b32_e32 v104, 16, v88
	v_cndmask_b32_e64 v106, v111, v80, s22
	v_cndmask_b32_e64 v110, v112, v84, s22
	;; [unrolled: 1-line block ×11, first 2 shown]
	v_lshrrev_b32_e32 v97, 16, v81
	v_lshrrev_b32_e32 v101, 16, v85
	v_cndmask_b32_e64 v99, v106, v96, s24
	v_cndmask_b32_e64 v102, v110, v100, s24
	;; [unrolled: 1-line block ×7, first 2 shown]
	v_lshrrev_b32_e32 v105, 16, v89
	v_cndmask_b32_e64 v80, v80, v104, s7
	v_cndmask_b32_e64 v84, v84, v81, s8
	;; [unrolled: 1-line block ×16, first 2 shown]
	v_perm_b32 v81, v79, v78, 0x5040100
	v_perm_b32 v79, v95, v85, 0x5040100
	v_cndmask_b32_e64 v78, v119, v91, s16
	v_cndmask_b32_e64 v85, v117, v91, s13
	;; [unrolled: 1-line block ×3, first 2 shown]
	v_perm_b32 v80, v94, v90, 0x5040100
	v_cndmask_b32_e64 v90, v98, v103, s18
	v_cndmask_b32_e64 v86, v86, v103, s19
	;; [unrolled: 1-line block ×5, first 2 shown]
	v_lshrrev_b32_e32 v108, 16, v92
	v_cndmask_b32_e64 v90, v90, v88, s22
	v_cndmask_b32_e64 v86, v86, v88, s23
	;; [unrolled: 1-line block ×11, first 2 shown]
	v_lshrrev_b32_e32 v109, 16, v93
	v_cndmask_b32_e64 v82, v82, v93, s8
	v_cndmask_b32_e64 v88, v88, v89, s27
	;; [unrolled: 1-line block ×12, first 2 shown]
	v_perm_b32 v78, v84, v83, 0x5040100
	v_perm_b32 v85, v87, v86, 0x5040100
	;; [unrolled: 1-line block ×5, first 2 shown]
	s_mul_i32 s9, s35, 7
	s_mov_b32 s4, exec_lo
	ds_store_b128 v74, v[78:81]
	ds_store_b128 v74, v[82:85] offset:1024
	v_cmpx_gt_u32_e32 7, v0
	s_cbranch_execz .LBB916_14
; %bb.13:
	s_mul_i32 s5, s9, s34
	s_load_b128 s[16:19], s[0:1], 0x58
	v_add3_u32 v68, s5, s33, v68
	s_delay_alu instid0(VALU_DEP_1) | instskip(NEXT) | instid1(VALU_DEP_1)
	v_mad_u64_u32 v[78:79], null, v68, s36, s[14:15]
	v_ashrrev_i32_e32 v79, 31, v78
	s_delay_alu instid0(VALU_DEP_1) | instskip(SKIP_1) | instid1(VALU_DEP_1)
	v_lshlrev_b64 v[78:79], 2, v[78:79]
	s_waitcnt lgkmcnt(0)
	v_add_co_u32 v80, vcc_lo, s18, v78
	s_delay_alu instid0(VALU_DEP_2)
	v_add_co_ci_u32_e32 v81, vcc_lo, s19, v79, vcc_lo
	v_add_co_u32 v78, vcc_lo, s16, v78
	v_add_co_ci_u32_e32 v79, vcc_lo, s17, v79, vcc_lo
	global_store_b32 v[80:81], v76, off
	global_store_b32 v[78:79], v77, off
.LBB916_14:
	s_or_b32 exec_lo, exec_lo, s4
	s_waitcnt lgkmcnt(0)
	s_waitcnt_vscnt null, 0x0
	s_barrier
	buffer_gl0_inv
	ds_load_b128 v[84:87], v73
	ds_load_b128 v[88:91], v73 offset:16
	ds_load_b128 v[96:99], v73 offset:2064
	;; [unrolled: 1-line block ×5, first 2 shown]
	v_cmp_eq_u32_e32 vcc_lo, 1, v70
	v_mov_b32_e32 v76, 0
	ds_load_b128 v[112:115], v73 offset:6160
	ds_load_b128 v[108:111], v73 offset:6144
	;; [unrolled: 1-line block ×4, first 2 shown]
	v_cmp_eq_u32_e64 s5, 1, v69
	v_cmp_eq_u32_e64 s4, 1, v72
	;; [unrolled: 1-line block ×3, first 2 shown]
	v_mov_b32_e32 v77, v76
	v_mov_b32_e32 v78, v76
	;; [unrolled: 1-line block ×7, first 2 shown]
	v_cmp_eq_u32_e64 s7, 3, v72
	v_cmp_eq_u32_e64 s8, 7, v72
	s_waitcnt lgkmcnt(8)
	s_delay_alu instid0(VALU_DEP_3)
	v_wmma_f32_16x16x16_f16 v[76:83], v[49:56], v[84:91], v[76:83]
	ds_load_b128 v[53:56], v73 offset:10256
	ds_load_b128 v[49:52], v73 offset:10240
	s_waitcnt lgkmcnt(8)
	v_wmma_f32_16x16x16_f16 v[76:83], v[41:48], v[92:99], v[76:83]
	ds_load_b128 v[45:48], v73 offset:12304
	ds_load_b128 v[41:44], v73 offset:12288
	s_waitcnt lgkmcnt(8)
	;; [unrolled: 4-line block ×3, first 2 shown]
	s_barrier
	buffer_gl0_inv
	v_wmma_f32_16x16x16_f16 v[76:83], v[1:8], v[108:115], v[76:83]
	s_delay_alu instid0(VALU_DEP_1) | instskip(NEXT) | instid1(VALU_DEP_1)
	v_wmma_f32_16x16x16_f16 v[76:83], v[9:16], v[116:123], v[76:83]
	v_wmma_f32_16x16x16_f16 v[76:83], v[17:24], v[49:56], v[76:83]
	s_delay_alu instid0(VALU_DEP_1) | instskip(NEXT) | instid1(VALU_DEP_1)
	v_wmma_f32_16x16x16_f16 v[76:83], v[25:32], v[41:48], v[76:83]
	v_wmma_f32_16x16x16_f16 v[76:83], v[57:64], v[33:40], v[76:83]
	s_delay_alu instid0(VALU_DEP_1) | instskip(NEXT) | instid1(VALU_DEP_2)
	v_cvt_f16_f32_e32 v1, v76
	v_cvt_f16_f32_e32 v2, v77
	s_delay_alu instid0(VALU_DEP_3) | instskip(NEXT) | instid1(VALU_DEP_4)
	v_cvt_f16_f32_e32 v3, v78
	v_cvt_f16_f32_e32 v4, v79
	;; [unrolled: 1-line block ×6, first 2 shown]
	v_pack_b32_f16 v1, v1, v2
	v_pack_b32_f16 v2, v3, v4
	v_pack_b32_f16 v3, v5, v6
	s_delay_alu instid0(VALU_DEP_4)
	v_pack_b32_f16 v4, v7, v8
	ds_store_b128 v74, v[1:4]
	s_waitcnt lgkmcnt(0)
	s_barrier
	buffer_gl0_inv
	ds_load_b128 v[1:4], v75
	ds_load_b128 v[5:8], v75 offset:16
	s_waitcnt lgkmcnt(1)
	v_lshrrev_b32_e32 v9, 16, v1
	s_waitcnt lgkmcnt(0)
	v_lshrrev_b32_e32 v13, 16, v5
	v_lshrrev_b32_e32 v10, 16, v2
	;; [unrolled: 1-line block ×4, first 2 shown]
	v_cndmask_b32_e32 v17, v1, v9, vcc_lo
	v_cndmask_b32_e32 v18, v5, v13, vcc_lo
	v_cndmask_b32_e64 v21, v1, v9, s5
	v_cmp_eq_u32_e32 vcc_lo, 1, v71
	v_cndmask_b32_e64 v22, v5, v13, s5
	v_cmp_eq_u32_e64 s5, 2, v70
	v_cndmask_b32_e64 v19, v1, v9, s4
	v_cndmask_b32_e64 v20, v5, v13, s4
	v_cndmask_b32_e32 v1, v1, v9, vcc_lo
	v_cmp_eq_u32_e64 s4, 2, v71
	v_cndmask_b32_e32 v5, v5, v13, vcc_lo
	v_cndmask_b32_e64 v9, v17, v2, s5
	v_cmp_eq_u32_e32 vcc_lo, 3, v70
	v_cndmask_b32_e64 v13, v18, v6, s5
	v_cmp_eq_u32_e64 s5, 2, v69
	v_cndmask_b32_e64 v17, v19, v2, s6
	v_cndmask_b32_e64 v18, v20, v6, s6
	v_cmp_eq_u32_e64 s6, 3, v69
	v_cndmask_b32_e64 v1, v1, v2, s4
	v_cndmask_b32_e64 v19, v21, v2, s5
	;; [unrolled: 1-line block ×4, first 2 shown]
	v_cndmask_b32_e32 v5, v9, v10, vcc_lo
	v_cndmask_b32_e32 v6, v13, v14, vcc_lo
	v_cmp_eq_u32_e32 vcc_lo, 3, v71
	v_cndmask_b32_e64 v9, v17, v10, s7
	v_cndmask_b32_e64 v13, v18, v14, s7
	v_cndmask_b32_e64 v18, v20, v14, s6
	v_cmp_eq_u32_e64 s5, 4, v70
	v_cndmask_b32_e32 v1, v1, v10, vcc_lo
	v_cndmask_b32_e32 v2, v2, v14, vcc_lo
	v_cmp_eq_u32_e32 vcc_lo, 4, v72
	v_lshrrev_b32_e32 v15, 16, v7
	v_lshrrev_b32_e32 v16, 16, v8
	v_cndmask_b32_e64 v17, v19, v10, s6
	v_cmp_eq_u32_e64 s4, 4, v71
	v_cndmask_b32_e64 v5, v5, v3, s5
	v_cndmask_b32_e64 v6, v6, v7, s5
	v_cndmask_b32_e32 v9, v9, v3, vcc_lo
	v_cmp_eq_u32_e64 s5, 5, v72
	v_cndmask_b32_e32 v10, v13, v7, vcc_lo
	v_cmp_eq_u32_e32 vcc_lo, 4, v69
	v_cmp_eq_u32_e64 s6, 5, v70
	v_cndmask_b32_e64 v2, v2, v7, s4
	v_cndmask_b32_e64 v9, v9, v11, s5
	;; [unrolled: 1-line block ×3, first 2 shown]
	v_cndmask_b32_e32 v13, v17, v3, vcc_lo
	v_cmp_eq_u32_e64 s5, 5, v69
	v_cndmask_b32_e32 v14, v18, v7, vcc_lo
	v_cndmask_b32_e64 v1, v1, v3, s4
	v_cmp_eq_u32_e32 vcc_lo, 5, v71
	v_lshrrev_b32_e32 v12, 16, v4
	v_cndmask_b32_e64 v13, v13, v11, s5
	v_cndmask_b32_e64 v3, v14, v15, s5
	v_cmp_eq_u32_e64 s5, 6, v71
	v_cndmask_b32_e32 v1, v1, v11, vcc_lo
	v_cndmask_b32_e64 v5, v5, v11, s6
	v_cmp_eq_u32_e64 s7, 6, v70
	v_cndmask_b32_e64 v6, v6, v15, s6
	v_cmp_eq_u32_e64 s6, 6, v72
	v_cmp_eq_u32_e64 s4, 6, v69
	v_cndmask_b32_e64 v1, v1, v4, s5
	v_cndmask_b32_e32 v2, v2, v15, vcc_lo
	v_cmp_eq_u32_e32 vcc_lo, 7, v71
	v_cndmask_b32_e64 v5, v5, v4, s7
	v_cndmask_b32_e64 v9, v9, v4, s6
	;; [unrolled: 1-line block ×3, first 2 shown]
	v_cmp_eq_u32_e64 s7, 7, v70
	v_cndmask_b32_e32 v1, v1, v12, vcc_lo
	v_cndmask_b32_e64 v7, v13, v4, s4
	v_cndmask_b32_e64 v3, v3, v8, s4
	;; [unrolled: 1-line block ×3, first 2 shown]
	v_cmp_eq_u32_e64 s4, 7, v69
	v_cndmask_b32_e64 v4, v10, v8, s6
	v_cndmask_b32_e64 v5, v5, v12, s7
	;; [unrolled: 1-line block ×3, first 2 shown]
	v_cndmask_b32_e32 v2, v2, v16, vcc_lo
	v_cndmask_b32_e64 v7, v7, v12, s4
	v_cndmask_b32_e64 v3, v3, v16, s4
	;; [unrolled: 1-line block ×4, first 2 shown]
	v_cmp_gt_u32_e32 vcc_lo, 32, v0
	v_perm_b32 v4, v2, v1, 0x5040100
	v_perm_b32 v3, v3, v7, 0x5040100
	;; [unrolled: 1-line block ×4, first 2 shown]
	s_and_b32 s2, vcc_lo, s2
	ds_store_b128 v74, v[1:4]
	s_waitcnt lgkmcnt(0)
	s_barrier
	buffer_gl0_inv
	s_and_saveexec_b32 s4, s2
	s_cbranch_execz .LBB916_2
; %bb.15:
	s_load_b64 s[4:5], s[0:1], 0x68
	v_lshlrev_b32_e32 v0, 10, v0
	v_add_nc_u32_e32 v2, s33, v66
	v_lshlrev_b32_e32 v3, 4, v67
	s_lshl_b32 s0, s36, 6
	s_delay_alu instid0(SALU_CYCLE_1) | instskip(NEXT) | instid1(VALU_DEP_2)
	s_mul_i32 s1, s0, s34
	v_mul_lo_u32 v1, v2, s0
	s_delay_alu instid0(VALU_DEP_2)
	v_and_or_b32 v0, 0x3800, v0, v3
	v_add_nc_u32_e32 v3, 2, v2
	s_mul_i32 s6, s1, s9
	v_add_nc_u32_e32 v4, 4, v2
	s_ashr_i32 s7, s6, 31
	v_lshl_or_b32 v11, v66, 6, v0
	s_lshl_b64 s[6:7], s[6:7], 1
	v_mul_lo_u32 v15, v3, s0
	v_mul_lo_u32 v17, v4, s0
	v_ashrrev_i32_e32 v2, 31, v1
	ds_load_b128 v[3:6], v11
	ds_load_b128 v[7:10], v11 offset:128
	ds_load_b128 v[11:14], v11 offset:256
	s_waitcnt lgkmcnt(0)
	s_add_u32 s1, s4, s6
	s_addc_u32 s2, s5, s7
	s_lshl_b32 s4, s14, 6
	v_ashrrev_i32_e32 v16, 31, v15
	s_ashr_i32 s5, s4, 31
	v_lshlrev_b64 v[19:20], 1, v[1:2]
	s_lshl_b64 s[4:5], s[4:5], 1
	v_ashrrev_i32_e32 v18, 31, v17
	s_add_u32 s1, s1, s4
	s_addc_u32 s2, s2, s5
	v_add_co_u32 v1, s1, s1, v65
	s_delay_alu instid0(VALU_DEP_1) | instskip(SKIP_1) | instid1(VALU_DEP_3)
	v_add_co_ci_u32_e64 v2, null, s2, 0, s1
	v_lshlrev_b64 v[15:16], 1, v[15:16]
	v_add_co_u32 v19, vcc_lo, v1, v19
	v_lshlrev_b64 v[17:18], 1, v[17:18]
	s_delay_alu instid0(VALU_DEP_4) | instskip(NEXT) | instid1(VALU_DEP_4)
	v_add_co_ci_u32_e32 v20, vcc_lo, v2, v20, vcc_lo
	v_add_co_u32 v15, vcc_lo, v1, v15
	v_add_co_ci_u32_e32 v16, vcc_lo, v2, v16, vcc_lo
	s_delay_alu instid0(VALU_DEP_4)
	v_add_co_u32 v17, vcc_lo, v1, v17
	v_add_co_ci_u32_e32 v18, vcc_lo, v2, v18, vcc_lo
	s_clause 0x2
	global_store_b128 v[19:20], v[3:6], off
	global_store_b128 v[15:16], v[7:10], off
	;; [unrolled: 1-line block ×3, first 2 shown]
	s_and_b32 exec_lo, exec_lo, s3
	s_cbranch_execz .LBB916_2
; %bb.16:
	ds_load_b128 v[3:6], v0 offset:384
	s_add_i32 s1, s33, 6
	s_delay_alu instid0(SALU_CYCLE_1) | instskip(NEXT) | instid1(SALU_CYCLE_1)
	s_mul_i32 s0, s1, s0
	s_ashr_i32 s1, s0, 31
	s_delay_alu instid0(SALU_CYCLE_1) | instskip(NEXT) | instid1(SALU_CYCLE_1)
	s_lshl_b64 s[0:1], s[0:1], 1
	v_add_co_u32 v0, vcc_lo, v1, s0
	v_add_co_ci_u32_e32 v1, vcc_lo, s1, v2, vcc_lo
	s_waitcnt lgkmcnt(0)
	global_store_b128 v[0:1], v[3:6], off
	s_nop 0
	s_sendmsg sendmsg(MSG_DEALLOC_VGPRS)
	s_endpgm
	.section	.rodata,"a",@progbits
	.p2align	6, 0x0
	.amdhsa_kernel _Z39paged_attention_ll4mi_QKV_mfma16_kernelIDF16_hLN4vllm18Fp8KVCacheDataTypeE1EDF16_Li32ELi64ELi256ELb0ELi7EL8MFMAType1EEvPKT_PKT0_S8_ifPKiSA_SA_iPKfiiiPfSD_PS3_PT2_iSC_SC_
		.amdhsa_group_segment_fixed_size 17472
		.amdhsa_private_segment_fixed_size 0
		.amdhsa_kernarg_size 400
		.amdhsa_user_sgpr_count 13
		.amdhsa_user_sgpr_dispatch_ptr 0
		.amdhsa_user_sgpr_queue_ptr 0
		.amdhsa_user_sgpr_kernarg_segment_ptr 1
		.amdhsa_user_sgpr_dispatch_id 0
		.amdhsa_user_sgpr_private_segment_size 0
		.amdhsa_wavefront_size32 1
		.amdhsa_uses_dynamic_stack 0
		.amdhsa_enable_private_segment 0
		.amdhsa_system_sgpr_workgroup_id_x 1
		.amdhsa_system_sgpr_workgroup_id_y 1
		.amdhsa_system_sgpr_workgroup_id_z 1
		.amdhsa_system_sgpr_workgroup_info 0
		.amdhsa_system_vgpr_workitem_id 0
		.amdhsa_next_free_vgpr 146
		.amdhsa_next_free_sgpr 37
		.amdhsa_reserve_vcc 1
		.amdhsa_float_round_mode_32 0
		.amdhsa_float_round_mode_16_64 0
		.amdhsa_float_denorm_mode_32 3
		.amdhsa_float_denorm_mode_16_64 3
		.amdhsa_dx10_clamp 1
		.amdhsa_ieee_mode 1
		.amdhsa_fp16_overflow 0
		.amdhsa_workgroup_processor_mode 1
		.amdhsa_memory_ordered 1
		.amdhsa_forward_progress 0
		.amdhsa_shared_vgpr_count 0
		.amdhsa_exception_fp_ieee_invalid_op 0
		.amdhsa_exception_fp_denorm_src 0
		.amdhsa_exception_fp_ieee_div_zero 0
		.amdhsa_exception_fp_ieee_overflow 0
		.amdhsa_exception_fp_ieee_underflow 0
		.amdhsa_exception_fp_ieee_inexact 0
		.amdhsa_exception_int_div_zero 0
	.end_amdhsa_kernel
	.section	.text._Z39paged_attention_ll4mi_QKV_mfma16_kernelIDF16_hLN4vllm18Fp8KVCacheDataTypeE1EDF16_Li32ELi64ELi256ELb0ELi7EL8MFMAType1EEvPKT_PKT0_S8_ifPKiSA_SA_iPKfiiiPfSD_PS3_PT2_iSC_SC_,"axG",@progbits,_Z39paged_attention_ll4mi_QKV_mfma16_kernelIDF16_hLN4vllm18Fp8KVCacheDataTypeE1EDF16_Li32ELi64ELi256ELb0ELi7EL8MFMAType1EEvPKT_PKT0_S8_ifPKiSA_SA_iPKfiiiPfSD_PS3_PT2_iSC_SC_,comdat
.Lfunc_end916:
	.size	_Z39paged_attention_ll4mi_QKV_mfma16_kernelIDF16_hLN4vllm18Fp8KVCacheDataTypeE1EDF16_Li32ELi64ELi256ELb0ELi7EL8MFMAType1EEvPKT_PKT0_S8_ifPKiSA_SA_iPKfiiiPfSD_PS3_PT2_iSC_SC_, .Lfunc_end916-_Z39paged_attention_ll4mi_QKV_mfma16_kernelIDF16_hLN4vllm18Fp8KVCacheDataTypeE1EDF16_Li32ELi64ELi256ELb0ELi7EL8MFMAType1EEvPKT_PKT0_S8_ifPKiSA_SA_iPKfiiiPfSD_PS3_PT2_iSC_SC_
                                        ; -- End function
	.section	.AMDGPU.csdata,"",@progbits
; Kernel info:
; codeLenInByte = 6524
; NumSgprs: 39
; NumVgprs: 146
; ScratchSize: 0
; MemoryBound: 0
; FloatMode: 240
; IeeeMode: 1
; LDSByteSize: 17472 bytes/workgroup (compile time only)
; SGPRBlocks: 4
; VGPRBlocks: 18
; NumSGPRsForWavesPerEU: 39
; NumVGPRsForWavesPerEU: 146
; Occupancy: 9
; WaveLimiterHint : 1
; COMPUTE_PGM_RSRC2:SCRATCH_EN: 0
; COMPUTE_PGM_RSRC2:USER_SGPR: 13
; COMPUTE_PGM_RSRC2:TRAP_HANDLER: 0
; COMPUTE_PGM_RSRC2:TGID_X_EN: 1
; COMPUTE_PGM_RSRC2:TGID_Y_EN: 1
; COMPUTE_PGM_RSRC2:TGID_Z_EN: 1
; COMPUTE_PGM_RSRC2:TIDIG_COMP_CNT: 0
	.section	.text._Z39paged_attention_ll4mi_QKV_mfma16_kernelIDF16_hLN4vllm18Fp8KVCacheDataTypeE1EDF16_Li32ELi64ELi256ELb0ELi8EL8MFMAType1EEvPKT_PKT0_S8_ifPKiSA_SA_iPKfiiiPfSD_PS3_PT2_iSC_SC_,"axG",@progbits,_Z39paged_attention_ll4mi_QKV_mfma16_kernelIDF16_hLN4vllm18Fp8KVCacheDataTypeE1EDF16_Li32ELi64ELi256ELb0ELi8EL8MFMAType1EEvPKT_PKT0_S8_ifPKiSA_SA_iPKfiiiPfSD_PS3_PT2_iSC_SC_,comdat
	.protected	_Z39paged_attention_ll4mi_QKV_mfma16_kernelIDF16_hLN4vllm18Fp8KVCacheDataTypeE1EDF16_Li32ELi64ELi256ELb0ELi8EL8MFMAType1EEvPKT_PKT0_S8_ifPKiSA_SA_iPKfiiiPfSD_PS3_PT2_iSC_SC_ ; -- Begin function _Z39paged_attention_ll4mi_QKV_mfma16_kernelIDF16_hLN4vllm18Fp8KVCacheDataTypeE1EDF16_Li32ELi64ELi256ELb0ELi8EL8MFMAType1EEvPKT_PKT0_S8_ifPKiSA_SA_iPKfiiiPfSD_PS3_PT2_iSC_SC_
	.globl	_Z39paged_attention_ll4mi_QKV_mfma16_kernelIDF16_hLN4vllm18Fp8KVCacheDataTypeE1EDF16_Li32ELi64ELi256ELb0ELi8EL8MFMAType1EEvPKT_PKT0_S8_ifPKiSA_SA_iPKfiiiPfSD_PS3_PT2_iSC_SC_
	.p2align	8
	.type	_Z39paged_attention_ll4mi_QKV_mfma16_kernelIDF16_hLN4vllm18Fp8KVCacheDataTypeE1EDF16_Li32ELi64ELi256ELb0ELi8EL8MFMAType1EEvPKT_PKT0_S8_ifPKiSA_SA_iPKfiiiPfSD_PS3_PT2_iSC_SC_,@function
_Z39paged_attention_ll4mi_QKV_mfma16_kernelIDF16_hLN4vllm18Fp8KVCacheDataTypeE1EDF16_Li32ELi64ELi256ELb0ELi8EL8MFMAType1EEvPKT_PKT0_S8_ifPKiSA_SA_iPKfiiiPfSD_PS3_PT2_iSC_SC_: ; @_Z39paged_attention_ll4mi_QKV_mfma16_kernelIDF16_hLN4vllm18Fp8KVCacheDataTypeE1EDF16_Li32ELi64ELi256ELb0ELi8EL8MFMAType1EEvPKT_PKT0_S8_ifPKiSA_SA_iPKfiiiPfSD_PS3_PT2_iSC_SC_
; %bb.0:
	s_load_b64 s[2:3], s[0:1], 0x30
	s_mov_b32 s34, s13
	s_waitcnt lgkmcnt(0)
	s_cmp_lg_u64 s[2:3], 0
	s_cselect_b32 s8, -1, 0
	s_ashr_i32 s35, s13, 31
	s_cmp_eq_u64 s[2:3], 0
	s_cbranch_scc1 .LBB917_3
; %bb.1:
	s_lshl_b64 s[4:5], s[34:35], 2
	s_delay_alu instid0(SALU_CYCLE_1) | instskip(SKIP_4) | instid1(SALU_CYCLE_1)
	s_add_u32 s4, s2, s4
	s_addc_u32 s5, s3, s5
	s_load_b64 s[4:5], s[4:5], 0x0
	s_waitcnt lgkmcnt(0)
	s_sub_i32 s4, s5, s4
	s_cmp_eq_u32 s4, 1
	s_cselect_b32 s4, -1, 0
	s_delay_alu instid0(SALU_CYCLE_1)
	s_and_not1_b32 vcc_lo, exec_lo, s4
	s_cbranch_vccz .LBB917_4
.LBB917_2:
	s_endpgm
.LBB917_3:
.LBB917_4:
	s_load_b64 s[4:5], s[0:1], 0x28
	s_lshl_b64 s[6:7], s[34:35], 2
	s_waitcnt lgkmcnt(0)
	s_add_u32 s4, s4, s6
	s_addc_u32 s5, s5, s7
	s_lshl_b32 s12, s14, 8
	s_load_b32 s24, s[4:5], 0x0
	s_waitcnt lgkmcnt(0)
	s_cmp_ge_i32 s12, s24
	s_cbranch_scc1 .LBB917_2
; %bb.5:
	s_clause 0x1
	s_load_b128 s[20:23], s[0:1], 0x8
	s_load_b64 s[4:5], s[0:1], 0x20
	s_and_not1_b32 vcc_lo, exec_lo, s8
	s_cbranch_vccnz .LBB917_7
; %bb.6:
	s_add_u32 s2, s2, s6
	s_addc_u32 s3, s3, s7
	s_load_b32 s3, s[2:3], 0x0
	s_branch .LBB917_8
.LBB917_7:
	s_mov_b32 s3, s34
.LBB917_8:
	s_load_b128 s[16:19], s[0:1], 0x48
	v_and_b32_e32 v69, 15, v0
	v_cmp_gt_u32_e32 vcc_lo, 0x80, v0
	v_lshrrev_b32_e32 v68, 5, v0
	v_and_b32_e32 v70, 31, v0
	v_and_b32_e32 v66, 1, v0
	v_lshlrev_b32_e32 v1, 3, v69
	v_cmp_gt_u32_e64 s2, 8, v69
	v_bfe_u32 v67, v0, 4, 1
	s_lshl_b32 s31, s15, 3
	s_delay_alu instid0(VALU_DEP_3) | instskip(NEXT) | instid1(VALU_DEP_3)
	v_lshlrev_b32_e32 v65, 1, v1
	s_and_b32 s7, vcc_lo, s2
	s_delay_alu instid0(SALU_CYCLE_1)
	s_and_saveexec_b32 s6, s7
	s_cbranch_execz .LBB917_10
; %bb.9:
	v_lshl_or_b32 v5, v68, 1, v67
	s_load_b64 s[8:9], s[0:1], 0x0
	s_waitcnt lgkmcnt(0)
	s_mul_hi_i32 s11, s3, s16
	s_mul_i32 s10, s3, s16
	v_lshlrev_b32_e32 v6, 10, v69
	v_or_b32_e32 v1, s31, v5
	s_lshl_b64 s[10:11], s[10:11], 1
	v_lshlrev_b32_e32 v5, 6, v5
	v_lshlrev_b32_e32 v7, 10, v66
	v_and_b32_e32 v6, 0x3800, v6
	v_lshlrev_b32_e32 v1, 6, v1
	s_delay_alu instid0(VALU_DEP_2) | instskip(NEXT) | instid1(VALU_DEP_2)
	v_or3_b32 v5, v6, v7, v5
	v_ashrrev_i32_e32 v2, 31, v1
	s_delay_alu instid0(VALU_DEP_1) | instskip(SKIP_2) | instid1(VALU_DEP_1)
	v_lshlrev_b64 v[1:2], 1, v[1:2]
	s_add_u32 s3, s8, s10
	s_addc_u32 s7, s9, s11
	v_add_co_u32 v1, vcc_lo, s3, v1
	s_delay_alu instid0(VALU_DEP_2) | instskip(NEXT) | instid1(VALU_DEP_2)
	v_add_co_ci_u32_e32 v2, vcc_lo, s7, v2, vcc_lo
	v_add_co_u32 v1, vcc_lo, v1, v65
	s_delay_alu instid0(VALU_DEP_2)
	v_add_co_ci_u32_e32 v2, vcc_lo, 0, v2, vcc_lo
	global_load_b128 v[1:4], v[1:2], off
	s_waitcnt vmcnt(0)
	ds_store_b128 v5, v[1:4]
.LBB917_10:
	s_or_b32 exec_lo, exec_lo, s6
	v_and_b32_e32 v1, 0xef, v0
	s_waitcnt lgkmcnt(0)
	s_add_i32 s3, s24, 31
	s_clause 0x1
	s_load_b32 s6, s[0:1], 0x38
	s_load_b32 s33, s[0:1], 0x98
	s_ashr_i32 s7, s3, 31
	v_add_nc_u32_e32 v1, s12, v1
	s_lshr_b32 s7, s7, 27
	s_load_b32 s19, s[0:1], 0x1c
	s_add_i32 s3, s3, s7
	s_waitcnt lgkmcnt(0)
	v_ashrrev_i32_e32 v2, 31, v1
	v_or_b32_e32 v3, 16, v1
	s_ashr_i32 s3, s3, 5
	v_cmp_gt_i32_e32 vcc_lo, s24, v1
	s_add_i32 s3, s3, -1
	v_lshrrev_b32_e32 v2, 27, v2
	s_barrier
	buffer_gl0_inv
	s_mul_i32 s27, s15, s18
	v_add_nc_u32_e32 v4, v1, v2
	s_mul_i32 s6, s34, s6
	s_delay_alu instid0(SALU_CYCLE_1) | instskip(NEXT) | instid1(VALU_DEP_1)
	s_ashr_i32 s7, s6, 31
	v_ashrrev_i32_e32 v4, 5, v4
	v_add_nc_u32_e32 v2, v3, v2
	s_lshl_b64 s[6:7], s[6:7], 2
	s_delay_alu instid0(SALU_CYCLE_1) | instskip(NEXT) | instid1(VALU_DEP_2)
	s_add_u32 s26, s4, s6
	v_cndmask_b32_e32 v1, s3, v4, vcc_lo
	s_delay_alu instid0(VALU_DEP_2)
	v_ashrrev_i32_e32 v2, 5, v2
	v_cmp_gt_i32_e32 vcc_lo, s24, v3
	s_addc_u32 s25, s5, s7
	s_ashr_i32 s28, s27, 31
	s_add_u32 s4, s20, s27
	s_addc_u32 s5, s21, s28
	v_cndmask_b32_e32 v3, s3, v2, vcc_lo
	v_ashrrev_i32_e32 v2, 31, v1
	s_lshl_b32 s6, s14, 3
	s_delay_alu instid0(SALU_CYCLE_1) | instskip(NEXT) | instid1(VALU_DEP_2)
	s_ashr_i32 s7, s6, 31
	v_ashrrev_i32_e32 v4, 31, v3
	s_delay_alu instid0(VALU_DEP_2) | instskip(SKIP_1) | instid1(SALU_CYCLE_1)
	v_lshlrev_b64 v[1:2], 2, v[1:2]
	s_lshl_b64 s[6:7], s[6:7], 2
	s_add_u32 s6, s26, s6
	s_delay_alu instid0(VALU_DEP_2) | instskip(SKIP_1) | instid1(VALU_DEP_2)
	v_lshlrev_b64 v[3:4], 2, v[3:4]
	s_addc_u32 s7, s25, s7
	v_add_co_u32 v1, vcc_lo, s26, v1
	v_add_co_ci_u32_e32 v2, vcc_lo, s25, v2, vcc_lo
	s_delay_alu instid0(VALU_DEP_3) | instskip(NEXT) | instid1(VALU_DEP_4)
	v_add_co_u32 v3, vcc_lo, s26, v3
	v_add_co_ci_u32_e32 v4, vcc_lo, s25, v4, vcc_lo
	s_clause 0x1
	global_load_b32 v5, v[1:2], off
	global_load_b32 v6, v[3:4], off
	s_or_b32 s8, s12, 32
	s_delay_alu instid0(SALU_CYCLE_1) | instskip(SKIP_2) | instid1(SALU_CYCLE_1)
	s_ashr_i32 s9, s8, 5
	s_cmp_lt_i32 s8, s24
	s_cselect_b32 s8, s9, s3
	s_ashr_i32 s9, s8, 31
	s_delay_alu instid0(SALU_CYCLE_1) | instskip(NEXT) | instid1(SALU_CYCLE_1)
	s_lshl_b64 s[8:9], s[8:9], 2
	s_add_u32 s8, s26, s8
	s_addc_u32 s9, s25, s9
	s_or_b32 s10, s12, 64
	s_delay_alu instid0(SALU_CYCLE_1) | instskip(SKIP_2) | instid1(SALU_CYCLE_1)
	s_ashr_i32 s11, s10, 5
	s_cmp_lt_i32 s10, s24
	s_cselect_b32 s10, s11, s3
	s_ashr_i32 s11, s10, 31
	s_delay_alu instid0(SALU_CYCLE_1) | instskip(NEXT) | instid1(SALU_CYCLE_1)
	s_lshl_b64 s[10:11], s[10:11], 2
	s_add_u32 s10, s26, s10
	s_addc_u32 s11, s25, s11
	;; [unrolled: 10-line block ×5, first 2 shown]
	s_clause 0x5
	s_load_b32 s21, s[6:7], 0x0
	s_load_b32 s13, s[8:9], 0x0
	;; [unrolled: 1-line block ×6, first 2 shown]
	s_or_b32 s7, s12, 0xc0
	s_delay_alu instid0(SALU_CYCLE_1) | instskip(SKIP_2) | instid1(SALU_CYCLE_1)
	s_ashr_i32 s8, s7, 5
	s_cmp_lt_i32 s7, s24
	s_cselect_b32 s10, s8, s3
	s_ashr_i32 s11, s10, 31
	s_delay_alu instid0(SALU_CYCLE_1) | instskip(NEXT) | instid1(SALU_CYCLE_1)
	s_lshl_b64 s[36:37], s[10:11], 2
	s_add_u32 s36, s26, s36
	s_addc_u32 s37, s25, s37
	s_or_b32 s29, s12, 0xe0
	s_delay_alu instid0(SALU_CYCLE_1)
	s_ashr_i32 s30, s29, 5
	s_cmp_lt_i32 s29, s24
	s_waitcnt vmcnt(1)
	v_mad_i64_i32 v[1:2], null, v5, s17, s[4:5]
	s_waitcnt vmcnt(0)
	v_mad_i64_i32 v[3:4], null, v6, s17, s[4:5]
	s_mov_b32 s4, 0
	s_delay_alu instid0(SALU_CYCLE_1)
	s_mov_b32 s5, s4
	s_mov_b32 s6, s4
	;; [unrolled: 1-line block ×7, first 2 shown]
	s_delay_alu instid0(SALU_CYCLE_1) | instskip(SKIP_2) | instid1(VALU_DEP_3)
	v_dual_mov_b32 v102, s11 :: v_dual_lshlrev_b32 v5, 4, v69
	v_dual_mov_b32 v98, s7 :: v_dual_mov_b32 v101, s10
	v_mov_b32_e32 v100, s9
	v_add_co_u32 v1, vcc_lo, v1, v5
	v_add_co_ci_u32_e32 v2, vcc_lo, 0, v2, vcc_lo
	v_add_co_u32 v3, vcc_lo, v3, v5
	v_add_co_ci_u32_e32 v4, vcc_lo, 0, v4, vcc_lo
	s_clause 0x7
	global_load_b128 v[57:60], v[1:2], off
	global_load_b128 v[61:64], v[1:2], off offset:512
	global_load_b128 v[71:74], v[3:4], off offset:256
	;; [unrolled: 1-line block ×7, first 2 shown]
	v_dual_mov_b32 v96, s5 :: v_dual_and_b32 v1, 7, v0
	v_mov_b32_e32 v99, s8
	v_mov_b32_e32 v97, s6
	;; [unrolled: 1-line block ×3, first 2 shown]
	s_cselect_b32 s4, s30, s3
	v_lshlrev_b32_e32 v2, 5, v69
	s_ashr_i32 s5, s4, 31
	v_lshlrev_b32_e32 v121, 6, v1
	s_lshl_b64 s[4:5], s[4:5], 2
	s_load_b32 s3, s[36:37], 0x0
	s_add_u32 s4, s26, s4
	s_addc_u32 s5, s25, s5
	v_lshl_or_b32 v1, v68, 9, v2
	ds_load_b128 v[103:106], v121
	ds_load_b128 v[107:110], v121 offset:1024
	s_load_b32 s4, s[4:5], 0x0
	s_add_u32 s6, s22, s27
	s_addc_u32 s7, s23, s28
	v_add_co_u32 v17, s6, s6, v1
	s_delay_alu instid0(VALU_DEP_1) | instskip(SKIP_1) | instid1(VALU_DEP_1)
	v_add_co_ci_u32_e64 v18, null, s7, 0, s6
	s_waitcnt lgkmcnt(0)
	v_mad_i64_i32 v[1:2], null, s21, s17, v[17:18]
	v_mad_i64_i32 v[3:4], null, s13, s17, v[17:18]
	;; [unrolled: 1-line block ×7, first 2 shown]
	s_clause 0x9
	global_load_b128 v[49:52], v[1:2], off
	global_load_b128 v[53:56], v[1:2], off offset:16
	global_load_b128 v[41:44], v[3:4], off
	global_load_b128 v[45:48], v[3:4], off offset:16
	global_load_b128 v[33:36], v[5:6], off
	global_load_b128 v[37:40], v[5:6], off offset:16
	global_load_b128 v[1:4], v[7:8], off
	global_load_b128 v[5:8], v[7:8], off offset:16
	global_load_b128 v[9:12], v[13:14], off
	global_load_b128 v[13:16], v[13:14], off offset:16
	v_mad_i64_i32 v[119:120], null, s4, s17, v[17:18]
	s_clause 0x3
	global_load_b128 v[17:20], v[21:22], off
	global_load_b128 v[21:24], v[21:22], off offset:16
	global_load_b128 v[25:28], v[29:30], off
	global_load_b128 v[29:32], v[29:30], off offset:16
	s_waitcnt vmcnt(20)
	v_wmma_f32_16x16x16_f16 v[111:118], v[57:64], v[103:110], v[95:102]
	s_clause 0x1
	global_load_b128 v[57:60], v[119:120], off
	global_load_b128 v[61:64], v[119:120], off offset:16
	s_waitcnt vmcnt(20)
	v_wmma_f32_16x16x16_f16 v[95:102], v[71:78], v[103:110], v[95:102]
	ds_load_b128 v[71:74], v121 offset:2048
	ds_load_b128 v[75:78], v121 offset:3072
	v_mbcnt_lo_u32_b32 v104, -1, 0
	s_waitcnt vmcnt(0) lgkmcnt(0)
	s_barrier
	buffer_gl0_inv
	v_xor_b32_e32 v105, 16, v104
	s_delay_alu instid0(VALU_DEP_1) | instskip(SKIP_4) | instid1(VALU_DEP_2)
	v_cmp_gt_i32_e32 vcc_lo, 32, v105
	v_cndmask_b32_e32 v104, v104, v105, vcc_lo
	v_wmma_f32_16x16x16_f16 v[111:118], v[79:86], v[71:78], v[111:118]
	v_and_b32_e32 v103, 0xe0, v0
	v_wmma_f32_16x16x16_f16 v[95:102], v[87:94], v[71:78], v[95:102]
	v_dual_mul_f32 v78, s19, v113 :: v_dual_add_nc_u32 v103, s12, v103
	s_delay_alu instid0(VALU_DEP_2) | instskip(SKIP_1) | instid1(VALU_DEP_3)
	v_dual_mul_f32 v90, s19, v101 :: v_dual_mul_f32 v87, s19, v112
	v_dual_mul_f32 v88, s19, v111 :: v_dual_mul_f32 v77, s19, v114
	v_or_b32_e32 v103, v103, v67
	v_dual_mul_f32 v75, s19, v116 :: v_dual_mul_f32 v94, s19, v97
	v_dual_mul_f32 v76, s19, v115 :: v_dual_mul_f32 v73, s19, v118
	v_mul_f32_e32 v92, s19, v99
	s_delay_alu instid0(VALU_DEP_4)
	v_or_b32_e32 v105, 2, v103
	v_or_b32_e32 v106, 4, v103
	;; [unrolled: 1-line block ×3, first 2 shown]
	v_cmp_gt_i32_e64 s3, s24, v103
	v_or_b32_e32 v108, 8, v103
	v_cmp_gt_i32_e32 vcc_lo, s24, v105
	v_or_b32_e32 v109, 10, v103
	v_cmp_gt_i32_e64 s4, s24, v106
	v_cndmask_b32_e64 v88, 0xff7fffff, v88, s3
	v_cmp_gt_i32_e64 s5, s24, v107
	v_cndmask_b32_e32 v87, 0xff7fffff, v87, vcc_lo
	v_or_b32_e32 v79, 12, v103
	v_or_b32_e32 v80, 14, v103
	v_cndmask_b32_e64 v78, 0xff7fffff, v78, s4
	v_cndmask_b32_e64 v77, 0xff7fffff, v77, s5
	v_max3_f32 v87, v88, 0xff7fffff, v87
	v_cmp_gt_i32_e64 s6, s24, v108
	v_cmp_gt_i32_e64 s7, s24, v109
	v_or_b32_e32 v81, 16, v103
	v_or_b32_e32 v82, 18, v103
	v_mul_f32_e32 v74, s19, v117
	v_cndmask_b32_e64 v76, 0xff7fffff, v76, s6
	v_cndmask_b32_e64 v75, 0xff7fffff, v75, s7
	v_max3_f32 v77, v87, v78, v77
	v_cmp_gt_i32_e64 s8, s24, v79
	v_cmp_gt_i32_e64 s9, s24, v80
	v_or_b32_e32 v83, 20, v103
	v_or_b32_e32 v84, 22, v103
	;; [unrolled: 1-line block ×6, first 2 shown]
	v_mul_f32_e32 v105, s19, v96
	v_mul_f32_e32 v103, s19, v95
	v_cndmask_b32_e64 v74, 0xff7fffff, v74, s8
	v_cndmask_b32_e64 v73, 0xff7fffff, v73, s9
	v_max3_f32 v75, v77, v76, v75
	v_cmp_gt_i32_e64 s10, s24, v81
	v_cmp_gt_i32_e64 s11, s24, v82
	v_mul_f32_e32 v93, s19, v98
	v_cmp_gt_i32_e64 s12, s24, v83
	v_max3_f32 v73, v75, v74, v73
	v_cndmask_b32_e64 v76, 0xff7fffff, v103, s10
	v_cndmask_b32_e64 v77, 0xff7fffff, v105, s11
	v_cmp_gt_i32_e64 s13, s24, v84
	v_mul_f32_e32 v91, s19, v100
	v_cndmask_b32_e64 v74, 0xff7fffff, v94, s12
	v_cmp_gt_i32_e64 s15, s24, v85
	v_max3_f32 v73, v73, v76, v77
	v_cndmask_b32_e64 v75, 0xff7fffff, v93, s13
	v_cmp_gt_i32_e64 s16, s24, v86
	v_mul_f32_e32 v89, s19, v102
	v_cndmask_b32_e64 v76, 0xff7fffff, v92, s15
	v_cmp_gt_i32_e64 s17, s24, v71
	v_max3_f32 v73, v73, v74, v75
	v_cndmask_b32_e64 v77, 0xff7fffff, v91, s16
	v_cmp_gt_i32_e64 s18, s24, v72
	v_lshlrev_b32_e32 v74, 2, v104
	v_cndmask_b32_e64 v71, 0xff7fffff, v90, s17
	s_delay_alu instid0(VALU_DEP_4) | instskip(NEXT) | instid1(VALU_DEP_4)
	v_max3_f32 v73, v73, v76, v77
	v_cndmask_b32_e64 v72, 0xff7fffff, v89, s18
	s_delay_alu instid0(VALU_DEP_1) | instskip(SKIP_3) | instid1(VALU_DEP_1)
	v_max3_f32 v71, v73, v71, v72
	ds_bpermute_b32 v72, v74, v71
	s_waitcnt lgkmcnt(0)
	v_max_f32_e32 v72, v72, v72
	v_max_f32_e32 v71, v71, v72
	s_delay_alu instid0(VALU_DEP_1)
	v_fma_f32 v72, s19, v111, -v71
	v_fma_f32 v76, s19, v114, -v71
	;; [unrolled: 1-line block ×5, first 2 shown]
	v_mul_f32_e32 v72, 0x3fb8aa3b, v72
	v_mul_f32_e32 v76, 0x3fb8aa3b, v76
	v_fma_f32 v75, s19, v113, -v71
	v_mul_f32_e32 v79, 0x3fb8aa3b, v77
	v_mul_f32_e32 v85, 0x3fb8aa3b, v84
	v_exp_f32_e32 v72, v72
	v_exp_f32_e32 v76, v76
	v_fma_f32 v86, s19, v98, -v71
	v_exp_f32_e32 v82, v79
	v_exp_f32_e32 v85, v85
	v_fma_f32 v81, s19, v117, -v71
	s_delay_alu instid0(VALU_DEP_2) | instskip(SKIP_3) | instid1(TRANS32_DEP_3)
	v_mul_f32_e32 v87, 0x3fb8aa3b, v86
	v_cndmask_b32_e64 v78, 0, v72, s3
	v_fma_f32 v72, s19, v116, -v71
	v_mul_f32_e32 v73, 0x3fb8aa3b, v73
	v_cndmask_b32_e64 v79, 0, v76, s5
	v_fma_f32 v76, s19, v95, -v71
	s_delay_alu instid0(VALU_DEP_4) | instskip(NEXT) | instid1(VALU_DEP_4)
	v_dual_mul_f32 v75, 0x3fb8aa3b, v75 :: v_dual_mul_f32 v72, 0x3fb8aa3b, v72
	v_exp_f32_e32 v73, v73
	v_exp_f32_e32 v87, v87
	s_delay_alu instid0(VALU_DEP_2) | instskip(NEXT) | instid1(VALU_DEP_2)
	v_mul_f32_e32 v76, 0x3fb8aa3b, v76
	v_exp_f32_e32 v75, v75
	v_cndmask_b32_e64 v85, 0, v85, s11
	v_mul_f32_e32 v81, 0x3fb8aa3b, v81
	v_exp_f32_e32 v72, v72
	v_cndmask_b32_e64 v82, 0, v82, s6
	v_exp_f32_e32 v76, v76
	s_mov_b32 s3, exec_lo
	v_cndmask_b32_e32 v77, 0, v73, vcc_lo
	v_add_f32_e32 v73, 0, v78
	v_cndmask_b32_e64 v87, 0, v87, s13
	v_cndmask_b32_e64 v80, 0, v75, s4
	v_fma_f32 v75, s19, v118, -v71
	v_exp_f32_e32 v83, v81
	v_add_f32_e32 v73, v73, v77
	v_cndmask_b32_e64 v81, 0, v72, s7
	v_cndmask_b32_e64 v86, 0, v76, s10
	v_mul_f32_e32 v75, 0x3fb8aa3b, v75
	s_delay_alu instid0(VALU_DEP_4) | instskip(NEXT) | instid1(VALU_DEP_2)
	v_add_f32_e32 v73, v73, v80
	v_exp_f32_e32 v75, v75
	s_delay_alu instid0(TRANS32_DEP_2) | instskip(NEXT) | instid1(VALU_DEP_2)
	v_cndmask_b32_e64 v84, 0, v83, s8
	v_add_f32_e32 v73, v73, v79
	s_delay_alu instid0(VALU_DEP_1) | instskip(SKIP_3) | instid1(VALU_DEP_1)
	v_add_f32_e32 v72, v73, v82
	s_waitcnt_depctr 0xfff
	v_cndmask_b32_e64 v83, 0, v75, s9
	v_add_f32_e32 v72, v72, v81
	v_add_f32_e32 v72, v72, v84
	s_delay_alu instid0(VALU_DEP_1) | instskip(NEXT) | instid1(VALU_DEP_1)
	v_add_f32_e32 v72, v72, v83
	v_add_f32_e32 v72, v72, v86
	v_fma_f32 v73, s19, v97, -v71
	v_fma_f32 v75, s19, v99, -v71
	;; [unrolled: 1-line block ×4, first 2 shown]
	v_add_f32_e32 v72, v72, v85
	v_mul_f32_e32 v73, 0x3fb8aa3b, v73
	s_delay_alu instid0(VALU_DEP_4) | instskip(NEXT) | instid1(VALU_DEP_2)
	v_dual_mul_f32 v75, 0x3fb8aa3b, v75 :: v_dual_mul_f32 v76, 0x3fb8aa3b, v76
	v_exp_f32_e32 v73, v73
	s_delay_alu instid0(VALU_DEP_1) | instskip(NEXT) | instid1(VALU_DEP_1)
	v_exp_f32_e32 v75, v75
	v_exp_f32_e32 v76, v76
	s_delay_alu instid0(TRANS32_DEP_3)
	v_cndmask_b32_e64 v88, 0, v73, s12
	v_mul_f32_e32 v73, 0x3fb8aa3b, v89
	v_fma_f32 v89, s19, v102, -v71
	s_waitcnt_depctr 0xfff
	v_cndmask_b32_e64 v90, 0, v75, s15
	v_add_f32_e32 v72, v72, v88
	v_exp_f32_e32 v73, v73
	v_mul_f32_e32 v75, 0x3fb8aa3b, v89
	v_cndmask_b32_e64 v89, 0, v76, s16
	s_delay_alu instid0(VALU_DEP_3) | instskip(NEXT) | instid1(VALU_DEP_3)
	v_add_f32_e32 v72, v72, v87
	v_exp_f32_e32 v75, v75
	s_delay_alu instid0(VALU_DEP_1) | instskip(SKIP_4) | instid1(VALU_DEP_2)
	v_add_f32_e32 v72, v72, v90
	s_waitcnt_depctr 0xfff
	v_cndmask_b32_e64 v92, 0, v73, s17
	v_add_f32_e32 v72, v72, v89
	v_cndmask_b32_e64 v91, 0, v75, s18
	v_add_f32_e32 v72, v72, v92
	s_delay_alu instid0(VALU_DEP_1)
	v_add_f32_e32 v72, v72, v91
	ds_bpermute_b32 v73, v74, v72
	v_cmpx_gt_u32_e32 16, v70
	s_cbranch_execz .LBB917_12
; %bb.11:
	v_mul_u32_u24_e32 v70, 0x44, v68
	s_waitcnt lgkmcnt(0)
	v_add_f32_e32 v72, v72, v73
	s_delay_alu instid0(VALU_DEP_2) | instskip(NEXT) | instid1(VALU_DEP_1)
	v_lshl_add_u32 v70, v69, 2, v70
	v_add_nc_u32_e32 v70, 0x4000, v70
	ds_store_2addr_b32 v70, v71, v72 offset1:136
.LBB917_12:
	s_or_b32 exec_lo, exec_lo, s3
	v_lshlrev_b32_e32 v70, 2, v69
	s_load_b32 s35, s[0:1], 0x94
	s_waitcnt lgkmcnt(0)
	s_barrier
	buffer_gl0_inv
	v_add_nc_u32_e32 v74, 0x4000, v70
	v_cmp_eq_u32_e32 vcc_lo, 1, v68
	v_cmp_eq_u32_e64 s3, 2, v68
	v_cmp_eq_u32_e64 s4, 3, v68
	;; [unrolled: 1-line block ×3, first 2 shown]
	ds_load_2addr_b32 v[70:71], v74 offset1:17
	ds_load_2addr_b32 v[72:73], v74 offset0:34 offset1:51
	ds_load_2addr_b32 v[93:94], v74 offset0:68 offset1:85
	;; [unrolled: 1-line block ×3, first 2 shown]
	v_cmp_eq_u32_e64 s6, 5, v68
	v_cmp_eq_u32_e64 s7, 7, v68
	s_waitcnt lgkmcnt(3)
	v_max3_f32 v75, v70, 0xff7fffff, v71
	s_waitcnt lgkmcnt(2)
	s_delay_alu instid0(VALU_DEP_1) | instskip(SKIP_1) | instid1(VALU_DEP_1)
	v_max3_f32 v75, v75, v72, v73
	s_waitcnt lgkmcnt(1)
	v_max3_f32 v75, v75, v93, v94
	s_waitcnt lgkmcnt(0)
	s_delay_alu instid0(VALU_DEP_1) | instskip(NEXT) | instid1(VALU_DEP_1)
	v_max3_f32 v75, v75, v95, v96
	v_sub_f32_e32 v93, v93, v75
	ds_load_2addr_b32 v[97:98], v74 offset0:136 offset1:153
	v_sub_f32_e32 v70, v70, v75
	v_dual_sub_f32 v100, v73, v75 :: v_dual_mul_f32 v103, 0x3fb8aa3b, v93
	s_delay_alu instid0(VALU_DEP_2) | instskip(SKIP_3) | instid1(VALU_DEP_1)
	v_dual_sub_f32 v76, v71, v75 :: v_dual_mul_f32 v99, 0x3fb8aa3b, v70
	ds_load_2addr_b32 v[70:71], v74 offset0:170 offset1:187
	v_mul_f32_e32 v76, 0x3fb8aa3b, v76
	v_exp_f32_e32 v99, v99
	v_exp_f32_e32 v102, v76
	v_mul_f32_e32 v100, 0x3fb8aa3b, v100
	s_waitcnt lgkmcnt(1)
	s_waitcnt_depctr 0xfff
	v_fma_f32 v76, v99, v97, 0
	v_sub_f32_e32 v97, v94, v75
	v_sub_f32_e32 v72, v72, v75
	v_exp_f32_e32 v100, v100
	ds_load_2addr_b32 v[93:94], v74 offset0:238 offset1:255
	v_dual_fmac_f32 v76, v102, v98 :: v_dual_mul_f32 v101, 0x3fb8aa3b, v72
	ds_load_2addr_b32 v[72:73], v74 offset0:204 offset1:221
	v_dual_sub_f32 v74, v95, v75 :: v_dual_mul_f32 v95, 0x3fb8aa3b, v97
	v_exp_f32_e32 v97, v103
	v_exp_f32_e32 v101, v101
	s_waitcnt lgkmcnt(0)
	s_delay_alu instid0(VALU_DEP_1)
	v_mul_f32_e32 v74, 0x3fb8aa3b, v74
	v_exp_f32_e32 v95, v95
	s_barrier
	buffer_gl0_inv
	v_fmac_f32_e32 v76, v101, v70
	v_sub_f32_e32 v70, v96, v75
	v_exp_f32_e32 v96, v74
	s_delay_alu instid0(VALU_DEP_2) | instskip(NEXT) | instid1(VALU_DEP_2)
	v_fmac_f32_e32 v76, v100, v71
	v_mul_f32_e32 v70, 0x3fb8aa3b, v70
	s_delay_alu instid0(VALU_DEP_2) | instskip(NEXT) | instid1(VALU_DEP_2)
	v_dual_cndmask_b32 v71, v99, v102 :: v_dual_fmac_f32 v76, v97, v72
	v_exp_f32_e32 v98, v70
	v_lshlrev_b32_e32 v72, 6, v69
	s_delay_alu instid0(VALU_DEP_2) | instskip(NEXT) | instid1(VALU_DEP_2)
	v_dual_fmac_f32 v76, v95, v73 :: v_dual_lshlrev_b32 v69, 2, v67
	v_lshl_or_b32 v74, v68, 11, v72
	s_delay_alu instid0(VALU_DEP_2)
	v_cmp_eq_u32_e64 s8, 7, v69
	s_delay_alu instid0(TRANS32_DEP_2) | instid1(VALU_DEP_3)
	v_fmac_f32_e32 v76, v96, v93
	s_waitcnt_depctr 0xfff
	v_fmac_f32_e32 v76, v98, v94
	s_delay_alu instid0(VALU_DEP_1) | instskip(NEXT) | instid1(VALU_DEP_1)
	v_add_f32_e32 v73, 0x358637bd, v76
	v_div_scale_f32 v93, null, v73, v73, 1.0
	v_div_scale_f32 v99, vcc_lo, 1.0, v73, 1.0
	s_delay_alu instid0(VALU_DEP_2) | instskip(SKIP_2) | instid1(VALU_DEP_1)
	v_rcp_f32_e32 v94, v93
	s_waitcnt_depctr 0xfff
	v_fma_f32 v70, -v93, v94, 1.0
	v_fmac_f32_e32 v94, v70, v94
	v_cndmask_b32_e64 v70, v71, v101, s3
	v_cmp_eq_u32_e64 s3, 6, v68
	v_or_b32_e32 v71, 1, v69
	v_or_b32_e32 v68, 2, v69
	v_mul_f32_e32 v101, v99, v94
	v_cndmask_b32_e64 v70, v70, v100, s4
	v_cmp_eq_u32_e64 s4, 1, v69
	v_cmp_eq_u32_e64 s9, 1, v71
	;; [unrolled: 1-line block ×3, first 2 shown]
	v_fma_f32 v100, -v93, v101, v99
	v_cndmask_b32_e64 v70, v70, v97, s5
	v_cmp_eq_u32_e64 s5, 2, v69
	v_cmp_eq_u32_e64 s12, 2, v71
	;; [unrolled: 1-line block ×3, first 2 shown]
	v_fmac_f32_e32 v101, v100, v94
	v_cndmask_b32_e64 v95, v70, v95, s6
	v_or_b32_e32 v70, 3, v69
	v_cmp_eq_u32_e64 s13, 3, v71
	v_cmp_eq_u32_e64 s17, 3, v68
	v_fma_f32 v93, -v93, v101, v99
	v_cndmask_b32_e64 v95, v95, v96, s3
	v_cmp_eq_u32_e64 s11, 1, v70
	v_cmp_eq_u32_e64 s16, 2, v70
	;; [unrolled: 1-line block ×3, first 2 shown]
	v_div_fmas_f32 v93, v93, v94, v101
	v_cndmask_b32_e64 v94, v95, v98, s7
	v_cmp_eq_u32_e32 vcc_lo, 3, v69
	v_cmp_eq_u32_e64 s3, 4, v69
	v_cmp_eq_u32_e64 s19, 4, v71
	v_div_fixup_f32 v93, v93, v73, 1.0
	v_lshl_or_b32 v73, v67, 4, v74
	v_cmp_eq_u32_e64 s22, 4, v70
	v_cmp_eq_u32_e64 s6, 5, v69
	;; [unrolled: 1-line block ×3, first 2 shown]
	v_mul_f32_e32 v101, v94, v93
	v_cmp_eq_u32_e64 s21, 4, v68
	v_cmp_eq_u32_e64 s24, 5, v70
	;; [unrolled: 1-line block ×4, first 2 shown]
	v_fma_mixlo_f16 v93, v101, v78, 0
	v_fma_mixlo_f16 v94, v101, v80, 0
	;; [unrolled: 1-line block ×8, first 2 shown]
	v_fma_mixhi_f16 v93, v101, v77, 0
	v_fma_mixhi_f16 v94, v101, v79, 0
	;; [unrolled: 1-line block ×8, first 2 shown]
	ds_store_b128 v73, v[93:96]
	ds_store_b128 v73, v[97:100] offset:1024
	s_waitcnt lgkmcnt(0)
	s_barrier
	buffer_gl0_inv
	ds_load_b128 v[77:80], v74
	ds_load_b128 v[81:84], v74 offset:16
	ds_load_b128 v[85:88], v74 offset:1024
	;; [unrolled: 1-line block ×3, first 2 shown]
	v_cmp_eq_u32_e64 s27, 6, v70
	v_cmp_eq_u32_e64 s7, 6, v69
	;; [unrolled: 1-line block ×6, first 2 shown]
	s_waitcnt lgkmcnt(3)
	v_lshrrev_b32_e32 v93, 16, v77
	s_waitcnt lgkmcnt(2)
	v_lshrrev_b32_e32 v97, 16, v81
	;; [unrolled: 2-line block ×4, first 2 shown]
	v_lshrrev_b32_e32 v94, 16, v78
	v_cndmask_b32_e64 v109, v77, v93, s4
	v_cndmask_b32_e64 v110, v81, v97, s4
	v_cndmask_b32_e64 v111, v77, v93, s9
	v_cndmask_b32_e64 v112, v81, v97, s9
	v_cndmask_b32_e64 v113, v77, v93, s10
	v_cndmask_b32_e64 v114, v81, v97, s10
	v_cndmask_b32_e64 v77, v77, v93, s11
	v_cndmask_b32_e64 v81, v81, v97, s11
	v_lshrrev_b32_e32 v98, 16, v82
	v_cndmask_b32_e64 v93, v85, v101, s4
	v_cndmask_b32_e64 v97, v89, v105, s4
	;; [unrolled: 1-line block ×15, first 2 shown]
	v_lshrrev_b32_e32 v102, 16, v86
	v_lshrrev_b32_e32 v106, 16, v90
	v_cndmask_b32_e64 v112, v114, v82, s15
	v_cndmask_b32_e64 v81, v93, v86, s5
	;; [unrolled: 1-line block ×7, first 2 shown]
	v_cndmask_b32_e32 v89, v101, v94, vcc_lo
	v_cndmask_b32_e32 v101, v105, v98, vcc_lo
	v_cndmask_b32_e64 v105, v109, v94, s13
	v_cndmask_b32_e64 v109, v110, v98, s13
	;; [unrolled: 1-line block ×4, first 2 shown]
	v_lshrrev_b32_e32 v95, 16, v79
	v_lshrrev_b32_e32 v99, 16, v83
	v_cndmask_b32_e64 v110, v111, v94, s17
	v_cndmask_b32_e64 v111, v112, v98, s17
	v_cndmask_b32_e32 v81, v81, v102, vcc_lo
	v_cndmask_b32_e32 v82, v82, v106, vcc_lo
	v_cndmask_b32_e64 v93, v93, v102, s13
	v_cndmask_b32_e64 v89, v89, v79, s3
	;; [unrolled: 1-line block ×7, first 2 shown]
	v_lshrrev_b32_e32 v103, 16, v87
	v_cndmask_b32_e64 v105, v110, v79, s21
	v_cndmask_b32_e64 v109, v111, v83, s21
	;; [unrolled: 1-line block ×11, first 2 shown]
	v_lshrrev_b32_e32 v96, 16, v80
	v_lshrrev_b32_e32 v100, 16, v84
	v_cndmask_b32_e64 v98, v105, v95, s23
	v_cndmask_b32_e64 v101, v109, v99, s23
	;; [unrolled: 1-line block ×7, first 2 shown]
	v_lshrrev_b32_e32 v104, 16, v88
	v_cndmask_b32_e64 v79, v79, v103, s6
	v_cndmask_b32_e64 v83, v83, v80, s7
	;; [unrolled: 1-line block ×16, first 2 shown]
	v_perm_b32 v80, v78, v77, 0x5040100
	v_perm_b32 v78, v94, v84, 0x5040100
	v_cndmask_b32_e64 v77, v118, v90, s15
	v_cndmask_b32_e64 v84, v116, v90, s12
	;; [unrolled: 1-line block ×3, first 2 shown]
	v_perm_b32 v79, v93, v89, 0x5040100
	v_cndmask_b32_e64 v89, v97, v102, s17
	v_cndmask_b32_e64 v85, v85, v102, s18
	v_cndmask_b32_e64 v86, v86, v106, s18
	v_cndmask_b32_e64 v77, v77, v106, s17
	v_cndmask_b32_e64 v84, v84, v106, s13
	v_lshrrev_b32_e32 v107, 16, v91
	v_cndmask_b32_e64 v89, v89, v87, s21
	v_cndmask_b32_e64 v85, v85, v87, s22
	;; [unrolled: 1-line block ×11, first 2 shown]
	v_lshrrev_b32_e32 v108, 16, v92
	v_cndmask_b32_e64 v81, v81, v92, s7
	v_cndmask_b32_e64 v87, v87, v88, s26
	;; [unrolled: 1-line block ×12, first 2 shown]
	v_perm_b32 v77, v83, v82, 0x5040100
	v_perm_b32 v84, v86, v85, 0x5040100
	;; [unrolled: 1-line block ×5, first 2 shown]
	s_lshl_b32 s8, s33, 3
	s_mov_b32 s3, exec_lo
	ds_store_b128 v73, v[77:80]
	ds_store_b128 v73, v[81:84] offset:1024
	v_cmpx_gt_u32_e32 8, v0
	s_cbranch_execz .LBB917_14
; %bb.13:
	v_or_b32_e32 v77, s31, v0
	s_load_b128 s[4:7], s[0:1], 0x58
	s_delay_alu instid0(VALU_DEP_1) | instskip(NEXT) | instid1(VALU_DEP_1)
	v_mad_u64_u32 v[78:79], null, s8, s34, v[77:78]
	v_mad_u64_u32 v[79:80], null, v78, s35, s[14:15]
	s_delay_alu instid0(VALU_DEP_1) | instskip(NEXT) | instid1(VALU_DEP_1)
	v_ashrrev_i32_e32 v80, 31, v79
	v_lshlrev_b64 v[77:78], 2, v[79:80]
	s_waitcnt lgkmcnt(0)
	s_delay_alu instid0(VALU_DEP_1) | instskip(NEXT) | instid1(VALU_DEP_2)
	v_add_co_u32 v79, vcc_lo, s6, v77
	v_add_co_ci_u32_e32 v80, vcc_lo, s7, v78, vcc_lo
	v_add_co_u32 v77, vcc_lo, s4, v77
	v_add_co_ci_u32_e32 v78, vcc_lo, s5, v78, vcc_lo
	global_store_b32 v[79:80], v75, off
	global_store_b32 v[77:78], v76, off
.LBB917_14:
	s_or_b32 exec_lo, exec_lo, s3
	s_waitcnt lgkmcnt(0)
	s_waitcnt_vscnt null, 0x0
	s_barrier
	buffer_gl0_inv
	ds_load_b128 v[83:86], v72
	ds_load_b128 v[87:90], v72 offset:16
	ds_load_b128 v[95:98], v72 offset:2064
	;; [unrolled: 1-line block ×5, first 2 shown]
	v_cmp_eq_u32_e32 vcc_lo, 1, v69
	v_mov_b32_e32 v75, 0
	ds_load_b128 v[111:114], v72 offset:6160
	ds_load_b128 v[107:110], v72 offset:6144
	ds_load_b128 v[119:122], v72 offset:8208
	ds_load_b128 v[115:118], v72 offset:8192
	v_cmp_eq_u32_e64 s4, 1, v68
	v_cmp_eq_u32_e64 s3, 1, v71
	;; [unrolled: 1-line block ×3, first 2 shown]
	v_mov_b32_e32 v76, v75
	v_mov_b32_e32 v77, v75
	;; [unrolled: 1-line block ×7, first 2 shown]
	v_cmp_eq_u32_e64 s6, 3, v71
	v_cmp_eq_u32_e64 s7, 7, v71
	s_waitcnt lgkmcnt(8)
	s_delay_alu instid0(VALU_DEP_3)
	v_wmma_f32_16x16x16_f16 v[75:82], v[49:56], v[83:90], v[75:82]
	ds_load_b128 v[53:56], v72 offset:10256
	ds_load_b128 v[49:52], v72 offset:10240
	s_waitcnt lgkmcnt(8)
	v_wmma_f32_16x16x16_f16 v[75:82], v[41:48], v[91:98], v[75:82]
	ds_load_b128 v[45:48], v72 offset:12304
	ds_load_b128 v[41:44], v72 offset:12288
	s_waitcnt lgkmcnt(8)
	;; [unrolled: 4-line block ×3, first 2 shown]
	s_barrier
	buffer_gl0_inv
	v_wmma_f32_16x16x16_f16 v[75:82], v[1:8], v[107:114], v[75:82]
	s_delay_alu instid0(VALU_DEP_1) | instskip(NEXT) | instid1(VALU_DEP_1)
	v_wmma_f32_16x16x16_f16 v[75:82], v[9:16], v[115:122], v[75:82]
	v_wmma_f32_16x16x16_f16 v[75:82], v[17:24], v[49:56], v[75:82]
	s_delay_alu instid0(VALU_DEP_1) | instskip(NEXT) | instid1(VALU_DEP_1)
	v_wmma_f32_16x16x16_f16 v[75:82], v[25:32], v[41:48], v[75:82]
	v_wmma_f32_16x16x16_f16 v[75:82], v[57:64], v[33:40], v[75:82]
	s_delay_alu instid0(VALU_DEP_1) | instskip(NEXT) | instid1(VALU_DEP_2)
	v_cvt_f16_f32_e32 v1, v75
	v_cvt_f16_f32_e32 v2, v76
	s_delay_alu instid0(VALU_DEP_3) | instskip(NEXT) | instid1(VALU_DEP_4)
	v_cvt_f16_f32_e32 v3, v77
	v_cvt_f16_f32_e32 v4, v78
	;; [unrolled: 1-line block ×6, first 2 shown]
	v_pack_b32_f16 v1, v1, v2
	v_pack_b32_f16 v2, v3, v4
	;; [unrolled: 1-line block ×3, first 2 shown]
	s_delay_alu instid0(VALU_DEP_4)
	v_pack_b32_f16 v4, v7, v8
	ds_store_b128 v73, v[1:4]
	s_waitcnt lgkmcnt(0)
	s_barrier
	buffer_gl0_inv
	ds_load_b128 v[1:4], v74
	ds_load_b128 v[5:8], v74 offset:16
	s_waitcnt lgkmcnt(1)
	v_lshrrev_b32_e32 v9, 16, v1
	s_waitcnt lgkmcnt(0)
	v_lshrrev_b32_e32 v13, 16, v5
	v_lshrrev_b32_e32 v10, 16, v2
	;; [unrolled: 1-line block ×4, first 2 shown]
	v_cndmask_b32_e32 v17, v1, v9, vcc_lo
	v_cndmask_b32_e32 v18, v5, v13, vcc_lo
	v_cndmask_b32_e64 v21, v1, v9, s4
	v_cmp_eq_u32_e32 vcc_lo, 1, v70
	v_cndmask_b32_e64 v22, v5, v13, s4
	v_cmp_eq_u32_e64 s4, 2, v69
	v_cndmask_b32_e64 v19, v1, v9, s3
	v_cndmask_b32_e64 v20, v5, v13, s3
	v_cndmask_b32_e32 v1, v1, v9, vcc_lo
	v_cmp_eq_u32_e64 s3, 2, v70
	v_cndmask_b32_e32 v5, v5, v13, vcc_lo
	v_cndmask_b32_e64 v9, v17, v2, s4
	v_cmp_eq_u32_e32 vcc_lo, 3, v69
	v_cndmask_b32_e64 v13, v18, v6, s4
	v_cmp_eq_u32_e64 s4, 2, v68
	v_cndmask_b32_e64 v17, v19, v2, s5
	v_cndmask_b32_e64 v18, v20, v6, s5
	v_cmp_eq_u32_e64 s5, 3, v68
	v_cndmask_b32_e64 v1, v1, v2, s3
	v_cndmask_b32_e64 v19, v21, v2, s4
	;; [unrolled: 1-line block ×4, first 2 shown]
	v_cndmask_b32_e32 v5, v9, v10, vcc_lo
	v_cndmask_b32_e32 v6, v13, v14, vcc_lo
	v_cmp_eq_u32_e32 vcc_lo, 3, v70
	v_cndmask_b32_e64 v9, v17, v10, s6
	v_cndmask_b32_e64 v13, v18, v14, s6
	;; [unrolled: 1-line block ×3, first 2 shown]
	v_cmp_eq_u32_e64 s4, 4, v69
	v_cndmask_b32_e32 v1, v1, v10, vcc_lo
	v_cndmask_b32_e32 v2, v2, v14, vcc_lo
	v_cmp_eq_u32_e32 vcc_lo, 4, v71
	v_lshrrev_b32_e32 v15, 16, v7
	v_lshrrev_b32_e32 v16, 16, v8
	v_cndmask_b32_e64 v17, v19, v10, s5
	v_cmp_eq_u32_e64 s3, 4, v70
	v_cndmask_b32_e64 v5, v5, v3, s4
	v_cndmask_b32_e64 v6, v6, v7, s4
	v_cndmask_b32_e32 v9, v9, v3, vcc_lo
	v_cmp_eq_u32_e64 s4, 5, v71
	v_cndmask_b32_e32 v10, v13, v7, vcc_lo
	v_cmp_eq_u32_e32 vcc_lo, 4, v68
	v_cmp_eq_u32_e64 s5, 5, v69
	v_cndmask_b32_e64 v2, v2, v7, s3
	v_cndmask_b32_e64 v9, v9, v11, s4
	;; [unrolled: 1-line block ×3, first 2 shown]
	v_cndmask_b32_e32 v13, v17, v3, vcc_lo
	v_cmp_eq_u32_e64 s4, 5, v68
	v_cndmask_b32_e32 v14, v18, v7, vcc_lo
	v_cndmask_b32_e64 v1, v1, v3, s3
	v_cmp_eq_u32_e32 vcc_lo, 5, v70
	v_lshrrev_b32_e32 v12, 16, v4
	v_cndmask_b32_e64 v13, v13, v11, s4
	v_cndmask_b32_e64 v3, v14, v15, s4
	v_cmp_eq_u32_e64 s4, 6, v70
	v_cndmask_b32_e32 v1, v1, v11, vcc_lo
	v_cndmask_b32_e64 v5, v5, v11, s5
	v_cmp_eq_u32_e64 s6, 6, v69
	v_cndmask_b32_e64 v6, v6, v15, s5
	v_cmp_eq_u32_e64 s5, 6, v71
	v_cmp_eq_u32_e64 s3, 6, v68
	v_cndmask_b32_e64 v1, v1, v4, s4
	v_cndmask_b32_e32 v2, v2, v15, vcc_lo
	v_cmp_eq_u32_e32 vcc_lo, 7, v70
	v_cndmask_b32_e64 v5, v5, v4, s6
	v_cndmask_b32_e64 v9, v9, v4, s5
	;; [unrolled: 1-line block ×3, first 2 shown]
	v_cmp_eq_u32_e64 s6, 7, v69
	v_cndmask_b32_e32 v1, v1, v12, vcc_lo
	v_cndmask_b32_e64 v7, v13, v4, s3
	v_cndmask_b32_e64 v3, v3, v8, s3
	;; [unrolled: 1-line block ×3, first 2 shown]
	v_cmp_eq_u32_e64 s3, 7, v68
	v_cndmask_b32_e64 v4, v10, v8, s5
	v_cndmask_b32_e64 v5, v5, v12, s6
	;; [unrolled: 1-line block ×3, first 2 shown]
	v_cndmask_b32_e32 v2, v2, v16, vcc_lo
	v_cndmask_b32_e64 v7, v7, v12, s3
	v_cndmask_b32_e64 v3, v3, v16, s3
	;; [unrolled: 1-line block ×4, first 2 shown]
	v_cmp_gt_u32_e32 vcc_lo, 32, v0
	v_perm_b32 v4, v2, v1, 0x5040100
	v_perm_b32 v3, v3, v7, 0x5040100
	;; [unrolled: 1-line block ×4, first 2 shown]
	s_and_b32 s2, vcc_lo, s2
	ds_store_b128 v73, v[1:4]
	s_waitcnt lgkmcnt(0)
	s_barrier
	buffer_gl0_inv
	s_and_saveexec_b32 s3, s2
	s_cbranch_execz .LBB917_2
; %bb.15:
	s_load_b64 s[0:1], s[0:1], 0x68
	s_lshl_b32 s4, s35, 6
	v_or_b32_e32 v2, s31, v67
	s_mul_i32 s2, s4, s34
	v_lshlrev_b32_e32 v1, 10, v0
	s_mul_i32 s2, s2, s8
	v_lshlrev_b32_e32 v3, 4, v66
	v_mul_lo_u32 v0, v2, s4
	s_ashr_i32 s3, s2, 31
	v_lshlrev_b32_e32 v4, 6, v67
	v_and_b32_e32 v1, 0x3800, v1
	v_or_b32_e32 v5, 2, v2
	s_lshl_b64 s[2:3], s[2:3], 1
	v_or_b32_e32 v6, 4, v2
	v_or_b32_e32 v7, 6, v2
	v_or3_b32 v12, v1, v3, v4
	v_ashrrev_i32_e32 v1, 31, v0
	v_mul_lo_u32 v2, v5, s4
	v_mul_lo_u32 v16, v6, s4
	;; [unrolled: 1-line block ×3, first 2 shown]
	s_waitcnt lgkmcnt(0)
	s_add_u32 s2, s0, s2
	s_addc_u32 s3, s1, s3
	s_lshl_b32 s0, s14, 6
	v_lshlrev_b64 v[0:1], 1, v[0:1]
	s_ashr_i32 s1, s0, 31
	v_ashrrev_i32_e32 v3, 31, v2
	s_lshl_b64 s[0:1], s[0:1], 1
	v_ashrrev_i32_e32 v17, 31, v16
	s_add_u32 s0, s2, s0
	s_addc_u32 s1, s3, s1
	v_add_co_u32 v24, s0, s0, v65
	s_delay_alu instid0(VALU_DEP_1) | instskip(SKIP_1) | instid1(VALU_DEP_3)
	v_add_co_ci_u32_e64 v25, null, s1, 0, s0
	v_lshlrev_b64 v[22:23], 1, v[2:3]
	v_add_co_u32 v18, vcc_lo, v24, v0
	s_delay_alu instid0(VALU_DEP_3)
	v_add_co_ci_u32_e32 v19, vcc_lo, v25, v1, vcc_lo
	ds_load_b128 v[0:3], v12
	ds_load_b128 v[4:7], v12 offset:128
	ds_load_b128 v[8:11], v12 offset:256
	;; [unrolled: 1-line block ×3, first 2 shown]
	v_ashrrev_i32_e32 v21, 31, v20
	v_lshlrev_b64 v[16:17], 1, v[16:17]
	v_add_co_u32 v22, vcc_lo, v24, v22
	v_add_co_ci_u32_e32 v23, vcc_lo, v25, v23, vcc_lo
	s_delay_alu instid0(VALU_DEP_4) | instskip(NEXT) | instid1(VALU_DEP_4)
	v_lshlrev_b64 v[20:21], 1, v[20:21]
	v_add_co_u32 v16, vcc_lo, v24, v16
	v_add_co_ci_u32_e32 v17, vcc_lo, v25, v17, vcc_lo
	s_delay_alu instid0(VALU_DEP_3) | instskip(NEXT) | instid1(VALU_DEP_4)
	v_add_co_u32 v20, vcc_lo, v24, v20
	v_add_co_ci_u32_e32 v21, vcc_lo, v25, v21, vcc_lo
	s_waitcnt lgkmcnt(3)
	global_store_b128 v[18:19], v[0:3], off
	s_waitcnt lgkmcnt(2)
	global_store_b128 v[22:23], v[4:7], off
	;; [unrolled: 2-line block ×4, first 2 shown]
	s_nop 0
	s_sendmsg sendmsg(MSG_DEALLOC_VGPRS)
	s_endpgm
	.section	.rodata,"a",@progbits
	.p2align	6, 0x0
	.amdhsa_kernel _Z39paged_attention_ll4mi_QKV_mfma16_kernelIDF16_hLN4vllm18Fp8KVCacheDataTypeE1EDF16_Li32ELi64ELi256ELb0ELi8EL8MFMAType1EEvPKT_PKT0_S8_ifPKiSA_SA_iPKfiiiPfSD_PS3_PT2_iSC_SC_
		.amdhsa_group_segment_fixed_size 17472
		.amdhsa_private_segment_fixed_size 0
		.amdhsa_kernarg_size 400
		.amdhsa_user_sgpr_count 13
		.amdhsa_user_sgpr_dispatch_ptr 0
		.amdhsa_user_sgpr_queue_ptr 0
		.amdhsa_user_sgpr_kernarg_segment_ptr 1
		.amdhsa_user_sgpr_dispatch_id 0
		.amdhsa_user_sgpr_private_segment_size 0
		.amdhsa_wavefront_size32 1
		.amdhsa_uses_dynamic_stack 0
		.amdhsa_enable_private_segment 0
		.amdhsa_system_sgpr_workgroup_id_x 1
		.amdhsa_system_sgpr_workgroup_id_y 1
		.amdhsa_system_sgpr_workgroup_id_z 1
		.amdhsa_system_sgpr_workgroup_info 0
		.amdhsa_system_vgpr_workitem_id 0
		.amdhsa_next_free_vgpr 123
		.amdhsa_next_free_sgpr 42
		.amdhsa_reserve_vcc 1
		.amdhsa_float_round_mode_32 0
		.amdhsa_float_round_mode_16_64 0
		.amdhsa_float_denorm_mode_32 3
		.amdhsa_float_denorm_mode_16_64 3
		.amdhsa_dx10_clamp 1
		.amdhsa_ieee_mode 1
		.amdhsa_fp16_overflow 0
		.amdhsa_workgroup_processor_mode 1
		.amdhsa_memory_ordered 1
		.amdhsa_forward_progress 0
		.amdhsa_shared_vgpr_count 0
		.amdhsa_exception_fp_ieee_invalid_op 0
		.amdhsa_exception_fp_denorm_src 0
		.amdhsa_exception_fp_ieee_div_zero 0
		.amdhsa_exception_fp_ieee_overflow 0
		.amdhsa_exception_fp_ieee_underflow 0
		.amdhsa_exception_fp_ieee_inexact 0
		.amdhsa_exception_int_div_zero 0
	.end_amdhsa_kernel
	.section	.text._Z39paged_attention_ll4mi_QKV_mfma16_kernelIDF16_hLN4vllm18Fp8KVCacheDataTypeE1EDF16_Li32ELi64ELi256ELb0ELi8EL8MFMAType1EEvPKT_PKT0_S8_ifPKiSA_SA_iPKfiiiPfSD_PS3_PT2_iSC_SC_,"axG",@progbits,_Z39paged_attention_ll4mi_QKV_mfma16_kernelIDF16_hLN4vllm18Fp8KVCacheDataTypeE1EDF16_Li32ELi64ELi256ELb0ELi8EL8MFMAType1EEvPKT_PKT0_S8_ifPKiSA_SA_iPKfiiiPfSD_PS3_PT2_iSC_SC_,comdat
.Lfunc_end917:
	.size	_Z39paged_attention_ll4mi_QKV_mfma16_kernelIDF16_hLN4vllm18Fp8KVCacheDataTypeE1EDF16_Li32ELi64ELi256ELb0ELi8EL8MFMAType1EEvPKT_PKT0_S8_ifPKiSA_SA_iPKfiiiPfSD_PS3_PT2_iSC_SC_, .Lfunc_end917-_Z39paged_attention_ll4mi_QKV_mfma16_kernelIDF16_hLN4vllm18Fp8KVCacheDataTypeE1EDF16_Li32ELi64ELi256ELb0ELi8EL8MFMAType1EEvPKT_PKT0_S8_ifPKiSA_SA_iPKfiiiPfSD_PS3_PT2_iSC_SC_
                                        ; -- End function
	.section	.AMDGPU.csdata,"",@progbits
; Kernel info:
; codeLenInByte = 6500
; NumSgprs: 44
; NumVgprs: 123
; ScratchSize: 0
; MemoryBound: 0
; FloatMode: 240
; IeeeMode: 1
; LDSByteSize: 17472 bytes/workgroup (compile time only)
; SGPRBlocks: 5
; VGPRBlocks: 15
; NumSGPRsForWavesPerEU: 44
; NumVGPRsForWavesPerEU: 123
; Occupancy: 10
; WaveLimiterHint : 1
; COMPUTE_PGM_RSRC2:SCRATCH_EN: 0
; COMPUTE_PGM_RSRC2:USER_SGPR: 13
; COMPUTE_PGM_RSRC2:TRAP_HANDLER: 0
; COMPUTE_PGM_RSRC2:TGID_X_EN: 1
; COMPUTE_PGM_RSRC2:TGID_Y_EN: 1
; COMPUTE_PGM_RSRC2:TGID_Z_EN: 1
; COMPUTE_PGM_RSRC2:TIDIG_COMP_CNT: 0
	.section	.text._Z39paged_attention_ll4mi_QKV_mfma16_kernelIDF16_hLN4vllm18Fp8KVCacheDataTypeE1EDF16_Li32ELi64ELi256ELb0ELi9EL8MFMAType1EEvPKT_PKT0_S8_ifPKiSA_SA_iPKfiiiPfSD_PS3_PT2_iSC_SC_,"axG",@progbits,_Z39paged_attention_ll4mi_QKV_mfma16_kernelIDF16_hLN4vllm18Fp8KVCacheDataTypeE1EDF16_Li32ELi64ELi256ELb0ELi9EL8MFMAType1EEvPKT_PKT0_S8_ifPKiSA_SA_iPKfiiiPfSD_PS3_PT2_iSC_SC_,comdat
	.protected	_Z39paged_attention_ll4mi_QKV_mfma16_kernelIDF16_hLN4vllm18Fp8KVCacheDataTypeE1EDF16_Li32ELi64ELi256ELb0ELi9EL8MFMAType1EEvPKT_PKT0_S8_ifPKiSA_SA_iPKfiiiPfSD_PS3_PT2_iSC_SC_ ; -- Begin function _Z39paged_attention_ll4mi_QKV_mfma16_kernelIDF16_hLN4vllm18Fp8KVCacheDataTypeE1EDF16_Li32ELi64ELi256ELb0ELi9EL8MFMAType1EEvPKT_PKT0_S8_ifPKiSA_SA_iPKfiiiPfSD_PS3_PT2_iSC_SC_
	.globl	_Z39paged_attention_ll4mi_QKV_mfma16_kernelIDF16_hLN4vllm18Fp8KVCacheDataTypeE1EDF16_Li32ELi64ELi256ELb0ELi9EL8MFMAType1EEvPKT_PKT0_S8_ifPKiSA_SA_iPKfiiiPfSD_PS3_PT2_iSC_SC_
	.p2align	8
	.type	_Z39paged_attention_ll4mi_QKV_mfma16_kernelIDF16_hLN4vllm18Fp8KVCacheDataTypeE1EDF16_Li32ELi64ELi256ELb0ELi9EL8MFMAType1EEvPKT_PKT0_S8_ifPKiSA_SA_iPKfiiiPfSD_PS3_PT2_iSC_SC_,@function
_Z39paged_attention_ll4mi_QKV_mfma16_kernelIDF16_hLN4vllm18Fp8KVCacheDataTypeE1EDF16_Li32ELi64ELi256ELb0ELi9EL8MFMAType1EEvPKT_PKT0_S8_ifPKiSA_SA_iPKfiiiPfSD_PS3_PT2_iSC_SC_: ; @_Z39paged_attention_ll4mi_QKV_mfma16_kernelIDF16_hLN4vllm18Fp8KVCacheDataTypeE1EDF16_Li32ELi64ELi256ELb0ELi9EL8MFMAType1EEvPKT_PKT0_S8_ifPKiSA_SA_iPKfiiiPfSD_PS3_PT2_iSC_SC_
; %bb.0:
	s_load_b64 s[2:3], s[0:1], 0x30
	s_mov_b32 s34, s13
	s_waitcnt lgkmcnt(0)
	s_cmp_lg_u64 s[2:3], 0
	s_cselect_b32 s6, -1, 0
	s_ashr_i32 s35, s13, 31
	s_cmp_eq_u64 s[2:3], 0
	s_cbranch_scc1 .LBB918_3
; %bb.1:
	s_lshl_b64 s[4:5], s[34:35], 2
	s_delay_alu instid0(SALU_CYCLE_1) | instskip(SKIP_4) | instid1(SALU_CYCLE_1)
	s_add_u32 s4, s2, s4
	s_addc_u32 s5, s3, s5
	s_load_b64 s[4:5], s[4:5], 0x0
	s_waitcnt lgkmcnt(0)
	s_sub_i32 s4, s5, s4
	s_cmp_eq_u32 s4, 1
	s_cselect_b32 s4, -1, 0
	s_delay_alu instid0(SALU_CYCLE_1)
	s_and_not1_b32 vcc_lo, exec_lo, s4
	s_cbranch_vccz .LBB918_4
.LBB918_2:
	s_nop 0
	s_sendmsg sendmsg(MSG_DEALLOC_VGPRS)
	s_endpgm
.LBB918_3:
.LBB918_4:
	s_load_b64 s[8:9], s[0:1], 0x28
	s_lshl_b64 s[4:5], s[34:35], 2
	s_waitcnt lgkmcnt(0)
	s_add_u32 s8, s8, s4
	s_addc_u32 s9, s9, s5
	s_lshl_b32 s16, s14, 8
	s_load_b32 s18, s[8:9], 0x0
	s_waitcnt lgkmcnt(0)
	s_cmp_ge_i32 s16, s18
	s_cbranch_scc1 .LBB918_2
; %bb.5:
	s_clause 0x1
	s_load_b128 s[8:11], s[0:1], 0x8
	s_load_b64 s[12:13], s[0:1], 0x20
	s_and_not1_b32 vcc_lo, exec_lo, s6
	s_cbranch_vccnz .LBB918_7
; %bb.6:
	s_add_u32 s2, s2, s4
	s_addc_u32 s3, s3, s5
	s_load_b32 s3, s[2:3], 0x0
	s_branch .LBB918_8
.LBB918_7:
	s_mov_b32 s3, s34
.LBB918_8:
	s_load_b128 s[4:7], s[0:1], 0x48
	v_lshrrev_b32_e32 v69, 5, v0
	v_bfe_u32 v66, v0, 4, 1
	v_and_b32_e32 v68, 15, v0
	v_and_b32_e32 v70, 31, v0
	;; [unrolled: 1-line block ×3, first 2 shown]
	s_mul_i32 s33, s15, 9
	v_lshl_or_b32 v1, v69, 1, v66
	v_lshlrev_b32_e32 v2, 3, v68
	v_cmp_gt_u32_e64 s2, 8, v68
	s_delay_alu instid0(VALU_DEP_3) | instskip(NEXT) | instid1(VALU_DEP_3)
	v_cmp_gt_u32_e32 vcc_lo, 9, v1
	v_lshlrev_b32_e32 v65, 1, v2
	s_delay_alu instid0(VALU_DEP_3)
	s_and_b32 s17, s2, vcc_lo
	s_waitcnt lgkmcnt(0)
	s_and_saveexec_b32 s7, s17
	s_cbranch_execz .LBB918_10
; %bb.9:
	s_load_b64 s[20:21], s[0:1], 0x0
	v_add_lshl_u32 v2, v1, s33, 6
	s_mul_hi_i32 s23, s3, s4
	s_mul_i32 s22, s3, s4
	v_lshlrev_b32_e32 v6, 10, v68
	s_lshl_b64 s[22:23], s[22:23], 1
	v_ashrrev_i32_e32 v3, 31, v2
	v_lshlrev_b32_e32 v1, 6, v1
	v_lshlrev_b32_e32 v7, 10, v67
	v_and_b32_e32 v6, 0x3800, v6
	s_delay_alu instid0(VALU_DEP_4) | instskip(NEXT) | instid1(VALU_DEP_2)
	v_lshlrev_b64 v[2:3], 1, v[2:3]
	v_or3_b32 v1, v6, v7, v1
	s_waitcnt lgkmcnt(0)
	s_add_u32 s3, s20, s22
	s_addc_u32 s4, s21, s23
	s_delay_alu instid0(VALU_DEP_2) | instskip(SKIP_1) | instid1(VALU_DEP_2)
	v_add_co_u32 v2, vcc_lo, s3, v2
	v_add_co_ci_u32_e32 v3, vcc_lo, s4, v3, vcc_lo
	v_add_co_u32 v2, vcc_lo, v2, v65
	s_delay_alu instid0(VALU_DEP_2)
	v_add_co_ci_u32_e32 v3, vcc_lo, 0, v3, vcc_lo
	global_load_b128 v[2:5], v[2:3], off
	s_waitcnt vmcnt(0)
	ds_store_b128 v1, v[2:5]
.LBB918_10:
	s_or_b32 exec_lo, exec_lo, s7
	v_and_b32_e32 v1, 0xef, v0
	s_add_i32 s3, s18, 31
	s_clause 0x1
	s_load_b32 s4, s[0:1], 0x38
	s_load_b32 s35, s[0:1], 0x98
	s_ashr_i32 s7, s3, 31
	v_add_nc_u32_e32 v1, s16, v1
	s_lshr_b32 s7, s7, 27
	s_load_b32 s19, s[0:1], 0x1c
	v_add_nc_u32_e32 v103, -9, v68
	s_add_i32 s3, s3, s7
	v_ashrrev_i32_e32 v2, 31, v1
	v_or_b32_e32 v3, 16, v1
	s_ashr_i32 s3, s3, 5
	v_cmp_gt_i32_e32 vcc_lo, s18, v1
	s_add_i32 s3, s3, -1
	v_lshrrev_b32_e32 v2, 27, v2
	s_waitcnt lgkmcnt(0)
	s_barrier
	buffer_gl0_inv
	s_mul_i32 s15, s15, s6
	v_add_nc_u32_e32 v4, v1, v2
	v_mbcnt_lo_u32_b32 v127, -1, 0
	s_mul_i32 s20, s34, s4
	s_delay_alu instid0(SALU_CYCLE_1) | instskip(NEXT) | instid1(VALU_DEP_2)
	s_ashr_i32 s21, s20, 31
	v_ashrrev_i32_e32 v4, 5, v4
	v_add_nc_u32_e32 v2, v3, v2
	s_lshl_b64 s[20:21], s[20:21], 2
	v_xor_b32_e32 v128, 16, v127
	s_add_u32 s17, s12, s20
	v_cndmask_b32_e32 v1, s3, v4, vcc_lo
	v_ashrrev_i32_e32 v2, 5, v2
	v_cmp_gt_i32_e32 vcc_lo, s18, v3
	s_addc_u32 s13, s13, s21
	s_ashr_i32 s20, s15, 31
	s_add_u32 s22, s8, s15
	s_addc_u32 s23, s9, s20
	v_cndmask_b32_e32 v3, s3, v2, vcc_lo
	v_ashrrev_i32_e32 v2, 31, v1
	s_lshl_b32 s6, s14, 3
	s_delay_alu instid0(SALU_CYCLE_1) | instskip(NEXT) | instid1(VALU_DEP_2)
	s_ashr_i32 s7, s6, 31
	v_ashrrev_i32_e32 v4, 31, v3
	s_delay_alu instid0(VALU_DEP_2) | instskip(SKIP_1) | instid1(SALU_CYCLE_1)
	v_lshlrev_b64 v[1:2], 2, v[1:2]
	s_lshl_b64 s[6:7], s[6:7], 2
	s_add_u32 s6, s17, s6
	s_delay_alu instid0(VALU_DEP_2) | instskip(SKIP_1) | instid1(VALU_DEP_2)
	v_lshlrev_b64 v[3:4], 2, v[3:4]
	s_addc_u32 s7, s13, s7
	v_add_co_u32 v1, vcc_lo, s17, v1
	v_add_co_ci_u32_e32 v2, vcc_lo, s13, v2, vcc_lo
	s_delay_alu instid0(VALU_DEP_3) | instskip(NEXT) | instid1(VALU_DEP_4)
	v_add_co_u32 v3, vcc_lo, s17, v3
	v_add_co_ci_u32_e32 v4, vcc_lo, s13, v4, vcc_lo
	s_clause 0x1
	global_load_b32 v5, v[1:2], off
	global_load_b32 v6, v[3:4], off
	s_or_b32 s4, s16, 32
	s_delay_alu instid0(SALU_CYCLE_1) | instskip(SKIP_2) | instid1(SALU_CYCLE_1)
	s_ashr_i32 s8, s4, 5
	s_cmp_lt_i32 s4, s18
	s_cselect_b32 s8, s8, s3
	s_ashr_i32 s9, s8, 31
	s_delay_alu instid0(SALU_CYCLE_1) | instskip(NEXT) | instid1(SALU_CYCLE_1)
	s_lshl_b64 s[8:9], s[8:9], 2
	s_add_u32 s8, s17, s8
	s_addc_u32 s9, s13, s9
	s_or_b32 s4, s16, 64
	s_delay_alu instid0(SALU_CYCLE_1) | instskip(SKIP_2) | instid1(SALU_CYCLE_1)
	s_ashr_i32 s12, s4, 5
	s_cmp_lt_i32 s4, s18
	s_cselect_b32 s24, s12, s3
	s_ashr_i32 s25, s24, 31
	s_delay_alu instid0(SALU_CYCLE_1) | instskip(NEXT) | instid1(SALU_CYCLE_1)
	s_lshl_b64 s[24:25], s[24:25], 2
	s_add_u32 s24, s17, s24
	s_addc_u32 s25, s13, s25
	;; [unrolled: 10-line block ×5, first 2 shown]
	s_clause 0x5
	s_load_b32 s12, s[6:7], 0x0
	s_load_b32 s4, s[8:9], 0x0
	s_load_b32 s6, s[24:25], 0x0
	s_load_b32 s7, s[26:27], 0x0
	s_load_b32 s8, s[28:29], 0x0
	s_load_b32 s9, s[30:31], 0x0
	s_or_b32 s21, s16, 0xc0
	s_waitcnt vmcnt(1)
	v_mad_i64_i32 v[1:2], null, v5, s5, s[22:23]
	v_lshlrev_b32_e32 v5, 4, v68
	s_waitcnt vmcnt(0)
	v_mad_i64_i32 v[3:4], null, v6, s5, s[22:23]
	s_ashr_i32 s22, s21, 5
	s_cmp_lt_i32 s21, s18
	s_delay_alu instid0(VALU_DEP_3) | instskip(NEXT) | instid1(VALU_DEP_4)
	v_add_co_u32 v1, vcc_lo, v1, v5
	v_add_co_ci_u32_e32 v2, vcc_lo, 0, v2, vcc_lo
	s_delay_alu instid0(VALU_DEP_3) | instskip(NEXT) | instid1(VALU_DEP_4)
	v_add_co_u32 v3, vcc_lo, v3, v5
	v_add_co_ci_u32_e32 v4, vcc_lo, 0, v4, vcc_lo
	s_clause 0x7
	global_load_b128 v[71:74], v[1:2], off
	global_load_b128 v[75:78], v[1:2], off offset:512
	global_load_b128 v[79:82], v[3:4], off offset:256
	;; [unrolled: 1-line block ×7, first 2 shown]
	s_cselect_b32 s22, s22, s3
	v_lshlrev_b32_e32 v1, 5, v68
	s_ashr_i32 s23, s22, 31
	v_cmp_gt_u32_e32 vcc_lo, 9, v68
	s_lshl_b64 s[22:23], s[22:23], 2
	s_delay_alu instid0(SALU_CYCLE_1)
	s_add_u32 s22, s17, s22
	s_addc_u32 s23, s13, s23
	s_or_b32 s21, s16, 0xe0
	v_lshl_or_b32 v1, v69, 9, v1
	s_ashr_i32 s24, s21, 5
	s_cmp_lt_i32 s21, s18
	v_cndmask_b32_e32 v103, v103, v68, vcc_lo
	s_cselect_b32 s24, s24, s3
	s_load_b32 s3, s[22:23], 0x0
	s_ashr_i32 s25, s24, 31
	v_cmp_gt_i32_e32 vcc_lo, 32, v128
	s_lshl_b64 s[24:25], s[24:25], 2
	v_lshlrev_b32_e32 v115, 6, v103
	s_add_u32 s22, s17, s24
	s_addc_u32 s23, s13, s25
	v_cndmask_b32_e32 v136, v127, v128, vcc_lo
	s_add_u32 s10, s10, s15
	s_addc_u32 s11, s11, s20
	v_add_co_u32 v1, s10, s10, v1
	s_delay_alu instid0(VALU_DEP_1) | instskip(SKIP_2) | instid1(VALU_DEP_1)
	v_add_co_ci_u32_e64 v2, null, s11, 0, s10
	s_load_b32 s10, s[22:23], 0x0
	s_waitcnt lgkmcnt(0)
	v_mad_i64_i32 v[3:4], null, s12, s5, v[1:2]
	v_mad_i64_i32 v[9:10], null, s7, s5, v[1:2]
	;; [unrolled: 1-line block ×7, first 2 shown]
	s_clause 0x5
	global_load_b128 v[49:52], v[3:4], off
	global_load_b128 v[53:56], v[3:4], off offset:16
	global_load_b128 v[41:44], v[5:6], off
	global_load_b128 v[45:48], v[5:6], off offset:16
	;; [unrolled: 2-line block ×3, first 2 shown]
	s_mov_b32 s4, 0
	v_mad_i64_i32 v[61:62], null, s10, s5, v[1:2]
	s_clause 0x9
	global_load_b128 v[1:4], v[9:10], off
	global_load_b128 v[5:8], v[9:10], off offset:16
	global_load_b128 v[9:12], v[13:14], off
	global_load_b128 v[13:16], v[13:14], off offset:16
	;; [unrolled: 2-line block ×5, first 2 shown]
	s_mov_b32 s5, s4
	s_mov_b32 s6, s4
	;; [unrolled: 1-line block ×7, first 2 shown]
	v_and_b32_e32 v104, 0xe0, v0
	v_dual_mov_b32 v126, s11 :: v_dual_mov_b32 v125, s10
	v_dual_mov_b32 v124, s9 :: v_dual_mov_b32 v123, s8
	s_delay_alu instid0(VALU_DEP_3)
	v_add_nc_u32_e32 v111, s16, v104
	ds_load_b128 v[103:106], v115
	ds_load_b128 v[107:110], v115 offset:1024
	v_dual_mov_b32 v122, s7 :: v_dual_mov_b32 v121, s6
	v_mov_b32_e32 v120, s5
	v_or_b32_e32 v135, v111, v66
	ds_load_b128 v[111:114], v115 offset:2048
	ds_load_b128 v[115:118], v115 offset:3072
	v_mov_b32_e32 v119, s4
	s_waitcnt vmcnt(0) lgkmcnt(0)
	s_barrier
	v_or_b32_e32 v137, 2, v135
	v_or_b32_e32 v138, 4, v135
	;; [unrolled: 1-line block ×3, first 2 shown]
	v_cmp_gt_i32_e32 vcc_lo, s18, v135
	v_or_b32_e32 v140, 8, v135
	v_cmp_gt_i32_e64 s3, s18, v137
	v_or_b32_e32 v141, 10, v135
	v_cmp_gt_i32_e64 s4, s18, v138
	v_cmp_gt_i32_e64 s5, s18, v139
	v_or_b32_e32 v142, 12, v135
	v_or_b32_e32 v143, 14, v135
	v_cmp_gt_i32_e64 s6, s18, v140
	v_cmp_gt_i32_e64 s7, s18, v141
	v_or_b32_e32 v144, 16, v135
	v_or_b32_e32 v145, 18, v135
	v_cmp_gt_i32_e64 s8, s18, v142
	v_cmp_gt_i32_e64 s9, s18, v143
	buffer_gl0_inv
	v_cmp_gt_i32_e64 s10, s18, v144
	v_cmp_gt_i32_e64 s11, s18, v145
	v_wmma_f32_16x16x16_f16 v[127:134], v[71:78], v[103:110], v[119:126]
	v_wmma_f32_16x16x16_f16 v[119:126], v[79:86], v[103:110], v[119:126]
	v_or_b32_e32 v71, 20, v135
	v_or_b32_e32 v72, 22, v135
	s_delay_alu instid0(VALU_DEP_4)
	v_wmma_f32_16x16x16_f16 v[127:134], v[87:94], v[111:118], v[127:134]
	v_or_b32_e32 v73, 24, v135
	v_wmma_f32_16x16x16_f16 v[119:126], v[95:102], v[111:118], v[119:126]
	v_or_b32_e32 v74, 26, v135
	v_cmp_gt_i32_e64 s12, s18, v71
	v_dual_mul_f32 v83, s19, v128 :: v_dual_mul_f32 v84, s19, v127
	s_delay_alu instid0(VALU_DEP_4) | instskip(SKIP_1) | instid1(VALU_DEP_3)
	v_dual_mul_f32 v81, s19, v130 :: v_dual_mul_f32 v92, s19, v119
	v_mul_f32_e32 v82, s19, v129
	v_cndmask_b32_e64 v83, 0xff7fffff, v83, s3
	s_delay_alu instid0(VALU_DEP_4)
	v_cndmask_b32_e32 v84, 0xff7fffff, v84, vcc_lo
	v_dual_mul_f32 v79, s19, v132 :: v_dual_mul_f32 v90, s19, v121
	v_mul_f32_e32 v80, s19, v131
	v_cndmask_b32_e64 v82, 0xff7fffff, v82, s4
	v_cndmask_b32_e64 v81, 0xff7fffff, v81, s5
	v_max3_f32 v83, v84, 0xff7fffff, v83
	v_dual_mul_f32 v77, s19, v134 :: v_dual_mul_f32 v88, s19, v123
	v_mul_f32_e32 v78, s19, v133
	v_cndmask_b32_e64 v80, 0xff7fffff, v80, s6
	v_cndmask_b32_e64 v79, 0xff7fffff, v79, s7
	v_max3_f32 v81, v83, v82, v81
	v_mul_f32_e32 v91, s19, v120
	v_cndmask_b32_e64 v78, 0xff7fffff, v78, s8
	v_cndmask_b32_e64 v77, 0xff7fffff, v77, s9
	v_mul_f32_e32 v89, s19, v122
	v_max3_f32 v79, v81, v80, v79
	v_cndmask_b32_e64 v80, 0xff7fffff, v92, s10
	v_cndmask_b32_e64 v81, 0xff7fffff, v91, s11
	v_cmp_gt_i32_e64 s13, s18, v72
	v_or_b32_e32 v75, 28, v135
	v_max3_f32 v77, v79, v78, v77
	v_or_b32_e32 v76, 30, v135
	v_mul_f32_e32 v87, s19, v124
	v_cndmask_b32_e64 v71, 0xff7fffff, v90, s12
	v_cndmask_b32_e64 v72, 0xff7fffff, v89, s13
	v_max3_f32 v77, v77, v80, v81
	v_cmp_gt_i32_e64 s15, s18, v73
	v_cmp_gt_i32_e64 s16, s18, v74
	v_dual_mul_f32 v85, s19, v126 :: v_dual_mul_f32 v86, s19, v125
	s_delay_alu instid0(VALU_DEP_4) | instskip(NEXT) | instid1(VALU_DEP_4)
	v_max3_f32 v71, v77, v71, v72
	v_cndmask_b32_e64 v73, 0xff7fffff, v88, s15
	s_delay_alu instid0(VALU_DEP_4) | instskip(SKIP_2) | instid1(VALU_DEP_3)
	v_cndmask_b32_e64 v74, 0xff7fffff, v87, s16
	v_cmp_gt_i32_e64 s17, s18, v75
	v_cmp_gt_i32_e64 s18, s18, v76
	v_max3_f32 v71, v71, v73, v74
	s_delay_alu instid0(VALU_DEP_3) | instskip(NEXT) | instid1(VALU_DEP_3)
	v_cndmask_b32_e64 v72, 0xff7fffff, v86, s17
	v_cndmask_b32_e64 v75, 0xff7fffff, v85, s18
	v_lshlrev_b32_e32 v73, 2, v136
	s_delay_alu instid0(VALU_DEP_2) | instskip(SKIP_3) | instid1(VALU_DEP_1)
	v_max3_f32 v71, v71, v72, v75
	ds_bpermute_b32 v72, v73, v71
	s_waitcnt lgkmcnt(0)
	v_max_f32_e32 v72, v72, v72
	v_max_f32_e32 v71, v71, v72
	s_delay_alu instid0(VALU_DEP_1)
	v_fma_f32 v72, s19, v127, -v71
	v_fma_f32 v74, s19, v128, -v71
	;; [unrolled: 1-line block ×5, first 2 shown]
	v_mul_f32_e32 v72, 0x3fb8aa3b, v72
	v_mul_f32_e32 v74, 0x3fb8aa3b, v74
	v_fma_f32 v80, s19, v133, -v71
	s_delay_alu instid0(VALU_DEP_4) | instskip(NEXT) | instid1(VALU_DEP_4)
	v_dual_mul_f32 v76, 0x3fb8aa3b, v76 :: v_dual_mul_f32 v77, 0x3fb8aa3b, v77
	v_exp_f32_e32 v72, v72
	s_delay_alu instid0(VALU_DEP_3) | instskip(NEXT) | instid1(VALU_DEP_2)
	v_exp_f32_e32 v74, v74
	v_mul_f32_e32 v82, 0x3fb8aa3b, v80
	s_delay_alu instid0(VALU_DEP_2) | instskip(SKIP_1) | instid1(VALU_DEP_1)
	v_exp_f32_e32 v76, v76
	v_exp_f32_e32 v77, v77
	v_exp_f32_e32 v84, v82
	v_cndmask_b32_e32 v79, 0, v72, vcc_lo
	v_fma_f32 v72, s19, v132, -v71
	v_mul_f32_e32 v75, 0x3fb8aa3b, v75
	v_cndmask_b32_e64 v78, 0, v74, s3
	s_delay_alu instid0(TRANS32_DEP_3)
	v_cndmask_b32_e64 v80, 0, v76, s5
	v_add_f32_e32 v74, 0, v79
	v_mul_f32_e32 v72, 0x3fb8aa3b, v72
	v_exp_f32_e32 v75, v75
	v_cndmask_b32_e64 v83, 0, v77, s6
	v_cndmask_b32_e64 v85, 0, v84, s8
	v_add_f32_e32 v74, v74, v78
	v_exp_f32_e32 v72, v72
	v_cmp_gt_u32_e64 s3, 16, v70
	s_waitcnt_depctr 0xfff
	v_cndmask_b32_e64 v81, 0, v75, s4
	v_cndmask_b32_e64 v82, 0, v72, s7
	s_delay_alu instid0(VALU_DEP_2) | instskip(NEXT) | instid1(VALU_DEP_1)
	v_add_f32_e32 v74, v74, v81
	v_add_f32_e32 v74, v74, v80
	s_delay_alu instid0(VALU_DEP_1) | instskip(SKIP_4) | instid1(VALU_DEP_4)
	v_add_f32_e32 v72, v74, v83
	v_fma_f32 v75, s19, v134, -v71
	v_fma_f32 v76, s19, v119, -v71
	;; [unrolled: 1-line block ×4, first 2 shown]
	v_dual_add_f32 v72, v72, v82 :: v_dual_mul_f32 v75, 0x3fb8aa3b, v75
	s_delay_alu instid0(VALU_DEP_3) | instskip(SKIP_1) | instid1(VALU_DEP_3)
	v_dual_mul_f32 v76, 0x3fb8aa3b, v76 :: v_dual_mul_f32 v77, 0x3fb8aa3b, v77
	v_fma_f32 v86, s19, v122, -v71
	v_add_f32_e32 v72, v72, v85
	s_delay_alu instid0(VALU_DEP_4) | instskip(NEXT) | instid1(VALU_DEP_3)
	v_exp_f32_e32 v75, v75
	v_exp_f32_e32 v76, v76
	;; [unrolled: 1-line block ×3, first 2 shown]
	v_mul_f32_e32 v86, 0x3fb8aa3b, v86
	s_delay_alu instid0(VALU_DEP_1) | instskip(SKIP_3) | instid1(TRANS32_DEP_3)
	v_exp_f32_e32 v88, v86
	v_cndmask_b32_e64 v84, 0, v75, s9
	v_fma_f32 v75, s19, v123, -v71
	v_mul_f32_e32 v74, 0x3fb8aa3b, v74
	v_cndmask_b32_e64 v87, 0, v76, s10
	v_fma_f32 v76, s19, v124, -v71
	s_delay_alu instid0(VALU_DEP_4) | instskip(NEXT) | instid1(VALU_DEP_4)
	v_dual_add_f32 v72, v72, v84 :: v_dual_mul_f32 v75, 0x3fb8aa3b, v75
	v_exp_f32_e32 v74, v74
	v_cndmask_b32_e64 v86, 0, v77, s11
	v_fma_f32 v77, s19, v125, -v71
	s_delay_alu instid0(VALU_DEP_3) | instskip(SKIP_3) | instid1(VALU_DEP_3)
	v_add_f32_e32 v72, v72, v87
	v_mul_f32_e32 v76, 0x3fb8aa3b, v76
	v_exp_f32_e32 v75, v75
	v_cndmask_b32_e64 v88, 0, v88, s13
	v_add_f32_e32 v72, v72, v86
	s_delay_alu instid0(VALU_DEP_3) | instskip(NEXT) | instid1(TRANS32_DEP_3)
	v_exp_f32_e32 v76, v76
	v_cndmask_b32_e64 v89, 0, v74, s12
	v_mul_f32_e32 v74, 0x3fb8aa3b, v77
	v_fma_f32 v77, s19, v126, -v71
	s_delay_alu instid0(VALU_DEP_3) | instskip(NEXT) | instid1(VALU_DEP_3)
	v_add_f32_e32 v72, v72, v89
	v_exp_f32_e32 v74, v74
	s_delay_alu instid0(TRANS32_DEP_3) | instskip(NEXT) | instid1(VALU_DEP_3)
	v_cndmask_b32_e64 v91, 0, v75, s15
	v_mul_f32_e32 v75, 0x3fb8aa3b, v77
	s_delay_alu instid0(TRANS32_DEP_2) | instskip(SKIP_1) | instid1(VALU_DEP_3)
	v_cndmask_b32_e64 v90, 0, v76, s16
	v_add_f32_e32 v72, v72, v88
	v_exp_f32_e32 v75, v75
	s_delay_alu instid0(VALU_DEP_1) | instskip(NEXT) | instid1(TRANS32_DEP_2)
	v_add_f32_e32 v72, v72, v91
	v_cndmask_b32_e64 v93, 0, v74, s17
	s_delay_alu instid0(VALU_DEP_2) | instskip(SKIP_3) | instid1(VALU_DEP_1)
	v_add_f32_e32 v72, v72, v90
	s_waitcnt_depctr 0xfff
	v_cndmask_b32_e64 v92, 0, v75, s18
	v_add_f32_e32 v72, v72, v93
	v_add_f32_e32 v72, v72, v92
	ds_bpermute_b32 v73, v73, v72
	s_and_saveexec_b32 s4, s3
	s_cbranch_execz .LBB918_12
; %bb.11:
	v_mul_u32_u24_e32 v70, 0x44, v69
	s_waitcnt lgkmcnt(0)
	v_add_f32_e32 v72, v72, v73
	s_delay_alu instid0(VALU_DEP_2) | instskip(NEXT) | instid1(VALU_DEP_1)
	v_lshl_add_u32 v70, v68, 2, v70
	v_add_nc_u32_e32 v70, 0x4000, v70
	ds_store_2addr_b32 v70, v71, v72 offset1:136
.LBB918_12:
	s_or_b32 exec_lo, exec_lo, s4
	v_lshlrev_b32_e32 v70, 2, v68
	s_load_b32 s36, s[0:1], 0x94
	s_waitcnt lgkmcnt(0)
	s_barrier
	buffer_gl0_inv
	v_add_nc_u32_e32 v98, 0x4000, v70
	v_cmp_eq_u32_e32 vcc_lo, 1, v69
	v_cmp_eq_u32_e64 s4, 2, v69
	v_cmp_eq_u32_e64 s5, 3, v69
	;; [unrolled: 1-line block ×3, first 2 shown]
	ds_load_2addr_b32 v[70:71], v98 offset1:17
	ds_load_2addr_b32 v[72:73], v98 offset0:34 offset1:51
	ds_load_2addr_b32 v[74:75], v98 offset0:68 offset1:85
	;; [unrolled: 1-line block ×3, first 2 shown]
	v_cmp_eq_u32_e64 s7, 5, v69
	v_cmp_eq_u32_e64 s8, 7, v69
	s_waitcnt lgkmcnt(3)
	v_max3_f32 v76, v70, 0xff7fffff, v71
	s_waitcnt lgkmcnt(2)
	s_delay_alu instid0(VALU_DEP_1) | instskip(SKIP_1) | instid1(VALU_DEP_1)
	v_max3_f32 v76, v76, v72, v73
	s_waitcnt lgkmcnt(1)
	v_max3_f32 v76, v76, v74, v75
	s_waitcnt lgkmcnt(0)
	s_delay_alu instid0(VALU_DEP_1) | instskip(NEXT) | instid1(VALU_DEP_1)
	v_max3_f32 v76, v76, v94, v95
	v_sub_f32_e32 v77, v71, v76
	ds_load_2addr_b32 v[96:97], v98 offset0:136 offset1:153
	v_sub_f32_e32 v74, v74, v76
	v_sub_f32_e32 v70, v70, v76
	;; [unrolled: 1-line block ×3, first 2 shown]
	v_dual_sub_f32 v72, v72, v76 :: v_dual_mul_f32 v77, 0x3fb8aa3b, v77
	s_delay_alu instid0(VALU_DEP_4) | instskip(NEXT) | instid1(VALU_DEP_4)
	v_mul_f32_e32 v103, 0x3fb8aa3b, v74
	v_mul_f32_e32 v99, 0x3fb8aa3b, v70
	ds_load_2addr_b32 v[70:71], v98 offset0:170 offset1:187
	v_dual_mul_f32 v101, 0x3fb8aa3b, v72 :: v_dual_mul_f32 v94, 0x3fb8aa3b, v94
	v_exp_f32_e32 v102, v77
	v_exp_f32_e32 v99, v99
	s_delay_alu instid0(VALU_DEP_1) | instskip(NEXT) | instid1(VALU_DEP_1)
	v_exp_f32_e32 v101, v101
	v_exp_f32_e32 v94, v94
	s_waitcnt lgkmcnt(1)
	s_delay_alu instid0(TRANS32_DEP_3)
	v_fma_f32 v77, v99, v96, 0
	v_sub_f32_e32 v100, v73, v76
	ds_load_2addr_b32 v[72:73], v98 offset0:204 offset1:221
	v_fmac_f32_e32 v77, v102, v97
	v_exp_f32_e32 v97, v103
	s_waitcnt lgkmcnt(1)
	s_delay_alu instid0(VALU_DEP_1)
	v_dual_fmac_f32 v77, v101, v70 :: v_dual_sub_f32 v96, v75, v76
	ds_load_2addr_b32 v[74:75], v98 offset0:238 offset1:255
	v_sub_f32_e32 v70, v95, v76
	s_waitcnt lgkmcnt(0)
	s_barrier
	v_mul_f32_e32 v96, 0x3fb8aa3b, v96
	buffer_gl0_inv
	v_exp_f32_e32 v95, v96
	v_mul_f32_e32 v100, 0x3fb8aa3b, v100
	s_delay_alu instid0(VALU_DEP_1) | instskip(SKIP_3) | instid1(VALU_DEP_2)
	v_exp_f32_e32 v100, v100
	s_waitcnt_depctr 0xfff
	v_dual_fmac_f32 v77, v100, v71 :: v_dual_mul_f32 v70, 0x3fb8aa3b, v70
	v_cndmask_b32_e32 v71, v99, v102, vcc_lo
	v_fmac_f32_e32 v77, v97, v72
	s_delay_alu instid0(VALU_DEP_3) | instskip(NEXT) | instid1(VALU_DEP_1)
	v_exp_f32_e32 v96, v70
	v_fmac_f32_e32 v77, v95, v73
	s_delay_alu instid0(VALU_DEP_1) | instskip(SKIP_2) | instid1(VALU_DEP_1)
	v_fmac_f32_e32 v77, v94, v74
	s_waitcnt_depctr 0xfff
	v_fmac_f32_e32 v77, v96, v75
	v_add_f32_e32 v74, 0x358637bd, v77
	s_delay_alu instid0(VALU_DEP_1) | instskip(SKIP_1) | instid1(VALU_DEP_2)
	v_div_scale_f32 v98, null, v74, v74, 1.0
	v_div_scale_f32 v99, vcc_lo, 1.0, v74, 1.0
	v_rcp_f32_e32 v103, v98
	s_waitcnt_depctr 0xfff
	v_fma_f32 v70, -v98, v103, 1.0
	s_delay_alu instid0(VALU_DEP_1) | instskip(SKIP_2) | instid1(VALU_DEP_2)
	v_fmac_f32_e32 v103, v70, v103
	v_cndmask_b32_e64 v70, v71, v101, s4
	v_cmp_eq_u32_e64 s4, 6, v69
	v_cndmask_b32_e64 v71, v70, v100, s5
	s_delay_alu instid0(VALU_DEP_4) | instskip(NEXT) | instid1(VALU_DEP_2)
	v_dual_mul_f32 v101, v99, v103 :: v_dual_lshlrev_b32 v70, 2, v66
	v_cndmask_b32_e64 v71, v71, v97, s6
	s_delay_alu instid0(VALU_DEP_2) | instskip(NEXT) | instid1(VALU_DEP_3)
	v_or_b32_e32 v72, 1, v70
	v_fma_f32 v100, -v98, v101, v99
	v_cmp_eq_u32_e64 s5, 1, v70
	v_cmp_eq_u32_e64 s6, 2, v70
	v_cndmask_b32_e64 v95, v71, v95, s7
	v_or_b32_e32 v71, 3, v70
	v_fmac_f32_e32 v101, v100, v103
	v_cmp_eq_u32_e64 s10, 1, v72
	v_cmp_eq_u32_e64 s13, 2, v72
	v_cndmask_b32_e64 v94, v95, v94, s4
	v_cmp_eq_u32_e64 s12, 1, v71
	v_fma_f32 v97, -v98, v101, v99
	v_cmp_eq_u32_e64 s17, 2, v71
	v_cmp_eq_u32_e64 s15, 3, v72
	v_cndmask_b32_e64 v94, v94, v96, s8
	v_cmp_eq_u32_e64 s19, 3, v71
	v_div_fmas_f32 v95, v97, v103, v101
	v_cmp_eq_u32_e32 vcc_lo, 3, v70
	v_cmp_eq_u32_e64 s4, 4, v70
	v_cmp_eq_u32_e64 s20, 4, v72
	;; [unrolled: 1-line block ×3, first 2 shown]
	v_div_fixup_f32 v95, v95, v74, 1.0
	v_lshlrev_b32_e32 v73, 6, v68
	v_cmp_eq_u32_e64 s7, 5, v70
	v_cmp_eq_u32_e64 s21, 5, v72
	;; [unrolled: 1-line block ×3, first 2 shown]
	v_mul_f32_e32 v102, v94, v95
	v_lshl_or_b32 v75, v69, 11, v73
	v_or_b32_e32 v69, 2, v70
	v_cmp_eq_u32_e64 s26, 6, v72
	v_cmp_eq_u32_e64 s28, 6, v71
	v_fma_mixlo_f16 v94, v102, v79, 0
	v_fma_mixlo_f16 v95, v102, v81, 0
	v_fma_mixlo_f16 v96, v102, v83, 0
	v_fma_mixlo_f16 v97, v102, v85, 0
	v_fma_mixlo_f16 v98, v102, v87, 0
	v_fma_mixlo_f16 v99, v102, v89, 0
	v_fma_mixlo_f16 v100, v102, v91, 0
	v_fma_mixlo_f16 v101, v102, v93, 0
	v_lshl_or_b32 v74, v66, 4, v75
	v_fma_mixhi_f16 v94, v102, v78, 0
	v_fma_mixhi_f16 v95, v102, v80, 0
	;; [unrolled: 1-line block ×8, first 2 shown]
	ds_store_b128 v74, v[94:97]
	ds_store_b128 v74, v[98:101] offset:1024
	s_waitcnt lgkmcnt(0)
	s_barrier
	buffer_gl0_inv
	ds_load_b128 v[78:81], v75
	ds_load_b128 v[82:85], v75 offset:16
	ds_load_b128 v[86:89], v75 offset:1024
	;; [unrolled: 1-line block ×3, first 2 shown]
	v_cmp_eq_u32_e64 s11, 1, v69
	v_cmp_eq_u32_e64 s16, 2, v69
	v_cmp_eq_u32_e64 s18, 3, v69
	v_cmp_eq_u32_e64 s22, 4, v69
	v_cmp_eq_u32_e64 s24, 5, v69
	v_cmp_eq_u32_e64 s8, 6, v70
	v_cmp_eq_u32_e64 s27, 6, v69
	v_cmp_eq_u32_e64 s30, 7, v71
	v_cmp_eq_u32_e64 s31, 7, v72
	v_cmp_eq_u32_e64 s9, 7, v70
	v_cmp_eq_u32_e64 s29, 7, v69
	s_waitcnt lgkmcnt(3)
	v_lshrrev_b32_e32 v94, 16, v78
	s_waitcnt lgkmcnt(2)
	v_lshrrev_b32_e32 v98, 16, v82
	;; [unrolled: 2-line block ×4, first 2 shown]
	v_lshrrev_b32_e32 v95, 16, v79
	v_cndmask_b32_e64 v110, v78, v94, s5
	v_cndmask_b32_e64 v111, v82, v98, s5
	;; [unrolled: 1-line block ×8, first 2 shown]
	v_lshrrev_b32_e32 v99, 16, v83
	v_cndmask_b32_e64 v94, v86, v102, s5
	v_cndmask_b32_e64 v98, v90, v106, s5
	;; [unrolled: 1-line block ×15, first 2 shown]
	v_lshrrev_b32_e32 v103, 16, v87
	v_lshrrev_b32_e32 v107, 16, v91
	v_cndmask_b32_e64 v113, v115, v83, s16
	v_cndmask_b32_e64 v82, v94, v87, s6
	;; [unrolled: 1-line block ×7, first 2 shown]
	v_cndmask_b32_e32 v90, v102, v95, vcc_lo
	v_cndmask_b32_e32 v102, v106, v99, vcc_lo
	v_cndmask_b32_e64 v106, v110, v95, s15
	v_cndmask_b32_e64 v110, v111, v99, s15
	;; [unrolled: 1-line block ×4, first 2 shown]
	v_lshrrev_b32_e32 v96, 16, v80
	v_lshrrev_b32_e32 v100, 16, v84
	v_cndmask_b32_e64 v111, v112, v95, s18
	v_cndmask_b32_e64 v112, v113, v99, s18
	v_cndmask_b32_e32 v82, v82, v103, vcc_lo
	v_cndmask_b32_e32 v83, v83, v107, vcc_lo
	v_cndmask_b32_e64 v94, v94, v103, s15
	v_cndmask_b32_e64 v90, v90, v80, s4
	;; [unrolled: 1-line block ×7, first 2 shown]
	v_lshrrev_b32_e32 v104, 16, v88
	v_cndmask_b32_e64 v106, v111, v80, s22
	v_cndmask_b32_e64 v110, v112, v84, s22
	;; [unrolled: 1-line block ×11, first 2 shown]
	v_lshrrev_b32_e32 v97, 16, v81
	v_lshrrev_b32_e32 v101, 16, v85
	v_cndmask_b32_e64 v99, v106, v96, s24
	v_cndmask_b32_e64 v102, v110, v100, s24
	v_cndmask_b32_e64 v83, v83, v104, s21
	v_cndmask_b32_e64 v94, v94, v81, s26
	v_cndmask_b32_e64 v95, v95, v85, s26
	v_cndmask_b32_e64 v78, v78, v81, s28
	v_cndmask_b32_e64 v79, v79, v85, s28
	v_lshrrev_b32_e32 v105, 16, v89
	v_cndmask_b32_e64 v80, v80, v104, s7
	v_cndmask_b32_e64 v84, v84, v81, s8
	;; [unrolled: 1-line block ×16, first 2 shown]
	v_perm_b32 v81, v79, v78, 0x5040100
	v_perm_b32 v79, v95, v85, 0x5040100
	v_cndmask_b32_e64 v78, v119, v91, s16
	v_cndmask_b32_e64 v85, v117, v91, s13
	;; [unrolled: 1-line block ×3, first 2 shown]
	v_perm_b32 v80, v94, v90, 0x5040100
	v_cndmask_b32_e64 v90, v98, v103, s18
	v_cndmask_b32_e64 v86, v86, v103, s19
	;; [unrolled: 1-line block ×5, first 2 shown]
	v_lshrrev_b32_e32 v108, 16, v92
	v_cndmask_b32_e64 v90, v90, v88, s22
	v_cndmask_b32_e64 v86, v86, v88, s23
	;; [unrolled: 1-line block ×11, first 2 shown]
	v_lshrrev_b32_e32 v109, 16, v93
	v_cndmask_b32_e64 v82, v82, v93, s8
	v_cndmask_b32_e64 v88, v88, v89, s27
	;; [unrolled: 1-line block ×12, first 2 shown]
	v_perm_b32 v78, v84, v83, 0x5040100
	v_perm_b32 v85, v87, v86, 0x5040100
	;; [unrolled: 1-line block ×5, first 2 shown]
	s_mul_i32 s9, s35, 9
	s_mov_b32 s4, exec_lo
	ds_store_b128 v74, v[78:81]
	ds_store_b128 v74, v[82:85] offset:1024
	v_cmpx_gt_u32_e32 9, v0
	s_cbranch_execz .LBB918_14
; %bb.13:
	s_mul_i32 s5, s9, s34
	s_load_b128 s[16:19], s[0:1], 0x58
	v_add3_u32 v68, s5, s33, v68
	s_delay_alu instid0(VALU_DEP_1) | instskip(NEXT) | instid1(VALU_DEP_1)
	v_mad_u64_u32 v[78:79], null, v68, s36, s[14:15]
	v_ashrrev_i32_e32 v79, 31, v78
	s_delay_alu instid0(VALU_DEP_1) | instskip(SKIP_1) | instid1(VALU_DEP_1)
	v_lshlrev_b64 v[78:79], 2, v[78:79]
	s_waitcnt lgkmcnt(0)
	v_add_co_u32 v80, vcc_lo, s18, v78
	s_delay_alu instid0(VALU_DEP_2)
	v_add_co_ci_u32_e32 v81, vcc_lo, s19, v79, vcc_lo
	v_add_co_u32 v78, vcc_lo, s16, v78
	v_add_co_ci_u32_e32 v79, vcc_lo, s17, v79, vcc_lo
	global_store_b32 v[80:81], v76, off
	global_store_b32 v[78:79], v77, off
.LBB918_14:
	s_or_b32 exec_lo, exec_lo, s4
	s_waitcnt lgkmcnt(0)
	s_waitcnt_vscnt null, 0x0
	s_barrier
	buffer_gl0_inv
	ds_load_b128 v[84:87], v73
	ds_load_b128 v[88:91], v73 offset:16
	ds_load_b128 v[96:99], v73 offset:2064
	;; [unrolled: 1-line block ×5, first 2 shown]
	v_cmp_eq_u32_e32 vcc_lo, 1, v70
	v_mov_b32_e32 v76, 0
	ds_load_b128 v[112:115], v73 offset:6160
	ds_load_b128 v[108:111], v73 offset:6144
	;; [unrolled: 1-line block ×4, first 2 shown]
	v_cmp_eq_u32_e64 s5, 1, v69
	v_cmp_eq_u32_e64 s4, 1, v72
	;; [unrolled: 1-line block ×3, first 2 shown]
	v_mov_b32_e32 v77, v76
	v_mov_b32_e32 v78, v76
	v_mov_b32_e32 v79, v76
	v_mov_b32_e32 v80, v76
	v_mov_b32_e32 v81, v76
	v_mov_b32_e32 v82, v76
	v_mov_b32_e32 v83, v76
	v_cmp_eq_u32_e64 s7, 3, v72
	v_cmp_eq_u32_e64 s8, 7, v72
	s_waitcnt lgkmcnt(8)
	s_delay_alu instid0(VALU_DEP_3)
	v_wmma_f32_16x16x16_f16 v[76:83], v[49:56], v[84:91], v[76:83]
	ds_load_b128 v[53:56], v73 offset:10256
	ds_load_b128 v[49:52], v73 offset:10240
	s_waitcnt lgkmcnt(8)
	v_wmma_f32_16x16x16_f16 v[76:83], v[41:48], v[92:99], v[76:83]
	ds_load_b128 v[45:48], v73 offset:12304
	ds_load_b128 v[41:44], v73 offset:12288
	s_waitcnt lgkmcnt(8)
	;; [unrolled: 4-line block ×3, first 2 shown]
	s_barrier
	buffer_gl0_inv
	v_wmma_f32_16x16x16_f16 v[76:83], v[1:8], v[108:115], v[76:83]
	s_delay_alu instid0(VALU_DEP_1) | instskip(NEXT) | instid1(VALU_DEP_1)
	v_wmma_f32_16x16x16_f16 v[76:83], v[9:16], v[116:123], v[76:83]
	v_wmma_f32_16x16x16_f16 v[76:83], v[17:24], v[49:56], v[76:83]
	s_delay_alu instid0(VALU_DEP_1) | instskip(NEXT) | instid1(VALU_DEP_1)
	v_wmma_f32_16x16x16_f16 v[76:83], v[25:32], v[41:48], v[76:83]
	v_wmma_f32_16x16x16_f16 v[76:83], v[57:64], v[33:40], v[76:83]
	s_delay_alu instid0(VALU_DEP_1) | instskip(NEXT) | instid1(VALU_DEP_2)
	v_cvt_f16_f32_e32 v1, v76
	v_cvt_f16_f32_e32 v2, v77
	s_delay_alu instid0(VALU_DEP_3) | instskip(NEXT) | instid1(VALU_DEP_4)
	v_cvt_f16_f32_e32 v3, v78
	v_cvt_f16_f32_e32 v4, v79
	;; [unrolled: 1-line block ×6, first 2 shown]
	v_pack_b32_f16 v1, v1, v2
	v_pack_b32_f16 v2, v3, v4
	;; [unrolled: 1-line block ×3, first 2 shown]
	s_delay_alu instid0(VALU_DEP_4)
	v_pack_b32_f16 v4, v7, v8
	ds_store_b128 v74, v[1:4]
	s_waitcnt lgkmcnt(0)
	s_barrier
	buffer_gl0_inv
	ds_load_b128 v[1:4], v75
	ds_load_b128 v[5:8], v75 offset:16
	s_waitcnt lgkmcnt(1)
	v_lshrrev_b32_e32 v9, 16, v1
	s_waitcnt lgkmcnt(0)
	v_lshrrev_b32_e32 v13, 16, v5
	v_lshrrev_b32_e32 v10, 16, v2
	;; [unrolled: 1-line block ×4, first 2 shown]
	v_cndmask_b32_e32 v17, v1, v9, vcc_lo
	v_cndmask_b32_e32 v18, v5, v13, vcc_lo
	v_cndmask_b32_e64 v21, v1, v9, s5
	v_cmp_eq_u32_e32 vcc_lo, 1, v71
	v_cndmask_b32_e64 v22, v5, v13, s5
	v_cmp_eq_u32_e64 s5, 2, v70
	v_cndmask_b32_e64 v19, v1, v9, s4
	v_cndmask_b32_e64 v20, v5, v13, s4
	v_cndmask_b32_e32 v1, v1, v9, vcc_lo
	v_cmp_eq_u32_e64 s4, 2, v71
	v_cndmask_b32_e32 v5, v5, v13, vcc_lo
	v_cndmask_b32_e64 v9, v17, v2, s5
	v_cmp_eq_u32_e32 vcc_lo, 3, v70
	v_cndmask_b32_e64 v13, v18, v6, s5
	v_cmp_eq_u32_e64 s5, 2, v69
	v_cndmask_b32_e64 v17, v19, v2, s6
	v_cndmask_b32_e64 v18, v20, v6, s6
	v_cmp_eq_u32_e64 s6, 3, v69
	v_cndmask_b32_e64 v1, v1, v2, s4
	v_cndmask_b32_e64 v19, v21, v2, s5
	v_cndmask_b32_e64 v20, v22, v6, s5
	v_cndmask_b32_e64 v2, v5, v6, s4
	v_cndmask_b32_e32 v5, v9, v10, vcc_lo
	v_cndmask_b32_e32 v6, v13, v14, vcc_lo
	v_cmp_eq_u32_e32 vcc_lo, 3, v71
	v_cndmask_b32_e64 v9, v17, v10, s7
	v_cndmask_b32_e64 v13, v18, v14, s7
	;; [unrolled: 1-line block ×3, first 2 shown]
	v_cmp_eq_u32_e64 s5, 4, v70
	v_cndmask_b32_e32 v1, v1, v10, vcc_lo
	v_cndmask_b32_e32 v2, v2, v14, vcc_lo
	v_cmp_eq_u32_e32 vcc_lo, 4, v72
	v_lshrrev_b32_e32 v15, 16, v7
	v_lshrrev_b32_e32 v16, 16, v8
	v_cndmask_b32_e64 v17, v19, v10, s6
	v_cmp_eq_u32_e64 s4, 4, v71
	v_cndmask_b32_e64 v5, v5, v3, s5
	v_cndmask_b32_e64 v6, v6, v7, s5
	v_cndmask_b32_e32 v9, v9, v3, vcc_lo
	v_cmp_eq_u32_e64 s5, 5, v72
	v_cndmask_b32_e32 v10, v13, v7, vcc_lo
	v_cmp_eq_u32_e32 vcc_lo, 4, v69
	v_cmp_eq_u32_e64 s6, 5, v70
	v_cndmask_b32_e64 v2, v2, v7, s4
	v_cndmask_b32_e64 v9, v9, v11, s5
	;; [unrolled: 1-line block ×3, first 2 shown]
	v_cndmask_b32_e32 v13, v17, v3, vcc_lo
	v_cmp_eq_u32_e64 s5, 5, v69
	v_cndmask_b32_e32 v14, v18, v7, vcc_lo
	v_cndmask_b32_e64 v1, v1, v3, s4
	v_cmp_eq_u32_e32 vcc_lo, 5, v71
	v_lshrrev_b32_e32 v12, 16, v4
	v_cndmask_b32_e64 v13, v13, v11, s5
	v_cndmask_b32_e64 v3, v14, v15, s5
	v_cmp_eq_u32_e64 s5, 6, v71
	v_cndmask_b32_e32 v1, v1, v11, vcc_lo
	v_cndmask_b32_e64 v5, v5, v11, s6
	v_cmp_eq_u32_e64 s7, 6, v70
	v_cndmask_b32_e64 v6, v6, v15, s6
	v_cmp_eq_u32_e64 s6, 6, v72
	v_cmp_eq_u32_e64 s4, 6, v69
	v_cndmask_b32_e64 v1, v1, v4, s5
	v_cndmask_b32_e32 v2, v2, v15, vcc_lo
	v_cmp_eq_u32_e32 vcc_lo, 7, v71
	v_cndmask_b32_e64 v5, v5, v4, s7
	v_cndmask_b32_e64 v9, v9, v4, s6
	v_cndmask_b32_e64 v6, v6, v8, s7
	v_cmp_eq_u32_e64 s7, 7, v70
	v_cndmask_b32_e32 v1, v1, v12, vcc_lo
	v_cndmask_b32_e64 v7, v13, v4, s4
	v_cndmask_b32_e64 v3, v3, v8, s4
	;; [unrolled: 1-line block ×3, first 2 shown]
	v_cmp_eq_u32_e64 s4, 7, v69
	v_cndmask_b32_e64 v4, v10, v8, s6
	v_cndmask_b32_e64 v5, v5, v12, s7
	;; [unrolled: 1-line block ×3, first 2 shown]
	v_cndmask_b32_e32 v2, v2, v16, vcc_lo
	v_cndmask_b32_e64 v7, v7, v12, s4
	v_cndmask_b32_e64 v3, v3, v16, s4
	;; [unrolled: 1-line block ×4, first 2 shown]
	v_cmp_gt_u32_e32 vcc_lo, 32, v0
	v_perm_b32 v4, v2, v1, 0x5040100
	v_perm_b32 v3, v3, v7, 0x5040100
	;; [unrolled: 1-line block ×4, first 2 shown]
	s_and_b32 s2, vcc_lo, s2
	ds_store_b128 v74, v[1:4]
	s_waitcnt lgkmcnt(0)
	s_barrier
	buffer_gl0_inv
	s_and_saveexec_b32 s4, s2
	s_cbranch_execz .LBB918_2
; %bb.15:
	s_load_b64 s[4:5], s[0:1], 0x68
	v_lshlrev_b32_e32 v0, 10, v0
	v_lshlrev_b32_e32 v1, 4, v67
	s_lshl_b32 s0, s36, 6
	v_add_nc_u32_e32 v2, s33, v66
	s_mul_i32 s1, s0, s34
	s_delay_alu instid0(SALU_CYCLE_1) | instskip(SKIP_1) | instid1(VALU_DEP_2)
	s_mul_i32 s6, s1, s9
	v_and_or_b32 v0, 0x3800, v0, v1
	v_mul_lo_u32 v1, v2, s0
	s_ashr_i32 s7, s6, 31
	v_add_nc_u32_e32 v3, 2, v2
	s_lshl_b64 s[6:7], s[6:7], 1
	v_add_nc_u32_e32 v4, 4, v2
	v_add_nc_u32_e32 v5, 6, v2
	v_lshl_or_b32 v15, v66, 6, v0
	v_mul_lo_u32 v3, v3, s0
	v_ashrrev_i32_e32 v2, 31, v1
	v_mul_lo_u32 v19, v4, s0
	v_mul_lo_u32 v21, v5, s0
	s_waitcnt lgkmcnt(0)
	s_add_u32 s1, s4, s6
	s_addc_u32 s2, s5, s7
	s_lshl_b32 s4, s14, 6
	v_lshlrev_b64 v[5:6], 1, v[1:2]
	s_ashr_i32 s5, s4, 31
	v_ashrrev_i32_e32 v4, 31, v3
	s_lshl_b64 s[4:5], s[4:5], 1
	v_ashrrev_i32_e32 v20, 31, v19
	s_add_u32 s1, s1, s4
	s_addc_u32 s2, s2, s5
	v_add_co_u32 v1, s1, s1, v65
	s_delay_alu instid0(VALU_DEP_1) | instskip(SKIP_1) | instid1(VALU_DEP_3)
	v_add_co_ci_u32_e64 v2, null, s2, 0, s1
	v_lshlrev_b64 v[25:26], 1, v[3:4]
	v_add_co_u32 v23, vcc_lo, v1, v5
	s_delay_alu instid0(VALU_DEP_3)
	v_add_co_ci_u32_e32 v24, vcc_lo, v2, v6, vcc_lo
	ds_load_b128 v[3:6], v15
	ds_load_b128 v[7:10], v15 offset:128
	ds_load_b128 v[11:14], v15 offset:256
	;; [unrolled: 1-line block ×3, first 2 shown]
	v_ashrrev_i32_e32 v22, 31, v21
	v_lshlrev_b64 v[19:20], 1, v[19:20]
	v_add_co_u32 v25, vcc_lo, v1, v25
	v_add_co_ci_u32_e32 v26, vcc_lo, v2, v26, vcc_lo
	s_delay_alu instid0(VALU_DEP_4) | instskip(NEXT) | instid1(VALU_DEP_4)
	v_lshlrev_b64 v[21:22], 1, v[21:22]
	v_add_co_u32 v19, vcc_lo, v1, v19
	v_add_co_ci_u32_e32 v20, vcc_lo, v2, v20, vcc_lo
	s_delay_alu instid0(VALU_DEP_3) | instskip(NEXT) | instid1(VALU_DEP_4)
	v_add_co_u32 v21, vcc_lo, v1, v21
	v_add_co_ci_u32_e32 v22, vcc_lo, v2, v22, vcc_lo
	s_waitcnt lgkmcnt(3)
	global_store_b128 v[23:24], v[3:6], off
	s_waitcnt lgkmcnt(2)
	global_store_b128 v[25:26], v[7:10], off
	;; [unrolled: 2-line block ×4, first 2 shown]
	s_and_b32 exec_lo, exec_lo, s3
	s_cbranch_execz .LBB918_2
; %bb.16:
	ds_load_b128 v[3:6], v0 offset:512
	s_add_i32 s1, s33, 8
	s_delay_alu instid0(SALU_CYCLE_1) | instskip(NEXT) | instid1(SALU_CYCLE_1)
	s_mul_i32 s0, s1, s0
	s_ashr_i32 s1, s0, 31
	s_delay_alu instid0(SALU_CYCLE_1) | instskip(NEXT) | instid1(SALU_CYCLE_1)
	s_lshl_b64 s[0:1], s[0:1], 1
	v_add_co_u32 v0, vcc_lo, v1, s0
	v_add_co_ci_u32_e32 v1, vcc_lo, s1, v2, vcc_lo
	s_waitcnt lgkmcnt(0)
	global_store_b128 v[0:1], v[3:6], off
	s_nop 0
	s_sendmsg sendmsg(MSG_DEALLOC_VGPRS)
	s_endpgm
	.section	.rodata,"a",@progbits
	.p2align	6, 0x0
	.amdhsa_kernel _Z39paged_attention_ll4mi_QKV_mfma16_kernelIDF16_hLN4vllm18Fp8KVCacheDataTypeE1EDF16_Li32ELi64ELi256ELb0ELi9EL8MFMAType1EEvPKT_PKT0_S8_ifPKiSA_SA_iPKfiiiPfSD_PS3_PT2_iSC_SC_
		.amdhsa_group_segment_fixed_size 17472
		.amdhsa_private_segment_fixed_size 0
		.amdhsa_kernarg_size 400
		.amdhsa_user_sgpr_count 13
		.amdhsa_user_sgpr_dispatch_ptr 0
		.amdhsa_user_sgpr_queue_ptr 0
		.amdhsa_user_sgpr_kernarg_segment_ptr 1
		.amdhsa_user_sgpr_dispatch_id 0
		.amdhsa_user_sgpr_private_segment_size 0
		.amdhsa_wavefront_size32 1
		.amdhsa_uses_dynamic_stack 0
		.amdhsa_enable_private_segment 0
		.amdhsa_system_sgpr_workgroup_id_x 1
		.amdhsa_system_sgpr_workgroup_id_y 1
		.amdhsa_system_sgpr_workgroup_id_z 1
		.amdhsa_system_sgpr_workgroup_info 0
		.amdhsa_system_vgpr_workitem_id 0
		.amdhsa_next_free_vgpr 146
		.amdhsa_next_free_sgpr 37
		.amdhsa_reserve_vcc 1
		.amdhsa_float_round_mode_32 0
		.amdhsa_float_round_mode_16_64 0
		.amdhsa_float_denorm_mode_32 3
		.amdhsa_float_denorm_mode_16_64 3
		.amdhsa_dx10_clamp 1
		.amdhsa_ieee_mode 1
		.amdhsa_fp16_overflow 0
		.amdhsa_workgroup_processor_mode 1
		.amdhsa_memory_ordered 1
		.amdhsa_forward_progress 0
		.amdhsa_shared_vgpr_count 0
		.amdhsa_exception_fp_ieee_invalid_op 0
		.amdhsa_exception_fp_denorm_src 0
		.amdhsa_exception_fp_ieee_div_zero 0
		.amdhsa_exception_fp_ieee_overflow 0
		.amdhsa_exception_fp_ieee_underflow 0
		.amdhsa_exception_fp_ieee_inexact 0
		.amdhsa_exception_int_div_zero 0
	.end_amdhsa_kernel
	.section	.text._Z39paged_attention_ll4mi_QKV_mfma16_kernelIDF16_hLN4vllm18Fp8KVCacheDataTypeE1EDF16_Li32ELi64ELi256ELb0ELi9EL8MFMAType1EEvPKT_PKT0_S8_ifPKiSA_SA_iPKfiiiPfSD_PS3_PT2_iSC_SC_,"axG",@progbits,_Z39paged_attention_ll4mi_QKV_mfma16_kernelIDF16_hLN4vllm18Fp8KVCacheDataTypeE1EDF16_Li32ELi64ELi256ELb0ELi9EL8MFMAType1EEvPKT_PKT0_S8_ifPKiSA_SA_iPKfiiiPfSD_PS3_PT2_iSC_SC_,comdat
.Lfunc_end918:
	.size	_Z39paged_attention_ll4mi_QKV_mfma16_kernelIDF16_hLN4vllm18Fp8KVCacheDataTypeE1EDF16_Li32ELi64ELi256ELb0ELi9EL8MFMAType1EEvPKT_PKT0_S8_ifPKiSA_SA_iPKfiiiPfSD_PS3_PT2_iSC_SC_, .Lfunc_end918-_Z39paged_attention_ll4mi_QKV_mfma16_kernelIDF16_hLN4vllm18Fp8KVCacheDataTypeE1EDF16_Li32ELi64ELi256ELb0ELi9EL8MFMAType1EEvPKT_PKT0_S8_ifPKiSA_SA_iPKfiiiPfSD_PS3_PT2_iSC_SC_
                                        ; -- End function
	.section	.AMDGPU.csdata,"",@progbits
; Kernel info:
; codeLenInByte = 6584
; NumSgprs: 39
; NumVgprs: 146
; ScratchSize: 0
; MemoryBound: 0
; FloatMode: 240
; IeeeMode: 1
; LDSByteSize: 17472 bytes/workgroup (compile time only)
; SGPRBlocks: 4
; VGPRBlocks: 18
; NumSGPRsForWavesPerEU: 39
; NumVGPRsForWavesPerEU: 146
; Occupancy: 9
; WaveLimiterHint : 1
; COMPUTE_PGM_RSRC2:SCRATCH_EN: 0
; COMPUTE_PGM_RSRC2:USER_SGPR: 13
; COMPUTE_PGM_RSRC2:TRAP_HANDLER: 0
; COMPUTE_PGM_RSRC2:TGID_X_EN: 1
; COMPUTE_PGM_RSRC2:TGID_Y_EN: 1
; COMPUTE_PGM_RSRC2:TGID_Z_EN: 1
; COMPUTE_PGM_RSRC2:TIDIG_COMP_CNT: 0
	.section	.text._Z39paged_attention_ll4mi_QKV_mfma16_kernelIDF16_hLN4vllm18Fp8KVCacheDataTypeE1EDF16_Li32ELi64ELi256ELb0ELi10EL8MFMAType1EEvPKT_PKT0_S8_ifPKiSA_SA_iPKfiiiPfSD_PS3_PT2_iSC_SC_,"axG",@progbits,_Z39paged_attention_ll4mi_QKV_mfma16_kernelIDF16_hLN4vllm18Fp8KVCacheDataTypeE1EDF16_Li32ELi64ELi256ELb0ELi10EL8MFMAType1EEvPKT_PKT0_S8_ifPKiSA_SA_iPKfiiiPfSD_PS3_PT2_iSC_SC_,comdat
	.protected	_Z39paged_attention_ll4mi_QKV_mfma16_kernelIDF16_hLN4vllm18Fp8KVCacheDataTypeE1EDF16_Li32ELi64ELi256ELb0ELi10EL8MFMAType1EEvPKT_PKT0_S8_ifPKiSA_SA_iPKfiiiPfSD_PS3_PT2_iSC_SC_ ; -- Begin function _Z39paged_attention_ll4mi_QKV_mfma16_kernelIDF16_hLN4vllm18Fp8KVCacheDataTypeE1EDF16_Li32ELi64ELi256ELb0ELi10EL8MFMAType1EEvPKT_PKT0_S8_ifPKiSA_SA_iPKfiiiPfSD_PS3_PT2_iSC_SC_
	.globl	_Z39paged_attention_ll4mi_QKV_mfma16_kernelIDF16_hLN4vllm18Fp8KVCacheDataTypeE1EDF16_Li32ELi64ELi256ELb0ELi10EL8MFMAType1EEvPKT_PKT0_S8_ifPKiSA_SA_iPKfiiiPfSD_PS3_PT2_iSC_SC_
	.p2align	8
	.type	_Z39paged_attention_ll4mi_QKV_mfma16_kernelIDF16_hLN4vllm18Fp8KVCacheDataTypeE1EDF16_Li32ELi64ELi256ELb0ELi10EL8MFMAType1EEvPKT_PKT0_S8_ifPKiSA_SA_iPKfiiiPfSD_PS3_PT2_iSC_SC_,@function
_Z39paged_attention_ll4mi_QKV_mfma16_kernelIDF16_hLN4vllm18Fp8KVCacheDataTypeE1EDF16_Li32ELi64ELi256ELb0ELi10EL8MFMAType1EEvPKT_PKT0_S8_ifPKiSA_SA_iPKfiiiPfSD_PS3_PT2_iSC_SC_: ; @_Z39paged_attention_ll4mi_QKV_mfma16_kernelIDF16_hLN4vllm18Fp8KVCacheDataTypeE1EDF16_Li32ELi64ELi256ELb0ELi10EL8MFMAType1EEvPKT_PKT0_S8_ifPKiSA_SA_iPKfiiiPfSD_PS3_PT2_iSC_SC_
; %bb.0:
	s_load_b64 s[2:3], s[0:1], 0x30
	s_mov_b32 s34, s13
	s_waitcnt lgkmcnt(0)
	s_cmp_lg_u64 s[2:3], 0
	s_cselect_b32 s6, -1, 0
	s_ashr_i32 s35, s13, 31
	s_cmp_eq_u64 s[2:3], 0
	s_cbranch_scc1 .LBB919_3
; %bb.1:
	s_lshl_b64 s[4:5], s[34:35], 2
	s_delay_alu instid0(SALU_CYCLE_1) | instskip(SKIP_4) | instid1(SALU_CYCLE_1)
	s_add_u32 s4, s2, s4
	s_addc_u32 s5, s3, s5
	s_load_b64 s[4:5], s[4:5], 0x0
	s_waitcnt lgkmcnt(0)
	s_sub_i32 s4, s5, s4
	s_cmp_eq_u32 s4, 1
	s_cselect_b32 s4, -1, 0
	s_delay_alu instid0(SALU_CYCLE_1)
	s_and_not1_b32 vcc_lo, exec_lo, s4
	s_cbranch_vccz .LBB919_4
.LBB919_2:
	s_endpgm
.LBB919_3:
.LBB919_4:
	s_load_b64 s[8:9], s[0:1], 0x28
	s_lshl_b64 s[4:5], s[34:35], 2
	s_waitcnt lgkmcnt(0)
	s_add_u32 s8, s8, s4
	s_addc_u32 s9, s9, s5
	s_lshl_b32 s16, s14, 8
	s_load_b32 s18, s[8:9], 0x0
	s_waitcnt lgkmcnt(0)
	s_cmp_ge_i32 s16, s18
	s_cbranch_scc1 .LBB919_2
; %bb.5:
	s_clause 0x1
	s_load_b128 s[8:11], s[0:1], 0x8
	s_load_b64 s[12:13], s[0:1], 0x20
	s_and_not1_b32 vcc_lo, exec_lo, s6
	s_cbranch_vccnz .LBB919_7
; %bb.6:
	s_add_u32 s2, s2, s4
	s_addc_u32 s3, s3, s5
	s_load_b32 s3, s[2:3], 0x0
	s_branch .LBB919_8
.LBB919_7:
	s_mov_b32 s3, s34
.LBB919_8:
	s_load_b128 s[4:7], s[0:1], 0x48
	v_and_b32_e32 v68, 15, v0
	v_cmp_gt_u32_e32 vcc_lo, 0xa0, v0
	v_lshrrev_b32_e32 v69, 5, v0
	v_and_b32_e32 v70, 31, v0
	v_and_b32_e32 v67, 1, v0
	v_lshlrev_b32_e32 v1, 3, v68
	v_cmp_gt_u32_e64 s2, 8, v68
	v_bfe_u32 v66, v0, 4, 1
	s_mul_i32 s31, s15, 10
	s_delay_alu instid0(VALU_DEP_3) | instskip(NEXT) | instid1(VALU_DEP_3)
	v_lshlrev_b32_e32 v65, 1, v1
	s_and_b32 s17, vcc_lo, s2
	s_waitcnt lgkmcnt(0)
	s_and_saveexec_b32 s7, s17
	s_cbranch_execz .LBB919_10
; %bb.9:
	s_load_b64 s[20:21], s[0:1], 0x0
	v_lshl_or_b32 v5, v69, 1, v66
	s_mul_hi_i32 s23, s3, s4
	s_mul_i32 s22, s3, s4
	v_lshlrev_b32_e32 v6, 10, v68
	s_lshl_b64 s[22:23], s[22:23], 1
	v_add_lshl_u32 v1, v5, s31, 6
	v_lshlrev_b32_e32 v5, 6, v5
	v_lshlrev_b32_e32 v7, 10, v67
	v_and_b32_e32 v6, 0x3800, v6
	s_delay_alu instid0(VALU_DEP_4) | instskip(NEXT) | instid1(VALU_DEP_2)
	v_ashrrev_i32_e32 v2, 31, v1
	v_or3_b32 v5, v6, v7, v5
	s_delay_alu instid0(VALU_DEP_2) | instskip(SKIP_3) | instid1(VALU_DEP_1)
	v_lshlrev_b64 v[1:2], 1, v[1:2]
	s_waitcnt lgkmcnt(0)
	s_add_u32 s3, s20, s22
	s_addc_u32 s4, s21, s23
	v_add_co_u32 v1, vcc_lo, s3, v1
	s_delay_alu instid0(VALU_DEP_2) | instskip(NEXT) | instid1(VALU_DEP_2)
	v_add_co_ci_u32_e32 v2, vcc_lo, s4, v2, vcc_lo
	v_add_co_u32 v1, vcc_lo, v1, v65
	s_delay_alu instid0(VALU_DEP_2)
	v_add_co_ci_u32_e32 v2, vcc_lo, 0, v2, vcc_lo
	global_load_b128 v[1:4], v[1:2], off
	s_waitcnt vmcnt(0)
	ds_store_b128 v5, v[1:4]
.LBB919_10:
	s_or_b32 exec_lo, exec_lo, s7
	v_and_b32_e32 v1, 0xef, v0
	s_add_i32 s3, s18, 31
	s_clause 0x1
	s_load_b32 s4, s[0:1], 0x38
	s_load_b32 s33, s[0:1], 0x98
	s_ashr_i32 s7, s3, 31
	v_add_nc_u32_e32 v1, s16, v1
	s_lshr_b32 s7, s7, 27
	s_load_b32 s19, s[0:1], 0x1c
	v_add_nc_u32_e32 v103, -10, v68
	s_add_i32 s3, s3, s7
	v_ashrrev_i32_e32 v2, 31, v1
	v_or_b32_e32 v3, 16, v1
	s_ashr_i32 s3, s3, 5
	v_cmp_gt_i32_e32 vcc_lo, s18, v1
	s_add_i32 s3, s3, -1
	v_lshrrev_b32_e32 v2, 27, v2
	s_waitcnt lgkmcnt(0)
	s_barrier
	buffer_gl0_inv
	s_mul_i32 s15, s15, s6
	v_add_nc_u32_e32 v4, v1, v2
	v_mbcnt_lo_u32_b32 v127, -1, 0
	s_mul_i32 s20, s34, s4
	s_delay_alu instid0(SALU_CYCLE_1) | instskip(NEXT) | instid1(VALU_DEP_2)
	s_ashr_i32 s21, s20, 31
	v_ashrrev_i32_e32 v4, 5, v4
	v_add_nc_u32_e32 v2, v3, v2
	s_lshl_b64 s[20:21], s[20:21], 2
	v_xor_b32_e32 v128, 16, v127
	s_add_u32 s17, s12, s20
	v_cndmask_b32_e32 v1, s3, v4, vcc_lo
	v_ashrrev_i32_e32 v2, 5, v2
	v_cmp_gt_i32_e32 vcc_lo, s18, v3
	s_addc_u32 s13, s13, s21
	s_ashr_i32 s20, s15, 31
	s_add_u32 s22, s8, s15
	s_addc_u32 s23, s9, s20
	v_cndmask_b32_e32 v3, s3, v2, vcc_lo
	v_ashrrev_i32_e32 v2, 31, v1
	s_lshl_b32 s6, s14, 3
	s_delay_alu instid0(SALU_CYCLE_1) | instskip(NEXT) | instid1(VALU_DEP_2)
	s_ashr_i32 s7, s6, 31
	v_ashrrev_i32_e32 v4, 31, v3
	s_delay_alu instid0(VALU_DEP_2) | instskip(SKIP_1) | instid1(SALU_CYCLE_1)
	v_lshlrev_b64 v[1:2], 2, v[1:2]
	s_lshl_b64 s[6:7], s[6:7], 2
	s_add_u32 s6, s17, s6
	s_delay_alu instid0(VALU_DEP_2) | instskip(SKIP_1) | instid1(VALU_DEP_2)
	v_lshlrev_b64 v[3:4], 2, v[3:4]
	s_addc_u32 s7, s13, s7
	v_add_co_u32 v1, vcc_lo, s17, v1
	v_add_co_ci_u32_e32 v2, vcc_lo, s13, v2, vcc_lo
	s_delay_alu instid0(VALU_DEP_3) | instskip(NEXT) | instid1(VALU_DEP_4)
	v_add_co_u32 v3, vcc_lo, s17, v3
	v_add_co_ci_u32_e32 v4, vcc_lo, s13, v4, vcc_lo
	s_clause 0x1
	global_load_b32 v5, v[1:2], off
	global_load_b32 v6, v[3:4], off
	s_or_b32 s4, s16, 32
	s_delay_alu instid0(SALU_CYCLE_1) | instskip(SKIP_2) | instid1(SALU_CYCLE_1)
	s_ashr_i32 s8, s4, 5
	s_cmp_lt_i32 s4, s18
	s_cselect_b32 s8, s8, s3
	s_ashr_i32 s9, s8, 31
	s_delay_alu instid0(SALU_CYCLE_1) | instskip(NEXT) | instid1(SALU_CYCLE_1)
	s_lshl_b64 s[8:9], s[8:9], 2
	s_add_u32 s8, s17, s8
	s_addc_u32 s9, s13, s9
	s_or_b32 s4, s16, 64
	s_delay_alu instid0(SALU_CYCLE_1) | instskip(SKIP_2) | instid1(SALU_CYCLE_1)
	s_ashr_i32 s12, s4, 5
	s_cmp_lt_i32 s4, s18
	s_cselect_b32 s24, s12, s3
	s_ashr_i32 s25, s24, 31
	s_delay_alu instid0(SALU_CYCLE_1) | instskip(NEXT) | instid1(SALU_CYCLE_1)
	s_lshl_b64 s[24:25], s[24:25], 2
	s_add_u32 s24, s17, s24
	s_addc_u32 s25, s13, s25
	;; [unrolled: 10-line block ×5, first 2 shown]
	s_clause 0x5
	s_load_b32 s12, s[6:7], 0x0
	s_load_b32 s4, s[8:9], 0x0
	;; [unrolled: 1-line block ×6, first 2 shown]
	s_or_b32 s21, s16, 0xc0
	s_waitcnt vmcnt(1)
	v_mad_i64_i32 v[1:2], null, v5, s5, s[22:23]
	v_lshlrev_b32_e32 v5, 4, v68
	s_waitcnt vmcnt(0)
	v_mad_i64_i32 v[3:4], null, v6, s5, s[22:23]
	s_ashr_i32 s22, s21, 5
	s_cmp_lt_i32 s21, s18
	s_delay_alu instid0(VALU_DEP_3) | instskip(NEXT) | instid1(VALU_DEP_4)
	v_add_co_u32 v1, vcc_lo, v1, v5
	v_add_co_ci_u32_e32 v2, vcc_lo, 0, v2, vcc_lo
	s_delay_alu instid0(VALU_DEP_3) | instskip(NEXT) | instid1(VALU_DEP_4)
	v_add_co_u32 v3, vcc_lo, v3, v5
	v_add_co_ci_u32_e32 v4, vcc_lo, 0, v4, vcc_lo
	s_clause 0x7
	global_load_b128 v[71:74], v[1:2], off
	global_load_b128 v[75:78], v[1:2], off offset:512
	global_load_b128 v[79:82], v[3:4], off offset:256
	;; [unrolled: 1-line block ×7, first 2 shown]
	s_cselect_b32 s22, s22, s3
	v_lshlrev_b32_e32 v1, 5, v68
	s_ashr_i32 s23, s22, 31
	v_cmp_gt_u32_e32 vcc_lo, 10, v68
	s_lshl_b64 s[22:23], s[22:23], 2
	s_delay_alu instid0(SALU_CYCLE_1)
	s_add_u32 s22, s17, s22
	s_addc_u32 s23, s13, s23
	s_or_b32 s21, s16, 0xe0
	v_lshl_or_b32 v1, v69, 9, v1
	s_ashr_i32 s24, s21, 5
	s_cmp_lt_i32 s21, s18
	v_cndmask_b32_e32 v103, v103, v68, vcc_lo
	s_cselect_b32 s24, s24, s3
	s_load_b32 s3, s[22:23], 0x0
	s_ashr_i32 s25, s24, 31
	v_cmp_gt_i32_e32 vcc_lo, 32, v128
	s_lshl_b64 s[24:25], s[24:25], 2
	v_lshlrev_b32_e32 v115, 6, v103
	s_add_u32 s22, s17, s24
	s_addc_u32 s23, s13, s25
	v_cndmask_b32_e32 v136, v127, v128, vcc_lo
	s_add_u32 s10, s10, s15
	s_addc_u32 s11, s11, s20
	v_add_co_u32 v1, s10, s10, v1
	s_delay_alu instid0(VALU_DEP_1) | instskip(SKIP_2) | instid1(VALU_DEP_1)
	v_add_co_ci_u32_e64 v2, null, s11, 0, s10
	s_load_b32 s10, s[22:23], 0x0
	s_waitcnt lgkmcnt(0)
	v_mad_i64_i32 v[3:4], null, s12, s5, v[1:2]
	v_mad_i64_i32 v[9:10], null, s7, s5, v[1:2]
	v_mad_i64_i32 v[5:6], null, s4, s5, v[1:2]
	v_mad_i64_i32 v[13:14], null, s8, s5, v[1:2]
	v_mad_i64_i32 v[7:8], null, s6, s5, v[1:2]
	v_mad_i64_i32 v[21:22], null, s9, s5, v[1:2]
	v_mad_i64_i32 v[29:30], null, s3, s5, v[1:2]
	s_clause 0x5
	global_load_b128 v[49:52], v[3:4], off
	global_load_b128 v[53:56], v[3:4], off offset:16
	global_load_b128 v[41:44], v[5:6], off
	global_load_b128 v[45:48], v[5:6], off offset:16
	;; [unrolled: 2-line block ×3, first 2 shown]
	s_mov_b32 s4, 0
	v_mad_i64_i32 v[61:62], null, s10, s5, v[1:2]
	s_clause 0x9
	global_load_b128 v[1:4], v[9:10], off
	global_load_b128 v[5:8], v[9:10], off offset:16
	global_load_b128 v[9:12], v[13:14], off
	global_load_b128 v[13:16], v[13:14], off offset:16
	;; [unrolled: 2-line block ×5, first 2 shown]
	s_mov_b32 s5, s4
	s_mov_b32 s6, s4
	s_mov_b32 s7, s4
	s_mov_b32 s8, s4
	s_mov_b32 s9, s4
	s_mov_b32 s10, s4
	s_mov_b32 s11, s4
	v_and_b32_e32 v104, 0xe0, v0
	v_dual_mov_b32 v126, s11 :: v_dual_mov_b32 v125, s10
	v_dual_mov_b32 v124, s9 :: v_dual_mov_b32 v123, s8
	s_delay_alu instid0(VALU_DEP_3)
	v_add_nc_u32_e32 v111, s16, v104
	ds_load_b128 v[103:106], v115
	ds_load_b128 v[107:110], v115 offset:1024
	v_dual_mov_b32 v122, s7 :: v_dual_mov_b32 v121, s6
	v_mov_b32_e32 v120, s5
	v_or_b32_e32 v135, v111, v66
	ds_load_b128 v[111:114], v115 offset:2048
	ds_load_b128 v[115:118], v115 offset:3072
	v_mov_b32_e32 v119, s4
	s_waitcnt vmcnt(0) lgkmcnt(0)
	s_barrier
	v_or_b32_e32 v137, 2, v135
	v_or_b32_e32 v138, 4, v135
	;; [unrolled: 1-line block ×3, first 2 shown]
	v_cmp_gt_i32_e32 vcc_lo, s18, v135
	v_or_b32_e32 v140, 8, v135
	v_cmp_gt_i32_e64 s3, s18, v137
	v_or_b32_e32 v141, 10, v135
	v_cmp_gt_i32_e64 s4, s18, v138
	v_cmp_gt_i32_e64 s5, s18, v139
	v_or_b32_e32 v142, 12, v135
	v_or_b32_e32 v143, 14, v135
	v_cmp_gt_i32_e64 s6, s18, v140
	v_cmp_gt_i32_e64 s7, s18, v141
	v_or_b32_e32 v144, 16, v135
	v_or_b32_e32 v145, 18, v135
	v_cmp_gt_i32_e64 s8, s18, v142
	v_cmp_gt_i32_e64 s9, s18, v143
	buffer_gl0_inv
	v_cmp_gt_i32_e64 s10, s18, v144
	v_cmp_gt_i32_e64 s11, s18, v145
	v_wmma_f32_16x16x16_f16 v[127:134], v[71:78], v[103:110], v[119:126]
	v_wmma_f32_16x16x16_f16 v[119:126], v[79:86], v[103:110], v[119:126]
	v_or_b32_e32 v71, 20, v135
	v_or_b32_e32 v72, 22, v135
	s_delay_alu instid0(VALU_DEP_4)
	v_wmma_f32_16x16x16_f16 v[127:134], v[87:94], v[111:118], v[127:134]
	v_or_b32_e32 v73, 24, v135
	v_wmma_f32_16x16x16_f16 v[119:126], v[95:102], v[111:118], v[119:126]
	v_or_b32_e32 v74, 26, v135
	v_cmp_gt_i32_e64 s12, s18, v71
	v_dual_mul_f32 v83, s19, v128 :: v_dual_mul_f32 v84, s19, v127
	s_delay_alu instid0(VALU_DEP_4) | instskip(SKIP_1) | instid1(VALU_DEP_3)
	v_dual_mul_f32 v81, s19, v130 :: v_dual_mul_f32 v92, s19, v119
	v_mul_f32_e32 v82, s19, v129
	v_cndmask_b32_e64 v83, 0xff7fffff, v83, s3
	s_delay_alu instid0(VALU_DEP_4)
	v_cndmask_b32_e32 v84, 0xff7fffff, v84, vcc_lo
	v_dual_mul_f32 v79, s19, v132 :: v_dual_mul_f32 v90, s19, v121
	v_mul_f32_e32 v80, s19, v131
	v_cndmask_b32_e64 v82, 0xff7fffff, v82, s4
	v_cndmask_b32_e64 v81, 0xff7fffff, v81, s5
	v_max3_f32 v83, v84, 0xff7fffff, v83
	v_dual_mul_f32 v77, s19, v134 :: v_dual_mul_f32 v88, s19, v123
	v_mul_f32_e32 v78, s19, v133
	v_cndmask_b32_e64 v80, 0xff7fffff, v80, s6
	v_cndmask_b32_e64 v79, 0xff7fffff, v79, s7
	v_max3_f32 v81, v83, v82, v81
	v_mul_f32_e32 v91, s19, v120
	v_cndmask_b32_e64 v78, 0xff7fffff, v78, s8
	v_cndmask_b32_e64 v77, 0xff7fffff, v77, s9
	v_mul_f32_e32 v89, s19, v122
	v_max3_f32 v79, v81, v80, v79
	v_cndmask_b32_e64 v80, 0xff7fffff, v92, s10
	v_cndmask_b32_e64 v81, 0xff7fffff, v91, s11
	v_cmp_gt_i32_e64 s13, s18, v72
	v_or_b32_e32 v75, 28, v135
	v_max3_f32 v77, v79, v78, v77
	v_or_b32_e32 v76, 30, v135
	v_mul_f32_e32 v87, s19, v124
	v_cndmask_b32_e64 v71, 0xff7fffff, v90, s12
	v_cndmask_b32_e64 v72, 0xff7fffff, v89, s13
	v_max3_f32 v77, v77, v80, v81
	v_cmp_gt_i32_e64 s15, s18, v73
	v_cmp_gt_i32_e64 s16, s18, v74
	v_dual_mul_f32 v85, s19, v126 :: v_dual_mul_f32 v86, s19, v125
	s_delay_alu instid0(VALU_DEP_4) | instskip(NEXT) | instid1(VALU_DEP_4)
	v_max3_f32 v71, v77, v71, v72
	v_cndmask_b32_e64 v73, 0xff7fffff, v88, s15
	s_delay_alu instid0(VALU_DEP_4) | instskip(SKIP_2) | instid1(VALU_DEP_3)
	v_cndmask_b32_e64 v74, 0xff7fffff, v87, s16
	v_cmp_gt_i32_e64 s17, s18, v75
	v_cmp_gt_i32_e64 s18, s18, v76
	v_max3_f32 v71, v71, v73, v74
	s_delay_alu instid0(VALU_DEP_3) | instskip(NEXT) | instid1(VALU_DEP_3)
	v_cndmask_b32_e64 v72, 0xff7fffff, v86, s17
	v_cndmask_b32_e64 v75, 0xff7fffff, v85, s18
	v_lshlrev_b32_e32 v73, 2, v136
	s_delay_alu instid0(VALU_DEP_2) | instskip(SKIP_3) | instid1(VALU_DEP_1)
	v_max3_f32 v71, v71, v72, v75
	ds_bpermute_b32 v72, v73, v71
	s_waitcnt lgkmcnt(0)
	v_max_f32_e32 v72, v72, v72
	v_max_f32_e32 v71, v71, v72
	s_delay_alu instid0(VALU_DEP_1)
	v_fma_f32 v72, s19, v127, -v71
	v_fma_f32 v74, s19, v128, -v71
	;; [unrolled: 1-line block ×5, first 2 shown]
	v_mul_f32_e32 v72, 0x3fb8aa3b, v72
	v_mul_f32_e32 v74, 0x3fb8aa3b, v74
	v_fma_f32 v80, s19, v133, -v71
	s_delay_alu instid0(VALU_DEP_4) | instskip(NEXT) | instid1(VALU_DEP_4)
	v_dual_mul_f32 v76, 0x3fb8aa3b, v76 :: v_dual_mul_f32 v77, 0x3fb8aa3b, v77
	v_exp_f32_e32 v72, v72
	s_delay_alu instid0(VALU_DEP_3) | instskip(NEXT) | instid1(VALU_DEP_2)
	v_exp_f32_e32 v74, v74
	v_mul_f32_e32 v82, 0x3fb8aa3b, v80
	s_delay_alu instid0(VALU_DEP_2) | instskip(SKIP_1) | instid1(VALU_DEP_1)
	v_exp_f32_e32 v76, v76
	v_exp_f32_e32 v77, v77
	;; [unrolled: 1-line block ×3, first 2 shown]
	v_cndmask_b32_e32 v79, 0, v72, vcc_lo
	v_fma_f32 v72, s19, v132, -v71
	v_mul_f32_e32 v75, 0x3fb8aa3b, v75
	v_cndmask_b32_e64 v78, 0, v74, s3
	s_delay_alu instid0(TRANS32_DEP_3)
	v_cndmask_b32_e64 v80, 0, v76, s5
	v_add_f32_e32 v74, 0, v79
	v_mul_f32_e32 v72, 0x3fb8aa3b, v72
	v_exp_f32_e32 v75, v75
	v_cndmask_b32_e64 v83, 0, v77, s6
	v_cndmask_b32_e64 v85, 0, v84, s8
	v_add_f32_e32 v74, v74, v78
	v_exp_f32_e32 v72, v72
	s_mov_b32 s3, exec_lo
	s_waitcnt_depctr 0xfff
	v_cndmask_b32_e64 v81, 0, v75, s4
	v_cndmask_b32_e64 v82, 0, v72, s7
	s_delay_alu instid0(VALU_DEP_2) | instskip(NEXT) | instid1(VALU_DEP_1)
	v_add_f32_e32 v74, v74, v81
	v_add_f32_e32 v74, v74, v80
	s_delay_alu instid0(VALU_DEP_1) | instskip(SKIP_4) | instid1(VALU_DEP_4)
	v_add_f32_e32 v72, v74, v83
	v_fma_f32 v75, s19, v134, -v71
	v_fma_f32 v76, s19, v119, -v71
	;; [unrolled: 1-line block ×4, first 2 shown]
	v_dual_add_f32 v72, v72, v82 :: v_dual_mul_f32 v75, 0x3fb8aa3b, v75
	s_delay_alu instid0(VALU_DEP_3) | instskip(SKIP_1) | instid1(VALU_DEP_3)
	v_dual_mul_f32 v76, 0x3fb8aa3b, v76 :: v_dual_mul_f32 v77, 0x3fb8aa3b, v77
	v_fma_f32 v86, s19, v122, -v71
	v_add_f32_e32 v72, v72, v85
	s_delay_alu instid0(VALU_DEP_4) | instskip(NEXT) | instid1(VALU_DEP_3)
	v_exp_f32_e32 v75, v75
	v_exp_f32_e32 v76, v76
	;; [unrolled: 1-line block ×3, first 2 shown]
	v_mul_f32_e32 v86, 0x3fb8aa3b, v86
	s_delay_alu instid0(VALU_DEP_1) | instskip(SKIP_3) | instid1(TRANS32_DEP_3)
	v_exp_f32_e32 v88, v86
	v_cndmask_b32_e64 v84, 0, v75, s9
	v_fma_f32 v75, s19, v123, -v71
	v_mul_f32_e32 v74, 0x3fb8aa3b, v74
	v_cndmask_b32_e64 v87, 0, v76, s10
	v_fma_f32 v76, s19, v124, -v71
	s_delay_alu instid0(VALU_DEP_4) | instskip(NEXT) | instid1(VALU_DEP_4)
	v_dual_add_f32 v72, v72, v84 :: v_dual_mul_f32 v75, 0x3fb8aa3b, v75
	v_exp_f32_e32 v74, v74
	v_cndmask_b32_e64 v86, 0, v77, s11
	v_fma_f32 v77, s19, v125, -v71
	s_delay_alu instid0(VALU_DEP_3) | instskip(SKIP_3) | instid1(VALU_DEP_3)
	v_add_f32_e32 v72, v72, v87
	v_mul_f32_e32 v76, 0x3fb8aa3b, v76
	v_exp_f32_e32 v75, v75
	v_cndmask_b32_e64 v88, 0, v88, s13
	v_add_f32_e32 v72, v72, v86
	s_delay_alu instid0(VALU_DEP_3) | instskip(NEXT) | instid1(TRANS32_DEP_3)
	v_exp_f32_e32 v76, v76
	v_cndmask_b32_e64 v89, 0, v74, s12
	v_mul_f32_e32 v74, 0x3fb8aa3b, v77
	v_fma_f32 v77, s19, v126, -v71
	s_delay_alu instid0(VALU_DEP_3) | instskip(NEXT) | instid1(VALU_DEP_3)
	v_add_f32_e32 v72, v72, v89
	v_exp_f32_e32 v74, v74
	s_delay_alu instid0(TRANS32_DEP_3) | instskip(NEXT) | instid1(VALU_DEP_3)
	v_cndmask_b32_e64 v91, 0, v75, s15
	v_mul_f32_e32 v75, 0x3fb8aa3b, v77
	s_delay_alu instid0(TRANS32_DEP_2) | instskip(SKIP_1) | instid1(VALU_DEP_3)
	v_cndmask_b32_e64 v90, 0, v76, s16
	v_add_f32_e32 v72, v72, v88
	v_exp_f32_e32 v75, v75
	s_delay_alu instid0(VALU_DEP_1) | instskip(NEXT) | instid1(TRANS32_DEP_2)
	v_add_f32_e32 v72, v72, v91
	v_cndmask_b32_e64 v93, 0, v74, s17
	s_delay_alu instid0(VALU_DEP_2) | instskip(SKIP_3) | instid1(VALU_DEP_1)
	v_add_f32_e32 v72, v72, v90
	s_waitcnt_depctr 0xfff
	v_cndmask_b32_e64 v92, 0, v75, s18
	v_add_f32_e32 v72, v72, v93
	v_add_f32_e32 v72, v72, v92
	ds_bpermute_b32 v73, v73, v72
	v_cmpx_gt_u32_e32 16, v70
	s_cbranch_execz .LBB919_12
; %bb.11:
	v_mul_u32_u24_e32 v70, 0x44, v69
	s_waitcnt lgkmcnt(0)
	v_add_f32_e32 v72, v72, v73
	s_delay_alu instid0(VALU_DEP_2) | instskip(NEXT) | instid1(VALU_DEP_1)
	v_lshl_add_u32 v70, v68, 2, v70
	v_add_nc_u32_e32 v70, 0x4000, v70
	ds_store_2addr_b32 v70, v71, v72 offset1:136
.LBB919_12:
	s_or_b32 exec_lo, exec_lo, s3
	v_lshlrev_b32_e32 v70, 2, v68
	s_load_b32 s35, s[0:1], 0x94
	s_waitcnt lgkmcnt(0)
	s_barrier
	buffer_gl0_inv
	v_add_nc_u32_e32 v98, 0x4000, v70
	v_cmp_eq_u32_e32 vcc_lo, 1, v69
	v_cmp_eq_u32_e64 s3, 2, v69
	v_cmp_eq_u32_e64 s4, 3, v69
	v_cmp_eq_u32_e64 s5, 4, v69
	ds_load_2addr_b32 v[70:71], v98 offset1:17
	ds_load_2addr_b32 v[72:73], v98 offset0:34 offset1:51
	ds_load_2addr_b32 v[74:75], v98 offset0:68 offset1:85
	;; [unrolled: 1-line block ×3, first 2 shown]
	v_cmp_eq_u32_e64 s6, 5, v69
	v_cmp_eq_u32_e64 s7, 7, v69
	s_waitcnt lgkmcnt(3)
	v_max3_f32 v76, v70, 0xff7fffff, v71
	s_waitcnt lgkmcnt(2)
	s_delay_alu instid0(VALU_DEP_1) | instskip(SKIP_1) | instid1(VALU_DEP_1)
	v_max3_f32 v76, v76, v72, v73
	s_waitcnt lgkmcnt(1)
	v_max3_f32 v76, v76, v74, v75
	s_waitcnt lgkmcnt(0)
	s_delay_alu instid0(VALU_DEP_1) | instskip(NEXT) | instid1(VALU_DEP_1)
	v_max3_f32 v76, v76, v94, v95
	v_sub_f32_e32 v77, v71, v76
	ds_load_2addr_b32 v[96:97], v98 offset0:136 offset1:153
	v_sub_f32_e32 v74, v74, v76
	v_sub_f32_e32 v70, v70, v76
	v_sub_f32_e32 v94, v94, v76
	v_dual_sub_f32 v72, v72, v76 :: v_dual_mul_f32 v77, 0x3fb8aa3b, v77
	s_delay_alu instid0(VALU_DEP_4) | instskip(NEXT) | instid1(VALU_DEP_4)
	v_mul_f32_e32 v103, 0x3fb8aa3b, v74
	v_mul_f32_e32 v99, 0x3fb8aa3b, v70
	ds_load_2addr_b32 v[70:71], v98 offset0:170 offset1:187
	v_dual_mul_f32 v101, 0x3fb8aa3b, v72 :: v_dual_mul_f32 v94, 0x3fb8aa3b, v94
	v_exp_f32_e32 v102, v77
	v_exp_f32_e32 v99, v99
	s_delay_alu instid0(VALU_DEP_1) | instskip(NEXT) | instid1(VALU_DEP_1)
	v_exp_f32_e32 v101, v101
	v_exp_f32_e32 v94, v94
	s_waitcnt lgkmcnt(1)
	s_delay_alu instid0(TRANS32_DEP_3)
	v_fma_f32 v77, v99, v96, 0
	v_sub_f32_e32 v100, v73, v76
	ds_load_2addr_b32 v[72:73], v98 offset0:204 offset1:221
	v_fmac_f32_e32 v77, v102, v97
	v_exp_f32_e32 v97, v103
	s_waitcnt lgkmcnt(1)
	s_delay_alu instid0(VALU_DEP_1)
	v_dual_fmac_f32 v77, v101, v70 :: v_dual_sub_f32 v96, v75, v76
	ds_load_2addr_b32 v[74:75], v98 offset0:238 offset1:255
	v_sub_f32_e32 v70, v95, v76
	s_waitcnt lgkmcnt(0)
	s_barrier
	v_mul_f32_e32 v96, 0x3fb8aa3b, v96
	buffer_gl0_inv
	v_exp_f32_e32 v95, v96
	v_mul_f32_e32 v100, 0x3fb8aa3b, v100
	s_delay_alu instid0(VALU_DEP_1) | instskip(SKIP_3) | instid1(VALU_DEP_2)
	v_exp_f32_e32 v100, v100
	s_waitcnt_depctr 0xfff
	v_dual_fmac_f32 v77, v100, v71 :: v_dual_mul_f32 v70, 0x3fb8aa3b, v70
	v_cndmask_b32_e32 v71, v99, v102, vcc_lo
	v_fmac_f32_e32 v77, v97, v72
	s_delay_alu instid0(VALU_DEP_3) | instskip(NEXT) | instid1(VALU_DEP_1)
	v_exp_f32_e32 v96, v70
	v_fmac_f32_e32 v77, v95, v73
	s_delay_alu instid0(VALU_DEP_1) | instskip(SKIP_2) | instid1(VALU_DEP_1)
	v_fmac_f32_e32 v77, v94, v74
	s_waitcnt_depctr 0xfff
	v_fmac_f32_e32 v77, v96, v75
	v_add_f32_e32 v74, 0x358637bd, v77
	s_delay_alu instid0(VALU_DEP_1) | instskip(SKIP_1) | instid1(VALU_DEP_2)
	v_div_scale_f32 v98, null, v74, v74, 1.0
	v_div_scale_f32 v99, vcc_lo, 1.0, v74, 1.0
	v_rcp_f32_e32 v103, v98
	s_waitcnt_depctr 0xfff
	v_fma_f32 v70, -v98, v103, 1.0
	s_delay_alu instid0(VALU_DEP_1) | instskip(SKIP_2) | instid1(VALU_DEP_2)
	v_fmac_f32_e32 v103, v70, v103
	v_cndmask_b32_e64 v70, v71, v101, s3
	v_cmp_eq_u32_e64 s3, 6, v69
	v_cndmask_b32_e64 v71, v70, v100, s4
	s_delay_alu instid0(VALU_DEP_4) | instskip(NEXT) | instid1(VALU_DEP_2)
	v_dual_mul_f32 v101, v99, v103 :: v_dual_lshlrev_b32 v70, 2, v66
	v_cndmask_b32_e64 v71, v71, v97, s5
	s_delay_alu instid0(VALU_DEP_2) | instskip(NEXT) | instid1(VALU_DEP_3)
	v_or_b32_e32 v72, 1, v70
	v_fma_f32 v100, -v98, v101, v99
	v_cmp_eq_u32_e64 s4, 1, v70
	v_cmp_eq_u32_e64 s5, 2, v70
	v_cndmask_b32_e64 v95, v71, v95, s6
	v_or_b32_e32 v71, 3, v70
	v_fmac_f32_e32 v101, v100, v103
	v_cmp_eq_u32_e64 s9, 1, v72
	v_cmp_eq_u32_e64 s12, 2, v72
	v_cndmask_b32_e64 v94, v95, v94, s3
	v_cmp_eq_u32_e64 s11, 1, v71
	v_fma_f32 v97, -v98, v101, v99
	v_cmp_eq_u32_e64 s16, 2, v71
	v_cmp_eq_u32_e64 s13, 3, v72
	v_cndmask_b32_e64 v94, v94, v96, s7
	v_cmp_eq_u32_e64 s18, 3, v71
	v_div_fmas_f32 v95, v97, v103, v101
	v_cmp_eq_u32_e32 vcc_lo, 3, v70
	v_cmp_eq_u32_e64 s3, 4, v70
	v_cmp_eq_u32_e64 s19, 4, v72
	;; [unrolled: 1-line block ×3, first 2 shown]
	v_div_fixup_f32 v95, v95, v74, 1.0
	v_lshlrev_b32_e32 v73, 6, v68
	v_cmp_eq_u32_e64 s6, 5, v70
	v_cmp_eq_u32_e64 s20, 5, v72
	v_cmp_eq_u32_e64 s24, 5, v71
	v_mul_f32_e32 v102, v94, v95
	v_lshl_or_b32 v75, v69, 11, v73
	v_or_b32_e32 v69, 2, v70
	v_cmp_eq_u32_e64 s25, 6, v72
	v_cmp_eq_u32_e64 s27, 6, v71
	v_fma_mixlo_f16 v94, v102, v79, 0
	v_fma_mixlo_f16 v95, v102, v81, 0
	;; [unrolled: 1-line block ×8, first 2 shown]
	v_lshl_or_b32 v74, v66, 4, v75
	v_fma_mixhi_f16 v94, v102, v78, 0
	v_fma_mixhi_f16 v95, v102, v80, 0
	;; [unrolled: 1-line block ×8, first 2 shown]
	ds_store_b128 v74, v[94:97]
	ds_store_b128 v74, v[98:101] offset:1024
	s_waitcnt lgkmcnt(0)
	s_barrier
	buffer_gl0_inv
	ds_load_b128 v[78:81], v75
	ds_load_b128 v[82:85], v75 offset:16
	ds_load_b128 v[86:89], v75 offset:1024
	;; [unrolled: 1-line block ×3, first 2 shown]
	v_cmp_eq_u32_e64 s10, 1, v69
	v_cmp_eq_u32_e64 s15, 2, v69
	;; [unrolled: 1-line block ×11, first 2 shown]
	s_waitcnt lgkmcnt(3)
	v_lshrrev_b32_e32 v94, 16, v78
	s_waitcnt lgkmcnt(2)
	v_lshrrev_b32_e32 v98, 16, v82
	;; [unrolled: 2-line block ×4, first 2 shown]
	v_lshrrev_b32_e32 v95, 16, v79
	v_cndmask_b32_e64 v110, v78, v94, s4
	v_cndmask_b32_e64 v111, v82, v98, s4
	;; [unrolled: 1-line block ×8, first 2 shown]
	v_lshrrev_b32_e32 v99, 16, v83
	v_cndmask_b32_e64 v94, v86, v102, s4
	v_cndmask_b32_e64 v98, v90, v106, s4
	;; [unrolled: 1-line block ×15, first 2 shown]
	v_lshrrev_b32_e32 v103, 16, v87
	v_lshrrev_b32_e32 v107, 16, v91
	v_cndmask_b32_e64 v113, v115, v83, s15
	v_cndmask_b32_e64 v82, v94, v87, s5
	;; [unrolled: 1-line block ×7, first 2 shown]
	v_cndmask_b32_e32 v90, v102, v95, vcc_lo
	v_cndmask_b32_e32 v102, v106, v99, vcc_lo
	v_cndmask_b32_e64 v106, v110, v95, s13
	v_cndmask_b32_e64 v110, v111, v99, s13
	;; [unrolled: 1-line block ×4, first 2 shown]
	v_lshrrev_b32_e32 v96, 16, v80
	v_lshrrev_b32_e32 v100, 16, v84
	v_cndmask_b32_e64 v111, v112, v95, s17
	v_cndmask_b32_e64 v112, v113, v99, s17
	v_cndmask_b32_e32 v82, v82, v103, vcc_lo
	v_cndmask_b32_e32 v83, v83, v107, vcc_lo
	v_cndmask_b32_e64 v94, v94, v103, s13
	v_cndmask_b32_e64 v90, v90, v80, s3
	;; [unrolled: 1-line block ×7, first 2 shown]
	v_lshrrev_b32_e32 v104, 16, v88
	v_cndmask_b32_e64 v106, v111, v80, s21
	v_cndmask_b32_e64 v110, v112, v84, s21
	;; [unrolled: 1-line block ×11, first 2 shown]
	v_lshrrev_b32_e32 v97, 16, v81
	v_lshrrev_b32_e32 v101, 16, v85
	v_cndmask_b32_e64 v99, v106, v96, s23
	v_cndmask_b32_e64 v102, v110, v100, s23
	;; [unrolled: 1-line block ×7, first 2 shown]
	v_lshrrev_b32_e32 v105, 16, v89
	v_cndmask_b32_e64 v80, v80, v104, s6
	v_cndmask_b32_e64 v84, v84, v81, s7
	;; [unrolled: 1-line block ×16, first 2 shown]
	v_perm_b32 v81, v79, v78, 0x5040100
	v_perm_b32 v79, v95, v85, 0x5040100
	v_cndmask_b32_e64 v78, v119, v91, s15
	v_cndmask_b32_e64 v85, v117, v91, s12
	;; [unrolled: 1-line block ×3, first 2 shown]
	v_perm_b32 v80, v94, v90, 0x5040100
	v_cndmask_b32_e64 v90, v98, v103, s17
	v_cndmask_b32_e64 v86, v86, v103, s18
	;; [unrolled: 1-line block ×5, first 2 shown]
	v_lshrrev_b32_e32 v108, 16, v92
	v_cndmask_b32_e64 v90, v90, v88, s21
	v_cndmask_b32_e64 v86, v86, v88, s22
	;; [unrolled: 1-line block ×11, first 2 shown]
	v_lshrrev_b32_e32 v109, 16, v93
	v_cndmask_b32_e64 v82, v82, v93, s7
	v_cndmask_b32_e64 v88, v88, v89, s26
	;; [unrolled: 1-line block ×12, first 2 shown]
	v_perm_b32 v78, v84, v83, 0x5040100
	v_perm_b32 v85, v87, v86, 0x5040100
	v_perm_b32 v84, v89, v88, 0x5040100
	v_perm_b32 v83, v90, v97, 0x5040100
	v_perm_b32 v82, v82, v96, 0x5040100
	s_mul_i32 s8, s33, 10
	s_mov_b32 s3, exec_lo
	ds_store_b128 v74, v[78:81]
	ds_store_b128 v74, v[82:85] offset:1024
	v_cmpx_gt_u32_e32 10, v0
	s_cbranch_execz .LBB919_14
; %bb.13:
	s_mul_i32 s4, s8, s34
	s_delay_alu instid0(SALU_CYCLE_1) | instskip(SKIP_1) | instid1(VALU_DEP_1)
	v_add3_u32 v68, s4, s31, v68
	s_load_b128 s[4:7], s[0:1], 0x58
	v_mad_u64_u32 v[78:79], null, v68, s35, s[14:15]
	s_delay_alu instid0(VALU_DEP_1) | instskip(NEXT) | instid1(VALU_DEP_1)
	v_ashrrev_i32_e32 v79, 31, v78
	v_lshlrev_b64 v[78:79], 2, v[78:79]
	s_waitcnt lgkmcnt(0)
	s_delay_alu instid0(VALU_DEP_1) | instskip(NEXT) | instid1(VALU_DEP_2)
	v_add_co_u32 v80, vcc_lo, s6, v78
	v_add_co_ci_u32_e32 v81, vcc_lo, s7, v79, vcc_lo
	v_add_co_u32 v78, vcc_lo, s4, v78
	v_add_co_ci_u32_e32 v79, vcc_lo, s5, v79, vcc_lo
	global_store_b32 v[80:81], v76, off
	global_store_b32 v[78:79], v77, off
.LBB919_14:
	s_or_b32 exec_lo, exec_lo, s3
	s_waitcnt lgkmcnt(0)
	s_waitcnt_vscnt null, 0x0
	s_barrier
	buffer_gl0_inv
	ds_load_b128 v[84:87], v73
	ds_load_b128 v[88:91], v73 offset:16
	ds_load_b128 v[96:99], v73 offset:2064
	;; [unrolled: 1-line block ×5, first 2 shown]
	v_cmp_eq_u32_e32 vcc_lo, 1, v70
	v_mov_b32_e32 v76, 0
	ds_load_b128 v[112:115], v73 offset:6160
	ds_load_b128 v[108:111], v73 offset:6144
	;; [unrolled: 1-line block ×4, first 2 shown]
	v_cmp_eq_u32_e64 s4, 1, v69
	v_cmp_eq_u32_e64 s3, 1, v72
	;; [unrolled: 1-line block ×3, first 2 shown]
	v_mov_b32_e32 v77, v76
	v_mov_b32_e32 v78, v76
	v_mov_b32_e32 v79, v76
	v_mov_b32_e32 v80, v76
	v_mov_b32_e32 v81, v76
	v_mov_b32_e32 v82, v76
	v_mov_b32_e32 v83, v76
	v_cmp_eq_u32_e64 s6, 3, v72
	v_cmp_eq_u32_e64 s7, 7, v72
	s_waitcnt lgkmcnt(8)
	s_delay_alu instid0(VALU_DEP_3)
	v_wmma_f32_16x16x16_f16 v[76:83], v[49:56], v[84:91], v[76:83]
	ds_load_b128 v[53:56], v73 offset:10256
	ds_load_b128 v[49:52], v73 offset:10240
	s_waitcnt lgkmcnt(8)
	v_wmma_f32_16x16x16_f16 v[76:83], v[41:48], v[92:99], v[76:83]
	ds_load_b128 v[45:48], v73 offset:12304
	ds_load_b128 v[41:44], v73 offset:12288
	s_waitcnt lgkmcnt(8)
	;; [unrolled: 4-line block ×3, first 2 shown]
	s_barrier
	buffer_gl0_inv
	v_wmma_f32_16x16x16_f16 v[76:83], v[1:8], v[108:115], v[76:83]
	s_delay_alu instid0(VALU_DEP_1) | instskip(NEXT) | instid1(VALU_DEP_1)
	v_wmma_f32_16x16x16_f16 v[76:83], v[9:16], v[116:123], v[76:83]
	v_wmma_f32_16x16x16_f16 v[76:83], v[17:24], v[49:56], v[76:83]
	s_delay_alu instid0(VALU_DEP_1) | instskip(NEXT) | instid1(VALU_DEP_1)
	v_wmma_f32_16x16x16_f16 v[76:83], v[25:32], v[41:48], v[76:83]
	v_wmma_f32_16x16x16_f16 v[76:83], v[57:64], v[33:40], v[76:83]
	s_delay_alu instid0(VALU_DEP_1) | instskip(NEXT) | instid1(VALU_DEP_2)
	v_cvt_f16_f32_e32 v1, v76
	v_cvt_f16_f32_e32 v2, v77
	s_delay_alu instid0(VALU_DEP_3) | instskip(NEXT) | instid1(VALU_DEP_4)
	v_cvt_f16_f32_e32 v3, v78
	v_cvt_f16_f32_e32 v4, v79
	v_cvt_f16_f32_e32 v5, v80
	v_cvt_f16_f32_e32 v6, v81
	v_cvt_f16_f32_e32 v7, v82
	v_cvt_f16_f32_e32 v8, v83
	v_pack_b32_f16 v1, v1, v2
	v_pack_b32_f16 v2, v3, v4
	;; [unrolled: 1-line block ×3, first 2 shown]
	s_delay_alu instid0(VALU_DEP_4)
	v_pack_b32_f16 v4, v7, v8
	ds_store_b128 v74, v[1:4]
	s_waitcnt lgkmcnt(0)
	s_barrier
	buffer_gl0_inv
	ds_load_b128 v[1:4], v75
	ds_load_b128 v[5:8], v75 offset:16
	s_waitcnt lgkmcnt(1)
	v_lshrrev_b32_e32 v9, 16, v1
	s_waitcnt lgkmcnt(0)
	v_lshrrev_b32_e32 v13, 16, v5
	v_lshrrev_b32_e32 v10, 16, v2
	;; [unrolled: 1-line block ×4, first 2 shown]
	v_cndmask_b32_e32 v17, v1, v9, vcc_lo
	v_cndmask_b32_e32 v18, v5, v13, vcc_lo
	v_cndmask_b32_e64 v21, v1, v9, s4
	v_cmp_eq_u32_e32 vcc_lo, 1, v71
	v_cndmask_b32_e64 v22, v5, v13, s4
	v_cmp_eq_u32_e64 s4, 2, v70
	v_cndmask_b32_e64 v19, v1, v9, s3
	v_cndmask_b32_e64 v20, v5, v13, s3
	v_cndmask_b32_e32 v1, v1, v9, vcc_lo
	v_cmp_eq_u32_e64 s3, 2, v71
	v_cndmask_b32_e32 v5, v5, v13, vcc_lo
	v_cndmask_b32_e64 v9, v17, v2, s4
	v_cmp_eq_u32_e32 vcc_lo, 3, v70
	v_cndmask_b32_e64 v13, v18, v6, s4
	v_cmp_eq_u32_e64 s4, 2, v69
	v_cndmask_b32_e64 v17, v19, v2, s5
	v_cndmask_b32_e64 v18, v20, v6, s5
	v_cmp_eq_u32_e64 s5, 3, v69
	v_cndmask_b32_e64 v1, v1, v2, s3
	v_cndmask_b32_e64 v19, v21, v2, s4
	v_cndmask_b32_e64 v20, v22, v6, s4
	v_cndmask_b32_e64 v2, v5, v6, s3
	v_cndmask_b32_e32 v5, v9, v10, vcc_lo
	v_cndmask_b32_e32 v6, v13, v14, vcc_lo
	v_cmp_eq_u32_e32 vcc_lo, 3, v71
	v_cndmask_b32_e64 v9, v17, v10, s6
	v_cndmask_b32_e64 v13, v18, v14, s6
	;; [unrolled: 1-line block ×3, first 2 shown]
	v_cmp_eq_u32_e64 s4, 4, v70
	v_cndmask_b32_e32 v1, v1, v10, vcc_lo
	v_cndmask_b32_e32 v2, v2, v14, vcc_lo
	v_cmp_eq_u32_e32 vcc_lo, 4, v72
	v_lshrrev_b32_e32 v15, 16, v7
	v_lshrrev_b32_e32 v16, 16, v8
	v_cndmask_b32_e64 v17, v19, v10, s5
	v_cmp_eq_u32_e64 s3, 4, v71
	v_cndmask_b32_e64 v5, v5, v3, s4
	v_cndmask_b32_e64 v6, v6, v7, s4
	v_cndmask_b32_e32 v9, v9, v3, vcc_lo
	v_cmp_eq_u32_e64 s4, 5, v72
	v_cndmask_b32_e32 v10, v13, v7, vcc_lo
	v_cmp_eq_u32_e32 vcc_lo, 4, v69
	v_cmp_eq_u32_e64 s5, 5, v70
	v_cndmask_b32_e64 v2, v2, v7, s3
	v_cndmask_b32_e64 v9, v9, v11, s4
	;; [unrolled: 1-line block ×3, first 2 shown]
	v_cndmask_b32_e32 v13, v17, v3, vcc_lo
	v_cmp_eq_u32_e64 s4, 5, v69
	v_cndmask_b32_e32 v14, v18, v7, vcc_lo
	v_cndmask_b32_e64 v1, v1, v3, s3
	v_cmp_eq_u32_e32 vcc_lo, 5, v71
	v_lshrrev_b32_e32 v12, 16, v4
	v_cndmask_b32_e64 v13, v13, v11, s4
	v_cndmask_b32_e64 v3, v14, v15, s4
	v_cmp_eq_u32_e64 s4, 6, v71
	v_cndmask_b32_e32 v1, v1, v11, vcc_lo
	v_cndmask_b32_e64 v5, v5, v11, s5
	v_cmp_eq_u32_e64 s6, 6, v70
	v_cndmask_b32_e64 v6, v6, v15, s5
	v_cmp_eq_u32_e64 s5, 6, v72
	v_cmp_eq_u32_e64 s3, 6, v69
	v_cndmask_b32_e64 v1, v1, v4, s4
	v_cndmask_b32_e32 v2, v2, v15, vcc_lo
	v_cmp_eq_u32_e32 vcc_lo, 7, v71
	v_cndmask_b32_e64 v5, v5, v4, s6
	v_cndmask_b32_e64 v9, v9, v4, s5
	;; [unrolled: 1-line block ×3, first 2 shown]
	v_cmp_eq_u32_e64 s6, 7, v70
	v_cndmask_b32_e32 v1, v1, v12, vcc_lo
	v_cndmask_b32_e64 v7, v13, v4, s3
	v_cndmask_b32_e64 v3, v3, v8, s3
	;; [unrolled: 1-line block ×3, first 2 shown]
	v_cmp_eq_u32_e64 s3, 7, v69
	v_cndmask_b32_e64 v4, v10, v8, s5
	v_cndmask_b32_e64 v5, v5, v12, s6
	v_cndmask_b32_e64 v9, v9, v12, s7
	v_cndmask_b32_e32 v2, v2, v16, vcc_lo
	v_cndmask_b32_e64 v7, v7, v12, s3
	v_cndmask_b32_e64 v3, v3, v16, s3
	;; [unrolled: 1-line block ×4, first 2 shown]
	v_cmp_gt_u32_e32 vcc_lo, 32, v0
	v_perm_b32 v4, v2, v1, 0x5040100
	v_perm_b32 v3, v3, v7, 0x5040100
	;; [unrolled: 1-line block ×4, first 2 shown]
	s_and_b32 s2, vcc_lo, s2
	ds_store_b128 v74, v[1:4]
	s_waitcnt lgkmcnt(0)
	s_barrier
	buffer_gl0_inv
	s_and_saveexec_b32 s3, s2
	s_cbranch_execz .LBB919_2
; %bb.15:
	s_load_b64 s[0:1], s[0:1], 0x68
	s_lshl_b32 s4, s35, 6
	v_or_b32_e32 v2, s31, v66
	s_mul_i32 s2, s4, s34
	v_lshlrev_b32_e32 v0, 10, v0
	s_mul_i32 s2, s2, s8
	v_lshlrev_b32_e32 v1, 4, v67
	s_ashr_i32 s3, s2, 31
	v_mul_lo_u32 v20, v2, s4
	s_lshl_b64 s[2:3], s[2:3], 1
	v_lshlrev_b32_e32 v3, 6, v66
	v_and_b32_e32 v0, 0x3800, v0
	s_delay_alu instid0(VALU_DEP_1) | instskip(NEXT) | instid1(VALU_DEP_4)
	v_or3_b32 v16, v0, v1, v3
	v_ashrrev_i32_e32 v21, 31, v20
	ds_load_b128 v[0:3], v16
	ds_load_b128 v[4:7], v16 offset:128
	s_waitcnt lgkmcnt(0)
	s_add_u32 s2, s0, s2
	s_addc_u32 s3, s1, s3
	s_lshl_b32 s0, s14, 6
	ds_load_b128 v[8:11], v16 offset:256
	ds_load_b128 v[12:15], v16 offset:384
	;; [unrolled: 1-line block ×3, first 2 shown]
	s_ashr_i32 s1, s0, 31
	s_delay_alu instid0(SALU_CYCLE_1) | instskip(NEXT) | instid1(SALU_CYCLE_1)
	s_lshl_b64 s[0:1], s[0:1], 1
	s_add_u32 s0, s2, s0
	s_addc_u32 s1, s3, s1
	s_lshl_b32 s2, s35, 7
	v_add_co_u32 v30, s0, s0, v65
	v_add_nc_u32_e32 v22, s2, v20
	v_lshlrev_b64 v[20:21], 1, v[20:21]
	v_add_co_ci_u32_e64 v31, null, s1, 0, s0
	s_delay_alu instid0(VALU_DEP_3) | instskip(SKIP_1) | instid1(VALU_DEP_4)
	v_add_nc_u32_e32 v24, s2, v22
	v_ashrrev_i32_e32 v23, 31, v22
	v_add_co_u32 v20, vcc_lo, v30, v20
	s_delay_alu instid0(VALU_DEP_4) | instskip(NEXT) | instid1(VALU_DEP_4)
	v_add_co_ci_u32_e32 v21, vcc_lo, v31, v21, vcc_lo
	v_add_nc_u32_e32 v26, s2, v24
	v_ashrrev_i32_e32 v25, 31, v24
	v_lshlrev_b64 v[22:23], 1, v[22:23]
	s_delay_alu instid0(VALU_DEP_3) | instskip(SKIP_1) | instid1(VALU_DEP_4)
	v_add_nc_u32_e32 v28, s2, v26
	v_ashrrev_i32_e32 v27, 31, v26
	v_lshlrev_b64 v[24:25], 1, v[24:25]
	s_delay_alu instid0(VALU_DEP_4) | instskip(NEXT) | instid1(VALU_DEP_4)
	v_add_co_u32 v22, vcc_lo, v30, v22
	v_ashrrev_i32_e32 v29, 31, v28
	s_delay_alu instid0(VALU_DEP_4) | instskip(SKIP_2) | instid1(VALU_DEP_4)
	v_lshlrev_b64 v[26:27], 1, v[26:27]
	v_add_co_ci_u32_e32 v23, vcc_lo, v31, v23, vcc_lo
	v_add_co_u32 v24, vcc_lo, v30, v24
	v_lshlrev_b64 v[28:29], 1, v[28:29]
	v_add_co_ci_u32_e32 v25, vcc_lo, v31, v25, vcc_lo
	v_add_co_u32 v26, vcc_lo, v30, v26
	v_add_co_ci_u32_e32 v27, vcc_lo, v31, v27, vcc_lo
	s_delay_alu instid0(VALU_DEP_4)
	v_add_co_u32 v28, vcc_lo, v30, v28
	v_add_co_ci_u32_e32 v29, vcc_lo, v31, v29, vcc_lo
	s_clause 0x1
	global_store_b128 v[20:21], v[0:3], off
	global_store_b128 v[22:23], v[4:7], off
	s_waitcnt lgkmcnt(2)
	global_store_b128 v[24:25], v[8:11], off
	s_waitcnt lgkmcnt(1)
	;; [unrolled: 2-line block ×3, first 2 shown]
	global_store_b128 v[28:29], v[16:19], off
	s_nop 0
	s_sendmsg sendmsg(MSG_DEALLOC_VGPRS)
	s_endpgm
	.section	.rodata,"a",@progbits
	.p2align	6, 0x0
	.amdhsa_kernel _Z39paged_attention_ll4mi_QKV_mfma16_kernelIDF16_hLN4vllm18Fp8KVCacheDataTypeE1EDF16_Li32ELi64ELi256ELb0ELi10EL8MFMAType1EEvPKT_PKT0_S8_ifPKiSA_SA_iPKfiiiPfSD_PS3_PT2_iSC_SC_
		.amdhsa_group_segment_fixed_size 17472
		.amdhsa_private_segment_fixed_size 0
		.amdhsa_kernarg_size 400
		.amdhsa_user_sgpr_count 13
		.amdhsa_user_sgpr_dispatch_ptr 0
		.amdhsa_user_sgpr_queue_ptr 0
		.amdhsa_user_sgpr_kernarg_segment_ptr 1
		.amdhsa_user_sgpr_dispatch_id 0
		.amdhsa_user_sgpr_private_segment_size 0
		.amdhsa_wavefront_size32 1
		.amdhsa_uses_dynamic_stack 0
		.amdhsa_enable_private_segment 0
		.amdhsa_system_sgpr_workgroup_id_x 1
		.amdhsa_system_sgpr_workgroup_id_y 1
		.amdhsa_system_sgpr_workgroup_id_z 1
		.amdhsa_system_sgpr_workgroup_info 0
		.amdhsa_system_vgpr_workitem_id 0
		.amdhsa_next_free_vgpr 146
		.amdhsa_next_free_sgpr 38
		.amdhsa_reserve_vcc 1
		.amdhsa_float_round_mode_32 0
		.amdhsa_float_round_mode_16_64 0
		.amdhsa_float_denorm_mode_32 3
		.amdhsa_float_denorm_mode_16_64 3
		.amdhsa_dx10_clamp 1
		.amdhsa_ieee_mode 1
		.amdhsa_fp16_overflow 0
		.amdhsa_workgroup_processor_mode 1
		.amdhsa_memory_ordered 1
		.amdhsa_forward_progress 0
		.amdhsa_shared_vgpr_count 0
		.amdhsa_exception_fp_ieee_invalid_op 0
		.amdhsa_exception_fp_denorm_src 0
		.amdhsa_exception_fp_ieee_div_zero 0
		.amdhsa_exception_fp_ieee_overflow 0
		.amdhsa_exception_fp_ieee_underflow 0
		.amdhsa_exception_fp_ieee_inexact 0
		.amdhsa_exception_int_div_zero 0
	.end_amdhsa_kernel
	.section	.text._Z39paged_attention_ll4mi_QKV_mfma16_kernelIDF16_hLN4vllm18Fp8KVCacheDataTypeE1EDF16_Li32ELi64ELi256ELb0ELi10EL8MFMAType1EEvPKT_PKT0_S8_ifPKiSA_SA_iPKfiiiPfSD_PS3_PT2_iSC_SC_,"axG",@progbits,_Z39paged_attention_ll4mi_QKV_mfma16_kernelIDF16_hLN4vllm18Fp8KVCacheDataTypeE1EDF16_Li32ELi64ELi256ELb0ELi10EL8MFMAType1EEvPKT_PKT0_S8_ifPKiSA_SA_iPKfiiiPfSD_PS3_PT2_iSC_SC_,comdat
.Lfunc_end919:
	.size	_Z39paged_attention_ll4mi_QKV_mfma16_kernelIDF16_hLN4vllm18Fp8KVCacheDataTypeE1EDF16_Li32ELi64ELi256ELb0ELi10EL8MFMAType1EEvPKT_PKT0_S8_ifPKiSA_SA_iPKfiiiPfSD_PS3_PT2_iSC_SC_, .Lfunc_end919-_Z39paged_attention_ll4mi_QKV_mfma16_kernelIDF16_hLN4vllm18Fp8KVCacheDataTypeE1EDF16_Li32ELi64ELi256ELb0ELi10EL8MFMAType1EEvPKT_PKT0_S8_ifPKiSA_SA_iPKfiiiPfSD_PS3_PT2_iSC_SC_
                                        ; -- End function
	.section	.AMDGPU.csdata,"",@progbits
; Kernel info:
; codeLenInByte = 6548
; NumSgprs: 40
; NumVgprs: 146
; ScratchSize: 0
; MemoryBound: 0
; FloatMode: 240
; IeeeMode: 1
; LDSByteSize: 17472 bytes/workgroup (compile time only)
; SGPRBlocks: 4
; VGPRBlocks: 18
; NumSGPRsForWavesPerEU: 40
; NumVGPRsForWavesPerEU: 146
; Occupancy: 9
; WaveLimiterHint : 1
; COMPUTE_PGM_RSRC2:SCRATCH_EN: 0
; COMPUTE_PGM_RSRC2:USER_SGPR: 13
; COMPUTE_PGM_RSRC2:TRAP_HANDLER: 0
; COMPUTE_PGM_RSRC2:TGID_X_EN: 1
; COMPUTE_PGM_RSRC2:TGID_Y_EN: 1
; COMPUTE_PGM_RSRC2:TGID_Z_EN: 1
; COMPUTE_PGM_RSRC2:TIDIG_COMP_CNT: 0
	.section	.text._Z39paged_attention_ll4mi_QKV_mfma16_kernelIDF16_hLN4vllm18Fp8KVCacheDataTypeE1EDF16_Li32ELi64ELi256ELb0ELi11EL8MFMAType1EEvPKT_PKT0_S8_ifPKiSA_SA_iPKfiiiPfSD_PS3_PT2_iSC_SC_,"axG",@progbits,_Z39paged_attention_ll4mi_QKV_mfma16_kernelIDF16_hLN4vllm18Fp8KVCacheDataTypeE1EDF16_Li32ELi64ELi256ELb0ELi11EL8MFMAType1EEvPKT_PKT0_S8_ifPKiSA_SA_iPKfiiiPfSD_PS3_PT2_iSC_SC_,comdat
	.protected	_Z39paged_attention_ll4mi_QKV_mfma16_kernelIDF16_hLN4vllm18Fp8KVCacheDataTypeE1EDF16_Li32ELi64ELi256ELb0ELi11EL8MFMAType1EEvPKT_PKT0_S8_ifPKiSA_SA_iPKfiiiPfSD_PS3_PT2_iSC_SC_ ; -- Begin function _Z39paged_attention_ll4mi_QKV_mfma16_kernelIDF16_hLN4vllm18Fp8KVCacheDataTypeE1EDF16_Li32ELi64ELi256ELb0ELi11EL8MFMAType1EEvPKT_PKT0_S8_ifPKiSA_SA_iPKfiiiPfSD_PS3_PT2_iSC_SC_
	.globl	_Z39paged_attention_ll4mi_QKV_mfma16_kernelIDF16_hLN4vllm18Fp8KVCacheDataTypeE1EDF16_Li32ELi64ELi256ELb0ELi11EL8MFMAType1EEvPKT_PKT0_S8_ifPKiSA_SA_iPKfiiiPfSD_PS3_PT2_iSC_SC_
	.p2align	8
	.type	_Z39paged_attention_ll4mi_QKV_mfma16_kernelIDF16_hLN4vllm18Fp8KVCacheDataTypeE1EDF16_Li32ELi64ELi256ELb0ELi11EL8MFMAType1EEvPKT_PKT0_S8_ifPKiSA_SA_iPKfiiiPfSD_PS3_PT2_iSC_SC_,@function
_Z39paged_attention_ll4mi_QKV_mfma16_kernelIDF16_hLN4vllm18Fp8KVCacheDataTypeE1EDF16_Li32ELi64ELi256ELb0ELi11EL8MFMAType1EEvPKT_PKT0_S8_ifPKiSA_SA_iPKfiiiPfSD_PS3_PT2_iSC_SC_: ; @_Z39paged_attention_ll4mi_QKV_mfma16_kernelIDF16_hLN4vllm18Fp8KVCacheDataTypeE1EDF16_Li32ELi64ELi256ELb0ELi11EL8MFMAType1EEvPKT_PKT0_S8_ifPKiSA_SA_iPKfiiiPfSD_PS3_PT2_iSC_SC_
; %bb.0:
	s_load_b64 s[2:3], s[0:1], 0x30
	s_mov_b32 s34, s13
	s_waitcnt lgkmcnt(0)
	s_cmp_lg_u64 s[2:3], 0
	s_cselect_b32 s6, -1, 0
	s_ashr_i32 s35, s13, 31
	s_cmp_eq_u64 s[2:3], 0
	s_cbranch_scc1 .LBB920_3
; %bb.1:
	s_lshl_b64 s[4:5], s[34:35], 2
	s_delay_alu instid0(SALU_CYCLE_1) | instskip(SKIP_4) | instid1(SALU_CYCLE_1)
	s_add_u32 s4, s2, s4
	s_addc_u32 s5, s3, s5
	s_load_b64 s[4:5], s[4:5], 0x0
	s_waitcnt lgkmcnt(0)
	s_sub_i32 s4, s5, s4
	s_cmp_eq_u32 s4, 1
	s_cselect_b32 s4, -1, 0
	s_delay_alu instid0(SALU_CYCLE_1)
	s_and_not1_b32 vcc_lo, exec_lo, s4
	s_cbranch_vccz .LBB920_4
.LBB920_2:
	s_nop 0
	s_sendmsg sendmsg(MSG_DEALLOC_VGPRS)
	s_endpgm
.LBB920_3:
.LBB920_4:
	s_load_b64 s[8:9], s[0:1], 0x28
	s_lshl_b64 s[4:5], s[34:35], 2
	s_waitcnt lgkmcnt(0)
	s_add_u32 s8, s8, s4
	s_addc_u32 s9, s9, s5
	s_lshl_b32 s16, s14, 8
	s_load_b32 s18, s[8:9], 0x0
	s_waitcnt lgkmcnt(0)
	s_cmp_ge_i32 s16, s18
	s_cbranch_scc1 .LBB920_2
; %bb.5:
	s_clause 0x1
	s_load_b128 s[8:11], s[0:1], 0x8
	s_load_b64 s[12:13], s[0:1], 0x20
	s_and_not1_b32 vcc_lo, exec_lo, s6
	s_cbranch_vccnz .LBB920_7
; %bb.6:
	s_add_u32 s2, s2, s4
	s_addc_u32 s3, s3, s5
	s_load_b32 s3, s[2:3], 0x0
	s_branch .LBB920_8
.LBB920_7:
	s_mov_b32 s3, s34
.LBB920_8:
	s_load_b128 s[4:7], s[0:1], 0x48
	v_lshrrev_b32_e32 v69, 5, v0
	v_bfe_u32 v66, v0, 4, 1
	v_and_b32_e32 v68, 15, v0
	v_and_b32_e32 v70, 31, v0
	v_and_b32_e32 v67, 1, v0
	s_mul_i32 s33, s15, 11
	v_lshl_or_b32 v1, v69, 1, v66
	v_lshlrev_b32_e32 v2, 3, v68
	v_cmp_gt_u32_e64 s2, 8, v68
	s_delay_alu instid0(VALU_DEP_3) | instskip(NEXT) | instid1(VALU_DEP_3)
	v_cmp_gt_u32_e32 vcc_lo, 11, v1
	v_lshlrev_b32_e32 v65, 1, v2
	s_delay_alu instid0(VALU_DEP_3)
	s_and_b32 s17, s2, vcc_lo
	s_waitcnt lgkmcnt(0)
	s_and_saveexec_b32 s7, s17
	s_cbranch_execz .LBB920_10
; %bb.9:
	s_load_b64 s[20:21], s[0:1], 0x0
	v_add_lshl_u32 v2, v1, s33, 6
	s_mul_hi_i32 s23, s3, s4
	s_mul_i32 s22, s3, s4
	v_lshlrev_b32_e32 v6, 10, v68
	s_lshl_b64 s[22:23], s[22:23], 1
	v_ashrrev_i32_e32 v3, 31, v2
	v_lshlrev_b32_e32 v1, 6, v1
	v_lshlrev_b32_e32 v7, 10, v67
	v_and_b32_e32 v6, 0x3800, v6
	s_delay_alu instid0(VALU_DEP_4) | instskip(NEXT) | instid1(VALU_DEP_2)
	v_lshlrev_b64 v[2:3], 1, v[2:3]
	v_or3_b32 v1, v6, v7, v1
	s_waitcnt lgkmcnt(0)
	s_add_u32 s3, s20, s22
	s_addc_u32 s4, s21, s23
	s_delay_alu instid0(VALU_DEP_2) | instskip(SKIP_1) | instid1(VALU_DEP_2)
	v_add_co_u32 v2, vcc_lo, s3, v2
	v_add_co_ci_u32_e32 v3, vcc_lo, s4, v3, vcc_lo
	v_add_co_u32 v2, vcc_lo, v2, v65
	s_delay_alu instid0(VALU_DEP_2)
	v_add_co_ci_u32_e32 v3, vcc_lo, 0, v3, vcc_lo
	global_load_b128 v[2:5], v[2:3], off
	s_waitcnt vmcnt(0)
	ds_store_b128 v1, v[2:5]
.LBB920_10:
	s_or_b32 exec_lo, exec_lo, s7
	v_and_b32_e32 v1, 0xef, v0
	s_add_i32 s3, s18, 31
	s_clause 0x1
	s_load_b32 s4, s[0:1], 0x38
	s_load_b32 s35, s[0:1], 0x98
	s_ashr_i32 s7, s3, 31
	v_add_nc_u32_e32 v1, s16, v1
	s_lshr_b32 s7, s7, 27
	s_load_b32 s19, s[0:1], 0x1c
	v_add_nc_u32_e32 v103, -11, v68
	s_add_i32 s3, s3, s7
	v_ashrrev_i32_e32 v2, 31, v1
	v_or_b32_e32 v3, 16, v1
	s_ashr_i32 s3, s3, 5
	v_cmp_gt_i32_e32 vcc_lo, s18, v1
	s_add_i32 s3, s3, -1
	v_lshrrev_b32_e32 v2, 27, v2
	s_waitcnt lgkmcnt(0)
	s_barrier
	buffer_gl0_inv
	s_mul_i32 s15, s15, s6
	v_add_nc_u32_e32 v4, v1, v2
	v_mbcnt_lo_u32_b32 v127, -1, 0
	s_mul_i32 s20, s34, s4
	s_delay_alu instid0(SALU_CYCLE_1) | instskip(NEXT) | instid1(VALU_DEP_2)
	s_ashr_i32 s21, s20, 31
	v_ashrrev_i32_e32 v4, 5, v4
	v_add_nc_u32_e32 v2, v3, v2
	s_lshl_b64 s[20:21], s[20:21], 2
	v_xor_b32_e32 v128, 16, v127
	s_add_u32 s17, s12, s20
	v_cndmask_b32_e32 v1, s3, v4, vcc_lo
	v_ashrrev_i32_e32 v2, 5, v2
	v_cmp_gt_i32_e32 vcc_lo, s18, v3
	s_addc_u32 s13, s13, s21
	s_ashr_i32 s20, s15, 31
	s_add_u32 s22, s8, s15
	s_addc_u32 s23, s9, s20
	v_cndmask_b32_e32 v3, s3, v2, vcc_lo
	v_ashrrev_i32_e32 v2, 31, v1
	s_lshl_b32 s6, s14, 3
	s_delay_alu instid0(SALU_CYCLE_1) | instskip(NEXT) | instid1(VALU_DEP_2)
	s_ashr_i32 s7, s6, 31
	v_ashrrev_i32_e32 v4, 31, v3
	s_delay_alu instid0(VALU_DEP_2) | instskip(SKIP_1) | instid1(SALU_CYCLE_1)
	v_lshlrev_b64 v[1:2], 2, v[1:2]
	s_lshl_b64 s[6:7], s[6:7], 2
	s_add_u32 s6, s17, s6
	s_delay_alu instid0(VALU_DEP_2) | instskip(SKIP_1) | instid1(VALU_DEP_2)
	v_lshlrev_b64 v[3:4], 2, v[3:4]
	s_addc_u32 s7, s13, s7
	v_add_co_u32 v1, vcc_lo, s17, v1
	v_add_co_ci_u32_e32 v2, vcc_lo, s13, v2, vcc_lo
	s_delay_alu instid0(VALU_DEP_3) | instskip(NEXT) | instid1(VALU_DEP_4)
	v_add_co_u32 v3, vcc_lo, s17, v3
	v_add_co_ci_u32_e32 v4, vcc_lo, s13, v4, vcc_lo
	s_clause 0x1
	global_load_b32 v5, v[1:2], off
	global_load_b32 v6, v[3:4], off
	s_or_b32 s4, s16, 32
	s_delay_alu instid0(SALU_CYCLE_1) | instskip(SKIP_2) | instid1(SALU_CYCLE_1)
	s_ashr_i32 s8, s4, 5
	s_cmp_lt_i32 s4, s18
	s_cselect_b32 s8, s8, s3
	s_ashr_i32 s9, s8, 31
	s_delay_alu instid0(SALU_CYCLE_1) | instskip(NEXT) | instid1(SALU_CYCLE_1)
	s_lshl_b64 s[8:9], s[8:9], 2
	s_add_u32 s8, s17, s8
	s_addc_u32 s9, s13, s9
	s_or_b32 s4, s16, 64
	s_delay_alu instid0(SALU_CYCLE_1) | instskip(SKIP_2) | instid1(SALU_CYCLE_1)
	s_ashr_i32 s12, s4, 5
	s_cmp_lt_i32 s4, s18
	s_cselect_b32 s24, s12, s3
	s_ashr_i32 s25, s24, 31
	s_delay_alu instid0(SALU_CYCLE_1) | instskip(NEXT) | instid1(SALU_CYCLE_1)
	s_lshl_b64 s[24:25], s[24:25], 2
	s_add_u32 s24, s17, s24
	s_addc_u32 s25, s13, s25
	;; [unrolled: 10-line block ×5, first 2 shown]
	s_clause 0x5
	s_load_b32 s12, s[6:7], 0x0
	s_load_b32 s4, s[8:9], 0x0
	;; [unrolled: 1-line block ×6, first 2 shown]
	s_or_b32 s21, s16, 0xc0
	s_waitcnt vmcnt(1)
	v_mad_i64_i32 v[1:2], null, v5, s5, s[22:23]
	v_lshlrev_b32_e32 v5, 4, v68
	s_waitcnt vmcnt(0)
	v_mad_i64_i32 v[3:4], null, v6, s5, s[22:23]
	s_ashr_i32 s22, s21, 5
	s_cmp_lt_i32 s21, s18
	s_delay_alu instid0(VALU_DEP_3) | instskip(NEXT) | instid1(VALU_DEP_4)
	v_add_co_u32 v1, vcc_lo, v1, v5
	v_add_co_ci_u32_e32 v2, vcc_lo, 0, v2, vcc_lo
	s_delay_alu instid0(VALU_DEP_3) | instskip(NEXT) | instid1(VALU_DEP_4)
	v_add_co_u32 v3, vcc_lo, v3, v5
	v_add_co_ci_u32_e32 v4, vcc_lo, 0, v4, vcc_lo
	s_clause 0x7
	global_load_b128 v[71:74], v[1:2], off
	global_load_b128 v[75:78], v[1:2], off offset:512
	global_load_b128 v[79:82], v[3:4], off offset:256
	;; [unrolled: 1-line block ×7, first 2 shown]
	s_cselect_b32 s22, s22, s3
	v_lshlrev_b32_e32 v1, 5, v68
	s_ashr_i32 s23, s22, 31
	v_cmp_gt_u32_e32 vcc_lo, 11, v68
	s_lshl_b64 s[22:23], s[22:23], 2
	s_delay_alu instid0(SALU_CYCLE_1)
	s_add_u32 s22, s17, s22
	s_addc_u32 s23, s13, s23
	s_or_b32 s21, s16, 0xe0
	v_lshl_or_b32 v1, v69, 9, v1
	s_ashr_i32 s24, s21, 5
	s_cmp_lt_i32 s21, s18
	v_cndmask_b32_e32 v103, v103, v68, vcc_lo
	s_cselect_b32 s24, s24, s3
	s_load_b32 s3, s[22:23], 0x0
	s_ashr_i32 s25, s24, 31
	v_cmp_gt_i32_e32 vcc_lo, 32, v128
	s_lshl_b64 s[24:25], s[24:25], 2
	v_lshlrev_b32_e32 v115, 6, v103
	s_add_u32 s22, s17, s24
	s_addc_u32 s23, s13, s25
	v_cndmask_b32_e32 v136, v127, v128, vcc_lo
	s_add_u32 s10, s10, s15
	s_addc_u32 s11, s11, s20
	v_add_co_u32 v1, s10, s10, v1
	s_delay_alu instid0(VALU_DEP_1) | instskip(SKIP_2) | instid1(VALU_DEP_1)
	v_add_co_ci_u32_e64 v2, null, s11, 0, s10
	s_load_b32 s10, s[22:23], 0x0
	s_waitcnt lgkmcnt(0)
	v_mad_i64_i32 v[3:4], null, s12, s5, v[1:2]
	v_mad_i64_i32 v[9:10], null, s7, s5, v[1:2]
	;; [unrolled: 1-line block ×7, first 2 shown]
	s_clause 0x5
	global_load_b128 v[49:52], v[3:4], off
	global_load_b128 v[53:56], v[3:4], off offset:16
	global_load_b128 v[41:44], v[5:6], off
	global_load_b128 v[45:48], v[5:6], off offset:16
	;; [unrolled: 2-line block ×3, first 2 shown]
	s_mov_b32 s4, 0
	v_mad_i64_i32 v[61:62], null, s10, s5, v[1:2]
	s_clause 0x9
	global_load_b128 v[1:4], v[9:10], off
	global_load_b128 v[5:8], v[9:10], off offset:16
	global_load_b128 v[9:12], v[13:14], off
	global_load_b128 v[13:16], v[13:14], off offset:16
	;; [unrolled: 2-line block ×5, first 2 shown]
	s_mov_b32 s5, s4
	s_mov_b32 s6, s4
	;; [unrolled: 1-line block ×7, first 2 shown]
	v_and_b32_e32 v104, 0xe0, v0
	v_dual_mov_b32 v126, s11 :: v_dual_mov_b32 v125, s10
	v_dual_mov_b32 v124, s9 :: v_dual_mov_b32 v123, s8
	s_delay_alu instid0(VALU_DEP_3)
	v_add_nc_u32_e32 v111, s16, v104
	ds_load_b128 v[103:106], v115
	ds_load_b128 v[107:110], v115 offset:1024
	v_dual_mov_b32 v122, s7 :: v_dual_mov_b32 v121, s6
	v_mov_b32_e32 v120, s5
	v_or_b32_e32 v135, v111, v66
	ds_load_b128 v[111:114], v115 offset:2048
	ds_load_b128 v[115:118], v115 offset:3072
	v_mov_b32_e32 v119, s4
	s_waitcnt vmcnt(0) lgkmcnt(0)
	s_barrier
	v_or_b32_e32 v137, 2, v135
	v_or_b32_e32 v138, 4, v135
	;; [unrolled: 1-line block ×3, first 2 shown]
	v_cmp_gt_i32_e32 vcc_lo, s18, v135
	v_or_b32_e32 v140, 8, v135
	v_cmp_gt_i32_e64 s3, s18, v137
	v_or_b32_e32 v141, 10, v135
	v_cmp_gt_i32_e64 s4, s18, v138
	v_cmp_gt_i32_e64 s5, s18, v139
	v_or_b32_e32 v142, 12, v135
	v_or_b32_e32 v143, 14, v135
	v_cmp_gt_i32_e64 s6, s18, v140
	v_cmp_gt_i32_e64 s7, s18, v141
	v_or_b32_e32 v144, 16, v135
	v_or_b32_e32 v145, 18, v135
	v_cmp_gt_i32_e64 s8, s18, v142
	v_cmp_gt_i32_e64 s9, s18, v143
	buffer_gl0_inv
	v_cmp_gt_i32_e64 s10, s18, v144
	v_cmp_gt_i32_e64 s11, s18, v145
	v_wmma_f32_16x16x16_f16 v[127:134], v[71:78], v[103:110], v[119:126]
	v_wmma_f32_16x16x16_f16 v[119:126], v[79:86], v[103:110], v[119:126]
	v_or_b32_e32 v71, 20, v135
	v_or_b32_e32 v72, 22, v135
	s_delay_alu instid0(VALU_DEP_4)
	v_wmma_f32_16x16x16_f16 v[127:134], v[87:94], v[111:118], v[127:134]
	v_or_b32_e32 v73, 24, v135
	v_wmma_f32_16x16x16_f16 v[119:126], v[95:102], v[111:118], v[119:126]
	v_or_b32_e32 v74, 26, v135
	v_cmp_gt_i32_e64 s12, s18, v71
	v_dual_mul_f32 v83, s19, v128 :: v_dual_mul_f32 v84, s19, v127
	s_delay_alu instid0(VALU_DEP_4) | instskip(SKIP_1) | instid1(VALU_DEP_3)
	v_dual_mul_f32 v81, s19, v130 :: v_dual_mul_f32 v92, s19, v119
	v_mul_f32_e32 v82, s19, v129
	v_cndmask_b32_e64 v83, 0xff7fffff, v83, s3
	s_delay_alu instid0(VALU_DEP_4)
	v_cndmask_b32_e32 v84, 0xff7fffff, v84, vcc_lo
	v_dual_mul_f32 v79, s19, v132 :: v_dual_mul_f32 v90, s19, v121
	v_mul_f32_e32 v80, s19, v131
	v_cndmask_b32_e64 v82, 0xff7fffff, v82, s4
	v_cndmask_b32_e64 v81, 0xff7fffff, v81, s5
	v_max3_f32 v83, v84, 0xff7fffff, v83
	v_dual_mul_f32 v77, s19, v134 :: v_dual_mul_f32 v88, s19, v123
	v_mul_f32_e32 v78, s19, v133
	v_cndmask_b32_e64 v80, 0xff7fffff, v80, s6
	v_cndmask_b32_e64 v79, 0xff7fffff, v79, s7
	v_max3_f32 v81, v83, v82, v81
	v_mul_f32_e32 v91, s19, v120
	v_cndmask_b32_e64 v78, 0xff7fffff, v78, s8
	v_cndmask_b32_e64 v77, 0xff7fffff, v77, s9
	v_mul_f32_e32 v89, s19, v122
	v_max3_f32 v79, v81, v80, v79
	v_cndmask_b32_e64 v80, 0xff7fffff, v92, s10
	v_cndmask_b32_e64 v81, 0xff7fffff, v91, s11
	v_cmp_gt_i32_e64 s13, s18, v72
	v_or_b32_e32 v75, 28, v135
	v_max3_f32 v77, v79, v78, v77
	v_or_b32_e32 v76, 30, v135
	v_mul_f32_e32 v87, s19, v124
	v_cndmask_b32_e64 v71, 0xff7fffff, v90, s12
	v_cndmask_b32_e64 v72, 0xff7fffff, v89, s13
	v_max3_f32 v77, v77, v80, v81
	v_cmp_gt_i32_e64 s15, s18, v73
	v_cmp_gt_i32_e64 s16, s18, v74
	v_dual_mul_f32 v85, s19, v126 :: v_dual_mul_f32 v86, s19, v125
	s_delay_alu instid0(VALU_DEP_4) | instskip(NEXT) | instid1(VALU_DEP_4)
	v_max3_f32 v71, v77, v71, v72
	v_cndmask_b32_e64 v73, 0xff7fffff, v88, s15
	s_delay_alu instid0(VALU_DEP_4) | instskip(SKIP_2) | instid1(VALU_DEP_3)
	v_cndmask_b32_e64 v74, 0xff7fffff, v87, s16
	v_cmp_gt_i32_e64 s17, s18, v75
	v_cmp_gt_i32_e64 s18, s18, v76
	v_max3_f32 v71, v71, v73, v74
	s_delay_alu instid0(VALU_DEP_3) | instskip(NEXT) | instid1(VALU_DEP_3)
	v_cndmask_b32_e64 v72, 0xff7fffff, v86, s17
	v_cndmask_b32_e64 v75, 0xff7fffff, v85, s18
	v_lshlrev_b32_e32 v73, 2, v136
	s_delay_alu instid0(VALU_DEP_2) | instskip(SKIP_3) | instid1(VALU_DEP_1)
	v_max3_f32 v71, v71, v72, v75
	ds_bpermute_b32 v72, v73, v71
	s_waitcnt lgkmcnt(0)
	v_max_f32_e32 v72, v72, v72
	v_max_f32_e32 v71, v71, v72
	s_delay_alu instid0(VALU_DEP_1)
	v_fma_f32 v72, s19, v127, -v71
	v_fma_f32 v74, s19, v128, -v71
	;; [unrolled: 1-line block ×5, first 2 shown]
	v_mul_f32_e32 v72, 0x3fb8aa3b, v72
	v_mul_f32_e32 v74, 0x3fb8aa3b, v74
	v_fma_f32 v80, s19, v133, -v71
	s_delay_alu instid0(VALU_DEP_4) | instskip(NEXT) | instid1(VALU_DEP_4)
	v_dual_mul_f32 v76, 0x3fb8aa3b, v76 :: v_dual_mul_f32 v77, 0x3fb8aa3b, v77
	v_exp_f32_e32 v72, v72
	s_delay_alu instid0(VALU_DEP_3) | instskip(NEXT) | instid1(VALU_DEP_2)
	v_exp_f32_e32 v74, v74
	v_mul_f32_e32 v82, 0x3fb8aa3b, v80
	s_delay_alu instid0(VALU_DEP_2) | instskip(SKIP_1) | instid1(VALU_DEP_1)
	v_exp_f32_e32 v76, v76
	v_exp_f32_e32 v77, v77
	;; [unrolled: 1-line block ×3, first 2 shown]
	v_cndmask_b32_e32 v79, 0, v72, vcc_lo
	v_fma_f32 v72, s19, v132, -v71
	v_mul_f32_e32 v75, 0x3fb8aa3b, v75
	v_cndmask_b32_e64 v78, 0, v74, s3
	s_delay_alu instid0(TRANS32_DEP_3)
	v_cndmask_b32_e64 v80, 0, v76, s5
	v_add_f32_e32 v74, 0, v79
	v_mul_f32_e32 v72, 0x3fb8aa3b, v72
	v_exp_f32_e32 v75, v75
	v_cndmask_b32_e64 v83, 0, v77, s6
	v_cndmask_b32_e64 v85, 0, v84, s8
	v_add_f32_e32 v74, v74, v78
	v_exp_f32_e32 v72, v72
	v_cmp_gt_u32_e64 s3, 16, v70
	s_waitcnt_depctr 0xfff
	v_cndmask_b32_e64 v81, 0, v75, s4
	v_cndmask_b32_e64 v82, 0, v72, s7
	s_delay_alu instid0(VALU_DEP_2) | instskip(NEXT) | instid1(VALU_DEP_1)
	v_add_f32_e32 v74, v74, v81
	v_add_f32_e32 v74, v74, v80
	s_delay_alu instid0(VALU_DEP_1) | instskip(SKIP_4) | instid1(VALU_DEP_4)
	v_add_f32_e32 v72, v74, v83
	v_fma_f32 v75, s19, v134, -v71
	v_fma_f32 v76, s19, v119, -v71
	;; [unrolled: 1-line block ×4, first 2 shown]
	v_dual_add_f32 v72, v72, v82 :: v_dual_mul_f32 v75, 0x3fb8aa3b, v75
	s_delay_alu instid0(VALU_DEP_3) | instskip(SKIP_1) | instid1(VALU_DEP_3)
	v_dual_mul_f32 v76, 0x3fb8aa3b, v76 :: v_dual_mul_f32 v77, 0x3fb8aa3b, v77
	v_fma_f32 v86, s19, v122, -v71
	v_add_f32_e32 v72, v72, v85
	s_delay_alu instid0(VALU_DEP_4) | instskip(NEXT) | instid1(VALU_DEP_3)
	v_exp_f32_e32 v75, v75
	v_exp_f32_e32 v76, v76
	;; [unrolled: 1-line block ×3, first 2 shown]
	v_mul_f32_e32 v86, 0x3fb8aa3b, v86
	s_delay_alu instid0(VALU_DEP_1) | instskip(SKIP_3) | instid1(TRANS32_DEP_3)
	v_exp_f32_e32 v88, v86
	v_cndmask_b32_e64 v84, 0, v75, s9
	v_fma_f32 v75, s19, v123, -v71
	v_mul_f32_e32 v74, 0x3fb8aa3b, v74
	v_cndmask_b32_e64 v87, 0, v76, s10
	v_fma_f32 v76, s19, v124, -v71
	s_delay_alu instid0(VALU_DEP_4) | instskip(NEXT) | instid1(VALU_DEP_4)
	v_dual_add_f32 v72, v72, v84 :: v_dual_mul_f32 v75, 0x3fb8aa3b, v75
	v_exp_f32_e32 v74, v74
	v_cndmask_b32_e64 v86, 0, v77, s11
	v_fma_f32 v77, s19, v125, -v71
	s_delay_alu instid0(VALU_DEP_3) | instskip(SKIP_3) | instid1(VALU_DEP_3)
	v_add_f32_e32 v72, v72, v87
	v_mul_f32_e32 v76, 0x3fb8aa3b, v76
	v_exp_f32_e32 v75, v75
	v_cndmask_b32_e64 v88, 0, v88, s13
	v_add_f32_e32 v72, v72, v86
	s_delay_alu instid0(VALU_DEP_3) | instskip(NEXT) | instid1(TRANS32_DEP_3)
	v_exp_f32_e32 v76, v76
	v_cndmask_b32_e64 v89, 0, v74, s12
	v_mul_f32_e32 v74, 0x3fb8aa3b, v77
	v_fma_f32 v77, s19, v126, -v71
	s_delay_alu instid0(VALU_DEP_3) | instskip(NEXT) | instid1(VALU_DEP_3)
	v_add_f32_e32 v72, v72, v89
	v_exp_f32_e32 v74, v74
	s_delay_alu instid0(TRANS32_DEP_3) | instskip(NEXT) | instid1(VALU_DEP_3)
	v_cndmask_b32_e64 v91, 0, v75, s15
	v_mul_f32_e32 v75, 0x3fb8aa3b, v77
	s_delay_alu instid0(TRANS32_DEP_2) | instskip(SKIP_1) | instid1(VALU_DEP_3)
	v_cndmask_b32_e64 v90, 0, v76, s16
	v_add_f32_e32 v72, v72, v88
	v_exp_f32_e32 v75, v75
	s_delay_alu instid0(VALU_DEP_1) | instskip(NEXT) | instid1(TRANS32_DEP_2)
	v_add_f32_e32 v72, v72, v91
	v_cndmask_b32_e64 v93, 0, v74, s17
	s_delay_alu instid0(VALU_DEP_2) | instskip(SKIP_3) | instid1(VALU_DEP_1)
	v_add_f32_e32 v72, v72, v90
	s_waitcnt_depctr 0xfff
	v_cndmask_b32_e64 v92, 0, v75, s18
	v_add_f32_e32 v72, v72, v93
	v_add_f32_e32 v72, v72, v92
	ds_bpermute_b32 v73, v73, v72
	s_and_saveexec_b32 s4, s3
	s_cbranch_execz .LBB920_12
; %bb.11:
	v_mul_u32_u24_e32 v70, 0x44, v69
	s_waitcnt lgkmcnt(0)
	v_add_f32_e32 v72, v72, v73
	s_delay_alu instid0(VALU_DEP_2) | instskip(NEXT) | instid1(VALU_DEP_1)
	v_lshl_add_u32 v70, v68, 2, v70
	v_add_nc_u32_e32 v70, 0x4000, v70
	ds_store_2addr_b32 v70, v71, v72 offset1:136
.LBB920_12:
	s_or_b32 exec_lo, exec_lo, s4
	v_lshlrev_b32_e32 v70, 2, v68
	s_load_b32 s36, s[0:1], 0x94
	s_waitcnt lgkmcnt(0)
	s_barrier
	buffer_gl0_inv
	v_add_nc_u32_e32 v98, 0x4000, v70
	v_cmp_eq_u32_e32 vcc_lo, 1, v69
	v_cmp_eq_u32_e64 s4, 2, v69
	v_cmp_eq_u32_e64 s5, 3, v69
	;; [unrolled: 1-line block ×3, first 2 shown]
	ds_load_2addr_b32 v[70:71], v98 offset1:17
	ds_load_2addr_b32 v[72:73], v98 offset0:34 offset1:51
	ds_load_2addr_b32 v[74:75], v98 offset0:68 offset1:85
	ds_load_2addr_b32 v[94:95], v98 offset0:102 offset1:119
	v_cmp_eq_u32_e64 s7, 5, v69
	v_cmp_eq_u32_e64 s8, 7, v69
	s_waitcnt lgkmcnt(3)
	v_max3_f32 v76, v70, 0xff7fffff, v71
	s_waitcnt lgkmcnt(2)
	s_delay_alu instid0(VALU_DEP_1) | instskip(SKIP_1) | instid1(VALU_DEP_1)
	v_max3_f32 v76, v76, v72, v73
	s_waitcnt lgkmcnt(1)
	v_max3_f32 v76, v76, v74, v75
	s_waitcnt lgkmcnt(0)
	s_delay_alu instid0(VALU_DEP_1) | instskip(NEXT) | instid1(VALU_DEP_1)
	v_max3_f32 v76, v76, v94, v95
	v_sub_f32_e32 v77, v71, v76
	ds_load_2addr_b32 v[96:97], v98 offset0:136 offset1:153
	v_sub_f32_e32 v74, v74, v76
	v_sub_f32_e32 v70, v70, v76
	;; [unrolled: 1-line block ×3, first 2 shown]
	v_dual_sub_f32 v72, v72, v76 :: v_dual_mul_f32 v77, 0x3fb8aa3b, v77
	s_delay_alu instid0(VALU_DEP_4) | instskip(NEXT) | instid1(VALU_DEP_4)
	v_mul_f32_e32 v103, 0x3fb8aa3b, v74
	v_mul_f32_e32 v99, 0x3fb8aa3b, v70
	ds_load_2addr_b32 v[70:71], v98 offset0:170 offset1:187
	v_dual_mul_f32 v101, 0x3fb8aa3b, v72 :: v_dual_mul_f32 v94, 0x3fb8aa3b, v94
	v_exp_f32_e32 v102, v77
	v_exp_f32_e32 v99, v99
	s_delay_alu instid0(VALU_DEP_1) | instskip(NEXT) | instid1(VALU_DEP_1)
	v_exp_f32_e32 v101, v101
	v_exp_f32_e32 v94, v94
	s_waitcnt lgkmcnt(1)
	s_delay_alu instid0(TRANS32_DEP_3)
	v_fma_f32 v77, v99, v96, 0
	v_sub_f32_e32 v100, v73, v76
	ds_load_2addr_b32 v[72:73], v98 offset0:204 offset1:221
	v_fmac_f32_e32 v77, v102, v97
	v_exp_f32_e32 v97, v103
	s_waitcnt lgkmcnt(1)
	s_delay_alu instid0(VALU_DEP_1)
	v_dual_fmac_f32 v77, v101, v70 :: v_dual_sub_f32 v96, v75, v76
	ds_load_2addr_b32 v[74:75], v98 offset0:238 offset1:255
	v_sub_f32_e32 v70, v95, v76
	s_waitcnt lgkmcnt(0)
	s_barrier
	v_mul_f32_e32 v96, 0x3fb8aa3b, v96
	buffer_gl0_inv
	v_exp_f32_e32 v95, v96
	v_mul_f32_e32 v100, 0x3fb8aa3b, v100
	s_delay_alu instid0(VALU_DEP_1) | instskip(SKIP_3) | instid1(VALU_DEP_2)
	v_exp_f32_e32 v100, v100
	s_waitcnt_depctr 0xfff
	v_dual_fmac_f32 v77, v100, v71 :: v_dual_mul_f32 v70, 0x3fb8aa3b, v70
	v_cndmask_b32_e32 v71, v99, v102, vcc_lo
	v_fmac_f32_e32 v77, v97, v72
	s_delay_alu instid0(VALU_DEP_3) | instskip(NEXT) | instid1(VALU_DEP_1)
	v_exp_f32_e32 v96, v70
	v_fmac_f32_e32 v77, v95, v73
	s_delay_alu instid0(VALU_DEP_1) | instskip(SKIP_2) | instid1(VALU_DEP_1)
	v_fmac_f32_e32 v77, v94, v74
	s_waitcnt_depctr 0xfff
	v_fmac_f32_e32 v77, v96, v75
	v_add_f32_e32 v74, 0x358637bd, v77
	s_delay_alu instid0(VALU_DEP_1) | instskip(SKIP_1) | instid1(VALU_DEP_2)
	v_div_scale_f32 v98, null, v74, v74, 1.0
	v_div_scale_f32 v99, vcc_lo, 1.0, v74, 1.0
	v_rcp_f32_e32 v103, v98
	s_waitcnt_depctr 0xfff
	v_fma_f32 v70, -v98, v103, 1.0
	s_delay_alu instid0(VALU_DEP_1) | instskip(SKIP_2) | instid1(VALU_DEP_2)
	v_fmac_f32_e32 v103, v70, v103
	v_cndmask_b32_e64 v70, v71, v101, s4
	v_cmp_eq_u32_e64 s4, 6, v69
	v_cndmask_b32_e64 v71, v70, v100, s5
	s_delay_alu instid0(VALU_DEP_4) | instskip(NEXT) | instid1(VALU_DEP_2)
	v_dual_mul_f32 v101, v99, v103 :: v_dual_lshlrev_b32 v70, 2, v66
	v_cndmask_b32_e64 v71, v71, v97, s6
	s_delay_alu instid0(VALU_DEP_2) | instskip(NEXT) | instid1(VALU_DEP_3)
	v_or_b32_e32 v72, 1, v70
	v_fma_f32 v100, -v98, v101, v99
	v_cmp_eq_u32_e64 s5, 1, v70
	v_cmp_eq_u32_e64 s6, 2, v70
	v_cndmask_b32_e64 v95, v71, v95, s7
	v_or_b32_e32 v71, 3, v70
	v_fmac_f32_e32 v101, v100, v103
	v_cmp_eq_u32_e64 s10, 1, v72
	v_cmp_eq_u32_e64 s13, 2, v72
	v_cndmask_b32_e64 v94, v95, v94, s4
	v_cmp_eq_u32_e64 s12, 1, v71
	v_fma_f32 v97, -v98, v101, v99
	v_cmp_eq_u32_e64 s17, 2, v71
	v_cmp_eq_u32_e64 s15, 3, v72
	v_cndmask_b32_e64 v94, v94, v96, s8
	v_cmp_eq_u32_e64 s19, 3, v71
	v_div_fmas_f32 v95, v97, v103, v101
	v_cmp_eq_u32_e32 vcc_lo, 3, v70
	v_cmp_eq_u32_e64 s4, 4, v70
	v_cmp_eq_u32_e64 s20, 4, v72
	;; [unrolled: 1-line block ×3, first 2 shown]
	v_div_fixup_f32 v95, v95, v74, 1.0
	v_lshlrev_b32_e32 v73, 6, v68
	v_cmp_eq_u32_e64 s7, 5, v70
	v_cmp_eq_u32_e64 s21, 5, v72
	;; [unrolled: 1-line block ×3, first 2 shown]
	v_mul_f32_e32 v102, v94, v95
	v_lshl_or_b32 v75, v69, 11, v73
	v_or_b32_e32 v69, 2, v70
	v_cmp_eq_u32_e64 s26, 6, v72
	v_cmp_eq_u32_e64 s28, 6, v71
	v_fma_mixlo_f16 v94, v102, v79, 0
	v_fma_mixlo_f16 v95, v102, v81, 0
	;; [unrolled: 1-line block ×8, first 2 shown]
	v_lshl_or_b32 v74, v66, 4, v75
	v_fma_mixhi_f16 v94, v102, v78, 0
	v_fma_mixhi_f16 v95, v102, v80, 0
	;; [unrolled: 1-line block ×8, first 2 shown]
	ds_store_b128 v74, v[94:97]
	ds_store_b128 v74, v[98:101] offset:1024
	s_waitcnt lgkmcnt(0)
	s_barrier
	buffer_gl0_inv
	ds_load_b128 v[78:81], v75
	ds_load_b128 v[82:85], v75 offset:16
	ds_load_b128 v[86:89], v75 offset:1024
	;; [unrolled: 1-line block ×3, first 2 shown]
	v_cmp_eq_u32_e64 s11, 1, v69
	v_cmp_eq_u32_e64 s16, 2, v69
	;; [unrolled: 1-line block ×11, first 2 shown]
	s_waitcnt lgkmcnt(3)
	v_lshrrev_b32_e32 v94, 16, v78
	s_waitcnt lgkmcnt(2)
	v_lshrrev_b32_e32 v98, 16, v82
	;; [unrolled: 2-line block ×4, first 2 shown]
	v_lshrrev_b32_e32 v95, 16, v79
	v_cndmask_b32_e64 v110, v78, v94, s5
	v_cndmask_b32_e64 v111, v82, v98, s5
	v_cndmask_b32_e64 v112, v78, v94, s10
	v_cndmask_b32_e64 v113, v82, v98, s10
	v_cndmask_b32_e64 v114, v78, v94, s11
	v_cndmask_b32_e64 v115, v82, v98, s11
	v_cndmask_b32_e64 v78, v78, v94, s12
	v_cndmask_b32_e64 v82, v82, v98, s12
	v_lshrrev_b32_e32 v99, 16, v83
	v_cndmask_b32_e64 v94, v86, v102, s5
	v_cndmask_b32_e64 v98, v90, v106, s5
	;; [unrolled: 1-line block ×15, first 2 shown]
	v_lshrrev_b32_e32 v103, 16, v87
	v_lshrrev_b32_e32 v107, 16, v91
	v_cndmask_b32_e64 v113, v115, v83, s16
	v_cndmask_b32_e64 v82, v94, v87, s6
	;; [unrolled: 1-line block ×7, first 2 shown]
	v_cndmask_b32_e32 v90, v102, v95, vcc_lo
	v_cndmask_b32_e32 v102, v106, v99, vcc_lo
	v_cndmask_b32_e64 v106, v110, v95, s15
	v_cndmask_b32_e64 v110, v111, v99, s15
	;; [unrolled: 1-line block ×4, first 2 shown]
	v_lshrrev_b32_e32 v96, 16, v80
	v_lshrrev_b32_e32 v100, 16, v84
	v_cndmask_b32_e64 v111, v112, v95, s18
	v_cndmask_b32_e64 v112, v113, v99, s18
	v_cndmask_b32_e32 v82, v82, v103, vcc_lo
	v_cndmask_b32_e32 v83, v83, v107, vcc_lo
	v_cndmask_b32_e64 v94, v94, v103, s15
	v_cndmask_b32_e64 v90, v90, v80, s4
	;; [unrolled: 1-line block ×7, first 2 shown]
	v_lshrrev_b32_e32 v104, 16, v88
	v_cndmask_b32_e64 v106, v111, v80, s22
	v_cndmask_b32_e64 v110, v112, v84, s22
	;; [unrolled: 1-line block ×11, first 2 shown]
	v_lshrrev_b32_e32 v97, 16, v81
	v_lshrrev_b32_e32 v101, 16, v85
	v_cndmask_b32_e64 v99, v106, v96, s24
	v_cndmask_b32_e64 v102, v110, v100, s24
	;; [unrolled: 1-line block ×7, first 2 shown]
	v_lshrrev_b32_e32 v105, 16, v89
	v_cndmask_b32_e64 v80, v80, v104, s7
	v_cndmask_b32_e64 v84, v84, v81, s8
	;; [unrolled: 1-line block ×16, first 2 shown]
	v_perm_b32 v81, v79, v78, 0x5040100
	v_perm_b32 v79, v95, v85, 0x5040100
	v_cndmask_b32_e64 v78, v119, v91, s16
	v_cndmask_b32_e64 v85, v117, v91, s13
	;; [unrolled: 1-line block ×3, first 2 shown]
	v_perm_b32 v80, v94, v90, 0x5040100
	v_cndmask_b32_e64 v90, v98, v103, s18
	v_cndmask_b32_e64 v86, v86, v103, s19
	;; [unrolled: 1-line block ×5, first 2 shown]
	v_lshrrev_b32_e32 v108, 16, v92
	v_cndmask_b32_e64 v90, v90, v88, s22
	v_cndmask_b32_e64 v86, v86, v88, s23
	v_cndmask_b32_e64 v87, v87, v92, s23
	v_cndmask_b32_e64 v78, v78, v92, s22
	v_cndmask_b32_e64 v85, v85, v92, s20
	v_cndmask_b32_e64 v82, v82, v108, s7
	v_cndmask_b32_e64 v88, v90, v104, s24
	v_cndmask_b32_e64 v86, v86, v104, s25
	v_cndmask_b32_e64 v87, v87, v108, s25
	v_cndmask_b32_e64 v78, v78, v108, s24
	v_cndmask_b32_e64 v85, v85, v108, s21
	v_lshrrev_b32_e32 v109, 16, v93
	v_cndmask_b32_e64 v82, v82, v93, s8
	v_cndmask_b32_e64 v88, v88, v89, s27
	;; [unrolled: 1-line block ×12, first 2 shown]
	v_perm_b32 v78, v84, v83, 0x5040100
	v_perm_b32 v85, v87, v86, 0x5040100
	;; [unrolled: 1-line block ×5, first 2 shown]
	s_mul_i32 s9, s35, 11
	s_mov_b32 s4, exec_lo
	ds_store_b128 v74, v[78:81]
	ds_store_b128 v74, v[82:85] offset:1024
	v_cmpx_gt_u32_e32 11, v0
	s_cbranch_execz .LBB920_14
; %bb.13:
	s_mul_i32 s5, s9, s34
	s_load_b128 s[16:19], s[0:1], 0x58
	v_add3_u32 v68, s5, s33, v68
	s_delay_alu instid0(VALU_DEP_1) | instskip(NEXT) | instid1(VALU_DEP_1)
	v_mad_u64_u32 v[78:79], null, v68, s36, s[14:15]
	v_ashrrev_i32_e32 v79, 31, v78
	s_delay_alu instid0(VALU_DEP_1) | instskip(SKIP_1) | instid1(VALU_DEP_1)
	v_lshlrev_b64 v[78:79], 2, v[78:79]
	s_waitcnt lgkmcnt(0)
	v_add_co_u32 v80, vcc_lo, s18, v78
	s_delay_alu instid0(VALU_DEP_2)
	v_add_co_ci_u32_e32 v81, vcc_lo, s19, v79, vcc_lo
	v_add_co_u32 v78, vcc_lo, s16, v78
	v_add_co_ci_u32_e32 v79, vcc_lo, s17, v79, vcc_lo
	global_store_b32 v[80:81], v76, off
	global_store_b32 v[78:79], v77, off
.LBB920_14:
	s_or_b32 exec_lo, exec_lo, s4
	s_waitcnt lgkmcnt(0)
	s_waitcnt_vscnt null, 0x0
	s_barrier
	buffer_gl0_inv
	ds_load_b128 v[84:87], v73
	ds_load_b128 v[88:91], v73 offset:16
	ds_load_b128 v[96:99], v73 offset:2064
	;; [unrolled: 1-line block ×5, first 2 shown]
	v_cmp_eq_u32_e32 vcc_lo, 1, v70
	v_mov_b32_e32 v76, 0
	ds_load_b128 v[112:115], v73 offset:6160
	ds_load_b128 v[108:111], v73 offset:6144
	;; [unrolled: 1-line block ×4, first 2 shown]
	v_cmp_eq_u32_e64 s5, 1, v69
	v_cmp_eq_u32_e64 s4, 1, v72
	;; [unrolled: 1-line block ×3, first 2 shown]
	v_mov_b32_e32 v77, v76
	v_mov_b32_e32 v78, v76
	v_mov_b32_e32 v79, v76
	v_mov_b32_e32 v80, v76
	v_mov_b32_e32 v81, v76
	v_mov_b32_e32 v82, v76
	v_mov_b32_e32 v83, v76
	v_cmp_eq_u32_e64 s7, 3, v72
	v_cmp_eq_u32_e64 s8, 7, v72
	s_waitcnt lgkmcnt(8)
	s_delay_alu instid0(VALU_DEP_3)
	v_wmma_f32_16x16x16_f16 v[76:83], v[49:56], v[84:91], v[76:83]
	ds_load_b128 v[53:56], v73 offset:10256
	ds_load_b128 v[49:52], v73 offset:10240
	s_waitcnt lgkmcnt(8)
	v_wmma_f32_16x16x16_f16 v[76:83], v[41:48], v[92:99], v[76:83]
	ds_load_b128 v[45:48], v73 offset:12304
	ds_load_b128 v[41:44], v73 offset:12288
	s_waitcnt lgkmcnt(8)
	;; [unrolled: 4-line block ×3, first 2 shown]
	s_barrier
	buffer_gl0_inv
	v_wmma_f32_16x16x16_f16 v[76:83], v[1:8], v[108:115], v[76:83]
	s_delay_alu instid0(VALU_DEP_1) | instskip(NEXT) | instid1(VALU_DEP_1)
	v_wmma_f32_16x16x16_f16 v[76:83], v[9:16], v[116:123], v[76:83]
	v_wmma_f32_16x16x16_f16 v[76:83], v[17:24], v[49:56], v[76:83]
	s_delay_alu instid0(VALU_DEP_1) | instskip(NEXT) | instid1(VALU_DEP_1)
	v_wmma_f32_16x16x16_f16 v[76:83], v[25:32], v[41:48], v[76:83]
	v_wmma_f32_16x16x16_f16 v[76:83], v[57:64], v[33:40], v[76:83]
	s_delay_alu instid0(VALU_DEP_1) | instskip(NEXT) | instid1(VALU_DEP_2)
	v_cvt_f16_f32_e32 v1, v76
	v_cvt_f16_f32_e32 v2, v77
	s_delay_alu instid0(VALU_DEP_3) | instskip(NEXT) | instid1(VALU_DEP_4)
	v_cvt_f16_f32_e32 v3, v78
	v_cvt_f16_f32_e32 v4, v79
	;; [unrolled: 1-line block ×6, first 2 shown]
	v_pack_b32_f16 v1, v1, v2
	v_pack_b32_f16 v2, v3, v4
	;; [unrolled: 1-line block ×3, first 2 shown]
	s_delay_alu instid0(VALU_DEP_4)
	v_pack_b32_f16 v4, v7, v8
	ds_store_b128 v74, v[1:4]
	s_waitcnt lgkmcnt(0)
	s_barrier
	buffer_gl0_inv
	ds_load_b128 v[1:4], v75
	ds_load_b128 v[5:8], v75 offset:16
	s_waitcnt lgkmcnt(1)
	v_lshrrev_b32_e32 v9, 16, v1
	s_waitcnt lgkmcnt(0)
	v_lshrrev_b32_e32 v13, 16, v5
	v_lshrrev_b32_e32 v10, 16, v2
	;; [unrolled: 1-line block ×4, first 2 shown]
	v_cndmask_b32_e32 v17, v1, v9, vcc_lo
	v_cndmask_b32_e32 v18, v5, v13, vcc_lo
	v_cndmask_b32_e64 v21, v1, v9, s5
	v_cmp_eq_u32_e32 vcc_lo, 1, v71
	v_cndmask_b32_e64 v22, v5, v13, s5
	v_cmp_eq_u32_e64 s5, 2, v70
	v_cndmask_b32_e64 v19, v1, v9, s4
	v_cndmask_b32_e64 v20, v5, v13, s4
	v_cndmask_b32_e32 v1, v1, v9, vcc_lo
	v_cmp_eq_u32_e64 s4, 2, v71
	v_cndmask_b32_e32 v5, v5, v13, vcc_lo
	v_cndmask_b32_e64 v9, v17, v2, s5
	v_cmp_eq_u32_e32 vcc_lo, 3, v70
	v_cndmask_b32_e64 v13, v18, v6, s5
	v_cmp_eq_u32_e64 s5, 2, v69
	v_cndmask_b32_e64 v17, v19, v2, s6
	v_cndmask_b32_e64 v18, v20, v6, s6
	v_cmp_eq_u32_e64 s6, 3, v69
	v_cndmask_b32_e64 v1, v1, v2, s4
	v_cndmask_b32_e64 v19, v21, v2, s5
	v_cndmask_b32_e64 v20, v22, v6, s5
	v_cndmask_b32_e64 v2, v5, v6, s4
	v_cndmask_b32_e32 v5, v9, v10, vcc_lo
	v_cndmask_b32_e32 v6, v13, v14, vcc_lo
	v_cmp_eq_u32_e32 vcc_lo, 3, v71
	v_cndmask_b32_e64 v9, v17, v10, s7
	v_cndmask_b32_e64 v13, v18, v14, s7
	;; [unrolled: 1-line block ×3, first 2 shown]
	v_cmp_eq_u32_e64 s5, 4, v70
	v_cndmask_b32_e32 v1, v1, v10, vcc_lo
	v_cndmask_b32_e32 v2, v2, v14, vcc_lo
	v_cmp_eq_u32_e32 vcc_lo, 4, v72
	v_lshrrev_b32_e32 v15, 16, v7
	v_lshrrev_b32_e32 v16, 16, v8
	v_cndmask_b32_e64 v17, v19, v10, s6
	v_cmp_eq_u32_e64 s4, 4, v71
	v_cndmask_b32_e64 v5, v5, v3, s5
	v_cndmask_b32_e64 v6, v6, v7, s5
	v_cndmask_b32_e32 v9, v9, v3, vcc_lo
	v_cmp_eq_u32_e64 s5, 5, v72
	v_cndmask_b32_e32 v10, v13, v7, vcc_lo
	v_cmp_eq_u32_e32 vcc_lo, 4, v69
	v_cmp_eq_u32_e64 s6, 5, v70
	v_cndmask_b32_e64 v2, v2, v7, s4
	v_cndmask_b32_e64 v9, v9, v11, s5
	;; [unrolled: 1-line block ×3, first 2 shown]
	v_cndmask_b32_e32 v13, v17, v3, vcc_lo
	v_cmp_eq_u32_e64 s5, 5, v69
	v_cndmask_b32_e32 v14, v18, v7, vcc_lo
	v_cndmask_b32_e64 v1, v1, v3, s4
	v_cmp_eq_u32_e32 vcc_lo, 5, v71
	v_lshrrev_b32_e32 v12, 16, v4
	v_cndmask_b32_e64 v13, v13, v11, s5
	v_cndmask_b32_e64 v3, v14, v15, s5
	v_cmp_eq_u32_e64 s5, 6, v71
	v_cndmask_b32_e32 v1, v1, v11, vcc_lo
	v_cndmask_b32_e64 v5, v5, v11, s6
	v_cmp_eq_u32_e64 s7, 6, v70
	v_cndmask_b32_e64 v6, v6, v15, s6
	v_cmp_eq_u32_e64 s6, 6, v72
	v_cmp_eq_u32_e64 s4, 6, v69
	v_cndmask_b32_e64 v1, v1, v4, s5
	v_cndmask_b32_e32 v2, v2, v15, vcc_lo
	v_cmp_eq_u32_e32 vcc_lo, 7, v71
	v_cndmask_b32_e64 v5, v5, v4, s7
	v_cndmask_b32_e64 v9, v9, v4, s6
	;; [unrolled: 1-line block ×3, first 2 shown]
	v_cmp_eq_u32_e64 s7, 7, v70
	v_cndmask_b32_e32 v1, v1, v12, vcc_lo
	v_cndmask_b32_e64 v7, v13, v4, s4
	v_cndmask_b32_e64 v3, v3, v8, s4
	;; [unrolled: 1-line block ×3, first 2 shown]
	v_cmp_eq_u32_e64 s4, 7, v69
	v_cndmask_b32_e64 v4, v10, v8, s6
	v_cndmask_b32_e64 v5, v5, v12, s7
	;; [unrolled: 1-line block ×3, first 2 shown]
	v_cndmask_b32_e32 v2, v2, v16, vcc_lo
	v_cndmask_b32_e64 v7, v7, v12, s4
	v_cndmask_b32_e64 v3, v3, v16, s4
	;; [unrolled: 1-line block ×4, first 2 shown]
	v_cmp_gt_u32_e32 vcc_lo, 32, v0
	v_perm_b32 v4, v2, v1, 0x5040100
	v_perm_b32 v3, v3, v7, 0x5040100
	v_perm_b32 v2, v8, v9, 0x5040100
	v_perm_b32 v1, v6, v5, 0x5040100
	s_and_b32 s2, vcc_lo, s2
	ds_store_b128 v74, v[1:4]
	s_waitcnt lgkmcnt(0)
	s_barrier
	buffer_gl0_inv
	s_and_saveexec_b32 s4, s2
	s_cbranch_execz .LBB920_2
; %bb.15:
	s_load_b64 s[4:5], s[0:1], 0x68
	v_lshlrev_b32_e32 v0, 10, v0
	v_lshlrev_b32_e32 v1, 4, v67
	s_lshl_b32 s0, s36, 6
	v_add_nc_u32_e32 v7, s33, v66
	s_mul_i32 s1, s0, s34
	s_delay_alu instid0(SALU_CYCLE_1) | instskip(SKIP_1) | instid1(VALU_DEP_2)
	s_mul_i32 s6, s1, s9
	v_and_or_b32 v0, 0x3800, v0, v1
	v_mul_lo_u32 v1, v7, s0
	v_add_nc_u32_e32 v2, 2, v7
	s_ashr_i32 s7, s6, 31
	v_add_nc_u32_e32 v4, 4, v7
	s_lshl_b64 s[6:7], s[6:7], 1
	v_add_nc_u32_e32 v8, 6, v7
	v_mul_lo_u32 v3, v2, s0
	v_lshl_or_b32 v19, v66, 6, v0
	v_ashrrev_i32_e32 v2, 31, v1
	v_mul_lo_u32 v11, v4, s0
	v_mul_lo_u32 v25, v8, s0
	s_waitcnt lgkmcnt(0)
	s_add_u32 s1, s4, s6
	s_addc_u32 s2, s5, s7
	s_lshl_b32 s4, s14, 6
	v_lshlrev_b64 v[5:6], 1, v[1:2]
	s_ashr_i32 s5, s4, 31
	v_ashrrev_i32_e32 v4, 31, v3
	s_lshl_b64 s[4:5], s[4:5], 1
	v_ashrrev_i32_e32 v12, 31, v11
	s_add_u32 s1, s1, s4
	s_addc_u32 s2, s2, s5
	v_add_co_u32 v1, s1, s1, v65
	s_delay_alu instid0(VALU_DEP_1) | instskip(SKIP_1) | instid1(VALU_DEP_3)
	v_add_co_ci_u32_e64 v2, null, s2, 0, s1
	v_lshlrev_b64 v[3:4], 1, v[3:4]
	v_add_co_u32 v23, vcc_lo, v1, v5
	v_add_nc_u32_e32 v5, 8, v7
	s_delay_alu instid0(VALU_DEP_4) | instskip(NEXT) | instid1(VALU_DEP_4)
	v_add_co_ci_u32_e32 v24, vcc_lo, v2, v6, vcc_lo
	v_add_co_u32 v27, vcc_lo, v1, v3
	s_delay_alu instid0(VALU_DEP_3)
	v_mul_lo_u32 v29, v5, s0
	v_add_co_ci_u32_e32 v28, vcc_lo, v2, v4, vcc_lo
	ds_load_b128 v[3:6], v19
	ds_load_b128 v[7:10], v19 offset:128
	v_lshlrev_b64 v[31:32], 1, v[11:12]
	ds_load_b128 v[11:14], v19 offset:256
	ds_load_b128 v[15:18], v19 offset:384
	;; [unrolled: 1-line block ×3, first 2 shown]
	v_ashrrev_i32_e32 v26, 31, v25
	v_ashrrev_i32_e32 v30, 31, v29
	v_add_co_u32 v31, vcc_lo, v1, v31
	s_delay_alu instid0(VALU_DEP_3) | instskip(NEXT) | instid1(VALU_DEP_3)
	v_lshlrev_b64 v[25:26], 1, v[25:26]
	v_lshlrev_b64 v[29:30], 1, v[29:30]
	v_add_co_ci_u32_e32 v32, vcc_lo, v2, v32, vcc_lo
	s_delay_alu instid0(VALU_DEP_3) | instskip(NEXT) | instid1(VALU_DEP_4)
	v_add_co_u32 v25, vcc_lo, v1, v25
	v_add_co_ci_u32_e32 v26, vcc_lo, v2, v26, vcc_lo
	s_delay_alu instid0(VALU_DEP_4)
	v_add_co_u32 v29, vcc_lo, v1, v29
	v_add_co_ci_u32_e32 v30, vcc_lo, v2, v30, vcc_lo
	s_waitcnt lgkmcnt(4)
	global_store_b128 v[23:24], v[3:6], off
	s_waitcnt lgkmcnt(3)
	global_store_b128 v[27:28], v[7:10], off
	;; [unrolled: 2-line block ×5, first 2 shown]
	s_and_b32 exec_lo, exec_lo, s3
	s_cbranch_execz .LBB920_2
; %bb.16:
	ds_load_b128 v[3:6], v0 offset:640
	s_add_i32 s1, s33, 10
	s_delay_alu instid0(SALU_CYCLE_1) | instskip(NEXT) | instid1(SALU_CYCLE_1)
	s_mul_i32 s0, s1, s0
	s_ashr_i32 s1, s0, 31
	s_delay_alu instid0(SALU_CYCLE_1) | instskip(NEXT) | instid1(SALU_CYCLE_1)
	s_lshl_b64 s[0:1], s[0:1], 1
	v_add_co_u32 v0, vcc_lo, v1, s0
	v_add_co_ci_u32_e32 v1, vcc_lo, s1, v2, vcc_lo
	s_waitcnt lgkmcnt(0)
	global_store_b128 v[0:1], v[3:6], off
	s_nop 0
	s_sendmsg sendmsg(MSG_DEALLOC_VGPRS)
	s_endpgm
	.section	.rodata,"a",@progbits
	.p2align	6, 0x0
	.amdhsa_kernel _Z39paged_attention_ll4mi_QKV_mfma16_kernelIDF16_hLN4vllm18Fp8KVCacheDataTypeE1EDF16_Li32ELi64ELi256ELb0ELi11EL8MFMAType1EEvPKT_PKT0_S8_ifPKiSA_SA_iPKfiiiPfSD_PS3_PT2_iSC_SC_
		.amdhsa_group_segment_fixed_size 17472
		.amdhsa_private_segment_fixed_size 0
		.amdhsa_kernarg_size 400
		.amdhsa_user_sgpr_count 13
		.amdhsa_user_sgpr_dispatch_ptr 0
		.amdhsa_user_sgpr_queue_ptr 0
		.amdhsa_user_sgpr_kernarg_segment_ptr 1
		.amdhsa_user_sgpr_dispatch_id 0
		.amdhsa_user_sgpr_private_segment_size 0
		.amdhsa_wavefront_size32 1
		.amdhsa_uses_dynamic_stack 0
		.amdhsa_enable_private_segment 0
		.amdhsa_system_sgpr_workgroup_id_x 1
		.amdhsa_system_sgpr_workgroup_id_y 1
		.amdhsa_system_sgpr_workgroup_id_z 1
		.amdhsa_system_sgpr_workgroup_info 0
		.amdhsa_system_vgpr_workitem_id 0
		.amdhsa_next_free_vgpr 146
		.amdhsa_next_free_sgpr 37
		.amdhsa_reserve_vcc 1
		.amdhsa_float_round_mode_32 0
		.amdhsa_float_round_mode_16_64 0
		.amdhsa_float_denorm_mode_32 3
		.amdhsa_float_denorm_mode_16_64 3
		.amdhsa_dx10_clamp 1
		.amdhsa_ieee_mode 1
		.amdhsa_fp16_overflow 0
		.amdhsa_workgroup_processor_mode 1
		.amdhsa_memory_ordered 1
		.amdhsa_forward_progress 0
		.amdhsa_shared_vgpr_count 0
		.amdhsa_exception_fp_ieee_invalid_op 0
		.amdhsa_exception_fp_denorm_src 0
		.amdhsa_exception_fp_ieee_div_zero 0
		.amdhsa_exception_fp_ieee_overflow 0
		.amdhsa_exception_fp_ieee_underflow 0
		.amdhsa_exception_fp_ieee_inexact 0
		.amdhsa_exception_int_div_zero 0
	.end_amdhsa_kernel
	.section	.text._Z39paged_attention_ll4mi_QKV_mfma16_kernelIDF16_hLN4vllm18Fp8KVCacheDataTypeE1EDF16_Li32ELi64ELi256ELb0ELi11EL8MFMAType1EEvPKT_PKT0_S8_ifPKiSA_SA_iPKfiiiPfSD_PS3_PT2_iSC_SC_,"axG",@progbits,_Z39paged_attention_ll4mi_QKV_mfma16_kernelIDF16_hLN4vllm18Fp8KVCacheDataTypeE1EDF16_Li32ELi64ELi256ELb0ELi11EL8MFMAType1EEvPKT_PKT0_S8_ifPKiSA_SA_iPKfiiiPfSD_PS3_PT2_iSC_SC_,comdat
.Lfunc_end920:
	.size	_Z39paged_attention_ll4mi_QKV_mfma16_kernelIDF16_hLN4vllm18Fp8KVCacheDataTypeE1EDF16_Li32ELi64ELi256ELb0ELi11EL8MFMAType1EEvPKT_PKT0_S8_ifPKiSA_SA_iPKfiiiPfSD_PS3_PT2_iSC_SC_, .Lfunc_end920-_Z39paged_attention_ll4mi_QKV_mfma16_kernelIDF16_hLN4vllm18Fp8KVCacheDataTypeE1EDF16_Li32ELi64ELi256ELb0ELi11EL8MFMAType1EEvPKT_PKT0_S8_ifPKiSA_SA_iPKfiiiPfSD_PS3_PT2_iSC_SC_
                                        ; -- End function
	.section	.AMDGPU.csdata,"",@progbits
; Kernel info:
; codeLenInByte = 6648
; NumSgprs: 39
; NumVgprs: 146
; ScratchSize: 0
; MemoryBound: 0
; FloatMode: 240
; IeeeMode: 1
; LDSByteSize: 17472 bytes/workgroup (compile time only)
; SGPRBlocks: 4
; VGPRBlocks: 18
; NumSGPRsForWavesPerEU: 39
; NumVGPRsForWavesPerEU: 146
; Occupancy: 9
; WaveLimiterHint : 1
; COMPUTE_PGM_RSRC2:SCRATCH_EN: 0
; COMPUTE_PGM_RSRC2:USER_SGPR: 13
; COMPUTE_PGM_RSRC2:TRAP_HANDLER: 0
; COMPUTE_PGM_RSRC2:TGID_X_EN: 1
; COMPUTE_PGM_RSRC2:TGID_Y_EN: 1
; COMPUTE_PGM_RSRC2:TGID_Z_EN: 1
; COMPUTE_PGM_RSRC2:TIDIG_COMP_CNT: 0
	.section	.text._Z39paged_attention_ll4mi_QKV_mfma16_kernelIDF16_hLN4vllm18Fp8KVCacheDataTypeE1EDF16_Li32ELi64ELi256ELb0ELi12EL8MFMAType1EEvPKT_PKT0_S8_ifPKiSA_SA_iPKfiiiPfSD_PS3_PT2_iSC_SC_,"axG",@progbits,_Z39paged_attention_ll4mi_QKV_mfma16_kernelIDF16_hLN4vllm18Fp8KVCacheDataTypeE1EDF16_Li32ELi64ELi256ELb0ELi12EL8MFMAType1EEvPKT_PKT0_S8_ifPKiSA_SA_iPKfiiiPfSD_PS3_PT2_iSC_SC_,comdat
	.protected	_Z39paged_attention_ll4mi_QKV_mfma16_kernelIDF16_hLN4vllm18Fp8KVCacheDataTypeE1EDF16_Li32ELi64ELi256ELb0ELi12EL8MFMAType1EEvPKT_PKT0_S8_ifPKiSA_SA_iPKfiiiPfSD_PS3_PT2_iSC_SC_ ; -- Begin function _Z39paged_attention_ll4mi_QKV_mfma16_kernelIDF16_hLN4vllm18Fp8KVCacheDataTypeE1EDF16_Li32ELi64ELi256ELb0ELi12EL8MFMAType1EEvPKT_PKT0_S8_ifPKiSA_SA_iPKfiiiPfSD_PS3_PT2_iSC_SC_
	.globl	_Z39paged_attention_ll4mi_QKV_mfma16_kernelIDF16_hLN4vllm18Fp8KVCacheDataTypeE1EDF16_Li32ELi64ELi256ELb0ELi12EL8MFMAType1EEvPKT_PKT0_S8_ifPKiSA_SA_iPKfiiiPfSD_PS3_PT2_iSC_SC_
	.p2align	8
	.type	_Z39paged_attention_ll4mi_QKV_mfma16_kernelIDF16_hLN4vllm18Fp8KVCacheDataTypeE1EDF16_Li32ELi64ELi256ELb0ELi12EL8MFMAType1EEvPKT_PKT0_S8_ifPKiSA_SA_iPKfiiiPfSD_PS3_PT2_iSC_SC_,@function
_Z39paged_attention_ll4mi_QKV_mfma16_kernelIDF16_hLN4vllm18Fp8KVCacheDataTypeE1EDF16_Li32ELi64ELi256ELb0ELi12EL8MFMAType1EEvPKT_PKT0_S8_ifPKiSA_SA_iPKfiiiPfSD_PS3_PT2_iSC_SC_: ; @_Z39paged_attention_ll4mi_QKV_mfma16_kernelIDF16_hLN4vllm18Fp8KVCacheDataTypeE1EDF16_Li32ELi64ELi256ELb0ELi12EL8MFMAType1EEvPKT_PKT0_S8_ifPKiSA_SA_iPKfiiiPfSD_PS3_PT2_iSC_SC_
; %bb.0:
	s_load_b64 s[2:3], s[0:1], 0x30
	s_mov_b32 s34, s13
	s_waitcnt lgkmcnt(0)
	s_cmp_lg_u64 s[2:3], 0
	s_cselect_b32 s6, -1, 0
	s_ashr_i32 s35, s13, 31
	s_cmp_eq_u64 s[2:3], 0
	s_cbranch_scc1 .LBB921_3
; %bb.1:
	s_lshl_b64 s[4:5], s[34:35], 2
	s_delay_alu instid0(SALU_CYCLE_1) | instskip(SKIP_4) | instid1(SALU_CYCLE_1)
	s_add_u32 s4, s2, s4
	s_addc_u32 s5, s3, s5
	s_load_b64 s[4:5], s[4:5], 0x0
	s_waitcnt lgkmcnt(0)
	s_sub_i32 s4, s5, s4
	s_cmp_eq_u32 s4, 1
	s_cselect_b32 s4, -1, 0
	s_delay_alu instid0(SALU_CYCLE_1)
	s_and_not1_b32 vcc_lo, exec_lo, s4
	s_cbranch_vccz .LBB921_4
.LBB921_2:
	s_endpgm
.LBB921_3:
.LBB921_4:
	s_load_b64 s[8:9], s[0:1], 0x28
	s_lshl_b64 s[4:5], s[34:35], 2
	s_waitcnt lgkmcnt(0)
	s_add_u32 s8, s8, s4
	s_addc_u32 s9, s9, s5
	s_lshl_b32 s16, s14, 8
	s_load_b32 s18, s[8:9], 0x0
	s_waitcnt lgkmcnt(0)
	s_cmp_ge_i32 s16, s18
	s_cbranch_scc1 .LBB921_2
; %bb.5:
	s_clause 0x1
	s_load_b128 s[8:11], s[0:1], 0x8
	s_load_b64 s[12:13], s[0:1], 0x20
	s_and_not1_b32 vcc_lo, exec_lo, s6
	s_cbranch_vccnz .LBB921_7
; %bb.6:
	s_add_u32 s2, s2, s4
	s_addc_u32 s3, s3, s5
	s_load_b32 s3, s[2:3], 0x0
	s_branch .LBB921_8
.LBB921_7:
	s_mov_b32 s3, s34
.LBB921_8:
	s_load_b128 s[4:7], s[0:1], 0x48
	v_and_b32_e32 v68, 15, v0
	v_cmp_gt_u32_e32 vcc_lo, 0xc0, v0
	v_lshrrev_b32_e32 v69, 5, v0
	v_and_b32_e32 v70, 31, v0
	v_and_b32_e32 v67, 1, v0
	v_lshlrev_b32_e32 v1, 3, v68
	v_cmp_gt_u32_e64 s2, 8, v68
	v_bfe_u32 v66, v0, 4, 1
	s_mul_i32 s31, s15, 12
	s_delay_alu instid0(VALU_DEP_3) | instskip(NEXT) | instid1(VALU_DEP_3)
	v_lshlrev_b32_e32 v65, 1, v1
	s_and_b32 s17, vcc_lo, s2
	s_waitcnt lgkmcnt(0)
	s_and_saveexec_b32 s7, s17
	s_cbranch_execz .LBB921_10
; %bb.9:
	s_load_b64 s[20:21], s[0:1], 0x0
	v_lshl_or_b32 v5, v69, 1, v66
	s_mul_hi_i32 s23, s3, s4
	s_mul_i32 s22, s3, s4
	v_lshlrev_b32_e32 v6, 10, v68
	s_lshl_b64 s[22:23], s[22:23], 1
	v_add_lshl_u32 v1, v5, s31, 6
	v_lshlrev_b32_e32 v5, 6, v5
	v_lshlrev_b32_e32 v7, 10, v67
	v_and_b32_e32 v6, 0x3800, v6
	s_delay_alu instid0(VALU_DEP_4) | instskip(NEXT) | instid1(VALU_DEP_2)
	v_ashrrev_i32_e32 v2, 31, v1
	v_or3_b32 v5, v6, v7, v5
	s_delay_alu instid0(VALU_DEP_2) | instskip(SKIP_3) | instid1(VALU_DEP_1)
	v_lshlrev_b64 v[1:2], 1, v[1:2]
	s_waitcnt lgkmcnt(0)
	s_add_u32 s3, s20, s22
	s_addc_u32 s4, s21, s23
	v_add_co_u32 v1, vcc_lo, s3, v1
	s_delay_alu instid0(VALU_DEP_2) | instskip(NEXT) | instid1(VALU_DEP_2)
	v_add_co_ci_u32_e32 v2, vcc_lo, s4, v2, vcc_lo
	v_add_co_u32 v1, vcc_lo, v1, v65
	s_delay_alu instid0(VALU_DEP_2)
	v_add_co_ci_u32_e32 v2, vcc_lo, 0, v2, vcc_lo
	global_load_b128 v[1:4], v[1:2], off
	s_waitcnt vmcnt(0)
	ds_store_b128 v5, v[1:4]
.LBB921_10:
	s_or_b32 exec_lo, exec_lo, s7
	v_and_b32_e32 v1, 0xef, v0
	s_add_i32 s3, s18, 31
	s_clause 0x1
	s_load_b32 s4, s[0:1], 0x38
	s_load_b32 s33, s[0:1], 0x98
	s_ashr_i32 s7, s3, 31
	v_add_nc_u32_e32 v1, s16, v1
	s_lshr_b32 s7, s7, 27
	s_load_b32 s19, s[0:1], 0x1c
	v_add_nc_u32_e32 v103, -12, v68
	s_add_i32 s3, s3, s7
	v_ashrrev_i32_e32 v2, 31, v1
	v_or_b32_e32 v3, 16, v1
	s_ashr_i32 s3, s3, 5
	v_cmp_gt_i32_e32 vcc_lo, s18, v1
	s_add_i32 s3, s3, -1
	v_lshrrev_b32_e32 v2, 27, v2
	s_waitcnt lgkmcnt(0)
	s_barrier
	buffer_gl0_inv
	s_mul_i32 s15, s15, s6
	v_add_nc_u32_e32 v4, v1, v2
	v_mbcnt_lo_u32_b32 v127, -1, 0
	s_mul_i32 s20, s34, s4
	s_delay_alu instid0(SALU_CYCLE_1) | instskip(NEXT) | instid1(VALU_DEP_2)
	s_ashr_i32 s21, s20, 31
	v_ashrrev_i32_e32 v4, 5, v4
	v_add_nc_u32_e32 v2, v3, v2
	s_lshl_b64 s[20:21], s[20:21], 2
	v_xor_b32_e32 v128, 16, v127
	s_add_u32 s17, s12, s20
	v_cndmask_b32_e32 v1, s3, v4, vcc_lo
	v_ashrrev_i32_e32 v2, 5, v2
	v_cmp_gt_i32_e32 vcc_lo, s18, v3
	s_addc_u32 s13, s13, s21
	s_ashr_i32 s20, s15, 31
	s_add_u32 s22, s8, s15
	s_addc_u32 s23, s9, s20
	v_cndmask_b32_e32 v3, s3, v2, vcc_lo
	v_ashrrev_i32_e32 v2, 31, v1
	s_lshl_b32 s6, s14, 3
	s_delay_alu instid0(SALU_CYCLE_1) | instskip(NEXT) | instid1(VALU_DEP_2)
	s_ashr_i32 s7, s6, 31
	v_ashrrev_i32_e32 v4, 31, v3
	s_delay_alu instid0(VALU_DEP_2) | instskip(SKIP_1) | instid1(SALU_CYCLE_1)
	v_lshlrev_b64 v[1:2], 2, v[1:2]
	s_lshl_b64 s[6:7], s[6:7], 2
	s_add_u32 s6, s17, s6
	s_delay_alu instid0(VALU_DEP_2) | instskip(SKIP_1) | instid1(VALU_DEP_2)
	v_lshlrev_b64 v[3:4], 2, v[3:4]
	s_addc_u32 s7, s13, s7
	v_add_co_u32 v1, vcc_lo, s17, v1
	v_add_co_ci_u32_e32 v2, vcc_lo, s13, v2, vcc_lo
	s_delay_alu instid0(VALU_DEP_3) | instskip(NEXT) | instid1(VALU_DEP_4)
	v_add_co_u32 v3, vcc_lo, s17, v3
	v_add_co_ci_u32_e32 v4, vcc_lo, s13, v4, vcc_lo
	s_clause 0x1
	global_load_b32 v5, v[1:2], off
	global_load_b32 v6, v[3:4], off
	s_or_b32 s4, s16, 32
	s_delay_alu instid0(SALU_CYCLE_1) | instskip(SKIP_2) | instid1(SALU_CYCLE_1)
	s_ashr_i32 s8, s4, 5
	s_cmp_lt_i32 s4, s18
	s_cselect_b32 s8, s8, s3
	s_ashr_i32 s9, s8, 31
	s_delay_alu instid0(SALU_CYCLE_1) | instskip(NEXT) | instid1(SALU_CYCLE_1)
	s_lshl_b64 s[8:9], s[8:9], 2
	s_add_u32 s8, s17, s8
	s_addc_u32 s9, s13, s9
	s_or_b32 s4, s16, 64
	s_delay_alu instid0(SALU_CYCLE_1) | instskip(SKIP_2) | instid1(SALU_CYCLE_1)
	s_ashr_i32 s12, s4, 5
	s_cmp_lt_i32 s4, s18
	s_cselect_b32 s24, s12, s3
	s_ashr_i32 s25, s24, 31
	s_delay_alu instid0(SALU_CYCLE_1) | instskip(NEXT) | instid1(SALU_CYCLE_1)
	s_lshl_b64 s[24:25], s[24:25], 2
	s_add_u32 s24, s17, s24
	s_addc_u32 s25, s13, s25
	;; [unrolled: 10-line block ×5, first 2 shown]
	s_clause 0x5
	s_load_b32 s12, s[6:7], 0x0
	s_load_b32 s4, s[8:9], 0x0
	;; [unrolled: 1-line block ×6, first 2 shown]
	s_or_b32 s21, s16, 0xc0
	s_waitcnt vmcnt(1)
	v_mad_i64_i32 v[1:2], null, v5, s5, s[22:23]
	v_lshlrev_b32_e32 v5, 4, v68
	s_waitcnt vmcnt(0)
	v_mad_i64_i32 v[3:4], null, v6, s5, s[22:23]
	s_ashr_i32 s22, s21, 5
	s_cmp_lt_i32 s21, s18
	s_delay_alu instid0(VALU_DEP_3) | instskip(NEXT) | instid1(VALU_DEP_4)
	v_add_co_u32 v1, vcc_lo, v1, v5
	v_add_co_ci_u32_e32 v2, vcc_lo, 0, v2, vcc_lo
	s_delay_alu instid0(VALU_DEP_3) | instskip(NEXT) | instid1(VALU_DEP_4)
	v_add_co_u32 v3, vcc_lo, v3, v5
	v_add_co_ci_u32_e32 v4, vcc_lo, 0, v4, vcc_lo
	s_clause 0x7
	global_load_b128 v[71:74], v[1:2], off
	global_load_b128 v[75:78], v[1:2], off offset:512
	global_load_b128 v[79:82], v[3:4], off offset:256
	;; [unrolled: 1-line block ×7, first 2 shown]
	s_cselect_b32 s22, s22, s3
	v_lshlrev_b32_e32 v1, 5, v68
	s_ashr_i32 s23, s22, 31
	v_cmp_gt_u32_e32 vcc_lo, 12, v68
	s_lshl_b64 s[22:23], s[22:23], 2
	s_delay_alu instid0(SALU_CYCLE_1)
	s_add_u32 s22, s17, s22
	s_addc_u32 s23, s13, s23
	s_or_b32 s21, s16, 0xe0
	v_lshl_or_b32 v1, v69, 9, v1
	s_ashr_i32 s24, s21, 5
	s_cmp_lt_i32 s21, s18
	v_cndmask_b32_e32 v103, v103, v68, vcc_lo
	s_cselect_b32 s24, s24, s3
	s_load_b32 s3, s[22:23], 0x0
	s_ashr_i32 s25, s24, 31
	v_cmp_gt_i32_e32 vcc_lo, 32, v128
	s_lshl_b64 s[24:25], s[24:25], 2
	v_lshlrev_b32_e32 v115, 6, v103
	s_add_u32 s22, s17, s24
	s_addc_u32 s23, s13, s25
	v_cndmask_b32_e32 v136, v127, v128, vcc_lo
	s_add_u32 s10, s10, s15
	s_addc_u32 s11, s11, s20
	v_add_co_u32 v1, s10, s10, v1
	s_delay_alu instid0(VALU_DEP_1) | instskip(SKIP_2) | instid1(VALU_DEP_1)
	v_add_co_ci_u32_e64 v2, null, s11, 0, s10
	s_load_b32 s10, s[22:23], 0x0
	s_waitcnt lgkmcnt(0)
	v_mad_i64_i32 v[3:4], null, s12, s5, v[1:2]
	v_mad_i64_i32 v[9:10], null, s7, s5, v[1:2]
	;; [unrolled: 1-line block ×7, first 2 shown]
	s_clause 0x5
	global_load_b128 v[49:52], v[3:4], off
	global_load_b128 v[53:56], v[3:4], off offset:16
	global_load_b128 v[41:44], v[5:6], off
	global_load_b128 v[45:48], v[5:6], off offset:16
	;; [unrolled: 2-line block ×3, first 2 shown]
	s_mov_b32 s4, 0
	v_mad_i64_i32 v[61:62], null, s10, s5, v[1:2]
	s_clause 0x9
	global_load_b128 v[1:4], v[9:10], off
	global_load_b128 v[5:8], v[9:10], off offset:16
	global_load_b128 v[9:12], v[13:14], off
	global_load_b128 v[13:16], v[13:14], off offset:16
	;; [unrolled: 2-line block ×5, first 2 shown]
	s_mov_b32 s5, s4
	s_mov_b32 s6, s4
	s_mov_b32 s7, s4
	s_mov_b32 s8, s4
	s_mov_b32 s9, s4
	s_mov_b32 s10, s4
	s_mov_b32 s11, s4
	v_and_b32_e32 v104, 0xe0, v0
	v_dual_mov_b32 v126, s11 :: v_dual_mov_b32 v125, s10
	v_dual_mov_b32 v124, s9 :: v_dual_mov_b32 v123, s8
	s_delay_alu instid0(VALU_DEP_3)
	v_add_nc_u32_e32 v111, s16, v104
	ds_load_b128 v[103:106], v115
	ds_load_b128 v[107:110], v115 offset:1024
	v_dual_mov_b32 v122, s7 :: v_dual_mov_b32 v121, s6
	v_mov_b32_e32 v120, s5
	v_or_b32_e32 v135, v111, v66
	ds_load_b128 v[111:114], v115 offset:2048
	ds_load_b128 v[115:118], v115 offset:3072
	v_mov_b32_e32 v119, s4
	s_waitcnt vmcnt(0) lgkmcnt(0)
	s_barrier
	v_or_b32_e32 v137, 2, v135
	v_or_b32_e32 v138, 4, v135
	v_or_b32_e32 v139, 6, v135
	v_cmp_gt_i32_e32 vcc_lo, s18, v135
	v_or_b32_e32 v140, 8, v135
	v_cmp_gt_i32_e64 s3, s18, v137
	v_or_b32_e32 v141, 10, v135
	v_cmp_gt_i32_e64 s4, s18, v138
	v_cmp_gt_i32_e64 s5, s18, v139
	v_or_b32_e32 v142, 12, v135
	v_or_b32_e32 v143, 14, v135
	v_cmp_gt_i32_e64 s6, s18, v140
	v_cmp_gt_i32_e64 s7, s18, v141
	v_or_b32_e32 v144, 16, v135
	v_or_b32_e32 v145, 18, v135
	v_cmp_gt_i32_e64 s8, s18, v142
	v_cmp_gt_i32_e64 s9, s18, v143
	buffer_gl0_inv
	v_cmp_gt_i32_e64 s10, s18, v144
	v_cmp_gt_i32_e64 s11, s18, v145
	v_wmma_f32_16x16x16_f16 v[127:134], v[71:78], v[103:110], v[119:126]
	v_wmma_f32_16x16x16_f16 v[119:126], v[79:86], v[103:110], v[119:126]
	v_or_b32_e32 v71, 20, v135
	v_or_b32_e32 v72, 22, v135
	s_delay_alu instid0(VALU_DEP_4)
	v_wmma_f32_16x16x16_f16 v[127:134], v[87:94], v[111:118], v[127:134]
	v_or_b32_e32 v73, 24, v135
	v_wmma_f32_16x16x16_f16 v[119:126], v[95:102], v[111:118], v[119:126]
	v_or_b32_e32 v74, 26, v135
	v_cmp_gt_i32_e64 s12, s18, v71
	v_dual_mul_f32 v83, s19, v128 :: v_dual_mul_f32 v84, s19, v127
	s_delay_alu instid0(VALU_DEP_4) | instskip(SKIP_1) | instid1(VALU_DEP_3)
	v_dual_mul_f32 v81, s19, v130 :: v_dual_mul_f32 v92, s19, v119
	v_mul_f32_e32 v82, s19, v129
	v_cndmask_b32_e64 v83, 0xff7fffff, v83, s3
	s_delay_alu instid0(VALU_DEP_4)
	v_cndmask_b32_e32 v84, 0xff7fffff, v84, vcc_lo
	v_dual_mul_f32 v79, s19, v132 :: v_dual_mul_f32 v90, s19, v121
	v_mul_f32_e32 v80, s19, v131
	v_cndmask_b32_e64 v82, 0xff7fffff, v82, s4
	v_cndmask_b32_e64 v81, 0xff7fffff, v81, s5
	v_max3_f32 v83, v84, 0xff7fffff, v83
	v_dual_mul_f32 v77, s19, v134 :: v_dual_mul_f32 v88, s19, v123
	v_mul_f32_e32 v78, s19, v133
	v_cndmask_b32_e64 v80, 0xff7fffff, v80, s6
	v_cndmask_b32_e64 v79, 0xff7fffff, v79, s7
	v_max3_f32 v81, v83, v82, v81
	v_mul_f32_e32 v91, s19, v120
	v_cndmask_b32_e64 v78, 0xff7fffff, v78, s8
	v_cndmask_b32_e64 v77, 0xff7fffff, v77, s9
	v_mul_f32_e32 v89, s19, v122
	v_max3_f32 v79, v81, v80, v79
	v_cndmask_b32_e64 v80, 0xff7fffff, v92, s10
	v_cndmask_b32_e64 v81, 0xff7fffff, v91, s11
	v_cmp_gt_i32_e64 s13, s18, v72
	v_or_b32_e32 v75, 28, v135
	v_max3_f32 v77, v79, v78, v77
	v_or_b32_e32 v76, 30, v135
	v_mul_f32_e32 v87, s19, v124
	v_cndmask_b32_e64 v71, 0xff7fffff, v90, s12
	v_cndmask_b32_e64 v72, 0xff7fffff, v89, s13
	v_max3_f32 v77, v77, v80, v81
	v_cmp_gt_i32_e64 s15, s18, v73
	v_cmp_gt_i32_e64 s16, s18, v74
	v_dual_mul_f32 v85, s19, v126 :: v_dual_mul_f32 v86, s19, v125
	s_delay_alu instid0(VALU_DEP_4) | instskip(NEXT) | instid1(VALU_DEP_4)
	v_max3_f32 v71, v77, v71, v72
	v_cndmask_b32_e64 v73, 0xff7fffff, v88, s15
	s_delay_alu instid0(VALU_DEP_4) | instskip(SKIP_2) | instid1(VALU_DEP_3)
	v_cndmask_b32_e64 v74, 0xff7fffff, v87, s16
	v_cmp_gt_i32_e64 s17, s18, v75
	v_cmp_gt_i32_e64 s18, s18, v76
	v_max3_f32 v71, v71, v73, v74
	s_delay_alu instid0(VALU_DEP_3) | instskip(NEXT) | instid1(VALU_DEP_3)
	v_cndmask_b32_e64 v72, 0xff7fffff, v86, s17
	v_cndmask_b32_e64 v75, 0xff7fffff, v85, s18
	v_lshlrev_b32_e32 v73, 2, v136
	s_delay_alu instid0(VALU_DEP_2) | instskip(SKIP_3) | instid1(VALU_DEP_1)
	v_max3_f32 v71, v71, v72, v75
	ds_bpermute_b32 v72, v73, v71
	s_waitcnt lgkmcnt(0)
	v_max_f32_e32 v72, v72, v72
	v_max_f32_e32 v71, v71, v72
	s_delay_alu instid0(VALU_DEP_1)
	v_fma_f32 v72, s19, v127, -v71
	v_fma_f32 v74, s19, v128, -v71
	;; [unrolled: 1-line block ×5, first 2 shown]
	v_mul_f32_e32 v72, 0x3fb8aa3b, v72
	v_mul_f32_e32 v74, 0x3fb8aa3b, v74
	v_fma_f32 v80, s19, v133, -v71
	s_delay_alu instid0(VALU_DEP_4) | instskip(NEXT) | instid1(VALU_DEP_4)
	v_dual_mul_f32 v76, 0x3fb8aa3b, v76 :: v_dual_mul_f32 v77, 0x3fb8aa3b, v77
	v_exp_f32_e32 v72, v72
	s_delay_alu instid0(VALU_DEP_3) | instskip(NEXT) | instid1(VALU_DEP_2)
	v_exp_f32_e32 v74, v74
	v_mul_f32_e32 v82, 0x3fb8aa3b, v80
	s_delay_alu instid0(VALU_DEP_2) | instskip(SKIP_1) | instid1(VALU_DEP_1)
	v_exp_f32_e32 v76, v76
	v_exp_f32_e32 v77, v77
	;; [unrolled: 1-line block ×3, first 2 shown]
	v_cndmask_b32_e32 v79, 0, v72, vcc_lo
	v_fma_f32 v72, s19, v132, -v71
	v_mul_f32_e32 v75, 0x3fb8aa3b, v75
	v_cndmask_b32_e64 v78, 0, v74, s3
	s_delay_alu instid0(TRANS32_DEP_3)
	v_cndmask_b32_e64 v80, 0, v76, s5
	v_add_f32_e32 v74, 0, v79
	v_mul_f32_e32 v72, 0x3fb8aa3b, v72
	v_exp_f32_e32 v75, v75
	v_cndmask_b32_e64 v83, 0, v77, s6
	v_cndmask_b32_e64 v85, 0, v84, s8
	v_add_f32_e32 v74, v74, v78
	v_exp_f32_e32 v72, v72
	s_mov_b32 s3, exec_lo
	s_waitcnt_depctr 0xfff
	v_cndmask_b32_e64 v81, 0, v75, s4
	v_cndmask_b32_e64 v82, 0, v72, s7
	s_delay_alu instid0(VALU_DEP_2) | instskip(NEXT) | instid1(VALU_DEP_1)
	v_add_f32_e32 v74, v74, v81
	v_add_f32_e32 v74, v74, v80
	s_delay_alu instid0(VALU_DEP_1) | instskip(SKIP_4) | instid1(VALU_DEP_4)
	v_add_f32_e32 v72, v74, v83
	v_fma_f32 v75, s19, v134, -v71
	v_fma_f32 v76, s19, v119, -v71
	;; [unrolled: 1-line block ×4, first 2 shown]
	v_dual_add_f32 v72, v72, v82 :: v_dual_mul_f32 v75, 0x3fb8aa3b, v75
	s_delay_alu instid0(VALU_DEP_3) | instskip(SKIP_1) | instid1(VALU_DEP_3)
	v_dual_mul_f32 v76, 0x3fb8aa3b, v76 :: v_dual_mul_f32 v77, 0x3fb8aa3b, v77
	v_fma_f32 v86, s19, v122, -v71
	v_add_f32_e32 v72, v72, v85
	s_delay_alu instid0(VALU_DEP_4) | instskip(NEXT) | instid1(VALU_DEP_3)
	v_exp_f32_e32 v75, v75
	v_exp_f32_e32 v76, v76
	;; [unrolled: 1-line block ×3, first 2 shown]
	v_mul_f32_e32 v86, 0x3fb8aa3b, v86
	s_delay_alu instid0(VALU_DEP_1) | instskip(SKIP_3) | instid1(TRANS32_DEP_3)
	v_exp_f32_e32 v88, v86
	v_cndmask_b32_e64 v84, 0, v75, s9
	v_fma_f32 v75, s19, v123, -v71
	v_mul_f32_e32 v74, 0x3fb8aa3b, v74
	v_cndmask_b32_e64 v87, 0, v76, s10
	v_fma_f32 v76, s19, v124, -v71
	s_delay_alu instid0(VALU_DEP_4) | instskip(NEXT) | instid1(VALU_DEP_4)
	v_dual_add_f32 v72, v72, v84 :: v_dual_mul_f32 v75, 0x3fb8aa3b, v75
	v_exp_f32_e32 v74, v74
	v_cndmask_b32_e64 v86, 0, v77, s11
	v_fma_f32 v77, s19, v125, -v71
	s_delay_alu instid0(VALU_DEP_3) | instskip(SKIP_3) | instid1(VALU_DEP_3)
	v_add_f32_e32 v72, v72, v87
	v_mul_f32_e32 v76, 0x3fb8aa3b, v76
	v_exp_f32_e32 v75, v75
	v_cndmask_b32_e64 v88, 0, v88, s13
	v_add_f32_e32 v72, v72, v86
	s_delay_alu instid0(VALU_DEP_3) | instskip(NEXT) | instid1(TRANS32_DEP_3)
	v_exp_f32_e32 v76, v76
	v_cndmask_b32_e64 v89, 0, v74, s12
	v_mul_f32_e32 v74, 0x3fb8aa3b, v77
	v_fma_f32 v77, s19, v126, -v71
	s_delay_alu instid0(VALU_DEP_3) | instskip(NEXT) | instid1(VALU_DEP_3)
	v_add_f32_e32 v72, v72, v89
	v_exp_f32_e32 v74, v74
	s_delay_alu instid0(TRANS32_DEP_3) | instskip(NEXT) | instid1(VALU_DEP_3)
	v_cndmask_b32_e64 v91, 0, v75, s15
	v_mul_f32_e32 v75, 0x3fb8aa3b, v77
	s_delay_alu instid0(TRANS32_DEP_2) | instskip(SKIP_1) | instid1(VALU_DEP_3)
	v_cndmask_b32_e64 v90, 0, v76, s16
	v_add_f32_e32 v72, v72, v88
	v_exp_f32_e32 v75, v75
	s_delay_alu instid0(VALU_DEP_1) | instskip(NEXT) | instid1(TRANS32_DEP_2)
	v_add_f32_e32 v72, v72, v91
	v_cndmask_b32_e64 v93, 0, v74, s17
	s_delay_alu instid0(VALU_DEP_2) | instskip(SKIP_3) | instid1(VALU_DEP_1)
	v_add_f32_e32 v72, v72, v90
	s_waitcnt_depctr 0xfff
	v_cndmask_b32_e64 v92, 0, v75, s18
	v_add_f32_e32 v72, v72, v93
	v_add_f32_e32 v72, v72, v92
	ds_bpermute_b32 v73, v73, v72
	v_cmpx_gt_u32_e32 16, v70
	s_cbranch_execz .LBB921_12
; %bb.11:
	v_mul_u32_u24_e32 v70, 0x44, v69
	s_waitcnt lgkmcnt(0)
	v_add_f32_e32 v72, v72, v73
	s_delay_alu instid0(VALU_DEP_2) | instskip(NEXT) | instid1(VALU_DEP_1)
	v_lshl_add_u32 v70, v68, 2, v70
	v_add_nc_u32_e32 v70, 0x4000, v70
	ds_store_2addr_b32 v70, v71, v72 offset1:136
.LBB921_12:
	s_or_b32 exec_lo, exec_lo, s3
	v_lshlrev_b32_e32 v70, 2, v68
	s_load_b32 s35, s[0:1], 0x94
	s_waitcnt lgkmcnt(0)
	s_barrier
	buffer_gl0_inv
	v_add_nc_u32_e32 v98, 0x4000, v70
	v_cmp_eq_u32_e32 vcc_lo, 1, v69
	v_cmp_eq_u32_e64 s3, 2, v69
	v_cmp_eq_u32_e64 s4, 3, v69
	;; [unrolled: 1-line block ×3, first 2 shown]
	ds_load_2addr_b32 v[70:71], v98 offset1:17
	ds_load_2addr_b32 v[72:73], v98 offset0:34 offset1:51
	ds_load_2addr_b32 v[74:75], v98 offset0:68 offset1:85
	;; [unrolled: 1-line block ×3, first 2 shown]
	v_cmp_eq_u32_e64 s6, 5, v69
	v_cmp_eq_u32_e64 s7, 7, v69
	s_waitcnt lgkmcnt(3)
	v_max3_f32 v76, v70, 0xff7fffff, v71
	s_waitcnt lgkmcnt(2)
	s_delay_alu instid0(VALU_DEP_1) | instskip(SKIP_1) | instid1(VALU_DEP_1)
	v_max3_f32 v76, v76, v72, v73
	s_waitcnt lgkmcnt(1)
	v_max3_f32 v76, v76, v74, v75
	s_waitcnt lgkmcnt(0)
	s_delay_alu instid0(VALU_DEP_1) | instskip(NEXT) | instid1(VALU_DEP_1)
	v_max3_f32 v76, v76, v94, v95
	v_sub_f32_e32 v77, v71, v76
	ds_load_2addr_b32 v[96:97], v98 offset0:136 offset1:153
	v_sub_f32_e32 v74, v74, v76
	v_sub_f32_e32 v70, v70, v76
	;; [unrolled: 1-line block ×3, first 2 shown]
	v_dual_sub_f32 v72, v72, v76 :: v_dual_mul_f32 v77, 0x3fb8aa3b, v77
	s_delay_alu instid0(VALU_DEP_4) | instskip(NEXT) | instid1(VALU_DEP_4)
	v_mul_f32_e32 v103, 0x3fb8aa3b, v74
	v_mul_f32_e32 v99, 0x3fb8aa3b, v70
	ds_load_2addr_b32 v[70:71], v98 offset0:170 offset1:187
	v_dual_mul_f32 v101, 0x3fb8aa3b, v72 :: v_dual_mul_f32 v94, 0x3fb8aa3b, v94
	v_exp_f32_e32 v102, v77
	v_exp_f32_e32 v99, v99
	s_delay_alu instid0(VALU_DEP_1) | instskip(NEXT) | instid1(VALU_DEP_1)
	v_exp_f32_e32 v101, v101
	v_exp_f32_e32 v94, v94
	s_waitcnt lgkmcnt(1)
	s_delay_alu instid0(TRANS32_DEP_3)
	v_fma_f32 v77, v99, v96, 0
	v_sub_f32_e32 v100, v73, v76
	ds_load_2addr_b32 v[72:73], v98 offset0:204 offset1:221
	v_fmac_f32_e32 v77, v102, v97
	v_exp_f32_e32 v97, v103
	s_waitcnt lgkmcnt(1)
	s_delay_alu instid0(VALU_DEP_1)
	v_dual_fmac_f32 v77, v101, v70 :: v_dual_sub_f32 v96, v75, v76
	ds_load_2addr_b32 v[74:75], v98 offset0:238 offset1:255
	v_sub_f32_e32 v70, v95, v76
	s_waitcnt lgkmcnt(0)
	s_barrier
	v_mul_f32_e32 v96, 0x3fb8aa3b, v96
	buffer_gl0_inv
	v_exp_f32_e32 v95, v96
	v_mul_f32_e32 v100, 0x3fb8aa3b, v100
	s_delay_alu instid0(VALU_DEP_1) | instskip(SKIP_3) | instid1(VALU_DEP_2)
	v_exp_f32_e32 v100, v100
	s_waitcnt_depctr 0xfff
	v_dual_fmac_f32 v77, v100, v71 :: v_dual_mul_f32 v70, 0x3fb8aa3b, v70
	v_cndmask_b32_e32 v71, v99, v102, vcc_lo
	v_fmac_f32_e32 v77, v97, v72
	s_delay_alu instid0(VALU_DEP_3) | instskip(NEXT) | instid1(VALU_DEP_1)
	v_exp_f32_e32 v96, v70
	v_fmac_f32_e32 v77, v95, v73
	s_delay_alu instid0(VALU_DEP_1) | instskip(SKIP_2) | instid1(VALU_DEP_1)
	v_fmac_f32_e32 v77, v94, v74
	s_waitcnt_depctr 0xfff
	v_fmac_f32_e32 v77, v96, v75
	v_add_f32_e32 v74, 0x358637bd, v77
	s_delay_alu instid0(VALU_DEP_1) | instskip(SKIP_1) | instid1(VALU_DEP_2)
	v_div_scale_f32 v98, null, v74, v74, 1.0
	v_div_scale_f32 v99, vcc_lo, 1.0, v74, 1.0
	v_rcp_f32_e32 v103, v98
	s_waitcnt_depctr 0xfff
	v_fma_f32 v70, -v98, v103, 1.0
	s_delay_alu instid0(VALU_DEP_1) | instskip(SKIP_2) | instid1(VALU_DEP_2)
	v_fmac_f32_e32 v103, v70, v103
	v_cndmask_b32_e64 v70, v71, v101, s3
	v_cmp_eq_u32_e64 s3, 6, v69
	v_cndmask_b32_e64 v71, v70, v100, s4
	s_delay_alu instid0(VALU_DEP_4) | instskip(NEXT) | instid1(VALU_DEP_2)
	v_dual_mul_f32 v101, v99, v103 :: v_dual_lshlrev_b32 v70, 2, v66
	v_cndmask_b32_e64 v71, v71, v97, s5
	s_delay_alu instid0(VALU_DEP_2) | instskip(NEXT) | instid1(VALU_DEP_3)
	v_or_b32_e32 v72, 1, v70
	v_fma_f32 v100, -v98, v101, v99
	v_cmp_eq_u32_e64 s4, 1, v70
	v_cmp_eq_u32_e64 s5, 2, v70
	v_cndmask_b32_e64 v95, v71, v95, s6
	v_or_b32_e32 v71, 3, v70
	v_fmac_f32_e32 v101, v100, v103
	v_cmp_eq_u32_e64 s9, 1, v72
	v_cmp_eq_u32_e64 s12, 2, v72
	v_cndmask_b32_e64 v94, v95, v94, s3
	v_cmp_eq_u32_e64 s11, 1, v71
	v_fma_f32 v97, -v98, v101, v99
	v_cmp_eq_u32_e64 s16, 2, v71
	v_cmp_eq_u32_e64 s13, 3, v72
	v_cndmask_b32_e64 v94, v94, v96, s7
	v_cmp_eq_u32_e64 s18, 3, v71
	v_div_fmas_f32 v95, v97, v103, v101
	v_cmp_eq_u32_e32 vcc_lo, 3, v70
	v_cmp_eq_u32_e64 s3, 4, v70
	v_cmp_eq_u32_e64 s19, 4, v72
	;; [unrolled: 1-line block ×3, first 2 shown]
	v_div_fixup_f32 v95, v95, v74, 1.0
	v_lshlrev_b32_e32 v73, 6, v68
	v_cmp_eq_u32_e64 s6, 5, v70
	v_cmp_eq_u32_e64 s20, 5, v72
	;; [unrolled: 1-line block ×3, first 2 shown]
	v_mul_f32_e32 v102, v94, v95
	v_lshl_or_b32 v75, v69, 11, v73
	v_or_b32_e32 v69, 2, v70
	v_cmp_eq_u32_e64 s25, 6, v72
	v_cmp_eq_u32_e64 s27, 6, v71
	v_fma_mixlo_f16 v94, v102, v79, 0
	v_fma_mixlo_f16 v95, v102, v81, 0
	;; [unrolled: 1-line block ×8, first 2 shown]
	v_lshl_or_b32 v74, v66, 4, v75
	v_fma_mixhi_f16 v94, v102, v78, 0
	v_fma_mixhi_f16 v95, v102, v80, 0
	;; [unrolled: 1-line block ×8, first 2 shown]
	ds_store_b128 v74, v[94:97]
	ds_store_b128 v74, v[98:101] offset:1024
	s_waitcnt lgkmcnt(0)
	s_barrier
	buffer_gl0_inv
	ds_load_b128 v[78:81], v75
	ds_load_b128 v[82:85], v75 offset:16
	ds_load_b128 v[86:89], v75 offset:1024
	;; [unrolled: 1-line block ×3, first 2 shown]
	v_cmp_eq_u32_e64 s10, 1, v69
	v_cmp_eq_u32_e64 s15, 2, v69
	;; [unrolled: 1-line block ×11, first 2 shown]
	s_waitcnt lgkmcnt(3)
	v_lshrrev_b32_e32 v94, 16, v78
	s_waitcnt lgkmcnt(2)
	v_lshrrev_b32_e32 v98, 16, v82
	;; [unrolled: 2-line block ×4, first 2 shown]
	v_lshrrev_b32_e32 v95, 16, v79
	v_cndmask_b32_e64 v110, v78, v94, s4
	v_cndmask_b32_e64 v111, v82, v98, s4
	;; [unrolled: 1-line block ×8, first 2 shown]
	v_lshrrev_b32_e32 v99, 16, v83
	v_cndmask_b32_e64 v94, v86, v102, s4
	v_cndmask_b32_e64 v98, v90, v106, s4
	;; [unrolled: 1-line block ×15, first 2 shown]
	v_lshrrev_b32_e32 v103, 16, v87
	v_lshrrev_b32_e32 v107, 16, v91
	v_cndmask_b32_e64 v113, v115, v83, s15
	v_cndmask_b32_e64 v82, v94, v87, s5
	;; [unrolled: 1-line block ×7, first 2 shown]
	v_cndmask_b32_e32 v90, v102, v95, vcc_lo
	v_cndmask_b32_e32 v102, v106, v99, vcc_lo
	v_cndmask_b32_e64 v106, v110, v95, s13
	v_cndmask_b32_e64 v110, v111, v99, s13
	;; [unrolled: 1-line block ×4, first 2 shown]
	v_lshrrev_b32_e32 v96, 16, v80
	v_lshrrev_b32_e32 v100, 16, v84
	v_cndmask_b32_e64 v111, v112, v95, s17
	v_cndmask_b32_e64 v112, v113, v99, s17
	v_cndmask_b32_e32 v82, v82, v103, vcc_lo
	v_cndmask_b32_e32 v83, v83, v107, vcc_lo
	v_cndmask_b32_e64 v94, v94, v103, s13
	v_cndmask_b32_e64 v90, v90, v80, s3
	;; [unrolled: 1-line block ×7, first 2 shown]
	v_lshrrev_b32_e32 v104, 16, v88
	v_cndmask_b32_e64 v106, v111, v80, s21
	v_cndmask_b32_e64 v110, v112, v84, s21
	v_cndmask_b32_e64 v80, v82, v88, s3
	v_cndmask_b32_e64 v82, v83, v92, s3
	v_cndmask_b32_e64 v83, v94, v88, s19
	v_cndmask_b32_e64 v84, v90, v96, s6
	v_cndmask_b32_e64 v90, v95, v100, s6
	v_cndmask_b32_e64 v94, v99, v96, s20
	v_cndmask_b32_e64 v95, v102, v100, s20
	v_cndmask_b32_e64 v78, v78, v96, s24
	v_cndmask_b32_e64 v79, v79, v100, s24
	v_lshrrev_b32_e32 v97, 16, v81
	v_lshrrev_b32_e32 v101, 16, v85
	v_cndmask_b32_e64 v99, v106, v96, s23
	v_cndmask_b32_e64 v102, v110, v100, s23
	;; [unrolled: 1-line block ×7, first 2 shown]
	v_lshrrev_b32_e32 v105, 16, v89
	v_cndmask_b32_e64 v80, v80, v104, s6
	v_cndmask_b32_e64 v84, v84, v81, s7
	v_cndmask_b32_e64 v90, v90, v85, s7
	v_cndmask_b32_e64 v96, v99, v81, s26
	v_cndmask_b32_e64 v99, v102, v85, s26
	v_cndmask_b32_e64 v81, v83, v89, s25
	v_cndmask_b32_e64 v85, v94, v97, s30
	v_cndmask_b32_e64 v78, v78, v97, s29
	v_cndmask_b32_e64 v79, v79, v101, s29
	v_cndmask_b32_e64 v95, v95, v101, s30
	v_cndmask_b32_e64 v80, v80, v89, s7
	v_cndmask_b32_e64 v83, v84, v97, s8
	v_cndmask_b32_e64 v84, v90, v101, s8
	v_cndmask_b32_e64 v90, v96, v97, s28
	v_cndmask_b32_e64 v94, v99, v101, s28
	v_cndmask_b32_e64 v97, v81, v105, s30
	v_perm_b32 v81, v79, v78, 0x5040100
	v_perm_b32 v79, v95, v85, 0x5040100
	v_cndmask_b32_e64 v78, v119, v91, s15
	v_cndmask_b32_e64 v85, v117, v91, s12
	;; [unrolled: 1-line block ×3, first 2 shown]
	v_perm_b32 v80, v94, v90, 0x5040100
	v_cndmask_b32_e64 v90, v98, v103, s17
	v_cndmask_b32_e64 v86, v86, v103, s18
	;; [unrolled: 1-line block ×5, first 2 shown]
	v_lshrrev_b32_e32 v108, 16, v92
	v_cndmask_b32_e64 v90, v90, v88, s21
	v_cndmask_b32_e64 v86, v86, v88, s22
	;; [unrolled: 1-line block ×11, first 2 shown]
	v_lshrrev_b32_e32 v109, 16, v93
	v_cndmask_b32_e64 v82, v82, v93, s7
	v_cndmask_b32_e64 v88, v88, v89, s26
	;; [unrolled: 1-line block ×12, first 2 shown]
	v_perm_b32 v78, v84, v83, 0x5040100
	v_perm_b32 v85, v87, v86, 0x5040100
	;; [unrolled: 1-line block ×5, first 2 shown]
	s_mul_i32 s8, s33, 12
	s_mov_b32 s3, exec_lo
	ds_store_b128 v74, v[78:81]
	ds_store_b128 v74, v[82:85] offset:1024
	v_cmpx_gt_u32_e32 12, v0
	s_cbranch_execz .LBB921_14
; %bb.13:
	s_mul_i32 s4, s8, s34
	s_delay_alu instid0(SALU_CYCLE_1) | instskip(SKIP_1) | instid1(VALU_DEP_1)
	v_add3_u32 v68, s4, s31, v68
	s_load_b128 s[4:7], s[0:1], 0x58
	v_mad_u64_u32 v[78:79], null, v68, s35, s[14:15]
	s_delay_alu instid0(VALU_DEP_1) | instskip(NEXT) | instid1(VALU_DEP_1)
	v_ashrrev_i32_e32 v79, 31, v78
	v_lshlrev_b64 v[78:79], 2, v[78:79]
	s_waitcnt lgkmcnt(0)
	s_delay_alu instid0(VALU_DEP_1) | instskip(NEXT) | instid1(VALU_DEP_2)
	v_add_co_u32 v80, vcc_lo, s6, v78
	v_add_co_ci_u32_e32 v81, vcc_lo, s7, v79, vcc_lo
	v_add_co_u32 v78, vcc_lo, s4, v78
	v_add_co_ci_u32_e32 v79, vcc_lo, s5, v79, vcc_lo
	global_store_b32 v[80:81], v76, off
	global_store_b32 v[78:79], v77, off
.LBB921_14:
	s_or_b32 exec_lo, exec_lo, s3
	s_waitcnt lgkmcnt(0)
	s_waitcnt_vscnt null, 0x0
	s_barrier
	buffer_gl0_inv
	ds_load_b128 v[84:87], v73
	ds_load_b128 v[88:91], v73 offset:16
	ds_load_b128 v[96:99], v73 offset:2064
	;; [unrolled: 1-line block ×5, first 2 shown]
	v_cmp_eq_u32_e32 vcc_lo, 1, v70
	v_mov_b32_e32 v76, 0
	ds_load_b128 v[112:115], v73 offset:6160
	ds_load_b128 v[108:111], v73 offset:6144
	;; [unrolled: 1-line block ×4, first 2 shown]
	v_cmp_eq_u32_e64 s4, 1, v69
	v_cmp_eq_u32_e64 s3, 1, v72
	v_cmp_eq_u32_e64 s5, 2, v72
	v_mov_b32_e32 v77, v76
	v_mov_b32_e32 v78, v76
	;; [unrolled: 1-line block ×7, first 2 shown]
	v_cmp_eq_u32_e64 s6, 3, v72
	v_cmp_eq_u32_e64 s7, 7, v72
	s_waitcnt lgkmcnt(8)
	s_delay_alu instid0(VALU_DEP_3)
	v_wmma_f32_16x16x16_f16 v[76:83], v[49:56], v[84:91], v[76:83]
	ds_load_b128 v[53:56], v73 offset:10256
	ds_load_b128 v[49:52], v73 offset:10240
	s_waitcnt lgkmcnt(8)
	v_wmma_f32_16x16x16_f16 v[76:83], v[41:48], v[92:99], v[76:83]
	ds_load_b128 v[45:48], v73 offset:12304
	ds_load_b128 v[41:44], v73 offset:12288
	s_waitcnt lgkmcnt(8)
	;; [unrolled: 4-line block ×3, first 2 shown]
	s_barrier
	buffer_gl0_inv
	v_wmma_f32_16x16x16_f16 v[76:83], v[1:8], v[108:115], v[76:83]
	s_delay_alu instid0(VALU_DEP_1) | instskip(NEXT) | instid1(VALU_DEP_1)
	v_wmma_f32_16x16x16_f16 v[76:83], v[9:16], v[116:123], v[76:83]
	v_wmma_f32_16x16x16_f16 v[76:83], v[17:24], v[49:56], v[76:83]
	s_delay_alu instid0(VALU_DEP_1) | instskip(NEXT) | instid1(VALU_DEP_1)
	v_wmma_f32_16x16x16_f16 v[76:83], v[25:32], v[41:48], v[76:83]
	v_wmma_f32_16x16x16_f16 v[76:83], v[57:64], v[33:40], v[76:83]
	s_delay_alu instid0(VALU_DEP_1) | instskip(NEXT) | instid1(VALU_DEP_2)
	v_cvt_f16_f32_e32 v1, v76
	v_cvt_f16_f32_e32 v2, v77
	s_delay_alu instid0(VALU_DEP_3) | instskip(NEXT) | instid1(VALU_DEP_4)
	v_cvt_f16_f32_e32 v3, v78
	v_cvt_f16_f32_e32 v4, v79
	v_cvt_f16_f32_e32 v5, v80
	v_cvt_f16_f32_e32 v6, v81
	v_cvt_f16_f32_e32 v7, v82
	v_cvt_f16_f32_e32 v8, v83
	v_pack_b32_f16 v1, v1, v2
	v_pack_b32_f16 v2, v3, v4
	;; [unrolled: 1-line block ×3, first 2 shown]
	s_delay_alu instid0(VALU_DEP_4)
	v_pack_b32_f16 v4, v7, v8
	ds_store_b128 v74, v[1:4]
	s_waitcnt lgkmcnt(0)
	s_barrier
	buffer_gl0_inv
	ds_load_b128 v[1:4], v75
	ds_load_b128 v[5:8], v75 offset:16
	s_waitcnt lgkmcnt(1)
	v_lshrrev_b32_e32 v9, 16, v1
	s_waitcnt lgkmcnt(0)
	v_lshrrev_b32_e32 v13, 16, v5
	v_lshrrev_b32_e32 v10, 16, v2
	;; [unrolled: 1-line block ×4, first 2 shown]
	v_cndmask_b32_e32 v17, v1, v9, vcc_lo
	v_cndmask_b32_e32 v18, v5, v13, vcc_lo
	v_cndmask_b32_e64 v21, v1, v9, s4
	v_cmp_eq_u32_e32 vcc_lo, 1, v71
	v_cndmask_b32_e64 v22, v5, v13, s4
	v_cmp_eq_u32_e64 s4, 2, v70
	v_cndmask_b32_e64 v19, v1, v9, s3
	v_cndmask_b32_e64 v20, v5, v13, s3
	v_cndmask_b32_e32 v1, v1, v9, vcc_lo
	v_cmp_eq_u32_e64 s3, 2, v71
	v_cndmask_b32_e32 v5, v5, v13, vcc_lo
	v_cndmask_b32_e64 v9, v17, v2, s4
	v_cmp_eq_u32_e32 vcc_lo, 3, v70
	v_cndmask_b32_e64 v13, v18, v6, s4
	v_cmp_eq_u32_e64 s4, 2, v69
	v_cndmask_b32_e64 v17, v19, v2, s5
	v_cndmask_b32_e64 v18, v20, v6, s5
	v_cmp_eq_u32_e64 s5, 3, v69
	v_cndmask_b32_e64 v1, v1, v2, s3
	v_cndmask_b32_e64 v19, v21, v2, s4
	;; [unrolled: 1-line block ×4, first 2 shown]
	v_cndmask_b32_e32 v5, v9, v10, vcc_lo
	v_cndmask_b32_e32 v6, v13, v14, vcc_lo
	v_cmp_eq_u32_e32 vcc_lo, 3, v71
	v_cndmask_b32_e64 v9, v17, v10, s6
	v_cndmask_b32_e64 v13, v18, v14, s6
	;; [unrolled: 1-line block ×3, first 2 shown]
	v_cmp_eq_u32_e64 s4, 4, v70
	v_cndmask_b32_e32 v1, v1, v10, vcc_lo
	v_cndmask_b32_e32 v2, v2, v14, vcc_lo
	v_cmp_eq_u32_e32 vcc_lo, 4, v72
	v_lshrrev_b32_e32 v15, 16, v7
	v_lshrrev_b32_e32 v16, 16, v8
	v_cndmask_b32_e64 v17, v19, v10, s5
	v_cmp_eq_u32_e64 s3, 4, v71
	v_cndmask_b32_e64 v5, v5, v3, s4
	v_cndmask_b32_e64 v6, v6, v7, s4
	v_cndmask_b32_e32 v9, v9, v3, vcc_lo
	v_cmp_eq_u32_e64 s4, 5, v72
	v_cndmask_b32_e32 v10, v13, v7, vcc_lo
	v_cmp_eq_u32_e32 vcc_lo, 4, v69
	v_cmp_eq_u32_e64 s5, 5, v70
	v_cndmask_b32_e64 v2, v2, v7, s3
	v_cndmask_b32_e64 v9, v9, v11, s4
	;; [unrolled: 1-line block ×3, first 2 shown]
	v_cndmask_b32_e32 v13, v17, v3, vcc_lo
	v_cmp_eq_u32_e64 s4, 5, v69
	v_cndmask_b32_e32 v14, v18, v7, vcc_lo
	v_cndmask_b32_e64 v1, v1, v3, s3
	v_cmp_eq_u32_e32 vcc_lo, 5, v71
	v_lshrrev_b32_e32 v12, 16, v4
	v_cndmask_b32_e64 v13, v13, v11, s4
	v_cndmask_b32_e64 v3, v14, v15, s4
	v_cmp_eq_u32_e64 s4, 6, v71
	v_cndmask_b32_e32 v1, v1, v11, vcc_lo
	v_cndmask_b32_e64 v5, v5, v11, s5
	v_cmp_eq_u32_e64 s6, 6, v70
	v_cndmask_b32_e64 v6, v6, v15, s5
	v_cmp_eq_u32_e64 s5, 6, v72
	v_cmp_eq_u32_e64 s3, 6, v69
	v_cndmask_b32_e64 v1, v1, v4, s4
	v_cndmask_b32_e32 v2, v2, v15, vcc_lo
	v_cmp_eq_u32_e32 vcc_lo, 7, v71
	v_cndmask_b32_e64 v5, v5, v4, s6
	v_cndmask_b32_e64 v9, v9, v4, s5
	;; [unrolled: 1-line block ×3, first 2 shown]
	v_cmp_eq_u32_e64 s6, 7, v70
	v_cndmask_b32_e32 v1, v1, v12, vcc_lo
	v_cndmask_b32_e64 v7, v13, v4, s3
	v_cndmask_b32_e64 v3, v3, v8, s3
	;; [unrolled: 1-line block ×3, first 2 shown]
	v_cmp_eq_u32_e64 s3, 7, v69
	v_cndmask_b32_e64 v4, v10, v8, s5
	v_cndmask_b32_e64 v5, v5, v12, s6
	;; [unrolled: 1-line block ×3, first 2 shown]
	v_cndmask_b32_e32 v2, v2, v16, vcc_lo
	v_cndmask_b32_e64 v7, v7, v12, s3
	v_cndmask_b32_e64 v3, v3, v16, s3
	;; [unrolled: 1-line block ×4, first 2 shown]
	v_cmp_gt_u32_e32 vcc_lo, 32, v0
	v_perm_b32 v4, v2, v1, 0x5040100
	v_perm_b32 v3, v3, v7, 0x5040100
	;; [unrolled: 1-line block ×4, first 2 shown]
	s_and_b32 s2, vcc_lo, s2
	ds_store_b128 v74, v[1:4]
	s_waitcnt lgkmcnt(0)
	s_barrier
	buffer_gl0_inv
	s_and_saveexec_b32 s3, s2
	s_cbranch_execz .LBB921_2
; %bb.15:
	s_load_b64 s[0:1], s[0:1], 0x68
	v_lshlrev_b32_e32 v0, 10, v0
	s_lshl_b32 s4, s35, 6
	v_or_b32_e32 v3, s31, v66
	s_mul_i32 s2, s4, s34
	v_lshlrev_b32_e32 v1, 4, v67
	s_mul_i32 s2, s2, s8
	v_lshlrev_b32_e32 v2, 6, v66
	v_and_b32_e32 v0, 0x3800, v0
	s_ashr_i32 s3, s2, 31
	v_mul_lo_u32 v4, v3, s4
	s_lshl_b64 s[2:3], s[2:3], 1
	s_delay_alu instid0(VALU_DEP_2) | instskip(NEXT) | instid1(VALU_DEP_2)
	v_or3_b32 v16, v0, v1, v2
	v_ashrrev_i32_e32 v5, 31, v4
	ds_load_b128 v[0:3], v16
	s_waitcnt lgkmcnt(0)
	s_add_u32 s2, s0, s2
	s_addc_u32 s3, s1, s3
	s_lshl_b32 s0, s14, 6
	v_lshlrev_b64 v[5:6], 1, v[4:5]
	s_ashr_i32 s1, s0, 31
	s_delay_alu instid0(SALU_CYCLE_1) | instskip(NEXT) | instid1(SALU_CYCLE_1)
	s_lshl_b64 s[0:1], s[0:1], 1
	s_add_u32 s0, s2, s0
	s_addc_u32 s1, s3, s1
	s_lshl_b32 s2, s35, 7
	v_add_co_u32 v30, s0, s0, v65
	v_add_nc_u32_e32 v8, s2, v4
	v_add_co_ci_u32_e64 v31, null, s1, 0, s0
	s_delay_alu instid0(VALU_DEP_3) | instskip(NEXT) | instid1(VALU_DEP_3)
	v_add_co_u32 v12, vcc_lo, v30, v5
	v_add_nc_u32_e32 v10, s2, v8
	v_ashrrev_i32_e32 v9, 31, v8
	s_delay_alu instid0(VALU_DEP_4)
	v_add_co_ci_u32_e32 v13, vcc_lo, v31, v6, vcc_lo
	ds_load_b128 v[4:7], v16 offset:128
	v_ashrrev_i32_e32 v11, 31, v10
	v_lshlrev_b64 v[8:9], 1, v[8:9]
	v_add_nc_u32_e32 v14, s2, v10
	global_store_b128 v[12:13], v[0:3], off
	v_lshlrev_b64 v[0:1], 1, v[10:11]
	v_ashrrev_i32_e32 v15, 31, v14
	v_add_co_u32 v22, vcc_lo, v30, v8
	v_add_nc_u32_e32 v20, s2, v14
	v_add_co_ci_u32_e32 v23, vcc_lo, v31, v9, vcc_lo
	v_add_co_u32 v26, vcc_lo, v30, v0
	v_lshlrev_b64 v[24:25], 1, v[14:15]
	v_add_co_ci_u32_e32 v27, vcc_lo, v31, v1, vcc_lo
	ds_load_b128 v[0:3], v16 offset:256
	ds_load_b128 v[8:11], v16 offset:384
	;; [unrolled: 1-line block ×4, first 2 shown]
	v_add_nc_u32_e32 v28, s2, v20
	v_ashrrev_i32_e32 v21, 31, v20
	v_add_co_u32 v24, vcc_lo, v30, v24
	v_add_co_ci_u32_e32 v25, vcc_lo, v31, v25, vcc_lo
	s_delay_alu instid0(VALU_DEP_4) | instskip(NEXT) | instid1(VALU_DEP_4)
	v_ashrrev_i32_e32 v29, 31, v28
	v_lshlrev_b64 v[20:21], 1, v[20:21]
	s_delay_alu instid0(VALU_DEP_2) | instskip(NEXT) | instid1(VALU_DEP_2)
	v_lshlrev_b64 v[28:29], 1, v[28:29]
	v_add_co_u32 v20, vcc_lo, v30, v20
	s_delay_alu instid0(VALU_DEP_3) | instskip(NEXT) | instid1(VALU_DEP_3)
	v_add_co_ci_u32_e32 v21, vcc_lo, v31, v21, vcc_lo
	v_add_co_u32 v28, vcc_lo, v30, v28
	s_delay_alu instid0(VALU_DEP_4)
	v_add_co_ci_u32_e32 v29, vcc_lo, v31, v29, vcc_lo
	s_waitcnt lgkmcnt(4)
	global_store_b128 v[22:23], v[4:7], off
	s_waitcnt lgkmcnt(3)
	global_store_b128 v[26:27], v[0:3], off
	;; [unrolled: 2-line block ×5, first 2 shown]
	s_nop 0
	s_sendmsg sendmsg(MSG_DEALLOC_VGPRS)
	s_endpgm
	.section	.rodata,"a",@progbits
	.p2align	6, 0x0
	.amdhsa_kernel _Z39paged_attention_ll4mi_QKV_mfma16_kernelIDF16_hLN4vllm18Fp8KVCacheDataTypeE1EDF16_Li32ELi64ELi256ELb0ELi12EL8MFMAType1EEvPKT_PKT0_S8_ifPKiSA_SA_iPKfiiiPfSD_PS3_PT2_iSC_SC_
		.amdhsa_group_segment_fixed_size 17472
		.amdhsa_private_segment_fixed_size 0
		.amdhsa_kernarg_size 400
		.amdhsa_user_sgpr_count 13
		.amdhsa_user_sgpr_dispatch_ptr 0
		.amdhsa_user_sgpr_queue_ptr 0
		.amdhsa_user_sgpr_kernarg_segment_ptr 1
		.amdhsa_user_sgpr_dispatch_id 0
		.amdhsa_user_sgpr_private_segment_size 0
		.amdhsa_wavefront_size32 1
		.amdhsa_uses_dynamic_stack 0
		.amdhsa_enable_private_segment 0
		.amdhsa_system_sgpr_workgroup_id_x 1
		.amdhsa_system_sgpr_workgroup_id_y 1
		.amdhsa_system_sgpr_workgroup_id_z 1
		.amdhsa_system_sgpr_workgroup_info 0
		.amdhsa_system_vgpr_workitem_id 0
		.amdhsa_next_free_vgpr 146
		.amdhsa_next_free_sgpr 38
		.amdhsa_reserve_vcc 1
		.amdhsa_float_round_mode_32 0
		.amdhsa_float_round_mode_16_64 0
		.amdhsa_float_denorm_mode_32 3
		.amdhsa_float_denorm_mode_16_64 3
		.amdhsa_dx10_clamp 1
		.amdhsa_ieee_mode 1
		.amdhsa_fp16_overflow 0
		.amdhsa_workgroup_processor_mode 1
		.amdhsa_memory_ordered 1
		.amdhsa_forward_progress 0
		.amdhsa_shared_vgpr_count 0
		.amdhsa_exception_fp_ieee_invalid_op 0
		.amdhsa_exception_fp_denorm_src 0
		.amdhsa_exception_fp_ieee_div_zero 0
		.amdhsa_exception_fp_ieee_overflow 0
		.amdhsa_exception_fp_ieee_underflow 0
		.amdhsa_exception_fp_ieee_inexact 0
		.amdhsa_exception_int_div_zero 0
	.end_amdhsa_kernel
	.section	.text._Z39paged_attention_ll4mi_QKV_mfma16_kernelIDF16_hLN4vllm18Fp8KVCacheDataTypeE1EDF16_Li32ELi64ELi256ELb0ELi12EL8MFMAType1EEvPKT_PKT0_S8_ifPKiSA_SA_iPKfiiiPfSD_PS3_PT2_iSC_SC_,"axG",@progbits,_Z39paged_attention_ll4mi_QKV_mfma16_kernelIDF16_hLN4vllm18Fp8KVCacheDataTypeE1EDF16_Li32ELi64ELi256ELb0ELi12EL8MFMAType1EEvPKT_PKT0_S8_ifPKiSA_SA_iPKfiiiPfSD_PS3_PT2_iSC_SC_,comdat
.Lfunc_end921:
	.size	_Z39paged_attention_ll4mi_QKV_mfma16_kernelIDF16_hLN4vllm18Fp8KVCacheDataTypeE1EDF16_Li32ELi64ELi256ELb0ELi12EL8MFMAType1EEvPKT_PKT0_S8_ifPKiSA_SA_iPKfiiiPfSD_PS3_PT2_iSC_SC_, .Lfunc_end921-_Z39paged_attention_ll4mi_QKV_mfma16_kernelIDF16_hLN4vllm18Fp8KVCacheDataTypeE1EDF16_Li32ELi64ELi256ELb0ELi12EL8MFMAType1EEvPKT_PKT0_S8_ifPKiSA_SA_iPKfiiiPfSD_PS3_PT2_iSC_SC_
                                        ; -- End function
	.section	.AMDGPU.csdata,"",@progbits
; Kernel info:
; codeLenInByte = 6596
; NumSgprs: 40
; NumVgprs: 146
; ScratchSize: 0
; MemoryBound: 0
; FloatMode: 240
; IeeeMode: 1
; LDSByteSize: 17472 bytes/workgroup (compile time only)
; SGPRBlocks: 4
; VGPRBlocks: 18
; NumSGPRsForWavesPerEU: 40
; NumVGPRsForWavesPerEU: 146
; Occupancy: 9
; WaveLimiterHint : 1
; COMPUTE_PGM_RSRC2:SCRATCH_EN: 0
; COMPUTE_PGM_RSRC2:USER_SGPR: 13
; COMPUTE_PGM_RSRC2:TRAP_HANDLER: 0
; COMPUTE_PGM_RSRC2:TGID_X_EN: 1
; COMPUTE_PGM_RSRC2:TGID_Y_EN: 1
; COMPUTE_PGM_RSRC2:TGID_Z_EN: 1
; COMPUTE_PGM_RSRC2:TIDIG_COMP_CNT: 0
	.section	.text._Z39paged_attention_ll4mi_QKV_mfma16_kernelIDF16_hLN4vllm18Fp8KVCacheDataTypeE1EDF16_Li32ELi64ELi256ELb0ELi13EL8MFMAType1EEvPKT_PKT0_S8_ifPKiSA_SA_iPKfiiiPfSD_PS3_PT2_iSC_SC_,"axG",@progbits,_Z39paged_attention_ll4mi_QKV_mfma16_kernelIDF16_hLN4vllm18Fp8KVCacheDataTypeE1EDF16_Li32ELi64ELi256ELb0ELi13EL8MFMAType1EEvPKT_PKT0_S8_ifPKiSA_SA_iPKfiiiPfSD_PS3_PT2_iSC_SC_,comdat
	.protected	_Z39paged_attention_ll4mi_QKV_mfma16_kernelIDF16_hLN4vllm18Fp8KVCacheDataTypeE1EDF16_Li32ELi64ELi256ELb0ELi13EL8MFMAType1EEvPKT_PKT0_S8_ifPKiSA_SA_iPKfiiiPfSD_PS3_PT2_iSC_SC_ ; -- Begin function _Z39paged_attention_ll4mi_QKV_mfma16_kernelIDF16_hLN4vllm18Fp8KVCacheDataTypeE1EDF16_Li32ELi64ELi256ELb0ELi13EL8MFMAType1EEvPKT_PKT0_S8_ifPKiSA_SA_iPKfiiiPfSD_PS3_PT2_iSC_SC_
	.globl	_Z39paged_attention_ll4mi_QKV_mfma16_kernelIDF16_hLN4vllm18Fp8KVCacheDataTypeE1EDF16_Li32ELi64ELi256ELb0ELi13EL8MFMAType1EEvPKT_PKT0_S8_ifPKiSA_SA_iPKfiiiPfSD_PS3_PT2_iSC_SC_
	.p2align	8
	.type	_Z39paged_attention_ll4mi_QKV_mfma16_kernelIDF16_hLN4vllm18Fp8KVCacheDataTypeE1EDF16_Li32ELi64ELi256ELb0ELi13EL8MFMAType1EEvPKT_PKT0_S8_ifPKiSA_SA_iPKfiiiPfSD_PS3_PT2_iSC_SC_,@function
_Z39paged_attention_ll4mi_QKV_mfma16_kernelIDF16_hLN4vllm18Fp8KVCacheDataTypeE1EDF16_Li32ELi64ELi256ELb0ELi13EL8MFMAType1EEvPKT_PKT0_S8_ifPKiSA_SA_iPKfiiiPfSD_PS3_PT2_iSC_SC_: ; @_Z39paged_attention_ll4mi_QKV_mfma16_kernelIDF16_hLN4vllm18Fp8KVCacheDataTypeE1EDF16_Li32ELi64ELi256ELb0ELi13EL8MFMAType1EEvPKT_PKT0_S8_ifPKiSA_SA_iPKfiiiPfSD_PS3_PT2_iSC_SC_
; %bb.0:
	s_load_b64 s[2:3], s[0:1], 0x30
	s_mov_b32 s34, s13
	s_waitcnt lgkmcnt(0)
	s_cmp_lg_u64 s[2:3], 0
	s_cselect_b32 s6, -1, 0
	s_ashr_i32 s35, s13, 31
	s_cmp_eq_u64 s[2:3], 0
	s_cbranch_scc1 .LBB922_3
; %bb.1:
	s_lshl_b64 s[4:5], s[34:35], 2
	s_delay_alu instid0(SALU_CYCLE_1) | instskip(SKIP_4) | instid1(SALU_CYCLE_1)
	s_add_u32 s4, s2, s4
	s_addc_u32 s5, s3, s5
	s_load_b64 s[4:5], s[4:5], 0x0
	s_waitcnt lgkmcnt(0)
	s_sub_i32 s4, s5, s4
	s_cmp_eq_u32 s4, 1
	s_cselect_b32 s4, -1, 0
	s_delay_alu instid0(SALU_CYCLE_1)
	s_and_not1_b32 vcc_lo, exec_lo, s4
	s_cbranch_vccz .LBB922_4
.LBB922_2:
	s_nop 0
	s_sendmsg sendmsg(MSG_DEALLOC_VGPRS)
	s_endpgm
.LBB922_3:
.LBB922_4:
	s_load_b64 s[8:9], s[0:1], 0x28
	s_lshl_b64 s[4:5], s[34:35], 2
	s_waitcnt lgkmcnt(0)
	s_add_u32 s8, s8, s4
	s_addc_u32 s9, s9, s5
	s_lshl_b32 s16, s14, 8
	s_load_b32 s18, s[8:9], 0x0
	s_waitcnt lgkmcnt(0)
	s_cmp_ge_i32 s16, s18
	s_cbranch_scc1 .LBB922_2
; %bb.5:
	s_clause 0x1
	s_load_b128 s[8:11], s[0:1], 0x8
	s_load_b64 s[12:13], s[0:1], 0x20
	s_and_not1_b32 vcc_lo, exec_lo, s6
	s_cbranch_vccnz .LBB922_7
; %bb.6:
	s_add_u32 s2, s2, s4
	s_addc_u32 s3, s3, s5
	s_load_b32 s3, s[2:3], 0x0
	s_branch .LBB922_8
.LBB922_7:
	s_mov_b32 s3, s34
.LBB922_8:
	s_load_b128 s[4:7], s[0:1], 0x48
	v_lshrrev_b32_e32 v69, 5, v0
	v_bfe_u32 v66, v0, 4, 1
	v_and_b32_e32 v68, 15, v0
	v_and_b32_e32 v70, 31, v0
	;; [unrolled: 1-line block ×3, first 2 shown]
	s_mul_i32 s33, s15, 13
	v_lshl_or_b32 v1, v69, 1, v66
	v_lshlrev_b32_e32 v2, 3, v68
	v_cmp_gt_u32_e64 s2, 8, v68
	s_delay_alu instid0(VALU_DEP_3) | instskip(NEXT) | instid1(VALU_DEP_3)
	v_cmp_gt_u32_e32 vcc_lo, 13, v1
	v_lshlrev_b32_e32 v65, 1, v2
	s_delay_alu instid0(VALU_DEP_3)
	s_and_b32 s17, s2, vcc_lo
	s_waitcnt lgkmcnt(0)
	s_and_saveexec_b32 s7, s17
	s_cbranch_execz .LBB922_10
; %bb.9:
	s_load_b64 s[20:21], s[0:1], 0x0
	v_add_lshl_u32 v2, v1, s33, 6
	s_mul_hi_i32 s23, s3, s4
	s_mul_i32 s22, s3, s4
	v_lshlrev_b32_e32 v6, 10, v68
	s_lshl_b64 s[22:23], s[22:23], 1
	v_ashrrev_i32_e32 v3, 31, v2
	v_lshlrev_b32_e32 v1, 6, v1
	v_lshlrev_b32_e32 v7, 10, v67
	v_and_b32_e32 v6, 0x3800, v6
	s_delay_alu instid0(VALU_DEP_4) | instskip(NEXT) | instid1(VALU_DEP_2)
	v_lshlrev_b64 v[2:3], 1, v[2:3]
	v_or3_b32 v1, v6, v7, v1
	s_waitcnt lgkmcnt(0)
	s_add_u32 s3, s20, s22
	s_addc_u32 s4, s21, s23
	s_delay_alu instid0(VALU_DEP_2) | instskip(SKIP_1) | instid1(VALU_DEP_2)
	v_add_co_u32 v2, vcc_lo, s3, v2
	v_add_co_ci_u32_e32 v3, vcc_lo, s4, v3, vcc_lo
	v_add_co_u32 v2, vcc_lo, v2, v65
	s_delay_alu instid0(VALU_DEP_2)
	v_add_co_ci_u32_e32 v3, vcc_lo, 0, v3, vcc_lo
	global_load_b128 v[2:5], v[2:3], off
	s_waitcnt vmcnt(0)
	ds_store_b128 v1, v[2:5]
.LBB922_10:
	s_or_b32 exec_lo, exec_lo, s7
	v_and_b32_e32 v1, 0xef, v0
	s_add_i32 s3, s18, 31
	s_clause 0x1
	s_load_b32 s4, s[0:1], 0x38
	s_load_b32 s35, s[0:1], 0x98
	s_ashr_i32 s7, s3, 31
	v_add_nc_u32_e32 v1, s16, v1
	s_lshr_b32 s7, s7, 27
	s_load_b32 s19, s[0:1], 0x1c
	v_add_nc_u32_e32 v103, -13, v68
	s_add_i32 s3, s3, s7
	v_ashrrev_i32_e32 v2, 31, v1
	v_or_b32_e32 v3, 16, v1
	s_ashr_i32 s3, s3, 5
	v_cmp_gt_i32_e32 vcc_lo, s18, v1
	s_add_i32 s3, s3, -1
	v_lshrrev_b32_e32 v2, 27, v2
	s_waitcnt lgkmcnt(0)
	s_barrier
	buffer_gl0_inv
	s_mul_i32 s15, s15, s6
	v_add_nc_u32_e32 v4, v1, v2
	v_mbcnt_lo_u32_b32 v127, -1, 0
	s_mul_i32 s20, s34, s4
	s_delay_alu instid0(SALU_CYCLE_1) | instskip(NEXT) | instid1(VALU_DEP_2)
	s_ashr_i32 s21, s20, 31
	v_ashrrev_i32_e32 v4, 5, v4
	v_add_nc_u32_e32 v2, v3, v2
	s_lshl_b64 s[20:21], s[20:21], 2
	v_xor_b32_e32 v128, 16, v127
	s_add_u32 s17, s12, s20
	v_cndmask_b32_e32 v1, s3, v4, vcc_lo
	v_ashrrev_i32_e32 v2, 5, v2
	v_cmp_gt_i32_e32 vcc_lo, s18, v3
	s_addc_u32 s13, s13, s21
	s_ashr_i32 s20, s15, 31
	s_add_u32 s22, s8, s15
	s_addc_u32 s23, s9, s20
	v_cndmask_b32_e32 v3, s3, v2, vcc_lo
	v_ashrrev_i32_e32 v2, 31, v1
	s_lshl_b32 s6, s14, 3
	s_delay_alu instid0(SALU_CYCLE_1) | instskip(NEXT) | instid1(VALU_DEP_2)
	s_ashr_i32 s7, s6, 31
	v_ashrrev_i32_e32 v4, 31, v3
	s_delay_alu instid0(VALU_DEP_2) | instskip(SKIP_1) | instid1(SALU_CYCLE_1)
	v_lshlrev_b64 v[1:2], 2, v[1:2]
	s_lshl_b64 s[6:7], s[6:7], 2
	s_add_u32 s6, s17, s6
	s_delay_alu instid0(VALU_DEP_2) | instskip(SKIP_1) | instid1(VALU_DEP_2)
	v_lshlrev_b64 v[3:4], 2, v[3:4]
	s_addc_u32 s7, s13, s7
	v_add_co_u32 v1, vcc_lo, s17, v1
	v_add_co_ci_u32_e32 v2, vcc_lo, s13, v2, vcc_lo
	s_delay_alu instid0(VALU_DEP_3) | instskip(NEXT) | instid1(VALU_DEP_4)
	v_add_co_u32 v3, vcc_lo, s17, v3
	v_add_co_ci_u32_e32 v4, vcc_lo, s13, v4, vcc_lo
	s_clause 0x1
	global_load_b32 v5, v[1:2], off
	global_load_b32 v6, v[3:4], off
	s_or_b32 s4, s16, 32
	s_delay_alu instid0(SALU_CYCLE_1) | instskip(SKIP_2) | instid1(SALU_CYCLE_1)
	s_ashr_i32 s8, s4, 5
	s_cmp_lt_i32 s4, s18
	s_cselect_b32 s8, s8, s3
	s_ashr_i32 s9, s8, 31
	s_delay_alu instid0(SALU_CYCLE_1) | instskip(NEXT) | instid1(SALU_CYCLE_1)
	s_lshl_b64 s[8:9], s[8:9], 2
	s_add_u32 s8, s17, s8
	s_addc_u32 s9, s13, s9
	s_or_b32 s4, s16, 64
	s_delay_alu instid0(SALU_CYCLE_1) | instskip(SKIP_2) | instid1(SALU_CYCLE_1)
	s_ashr_i32 s12, s4, 5
	s_cmp_lt_i32 s4, s18
	s_cselect_b32 s24, s12, s3
	s_ashr_i32 s25, s24, 31
	s_delay_alu instid0(SALU_CYCLE_1) | instskip(NEXT) | instid1(SALU_CYCLE_1)
	s_lshl_b64 s[24:25], s[24:25], 2
	s_add_u32 s24, s17, s24
	s_addc_u32 s25, s13, s25
	;; [unrolled: 10-line block ×5, first 2 shown]
	s_clause 0x5
	s_load_b32 s12, s[6:7], 0x0
	s_load_b32 s4, s[8:9], 0x0
	s_load_b32 s6, s[24:25], 0x0
	s_load_b32 s7, s[26:27], 0x0
	s_load_b32 s8, s[28:29], 0x0
	s_load_b32 s9, s[30:31], 0x0
	s_or_b32 s21, s16, 0xc0
	s_waitcnt vmcnt(1)
	v_mad_i64_i32 v[1:2], null, v5, s5, s[22:23]
	v_lshlrev_b32_e32 v5, 4, v68
	s_waitcnt vmcnt(0)
	v_mad_i64_i32 v[3:4], null, v6, s5, s[22:23]
	s_ashr_i32 s22, s21, 5
	s_cmp_lt_i32 s21, s18
	s_delay_alu instid0(VALU_DEP_3) | instskip(NEXT) | instid1(VALU_DEP_4)
	v_add_co_u32 v1, vcc_lo, v1, v5
	v_add_co_ci_u32_e32 v2, vcc_lo, 0, v2, vcc_lo
	s_delay_alu instid0(VALU_DEP_3) | instskip(NEXT) | instid1(VALU_DEP_4)
	v_add_co_u32 v3, vcc_lo, v3, v5
	v_add_co_ci_u32_e32 v4, vcc_lo, 0, v4, vcc_lo
	s_clause 0x7
	global_load_b128 v[71:74], v[1:2], off
	global_load_b128 v[75:78], v[1:2], off offset:512
	global_load_b128 v[79:82], v[3:4], off offset:256
	;; [unrolled: 1-line block ×7, first 2 shown]
	s_cselect_b32 s22, s22, s3
	v_lshlrev_b32_e32 v1, 5, v68
	s_ashr_i32 s23, s22, 31
	v_cmp_gt_u32_e32 vcc_lo, 13, v68
	s_lshl_b64 s[22:23], s[22:23], 2
	s_delay_alu instid0(SALU_CYCLE_1)
	s_add_u32 s22, s17, s22
	s_addc_u32 s23, s13, s23
	s_or_b32 s21, s16, 0xe0
	v_lshl_or_b32 v1, v69, 9, v1
	s_ashr_i32 s24, s21, 5
	s_cmp_lt_i32 s21, s18
	v_cndmask_b32_e32 v103, v103, v68, vcc_lo
	s_cselect_b32 s24, s24, s3
	s_load_b32 s3, s[22:23], 0x0
	s_ashr_i32 s25, s24, 31
	v_cmp_gt_i32_e32 vcc_lo, 32, v128
	s_lshl_b64 s[24:25], s[24:25], 2
	v_lshlrev_b32_e32 v115, 6, v103
	s_add_u32 s22, s17, s24
	s_addc_u32 s23, s13, s25
	v_cndmask_b32_e32 v136, v127, v128, vcc_lo
	s_add_u32 s10, s10, s15
	s_addc_u32 s11, s11, s20
	v_add_co_u32 v1, s10, s10, v1
	s_delay_alu instid0(VALU_DEP_1) | instskip(SKIP_2) | instid1(VALU_DEP_1)
	v_add_co_ci_u32_e64 v2, null, s11, 0, s10
	s_load_b32 s10, s[22:23], 0x0
	s_waitcnt lgkmcnt(0)
	v_mad_i64_i32 v[3:4], null, s12, s5, v[1:2]
	v_mad_i64_i32 v[9:10], null, s7, s5, v[1:2]
	;; [unrolled: 1-line block ×7, first 2 shown]
	s_clause 0x5
	global_load_b128 v[49:52], v[3:4], off
	global_load_b128 v[53:56], v[3:4], off offset:16
	global_load_b128 v[41:44], v[5:6], off
	global_load_b128 v[45:48], v[5:6], off offset:16
	;; [unrolled: 2-line block ×3, first 2 shown]
	s_mov_b32 s4, 0
	v_mad_i64_i32 v[61:62], null, s10, s5, v[1:2]
	s_clause 0x9
	global_load_b128 v[1:4], v[9:10], off
	global_load_b128 v[5:8], v[9:10], off offset:16
	global_load_b128 v[9:12], v[13:14], off
	global_load_b128 v[13:16], v[13:14], off offset:16
	;; [unrolled: 2-line block ×5, first 2 shown]
	s_mov_b32 s5, s4
	s_mov_b32 s6, s4
	;; [unrolled: 1-line block ×7, first 2 shown]
	v_and_b32_e32 v104, 0xe0, v0
	v_dual_mov_b32 v126, s11 :: v_dual_mov_b32 v125, s10
	v_dual_mov_b32 v124, s9 :: v_dual_mov_b32 v123, s8
	s_delay_alu instid0(VALU_DEP_3)
	v_add_nc_u32_e32 v111, s16, v104
	ds_load_b128 v[103:106], v115
	ds_load_b128 v[107:110], v115 offset:1024
	v_dual_mov_b32 v122, s7 :: v_dual_mov_b32 v121, s6
	v_mov_b32_e32 v120, s5
	v_or_b32_e32 v135, v111, v66
	ds_load_b128 v[111:114], v115 offset:2048
	ds_load_b128 v[115:118], v115 offset:3072
	v_mov_b32_e32 v119, s4
	s_waitcnt vmcnt(0) lgkmcnt(0)
	s_barrier
	v_or_b32_e32 v137, 2, v135
	v_or_b32_e32 v138, 4, v135
	;; [unrolled: 1-line block ×3, first 2 shown]
	v_cmp_gt_i32_e32 vcc_lo, s18, v135
	v_or_b32_e32 v140, 8, v135
	v_cmp_gt_i32_e64 s3, s18, v137
	v_or_b32_e32 v141, 10, v135
	v_cmp_gt_i32_e64 s4, s18, v138
	v_cmp_gt_i32_e64 s5, s18, v139
	v_or_b32_e32 v142, 12, v135
	v_or_b32_e32 v143, 14, v135
	v_cmp_gt_i32_e64 s6, s18, v140
	v_cmp_gt_i32_e64 s7, s18, v141
	v_or_b32_e32 v144, 16, v135
	v_or_b32_e32 v145, 18, v135
	v_cmp_gt_i32_e64 s8, s18, v142
	v_cmp_gt_i32_e64 s9, s18, v143
	buffer_gl0_inv
	v_cmp_gt_i32_e64 s10, s18, v144
	v_cmp_gt_i32_e64 s11, s18, v145
	v_wmma_f32_16x16x16_f16 v[127:134], v[71:78], v[103:110], v[119:126]
	v_wmma_f32_16x16x16_f16 v[119:126], v[79:86], v[103:110], v[119:126]
	v_or_b32_e32 v71, 20, v135
	v_or_b32_e32 v72, 22, v135
	s_delay_alu instid0(VALU_DEP_4)
	v_wmma_f32_16x16x16_f16 v[127:134], v[87:94], v[111:118], v[127:134]
	v_or_b32_e32 v73, 24, v135
	v_wmma_f32_16x16x16_f16 v[119:126], v[95:102], v[111:118], v[119:126]
	v_or_b32_e32 v74, 26, v135
	v_cmp_gt_i32_e64 s12, s18, v71
	v_dual_mul_f32 v83, s19, v128 :: v_dual_mul_f32 v84, s19, v127
	s_delay_alu instid0(VALU_DEP_4) | instskip(SKIP_1) | instid1(VALU_DEP_3)
	v_dual_mul_f32 v81, s19, v130 :: v_dual_mul_f32 v92, s19, v119
	v_mul_f32_e32 v82, s19, v129
	v_cndmask_b32_e64 v83, 0xff7fffff, v83, s3
	s_delay_alu instid0(VALU_DEP_4)
	v_cndmask_b32_e32 v84, 0xff7fffff, v84, vcc_lo
	v_dual_mul_f32 v79, s19, v132 :: v_dual_mul_f32 v90, s19, v121
	v_mul_f32_e32 v80, s19, v131
	v_cndmask_b32_e64 v82, 0xff7fffff, v82, s4
	v_cndmask_b32_e64 v81, 0xff7fffff, v81, s5
	v_max3_f32 v83, v84, 0xff7fffff, v83
	v_dual_mul_f32 v77, s19, v134 :: v_dual_mul_f32 v88, s19, v123
	v_mul_f32_e32 v78, s19, v133
	v_cndmask_b32_e64 v80, 0xff7fffff, v80, s6
	v_cndmask_b32_e64 v79, 0xff7fffff, v79, s7
	v_max3_f32 v81, v83, v82, v81
	v_mul_f32_e32 v91, s19, v120
	v_cndmask_b32_e64 v78, 0xff7fffff, v78, s8
	v_cndmask_b32_e64 v77, 0xff7fffff, v77, s9
	v_mul_f32_e32 v89, s19, v122
	v_max3_f32 v79, v81, v80, v79
	v_cndmask_b32_e64 v80, 0xff7fffff, v92, s10
	v_cndmask_b32_e64 v81, 0xff7fffff, v91, s11
	v_cmp_gt_i32_e64 s13, s18, v72
	v_or_b32_e32 v75, 28, v135
	v_max3_f32 v77, v79, v78, v77
	v_or_b32_e32 v76, 30, v135
	v_mul_f32_e32 v87, s19, v124
	v_cndmask_b32_e64 v71, 0xff7fffff, v90, s12
	v_cndmask_b32_e64 v72, 0xff7fffff, v89, s13
	v_max3_f32 v77, v77, v80, v81
	v_cmp_gt_i32_e64 s15, s18, v73
	v_cmp_gt_i32_e64 s16, s18, v74
	v_dual_mul_f32 v85, s19, v126 :: v_dual_mul_f32 v86, s19, v125
	s_delay_alu instid0(VALU_DEP_4) | instskip(NEXT) | instid1(VALU_DEP_4)
	v_max3_f32 v71, v77, v71, v72
	v_cndmask_b32_e64 v73, 0xff7fffff, v88, s15
	s_delay_alu instid0(VALU_DEP_4) | instskip(SKIP_2) | instid1(VALU_DEP_3)
	v_cndmask_b32_e64 v74, 0xff7fffff, v87, s16
	v_cmp_gt_i32_e64 s17, s18, v75
	v_cmp_gt_i32_e64 s18, s18, v76
	v_max3_f32 v71, v71, v73, v74
	s_delay_alu instid0(VALU_DEP_3) | instskip(NEXT) | instid1(VALU_DEP_3)
	v_cndmask_b32_e64 v72, 0xff7fffff, v86, s17
	v_cndmask_b32_e64 v75, 0xff7fffff, v85, s18
	v_lshlrev_b32_e32 v73, 2, v136
	s_delay_alu instid0(VALU_DEP_2) | instskip(SKIP_3) | instid1(VALU_DEP_1)
	v_max3_f32 v71, v71, v72, v75
	ds_bpermute_b32 v72, v73, v71
	s_waitcnt lgkmcnt(0)
	v_max_f32_e32 v72, v72, v72
	v_max_f32_e32 v71, v71, v72
	s_delay_alu instid0(VALU_DEP_1)
	v_fma_f32 v72, s19, v127, -v71
	v_fma_f32 v74, s19, v128, -v71
	;; [unrolled: 1-line block ×5, first 2 shown]
	v_mul_f32_e32 v72, 0x3fb8aa3b, v72
	v_mul_f32_e32 v74, 0x3fb8aa3b, v74
	v_fma_f32 v80, s19, v133, -v71
	s_delay_alu instid0(VALU_DEP_4) | instskip(NEXT) | instid1(VALU_DEP_4)
	v_dual_mul_f32 v76, 0x3fb8aa3b, v76 :: v_dual_mul_f32 v77, 0x3fb8aa3b, v77
	v_exp_f32_e32 v72, v72
	s_delay_alu instid0(VALU_DEP_3) | instskip(NEXT) | instid1(VALU_DEP_2)
	v_exp_f32_e32 v74, v74
	v_mul_f32_e32 v82, 0x3fb8aa3b, v80
	s_delay_alu instid0(VALU_DEP_2) | instskip(SKIP_1) | instid1(VALU_DEP_1)
	v_exp_f32_e32 v76, v76
	v_exp_f32_e32 v77, v77
	;; [unrolled: 1-line block ×3, first 2 shown]
	v_cndmask_b32_e32 v79, 0, v72, vcc_lo
	v_fma_f32 v72, s19, v132, -v71
	v_mul_f32_e32 v75, 0x3fb8aa3b, v75
	v_cndmask_b32_e64 v78, 0, v74, s3
	s_delay_alu instid0(TRANS32_DEP_3)
	v_cndmask_b32_e64 v80, 0, v76, s5
	v_add_f32_e32 v74, 0, v79
	v_mul_f32_e32 v72, 0x3fb8aa3b, v72
	v_exp_f32_e32 v75, v75
	v_cndmask_b32_e64 v83, 0, v77, s6
	v_cndmask_b32_e64 v85, 0, v84, s8
	v_add_f32_e32 v74, v74, v78
	v_exp_f32_e32 v72, v72
	v_cmp_gt_u32_e64 s3, 16, v70
	s_waitcnt_depctr 0xfff
	v_cndmask_b32_e64 v81, 0, v75, s4
	v_cndmask_b32_e64 v82, 0, v72, s7
	s_delay_alu instid0(VALU_DEP_2) | instskip(NEXT) | instid1(VALU_DEP_1)
	v_add_f32_e32 v74, v74, v81
	v_add_f32_e32 v74, v74, v80
	s_delay_alu instid0(VALU_DEP_1) | instskip(SKIP_4) | instid1(VALU_DEP_4)
	v_add_f32_e32 v72, v74, v83
	v_fma_f32 v75, s19, v134, -v71
	v_fma_f32 v76, s19, v119, -v71
	;; [unrolled: 1-line block ×4, first 2 shown]
	v_dual_add_f32 v72, v72, v82 :: v_dual_mul_f32 v75, 0x3fb8aa3b, v75
	s_delay_alu instid0(VALU_DEP_3) | instskip(SKIP_1) | instid1(VALU_DEP_3)
	v_dual_mul_f32 v76, 0x3fb8aa3b, v76 :: v_dual_mul_f32 v77, 0x3fb8aa3b, v77
	v_fma_f32 v86, s19, v122, -v71
	v_add_f32_e32 v72, v72, v85
	s_delay_alu instid0(VALU_DEP_4) | instskip(NEXT) | instid1(VALU_DEP_3)
	v_exp_f32_e32 v75, v75
	v_exp_f32_e32 v76, v76
	;; [unrolled: 1-line block ×3, first 2 shown]
	v_mul_f32_e32 v86, 0x3fb8aa3b, v86
	s_delay_alu instid0(VALU_DEP_1) | instskip(SKIP_3) | instid1(TRANS32_DEP_3)
	v_exp_f32_e32 v88, v86
	v_cndmask_b32_e64 v84, 0, v75, s9
	v_fma_f32 v75, s19, v123, -v71
	v_mul_f32_e32 v74, 0x3fb8aa3b, v74
	v_cndmask_b32_e64 v87, 0, v76, s10
	v_fma_f32 v76, s19, v124, -v71
	s_delay_alu instid0(VALU_DEP_4) | instskip(NEXT) | instid1(VALU_DEP_4)
	v_dual_add_f32 v72, v72, v84 :: v_dual_mul_f32 v75, 0x3fb8aa3b, v75
	v_exp_f32_e32 v74, v74
	v_cndmask_b32_e64 v86, 0, v77, s11
	v_fma_f32 v77, s19, v125, -v71
	s_delay_alu instid0(VALU_DEP_3) | instskip(SKIP_3) | instid1(VALU_DEP_3)
	v_add_f32_e32 v72, v72, v87
	v_mul_f32_e32 v76, 0x3fb8aa3b, v76
	v_exp_f32_e32 v75, v75
	v_cndmask_b32_e64 v88, 0, v88, s13
	v_add_f32_e32 v72, v72, v86
	s_delay_alu instid0(VALU_DEP_3) | instskip(NEXT) | instid1(TRANS32_DEP_3)
	v_exp_f32_e32 v76, v76
	v_cndmask_b32_e64 v89, 0, v74, s12
	v_mul_f32_e32 v74, 0x3fb8aa3b, v77
	v_fma_f32 v77, s19, v126, -v71
	s_delay_alu instid0(VALU_DEP_3) | instskip(NEXT) | instid1(VALU_DEP_3)
	v_add_f32_e32 v72, v72, v89
	v_exp_f32_e32 v74, v74
	s_delay_alu instid0(TRANS32_DEP_3) | instskip(NEXT) | instid1(VALU_DEP_3)
	v_cndmask_b32_e64 v91, 0, v75, s15
	v_mul_f32_e32 v75, 0x3fb8aa3b, v77
	s_delay_alu instid0(TRANS32_DEP_2) | instskip(SKIP_1) | instid1(VALU_DEP_3)
	v_cndmask_b32_e64 v90, 0, v76, s16
	v_add_f32_e32 v72, v72, v88
	v_exp_f32_e32 v75, v75
	s_delay_alu instid0(VALU_DEP_1) | instskip(NEXT) | instid1(TRANS32_DEP_2)
	v_add_f32_e32 v72, v72, v91
	v_cndmask_b32_e64 v93, 0, v74, s17
	s_delay_alu instid0(VALU_DEP_2) | instskip(SKIP_3) | instid1(VALU_DEP_1)
	v_add_f32_e32 v72, v72, v90
	s_waitcnt_depctr 0xfff
	v_cndmask_b32_e64 v92, 0, v75, s18
	v_add_f32_e32 v72, v72, v93
	v_add_f32_e32 v72, v72, v92
	ds_bpermute_b32 v73, v73, v72
	s_and_saveexec_b32 s4, s3
	s_cbranch_execz .LBB922_12
; %bb.11:
	v_mul_u32_u24_e32 v70, 0x44, v69
	s_waitcnt lgkmcnt(0)
	v_add_f32_e32 v72, v72, v73
	s_delay_alu instid0(VALU_DEP_2) | instskip(NEXT) | instid1(VALU_DEP_1)
	v_lshl_add_u32 v70, v68, 2, v70
	v_add_nc_u32_e32 v70, 0x4000, v70
	ds_store_2addr_b32 v70, v71, v72 offset1:136
.LBB922_12:
	s_or_b32 exec_lo, exec_lo, s4
	v_lshlrev_b32_e32 v70, 2, v68
	s_load_b32 s36, s[0:1], 0x94
	s_waitcnt lgkmcnt(0)
	s_barrier
	buffer_gl0_inv
	v_add_nc_u32_e32 v98, 0x4000, v70
	v_cmp_eq_u32_e32 vcc_lo, 1, v69
	v_cmp_eq_u32_e64 s4, 2, v69
	v_cmp_eq_u32_e64 s5, 3, v69
	;; [unrolled: 1-line block ×3, first 2 shown]
	ds_load_2addr_b32 v[70:71], v98 offset1:17
	ds_load_2addr_b32 v[72:73], v98 offset0:34 offset1:51
	ds_load_2addr_b32 v[74:75], v98 offset0:68 offset1:85
	;; [unrolled: 1-line block ×3, first 2 shown]
	v_cmp_eq_u32_e64 s7, 5, v69
	v_cmp_eq_u32_e64 s8, 7, v69
	s_waitcnt lgkmcnt(3)
	v_max3_f32 v76, v70, 0xff7fffff, v71
	s_waitcnt lgkmcnt(2)
	s_delay_alu instid0(VALU_DEP_1) | instskip(SKIP_1) | instid1(VALU_DEP_1)
	v_max3_f32 v76, v76, v72, v73
	s_waitcnt lgkmcnt(1)
	v_max3_f32 v76, v76, v74, v75
	s_waitcnt lgkmcnt(0)
	s_delay_alu instid0(VALU_DEP_1) | instskip(NEXT) | instid1(VALU_DEP_1)
	v_max3_f32 v76, v76, v94, v95
	v_sub_f32_e32 v77, v71, v76
	ds_load_2addr_b32 v[96:97], v98 offset0:136 offset1:153
	v_sub_f32_e32 v74, v74, v76
	v_sub_f32_e32 v70, v70, v76
	;; [unrolled: 1-line block ×3, first 2 shown]
	v_dual_sub_f32 v72, v72, v76 :: v_dual_mul_f32 v77, 0x3fb8aa3b, v77
	s_delay_alu instid0(VALU_DEP_4) | instskip(NEXT) | instid1(VALU_DEP_4)
	v_mul_f32_e32 v103, 0x3fb8aa3b, v74
	v_mul_f32_e32 v99, 0x3fb8aa3b, v70
	ds_load_2addr_b32 v[70:71], v98 offset0:170 offset1:187
	v_dual_mul_f32 v101, 0x3fb8aa3b, v72 :: v_dual_mul_f32 v94, 0x3fb8aa3b, v94
	v_exp_f32_e32 v102, v77
	v_exp_f32_e32 v99, v99
	s_delay_alu instid0(VALU_DEP_1) | instskip(NEXT) | instid1(VALU_DEP_1)
	v_exp_f32_e32 v101, v101
	v_exp_f32_e32 v94, v94
	s_waitcnt lgkmcnt(1)
	s_delay_alu instid0(TRANS32_DEP_3)
	v_fma_f32 v77, v99, v96, 0
	v_sub_f32_e32 v100, v73, v76
	ds_load_2addr_b32 v[72:73], v98 offset0:204 offset1:221
	v_fmac_f32_e32 v77, v102, v97
	v_exp_f32_e32 v97, v103
	s_waitcnt lgkmcnt(1)
	s_delay_alu instid0(VALU_DEP_1)
	v_dual_fmac_f32 v77, v101, v70 :: v_dual_sub_f32 v96, v75, v76
	ds_load_2addr_b32 v[74:75], v98 offset0:238 offset1:255
	v_sub_f32_e32 v70, v95, v76
	s_waitcnt lgkmcnt(0)
	s_barrier
	v_mul_f32_e32 v96, 0x3fb8aa3b, v96
	buffer_gl0_inv
	v_exp_f32_e32 v95, v96
	v_mul_f32_e32 v100, 0x3fb8aa3b, v100
	s_delay_alu instid0(VALU_DEP_1) | instskip(SKIP_3) | instid1(VALU_DEP_2)
	v_exp_f32_e32 v100, v100
	s_waitcnt_depctr 0xfff
	v_dual_fmac_f32 v77, v100, v71 :: v_dual_mul_f32 v70, 0x3fb8aa3b, v70
	v_cndmask_b32_e32 v71, v99, v102, vcc_lo
	v_fmac_f32_e32 v77, v97, v72
	s_delay_alu instid0(VALU_DEP_3) | instskip(NEXT) | instid1(VALU_DEP_1)
	v_exp_f32_e32 v96, v70
	v_fmac_f32_e32 v77, v95, v73
	s_delay_alu instid0(VALU_DEP_1) | instskip(SKIP_2) | instid1(VALU_DEP_1)
	v_fmac_f32_e32 v77, v94, v74
	s_waitcnt_depctr 0xfff
	v_fmac_f32_e32 v77, v96, v75
	v_add_f32_e32 v74, 0x358637bd, v77
	s_delay_alu instid0(VALU_DEP_1) | instskip(SKIP_1) | instid1(VALU_DEP_2)
	v_div_scale_f32 v98, null, v74, v74, 1.0
	v_div_scale_f32 v99, vcc_lo, 1.0, v74, 1.0
	v_rcp_f32_e32 v103, v98
	s_waitcnt_depctr 0xfff
	v_fma_f32 v70, -v98, v103, 1.0
	s_delay_alu instid0(VALU_DEP_1) | instskip(SKIP_2) | instid1(VALU_DEP_2)
	v_fmac_f32_e32 v103, v70, v103
	v_cndmask_b32_e64 v70, v71, v101, s4
	v_cmp_eq_u32_e64 s4, 6, v69
	v_cndmask_b32_e64 v71, v70, v100, s5
	s_delay_alu instid0(VALU_DEP_4) | instskip(NEXT) | instid1(VALU_DEP_2)
	v_dual_mul_f32 v101, v99, v103 :: v_dual_lshlrev_b32 v70, 2, v66
	v_cndmask_b32_e64 v71, v71, v97, s6
	s_delay_alu instid0(VALU_DEP_2) | instskip(NEXT) | instid1(VALU_DEP_3)
	v_or_b32_e32 v72, 1, v70
	v_fma_f32 v100, -v98, v101, v99
	v_cmp_eq_u32_e64 s5, 1, v70
	v_cmp_eq_u32_e64 s6, 2, v70
	v_cndmask_b32_e64 v95, v71, v95, s7
	v_or_b32_e32 v71, 3, v70
	v_fmac_f32_e32 v101, v100, v103
	v_cmp_eq_u32_e64 s10, 1, v72
	v_cmp_eq_u32_e64 s13, 2, v72
	v_cndmask_b32_e64 v94, v95, v94, s4
	v_cmp_eq_u32_e64 s12, 1, v71
	v_fma_f32 v97, -v98, v101, v99
	v_cmp_eq_u32_e64 s17, 2, v71
	v_cmp_eq_u32_e64 s15, 3, v72
	v_cndmask_b32_e64 v94, v94, v96, s8
	v_cmp_eq_u32_e64 s19, 3, v71
	v_div_fmas_f32 v95, v97, v103, v101
	v_cmp_eq_u32_e32 vcc_lo, 3, v70
	v_cmp_eq_u32_e64 s4, 4, v70
	v_cmp_eq_u32_e64 s20, 4, v72
	;; [unrolled: 1-line block ×3, first 2 shown]
	v_div_fixup_f32 v95, v95, v74, 1.0
	v_lshlrev_b32_e32 v73, 6, v68
	v_cmp_eq_u32_e64 s7, 5, v70
	v_cmp_eq_u32_e64 s21, 5, v72
	;; [unrolled: 1-line block ×3, first 2 shown]
	v_mul_f32_e32 v102, v94, v95
	v_lshl_or_b32 v75, v69, 11, v73
	v_or_b32_e32 v69, 2, v70
	v_cmp_eq_u32_e64 s26, 6, v72
	v_cmp_eq_u32_e64 s28, 6, v71
	v_fma_mixlo_f16 v94, v102, v79, 0
	v_fma_mixlo_f16 v95, v102, v81, 0
	;; [unrolled: 1-line block ×8, first 2 shown]
	v_lshl_or_b32 v74, v66, 4, v75
	v_fma_mixhi_f16 v94, v102, v78, 0
	v_fma_mixhi_f16 v95, v102, v80, 0
	;; [unrolled: 1-line block ×8, first 2 shown]
	ds_store_b128 v74, v[94:97]
	ds_store_b128 v74, v[98:101] offset:1024
	s_waitcnt lgkmcnt(0)
	s_barrier
	buffer_gl0_inv
	ds_load_b128 v[78:81], v75
	ds_load_b128 v[82:85], v75 offset:16
	ds_load_b128 v[86:89], v75 offset:1024
	;; [unrolled: 1-line block ×3, first 2 shown]
	v_cmp_eq_u32_e64 s11, 1, v69
	v_cmp_eq_u32_e64 s16, 2, v69
	;; [unrolled: 1-line block ×11, first 2 shown]
	s_waitcnt lgkmcnt(3)
	v_lshrrev_b32_e32 v94, 16, v78
	s_waitcnt lgkmcnt(2)
	v_lshrrev_b32_e32 v98, 16, v82
	;; [unrolled: 2-line block ×4, first 2 shown]
	v_lshrrev_b32_e32 v95, 16, v79
	v_cndmask_b32_e64 v110, v78, v94, s5
	v_cndmask_b32_e64 v111, v82, v98, s5
	;; [unrolled: 1-line block ×8, first 2 shown]
	v_lshrrev_b32_e32 v99, 16, v83
	v_cndmask_b32_e64 v94, v86, v102, s5
	v_cndmask_b32_e64 v98, v90, v106, s5
	;; [unrolled: 1-line block ×15, first 2 shown]
	v_lshrrev_b32_e32 v103, 16, v87
	v_lshrrev_b32_e32 v107, 16, v91
	v_cndmask_b32_e64 v113, v115, v83, s16
	v_cndmask_b32_e64 v82, v94, v87, s6
	;; [unrolled: 1-line block ×7, first 2 shown]
	v_cndmask_b32_e32 v90, v102, v95, vcc_lo
	v_cndmask_b32_e32 v102, v106, v99, vcc_lo
	v_cndmask_b32_e64 v106, v110, v95, s15
	v_cndmask_b32_e64 v110, v111, v99, s15
	v_cndmask_b32_e64 v78, v78, v95, s19
	v_cndmask_b32_e64 v79, v79, v99, s19
	v_lshrrev_b32_e32 v96, 16, v80
	v_lshrrev_b32_e32 v100, 16, v84
	v_cndmask_b32_e64 v111, v112, v95, s18
	v_cndmask_b32_e64 v112, v113, v99, s18
	v_cndmask_b32_e32 v82, v82, v103, vcc_lo
	v_cndmask_b32_e32 v83, v83, v107, vcc_lo
	v_cndmask_b32_e64 v94, v94, v103, s15
	v_cndmask_b32_e64 v90, v90, v80, s4
	;; [unrolled: 1-line block ×7, first 2 shown]
	v_lshrrev_b32_e32 v104, 16, v88
	v_cndmask_b32_e64 v106, v111, v80, s22
	v_cndmask_b32_e64 v110, v112, v84, s22
	;; [unrolled: 1-line block ×11, first 2 shown]
	v_lshrrev_b32_e32 v97, 16, v81
	v_lshrrev_b32_e32 v101, 16, v85
	v_cndmask_b32_e64 v99, v106, v96, s24
	v_cndmask_b32_e64 v102, v110, v100, s24
	;; [unrolled: 1-line block ×7, first 2 shown]
	v_lshrrev_b32_e32 v105, 16, v89
	v_cndmask_b32_e64 v80, v80, v104, s7
	v_cndmask_b32_e64 v84, v84, v81, s8
	v_cndmask_b32_e64 v90, v90, v85, s8
	v_cndmask_b32_e64 v96, v99, v81, s27
	v_cndmask_b32_e64 v99, v102, v85, s27
	v_cndmask_b32_e64 v81, v83, v89, s26
	v_cndmask_b32_e64 v85, v94, v97, s31
	v_cndmask_b32_e64 v78, v78, v97, s30
	v_cndmask_b32_e64 v79, v79, v101, s30
	v_cndmask_b32_e64 v95, v95, v101, s31
	v_cndmask_b32_e64 v80, v80, v89, s8
	v_cndmask_b32_e64 v83, v84, v97, s9
	v_cndmask_b32_e64 v84, v90, v101, s9
	v_cndmask_b32_e64 v90, v96, v97, s29
	v_cndmask_b32_e64 v94, v99, v101, s29
	v_cndmask_b32_e64 v97, v81, v105, s31
	v_perm_b32 v81, v79, v78, 0x5040100
	v_perm_b32 v79, v95, v85, 0x5040100
	v_cndmask_b32_e64 v78, v119, v91, s16
	v_cndmask_b32_e64 v85, v117, v91, s13
	v_cndmask_b32_e64 v96, v80, v105, s9
	v_perm_b32 v80, v94, v90, 0x5040100
	v_cndmask_b32_e64 v90, v98, v103, s18
	v_cndmask_b32_e64 v86, v86, v103, s19
	;; [unrolled: 1-line block ×5, first 2 shown]
	v_lshrrev_b32_e32 v108, 16, v92
	v_cndmask_b32_e64 v90, v90, v88, s22
	v_cndmask_b32_e64 v86, v86, v88, s23
	;; [unrolled: 1-line block ×11, first 2 shown]
	v_lshrrev_b32_e32 v109, 16, v93
	v_cndmask_b32_e64 v82, v82, v93, s8
	v_cndmask_b32_e64 v88, v88, v89, s27
	;; [unrolled: 1-line block ×12, first 2 shown]
	v_perm_b32 v78, v84, v83, 0x5040100
	v_perm_b32 v85, v87, v86, 0x5040100
	;; [unrolled: 1-line block ×5, first 2 shown]
	s_mul_i32 s9, s35, 13
	s_mov_b32 s4, exec_lo
	ds_store_b128 v74, v[78:81]
	ds_store_b128 v74, v[82:85] offset:1024
	v_cmpx_gt_u32_e32 13, v0
	s_cbranch_execz .LBB922_14
; %bb.13:
	s_mul_i32 s5, s9, s34
	s_load_b128 s[16:19], s[0:1], 0x58
	v_add3_u32 v68, s5, s33, v68
	s_delay_alu instid0(VALU_DEP_1) | instskip(NEXT) | instid1(VALU_DEP_1)
	v_mad_u64_u32 v[78:79], null, v68, s36, s[14:15]
	v_ashrrev_i32_e32 v79, 31, v78
	s_delay_alu instid0(VALU_DEP_1) | instskip(SKIP_1) | instid1(VALU_DEP_1)
	v_lshlrev_b64 v[78:79], 2, v[78:79]
	s_waitcnt lgkmcnt(0)
	v_add_co_u32 v80, vcc_lo, s18, v78
	s_delay_alu instid0(VALU_DEP_2)
	v_add_co_ci_u32_e32 v81, vcc_lo, s19, v79, vcc_lo
	v_add_co_u32 v78, vcc_lo, s16, v78
	v_add_co_ci_u32_e32 v79, vcc_lo, s17, v79, vcc_lo
	global_store_b32 v[80:81], v76, off
	global_store_b32 v[78:79], v77, off
.LBB922_14:
	s_or_b32 exec_lo, exec_lo, s4
	s_waitcnt lgkmcnt(0)
	s_waitcnt_vscnt null, 0x0
	s_barrier
	buffer_gl0_inv
	ds_load_b128 v[84:87], v73
	ds_load_b128 v[88:91], v73 offset:16
	ds_load_b128 v[96:99], v73 offset:2064
	;; [unrolled: 1-line block ×5, first 2 shown]
	v_cmp_eq_u32_e32 vcc_lo, 1, v70
	v_mov_b32_e32 v76, 0
	ds_load_b128 v[112:115], v73 offset:6160
	ds_load_b128 v[108:111], v73 offset:6144
	;; [unrolled: 1-line block ×4, first 2 shown]
	v_cmp_eq_u32_e64 s5, 1, v69
	v_cmp_eq_u32_e64 s4, 1, v72
	;; [unrolled: 1-line block ×3, first 2 shown]
	v_mov_b32_e32 v77, v76
	v_mov_b32_e32 v78, v76
	v_mov_b32_e32 v79, v76
	v_mov_b32_e32 v80, v76
	v_mov_b32_e32 v81, v76
	v_mov_b32_e32 v82, v76
	v_mov_b32_e32 v83, v76
	v_cmp_eq_u32_e64 s7, 3, v72
	v_cmp_eq_u32_e64 s8, 7, v72
	s_waitcnt lgkmcnt(8)
	s_delay_alu instid0(VALU_DEP_3)
	v_wmma_f32_16x16x16_f16 v[76:83], v[49:56], v[84:91], v[76:83]
	ds_load_b128 v[53:56], v73 offset:10256
	ds_load_b128 v[49:52], v73 offset:10240
	s_waitcnt lgkmcnt(8)
	v_wmma_f32_16x16x16_f16 v[76:83], v[41:48], v[92:99], v[76:83]
	ds_load_b128 v[45:48], v73 offset:12304
	ds_load_b128 v[41:44], v73 offset:12288
	s_waitcnt lgkmcnt(8)
	;; [unrolled: 4-line block ×3, first 2 shown]
	s_barrier
	buffer_gl0_inv
	v_wmma_f32_16x16x16_f16 v[76:83], v[1:8], v[108:115], v[76:83]
	s_delay_alu instid0(VALU_DEP_1) | instskip(NEXT) | instid1(VALU_DEP_1)
	v_wmma_f32_16x16x16_f16 v[76:83], v[9:16], v[116:123], v[76:83]
	v_wmma_f32_16x16x16_f16 v[76:83], v[17:24], v[49:56], v[76:83]
	s_delay_alu instid0(VALU_DEP_1) | instskip(NEXT) | instid1(VALU_DEP_1)
	v_wmma_f32_16x16x16_f16 v[76:83], v[25:32], v[41:48], v[76:83]
	v_wmma_f32_16x16x16_f16 v[76:83], v[57:64], v[33:40], v[76:83]
	s_delay_alu instid0(VALU_DEP_1) | instskip(NEXT) | instid1(VALU_DEP_2)
	v_cvt_f16_f32_e32 v1, v76
	v_cvt_f16_f32_e32 v2, v77
	s_delay_alu instid0(VALU_DEP_3) | instskip(NEXT) | instid1(VALU_DEP_4)
	v_cvt_f16_f32_e32 v3, v78
	v_cvt_f16_f32_e32 v4, v79
	;; [unrolled: 1-line block ×6, first 2 shown]
	v_pack_b32_f16 v1, v1, v2
	v_pack_b32_f16 v2, v3, v4
	;; [unrolled: 1-line block ×3, first 2 shown]
	s_delay_alu instid0(VALU_DEP_4)
	v_pack_b32_f16 v4, v7, v8
	ds_store_b128 v74, v[1:4]
	s_waitcnt lgkmcnt(0)
	s_barrier
	buffer_gl0_inv
	ds_load_b128 v[1:4], v75
	ds_load_b128 v[5:8], v75 offset:16
	s_waitcnt lgkmcnt(1)
	v_lshrrev_b32_e32 v9, 16, v1
	s_waitcnt lgkmcnt(0)
	v_lshrrev_b32_e32 v13, 16, v5
	v_lshrrev_b32_e32 v10, 16, v2
	;; [unrolled: 1-line block ×4, first 2 shown]
	v_cndmask_b32_e32 v17, v1, v9, vcc_lo
	v_cndmask_b32_e32 v18, v5, v13, vcc_lo
	v_cndmask_b32_e64 v21, v1, v9, s5
	v_cmp_eq_u32_e32 vcc_lo, 1, v71
	v_cndmask_b32_e64 v22, v5, v13, s5
	v_cmp_eq_u32_e64 s5, 2, v70
	v_cndmask_b32_e64 v19, v1, v9, s4
	v_cndmask_b32_e64 v20, v5, v13, s4
	v_cndmask_b32_e32 v1, v1, v9, vcc_lo
	v_cmp_eq_u32_e64 s4, 2, v71
	v_cndmask_b32_e32 v5, v5, v13, vcc_lo
	v_cndmask_b32_e64 v9, v17, v2, s5
	v_cmp_eq_u32_e32 vcc_lo, 3, v70
	v_cndmask_b32_e64 v13, v18, v6, s5
	v_cmp_eq_u32_e64 s5, 2, v69
	v_cndmask_b32_e64 v17, v19, v2, s6
	v_cndmask_b32_e64 v18, v20, v6, s6
	v_cmp_eq_u32_e64 s6, 3, v69
	v_cndmask_b32_e64 v1, v1, v2, s4
	v_cndmask_b32_e64 v19, v21, v2, s5
	;; [unrolled: 1-line block ×4, first 2 shown]
	v_cndmask_b32_e32 v5, v9, v10, vcc_lo
	v_cndmask_b32_e32 v6, v13, v14, vcc_lo
	v_cmp_eq_u32_e32 vcc_lo, 3, v71
	v_cndmask_b32_e64 v9, v17, v10, s7
	v_cndmask_b32_e64 v13, v18, v14, s7
	;; [unrolled: 1-line block ×3, first 2 shown]
	v_cmp_eq_u32_e64 s5, 4, v70
	v_cndmask_b32_e32 v1, v1, v10, vcc_lo
	v_cndmask_b32_e32 v2, v2, v14, vcc_lo
	v_cmp_eq_u32_e32 vcc_lo, 4, v72
	v_lshrrev_b32_e32 v15, 16, v7
	v_lshrrev_b32_e32 v16, 16, v8
	v_cndmask_b32_e64 v17, v19, v10, s6
	v_cmp_eq_u32_e64 s4, 4, v71
	v_cndmask_b32_e64 v5, v5, v3, s5
	v_cndmask_b32_e64 v6, v6, v7, s5
	v_cndmask_b32_e32 v9, v9, v3, vcc_lo
	v_cmp_eq_u32_e64 s5, 5, v72
	v_cndmask_b32_e32 v10, v13, v7, vcc_lo
	v_cmp_eq_u32_e32 vcc_lo, 4, v69
	v_cmp_eq_u32_e64 s6, 5, v70
	v_cndmask_b32_e64 v2, v2, v7, s4
	v_cndmask_b32_e64 v9, v9, v11, s5
	;; [unrolled: 1-line block ×3, first 2 shown]
	v_cndmask_b32_e32 v13, v17, v3, vcc_lo
	v_cmp_eq_u32_e64 s5, 5, v69
	v_cndmask_b32_e32 v14, v18, v7, vcc_lo
	v_cndmask_b32_e64 v1, v1, v3, s4
	v_cmp_eq_u32_e32 vcc_lo, 5, v71
	v_lshrrev_b32_e32 v12, 16, v4
	v_cndmask_b32_e64 v13, v13, v11, s5
	v_cndmask_b32_e64 v3, v14, v15, s5
	v_cmp_eq_u32_e64 s5, 6, v71
	v_cndmask_b32_e32 v1, v1, v11, vcc_lo
	v_cndmask_b32_e64 v5, v5, v11, s6
	v_cmp_eq_u32_e64 s7, 6, v70
	v_cndmask_b32_e64 v6, v6, v15, s6
	v_cmp_eq_u32_e64 s6, 6, v72
	v_cmp_eq_u32_e64 s4, 6, v69
	v_cndmask_b32_e64 v1, v1, v4, s5
	v_cndmask_b32_e32 v2, v2, v15, vcc_lo
	v_cmp_eq_u32_e32 vcc_lo, 7, v71
	v_cndmask_b32_e64 v5, v5, v4, s7
	v_cndmask_b32_e64 v9, v9, v4, s6
	;; [unrolled: 1-line block ×3, first 2 shown]
	v_cmp_eq_u32_e64 s7, 7, v70
	v_cndmask_b32_e32 v1, v1, v12, vcc_lo
	v_cndmask_b32_e64 v7, v13, v4, s4
	v_cndmask_b32_e64 v3, v3, v8, s4
	;; [unrolled: 1-line block ×3, first 2 shown]
	v_cmp_eq_u32_e64 s4, 7, v69
	v_cndmask_b32_e64 v4, v10, v8, s6
	v_cndmask_b32_e64 v5, v5, v12, s7
	v_cndmask_b32_e64 v9, v9, v12, s8
	v_cndmask_b32_e32 v2, v2, v16, vcc_lo
	v_cndmask_b32_e64 v7, v7, v12, s4
	v_cndmask_b32_e64 v3, v3, v16, s4
	;; [unrolled: 1-line block ×4, first 2 shown]
	v_cmp_gt_u32_e32 vcc_lo, 32, v0
	v_perm_b32 v4, v2, v1, 0x5040100
	v_perm_b32 v3, v3, v7, 0x5040100
	;; [unrolled: 1-line block ×4, first 2 shown]
	s_and_b32 s2, vcc_lo, s2
	ds_store_b128 v74, v[1:4]
	s_waitcnt lgkmcnt(0)
	s_barrier
	buffer_gl0_inv
	s_and_saveexec_b32 s4, s2
	s_cbranch_execz .LBB922_2
; %bb.15:
	s_load_b64 s[4:5], s[0:1], 0x68
	v_lshlrev_b32_e32 v0, 10, v0
	v_lshlrev_b32_e32 v1, 4, v67
	s_lshl_b32 s0, s36, 6
	v_add_nc_u32_e32 v18, s33, v66
	s_mul_i32 s1, s0, s34
	s_delay_alu instid0(VALU_DEP_2) | instskip(SKIP_1) | instid1(VALU_DEP_2)
	v_and_or_b32 v0, 0x3800, v0, v1
	s_mul_i32 s6, s1, s9
	v_mul_lo_u32 v1, v18, s0
	s_ashr_i32 s7, s6, 31
	v_add_nc_u32_e32 v2, 2, v18
	v_lshl_or_b32 v19, v66, 6, v0
	s_lshl_b64 s[6:7], s[6:7], 1
	v_add_nc_u32_e32 v8, 4, v18
	v_add_nc_u32_e32 v15, 6, v18
	v_mul_lo_u32 v7, v2, s0
	ds_load_b128 v[3:6], v19
	v_ashrrev_i32_e32 v2, 31, v1
	v_mul_lo_u32 v11, v8, s0
	s_waitcnt lgkmcnt(0)
	s_add_u32 s1, s4, s6
	s_addc_u32 s2, s5, s7
	s_lshl_b32 s4, s14, 6
	v_lshlrev_b64 v[9:10], 1, v[1:2]
	s_ashr_i32 s5, s4, 31
	v_ashrrev_i32_e32 v8, 31, v7
	s_lshl_b64 s[4:5], s[4:5], 1
	v_ashrrev_i32_e32 v12, 31, v11
	s_add_u32 s1, s1, s4
	s_addc_u32 s2, s2, s5
	v_add_co_u32 v1, s1, s1, v65
	s_delay_alu instid0(VALU_DEP_1) | instskip(SKIP_1) | instid1(VALU_DEP_3)
	v_add_co_ci_u32_e64 v2, null, s2, 0, s1
	v_mul_lo_u32 v15, v15, s0
	v_add_co_u32 v13, vcc_lo, v1, v9
	s_delay_alu instid0(VALU_DEP_3)
	v_add_co_ci_u32_e32 v14, vcc_lo, v2, v10, vcc_lo
	v_lshlrev_b64 v[16:17], 1, v[7:8]
	ds_load_b128 v[7:10], v19 offset:128
	global_store_b128 v[13:14], v[3:6], off
	v_add_nc_u32_e32 v5, 8, v18
	v_lshlrev_b64 v[3:4], 1, v[11:12]
	v_add_co_u32 v23, vcc_lo, v1, v16
	v_ashrrev_i32_e32 v16, 31, v15
	s_delay_alu instid0(VALU_DEP_4) | instskip(SKIP_3) | instid1(VALU_DEP_3)
	v_mul_lo_u32 v25, v5, s0
	v_add_nc_u32_e32 v5, 10, v18
	v_add_co_ci_u32_e32 v24, vcc_lo, v2, v17, vcc_lo
	v_add_co_u32 v27, vcc_lo, v1, v3
	v_mul_lo_u32 v29, v5, s0
	v_add_co_ci_u32_e32 v28, vcc_lo, v2, v4, vcc_lo
	v_lshlrev_b64 v[31:32], 1, v[15:16]
	ds_load_b128 v[3:6], v19 offset:256
	ds_load_b128 v[11:14], v19 offset:384
	;; [unrolled: 1-line block ×4, first 2 shown]
	v_ashrrev_i32_e32 v26, 31, v25
	v_ashrrev_i32_e32 v30, 31, v29
	v_add_co_u32 v31, vcc_lo, v1, v31
	s_delay_alu instid0(VALU_DEP_3) | instskip(SKIP_1) | instid1(VALU_DEP_4)
	v_lshlrev_b64 v[25:26], 1, v[25:26]
	v_add_co_ci_u32_e32 v32, vcc_lo, v2, v32, vcc_lo
	v_lshlrev_b64 v[29:30], 1, v[29:30]
	s_delay_alu instid0(VALU_DEP_3) | instskip(NEXT) | instid1(VALU_DEP_4)
	v_add_co_u32 v25, vcc_lo, v1, v25
	v_add_co_ci_u32_e32 v26, vcc_lo, v2, v26, vcc_lo
	s_delay_alu instid0(VALU_DEP_3) | instskip(NEXT) | instid1(VALU_DEP_4)
	v_add_co_u32 v29, vcc_lo, v1, v29
	v_add_co_ci_u32_e32 v30, vcc_lo, v2, v30, vcc_lo
	s_waitcnt lgkmcnt(4)
	global_store_b128 v[23:24], v[7:10], off
	s_waitcnt lgkmcnt(3)
	global_store_b128 v[27:28], v[3:6], off
	;; [unrolled: 2-line block ×5, first 2 shown]
	s_and_b32 exec_lo, exec_lo, s3
	s_cbranch_execz .LBB922_2
; %bb.16:
	ds_load_b128 v[3:6], v0 offset:768
	s_add_i32 s1, s33, 12
	s_delay_alu instid0(SALU_CYCLE_1) | instskip(NEXT) | instid1(SALU_CYCLE_1)
	s_mul_i32 s0, s1, s0
	s_ashr_i32 s1, s0, 31
	s_delay_alu instid0(SALU_CYCLE_1) | instskip(NEXT) | instid1(SALU_CYCLE_1)
	s_lshl_b64 s[0:1], s[0:1], 1
	v_add_co_u32 v0, vcc_lo, v1, s0
	v_add_co_ci_u32_e32 v1, vcc_lo, s1, v2, vcc_lo
	s_waitcnt lgkmcnt(0)
	global_store_b128 v[0:1], v[3:6], off
	s_nop 0
	s_sendmsg sendmsg(MSG_DEALLOC_VGPRS)
	s_endpgm
	.section	.rodata,"a",@progbits
	.p2align	6, 0x0
	.amdhsa_kernel _Z39paged_attention_ll4mi_QKV_mfma16_kernelIDF16_hLN4vllm18Fp8KVCacheDataTypeE1EDF16_Li32ELi64ELi256ELb0ELi13EL8MFMAType1EEvPKT_PKT0_S8_ifPKiSA_SA_iPKfiiiPfSD_PS3_PT2_iSC_SC_
		.amdhsa_group_segment_fixed_size 17472
		.amdhsa_private_segment_fixed_size 0
		.amdhsa_kernarg_size 400
		.amdhsa_user_sgpr_count 13
		.amdhsa_user_sgpr_dispatch_ptr 0
		.amdhsa_user_sgpr_queue_ptr 0
		.amdhsa_user_sgpr_kernarg_segment_ptr 1
		.amdhsa_user_sgpr_dispatch_id 0
		.amdhsa_user_sgpr_private_segment_size 0
		.amdhsa_wavefront_size32 1
		.amdhsa_uses_dynamic_stack 0
		.amdhsa_enable_private_segment 0
		.amdhsa_system_sgpr_workgroup_id_x 1
		.amdhsa_system_sgpr_workgroup_id_y 1
		.amdhsa_system_sgpr_workgroup_id_z 1
		.amdhsa_system_sgpr_workgroup_info 0
		.amdhsa_system_vgpr_workitem_id 0
		.amdhsa_next_free_vgpr 146
		.amdhsa_next_free_sgpr 37
		.amdhsa_reserve_vcc 1
		.amdhsa_float_round_mode_32 0
		.amdhsa_float_round_mode_16_64 0
		.amdhsa_float_denorm_mode_32 3
		.amdhsa_float_denorm_mode_16_64 3
		.amdhsa_dx10_clamp 1
		.amdhsa_ieee_mode 1
		.amdhsa_fp16_overflow 0
		.amdhsa_workgroup_processor_mode 1
		.amdhsa_memory_ordered 1
		.amdhsa_forward_progress 0
		.amdhsa_shared_vgpr_count 0
		.amdhsa_exception_fp_ieee_invalid_op 0
		.amdhsa_exception_fp_denorm_src 0
		.amdhsa_exception_fp_ieee_div_zero 0
		.amdhsa_exception_fp_ieee_overflow 0
		.amdhsa_exception_fp_ieee_underflow 0
		.amdhsa_exception_fp_ieee_inexact 0
		.amdhsa_exception_int_div_zero 0
	.end_amdhsa_kernel
	.section	.text._Z39paged_attention_ll4mi_QKV_mfma16_kernelIDF16_hLN4vllm18Fp8KVCacheDataTypeE1EDF16_Li32ELi64ELi256ELb0ELi13EL8MFMAType1EEvPKT_PKT0_S8_ifPKiSA_SA_iPKfiiiPfSD_PS3_PT2_iSC_SC_,"axG",@progbits,_Z39paged_attention_ll4mi_QKV_mfma16_kernelIDF16_hLN4vllm18Fp8KVCacheDataTypeE1EDF16_Li32ELi64ELi256ELb0ELi13EL8MFMAType1EEvPKT_PKT0_S8_ifPKiSA_SA_iPKfiiiPfSD_PS3_PT2_iSC_SC_,comdat
.Lfunc_end922:
	.size	_Z39paged_attention_ll4mi_QKV_mfma16_kernelIDF16_hLN4vllm18Fp8KVCacheDataTypeE1EDF16_Li32ELi64ELi256ELb0ELi13EL8MFMAType1EEvPKT_PKT0_S8_ifPKiSA_SA_iPKfiiiPfSD_PS3_PT2_iSC_SC_, .Lfunc_end922-_Z39paged_attention_ll4mi_QKV_mfma16_kernelIDF16_hLN4vllm18Fp8KVCacheDataTypeE1EDF16_Li32ELi64ELi256ELb0ELi13EL8MFMAType1EEvPKT_PKT0_S8_ifPKiSA_SA_iPKfiiiPfSD_PS3_PT2_iSC_SC_
                                        ; -- End function
	.section	.AMDGPU.csdata,"",@progbits
; Kernel info:
; codeLenInByte = 6700
; NumSgprs: 39
; NumVgprs: 146
; ScratchSize: 0
; MemoryBound: 0
; FloatMode: 240
; IeeeMode: 1
; LDSByteSize: 17472 bytes/workgroup (compile time only)
; SGPRBlocks: 4
; VGPRBlocks: 18
; NumSGPRsForWavesPerEU: 39
; NumVGPRsForWavesPerEU: 146
; Occupancy: 9
; WaveLimiterHint : 1
; COMPUTE_PGM_RSRC2:SCRATCH_EN: 0
; COMPUTE_PGM_RSRC2:USER_SGPR: 13
; COMPUTE_PGM_RSRC2:TRAP_HANDLER: 0
; COMPUTE_PGM_RSRC2:TGID_X_EN: 1
; COMPUTE_PGM_RSRC2:TGID_Y_EN: 1
; COMPUTE_PGM_RSRC2:TGID_Z_EN: 1
; COMPUTE_PGM_RSRC2:TIDIG_COMP_CNT: 0
	.section	.text._Z39paged_attention_ll4mi_QKV_mfma16_kernelIDF16_hLN4vllm18Fp8KVCacheDataTypeE1EDF16_Li32ELi64ELi256ELb0ELi14EL8MFMAType1EEvPKT_PKT0_S8_ifPKiSA_SA_iPKfiiiPfSD_PS3_PT2_iSC_SC_,"axG",@progbits,_Z39paged_attention_ll4mi_QKV_mfma16_kernelIDF16_hLN4vllm18Fp8KVCacheDataTypeE1EDF16_Li32ELi64ELi256ELb0ELi14EL8MFMAType1EEvPKT_PKT0_S8_ifPKiSA_SA_iPKfiiiPfSD_PS3_PT2_iSC_SC_,comdat
	.protected	_Z39paged_attention_ll4mi_QKV_mfma16_kernelIDF16_hLN4vllm18Fp8KVCacheDataTypeE1EDF16_Li32ELi64ELi256ELb0ELi14EL8MFMAType1EEvPKT_PKT0_S8_ifPKiSA_SA_iPKfiiiPfSD_PS3_PT2_iSC_SC_ ; -- Begin function _Z39paged_attention_ll4mi_QKV_mfma16_kernelIDF16_hLN4vllm18Fp8KVCacheDataTypeE1EDF16_Li32ELi64ELi256ELb0ELi14EL8MFMAType1EEvPKT_PKT0_S8_ifPKiSA_SA_iPKfiiiPfSD_PS3_PT2_iSC_SC_
	.globl	_Z39paged_attention_ll4mi_QKV_mfma16_kernelIDF16_hLN4vllm18Fp8KVCacheDataTypeE1EDF16_Li32ELi64ELi256ELb0ELi14EL8MFMAType1EEvPKT_PKT0_S8_ifPKiSA_SA_iPKfiiiPfSD_PS3_PT2_iSC_SC_
	.p2align	8
	.type	_Z39paged_attention_ll4mi_QKV_mfma16_kernelIDF16_hLN4vllm18Fp8KVCacheDataTypeE1EDF16_Li32ELi64ELi256ELb0ELi14EL8MFMAType1EEvPKT_PKT0_S8_ifPKiSA_SA_iPKfiiiPfSD_PS3_PT2_iSC_SC_,@function
_Z39paged_attention_ll4mi_QKV_mfma16_kernelIDF16_hLN4vllm18Fp8KVCacheDataTypeE1EDF16_Li32ELi64ELi256ELb0ELi14EL8MFMAType1EEvPKT_PKT0_S8_ifPKiSA_SA_iPKfiiiPfSD_PS3_PT2_iSC_SC_: ; @_Z39paged_attention_ll4mi_QKV_mfma16_kernelIDF16_hLN4vllm18Fp8KVCacheDataTypeE1EDF16_Li32ELi64ELi256ELb0ELi14EL8MFMAType1EEvPKT_PKT0_S8_ifPKiSA_SA_iPKfiiiPfSD_PS3_PT2_iSC_SC_
; %bb.0:
	s_load_b64 s[2:3], s[0:1], 0x30
	s_mov_b32 s34, s13
	s_waitcnt lgkmcnt(0)
	s_cmp_lg_u64 s[2:3], 0
	s_cselect_b32 s6, -1, 0
	s_ashr_i32 s35, s13, 31
	s_cmp_eq_u64 s[2:3], 0
	s_cbranch_scc1 .LBB923_3
; %bb.1:
	s_lshl_b64 s[4:5], s[34:35], 2
	s_delay_alu instid0(SALU_CYCLE_1) | instskip(SKIP_4) | instid1(SALU_CYCLE_1)
	s_add_u32 s4, s2, s4
	s_addc_u32 s5, s3, s5
	s_load_b64 s[4:5], s[4:5], 0x0
	s_waitcnt lgkmcnt(0)
	s_sub_i32 s4, s5, s4
	s_cmp_eq_u32 s4, 1
	s_cselect_b32 s4, -1, 0
	s_delay_alu instid0(SALU_CYCLE_1)
	s_and_not1_b32 vcc_lo, exec_lo, s4
	s_cbranch_vccz .LBB923_4
.LBB923_2:
	s_endpgm
.LBB923_3:
.LBB923_4:
	s_load_b64 s[8:9], s[0:1], 0x28
	s_lshl_b64 s[4:5], s[34:35], 2
	s_waitcnt lgkmcnt(0)
	s_add_u32 s8, s8, s4
	s_addc_u32 s9, s9, s5
	s_lshl_b32 s16, s14, 8
	s_load_b32 s18, s[8:9], 0x0
	s_waitcnt lgkmcnt(0)
	s_cmp_ge_i32 s16, s18
	s_cbranch_scc1 .LBB923_2
; %bb.5:
	s_clause 0x1
	s_load_b128 s[8:11], s[0:1], 0x8
	s_load_b64 s[12:13], s[0:1], 0x20
	s_and_not1_b32 vcc_lo, exec_lo, s6
	s_cbranch_vccnz .LBB923_7
; %bb.6:
	s_add_u32 s2, s2, s4
	s_addc_u32 s3, s3, s5
	s_load_b32 s3, s[2:3], 0x0
	s_branch .LBB923_8
.LBB923_7:
	s_mov_b32 s3, s34
.LBB923_8:
	s_load_b128 s[4:7], s[0:1], 0x48
	v_and_b32_e32 v68, 15, v0
	v_cmp_gt_u32_e32 vcc_lo, 0xe0, v0
	v_lshrrev_b32_e32 v69, 5, v0
	v_and_b32_e32 v70, 31, v0
	v_and_b32_e32 v67, 1, v0
	v_lshlrev_b32_e32 v1, 3, v68
	v_cmp_gt_u32_e64 s2, 8, v68
	v_bfe_u32 v66, v0, 4, 1
	s_mul_i32 s31, s15, 14
	s_delay_alu instid0(VALU_DEP_3) | instskip(NEXT) | instid1(VALU_DEP_3)
	v_lshlrev_b32_e32 v65, 1, v1
	s_and_b32 s17, vcc_lo, s2
	s_waitcnt lgkmcnt(0)
	s_and_saveexec_b32 s7, s17
	s_cbranch_execz .LBB923_10
; %bb.9:
	s_load_b64 s[20:21], s[0:1], 0x0
	v_lshl_or_b32 v5, v69, 1, v66
	s_mul_hi_i32 s23, s3, s4
	s_mul_i32 s22, s3, s4
	v_lshlrev_b32_e32 v6, 10, v68
	s_lshl_b64 s[22:23], s[22:23], 1
	v_add_lshl_u32 v1, v5, s31, 6
	v_lshlrev_b32_e32 v5, 6, v5
	v_lshlrev_b32_e32 v7, 10, v67
	v_and_b32_e32 v6, 0x3800, v6
	s_delay_alu instid0(VALU_DEP_4) | instskip(NEXT) | instid1(VALU_DEP_2)
	v_ashrrev_i32_e32 v2, 31, v1
	v_or3_b32 v5, v6, v7, v5
	s_delay_alu instid0(VALU_DEP_2) | instskip(SKIP_3) | instid1(VALU_DEP_1)
	v_lshlrev_b64 v[1:2], 1, v[1:2]
	s_waitcnt lgkmcnt(0)
	s_add_u32 s3, s20, s22
	s_addc_u32 s4, s21, s23
	v_add_co_u32 v1, vcc_lo, s3, v1
	s_delay_alu instid0(VALU_DEP_2) | instskip(NEXT) | instid1(VALU_DEP_2)
	v_add_co_ci_u32_e32 v2, vcc_lo, s4, v2, vcc_lo
	v_add_co_u32 v1, vcc_lo, v1, v65
	s_delay_alu instid0(VALU_DEP_2)
	v_add_co_ci_u32_e32 v2, vcc_lo, 0, v2, vcc_lo
	global_load_b128 v[1:4], v[1:2], off
	s_waitcnt vmcnt(0)
	ds_store_b128 v5, v[1:4]
.LBB923_10:
	s_or_b32 exec_lo, exec_lo, s7
	v_and_b32_e32 v1, 0xef, v0
	s_add_i32 s3, s18, 31
	s_clause 0x1
	s_load_b32 s4, s[0:1], 0x38
	s_load_b32 s33, s[0:1], 0x98
	s_ashr_i32 s7, s3, 31
	v_add_nc_u32_e32 v1, s16, v1
	s_lshr_b32 s7, s7, 27
	s_load_b32 s19, s[0:1], 0x1c
	v_add_nc_u32_e32 v103, -14, v68
	s_add_i32 s3, s3, s7
	v_ashrrev_i32_e32 v2, 31, v1
	v_or_b32_e32 v3, 16, v1
	s_ashr_i32 s3, s3, 5
	v_cmp_gt_i32_e32 vcc_lo, s18, v1
	s_add_i32 s3, s3, -1
	v_lshrrev_b32_e32 v2, 27, v2
	s_waitcnt lgkmcnt(0)
	s_barrier
	buffer_gl0_inv
	s_mul_i32 s15, s15, s6
	v_add_nc_u32_e32 v4, v1, v2
	v_mbcnt_lo_u32_b32 v127, -1, 0
	s_mul_i32 s20, s34, s4
	s_delay_alu instid0(SALU_CYCLE_1) | instskip(NEXT) | instid1(VALU_DEP_2)
	s_ashr_i32 s21, s20, 31
	v_ashrrev_i32_e32 v4, 5, v4
	v_add_nc_u32_e32 v2, v3, v2
	s_lshl_b64 s[20:21], s[20:21], 2
	v_xor_b32_e32 v128, 16, v127
	s_add_u32 s17, s12, s20
	v_cndmask_b32_e32 v1, s3, v4, vcc_lo
	v_ashrrev_i32_e32 v2, 5, v2
	v_cmp_gt_i32_e32 vcc_lo, s18, v3
	s_addc_u32 s13, s13, s21
	s_ashr_i32 s20, s15, 31
	s_add_u32 s22, s8, s15
	s_addc_u32 s23, s9, s20
	v_cndmask_b32_e32 v3, s3, v2, vcc_lo
	v_ashrrev_i32_e32 v2, 31, v1
	s_lshl_b32 s6, s14, 3
	s_delay_alu instid0(SALU_CYCLE_1) | instskip(NEXT) | instid1(VALU_DEP_2)
	s_ashr_i32 s7, s6, 31
	v_ashrrev_i32_e32 v4, 31, v3
	s_delay_alu instid0(VALU_DEP_2) | instskip(SKIP_1) | instid1(SALU_CYCLE_1)
	v_lshlrev_b64 v[1:2], 2, v[1:2]
	s_lshl_b64 s[6:7], s[6:7], 2
	s_add_u32 s6, s17, s6
	s_delay_alu instid0(VALU_DEP_2) | instskip(SKIP_1) | instid1(VALU_DEP_2)
	v_lshlrev_b64 v[3:4], 2, v[3:4]
	s_addc_u32 s7, s13, s7
	v_add_co_u32 v1, vcc_lo, s17, v1
	v_add_co_ci_u32_e32 v2, vcc_lo, s13, v2, vcc_lo
	s_delay_alu instid0(VALU_DEP_3) | instskip(NEXT) | instid1(VALU_DEP_4)
	v_add_co_u32 v3, vcc_lo, s17, v3
	v_add_co_ci_u32_e32 v4, vcc_lo, s13, v4, vcc_lo
	s_clause 0x1
	global_load_b32 v5, v[1:2], off
	global_load_b32 v6, v[3:4], off
	s_or_b32 s4, s16, 32
	s_delay_alu instid0(SALU_CYCLE_1) | instskip(SKIP_2) | instid1(SALU_CYCLE_1)
	s_ashr_i32 s8, s4, 5
	s_cmp_lt_i32 s4, s18
	s_cselect_b32 s8, s8, s3
	s_ashr_i32 s9, s8, 31
	s_delay_alu instid0(SALU_CYCLE_1) | instskip(NEXT) | instid1(SALU_CYCLE_1)
	s_lshl_b64 s[8:9], s[8:9], 2
	s_add_u32 s8, s17, s8
	s_addc_u32 s9, s13, s9
	s_or_b32 s4, s16, 64
	s_delay_alu instid0(SALU_CYCLE_1) | instskip(SKIP_2) | instid1(SALU_CYCLE_1)
	s_ashr_i32 s12, s4, 5
	s_cmp_lt_i32 s4, s18
	s_cselect_b32 s24, s12, s3
	s_ashr_i32 s25, s24, 31
	s_delay_alu instid0(SALU_CYCLE_1) | instskip(NEXT) | instid1(SALU_CYCLE_1)
	s_lshl_b64 s[24:25], s[24:25], 2
	s_add_u32 s24, s17, s24
	s_addc_u32 s25, s13, s25
	;; [unrolled: 10-line block ×5, first 2 shown]
	s_clause 0x5
	s_load_b32 s12, s[6:7], 0x0
	s_load_b32 s4, s[8:9], 0x0
	;; [unrolled: 1-line block ×6, first 2 shown]
	s_or_b32 s21, s16, 0xc0
	s_waitcnt vmcnt(1)
	v_mad_i64_i32 v[1:2], null, v5, s5, s[22:23]
	v_lshlrev_b32_e32 v5, 4, v68
	s_waitcnt vmcnt(0)
	v_mad_i64_i32 v[3:4], null, v6, s5, s[22:23]
	s_ashr_i32 s22, s21, 5
	s_cmp_lt_i32 s21, s18
	s_delay_alu instid0(VALU_DEP_3) | instskip(NEXT) | instid1(VALU_DEP_4)
	v_add_co_u32 v1, vcc_lo, v1, v5
	v_add_co_ci_u32_e32 v2, vcc_lo, 0, v2, vcc_lo
	s_delay_alu instid0(VALU_DEP_3) | instskip(NEXT) | instid1(VALU_DEP_4)
	v_add_co_u32 v3, vcc_lo, v3, v5
	v_add_co_ci_u32_e32 v4, vcc_lo, 0, v4, vcc_lo
	s_clause 0x7
	global_load_b128 v[71:74], v[1:2], off
	global_load_b128 v[75:78], v[1:2], off offset:512
	global_load_b128 v[79:82], v[3:4], off offset:256
	;; [unrolled: 1-line block ×7, first 2 shown]
	s_cselect_b32 s22, s22, s3
	v_lshlrev_b32_e32 v1, 5, v68
	s_ashr_i32 s23, s22, 31
	v_cmp_gt_u32_e32 vcc_lo, 14, v68
	s_lshl_b64 s[22:23], s[22:23], 2
	s_delay_alu instid0(SALU_CYCLE_1)
	s_add_u32 s22, s17, s22
	s_addc_u32 s23, s13, s23
	s_or_b32 s21, s16, 0xe0
	v_lshl_or_b32 v1, v69, 9, v1
	s_ashr_i32 s24, s21, 5
	s_cmp_lt_i32 s21, s18
	v_cndmask_b32_e32 v103, v103, v68, vcc_lo
	s_cselect_b32 s24, s24, s3
	s_load_b32 s3, s[22:23], 0x0
	s_ashr_i32 s25, s24, 31
	v_cmp_gt_i32_e32 vcc_lo, 32, v128
	s_lshl_b64 s[24:25], s[24:25], 2
	v_lshlrev_b32_e32 v115, 6, v103
	s_add_u32 s22, s17, s24
	s_addc_u32 s23, s13, s25
	v_cndmask_b32_e32 v136, v127, v128, vcc_lo
	s_add_u32 s10, s10, s15
	s_addc_u32 s11, s11, s20
	v_add_co_u32 v1, s10, s10, v1
	s_delay_alu instid0(VALU_DEP_1) | instskip(SKIP_2) | instid1(VALU_DEP_1)
	v_add_co_ci_u32_e64 v2, null, s11, 0, s10
	s_load_b32 s10, s[22:23], 0x0
	s_waitcnt lgkmcnt(0)
	v_mad_i64_i32 v[3:4], null, s12, s5, v[1:2]
	v_mad_i64_i32 v[9:10], null, s7, s5, v[1:2]
	;; [unrolled: 1-line block ×7, first 2 shown]
	s_clause 0x5
	global_load_b128 v[49:52], v[3:4], off
	global_load_b128 v[53:56], v[3:4], off offset:16
	global_load_b128 v[41:44], v[5:6], off
	global_load_b128 v[45:48], v[5:6], off offset:16
	;; [unrolled: 2-line block ×3, first 2 shown]
	s_mov_b32 s4, 0
	v_mad_i64_i32 v[61:62], null, s10, s5, v[1:2]
	s_clause 0x9
	global_load_b128 v[1:4], v[9:10], off
	global_load_b128 v[5:8], v[9:10], off offset:16
	global_load_b128 v[9:12], v[13:14], off
	global_load_b128 v[13:16], v[13:14], off offset:16
	;; [unrolled: 2-line block ×5, first 2 shown]
	s_mov_b32 s5, s4
	s_mov_b32 s6, s4
	;; [unrolled: 1-line block ×7, first 2 shown]
	v_and_b32_e32 v104, 0xe0, v0
	v_dual_mov_b32 v126, s11 :: v_dual_mov_b32 v125, s10
	v_dual_mov_b32 v124, s9 :: v_dual_mov_b32 v123, s8
	s_delay_alu instid0(VALU_DEP_3)
	v_add_nc_u32_e32 v111, s16, v104
	ds_load_b128 v[103:106], v115
	ds_load_b128 v[107:110], v115 offset:1024
	v_dual_mov_b32 v122, s7 :: v_dual_mov_b32 v121, s6
	v_mov_b32_e32 v120, s5
	v_or_b32_e32 v135, v111, v66
	ds_load_b128 v[111:114], v115 offset:2048
	ds_load_b128 v[115:118], v115 offset:3072
	v_mov_b32_e32 v119, s4
	s_waitcnt vmcnt(0) lgkmcnt(0)
	s_barrier
	v_or_b32_e32 v137, 2, v135
	v_or_b32_e32 v138, 4, v135
	;; [unrolled: 1-line block ×3, first 2 shown]
	v_cmp_gt_i32_e32 vcc_lo, s18, v135
	v_or_b32_e32 v140, 8, v135
	v_cmp_gt_i32_e64 s3, s18, v137
	v_or_b32_e32 v141, 10, v135
	v_cmp_gt_i32_e64 s4, s18, v138
	v_cmp_gt_i32_e64 s5, s18, v139
	v_or_b32_e32 v142, 12, v135
	v_or_b32_e32 v143, 14, v135
	v_cmp_gt_i32_e64 s6, s18, v140
	v_cmp_gt_i32_e64 s7, s18, v141
	v_or_b32_e32 v144, 16, v135
	v_or_b32_e32 v145, 18, v135
	v_cmp_gt_i32_e64 s8, s18, v142
	v_cmp_gt_i32_e64 s9, s18, v143
	buffer_gl0_inv
	v_cmp_gt_i32_e64 s10, s18, v144
	v_cmp_gt_i32_e64 s11, s18, v145
	v_wmma_f32_16x16x16_f16 v[127:134], v[71:78], v[103:110], v[119:126]
	v_wmma_f32_16x16x16_f16 v[119:126], v[79:86], v[103:110], v[119:126]
	v_or_b32_e32 v71, 20, v135
	v_or_b32_e32 v72, 22, v135
	s_delay_alu instid0(VALU_DEP_4)
	v_wmma_f32_16x16x16_f16 v[127:134], v[87:94], v[111:118], v[127:134]
	v_or_b32_e32 v73, 24, v135
	v_wmma_f32_16x16x16_f16 v[119:126], v[95:102], v[111:118], v[119:126]
	v_or_b32_e32 v74, 26, v135
	v_cmp_gt_i32_e64 s12, s18, v71
	v_dual_mul_f32 v83, s19, v128 :: v_dual_mul_f32 v84, s19, v127
	s_delay_alu instid0(VALU_DEP_4) | instskip(SKIP_1) | instid1(VALU_DEP_3)
	v_dual_mul_f32 v81, s19, v130 :: v_dual_mul_f32 v92, s19, v119
	v_mul_f32_e32 v82, s19, v129
	v_cndmask_b32_e64 v83, 0xff7fffff, v83, s3
	s_delay_alu instid0(VALU_DEP_4)
	v_cndmask_b32_e32 v84, 0xff7fffff, v84, vcc_lo
	v_dual_mul_f32 v79, s19, v132 :: v_dual_mul_f32 v90, s19, v121
	v_mul_f32_e32 v80, s19, v131
	v_cndmask_b32_e64 v82, 0xff7fffff, v82, s4
	v_cndmask_b32_e64 v81, 0xff7fffff, v81, s5
	v_max3_f32 v83, v84, 0xff7fffff, v83
	v_dual_mul_f32 v77, s19, v134 :: v_dual_mul_f32 v88, s19, v123
	v_mul_f32_e32 v78, s19, v133
	v_cndmask_b32_e64 v80, 0xff7fffff, v80, s6
	v_cndmask_b32_e64 v79, 0xff7fffff, v79, s7
	v_max3_f32 v81, v83, v82, v81
	v_mul_f32_e32 v91, s19, v120
	v_cndmask_b32_e64 v78, 0xff7fffff, v78, s8
	v_cndmask_b32_e64 v77, 0xff7fffff, v77, s9
	v_mul_f32_e32 v89, s19, v122
	v_max3_f32 v79, v81, v80, v79
	v_cndmask_b32_e64 v80, 0xff7fffff, v92, s10
	v_cndmask_b32_e64 v81, 0xff7fffff, v91, s11
	v_cmp_gt_i32_e64 s13, s18, v72
	v_or_b32_e32 v75, 28, v135
	v_max3_f32 v77, v79, v78, v77
	v_or_b32_e32 v76, 30, v135
	v_mul_f32_e32 v87, s19, v124
	v_cndmask_b32_e64 v71, 0xff7fffff, v90, s12
	v_cndmask_b32_e64 v72, 0xff7fffff, v89, s13
	v_max3_f32 v77, v77, v80, v81
	v_cmp_gt_i32_e64 s15, s18, v73
	v_cmp_gt_i32_e64 s16, s18, v74
	v_dual_mul_f32 v85, s19, v126 :: v_dual_mul_f32 v86, s19, v125
	s_delay_alu instid0(VALU_DEP_4) | instskip(NEXT) | instid1(VALU_DEP_4)
	v_max3_f32 v71, v77, v71, v72
	v_cndmask_b32_e64 v73, 0xff7fffff, v88, s15
	s_delay_alu instid0(VALU_DEP_4) | instskip(SKIP_2) | instid1(VALU_DEP_3)
	v_cndmask_b32_e64 v74, 0xff7fffff, v87, s16
	v_cmp_gt_i32_e64 s17, s18, v75
	v_cmp_gt_i32_e64 s18, s18, v76
	v_max3_f32 v71, v71, v73, v74
	s_delay_alu instid0(VALU_DEP_3) | instskip(NEXT) | instid1(VALU_DEP_3)
	v_cndmask_b32_e64 v72, 0xff7fffff, v86, s17
	v_cndmask_b32_e64 v75, 0xff7fffff, v85, s18
	v_lshlrev_b32_e32 v73, 2, v136
	s_delay_alu instid0(VALU_DEP_2) | instskip(SKIP_3) | instid1(VALU_DEP_1)
	v_max3_f32 v71, v71, v72, v75
	ds_bpermute_b32 v72, v73, v71
	s_waitcnt lgkmcnt(0)
	v_max_f32_e32 v72, v72, v72
	v_max_f32_e32 v71, v71, v72
	s_delay_alu instid0(VALU_DEP_1)
	v_fma_f32 v72, s19, v127, -v71
	v_fma_f32 v74, s19, v128, -v71
	;; [unrolled: 1-line block ×5, first 2 shown]
	v_mul_f32_e32 v72, 0x3fb8aa3b, v72
	v_mul_f32_e32 v74, 0x3fb8aa3b, v74
	v_fma_f32 v80, s19, v133, -v71
	s_delay_alu instid0(VALU_DEP_4) | instskip(NEXT) | instid1(VALU_DEP_4)
	v_dual_mul_f32 v76, 0x3fb8aa3b, v76 :: v_dual_mul_f32 v77, 0x3fb8aa3b, v77
	v_exp_f32_e32 v72, v72
	s_delay_alu instid0(VALU_DEP_3) | instskip(NEXT) | instid1(VALU_DEP_2)
	v_exp_f32_e32 v74, v74
	v_mul_f32_e32 v82, 0x3fb8aa3b, v80
	s_delay_alu instid0(VALU_DEP_2) | instskip(SKIP_1) | instid1(VALU_DEP_1)
	v_exp_f32_e32 v76, v76
	v_exp_f32_e32 v77, v77
	;; [unrolled: 1-line block ×3, first 2 shown]
	v_cndmask_b32_e32 v79, 0, v72, vcc_lo
	v_fma_f32 v72, s19, v132, -v71
	v_mul_f32_e32 v75, 0x3fb8aa3b, v75
	v_cndmask_b32_e64 v78, 0, v74, s3
	s_delay_alu instid0(TRANS32_DEP_3)
	v_cndmask_b32_e64 v80, 0, v76, s5
	v_add_f32_e32 v74, 0, v79
	v_mul_f32_e32 v72, 0x3fb8aa3b, v72
	v_exp_f32_e32 v75, v75
	v_cndmask_b32_e64 v83, 0, v77, s6
	v_cndmask_b32_e64 v85, 0, v84, s8
	v_add_f32_e32 v74, v74, v78
	v_exp_f32_e32 v72, v72
	s_mov_b32 s3, exec_lo
	s_waitcnt_depctr 0xfff
	v_cndmask_b32_e64 v81, 0, v75, s4
	v_cndmask_b32_e64 v82, 0, v72, s7
	s_delay_alu instid0(VALU_DEP_2) | instskip(NEXT) | instid1(VALU_DEP_1)
	v_add_f32_e32 v74, v74, v81
	v_add_f32_e32 v74, v74, v80
	s_delay_alu instid0(VALU_DEP_1) | instskip(SKIP_4) | instid1(VALU_DEP_4)
	v_add_f32_e32 v72, v74, v83
	v_fma_f32 v75, s19, v134, -v71
	v_fma_f32 v76, s19, v119, -v71
	;; [unrolled: 1-line block ×4, first 2 shown]
	v_dual_add_f32 v72, v72, v82 :: v_dual_mul_f32 v75, 0x3fb8aa3b, v75
	s_delay_alu instid0(VALU_DEP_3) | instskip(SKIP_1) | instid1(VALU_DEP_3)
	v_dual_mul_f32 v76, 0x3fb8aa3b, v76 :: v_dual_mul_f32 v77, 0x3fb8aa3b, v77
	v_fma_f32 v86, s19, v122, -v71
	v_add_f32_e32 v72, v72, v85
	s_delay_alu instid0(VALU_DEP_4) | instskip(NEXT) | instid1(VALU_DEP_3)
	v_exp_f32_e32 v75, v75
	v_exp_f32_e32 v76, v76
	;; [unrolled: 1-line block ×3, first 2 shown]
	v_mul_f32_e32 v86, 0x3fb8aa3b, v86
	s_delay_alu instid0(VALU_DEP_1) | instskip(SKIP_3) | instid1(TRANS32_DEP_3)
	v_exp_f32_e32 v88, v86
	v_cndmask_b32_e64 v84, 0, v75, s9
	v_fma_f32 v75, s19, v123, -v71
	v_mul_f32_e32 v74, 0x3fb8aa3b, v74
	v_cndmask_b32_e64 v87, 0, v76, s10
	v_fma_f32 v76, s19, v124, -v71
	s_delay_alu instid0(VALU_DEP_4) | instskip(NEXT) | instid1(VALU_DEP_4)
	v_dual_add_f32 v72, v72, v84 :: v_dual_mul_f32 v75, 0x3fb8aa3b, v75
	v_exp_f32_e32 v74, v74
	v_cndmask_b32_e64 v86, 0, v77, s11
	v_fma_f32 v77, s19, v125, -v71
	s_delay_alu instid0(VALU_DEP_3) | instskip(SKIP_3) | instid1(VALU_DEP_3)
	v_add_f32_e32 v72, v72, v87
	v_mul_f32_e32 v76, 0x3fb8aa3b, v76
	v_exp_f32_e32 v75, v75
	v_cndmask_b32_e64 v88, 0, v88, s13
	v_add_f32_e32 v72, v72, v86
	s_delay_alu instid0(VALU_DEP_3) | instskip(NEXT) | instid1(TRANS32_DEP_3)
	v_exp_f32_e32 v76, v76
	v_cndmask_b32_e64 v89, 0, v74, s12
	v_mul_f32_e32 v74, 0x3fb8aa3b, v77
	v_fma_f32 v77, s19, v126, -v71
	s_delay_alu instid0(VALU_DEP_3) | instskip(NEXT) | instid1(VALU_DEP_3)
	v_add_f32_e32 v72, v72, v89
	v_exp_f32_e32 v74, v74
	s_delay_alu instid0(TRANS32_DEP_3) | instskip(NEXT) | instid1(VALU_DEP_3)
	v_cndmask_b32_e64 v91, 0, v75, s15
	v_mul_f32_e32 v75, 0x3fb8aa3b, v77
	s_delay_alu instid0(TRANS32_DEP_2) | instskip(SKIP_1) | instid1(VALU_DEP_3)
	v_cndmask_b32_e64 v90, 0, v76, s16
	v_add_f32_e32 v72, v72, v88
	v_exp_f32_e32 v75, v75
	s_delay_alu instid0(VALU_DEP_1) | instskip(NEXT) | instid1(TRANS32_DEP_2)
	v_add_f32_e32 v72, v72, v91
	v_cndmask_b32_e64 v93, 0, v74, s17
	s_delay_alu instid0(VALU_DEP_2) | instskip(SKIP_3) | instid1(VALU_DEP_1)
	v_add_f32_e32 v72, v72, v90
	s_waitcnt_depctr 0xfff
	v_cndmask_b32_e64 v92, 0, v75, s18
	v_add_f32_e32 v72, v72, v93
	v_add_f32_e32 v72, v72, v92
	ds_bpermute_b32 v73, v73, v72
	v_cmpx_gt_u32_e32 16, v70
	s_cbranch_execz .LBB923_12
; %bb.11:
	v_mul_u32_u24_e32 v70, 0x44, v69
	s_waitcnt lgkmcnt(0)
	v_add_f32_e32 v72, v72, v73
	s_delay_alu instid0(VALU_DEP_2) | instskip(NEXT) | instid1(VALU_DEP_1)
	v_lshl_add_u32 v70, v68, 2, v70
	v_add_nc_u32_e32 v70, 0x4000, v70
	ds_store_2addr_b32 v70, v71, v72 offset1:136
.LBB923_12:
	s_or_b32 exec_lo, exec_lo, s3
	v_lshlrev_b32_e32 v70, 2, v68
	s_load_b32 s35, s[0:1], 0x94
	s_waitcnt lgkmcnt(0)
	s_barrier
	buffer_gl0_inv
	v_add_nc_u32_e32 v98, 0x4000, v70
	v_cmp_eq_u32_e32 vcc_lo, 1, v69
	v_cmp_eq_u32_e64 s3, 2, v69
	v_cmp_eq_u32_e64 s4, 3, v69
	;; [unrolled: 1-line block ×3, first 2 shown]
	ds_load_2addr_b32 v[70:71], v98 offset1:17
	ds_load_2addr_b32 v[72:73], v98 offset0:34 offset1:51
	ds_load_2addr_b32 v[74:75], v98 offset0:68 offset1:85
	;; [unrolled: 1-line block ×3, first 2 shown]
	v_cmp_eq_u32_e64 s6, 5, v69
	v_cmp_eq_u32_e64 s7, 7, v69
	s_waitcnt lgkmcnt(3)
	v_max3_f32 v76, v70, 0xff7fffff, v71
	s_waitcnt lgkmcnt(2)
	s_delay_alu instid0(VALU_DEP_1) | instskip(SKIP_1) | instid1(VALU_DEP_1)
	v_max3_f32 v76, v76, v72, v73
	s_waitcnt lgkmcnt(1)
	v_max3_f32 v76, v76, v74, v75
	s_waitcnt lgkmcnt(0)
	s_delay_alu instid0(VALU_DEP_1) | instskip(NEXT) | instid1(VALU_DEP_1)
	v_max3_f32 v76, v76, v94, v95
	v_sub_f32_e32 v77, v71, v76
	ds_load_2addr_b32 v[96:97], v98 offset0:136 offset1:153
	v_sub_f32_e32 v74, v74, v76
	v_sub_f32_e32 v70, v70, v76
	;; [unrolled: 1-line block ×3, first 2 shown]
	v_dual_sub_f32 v72, v72, v76 :: v_dual_mul_f32 v77, 0x3fb8aa3b, v77
	s_delay_alu instid0(VALU_DEP_4) | instskip(NEXT) | instid1(VALU_DEP_4)
	v_mul_f32_e32 v103, 0x3fb8aa3b, v74
	v_mul_f32_e32 v99, 0x3fb8aa3b, v70
	ds_load_2addr_b32 v[70:71], v98 offset0:170 offset1:187
	v_dual_mul_f32 v101, 0x3fb8aa3b, v72 :: v_dual_mul_f32 v94, 0x3fb8aa3b, v94
	v_exp_f32_e32 v102, v77
	v_exp_f32_e32 v99, v99
	s_delay_alu instid0(VALU_DEP_1) | instskip(NEXT) | instid1(VALU_DEP_1)
	v_exp_f32_e32 v101, v101
	v_exp_f32_e32 v94, v94
	s_waitcnt lgkmcnt(1)
	s_delay_alu instid0(TRANS32_DEP_3)
	v_fma_f32 v77, v99, v96, 0
	v_sub_f32_e32 v100, v73, v76
	ds_load_2addr_b32 v[72:73], v98 offset0:204 offset1:221
	v_fmac_f32_e32 v77, v102, v97
	v_exp_f32_e32 v97, v103
	s_waitcnt lgkmcnt(1)
	s_delay_alu instid0(VALU_DEP_1)
	v_dual_fmac_f32 v77, v101, v70 :: v_dual_sub_f32 v96, v75, v76
	ds_load_2addr_b32 v[74:75], v98 offset0:238 offset1:255
	v_sub_f32_e32 v70, v95, v76
	s_waitcnt lgkmcnt(0)
	s_barrier
	v_mul_f32_e32 v96, 0x3fb8aa3b, v96
	buffer_gl0_inv
	v_exp_f32_e32 v95, v96
	v_mul_f32_e32 v100, 0x3fb8aa3b, v100
	s_delay_alu instid0(VALU_DEP_1) | instskip(SKIP_3) | instid1(VALU_DEP_2)
	v_exp_f32_e32 v100, v100
	s_waitcnt_depctr 0xfff
	v_dual_fmac_f32 v77, v100, v71 :: v_dual_mul_f32 v70, 0x3fb8aa3b, v70
	v_cndmask_b32_e32 v71, v99, v102, vcc_lo
	v_fmac_f32_e32 v77, v97, v72
	s_delay_alu instid0(VALU_DEP_3) | instskip(NEXT) | instid1(VALU_DEP_1)
	v_exp_f32_e32 v96, v70
	v_fmac_f32_e32 v77, v95, v73
	s_delay_alu instid0(VALU_DEP_1) | instskip(SKIP_2) | instid1(VALU_DEP_1)
	v_fmac_f32_e32 v77, v94, v74
	s_waitcnt_depctr 0xfff
	v_fmac_f32_e32 v77, v96, v75
	v_add_f32_e32 v74, 0x358637bd, v77
	s_delay_alu instid0(VALU_DEP_1) | instskip(SKIP_1) | instid1(VALU_DEP_2)
	v_div_scale_f32 v98, null, v74, v74, 1.0
	v_div_scale_f32 v99, vcc_lo, 1.0, v74, 1.0
	v_rcp_f32_e32 v103, v98
	s_waitcnt_depctr 0xfff
	v_fma_f32 v70, -v98, v103, 1.0
	s_delay_alu instid0(VALU_DEP_1) | instskip(SKIP_2) | instid1(VALU_DEP_2)
	v_fmac_f32_e32 v103, v70, v103
	v_cndmask_b32_e64 v70, v71, v101, s3
	v_cmp_eq_u32_e64 s3, 6, v69
	v_cndmask_b32_e64 v71, v70, v100, s4
	s_delay_alu instid0(VALU_DEP_4) | instskip(NEXT) | instid1(VALU_DEP_2)
	v_dual_mul_f32 v101, v99, v103 :: v_dual_lshlrev_b32 v70, 2, v66
	v_cndmask_b32_e64 v71, v71, v97, s5
	s_delay_alu instid0(VALU_DEP_2) | instskip(NEXT) | instid1(VALU_DEP_3)
	v_or_b32_e32 v72, 1, v70
	v_fma_f32 v100, -v98, v101, v99
	v_cmp_eq_u32_e64 s4, 1, v70
	v_cmp_eq_u32_e64 s5, 2, v70
	v_cndmask_b32_e64 v95, v71, v95, s6
	v_or_b32_e32 v71, 3, v70
	v_fmac_f32_e32 v101, v100, v103
	v_cmp_eq_u32_e64 s9, 1, v72
	v_cmp_eq_u32_e64 s12, 2, v72
	v_cndmask_b32_e64 v94, v95, v94, s3
	v_cmp_eq_u32_e64 s11, 1, v71
	v_fma_f32 v97, -v98, v101, v99
	v_cmp_eq_u32_e64 s16, 2, v71
	v_cmp_eq_u32_e64 s13, 3, v72
	v_cndmask_b32_e64 v94, v94, v96, s7
	v_cmp_eq_u32_e64 s18, 3, v71
	v_div_fmas_f32 v95, v97, v103, v101
	v_cmp_eq_u32_e32 vcc_lo, 3, v70
	v_cmp_eq_u32_e64 s3, 4, v70
	v_cmp_eq_u32_e64 s19, 4, v72
	;; [unrolled: 1-line block ×3, first 2 shown]
	v_div_fixup_f32 v95, v95, v74, 1.0
	v_lshlrev_b32_e32 v73, 6, v68
	v_cmp_eq_u32_e64 s6, 5, v70
	v_cmp_eq_u32_e64 s20, 5, v72
	;; [unrolled: 1-line block ×3, first 2 shown]
	v_mul_f32_e32 v102, v94, v95
	v_lshl_or_b32 v75, v69, 11, v73
	v_or_b32_e32 v69, 2, v70
	v_cmp_eq_u32_e64 s25, 6, v72
	v_cmp_eq_u32_e64 s27, 6, v71
	v_fma_mixlo_f16 v94, v102, v79, 0
	v_fma_mixlo_f16 v95, v102, v81, 0
	;; [unrolled: 1-line block ×8, first 2 shown]
	v_lshl_or_b32 v74, v66, 4, v75
	v_fma_mixhi_f16 v94, v102, v78, 0
	v_fma_mixhi_f16 v95, v102, v80, 0
	;; [unrolled: 1-line block ×8, first 2 shown]
	ds_store_b128 v74, v[94:97]
	ds_store_b128 v74, v[98:101] offset:1024
	s_waitcnt lgkmcnt(0)
	s_barrier
	buffer_gl0_inv
	ds_load_b128 v[78:81], v75
	ds_load_b128 v[82:85], v75 offset:16
	ds_load_b128 v[86:89], v75 offset:1024
	;; [unrolled: 1-line block ×3, first 2 shown]
	v_cmp_eq_u32_e64 s10, 1, v69
	v_cmp_eq_u32_e64 s15, 2, v69
	;; [unrolled: 1-line block ×11, first 2 shown]
	s_waitcnt lgkmcnt(3)
	v_lshrrev_b32_e32 v94, 16, v78
	s_waitcnt lgkmcnt(2)
	v_lshrrev_b32_e32 v98, 16, v82
	;; [unrolled: 2-line block ×4, first 2 shown]
	v_lshrrev_b32_e32 v95, 16, v79
	v_cndmask_b32_e64 v110, v78, v94, s4
	v_cndmask_b32_e64 v111, v82, v98, s4
	;; [unrolled: 1-line block ×8, first 2 shown]
	v_lshrrev_b32_e32 v99, 16, v83
	v_cndmask_b32_e64 v94, v86, v102, s4
	v_cndmask_b32_e64 v98, v90, v106, s4
	;; [unrolled: 1-line block ×15, first 2 shown]
	v_lshrrev_b32_e32 v103, 16, v87
	v_lshrrev_b32_e32 v107, 16, v91
	v_cndmask_b32_e64 v113, v115, v83, s15
	v_cndmask_b32_e64 v82, v94, v87, s5
	;; [unrolled: 1-line block ×7, first 2 shown]
	v_cndmask_b32_e32 v90, v102, v95, vcc_lo
	v_cndmask_b32_e32 v102, v106, v99, vcc_lo
	v_cndmask_b32_e64 v106, v110, v95, s13
	v_cndmask_b32_e64 v110, v111, v99, s13
	;; [unrolled: 1-line block ×4, first 2 shown]
	v_lshrrev_b32_e32 v96, 16, v80
	v_lshrrev_b32_e32 v100, 16, v84
	v_cndmask_b32_e64 v111, v112, v95, s17
	v_cndmask_b32_e64 v112, v113, v99, s17
	v_cndmask_b32_e32 v82, v82, v103, vcc_lo
	v_cndmask_b32_e32 v83, v83, v107, vcc_lo
	v_cndmask_b32_e64 v94, v94, v103, s13
	v_cndmask_b32_e64 v90, v90, v80, s3
	;; [unrolled: 1-line block ×7, first 2 shown]
	v_lshrrev_b32_e32 v104, 16, v88
	v_cndmask_b32_e64 v106, v111, v80, s21
	v_cndmask_b32_e64 v110, v112, v84, s21
	;; [unrolled: 1-line block ×11, first 2 shown]
	v_lshrrev_b32_e32 v97, 16, v81
	v_lshrrev_b32_e32 v101, 16, v85
	v_cndmask_b32_e64 v99, v106, v96, s23
	v_cndmask_b32_e64 v102, v110, v100, s23
	;; [unrolled: 1-line block ×7, first 2 shown]
	v_lshrrev_b32_e32 v105, 16, v89
	v_cndmask_b32_e64 v80, v80, v104, s6
	v_cndmask_b32_e64 v84, v84, v81, s7
	;; [unrolled: 1-line block ×16, first 2 shown]
	v_perm_b32 v81, v79, v78, 0x5040100
	v_perm_b32 v79, v95, v85, 0x5040100
	v_cndmask_b32_e64 v78, v119, v91, s15
	v_cndmask_b32_e64 v85, v117, v91, s12
	;; [unrolled: 1-line block ×3, first 2 shown]
	v_perm_b32 v80, v94, v90, 0x5040100
	v_cndmask_b32_e64 v90, v98, v103, s17
	v_cndmask_b32_e64 v86, v86, v103, s18
	;; [unrolled: 1-line block ×5, first 2 shown]
	v_lshrrev_b32_e32 v108, 16, v92
	v_cndmask_b32_e64 v90, v90, v88, s21
	v_cndmask_b32_e64 v86, v86, v88, s22
	;; [unrolled: 1-line block ×11, first 2 shown]
	v_lshrrev_b32_e32 v109, 16, v93
	v_cndmask_b32_e64 v82, v82, v93, s7
	v_cndmask_b32_e64 v88, v88, v89, s26
	;; [unrolled: 1-line block ×12, first 2 shown]
	v_perm_b32 v78, v84, v83, 0x5040100
	v_perm_b32 v85, v87, v86, 0x5040100
	;; [unrolled: 1-line block ×5, first 2 shown]
	s_mul_i32 s8, s33, 14
	s_mov_b32 s3, exec_lo
	ds_store_b128 v74, v[78:81]
	ds_store_b128 v74, v[82:85] offset:1024
	v_cmpx_gt_u32_e32 14, v0
	s_cbranch_execz .LBB923_14
; %bb.13:
	s_mul_i32 s4, s8, s34
	s_delay_alu instid0(SALU_CYCLE_1) | instskip(SKIP_1) | instid1(VALU_DEP_1)
	v_add3_u32 v68, s4, s31, v68
	s_load_b128 s[4:7], s[0:1], 0x58
	v_mad_u64_u32 v[78:79], null, v68, s35, s[14:15]
	s_delay_alu instid0(VALU_DEP_1) | instskip(NEXT) | instid1(VALU_DEP_1)
	v_ashrrev_i32_e32 v79, 31, v78
	v_lshlrev_b64 v[78:79], 2, v[78:79]
	s_waitcnt lgkmcnt(0)
	s_delay_alu instid0(VALU_DEP_1) | instskip(NEXT) | instid1(VALU_DEP_2)
	v_add_co_u32 v80, vcc_lo, s6, v78
	v_add_co_ci_u32_e32 v81, vcc_lo, s7, v79, vcc_lo
	v_add_co_u32 v78, vcc_lo, s4, v78
	v_add_co_ci_u32_e32 v79, vcc_lo, s5, v79, vcc_lo
	global_store_b32 v[80:81], v76, off
	global_store_b32 v[78:79], v77, off
.LBB923_14:
	s_or_b32 exec_lo, exec_lo, s3
	s_waitcnt lgkmcnt(0)
	s_waitcnt_vscnt null, 0x0
	s_barrier
	buffer_gl0_inv
	ds_load_b128 v[84:87], v73
	ds_load_b128 v[88:91], v73 offset:16
	ds_load_b128 v[96:99], v73 offset:2064
	;; [unrolled: 1-line block ×5, first 2 shown]
	v_cmp_eq_u32_e32 vcc_lo, 1, v70
	v_mov_b32_e32 v76, 0
	ds_load_b128 v[112:115], v73 offset:6160
	ds_load_b128 v[108:111], v73 offset:6144
	;; [unrolled: 1-line block ×4, first 2 shown]
	v_cmp_eq_u32_e64 s4, 1, v69
	v_cmp_eq_u32_e64 s3, 1, v72
	;; [unrolled: 1-line block ×3, first 2 shown]
	v_mov_b32_e32 v77, v76
	v_mov_b32_e32 v78, v76
	;; [unrolled: 1-line block ×7, first 2 shown]
	v_cmp_eq_u32_e64 s6, 3, v72
	v_cmp_eq_u32_e64 s7, 7, v72
	s_waitcnt lgkmcnt(8)
	s_delay_alu instid0(VALU_DEP_3)
	v_wmma_f32_16x16x16_f16 v[76:83], v[49:56], v[84:91], v[76:83]
	ds_load_b128 v[53:56], v73 offset:10256
	ds_load_b128 v[49:52], v73 offset:10240
	s_waitcnt lgkmcnt(8)
	v_wmma_f32_16x16x16_f16 v[76:83], v[41:48], v[92:99], v[76:83]
	ds_load_b128 v[45:48], v73 offset:12304
	ds_load_b128 v[41:44], v73 offset:12288
	s_waitcnt lgkmcnt(8)
	;; [unrolled: 4-line block ×3, first 2 shown]
	s_barrier
	buffer_gl0_inv
	v_wmma_f32_16x16x16_f16 v[76:83], v[1:8], v[108:115], v[76:83]
	s_delay_alu instid0(VALU_DEP_1) | instskip(NEXT) | instid1(VALU_DEP_1)
	v_wmma_f32_16x16x16_f16 v[76:83], v[9:16], v[116:123], v[76:83]
	v_wmma_f32_16x16x16_f16 v[76:83], v[17:24], v[49:56], v[76:83]
	s_delay_alu instid0(VALU_DEP_1) | instskip(NEXT) | instid1(VALU_DEP_1)
	v_wmma_f32_16x16x16_f16 v[76:83], v[25:32], v[41:48], v[76:83]
	v_wmma_f32_16x16x16_f16 v[76:83], v[57:64], v[33:40], v[76:83]
	s_delay_alu instid0(VALU_DEP_1) | instskip(NEXT) | instid1(VALU_DEP_2)
	v_cvt_f16_f32_e32 v1, v76
	v_cvt_f16_f32_e32 v2, v77
	s_delay_alu instid0(VALU_DEP_3) | instskip(NEXT) | instid1(VALU_DEP_4)
	v_cvt_f16_f32_e32 v3, v78
	v_cvt_f16_f32_e32 v4, v79
	;; [unrolled: 1-line block ×6, first 2 shown]
	v_pack_b32_f16 v1, v1, v2
	v_pack_b32_f16 v2, v3, v4
	;; [unrolled: 1-line block ×3, first 2 shown]
	s_delay_alu instid0(VALU_DEP_4)
	v_pack_b32_f16 v4, v7, v8
	ds_store_b128 v74, v[1:4]
	s_waitcnt lgkmcnt(0)
	s_barrier
	buffer_gl0_inv
	ds_load_b128 v[1:4], v75
	ds_load_b128 v[5:8], v75 offset:16
	s_waitcnt lgkmcnt(1)
	v_lshrrev_b32_e32 v9, 16, v1
	s_waitcnt lgkmcnt(0)
	v_lshrrev_b32_e32 v13, 16, v5
	v_lshrrev_b32_e32 v10, 16, v2
	;; [unrolled: 1-line block ×4, first 2 shown]
	v_cndmask_b32_e32 v17, v1, v9, vcc_lo
	v_cndmask_b32_e32 v18, v5, v13, vcc_lo
	v_cndmask_b32_e64 v21, v1, v9, s4
	v_cmp_eq_u32_e32 vcc_lo, 1, v71
	v_cndmask_b32_e64 v22, v5, v13, s4
	v_cmp_eq_u32_e64 s4, 2, v70
	v_cndmask_b32_e64 v19, v1, v9, s3
	v_cndmask_b32_e64 v20, v5, v13, s3
	v_cndmask_b32_e32 v1, v1, v9, vcc_lo
	v_cmp_eq_u32_e64 s3, 2, v71
	v_cndmask_b32_e32 v5, v5, v13, vcc_lo
	v_cndmask_b32_e64 v9, v17, v2, s4
	v_cmp_eq_u32_e32 vcc_lo, 3, v70
	v_cndmask_b32_e64 v13, v18, v6, s4
	v_cmp_eq_u32_e64 s4, 2, v69
	v_cndmask_b32_e64 v17, v19, v2, s5
	v_cndmask_b32_e64 v18, v20, v6, s5
	v_cmp_eq_u32_e64 s5, 3, v69
	v_cndmask_b32_e64 v1, v1, v2, s3
	v_cndmask_b32_e64 v19, v21, v2, s4
	;; [unrolled: 1-line block ×4, first 2 shown]
	v_cndmask_b32_e32 v5, v9, v10, vcc_lo
	v_cndmask_b32_e32 v6, v13, v14, vcc_lo
	v_cmp_eq_u32_e32 vcc_lo, 3, v71
	v_cndmask_b32_e64 v9, v17, v10, s6
	v_cndmask_b32_e64 v13, v18, v14, s6
	;; [unrolled: 1-line block ×3, first 2 shown]
	v_cmp_eq_u32_e64 s4, 4, v70
	v_cndmask_b32_e32 v1, v1, v10, vcc_lo
	v_cndmask_b32_e32 v2, v2, v14, vcc_lo
	v_cmp_eq_u32_e32 vcc_lo, 4, v72
	v_lshrrev_b32_e32 v15, 16, v7
	v_lshrrev_b32_e32 v16, 16, v8
	v_cndmask_b32_e64 v17, v19, v10, s5
	v_cmp_eq_u32_e64 s3, 4, v71
	v_cndmask_b32_e64 v5, v5, v3, s4
	v_cndmask_b32_e64 v6, v6, v7, s4
	v_cndmask_b32_e32 v9, v9, v3, vcc_lo
	v_cmp_eq_u32_e64 s4, 5, v72
	v_cndmask_b32_e32 v10, v13, v7, vcc_lo
	v_cmp_eq_u32_e32 vcc_lo, 4, v69
	v_cmp_eq_u32_e64 s5, 5, v70
	v_cndmask_b32_e64 v2, v2, v7, s3
	v_cndmask_b32_e64 v9, v9, v11, s4
	;; [unrolled: 1-line block ×3, first 2 shown]
	v_cndmask_b32_e32 v13, v17, v3, vcc_lo
	v_cmp_eq_u32_e64 s4, 5, v69
	v_cndmask_b32_e32 v14, v18, v7, vcc_lo
	v_cndmask_b32_e64 v1, v1, v3, s3
	v_cmp_eq_u32_e32 vcc_lo, 5, v71
	v_lshrrev_b32_e32 v12, 16, v4
	v_cndmask_b32_e64 v13, v13, v11, s4
	v_cndmask_b32_e64 v3, v14, v15, s4
	v_cmp_eq_u32_e64 s4, 6, v71
	v_cndmask_b32_e32 v1, v1, v11, vcc_lo
	v_cndmask_b32_e64 v5, v5, v11, s5
	v_cmp_eq_u32_e64 s6, 6, v70
	v_cndmask_b32_e64 v6, v6, v15, s5
	v_cmp_eq_u32_e64 s5, 6, v72
	v_cmp_eq_u32_e64 s3, 6, v69
	v_cndmask_b32_e64 v1, v1, v4, s4
	v_cndmask_b32_e32 v2, v2, v15, vcc_lo
	v_cmp_eq_u32_e32 vcc_lo, 7, v71
	v_cndmask_b32_e64 v5, v5, v4, s6
	v_cndmask_b32_e64 v9, v9, v4, s5
	;; [unrolled: 1-line block ×3, first 2 shown]
	v_cmp_eq_u32_e64 s6, 7, v70
	v_cndmask_b32_e32 v1, v1, v12, vcc_lo
	v_cndmask_b32_e64 v7, v13, v4, s3
	v_cndmask_b32_e64 v3, v3, v8, s3
	v_cndmask_b32_e64 v2, v2, v8, s4
	v_cmp_eq_u32_e64 s3, 7, v69
	v_cndmask_b32_e64 v4, v10, v8, s5
	v_cndmask_b32_e64 v5, v5, v12, s6
	;; [unrolled: 1-line block ×3, first 2 shown]
	v_cndmask_b32_e32 v2, v2, v16, vcc_lo
	v_cndmask_b32_e64 v7, v7, v12, s3
	v_cndmask_b32_e64 v3, v3, v16, s3
	;; [unrolled: 1-line block ×4, first 2 shown]
	v_cmp_gt_u32_e32 vcc_lo, 32, v0
	v_perm_b32 v4, v2, v1, 0x5040100
	v_perm_b32 v3, v3, v7, 0x5040100
	;; [unrolled: 1-line block ×4, first 2 shown]
	s_and_b32 s2, vcc_lo, s2
	ds_store_b128 v74, v[1:4]
	s_waitcnt lgkmcnt(0)
	s_barrier
	buffer_gl0_inv
	s_and_saveexec_b32 s3, s2
	s_cbranch_execz .LBB923_2
; %bb.15:
	s_load_b64 s[0:1], s[0:1], 0x68
	v_lshlrev_b32_e32 v0, 10, v0
	s_lshl_b32 s4, s35, 6
	v_or_b32_e32 v3, s31, v66
	s_mul_i32 s2, s4, s34
	v_lshlrev_b32_e32 v1, 4, v67
	v_lshlrev_b32_e32 v2, 6, v66
	v_and_b32_e32 v0, 0x3800, v0
	s_mul_i32 s2, s2, s8
	v_mul_lo_u32 v8, v3, s4
	s_ashr_i32 s3, s2, 31
	s_delay_alu instid0(SALU_CYCLE_1)
	s_lshl_b64 s[2:3], s[2:3], 1
	v_or3_b32 v16, v0, v1, v2
	ds_load_b128 v[0:3], v16
	ds_load_b128 v[4:7], v16 offset:128
	v_ashrrev_i32_e32 v9, 31, v8
	s_waitcnt lgkmcnt(0)
	s_add_u32 s2, s0, s2
	s_addc_u32 s3, s1, s3
	s_lshl_b32 s0, s14, 6
	s_delay_alu instid0(SALU_CYCLE_1) | instskip(SKIP_2) | instid1(SALU_CYCLE_1)
	s_ashr_i32 s1, s0, 31
	v_lshlrev_b64 v[9:10], 1, v[8:9]
	s_lshl_b64 s[0:1], s[0:1], 1
	s_add_u32 s0, s2, s0
	s_addc_u32 s1, s3, s1
	s_lshl_b32 s2, s35, 7
	v_add_co_u32 v30, s0, s0, v65
	v_add_nc_u32_e32 v11, s2, v8
	v_add_co_ci_u32_e64 v31, null, s1, 0, s0
	s_delay_alu instid0(VALU_DEP_3) | instskip(NEXT) | instid1(VALU_DEP_3)
	v_add_co_u32 v9, vcc_lo, v30, v9
	v_add_nc_u32_e32 v8, s2, v11
	s_delay_alu instid0(VALU_DEP_3) | instskip(SKIP_1) | instid1(VALU_DEP_3)
	v_add_co_ci_u32_e32 v10, vcc_lo, v31, v10, vcc_lo
	v_ashrrev_i32_e32 v12, 31, v11
	v_add_nc_u32_e32 v13, s2, v8
	global_store_b128 v[9:10], v[0:3], off
	v_ashrrev_i32_e32 v9, 31, v8
	v_lshlrev_b64 v[11:12], 1, v[11:12]
	v_ashrrev_i32_e32 v14, 31, v13
	v_add_nc_u32_e32 v10, s2, v13
	s_delay_alu instid0(VALU_DEP_4) | instskip(NEXT) | instid1(VALU_DEP_4)
	v_lshlrev_b64 v[2:3], 1, v[8:9]
	v_add_co_u32 v0, vcc_lo, v30, v11
	s_delay_alu instid0(VALU_DEP_4)
	v_lshlrev_b64 v[8:9], 1, v[13:14]
	v_add_co_ci_u32_e32 v1, vcc_lo, v31, v12, vcc_lo
	v_ashrrev_i32_e32 v11, 31, v10
	v_add_co_u32 v22, vcc_lo, v30, v2
	v_add_nc_u32_e32 v20, s2, v10
	v_add_co_ci_u32_e32 v23, vcc_lo, v31, v3, vcc_lo
	v_add_co_u32 v24, vcc_lo, v30, v8
	global_store_b128 v[0:1], v[4:7], off
	v_add_co_ci_u32_e32 v25, vcc_lo, v31, v9, vcc_lo
	ds_load_b128 v[0:3], v16 offset:256
	ds_load_b128 v[4:7], v16 offset:384
	v_lshlrev_b64 v[26:27], 1, v[10:11]
	ds_load_b128 v[8:11], v16 offset:512
	ds_load_b128 v[12:15], v16 offset:640
	;; [unrolled: 1-line block ×3, first 2 shown]
	v_add_nc_u32_e32 v28, s2, v20
	v_ashrrev_i32_e32 v21, 31, v20
	v_add_co_u32 v26, vcc_lo, v30, v26
	s_delay_alu instid0(VALU_DEP_3) | instskip(NEXT) | instid1(VALU_DEP_3)
	v_ashrrev_i32_e32 v29, 31, v28
	v_lshlrev_b64 v[20:21], 1, v[20:21]
	v_add_co_ci_u32_e32 v27, vcc_lo, v31, v27, vcc_lo
	s_delay_alu instid0(VALU_DEP_3) | instskip(NEXT) | instid1(VALU_DEP_3)
	v_lshlrev_b64 v[28:29], 1, v[28:29]
	v_add_co_u32 v20, vcc_lo, v30, v20
	s_delay_alu instid0(VALU_DEP_4) | instskip(NEXT) | instid1(VALU_DEP_3)
	v_add_co_ci_u32_e32 v21, vcc_lo, v31, v21, vcc_lo
	v_add_co_u32 v28, vcc_lo, v30, v28
	s_delay_alu instid0(VALU_DEP_4)
	v_add_co_ci_u32_e32 v29, vcc_lo, v31, v29, vcc_lo
	s_waitcnt lgkmcnt(4)
	global_store_b128 v[22:23], v[0:3], off
	s_waitcnt lgkmcnt(3)
	global_store_b128 v[24:25], v[4:7], off
	;; [unrolled: 2-line block ×5, first 2 shown]
	s_nop 0
	s_sendmsg sendmsg(MSG_DEALLOC_VGPRS)
	s_endpgm
	.section	.rodata,"a",@progbits
	.p2align	6, 0x0
	.amdhsa_kernel _Z39paged_attention_ll4mi_QKV_mfma16_kernelIDF16_hLN4vllm18Fp8KVCacheDataTypeE1EDF16_Li32ELi64ELi256ELb0ELi14EL8MFMAType1EEvPKT_PKT0_S8_ifPKiSA_SA_iPKfiiiPfSD_PS3_PT2_iSC_SC_
		.amdhsa_group_segment_fixed_size 17472
		.amdhsa_private_segment_fixed_size 0
		.amdhsa_kernarg_size 400
		.amdhsa_user_sgpr_count 13
		.amdhsa_user_sgpr_dispatch_ptr 0
		.amdhsa_user_sgpr_queue_ptr 0
		.amdhsa_user_sgpr_kernarg_segment_ptr 1
		.amdhsa_user_sgpr_dispatch_id 0
		.amdhsa_user_sgpr_private_segment_size 0
		.amdhsa_wavefront_size32 1
		.amdhsa_uses_dynamic_stack 0
		.amdhsa_enable_private_segment 0
		.amdhsa_system_sgpr_workgroup_id_x 1
		.amdhsa_system_sgpr_workgroup_id_y 1
		.amdhsa_system_sgpr_workgroup_id_z 1
		.amdhsa_system_sgpr_workgroup_info 0
		.amdhsa_system_vgpr_workitem_id 0
		.amdhsa_next_free_vgpr 146
		.amdhsa_next_free_sgpr 38
		.amdhsa_reserve_vcc 1
		.amdhsa_float_round_mode_32 0
		.amdhsa_float_round_mode_16_64 0
		.amdhsa_float_denorm_mode_32 3
		.amdhsa_float_denorm_mode_16_64 3
		.amdhsa_dx10_clamp 1
		.amdhsa_ieee_mode 1
		.amdhsa_fp16_overflow 0
		.amdhsa_workgroup_processor_mode 1
		.amdhsa_memory_ordered 1
		.amdhsa_forward_progress 0
		.amdhsa_shared_vgpr_count 0
		.amdhsa_exception_fp_ieee_invalid_op 0
		.amdhsa_exception_fp_denorm_src 0
		.amdhsa_exception_fp_ieee_div_zero 0
		.amdhsa_exception_fp_ieee_overflow 0
		.amdhsa_exception_fp_ieee_underflow 0
		.amdhsa_exception_fp_ieee_inexact 0
		.amdhsa_exception_int_div_zero 0
	.end_amdhsa_kernel
	.section	.text._Z39paged_attention_ll4mi_QKV_mfma16_kernelIDF16_hLN4vllm18Fp8KVCacheDataTypeE1EDF16_Li32ELi64ELi256ELb0ELi14EL8MFMAType1EEvPKT_PKT0_S8_ifPKiSA_SA_iPKfiiiPfSD_PS3_PT2_iSC_SC_,"axG",@progbits,_Z39paged_attention_ll4mi_QKV_mfma16_kernelIDF16_hLN4vllm18Fp8KVCacheDataTypeE1EDF16_Li32ELi64ELi256ELb0ELi14EL8MFMAType1EEvPKT_PKT0_S8_ifPKiSA_SA_iPKfiiiPfSD_PS3_PT2_iSC_SC_,comdat
.Lfunc_end923:
	.size	_Z39paged_attention_ll4mi_QKV_mfma16_kernelIDF16_hLN4vllm18Fp8KVCacheDataTypeE1EDF16_Li32ELi64ELi256ELb0ELi14EL8MFMAType1EEvPKT_PKT0_S8_ifPKiSA_SA_iPKfiiiPfSD_PS3_PT2_iSC_SC_, .Lfunc_end923-_Z39paged_attention_ll4mi_QKV_mfma16_kernelIDF16_hLN4vllm18Fp8KVCacheDataTypeE1EDF16_Li32ELi64ELi256ELb0ELi14EL8MFMAType1EEvPKT_PKT0_S8_ifPKiSA_SA_iPKfiiiPfSD_PS3_PT2_iSC_SC_
                                        ; -- End function
	.section	.AMDGPU.csdata,"",@progbits
; Kernel info:
; codeLenInByte = 6648
; NumSgprs: 40
; NumVgprs: 146
; ScratchSize: 0
; MemoryBound: 0
; FloatMode: 240
; IeeeMode: 1
; LDSByteSize: 17472 bytes/workgroup (compile time only)
; SGPRBlocks: 4
; VGPRBlocks: 18
; NumSGPRsForWavesPerEU: 40
; NumVGPRsForWavesPerEU: 146
; Occupancy: 9
; WaveLimiterHint : 1
; COMPUTE_PGM_RSRC2:SCRATCH_EN: 0
; COMPUTE_PGM_RSRC2:USER_SGPR: 13
; COMPUTE_PGM_RSRC2:TRAP_HANDLER: 0
; COMPUTE_PGM_RSRC2:TGID_X_EN: 1
; COMPUTE_PGM_RSRC2:TGID_Y_EN: 1
; COMPUTE_PGM_RSRC2:TGID_Z_EN: 1
; COMPUTE_PGM_RSRC2:TIDIG_COMP_CNT: 0
	.section	.text._Z39paged_attention_ll4mi_QKV_mfma16_kernelIDF16_hLN4vllm18Fp8KVCacheDataTypeE1EDF16_Li32ELi64ELi256ELb0ELi15EL8MFMAType1EEvPKT_PKT0_S8_ifPKiSA_SA_iPKfiiiPfSD_PS3_PT2_iSC_SC_,"axG",@progbits,_Z39paged_attention_ll4mi_QKV_mfma16_kernelIDF16_hLN4vllm18Fp8KVCacheDataTypeE1EDF16_Li32ELi64ELi256ELb0ELi15EL8MFMAType1EEvPKT_PKT0_S8_ifPKiSA_SA_iPKfiiiPfSD_PS3_PT2_iSC_SC_,comdat
	.protected	_Z39paged_attention_ll4mi_QKV_mfma16_kernelIDF16_hLN4vllm18Fp8KVCacheDataTypeE1EDF16_Li32ELi64ELi256ELb0ELi15EL8MFMAType1EEvPKT_PKT0_S8_ifPKiSA_SA_iPKfiiiPfSD_PS3_PT2_iSC_SC_ ; -- Begin function _Z39paged_attention_ll4mi_QKV_mfma16_kernelIDF16_hLN4vllm18Fp8KVCacheDataTypeE1EDF16_Li32ELi64ELi256ELb0ELi15EL8MFMAType1EEvPKT_PKT0_S8_ifPKiSA_SA_iPKfiiiPfSD_PS3_PT2_iSC_SC_
	.globl	_Z39paged_attention_ll4mi_QKV_mfma16_kernelIDF16_hLN4vllm18Fp8KVCacheDataTypeE1EDF16_Li32ELi64ELi256ELb0ELi15EL8MFMAType1EEvPKT_PKT0_S8_ifPKiSA_SA_iPKfiiiPfSD_PS3_PT2_iSC_SC_
	.p2align	8
	.type	_Z39paged_attention_ll4mi_QKV_mfma16_kernelIDF16_hLN4vllm18Fp8KVCacheDataTypeE1EDF16_Li32ELi64ELi256ELb0ELi15EL8MFMAType1EEvPKT_PKT0_S8_ifPKiSA_SA_iPKfiiiPfSD_PS3_PT2_iSC_SC_,@function
_Z39paged_attention_ll4mi_QKV_mfma16_kernelIDF16_hLN4vllm18Fp8KVCacheDataTypeE1EDF16_Li32ELi64ELi256ELb0ELi15EL8MFMAType1EEvPKT_PKT0_S8_ifPKiSA_SA_iPKfiiiPfSD_PS3_PT2_iSC_SC_: ; @_Z39paged_attention_ll4mi_QKV_mfma16_kernelIDF16_hLN4vllm18Fp8KVCacheDataTypeE1EDF16_Li32ELi64ELi256ELb0ELi15EL8MFMAType1EEvPKT_PKT0_S8_ifPKiSA_SA_iPKfiiiPfSD_PS3_PT2_iSC_SC_
; %bb.0:
	s_load_b64 s[2:3], s[0:1], 0x30
	s_mov_b32 s34, s13
	s_waitcnt lgkmcnt(0)
	s_cmp_lg_u64 s[2:3], 0
	s_cselect_b32 s6, -1, 0
	s_ashr_i32 s35, s13, 31
	s_cmp_eq_u64 s[2:3], 0
	s_cbranch_scc1 .LBB924_3
; %bb.1:
	s_lshl_b64 s[4:5], s[34:35], 2
	s_delay_alu instid0(SALU_CYCLE_1) | instskip(SKIP_4) | instid1(SALU_CYCLE_1)
	s_add_u32 s4, s2, s4
	s_addc_u32 s5, s3, s5
	s_load_b64 s[4:5], s[4:5], 0x0
	s_waitcnt lgkmcnt(0)
	s_sub_i32 s4, s5, s4
	s_cmp_eq_u32 s4, 1
	s_cselect_b32 s4, -1, 0
	s_delay_alu instid0(SALU_CYCLE_1)
	s_and_not1_b32 vcc_lo, exec_lo, s4
	s_cbranch_vccz .LBB924_4
.LBB924_2:
	s_nop 0
	s_sendmsg sendmsg(MSG_DEALLOC_VGPRS)
	s_endpgm
.LBB924_3:
.LBB924_4:
	s_load_b64 s[8:9], s[0:1], 0x28
	s_lshl_b64 s[4:5], s[34:35], 2
	s_waitcnt lgkmcnt(0)
	s_add_u32 s8, s8, s4
	s_addc_u32 s9, s9, s5
	s_lshl_b32 s16, s14, 8
	s_load_b32 s18, s[8:9], 0x0
	s_waitcnt lgkmcnt(0)
	s_cmp_ge_i32 s16, s18
	s_cbranch_scc1 .LBB924_2
; %bb.5:
	s_clause 0x1
	s_load_b128 s[8:11], s[0:1], 0x8
	s_load_b64 s[12:13], s[0:1], 0x20
	s_and_not1_b32 vcc_lo, exec_lo, s6
	s_cbranch_vccnz .LBB924_7
; %bb.6:
	s_add_u32 s2, s2, s4
	s_addc_u32 s3, s3, s5
	s_load_b32 s3, s[2:3], 0x0
	s_branch .LBB924_8
.LBB924_7:
	s_mov_b32 s3, s34
.LBB924_8:
	s_load_b128 s[4:7], s[0:1], 0x48
	v_lshrrev_b32_e32 v69, 5, v0
	v_bfe_u32 v66, v0, 4, 1
	v_and_b32_e32 v68, 15, v0
	v_and_b32_e32 v70, 31, v0
	;; [unrolled: 1-line block ×3, first 2 shown]
	s_mul_i32 s33, s15, 15
	v_lshl_or_b32 v1, v69, 1, v66
	v_lshlrev_b32_e32 v2, 3, v68
	v_cmp_gt_u32_e64 s2, 8, v68
	s_delay_alu instid0(VALU_DEP_3) | instskip(NEXT) | instid1(VALU_DEP_3)
	v_cmp_gt_u32_e32 vcc_lo, 15, v1
	v_lshlrev_b32_e32 v65, 1, v2
	s_delay_alu instid0(VALU_DEP_3)
	s_and_b32 s17, s2, vcc_lo
	s_waitcnt lgkmcnt(0)
	s_and_saveexec_b32 s7, s17
	s_cbranch_execz .LBB924_10
; %bb.9:
	s_load_b64 s[20:21], s[0:1], 0x0
	v_add_lshl_u32 v2, v1, s33, 6
	s_mul_hi_i32 s23, s3, s4
	s_mul_i32 s22, s3, s4
	v_lshlrev_b32_e32 v6, 10, v68
	s_lshl_b64 s[22:23], s[22:23], 1
	v_ashrrev_i32_e32 v3, 31, v2
	v_lshlrev_b32_e32 v1, 6, v1
	v_lshlrev_b32_e32 v7, 10, v67
	v_and_b32_e32 v6, 0x3800, v6
	s_delay_alu instid0(VALU_DEP_4) | instskip(NEXT) | instid1(VALU_DEP_2)
	v_lshlrev_b64 v[2:3], 1, v[2:3]
	v_or3_b32 v1, v6, v7, v1
	s_waitcnt lgkmcnt(0)
	s_add_u32 s3, s20, s22
	s_addc_u32 s4, s21, s23
	s_delay_alu instid0(VALU_DEP_2) | instskip(SKIP_1) | instid1(VALU_DEP_2)
	v_add_co_u32 v2, vcc_lo, s3, v2
	v_add_co_ci_u32_e32 v3, vcc_lo, s4, v3, vcc_lo
	v_add_co_u32 v2, vcc_lo, v2, v65
	s_delay_alu instid0(VALU_DEP_2)
	v_add_co_ci_u32_e32 v3, vcc_lo, 0, v3, vcc_lo
	global_load_b128 v[2:5], v[2:3], off
	s_waitcnt vmcnt(0)
	ds_store_b128 v1, v[2:5]
.LBB924_10:
	s_or_b32 exec_lo, exec_lo, s7
	v_and_b32_e32 v1, 0xef, v0
	s_add_i32 s3, s18, 31
	s_clause 0x1
	s_load_b32 s4, s[0:1], 0x38
	s_load_b32 s35, s[0:1], 0x98
	s_ashr_i32 s7, s3, 31
	v_add_nc_u32_e32 v1, s16, v1
	s_lshr_b32 s7, s7, 27
	s_load_b32 s19, s[0:1], 0x1c
	s_add_i32 s3, s3, s7
	s_waitcnt lgkmcnt(0)
	v_ashrrev_i32_e32 v2, 31, v1
	v_or_b32_e32 v3, 16, v1
	s_ashr_i32 s3, s3, 5
	v_cmp_gt_i32_e32 vcc_lo, s18, v1
	s_add_i32 s3, s3, -1
	v_lshrrev_b32_e32 v2, 27, v2
	s_barrier
	buffer_gl0_inv
	s_mul_i32 s15, s15, s6
	v_mbcnt_lo_u32_b32 v127, -1, 0
	v_add_nc_u32_e32 v4, v1, v2
	s_mul_i32 s20, s34, s4
	s_delay_alu instid0(SALU_CYCLE_1) | instskip(NEXT) | instid1(VALU_DEP_1)
	s_ashr_i32 s21, s20, 31
	v_ashrrev_i32_e32 v4, 5, v4
	v_add_nc_u32_e32 v2, v3, v2
	s_lshl_b64 s[20:21], s[20:21], 2
	v_xor_b32_e32 v128, 16, v127
	s_add_u32 s17, s12, s20
	v_cndmask_b32_e32 v1, s3, v4, vcc_lo
	v_ashrrev_i32_e32 v2, 5, v2
	v_cmp_gt_i32_e32 vcc_lo, s18, v3
	s_addc_u32 s13, s13, s21
	s_ashr_i32 s20, s15, 31
	s_add_u32 s22, s8, s15
	s_addc_u32 s23, s9, s20
	v_cndmask_b32_e32 v3, s3, v2, vcc_lo
	v_ashrrev_i32_e32 v2, 31, v1
	s_lshl_b32 s6, s14, 3
	s_delay_alu instid0(SALU_CYCLE_1) | instskip(NEXT) | instid1(VALU_DEP_2)
	s_ashr_i32 s7, s6, 31
	v_ashrrev_i32_e32 v4, 31, v3
	s_delay_alu instid0(VALU_DEP_2) | instskip(SKIP_1) | instid1(SALU_CYCLE_1)
	v_lshlrev_b64 v[1:2], 2, v[1:2]
	s_lshl_b64 s[6:7], s[6:7], 2
	s_add_u32 s6, s17, s6
	s_delay_alu instid0(VALU_DEP_2) | instskip(SKIP_1) | instid1(VALU_DEP_2)
	v_lshlrev_b64 v[3:4], 2, v[3:4]
	s_addc_u32 s7, s13, s7
	v_add_co_u32 v1, vcc_lo, s17, v1
	v_add_co_ci_u32_e32 v2, vcc_lo, s13, v2, vcc_lo
	s_delay_alu instid0(VALU_DEP_3) | instskip(NEXT) | instid1(VALU_DEP_4)
	v_add_co_u32 v3, vcc_lo, s17, v3
	v_add_co_ci_u32_e32 v4, vcc_lo, s13, v4, vcc_lo
	s_clause 0x1
	global_load_b32 v5, v[1:2], off
	global_load_b32 v6, v[3:4], off
	s_or_b32 s4, s16, 32
	s_delay_alu instid0(SALU_CYCLE_1) | instskip(SKIP_2) | instid1(SALU_CYCLE_1)
	s_ashr_i32 s8, s4, 5
	s_cmp_lt_i32 s4, s18
	s_cselect_b32 s8, s8, s3
	s_ashr_i32 s9, s8, 31
	s_delay_alu instid0(SALU_CYCLE_1) | instskip(NEXT) | instid1(SALU_CYCLE_1)
	s_lshl_b64 s[8:9], s[8:9], 2
	s_add_u32 s8, s17, s8
	s_addc_u32 s9, s13, s9
	s_or_b32 s4, s16, 64
	s_delay_alu instid0(SALU_CYCLE_1) | instskip(SKIP_2) | instid1(SALU_CYCLE_1)
	s_ashr_i32 s12, s4, 5
	s_cmp_lt_i32 s4, s18
	s_cselect_b32 s24, s12, s3
	s_ashr_i32 s25, s24, 31
	s_delay_alu instid0(SALU_CYCLE_1) | instskip(NEXT) | instid1(SALU_CYCLE_1)
	s_lshl_b64 s[24:25], s[24:25], 2
	s_add_u32 s24, s17, s24
	s_addc_u32 s25, s13, s25
	;; [unrolled: 10-line block ×5, first 2 shown]
	s_clause 0x5
	s_load_b32 s12, s[6:7], 0x0
	s_load_b32 s4, s[8:9], 0x0
	;; [unrolled: 1-line block ×6, first 2 shown]
	s_or_b32 s21, s16, 0xc0
	s_waitcnt vmcnt(1)
	v_mad_i64_i32 v[1:2], null, v5, s5, s[22:23]
	v_lshlrev_b32_e32 v5, 4, v68
	s_waitcnt vmcnt(0)
	v_mad_i64_i32 v[3:4], null, v6, s5, s[22:23]
	s_ashr_i32 s22, s21, 5
	s_cmp_lt_i32 s21, s18
	s_delay_alu instid0(VALU_DEP_3) | instskip(NEXT) | instid1(VALU_DEP_4)
	v_add_co_u32 v1, vcc_lo, v1, v5
	v_add_co_ci_u32_e32 v2, vcc_lo, 0, v2, vcc_lo
	s_delay_alu instid0(VALU_DEP_3) | instskip(NEXT) | instid1(VALU_DEP_4)
	v_add_co_u32 v3, vcc_lo, v3, v5
	v_add_co_ci_u32_e32 v4, vcc_lo, 0, v4, vcc_lo
	s_clause 0x7
	global_load_b128 v[71:74], v[1:2], off
	global_load_b128 v[75:78], v[1:2], off offset:512
	global_load_b128 v[79:82], v[3:4], off offset:256
	;; [unrolled: 1-line block ×7, first 2 shown]
	s_cselect_b32 s22, s22, s3
	v_lshlrev_b32_e32 v1, 5, v68
	s_ashr_i32 s23, s22, 31
	v_cmp_ne_u32_e32 vcc_lo, 15, v68
	s_lshl_b64 s[22:23], s[22:23], 2
	s_delay_alu instid0(SALU_CYCLE_1)
	s_add_u32 s22, s17, s22
	s_addc_u32 s23, s13, s23
	s_or_b32 s21, s16, 0xe0
	v_lshl_or_b32 v1, v69, 9, v1
	s_ashr_i32 s24, s21, 5
	s_cmp_lt_i32 s21, s18
	v_cndmask_b32_e32 v103, 0, v68, vcc_lo
	s_cselect_b32 s24, s24, s3
	s_load_b32 s3, s[22:23], 0x0
	s_ashr_i32 s25, s24, 31
	v_cmp_gt_i32_e32 vcc_lo, 32, v128
	s_lshl_b64 s[24:25], s[24:25], 2
	v_lshlrev_b32_e32 v115, 6, v103
	s_add_u32 s22, s17, s24
	s_addc_u32 s23, s13, s25
	v_cndmask_b32_e32 v136, v127, v128, vcc_lo
	s_add_u32 s10, s10, s15
	s_addc_u32 s11, s11, s20
	v_add_co_u32 v1, s10, s10, v1
	s_delay_alu instid0(VALU_DEP_1) | instskip(SKIP_2) | instid1(VALU_DEP_1)
	v_add_co_ci_u32_e64 v2, null, s11, 0, s10
	s_load_b32 s10, s[22:23], 0x0
	s_waitcnt lgkmcnt(0)
	v_mad_i64_i32 v[3:4], null, s12, s5, v[1:2]
	v_mad_i64_i32 v[9:10], null, s7, s5, v[1:2]
	;; [unrolled: 1-line block ×7, first 2 shown]
	s_clause 0x5
	global_load_b128 v[49:52], v[3:4], off
	global_load_b128 v[53:56], v[3:4], off offset:16
	global_load_b128 v[41:44], v[5:6], off
	global_load_b128 v[45:48], v[5:6], off offset:16
	;; [unrolled: 2-line block ×3, first 2 shown]
	s_mov_b32 s4, 0
	v_mad_i64_i32 v[61:62], null, s10, s5, v[1:2]
	s_clause 0x9
	global_load_b128 v[1:4], v[9:10], off
	global_load_b128 v[5:8], v[9:10], off offset:16
	global_load_b128 v[9:12], v[13:14], off
	global_load_b128 v[13:16], v[13:14], off offset:16
	;; [unrolled: 2-line block ×5, first 2 shown]
	s_mov_b32 s5, s4
	s_mov_b32 s6, s4
	;; [unrolled: 1-line block ×7, first 2 shown]
	v_and_b32_e32 v104, 0xe0, v0
	v_dual_mov_b32 v126, s11 :: v_dual_mov_b32 v125, s10
	v_dual_mov_b32 v124, s9 :: v_dual_mov_b32 v123, s8
	s_delay_alu instid0(VALU_DEP_3)
	v_add_nc_u32_e32 v111, s16, v104
	ds_load_b128 v[103:106], v115
	ds_load_b128 v[107:110], v115 offset:1024
	v_dual_mov_b32 v122, s7 :: v_dual_mov_b32 v121, s6
	v_mov_b32_e32 v120, s5
	v_or_b32_e32 v135, v111, v66
	ds_load_b128 v[111:114], v115 offset:2048
	ds_load_b128 v[115:118], v115 offset:3072
	v_mov_b32_e32 v119, s4
	s_waitcnt vmcnt(0) lgkmcnt(0)
	s_barrier
	v_or_b32_e32 v137, 2, v135
	v_or_b32_e32 v138, 4, v135
	;; [unrolled: 1-line block ×3, first 2 shown]
	v_cmp_gt_i32_e32 vcc_lo, s18, v135
	v_or_b32_e32 v140, 8, v135
	v_cmp_gt_i32_e64 s3, s18, v137
	v_or_b32_e32 v141, 10, v135
	v_cmp_gt_i32_e64 s4, s18, v138
	v_cmp_gt_i32_e64 s5, s18, v139
	v_or_b32_e32 v142, 12, v135
	v_or_b32_e32 v143, 14, v135
	v_cmp_gt_i32_e64 s6, s18, v140
	v_cmp_gt_i32_e64 s7, s18, v141
	v_or_b32_e32 v144, 16, v135
	v_or_b32_e32 v145, 18, v135
	v_cmp_gt_i32_e64 s8, s18, v142
	v_cmp_gt_i32_e64 s9, s18, v143
	buffer_gl0_inv
	v_cmp_gt_i32_e64 s10, s18, v144
	v_cmp_gt_i32_e64 s11, s18, v145
	v_wmma_f32_16x16x16_f16 v[127:134], v[71:78], v[103:110], v[119:126]
	v_wmma_f32_16x16x16_f16 v[119:126], v[79:86], v[103:110], v[119:126]
	v_or_b32_e32 v71, 20, v135
	v_or_b32_e32 v72, 22, v135
	s_delay_alu instid0(VALU_DEP_4)
	v_wmma_f32_16x16x16_f16 v[127:134], v[87:94], v[111:118], v[127:134]
	v_or_b32_e32 v73, 24, v135
	v_wmma_f32_16x16x16_f16 v[119:126], v[95:102], v[111:118], v[119:126]
	v_or_b32_e32 v74, 26, v135
	v_cmp_gt_i32_e64 s12, s18, v71
	v_dual_mul_f32 v84, s19, v127 :: v_dual_mul_f32 v83, s19, v128
	s_delay_alu instid0(VALU_DEP_4) | instskip(SKIP_2) | instid1(VALU_DEP_4)
	v_dual_mul_f32 v92, s19, v119 :: v_dual_mul_f32 v81, s19, v130
	v_mul_f32_e32 v90, s19, v121
	v_mul_f32_e32 v82, s19, v129
	v_cndmask_b32_e32 v84, 0xff7fffff, v84, vcc_lo
	v_cndmask_b32_e64 v83, 0xff7fffff, v83, s3
	v_dual_mul_f32 v79, s19, v132 :: v_dual_mul_f32 v88, s19, v123
	v_mul_f32_e32 v80, s19, v131
	v_cndmask_b32_e64 v82, 0xff7fffff, v82, s4
	v_cndmask_b32_e64 v81, 0xff7fffff, v81, s5
	v_max3_f32 v83, v84, 0xff7fffff, v83
	v_dual_mul_f32 v77, s19, v134 :: v_dual_mul_f32 v86, s19, v125
	v_mul_f32_e32 v78, s19, v133
	v_cndmask_b32_e64 v80, 0xff7fffff, v80, s6
	v_cndmask_b32_e64 v79, 0xff7fffff, v79, s7
	v_max3_f32 v81, v83, v82, v81
	v_mul_f32_e32 v91, s19, v120
	v_cndmask_b32_e64 v78, 0xff7fffff, v78, s8
	v_cndmask_b32_e64 v77, 0xff7fffff, v77, s9
	v_mul_f32_e32 v89, s19, v122
	v_max3_f32 v79, v81, v80, v79
	v_cndmask_b32_e64 v80, 0xff7fffff, v92, s10
	v_cndmask_b32_e64 v81, 0xff7fffff, v91, s11
	v_cmp_gt_i32_e64 s13, s18, v72
	v_or_b32_e32 v75, 28, v135
	v_max3_f32 v77, v79, v78, v77
	v_or_b32_e32 v76, 30, v135
	v_mul_f32_e32 v87, s19, v124
	v_cndmask_b32_e64 v71, 0xff7fffff, v90, s12
	v_cndmask_b32_e64 v72, 0xff7fffff, v89, s13
	v_max3_f32 v77, v77, v80, v81
	v_cmp_gt_i32_e64 s15, s18, v73
	v_cmp_gt_i32_e64 s16, s18, v74
	v_mul_f32_e32 v85, s19, v126
	v_cmp_gt_i32_e64 s17, s18, v75
	v_max3_f32 v71, v77, v71, v72
	v_cndmask_b32_e64 v73, 0xff7fffff, v88, s15
	v_cndmask_b32_e64 v74, 0xff7fffff, v87, s16
	v_cmp_gt_i32_e64 s18, s18, v76
	v_cndmask_b32_e64 v72, 0xff7fffff, v86, s17
	s_delay_alu instid0(VALU_DEP_3) | instskip(NEXT) | instid1(VALU_DEP_3)
	v_max3_f32 v71, v71, v73, v74
	v_cndmask_b32_e64 v75, 0xff7fffff, v85, s18
	v_lshlrev_b32_e32 v73, 2, v136
	s_delay_alu instid0(VALU_DEP_2) | instskip(SKIP_3) | instid1(VALU_DEP_1)
	v_max3_f32 v71, v71, v72, v75
	ds_bpermute_b32 v72, v73, v71
	s_waitcnt lgkmcnt(0)
	v_max_f32_e32 v72, v72, v72
	v_max_f32_e32 v71, v71, v72
	s_delay_alu instid0(VALU_DEP_1) | instskip(SKIP_2) | instid1(VALU_DEP_3)
	v_fma_f32 v72, s19, v127, -v71
	v_fma_f32 v74, s19, v128, -v71
	v_fma_f32 v75, s19, v129, -v71
	v_mul_f32_e32 v72, 0x3fb8aa3b, v72
	s_delay_alu instid0(VALU_DEP_2) | instskip(NEXT) | instid1(VALU_DEP_2)
	v_dual_mul_f32 v74, 0x3fb8aa3b, v74 :: v_dual_mul_f32 v75, 0x3fb8aa3b, v75
	v_exp_f32_e32 v72, v72
	s_delay_alu instid0(VALU_DEP_1) | instskip(NEXT) | instid1(VALU_DEP_1)
	v_exp_f32_e32 v74, v74
	v_exp_f32_e32 v75, v75
	s_delay_alu instid0(TRANS32_DEP_3)
	v_cndmask_b32_e32 v79, 0, v72, vcc_lo
	s_waitcnt_depctr 0xfff
	v_cndmask_b32_e64 v78, 0, v74, s3
	v_cndmask_b32_e64 v81, 0, v75, s4
	v_cmp_gt_u32_e64 s3, 16, v70
	v_add_f32_e32 v74, 0, v79
	s_delay_alu instid0(VALU_DEP_1) | instskip(NEXT) | instid1(VALU_DEP_1)
	v_add_f32_e32 v74, v74, v78
	v_add_f32_e32 v74, v74, v81
	v_fma_f32 v76, s19, v130, -v71
	v_fma_f32 v77, s19, v131, -v71
	;; [unrolled: 1-line block ×5, first 2 shown]
	s_delay_alu instid0(VALU_DEP_4) | instskip(NEXT) | instid1(VALU_DEP_4)
	v_dual_mul_f32 v76, 0x3fb8aa3b, v76 :: v_dual_mul_f32 v77, 0x3fb8aa3b, v77
	v_mul_f32_e32 v72, 0x3fb8aa3b, v72
	s_delay_alu instid0(VALU_DEP_4) | instskip(SKIP_1) | instid1(VALU_DEP_4)
	v_mul_f32_e32 v82, 0x3fb8aa3b, v80
	v_fma_f32 v86, s19, v122, -v71
	v_exp_f32_e32 v76, v76
	v_exp_f32_e32 v77, v77
	;; [unrolled: 1-line block ×4, first 2 shown]
	v_mul_f32_e32 v86, 0x3fb8aa3b, v86
	s_delay_alu instid0(VALU_DEP_1)
	v_exp_f32_e32 v88, v86
	v_cndmask_b32_e64 v80, 0, v76, s5
	v_mul_f32_e32 v75, 0x3fb8aa3b, v75
	v_fma_f32 v76, s19, v119, -v71
	v_cndmask_b32_e64 v83, 0, v77, s6
	v_fma_f32 v77, s19, v120, -v71
	v_add_f32_e32 v74, v74, v80
	v_exp_f32_e32 v75, v75
	v_mul_f32_e32 v76, 0x3fb8aa3b, v76
	v_cndmask_b32_e64 v82, 0, v72, s7
	s_delay_alu instid0(VALU_DEP_3) | instskip(SKIP_1) | instid1(VALU_DEP_4)
	v_dual_mul_f32 v77, 0x3fb8aa3b, v77 :: v_dual_add_f32 v72, v74, v83
	v_fma_f32 v74, s19, v121, -v71
	v_exp_f32_e32 v76, v76
	v_cndmask_b32_e64 v85, 0, v84, s8
	s_delay_alu instid0(VALU_DEP_3) | instskip(SKIP_1) | instid1(TRANS32_DEP_3)
	v_exp_f32_e32 v77, v77
	v_cndmask_b32_e64 v88, 0, v88, s13
	v_cndmask_b32_e64 v84, 0, v75, s9
	v_fma_f32 v75, s19, v123, -v71
	v_add_f32_e32 v72, v72, v82
	s_delay_alu instid0(VALU_DEP_2) | instskip(NEXT) | instid1(VALU_DEP_2)
	v_dual_mul_f32 v74, 0x3fb8aa3b, v74 :: v_dual_mul_f32 v75, 0x3fb8aa3b, v75
	v_add_f32_e32 v72, v72, v85
	s_delay_alu instid0(VALU_DEP_2)
	v_exp_f32_e32 v74, v74
	v_cndmask_b32_e64 v87, 0, v76, s10
	v_fma_f32 v76, s19, v124, -v71
	v_cndmask_b32_e64 v86, 0, v77, s11
	v_add_f32_e32 v72, v72, v84
	v_fma_f32 v77, s19, v125, -v71
	v_exp_f32_e32 v75, v75
	v_mul_f32_e32 v76, 0x3fb8aa3b, v76
	s_delay_alu instid0(VALU_DEP_3) | instskip(NEXT) | instid1(TRANS32_DEP_2)
	v_add_f32_e32 v72, v72, v87
	v_cndmask_b32_e64 v89, 0, v74, s12
	v_mul_f32_e32 v74, 0x3fb8aa3b, v77
	s_delay_alu instid0(VALU_DEP_4) | instskip(SKIP_2) | instid1(VALU_DEP_3)
	v_exp_f32_e32 v76, v76
	v_fma_f32 v77, s19, v126, -v71
	v_add_f32_e32 v72, v72, v86
	v_exp_f32_e32 v74, v74
	s_delay_alu instid0(TRANS32_DEP_3) | instskip(NEXT) | instid1(VALU_DEP_3)
	v_cndmask_b32_e64 v91, 0, v75, s15
	v_mul_f32_e32 v75, 0x3fb8aa3b, v77
	s_delay_alu instid0(VALU_DEP_3) | instskip(NEXT) | instid1(TRANS32_DEP_2)
	v_add_f32_e32 v72, v72, v89
	v_cndmask_b32_e64 v90, 0, v76, s16
	s_delay_alu instid0(VALU_DEP_3) | instskip(NEXT) | instid1(VALU_DEP_2)
	v_exp_f32_e32 v75, v75
	v_add_f32_e32 v72, v72, v88
	s_delay_alu instid0(TRANS32_DEP_2) | instskip(NEXT) | instid1(VALU_DEP_2)
	v_cndmask_b32_e64 v93, 0, v74, s17
	v_add_f32_e32 v72, v72, v91
	s_waitcnt_depctr 0xfff
	v_cndmask_b32_e64 v92, 0, v75, s18
	v_add_f32_e32 v72, v72, v90
	s_delay_alu instid0(VALU_DEP_1) | instskip(NEXT) | instid1(VALU_DEP_1)
	v_add_f32_e32 v72, v72, v93
	v_add_f32_e32 v72, v72, v92
	ds_bpermute_b32 v73, v73, v72
	s_and_saveexec_b32 s4, s3
	s_cbranch_execz .LBB924_12
; %bb.11:
	v_mul_u32_u24_e32 v70, 0x44, v69
	s_waitcnt lgkmcnt(0)
	v_add_f32_e32 v72, v72, v73
	s_delay_alu instid0(VALU_DEP_2) | instskip(NEXT) | instid1(VALU_DEP_1)
	v_lshl_add_u32 v70, v68, 2, v70
	v_add_nc_u32_e32 v70, 0x4000, v70
	ds_store_2addr_b32 v70, v71, v72 offset1:136
.LBB924_12:
	s_or_b32 exec_lo, exec_lo, s4
	v_lshlrev_b32_e32 v70, 2, v68
	s_load_b32 s36, s[0:1], 0x94
	s_waitcnt lgkmcnt(0)
	s_barrier
	buffer_gl0_inv
	v_add_nc_u32_e32 v98, 0x4000, v70
	v_cmp_eq_u32_e32 vcc_lo, 1, v69
	v_cmp_eq_u32_e64 s4, 2, v69
	v_cmp_eq_u32_e64 s5, 3, v69
	;; [unrolled: 1-line block ×3, first 2 shown]
	ds_load_2addr_b32 v[70:71], v98 offset1:17
	ds_load_2addr_b32 v[72:73], v98 offset0:34 offset1:51
	ds_load_2addr_b32 v[74:75], v98 offset0:68 offset1:85
	;; [unrolled: 1-line block ×3, first 2 shown]
	v_cmp_eq_u32_e64 s7, 5, v69
	v_cmp_eq_u32_e64 s8, 7, v69
	s_waitcnt lgkmcnt(3)
	v_max3_f32 v76, v70, 0xff7fffff, v71
	s_waitcnt lgkmcnt(2)
	s_delay_alu instid0(VALU_DEP_1) | instskip(SKIP_1) | instid1(VALU_DEP_1)
	v_max3_f32 v76, v76, v72, v73
	s_waitcnt lgkmcnt(1)
	v_max3_f32 v76, v76, v74, v75
	s_waitcnt lgkmcnt(0)
	s_delay_alu instid0(VALU_DEP_1) | instskip(NEXT) | instid1(VALU_DEP_1)
	v_max3_f32 v76, v76, v94, v95
	v_sub_f32_e32 v77, v71, v76
	ds_load_2addr_b32 v[96:97], v98 offset0:136 offset1:153
	v_sub_f32_e32 v74, v74, v76
	v_sub_f32_e32 v70, v70, v76
	;; [unrolled: 1-line block ×3, first 2 shown]
	v_dual_sub_f32 v72, v72, v76 :: v_dual_mul_f32 v77, 0x3fb8aa3b, v77
	s_delay_alu instid0(VALU_DEP_4) | instskip(NEXT) | instid1(VALU_DEP_4)
	v_mul_f32_e32 v103, 0x3fb8aa3b, v74
	v_mul_f32_e32 v99, 0x3fb8aa3b, v70
	ds_load_2addr_b32 v[70:71], v98 offset0:170 offset1:187
	v_dual_mul_f32 v101, 0x3fb8aa3b, v72 :: v_dual_mul_f32 v94, 0x3fb8aa3b, v94
	v_exp_f32_e32 v102, v77
	v_exp_f32_e32 v99, v99
	s_delay_alu instid0(VALU_DEP_1) | instskip(NEXT) | instid1(VALU_DEP_1)
	v_exp_f32_e32 v101, v101
	v_exp_f32_e32 v94, v94
	s_waitcnt lgkmcnt(1)
	s_delay_alu instid0(TRANS32_DEP_3)
	v_fma_f32 v77, v99, v96, 0
	v_sub_f32_e32 v100, v73, v76
	ds_load_2addr_b32 v[72:73], v98 offset0:204 offset1:221
	v_fmac_f32_e32 v77, v102, v97
	v_exp_f32_e32 v97, v103
	s_waitcnt lgkmcnt(1)
	s_delay_alu instid0(VALU_DEP_1)
	v_dual_fmac_f32 v77, v101, v70 :: v_dual_sub_f32 v96, v75, v76
	ds_load_2addr_b32 v[74:75], v98 offset0:238 offset1:255
	v_sub_f32_e32 v70, v95, v76
	s_waitcnt lgkmcnt(0)
	s_barrier
	v_mul_f32_e32 v96, 0x3fb8aa3b, v96
	buffer_gl0_inv
	v_exp_f32_e32 v95, v96
	v_mul_f32_e32 v100, 0x3fb8aa3b, v100
	s_delay_alu instid0(VALU_DEP_1) | instskip(SKIP_3) | instid1(VALU_DEP_2)
	v_exp_f32_e32 v100, v100
	s_waitcnt_depctr 0xfff
	v_dual_fmac_f32 v77, v100, v71 :: v_dual_mul_f32 v70, 0x3fb8aa3b, v70
	v_cndmask_b32_e32 v71, v99, v102, vcc_lo
	v_fmac_f32_e32 v77, v97, v72
	s_delay_alu instid0(VALU_DEP_3) | instskip(NEXT) | instid1(VALU_DEP_1)
	v_exp_f32_e32 v96, v70
	v_fmac_f32_e32 v77, v95, v73
	s_delay_alu instid0(VALU_DEP_1) | instskip(SKIP_2) | instid1(VALU_DEP_1)
	v_fmac_f32_e32 v77, v94, v74
	s_waitcnt_depctr 0xfff
	v_fmac_f32_e32 v77, v96, v75
	v_add_f32_e32 v74, 0x358637bd, v77
	s_delay_alu instid0(VALU_DEP_1) | instskip(SKIP_1) | instid1(VALU_DEP_2)
	v_div_scale_f32 v98, null, v74, v74, 1.0
	v_div_scale_f32 v99, vcc_lo, 1.0, v74, 1.0
	v_rcp_f32_e32 v103, v98
	s_waitcnt_depctr 0xfff
	v_fma_f32 v70, -v98, v103, 1.0
	s_delay_alu instid0(VALU_DEP_1) | instskip(SKIP_2) | instid1(VALU_DEP_2)
	v_fmac_f32_e32 v103, v70, v103
	v_cndmask_b32_e64 v70, v71, v101, s4
	v_cmp_eq_u32_e64 s4, 6, v69
	v_cndmask_b32_e64 v71, v70, v100, s5
	s_delay_alu instid0(VALU_DEP_4) | instskip(NEXT) | instid1(VALU_DEP_2)
	v_dual_mul_f32 v101, v99, v103 :: v_dual_lshlrev_b32 v70, 2, v66
	v_cndmask_b32_e64 v71, v71, v97, s6
	s_delay_alu instid0(VALU_DEP_2) | instskip(NEXT) | instid1(VALU_DEP_3)
	v_or_b32_e32 v72, 1, v70
	v_fma_f32 v100, -v98, v101, v99
	v_cmp_eq_u32_e64 s5, 1, v70
	v_cmp_eq_u32_e64 s6, 2, v70
	v_cndmask_b32_e64 v95, v71, v95, s7
	v_or_b32_e32 v71, 3, v70
	v_fmac_f32_e32 v101, v100, v103
	v_cmp_eq_u32_e64 s10, 1, v72
	v_cmp_eq_u32_e64 s13, 2, v72
	v_cndmask_b32_e64 v94, v95, v94, s4
	v_cmp_eq_u32_e64 s12, 1, v71
	v_fma_f32 v97, -v98, v101, v99
	v_cmp_eq_u32_e64 s17, 2, v71
	v_cmp_eq_u32_e64 s15, 3, v72
	v_cndmask_b32_e64 v94, v94, v96, s8
	v_cmp_eq_u32_e64 s19, 3, v71
	v_div_fmas_f32 v95, v97, v103, v101
	v_cmp_eq_u32_e32 vcc_lo, 3, v70
	v_cmp_eq_u32_e64 s4, 4, v70
	v_cmp_eq_u32_e64 s20, 4, v72
	;; [unrolled: 1-line block ×3, first 2 shown]
	v_div_fixup_f32 v95, v95, v74, 1.0
	v_lshlrev_b32_e32 v73, 6, v68
	v_cmp_eq_u32_e64 s7, 5, v70
	v_cmp_eq_u32_e64 s21, 5, v72
	;; [unrolled: 1-line block ×3, first 2 shown]
	v_mul_f32_e32 v102, v94, v95
	v_lshl_or_b32 v75, v69, 11, v73
	v_or_b32_e32 v69, 2, v70
	v_cmp_eq_u32_e64 s26, 6, v72
	v_cmp_eq_u32_e64 s28, 6, v71
	v_fma_mixlo_f16 v94, v102, v79, 0
	v_fma_mixlo_f16 v95, v102, v81, 0
	;; [unrolled: 1-line block ×8, first 2 shown]
	v_lshl_or_b32 v74, v66, 4, v75
	v_fma_mixhi_f16 v94, v102, v78, 0
	v_fma_mixhi_f16 v95, v102, v80, 0
	;; [unrolled: 1-line block ×8, first 2 shown]
	ds_store_b128 v74, v[94:97]
	ds_store_b128 v74, v[98:101] offset:1024
	s_waitcnt lgkmcnt(0)
	s_barrier
	buffer_gl0_inv
	ds_load_b128 v[78:81], v75
	ds_load_b128 v[82:85], v75 offset:16
	ds_load_b128 v[86:89], v75 offset:1024
	;; [unrolled: 1-line block ×3, first 2 shown]
	v_cmp_eq_u32_e64 s11, 1, v69
	v_cmp_eq_u32_e64 s16, 2, v69
	;; [unrolled: 1-line block ×11, first 2 shown]
	s_waitcnt lgkmcnt(3)
	v_lshrrev_b32_e32 v94, 16, v78
	s_waitcnt lgkmcnt(2)
	v_lshrrev_b32_e32 v98, 16, v82
	;; [unrolled: 2-line block ×4, first 2 shown]
	v_lshrrev_b32_e32 v95, 16, v79
	v_cndmask_b32_e64 v110, v78, v94, s5
	v_cndmask_b32_e64 v111, v82, v98, s5
	;; [unrolled: 1-line block ×8, first 2 shown]
	v_lshrrev_b32_e32 v99, 16, v83
	v_cndmask_b32_e64 v94, v86, v102, s5
	v_cndmask_b32_e64 v98, v90, v106, s5
	;; [unrolled: 1-line block ×15, first 2 shown]
	v_lshrrev_b32_e32 v103, 16, v87
	v_lshrrev_b32_e32 v107, 16, v91
	v_cndmask_b32_e64 v113, v115, v83, s16
	v_cndmask_b32_e64 v82, v94, v87, s6
	;; [unrolled: 1-line block ×7, first 2 shown]
	v_cndmask_b32_e32 v90, v102, v95, vcc_lo
	v_cndmask_b32_e32 v102, v106, v99, vcc_lo
	v_cndmask_b32_e64 v106, v110, v95, s15
	v_cndmask_b32_e64 v110, v111, v99, s15
	;; [unrolled: 1-line block ×4, first 2 shown]
	v_lshrrev_b32_e32 v96, 16, v80
	v_lshrrev_b32_e32 v100, 16, v84
	v_cndmask_b32_e64 v111, v112, v95, s18
	v_cndmask_b32_e64 v112, v113, v99, s18
	v_cndmask_b32_e32 v82, v82, v103, vcc_lo
	v_cndmask_b32_e32 v83, v83, v107, vcc_lo
	v_cndmask_b32_e64 v94, v94, v103, s15
	v_cndmask_b32_e64 v90, v90, v80, s4
	;; [unrolled: 1-line block ×7, first 2 shown]
	v_lshrrev_b32_e32 v104, 16, v88
	v_cndmask_b32_e64 v106, v111, v80, s22
	v_cndmask_b32_e64 v110, v112, v84, s22
	;; [unrolled: 1-line block ×11, first 2 shown]
	v_lshrrev_b32_e32 v97, 16, v81
	v_lshrrev_b32_e32 v101, 16, v85
	v_cndmask_b32_e64 v99, v106, v96, s24
	v_cndmask_b32_e64 v102, v110, v100, s24
	;; [unrolled: 1-line block ×7, first 2 shown]
	v_lshrrev_b32_e32 v105, 16, v89
	v_cndmask_b32_e64 v80, v80, v104, s7
	v_cndmask_b32_e64 v84, v84, v81, s8
	;; [unrolled: 1-line block ×16, first 2 shown]
	v_perm_b32 v81, v79, v78, 0x5040100
	v_perm_b32 v79, v95, v85, 0x5040100
	v_cndmask_b32_e64 v78, v119, v91, s16
	v_cndmask_b32_e64 v85, v117, v91, s13
	;; [unrolled: 1-line block ×3, first 2 shown]
	v_perm_b32 v80, v94, v90, 0x5040100
	v_cndmask_b32_e64 v90, v98, v103, s18
	v_cndmask_b32_e64 v86, v86, v103, s19
	v_cndmask_b32_e64 v87, v87, v107, s19
	v_cndmask_b32_e64 v78, v78, v107, s18
	v_cndmask_b32_e64 v85, v85, v107, s15
	v_lshrrev_b32_e32 v108, 16, v92
	v_cndmask_b32_e64 v90, v90, v88, s22
	v_cndmask_b32_e64 v86, v86, v88, s23
	;; [unrolled: 1-line block ×11, first 2 shown]
	v_lshrrev_b32_e32 v109, 16, v93
	v_cndmask_b32_e64 v82, v82, v93, s8
	v_cndmask_b32_e64 v88, v88, v89, s27
	;; [unrolled: 1-line block ×12, first 2 shown]
	v_perm_b32 v78, v84, v83, 0x5040100
	v_perm_b32 v85, v87, v86, 0x5040100
	;; [unrolled: 1-line block ×5, first 2 shown]
	s_mul_i32 s9, s35, 15
	s_mov_b32 s4, exec_lo
	ds_store_b128 v74, v[78:81]
	ds_store_b128 v74, v[82:85] offset:1024
	v_cmpx_gt_u32_e32 15, v0
	s_cbranch_execz .LBB924_14
; %bb.13:
	s_mul_i32 s5, s9, s34
	s_load_b128 s[16:19], s[0:1], 0x58
	v_add3_u32 v68, s5, s33, v68
	s_delay_alu instid0(VALU_DEP_1) | instskip(NEXT) | instid1(VALU_DEP_1)
	v_mad_u64_u32 v[78:79], null, v68, s36, s[14:15]
	v_ashrrev_i32_e32 v79, 31, v78
	s_delay_alu instid0(VALU_DEP_1) | instskip(SKIP_1) | instid1(VALU_DEP_1)
	v_lshlrev_b64 v[78:79], 2, v[78:79]
	s_waitcnt lgkmcnt(0)
	v_add_co_u32 v80, vcc_lo, s18, v78
	s_delay_alu instid0(VALU_DEP_2)
	v_add_co_ci_u32_e32 v81, vcc_lo, s19, v79, vcc_lo
	v_add_co_u32 v78, vcc_lo, s16, v78
	v_add_co_ci_u32_e32 v79, vcc_lo, s17, v79, vcc_lo
	global_store_b32 v[80:81], v76, off
	global_store_b32 v[78:79], v77, off
.LBB924_14:
	s_or_b32 exec_lo, exec_lo, s4
	s_waitcnt lgkmcnt(0)
	s_waitcnt_vscnt null, 0x0
	s_barrier
	buffer_gl0_inv
	ds_load_b128 v[84:87], v73
	ds_load_b128 v[88:91], v73 offset:16
	ds_load_b128 v[96:99], v73 offset:2064
	;; [unrolled: 1-line block ×5, first 2 shown]
	v_cmp_eq_u32_e32 vcc_lo, 1, v70
	v_mov_b32_e32 v76, 0
	ds_load_b128 v[112:115], v73 offset:6160
	ds_load_b128 v[108:111], v73 offset:6144
	;; [unrolled: 1-line block ×4, first 2 shown]
	v_cmp_eq_u32_e64 s5, 1, v69
	v_cmp_eq_u32_e64 s4, 1, v72
	;; [unrolled: 1-line block ×3, first 2 shown]
	v_mov_b32_e32 v77, v76
	v_mov_b32_e32 v78, v76
	;; [unrolled: 1-line block ×7, first 2 shown]
	v_cmp_eq_u32_e64 s7, 3, v72
	v_cmp_eq_u32_e64 s8, 7, v72
	s_waitcnt lgkmcnt(8)
	s_delay_alu instid0(VALU_DEP_3)
	v_wmma_f32_16x16x16_f16 v[76:83], v[49:56], v[84:91], v[76:83]
	ds_load_b128 v[53:56], v73 offset:10256
	ds_load_b128 v[49:52], v73 offset:10240
	s_waitcnt lgkmcnt(8)
	v_wmma_f32_16x16x16_f16 v[76:83], v[41:48], v[92:99], v[76:83]
	ds_load_b128 v[45:48], v73 offset:12304
	ds_load_b128 v[41:44], v73 offset:12288
	s_waitcnt lgkmcnt(8)
	;; [unrolled: 4-line block ×3, first 2 shown]
	s_barrier
	buffer_gl0_inv
	v_wmma_f32_16x16x16_f16 v[76:83], v[1:8], v[108:115], v[76:83]
	s_delay_alu instid0(VALU_DEP_1) | instskip(NEXT) | instid1(VALU_DEP_1)
	v_wmma_f32_16x16x16_f16 v[76:83], v[9:16], v[116:123], v[76:83]
	v_wmma_f32_16x16x16_f16 v[76:83], v[17:24], v[49:56], v[76:83]
	s_delay_alu instid0(VALU_DEP_1) | instskip(NEXT) | instid1(VALU_DEP_1)
	v_wmma_f32_16x16x16_f16 v[76:83], v[25:32], v[41:48], v[76:83]
	v_wmma_f32_16x16x16_f16 v[76:83], v[57:64], v[33:40], v[76:83]
	s_delay_alu instid0(VALU_DEP_1) | instskip(NEXT) | instid1(VALU_DEP_2)
	v_cvt_f16_f32_e32 v1, v76
	v_cvt_f16_f32_e32 v2, v77
	s_delay_alu instid0(VALU_DEP_3) | instskip(NEXT) | instid1(VALU_DEP_4)
	v_cvt_f16_f32_e32 v3, v78
	v_cvt_f16_f32_e32 v4, v79
	;; [unrolled: 1-line block ×6, first 2 shown]
	v_pack_b32_f16 v1, v1, v2
	v_pack_b32_f16 v2, v3, v4
	;; [unrolled: 1-line block ×3, first 2 shown]
	s_delay_alu instid0(VALU_DEP_4)
	v_pack_b32_f16 v4, v7, v8
	ds_store_b128 v74, v[1:4]
	s_waitcnt lgkmcnt(0)
	s_barrier
	buffer_gl0_inv
	ds_load_b128 v[1:4], v75
	ds_load_b128 v[5:8], v75 offset:16
	s_waitcnt lgkmcnt(1)
	v_lshrrev_b32_e32 v9, 16, v1
	s_waitcnt lgkmcnt(0)
	v_lshrrev_b32_e32 v13, 16, v5
	v_lshrrev_b32_e32 v10, 16, v2
	;; [unrolled: 1-line block ×4, first 2 shown]
	v_cndmask_b32_e32 v17, v1, v9, vcc_lo
	v_cndmask_b32_e32 v18, v5, v13, vcc_lo
	v_cndmask_b32_e64 v21, v1, v9, s5
	v_cmp_eq_u32_e32 vcc_lo, 1, v71
	v_cndmask_b32_e64 v22, v5, v13, s5
	v_cmp_eq_u32_e64 s5, 2, v70
	v_cndmask_b32_e64 v19, v1, v9, s4
	v_cndmask_b32_e64 v20, v5, v13, s4
	v_cndmask_b32_e32 v1, v1, v9, vcc_lo
	v_cmp_eq_u32_e64 s4, 2, v71
	v_cndmask_b32_e32 v5, v5, v13, vcc_lo
	v_cndmask_b32_e64 v9, v17, v2, s5
	v_cmp_eq_u32_e32 vcc_lo, 3, v70
	v_cndmask_b32_e64 v13, v18, v6, s5
	v_cmp_eq_u32_e64 s5, 2, v69
	v_cndmask_b32_e64 v17, v19, v2, s6
	v_cndmask_b32_e64 v18, v20, v6, s6
	v_cmp_eq_u32_e64 s6, 3, v69
	v_cndmask_b32_e64 v1, v1, v2, s4
	v_cndmask_b32_e64 v19, v21, v2, s5
	;; [unrolled: 1-line block ×4, first 2 shown]
	v_cndmask_b32_e32 v5, v9, v10, vcc_lo
	v_cndmask_b32_e32 v6, v13, v14, vcc_lo
	v_cmp_eq_u32_e32 vcc_lo, 3, v71
	v_cndmask_b32_e64 v9, v17, v10, s7
	v_cndmask_b32_e64 v13, v18, v14, s7
	;; [unrolled: 1-line block ×3, first 2 shown]
	v_cmp_eq_u32_e64 s5, 4, v70
	v_cndmask_b32_e32 v1, v1, v10, vcc_lo
	v_cndmask_b32_e32 v2, v2, v14, vcc_lo
	v_cmp_eq_u32_e32 vcc_lo, 4, v72
	v_lshrrev_b32_e32 v15, 16, v7
	v_lshrrev_b32_e32 v16, 16, v8
	v_cndmask_b32_e64 v17, v19, v10, s6
	v_cmp_eq_u32_e64 s4, 4, v71
	v_cndmask_b32_e64 v5, v5, v3, s5
	v_cndmask_b32_e64 v6, v6, v7, s5
	v_cndmask_b32_e32 v9, v9, v3, vcc_lo
	v_cmp_eq_u32_e64 s5, 5, v72
	v_cndmask_b32_e32 v10, v13, v7, vcc_lo
	v_cmp_eq_u32_e32 vcc_lo, 4, v69
	v_cmp_eq_u32_e64 s6, 5, v70
	v_cndmask_b32_e64 v2, v2, v7, s4
	v_cndmask_b32_e64 v9, v9, v11, s5
	;; [unrolled: 1-line block ×3, first 2 shown]
	v_cndmask_b32_e32 v13, v17, v3, vcc_lo
	v_cmp_eq_u32_e64 s5, 5, v69
	v_cndmask_b32_e32 v14, v18, v7, vcc_lo
	v_cndmask_b32_e64 v1, v1, v3, s4
	v_cmp_eq_u32_e32 vcc_lo, 5, v71
	v_lshrrev_b32_e32 v12, 16, v4
	v_cndmask_b32_e64 v13, v13, v11, s5
	v_cndmask_b32_e64 v3, v14, v15, s5
	v_cmp_eq_u32_e64 s5, 6, v71
	v_cndmask_b32_e32 v1, v1, v11, vcc_lo
	v_cndmask_b32_e64 v5, v5, v11, s6
	v_cmp_eq_u32_e64 s7, 6, v70
	v_cndmask_b32_e64 v6, v6, v15, s6
	v_cmp_eq_u32_e64 s6, 6, v72
	v_cmp_eq_u32_e64 s4, 6, v69
	v_cndmask_b32_e64 v1, v1, v4, s5
	v_cndmask_b32_e32 v2, v2, v15, vcc_lo
	v_cmp_eq_u32_e32 vcc_lo, 7, v71
	v_cndmask_b32_e64 v5, v5, v4, s7
	v_cndmask_b32_e64 v9, v9, v4, s6
	v_cndmask_b32_e64 v6, v6, v8, s7
	v_cmp_eq_u32_e64 s7, 7, v70
	v_cndmask_b32_e32 v1, v1, v12, vcc_lo
	v_cndmask_b32_e64 v7, v13, v4, s4
	v_cndmask_b32_e64 v3, v3, v8, s4
	;; [unrolled: 1-line block ×3, first 2 shown]
	v_cmp_eq_u32_e64 s4, 7, v69
	v_cndmask_b32_e64 v4, v10, v8, s6
	v_cndmask_b32_e64 v5, v5, v12, s7
	;; [unrolled: 1-line block ×3, first 2 shown]
	v_cndmask_b32_e32 v2, v2, v16, vcc_lo
	v_cndmask_b32_e64 v7, v7, v12, s4
	v_cndmask_b32_e64 v3, v3, v16, s4
	;; [unrolled: 1-line block ×4, first 2 shown]
	v_cmp_gt_u32_e32 vcc_lo, 32, v0
	v_perm_b32 v4, v2, v1, 0x5040100
	v_perm_b32 v3, v3, v7, 0x5040100
	;; [unrolled: 1-line block ×4, first 2 shown]
	s_and_b32 s2, vcc_lo, s2
	ds_store_b128 v74, v[1:4]
	s_waitcnt lgkmcnt(0)
	s_barrier
	buffer_gl0_inv
	s_and_saveexec_b32 s4, s2
	s_cbranch_execz .LBB924_2
; %bb.15:
	s_load_b64 s[4:5], s[0:1], 0x68
	v_add_nc_u32_e32 v20, s33, v66
	v_lshlrev_b32_e32 v0, 10, v0
	v_lshlrev_b32_e32 v1, 4, v67
	s_lshl_b32 s0, s36, 6
	s_delay_alu instid0(SALU_CYCLE_1)
	s_mul_i32 s1, s0, s34
	v_add_nc_u32_e32 v2, 2, v20
	s_mul_i32 s6, s1, s9
	v_and_or_b32 v0, 0x3800, v0, v1
	v_mul_lo_u32 v1, v20, s0
	s_ashr_i32 s7, s6, 31
	v_mul_lo_u32 v11, v2, s0
	s_lshl_b64 s[6:7], s[6:7], 1
	v_add_nc_u32_e32 v3, 4, v20
	v_lshl_or_b32 v21, v66, 6, v0
	v_add_nc_u32_e32 v16, 6, v20
	v_ashrrev_i32_e32 v2, 31, v1
	s_delay_alu instid0(VALU_DEP_4)
	v_mul_lo_u32 v13, v3, s0
	s_waitcnt lgkmcnt(0)
	s_add_u32 s1, s4, s6
	s_addc_u32 s2, s5, s7
	s_lshl_b32 s4, s14, 6
	ds_load_b128 v[3:6], v21
	ds_load_b128 v[7:10], v21 offset:128
	s_ashr_i32 s5, s4, 31
	v_ashrrev_i32_e32 v12, 31, v11
	s_lshl_b64 s[4:5], s[4:5], 1
	v_lshlrev_b64 v[14:15], 1, v[1:2]
	s_add_u32 s1, s1, s4
	s_addc_u32 s2, s2, s5
	v_add_co_u32 v1, s1, s1, v65
	s_delay_alu instid0(VALU_DEP_1) | instskip(SKIP_1) | instid1(VALU_DEP_3)
	v_add_co_ci_u32_e64 v2, null, s2, 0, s1
	v_lshlrev_b64 v[11:12], 1, v[11:12]
	v_add_co_u32 v18, vcc_lo, v1, v14
	v_mul_lo_u32 v16, v16, s0
	s_delay_alu instid0(VALU_DEP_4) | instskip(NEXT) | instid1(VALU_DEP_4)
	v_add_co_ci_u32_e32 v19, vcc_lo, v2, v15, vcc_lo
	v_add_co_u32 v11, vcc_lo, v1, v11
	v_ashrrev_i32_e32 v14, 31, v13
	v_add_co_ci_u32_e32 v12, vcc_lo, v2, v12, vcc_lo
	v_add_nc_u32_e32 v15, 8, v20
	v_ashrrev_i32_e32 v17, 31, v16
	s_waitcnt lgkmcnt(1)
	global_store_b128 v[18:19], v[3:6], off
	v_lshlrev_b64 v[3:4], 1, v[13:14]
	s_waitcnt lgkmcnt(0)
	global_store_b128 v[11:12], v[7:10], off
	v_mul_lo_u32 v11, v15, s0
	v_add_nc_u32_e32 v7, 10, v20
	v_lshlrev_b64 v[5:6], 1, v[16:17]
	v_add_co_u32 v23, vcc_lo, v1, v3
	v_add_nc_u32_e32 v3, 12, v20
	s_delay_alu instid0(VALU_DEP_4)
	v_mul_lo_u32 v25, v7, s0
	v_ashrrev_i32_e32 v12, 31, v11
	v_add_co_ci_u32_e32 v24, vcc_lo, v2, v4, vcc_lo
	v_add_co_u32 v27, vcc_lo, v1, v5
	v_mul_lo_u32 v29, v3, s0
	v_add_co_ci_u32_e32 v28, vcc_lo, v2, v6, vcc_lo
	ds_load_b128 v[3:6], v21 offset:256
	ds_load_b128 v[7:10], v21 offset:384
	v_lshlrev_b64 v[31:32], 1, v[11:12]
	ds_load_b128 v[11:14], v21 offset:512
	ds_load_b128 v[15:18], v21 offset:640
	;; [unrolled: 1-line block ×3, first 2 shown]
	v_ashrrev_i32_e32 v26, 31, v25
	v_ashrrev_i32_e32 v30, 31, v29
	v_add_co_u32 v31, vcc_lo, v1, v31
	s_delay_alu instid0(VALU_DEP_3) | instskip(NEXT) | instid1(VALU_DEP_3)
	v_lshlrev_b64 v[25:26], 1, v[25:26]
	v_lshlrev_b64 v[29:30], 1, v[29:30]
	v_add_co_ci_u32_e32 v32, vcc_lo, v2, v32, vcc_lo
	s_delay_alu instid0(VALU_DEP_3) | instskip(NEXT) | instid1(VALU_DEP_4)
	v_add_co_u32 v25, vcc_lo, v1, v25
	v_add_co_ci_u32_e32 v26, vcc_lo, v2, v26, vcc_lo
	s_delay_alu instid0(VALU_DEP_4)
	v_add_co_u32 v29, vcc_lo, v1, v29
	v_add_co_ci_u32_e32 v30, vcc_lo, v2, v30, vcc_lo
	s_waitcnt lgkmcnt(4)
	global_store_b128 v[23:24], v[3:6], off
	s_waitcnt lgkmcnt(3)
	global_store_b128 v[27:28], v[7:10], off
	;; [unrolled: 2-line block ×5, first 2 shown]
	s_and_b32 exec_lo, exec_lo, s3
	s_cbranch_execz .LBB924_2
; %bb.16:
	ds_load_b128 v[3:6], v0 offset:896
	s_add_i32 s1, s33, 14
	s_delay_alu instid0(SALU_CYCLE_1) | instskip(NEXT) | instid1(SALU_CYCLE_1)
	s_mul_i32 s0, s1, s0
	s_ashr_i32 s1, s0, 31
	s_delay_alu instid0(SALU_CYCLE_1) | instskip(NEXT) | instid1(SALU_CYCLE_1)
	s_lshl_b64 s[0:1], s[0:1], 1
	v_add_co_u32 v0, vcc_lo, v1, s0
	v_add_co_ci_u32_e32 v1, vcc_lo, s1, v2, vcc_lo
	s_waitcnt lgkmcnt(0)
	global_store_b128 v[0:1], v[3:6], off
	s_nop 0
	s_sendmsg sendmsg(MSG_DEALLOC_VGPRS)
	s_endpgm
	.section	.rodata,"a",@progbits
	.p2align	6, 0x0
	.amdhsa_kernel _Z39paged_attention_ll4mi_QKV_mfma16_kernelIDF16_hLN4vllm18Fp8KVCacheDataTypeE1EDF16_Li32ELi64ELi256ELb0ELi15EL8MFMAType1EEvPKT_PKT0_S8_ifPKiSA_SA_iPKfiiiPfSD_PS3_PT2_iSC_SC_
		.amdhsa_group_segment_fixed_size 17472
		.amdhsa_private_segment_fixed_size 0
		.amdhsa_kernarg_size 400
		.amdhsa_user_sgpr_count 13
		.amdhsa_user_sgpr_dispatch_ptr 0
		.amdhsa_user_sgpr_queue_ptr 0
		.amdhsa_user_sgpr_kernarg_segment_ptr 1
		.amdhsa_user_sgpr_dispatch_id 0
		.amdhsa_user_sgpr_private_segment_size 0
		.amdhsa_wavefront_size32 1
		.amdhsa_uses_dynamic_stack 0
		.amdhsa_enable_private_segment 0
		.amdhsa_system_sgpr_workgroup_id_x 1
		.amdhsa_system_sgpr_workgroup_id_y 1
		.amdhsa_system_sgpr_workgroup_id_z 1
		.amdhsa_system_sgpr_workgroup_info 0
		.amdhsa_system_vgpr_workitem_id 0
		.amdhsa_next_free_vgpr 146
		.amdhsa_next_free_sgpr 37
		.amdhsa_reserve_vcc 1
		.amdhsa_float_round_mode_32 0
		.amdhsa_float_round_mode_16_64 0
		.amdhsa_float_denorm_mode_32 3
		.amdhsa_float_denorm_mode_16_64 3
		.amdhsa_dx10_clamp 1
		.amdhsa_ieee_mode 1
		.amdhsa_fp16_overflow 0
		.amdhsa_workgroup_processor_mode 1
		.amdhsa_memory_ordered 1
		.amdhsa_forward_progress 0
		.amdhsa_shared_vgpr_count 0
		.amdhsa_exception_fp_ieee_invalid_op 0
		.amdhsa_exception_fp_denorm_src 0
		.amdhsa_exception_fp_ieee_div_zero 0
		.amdhsa_exception_fp_ieee_overflow 0
		.amdhsa_exception_fp_ieee_underflow 0
		.amdhsa_exception_fp_ieee_inexact 0
		.amdhsa_exception_int_div_zero 0
	.end_amdhsa_kernel
	.section	.text._Z39paged_attention_ll4mi_QKV_mfma16_kernelIDF16_hLN4vllm18Fp8KVCacheDataTypeE1EDF16_Li32ELi64ELi256ELb0ELi15EL8MFMAType1EEvPKT_PKT0_S8_ifPKiSA_SA_iPKfiiiPfSD_PS3_PT2_iSC_SC_,"axG",@progbits,_Z39paged_attention_ll4mi_QKV_mfma16_kernelIDF16_hLN4vllm18Fp8KVCacheDataTypeE1EDF16_Li32ELi64ELi256ELb0ELi15EL8MFMAType1EEvPKT_PKT0_S8_ifPKiSA_SA_iPKfiiiPfSD_PS3_PT2_iSC_SC_,comdat
.Lfunc_end924:
	.size	_Z39paged_attention_ll4mi_QKV_mfma16_kernelIDF16_hLN4vllm18Fp8KVCacheDataTypeE1EDF16_Li32ELi64ELi256ELb0ELi15EL8MFMAType1EEvPKT_PKT0_S8_ifPKiSA_SA_iPKfiiiPfSD_PS3_PT2_iSC_SC_, .Lfunc_end924-_Z39paged_attention_ll4mi_QKV_mfma16_kernelIDF16_hLN4vllm18Fp8KVCacheDataTypeE1EDF16_Li32ELi64ELi256ELb0ELi15EL8MFMAType1EEvPKT_PKT0_S8_ifPKiSA_SA_iPKfiiiPfSD_PS3_PT2_iSC_SC_
                                        ; -- End function
	.section	.AMDGPU.csdata,"",@progbits
; Kernel info:
; codeLenInByte = 6748
; NumSgprs: 39
; NumVgprs: 146
; ScratchSize: 0
; MemoryBound: 0
; FloatMode: 240
; IeeeMode: 1
; LDSByteSize: 17472 bytes/workgroup (compile time only)
; SGPRBlocks: 4
; VGPRBlocks: 18
; NumSGPRsForWavesPerEU: 39
; NumVGPRsForWavesPerEU: 146
; Occupancy: 9
; WaveLimiterHint : 1
; COMPUTE_PGM_RSRC2:SCRATCH_EN: 0
; COMPUTE_PGM_RSRC2:USER_SGPR: 13
; COMPUTE_PGM_RSRC2:TRAP_HANDLER: 0
; COMPUTE_PGM_RSRC2:TGID_X_EN: 1
; COMPUTE_PGM_RSRC2:TGID_Y_EN: 1
; COMPUTE_PGM_RSRC2:TGID_Z_EN: 1
; COMPUTE_PGM_RSRC2:TIDIG_COMP_CNT: 0
	.section	.text._Z39paged_attention_ll4mi_QKV_mfma16_kernelIDF16_hLN4vllm18Fp8KVCacheDataTypeE1EDF16_Li32ELi64ELi256ELb0ELi16EL8MFMAType1EEvPKT_PKT0_S8_ifPKiSA_SA_iPKfiiiPfSD_PS3_PT2_iSC_SC_,"axG",@progbits,_Z39paged_attention_ll4mi_QKV_mfma16_kernelIDF16_hLN4vllm18Fp8KVCacheDataTypeE1EDF16_Li32ELi64ELi256ELb0ELi16EL8MFMAType1EEvPKT_PKT0_S8_ifPKiSA_SA_iPKfiiiPfSD_PS3_PT2_iSC_SC_,comdat
	.protected	_Z39paged_attention_ll4mi_QKV_mfma16_kernelIDF16_hLN4vllm18Fp8KVCacheDataTypeE1EDF16_Li32ELi64ELi256ELb0ELi16EL8MFMAType1EEvPKT_PKT0_S8_ifPKiSA_SA_iPKfiiiPfSD_PS3_PT2_iSC_SC_ ; -- Begin function _Z39paged_attention_ll4mi_QKV_mfma16_kernelIDF16_hLN4vllm18Fp8KVCacheDataTypeE1EDF16_Li32ELi64ELi256ELb0ELi16EL8MFMAType1EEvPKT_PKT0_S8_ifPKiSA_SA_iPKfiiiPfSD_PS3_PT2_iSC_SC_
	.globl	_Z39paged_attention_ll4mi_QKV_mfma16_kernelIDF16_hLN4vllm18Fp8KVCacheDataTypeE1EDF16_Li32ELi64ELi256ELb0ELi16EL8MFMAType1EEvPKT_PKT0_S8_ifPKiSA_SA_iPKfiiiPfSD_PS3_PT2_iSC_SC_
	.p2align	8
	.type	_Z39paged_attention_ll4mi_QKV_mfma16_kernelIDF16_hLN4vllm18Fp8KVCacheDataTypeE1EDF16_Li32ELi64ELi256ELb0ELi16EL8MFMAType1EEvPKT_PKT0_S8_ifPKiSA_SA_iPKfiiiPfSD_PS3_PT2_iSC_SC_,@function
_Z39paged_attention_ll4mi_QKV_mfma16_kernelIDF16_hLN4vllm18Fp8KVCacheDataTypeE1EDF16_Li32ELi64ELi256ELb0ELi16EL8MFMAType1EEvPKT_PKT0_S8_ifPKiSA_SA_iPKfiiiPfSD_PS3_PT2_iSC_SC_: ; @_Z39paged_attention_ll4mi_QKV_mfma16_kernelIDF16_hLN4vllm18Fp8KVCacheDataTypeE1EDF16_Li32ELi64ELi256ELb0ELi16EL8MFMAType1EEvPKT_PKT0_S8_ifPKiSA_SA_iPKfiiiPfSD_PS3_PT2_iSC_SC_
; %bb.0:
	s_load_b64 s[2:3], s[0:1], 0x30
	s_mov_b32 s34, s13
	s_waitcnt lgkmcnt(0)
	s_cmp_lg_u64 s[2:3], 0
	s_cselect_b32 s8, -1, 0
	s_ashr_i32 s35, s13, 31
	s_cmp_eq_u64 s[2:3], 0
	s_cbranch_scc1 .LBB925_3
; %bb.1:
	s_lshl_b64 s[4:5], s[34:35], 2
	s_delay_alu instid0(SALU_CYCLE_1) | instskip(SKIP_4) | instid1(SALU_CYCLE_1)
	s_add_u32 s4, s2, s4
	s_addc_u32 s5, s3, s5
	s_load_b64 s[4:5], s[4:5], 0x0
	s_waitcnt lgkmcnt(0)
	s_sub_i32 s4, s5, s4
	s_cmp_eq_u32 s4, 1
	s_cselect_b32 s4, -1, 0
	s_delay_alu instid0(SALU_CYCLE_1)
	s_and_not1_b32 vcc_lo, exec_lo, s4
	s_cbranch_vccz .LBB925_4
.LBB925_2:
	s_endpgm
.LBB925_3:
.LBB925_4:
	s_load_b64 s[4:5], s[0:1], 0x28
	s_lshl_b64 s[6:7], s[34:35], 2
	s_waitcnt lgkmcnt(0)
	s_add_u32 s4, s4, s6
	s_addc_u32 s5, s5, s7
	s_lshl_b32 s12, s14, 8
	s_load_b32 s24, s[4:5], 0x0
	s_waitcnt lgkmcnt(0)
	s_cmp_ge_i32 s12, s24
	s_cbranch_scc1 .LBB925_2
; %bb.5:
	s_clause 0x1
	s_load_b128 s[20:23], s[0:1], 0x8
	s_load_b64 s[4:5], s[0:1], 0x20
	s_and_not1_b32 vcc_lo, exec_lo, s8
	s_cbranch_vccnz .LBB925_7
; %bb.6:
	s_add_u32 s2, s2, s6
	s_addc_u32 s3, s3, s7
	s_load_b32 s3, s[2:3], 0x0
	s_branch .LBB925_8
.LBB925_7:
	s_mov_b32 s3, s34
.LBB925_8:
	s_load_b128 s[16:19], s[0:1], 0x48
	v_and_b32_e32 v70, 15, v0
	v_cmp_gt_u32_e32 vcc_lo, 0x100, v0
	v_lshrrev_b32_e32 v69, 5, v0
	v_and_b32_e32 v71, 31, v0
	v_and_b32_e32 v67, 1, v0
	v_lshlrev_b32_e32 v1, 3, v70
	v_cmp_gt_u32_e64 s2, 8, v70
	v_bfe_u32 v66, v0, 4, 1
	s_lshl_b32 s31, s15, 4
	s_delay_alu instid0(VALU_DEP_3) | instskip(NEXT) | instid1(VALU_DEP_3)
	v_lshlrev_b32_e32 v65, 1, v1
	s_and_b32 s7, vcc_lo, s2
	s_delay_alu instid0(SALU_CYCLE_1)
	s_and_saveexec_b32 s6, s7
	s_cbranch_execz .LBB925_10
; %bb.9:
	v_lshl_or_b32 v5, v69, 1, v66
	s_load_b64 s[8:9], s[0:1], 0x0
	s_waitcnt lgkmcnt(0)
	s_mul_hi_i32 s11, s3, s16
	s_mul_i32 s10, s3, s16
	v_lshlrev_b32_e32 v6, 10, v70
	v_or_b32_e32 v1, s31, v5
	s_lshl_b64 s[10:11], s[10:11], 1
	v_lshlrev_b32_e32 v5, 6, v5
	v_lshlrev_b32_e32 v7, 10, v67
	v_and_b32_e32 v6, 0x3800, v6
	v_lshlrev_b32_e32 v1, 6, v1
	s_delay_alu instid0(VALU_DEP_2) | instskip(NEXT) | instid1(VALU_DEP_2)
	v_or3_b32 v5, v6, v7, v5
	v_ashrrev_i32_e32 v2, 31, v1
	s_delay_alu instid0(VALU_DEP_1) | instskip(SKIP_2) | instid1(VALU_DEP_1)
	v_lshlrev_b64 v[1:2], 1, v[1:2]
	s_add_u32 s3, s8, s10
	s_addc_u32 s7, s9, s11
	v_add_co_u32 v1, vcc_lo, s3, v1
	s_delay_alu instid0(VALU_DEP_2) | instskip(NEXT) | instid1(VALU_DEP_2)
	v_add_co_ci_u32_e32 v2, vcc_lo, s7, v2, vcc_lo
	v_add_co_u32 v1, vcc_lo, v1, v65
	s_delay_alu instid0(VALU_DEP_2)
	v_add_co_ci_u32_e32 v2, vcc_lo, 0, v2, vcc_lo
	global_load_b128 v[1:4], v[1:2], off
	s_waitcnt vmcnt(0)
	ds_store_b128 v5, v[1:4]
.LBB925_10:
	s_or_b32 exec_lo, exec_lo, s6
	v_and_b32_e32 v1, 0xef, v0
	s_waitcnt lgkmcnt(0)
	s_add_i32 s3, s24, 31
	s_clause 0x1
	s_load_b32 s6, s[0:1], 0x38
	s_load_b32 s33, s[0:1], 0x98
	s_ashr_i32 s7, s3, 31
	v_add_nc_u32_e32 v1, s12, v1
	s_lshr_b32 s7, s7, 27
	s_load_b32 s19, s[0:1], 0x1c
	s_add_i32 s3, s3, s7
	s_waitcnt lgkmcnt(0)
	v_ashrrev_i32_e32 v2, 31, v1
	v_or_b32_e32 v3, 16, v1
	s_ashr_i32 s3, s3, 5
	v_cmp_gt_i32_e32 vcc_lo, s24, v1
	s_add_i32 s3, s3, -1
	v_lshrrev_b32_e32 v2, 27, v2
	s_barrier
	buffer_gl0_inv
	s_mul_i32 s27, s15, s18
	v_add_nc_u32_e32 v4, v1, v2
	s_mul_i32 s6, s34, s6
	s_delay_alu instid0(SALU_CYCLE_1) | instskip(NEXT) | instid1(VALU_DEP_1)
	s_ashr_i32 s7, s6, 31
	v_ashrrev_i32_e32 v4, 5, v4
	v_add_nc_u32_e32 v2, v3, v2
	s_lshl_b64 s[6:7], s[6:7], 2
	s_delay_alu instid0(SALU_CYCLE_1) | instskip(NEXT) | instid1(VALU_DEP_2)
	s_add_u32 s26, s4, s6
	v_cndmask_b32_e32 v1, s3, v4, vcc_lo
	s_delay_alu instid0(VALU_DEP_2)
	v_ashrrev_i32_e32 v2, 5, v2
	v_cmp_gt_i32_e32 vcc_lo, s24, v3
	s_addc_u32 s25, s5, s7
	s_ashr_i32 s28, s27, 31
	s_add_u32 s4, s20, s27
	s_addc_u32 s5, s21, s28
	v_cndmask_b32_e32 v3, s3, v2, vcc_lo
	v_ashrrev_i32_e32 v2, 31, v1
	s_lshl_b32 s6, s14, 3
	s_delay_alu instid0(SALU_CYCLE_1) | instskip(NEXT) | instid1(VALU_DEP_2)
	s_ashr_i32 s7, s6, 31
	v_ashrrev_i32_e32 v4, 31, v3
	s_delay_alu instid0(VALU_DEP_2) | instskip(SKIP_1) | instid1(SALU_CYCLE_1)
	v_lshlrev_b64 v[1:2], 2, v[1:2]
	s_lshl_b64 s[6:7], s[6:7], 2
	s_add_u32 s6, s26, s6
	s_delay_alu instid0(VALU_DEP_2) | instskip(SKIP_1) | instid1(VALU_DEP_2)
	v_lshlrev_b64 v[3:4], 2, v[3:4]
	s_addc_u32 s7, s25, s7
	v_add_co_u32 v1, vcc_lo, s26, v1
	v_add_co_ci_u32_e32 v2, vcc_lo, s25, v2, vcc_lo
	s_delay_alu instid0(VALU_DEP_3) | instskip(NEXT) | instid1(VALU_DEP_4)
	v_add_co_u32 v3, vcc_lo, s26, v3
	v_add_co_ci_u32_e32 v4, vcc_lo, s25, v4, vcc_lo
	s_clause 0x1
	global_load_b32 v5, v[1:2], off
	global_load_b32 v6, v[3:4], off
	s_or_b32 s8, s12, 32
	s_delay_alu instid0(SALU_CYCLE_1) | instskip(SKIP_2) | instid1(SALU_CYCLE_1)
	s_ashr_i32 s9, s8, 5
	s_cmp_lt_i32 s8, s24
	s_cselect_b32 s8, s9, s3
	s_ashr_i32 s9, s8, 31
	s_delay_alu instid0(SALU_CYCLE_1) | instskip(NEXT) | instid1(SALU_CYCLE_1)
	s_lshl_b64 s[8:9], s[8:9], 2
	s_add_u32 s8, s26, s8
	s_addc_u32 s9, s25, s9
	s_or_b32 s10, s12, 64
	s_delay_alu instid0(SALU_CYCLE_1) | instskip(SKIP_2) | instid1(SALU_CYCLE_1)
	s_ashr_i32 s11, s10, 5
	s_cmp_lt_i32 s10, s24
	s_cselect_b32 s10, s11, s3
	s_ashr_i32 s11, s10, 31
	s_delay_alu instid0(SALU_CYCLE_1) | instskip(NEXT) | instid1(SALU_CYCLE_1)
	s_lshl_b64 s[10:11], s[10:11], 2
	s_add_u32 s10, s26, s10
	s_addc_u32 s11, s25, s11
	;; [unrolled: 10-line block ×5, first 2 shown]
	s_clause 0x5
	s_load_b32 s21, s[6:7], 0x0
	s_load_b32 s13, s[8:9], 0x0
	s_load_b32 s15, s[10:11], 0x0
	s_load_b32 s16, s[36:37], 0x0
	s_load_b32 s18, s[38:39], 0x0
	s_load_b32 s20, s[40:41], 0x0
	s_or_b32 s6, s12, 0xc0
	s_delay_alu instid0(SALU_CYCLE_1) | instskip(SKIP_2) | instid1(SALU_CYCLE_1)
	s_ashr_i32 s7, s6, 5
	s_cmp_lt_i32 s6, s24
	s_cselect_b32 s10, s7, s3
	s_ashr_i32 s11, s10, 31
	s_delay_alu instid0(SALU_CYCLE_1) | instskip(NEXT) | instid1(SALU_CYCLE_1)
	s_lshl_b64 s[10:11], s[10:11], 2
	s_add_u32 s36, s26, s10
	s_addc_u32 s37, s25, s11
	s_or_b32 s11, s12, 0xe0
	s_delay_alu instid0(SALU_CYCLE_1) | instskip(SKIP_2) | instid1(SALU_CYCLE_1)
	s_ashr_i32 s29, s11, 5
	s_cmp_lt_i32 s11, s24
	s_cselect_b32 s38, s29, s3
	s_ashr_i32 s39, s38, 31
	s_waitcnt vmcnt(1)
	v_mad_i64_i32 v[1:2], null, v5, s17, s[4:5]
	s_waitcnt vmcnt(0)
	v_mad_i64_i32 v[3:4], null, v6, s17, s[4:5]
	s_mov_b32 s4, 0
	s_delay_alu instid0(SALU_CYCLE_1)
	s_mov_b32 s5, s4
	s_mov_b32 s6, s4
	;; [unrolled: 1-line block ×7, first 2 shown]
	v_lshlrev_b32_e32 v5, 4, v70
	v_dual_mov_b32 v103, s11 :: v_dual_mov_b32 v98, s6
	v_dual_mov_b32 v101, s9 :: v_dual_lshlrev_b32 v68, 6, v70
	s_delay_alu instid0(VALU_DEP_3)
	v_add_co_u32 v1, vcc_lo, v1, v5
	v_add_co_ci_u32_e32 v2, vcc_lo, 0, v2, vcc_lo
	v_add_co_u32 v3, vcc_lo, v3, v5
	v_add_co_ci_u32_e32 v4, vcc_lo, 0, v4, vcc_lo
	s_clause 0x7
	global_load_b128 v[57:60], v[1:2], off
	global_load_b128 v[61:64], v[1:2], off offset:512
	global_load_b128 v[72:75], v[3:4], off offset:256
	;; [unrolled: 1-line block ×7, first 2 shown]
	v_dual_mov_b32 v96, s4 :: v_dual_lshlrev_b32 v1, 5, v70
	v_mov_b32_e32 v102, s10
	v_dual_mov_b32 v100, s8 :: v_dual_mov_b32 v99, s7
	v_mov_b32_e32 v97, s5
	s_lshl_b64 s[4:5], s[38:39], 2
	v_lshl_or_b32 v1, v69, 9, v1
	s_add_u32 s4, s26, s4
	s_addc_u32 s5, s25, s5
	s_load_b32 s3, s[36:37], 0x0
	ds_load_b128 v[104:107], v68
	ds_load_b128 v[108:111], v68 offset:1024
	s_load_b32 s4, s[4:5], 0x0
	s_add_u32 s6, s22, s27
	s_addc_u32 s7, s23, s28
	v_add_co_u32 v17, s6, s6, v1
	s_delay_alu instid0(VALU_DEP_1) | instskip(SKIP_1) | instid1(VALU_DEP_1)
	v_add_co_ci_u32_e64 v18, null, s7, 0, s6
	s_waitcnt lgkmcnt(0)
	v_mad_i64_i32 v[1:2], null, s21, s17, v[17:18]
	v_mad_i64_i32 v[3:4], null, s13, s17, v[17:18]
	;; [unrolled: 1-line block ×7, first 2 shown]
	s_clause 0x9
	global_load_b128 v[49:52], v[1:2], off
	global_load_b128 v[53:56], v[1:2], off offset:16
	global_load_b128 v[41:44], v[3:4], off
	global_load_b128 v[45:48], v[3:4], off offset:16
	;; [unrolled: 2-line block ×5, first 2 shown]
	v_mad_i64_i32 v[120:121], null, s4, s17, v[17:18]
	s_clause 0x3
	global_load_b128 v[17:20], v[21:22], off
	global_load_b128 v[21:24], v[21:22], off offset:16
	global_load_b128 v[25:28], v[29:30], off
	global_load_b128 v[29:32], v[29:30], off offset:16
	s_waitcnt vmcnt(20)
	v_wmma_f32_16x16x16_f16 v[112:119], v[57:64], v[104:111], v[96:103]
	s_clause 0x1
	global_load_b128 v[57:60], v[120:121], off
	global_load_b128 v[61:64], v[120:121], off offset:16
	s_waitcnt vmcnt(20)
	v_wmma_f32_16x16x16_f16 v[96:103], v[72:79], v[104:111], v[96:103]
	ds_load_b128 v[72:75], v68 offset:2048
	ds_load_b128 v[76:79], v68 offset:3072
	v_and_b32_e32 v104, 0xe0, v0
	v_mbcnt_lo_u32_b32 v105, -1, 0
	s_waitcnt vmcnt(0) lgkmcnt(0)
	s_barrier
	buffer_gl0_inv
	v_add_nc_u32_e32 v104, s12, v104
	v_xor_b32_e32 v106, 16, v105
	s_delay_alu instid0(VALU_DEP_2) | instskip(NEXT) | instid1(VALU_DEP_2)
	v_or_b32_e32 v104, v104, v66
	v_cmp_gt_i32_e32 vcc_lo, 32, v106
	s_delay_alu instid0(VALU_DEP_2)
	v_or_b32_e32 v107, 4, v104
	v_or_b32_e32 v108, 6, v104
	v_cmp_gt_i32_e64 s3, s24, v104
	v_or_b32_e32 v109, 8, v104
	v_wmma_f32_16x16x16_f16 v[112:119], v[80:87], v[72:79], v[112:119]
	v_cndmask_b32_e32 v105, v105, v106, vcc_lo
	v_or_b32_e32 v106, 2, v104
	v_wmma_f32_16x16x16_f16 v[96:103], v[88:95], v[72:79], v[96:103]
	v_or_b32_e32 v80, 10, v104
	v_dual_mul_f32 v78, s19, v116 :: v_dual_mul_f32 v79, s19, v115
	v_dual_mul_f32 v90, s19, v112 :: v_dual_mul_f32 v89, s19, v113
	s_delay_alu instid0(VALU_DEP_4) | instskip(SKIP_2) | instid1(VALU_DEP_4)
	v_mul_f32_e32 v92, s19, v102
	v_cmp_gt_i32_e32 vcc_lo, s24, v106
	v_dual_mul_f32 v77, s19, v117 :: v_dual_mul_f32 v88, s19, v114
	v_cndmask_b32_e64 v90, 0xff7fffff, v90, s3
	v_cmp_gt_i32_e64 s4, s24, v107
	v_cndmask_b32_e32 v89, 0xff7fffff, v89, vcc_lo
	v_cmp_gt_i32_e64 s5, s24, v108
	v_or_b32_e32 v81, 12, v104
	v_or_b32_e32 v82, 14, v104
	v_cndmask_b32_e64 v88, 0xff7fffff, v88, s4
	v_max3_f32 v89, v90, 0xff7fffff, v89
	v_cndmask_b32_e64 v79, 0xff7fffff, v79, s5
	v_cmp_gt_i32_e64 s6, s24, v109
	v_cmp_gt_i32_e64 s7, s24, v80
	v_or_b32_e32 v83, 16, v104
	v_or_b32_e32 v84, 18, v104
	v_dual_mul_f32 v75, s19, v119 :: v_dual_mul_f32 v76, s19, v118
	v_cndmask_b32_e64 v78, 0xff7fffff, v78, s6
	v_cndmask_b32_e64 v77, 0xff7fffff, v77, s7
	v_max3_f32 v79, v89, v88, v79
	v_cmp_gt_i32_e64 s8, s24, v81
	v_cmp_gt_i32_e64 s9, s24, v82
	v_or_b32_e32 v85, 20, v104
	v_or_b32_e32 v86, 22, v104
	;; [unrolled: 1-line block ×6, first 2 shown]
	v_dual_mul_f32 v95, s19, v99 :: v_dual_mul_f32 v104, s19, v97
	v_mul_f32_e32 v107, s19, v96
	v_cndmask_b32_e64 v76, 0xff7fffff, v76, s8
	v_cndmask_b32_e64 v75, 0xff7fffff, v75, s9
	v_max3_f32 v77, v79, v78, v77
	v_cmp_gt_i32_e64 s10, s24, v83
	v_cmp_gt_i32_e64 s11, s24, v84
	v_dual_mul_f32 v93, s19, v101 :: v_dual_mul_f32 v106, s19, v98
	s_delay_alu instid0(VALU_DEP_4) | instskip(NEXT) | instid1(VALU_DEP_4)
	v_max3_f32 v75, v77, v76, v75
	v_cndmask_b32_e64 v78, 0xff7fffff, v107, s10
	s_delay_alu instid0(VALU_DEP_4) | instskip(SKIP_3) | instid1(VALU_DEP_4)
	v_cndmask_b32_e64 v79, 0xff7fffff, v104, s11
	v_cmp_gt_i32_e64 s12, s24, v85
	v_cmp_gt_i32_e64 s13, s24, v86
	v_dual_mul_f32 v91, s19, v103 :: v_dual_mul_f32 v94, s19, v100
	v_max3_f32 v75, v75, v78, v79
	s_delay_alu instid0(VALU_DEP_4) | instskip(NEXT) | instid1(VALU_DEP_4)
	v_cndmask_b32_e64 v76, 0xff7fffff, v106, s12
	v_cndmask_b32_e64 v77, 0xff7fffff, v95, s13
	v_cmp_gt_i32_e64 s15, s24, v87
	v_cmp_gt_i32_e64 s16, s24, v72
	;; [unrolled: 1-line block ×4, first 2 shown]
	v_max3_f32 v75, v75, v76, v77
	v_cndmask_b32_e64 v78, 0xff7fffff, v94, s15
	v_cndmask_b32_e64 v72, 0xff7fffff, v93, s16
	;; [unrolled: 1-line block ×4, first 2 shown]
	s_delay_alu instid0(VALU_DEP_3) | instskip(SKIP_1) | instid1(VALU_DEP_2)
	v_max3_f32 v72, v75, v78, v72
	v_lshlrev_b32_e32 v75, 2, v105
	v_max3_f32 v72, v72, v73, v74
	ds_bpermute_b32 v73, v75, v72
	s_waitcnt lgkmcnt(0)
	v_max_f32_e32 v73, v73, v73
	s_delay_alu instid0(VALU_DEP_1) | instskip(NEXT) | instid1(VALU_DEP_1)
	v_max_f32_e32 v72, v72, v73
	v_fma_f32 v76, s19, v114, -v72
	v_fma_f32 v73, s19, v112, -v72
	;; [unrolled: 1-line block ×5, first 2 shown]
	v_mul_f32_e32 v76, 0x3fb8aa3b, v76
	v_fma_f32 v82, s19, v118, -v72
	v_mul_f32_e32 v74, 0x3fb8aa3b, v74
	v_fma_f32 v86, s19, v99, -v72
	v_fma_f32 v91, s19, v103, -v72
	v_exp_f32_e32 v76, v76
	v_mul_f32_e32 v82, 0x3fb8aa3b, v82
	v_exp_f32_e32 v74, v74
	v_mul_f32_e32 v88, 0x3fb8aa3b, v86
	v_fma_f32 v89, s19, v101, -v72
	s_delay_alu instid0(VALU_DEP_3) | instskip(NEXT) | instid1(VALU_DEP_2)
	v_exp_f32_e32 v84, v82
	v_exp_f32_e32 v90, v88
	s_delay_alu instid0(VALU_DEP_1)
	v_mul_f32_e32 v89, 0x3fb8aa3b, v89
	v_cndmask_b32_e64 v80, 0, v76, s4
	v_mul_f32_e32 v73, 0x3fb8aa3b, v73
	v_fma_f32 v76, s19, v119, -v72
	v_mul_f32_e32 v77, 0x3fb8aa3b, v77
	v_exp_f32_e32 v89, v89
	s_delay_alu instid0(VALU_DEP_3) | instskip(NEXT) | instid1(VALU_DEP_2)
	v_exp_f32_e32 v73, v73
	v_mul_f32_e32 v76, 0x3fb8aa3b, v76
	s_delay_alu instid0(VALU_DEP_2) | instskip(SKIP_2) | instid1(VALU_DEP_3)
	v_exp_f32_e32 v81, v77
	v_cndmask_b32_e32 v77, 0, v74, vcc_lo
	v_cndmask_b32_e64 v84, 0, v84, s8
	v_exp_f32_e32 v76, v76
	v_cndmask_b32_e64 v89, 0, v89, s16
	s_delay_alu instid0(TRANS32_DEP_3) | instskip(SKIP_2) | instid1(VALU_DEP_2)
	v_cndmask_b32_e64 v78, 0, v73, s3
	v_fma_f32 v73, s19, v117, -v72
	s_mov_b32 s3, exec_lo
	v_dual_add_f32 v74, 0, v78 :: v_dual_mul_f32 v79, 0x3fb8aa3b, v79
	s_delay_alu instid0(VALU_DEP_2) | instskip(NEXT) | instid1(VALU_DEP_2)
	v_mul_f32_e32 v73, 0x3fb8aa3b, v73
	v_add_f32_e32 v74, v74, v77
	s_delay_alu instid0(VALU_DEP_3) | instskip(NEXT) | instid1(VALU_DEP_2)
	v_exp_f32_e32 v83, v79
	v_exp_f32_e32 v73, v73
	v_cndmask_b32_e64 v79, 0, v81, s5
	v_fma_f32 v81, s19, v96, -v72
	s_delay_alu instid0(VALU_DEP_1) | instskip(NEXT) | instid1(VALU_DEP_1)
	v_dual_add_f32 v74, v74, v80 :: v_dual_mul_f32 v85, 0x3fb8aa3b, v81
	v_add_f32_e32 v74, v74, v79
	s_waitcnt_depctr 0xfff
	v_cndmask_b32_e64 v82, 0, v83, s6
	v_fma_f32 v83, s19, v97, -v72
	v_cndmask_b32_e64 v81, 0, v73, s7
	v_exp_f32_e32 v85, v85
	s_delay_alu instid0(VALU_DEP_2) | instskip(NEXT) | instid1(VALU_DEP_1)
	v_mul_f32_e32 v83, 0x3fb8aa3b, v83
	v_exp_f32_e32 v87, v83
	v_cndmask_b32_e64 v83, 0, v76, s9
	v_fma_f32 v76, s19, v100, -v72
	v_add_f32_e32 v73, v74, v82
	v_fma_f32 v74, s19, v98, -v72
	s_delay_alu instid0(TRANS32_DEP_2) | instskip(NEXT) | instid1(VALU_DEP_4)
	v_cndmask_b32_e64 v86, 0, v85, s10
	v_mul_f32_e32 v76, 0x3fb8aa3b, v76
	s_delay_alu instid0(VALU_DEP_3) | instskip(NEXT) | instid1(TRANS32_DEP_1)
	v_mul_f32_e32 v74, 0x3fb8aa3b, v74
	v_cndmask_b32_e64 v85, 0, v87, s11
	v_fma_f32 v87, s19, v102, -v72
	v_add_f32_e32 v73, v73, v81
	v_exp_f32_e32 v76, v76
	v_exp_f32_e32 v74, v74
	s_waitcnt_depctr 0xfff
	v_cndmask_b32_e64 v88, 0, v74, s12
	v_dual_mul_f32 v74, 0x3fb8aa3b, v87 :: v_dual_add_f32 v73, v73, v84
	v_cndmask_b32_e64 v87, 0, v90, s13
	v_cndmask_b32_e64 v90, 0, v76, s15
	v_mul_f32_e32 v76, 0x3fb8aa3b, v91
	s_delay_alu instid0(VALU_DEP_4) | instskip(SKIP_1) | instid1(VALU_DEP_2)
	v_exp_f32_e32 v74, v74
	v_add_f32_e32 v73, v73, v83
	v_exp_f32_e32 v76, v76
	s_delay_alu instid0(VALU_DEP_1) | instskip(SKIP_4) | instid1(VALU_DEP_2)
	v_add_f32_e32 v73, v73, v86
	s_waitcnt_depctr 0xfff
	v_cndmask_b32_e64 v92, 0, v74, s17
	v_add_f32_e32 v73, v73, v85
	v_cndmask_b32_e64 v91, 0, v76, s18
	v_add_f32_e32 v73, v73, v88
	s_delay_alu instid0(VALU_DEP_1) | instskip(NEXT) | instid1(VALU_DEP_1)
	v_add_f32_e32 v73, v73, v87
	v_add_f32_e32 v73, v73, v90
	s_delay_alu instid0(VALU_DEP_1) | instskip(NEXT) | instid1(VALU_DEP_1)
	v_add_f32_e32 v73, v73, v89
	v_add_f32_e32 v73, v73, v92
	s_delay_alu instid0(VALU_DEP_1)
	v_add_f32_e32 v73, v73, v91
	ds_bpermute_b32 v74, v75, v73
	v_cmpx_gt_u32_e32 16, v71
	s_cbranch_execz .LBB925_12
; %bb.11:
	v_mul_u32_u24_e32 v71, 0x44, v69
	s_waitcnt lgkmcnt(0)
	v_add_f32_e32 v73, v73, v74
	s_delay_alu instid0(VALU_DEP_2) | instskip(NEXT) | instid1(VALU_DEP_1)
	v_lshl_add_u32 v71, v70, 2, v71
	v_add_nc_u32_e32 v71, 0x4000, v71
	ds_store_2addr_b32 v71, v72, v73 offset1:136
.LBB925_12:
	s_or_b32 exec_lo, exec_lo, s3
	v_lshlrev_b32_e32 v70, 2, v70
	s_load_b32 s35, s[0:1], 0x94
	s_waitcnt lgkmcnt(0)
	s_barrier
	buffer_gl0_inv
	v_add_nc_u32_e32 v74, 0x4000, v70
	v_cmp_eq_u32_e32 vcc_lo, 1, v69
	v_cmp_eq_u32_e64 s3, 2, v69
	v_cmp_eq_u32_e64 s4, 3, v69
	;; [unrolled: 1-line block ×3, first 2 shown]
	ds_load_2addr_b32 v[70:71], v74 offset1:17
	ds_load_2addr_b32 v[72:73], v74 offset0:34 offset1:51
	ds_load_2addr_b32 v[93:94], v74 offset0:68 offset1:85
	;; [unrolled: 1-line block ×3, first 2 shown]
	v_cmp_eq_u32_e64 s6, 7, v69
	s_waitcnt lgkmcnt(3)
	v_max3_f32 v75, v70, 0xff7fffff, v71
	s_waitcnt lgkmcnt(2)
	s_delay_alu instid0(VALU_DEP_1) | instskip(SKIP_1) | instid1(VALU_DEP_1)
	v_max3_f32 v75, v75, v72, v73
	s_waitcnt lgkmcnt(1)
	v_max3_f32 v75, v75, v93, v94
	s_waitcnt lgkmcnt(0)
	s_delay_alu instid0(VALU_DEP_1) | instskip(NEXT) | instid1(VALU_DEP_1)
	v_max3_f32 v75, v75, v95, v96
	v_sub_f32_e32 v93, v93, v75
	ds_load_2addr_b32 v[97:98], v74 offset0:136 offset1:153
	v_sub_f32_e32 v70, v70, v75
	v_dual_sub_f32 v100, v73, v75 :: v_dual_mul_f32 v103, 0x3fb8aa3b, v93
	s_delay_alu instid0(VALU_DEP_2) | instskip(SKIP_3) | instid1(VALU_DEP_1)
	v_dual_sub_f32 v76, v71, v75 :: v_dual_mul_f32 v99, 0x3fb8aa3b, v70
	ds_load_2addr_b32 v[70:71], v74 offset0:170 offset1:187
	v_mul_f32_e32 v76, 0x3fb8aa3b, v76
	v_exp_f32_e32 v99, v99
	v_exp_f32_e32 v102, v76
	v_mul_f32_e32 v100, 0x3fb8aa3b, v100
	s_waitcnt lgkmcnt(1)
	s_waitcnt_depctr 0xfff
	v_fma_f32 v76, v99, v97, 0
	v_sub_f32_e32 v97, v94, v75
	v_sub_f32_e32 v72, v72, v75
	v_exp_f32_e32 v100, v100
	ds_load_2addr_b32 v[93:94], v74 offset0:238 offset1:255
	v_dual_fmac_f32 v76, v102, v98 :: v_dual_mul_f32 v101, 0x3fb8aa3b, v72
	ds_load_2addr_b32 v[72:73], v74 offset0:204 offset1:221
	v_dual_sub_f32 v74, v95, v75 :: v_dual_mul_f32 v95, 0x3fb8aa3b, v97
	v_exp_f32_e32 v97, v103
	v_exp_f32_e32 v101, v101
	s_waitcnt lgkmcnt(0)
	s_delay_alu instid0(VALU_DEP_1)
	v_mul_f32_e32 v74, 0x3fb8aa3b, v74
	v_exp_f32_e32 v95, v95
	s_barrier
	buffer_gl0_inv
	v_fmac_f32_e32 v76, v101, v70
	v_sub_f32_e32 v70, v96, v75
	v_exp_f32_e32 v96, v74
	s_delay_alu instid0(VALU_DEP_2) | instskip(NEXT) | instid1(VALU_DEP_2)
	v_fmac_f32_e32 v76, v100, v71
	v_mul_f32_e32 v70, 0x3fb8aa3b, v70
	s_delay_alu instid0(VALU_DEP_2) | instskip(NEXT) | instid1(VALU_DEP_2)
	v_dual_cndmask_b32 v71, v99, v102 :: v_dual_fmac_f32 v76, v97, v72
	v_exp_f32_e32 v98, v70
	s_delay_alu instid0(VALU_DEP_1) | instskip(SKIP_2) | instid1(VALU_DEP_1)
	v_fmac_f32_e32 v76, v95, v73
	s_waitcnt_depctr 0xfff
	v_fmac_f32_e32 v76, v96, v93
	v_fmac_f32_e32 v76, v98, v94
	s_delay_alu instid0(VALU_DEP_1) | instskip(NEXT) | instid1(VALU_DEP_1)
	v_add_f32_e32 v93, 0x358637bd, v76
	v_div_scale_f32 v94, null, v93, v93, 1.0
	v_div_scale_f32 v99, vcc_lo, 1.0, v93, 1.0
	s_delay_alu instid0(VALU_DEP_2) | instskip(SKIP_2) | instid1(VALU_DEP_1)
	v_rcp_f32_e32 v103, v94
	s_waitcnt_depctr 0xfff
	v_fma_f32 v70, -v94, v103, 1.0
	v_fmac_f32_e32 v103, v70, v103
	v_cndmask_b32_e64 v70, v71, v101, s3
	v_cmp_eq_u32_e64 s3, 4, v69
	v_lshlrev_b32_e32 v71, 2, v66
	s_delay_alu instid0(VALU_DEP_4) | instskip(NEXT) | instid1(VALU_DEP_4)
	v_mul_f32_e32 v101, v99, v103
	v_cndmask_b32_e64 v72, v70, v100, s4
	v_cmp_eq_u32_e64 s4, 6, v69
	v_lshl_or_b32 v70, v69, 11, v68
	v_or_b32_e32 v74, 1, v71
	v_fma_f32 v73, -v94, v101, v99
	v_cndmask_b32_e64 v72, v72, v97, s3
	v_cmp_eq_u32_e64 s3, 1, v71
	v_lshl_or_b32 v69, v66, 4, v70
	v_cmp_eq_u32_e64 s9, 1, v74
	v_fmac_f32_e32 v101, v73, v103
	v_cndmask_b32_e64 v95, v72, v95, s5
	v_or_b32_e32 v72, 2, v71
	v_or_b32_e32 v73, 3, v71
	v_cmp_eq_u32_e64 s12, 2, v74
	v_fma_f32 v94, -v94, v101, v99
	v_cndmask_b32_e64 v95, v95, v96, s4
	v_cmp_eq_u32_e64 s10, 1, v72
	v_cmp_eq_u32_e64 s11, 1, v73
	;; [unrolled: 1-line block ×3, first 2 shown]
	v_div_fmas_f32 v94, v94, v103, v101
	v_cndmask_b32_e64 v95, v95, v98, s6
	v_cmp_eq_u32_e32 vcc_lo, 2, v71
	v_cmp_eq_u32_e64 s16, 2, v73
	v_cmp_eq_u32_e64 s18, 3, v73
	v_div_fixup_f32 v93, v94, v93, 1.0
	v_cmp_eq_u32_e64 s4, 3, v71
	v_cmp_eq_u32_e64 s13, 3, v74
	;; [unrolled: 1-line block ×4, first 2 shown]
	v_mul_f32_e32 v101, v95, v93
	v_cmp_eq_u32_e64 s5, 4, v71
	v_cmp_eq_u32_e64 s19, 4, v74
	;; [unrolled: 1-line block ×4, first 2 shown]
	v_fma_mixlo_f16 v93, v101, v78, 0
	v_fma_mixlo_f16 v94, v101, v80, 0
	;; [unrolled: 1-line block ×8, first 2 shown]
	v_fma_mixhi_f16 v93, v101, v77, 0
	v_fma_mixhi_f16 v94, v101, v79, 0
	;; [unrolled: 1-line block ×8, first 2 shown]
	ds_store_b128 v69, v[93:96]
	ds_store_b128 v69, v[97:100] offset:1024
	s_waitcnt lgkmcnt(0)
	s_barrier
	buffer_gl0_inv
	ds_load_b128 v[77:80], v70
	ds_load_b128 v[81:84], v70 offset:16
	ds_load_b128 v[85:88], v70 offset:1024
	;; [unrolled: 1-line block ×3, first 2 shown]
	v_cmp_eq_u32_e64 s6, 5, v71
	v_cmp_eq_u32_e64 s20, 5, v74
	;; [unrolled: 1-line block ×11, first 2 shown]
	s_waitcnt lgkmcnt(3)
	v_lshrrev_b32_e32 v93, 16, v77
	s_waitcnt lgkmcnt(2)
	v_lshrrev_b32_e32 v97, 16, v81
	;; [unrolled: 2-line block ×4, first 2 shown]
	v_lshrrev_b32_e32 v94, 16, v78
	v_cndmask_b32_e64 v109, v77, v93, s3
	v_cndmask_b32_e64 v110, v81, v97, s3
	;; [unrolled: 1-line block ×8, first 2 shown]
	v_lshrrev_b32_e32 v98, 16, v82
	v_cndmask_b32_e64 v93, v85, v101, s3
	v_cndmask_b32_e64 v97, v89, v105, s3
	;; [unrolled: 1-line block ×5, first 2 shown]
	v_cndmask_b32_e32 v101, v109, v78, vcc_lo
	v_cndmask_b32_e64 v109, v111, v78, s12
	v_cndmask_b32_e64 v111, v113, v78, s15
	;; [unrolled: 1-line block ×4, first 2 shown]
	v_lshrrev_b32_e32 v102, 16, v86
	v_lshrrev_b32_e32 v106, 16, v90
	v_cndmask_b32_e64 v116, v89, v105, s9
	v_cndmask_b32_e64 v118, v89, v105, s10
	;; [unrolled: 1-line block ×3, first 2 shown]
	v_cndmask_b32_e32 v105, v110, v82, vcc_lo
	v_cndmask_b32_e64 v110, v112, v82, s12
	v_cndmask_b32_e64 v112, v114, v82, s15
	v_cndmask_b32_e32 v81, v93, v86, vcc_lo
	v_cndmask_b32_e32 v82, v97, v90, vcc_lo
	v_cndmask_b32_e64 v93, v115, v86, s12
	v_cndmask_b32_e64 v77, v77, v94, s18
	;; [unrolled: 1-line block ×3, first 2 shown]
	v_lshrrev_b32_e32 v95, 16, v79
	v_lshrrev_b32_e32 v99, 16, v83
	v_cndmask_b32_e64 v97, v117, v86, s15
	v_cndmask_b32_e64 v85, v85, v86, s16
	;; [unrolled: 1-line block ×14, first 2 shown]
	v_lshrrev_b32_e32 v103, 16, v87
	v_cndmask_b32_e64 v89, v89, v79, s5
	v_cndmask_b32_e64 v94, v101, v83, s5
	;; [unrolled: 1-line block ×11, first 2 shown]
	v_lshrrev_b32_e32 v96, 16, v80
	v_lshrrev_b32_e32 v100, 16, v84
	v_cndmask_b32_e64 v83, v89, v95, s6
	v_cndmask_b32_e64 v89, v94, v99, s6
	;; [unrolled: 1-line block ×9, first 2 shown]
	v_lshrrev_b32_e32 v104, 16, v88
	v_cndmask_b32_e64 v79, v79, v103, s6
	v_cndmask_b32_e64 v83, v83, v80, s7
	v_cndmask_b32_e64 v89, v89, v84, s7
	v_cndmask_b32_e64 v93, v93, v80, s25
	v_cndmask_b32_e64 v94, v94, v84, s25
	v_cndmask_b32_e64 v95, v98, v80, s26
	v_cndmask_b32_e64 v98, v101, v84, s26
	v_cndmask_b32_e64 v80, v82, v88, s25
	v_cndmask_b32_e64 v77, v77, v96, s29
	v_cndmask_b32_e64 v78, v78, v100, s29
	v_cndmask_b32_e64 v113, v118, v90, s15
	v_cndmask_b32_e64 v79, v79, v88, s7
	v_cndmask_b32_e64 v82, v83, v96, s8
	v_cndmask_b32_e64 v83, v89, v100, s8
	v_cndmask_b32_e64 v84, v93, v96, s30
	v_cndmask_b32_e64 v89, v95, v96, s28
	v_cndmask_b32_e64 v93, v98, v100, s28
	v_cndmask_b32_e64 v94, v94, v100, s30
	v_cndmask_b32_e64 v96, v80, v104, s30
	v_perm_b32 v80, v78, v77, 0x5040100
	v_cndmask_b32_e64 v77, v116, v90, s12
	v_cndmask_b32_e64 v95, v79, v104, s8
	v_perm_b32 v79, v93, v89, 0x5040100
	v_perm_b32 v78, v94, v84, 0x5040100
	v_cndmask_b32_e64 v84, v97, v102, s17
	v_cndmask_b32_e64 v85, v85, v102, s18
	;; [unrolled: 1-line block ×5, first 2 shown]
	v_lshrrev_b32_e32 v107, 16, v91
	v_cndmask_b32_e64 v84, v84, v87, s21
	v_cndmask_b32_e64 v85, v85, v87, s22
	;; [unrolled: 1-line block ×11, first 2 shown]
	v_lshrrev_b32_e32 v108, 16, v92
	v_cndmask_b32_e64 v81, v81, v92, s7
	v_cndmask_b32_e64 v84, v84, v88, s26
	;; [unrolled: 1-line block ×12, first 2 shown]
	v_perm_b32 v77, v83, v82, 0x5040100
	v_perm_b32 v84, v85, v84, 0x5040100
	;; [unrolled: 1-line block ×5, first 2 shown]
	s_lshl_b32 s8, s33, 4
	s_mov_b32 s3, exec_lo
	ds_store_b128 v69, v[77:80]
	ds_store_b128 v69, v[81:84] offset:1024
	v_cmpx_gt_u32_e32 16, v0
	s_cbranch_execz .LBB925_14
; %bb.13:
	v_or_b32_e32 v77, s31, v0
	s_load_b128 s[4:7], s[0:1], 0x58
	s_delay_alu instid0(VALU_DEP_1) | instskip(NEXT) | instid1(VALU_DEP_1)
	v_mad_u64_u32 v[78:79], null, s8, s34, v[77:78]
	v_mad_u64_u32 v[79:80], null, v78, s35, s[14:15]
	s_delay_alu instid0(VALU_DEP_1) | instskip(NEXT) | instid1(VALU_DEP_1)
	v_ashrrev_i32_e32 v80, 31, v79
	v_lshlrev_b64 v[77:78], 2, v[79:80]
	s_waitcnt lgkmcnt(0)
	s_delay_alu instid0(VALU_DEP_1) | instskip(NEXT) | instid1(VALU_DEP_2)
	v_add_co_u32 v79, vcc_lo, s6, v77
	v_add_co_ci_u32_e32 v80, vcc_lo, s7, v78, vcc_lo
	v_add_co_u32 v77, vcc_lo, s4, v77
	v_add_co_ci_u32_e32 v78, vcc_lo, s5, v78, vcc_lo
	global_store_b32 v[79:80], v75, off
	global_store_b32 v[77:78], v76, off
.LBB925_14:
	s_or_b32 exec_lo, exec_lo, s3
	s_waitcnt lgkmcnt(0)
	s_waitcnt_vscnt null, 0x0
	s_barrier
	buffer_gl0_inv
	ds_load_b128 v[83:86], v68
	ds_load_b128 v[87:90], v68 offset:16
	ds_load_b128 v[95:98], v68 offset:2064
	;; [unrolled: 1-line block ×5, first 2 shown]
	v_cmp_eq_u32_e32 vcc_lo, 1, v71
	v_mov_b32_e32 v75, 0
	ds_load_b128 v[111:114], v68 offset:6160
	ds_load_b128 v[107:110], v68 offset:6144
	;; [unrolled: 1-line block ×4, first 2 shown]
	v_cmp_eq_u32_e64 s4, 1, v72
	v_cmp_eq_u32_e64 s3, 1, v74
	;; [unrolled: 1-line block ×3, first 2 shown]
	v_mov_b32_e32 v76, v75
	v_mov_b32_e32 v77, v75
	;; [unrolled: 1-line block ×7, first 2 shown]
	v_cmp_eq_u32_e64 s6, 3, v74
	v_cmp_eq_u32_e64 s7, 7, v74
	s_waitcnt lgkmcnt(8)
	s_delay_alu instid0(VALU_DEP_3)
	v_wmma_f32_16x16x16_f16 v[75:82], v[49:56], v[83:90], v[75:82]
	ds_load_b128 v[53:56], v68 offset:10256
	ds_load_b128 v[49:52], v68 offset:10240
	s_waitcnt lgkmcnt(8)
	v_wmma_f32_16x16x16_f16 v[75:82], v[41:48], v[91:98], v[75:82]
	ds_load_b128 v[45:48], v68 offset:12304
	ds_load_b128 v[41:44], v68 offset:12288
	s_waitcnt lgkmcnt(8)
	;; [unrolled: 4-line block ×3, first 2 shown]
	s_barrier
	buffer_gl0_inv
	v_wmma_f32_16x16x16_f16 v[75:82], v[1:8], v[107:114], v[75:82]
	s_delay_alu instid0(VALU_DEP_1) | instskip(NEXT) | instid1(VALU_DEP_1)
	v_wmma_f32_16x16x16_f16 v[75:82], v[9:16], v[115:122], v[75:82]
	v_wmma_f32_16x16x16_f16 v[75:82], v[17:24], v[49:56], v[75:82]
	s_delay_alu instid0(VALU_DEP_1) | instskip(NEXT) | instid1(VALU_DEP_1)
	v_wmma_f32_16x16x16_f16 v[75:82], v[25:32], v[41:48], v[75:82]
	v_wmma_f32_16x16x16_f16 v[75:82], v[57:64], v[33:40], v[75:82]
	s_delay_alu instid0(VALU_DEP_1) | instskip(NEXT) | instid1(VALU_DEP_2)
	v_cvt_f16_f32_e32 v1, v75
	v_cvt_f16_f32_e32 v2, v76
	s_delay_alu instid0(VALU_DEP_3) | instskip(NEXT) | instid1(VALU_DEP_4)
	v_cvt_f16_f32_e32 v3, v77
	v_cvt_f16_f32_e32 v4, v78
	;; [unrolled: 1-line block ×6, first 2 shown]
	v_pack_b32_f16 v1, v1, v2
	v_pack_b32_f16 v2, v3, v4
	;; [unrolled: 1-line block ×3, first 2 shown]
	s_delay_alu instid0(VALU_DEP_4)
	v_pack_b32_f16 v4, v7, v8
	ds_store_b128 v69, v[1:4]
	s_waitcnt lgkmcnt(0)
	s_barrier
	buffer_gl0_inv
	ds_load_b128 v[1:4], v70
	ds_load_b128 v[5:8], v70 offset:16
	s_waitcnt lgkmcnt(1)
	v_lshrrev_b32_e32 v9, 16, v1
	s_waitcnt lgkmcnt(0)
	v_lshrrev_b32_e32 v13, 16, v5
	v_lshrrev_b32_e32 v10, 16, v2
	;; [unrolled: 1-line block ×4, first 2 shown]
	v_cndmask_b32_e32 v17, v1, v9, vcc_lo
	v_cndmask_b32_e32 v18, v5, v13, vcc_lo
	v_cndmask_b32_e64 v21, v1, v9, s4
	v_cmp_eq_u32_e32 vcc_lo, 1, v73
	v_cndmask_b32_e64 v22, v5, v13, s4
	v_cmp_eq_u32_e64 s4, 2, v71
	v_cndmask_b32_e64 v19, v1, v9, s3
	v_cndmask_b32_e64 v20, v5, v13, s3
	v_cndmask_b32_e32 v1, v1, v9, vcc_lo
	v_cmp_eq_u32_e64 s3, 2, v73
	v_cndmask_b32_e32 v5, v5, v13, vcc_lo
	v_cndmask_b32_e64 v9, v17, v2, s4
	v_cmp_eq_u32_e32 vcc_lo, 3, v71
	v_cndmask_b32_e64 v13, v18, v6, s4
	v_cmp_eq_u32_e64 s4, 2, v72
	v_cndmask_b32_e64 v17, v19, v2, s5
	v_cndmask_b32_e64 v18, v20, v6, s5
	v_cmp_eq_u32_e64 s5, 3, v72
	v_cndmask_b32_e64 v1, v1, v2, s3
	v_cndmask_b32_e64 v19, v21, v2, s4
	;; [unrolled: 1-line block ×4, first 2 shown]
	v_cndmask_b32_e32 v5, v9, v10, vcc_lo
	v_cndmask_b32_e32 v6, v13, v14, vcc_lo
	v_cmp_eq_u32_e32 vcc_lo, 3, v73
	v_cndmask_b32_e64 v9, v17, v10, s6
	v_cndmask_b32_e64 v13, v18, v14, s6
	;; [unrolled: 1-line block ×3, first 2 shown]
	v_cmp_eq_u32_e64 s4, 4, v71
	v_cndmask_b32_e32 v1, v1, v10, vcc_lo
	v_cndmask_b32_e32 v2, v2, v14, vcc_lo
	v_cmp_eq_u32_e32 vcc_lo, 4, v74
	v_lshrrev_b32_e32 v15, 16, v7
	v_lshrrev_b32_e32 v16, 16, v8
	v_cndmask_b32_e64 v17, v19, v10, s5
	v_cmp_eq_u32_e64 s3, 4, v73
	v_cndmask_b32_e64 v5, v5, v3, s4
	v_cndmask_b32_e64 v6, v6, v7, s4
	v_cndmask_b32_e32 v9, v9, v3, vcc_lo
	v_cmp_eq_u32_e64 s4, 5, v74
	v_cndmask_b32_e32 v10, v13, v7, vcc_lo
	v_cmp_eq_u32_e32 vcc_lo, 4, v72
	v_cmp_eq_u32_e64 s5, 5, v71
	v_cndmask_b32_e64 v2, v2, v7, s3
	v_cndmask_b32_e64 v9, v9, v11, s4
	;; [unrolled: 1-line block ×3, first 2 shown]
	v_cndmask_b32_e32 v13, v17, v3, vcc_lo
	v_cmp_eq_u32_e64 s4, 5, v72
	v_cndmask_b32_e32 v14, v18, v7, vcc_lo
	v_cndmask_b32_e64 v1, v1, v3, s3
	v_cmp_eq_u32_e32 vcc_lo, 5, v73
	v_lshrrev_b32_e32 v12, 16, v4
	v_cndmask_b32_e64 v13, v13, v11, s4
	v_cndmask_b32_e64 v3, v14, v15, s4
	v_cmp_eq_u32_e64 s4, 6, v73
	v_cndmask_b32_e32 v1, v1, v11, vcc_lo
	v_cndmask_b32_e64 v5, v5, v11, s5
	v_cmp_eq_u32_e64 s6, 6, v71
	v_cndmask_b32_e64 v6, v6, v15, s5
	v_cmp_eq_u32_e64 s5, 6, v74
	v_cmp_eq_u32_e64 s3, 6, v72
	v_cndmask_b32_e64 v1, v1, v4, s4
	v_cndmask_b32_e32 v2, v2, v15, vcc_lo
	v_cmp_eq_u32_e32 vcc_lo, 7, v73
	v_cndmask_b32_e64 v5, v5, v4, s6
	v_cndmask_b32_e64 v9, v9, v4, s5
	;; [unrolled: 1-line block ×3, first 2 shown]
	v_cmp_eq_u32_e64 s6, 7, v71
	v_cndmask_b32_e32 v1, v1, v12, vcc_lo
	v_cndmask_b32_e64 v7, v13, v4, s3
	v_cndmask_b32_e64 v3, v3, v8, s3
	;; [unrolled: 1-line block ×3, first 2 shown]
	v_cmp_eq_u32_e64 s3, 7, v72
	v_cndmask_b32_e64 v4, v10, v8, s5
	v_cndmask_b32_e64 v5, v5, v12, s6
	;; [unrolled: 1-line block ×3, first 2 shown]
	v_cndmask_b32_e32 v2, v2, v16, vcc_lo
	v_cndmask_b32_e64 v7, v7, v12, s3
	v_cndmask_b32_e64 v3, v3, v16, s3
	;; [unrolled: 1-line block ×4, first 2 shown]
	v_cmp_gt_u32_e32 vcc_lo, 32, v0
	v_perm_b32 v4, v2, v1, 0x5040100
	v_perm_b32 v3, v3, v7, 0x5040100
	;; [unrolled: 1-line block ×4, first 2 shown]
	s_and_b32 s2, vcc_lo, s2
	ds_store_b128 v69, v[1:4]
	s_waitcnt lgkmcnt(0)
	s_barrier
	buffer_gl0_inv
	s_and_saveexec_b32 s3, s2
	s_cbranch_execz .LBB925_2
; %bb.15:
	s_load_b64 s[0:1], s[0:1], 0x68
	v_lshlrev_b32_e32 v0, 10, v0
	s_lshl_b32 s4, s35, 6
	v_or_b32_e32 v23, s31, v66
	s_mul_i32 s2, s4, s34
	v_lshlrev_b32_e32 v1, 4, v67
	v_lshlrev_b32_e32 v2, 6, v66
	s_mul_i32 s2, s2, s8
	v_and_b32_e32 v0, 0x3800, v0
	v_mul_lo_u32 v8, v23, s4
	s_ashr_i32 s3, s2, 31
	v_or_b32_e32 v3, 2, v23
	s_lshl_b64 s[2:3], s[2:3], 1
	v_or3_b32 v27, v0, v1, v2
	v_or_b32_e32 v11, 4, v23
	v_or_b32_e32 v18, 6, v23
	v_mul_lo_u32 v10, v3, s4
	v_ashrrev_i32_e32 v9, 31, v8
	ds_load_b128 v[0:3], v27
	ds_load_b128 v[4:7], v27 offset:128
	v_mul_lo_u32 v12, v11, s4
	s_waitcnt lgkmcnt(0)
	s_add_u32 s2, s0, s2
	s_addc_u32 s3, s1, s3
	s_lshl_b32 s0, s14, 6
	v_lshlrev_b64 v[8:9], 1, v[8:9]
	s_ashr_i32 s1, s0, 31
	v_ashrrev_i32_e32 v11, 31, v10
	s_lshl_b64 s[0:1], s[0:1], 1
	v_ashrrev_i32_e32 v13, 31, v12
	s_add_u32 s0, s2, s0
	s_addc_u32 s1, s3, s1
	v_add_co_u32 v30, s0, s0, v65
	s_delay_alu instid0(VALU_DEP_1) | instskip(SKIP_1) | instid1(VALU_DEP_3)
	v_add_co_ci_u32_e64 v31, null, s1, 0, s0
	v_lshlrev_b64 v[16:17], 1, v[10:11]
	v_add_co_u32 v14, vcc_lo, v30, v8
	s_delay_alu instid0(VALU_DEP_3)
	v_add_co_ci_u32_e32 v15, vcc_lo, v31, v9, vcc_lo
	ds_load_b128 v[8:11], v27 offset:256
	v_mul_lo_u32 v18, v18, s4
	v_or_b32_e32 v19, 8, v23
	v_add_co_u32 v16, vcc_lo, v30, v16
	global_store_b128 v[14:15], v[0:3], off
	v_lshlrev_b64 v[0:1], 1, v[12:13]
	v_add_co_ci_u32_e32 v17, vcc_lo, v31, v17, vcc_lo
	v_mul_lo_u32 v12, v19, s4
	v_ashrrev_i32_e32 v19, 31, v18
	v_or_b32_e32 v14, 10, v23
	global_store_b128 v[16:17], v[4:7], off
	v_add_co_u32 v4, vcc_lo, v30, v0
	v_add_co_ci_u32_e32 v5, vcc_lo, v31, v1, vcc_lo
	ds_load_b128 v[0:3], v27 offset:384
	v_ashrrev_i32_e32 v13, 31, v12
	v_lshlrev_b64 v[6:7], 1, v[18:19]
	v_mul_lo_u32 v14, v14, s4
	s_waitcnt lgkmcnt(1)
	global_store_b128 v[4:5], v[8:11], off
	v_or_b32_e32 v8, 12, v23
	v_lshlrev_b64 v[4:5], 1, v[12:13]
	v_add_co_u32 v20, vcc_lo, v30, v6
	v_or_b32_e32 v6, 14, v23
	v_ashrrev_i32_e32 v15, 31, v14
	v_mul_lo_u32 v22, v8, s4
	v_add_co_ci_u32_e32 v21, vcc_lo, v31, v7, vcc_lo
	v_add_co_u32 v24, vcc_lo, v30, v4
	v_mul_lo_u32 v26, v6, s4
	v_add_co_ci_u32_e32 v25, vcc_lo, v31, v5, vcc_lo
	v_lshlrev_b64 v[28:29], 1, v[14:15]
	ds_load_b128 v[4:7], v27 offset:512
	ds_load_b128 v[8:11], v27 offset:640
	;; [unrolled: 1-line block ×4, first 2 shown]
	v_ashrrev_i32_e32 v23, 31, v22
	v_ashrrev_i32_e32 v27, 31, v26
	v_add_co_u32 v28, vcc_lo, v30, v28
	s_delay_alu instid0(VALU_DEP_3) | instskip(SKIP_1) | instid1(VALU_DEP_4)
	v_lshlrev_b64 v[22:23], 1, v[22:23]
	v_add_co_ci_u32_e32 v29, vcc_lo, v31, v29, vcc_lo
	v_lshlrev_b64 v[26:27], 1, v[26:27]
	s_delay_alu instid0(VALU_DEP_3) | instskip(NEXT) | instid1(VALU_DEP_4)
	v_add_co_u32 v22, vcc_lo, v30, v22
	v_add_co_ci_u32_e32 v23, vcc_lo, v31, v23, vcc_lo
	s_delay_alu instid0(VALU_DEP_3) | instskip(NEXT) | instid1(VALU_DEP_4)
	v_add_co_u32 v26, vcc_lo, v30, v26
	v_add_co_ci_u32_e32 v27, vcc_lo, v31, v27, vcc_lo
	s_waitcnt lgkmcnt(4)
	global_store_b128 v[20:21], v[0:3], off
	s_waitcnt lgkmcnt(3)
	global_store_b128 v[24:25], v[4:7], off
	;; [unrolled: 2-line block ×5, first 2 shown]
	s_nop 0
	s_sendmsg sendmsg(MSG_DEALLOC_VGPRS)
	s_endpgm
	.section	.rodata,"a",@progbits
	.p2align	6, 0x0
	.amdhsa_kernel _Z39paged_attention_ll4mi_QKV_mfma16_kernelIDF16_hLN4vllm18Fp8KVCacheDataTypeE1EDF16_Li32ELi64ELi256ELb0ELi16EL8MFMAType1EEvPKT_PKT0_S8_ifPKiSA_SA_iPKfiiiPfSD_PS3_PT2_iSC_SC_
		.amdhsa_group_segment_fixed_size 17472
		.amdhsa_private_segment_fixed_size 0
		.amdhsa_kernarg_size 400
		.amdhsa_user_sgpr_count 13
		.amdhsa_user_sgpr_dispatch_ptr 0
		.amdhsa_user_sgpr_queue_ptr 0
		.amdhsa_user_sgpr_kernarg_segment_ptr 1
		.amdhsa_user_sgpr_dispatch_id 0
		.amdhsa_user_sgpr_private_segment_size 0
		.amdhsa_wavefront_size32 1
		.amdhsa_uses_dynamic_stack 0
		.amdhsa_enable_private_segment 0
		.amdhsa_system_sgpr_workgroup_id_x 1
		.amdhsa_system_sgpr_workgroup_id_y 1
		.amdhsa_system_sgpr_workgroup_id_z 1
		.amdhsa_system_sgpr_workgroup_info 0
		.amdhsa_system_vgpr_workitem_id 0
		.amdhsa_next_free_vgpr 123
		.amdhsa_next_free_sgpr 42
		.amdhsa_reserve_vcc 1
		.amdhsa_float_round_mode_32 0
		.amdhsa_float_round_mode_16_64 0
		.amdhsa_float_denorm_mode_32 3
		.amdhsa_float_denorm_mode_16_64 3
		.amdhsa_dx10_clamp 1
		.amdhsa_ieee_mode 1
		.amdhsa_fp16_overflow 0
		.amdhsa_workgroup_processor_mode 1
		.amdhsa_memory_ordered 1
		.amdhsa_forward_progress 0
		.amdhsa_shared_vgpr_count 0
		.amdhsa_exception_fp_ieee_invalid_op 0
		.amdhsa_exception_fp_denorm_src 0
		.amdhsa_exception_fp_ieee_div_zero 0
		.amdhsa_exception_fp_ieee_overflow 0
		.amdhsa_exception_fp_ieee_underflow 0
		.amdhsa_exception_fp_ieee_inexact 0
		.amdhsa_exception_int_div_zero 0
	.end_amdhsa_kernel
	.section	.text._Z39paged_attention_ll4mi_QKV_mfma16_kernelIDF16_hLN4vllm18Fp8KVCacheDataTypeE1EDF16_Li32ELi64ELi256ELb0ELi16EL8MFMAType1EEvPKT_PKT0_S8_ifPKiSA_SA_iPKfiiiPfSD_PS3_PT2_iSC_SC_,"axG",@progbits,_Z39paged_attention_ll4mi_QKV_mfma16_kernelIDF16_hLN4vllm18Fp8KVCacheDataTypeE1EDF16_Li32ELi64ELi256ELb0ELi16EL8MFMAType1EEvPKT_PKT0_S8_ifPKiSA_SA_iPKfiiiPfSD_PS3_PT2_iSC_SC_,comdat
.Lfunc_end925:
	.size	_Z39paged_attention_ll4mi_QKV_mfma16_kernelIDF16_hLN4vllm18Fp8KVCacheDataTypeE1EDF16_Li32ELi64ELi256ELb0ELi16EL8MFMAType1EEvPKT_PKT0_S8_ifPKiSA_SA_iPKfiiiPfSD_PS3_PT2_iSC_SC_, .Lfunc_end925-_Z39paged_attention_ll4mi_QKV_mfma16_kernelIDF16_hLN4vllm18Fp8KVCacheDataTypeE1EDF16_Li32ELi64ELi256ELb0ELi16EL8MFMAType1EEvPKT_PKT0_S8_ifPKiSA_SA_iPKfiiiPfSD_PS3_PT2_iSC_SC_
                                        ; -- End function
	.section	.AMDGPU.csdata,"",@progbits
; Kernel info:
; codeLenInByte = 6736
; NumSgprs: 44
; NumVgprs: 123
; ScratchSize: 0
; MemoryBound: 0
; FloatMode: 240
; IeeeMode: 1
; LDSByteSize: 17472 bytes/workgroup (compile time only)
; SGPRBlocks: 5
; VGPRBlocks: 15
; NumSGPRsForWavesPerEU: 44
; NumVGPRsForWavesPerEU: 123
; Occupancy: 10
; WaveLimiterHint : 1
; COMPUTE_PGM_RSRC2:SCRATCH_EN: 0
; COMPUTE_PGM_RSRC2:USER_SGPR: 13
; COMPUTE_PGM_RSRC2:TRAP_HANDLER: 0
; COMPUTE_PGM_RSRC2:TGID_X_EN: 1
; COMPUTE_PGM_RSRC2:TGID_Y_EN: 1
; COMPUTE_PGM_RSRC2:TGID_Z_EN: 1
; COMPUTE_PGM_RSRC2:TIDIG_COMP_CNT: 0
	.section	.text._Z39paged_attention_ll4mi_QKV_mfma16_kernelIDF16_hLN4vllm18Fp8KVCacheDataTypeE1EDF16_Li32ELi64ELi256ELb0ELi1EL8MFMAType1EEvPKT_PKT0_S8_ifPKiSA_SA_iPKfiiiPfSD_PS3_PT2_iSC_SC_,"axG",@progbits,_Z39paged_attention_ll4mi_QKV_mfma16_kernelIDF16_hLN4vllm18Fp8KVCacheDataTypeE1EDF16_Li32ELi64ELi256ELb0ELi1EL8MFMAType1EEvPKT_PKT0_S8_ifPKiSA_SA_iPKfiiiPfSD_PS3_PT2_iSC_SC_,comdat
	.protected	_Z39paged_attention_ll4mi_QKV_mfma16_kernelIDF16_hLN4vllm18Fp8KVCacheDataTypeE1EDF16_Li32ELi64ELi256ELb0ELi1EL8MFMAType1EEvPKT_PKT0_S8_ifPKiSA_SA_iPKfiiiPfSD_PS3_PT2_iSC_SC_ ; -- Begin function _Z39paged_attention_ll4mi_QKV_mfma16_kernelIDF16_hLN4vllm18Fp8KVCacheDataTypeE1EDF16_Li32ELi64ELi256ELb0ELi1EL8MFMAType1EEvPKT_PKT0_S8_ifPKiSA_SA_iPKfiiiPfSD_PS3_PT2_iSC_SC_
	.globl	_Z39paged_attention_ll4mi_QKV_mfma16_kernelIDF16_hLN4vllm18Fp8KVCacheDataTypeE1EDF16_Li32ELi64ELi256ELb0ELi1EL8MFMAType1EEvPKT_PKT0_S8_ifPKiSA_SA_iPKfiiiPfSD_PS3_PT2_iSC_SC_
	.p2align	8
	.type	_Z39paged_attention_ll4mi_QKV_mfma16_kernelIDF16_hLN4vllm18Fp8KVCacheDataTypeE1EDF16_Li32ELi64ELi256ELb0ELi1EL8MFMAType1EEvPKT_PKT0_S8_ifPKiSA_SA_iPKfiiiPfSD_PS3_PT2_iSC_SC_,@function
_Z39paged_attention_ll4mi_QKV_mfma16_kernelIDF16_hLN4vllm18Fp8KVCacheDataTypeE1EDF16_Li32ELi64ELi256ELb0ELi1EL8MFMAType1EEvPKT_PKT0_S8_ifPKiSA_SA_iPKfiiiPfSD_PS3_PT2_iSC_SC_: ; @_Z39paged_attention_ll4mi_QKV_mfma16_kernelIDF16_hLN4vllm18Fp8KVCacheDataTypeE1EDF16_Li32ELi64ELi256ELb0ELi1EL8MFMAType1EEvPKT_PKT0_S8_ifPKiSA_SA_iPKfiiiPfSD_PS3_PT2_iSC_SC_
; %bb.0:
	s_load_b64 s[4:5], s[0:1], 0x30
	s_mov_b32 s34, s13
	s_waitcnt lgkmcnt(0)
	s_cmp_lg_u64 s[4:5], 0
	s_cselect_b32 s6, -1, 0
	s_ashr_i32 s35, s13, 31
	s_cmp_eq_u64 s[4:5], 0
	s_cbranch_scc1 .LBB926_3
; %bb.1:
	s_lshl_b64 s[2:3], s[34:35], 2
	s_delay_alu instid0(SALU_CYCLE_1) | instskip(SKIP_4) | instid1(SALU_CYCLE_1)
	s_add_u32 s2, s4, s2
	s_addc_u32 s3, s5, s3
	s_load_b64 s[2:3], s[2:3], 0x0
	s_waitcnt lgkmcnt(0)
	s_sub_i32 s2, s3, s2
	s_cmp_eq_u32 s2, 1
	s_cselect_b32 s2, -1, 0
	s_delay_alu instid0(SALU_CYCLE_1)
	s_and_not1_b32 vcc_lo, exec_lo, s2
	s_cbranch_vccz .LBB926_4
.LBB926_2:
	s_endpgm
.LBB926_3:
.LBB926_4:
	s_load_b64 s[2:3], s[0:1], 0x28
	s_lshl_b64 s[8:9], s[34:35], 2
	s_waitcnt lgkmcnt(0)
	s_add_u32 s2, s2, s8
	s_addc_u32 s3, s3, s9
	s_lshl_b32 s12, s14, 8
	s_load_b32 s33, s[2:3], 0x0
	s_waitcnt lgkmcnt(0)
	s_cmp_ge_i32 s12, s33
	s_cbranch_scc1 .LBB926_2
; %bb.5:
	s_clause 0x1
	s_load_b128 s[28:31], s[0:1], 0x8
	s_load_b64 s[2:3], s[0:1], 0x20
	s_and_not1_b32 vcc_lo, exec_lo, s6
	s_mov_b64 s[6:7], s[34:35]
	s_cbranch_vccnz .LBB926_7
; %bb.6:
	s_add_u32 s4, s4, s8
	s_addc_u32 s5, s5, s9
	s_load_b32 s6, s[4:5], 0x0
.LBB926_7:
	s_load_b128 s[24:27], s[0:1], 0x48
	v_and_b32_e32 v73, 15, v0
	s_mov_b32 s13, exec_lo
                                        ; implicit-def: $sgpr16
                                        ; implicit-def: $sgpr4
	s_delay_alu instid0(VALU_DEP_1)
	v_cmpx_eq_u32_e32 0, v73
	s_cbranch_execz .LBB926_9
; %bb.8:
	s_load_b64 s[4:5], s[0:1], 0x0
	s_waitcnt lgkmcnt(0)
	s_mul_hi_i32 s7, s6, s24
	s_mul_i32 s6, s6, s24
	s_delay_alu instid0(SALU_CYCLE_1) | instskip(NEXT) | instid1(SALU_CYCLE_1)
	s_lshl_b64 s[6:7], s[6:7], 1
	s_add_u32 s6, s4, s6
	s_addc_u32 s7, s5, s7
	s_lshl_b32 s4, s15, 6
	s_delay_alu instid0(SALU_CYCLE_1) | instskip(NEXT) | instid1(SALU_CYCLE_1)
	s_ashr_i32 s5, s4, 31
	s_lshl_b64 s[4:5], s[4:5], 1
	s_delay_alu instid0(SALU_CYCLE_1)
	s_add_u32 s4, s6, s4
	s_addc_u32 s5, s7, s5
	s_clause 0x1
	s_load_b256 s[16:23], s[4:5], 0x0
	s_load_b256 s[4:11], s[4:5], 0x40
.LBB926_9:
	s_or_b32 exec_lo, exec_lo, s13
	v_and_b32_e32 v1, 0xef, v0
	s_waitcnt lgkmcnt(0)
	v_dual_mov_b32 v115, s23 :: v_dual_mov_b32 v108, s16
	v_mov_b32_e32 v114, s22
	s_add_i32 s13, s33, 31
	v_dual_mov_b32 v112, s20 :: v_dual_add_nc_u32 v1, s12, v1
	s_ashr_i32 s24, s13, 31
	s_load_b32 s27, s[0:1], 0x38
	s_lshr_b32 s24, s24, 27
	s_delay_alu instid0(VALU_DEP_1)
	v_ashrrev_i32_e32 v2, 31, v1
	v_or_b32_e32 v3, 16, v1
	s_add_i32 s13, s13, s24
	s_load_b32 s24, s[0:1], 0x1c
	s_ashr_i32 s13, s13, 5
	v_lshrrev_b32_e32 v2, 27, v2
	s_add_i32 s13, s13, -1
	v_cmp_gt_i32_e32 vcc_lo, s33, v1
	v_lshrrev_b32_e32 v66, 5, v0
	s_delay_alu instid0(VALU_DEP_3)
	v_dual_mov_b32 v111, s19 :: v_dual_add_nc_u32 v4, v1, v2
	v_mov_b32_e32 v113, s21
	v_mov_b32_e32 v109, s17
	v_and_b32_e32 v65, 0xe0, v0
	v_mbcnt_lo_u32_b32 v67, -1, 0
	v_ashrrev_i32_e32 v4, 5, v4
	v_add_nc_u32_e32 v2, v3, v2
	v_bfe_u32 v75, v0, 4, 1
	s_waitcnt lgkmcnt(0)
	s_mul_i32 s36, s34, s27
	v_xor_b32_e32 v68, 16, v67
	v_cndmask_b32_e32 v1, s13, v4, vcc_lo
	v_ashrrev_i32_e32 v2, 5, v2
	v_cmp_gt_i32_e32 vcc_lo, s33, v3
	s_ashr_i32 s37, s36, 31
	v_lshlrev_b32_e32 v74, 4, v73
	s_lshl_b64 s[36:37], s[36:37], 2
	v_mov_b32_e32 v110, s18
	v_cndmask_b32_e32 v3, s13, v2, vcc_lo
	v_ashrrev_i32_e32 v2, 31, v1
	s_add_u32 s36, s2, s36
	s_addc_u32 s35, s3, s37
	s_mul_i32 s37, s15, s26
	v_ashrrev_i32_e32 v4, 31, v3
	v_lshlrev_b64 v[1:2], 2, v[1:2]
	s_ashr_i32 s38, s37, 31
	s_add_u32 s40, s28, s37
	s_addc_u32 s41, s29, s38
	v_lshlrev_b64 v[3:4], 2, v[3:4]
	s_lshl_b32 s2, s14, 3
	v_add_co_u32 v1, vcc_lo, s36, v1
	v_add_co_ci_u32_e32 v2, vcc_lo, s35, v2, vcc_lo
	s_delay_alu instid0(VALU_DEP_3) | instskip(NEXT) | instid1(VALU_DEP_4)
	v_add_co_u32 v3, vcc_lo, s36, v3
	v_add_co_ci_u32_e32 v4, vcc_lo, s35, v4, vcc_lo
	s_clause 0x1
	global_load_b32 v5, v[1:2], off
	global_load_b32 v6, v[3:4], off
	s_ashr_i32 s3, s2, 31
	s_delay_alu instid0(SALU_CYCLE_1) | instskip(NEXT) | instid1(SALU_CYCLE_1)
	s_lshl_b64 s[2:3], s[2:3], 2
	s_add_u32 s2, s36, s2
	s_addc_u32 s3, s35, s3
	s_or_b32 s26, s12, 32
	s_delay_alu instid0(SALU_CYCLE_1) | instskip(SKIP_2) | instid1(SALU_CYCLE_1)
	s_ashr_i32 s27, s26, 5
	s_cmp_lt_i32 s26, s33
	s_cselect_b32 s26, s27, s13
	s_ashr_i32 s27, s26, 31
	s_delay_alu instid0(SALU_CYCLE_1) | instskip(NEXT) | instid1(SALU_CYCLE_1)
	s_lshl_b64 s[26:27], s[26:27], 2
	s_add_u32 s26, s36, s26
	s_addc_u32 s27, s35, s27
	s_or_b32 s28, s12, 64
	s_delay_alu instid0(SALU_CYCLE_1) | instskip(SKIP_2) | instid1(SALU_CYCLE_1)
	s_ashr_i32 s29, s28, 5
	s_cmp_lt_i32 s28, s33
	s_cselect_b32 s28, s29, s13
	;; [unrolled: 10-line block ×5, first 2 shown]
	s_ashr_i32 s29, s28, 31
	s_delay_alu instid0(SALU_CYCLE_1) | instskip(NEXT) | instid1(SALU_CYCLE_1)
	s_lshl_b64 s[28:29], s[28:29], 2
	s_add_u32 s48, s36, s28
	s_addc_u32 s49, s35, s29
	s_clause 0x5
	s_load_b32 s29, s[2:3], 0x0
	s_load_b32 s2, s[26:27], 0x0
	s_load_b32 s3, s[42:43], 0x0
	s_load_b32 s26, s[44:45], 0x0
	s_load_b32 s27, s[46:47], 0x0
	s_load_b32 s28, s[48:49], 0x0
	s_or_b32 s39, s12, 0xc0
	s_waitcnt vmcnt(1)
	v_mad_i64_i32 v[1:2], null, v5, s25, s[40:41]
	s_waitcnt vmcnt(0)
	v_mad_i64_i32 v[3:4], null, v6, s25, s[40:41]
	s_ashr_i32 s40, s39, 5
	s_cmp_lt_i32 s39, s33
	s_cselect_b32 s40, s40, s13
	s_delay_alu instid0(VALU_DEP_2) | instskip(NEXT) | instid1(VALU_DEP_3)
	v_add_co_u32 v1, vcc_lo, v1, v74
	v_add_co_ci_u32_e32 v2, vcc_lo, 0, v2, vcc_lo
	s_delay_alu instid0(VALU_DEP_3) | instskip(NEXT) | instid1(VALU_DEP_4)
	v_add_co_u32 v3, vcc_lo, v3, v74
	v_add_co_ci_u32_e32 v4, vcc_lo, 0, v4, vcc_lo
	s_clause 0x7
	global_load_b128 v[76:79], v[1:2], off
	global_load_b128 v[80:83], v[1:2], off offset:512
	global_load_b128 v[84:87], v[3:4], off offset:256
	;; [unrolled: 1-line block ×7, first 2 shown]
	s_ashr_i32 s41, s40, 31
	v_lshlrev_b32_e32 v1, 5, v73
	s_lshl_b64 s[40:41], s[40:41], 2
	v_cmp_gt_i32_e32 vcc_lo, 32, v68
	s_add_u32 s40, s36, s40
	s_addc_u32 s41, s35, s41
	s_or_b32 s39, s12, 0xe0
	v_lshl_or_b32 v1, v66, 9, v1
	s_ashr_i32 s42, s39, 5
	s_cmp_lt_i32 s39, s33
	s_cselect_b32 s42, s42, s13
	s_load_b32 s13, s[40:41], 0x0
	s_ashr_i32 s43, s42, 31
	s_delay_alu instid0(SALU_CYCLE_1) | instskip(NEXT) | instid1(SALU_CYCLE_1)
	s_lshl_b64 s[42:43], s[42:43], 2
	s_add_u32 s40, s36, s42
	s_addc_u32 s41, s35, s43
	s_add_u32 s30, s30, s37
	s_addc_u32 s31, s31, s38
	v_add_co_u32 v1, s30, s30, v1
	s_delay_alu instid0(VALU_DEP_1) | instskip(SKIP_3) | instid1(VALU_DEP_1)
	v_add_co_ci_u32_e64 v2, null, s31, 0, s30
	s_load_b32 s30, s[40:41], 0x0
	s_mov_b32 s36, 0
	s_waitcnt lgkmcnt(0)
	v_mad_i64_i32 v[3:4], null, s29, s25, v[1:2]
	v_mad_i64_i32 v[9:10], null, s26, s25, v[1:2]
	;; [unrolled: 1-line block ×7, first 2 shown]
	s_clause 0x5
	global_load_b128 v[49:52], v[3:4], off
	global_load_b128 v[53:56], v[3:4], off offset:16
	global_load_b128 v[41:44], v[5:6], off
	global_load_b128 v[45:48], v[5:6], off offset:16
	;; [unrolled: 2-line block ×3, first 2 shown]
	s_mov_b32 s43, s36
	s_mov_b32 s37, s36
	v_mad_i64_i32 v[61:62], null, s30, s25, v[1:2]
	s_clause 0x9
	global_load_b128 v[1:4], v[9:10], off
	global_load_b128 v[5:8], v[9:10], off offset:16
	global_load_b128 v[9:12], v[13:14], off
	global_load_b128 v[13:16], v[13:14], off offset:16
	global_load_b128 v[17:20], v[21:22], off
	global_load_b128 v[21:24], v[21:22], off offset:16
	global_load_b128 v[25:28], v[29:30], off
	global_load_b128 v[29:32], v[29:30], off offset:16
	global_load_b128 v[57:60], v[61:62], off
	global_load_b128 v[61:64], v[61:62], off offset:16
	s_mov_b32 s38, s36
	s_mov_b32 s39, s36
	;; [unrolled: 1-line block ×5, first 2 shown]
	v_mov_b32_e32 v123, s11
	v_mov_b32_e32 v131, s43
	v_dual_mov_b32 v121, s9 :: v_dual_mov_b32 v128, s40
	v_dual_mov_b32 v119, s7 :: v_dual_mov_b32 v126, s38
	;; [unrolled: 1-line block ×4, first 2 shown]
	v_mov_b32_e32 v127, s39
	v_dual_mov_b32 v125, s37 :: v_dual_mov_b32 v122, s10
	v_mov_b32_e32 v120, s8
	v_dual_mov_b32 v118, s6 :: v_dual_add_nc_u32 v65, s12, v65
	v_mov_b32_e32 v116, s4
	s_waitcnt vmcnt(0)
	s_barrier
	buffer_gl0_inv
	v_or_b32_e32 v65, v65, v75
	s_delay_alu instid0(VALU_DEP_1)
	v_or_b32_e32 v69, 4, v65
	v_or_b32_e32 v70, 6, v65
	;; [unrolled: 1-line block ×8, first 2 shown]
	v_cmp_gt_i32_e64 s3, s33, v69
	v_cmp_gt_i32_e64 s4, s33, v70
	;; [unrolled: 1-line block ×8, first 2 shown]
	v_wmma_f32_16x16x16_f16 v[132:139], v[76:83], v[108:115], v[124:131]
	v_or_b32_e32 v76, 20, v65
	v_or_b32_e32 v77, 22, v65
	;; [unrolled: 1-line block ×3, first 2 shown]
	s_delay_alu instid0(VALU_DEP_4)
	v_wmma_f32_16x16x16_f16 v[132:139], v[92:99], v[116:123], v[132:139]
	v_or_b32_e32 v79, 26, v65
	v_or_b32_e32 v80, 28, v65
	;; [unrolled: 1-line block ×3, first 2 shown]
	v_cmp_gt_i32_e64 s11, s33, v76
	v_mul_f32_e32 v82, s24, v139
	v_wmma_f32_16x16x16_f16 v[124:131], v[84:91], v[108:115], v[124:131]
	v_mul_f32_e32 v88, s24, v133
	v_mul_f32_e32 v86, s24, v135
	;; [unrolled: 1-line block ×3, first 2 shown]
	v_cmp_gt_i32_e64 s12, s33, v77
	v_wmma_f32_16x16x16_f16 v[124:131], v[100:107], v[116:123], v[124:131]
	v_cndmask_b32_e32 v67, v67, v68, vcc_lo
	v_or_b32_e32 v68, 2, v65
	v_cmp_gt_i32_e32 vcc_lo, s33, v65
	s_delay_alu instid0(VALU_DEP_4) | instskip(SKIP_1) | instid1(VALU_DEP_4)
	v_dual_mul_f32 v87, s24, v134 :: v_dual_mul_f32 v96, s24, v125
	v_dual_mul_f32 v90, s24, v131 :: v_dual_mul_f32 v89, s24, v132
	v_cmp_gt_i32_e64 s2, s33, v68
	v_dual_mul_f32 v85, s24, v136 :: v_dual_mul_f32 v94, s24, v127
	s_delay_alu instid0(VALU_DEP_4) | instskip(NEXT) | instid1(VALU_DEP_4)
	v_cndmask_b32_e64 v69, 0xff7fffff, v87, s3
	v_cndmask_b32_e32 v65, 0xff7fffff, v89, vcc_lo
	s_delay_alu instid0(VALU_DEP_4) | instskip(SKIP_3) | instid1(VALU_DEP_4)
	v_cndmask_b32_e64 v68, 0xff7fffff, v88, s2
	v_cndmask_b32_e64 v70, 0xff7fffff, v86, s4
	v_dual_mul_f32 v83, s24, v138 :: v_dual_mul_f32 v92, s24, v129
	v_cndmask_b32_e64 v71, 0xff7fffff, v84, s6
	v_max3_f32 v65, v65, 0xff7fffff, v68
	v_cndmask_b32_e64 v68, 0xff7fffff, v85, s5
	v_mul_f32_e32 v97, s24, v124
	v_mul_f32_e32 v95, s24, v126
	;; [unrolled: 1-line block ×3, first 2 shown]
	v_max3_f32 v65, v65, v69, v70
	v_cndmask_b32_e64 v69, 0xff7fffff, v83, s7
	v_cndmask_b32_e64 v70, 0xff7fffff, v82, s8
	v_cmp_gt_i32_e64 s13, s33, v78
	v_cmp_gt_i32_e64 s16, s33, v79
	v_max3_f32 v65, v65, v68, v71
	v_cndmask_b32_e64 v68, 0xff7fffff, v97, s9
	v_cndmask_b32_e64 v71, 0xff7fffff, v96, s10
	v_mul_f32_e32 v91, s24, v130
	v_cmp_gt_i32_e64 s17, s33, v80
	v_max3_f32 v65, v65, v69, v70
	v_cndmask_b32_e64 v69, 0xff7fffff, v95, s11
	v_cndmask_b32_e64 v70, 0xff7fffff, v94, s12
	v_cmp_gt_i32_e64 s18, s33, v81
	s_delay_alu instid0(VALU_DEP_4) | instskip(SKIP_2) | instid1(VALU_DEP_3)
	v_max3_f32 v65, v65, v68, v71
	v_cndmask_b32_e64 v68, 0xff7fffff, v93, s13
	v_cndmask_b32_e64 v71, 0xff7fffff, v92, s16
	v_max3_f32 v65, v65, v69, v70
	v_cndmask_b32_e64 v69, 0xff7fffff, v91, s17
	v_cndmask_b32_e64 v70, 0xff7fffff, v90, s18
	s_delay_alu instid0(VALU_DEP_3) | instskip(SKIP_1) | instid1(VALU_DEP_2)
	v_max3_f32 v65, v65, v68, v71
	v_lshlrev_b32_e32 v68, 2, v67
	v_max3_f32 v65, v65, v69, v70
	ds_bpermute_b32 v67, v68, v65
	s_waitcnt lgkmcnt(0)
	v_max_f32_e32 v67, v67, v67
	s_delay_alu instid0(VALU_DEP_1) | instskip(NEXT) | instid1(VALU_DEP_1)
	v_max_f32_e32 v65, v65, v67
	v_fma_f32 v80, s24, v124, -v65
	s_delay_alu instid0(VALU_DEP_1)
	v_mul_f32_e32 v80, 0x3fb8aa3b, v80
	v_fma_f32 v78, s24, v138, -v65
	v_fma_f32 v71, s24, v135, -v65
	;; [unrolled: 1-line block ×5, first 2 shown]
	v_mul_f32_e32 v78, 0x3fb8aa3b, v78
	v_exp_f32_e32 v80, v80
	v_mul_f32_e32 v67, 0x3fb8aa3b, v67
	v_fma_f32 v72, s24, v136, -v65
	v_mul_f32_e32 v70, 0x3fb8aa3b, v70
	v_exp_f32_e32 v78, v78
	s_delay_alu instid0(VALU_DEP_3) | instskip(NEXT) | instid1(VALU_DEP_2)
	v_exp_f32_e32 v67, v67
	v_mul_f32_e32 v72, 0x3fb8aa3b, v72
	s_delay_alu instid0(VALU_DEP_2) | instskip(SKIP_2) | instid1(VALU_DEP_3)
	v_exp_f32_e32 v76, v70
	v_cndmask_b32_e64 v88, 0, v80, s9
	v_fma_f32 v80, s24, v129, -v65
	v_exp_f32_e32 v79, v72
	v_cndmask_b32_e64 v86, 0, v78, s7
	v_fma_f32 v78, s24, v127, -v65
	v_mul_f32_e32 v71, 0x3fb8aa3b, v71
	s_delay_alu instid0(TRANS32_DEP_3) | instskip(SKIP_1) | instid1(TRANS32_DEP_2)
	v_cndmask_b32_e32 v70, 0, v67, vcc_lo
	v_fma_f32 v67, s24, v137, -v65
	v_cndmask_b32_e64 v72, 0, v76, s3
	v_mul_f32_e32 v78, 0x3fb8aa3b, v78
	v_exp_f32_e32 v71, v71
	v_dual_add_f32 v77, 0, v70 :: v_dual_mul_f32 v80, 0x3fb8aa3b, v80
	v_mul_f32_e32 v67, 0x3fb8aa3b, v67
	v_cndmask_b32_e64 v84, 0, v79, s5
	v_fma_f32 v79, s24, v125, -v65
	v_exp_f32_e32 v78, v78
	s_mov_b32 s3, exec_lo
	v_exp_f32_e32 v67, v67
	s_delay_alu instid0(TRANS32_DEP_3) | instskip(SKIP_2) | instid1(VALU_DEP_2)
	v_cndmask_b32_e64 v71, 0, v71, s4
	v_mul_f32_e32 v69, 0x3fb8aa3b, v69
	v_mul_f32_e32 v79, 0x3fb8aa3b, v79
	v_exp_f32_e32 v69, v69
	s_delay_alu instid0(VALU_DEP_1) | instskip(NEXT) | instid1(TRANS32_DEP_3)
	v_exp_f32_e32 v79, v79
	v_cndmask_b32_e64 v83, 0, v67, s6
	v_cndmask_b32_e64 v89, 0, v78, s12
	v_fma_f32 v78, s24, v131, -v65
	s_waitcnt_depctr 0xfff
	v_cndmask_b32_e64 v69, 0, v69, s2
	v_cndmask_b32_e64 v87, 0, v79, s10
	v_fma_f32 v79, s24, v130, -v65
	s_delay_alu instid0(VALU_DEP_3) | instskip(SKIP_1) | instid1(VALU_DEP_1)
	v_add_f32_e32 v76, v77, v69
	v_fma_f32 v77, s24, v139, -v65
	v_dual_add_f32 v76, v76, v72 :: v_dual_mul_f32 v77, 0x3fb8aa3b, v77
	s_delay_alu instid0(VALU_DEP_1) | instskip(NEXT) | instid1(VALU_DEP_1)
	v_add_f32_e32 v76, v76, v71
	v_add_f32_e32 v67, v76, v84
	v_fma_f32 v76, s24, v126, -v65
	s_delay_alu instid0(VALU_DEP_1) | instskip(NEXT) | instid1(VALU_DEP_1)
	v_dual_add_f32 v67, v67, v83 :: v_dual_mul_f32 v76, 0x3fb8aa3b, v76
	v_add_f32_e32 v67, v67, v86
	s_delay_alu instid0(VALU_DEP_2)
	v_exp_f32_e32 v76, v76
	s_waitcnt_depctr 0xfff
	v_cndmask_b32_e64 v90, 0, v76, s11
	v_mul_f32_e32 v76, 0x3fb8aa3b, v79
	v_exp_f32_e32 v77, v77
	v_exp_f32_e32 v79, v80
	s_delay_alu instid0(VALU_DEP_1) | instskip(NEXT) | instid1(TRANS32_DEP_3)
	v_exp_f32_e32 v76, v76
	v_cndmask_b32_e64 v85, 0, v77, s8
	v_fma_f32 v77, s24, v128, -v65
	s_waitcnt_depctr 0xfff
	v_cndmask_b32_e64 v91, 0, v79, s16
	v_cndmask_b32_e64 v94, 0, v76, s17
	v_add_f32_e32 v67, v67, v85
	v_dual_mul_f32 v77, 0x3fb8aa3b, v77 :: v_dual_and_b32 v76, 31, v0
	s_delay_alu instid0(VALU_DEP_2) | instskip(NEXT) | instid1(VALU_DEP_2)
	v_add_f32_e32 v67, v67, v88
	v_exp_f32_e32 v77, v77
	s_delay_alu instid0(VALU_DEP_2) | instskip(NEXT) | instid1(VALU_DEP_2)
	v_cmp_lt_u32_e64 s2, 15, v76
	v_add_f32_e32 v67, v67, v87
	s_delay_alu instid0(VALU_DEP_1) | instskip(SKIP_4) | instid1(VALU_DEP_2)
	v_add_f32_e32 v67, v67, v90
	s_waitcnt_depctr 0xfff
	v_cndmask_b32_e64 v92, 0, v77, s13
	v_mul_f32_e32 v77, 0x3fb8aa3b, v78
	v_add_f32_e32 v67, v67, v89
	v_exp_f32_e32 v77, v77
	s_delay_alu instid0(VALU_DEP_1) | instskip(NEXT) | instid1(VALU_DEP_1)
	v_add_f32_e32 v67, v67, v92
	v_add_f32_e32 v67, v67, v91
	s_waitcnt_depctr 0xfff
	v_cndmask_b32_e64 v93, 0, v77, s18
	v_add_f32_e32 v67, v67, v94
	s_delay_alu instid0(VALU_DEP_1)
	v_add_f32_e32 v67, v67, v93
	ds_bpermute_b32 v68, v68, v67
	v_cmpx_gt_u32_e32 16, v76
	s_cbranch_execz .LBB926_11
; %bb.10:
	v_mul_u32_u24_e32 v76, 0x44, v66
	s_waitcnt lgkmcnt(0)
	v_add_f32_e32 v67, v67, v68
	s_delay_alu instid0(VALU_DEP_2) | instskip(NEXT) | instid1(VALU_DEP_1)
	v_lshl_add_u32 v76, v73, 2, v76
	v_add_nc_u32_e32 v68, 0x4000, v76
	ds_store_2addr_b32 v68, v65, v67 offset1:136
.LBB926_11:
	s_or_b32 exec_lo, exec_lo, s3
	v_lshlrev_b32_e32 v65, 2, v73
	s_load_b64 s[36:37], s[0:1], 0x94
	s_waitcnt lgkmcnt(0)
	s_barrier
	buffer_gl0_inv
	v_add_nc_u32_e32 v65, 0x4000, v65
	v_cmp_eq_u32_e32 vcc_lo, 1, v66
	v_cmp_eq_u32_e64 s3, 2, v66
	v_cmp_eq_u32_e64 s5, 3, v66
	;; [unrolled: 1-line block ×3, first 2 shown]
	ds_load_2addr_b32 v[76:77], v65 offset1:17
	ds_load_2addr_b32 v[78:79], v65 offset0:34 offset1:51
	ds_load_2addr_b32 v[80:81], v65 offset0:68 offset1:85
	;; [unrolled: 1-line block ×3, first 2 shown]
	v_cmp_eq_u32_e64 s7, 5, v66
	v_cmp_eq_u32_e64 s4, 6, v66
	s_waitcnt lgkmcnt(3)
	v_max3_f32 v67, v76, 0xff7fffff, v77
	s_waitcnt lgkmcnt(2)
	s_delay_alu instid0(VALU_DEP_1) | instskip(SKIP_1) | instid1(VALU_DEP_1)
	v_max3_f32 v67, v67, v78, v79
	s_waitcnt lgkmcnt(1)
	v_max3_f32 v67, v67, v80, v81
	s_waitcnt lgkmcnt(0)
	s_delay_alu instid0(VALU_DEP_1) | instskip(NEXT) | instid1(VALU_DEP_1)
	v_max3_f32 v67, v67, v95, v96
	v_sub_f32_e32 v82, v77, v67
	ds_load_2addr_b32 v[97:98], v65 offset0:136 offset1:153
	v_sub_f32_e32 v68, v76, v67
	ds_load_2addr_b32 v[76:77], v65 offset0:170 offset1:187
	v_sub_f32_e32 v80, v80, v67
	v_mul_f32_e32 v82, 0x3fb8aa3b, v82
	v_mul_f32_e32 v68, 0x3fb8aa3b, v68
	s_delay_alu instid0(VALU_DEP_3) | instskip(NEXT) | instid1(VALU_DEP_2)
	v_mul_f32_e32 v102, 0x3fb8aa3b, v80
	v_exp_f32_e32 v99, v68
	v_sub_f32_e32 v68, v79, v67
	s_delay_alu instid0(VALU_DEP_1) | instskip(NEXT) | instid1(VALU_DEP_1)
	v_dual_sub_f32 v78, v78, v67 :: v_dual_mul_f32 v101, 0x3fb8aa3b, v68
	v_mul_f32_e32 v100, 0x3fb8aa3b, v78
	ds_load_2addr_b32 v[78:79], v65 offset0:204 offset1:221
	s_waitcnt lgkmcnt(2)
	v_fma_f32 v68, v99, v97, 0
	v_sub_f32_e32 v97, v81, v67
	ds_load_2addr_b32 v[80:81], v65 offset0:238 offset1:255
	v_sub_f32_e32 v65, v95, v67
	v_exp_f32_e32 v82, v82
	v_exp_f32_e32 v101, v101
	v_mul_f32_e32 v95, 0x3fb8aa3b, v97
	v_exp_f32_e32 v97, v102
	v_mul_f32_e32 v65, 0x3fb8aa3b, v65
	v_exp_f32_e32 v100, v100
	s_waitcnt lgkmcnt(0)
	v_exp_f32_e32 v95, v95
	s_barrier
	buffer_gl0_inv
	v_fmac_f32_e32 v68, v82, v98
	s_delay_alu instid0(VALU_DEP_1) | instskip(SKIP_2) | instid1(VALU_DEP_2)
	v_fmac_f32_e32 v68, v100, v76
	v_sub_f32_e32 v76, v96, v67
	v_exp_f32_e32 v96, v65
	v_fmac_f32_e32 v68, v101, v77
	s_delay_alu instid0(VALU_DEP_2) | instskip(NEXT) | instid1(VALU_DEP_2)
	v_mul_f32_e32 v76, 0x3fb8aa3b, v76
	v_fmac_f32_e32 v68, v97, v78
	s_delay_alu instid0(VALU_DEP_2) | instskip(SKIP_1) | instid1(VALU_DEP_2)
	v_exp_f32_e32 v98, v76
	v_cndmask_b32_e32 v76, v99, v82, vcc_lo
	v_fmac_f32_e32 v68, v95, v79
	s_delay_alu instid0(TRANS32_DEP_2) | instid1(VALU_DEP_1)
	v_fmac_f32_e32 v68, v96, v80
	v_lshlrev_b32_e32 v80, 6, v73
	s_waitcnt_depctr 0xfff
	v_fmac_f32_e32 v68, v98, v81
	v_lshl_or_b32 v82, v66, 11, v80
	s_delay_alu instid0(VALU_DEP_2) | instskip(NEXT) | instid1(VALU_DEP_1)
	v_add_f32_e32 v81, 0x358637bd, v68
	v_div_scale_f32 v102, null, v81, v81, 1.0
	v_div_scale_f32 v99, vcc_lo, 1.0, v81, 1.0
	s_delay_alu instid0(VALU_DEP_2) | instskip(SKIP_2) | instid1(VALU_DEP_1)
	v_rcp_f32_e32 v103, v102
	s_waitcnt_depctr 0xfff
	v_fma_f32 v65, -v102, v103, 1.0
	v_fmac_f32_e32 v103, v65, v103
	v_cndmask_b32_e64 v65, v76, v100, s3
	v_cmp_eq_u32_e64 s3, 7, v66
	v_lshlrev_b32_e32 v76, 2, v75
	s_delay_alu instid0(VALU_DEP_4) | instskip(NEXT) | instid1(VALU_DEP_4)
	v_mul_f32_e32 v100, v99, v103
	v_cndmask_b32_e64 v77, v65, v101, s5
	v_mov_b32_e32 v65, 0
	s_delay_alu instid0(VALU_DEP_4)
	v_or_b32_e32 v79, 1, v76
	v_cmp_eq_u32_e64 s5, 1, v76
	v_fma_f32 v78, -v102, v100, v99
	v_cndmask_b32_e64 v97, v77, v97, s6
	v_or_b32_e32 v77, 2, v76
	v_cmp_eq_u32_e64 s9, 1, v79
	v_cmp_eq_u32_e64 s6, 2, v76
	v_fmac_f32_e32 v100, v78, v103
	v_cndmask_b32_e64 v66, v97, v95, s7
	v_or_b32_e32 v78, 3, v76
	v_cmp_eq_u32_e64 s10, 1, v77
	v_cmp_eq_u32_e64 s12, 2, v79
	v_fma_f32 v95, -v102, v100, v99
	v_cndmask_b32_e64 v66, v66, v96, s4
	v_cmp_eq_u32_e64 s11, 1, v78
	v_cmp_eq_u32_e64 s17, 2, v78
	;; [unrolled: 1-line block ×3, first 2 shown]
	v_div_fmas_f32 v95, v95, v103, v100
	v_cndmask_b32_e64 v66, v66, v98, s3
	v_cmp_eq_u32_e32 vcc_lo, 3, v76
	v_cmp_eq_u32_e64 s16, 2, v77
	v_cmp_eq_u32_e64 s19, 3, v78
	v_div_fixup_f32 v95, v95, v81, 1.0
	v_lshl_or_b32 v81, v75, 4, v82
	v_cmp_eq_u32_e64 s4, 4, v76
	v_cmp_eq_u32_e64 s18, 3, v77
	;; [unrolled: 1-line block ×3, first 2 shown]
	v_mul_f32_e32 v66, v66, v95
	v_cmp_eq_u32_e64 s23, 4, v78
	v_cmp_eq_u32_e64 s7, 5, v76
	;; [unrolled: 1-line block ×4, first 2 shown]
	v_fma_mixlo_f16 v95, v66, v70, 0
	v_fma_mixlo_f16 v96, v66, v72, 0
	;; [unrolled: 1-line block ×8, first 2 shown]
	v_fma_mixhi_f16 v95, v66, v69, 0
	v_fma_mixhi_f16 v96, v66, v71, 0
	;; [unrolled: 1-line block ×8, first 2 shown]
	ds_store_b128 v81, v[95:98]
	ds_store_b128 v81, v[99:102] offset:1024
	s_waitcnt lgkmcnt(0)
	s_barrier
	buffer_gl0_inv
	ds_load_b128 v[69:72], v82
	ds_load_b128 v[83:86], v82 offset:16
	ds_load_b128 v[87:90], v82 offset:1024
	;; [unrolled: 1-line block ×3, first 2 shown]
	v_cmp_eq_u32_e64 s25, 5, v78
	v_cmp_eq_u32_e64 s3, 6, v76
	;; [unrolled: 1-line block ×10, first 2 shown]
	s_waitcnt lgkmcnt(3)
	v_lshrrev_b32_e32 v66, 16, v69
	s_waitcnt lgkmcnt(2)
	v_lshrrev_b32_e32 v98, 16, v83
	;; [unrolled: 2-line block ×4, first 2 shown]
	v_lshrrev_b32_e32 v95, 16, v70
	v_cndmask_b32_e64 v110, v69, v66, s5
	v_cndmask_b32_e64 v111, v83, v98, s5
	v_cndmask_b32_e64 v112, v69, v66, s9
	v_cndmask_b32_e64 v113, v83, v98, s9
	v_cndmask_b32_e64 v114, v69, v66, s10
	v_cndmask_b32_e64 v66, v69, v66, s11
	v_cndmask_b32_e64 v69, v83, v98, s11
	v_lshrrev_b32_e32 v99, 16, v84
	v_cndmask_b32_e64 v115, v83, v98, s10
	v_cndmask_b32_e64 v83, v87, v102, s5
	;; [unrolled: 1-line block ×15, first 2 shown]
	v_lshrrev_b32_e32 v103, 16, v88
	v_lshrrev_b32_e32 v107, 16, v92
	v_cndmask_b32_e64 v112, v114, v70, s16
	v_cndmask_b32_e64 v113, v115, v84, s16
	;; [unrolled: 1-line block ×7, first 2 shown]
	v_cndmask_b32_e32 v88, v102, v95, vcc_lo
	v_cndmask_b32_e32 v102, v106, v99, vcc_lo
	v_cndmask_b32_e64 v106, v110, v95, s13
	v_cndmask_b32_e64 v110, v111, v99, s13
	;; [unrolled: 1-line block ×4, first 2 shown]
	v_lshrrev_b32_e32 v96, 16, v71
	v_lshrrev_b32_e32 v100, 16, v85
	v_cndmask_b32_e64 v111, v112, v95, s18
	v_cndmask_b32_e64 v112, v113, v99, s18
	v_cndmask_b32_e32 v70, v70, v103, vcc_lo
	v_cndmask_b32_e32 v83, v83, v107, vcc_lo
	v_cndmask_b32_e64 v84, v84, v103, s13
	v_cndmask_b32_e64 v88, v88, v71, s4
	;; [unrolled: 1-line block ×7, first 2 shown]
	v_lshrrev_b32_e32 v104, 16, v89
	v_lshrrev_b32_e32 v108, 16, v93
	v_cndmask_b32_e64 v106, v111, v71, s22
	v_cndmask_b32_e64 v110, v112, v85, s22
	;; [unrolled: 1-line block ×11, first 2 shown]
	v_lshrrev_b32_e32 v97, 16, v72
	v_lshrrev_b32_e32 v101, 16, v86
	v_cndmask_b32_e64 v99, v106, v96, s24
	v_cndmask_b32_e64 v102, v110, v100, s24
	;; [unrolled: 1-line block ×11, first 2 shown]
	v_lshrrev_b32_e32 v105, 16, v90
	v_cndmask_b32_e64 v96, v99, v72, s27
	v_cndmask_b32_e64 v99, v102, v86, s27
	;; [unrolled: 1-line block ×14, first 2 shown]
	v_perm_b32 v72, v69, v66, 0x5040100
	v_perm_b32 v70, v95, v85, 0x5040100
	v_cndmask_b32_e64 v66, v91, v92, s17
	v_cndmask_b32_e64 v69, v119, v92, s16
	;; [unrolled: 1-line block ×4, first 2 shown]
	v_perm_b32 v71, v96, v88, 0x5040100
	v_cndmask_b32_e64 v88, v98, v103, s18
	v_cndmask_b32_e64 v87, v87, v103, s19
	;; [unrolled: 1-line block ×15, first 2 shown]
	v_lshrrev_b32_e32 v109, 16, v94
	v_cndmask_b32_e64 v88, v88, v90, s27
	v_cndmask_b32_e64 v87, v87, v90, s28
	;; [unrolled: 1-line block ×11, first 2 shown]
	v_perm_b32 v69, v84, v83, 0x5040100
	v_perm_b32 v86, v66, v87, 0x5040100
	v_perm_b32 v85, v89, v88, 0x5040100
	v_perm_b32 v84, v90, v99, 0x5040100
	v_perm_b32 v83, v91, v97, 0x5040100
	s_mov_b32 s3, exec_lo
	ds_store_b128 v81, v[69:72]
	ds_store_b128 v81, v[83:86] offset:1024
	v_cmpx_eq_u32_e32 0, v0
	s_cbranch_execz .LBB926_13
; %bb.12:
	s_load_b128 s[4:7], s[0:1], 0x58
	s_mul_i32 s8, s37, s34
	s_delay_alu instid0(SALU_CYCLE_1) | instskip(NEXT) | instid1(SALU_CYCLE_1)
	s_add_i32 s8, s8, s15
	s_mul_i32 s8, s8, s36
	s_delay_alu instid0(SALU_CYCLE_1) | instskip(NEXT) | instid1(SALU_CYCLE_1)
	s_add_i32 s8, s8, s14
	s_ashr_i32 s9, s8, 31
	s_delay_alu instid0(SALU_CYCLE_1)
	s_lshl_b64 s[8:9], s[8:9], 2
	s_waitcnt lgkmcnt(0)
	s_add_u32 s6, s6, s8
	s_addc_u32 s7, s7, s9
	s_add_u32 s4, s4, s8
	s_addc_u32 s5, s5, s9
	s_clause 0x1
	global_store_b32 v65, v67, s[6:7]
	global_store_b32 v65, v68, s[4:5]
.LBB926_13:
	s_or_b32 exec_lo, exec_lo, s3
	s_waitcnt lgkmcnt(0)
	s_waitcnt_vscnt null, 0x0
	s_barrier
	buffer_gl0_inv
	ds_load_b128 v[83:86], v80
	ds_load_b128 v[87:90], v80 offset:16
	ds_load_b128 v[95:98], v80 offset:2064
	;; [unrolled: 1-line block ×5, first 2 shown]
	v_mov_b32_e32 v66, v65
	v_mov_b32_e32 v67, v65
	;; [unrolled: 1-line block ×7, first 2 shown]
	ds_load_b128 v[111:114], v80 offset:6160
	ds_load_b128 v[107:110], v80 offset:6144
	;; [unrolled: 1-line block ×4, first 2 shown]
	v_cmp_eq_u32_e32 vcc_lo, 1, v76
	v_cmp_eq_u32_e64 s3, 1, v79
	v_cmp_eq_u32_e64 s4, 1, v78
	;; [unrolled: 1-line block ×5, first 2 shown]
	s_waitcnt lgkmcnt(8)
	v_wmma_f32_16x16x16_f16 v[65:72], v[49:56], v[83:90], v[65:72]
	ds_load_b128 v[53:56], v80 offset:10256
	ds_load_b128 v[49:52], v80 offset:10240
	s_waitcnt lgkmcnt(8)
	v_wmma_f32_16x16x16_f16 v[65:72], v[41:48], v[91:98], v[65:72]
	ds_load_b128 v[45:48], v80 offset:12304
	ds_load_b128 v[41:44], v80 offset:12288
	s_waitcnt lgkmcnt(8)
	v_wmma_f32_16x16x16_f16 v[65:72], v[33:40], v[99:106], v[65:72]
	ds_load_b128 v[37:40], v80 offset:14352
	ds_load_b128 v[33:36], v80 offset:14336
	s_waitcnt lgkmcnt(0)
	s_barrier
	buffer_gl0_inv
	v_wmma_f32_16x16x16_f16 v[65:72], v[1:8], v[107:114], v[65:72]
	s_delay_alu instid0(VALU_DEP_1) | instskip(NEXT) | instid1(VALU_DEP_1)
	v_wmma_f32_16x16x16_f16 v[65:72], v[9:16], v[115:122], v[65:72]
	v_wmma_f32_16x16x16_f16 v[65:72], v[17:24], v[49:56], v[65:72]
	s_delay_alu instid0(VALU_DEP_1) | instskip(NEXT) | instid1(VALU_DEP_1)
	v_wmma_f32_16x16x16_f16 v[65:72], v[25:32], v[41:48], v[65:72]
	v_wmma_f32_16x16x16_f16 v[65:72], v[57:64], v[33:40], v[65:72]
	s_delay_alu instid0(VALU_DEP_1) | instskip(NEXT) | instid1(VALU_DEP_2)
	v_cvt_f16_f32_e32 v1, v65
	v_cvt_f16_f32_e32 v2, v66
	s_delay_alu instid0(VALU_DEP_3) | instskip(NEXT) | instid1(VALU_DEP_4)
	v_cvt_f16_f32_e32 v3, v67
	v_cvt_f16_f32_e32 v4, v68
	;; [unrolled: 1-line block ×6, first 2 shown]
	v_pack_b32_f16 v1, v1, v2
	v_pack_b32_f16 v2, v3, v4
	;; [unrolled: 1-line block ×3, first 2 shown]
	s_delay_alu instid0(VALU_DEP_4)
	v_pack_b32_f16 v4, v7, v8
	ds_store_b128 v81, v[1:4]
	s_waitcnt lgkmcnt(0)
	s_barrier
	buffer_gl0_inv
	ds_load_b128 v[1:4], v82
	ds_load_b128 v[5:8], v82 offset:16
	s_waitcnt lgkmcnt(1)
	v_lshrrev_b32_e32 v9, 16, v1
	s_waitcnt lgkmcnt(0)
	v_lshrrev_b32_e32 v13, 16, v5
	v_lshrrev_b32_e32 v16, 16, v8
	;; [unrolled: 1-line block ×4, first 2 shown]
	v_cndmask_b32_e32 v17, v1, v9, vcc_lo
	v_cndmask_b32_e32 v18, v5, v13, vcc_lo
	v_cmp_eq_u32_e32 vcc_lo, 1, v77
	v_cndmask_b32_e64 v19, v1, v9, s3
	v_cndmask_b32_e64 v20, v5, v13, s3
	v_cmp_eq_u32_e64 s3, 2, v77
	v_lshrrev_b32_e32 v11, 16, v3
	v_cndmask_b32_e32 v21, v1, v9, vcc_lo
	v_cndmask_b32_e32 v22, v5, v13, vcc_lo
	v_cndmask_b32_e64 v1, v1, v9, s4
	v_cmp_eq_u32_e32 vcc_lo, 2, v78
	v_cndmask_b32_e64 v5, v5, v13, s4
	v_cmp_eq_u32_e64 s4, 2, v79
	v_cndmask_b32_e64 v9, v17, v2, s5
	v_cndmask_b32_e64 v13, v18, v6, s5
	v_cmp_eq_u32_e64 s5, 3, v79
	v_cndmask_b32_e32 v1, v1, v2, vcc_lo
	v_cndmask_b32_e64 v17, v19, v2, s4
	v_cndmask_b32_e64 v18, v20, v6, s4
	;; [unrolled: 1-line block ×4, first 2 shown]
	v_cndmask_b32_e32 v2, v5, v6, vcc_lo
	v_cmp_eq_u32_e32 vcc_lo, 3, v77
	v_cmp_eq_u32_e64 s4, 3, v78
	v_cndmask_b32_e64 v5, v9, v10, s6
	v_cndmask_b32_e64 v6, v13, v14, s6
	;; [unrolled: 1-line block ×4, first 2 shown]
	v_cndmask_b32_e32 v17, v19, v10, vcc_lo
	v_cmp_eq_u32_e64 s3, 4, v77
	v_cndmask_b32_e32 v18, v20, v14, vcc_lo
	v_cndmask_b32_e64 v1, v1, v10, s4
	v_cmp_eq_u32_e32 vcc_lo, 4, v78
	v_cmp_eq_u32_e64 s5, 4, v76
	v_cndmask_b32_e64 v2, v2, v14, s4
	v_cmp_eq_u32_e64 s4, 4, v79
	v_lshrrev_b32_e32 v15, 16, v7
	v_cmp_eq_u32_e64 s6, 5, v76
	v_cndmask_b32_e64 v5, v5, v3, s5
	v_cndmask_b32_e64 v6, v6, v7, s5
	;; [unrolled: 1-line block ×6, first 2 shown]
	v_cmp_eq_u32_e64 s4, 5, v77
	v_cndmask_b32_e32 v1, v1, v3, vcc_lo
	v_cndmask_b32_e32 v2, v2, v7, vcc_lo
	v_cmp_eq_u32_e32 vcc_lo, 5, v78
	v_cmp_eq_u32_e64 s5, 5, v79
	v_cndmask_b32_e64 v5, v5, v11, s6
	v_cmp_eq_u32_e64 s3, 6, v76
	v_cndmask_b32_e64 v6, v6, v15, s6
	v_cndmask_b32_e64 v13, v13, v11, s4
	v_cndmask_b32_e64 v3, v14, v15, s4
	v_cndmask_b32_e32 v1, v1, v11, vcc_lo
	v_cmp_eq_u32_e64 s4, 6, v78
	v_cndmask_b32_e32 v2, v2, v15, vcc_lo
	v_cndmask_b32_e64 v9, v9, v11, s5
	v_cndmask_b32_e64 v10, v10, v15, s5
	v_cmp_eq_u32_e64 s5, 6, v79
	v_lshrrev_b32_e32 v12, 16, v4
	v_cndmask_b32_e64 v5, v5, v4, s3
	v_cndmask_b32_e64 v6, v6, v8, s3
	v_cmp_eq_u32_e64 s3, 7, v76
	v_cndmask_b32_e64 v1, v1, v4, s4
	v_cmp_eq_u32_e32 vcc_lo, 7, v78
	v_cndmask_b32_e64 v2, v2, v8, s4
	v_cndmask_b32_e64 v9, v9, v4, s5
	v_cmp_eq_u32_e64 s6, 7, v79
	v_cndmask_b32_e64 v7, v13, v4, s7
	v_cndmask_b32_e64 v3, v3, v8, s7
	v_cndmask_b32_e32 v2, v2, v16, vcc_lo
	v_cmp_eq_u32_e64 s4, 7, v77
	v_cndmask_b32_e64 v4, v10, v8, s5
	v_cndmask_b32_e64 v5, v5, v12, s3
	v_cndmask_b32_e32 v1, v1, v12, vcc_lo
	v_cndmask_b32_e64 v6, v6, v16, s3
	v_cmp_lt_u32_e32 vcc_lo, 31, v0
	v_cmp_lt_u32_e64 s3, 7, v73
	v_cndmask_b32_e64 v9, v9, v12, s6
	v_cndmask_b32_e64 v7, v7, v12, s4
	;; [unrolled: 1-line block ×4, first 2 shown]
	s_or_b32 s3, vcc_lo, s3
	v_perm_b32 v4, v2, v1, 0x5040100
	v_perm_b32 v1, v6, v5, 0x5040100
	;; [unrolled: 1-line block ×4, first 2 shown]
	s_or_b32 s2, s2, s3
	s_delay_alu instid0(SALU_CYCLE_1)
	s_xor_b32 s2, s2, -1
	ds_store_b128 v81, v[1:4]
	s_waitcnt lgkmcnt(0)
	s_barrier
	buffer_gl0_inv
	s_and_saveexec_b32 s3, s2
	s_cbranch_execz .LBB926_2
; %bb.14:
	s_load_b64 s[0:1], s[0:1], 0x68
	v_lshlrev_b32_e32 v1, 10, v0
	v_and_b32_e32 v0, 1, v0
	v_lshlrev_b32_e32 v2, 6, v75
	s_lshl_b32 s4, s36, 6
	s_delay_alu instid0(VALU_DEP_3) | instskip(NEXT) | instid1(VALU_DEP_3)
	v_and_b32_e32 v1, 0x3800, v1
	v_lshlrev_b32_e32 v0, 4, v0
	s_mul_i32 s2, s4, s34
	s_delay_alu instid0(SALU_CYCLE_1) | instskip(NEXT) | instid1(VALU_DEP_1)
	s_mul_i32 s2, s2, s37
	v_or3_b32 v0, v1, v2, v0
	s_ashr_i32 s3, s2, 31
	s_delay_alu instid0(SALU_CYCLE_1)
	s_lshl_b64 s[2:3], s[2:3], 1
	ds_load_b128 v[0:3], v0
	s_waitcnt lgkmcnt(0)
	s_add_u32 s5, s0, s2
	s_addc_u32 s3, s1, s3
	s_lshl_b32 s0, s14, 6
	s_mul_i32 s2, s4, s15
	s_ashr_i32 s1, s0, 31
	s_delay_alu instid0(SALU_CYCLE_1) | instskip(NEXT) | instid1(SALU_CYCLE_1)
	s_lshl_b64 s[0:1], s[0:1], 1
	s_add_u32 s4, s5, s0
	s_addc_u32 s5, s3, s1
	s_ashr_i32 s3, s2, 31
	s_delay_alu instid0(SALU_CYCLE_1) | instskip(NEXT) | instid1(SALU_CYCLE_1)
	s_lshl_b64 s[0:1], s[2:3], 1
	s_add_u32 s0, s4, s0
	s_addc_u32 s1, s5, s1
	global_store_b128 v74, v[0:3], s[0:1]
	s_nop 0
	s_sendmsg sendmsg(MSG_DEALLOC_VGPRS)
	s_endpgm
	.section	.rodata,"a",@progbits
	.p2align	6, 0x0
	.amdhsa_kernel _Z39paged_attention_ll4mi_QKV_mfma16_kernelIDF16_hLN4vllm18Fp8KVCacheDataTypeE1EDF16_Li32ELi64ELi256ELb0ELi1EL8MFMAType1EEvPKT_PKT0_S8_ifPKiSA_SA_iPKfiiiPfSD_PS3_PT2_iSC_SC_
		.amdhsa_group_segment_fixed_size 17472
		.amdhsa_private_segment_fixed_size 0
		.amdhsa_kernarg_size 400
		.amdhsa_user_sgpr_count 13
		.amdhsa_user_sgpr_dispatch_ptr 0
		.amdhsa_user_sgpr_queue_ptr 0
		.amdhsa_user_sgpr_kernarg_segment_ptr 1
		.amdhsa_user_sgpr_dispatch_id 0
		.amdhsa_user_sgpr_private_segment_size 0
		.amdhsa_wavefront_size32 1
		.amdhsa_uses_dynamic_stack 0
		.amdhsa_enable_private_segment 0
		.amdhsa_system_sgpr_workgroup_id_x 1
		.amdhsa_system_sgpr_workgroup_id_y 1
		.amdhsa_system_sgpr_workgroup_id_z 1
		.amdhsa_system_sgpr_workgroup_info 0
		.amdhsa_system_vgpr_workitem_id 0
		.amdhsa_next_free_vgpr 144
		.amdhsa_next_free_sgpr 50
		.amdhsa_reserve_vcc 1
		.amdhsa_float_round_mode_32 0
		.amdhsa_float_round_mode_16_64 0
		.amdhsa_float_denorm_mode_32 3
		.amdhsa_float_denorm_mode_16_64 3
		.amdhsa_dx10_clamp 1
		.amdhsa_ieee_mode 1
		.amdhsa_fp16_overflow 0
		.amdhsa_workgroup_processor_mode 1
		.amdhsa_memory_ordered 1
		.amdhsa_forward_progress 0
		.amdhsa_shared_vgpr_count 0
		.amdhsa_exception_fp_ieee_invalid_op 0
		.amdhsa_exception_fp_denorm_src 0
		.amdhsa_exception_fp_ieee_div_zero 0
		.amdhsa_exception_fp_ieee_overflow 0
		.amdhsa_exception_fp_ieee_underflow 0
		.amdhsa_exception_fp_ieee_inexact 0
		.amdhsa_exception_int_div_zero 0
	.end_amdhsa_kernel
	.section	.text._Z39paged_attention_ll4mi_QKV_mfma16_kernelIDF16_hLN4vllm18Fp8KVCacheDataTypeE1EDF16_Li32ELi64ELi256ELb0ELi1EL8MFMAType1EEvPKT_PKT0_S8_ifPKiSA_SA_iPKfiiiPfSD_PS3_PT2_iSC_SC_,"axG",@progbits,_Z39paged_attention_ll4mi_QKV_mfma16_kernelIDF16_hLN4vllm18Fp8KVCacheDataTypeE1EDF16_Li32ELi64ELi256ELb0ELi1EL8MFMAType1EEvPKT_PKT0_S8_ifPKiSA_SA_iPKfiiiPfSD_PS3_PT2_iSC_SC_,comdat
.Lfunc_end926:
	.size	_Z39paged_attention_ll4mi_QKV_mfma16_kernelIDF16_hLN4vllm18Fp8KVCacheDataTypeE1EDF16_Li32ELi64ELi256ELb0ELi1EL8MFMAType1EEvPKT_PKT0_S8_ifPKiSA_SA_iPKfiiiPfSD_PS3_PT2_iSC_SC_, .Lfunc_end926-_Z39paged_attention_ll4mi_QKV_mfma16_kernelIDF16_hLN4vllm18Fp8KVCacheDataTypeE1EDF16_Li32ELi64ELi256ELb0ELi1EL8MFMAType1EEvPKT_PKT0_S8_ifPKiSA_SA_iPKfiiiPfSD_PS3_PT2_iSC_SC_
                                        ; -- End function
	.section	.AMDGPU.csdata,"",@progbits
; Kernel info:
; codeLenInByte = 6224
; NumSgprs: 52
; NumVgprs: 144
; ScratchSize: 0
; MemoryBound: 1
; FloatMode: 240
; IeeeMode: 1
; LDSByteSize: 17472 bytes/workgroup (compile time only)
; SGPRBlocks: 6
; VGPRBlocks: 17
; NumSGPRsForWavesPerEU: 52
; NumVGPRsForWavesPerEU: 144
; Occupancy: 10
; WaveLimiterHint : 1
; COMPUTE_PGM_RSRC2:SCRATCH_EN: 0
; COMPUTE_PGM_RSRC2:USER_SGPR: 13
; COMPUTE_PGM_RSRC2:TRAP_HANDLER: 0
; COMPUTE_PGM_RSRC2:TGID_X_EN: 1
; COMPUTE_PGM_RSRC2:TGID_Y_EN: 1
; COMPUTE_PGM_RSRC2:TGID_Z_EN: 1
; COMPUTE_PGM_RSRC2:TIDIG_COMP_CNT: 0
	.section	.text._Z39paged_attention_ll4mi_QKV_mfma16_kernelIDF16_hLN4vllm18Fp8KVCacheDataTypeE1EDF16_Li32ELi64ELi256ELb0ELi2EL8MFMAType1EEvPKT_PKT0_S8_ifPKiSA_SA_iPKfiiiPfSD_PS3_PT2_iSC_SC_,"axG",@progbits,_Z39paged_attention_ll4mi_QKV_mfma16_kernelIDF16_hLN4vllm18Fp8KVCacheDataTypeE1EDF16_Li32ELi64ELi256ELb0ELi2EL8MFMAType1EEvPKT_PKT0_S8_ifPKiSA_SA_iPKfiiiPfSD_PS3_PT2_iSC_SC_,comdat
	.protected	_Z39paged_attention_ll4mi_QKV_mfma16_kernelIDF16_hLN4vllm18Fp8KVCacheDataTypeE1EDF16_Li32ELi64ELi256ELb0ELi2EL8MFMAType1EEvPKT_PKT0_S8_ifPKiSA_SA_iPKfiiiPfSD_PS3_PT2_iSC_SC_ ; -- Begin function _Z39paged_attention_ll4mi_QKV_mfma16_kernelIDF16_hLN4vllm18Fp8KVCacheDataTypeE1EDF16_Li32ELi64ELi256ELb0ELi2EL8MFMAType1EEvPKT_PKT0_S8_ifPKiSA_SA_iPKfiiiPfSD_PS3_PT2_iSC_SC_
	.globl	_Z39paged_attention_ll4mi_QKV_mfma16_kernelIDF16_hLN4vllm18Fp8KVCacheDataTypeE1EDF16_Li32ELi64ELi256ELb0ELi2EL8MFMAType1EEvPKT_PKT0_S8_ifPKiSA_SA_iPKfiiiPfSD_PS3_PT2_iSC_SC_
	.p2align	8
	.type	_Z39paged_attention_ll4mi_QKV_mfma16_kernelIDF16_hLN4vllm18Fp8KVCacheDataTypeE1EDF16_Li32ELi64ELi256ELb0ELi2EL8MFMAType1EEvPKT_PKT0_S8_ifPKiSA_SA_iPKfiiiPfSD_PS3_PT2_iSC_SC_,@function
_Z39paged_attention_ll4mi_QKV_mfma16_kernelIDF16_hLN4vllm18Fp8KVCacheDataTypeE1EDF16_Li32ELi64ELi256ELb0ELi2EL8MFMAType1EEvPKT_PKT0_S8_ifPKiSA_SA_iPKfiiiPfSD_PS3_PT2_iSC_SC_: ; @_Z39paged_attention_ll4mi_QKV_mfma16_kernelIDF16_hLN4vllm18Fp8KVCacheDataTypeE1EDF16_Li32ELi64ELi256ELb0ELi2EL8MFMAType1EEvPKT_PKT0_S8_ifPKiSA_SA_iPKfiiiPfSD_PS3_PT2_iSC_SC_
; %bb.0:
	s_load_b64 s[2:3], s[0:1], 0x30
	s_mov_b32 s30, s13
	s_waitcnt lgkmcnt(0)
	s_cmp_lg_u64 s[2:3], 0
	s_cselect_b32 s6, -1, 0
	s_ashr_i32 s31, s13, 31
	s_cmp_eq_u64 s[2:3], 0
	s_cbranch_scc1 .LBB927_3
; %bb.1:
	s_lshl_b64 s[4:5], s[30:31], 2
	s_delay_alu instid0(SALU_CYCLE_1) | instskip(SKIP_4) | instid1(SALU_CYCLE_1)
	s_add_u32 s4, s2, s4
	s_addc_u32 s5, s3, s5
	s_load_b64 s[4:5], s[4:5], 0x0
	s_waitcnt lgkmcnt(0)
	s_sub_i32 s4, s5, s4
	s_cmp_eq_u32 s4, 1
	s_cselect_b32 s4, -1, 0
	s_delay_alu instid0(SALU_CYCLE_1)
	s_and_not1_b32 vcc_lo, exec_lo, s4
	s_cbranch_vccz .LBB927_4
.LBB927_2:
	s_endpgm
.LBB927_3:
.LBB927_4:
	s_load_b64 s[8:9], s[0:1], 0x28
	s_lshl_b64 s[4:5], s[30:31], 2
	s_waitcnt lgkmcnt(0)
	s_add_u32 s8, s8, s4
	s_addc_u32 s9, s9, s5
	s_lshl_b32 s16, s14, 8
	s_load_b32 s17, s[8:9], 0x0
	s_waitcnt lgkmcnt(0)
	s_cmp_ge_i32 s16, s17
	s_cbranch_scc1 .LBB927_2
; %bb.5:
	s_clause 0x1
	s_load_b128 s[8:11], s[0:1], 0x8
	s_load_b64 s[12:13], s[0:1], 0x20
	s_and_not1_b32 vcc_lo, exec_lo, s6
	s_cbranch_vccnz .LBB927_7
; %bb.6:
	s_add_u32 s2, s2, s4
	s_addc_u32 s3, s3, s5
	s_load_b32 s3, s[2:3], 0x0
	s_branch .LBB927_8
.LBB927_7:
	s_mov_b32 s3, s30
.LBB927_8:
	s_load_b128 s[4:7], s[0:1], 0x48
	v_and_b32_e32 v70, 15, v0
	v_bfe_u32 v69, v0, 4, 1
	s_lshl_b32 s33, s15, 1
	v_cmp_gt_u32_e32 vcc_lo, 32, v0
	v_and_b32_e32 v71, 31, v0
	v_lshlrev_b32_e32 v1, 3, v70
	v_cmp_gt_u32_e64 s2, 8, v70
	v_and_b32_e32 v68, 1, v0
	v_or_b32_e32 v67, s33, v69
	v_lshlrev_b32_e32 v66, 6, v69
	v_lshlrev_b32_e32 v65, 1, v1
	s_and_b32 s31, vcc_lo, s2
	s_delay_alu instid0(SALU_CYCLE_1)
	s_and_saveexec_b32 s2, s31
	s_cbranch_execz .LBB927_10
; %bb.9:
	s_load_b64 s[18:19], s[0:1], 0x0
	v_lshlrev_b32_e32 v1, 6, v67
	s_waitcnt lgkmcnt(0)
	s_mul_hi_i32 s21, s3, s4
	s_mul_i32 s20, s3, s4
	v_lshlrev_b32_e32 v5, 10, v70
	s_lshl_b64 s[20:21], s[20:21], 1
	v_ashrrev_i32_e32 v2, 31, v1
	v_lshlrev_b32_e32 v6, 10, v68
	s_delay_alu instid0(VALU_DEP_3) | instskip(NEXT) | instid1(VALU_DEP_3)
	v_and_b32_e32 v5, 0x3800, v5
	v_lshlrev_b64 v[1:2], 1, v[1:2]
	s_delay_alu instid0(VALU_DEP_2) | instskip(SKIP_2) | instid1(VALU_DEP_2)
	v_or3_b32 v5, v5, v6, v66
	s_add_u32 s3, s18, s20
	s_addc_u32 s4, s19, s21
	v_add_co_u32 v1, vcc_lo, s3, v1
	s_delay_alu instid0(VALU_DEP_3) | instskip(NEXT) | instid1(VALU_DEP_2)
	v_add_co_ci_u32_e32 v2, vcc_lo, s4, v2, vcc_lo
	v_add_co_u32 v1, vcc_lo, v1, v65
	s_delay_alu instid0(VALU_DEP_2)
	v_add_co_ci_u32_e32 v2, vcc_lo, 0, v2, vcc_lo
	global_load_b128 v[1:4], v[1:2], off
	s_waitcnt vmcnt(0)
	ds_store_b128 v5, v[1:4]
.LBB927_10:
	s_or_b32 exec_lo, exec_lo, s2
	v_and_b32_e32 v1, 0xef, v0
	s_add_i32 s2, s17, 31
	s_waitcnt lgkmcnt(0)
	s_clause 0x1
	s_load_b32 s3, s[0:1], 0x38
	s_load_b32 s34, s[0:1], 0x98
	s_ashr_i32 s4, s2, 31
	v_add_nc_u32_e32 v1, s16, v1
	s_lshr_b32 s4, s4, 27
	s_load_b32 s18, s[0:1], 0x1c
	s_add_i32 s2, s2, s4
	s_waitcnt lgkmcnt(0)
	v_ashrrev_i32_e32 v2, 31, v1
	v_or_b32_e32 v3, 16, v1
	s_ashr_i32 s2, s2, 5
	v_cmp_gt_i32_e32 vcc_lo, s17, v1
	s_add_i32 s2, s2, -1
	v_lshrrev_b32_e32 v2, 27, v2
	s_barrier
	buffer_gl0_inv
	s_mul_i32 s15, s15, s6
	v_lshrrev_b32_e32 v72, 5, v0
	v_add_nc_u32_e32 v4, v1, v2
	v_mbcnt_lo_u32_b32 v129, -1, 0
	s_mul_i32 s20, s30, s3
	v_and_b32_e32 v105, 0xe0, v0
	s_ashr_i32 s21, s20, 31
	v_ashrrev_i32_e32 v4, 5, v4
	v_add_nc_u32_e32 v2, v3, v2
	s_lshl_b64 s[20:21], s[20:21], 2
	v_xor_b32_e32 v130, 16, v129
	s_add_u32 s19, s12, s20
	v_cndmask_b32_e32 v1, s2, v4, vcc_lo
	v_ashrrev_i32_e32 v2, 5, v2
	v_cmp_gt_i32_e32 vcc_lo, s17, v3
	s_addc_u32 s12, s13, s21
	s_ashr_i32 s13, s15, 31
	s_add_u32 s20, s8, s15
	s_addc_u32 s21, s9, s13
	v_cndmask_b32_e32 v3, s2, v2, vcc_lo
	v_ashrrev_i32_e32 v2, 31, v1
	s_lshl_b32 s6, s14, 3
	v_add_nc_u32_e32 v121, s16, v105
	s_ashr_i32 s7, s6, 31
	v_ashrrev_i32_e32 v4, 31, v3
	v_lshlrev_b64 v[1:2], 2, v[1:2]
	s_lshl_b64 s[6:7], s[6:7], 2
	v_or_b32_e32 v137, v121, v69
	s_add_u32 s6, s19, s6
	v_lshlrev_b64 v[3:4], 2, v[3:4]
	s_addc_u32 s7, s12, s7
	v_add_co_u32 v1, vcc_lo, s19, v1
	v_add_co_ci_u32_e32 v2, vcc_lo, s12, v2, vcc_lo
	s_delay_alu instid0(VALU_DEP_3) | instskip(NEXT) | instid1(VALU_DEP_4)
	v_add_co_u32 v3, vcc_lo, s19, v3
	v_add_co_ci_u32_e32 v4, vcc_lo, s12, v4, vcc_lo
	s_clause 0x1
	global_load_b32 v5, v[1:2], off
	global_load_b32 v6, v[3:4], off
	s_or_b32 s3, s16, 32
	v_or_b32_e32 v139, 2, v137
	s_ashr_i32 s4, s3, 5
	s_cmp_lt_i32 s3, s17
	v_or_b32_e32 v140, 4, v137
	s_cselect_b32 s8, s4, s2
	v_or_b32_e32 v141, 6, v137
	s_ashr_i32 s9, s8, 31
	v_or_b32_e32 v142, 8, v137
	s_lshl_b64 s[8:9], s[8:9], 2
	v_or_b32_e32 v143, 10, v137
	s_add_u32 s22, s19, s8
	s_addc_u32 s23, s12, s9
	s_or_b32 s3, s16, 64
	v_or_b32_e32 v144, 12, v137
	s_ashr_i32 s4, s3, 5
	s_cmp_lt_i32 s3, s17
	v_or_b32_e32 v145, 14, v137
	s_cselect_b32 s8, s4, s2
	v_or_b32_e32 v146, 16, v137
	s_ashr_i32 s9, s8, 31
	v_or_b32_e32 v147, 18, v137
	s_lshl_b64 s[8:9], s[8:9], 2
	s_delay_alu instid0(SALU_CYCLE_1) | instskip(SKIP_2) | instid1(SALU_CYCLE_1)
	s_add_u32 s24, s19, s8
	s_addc_u32 s25, s12, s9
	s_or_b32 s3, s16, 0x60
	s_ashr_i32 s4, s3, 5
	s_cmp_lt_i32 s3, s17
	s_cselect_b32 s8, s4, s2
	s_delay_alu instid0(SALU_CYCLE_1) | instskip(NEXT) | instid1(SALU_CYCLE_1)
	s_ashr_i32 s9, s8, 31
	s_lshl_b64 s[8:9], s[8:9], 2
	s_delay_alu instid0(SALU_CYCLE_1) | instskip(SKIP_2) | instid1(SALU_CYCLE_1)
	s_add_u32 s26, s19, s8
	s_addc_u32 s27, s12, s9
	s_or_b32 s3, s16, 0x80
	s_ashr_i32 s4, s3, 5
	s_cmp_lt_i32 s3, s17
	s_cselect_b32 s8, s4, s2
	s_delay_alu instid0(SALU_CYCLE_1) | instskip(NEXT) | instid1(SALU_CYCLE_1)
	s_ashr_i32 s9, s8, 31
	;; [unrolled: 10-line block ×3, first 2 shown]
	s_lshl_b64 s[8:9], s[8:9], 2
	s_delay_alu instid0(SALU_CYCLE_1)
	s_add_u32 s36, s19, s8
	s_addc_u32 s37, s12, s9
	s_clause 0x5
	s_load_b32 s9, s[6:7], 0x0
	s_load_b32 s3, s[22:23], 0x0
	;; [unrolled: 1-line block ×6, first 2 shown]
	s_waitcnt vmcnt(1)
	v_mad_i64_i32 v[1:2], null, v5, s5, s[20:21]
	v_lshlrev_b32_e32 v5, 4, v70
	s_waitcnt vmcnt(0)
	v_mad_i64_i32 v[3:4], null, v6, s5, s[20:21]
	s_or_b32 s20, s16, 0xc0
	s_delay_alu instid0(SALU_CYCLE_1) | instskip(NEXT) | instid1(VALU_DEP_3)
	s_ashr_i32 s21, s20, 5
	v_add_co_u32 v1, vcc_lo, v1, v5
	s_delay_alu instid0(VALU_DEP_4) | instskip(NEXT) | instid1(VALU_DEP_3)
	v_add_co_ci_u32_e32 v2, vcc_lo, 0, v2, vcc_lo
	v_add_co_u32 v3, vcc_lo, v3, v5
	s_delay_alu instid0(VALU_DEP_4)
	v_add_co_ci_u32_e32 v4, vcc_lo, 0, v4, vcc_lo
	s_clause 0x7
	global_load_b128 v[73:76], v[1:2], off
	global_load_b128 v[77:80], v[1:2], off offset:512
	global_load_b128 v[81:84], v[3:4], off offset:256
	;; [unrolled: 1-line block ×7, first 2 shown]
	s_cmp_lt_i32 s20, s17
	v_lshlrev_b32_e32 v1, 5, v70
	s_cselect_b32 s20, s21, s2
	v_cmp_gt_i32_e32 vcc_lo, 32, v130
	s_ashr_i32 s21, s20, 31
	v_lshlrev_b32_e32 v117, 6, v68
	s_lshl_b64 s[20:21], s[20:21], 2
	v_lshl_or_b32 v1, v72, 9, v1
	v_cndmask_b32_e32 v138, v129, v130, vcc_lo
	s_add_u32 s20, s19, s20
	s_addc_u32 s21, s12, s21
	s_or_b32 s22, s16, 0xe0
	v_cmp_gt_i32_e32 vcc_lo, s17, v137
	s_ashr_i32 s23, s22, 5
	s_cmp_lt_i32 s22, s17
	s_cselect_b32 s22, s23, s2
	s_load_b32 s2, s[20:21], 0x0
	s_ashr_i32 s23, s22, 31
	s_delay_alu instid0(SALU_CYCLE_1) | instskip(NEXT) | instid1(SALU_CYCLE_1)
	s_lshl_b64 s[22:23], s[22:23], 2
	s_add_u32 s20, s19, s22
	s_addc_u32 s21, s12, s23
	s_add_u32 s10, s10, s15
	s_addc_u32 s11, s11, s13
	v_add_co_u32 v1, s10, s10, v1
	s_delay_alu instid0(VALU_DEP_1) | instskip(SKIP_2) | instid1(VALU_DEP_1)
	v_add_co_ci_u32_e64 v2, null, s11, 0, s10
	s_load_b32 s10, s[20:21], 0x0
	s_waitcnt lgkmcnt(0)
	v_mad_i64_i32 v[3:4], null, s9, s5, v[1:2]
	v_mad_i64_i32 v[9:10], null, s6, s5, v[1:2]
	;; [unrolled: 1-line block ×7, first 2 shown]
	s_clause 0x5
	global_load_b128 v[49:52], v[3:4], off
	global_load_b128 v[53:56], v[3:4], off offset:16
	global_load_b128 v[41:44], v[5:6], off
	global_load_b128 v[45:48], v[5:6], off offset:16
	;; [unrolled: 2-line block ×3, first 2 shown]
	s_mov_b32 s4, 0
	v_cmp_gt_i32_e64 s2, s17, v139
	v_mad_i64_i32 v[61:62], null, s10, s5, v[1:2]
	s_clause 0x9
	global_load_b128 v[1:4], v[9:10], off
	global_load_b128 v[5:8], v[9:10], off offset:16
	global_load_b128 v[9:12], v[13:14], off
	global_load_b128 v[13:16], v[13:14], off offset:16
	;; [unrolled: 2-line block ×5, first 2 shown]
	ds_load_b128 v[105:108], v117
	ds_load_b128 v[109:112], v117 offset:1024
	ds_load_b128 v[113:116], v117 offset:2048
	;; [unrolled: 1-line block ×3, first 2 shown]
	s_mov_b32 s11, s4
	s_mov_b32 s5, s4
	;; [unrolled: 1-line block ×7, first 2 shown]
	s_delay_alu instid0(SALU_CYCLE_1)
	v_dual_mov_b32 v128, s11 :: v_dual_mov_b32 v127, s10
	v_dual_mov_b32 v126, s9 :: v_dual_mov_b32 v125, s8
	v_dual_mov_b32 v124, s7 :: v_dual_mov_b32 v123, s6
	v_dual_mov_b32 v122, s5 :: v_dual_mov_b32 v121, s4
	v_cmp_gt_i32_e64 s3, s17, v140
	v_cmp_gt_i32_e64 s4, s17, v141
	;; [unrolled: 1-line block ×8, first 2 shown]
	s_waitcnt vmcnt(0) lgkmcnt(0)
	s_barrier
	buffer_gl0_inv
	v_wmma_f32_16x16x16_f16 v[129:136], v[73:80], v[105:112], v[121:128]
	v_wmma_f32_16x16x16_f16 v[121:128], v[81:88], v[105:112], v[121:128]
	v_or_b32_e32 v73, 20, v137
	v_or_b32_e32 v74, 22, v137
	s_delay_alu instid0(VALU_DEP_4)
	v_wmma_f32_16x16x16_f16 v[129:136], v[89:96], v[113:120], v[129:136]
	v_or_b32_e32 v75, 24, v137
	v_wmma_f32_16x16x16_f16 v[121:128], v[97:104], v[113:120], v[121:128]
	v_or_b32_e32 v76, 26, v137
	v_cmp_gt_i32_e64 s11, s17, v73
	v_dual_mul_f32 v85, s18, v130 :: v_dual_mul_f32 v86, s18, v129
	s_delay_alu instid0(VALU_DEP_4) | instskip(SKIP_1) | instid1(VALU_DEP_3)
	v_dual_mul_f32 v83, s18, v132 :: v_dual_mul_f32 v94, s18, v121
	v_mul_f32_e32 v84, s18, v131
	v_cndmask_b32_e64 v85, 0xff7fffff, v85, s2
	s_delay_alu instid0(VALU_DEP_4)
	v_cndmask_b32_e32 v86, 0xff7fffff, v86, vcc_lo
	v_dual_mul_f32 v81, s18, v134 :: v_dual_mul_f32 v92, s18, v123
	v_mul_f32_e32 v82, s18, v133
	v_cndmask_b32_e64 v84, 0xff7fffff, v84, s3
	v_cndmask_b32_e64 v83, 0xff7fffff, v83, s4
	v_max3_f32 v85, v86, 0xff7fffff, v85
	v_dual_mul_f32 v79, s18, v136 :: v_dual_mul_f32 v90, s18, v125
	v_mul_f32_e32 v80, s18, v135
	v_cndmask_b32_e64 v82, 0xff7fffff, v82, s5
	v_cndmask_b32_e64 v81, 0xff7fffff, v81, s6
	v_max3_f32 v83, v85, v84, v83
	v_mul_f32_e32 v93, s18, v122
	v_cndmask_b32_e64 v80, 0xff7fffff, v80, s7
	v_cndmask_b32_e64 v79, 0xff7fffff, v79, s8
	v_mul_f32_e32 v91, s18, v124
	v_max3_f32 v81, v83, v82, v81
	v_cndmask_b32_e64 v82, 0xff7fffff, v94, s9
	v_cndmask_b32_e64 v83, 0xff7fffff, v93, s10
	v_cmp_gt_i32_e64 s12, s17, v74
	v_or_b32_e32 v77, 28, v137
	v_max3_f32 v79, v81, v80, v79
	v_or_b32_e32 v78, 30, v137
	v_mul_f32_e32 v89, s18, v126
	v_cndmask_b32_e64 v73, 0xff7fffff, v92, s11
	v_cndmask_b32_e64 v74, 0xff7fffff, v91, s12
	v_max3_f32 v79, v79, v82, v83
	v_cmp_gt_i32_e64 s13, s17, v75
	v_cmp_gt_i32_e64 s15, s17, v76
	v_dual_mul_f32 v87, s18, v128 :: v_dual_mul_f32 v88, s18, v127
	s_delay_alu instid0(VALU_DEP_4) | instskip(NEXT) | instid1(VALU_DEP_4)
	v_max3_f32 v73, v79, v73, v74
	v_cndmask_b32_e64 v75, 0xff7fffff, v90, s13
	s_delay_alu instid0(VALU_DEP_4) | instskip(SKIP_2) | instid1(VALU_DEP_3)
	v_cndmask_b32_e64 v76, 0xff7fffff, v89, s15
	v_cmp_gt_i32_e64 s16, s17, v77
	v_cmp_gt_i32_e64 s17, s17, v78
	v_max3_f32 v73, v73, v75, v76
	s_delay_alu instid0(VALU_DEP_3) | instskip(NEXT) | instid1(VALU_DEP_3)
	v_cndmask_b32_e64 v74, 0xff7fffff, v88, s16
	v_cndmask_b32_e64 v77, 0xff7fffff, v87, s17
	v_lshlrev_b32_e32 v75, 2, v138
	s_delay_alu instid0(VALU_DEP_2) | instskip(SKIP_3) | instid1(VALU_DEP_1)
	v_max3_f32 v73, v73, v74, v77
	ds_bpermute_b32 v74, v75, v73
	s_waitcnt lgkmcnt(0)
	v_max_f32_e32 v74, v74, v74
	v_max_f32_e32 v73, v73, v74
	s_delay_alu instid0(VALU_DEP_1)
	v_fma_f32 v74, s18, v129, -v73
	v_fma_f32 v76, s18, v130, -v73
	v_fma_f32 v77, s18, v131, -v73
	v_fma_f32 v78, s18, v132, -v73
	v_fma_f32 v80, s18, v133, -v73
	v_mul_f32_e32 v74, 0x3fb8aa3b, v74
	s_delay_alu instid0(VALU_DEP_4) | instskip(NEXT) | instid1(VALU_DEP_4)
	v_dual_mul_f32 v76, 0x3fb8aa3b, v76 :: v_dual_mul_f32 v77, 0x3fb8aa3b, v77
	v_mul_f32_e32 v78, 0x3fb8aa3b, v78
	s_delay_alu instid0(VALU_DEP_4) | instskip(NEXT) | instid1(VALU_DEP_4)
	v_mul_f32_e32 v80, 0x3fb8aa3b, v80
	v_exp_f32_e32 v74, v74
	s_delay_alu instid0(VALU_DEP_3) | instskip(SKIP_4) | instid1(VALU_DEP_1)
	v_exp_f32_e32 v76, v76
	v_exp_f32_e32 v77, v77
	;; [unrolled: 1-line block ×3, first 2 shown]
	v_fma_f32 v83, s18, v135, -v73
	v_exp_f32_e32 v84, v80
	v_mul_f32_e32 v83, 0x3fb8aa3b, v83
	v_cndmask_b32_e32 v79, 0, v74, vcc_lo
	v_fma_f32 v74, s18, v134, -v73
	v_cndmask_b32_e64 v78, 0, v76, s2
	s_delay_alu instid0(TRANS32_DEP_3) | instskip(NEXT) | instid1(TRANS32_DEP_2)
	v_cndmask_b32_e64 v81, 0, v77, s3
	v_cndmask_b32_e64 v80, 0, v82, s4
	v_add_f32_e32 v76, 0, v79
	v_mul_f32_e32 v74, 0x3fb8aa3b, v74
	v_fma_f32 v82, s18, v121, -v73
	v_exp_f32_e32 v85, v83
	v_cndmask_b32_e64 v83, 0, v84, s5
	v_add_f32_e32 v76, v76, v78
	v_exp_f32_e32 v74, v74
	v_mul_f32_e32 v86, 0x3fb8aa3b, v82
	s_mov_b32 s2, exec_lo
	s_delay_alu instid0(VALU_DEP_2) | instskip(SKIP_4) | instid1(VALU_DEP_2)
	v_add_f32_e32 v76, v76, v81
	s_waitcnt_depctr 0xfff
	v_cndmask_b32_e64 v85, 0, v85, s7
	v_add_f32_e32 v76, v76, v80
	v_cndmask_b32_e64 v82, 0, v74, s6
	v_add_f32_e32 v74, v76, v83
	v_fma_f32 v77, s18, v136, -v73
	v_fma_f32 v84, s18, v122, -v73
	;; [unrolled: 1-line block ×5, first 2 shown]
	s_delay_alu instid0(VALU_DEP_4) | instskip(NEXT) | instid1(VALU_DEP_3)
	v_dual_mul_f32 v77, 0x3fb8aa3b, v77 :: v_dual_mul_f32 v84, 0x3fb8aa3b, v84
	v_dual_mul_f32 v76, 0x3fb8aa3b, v76 :: v_dual_mul_f32 v89, 0x3fb8aa3b, v87
	v_exp_f32_e32 v86, v86
	s_delay_alu instid0(VALU_DEP_2) | instskip(NEXT) | instid1(VALU_DEP_2)
	v_exp_f32_e32 v77, v77
	v_exp_f32_e32 v88, v84
	s_delay_alu instid0(VALU_DEP_1)
	v_exp_f32_e32 v76, v76
	v_exp_f32_e32 v91, v89
	v_fma_f32 v90, s18, v126, -v73
	v_cndmask_b32_e64 v87, 0, v86, s9
	v_cndmask_b32_e64 v84, 0, v77, s8
	v_fma_f32 v77, s18, v125, -v73
	v_add_f32_e32 v74, v74, v82
	s_delay_alu instid0(TRANS32_DEP_3) | instskip(SKIP_1) | instid1(TRANS32_DEP_2)
	v_cndmask_b32_e64 v86, 0, v88, s10
	v_fma_f32 v88, s18, v127, -v73
	v_cndmask_b32_e64 v89, 0, v76, s11
	v_mul_f32_e32 v77, 0x3fb8aa3b, v77
	v_add_f32_e32 v74, v74, v85
	v_mul_f32_e32 v90, 0x3fb8aa3b, v90
	v_mul_f32_e32 v76, 0x3fb8aa3b, v88
	v_cndmask_b32_e64 v88, 0, v91, s12
	v_exp_f32_e32 v77, v77
	s_delay_alu instid0(VALU_DEP_3) | instskip(NEXT) | instid1(VALU_DEP_2)
	v_exp_f32_e32 v90, v90
	v_exp_f32_e32 v76, v76
	s_delay_alu instid0(TRANS32_DEP_3)
	v_cndmask_b32_e64 v91, 0, v77, s13
	v_mul_f32_e32 v77, 0x3fb8aa3b, v92
	v_add_f32_e32 v74, v74, v84
	s_waitcnt_depctr 0xfff
	v_cndmask_b32_e64 v90, 0, v90, s15
	v_cndmask_b32_e64 v93, 0, v76, s16
	v_exp_f32_e32 v77, v77
	v_add_f32_e32 v74, v74, v87
	s_delay_alu instid0(VALU_DEP_1) | instskip(SKIP_3) | instid1(VALU_DEP_1)
	v_add_f32_e32 v74, v74, v86
	s_waitcnt_depctr 0xfff
	v_cndmask_b32_e64 v92, 0, v77, s17
	v_add_f32_e32 v74, v74, v89
	v_add_f32_e32 v74, v74, v88
	s_delay_alu instid0(VALU_DEP_1) | instskip(NEXT) | instid1(VALU_DEP_1)
	v_add_f32_e32 v74, v74, v91
	v_add_f32_e32 v74, v74, v90
	s_delay_alu instid0(VALU_DEP_1) | instskip(NEXT) | instid1(VALU_DEP_1)
	v_add_f32_e32 v74, v74, v93
	v_add_f32_e32 v74, v74, v92
	ds_bpermute_b32 v75, v75, v74
	v_cmpx_gt_u32_e32 16, v71
	s_cbranch_execz .LBB927_12
; %bb.11:
	v_mul_u32_u24_e32 v71, 0x44, v72
	s_waitcnt lgkmcnt(0)
	v_add_f32_e32 v74, v74, v75
	s_delay_alu instid0(VALU_DEP_2) | instskip(NEXT) | instid1(VALU_DEP_1)
	v_lshl_add_u32 v71, v70, 2, v71
	v_add_nc_u32_e32 v71, 0x4000, v71
	ds_store_2addr_b32 v71, v73, v74 offset1:136
.LBB927_12:
	s_or_b32 exec_lo, exec_lo, s2
	v_lshlrev_b32_e32 v71, 2, v70
	s_load_b32 s35, s[0:1], 0x94
	s_waitcnt lgkmcnt(0)
	s_barrier
	buffer_gl0_inv
	v_add_nc_u32_e32 v71, 0x4000, v71
	v_cmp_eq_u32_e32 vcc_lo, 1, v72
	v_cmp_eq_u32_e64 s2, 2, v72
	v_cmp_eq_u32_e64 s3, 3, v72
	;; [unrolled: 1-line block ×3, first 2 shown]
	ds_load_2addr_b32 v[73:74], v71 offset1:17
	ds_load_2addr_b32 v[94:95], v71 offset0:34 offset1:51
	ds_load_2addr_b32 v[96:97], v71 offset0:68 offset1:85
	;; [unrolled: 1-line block ×3, first 2 shown]
	v_cmp_eq_u32_e64 s5, 5, v72
	v_cmp_eq_u32_e64 s6, 7, v72
	s_waitcnt lgkmcnt(3)
	v_max3_f32 v75, v73, 0xff7fffff, v74
	s_waitcnt lgkmcnt(2)
	s_delay_alu instid0(VALU_DEP_1) | instskip(SKIP_1) | instid1(VALU_DEP_1)
	v_max3_f32 v75, v75, v94, v95
	s_waitcnt lgkmcnt(1)
	v_max3_f32 v75, v75, v96, v97
	s_waitcnt lgkmcnt(0)
	s_delay_alu instid0(VALU_DEP_1) | instskip(NEXT) | instid1(VALU_DEP_1)
	v_max3_f32 v76, v75, v98, v99
	v_sub_f32_e32 v96, v96, v76
	ds_load_2addr_b32 v[100:101], v71 offset0:136 offset1:153
	v_sub_f32_e32 v73, v73, v76
	v_sub_f32_e32 v75, v74, v76
	;; [unrolled: 1-line block ×3, first 2 shown]
	v_mul_f32_e32 v105, 0x3fb8aa3b, v96
	s_delay_alu instid0(VALU_DEP_4)
	v_mul_f32_e32 v77, 0x3fb8aa3b, v73
	ds_load_2addr_b32 v[73:74], v71 offset0:170 offset1:187
	v_mul_f32_e32 v103, 0x3fb8aa3b, v94
	v_exp_f32_e32 v102, v77
	v_sub_f32_e32 v77, v95, v76
	ds_load_2addr_b32 v[94:95], v71 offset0:204 offset1:221
	v_exp_f32_e32 v103, v103
	v_mul_f32_e32 v104, 0x3fb8aa3b, v77
	s_waitcnt lgkmcnt(2)
	v_fma_f32 v77, v102, v100, 0
	v_dual_sub_f32 v100, v97, v76 :: v_dual_mul_f32 v75, 0x3fb8aa3b, v75
	ds_load_2addr_b32 v[96:97], v71 offset0:238 offset1:255
	v_sub_f32_e32 v71, v98, v76
	v_exp_f32_e32 v104, v104
	v_mul_f32_e32 v98, 0x3fb8aa3b, v100
	v_exp_f32_e32 v75, v75
	v_exp_f32_e32 v100, v105
	v_mul_f32_e32 v71, 0x3fb8aa3b, v71
	s_waitcnt lgkmcnt(0)
	v_exp_f32_e32 v98, v98
	s_barrier
	buffer_gl0_inv
	v_fmac_f32_e32 v77, v75, v101
	s_delay_alu instid0(VALU_DEP_1) | instskip(SKIP_2) | instid1(VALU_DEP_2)
	v_fmac_f32_e32 v77, v103, v73
	v_sub_f32_e32 v73, v99, v76
	v_exp_f32_e32 v99, v71
	v_fmac_f32_e32 v77, v104, v74
	s_delay_alu instid0(VALU_DEP_2) | instskip(NEXT) | instid1(VALU_DEP_2)
	v_dual_mul_f32 v73, 0x3fb8aa3b, v73 :: v_dual_lshlrev_b32 v74, 6, v70
	v_dual_fmac_f32 v77, v100, v94 :: v_dual_lshlrev_b32 v70, 2, v69
	s_delay_alu instid0(VALU_DEP_2) | instskip(SKIP_1) | instid1(VALU_DEP_3)
	v_exp_f32_e32 v94, v73
	v_cndmask_b32_e32 v73, v102, v75, vcc_lo
	v_lshl_or_b32 v75, v72, 11, v74
	s_delay_alu instid0(VALU_DEP_3) | instskip(SKIP_1) | instid1(VALU_DEP_3)
	v_cmp_eq_u32_e64 s7, 7, v70
	v_fmac_f32_e32 v77, v98, v95
	v_lshl_or_b32 v69, v69, 4, v75
	s_delay_alu instid0(VALU_DEP_2)
	v_fmac_f32_e32 v77, v99, v96
	s_delay_alu instid0(TRANS32_DEP_1) | instid1(VALU_DEP_1)
	v_fmac_f32_e32 v77, v94, v97
	s_delay_alu instid0(VALU_DEP_1) | instskip(NEXT) | instid1(VALU_DEP_1)
	v_add_f32_e32 v95, 0x358637bd, v77
	v_div_scale_f32 v96, null, v95, v95, 1.0
	v_div_scale_f32 v101, vcc_lo, 1.0, v95, 1.0
	s_delay_alu instid0(VALU_DEP_2) | instskip(SKIP_2) | instid1(VALU_DEP_1)
	v_rcp_f32_e32 v97, v96
	s_waitcnt_depctr 0xfff
	v_fma_f32 v71, -v96, v97, 1.0
	v_fmac_f32_e32 v97, v71, v97
	v_cndmask_b32_e64 v71, v73, v103, s2
	v_cmp_eq_u32_e64 s2, 6, v72
	v_or_b32_e32 v73, 1, v70
	v_or_b32_e32 v72, 3, v70
	v_mul_f32_e32 v102, v101, v97
	v_cndmask_b32_e64 v71, v71, v104, s3
	v_cmp_eq_u32_e64 s3, 1, v70
	v_cmp_eq_u32_e64 s8, 1, v73
	;; [unrolled: 1-line block ×3, first 2 shown]
	v_fma_f32 v103, -v96, v102, v101
	v_cndmask_b32_e64 v100, v71, v100, s4
	v_or_b32_e32 v71, 2, v70
	v_cmp_eq_u32_e64 s4, 2, v70
	v_cmp_eq_u32_e64 s11, 2, v73
	v_fmac_f32_e32 v102, v103, v97
	v_cndmask_b32_e64 v98, v100, v98, s5
	v_cmp_eq_u32_e64 s9, 1, v71
	v_cmp_eq_u32_e64 s13, 2, v71
	;; [unrolled: 1-line block ×3, first 2 shown]
	v_fma_f32 v96, -v96, v102, v101
	v_cndmask_b32_e64 v98, v98, v99, s2
	v_cmp_eq_u32_e64 s12, 3, v73
	v_cmp_eq_u32_e64 s17, 3, v72
	;; [unrolled: 1-line block ×3, first 2 shown]
	v_div_fmas_f32 v96, v96, v97, v102
	v_cndmask_b32_e64 v94, v98, v94, s6
	v_cmp_eq_u32_e32 vcc_lo, 3, v70
	v_cmp_eq_u32_e64 s16, 3, v71
	v_cmp_eq_u32_e64 s18, 4, v73
	v_div_fixup_f32 v95, v96, v95, 1.0
	v_cmp_eq_u32_e64 s21, 4, v72
	v_cmp_eq_u32_e64 s5, 5, v70
	;; [unrolled: 1-line block ×4, first 2 shown]
	v_mul_f32_e32 v102, v94, v95
	v_cmp_eq_u32_e64 s23, 5, v72
	v_cmp_eq_u32_e64 s22, 5, v71
	;; [unrolled: 1-line block ×4, first 2 shown]
	v_fma_mixlo_f16 v94, v102, v79, 0
	v_fma_mixlo_f16 v95, v102, v81, 0
	;; [unrolled: 1-line block ×8, first 2 shown]
	v_fma_mixhi_f16 v94, v102, v78, 0
	v_fma_mixhi_f16 v95, v102, v80, 0
	;; [unrolled: 1-line block ×8, first 2 shown]
	ds_store_b128 v69, v[94:97]
	ds_store_b128 v69, v[98:101] offset:1024
	s_waitcnt lgkmcnt(0)
	s_barrier
	buffer_gl0_inv
	ds_load_b128 v[78:81], v75
	ds_load_b128 v[82:85], v75 offset:16
	ds_load_b128 v[86:89], v75 offset:1024
	;; [unrolled: 1-line block ×3, first 2 shown]
	v_cmp_eq_u32_e64 s6, 6, v70
	v_cmp_eq_u32_e64 s25, 6, v71
	;; [unrolled: 1-line block ×5, first 2 shown]
	s_waitcnt lgkmcnt(3)
	v_lshrrev_b32_e32 v94, 16, v78
	s_waitcnt lgkmcnt(2)
	v_lshrrev_b32_e32 v98, 16, v82
	;; [unrolled: 2-line block ×4, first 2 shown]
	v_lshrrev_b32_e32 v95, 16, v79
	v_cndmask_b32_e64 v110, v78, v94, s3
	v_cndmask_b32_e64 v111, v82, v98, s3
	;; [unrolled: 1-line block ×8, first 2 shown]
	v_lshrrev_b32_e32 v99, 16, v83
	v_cndmask_b32_e64 v94, v86, v102, s3
	v_cndmask_b32_e64 v98, v90, v106, s3
	;; [unrolled: 1-line block ×15, first 2 shown]
	v_lshrrev_b32_e32 v103, 16, v87
	v_lshrrev_b32_e32 v107, 16, v91
	v_cndmask_b32_e64 v113, v115, v83, s13
	v_cndmask_b32_e64 v82, v94, v87, s4
	v_cndmask_b32_e64 v83, v98, v91, s4
	v_cndmask_b32_e64 v94, v116, v87, s11
	v_cndmask_b32_e64 v98, v118, v87, s13
	v_cndmask_b32_e64 v86, v86, v87, s15
	v_cndmask_b32_e64 v87, v90, v91, s15
	v_cndmask_b32_e32 v90, v102, v95, vcc_lo
	v_cndmask_b32_e32 v102, v106, v99, vcc_lo
	v_cndmask_b32_e64 v106, v110, v95, s12
	v_cndmask_b32_e64 v110, v111, v99, s12
	;; [unrolled: 1-line block ×4, first 2 shown]
	v_lshrrev_b32_e32 v96, 16, v80
	v_lshrrev_b32_e32 v100, 16, v84
	v_cndmask_b32_e64 v111, v112, v95, s16
	v_cndmask_b32_e64 v112, v113, v99, s16
	v_cndmask_b32_e32 v82, v82, v103, vcc_lo
	v_cndmask_b32_e32 v83, v83, v107, vcc_lo
	v_cndmask_b32_e64 v94, v94, v103, s12
	v_cndmask_b32_e64 v90, v90, v80, s2
	;; [unrolled: 1-line block ×7, first 2 shown]
	v_lshrrev_b32_e32 v104, 16, v88
	v_cndmask_b32_e64 v106, v111, v80, s20
	v_cndmask_b32_e64 v110, v112, v84, s20
	;; [unrolled: 1-line block ×11, first 2 shown]
	v_lshrrev_b32_e32 v97, 16, v81
	v_lshrrev_b32_e32 v101, 16, v85
	v_cndmask_b32_e64 v99, v106, v96, s22
	v_cndmask_b32_e64 v102, v110, v100, s22
	;; [unrolled: 1-line block ×7, first 2 shown]
	v_lshrrev_b32_e32 v105, 16, v89
	v_cndmask_b32_e64 v80, v80, v104, s5
	v_cndmask_b32_e64 v84, v84, v81, s6
	;; [unrolled: 1-line block ×16, first 2 shown]
	v_perm_b32 v81, v79, v78, 0x5040100
	v_perm_b32 v79, v95, v85, 0x5040100
	v_cndmask_b32_e64 v78, v119, v91, s13
	v_cndmask_b32_e64 v85, v117, v91, s11
	;; [unrolled: 1-line block ×3, first 2 shown]
	v_perm_b32 v80, v94, v90, 0x5040100
	v_cndmask_b32_e64 v90, v98, v103, s16
	v_cndmask_b32_e64 v86, v86, v103, s17
	;; [unrolled: 1-line block ×5, first 2 shown]
	v_lshrrev_b32_e32 v108, 16, v92
	v_cndmask_b32_e64 v90, v90, v88, s20
	v_cndmask_b32_e64 v86, v86, v88, s21
	;; [unrolled: 1-line block ×11, first 2 shown]
	v_lshrrev_b32_e32 v109, 16, v93
	v_cndmask_b32_e64 v82, v82, v93, s6
	v_cndmask_b32_e64 v88, v88, v89, s25
	;; [unrolled: 1-line block ×12, first 2 shown]
	v_perm_b32 v78, v84, v83, 0x5040100
	v_perm_b32 v85, v87, v86, 0x5040100
	;; [unrolled: 1-line block ×5, first 2 shown]
	s_lshl_b32 s7, s34, 1
	s_mov_b32 s2, exec_lo
	ds_store_b128 v69, v[78:81]
	ds_store_b128 v69, v[82:85] offset:1024
	v_cmpx_gt_u32_e32 2, v0
	s_cbranch_execz .LBB927_14
; %bb.13:
	v_or_b32_e32 v78, s33, v0
	s_load_b128 s[8:11], s[0:1], 0x58
	s_delay_alu instid0(VALU_DEP_1) | instskip(NEXT) | instid1(VALU_DEP_1)
	v_mad_u64_u32 v[79:80], null, s7, s30, v[78:79]
	v_mad_u64_u32 v[80:81], null, v79, s35, s[14:15]
	s_delay_alu instid0(VALU_DEP_1) | instskip(NEXT) | instid1(VALU_DEP_1)
	v_ashrrev_i32_e32 v81, 31, v80
	v_lshlrev_b64 v[78:79], 2, v[80:81]
	s_waitcnt lgkmcnt(0)
	s_delay_alu instid0(VALU_DEP_1) | instskip(NEXT) | instid1(VALU_DEP_2)
	v_add_co_u32 v80, vcc_lo, s10, v78
	v_add_co_ci_u32_e32 v81, vcc_lo, s11, v79, vcc_lo
	v_add_co_u32 v78, vcc_lo, s8, v78
	v_add_co_ci_u32_e32 v79, vcc_lo, s9, v79, vcc_lo
	global_store_b32 v[80:81], v76, off
	global_store_b32 v[78:79], v77, off
.LBB927_14:
	s_or_b32 exec_lo, exec_lo, s2
	s_waitcnt lgkmcnt(0)
	s_waitcnt_vscnt null, 0x0
	s_barrier
	buffer_gl0_inv
	ds_load_b128 v[84:87], v74
	ds_load_b128 v[88:91], v74 offset:16
	ds_load_b128 v[96:99], v74 offset:2064
	;; [unrolled: 1-line block ×5, first 2 shown]
	v_cmp_eq_u32_e32 vcc_lo, 1, v70
	v_mov_b32_e32 v76, 0
	ds_load_b128 v[112:115], v74 offset:6160
	ds_load_b128 v[108:111], v74 offset:6144
	;; [unrolled: 1-line block ×4, first 2 shown]
	v_cmp_eq_u32_e64 s3, 1, v71
	v_cmp_eq_u32_e64 s2, 1, v73
	;; [unrolled: 1-line block ×3, first 2 shown]
	v_mov_b32_e32 v77, v76
	v_mov_b32_e32 v78, v76
	;; [unrolled: 1-line block ×7, first 2 shown]
	v_cmp_eq_u32_e64 s5, 3, v73
	v_cmp_eq_u32_e64 s6, 7, v73
	s_waitcnt lgkmcnt(8)
	s_delay_alu instid0(VALU_DEP_3)
	v_wmma_f32_16x16x16_f16 v[76:83], v[49:56], v[84:91], v[76:83]
	ds_load_b128 v[53:56], v74 offset:10256
	ds_load_b128 v[49:52], v74 offset:10240
	s_waitcnt lgkmcnt(8)
	v_wmma_f32_16x16x16_f16 v[76:83], v[41:48], v[92:99], v[76:83]
	ds_load_b128 v[45:48], v74 offset:12304
	ds_load_b128 v[41:44], v74 offset:12288
	s_waitcnt lgkmcnt(8)
	;; [unrolled: 4-line block ×3, first 2 shown]
	s_barrier
	buffer_gl0_inv
	v_wmma_f32_16x16x16_f16 v[76:83], v[1:8], v[108:115], v[76:83]
	s_delay_alu instid0(VALU_DEP_1) | instskip(NEXT) | instid1(VALU_DEP_1)
	v_wmma_f32_16x16x16_f16 v[76:83], v[9:16], v[116:123], v[76:83]
	v_wmma_f32_16x16x16_f16 v[76:83], v[17:24], v[49:56], v[76:83]
	s_delay_alu instid0(VALU_DEP_1) | instskip(NEXT) | instid1(VALU_DEP_1)
	v_wmma_f32_16x16x16_f16 v[76:83], v[25:32], v[41:48], v[76:83]
	v_wmma_f32_16x16x16_f16 v[76:83], v[57:64], v[33:40], v[76:83]
	s_delay_alu instid0(VALU_DEP_1) | instskip(NEXT) | instid1(VALU_DEP_2)
	v_cvt_f16_f32_e32 v1, v76
	v_cvt_f16_f32_e32 v2, v77
	s_delay_alu instid0(VALU_DEP_3) | instskip(NEXT) | instid1(VALU_DEP_4)
	v_cvt_f16_f32_e32 v3, v78
	v_cvt_f16_f32_e32 v4, v79
	;; [unrolled: 1-line block ×6, first 2 shown]
	v_pack_b32_f16 v1, v1, v2
	v_pack_b32_f16 v2, v3, v4
	;; [unrolled: 1-line block ×3, first 2 shown]
	s_delay_alu instid0(VALU_DEP_4)
	v_pack_b32_f16 v4, v7, v8
	ds_store_b128 v69, v[1:4]
	s_waitcnt lgkmcnt(0)
	s_barrier
	buffer_gl0_inv
	ds_load_b128 v[1:4], v75
	ds_load_b128 v[5:8], v75 offset:16
	s_waitcnt lgkmcnt(1)
	v_lshrrev_b32_e32 v9, 16, v1
	s_waitcnt lgkmcnt(0)
	v_lshrrev_b32_e32 v13, 16, v5
	v_lshrrev_b32_e32 v10, 16, v2
	;; [unrolled: 1-line block ×4, first 2 shown]
	v_cndmask_b32_e32 v17, v1, v9, vcc_lo
	v_cndmask_b32_e32 v18, v5, v13, vcc_lo
	v_cndmask_b32_e64 v21, v1, v9, s3
	v_cmp_eq_u32_e32 vcc_lo, 1, v72
	v_cndmask_b32_e64 v22, v5, v13, s3
	v_cmp_eq_u32_e64 s3, 2, v70
	v_cndmask_b32_e64 v19, v1, v9, s2
	v_cndmask_b32_e64 v20, v5, v13, s2
	v_cndmask_b32_e32 v1, v1, v9, vcc_lo
	v_cmp_eq_u32_e64 s2, 2, v72
	v_cndmask_b32_e32 v5, v5, v13, vcc_lo
	v_cndmask_b32_e64 v9, v17, v2, s3
	v_cmp_eq_u32_e32 vcc_lo, 3, v70
	v_cndmask_b32_e64 v13, v18, v6, s3
	v_cmp_eq_u32_e64 s3, 2, v71
	v_cndmask_b32_e64 v17, v19, v2, s4
	v_cndmask_b32_e64 v18, v20, v6, s4
	v_cmp_eq_u32_e64 s4, 3, v71
	v_cndmask_b32_e64 v1, v1, v2, s2
	v_cndmask_b32_e64 v19, v21, v2, s3
	;; [unrolled: 1-line block ×4, first 2 shown]
	v_cndmask_b32_e32 v5, v9, v10, vcc_lo
	v_cndmask_b32_e32 v6, v13, v14, vcc_lo
	v_cmp_eq_u32_e32 vcc_lo, 3, v72
	v_cndmask_b32_e64 v9, v17, v10, s5
	v_cndmask_b32_e64 v13, v18, v14, s5
	v_cndmask_b32_e64 v18, v20, v14, s4
	v_cmp_eq_u32_e64 s3, 4, v70
	v_cndmask_b32_e32 v1, v1, v10, vcc_lo
	v_cndmask_b32_e32 v2, v2, v14, vcc_lo
	v_cmp_eq_u32_e32 vcc_lo, 4, v73
	v_lshrrev_b32_e32 v15, 16, v7
	v_lshrrev_b32_e32 v16, 16, v8
	v_cndmask_b32_e64 v17, v19, v10, s4
	v_cmp_eq_u32_e64 s2, 4, v72
	v_cndmask_b32_e64 v5, v5, v3, s3
	v_cndmask_b32_e64 v6, v6, v7, s3
	v_cndmask_b32_e32 v9, v9, v3, vcc_lo
	v_cmp_eq_u32_e64 s3, 5, v73
	v_cndmask_b32_e32 v10, v13, v7, vcc_lo
	v_cmp_eq_u32_e32 vcc_lo, 4, v71
	v_cmp_eq_u32_e64 s4, 5, v70
	v_cndmask_b32_e64 v2, v2, v7, s2
	v_cndmask_b32_e64 v9, v9, v11, s3
	;; [unrolled: 1-line block ×3, first 2 shown]
	v_cndmask_b32_e32 v13, v17, v3, vcc_lo
	v_cmp_eq_u32_e64 s3, 5, v71
	v_cndmask_b32_e32 v14, v18, v7, vcc_lo
	v_cndmask_b32_e64 v1, v1, v3, s2
	v_cmp_eq_u32_e32 vcc_lo, 5, v72
	v_lshrrev_b32_e32 v12, 16, v4
	v_cndmask_b32_e64 v13, v13, v11, s3
	v_cndmask_b32_e64 v3, v14, v15, s3
	v_cmp_eq_u32_e64 s3, 6, v72
	v_cndmask_b32_e32 v1, v1, v11, vcc_lo
	v_cndmask_b32_e64 v5, v5, v11, s4
	v_cmp_eq_u32_e64 s5, 6, v70
	v_cndmask_b32_e64 v6, v6, v15, s4
	v_cmp_eq_u32_e64 s4, 6, v73
	v_cmp_eq_u32_e64 s2, 6, v71
	v_cndmask_b32_e64 v1, v1, v4, s3
	v_cndmask_b32_e32 v2, v2, v15, vcc_lo
	v_cmp_eq_u32_e32 vcc_lo, 7, v72
	v_cndmask_b32_e64 v5, v5, v4, s5
	v_cndmask_b32_e64 v9, v9, v4, s4
	;; [unrolled: 1-line block ×3, first 2 shown]
	v_cmp_eq_u32_e64 s5, 7, v70
	v_cndmask_b32_e32 v1, v1, v12, vcc_lo
	v_cndmask_b32_e64 v7, v13, v4, s2
	v_cndmask_b32_e64 v3, v3, v8, s2
	;; [unrolled: 1-line block ×3, first 2 shown]
	v_cmp_eq_u32_e64 s2, 7, v71
	v_cndmask_b32_e64 v4, v10, v8, s4
	v_cndmask_b32_e64 v5, v5, v12, s5
	;; [unrolled: 1-line block ×3, first 2 shown]
	v_cndmask_b32_e32 v2, v2, v16, vcc_lo
	v_cndmask_b32_e64 v7, v7, v12, s2
	v_cndmask_b32_e64 v3, v3, v16, s2
	;; [unrolled: 1-line block ×4, first 2 shown]
	v_perm_b32 v4, v2, v1, 0x5040100
	s_delay_alu instid0(VALU_DEP_4) | instskip(NEXT) | instid1(VALU_DEP_4)
	v_perm_b32 v3, v3, v7, 0x5040100
	v_perm_b32 v2, v8, v9, 0x5040100
	s_delay_alu instid0(VALU_DEP_4)
	v_perm_b32 v1, v6, v5, 0x5040100
	ds_store_b128 v69, v[1:4]
	s_waitcnt lgkmcnt(0)
	s_barrier
	buffer_gl0_inv
	s_and_saveexec_b32 s2, s31
	s_cbranch_execz .LBB927_2
; %bb.15:
	s_load_b64 s[0:1], s[0:1], 0x68
	v_lshlrev_b32_e32 v0, 10, v0
	s_lshl_b32 s2, s35, 6
	v_lshlrev_b32_e32 v1, 4, v68
	v_mul_lo_u32 v4, s2, v67
	s_mul_i32 s3, s2, s30
	v_and_b32_e32 v0, 0x3800, v0
	s_mul_i32 s2, s3, s7
	s_delay_alu instid0(SALU_CYCLE_1) | instskip(NEXT) | instid1(VALU_DEP_1)
	s_ashr_i32 s3, s2, 31
	v_or3_b32 v0, v0, v66, v1
	s_lshl_b64 s[2:3], s[2:3], 1
	s_delay_alu instid0(VALU_DEP_3)
	v_ashrrev_i32_e32 v5, 31, v4
	ds_load_b128 v[0:3], v0
	v_lshlrev_b64 v[4:5], 1, v[4:5]
	s_waitcnt lgkmcnt(0)
	s_add_u32 s2, s0, s2
	s_addc_u32 s3, s1, s3
	s_lshl_b32 s0, s14, 6
	s_delay_alu instid0(SALU_CYCLE_1) | instskip(NEXT) | instid1(SALU_CYCLE_1)
	s_ashr_i32 s1, s0, 31
	s_lshl_b64 s[0:1], s[0:1], 1
	s_delay_alu instid0(SALU_CYCLE_1) | instskip(SKIP_3) | instid1(VALU_DEP_2)
	s_add_u32 s0, s2, s0
	s_addc_u32 s1, s3, s1
	v_add_co_u32 v4, vcc_lo, s0, v4
	v_add_co_ci_u32_e32 v5, vcc_lo, s1, v5, vcc_lo
	v_add_co_u32 v4, vcc_lo, v4, v65
	s_delay_alu instid0(VALU_DEP_2)
	v_add_co_ci_u32_e32 v5, vcc_lo, 0, v5, vcc_lo
	global_store_b128 v[4:5], v[0:3], off
	s_nop 0
	s_sendmsg sendmsg(MSG_DEALLOC_VGPRS)
	s_endpgm
	.section	.rodata,"a",@progbits
	.p2align	6, 0x0
	.amdhsa_kernel _Z39paged_attention_ll4mi_QKV_mfma16_kernelIDF16_hLN4vllm18Fp8KVCacheDataTypeE1EDF16_Li32ELi64ELi256ELb0ELi2EL8MFMAType1EEvPKT_PKT0_S8_ifPKiSA_SA_iPKfiiiPfSD_PS3_PT2_iSC_SC_
		.amdhsa_group_segment_fixed_size 17472
		.amdhsa_private_segment_fixed_size 0
		.amdhsa_kernarg_size 400
		.amdhsa_user_sgpr_count 13
		.amdhsa_user_sgpr_dispatch_ptr 0
		.amdhsa_user_sgpr_queue_ptr 0
		.amdhsa_user_sgpr_kernarg_segment_ptr 1
		.amdhsa_user_sgpr_dispatch_id 0
		.amdhsa_user_sgpr_private_segment_size 0
		.amdhsa_wavefront_size32 1
		.amdhsa_uses_dynamic_stack 0
		.amdhsa_enable_private_segment 0
		.amdhsa_system_sgpr_workgroup_id_x 1
		.amdhsa_system_sgpr_workgroup_id_y 1
		.amdhsa_system_sgpr_workgroup_id_z 1
		.amdhsa_system_sgpr_workgroup_info 0
		.amdhsa_system_vgpr_workitem_id 0
		.amdhsa_next_free_vgpr 148
		.amdhsa_next_free_sgpr 38
		.amdhsa_reserve_vcc 1
		.amdhsa_float_round_mode_32 0
		.amdhsa_float_round_mode_16_64 0
		.amdhsa_float_denorm_mode_32 3
		.amdhsa_float_denorm_mode_16_64 3
		.amdhsa_dx10_clamp 1
		.amdhsa_ieee_mode 1
		.amdhsa_fp16_overflow 0
		.amdhsa_workgroup_processor_mode 1
		.amdhsa_memory_ordered 1
		.amdhsa_forward_progress 0
		.amdhsa_shared_vgpr_count 0
		.amdhsa_exception_fp_ieee_invalid_op 0
		.amdhsa_exception_fp_denorm_src 0
		.amdhsa_exception_fp_ieee_div_zero 0
		.amdhsa_exception_fp_ieee_overflow 0
		.amdhsa_exception_fp_ieee_underflow 0
		.amdhsa_exception_fp_ieee_inexact 0
		.amdhsa_exception_int_div_zero 0
	.end_amdhsa_kernel
	.section	.text._Z39paged_attention_ll4mi_QKV_mfma16_kernelIDF16_hLN4vllm18Fp8KVCacheDataTypeE1EDF16_Li32ELi64ELi256ELb0ELi2EL8MFMAType1EEvPKT_PKT0_S8_ifPKiSA_SA_iPKfiiiPfSD_PS3_PT2_iSC_SC_,"axG",@progbits,_Z39paged_attention_ll4mi_QKV_mfma16_kernelIDF16_hLN4vllm18Fp8KVCacheDataTypeE1EDF16_Li32ELi64ELi256ELb0ELi2EL8MFMAType1EEvPKT_PKT0_S8_ifPKiSA_SA_iPKfiiiPfSD_PS3_PT2_iSC_SC_,comdat
.Lfunc_end927:
	.size	_Z39paged_attention_ll4mi_QKV_mfma16_kernelIDF16_hLN4vllm18Fp8KVCacheDataTypeE1EDF16_Li32ELi64ELi256ELb0ELi2EL8MFMAType1EEvPKT_PKT0_S8_ifPKiSA_SA_iPKfiiiPfSD_PS3_PT2_iSC_SC_, .Lfunc_end927-_Z39paged_attention_ll4mi_QKV_mfma16_kernelIDF16_hLN4vllm18Fp8KVCacheDataTypeE1EDF16_Li32ELi64ELi256ELb0ELi2EL8MFMAType1EEvPKT_PKT0_S8_ifPKiSA_SA_iPKfiiiPfSD_PS3_PT2_iSC_SC_
                                        ; -- End function
	.section	.AMDGPU.csdata,"",@progbits
; Kernel info:
; codeLenInByte = 6252
; NumSgprs: 40
; NumVgprs: 148
; ScratchSize: 0
; MemoryBound: 0
; FloatMode: 240
; IeeeMode: 1
; LDSByteSize: 17472 bytes/workgroup (compile time only)
; SGPRBlocks: 4
; VGPRBlocks: 18
; NumSGPRsForWavesPerEU: 40
; NumVGPRsForWavesPerEU: 148
; Occupancy: 9
; WaveLimiterHint : 1
; COMPUTE_PGM_RSRC2:SCRATCH_EN: 0
; COMPUTE_PGM_RSRC2:USER_SGPR: 13
; COMPUTE_PGM_RSRC2:TRAP_HANDLER: 0
; COMPUTE_PGM_RSRC2:TGID_X_EN: 1
; COMPUTE_PGM_RSRC2:TGID_Y_EN: 1
; COMPUTE_PGM_RSRC2:TGID_Z_EN: 1
; COMPUTE_PGM_RSRC2:TIDIG_COMP_CNT: 0
	.section	.text._Z39paged_attention_ll4mi_QKV_mfma16_kernelIDF16_hLN4vllm18Fp8KVCacheDataTypeE1EDF16_Li32ELi64ELi256ELb0ELi3EL8MFMAType1EEvPKT_PKT0_S8_ifPKiSA_SA_iPKfiiiPfSD_PS3_PT2_iSC_SC_,"axG",@progbits,_Z39paged_attention_ll4mi_QKV_mfma16_kernelIDF16_hLN4vllm18Fp8KVCacheDataTypeE1EDF16_Li32ELi64ELi256ELb0ELi3EL8MFMAType1EEvPKT_PKT0_S8_ifPKiSA_SA_iPKfiiiPfSD_PS3_PT2_iSC_SC_,comdat
	.protected	_Z39paged_attention_ll4mi_QKV_mfma16_kernelIDF16_hLN4vllm18Fp8KVCacheDataTypeE1EDF16_Li32ELi64ELi256ELb0ELi3EL8MFMAType1EEvPKT_PKT0_S8_ifPKiSA_SA_iPKfiiiPfSD_PS3_PT2_iSC_SC_ ; -- Begin function _Z39paged_attention_ll4mi_QKV_mfma16_kernelIDF16_hLN4vllm18Fp8KVCacheDataTypeE1EDF16_Li32ELi64ELi256ELb0ELi3EL8MFMAType1EEvPKT_PKT0_S8_ifPKiSA_SA_iPKfiiiPfSD_PS3_PT2_iSC_SC_
	.globl	_Z39paged_attention_ll4mi_QKV_mfma16_kernelIDF16_hLN4vllm18Fp8KVCacheDataTypeE1EDF16_Li32ELi64ELi256ELb0ELi3EL8MFMAType1EEvPKT_PKT0_S8_ifPKiSA_SA_iPKfiiiPfSD_PS3_PT2_iSC_SC_
	.p2align	8
	.type	_Z39paged_attention_ll4mi_QKV_mfma16_kernelIDF16_hLN4vllm18Fp8KVCacheDataTypeE1EDF16_Li32ELi64ELi256ELb0ELi3EL8MFMAType1EEvPKT_PKT0_S8_ifPKiSA_SA_iPKfiiiPfSD_PS3_PT2_iSC_SC_,@function
_Z39paged_attention_ll4mi_QKV_mfma16_kernelIDF16_hLN4vllm18Fp8KVCacheDataTypeE1EDF16_Li32ELi64ELi256ELb0ELi3EL8MFMAType1EEvPKT_PKT0_S8_ifPKiSA_SA_iPKfiiiPfSD_PS3_PT2_iSC_SC_: ; @_Z39paged_attention_ll4mi_QKV_mfma16_kernelIDF16_hLN4vllm18Fp8KVCacheDataTypeE1EDF16_Li32ELi64ELi256ELb0ELi3EL8MFMAType1EEvPKT_PKT0_S8_ifPKiSA_SA_iPKfiiiPfSD_PS3_PT2_iSC_SC_
; %bb.0:
	s_load_b64 s[2:3], s[0:1], 0x30
	s_mov_b32 s34, s13
	s_waitcnt lgkmcnt(0)
	s_cmp_lg_u64 s[2:3], 0
	s_cselect_b32 s6, -1, 0
	s_ashr_i32 s35, s13, 31
	s_cmp_eq_u64 s[2:3], 0
	s_cbranch_scc1 .LBB928_3
; %bb.1:
	s_lshl_b64 s[4:5], s[34:35], 2
	s_delay_alu instid0(SALU_CYCLE_1) | instskip(SKIP_4) | instid1(SALU_CYCLE_1)
	s_add_u32 s4, s2, s4
	s_addc_u32 s5, s3, s5
	s_load_b64 s[4:5], s[4:5], 0x0
	s_waitcnt lgkmcnt(0)
	s_sub_i32 s4, s5, s4
	s_cmp_eq_u32 s4, 1
	s_cselect_b32 s4, -1, 0
	s_delay_alu instid0(SALU_CYCLE_1)
	s_and_not1_b32 vcc_lo, exec_lo, s4
	s_cbranch_vccz .LBB928_4
.LBB928_2:
	s_nop 0
	s_sendmsg sendmsg(MSG_DEALLOC_VGPRS)
	s_endpgm
.LBB928_3:
.LBB928_4:
	s_load_b64 s[8:9], s[0:1], 0x28
	s_lshl_b64 s[4:5], s[34:35], 2
	s_waitcnt lgkmcnt(0)
	s_add_u32 s8, s8, s4
	s_addc_u32 s9, s9, s5
	s_lshl_b32 s16, s14, 8
	s_load_b32 s18, s[8:9], 0x0
	s_waitcnt lgkmcnt(0)
	s_cmp_ge_i32 s16, s18
	s_cbranch_scc1 .LBB928_2
; %bb.5:
	s_clause 0x1
	s_load_b128 s[8:11], s[0:1], 0x8
	s_load_b64 s[12:13], s[0:1], 0x20
	s_and_not1_b32 vcc_lo, exec_lo, s6
	s_cbranch_vccnz .LBB928_7
; %bb.6:
	s_add_u32 s2, s2, s4
	s_addc_u32 s3, s3, s5
	s_load_b32 s3, s[2:3], 0x0
	s_branch .LBB928_8
.LBB928_7:
	s_mov_b32 s3, s34
.LBB928_8:
	s_load_b128 s[4:7], s[0:1], 0x48
	v_lshrrev_b32_e32 v69, 5, v0
	v_bfe_u32 v66, v0, 4, 1
	v_and_b32_e32 v68, 15, v0
	v_and_b32_e32 v70, 31, v0
	;; [unrolled: 1-line block ×3, first 2 shown]
	s_mul_i32 s33, s15, 3
	v_lshl_or_b32 v1, v69, 1, v66
	v_lshlrev_b32_e32 v2, 3, v68
	v_cmp_gt_u32_e64 s2, 8, v68
	s_delay_alu instid0(VALU_DEP_3) | instskip(NEXT) | instid1(VALU_DEP_3)
	v_cmp_gt_u32_e32 vcc_lo, 3, v1
	v_lshlrev_b32_e32 v65, 1, v2
	s_delay_alu instid0(VALU_DEP_3)
	s_and_b32 s17, s2, vcc_lo
	s_waitcnt lgkmcnt(0)
	s_and_saveexec_b32 s7, s17
	s_cbranch_execz .LBB928_10
; %bb.9:
	s_load_b64 s[20:21], s[0:1], 0x0
	v_add_lshl_u32 v2, v1, s33, 6
	s_mul_hi_i32 s23, s3, s4
	s_mul_i32 s22, s3, s4
	v_lshlrev_b32_e32 v6, 10, v68
	s_lshl_b64 s[22:23], s[22:23], 1
	v_ashrrev_i32_e32 v3, 31, v2
	v_lshlrev_b32_e32 v1, 6, v1
	v_lshlrev_b32_e32 v7, 10, v67
	v_and_b32_e32 v6, 0x3800, v6
	s_delay_alu instid0(VALU_DEP_4) | instskip(NEXT) | instid1(VALU_DEP_2)
	v_lshlrev_b64 v[2:3], 1, v[2:3]
	v_or3_b32 v1, v6, v7, v1
	s_waitcnt lgkmcnt(0)
	s_add_u32 s3, s20, s22
	s_addc_u32 s4, s21, s23
	s_delay_alu instid0(VALU_DEP_2) | instskip(SKIP_1) | instid1(VALU_DEP_2)
	v_add_co_u32 v2, vcc_lo, s3, v2
	v_add_co_ci_u32_e32 v3, vcc_lo, s4, v3, vcc_lo
	v_add_co_u32 v2, vcc_lo, v2, v65
	s_delay_alu instid0(VALU_DEP_2)
	v_add_co_ci_u32_e32 v3, vcc_lo, 0, v3, vcc_lo
	global_load_b128 v[2:5], v[2:3], off
	s_waitcnt vmcnt(0)
	ds_store_b128 v1, v[2:5]
.LBB928_10:
	s_or_b32 exec_lo, exec_lo, s7
	v_and_b32_e32 v1, 0xef, v0
	s_add_i32 s3, s18, 31
	s_clause 0x1
	s_load_b32 s4, s[0:1], 0x38
	s_load_b32 s35, s[0:1], 0x98
	s_ashr_i32 s7, s3, 31
	v_add_nc_u32_e32 v1, s16, v1
	s_lshr_b32 s7, s7, 27
	s_load_b32 s19, s[0:1], 0x1c
	s_add_i32 s3, s3, s7
	s_waitcnt lgkmcnt(0)
	v_ashrrev_i32_e32 v2, 31, v1
	v_or_b32_e32 v3, 16, v1
	s_ashr_i32 s3, s3, 5
	v_cmp_gt_i32_e32 vcc_lo, s18, v1
	s_add_i32 s3, s3, -1
	v_lshrrev_b32_e32 v2, 27, v2
	s_barrier
	buffer_gl0_inv
	s_mul_i32 s15, s15, s6
	v_mul_lo_u16 v103, 0x56, v68
	v_add_nc_u32_e32 v4, v1, v2
	v_mbcnt_lo_u32_b32 v127, -1, 0
	s_mul_i32 s20, s34, s4
	s_delay_alu instid0(SALU_CYCLE_1) | instskip(NEXT) | instid1(VALU_DEP_2)
	s_ashr_i32 s21, s20, 31
	v_ashrrev_i32_e32 v4, 5, v4
	v_add_nc_u32_e32 v2, v3, v2
	s_lshl_b64 s[20:21], s[20:21], 2
	v_lshrrev_b16 v103, 8, v103
	s_add_u32 s17, s12, s20
	v_cndmask_b32_e32 v1, s3, v4, vcc_lo
	v_ashrrev_i32_e32 v2, 5, v2
	v_cmp_gt_i32_e32 vcc_lo, s18, v3
	s_addc_u32 s13, s13, s21
	s_ashr_i32 s20, s15, 31
	s_add_u32 s22, s8, s15
	s_addc_u32 s23, s9, s20
	v_cndmask_b32_e32 v3, s3, v2, vcc_lo
	v_ashrrev_i32_e32 v2, 31, v1
	s_lshl_b32 s6, s14, 3
	v_mul_lo_u16 v103, v103, 3
	s_ashr_i32 s7, s6, 31
	v_ashrrev_i32_e32 v4, 31, v3
	v_lshlrev_b64 v[1:2], 2, v[1:2]
	s_lshl_b64 s[6:7], s[6:7], 2
	v_sub_nc_u16 v103, v68, v103
	s_add_u32 s6, s17, s6
	v_lshlrev_b64 v[3:4], 2, v[3:4]
	s_addc_u32 s7, s13, s7
	v_add_co_u32 v1, vcc_lo, s17, v1
	v_add_co_ci_u32_e32 v2, vcc_lo, s13, v2, vcc_lo
	s_delay_alu instid0(VALU_DEP_3) | instskip(NEXT) | instid1(VALU_DEP_4)
	v_add_co_u32 v3, vcc_lo, s17, v3
	v_add_co_ci_u32_e32 v4, vcc_lo, s13, v4, vcc_lo
	s_clause 0x1
	global_load_b32 v5, v[1:2], off
	global_load_b32 v6, v[3:4], off
	s_or_b32 s4, s16, 32
	v_xor_b32_e32 v128, 16, v127
	s_ashr_i32 s8, s4, 5
	s_cmp_lt_i32 s4, s18
	s_cselect_b32 s8, s8, s3
	s_delay_alu instid0(SALU_CYCLE_1) | instskip(NEXT) | instid1(SALU_CYCLE_1)
	s_ashr_i32 s9, s8, 31
	s_lshl_b64 s[8:9], s[8:9], 2
	s_delay_alu instid0(SALU_CYCLE_1) | instskip(SKIP_2) | instid1(SALU_CYCLE_1)
	s_add_u32 s8, s17, s8
	s_addc_u32 s9, s13, s9
	s_or_b32 s4, s16, 64
	s_ashr_i32 s12, s4, 5
	s_cmp_lt_i32 s4, s18
	s_cselect_b32 s24, s12, s3
	s_delay_alu instid0(SALU_CYCLE_1) | instskip(NEXT) | instid1(SALU_CYCLE_1)
	s_ashr_i32 s25, s24, 31
	s_lshl_b64 s[24:25], s[24:25], 2
	s_delay_alu instid0(SALU_CYCLE_1) | instskip(SKIP_2) | instid1(SALU_CYCLE_1)
	s_add_u32 s24, s17, s24
	s_addc_u32 s25, s13, s25
	s_or_b32 s4, s16, 0x60
	;; [unrolled: 10-line block ×4, first 2 shown]
	s_ashr_i32 s12, s4, 5
	s_cmp_lt_i32 s4, s18
	s_cselect_b32 s30, s12, s3
	s_delay_alu instid0(SALU_CYCLE_1) | instskip(NEXT) | instid1(SALU_CYCLE_1)
	s_ashr_i32 s31, s30, 31
	s_lshl_b64 s[30:31], s[30:31], 2
	s_delay_alu instid0(SALU_CYCLE_1)
	s_add_u32 s30, s17, s30
	s_addc_u32 s31, s13, s31
	s_clause 0x5
	s_load_b32 s12, s[6:7], 0x0
	s_load_b32 s4, s[8:9], 0x0
	;; [unrolled: 1-line block ×6, first 2 shown]
	s_or_b32 s21, s16, 0xc0
	s_waitcnt vmcnt(1)
	v_mad_i64_i32 v[1:2], null, v5, s5, s[22:23]
	v_lshlrev_b32_e32 v5, 4, v68
	s_waitcnt vmcnt(0)
	v_mad_i64_i32 v[3:4], null, v6, s5, s[22:23]
	s_ashr_i32 s22, s21, 5
	s_cmp_lt_i32 s21, s18
	s_delay_alu instid0(VALU_DEP_3) | instskip(NEXT) | instid1(VALU_DEP_4)
	v_add_co_u32 v1, vcc_lo, v1, v5
	v_add_co_ci_u32_e32 v2, vcc_lo, 0, v2, vcc_lo
	s_delay_alu instid0(VALU_DEP_3) | instskip(NEXT) | instid1(VALU_DEP_4)
	v_add_co_u32 v3, vcc_lo, v3, v5
	v_add_co_ci_u32_e32 v4, vcc_lo, 0, v4, vcc_lo
	s_clause 0x7
	global_load_b128 v[71:74], v[1:2], off
	global_load_b128 v[75:78], v[1:2], off offset:512
	global_load_b128 v[79:82], v[3:4], off offset:256
	;; [unrolled: 1-line block ×7, first 2 shown]
	s_cselect_b32 s22, s22, s3
	v_lshlrev_b32_e32 v1, 5, v68
	s_ashr_i32 s23, s22, 31
	v_cmp_gt_i32_e32 vcc_lo, 32, v128
	s_lshl_b64 s[22:23], s[22:23], 2
	v_and_b32_e32 v103, 0xff, v103
	s_add_u32 s22, s17, s22
	s_addc_u32 s23, s13, s23
	v_cndmask_b32_e32 v136, v127, v128, vcc_lo
	s_or_b32 s21, s16, 0xe0
	v_lshl_or_b32 v1, v69, 9, v1
	s_ashr_i32 s24, s21, 5
	s_cmp_lt_i32 s21, s18
	v_lshlrev_b32_e32 v115, 6, v103
	s_cselect_b32 s24, s24, s3
	s_load_b32 s3, s[22:23], 0x0
	s_ashr_i32 s25, s24, 31
	s_delay_alu instid0(SALU_CYCLE_1) | instskip(NEXT) | instid1(SALU_CYCLE_1)
	s_lshl_b64 s[24:25], s[24:25], 2
	s_add_u32 s22, s17, s24
	s_addc_u32 s23, s13, s25
	s_add_u32 s10, s10, s15
	s_addc_u32 s11, s11, s20
	v_add_co_u32 v1, s10, s10, v1
	s_delay_alu instid0(VALU_DEP_1) | instskip(SKIP_2) | instid1(VALU_DEP_1)
	v_add_co_ci_u32_e64 v2, null, s11, 0, s10
	s_load_b32 s10, s[22:23], 0x0
	s_waitcnt lgkmcnt(0)
	v_mad_i64_i32 v[3:4], null, s12, s5, v[1:2]
	v_mad_i64_i32 v[9:10], null, s7, s5, v[1:2]
	;; [unrolled: 1-line block ×7, first 2 shown]
	s_clause 0x5
	global_load_b128 v[49:52], v[3:4], off
	global_load_b128 v[53:56], v[3:4], off offset:16
	global_load_b128 v[41:44], v[5:6], off
	global_load_b128 v[45:48], v[5:6], off offset:16
	;; [unrolled: 2-line block ×3, first 2 shown]
	s_mov_b32 s4, 0
	v_mad_i64_i32 v[61:62], null, s10, s5, v[1:2]
	s_clause 0x9
	global_load_b128 v[1:4], v[9:10], off
	global_load_b128 v[5:8], v[9:10], off offset:16
	global_load_b128 v[9:12], v[13:14], off
	global_load_b128 v[13:16], v[13:14], off offset:16
	;; [unrolled: 2-line block ×5, first 2 shown]
	s_mov_b32 s5, s4
	s_mov_b32 s6, s4
	;; [unrolled: 1-line block ×7, first 2 shown]
	v_and_b32_e32 v104, 0xe0, v0
	v_dual_mov_b32 v126, s11 :: v_dual_mov_b32 v123, s8
	v_dual_mov_b32 v125, s10 :: v_dual_mov_b32 v124, s9
	s_delay_alu instid0(VALU_DEP_3)
	v_add_nc_u32_e32 v111, s16, v104
	ds_load_b128 v[103:106], v115
	ds_load_b128 v[107:110], v115 offset:1024
	v_dual_mov_b32 v122, s7 :: v_dual_mov_b32 v121, s6
	v_mov_b32_e32 v120, s5
	v_or_b32_e32 v135, v111, v66
	ds_load_b128 v[111:114], v115 offset:2048
	ds_load_b128 v[115:118], v115 offset:3072
	v_mov_b32_e32 v119, s4
	s_waitcnt vmcnt(0) lgkmcnt(0)
	s_barrier
	v_or_b32_e32 v137, 2, v135
	v_or_b32_e32 v138, 4, v135
	;; [unrolled: 1-line block ×3, first 2 shown]
	v_cmp_gt_i32_e32 vcc_lo, s18, v135
	v_or_b32_e32 v140, 8, v135
	v_cmp_gt_i32_e64 s3, s18, v137
	v_or_b32_e32 v141, 10, v135
	v_cmp_gt_i32_e64 s4, s18, v138
	v_cmp_gt_i32_e64 s5, s18, v139
	v_or_b32_e32 v142, 12, v135
	v_or_b32_e32 v143, 14, v135
	v_cmp_gt_i32_e64 s6, s18, v140
	v_cmp_gt_i32_e64 s7, s18, v141
	v_or_b32_e32 v144, 16, v135
	v_or_b32_e32 v145, 18, v135
	v_cmp_gt_i32_e64 s8, s18, v142
	v_cmp_gt_i32_e64 s9, s18, v143
	buffer_gl0_inv
	v_cmp_gt_i32_e64 s10, s18, v144
	v_cmp_gt_i32_e64 s11, s18, v145
	v_wmma_f32_16x16x16_f16 v[127:134], v[71:78], v[103:110], v[119:126]
	v_wmma_f32_16x16x16_f16 v[119:126], v[79:86], v[103:110], v[119:126]
	v_or_b32_e32 v71, 20, v135
	v_or_b32_e32 v72, 22, v135
	s_delay_alu instid0(VALU_DEP_4)
	v_wmma_f32_16x16x16_f16 v[127:134], v[87:94], v[111:118], v[127:134]
	v_or_b32_e32 v73, 24, v135
	v_wmma_f32_16x16x16_f16 v[119:126], v[95:102], v[111:118], v[119:126]
	v_or_b32_e32 v74, 26, v135
	v_cmp_gt_i32_e64 s12, s18, v71
	v_dual_mul_f32 v84, s19, v127 :: v_dual_mul_f32 v83, s19, v128
	s_delay_alu instid0(VALU_DEP_4) | instskip(SKIP_2) | instid1(VALU_DEP_4)
	v_dual_mul_f32 v92, s19, v119 :: v_dual_mul_f32 v81, s19, v130
	v_mul_f32_e32 v90, s19, v121
	v_mul_f32_e32 v82, s19, v129
	v_cndmask_b32_e32 v84, 0xff7fffff, v84, vcc_lo
	v_cndmask_b32_e64 v83, 0xff7fffff, v83, s3
	v_dual_mul_f32 v79, s19, v132 :: v_dual_mul_f32 v88, s19, v123
	v_mul_f32_e32 v80, s19, v131
	v_cndmask_b32_e64 v82, 0xff7fffff, v82, s4
	v_cndmask_b32_e64 v81, 0xff7fffff, v81, s5
	v_max3_f32 v83, v84, 0xff7fffff, v83
	v_dual_mul_f32 v77, s19, v134 :: v_dual_mul_f32 v86, s19, v125
	v_mul_f32_e32 v78, s19, v133
	v_cndmask_b32_e64 v80, 0xff7fffff, v80, s6
	v_cndmask_b32_e64 v79, 0xff7fffff, v79, s7
	v_max3_f32 v81, v83, v82, v81
	v_mul_f32_e32 v91, s19, v120
	v_cndmask_b32_e64 v78, 0xff7fffff, v78, s8
	v_cndmask_b32_e64 v77, 0xff7fffff, v77, s9
	v_mul_f32_e32 v89, s19, v122
	v_max3_f32 v79, v81, v80, v79
	v_cndmask_b32_e64 v80, 0xff7fffff, v92, s10
	v_cndmask_b32_e64 v81, 0xff7fffff, v91, s11
	v_cmp_gt_i32_e64 s13, s18, v72
	v_or_b32_e32 v75, 28, v135
	v_max3_f32 v77, v79, v78, v77
	v_or_b32_e32 v76, 30, v135
	v_mul_f32_e32 v87, s19, v124
	v_cndmask_b32_e64 v71, 0xff7fffff, v90, s12
	v_cndmask_b32_e64 v72, 0xff7fffff, v89, s13
	v_max3_f32 v77, v77, v80, v81
	v_cmp_gt_i32_e64 s15, s18, v73
	v_cmp_gt_i32_e64 s16, s18, v74
	v_mul_f32_e32 v85, s19, v126
	v_cmp_gt_i32_e64 s17, s18, v75
	v_max3_f32 v71, v77, v71, v72
	v_cndmask_b32_e64 v73, 0xff7fffff, v88, s15
	v_cndmask_b32_e64 v74, 0xff7fffff, v87, s16
	v_cmp_gt_i32_e64 s18, s18, v76
	v_cndmask_b32_e64 v72, 0xff7fffff, v86, s17
	s_delay_alu instid0(VALU_DEP_3) | instskip(NEXT) | instid1(VALU_DEP_3)
	v_max3_f32 v71, v71, v73, v74
	v_cndmask_b32_e64 v75, 0xff7fffff, v85, s18
	v_lshlrev_b32_e32 v73, 2, v136
	s_delay_alu instid0(VALU_DEP_2) | instskip(SKIP_3) | instid1(VALU_DEP_1)
	v_max3_f32 v71, v71, v72, v75
	ds_bpermute_b32 v72, v73, v71
	s_waitcnt lgkmcnt(0)
	v_max_f32_e32 v72, v72, v72
	v_max_f32_e32 v71, v71, v72
	s_delay_alu instid0(VALU_DEP_1) | instskip(SKIP_2) | instid1(VALU_DEP_3)
	v_fma_f32 v72, s19, v127, -v71
	v_fma_f32 v74, s19, v128, -v71
	;; [unrolled: 1-line block ×3, first 2 shown]
	v_mul_f32_e32 v72, 0x3fb8aa3b, v72
	s_delay_alu instid0(VALU_DEP_2) | instskip(NEXT) | instid1(VALU_DEP_2)
	v_dual_mul_f32 v74, 0x3fb8aa3b, v74 :: v_dual_mul_f32 v75, 0x3fb8aa3b, v75
	v_exp_f32_e32 v72, v72
	s_delay_alu instid0(VALU_DEP_1) | instskip(NEXT) | instid1(VALU_DEP_1)
	v_exp_f32_e32 v74, v74
	v_exp_f32_e32 v75, v75
	s_delay_alu instid0(TRANS32_DEP_3)
	v_cndmask_b32_e32 v79, 0, v72, vcc_lo
	s_waitcnt_depctr 0xfff
	v_cndmask_b32_e64 v78, 0, v74, s3
	v_cndmask_b32_e64 v81, 0, v75, s4
	v_cmp_gt_u32_e64 s3, 16, v70
	v_add_f32_e32 v74, 0, v79
	s_delay_alu instid0(VALU_DEP_1) | instskip(NEXT) | instid1(VALU_DEP_1)
	v_add_f32_e32 v74, v74, v78
	v_add_f32_e32 v74, v74, v81
	v_fma_f32 v76, s19, v130, -v71
	v_fma_f32 v77, s19, v131, -v71
	v_fma_f32 v72, s19, v132, -v71
	v_fma_f32 v80, s19, v133, -v71
	v_fma_f32 v75, s19, v134, -v71
	s_delay_alu instid0(VALU_DEP_4) | instskip(NEXT) | instid1(VALU_DEP_4)
	v_dual_mul_f32 v76, 0x3fb8aa3b, v76 :: v_dual_mul_f32 v77, 0x3fb8aa3b, v77
	v_mul_f32_e32 v72, 0x3fb8aa3b, v72
	s_delay_alu instid0(VALU_DEP_4) | instskip(SKIP_1) | instid1(VALU_DEP_4)
	v_mul_f32_e32 v82, 0x3fb8aa3b, v80
	v_fma_f32 v86, s19, v122, -v71
	v_exp_f32_e32 v76, v76
	v_exp_f32_e32 v77, v77
	v_exp_f32_e32 v72, v72
	v_exp_f32_e32 v84, v82
	v_mul_f32_e32 v86, 0x3fb8aa3b, v86
	s_delay_alu instid0(VALU_DEP_1)
	v_exp_f32_e32 v88, v86
	v_cndmask_b32_e64 v80, 0, v76, s5
	v_mul_f32_e32 v75, 0x3fb8aa3b, v75
	v_fma_f32 v76, s19, v119, -v71
	v_cndmask_b32_e64 v83, 0, v77, s6
	v_fma_f32 v77, s19, v120, -v71
	v_add_f32_e32 v74, v74, v80
	v_exp_f32_e32 v75, v75
	v_mul_f32_e32 v76, 0x3fb8aa3b, v76
	v_cndmask_b32_e64 v82, 0, v72, s7
	s_delay_alu instid0(VALU_DEP_3) | instskip(SKIP_1) | instid1(VALU_DEP_4)
	v_dual_mul_f32 v77, 0x3fb8aa3b, v77 :: v_dual_add_f32 v72, v74, v83
	v_fma_f32 v74, s19, v121, -v71
	v_exp_f32_e32 v76, v76
	v_cndmask_b32_e64 v85, 0, v84, s8
	s_delay_alu instid0(VALU_DEP_3) | instskip(SKIP_1) | instid1(TRANS32_DEP_3)
	v_exp_f32_e32 v77, v77
	v_cndmask_b32_e64 v88, 0, v88, s13
	v_cndmask_b32_e64 v84, 0, v75, s9
	v_fma_f32 v75, s19, v123, -v71
	v_add_f32_e32 v72, v72, v82
	s_delay_alu instid0(VALU_DEP_2) | instskip(NEXT) | instid1(VALU_DEP_2)
	v_dual_mul_f32 v74, 0x3fb8aa3b, v74 :: v_dual_mul_f32 v75, 0x3fb8aa3b, v75
	v_add_f32_e32 v72, v72, v85
	s_delay_alu instid0(VALU_DEP_2)
	v_exp_f32_e32 v74, v74
	v_cndmask_b32_e64 v87, 0, v76, s10
	v_fma_f32 v76, s19, v124, -v71
	v_cndmask_b32_e64 v86, 0, v77, s11
	v_add_f32_e32 v72, v72, v84
	v_fma_f32 v77, s19, v125, -v71
	v_exp_f32_e32 v75, v75
	v_mul_f32_e32 v76, 0x3fb8aa3b, v76
	s_delay_alu instid0(VALU_DEP_3) | instskip(NEXT) | instid1(TRANS32_DEP_2)
	v_add_f32_e32 v72, v72, v87
	v_cndmask_b32_e64 v89, 0, v74, s12
	v_mul_f32_e32 v74, 0x3fb8aa3b, v77
	s_delay_alu instid0(VALU_DEP_4) | instskip(SKIP_2) | instid1(VALU_DEP_3)
	v_exp_f32_e32 v76, v76
	v_fma_f32 v77, s19, v126, -v71
	v_add_f32_e32 v72, v72, v86
	v_exp_f32_e32 v74, v74
	s_delay_alu instid0(TRANS32_DEP_3) | instskip(NEXT) | instid1(VALU_DEP_3)
	v_cndmask_b32_e64 v91, 0, v75, s15
	v_mul_f32_e32 v75, 0x3fb8aa3b, v77
	s_delay_alu instid0(VALU_DEP_3) | instskip(NEXT) | instid1(TRANS32_DEP_2)
	v_add_f32_e32 v72, v72, v89
	v_cndmask_b32_e64 v90, 0, v76, s16
	s_delay_alu instid0(VALU_DEP_3) | instskip(NEXT) | instid1(VALU_DEP_2)
	v_exp_f32_e32 v75, v75
	v_add_f32_e32 v72, v72, v88
	s_delay_alu instid0(TRANS32_DEP_2) | instskip(NEXT) | instid1(VALU_DEP_2)
	v_cndmask_b32_e64 v93, 0, v74, s17
	v_add_f32_e32 v72, v72, v91
	s_waitcnt_depctr 0xfff
	v_cndmask_b32_e64 v92, 0, v75, s18
	v_add_f32_e32 v72, v72, v90
	s_delay_alu instid0(VALU_DEP_1) | instskip(NEXT) | instid1(VALU_DEP_1)
	v_add_f32_e32 v72, v72, v93
	v_add_f32_e32 v72, v72, v92
	ds_bpermute_b32 v73, v73, v72
	s_and_saveexec_b32 s4, s3
	s_cbranch_execz .LBB928_12
; %bb.11:
	v_mul_u32_u24_e32 v70, 0x44, v69
	s_waitcnt lgkmcnt(0)
	v_add_f32_e32 v72, v72, v73
	s_delay_alu instid0(VALU_DEP_2) | instskip(NEXT) | instid1(VALU_DEP_1)
	v_lshl_add_u32 v70, v68, 2, v70
	v_add_nc_u32_e32 v70, 0x4000, v70
	ds_store_2addr_b32 v70, v71, v72 offset1:136
.LBB928_12:
	s_or_b32 exec_lo, exec_lo, s4
	v_lshlrev_b32_e32 v70, 2, v68
	s_load_b32 s36, s[0:1], 0x94
	s_waitcnt lgkmcnt(0)
	s_barrier
	buffer_gl0_inv
	v_add_nc_u32_e32 v98, 0x4000, v70
	v_cmp_eq_u32_e32 vcc_lo, 1, v69
	v_cmp_eq_u32_e64 s4, 2, v69
	v_cmp_eq_u32_e64 s5, 3, v69
	;; [unrolled: 1-line block ×3, first 2 shown]
	ds_load_2addr_b32 v[70:71], v98 offset1:17
	ds_load_2addr_b32 v[72:73], v98 offset0:34 offset1:51
	ds_load_2addr_b32 v[74:75], v98 offset0:68 offset1:85
	;; [unrolled: 1-line block ×3, first 2 shown]
	v_cmp_eq_u32_e64 s7, 5, v69
	v_cmp_eq_u32_e64 s8, 7, v69
	s_waitcnt lgkmcnt(3)
	v_max3_f32 v76, v70, 0xff7fffff, v71
	s_waitcnt lgkmcnt(2)
	s_delay_alu instid0(VALU_DEP_1) | instskip(SKIP_1) | instid1(VALU_DEP_1)
	v_max3_f32 v76, v76, v72, v73
	s_waitcnt lgkmcnt(1)
	v_max3_f32 v76, v76, v74, v75
	s_waitcnt lgkmcnt(0)
	s_delay_alu instid0(VALU_DEP_1) | instskip(NEXT) | instid1(VALU_DEP_1)
	v_max3_f32 v76, v76, v94, v95
	v_sub_f32_e32 v77, v71, v76
	ds_load_2addr_b32 v[96:97], v98 offset0:136 offset1:153
	v_sub_f32_e32 v74, v74, v76
	v_sub_f32_e32 v70, v70, v76
	;; [unrolled: 1-line block ×3, first 2 shown]
	v_dual_sub_f32 v72, v72, v76 :: v_dual_mul_f32 v77, 0x3fb8aa3b, v77
	s_delay_alu instid0(VALU_DEP_4) | instskip(NEXT) | instid1(VALU_DEP_4)
	v_mul_f32_e32 v103, 0x3fb8aa3b, v74
	v_mul_f32_e32 v99, 0x3fb8aa3b, v70
	ds_load_2addr_b32 v[70:71], v98 offset0:170 offset1:187
	v_dual_mul_f32 v101, 0x3fb8aa3b, v72 :: v_dual_mul_f32 v94, 0x3fb8aa3b, v94
	v_exp_f32_e32 v102, v77
	v_exp_f32_e32 v99, v99
	s_delay_alu instid0(VALU_DEP_1) | instskip(NEXT) | instid1(VALU_DEP_1)
	v_exp_f32_e32 v101, v101
	v_exp_f32_e32 v94, v94
	s_waitcnt lgkmcnt(1)
	s_delay_alu instid0(TRANS32_DEP_3)
	v_fma_f32 v77, v99, v96, 0
	v_sub_f32_e32 v100, v73, v76
	ds_load_2addr_b32 v[72:73], v98 offset0:204 offset1:221
	v_fmac_f32_e32 v77, v102, v97
	v_exp_f32_e32 v97, v103
	s_waitcnt lgkmcnt(1)
	s_delay_alu instid0(VALU_DEP_1)
	v_dual_fmac_f32 v77, v101, v70 :: v_dual_sub_f32 v96, v75, v76
	ds_load_2addr_b32 v[74:75], v98 offset0:238 offset1:255
	v_sub_f32_e32 v70, v95, v76
	s_waitcnt lgkmcnt(0)
	s_barrier
	v_mul_f32_e32 v96, 0x3fb8aa3b, v96
	buffer_gl0_inv
	v_exp_f32_e32 v95, v96
	v_mul_f32_e32 v100, 0x3fb8aa3b, v100
	s_delay_alu instid0(VALU_DEP_1) | instskip(SKIP_3) | instid1(VALU_DEP_2)
	v_exp_f32_e32 v100, v100
	s_waitcnt_depctr 0xfff
	v_dual_fmac_f32 v77, v100, v71 :: v_dual_mul_f32 v70, 0x3fb8aa3b, v70
	v_cndmask_b32_e32 v71, v99, v102, vcc_lo
	v_fmac_f32_e32 v77, v97, v72
	s_delay_alu instid0(VALU_DEP_3) | instskip(NEXT) | instid1(VALU_DEP_1)
	v_exp_f32_e32 v96, v70
	v_fmac_f32_e32 v77, v95, v73
	s_delay_alu instid0(VALU_DEP_1) | instskip(SKIP_2) | instid1(VALU_DEP_1)
	v_fmac_f32_e32 v77, v94, v74
	s_waitcnt_depctr 0xfff
	v_fmac_f32_e32 v77, v96, v75
	v_add_f32_e32 v74, 0x358637bd, v77
	s_delay_alu instid0(VALU_DEP_1) | instskip(SKIP_1) | instid1(VALU_DEP_2)
	v_div_scale_f32 v98, null, v74, v74, 1.0
	v_div_scale_f32 v99, vcc_lo, 1.0, v74, 1.0
	v_rcp_f32_e32 v103, v98
	s_waitcnt_depctr 0xfff
	v_fma_f32 v70, -v98, v103, 1.0
	s_delay_alu instid0(VALU_DEP_1) | instskip(SKIP_2) | instid1(VALU_DEP_2)
	v_fmac_f32_e32 v103, v70, v103
	v_cndmask_b32_e64 v70, v71, v101, s4
	v_cmp_eq_u32_e64 s4, 6, v69
	v_cndmask_b32_e64 v71, v70, v100, s5
	s_delay_alu instid0(VALU_DEP_4) | instskip(NEXT) | instid1(VALU_DEP_2)
	v_dual_mul_f32 v101, v99, v103 :: v_dual_lshlrev_b32 v70, 2, v66
	v_cndmask_b32_e64 v71, v71, v97, s6
	s_delay_alu instid0(VALU_DEP_2) | instskip(NEXT) | instid1(VALU_DEP_3)
	v_or_b32_e32 v72, 1, v70
	v_fma_f32 v100, -v98, v101, v99
	v_cmp_eq_u32_e64 s5, 1, v70
	v_cmp_eq_u32_e64 s6, 2, v70
	v_cndmask_b32_e64 v95, v71, v95, s7
	v_or_b32_e32 v71, 3, v70
	v_fmac_f32_e32 v101, v100, v103
	v_cmp_eq_u32_e64 s10, 1, v72
	v_cmp_eq_u32_e64 s13, 2, v72
	v_cndmask_b32_e64 v94, v95, v94, s4
	v_cmp_eq_u32_e64 s12, 1, v71
	v_fma_f32 v97, -v98, v101, v99
	v_cmp_eq_u32_e64 s17, 2, v71
	v_cmp_eq_u32_e64 s15, 3, v72
	v_cndmask_b32_e64 v94, v94, v96, s8
	v_cmp_eq_u32_e64 s19, 3, v71
	v_div_fmas_f32 v95, v97, v103, v101
	v_cmp_eq_u32_e32 vcc_lo, 3, v70
	v_cmp_eq_u32_e64 s4, 4, v70
	v_cmp_eq_u32_e64 s20, 4, v72
	;; [unrolled: 1-line block ×3, first 2 shown]
	v_div_fixup_f32 v95, v95, v74, 1.0
	v_lshlrev_b32_e32 v73, 6, v68
	v_cmp_eq_u32_e64 s7, 5, v70
	v_cmp_eq_u32_e64 s21, 5, v72
	;; [unrolled: 1-line block ×3, first 2 shown]
	v_mul_f32_e32 v102, v94, v95
	v_lshl_or_b32 v75, v69, 11, v73
	v_or_b32_e32 v69, 2, v70
	v_cmp_eq_u32_e64 s26, 6, v72
	v_cmp_eq_u32_e64 s28, 6, v71
	v_fma_mixlo_f16 v94, v102, v79, 0
	v_fma_mixlo_f16 v95, v102, v81, 0
	;; [unrolled: 1-line block ×8, first 2 shown]
	v_lshl_or_b32 v74, v66, 4, v75
	v_fma_mixhi_f16 v94, v102, v78, 0
	v_fma_mixhi_f16 v95, v102, v80, 0
	;; [unrolled: 1-line block ×8, first 2 shown]
	ds_store_b128 v74, v[94:97]
	ds_store_b128 v74, v[98:101] offset:1024
	s_waitcnt lgkmcnt(0)
	s_barrier
	buffer_gl0_inv
	ds_load_b128 v[78:81], v75
	ds_load_b128 v[82:85], v75 offset:16
	ds_load_b128 v[86:89], v75 offset:1024
	;; [unrolled: 1-line block ×3, first 2 shown]
	v_cmp_eq_u32_e64 s11, 1, v69
	v_cmp_eq_u32_e64 s16, 2, v69
	;; [unrolled: 1-line block ×11, first 2 shown]
	s_waitcnt lgkmcnt(3)
	v_lshrrev_b32_e32 v94, 16, v78
	s_waitcnt lgkmcnt(2)
	v_lshrrev_b32_e32 v98, 16, v82
	;; [unrolled: 2-line block ×4, first 2 shown]
	v_lshrrev_b32_e32 v95, 16, v79
	v_cndmask_b32_e64 v110, v78, v94, s5
	v_cndmask_b32_e64 v111, v82, v98, s5
	;; [unrolled: 1-line block ×8, first 2 shown]
	v_lshrrev_b32_e32 v99, 16, v83
	v_cndmask_b32_e64 v94, v86, v102, s5
	v_cndmask_b32_e64 v98, v90, v106, s5
	;; [unrolled: 1-line block ×15, first 2 shown]
	v_lshrrev_b32_e32 v103, 16, v87
	v_lshrrev_b32_e32 v107, 16, v91
	v_cndmask_b32_e64 v113, v115, v83, s16
	v_cndmask_b32_e64 v82, v94, v87, s6
	;; [unrolled: 1-line block ×7, first 2 shown]
	v_cndmask_b32_e32 v90, v102, v95, vcc_lo
	v_cndmask_b32_e32 v102, v106, v99, vcc_lo
	v_cndmask_b32_e64 v106, v110, v95, s15
	v_cndmask_b32_e64 v110, v111, v99, s15
	;; [unrolled: 1-line block ×4, first 2 shown]
	v_lshrrev_b32_e32 v96, 16, v80
	v_lshrrev_b32_e32 v100, 16, v84
	v_cndmask_b32_e64 v111, v112, v95, s18
	v_cndmask_b32_e64 v112, v113, v99, s18
	v_cndmask_b32_e32 v82, v82, v103, vcc_lo
	v_cndmask_b32_e32 v83, v83, v107, vcc_lo
	v_cndmask_b32_e64 v94, v94, v103, s15
	v_cndmask_b32_e64 v90, v90, v80, s4
	;; [unrolled: 1-line block ×7, first 2 shown]
	v_lshrrev_b32_e32 v104, 16, v88
	v_cndmask_b32_e64 v106, v111, v80, s22
	v_cndmask_b32_e64 v110, v112, v84, s22
	;; [unrolled: 1-line block ×11, first 2 shown]
	v_lshrrev_b32_e32 v97, 16, v81
	v_lshrrev_b32_e32 v101, 16, v85
	v_cndmask_b32_e64 v99, v106, v96, s24
	v_cndmask_b32_e64 v102, v110, v100, s24
	;; [unrolled: 1-line block ×7, first 2 shown]
	v_lshrrev_b32_e32 v105, 16, v89
	v_cndmask_b32_e64 v80, v80, v104, s7
	v_cndmask_b32_e64 v84, v84, v81, s8
	;; [unrolled: 1-line block ×16, first 2 shown]
	v_perm_b32 v81, v79, v78, 0x5040100
	v_perm_b32 v79, v95, v85, 0x5040100
	v_cndmask_b32_e64 v78, v119, v91, s16
	v_cndmask_b32_e64 v85, v117, v91, s13
	;; [unrolled: 1-line block ×3, first 2 shown]
	v_perm_b32 v80, v94, v90, 0x5040100
	v_cndmask_b32_e64 v90, v98, v103, s18
	v_cndmask_b32_e64 v86, v86, v103, s19
	;; [unrolled: 1-line block ×5, first 2 shown]
	v_lshrrev_b32_e32 v108, 16, v92
	v_cndmask_b32_e64 v90, v90, v88, s22
	v_cndmask_b32_e64 v86, v86, v88, s23
	;; [unrolled: 1-line block ×11, first 2 shown]
	v_lshrrev_b32_e32 v109, 16, v93
	v_cndmask_b32_e64 v82, v82, v93, s8
	v_cndmask_b32_e64 v88, v88, v89, s27
	;; [unrolled: 1-line block ×12, first 2 shown]
	v_perm_b32 v78, v84, v83, 0x5040100
	v_perm_b32 v85, v87, v86, 0x5040100
	v_perm_b32 v84, v89, v88, 0x5040100
	v_perm_b32 v83, v90, v97, 0x5040100
	v_perm_b32 v82, v82, v96, 0x5040100
	s_mul_i32 s9, s35, 3
	s_mov_b32 s4, exec_lo
	ds_store_b128 v74, v[78:81]
	ds_store_b128 v74, v[82:85] offset:1024
	v_cmpx_gt_u32_e32 3, v0
	s_cbranch_execz .LBB928_14
; %bb.13:
	s_mul_i32 s5, s9, s34
	s_load_b128 s[16:19], s[0:1], 0x58
	v_add3_u32 v68, s5, s33, v68
	s_delay_alu instid0(VALU_DEP_1) | instskip(NEXT) | instid1(VALU_DEP_1)
	v_mad_u64_u32 v[78:79], null, v68, s36, s[14:15]
	v_ashrrev_i32_e32 v79, 31, v78
	s_delay_alu instid0(VALU_DEP_1) | instskip(SKIP_1) | instid1(VALU_DEP_1)
	v_lshlrev_b64 v[78:79], 2, v[78:79]
	s_waitcnt lgkmcnt(0)
	v_add_co_u32 v80, vcc_lo, s18, v78
	s_delay_alu instid0(VALU_DEP_2)
	v_add_co_ci_u32_e32 v81, vcc_lo, s19, v79, vcc_lo
	v_add_co_u32 v78, vcc_lo, s16, v78
	v_add_co_ci_u32_e32 v79, vcc_lo, s17, v79, vcc_lo
	global_store_b32 v[80:81], v76, off
	global_store_b32 v[78:79], v77, off
.LBB928_14:
	s_or_b32 exec_lo, exec_lo, s4
	s_waitcnt lgkmcnt(0)
	s_waitcnt_vscnt null, 0x0
	s_barrier
	buffer_gl0_inv
	ds_load_b128 v[84:87], v73
	ds_load_b128 v[88:91], v73 offset:16
	ds_load_b128 v[96:99], v73 offset:2064
	;; [unrolled: 1-line block ×5, first 2 shown]
	v_cmp_eq_u32_e32 vcc_lo, 1, v70
	v_mov_b32_e32 v76, 0
	ds_load_b128 v[112:115], v73 offset:6160
	ds_load_b128 v[108:111], v73 offset:6144
	;; [unrolled: 1-line block ×4, first 2 shown]
	v_cmp_eq_u32_e64 s5, 1, v69
	v_cmp_eq_u32_e64 s4, 1, v72
	;; [unrolled: 1-line block ×3, first 2 shown]
	v_mov_b32_e32 v77, v76
	v_mov_b32_e32 v78, v76
	;; [unrolled: 1-line block ×7, first 2 shown]
	v_cmp_eq_u32_e64 s7, 3, v72
	v_cmp_eq_u32_e64 s8, 7, v72
	s_waitcnt lgkmcnt(8)
	s_delay_alu instid0(VALU_DEP_3)
	v_wmma_f32_16x16x16_f16 v[76:83], v[49:56], v[84:91], v[76:83]
	ds_load_b128 v[53:56], v73 offset:10256
	ds_load_b128 v[49:52], v73 offset:10240
	s_waitcnt lgkmcnt(8)
	v_wmma_f32_16x16x16_f16 v[76:83], v[41:48], v[92:99], v[76:83]
	ds_load_b128 v[45:48], v73 offset:12304
	ds_load_b128 v[41:44], v73 offset:12288
	s_waitcnt lgkmcnt(8)
	;; [unrolled: 4-line block ×3, first 2 shown]
	s_barrier
	buffer_gl0_inv
	v_wmma_f32_16x16x16_f16 v[76:83], v[1:8], v[108:115], v[76:83]
	s_delay_alu instid0(VALU_DEP_1) | instskip(NEXT) | instid1(VALU_DEP_1)
	v_wmma_f32_16x16x16_f16 v[76:83], v[9:16], v[116:123], v[76:83]
	v_wmma_f32_16x16x16_f16 v[76:83], v[17:24], v[49:56], v[76:83]
	s_delay_alu instid0(VALU_DEP_1) | instskip(NEXT) | instid1(VALU_DEP_1)
	v_wmma_f32_16x16x16_f16 v[76:83], v[25:32], v[41:48], v[76:83]
	v_wmma_f32_16x16x16_f16 v[76:83], v[57:64], v[33:40], v[76:83]
	s_delay_alu instid0(VALU_DEP_1) | instskip(NEXT) | instid1(VALU_DEP_2)
	v_cvt_f16_f32_e32 v1, v76
	v_cvt_f16_f32_e32 v2, v77
	s_delay_alu instid0(VALU_DEP_3) | instskip(NEXT) | instid1(VALU_DEP_4)
	v_cvt_f16_f32_e32 v3, v78
	v_cvt_f16_f32_e32 v4, v79
	;; [unrolled: 1-line block ×6, first 2 shown]
	v_pack_b32_f16 v1, v1, v2
	v_pack_b32_f16 v2, v3, v4
	;; [unrolled: 1-line block ×3, first 2 shown]
	s_delay_alu instid0(VALU_DEP_4)
	v_pack_b32_f16 v4, v7, v8
	ds_store_b128 v74, v[1:4]
	s_waitcnt lgkmcnt(0)
	s_barrier
	buffer_gl0_inv
	ds_load_b128 v[1:4], v75
	ds_load_b128 v[5:8], v75 offset:16
	s_waitcnt lgkmcnt(1)
	v_lshrrev_b32_e32 v9, 16, v1
	s_waitcnt lgkmcnt(0)
	v_lshrrev_b32_e32 v13, 16, v5
	v_lshrrev_b32_e32 v10, 16, v2
	;; [unrolled: 1-line block ×4, first 2 shown]
	v_cndmask_b32_e32 v17, v1, v9, vcc_lo
	v_cndmask_b32_e32 v18, v5, v13, vcc_lo
	v_cndmask_b32_e64 v21, v1, v9, s5
	v_cmp_eq_u32_e32 vcc_lo, 1, v71
	v_cndmask_b32_e64 v22, v5, v13, s5
	v_cmp_eq_u32_e64 s5, 2, v70
	v_cndmask_b32_e64 v19, v1, v9, s4
	v_cndmask_b32_e64 v20, v5, v13, s4
	v_cndmask_b32_e32 v1, v1, v9, vcc_lo
	v_cmp_eq_u32_e64 s4, 2, v71
	v_cndmask_b32_e32 v5, v5, v13, vcc_lo
	v_cndmask_b32_e64 v9, v17, v2, s5
	v_cmp_eq_u32_e32 vcc_lo, 3, v70
	v_cndmask_b32_e64 v13, v18, v6, s5
	v_cmp_eq_u32_e64 s5, 2, v69
	v_cndmask_b32_e64 v17, v19, v2, s6
	v_cndmask_b32_e64 v18, v20, v6, s6
	v_cmp_eq_u32_e64 s6, 3, v69
	v_cndmask_b32_e64 v1, v1, v2, s4
	v_cndmask_b32_e64 v19, v21, v2, s5
	v_cndmask_b32_e64 v20, v22, v6, s5
	v_cndmask_b32_e64 v2, v5, v6, s4
	v_cndmask_b32_e32 v5, v9, v10, vcc_lo
	v_cndmask_b32_e32 v6, v13, v14, vcc_lo
	v_cmp_eq_u32_e32 vcc_lo, 3, v71
	v_cndmask_b32_e64 v9, v17, v10, s7
	v_cndmask_b32_e64 v13, v18, v14, s7
	;; [unrolled: 1-line block ×3, first 2 shown]
	v_cmp_eq_u32_e64 s5, 4, v70
	v_cndmask_b32_e32 v1, v1, v10, vcc_lo
	v_cndmask_b32_e32 v2, v2, v14, vcc_lo
	v_cmp_eq_u32_e32 vcc_lo, 4, v72
	v_lshrrev_b32_e32 v15, 16, v7
	v_lshrrev_b32_e32 v16, 16, v8
	v_cndmask_b32_e64 v17, v19, v10, s6
	v_cmp_eq_u32_e64 s4, 4, v71
	v_cndmask_b32_e64 v5, v5, v3, s5
	v_cndmask_b32_e64 v6, v6, v7, s5
	v_cndmask_b32_e32 v9, v9, v3, vcc_lo
	v_cmp_eq_u32_e64 s5, 5, v72
	v_cndmask_b32_e32 v10, v13, v7, vcc_lo
	v_cmp_eq_u32_e32 vcc_lo, 4, v69
	v_cmp_eq_u32_e64 s6, 5, v70
	v_cndmask_b32_e64 v2, v2, v7, s4
	v_cndmask_b32_e64 v9, v9, v11, s5
	;; [unrolled: 1-line block ×3, first 2 shown]
	v_cndmask_b32_e32 v13, v17, v3, vcc_lo
	v_cmp_eq_u32_e64 s5, 5, v69
	v_cndmask_b32_e32 v14, v18, v7, vcc_lo
	v_cndmask_b32_e64 v1, v1, v3, s4
	v_cmp_eq_u32_e32 vcc_lo, 5, v71
	v_lshrrev_b32_e32 v12, 16, v4
	v_cndmask_b32_e64 v13, v13, v11, s5
	v_cndmask_b32_e64 v3, v14, v15, s5
	v_cmp_eq_u32_e64 s5, 6, v71
	v_cndmask_b32_e32 v1, v1, v11, vcc_lo
	v_cndmask_b32_e64 v5, v5, v11, s6
	v_cmp_eq_u32_e64 s7, 6, v70
	v_cndmask_b32_e64 v6, v6, v15, s6
	v_cmp_eq_u32_e64 s6, 6, v72
	v_cmp_eq_u32_e64 s4, 6, v69
	v_cndmask_b32_e64 v1, v1, v4, s5
	v_cndmask_b32_e32 v2, v2, v15, vcc_lo
	v_cmp_eq_u32_e32 vcc_lo, 7, v71
	v_cndmask_b32_e64 v5, v5, v4, s7
	v_cndmask_b32_e64 v9, v9, v4, s6
	;; [unrolled: 1-line block ×3, first 2 shown]
	v_cmp_eq_u32_e64 s7, 7, v70
	v_cndmask_b32_e32 v1, v1, v12, vcc_lo
	v_cndmask_b32_e64 v7, v13, v4, s4
	v_cndmask_b32_e64 v3, v3, v8, s4
	;; [unrolled: 1-line block ×3, first 2 shown]
	v_cmp_eq_u32_e64 s4, 7, v69
	v_cndmask_b32_e64 v4, v10, v8, s6
	v_cndmask_b32_e64 v5, v5, v12, s7
	;; [unrolled: 1-line block ×3, first 2 shown]
	v_cndmask_b32_e32 v2, v2, v16, vcc_lo
	v_cndmask_b32_e64 v7, v7, v12, s4
	v_cndmask_b32_e64 v3, v3, v16, s4
	;; [unrolled: 1-line block ×4, first 2 shown]
	v_cmp_gt_u32_e32 vcc_lo, 32, v0
	v_perm_b32 v4, v2, v1, 0x5040100
	v_perm_b32 v3, v3, v7, 0x5040100
	;; [unrolled: 1-line block ×4, first 2 shown]
	s_and_b32 s2, vcc_lo, s2
	ds_store_b128 v74, v[1:4]
	s_waitcnt lgkmcnt(0)
	s_barrier
	buffer_gl0_inv
	s_and_saveexec_b32 s4, s2
	s_cbranch_execz .LBB928_2
; %bb.15:
	s_load_b64 s[4:5], s[0:1], 0x68
	v_lshlrev_b32_e32 v0, 10, v0
	v_lshlrev_b32_e32 v2, 4, v67
	v_add_nc_u32_e32 v1, s33, v66
	s_lshl_b32 s0, s36, 6
	s_delay_alu instid0(SALU_CYCLE_1) | instskip(NEXT) | instid1(VALU_DEP_2)
	s_mul_i32 s1, s0, s34
	v_and_or_b32 v0, 0x3800, v0, v2
	s_mul_i32 s6, s1, s9
	v_mul_lo_u32 v1, v1, s0
	s_ashr_i32 s7, s6, 31
	s_delay_alu instid0(VALU_DEP_2) | instskip(SKIP_1) | instid1(VALU_DEP_2)
	v_lshl_or_b32 v3, v66, 6, v0
	s_lshl_b64 s[6:7], s[6:7], 1
	v_ashrrev_i32_e32 v2, 31, v1
	ds_load_b128 v[3:6], v3
	s_waitcnt lgkmcnt(0)
	s_add_u32 s1, s4, s6
	s_addc_u32 s2, s5, s7
	s_lshl_b32 s4, s14, 6
	v_lshlrev_b64 v[7:8], 1, v[1:2]
	s_ashr_i32 s5, s4, 31
	s_delay_alu instid0(SALU_CYCLE_1) | instskip(NEXT) | instid1(SALU_CYCLE_1)
	s_lshl_b64 s[4:5], s[4:5], 1
	s_add_u32 s1, s1, s4
	s_addc_u32 s2, s2, s5
	v_add_co_u32 v1, s1, s1, v65
	s_delay_alu instid0(VALU_DEP_1) | instskip(NEXT) | instid1(VALU_DEP_2)
	v_add_co_ci_u32_e64 v2, null, s2, 0, s1
	v_add_co_u32 v7, vcc_lo, v1, v7
	s_delay_alu instid0(VALU_DEP_2)
	v_add_co_ci_u32_e32 v8, vcc_lo, v2, v8, vcc_lo
	global_store_b128 v[7:8], v[3:6], off
	s_and_b32 exec_lo, exec_lo, s3
	s_cbranch_execz .LBB928_2
; %bb.16:
	ds_load_b128 v[3:6], v0 offset:128
	s_add_i32 s1, s33, 2
	s_delay_alu instid0(SALU_CYCLE_1) | instskip(NEXT) | instid1(SALU_CYCLE_1)
	s_mul_i32 s0, s1, s0
	s_ashr_i32 s1, s0, 31
	s_delay_alu instid0(SALU_CYCLE_1) | instskip(NEXT) | instid1(SALU_CYCLE_1)
	s_lshl_b64 s[0:1], s[0:1], 1
	v_add_co_u32 v0, vcc_lo, v1, s0
	v_add_co_ci_u32_e32 v1, vcc_lo, s1, v2, vcc_lo
	s_waitcnt lgkmcnt(0)
	global_store_b128 v[0:1], v[3:6], off
	s_nop 0
	s_sendmsg sendmsg(MSG_DEALLOC_VGPRS)
	s_endpgm
	.section	.rodata,"a",@progbits
	.p2align	6, 0x0
	.amdhsa_kernel _Z39paged_attention_ll4mi_QKV_mfma16_kernelIDF16_hLN4vllm18Fp8KVCacheDataTypeE1EDF16_Li32ELi64ELi256ELb0ELi3EL8MFMAType1EEvPKT_PKT0_S8_ifPKiSA_SA_iPKfiiiPfSD_PS3_PT2_iSC_SC_
		.amdhsa_group_segment_fixed_size 17472
		.amdhsa_private_segment_fixed_size 0
		.amdhsa_kernarg_size 400
		.amdhsa_user_sgpr_count 13
		.amdhsa_user_sgpr_dispatch_ptr 0
		.amdhsa_user_sgpr_queue_ptr 0
		.amdhsa_user_sgpr_kernarg_segment_ptr 1
		.amdhsa_user_sgpr_dispatch_id 0
		.amdhsa_user_sgpr_private_segment_size 0
		.amdhsa_wavefront_size32 1
		.amdhsa_uses_dynamic_stack 0
		.amdhsa_enable_private_segment 0
		.amdhsa_system_sgpr_workgroup_id_x 1
		.amdhsa_system_sgpr_workgroup_id_y 1
		.amdhsa_system_sgpr_workgroup_id_z 1
		.amdhsa_system_sgpr_workgroup_info 0
		.amdhsa_system_vgpr_workitem_id 0
		.amdhsa_next_free_vgpr 146
		.amdhsa_next_free_sgpr 37
		.amdhsa_reserve_vcc 1
		.amdhsa_float_round_mode_32 0
		.amdhsa_float_round_mode_16_64 0
		.amdhsa_float_denorm_mode_32 3
		.amdhsa_float_denorm_mode_16_64 3
		.amdhsa_dx10_clamp 1
		.amdhsa_ieee_mode 1
		.amdhsa_fp16_overflow 0
		.amdhsa_workgroup_processor_mode 1
		.amdhsa_memory_ordered 1
		.amdhsa_forward_progress 0
		.amdhsa_shared_vgpr_count 0
		.amdhsa_exception_fp_ieee_invalid_op 0
		.amdhsa_exception_fp_denorm_src 0
		.amdhsa_exception_fp_ieee_div_zero 0
		.amdhsa_exception_fp_ieee_overflow 0
		.amdhsa_exception_fp_ieee_underflow 0
		.amdhsa_exception_fp_ieee_inexact 0
		.amdhsa_exception_int_div_zero 0
	.end_amdhsa_kernel
	.section	.text._Z39paged_attention_ll4mi_QKV_mfma16_kernelIDF16_hLN4vllm18Fp8KVCacheDataTypeE1EDF16_Li32ELi64ELi256ELb0ELi3EL8MFMAType1EEvPKT_PKT0_S8_ifPKiSA_SA_iPKfiiiPfSD_PS3_PT2_iSC_SC_,"axG",@progbits,_Z39paged_attention_ll4mi_QKV_mfma16_kernelIDF16_hLN4vllm18Fp8KVCacheDataTypeE1EDF16_Li32ELi64ELi256ELb0ELi3EL8MFMAType1EEvPKT_PKT0_S8_ifPKiSA_SA_iPKfiiiPfSD_PS3_PT2_iSC_SC_,comdat
.Lfunc_end928:
	.size	_Z39paged_attention_ll4mi_QKV_mfma16_kernelIDF16_hLN4vllm18Fp8KVCacheDataTypeE1EDF16_Li32ELi64ELi256ELb0ELi3EL8MFMAType1EEvPKT_PKT0_S8_ifPKiSA_SA_iPKfiiiPfSD_PS3_PT2_iSC_SC_, .Lfunc_end928-_Z39paged_attention_ll4mi_QKV_mfma16_kernelIDF16_hLN4vllm18Fp8KVCacheDataTypeE1EDF16_Li32ELi64ELi256ELb0ELi3EL8MFMAType1EEvPKT_PKT0_S8_ifPKiSA_SA_iPKfiiiPfSD_PS3_PT2_iSC_SC_
                                        ; -- End function
	.section	.AMDGPU.csdata,"",@progbits
; Kernel info:
; codeLenInByte = 6420
; NumSgprs: 39
; NumVgprs: 146
; ScratchSize: 0
; MemoryBound: 0
; FloatMode: 240
; IeeeMode: 1
; LDSByteSize: 17472 bytes/workgroup (compile time only)
; SGPRBlocks: 4
; VGPRBlocks: 18
; NumSGPRsForWavesPerEU: 39
; NumVGPRsForWavesPerEU: 146
; Occupancy: 9
; WaveLimiterHint : 1
; COMPUTE_PGM_RSRC2:SCRATCH_EN: 0
; COMPUTE_PGM_RSRC2:USER_SGPR: 13
; COMPUTE_PGM_RSRC2:TRAP_HANDLER: 0
; COMPUTE_PGM_RSRC2:TGID_X_EN: 1
; COMPUTE_PGM_RSRC2:TGID_Y_EN: 1
; COMPUTE_PGM_RSRC2:TGID_Z_EN: 1
; COMPUTE_PGM_RSRC2:TIDIG_COMP_CNT: 0
	.section	.text._Z39paged_attention_ll4mi_QKV_mfma16_kernelIDF16_hLN4vllm18Fp8KVCacheDataTypeE1EDF16_Li32ELi64ELi256ELb0ELi4EL8MFMAType1EEvPKT_PKT0_S8_ifPKiSA_SA_iPKfiiiPfSD_PS3_PT2_iSC_SC_,"axG",@progbits,_Z39paged_attention_ll4mi_QKV_mfma16_kernelIDF16_hLN4vllm18Fp8KVCacheDataTypeE1EDF16_Li32ELi64ELi256ELb0ELi4EL8MFMAType1EEvPKT_PKT0_S8_ifPKiSA_SA_iPKfiiiPfSD_PS3_PT2_iSC_SC_,comdat
	.protected	_Z39paged_attention_ll4mi_QKV_mfma16_kernelIDF16_hLN4vllm18Fp8KVCacheDataTypeE1EDF16_Li32ELi64ELi256ELb0ELi4EL8MFMAType1EEvPKT_PKT0_S8_ifPKiSA_SA_iPKfiiiPfSD_PS3_PT2_iSC_SC_ ; -- Begin function _Z39paged_attention_ll4mi_QKV_mfma16_kernelIDF16_hLN4vllm18Fp8KVCacheDataTypeE1EDF16_Li32ELi64ELi256ELb0ELi4EL8MFMAType1EEvPKT_PKT0_S8_ifPKiSA_SA_iPKfiiiPfSD_PS3_PT2_iSC_SC_
	.globl	_Z39paged_attention_ll4mi_QKV_mfma16_kernelIDF16_hLN4vllm18Fp8KVCacheDataTypeE1EDF16_Li32ELi64ELi256ELb0ELi4EL8MFMAType1EEvPKT_PKT0_S8_ifPKiSA_SA_iPKfiiiPfSD_PS3_PT2_iSC_SC_
	.p2align	8
	.type	_Z39paged_attention_ll4mi_QKV_mfma16_kernelIDF16_hLN4vllm18Fp8KVCacheDataTypeE1EDF16_Li32ELi64ELi256ELb0ELi4EL8MFMAType1EEvPKT_PKT0_S8_ifPKiSA_SA_iPKfiiiPfSD_PS3_PT2_iSC_SC_,@function
_Z39paged_attention_ll4mi_QKV_mfma16_kernelIDF16_hLN4vllm18Fp8KVCacheDataTypeE1EDF16_Li32ELi64ELi256ELb0ELi4EL8MFMAType1EEvPKT_PKT0_S8_ifPKiSA_SA_iPKfiiiPfSD_PS3_PT2_iSC_SC_: ; @_Z39paged_attention_ll4mi_QKV_mfma16_kernelIDF16_hLN4vllm18Fp8KVCacheDataTypeE1EDF16_Li32ELi64ELi256ELb0ELi4EL8MFMAType1EEvPKT_PKT0_S8_ifPKiSA_SA_iPKfiiiPfSD_PS3_PT2_iSC_SC_
; %bb.0:
	s_load_b64 s[2:3], s[0:1], 0x30
	s_mov_b32 s34, s13
	s_waitcnt lgkmcnt(0)
	s_cmp_lg_u64 s[2:3], 0
	s_cselect_b32 s8, -1, 0
	s_ashr_i32 s35, s13, 31
	s_cmp_eq_u64 s[2:3], 0
	s_cbranch_scc1 .LBB929_3
; %bb.1:
	s_lshl_b64 s[4:5], s[34:35], 2
	s_delay_alu instid0(SALU_CYCLE_1) | instskip(SKIP_4) | instid1(SALU_CYCLE_1)
	s_add_u32 s4, s2, s4
	s_addc_u32 s5, s3, s5
	s_load_b64 s[4:5], s[4:5], 0x0
	s_waitcnt lgkmcnt(0)
	s_sub_i32 s4, s5, s4
	s_cmp_eq_u32 s4, 1
	s_cselect_b32 s4, -1, 0
	s_delay_alu instid0(SALU_CYCLE_1)
	s_and_not1_b32 vcc_lo, exec_lo, s4
	s_cbranch_vccz .LBB929_4
.LBB929_2:
	s_endpgm
.LBB929_3:
.LBB929_4:
	s_load_b64 s[4:5], s[0:1], 0x28
	s_lshl_b64 s[6:7], s[34:35], 2
	s_waitcnt lgkmcnt(0)
	s_add_u32 s4, s4, s6
	s_addc_u32 s5, s5, s7
	s_lshl_b32 s12, s14, 8
	s_load_b32 s24, s[4:5], 0x0
	s_waitcnt lgkmcnt(0)
	s_cmp_ge_i32 s12, s24
	s_cbranch_scc1 .LBB929_2
; %bb.5:
	s_clause 0x1
	s_load_b128 s[20:23], s[0:1], 0x8
	s_load_b64 s[4:5], s[0:1], 0x20
	s_and_not1_b32 vcc_lo, exec_lo, s8
	s_cbranch_vccnz .LBB929_7
; %bb.6:
	s_add_u32 s2, s2, s6
	s_addc_u32 s3, s3, s7
	s_load_b32 s3, s[2:3], 0x0
	s_branch .LBB929_8
.LBB929_7:
	s_mov_b32 s3, s34
.LBB929_8:
	s_load_b128 s[16:19], s[0:1], 0x48
	v_and_b32_e32 v69, 15, v0
	v_cmp_gt_u32_e32 vcc_lo, 64, v0
	v_lshrrev_b32_e32 v68, 5, v0
	v_and_b32_e32 v70, 31, v0
	v_and_b32_e32 v66, 1, v0
	v_lshlrev_b32_e32 v1, 3, v69
	v_cmp_gt_u32_e64 s2, 8, v69
	v_bfe_u32 v67, v0, 4, 1
	s_lshl_b32 s31, s15, 2
	s_delay_alu instid0(VALU_DEP_3) | instskip(NEXT) | instid1(VALU_DEP_3)
	v_lshlrev_b32_e32 v65, 1, v1
	s_and_b32 s7, vcc_lo, s2
	s_delay_alu instid0(SALU_CYCLE_1)
	s_and_saveexec_b32 s6, s7
	s_cbranch_execz .LBB929_10
; %bb.9:
	v_lshl_or_b32 v5, v68, 1, v67
	s_load_b64 s[8:9], s[0:1], 0x0
	s_waitcnt lgkmcnt(0)
	s_mul_hi_i32 s11, s3, s16
	s_mul_i32 s10, s3, s16
	v_lshlrev_b32_e32 v6, 10, v69
	v_or_b32_e32 v1, s31, v5
	s_lshl_b64 s[10:11], s[10:11], 1
	v_lshlrev_b32_e32 v5, 6, v5
	v_lshlrev_b32_e32 v7, 10, v66
	v_and_b32_e32 v6, 0x3800, v6
	v_lshlrev_b32_e32 v1, 6, v1
	s_delay_alu instid0(VALU_DEP_2) | instskip(NEXT) | instid1(VALU_DEP_2)
	v_or3_b32 v5, v6, v7, v5
	v_ashrrev_i32_e32 v2, 31, v1
	s_delay_alu instid0(VALU_DEP_1) | instskip(SKIP_2) | instid1(VALU_DEP_1)
	v_lshlrev_b64 v[1:2], 1, v[1:2]
	s_add_u32 s3, s8, s10
	s_addc_u32 s7, s9, s11
	v_add_co_u32 v1, vcc_lo, s3, v1
	s_delay_alu instid0(VALU_DEP_2) | instskip(NEXT) | instid1(VALU_DEP_2)
	v_add_co_ci_u32_e32 v2, vcc_lo, s7, v2, vcc_lo
	v_add_co_u32 v1, vcc_lo, v1, v65
	s_delay_alu instid0(VALU_DEP_2)
	v_add_co_ci_u32_e32 v2, vcc_lo, 0, v2, vcc_lo
	global_load_b128 v[1:4], v[1:2], off
	s_waitcnt vmcnt(0)
	ds_store_b128 v5, v[1:4]
.LBB929_10:
	s_or_b32 exec_lo, exec_lo, s6
	v_and_b32_e32 v1, 0xef, v0
	s_waitcnt lgkmcnt(0)
	s_add_i32 s3, s24, 31
	s_clause 0x1
	s_load_b32 s6, s[0:1], 0x38
	s_load_b32 s33, s[0:1], 0x98
	s_ashr_i32 s7, s3, 31
	v_add_nc_u32_e32 v1, s12, v1
	s_lshr_b32 s7, s7, 27
	s_load_b32 s19, s[0:1], 0x1c
	s_add_i32 s3, s3, s7
	s_waitcnt lgkmcnt(0)
	v_ashrrev_i32_e32 v2, 31, v1
	v_or_b32_e32 v3, 16, v1
	s_ashr_i32 s3, s3, 5
	v_cmp_gt_i32_e32 vcc_lo, s24, v1
	s_add_i32 s3, s3, -1
	v_lshrrev_b32_e32 v2, 27, v2
	s_barrier
	buffer_gl0_inv
	s_mul_i32 s27, s15, s18
	v_add_nc_u32_e32 v4, v1, v2
	s_mul_i32 s6, s34, s6
	s_delay_alu instid0(SALU_CYCLE_1) | instskip(NEXT) | instid1(VALU_DEP_1)
	s_ashr_i32 s7, s6, 31
	v_ashrrev_i32_e32 v4, 5, v4
	v_add_nc_u32_e32 v2, v3, v2
	s_lshl_b64 s[6:7], s[6:7], 2
	s_delay_alu instid0(SALU_CYCLE_1) | instskip(NEXT) | instid1(VALU_DEP_2)
	s_add_u32 s26, s4, s6
	v_cndmask_b32_e32 v1, s3, v4, vcc_lo
	s_delay_alu instid0(VALU_DEP_2)
	v_ashrrev_i32_e32 v2, 5, v2
	v_cmp_gt_i32_e32 vcc_lo, s24, v3
	s_addc_u32 s25, s5, s7
	s_ashr_i32 s28, s27, 31
	s_add_u32 s4, s20, s27
	s_addc_u32 s5, s21, s28
	v_cndmask_b32_e32 v3, s3, v2, vcc_lo
	v_ashrrev_i32_e32 v2, 31, v1
	s_lshl_b32 s6, s14, 3
	s_delay_alu instid0(SALU_CYCLE_1) | instskip(NEXT) | instid1(VALU_DEP_2)
	s_ashr_i32 s7, s6, 31
	v_ashrrev_i32_e32 v4, 31, v3
	s_delay_alu instid0(VALU_DEP_2) | instskip(SKIP_1) | instid1(SALU_CYCLE_1)
	v_lshlrev_b64 v[1:2], 2, v[1:2]
	s_lshl_b64 s[6:7], s[6:7], 2
	s_add_u32 s6, s26, s6
	s_delay_alu instid0(VALU_DEP_2) | instskip(SKIP_1) | instid1(VALU_DEP_2)
	v_lshlrev_b64 v[3:4], 2, v[3:4]
	s_addc_u32 s7, s25, s7
	v_add_co_u32 v1, vcc_lo, s26, v1
	v_add_co_ci_u32_e32 v2, vcc_lo, s25, v2, vcc_lo
	s_delay_alu instid0(VALU_DEP_3) | instskip(NEXT) | instid1(VALU_DEP_4)
	v_add_co_u32 v3, vcc_lo, s26, v3
	v_add_co_ci_u32_e32 v4, vcc_lo, s25, v4, vcc_lo
	s_clause 0x1
	global_load_b32 v5, v[1:2], off
	global_load_b32 v6, v[3:4], off
	s_or_b32 s8, s12, 32
	s_delay_alu instid0(SALU_CYCLE_1) | instskip(SKIP_2) | instid1(SALU_CYCLE_1)
	s_ashr_i32 s9, s8, 5
	s_cmp_lt_i32 s8, s24
	s_cselect_b32 s8, s9, s3
	s_ashr_i32 s9, s8, 31
	s_delay_alu instid0(SALU_CYCLE_1) | instskip(NEXT) | instid1(SALU_CYCLE_1)
	s_lshl_b64 s[8:9], s[8:9], 2
	s_add_u32 s8, s26, s8
	s_addc_u32 s9, s25, s9
	s_or_b32 s10, s12, 64
	s_delay_alu instid0(SALU_CYCLE_1) | instskip(SKIP_2) | instid1(SALU_CYCLE_1)
	s_ashr_i32 s11, s10, 5
	s_cmp_lt_i32 s10, s24
	s_cselect_b32 s10, s11, s3
	s_ashr_i32 s11, s10, 31
	s_delay_alu instid0(SALU_CYCLE_1) | instskip(NEXT) | instid1(SALU_CYCLE_1)
	s_lshl_b64 s[10:11], s[10:11], 2
	s_add_u32 s10, s26, s10
	s_addc_u32 s11, s25, s11
	;; [unrolled: 10-line block ×5, first 2 shown]
	s_clause 0x5
	s_load_b32 s21, s[6:7], 0x0
	s_load_b32 s13, s[8:9], 0x0
	;; [unrolled: 1-line block ×6, first 2 shown]
	s_or_b32 s7, s12, 0xc0
	s_delay_alu instid0(SALU_CYCLE_1) | instskip(SKIP_2) | instid1(SALU_CYCLE_1)
	s_ashr_i32 s8, s7, 5
	s_cmp_lt_i32 s7, s24
	s_cselect_b32 s10, s8, s3
	s_ashr_i32 s11, s10, 31
	s_delay_alu instid0(SALU_CYCLE_1) | instskip(NEXT) | instid1(SALU_CYCLE_1)
	s_lshl_b64 s[36:37], s[10:11], 2
	s_add_u32 s36, s26, s36
	s_addc_u32 s37, s25, s37
	s_or_b32 s29, s12, 0xe0
	s_delay_alu instid0(SALU_CYCLE_1)
	s_ashr_i32 s30, s29, 5
	s_cmp_lt_i32 s29, s24
	s_waitcnt vmcnt(1)
	v_mad_i64_i32 v[1:2], null, v5, s17, s[4:5]
	s_waitcnt vmcnt(0)
	v_mad_i64_i32 v[3:4], null, v6, s17, s[4:5]
	s_mov_b32 s4, 0
	s_delay_alu instid0(SALU_CYCLE_1)
	s_mov_b32 s5, s4
	s_mov_b32 s6, s4
	;; [unrolled: 1-line block ×7, first 2 shown]
	s_delay_alu instid0(SALU_CYCLE_1) | instskip(SKIP_2) | instid1(VALU_DEP_3)
	v_dual_mov_b32 v102, s11 :: v_dual_lshlrev_b32 v5, 4, v69
	v_dual_mov_b32 v98, s7 :: v_dual_mov_b32 v101, s10
	v_mov_b32_e32 v100, s9
	v_add_co_u32 v1, vcc_lo, v1, v5
	v_add_co_ci_u32_e32 v2, vcc_lo, 0, v2, vcc_lo
	v_add_co_u32 v3, vcc_lo, v3, v5
	v_add_co_ci_u32_e32 v4, vcc_lo, 0, v4, vcc_lo
	s_clause 0x7
	global_load_b128 v[57:60], v[1:2], off
	global_load_b128 v[61:64], v[1:2], off offset:512
	global_load_b128 v[71:74], v[3:4], off offset:256
	;; [unrolled: 1-line block ×7, first 2 shown]
	v_dual_mov_b32 v96, s5 :: v_dual_and_b32 v1, 3, v0
	v_mov_b32_e32 v99, s8
	v_mov_b32_e32 v97, s6
	;; [unrolled: 1-line block ×3, first 2 shown]
	s_cselect_b32 s4, s30, s3
	v_lshlrev_b32_e32 v2, 5, v69
	s_ashr_i32 s5, s4, 31
	v_lshlrev_b32_e32 v121, 6, v1
	s_lshl_b64 s[4:5], s[4:5], 2
	s_load_b32 s3, s[36:37], 0x0
	s_add_u32 s4, s26, s4
	s_addc_u32 s5, s25, s5
	v_lshl_or_b32 v1, v68, 9, v2
	ds_load_b128 v[103:106], v121
	ds_load_b128 v[107:110], v121 offset:1024
	s_load_b32 s4, s[4:5], 0x0
	s_add_u32 s6, s22, s27
	s_addc_u32 s7, s23, s28
	v_add_co_u32 v17, s6, s6, v1
	s_delay_alu instid0(VALU_DEP_1) | instskip(SKIP_1) | instid1(VALU_DEP_1)
	v_add_co_ci_u32_e64 v18, null, s7, 0, s6
	s_waitcnt lgkmcnt(0)
	v_mad_i64_i32 v[1:2], null, s21, s17, v[17:18]
	v_mad_i64_i32 v[3:4], null, s13, s17, v[17:18]
	;; [unrolled: 1-line block ×7, first 2 shown]
	s_clause 0x9
	global_load_b128 v[49:52], v[1:2], off
	global_load_b128 v[53:56], v[1:2], off offset:16
	global_load_b128 v[41:44], v[3:4], off
	global_load_b128 v[45:48], v[3:4], off offset:16
	;; [unrolled: 2-line block ×5, first 2 shown]
	v_mad_i64_i32 v[119:120], null, s4, s17, v[17:18]
	s_clause 0x3
	global_load_b128 v[17:20], v[21:22], off
	global_load_b128 v[21:24], v[21:22], off offset:16
	global_load_b128 v[25:28], v[29:30], off
	global_load_b128 v[29:32], v[29:30], off offset:16
	s_waitcnt vmcnt(20)
	v_wmma_f32_16x16x16_f16 v[111:118], v[57:64], v[103:110], v[95:102]
	s_clause 0x1
	global_load_b128 v[57:60], v[119:120], off
	global_load_b128 v[61:64], v[119:120], off offset:16
	s_waitcnt vmcnt(20)
	v_wmma_f32_16x16x16_f16 v[95:102], v[71:78], v[103:110], v[95:102]
	ds_load_b128 v[71:74], v121 offset:2048
	ds_load_b128 v[75:78], v121 offset:3072
	v_mbcnt_lo_u32_b32 v104, -1, 0
	s_waitcnt vmcnt(0) lgkmcnt(0)
	s_barrier
	buffer_gl0_inv
	v_xor_b32_e32 v105, 16, v104
	s_delay_alu instid0(VALU_DEP_1) | instskip(SKIP_4) | instid1(VALU_DEP_2)
	v_cmp_gt_i32_e32 vcc_lo, 32, v105
	v_cndmask_b32_e32 v104, v104, v105, vcc_lo
	v_wmma_f32_16x16x16_f16 v[111:118], v[79:86], v[71:78], v[111:118]
	v_and_b32_e32 v103, 0xe0, v0
	v_wmma_f32_16x16x16_f16 v[95:102], v[87:94], v[71:78], v[95:102]
	v_dual_mul_f32 v78, s19, v113 :: v_dual_add_nc_u32 v103, s12, v103
	s_delay_alu instid0(VALU_DEP_2) | instskip(SKIP_1) | instid1(VALU_DEP_3)
	v_dual_mul_f32 v90, s19, v101 :: v_dual_mul_f32 v87, s19, v112
	v_dual_mul_f32 v88, s19, v111 :: v_dual_mul_f32 v77, s19, v114
	v_or_b32_e32 v103, v103, v67
	v_dual_mul_f32 v75, s19, v116 :: v_dual_mul_f32 v94, s19, v97
	v_dual_mul_f32 v76, s19, v115 :: v_dual_mul_f32 v73, s19, v118
	v_mul_f32_e32 v92, s19, v99
	s_delay_alu instid0(VALU_DEP_4)
	v_or_b32_e32 v105, 2, v103
	v_or_b32_e32 v106, 4, v103
	;; [unrolled: 1-line block ×3, first 2 shown]
	v_cmp_gt_i32_e64 s3, s24, v103
	v_or_b32_e32 v108, 8, v103
	v_cmp_gt_i32_e32 vcc_lo, s24, v105
	v_or_b32_e32 v109, 10, v103
	v_cmp_gt_i32_e64 s4, s24, v106
	v_cndmask_b32_e64 v88, 0xff7fffff, v88, s3
	v_cmp_gt_i32_e64 s5, s24, v107
	v_cndmask_b32_e32 v87, 0xff7fffff, v87, vcc_lo
	v_or_b32_e32 v79, 12, v103
	v_or_b32_e32 v80, 14, v103
	v_cndmask_b32_e64 v78, 0xff7fffff, v78, s4
	v_cndmask_b32_e64 v77, 0xff7fffff, v77, s5
	v_max3_f32 v87, v88, 0xff7fffff, v87
	v_cmp_gt_i32_e64 s6, s24, v108
	v_cmp_gt_i32_e64 s7, s24, v109
	v_or_b32_e32 v81, 16, v103
	v_or_b32_e32 v82, 18, v103
	v_mul_f32_e32 v74, s19, v117
	v_cndmask_b32_e64 v76, 0xff7fffff, v76, s6
	v_cndmask_b32_e64 v75, 0xff7fffff, v75, s7
	v_max3_f32 v77, v87, v78, v77
	v_cmp_gt_i32_e64 s8, s24, v79
	v_cmp_gt_i32_e64 s9, s24, v80
	v_or_b32_e32 v83, 20, v103
	v_or_b32_e32 v84, 22, v103
	;; [unrolled: 1-line block ×6, first 2 shown]
	v_mul_f32_e32 v105, s19, v96
	v_mul_f32_e32 v103, s19, v95
	v_cndmask_b32_e64 v74, 0xff7fffff, v74, s8
	v_cndmask_b32_e64 v73, 0xff7fffff, v73, s9
	v_max3_f32 v75, v77, v76, v75
	v_cmp_gt_i32_e64 s10, s24, v81
	v_cmp_gt_i32_e64 s11, s24, v82
	v_mul_f32_e32 v93, s19, v98
	v_cmp_gt_i32_e64 s12, s24, v83
	v_max3_f32 v73, v75, v74, v73
	v_cndmask_b32_e64 v76, 0xff7fffff, v103, s10
	v_cndmask_b32_e64 v77, 0xff7fffff, v105, s11
	v_cmp_gt_i32_e64 s13, s24, v84
	v_mul_f32_e32 v91, s19, v100
	v_cndmask_b32_e64 v74, 0xff7fffff, v94, s12
	v_cmp_gt_i32_e64 s15, s24, v85
	v_max3_f32 v73, v73, v76, v77
	v_cndmask_b32_e64 v75, 0xff7fffff, v93, s13
	v_cmp_gt_i32_e64 s16, s24, v86
	v_mul_f32_e32 v89, s19, v102
	v_cndmask_b32_e64 v76, 0xff7fffff, v92, s15
	v_cmp_gt_i32_e64 s17, s24, v71
	v_max3_f32 v73, v73, v74, v75
	v_cndmask_b32_e64 v77, 0xff7fffff, v91, s16
	v_cmp_gt_i32_e64 s18, s24, v72
	v_lshlrev_b32_e32 v74, 2, v104
	v_cndmask_b32_e64 v71, 0xff7fffff, v90, s17
	s_delay_alu instid0(VALU_DEP_4) | instskip(NEXT) | instid1(VALU_DEP_4)
	v_max3_f32 v73, v73, v76, v77
	v_cndmask_b32_e64 v72, 0xff7fffff, v89, s18
	s_delay_alu instid0(VALU_DEP_1) | instskip(SKIP_3) | instid1(VALU_DEP_1)
	v_max3_f32 v71, v73, v71, v72
	ds_bpermute_b32 v72, v74, v71
	s_waitcnt lgkmcnt(0)
	v_max_f32_e32 v72, v72, v72
	v_max_f32_e32 v71, v71, v72
	s_delay_alu instid0(VALU_DEP_1)
	v_fma_f32 v72, s19, v111, -v71
	v_fma_f32 v76, s19, v114, -v71
	;; [unrolled: 1-line block ×5, first 2 shown]
	v_mul_f32_e32 v72, 0x3fb8aa3b, v72
	v_mul_f32_e32 v76, 0x3fb8aa3b, v76
	v_fma_f32 v75, s19, v113, -v71
	v_mul_f32_e32 v79, 0x3fb8aa3b, v77
	v_mul_f32_e32 v85, 0x3fb8aa3b, v84
	v_exp_f32_e32 v72, v72
	v_exp_f32_e32 v76, v76
	v_fma_f32 v86, s19, v98, -v71
	v_exp_f32_e32 v82, v79
	v_exp_f32_e32 v85, v85
	v_fma_f32 v81, s19, v117, -v71
	s_delay_alu instid0(VALU_DEP_2) | instskip(SKIP_3) | instid1(TRANS32_DEP_3)
	v_mul_f32_e32 v87, 0x3fb8aa3b, v86
	v_cndmask_b32_e64 v78, 0, v72, s3
	v_fma_f32 v72, s19, v116, -v71
	v_mul_f32_e32 v73, 0x3fb8aa3b, v73
	v_cndmask_b32_e64 v79, 0, v76, s5
	v_fma_f32 v76, s19, v95, -v71
	s_delay_alu instid0(VALU_DEP_4) | instskip(NEXT) | instid1(VALU_DEP_4)
	v_dual_mul_f32 v75, 0x3fb8aa3b, v75 :: v_dual_mul_f32 v72, 0x3fb8aa3b, v72
	v_exp_f32_e32 v73, v73
	v_exp_f32_e32 v87, v87
	s_delay_alu instid0(VALU_DEP_2) | instskip(NEXT) | instid1(VALU_DEP_2)
	v_mul_f32_e32 v76, 0x3fb8aa3b, v76
	v_exp_f32_e32 v75, v75
	v_cndmask_b32_e64 v85, 0, v85, s11
	v_mul_f32_e32 v81, 0x3fb8aa3b, v81
	v_exp_f32_e32 v72, v72
	v_cndmask_b32_e64 v82, 0, v82, s6
	v_exp_f32_e32 v76, v76
	s_mov_b32 s3, exec_lo
	v_cndmask_b32_e32 v77, 0, v73, vcc_lo
	v_add_f32_e32 v73, 0, v78
	v_cndmask_b32_e64 v87, 0, v87, s13
	v_cndmask_b32_e64 v80, 0, v75, s4
	v_fma_f32 v75, s19, v118, -v71
	v_exp_f32_e32 v83, v81
	v_add_f32_e32 v73, v73, v77
	v_cndmask_b32_e64 v81, 0, v72, s7
	v_cndmask_b32_e64 v86, 0, v76, s10
	v_mul_f32_e32 v75, 0x3fb8aa3b, v75
	s_delay_alu instid0(VALU_DEP_4) | instskip(NEXT) | instid1(VALU_DEP_2)
	v_add_f32_e32 v73, v73, v80
	v_exp_f32_e32 v75, v75
	s_delay_alu instid0(TRANS32_DEP_2) | instskip(NEXT) | instid1(VALU_DEP_2)
	v_cndmask_b32_e64 v84, 0, v83, s8
	v_add_f32_e32 v73, v73, v79
	s_delay_alu instid0(VALU_DEP_1) | instskip(SKIP_3) | instid1(VALU_DEP_1)
	v_add_f32_e32 v72, v73, v82
	s_waitcnt_depctr 0xfff
	v_cndmask_b32_e64 v83, 0, v75, s9
	v_add_f32_e32 v72, v72, v81
	v_add_f32_e32 v72, v72, v84
	s_delay_alu instid0(VALU_DEP_1) | instskip(NEXT) | instid1(VALU_DEP_1)
	v_add_f32_e32 v72, v72, v83
	v_add_f32_e32 v72, v72, v86
	v_fma_f32 v73, s19, v97, -v71
	v_fma_f32 v75, s19, v99, -v71
	v_fma_f32 v76, s19, v100, -v71
	v_fma_f32 v89, s19, v101, -v71
	v_add_f32_e32 v72, v72, v85
	v_mul_f32_e32 v73, 0x3fb8aa3b, v73
	s_delay_alu instid0(VALU_DEP_4) | instskip(NEXT) | instid1(VALU_DEP_2)
	v_dual_mul_f32 v75, 0x3fb8aa3b, v75 :: v_dual_mul_f32 v76, 0x3fb8aa3b, v76
	v_exp_f32_e32 v73, v73
	s_delay_alu instid0(VALU_DEP_1) | instskip(NEXT) | instid1(VALU_DEP_1)
	v_exp_f32_e32 v75, v75
	v_exp_f32_e32 v76, v76
	s_delay_alu instid0(TRANS32_DEP_3)
	v_cndmask_b32_e64 v88, 0, v73, s12
	v_mul_f32_e32 v73, 0x3fb8aa3b, v89
	v_fma_f32 v89, s19, v102, -v71
	s_waitcnt_depctr 0xfff
	v_cndmask_b32_e64 v90, 0, v75, s15
	v_add_f32_e32 v72, v72, v88
	v_exp_f32_e32 v73, v73
	v_mul_f32_e32 v75, 0x3fb8aa3b, v89
	v_cndmask_b32_e64 v89, 0, v76, s16
	s_delay_alu instid0(VALU_DEP_3) | instskip(NEXT) | instid1(VALU_DEP_3)
	v_add_f32_e32 v72, v72, v87
	v_exp_f32_e32 v75, v75
	s_delay_alu instid0(VALU_DEP_1) | instskip(SKIP_4) | instid1(VALU_DEP_2)
	v_add_f32_e32 v72, v72, v90
	s_waitcnt_depctr 0xfff
	v_cndmask_b32_e64 v92, 0, v73, s17
	v_add_f32_e32 v72, v72, v89
	v_cndmask_b32_e64 v91, 0, v75, s18
	v_add_f32_e32 v72, v72, v92
	s_delay_alu instid0(VALU_DEP_1)
	v_add_f32_e32 v72, v72, v91
	ds_bpermute_b32 v73, v74, v72
	v_cmpx_gt_u32_e32 16, v70
	s_cbranch_execz .LBB929_12
; %bb.11:
	v_mul_u32_u24_e32 v70, 0x44, v68
	s_waitcnt lgkmcnt(0)
	v_add_f32_e32 v72, v72, v73
	s_delay_alu instid0(VALU_DEP_2) | instskip(NEXT) | instid1(VALU_DEP_1)
	v_lshl_add_u32 v70, v69, 2, v70
	v_add_nc_u32_e32 v70, 0x4000, v70
	ds_store_2addr_b32 v70, v71, v72 offset1:136
.LBB929_12:
	s_or_b32 exec_lo, exec_lo, s3
	v_lshlrev_b32_e32 v70, 2, v69
	s_load_b32 s35, s[0:1], 0x94
	s_waitcnt lgkmcnt(0)
	s_barrier
	buffer_gl0_inv
	v_add_nc_u32_e32 v74, 0x4000, v70
	v_cmp_eq_u32_e32 vcc_lo, 1, v68
	v_cmp_eq_u32_e64 s3, 2, v68
	v_cmp_eq_u32_e64 s4, 3, v68
	;; [unrolled: 1-line block ×3, first 2 shown]
	ds_load_2addr_b32 v[70:71], v74 offset1:17
	ds_load_2addr_b32 v[72:73], v74 offset0:34 offset1:51
	ds_load_2addr_b32 v[93:94], v74 offset0:68 offset1:85
	;; [unrolled: 1-line block ×3, first 2 shown]
	v_cmp_eq_u32_e64 s6, 5, v68
	v_cmp_eq_u32_e64 s7, 7, v68
	s_waitcnt lgkmcnt(3)
	v_max3_f32 v75, v70, 0xff7fffff, v71
	s_waitcnt lgkmcnt(2)
	s_delay_alu instid0(VALU_DEP_1) | instskip(SKIP_1) | instid1(VALU_DEP_1)
	v_max3_f32 v75, v75, v72, v73
	s_waitcnt lgkmcnt(1)
	v_max3_f32 v75, v75, v93, v94
	s_waitcnt lgkmcnt(0)
	s_delay_alu instid0(VALU_DEP_1) | instskip(NEXT) | instid1(VALU_DEP_1)
	v_max3_f32 v75, v75, v95, v96
	v_sub_f32_e32 v93, v93, v75
	ds_load_2addr_b32 v[97:98], v74 offset0:136 offset1:153
	v_sub_f32_e32 v70, v70, v75
	v_dual_sub_f32 v100, v73, v75 :: v_dual_mul_f32 v103, 0x3fb8aa3b, v93
	s_delay_alu instid0(VALU_DEP_2) | instskip(SKIP_3) | instid1(VALU_DEP_1)
	v_dual_sub_f32 v76, v71, v75 :: v_dual_mul_f32 v99, 0x3fb8aa3b, v70
	ds_load_2addr_b32 v[70:71], v74 offset0:170 offset1:187
	v_mul_f32_e32 v76, 0x3fb8aa3b, v76
	v_exp_f32_e32 v99, v99
	v_exp_f32_e32 v102, v76
	v_mul_f32_e32 v100, 0x3fb8aa3b, v100
	s_waitcnt lgkmcnt(1)
	s_waitcnt_depctr 0xfff
	v_fma_f32 v76, v99, v97, 0
	v_sub_f32_e32 v97, v94, v75
	v_sub_f32_e32 v72, v72, v75
	v_exp_f32_e32 v100, v100
	ds_load_2addr_b32 v[93:94], v74 offset0:238 offset1:255
	v_dual_fmac_f32 v76, v102, v98 :: v_dual_mul_f32 v101, 0x3fb8aa3b, v72
	ds_load_2addr_b32 v[72:73], v74 offset0:204 offset1:221
	v_dual_sub_f32 v74, v95, v75 :: v_dual_mul_f32 v95, 0x3fb8aa3b, v97
	v_exp_f32_e32 v97, v103
	v_exp_f32_e32 v101, v101
	s_waitcnt lgkmcnt(0)
	s_delay_alu instid0(VALU_DEP_1)
	v_mul_f32_e32 v74, 0x3fb8aa3b, v74
	v_exp_f32_e32 v95, v95
	s_barrier
	buffer_gl0_inv
	v_fmac_f32_e32 v76, v101, v70
	v_sub_f32_e32 v70, v96, v75
	v_exp_f32_e32 v96, v74
	s_delay_alu instid0(VALU_DEP_2) | instskip(NEXT) | instid1(VALU_DEP_2)
	v_fmac_f32_e32 v76, v100, v71
	v_mul_f32_e32 v70, 0x3fb8aa3b, v70
	s_delay_alu instid0(VALU_DEP_2) | instskip(NEXT) | instid1(VALU_DEP_2)
	v_dual_cndmask_b32 v71, v99, v102 :: v_dual_fmac_f32 v76, v97, v72
	v_exp_f32_e32 v98, v70
	v_lshlrev_b32_e32 v72, 6, v69
	s_delay_alu instid0(VALU_DEP_2) | instskip(NEXT) | instid1(VALU_DEP_2)
	v_dual_fmac_f32 v76, v95, v73 :: v_dual_lshlrev_b32 v69, 2, v67
	v_lshl_or_b32 v74, v68, 11, v72
	s_delay_alu instid0(VALU_DEP_2)
	v_cmp_eq_u32_e64 s8, 7, v69
	s_delay_alu instid0(TRANS32_DEP_2) | instid1(VALU_DEP_3)
	v_fmac_f32_e32 v76, v96, v93
	s_waitcnt_depctr 0xfff
	v_fmac_f32_e32 v76, v98, v94
	s_delay_alu instid0(VALU_DEP_1) | instskip(NEXT) | instid1(VALU_DEP_1)
	v_add_f32_e32 v73, 0x358637bd, v76
	v_div_scale_f32 v93, null, v73, v73, 1.0
	v_div_scale_f32 v99, vcc_lo, 1.0, v73, 1.0
	s_delay_alu instid0(VALU_DEP_2) | instskip(SKIP_2) | instid1(VALU_DEP_1)
	v_rcp_f32_e32 v94, v93
	s_waitcnt_depctr 0xfff
	v_fma_f32 v70, -v93, v94, 1.0
	v_fmac_f32_e32 v94, v70, v94
	v_cndmask_b32_e64 v70, v71, v101, s3
	v_cmp_eq_u32_e64 s3, 6, v68
	v_or_b32_e32 v71, 1, v69
	v_or_b32_e32 v68, 2, v69
	v_mul_f32_e32 v101, v99, v94
	v_cndmask_b32_e64 v70, v70, v100, s4
	v_cmp_eq_u32_e64 s4, 1, v69
	v_cmp_eq_u32_e64 s9, 1, v71
	;; [unrolled: 1-line block ×3, first 2 shown]
	v_fma_f32 v100, -v93, v101, v99
	v_cndmask_b32_e64 v70, v70, v97, s5
	v_cmp_eq_u32_e64 s5, 2, v69
	v_cmp_eq_u32_e64 s12, 2, v71
	;; [unrolled: 1-line block ×3, first 2 shown]
	v_fmac_f32_e32 v101, v100, v94
	v_cndmask_b32_e64 v95, v70, v95, s6
	v_or_b32_e32 v70, 3, v69
	v_cmp_eq_u32_e64 s13, 3, v71
	v_cmp_eq_u32_e64 s17, 3, v68
	v_fma_f32 v93, -v93, v101, v99
	v_cndmask_b32_e64 v95, v95, v96, s3
	v_cmp_eq_u32_e64 s11, 1, v70
	v_cmp_eq_u32_e64 s16, 2, v70
	;; [unrolled: 1-line block ×3, first 2 shown]
	v_div_fmas_f32 v93, v93, v94, v101
	v_cndmask_b32_e64 v94, v95, v98, s7
	v_cmp_eq_u32_e32 vcc_lo, 3, v69
	v_cmp_eq_u32_e64 s3, 4, v69
	v_cmp_eq_u32_e64 s19, 4, v71
	v_div_fixup_f32 v93, v93, v73, 1.0
	v_lshl_or_b32 v73, v67, 4, v74
	v_cmp_eq_u32_e64 s22, 4, v70
	v_cmp_eq_u32_e64 s6, 5, v69
	;; [unrolled: 1-line block ×3, first 2 shown]
	v_mul_f32_e32 v101, v94, v93
	v_cmp_eq_u32_e64 s21, 4, v68
	v_cmp_eq_u32_e64 s24, 5, v70
	;; [unrolled: 1-line block ×4, first 2 shown]
	v_fma_mixlo_f16 v93, v101, v78, 0
	v_fma_mixlo_f16 v94, v101, v80, 0
	;; [unrolled: 1-line block ×8, first 2 shown]
	v_fma_mixhi_f16 v93, v101, v77, 0
	v_fma_mixhi_f16 v94, v101, v79, 0
	;; [unrolled: 1-line block ×8, first 2 shown]
	ds_store_b128 v73, v[93:96]
	ds_store_b128 v73, v[97:100] offset:1024
	s_waitcnt lgkmcnt(0)
	s_barrier
	buffer_gl0_inv
	ds_load_b128 v[77:80], v74
	ds_load_b128 v[81:84], v74 offset:16
	ds_load_b128 v[85:88], v74 offset:1024
	ds_load_b128 v[89:92], v74 offset:1040
	v_cmp_eq_u32_e64 s27, 6, v70
	v_cmp_eq_u32_e64 s7, 6, v69
	;; [unrolled: 1-line block ×6, first 2 shown]
	s_waitcnt lgkmcnt(3)
	v_lshrrev_b32_e32 v93, 16, v77
	s_waitcnt lgkmcnt(2)
	v_lshrrev_b32_e32 v97, 16, v81
	;; [unrolled: 2-line block ×4, first 2 shown]
	v_lshrrev_b32_e32 v94, 16, v78
	v_cndmask_b32_e64 v109, v77, v93, s4
	v_cndmask_b32_e64 v110, v81, v97, s4
	;; [unrolled: 1-line block ×8, first 2 shown]
	v_lshrrev_b32_e32 v98, 16, v82
	v_cndmask_b32_e64 v93, v85, v101, s4
	v_cndmask_b32_e64 v97, v89, v105, s4
	;; [unrolled: 1-line block ×15, first 2 shown]
	v_lshrrev_b32_e32 v102, 16, v86
	v_lshrrev_b32_e32 v106, 16, v90
	v_cndmask_b32_e64 v112, v114, v82, s15
	v_cndmask_b32_e64 v81, v93, v86, s5
	;; [unrolled: 1-line block ×7, first 2 shown]
	v_cndmask_b32_e32 v89, v101, v94, vcc_lo
	v_cndmask_b32_e32 v101, v105, v98, vcc_lo
	v_cndmask_b32_e64 v105, v109, v94, s13
	v_cndmask_b32_e64 v109, v110, v98, s13
	;; [unrolled: 1-line block ×4, first 2 shown]
	v_lshrrev_b32_e32 v95, 16, v79
	v_lshrrev_b32_e32 v99, 16, v83
	v_cndmask_b32_e64 v110, v111, v94, s17
	v_cndmask_b32_e64 v111, v112, v98, s17
	v_cndmask_b32_e32 v81, v81, v102, vcc_lo
	v_cndmask_b32_e32 v82, v82, v106, vcc_lo
	v_cndmask_b32_e64 v93, v93, v102, s13
	v_cndmask_b32_e64 v89, v89, v79, s3
	;; [unrolled: 1-line block ×7, first 2 shown]
	v_lshrrev_b32_e32 v103, 16, v87
	v_cndmask_b32_e64 v105, v110, v79, s21
	v_cndmask_b32_e64 v109, v111, v83, s21
	;; [unrolled: 1-line block ×11, first 2 shown]
	v_lshrrev_b32_e32 v96, 16, v80
	v_lshrrev_b32_e32 v100, 16, v84
	v_cndmask_b32_e64 v98, v105, v95, s23
	v_cndmask_b32_e64 v101, v109, v99, s23
	;; [unrolled: 1-line block ×7, first 2 shown]
	v_lshrrev_b32_e32 v104, 16, v88
	v_cndmask_b32_e64 v79, v79, v103, s6
	v_cndmask_b32_e64 v83, v83, v80, s7
	;; [unrolled: 1-line block ×16, first 2 shown]
	v_perm_b32 v80, v78, v77, 0x5040100
	v_perm_b32 v78, v94, v84, 0x5040100
	v_cndmask_b32_e64 v77, v118, v90, s15
	v_cndmask_b32_e64 v84, v116, v90, s12
	;; [unrolled: 1-line block ×3, first 2 shown]
	v_perm_b32 v79, v93, v89, 0x5040100
	v_cndmask_b32_e64 v89, v97, v102, s17
	v_cndmask_b32_e64 v85, v85, v102, s18
	;; [unrolled: 1-line block ×5, first 2 shown]
	v_lshrrev_b32_e32 v107, 16, v91
	v_cndmask_b32_e64 v89, v89, v87, s21
	v_cndmask_b32_e64 v85, v85, v87, s22
	;; [unrolled: 1-line block ×11, first 2 shown]
	v_lshrrev_b32_e32 v108, 16, v92
	v_cndmask_b32_e64 v81, v81, v92, s7
	v_cndmask_b32_e64 v87, v87, v88, s26
	;; [unrolled: 1-line block ×12, first 2 shown]
	v_perm_b32 v77, v83, v82, 0x5040100
	v_perm_b32 v84, v86, v85, 0x5040100
	;; [unrolled: 1-line block ×5, first 2 shown]
	s_lshl_b32 s8, s33, 2
	s_mov_b32 s3, exec_lo
	ds_store_b128 v73, v[77:80]
	ds_store_b128 v73, v[81:84] offset:1024
	v_cmpx_gt_u32_e32 4, v0
	s_cbranch_execz .LBB929_14
; %bb.13:
	v_or_b32_e32 v77, s31, v0
	s_load_b128 s[4:7], s[0:1], 0x58
	s_delay_alu instid0(VALU_DEP_1) | instskip(NEXT) | instid1(VALU_DEP_1)
	v_mad_u64_u32 v[78:79], null, s8, s34, v[77:78]
	v_mad_u64_u32 v[79:80], null, v78, s35, s[14:15]
	s_delay_alu instid0(VALU_DEP_1) | instskip(NEXT) | instid1(VALU_DEP_1)
	v_ashrrev_i32_e32 v80, 31, v79
	v_lshlrev_b64 v[77:78], 2, v[79:80]
	s_waitcnt lgkmcnt(0)
	s_delay_alu instid0(VALU_DEP_1) | instskip(NEXT) | instid1(VALU_DEP_2)
	v_add_co_u32 v79, vcc_lo, s6, v77
	v_add_co_ci_u32_e32 v80, vcc_lo, s7, v78, vcc_lo
	v_add_co_u32 v77, vcc_lo, s4, v77
	v_add_co_ci_u32_e32 v78, vcc_lo, s5, v78, vcc_lo
	global_store_b32 v[79:80], v75, off
	global_store_b32 v[77:78], v76, off
.LBB929_14:
	s_or_b32 exec_lo, exec_lo, s3
	s_waitcnt lgkmcnt(0)
	s_waitcnt_vscnt null, 0x0
	s_barrier
	buffer_gl0_inv
	ds_load_b128 v[83:86], v72
	ds_load_b128 v[87:90], v72 offset:16
	ds_load_b128 v[95:98], v72 offset:2064
	;; [unrolled: 1-line block ×5, first 2 shown]
	v_cmp_eq_u32_e32 vcc_lo, 1, v69
	v_mov_b32_e32 v75, 0
	ds_load_b128 v[111:114], v72 offset:6160
	ds_load_b128 v[107:110], v72 offset:6144
	;; [unrolled: 1-line block ×4, first 2 shown]
	v_cmp_eq_u32_e64 s4, 1, v68
	v_cmp_eq_u32_e64 s3, 1, v71
	;; [unrolled: 1-line block ×3, first 2 shown]
	v_mov_b32_e32 v76, v75
	v_mov_b32_e32 v77, v75
	;; [unrolled: 1-line block ×7, first 2 shown]
	v_cmp_eq_u32_e64 s6, 3, v71
	v_cmp_eq_u32_e64 s7, 7, v71
	s_waitcnt lgkmcnt(8)
	s_delay_alu instid0(VALU_DEP_3)
	v_wmma_f32_16x16x16_f16 v[75:82], v[49:56], v[83:90], v[75:82]
	ds_load_b128 v[53:56], v72 offset:10256
	ds_load_b128 v[49:52], v72 offset:10240
	s_waitcnt lgkmcnt(8)
	v_wmma_f32_16x16x16_f16 v[75:82], v[41:48], v[91:98], v[75:82]
	ds_load_b128 v[45:48], v72 offset:12304
	ds_load_b128 v[41:44], v72 offset:12288
	s_waitcnt lgkmcnt(8)
	;; [unrolled: 4-line block ×3, first 2 shown]
	s_barrier
	buffer_gl0_inv
	v_wmma_f32_16x16x16_f16 v[75:82], v[1:8], v[107:114], v[75:82]
	s_delay_alu instid0(VALU_DEP_1) | instskip(NEXT) | instid1(VALU_DEP_1)
	v_wmma_f32_16x16x16_f16 v[75:82], v[9:16], v[115:122], v[75:82]
	v_wmma_f32_16x16x16_f16 v[75:82], v[17:24], v[49:56], v[75:82]
	s_delay_alu instid0(VALU_DEP_1) | instskip(NEXT) | instid1(VALU_DEP_1)
	v_wmma_f32_16x16x16_f16 v[75:82], v[25:32], v[41:48], v[75:82]
	v_wmma_f32_16x16x16_f16 v[75:82], v[57:64], v[33:40], v[75:82]
	s_delay_alu instid0(VALU_DEP_1) | instskip(NEXT) | instid1(VALU_DEP_2)
	v_cvt_f16_f32_e32 v1, v75
	v_cvt_f16_f32_e32 v2, v76
	s_delay_alu instid0(VALU_DEP_3) | instskip(NEXT) | instid1(VALU_DEP_4)
	v_cvt_f16_f32_e32 v3, v77
	v_cvt_f16_f32_e32 v4, v78
	;; [unrolled: 1-line block ×6, first 2 shown]
	v_pack_b32_f16 v1, v1, v2
	v_pack_b32_f16 v2, v3, v4
	;; [unrolled: 1-line block ×3, first 2 shown]
	s_delay_alu instid0(VALU_DEP_4)
	v_pack_b32_f16 v4, v7, v8
	ds_store_b128 v73, v[1:4]
	s_waitcnt lgkmcnt(0)
	s_barrier
	buffer_gl0_inv
	ds_load_b128 v[1:4], v74
	ds_load_b128 v[5:8], v74 offset:16
	s_waitcnt lgkmcnt(1)
	v_lshrrev_b32_e32 v9, 16, v1
	s_waitcnt lgkmcnt(0)
	v_lshrrev_b32_e32 v13, 16, v5
	v_lshrrev_b32_e32 v10, 16, v2
	;; [unrolled: 1-line block ×4, first 2 shown]
	v_cndmask_b32_e32 v17, v1, v9, vcc_lo
	v_cndmask_b32_e32 v18, v5, v13, vcc_lo
	v_cndmask_b32_e64 v21, v1, v9, s4
	v_cmp_eq_u32_e32 vcc_lo, 1, v70
	v_cndmask_b32_e64 v22, v5, v13, s4
	v_cmp_eq_u32_e64 s4, 2, v69
	v_cndmask_b32_e64 v19, v1, v9, s3
	v_cndmask_b32_e64 v20, v5, v13, s3
	v_cndmask_b32_e32 v1, v1, v9, vcc_lo
	v_cmp_eq_u32_e64 s3, 2, v70
	v_cndmask_b32_e32 v5, v5, v13, vcc_lo
	v_cndmask_b32_e64 v9, v17, v2, s4
	v_cmp_eq_u32_e32 vcc_lo, 3, v69
	v_cndmask_b32_e64 v13, v18, v6, s4
	v_cmp_eq_u32_e64 s4, 2, v68
	v_cndmask_b32_e64 v17, v19, v2, s5
	v_cndmask_b32_e64 v18, v20, v6, s5
	v_cmp_eq_u32_e64 s5, 3, v68
	v_cndmask_b32_e64 v1, v1, v2, s3
	v_cndmask_b32_e64 v19, v21, v2, s4
	;; [unrolled: 1-line block ×4, first 2 shown]
	v_cndmask_b32_e32 v5, v9, v10, vcc_lo
	v_cndmask_b32_e32 v6, v13, v14, vcc_lo
	v_cmp_eq_u32_e32 vcc_lo, 3, v70
	v_cndmask_b32_e64 v9, v17, v10, s6
	v_cndmask_b32_e64 v13, v18, v14, s6
	;; [unrolled: 1-line block ×3, first 2 shown]
	v_cmp_eq_u32_e64 s4, 4, v69
	v_cndmask_b32_e32 v1, v1, v10, vcc_lo
	v_cndmask_b32_e32 v2, v2, v14, vcc_lo
	v_cmp_eq_u32_e32 vcc_lo, 4, v71
	v_lshrrev_b32_e32 v15, 16, v7
	v_lshrrev_b32_e32 v16, 16, v8
	v_cndmask_b32_e64 v17, v19, v10, s5
	v_cmp_eq_u32_e64 s3, 4, v70
	v_cndmask_b32_e64 v5, v5, v3, s4
	v_cndmask_b32_e64 v6, v6, v7, s4
	v_cndmask_b32_e32 v9, v9, v3, vcc_lo
	v_cmp_eq_u32_e64 s4, 5, v71
	v_cndmask_b32_e32 v10, v13, v7, vcc_lo
	v_cmp_eq_u32_e32 vcc_lo, 4, v68
	v_cmp_eq_u32_e64 s5, 5, v69
	v_cndmask_b32_e64 v2, v2, v7, s3
	v_cndmask_b32_e64 v9, v9, v11, s4
	;; [unrolled: 1-line block ×3, first 2 shown]
	v_cndmask_b32_e32 v13, v17, v3, vcc_lo
	v_cmp_eq_u32_e64 s4, 5, v68
	v_cndmask_b32_e32 v14, v18, v7, vcc_lo
	v_cndmask_b32_e64 v1, v1, v3, s3
	v_cmp_eq_u32_e32 vcc_lo, 5, v70
	v_lshrrev_b32_e32 v12, 16, v4
	v_cndmask_b32_e64 v13, v13, v11, s4
	v_cndmask_b32_e64 v3, v14, v15, s4
	v_cmp_eq_u32_e64 s4, 6, v70
	v_cndmask_b32_e32 v1, v1, v11, vcc_lo
	v_cndmask_b32_e64 v5, v5, v11, s5
	v_cmp_eq_u32_e64 s6, 6, v69
	v_cndmask_b32_e64 v6, v6, v15, s5
	v_cmp_eq_u32_e64 s5, 6, v71
	v_cmp_eq_u32_e64 s3, 6, v68
	v_cndmask_b32_e64 v1, v1, v4, s4
	v_cndmask_b32_e32 v2, v2, v15, vcc_lo
	v_cmp_eq_u32_e32 vcc_lo, 7, v70
	v_cndmask_b32_e64 v5, v5, v4, s6
	v_cndmask_b32_e64 v9, v9, v4, s5
	;; [unrolled: 1-line block ×3, first 2 shown]
	v_cmp_eq_u32_e64 s6, 7, v69
	v_cndmask_b32_e32 v1, v1, v12, vcc_lo
	v_cndmask_b32_e64 v7, v13, v4, s3
	v_cndmask_b32_e64 v3, v3, v8, s3
	;; [unrolled: 1-line block ×3, first 2 shown]
	v_cmp_eq_u32_e64 s3, 7, v68
	v_cndmask_b32_e64 v4, v10, v8, s5
	v_cndmask_b32_e64 v5, v5, v12, s6
	;; [unrolled: 1-line block ×3, first 2 shown]
	v_cndmask_b32_e32 v2, v2, v16, vcc_lo
	v_cndmask_b32_e64 v7, v7, v12, s3
	v_cndmask_b32_e64 v3, v3, v16, s3
	;; [unrolled: 1-line block ×4, first 2 shown]
	v_cmp_gt_u32_e32 vcc_lo, 32, v0
	v_perm_b32 v4, v2, v1, 0x5040100
	v_perm_b32 v3, v3, v7, 0x5040100
	;; [unrolled: 1-line block ×4, first 2 shown]
	s_and_b32 s2, vcc_lo, s2
	ds_store_b128 v73, v[1:4]
	s_waitcnt lgkmcnt(0)
	s_barrier
	buffer_gl0_inv
	s_and_saveexec_b32 s3, s2
	s_cbranch_execz .LBB929_2
; %bb.15:
	s_load_b64 s[0:1], s[0:1], 0x68
	v_lshlrev_b32_e32 v0, 10, v0
	v_or_b32_e32 v1, s31, v67
	s_lshl_b32 s4, s35, 6
	v_lshlrev_b32_e32 v2, 4, v66
	s_mul_i32 s2, s4, s34
	v_lshlrev_b32_e32 v3, 6, v67
	v_mul_lo_u32 v8, v1, s4
	v_and_b32_e32 v0, 0x3800, v0
	v_or_b32_e32 v1, 2, v1
	s_mul_i32 s2, s2, s8
	s_delay_alu instid0(SALU_CYCLE_1) | instskip(NEXT) | instid1(VALU_DEP_2)
	s_ashr_i32 s3, s2, 31
	v_or3_b32 v4, v0, v2, v3
	s_lshl_b64 s[2:3], s[2:3], 1
	v_mul_lo_u32 v10, v1, s4
	v_ashrrev_i32_e32 v9, 31, v8
	ds_load_b128 v[0:3], v4
	ds_load_b128 v[4:7], v4 offset:128
	s_waitcnt lgkmcnt(0)
	s_add_u32 s2, s0, s2
	s_addc_u32 s3, s1, s3
	s_lshl_b32 s0, s14, 6
	v_ashrrev_i32_e32 v11, 31, v10
	s_ashr_i32 s1, s0, 31
	v_lshlrev_b64 v[8:9], 1, v[8:9]
	s_lshl_b64 s[0:1], s[0:1], 1
	s_delay_alu instid0(SALU_CYCLE_1) | instskip(SKIP_2) | instid1(VALU_DEP_1)
	s_add_u32 s0, s2, s0
	s_addc_u32 s1, s3, s1
	v_add_co_u32 v12, s0, s0, v65
	v_add_co_ci_u32_e64 v13, null, s1, 0, s0
	v_lshlrev_b64 v[10:11], 1, v[10:11]
	s_delay_alu instid0(VALU_DEP_3) | instskip(NEXT) | instid1(VALU_DEP_3)
	v_add_co_u32 v8, vcc_lo, v12, v8
	v_add_co_ci_u32_e32 v9, vcc_lo, v13, v9, vcc_lo
	s_delay_alu instid0(VALU_DEP_3) | instskip(NEXT) | instid1(VALU_DEP_4)
	v_add_co_u32 v10, vcc_lo, v12, v10
	v_add_co_ci_u32_e32 v11, vcc_lo, v13, v11, vcc_lo
	s_clause 0x1
	global_store_b128 v[8:9], v[0:3], off
	global_store_b128 v[10:11], v[4:7], off
	s_nop 0
	s_sendmsg sendmsg(MSG_DEALLOC_VGPRS)
	s_endpgm
	.section	.rodata,"a",@progbits
	.p2align	6, 0x0
	.amdhsa_kernel _Z39paged_attention_ll4mi_QKV_mfma16_kernelIDF16_hLN4vllm18Fp8KVCacheDataTypeE1EDF16_Li32ELi64ELi256ELb0ELi4EL8MFMAType1EEvPKT_PKT0_S8_ifPKiSA_SA_iPKfiiiPfSD_PS3_PT2_iSC_SC_
		.amdhsa_group_segment_fixed_size 17472
		.amdhsa_private_segment_fixed_size 0
		.amdhsa_kernarg_size 400
		.amdhsa_user_sgpr_count 13
		.amdhsa_user_sgpr_dispatch_ptr 0
		.amdhsa_user_sgpr_queue_ptr 0
		.amdhsa_user_sgpr_kernarg_segment_ptr 1
		.amdhsa_user_sgpr_dispatch_id 0
		.amdhsa_user_sgpr_private_segment_size 0
		.amdhsa_wavefront_size32 1
		.amdhsa_uses_dynamic_stack 0
		.amdhsa_enable_private_segment 0
		.amdhsa_system_sgpr_workgroup_id_x 1
		.amdhsa_system_sgpr_workgroup_id_y 1
		.amdhsa_system_sgpr_workgroup_id_z 1
		.amdhsa_system_sgpr_workgroup_info 0
		.amdhsa_system_vgpr_workitem_id 0
		.amdhsa_next_free_vgpr 123
		.amdhsa_next_free_sgpr 42
		.amdhsa_reserve_vcc 1
		.amdhsa_float_round_mode_32 0
		.amdhsa_float_round_mode_16_64 0
		.amdhsa_float_denorm_mode_32 3
		.amdhsa_float_denorm_mode_16_64 3
		.amdhsa_dx10_clamp 1
		.amdhsa_ieee_mode 1
		.amdhsa_fp16_overflow 0
		.amdhsa_workgroup_processor_mode 1
		.amdhsa_memory_ordered 1
		.amdhsa_forward_progress 0
		.amdhsa_shared_vgpr_count 0
		.amdhsa_exception_fp_ieee_invalid_op 0
		.amdhsa_exception_fp_denorm_src 0
		.amdhsa_exception_fp_ieee_div_zero 0
		.amdhsa_exception_fp_ieee_overflow 0
		.amdhsa_exception_fp_ieee_underflow 0
		.amdhsa_exception_fp_ieee_inexact 0
		.amdhsa_exception_int_div_zero 0
	.end_amdhsa_kernel
	.section	.text._Z39paged_attention_ll4mi_QKV_mfma16_kernelIDF16_hLN4vllm18Fp8KVCacheDataTypeE1EDF16_Li32ELi64ELi256ELb0ELi4EL8MFMAType1EEvPKT_PKT0_S8_ifPKiSA_SA_iPKfiiiPfSD_PS3_PT2_iSC_SC_,"axG",@progbits,_Z39paged_attention_ll4mi_QKV_mfma16_kernelIDF16_hLN4vllm18Fp8KVCacheDataTypeE1EDF16_Li32ELi64ELi256ELb0ELi4EL8MFMAType1EEvPKT_PKT0_S8_ifPKiSA_SA_iPKfiiiPfSD_PS3_PT2_iSC_SC_,comdat
.Lfunc_end929:
	.size	_Z39paged_attention_ll4mi_QKV_mfma16_kernelIDF16_hLN4vllm18Fp8KVCacheDataTypeE1EDF16_Li32ELi64ELi256ELb0ELi4EL8MFMAType1EEvPKT_PKT0_S8_ifPKiSA_SA_iPKfiiiPfSD_PS3_PT2_iSC_SC_, .Lfunc_end929-_Z39paged_attention_ll4mi_QKV_mfma16_kernelIDF16_hLN4vllm18Fp8KVCacheDataTypeE1EDF16_Li32ELi64ELi256ELb0ELi4EL8MFMAType1EEvPKT_PKT0_S8_ifPKiSA_SA_iPKfiiiPfSD_PS3_PT2_iSC_SC_
                                        ; -- End function
	.section	.AMDGPU.csdata,"",@progbits
; Kernel info:
; codeLenInByte = 6380
; NumSgprs: 44
; NumVgprs: 123
; ScratchSize: 0
; MemoryBound: 0
; FloatMode: 240
; IeeeMode: 1
; LDSByteSize: 17472 bytes/workgroup (compile time only)
; SGPRBlocks: 5
; VGPRBlocks: 15
; NumSGPRsForWavesPerEU: 44
; NumVGPRsForWavesPerEU: 123
; Occupancy: 10
; WaveLimiterHint : 1
; COMPUTE_PGM_RSRC2:SCRATCH_EN: 0
; COMPUTE_PGM_RSRC2:USER_SGPR: 13
; COMPUTE_PGM_RSRC2:TRAP_HANDLER: 0
; COMPUTE_PGM_RSRC2:TGID_X_EN: 1
; COMPUTE_PGM_RSRC2:TGID_Y_EN: 1
; COMPUTE_PGM_RSRC2:TGID_Z_EN: 1
; COMPUTE_PGM_RSRC2:TIDIG_COMP_CNT: 0
	.section	.text._Z38paged_attention_ll4mi_QKV_mfma4_kernelIDF16_hLN4vllm18Fp8KVCacheDataTypeE1EhLi16ELi128ELi256ELb1ELi1EEvPKT_PKT0_S7_ifPKiS9_S9_iPKfiiiPfSC_PS2_PT2_iSB_SB_,"axG",@progbits,_Z38paged_attention_ll4mi_QKV_mfma4_kernelIDF16_hLN4vllm18Fp8KVCacheDataTypeE1EhLi16ELi128ELi256ELb1ELi1EEvPKT_PKT0_S7_ifPKiS9_S9_iPKfiiiPfSC_PS2_PT2_iSB_SB_,comdat
	.protected	_Z38paged_attention_ll4mi_QKV_mfma4_kernelIDF16_hLN4vllm18Fp8KVCacheDataTypeE1EhLi16ELi128ELi256ELb1ELi1EEvPKT_PKT0_S7_ifPKiS9_S9_iPKfiiiPfSC_PS2_PT2_iSB_SB_ ; -- Begin function _Z38paged_attention_ll4mi_QKV_mfma4_kernelIDF16_hLN4vllm18Fp8KVCacheDataTypeE1EhLi16ELi128ELi256ELb1ELi1EEvPKT_PKT0_S7_ifPKiS9_S9_iPKfiiiPfSC_PS2_PT2_iSB_SB_
	.globl	_Z38paged_attention_ll4mi_QKV_mfma4_kernelIDF16_hLN4vllm18Fp8KVCacheDataTypeE1EhLi16ELi128ELi256ELb1ELi1EEvPKT_PKT0_S7_ifPKiS9_S9_iPKfiiiPfSC_PS2_PT2_iSB_SB_
	.p2align	8
	.type	_Z38paged_attention_ll4mi_QKV_mfma4_kernelIDF16_hLN4vllm18Fp8KVCacheDataTypeE1EhLi16ELi128ELi256ELb1ELi1EEvPKT_PKT0_S7_ifPKiS9_S9_iPKfiiiPfSC_PS2_PT2_iSB_SB_,@function
_Z38paged_attention_ll4mi_QKV_mfma4_kernelIDF16_hLN4vllm18Fp8KVCacheDataTypeE1EhLi16ELi128ELi256ELb1ELi1EEvPKT_PKT0_S7_ifPKiS9_S9_iPKfiiiPfSC_PS2_PT2_iSB_SB_: ; @_Z38paged_attention_ll4mi_QKV_mfma4_kernelIDF16_hLN4vllm18Fp8KVCacheDataTypeE1EhLi16ELi128ELi256ELb1ELi1EEvPKT_PKT0_S7_ifPKiS9_S9_iPKfiiiPfSC_PS2_PT2_iSB_SB_
; %bb.0:
	s_add_u32 s8, s0, 0x90
	s_addc_u32 s9, s1, 0
	s_getpc_b64 s[0:1]
	s_add_u32 s0, s0, __PRETTY_FUNCTION__._Z38paged_attention_ll4mi_QKV_mfma4_kernelIDF16_hLN4vllm18Fp8KVCacheDataTypeE1EhLi16ELi128ELi256ELb1ELi1EEvPKT_PKT0_S7_ifPKiS9_S9_iPKfiiiPfSC_PS2_PT2_iSB_SB_@rel32@lo+4
	s_addc_u32 s1, s1, __PRETTY_FUNCTION__._Z38paged_attention_ll4mi_QKV_mfma4_kernelIDF16_hLN4vllm18Fp8KVCacheDataTypeE1EhLi16ELi128ELi256ELb1ELi1EEvPKT_PKT0_S7_ifPKiS9_S9_iPKfiiiPfSC_PS2_PT2_iSB_SB_@rel32@hi+12
	s_delay_alu instid0(SALU_CYCLE_1) | instskip(SKIP_4) | instid1(SALU_CYCLE_1)
	v_dual_mov_b32 v0, s0 :: v_dual_mov_b32 v1, s1
	s_mov_b32 s32, 0
	s_getpc_b64 s[2:3]
	s_add_u32 s2, s2, __assert_fail@rel32@lo+4
	s_addc_u32 s3, s3, __assert_fail@rel32@hi+12
	s_swappc_b64 s[30:31], s[2:3]
	.section	.rodata,"a",@progbits
	.p2align	6, 0x0
	.amdhsa_kernel _Z38paged_attention_ll4mi_QKV_mfma4_kernelIDF16_hLN4vllm18Fp8KVCacheDataTypeE1EhLi16ELi128ELi256ELb1ELi1EEvPKT_PKT0_S7_ifPKiS9_S9_iPKfiiiPfSC_PS2_PT2_iSB_SB_
		.amdhsa_group_segment_fixed_size 0
		.amdhsa_private_segment_fixed_size 64
		.amdhsa_kernarg_size 400
		.amdhsa_user_sgpr_count 15
		.amdhsa_user_sgpr_dispatch_ptr 0
		.amdhsa_user_sgpr_queue_ptr 0
		.amdhsa_user_sgpr_kernarg_segment_ptr 1
		.amdhsa_user_sgpr_dispatch_id 0
		.amdhsa_user_sgpr_private_segment_size 0
		.amdhsa_wavefront_size32 1
		.amdhsa_uses_dynamic_stack 0
		.amdhsa_enable_private_segment 1
		.amdhsa_system_sgpr_workgroup_id_x 1
		.amdhsa_system_sgpr_workgroup_id_y 0
		.amdhsa_system_sgpr_workgroup_id_z 0
		.amdhsa_system_sgpr_workgroup_info 0
		.amdhsa_system_vgpr_workitem_id 0
		.amdhsa_next_free_vgpr 41
		.amdhsa_next_free_sgpr 34
		.amdhsa_reserve_vcc 1
		.amdhsa_float_round_mode_32 0
		.amdhsa_float_round_mode_16_64 0
		.amdhsa_float_denorm_mode_32 3
		.amdhsa_float_denorm_mode_16_64 3
		.amdhsa_dx10_clamp 1
		.amdhsa_ieee_mode 1
		.amdhsa_fp16_overflow 0
		.amdhsa_workgroup_processor_mode 1
		.amdhsa_memory_ordered 1
		.amdhsa_forward_progress 0
		.amdhsa_shared_vgpr_count 0
		.amdhsa_exception_fp_ieee_invalid_op 0
		.amdhsa_exception_fp_denorm_src 0
		.amdhsa_exception_fp_ieee_div_zero 0
		.amdhsa_exception_fp_ieee_overflow 0
		.amdhsa_exception_fp_ieee_underflow 0
		.amdhsa_exception_fp_ieee_inexact 0
		.amdhsa_exception_int_div_zero 0
	.end_amdhsa_kernel
	.section	.text._Z38paged_attention_ll4mi_QKV_mfma4_kernelIDF16_hLN4vllm18Fp8KVCacheDataTypeE1EhLi16ELi128ELi256ELb1ELi1EEvPKT_PKT0_S7_ifPKiS9_S9_iPKfiiiPfSC_PS2_PT2_iSB_SB_,"axG",@progbits,_Z38paged_attention_ll4mi_QKV_mfma4_kernelIDF16_hLN4vllm18Fp8KVCacheDataTypeE1EhLi16ELi128ELi256ELb1ELi1EEvPKT_PKT0_S7_ifPKiS9_S9_iPKfiiiPfSC_PS2_PT2_iSB_SB_,comdat
.Lfunc_end930:
	.size	_Z38paged_attention_ll4mi_QKV_mfma4_kernelIDF16_hLN4vllm18Fp8KVCacheDataTypeE1EhLi16ELi128ELi256ELb1ELi1EEvPKT_PKT0_S7_ifPKiS9_S9_iPKfiiiPfSC_PS2_PT2_iSB_SB_, .Lfunc_end930-_Z38paged_attention_ll4mi_QKV_mfma4_kernelIDF16_hLN4vllm18Fp8KVCacheDataTypeE1EhLi16ELi128ELi256ELb1ELi1EEvPKT_PKT0_S7_ifPKiS9_S9_iPKfiiiPfSC_PS2_PT2_iSB_SB_
                                        ; -- End function
	.section	.AMDGPU.csdata,"",@progbits
; Kernel info:
; codeLenInByte = 72
; NumSgprs: 36
; NumVgprs: 41
; ScratchSize: 64
; MemoryBound: 0
; FloatMode: 240
; IeeeMode: 1
; LDSByteSize: 0 bytes/workgroup (compile time only)
; SGPRBlocks: 4
; VGPRBlocks: 5
; NumSGPRsForWavesPerEU: 36
; NumVGPRsForWavesPerEU: 41
; Occupancy: 16
; WaveLimiterHint : 1
; COMPUTE_PGM_RSRC2:SCRATCH_EN: 1
; COMPUTE_PGM_RSRC2:USER_SGPR: 15
; COMPUTE_PGM_RSRC2:TRAP_HANDLER: 0
; COMPUTE_PGM_RSRC2:TGID_X_EN: 1
; COMPUTE_PGM_RSRC2:TGID_Y_EN: 0
; COMPUTE_PGM_RSRC2:TGID_Z_EN: 0
; COMPUTE_PGM_RSRC2:TIDIG_COMP_CNT: 0
	.section	.text._Z38paged_attention_ll4mi_QKV_mfma4_kernelIDF16_hLN4vllm18Fp8KVCacheDataTypeE1EhLi16ELi128ELi256ELb1ELi2EEvPKT_PKT0_S7_ifPKiS9_S9_iPKfiiiPfSC_PS2_PT2_iSB_SB_,"axG",@progbits,_Z38paged_attention_ll4mi_QKV_mfma4_kernelIDF16_hLN4vllm18Fp8KVCacheDataTypeE1EhLi16ELi128ELi256ELb1ELi2EEvPKT_PKT0_S7_ifPKiS9_S9_iPKfiiiPfSC_PS2_PT2_iSB_SB_,comdat
	.protected	_Z38paged_attention_ll4mi_QKV_mfma4_kernelIDF16_hLN4vllm18Fp8KVCacheDataTypeE1EhLi16ELi128ELi256ELb1ELi2EEvPKT_PKT0_S7_ifPKiS9_S9_iPKfiiiPfSC_PS2_PT2_iSB_SB_ ; -- Begin function _Z38paged_attention_ll4mi_QKV_mfma4_kernelIDF16_hLN4vllm18Fp8KVCacheDataTypeE1EhLi16ELi128ELi256ELb1ELi2EEvPKT_PKT0_S7_ifPKiS9_S9_iPKfiiiPfSC_PS2_PT2_iSB_SB_
	.globl	_Z38paged_attention_ll4mi_QKV_mfma4_kernelIDF16_hLN4vllm18Fp8KVCacheDataTypeE1EhLi16ELi128ELi256ELb1ELi2EEvPKT_PKT0_S7_ifPKiS9_S9_iPKfiiiPfSC_PS2_PT2_iSB_SB_
	.p2align	8
	.type	_Z38paged_attention_ll4mi_QKV_mfma4_kernelIDF16_hLN4vllm18Fp8KVCacheDataTypeE1EhLi16ELi128ELi256ELb1ELi2EEvPKT_PKT0_S7_ifPKiS9_S9_iPKfiiiPfSC_PS2_PT2_iSB_SB_,@function
_Z38paged_attention_ll4mi_QKV_mfma4_kernelIDF16_hLN4vllm18Fp8KVCacheDataTypeE1EhLi16ELi128ELi256ELb1ELi2EEvPKT_PKT0_S7_ifPKiS9_S9_iPKfiiiPfSC_PS2_PT2_iSB_SB_: ; @_Z38paged_attention_ll4mi_QKV_mfma4_kernelIDF16_hLN4vllm18Fp8KVCacheDataTypeE1EhLi16ELi128ELi256ELb1ELi2EEvPKT_PKT0_S7_ifPKiS9_S9_iPKfiiiPfSC_PS2_PT2_iSB_SB_
; %bb.0:
	s_add_u32 s8, s0, 0x90
	s_addc_u32 s9, s1, 0
	s_getpc_b64 s[0:1]
	s_add_u32 s0, s0, __PRETTY_FUNCTION__._Z38paged_attention_ll4mi_QKV_mfma4_kernelIDF16_hLN4vllm18Fp8KVCacheDataTypeE1EhLi16ELi128ELi256ELb1ELi2EEvPKT_PKT0_S7_ifPKiS9_S9_iPKfiiiPfSC_PS2_PT2_iSB_SB_@rel32@lo+4
	s_addc_u32 s1, s1, __PRETTY_FUNCTION__._Z38paged_attention_ll4mi_QKV_mfma4_kernelIDF16_hLN4vllm18Fp8KVCacheDataTypeE1EhLi16ELi128ELi256ELb1ELi2EEvPKT_PKT0_S7_ifPKiS9_S9_iPKfiiiPfSC_PS2_PT2_iSB_SB_@rel32@hi+12
	s_delay_alu instid0(SALU_CYCLE_1) | instskip(SKIP_4) | instid1(SALU_CYCLE_1)
	v_dual_mov_b32 v0, s0 :: v_dual_mov_b32 v1, s1
	s_mov_b32 s32, 0
	s_getpc_b64 s[2:3]
	s_add_u32 s2, s2, __assert_fail@rel32@lo+4
	s_addc_u32 s3, s3, __assert_fail@rel32@hi+12
	s_swappc_b64 s[30:31], s[2:3]
	.section	.rodata,"a",@progbits
	.p2align	6, 0x0
	.amdhsa_kernel _Z38paged_attention_ll4mi_QKV_mfma4_kernelIDF16_hLN4vllm18Fp8KVCacheDataTypeE1EhLi16ELi128ELi256ELb1ELi2EEvPKT_PKT0_S7_ifPKiS9_S9_iPKfiiiPfSC_PS2_PT2_iSB_SB_
		.amdhsa_group_segment_fixed_size 0
		.amdhsa_private_segment_fixed_size 64
		.amdhsa_kernarg_size 400
		.amdhsa_user_sgpr_count 15
		.amdhsa_user_sgpr_dispatch_ptr 0
		.amdhsa_user_sgpr_queue_ptr 0
		.amdhsa_user_sgpr_kernarg_segment_ptr 1
		.amdhsa_user_sgpr_dispatch_id 0
		.amdhsa_user_sgpr_private_segment_size 0
		.amdhsa_wavefront_size32 1
		.amdhsa_uses_dynamic_stack 0
		.amdhsa_enable_private_segment 1
		.amdhsa_system_sgpr_workgroup_id_x 1
		.amdhsa_system_sgpr_workgroup_id_y 0
		.amdhsa_system_sgpr_workgroup_id_z 0
		.amdhsa_system_sgpr_workgroup_info 0
		.amdhsa_system_vgpr_workitem_id 0
		.amdhsa_next_free_vgpr 41
		.amdhsa_next_free_sgpr 34
		.amdhsa_reserve_vcc 1
		.amdhsa_float_round_mode_32 0
		.amdhsa_float_round_mode_16_64 0
		.amdhsa_float_denorm_mode_32 3
		.amdhsa_float_denorm_mode_16_64 3
		.amdhsa_dx10_clamp 1
		.amdhsa_ieee_mode 1
		.amdhsa_fp16_overflow 0
		.amdhsa_workgroup_processor_mode 1
		.amdhsa_memory_ordered 1
		.amdhsa_forward_progress 0
		.amdhsa_shared_vgpr_count 0
		.amdhsa_exception_fp_ieee_invalid_op 0
		.amdhsa_exception_fp_denorm_src 0
		.amdhsa_exception_fp_ieee_div_zero 0
		.amdhsa_exception_fp_ieee_overflow 0
		.amdhsa_exception_fp_ieee_underflow 0
		.amdhsa_exception_fp_ieee_inexact 0
		.amdhsa_exception_int_div_zero 0
	.end_amdhsa_kernel
	.section	.text._Z38paged_attention_ll4mi_QKV_mfma4_kernelIDF16_hLN4vllm18Fp8KVCacheDataTypeE1EhLi16ELi128ELi256ELb1ELi2EEvPKT_PKT0_S7_ifPKiS9_S9_iPKfiiiPfSC_PS2_PT2_iSB_SB_,"axG",@progbits,_Z38paged_attention_ll4mi_QKV_mfma4_kernelIDF16_hLN4vllm18Fp8KVCacheDataTypeE1EhLi16ELi128ELi256ELb1ELi2EEvPKT_PKT0_S7_ifPKiS9_S9_iPKfiiiPfSC_PS2_PT2_iSB_SB_,comdat
.Lfunc_end931:
	.size	_Z38paged_attention_ll4mi_QKV_mfma4_kernelIDF16_hLN4vllm18Fp8KVCacheDataTypeE1EhLi16ELi128ELi256ELb1ELi2EEvPKT_PKT0_S7_ifPKiS9_S9_iPKfiiiPfSC_PS2_PT2_iSB_SB_, .Lfunc_end931-_Z38paged_attention_ll4mi_QKV_mfma4_kernelIDF16_hLN4vllm18Fp8KVCacheDataTypeE1EhLi16ELi128ELi256ELb1ELi2EEvPKT_PKT0_S7_ifPKiS9_S9_iPKfiiiPfSC_PS2_PT2_iSB_SB_
                                        ; -- End function
	.section	.AMDGPU.csdata,"",@progbits
; Kernel info:
; codeLenInByte = 72
; NumSgprs: 36
; NumVgprs: 41
; ScratchSize: 64
; MemoryBound: 0
; FloatMode: 240
; IeeeMode: 1
; LDSByteSize: 0 bytes/workgroup (compile time only)
; SGPRBlocks: 4
; VGPRBlocks: 5
; NumSGPRsForWavesPerEU: 36
; NumVGPRsForWavesPerEU: 41
; Occupancy: 16
; WaveLimiterHint : 1
; COMPUTE_PGM_RSRC2:SCRATCH_EN: 1
; COMPUTE_PGM_RSRC2:USER_SGPR: 15
; COMPUTE_PGM_RSRC2:TRAP_HANDLER: 0
; COMPUTE_PGM_RSRC2:TGID_X_EN: 1
; COMPUTE_PGM_RSRC2:TGID_Y_EN: 0
; COMPUTE_PGM_RSRC2:TGID_Z_EN: 0
; COMPUTE_PGM_RSRC2:TIDIG_COMP_CNT: 0
	.section	.text._Z38paged_attention_ll4mi_QKV_mfma4_kernelIDF16_hLN4vllm18Fp8KVCacheDataTypeE1EhLi16ELi128ELi256ELb1ELi3EEvPKT_PKT0_S7_ifPKiS9_S9_iPKfiiiPfSC_PS2_PT2_iSB_SB_,"axG",@progbits,_Z38paged_attention_ll4mi_QKV_mfma4_kernelIDF16_hLN4vllm18Fp8KVCacheDataTypeE1EhLi16ELi128ELi256ELb1ELi3EEvPKT_PKT0_S7_ifPKiS9_S9_iPKfiiiPfSC_PS2_PT2_iSB_SB_,comdat
	.protected	_Z38paged_attention_ll4mi_QKV_mfma4_kernelIDF16_hLN4vllm18Fp8KVCacheDataTypeE1EhLi16ELi128ELi256ELb1ELi3EEvPKT_PKT0_S7_ifPKiS9_S9_iPKfiiiPfSC_PS2_PT2_iSB_SB_ ; -- Begin function _Z38paged_attention_ll4mi_QKV_mfma4_kernelIDF16_hLN4vllm18Fp8KVCacheDataTypeE1EhLi16ELi128ELi256ELb1ELi3EEvPKT_PKT0_S7_ifPKiS9_S9_iPKfiiiPfSC_PS2_PT2_iSB_SB_
	.globl	_Z38paged_attention_ll4mi_QKV_mfma4_kernelIDF16_hLN4vllm18Fp8KVCacheDataTypeE1EhLi16ELi128ELi256ELb1ELi3EEvPKT_PKT0_S7_ifPKiS9_S9_iPKfiiiPfSC_PS2_PT2_iSB_SB_
	.p2align	8
	.type	_Z38paged_attention_ll4mi_QKV_mfma4_kernelIDF16_hLN4vllm18Fp8KVCacheDataTypeE1EhLi16ELi128ELi256ELb1ELi3EEvPKT_PKT0_S7_ifPKiS9_S9_iPKfiiiPfSC_PS2_PT2_iSB_SB_,@function
_Z38paged_attention_ll4mi_QKV_mfma4_kernelIDF16_hLN4vllm18Fp8KVCacheDataTypeE1EhLi16ELi128ELi256ELb1ELi3EEvPKT_PKT0_S7_ifPKiS9_S9_iPKfiiiPfSC_PS2_PT2_iSB_SB_: ; @_Z38paged_attention_ll4mi_QKV_mfma4_kernelIDF16_hLN4vllm18Fp8KVCacheDataTypeE1EhLi16ELi128ELi256ELb1ELi3EEvPKT_PKT0_S7_ifPKiS9_S9_iPKfiiiPfSC_PS2_PT2_iSB_SB_
; %bb.0:
	s_add_u32 s8, s0, 0x90
	s_addc_u32 s9, s1, 0
	s_getpc_b64 s[0:1]
	s_add_u32 s0, s0, __PRETTY_FUNCTION__._Z38paged_attention_ll4mi_QKV_mfma4_kernelIDF16_hLN4vllm18Fp8KVCacheDataTypeE1EhLi16ELi128ELi256ELb1ELi3EEvPKT_PKT0_S7_ifPKiS9_S9_iPKfiiiPfSC_PS2_PT2_iSB_SB_@rel32@lo+4
	s_addc_u32 s1, s1, __PRETTY_FUNCTION__._Z38paged_attention_ll4mi_QKV_mfma4_kernelIDF16_hLN4vllm18Fp8KVCacheDataTypeE1EhLi16ELi128ELi256ELb1ELi3EEvPKT_PKT0_S7_ifPKiS9_S9_iPKfiiiPfSC_PS2_PT2_iSB_SB_@rel32@hi+12
	s_delay_alu instid0(SALU_CYCLE_1) | instskip(SKIP_4) | instid1(SALU_CYCLE_1)
	v_dual_mov_b32 v0, s0 :: v_dual_mov_b32 v1, s1
	s_mov_b32 s32, 0
	s_getpc_b64 s[2:3]
	s_add_u32 s2, s2, __assert_fail@rel32@lo+4
	s_addc_u32 s3, s3, __assert_fail@rel32@hi+12
	s_swappc_b64 s[30:31], s[2:3]
	.section	.rodata,"a",@progbits
	.p2align	6, 0x0
	.amdhsa_kernel _Z38paged_attention_ll4mi_QKV_mfma4_kernelIDF16_hLN4vllm18Fp8KVCacheDataTypeE1EhLi16ELi128ELi256ELb1ELi3EEvPKT_PKT0_S7_ifPKiS9_S9_iPKfiiiPfSC_PS2_PT2_iSB_SB_
		.amdhsa_group_segment_fixed_size 0
		.amdhsa_private_segment_fixed_size 64
		.amdhsa_kernarg_size 400
		.amdhsa_user_sgpr_count 15
		.amdhsa_user_sgpr_dispatch_ptr 0
		.amdhsa_user_sgpr_queue_ptr 0
		.amdhsa_user_sgpr_kernarg_segment_ptr 1
		.amdhsa_user_sgpr_dispatch_id 0
		.amdhsa_user_sgpr_private_segment_size 0
		.amdhsa_wavefront_size32 1
		.amdhsa_uses_dynamic_stack 0
		.amdhsa_enable_private_segment 1
		.amdhsa_system_sgpr_workgroup_id_x 1
		.amdhsa_system_sgpr_workgroup_id_y 0
		.amdhsa_system_sgpr_workgroup_id_z 0
		.amdhsa_system_sgpr_workgroup_info 0
		.amdhsa_system_vgpr_workitem_id 0
		.amdhsa_next_free_vgpr 41
		.amdhsa_next_free_sgpr 34
		.amdhsa_reserve_vcc 1
		.amdhsa_float_round_mode_32 0
		.amdhsa_float_round_mode_16_64 0
		.amdhsa_float_denorm_mode_32 3
		.amdhsa_float_denorm_mode_16_64 3
		.amdhsa_dx10_clamp 1
		.amdhsa_ieee_mode 1
		.amdhsa_fp16_overflow 0
		.amdhsa_workgroup_processor_mode 1
		.amdhsa_memory_ordered 1
		.amdhsa_forward_progress 0
		.amdhsa_shared_vgpr_count 0
		.amdhsa_exception_fp_ieee_invalid_op 0
		.amdhsa_exception_fp_denorm_src 0
		.amdhsa_exception_fp_ieee_div_zero 0
		.amdhsa_exception_fp_ieee_overflow 0
		.amdhsa_exception_fp_ieee_underflow 0
		.amdhsa_exception_fp_ieee_inexact 0
		.amdhsa_exception_int_div_zero 0
	.end_amdhsa_kernel
	.section	.text._Z38paged_attention_ll4mi_QKV_mfma4_kernelIDF16_hLN4vllm18Fp8KVCacheDataTypeE1EhLi16ELi128ELi256ELb1ELi3EEvPKT_PKT0_S7_ifPKiS9_S9_iPKfiiiPfSC_PS2_PT2_iSB_SB_,"axG",@progbits,_Z38paged_attention_ll4mi_QKV_mfma4_kernelIDF16_hLN4vllm18Fp8KVCacheDataTypeE1EhLi16ELi128ELi256ELb1ELi3EEvPKT_PKT0_S7_ifPKiS9_S9_iPKfiiiPfSC_PS2_PT2_iSB_SB_,comdat
.Lfunc_end932:
	.size	_Z38paged_attention_ll4mi_QKV_mfma4_kernelIDF16_hLN4vllm18Fp8KVCacheDataTypeE1EhLi16ELi128ELi256ELb1ELi3EEvPKT_PKT0_S7_ifPKiS9_S9_iPKfiiiPfSC_PS2_PT2_iSB_SB_, .Lfunc_end932-_Z38paged_attention_ll4mi_QKV_mfma4_kernelIDF16_hLN4vllm18Fp8KVCacheDataTypeE1EhLi16ELi128ELi256ELb1ELi3EEvPKT_PKT0_S7_ifPKiS9_S9_iPKfiiiPfSC_PS2_PT2_iSB_SB_
                                        ; -- End function
	.section	.AMDGPU.csdata,"",@progbits
; Kernel info:
; codeLenInByte = 72
; NumSgprs: 36
; NumVgprs: 41
; ScratchSize: 64
; MemoryBound: 0
; FloatMode: 240
; IeeeMode: 1
; LDSByteSize: 0 bytes/workgroup (compile time only)
; SGPRBlocks: 4
; VGPRBlocks: 5
; NumSGPRsForWavesPerEU: 36
; NumVGPRsForWavesPerEU: 41
; Occupancy: 16
; WaveLimiterHint : 1
; COMPUTE_PGM_RSRC2:SCRATCH_EN: 1
; COMPUTE_PGM_RSRC2:USER_SGPR: 15
; COMPUTE_PGM_RSRC2:TRAP_HANDLER: 0
; COMPUTE_PGM_RSRC2:TGID_X_EN: 1
; COMPUTE_PGM_RSRC2:TGID_Y_EN: 0
; COMPUTE_PGM_RSRC2:TGID_Z_EN: 0
; COMPUTE_PGM_RSRC2:TIDIG_COMP_CNT: 0
	.section	.text._Z38paged_attention_ll4mi_QKV_mfma4_kernelIDF16_hLN4vllm18Fp8KVCacheDataTypeE1EhLi16ELi128ELi256ELb1ELi4EEvPKT_PKT0_S7_ifPKiS9_S9_iPKfiiiPfSC_PS2_PT2_iSB_SB_,"axG",@progbits,_Z38paged_attention_ll4mi_QKV_mfma4_kernelIDF16_hLN4vllm18Fp8KVCacheDataTypeE1EhLi16ELi128ELi256ELb1ELi4EEvPKT_PKT0_S7_ifPKiS9_S9_iPKfiiiPfSC_PS2_PT2_iSB_SB_,comdat
	.protected	_Z38paged_attention_ll4mi_QKV_mfma4_kernelIDF16_hLN4vllm18Fp8KVCacheDataTypeE1EhLi16ELi128ELi256ELb1ELi4EEvPKT_PKT0_S7_ifPKiS9_S9_iPKfiiiPfSC_PS2_PT2_iSB_SB_ ; -- Begin function _Z38paged_attention_ll4mi_QKV_mfma4_kernelIDF16_hLN4vllm18Fp8KVCacheDataTypeE1EhLi16ELi128ELi256ELb1ELi4EEvPKT_PKT0_S7_ifPKiS9_S9_iPKfiiiPfSC_PS2_PT2_iSB_SB_
	.globl	_Z38paged_attention_ll4mi_QKV_mfma4_kernelIDF16_hLN4vllm18Fp8KVCacheDataTypeE1EhLi16ELi128ELi256ELb1ELi4EEvPKT_PKT0_S7_ifPKiS9_S9_iPKfiiiPfSC_PS2_PT2_iSB_SB_
	.p2align	8
	.type	_Z38paged_attention_ll4mi_QKV_mfma4_kernelIDF16_hLN4vllm18Fp8KVCacheDataTypeE1EhLi16ELi128ELi256ELb1ELi4EEvPKT_PKT0_S7_ifPKiS9_S9_iPKfiiiPfSC_PS2_PT2_iSB_SB_,@function
_Z38paged_attention_ll4mi_QKV_mfma4_kernelIDF16_hLN4vllm18Fp8KVCacheDataTypeE1EhLi16ELi128ELi256ELb1ELi4EEvPKT_PKT0_S7_ifPKiS9_S9_iPKfiiiPfSC_PS2_PT2_iSB_SB_: ; @_Z38paged_attention_ll4mi_QKV_mfma4_kernelIDF16_hLN4vllm18Fp8KVCacheDataTypeE1EhLi16ELi128ELi256ELb1ELi4EEvPKT_PKT0_S7_ifPKiS9_S9_iPKfiiiPfSC_PS2_PT2_iSB_SB_
; %bb.0:
	s_add_u32 s8, s0, 0x90
	s_addc_u32 s9, s1, 0
	s_getpc_b64 s[0:1]
	s_add_u32 s0, s0, __PRETTY_FUNCTION__._Z38paged_attention_ll4mi_QKV_mfma4_kernelIDF16_hLN4vllm18Fp8KVCacheDataTypeE1EhLi16ELi128ELi256ELb1ELi4EEvPKT_PKT0_S7_ifPKiS9_S9_iPKfiiiPfSC_PS2_PT2_iSB_SB_@rel32@lo+4
	s_addc_u32 s1, s1, __PRETTY_FUNCTION__._Z38paged_attention_ll4mi_QKV_mfma4_kernelIDF16_hLN4vllm18Fp8KVCacheDataTypeE1EhLi16ELi128ELi256ELb1ELi4EEvPKT_PKT0_S7_ifPKiS9_S9_iPKfiiiPfSC_PS2_PT2_iSB_SB_@rel32@hi+12
	s_delay_alu instid0(SALU_CYCLE_1) | instskip(SKIP_4) | instid1(SALU_CYCLE_1)
	v_dual_mov_b32 v0, s0 :: v_dual_mov_b32 v1, s1
	s_mov_b32 s32, 0
	s_getpc_b64 s[2:3]
	s_add_u32 s2, s2, __assert_fail@rel32@lo+4
	s_addc_u32 s3, s3, __assert_fail@rel32@hi+12
	s_swappc_b64 s[30:31], s[2:3]
	.section	.rodata,"a",@progbits
	.p2align	6, 0x0
	.amdhsa_kernel _Z38paged_attention_ll4mi_QKV_mfma4_kernelIDF16_hLN4vllm18Fp8KVCacheDataTypeE1EhLi16ELi128ELi256ELb1ELi4EEvPKT_PKT0_S7_ifPKiS9_S9_iPKfiiiPfSC_PS2_PT2_iSB_SB_
		.amdhsa_group_segment_fixed_size 0
		.amdhsa_private_segment_fixed_size 64
		.amdhsa_kernarg_size 400
		.amdhsa_user_sgpr_count 15
		.amdhsa_user_sgpr_dispatch_ptr 0
		.amdhsa_user_sgpr_queue_ptr 0
		.amdhsa_user_sgpr_kernarg_segment_ptr 1
		.amdhsa_user_sgpr_dispatch_id 0
		.amdhsa_user_sgpr_private_segment_size 0
		.amdhsa_wavefront_size32 1
		.amdhsa_uses_dynamic_stack 0
		.amdhsa_enable_private_segment 1
		.amdhsa_system_sgpr_workgroup_id_x 1
		.amdhsa_system_sgpr_workgroup_id_y 0
		.amdhsa_system_sgpr_workgroup_id_z 0
		.amdhsa_system_sgpr_workgroup_info 0
		.amdhsa_system_vgpr_workitem_id 0
		.amdhsa_next_free_vgpr 41
		.amdhsa_next_free_sgpr 34
		.amdhsa_reserve_vcc 1
		.amdhsa_float_round_mode_32 0
		.amdhsa_float_round_mode_16_64 0
		.amdhsa_float_denorm_mode_32 3
		.amdhsa_float_denorm_mode_16_64 3
		.amdhsa_dx10_clamp 1
		.amdhsa_ieee_mode 1
		.amdhsa_fp16_overflow 0
		.amdhsa_workgroup_processor_mode 1
		.amdhsa_memory_ordered 1
		.amdhsa_forward_progress 0
		.amdhsa_shared_vgpr_count 0
		.amdhsa_exception_fp_ieee_invalid_op 0
		.amdhsa_exception_fp_denorm_src 0
		.amdhsa_exception_fp_ieee_div_zero 0
		.amdhsa_exception_fp_ieee_overflow 0
		.amdhsa_exception_fp_ieee_underflow 0
		.amdhsa_exception_fp_ieee_inexact 0
		.amdhsa_exception_int_div_zero 0
	.end_amdhsa_kernel
	.section	.text._Z38paged_attention_ll4mi_QKV_mfma4_kernelIDF16_hLN4vllm18Fp8KVCacheDataTypeE1EhLi16ELi128ELi256ELb1ELi4EEvPKT_PKT0_S7_ifPKiS9_S9_iPKfiiiPfSC_PS2_PT2_iSB_SB_,"axG",@progbits,_Z38paged_attention_ll4mi_QKV_mfma4_kernelIDF16_hLN4vllm18Fp8KVCacheDataTypeE1EhLi16ELi128ELi256ELb1ELi4EEvPKT_PKT0_S7_ifPKiS9_S9_iPKfiiiPfSC_PS2_PT2_iSB_SB_,comdat
.Lfunc_end933:
	.size	_Z38paged_attention_ll4mi_QKV_mfma4_kernelIDF16_hLN4vllm18Fp8KVCacheDataTypeE1EhLi16ELi128ELi256ELb1ELi4EEvPKT_PKT0_S7_ifPKiS9_S9_iPKfiiiPfSC_PS2_PT2_iSB_SB_, .Lfunc_end933-_Z38paged_attention_ll4mi_QKV_mfma4_kernelIDF16_hLN4vllm18Fp8KVCacheDataTypeE1EhLi16ELi128ELi256ELb1ELi4EEvPKT_PKT0_S7_ifPKiS9_S9_iPKfiiiPfSC_PS2_PT2_iSB_SB_
                                        ; -- End function
	.section	.AMDGPU.csdata,"",@progbits
; Kernel info:
; codeLenInByte = 72
; NumSgprs: 36
; NumVgprs: 41
; ScratchSize: 64
; MemoryBound: 0
; FloatMode: 240
; IeeeMode: 1
; LDSByteSize: 0 bytes/workgroup (compile time only)
; SGPRBlocks: 4
; VGPRBlocks: 5
; NumSGPRsForWavesPerEU: 36
; NumVGPRsForWavesPerEU: 41
; Occupancy: 16
; WaveLimiterHint : 1
; COMPUTE_PGM_RSRC2:SCRATCH_EN: 1
; COMPUTE_PGM_RSRC2:USER_SGPR: 15
; COMPUTE_PGM_RSRC2:TRAP_HANDLER: 0
; COMPUTE_PGM_RSRC2:TGID_X_EN: 1
; COMPUTE_PGM_RSRC2:TGID_Y_EN: 0
; COMPUTE_PGM_RSRC2:TGID_Z_EN: 0
; COMPUTE_PGM_RSRC2:TIDIG_COMP_CNT: 0
	.section	.text._Z39paged_attention_ll4mi_QKV_mfma16_kernelIDF16_hLN4vllm18Fp8KVCacheDataTypeE1EhLi16ELi128ELi256ELb1ELi5EL8MFMAType1EEvPKT_PKT0_S8_ifPKiSA_SA_iPKfiiiPfSD_PS3_PT2_iSC_SC_,"axG",@progbits,_Z39paged_attention_ll4mi_QKV_mfma16_kernelIDF16_hLN4vllm18Fp8KVCacheDataTypeE1EhLi16ELi128ELi256ELb1ELi5EL8MFMAType1EEvPKT_PKT0_S8_ifPKiSA_SA_iPKfiiiPfSD_PS3_PT2_iSC_SC_,comdat
	.protected	_Z39paged_attention_ll4mi_QKV_mfma16_kernelIDF16_hLN4vllm18Fp8KVCacheDataTypeE1EhLi16ELi128ELi256ELb1ELi5EL8MFMAType1EEvPKT_PKT0_S8_ifPKiSA_SA_iPKfiiiPfSD_PS3_PT2_iSC_SC_ ; -- Begin function _Z39paged_attention_ll4mi_QKV_mfma16_kernelIDF16_hLN4vllm18Fp8KVCacheDataTypeE1EhLi16ELi128ELi256ELb1ELi5EL8MFMAType1EEvPKT_PKT0_S8_ifPKiSA_SA_iPKfiiiPfSD_PS3_PT2_iSC_SC_
	.globl	_Z39paged_attention_ll4mi_QKV_mfma16_kernelIDF16_hLN4vllm18Fp8KVCacheDataTypeE1EhLi16ELi128ELi256ELb1ELi5EL8MFMAType1EEvPKT_PKT0_S8_ifPKiSA_SA_iPKfiiiPfSD_PS3_PT2_iSC_SC_
	.p2align	8
	.type	_Z39paged_attention_ll4mi_QKV_mfma16_kernelIDF16_hLN4vllm18Fp8KVCacheDataTypeE1EhLi16ELi128ELi256ELb1ELi5EL8MFMAType1EEvPKT_PKT0_S8_ifPKiSA_SA_iPKfiiiPfSD_PS3_PT2_iSC_SC_,@function
_Z39paged_attention_ll4mi_QKV_mfma16_kernelIDF16_hLN4vllm18Fp8KVCacheDataTypeE1EhLi16ELi128ELi256ELb1ELi5EL8MFMAType1EEvPKT_PKT0_S8_ifPKiSA_SA_iPKfiiiPfSD_PS3_PT2_iSC_SC_: ; @_Z39paged_attention_ll4mi_QKV_mfma16_kernelIDF16_hLN4vllm18Fp8KVCacheDataTypeE1EhLi16ELi128ELi256ELb1ELi5EL8MFMAType1EEvPKT_PKT0_S8_ifPKiSA_SA_iPKfiiiPfSD_PS3_PT2_iSC_SC_
; %bb.0:
	s_load_b64 s[4:5], s[0:1], 0x30
	s_mov_b32 s34, s13
	s_waitcnt lgkmcnt(0)
	s_cmp_lg_u64 s[4:5], 0
	s_cselect_b32 s8, -1, 0
	s_ashr_i32 s35, s13, 31
	s_cmp_eq_u64 s[4:5], 0
	s_cbranch_scc1 .LBB934_3
; %bb.1:
	s_lshl_b64 s[2:3], s[34:35], 2
	s_delay_alu instid0(SALU_CYCLE_1) | instskip(SKIP_4) | instid1(SALU_CYCLE_1)
	s_add_u32 s2, s4, s2
	s_addc_u32 s3, s5, s3
	s_load_b64 s[2:3], s[2:3], 0x0
	s_waitcnt lgkmcnt(0)
	s_sub_i32 s2, s3, s2
	s_cmp_eq_u32 s2, 1
	s_cselect_b32 s2, -1, 0
	s_delay_alu instid0(SALU_CYCLE_1)
	s_and_not1_b32 vcc_lo, exec_lo, s2
	s_cbranch_vccz .LBB934_4
.LBB934_2:
	s_nop 0
	s_sendmsg sendmsg(MSG_DEALLOC_VGPRS)
	s_endpgm
.LBB934_3:
.LBB934_4:
	s_load_b64 s[2:3], s[0:1], 0x28
	s_lshl_b64 s[6:7], s[34:35], 2
	s_waitcnt lgkmcnt(0)
	s_add_u32 s2, s2, s6
	s_addc_u32 s3, s3, s7
	s_lshl_b32 s12, s14, 8
	s_load_b32 s24, s[2:3], 0x0
	s_waitcnt lgkmcnt(0)
	s_cmp_ge_i32 s12, s24
	s_cbranch_scc1 .LBB934_2
; %bb.5:
	s_clause 0x1
	s_load_b128 s[20:23], s[0:1], 0x8
	s_load_b64 s[2:3], s[0:1], 0x20
	s_and_not1_b32 vcc_lo, exec_lo, s8
	s_cbranch_vccnz .LBB934_7
; %bb.6:
	s_add_u32 s4, s4, s6
	s_addc_u32 s5, s5, s7
	s_load_b32 s5, s[4:5], 0x0
	s_branch .LBB934_8
.LBB934_7:
	s_mov_b32 s5, s34
.LBB934_8:
	s_load_b128 s[16:19], s[0:1], 0x48
	v_and_b32_e32 v68, 15, v0
	v_lshrrev_b32_e32 v69, 5, v0
	v_bfe_u32 v66, v0, 4, 1
	v_and_b32_e32 v70, 31, v0
	v_and_b32_e32 v67, 1, v0
	v_lshlrev_b32_e32 v2, 3, v68
	s_mul_i32 s31, s15, 5
	v_lshl_or_b32 v1, v69, 1, v66
	s_mov_b32 s4, exec_lo
	s_delay_alu instid0(VALU_DEP_2) | instskip(NEXT) | instid1(VALU_DEP_2)
	v_lshlrev_b32_e32 v65, 1, v2
	v_cmpx_gt_u32_e32 5, v1
	s_cbranch_execz .LBB934_10
; %bb.9:
	s_load_b64 s[6:7], s[0:1], 0x0
	v_add_lshl_u32 v2, v1, s31, 7
	s_waitcnt lgkmcnt(0)
	s_mul_hi_i32 s9, s5, s16
	s_mul_i32 s8, s5, s16
	v_lshlrev_b32_e32 v6, 10, v68
	s_lshl_b64 s[8:9], s[8:9], 1
	v_ashrrev_i32_e32 v3, 31, v2
	v_lshlrev_b32_e32 v1, 6, v1
	v_lshlrev_b32_e32 v7, 10, v67
	v_and_b32_e32 v6, 0x3800, v6
	s_delay_alu instid0(VALU_DEP_4) | instskip(NEXT) | instid1(VALU_DEP_2)
	v_lshlrev_b64 v[2:3], 1, v[2:3]
	v_or3_b32 v1, v6, v7, v1
	s_add_u32 s5, s6, s8
	s_addc_u32 s6, s7, s9
	s_delay_alu instid0(VALU_DEP_2) | instskip(NEXT) | instid1(VALU_DEP_3)
	v_add_co_u32 v2, vcc_lo, s5, v2
	v_add_co_ci_u32_e32 v3, vcc_lo, s6, v3, vcc_lo
	s_delay_alu instid0(VALU_DEP_2) | instskip(NEXT) | instid1(VALU_DEP_2)
	v_add_co_u32 v2, vcc_lo, v2, v65
	v_add_co_ci_u32_e32 v3, vcc_lo, 0, v3, vcc_lo
	global_load_b128 v[2:5], v[2:3], off
	s_waitcnt vmcnt(0)
	ds_store_b128 v1, v[2:5]
.LBB934_10:
	s_or_b32 exec_lo, exec_lo, s4
	v_and_b32_e32 v1, 0xef, v0
	s_waitcnt lgkmcnt(0)
	s_add_i32 s5, s24, 15
	s_clause 0x1
	s_load_b32 s4, s[0:1], 0x38
	s_load_b32 s33, s[0:1], 0x98
	s_ashr_i32 s6, s5, 31
	v_add_nc_u32_e32 v1, s12, v1
	s_lshr_b32 s6, s6, 28
	s_load_b32 s19, s[0:1], 0x1c
	s_add_i32 s5, s5, s6
	s_waitcnt lgkmcnt(0)
	v_ashrrev_i32_e32 v2, 31, v1
	v_or_b32_e32 v3, 16, v1
	s_ashr_i32 s13, s5, 4
	v_cmp_gt_i32_e32 vcc_lo, s24, v1
	s_add_i32 s13, s13, -1
	v_lshrrev_b32_e32 v2, 28, v2
	s_barrier
	buffer_gl0_inv
	s_mul_i32 s15, s15, s18
	v_add_nc_u32_e32 v4, v1, v2
	s_mul_i32 s4, s34, s4
	s_delay_alu instid0(SALU_CYCLE_1) | instskip(NEXT) | instid1(VALU_DEP_1)
	s_ashr_i32 s5, s4, 31
	v_ashrrev_i32_e32 v4, 4, v4
	v_add_nc_u32_e32 v2, v3, v2
	s_lshl_b64 s[4:5], s[4:5], 2
	s_delay_alu instid0(SALU_CYCLE_1) | instskip(NEXT) | instid1(VALU_DEP_2)
	s_add_u32 s16, s2, s4
	v_cndmask_b32_e32 v1, s13, v4, vcc_lo
	s_delay_alu instid0(VALU_DEP_2)
	v_ashrrev_i32_e32 v2, 4, v2
	v_cmp_gt_i32_e32 vcc_lo, s24, v3
	s_addc_u32 s25, s3, s5
	s_ashr_i32 s18, s15, 31
	s_add_u32 s26, s20, s15
	s_addc_u32 s27, s21, s18
	v_cndmask_b32_e32 v3, s13, v2, vcc_lo
	v_ashrrev_i32_e32 v2, 31, v1
	s_lshl_b32 s2, s14, 4
	s_delay_alu instid0(SALU_CYCLE_1) | instskip(NEXT) | instid1(VALU_DEP_2)
	s_ashr_i32 s3, s2, 31
	v_ashrrev_i32_e32 v4, 31, v3
	s_delay_alu instid0(VALU_DEP_2) | instskip(SKIP_1) | instid1(SALU_CYCLE_1)
	v_lshlrev_b64 v[1:2], 2, v[1:2]
	s_lshl_b64 s[2:3], s[2:3], 2
	s_add_u32 s2, s16, s2
	s_delay_alu instid0(VALU_DEP_2) | instskip(SKIP_1) | instid1(VALU_DEP_2)
	v_lshlrev_b64 v[3:4], 2, v[3:4]
	s_addc_u32 s3, s25, s3
	v_add_co_u32 v1, vcc_lo, s16, v1
	v_add_co_ci_u32_e32 v2, vcc_lo, s25, v2, vcc_lo
	s_delay_alu instid0(VALU_DEP_3) | instskip(NEXT) | instid1(VALU_DEP_4)
	v_add_co_u32 v3, vcc_lo, s16, v3
	v_add_co_ci_u32_e32 v4, vcc_lo, s25, v4, vcc_lo
	s_clause 0x1
	global_load_b32 v5, v[1:2], off
	global_load_b32 v7, v[3:4], off
	s_or_b32 s4, s12, 32
	v_lshlrev_b32_e32 v1, 4, v0
	s_ashr_i32 s5, s4, 4
	s_cmp_lt_i32 s4, s24
	s_cselect_b32 s4, s5, s13
	s_delay_alu instid0(VALU_DEP_1) | instskip(SKIP_1) | instid1(SALU_CYCLE_1)
	v_and_b32_e32 v1, 0xf0, v1
	s_ashr_i32 s5, s4, 31
	s_lshl_b64 s[4:5], s[4:5], 2
	s_delay_alu instid0(SALU_CYCLE_1)
	s_add_u32 s4, s16, s4
	s_addc_u32 s5, s25, s5
	s_or_b32 s6, s12, 64
	v_add_co_u32 v1, s26, s26, v1
	s_ashr_i32 s7, s6, 4
	s_cmp_lt_i32 s6, s24
	v_add_co_ci_u32_e64 v2, null, s27, 0, s26
	s_cselect_b32 s6, s7, s13
	s_delay_alu instid0(SALU_CYCLE_1) | instskip(NEXT) | instid1(SALU_CYCLE_1)
	s_ashr_i32 s7, s6, 31
	s_lshl_b64 s[6:7], s[6:7], 2
	s_delay_alu instid0(SALU_CYCLE_1) | instskip(SKIP_2) | instid1(SALU_CYCLE_1)
	s_add_u32 s6, s16, s6
	s_addc_u32 s7, s25, s7
	s_or_b32 s8, s12, 0x60
	s_ashr_i32 s9, s8, 4
	s_cmp_lt_i32 s8, s24
	s_cselect_b32 s8, s9, s13
	s_delay_alu instid0(SALU_CYCLE_1) | instskip(NEXT) | instid1(SALU_CYCLE_1)
	s_ashr_i32 s9, s8, 31
	s_lshl_b64 s[8:9], s[8:9], 2
	s_delay_alu instid0(SALU_CYCLE_1) | instskip(SKIP_2) | instid1(SALU_CYCLE_1)
	s_add_u32 s8, s16, s8
	s_addc_u32 s9, s25, s9
	s_or_b32 s10, s12, 0x80
	s_ashr_i32 s11, s10, 4
	s_cmp_lt_i32 s10, s24
	;; [unrolled: 10-line block ×3, first 2 shown]
	s_cselect_b32 s20, s21, s13
	s_delay_alu instid0(SALU_CYCLE_1) | instskip(NEXT) | instid1(SALU_CYCLE_1)
	s_ashr_i32 s21, s20, 31
	s_lshl_b64 s[20:21], s[20:21], 2
	s_delay_alu instid0(SALU_CYCLE_1)
	s_add_u32 s20, s16, s20
	s_addc_u32 s21, s25, s21
	s_clause 0x5
	s_load_b32 s26, s[2:3], 0x0
	s_load_b32 s27, s[4:5], 0x0
	;; [unrolled: 1-line block ×6, first 2 shown]
	s_or_b32 s2, s12, 0xc0
	s_mov_b32 s4, 0
	s_ashr_i32 s3, s2, 4
	s_cmp_lt_i32 s2, s24
	s_mov_b32 s11, s4
	s_cselect_b32 s2, s3, s13
	s_mov_b32 s5, s4
	s_ashr_i32 s3, s2, 31
	s_mov_b32 s6, s4
	s_lshl_b64 s[2:3], s[2:3], 2
	s_mov_b32 s7, s4
	s_add_u32 s2, s16, s2
	s_addc_u32 s3, s25, s3
	s_or_b32 s20, s12, 0xe0
	s_mov_b32 s8, s4
	s_ashr_i32 s21, s20, 4
	s_cmp_lt_i32 s20, s24
	s_mov_b32 s9, s4
	s_cselect_b32 s20, s21, s13
	s_mov_b32 s10, s4
	s_ashr_i32 s21, s20, 31
	v_mov_b32_e32 v118, s11
	v_dual_mov_b32 v112, s5 :: v_dual_mov_b32 v117, s10
	v_dual_mov_b32 v116, s9 :: v_dual_mov_b32 v115, s8
	;; [unrolled: 1-line block ×3, first 2 shown]
	v_mov_b32_e32 v111, s4
	s_lshl_b64 s[4:5], s[20:21], 2
	s_delay_alu instid0(SALU_CYCLE_1)
	s_add_u32 s4, s16, s4
	s_addc_u32 s5, s25, s5
	s_add_u32 s6, s22, s15
	s_addc_u32 s7, s23, s18
	s_waitcnt vmcnt(1)
	v_mad_i64_i32 v[3:4], null, v5, s17, v[1:2]
	s_waitcnt vmcnt(0)
	v_mad_i64_i32 v[5:6], null, v7, s17, v[1:2]
	v_mul_lo_u16 v1, v68, 52
	v_lshlrev_b32_e32 v2, 4, v68
	s_clause 0xf
	global_load_b128 v[17:20], v[3:4], off
	global_load_b128 v[21:24], v[3:4], off offset:256
	global_load_b128 v[25:28], v[5:6], off
	global_load_b128 v[29:32], v[5:6], off offset:256
	global_load_b128 v[57:60], v[3:4], off offset:512
	global_load_b128 v[61:64], v[3:4], off offset:768
	global_load_b128 v[71:74], v[5:6], off offset:512
	global_load_b128 v[75:78], v[5:6], off offset:768
	global_load_b128 v[79:82], v[3:4], off offset:1024
	global_load_b128 v[83:86], v[3:4], off offset:1280
	global_load_b128 v[87:90], v[5:6], off offset:1024
	global_load_b128 v[91:94], v[5:6], off offset:1280
	global_load_b128 v[95:98], v[3:4], off offset:1536
	global_load_b128 v[99:102], v[3:4], off offset:1792
	global_load_b128 v[103:106], v[5:6], off offset:1536
	global_load_b128 v[107:110], v[5:6], off offset:1792
	v_lshrrev_b16 v1, 8, v1
	s_delay_alu instid0(VALU_DEP_1) | instskip(NEXT) | instid1(VALU_DEP_1)
	v_mul_lo_u16 v1, v1, 5
	v_sub_nc_u16 v1, v68, v1
	s_delay_alu instid0(VALU_DEP_1) | instskip(NEXT) | instid1(VALU_DEP_1)
	v_and_b32_e32 v1, 0xff, v1
	v_lshlrev_b32_e32 v149, 6, v1
	v_lshl_or_b32 v1, v69, 8, v2
	ds_load_b128 v[119:122], v149
	ds_load_b128 v[123:126], v149 offset:1024
	ds_load_b128 v[127:130], v149 offset:2048
	;; [unrolled: 1-line block ×3, first 2 shown]
	s_clause 0x1
	s_load_b32 s2, s[2:3], 0x0
	s_load_b32 s3, s[4:5], 0x0
	v_add_co_u32 v135, s6, s6, v1
	s_delay_alu instid0(VALU_DEP_1) | instskip(SKIP_1) | instid1(VALU_DEP_1)
	v_add_co_ci_u32_e64 v136, null, s7, 0, s6
	s_waitcnt lgkmcnt(0)
	v_mad_i64_i32 v[1:2], null, s26, s17, v[135:136]
	v_mad_i64_i32 v[3:4], null, s27, s17, v[135:136]
	;; [unrolled: 1-line block ×6, first 2 shown]
	s_clause 0x9
	global_load_b128 v[49:52], v[1:2], off
	global_load_b128 v[53:56], v[1:2], off offset:16
	global_load_b128 v[41:44], v[3:4], off
	global_load_b128 v[45:48], v[3:4], off offset:16
	;; [unrolled: 2-line block ×5, first 2 shown]
	v_mad_i64_i32 v[145:146], null, s2, s17, v[135:136]
	v_mad_i64_i32 v[147:148], null, s3, s17, v[135:136]
	s_waitcnt vmcnt(24)
	v_wmma_f32_16x16x16_f16 v[135:142], v[17:24], v[119:126], v[111:118]
	s_waitcnt vmcnt(22)
	v_wmma_f32_16x16x16_f16 v[111:118], v[25:32], v[119:126], v[111:118]
	s_clause 0x3
	global_load_b128 v[17:20], v[143:144], off
	global_load_b128 v[21:24], v[143:144], off offset:16
	global_load_b128 v[25:28], v[145:146], off
	global_load_b128 v[29:32], v[145:146], off offset:16
	v_and_b32_e32 v119, 0xe0, v0
	s_waitcnt vmcnt(24)
	v_wmma_f32_16x16x16_f16 v[135:142], v[57:64], v[127:134], v[135:142]
	s_clause 0x1
	global_load_b128 v[57:60], v[147:148], off
	global_load_b128 v[61:64], v[147:148], off offset:16
	s_waitcnt vmcnt(24)
	v_wmma_f32_16x16x16_f16 v[111:118], v[71:78], v[127:134], v[111:118]
	ds_load_b128 v[71:74], v149 offset:4096
	ds_load_b128 v[75:78], v149 offset:5120
	v_add_nc_u32_e32 v128, s12, v119
	ds_load_b128 v[119:122], v149 offset:6144
	ds_load_b128 v[123:126], v149 offset:7168
	v_mbcnt_lo_u32_b32 v127, -1, 0
	s_waitcnt vmcnt(0) lgkmcnt(0)
	s_barrier
	v_or_b32_e32 v128, v128, v66
	buffer_gl0_inv
	v_xor_b32_e32 v129, 16, v127
	v_or_b32_e32 v130, 4, v128
	v_or_b32_e32 v131, 6, v128
	s_delay_alu instid0(VALU_DEP_3) | instskip(SKIP_4) | instid1(VALU_DEP_4)
	v_cmp_gt_i32_e32 vcc_lo, 32, v129
	v_or_b32_e32 v132, 8, v128
	v_or_b32_e32 v133, 10, v128
	v_cmp_gt_i32_e64 s3, s24, v130
	v_cmp_gt_i32_e64 s4, s24, v131
	;; [unrolled: 1-line block ×3, first 2 shown]
	v_wmma_f32_16x16x16_f16 v[135:142], v[79:86], v[71:78], v[135:142]
	v_wmma_f32_16x16x16_f16 v[111:118], v[87:94], v[71:78], v[111:118]
	v_or_b32_e32 v79, 12, v128
	v_or_b32_e32 v80, 14, v128
	v_cmp_gt_i32_e64 s6, s24, v133
	v_wmma_f32_16x16x16_f16 v[135:142], v[95:102], v[119:126], v[135:142]
	v_wmma_f32_16x16x16_f16 v[111:118], v[103:110], v[119:126], v[111:118]
	v_cndmask_b32_e32 v127, v127, v129, vcc_lo
	v_or_b32_e32 v129, 2, v128
	v_cmp_gt_i32_e32 vcc_lo, s24, v128
	s_delay_alu instid0(VALU_DEP_4) | instskip(SKIP_1) | instid1(VALU_DEP_4)
	v_dual_mul_f32 v87, s19, v136 :: v_dual_mul_f32 v94, s19, v113
	v_mul_f32_e32 v88, s19, v135
	v_cmp_gt_i32_e64 s2, s24, v129
	v_mul_f32_e32 v78, s19, v138
	v_mul_f32_e32 v86, s19, v137
	v_mul_f32_e32 v76, s19, v140
	v_cndmask_b32_e32 v88, 0xff7fffff, v88, vcc_lo
	v_cndmask_b32_e64 v87, 0xff7fffff, v87, s2
	v_dual_mul_f32 v77, s19, v139 :: v_dual_mul_f32 v90, s19, v117
	v_cndmask_b32_e64 v86, 0xff7fffff, v86, s3
	v_cndmask_b32_e64 v78, 0xff7fffff, v78, s4
	s_delay_alu instid0(VALU_DEP_4)
	v_max3_f32 v87, v88, 0xff7fffff, v87
	v_or_b32_e32 v81, 16, v128
	v_or_b32_e32 v82, 18, v128
	v_dual_mul_f32 v74, s19, v142 :: v_dual_mul_f32 v75, s19, v141
	v_mul_f32_e32 v96, s19, v111
	v_cndmask_b32_e64 v77, 0xff7fffff, v77, s5
	v_cndmask_b32_e64 v76, 0xff7fffff, v76, s6
	v_max3_f32 v78, v87, v86, v78
	v_cmp_gt_i32_e64 s7, s24, v79
	v_cmp_gt_i32_e64 s8, s24, v80
	v_or_b32_e32 v83, 20, v128
	v_or_b32_e32 v84, 22, v128
	v_mul_f32_e32 v95, s19, v112
	v_cndmask_b32_e64 v75, 0xff7fffff, v75, s7
	v_cndmask_b32_e64 v74, 0xff7fffff, v74, s8
	v_max3_f32 v76, v78, v77, v76
	v_cmp_gt_i32_e64 s9, s24, v81
	v_cmp_gt_i32_e64 s10, s24, v82
	v_or_b32_e32 v85, 24, v128
	v_or_b32_e32 v71, 26, v128
	;; [unrolled: 8-line block ×3, first 2 shown]
	v_dual_mul_f32 v91, s19, v116 :: v_dual_mul_f32 v92, s19, v115
	v_cndmask_b32_e64 v75, 0xff7fffff, v94, s11
	v_cndmask_b32_e64 v76, 0xff7fffff, v93, s12
	v_max3_f32 v74, v74, v77, v78
	v_cmp_gt_i32_e64 s13, s24, v85
	v_cmp_gt_i32_e64 s15, s24, v71
	v_mul_f32_e32 v89, s19, v118
	v_cmp_gt_i32_e64 s16, s24, v72
	v_max3_f32 v74, v74, v75, v76
	v_cndmask_b32_e64 v77, 0xff7fffff, v92, s13
	v_cndmask_b32_e64 v71, 0xff7fffff, v91, s15
	v_cmp_gt_i32_e64 s17, s24, v73
	v_cndmask_b32_e64 v72, 0xff7fffff, v90, s16
	s_delay_alu instid0(VALU_DEP_3) | instskip(SKIP_1) | instid1(VALU_DEP_4)
	v_max3_f32 v71, v74, v77, v71
	v_lshlrev_b32_e32 v74, 2, v127
	v_cndmask_b32_e64 v73, 0xff7fffff, v89, s17
	s_delay_alu instid0(VALU_DEP_1) | instskip(SKIP_3) | instid1(VALU_DEP_1)
	v_max3_f32 v71, v71, v72, v73
	ds_bpermute_b32 v72, v74, v71
	s_waitcnt lgkmcnt(0)
	v_max_f32_e32 v72, v72, v72
	v_max_f32_e32 v71, v71, v72
	s_delay_alu instid0(VALU_DEP_1) | instskip(SKIP_4) | instid1(VALU_DEP_4)
	v_fma_f32 v72, s19, v135, -v71
	v_fma_f32 v73, s19, v136, -v71
	;; [unrolled: 1-line block ×5, first 2 shown]
	v_dual_mul_f32 v72, 0x3fb8aa3b, v72 :: v_dual_mul_f32 v73, 0x3fb8aa3b, v73
	s_delay_alu instid0(VALU_DEP_3) | instskip(SKIP_1) | instid1(VALU_DEP_3)
	v_dual_mul_f32 v75, 0x3fb8aa3b, v75 :: v_dual_mul_f32 v76, 0x3fb8aa3b, v76
	v_fma_f32 v80, s19, v141, -v71
	v_exp_f32_e32 v72, v72
	s_delay_alu instid0(VALU_DEP_3) | instskip(NEXT) | instid1(VALU_DEP_2)
	v_exp_f32_e32 v73, v73
	v_exp_f32_e32 v75, v75
	;; [unrolled: 1-line block ×3, first 2 shown]
	v_mul_f32_e32 v82, 0x3fb8aa3b, v80
	s_delay_alu instid0(VALU_DEP_1) | instskip(SKIP_4) | instid1(TRANS32_DEP_3)
	v_exp_f32_e32 v84, v82
	v_cndmask_b32_e32 v79, 0, v72, vcc_lo
	v_fma_f32 v72, s19, v140, -v71
	v_mul_f32_e32 v77, 0x3fb8aa3b, v77
	v_cndmask_b32_e64 v78, 0, v73, s2
	v_cndmask_b32_e64 v81, 0, v75, s3
	s_delay_alu instid0(VALU_DEP_4) | instskip(NEXT) | instid1(VALU_DEP_4)
	v_dual_add_f32 v73, 0, v79 :: v_dual_mul_f32 v72, 0x3fb8aa3b, v72
	v_exp_f32_e32 v77, v77
	v_cndmask_b32_e64 v80, 0, v76, s4
	s_delay_alu instid0(TRANS32_DEP_2) | instskip(NEXT) | instid1(VALU_DEP_3)
	v_cndmask_b32_e64 v85, 0, v84, s7
	v_add_f32_e32 v73, v73, v78
	v_exp_f32_e32 v72, v72
	v_cmp_gt_u32_e64 s2, 16, v70
	s_delay_alu instid0(VALU_DEP_2) | instskip(NEXT) | instid1(TRANS32_DEP_2)
	v_add_f32_e32 v73, v73, v81
	v_cndmask_b32_e64 v83, 0, v77, s5
	s_delay_alu instid0(VALU_DEP_2) | instskip(SKIP_3) | instid1(VALU_DEP_1)
	v_add_f32_e32 v73, v73, v80
	s_waitcnt_depctr 0xfff
	v_cndmask_b32_e64 v82, 0, v72, s6
	v_add_f32_e32 v72, v73, v83
	v_add_f32_e32 v72, v72, v82
	s_delay_alu instid0(VALU_DEP_1)
	v_add_f32_e32 v72, v72, v85
	v_fma_f32 v76, s19, v111, -v71
	v_fma_f32 v75, s19, v142, -v71
	;; [unrolled: 1-line block ×5, first 2 shown]
	s_delay_alu instid0(VALU_DEP_4) | instskip(NEXT) | instid1(VALU_DEP_3)
	v_dual_mul_f32 v76, 0x3fb8aa3b, v76 :: v_dual_mul_f32 v75, 0x3fb8aa3b, v75
	v_mul_f32_e32 v86, 0x3fb8aa3b, v86
	s_delay_alu instid0(VALU_DEP_2) | instskip(NEXT) | instid1(VALU_DEP_2)
	v_exp_f32_e32 v76, v76
	v_exp_f32_e32 v75, v75
	s_delay_alu instid0(VALU_DEP_1) | instskip(NEXT) | instid1(TRANS32_DEP_3)
	v_exp_f32_e32 v88, v86
	v_cndmask_b32_e64 v87, 0, v76, s9
	v_fma_f32 v76, s19, v116, -v71
	v_mul_f32_e32 v77, 0x3fb8aa3b, v77
	s_waitcnt_depctr 0xfff
	v_cndmask_b32_e64 v84, 0, v75, s8
	v_fma_f32 v75, s19, v115, -v71
	v_cndmask_b32_e64 v88, 0, v88, s12
	v_mul_f32_e32 v76, 0x3fb8aa3b, v76
	v_exp_f32_e32 v77, v77
	v_add_f32_e32 v72, v72, v84
	s_delay_alu instid0(VALU_DEP_2) | instskip(NEXT) | instid1(VALU_DEP_1)
	v_exp_f32_e32 v76, v76
	v_add_f32_e32 v72, v72, v87
	s_waitcnt_depctr 0xfff
	v_cndmask_b32_e64 v86, 0, v77, s10
	v_mul_f32_e32 v73, 0x3fb8aa3b, v73
	v_fma_f32 v77, s19, v117, -v71
	v_cndmask_b32_e64 v90, 0, v76, s15
	s_delay_alu instid0(VALU_DEP_4) | instskip(NEXT) | instid1(VALU_DEP_4)
	v_add_f32_e32 v72, v72, v86
	v_exp_f32_e32 v73, v73
	s_waitcnt_depctr 0xfff
	v_cndmask_b32_e64 v89, 0, v73, s11
	s_delay_alu instid0(VALU_DEP_1) | instskip(NEXT) | instid1(VALU_DEP_1)
	v_dual_mul_f32 v75, 0x3fb8aa3b, v75 :: v_dual_add_f32 v72, v72, v89
	v_exp_f32_e32 v75, v75
	v_mul_f32_e32 v73, 0x3fb8aa3b, v77
	v_fma_f32 v77, s19, v118, -v71
	s_delay_alu instid0(VALU_DEP_3) | instskip(NEXT) | instid1(VALU_DEP_3)
	v_add_f32_e32 v72, v72, v88
	v_exp_f32_e32 v73, v73
	s_waitcnt_depctr 0xfff
	v_cndmask_b32_e64 v91, 0, v75, s13
	s_delay_alu instid0(VALU_DEP_1) | instskip(NEXT) | instid1(VALU_DEP_1)
	v_dual_mul_f32 v75, 0x3fb8aa3b, v77 :: v_dual_add_f32 v72, v72, v91
	v_exp_f32_e32 v75, v75
	v_cndmask_b32_e64 v93, 0, v73, s16
	s_delay_alu instid0(VALU_DEP_2) | instskip(NEXT) | instid1(VALU_DEP_1)
	v_add_f32_e32 v72, v72, v90
	v_add_f32_e32 v72, v72, v93
	s_waitcnt_depctr 0xfff
	v_cndmask_b32_e64 v92, 0, v75, s17
	s_delay_alu instid0(VALU_DEP_1)
	v_add_f32_e32 v72, v72, v92
	ds_bpermute_b32 v73, v74, v72
	s_and_saveexec_b32 s3, s2
	s_cbranch_execz .LBB934_12
; %bb.11:
	v_mul_u32_u24_e32 v70, 0x44, v69
	s_waitcnt lgkmcnt(0)
	v_add_f32_e32 v72, v72, v73
	s_delay_alu instid0(VALU_DEP_2) | instskip(NEXT) | instid1(VALU_DEP_1)
	v_lshl_add_u32 v70, v68, 2, v70
	v_add_nc_u32_e32 v70, 0x4000, v70
	ds_store_2addr_b32 v70, v71, v72 offset1:136
.LBB934_12:
	s_or_b32 exec_lo, exec_lo, s3
	v_lshlrev_b32_e32 v70, 2, v68
	s_load_b32 s35, s[0:1], 0x94
	s_waitcnt lgkmcnt(0)
	s_barrier
	buffer_gl0_inv
	v_add_nc_u32_e32 v98, 0x4000, v70
	v_cmp_eq_u32_e32 vcc_lo, 1, v69
	v_cmp_eq_u32_e64 s3, 2, v69
	v_cmp_eq_u32_e64 s4, 3, v69
	;; [unrolled: 1-line block ×3, first 2 shown]
	ds_load_2addr_b32 v[70:71], v98 offset1:17
	ds_load_2addr_b32 v[72:73], v98 offset0:34 offset1:51
	ds_load_2addr_b32 v[74:75], v98 offset0:68 offset1:85
	;; [unrolled: 1-line block ×3, first 2 shown]
	v_cmp_eq_u32_e64 s6, 5, v69
	v_cmp_eq_u32_e64 s7, 7, v69
	s_waitcnt lgkmcnt(3)
	v_max3_f32 v76, v70, 0xff7fffff, v71
	s_waitcnt lgkmcnt(2)
	s_delay_alu instid0(VALU_DEP_1) | instskip(SKIP_1) | instid1(VALU_DEP_1)
	v_max3_f32 v76, v76, v72, v73
	s_waitcnt lgkmcnt(1)
	v_max3_f32 v76, v76, v74, v75
	s_waitcnt lgkmcnt(0)
	s_delay_alu instid0(VALU_DEP_1) | instskip(NEXT) | instid1(VALU_DEP_1)
	v_max3_f32 v76, v76, v94, v95
	v_sub_f32_e32 v77, v71, v76
	ds_load_2addr_b32 v[96:97], v98 offset0:136 offset1:153
	v_sub_f32_e32 v74, v74, v76
	v_sub_f32_e32 v70, v70, v76
	;; [unrolled: 1-line block ×3, first 2 shown]
	v_dual_sub_f32 v72, v72, v76 :: v_dual_mul_f32 v77, 0x3fb8aa3b, v77
	s_delay_alu instid0(VALU_DEP_4) | instskip(NEXT) | instid1(VALU_DEP_4)
	v_mul_f32_e32 v103, 0x3fb8aa3b, v74
	v_mul_f32_e32 v99, 0x3fb8aa3b, v70
	ds_load_2addr_b32 v[70:71], v98 offset0:170 offset1:187
	v_dual_mul_f32 v101, 0x3fb8aa3b, v72 :: v_dual_mul_f32 v94, 0x3fb8aa3b, v94
	v_exp_f32_e32 v102, v77
	v_exp_f32_e32 v99, v99
	s_delay_alu instid0(VALU_DEP_1) | instskip(NEXT) | instid1(VALU_DEP_1)
	v_exp_f32_e32 v101, v101
	v_exp_f32_e32 v94, v94
	s_waitcnt lgkmcnt(1)
	s_delay_alu instid0(TRANS32_DEP_3)
	v_fma_f32 v77, v99, v96, 0
	v_sub_f32_e32 v100, v73, v76
	ds_load_2addr_b32 v[72:73], v98 offset0:204 offset1:221
	v_fmac_f32_e32 v77, v102, v97
	v_exp_f32_e32 v97, v103
	s_waitcnt lgkmcnt(1)
	s_delay_alu instid0(VALU_DEP_1)
	v_dual_fmac_f32 v77, v101, v70 :: v_dual_sub_f32 v96, v75, v76
	ds_load_2addr_b32 v[74:75], v98 offset0:238 offset1:255
	v_sub_f32_e32 v70, v95, v76
	s_waitcnt lgkmcnt(0)
	s_barrier
	v_mul_f32_e32 v96, 0x3fb8aa3b, v96
	buffer_gl0_inv
	v_exp_f32_e32 v95, v96
	v_mul_f32_e32 v100, 0x3fb8aa3b, v100
	s_delay_alu instid0(VALU_DEP_1) | instskip(SKIP_3) | instid1(VALU_DEP_2)
	v_exp_f32_e32 v100, v100
	s_waitcnt_depctr 0xfff
	v_dual_fmac_f32 v77, v100, v71 :: v_dual_mul_f32 v70, 0x3fb8aa3b, v70
	v_cndmask_b32_e32 v71, v99, v102, vcc_lo
	v_fmac_f32_e32 v77, v97, v72
	s_delay_alu instid0(VALU_DEP_3) | instskip(NEXT) | instid1(VALU_DEP_1)
	v_exp_f32_e32 v96, v70
	v_fmac_f32_e32 v77, v95, v73
	s_delay_alu instid0(VALU_DEP_1) | instskip(SKIP_2) | instid1(VALU_DEP_1)
	v_fmac_f32_e32 v77, v94, v74
	s_waitcnt_depctr 0xfff
	v_fmac_f32_e32 v77, v96, v75
	v_add_f32_e32 v74, 0x358637bd, v77
	s_delay_alu instid0(VALU_DEP_1) | instskip(SKIP_1) | instid1(VALU_DEP_2)
	v_div_scale_f32 v98, null, v74, v74, 1.0
	v_div_scale_f32 v99, vcc_lo, 1.0, v74, 1.0
	v_rcp_f32_e32 v103, v98
	s_waitcnt_depctr 0xfff
	v_fma_f32 v70, -v98, v103, 1.0
	s_delay_alu instid0(VALU_DEP_1) | instskip(SKIP_2) | instid1(VALU_DEP_2)
	v_fmac_f32_e32 v103, v70, v103
	v_cndmask_b32_e64 v70, v71, v101, s3
	v_cmp_eq_u32_e64 s3, 6, v69
	v_cndmask_b32_e64 v71, v70, v100, s4
	s_delay_alu instid0(VALU_DEP_4) | instskip(NEXT) | instid1(VALU_DEP_2)
	v_dual_mul_f32 v101, v99, v103 :: v_dual_lshlrev_b32 v70, 2, v66
	v_cndmask_b32_e64 v71, v71, v97, s5
	s_delay_alu instid0(VALU_DEP_2) | instskip(NEXT) | instid1(VALU_DEP_3)
	v_or_b32_e32 v72, 1, v70
	v_fma_f32 v100, -v98, v101, v99
	v_cmp_eq_u32_e64 s4, 1, v70
	v_cmp_eq_u32_e64 s5, 2, v70
	v_cndmask_b32_e64 v95, v71, v95, s6
	v_or_b32_e32 v71, 3, v70
	v_fmac_f32_e32 v101, v100, v103
	v_cmp_eq_u32_e64 s9, 1, v72
	v_cmp_eq_u32_e64 s12, 2, v72
	v_cndmask_b32_e64 v94, v95, v94, s3
	v_cmp_eq_u32_e64 s11, 1, v71
	v_fma_f32 v97, -v98, v101, v99
	v_cmp_eq_u32_e64 s16, 2, v71
	v_cmp_eq_u32_e64 s13, 3, v72
	v_cndmask_b32_e64 v94, v94, v96, s7
	v_cmp_eq_u32_e64 s18, 3, v71
	v_div_fmas_f32 v95, v97, v103, v101
	v_cmp_eq_u32_e32 vcc_lo, 3, v70
	v_cmp_eq_u32_e64 s3, 4, v70
	v_cmp_eq_u32_e64 s19, 4, v72
	;; [unrolled: 1-line block ×3, first 2 shown]
	v_div_fixup_f32 v95, v95, v74, 1.0
	v_lshlrev_b32_e32 v73, 6, v68
	v_cmp_eq_u32_e64 s6, 5, v70
	v_cmp_eq_u32_e64 s20, 5, v72
	;; [unrolled: 1-line block ×3, first 2 shown]
	v_mul_f32_e32 v102, v94, v95
	v_lshl_or_b32 v75, v69, 11, v73
	v_or_b32_e32 v69, 2, v70
	v_cmp_eq_u32_e64 s25, 6, v72
	v_cmp_eq_u32_e64 s27, 6, v71
	v_fma_mixlo_f16 v94, v102, v79, 0
	v_fma_mixlo_f16 v95, v102, v81, 0
	;; [unrolled: 1-line block ×8, first 2 shown]
	v_lshl_or_b32 v74, v66, 4, v75
	v_fma_mixhi_f16 v94, v102, v78, 0
	v_fma_mixhi_f16 v95, v102, v80, 0
	;; [unrolled: 1-line block ×8, first 2 shown]
	ds_store_b128 v74, v[94:97]
	ds_store_b128 v74, v[98:101] offset:1024
	s_waitcnt lgkmcnt(0)
	s_barrier
	buffer_gl0_inv
	ds_load_b128 v[78:81], v75
	ds_load_b128 v[82:85], v75 offset:16
	ds_load_b128 v[86:89], v75 offset:1024
	ds_load_b128 v[90:93], v75 offset:1040
	v_cmp_eq_u32_e64 s10, 1, v69
	v_cmp_eq_u32_e64 s15, 2, v69
	;; [unrolled: 1-line block ×11, first 2 shown]
	s_waitcnt lgkmcnt(3)
	v_lshrrev_b32_e32 v94, 16, v78
	s_waitcnt lgkmcnt(2)
	v_lshrrev_b32_e32 v98, 16, v82
	;; [unrolled: 2-line block ×4, first 2 shown]
	v_lshrrev_b32_e32 v95, 16, v79
	v_cndmask_b32_e64 v110, v78, v94, s4
	v_cndmask_b32_e64 v111, v82, v98, s4
	;; [unrolled: 1-line block ×8, first 2 shown]
	v_lshrrev_b32_e32 v99, 16, v83
	v_cndmask_b32_e64 v94, v86, v102, s4
	v_cndmask_b32_e64 v98, v90, v106, s4
	;; [unrolled: 1-line block ×15, first 2 shown]
	v_lshrrev_b32_e32 v103, 16, v87
	v_lshrrev_b32_e32 v107, 16, v91
	v_cndmask_b32_e64 v113, v115, v83, s15
	v_cndmask_b32_e64 v82, v94, v87, s5
	;; [unrolled: 1-line block ×7, first 2 shown]
	v_cndmask_b32_e32 v90, v102, v95, vcc_lo
	v_cndmask_b32_e32 v102, v106, v99, vcc_lo
	v_cndmask_b32_e64 v106, v110, v95, s13
	v_cndmask_b32_e64 v110, v111, v99, s13
	;; [unrolled: 1-line block ×4, first 2 shown]
	v_lshrrev_b32_e32 v96, 16, v80
	v_lshrrev_b32_e32 v100, 16, v84
	v_cndmask_b32_e64 v111, v112, v95, s17
	v_cndmask_b32_e64 v112, v113, v99, s17
	v_cndmask_b32_e32 v82, v82, v103, vcc_lo
	v_cndmask_b32_e32 v83, v83, v107, vcc_lo
	v_cndmask_b32_e64 v94, v94, v103, s13
	v_cndmask_b32_e64 v90, v90, v80, s3
	;; [unrolled: 1-line block ×7, first 2 shown]
	v_lshrrev_b32_e32 v104, 16, v88
	v_cndmask_b32_e64 v106, v111, v80, s21
	v_cndmask_b32_e64 v110, v112, v84, s21
	;; [unrolled: 1-line block ×11, first 2 shown]
	v_lshrrev_b32_e32 v97, 16, v81
	v_lshrrev_b32_e32 v101, 16, v85
	v_cndmask_b32_e64 v99, v106, v96, s23
	v_cndmask_b32_e64 v102, v110, v100, s23
	;; [unrolled: 1-line block ×7, first 2 shown]
	v_lshrrev_b32_e32 v105, 16, v89
	v_cndmask_b32_e64 v80, v80, v104, s6
	v_cndmask_b32_e64 v84, v84, v81, s7
	;; [unrolled: 1-line block ×16, first 2 shown]
	v_perm_b32 v81, v79, v78, 0x5040100
	v_perm_b32 v79, v95, v85, 0x5040100
	v_cndmask_b32_e64 v78, v119, v91, s15
	v_cndmask_b32_e64 v85, v117, v91, s12
	v_cndmask_b32_e64 v96, v80, v105, s8
	v_perm_b32 v80, v94, v90, 0x5040100
	v_cndmask_b32_e64 v90, v98, v103, s17
	v_cndmask_b32_e64 v86, v86, v103, s18
	;; [unrolled: 1-line block ×5, first 2 shown]
	v_lshrrev_b32_e32 v108, 16, v92
	v_cndmask_b32_e64 v90, v90, v88, s21
	v_cndmask_b32_e64 v86, v86, v88, s22
	v_cndmask_b32_e64 v87, v87, v92, s22
	v_cndmask_b32_e64 v78, v78, v92, s21
	v_cndmask_b32_e64 v85, v85, v92, s19
	v_cndmask_b32_e64 v82, v82, v108, s6
	v_cndmask_b32_e64 v88, v90, v104, s23
	v_cndmask_b32_e64 v86, v86, v104, s24
	v_cndmask_b32_e64 v87, v87, v108, s24
	v_cndmask_b32_e64 v78, v78, v108, s23
	v_cndmask_b32_e64 v85, v85, v108, s20
	v_lshrrev_b32_e32 v109, 16, v93
	v_cndmask_b32_e64 v82, v82, v93, s7
	v_cndmask_b32_e64 v88, v88, v89, s26
	;; [unrolled: 1-line block ×12, first 2 shown]
	v_perm_b32 v78, v84, v83, 0x5040100
	v_perm_b32 v85, v87, v86, 0x5040100
	;; [unrolled: 1-line block ×5, first 2 shown]
	s_mul_i32 s8, s33, 5
	s_mov_b32 s3, exec_lo
	ds_store_b128 v74, v[78:81]
	ds_store_b128 v74, v[82:85] offset:1024
	v_cmpx_gt_u32_e32 5, v0
	s_cbranch_execz .LBB934_14
; %bb.13:
	s_mul_i32 s4, s8, s34
	s_delay_alu instid0(SALU_CYCLE_1) | instskip(SKIP_1) | instid1(VALU_DEP_1)
	v_add3_u32 v68, s4, s31, v68
	s_load_b128 s[4:7], s[0:1], 0x58
	v_mad_u64_u32 v[78:79], null, v68, s35, s[14:15]
	s_delay_alu instid0(VALU_DEP_1) | instskip(NEXT) | instid1(VALU_DEP_1)
	v_ashrrev_i32_e32 v79, 31, v78
	v_lshlrev_b64 v[78:79], 2, v[78:79]
	s_waitcnt lgkmcnt(0)
	s_delay_alu instid0(VALU_DEP_1) | instskip(NEXT) | instid1(VALU_DEP_2)
	v_add_co_u32 v80, vcc_lo, s6, v78
	v_add_co_ci_u32_e32 v81, vcc_lo, s7, v79, vcc_lo
	v_add_co_u32 v78, vcc_lo, s4, v78
	v_add_co_ci_u32_e32 v79, vcc_lo, s5, v79, vcc_lo
	global_store_b32 v[80:81], v76, off
	global_store_b32 v[78:79], v77, off
.LBB934_14:
	s_or_b32 exec_lo, exec_lo, s3
	s_waitcnt lgkmcnt(0)
	s_waitcnt_vscnt null, 0x0
	s_barrier
	buffer_gl0_inv
	ds_load_b128 v[84:87], v73
	ds_load_b128 v[88:91], v73 offset:16
	ds_load_b128 v[96:99], v73 offset:2064
	ds_load_b128 v[92:95], v73 offset:2048
	ds_load_b128 v[104:107], v73 offset:4112
	ds_load_b128 v[100:103], v73 offset:4096
	v_cmp_eq_u32_e32 vcc_lo, 1, v70
	v_mov_b32_e32 v76, 0
	ds_load_b128 v[112:115], v73 offset:6160
	ds_load_b128 v[108:111], v73 offset:6144
	ds_load_b128 v[120:123], v73 offset:8208
	ds_load_b128 v[116:119], v73 offset:8192
	v_cmp_eq_u32_e64 s4, 1, v69
	v_cmp_eq_u32_e64 s3, 1, v72
	;; [unrolled: 1-line block ×3, first 2 shown]
	v_mov_b32_e32 v77, v76
	v_mov_b32_e32 v78, v76
	;; [unrolled: 1-line block ×7, first 2 shown]
	v_cmp_eq_u32_e64 s6, 3, v72
	v_cmp_eq_u32_e64 s7, 7, v72
	s_waitcnt lgkmcnt(8)
	s_delay_alu instid0(VALU_DEP_3)
	v_wmma_f32_16x16x16_f16 v[76:83], v[49:56], v[84:91], v[76:83]
	ds_load_b128 v[53:56], v73 offset:10256
	ds_load_b128 v[49:52], v73 offset:10240
	s_waitcnt lgkmcnt(8)
	v_wmma_f32_16x16x16_f16 v[76:83], v[41:48], v[92:99], v[76:83]
	ds_load_b128 v[45:48], v73 offset:12304
	ds_load_b128 v[41:44], v73 offset:12288
	s_waitcnt lgkmcnt(8)
	;; [unrolled: 4-line block ×3, first 2 shown]
	s_barrier
	buffer_gl0_inv
	v_wmma_f32_16x16x16_f16 v[76:83], v[1:8], v[108:115], v[76:83]
	s_delay_alu instid0(VALU_DEP_1) | instskip(NEXT) | instid1(VALU_DEP_1)
	v_wmma_f32_16x16x16_f16 v[76:83], v[9:16], v[116:123], v[76:83]
	v_wmma_f32_16x16x16_f16 v[76:83], v[17:24], v[49:56], v[76:83]
	s_delay_alu instid0(VALU_DEP_1) | instskip(NEXT) | instid1(VALU_DEP_1)
	v_wmma_f32_16x16x16_f16 v[76:83], v[25:32], v[41:48], v[76:83]
	v_wmma_f32_16x16x16_f16 v[76:83], v[57:64], v[33:40], v[76:83]
	s_delay_alu instid0(VALU_DEP_1) | instskip(NEXT) | instid1(VALU_DEP_2)
	v_cvt_f16_f32_e32 v1, v76
	v_cvt_f16_f32_e32 v2, v77
	s_delay_alu instid0(VALU_DEP_3) | instskip(NEXT) | instid1(VALU_DEP_4)
	v_cvt_f16_f32_e32 v3, v78
	v_cvt_f16_f32_e32 v4, v79
	;; [unrolled: 1-line block ×6, first 2 shown]
	v_pack_b32_f16 v1, v1, v2
	v_pack_b32_f16 v2, v3, v4
	;; [unrolled: 1-line block ×3, first 2 shown]
	s_delay_alu instid0(VALU_DEP_4)
	v_pack_b32_f16 v4, v7, v8
	ds_store_b128 v74, v[1:4]
	s_waitcnt lgkmcnt(0)
	s_barrier
	buffer_gl0_inv
	ds_load_b128 v[1:4], v75
	ds_load_b128 v[5:8], v75 offset:16
	s_waitcnt lgkmcnt(1)
	v_lshrrev_b32_e32 v9, 16, v1
	s_waitcnt lgkmcnt(0)
	v_lshrrev_b32_e32 v13, 16, v5
	v_lshrrev_b32_e32 v10, 16, v2
	;; [unrolled: 1-line block ×4, first 2 shown]
	v_cndmask_b32_e32 v17, v1, v9, vcc_lo
	v_cndmask_b32_e32 v18, v5, v13, vcc_lo
	v_cndmask_b32_e64 v21, v1, v9, s4
	v_cmp_eq_u32_e32 vcc_lo, 1, v71
	v_cndmask_b32_e64 v22, v5, v13, s4
	v_cmp_eq_u32_e64 s4, 2, v70
	v_cndmask_b32_e64 v19, v1, v9, s3
	v_cndmask_b32_e64 v20, v5, v13, s3
	v_cndmask_b32_e32 v1, v1, v9, vcc_lo
	v_cmp_eq_u32_e64 s3, 2, v71
	v_cndmask_b32_e32 v5, v5, v13, vcc_lo
	v_cndmask_b32_e64 v9, v17, v2, s4
	v_cmp_eq_u32_e32 vcc_lo, 3, v70
	v_cndmask_b32_e64 v13, v18, v6, s4
	v_cmp_eq_u32_e64 s4, 2, v69
	v_cndmask_b32_e64 v17, v19, v2, s5
	v_cndmask_b32_e64 v18, v20, v6, s5
	v_cmp_eq_u32_e64 s5, 3, v69
	v_cndmask_b32_e64 v1, v1, v2, s3
	v_cndmask_b32_e64 v19, v21, v2, s4
	v_cndmask_b32_e64 v20, v22, v6, s4
	v_cndmask_b32_e64 v2, v5, v6, s3
	v_cndmask_b32_e32 v5, v9, v10, vcc_lo
	v_cndmask_b32_e32 v6, v13, v14, vcc_lo
	v_cmp_eq_u32_e32 vcc_lo, 3, v71
	v_cndmask_b32_e64 v9, v17, v10, s6
	v_cndmask_b32_e64 v13, v18, v14, s6
	;; [unrolled: 1-line block ×3, first 2 shown]
	v_cmp_eq_u32_e64 s4, 4, v70
	v_cndmask_b32_e32 v1, v1, v10, vcc_lo
	v_cndmask_b32_e32 v2, v2, v14, vcc_lo
	v_cmp_eq_u32_e32 vcc_lo, 4, v72
	v_lshrrev_b32_e32 v15, 16, v7
	v_lshrrev_b32_e32 v16, 16, v8
	v_cndmask_b32_e64 v17, v19, v10, s5
	v_cmp_eq_u32_e64 s3, 4, v71
	v_cndmask_b32_e64 v5, v5, v3, s4
	v_cndmask_b32_e64 v6, v6, v7, s4
	v_cndmask_b32_e32 v9, v9, v3, vcc_lo
	v_cmp_eq_u32_e64 s4, 5, v72
	v_cndmask_b32_e32 v10, v13, v7, vcc_lo
	v_cmp_eq_u32_e32 vcc_lo, 4, v69
	v_cmp_eq_u32_e64 s5, 5, v70
	v_cndmask_b32_e64 v2, v2, v7, s3
	v_cndmask_b32_e64 v9, v9, v11, s4
	v_cndmask_b32_e64 v10, v10, v15, s4
	v_cndmask_b32_e32 v13, v17, v3, vcc_lo
	v_cmp_eq_u32_e64 s4, 5, v69
	v_cndmask_b32_e32 v14, v18, v7, vcc_lo
	v_cndmask_b32_e64 v1, v1, v3, s3
	v_cmp_eq_u32_e32 vcc_lo, 5, v71
	v_lshrrev_b32_e32 v12, 16, v4
	v_cndmask_b32_e64 v13, v13, v11, s4
	v_cndmask_b32_e64 v3, v14, v15, s4
	v_cmp_eq_u32_e64 s4, 6, v71
	v_cndmask_b32_e32 v1, v1, v11, vcc_lo
	v_cndmask_b32_e64 v5, v5, v11, s5
	v_cmp_eq_u32_e64 s6, 6, v70
	v_cndmask_b32_e64 v6, v6, v15, s5
	v_cmp_eq_u32_e64 s5, 6, v72
	v_cmp_eq_u32_e64 s3, 6, v69
	v_cndmask_b32_e64 v1, v1, v4, s4
	v_cndmask_b32_e32 v2, v2, v15, vcc_lo
	v_cmp_eq_u32_e32 vcc_lo, 7, v71
	v_cndmask_b32_e64 v5, v5, v4, s6
	v_cndmask_b32_e64 v9, v9, v4, s5
	;; [unrolled: 1-line block ×3, first 2 shown]
	v_cmp_eq_u32_e64 s6, 7, v70
	v_cndmask_b32_e32 v1, v1, v12, vcc_lo
	v_cndmask_b32_e64 v7, v13, v4, s3
	v_cndmask_b32_e64 v3, v3, v8, s3
	;; [unrolled: 1-line block ×3, first 2 shown]
	v_cmp_eq_u32_e64 s3, 7, v69
	v_cndmask_b32_e64 v4, v10, v8, s5
	v_cndmask_b32_e64 v5, v5, v12, s6
	v_cndmask_b32_e64 v9, v9, v12, s7
	v_cndmask_b32_e32 v2, v2, v16, vcc_lo
	v_cndmask_b32_e64 v7, v7, v12, s3
	v_cndmask_b32_e64 v3, v3, v16, s3
	;; [unrolled: 1-line block ×4, first 2 shown]
	v_perm_b32 v4, v2, v1, 0x5040100
	s_mov_b32 s3, exec_lo
	v_perm_b32 v3, v3, v7, 0x5040100
	v_perm_b32 v2, v8, v9, 0x5040100
	;; [unrolled: 1-line block ×3, first 2 shown]
	ds_store_b128 v74, v[1:4]
	s_waitcnt lgkmcnt(0)
	s_barrier
	buffer_gl0_inv
	v_cmpx_gt_u32_e32 32, v0
	s_cbranch_execz .LBB934_2
; %bb.15:
	s_load_b64 s[4:5], s[0:1], 0x68
	v_lshlrev_b32_e32 v0, 10, v0
	v_add_nc_u32_e32 v2, s31, v66
	v_lshlrev_b32_e32 v3, 4, v67
	s_lshl_b32 s0, s35, 7
	s_delay_alu instid0(SALU_CYCLE_1) | instskip(NEXT) | instid1(VALU_DEP_2)
	s_mul_i32 s1, s0, s34
	v_mul_lo_u32 v1, v2, s0
	s_delay_alu instid0(VALU_DEP_2) | instskip(SKIP_2) | instid1(SALU_CYCLE_1)
	v_and_or_b32 v0, 0x3800, v0, v3
	v_add_nc_u32_e32 v2, 2, v2
	s_mul_i32 s6, s1, s8
	s_ashr_i32 s7, s6, 31
	s_delay_alu instid0(VALU_DEP_2)
	v_lshl_or_b32 v7, v66, 6, v0
	s_lshl_b64 s[6:7], s[6:7], 1
	v_mul_lo_u32 v11, v2, s0
	v_ashrrev_i32_e32 v2, 31, v1
	ds_load_b128 v[3:6], v7
	ds_load_b128 v[7:10], v7 offset:128
	s_waitcnt lgkmcnt(0)
	s_add_u32 s1, s4, s6
	s_addc_u32 s3, s5, s7
	s_lshl_b32 s4, s14, 7
	v_ashrrev_i32_e32 v12, 31, v11
	s_ashr_i32 s5, s4, 31
	v_lshlrev_b64 v[13:14], 1, v[1:2]
	s_lshl_b64 s[4:5], s[4:5], 1
	s_delay_alu instid0(SALU_CYCLE_1) | instskip(SKIP_2) | instid1(VALU_DEP_1)
	s_add_u32 s1, s1, s4
	s_addc_u32 s3, s3, s5
	v_add_co_u32 v1, s1, s1, v65
	v_add_co_ci_u32_e64 v2, null, s3, 0, s1
	v_lshlrev_b64 v[11:12], 1, v[11:12]
	s_delay_alu instid0(VALU_DEP_3) | instskip(NEXT) | instid1(VALU_DEP_3)
	v_add_co_u32 v13, vcc_lo, v1, v13
	v_add_co_ci_u32_e32 v14, vcc_lo, v2, v14, vcc_lo
	s_delay_alu instid0(VALU_DEP_3) | instskip(NEXT) | instid1(VALU_DEP_4)
	v_add_co_u32 v11, vcc_lo, v1, v11
	v_add_co_ci_u32_e32 v12, vcc_lo, v2, v12, vcc_lo
	s_clause 0x1
	global_store_b128 v[13:14], v[3:6], off
	global_store_b128 v[11:12], v[7:10], off
	s_and_b32 exec_lo, exec_lo, s2
	s_cbranch_execz .LBB934_2
; %bb.16:
	ds_load_b128 v[3:6], v0 offset:256
	s_add_i32 s1, s31, 4
	s_delay_alu instid0(SALU_CYCLE_1) | instskip(NEXT) | instid1(SALU_CYCLE_1)
	s_mul_i32 s0, s1, s0
	s_ashr_i32 s1, s0, 31
	s_delay_alu instid0(SALU_CYCLE_1) | instskip(NEXT) | instid1(SALU_CYCLE_1)
	s_lshl_b64 s[0:1], s[0:1], 1
	v_add_co_u32 v0, vcc_lo, v1, s0
	v_add_co_ci_u32_e32 v1, vcc_lo, s1, v2, vcc_lo
	s_waitcnt lgkmcnt(0)
	global_store_b128 v[0:1], v[3:6], off
	s_nop 0
	s_sendmsg sendmsg(MSG_DEALLOC_VGPRS)
	s_endpgm
	.section	.rodata,"a",@progbits
	.p2align	6, 0x0
	.amdhsa_kernel _Z39paged_attention_ll4mi_QKV_mfma16_kernelIDF16_hLN4vllm18Fp8KVCacheDataTypeE1EhLi16ELi128ELi256ELb1ELi5EL8MFMAType1EEvPKT_PKT0_S8_ifPKiSA_SA_iPKfiiiPfSD_PS3_PT2_iSC_SC_
		.amdhsa_group_segment_fixed_size 17472
		.amdhsa_private_segment_fixed_size 0
		.amdhsa_kernarg_size 400
		.amdhsa_user_sgpr_count 13
		.amdhsa_user_sgpr_dispatch_ptr 0
		.amdhsa_user_sgpr_queue_ptr 0
		.amdhsa_user_sgpr_kernarg_segment_ptr 1
		.amdhsa_user_sgpr_dispatch_id 0
		.amdhsa_user_sgpr_private_segment_size 0
		.amdhsa_wavefront_size32 1
		.amdhsa_uses_dynamic_stack 0
		.amdhsa_enable_private_segment 0
		.amdhsa_system_sgpr_workgroup_id_x 1
		.amdhsa_system_sgpr_workgroup_id_y 1
		.amdhsa_system_sgpr_workgroup_id_z 1
		.amdhsa_system_sgpr_workgroup_info 0
		.amdhsa_system_vgpr_workitem_id 0
		.amdhsa_next_free_vgpr 150
		.amdhsa_next_free_sgpr 36
		.amdhsa_reserve_vcc 1
		.amdhsa_float_round_mode_32 0
		.amdhsa_float_round_mode_16_64 0
		.amdhsa_float_denorm_mode_32 3
		.amdhsa_float_denorm_mode_16_64 3
		.amdhsa_dx10_clamp 1
		.amdhsa_ieee_mode 1
		.amdhsa_fp16_overflow 0
		.amdhsa_workgroup_processor_mode 1
		.amdhsa_memory_ordered 1
		.amdhsa_forward_progress 0
		.amdhsa_shared_vgpr_count 0
		.amdhsa_exception_fp_ieee_invalid_op 0
		.amdhsa_exception_fp_denorm_src 0
		.amdhsa_exception_fp_ieee_div_zero 0
		.amdhsa_exception_fp_ieee_overflow 0
		.amdhsa_exception_fp_ieee_underflow 0
		.amdhsa_exception_fp_ieee_inexact 0
		.amdhsa_exception_int_div_zero 0
	.end_amdhsa_kernel
	.section	.text._Z39paged_attention_ll4mi_QKV_mfma16_kernelIDF16_hLN4vllm18Fp8KVCacheDataTypeE1EhLi16ELi128ELi256ELb1ELi5EL8MFMAType1EEvPKT_PKT0_S8_ifPKiSA_SA_iPKfiiiPfSD_PS3_PT2_iSC_SC_,"axG",@progbits,_Z39paged_attention_ll4mi_QKV_mfma16_kernelIDF16_hLN4vllm18Fp8KVCacheDataTypeE1EhLi16ELi128ELi256ELb1ELi5EL8MFMAType1EEvPKT_PKT0_S8_ifPKiSA_SA_iPKfiiiPfSD_PS3_PT2_iSC_SC_,comdat
.Lfunc_end934:
	.size	_Z39paged_attention_ll4mi_QKV_mfma16_kernelIDF16_hLN4vllm18Fp8KVCacheDataTypeE1EhLi16ELi128ELi256ELb1ELi5EL8MFMAType1EEvPKT_PKT0_S8_ifPKiSA_SA_iPKfiiiPfSD_PS3_PT2_iSC_SC_, .Lfunc_end934-_Z39paged_attention_ll4mi_QKV_mfma16_kernelIDF16_hLN4vllm18Fp8KVCacheDataTypeE1EhLi16ELi128ELi256ELb1ELi5EL8MFMAType1EEvPKT_PKT0_S8_ifPKiSA_SA_iPKfiiiPfSD_PS3_PT2_iSC_SC_
                                        ; -- End function
	.section	.AMDGPU.csdata,"",@progbits
; Kernel info:
; codeLenInByte = 6644
; NumSgprs: 38
; NumVgprs: 150
; ScratchSize: 0
; MemoryBound: 0
; FloatMode: 240
; IeeeMode: 1
; LDSByteSize: 17472 bytes/workgroup (compile time only)
; SGPRBlocks: 4
; VGPRBlocks: 18
; NumSGPRsForWavesPerEU: 38
; NumVGPRsForWavesPerEU: 150
; Occupancy: 9
; WaveLimiterHint : 1
; COMPUTE_PGM_RSRC2:SCRATCH_EN: 0
; COMPUTE_PGM_RSRC2:USER_SGPR: 13
; COMPUTE_PGM_RSRC2:TRAP_HANDLER: 0
; COMPUTE_PGM_RSRC2:TGID_X_EN: 1
; COMPUTE_PGM_RSRC2:TGID_Y_EN: 1
; COMPUTE_PGM_RSRC2:TGID_Z_EN: 1
; COMPUTE_PGM_RSRC2:TIDIG_COMP_CNT: 0
	.section	.text._Z39paged_attention_ll4mi_QKV_mfma16_kernelIDF16_hLN4vllm18Fp8KVCacheDataTypeE1EhLi16ELi128ELi256ELb1ELi6EL8MFMAType1EEvPKT_PKT0_S8_ifPKiSA_SA_iPKfiiiPfSD_PS3_PT2_iSC_SC_,"axG",@progbits,_Z39paged_attention_ll4mi_QKV_mfma16_kernelIDF16_hLN4vllm18Fp8KVCacheDataTypeE1EhLi16ELi128ELi256ELb1ELi6EL8MFMAType1EEvPKT_PKT0_S8_ifPKiSA_SA_iPKfiiiPfSD_PS3_PT2_iSC_SC_,comdat
	.protected	_Z39paged_attention_ll4mi_QKV_mfma16_kernelIDF16_hLN4vllm18Fp8KVCacheDataTypeE1EhLi16ELi128ELi256ELb1ELi6EL8MFMAType1EEvPKT_PKT0_S8_ifPKiSA_SA_iPKfiiiPfSD_PS3_PT2_iSC_SC_ ; -- Begin function _Z39paged_attention_ll4mi_QKV_mfma16_kernelIDF16_hLN4vllm18Fp8KVCacheDataTypeE1EhLi16ELi128ELi256ELb1ELi6EL8MFMAType1EEvPKT_PKT0_S8_ifPKiSA_SA_iPKfiiiPfSD_PS3_PT2_iSC_SC_
	.globl	_Z39paged_attention_ll4mi_QKV_mfma16_kernelIDF16_hLN4vllm18Fp8KVCacheDataTypeE1EhLi16ELi128ELi256ELb1ELi6EL8MFMAType1EEvPKT_PKT0_S8_ifPKiSA_SA_iPKfiiiPfSD_PS3_PT2_iSC_SC_
	.p2align	8
	.type	_Z39paged_attention_ll4mi_QKV_mfma16_kernelIDF16_hLN4vllm18Fp8KVCacheDataTypeE1EhLi16ELi128ELi256ELb1ELi6EL8MFMAType1EEvPKT_PKT0_S8_ifPKiSA_SA_iPKfiiiPfSD_PS3_PT2_iSC_SC_,@function
_Z39paged_attention_ll4mi_QKV_mfma16_kernelIDF16_hLN4vllm18Fp8KVCacheDataTypeE1EhLi16ELi128ELi256ELb1ELi6EL8MFMAType1EEvPKT_PKT0_S8_ifPKiSA_SA_iPKfiiiPfSD_PS3_PT2_iSC_SC_: ; @_Z39paged_attention_ll4mi_QKV_mfma16_kernelIDF16_hLN4vllm18Fp8KVCacheDataTypeE1EhLi16ELi128ELi256ELb1ELi6EL8MFMAType1EEvPKT_PKT0_S8_ifPKiSA_SA_iPKfiiiPfSD_PS3_PT2_iSC_SC_
; %bb.0:
	s_load_b64 s[4:5], s[0:1], 0x30
	s_mov_b32 s30, s13
	s_waitcnt lgkmcnt(0)
	s_cmp_lg_u64 s[4:5], 0
	s_cselect_b32 s8, -1, 0
	s_ashr_i32 s31, s13, 31
	s_cmp_eq_u64 s[4:5], 0
	s_cbranch_scc1 .LBB935_3
; %bb.1:
	s_lshl_b64 s[2:3], s[30:31], 2
	s_delay_alu instid0(SALU_CYCLE_1) | instskip(SKIP_4) | instid1(SALU_CYCLE_1)
	s_add_u32 s2, s4, s2
	s_addc_u32 s3, s5, s3
	s_load_b64 s[2:3], s[2:3], 0x0
	s_waitcnt lgkmcnt(0)
	s_sub_i32 s2, s3, s2
	s_cmp_eq_u32 s2, 1
	s_cselect_b32 s2, -1, 0
	s_delay_alu instid0(SALU_CYCLE_1)
	s_and_not1_b32 vcc_lo, exec_lo, s2
	s_cbranch_vccz .LBB935_4
.LBB935_2:
	s_endpgm
.LBB935_3:
.LBB935_4:
	s_load_b64 s[2:3], s[0:1], 0x28
	s_lshl_b64 s[6:7], s[30:31], 2
	s_waitcnt lgkmcnt(0)
	s_add_u32 s2, s2, s6
	s_addc_u32 s3, s3, s7
	s_lshl_b32 s12, s14, 8
	s_load_b32 s24, s[2:3], 0x0
	s_waitcnt lgkmcnt(0)
	s_cmp_ge_i32 s12, s24
	s_cbranch_scc1 .LBB935_2
; %bb.5:
	s_clause 0x1
	s_load_b128 s[20:23], s[0:1], 0x8
	s_load_b64 s[2:3], s[0:1], 0x20
	s_and_not1_b32 vcc_lo, exec_lo, s8
	s_cbranch_vccnz .LBB935_7
; %bb.6:
	s_add_u32 s4, s4, s6
	s_addc_u32 s5, s5, s7
	s_load_b32 s5, s[4:5], 0x0
	s_branch .LBB935_8
.LBB935_7:
	s_mov_b32 s5, s30
.LBB935_8:
	s_load_b128 s[16:19], s[0:1], 0x48
	v_and_b32_e32 v68, 15, v0
	v_lshrrev_b32_e32 v69, 5, v0
	v_and_b32_e32 v70, 31, v0
	v_and_b32_e32 v67, 1, v0
	v_bfe_u32 v66, v0, 4, 1
	v_lshlrev_b32_e32 v1, 3, v68
	s_mul_i32 s31, s15, 6
	s_mov_b32 s4, exec_lo
	s_delay_alu instid0(VALU_DEP_1)
	v_lshlrev_b32_e32 v65, 1, v1
	v_cmpx_gt_u32_e32 0x60, v0
	s_cbranch_execz .LBB935_10
; %bb.9:
	s_load_b64 s[6:7], s[0:1], 0x0
	v_lshl_or_b32 v5, v69, 1, v66
	s_waitcnt lgkmcnt(0)
	s_mul_hi_i32 s9, s5, s16
	s_mul_i32 s8, s5, s16
	v_lshlrev_b32_e32 v6, 10, v68
	s_lshl_b64 s[8:9], s[8:9], 1
	v_add_lshl_u32 v1, v5, s31, 7
	v_lshlrev_b32_e32 v5, 6, v5
	v_lshlrev_b32_e32 v7, 10, v67
	v_and_b32_e32 v6, 0x3800, v6
	s_delay_alu instid0(VALU_DEP_4) | instskip(NEXT) | instid1(VALU_DEP_2)
	v_ashrrev_i32_e32 v2, 31, v1
	v_or3_b32 v5, v6, v7, v5
	s_delay_alu instid0(VALU_DEP_2) | instskip(SKIP_2) | instid1(VALU_DEP_1)
	v_lshlrev_b64 v[1:2], 1, v[1:2]
	s_add_u32 s5, s6, s8
	s_addc_u32 s6, s7, s9
	v_add_co_u32 v1, vcc_lo, s5, v1
	s_delay_alu instid0(VALU_DEP_2) | instskip(NEXT) | instid1(VALU_DEP_2)
	v_add_co_ci_u32_e32 v2, vcc_lo, s6, v2, vcc_lo
	v_add_co_u32 v1, vcc_lo, v1, v65
	s_delay_alu instid0(VALU_DEP_2)
	v_add_co_ci_u32_e32 v2, vcc_lo, 0, v2, vcc_lo
	global_load_b128 v[1:4], v[1:2], off
	s_waitcnt vmcnt(0)
	ds_store_b128 v5, v[1:4]
.LBB935_10:
	s_or_b32 exec_lo, exec_lo, s4
	v_and_b32_e32 v1, 0xef, v0
	s_waitcnt lgkmcnt(0)
	s_add_i32 s5, s24, 15
	s_clause 0x1
	s_load_b32 s4, s[0:1], 0x38
	s_load_b32 s33, s[0:1], 0x98
	s_ashr_i32 s6, s5, 31
	v_add_nc_u32_e32 v1, s12, v1
	s_lshr_b32 s6, s6, 28
	s_load_b32 s19, s[0:1], 0x1c
	s_add_i32 s5, s5, s6
	s_waitcnt lgkmcnt(0)
	v_ashrrev_i32_e32 v2, 31, v1
	v_or_b32_e32 v3, 16, v1
	s_ashr_i32 s13, s5, 4
	v_cmp_gt_i32_e32 vcc_lo, s24, v1
	s_add_i32 s13, s13, -1
	v_lshrrev_b32_e32 v2, 28, v2
	s_barrier
	buffer_gl0_inv
	s_mul_i32 s15, s15, s18
	v_add_nc_u32_e32 v4, v1, v2
	s_mul_i32 s4, s30, s4
	s_delay_alu instid0(SALU_CYCLE_1) | instskip(NEXT) | instid1(VALU_DEP_1)
	s_ashr_i32 s5, s4, 31
	v_ashrrev_i32_e32 v4, 4, v4
	v_add_nc_u32_e32 v2, v3, v2
	s_lshl_b64 s[4:5], s[4:5], 2
	s_delay_alu instid0(SALU_CYCLE_1) | instskip(NEXT) | instid1(VALU_DEP_2)
	s_add_u32 s16, s2, s4
	v_cndmask_b32_e32 v1, s13, v4, vcc_lo
	s_delay_alu instid0(VALU_DEP_2)
	v_ashrrev_i32_e32 v2, 4, v2
	v_cmp_gt_i32_e32 vcc_lo, s24, v3
	s_addc_u32 s25, s3, s5
	s_ashr_i32 s18, s15, 31
	s_add_u32 s26, s20, s15
	s_addc_u32 s27, s21, s18
	v_cndmask_b32_e32 v3, s13, v2, vcc_lo
	v_ashrrev_i32_e32 v2, 31, v1
	s_lshl_b32 s2, s14, 4
	s_delay_alu instid0(SALU_CYCLE_1) | instskip(NEXT) | instid1(VALU_DEP_2)
	s_ashr_i32 s3, s2, 31
	v_ashrrev_i32_e32 v4, 31, v3
	s_delay_alu instid0(VALU_DEP_2) | instskip(SKIP_1) | instid1(SALU_CYCLE_1)
	v_lshlrev_b64 v[1:2], 2, v[1:2]
	s_lshl_b64 s[2:3], s[2:3], 2
	s_add_u32 s2, s16, s2
	s_delay_alu instid0(VALU_DEP_2) | instskip(SKIP_1) | instid1(VALU_DEP_2)
	v_lshlrev_b64 v[3:4], 2, v[3:4]
	s_addc_u32 s3, s25, s3
	v_add_co_u32 v1, vcc_lo, s16, v1
	v_add_co_ci_u32_e32 v2, vcc_lo, s25, v2, vcc_lo
	s_delay_alu instid0(VALU_DEP_3) | instskip(NEXT) | instid1(VALU_DEP_4)
	v_add_co_u32 v3, vcc_lo, s16, v3
	v_add_co_ci_u32_e32 v4, vcc_lo, s25, v4, vcc_lo
	s_clause 0x1
	global_load_b32 v5, v[1:2], off
	global_load_b32 v7, v[3:4], off
	s_or_b32 s4, s12, 32
	v_lshlrev_b32_e32 v1, 4, v0
	s_ashr_i32 s5, s4, 4
	s_cmp_lt_i32 s4, s24
	s_cselect_b32 s4, s5, s13
	s_delay_alu instid0(VALU_DEP_1) | instskip(SKIP_1) | instid1(SALU_CYCLE_1)
	v_and_b32_e32 v1, 0xf0, v1
	s_ashr_i32 s5, s4, 31
	s_lshl_b64 s[4:5], s[4:5], 2
	s_delay_alu instid0(SALU_CYCLE_1)
	s_add_u32 s4, s16, s4
	s_addc_u32 s5, s25, s5
	s_or_b32 s6, s12, 64
	v_add_co_u32 v1, s26, s26, v1
	s_ashr_i32 s7, s6, 4
	s_cmp_lt_i32 s6, s24
	v_add_co_ci_u32_e64 v2, null, s27, 0, s26
	s_cselect_b32 s6, s7, s13
	s_delay_alu instid0(SALU_CYCLE_1) | instskip(NEXT) | instid1(SALU_CYCLE_1)
	s_ashr_i32 s7, s6, 31
	s_lshl_b64 s[6:7], s[6:7], 2
	s_delay_alu instid0(SALU_CYCLE_1) | instskip(SKIP_2) | instid1(SALU_CYCLE_1)
	s_add_u32 s6, s16, s6
	s_addc_u32 s7, s25, s7
	s_or_b32 s8, s12, 0x60
	s_ashr_i32 s9, s8, 4
	s_cmp_lt_i32 s8, s24
	s_cselect_b32 s8, s9, s13
	s_delay_alu instid0(SALU_CYCLE_1) | instskip(NEXT) | instid1(SALU_CYCLE_1)
	s_ashr_i32 s9, s8, 31
	s_lshl_b64 s[8:9], s[8:9], 2
	s_delay_alu instid0(SALU_CYCLE_1) | instskip(SKIP_2) | instid1(SALU_CYCLE_1)
	s_add_u32 s8, s16, s8
	s_addc_u32 s9, s25, s9
	s_or_b32 s10, s12, 0x80
	s_ashr_i32 s11, s10, 4
	s_cmp_lt_i32 s10, s24
	;; [unrolled: 10-line block ×3, first 2 shown]
	s_cselect_b32 s20, s21, s13
	s_delay_alu instid0(SALU_CYCLE_1) | instskip(NEXT) | instid1(SALU_CYCLE_1)
	s_ashr_i32 s21, s20, 31
	s_lshl_b64 s[20:21], s[20:21], 2
	s_delay_alu instid0(SALU_CYCLE_1)
	s_add_u32 s20, s16, s20
	s_addc_u32 s21, s25, s21
	s_clause 0x5
	s_load_b32 s26, s[2:3], 0x0
	s_load_b32 s27, s[4:5], 0x0
	;; [unrolled: 1-line block ×6, first 2 shown]
	s_or_b32 s2, s12, 0xc0
	s_mov_b32 s4, 0
	s_ashr_i32 s3, s2, 4
	s_cmp_lt_i32 s2, s24
	s_mov_b32 s11, s4
	s_cselect_b32 s2, s3, s13
	s_mov_b32 s5, s4
	s_ashr_i32 s3, s2, 31
	s_mov_b32 s6, s4
	s_lshl_b64 s[2:3], s[2:3], 2
	s_mov_b32 s7, s4
	s_add_u32 s2, s16, s2
	s_addc_u32 s3, s25, s3
	s_or_b32 s20, s12, 0xe0
	s_mov_b32 s8, s4
	s_ashr_i32 s21, s20, 4
	s_cmp_lt_i32 s20, s24
	s_mov_b32 s9, s4
	s_cselect_b32 s20, s21, s13
	s_mov_b32 s10, s4
	s_ashr_i32 s21, s20, 31
	v_mov_b32_e32 v118, s11
	v_dual_mov_b32 v112, s5 :: v_dual_mov_b32 v117, s10
	v_dual_mov_b32 v116, s9 :: v_dual_mov_b32 v115, s8
	;; [unrolled: 1-line block ×3, first 2 shown]
	v_mov_b32_e32 v111, s4
	s_lshl_b64 s[4:5], s[20:21], 2
	s_delay_alu instid0(SALU_CYCLE_1)
	s_add_u32 s4, s16, s4
	s_addc_u32 s5, s25, s5
	s_add_u32 s6, s22, s15
	s_addc_u32 s7, s23, s18
	s_waitcnt vmcnt(1)
	v_mad_i64_i32 v[3:4], null, v5, s17, v[1:2]
	s_waitcnt vmcnt(0)
	v_mad_i64_i32 v[5:6], null, v7, s17, v[1:2]
	v_mul_lo_u16 v1, v68, 43
	v_lshlrev_b32_e32 v2, 4, v68
	s_clause 0xf
	global_load_b128 v[17:20], v[3:4], off
	global_load_b128 v[21:24], v[3:4], off offset:256
	global_load_b128 v[25:28], v[5:6], off
	global_load_b128 v[29:32], v[5:6], off offset:256
	global_load_b128 v[57:60], v[3:4], off offset:512
	;; [unrolled: 1-line block ×13, first 2 shown]
	v_lshrrev_b16 v1, 8, v1
	s_delay_alu instid0(VALU_DEP_1) | instskip(NEXT) | instid1(VALU_DEP_1)
	v_mul_lo_u16 v1, v1, 6
	v_sub_nc_u16 v1, v68, v1
	s_delay_alu instid0(VALU_DEP_1) | instskip(NEXT) | instid1(VALU_DEP_1)
	v_and_b32_e32 v1, 0xff, v1
	v_lshlrev_b32_e32 v149, 6, v1
	v_lshl_or_b32 v1, v69, 8, v2
	ds_load_b128 v[119:122], v149
	ds_load_b128 v[123:126], v149 offset:1024
	ds_load_b128 v[127:130], v149 offset:2048
	ds_load_b128 v[131:134], v149 offset:3072
	s_clause 0x1
	s_load_b32 s2, s[2:3], 0x0
	s_load_b32 s3, s[4:5], 0x0
	v_add_co_u32 v135, s6, s6, v1
	s_delay_alu instid0(VALU_DEP_1) | instskip(SKIP_1) | instid1(VALU_DEP_1)
	v_add_co_ci_u32_e64 v136, null, s7, 0, s6
	s_waitcnt lgkmcnt(0)
	v_mad_i64_i32 v[1:2], null, s26, s17, v[135:136]
	v_mad_i64_i32 v[3:4], null, s27, s17, v[135:136]
	;; [unrolled: 1-line block ×6, first 2 shown]
	s_clause 0x9
	global_load_b128 v[49:52], v[1:2], off
	global_load_b128 v[53:56], v[1:2], off offset:16
	global_load_b128 v[41:44], v[3:4], off
	global_load_b128 v[45:48], v[3:4], off offset:16
	;; [unrolled: 2-line block ×5, first 2 shown]
	v_mad_i64_i32 v[145:146], null, s2, s17, v[135:136]
	v_mad_i64_i32 v[147:148], null, s3, s17, v[135:136]
	s_waitcnt vmcnt(24)
	v_wmma_f32_16x16x16_f16 v[135:142], v[17:24], v[119:126], v[111:118]
	s_waitcnt vmcnt(22)
	v_wmma_f32_16x16x16_f16 v[111:118], v[25:32], v[119:126], v[111:118]
	s_clause 0x3
	global_load_b128 v[17:20], v[143:144], off
	global_load_b128 v[21:24], v[143:144], off offset:16
	global_load_b128 v[25:28], v[145:146], off
	global_load_b128 v[29:32], v[145:146], off offset:16
	v_and_b32_e32 v119, 0xe0, v0
	s_waitcnt vmcnt(24)
	v_wmma_f32_16x16x16_f16 v[135:142], v[57:64], v[127:134], v[135:142]
	s_clause 0x1
	global_load_b128 v[57:60], v[147:148], off
	global_load_b128 v[61:64], v[147:148], off offset:16
	s_waitcnt vmcnt(24)
	v_wmma_f32_16x16x16_f16 v[111:118], v[71:78], v[127:134], v[111:118]
	ds_load_b128 v[71:74], v149 offset:4096
	ds_load_b128 v[75:78], v149 offset:5120
	v_add_nc_u32_e32 v128, s12, v119
	ds_load_b128 v[119:122], v149 offset:6144
	ds_load_b128 v[123:126], v149 offset:7168
	v_mbcnt_lo_u32_b32 v127, -1, 0
	s_waitcnt vmcnt(0) lgkmcnt(0)
	s_barrier
	v_or_b32_e32 v128, v128, v66
	buffer_gl0_inv
	v_xor_b32_e32 v129, 16, v127
	v_or_b32_e32 v130, 4, v128
	v_or_b32_e32 v131, 6, v128
	s_delay_alu instid0(VALU_DEP_3) | instskip(SKIP_4) | instid1(VALU_DEP_4)
	v_cmp_gt_i32_e32 vcc_lo, 32, v129
	v_or_b32_e32 v132, 8, v128
	v_or_b32_e32 v133, 10, v128
	v_cmp_gt_i32_e64 s3, s24, v130
	v_cmp_gt_i32_e64 s4, s24, v131
	;; [unrolled: 1-line block ×3, first 2 shown]
	v_wmma_f32_16x16x16_f16 v[135:142], v[79:86], v[71:78], v[135:142]
	v_wmma_f32_16x16x16_f16 v[111:118], v[87:94], v[71:78], v[111:118]
	v_or_b32_e32 v79, 12, v128
	v_or_b32_e32 v80, 14, v128
	v_cmp_gt_i32_e64 s6, s24, v133
	v_wmma_f32_16x16x16_f16 v[135:142], v[95:102], v[119:126], v[135:142]
	v_wmma_f32_16x16x16_f16 v[111:118], v[103:110], v[119:126], v[111:118]
	v_cndmask_b32_e32 v127, v127, v129, vcc_lo
	v_or_b32_e32 v129, 2, v128
	v_cmp_gt_i32_e32 vcc_lo, s24, v128
	s_delay_alu instid0(VALU_DEP_4) | instskip(SKIP_1) | instid1(VALU_DEP_4)
	v_dual_mul_f32 v87, s19, v136 :: v_dual_mul_f32 v94, s19, v113
	v_mul_f32_e32 v88, s19, v135
	v_cmp_gt_i32_e64 s2, s24, v129
	v_mul_f32_e32 v78, s19, v138
	v_mul_f32_e32 v86, s19, v137
	;; [unrolled: 1-line block ×3, first 2 shown]
	v_cndmask_b32_e32 v88, 0xff7fffff, v88, vcc_lo
	v_cndmask_b32_e64 v87, 0xff7fffff, v87, s2
	v_dual_mul_f32 v77, s19, v139 :: v_dual_mul_f32 v90, s19, v117
	v_cndmask_b32_e64 v86, 0xff7fffff, v86, s3
	v_cndmask_b32_e64 v78, 0xff7fffff, v78, s4
	s_delay_alu instid0(VALU_DEP_4)
	v_max3_f32 v87, v88, 0xff7fffff, v87
	v_or_b32_e32 v81, 16, v128
	v_or_b32_e32 v82, 18, v128
	v_dual_mul_f32 v74, s19, v142 :: v_dual_mul_f32 v75, s19, v141
	v_mul_f32_e32 v96, s19, v111
	v_cndmask_b32_e64 v77, 0xff7fffff, v77, s5
	v_cndmask_b32_e64 v76, 0xff7fffff, v76, s6
	v_max3_f32 v78, v87, v86, v78
	v_cmp_gt_i32_e64 s7, s24, v79
	v_cmp_gt_i32_e64 s8, s24, v80
	v_or_b32_e32 v83, 20, v128
	v_or_b32_e32 v84, 22, v128
	v_mul_f32_e32 v95, s19, v112
	v_cndmask_b32_e64 v75, 0xff7fffff, v75, s7
	v_cndmask_b32_e64 v74, 0xff7fffff, v74, s8
	v_max3_f32 v76, v78, v77, v76
	v_cmp_gt_i32_e64 s9, s24, v81
	v_cmp_gt_i32_e64 s10, s24, v82
	v_or_b32_e32 v85, 24, v128
	v_or_b32_e32 v71, 26, v128
	;; [unrolled: 8-line block ×3, first 2 shown]
	v_dual_mul_f32 v91, s19, v116 :: v_dual_mul_f32 v92, s19, v115
	v_cndmask_b32_e64 v75, 0xff7fffff, v94, s11
	v_cndmask_b32_e64 v76, 0xff7fffff, v93, s12
	v_max3_f32 v74, v74, v77, v78
	v_cmp_gt_i32_e64 s13, s24, v85
	v_cmp_gt_i32_e64 s15, s24, v71
	v_mul_f32_e32 v89, s19, v118
	v_cmp_gt_i32_e64 s16, s24, v72
	v_max3_f32 v74, v74, v75, v76
	v_cndmask_b32_e64 v77, 0xff7fffff, v92, s13
	v_cndmask_b32_e64 v71, 0xff7fffff, v91, s15
	v_cmp_gt_i32_e64 s17, s24, v73
	v_cndmask_b32_e64 v72, 0xff7fffff, v90, s16
	s_delay_alu instid0(VALU_DEP_3) | instskip(SKIP_1) | instid1(VALU_DEP_4)
	v_max3_f32 v71, v74, v77, v71
	v_lshlrev_b32_e32 v74, 2, v127
	v_cndmask_b32_e64 v73, 0xff7fffff, v89, s17
	s_delay_alu instid0(VALU_DEP_1) | instskip(SKIP_3) | instid1(VALU_DEP_1)
	v_max3_f32 v71, v71, v72, v73
	ds_bpermute_b32 v72, v74, v71
	s_waitcnt lgkmcnt(0)
	v_max_f32_e32 v72, v72, v72
	v_max_f32_e32 v71, v71, v72
	s_delay_alu instid0(VALU_DEP_1) | instskip(SKIP_4) | instid1(VALU_DEP_4)
	v_fma_f32 v72, s19, v135, -v71
	v_fma_f32 v73, s19, v136, -v71
	;; [unrolled: 1-line block ×5, first 2 shown]
	v_dual_mul_f32 v72, 0x3fb8aa3b, v72 :: v_dual_mul_f32 v73, 0x3fb8aa3b, v73
	s_delay_alu instid0(VALU_DEP_3) | instskip(SKIP_1) | instid1(VALU_DEP_3)
	v_dual_mul_f32 v75, 0x3fb8aa3b, v75 :: v_dual_mul_f32 v76, 0x3fb8aa3b, v76
	v_fma_f32 v80, s19, v141, -v71
	v_exp_f32_e32 v72, v72
	s_delay_alu instid0(VALU_DEP_3) | instskip(NEXT) | instid1(VALU_DEP_2)
	v_exp_f32_e32 v73, v73
	v_exp_f32_e32 v75, v75
	;; [unrolled: 1-line block ×3, first 2 shown]
	v_mul_f32_e32 v82, 0x3fb8aa3b, v80
	s_delay_alu instid0(VALU_DEP_1) | instskip(SKIP_4) | instid1(TRANS32_DEP_3)
	v_exp_f32_e32 v84, v82
	v_cndmask_b32_e32 v79, 0, v72, vcc_lo
	v_fma_f32 v72, s19, v140, -v71
	v_mul_f32_e32 v77, 0x3fb8aa3b, v77
	v_cndmask_b32_e64 v78, 0, v73, s2
	v_cndmask_b32_e64 v81, 0, v75, s3
	s_delay_alu instid0(VALU_DEP_4) | instskip(NEXT) | instid1(VALU_DEP_4)
	v_dual_add_f32 v73, 0, v79 :: v_dual_mul_f32 v72, 0x3fb8aa3b, v72
	v_exp_f32_e32 v77, v77
	v_cndmask_b32_e64 v80, 0, v76, s4
	s_delay_alu instid0(TRANS32_DEP_2) | instskip(NEXT) | instid1(VALU_DEP_3)
	v_cndmask_b32_e64 v85, 0, v84, s7
	v_add_f32_e32 v73, v73, v78
	v_exp_f32_e32 v72, v72
	s_mov_b32 s2, exec_lo
	s_delay_alu instid0(VALU_DEP_1) | instskip(SKIP_4) | instid1(VALU_DEP_2)
	v_add_f32_e32 v73, v73, v81
	s_waitcnt_depctr 0xfff
	v_cndmask_b32_e64 v83, 0, v77, s5
	v_add_f32_e32 v73, v73, v80
	v_cndmask_b32_e64 v82, 0, v72, s6
	v_add_f32_e32 v72, v73, v83
	s_delay_alu instid0(VALU_DEP_1) | instskip(NEXT) | instid1(VALU_DEP_1)
	v_add_f32_e32 v72, v72, v82
	v_add_f32_e32 v72, v72, v85
	v_fma_f32 v76, s19, v111, -v71
	v_fma_f32 v75, s19, v142, -v71
	;; [unrolled: 1-line block ×5, first 2 shown]
	s_delay_alu instid0(VALU_DEP_4) | instskip(NEXT) | instid1(VALU_DEP_3)
	v_dual_mul_f32 v76, 0x3fb8aa3b, v76 :: v_dual_mul_f32 v75, 0x3fb8aa3b, v75
	v_mul_f32_e32 v86, 0x3fb8aa3b, v86
	s_delay_alu instid0(VALU_DEP_2) | instskip(NEXT) | instid1(VALU_DEP_2)
	v_exp_f32_e32 v76, v76
	v_exp_f32_e32 v75, v75
	s_delay_alu instid0(VALU_DEP_1) | instskip(NEXT) | instid1(TRANS32_DEP_3)
	v_exp_f32_e32 v88, v86
	v_cndmask_b32_e64 v87, 0, v76, s9
	v_fma_f32 v76, s19, v116, -v71
	v_mul_f32_e32 v77, 0x3fb8aa3b, v77
	s_waitcnt_depctr 0xfff
	v_cndmask_b32_e64 v84, 0, v75, s8
	v_fma_f32 v75, s19, v115, -v71
	v_cndmask_b32_e64 v88, 0, v88, s12
	v_mul_f32_e32 v76, 0x3fb8aa3b, v76
	v_exp_f32_e32 v77, v77
	v_add_f32_e32 v72, v72, v84
	s_delay_alu instid0(VALU_DEP_2) | instskip(NEXT) | instid1(VALU_DEP_1)
	v_exp_f32_e32 v76, v76
	v_add_f32_e32 v72, v72, v87
	s_waitcnt_depctr 0xfff
	v_cndmask_b32_e64 v86, 0, v77, s10
	v_mul_f32_e32 v73, 0x3fb8aa3b, v73
	v_fma_f32 v77, s19, v117, -v71
	v_cndmask_b32_e64 v90, 0, v76, s15
	s_delay_alu instid0(VALU_DEP_4) | instskip(NEXT) | instid1(VALU_DEP_4)
	v_add_f32_e32 v72, v72, v86
	v_exp_f32_e32 v73, v73
	s_waitcnt_depctr 0xfff
	v_cndmask_b32_e64 v89, 0, v73, s11
	s_delay_alu instid0(VALU_DEP_1) | instskip(NEXT) | instid1(VALU_DEP_1)
	v_dual_mul_f32 v75, 0x3fb8aa3b, v75 :: v_dual_add_f32 v72, v72, v89
	v_exp_f32_e32 v75, v75
	v_mul_f32_e32 v73, 0x3fb8aa3b, v77
	v_fma_f32 v77, s19, v118, -v71
	s_delay_alu instid0(VALU_DEP_3) | instskip(NEXT) | instid1(VALU_DEP_3)
	v_add_f32_e32 v72, v72, v88
	v_exp_f32_e32 v73, v73
	s_waitcnt_depctr 0xfff
	v_cndmask_b32_e64 v91, 0, v75, s13
	s_delay_alu instid0(VALU_DEP_1) | instskip(NEXT) | instid1(VALU_DEP_1)
	v_dual_mul_f32 v75, 0x3fb8aa3b, v77 :: v_dual_add_f32 v72, v72, v91
	v_exp_f32_e32 v75, v75
	v_cndmask_b32_e64 v93, 0, v73, s16
	s_delay_alu instid0(VALU_DEP_2) | instskip(NEXT) | instid1(VALU_DEP_1)
	v_add_f32_e32 v72, v72, v90
	v_add_f32_e32 v72, v72, v93
	s_waitcnt_depctr 0xfff
	v_cndmask_b32_e64 v92, 0, v75, s17
	s_delay_alu instid0(VALU_DEP_1)
	v_add_f32_e32 v72, v72, v92
	ds_bpermute_b32 v73, v74, v72
	v_cmpx_gt_u32_e32 16, v70
	s_cbranch_execz .LBB935_12
; %bb.11:
	v_mul_u32_u24_e32 v70, 0x44, v69
	s_waitcnt lgkmcnt(0)
	v_add_f32_e32 v72, v72, v73
	s_delay_alu instid0(VALU_DEP_2) | instskip(NEXT) | instid1(VALU_DEP_1)
	v_lshl_add_u32 v70, v68, 2, v70
	v_add_nc_u32_e32 v70, 0x4000, v70
	ds_store_2addr_b32 v70, v71, v72 offset1:136
.LBB935_12:
	s_or_b32 exec_lo, exec_lo, s2
	v_lshlrev_b32_e32 v70, 2, v68
	s_load_b32 s34, s[0:1], 0x94
	s_waitcnt lgkmcnt(0)
	s_barrier
	buffer_gl0_inv
	v_add_nc_u32_e32 v98, 0x4000, v70
	v_cmp_eq_u32_e32 vcc_lo, 1, v69
	v_cmp_eq_u32_e64 s2, 2, v69
	v_cmp_eq_u32_e64 s3, 3, v69
	;; [unrolled: 1-line block ×3, first 2 shown]
	ds_load_2addr_b32 v[70:71], v98 offset1:17
	ds_load_2addr_b32 v[72:73], v98 offset0:34 offset1:51
	ds_load_2addr_b32 v[74:75], v98 offset0:68 offset1:85
	;; [unrolled: 1-line block ×3, first 2 shown]
	v_cmp_eq_u32_e64 s5, 5, v69
	v_cmp_eq_u32_e64 s6, 7, v69
	s_waitcnt lgkmcnt(3)
	v_max3_f32 v76, v70, 0xff7fffff, v71
	s_waitcnt lgkmcnt(2)
	s_delay_alu instid0(VALU_DEP_1) | instskip(SKIP_1) | instid1(VALU_DEP_1)
	v_max3_f32 v76, v76, v72, v73
	s_waitcnt lgkmcnt(1)
	v_max3_f32 v76, v76, v74, v75
	s_waitcnt lgkmcnt(0)
	s_delay_alu instid0(VALU_DEP_1) | instskip(NEXT) | instid1(VALU_DEP_1)
	v_max3_f32 v76, v76, v94, v95
	v_sub_f32_e32 v77, v71, v76
	ds_load_2addr_b32 v[96:97], v98 offset0:136 offset1:153
	v_sub_f32_e32 v74, v74, v76
	v_sub_f32_e32 v70, v70, v76
	;; [unrolled: 1-line block ×3, first 2 shown]
	v_dual_sub_f32 v72, v72, v76 :: v_dual_mul_f32 v77, 0x3fb8aa3b, v77
	s_delay_alu instid0(VALU_DEP_4) | instskip(NEXT) | instid1(VALU_DEP_4)
	v_mul_f32_e32 v103, 0x3fb8aa3b, v74
	v_mul_f32_e32 v99, 0x3fb8aa3b, v70
	ds_load_2addr_b32 v[70:71], v98 offset0:170 offset1:187
	v_dual_mul_f32 v101, 0x3fb8aa3b, v72 :: v_dual_mul_f32 v94, 0x3fb8aa3b, v94
	v_exp_f32_e32 v102, v77
	v_exp_f32_e32 v99, v99
	s_delay_alu instid0(VALU_DEP_1) | instskip(NEXT) | instid1(VALU_DEP_1)
	v_exp_f32_e32 v101, v101
	v_exp_f32_e32 v94, v94
	s_waitcnt lgkmcnt(1)
	s_delay_alu instid0(TRANS32_DEP_3)
	v_fma_f32 v77, v99, v96, 0
	v_sub_f32_e32 v100, v73, v76
	ds_load_2addr_b32 v[72:73], v98 offset0:204 offset1:221
	v_fmac_f32_e32 v77, v102, v97
	v_exp_f32_e32 v97, v103
	s_waitcnt lgkmcnt(1)
	s_delay_alu instid0(VALU_DEP_1)
	v_dual_fmac_f32 v77, v101, v70 :: v_dual_sub_f32 v96, v75, v76
	ds_load_2addr_b32 v[74:75], v98 offset0:238 offset1:255
	v_sub_f32_e32 v70, v95, v76
	s_waitcnt lgkmcnt(0)
	s_barrier
	v_mul_f32_e32 v96, 0x3fb8aa3b, v96
	buffer_gl0_inv
	v_exp_f32_e32 v95, v96
	v_mul_f32_e32 v100, 0x3fb8aa3b, v100
	s_delay_alu instid0(VALU_DEP_1) | instskip(SKIP_3) | instid1(VALU_DEP_2)
	v_exp_f32_e32 v100, v100
	s_waitcnt_depctr 0xfff
	v_dual_fmac_f32 v77, v100, v71 :: v_dual_mul_f32 v70, 0x3fb8aa3b, v70
	v_cndmask_b32_e32 v71, v99, v102, vcc_lo
	v_fmac_f32_e32 v77, v97, v72
	s_delay_alu instid0(VALU_DEP_3) | instskip(NEXT) | instid1(VALU_DEP_1)
	v_exp_f32_e32 v96, v70
	v_fmac_f32_e32 v77, v95, v73
	s_delay_alu instid0(VALU_DEP_1) | instskip(SKIP_2) | instid1(VALU_DEP_1)
	v_fmac_f32_e32 v77, v94, v74
	s_waitcnt_depctr 0xfff
	v_fmac_f32_e32 v77, v96, v75
	v_add_f32_e32 v74, 0x358637bd, v77
	s_delay_alu instid0(VALU_DEP_1) | instskip(SKIP_1) | instid1(VALU_DEP_2)
	v_div_scale_f32 v98, null, v74, v74, 1.0
	v_div_scale_f32 v99, vcc_lo, 1.0, v74, 1.0
	v_rcp_f32_e32 v103, v98
	s_waitcnt_depctr 0xfff
	v_fma_f32 v70, -v98, v103, 1.0
	s_delay_alu instid0(VALU_DEP_1) | instskip(SKIP_2) | instid1(VALU_DEP_2)
	v_fmac_f32_e32 v103, v70, v103
	v_cndmask_b32_e64 v70, v71, v101, s2
	v_cmp_eq_u32_e64 s2, 6, v69
	v_cndmask_b32_e64 v71, v70, v100, s3
	s_delay_alu instid0(VALU_DEP_4) | instskip(NEXT) | instid1(VALU_DEP_2)
	v_dual_mul_f32 v101, v99, v103 :: v_dual_lshlrev_b32 v70, 2, v66
	v_cndmask_b32_e64 v71, v71, v97, s4
	s_delay_alu instid0(VALU_DEP_2) | instskip(NEXT) | instid1(VALU_DEP_3)
	v_or_b32_e32 v72, 1, v70
	v_fma_f32 v100, -v98, v101, v99
	v_cmp_eq_u32_e64 s3, 1, v70
	v_cmp_eq_u32_e64 s4, 2, v70
	v_cndmask_b32_e64 v95, v71, v95, s5
	v_or_b32_e32 v71, 3, v70
	v_fmac_f32_e32 v101, v100, v103
	v_cmp_eq_u32_e64 s8, 1, v72
	v_cmp_eq_u32_e64 s11, 2, v72
	v_cndmask_b32_e64 v94, v95, v94, s2
	v_cmp_eq_u32_e64 s10, 1, v71
	v_fma_f32 v97, -v98, v101, v99
	v_cmp_eq_u32_e64 s15, 2, v71
	v_cmp_eq_u32_e64 s12, 3, v72
	v_cndmask_b32_e64 v94, v94, v96, s6
	v_cmp_eq_u32_e64 s17, 3, v71
	v_div_fmas_f32 v95, v97, v103, v101
	v_cmp_eq_u32_e32 vcc_lo, 3, v70
	v_cmp_eq_u32_e64 s2, 4, v70
	v_cmp_eq_u32_e64 s18, 4, v72
	;; [unrolled: 1-line block ×3, first 2 shown]
	v_div_fixup_f32 v95, v95, v74, 1.0
	v_lshlrev_b32_e32 v73, 6, v68
	v_cmp_eq_u32_e64 s5, 5, v70
	v_cmp_eq_u32_e64 s19, 5, v72
	;; [unrolled: 1-line block ×3, first 2 shown]
	v_mul_f32_e32 v102, v94, v95
	v_lshl_or_b32 v75, v69, 11, v73
	v_or_b32_e32 v69, 2, v70
	v_cmp_eq_u32_e64 s24, 6, v72
	v_cmp_eq_u32_e64 s26, 6, v71
	v_fma_mixlo_f16 v94, v102, v79, 0
	v_fma_mixlo_f16 v95, v102, v81, 0
	;; [unrolled: 1-line block ×8, first 2 shown]
	v_lshl_or_b32 v74, v66, 4, v75
	v_fma_mixhi_f16 v94, v102, v78, 0
	v_fma_mixhi_f16 v95, v102, v80, 0
	;; [unrolled: 1-line block ×8, first 2 shown]
	ds_store_b128 v74, v[94:97]
	ds_store_b128 v74, v[98:101] offset:1024
	s_waitcnt lgkmcnt(0)
	s_barrier
	buffer_gl0_inv
	ds_load_b128 v[78:81], v75
	ds_load_b128 v[82:85], v75 offset:16
	ds_load_b128 v[86:89], v75 offset:1024
	;; [unrolled: 1-line block ×3, first 2 shown]
	v_cmp_eq_u32_e64 s9, 1, v69
	v_cmp_eq_u32_e64 s13, 2, v69
	;; [unrolled: 1-line block ×11, first 2 shown]
	s_waitcnt lgkmcnt(3)
	v_lshrrev_b32_e32 v94, 16, v78
	s_waitcnt lgkmcnt(2)
	v_lshrrev_b32_e32 v98, 16, v82
	;; [unrolled: 2-line block ×4, first 2 shown]
	v_lshrrev_b32_e32 v95, 16, v79
	v_cndmask_b32_e64 v110, v78, v94, s3
	v_cndmask_b32_e64 v111, v82, v98, s3
	v_cndmask_b32_e64 v112, v78, v94, s8
	v_cndmask_b32_e64 v113, v82, v98, s8
	v_cndmask_b32_e64 v114, v78, v94, s9
	v_cndmask_b32_e64 v115, v82, v98, s9
	v_cndmask_b32_e64 v78, v78, v94, s10
	v_cndmask_b32_e64 v82, v82, v98, s10
	v_lshrrev_b32_e32 v99, 16, v83
	v_cndmask_b32_e64 v94, v86, v102, s3
	v_cndmask_b32_e64 v98, v90, v106, s3
	;; [unrolled: 1-line block ×15, first 2 shown]
	v_lshrrev_b32_e32 v103, 16, v87
	v_lshrrev_b32_e32 v107, 16, v91
	v_cndmask_b32_e64 v113, v115, v83, s13
	v_cndmask_b32_e64 v82, v94, v87, s4
	v_cndmask_b32_e64 v83, v98, v91, s4
	v_cndmask_b32_e64 v94, v116, v87, s11
	v_cndmask_b32_e64 v98, v118, v87, s13
	v_cndmask_b32_e64 v86, v86, v87, s15
	v_cndmask_b32_e64 v87, v90, v91, s15
	v_cndmask_b32_e32 v90, v102, v95, vcc_lo
	v_cndmask_b32_e32 v102, v106, v99, vcc_lo
	v_cndmask_b32_e64 v106, v110, v95, s12
	v_cndmask_b32_e64 v110, v111, v99, s12
	v_cndmask_b32_e64 v78, v78, v95, s17
	v_cndmask_b32_e64 v79, v79, v99, s17
	v_lshrrev_b32_e32 v96, 16, v80
	v_lshrrev_b32_e32 v100, 16, v84
	v_cndmask_b32_e64 v111, v112, v95, s16
	v_cndmask_b32_e64 v112, v113, v99, s16
	v_cndmask_b32_e32 v82, v82, v103, vcc_lo
	v_cndmask_b32_e32 v83, v83, v107, vcc_lo
	v_cndmask_b32_e64 v94, v94, v103, s12
	v_cndmask_b32_e64 v90, v90, v80, s2
	;; [unrolled: 1-line block ×7, first 2 shown]
	v_lshrrev_b32_e32 v104, 16, v88
	v_cndmask_b32_e64 v106, v111, v80, s20
	v_cndmask_b32_e64 v110, v112, v84, s20
	v_cndmask_b32_e64 v80, v82, v88, s2
	v_cndmask_b32_e64 v82, v83, v92, s2
	v_cndmask_b32_e64 v83, v94, v88, s18
	v_cndmask_b32_e64 v84, v90, v96, s5
	v_cndmask_b32_e64 v90, v95, v100, s5
	v_cndmask_b32_e64 v94, v99, v96, s19
	v_cndmask_b32_e64 v95, v102, v100, s19
	v_cndmask_b32_e64 v78, v78, v96, s23
	v_cndmask_b32_e64 v79, v79, v100, s23
	v_lshrrev_b32_e32 v97, 16, v81
	v_lshrrev_b32_e32 v101, 16, v85
	v_cndmask_b32_e64 v99, v106, v96, s22
	v_cndmask_b32_e64 v102, v110, v100, s22
	;; [unrolled: 1-line block ×7, first 2 shown]
	v_lshrrev_b32_e32 v105, 16, v89
	v_cndmask_b32_e64 v80, v80, v104, s5
	v_cndmask_b32_e64 v84, v84, v81, s6
	;; [unrolled: 1-line block ×16, first 2 shown]
	v_perm_b32 v81, v79, v78, 0x5040100
	v_perm_b32 v79, v95, v85, 0x5040100
	v_cndmask_b32_e64 v78, v119, v91, s13
	v_cndmask_b32_e64 v85, v117, v91, s11
	;; [unrolled: 1-line block ×3, first 2 shown]
	v_perm_b32 v80, v94, v90, 0x5040100
	v_cndmask_b32_e64 v90, v98, v103, s16
	v_cndmask_b32_e64 v86, v86, v103, s17
	;; [unrolled: 1-line block ×5, first 2 shown]
	v_lshrrev_b32_e32 v108, 16, v92
	v_cndmask_b32_e64 v90, v90, v88, s20
	v_cndmask_b32_e64 v86, v86, v88, s21
	;; [unrolled: 1-line block ×11, first 2 shown]
	v_lshrrev_b32_e32 v109, 16, v93
	v_cndmask_b32_e64 v82, v82, v93, s6
	v_cndmask_b32_e64 v88, v88, v89, s25
	;; [unrolled: 1-line block ×12, first 2 shown]
	v_perm_b32 v78, v84, v83, 0x5040100
	v_perm_b32 v85, v87, v86, 0x5040100
	;; [unrolled: 1-line block ×5, first 2 shown]
	s_mul_i32 s7, s33, 6
	s_mov_b32 s2, exec_lo
	ds_store_b128 v74, v[78:81]
	ds_store_b128 v74, v[82:85] offset:1024
	v_cmpx_gt_u32_e32 6, v0
	s_cbranch_execz .LBB935_14
; %bb.13:
	s_mul_i32 s3, s7, s30
	s_load_b128 s[8:11], s[0:1], 0x58
	v_add3_u32 v68, s3, s31, v68
	s_delay_alu instid0(VALU_DEP_1) | instskip(NEXT) | instid1(VALU_DEP_1)
	v_mad_u64_u32 v[78:79], null, v68, s34, s[14:15]
	v_ashrrev_i32_e32 v79, 31, v78
	s_delay_alu instid0(VALU_DEP_1) | instskip(SKIP_1) | instid1(VALU_DEP_1)
	v_lshlrev_b64 v[78:79], 2, v[78:79]
	s_waitcnt lgkmcnt(0)
	v_add_co_u32 v80, vcc_lo, s10, v78
	s_delay_alu instid0(VALU_DEP_2)
	v_add_co_ci_u32_e32 v81, vcc_lo, s11, v79, vcc_lo
	v_add_co_u32 v78, vcc_lo, s8, v78
	v_add_co_ci_u32_e32 v79, vcc_lo, s9, v79, vcc_lo
	global_store_b32 v[80:81], v76, off
	global_store_b32 v[78:79], v77, off
.LBB935_14:
	s_or_b32 exec_lo, exec_lo, s2
	s_waitcnt lgkmcnt(0)
	s_waitcnt_vscnt null, 0x0
	s_barrier
	buffer_gl0_inv
	ds_load_b128 v[84:87], v73
	ds_load_b128 v[88:91], v73 offset:16
	ds_load_b128 v[96:99], v73 offset:2064
	;; [unrolled: 1-line block ×5, first 2 shown]
	v_cmp_eq_u32_e32 vcc_lo, 1, v70
	v_mov_b32_e32 v76, 0
	ds_load_b128 v[112:115], v73 offset:6160
	ds_load_b128 v[108:111], v73 offset:6144
	;; [unrolled: 1-line block ×4, first 2 shown]
	v_cmp_eq_u32_e64 s3, 1, v69
	v_cmp_eq_u32_e64 s2, 1, v72
	;; [unrolled: 1-line block ×3, first 2 shown]
	v_mov_b32_e32 v77, v76
	v_mov_b32_e32 v78, v76
	;; [unrolled: 1-line block ×7, first 2 shown]
	v_cmp_eq_u32_e64 s5, 3, v72
	v_cmp_eq_u32_e64 s6, 7, v72
	s_waitcnt lgkmcnt(8)
	s_delay_alu instid0(VALU_DEP_3)
	v_wmma_f32_16x16x16_f16 v[76:83], v[49:56], v[84:91], v[76:83]
	ds_load_b128 v[53:56], v73 offset:10256
	ds_load_b128 v[49:52], v73 offset:10240
	s_waitcnt lgkmcnt(8)
	v_wmma_f32_16x16x16_f16 v[76:83], v[41:48], v[92:99], v[76:83]
	ds_load_b128 v[45:48], v73 offset:12304
	ds_load_b128 v[41:44], v73 offset:12288
	s_waitcnt lgkmcnt(8)
	;; [unrolled: 4-line block ×3, first 2 shown]
	s_barrier
	buffer_gl0_inv
	v_wmma_f32_16x16x16_f16 v[76:83], v[1:8], v[108:115], v[76:83]
	s_delay_alu instid0(VALU_DEP_1) | instskip(NEXT) | instid1(VALU_DEP_1)
	v_wmma_f32_16x16x16_f16 v[76:83], v[9:16], v[116:123], v[76:83]
	v_wmma_f32_16x16x16_f16 v[76:83], v[17:24], v[49:56], v[76:83]
	s_delay_alu instid0(VALU_DEP_1) | instskip(NEXT) | instid1(VALU_DEP_1)
	v_wmma_f32_16x16x16_f16 v[76:83], v[25:32], v[41:48], v[76:83]
	v_wmma_f32_16x16x16_f16 v[76:83], v[57:64], v[33:40], v[76:83]
	s_delay_alu instid0(VALU_DEP_1) | instskip(NEXT) | instid1(VALU_DEP_2)
	v_cvt_f16_f32_e32 v1, v76
	v_cvt_f16_f32_e32 v2, v77
	s_delay_alu instid0(VALU_DEP_3) | instskip(NEXT) | instid1(VALU_DEP_4)
	v_cvt_f16_f32_e32 v3, v78
	v_cvt_f16_f32_e32 v4, v79
	;; [unrolled: 1-line block ×6, first 2 shown]
	v_pack_b32_f16 v1, v1, v2
	v_pack_b32_f16 v2, v3, v4
	;; [unrolled: 1-line block ×3, first 2 shown]
	s_delay_alu instid0(VALU_DEP_4)
	v_pack_b32_f16 v4, v7, v8
	ds_store_b128 v74, v[1:4]
	s_waitcnt lgkmcnt(0)
	s_barrier
	buffer_gl0_inv
	ds_load_b128 v[1:4], v75
	ds_load_b128 v[5:8], v75 offset:16
	s_waitcnt lgkmcnt(1)
	v_lshrrev_b32_e32 v9, 16, v1
	s_waitcnt lgkmcnt(0)
	v_lshrrev_b32_e32 v13, 16, v5
	v_lshrrev_b32_e32 v10, 16, v2
	;; [unrolled: 1-line block ×4, first 2 shown]
	v_cndmask_b32_e32 v17, v1, v9, vcc_lo
	v_cndmask_b32_e32 v18, v5, v13, vcc_lo
	v_cndmask_b32_e64 v21, v1, v9, s3
	v_cmp_eq_u32_e32 vcc_lo, 1, v71
	v_cndmask_b32_e64 v22, v5, v13, s3
	v_cmp_eq_u32_e64 s3, 2, v70
	v_cndmask_b32_e64 v19, v1, v9, s2
	v_cndmask_b32_e64 v20, v5, v13, s2
	v_cndmask_b32_e32 v1, v1, v9, vcc_lo
	v_cmp_eq_u32_e64 s2, 2, v71
	v_cndmask_b32_e32 v5, v5, v13, vcc_lo
	v_cndmask_b32_e64 v9, v17, v2, s3
	v_cmp_eq_u32_e32 vcc_lo, 3, v70
	v_cndmask_b32_e64 v13, v18, v6, s3
	v_cmp_eq_u32_e64 s3, 2, v69
	v_cndmask_b32_e64 v17, v19, v2, s4
	v_cndmask_b32_e64 v18, v20, v6, s4
	v_cmp_eq_u32_e64 s4, 3, v69
	v_cndmask_b32_e64 v1, v1, v2, s2
	v_cndmask_b32_e64 v19, v21, v2, s3
	v_cndmask_b32_e64 v20, v22, v6, s3
	v_cndmask_b32_e64 v2, v5, v6, s2
	v_cndmask_b32_e32 v5, v9, v10, vcc_lo
	v_cndmask_b32_e32 v6, v13, v14, vcc_lo
	v_cmp_eq_u32_e32 vcc_lo, 3, v71
	v_cndmask_b32_e64 v9, v17, v10, s5
	v_cndmask_b32_e64 v13, v18, v14, s5
	;; [unrolled: 1-line block ×3, first 2 shown]
	v_cmp_eq_u32_e64 s3, 4, v70
	v_cndmask_b32_e32 v1, v1, v10, vcc_lo
	v_cndmask_b32_e32 v2, v2, v14, vcc_lo
	v_cmp_eq_u32_e32 vcc_lo, 4, v72
	v_lshrrev_b32_e32 v15, 16, v7
	v_lshrrev_b32_e32 v16, 16, v8
	v_cndmask_b32_e64 v17, v19, v10, s4
	v_cmp_eq_u32_e64 s2, 4, v71
	v_cndmask_b32_e64 v5, v5, v3, s3
	v_cndmask_b32_e64 v6, v6, v7, s3
	v_cndmask_b32_e32 v9, v9, v3, vcc_lo
	v_cmp_eq_u32_e64 s3, 5, v72
	v_cndmask_b32_e32 v10, v13, v7, vcc_lo
	v_cmp_eq_u32_e32 vcc_lo, 4, v69
	v_cmp_eq_u32_e64 s4, 5, v70
	v_cndmask_b32_e64 v2, v2, v7, s2
	v_cndmask_b32_e64 v9, v9, v11, s3
	;; [unrolled: 1-line block ×3, first 2 shown]
	v_cndmask_b32_e32 v13, v17, v3, vcc_lo
	v_cmp_eq_u32_e64 s3, 5, v69
	v_cndmask_b32_e32 v14, v18, v7, vcc_lo
	v_cndmask_b32_e64 v1, v1, v3, s2
	v_cmp_eq_u32_e32 vcc_lo, 5, v71
	v_lshrrev_b32_e32 v12, 16, v4
	v_cndmask_b32_e64 v13, v13, v11, s3
	v_cndmask_b32_e64 v3, v14, v15, s3
	v_cmp_eq_u32_e64 s3, 6, v71
	v_cndmask_b32_e32 v1, v1, v11, vcc_lo
	v_cndmask_b32_e64 v5, v5, v11, s4
	v_cmp_eq_u32_e64 s5, 6, v70
	v_cndmask_b32_e64 v6, v6, v15, s4
	v_cmp_eq_u32_e64 s4, 6, v72
	v_cmp_eq_u32_e64 s2, 6, v69
	v_cndmask_b32_e64 v1, v1, v4, s3
	v_cndmask_b32_e32 v2, v2, v15, vcc_lo
	v_cmp_eq_u32_e32 vcc_lo, 7, v71
	v_cndmask_b32_e64 v5, v5, v4, s5
	v_cndmask_b32_e64 v9, v9, v4, s4
	;; [unrolled: 1-line block ×3, first 2 shown]
	v_cmp_eq_u32_e64 s5, 7, v70
	v_cndmask_b32_e32 v1, v1, v12, vcc_lo
	v_cndmask_b32_e64 v7, v13, v4, s2
	v_cndmask_b32_e64 v3, v3, v8, s2
	;; [unrolled: 1-line block ×3, first 2 shown]
	v_cmp_eq_u32_e64 s2, 7, v69
	v_cndmask_b32_e64 v4, v10, v8, s4
	v_cndmask_b32_e64 v5, v5, v12, s5
	;; [unrolled: 1-line block ×3, first 2 shown]
	v_cndmask_b32_e32 v2, v2, v16, vcc_lo
	v_cndmask_b32_e64 v7, v7, v12, s2
	v_cndmask_b32_e64 v3, v3, v16, s2
	;; [unrolled: 1-line block ×4, first 2 shown]
	v_perm_b32 v4, v2, v1, 0x5040100
	s_mov_b32 s2, exec_lo
	v_perm_b32 v3, v3, v7, 0x5040100
	v_perm_b32 v2, v8, v9, 0x5040100
	;; [unrolled: 1-line block ×3, first 2 shown]
	ds_store_b128 v74, v[1:4]
	s_waitcnt lgkmcnt(0)
	s_barrier
	buffer_gl0_inv
	v_cmpx_gt_u32_e32 32, v0
	s_cbranch_execz .LBB935_2
; %bb.15:
	s_load_b64 s[0:1], s[0:1], 0x68
	s_lshl_b32 s4, s34, 7
	v_or_b32_e32 v3, s31, v66
	s_mul_i32 s2, s4, s30
	v_lshlrev_b32_e32 v0, 10, v0
	s_mul_i32 s2, s2, s7
	v_lshlrev_b32_e32 v1, 4, v67
	s_ashr_i32 s3, s2, 31
	v_mul_lo_u32 v12, v3, s4
	s_lshl_b64 s[2:3], s[2:3], 1
	v_lshlrev_b32_e32 v2, 6, v66
	v_and_b32_e32 v0, 0x3800, v0
	s_delay_alu instid0(VALU_DEP_1) | instskip(NEXT) | instid1(VALU_DEP_4)
	v_or3_b32 v8, v0, v1, v2
	v_ashrrev_i32_e32 v13, 31, v12
	ds_load_b128 v[0:3], v8
	ds_load_b128 v[4:7], v8 offset:128
	ds_load_b128 v[8:11], v8 offset:256
	s_waitcnt lgkmcnt(0)
	s_add_u32 s2, s0, s2
	s_addc_u32 s3, s1, s3
	s_lshl_b32 s0, s14, 7
	s_delay_alu instid0(SALU_CYCLE_1) | instskip(NEXT) | instid1(SALU_CYCLE_1)
	s_ashr_i32 s1, s0, 31
	s_lshl_b64 s[0:1], s[0:1], 1
	s_delay_alu instid0(SALU_CYCLE_1)
	s_add_u32 s0, s2, s0
	s_addc_u32 s1, s3, s1
	s_lshl_b32 s2, s34, 8
	v_add_co_u32 v18, s0, s0, v65
	v_add_nc_u32_e32 v14, s2, v12
	v_lshlrev_b64 v[12:13], 1, v[12:13]
	v_add_co_ci_u32_e64 v19, null, s1, 0, s0
	s_delay_alu instid0(VALU_DEP_3) | instskip(SKIP_1) | instid1(VALU_DEP_4)
	v_add_nc_u32_e32 v16, s2, v14
	v_ashrrev_i32_e32 v15, 31, v14
	v_add_co_u32 v12, vcc_lo, v18, v12
	s_delay_alu instid0(VALU_DEP_4) | instskip(NEXT) | instid1(VALU_DEP_4)
	v_add_co_ci_u32_e32 v13, vcc_lo, v19, v13, vcc_lo
	v_ashrrev_i32_e32 v17, 31, v16
	s_delay_alu instid0(VALU_DEP_4) | instskip(NEXT) | instid1(VALU_DEP_2)
	v_lshlrev_b64 v[14:15], 1, v[14:15]
	v_lshlrev_b64 v[16:17], 1, v[16:17]
	s_delay_alu instid0(VALU_DEP_2) | instskip(NEXT) | instid1(VALU_DEP_3)
	v_add_co_u32 v14, vcc_lo, v18, v14
	v_add_co_ci_u32_e32 v15, vcc_lo, v19, v15, vcc_lo
	s_delay_alu instid0(VALU_DEP_3) | instskip(NEXT) | instid1(VALU_DEP_4)
	v_add_co_u32 v16, vcc_lo, v18, v16
	v_add_co_ci_u32_e32 v17, vcc_lo, v19, v17, vcc_lo
	s_clause 0x2
	global_store_b128 v[12:13], v[0:3], off
	global_store_b128 v[14:15], v[4:7], off
	;; [unrolled: 1-line block ×3, first 2 shown]
	s_nop 0
	s_sendmsg sendmsg(MSG_DEALLOC_VGPRS)
	s_endpgm
	.section	.rodata,"a",@progbits
	.p2align	6, 0x0
	.amdhsa_kernel _Z39paged_attention_ll4mi_QKV_mfma16_kernelIDF16_hLN4vllm18Fp8KVCacheDataTypeE1EhLi16ELi128ELi256ELb1ELi6EL8MFMAType1EEvPKT_PKT0_S8_ifPKiSA_SA_iPKfiiiPfSD_PS3_PT2_iSC_SC_
		.amdhsa_group_segment_fixed_size 17472
		.amdhsa_private_segment_fixed_size 0
		.amdhsa_kernarg_size 400
		.amdhsa_user_sgpr_count 13
		.amdhsa_user_sgpr_dispatch_ptr 0
		.amdhsa_user_sgpr_queue_ptr 0
		.amdhsa_user_sgpr_kernarg_segment_ptr 1
		.amdhsa_user_sgpr_dispatch_id 0
		.amdhsa_user_sgpr_private_segment_size 0
		.amdhsa_wavefront_size32 1
		.amdhsa_uses_dynamic_stack 0
		.amdhsa_enable_private_segment 0
		.amdhsa_system_sgpr_workgroup_id_x 1
		.amdhsa_system_sgpr_workgroup_id_y 1
		.amdhsa_system_sgpr_workgroup_id_z 1
		.amdhsa_system_sgpr_workgroup_info 0
		.amdhsa_system_vgpr_workitem_id 0
		.amdhsa_next_free_vgpr 150
		.amdhsa_next_free_sgpr 36
		.amdhsa_reserve_vcc 1
		.amdhsa_float_round_mode_32 0
		.amdhsa_float_round_mode_16_64 0
		.amdhsa_float_denorm_mode_32 3
		.amdhsa_float_denorm_mode_16_64 3
		.amdhsa_dx10_clamp 1
		.amdhsa_ieee_mode 1
		.amdhsa_fp16_overflow 0
		.amdhsa_workgroup_processor_mode 1
		.amdhsa_memory_ordered 1
		.amdhsa_forward_progress 0
		.amdhsa_shared_vgpr_count 0
		.amdhsa_exception_fp_ieee_invalid_op 0
		.amdhsa_exception_fp_denorm_src 0
		.amdhsa_exception_fp_ieee_div_zero 0
		.amdhsa_exception_fp_ieee_overflow 0
		.amdhsa_exception_fp_ieee_underflow 0
		.amdhsa_exception_fp_ieee_inexact 0
		.amdhsa_exception_int_div_zero 0
	.end_amdhsa_kernel
	.section	.text._Z39paged_attention_ll4mi_QKV_mfma16_kernelIDF16_hLN4vllm18Fp8KVCacheDataTypeE1EhLi16ELi128ELi256ELb1ELi6EL8MFMAType1EEvPKT_PKT0_S8_ifPKiSA_SA_iPKfiiiPfSD_PS3_PT2_iSC_SC_,"axG",@progbits,_Z39paged_attention_ll4mi_QKV_mfma16_kernelIDF16_hLN4vllm18Fp8KVCacheDataTypeE1EhLi16ELi128ELi256ELb1ELi6EL8MFMAType1EEvPKT_PKT0_S8_ifPKiSA_SA_iPKfiiiPfSD_PS3_PT2_iSC_SC_,comdat
.Lfunc_end935:
	.size	_Z39paged_attention_ll4mi_QKV_mfma16_kernelIDF16_hLN4vllm18Fp8KVCacheDataTypeE1EhLi16ELi128ELi256ELb1ELi6EL8MFMAType1EEvPKT_PKT0_S8_ifPKiSA_SA_iPKfiiiPfSD_PS3_PT2_iSC_SC_, .Lfunc_end935-_Z39paged_attention_ll4mi_QKV_mfma16_kernelIDF16_hLN4vllm18Fp8KVCacheDataTypeE1EhLi16ELi128ELi256ELb1ELi6EL8MFMAType1EEvPKT_PKT0_S8_ifPKiSA_SA_iPKfiiiPfSD_PS3_PT2_iSC_SC_
                                        ; -- End function
	.section	.AMDGPU.csdata,"",@progbits
; Kernel info:
; codeLenInByte = 6620
; NumSgprs: 38
; NumVgprs: 150
; ScratchSize: 0
; MemoryBound: 0
; FloatMode: 240
; IeeeMode: 1
; LDSByteSize: 17472 bytes/workgroup (compile time only)
; SGPRBlocks: 4
; VGPRBlocks: 18
; NumSGPRsForWavesPerEU: 38
; NumVGPRsForWavesPerEU: 150
; Occupancy: 9
; WaveLimiterHint : 1
; COMPUTE_PGM_RSRC2:SCRATCH_EN: 0
; COMPUTE_PGM_RSRC2:USER_SGPR: 13
; COMPUTE_PGM_RSRC2:TRAP_HANDLER: 0
; COMPUTE_PGM_RSRC2:TGID_X_EN: 1
; COMPUTE_PGM_RSRC2:TGID_Y_EN: 1
; COMPUTE_PGM_RSRC2:TGID_Z_EN: 1
; COMPUTE_PGM_RSRC2:TIDIG_COMP_CNT: 0
	.section	.text._Z39paged_attention_ll4mi_QKV_mfma16_kernelIDF16_hLN4vllm18Fp8KVCacheDataTypeE1EhLi16ELi128ELi256ELb1ELi7EL8MFMAType1EEvPKT_PKT0_S8_ifPKiSA_SA_iPKfiiiPfSD_PS3_PT2_iSC_SC_,"axG",@progbits,_Z39paged_attention_ll4mi_QKV_mfma16_kernelIDF16_hLN4vllm18Fp8KVCacheDataTypeE1EhLi16ELi128ELi256ELb1ELi7EL8MFMAType1EEvPKT_PKT0_S8_ifPKiSA_SA_iPKfiiiPfSD_PS3_PT2_iSC_SC_,comdat
	.protected	_Z39paged_attention_ll4mi_QKV_mfma16_kernelIDF16_hLN4vllm18Fp8KVCacheDataTypeE1EhLi16ELi128ELi256ELb1ELi7EL8MFMAType1EEvPKT_PKT0_S8_ifPKiSA_SA_iPKfiiiPfSD_PS3_PT2_iSC_SC_ ; -- Begin function _Z39paged_attention_ll4mi_QKV_mfma16_kernelIDF16_hLN4vllm18Fp8KVCacheDataTypeE1EhLi16ELi128ELi256ELb1ELi7EL8MFMAType1EEvPKT_PKT0_S8_ifPKiSA_SA_iPKfiiiPfSD_PS3_PT2_iSC_SC_
	.globl	_Z39paged_attention_ll4mi_QKV_mfma16_kernelIDF16_hLN4vllm18Fp8KVCacheDataTypeE1EhLi16ELi128ELi256ELb1ELi7EL8MFMAType1EEvPKT_PKT0_S8_ifPKiSA_SA_iPKfiiiPfSD_PS3_PT2_iSC_SC_
	.p2align	8
	.type	_Z39paged_attention_ll4mi_QKV_mfma16_kernelIDF16_hLN4vllm18Fp8KVCacheDataTypeE1EhLi16ELi128ELi256ELb1ELi7EL8MFMAType1EEvPKT_PKT0_S8_ifPKiSA_SA_iPKfiiiPfSD_PS3_PT2_iSC_SC_,@function
_Z39paged_attention_ll4mi_QKV_mfma16_kernelIDF16_hLN4vllm18Fp8KVCacheDataTypeE1EhLi16ELi128ELi256ELb1ELi7EL8MFMAType1EEvPKT_PKT0_S8_ifPKiSA_SA_iPKfiiiPfSD_PS3_PT2_iSC_SC_: ; @_Z39paged_attention_ll4mi_QKV_mfma16_kernelIDF16_hLN4vllm18Fp8KVCacheDataTypeE1EhLi16ELi128ELi256ELb1ELi7EL8MFMAType1EEvPKT_PKT0_S8_ifPKiSA_SA_iPKfiiiPfSD_PS3_PT2_iSC_SC_
; %bb.0:
	s_load_b64 s[4:5], s[0:1], 0x30
	s_mov_b32 s34, s13
	s_waitcnt lgkmcnt(0)
	s_cmp_lg_u64 s[4:5], 0
	s_cselect_b32 s8, -1, 0
	s_ashr_i32 s35, s13, 31
	s_cmp_eq_u64 s[4:5], 0
	s_cbranch_scc1 .LBB936_3
; %bb.1:
	s_lshl_b64 s[2:3], s[34:35], 2
	s_delay_alu instid0(SALU_CYCLE_1) | instskip(SKIP_4) | instid1(SALU_CYCLE_1)
	s_add_u32 s2, s4, s2
	s_addc_u32 s3, s5, s3
	s_load_b64 s[2:3], s[2:3], 0x0
	s_waitcnt lgkmcnt(0)
	s_sub_i32 s2, s3, s2
	s_cmp_eq_u32 s2, 1
	s_cselect_b32 s2, -1, 0
	s_delay_alu instid0(SALU_CYCLE_1)
	s_and_not1_b32 vcc_lo, exec_lo, s2
	s_cbranch_vccz .LBB936_4
.LBB936_2:
	s_nop 0
	s_sendmsg sendmsg(MSG_DEALLOC_VGPRS)
	s_endpgm
.LBB936_3:
.LBB936_4:
	s_load_b64 s[2:3], s[0:1], 0x28
	s_lshl_b64 s[6:7], s[34:35], 2
	s_waitcnt lgkmcnt(0)
	s_add_u32 s2, s2, s6
	s_addc_u32 s3, s3, s7
	s_lshl_b32 s12, s14, 8
	s_load_b32 s24, s[2:3], 0x0
	s_waitcnt lgkmcnt(0)
	s_cmp_ge_i32 s12, s24
	s_cbranch_scc1 .LBB936_2
; %bb.5:
	s_clause 0x1
	s_load_b128 s[20:23], s[0:1], 0x8
	s_load_b64 s[2:3], s[0:1], 0x20
	s_and_not1_b32 vcc_lo, exec_lo, s8
	s_cbranch_vccnz .LBB936_7
; %bb.6:
	s_add_u32 s4, s4, s6
	s_addc_u32 s5, s5, s7
	s_load_b32 s5, s[4:5], 0x0
	s_branch .LBB936_8
.LBB936_7:
	s_mov_b32 s5, s34
.LBB936_8:
	s_load_b128 s[16:19], s[0:1], 0x48
	v_and_b32_e32 v68, 15, v0
	v_lshrrev_b32_e32 v69, 5, v0
	v_bfe_u32 v66, v0, 4, 1
	v_and_b32_e32 v70, 31, v0
	v_and_b32_e32 v67, 1, v0
	v_lshlrev_b32_e32 v2, 3, v68
	s_mul_i32 s31, s15, 7
	v_lshl_or_b32 v1, v69, 1, v66
	s_mov_b32 s4, exec_lo
	s_delay_alu instid0(VALU_DEP_2) | instskip(NEXT) | instid1(VALU_DEP_2)
	v_lshlrev_b32_e32 v65, 1, v2
	v_cmpx_gt_u32_e32 7, v1
	s_cbranch_execz .LBB936_10
; %bb.9:
	s_load_b64 s[6:7], s[0:1], 0x0
	v_add_lshl_u32 v2, v1, s31, 7
	s_waitcnt lgkmcnt(0)
	s_mul_hi_i32 s9, s5, s16
	s_mul_i32 s8, s5, s16
	v_lshlrev_b32_e32 v6, 10, v68
	s_lshl_b64 s[8:9], s[8:9], 1
	v_ashrrev_i32_e32 v3, 31, v2
	v_lshlrev_b32_e32 v1, 6, v1
	v_lshlrev_b32_e32 v7, 10, v67
	v_and_b32_e32 v6, 0x3800, v6
	s_delay_alu instid0(VALU_DEP_4) | instskip(NEXT) | instid1(VALU_DEP_2)
	v_lshlrev_b64 v[2:3], 1, v[2:3]
	v_or3_b32 v1, v6, v7, v1
	s_add_u32 s5, s6, s8
	s_addc_u32 s6, s7, s9
	s_delay_alu instid0(VALU_DEP_2) | instskip(NEXT) | instid1(VALU_DEP_3)
	v_add_co_u32 v2, vcc_lo, s5, v2
	v_add_co_ci_u32_e32 v3, vcc_lo, s6, v3, vcc_lo
	s_delay_alu instid0(VALU_DEP_2) | instskip(NEXT) | instid1(VALU_DEP_2)
	v_add_co_u32 v2, vcc_lo, v2, v65
	v_add_co_ci_u32_e32 v3, vcc_lo, 0, v3, vcc_lo
	global_load_b128 v[2:5], v[2:3], off
	s_waitcnt vmcnt(0)
	ds_store_b128 v1, v[2:5]
.LBB936_10:
	s_or_b32 exec_lo, exec_lo, s4
	v_and_b32_e32 v1, 0xef, v0
	s_waitcnt lgkmcnt(0)
	s_add_i32 s5, s24, 15
	s_clause 0x1
	s_load_b32 s4, s[0:1], 0x38
	s_load_b32 s33, s[0:1], 0x98
	s_ashr_i32 s6, s5, 31
	v_add_nc_u32_e32 v1, s12, v1
	s_lshr_b32 s6, s6, 28
	s_load_b32 s19, s[0:1], 0x1c
	s_add_i32 s5, s5, s6
	s_waitcnt lgkmcnt(0)
	v_ashrrev_i32_e32 v2, 31, v1
	v_or_b32_e32 v3, 16, v1
	s_ashr_i32 s13, s5, 4
	v_cmp_gt_i32_e32 vcc_lo, s24, v1
	s_add_i32 s13, s13, -1
	v_lshrrev_b32_e32 v2, 28, v2
	s_barrier
	buffer_gl0_inv
	s_mul_i32 s15, s15, s18
	v_add_nc_u32_e32 v4, v1, v2
	s_mul_i32 s4, s34, s4
	s_delay_alu instid0(SALU_CYCLE_1) | instskip(NEXT) | instid1(VALU_DEP_1)
	s_ashr_i32 s5, s4, 31
	v_ashrrev_i32_e32 v4, 4, v4
	v_add_nc_u32_e32 v2, v3, v2
	s_lshl_b64 s[4:5], s[4:5], 2
	s_delay_alu instid0(SALU_CYCLE_1) | instskip(NEXT) | instid1(VALU_DEP_2)
	s_add_u32 s16, s2, s4
	v_cndmask_b32_e32 v1, s13, v4, vcc_lo
	s_delay_alu instid0(VALU_DEP_2)
	v_ashrrev_i32_e32 v2, 4, v2
	v_cmp_gt_i32_e32 vcc_lo, s24, v3
	s_addc_u32 s25, s3, s5
	s_ashr_i32 s18, s15, 31
	s_add_u32 s26, s20, s15
	s_addc_u32 s27, s21, s18
	v_cndmask_b32_e32 v3, s13, v2, vcc_lo
	v_ashrrev_i32_e32 v2, 31, v1
	s_lshl_b32 s2, s14, 4
	s_delay_alu instid0(SALU_CYCLE_1) | instskip(NEXT) | instid1(VALU_DEP_2)
	s_ashr_i32 s3, s2, 31
	v_ashrrev_i32_e32 v4, 31, v3
	s_delay_alu instid0(VALU_DEP_2) | instskip(SKIP_1) | instid1(SALU_CYCLE_1)
	v_lshlrev_b64 v[1:2], 2, v[1:2]
	s_lshl_b64 s[2:3], s[2:3], 2
	s_add_u32 s2, s16, s2
	s_delay_alu instid0(VALU_DEP_2) | instskip(SKIP_1) | instid1(VALU_DEP_2)
	v_lshlrev_b64 v[3:4], 2, v[3:4]
	s_addc_u32 s3, s25, s3
	v_add_co_u32 v1, vcc_lo, s16, v1
	v_add_co_ci_u32_e32 v2, vcc_lo, s25, v2, vcc_lo
	s_delay_alu instid0(VALU_DEP_3) | instskip(NEXT) | instid1(VALU_DEP_4)
	v_add_co_u32 v3, vcc_lo, s16, v3
	v_add_co_ci_u32_e32 v4, vcc_lo, s25, v4, vcc_lo
	s_clause 0x1
	global_load_b32 v5, v[1:2], off
	global_load_b32 v7, v[3:4], off
	s_or_b32 s4, s12, 32
	v_lshlrev_b32_e32 v1, 4, v0
	s_ashr_i32 s5, s4, 4
	s_cmp_lt_i32 s4, s24
	s_cselect_b32 s4, s5, s13
	s_delay_alu instid0(VALU_DEP_1) | instskip(SKIP_1) | instid1(SALU_CYCLE_1)
	v_and_b32_e32 v1, 0xf0, v1
	s_ashr_i32 s5, s4, 31
	s_lshl_b64 s[4:5], s[4:5], 2
	s_delay_alu instid0(SALU_CYCLE_1)
	s_add_u32 s4, s16, s4
	s_addc_u32 s5, s25, s5
	s_or_b32 s6, s12, 64
	v_add_co_u32 v1, s26, s26, v1
	s_ashr_i32 s7, s6, 4
	s_cmp_lt_i32 s6, s24
	v_add_co_ci_u32_e64 v2, null, s27, 0, s26
	s_cselect_b32 s6, s7, s13
	s_delay_alu instid0(SALU_CYCLE_1) | instskip(NEXT) | instid1(SALU_CYCLE_1)
	s_ashr_i32 s7, s6, 31
	s_lshl_b64 s[6:7], s[6:7], 2
	s_delay_alu instid0(SALU_CYCLE_1) | instskip(SKIP_2) | instid1(SALU_CYCLE_1)
	s_add_u32 s6, s16, s6
	s_addc_u32 s7, s25, s7
	s_or_b32 s8, s12, 0x60
	s_ashr_i32 s9, s8, 4
	s_cmp_lt_i32 s8, s24
	s_cselect_b32 s8, s9, s13
	s_delay_alu instid0(SALU_CYCLE_1) | instskip(NEXT) | instid1(SALU_CYCLE_1)
	s_ashr_i32 s9, s8, 31
	s_lshl_b64 s[8:9], s[8:9], 2
	s_delay_alu instid0(SALU_CYCLE_1) | instskip(SKIP_2) | instid1(SALU_CYCLE_1)
	s_add_u32 s8, s16, s8
	s_addc_u32 s9, s25, s9
	s_or_b32 s10, s12, 0x80
	s_ashr_i32 s11, s10, 4
	s_cmp_lt_i32 s10, s24
	;; [unrolled: 10-line block ×3, first 2 shown]
	s_cselect_b32 s20, s21, s13
	s_delay_alu instid0(SALU_CYCLE_1) | instskip(NEXT) | instid1(SALU_CYCLE_1)
	s_ashr_i32 s21, s20, 31
	s_lshl_b64 s[20:21], s[20:21], 2
	s_delay_alu instid0(SALU_CYCLE_1)
	s_add_u32 s20, s16, s20
	s_addc_u32 s21, s25, s21
	s_clause 0x5
	s_load_b32 s26, s[2:3], 0x0
	s_load_b32 s27, s[4:5], 0x0
	;; [unrolled: 1-line block ×6, first 2 shown]
	s_or_b32 s2, s12, 0xc0
	s_mov_b32 s4, 0
	s_ashr_i32 s3, s2, 4
	s_cmp_lt_i32 s2, s24
	s_mov_b32 s11, s4
	s_cselect_b32 s2, s3, s13
	s_mov_b32 s5, s4
	s_ashr_i32 s3, s2, 31
	s_mov_b32 s6, s4
	s_lshl_b64 s[2:3], s[2:3], 2
	s_mov_b32 s7, s4
	s_add_u32 s2, s16, s2
	s_addc_u32 s3, s25, s3
	s_or_b32 s20, s12, 0xe0
	s_mov_b32 s8, s4
	s_ashr_i32 s21, s20, 4
	s_cmp_lt_i32 s20, s24
	s_mov_b32 s9, s4
	s_cselect_b32 s20, s21, s13
	s_mov_b32 s10, s4
	s_ashr_i32 s21, s20, 31
	v_mov_b32_e32 v118, s11
	v_dual_mov_b32 v112, s5 :: v_dual_mov_b32 v117, s10
	v_dual_mov_b32 v116, s9 :: v_dual_mov_b32 v115, s8
	;; [unrolled: 1-line block ×3, first 2 shown]
	v_mov_b32_e32 v111, s4
	s_lshl_b64 s[4:5], s[20:21], 2
	s_delay_alu instid0(SALU_CYCLE_1)
	s_add_u32 s4, s16, s4
	s_addc_u32 s5, s25, s5
	s_add_u32 s6, s22, s15
	s_addc_u32 s7, s23, s18
	s_waitcnt vmcnt(1)
	v_mad_i64_i32 v[3:4], null, v5, s17, v[1:2]
	s_waitcnt vmcnt(0)
	v_mad_i64_i32 v[5:6], null, v7, s17, v[1:2]
	v_mul_lo_u16 v1, v68, 37
	v_lshlrev_b32_e32 v2, 4, v68
	s_clause 0xf
	global_load_b128 v[17:20], v[3:4], off
	global_load_b128 v[21:24], v[3:4], off offset:256
	global_load_b128 v[25:28], v[5:6], off
	global_load_b128 v[29:32], v[5:6], off offset:256
	global_load_b128 v[57:60], v[3:4], off offset:512
	;; [unrolled: 1-line block ×13, first 2 shown]
	v_lshrrev_b16 v1, 8, v1
	s_delay_alu instid0(VALU_DEP_1) | instskip(NEXT) | instid1(VALU_DEP_1)
	v_mul_lo_u16 v1, v1, 7
	v_sub_nc_u16 v1, v68, v1
	s_delay_alu instid0(VALU_DEP_1) | instskip(NEXT) | instid1(VALU_DEP_1)
	v_and_b32_e32 v1, 0xff, v1
	v_lshlrev_b32_e32 v149, 6, v1
	v_lshl_or_b32 v1, v69, 8, v2
	ds_load_b128 v[119:122], v149
	ds_load_b128 v[123:126], v149 offset:1024
	ds_load_b128 v[127:130], v149 offset:2048
	ds_load_b128 v[131:134], v149 offset:3072
	s_clause 0x1
	s_load_b32 s2, s[2:3], 0x0
	s_load_b32 s3, s[4:5], 0x0
	v_add_co_u32 v135, s6, s6, v1
	s_delay_alu instid0(VALU_DEP_1) | instskip(SKIP_1) | instid1(VALU_DEP_1)
	v_add_co_ci_u32_e64 v136, null, s7, 0, s6
	s_waitcnt lgkmcnt(0)
	v_mad_i64_i32 v[1:2], null, s26, s17, v[135:136]
	v_mad_i64_i32 v[3:4], null, s27, s17, v[135:136]
	;; [unrolled: 1-line block ×6, first 2 shown]
	s_clause 0x9
	global_load_b128 v[49:52], v[1:2], off
	global_load_b128 v[53:56], v[1:2], off offset:16
	global_load_b128 v[41:44], v[3:4], off
	global_load_b128 v[45:48], v[3:4], off offset:16
	;; [unrolled: 2-line block ×5, first 2 shown]
	v_mad_i64_i32 v[145:146], null, s2, s17, v[135:136]
	v_mad_i64_i32 v[147:148], null, s3, s17, v[135:136]
	s_waitcnt vmcnt(24)
	v_wmma_f32_16x16x16_f16 v[135:142], v[17:24], v[119:126], v[111:118]
	s_waitcnt vmcnt(22)
	v_wmma_f32_16x16x16_f16 v[111:118], v[25:32], v[119:126], v[111:118]
	s_clause 0x3
	global_load_b128 v[17:20], v[143:144], off
	global_load_b128 v[21:24], v[143:144], off offset:16
	global_load_b128 v[25:28], v[145:146], off
	global_load_b128 v[29:32], v[145:146], off offset:16
	v_and_b32_e32 v119, 0xe0, v0
	s_waitcnt vmcnt(24)
	v_wmma_f32_16x16x16_f16 v[135:142], v[57:64], v[127:134], v[135:142]
	s_clause 0x1
	global_load_b128 v[57:60], v[147:148], off
	global_load_b128 v[61:64], v[147:148], off offset:16
	s_waitcnt vmcnt(24)
	v_wmma_f32_16x16x16_f16 v[111:118], v[71:78], v[127:134], v[111:118]
	ds_load_b128 v[71:74], v149 offset:4096
	ds_load_b128 v[75:78], v149 offset:5120
	v_add_nc_u32_e32 v128, s12, v119
	ds_load_b128 v[119:122], v149 offset:6144
	ds_load_b128 v[123:126], v149 offset:7168
	v_mbcnt_lo_u32_b32 v127, -1, 0
	s_waitcnt vmcnt(0) lgkmcnt(0)
	s_barrier
	v_or_b32_e32 v128, v128, v66
	buffer_gl0_inv
	v_xor_b32_e32 v129, 16, v127
	v_or_b32_e32 v130, 4, v128
	v_or_b32_e32 v131, 6, v128
	s_delay_alu instid0(VALU_DEP_3) | instskip(SKIP_4) | instid1(VALU_DEP_4)
	v_cmp_gt_i32_e32 vcc_lo, 32, v129
	v_or_b32_e32 v132, 8, v128
	v_or_b32_e32 v133, 10, v128
	v_cmp_gt_i32_e64 s3, s24, v130
	v_cmp_gt_i32_e64 s4, s24, v131
	;; [unrolled: 1-line block ×3, first 2 shown]
	v_wmma_f32_16x16x16_f16 v[135:142], v[79:86], v[71:78], v[135:142]
	v_wmma_f32_16x16x16_f16 v[111:118], v[87:94], v[71:78], v[111:118]
	v_or_b32_e32 v79, 12, v128
	v_or_b32_e32 v80, 14, v128
	v_cmp_gt_i32_e64 s6, s24, v133
	v_wmma_f32_16x16x16_f16 v[135:142], v[95:102], v[119:126], v[135:142]
	v_wmma_f32_16x16x16_f16 v[111:118], v[103:110], v[119:126], v[111:118]
	v_cndmask_b32_e32 v127, v127, v129, vcc_lo
	v_or_b32_e32 v129, 2, v128
	v_cmp_gt_i32_e32 vcc_lo, s24, v128
	s_delay_alu instid0(VALU_DEP_4) | instskip(SKIP_1) | instid1(VALU_DEP_4)
	v_dual_mul_f32 v87, s19, v136 :: v_dual_mul_f32 v94, s19, v113
	v_mul_f32_e32 v88, s19, v135
	v_cmp_gt_i32_e64 s2, s24, v129
	v_mul_f32_e32 v78, s19, v138
	v_mul_f32_e32 v86, s19, v137
	;; [unrolled: 1-line block ×3, first 2 shown]
	v_cndmask_b32_e32 v88, 0xff7fffff, v88, vcc_lo
	v_cndmask_b32_e64 v87, 0xff7fffff, v87, s2
	v_dual_mul_f32 v77, s19, v139 :: v_dual_mul_f32 v90, s19, v117
	v_cndmask_b32_e64 v86, 0xff7fffff, v86, s3
	v_cndmask_b32_e64 v78, 0xff7fffff, v78, s4
	s_delay_alu instid0(VALU_DEP_4)
	v_max3_f32 v87, v88, 0xff7fffff, v87
	v_or_b32_e32 v81, 16, v128
	v_or_b32_e32 v82, 18, v128
	v_dual_mul_f32 v74, s19, v142 :: v_dual_mul_f32 v75, s19, v141
	v_mul_f32_e32 v96, s19, v111
	v_cndmask_b32_e64 v77, 0xff7fffff, v77, s5
	v_cndmask_b32_e64 v76, 0xff7fffff, v76, s6
	v_max3_f32 v78, v87, v86, v78
	v_cmp_gt_i32_e64 s7, s24, v79
	v_cmp_gt_i32_e64 s8, s24, v80
	v_or_b32_e32 v83, 20, v128
	v_or_b32_e32 v84, 22, v128
	v_mul_f32_e32 v95, s19, v112
	v_cndmask_b32_e64 v75, 0xff7fffff, v75, s7
	v_cndmask_b32_e64 v74, 0xff7fffff, v74, s8
	v_max3_f32 v76, v78, v77, v76
	v_cmp_gt_i32_e64 s9, s24, v81
	v_cmp_gt_i32_e64 s10, s24, v82
	v_or_b32_e32 v85, 24, v128
	v_or_b32_e32 v71, 26, v128
	;; [unrolled: 8-line block ×3, first 2 shown]
	v_dual_mul_f32 v91, s19, v116 :: v_dual_mul_f32 v92, s19, v115
	v_cndmask_b32_e64 v75, 0xff7fffff, v94, s11
	v_cndmask_b32_e64 v76, 0xff7fffff, v93, s12
	v_max3_f32 v74, v74, v77, v78
	v_cmp_gt_i32_e64 s13, s24, v85
	v_cmp_gt_i32_e64 s15, s24, v71
	v_mul_f32_e32 v89, s19, v118
	v_cmp_gt_i32_e64 s16, s24, v72
	v_max3_f32 v74, v74, v75, v76
	v_cndmask_b32_e64 v77, 0xff7fffff, v92, s13
	v_cndmask_b32_e64 v71, 0xff7fffff, v91, s15
	v_cmp_gt_i32_e64 s17, s24, v73
	v_cndmask_b32_e64 v72, 0xff7fffff, v90, s16
	s_delay_alu instid0(VALU_DEP_3) | instskip(SKIP_1) | instid1(VALU_DEP_4)
	v_max3_f32 v71, v74, v77, v71
	v_lshlrev_b32_e32 v74, 2, v127
	v_cndmask_b32_e64 v73, 0xff7fffff, v89, s17
	s_delay_alu instid0(VALU_DEP_1) | instskip(SKIP_3) | instid1(VALU_DEP_1)
	v_max3_f32 v71, v71, v72, v73
	ds_bpermute_b32 v72, v74, v71
	s_waitcnt lgkmcnt(0)
	v_max_f32_e32 v72, v72, v72
	v_max_f32_e32 v71, v71, v72
	s_delay_alu instid0(VALU_DEP_1) | instskip(SKIP_4) | instid1(VALU_DEP_4)
	v_fma_f32 v72, s19, v135, -v71
	v_fma_f32 v73, s19, v136, -v71
	;; [unrolled: 1-line block ×5, first 2 shown]
	v_dual_mul_f32 v72, 0x3fb8aa3b, v72 :: v_dual_mul_f32 v73, 0x3fb8aa3b, v73
	s_delay_alu instid0(VALU_DEP_3) | instskip(SKIP_1) | instid1(VALU_DEP_3)
	v_dual_mul_f32 v75, 0x3fb8aa3b, v75 :: v_dual_mul_f32 v76, 0x3fb8aa3b, v76
	v_fma_f32 v80, s19, v141, -v71
	v_exp_f32_e32 v72, v72
	s_delay_alu instid0(VALU_DEP_3) | instskip(NEXT) | instid1(VALU_DEP_2)
	v_exp_f32_e32 v73, v73
	v_exp_f32_e32 v75, v75
	;; [unrolled: 1-line block ×3, first 2 shown]
	v_mul_f32_e32 v82, 0x3fb8aa3b, v80
	s_delay_alu instid0(VALU_DEP_1) | instskip(SKIP_4) | instid1(TRANS32_DEP_3)
	v_exp_f32_e32 v84, v82
	v_cndmask_b32_e32 v79, 0, v72, vcc_lo
	v_fma_f32 v72, s19, v140, -v71
	v_mul_f32_e32 v77, 0x3fb8aa3b, v77
	v_cndmask_b32_e64 v78, 0, v73, s2
	v_cndmask_b32_e64 v81, 0, v75, s3
	s_delay_alu instid0(VALU_DEP_4) | instskip(NEXT) | instid1(VALU_DEP_4)
	v_dual_add_f32 v73, 0, v79 :: v_dual_mul_f32 v72, 0x3fb8aa3b, v72
	v_exp_f32_e32 v77, v77
	v_cndmask_b32_e64 v80, 0, v76, s4
	s_delay_alu instid0(TRANS32_DEP_2) | instskip(NEXT) | instid1(VALU_DEP_3)
	v_cndmask_b32_e64 v85, 0, v84, s7
	v_add_f32_e32 v73, v73, v78
	v_exp_f32_e32 v72, v72
	v_cmp_gt_u32_e64 s2, 16, v70
	s_delay_alu instid0(VALU_DEP_2) | instskip(NEXT) | instid1(TRANS32_DEP_2)
	v_add_f32_e32 v73, v73, v81
	v_cndmask_b32_e64 v83, 0, v77, s5
	s_delay_alu instid0(VALU_DEP_2) | instskip(SKIP_3) | instid1(VALU_DEP_1)
	v_add_f32_e32 v73, v73, v80
	s_waitcnt_depctr 0xfff
	v_cndmask_b32_e64 v82, 0, v72, s6
	v_add_f32_e32 v72, v73, v83
	v_add_f32_e32 v72, v72, v82
	s_delay_alu instid0(VALU_DEP_1)
	v_add_f32_e32 v72, v72, v85
	v_fma_f32 v76, s19, v111, -v71
	v_fma_f32 v75, s19, v142, -v71
	;; [unrolled: 1-line block ×5, first 2 shown]
	s_delay_alu instid0(VALU_DEP_4) | instskip(NEXT) | instid1(VALU_DEP_3)
	v_dual_mul_f32 v76, 0x3fb8aa3b, v76 :: v_dual_mul_f32 v75, 0x3fb8aa3b, v75
	v_mul_f32_e32 v86, 0x3fb8aa3b, v86
	s_delay_alu instid0(VALU_DEP_2) | instskip(NEXT) | instid1(VALU_DEP_2)
	v_exp_f32_e32 v76, v76
	v_exp_f32_e32 v75, v75
	s_delay_alu instid0(VALU_DEP_1) | instskip(NEXT) | instid1(TRANS32_DEP_3)
	v_exp_f32_e32 v88, v86
	v_cndmask_b32_e64 v87, 0, v76, s9
	v_fma_f32 v76, s19, v116, -v71
	v_mul_f32_e32 v77, 0x3fb8aa3b, v77
	s_waitcnt_depctr 0xfff
	v_cndmask_b32_e64 v84, 0, v75, s8
	v_fma_f32 v75, s19, v115, -v71
	v_cndmask_b32_e64 v88, 0, v88, s12
	v_mul_f32_e32 v76, 0x3fb8aa3b, v76
	v_exp_f32_e32 v77, v77
	v_add_f32_e32 v72, v72, v84
	s_delay_alu instid0(VALU_DEP_2) | instskip(NEXT) | instid1(VALU_DEP_1)
	v_exp_f32_e32 v76, v76
	v_add_f32_e32 v72, v72, v87
	s_waitcnt_depctr 0xfff
	v_cndmask_b32_e64 v86, 0, v77, s10
	v_mul_f32_e32 v73, 0x3fb8aa3b, v73
	v_fma_f32 v77, s19, v117, -v71
	v_cndmask_b32_e64 v90, 0, v76, s15
	s_delay_alu instid0(VALU_DEP_4) | instskip(NEXT) | instid1(VALU_DEP_4)
	v_add_f32_e32 v72, v72, v86
	v_exp_f32_e32 v73, v73
	s_waitcnt_depctr 0xfff
	v_cndmask_b32_e64 v89, 0, v73, s11
	s_delay_alu instid0(VALU_DEP_1) | instskip(NEXT) | instid1(VALU_DEP_1)
	v_dual_mul_f32 v75, 0x3fb8aa3b, v75 :: v_dual_add_f32 v72, v72, v89
	v_exp_f32_e32 v75, v75
	v_mul_f32_e32 v73, 0x3fb8aa3b, v77
	v_fma_f32 v77, s19, v118, -v71
	s_delay_alu instid0(VALU_DEP_3) | instskip(NEXT) | instid1(VALU_DEP_3)
	v_add_f32_e32 v72, v72, v88
	v_exp_f32_e32 v73, v73
	s_waitcnt_depctr 0xfff
	v_cndmask_b32_e64 v91, 0, v75, s13
	s_delay_alu instid0(VALU_DEP_1) | instskip(NEXT) | instid1(VALU_DEP_1)
	v_dual_mul_f32 v75, 0x3fb8aa3b, v77 :: v_dual_add_f32 v72, v72, v91
	v_exp_f32_e32 v75, v75
	v_cndmask_b32_e64 v93, 0, v73, s16
	s_delay_alu instid0(VALU_DEP_2) | instskip(NEXT) | instid1(VALU_DEP_1)
	v_add_f32_e32 v72, v72, v90
	v_add_f32_e32 v72, v72, v93
	s_waitcnt_depctr 0xfff
	v_cndmask_b32_e64 v92, 0, v75, s17
	s_delay_alu instid0(VALU_DEP_1)
	v_add_f32_e32 v72, v72, v92
	ds_bpermute_b32 v73, v74, v72
	s_and_saveexec_b32 s3, s2
	s_cbranch_execz .LBB936_12
; %bb.11:
	v_mul_u32_u24_e32 v70, 0x44, v69
	s_waitcnt lgkmcnt(0)
	v_add_f32_e32 v72, v72, v73
	s_delay_alu instid0(VALU_DEP_2) | instskip(NEXT) | instid1(VALU_DEP_1)
	v_lshl_add_u32 v70, v68, 2, v70
	v_add_nc_u32_e32 v70, 0x4000, v70
	ds_store_2addr_b32 v70, v71, v72 offset1:136
.LBB936_12:
	s_or_b32 exec_lo, exec_lo, s3
	v_lshlrev_b32_e32 v70, 2, v68
	s_load_b32 s35, s[0:1], 0x94
	s_waitcnt lgkmcnt(0)
	s_barrier
	buffer_gl0_inv
	v_add_nc_u32_e32 v98, 0x4000, v70
	v_cmp_eq_u32_e32 vcc_lo, 1, v69
	v_cmp_eq_u32_e64 s3, 2, v69
	v_cmp_eq_u32_e64 s4, 3, v69
	;; [unrolled: 1-line block ×3, first 2 shown]
	ds_load_2addr_b32 v[70:71], v98 offset1:17
	ds_load_2addr_b32 v[72:73], v98 offset0:34 offset1:51
	ds_load_2addr_b32 v[74:75], v98 offset0:68 offset1:85
	;; [unrolled: 1-line block ×3, first 2 shown]
	v_cmp_eq_u32_e64 s6, 5, v69
	v_cmp_eq_u32_e64 s7, 7, v69
	s_waitcnt lgkmcnt(3)
	v_max3_f32 v76, v70, 0xff7fffff, v71
	s_waitcnt lgkmcnt(2)
	s_delay_alu instid0(VALU_DEP_1) | instskip(SKIP_1) | instid1(VALU_DEP_1)
	v_max3_f32 v76, v76, v72, v73
	s_waitcnt lgkmcnt(1)
	v_max3_f32 v76, v76, v74, v75
	s_waitcnt lgkmcnt(0)
	s_delay_alu instid0(VALU_DEP_1) | instskip(NEXT) | instid1(VALU_DEP_1)
	v_max3_f32 v76, v76, v94, v95
	v_sub_f32_e32 v77, v71, v76
	ds_load_2addr_b32 v[96:97], v98 offset0:136 offset1:153
	v_sub_f32_e32 v74, v74, v76
	v_sub_f32_e32 v70, v70, v76
	;; [unrolled: 1-line block ×3, first 2 shown]
	v_dual_sub_f32 v72, v72, v76 :: v_dual_mul_f32 v77, 0x3fb8aa3b, v77
	s_delay_alu instid0(VALU_DEP_4) | instskip(NEXT) | instid1(VALU_DEP_4)
	v_mul_f32_e32 v103, 0x3fb8aa3b, v74
	v_mul_f32_e32 v99, 0x3fb8aa3b, v70
	ds_load_2addr_b32 v[70:71], v98 offset0:170 offset1:187
	v_dual_mul_f32 v101, 0x3fb8aa3b, v72 :: v_dual_mul_f32 v94, 0x3fb8aa3b, v94
	v_exp_f32_e32 v102, v77
	v_exp_f32_e32 v99, v99
	s_delay_alu instid0(VALU_DEP_1) | instskip(NEXT) | instid1(VALU_DEP_1)
	v_exp_f32_e32 v101, v101
	v_exp_f32_e32 v94, v94
	s_waitcnt lgkmcnt(1)
	s_delay_alu instid0(TRANS32_DEP_3)
	v_fma_f32 v77, v99, v96, 0
	v_sub_f32_e32 v100, v73, v76
	ds_load_2addr_b32 v[72:73], v98 offset0:204 offset1:221
	v_fmac_f32_e32 v77, v102, v97
	v_exp_f32_e32 v97, v103
	s_waitcnt lgkmcnt(1)
	s_delay_alu instid0(VALU_DEP_1)
	v_dual_fmac_f32 v77, v101, v70 :: v_dual_sub_f32 v96, v75, v76
	ds_load_2addr_b32 v[74:75], v98 offset0:238 offset1:255
	v_sub_f32_e32 v70, v95, v76
	s_waitcnt lgkmcnt(0)
	s_barrier
	v_mul_f32_e32 v96, 0x3fb8aa3b, v96
	buffer_gl0_inv
	v_exp_f32_e32 v95, v96
	v_mul_f32_e32 v100, 0x3fb8aa3b, v100
	s_delay_alu instid0(VALU_DEP_1) | instskip(SKIP_3) | instid1(VALU_DEP_2)
	v_exp_f32_e32 v100, v100
	s_waitcnt_depctr 0xfff
	v_dual_fmac_f32 v77, v100, v71 :: v_dual_mul_f32 v70, 0x3fb8aa3b, v70
	v_cndmask_b32_e32 v71, v99, v102, vcc_lo
	v_fmac_f32_e32 v77, v97, v72
	s_delay_alu instid0(VALU_DEP_3) | instskip(NEXT) | instid1(VALU_DEP_1)
	v_exp_f32_e32 v96, v70
	v_fmac_f32_e32 v77, v95, v73
	s_delay_alu instid0(VALU_DEP_1) | instskip(SKIP_2) | instid1(VALU_DEP_1)
	v_fmac_f32_e32 v77, v94, v74
	s_waitcnt_depctr 0xfff
	v_fmac_f32_e32 v77, v96, v75
	v_add_f32_e32 v74, 0x358637bd, v77
	s_delay_alu instid0(VALU_DEP_1) | instskip(SKIP_1) | instid1(VALU_DEP_2)
	v_div_scale_f32 v98, null, v74, v74, 1.0
	v_div_scale_f32 v99, vcc_lo, 1.0, v74, 1.0
	v_rcp_f32_e32 v103, v98
	s_waitcnt_depctr 0xfff
	v_fma_f32 v70, -v98, v103, 1.0
	s_delay_alu instid0(VALU_DEP_1) | instskip(SKIP_2) | instid1(VALU_DEP_2)
	v_fmac_f32_e32 v103, v70, v103
	v_cndmask_b32_e64 v70, v71, v101, s3
	v_cmp_eq_u32_e64 s3, 6, v69
	v_cndmask_b32_e64 v71, v70, v100, s4
	s_delay_alu instid0(VALU_DEP_4) | instskip(NEXT) | instid1(VALU_DEP_2)
	v_dual_mul_f32 v101, v99, v103 :: v_dual_lshlrev_b32 v70, 2, v66
	v_cndmask_b32_e64 v71, v71, v97, s5
	s_delay_alu instid0(VALU_DEP_2) | instskip(NEXT) | instid1(VALU_DEP_3)
	v_or_b32_e32 v72, 1, v70
	v_fma_f32 v100, -v98, v101, v99
	v_cmp_eq_u32_e64 s4, 1, v70
	v_cmp_eq_u32_e64 s5, 2, v70
	v_cndmask_b32_e64 v95, v71, v95, s6
	v_or_b32_e32 v71, 3, v70
	v_fmac_f32_e32 v101, v100, v103
	v_cmp_eq_u32_e64 s9, 1, v72
	v_cmp_eq_u32_e64 s12, 2, v72
	v_cndmask_b32_e64 v94, v95, v94, s3
	v_cmp_eq_u32_e64 s11, 1, v71
	v_fma_f32 v97, -v98, v101, v99
	v_cmp_eq_u32_e64 s16, 2, v71
	v_cmp_eq_u32_e64 s13, 3, v72
	v_cndmask_b32_e64 v94, v94, v96, s7
	v_cmp_eq_u32_e64 s18, 3, v71
	v_div_fmas_f32 v95, v97, v103, v101
	v_cmp_eq_u32_e32 vcc_lo, 3, v70
	v_cmp_eq_u32_e64 s3, 4, v70
	v_cmp_eq_u32_e64 s19, 4, v72
	;; [unrolled: 1-line block ×3, first 2 shown]
	v_div_fixup_f32 v95, v95, v74, 1.0
	v_lshlrev_b32_e32 v73, 6, v68
	v_cmp_eq_u32_e64 s6, 5, v70
	v_cmp_eq_u32_e64 s20, 5, v72
	;; [unrolled: 1-line block ×3, first 2 shown]
	v_mul_f32_e32 v102, v94, v95
	v_lshl_or_b32 v75, v69, 11, v73
	v_or_b32_e32 v69, 2, v70
	v_cmp_eq_u32_e64 s25, 6, v72
	v_cmp_eq_u32_e64 s27, 6, v71
	v_fma_mixlo_f16 v94, v102, v79, 0
	v_fma_mixlo_f16 v95, v102, v81, 0
	;; [unrolled: 1-line block ×8, first 2 shown]
	v_lshl_or_b32 v74, v66, 4, v75
	v_fma_mixhi_f16 v94, v102, v78, 0
	v_fma_mixhi_f16 v95, v102, v80, 0
	;; [unrolled: 1-line block ×8, first 2 shown]
	ds_store_b128 v74, v[94:97]
	ds_store_b128 v74, v[98:101] offset:1024
	s_waitcnt lgkmcnt(0)
	s_barrier
	buffer_gl0_inv
	ds_load_b128 v[78:81], v75
	ds_load_b128 v[82:85], v75 offset:16
	ds_load_b128 v[86:89], v75 offset:1024
	;; [unrolled: 1-line block ×3, first 2 shown]
	v_cmp_eq_u32_e64 s10, 1, v69
	v_cmp_eq_u32_e64 s15, 2, v69
	;; [unrolled: 1-line block ×11, first 2 shown]
	s_waitcnt lgkmcnt(3)
	v_lshrrev_b32_e32 v94, 16, v78
	s_waitcnt lgkmcnt(2)
	v_lshrrev_b32_e32 v98, 16, v82
	;; [unrolled: 2-line block ×4, first 2 shown]
	v_lshrrev_b32_e32 v95, 16, v79
	v_cndmask_b32_e64 v110, v78, v94, s4
	v_cndmask_b32_e64 v111, v82, v98, s4
	;; [unrolled: 1-line block ×8, first 2 shown]
	v_lshrrev_b32_e32 v99, 16, v83
	v_cndmask_b32_e64 v94, v86, v102, s4
	v_cndmask_b32_e64 v98, v90, v106, s4
	;; [unrolled: 1-line block ×15, first 2 shown]
	v_lshrrev_b32_e32 v103, 16, v87
	v_lshrrev_b32_e32 v107, 16, v91
	v_cndmask_b32_e64 v113, v115, v83, s15
	v_cndmask_b32_e64 v82, v94, v87, s5
	;; [unrolled: 1-line block ×7, first 2 shown]
	v_cndmask_b32_e32 v90, v102, v95, vcc_lo
	v_cndmask_b32_e32 v102, v106, v99, vcc_lo
	v_cndmask_b32_e64 v106, v110, v95, s13
	v_cndmask_b32_e64 v110, v111, v99, s13
	;; [unrolled: 1-line block ×4, first 2 shown]
	v_lshrrev_b32_e32 v96, 16, v80
	v_lshrrev_b32_e32 v100, 16, v84
	v_cndmask_b32_e64 v111, v112, v95, s17
	v_cndmask_b32_e64 v112, v113, v99, s17
	v_cndmask_b32_e32 v82, v82, v103, vcc_lo
	v_cndmask_b32_e32 v83, v83, v107, vcc_lo
	v_cndmask_b32_e64 v94, v94, v103, s13
	v_cndmask_b32_e64 v90, v90, v80, s3
	;; [unrolled: 1-line block ×7, first 2 shown]
	v_lshrrev_b32_e32 v104, 16, v88
	v_cndmask_b32_e64 v106, v111, v80, s21
	v_cndmask_b32_e64 v110, v112, v84, s21
	;; [unrolled: 1-line block ×11, first 2 shown]
	v_lshrrev_b32_e32 v97, 16, v81
	v_lshrrev_b32_e32 v101, 16, v85
	v_cndmask_b32_e64 v99, v106, v96, s23
	v_cndmask_b32_e64 v102, v110, v100, s23
	;; [unrolled: 1-line block ×7, first 2 shown]
	v_lshrrev_b32_e32 v105, 16, v89
	v_cndmask_b32_e64 v80, v80, v104, s6
	v_cndmask_b32_e64 v84, v84, v81, s7
	;; [unrolled: 1-line block ×16, first 2 shown]
	v_perm_b32 v81, v79, v78, 0x5040100
	v_perm_b32 v79, v95, v85, 0x5040100
	v_cndmask_b32_e64 v78, v119, v91, s15
	v_cndmask_b32_e64 v85, v117, v91, s12
	;; [unrolled: 1-line block ×3, first 2 shown]
	v_perm_b32 v80, v94, v90, 0x5040100
	v_cndmask_b32_e64 v90, v98, v103, s17
	v_cndmask_b32_e64 v86, v86, v103, s18
	;; [unrolled: 1-line block ×5, first 2 shown]
	v_lshrrev_b32_e32 v108, 16, v92
	v_cndmask_b32_e64 v90, v90, v88, s21
	v_cndmask_b32_e64 v86, v86, v88, s22
	;; [unrolled: 1-line block ×11, first 2 shown]
	v_lshrrev_b32_e32 v109, 16, v93
	v_cndmask_b32_e64 v82, v82, v93, s7
	v_cndmask_b32_e64 v88, v88, v89, s26
	;; [unrolled: 1-line block ×12, first 2 shown]
	v_perm_b32 v78, v84, v83, 0x5040100
	v_perm_b32 v85, v87, v86, 0x5040100
	;; [unrolled: 1-line block ×5, first 2 shown]
	s_mul_i32 s8, s33, 7
	s_mov_b32 s3, exec_lo
	ds_store_b128 v74, v[78:81]
	ds_store_b128 v74, v[82:85] offset:1024
	v_cmpx_gt_u32_e32 7, v0
	s_cbranch_execz .LBB936_14
; %bb.13:
	s_mul_i32 s4, s8, s34
	s_delay_alu instid0(SALU_CYCLE_1) | instskip(SKIP_1) | instid1(VALU_DEP_1)
	v_add3_u32 v68, s4, s31, v68
	s_load_b128 s[4:7], s[0:1], 0x58
	v_mad_u64_u32 v[78:79], null, v68, s35, s[14:15]
	s_delay_alu instid0(VALU_DEP_1) | instskip(NEXT) | instid1(VALU_DEP_1)
	v_ashrrev_i32_e32 v79, 31, v78
	v_lshlrev_b64 v[78:79], 2, v[78:79]
	s_waitcnt lgkmcnt(0)
	s_delay_alu instid0(VALU_DEP_1) | instskip(NEXT) | instid1(VALU_DEP_2)
	v_add_co_u32 v80, vcc_lo, s6, v78
	v_add_co_ci_u32_e32 v81, vcc_lo, s7, v79, vcc_lo
	v_add_co_u32 v78, vcc_lo, s4, v78
	v_add_co_ci_u32_e32 v79, vcc_lo, s5, v79, vcc_lo
	global_store_b32 v[80:81], v76, off
	global_store_b32 v[78:79], v77, off
.LBB936_14:
	s_or_b32 exec_lo, exec_lo, s3
	s_waitcnt lgkmcnt(0)
	s_waitcnt_vscnt null, 0x0
	s_barrier
	buffer_gl0_inv
	ds_load_b128 v[84:87], v73
	ds_load_b128 v[88:91], v73 offset:16
	ds_load_b128 v[96:99], v73 offset:2064
	;; [unrolled: 1-line block ×5, first 2 shown]
	v_cmp_eq_u32_e32 vcc_lo, 1, v70
	v_mov_b32_e32 v76, 0
	ds_load_b128 v[112:115], v73 offset:6160
	ds_load_b128 v[108:111], v73 offset:6144
	;; [unrolled: 1-line block ×4, first 2 shown]
	v_cmp_eq_u32_e64 s4, 1, v69
	v_cmp_eq_u32_e64 s3, 1, v72
	;; [unrolled: 1-line block ×3, first 2 shown]
	v_mov_b32_e32 v77, v76
	v_mov_b32_e32 v78, v76
	;; [unrolled: 1-line block ×7, first 2 shown]
	v_cmp_eq_u32_e64 s6, 3, v72
	v_cmp_eq_u32_e64 s7, 7, v72
	s_waitcnt lgkmcnt(8)
	s_delay_alu instid0(VALU_DEP_3)
	v_wmma_f32_16x16x16_f16 v[76:83], v[49:56], v[84:91], v[76:83]
	ds_load_b128 v[53:56], v73 offset:10256
	ds_load_b128 v[49:52], v73 offset:10240
	s_waitcnt lgkmcnt(8)
	v_wmma_f32_16x16x16_f16 v[76:83], v[41:48], v[92:99], v[76:83]
	ds_load_b128 v[45:48], v73 offset:12304
	ds_load_b128 v[41:44], v73 offset:12288
	s_waitcnt lgkmcnt(8)
	;; [unrolled: 4-line block ×3, first 2 shown]
	s_barrier
	buffer_gl0_inv
	v_wmma_f32_16x16x16_f16 v[76:83], v[1:8], v[108:115], v[76:83]
	s_delay_alu instid0(VALU_DEP_1) | instskip(NEXT) | instid1(VALU_DEP_1)
	v_wmma_f32_16x16x16_f16 v[76:83], v[9:16], v[116:123], v[76:83]
	v_wmma_f32_16x16x16_f16 v[76:83], v[17:24], v[49:56], v[76:83]
	s_delay_alu instid0(VALU_DEP_1) | instskip(NEXT) | instid1(VALU_DEP_1)
	v_wmma_f32_16x16x16_f16 v[76:83], v[25:32], v[41:48], v[76:83]
	v_wmma_f32_16x16x16_f16 v[76:83], v[57:64], v[33:40], v[76:83]
	s_delay_alu instid0(VALU_DEP_1) | instskip(NEXT) | instid1(VALU_DEP_2)
	v_cvt_f16_f32_e32 v1, v76
	v_cvt_f16_f32_e32 v2, v77
	s_delay_alu instid0(VALU_DEP_3) | instskip(NEXT) | instid1(VALU_DEP_4)
	v_cvt_f16_f32_e32 v3, v78
	v_cvt_f16_f32_e32 v4, v79
	;; [unrolled: 1-line block ×6, first 2 shown]
	v_pack_b32_f16 v1, v1, v2
	v_pack_b32_f16 v2, v3, v4
	;; [unrolled: 1-line block ×3, first 2 shown]
	s_delay_alu instid0(VALU_DEP_4)
	v_pack_b32_f16 v4, v7, v8
	ds_store_b128 v74, v[1:4]
	s_waitcnt lgkmcnt(0)
	s_barrier
	buffer_gl0_inv
	ds_load_b128 v[1:4], v75
	ds_load_b128 v[5:8], v75 offset:16
	s_waitcnt lgkmcnt(1)
	v_lshrrev_b32_e32 v9, 16, v1
	s_waitcnt lgkmcnt(0)
	v_lshrrev_b32_e32 v13, 16, v5
	v_lshrrev_b32_e32 v10, 16, v2
	;; [unrolled: 1-line block ×4, first 2 shown]
	v_cndmask_b32_e32 v17, v1, v9, vcc_lo
	v_cndmask_b32_e32 v18, v5, v13, vcc_lo
	v_cndmask_b32_e64 v21, v1, v9, s4
	v_cmp_eq_u32_e32 vcc_lo, 1, v71
	v_cndmask_b32_e64 v22, v5, v13, s4
	v_cmp_eq_u32_e64 s4, 2, v70
	v_cndmask_b32_e64 v19, v1, v9, s3
	v_cndmask_b32_e64 v20, v5, v13, s3
	v_cndmask_b32_e32 v1, v1, v9, vcc_lo
	v_cmp_eq_u32_e64 s3, 2, v71
	v_cndmask_b32_e32 v5, v5, v13, vcc_lo
	v_cndmask_b32_e64 v9, v17, v2, s4
	v_cmp_eq_u32_e32 vcc_lo, 3, v70
	v_cndmask_b32_e64 v13, v18, v6, s4
	v_cmp_eq_u32_e64 s4, 2, v69
	v_cndmask_b32_e64 v17, v19, v2, s5
	v_cndmask_b32_e64 v18, v20, v6, s5
	v_cmp_eq_u32_e64 s5, 3, v69
	v_cndmask_b32_e64 v1, v1, v2, s3
	v_cndmask_b32_e64 v19, v21, v2, s4
	;; [unrolled: 1-line block ×4, first 2 shown]
	v_cndmask_b32_e32 v5, v9, v10, vcc_lo
	v_cndmask_b32_e32 v6, v13, v14, vcc_lo
	v_cmp_eq_u32_e32 vcc_lo, 3, v71
	v_cndmask_b32_e64 v9, v17, v10, s6
	v_cndmask_b32_e64 v13, v18, v14, s6
	;; [unrolled: 1-line block ×3, first 2 shown]
	v_cmp_eq_u32_e64 s4, 4, v70
	v_cndmask_b32_e32 v1, v1, v10, vcc_lo
	v_cndmask_b32_e32 v2, v2, v14, vcc_lo
	v_cmp_eq_u32_e32 vcc_lo, 4, v72
	v_lshrrev_b32_e32 v15, 16, v7
	v_lshrrev_b32_e32 v16, 16, v8
	v_cndmask_b32_e64 v17, v19, v10, s5
	v_cmp_eq_u32_e64 s3, 4, v71
	v_cndmask_b32_e64 v5, v5, v3, s4
	v_cndmask_b32_e64 v6, v6, v7, s4
	v_cndmask_b32_e32 v9, v9, v3, vcc_lo
	v_cmp_eq_u32_e64 s4, 5, v72
	v_cndmask_b32_e32 v10, v13, v7, vcc_lo
	v_cmp_eq_u32_e32 vcc_lo, 4, v69
	v_cmp_eq_u32_e64 s5, 5, v70
	v_cndmask_b32_e64 v2, v2, v7, s3
	v_cndmask_b32_e64 v9, v9, v11, s4
	;; [unrolled: 1-line block ×3, first 2 shown]
	v_cndmask_b32_e32 v13, v17, v3, vcc_lo
	v_cmp_eq_u32_e64 s4, 5, v69
	v_cndmask_b32_e32 v14, v18, v7, vcc_lo
	v_cndmask_b32_e64 v1, v1, v3, s3
	v_cmp_eq_u32_e32 vcc_lo, 5, v71
	v_lshrrev_b32_e32 v12, 16, v4
	v_cndmask_b32_e64 v13, v13, v11, s4
	v_cndmask_b32_e64 v3, v14, v15, s4
	v_cmp_eq_u32_e64 s4, 6, v71
	v_cndmask_b32_e32 v1, v1, v11, vcc_lo
	v_cndmask_b32_e64 v5, v5, v11, s5
	v_cmp_eq_u32_e64 s6, 6, v70
	v_cndmask_b32_e64 v6, v6, v15, s5
	v_cmp_eq_u32_e64 s5, 6, v72
	v_cmp_eq_u32_e64 s3, 6, v69
	v_cndmask_b32_e64 v1, v1, v4, s4
	v_cndmask_b32_e32 v2, v2, v15, vcc_lo
	v_cmp_eq_u32_e32 vcc_lo, 7, v71
	v_cndmask_b32_e64 v5, v5, v4, s6
	v_cndmask_b32_e64 v9, v9, v4, s5
	;; [unrolled: 1-line block ×3, first 2 shown]
	v_cmp_eq_u32_e64 s6, 7, v70
	v_cndmask_b32_e32 v1, v1, v12, vcc_lo
	v_cndmask_b32_e64 v7, v13, v4, s3
	v_cndmask_b32_e64 v3, v3, v8, s3
	;; [unrolled: 1-line block ×3, first 2 shown]
	v_cmp_eq_u32_e64 s3, 7, v69
	v_cndmask_b32_e64 v4, v10, v8, s5
	v_cndmask_b32_e64 v5, v5, v12, s6
	v_cndmask_b32_e64 v9, v9, v12, s7
	v_cndmask_b32_e32 v2, v2, v16, vcc_lo
	v_cndmask_b32_e64 v7, v7, v12, s3
	v_cndmask_b32_e64 v3, v3, v16, s3
	;; [unrolled: 1-line block ×4, first 2 shown]
	v_perm_b32 v4, v2, v1, 0x5040100
	s_mov_b32 s3, exec_lo
	v_perm_b32 v3, v3, v7, 0x5040100
	v_perm_b32 v2, v8, v9, 0x5040100
	;; [unrolled: 1-line block ×3, first 2 shown]
	ds_store_b128 v74, v[1:4]
	s_waitcnt lgkmcnt(0)
	s_barrier
	buffer_gl0_inv
	v_cmpx_gt_u32_e32 32, v0
	s_cbranch_execz .LBB936_2
; %bb.15:
	s_load_b64 s[4:5], s[0:1], 0x68
	v_lshlrev_b32_e32 v0, 10, v0
	v_add_nc_u32_e32 v2, s31, v66
	v_lshlrev_b32_e32 v3, 4, v67
	s_lshl_b32 s0, s35, 7
	s_delay_alu instid0(SALU_CYCLE_1) | instskip(NEXT) | instid1(VALU_DEP_2)
	s_mul_i32 s1, s0, s34
	v_mul_lo_u32 v1, v2, s0
	s_delay_alu instid0(VALU_DEP_2)
	v_and_or_b32 v0, 0x3800, v0, v3
	v_add_nc_u32_e32 v3, 2, v2
	s_mul_i32 s6, s1, s8
	v_add_nc_u32_e32 v4, 4, v2
	s_ashr_i32 s7, s6, 31
	v_lshl_or_b32 v11, v66, 6, v0
	s_lshl_b64 s[6:7], s[6:7], 1
	v_mul_lo_u32 v15, v3, s0
	v_mul_lo_u32 v17, v4, s0
	v_ashrrev_i32_e32 v2, 31, v1
	ds_load_b128 v[3:6], v11
	ds_load_b128 v[7:10], v11 offset:128
	ds_load_b128 v[11:14], v11 offset:256
	s_waitcnt lgkmcnt(0)
	s_add_u32 s1, s4, s6
	s_addc_u32 s3, s5, s7
	s_lshl_b32 s4, s14, 7
	v_ashrrev_i32_e32 v16, 31, v15
	s_ashr_i32 s5, s4, 31
	v_lshlrev_b64 v[19:20], 1, v[1:2]
	s_lshl_b64 s[4:5], s[4:5], 1
	v_ashrrev_i32_e32 v18, 31, v17
	s_add_u32 s1, s1, s4
	s_addc_u32 s3, s3, s5
	v_add_co_u32 v1, s1, s1, v65
	s_delay_alu instid0(VALU_DEP_1) | instskip(SKIP_1) | instid1(VALU_DEP_3)
	v_add_co_ci_u32_e64 v2, null, s3, 0, s1
	v_lshlrev_b64 v[15:16], 1, v[15:16]
	v_add_co_u32 v19, vcc_lo, v1, v19
	v_lshlrev_b64 v[17:18], 1, v[17:18]
	s_delay_alu instid0(VALU_DEP_4) | instskip(NEXT) | instid1(VALU_DEP_4)
	v_add_co_ci_u32_e32 v20, vcc_lo, v2, v20, vcc_lo
	v_add_co_u32 v15, vcc_lo, v1, v15
	v_add_co_ci_u32_e32 v16, vcc_lo, v2, v16, vcc_lo
	s_delay_alu instid0(VALU_DEP_4)
	v_add_co_u32 v17, vcc_lo, v1, v17
	v_add_co_ci_u32_e32 v18, vcc_lo, v2, v18, vcc_lo
	s_clause 0x2
	global_store_b128 v[19:20], v[3:6], off
	global_store_b128 v[15:16], v[7:10], off
	;; [unrolled: 1-line block ×3, first 2 shown]
	s_and_b32 exec_lo, exec_lo, s2
	s_cbranch_execz .LBB936_2
; %bb.16:
	ds_load_b128 v[3:6], v0 offset:384
	s_add_i32 s1, s31, 6
	s_delay_alu instid0(SALU_CYCLE_1) | instskip(NEXT) | instid1(SALU_CYCLE_1)
	s_mul_i32 s0, s1, s0
	s_ashr_i32 s1, s0, 31
	s_delay_alu instid0(SALU_CYCLE_1) | instskip(NEXT) | instid1(SALU_CYCLE_1)
	s_lshl_b64 s[0:1], s[0:1], 1
	v_add_co_u32 v0, vcc_lo, v1, s0
	v_add_co_ci_u32_e32 v1, vcc_lo, s1, v2, vcc_lo
	s_waitcnt lgkmcnt(0)
	global_store_b128 v[0:1], v[3:6], off
	s_nop 0
	s_sendmsg sendmsg(MSG_DEALLOC_VGPRS)
	s_endpgm
	.section	.rodata,"a",@progbits
	.p2align	6, 0x0
	.amdhsa_kernel _Z39paged_attention_ll4mi_QKV_mfma16_kernelIDF16_hLN4vllm18Fp8KVCacheDataTypeE1EhLi16ELi128ELi256ELb1ELi7EL8MFMAType1EEvPKT_PKT0_S8_ifPKiSA_SA_iPKfiiiPfSD_PS3_PT2_iSC_SC_
		.amdhsa_group_segment_fixed_size 17472
		.amdhsa_private_segment_fixed_size 0
		.amdhsa_kernarg_size 400
		.amdhsa_user_sgpr_count 13
		.amdhsa_user_sgpr_dispatch_ptr 0
		.amdhsa_user_sgpr_queue_ptr 0
		.amdhsa_user_sgpr_kernarg_segment_ptr 1
		.amdhsa_user_sgpr_dispatch_id 0
		.amdhsa_user_sgpr_private_segment_size 0
		.amdhsa_wavefront_size32 1
		.amdhsa_uses_dynamic_stack 0
		.amdhsa_enable_private_segment 0
		.amdhsa_system_sgpr_workgroup_id_x 1
		.amdhsa_system_sgpr_workgroup_id_y 1
		.amdhsa_system_sgpr_workgroup_id_z 1
		.amdhsa_system_sgpr_workgroup_info 0
		.amdhsa_system_vgpr_workitem_id 0
		.amdhsa_next_free_vgpr 150
		.amdhsa_next_free_sgpr 36
		.amdhsa_reserve_vcc 1
		.amdhsa_float_round_mode_32 0
		.amdhsa_float_round_mode_16_64 0
		.amdhsa_float_denorm_mode_32 3
		.amdhsa_float_denorm_mode_16_64 3
		.amdhsa_dx10_clamp 1
		.amdhsa_ieee_mode 1
		.amdhsa_fp16_overflow 0
		.amdhsa_workgroup_processor_mode 1
		.amdhsa_memory_ordered 1
		.amdhsa_forward_progress 0
		.amdhsa_shared_vgpr_count 0
		.amdhsa_exception_fp_ieee_invalid_op 0
		.amdhsa_exception_fp_denorm_src 0
		.amdhsa_exception_fp_ieee_div_zero 0
		.amdhsa_exception_fp_ieee_overflow 0
		.amdhsa_exception_fp_ieee_underflow 0
		.amdhsa_exception_fp_ieee_inexact 0
		.amdhsa_exception_int_div_zero 0
	.end_amdhsa_kernel
	.section	.text._Z39paged_attention_ll4mi_QKV_mfma16_kernelIDF16_hLN4vllm18Fp8KVCacheDataTypeE1EhLi16ELi128ELi256ELb1ELi7EL8MFMAType1EEvPKT_PKT0_S8_ifPKiSA_SA_iPKfiiiPfSD_PS3_PT2_iSC_SC_,"axG",@progbits,_Z39paged_attention_ll4mi_QKV_mfma16_kernelIDF16_hLN4vllm18Fp8KVCacheDataTypeE1EhLi16ELi128ELi256ELb1ELi7EL8MFMAType1EEvPKT_PKT0_S8_ifPKiSA_SA_iPKfiiiPfSD_PS3_PT2_iSC_SC_,comdat
.Lfunc_end936:
	.size	_Z39paged_attention_ll4mi_QKV_mfma16_kernelIDF16_hLN4vllm18Fp8KVCacheDataTypeE1EhLi16ELi128ELi256ELb1ELi7EL8MFMAType1EEvPKT_PKT0_S8_ifPKiSA_SA_iPKfiiiPfSD_PS3_PT2_iSC_SC_, .Lfunc_end936-_Z39paged_attention_ll4mi_QKV_mfma16_kernelIDF16_hLN4vllm18Fp8KVCacheDataTypeE1EhLi16ELi128ELi256ELb1ELi7EL8MFMAType1EEvPKT_PKT0_S8_ifPKiSA_SA_iPKfiiiPfSD_PS3_PT2_iSC_SC_
                                        ; -- End function
	.section	.AMDGPU.csdata,"",@progbits
; Kernel info:
; codeLenInByte = 6692
; NumSgprs: 38
; NumVgprs: 150
; ScratchSize: 0
; MemoryBound: 0
; FloatMode: 240
; IeeeMode: 1
; LDSByteSize: 17472 bytes/workgroup (compile time only)
; SGPRBlocks: 4
; VGPRBlocks: 18
; NumSGPRsForWavesPerEU: 38
; NumVGPRsForWavesPerEU: 150
; Occupancy: 9
; WaveLimiterHint : 1
; COMPUTE_PGM_RSRC2:SCRATCH_EN: 0
; COMPUTE_PGM_RSRC2:USER_SGPR: 13
; COMPUTE_PGM_RSRC2:TRAP_HANDLER: 0
; COMPUTE_PGM_RSRC2:TGID_X_EN: 1
; COMPUTE_PGM_RSRC2:TGID_Y_EN: 1
; COMPUTE_PGM_RSRC2:TGID_Z_EN: 1
; COMPUTE_PGM_RSRC2:TIDIG_COMP_CNT: 0
	.section	.text._Z39paged_attention_ll4mi_QKV_mfma16_kernelIDF16_hLN4vllm18Fp8KVCacheDataTypeE1EhLi16ELi128ELi256ELb1ELi8EL8MFMAType1EEvPKT_PKT0_S8_ifPKiSA_SA_iPKfiiiPfSD_PS3_PT2_iSC_SC_,"axG",@progbits,_Z39paged_attention_ll4mi_QKV_mfma16_kernelIDF16_hLN4vllm18Fp8KVCacheDataTypeE1EhLi16ELi128ELi256ELb1ELi8EL8MFMAType1EEvPKT_PKT0_S8_ifPKiSA_SA_iPKfiiiPfSD_PS3_PT2_iSC_SC_,comdat
	.protected	_Z39paged_attention_ll4mi_QKV_mfma16_kernelIDF16_hLN4vllm18Fp8KVCacheDataTypeE1EhLi16ELi128ELi256ELb1ELi8EL8MFMAType1EEvPKT_PKT0_S8_ifPKiSA_SA_iPKfiiiPfSD_PS3_PT2_iSC_SC_ ; -- Begin function _Z39paged_attention_ll4mi_QKV_mfma16_kernelIDF16_hLN4vllm18Fp8KVCacheDataTypeE1EhLi16ELi128ELi256ELb1ELi8EL8MFMAType1EEvPKT_PKT0_S8_ifPKiSA_SA_iPKfiiiPfSD_PS3_PT2_iSC_SC_
	.globl	_Z39paged_attention_ll4mi_QKV_mfma16_kernelIDF16_hLN4vllm18Fp8KVCacheDataTypeE1EhLi16ELi128ELi256ELb1ELi8EL8MFMAType1EEvPKT_PKT0_S8_ifPKiSA_SA_iPKfiiiPfSD_PS3_PT2_iSC_SC_
	.p2align	8
	.type	_Z39paged_attention_ll4mi_QKV_mfma16_kernelIDF16_hLN4vllm18Fp8KVCacheDataTypeE1EhLi16ELi128ELi256ELb1ELi8EL8MFMAType1EEvPKT_PKT0_S8_ifPKiSA_SA_iPKfiiiPfSD_PS3_PT2_iSC_SC_,@function
_Z39paged_attention_ll4mi_QKV_mfma16_kernelIDF16_hLN4vllm18Fp8KVCacheDataTypeE1EhLi16ELi128ELi256ELb1ELi8EL8MFMAType1EEvPKT_PKT0_S8_ifPKiSA_SA_iPKfiiiPfSD_PS3_PT2_iSC_SC_: ; @_Z39paged_attention_ll4mi_QKV_mfma16_kernelIDF16_hLN4vllm18Fp8KVCacheDataTypeE1EhLi16ELi128ELi256ELb1ELi8EL8MFMAType1EEvPKT_PKT0_S8_ifPKiSA_SA_iPKfiiiPfSD_PS3_PT2_iSC_SC_
; %bb.0:
	s_load_b64 s[4:5], s[0:1], 0x30
	s_mov_b32 s30, s13
	s_waitcnt lgkmcnt(0)
	s_cmp_lg_u64 s[4:5], 0
	s_cselect_b32 s13, -1, 0
	s_ashr_i32 s31, s30, 31
	s_cmp_eq_u64 s[4:5], 0
	s_cbranch_scc1 .LBB937_3
; %bb.1:
	s_lshl_b64 s[2:3], s[30:31], 2
	s_delay_alu instid0(SALU_CYCLE_1) | instskip(SKIP_4) | instid1(SALU_CYCLE_1)
	s_add_u32 s2, s4, s2
	s_addc_u32 s3, s5, s3
	s_load_b64 s[2:3], s[2:3], 0x0
	s_waitcnt lgkmcnt(0)
	s_sub_i32 s2, s3, s2
	s_cmp_eq_u32 s2, 1
	s_cselect_b32 s2, -1, 0
	s_delay_alu instid0(SALU_CYCLE_1)
	s_and_not1_b32 vcc_lo, exec_lo, s2
	s_cbranch_vccz .LBB937_4
.LBB937_2:
	s_endpgm
.LBB937_3:
.LBB937_4:
	s_load_b64 s[2:3], s[0:1], 0x28
	s_lshl_b64 s[6:7], s[30:31], 2
	s_waitcnt lgkmcnt(0)
	s_add_u32 s2, s2, s6
	s_addc_u32 s3, s3, s7
	s_lshl_b32 s12, s14, 8
	s_load_b32 s17, s[2:3], 0x0
	s_waitcnt lgkmcnt(0)
	s_cmp_ge_i32 s12, s17
	s_cbranch_scc1 .LBB937_2
; %bb.5:
	s_clause 0x1
	s_load_b128 s[8:11], s[0:1], 0x8
	s_load_b64 s[2:3], s[0:1], 0x20
	s_and_not1_b32 vcc_lo, exec_lo, s13
	s_cbranch_vccnz .LBB937_7
; %bb.6:
	s_add_u32 s4, s4, s6
	s_addc_u32 s5, s5, s7
	s_load_b32 s13, s[4:5], 0x0
	s_branch .LBB937_8
.LBB937_7:
	s_mov_b32 s13, s30
.LBB937_8:
	s_load_b128 s[4:7], s[0:1], 0x48
	v_and_b32_e32 v69, 15, v0
	v_lshrrev_b32_e32 v68, 5, v0
	v_and_b32_e32 v70, 31, v0
	v_and_b32_e32 v67, 1, v0
	v_bfe_u32 v66, v0, 4, 1
	v_lshlrev_b32_e32 v1, 3, v69
	s_lshl_b32 s31, s15, 3
	s_waitcnt lgkmcnt(0)
	s_mov_b32 s7, exec_lo
	s_delay_alu instid0(VALU_DEP_1)
	v_lshlrev_b32_e32 v65, 1, v1
	v_cmpx_gt_u32_e32 0x80, v0
	s_cbranch_execz .LBB937_10
; %bb.9:
	v_lshl_or_b32 v5, v68, 1, v66
	s_load_b64 s[18:19], s[0:1], 0x0
	s_mul_hi_i32 s21, s13, s4
	s_mul_i32 s20, s13, s4
	v_lshlrev_b32_e32 v6, 10, v69
	v_or_b32_e32 v1, s31, v5
	s_lshl_b64 s[20:21], s[20:21], 1
	v_lshlrev_b32_e32 v5, 6, v5
	v_lshlrev_b32_e32 v7, 10, v67
	v_and_b32_e32 v6, 0x3800, v6
	v_lshlrev_b32_e32 v1, 7, v1
	s_delay_alu instid0(VALU_DEP_2) | instskip(NEXT) | instid1(VALU_DEP_2)
	v_or3_b32 v5, v6, v7, v5
	v_ashrrev_i32_e32 v2, 31, v1
	s_delay_alu instid0(VALU_DEP_1) | instskip(SKIP_3) | instid1(VALU_DEP_1)
	v_lshlrev_b64 v[1:2], 1, v[1:2]
	s_waitcnt lgkmcnt(0)
	s_add_u32 s4, s18, s20
	s_addc_u32 s13, s19, s21
	v_add_co_u32 v1, vcc_lo, s4, v1
	s_delay_alu instid0(VALU_DEP_2) | instskip(NEXT) | instid1(VALU_DEP_2)
	v_add_co_ci_u32_e32 v2, vcc_lo, s13, v2, vcc_lo
	v_add_co_u32 v1, vcc_lo, v1, v65
	s_delay_alu instid0(VALU_DEP_2)
	v_add_co_ci_u32_e32 v2, vcc_lo, 0, v2, vcc_lo
	global_load_b128 v[1:4], v[1:2], off
	s_waitcnt vmcnt(0)
	ds_store_b128 v5, v[1:4]
.LBB937_10:
	s_or_b32 exec_lo, exec_lo, s7
	v_and_b32_e32 v1, 0xef, v0
	s_add_i32 s4, s17, 15
	s_clause 0x1
	s_load_b32 s7, s[0:1], 0x38
	s_load_b32 s33, s[0:1], 0x98
	s_ashr_i32 s13, s4, 31
	v_add_nc_u32_e32 v1, s12, v1
	s_lshr_b32 s13, s13, 28
	s_load_b32 s18, s[0:1], 0x1c
	s_add_i32 s4, s4, s13
	s_waitcnt lgkmcnt(0)
	v_ashrrev_i32_e32 v2, 31, v1
	v_or_b32_e32 v3, 16, v1
	s_ashr_i32 s4, s4, 4
	v_cmp_gt_i32_e32 vcc_lo, s17, v1
	s_add_i32 s4, s4, -1
	v_lshrrev_b32_e32 v2, 28, v2
	s_barrier
	buffer_gl0_inv
	s_mul_i32 s15, s15, s6
	v_add_nc_u32_e32 v4, v1, v2
	s_mul_i32 s20, s30, s7
	s_delay_alu instid0(SALU_CYCLE_1) | instskip(NEXT) | instid1(VALU_DEP_1)
	s_ashr_i32 s21, s20, 31
	v_ashrrev_i32_e32 v4, 4, v4
	v_add_nc_u32_e32 v2, v3, v2
	s_lshl_b64 s[20:21], s[20:21], 2
	s_delay_alu instid0(SALU_CYCLE_1) | instskip(NEXT) | instid1(VALU_DEP_2)
	s_add_u32 s13, s2, s20
	v_cndmask_b32_e32 v1, s4, v4, vcc_lo
	s_delay_alu instid0(VALU_DEP_2)
	v_ashrrev_i32_e32 v2, 4, v2
	v_cmp_gt_i32_e32 vcc_lo, s17, v3
	s_addc_u32 s16, s3, s21
	s_ashr_i32 s19, s15, 31
	s_add_u32 s26, s8, s15
	s_addc_u32 s27, s9, s19
	v_cndmask_b32_e32 v3, s4, v2, vcc_lo
	v_ashrrev_i32_e32 v2, 31, v1
	s_lshl_b32 s2, s14, 4
	s_delay_alu instid0(SALU_CYCLE_1) | instskip(NEXT) | instid1(VALU_DEP_2)
	s_ashr_i32 s3, s2, 31
	v_ashrrev_i32_e32 v4, 31, v3
	s_delay_alu instid0(VALU_DEP_2) | instskip(SKIP_1) | instid1(SALU_CYCLE_1)
	v_lshlrev_b64 v[1:2], 2, v[1:2]
	s_lshl_b64 s[2:3], s[2:3], 2
	s_add_u32 s2, s13, s2
	s_delay_alu instid0(VALU_DEP_2) | instskip(SKIP_1) | instid1(VALU_DEP_2)
	v_lshlrev_b64 v[3:4], 2, v[3:4]
	s_addc_u32 s3, s16, s3
	v_add_co_u32 v1, vcc_lo, s13, v1
	v_add_co_ci_u32_e32 v2, vcc_lo, s16, v2, vcc_lo
	s_delay_alu instid0(VALU_DEP_3) | instskip(NEXT) | instid1(VALU_DEP_4)
	v_add_co_u32 v3, vcc_lo, s13, v3
	v_add_co_ci_u32_e32 v4, vcc_lo, s16, v4, vcc_lo
	s_clause 0x1
	global_load_b32 v5, v[1:2], off
	global_load_b32 v3, v[3:4], off
	s_or_b32 s6, s12, 32
	s_delay_alu instid0(SALU_CYCLE_1) | instskip(SKIP_2) | instid1(SALU_CYCLE_1)
	s_ashr_i32 s7, s6, 4
	s_cmp_lt_i32 s6, s17
	s_cselect_b32 s6, s7, s4
	s_ashr_i32 s7, s6, 31
	s_delay_alu instid0(SALU_CYCLE_1) | instskip(NEXT) | instid1(SALU_CYCLE_1)
	s_lshl_b64 s[6:7], s[6:7], 2
	s_add_u32 s6, s13, s6
	s_addc_u32 s7, s16, s7
	s_or_b32 s8, s12, 64
	s_delay_alu instid0(SALU_CYCLE_1) | instskip(SKIP_2) | instid1(SALU_CYCLE_1)
	s_ashr_i32 s9, s8, 4
	s_cmp_lt_i32 s8, s17
	s_cselect_b32 s8, s9, s4
	s_ashr_i32 s9, s8, 31
	s_delay_alu instid0(SALU_CYCLE_1) | instskip(NEXT) | instid1(SALU_CYCLE_1)
	s_lshl_b64 s[8:9], s[8:9], 2
	s_add_u32 s8, s13, s8
	s_addc_u32 s9, s16, s9
	;; [unrolled: 10-line block ×5, first 2 shown]
	s_clause 0x5
	s_load_b32 s28, s[2:3], 0x0
	s_load_b32 s29, s[6:7], 0x0
	;; [unrolled: 1-line block ×6, first 2 shown]
	s_mov_b32 s20, 0
	s_or_b32 s2, s12, 0xc0
	s_mov_b32 s21, s20
	s_mov_b32 s22, s20
	;; [unrolled: 1-line block ×5, first 2 shown]
	v_lshlrev_b32_e32 v1, 4, v0
	s_ashr_i32 s3, s2, 4
	s_cmp_lt_i32 s2, s17
	s_cselect_b32 s2, s3, s4
	s_delay_alu instid0(VALU_DEP_1) | instskip(SKIP_1) | instid1(SALU_CYCLE_1)
	v_and_b32_e32 v1, 0xf0, v1
	s_ashr_i32 s3, s2, 31
	s_lshl_b64 s[2:3], s[2:3], 2
	s_delay_alu instid0(VALU_DEP_1) | instskip(NEXT) | instid1(VALU_DEP_1)
	v_add_co_u32 v1, s26, s26, v1
	v_add_co_ci_u32_e64 v2, null, s27, 0, s26
	s_add_u32 s2, s13, s2
	s_addc_u32 s3, s16, s3
	s_or_b32 s6, s12, 0xe0
	s_mov_b32 s27, s20
	s_ashr_i32 s7, s6, 4
	s_cmp_lt_i32 s6, s17
	s_mov_b32 s26, s20
	s_cselect_b32 s6, s7, s4
	v_mov_b32_e32 v102, s27
	v_mov_b32_e32 v96, s21
	s_ashr_i32 s7, s6, 31
	v_mov_b32_e32 v101, s26
	s_lshl_b64 s[6:7], s[6:7], 2
	v_dual_mov_b32 v100, s25 :: v_dual_mov_b32 v99, s24
	v_dual_mov_b32 v98, s23 :: v_dual_mov_b32 v97, s22
	v_mov_b32_e32 v95, s20
	s_waitcnt vmcnt(1)
	v_mad_i64_i32 v[33:34], null, v5, s5, v[1:2]
	s_waitcnt vmcnt(0)
	v_mad_i64_i32 v[35:36], null, v3, s5, v[1:2]
	s_clause 0xf
	global_load_b128 v[1:4], v[33:34], off
	global_load_b128 v[5:8], v[33:34], off offset:256
	global_load_b128 v[9:12], v[35:36], off
	global_load_b128 v[13:16], v[35:36], off offset:256
	global_load_b128 v[17:20], v[33:34], off offset:512
	;; [unrolled: 1-line block ×13, first 2 shown]
	v_and_b32_e32 v33, 7, v0
	v_lshlrev_b32_e32 v34, 4, v69
	s_delay_alu instid0(VALU_DEP_2) | instskip(NEXT) | instid1(VALU_DEP_2)
	v_lshlrev_b32_e32 v139, 6, v33
	v_lshl_or_b32 v41, v68, 8, v34
	ds_load_b128 v[33:36], v139
	ds_load_b128 v[37:40], v139 offset:1024
	ds_load_b128 v[103:106], v139 offset:2048
	ds_load_b128 v[107:110], v139 offset:3072
	s_load_b32 s4, s[2:3], 0x0
	s_add_u32 s2, s13, s6
	s_addc_u32 s3, s16, s7
	ds_load_b128 v[111:114], v139 offset:4096
	ds_load_b128 v[115:118], v139 offset:5120
	s_load_b32 s2, s[2:3], 0x0
	s_add_u32 s6, s10, s15
	s_addc_u32 s7, s11, s19
	v_add_co_u32 v127, s6, s6, v41
	s_delay_alu instid0(VALU_DEP_1) | instskip(SKIP_1) | instid1(VALU_DEP_1)
	v_add_co_ci_u32_e64 v128, null, s7, 0, s6
	s_waitcnt lgkmcnt(0)
	v_mad_i64_i32 v[41:42], null, s28, s5, v[127:128]
	v_mad_i64_i32 v[129:130], null, s8, s5, v[127:128]
	;; [unrolled: 1-line block ×7, first 2 shown]
	s_clause 0x3
	global_load_b128 v[49:52], v[41:42], off
	global_load_b128 v[53:56], v[41:42], off offset:16
	global_load_b128 v[41:44], v[45:46], off
	global_load_b128 v[45:48], v[45:46], off offset:16
	s_waitcnt vmcnt(18)
	v_wmma_f32_16x16x16_f16 v[119:126], v[1:8], v[33:40], v[95:102]
	s_waitcnt vmcnt(16)
	v_wmma_f32_16x16x16_f16 v[95:102], v[9:16], v[33:40], v[95:102]
	s_clause 0x3
	global_load_b128 v[33:36], v[129:130], off
	global_load_b128 v[37:40], v[129:130], off offset:16
	global_load_b128 v[1:4], v[131:132], off
	global_load_b128 v[5:8], v[131:132], off offset:16
	s_waitcnt vmcnt(18)
	v_wmma_f32_16x16x16_f16 v[119:126], v[17:24], v[103:110], v[119:126]
	s_clause 0x3
	global_load_b128 v[9:12], v[133:134], off
	global_load_b128 v[13:16], v[133:134], off offset:16
	global_load_b128 v[17:20], v[135:136], off
	global_load_b128 v[21:24], v[135:136], off offset:16
	s_waitcnt vmcnt(20)
	v_wmma_f32_16x16x16_f16 v[95:102], v[25:32], v[103:110], v[95:102]
	v_mad_i64_i32 v[103:104], null, s2, s5, v[127:128]
	s_waitcnt vmcnt(18)
	v_wmma_f32_16x16x16_f16 v[119:126], v[57:64], v[111:118], v[119:126]
	s_clause 0x1
	global_load_b128 v[25:28], v[137:138], off
	global_load_b128 v[29:32], v[137:138], off offset:16
	s_waitcnt vmcnt(18)
	v_wmma_f32_16x16x16_f16 v[95:102], v[71:78], v[111:118], v[95:102]
	s_clause 0x1
	global_load_b128 v[57:60], v[103:104], off
	global_load_b128 v[61:64], v[103:104], off offset:16
	ds_load_b128 v[71:74], v139 offset:6144
	ds_load_b128 v[75:78], v139 offset:7168
	v_mbcnt_lo_u32_b32 v104, -1, 0
	s_waitcnt vmcnt(0) lgkmcnt(0)
	s_barrier
	buffer_gl0_inv
	v_xor_b32_e32 v105, 16, v104
	s_delay_alu instid0(VALU_DEP_1) | instskip(SKIP_4) | instid1(VALU_DEP_2)
	v_cmp_gt_i32_e32 vcc_lo, 32, v105
	v_cndmask_b32_e32 v104, v104, v105, vcc_lo
	v_wmma_f32_16x16x16_f16 v[95:102], v[87:94], v[71:78], v[95:102]
	v_and_b32_e32 v103, 0xe0, v0
	v_wmma_f32_16x16x16_f16 v[119:126], v[79:86], v[71:78], v[119:126]
	v_dual_mul_f32 v90, s18, v101 :: v_dual_add_nc_u32 v103, s12, v103
	s_delay_alu instid0(VALU_DEP_2) | instskip(NEXT) | instid1(VALU_DEP_3)
	v_dual_mul_f32 v94, s18, v97 :: v_dual_mul_f32 v87, s18, v120
	v_dual_mul_f32 v88, s18, v119 :: v_dual_mul_f32 v77, s18, v122
	s_delay_alu instid0(VALU_DEP_3) | instskip(SKIP_3) | instid1(VALU_DEP_4)
	v_or_b32_e32 v103, v103, v66
	v_dual_mul_f32 v78, s18, v121 :: v_dual_mul_f32 v75, s18, v124
	v_dual_mul_f32 v76, s18, v123 :: v_dual_mul_f32 v73, s18, v126
	v_mul_f32_e32 v92, s18, v99
	v_or_b32_e32 v105, 2, v103
	v_or_b32_e32 v106, 4, v103
	;; [unrolled: 1-line block ×3, first 2 shown]
	v_cmp_gt_i32_e64 s2, s17, v103
	v_or_b32_e32 v108, 8, v103
	v_cmp_gt_i32_e32 vcc_lo, s17, v105
	v_or_b32_e32 v109, 10, v103
	v_cmp_gt_i32_e64 s3, s17, v106
	v_cndmask_b32_e64 v88, 0xff7fffff, v88, s2
	v_cmp_gt_i32_e64 s4, s17, v107
	v_cndmask_b32_e32 v87, 0xff7fffff, v87, vcc_lo
	v_or_b32_e32 v79, 12, v103
	v_or_b32_e32 v80, 14, v103
	v_cndmask_b32_e64 v78, 0xff7fffff, v78, s3
	v_cndmask_b32_e64 v77, 0xff7fffff, v77, s4
	v_max3_f32 v87, v88, 0xff7fffff, v87
	v_cmp_gt_i32_e64 s5, s17, v108
	v_cmp_gt_i32_e64 s6, s17, v109
	v_or_b32_e32 v81, 16, v103
	v_or_b32_e32 v82, 18, v103
	v_mul_f32_e32 v74, s18, v125
	v_cndmask_b32_e64 v76, 0xff7fffff, v76, s5
	v_cndmask_b32_e64 v75, 0xff7fffff, v75, s6
	v_max3_f32 v77, v87, v78, v77
	v_cmp_gt_i32_e64 s7, s17, v79
	v_cmp_gt_i32_e64 s8, s17, v80
	v_or_b32_e32 v83, 20, v103
	v_or_b32_e32 v84, 22, v103
	;; [unrolled: 1-line block ×6, first 2 shown]
	v_mul_f32_e32 v105, s18, v96
	v_mul_f32_e32 v103, s18, v95
	v_cndmask_b32_e64 v74, 0xff7fffff, v74, s7
	v_cndmask_b32_e64 v73, 0xff7fffff, v73, s8
	v_max3_f32 v75, v77, v76, v75
	v_cmp_gt_i32_e64 s9, s17, v81
	v_cmp_gt_i32_e64 s10, s17, v82
	v_mul_f32_e32 v93, s18, v98
	v_cmp_gt_i32_e64 s11, s17, v83
	v_max3_f32 v73, v75, v74, v73
	v_cndmask_b32_e64 v76, 0xff7fffff, v103, s9
	v_cndmask_b32_e64 v77, 0xff7fffff, v105, s10
	v_cmp_gt_i32_e64 s12, s17, v84
	v_mul_f32_e32 v91, s18, v100
	v_cndmask_b32_e64 v74, 0xff7fffff, v94, s11
	v_cmp_gt_i32_e64 s13, s17, v85
	v_max3_f32 v73, v73, v76, v77
	v_cndmask_b32_e64 v75, 0xff7fffff, v93, s12
	v_cmp_gt_i32_e64 s15, s17, v86
	v_mul_f32_e32 v89, s18, v102
	v_cndmask_b32_e64 v76, 0xff7fffff, v92, s13
	v_cmp_gt_i32_e64 s16, s17, v71
	v_max3_f32 v73, v73, v74, v75
	v_cndmask_b32_e64 v77, 0xff7fffff, v91, s15
	v_cmp_gt_i32_e64 s17, s17, v72
	v_lshlrev_b32_e32 v74, 2, v104
	v_cndmask_b32_e64 v71, 0xff7fffff, v90, s16
	s_delay_alu instid0(VALU_DEP_4) | instskip(NEXT) | instid1(VALU_DEP_4)
	v_max3_f32 v73, v73, v76, v77
	v_cndmask_b32_e64 v72, 0xff7fffff, v89, s17
	s_delay_alu instid0(VALU_DEP_1) | instskip(SKIP_3) | instid1(VALU_DEP_1)
	v_max3_f32 v71, v73, v71, v72
	ds_bpermute_b32 v72, v74, v71
	s_waitcnt lgkmcnt(0)
	v_max_f32_e32 v72, v72, v72
	v_max_f32_e32 v71, v71, v72
	s_delay_alu instid0(VALU_DEP_1)
	v_fma_f32 v72, s18, v119, -v71
	v_fma_f32 v76, s18, v122, -v71
	;; [unrolled: 1-line block ×5, first 2 shown]
	v_mul_f32_e32 v72, 0x3fb8aa3b, v72
	v_mul_f32_e32 v76, 0x3fb8aa3b, v76
	v_fma_f32 v75, s18, v121, -v71
	v_mul_f32_e32 v79, 0x3fb8aa3b, v77
	v_mul_f32_e32 v87, 0x3fb8aa3b, v86
	v_exp_f32_e32 v72, v72
	v_exp_f32_e32 v76, v76
	v_fma_f32 v81, s18, v125, -v71
	v_exp_f32_e32 v82, v79
	v_exp_f32_e32 v87, v87
	v_fma_f32 v84, s18, v96, -v71
	s_delay_alu instid0(VALU_DEP_2) | instskip(SKIP_3) | instid1(TRANS32_DEP_3)
	v_mul_f32_e32 v81, 0x3fb8aa3b, v81
	v_cndmask_b32_e64 v78, 0, v72, s2
	v_fma_f32 v72, s18, v124, -v71
	v_mul_f32_e32 v73, 0x3fb8aa3b, v73
	v_cndmask_b32_e64 v79, 0, v76, s4
	v_fma_f32 v76, s18, v95, -v71
	s_delay_alu instid0(VALU_DEP_4) | instskip(NEXT) | instid1(VALU_DEP_4)
	v_dual_mul_f32 v75, 0x3fb8aa3b, v75 :: v_dual_mul_f32 v72, 0x3fb8aa3b, v72
	v_exp_f32_e32 v73, v73
	v_cndmask_b32_e64 v87, 0, v87, s12
	s_delay_alu instid0(VALU_DEP_3) | instskip(NEXT) | instid1(VALU_DEP_3)
	v_mul_f32_e32 v76, 0x3fb8aa3b, v76
	v_exp_f32_e32 v75, v75
	v_exp_f32_e32 v72, v72
	;; [unrolled: 1-line block ×3, first 2 shown]
	v_cndmask_b32_e64 v82, 0, v82, s5
	v_mul_f32_e32 v85, 0x3fb8aa3b, v84
	v_exp_f32_e32 v76, v76
	s_mov_b32 s2, exec_lo
	v_cndmask_b32_e32 v77, 0, v73, vcc_lo
	v_add_f32_e32 v73, 0, v78
	v_exp_f32_e32 v85, v85
	v_cndmask_b32_e64 v80, 0, v75, s3
	v_fma_f32 v75, s18, v126, -v71
	v_cndmask_b32_e64 v81, 0, v72, s6
	v_add_f32_e32 v73, v73, v77
	v_cndmask_b32_e64 v84, 0, v83, s7
	v_cndmask_b32_e64 v86, 0, v76, s9
	v_mul_f32_e32 v75, 0x3fb8aa3b, v75
	s_delay_alu instid0(VALU_DEP_4) | instskip(NEXT) | instid1(TRANS32_DEP_1)
	v_add_f32_e32 v73, v73, v80
	v_cndmask_b32_e64 v85, 0, v85, s10
	s_delay_alu instid0(VALU_DEP_3) | instskip(NEXT) | instid1(VALU_DEP_2)
	v_exp_f32_e32 v75, v75
	v_add_f32_e32 v73, v73, v79
	s_delay_alu instid0(VALU_DEP_1) | instskip(SKIP_3) | instid1(VALU_DEP_1)
	v_add_f32_e32 v72, v73, v82
	s_waitcnt_depctr 0xfff
	v_cndmask_b32_e64 v83, 0, v75, s8
	v_add_f32_e32 v72, v72, v81
	v_add_f32_e32 v72, v72, v84
	s_delay_alu instid0(VALU_DEP_1) | instskip(NEXT) | instid1(VALU_DEP_1)
	v_add_f32_e32 v72, v72, v83
	v_add_f32_e32 v72, v72, v86
	s_delay_alu instid0(VALU_DEP_1) | instskip(SKIP_4) | instid1(VALU_DEP_4)
	v_add_f32_e32 v72, v72, v85
	v_fma_f32 v73, s18, v97, -v71
	v_fma_f32 v75, s18, v99, -v71
	;; [unrolled: 1-line block ×4, first 2 shown]
	v_mul_f32_e32 v73, 0x3fb8aa3b, v73
	s_delay_alu instid0(VALU_DEP_3) | instskip(NEXT) | instid1(VALU_DEP_2)
	v_dual_mul_f32 v75, 0x3fb8aa3b, v75 :: v_dual_mul_f32 v76, 0x3fb8aa3b, v76
	v_exp_f32_e32 v73, v73
	s_delay_alu instid0(VALU_DEP_1) | instskip(NEXT) | instid1(VALU_DEP_1)
	v_exp_f32_e32 v75, v75
	v_exp_f32_e32 v76, v76
	s_delay_alu instid0(TRANS32_DEP_3)
	v_cndmask_b32_e64 v88, 0, v73, s11
	v_mul_f32_e32 v73, 0x3fb8aa3b, v89
	v_fma_f32 v89, s18, v102, -v71
	s_waitcnt_depctr 0xfff
	v_cndmask_b32_e64 v90, 0, v75, s13
	v_add_f32_e32 v72, v72, v88
	v_exp_f32_e32 v73, v73
	v_mul_f32_e32 v75, 0x3fb8aa3b, v89
	v_cndmask_b32_e64 v89, 0, v76, s15
	s_delay_alu instid0(VALU_DEP_3) | instskip(NEXT) | instid1(VALU_DEP_3)
	v_add_f32_e32 v72, v72, v87
	v_exp_f32_e32 v75, v75
	s_delay_alu instid0(VALU_DEP_1) | instskip(SKIP_4) | instid1(VALU_DEP_2)
	v_add_f32_e32 v72, v72, v90
	s_waitcnt_depctr 0xfff
	v_cndmask_b32_e64 v92, 0, v73, s16
	v_add_f32_e32 v72, v72, v89
	v_cndmask_b32_e64 v91, 0, v75, s17
	v_add_f32_e32 v72, v72, v92
	s_delay_alu instid0(VALU_DEP_1)
	v_add_f32_e32 v72, v72, v91
	ds_bpermute_b32 v73, v74, v72
	v_cmpx_gt_u32_e32 16, v70
	s_cbranch_execz .LBB937_12
; %bb.11:
	v_mul_u32_u24_e32 v70, 0x44, v68
	s_waitcnt lgkmcnt(0)
	v_add_f32_e32 v72, v72, v73
	s_delay_alu instid0(VALU_DEP_2) | instskip(NEXT) | instid1(VALU_DEP_1)
	v_lshl_add_u32 v70, v69, 2, v70
	v_add_nc_u32_e32 v70, 0x4000, v70
	ds_store_2addr_b32 v70, v71, v72 offset1:136
.LBB937_12:
	s_or_b32 exec_lo, exec_lo, s2
	v_lshlrev_b32_e32 v70, 2, v69
	s_load_b32 s34, s[0:1], 0x94
	s_waitcnt lgkmcnt(0)
	s_barrier
	buffer_gl0_inv
	v_add_nc_u32_e32 v74, 0x4000, v70
	v_cmp_eq_u32_e32 vcc_lo, 1, v68
	v_cmp_eq_u32_e64 s2, 2, v68
	v_cmp_eq_u32_e64 s3, 3, v68
	;; [unrolled: 1-line block ×3, first 2 shown]
	ds_load_2addr_b32 v[70:71], v74 offset1:17
	ds_load_2addr_b32 v[72:73], v74 offset0:34 offset1:51
	ds_load_2addr_b32 v[93:94], v74 offset0:68 offset1:85
	;; [unrolled: 1-line block ×3, first 2 shown]
	v_cmp_eq_u32_e64 s5, 5, v68
	v_cmp_eq_u32_e64 s6, 7, v68
	s_waitcnt lgkmcnt(3)
	v_max3_f32 v75, v70, 0xff7fffff, v71
	s_waitcnt lgkmcnt(2)
	s_delay_alu instid0(VALU_DEP_1) | instskip(SKIP_1) | instid1(VALU_DEP_1)
	v_max3_f32 v75, v75, v72, v73
	s_waitcnt lgkmcnt(1)
	v_max3_f32 v75, v75, v93, v94
	s_waitcnt lgkmcnt(0)
	s_delay_alu instid0(VALU_DEP_1) | instskip(NEXT) | instid1(VALU_DEP_1)
	v_max3_f32 v75, v75, v95, v96
	v_sub_f32_e32 v93, v93, v75
	ds_load_2addr_b32 v[97:98], v74 offset0:136 offset1:153
	v_sub_f32_e32 v70, v70, v75
	v_dual_sub_f32 v100, v73, v75 :: v_dual_mul_f32 v103, 0x3fb8aa3b, v93
	s_delay_alu instid0(VALU_DEP_2) | instskip(SKIP_3) | instid1(VALU_DEP_1)
	v_dual_sub_f32 v76, v71, v75 :: v_dual_mul_f32 v99, 0x3fb8aa3b, v70
	ds_load_2addr_b32 v[70:71], v74 offset0:170 offset1:187
	v_mul_f32_e32 v76, 0x3fb8aa3b, v76
	v_exp_f32_e32 v99, v99
	v_exp_f32_e32 v102, v76
	v_mul_f32_e32 v100, 0x3fb8aa3b, v100
	s_waitcnt lgkmcnt(1)
	s_waitcnt_depctr 0xfff
	v_fma_f32 v76, v99, v97, 0
	v_sub_f32_e32 v97, v94, v75
	v_sub_f32_e32 v72, v72, v75
	v_exp_f32_e32 v100, v100
	ds_load_2addr_b32 v[93:94], v74 offset0:238 offset1:255
	v_dual_fmac_f32 v76, v102, v98 :: v_dual_mul_f32 v101, 0x3fb8aa3b, v72
	ds_load_2addr_b32 v[72:73], v74 offset0:204 offset1:221
	v_dual_sub_f32 v74, v95, v75 :: v_dual_mul_f32 v95, 0x3fb8aa3b, v97
	v_exp_f32_e32 v97, v103
	v_exp_f32_e32 v101, v101
	s_waitcnt lgkmcnt(0)
	s_barrier
	v_exp_f32_e32 v95, v95
	buffer_gl0_inv
	v_fmac_f32_e32 v76, v101, v70
	v_sub_f32_e32 v70, v96, v75
	s_delay_alu instid0(VALU_DEP_2) | instskip(NEXT) | instid1(VALU_DEP_2)
	v_fmac_f32_e32 v76, v100, v71
	v_mul_f32_e32 v70, 0x3fb8aa3b, v70
	s_delay_alu instid0(VALU_DEP_2)
	v_dual_cndmask_b32 v71, v99, v102 :: v_dual_fmac_f32 v76, v97, v72
	v_lshlrev_b32_e32 v72, 6, v69
	v_lshlrev_b32_e32 v69, 2, v66
	v_mul_f32_e32 v74, 0x3fb8aa3b, v74
	v_exp_f32_e32 v98, v70
	v_fmac_f32_e32 v76, v95, v73
	s_delay_alu instid0(VALU_DEP_3) | instskip(NEXT) | instid1(VALU_DEP_3)
	v_cmp_eq_u32_e64 s7, 7, v69
	v_exp_f32_e32 v96, v74
	v_lshl_or_b32 v74, v68, 11, v72
	s_waitcnt_depctr 0xfff
	v_fmac_f32_e32 v76, v96, v93
	s_delay_alu instid0(VALU_DEP_1) | instskip(NEXT) | instid1(VALU_DEP_1)
	v_fmac_f32_e32 v76, v98, v94
	v_add_f32_e32 v73, 0x358637bd, v76
	s_delay_alu instid0(VALU_DEP_1) | instskip(SKIP_1) | instid1(VALU_DEP_2)
	v_div_scale_f32 v93, null, v73, v73, 1.0
	v_div_scale_f32 v99, vcc_lo, 1.0, v73, 1.0
	v_rcp_f32_e32 v94, v93
	s_waitcnt_depctr 0xfff
	v_fma_f32 v70, -v93, v94, 1.0
	s_delay_alu instid0(VALU_DEP_1)
	v_fmac_f32_e32 v94, v70, v94
	v_cndmask_b32_e64 v70, v71, v101, s2
	v_cmp_eq_u32_e64 s2, 6, v68
	v_or_b32_e32 v71, 1, v69
	v_or_b32_e32 v68, 2, v69
	v_mul_f32_e32 v101, v99, v94
	v_cndmask_b32_e64 v70, v70, v100, s3
	v_cmp_eq_u32_e64 s3, 1, v69
	v_cmp_eq_u32_e64 s8, 1, v71
	;; [unrolled: 1-line block ×3, first 2 shown]
	v_fma_f32 v100, -v93, v101, v99
	v_cndmask_b32_e64 v70, v70, v97, s4
	v_cmp_eq_u32_e64 s4, 2, v69
	v_cmp_eq_u32_e64 s11, 2, v71
	;; [unrolled: 1-line block ×3, first 2 shown]
	v_fmac_f32_e32 v101, v100, v94
	v_cndmask_b32_e64 v95, v70, v95, s5
	v_or_b32_e32 v70, 3, v69
	v_cmp_eq_u32_e64 s12, 3, v71
	v_cmp_eq_u32_e64 s16, 3, v68
	v_fma_f32 v93, -v93, v101, v99
	v_cndmask_b32_e64 v95, v95, v96, s2
	v_cmp_eq_u32_e64 s10, 1, v70
	v_cmp_eq_u32_e64 s15, 2, v70
	;; [unrolled: 1-line block ×3, first 2 shown]
	v_div_fmas_f32 v93, v93, v94, v101
	v_cndmask_b32_e64 v94, v95, v98, s6
	v_cmp_eq_u32_e32 vcc_lo, 3, v69
	v_cmp_eq_u32_e64 s2, 4, v69
	v_cmp_eq_u32_e64 s18, 4, v71
	v_div_fixup_f32 v93, v93, v73, 1.0
	v_lshl_or_b32 v73, v66, 4, v74
	v_cmp_eq_u32_e64 s21, 4, v70
	v_cmp_eq_u32_e64 s5, 5, v69
	;; [unrolled: 1-line block ×3, first 2 shown]
	v_mul_f32_e32 v101, v94, v93
	v_cmp_eq_u32_e64 s20, 4, v68
	v_cmp_eq_u32_e64 s23, 5, v70
	;; [unrolled: 1-line block ×4, first 2 shown]
	v_fma_mixlo_f16 v93, v101, v78, 0
	v_fma_mixlo_f16 v94, v101, v80, 0
	v_fma_mixlo_f16 v95, v101, v82, 0
	v_fma_mixlo_f16 v96, v101, v84, 0
	v_fma_mixlo_f16 v97, v101, v86, 0
	v_fma_mixlo_f16 v98, v101, v88, 0
	v_fma_mixlo_f16 v99, v101, v90, 0
	v_fma_mixlo_f16 v100, v101, v92, 0
	v_fma_mixhi_f16 v93, v101, v77, 0
	v_fma_mixhi_f16 v94, v101, v79, 0
	v_fma_mixhi_f16 v95, v101, v81, 0
	v_fma_mixhi_f16 v96, v101, v83, 0
	v_fma_mixhi_f16 v97, v101, v85, 0
	v_fma_mixhi_f16 v98, v101, v87, 0
	v_fma_mixhi_f16 v99, v101, v89, 0
	v_fma_mixhi_f16 v100, v101, v91, 0
	ds_store_b128 v73, v[93:96]
	ds_store_b128 v73, v[97:100] offset:1024
	s_waitcnt lgkmcnt(0)
	s_barrier
	buffer_gl0_inv
	ds_load_b128 v[77:80], v74
	ds_load_b128 v[81:84], v74 offset:16
	ds_load_b128 v[85:88], v74 offset:1024
	;; [unrolled: 1-line block ×3, first 2 shown]
	v_cmp_eq_u32_e64 s26, 6, v70
	v_cmp_eq_u32_e64 s6, 6, v69
	;; [unrolled: 1-line block ×6, first 2 shown]
	s_waitcnt lgkmcnt(3)
	v_lshrrev_b32_e32 v93, 16, v77
	s_waitcnt lgkmcnt(2)
	v_lshrrev_b32_e32 v97, 16, v81
	;; [unrolled: 2-line block ×4, first 2 shown]
	v_lshrrev_b32_e32 v94, 16, v78
	v_cndmask_b32_e64 v109, v77, v93, s3
	v_cndmask_b32_e64 v110, v81, v97, s3
	;; [unrolled: 1-line block ×8, first 2 shown]
	v_lshrrev_b32_e32 v98, 16, v82
	v_cndmask_b32_e64 v93, v85, v101, s3
	v_cndmask_b32_e64 v97, v89, v105, s3
	v_cndmask_b32_e64 v115, v85, v101, s8
	v_cndmask_b32_e64 v116, v89, v105, s8
	v_cndmask_b32_e64 v117, v85, v101, s9
	v_cndmask_b32_e64 v118, v89, v105, s9
	v_cndmask_b32_e64 v85, v85, v101, s10
	v_cndmask_b32_e64 v89, v89, v105, s10
	v_cndmask_b32_e64 v101, v109, v78, s4
	v_cndmask_b32_e64 v105, v110, v82, s4
	v_cndmask_b32_e64 v109, v111, v78, s11
	v_cndmask_b32_e64 v110, v112, v82, s11
	v_cndmask_b32_e64 v111, v113, v78, s13
	v_cndmask_b32_e64 v77, v77, v78, s15
	v_cndmask_b32_e64 v78, v81, v82, s15
	v_lshrrev_b32_e32 v102, 16, v86
	v_lshrrev_b32_e32 v106, 16, v90
	v_cndmask_b32_e64 v112, v114, v82, s13
	v_cndmask_b32_e64 v81, v93, v86, s4
	;; [unrolled: 1-line block ×7, first 2 shown]
	v_cndmask_b32_e32 v89, v101, v94, vcc_lo
	v_cndmask_b32_e32 v101, v105, v98, vcc_lo
	v_cndmask_b32_e64 v105, v109, v94, s12
	v_cndmask_b32_e64 v109, v110, v98, s12
	;; [unrolled: 1-line block ×4, first 2 shown]
	v_lshrrev_b32_e32 v95, 16, v79
	v_lshrrev_b32_e32 v99, 16, v83
	v_cndmask_b32_e64 v110, v111, v94, s16
	v_cndmask_b32_e64 v111, v112, v98, s16
	v_cndmask_b32_e32 v81, v81, v102, vcc_lo
	v_cndmask_b32_e32 v82, v82, v106, vcc_lo
	v_cndmask_b32_e64 v93, v93, v102, s12
	v_cndmask_b32_e64 v89, v89, v79, s2
	;; [unrolled: 1-line block ×7, first 2 shown]
	v_lshrrev_b32_e32 v103, 16, v87
	v_cndmask_b32_e64 v105, v110, v79, s20
	v_cndmask_b32_e64 v109, v111, v83, s20
	;; [unrolled: 1-line block ×11, first 2 shown]
	v_lshrrev_b32_e32 v96, 16, v80
	v_lshrrev_b32_e32 v100, 16, v84
	v_cndmask_b32_e64 v98, v105, v95, s22
	v_cndmask_b32_e64 v101, v109, v99, s22
	;; [unrolled: 1-line block ×7, first 2 shown]
	v_lshrrev_b32_e32 v104, 16, v88
	v_cndmask_b32_e64 v79, v79, v103, s5
	v_cndmask_b32_e64 v83, v83, v80, s6
	;; [unrolled: 1-line block ×16, first 2 shown]
	v_perm_b32 v80, v78, v77, 0x5040100
	v_perm_b32 v78, v94, v84, 0x5040100
	v_cndmask_b32_e64 v77, v118, v90, s13
	v_cndmask_b32_e64 v84, v116, v90, s11
	;; [unrolled: 1-line block ×3, first 2 shown]
	v_perm_b32 v79, v93, v89, 0x5040100
	v_cndmask_b32_e64 v89, v97, v102, s16
	v_cndmask_b32_e64 v85, v85, v102, s17
	;; [unrolled: 1-line block ×5, first 2 shown]
	v_lshrrev_b32_e32 v107, 16, v91
	v_cndmask_b32_e64 v89, v89, v87, s20
	v_cndmask_b32_e64 v85, v85, v87, s21
	;; [unrolled: 1-line block ×11, first 2 shown]
	v_lshrrev_b32_e32 v108, 16, v92
	v_cndmask_b32_e64 v81, v81, v92, s6
	v_cndmask_b32_e64 v87, v87, v88, s25
	;; [unrolled: 1-line block ×12, first 2 shown]
	v_perm_b32 v77, v83, v82, 0x5040100
	v_perm_b32 v84, v86, v85, 0x5040100
	;; [unrolled: 1-line block ×5, first 2 shown]
	s_lshl_b32 s7, s33, 3
	s_mov_b32 s2, exec_lo
	ds_store_b128 v73, v[77:80]
	ds_store_b128 v73, v[81:84] offset:1024
	v_cmpx_gt_u32_e32 8, v0
	s_cbranch_execz .LBB937_14
; %bb.13:
	v_or_b32_e32 v77, s31, v0
	s_load_b128 s[8:11], s[0:1], 0x58
	s_delay_alu instid0(VALU_DEP_1) | instskip(NEXT) | instid1(VALU_DEP_1)
	v_mad_u64_u32 v[78:79], null, s7, s30, v[77:78]
	v_mad_u64_u32 v[79:80], null, v78, s34, s[14:15]
	s_delay_alu instid0(VALU_DEP_1) | instskip(NEXT) | instid1(VALU_DEP_1)
	v_ashrrev_i32_e32 v80, 31, v79
	v_lshlrev_b64 v[77:78], 2, v[79:80]
	s_waitcnt lgkmcnt(0)
	s_delay_alu instid0(VALU_DEP_1) | instskip(NEXT) | instid1(VALU_DEP_2)
	v_add_co_u32 v79, vcc_lo, s10, v77
	v_add_co_ci_u32_e32 v80, vcc_lo, s11, v78, vcc_lo
	v_add_co_u32 v77, vcc_lo, s8, v77
	v_add_co_ci_u32_e32 v78, vcc_lo, s9, v78, vcc_lo
	global_store_b32 v[79:80], v75, off
	global_store_b32 v[77:78], v76, off
.LBB937_14:
	s_or_b32 exec_lo, exec_lo, s2
	s_waitcnt lgkmcnt(0)
	s_waitcnt_vscnt null, 0x0
	s_barrier
	buffer_gl0_inv
	ds_load_b128 v[83:86], v72
	ds_load_b128 v[87:90], v72 offset:16
	ds_load_b128 v[95:98], v72 offset:2064
	;; [unrolled: 1-line block ×5, first 2 shown]
	v_cmp_eq_u32_e32 vcc_lo, 1, v69
	v_mov_b32_e32 v75, 0
	ds_load_b128 v[111:114], v72 offset:6160
	ds_load_b128 v[107:110], v72 offset:6144
	;; [unrolled: 1-line block ×4, first 2 shown]
	v_cmp_eq_u32_e64 s3, 1, v68
	v_cmp_eq_u32_e64 s2, 1, v71
	;; [unrolled: 1-line block ×3, first 2 shown]
	v_mov_b32_e32 v76, v75
	v_mov_b32_e32 v77, v75
	;; [unrolled: 1-line block ×7, first 2 shown]
	v_cmp_eq_u32_e64 s5, 3, v71
	v_cmp_eq_u32_e64 s6, 7, v71
	s_waitcnt lgkmcnt(8)
	s_delay_alu instid0(VALU_DEP_3)
	v_wmma_f32_16x16x16_f16 v[75:82], v[49:56], v[83:90], v[75:82]
	ds_load_b128 v[53:56], v72 offset:10256
	ds_load_b128 v[49:52], v72 offset:10240
	s_waitcnt lgkmcnt(8)
	v_wmma_f32_16x16x16_f16 v[75:82], v[41:48], v[91:98], v[75:82]
	ds_load_b128 v[45:48], v72 offset:12304
	ds_load_b128 v[41:44], v72 offset:12288
	s_waitcnt lgkmcnt(8)
	;; [unrolled: 4-line block ×3, first 2 shown]
	s_barrier
	buffer_gl0_inv
	v_wmma_f32_16x16x16_f16 v[75:82], v[1:8], v[107:114], v[75:82]
	s_delay_alu instid0(VALU_DEP_1) | instskip(NEXT) | instid1(VALU_DEP_1)
	v_wmma_f32_16x16x16_f16 v[75:82], v[9:16], v[115:122], v[75:82]
	v_wmma_f32_16x16x16_f16 v[75:82], v[17:24], v[49:56], v[75:82]
	s_delay_alu instid0(VALU_DEP_1) | instskip(NEXT) | instid1(VALU_DEP_1)
	v_wmma_f32_16x16x16_f16 v[75:82], v[25:32], v[41:48], v[75:82]
	v_wmma_f32_16x16x16_f16 v[75:82], v[57:64], v[33:40], v[75:82]
	s_delay_alu instid0(VALU_DEP_1) | instskip(NEXT) | instid1(VALU_DEP_2)
	v_cvt_f16_f32_e32 v1, v75
	v_cvt_f16_f32_e32 v2, v76
	s_delay_alu instid0(VALU_DEP_3) | instskip(NEXT) | instid1(VALU_DEP_4)
	v_cvt_f16_f32_e32 v3, v77
	v_cvt_f16_f32_e32 v4, v78
	;; [unrolled: 1-line block ×6, first 2 shown]
	v_pack_b32_f16 v1, v1, v2
	v_pack_b32_f16 v2, v3, v4
	;; [unrolled: 1-line block ×3, first 2 shown]
	s_delay_alu instid0(VALU_DEP_4)
	v_pack_b32_f16 v4, v7, v8
	ds_store_b128 v73, v[1:4]
	s_waitcnt lgkmcnt(0)
	s_barrier
	buffer_gl0_inv
	ds_load_b128 v[1:4], v74
	ds_load_b128 v[5:8], v74 offset:16
	s_waitcnt lgkmcnt(1)
	v_lshrrev_b32_e32 v9, 16, v1
	s_waitcnt lgkmcnt(0)
	v_lshrrev_b32_e32 v13, 16, v5
	v_lshrrev_b32_e32 v10, 16, v2
	;; [unrolled: 1-line block ×4, first 2 shown]
	v_cndmask_b32_e32 v17, v1, v9, vcc_lo
	v_cndmask_b32_e32 v18, v5, v13, vcc_lo
	v_cndmask_b32_e64 v21, v1, v9, s3
	v_cmp_eq_u32_e32 vcc_lo, 1, v70
	v_cndmask_b32_e64 v22, v5, v13, s3
	v_cmp_eq_u32_e64 s3, 2, v69
	v_cndmask_b32_e64 v19, v1, v9, s2
	v_cndmask_b32_e64 v20, v5, v13, s2
	v_cndmask_b32_e32 v1, v1, v9, vcc_lo
	v_cmp_eq_u32_e64 s2, 2, v70
	v_cndmask_b32_e32 v5, v5, v13, vcc_lo
	v_cndmask_b32_e64 v9, v17, v2, s3
	v_cmp_eq_u32_e32 vcc_lo, 3, v69
	v_cndmask_b32_e64 v13, v18, v6, s3
	v_cmp_eq_u32_e64 s3, 2, v68
	v_cndmask_b32_e64 v17, v19, v2, s4
	v_cndmask_b32_e64 v18, v20, v6, s4
	v_cmp_eq_u32_e64 s4, 3, v68
	v_cndmask_b32_e64 v1, v1, v2, s2
	v_cndmask_b32_e64 v19, v21, v2, s3
	;; [unrolled: 1-line block ×4, first 2 shown]
	v_cndmask_b32_e32 v5, v9, v10, vcc_lo
	v_cndmask_b32_e32 v6, v13, v14, vcc_lo
	v_cmp_eq_u32_e32 vcc_lo, 3, v70
	v_cndmask_b32_e64 v9, v17, v10, s5
	v_cndmask_b32_e64 v13, v18, v14, s5
	v_cndmask_b32_e64 v18, v20, v14, s4
	v_cmp_eq_u32_e64 s3, 4, v69
	v_cndmask_b32_e32 v1, v1, v10, vcc_lo
	v_cndmask_b32_e32 v2, v2, v14, vcc_lo
	v_cmp_eq_u32_e32 vcc_lo, 4, v71
	v_lshrrev_b32_e32 v15, 16, v7
	v_lshrrev_b32_e32 v16, 16, v8
	v_cndmask_b32_e64 v17, v19, v10, s4
	v_cmp_eq_u32_e64 s2, 4, v70
	v_cndmask_b32_e64 v5, v5, v3, s3
	v_cndmask_b32_e64 v6, v6, v7, s3
	v_cndmask_b32_e32 v9, v9, v3, vcc_lo
	v_cmp_eq_u32_e64 s3, 5, v71
	v_cndmask_b32_e32 v10, v13, v7, vcc_lo
	v_cmp_eq_u32_e32 vcc_lo, 4, v68
	v_cmp_eq_u32_e64 s4, 5, v69
	v_cndmask_b32_e64 v2, v2, v7, s2
	v_cndmask_b32_e64 v9, v9, v11, s3
	;; [unrolled: 1-line block ×3, first 2 shown]
	v_cndmask_b32_e32 v13, v17, v3, vcc_lo
	v_cmp_eq_u32_e64 s3, 5, v68
	v_cndmask_b32_e32 v14, v18, v7, vcc_lo
	v_cndmask_b32_e64 v1, v1, v3, s2
	v_cmp_eq_u32_e32 vcc_lo, 5, v70
	v_lshrrev_b32_e32 v12, 16, v4
	v_cndmask_b32_e64 v13, v13, v11, s3
	v_cndmask_b32_e64 v3, v14, v15, s3
	v_cmp_eq_u32_e64 s3, 6, v70
	v_cndmask_b32_e32 v1, v1, v11, vcc_lo
	v_cndmask_b32_e64 v5, v5, v11, s4
	v_cmp_eq_u32_e64 s5, 6, v69
	v_cndmask_b32_e64 v6, v6, v15, s4
	v_cmp_eq_u32_e64 s4, 6, v71
	v_cmp_eq_u32_e64 s2, 6, v68
	v_cndmask_b32_e64 v1, v1, v4, s3
	v_cndmask_b32_e32 v2, v2, v15, vcc_lo
	v_cmp_eq_u32_e32 vcc_lo, 7, v70
	v_cndmask_b32_e64 v5, v5, v4, s5
	v_cndmask_b32_e64 v9, v9, v4, s4
	v_cndmask_b32_e64 v6, v6, v8, s5
	v_cmp_eq_u32_e64 s5, 7, v69
	v_cndmask_b32_e32 v1, v1, v12, vcc_lo
	v_cndmask_b32_e64 v7, v13, v4, s2
	v_cndmask_b32_e64 v3, v3, v8, s2
	;; [unrolled: 1-line block ×3, first 2 shown]
	v_cmp_eq_u32_e64 s2, 7, v68
	v_cndmask_b32_e64 v4, v10, v8, s4
	v_cndmask_b32_e64 v5, v5, v12, s5
	;; [unrolled: 1-line block ×3, first 2 shown]
	v_cndmask_b32_e32 v2, v2, v16, vcc_lo
	v_cndmask_b32_e64 v7, v7, v12, s2
	v_cndmask_b32_e64 v3, v3, v16, s2
	;; [unrolled: 1-line block ×4, first 2 shown]
	v_perm_b32 v4, v2, v1, 0x5040100
	s_mov_b32 s2, exec_lo
	v_perm_b32 v3, v3, v7, 0x5040100
	v_perm_b32 v2, v8, v9, 0x5040100
	v_perm_b32 v1, v6, v5, 0x5040100
	ds_store_b128 v73, v[1:4]
	s_waitcnt lgkmcnt(0)
	s_barrier
	buffer_gl0_inv
	v_cmpx_gt_u32_e32 32, v0
	s_cbranch_execz .LBB937_2
; %bb.15:
	s_load_b64 s[0:1], s[0:1], 0x68
	s_lshl_b32 s4, s34, 7
	v_or_b32_e32 v2, s31, v66
	s_mul_i32 s2, s4, s30
	v_lshlrev_b32_e32 v1, 10, v0
	s_mul_i32 s2, s2, s7
	v_lshlrev_b32_e32 v3, 4, v67
	v_mul_lo_u32 v0, v2, s4
	s_ashr_i32 s3, s2, 31
	v_lshlrev_b32_e32 v4, 6, v66
	v_and_b32_e32 v1, 0x3800, v1
	v_or_b32_e32 v5, 2, v2
	s_lshl_b64 s[2:3], s[2:3], 1
	v_or_b32_e32 v6, 4, v2
	v_or_b32_e32 v7, 6, v2
	v_or3_b32 v12, v1, v3, v4
	v_ashrrev_i32_e32 v1, 31, v0
	v_mul_lo_u32 v2, v5, s4
	v_mul_lo_u32 v16, v6, s4
	;; [unrolled: 1-line block ×3, first 2 shown]
	s_waitcnt lgkmcnt(0)
	s_add_u32 s2, s0, s2
	s_addc_u32 s3, s1, s3
	s_lshl_b32 s0, s14, 7
	v_lshlrev_b64 v[0:1], 1, v[0:1]
	s_ashr_i32 s1, s0, 31
	v_ashrrev_i32_e32 v3, 31, v2
	s_lshl_b64 s[0:1], s[0:1], 1
	v_ashrrev_i32_e32 v17, 31, v16
	s_add_u32 s0, s2, s0
	s_addc_u32 s1, s3, s1
	v_add_co_u32 v24, s0, s0, v65
	s_delay_alu instid0(VALU_DEP_1) | instskip(SKIP_1) | instid1(VALU_DEP_3)
	v_add_co_ci_u32_e64 v25, null, s1, 0, s0
	v_lshlrev_b64 v[22:23], 1, v[2:3]
	v_add_co_u32 v18, vcc_lo, v24, v0
	s_delay_alu instid0(VALU_DEP_3)
	v_add_co_ci_u32_e32 v19, vcc_lo, v25, v1, vcc_lo
	ds_load_b128 v[0:3], v12
	ds_load_b128 v[4:7], v12 offset:128
	ds_load_b128 v[8:11], v12 offset:256
	;; [unrolled: 1-line block ×3, first 2 shown]
	v_ashrrev_i32_e32 v21, 31, v20
	v_lshlrev_b64 v[16:17], 1, v[16:17]
	v_add_co_u32 v22, vcc_lo, v24, v22
	v_add_co_ci_u32_e32 v23, vcc_lo, v25, v23, vcc_lo
	s_delay_alu instid0(VALU_DEP_4) | instskip(NEXT) | instid1(VALU_DEP_4)
	v_lshlrev_b64 v[20:21], 1, v[20:21]
	v_add_co_u32 v16, vcc_lo, v24, v16
	v_add_co_ci_u32_e32 v17, vcc_lo, v25, v17, vcc_lo
	s_delay_alu instid0(VALU_DEP_3) | instskip(NEXT) | instid1(VALU_DEP_4)
	v_add_co_u32 v20, vcc_lo, v24, v20
	v_add_co_ci_u32_e32 v21, vcc_lo, v25, v21, vcc_lo
	s_waitcnt lgkmcnt(3)
	global_store_b128 v[18:19], v[0:3], off
	s_waitcnt lgkmcnt(2)
	global_store_b128 v[22:23], v[4:7], off
	;; [unrolled: 2-line block ×4, first 2 shown]
	s_nop 0
	s_sendmsg sendmsg(MSG_DEALLOC_VGPRS)
	s_endpgm
	.section	.rodata,"a",@progbits
	.p2align	6, 0x0
	.amdhsa_kernel _Z39paged_attention_ll4mi_QKV_mfma16_kernelIDF16_hLN4vllm18Fp8KVCacheDataTypeE1EhLi16ELi128ELi256ELb1ELi8EL8MFMAType1EEvPKT_PKT0_S8_ifPKiSA_SA_iPKfiiiPfSD_PS3_PT2_iSC_SC_
		.amdhsa_group_segment_fixed_size 17472
		.amdhsa_private_segment_fixed_size 0
		.amdhsa_kernarg_size 400
		.amdhsa_user_sgpr_count 13
		.amdhsa_user_sgpr_dispatch_ptr 0
		.amdhsa_user_sgpr_queue_ptr 0
		.amdhsa_user_sgpr_kernarg_segment_ptr 1
		.amdhsa_user_sgpr_dispatch_id 0
		.amdhsa_user_sgpr_private_segment_size 0
		.amdhsa_wavefront_size32 1
		.amdhsa_uses_dynamic_stack 0
		.amdhsa_enable_private_segment 0
		.amdhsa_system_sgpr_workgroup_id_x 1
		.amdhsa_system_sgpr_workgroup_id_y 1
		.amdhsa_system_sgpr_workgroup_id_z 1
		.amdhsa_system_sgpr_workgroup_info 0
		.amdhsa_system_vgpr_workitem_id 0
		.amdhsa_next_free_vgpr 140
		.amdhsa_next_free_sgpr 36
		.amdhsa_reserve_vcc 1
		.amdhsa_float_round_mode_32 0
		.amdhsa_float_round_mode_16_64 0
		.amdhsa_float_denorm_mode_32 3
		.amdhsa_float_denorm_mode_16_64 3
		.amdhsa_dx10_clamp 1
		.amdhsa_ieee_mode 1
		.amdhsa_fp16_overflow 0
		.amdhsa_workgroup_processor_mode 1
		.amdhsa_memory_ordered 1
		.amdhsa_forward_progress 0
		.amdhsa_shared_vgpr_count 0
		.amdhsa_exception_fp_ieee_invalid_op 0
		.amdhsa_exception_fp_denorm_src 0
		.amdhsa_exception_fp_ieee_div_zero 0
		.amdhsa_exception_fp_ieee_overflow 0
		.amdhsa_exception_fp_ieee_underflow 0
		.amdhsa_exception_fp_ieee_inexact 0
		.amdhsa_exception_int_div_zero 0
	.end_amdhsa_kernel
	.section	.text._Z39paged_attention_ll4mi_QKV_mfma16_kernelIDF16_hLN4vllm18Fp8KVCacheDataTypeE1EhLi16ELi128ELi256ELb1ELi8EL8MFMAType1EEvPKT_PKT0_S8_ifPKiSA_SA_iPKfiiiPfSD_PS3_PT2_iSC_SC_,"axG",@progbits,_Z39paged_attention_ll4mi_QKV_mfma16_kernelIDF16_hLN4vllm18Fp8KVCacheDataTypeE1EhLi16ELi128ELi256ELb1ELi8EL8MFMAType1EEvPKT_PKT0_S8_ifPKiSA_SA_iPKfiiiPfSD_PS3_PT2_iSC_SC_,comdat
.Lfunc_end937:
	.size	_Z39paged_attention_ll4mi_QKV_mfma16_kernelIDF16_hLN4vllm18Fp8KVCacheDataTypeE1EhLi16ELi128ELi256ELb1ELi8EL8MFMAType1EEvPKT_PKT0_S8_ifPKiSA_SA_iPKfiiiPfSD_PS3_PT2_iSC_SC_, .Lfunc_end937-_Z39paged_attention_ll4mi_QKV_mfma16_kernelIDF16_hLN4vllm18Fp8KVCacheDataTypeE1EhLi16ELi128ELi256ELb1ELi8EL8MFMAType1EEvPKT_PKT0_S8_ifPKiSA_SA_iPKfiiiPfSD_PS3_PT2_iSC_SC_
                                        ; -- End function
	.section	.AMDGPU.csdata,"",@progbits
; Kernel info:
; codeLenInByte = 6620
; NumSgprs: 38
; NumVgprs: 140
; ScratchSize: 0
; MemoryBound: 0
; FloatMode: 240
; IeeeMode: 1
; LDSByteSize: 17472 bytes/workgroup (compile time only)
; SGPRBlocks: 4
; VGPRBlocks: 17
; NumSGPRsForWavesPerEU: 38
; NumVGPRsForWavesPerEU: 140
; Occupancy: 10
; WaveLimiterHint : 1
; COMPUTE_PGM_RSRC2:SCRATCH_EN: 0
; COMPUTE_PGM_RSRC2:USER_SGPR: 13
; COMPUTE_PGM_RSRC2:TRAP_HANDLER: 0
; COMPUTE_PGM_RSRC2:TGID_X_EN: 1
; COMPUTE_PGM_RSRC2:TGID_Y_EN: 1
; COMPUTE_PGM_RSRC2:TGID_Z_EN: 1
; COMPUTE_PGM_RSRC2:TIDIG_COMP_CNT: 0
	.section	.text._Z39paged_attention_ll4mi_QKV_mfma16_kernelIDF16_hLN4vllm18Fp8KVCacheDataTypeE1EhLi16ELi128ELi256ELb1ELi9EL8MFMAType1EEvPKT_PKT0_S8_ifPKiSA_SA_iPKfiiiPfSD_PS3_PT2_iSC_SC_,"axG",@progbits,_Z39paged_attention_ll4mi_QKV_mfma16_kernelIDF16_hLN4vllm18Fp8KVCacheDataTypeE1EhLi16ELi128ELi256ELb1ELi9EL8MFMAType1EEvPKT_PKT0_S8_ifPKiSA_SA_iPKfiiiPfSD_PS3_PT2_iSC_SC_,comdat
	.protected	_Z39paged_attention_ll4mi_QKV_mfma16_kernelIDF16_hLN4vllm18Fp8KVCacheDataTypeE1EhLi16ELi128ELi256ELb1ELi9EL8MFMAType1EEvPKT_PKT0_S8_ifPKiSA_SA_iPKfiiiPfSD_PS3_PT2_iSC_SC_ ; -- Begin function _Z39paged_attention_ll4mi_QKV_mfma16_kernelIDF16_hLN4vllm18Fp8KVCacheDataTypeE1EhLi16ELi128ELi256ELb1ELi9EL8MFMAType1EEvPKT_PKT0_S8_ifPKiSA_SA_iPKfiiiPfSD_PS3_PT2_iSC_SC_
	.globl	_Z39paged_attention_ll4mi_QKV_mfma16_kernelIDF16_hLN4vllm18Fp8KVCacheDataTypeE1EhLi16ELi128ELi256ELb1ELi9EL8MFMAType1EEvPKT_PKT0_S8_ifPKiSA_SA_iPKfiiiPfSD_PS3_PT2_iSC_SC_
	.p2align	8
	.type	_Z39paged_attention_ll4mi_QKV_mfma16_kernelIDF16_hLN4vllm18Fp8KVCacheDataTypeE1EhLi16ELi128ELi256ELb1ELi9EL8MFMAType1EEvPKT_PKT0_S8_ifPKiSA_SA_iPKfiiiPfSD_PS3_PT2_iSC_SC_,@function
_Z39paged_attention_ll4mi_QKV_mfma16_kernelIDF16_hLN4vllm18Fp8KVCacheDataTypeE1EhLi16ELi128ELi256ELb1ELi9EL8MFMAType1EEvPKT_PKT0_S8_ifPKiSA_SA_iPKfiiiPfSD_PS3_PT2_iSC_SC_: ; @_Z39paged_attention_ll4mi_QKV_mfma16_kernelIDF16_hLN4vllm18Fp8KVCacheDataTypeE1EhLi16ELi128ELi256ELb1ELi9EL8MFMAType1EEvPKT_PKT0_S8_ifPKiSA_SA_iPKfiiiPfSD_PS3_PT2_iSC_SC_
; %bb.0:
	s_load_b64 s[4:5], s[0:1], 0x30
	s_mov_b32 s34, s13
	s_waitcnt lgkmcnt(0)
	s_cmp_lg_u64 s[4:5], 0
	s_cselect_b32 s8, -1, 0
	s_ashr_i32 s35, s13, 31
	s_cmp_eq_u64 s[4:5], 0
	s_cbranch_scc1 .LBB938_3
; %bb.1:
	s_lshl_b64 s[2:3], s[34:35], 2
	s_delay_alu instid0(SALU_CYCLE_1) | instskip(SKIP_4) | instid1(SALU_CYCLE_1)
	s_add_u32 s2, s4, s2
	s_addc_u32 s3, s5, s3
	s_load_b64 s[2:3], s[2:3], 0x0
	s_waitcnt lgkmcnt(0)
	s_sub_i32 s2, s3, s2
	s_cmp_eq_u32 s2, 1
	s_cselect_b32 s2, -1, 0
	s_delay_alu instid0(SALU_CYCLE_1)
	s_and_not1_b32 vcc_lo, exec_lo, s2
	s_cbranch_vccz .LBB938_4
.LBB938_2:
	s_nop 0
	s_sendmsg sendmsg(MSG_DEALLOC_VGPRS)
	s_endpgm
.LBB938_3:
.LBB938_4:
	s_load_b64 s[2:3], s[0:1], 0x28
	s_lshl_b64 s[6:7], s[34:35], 2
	s_waitcnt lgkmcnt(0)
	s_add_u32 s2, s2, s6
	s_addc_u32 s3, s3, s7
	s_lshl_b32 s12, s14, 8
	s_load_b32 s24, s[2:3], 0x0
	s_waitcnt lgkmcnt(0)
	s_cmp_ge_i32 s12, s24
	s_cbranch_scc1 .LBB938_2
; %bb.5:
	s_clause 0x1
	s_load_b128 s[20:23], s[0:1], 0x8
	s_load_b64 s[2:3], s[0:1], 0x20
	s_and_not1_b32 vcc_lo, exec_lo, s8
	s_cbranch_vccnz .LBB938_7
; %bb.6:
	s_add_u32 s4, s4, s6
	s_addc_u32 s5, s5, s7
	s_load_b32 s5, s[4:5], 0x0
	s_branch .LBB938_8
.LBB938_7:
	s_mov_b32 s5, s34
.LBB938_8:
	s_load_b128 s[16:19], s[0:1], 0x48
	v_and_b32_e32 v68, 15, v0
	v_lshrrev_b32_e32 v69, 5, v0
	v_bfe_u32 v66, v0, 4, 1
	v_and_b32_e32 v70, 31, v0
	v_and_b32_e32 v67, 1, v0
	v_lshlrev_b32_e32 v2, 3, v68
	s_mul_i32 s31, s15, 9
	v_lshl_or_b32 v1, v69, 1, v66
	s_mov_b32 s4, exec_lo
	s_delay_alu instid0(VALU_DEP_2) | instskip(NEXT) | instid1(VALU_DEP_2)
	v_lshlrev_b32_e32 v65, 1, v2
	v_cmpx_gt_u32_e32 9, v1
	s_cbranch_execz .LBB938_10
; %bb.9:
	s_load_b64 s[6:7], s[0:1], 0x0
	v_add_lshl_u32 v2, v1, s31, 7
	s_waitcnt lgkmcnt(0)
	s_mul_hi_i32 s9, s5, s16
	s_mul_i32 s8, s5, s16
	v_lshlrev_b32_e32 v6, 10, v68
	s_lshl_b64 s[8:9], s[8:9], 1
	v_ashrrev_i32_e32 v3, 31, v2
	v_lshlrev_b32_e32 v1, 6, v1
	v_lshlrev_b32_e32 v7, 10, v67
	v_and_b32_e32 v6, 0x3800, v6
	s_delay_alu instid0(VALU_DEP_4) | instskip(NEXT) | instid1(VALU_DEP_2)
	v_lshlrev_b64 v[2:3], 1, v[2:3]
	v_or3_b32 v1, v6, v7, v1
	s_add_u32 s5, s6, s8
	s_addc_u32 s6, s7, s9
	s_delay_alu instid0(VALU_DEP_2) | instskip(NEXT) | instid1(VALU_DEP_3)
	v_add_co_u32 v2, vcc_lo, s5, v2
	v_add_co_ci_u32_e32 v3, vcc_lo, s6, v3, vcc_lo
	s_delay_alu instid0(VALU_DEP_2) | instskip(NEXT) | instid1(VALU_DEP_2)
	v_add_co_u32 v2, vcc_lo, v2, v65
	v_add_co_ci_u32_e32 v3, vcc_lo, 0, v3, vcc_lo
	global_load_b128 v[2:5], v[2:3], off
	s_waitcnt vmcnt(0)
	ds_store_b128 v1, v[2:5]
.LBB938_10:
	s_or_b32 exec_lo, exec_lo, s4
	v_and_b32_e32 v1, 0xef, v0
	s_waitcnt lgkmcnt(0)
	s_add_i32 s5, s24, 15
	s_clause 0x1
	s_load_b32 s4, s[0:1], 0x38
	s_load_b32 s33, s[0:1], 0x98
	s_ashr_i32 s6, s5, 31
	v_add_nc_u32_e32 v1, s12, v1
	s_lshr_b32 s6, s6, 28
	s_load_b32 s19, s[0:1], 0x1c
	s_add_i32 s5, s5, s6
	s_waitcnt lgkmcnt(0)
	v_ashrrev_i32_e32 v2, 31, v1
	v_or_b32_e32 v3, 16, v1
	s_ashr_i32 s13, s5, 4
	v_cmp_gt_i32_e32 vcc_lo, s24, v1
	s_add_i32 s13, s13, -1
	v_lshrrev_b32_e32 v2, 28, v2
	s_barrier
	buffer_gl0_inv
	s_mul_i32 s15, s15, s18
	v_add_nc_u32_e32 v4, v1, v2
	s_mul_i32 s4, s34, s4
	s_delay_alu instid0(SALU_CYCLE_1) | instskip(NEXT) | instid1(VALU_DEP_1)
	s_ashr_i32 s5, s4, 31
	v_ashrrev_i32_e32 v4, 4, v4
	v_add_nc_u32_e32 v2, v3, v2
	s_lshl_b64 s[4:5], s[4:5], 2
	s_delay_alu instid0(SALU_CYCLE_1) | instskip(NEXT) | instid1(VALU_DEP_2)
	s_add_u32 s16, s2, s4
	v_cndmask_b32_e32 v1, s13, v4, vcc_lo
	s_delay_alu instid0(VALU_DEP_2)
	v_ashrrev_i32_e32 v2, 4, v2
	v_cmp_gt_i32_e32 vcc_lo, s24, v3
	s_addc_u32 s25, s3, s5
	s_ashr_i32 s18, s15, 31
	s_add_u32 s26, s20, s15
	s_addc_u32 s27, s21, s18
	v_cndmask_b32_e32 v3, s13, v2, vcc_lo
	v_ashrrev_i32_e32 v2, 31, v1
	s_lshl_b32 s2, s14, 4
	s_delay_alu instid0(SALU_CYCLE_1) | instskip(NEXT) | instid1(VALU_DEP_2)
	s_ashr_i32 s3, s2, 31
	v_ashrrev_i32_e32 v4, 31, v3
	s_delay_alu instid0(VALU_DEP_2) | instskip(SKIP_1) | instid1(SALU_CYCLE_1)
	v_lshlrev_b64 v[1:2], 2, v[1:2]
	s_lshl_b64 s[2:3], s[2:3], 2
	s_add_u32 s2, s16, s2
	s_delay_alu instid0(VALU_DEP_2) | instskip(SKIP_1) | instid1(VALU_DEP_2)
	v_lshlrev_b64 v[3:4], 2, v[3:4]
	s_addc_u32 s3, s25, s3
	v_add_co_u32 v1, vcc_lo, s16, v1
	v_add_co_ci_u32_e32 v2, vcc_lo, s25, v2, vcc_lo
	s_delay_alu instid0(VALU_DEP_3) | instskip(NEXT) | instid1(VALU_DEP_4)
	v_add_co_u32 v3, vcc_lo, s16, v3
	v_add_co_ci_u32_e32 v4, vcc_lo, s25, v4, vcc_lo
	s_clause 0x1
	global_load_b32 v5, v[1:2], off
	global_load_b32 v7, v[3:4], off
	s_or_b32 s4, s12, 32
	v_lshlrev_b32_e32 v1, 4, v0
	s_ashr_i32 s5, s4, 4
	s_cmp_lt_i32 s4, s24
	v_cmp_gt_u32_e32 vcc_lo, 9, v68
	s_cselect_b32 s4, s5, s13
	v_and_b32_e32 v1, 0xf0, v1
	s_ashr_i32 s5, s4, 31
	s_delay_alu instid0(SALU_CYCLE_1) | instskip(NEXT) | instid1(SALU_CYCLE_1)
	s_lshl_b64 s[4:5], s[4:5], 2
	s_add_u32 s4, s16, s4
	s_addc_u32 s5, s25, s5
	s_or_b32 s6, s12, 64
	v_add_co_u32 v1, s26, s26, v1
	s_ashr_i32 s7, s6, 4
	s_cmp_lt_i32 s6, s24
	v_add_co_ci_u32_e64 v2, null, s27, 0, s26
	s_cselect_b32 s6, s7, s13
	s_delay_alu instid0(SALU_CYCLE_1) | instskip(NEXT) | instid1(SALU_CYCLE_1)
	s_ashr_i32 s7, s6, 31
	s_lshl_b64 s[6:7], s[6:7], 2
	s_delay_alu instid0(SALU_CYCLE_1) | instskip(SKIP_2) | instid1(SALU_CYCLE_1)
	s_add_u32 s6, s16, s6
	s_addc_u32 s7, s25, s7
	s_or_b32 s8, s12, 0x60
	s_ashr_i32 s9, s8, 4
	s_cmp_lt_i32 s8, s24
	s_cselect_b32 s8, s9, s13
	s_delay_alu instid0(SALU_CYCLE_1) | instskip(NEXT) | instid1(SALU_CYCLE_1)
	s_ashr_i32 s9, s8, 31
	s_lshl_b64 s[8:9], s[8:9], 2
	s_delay_alu instid0(SALU_CYCLE_1) | instskip(SKIP_2) | instid1(SALU_CYCLE_1)
	s_add_u32 s8, s16, s8
	s_addc_u32 s9, s25, s9
	s_or_b32 s10, s12, 0x80
	s_ashr_i32 s11, s10, 4
	s_cmp_lt_i32 s10, s24
	;; [unrolled: 10-line block ×3, first 2 shown]
	s_cselect_b32 s20, s21, s13
	s_delay_alu instid0(SALU_CYCLE_1) | instskip(NEXT) | instid1(SALU_CYCLE_1)
	s_ashr_i32 s21, s20, 31
	s_lshl_b64 s[20:21], s[20:21], 2
	s_delay_alu instid0(SALU_CYCLE_1)
	s_add_u32 s20, s16, s20
	s_addc_u32 s21, s25, s21
	s_clause 0x5
	s_load_b32 s26, s[2:3], 0x0
	s_load_b32 s27, s[4:5], 0x0
	;; [unrolled: 1-line block ×6, first 2 shown]
	s_or_b32 s2, s12, 0xc0
	s_mov_b32 s4, 0
	s_ashr_i32 s3, s2, 4
	s_cmp_lt_i32 s2, s24
	s_mov_b32 s11, s4
	s_cselect_b32 s2, s3, s13
	s_mov_b32 s5, s4
	s_ashr_i32 s3, s2, 31
	s_mov_b32 s6, s4
	s_lshl_b64 s[2:3], s[2:3], 2
	s_mov_b32 s7, s4
	s_add_u32 s2, s16, s2
	s_addc_u32 s3, s25, s3
	s_or_b32 s20, s12, 0xe0
	s_mov_b32 s8, s4
	s_ashr_i32 s21, s20, 4
	s_cmp_lt_i32 s20, s24
	s_mov_b32 s9, s4
	s_cselect_b32 s20, s21, s13
	s_mov_b32 s10, s4
	s_ashr_i32 s21, s20, 31
	v_mov_b32_e32 v118, s11
	v_dual_mov_b32 v112, s5 :: v_dual_mov_b32 v117, s10
	v_dual_mov_b32 v116, s9 :: v_dual_mov_b32 v115, s8
	;; [unrolled: 1-line block ×3, first 2 shown]
	v_mov_b32_e32 v111, s4
	s_lshl_b64 s[4:5], s[20:21], 2
	s_delay_alu instid0(SALU_CYCLE_1)
	s_add_u32 s4, s16, s4
	s_addc_u32 s5, s25, s5
	s_add_u32 s6, s22, s15
	s_addc_u32 s7, s23, s18
	s_waitcnt vmcnt(1)
	v_mad_i64_i32 v[3:4], null, v5, s17, v[1:2]
	s_waitcnt vmcnt(0)
	v_mad_i64_i32 v[5:6], null, v7, s17, v[1:2]
	v_add_nc_u32_e32 v1, -9, v68
	v_lshlrev_b32_e32 v2, 4, v68
	s_clause 0xf
	global_load_b128 v[17:20], v[3:4], off
	global_load_b128 v[21:24], v[3:4], off offset:256
	global_load_b128 v[25:28], v[5:6], off
	global_load_b128 v[29:32], v[5:6], off offset:256
	global_load_b128 v[57:60], v[3:4], off offset:512
	;; [unrolled: 1-line block ×13, first 2 shown]
	v_cndmask_b32_e32 v1, v1, v68, vcc_lo
	s_delay_alu instid0(VALU_DEP_1)
	v_lshlrev_b32_e32 v149, 6, v1
	v_lshl_or_b32 v1, v69, 8, v2
	ds_load_b128 v[119:122], v149
	ds_load_b128 v[123:126], v149 offset:1024
	ds_load_b128 v[127:130], v149 offset:2048
	;; [unrolled: 1-line block ×3, first 2 shown]
	s_clause 0x1
	s_load_b32 s2, s[2:3], 0x0
	s_load_b32 s3, s[4:5], 0x0
	v_add_co_u32 v135, s6, s6, v1
	s_delay_alu instid0(VALU_DEP_1) | instskip(SKIP_1) | instid1(VALU_DEP_1)
	v_add_co_ci_u32_e64 v136, null, s7, 0, s6
	s_waitcnt lgkmcnt(0)
	v_mad_i64_i32 v[1:2], null, s26, s17, v[135:136]
	v_mad_i64_i32 v[3:4], null, s27, s17, v[135:136]
	v_mad_i64_i32 v[5:6], null, s28, s17, v[135:136]
	v_mad_i64_i32 v[7:8], null, s29, s17, v[135:136]
	v_mad_i64_i32 v[143:144], null, s35, s17, v[135:136]
	v_mad_i64_i32 v[13:14], null, s30, s17, v[135:136]
	s_clause 0x9
	global_load_b128 v[49:52], v[1:2], off
	global_load_b128 v[53:56], v[1:2], off offset:16
	global_load_b128 v[41:44], v[3:4], off
	global_load_b128 v[45:48], v[3:4], off offset:16
	;; [unrolled: 2-line block ×5, first 2 shown]
	v_mad_i64_i32 v[145:146], null, s2, s17, v[135:136]
	v_mad_i64_i32 v[147:148], null, s3, s17, v[135:136]
	s_waitcnt vmcnt(24)
	v_wmma_f32_16x16x16_f16 v[135:142], v[17:24], v[119:126], v[111:118]
	s_waitcnt vmcnt(22)
	v_wmma_f32_16x16x16_f16 v[111:118], v[25:32], v[119:126], v[111:118]
	s_clause 0x3
	global_load_b128 v[17:20], v[143:144], off
	global_load_b128 v[21:24], v[143:144], off offset:16
	global_load_b128 v[25:28], v[145:146], off
	global_load_b128 v[29:32], v[145:146], off offset:16
	v_and_b32_e32 v119, 0xe0, v0
	s_waitcnt vmcnt(24)
	v_wmma_f32_16x16x16_f16 v[135:142], v[57:64], v[127:134], v[135:142]
	s_clause 0x1
	global_load_b128 v[57:60], v[147:148], off
	global_load_b128 v[61:64], v[147:148], off offset:16
	s_waitcnt vmcnt(24)
	v_wmma_f32_16x16x16_f16 v[111:118], v[71:78], v[127:134], v[111:118]
	ds_load_b128 v[71:74], v149 offset:4096
	ds_load_b128 v[75:78], v149 offset:5120
	v_add_nc_u32_e32 v128, s12, v119
	ds_load_b128 v[119:122], v149 offset:6144
	ds_load_b128 v[123:126], v149 offset:7168
	v_mbcnt_lo_u32_b32 v127, -1, 0
	s_waitcnt vmcnt(0) lgkmcnt(0)
	s_barrier
	v_or_b32_e32 v128, v128, v66
	buffer_gl0_inv
	v_xor_b32_e32 v129, 16, v127
	v_or_b32_e32 v130, 4, v128
	v_or_b32_e32 v131, 6, v128
	s_delay_alu instid0(VALU_DEP_3) | instskip(SKIP_4) | instid1(VALU_DEP_4)
	v_cmp_gt_i32_e32 vcc_lo, 32, v129
	v_or_b32_e32 v132, 8, v128
	v_or_b32_e32 v133, 10, v128
	v_cmp_gt_i32_e64 s3, s24, v130
	v_cmp_gt_i32_e64 s4, s24, v131
	;; [unrolled: 1-line block ×3, first 2 shown]
	v_wmma_f32_16x16x16_f16 v[135:142], v[79:86], v[71:78], v[135:142]
	v_wmma_f32_16x16x16_f16 v[111:118], v[87:94], v[71:78], v[111:118]
	v_or_b32_e32 v79, 12, v128
	v_or_b32_e32 v80, 14, v128
	v_cmp_gt_i32_e64 s6, s24, v133
	v_wmma_f32_16x16x16_f16 v[135:142], v[95:102], v[119:126], v[135:142]
	v_wmma_f32_16x16x16_f16 v[111:118], v[103:110], v[119:126], v[111:118]
	v_cndmask_b32_e32 v127, v127, v129, vcc_lo
	v_or_b32_e32 v129, 2, v128
	v_cmp_gt_i32_e32 vcc_lo, s24, v128
	v_mul_f32_e32 v88, s19, v135
	v_dual_mul_f32 v92, s19, v115 :: v_dual_mul_f32 v87, s19, v136
	s_delay_alu instid0(VALU_DEP_4)
	v_cmp_gt_i32_e64 s2, s24, v129
	v_mul_f32_e32 v78, s19, v138
	v_mul_f32_e32 v86, s19, v137
	v_cndmask_b32_e32 v88, 0xff7fffff, v88, vcc_lo
	v_mul_f32_e32 v76, s19, v140
	v_cndmask_b32_e64 v87, 0xff7fffff, v87, s2
	v_dual_mul_f32 v77, s19, v139 :: v_dual_mul_f32 v94, s19, v113
	v_cndmask_b32_e64 v86, 0xff7fffff, v86, s3
	v_cndmask_b32_e64 v78, 0xff7fffff, v78, s4
	s_delay_alu instid0(VALU_DEP_4)
	v_max3_f32 v87, v88, 0xff7fffff, v87
	v_or_b32_e32 v81, 16, v128
	v_or_b32_e32 v82, 18, v128
	v_dual_mul_f32 v74, s19, v142 :: v_dual_mul_f32 v75, s19, v141
	v_mul_f32_e32 v96, s19, v111
	v_cndmask_b32_e64 v77, 0xff7fffff, v77, s5
	v_cndmask_b32_e64 v76, 0xff7fffff, v76, s6
	v_max3_f32 v78, v87, v86, v78
	v_cmp_gt_i32_e64 s7, s24, v79
	v_cmp_gt_i32_e64 s8, s24, v80
	v_or_b32_e32 v83, 20, v128
	v_or_b32_e32 v84, 22, v128
	v_mul_f32_e32 v95, s19, v112
	v_cndmask_b32_e64 v75, 0xff7fffff, v75, s7
	v_cndmask_b32_e64 v74, 0xff7fffff, v74, s8
	v_max3_f32 v76, v78, v77, v76
	v_cmp_gt_i32_e64 s9, s24, v81
	v_cmp_gt_i32_e64 s10, s24, v82
	v_or_b32_e32 v85, 24, v128
	v_or_b32_e32 v71, 26, v128
	;; [unrolled: 8-line block ×3, first 2 shown]
	v_mul_f32_e32 v91, s19, v116
	v_cndmask_b32_e64 v75, 0xff7fffff, v94, s11
	v_cndmask_b32_e64 v76, 0xff7fffff, v93, s12
	v_max3_f32 v74, v74, v77, v78
	v_cmp_gt_i32_e64 s13, s24, v85
	v_cmp_gt_i32_e64 s15, s24, v71
	v_dual_mul_f32 v89, s19, v118 :: v_dual_mul_f32 v90, s19, v117
	s_delay_alu instid0(VALU_DEP_4) | instskip(NEXT) | instid1(VALU_DEP_4)
	v_max3_f32 v74, v74, v75, v76
	v_cndmask_b32_e64 v77, 0xff7fffff, v92, s13
	s_delay_alu instid0(VALU_DEP_4) | instskip(SKIP_2) | instid1(VALU_DEP_3)
	v_cndmask_b32_e64 v71, 0xff7fffff, v91, s15
	v_cmp_gt_i32_e64 s16, s24, v72
	v_cmp_gt_i32_e64 s17, s24, v73
	v_max3_f32 v71, v74, v77, v71
	s_delay_alu instid0(VALU_DEP_3) | instskip(NEXT) | instid1(VALU_DEP_3)
	v_cndmask_b32_e64 v72, 0xff7fffff, v90, s16
	v_cndmask_b32_e64 v73, 0xff7fffff, v89, s17
	v_lshlrev_b32_e32 v74, 2, v127
	s_delay_alu instid0(VALU_DEP_2) | instskip(SKIP_3) | instid1(VALU_DEP_1)
	v_max3_f32 v71, v71, v72, v73
	ds_bpermute_b32 v72, v74, v71
	s_waitcnt lgkmcnt(0)
	v_max_f32_e32 v72, v72, v72
	v_max_f32_e32 v71, v71, v72
	s_delay_alu instid0(VALU_DEP_1) | instskip(SKIP_4) | instid1(VALU_DEP_4)
	v_fma_f32 v72, s19, v135, -v71
	v_fma_f32 v73, s19, v136, -v71
	;; [unrolled: 1-line block ×5, first 2 shown]
	v_dual_mul_f32 v72, 0x3fb8aa3b, v72 :: v_dual_mul_f32 v73, 0x3fb8aa3b, v73
	v_fma_f32 v80, s19, v141, -v71
	s_delay_alu instid0(VALU_DEP_3) | instskip(NEXT) | instid1(VALU_DEP_3)
	v_dual_mul_f32 v76, 0x3fb8aa3b, v76 :: v_dual_mul_f32 v77, 0x3fb8aa3b, v77
	v_exp_f32_e32 v72, v72
	s_delay_alu instid0(VALU_DEP_3) | instskip(NEXT) | instid1(VALU_DEP_2)
	v_exp_f32_e32 v73, v73
	v_mul_f32_e32 v82, 0x3fb8aa3b, v80
	s_delay_alu instid0(VALU_DEP_2) | instskip(SKIP_1) | instid1(VALU_DEP_1)
	v_exp_f32_e32 v76, v76
	v_exp_f32_e32 v77, v77
	;; [unrolled: 1-line block ×3, first 2 shown]
	v_cndmask_b32_e32 v79, 0, v72, vcc_lo
	v_fma_f32 v72, s19, v140, -v71
	v_mul_f32_e32 v75, 0x3fb8aa3b, v75
	v_cndmask_b32_e64 v78, 0, v73, s2
	s_delay_alu instid0(TRANS32_DEP_3) | instskip(NEXT) | instid1(VALU_DEP_4)
	v_cndmask_b32_e64 v80, 0, v76, s4
	v_dual_add_f32 v73, 0, v79 :: v_dual_mul_f32 v72, 0x3fb8aa3b, v72
	s_delay_alu instid0(VALU_DEP_4) | instskip(NEXT) | instid1(TRANS32_DEP_3)
	v_exp_f32_e32 v75, v75
	v_cndmask_b32_e64 v83, 0, v77, s5
	s_delay_alu instid0(TRANS32_DEP_2) | instskip(NEXT) | instid1(VALU_DEP_3)
	v_cndmask_b32_e64 v85, 0, v84, s7
	v_add_f32_e32 v73, v73, v78
	v_exp_f32_e32 v72, v72
	v_cmp_gt_u32_e64 s2, 16, v70
	s_waitcnt_depctr 0xfff
	v_cndmask_b32_e64 v81, 0, v75, s3
	v_cndmask_b32_e64 v82, 0, v72, s6
	s_delay_alu instid0(VALU_DEP_2) | instskip(NEXT) | instid1(VALU_DEP_1)
	v_add_f32_e32 v73, v73, v81
	v_add_f32_e32 v73, v73, v80
	s_delay_alu instid0(VALU_DEP_1) | instskip(NEXT) | instid1(VALU_DEP_1)
	v_add_f32_e32 v72, v73, v83
	v_add_f32_e32 v72, v72, v82
	s_delay_alu instid0(VALU_DEP_1)
	v_add_f32_e32 v72, v72, v85
	v_fma_f32 v76, s19, v111, -v71
	v_fma_f32 v75, s19, v142, -v71
	;; [unrolled: 1-line block ×5, first 2 shown]
	v_mul_f32_e32 v76, 0x3fb8aa3b, v76
	s_delay_alu instid0(VALU_DEP_4) | instskip(NEXT) | instid1(VALU_DEP_2)
	v_mul_f32_e32 v86, 0x3fb8aa3b, v86
	v_exp_f32_e32 v76, v76
	s_delay_alu instid0(VALU_DEP_1)
	v_exp_f32_e32 v88, v86
	s_waitcnt_depctr 0xfff
	v_cndmask_b32_e64 v87, 0, v76, s9
	v_fma_f32 v76, s19, v116, -v71
	v_mul_f32_e32 v75, 0x3fb8aa3b, v75
	v_cndmask_b32_e64 v88, 0, v88, s12
	s_delay_alu instid0(VALU_DEP_3) | instskip(NEXT) | instid1(VALU_DEP_3)
	v_dual_mul_f32 v73, 0x3fb8aa3b, v73 :: v_dual_mul_f32 v76, 0x3fb8aa3b, v76
	v_exp_f32_e32 v75, v75
	s_delay_alu instid0(VALU_DEP_1) | instskip(NEXT) | instid1(VALU_DEP_1)
	v_exp_f32_e32 v73, v73
	v_exp_f32_e32 v76, v76
	s_delay_alu instid0(TRANS32_DEP_3)
	v_cndmask_b32_e64 v84, 0, v75, s8
	v_fma_f32 v75, s19, v115, -v71
	s_waitcnt_depctr 0xfff
	v_cndmask_b32_e64 v89, 0, v73, s11
	v_cndmask_b32_e64 v90, 0, v76, s15
	v_add_f32_e32 v72, v72, v84
	s_delay_alu instid0(VALU_DEP_1) | instskip(NEXT) | instid1(VALU_DEP_1)
	v_dual_add_f32 v72, v72, v87 :: v_dual_mul_f32 v77, 0x3fb8aa3b, v77
	v_exp_f32_e32 v77, v77
	s_waitcnt_depctr 0xfff
	v_cndmask_b32_e64 v86, 0, v77, s10
	v_fma_f32 v77, s19, v117, -v71
	s_delay_alu instid0(VALU_DEP_2) | instskip(NEXT) | instid1(VALU_DEP_1)
	v_dual_add_f32 v72, v72, v86 :: v_dual_mul_f32 v75, 0x3fb8aa3b, v75
	v_add_f32_e32 v72, v72, v89
	s_delay_alu instid0(VALU_DEP_2) | instskip(NEXT) | instid1(VALU_DEP_1)
	v_exp_f32_e32 v75, v75
	v_add_f32_e32 v72, v72, v88
	s_waitcnt_depctr 0xfff
	v_cndmask_b32_e64 v91, 0, v75, s13
	v_mul_f32_e32 v73, 0x3fb8aa3b, v77
	v_fma_f32 v77, s19, v118, -v71
	s_delay_alu instid0(VALU_DEP_3) | instskip(NEXT) | instid1(VALU_DEP_3)
	v_add_f32_e32 v72, v72, v91
	v_exp_f32_e32 v73, v73
	s_delay_alu instid0(VALU_DEP_1) | instskip(NEXT) | instid1(VALU_DEP_1)
	v_dual_mul_f32 v75, 0x3fb8aa3b, v77 :: v_dual_add_f32 v72, v72, v90
	v_exp_f32_e32 v75, v75
	s_waitcnt_depctr 0xfff
	v_cndmask_b32_e64 v93, 0, v73, s16
	s_delay_alu instid0(VALU_DEP_1) | instskip(SKIP_1) | instid1(VALU_DEP_1)
	v_add_f32_e32 v72, v72, v93
	v_cndmask_b32_e64 v92, 0, v75, s17
	v_add_f32_e32 v72, v72, v92
	ds_bpermute_b32 v73, v74, v72
	s_and_saveexec_b32 s3, s2
	s_cbranch_execz .LBB938_12
; %bb.11:
	v_mul_u32_u24_e32 v70, 0x44, v69
	s_waitcnt lgkmcnt(0)
	v_add_f32_e32 v72, v72, v73
	s_delay_alu instid0(VALU_DEP_2) | instskip(NEXT) | instid1(VALU_DEP_1)
	v_lshl_add_u32 v70, v68, 2, v70
	v_add_nc_u32_e32 v70, 0x4000, v70
	ds_store_2addr_b32 v70, v71, v72 offset1:136
.LBB938_12:
	s_or_b32 exec_lo, exec_lo, s3
	v_lshlrev_b32_e32 v70, 2, v68
	s_load_b32 s35, s[0:1], 0x94
	s_waitcnt lgkmcnt(0)
	s_barrier
	buffer_gl0_inv
	v_add_nc_u32_e32 v98, 0x4000, v70
	v_cmp_eq_u32_e32 vcc_lo, 1, v69
	v_cmp_eq_u32_e64 s3, 2, v69
	v_cmp_eq_u32_e64 s4, 3, v69
	;; [unrolled: 1-line block ×3, first 2 shown]
	ds_load_2addr_b32 v[70:71], v98 offset1:17
	ds_load_2addr_b32 v[72:73], v98 offset0:34 offset1:51
	ds_load_2addr_b32 v[74:75], v98 offset0:68 offset1:85
	;; [unrolled: 1-line block ×3, first 2 shown]
	v_cmp_eq_u32_e64 s6, 5, v69
	v_cmp_eq_u32_e64 s7, 7, v69
	s_waitcnt lgkmcnt(3)
	v_max3_f32 v76, v70, 0xff7fffff, v71
	s_waitcnt lgkmcnt(2)
	s_delay_alu instid0(VALU_DEP_1) | instskip(SKIP_1) | instid1(VALU_DEP_1)
	v_max3_f32 v76, v76, v72, v73
	s_waitcnt lgkmcnt(1)
	v_max3_f32 v76, v76, v74, v75
	s_waitcnt lgkmcnt(0)
	s_delay_alu instid0(VALU_DEP_1) | instskip(NEXT) | instid1(VALU_DEP_1)
	v_max3_f32 v76, v76, v94, v95
	v_sub_f32_e32 v77, v71, v76
	ds_load_2addr_b32 v[96:97], v98 offset0:136 offset1:153
	v_sub_f32_e32 v74, v74, v76
	v_sub_f32_e32 v70, v70, v76
	;; [unrolled: 1-line block ×3, first 2 shown]
	v_dual_sub_f32 v72, v72, v76 :: v_dual_mul_f32 v77, 0x3fb8aa3b, v77
	s_delay_alu instid0(VALU_DEP_4) | instskip(NEXT) | instid1(VALU_DEP_4)
	v_mul_f32_e32 v103, 0x3fb8aa3b, v74
	v_mul_f32_e32 v99, 0x3fb8aa3b, v70
	ds_load_2addr_b32 v[70:71], v98 offset0:170 offset1:187
	v_dual_mul_f32 v101, 0x3fb8aa3b, v72 :: v_dual_mul_f32 v94, 0x3fb8aa3b, v94
	v_exp_f32_e32 v102, v77
	v_exp_f32_e32 v99, v99
	s_delay_alu instid0(VALU_DEP_1) | instskip(NEXT) | instid1(VALU_DEP_1)
	v_exp_f32_e32 v101, v101
	v_exp_f32_e32 v94, v94
	s_waitcnt lgkmcnt(1)
	s_delay_alu instid0(TRANS32_DEP_3)
	v_fma_f32 v77, v99, v96, 0
	v_sub_f32_e32 v100, v73, v76
	ds_load_2addr_b32 v[72:73], v98 offset0:204 offset1:221
	v_fmac_f32_e32 v77, v102, v97
	v_exp_f32_e32 v97, v103
	s_waitcnt lgkmcnt(1)
	s_delay_alu instid0(VALU_DEP_1)
	v_dual_fmac_f32 v77, v101, v70 :: v_dual_sub_f32 v96, v75, v76
	ds_load_2addr_b32 v[74:75], v98 offset0:238 offset1:255
	v_sub_f32_e32 v70, v95, v76
	s_waitcnt lgkmcnt(0)
	s_barrier
	v_mul_f32_e32 v96, 0x3fb8aa3b, v96
	buffer_gl0_inv
	v_exp_f32_e32 v95, v96
	v_mul_f32_e32 v100, 0x3fb8aa3b, v100
	s_delay_alu instid0(VALU_DEP_1) | instskip(SKIP_3) | instid1(VALU_DEP_2)
	v_exp_f32_e32 v100, v100
	s_waitcnt_depctr 0xfff
	v_dual_fmac_f32 v77, v100, v71 :: v_dual_mul_f32 v70, 0x3fb8aa3b, v70
	v_cndmask_b32_e32 v71, v99, v102, vcc_lo
	v_fmac_f32_e32 v77, v97, v72
	s_delay_alu instid0(VALU_DEP_3) | instskip(NEXT) | instid1(VALU_DEP_1)
	v_exp_f32_e32 v96, v70
	v_fmac_f32_e32 v77, v95, v73
	s_delay_alu instid0(VALU_DEP_1) | instskip(SKIP_2) | instid1(VALU_DEP_1)
	v_fmac_f32_e32 v77, v94, v74
	s_waitcnt_depctr 0xfff
	v_fmac_f32_e32 v77, v96, v75
	v_add_f32_e32 v74, 0x358637bd, v77
	s_delay_alu instid0(VALU_DEP_1) | instskip(SKIP_1) | instid1(VALU_DEP_2)
	v_div_scale_f32 v98, null, v74, v74, 1.0
	v_div_scale_f32 v99, vcc_lo, 1.0, v74, 1.0
	v_rcp_f32_e32 v103, v98
	s_waitcnt_depctr 0xfff
	v_fma_f32 v70, -v98, v103, 1.0
	s_delay_alu instid0(VALU_DEP_1) | instskip(SKIP_2) | instid1(VALU_DEP_2)
	v_fmac_f32_e32 v103, v70, v103
	v_cndmask_b32_e64 v70, v71, v101, s3
	v_cmp_eq_u32_e64 s3, 6, v69
	v_cndmask_b32_e64 v71, v70, v100, s4
	s_delay_alu instid0(VALU_DEP_4) | instskip(NEXT) | instid1(VALU_DEP_2)
	v_dual_mul_f32 v101, v99, v103 :: v_dual_lshlrev_b32 v70, 2, v66
	v_cndmask_b32_e64 v71, v71, v97, s5
	s_delay_alu instid0(VALU_DEP_2) | instskip(NEXT) | instid1(VALU_DEP_3)
	v_or_b32_e32 v72, 1, v70
	v_fma_f32 v100, -v98, v101, v99
	v_cmp_eq_u32_e64 s4, 1, v70
	v_cmp_eq_u32_e64 s5, 2, v70
	v_cndmask_b32_e64 v95, v71, v95, s6
	v_or_b32_e32 v71, 3, v70
	v_fmac_f32_e32 v101, v100, v103
	v_cmp_eq_u32_e64 s9, 1, v72
	v_cmp_eq_u32_e64 s12, 2, v72
	v_cndmask_b32_e64 v94, v95, v94, s3
	v_cmp_eq_u32_e64 s11, 1, v71
	v_fma_f32 v97, -v98, v101, v99
	v_cmp_eq_u32_e64 s16, 2, v71
	v_cmp_eq_u32_e64 s13, 3, v72
	v_cndmask_b32_e64 v94, v94, v96, s7
	v_cmp_eq_u32_e64 s18, 3, v71
	v_div_fmas_f32 v95, v97, v103, v101
	v_cmp_eq_u32_e32 vcc_lo, 3, v70
	v_cmp_eq_u32_e64 s3, 4, v70
	v_cmp_eq_u32_e64 s19, 4, v72
	;; [unrolled: 1-line block ×3, first 2 shown]
	v_div_fixup_f32 v95, v95, v74, 1.0
	v_lshlrev_b32_e32 v73, 6, v68
	v_cmp_eq_u32_e64 s6, 5, v70
	v_cmp_eq_u32_e64 s20, 5, v72
	;; [unrolled: 1-line block ×3, first 2 shown]
	v_mul_f32_e32 v102, v94, v95
	v_lshl_or_b32 v75, v69, 11, v73
	v_or_b32_e32 v69, 2, v70
	v_cmp_eq_u32_e64 s25, 6, v72
	v_cmp_eq_u32_e64 s27, 6, v71
	v_fma_mixlo_f16 v94, v102, v79, 0
	v_fma_mixlo_f16 v95, v102, v81, 0
	;; [unrolled: 1-line block ×8, first 2 shown]
	v_lshl_or_b32 v74, v66, 4, v75
	v_fma_mixhi_f16 v94, v102, v78, 0
	v_fma_mixhi_f16 v95, v102, v80, 0
	;; [unrolled: 1-line block ×8, first 2 shown]
	ds_store_b128 v74, v[94:97]
	ds_store_b128 v74, v[98:101] offset:1024
	s_waitcnt lgkmcnt(0)
	s_barrier
	buffer_gl0_inv
	ds_load_b128 v[78:81], v75
	ds_load_b128 v[82:85], v75 offset:16
	ds_load_b128 v[86:89], v75 offset:1024
	;; [unrolled: 1-line block ×3, first 2 shown]
	v_cmp_eq_u32_e64 s10, 1, v69
	v_cmp_eq_u32_e64 s15, 2, v69
	;; [unrolled: 1-line block ×11, first 2 shown]
	s_waitcnt lgkmcnt(3)
	v_lshrrev_b32_e32 v94, 16, v78
	s_waitcnt lgkmcnt(2)
	v_lshrrev_b32_e32 v98, 16, v82
	;; [unrolled: 2-line block ×4, first 2 shown]
	v_lshrrev_b32_e32 v95, 16, v79
	v_cndmask_b32_e64 v110, v78, v94, s4
	v_cndmask_b32_e64 v111, v82, v98, s4
	;; [unrolled: 1-line block ×8, first 2 shown]
	v_lshrrev_b32_e32 v99, 16, v83
	v_cndmask_b32_e64 v94, v86, v102, s4
	v_cndmask_b32_e64 v98, v90, v106, s4
	;; [unrolled: 1-line block ×15, first 2 shown]
	v_lshrrev_b32_e32 v103, 16, v87
	v_lshrrev_b32_e32 v107, 16, v91
	v_cndmask_b32_e64 v113, v115, v83, s15
	v_cndmask_b32_e64 v82, v94, v87, s5
	;; [unrolled: 1-line block ×7, first 2 shown]
	v_cndmask_b32_e32 v90, v102, v95, vcc_lo
	v_cndmask_b32_e32 v102, v106, v99, vcc_lo
	v_cndmask_b32_e64 v106, v110, v95, s13
	v_cndmask_b32_e64 v110, v111, v99, s13
	;; [unrolled: 1-line block ×4, first 2 shown]
	v_lshrrev_b32_e32 v96, 16, v80
	v_lshrrev_b32_e32 v100, 16, v84
	v_cndmask_b32_e64 v111, v112, v95, s17
	v_cndmask_b32_e64 v112, v113, v99, s17
	v_cndmask_b32_e32 v82, v82, v103, vcc_lo
	v_cndmask_b32_e32 v83, v83, v107, vcc_lo
	v_cndmask_b32_e64 v94, v94, v103, s13
	v_cndmask_b32_e64 v90, v90, v80, s3
	;; [unrolled: 1-line block ×7, first 2 shown]
	v_lshrrev_b32_e32 v104, 16, v88
	v_cndmask_b32_e64 v106, v111, v80, s21
	v_cndmask_b32_e64 v110, v112, v84, s21
	;; [unrolled: 1-line block ×11, first 2 shown]
	v_lshrrev_b32_e32 v97, 16, v81
	v_lshrrev_b32_e32 v101, 16, v85
	v_cndmask_b32_e64 v99, v106, v96, s23
	v_cndmask_b32_e64 v102, v110, v100, s23
	;; [unrolled: 1-line block ×7, first 2 shown]
	v_lshrrev_b32_e32 v105, 16, v89
	v_cndmask_b32_e64 v80, v80, v104, s6
	v_cndmask_b32_e64 v84, v84, v81, s7
	;; [unrolled: 1-line block ×16, first 2 shown]
	v_perm_b32 v81, v79, v78, 0x5040100
	v_perm_b32 v79, v95, v85, 0x5040100
	v_cndmask_b32_e64 v78, v119, v91, s15
	v_cndmask_b32_e64 v85, v117, v91, s12
	;; [unrolled: 1-line block ×3, first 2 shown]
	v_perm_b32 v80, v94, v90, 0x5040100
	v_cndmask_b32_e64 v90, v98, v103, s17
	v_cndmask_b32_e64 v86, v86, v103, s18
	v_cndmask_b32_e64 v87, v87, v107, s18
	v_cndmask_b32_e64 v78, v78, v107, s17
	v_cndmask_b32_e64 v85, v85, v107, s13
	v_lshrrev_b32_e32 v108, 16, v92
	v_cndmask_b32_e64 v90, v90, v88, s21
	v_cndmask_b32_e64 v86, v86, v88, s22
	v_cndmask_b32_e64 v87, v87, v92, s22
	v_cndmask_b32_e64 v78, v78, v92, s21
	v_cndmask_b32_e64 v85, v85, v92, s19
	v_cndmask_b32_e64 v82, v82, v108, s6
	v_cndmask_b32_e64 v88, v90, v104, s23
	v_cndmask_b32_e64 v86, v86, v104, s24
	v_cndmask_b32_e64 v87, v87, v108, s24
	v_cndmask_b32_e64 v78, v78, v108, s23
	v_cndmask_b32_e64 v85, v85, v108, s20
	v_lshrrev_b32_e32 v109, 16, v93
	v_cndmask_b32_e64 v82, v82, v93, s7
	v_cndmask_b32_e64 v88, v88, v89, s26
	v_cndmask_b32_e64 v86, v86, v89, s27
	v_cndmask_b32_e64 v87, v87, v93, s27
	v_cndmask_b32_e64 v78, v78, v93, s26
	v_cndmask_b32_e64 v85, v85, v93, s25
	v_cndmask_b32_e64 v88, v88, v105, s28
	v_cndmask_b32_e64 v86, v86, v105, s29
	v_cndmask_b32_e64 v87, v87, v109, s29
	v_cndmask_b32_e64 v89, v78, v109, s28
	v_cndmask_b32_e64 v90, v85, v109, s30
	v_cndmask_b32_e64 v82, v82, v109, s8
	v_perm_b32 v78, v84, v83, 0x5040100
	v_perm_b32 v85, v87, v86, 0x5040100
	;; [unrolled: 1-line block ×5, first 2 shown]
	s_mul_i32 s8, s33, 9
	s_mov_b32 s3, exec_lo
	ds_store_b128 v74, v[78:81]
	ds_store_b128 v74, v[82:85] offset:1024
	v_cmpx_gt_u32_e32 9, v0
	s_cbranch_execz .LBB938_14
; %bb.13:
	s_mul_i32 s4, s8, s34
	s_delay_alu instid0(SALU_CYCLE_1) | instskip(SKIP_1) | instid1(VALU_DEP_1)
	v_add3_u32 v68, s4, s31, v68
	s_load_b128 s[4:7], s[0:1], 0x58
	v_mad_u64_u32 v[78:79], null, v68, s35, s[14:15]
	s_delay_alu instid0(VALU_DEP_1) | instskip(NEXT) | instid1(VALU_DEP_1)
	v_ashrrev_i32_e32 v79, 31, v78
	v_lshlrev_b64 v[78:79], 2, v[78:79]
	s_waitcnt lgkmcnt(0)
	s_delay_alu instid0(VALU_DEP_1) | instskip(NEXT) | instid1(VALU_DEP_2)
	v_add_co_u32 v80, vcc_lo, s6, v78
	v_add_co_ci_u32_e32 v81, vcc_lo, s7, v79, vcc_lo
	v_add_co_u32 v78, vcc_lo, s4, v78
	v_add_co_ci_u32_e32 v79, vcc_lo, s5, v79, vcc_lo
	global_store_b32 v[80:81], v76, off
	global_store_b32 v[78:79], v77, off
.LBB938_14:
	s_or_b32 exec_lo, exec_lo, s3
	s_waitcnt lgkmcnt(0)
	s_waitcnt_vscnt null, 0x0
	s_barrier
	buffer_gl0_inv
	ds_load_b128 v[84:87], v73
	ds_load_b128 v[88:91], v73 offset:16
	ds_load_b128 v[96:99], v73 offset:2064
	;; [unrolled: 1-line block ×5, first 2 shown]
	v_cmp_eq_u32_e32 vcc_lo, 1, v70
	v_mov_b32_e32 v76, 0
	ds_load_b128 v[112:115], v73 offset:6160
	ds_load_b128 v[108:111], v73 offset:6144
	;; [unrolled: 1-line block ×4, first 2 shown]
	v_cmp_eq_u32_e64 s4, 1, v69
	v_cmp_eq_u32_e64 s3, 1, v72
	;; [unrolled: 1-line block ×3, first 2 shown]
	v_mov_b32_e32 v77, v76
	v_mov_b32_e32 v78, v76
	;; [unrolled: 1-line block ×7, first 2 shown]
	v_cmp_eq_u32_e64 s6, 3, v72
	v_cmp_eq_u32_e64 s7, 7, v72
	s_waitcnt lgkmcnt(8)
	s_delay_alu instid0(VALU_DEP_3)
	v_wmma_f32_16x16x16_f16 v[76:83], v[49:56], v[84:91], v[76:83]
	ds_load_b128 v[53:56], v73 offset:10256
	ds_load_b128 v[49:52], v73 offset:10240
	s_waitcnt lgkmcnt(8)
	v_wmma_f32_16x16x16_f16 v[76:83], v[41:48], v[92:99], v[76:83]
	ds_load_b128 v[45:48], v73 offset:12304
	ds_load_b128 v[41:44], v73 offset:12288
	s_waitcnt lgkmcnt(8)
	v_wmma_f32_16x16x16_f16 v[76:83], v[33:40], v[100:107], v[76:83]
	ds_load_b128 v[37:40], v73 offset:14352
	ds_load_b128 v[33:36], v73 offset:14336
	s_waitcnt lgkmcnt(0)
	s_barrier
	buffer_gl0_inv
	v_wmma_f32_16x16x16_f16 v[76:83], v[1:8], v[108:115], v[76:83]
	s_delay_alu instid0(VALU_DEP_1) | instskip(NEXT) | instid1(VALU_DEP_1)
	v_wmma_f32_16x16x16_f16 v[76:83], v[9:16], v[116:123], v[76:83]
	v_wmma_f32_16x16x16_f16 v[76:83], v[17:24], v[49:56], v[76:83]
	s_delay_alu instid0(VALU_DEP_1) | instskip(NEXT) | instid1(VALU_DEP_1)
	v_wmma_f32_16x16x16_f16 v[76:83], v[25:32], v[41:48], v[76:83]
	v_wmma_f32_16x16x16_f16 v[76:83], v[57:64], v[33:40], v[76:83]
	s_delay_alu instid0(VALU_DEP_1) | instskip(NEXT) | instid1(VALU_DEP_2)
	v_cvt_f16_f32_e32 v1, v76
	v_cvt_f16_f32_e32 v2, v77
	s_delay_alu instid0(VALU_DEP_3) | instskip(NEXT) | instid1(VALU_DEP_4)
	v_cvt_f16_f32_e32 v3, v78
	v_cvt_f16_f32_e32 v4, v79
	v_cvt_f16_f32_e32 v5, v80
	v_cvt_f16_f32_e32 v6, v81
	v_cvt_f16_f32_e32 v7, v82
	v_cvt_f16_f32_e32 v8, v83
	v_pack_b32_f16 v1, v1, v2
	v_pack_b32_f16 v2, v3, v4
	;; [unrolled: 1-line block ×3, first 2 shown]
	s_delay_alu instid0(VALU_DEP_4)
	v_pack_b32_f16 v4, v7, v8
	ds_store_b128 v74, v[1:4]
	s_waitcnt lgkmcnt(0)
	s_barrier
	buffer_gl0_inv
	ds_load_b128 v[1:4], v75
	ds_load_b128 v[5:8], v75 offset:16
	s_waitcnt lgkmcnt(1)
	v_lshrrev_b32_e32 v9, 16, v1
	s_waitcnt lgkmcnt(0)
	v_lshrrev_b32_e32 v13, 16, v5
	v_lshrrev_b32_e32 v10, 16, v2
	;; [unrolled: 1-line block ×4, first 2 shown]
	v_cndmask_b32_e32 v17, v1, v9, vcc_lo
	v_cndmask_b32_e32 v18, v5, v13, vcc_lo
	v_cndmask_b32_e64 v21, v1, v9, s4
	v_cmp_eq_u32_e32 vcc_lo, 1, v71
	v_cndmask_b32_e64 v22, v5, v13, s4
	v_cmp_eq_u32_e64 s4, 2, v70
	v_cndmask_b32_e64 v19, v1, v9, s3
	v_cndmask_b32_e64 v20, v5, v13, s3
	v_cndmask_b32_e32 v1, v1, v9, vcc_lo
	v_cmp_eq_u32_e64 s3, 2, v71
	v_cndmask_b32_e32 v5, v5, v13, vcc_lo
	v_cndmask_b32_e64 v9, v17, v2, s4
	v_cmp_eq_u32_e32 vcc_lo, 3, v70
	v_cndmask_b32_e64 v13, v18, v6, s4
	v_cmp_eq_u32_e64 s4, 2, v69
	v_cndmask_b32_e64 v17, v19, v2, s5
	v_cndmask_b32_e64 v18, v20, v6, s5
	v_cmp_eq_u32_e64 s5, 3, v69
	v_cndmask_b32_e64 v1, v1, v2, s3
	v_cndmask_b32_e64 v19, v21, v2, s4
	;; [unrolled: 1-line block ×4, first 2 shown]
	v_cndmask_b32_e32 v5, v9, v10, vcc_lo
	v_cndmask_b32_e32 v6, v13, v14, vcc_lo
	v_cmp_eq_u32_e32 vcc_lo, 3, v71
	v_cndmask_b32_e64 v9, v17, v10, s6
	v_cndmask_b32_e64 v13, v18, v14, s6
	;; [unrolled: 1-line block ×3, first 2 shown]
	v_cmp_eq_u32_e64 s4, 4, v70
	v_cndmask_b32_e32 v1, v1, v10, vcc_lo
	v_cndmask_b32_e32 v2, v2, v14, vcc_lo
	v_cmp_eq_u32_e32 vcc_lo, 4, v72
	v_lshrrev_b32_e32 v15, 16, v7
	v_lshrrev_b32_e32 v16, 16, v8
	v_cndmask_b32_e64 v17, v19, v10, s5
	v_cmp_eq_u32_e64 s3, 4, v71
	v_cndmask_b32_e64 v5, v5, v3, s4
	v_cndmask_b32_e64 v6, v6, v7, s4
	v_cndmask_b32_e32 v9, v9, v3, vcc_lo
	v_cmp_eq_u32_e64 s4, 5, v72
	v_cndmask_b32_e32 v10, v13, v7, vcc_lo
	v_cmp_eq_u32_e32 vcc_lo, 4, v69
	v_cmp_eq_u32_e64 s5, 5, v70
	v_cndmask_b32_e64 v2, v2, v7, s3
	v_cndmask_b32_e64 v9, v9, v11, s4
	;; [unrolled: 1-line block ×3, first 2 shown]
	v_cndmask_b32_e32 v13, v17, v3, vcc_lo
	v_cmp_eq_u32_e64 s4, 5, v69
	v_cndmask_b32_e32 v14, v18, v7, vcc_lo
	v_cndmask_b32_e64 v1, v1, v3, s3
	v_cmp_eq_u32_e32 vcc_lo, 5, v71
	v_lshrrev_b32_e32 v12, 16, v4
	v_cndmask_b32_e64 v13, v13, v11, s4
	v_cndmask_b32_e64 v3, v14, v15, s4
	v_cmp_eq_u32_e64 s4, 6, v71
	v_cndmask_b32_e32 v1, v1, v11, vcc_lo
	v_cndmask_b32_e64 v5, v5, v11, s5
	v_cmp_eq_u32_e64 s6, 6, v70
	v_cndmask_b32_e64 v6, v6, v15, s5
	v_cmp_eq_u32_e64 s5, 6, v72
	v_cmp_eq_u32_e64 s3, 6, v69
	v_cndmask_b32_e64 v1, v1, v4, s4
	v_cndmask_b32_e32 v2, v2, v15, vcc_lo
	v_cmp_eq_u32_e32 vcc_lo, 7, v71
	v_cndmask_b32_e64 v5, v5, v4, s6
	v_cndmask_b32_e64 v9, v9, v4, s5
	;; [unrolled: 1-line block ×3, first 2 shown]
	v_cmp_eq_u32_e64 s6, 7, v70
	v_cndmask_b32_e32 v1, v1, v12, vcc_lo
	v_cndmask_b32_e64 v7, v13, v4, s3
	v_cndmask_b32_e64 v3, v3, v8, s3
	;; [unrolled: 1-line block ×3, first 2 shown]
	v_cmp_eq_u32_e64 s3, 7, v69
	v_cndmask_b32_e64 v4, v10, v8, s5
	v_cndmask_b32_e64 v5, v5, v12, s6
	;; [unrolled: 1-line block ×3, first 2 shown]
	v_cndmask_b32_e32 v2, v2, v16, vcc_lo
	v_cndmask_b32_e64 v7, v7, v12, s3
	v_cndmask_b32_e64 v3, v3, v16, s3
	v_cndmask_b32_e64 v8, v4, v16, s7
	v_cndmask_b32_e64 v6, v6, v16, s6
	v_perm_b32 v4, v2, v1, 0x5040100
	s_mov_b32 s3, exec_lo
	v_perm_b32 v3, v3, v7, 0x5040100
	v_perm_b32 v2, v8, v9, 0x5040100
	;; [unrolled: 1-line block ×3, first 2 shown]
	ds_store_b128 v74, v[1:4]
	s_waitcnt lgkmcnt(0)
	s_barrier
	buffer_gl0_inv
	v_cmpx_gt_u32_e32 32, v0
	s_cbranch_execz .LBB938_2
; %bb.15:
	s_load_b64 s[4:5], s[0:1], 0x68
	v_lshlrev_b32_e32 v0, 10, v0
	v_lshlrev_b32_e32 v1, 4, v67
	s_lshl_b32 s0, s35, 7
	v_add_nc_u32_e32 v2, s31, v66
	s_mul_i32 s1, s0, s34
	s_delay_alu instid0(SALU_CYCLE_1) | instskip(SKIP_1) | instid1(VALU_DEP_2)
	s_mul_i32 s6, s1, s8
	v_and_or_b32 v0, 0x3800, v0, v1
	v_mul_lo_u32 v1, v2, s0
	s_ashr_i32 s7, s6, 31
	v_add_nc_u32_e32 v3, 2, v2
	s_lshl_b64 s[6:7], s[6:7], 1
	v_add_nc_u32_e32 v4, 4, v2
	v_add_nc_u32_e32 v5, 6, v2
	v_lshl_or_b32 v15, v66, 6, v0
	v_mul_lo_u32 v3, v3, s0
	v_ashrrev_i32_e32 v2, 31, v1
	v_mul_lo_u32 v19, v4, s0
	v_mul_lo_u32 v21, v5, s0
	s_waitcnt lgkmcnt(0)
	s_add_u32 s1, s4, s6
	s_addc_u32 s3, s5, s7
	s_lshl_b32 s4, s14, 7
	v_lshlrev_b64 v[5:6], 1, v[1:2]
	s_ashr_i32 s5, s4, 31
	v_ashrrev_i32_e32 v4, 31, v3
	s_lshl_b64 s[4:5], s[4:5], 1
	v_ashrrev_i32_e32 v20, 31, v19
	s_add_u32 s1, s1, s4
	s_addc_u32 s3, s3, s5
	v_add_co_u32 v1, s1, s1, v65
	s_delay_alu instid0(VALU_DEP_1) | instskip(SKIP_1) | instid1(VALU_DEP_3)
	v_add_co_ci_u32_e64 v2, null, s3, 0, s1
	v_lshlrev_b64 v[25:26], 1, v[3:4]
	v_add_co_u32 v23, vcc_lo, v1, v5
	s_delay_alu instid0(VALU_DEP_3)
	v_add_co_ci_u32_e32 v24, vcc_lo, v2, v6, vcc_lo
	ds_load_b128 v[3:6], v15
	ds_load_b128 v[7:10], v15 offset:128
	ds_load_b128 v[11:14], v15 offset:256
	;; [unrolled: 1-line block ×3, first 2 shown]
	v_ashrrev_i32_e32 v22, 31, v21
	v_lshlrev_b64 v[19:20], 1, v[19:20]
	v_add_co_u32 v25, vcc_lo, v1, v25
	v_add_co_ci_u32_e32 v26, vcc_lo, v2, v26, vcc_lo
	s_delay_alu instid0(VALU_DEP_4) | instskip(NEXT) | instid1(VALU_DEP_4)
	v_lshlrev_b64 v[21:22], 1, v[21:22]
	v_add_co_u32 v19, vcc_lo, v1, v19
	v_add_co_ci_u32_e32 v20, vcc_lo, v2, v20, vcc_lo
	s_delay_alu instid0(VALU_DEP_3) | instskip(NEXT) | instid1(VALU_DEP_4)
	v_add_co_u32 v21, vcc_lo, v1, v21
	v_add_co_ci_u32_e32 v22, vcc_lo, v2, v22, vcc_lo
	s_waitcnt lgkmcnt(3)
	global_store_b128 v[23:24], v[3:6], off
	s_waitcnt lgkmcnt(2)
	global_store_b128 v[25:26], v[7:10], off
	;; [unrolled: 2-line block ×4, first 2 shown]
	s_and_b32 exec_lo, exec_lo, s2
	s_cbranch_execz .LBB938_2
; %bb.16:
	ds_load_b128 v[3:6], v0 offset:512
	s_add_i32 s1, s31, 8
	s_delay_alu instid0(SALU_CYCLE_1) | instskip(NEXT) | instid1(SALU_CYCLE_1)
	s_mul_i32 s0, s1, s0
	s_ashr_i32 s1, s0, 31
	s_delay_alu instid0(SALU_CYCLE_1) | instskip(NEXT) | instid1(SALU_CYCLE_1)
	s_lshl_b64 s[0:1], s[0:1], 1
	v_add_co_u32 v0, vcc_lo, v1, s0
	v_add_co_ci_u32_e32 v1, vcc_lo, s1, v2, vcc_lo
	s_waitcnt lgkmcnt(0)
	global_store_b128 v[0:1], v[3:6], off
	s_nop 0
	s_sendmsg sendmsg(MSG_DEALLOC_VGPRS)
	s_endpgm
	.section	.rodata,"a",@progbits
	.p2align	6, 0x0
	.amdhsa_kernel _Z39paged_attention_ll4mi_QKV_mfma16_kernelIDF16_hLN4vllm18Fp8KVCacheDataTypeE1EhLi16ELi128ELi256ELb1ELi9EL8MFMAType1EEvPKT_PKT0_S8_ifPKiSA_SA_iPKfiiiPfSD_PS3_PT2_iSC_SC_
		.amdhsa_group_segment_fixed_size 17472
		.amdhsa_private_segment_fixed_size 0
		.amdhsa_kernarg_size 400
		.amdhsa_user_sgpr_count 13
		.amdhsa_user_sgpr_dispatch_ptr 0
		.amdhsa_user_sgpr_queue_ptr 0
		.amdhsa_user_sgpr_kernarg_segment_ptr 1
		.amdhsa_user_sgpr_dispatch_id 0
		.amdhsa_user_sgpr_private_segment_size 0
		.amdhsa_wavefront_size32 1
		.amdhsa_uses_dynamic_stack 0
		.amdhsa_enable_private_segment 0
		.amdhsa_system_sgpr_workgroup_id_x 1
		.amdhsa_system_sgpr_workgroup_id_y 1
		.amdhsa_system_sgpr_workgroup_id_z 1
		.amdhsa_system_sgpr_workgroup_info 0
		.amdhsa_system_vgpr_workitem_id 0
		.amdhsa_next_free_vgpr 150
		.amdhsa_next_free_sgpr 36
		.amdhsa_reserve_vcc 1
		.amdhsa_float_round_mode_32 0
		.amdhsa_float_round_mode_16_64 0
		.amdhsa_float_denorm_mode_32 3
		.amdhsa_float_denorm_mode_16_64 3
		.amdhsa_dx10_clamp 1
		.amdhsa_ieee_mode 1
		.amdhsa_fp16_overflow 0
		.amdhsa_workgroup_processor_mode 1
		.amdhsa_memory_ordered 1
		.amdhsa_forward_progress 0
		.amdhsa_shared_vgpr_count 0
		.amdhsa_exception_fp_ieee_invalid_op 0
		.amdhsa_exception_fp_denorm_src 0
		.amdhsa_exception_fp_ieee_div_zero 0
		.amdhsa_exception_fp_ieee_overflow 0
		.amdhsa_exception_fp_ieee_underflow 0
		.amdhsa_exception_fp_ieee_inexact 0
		.amdhsa_exception_int_div_zero 0
	.end_amdhsa_kernel
	.section	.text._Z39paged_attention_ll4mi_QKV_mfma16_kernelIDF16_hLN4vllm18Fp8KVCacheDataTypeE1EhLi16ELi128ELi256ELb1ELi9EL8MFMAType1EEvPKT_PKT0_S8_ifPKiSA_SA_iPKfiiiPfSD_PS3_PT2_iSC_SC_,"axG",@progbits,_Z39paged_attention_ll4mi_QKV_mfma16_kernelIDF16_hLN4vllm18Fp8KVCacheDataTypeE1EhLi16ELi128ELi256ELb1ELi9EL8MFMAType1EEvPKT_PKT0_S8_ifPKiSA_SA_iPKfiiiPfSD_PS3_PT2_iSC_SC_,comdat
.Lfunc_end938:
	.size	_Z39paged_attention_ll4mi_QKV_mfma16_kernelIDF16_hLN4vllm18Fp8KVCacheDataTypeE1EhLi16ELi128ELi256ELb1ELi9EL8MFMAType1EEvPKT_PKT0_S8_ifPKiSA_SA_iPKfiiiPfSD_PS3_PT2_iSC_SC_, .Lfunc_end938-_Z39paged_attention_ll4mi_QKV_mfma16_kernelIDF16_hLN4vllm18Fp8KVCacheDataTypeE1EhLi16ELi128ELi256ELb1ELi9EL8MFMAType1EEvPKT_PKT0_S8_ifPKiSA_SA_iPKfiiiPfSD_PS3_PT2_iSC_SC_
                                        ; -- End function
	.section	.AMDGPU.csdata,"",@progbits
; Kernel info:
; codeLenInByte = 6736
; NumSgprs: 38
; NumVgprs: 150
; ScratchSize: 0
; MemoryBound: 0
; FloatMode: 240
; IeeeMode: 1
; LDSByteSize: 17472 bytes/workgroup (compile time only)
; SGPRBlocks: 4
; VGPRBlocks: 18
; NumSGPRsForWavesPerEU: 38
; NumVGPRsForWavesPerEU: 150
; Occupancy: 9
; WaveLimiterHint : 1
; COMPUTE_PGM_RSRC2:SCRATCH_EN: 0
; COMPUTE_PGM_RSRC2:USER_SGPR: 13
; COMPUTE_PGM_RSRC2:TRAP_HANDLER: 0
; COMPUTE_PGM_RSRC2:TGID_X_EN: 1
; COMPUTE_PGM_RSRC2:TGID_Y_EN: 1
; COMPUTE_PGM_RSRC2:TGID_Z_EN: 1
; COMPUTE_PGM_RSRC2:TIDIG_COMP_CNT: 0
	.section	.text._Z39paged_attention_ll4mi_QKV_mfma16_kernelIDF16_hLN4vllm18Fp8KVCacheDataTypeE1EhLi16ELi128ELi256ELb1ELi10EL8MFMAType1EEvPKT_PKT0_S8_ifPKiSA_SA_iPKfiiiPfSD_PS3_PT2_iSC_SC_,"axG",@progbits,_Z39paged_attention_ll4mi_QKV_mfma16_kernelIDF16_hLN4vllm18Fp8KVCacheDataTypeE1EhLi16ELi128ELi256ELb1ELi10EL8MFMAType1EEvPKT_PKT0_S8_ifPKiSA_SA_iPKfiiiPfSD_PS3_PT2_iSC_SC_,comdat
	.protected	_Z39paged_attention_ll4mi_QKV_mfma16_kernelIDF16_hLN4vllm18Fp8KVCacheDataTypeE1EhLi16ELi128ELi256ELb1ELi10EL8MFMAType1EEvPKT_PKT0_S8_ifPKiSA_SA_iPKfiiiPfSD_PS3_PT2_iSC_SC_ ; -- Begin function _Z39paged_attention_ll4mi_QKV_mfma16_kernelIDF16_hLN4vllm18Fp8KVCacheDataTypeE1EhLi16ELi128ELi256ELb1ELi10EL8MFMAType1EEvPKT_PKT0_S8_ifPKiSA_SA_iPKfiiiPfSD_PS3_PT2_iSC_SC_
	.globl	_Z39paged_attention_ll4mi_QKV_mfma16_kernelIDF16_hLN4vllm18Fp8KVCacheDataTypeE1EhLi16ELi128ELi256ELb1ELi10EL8MFMAType1EEvPKT_PKT0_S8_ifPKiSA_SA_iPKfiiiPfSD_PS3_PT2_iSC_SC_
	.p2align	8
	.type	_Z39paged_attention_ll4mi_QKV_mfma16_kernelIDF16_hLN4vllm18Fp8KVCacheDataTypeE1EhLi16ELi128ELi256ELb1ELi10EL8MFMAType1EEvPKT_PKT0_S8_ifPKiSA_SA_iPKfiiiPfSD_PS3_PT2_iSC_SC_,@function
_Z39paged_attention_ll4mi_QKV_mfma16_kernelIDF16_hLN4vllm18Fp8KVCacheDataTypeE1EhLi16ELi128ELi256ELb1ELi10EL8MFMAType1EEvPKT_PKT0_S8_ifPKiSA_SA_iPKfiiiPfSD_PS3_PT2_iSC_SC_: ; @_Z39paged_attention_ll4mi_QKV_mfma16_kernelIDF16_hLN4vllm18Fp8KVCacheDataTypeE1EhLi16ELi128ELi256ELb1ELi10EL8MFMAType1EEvPKT_PKT0_S8_ifPKiSA_SA_iPKfiiiPfSD_PS3_PT2_iSC_SC_
; %bb.0:
	s_load_b64 s[4:5], s[0:1], 0x30
	s_mov_b32 s30, s13
	s_waitcnt lgkmcnt(0)
	s_cmp_lg_u64 s[4:5], 0
	s_cselect_b32 s8, -1, 0
	s_ashr_i32 s31, s13, 31
	s_cmp_eq_u64 s[4:5], 0
	s_cbranch_scc1 .LBB939_3
; %bb.1:
	s_lshl_b64 s[2:3], s[30:31], 2
	s_delay_alu instid0(SALU_CYCLE_1) | instskip(SKIP_4) | instid1(SALU_CYCLE_1)
	s_add_u32 s2, s4, s2
	s_addc_u32 s3, s5, s3
	s_load_b64 s[2:3], s[2:3], 0x0
	s_waitcnt lgkmcnt(0)
	s_sub_i32 s2, s3, s2
	s_cmp_eq_u32 s2, 1
	s_cselect_b32 s2, -1, 0
	s_delay_alu instid0(SALU_CYCLE_1)
	s_and_not1_b32 vcc_lo, exec_lo, s2
	s_cbranch_vccz .LBB939_4
.LBB939_2:
	s_endpgm
.LBB939_3:
.LBB939_4:
	s_load_b64 s[2:3], s[0:1], 0x28
	s_lshl_b64 s[6:7], s[30:31], 2
	s_waitcnt lgkmcnt(0)
	s_add_u32 s2, s2, s6
	s_addc_u32 s3, s3, s7
	s_lshl_b32 s12, s14, 8
	s_load_b32 s24, s[2:3], 0x0
	s_waitcnt lgkmcnt(0)
	s_cmp_ge_i32 s12, s24
	s_cbranch_scc1 .LBB939_2
; %bb.5:
	s_clause 0x1
	s_load_b128 s[20:23], s[0:1], 0x8
	s_load_b64 s[2:3], s[0:1], 0x20
	s_and_not1_b32 vcc_lo, exec_lo, s8
	s_cbranch_vccnz .LBB939_7
; %bb.6:
	s_add_u32 s4, s4, s6
	s_addc_u32 s5, s5, s7
	s_load_b32 s5, s[4:5], 0x0
	s_branch .LBB939_8
.LBB939_7:
	s_mov_b32 s5, s30
.LBB939_8:
	s_load_b128 s[16:19], s[0:1], 0x48
	v_and_b32_e32 v68, 15, v0
	v_lshrrev_b32_e32 v69, 5, v0
	v_and_b32_e32 v70, 31, v0
	v_and_b32_e32 v67, 1, v0
	v_bfe_u32 v66, v0, 4, 1
	v_lshlrev_b32_e32 v1, 3, v68
	s_mul_i32 s31, s15, 10
	s_mov_b32 s4, exec_lo
	s_delay_alu instid0(VALU_DEP_1)
	v_lshlrev_b32_e32 v65, 1, v1
	v_cmpx_gt_u32_e32 0xa0, v0
	s_cbranch_execz .LBB939_10
; %bb.9:
	s_load_b64 s[6:7], s[0:1], 0x0
	v_lshl_or_b32 v5, v69, 1, v66
	s_waitcnt lgkmcnt(0)
	s_mul_hi_i32 s9, s5, s16
	s_mul_i32 s8, s5, s16
	v_lshlrev_b32_e32 v6, 10, v68
	s_lshl_b64 s[8:9], s[8:9], 1
	v_add_lshl_u32 v1, v5, s31, 7
	v_lshlrev_b32_e32 v5, 6, v5
	v_lshlrev_b32_e32 v7, 10, v67
	v_and_b32_e32 v6, 0x3800, v6
	s_delay_alu instid0(VALU_DEP_4) | instskip(NEXT) | instid1(VALU_DEP_2)
	v_ashrrev_i32_e32 v2, 31, v1
	v_or3_b32 v5, v6, v7, v5
	s_delay_alu instid0(VALU_DEP_2) | instskip(SKIP_2) | instid1(VALU_DEP_1)
	v_lshlrev_b64 v[1:2], 1, v[1:2]
	s_add_u32 s5, s6, s8
	s_addc_u32 s6, s7, s9
	v_add_co_u32 v1, vcc_lo, s5, v1
	s_delay_alu instid0(VALU_DEP_2) | instskip(NEXT) | instid1(VALU_DEP_2)
	v_add_co_ci_u32_e32 v2, vcc_lo, s6, v2, vcc_lo
	v_add_co_u32 v1, vcc_lo, v1, v65
	s_delay_alu instid0(VALU_DEP_2)
	v_add_co_ci_u32_e32 v2, vcc_lo, 0, v2, vcc_lo
	global_load_b128 v[1:4], v[1:2], off
	s_waitcnt vmcnt(0)
	ds_store_b128 v5, v[1:4]
.LBB939_10:
	s_or_b32 exec_lo, exec_lo, s4
	v_and_b32_e32 v1, 0xef, v0
	s_waitcnt lgkmcnt(0)
	s_add_i32 s5, s24, 15
	s_clause 0x1
	s_load_b32 s4, s[0:1], 0x38
	s_load_b32 s33, s[0:1], 0x98
	s_ashr_i32 s6, s5, 31
	v_add_nc_u32_e32 v1, s12, v1
	s_lshr_b32 s6, s6, 28
	s_load_b32 s19, s[0:1], 0x1c
	s_add_i32 s5, s5, s6
	s_waitcnt lgkmcnt(0)
	v_ashrrev_i32_e32 v2, 31, v1
	v_or_b32_e32 v3, 16, v1
	s_ashr_i32 s13, s5, 4
	v_cmp_gt_i32_e32 vcc_lo, s24, v1
	s_add_i32 s13, s13, -1
	v_lshrrev_b32_e32 v2, 28, v2
	s_barrier
	buffer_gl0_inv
	s_mul_i32 s15, s15, s18
	v_add_nc_u32_e32 v4, v1, v2
	s_mul_i32 s4, s30, s4
	s_delay_alu instid0(SALU_CYCLE_1) | instskip(NEXT) | instid1(VALU_DEP_1)
	s_ashr_i32 s5, s4, 31
	v_ashrrev_i32_e32 v4, 4, v4
	v_add_nc_u32_e32 v2, v3, v2
	s_lshl_b64 s[4:5], s[4:5], 2
	s_delay_alu instid0(SALU_CYCLE_1) | instskip(NEXT) | instid1(VALU_DEP_2)
	s_add_u32 s16, s2, s4
	v_cndmask_b32_e32 v1, s13, v4, vcc_lo
	s_delay_alu instid0(VALU_DEP_2)
	v_ashrrev_i32_e32 v2, 4, v2
	v_cmp_gt_i32_e32 vcc_lo, s24, v3
	s_addc_u32 s25, s3, s5
	s_ashr_i32 s18, s15, 31
	s_add_u32 s26, s20, s15
	s_addc_u32 s27, s21, s18
	v_cndmask_b32_e32 v3, s13, v2, vcc_lo
	v_ashrrev_i32_e32 v2, 31, v1
	s_lshl_b32 s2, s14, 4
	s_delay_alu instid0(SALU_CYCLE_1) | instskip(NEXT) | instid1(VALU_DEP_2)
	s_ashr_i32 s3, s2, 31
	v_ashrrev_i32_e32 v4, 31, v3
	s_delay_alu instid0(VALU_DEP_2) | instskip(SKIP_1) | instid1(SALU_CYCLE_1)
	v_lshlrev_b64 v[1:2], 2, v[1:2]
	s_lshl_b64 s[2:3], s[2:3], 2
	s_add_u32 s2, s16, s2
	s_delay_alu instid0(VALU_DEP_2) | instskip(SKIP_1) | instid1(VALU_DEP_2)
	v_lshlrev_b64 v[3:4], 2, v[3:4]
	s_addc_u32 s3, s25, s3
	v_add_co_u32 v1, vcc_lo, s16, v1
	v_add_co_ci_u32_e32 v2, vcc_lo, s25, v2, vcc_lo
	s_delay_alu instid0(VALU_DEP_3) | instskip(NEXT) | instid1(VALU_DEP_4)
	v_add_co_u32 v3, vcc_lo, s16, v3
	v_add_co_ci_u32_e32 v4, vcc_lo, s25, v4, vcc_lo
	s_clause 0x1
	global_load_b32 v5, v[1:2], off
	global_load_b32 v7, v[3:4], off
	s_or_b32 s4, s12, 32
	v_lshlrev_b32_e32 v1, 4, v0
	s_ashr_i32 s5, s4, 4
	s_cmp_lt_i32 s4, s24
	v_cmp_gt_u32_e32 vcc_lo, 10, v68
	s_cselect_b32 s4, s5, s13
	v_and_b32_e32 v1, 0xf0, v1
	s_ashr_i32 s5, s4, 31
	s_delay_alu instid0(SALU_CYCLE_1) | instskip(NEXT) | instid1(SALU_CYCLE_1)
	s_lshl_b64 s[4:5], s[4:5], 2
	s_add_u32 s4, s16, s4
	s_addc_u32 s5, s25, s5
	s_or_b32 s6, s12, 64
	v_add_co_u32 v1, s26, s26, v1
	s_ashr_i32 s7, s6, 4
	s_cmp_lt_i32 s6, s24
	v_add_co_ci_u32_e64 v2, null, s27, 0, s26
	s_cselect_b32 s6, s7, s13
	s_delay_alu instid0(SALU_CYCLE_1) | instskip(NEXT) | instid1(SALU_CYCLE_1)
	s_ashr_i32 s7, s6, 31
	s_lshl_b64 s[6:7], s[6:7], 2
	s_delay_alu instid0(SALU_CYCLE_1) | instskip(SKIP_2) | instid1(SALU_CYCLE_1)
	s_add_u32 s6, s16, s6
	s_addc_u32 s7, s25, s7
	s_or_b32 s8, s12, 0x60
	s_ashr_i32 s9, s8, 4
	s_cmp_lt_i32 s8, s24
	s_cselect_b32 s8, s9, s13
	s_delay_alu instid0(SALU_CYCLE_1) | instskip(NEXT) | instid1(SALU_CYCLE_1)
	s_ashr_i32 s9, s8, 31
	s_lshl_b64 s[8:9], s[8:9], 2
	s_delay_alu instid0(SALU_CYCLE_1) | instskip(SKIP_2) | instid1(SALU_CYCLE_1)
	s_add_u32 s8, s16, s8
	s_addc_u32 s9, s25, s9
	s_or_b32 s10, s12, 0x80
	s_ashr_i32 s11, s10, 4
	s_cmp_lt_i32 s10, s24
	;; [unrolled: 10-line block ×3, first 2 shown]
	s_cselect_b32 s20, s21, s13
	s_delay_alu instid0(SALU_CYCLE_1) | instskip(NEXT) | instid1(SALU_CYCLE_1)
	s_ashr_i32 s21, s20, 31
	s_lshl_b64 s[20:21], s[20:21], 2
	s_delay_alu instid0(SALU_CYCLE_1)
	s_add_u32 s20, s16, s20
	s_addc_u32 s21, s25, s21
	s_clause 0x5
	s_load_b32 s26, s[2:3], 0x0
	s_load_b32 s27, s[4:5], 0x0
	;; [unrolled: 1-line block ×6, first 2 shown]
	s_or_b32 s2, s12, 0xc0
	s_mov_b32 s4, 0
	s_ashr_i32 s3, s2, 4
	s_cmp_lt_i32 s2, s24
	s_mov_b32 s11, s4
	s_cselect_b32 s2, s3, s13
	s_mov_b32 s5, s4
	s_ashr_i32 s3, s2, 31
	s_mov_b32 s6, s4
	s_lshl_b64 s[2:3], s[2:3], 2
	s_mov_b32 s7, s4
	s_add_u32 s2, s16, s2
	s_addc_u32 s3, s25, s3
	s_or_b32 s20, s12, 0xe0
	s_mov_b32 s8, s4
	s_ashr_i32 s21, s20, 4
	s_cmp_lt_i32 s20, s24
	s_mov_b32 s9, s4
	s_cselect_b32 s20, s21, s13
	s_mov_b32 s10, s4
	s_ashr_i32 s21, s20, 31
	v_mov_b32_e32 v118, s11
	v_dual_mov_b32 v112, s5 :: v_dual_mov_b32 v117, s10
	v_dual_mov_b32 v116, s9 :: v_dual_mov_b32 v115, s8
	v_dual_mov_b32 v114, s7 :: v_dual_mov_b32 v113, s6
	v_mov_b32_e32 v111, s4
	s_lshl_b64 s[4:5], s[20:21], 2
	s_delay_alu instid0(SALU_CYCLE_1)
	s_add_u32 s4, s16, s4
	s_addc_u32 s5, s25, s5
	s_add_u32 s6, s22, s15
	s_addc_u32 s7, s23, s18
	s_waitcnt vmcnt(1)
	v_mad_i64_i32 v[3:4], null, v5, s17, v[1:2]
	s_waitcnt vmcnt(0)
	v_mad_i64_i32 v[5:6], null, v7, s17, v[1:2]
	v_add_nc_u32_e32 v1, -10, v68
	v_lshlrev_b32_e32 v2, 4, v68
	s_clause 0xf
	global_load_b128 v[17:20], v[3:4], off
	global_load_b128 v[21:24], v[3:4], off offset:256
	global_load_b128 v[25:28], v[5:6], off
	global_load_b128 v[29:32], v[5:6], off offset:256
	global_load_b128 v[57:60], v[3:4], off offset:512
	;; [unrolled: 1-line block ×13, first 2 shown]
	v_cndmask_b32_e32 v1, v1, v68, vcc_lo
	s_delay_alu instid0(VALU_DEP_1)
	v_lshlrev_b32_e32 v149, 6, v1
	v_lshl_or_b32 v1, v69, 8, v2
	ds_load_b128 v[119:122], v149
	ds_load_b128 v[123:126], v149 offset:1024
	ds_load_b128 v[127:130], v149 offset:2048
	;; [unrolled: 1-line block ×3, first 2 shown]
	s_clause 0x1
	s_load_b32 s2, s[2:3], 0x0
	s_load_b32 s3, s[4:5], 0x0
	v_add_co_u32 v135, s6, s6, v1
	s_delay_alu instid0(VALU_DEP_1) | instskip(SKIP_1) | instid1(VALU_DEP_1)
	v_add_co_ci_u32_e64 v136, null, s7, 0, s6
	s_waitcnt lgkmcnt(0)
	v_mad_i64_i32 v[1:2], null, s26, s17, v[135:136]
	v_mad_i64_i32 v[3:4], null, s27, s17, v[135:136]
	;; [unrolled: 1-line block ×6, first 2 shown]
	s_clause 0x9
	global_load_b128 v[49:52], v[1:2], off
	global_load_b128 v[53:56], v[1:2], off offset:16
	global_load_b128 v[41:44], v[3:4], off
	global_load_b128 v[45:48], v[3:4], off offset:16
	;; [unrolled: 2-line block ×5, first 2 shown]
	v_mad_i64_i32 v[145:146], null, s2, s17, v[135:136]
	v_mad_i64_i32 v[147:148], null, s3, s17, v[135:136]
	s_waitcnt vmcnt(24)
	v_wmma_f32_16x16x16_f16 v[135:142], v[17:24], v[119:126], v[111:118]
	s_waitcnt vmcnt(22)
	v_wmma_f32_16x16x16_f16 v[111:118], v[25:32], v[119:126], v[111:118]
	s_clause 0x3
	global_load_b128 v[17:20], v[143:144], off
	global_load_b128 v[21:24], v[143:144], off offset:16
	global_load_b128 v[25:28], v[145:146], off
	global_load_b128 v[29:32], v[145:146], off offset:16
	v_and_b32_e32 v119, 0xe0, v0
	s_waitcnt vmcnt(24)
	v_wmma_f32_16x16x16_f16 v[135:142], v[57:64], v[127:134], v[135:142]
	s_clause 0x1
	global_load_b128 v[57:60], v[147:148], off
	global_load_b128 v[61:64], v[147:148], off offset:16
	s_waitcnt vmcnt(24)
	v_wmma_f32_16x16x16_f16 v[111:118], v[71:78], v[127:134], v[111:118]
	ds_load_b128 v[71:74], v149 offset:4096
	ds_load_b128 v[75:78], v149 offset:5120
	v_add_nc_u32_e32 v128, s12, v119
	ds_load_b128 v[119:122], v149 offset:6144
	ds_load_b128 v[123:126], v149 offset:7168
	v_mbcnt_lo_u32_b32 v127, -1, 0
	s_waitcnt vmcnt(0) lgkmcnt(0)
	s_barrier
	v_or_b32_e32 v128, v128, v66
	buffer_gl0_inv
	v_xor_b32_e32 v129, 16, v127
	v_or_b32_e32 v130, 4, v128
	v_or_b32_e32 v131, 6, v128
	s_delay_alu instid0(VALU_DEP_3) | instskip(SKIP_4) | instid1(VALU_DEP_4)
	v_cmp_gt_i32_e32 vcc_lo, 32, v129
	v_or_b32_e32 v132, 8, v128
	v_or_b32_e32 v133, 10, v128
	v_cmp_gt_i32_e64 s3, s24, v130
	v_cmp_gt_i32_e64 s4, s24, v131
	;; [unrolled: 1-line block ×3, first 2 shown]
	v_wmma_f32_16x16x16_f16 v[135:142], v[79:86], v[71:78], v[135:142]
	v_wmma_f32_16x16x16_f16 v[111:118], v[87:94], v[71:78], v[111:118]
	v_or_b32_e32 v79, 12, v128
	v_or_b32_e32 v80, 14, v128
	v_cmp_gt_i32_e64 s6, s24, v133
	v_wmma_f32_16x16x16_f16 v[135:142], v[95:102], v[119:126], v[135:142]
	v_wmma_f32_16x16x16_f16 v[111:118], v[103:110], v[119:126], v[111:118]
	v_cndmask_b32_e32 v127, v127, v129, vcc_lo
	v_or_b32_e32 v129, 2, v128
	v_cmp_gt_i32_e32 vcc_lo, s24, v128
	v_mul_f32_e32 v88, s19, v135
	v_dual_mul_f32 v92, s19, v115 :: v_dual_mul_f32 v87, s19, v136
	s_delay_alu instid0(VALU_DEP_4)
	v_cmp_gt_i32_e64 s2, s24, v129
	v_mul_f32_e32 v78, s19, v138
	v_mul_f32_e32 v86, s19, v137
	v_cndmask_b32_e32 v88, 0xff7fffff, v88, vcc_lo
	v_mul_f32_e32 v76, s19, v140
	v_cndmask_b32_e64 v87, 0xff7fffff, v87, s2
	v_dual_mul_f32 v77, s19, v139 :: v_dual_mul_f32 v94, s19, v113
	v_cndmask_b32_e64 v86, 0xff7fffff, v86, s3
	v_cndmask_b32_e64 v78, 0xff7fffff, v78, s4
	s_delay_alu instid0(VALU_DEP_4)
	v_max3_f32 v87, v88, 0xff7fffff, v87
	v_or_b32_e32 v81, 16, v128
	v_or_b32_e32 v82, 18, v128
	v_dual_mul_f32 v74, s19, v142 :: v_dual_mul_f32 v75, s19, v141
	v_mul_f32_e32 v96, s19, v111
	v_cndmask_b32_e64 v77, 0xff7fffff, v77, s5
	v_cndmask_b32_e64 v76, 0xff7fffff, v76, s6
	v_max3_f32 v78, v87, v86, v78
	v_cmp_gt_i32_e64 s7, s24, v79
	v_cmp_gt_i32_e64 s8, s24, v80
	v_or_b32_e32 v83, 20, v128
	v_or_b32_e32 v84, 22, v128
	v_mul_f32_e32 v95, s19, v112
	v_cndmask_b32_e64 v75, 0xff7fffff, v75, s7
	v_cndmask_b32_e64 v74, 0xff7fffff, v74, s8
	v_max3_f32 v76, v78, v77, v76
	v_cmp_gt_i32_e64 s9, s24, v81
	v_cmp_gt_i32_e64 s10, s24, v82
	v_or_b32_e32 v85, 24, v128
	v_or_b32_e32 v71, 26, v128
	;; [unrolled: 8-line block ×3, first 2 shown]
	v_mul_f32_e32 v91, s19, v116
	v_cndmask_b32_e64 v75, 0xff7fffff, v94, s11
	v_cndmask_b32_e64 v76, 0xff7fffff, v93, s12
	v_max3_f32 v74, v74, v77, v78
	v_cmp_gt_i32_e64 s13, s24, v85
	v_cmp_gt_i32_e64 s15, s24, v71
	v_dual_mul_f32 v89, s19, v118 :: v_dual_mul_f32 v90, s19, v117
	s_delay_alu instid0(VALU_DEP_4) | instskip(NEXT) | instid1(VALU_DEP_4)
	v_max3_f32 v74, v74, v75, v76
	v_cndmask_b32_e64 v77, 0xff7fffff, v92, s13
	s_delay_alu instid0(VALU_DEP_4) | instskip(SKIP_2) | instid1(VALU_DEP_3)
	v_cndmask_b32_e64 v71, 0xff7fffff, v91, s15
	v_cmp_gt_i32_e64 s16, s24, v72
	v_cmp_gt_i32_e64 s17, s24, v73
	v_max3_f32 v71, v74, v77, v71
	s_delay_alu instid0(VALU_DEP_3) | instskip(NEXT) | instid1(VALU_DEP_3)
	v_cndmask_b32_e64 v72, 0xff7fffff, v90, s16
	v_cndmask_b32_e64 v73, 0xff7fffff, v89, s17
	v_lshlrev_b32_e32 v74, 2, v127
	s_delay_alu instid0(VALU_DEP_2) | instskip(SKIP_3) | instid1(VALU_DEP_1)
	v_max3_f32 v71, v71, v72, v73
	ds_bpermute_b32 v72, v74, v71
	s_waitcnt lgkmcnt(0)
	v_max_f32_e32 v72, v72, v72
	v_max_f32_e32 v71, v71, v72
	s_delay_alu instid0(VALU_DEP_1) | instskip(SKIP_4) | instid1(VALU_DEP_4)
	v_fma_f32 v72, s19, v135, -v71
	v_fma_f32 v73, s19, v136, -v71
	;; [unrolled: 1-line block ×5, first 2 shown]
	v_dual_mul_f32 v72, 0x3fb8aa3b, v72 :: v_dual_mul_f32 v73, 0x3fb8aa3b, v73
	v_fma_f32 v80, s19, v141, -v71
	s_delay_alu instid0(VALU_DEP_3) | instskip(NEXT) | instid1(VALU_DEP_3)
	v_dual_mul_f32 v76, 0x3fb8aa3b, v76 :: v_dual_mul_f32 v77, 0x3fb8aa3b, v77
	v_exp_f32_e32 v72, v72
	s_delay_alu instid0(VALU_DEP_3) | instskip(NEXT) | instid1(VALU_DEP_2)
	v_exp_f32_e32 v73, v73
	v_mul_f32_e32 v82, 0x3fb8aa3b, v80
	s_delay_alu instid0(VALU_DEP_2) | instskip(SKIP_1) | instid1(VALU_DEP_1)
	v_exp_f32_e32 v76, v76
	v_exp_f32_e32 v77, v77
	;; [unrolled: 1-line block ×3, first 2 shown]
	v_cndmask_b32_e32 v79, 0, v72, vcc_lo
	v_fma_f32 v72, s19, v140, -v71
	v_mul_f32_e32 v75, 0x3fb8aa3b, v75
	v_cndmask_b32_e64 v78, 0, v73, s2
	s_delay_alu instid0(TRANS32_DEP_3) | instskip(NEXT) | instid1(VALU_DEP_4)
	v_cndmask_b32_e64 v80, 0, v76, s4
	v_dual_add_f32 v73, 0, v79 :: v_dual_mul_f32 v72, 0x3fb8aa3b, v72
	s_delay_alu instid0(VALU_DEP_4) | instskip(NEXT) | instid1(TRANS32_DEP_3)
	v_exp_f32_e32 v75, v75
	v_cndmask_b32_e64 v83, 0, v77, s5
	s_delay_alu instid0(TRANS32_DEP_2) | instskip(NEXT) | instid1(VALU_DEP_3)
	v_cndmask_b32_e64 v85, 0, v84, s7
	v_add_f32_e32 v73, v73, v78
	v_exp_f32_e32 v72, v72
	s_mov_b32 s2, exec_lo
	s_waitcnt_depctr 0xfff
	v_cndmask_b32_e64 v81, 0, v75, s3
	v_cndmask_b32_e64 v82, 0, v72, s6
	s_delay_alu instid0(VALU_DEP_2) | instskip(NEXT) | instid1(VALU_DEP_1)
	v_add_f32_e32 v73, v73, v81
	v_add_f32_e32 v73, v73, v80
	s_delay_alu instid0(VALU_DEP_1) | instskip(NEXT) | instid1(VALU_DEP_1)
	v_add_f32_e32 v72, v73, v83
	v_add_f32_e32 v72, v72, v82
	s_delay_alu instid0(VALU_DEP_1)
	v_add_f32_e32 v72, v72, v85
	v_fma_f32 v76, s19, v111, -v71
	v_fma_f32 v75, s19, v142, -v71
	v_fma_f32 v86, s19, v114, -v71
	v_fma_f32 v77, s19, v112, -v71
	v_fma_f32 v73, s19, v113, -v71
	v_mul_f32_e32 v76, 0x3fb8aa3b, v76
	s_delay_alu instid0(VALU_DEP_4) | instskip(NEXT) | instid1(VALU_DEP_2)
	v_mul_f32_e32 v86, 0x3fb8aa3b, v86
	v_exp_f32_e32 v76, v76
	s_delay_alu instid0(VALU_DEP_1)
	v_exp_f32_e32 v88, v86
	s_waitcnt_depctr 0xfff
	v_cndmask_b32_e64 v87, 0, v76, s9
	v_fma_f32 v76, s19, v116, -v71
	v_mul_f32_e32 v75, 0x3fb8aa3b, v75
	v_cndmask_b32_e64 v88, 0, v88, s12
	s_delay_alu instid0(VALU_DEP_3) | instskip(NEXT) | instid1(VALU_DEP_3)
	v_dual_mul_f32 v73, 0x3fb8aa3b, v73 :: v_dual_mul_f32 v76, 0x3fb8aa3b, v76
	v_exp_f32_e32 v75, v75
	s_delay_alu instid0(VALU_DEP_1) | instskip(NEXT) | instid1(VALU_DEP_1)
	v_exp_f32_e32 v73, v73
	v_exp_f32_e32 v76, v76
	s_delay_alu instid0(TRANS32_DEP_3)
	v_cndmask_b32_e64 v84, 0, v75, s8
	v_fma_f32 v75, s19, v115, -v71
	s_waitcnt_depctr 0xfff
	v_cndmask_b32_e64 v89, 0, v73, s11
	v_cndmask_b32_e64 v90, 0, v76, s15
	v_add_f32_e32 v72, v72, v84
	s_delay_alu instid0(VALU_DEP_1) | instskip(NEXT) | instid1(VALU_DEP_1)
	v_dual_add_f32 v72, v72, v87 :: v_dual_mul_f32 v77, 0x3fb8aa3b, v77
	v_exp_f32_e32 v77, v77
	s_waitcnt_depctr 0xfff
	v_cndmask_b32_e64 v86, 0, v77, s10
	v_fma_f32 v77, s19, v117, -v71
	s_delay_alu instid0(VALU_DEP_2) | instskip(NEXT) | instid1(VALU_DEP_1)
	v_dual_add_f32 v72, v72, v86 :: v_dual_mul_f32 v75, 0x3fb8aa3b, v75
	v_add_f32_e32 v72, v72, v89
	s_delay_alu instid0(VALU_DEP_2) | instskip(NEXT) | instid1(VALU_DEP_1)
	v_exp_f32_e32 v75, v75
	v_add_f32_e32 v72, v72, v88
	s_waitcnt_depctr 0xfff
	v_cndmask_b32_e64 v91, 0, v75, s13
	v_mul_f32_e32 v73, 0x3fb8aa3b, v77
	v_fma_f32 v77, s19, v118, -v71
	s_delay_alu instid0(VALU_DEP_3) | instskip(NEXT) | instid1(VALU_DEP_3)
	v_add_f32_e32 v72, v72, v91
	v_exp_f32_e32 v73, v73
	s_delay_alu instid0(VALU_DEP_1) | instskip(NEXT) | instid1(VALU_DEP_1)
	v_dual_mul_f32 v75, 0x3fb8aa3b, v77 :: v_dual_add_f32 v72, v72, v90
	v_exp_f32_e32 v75, v75
	s_waitcnt_depctr 0xfff
	v_cndmask_b32_e64 v93, 0, v73, s16
	s_delay_alu instid0(VALU_DEP_1) | instskip(SKIP_1) | instid1(VALU_DEP_1)
	v_add_f32_e32 v72, v72, v93
	v_cndmask_b32_e64 v92, 0, v75, s17
	v_add_f32_e32 v72, v72, v92
	ds_bpermute_b32 v73, v74, v72
	v_cmpx_gt_u32_e32 16, v70
	s_cbranch_execz .LBB939_12
; %bb.11:
	v_mul_u32_u24_e32 v70, 0x44, v69
	s_waitcnt lgkmcnt(0)
	v_add_f32_e32 v72, v72, v73
	s_delay_alu instid0(VALU_DEP_2) | instskip(NEXT) | instid1(VALU_DEP_1)
	v_lshl_add_u32 v70, v68, 2, v70
	v_add_nc_u32_e32 v70, 0x4000, v70
	ds_store_2addr_b32 v70, v71, v72 offset1:136
.LBB939_12:
	s_or_b32 exec_lo, exec_lo, s2
	v_lshlrev_b32_e32 v70, 2, v68
	s_load_b32 s34, s[0:1], 0x94
	s_waitcnt lgkmcnt(0)
	s_barrier
	buffer_gl0_inv
	v_add_nc_u32_e32 v98, 0x4000, v70
	v_cmp_eq_u32_e32 vcc_lo, 1, v69
	v_cmp_eq_u32_e64 s2, 2, v69
	v_cmp_eq_u32_e64 s3, 3, v69
	;; [unrolled: 1-line block ×3, first 2 shown]
	ds_load_2addr_b32 v[70:71], v98 offset1:17
	ds_load_2addr_b32 v[72:73], v98 offset0:34 offset1:51
	ds_load_2addr_b32 v[74:75], v98 offset0:68 offset1:85
	;; [unrolled: 1-line block ×3, first 2 shown]
	v_cmp_eq_u32_e64 s5, 5, v69
	v_cmp_eq_u32_e64 s6, 7, v69
	s_waitcnt lgkmcnt(3)
	v_max3_f32 v76, v70, 0xff7fffff, v71
	s_waitcnt lgkmcnt(2)
	s_delay_alu instid0(VALU_DEP_1) | instskip(SKIP_1) | instid1(VALU_DEP_1)
	v_max3_f32 v76, v76, v72, v73
	s_waitcnt lgkmcnt(1)
	v_max3_f32 v76, v76, v74, v75
	s_waitcnt lgkmcnt(0)
	s_delay_alu instid0(VALU_DEP_1) | instskip(NEXT) | instid1(VALU_DEP_1)
	v_max3_f32 v76, v76, v94, v95
	v_sub_f32_e32 v77, v71, v76
	ds_load_2addr_b32 v[96:97], v98 offset0:136 offset1:153
	v_sub_f32_e32 v74, v74, v76
	v_sub_f32_e32 v70, v70, v76
	;; [unrolled: 1-line block ×3, first 2 shown]
	v_dual_sub_f32 v72, v72, v76 :: v_dual_mul_f32 v77, 0x3fb8aa3b, v77
	s_delay_alu instid0(VALU_DEP_4) | instskip(NEXT) | instid1(VALU_DEP_4)
	v_mul_f32_e32 v103, 0x3fb8aa3b, v74
	v_mul_f32_e32 v99, 0x3fb8aa3b, v70
	ds_load_2addr_b32 v[70:71], v98 offset0:170 offset1:187
	v_dual_mul_f32 v101, 0x3fb8aa3b, v72 :: v_dual_mul_f32 v94, 0x3fb8aa3b, v94
	v_exp_f32_e32 v102, v77
	v_exp_f32_e32 v99, v99
	s_delay_alu instid0(VALU_DEP_1) | instskip(NEXT) | instid1(VALU_DEP_1)
	v_exp_f32_e32 v101, v101
	v_exp_f32_e32 v94, v94
	s_waitcnt lgkmcnt(1)
	s_delay_alu instid0(TRANS32_DEP_3)
	v_fma_f32 v77, v99, v96, 0
	v_sub_f32_e32 v100, v73, v76
	ds_load_2addr_b32 v[72:73], v98 offset0:204 offset1:221
	v_fmac_f32_e32 v77, v102, v97
	v_exp_f32_e32 v97, v103
	s_waitcnt lgkmcnt(1)
	s_delay_alu instid0(VALU_DEP_1)
	v_dual_fmac_f32 v77, v101, v70 :: v_dual_sub_f32 v96, v75, v76
	ds_load_2addr_b32 v[74:75], v98 offset0:238 offset1:255
	v_sub_f32_e32 v70, v95, v76
	s_waitcnt lgkmcnt(0)
	s_barrier
	v_mul_f32_e32 v96, 0x3fb8aa3b, v96
	buffer_gl0_inv
	v_exp_f32_e32 v95, v96
	v_mul_f32_e32 v100, 0x3fb8aa3b, v100
	s_delay_alu instid0(VALU_DEP_1) | instskip(SKIP_3) | instid1(VALU_DEP_2)
	v_exp_f32_e32 v100, v100
	s_waitcnt_depctr 0xfff
	v_dual_fmac_f32 v77, v100, v71 :: v_dual_mul_f32 v70, 0x3fb8aa3b, v70
	v_cndmask_b32_e32 v71, v99, v102, vcc_lo
	v_fmac_f32_e32 v77, v97, v72
	s_delay_alu instid0(VALU_DEP_3) | instskip(NEXT) | instid1(VALU_DEP_1)
	v_exp_f32_e32 v96, v70
	v_fmac_f32_e32 v77, v95, v73
	s_delay_alu instid0(VALU_DEP_1) | instskip(SKIP_2) | instid1(VALU_DEP_1)
	v_fmac_f32_e32 v77, v94, v74
	s_waitcnt_depctr 0xfff
	v_fmac_f32_e32 v77, v96, v75
	v_add_f32_e32 v74, 0x358637bd, v77
	s_delay_alu instid0(VALU_DEP_1) | instskip(SKIP_1) | instid1(VALU_DEP_2)
	v_div_scale_f32 v98, null, v74, v74, 1.0
	v_div_scale_f32 v99, vcc_lo, 1.0, v74, 1.0
	v_rcp_f32_e32 v103, v98
	s_waitcnt_depctr 0xfff
	v_fma_f32 v70, -v98, v103, 1.0
	s_delay_alu instid0(VALU_DEP_1) | instskip(SKIP_2) | instid1(VALU_DEP_2)
	v_fmac_f32_e32 v103, v70, v103
	v_cndmask_b32_e64 v70, v71, v101, s2
	v_cmp_eq_u32_e64 s2, 6, v69
	v_cndmask_b32_e64 v71, v70, v100, s3
	s_delay_alu instid0(VALU_DEP_4) | instskip(NEXT) | instid1(VALU_DEP_2)
	v_dual_mul_f32 v101, v99, v103 :: v_dual_lshlrev_b32 v70, 2, v66
	v_cndmask_b32_e64 v71, v71, v97, s4
	s_delay_alu instid0(VALU_DEP_2) | instskip(NEXT) | instid1(VALU_DEP_3)
	v_or_b32_e32 v72, 1, v70
	v_fma_f32 v100, -v98, v101, v99
	v_cmp_eq_u32_e64 s3, 1, v70
	v_cmp_eq_u32_e64 s4, 2, v70
	v_cndmask_b32_e64 v95, v71, v95, s5
	v_or_b32_e32 v71, 3, v70
	v_fmac_f32_e32 v101, v100, v103
	v_cmp_eq_u32_e64 s8, 1, v72
	v_cmp_eq_u32_e64 s11, 2, v72
	v_cndmask_b32_e64 v94, v95, v94, s2
	v_cmp_eq_u32_e64 s10, 1, v71
	v_fma_f32 v97, -v98, v101, v99
	v_cmp_eq_u32_e64 s15, 2, v71
	v_cmp_eq_u32_e64 s12, 3, v72
	v_cndmask_b32_e64 v94, v94, v96, s6
	v_cmp_eq_u32_e64 s17, 3, v71
	v_div_fmas_f32 v95, v97, v103, v101
	v_cmp_eq_u32_e32 vcc_lo, 3, v70
	v_cmp_eq_u32_e64 s2, 4, v70
	v_cmp_eq_u32_e64 s18, 4, v72
	;; [unrolled: 1-line block ×3, first 2 shown]
	v_div_fixup_f32 v95, v95, v74, 1.0
	v_lshlrev_b32_e32 v73, 6, v68
	v_cmp_eq_u32_e64 s5, 5, v70
	v_cmp_eq_u32_e64 s19, 5, v72
	;; [unrolled: 1-line block ×3, first 2 shown]
	v_mul_f32_e32 v102, v94, v95
	v_lshl_or_b32 v75, v69, 11, v73
	v_or_b32_e32 v69, 2, v70
	v_cmp_eq_u32_e64 s24, 6, v72
	v_cmp_eq_u32_e64 s26, 6, v71
	v_fma_mixlo_f16 v94, v102, v79, 0
	v_fma_mixlo_f16 v95, v102, v81, 0
	;; [unrolled: 1-line block ×8, first 2 shown]
	v_lshl_or_b32 v74, v66, 4, v75
	v_fma_mixhi_f16 v94, v102, v78, 0
	v_fma_mixhi_f16 v95, v102, v80, 0
	;; [unrolled: 1-line block ×8, first 2 shown]
	ds_store_b128 v74, v[94:97]
	ds_store_b128 v74, v[98:101] offset:1024
	s_waitcnt lgkmcnt(0)
	s_barrier
	buffer_gl0_inv
	ds_load_b128 v[78:81], v75
	ds_load_b128 v[82:85], v75 offset:16
	ds_load_b128 v[86:89], v75 offset:1024
	;; [unrolled: 1-line block ×3, first 2 shown]
	v_cmp_eq_u32_e64 s9, 1, v69
	v_cmp_eq_u32_e64 s13, 2, v69
	;; [unrolled: 1-line block ×11, first 2 shown]
	s_waitcnt lgkmcnt(3)
	v_lshrrev_b32_e32 v94, 16, v78
	s_waitcnt lgkmcnt(2)
	v_lshrrev_b32_e32 v98, 16, v82
	;; [unrolled: 2-line block ×4, first 2 shown]
	v_lshrrev_b32_e32 v95, 16, v79
	v_cndmask_b32_e64 v110, v78, v94, s3
	v_cndmask_b32_e64 v111, v82, v98, s3
	;; [unrolled: 1-line block ×8, first 2 shown]
	v_lshrrev_b32_e32 v99, 16, v83
	v_cndmask_b32_e64 v94, v86, v102, s3
	v_cndmask_b32_e64 v98, v90, v106, s3
	;; [unrolled: 1-line block ×15, first 2 shown]
	v_lshrrev_b32_e32 v103, 16, v87
	v_lshrrev_b32_e32 v107, 16, v91
	v_cndmask_b32_e64 v113, v115, v83, s13
	v_cndmask_b32_e64 v82, v94, v87, s4
	;; [unrolled: 1-line block ×7, first 2 shown]
	v_cndmask_b32_e32 v90, v102, v95, vcc_lo
	v_cndmask_b32_e32 v102, v106, v99, vcc_lo
	v_cndmask_b32_e64 v106, v110, v95, s12
	v_cndmask_b32_e64 v110, v111, v99, s12
	;; [unrolled: 1-line block ×4, first 2 shown]
	v_lshrrev_b32_e32 v96, 16, v80
	v_lshrrev_b32_e32 v100, 16, v84
	v_cndmask_b32_e64 v111, v112, v95, s16
	v_cndmask_b32_e64 v112, v113, v99, s16
	v_cndmask_b32_e32 v82, v82, v103, vcc_lo
	v_cndmask_b32_e32 v83, v83, v107, vcc_lo
	v_cndmask_b32_e64 v94, v94, v103, s12
	v_cndmask_b32_e64 v90, v90, v80, s2
	;; [unrolled: 1-line block ×7, first 2 shown]
	v_lshrrev_b32_e32 v104, 16, v88
	v_cndmask_b32_e64 v106, v111, v80, s20
	v_cndmask_b32_e64 v110, v112, v84, s20
	;; [unrolled: 1-line block ×11, first 2 shown]
	v_lshrrev_b32_e32 v97, 16, v81
	v_lshrrev_b32_e32 v101, 16, v85
	v_cndmask_b32_e64 v99, v106, v96, s22
	v_cndmask_b32_e64 v102, v110, v100, s22
	v_cndmask_b32_e64 v83, v83, v104, s19
	v_cndmask_b32_e64 v94, v94, v81, s24
	v_cndmask_b32_e64 v95, v95, v85, s24
	v_cndmask_b32_e64 v78, v78, v81, s26
	v_cndmask_b32_e64 v79, v79, v85, s26
	v_lshrrev_b32_e32 v105, 16, v89
	v_cndmask_b32_e64 v80, v80, v104, s5
	v_cndmask_b32_e64 v84, v84, v81, s6
	;; [unrolled: 1-line block ×16, first 2 shown]
	v_perm_b32 v81, v79, v78, 0x5040100
	v_perm_b32 v79, v95, v85, 0x5040100
	v_cndmask_b32_e64 v78, v119, v91, s13
	v_cndmask_b32_e64 v85, v117, v91, s11
	;; [unrolled: 1-line block ×3, first 2 shown]
	v_perm_b32 v80, v94, v90, 0x5040100
	v_cndmask_b32_e64 v90, v98, v103, s16
	v_cndmask_b32_e64 v86, v86, v103, s17
	;; [unrolled: 1-line block ×5, first 2 shown]
	v_lshrrev_b32_e32 v108, 16, v92
	v_cndmask_b32_e64 v90, v90, v88, s20
	v_cndmask_b32_e64 v86, v86, v88, s21
	;; [unrolled: 1-line block ×11, first 2 shown]
	v_lshrrev_b32_e32 v109, 16, v93
	v_cndmask_b32_e64 v82, v82, v93, s6
	v_cndmask_b32_e64 v88, v88, v89, s25
	;; [unrolled: 1-line block ×12, first 2 shown]
	v_perm_b32 v78, v84, v83, 0x5040100
	v_perm_b32 v85, v87, v86, 0x5040100
	v_perm_b32 v84, v89, v88, 0x5040100
	v_perm_b32 v83, v90, v97, 0x5040100
	v_perm_b32 v82, v82, v96, 0x5040100
	s_mul_i32 s7, s33, 10
	s_mov_b32 s2, exec_lo
	ds_store_b128 v74, v[78:81]
	ds_store_b128 v74, v[82:85] offset:1024
	v_cmpx_gt_u32_e32 10, v0
	s_cbranch_execz .LBB939_14
; %bb.13:
	s_mul_i32 s3, s7, s30
	s_load_b128 s[8:11], s[0:1], 0x58
	v_add3_u32 v68, s3, s31, v68
	s_delay_alu instid0(VALU_DEP_1) | instskip(NEXT) | instid1(VALU_DEP_1)
	v_mad_u64_u32 v[78:79], null, v68, s34, s[14:15]
	v_ashrrev_i32_e32 v79, 31, v78
	s_delay_alu instid0(VALU_DEP_1) | instskip(SKIP_1) | instid1(VALU_DEP_1)
	v_lshlrev_b64 v[78:79], 2, v[78:79]
	s_waitcnt lgkmcnt(0)
	v_add_co_u32 v80, vcc_lo, s10, v78
	s_delay_alu instid0(VALU_DEP_2)
	v_add_co_ci_u32_e32 v81, vcc_lo, s11, v79, vcc_lo
	v_add_co_u32 v78, vcc_lo, s8, v78
	v_add_co_ci_u32_e32 v79, vcc_lo, s9, v79, vcc_lo
	global_store_b32 v[80:81], v76, off
	global_store_b32 v[78:79], v77, off
.LBB939_14:
	s_or_b32 exec_lo, exec_lo, s2
	s_waitcnt lgkmcnt(0)
	s_waitcnt_vscnt null, 0x0
	s_barrier
	buffer_gl0_inv
	ds_load_b128 v[84:87], v73
	ds_load_b128 v[88:91], v73 offset:16
	ds_load_b128 v[96:99], v73 offset:2064
	;; [unrolled: 1-line block ×5, first 2 shown]
	v_cmp_eq_u32_e32 vcc_lo, 1, v70
	v_mov_b32_e32 v76, 0
	ds_load_b128 v[112:115], v73 offset:6160
	ds_load_b128 v[108:111], v73 offset:6144
	;; [unrolled: 1-line block ×4, first 2 shown]
	v_cmp_eq_u32_e64 s3, 1, v69
	v_cmp_eq_u32_e64 s2, 1, v72
	;; [unrolled: 1-line block ×3, first 2 shown]
	v_mov_b32_e32 v77, v76
	v_mov_b32_e32 v78, v76
	;; [unrolled: 1-line block ×7, first 2 shown]
	v_cmp_eq_u32_e64 s5, 3, v72
	v_cmp_eq_u32_e64 s6, 7, v72
	s_waitcnt lgkmcnt(8)
	s_delay_alu instid0(VALU_DEP_3)
	v_wmma_f32_16x16x16_f16 v[76:83], v[49:56], v[84:91], v[76:83]
	ds_load_b128 v[53:56], v73 offset:10256
	ds_load_b128 v[49:52], v73 offset:10240
	s_waitcnt lgkmcnt(8)
	v_wmma_f32_16x16x16_f16 v[76:83], v[41:48], v[92:99], v[76:83]
	ds_load_b128 v[45:48], v73 offset:12304
	ds_load_b128 v[41:44], v73 offset:12288
	s_waitcnt lgkmcnt(8)
	;; [unrolled: 4-line block ×3, first 2 shown]
	s_barrier
	buffer_gl0_inv
	v_wmma_f32_16x16x16_f16 v[76:83], v[1:8], v[108:115], v[76:83]
	s_delay_alu instid0(VALU_DEP_1) | instskip(NEXT) | instid1(VALU_DEP_1)
	v_wmma_f32_16x16x16_f16 v[76:83], v[9:16], v[116:123], v[76:83]
	v_wmma_f32_16x16x16_f16 v[76:83], v[17:24], v[49:56], v[76:83]
	s_delay_alu instid0(VALU_DEP_1) | instskip(NEXT) | instid1(VALU_DEP_1)
	v_wmma_f32_16x16x16_f16 v[76:83], v[25:32], v[41:48], v[76:83]
	v_wmma_f32_16x16x16_f16 v[76:83], v[57:64], v[33:40], v[76:83]
	s_delay_alu instid0(VALU_DEP_1) | instskip(NEXT) | instid1(VALU_DEP_2)
	v_cvt_f16_f32_e32 v1, v76
	v_cvt_f16_f32_e32 v2, v77
	s_delay_alu instid0(VALU_DEP_3) | instskip(NEXT) | instid1(VALU_DEP_4)
	v_cvt_f16_f32_e32 v3, v78
	v_cvt_f16_f32_e32 v4, v79
	;; [unrolled: 1-line block ×6, first 2 shown]
	v_pack_b32_f16 v1, v1, v2
	v_pack_b32_f16 v2, v3, v4
	v_pack_b32_f16 v3, v5, v6
	s_delay_alu instid0(VALU_DEP_4)
	v_pack_b32_f16 v4, v7, v8
	ds_store_b128 v74, v[1:4]
	s_waitcnt lgkmcnt(0)
	s_barrier
	buffer_gl0_inv
	ds_load_b128 v[1:4], v75
	ds_load_b128 v[5:8], v75 offset:16
	s_waitcnt lgkmcnt(1)
	v_lshrrev_b32_e32 v9, 16, v1
	s_waitcnt lgkmcnt(0)
	v_lshrrev_b32_e32 v13, 16, v5
	v_lshrrev_b32_e32 v10, 16, v2
	;; [unrolled: 1-line block ×4, first 2 shown]
	v_cndmask_b32_e32 v17, v1, v9, vcc_lo
	v_cndmask_b32_e32 v18, v5, v13, vcc_lo
	v_cndmask_b32_e64 v21, v1, v9, s3
	v_cmp_eq_u32_e32 vcc_lo, 1, v71
	v_cndmask_b32_e64 v22, v5, v13, s3
	v_cmp_eq_u32_e64 s3, 2, v70
	v_cndmask_b32_e64 v19, v1, v9, s2
	v_cndmask_b32_e64 v20, v5, v13, s2
	v_cndmask_b32_e32 v1, v1, v9, vcc_lo
	v_cmp_eq_u32_e64 s2, 2, v71
	v_cndmask_b32_e32 v5, v5, v13, vcc_lo
	v_cndmask_b32_e64 v9, v17, v2, s3
	v_cmp_eq_u32_e32 vcc_lo, 3, v70
	v_cndmask_b32_e64 v13, v18, v6, s3
	v_cmp_eq_u32_e64 s3, 2, v69
	v_cndmask_b32_e64 v17, v19, v2, s4
	v_cndmask_b32_e64 v18, v20, v6, s4
	v_cmp_eq_u32_e64 s4, 3, v69
	v_cndmask_b32_e64 v1, v1, v2, s2
	v_cndmask_b32_e64 v19, v21, v2, s3
	;; [unrolled: 1-line block ×4, first 2 shown]
	v_cndmask_b32_e32 v5, v9, v10, vcc_lo
	v_cndmask_b32_e32 v6, v13, v14, vcc_lo
	v_cmp_eq_u32_e32 vcc_lo, 3, v71
	v_cndmask_b32_e64 v9, v17, v10, s5
	v_cndmask_b32_e64 v13, v18, v14, s5
	;; [unrolled: 1-line block ×3, first 2 shown]
	v_cmp_eq_u32_e64 s3, 4, v70
	v_cndmask_b32_e32 v1, v1, v10, vcc_lo
	v_cndmask_b32_e32 v2, v2, v14, vcc_lo
	v_cmp_eq_u32_e32 vcc_lo, 4, v72
	v_lshrrev_b32_e32 v15, 16, v7
	v_lshrrev_b32_e32 v16, 16, v8
	v_cndmask_b32_e64 v17, v19, v10, s4
	v_cmp_eq_u32_e64 s2, 4, v71
	v_cndmask_b32_e64 v5, v5, v3, s3
	v_cndmask_b32_e64 v6, v6, v7, s3
	v_cndmask_b32_e32 v9, v9, v3, vcc_lo
	v_cmp_eq_u32_e64 s3, 5, v72
	v_cndmask_b32_e32 v10, v13, v7, vcc_lo
	v_cmp_eq_u32_e32 vcc_lo, 4, v69
	v_cmp_eq_u32_e64 s4, 5, v70
	v_cndmask_b32_e64 v2, v2, v7, s2
	v_cndmask_b32_e64 v9, v9, v11, s3
	;; [unrolled: 1-line block ×3, first 2 shown]
	v_cndmask_b32_e32 v13, v17, v3, vcc_lo
	v_cmp_eq_u32_e64 s3, 5, v69
	v_cndmask_b32_e32 v14, v18, v7, vcc_lo
	v_cndmask_b32_e64 v1, v1, v3, s2
	v_cmp_eq_u32_e32 vcc_lo, 5, v71
	v_lshrrev_b32_e32 v12, 16, v4
	v_cndmask_b32_e64 v13, v13, v11, s3
	v_cndmask_b32_e64 v3, v14, v15, s3
	v_cmp_eq_u32_e64 s3, 6, v71
	v_cndmask_b32_e32 v1, v1, v11, vcc_lo
	v_cndmask_b32_e64 v5, v5, v11, s4
	v_cmp_eq_u32_e64 s5, 6, v70
	v_cndmask_b32_e64 v6, v6, v15, s4
	v_cmp_eq_u32_e64 s4, 6, v72
	v_cmp_eq_u32_e64 s2, 6, v69
	v_cndmask_b32_e64 v1, v1, v4, s3
	v_cndmask_b32_e32 v2, v2, v15, vcc_lo
	v_cmp_eq_u32_e32 vcc_lo, 7, v71
	v_cndmask_b32_e64 v5, v5, v4, s5
	v_cndmask_b32_e64 v9, v9, v4, s4
	;; [unrolled: 1-line block ×3, first 2 shown]
	v_cmp_eq_u32_e64 s5, 7, v70
	v_cndmask_b32_e32 v1, v1, v12, vcc_lo
	v_cndmask_b32_e64 v7, v13, v4, s2
	v_cndmask_b32_e64 v3, v3, v8, s2
	;; [unrolled: 1-line block ×3, first 2 shown]
	v_cmp_eq_u32_e64 s2, 7, v69
	v_cndmask_b32_e64 v4, v10, v8, s4
	v_cndmask_b32_e64 v5, v5, v12, s5
	;; [unrolled: 1-line block ×3, first 2 shown]
	v_cndmask_b32_e32 v2, v2, v16, vcc_lo
	v_cndmask_b32_e64 v7, v7, v12, s2
	v_cndmask_b32_e64 v3, v3, v16, s2
	;; [unrolled: 1-line block ×4, first 2 shown]
	v_perm_b32 v4, v2, v1, 0x5040100
	s_mov_b32 s2, exec_lo
	v_perm_b32 v3, v3, v7, 0x5040100
	v_perm_b32 v2, v8, v9, 0x5040100
	;; [unrolled: 1-line block ×3, first 2 shown]
	ds_store_b128 v74, v[1:4]
	s_waitcnt lgkmcnt(0)
	s_barrier
	buffer_gl0_inv
	v_cmpx_gt_u32_e32 32, v0
	s_cbranch_execz .LBB939_2
; %bb.15:
	s_load_b64 s[0:1], s[0:1], 0x68
	s_lshl_b32 s4, s34, 7
	v_or_b32_e32 v2, s31, v66
	s_mul_i32 s2, s4, s30
	v_lshlrev_b32_e32 v0, 10, v0
	s_mul_i32 s2, s2, s7
	v_lshlrev_b32_e32 v1, 4, v67
	s_ashr_i32 s3, s2, 31
	v_mul_lo_u32 v20, v2, s4
	s_lshl_b64 s[2:3], s[2:3], 1
	v_lshlrev_b32_e32 v3, 6, v66
	v_and_b32_e32 v0, 0x3800, v0
	s_delay_alu instid0(VALU_DEP_1) | instskip(NEXT) | instid1(VALU_DEP_4)
	v_or3_b32 v16, v0, v1, v3
	v_ashrrev_i32_e32 v21, 31, v20
	ds_load_b128 v[0:3], v16
	ds_load_b128 v[4:7], v16 offset:128
	s_waitcnt lgkmcnt(0)
	s_add_u32 s2, s0, s2
	s_addc_u32 s3, s1, s3
	s_lshl_b32 s0, s14, 7
	ds_load_b128 v[8:11], v16 offset:256
	ds_load_b128 v[12:15], v16 offset:384
	;; [unrolled: 1-line block ×3, first 2 shown]
	s_ashr_i32 s1, s0, 31
	s_delay_alu instid0(SALU_CYCLE_1) | instskip(NEXT) | instid1(SALU_CYCLE_1)
	s_lshl_b64 s[0:1], s[0:1], 1
	s_add_u32 s0, s2, s0
	s_addc_u32 s1, s3, s1
	s_lshl_b32 s2, s34, 8
	v_add_co_u32 v30, s0, s0, v65
	v_add_nc_u32_e32 v22, s2, v20
	v_lshlrev_b64 v[20:21], 1, v[20:21]
	v_add_co_ci_u32_e64 v31, null, s1, 0, s0
	s_delay_alu instid0(VALU_DEP_3) | instskip(SKIP_1) | instid1(VALU_DEP_4)
	v_add_nc_u32_e32 v24, s2, v22
	v_ashrrev_i32_e32 v23, 31, v22
	v_add_co_u32 v20, vcc_lo, v30, v20
	s_delay_alu instid0(VALU_DEP_4) | instskip(NEXT) | instid1(VALU_DEP_4)
	v_add_co_ci_u32_e32 v21, vcc_lo, v31, v21, vcc_lo
	v_add_nc_u32_e32 v26, s2, v24
	v_ashrrev_i32_e32 v25, 31, v24
	v_lshlrev_b64 v[22:23], 1, v[22:23]
	s_delay_alu instid0(VALU_DEP_3) | instskip(SKIP_1) | instid1(VALU_DEP_4)
	v_add_nc_u32_e32 v28, s2, v26
	v_ashrrev_i32_e32 v27, 31, v26
	v_lshlrev_b64 v[24:25], 1, v[24:25]
	s_delay_alu instid0(VALU_DEP_4) | instskip(NEXT) | instid1(VALU_DEP_4)
	v_add_co_u32 v22, vcc_lo, v30, v22
	v_ashrrev_i32_e32 v29, 31, v28
	s_delay_alu instid0(VALU_DEP_4) | instskip(SKIP_2) | instid1(VALU_DEP_4)
	v_lshlrev_b64 v[26:27], 1, v[26:27]
	v_add_co_ci_u32_e32 v23, vcc_lo, v31, v23, vcc_lo
	v_add_co_u32 v24, vcc_lo, v30, v24
	v_lshlrev_b64 v[28:29], 1, v[28:29]
	v_add_co_ci_u32_e32 v25, vcc_lo, v31, v25, vcc_lo
	v_add_co_u32 v26, vcc_lo, v30, v26
	v_add_co_ci_u32_e32 v27, vcc_lo, v31, v27, vcc_lo
	s_delay_alu instid0(VALU_DEP_4)
	v_add_co_u32 v28, vcc_lo, v30, v28
	v_add_co_ci_u32_e32 v29, vcc_lo, v31, v29, vcc_lo
	s_clause 0x1
	global_store_b128 v[20:21], v[0:3], off
	global_store_b128 v[22:23], v[4:7], off
	s_waitcnt lgkmcnt(2)
	global_store_b128 v[24:25], v[8:11], off
	s_waitcnt lgkmcnt(1)
	;; [unrolled: 2-line block ×3, first 2 shown]
	global_store_b128 v[28:29], v[16:19], off
	s_nop 0
	s_sendmsg sendmsg(MSG_DEALLOC_VGPRS)
	s_endpgm
	.section	.rodata,"a",@progbits
	.p2align	6, 0x0
	.amdhsa_kernel _Z39paged_attention_ll4mi_QKV_mfma16_kernelIDF16_hLN4vllm18Fp8KVCacheDataTypeE1EhLi16ELi128ELi256ELb1ELi10EL8MFMAType1EEvPKT_PKT0_S8_ifPKiSA_SA_iPKfiiiPfSD_PS3_PT2_iSC_SC_
		.amdhsa_group_segment_fixed_size 17472
		.amdhsa_private_segment_fixed_size 0
		.amdhsa_kernarg_size 400
		.amdhsa_user_sgpr_count 13
		.amdhsa_user_sgpr_dispatch_ptr 0
		.amdhsa_user_sgpr_queue_ptr 0
		.amdhsa_user_sgpr_kernarg_segment_ptr 1
		.amdhsa_user_sgpr_dispatch_id 0
		.amdhsa_user_sgpr_private_segment_size 0
		.amdhsa_wavefront_size32 1
		.amdhsa_uses_dynamic_stack 0
		.amdhsa_enable_private_segment 0
		.amdhsa_system_sgpr_workgroup_id_x 1
		.amdhsa_system_sgpr_workgroup_id_y 1
		.amdhsa_system_sgpr_workgroup_id_z 1
		.amdhsa_system_sgpr_workgroup_info 0
		.amdhsa_system_vgpr_workitem_id 0
		.amdhsa_next_free_vgpr 150
		.amdhsa_next_free_sgpr 36
		.amdhsa_reserve_vcc 1
		.amdhsa_float_round_mode_32 0
		.amdhsa_float_round_mode_16_64 0
		.amdhsa_float_denorm_mode_32 3
		.amdhsa_float_denorm_mode_16_64 3
		.amdhsa_dx10_clamp 1
		.amdhsa_ieee_mode 1
		.amdhsa_fp16_overflow 0
		.amdhsa_workgroup_processor_mode 1
		.amdhsa_memory_ordered 1
		.amdhsa_forward_progress 0
		.amdhsa_shared_vgpr_count 0
		.amdhsa_exception_fp_ieee_invalid_op 0
		.amdhsa_exception_fp_denorm_src 0
		.amdhsa_exception_fp_ieee_div_zero 0
		.amdhsa_exception_fp_ieee_overflow 0
		.amdhsa_exception_fp_ieee_underflow 0
		.amdhsa_exception_fp_ieee_inexact 0
		.amdhsa_exception_int_div_zero 0
	.end_amdhsa_kernel
	.section	.text._Z39paged_attention_ll4mi_QKV_mfma16_kernelIDF16_hLN4vllm18Fp8KVCacheDataTypeE1EhLi16ELi128ELi256ELb1ELi10EL8MFMAType1EEvPKT_PKT0_S8_ifPKiSA_SA_iPKfiiiPfSD_PS3_PT2_iSC_SC_,"axG",@progbits,_Z39paged_attention_ll4mi_QKV_mfma16_kernelIDF16_hLN4vllm18Fp8KVCacheDataTypeE1EhLi16ELi128ELi256ELb1ELi10EL8MFMAType1EEvPKT_PKT0_S8_ifPKiSA_SA_iPKfiiiPfSD_PS3_PT2_iSC_SC_,comdat
.Lfunc_end939:
	.size	_Z39paged_attention_ll4mi_QKV_mfma16_kernelIDF16_hLN4vllm18Fp8KVCacheDataTypeE1EhLi16ELi128ELi256ELb1ELi10EL8MFMAType1EEvPKT_PKT0_S8_ifPKiSA_SA_iPKfiiiPfSD_PS3_PT2_iSC_SC_, .Lfunc_end939-_Z39paged_attention_ll4mi_QKV_mfma16_kernelIDF16_hLN4vllm18Fp8KVCacheDataTypeE1EhLi16ELi128ELi256ELb1ELi10EL8MFMAType1EEvPKT_PKT0_S8_ifPKiSA_SA_iPKfiiiPfSD_PS3_PT2_iSC_SC_
                                        ; -- End function
	.section	.AMDGPU.csdata,"",@progbits
; Kernel info:
; codeLenInByte = 6704
; NumSgprs: 38
; NumVgprs: 150
; ScratchSize: 0
; MemoryBound: 0
; FloatMode: 240
; IeeeMode: 1
; LDSByteSize: 17472 bytes/workgroup (compile time only)
; SGPRBlocks: 4
; VGPRBlocks: 18
; NumSGPRsForWavesPerEU: 38
; NumVGPRsForWavesPerEU: 150
; Occupancy: 9
; WaveLimiterHint : 1
; COMPUTE_PGM_RSRC2:SCRATCH_EN: 0
; COMPUTE_PGM_RSRC2:USER_SGPR: 13
; COMPUTE_PGM_RSRC2:TRAP_HANDLER: 0
; COMPUTE_PGM_RSRC2:TGID_X_EN: 1
; COMPUTE_PGM_RSRC2:TGID_Y_EN: 1
; COMPUTE_PGM_RSRC2:TGID_Z_EN: 1
; COMPUTE_PGM_RSRC2:TIDIG_COMP_CNT: 0
	.section	.text._Z39paged_attention_ll4mi_QKV_mfma16_kernelIDF16_hLN4vllm18Fp8KVCacheDataTypeE1EhLi16ELi128ELi256ELb1ELi11EL8MFMAType1EEvPKT_PKT0_S8_ifPKiSA_SA_iPKfiiiPfSD_PS3_PT2_iSC_SC_,"axG",@progbits,_Z39paged_attention_ll4mi_QKV_mfma16_kernelIDF16_hLN4vllm18Fp8KVCacheDataTypeE1EhLi16ELi128ELi256ELb1ELi11EL8MFMAType1EEvPKT_PKT0_S8_ifPKiSA_SA_iPKfiiiPfSD_PS3_PT2_iSC_SC_,comdat
	.protected	_Z39paged_attention_ll4mi_QKV_mfma16_kernelIDF16_hLN4vllm18Fp8KVCacheDataTypeE1EhLi16ELi128ELi256ELb1ELi11EL8MFMAType1EEvPKT_PKT0_S8_ifPKiSA_SA_iPKfiiiPfSD_PS3_PT2_iSC_SC_ ; -- Begin function _Z39paged_attention_ll4mi_QKV_mfma16_kernelIDF16_hLN4vllm18Fp8KVCacheDataTypeE1EhLi16ELi128ELi256ELb1ELi11EL8MFMAType1EEvPKT_PKT0_S8_ifPKiSA_SA_iPKfiiiPfSD_PS3_PT2_iSC_SC_
	.globl	_Z39paged_attention_ll4mi_QKV_mfma16_kernelIDF16_hLN4vllm18Fp8KVCacheDataTypeE1EhLi16ELi128ELi256ELb1ELi11EL8MFMAType1EEvPKT_PKT0_S8_ifPKiSA_SA_iPKfiiiPfSD_PS3_PT2_iSC_SC_
	.p2align	8
	.type	_Z39paged_attention_ll4mi_QKV_mfma16_kernelIDF16_hLN4vllm18Fp8KVCacheDataTypeE1EhLi16ELi128ELi256ELb1ELi11EL8MFMAType1EEvPKT_PKT0_S8_ifPKiSA_SA_iPKfiiiPfSD_PS3_PT2_iSC_SC_,@function
_Z39paged_attention_ll4mi_QKV_mfma16_kernelIDF16_hLN4vllm18Fp8KVCacheDataTypeE1EhLi16ELi128ELi256ELb1ELi11EL8MFMAType1EEvPKT_PKT0_S8_ifPKiSA_SA_iPKfiiiPfSD_PS3_PT2_iSC_SC_: ; @_Z39paged_attention_ll4mi_QKV_mfma16_kernelIDF16_hLN4vllm18Fp8KVCacheDataTypeE1EhLi16ELi128ELi256ELb1ELi11EL8MFMAType1EEvPKT_PKT0_S8_ifPKiSA_SA_iPKfiiiPfSD_PS3_PT2_iSC_SC_
; %bb.0:
	s_load_b64 s[4:5], s[0:1], 0x30
	s_mov_b32 s34, s13
	s_waitcnt lgkmcnt(0)
	s_cmp_lg_u64 s[4:5], 0
	s_cselect_b32 s8, -1, 0
	s_ashr_i32 s35, s13, 31
	s_cmp_eq_u64 s[4:5], 0
	s_cbranch_scc1 .LBB940_3
; %bb.1:
	s_lshl_b64 s[2:3], s[34:35], 2
	s_delay_alu instid0(SALU_CYCLE_1) | instskip(SKIP_4) | instid1(SALU_CYCLE_1)
	s_add_u32 s2, s4, s2
	s_addc_u32 s3, s5, s3
	s_load_b64 s[2:3], s[2:3], 0x0
	s_waitcnt lgkmcnt(0)
	s_sub_i32 s2, s3, s2
	s_cmp_eq_u32 s2, 1
	s_cselect_b32 s2, -1, 0
	s_delay_alu instid0(SALU_CYCLE_1)
	s_and_not1_b32 vcc_lo, exec_lo, s2
	s_cbranch_vccz .LBB940_4
.LBB940_2:
	s_nop 0
	s_sendmsg sendmsg(MSG_DEALLOC_VGPRS)
	s_endpgm
.LBB940_3:
.LBB940_4:
	s_load_b64 s[2:3], s[0:1], 0x28
	s_lshl_b64 s[6:7], s[34:35], 2
	s_waitcnt lgkmcnt(0)
	s_add_u32 s2, s2, s6
	s_addc_u32 s3, s3, s7
	s_lshl_b32 s12, s14, 8
	s_load_b32 s24, s[2:3], 0x0
	s_waitcnt lgkmcnt(0)
	s_cmp_ge_i32 s12, s24
	s_cbranch_scc1 .LBB940_2
; %bb.5:
	s_clause 0x1
	s_load_b128 s[20:23], s[0:1], 0x8
	s_load_b64 s[2:3], s[0:1], 0x20
	s_and_not1_b32 vcc_lo, exec_lo, s8
	s_cbranch_vccnz .LBB940_7
; %bb.6:
	s_add_u32 s4, s4, s6
	s_addc_u32 s5, s5, s7
	s_load_b32 s5, s[4:5], 0x0
	s_branch .LBB940_8
.LBB940_7:
	s_mov_b32 s5, s34
.LBB940_8:
	s_load_b128 s[16:19], s[0:1], 0x48
	v_and_b32_e32 v68, 15, v0
	v_lshrrev_b32_e32 v69, 5, v0
	v_bfe_u32 v66, v0, 4, 1
	v_and_b32_e32 v70, 31, v0
	v_and_b32_e32 v67, 1, v0
	v_lshlrev_b32_e32 v2, 3, v68
	s_mul_i32 s31, s15, 11
	v_lshl_or_b32 v1, v69, 1, v66
	s_mov_b32 s4, exec_lo
	s_delay_alu instid0(VALU_DEP_2) | instskip(NEXT) | instid1(VALU_DEP_2)
	v_lshlrev_b32_e32 v65, 1, v2
	v_cmpx_gt_u32_e32 11, v1
	s_cbranch_execz .LBB940_10
; %bb.9:
	s_load_b64 s[6:7], s[0:1], 0x0
	v_add_lshl_u32 v2, v1, s31, 7
	s_waitcnt lgkmcnt(0)
	s_mul_hi_i32 s9, s5, s16
	s_mul_i32 s8, s5, s16
	v_lshlrev_b32_e32 v6, 10, v68
	s_lshl_b64 s[8:9], s[8:9], 1
	v_ashrrev_i32_e32 v3, 31, v2
	v_lshlrev_b32_e32 v1, 6, v1
	v_lshlrev_b32_e32 v7, 10, v67
	v_and_b32_e32 v6, 0x3800, v6
	s_delay_alu instid0(VALU_DEP_4) | instskip(NEXT) | instid1(VALU_DEP_2)
	v_lshlrev_b64 v[2:3], 1, v[2:3]
	v_or3_b32 v1, v6, v7, v1
	s_add_u32 s5, s6, s8
	s_addc_u32 s6, s7, s9
	s_delay_alu instid0(VALU_DEP_2) | instskip(NEXT) | instid1(VALU_DEP_3)
	v_add_co_u32 v2, vcc_lo, s5, v2
	v_add_co_ci_u32_e32 v3, vcc_lo, s6, v3, vcc_lo
	s_delay_alu instid0(VALU_DEP_2) | instskip(NEXT) | instid1(VALU_DEP_2)
	v_add_co_u32 v2, vcc_lo, v2, v65
	v_add_co_ci_u32_e32 v3, vcc_lo, 0, v3, vcc_lo
	global_load_b128 v[2:5], v[2:3], off
	s_waitcnt vmcnt(0)
	ds_store_b128 v1, v[2:5]
.LBB940_10:
	s_or_b32 exec_lo, exec_lo, s4
	v_and_b32_e32 v1, 0xef, v0
	s_waitcnt lgkmcnt(0)
	s_add_i32 s5, s24, 15
	s_clause 0x1
	s_load_b32 s4, s[0:1], 0x38
	s_load_b32 s33, s[0:1], 0x98
	s_ashr_i32 s6, s5, 31
	v_add_nc_u32_e32 v1, s12, v1
	s_lshr_b32 s6, s6, 28
	s_load_b32 s19, s[0:1], 0x1c
	s_add_i32 s5, s5, s6
	s_waitcnt lgkmcnt(0)
	v_ashrrev_i32_e32 v2, 31, v1
	v_or_b32_e32 v3, 16, v1
	s_ashr_i32 s13, s5, 4
	v_cmp_gt_i32_e32 vcc_lo, s24, v1
	s_add_i32 s13, s13, -1
	v_lshrrev_b32_e32 v2, 28, v2
	s_barrier
	buffer_gl0_inv
	s_mul_i32 s15, s15, s18
	v_add_nc_u32_e32 v4, v1, v2
	s_mul_i32 s4, s34, s4
	s_delay_alu instid0(SALU_CYCLE_1) | instskip(NEXT) | instid1(VALU_DEP_1)
	s_ashr_i32 s5, s4, 31
	v_ashrrev_i32_e32 v4, 4, v4
	v_add_nc_u32_e32 v2, v3, v2
	s_lshl_b64 s[4:5], s[4:5], 2
	s_delay_alu instid0(SALU_CYCLE_1) | instskip(NEXT) | instid1(VALU_DEP_2)
	s_add_u32 s16, s2, s4
	v_cndmask_b32_e32 v1, s13, v4, vcc_lo
	s_delay_alu instid0(VALU_DEP_2)
	v_ashrrev_i32_e32 v2, 4, v2
	v_cmp_gt_i32_e32 vcc_lo, s24, v3
	s_addc_u32 s25, s3, s5
	s_ashr_i32 s18, s15, 31
	s_add_u32 s26, s20, s15
	s_addc_u32 s27, s21, s18
	v_cndmask_b32_e32 v3, s13, v2, vcc_lo
	v_ashrrev_i32_e32 v2, 31, v1
	s_lshl_b32 s2, s14, 4
	s_delay_alu instid0(SALU_CYCLE_1) | instskip(NEXT) | instid1(VALU_DEP_2)
	s_ashr_i32 s3, s2, 31
	v_ashrrev_i32_e32 v4, 31, v3
	s_delay_alu instid0(VALU_DEP_2) | instskip(SKIP_1) | instid1(SALU_CYCLE_1)
	v_lshlrev_b64 v[1:2], 2, v[1:2]
	s_lshl_b64 s[2:3], s[2:3], 2
	s_add_u32 s2, s16, s2
	s_delay_alu instid0(VALU_DEP_2) | instskip(SKIP_1) | instid1(VALU_DEP_2)
	v_lshlrev_b64 v[3:4], 2, v[3:4]
	s_addc_u32 s3, s25, s3
	v_add_co_u32 v1, vcc_lo, s16, v1
	v_add_co_ci_u32_e32 v2, vcc_lo, s25, v2, vcc_lo
	s_delay_alu instid0(VALU_DEP_3) | instskip(NEXT) | instid1(VALU_DEP_4)
	v_add_co_u32 v3, vcc_lo, s16, v3
	v_add_co_ci_u32_e32 v4, vcc_lo, s25, v4, vcc_lo
	s_clause 0x1
	global_load_b32 v5, v[1:2], off
	global_load_b32 v7, v[3:4], off
	s_or_b32 s4, s12, 32
	v_lshlrev_b32_e32 v1, 4, v0
	s_ashr_i32 s5, s4, 4
	s_cmp_lt_i32 s4, s24
	v_cmp_gt_u32_e32 vcc_lo, 11, v68
	s_cselect_b32 s4, s5, s13
	v_and_b32_e32 v1, 0xf0, v1
	s_ashr_i32 s5, s4, 31
	s_delay_alu instid0(SALU_CYCLE_1) | instskip(NEXT) | instid1(SALU_CYCLE_1)
	s_lshl_b64 s[4:5], s[4:5], 2
	s_add_u32 s4, s16, s4
	s_addc_u32 s5, s25, s5
	s_or_b32 s6, s12, 64
	v_add_co_u32 v1, s26, s26, v1
	s_ashr_i32 s7, s6, 4
	s_cmp_lt_i32 s6, s24
	v_add_co_ci_u32_e64 v2, null, s27, 0, s26
	s_cselect_b32 s6, s7, s13
	s_delay_alu instid0(SALU_CYCLE_1) | instskip(NEXT) | instid1(SALU_CYCLE_1)
	s_ashr_i32 s7, s6, 31
	s_lshl_b64 s[6:7], s[6:7], 2
	s_delay_alu instid0(SALU_CYCLE_1) | instskip(SKIP_2) | instid1(SALU_CYCLE_1)
	s_add_u32 s6, s16, s6
	s_addc_u32 s7, s25, s7
	s_or_b32 s8, s12, 0x60
	s_ashr_i32 s9, s8, 4
	s_cmp_lt_i32 s8, s24
	s_cselect_b32 s8, s9, s13
	s_delay_alu instid0(SALU_CYCLE_1) | instskip(NEXT) | instid1(SALU_CYCLE_1)
	s_ashr_i32 s9, s8, 31
	s_lshl_b64 s[8:9], s[8:9], 2
	s_delay_alu instid0(SALU_CYCLE_1) | instskip(SKIP_2) | instid1(SALU_CYCLE_1)
	s_add_u32 s8, s16, s8
	s_addc_u32 s9, s25, s9
	s_or_b32 s10, s12, 0x80
	s_ashr_i32 s11, s10, 4
	s_cmp_lt_i32 s10, s24
	;; [unrolled: 10-line block ×3, first 2 shown]
	s_cselect_b32 s20, s21, s13
	s_delay_alu instid0(SALU_CYCLE_1) | instskip(NEXT) | instid1(SALU_CYCLE_1)
	s_ashr_i32 s21, s20, 31
	s_lshl_b64 s[20:21], s[20:21], 2
	s_delay_alu instid0(SALU_CYCLE_1)
	s_add_u32 s20, s16, s20
	s_addc_u32 s21, s25, s21
	s_clause 0x5
	s_load_b32 s26, s[2:3], 0x0
	s_load_b32 s27, s[4:5], 0x0
	;; [unrolled: 1-line block ×6, first 2 shown]
	s_or_b32 s2, s12, 0xc0
	s_mov_b32 s4, 0
	s_ashr_i32 s3, s2, 4
	s_cmp_lt_i32 s2, s24
	s_mov_b32 s11, s4
	s_cselect_b32 s2, s3, s13
	s_mov_b32 s5, s4
	s_ashr_i32 s3, s2, 31
	s_mov_b32 s6, s4
	s_lshl_b64 s[2:3], s[2:3], 2
	s_mov_b32 s7, s4
	s_add_u32 s2, s16, s2
	s_addc_u32 s3, s25, s3
	s_or_b32 s20, s12, 0xe0
	s_mov_b32 s8, s4
	s_ashr_i32 s21, s20, 4
	s_cmp_lt_i32 s20, s24
	s_mov_b32 s9, s4
	s_cselect_b32 s20, s21, s13
	s_mov_b32 s10, s4
	s_ashr_i32 s21, s20, 31
	v_mov_b32_e32 v118, s11
	v_dual_mov_b32 v112, s5 :: v_dual_mov_b32 v117, s10
	v_dual_mov_b32 v116, s9 :: v_dual_mov_b32 v115, s8
	;; [unrolled: 1-line block ×3, first 2 shown]
	v_mov_b32_e32 v111, s4
	s_lshl_b64 s[4:5], s[20:21], 2
	s_delay_alu instid0(SALU_CYCLE_1)
	s_add_u32 s4, s16, s4
	s_addc_u32 s5, s25, s5
	s_add_u32 s6, s22, s15
	s_addc_u32 s7, s23, s18
	s_waitcnt vmcnt(1)
	v_mad_i64_i32 v[3:4], null, v5, s17, v[1:2]
	s_waitcnt vmcnt(0)
	v_mad_i64_i32 v[5:6], null, v7, s17, v[1:2]
	v_add_nc_u32_e32 v1, -11, v68
	v_lshlrev_b32_e32 v2, 4, v68
	s_clause 0xf
	global_load_b128 v[17:20], v[3:4], off
	global_load_b128 v[21:24], v[3:4], off offset:256
	global_load_b128 v[25:28], v[5:6], off
	global_load_b128 v[29:32], v[5:6], off offset:256
	global_load_b128 v[57:60], v[3:4], off offset:512
	;; [unrolled: 1-line block ×13, first 2 shown]
	v_cndmask_b32_e32 v1, v1, v68, vcc_lo
	s_delay_alu instid0(VALU_DEP_1)
	v_lshlrev_b32_e32 v149, 6, v1
	v_lshl_or_b32 v1, v69, 8, v2
	ds_load_b128 v[119:122], v149
	ds_load_b128 v[123:126], v149 offset:1024
	ds_load_b128 v[127:130], v149 offset:2048
	;; [unrolled: 1-line block ×3, first 2 shown]
	s_clause 0x1
	s_load_b32 s2, s[2:3], 0x0
	s_load_b32 s3, s[4:5], 0x0
	v_add_co_u32 v135, s6, s6, v1
	s_delay_alu instid0(VALU_DEP_1) | instskip(SKIP_1) | instid1(VALU_DEP_1)
	v_add_co_ci_u32_e64 v136, null, s7, 0, s6
	s_waitcnt lgkmcnt(0)
	v_mad_i64_i32 v[1:2], null, s26, s17, v[135:136]
	v_mad_i64_i32 v[3:4], null, s27, s17, v[135:136]
	;; [unrolled: 1-line block ×6, first 2 shown]
	s_clause 0x9
	global_load_b128 v[49:52], v[1:2], off
	global_load_b128 v[53:56], v[1:2], off offset:16
	global_load_b128 v[41:44], v[3:4], off
	global_load_b128 v[45:48], v[3:4], off offset:16
	;; [unrolled: 2-line block ×5, first 2 shown]
	v_mad_i64_i32 v[145:146], null, s2, s17, v[135:136]
	v_mad_i64_i32 v[147:148], null, s3, s17, v[135:136]
	s_waitcnt vmcnt(24)
	v_wmma_f32_16x16x16_f16 v[135:142], v[17:24], v[119:126], v[111:118]
	s_waitcnt vmcnt(22)
	v_wmma_f32_16x16x16_f16 v[111:118], v[25:32], v[119:126], v[111:118]
	s_clause 0x3
	global_load_b128 v[17:20], v[143:144], off
	global_load_b128 v[21:24], v[143:144], off offset:16
	global_load_b128 v[25:28], v[145:146], off
	global_load_b128 v[29:32], v[145:146], off offset:16
	v_and_b32_e32 v119, 0xe0, v0
	s_waitcnt vmcnt(24)
	v_wmma_f32_16x16x16_f16 v[135:142], v[57:64], v[127:134], v[135:142]
	s_clause 0x1
	global_load_b128 v[57:60], v[147:148], off
	global_load_b128 v[61:64], v[147:148], off offset:16
	s_waitcnt vmcnt(24)
	v_wmma_f32_16x16x16_f16 v[111:118], v[71:78], v[127:134], v[111:118]
	ds_load_b128 v[71:74], v149 offset:4096
	ds_load_b128 v[75:78], v149 offset:5120
	v_add_nc_u32_e32 v128, s12, v119
	ds_load_b128 v[119:122], v149 offset:6144
	ds_load_b128 v[123:126], v149 offset:7168
	v_mbcnt_lo_u32_b32 v127, -1, 0
	s_waitcnt vmcnt(0) lgkmcnt(0)
	s_barrier
	v_or_b32_e32 v128, v128, v66
	buffer_gl0_inv
	v_xor_b32_e32 v129, 16, v127
	v_or_b32_e32 v130, 4, v128
	v_or_b32_e32 v131, 6, v128
	s_delay_alu instid0(VALU_DEP_3) | instskip(SKIP_4) | instid1(VALU_DEP_4)
	v_cmp_gt_i32_e32 vcc_lo, 32, v129
	v_or_b32_e32 v132, 8, v128
	v_or_b32_e32 v133, 10, v128
	v_cmp_gt_i32_e64 s3, s24, v130
	v_cmp_gt_i32_e64 s4, s24, v131
	;; [unrolled: 1-line block ×3, first 2 shown]
	v_wmma_f32_16x16x16_f16 v[135:142], v[79:86], v[71:78], v[135:142]
	v_wmma_f32_16x16x16_f16 v[111:118], v[87:94], v[71:78], v[111:118]
	v_or_b32_e32 v79, 12, v128
	v_or_b32_e32 v80, 14, v128
	v_cmp_gt_i32_e64 s6, s24, v133
	v_wmma_f32_16x16x16_f16 v[135:142], v[95:102], v[119:126], v[135:142]
	v_wmma_f32_16x16x16_f16 v[111:118], v[103:110], v[119:126], v[111:118]
	v_cndmask_b32_e32 v127, v127, v129, vcc_lo
	v_or_b32_e32 v129, 2, v128
	v_cmp_gt_i32_e32 vcc_lo, s24, v128
	v_mul_f32_e32 v88, s19, v135
	v_dual_mul_f32 v92, s19, v115 :: v_dual_mul_f32 v87, s19, v136
	s_delay_alu instid0(VALU_DEP_4)
	v_cmp_gt_i32_e64 s2, s24, v129
	v_mul_f32_e32 v78, s19, v138
	v_mul_f32_e32 v86, s19, v137
	v_cndmask_b32_e32 v88, 0xff7fffff, v88, vcc_lo
	v_mul_f32_e32 v76, s19, v140
	v_cndmask_b32_e64 v87, 0xff7fffff, v87, s2
	v_dual_mul_f32 v77, s19, v139 :: v_dual_mul_f32 v94, s19, v113
	v_cndmask_b32_e64 v86, 0xff7fffff, v86, s3
	v_cndmask_b32_e64 v78, 0xff7fffff, v78, s4
	s_delay_alu instid0(VALU_DEP_4)
	v_max3_f32 v87, v88, 0xff7fffff, v87
	v_or_b32_e32 v81, 16, v128
	v_or_b32_e32 v82, 18, v128
	v_dual_mul_f32 v74, s19, v142 :: v_dual_mul_f32 v75, s19, v141
	v_mul_f32_e32 v96, s19, v111
	v_cndmask_b32_e64 v77, 0xff7fffff, v77, s5
	v_cndmask_b32_e64 v76, 0xff7fffff, v76, s6
	v_max3_f32 v78, v87, v86, v78
	v_cmp_gt_i32_e64 s7, s24, v79
	v_cmp_gt_i32_e64 s8, s24, v80
	v_or_b32_e32 v83, 20, v128
	v_or_b32_e32 v84, 22, v128
	v_mul_f32_e32 v95, s19, v112
	v_cndmask_b32_e64 v75, 0xff7fffff, v75, s7
	v_cndmask_b32_e64 v74, 0xff7fffff, v74, s8
	v_max3_f32 v76, v78, v77, v76
	v_cmp_gt_i32_e64 s9, s24, v81
	v_cmp_gt_i32_e64 s10, s24, v82
	v_or_b32_e32 v85, 24, v128
	v_or_b32_e32 v71, 26, v128
	;; [unrolled: 8-line block ×3, first 2 shown]
	v_mul_f32_e32 v91, s19, v116
	v_cndmask_b32_e64 v75, 0xff7fffff, v94, s11
	v_cndmask_b32_e64 v76, 0xff7fffff, v93, s12
	v_max3_f32 v74, v74, v77, v78
	v_cmp_gt_i32_e64 s13, s24, v85
	v_cmp_gt_i32_e64 s15, s24, v71
	v_dual_mul_f32 v89, s19, v118 :: v_dual_mul_f32 v90, s19, v117
	s_delay_alu instid0(VALU_DEP_4) | instskip(NEXT) | instid1(VALU_DEP_4)
	v_max3_f32 v74, v74, v75, v76
	v_cndmask_b32_e64 v77, 0xff7fffff, v92, s13
	s_delay_alu instid0(VALU_DEP_4) | instskip(SKIP_2) | instid1(VALU_DEP_3)
	v_cndmask_b32_e64 v71, 0xff7fffff, v91, s15
	v_cmp_gt_i32_e64 s16, s24, v72
	v_cmp_gt_i32_e64 s17, s24, v73
	v_max3_f32 v71, v74, v77, v71
	s_delay_alu instid0(VALU_DEP_3) | instskip(NEXT) | instid1(VALU_DEP_3)
	v_cndmask_b32_e64 v72, 0xff7fffff, v90, s16
	v_cndmask_b32_e64 v73, 0xff7fffff, v89, s17
	v_lshlrev_b32_e32 v74, 2, v127
	s_delay_alu instid0(VALU_DEP_2) | instskip(SKIP_3) | instid1(VALU_DEP_1)
	v_max3_f32 v71, v71, v72, v73
	ds_bpermute_b32 v72, v74, v71
	s_waitcnt lgkmcnt(0)
	v_max_f32_e32 v72, v72, v72
	v_max_f32_e32 v71, v71, v72
	s_delay_alu instid0(VALU_DEP_1) | instskip(SKIP_4) | instid1(VALU_DEP_4)
	v_fma_f32 v72, s19, v135, -v71
	v_fma_f32 v73, s19, v136, -v71
	;; [unrolled: 1-line block ×5, first 2 shown]
	v_dual_mul_f32 v72, 0x3fb8aa3b, v72 :: v_dual_mul_f32 v73, 0x3fb8aa3b, v73
	v_fma_f32 v80, s19, v141, -v71
	s_delay_alu instid0(VALU_DEP_3) | instskip(NEXT) | instid1(VALU_DEP_3)
	v_dual_mul_f32 v76, 0x3fb8aa3b, v76 :: v_dual_mul_f32 v77, 0x3fb8aa3b, v77
	v_exp_f32_e32 v72, v72
	s_delay_alu instid0(VALU_DEP_3) | instskip(NEXT) | instid1(VALU_DEP_2)
	v_exp_f32_e32 v73, v73
	v_mul_f32_e32 v82, 0x3fb8aa3b, v80
	s_delay_alu instid0(VALU_DEP_2) | instskip(SKIP_1) | instid1(VALU_DEP_1)
	v_exp_f32_e32 v76, v76
	v_exp_f32_e32 v77, v77
	v_exp_f32_e32 v84, v82
	v_cndmask_b32_e32 v79, 0, v72, vcc_lo
	v_fma_f32 v72, s19, v140, -v71
	v_mul_f32_e32 v75, 0x3fb8aa3b, v75
	v_cndmask_b32_e64 v78, 0, v73, s2
	s_delay_alu instid0(TRANS32_DEP_3) | instskip(NEXT) | instid1(VALU_DEP_4)
	v_cndmask_b32_e64 v80, 0, v76, s4
	v_dual_add_f32 v73, 0, v79 :: v_dual_mul_f32 v72, 0x3fb8aa3b, v72
	s_delay_alu instid0(VALU_DEP_4) | instskip(NEXT) | instid1(TRANS32_DEP_3)
	v_exp_f32_e32 v75, v75
	v_cndmask_b32_e64 v83, 0, v77, s5
	s_delay_alu instid0(TRANS32_DEP_2) | instskip(NEXT) | instid1(VALU_DEP_3)
	v_cndmask_b32_e64 v85, 0, v84, s7
	v_add_f32_e32 v73, v73, v78
	v_exp_f32_e32 v72, v72
	v_cmp_gt_u32_e64 s2, 16, v70
	s_waitcnt_depctr 0xfff
	v_cndmask_b32_e64 v81, 0, v75, s3
	v_cndmask_b32_e64 v82, 0, v72, s6
	s_delay_alu instid0(VALU_DEP_2) | instskip(NEXT) | instid1(VALU_DEP_1)
	v_add_f32_e32 v73, v73, v81
	v_add_f32_e32 v73, v73, v80
	s_delay_alu instid0(VALU_DEP_1) | instskip(NEXT) | instid1(VALU_DEP_1)
	v_add_f32_e32 v72, v73, v83
	v_add_f32_e32 v72, v72, v82
	s_delay_alu instid0(VALU_DEP_1)
	v_add_f32_e32 v72, v72, v85
	v_fma_f32 v76, s19, v111, -v71
	v_fma_f32 v75, s19, v142, -v71
	;; [unrolled: 1-line block ×5, first 2 shown]
	v_mul_f32_e32 v76, 0x3fb8aa3b, v76
	s_delay_alu instid0(VALU_DEP_4) | instskip(NEXT) | instid1(VALU_DEP_2)
	v_mul_f32_e32 v86, 0x3fb8aa3b, v86
	v_exp_f32_e32 v76, v76
	s_delay_alu instid0(VALU_DEP_1)
	v_exp_f32_e32 v88, v86
	s_waitcnt_depctr 0xfff
	v_cndmask_b32_e64 v87, 0, v76, s9
	v_fma_f32 v76, s19, v116, -v71
	v_mul_f32_e32 v75, 0x3fb8aa3b, v75
	v_cndmask_b32_e64 v88, 0, v88, s12
	s_delay_alu instid0(VALU_DEP_3) | instskip(NEXT) | instid1(VALU_DEP_3)
	v_dual_mul_f32 v73, 0x3fb8aa3b, v73 :: v_dual_mul_f32 v76, 0x3fb8aa3b, v76
	v_exp_f32_e32 v75, v75
	s_delay_alu instid0(VALU_DEP_1) | instskip(NEXT) | instid1(VALU_DEP_1)
	v_exp_f32_e32 v73, v73
	v_exp_f32_e32 v76, v76
	s_delay_alu instid0(TRANS32_DEP_3)
	v_cndmask_b32_e64 v84, 0, v75, s8
	v_fma_f32 v75, s19, v115, -v71
	s_waitcnt_depctr 0xfff
	v_cndmask_b32_e64 v89, 0, v73, s11
	v_cndmask_b32_e64 v90, 0, v76, s15
	v_add_f32_e32 v72, v72, v84
	s_delay_alu instid0(VALU_DEP_1) | instskip(NEXT) | instid1(VALU_DEP_1)
	v_dual_add_f32 v72, v72, v87 :: v_dual_mul_f32 v77, 0x3fb8aa3b, v77
	v_exp_f32_e32 v77, v77
	s_waitcnt_depctr 0xfff
	v_cndmask_b32_e64 v86, 0, v77, s10
	v_fma_f32 v77, s19, v117, -v71
	s_delay_alu instid0(VALU_DEP_2) | instskip(NEXT) | instid1(VALU_DEP_1)
	v_dual_add_f32 v72, v72, v86 :: v_dual_mul_f32 v75, 0x3fb8aa3b, v75
	v_add_f32_e32 v72, v72, v89
	s_delay_alu instid0(VALU_DEP_2) | instskip(NEXT) | instid1(VALU_DEP_1)
	v_exp_f32_e32 v75, v75
	v_add_f32_e32 v72, v72, v88
	s_waitcnt_depctr 0xfff
	v_cndmask_b32_e64 v91, 0, v75, s13
	v_mul_f32_e32 v73, 0x3fb8aa3b, v77
	v_fma_f32 v77, s19, v118, -v71
	s_delay_alu instid0(VALU_DEP_3) | instskip(NEXT) | instid1(VALU_DEP_3)
	v_add_f32_e32 v72, v72, v91
	v_exp_f32_e32 v73, v73
	s_delay_alu instid0(VALU_DEP_1) | instskip(NEXT) | instid1(VALU_DEP_1)
	v_dual_mul_f32 v75, 0x3fb8aa3b, v77 :: v_dual_add_f32 v72, v72, v90
	v_exp_f32_e32 v75, v75
	s_waitcnt_depctr 0xfff
	v_cndmask_b32_e64 v93, 0, v73, s16
	s_delay_alu instid0(VALU_DEP_1) | instskip(SKIP_1) | instid1(VALU_DEP_1)
	v_add_f32_e32 v72, v72, v93
	v_cndmask_b32_e64 v92, 0, v75, s17
	v_add_f32_e32 v72, v72, v92
	ds_bpermute_b32 v73, v74, v72
	s_and_saveexec_b32 s3, s2
	s_cbranch_execz .LBB940_12
; %bb.11:
	v_mul_u32_u24_e32 v70, 0x44, v69
	s_waitcnt lgkmcnt(0)
	v_add_f32_e32 v72, v72, v73
	s_delay_alu instid0(VALU_DEP_2) | instskip(NEXT) | instid1(VALU_DEP_1)
	v_lshl_add_u32 v70, v68, 2, v70
	v_add_nc_u32_e32 v70, 0x4000, v70
	ds_store_2addr_b32 v70, v71, v72 offset1:136
.LBB940_12:
	s_or_b32 exec_lo, exec_lo, s3
	v_lshlrev_b32_e32 v70, 2, v68
	s_load_b32 s35, s[0:1], 0x94
	s_waitcnt lgkmcnt(0)
	s_barrier
	buffer_gl0_inv
	v_add_nc_u32_e32 v98, 0x4000, v70
	v_cmp_eq_u32_e32 vcc_lo, 1, v69
	v_cmp_eq_u32_e64 s3, 2, v69
	v_cmp_eq_u32_e64 s4, 3, v69
	;; [unrolled: 1-line block ×3, first 2 shown]
	ds_load_2addr_b32 v[70:71], v98 offset1:17
	ds_load_2addr_b32 v[72:73], v98 offset0:34 offset1:51
	ds_load_2addr_b32 v[74:75], v98 offset0:68 offset1:85
	;; [unrolled: 1-line block ×3, first 2 shown]
	v_cmp_eq_u32_e64 s6, 5, v69
	v_cmp_eq_u32_e64 s7, 7, v69
	s_waitcnt lgkmcnt(3)
	v_max3_f32 v76, v70, 0xff7fffff, v71
	s_waitcnt lgkmcnt(2)
	s_delay_alu instid0(VALU_DEP_1) | instskip(SKIP_1) | instid1(VALU_DEP_1)
	v_max3_f32 v76, v76, v72, v73
	s_waitcnt lgkmcnt(1)
	v_max3_f32 v76, v76, v74, v75
	s_waitcnt lgkmcnt(0)
	s_delay_alu instid0(VALU_DEP_1) | instskip(NEXT) | instid1(VALU_DEP_1)
	v_max3_f32 v76, v76, v94, v95
	v_sub_f32_e32 v77, v71, v76
	ds_load_2addr_b32 v[96:97], v98 offset0:136 offset1:153
	v_sub_f32_e32 v74, v74, v76
	v_sub_f32_e32 v70, v70, v76
	;; [unrolled: 1-line block ×3, first 2 shown]
	v_dual_sub_f32 v72, v72, v76 :: v_dual_mul_f32 v77, 0x3fb8aa3b, v77
	s_delay_alu instid0(VALU_DEP_4) | instskip(NEXT) | instid1(VALU_DEP_4)
	v_mul_f32_e32 v103, 0x3fb8aa3b, v74
	v_mul_f32_e32 v99, 0x3fb8aa3b, v70
	ds_load_2addr_b32 v[70:71], v98 offset0:170 offset1:187
	v_dual_mul_f32 v101, 0x3fb8aa3b, v72 :: v_dual_mul_f32 v94, 0x3fb8aa3b, v94
	v_exp_f32_e32 v102, v77
	v_exp_f32_e32 v99, v99
	s_delay_alu instid0(VALU_DEP_1) | instskip(NEXT) | instid1(VALU_DEP_1)
	v_exp_f32_e32 v101, v101
	v_exp_f32_e32 v94, v94
	s_waitcnt lgkmcnt(1)
	s_delay_alu instid0(TRANS32_DEP_3)
	v_fma_f32 v77, v99, v96, 0
	v_sub_f32_e32 v100, v73, v76
	ds_load_2addr_b32 v[72:73], v98 offset0:204 offset1:221
	v_fmac_f32_e32 v77, v102, v97
	v_exp_f32_e32 v97, v103
	s_waitcnt lgkmcnt(1)
	s_delay_alu instid0(VALU_DEP_1)
	v_dual_fmac_f32 v77, v101, v70 :: v_dual_sub_f32 v96, v75, v76
	ds_load_2addr_b32 v[74:75], v98 offset0:238 offset1:255
	v_sub_f32_e32 v70, v95, v76
	s_waitcnt lgkmcnt(0)
	s_barrier
	v_mul_f32_e32 v96, 0x3fb8aa3b, v96
	buffer_gl0_inv
	v_exp_f32_e32 v95, v96
	v_mul_f32_e32 v100, 0x3fb8aa3b, v100
	s_delay_alu instid0(VALU_DEP_1) | instskip(SKIP_3) | instid1(VALU_DEP_2)
	v_exp_f32_e32 v100, v100
	s_waitcnt_depctr 0xfff
	v_dual_fmac_f32 v77, v100, v71 :: v_dual_mul_f32 v70, 0x3fb8aa3b, v70
	v_cndmask_b32_e32 v71, v99, v102, vcc_lo
	v_fmac_f32_e32 v77, v97, v72
	s_delay_alu instid0(VALU_DEP_3) | instskip(NEXT) | instid1(VALU_DEP_1)
	v_exp_f32_e32 v96, v70
	v_fmac_f32_e32 v77, v95, v73
	s_delay_alu instid0(VALU_DEP_1) | instskip(SKIP_2) | instid1(VALU_DEP_1)
	v_fmac_f32_e32 v77, v94, v74
	s_waitcnt_depctr 0xfff
	v_fmac_f32_e32 v77, v96, v75
	v_add_f32_e32 v74, 0x358637bd, v77
	s_delay_alu instid0(VALU_DEP_1) | instskip(SKIP_1) | instid1(VALU_DEP_2)
	v_div_scale_f32 v98, null, v74, v74, 1.0
	v_div_scale_f32 v99, vcc_lo, 1.0, v74, 1.0
	v_rcp_f32_e32 v103, v98
	s_waitcnt_depctr 0xfff
	v_fma_f32 v70, -v98, v103, 1.0
	s_delay_alu instid0(VALU_DEP_1) | instskip(SKIP_2) | instid1(VALU_DEP_2)
	v_fmac_f32_e32 v103, v70, v103
	v_cndmask_b32_e64 v70, v71, v101, s3
	v_cmp_eq_u32_e64 s3, 6, v69
	v_cndmask_b32_e64 v71, v70, v100, s4
	s_delay_alu instid0(VALU_DEP_4) | instskip(NEXT) | instid1(VALU_DEP_2)
	v_dual_mul_f32 v101, v99, v103 :: v_dual_lshlrev_b32 v70, 2, v66
	v_cndmask_b32_e64 v71, v71, v97, s5
	s_delay_alu instid0(VALU_DEP_2) | instskip(NEXT) | instid1(VALU_DEP_3)
	v_or_b32_e32 v72, 1, v70
	v_fma_f32 v100, -v98, v101, v99
	v_cmp_eq_u32_e64 s4, 1, v70
	v_cmp_eq_u32_e64 s5, 2, v70
	v_cndmask_b32_e64 v95, v71, v95, s6
	v_or_b32_e32 v71, 3, v70
	v_fmac_f32_e32 v101, v100, v103
	v_cmp_eq_u32_e64 s9, 1, v72
	v_cmp_eq_u32_e64 s12, 2, v72
	v_cndmask_b32_e64 v94, v95, v94, s3
	v_cmp_eq_u32_e64 s11, 1, v71
	v_fma_f32 v97, -v98, v101, v99
	v_cmp_eq_u32_e64 s16, 2, v71
	v_cmp_eq_u32_e64 s13, 3, v72
	v_cndmask_b32_e64 v94, v94, v96, s7
	v_cmp_eq_u32_e64 s18, 3, v71
	v_div_fmas_f32 v95, v97, v103, v101
	v_cmp_eq_u32_e32 vcc_lo, 3, v70
	v_cmp_eq_u32_e64 s3, 4, v70
	v_cmp_eq_u32_e64 s19, 4, v72
	;; [unrolled: 1-line block ×3, first 2 shown]
	v_div_fixup_f32 v95, v95, v74, 1.0
	v_lshlrev_b32_e32 v73, 6, v68
	v_cmp_eq_u32_e64 s6, 5, v70
	v_cmp_eq_u32_e64 s20, 5, v72
	;; [unrolled: 1-line block ×3, first 2 shown]
	v_mul_f32_e32 v102, v94, v95
	v_lshl_or_b32 v75, v69, 11, v73
	v_or_b32_e32 v69, 2, v70
	v_cmp_eq_u32_e64 s25, 6, v72
	v_cmp_eq_u32_e64 s27, 6, v71
	v_fma_mixlo_f16 v94, v102, v79, 0
	v_fma_mixlo_f16 v95, v102, v81, 0
	;; [unrolled: 1-line block ×8, first 2 shown]
	v_lshl_or_b32 v74, v66, 4, v75
	v_fma_mixhi_f16 v94, v102, v78, 0
	v_fma_mixhi_f16 v95, v102, v80, 0
	;; [unrolled: 1-line block ×8, first 2 shown]
	ds_store_b128 v74, v[94:97]
	ds_store_b128 v74, v[98:101] offset:1024
	s_waitcnt lgkmcnt(0)
	s_barrier
	buffer_gl0_inv
	ds_load_b128 v[78:81], v75
	ds_load_b128 v[82:85], v75 offset:16
	ds_load_b128 v[86:89], v75 offset:1024
	;; [unrolled: 1-line block ×3, first 2 shown]
	v_cmp_eq_u32_e64 s10, 1, v69
	v_cmp_eq_u32_e64 s15, 2, v69
	;; [unrolled: 1-line block ×11, first 2 shown]
	s_waitcnt lgkmcnt(3)
	v_lshrrev_b32_e32 v94, 16, v78
	s_waitcnt lgkmcnt(2)
	v_lshrrev_b32_e32 v98, 16, v82
	s_waitcnt lgkmcnt(1)
	v_lshrrev_b32_e32 v102, 16, v86
	s_waitcnt lgkmcnt(0)
	v_lshrrev_b32_e32 v106, 16, v90
	v_lshrrev_b32_e32 v95, 16, v79
	v_cndmask_b32_e64 v110, v78, v94, s4
	v_cndmask_b32_e64 v111, v82, v98, s4
	;; [unrolled: 1-line block ×8, first 2 shown]
	v_lshrrev_b32_e32 v99, 16, v83
	v_cndmask_b32_e64 v94, v86, v102, s4
	v_cndmask_b32_e64 v98, v90, v106, s4
	;; [unrolled: 1-line block ×15, first 2 shown]
	v_lshrrev_b32_e32 v103, 16, v87
	v_lshrrev_b32_e32 v107, 16, v91
	v_cndmask_b32_e64 v113, v115, v83, s15
	v_cndmask_b32_e64 v82, v94, v87, s5
	;; [unrolled: 1-line block ×7, first 2 shown]
	v_cndmask_b32_e32 v90, v102, v95, vcc_lo
	v_cndmask_b32_e32 v102, v106, v99, vcc_lo
	v_cndmask_b32_e64 v106, v110, v95, s13
	v_cndmask_b32_e64 v110, v111, v99, s13
	;; [unrolled: 1-line block ×4, first 2 shown]
	v_lshrrev_b32_e32 v96, 16, v80
	v_lshrrev_b32_e32 v100, 16, v84
	v_cndmask_b32_e64 v111, v112, v95, s17
	v_cndmask_b32_e64 v112, v113, v99, s17
	v_cndmask_b32_e32 v82, v82, v103, vcc_lo
	v_cndmask_b32_e32 v83, v83, v107, vcc_lo
	v_cndmask_b32_e64 v94, v94, v103, s13
	v_cndmask_b32_e64 v90, v90, v80, s3
	;; [unrolled: 1-line block ×7, first 2 shown]
	v_lshrrev_b32_e32 v104, 16, v88
	v_cndmask_b32_e64 v106, v111, v80, s21
	v_cndmask_b32_e64 v110, v112, v84, s21
	;; [unrolled: 1-line block ×11, first 2 shown]
	v_lshrrev_b32_e32 v97, 16, v81
	v_lshrrev_b32_e32 v101, 16, v85
	v_cndmask_b32_e64 v99, v106, v96, s23
	v_cndmask_b32_e64 v102, v110, v100, s23
	;; [unrolled: 1-line block ×7, first 2 shown]
	v_lshrrev_b32_e32 v105, 16, v89
	v_cndmask_b32_e64 v80, v80, v104, s6
	v_cndmask_b32_e64 v84, v84, v81, s7
	;; [unrolled: 1-line block ×16, first 2 shown]
	v_perm_b32 v81, v79, v78, 0x5040100
	v_perm_b32 v79, v95, v85, 0x5040100
	v_cndmask_b32_e64 v78, v119, v91, s15
	v_cndmask_b32_e64 v85, v117, v91, s12
	;; [unrolled: 1-line block ×3, first 2 shown]
	v_perm_b32 v80, v94, v90, 0x5040100
	v_cndmask_b32_e64 v90, v98, v103, s17
	v_cndmask_b32_e64 v86, v86, v103, s18
	;; [unrolled: 1-line block ×5, first 2 shown]
	v_lshrrev_b32_e32 v108, 16, v92
	v_cndmask_b32_e64 v90, v90, v88, s21
	v_cndmask_b32_e64 v86, v86, v88, s22
	;; [unrolled: 1-line block ×11, first 2 shown]
	v_lshrrev_b32_e32 v109, 16, v93
	v_cndmask_b32_e64 v82, v82, v93, s7
	v_cndmask_b32_e64 v88, v88, v89, s26
	;; [unrolled: 1-line block ×12, first 2 shown]
	v_perm_b32 v78, v84, v83, 0x5040100
	v_perm_b32 v85, v87, v86, 0x5040100
	;; [unrolled: 1-line block ×5, first 2 shown]
	s_mul_i32 s8, s33, 11
	s_mov_b32 s3, exec_lo
	ds_store_b128 v74, v[78:81]
	ds_store_b128 v74, v[82:85] offset:1024
	v_cmpx_gt_u32_e32 11, v0
	s_cbranch_execz .LBB940_14
; %bb.13:
	s_mul_i32 s4, s8, s34
	s_delay_alu instid0(SALU_CYCLE_1) | instskip(SKIP_1) | instid1(VALU_DEP_1)
	v_add3_u32 v68, s4, s31, v68
	s_load_b128 s[4:7], s[0:1], 0x58
	v_mad_u64_u32 v[78:79], null, v68, s35, s[14:15]
	s_delay_alu instid0(VALU_DEP_1) | instskip(NEXT) | instid1(VALU_DEP_1)
	v_ashrrev_i32_e32 v79, 31, v78
	v_lshlrev_b64 v[78:79], 2, v[78:79]
	s_waitcnt lgkmcnt(0)
	s_delay_alu instid0(VALU_DEP_1) | instskip(NEXT) | instid1(VALU_DEP_2)
	v_add_co_u32 v80, vcc_lo, s6, v78
	v_add_co_ci_u32_e32 v81, vcc_lo, s7, v79, vcc_lo
	v_add_co_u32 v78, vcc_lo, s4, v78
	v_add_co_ci_u32_e32 v79, vcc_lo, s5, v79, vcc_lo
	global_store_b32 v[80:81], v76, off
	global_store_b32 v[78:79], v77, off
.LBB940_14:
	s_or_b32 exec_lo, exec_lo, s3
	s_waitcnt lgkmcnt(0)
	s_waitcnt_vscnt null, 0x0
	s_barrier
	buffer_gl0_inv
	ds_load_b128 v[84:87], v73
	ds_load_b128 v[88:91], v73 offset:16
	ds_load_b128 v[96:99], v73 offset:2064
	ds_load_b128 v[92:95], v73 offset:2048
	ds_load_b128 v[104:107], v73 offset:4112
	ds_load_b128 v[100:103], v73 offset:4096
	v_cmp_eq_u32_e32 vcc_lo, 1, v70
	v_mov_b32_e32 v76, 0
	ds_load_b128 v[112:115], v73 offset:6160
	ds_load_b128 v[108:111], v73 offset:6144
	;; [unrolled: 1-line block ×4, first 2 shown]
	v_cmp_eq_u32_e64 s4, 1, v69
	v_cmp_eq_u32_e64 s3, 1, v72
	v_cmp_eq_u32_e64 s5, 2, v72
	v_mov_b32_e32 v77, v76
	v_mov_b32_e32 v78, v76
	;; [unrolled: 1-line block ×7, first 2 shown]
	v_cmp_eq_u32_e64 s6, 3, v72
	v_cmp_eq_u32_e64 s7, 7, v72
	s_waitcnt lgkmcnt(8)
	s_delay_alu instid0(VALU_DEP_3)
	v_wmma_f32_16x16x16_f16 v[76:83], v[49:56], v[84:91], v[76:83]
	ds_load_b128 v[53:56], v73 offset:10256
	ds_load_b128 v[49:52], v73 offset:10240
	s_waitcnt lgkmcnt(8)
	v_wmma_f32_16x16x16_f16 v[76:83], v[41:48], v[92:99], v[76:83]
	ds_load_b128 v[45:48], v73 offset:12304
	ds_load_b128 v[41:44], v73 offset:12288
	s_waitcnt lgkmcnt(8)
	;; [unrolled: 4-line block ×3, first 2 shown]
	s_barrier
	buffer_gl0_inv
	v_wmma_f32_16x16x16_f16 v[76:83], v[1:8], v[108:115], v[76:83]
	s_delay_alu instid0(VALU_DEP_1) | instskip(NEXT) | instid1(VALU_DEP_1)
	v_wmma_f32_16x16x16_f16 v[76:83], v[9:16], v[116:123], v[76:83]
	v_wmma_f32_16x16x16_f16 v[76:83], v[17:24], v[49:56], v[76:83]
	s_delay_alu instid0(VALU_DEP_1) | instskip(NEXT) | instid1(VALU_DEP_1)
	v_wmma_f32_16x16x16_f16 v[76:83], v[25:32], v[41:48], v[76:83]
	v_wmma_f32_16x16x16_f16 v[76:83], v[57:64], v[33:40], v[76:83]
	s_delay_alu instid0(VALU_DEP_1) | instskip(NEXT) | instid1(VALU_DEP_2)
	v_cvt_f16_f32_e32 v1, v76
	v_cvt_f16_f32_e32 v2, v77
	s_delay_alu instid0(VALU_DEP_3) | instskip(NEXT) | instid1(VALU_DEP_4)
	v_cvt_f16_f32_e32 v3, v78
	v_cvt_f16_f32_e32 v4, v79
	v_cvt_f16_f32_e32 v5, v80
	v_cvt_f16_f32_e32 v6, v81
	v_cvt_f16_f32_e32 v7, v82
	v_cvt_f16_f32_e32 v8, v83
	v_pack_b32_f16 v1, v1, v2
	v_pack_b32_f16 v2, v3, v4
	;; [unrolled: 1-line block ×3, first 2 shown]
	s_delay_alu instid0(VALU_DEP_4)
	v_pack_b32_f16 v4, v7, v8
	ds_store_b128 v74, v[1:4]
	s_waitcnt lgkmcnt(0)
	s_barrier
	buffer_gl0_inv
	ds_load_b128 v[1:4], v75
	ds_load_b128 v[5:8], v75 offset:16
	s_waitcnt lgkmcnt(1)
	v_lshrrev_b32_e32 v9, 16, v1
	s_waitcnt lgkmcnt(0)
	v_lshrrev_b32_e32 v13, 16, v5
	v_lshrrev_b32_e32 v10, 16, v2
	;; [unrolled: 1-line block ×4, first 2 shown]
	v_cndmask_b32_e32 v17, v1, v9, vcc_lo
	v_cndmask_b32_e32 v18, v5, v13, vcc_lo
	v_cndmask_b32_e64 v21, v1, v9, s4
	v_cmp_eq_u32_e32 vcc_lo, 1, v71
	v_cndmask_b32_e64 v22, v5, v13, s4
	v_cmp_eq_u32_e64 s4, 2, v70
	v_cndmask_b32_e64 v19, v1, v9, s3
	v_cndmask_b32_e64 v20, v5, v13, s3
	v_cndmask_b32_e32 v1, v1, v9, vcc_lo
	v_cmp_eq_u32_e64 s3, 2, v71
	v_cndmask_b32_e32 v5, v5, v13, vcc_lo
	v_cndmask_b32_e64 v9, v17, v2, s4
	v_cmp_eq_u32_e32 vcc_lo, 3, v70
	v_cndmask_b32_e64 v13, v18, v6, s4
	v_cmp_eq_u32_e64 s4, 2, v69
	v_cndmask_b32_e64 v17, v19, v2, s5
	v_cndmask_b32_e64 v18, v20, v6, s5
	v_cmp_eq_u32_e64 s5, 3, v69
	v_cndmask_b32_e64 v1, v1, v2, s3
	v_cndmask_b32_e64 v19, v21, v2, s4
	;; [unrolled: 1-line block ×4, first 2 shown]
	v_cndmask_b32_e32 v5, v9, v10, vcc_lo
	v_cndmask_b32_e32 v6, v13, v14, vcc_lo
	v_cmp_eq_u32_e32 vcc_lo, 3, v71
	v_cndmask_b32_e64 v9, v17, v10, s6
	v_cndmask_b32_e64 v13, v18, v14, s6
	;; [unrolled: 1-line block ×3, first 2 shown]
	v_cmp_eq_u32_e64 s4, 4, v70
	v_cndmask_b32_e32 v1, v1, v10, vcc_lo
	v_cndmask_b32_e32 v2, v2, v14, vcc_lo
	v_cmp_eq_u32_e32 vcc_lo, 4, v72
	v_lshrrev_b32_e32 v15, 16, v7
	v_lshrrev_b32_e32 v16, 16, v8
	v_cndmask_b32_e64 v17, v19, v10, s5
	v_cmp_eq_u32_e64 s3, 4, v71
	v_cndmask_b32_e64 v5, v5, v3, s4
	v_cndmask_b32_e64 v6, v6, v7, s4
	v_cndmask_b32_e32 v9, v9, v3, vcc_lo
	v_cmp_eq_u32_e64 s4, 5, v72
	v_cndmask_b32_e32 v10, v13, v7, vcc_lo
	v_cmp_eq_u32_e32 vcc_lo, 4, v69
	v_cmp_eq_u32_e64 s5, 5, v70
	v_cndmask_b32_e64 v2, v2, v7, s3
	v_cndmask_b32_e64 v9, v9, v11, s4
	;; [unrolled: 1-line block ×3, first 2 shown]
	v_cndmask_b32_e32 v13, v17, v3, vcc_lo
	v_cmp_eq_u32_e64 s4, 5, v69
	v_cndmask_b32_e32 v14, v18, v7, vcc_lo
	v_cndmask_b32_e64 v1, v1, v3, s3
	v_cmp_eq_u32_e32 vcc_lo, 5, v71
	v_lshrrev_b32_e32 v12, 16, v4
	v_cndmask_b32_e64 v13, v13, v11, s4
	v_cndmask_b32_e64 v3, v14, v15, s4
	v_cmp_eq_u32_e64 s4, 6, v71
	v_cndmask_b32_e32 v1, v1, v11, vcc_lo
	v_cndmask_b32_e64 v5, v5, v11, s5
	v_cmp_eq_u32_e64 s6, 6, v70
	v_cndmask_b32_e64 v6, v6, v15, s5
	v_cmp_eq_u32_e64 s5, 6, v72
	v_cmp_eq_u32_e64 s3, 6, v69
	v_cndmask_b32_e64 v1, v1, v4, s4
	v_cndmask_b32_e32 v2, v2, v15, vcc_lo
	v_cmp_eq_u32_e32 vcc_lo, 7, v71
	v_cndmask_b32_e64 v5, v5, v4, s6
	v_cndmask_b32_e64 v9, v9, v4, s5
	;; [unrolled: 1-line block ×3, first 2 shown]
	v_cmp_eq_u32_e64 s6, 7, v70
	v_cndmask_b32_e32 v1, v1, v12, vcc_lo
	v_cndmask_b32_e64 v7, v13, v4, s3
	v_cndmask_b32_e64 v3, v3, v8, s3
	;; [unrolled: 1-line block ×3, first 2 shown]
	v_cmp_eq_u32_e64 s3, 7, v69
	v_cndmask_b32_e64 v4, v10, v8, s5
	v_cndmask_b32_e64 v5, v5, v12, s6
	v_cndmask_b32_e64 v9, v9, v12, s7
	v_cndmask_b32_e32 v2, v2, v16, vcc_lo
	v_cndmask_b32_e64 v7, v7, v12, s3
	v_cndmask_b32_e64 v3, v3, v16, s3
	;; [unrolled: 1-line block ×4, first 2 shown]
	v_perm_b32 v4, v2, v1, 0x5040100
	s_mov_b32 s3, exec_lo
	v_perm_b32 v3, v3, v7, 0x5040100
	v_perm_b32 v2, v8, v9, 0x5040100
	;; [unrolled: 1-line block ×3, first 2 shown]
	ds_store_b128 v74, v[1:4]
	s_waitcnt lgkmcnt(0)
	s_barrier
	buffer_gl0_inv
	v_cmpx_gt_u32_e32 32, v0
	s_cbranch_execz .LBB940_2
; %bb.15:
	s_load_b64 s[4:5], s[0:1], 0x68
	v_lshlrev_b32_e32 v0, 10, v0
	v_lshlrev_b32_e32 v1, 4, v67
	s_lshl_b32 s0, s35, 7
	v_add_nc_u32_e32 v7, s31, v66
	s_mul_i32 s1, s0, s34
	s_delay_alu instid0(SALU_CYCLE_1) | instskip(SKIP_1) | instid1(VALU_DEP_2)
	s_mul_i32 s6, s1, s8
	v_and_or_b32 v0, 0x3800, v0, v1
	v_mul_lo_u32 v1, v7, s0
	v_add_nc_u32_e32 v2, 2, v7
	s_ashr_i32 s7, s6, 31
	v_add_nc_u32_e32 v4, 4, v7
	s_lshl_b64 s[6:7], s[6:7], 1
	v_add_nc_u32_e32 v8, 6, v7
	v_mul_lo_u32 v3, v2, s0
	v_lshl_or_b32 v19, v66, 6, v0
	v_ashrrev_i32_e32 v2, 31, v1
	v_mul_lo_u32 v11, v4, s0
	v_mul_lo_u32 v25, v8, s0
	s_waitcnt lgkmcnt(0)
	s_add_u32 s1, s4, s6
	s_addc_u32 s3, s5, s7
	s_lshl_b32 s4, s14, 7
	v_lshlrev_b64 v[5:6], 1, v[1:2]
	s_ashr_i32 s5, s4, 31
	v_ashrrev_i32_e32 v4, 31, v3
	s_lshl_b64 s[4:5], s[4:5], 1
	v_ashrrev_i32_e32 v12, 31, v11
	s_add_u32 s1, s1, s4
	s_addc_u32 s3, s3, s5
	v_add_co_u32 v1, s1, s1, v65
	s_delay_alu instid0(VALU_DEP_1) | instskip(SKIP_1) | instid1(VALU_DEP_3)
	v_add_co_ci_u32_e64 v2, null, s3, 0, s1
	v_lshlrev_b64 v[3:4], 1, v[3:4]
	v_add_co_u32 v23, vcc_lo, v1, v5
	v_add_nc_u32_e32 v5, 8, v7
	s_delay_alu instid0(VALU_DEP_4) | instskip(NEXT) | instid1(VALU_DEP_4)
	v_add_co_ci_u32_e32 v24, vcc_lo, v2, v6, vcc_lo
	v_add_co_u32 v27, vcc_lo, v1, v3
	s_delay_alu instid0(VALU_DEP_3)
	v_mul_lo_u32 v29, v5, s0
	v_add_co_ci_u32_e32 v28, vcc_lo, v2, v4, vcc_lo
	ds_load_b128 v[3:6], v19
	ds_load_b128 v[7:10], v19 offset:128
	v_lshlrev_b64 v[31:32], 1, v[11:12]
	ds_load_b128 v[11:14], v19 offset:256
	ds_load_b128 v[15:18], v19 offset:384
	;; [unrolled: 1-line block ×3, first 2 shown]
	v_ashrrev_i32_e32 v26, 31, v25
	v_ashrrev_i32_e32 v30, 31, v29
	v_add_co_u32 v31, vcc_lo, v1, v31
	s_delay_alu instid0(VALU_DEP_3) | instskip(NEXT) | instid1(VALU_DEP_3)
	v_lshlrev_b64 v[25:26], 1, v[25:26]
	v_lshlrev_b64 v[29:30], 1, v[29:30]
	v_add_co_ci_u32_e32 v32, vcc_lo, v2, v32, vcc_lo
	s_delay_alu instid0(VALU_DEP_3) | instskip(NEXT) | instid1(VALU_DEP_4)
	v_add_co_u32 v25, vcc_lo, v1, v25
	v_add_co_ci_u32_e32 v26, vcc_lo, v2, v26, vcc_lo
	s_delay_alu instid0(VALU_DEP_4)
	v_add_co_u32 v29, vcc_lo, v1, v29
	v_add_co_ci_u32_e32 v30, vcc_lo, v2, v30, vcc_lo
	s_waitcnt lgkmcnt(4)
	global_store_b128 v[23:24], v[3:6], off
	s_waitcnt lgkmcnt(3)
	global_store_b128 v[27:28], v[7:10], off
	;; [unrolled: 2-line block ×5, first 2 shown]
	s_and_b32 exec_lo, exec_lo, s2
	s_cbranch_execz .LBB940_2
; %bb.16:
	ds_load_b128 v[3:6], v0 offset:640
	s_add_i32 s1, s31, 10
	s_delay_alu instid0(SALU_CYCLE_1) | instskip(NEXT) | instid1(SALU_CYCLE_1)
	s_mul_i32 s0, s1, s0
	s_ashr_i32 s1, s0, 31
	s_delay_alu instid0(SALU_CYCLE_1) | instskip(NEXT) | instid1(SALU_CYCLE_1)
	s_lshl_b64 s[0:1], s[0:1], 1
	v_add_co_u32 v0, vcc_lo, v1, s0
	v_add_co_ci_u32_e32 v1, vcc_lo, s1, v2, vcc_lo
	s_waitcnt lgkmcnt(0)
	global_store_b128 v[0:1], v[3:6], off
	s_nop 0
	s_sendmsg sendmsg(MSG_DEALLOC_VGPRS)
	s_endpgm
	.section	.rodata,"a",@progbits
	.p2align	6, 0x0
	.amdhsa_kernel _Z39paged_attention_ll4mi_QKV_mfma16_kernelIDF16_hLN4vllm18Fp8KVCacheDataTypeE1EhLi16ELi128ELi256ELb1ELi11EL8MFMAType1EEvPKT_PKT0_S8_ifPKiSA_SA_iPKfiiiPfSD_PS3_PT2_iSC_SC_
		.amdhsa_group_segment_fixed_size 17472
		.amdhsa_private_segment_fixed_size 0
		.amdhsa_kernarg_size 400
		.amdhsa_user_sgpr_count 13
		.amdhsa_user_sgpr_dispatch_ptr 0
		.amdhsa_user_sgpr_queue_ptr 0
		.amdhsa_user_sgpr_kernarg_segment_ptr 1
		.amdhsa_user_sgpr_dispatch_id 0
		.amdhsa_user_sgpr_private_segment_size 0
		.amdhsa_wavefront_size32 1
		.amdhsa_uses_dynamic_stack 0
		.amdhsa_enable_private_segment 0
		.amdhsa_system_sgpr_workgroup_id_x 1
		.amdhsa_system_sgpr_workgroup_id_y 1
		.amdhsa_system_sgpr_workgroup_id_z 1
		.amdhsa_system_sgpr_workgroup_info 0
		.amdhsa_system_vgpr_workitem_id 0
		.amdhsa_next_free_vgpr 150
		.amdhsa_next_free_sgpr 36
		.amdhsa_reserve_vcc 1
		.amdhsa_float_round_mode_32 0
		.amdhsa_float_round_mode_16_64 0
		.amdhsa_float_denorm_mode_32 3
		.amdhsa_float_denorm_mode_16_64 3
		.amdhsa_dx10_clamp 1
		.amdhsa_ieee_mode 1
		.amdhsa_fp16_overflow 0
		.amdhsa_workgroup_processor_mode 1
		.amdhsa_memory_ordered 1
		.amdhsa_forward_progress 0
		.amdhsa_shared_vgpr_count 0
		.amdhsa_exception_fp_ieee_invalid_op 0
		.amdhsa_exception_fp_denorm_src 0
		.amdhsa_exception_fp_ieee_div_zero 0
		.amdhsa_exception_fp_ieee_overflow 0
		.amdhsa_exception_fp_ieee_underflow 0
		.amdhsa_exception_fp_ieee_inexact 0
		.amdhsa_exception_int_div_zero 0
	.end_amdhsa_kernel
	.section	.text._Z39paged_attention_ll4mi_QKV_mfma16_kernelIDF16_hLN4vllm18Fp8KVCacheDataTypeE1EhLi16ELi128ELi256ELb1ELi11EL8MFMAType1EEvPKT_PKT0_S8_ifPKiSA_SA_iPKfiiiPfSD_PS3_PT2_iSC_SC_,"axG",@progbits,_Z39paged_attention_ll4mi_QKV_mfma16_kernelIDF16_hLN4vllm18Fp8KVCacheDataTypeE1EhLi16ELi128ELi256ELb1ELi11EL8MFMAType1EEvPKT_PKT0_S8_ifPKiSA_SA_iPKfiiiPfSD_PS3_PT2_iSC_SC_,comdat
.Lfunc_end940:
	.size	_Z39paged_attention_ll4mi_QKV_mfma16_kernelIDF16_hLN4vllm18Fp8KVCacheDataTypeE1EhLi16ELi128ELi256ELb1ELi11EL8MFMAType1EEvPKT_PKT0_S8_ifPKiSA_SA_iPKfiiiPfSD_PS3_PT2_iSC_SC_, .Lfunc_end940-_Z39paged_attention_ll4mi_QKV_mfma16_kernelIDF16_hLN4vllm18Fp8KVCacheDataTypeE1EhLi16ELi128ELi256ELb1ELi11EL8MFMAType1EEvPKT_PKT0_S8_ifPKiSA_SA_iPKfiiiPfSD_PS3_PT2_iSC_SC_
                                        ; -- End function
	.section	.AMDGPU.csdata,"",@progbits
; Kernel info:
; codeLenInByte = 6800
; NumSgprs: 38
; NumVgprs: 150
; ScratchSize: 0
; MemoryBound: 0
; FloatMode: 240
; IeeeMode: 1
; LDSByteSize: 17472 bytes/workgroup (compile time only)
; SGPRBlocks: 4
; VGPRBlocks: 18
; NumSGPRsForWavesPerEU: 38
; NumVGPRsForWavesPerEU: 150
; Occupancy: 9
; WaveLimiterHint : 1
; COMPUTE_PGM_RSRC2:SCRATCH_EN: 0
; COMPUTE_PGM_RSRC2:USER_SGPR: 13
; COMPUTE_PGM_RSRC2:TRAP_HANDLER: 0
; COMPUTE_PGM_RSRC2:TGID_X_EN: 1
; COMPUTE_PGM_RSRC2:TGID_Y_EN: 1
; COMPUTE_PGM_RSRC2:TGID_Z_EN: 1
; COMPUTE_PGM_RSRC2:TIDIG_COMP_CNT: 0
	.section	.text._Z39paged_attention_ll4mi_QKV_mfma16_kernelIDF16_hLN4vllm18Fp8KVCacheDataTypeE1EhLi16ELi128ELi256ELb1ELi12EL8MFMAType1EEvPKT_PKT0_S8_ifPKiSA_SA_iPKfiiiPfSD_PS3_PT2_iSC_SC_,"axG",@progbits,_Z39paged_attention_ll4mi_QKV_mfma16_kernelIDF16_hLN4vllm18Fp8KVCacheDataTypeE1EhLi16ELi128ELi256ELb1ELi12EL8MFMAType1EEvPKT_PKT0_S8_ifPKiSA_SA_iPKfiiiPfSD_PS3_PT2_iSC_SC_,comdat
	.protected	_Z39paged_attention_ll4mi_QKV_mfma16_kernelIDF16_hLN4vllm18Fp8KVCacheDataTypeE1EhLi16ELi128ELi256ELb1ELi12EL8MFMAType1EEvPKT_PKT0_S8_ifPKiSA_SA_iPKfiiiPfSD_PS3_PT2_iSC_SC_ ; -- Begin function _Z39paged_attention_ll4mi_QKV_mfma16_kernelIDF16_hLN4vllm18Fp8KVCacheDataTypeE1EhLi16ELi128ELi256ELb1ELi12EL8MFMAType1EEvPKT_PKT0_S8_ifPKiSA_SA_iPKfiiiPfSD_PS3_PT2_iSC_SC_
	.globl	_Z39paged_attention_ll4mi_QKV_mfma16_kernelIDF16_hLN4vllm18Fp8KVCacheDataTypeE1EhLi16ELi128ELi256ELb1ELi12EL8MFMAType1EEvPKT_PKT0_S8_ifPKiSA_SA_iPKfiiiPfSD_PS3_PT2_iSC_SC_
	.p2align	8
	.type	_Z39paged_attention_ll4mi_QKV_mfma16_kernelIDF16_hLN4vllm18Fp8KVCacheDataTypeE1EhLi16ELi128ELi256ELb1ELi12EL8MFMAType1EEvPKT_PKT0_S8_ifPKiSA_SA_iPKfiiiPfSD_PS3_PT2_iSC_SC_,@function
_Z39paged_attention_ll4mi_QKV_mfma16_kernelIDF16_hLN4vllm18Fp8KVCacheDataTypeE1EhLi16ELi128ELi256ELb1ELi12EL8MFMAType1EEvPKT_PKT0_S8_ifPKiSA_SA_iPKfiiiPfSD_PS3_PT2_iSC_SC_: ; @_Z39paged_attention_ll4mi_QKV_mfma16_kernelIDF16_hLN4vllm18Fp8KVCacheDataTypeE1EhLi16ELi128ELi256ELb1ELi12EL8MFMAType1EEvPKT_PKT0_S8_ifPKiSA_SA_iPKfiiiPfSD_PS3_PT2_iSC_SC_
; %bb.0:
	s_load_b64 s[4:5], s[0:1], 0x30
	s_mov_b32 s30, s13
	s_waitcnt lgkmcnt(0)
	s_cmp_lg_u64 s[4:5], 0
	s_cselect_b32 s8, -1, 0
	s_ashr_i32 s31, s13, 31
	s_cmp_eq_u64 s[4:5], 0
	s_cbranch_scc1 .LBB941_3
; %bb.1:
	s_lshl_b64 s[2:3], s[30:31], 2
	s_delay_alu instid0(SALU_CYCLE_1) | instskip(SKIP_4) | instid1(SALU_CYCLE_1)
	s_add_u32 s2, s4, s2
	s_addc_u32 s3, s5, s3
	s_load_b64 s[2:3], s[2:3], 0x0
	s_waitcnt lgkmcnt(0)
	s_sub_i32 s2, s3, s2
	s_cmp_eq_u32 s2, 1
	s_cselect_b32 s2, -1, 0
	s_delay_alu instid0(SALU_CYCLE_1)
	s_and_not1_b32 vcc_lo, exec_lo, s2
	s_cbranch_vccz .LBB941_4
.LBB941_2:
	s_endpgm
.LBB941_3:
.LBB941_4:
	s_load_b64 s[2:3], s[0:1], 0x28
	s_lshl_b64 s[6:7], s[30:31], 2
	s_waitcnt lgkmcnt(0)
	s_add_u32 s2, s2, s6
	s_addc_u32 s3, s3, s7
	s_lshl_b32 s12, s14, 8
	s_load_b32 s24, s[2:3], 0x0
	s_waitcnt lgkmcnt(0)
	s_cmp_ge_i32 s12, s24
	s_cbranch_scc1 .LBB941_2
; %bb.5:
	s_clause 0x1
	s_load_b128 s[20:23], s[0:1], 0x8
	s_load_b64 s[2:3], s[0:1], 0x20
	s_and_not1_b32 vcc_lo, exec_lo, s8
	s_cbranch_vccnz .LBB941_7
; %bb.6:
	s_add_u32 s4, s4, s6
	s_addc_u32 s5, s5, s7
	s_load_b32 s5, s[4:5], 0x0
	s_branch .LBB941_8
.LBB941_7:
	s_mov_b32 s5, s30
.LBB941_8:
	s_load_b128 s[16:19], s[0:1], 0x48
	v_and_b32_e32 v68, 15, v0
	v_lshrrev_b32_e32 v69, 5, v0
	v_and_b32_e32 v70, 31, v0
	v_and_b32_e32 v67, 1, v0
	v_bfe_u32 v66, v0, 4, 1
	v_lshlrev_b32_e32 v1, 3, v68
	s_mul_i32 s31, s15, 12
	s_mov_b32 s4, exec_lo
	s_delay_alu instid0(VALU_DEP_1)
	v_lshlrev_b32_e32 v65, 1, v1
	v_cmpx_gt_u32_e32 0xc0, v0
	s_cbranch_execz .LBB941_10
; %bb.9:
	s_load_b64 s[6:7], s[0:1], 0x0
	v_lshl_or_b32 v5, v69, 1, v66
	s_waitcnt lgkmcnt(0)
	s_mul_hi_i32 s9, s5, s16
	s_mul_i32 s8, s5, s16
	v_lshlrev_b32_e32 v6, 10, v68
	s_lshl_b64 s[8:9], s[8:9], 1
	v_add_lshl_u32 v1, v5, s31, 7
	v_lshlrev_b32_e32 v5, 6, v5
	v_lshlrev_b32_e32 v7, 10, v67
	v_and_b32_e32 v6, 0x3800, v6
	s_delay_alu instid0(VALU_DEP_4) | instskip(NEXT) | instid1(VALU_DEP_2)
	v_ashrrev_i32_e32 v2, 31, v1
	v_or3_b32 v5, v6, v7, v5
	s_delay_alu instid0(VALU_DEP_2) | instskip(SKIP_2) | instid1(VALU_DEP_1)
	v_lshlrev_b64 v[1:2], 1, v[1:2]
	s_add_u32 s5, s6, s8
	s_addc_u32 s6, s7, s9
	v_add_co_u32 v1, vcc_lo, s5, v1
	s_delay_alu instid0(VALU_DEP_2) | instskip(NEXT) | instid1(VALU_DEP_2)
	v_add_co_ci_u32_e32 v2, vcc_lo, s6, v2, vcc_lo
	v_add_co_u32 v1, vcc_lo, v1, v65
	s_delay_alu instid0(VALU_DEP_2)
	v_add_co_ci_u32_e32 v2, vcc_lo, 0, v2, vcc_lo
	global_load_b128 v[1:4], v[1:2], off
	s_waitcnt vmcnt(0)
	ds_store_b128 v5, v[1:4]
.LBB941_10:
	s_or_b32 exec_lo, exec_lo, s4
	v_and_b32_e32 v1, 0xef, v0
	s_waitcnt lgkmcnt(0)
	s_add_i32 s5, s24, 15
	s_clause 0x1
	s_load_b32 s4, s[0:1], 0x38
	s_load_b32 s33, s[0:1], 0x98
	s_ashr_i32 s6, s5, 31
	v_add_nc_u32_e32 v1, s12, v1
	s_lshr_b32 s6, s6, 28
	s_load_b32 s19, s[0:1], 0x1c
	s_add_i32 s5, s5, s6
	s_waitcnt lgkmcnt(0)
	v_ashrrev_i32_e32 v2, 31, v1
	v_or_b32_e32 v3, 16, v1
	s_ashr_i32 s13, s5, 4
	v_cmp_gt_i32_e32 vcc_lo, s24, v1
	s_add_i32 s13, s13, -1
	v_lshrrev_b32_e32 v2, 28, v2
	s_barrier
	buffer_gl0_inv
	s_mul_i32 s15, s15, s18
	v_add_nc_u32_e32 v4, v1, v2
	s_mul_i32 s4, s30, s4
	s_delay_alu instid0(SALU_CYCLE_1) | instskip(NEXT) | instid1(VALU_DEP_1)
	s_ashr_i32 s5, s4, 31
	v_ashrrev_i32_e32 v4, 4, v4
	v_add_nc_u32_e32 v2, v3, v2
	s_lshl_b64 s[4:5], s[4:5], 2
	s_delay_alu instid0(SALU_CYCLE_1) | instskip(NEXT) | instid1(VALU_DEP_2)
	s_add_u32 s16, s2, s4
	v_cndmask_b32_e32 v1, s13, v4, vcc_lo
	s_delay_alu instid0(VALU_DEP_2)
	v_ashrrev_i32_e32 v2, 4, v2
	v_cmp_gt_i32_e32 vcc_lo, s24, v3
	s_addc_u32 s25, s3, s5
	s_ashr_i32 s18, s15, 31
	s_add_u32 s26, s20, s15
	s_addc_u32 s27, s21, s18
	v_cndmask_b32_e32 v3, s13, v2, vcc_lo
	v_ashrrev_i32_e32 v2, 31, v1
	s_lshl_b32 s2, s14, 4
	s_delay_alu instid0(SALU_CYCLE_1) | instskip(NEXT) | instid1(VALU_DEP_2)
	s_ashr_i32 s3, s2, 31
	v_ashrrev_i32_e32 v4, 31, v3
	s_delay_alu instid0(VALU_DEP_2) | instskip(SKIP_1) | instid1(SALU_CYCLE_1)
	v_lshlrev_b64 v[1:2], 2, v[1:2]
	s_lshl_b64 s[2:3], s[2:3], 2
	s_add_u32 s2, s16, s2
	s_delay_alu instid0(VALU_DEP_2) | instskip(SKIP_1) | instid1(VALU_DEP_2)
	v_lshlrev_b64 v[3:4], 2, v[3:4]
	s_addc_u32 s3, s25, s3
	v_add_co_u32 v1, vcc_lo, s16, v1
	v_add_co_ci_u32_e32 v2, vcc_lo, s25, v2, vcc_lo
	s_delay_alu instid0(VALU_DEP_3) | instskip(NEXT) | instid1(VALU_DEP_4)
	v_add_co_u32 v3, vcc_lo, s16, v3
	v_add_co_ci_u32_e32 v4, vcc_lo, s25, v4, vcc_lo
	s_clause 0x1
	global_load_b32 v5, v[1:2], off
	global_load_b32 v7, v[3:4], off
	s_or_b32 s4, s12, 32
	v_lshlrev_b32_e32 v1, 4, v0
	s_ashr_i32 s5, s4, 4
	s_cmp_lt_i32 s4, s24
	v_cmp_gt_u32_e32 vcc_lo, 12, v68
	s_cselect_b32 s4, s5, s13
	v_and_b32_e32 v1, 0xf0, v1
	s_ashr_i32 s5, s4, 31
	s_delay_alu instid0(SALU_CYCLE_1) | instskip(NEXT) | instid1(SALU_CYCLE_1)
	s_lshl_b64 s[4:5], s[4:5], 2
	s_add_u32 s4, s16, s4
	s_addc_u32 s5, s25, s5
	s_or_b32 s6, s12, 64
	v_add_co_u32 v1, s26, s26, v1
	s_ashr_i32 s7, s6, 4
	s_cmp_lt_i32 s6, s24
	v_add_co_ci_u32_e64 v2, null, s27, 0, s26
	s_cselect_b32 s6, s7, s13
	s_delay_alu instid0(SALU_CYCLE_1) | instskip(NEXT) | instid1(SALU_CYCLE_1)
	s_ashr_i32 s7, s6, 31
	s_lshl_b64 s[6:7], s[6:7], 2
	s_delay_alu instid0(SALU_CYCLE_1) | instskip(SKIP_2) | instid1(SALU_CYCLE_1)
	s_add_u32 s6, s16, s6
	s_addc_u32 s7, s25, s7
	s_or_b32 s8, s12, 0x60
	s_ashr_i32 s9, s8, 4
	s_cmp_lt_i32 s8, s24
	s_cselect_b32 s8, s9, s13
	s_delay_alu instid0(SALU_CYCLE_1) | instskip(NEXT) | instid1(SALU_CYCLE_1)
	s_ashr_i32 s9, s8, 31
	s_lshl_b64 s[8:9], s[8:9], 2
	s_delay_alu instid0(SALU_CYCLE_1) | instskip(SKIP_2) | instid1(SALU_CYCLE_1)
	s_add_u32 s8, s16, s8
	s_addc_u32 s9, s25, s9
	s_or_b32 s10, s12, 0x80
	s_ashr_i32 s11, s10, 4
	s_cmp_lt_i32 s10, s24
	;; [unrolled: 10-line block ×3, first 2 shown]
	s_cselect_b32 s20, s21, s13
	s_delay_alu instid0(SALU_CYCLE_1) | instskip(NEXT) | instid1(SALU_CYCLE_1)
	s_ashr_i32 s21, s20, 31
	s_lshl_b64 s[20:21], s[20:21], 2
	s_delay_alu instid0(SALU_CYCLE_1)
	s_add_u32 s20, s16, s20
	s_addc_u32 s21, s25, s21
	s_clause 0x5
	s_load_b32 s26, s[2:3], 0x0
	s_load_b32 s27, s[4:5], 0x0
	s_load_b32 s28, s[6:7], 0x0
	s_load_b32 s29, s[8:9], 0x0
	s_load_b32 s34, s[10:11], 0x0
	s_load_b32 s35, s[20:21], 0x0
	s_or_b32 s2, s12, 0xc0
	s_mov_b32 s4, 0
	s_ashr_i32 s3, s2, 4
	s_cmp_lt_i32 s2, s24
	s_mov_b32 s11, s4
	s_cselect_b32 s2, s3, s13
	s_mov_b32 s5, s4
	s_ashr_i32 s3, s2, 31
	s_mov_b32 s6, s4
	s_lshl_b64 s[2:3], s[2:3], 2
	s_mov_b32 s7, s4
	s_add_u32 s2, s16, s2
	s_addc_u32 s3, s25, s3
	s_or_b32 s20, s12, 0xe0
	s_mov_b32 s8, s4
	s_ashr_i32 s21, s20, 4
	s_cmp_lt_i32 s20, s24
	s_mov_b32 s9, s4
	s_cselect_b32 s20, s21, s13
	s_mov_b32 s10, s4
	s_ashr_i32 s21, s20, 31
	v_mov_b32_e32 v118, s11
	v_dual_mov_b32 v112, s5 :: v_dual_mov_b32 v117, s10
	v_dual_mov_b32 v116, s9 :: v_dual_mov_b32 v115, s8
	;; [unrolled: 1-line block ×3, first 2 shown]
	v_mov_b32_e32 v111, s4
	s_lshl_b64 s[4:5], s[20:21], 2
	s_delay_alu instid0(SALU_CYCLE_1)
	s_add_u32 s4, s16, s4
	s_addc_u32 s5, s25, s5
	s_add_u32 s6, s22, s15
	s_addc_u32 s7, s23, s18
	s_waitcnt vmcnt(1)
	v_mad_i64_i32 v[3:4], null, v5, s17, v[1:2]
	s_waitcnt vmcnt(0)
	v_mad_i64_i32 v[5:6], null, v7, s17, v[1:2]
	v_add_nc_u32_e32 v1, -12, v68
	v_lshlrev_b32_e32 v2, 4, v68
	s_clause 0xf
	global_load_b128 v[17:20], v[3:4], off
	global_load_b128 v[21:24], v[3:4], off offset:256
	global_load_b128 v[25:28], v[5:6], off
	global_load_b128 v[29:32], v[5:6], off offset:256
	global_load_b128 v[57:60], v[3:4], off offset:512
	;; [unrolled: 1-line block ×13, first 2 shown]
	v_cndmask_b32_e32 v1, v1, v68, vcc_lo
	s_delay_alu instid0(VALU_DEP_1)
	v_lshlrev_b32_e32 v149, 6, v1
	v_lshl_or_b32 v1, v69, 8, v2
	ds_load_b128 v[119:122], v149
	ds_load_b128 v[123:126], v149 offset:1024
	ds_load_b128 v[127:130], v149 offset:2048
	;; [unrolled: 1-line block ×3, first 2 shown]
	s_clause 0x1
	s_load_b32 s2, s[2:3], 0x0
	s_load_b32 s3, s[4:5], 0x0
	v_add_co_u32 v135, s6, s6, v1
	s_delay_alu instid0(VALU_DEP_1) | instskip(SKIP_1) | instid1(VALU_DEP_1)
	v_add_co_ci_u32_e64 v136, null, s7, 0, s6
	s_waitcnt lgkmcnt(0)
	v_mad_i64_i32 v[1:2], null, s26, s17, v[135:136]
	v_mad_i64_i32 v[3:4], null, s27, s17, v[135:136]
	;; [unrolled: 1-line block ×6, first 2 shown]
	s_clause 0x9
	global_load_b128 v[49:52], v[1:2], off
	global_load_b128 v[53:56], v[1:2], off offset:16
	global_load_b128 v[41:44], v[3:4], off
	global_load_b128 v[45:48], v[3:4], off offset:16
	;; [unrolled: 2-line block ×5, first 2 shown]
	v_mad_i64_i32 v[145:146], null, s2, s17, v[135:136]
	v_mad_i64_i32 v[147:148], null, s3, s17, v[135:136]
	s_waitcnt vmcnt(24)
	v_wmma_f32_16x16x16_f16 v[135:142], v[17:24], v[119:126], v[111:118]
	s_waitcnt vmcnt(22)
	v_wmma_f32_16x16x16_f16 v[111:118], v[25:32], v[119:126], v[111:118]
	s_clause 0x3
	global_load_b128 v[17:20], v[143:144], off
	global_load_b128 v[21:24], v[143:144], off offset:16
	global_load_b128 v[25:28], v[145:146], off
	global_load_b128 v[29:32], v[145:146], off offset:16
	v_and_b32_e32 v119, 0xe0, v0
	s_waitcnt vmcnt(24)
	v_wmma_f32_16x16x16_f16 v[135:142], v[57:64], v[127:134], v[135:142]
	s_clause 0x1
	global_load_b128 v[57:60], v[147:148], off
	global_load_b128 v[61:64], v[147:148], off offset:16
	s_waitcnt vmcnt(24)
	v_wmma_f32_16x16x16_f16 v[111:118], v[71:78], v[127:134], v[111:118]
	ds_load_b128 v[71:74], v149 offset:4096
	ds_load_b128 v[75:78], v149 offset:5120
	v_add_nc_u32_e32 v128, s12, v119
	ds_load_b128 v[119:122], v149 offset:6144
	ds_load_b128 v[123:126], v149 offset:7168
	v_mbcnt_lo_u32_b32 v127, -1, 0
	s_waitcnt vmcnt(0) lgkmcnt(0)
	s_barrier
	v_or_b32_e32 v128, v128, v66
	buffer_gl0_inv
	v_xor_b32_e32 v129, 16, v127
	v_or_b32_e32 v130, 4, v128
	v_or_b32_e32 v131, 6, v128
	s_delay_alu instid0(VALU_DEP_3) | instskip(SKIP_4) | instid1(VALU_DEP_4)
	v_cmp_gt_i32_e32 vcc_lo, 32, v129
	v_or_b32_e32 v132, 8, v128
	v_or_b32_e32 v133, 10, v128
	v_cmp_gt_i32_e64 s3, s24, v130
	v_cmp_gt_i32_e64 s4, s24, v131
	;; [unrolled: 1-line block ×3, first 2 shown]
	v_wmma_f32_16x16x16_f16 v[135:142], v[79:86], v[71:78], v[135:142]
	v_wmma_f32_16x16x16_f16 v[111:118], v[87:94], v[71:78], v[111:118]
	v_or_b32_e32 v79, 12, v128
	v_or_b32_e32 v80, 14, v128
	v_cmp_gt_i32_e64 s6, s24, v133
	v_wmma_f32_16x16x16_f16 v[135:142], v[95:102], v[119:126], v[135:142]
	v_wmma_f32_16x16x16_f16 v[111:118], v[103:110], v[119:126], v[111:118]
	v_cndmask_b32_e32 v127, v127, v129, vcc_lo
	v_or_b32_e32 v129, 2, v128
	v_cmp_gt_i32_e32 vcc_lo, s24, v128
	v_mul_f32_e32 v88, s19, v135
	v_dual_mul_f32 v92, s19, v115 :: v_dual_mul_f32 v87, s19, v136
	s_delay_alu instid0(VALU_DEP_4)
	v_cmp_gt_i32_e64 s2, s24, v129
	v_mul_f32_e32 v78, s19, v138
	v_mul_f32_e32 v86, s19, v137
	v_cndmask_b32_e32 v88, 0xff7fffff, v88, vcc_lo
	v_mul_f32_e32 v76, s19, v140
	v_cndmask_b32_e64 v87, 0xff7fffff, v87, s2
	v_dual_mul_f32 v77, s19, v139 :: v_dual_mul_f32 v94, s19, v113
	v_cndmask_b32_e64 v86, 0xff7fffff, v86, s3
	v_cndmask_b32_e64 v78, 0xff7fffff, v78, s4
	s_delay_alu instid0(VALU_DEP_4)
	v_max3_f32 v87, v88, 0xff7fffff, v87
	v_or_b32_e32 v81, 16, v128
	v_or_b32_e32 v82, 18, v128
	v_dual_mul_f32 v74, s19, v142 :: v_dual_mul_f32 v75, s19, v141
	v_mul_f32_e32 v96, s19, v111
	v_cndmask_b32_e64 v77, 0xff7fffff, v77, s5
	v_cndmask_b32_e64 v76, 0xff7fffff, v76, s6
	v_max3_f32 v78, v87, v86, v78
	v_cmp_gt_i32_e64 s7, s24, v79
	v_cmp_gt_i32_e64 s8, s24, v80
	v_or_b32_e32 v83, 20, v128
	v_or_b32_e32 v84, 22, v128
	v_mul_f32_e32 v95, s19, v112
	v_cndmask_b32_e64 v75, 0xff7fffff, v75, s7
	v_cndmask_b32_e64 v74, 0xff7fffff, v74, s8
	v_max3_f32 v76, v78, v77, v76
	v_cmp_gt_i32_e64 s9, s24, v81
	v_cmp_gt_i32_e64 s10, s24, v82
	v_or_b32_e32 v85, 24, v128
	v_or_b32_e32 v71, 26, v128
	;; [unrolled: 8-line block ×3, first 2 shown]
	v_mul_f32_e32 v91, s19, v116
	v_cndmask_b32_e64 v75, 0xff7fffff, v94, s11
	v_cndmask_b32_e64 v76, 0xff7fffff, v93, s12
	v_max3_f32 v74, v74, v77, v78
	v_cmp_gt_i32_e64 s13, s24, v85
	v_cmp_gt_i32_e64 s15, s24, v71
	v_dual_mul_f32 v89, s19, v118 :: v_dual_mul_f32 v90, s19, v117
	s_delay_alu instid0(VALU_DEP_4) | instskip(NEXT) | instid1(VALU_DEP_4)
	v_max3_f32 v74, v74, v75, v76
	v_cndmask_b32_e64 v77, 0xff7fffff, v92, s13
	s_delay_alu instid0(VALU_DEP_4) | instskip(SKIP_2) | instid1(VALU_DEP_3)
	v_cndmask_b32_e64 v71, 0xff7fffff, v91, s15
	v_cmp_gt_i32_e64 s16, s24, v72
	v_cmp_gt_i32_e64 s17, s24, v73
	v_max3_f32 v71, v74, v77, v71
	s_delay_alu instid0(VALU_DEP_3) | instskip(NEXT) | instid1(VALU_DEP_3)
	v_cndmask_b32_e64 v72, 0xff7fffff, v90, s16
	v_cndmask_b32_e64 v73, 0xff7fffff, v89, s17
	v_lshlrev_b32_e32 v74, 2, v127
	s_delay_alu instid0(VALU_DEP_2) | instskip(SKIP_3) | instid1(VALU_DEP_1)
	v_max3_f32 v71, v71, v72, v73
	ds_bpermute_b32 v72, v74, v71
	s_waitcnt lgkmcnt(0)
	v_max_f32_e32 v72, v72, v72
	v_max_f32_e32 v71, v71, v72
	s_delay_alu instid0(VALU_DEP_1) | instskip(SKIP_4) | instid1(VALU_DEP_4)
	v_fma_f32 v72, s19, v135, -v71
	v_fma_f32 v73, s19, v136, -v71
	;; [unrolled: 1-line block ×5, first 2 shown]
	v_dual_mul_f32 v72, 0x3fb8aa3b, v72 :: v_dual_mul_f32 v73, 0x3fb8aa3b, v73
	v_fma_f32 v80, s19, v141, -v71
	s_delay_alu instid0(VALU_DEP_3) | instskip(NEXT) | instid1(VALU_DEP_3)
	v_dual_mul_f32 v76, 0x3fb8aa3b, v76 :: v_dual_mul_f32 v77, 0x3fb8aa3b, v77
	v_exp_f32_e32 v72, v72
	s_delay_alu instid0(VALU_DEP_3) | instskip(NEXT) | instid1(VALU_DEP_2)
	v_exp_f32_e32 v73, v73
	v_mul_f32_e32 v82, 0x3fb8aa3b, v80
	s_delay_alu instid0(VALU_DEP_2) | instskip(SKIP_1) | instid1(VALU_DEP_1)
	v_exp_f32_e32 v76, v76
	v_exp_f32_e32 v77, v77
	;; [unrolled: 1-line block ×3, first 2 shown]
	v_cndmask_b32_e32 v79, 0, v72, vcc_lo
	v_fma_f32 v72, s19, v140, -v71
	v_mul_f32_e32 v75, 0x3fb8aa3b, v75
	v_cndmask_b32_e64 v78, 0, v73, s2
	s_delay_alu instid0(TRANS32_DEP_3) | instskip(NEXT) | instid1(VALU_DEP_4)
	v_cndmask_b32_e64 v80, 0, v76, s4
	v_dual_add_f32 v73, 0, v79 :: v_dual_mul_f32 v72, 0x3fb8aa3b, v72
	s_delay_alu instid0(VALU_DEP_4) | instskip(NEXT) | instid1(TRANS32_DEP_3)
	v_exp_f32_e32 v75, v75
	v_cndmask_b32_e64 v83, 0, v77, s5
	s_delay_alu instid0(TRANS32_DEP_2) | instskip(NEXT) | instid1(VALU_DEP_3)
	v_cndmask_b32_e64 v85, 0, v84, s7
	v_add_f32_e32 v73, v73, v78
	v_exp_f32_e32 v72, v72
	s_mov_b32 s2, exec_lo
	s_waitcnt_depctr 0xfff
	v_cndmask_b32_e64 v81, 0, v75, s3
	v_cndmask_b32_e64 v82, 0, v72, s6
	s_delay_alu instid0(VALU_DEP_2) | instskip(NEXT) | instid1(VALU_DEP_1)
	v_add_f32_e32 v73, v73, v81
	v_add_f32_e32 v73, v73, v80
	s_delay_alu instid0(VALU_DEP_1) | instskip(NEXT) | instid1(VALU_DEP_1)
	v_add_f32_e32 v72, v73, v83
	v_add_f32_e32 v72, v72, v82
	s_delay_alu instid0(VALU_DEP_1)
	v_add_f32_e32 v72, v72, v85
	v_fma_f32 v76, s19, v111, -v71
	v_fma_f32 v75, s19, v142, -v71
	;; [unrolled: 1-line block ×5, first 2 shown]
	v_mul_f32_e32 v76, 0x3fb8aa3b, v76
	s_delay_alu instid0(VALU_DEP_4) | instskip(NEXT) | instid1(VALU_DEP_2)
	v_mul_f32_e32 v86, 0x3fb8aa3b, v86
	v_exp_f32_e32 v76, v76
	s_delay_alu instid0(VALU_DEP_1)
	v_exp_f32_e32 v88, v86
	s_waitcnt_depctr 0xfff
	v_cndmask_b32_e64 v87, 0, v76, s9
	v_fma_f32 v76, s19, v116, -v71
	v_mul_f32_e32 v75, 0x3fb8aa3b, v75
	v_cndmask_b32_e64 v88, 0, v88, s12
	s_delay_alu instid0(VALU_DEP_3) | instskip(NEXT) | instid1(VALU_DEP_3)
	v_dual_mul_f32 v73, 0x3fb8aa3b, v73 :: v_dual_mul_f32 v76, 0x3fb8aa3b, v76
	v_exp_f32_e32 v75, v75
	s_delay_alu instid0(VALU_DEP_1) | instskip(NEXT) | instid1(VALU_DEP_1)
	v_exp_f32_e32 v73, v73
	v_exp_f32_e32 v76, v76
	s_delay_alu instid0(TRANS32_DEP_3)
	v_cndmask_b32_e64 v84, 0, v75, s8
	v_fma_f32 v75, s19, v115, -v71
	s_waitcnt_depctr 0xfff
	v_cndmask_b32_e64 v89, 0, v73, s11
	v_cndmask_b32_e64 v90, 0, v76, s15
	v_add_f32_e32 v72, v72, v84
	s_delay_alu instid0(VALU_DEP_1) | instskip(NEXT) | instid1(VALU_DEP_1)
	v_dual_add_f32 v72, v72, v87 :: v_dual_mul_f32 v77, 0x3fb8aa3b, v77
	v_exp_f32_e32 v77, v77
	s_waitcnt_depctr 0xfff
	v_cndmask_b32_e64 v86, 0, v77, s10
	v_fma_f32 v77, s19, v117, -v71
	s_delay_alu instid0(VALU_DEP_2) | instskip(NEXT) | instid1(VALU_DEP_1)
	v_dual_add_f32 v72, v72, v86 :: v_dual_mul_f32 v75, 0x3fb8aa3b, v75
	v_add_f32_e32 v72, v72, v89
	s_delay_alu instid0(VALU_DEP_2) | instskip(NEXT) | instid1(VALU_DEP_1)
	v_exp_f32_e32 v75, v75
	v_add_f32_e32 v72, v72, v88
	s_waitcnt_depctr 0xfff
	v_cndmask_b32_e64 v91, 0, v75, s13
	v_mul_f32_e32 v73, 0x3fb8aa3b, v77
	v_fma_f32 v77, s19, v118, -v71
	s_delay_alu instid0(VALU_DEP_3) | instskip(NEXT) | instid1(VALU_DEP_3)
	v_add_f32_e32 v72, v72, v91
	v_exp_f32_e32 v73, v73
	s_delay_alu instid0(VALU_DEP_1) | instskip(NEXT) | instid1(VALU_DEP_1)
	v_dual_mul_f32 v75, 0x3fb8aa3b, v77 :: v_dual_add_f32 v72, v72, v90
	v_exp_f32_e32 v75, v75
	s_waitcnt_depctr 0xfff
	v_cndmask_b32_e64 v93, 0, v73, s16
	s_delay_alu instid0(VALU_DEP_1) | instskip(SKIP_1) | instid1(VALU_DEP_1)
	v_add_f32_e32 v72, v72, v93
	v_cndmask_b32_e64 v92, 0, v75, s17
	v_add_f32_e32 v72, v72, v92
	ds_bpermute_b32 v73, v74, v72
	v_cmpx_gt_u32_e32 16, v70
	s_cbranch_execz .LBB941_12
; %bb.11:
	v_mul_u32_u24_e32 v70, 0x44, v69
	s_waitcnt lgkmcnt(0)
	v_add_f32_e32 v72, v72, v73
	s_delay_alu instid0(VALU_DEP_2) | instskip(NEXT) | instid1(VALU_DEP_1)
	v_lshl_add_u32 v70, v68, 2, v70
	v_add_nc_u32_e32 v70, 0x4000, v70
	ds_store_2addr_b32 v70, v71, v72 offset1:136
.LBB941_12:
	s_or_b32 exec_lo, exec_lo, s2
	v_lshlrev_b32_e32 v70, 2, v68
	s_load_b32 s34, s[0:1], 0x94
	s_waitcnt lgkmcnt(0)
	s_barrier
	buffer_gl0_inv
	v_add_nc_u32_e32 v98, 0x4000, v70
	v_cmp_eq_u32_e32 vcc_lo, 1, v69
	v_cmp_eq_u32_e64 s2, 2, v69
	v_cmp_eq_u32_e64 s3, 3, v69
	;; [unrolled: 1-line block ×3, first 2 shown]
	ds_load_2addr_b32 v[70:71], v98 offset1:17
	ds_load_2addr_b32 v[72:73], v98 offset0:34 offset1:51
	ds_load_2addr_b32 v[74:75], v98 offset0:68 offset1:85
	;; [unrolled: 1-line block ×3, first 2 shown]
	v_cmp_eq_u32_e64 s5, 5, v69
	v_cmp_eq_u32_e64 s6, 7, v69
	s_waitcnt lgkmcnt(3)
	v_max3_f32 v76, v70, 0xff7fffff, v71
	s_waitcnt lgkmcnt(2)
	s_delay_alu instid0(VALU_DEP_1) | instskip(SKIP_1) | instid1(VALU_DEP_1)
	v_max3_f32 v76, v76, v72, v73
	s_waitcnt lgkmcnt(1)
	v_max3_f32 v76, v76, v74, v75
	s_waitcnt lgkmcnt(0)
	s_delay_alu instid0(VALU_DEP_1) | instskip(NEXT) | instid1(VALU_DEP_1)
	v_max3_f32 v76, v76, v94, v95
	v_sub_f32_e32 v77, v71, v76
	ds_load_2addr_b32 v[96:97], v98 offset0:136 offset1:153
	v_sub_f32_e32 v74, v74, v76
	v_sub_f32_e32 v70, v70, v76
	;; [unrolled: 1-line block ×3, first 2 shown]
	v_dual_sub_f32 v72, v72, v76 :: v_dual_mul_f32 v77, 0x3fb8aa3b, v77
	s_delay_alu instid0(VALU_DEP_4) | instskip(NEXT) | instid1(VALU_DEP_4)
	v_mul_f32_e32 v103, 0x3fb8aa3b, v74
	v_mul_f32_e32 v99, 0x3fb8aa3b, v70
	ds_load_2addr_b32 v[70:71], v98 offset0:170 offset1:187
	v_dual_mul_f32 v101, 0x3fb8aa3b, v72 :: v_dual_mul_f32 v94, 0x3fb8aa3b, v94
	v_exp_f32_e32 v102, v77
	v_exp_f32_e32 v99, v99
	s_delay_alu instid0(VALU_DEP_1) | instskip(NEXT) | instid1(VALU_DEP_1)
	v_exp_f32_e32 v101, v101
	v_exp_f32_e32 v94, v94
	s_waitcnt lgkmcnt(1)
	s_delay_alu instid0(TRANS32_DEP_3)
	v_fma_f32 v77, v99, v96, 0
	v_sub_f32_e32 v100, v73, v76
	ds_load_2addr_b32 v[72:73], v98 offset0:204 offset1:221
	v_fmac_f32_e32 v77, v102, v97
	v_exp_f32_e32 v97, v103
	s_waitcnt lgkmcnt(1)
	s_delay_alu instid0(VALU_DEP_1)
	v_dual_fmac_f32 v77, v101, v70 :: v_dual_sub_f32 v96, v75, v76
	ds_load_2addr_b32 v[74:75], v98 offset0:238 offset1:255
	v_sub_f32_e32 v70, v95, v76
	s_waitcnt lgkmcnt(0)
	s_barrier
	v_mul_f32_e32 v96, 0x3fb8aa3b, v96
	buffer_gl0_inv
	v_exp_f32_e32 v95, v96
	v_mul_f32_e32 v100, 0x3fb8aa3b, v100
	s_delay_alu instid0(VALU_DEP_1) | instskip(SKIP_3) | instid1(VALU_DEP_2)
	v_exp_f32_e32 v100, v100
	s_waitcnt_depctr 0xfff
	v_dual_fmac_f32 v77, v100, v71 :: v_dual_mul_f32 v70, 0x3fb8aa3b, v70
	v_cndmask_b32_e32 v71, v99, v102, vcc_lo
	v_fmac_f32_e32 v77, v97, v72
	s_delay_alu instid0(VALU_DEP_3) | instskip(NEXT) | instid1(VALU_DEP_1)
	v_exp_f32_e32 v96, v70
	v_fmac_f32_e32 v77, v95, v73
	s_delay_alu instid0(VALU_DEP_1) | instskip(SKIP_2) | instid1(VALU_DEP_1)
	v_fmac_f32_e32 v77, v94, v74
	s_waitcnt_depctr 0xfff
	v_fmac_f32_e32 v77, v96, v75
	v_add_f32_e32 v74, 0x358637bd, v77
	s_delay_alu instid0(VALU_DEP_1) | instskip(SKIP_1) | instid1(VALU_DEP_2)
	v_div_scale_f32 v98, null, v74, v74, 1.0
	v_div_scale_f32 v99, vcc_lo, 1.0, v74, 1.0
	v_rcp_f32_e32 v103, v98
	s_waitcnt_depctr 0xfff
	v_fma_f32 v70, -v98, v103, 1.0
	s_delay_alu instid0(VALU_DEP_1) | instskip(SKIP_2) | instid1(VALU_DEP_2)
	v_fmac_f32_e32 v103, v70, v103
	v_cndmask_b32_e64 v70, v71, v101, s2
	v_cmp_eq_u32_e64 s2, 6, v69
	v_cndmask_b32_e64 v71, v70, v100, s3
	s_delay_alu instid0(VALU_DEP_4) | instskip(NEXT) | instid1(VALU_DEP_2)
	v_dual_mul_f32 v101, v99, v103 :: v_dual_lshlrev_b32 v70, 2, v66
	v_cndmask_b32_e64 v71, v71, v97, s4
	s_delay_alu instid0(VALU_DEP_2) | instskip(NEXT) | instid1(VALU_DEP_3)
	v_or_b32_e32 v72, 1, v70
	v_fma_f32 v100, -v98, v101, v99
	v_cmp_eq_u32_e64 s3, 1, v70
	v_cmp_eq_u32_e64 s4, 2, v70
	v_cndmask_b32_e64 v95, v71, v95, s5
	v_or_b32_e32 v71, 3, v70
	v_fmac_f32_e32 v101, v100, v103
	v_cmp_eq_u32_e64 s8, 1, v72
	v_cmp_eq_u32_e64 s11, 2, v72
	v_cndmask_b32_e64 v94, v95, v94, s2
	v_cmp_eq_u32_e64 s10, 1, v71
	v_fma_f32 v97, -v98, v101, v99
	v_cmp_eq_u32_e64 s15, 2, v71
	v_cmp_eq_u32_e64 s12, 3, v72
	v_cndmask_b32_e64 v94, v94, v96, s6
	v_cmp_eq_u32_e64 s17, 3, v71
	v_div_fmas_f32 v95, v97, v103, v101
	v_cmp_eq_u32_e32 vcc_lo, 3, v70
	v_cmp_eq_u32_e64 s2, 4, v70
	v_cmp_eq_u32_e64 s18, 4, v72
	;; [unrolled: 1-line block ×3, first 2 shown]
	v_div_fixup_f32 v95, v95, v74, 1.0
	v_lshlrev_b32_e32 v73, 6, v68
	v_cmp_eq_u32_e64 s5, 5, v70
	v_cmp_eq_u32_e64 s19, 5, v72
	;; [unrolled: 1-line block ×3, first 2 shown]
	v_mul_f32_e32 v102, v94, v95
	v_lshl_or_b32 v75, v69, 11, v73
	v_or_b32_e32 v69, 2, v70
	v_cmp_eq_u32_e64 s24, 6, v72
	v_cmp_eq_u32_e64 s26, 6, v71
	v_fma_mixlo_f16 v94, v102, v79, 0
	v_fma_mixlo_f16 v95, v102, v81, 0
	;; [unrolled: 1-line block ×8, first 2 shown]
	v_lshl_or_b32 v74, v66, 4, v75
	v_fma_mixhi_f16 v94, v102, v78, 0
	v_fma_mixhi_f16 v95, v102, v80, 0
	;; [unrolled: 1-line block ×8, first 2 shown]
	ds_store_b128 v74, v[94:97]
	ds_store_b128 v74, v[98:101] offset:1024
	s_waitcnt lgkmcnt(0)
	s_barrier
	buffer_gl0_inv
	ds_load_b128 v[78:81], v75
	ds_load_b128 v[82:85], v75 offset:16
	ds_load_b128 v[86:89], v75 offset:1024
	;; [unrolled: 1-line block ×3, first 2 shown]
	v_cmp_eq_u32_e64 s9, 1, v69
	v_cmp_eq_u32_e64 s13, 2, v69
	;; [unrolled: 1-line block ×11, first 2 shown]
	s_waitcnt lgkmcnt(3)
	v_lshrrev_b32_e32 v94, 16, v78
	s_waitcnt lgkmcnt(2)
	v_lshrrev_b32_e32 v98, 16, v82
	;; [unrolled: 2-line block ×4, first 2 shown]
	v_lshrrev_b32_e32 v95, 16, v79
	v_cndmask_b32_e64 v110, v78, v94, s3
	v_cndmask_b32_e64 v111, v82, v98, s3
	;; [unrolled: 1-line block ×8, first 2 shown]
	v_lshrrev_b32_e32 v99, 16, v83
	v_cndmask_b32_e64 v94, v86, v102, s3
	v_cndmask_b32_e64 v98, v90, v106, s3
	;; [unrolled: 1-line block ×15, first 2 shown]
	v_lshrrev_b32_e32 v103, 16, v87
	v_lshrrev_b32_e32 v107, 16, v91
	v_cndmask_b32_e64 v113, v115, v83, s13
	v_cndmask_b32_e64 v82, v94, v87, s4
	v_cndmask_b32_e64 v83, v98, v91, s4
	v_cndmask_b32_e64 v94, v116, v87, s11
	v_cndmask_b32_e64 v98, v118, v87, s13
	v_cndmask_b32_e64 v86, v86, v87, s15
	v_cndmask_b32_e64 v87, v90, v91, s15
	v_cndmask_b32_e32 v90, v102, v95, vcc_lo
	v_cndmask_b32_e32 v102, v106, v99, vcc_lo
	v_cndmask_b32_e64 v106, v110, v95, s12
	v_cndmask_b32_e64 v110, v111, v99, s12
	v_cndmask_b32_e64 v78, v78, v95, s17
	v_cndmask_b32_e64 v79, v79, v99, s17
	v_lshrrev_b32_e32 v96, 16, v80
	v_lshrrev_b32_e32 v100, 16, v84
	v_cndmask_b32_e64 v111, v112, v95, s16
	v_cndmask_b32_e64 v112, v113, v99, s16
	v_cndmask_b32_e32 v82, v82, v103, vcc_lo
	v_cndmask_b32_e32 v83, v83, v107, vcc_lo
	v_cndmask_b32_e64 v94, v94, v103, s12
	v_cndmask_b32_e64 v90, v90, v80, s2
	;; [unrolled: 1-line block ×7, first 2 shown]
	v_lshrrev_b32_e32 v104, 16, v88
	v_cndmask_b32_e64 v106, v111, v80, s20
	v_cndmask_b32_e64 v110, v112, v84, s20
	;; [unrolled: 1-line block ×11, first 2 shown]
	v_lshrrev_b32_e32 v97, 16, v81
	v_lshrrev_b32_e32 v101, 16, v85
	v_cndmask_b32_e64 v99, v106, v96, s22
	v_cndmask_b32_e64 v102, v110, v100, s22
	;; [unrolled: 1-line block ×7, first 2 shown]
	v_lshrrev_b32_e32 v105, 16, v89
	v_cndmask_b32_e64 v80, v80, v104, s5
	v_cndmask_b32_e64 v84, v84, v81, s6
	;; [unrolled: 1-line block ×16, first 2 shown]
	v_perm_b32 v81, v79, v78, 0x5040100
	v_perm_b32 v79, v95, v85, 0x5040100
	v_cndmask_b32_e64 v78, v119, v91, s13
	v_cndmask_b32_e64 v85, v117, v91, s11
	;; [unrolled: 1-line block ×3, first 2 shown]
	v_perm_b32 v80, v94, v90, 0x5040100
	v_cndmask_b32_e64 v90, v98, v103, s16
	v_cndmask_b32_e64 v86, v86, v103, s17
	v_cndmask_b32_e64 v87, v87, v107, s17
	v_cndmask_b32_e64 v78, v78, v107, s16
	v_cndmask_b32_e64 v85, v85, v107, s12
	v_lshrrev_b32_e32 v108, 16, v92
	v_cndmask_b32_e64 v90, v90, v88, s20
	v_cndmask_b32_e64 v86, v86, v88, s21
	;; [unrolled: 1-line block ×11, first 2 shown]
	v_lshrrev_b32_e32 v109, 16, v93
	v_cndmask_b32_e64 v82, v82, v93, s6
	v_cndmask_b32_e64 v88, v88, v89, s25
	;; [unrolled: 1-line block ×12, first 2 shown]
	v_perm_b32 v78, v84, v83, 0x5040100
	v_perm_b32 v85, v87, v86, 0x5040100
	v_perm_b32 v84, v89, v88, 0x5040100
	v_perm_b32 v83, v90, v97, 0x5040100
	v_perm_b32 v82, v82, v96, 0x5040100
	s_mul_i32 s7, s33, 12
	s_mov_b32 s2, exec_lo
	ds_store_b128 v74, v[78:81]
	ds_store_b128 v74, v[82:85] offset:1024
	v_cmpx_gt_u32_e32 12, v0
	s_cbranch_execz .LBB941_14
; %bb.13:
	s_mul_i32 s3, s7, s30
	s_load_b128 s[8:11], s[0:1], 0x58
	v_add3_u32 v68, s3, s31, v68
	s_delay_alu instid0(VALU_DEP_1) | instskip(NEXT) | instid1(VALU_DEP_1)
	v_mad_u64_u32 v[78:79], null, v68, s34, s[14:15]
	v_ashrrev_i32_e32 v79, 31, v78
	s_delay_alu instid0(VALU_DEP_1) | instskip(SKIP_1) | instid1(VALU_DEP_1)
	v_lshlrev_b64 v[78:79], 2, v[78:79]
	s_waitcnt lgkmcnt(0)
	v_add_co_u32 v80, vcc_lo, s10, v78
	s_delay_alu instid0(VALU_DEP_2)
	v_add_co_ci_u32_e32 v81, vcc_lo, s11, v79, vcc_lo
	v_add_co_u32 v78, vcc_lo, s8, v78
	v_add_co_ci_u32_e32 v79, vcc_lo, s9, v79, vcc_lo
	global_store_b32 v[80:81], v76, off
	global_store_b32 v[78:79], v77, off
.LBB941_14:
	s_or_b32 exec_lo, exec_lo, s2
	s_waitcnt lgkmcnt(0)
	s_waitcnt_vscnt null, 0x0
	s_barrier
	buffer_gl0_inv
	ds_load_b128 v[84:87], v73
	ds_load_b128 v[88:91], v73 offset:16
	ds_load_b128 v[96:99], v73 offset:2064
	;; [unrolled: 1-line block ×5, first 2 shown]
	v_cmp_eq_u32_e32 vcc_lo, 1, v70
	v_mov_b32_e32 v76, 0
	ds_load_b128 v[112:115], v73 offset:6160
	ds_load_b128 v[108:111], v73 offset:6144
	ds_load_b128 v[120:123], v73 offset:8208
	ds_load_b128 v[116:119], v73 offset:8192
	v_cmp_eq_u32_e64 s3, 1, v69
	v_cmp_eq_u32_e64 s2, 1, v72
	;; [unrolled: 1-line block ×3, first 2 shown]
	v_mov_b32_e32 v77, v76
	v_mov_b32_e32 v78, v76
	;; [unrolled: 1-line block ×7, first 2 shown]
	v_cmp_eq_u32_e64 s5, 3, v72
	v_cmp_eq_u32_e64 s6, 7, v72
	s_waitcnt lgkmcnt(8)
	s_delay_alu instid0(VALU_DEP_3)
	v_wmma_f32_16x16x16_f16 v[76:83], v[49:56], v[84:91], v[76:83]
	ds_load_b128 v[53:56], v73 offset:10256
	ds_load_b128 v[49:52], v73 offset:10240
	s_waitcnt lgkmcnt(8)
	v_wmma_f32_16x16x16_f16 v[76:83], v[41:48], v[92:99], v[76:83]
	ds_load_b128 v[45:48], v73 offset:12304
	ds_load_b128 v[41:44], v73 offset:12288
	s_waitcnt lgkmcnt(8)
	;; [unrolled: 4-line block ×3, first 2 shown]
	s_barrier
	buffer_gl0_inv
	v_wmma_f32_16x16x16_f16 v[76:83], v[1:8], v[108:115], v[76:83]
	s_delay_alu instid0(VALU_DEP_1) | instskip(NEXT) | instid1(VALU_DEP_1)
	v_wmma_f32_16x16x16_f16 v[76:83], v[9:16], v[116:123], v[76:83]
	v_wmma_f32_16x16x16_f16 v[76:83], v[17:24], v[49:56], v[76:83]
	s_delay_alu instid0(VALU_DEP_1) | instskip(NEXT) | instid1(VALU_DEP_1)
	v_wmma_f32_16x16x16_f16 v[76:83], v[25:32], v[41:48], v[76:83]
	v_wmma_f32_16x16x16_f16 v[76:83], v[57:64], v[33:40], v[76:83]
	s_delay_alu instid0(VALU_DEP_1) | instskip(NEXT) | instid1(VALU_DEP_2)
	v_cvt_f16_f32_e32 v1, v76
	v_cvt_f16_f32_e32 v2, v77
	s_delay_alu instid0(VALU_DEP_3) | instskip(NEXT) | instid1(VALU_DEP_4)
	v_cvt_f16_f32_e32 v3, v78
	v_cvt_f16_f32_e32 v4, v79
	v_cvt_f16_f32_e32 v5, v80
	v_cvt_f16_f32_e32 v6, v81
	v_cvt_f16_f32_e32 v7, v82
	v_cvt_f16_f32_e32 v8, v83
	v_pack_b32_f16 v1, v1, v2
	v_pack_b32_f16 v2, v3, v4
	;; [unrolled: 1-line block ×3, first 2 shown]
	s_delay_alu instid0(VALU_DEP_4)
	v_pack_b32_f16 v4, v7, v8
	ds_store_b128 v74, v[1:4]
	s_waitcnt lgkmcnt(0)
	s_barrier
	buffer_gl0_inv
	ds_load_b128 v[1:4], v75
	ds_load_b128 v[5:8], v75 offset:16
	s_waitcnt lgkmcnt(1)
	v_lshrrev_b32_e32 v9, 16, v1
	s_waitcnt lgkmcnt(0)
	v_lshrrev_b32_e32 v13, 16, v5
	v_lshrrev_b32_e32 v10, 16, v2
	;; [unrolled: 1-line block ×4, first 2 shown]
	v_cndmask_b32_e32 v17, v1, v9, vcc_lo
	v_cndmask_b32_e32 v18, v5, v13, vcc_lo
	v_cndmask_b32_e64 v21, v1, v9, s3
	v_cmp_eq_u32_e32 vcc_lo, 1, v71
	v_cndmask_b32_e64 v22, v5, v13, s3
	v_cmp_eq_u32_e64 s3, 2, v70
	v_cndmask_b32_e64 v19, v1, v9, s2
	v_cndmask_b32_e64 v20, v5, v13, s2
	v_cndmask_b32_e32 v1, v1, v9, vcc_lo
	v_cmp_eq_u32_e64 s2, 2, v71
	v_cndmask_b32_e32 v5, v5, v13, vcc_lo
	v_cndmask_b32_e64 v9, v17, v2, s3
	v_cmp_eq_u32_e32 vcc_lo, 3, v70
	v_cndmask_b32_e64 v13, v18, v6, s3
	v_cmp_eq_u32_e64 s3, 2, v69
	v_cndmask_b32_e64 v17, v19, v2, s4
	v_cndmask_b32_e64 v18, v20, v6, s4
	v_cmp_eq_u32_e64 s4, 3, v69
	v_cndmask_b32_e64 v1, v1, v2, s2
	v_cndmask_b32_e64 v19, v21, v2, s3
	v_cndmask_b32_e64 v20, v22, v6, s3
	v_cndmask_b32_e64 v2, v5, v6, s2
	v_cndmask_b32_e32 v5, v9, v10, vcc_lo
	v_cndmask_b32_e32 v6, v13, v14, vcc_lo
	v_cmp_eq_u32_e32 vcc_lo, 3, v71
	v_cndmask_b32_e64 v9, v17, v10, s5
	v_cndmask_b32_e64 v13, v18, v14, s5
	;; [unrolled: 1-line block ×3, first 2 shown]
	v_cmp_eq_u32_e64 s3, 4, v70
	v_cndmask_b32_e32 v1, v1, v10, vcc_lo
	v_cndmask_b32_e32 v2, v2, v14, vcc_lo
	v_cmp_eq_u32_e32 vcc_lo, 4, v72
	v_lshrrev_b32_e32 v15, 16, v7
	v_lshrrev_b32_e32 v16, 16, v8
	v_cndmask_b32_e64 v17, v19, v10, s4
	v_cmp_eq_u32_e64 s2, 4, v71
	v_cndmask_b32_e64 v5, v5, v3, s3
	v_cndmask_b32_e64 v6, v6, v7, s3
	v_cndmask_b32_e32 v9, v9, v3, vcc_lo
	v_cmp_eq_u32_e64 s3, 5, v72
	v_cndmask_b32_e32 v10, v13, v7, vcc_lo
	v_cmp_eq_u32_e32 vcc_lo, 4, v69
	v_cmp_eq_u32_e64 s4, 5, v70
	v_cndmask_b32_e64 v2, v2, v7, s2
	v_cndmask_b32_e64 v9, v9, v11, s3
	;; [unrolled: 1-line block ×3, first 2 shown]
	v_cndmask_b32_e32 v13, v17, v3, vcc_lo
	v_cmp_eq_u32_e64 s3, 5, v69
	v_cndmask_b32_e32 v14, v18, v7, vcc_lo
	v_cndmask_b32_e64 v1, v1, v3, s2
	v_cmp_eq_u32_e32 vcc_lo, 5, v71
	v_lshrrev_b32_e32 v12, 16, v4
	v_cndmask_b32_e64 v13, v13, v11, s3
	v_cndmask_b32_e64 v3, v14, v15, s3
	v_cmp_eq_u32_e64 s3, 6, v71
	v_cndmask_b32_e32 v1, v1, v11, vcc_lo
	v_cndmask_b32_e64 v5, v5, v11, s4
	v_cmp_eq_u32_e64 s5, 6, v70
	v_cndmask_b32_e64 v6, v6, v15, s4
	v_cmp_eq_u32_e64 s4, 6, v72
	v_cmp_eq_u32_e64 s2, 6, v69
	v_cndmask_b32_e64 v1, v1, v4, s3
	v_cndmask_b32_e32 v2, v2, v15, vcc_lo
	v_cmp_eq_u32_e32 vcc_lo, 7, v71
	v_cndmask_b32_e64 v5, v5, v4, s5
	v_cndmask_b32_e64 v9, v9, v4, s4
	;; [unrolled: 1-line block ×3, first 2 shown]
	v_cmp_eq_u32_e64 s5, 7, v70
	v_cndmask_b32_e32 v1, v1, v12, vcc_lo
	v_cndmask_b32_e64 v7, v13, v4, s2
	v_cndmask_b32_e64 v3, v3, v8, s2
	;; [unrolled: 1-line block ×3, first 2 shown]
	v_cmp_eq_u32_e64 s2, 7, v69
	v_cndmask_b32_e64 v4, v10, v8, s4
	v_cndmask_b32_e64 v5, v5, v12, s5
	;; [unrolled: 1-line block ×3, first 2 shown]
	v_cndmask_b32_e32 v2, v2, v16, vcc_lo
	v_cndmask_b32_e64 v7, v7, v12, s2
	v_cndmask_b32_e64 v3, v3, v16, s2
	;; [unrolled: 1-line block ×4, first 2 shown]
	v_perm_b32 v4, v2, v1, 0x5040100
	s_mov_b32 s2, exec_lo
	v_perm_b32 v3, v3, v7, 0x5040100
	v_perm_b32 v2, v8, v9, 0x5040100
	;; [unrolled: 1-line block ×3, first 2 shown]
	ds_store_b128 v74, v[1:4]
	s_waitcnt lgkmcnt(0)
	s_barrier
	buffer_gl0_inv
	v_cmpx_gt_u32_e32 32, v0
	s_cbranch_execz .LBB941_2
; %bb.15:
	s_load_b64 s[0:1], s[0:1], 0x68
	v_lshlrev_b32_e32 v0, 10, v0
	s_lshl_b32 s4, s34, 7
	v_or_b32_e32 v3, s31, v66
	s_mul_i32 s2, s4, s30
	v_lshlrev_b32_e32 v1, 4, v67
	s_mul_i32 s2, s2, s7
	v_lshlrev_b32_e32 v2, 6, v66
	v_and_b32_e32 v0, 0x3800, v0
	s_ashr_i32 s3, s2, 31
	v_mul_lo_u32 v4, v3, s4
	s_lshl_b64 s[2:3], s[2:3], 1
	s_delay_alu instid0(VALU_DEP_2) | instskip(NEXT) | instid1(VALU_DEP_2)
	v_or3_b32 v16, v0, v1, v2
	v_ashrrev_i32_e32 v5, 31, v4
	ds_load_b128 v[0:3], v16
	s_waitcnt lgkmcnt(0)
	s_add_u32 s2, s0, s2
	s_addc_u32 s3, s1, s3
	s_lshl_b32 s0, s14, 7
	v_lshlrev_b64 v[5:6], 1, v[4:5]
	s_ashr_i32 s1, s0, 31
	s_delay_alu instid0(SALU_CYCLE_1) | instskip(NEXT) | instid1(SALU_CYCLE_1)
	s_lshl_b64 s[0:1], s[0:1], 1
	s_add_u32 s0, s2, s0
	s_addc_u32 s1, s3, s1
	s_lshl_b32 s2, s34, 8
	v_add_co_u32 v30, s0, s0, v65
	v_add_nc_u32_e32 v8, s2, v4
	v_add_co_ci_u32_e64 v31, null, s1, 0, s0
	s_delay_alu instid0(VALU_DEP_3) | instskip(NEXT) | instid1(VALU_DEP_3)
	v_add_co_u32 v12, vcc_lo, v30, v5
	v_add_nc_u32_e32 v10, s2, v8
	v_ashrrev_i32_e32 v9, 31, v8
	s_delay_alu instid0(VALU_DEP_4)
	v_add_co_ci_u32_e32 v13, vcc_lo, v31, v6, vcc_lo
	ds_load_b128 v[4:7], v16 offset:128
	v_ashrrev_i32_e32 v11, 31, v10
	v_lshlrev_b64 v[8:9], 1, v[8:9]
	v_add_nc_u32_e32 v14, s2, v10
	global_store_b128 v[12:13], v[0:3], off
	v_lshlrev_b64 v[0:1], 1, v[10:11]
	v_ashrrev_i32_e32 v15, 31, v14
	v_add_co_u32 v22, vcc_lo, v30, v8
	v_add_nc_u32_e32 v20, s2, v14
	v_add_co_ci_u32_e32 v23, vcc_lo, v31, v9, vcc_lo
	v_add_co_u32 v26, vcc_lo, v30, v0
	v_lshlrev_b64 v[24:25], 1, v[14:15]
	v_add_co_ci_u32_e32 v27, vcc_lo, v31, v1, vcc_lo
	ds_load_b128 v[0:3], v16 offset:256
	ds_load_b128 v[8:11], v16 offset:384
	;; [unrolled: 1-line block ×4, first 2 shown]
	v_add_nc_u32_e32 v28, s2, v20
	v_ashrrev_i32_e32 v21, 31, v20
	v_add_co_u32 v24, vcc_lo, v30, v24
	v_add_co_ci_u32_e32 v25, vcc_lo, v31, v25, vcc_lo
	s_delay_alu instid0(VALU_DEP_4) | instskip(NEXT) | instid1(VALU_DEP_4)
	v_ashrrev_i32_e32 v29, 31, v28
	v_lshlrev_b64 v[20:21], 1, v[20:21]
	s_delay_alu instid0(VALU_DEP_2) | instskip(NEXT) | instid1(VALU_DEP_2)
	v_lshlrev_b64 v[28:29], 1, v[28:29]
	v_add_co_u32 v20, vcc_lo, v30, v20
	s_delay_alu instid0(VALU_DEP_3) | instskip(NEXT) | instid1(VALU_DEP_3)
	v_add_co_ci_u32_e32 v21, vcc_lo, v31, v21, vcc_lo
	v_add_co_u32 v28, vcc_lo, v30, v28
	s_delay_alu instid0(VALU_DEP_4)
	v_add_co_ci_u32_e32 v29, vcc_lo, v31, v29, vcc_lo
	s_waitcnt lgkmcnt(4)
	global_store_b128 v[22:23], v[4:7], off
	s_waitcnt lgkmcnt(3)
	global_store_b128 v[26:27], v[0:3], off
	;; [unrolled: 2-line block ×5, first 2 shown]
	s_nop 0
	s_sendmsg sendmsg(MSG_DEALLOC_VGPRS)
	s_endpgm
	.section	.rodata,"a",@progbits
	.p2align	6, 0x0
	.amdhsa_kernel _Z39paged_attention_ll4mi_QKV_mfma16_kernelIDF16_hLN4vllm18Fp8KVCacheDataTypeE1EhLi16ELi128ELi256ELb1ELi12EL8MFMAType1EEvPKT_PKT0_S8_ifPKiSA_SA_iPKfiiiPfSD_PS3_PT2_iSC_SC_
		.amdhsa_group_segment_fixed_size 17472
		.amdhsa_private_segment_fixed_size 0
		.amdhsa_kernarg_size 400
		.amdhsa_user_sgpr_count 13
		.amdhsa_user_sgpr_dispatch_ptr 0
		.amdhsa_user_sgpr_queue_ptr 0
		.amdhsa_user_sgpr_kernarg_segment_ptr 1
		.amdhsa_user_sgpr_dispatch_id 0
		.amdhsa_user_sgpr_private_segment_size 0
		.amdhsa_wavefront_size32 1
		.amdhsa_uses_dynamic_stack 0
		.amdhsa_enable_private_segment 0
		.amdhsa_system_sgpr_workgroup_id_x 1
		.amdhsa_system_sgpr_workgroup_id_y 1
		.amdhsa_system_sgpr_workgroup_id_z 1
		.amdhsa_system_sgpr_workgroup_info 0
		.amdhsa_system_vgpr_workitem_id 0
		.amdhsa_next_free_vgpr 150
		.amdhsa_next_free_sgpr 36
		.amdhsa_reserve_vcc 1
		.amdhsa_float_round_mode_32 0
		.amdhsa_float_round_mode_16_64 0
		.amdhsa_float_denorm_mode_32 3
		.amdhsa_float_denorm_mode_16_64 3
		.amdhsa_dx10_clamp 1
		.amdhsa_ieee_mode 1
		.amdhsa_fp16_overflow 0
		.amdhsa_workgroup_processor_mode 1
		.amdhsa_memory_ordered 1
		.amdhsa_forward_progress 0
		.amdhsa_shared_vgpr_count 0
		.amdhsa_exception_fp_ieee_invalid_op 0
		.amdhsa_exception_fp_denorm_src 0
		.amdhsa_exception_fp_ieee_div_zero 0
		.amdhsa_exception_fp_ieee_overflow 0
		.amdhsa_exception_fp_ieee_underflow 0
		.amdhsa_exception_fp_ieee_inexact 0
		.amdhsa_exception_int_div_zero 0
	.end_amdhsa_kernel
	.section	.text._Z39paged_attention_ll4mi_QKV_mfma16_kernelIDF16_hLN4vllm18Fp8KVCacheDataTypeE1EhLi16ELi128ELi256ELb1ELi12EL8MFMAType1EEvPKT_PKT0_S8_ifPKiSA_SA_iPKfiiiPfSD_PS3_PT2_iSC_SC_,"axG",@progbits,_Z39paged_attention_ll4mi_QKV_mfma16_kernelIDF16_hLN4vllm18Fp8KVCacheDataTypeE1EhLi16ELi128ELi256ELb1ELi12EL8MFMAType1EEvPKT_PKT0_S8_ifPKiSA_SA_iPKfiiiPfSD_PS3_PT2_iSC_SC_,comdat
.Lfunc_end941:
	.size	_Z39paged_attention_ll4mi_QKV_mfma16_kernelIDF16_hLN4vllm18Fp8KVCacheDataTypeE1EhLi16ELi128ELi256ELb1ELi12EL8MFMAType1EEvPKT_PKT0_S8_ifPKiSA_SA_iPKfiiiPfSD_PS3_PT2_iSC_SC_, .Lfunc_end941-_Z39paged_attention_ll4mi_QKV_mfma16_kernelIDF16_hLN4vllm18Fp8KVCacheDataTypeE1EhLi16ELi128ELi256ELb1ELi12EL8MFMAType1EEvPKT_PKT0_S8_ifPKiSA_SA_iPKfiiiPfSD_PS3_PT2_iSC_SC_
                                        ; -- End function
	.section	.AMDGPU.csdata,"",@progbits
; Kernel info:
; codeLenInByte = 6752
; NumSgprs: 38
; NumVgprs: 150
; ScratchSize: 0
; MemoryBound: 0
; FloatMode: 240
; IeeeMode: 1
; LDSByteSize: 17472 bytes/workgroup (compile time only)
; SGPRBlocks: 4
; VGPRBlocks: 18
; NumSGPRsForWavesPerEU: 38
; NumVGPRsForWavesPerEU: 150
; Occupancy: 9
; WaveLimiterHint : 1
; COMPUTE_PGM_RSRC2:SCRATCH_EN: 0
; COMPUTE_PGM_RSRC2:USER_SGPR: 13
; COMPUTE_PGM_RSRC2:TRAP_HANDLER: 0
; COMPUTE_PGM_RSRC2:TGID_X_EN: 1
; COMPUTE_PGM_RSRC2:TGID_Y_EN: 1
; COMPUTE_PGM_RSRC2:TGID_Z_EN: 1
; COMPUTE_PGM_RSRC2:TIDIG_COMP_CNT: 0
	.section	.text._Z39paged_attention_ll4mi_QKV_mfma16_kernelIDF16_hLN4vllm18Fp8KVCacheDataTypeE1EhLi16ELi128ELi256ELb1ELi13EL8MFMAType1EEvPKT_PKT0_S8_ifPKiSA_SA_iPKfiiiPfSD_PS3_PT2_iSC_SC_,"axG",@progbits,_Z39paged_attention_ll4mi_QKV_mfma16_kernelIDF16_hLN4vllm18Fp8KVCacheDataTypeE1EhLi16ELi128ELi256ELb1ELi13EL8MFMAType1EEvPKT_PKT0_S8_ifPKiSA_SA_iPKfiiiPfSD_PS3_PT2_iSC_SC_,comdat
	.protected	_Z39paged_attention_ll4mi_QKV_mfma16_kernelIDF16_hLN4vllm18Fp8KVCacheDataTypeE1EhLi16ELi128ELi256ELb1ELi13EL8MFMAType1EEvPKT_PKT0_S8_ifPKiSA_SA_iPKfiiiPfSD_PS3_PT2_iSC_SC_ ; -- Begin function _Z39paged_attention_ll4mi_QKV_mfma16_kernelIDF16_hLN4vllm18Fp8KVCacheDataTypeE1EhLi16ELi128ELi256ELb1ELi13EL8MFMAType1EEvPKT_PKT0_S8_ifPKiSA_SA_iPKfiiiPfSD_PS3_PT2_iSC_SC_
	.globl	_Z39paged_attention_ll4mi_QKV_mfma16_kernelIDF16_hLN4vllm18Fp8KVCacheDataTypeE1EhLi16ELi128ELi256ELb1ELi13EL8MFMAType1EEvPKT_PKT0_S8_ifPKiSA_SA_iPKfiiiPfSD_PS3_PT2_iSC_SC_
	.p2align	8
	.type	_Z39paged_attention_ll4mi_QKV_mfma16_kernelIDF16_hLN4vllm18Fp8KVCacheDataTypeE1EhLi16ELi128ELi256ELb1ELi13EL8MFMAType1EEvPKT_PKT0_S8_ifPKiSA_SA_iPKfiiiPfSD_PS3_PT2_iSC_SC_,@function
_Z39paged_attention_ll4mi_QKV_mfma16_kernelIDF16_hLN4vllm18Fp8KVCacheDataTypeE1EhLi16ELi128ELi256ELb1ELi13EL8MFMAType1EEvPKT_PKT0_S8_ifPKiSA_SA_iPKfiiiPfSD_PS3_PT2_iSC_SC_: ; @_Z39paged_attention_ll4mi_QKV_mfma16_kernelIDF16_hLN4vllm18Fp8KVCacheDataTypeE1EhLi16ELi128ELi256ELb1ELi13EL8MFMAType1EEvPKT_PKT0_S8_ifPKiSA_SA_iPKfiiiPfSD_PS3_PT2_iSC_SC_
; %bb.0:
	s_load_b64 s[4:5], s[0:1], 0x30
	s_mov_b32 s34, s13
	s_waitcnt lgkmcnt(0)
	s_cmp_lg_u64 s[4:5], 0
	s_cselect_b32 s8, -1, 0
	s_ashr_i32 s35, s13, 31
	s_cmp_eq_u64 s[4:5], 0
	s_cbranch_scc1 .LBB942_3
; %bb.1:
	s_lshl_b64 s[2:3], s[34:35], 2
	s_delay_alu instid0(SALU_CYCLE_1) | instskip(SKIP_4) | instid1(SALU_CYCLE_1)
	s_add_u32 s2, s4, s2
	s_addc_u32 s3, s5, s3
	s_load_b64 s[2:3], s[2:3], 0x0
	s_waitcnt lgkmcnt(0)
	s_sub_i32 s2, s3, s2
	s_cmp_eq_u32 s2, 1
	s_cselect_b32 s2, -1, 0
	s_delay_alu instid0(SALU_CYCLE_1)
	s_and_not1_b32 vcc_lo, exec_lo, s2
	s_cbranch_vccz .LBB942_4
.LBB942_2:
	s_nop 0
	s_sendmsg sendmsg(MSG_DEALLOC_VGPRS)
	s_endpgm
.LBB942_3:
.LBB942_4:
	s_load_b64 s[2:3], s[0:1], 0x28
	s_lshl_b64 s[6:7], s[34:35], 2
	s_waitcnt lgkmcnt(0)
	s_add_u32 s2, s2, s6
	s_addc_u32 s3, s3, s7
	s_lshl_b32 s12, s14, 8
	s_load_b32 s24, s[2:3], 0x0
	s_waitcnt lgkmcnt(0)
	s_cmp_ge_i32 s12, s24
	s_cbranch_scc1 .LBB942_2
; %bb.5:
	s_clause 0x1
	s_load_b128 s[20:23], s[0:1], 0x8
	s_load_b64 s[2:3], s[0:1], 0x20
	s_and_not1_b32 vcc_lo, exec_lo, s8
	s_cbranch_vccnz .LBB942_7
; %bb.6:
	s_add_u32 s4, s4, s6
	s_addc_u32 s5, s5, s7
	s_load_b32 s5, s[4:5], 0x0
	s_branch .LBB942_8
.LBB942_7:
	s_mov_b32 s5, s34
.LBB942_8:
	s_load_b128 s[16:19], s[0:1], 0x48
	v_and_b32_e32 v68, 15, v0
	v_lshrrev_b32_e32 v69, 5, v0
	v_bfe_u32 v66, v0, 4, 1
	v_and_b32_e32 v70, 31, v0
	v_and_b32_e32 v67, 1, v0
	v_lshlrev_b32_e32 v2, 3, v68
	s_mul_i32 s31, s15, 13
	v_lshl_or_b32 v1, v69, 1, v66
	s_mov_b32 s4, exec_lo
	s_delay_alu instid0(VALU_DEP_2) | instskip(NEXT) | instid1(VALU_DEP_2)
	v_lshlrev_b32_e32 v65, 1, v2
	v_cmpx_gt_u32_e32 13, v1
	s_cbranch_execz .LBB942_10
; %bb.9:
	s_load_b64 s[6:7], s[0:1], 0x0
	v_add_lshl_u32 v2, v1, s31, 7
	s_waitcnt lgkmcnt(0)
	s_mul_hi_i32 s9, s5, s16
	s_mul_i32 s8, s5, s16
	v_lshlrev_b32_e32 v6, 10, v68
	s_lshl_b64 s[8:9], s[8:9], 1
	v_ashrrev_i32_e32 v3, 31, v2
	v_lshlrev_b32_e32 v1, 6, v1
	v_lshlrev_b32_e32 v7, 10, v67
	v_and_b32_e32 v6, 0x3800, v6
	s_delay_alu instid0(VALU_DEP_4) | instskip(NEXT) | instid1(VALU_DEP_2)
	v_lshlrev_b64 v[2:3], 1, v[2:3]
	v_or3_b32 v1, v6, v7, v1
	s_add_u32 s5, s6, s8
	s_addc_u32 s6, s7, s9
	s_delay_alu instid0(VALU_DEP_2) | instskip(NEXT) | instid1(VALU_DEP_3)
	v_add_co_u32 v2, vcc_lo, s5, v2
	v_add_co_ci_u32_e32 v3, vcc_lo, s6, v3, vcc_lo
	s_delay_alu instid0(VALU_DEP_2) | instskip(NEXT) | instid1(VALU_DEP_2)
	v_add_co_u32 v2, vcc_lo, v2, v65
	v_add_co_ci_u32_e32 v3, vcc_lo, 0, v3, vcc_lo
	global_load_b128 v[2:5], v[2:3], off
	s_waitcnt vmcnt(0)
	ds_store_b128 v1, v[2:5]
.LBB942_10:
	s_or_b32 exec_lo, exec_lo, s4
	v_and_b32_e32 v1, 0xef, v0
	s_waitcnt lgkmcnt(0)
	s_add_i32 s5, s24, 15
	s_clause 0x1
	s_load_b32 s4, s[0:1], 0x38
	s_load_b32 s33, s[0:1], 0x98
	s_ashr_i32 s6, s5, 31
	v_add_nc_u32_e32 v1, s12, v1
	s_lshr_b32 s6, s6, 28
	s_load_b32 s19, s[0:1], 0x1c
	s_add_i32 s5, s5, s6
	s_waitcnt lgkmcnt(0)
	v_ashrrev_i32_e32 v2, 31, v1
	v_or_b32_e32 v3, 16, v1
	s_ashr_i32 s13, s5, 4
	v_cmp_gt_i32_e32 vcc_lo, s24, v1
	s_add_i32 s13, s13, -1
	v_lshrrev_b32_e32 v2, 28, v2
	s_barrier
	buffer_gl0_inv
	s_mul_i32 s15, s15, s18
	v_add_nc_u32_e32 v4, v1, v2
	s_mul_i32 s4, s34, s4
	s_delay_alu instid0(SALU_CYCLE_1) | instskip(NEXT) | instid1(VALU_DEP_1)
	s_ashr_i32 s5, s4, 31
	v_ashrrev_i32_e32 v4, 4, v4
	v_add_nc_u32_e32 v2, v3, v2
	s_lshl_b64 s[4:5], s[4:5], 2
	s_delay_alu instid0(SALU_CYCLE_1) | instskip(NEXT) | instid1(VALU_DEP_2)
	s_add_u32 s16, s2, s4
	v_cndmask_b32_e32 v1, s13, v4, vcc_lo
	s_delay_alu instid0(VALU_DEP_2)
	v_ashrrev_i32_e32 v2, 4, v2
	v_cmp_gt_i32_e32 vcc_lo, s24, v3
	s_addc_u32 s25, s3, s5
	s_ashr_i32 s18, s15, 31
	s_add_u32 s26, s20, s15
	s_addc_u32 s27, s21, s18
	v_cndmask_b32_e32 v3, s13, v2, vcc_lo
	v_ashrrev_i32_e32 v2, 31, v1
	s_lshl_b32 s2, s14, 4
	s_delay_alu instid0(SALU_CYCLE_1) | instskip(NEXT) | instid1(VALU_DEP_2)
	s_ashr_i32 s3, s2, 31
	v_ashrrev_i32_e32 v4, 31, v3
	s_delay_alu instid0(VALU_DEP_2) | instskip(SKIP_1) | instid1(SALU_CYCLE_1)
	v_lshlrev_b64 v[1:2], 2, v[1:2]
	s_lshl_b64 s[2:3], s[2:3], 2
	s_add_u32 s2, s16, s2
	s_delay_alu instid0(VALU_DEP_2) | instskip(SKIP_1) | instid1(VALU_DEP_2)
	v_lshlrev_b64 v[3:4], 2, v[3:4]
	s_addc_u32 s3, s25, s3
	v_add_co_u32 v1, vcc_lo, s16, v1
	v_add_co_ci_u32_e32 v2, vcc_lo, s25, v2, vcc_lo
	s_delay_alu instid0(VALU_DEP_3) | instskip(NEXT) | instid1(VALU_DEP_4)
	v_add_co_u32 v3, vcc_lo, s16, v3
	v_add_co_ci_u32_e32 v4, vcc_lo, s25, v4, vcc_lo
	s_clause 0x1
	global_load_b32 v5, v[1:2], off
	global_load_b32 v7, v[3:4], off
	s_or_b32 s4, s12, 32
	v_lshlrev_b32_e32 v1, 4, v0
	s_ashr_i32 s5, s4, 4
	s_cmp_lt_i32 s4, s24
	v_cmp_gt_u32_e32 vcc_lo, 13, v68
	s_cselect_b32 s4, s5, s13
	v_and_b32_e32 v1, 0xf0, v1
	s_ashr_i32 s5, s4, 31
	s_delay_alu instid0(SALU_CYCLE_1) | instskip(NEXT) | instid1(SALU_CYCLE_1)
	s_lshl_b64 s[4:5], s[4:5], 2
	s_add_u32 s4, s16, s4
	s_addc_u32 s5, s25, s5
	s_or_b32 s6, s12, 64
	v_add_co_u32 v1, s26, s26, v1
	s_ashr_i32 s7, s6, 4
	s_cmp_lt_i32 s6, s24
	v_add_co_ci_u32_e64 v2, null, s27, 0, s26
	s_cselect_b32 s6, s7, s13
	s_delay_alu instid0(SALU_CYCLE_1) | instskip(NEXT) | instid1(SALU_CYCLE_1)
	s_ashr_i32 s7, s6, 31
	s_lshl_b64 s[6:7], s[6:7], 2
	s_delay_alu instid0(SALU_CYCLE_1) | instskip(SKIP_2) | instid1(SALU_CYCLE_1)
	s_add_u32 s6, s16, s6
	s_addc_u32 s7, s25, s7
	s_or_b32 s8, s12, 0x60
	s_ashr_i32 s9, s8, 4
	s_cmp_lt_i32 s8, s24
	s_cselect_b32 s8, s9, s13
	s_delay_alu instid0(SALU_CYCLE_1) | instskip(NEXT) | instid1(SALU_CYCLE_1)
	s_ashr_i32 s9, s8, 31
	s_lshl_b64 s[8:9], s[8:9], 2
	s_delay_alu instid0(SALU_CYCLE_1) | instskip(SKIP_2) | instid1(SALU_CYCLE_1)
	s_add_u32 s8, s16, s8
	s_addc_u32 s9, s25, s9
	s_or_b32 s10, s12, 0x80
	s_ashr_i32 s11, s10, 4
	s_cmp_lt_i32 s10, s24
	;; [unrolled: 10-line block ×3, first 2 shown]
	s_cselect_b32 s20, s21, s13
	s_delay_alu instid0(SALU_CYCLE_1) | instskip(NEXT) | instid1(SALU_CYCLE_1)
	s_ashr_i32 s21, s20, 31
	s_lshl_b64 s[20:21], s[20:21], 2
	s_delay_alu instid0(SALU_CYCLE_1)
	s_add_u32 s20, s16, s20
	s_addc_u32 s21, s25, s21
	s_clause 0x5
	s_load_b32 s26, s[2:3], 0x0
	s_load_b32 s27, s[4:5], 0x0
	;; [unrolled: 1-line block ×6, first 2 shown]
	s_or_b32 s2, s12, 0xc0
	s_mov_b32 s4, 0
	s_ashr_i32 s3, s2, 4
	s_cmp_lt_i32 s2, s24
	s_mov_b32 s11, s4
	s_cselect_b32 s2, s3, s13
	s_mov_b32 s5, s4
	s_ashr_i32 s3, s2, 31
	s_mov_b32 s6, s4
	s_lshl_b64 s[2:3], s[2:3], 2
	s_mov_b32 s7, s4
	s_add_u32 s2, s16, s2
	s_addc_u32 s3, s25, s3
	s_or_b32 s20, s12, 0xe0
	s_mov_b32 s8, s4
	s_ashr_i32 s21, s20, 4
	s_cmp_lt_i32 s20, s24
	s_mov_b32 s9, s4
	s_cselect_b32 s20, s21, s13
	s_mov_b32 s10, s4
	s_ashr_i32 s21, s20, 31
	v_mov_b32_e32 v118, s11
	v_dual_mov_b32 v112, s5 :: v_dual_mov_b32 v117, s10
	v_dual_mov_b32 v116, s9 :: v_dual_mov_b32 v115, s8
	;; [unrolled: 1-line block ×3, first 2 shown]
	v_mov_b32_e32 v111, s4
	s_lshl_b64 s[4:5], s[20:21], 2
	s_delay_alu instid0(SALU_CYCLE_1)
	s_add_u32 s4, s16, s4
	s_addc_u32 s5, s25, s5
	s_add_u32 s6, s22, s15
	s_addc_u32 s7, s23, s18
	s_waitcnt vmcnt(1)
	v_mad_i64_i32 v[3:4], null, v5, s17, v[1:2]
	s_waitcnt vmcnt(0)
	v_mad_i64_i32 v[5:6], null, v7, s17, v[1:2]
	v_add_nc_u32_e32 v1, -13, v68
	v_lshlrev_b32_e32 v2, 4, v68
	s_clause 0xf
	global_load_b128 v[17:20], v[3:4], off
	global_load_b128 v[21:24], v[3:4], off offset:256
	global_load_b128 v[25:28], v[5:6], off
	global_load_b128 v[29:32], v[5:6], off offset:256
	global_load_b128 v[57:60], v[3:4], off offset:512
	;; [unrolled: 1-line block ×13, first 2 shown]
	v_cndmask_b32_e32 v1, v1, v68, vcc_lo
	s_delay_alu instid0(VALU_DEP_1)
	v_lshlrev_b32_e32 v149, 6, v1
	v_lshl_or_b32 v1, v69, 8, v2
	ds_load_b128 v[119:122], v149
	ds_load_b128 v[123:126], v149 offset:1024
	ds_load_b128 v[127:130], v149 offset:2048
	;; [unrolled: 1-line block ×3, first 2 shown]
	s_clause 0x1
	s_load_b32 s2, s[2:3], 0x0
	s_load_b32 s3, s[4:5], 0x0
	v_add_co_u32 v135, s6, s6, v1
	s_delay_alu instid0(VALU_DEP_1) | instskip(SKIP_1) | instid1(VALU_DEP_1)
	v_add_co_ci_u32_e64 v136, null, s7, 0, s6
	s_waitcnt lgkmcnt(0)
	v_mad_i64_i32 v[1:2], null, s26, s17, v[135:136]
	v_mad_i64_i32 v[3:4], null, s27, s17, v[135:136]
	;; [unrolled: 1-line block ×6, first 2 shown]
	s_clause 0x9
	global_load_b128 v[49:52], v[1:2], off
	global_load_b128 v[53:56], v[1:2], off offset:16
	global_load_b128 v[41:44], v[3:4], off
	global_load_b128 v[45:48], v[3:4], off offset:16
	;; [unrolled: 2-line block ×5, first 2 shown]
	v_mad_i64_i32 v[145:146], null, s2, s17, v[135:136]
	v_mad_i64_i32 v[147:148], null, s3, s17, v[135:136]
	s_waitcnt vmcnt(24)
	v_wmma_f32_16x16x16_f16 v[135:142], v[17:24], v[119:126], v[111:118]
	s_waitcnt vmcnt(22)
	v_wmma_f32_16x16x16_f16 v[111:118], v[25:32], v[119:126], v[111:118]
	s_clause 0x3
	global_load_b128 v[17:20], v[143:144], off
	global_load_b128 v[21:24], v[143:144], off offset:16
	global_load_b128 v[25:28], v[145:146], off
	global_load_b128 v[29:32], v[145:146], off offset:16
	v_and_b32_e32 v119, 0xe0, v0
	s_waitcnt vmcnt(24)
	v_wmma_f32_16x16x16_f16 v[135:142], v[57:64], v[127:134], v[135:142]
	s_clause 0x1
	global_load_b128 v[57:60], v[147:148], off
	global_load_b128 v[61:64], v[147:148], off offset:16
	s_waitcnt vmcnt(24)
	v_wmma_f32_16x16x16_f16 v[111:118], v[71:78], v[127:134], v[111:118]
	ds_load_b128 v[71:74], v149 offset:4096
	ds_load_b128 v[75:78], v149 offset:5120
	v_add_nc_u32_e32 v128, s12, v119
	ds_load_b128 v[119:122], v149 offset:6144
	ds_load_b128 v[123:126], v149 offset:7168
	v_mbcnt_lo_u32_b32 v127, -1, 0
	s_waitcnt vmcnt(0) lgkmcnt(0)
	s_barrier
	v_or_b32_e32 v128, v128, v66
	buffer_gl0_inv
	v_xor_b32_e32 v129, 16, v127
	v_or_b32_e32 v130, 4, v128
	v_or_b32_e32 v131, 6, v128
	s_delay_alu instid0(VALU_DEP_3) | instskip(SKIP_4) | instid1(VALU_DEP_4)
	v_cmp_gt_i32_e32 vcc_lo, 32, v129
	v_or_b32_e32 v132, 8, v128
	v_or_b32_e32 v133, 10, v128
	v_cmp_gt_i32_e64 s3, s24, v130
	v_cmp_gt_i32_e64 s4, s24, v131
	;; [unrolled: 1-line block ×3, first 2 shown]
	v_wmma_f32_16x16x16_f16 v[135:142], v[79:86], v[71:78], v[135:142]
	v_wmma_f32_16x16x16_f16 v[111:118], v[87:94], v[71:78], v[111:118]
	v_or_b32_e32 v79, 12, v128
	v_or_b32_e32 v80, 14, v128
	v_cmp_gt_i32_e64 s6, s24, v133
	v_wmma_f32_16x16x16_f16 v[135:142], v[95:102], v[119:126], v[135:142]
	v_wmma_f32_16x16x16_f16 v[111:118], v[103:110], v[119:126], v[111:118]
	v_cndmask_b32_e32 v127, v127, v129, vcc_lo
	v_or_b32_e32 v129, 2, v128
	v_cmp_gt_i32_e32 vcc_lo, s24, v128
	v_mul_f32_e32 v88, s19, v135
	v_dual_mul_f32 v92, s19, v115 :: v_dual_mul_f32 v87, s19, v136
	s_delay_alu instid0(VALU_DEP_4)
	v_cmp_gt_i32_e64 s2, s24, v129
	v_mul_f32_e32 v78, s19, v138
	v_mul_f32_e32 v86, s19, v137
	v_cndmask_b32_e32 v88, 0xff7fffff, v88, vcc_lo
	v_mul_f32_e32 v76, s19, v140
	v_cndmask_b32_e64 v87, 0xff7fffff, v87, s2
	v_dual_mul_f32 v77, s19, v139 :: v_dual_mul_f32 v94, s19, v113
	v_cndmask_b32_e64 v86, 0xff7fffff, v86, s3
	v_cndmask_b32_e64 v78, 0xff7fffff, v78, s4
	s_delay_alu instid0(VALU_DEP_4)
	v_max3_f32 v87, v88, 0xff7fffff, v87
	v_or_b32_e32 v81, 16, v128
	v_or_b32_e32 v82, 18, v128
	v_dual_mul_f32 v74, s19, v142 :: v_dual_mul_f32 v75, s19, v141
	v_mul_f32_e32 v96, s19, v111
	v_cndmask_b32_e64 v77, 0xff7fffff, v77, s5
	v_cndmask_b32_e64 v76, 0xff7fffff, v76, s6
	v_max3_f32 v78, v87, v86, v78
	v_cmp_gt_i32_e64 s7, s24, v79
	v_cmp_gt_i32_e64 s8, s24, v80
	v_or_b32_e32 v83, 20, v128
	v_or_b32_e32 v84, 22, v128
	v_mul_f32_e32 v95, s19, v112
	v_cndmask_b32_e64 v75, 0xff7fffff, v75, s7
	v_cndmask_b32_e64 v74, 0xff7fffff, v74, s8
	v_max3_f32 v76, v78, v77, v76
	v_cmp_gt_i32_e64 s9, s24, v81
	v_cmp_gt_i32_e64 s10, s24, v82
	v_or_b32_e32 v85, 24, v128
	v_or_b32_e32 v71, 26, v128
	;; [unrolled: 8-line block ×3, first 2 shown]
	v_mul_f32_e32 v91, s19, v116
	v_cndmask_b32_e64 v75, 0xff7fffff, v94, s11
	v_cndmask_b32_e64 v76, 0xff7fffff, v93, s12
	v_max3_f32 v74, v74, v77, v78
	v_cmp_gt_i32_e64 s13, s24, v85
	v_cmp_gt_i32_e64 s15, s24, v71
	v_dual_mul_f32 v89, s19, v118 :: v_dual_mul_f32 v90, s19, v117
	s_delay_alu instid0(VALU_DEP_4) | instskip(NEXT) | instid1(VALU_DEP_4)
	v_max3_f32 v74, v74, v75, v76
	v_cndmask_b32_e64 v77, 0xff7fffff, v92, s13
	s_delay_alu instid0(VALU_DEP_4) | instskip(SKIP_2) | instid1(VALU_DEP_3)
	v_cndmask_b32_e64 v71, 0xff7fffff, v91, s15
	v_cmp_gt_i32_e64 s16, s24, v72
	v_cmp_gt_i32_e64 s17, s24, v73
	v_max3_f32 v71, v74, v77, v71
	s_delay_alu instid0(VALU_DEP_3) | instskip(NEXT) | instid1(VALU_DEP_3)
	v_cndmask_b32_e64 v72, 0xff7fffff, v90, s16
	v_cndmask_b32_e64 v73, 0xff7fffff, v89, s17
	v_lshlrev_b32_e32 v74, 2, v127
	s_delay_alu instid0(VALU_DEP_2) | instskip(SKIP_3) | instid1(VALU_DEP_1)
	v_max3_f32 v71, v71, v72, v73
	ds_bpermute_b32 v72, v74, v71
	s_waitcnt lgkmcnt(0)
	v_max_f32_e32 v72, v72, v72
	v_max_f32_e32 v71, v71, v72
	s_delay_alu instid0(VALU_DEP_1) | instskip(SKIP_4) | instid1(VALU_DEP_4)
	v_fma_f32 v72, s19, v135, -v71
	v_fma_f32 v73, s19, v136, -v71
	v_fma_f32 v75, s19, v137, -v71
	v_fma_f32 v76, s19, v138, -v71
	v_fma_f32 v77, s19, v139, -v71
	v_dual_mul_f32 v72, 0x3fb8aa3b, v72 :: v_dual_mul_f32 v73, 0x3fb8aa3b, v73
	v_fma_f32 v80, s19, v141, -v71
	s_delay_alu instid0(VALU_DEP_3) | instskip(NEXT) | instid1(VALU_DEP_3)
	v_dual_mul_f32 v76, 0x3fb8aa3b, v76 :: v_dual_mul_f32 v77, 0x3fb8aa3b, v77
	v_exp_f32_e32 v72, v72
	s_delay_alu instid0(VALU_DEP_3) | instskip(NEXT) | instid1(VALU_DEP_2)
	v_exp_f32_e32 v73, v73
	v_mul_f32_e32 v82, 0x3fb8aa3b, v80
	s_delay_alu instid0(VALU_DEP_2) | instskip(SKIP_1) | instid1(VALU_DEP_1)
	v_exp_f32_e32 v76, v76
	v_exp_f32_e32 v77, v77
	;; [unrolled: 1-line block ×3, first 2 shown]
	v_cndmask_b32_e32 v79, 0, v72, vcc_lo
	v_fma_f32 v72, s19, v140, -v71
	v_mul_f32_e32 v75, 0x3fb8aa3b, v75
	v_cndmask_b32_e64 v78, 0, v73, s2
	s_delay_alu instid0(TRANS32_DEP_3) | instskip(NEXT) | instid1(VALU_DEP_4)
	v_cndmask_b32_e64 v80, 0, v76, s4
	v_dual_add_f32 v73, 0, v79 :: v_dual_mul_f32 v72, 0x3fb8aa3b, v72
	s_delay_alu instid0(VALU_DEP_4) | instskip(NEXT) | instid1(TRANS32_DEP_3)
	v_exp_f32_e32 v75, v75
	v_cndmask_b32_e64 v83, 0, v77, s5
	s_delay_alu instid0(TRANS32_DEP_2) | instskip(NEXT) | instid1(VALU_DEP_3)
	v_cndmask_b32_e64 v85, 0, v84, s7
	v_add_f32_e32 v73, v73, v78
	v_exp_f32_e32 v72, v72
	v_cmp_gt_u32_e64 s2, 16, v70
	s_waitcnt_depctr 0xfff
	v_cndmask_b32_e64 v81, 0, v75, s3
	v_cndmask_b32_e64 v82, 0, v72, s6
	s_delay_alu instid0(VALU_DEP_2) | instskip(NEXT) | instid1(VALU_DEP_1)
	v_add_f32_e32 v73, v73, v81
	v_add_f32_e32 v73, v73, v80
	s_delay_alu instid0(VALU_DEP_1) | instskip(NEXT) | instid1(VALU_DEP_1)
	v_add_f32_e32 v72, v73, v83
	v_add_f32_e32 v72, v72, v82
	s_delay_alu instid0(VALU_DEP_1)
	v_add_f32_e32 v72, v72, v85
	v_fma_f32 v76, s19, v111, -v71
	v_fma_f32 v75, s19, v142, -v71
	;; [unrolled: 1-line block ×5, first 2 shown]
	v_mul_f32_e32 v76, 0x3fb8aa3b, v76
	s_delay_alu instid0(VALU_DEP_4) | instskip(NEXT) | instid1(VALU_DEP_2)
	v_mul_f32_e32 v86, 0x3fb8aa3b, v86
	v_exp_f32_e32 v76, v76
	s_delay_alu instid0(VALU_DEP_1)
	v_exp_f32_e32 v88, v86
	s_waitcnt_depctr 0xfff
	v_cndmask_b32_e64 v87, 0, v76, s9
	v_fma_f32 v76, s19, v116, -v71
	v_mul_f32_e32 v75, 0x3fb8aa3b, v75
	v_cndmask_b32_e64 v88, 0, v88, s12
	s_delay_alu instid0(VALU_DEP_3) | instskip(NEXT) | instid1(VALU_DEP_3)
	v_dual_mul_f32 v73, 0x3fb8aa3b, v73 :: v_dual_mul_f32 v76, 0x3fb8aa3b, v76
	v_exp_f32_e32 v75, v75
	s_delay_alu instid0(VALU_DEP_1) | instskip(NEXT) | instid1(VALU_DEP_1)
	v_exp_f32_e32 v73, v73
	v_exp_f32_e32 v76, v76
	s_delay_alu instid0(TRANS32_DEP_3)
	v_cndmask_b32_e64 v84, 0, v75, s8
	v_fma_f32 v75, s19, v115, -v71
	s_waitcnt_depctr 0xfff
	v_cndmask_b32_e64 v89, 0, v73, s11
	v_cndmask_b32_e64 v90, 0, v76, s15
	v_add_f32_e32 v72, v72, v84
	s_delay_alu instid0(VALU_DEP_1) | instskip(NEXT) | instid1(VALU_DEP_1)
	v_dual_add_f32 v72, v72, v87 :: v_dual_mul_f32 v77, 0x3fb8aa3b, v77
	v_exp_f32_e32 v77, v77
	s_waitcnt_depctr 0xfff
	v_cndmask_b32_e64 v86, 0, v77, s10
	v_fma_f32 v77, s19, v117, -v71
	s_delay_alu instid0(VALU_DEP_2) | instskip(NEXT) | instid1(VALU_DEP_1)
	v_dual_add_f32 v72, v72, v86 :: v_dual_mul_f32 v75, 0x3fb8aa3b, v75
	v_add_f32_e32 v72, v72, v89
	s_delay_alu instid0(VALU_DEP_2) | instskip(NEXT) | instid1(VALU_DEP_1)
	v_exp_f32_e32 v75, v75
	v_add_f32_e32 v72, v72, v88
	s_waitcnt_depctr 0xfff
	v_cndmask_b32_e64 v91, 0, v75, s13
	v_mul_f32_e32 v73, 0x3fb8aa3b, v77
	v_fma_f32 v77, s19, v118, -v71
	s_delay_alu instid0(VALU_DEP_3) | instskip(NEXT) | instid1(VALU_DEP_3)
	v_add_f32_e32 v72, v72, v91
	v_exp_f32_e32 v73, v73
	s_delay_alu instid0(VALU_DEP_1) | instskip(NEXT) | instid1(VALU_DEP_1)
	v_dual_mul_f32 v75, 0x3fb8aa3b, v77 :: v_dual_add_f32 v72, v72, v90
	v_exp_f32_e32 v75, v75
	s_waitcnt_depctr 0xfff
	v_cndmask_b32_e64 v93, 0, v73, s16
	s_delay_alu instid0(VALU_DEP_1) | instskip(SKIP_1) | instid1(VALU_DEP_1)
	v_add_f32_e32 v72, v72, v93
	v_cndmask_b32_e64 v92, 0, v75, s17
	v_add_f32_e32 v72, v72, v92
	ds_bpermute_b32 v73, v74, v72
	s_and_saveexec_b32 s3, s2
	s_cbranch_execz .LBB942_12
; %bb.11:
	v_mul_u32_u24_e32 v70, 0x44, v69
	s_waitcnt lgkmcnt(0)
	v_add_f32_e32 v72, v72, v73
	s_delay_alu instid0(VALU_DEP_2) | instskip(NEXT) | instid1(VALU_DEP_1)
	v_lshl_add_u32 v70, v68, 2, v70
	v_add_nc_u32_e32 v70, 0x4000, v70
	ds_store_2addr_b32 v70, v71, v72 offset1:136
.LBB942_12:
	s_or_b32 exec_lo, exec_lo, s3
	v_lshlrev_b32_e32 v70, 2, v68
	s_load_b32 s35, s[0:1], 0x94
	s_waitcnt lgkmcnt(0)
	s_barrier
	buffer_gl0_inv
	v_add_nc_u32_e32 v98, 0x4000, v70
	v_cmp_eq_u32_e32 vcc_lo, 1, v69
	v_cmp_eq_u32_e64 s3, 2, v69
	v_cmp_eq_u32_e64 s4, 3, v69
	;; [unrolled: 1-line block ×3, first 2 shown]
	ds_load_2addr_b32 v[70:71], v98 offset1:17
	ds_load_2addr_b32 v[72:73], v98 offset0:34 offset1:51
	ds_load_2addr_b32 v[74:75], v98 offset0:68 offset1:85
	;; [unrolled: 1-line block ×3, first 2 shown]
	v_cmp_eq_u32_e64 s6, 5, v69
	v_cmp_eq_u32_e64 s7, 7, v69
	s_waitcnt lgkmcnt(3)
	v_max3_f32 v76, v70, 0xff7fffff, v71
	s_waitcnt lgkmcnt(2)
	s_delay_alu instid0(VALU_DEP_1) | instskip(SKIP_1) | instid1(VALU_DEP_1)
	v_max3_f32 v76, v76, v72, v73
	s_waitcnt lgkmcnt(1)
	v_max3_f32 v76, v76, v74, v75
	s_waitcnt lgkmcnt(0)
	s_delay_alu instid0(VALU_DEP_1) | instskip(NEXT) | instid1(VALU_DEP_1)
	v_max3_f32 v76, v76, v94, v95
	v_sub_f32_e32 v77, v71, v76
	ds_load_2addr_b32 v[96:97], v98 offset0:136 offset1:153
	v_sub_f32_e32 v74, v74, v76
	v_sub_f32_e32 v70, v70, v76
	;; [unrolled: 1-line block ×3, first 2 shown]
	v_dual_sub_f32 v72, v72, v76 :: v_dual_mul_f32 v77, 0x3fb8aa3b, v77
	s_delay_alu instid0(VALU_DEP_4) | instskip(NEXT) | instid1(VALU_DEP_4)
	v_mul_f32_e32 v103, 0x3fb8aa3b, v74
	v_mul_f32_e32 v99, 0x3fb8aa3b, v70
	ds_load_2addr_b32 v[70:71], v98 offset0:170 offset1:187
	v_dual_mul_f32 v101, 0x3fb8aa3b, v72 :: v_dual_mul_f32 v94, 0x3fb8aa3b, v94
	v_exp_f32_e32 v102, v77
	v_exp_f32_e32 v99, v99
	s_delay_alu instid0(VALU_DEP_1) | instskip(NEXT) | instid1(VALU_DEP_1)
	v_exp_f32_e32 v101, v101
	v_exp_f32_e32 v94, v94
	s_waitcnt lgkmcnt(1)
	s_delay_alu instid0(TRANS32_DEP_3)
	v_fma_f32 v77, v99, v96, 0
	v_sub_f32_e32 v100, v73, v76
	ds_load_2addr_b32 v[72:73], v98 offset0:204 offset1:221
	v_fmac_f32_e32 v77, v102, v97
	v_exp_f32_e32 v97, v103
	s_waitcnt lgkmcnt(1)
	s_delay_alu instid0(VALU_DEP_1)
	v_dual_fmac_f32 v77, v101, v70 :: v_dual_sub_f32 v96, v75, v76
	ds_load_2addr_b32 v[74:75], v98 offset0:238 offset1:255
	v_sub_f32_e32 v70, v95, v76
	s_waitcnt lgkmcnt(0)
	s_barrier
	v_mul_f32_e32 v96, 0x3fb8aa3b, v96
	buffer_gl0_inv
	v_exp_f32_e32 v95, v96
	v_mul_f32_e32 v100, 0x3fb8aa3b, v100
	s_delay_alu instid0(VALU_DEP_1) | instskip(SKIP_3) | instid1(VALU_DEP_2)
	v_exp_f32_e32 v100, v100
	s_waitcnt_depctr 0xfff
	v_dual_fmac_f32 v77, v100, v71 :: v_dual_mul_f32 v70, 0x3fb8aa3b, v70
	v_cndmask_b32_e32 v71, v99, v102, vcc_lo
	v_fmac_f32_e32 v77, v97, v72
	s_delay_alu instid0(VALU_DEP_3) | instskip(NEXT) | instid1(VALU_DEP_1)
	v_exp_f32_e32 v96, v70
	v_fmac_f32_e32 v77, v95, v73
	s_delay_alu instid0(VALU_DEP_1) | instskip(SKIP_2) | instid1(VALU_DEP_1)
	v_fmac_f32_e32 v77, v94, v74
	s_waitcnt_depctr 0xfff
	v_fmac_f32_e32 v77, v96, v75
	v_add_f32_e32 v74, 0x358637bd, v77
	s_delay_alu instid0(VALU_DEP_1) | instskip(SKIP_1) | instid1(VALU_DEP_2)
	v_div_scale_f32 v98, null, v74, v74, 1.0
	v_div_scale_f32 v99, vcc_lo, 1.0, v74, 1.0
	v_rcp_f32_e32 v103, v98
	s_waitcnt_depctr 0xfff
	v_fma_f32 v70, -v98, v103, 1.0
	s_delay_alu instid0(VALU_DEP_1) | instskip(SKIP_2) | instid1(VALU_DEP_2)
	v_fmac_f32_e32 v103, v70, v103
	v_cndmask_b32_e64 v70, v71, v101, s3
	v_cmp_eq_u32_e64 s3, 6, v69
	v_cndmask_b32_e64 v71, v70, v100, s4
	s_delay_alu instid0(VALU_DEP_4) | instskip(NEXT) | instid1(VALU_DEP_2)
	v_dual_mul_f32 v101, v99, v103 :: v_dual_lshlrev_b32 v70, 2, v66
	v_cndmask_b32_e64 v71, v71, v97, s5
	s_delay_alu instid0(VALU_DEP_2) | instskip(NEXT) | instid1(VALU_DEP_3)
	v_or_b32_e32 v72, 1, v70
	v_fma_f32 v100, -v98, v101, v99
	v_cmp_eq_u32_e64 s4, 1, v70
	v_cmp_eq_u32_e64 s5, 2, v70
	v_cndmask_b32_e64 v95, v71, v95, s6
	v_or_b32_e32 v71, 3, v70
	v_fmac_f32_e32 v101, v100, v103
	v_cmp_eq_u32_e64 s9, 1, v72
	v_cmp_eq_u32_e64 s12, 2, v72
	v_cndmask_b32_e64 v94, v95, v94, s3
	v_cmp_eq_u32_e64 s11, 1, v71
	v_fma_f32 v97, -v98, v101, v99
	v_cmp_eq_u32_e64 s16, 2, v71
	v_cmp_eq_u32_e64 s13, 3, v72
	v_cndmask_b32_e64 v94, v94, v96, s7
	v_cmp_eq_u32_e64 s18, 3, v71
	v_div_fmas_f32 v95, v97, v103, v101
	v_cmp_eq_u32_e32 vcc_lo, 3, v70
	v_cmp_eq_u32_e64 s3, 4, v70
	v_cmp_eq_u32_e64 s19, 4, v72
	v_cmp_eq_u32_e64 s22, 4, v71
	v_div_fixup_f32 v95, v95, v74, 1.0
	v_lshlrev_b32_e32 v73, 6, v68
	v_cmp_eq_u32_e64 s6, 5, v70
	v_cmp_eq_u32_e64 s20, 5, v72
	;; [unrolled: 1-line block ×3, first 2 shown]
	v_mul_f32_e32 v102, v94, v95
	v_lshl_or_b32 v75, v69, 11, v73
	v_or_b32_e32 v69, 2, v70
	v_cmp_eq_u32_e64 s25, 6, v72
	v_cmp_eq_u32_e64 s27, 6, v71
	v_fma_mixlo_f16 v94, v102, v79, 0
	v_fma_mixlo_f16 v95, v102, v81, 0
	;; [unrolled: 1-line block ×8, first 2 shown]
	v_lshl_or_b32 v74, v66, 4, v75
	v_fma_mixhi_f16 v94, v102, v78, 0
	v_fma_mixhi_f16 v95, v102, v80, 0
	;; [unrolled: 1-line block ×8, first 2 shown]
	ds_store_b128 v74, v[94:97]
	ds_store_b128 v74, v[98:101] offset:1024
	s_waitcnt lgkmcnt(0)
	s_barrier
	buffer_gl0_inv
	ds_load_b128 v[78:81], v75
	ds_load_b128 v[82:85], v75 offset:16
	ds_load_b128 v[86:89], v75 offset:1024
	;; [unrolled: 1-line block ×3, first 2 shown]
	v_cmp_eq_u32_e64 s10, 1, v69
	v_cmp_eq_u32_e64 s15, 2, v69
	;; [unrolled: 1-line block ×11, first 2 shown]
	s_waitcnt lgkmcnt(3)
	v_lshrrev_b32_e32 v94, 16, v78
	s_waitcnt lgkmcnt(2)
	v_lshrrev_b32_e32 v98, 16, v82
	;; [unrolled: 2-line block ×4, first 2 shown]
	v_lshrrev_b32_e32 v95, 16, v79
	v_cndmask_b32_e64 v110, v78, v94, s4
	v_cndmask_b32_e64 v111, v82, v98, s4
	;; [unrolled: 1-line block ×8, first 2 shown]
	v_lshrrev_b32_e32 v99, 16, v83
	v_cndmask_b32_e64 v94, v86, v102, s4
	v_cndmask_b32_e64 v98, v90, v106, s4
	;; [unrolled: 1-line block ×15, first 2 shown]
	v_lshrrev_b32_e32 v103, 16, v87
	v_lshrrev_b32_e32 v107, 16, v91
	v_cndmask_b32_e64 v113, v115, v83, s15
	v_cndmask_b32_e64 v82, v94, v87, s5
	;; [unrolled: 1-line block ×7, first 2 shown]
	v_cndmask_b32_e32 v90, v102, v95, vcc_lo
	v_cndmask_b32_e32 v102, v106, v99, vcc_lo
	v_cndmask_b32_e64 v106, v110, v95, s13
	v_cndmask_b32_e64 v110, v111, v99, s13
	v_cndmask_b32_e64 v78, v78, v95, s18
	v_cndmask_b32_e64 v79, v79, v99, s18
	v_lshrrev_b32_e32 v96, 16, v80
	v_lshrrev_b32_e32 v100, 16, v84
	v_cndmask_b32_e64 v111, v112, v95, s17
	v_cndmask_b32_e64 v112, v113, v99, s17
	v_cndmask_b32_e32 v82, v82, v103, vcc_lo
	v_cndmask_b32_e32 v83, v83, v107, vcc_lo
	v_cndmask_b32_e64 v94, v94, v103, s13
	v_cndmask_b32_e64 v90, v90, v80, s3
	;; [unrolled: 1-line block ×7, first 2 shown]
	v_lshrrev_b32_e32 v104, 16, v88
	v_cndmask_b32_e64 v106, v111, v80, s21
	v_cndmask_b32_e64 v110, v112, v84, s21
	;; [unrolled: 1-line block ×11, first 2 shown]
	v_lshrrev_b32_e32 v97, 16, v81
	v_lshrrev_b32_e32 v101, 16, v85
	v_cndmask_b32_e64 v99, v106, v96, s23
	v_cndmask_b32_e64 v102, v110, v100, s23
	;; [unrolled: 1-line block ×7, first 2 shown]
	v_lshrrev_b32_e32 v105, 16, v89
	v_cndmask_b32_e64 v80, v80, v104, s6
	v_cndmask_b32_e64 v84, v84, v81, s7
	;; [unrolled: 1-line block ×16, first 2 shown]
	v_perm_b32 v81, v79, v78, 0x5040100
	v_perm_b32 v79, v95, v85, 0x5040100
	v_cndmask_b32_e64 v78, v119, v91, s15
	v_cndmask_b32_e64 v85, v117, v91, s12
	;; [unrolled: 1-line block ×3, first 2 shown]
	v_perm_b32 v80, v94, v90, 0x5040100
	v_cndmask_b32_e64 v90, v98, v103, s17
	v_cndmask_b32_e64 v86, v86, v103, s18
	;; [unrolled: 1-line block ×5, first 2 shown]
	v_lshrrev_b32_e32 v108, 16, v92
	v_cndmask_b32_e64 v90, v90, v88, s21
	v_cndmask_b32_e64 v86, v86, v88, s22
	;; [unrolled: 1-line block ×11, first 2 shown]
	v_lshrrev_b32_e32 v109, 16, v93
	v_cndmask_b32_e64 v82, v82, v93, s7
	v_cndmask_b32_e64 v88, v88, v89, s26
	;; [unrolled: 1-line block ×12, first 2 shown]
	v_perm_b32 v78, v84, v83, 0x5040100
	v_perm_b32 v85, v87, v86, 0x5040100
	;; [unrolled: 1-line block ×5, first 2 shown]
	s_mul_i32 s8, s33, 13
	s_mov_b32 s3, exec_lo
	ds_store_b128 v74, v[78:81]
	ds_store_b128 v74, v[82:85] offset:1024
	v_cmpx_gt_u32_e32 13, v0
	s_cbranch_execz .LBB942_14
; %bb.13:
	s_mul_i32 s4, s8, s34
	s_delay_alu instid0(SALU_CYCLE_1) | instskip(SKIP_1) | instid1(VALU_DEP_1)
	v_add3_u32 v68, s4, s31, v68
	s_load_b128 s[4:7], s[0:1], 0x58
	v_mad_u64_u32 v[78:79], null, v68, s35, s[14:15]
	s_delay_alu instid0(VALU_DEP_1) | instskip(NEXT) | instid1(VALU_DEP_1)
	v_ashrrev_i32_e32 v79, 31, v78
	v_lshlrev_b64 v[78:79], 2, v[78:79]
	s_waitcnt lgkmcnt(0)
	s_delay_alu instid0(VALU_DEP_1) | instskip(NEXT) | instid1(VALU_DEP_2)
	v_add_co_u32 v80, vcc_lo, s6, v78
	v_add_co_ci_u32_e32 v81, vcc_lo, s7, v79, vcc_lo
	v_add_co_u32 v78, vcc_lo, s4, v78
	v_add_co_ci_u32_e32 v79, vcc_lo, s5, v79, vcc_lo
	global_store_b32 v[80:81], v76, off
	global_store_b32 v[78:79], v77, off
.LBB942_14:
	s_or_b32 exec_lo, exec_lo, s3
	s_waitcnt lgkmcnt(0)
	s_waitcnt_vscnt null, 0x0
	s_barrier
	buffer_gl0_inv
	ds_load_b128 v[84:87], v73
	ds_load_b128 v[88:91], v73 offset:16
	ds_load_b128 v[96:99], v73 offset:2064
	;; [unrolled: 1-line block ×5, first 2 shown]
	v_cmp_eq_u32_e32 vcc_lo, 1, v70
	v_mov_b32_e32 v76, 0
	ds_load_b128 v[112:115], v73 offset:6160
	ds_load_b128 v[108:111], v73 offset:6144
	;; [unrolled: 1-line block ×4, first 2 shown]
	v_cmp_eq_u32_e64 s4, 1, v69
	v_cmp_eq_u32_e64 s3, 1, v72
	;; [unrolled: 1-line block ×3, first 2 shown]
	v_mov_b32_e32 v77, v76
	v_mov_b32_e32 v78, v76
	;; [unrolled: 1-line block ×7, first 2 shown]
	v_cmp_eq_u32_e64 s6, 3, v72
	v_cmp_eq_u32_e64 s7, 7, v72
	s_waitcnt lgkmcnt(8)
	s_delay_alu instid0(VALU_DEP_3)
	v_wmma_f32_16x16x16_f16 v[76:83], v[49:56], v[84:91], v[76:83]
	ds_load_b128 v[53:56], v73 offset:10256
	ds_load_b128 v[49:52], v73 offset:10240
	s_waitcnt lgkmcnt(8)
	v_wmma_f32_16x16x16_f16 v[76:83], v[41:48], v[92:99], v[76:83]
	ds_load_b128 v[45:48], v73 offset:12304
	ds_load_b128 v[41:44], v73 offset:12288
	s_waitcnt lgkmcnt(8)
	;; [unrolled: 4-line block ×3, first 2 shown]
	s_barrier
	buffer_gl0_inv
	v_wmma_f32_16x16x16_f16 v[76:83], v[1:8], v[108:115], v[76:83]
	s_delay_alu instid0(VALU_DEP_1) | instskip(NEXT) | instid1(VALU_DEP_1)
	v_wmma_f32_16x16x16_f16 v[76:83], v[9:16], v[116:123], v[76:83]
	v_wmma_f32_16x16x16_f16 v[76:83], v[17:24], v[49:56], v[76:83]
	s_delay_alu instid0(VALU_DEP_1) | instskip(NEXT) | instid1(VALU_DEP_1)
	v_wmma_f32_16x16x16_f16 v[76:83], v[25:32], v[41:48], v[76:83]
	v_wmma_f32_16x16x16_f16 v[76:83], v[57:64], v[33:40], v[76:83]
	s_delay_alu instid0(VALU_DEP_1) | instskip(NEXT) | instid1(VALU_DEP_2)
	v_cvt_f16_f32_e32 v1, v76
	v_cvt_f16_f32_e32 v2, v77
	s_delay_alu instid0(VALU_DEP_3) | instskip(NEXT) | instid1(VALU_DEP_4)
	v_cvt_f16_f32_e32 v3, v78
	v_cvt_f16_f32_e32 v4, v79
	;; [unrolled: 1-line block ×6, first 2 shown]
	v_pack_b32_f16 v1, v1, v2
	v_pack_b32_f16 v2, v3, v4
	;; [unrolled: 1-line block ×3, first 2 shown]
	s_delay_alu instid0(VALU_DEP_4)
	v_pack_b32_f16 v4, v7, v8
	ds_store_b128 v74, v[1:4]
	s_waitcnt lgkmcnt(0)
	s_barrier
	buffer_gl0_inv
	ds_load_b128 v[1:4], v75
	ds_load_b128 v[5:8], v75 offset:16
	s_waitcnt lgkmcnt(1)
	v_lshrrev_b32_e32 v9, 16, v1
	s_waitcnt lgkmcnt(0)
	v_lshrrev_b32_e32 v13, 16, v5
	v_lshrrev_b32_e32 v10, 16, v2
	;; [unrolled: 1-line block ×4, first 2 shown]
	v_cndmask_b32_e32 v17, v1, v9, vcc_lo
	v_cndmask_b32_e32 v18, v5, v13, vcc_lo
	v_cndmask_b32_e64 v21, v1, v9, s4
	v_cmp_eq_u32_e32 vcc_lo, 1, v71
	v_cndmask_b32_e64 v22, v5, v13, s4
	v_cmp_eq_u32_e64 s4, 2, v70
	v_cndmask_b32_e64 v19, v1, v9, s3
	v_cndmask_b32_e64 v20, v5, v13, s3
	v_cndmask_b32_e32 v1, v1, v9, vcc_lo
	v_cmp_eq_u32_e64 s3, 2, v71
	v_cndmask_b32_e32 v5, v5, v13, vcc_lo
	v_cndmask_b32_e64 v9, v17, v2, s4
	v_cmp_eq_u32_e32 vcc_lo, 3, v70
	v_cndmask_b32_e64 v13, v18, v6, s4
	v_cmp_eq_u32_e64 s4, 2, v69
	v_cndmask_b32_e64 v17, v19, v2, s5
	v_cndmask_b32_e64 v18, v20, v6, s5
	v_cmp_eq_u32_e64 s5, 3, v69
	v_cndmask_b32_e64 v1, v1, v2, s3
	v_cndmask_b32_e64 v19, v21, v2, s4
	;; [unrolled: 1-line block ×4, first 2 shown]
	v_cndmask_b32_e32 v5, v9, v10, vcc_lo
	v_cndmask_b32_e32 v6, v13, v14, vcc_lo
	v_cmp_eq_u32_e32 vcc_lo, 3, v71
	v_cndmask_b32_e64 v9, v17, v10, s6
	v_cndmask_b32_e64 v13, v18, v14, s6
	;; [unrolled: 1-line block ×3, first 2 shown]
	v_cmp_eq_u32_e64 s4, 4, v70
	v_cndmask_b32_e32 v1, v1, v10, vcc_lo
	v_cndmask_b32_e32 v2, v2, v14, vcc_lo
	v_cmp_eq_u32_e32 vcc_lo, 4, v72
	v_lshrrev_b32_e32 v15, 16, v7
	v_lshrrev_b32_e32 v16, 16, v8
	v_cndmask_b32_e64 v17, v19, v10, s5
	v_cmp_eq_u32_e64 s3, 4, v71
	v_cndmask_b32_e64 v5, v5, v3, s4
	v_cndmask_b32_e64 v6, v6, v7, s4
	v_cndmask_b32_e32 v9, v9, v3, vcc_lo
	v_cmp_eq_u32_e64 s4, 5, v72
	v_cndmask_b32_e32 v10, v13, v7, vcc_lo
	v_cmp_eq_u32_e32 vcc_lo, 4, v69
	v_cmp_eq_u32_e64 s5, 5, v70
	v_cndmask_b32_e64 v2, v2, v7, s3
	v_cndmask_b32_e64 v9, v9, v11, s4
	;; [unrolled: 1-line block ×3, first 2 shown]
	v_cndmask_b32_e32 v13, v17, v3, vcc_lo
	v_cmp_eq_u32_e64 s4, 5, v69
	v_cndmask_b32_e32 v14, v18, v7, vcc_lo
	v_cndmask_b32_e64 v1, v1, v3, s3
	v_cmp_eq_u32_e32 vcc_lo, 5, v71
	v_lshrrev_b32_e32 v12, 16, v4
	v_cndmask_b32_e64 v13, v13, v11, s4
	v_cndmask_b32_e64 v3, v14, v15, s4
	v_cmp_eq_u32_e64 s4, 6, v71
	v_cndmask_b32_e32 v1, v1, v11, vcc_lo
	v_cndmask_b32_e64 v5, v5, v11, s5
	v_cmp_eq_u32_e64 s6, 6, v70
	v_cndmask_b32_e64 v6, v6, v15, s5
	v_cmp_eq_u32_e64 s5, 6, v72
	v_cmp_eq_u32_e64 s3, 6, v69
	v_cndmask_b32_e64 v1, v1, v4, s4
	v_cndmask_b32_e32 v2, v2, v15, vcc_lo
	v_cmp_eq_u32_e32 vcc_lo, 7, v71
	v_cndmask_b32_e64 v5, v5, v4, s6
	v_cndmask_b32_e64 v9, v9, v4, s5
	;; [unrolled: 1-line block ×3, first 2 shown]
	v_cmp_eq_u32_e64 s6, 7, v70
	v_cndmask_b32_e32 v1, v1, v12, vcc_lo
	v_cndmask_b32_e64 v7, v13, v4, s3
	v_cndmask_b32_e64 v3, v3, v8, s3
	;; [unrolled: 1-line block ×3, first 2 shown]
	v_cmp_eq_u32_e64 s3, 7, v69
	v_cndmask_b32_e64 v4, v10, v8, s5
	v_cndmask_b32_e64 v5, v5, v12, s6
	;; [unrolled: 1-line block ×3, first 2 shown]
	v_cndmask_b32_e32 v2, v2, v16, vcc_lo
	v_cndmask_b32_e64 v7, v7, v12, s3
	v_cndmask_b32_e64 v3, v3, v16, s3
	;; [unrolled: 1-line block ×4, first 2 shown]
	v_perm_b32 v4, v2, v1, 0x5040100
	s_mov_b32 s3, exec_lo
	v_perm_b32 v3, v3, v7, 0x5040100
	v_perm_b32 v2, v8, v9, 0x5040100
	v_perm_b32 v1, v6, v5, 0x5040100
	ds_store_b128 v74, v[1:4]
	s_waitcnt lgkmcnt(0)
	s_barrier
	buffer_gl0_inv
	v_cmpx_gt_u32_e32 32, v0
	s_cbranch_execz .LBB942_2
; %bb.15:
	s_load_b64 s[4:5], s[0:1], 0x68
	v_lshlrev_b32_e32 v0, 10, v0
	v_lshlrev_b32_e32 v1, 4, v67
	s_lshl_b32 s0, s35, 7
	v_add_nc_u32_e32 v18, s31, v66
	s_mul_i32 s1, s0, s34
	s_delay_alu instid0(VALU_DEP_2) | instskip(SKIP_1) | instid1(VALU_DEP_2)
	v_and_or_b32 v0, 0x3800, v0, v1
	s_mul_i32 s6, s1, s8
	v_mul_lo_u32 v1, v18, s0
	s_ashr_i32 s7, s6, 31
	v_add_nc_u32_e32 v2, 2, v18
	v_lshl_or_b32 v19, v66, 6, v0
	s_lshl_b64 s[6:7], s[6:7], 1
	v_add_nc_u32_e32 v8, 4, v18
	v_add_nc_u32_e32 v15, 6, v18
	v_mul_lo_u32 v7, v2, s0
	ds_load_b128 v[3:6], v19
	v_ashrrev_i32_e32 v2, 31, v1
	v_mul_lo_u32 v11, v8, s0
	s_waitcnt lgkmcnt(0)
	s_add_u32 s1, s4, s6
	s_addc_u32 s3, s5, s7
	s_lshl_b32 s4, s14, 7
	v_lshlrev_b64 v[9:10], 1, v[1:2]
	s_ashr_i32 s5, s4, 31
	v_ashrrev_i32_e32 v8, 31, v7
	s_lshl_b64 s[4:5], s[4:5], 1
	v_ashrrev_i32_e32 v12, 31, v11
	s_add_u32 s1, s1, s4
	s_addc_u32 s3, s3, s5
	v_add_co_u32 v1, s1, s1, v65
	s_delay_alu instid0(VALU_DEP_1) | instskip(SKIP_1) | instid1(VALU_DEP_3)
	v_add_co_ci_u32_e64 v2, null, s3, 0, s1
	v_mul_lo_u32 v15, v15, s0
	v_add_co_u32 v13, vcc_lo, v1, v9
	s_delay_alu instid0(VALU_DEP_3)
	v_add_co_ci_u32_e32 v14, vcc_lo, v2, v10, vcc_lo
	v_lshlrev_b64 v[16:17], 1, v[7:8]
	ds_load_b128 v[7:10], v19 offset:128
	global_store_b128 v[13:14], v[3:6], off
	v_add_nc_u32_e32 v5, 8, v18
	v_lshlrev_b64 v[3:4], 1, v[11:12]
	v_add_co_u32 v23, vcc_lo, v1, v16
	v_ashrrev_i32_e32 v16, 31, v15
	s_delay_alu instid0(VALU_DEP_4) | instskip(SKIP_3) | instid1(VALU_DEP_3)
	v_mul_lo_u32 v25, v5, s0
	v_add_nc_u32_e32 v5, 10, v18
	v_add_co_ci_u32_e32 v24, vcc_lo, v2, v17, vcc_lo
	v_add_co_u32 v27, vcc_lo, v1, v3
	v_mul_lo_u32 v29, v5, s0
	v_add_co_ci_u32_e32 v28, vcc_lo, v2, v4, vcc_lo
	v_lshlrev_b64 v[31:32], 1, v[15:16]
	ds_load_b128 v[3:6], v19 offset:256
	ds_load_b128 v[11:14], v19 offset:384
	;; [unrolled: 1-line block ×4, first 2 shown]
	v_ashrrev_i32_e32 v26, 31, v25
	v_ashrrev_i32_e32 v30, 31, v29
	v_add_co_u32 v31, vcc_lo, v1, v31
	s_delay_alu instid0(VALU_DEP_3) | instskip(SKIP_1) | instid1(VALU_DEP_4)
	v_lshlrev_b64 v[25:26], 1, v[25:26]
	v_add_co_ci_u32_e32 v32, vcc_lo, v2, v32, vcc_lo
	v_lshlrev_b64 v[29:30], 1, v[29:30]
	s_delay_alu instid0(VALU_DEP_3) | instskip(NEXT) | instid1(VALU_DEP_4)
	v_add_co_u32 v25, vcc_lo, v1, v25
	v_add_co_ci_u32_e32 v26, vcc_lo, v2, v26, vcc_lo
	s_delay_alu instid0(VALU_DEP_3) | instskip(NEXT) | instid1(VALU_DEP_4)
	v_add_co_u32 v29, vcc_lo, v1, v29
	v_add_co_ci_u32_e32 v30, vcc_lo, v2, v30, vcc_lo
	s_waitcnt lgkmcnt(4)
	global_store_b128 v[23:24], v[7:10], off
	s_waitcnt lgkmcnt(3)
	global_store_b128 v[27:28], v[3:6], off
	;; [unrolled: 2-line block ×5, first 2 shown]
	s_and_b32 exec_lo, exec_lo, s2
	s_cbranch_execz .LBB942_2
; %bb.16:
	ds_load_b128 v[3:6], v0 offset:768
	s_add_i32 s1, s31, 12
	s_delay_alu instid0(SALU_CYCLE_1) | instskip(NEXT) | instid1(SALU_CYCLE_1)
	s_mul_i32 s0, s1, s0
	s_ashr_i32 s1, s0, 31
	s_delay_alu instid0(SALU_CYCLE_1) | instskip(NEXT) | instid1(SALU_CYCLE_1)
	s_lshl_b64 s[0:1], s[0:1], 1
	v_add_co_u32 v0, vcc_lo, v1, s0
	v_add_co_ci_u32_e32 v1, vcc_lo, s1, v2, vcc_lo
	s_waitcnt lgkmcnt(0)
	global_store_b128 v[0:1], v[3:6], off
	s_nop 0
	s_sendmsg sendmsg(MSG_DEALLOC_VGPRS)
	s_endpgm
	.section	.rodata,"a",@progbits
	.p2align	6, 0x0
	.amdhsa_kernel _Z39paged_attention_ll4mi_QKV_mfma16_kernelIDF16_hLN4vllm18Fp8KVCacheDataTypeE1EhLi16ELi128ELi256ELb1ELi13EL8MFMAType1EEvPKT_PKT0_S8_ifPKiSA_SA_iPKfiiiPfSD_PS3_PT2_iSC_SC_
		.amdhsa_group_segment_fixed_size 17472
		.amdhsa_private_segment_fixed_size 0
		.amdhsa_kernarg_size 400
		.amdhsa_user_sgpr_count 13
		.amdhsa_user_sgpr_dispatch_ptr 0
		.amdhsa_user_sgpr_queue_ptr 0
		.amdhsa_user_sgpr_kernarg_segment_ptr 1
		.amdhsa_user_sgpr_dispatch_id 0
		.amdhsa_user_sgpr_private_segment_size 0
		.amdhsa_wavefront_size32 1
		.amdhsa_uses_dynamic_stack 0
		.amdhsa_enable_private_segment 0
		.amdhsa_system_sgpr_workgroup_id_x 1
		.amdhsa_system_sgpr_workgroup_id_y 1
		.amdhsa_system_sgpr_workgroup_id_z 1
		.amdhsa_system_sgpr_workgroup_info 0
		.amdhsa_system_vgpr_workitem_id 0
		.amdhsa_next_free_vgpr 150
		.amdhsa_next_free_sgpr 36
		.amdhsa_reserve_vcc 1
		.amdhsa_float_round_mode_32 0
		.amdhsa_float_round_mode_16_64 0
		.amdhsa_float_denorm_mode_32 3
		.amdhsa_float_denorm_mode_16_64 3
		.amdhsa_dx10_clamp 1
		.amdhsa_ieee_mode 1
		.amdhsa_fp16_overflow 0
		.amdhsa_workgroup_processor_mode 1
		.amdhsa_memory_ordered 1
		.amdhsa_forward_progress 0
		.amdhsa_shared_vgpr_count 0
		.amdhsa_exception_fp_ieee_invalid_op 0
		.amdhsa_exception_fp_denorm_src 0
		.amdhsa_exception_fp_ieee_div_zero 0
		.amdhsa_exception_fp_ieee_overflow 0
		.amdhsa_exception_fp_ieee_underflow 0
		.amdhsa_exception_fp_ieee_inexact 0
		.amdhsa_exception_int_div_zero 0
	.end_amdhsa_kernel
	.section	.text._Z39paged_attention_ll4mi_QKV_mfma16_kernelIDF16_hLN4vllm18Fp8KVCacheDataTypeE1EhLi16ELi128ELi256ELb1ELi13EL8MFMAType1EEvPKT_PKT0_S8_ifPKiSA_SA_iPKfiiiPfSD_PS3_PT2_iSC_SC_,"axG",@progbits,_Z39paged_attention_ll4mi_QKV_mfma16_kernelIDF16_hLN4vllm18Fp8KVCacheDataTypeE1EhLi16ELi128ELi256ELb1ELi13EL8MFMAType1EEvPKT_PKT0_S8_ifPKiSA_SA_iPKfiiiPfSD_PS3_PT2_iSC_SC_,comdat
.Lfunc_end942:
	.size	_Z39paged_attention_ll4mi_QKV_mfma16_kernelIDF16_hLN4vllm18Fp8KVCacheDataTypeE1EhLi16ELi128ELi256ELb1ELi13EL8MFMAType1EEvPKT_PKT0_S8_ifPKiSA_SA_iPKfiiiPfSD_PS3_PT2_iSC_SC_, .Lfunc_end942-_Z39paged_attention_ll4mi_QKV_mfma16_kernelIDF16_hLN4vllm18Fp8KVCacheDataTypeE1EhLi16ELi128ELi256ELb1ELi13EL8MFMAType1EEvPKT_PKT0_S8_ifPKiSA_SA_iPKfiiiPfSD_PS3_PT2_iSC_SC_
                                        ; -- End function
	.section	.AMDGPU.csdata,"",@progbits
; Kernel info:
; codeLenInByte = 6852
; NumSgprs: 38
; NumVgprs: 150
; ScratchSize: 0
; MemoryBound: 0
; FloatMode: 240
; IeeeMode: 1
; LDSByteSize: 17472 bytes/workgroup (compile time only)
; SGPRBlocks: 4
; VGPRBlocks: 18
; NumSGPRsForWavesPerEU: 38
; NumVGPRsForWavesPerEU: 150
; Occupancy: 9
; WaveLimiterHint : 1
; COMPUTE_PGM_RSRC2:SCRATCH_EN: 0
; COMPUTE_PGM_RSRC2:USER_SGPR: 13
; COMPUTE_PGM_RSRC2:TRAP_HANDLER: 0
; COMPUTE_PGM_RSRC2:TGID_X_EN: 1
; COMPUTE_PGM_RSRC2:TGID_Y_EN: 1
; COMPUTE_PGM_RSRC2:TGID_Z_EN: 1
; COMPUTE_PGM_RSRC2:TIDIG_COMP_CNT: 0
	.section	.text._Z39paged_attention_ll4mi_QKV_mfma16_kernelIDF16_hLN4vllm18Fp8KVCacheDataTypeE1EhLi16ELi128ELi256ELb1ELi14EL8MFMAType1EEvPKT_PKT0_S8_ifPKiSA_SA_iPKfiiiPfSD_PS3_PT2_iSC_SC_,"axG",@progbits,_Z39paged_attention_ll4mi_QKV_mfma16_kernelIDF16_hLN4vllm18Fp8KVCacheDataTypeE1EhLi16ELi128ELi256ELb1ELi14EL8MFMAType1EEvPKT_PKT0_S8_ifPKiSA_SA_iPKfiiiPfSD_PS3_PT2_iSC_SC_,comdat
	.protected	_Z39paged_attention_ll4mi_QKV_mfma16_kernelIDF16_hLN4vllm18Fp8KVCacheDataTypeE1EhLi16ELi128ELi256ELb1ELi14EL8MFMAType1EEvPKT_PKT0_S8_ifPKiSA_SA_iPKfiiiPfSD_PS3_PT2_iSC_SC_ ; -- Begin function _Z39paged_attention_ll4mi_QKV_mfma16_kernelIDF16_hLN4vllm18Fp8KVCacheDataTypeE1EhLi16ELi128ELi256ELb1ELi14EL8MFMAType1EEvPKT_PKT0_S8_ifPKiSA_SA_iPKfiiiPfSD_PS3_PT2_iSC_SC_
	.globl	_Z39paged_attention_ll4mi_QKV_mfma16_kernelIDF16_hLN4vllm18Fp8KVCacheDataTypeE1EhLi16ELi128ELi256ELb1ELi14EL8MFMAType1EEvPKT_PKT0_S8_ifPKiSA_SA_iPKfiiiPfSD_PS3_PT2_iSC_SC_
	.p2align	8
	.type	_Z39paged_attention_ll4mi_QKV_mfma16_kernelIDF16_hLN4vllm18Fp8KVCacheDataTypeE1EhLi16ELi128ELi256ELb1ELi14EL8MFMAType1EEvPKT_PKT0_S8_ifPKiSA_SA_iPKfiiiPfSD_PS3_PT2_iSC_SC_,@function
_Z39paged_attention_ll4mi_QKV_mfma16_kernelIDF16_hLN4vllm18Fp8KVCacheDataTypeE1EhLi16ELi128ELi256ELb1ELi14EL8MFMAType1EEvPKT_PKT0_S8_ifPKiSA_SA_iPKfiiiPfSD_PS3_PT2_iSC_SC_: ; @_Z39paged_attention_ll4mi_QKV_mfma16_kernelIDF16_hLN4vllm18Fp8KVCacheDataTypeE1EhLi16ELi128ELi256ELb1ELi14EL8MFMAType1EEvPKT_PKT0_S8_ifPKiSA_SA_iPKfiiiPfSD_PS3_PT2_iSC_SC_
; %bb.0:
	s_load_b64 s[4:5], s[0:1], 0x30
	s_mov_b32 s30, s13
	s_waitcnt lgkmcnt(0)
	s_cmp_lg_u64 s[4:5], 0
	s_cselect_b32 s8, -1, 0
	s_ashr_i32 s31, s13, 31
	s_cmp_eq_u64 s[4:5], 0
	s_cbranch_scc1 .LBB943_3
; %bb.1:
	s_lshl_b64 s[2:3], s[30:31], 2
	s_delay_alu instid0(SALU_CYCLE_1) | instskip(SKIP_4) | instid1(SALU_CYCLE_1)
	s_add_u32 s2, s4, s2
	s_addc_u32 s3, s5, s3
	s_load_b64 s[2:3], s[2:3], 0x0
	s_waitcnt lgkmcnt(0)
	s_sub_i32 s2, s3, s2
	s_cmp_eq_u32 s2, 1
	s_cselect_b32 s2, -1, 0
	s_delay_alu instid0(SALU_CYCLE_1)
	s_and_not1_b32 vcc_lo, exec_lo, s2
	s_cbranch_vccz .LBB943_4
.LBB943_2:
	s_endpgm
.LBB943_3:
.LBB943_4:
	s_load_b64 s[2:3], s[0:1], 0x28
	s_lshl_b64 s[6:7], s[30:31], 2
	s_waitcnt lgkmcnt(0)
	s_add_u32 s2, s2, s6
	s_addc_u32 s3, s3, s7
	s_lshl_b32 s12, s14, 8
	s_load_b32 s24, s[2:3], 0x0
	s_waitcnt lgkmcnt(0)
	s_cmp_ge_i32 s12, s24
	s_cbranch_scc1 .LBB943_2
; %bb.5:
	s_clause 0x1
	s_load_b128 s[20:23], s[0:1], 0x8
	s_load_b64 s[2:3], s[0:1], 0x20
	s_and_not1_b32 vcc_lo, exec_lo, s8
	s_cbranch_vccnz .LBB943_7
; %bb.6:
	s_add_u32 s4, s4, s6
	s_addc_u32 s5, s5, s7
	s_load_b32 s5, s[4:5], 0x0
	s_branch .LBB943_8
.LBB943_7:
	s_mov_b32 s5, s30
.LBB943_8:
	s_load_b128 s[16:19], s[0:1], 0x48
	v_and_b32_e32 v68, 15, v0
	v_lshrrev_b32_e32 v69, 5, v0
	v_and_b32_e32 v70, 31, v0
	v_and_b32_e32 v67, 1, v0
	v_bfe_u32 v66, v0, 4, 1
	v_lshlrev_b32_e32 v1, 3, v68
	s_mul_i32 s31, s15, 14
	s_mov_b32 s4, exec_lo
	s_delay_alu instid0(VALU_DEP_1)
	v_lshlrev_b32_e32 v65, 1, v1
	v_cmpx_gt_u32_e32 0xe0, v0
	s_cbranch_execz .LBB943_10
; %bb.9:
	s_load_b64 s[6:7], s[0:1], 0x0
	v_lshl_or_b32 v5, v69, 1, v66
	s_waitcnt lgkmcnt(0)
	s_mul_hi_i32 s9, s5, s16
	s_mul_i32 s8, s5, s16
	v_lshlrev_b32_e32 v6, 10, v68
	s_lshl_b64 s[8:9], s[8:9], 1
	v_add_lshl_u32 v1, v5, s31, 7
	v_lshlrev_b32_e32 v5, 6, v5
	v_lshlrev_b32_e32 v7, 10, v67
	v_and_b32_e32 v6, 0x3800, v6
	s_delay_alu instid0(VALU_DEP_4) | instskip(NEXT) | instid1(VALU_DEP_2)
	v_ashrrev_i32_e32 v2, 31, v1
	v_or3_b32 v5, v6, v7, v5
	s_delay_alu instid0(VALU_DEP_2) | instskip(SKIP_2) | instid1(VALU_DEP_1)
	v_lshlrev_b64 v[1:2], 1, v[1:2]
	s_add_u32 s5, s6, s8
	s_addc_u32 s6, s7, s9
	v_add_co_u32 v1, vcc_lo, s5, v1
	s_delay_alu instid0(VALU_DEP_2) | instskip(NEXT) | instid1(VALU_DEP_2)
	v_add_co_ci_u32_e32 v2, vcc_lo, s6, v2, vcc_lo
	v_add_co_u32 v1, vcc_lo, v1, v65
	s_delay_alu instid0(VALU_DEP_2)
	v_add_co_ci_u32_e32 v2, vcc_lo, 0, v2, vcc_lo
	global_load_b128 v[1:4], v[1:2], off
	s_waitcnt vmcnt(0)
	ds_store_b128 v5, v[1:4]
.LBB943_10:
	s_or_b32 exec_lo, exec_lo, s4
	v_and_b32_e32 v1, 0xef, v0
	s_waitcnt lgkmcnt(0)
	s_add_i32 s5, s24, 15
	s_clause 0x1
	s_load_b32 s4, s[0:1], 0x38
	s_load_b32 s33, s[0:1], 0x98
	s_ashr_i32 s6, s5, 31
	v_add_nc_u32_e32 v1, s12, v1
	s_lshr_b32 s6, s6, 28
	s_load_b32 s19, s[0:1], 0x1c
	s_add_i32 s5, s5, s6
	s_waitcnt lgkmcnt(0)
	v_ashrrev_i32_e32 v2, 31, v1
	v_or_b32_e32 v3, 16, v1
	s_ashr_i32 s13, s5, 4
	v_cmp_gt_i32_e32 vcc_lo, s24, v1
	s_add_i32 s13, s13, -1
	v_lshrrev_b32_e32 v2, 28, v2
	s_barrier
	buffer_gl0_inv
	s_mul_i32 s15, s15, s18
	v_add_nc_u32_e32 v4, v1, v2
	s_mul_i32 s4, s30, s4
	s_delay_alu instid0(SALU_CYCLE_1) | instskip(NEXT) | instid1(VALU_DEP_1)
	s_ashr_i32 s5, s4, 31
	v_ashrrev_i32_e32 v4, 4, v4
	v_add_nc_u32_e32 v2, v3, v2
	s_lshl_b64 s[4:5], s[4:5], 2
	s_delay_alu instid0(SALU_CYCLE_1) | instskip(NEXT) | instid1(VALU_DEP_2)
	s_add_u32 s16, s2, s4
	v_cndmask_b32_e32 v1, s13, v4, vcc_lo
	s_delay_alu instid0(VALU_DEP_2)
	v_ashrrev_i32_e32 v2, 4, v2
	v_cmp_gt_i32_e32 vcc_lo, s24, v3
	s_addc_u32 s25, s3, s5
	s_ashr_i32 s18, s15, 31
	s_add_u32 s26, s20, s15
	s_addc_u32 s27, s21, s18
	v_cndmask_b32_e32 v3, s13, v2, vcc_lo
	v_ashrrev_i32_e32 v2, 31, v1
	s_lshl_b32 s2, s14, 4
	s_delay_alu instid0(SALU_CYCLE_1) | instskip(NEXT) | instid1(VALU_DEP_2)
	s_ashr_i32 s3, s2, 31
	v_ashrrev_i32_e32 v4, 31, v3
	s_delay_alu instid0(VALU_DEP_2) | instskip(SKIP_1) | instid1(SALU_CYCLE_1)
	v_lshlrev_b64 v[1:2], 2, v[1:2]
	s_lshl_b64 s[2:3], s[2:3], 2
	s_add_u32 s2, s16, s2
	s_delay_alu instid0(VALU_DEP_2) | instskip(SKIP_1) | instid1(VALU_DEP_2)
	v_lshlrev_b64 v[3:4], 2, v[3:4]
	s_addc_u32 s3, s25, s3
	v_add_co_u32 v1, vcc_lo, s16, v1
	v_add_co_ci_u32_e32 v2, vcc_lo, s25, v2, vcc_lo
	s_delay_alu instid0(VALU_DEP_3) | instskip(NEXT) | instid1(VALU_DEP_4)
	v_add_co_u32 v3, vcc_lo, s16, v3
	v_add_co_ci_u32_e32 v4, vcc_lo, s25, v4, vcc_lo
	s_clause 0x1
	global_load_b32 v5, v[1:2], off
	global_load_b32 v7, v[3:4], off
	s_or_b32 s4, s12, 32
	v_lshlrev_b32_e32 v1, 4, v0
	s_ashr_i32 s5, s4, 4
	s_cmp_lt_i32 s4, s24
	v_cmp_gt_u32_e32 vcc_lo, 14, v68
	s_cselect_b32 s4, s5, s13
	v_and_b32_e32 v1, 0xf0, v1
	s_ashr_i32 s5, s4, 31
	s_delay_alu instid0(SALU_CYCLE_1) | instskip(NEXT) | instid1(SALU_CYCLE_1)
	s_lshl_b64 s[4:5], s[4:5], 2
	s_add_u32 s4, s16, s4
	s_addc_u32 s5, s25, s5
	s_or_b32 s6, s12, 64
	v_add_co_u32 v1, s26, s26, v1
	s_ashr_i32 s7, s6, 4
	s_cmp_lt_i32 s6, s24
	v_add_co_ci_u32_e64 v2, null, s27, 0, s26
	s_cselect_b32 s6, s7, s13
	s_delay_alu instid0(SALU_CYCLE_1) | instskip(NEXT) | instid1(SALU_CYCLE_1)
	s_ashr_i32 s7, s6, 31
	s_lshl_b64 s[6:7], s[6:7], 2
	s_delay_alu instid0(SALU_CYCLE_1) | instskip(SKIP_2) | instid1(SALU_CYCLE_1)
	s_add_u32 s6, s16, s6
	s_addc_u32 s7, s25, s7
	s_or_b32 s8, s12, 0x60
	s_ashr_i32 s9, s8, 4
	s_cmp_lt_i32 s8, s24
	s_cselect_b32 s8, s9, s13
	s_delay_alu instid0(SALU_CYCLE_1) | instskip(NEXT) | instid1(SALU_CYCLE_1)
	s_ashr_i32 s9, s8, 31
	s_lshl_b64 s[8:9], s[8:9], 2
	s_delay_alu instid0(SALU_CYCLE_1) | instskip(SKIP_2) | instid1(SALU_CYCLE_1)
	s_add_u32 s8, s16, s8
	s_addc_u32 s9, s25, s9
	s_or_b32 s10, s12, 0x80
	s_ashr_i32 s11, s10, 4
	s_cmp_lt_i32 s10, s24
	s_cselect_b32 s10, s11, s13
	s_delay_alu instid0(SALU_CYCLE_1) | instskip(NEXT) | instid1(SALU_CYCLE_1)
	s_ashr_i32 s11, s10, 31
	s_lshl_b64 s[10:11], s[10:11], 2
	s_delay_alu instid0(SALU_CYCLE_1) | instskip(SKIP_2) | instid1(SALU_CYCLE_1)
	s_add_u32 s10, s16, s10
	s_addc_u32 s11, s25, s11
	s_or_b32 s20, s12, 0xa0
	s_ashr_i32 s21, s20, 4
	s_cmp_lt_i32 s20, s24
	s_cselect_b32 s20, s21, s13
	s_delay_alu instid0(SALU_CYCLE_1) | instskip(NEXT) | instid1(SALU_CYCLE_1)
	s_ashr_i32 s21, s20, 31
	s_lshl_b64 s[20:21], s[20:21], 2
	s_delay_alu instid0(SALU_CYCLE_1)
	s_add_u32 s20, s16, s20
	s_addc_u32 s21, s25, s21
	s_clause 0x5
	s_load_b32 s26, s[2:3], 0x0
	s_load_b32 s27, s[4:5], 0x0
	;; [unrolled: 1-line block ×6, first 2 shown]
	s_or_b32 s2, s12, 0xc0
	s_mov_b32 s4, 0
	s_ashr_i32 s3, s2, 4
	s_cmp_lt_i32 s2, s24
	s_mov_b32 s11, s4
	s_cselect_b32 s2, s3, s13
	s_mov_b32 s5, s4
	s_ashr_i32 s3, s2, 31
	s_mov_b32 s6, s4
	s_lshl_b64 s[2:3], s[2:3], 2
	s_mov_b32 s7, s4
	s_add_u32 s2, s16, s2
	s_addc_u32 s3, s25, s3
	s_or_b32 s20, s12, 0xe0
	s_mov_b32 s8, s4
	s_ashr_i32 s21, s20, 4
	s_cmp_lt_i32 s20, s24
	s_mov_b32 s9, s4
	s_cselect_b32 s20, s21, s13
	s_mov_b32 s10, s4
	s_ashr_i32 s21, s20, 31
	v_mov_b32_e32 v118, s11
	v_dual_mov_b32 v112, s5 :: v_dual_mov_b32 v117, s10
	v_dual_mov_b32 v116, s9 :: v_dual_mov_b32 v115, s8
	v_dual_mov_b32 v114, s7 :: v_dual_mov_b32 v113, s6
	v_mov_b32_e32 v111, s4
	s_lshl_b64 s[4:5], s[20:21], 2
	s_delay_alu instid0(SALU_CYCLE_1)
	s_add_u32 s4, s16, s4
	s_addc_u32 s5, s25, s5
	s_add_u32 s6, s22, s15
	s_addc_u32 s7, s23, s18
	s_waitcnt vmcnt(1)
	v_mad_i64_i32 v[3:4], null, v5, s17, v[1:2]
	s_waitcnt vmcnt(0)
	v_mad_i64_i32 v[5:6], null, v7, s17, v[1:2]
	v_add_nc_u32_e32 v1, -14, v68
	v_lshlrev_b32_e32 v2, 4, v68
	s_clause 0xf
	global_load_b128 v[17:20], v[3:4], off
	global_load_b128 v[21:24], v[3:4], off offset:256
	global_load_b128 v[25:28], v[5:6], off
	global_load_b128 v[29:32], v[5:6], off offset:256
	global_load_b128 v[57:60], v[3:4], off offset:512
	;; [unrolled: 1-line block ×13, first 2 shown]
	v_cndmask_b32_e32 v1, v1, v68, vcc_lo
	s_delay_alu instid0(VALU_DEP_1)
	v_lshlrev_b32_e32 v149, 6, v1
	v_lshl_or_b32 v1, v69, 8, v2
	ds_load_b128 v[119:122], v149
	ds_load_b128 v[123:126], v149 offset:1024
	ds_load_b128 v[127:130], v149 offset:2048
	;; [unrolled: 1-line block ×3, first 2 shown]
	s_clause 0x1
	s_load_b32 s2, s[2:3], 0x0
	s_load_b32 s3, s[4:5], 0x0
	v_add_co_u32 v135, s6, s6, v1
	s_delay_alu instid0(VALU_DEP_1) | instskip(SKIP_1) | instid1(VALU_DEP_1)
	v_add_co_ci_u32_e64 v136, null, s7, 0, s6
	s_waitcnt lgkmcnt(0)
	v_mad_i64_i32 v[1:2], null, s26, s17, v[135:136]
	v_mad_i64_i32 v[3:4], null, s27, s17, v[135:136]
	;; [unrolled: 1-line block ×6, first 2 shown]
	s_clause 0x9
	global_load_b128 v[49:52], v[1:2], off
	global_load_b128 v[53:56], v[1:2], off offset:16
	global_load_b128 v[41:44], v[3:4], off
	global_load_b128 v[45:48], v[3:4], off offset:16
	;; [unrolled: 2-line block ×5, first 2 shown]
	v_mad_i64_i32 v[145:146], null, s2, s17, v[135:136]
	v_mad_i64_i32 v[147:148], null, s3, s17, v[135:136]
	s_waitcnt vmcnt(24)
	v_wmma_f32_16x16x16_f16 v[135:142], v[17:24], v[119:126], v[111:118]
	s_waitcnt vmcnt(22)
	v_wmma_f32_16x16x16_f16 v[111:118], v[25:32], v[119:126], v[111:118]
	s_clause 0x3
	global_load_b128 v[17:20], v[143:144], off
	global_load_b128 v[21:24], v[143:144], off offset:16
	global_load_b128 v[25:28], v[145:146], off
	global_load_b128 v[29:32], v[145:146], off offset:16
	v_and_b32_e32 v119, 0xe0, v0
	s_waitcnt vmcnt(24)
	v_wmma_f32_16x16x16_f16 v[135:142], v[57:64], v[127:134], v[135:142]
	s_clause 0x1
	global_load_b128 v[57:60], v[147:148], off
	global_load_b128 v[61:64], v[147:148], off offset:16
	s_waitcnt vmcnt(24)
	v_wmma_f32_16x16x16_f16 v[111:118], v[71:78], v[127:134], v[111:118]
	ds_load_b128 v[71:74], v149 offset:4096
	ds_load_b128 v[75:78], v149 offset:5120
	v_add_nc_u32_e32 v128, s12, v119
	ds_load_b128 v[119:122], v149 offset:6144
	ds_load_b128 v[123:126], v149 offset:7168
	v_mbcnt_lo_u32_b32 v127, -1, 0
	s_waitcnt vmcnt(0) lgkmcnt(0)
	s_barrier
	v_or_b32_e32 v128, v128, v66
	buffer_gl0_inv
	v_xor_b32_e32 v129, 16, v127
	v_or_b32_e32 v130, 4, v128
	v_or_b32_e32 v131, 6, v128
	s_delay_alu instid0(VALU_DEP_3) | instskip(SKIP_4) | instid1(VALU_DEP_4)
	v_cmp_gt_i32_e32 vcc_lo, 32, v129
	v_or_b32_e32 v132, 8, v128
	v_or_b32_e32 v133, 10, v128
	v_cmp_gt_i32_e64 s3, s24, v130
	v_cmp_gt_i32_e64 s4, s24, v131
	v_cmp_gt_i32_e64 s5, s24, v132
	v_wmma_f32_16x16x16_f16 v[135:142], v[79:86], v[71:78], v[135:142]
	v_wmma_f32_16x16x16_f16 v[111:118], v[87:94], v[71:78], v[111:118]
	v_or_b32_e32 v79, 12, v128
	v_or_b32_e32 v80, 14, v128
	v_cmp_gt_i32_e64 s6, s24, v133
	v_wmma_f32_16x16x16_f16 v[135:142], v[95:102], v[119:126], v[135:142]
	v_wmma_f32_16x16x16_f16 v[111:118], v[103:110], v[119:126], v[111:118]
	v_cndmask_b32_e32 v127, v127, v129, vcc_lo
	v_or_b32_e32 v129, 2, v128
	v_cmp_gt_i32_e32 vcc_lo, s24, v128
	v_mul_f32_e32 v88, s19, v135
	v_dual_mul_f32 v92, s19, v115 :: v_dual_mul_f32 v87, s19, v136
	s_delay_alu instid0(VALU_DEP_4)
	v_cmp_gt_i32_e64 s2, s24, v129
	v_mul_f32_e32 v78, s19, v138
	v_mul_f32_e32 v86, s19, v137
	v_cndmask_b32_e32 v88, 0xff7fffff, v88, vcc_lo
	v_mul_f32_e32 v76, s19, v140
	v_cndmask_b32_e64 v87, 0xff7fffff, v87, s2
	v_dual_mul_f32 v77, s19, v139 :: v_dual_mul_f32 v94, s19, v113
	v_cndmask_b32_e64 v86, 0xff7fffff, v86, s3
	v_cndmask_b32_e64 v78, 0xff7fffff, v78, s4
	s_delay_alu instid0(VALU_DEP_4)
	v_max3_f32 v87, v88, 0xff7fffff, v87
	v_or_b32_e32 v81, 16, v128
	v_or_b32_e32 v82, 18, v128
	v_dual_mul_f32 v74, s19, v142 :: v_dual_mul_f32 v75, s19, v141
	v_mul_f32_e32 v96, s19, v111
	v_cndmask_b32_e64 v77, 0xff7fffff, v77, s5
	v_cndmask_b32_e64 v76, 0xff7fffff, v76, s6
	v_max3_f32 v78, v87, v86, v78
	v_cmp_gt_i32_e64 s7, s24, v79
	v_cmp_gt_i32_e64 s8, s24, v80
	v_or_b32_e32 v83, 20, v128
	v_or_b32_e32 v84, 22, v128
	v_mul_f32_e32 v95, s19, v112
	v_cndmask_b32_e64 v75, 0xff7fffff, v75, s7
	v_cndmask_b32_e64 v74, 0xff7fffff, v74, s8
	v_max3_f32 v76, v78, v77, v76
	v_cmp_gt_i32_e64 s9, s24, v81
	v_cmp_gt_i32_e64 s10, s24, v82
	v_or_b32_e32 v85, 24, v128
	v_or_b32_e32 v71, 26, v128
	;; [unrolled: 8-line block ×3, first 2 shown]
	v_mul_f32_e32 v91, s19, v116
	v_cndmask_b32_e64 v75, 0xff7fffff, v94, s11
	v_cndmask_b32_e64 v76, 0xff7fffff, v93, s12
	v_max3_f32 v74, v74, v77, v78
	v_cmp_gt_i32_e64 s13, s24, v85
	v_cmp_gt_i32_e64 s15, s24, v71
	v_dual_mul_f32 v89, s19, v118 :: v_dual_mul_f32 v90, s19, v117
	s_delay_alu instid0(VALU_DEP_4) | instskip(NEXT) | instid1(VALU_DEP_4)
	v_max3_f32 v74, v74, v75, v76
	v_cndmask_b32_e64 v77, 0xff7fffff, v92, s13
	s_delay_alu instid0(VALU_DEP_4) | instskip(SKIP_2) | instid1(VALU_DEP_3)
	v_cndmask_b32_e64 v71, 0xff7fffff, v91, s15
	v_cmp_gt_i32_e64 s16, s24, v72
	v_cmp_gt_i32_e64 s17, s24, v73
	v_max3_f32 v71, v74, v77, v71
	s_delay_alu instid0(VALU_DEP_3) | instskip(NEXT) | instid1(VALU_DEP_3)
	v_cndmask_b32_e64 v72, 0xff7fffff, v90, s16
	v_cndmask_b32_e64 v73, 0xff7fffff, v89, s17
	v_lshlrev_b32_e32 v74, 2, v127
	s_delay_alu instid0(VALU_DEP_2) | instskip(SKIP_3) | instid1(VALU_DEP_1)
	v_max3_f32 v71, v71, v72, v73
	ds_bpermute_b32 v72, v74, v71
	s_waitcnt lgkmcnt(0)
	v_max_f32_e32 v72, v72, v72
	v_max_f32_e32 v71, v71, v72
	s_delay_alu instid0(VALU_DEP_1) | instskip(SKIP_4) | instid1(VALU_DEP_4)
	v_fma_f32 v72, s19, v135, -v71
	v_fma_f32 v73, s19, v136, -v71
	;; [unrolled: 1-line block ×5, first 2 shown]
	v_dual_mul_f32 v72, 0x3fb8aa3b, v72 :: v_dual_mul_f32 v73, 0x3fb8aa3b, v73
	v_fma_f32 v80, s19, v141, -v71
	s_delay_alu instid0(VALU_DEP_3) | instskip(NEXT) | instid1(VALU_DEP_3)
	v_dual_mul_f32 v76, 0x3fb8aa3b, v76 :: v_dual_mul_f32 v77, 0x3fb8aa3b, v77
	v_exp_f32_e32 v72, v72
	s_delay_alu instid0(VALU_DEP_3) | instskip(NEXT) | instid1(VALU_DEP_2)
	v_exp_f32_e32 v73, v73
	v_mul_f32_e32 v82, 0x3fb8aa3b, v80
	s_delay_alu instid0(VALU_DEP_2) | instskip(SKIP_1) | instid1(VALU_DEP_1)
	v_exp_f32_e32 v76, v76
	v_exp_f32_e32 v77, v77
	v_exp_f32_e32 v84, v82
	v_cndmask_b32_e32 v79, 0, v72, vcc_lo
	v_fma_f32 v72, s19, v140, -v71
	v_mul_f32_e32 v75, 0x3fb8aa3b, v75
	v_cndmask_b32_e64 v78, 0, v73, s2
	s_delay_alu instid0(TRANS32_DEP_3) | instskip(NEXT) | instid1(VALU_DEP_4)
	v_cndmask_b32_e64 v80, 0, v76, s4
	v_dual_add_f32 v73, 0, v79 :: v_dual_mul_f32 v72, 0x3fb8aa3b, v72
	s_delay_alu instid0(VALU_DEP_4) | instskip(NEXT) | instid1(TRANS32_DEP_3)
	v_exp_f32_e32 v75, v75
	v_cndmask_b32_e64 v83, 0, v77, s5
	s_delay_alu instid0(TRANS32_DEP_2) | instskip(NEXT) | instid1(VALU_DEP_3)
	v_cndmask_b32_e64 v85, 0, v84, s7
	v_add_f32_e32 v73, v73, v78
	v_exp_f32_e32 v72, v72
	s_mov_b32 s2, exec_lo
	s_waitcnt_depctr 0xfff
	v_cndmask_b32_e64 v81, 0, v75, s3
	v_cndmask_b32_e64 v82, 0, v72, s6
	s_delay_alu instid0(VALU_DEP_2) | instskip(NEXT) | instid1(VALU_DEP_1)
	v_add_f32_e32 v73, v73, v81
	v_add_f32_e32 v73, v73, v80
	s_delay_alu instid0(VALU_DEP_1) | instskip(NEXT) | instid1(VALU_DEP_1)
	v_add_f32_e32 v72, v73, v83
	v_add_f32_e32 v72, v72, v82
	s_delay_alu instid0(VALU_DEP_1)
	v_add_f32_e32 v72, v72, v85
	v_fma_f32 v76, s19, v111, -v71
	v_fma_f32 v75, s19, v142, -v71
	v_fma_f32 v86, s19, v114, -v71
	v_fma_f32 v77, s19, v112, -v71
	v_fma_f32 v73, s19, v113, -v71
	v_mul_f32_e32 v76, 0x3fb8aa3b, v76
	s_delay_alu instid0(VALU_DEP_4) | instskip(NEXT) | instid1(VALU_DEP_2)
	v_mul_f32_e32 v86, 0x3fb8aa3b, v86
	v_exp_f32_e32 v76, v76
	s_delay_alu instid0(VALU_DEP_1)
	v_exp_f32_e32 v88, v86
	s_waitcnt_depctr 0xfff
	v_cndmask_b32_e64 v87, 0, v76, s9
	v_fma_f32 v76, s19, v116, -v71
	v_mul_f32_e32 v75, 0x3fb8aa3b, v75
	v_cndmask_b32_e64 v88, 0, v88, s12
	s_delay_alu instid0(VALU_DEP_3) | instskip(NEXT) | instid1(VALU_DEP_3)
	v_dual_mul_f32 v73, 0x3fb8aa3b, v73 :: v_dual_mul_f32 v76, 0x3fb8aa3b, v76
	v_exp_f32_e32 v75, v75
	s_delay_alu instid0(VALU_DEP_1) | instskip(NEXT) | instid1(VALU_DEP_1)
	v_exp_f32_e32 v73, v73
	v_exp_f32_e32 v76, v76
	s_delay_alu instid0(TRANS32_DEP_3)
	v_cndmask_b32_e64 v84, 0, v75, s8
	v_fma_f32 v75, s19, v115, -v71
	s_waitcnt_depctr 0xfff
	v_cndmask_b32_e64 v89, 0, v73, s11
	v_cndmask_b32_e64 v90, 0, v76, s15
	v_add_f32_e32 v72, v72, v84
	s_delay_alu instid0(VALU_DEP_1) | instskip(NEXT) | instid1(VALU_DEP_1)
	v_dual_add_f32 v72, v72, v87 :: v_dual_mul_f32 v77, 0x3fb8aa3b, v77
	v_exp_f32_e32 v77, v77
	s_waitcnt_depctr 0xfff
	v_cndmask_b32_e64 v86, 0, v77, s10
	v_fma_f32 v77, s19, v117, -v71
	s_delay_alu instid0(VALU_DEP_2) | instskip(NEXT) | instid1(VALU_DEP_1)
	v_dual_add_f32 v72, v72, v86 :: v_dual_mul_f32 v75, 0x3fb8aa3b, v75
	v_add_f32_e32 v72, v72, v89
	s_delay_alu instid0(VALU_DEP_2) | instskip(NEXT) | instid1(VALU_DEP_1)
	v_exp_f32_e32 v75, v75
	v_add_f32_e32 v72, v72, v88
	s_waitcnt_depctr 0xfff
	v_cndmask_b32_e64 v91, 0, v75, s13
	v_mul_f32_e32 v73, 0x3fb8aa3b, v77
	v_fma_f32 v77, s19, v118, -v71
	s_delay_alu instid0(VALU_DEP_3) | instskip(NEXT) | instid1(VALU_DEP_3)
	v_add_f32_e32 v72, v72, v91
	v_exp_f32_e32 v73, v73
	s_delay_alu instid0(VALU_DEP_1) | instskip(NEXT) | instid1(VALU_DEP_1)
	v_dual_mul_f32 v75, 0x3fb8aa3b, v77 :: v_dual_add_f32 v72, v72, v90
	v_exp_f32_e32 v75, v75
	s_waitcnt_depctr 0xfff
	v_cndmask_b32_e64 v93, 0, v73, s16
	s_delay_alu instid0(VALU_DEP_1) | instskip(SKIP_1) | instid1(VALU_DEP_1)
	v_add_f32_e32 v72, v72, v93
	v_cndmask_b32_e64 v92, 0, v75, s17
	v_add_f32_e32 v72, v72, v92
	ds_bpermute_b32 v73, v74, v72
	v_cmpx_gt_u32_e32 16, v70
	s_cbranch_execz .LBB943_12
; %bb.11:
	v_mul_u32_u24_e32 v70, 0x44, v69
	s_waitcnt lgkmcnt(0)
	v_add_f32_e32 v72, v72, v73
	s_delay_alu instid0(VALU_DEP_2) | instskip(NEXT) | instid1(VALU_DEP_1)
	v_lshl_add_u32 v70, v68, 2, v70
	v_add_nc_u32_e32 v70, 0x4000, v70
	ds_store_2addr_b32 v70, v71, v72 offset1:136
.LBB943_12:
	s_or_b32 exec_lo, exec_lo, s2
	v_lshlrev_b32_e32 v70, 2, v68
	s_load_b32 s34, s[0:1], 0x94
	s_waitcnt lgkmcnt(0)
	s_barrier
	buffer_gl0_inv
	v_add_nc_u32_e32 v98, 0x4000, v70
	v_cmp_eq_u32_e32 vcc_lo, 1, v69
	v_cmp_eq_u32_e64 s2, 2, v69
	v_cmp_eq_u32_e64 s3, 3, v69
	;; [unrolled: 1-line block ×3, first 2 shown]
	ds_load_2addr_b32 v[70:71], v98 offset1:17
	ds_load_2addr_b32 v[72:73], v98 offset0:34 offset1:51
	ds_load_2addr_b32 v[74:75], v98 offset0:68 offset1:85
	;; [unrolled: 1-line block ×3, first 2 shown]
	v_cmp_eq_u32_e64 s5, 5, v69
	v_cmp_eq_u32_e64 s6, 7, v69
	s_waitcnt lgkmcnt(3)
	v_max3_f32 v76, v70, 0xff7fffff, v71
	s_waitcnt lgkmcnt(2)
	s_delay_alu instid0(VALU_DEP_1) | instskip(SKIP_1) | instid1(VALU_DEP_1)
	v_max3_f32 v76, v76, v72, v73
	s_waitcnt lgkmcnt(1)
	v_max3_f32 v76, v76, v74, v75
	s_waitcnt lgkmcnt(0)
	s_delay_alu instid0(VALU_DEP_1) | instskip(NEXT) | instid1(VALU_DEP_1)
	v_max3_f32 v76, v76, v94, v95
	v_sub_f32_e32 v77, v71, v76
	ds_load_2addr_b32 v[96:97], v98 offset0:136 offset1:153
	v_sub_f32_e32 v74, v74, v76
	v_sub_f32_e32 v70, v70, v76
	;; [unrolled: 1-line block ×3, first 2 shown]
	v_dual_sub_f32 v72, v72, v76 :: v_dual_mul_f32 v77, 0x3fb8aa3b, v77
	s_delay_alu instid0(VALU_DEP_4) | instskip(NEXT) | instid1(VALU_DEP_4)
	v_mul_f32_e32 v103, 0x3fb8aa3b, v74
	v_mul_f32_e32 v99, 0x3fb8aa3b, v70
	ds_load_2addr_b32 v[70:71], v98 offset0:170 offset1:187
	v_dual_mul_f32 v101, 0x3fb8aa3b, v72 :: v_dual_mul_f32 v94, 0x3fb8aa3b, v94
	v_exp_f32_e32 v102, v77
	v_exp_f32_e32 v99, v99
	s_delay_alu instid0(VALU_DEP_1) | instskip(NEXT) | instid1(VALU_DEP_1)
	v_exp_f32_e32 v101, v101
	v_exp_f32_e32 v94, v94
	s_waitcnt lgkmcnt(1)
	s_delay_alu instid0(TRANS32_DEP_3)
	v_fma_f32 v77, v99, v96, 0
	v_sub_f32_e32 v100, v73, v76
	ds_load_2addr_b32 v[72:73], v98 offset0:204 offset1:221
	v_fmac_f32_e32 v77, v102, v97
	v_exp_f32_e32 v97, v103
	s_waitcnt lgkmcnt(1)
	s_delay_alu instid0(VALU_DEP_1)
	v_dual_fmac_f32 v77, v101, v70 :: v_dual_sub_f32 v96, v75, v76
	ds_load_2addr_b32 v[74:75], v98 offset0:238 offset1:255
	v_sub_f32_e32 v70, v95, v76
	s_waitcnt lgkmcnt(0)
	s_barrier
	v_mul_f32_e32 v96, 0x3fb8aa3b, v96
	buffer_gl0_inv
	v_exp_f32_e32 v95, v96
	v_mul_f32_e32 v100, 0x3fb8aa3b, v100
	s_delay_alu instid0(VALU_DEP_1) | instskip(SKIP_3) | instid1(VALU_DEP_2)
	v_exp_f32_e32 v100, v100
	s_waitcnt_depctr 0xfff
	v_dual_fmac_f32 v77, v100, v71 :: v_dual_mul_f32 v70, 0x3fb8aa3b, v70
	v_cndmask_b32_e32 v71, v99, v102, vcc_lo
	v_fmac_f32_e32 v77, v97, v72
	s_delay_alu instid0(VALU_DEP_3) | instskip(NEXT) | instid1(VALU_DEP_1)
	v_exp_f32_e32 v96, v70
	v_fmac_f32_e32 v77, v95, v73
	s_delay_alu instid0(VALU_DEP_1) | instskip(SKIP_2) | instid1(VALU_DEP_1)
	v_fmac_f32_e32 v77, v94, v74
	s_waitcnt_depctr 0xfff
	v_fmac_f32_e32 v77, v96, v75
	v_add_f32_e32 v74, 0x358637bd, v77
	s_delay_alu instid0(VALU_DEP_1) | instskip(SKIP_1) | instid1(VALU_DEP_2)
	v_div_scale_f32 v98, null, v74, v74, 1.0
	v_div_scale_f32 v99, vcc_lo, 1.0, v74, 1.0
	v_rcp_f32_e32 v103, v98
	s_waitcnt_depctr 0xfff
	v_fma_f32 v70, -v98, v103, 1.0
	s_delay_alu instid0(VALU_DEP_1) | instskip(SKIP_2) | instid1(VALU_DEP_2)
	v_fmac_f32_e32 v103, v70, v103
	v_cndmask_b32_e64 v70, v71, v101, s2
	v_cmp_eq_u32_e64 s2, 6, v69
	v_cndmask_b32_e64 v71, v70, v100, s3
	s_delay_alu instid0(VALU_DEP_4) | instskip(NEXT) | instid1(VALU_DEP_2)
	v_dual_mul_f32 v101, v99, v103 :: v_dual_lshlrev_b32 v70, 2, v66
	v_cndmask_b32_e64 v71, v71, v97, s4
	s_delay_alu instid0(VALU_DEP_2) | instskip(NEXT) | instid1(VALU_DEP_3)
	v_or_b32_e32 v72, 1, v70
	v_fma_f32 v100, -v98, v101, v99
	v_cmp_eq_u32_e64 s3, 1, v70
	v_cmp_eq_u32_e64 s4, 2, v70
	v_cndmask_b32_e64 v95, v71, v95, s5
	v_or_b32_e32 v71, 3, v70
	v_fmac_f32_e32 v101, v100, v103
	v_cmp_eq_u32_e64 s8, 1, v72
	v_cmp_eq_u32_e64 s11, 2, v72
	v_cndmask_b32_e64 v94, v95, v94, s2
	v_cmp_eq_u32_e64 s10, 1, v71
	v_fma_f32 v97, -v98, v101, v99
	v_cmp_eq_u32_e64 s15, 2, v71
	v_cmp_eq_u32_e64 s12, 3, v72
	v_cndmask_b32_e64 v94, v94, v96, s6
	v_cmp_eq_u32_e64 s17, 3, v71
	v_div_fmas_f32 v95, v97, v103, v101
	v_cmp_eq_u32_e32 vcc_lo, 3, v70
	v_cmp_eq_u32_e64 s2, 4, v70
	v_cmp_eq_u32_e64 s18, 4, v72
	v_cmp_eq_u32_e64 s21, 4, v71
	v_div_fixup_f32 v95, v95, v74, 1.0
	v_lshlrev_b32_e32 v73, 6, v68
	v_cmp_eq_u32_e64 s5, 5, v70
	v_cmp_eq_u32_e64 s19, 5, v72
	;; [unrolled: 1-line block ×3, first 2 shown]
	v_mul_f32_e32 v102, v94, v95
	v_lshl_or_b32 v75, v69, 11, v73
	v_or_b32_e32 v69, 2, v70
	v_cmp_eq_u32_e64 s24, 6, v72
	v_cmp_eq_u32_e64 s26, 6, v71
	v_fma_mixlo_f16 v94, v102, v79, 0
	v_fma_mixlo_f16 v95, v102, v81, 0
	;; [unrolled: 1-line block ×8, first 2 shown]
	v_lshl_or_b32 v74, v66, 4, v75
	v_fma_mixhi_f16 v94, v102, v78, 0
	v_fma_mixhi_f16 v95, v102, v80, 0
	;; [unrolled: 1-line block ×8, first 2 shown]
	ds_store_b128 v74, v[94:97]
	ds_store_b128 v74, v[98:101] offset:1024
	s_waitcnt lgkmcnt(0)
	s_barrier
	buffer_gl0_inv
	ds_load_b128 v[78:81], v75
	ds_load_b128 v[82:85], v75 offset:16
	ds_load_b128 v[86:89], v75 offset:1024
	;; [unrolled: 1-line block ×3, first 2 shown]
	v_cmp_eq_u32_e64 s9, 1, v69
	v_cmp_eq_u32_e64 s13, 2, v69
	v_cmp_eq_u32_e64 s16, 3, v69
	v_cmp_eq_u32_e64 s20, 4, v69
	v_cmp_eq_u32_e64 s22, 5, v69
	v_cmp_eq_u32_e64 s6, 6, v70
	v_cmp_eq_u32_e64 s25, 6, v69
	v_cmp_eq_u32_e64 s28, 7, v71
	v_cmp_eq_u32_e64 s29, 7, v72
	v_cmp_eq_u32_e64 s7, 7, v70
	v_cmp_eq_u32_e64 s27, 7, v69
	s_waitcnt lgkmcnt(3)
	v_lshrrev_b32_e32 v94, 16, v78
	s_waitcnt lgkmcnt(2)
	v_lshrrev_b32_e32 v98, 16, v82
	;; [unrolled: 2-line block ×4, first 2 shown]
	v_lshrrev_b32_e32 v95, 16, v79
	v_cndmask_b32_e64 v110, v78, v94, s3
	v_cndmask_b32_e64 v111, v82, v98, s3
	;; [unrolled: 1-line block ×8, first 2 shown]
	v_lshrrev_b32_e32 v99, 16, v83
	v_cndmask_b32_e64 v94, v86, v102, s3
	v_cndmask_b32_e64 v98, v90, v106, s3
	;; [unrolled: 1-line block ×15, first 2 shown]
	v_lshrrev_b32_e32 v103, 16, v87
	v_lshrrev_b32_e32 v107, 16, v91
	v_cndmask_b32_e64 v113, v115, v83, s13
	v_cndmask_b32_e64 v82, v94, v87, s4
	;; [unrolled: 1-line block ×7, first 2 shown]
	v_cndmask_b32_e32 v90, v102, v95, vcc_lo
	v_cndmask_b32_e32 v102, v106, v99, vcc_lo
	v_cndmask_b32_e64 v106, v110, v95, s12
	v_cndmask_b32_e64 v110, v111, v99, s12
	;; [unrolled: 1-line block ×4, first 2 shown]
	v_lshrrev_b32_e32 v96, 16, v80
	v_lshrrev_b32_e32 v100, 16, v84
	v_cndmask_b32_e64 v111, v112, v95, s16
	v_cndmask_b32_e64 v112, v113, v99, s16
	v_cndmask_b32_e32 v82, v82, v103, vcc_lo
	v_cndmask_b32_e32 v83, v83, v107, vcc_lo
	v_cndmask_b32_e64 v94, v94, v103, s12
	v_cndmask_b32_e64 v90, v90, v80, s2
	;; [unrolled: 1-line block ×7, first 2 shown]
	v_lshrrev_b32_e32 v104, 16, v88
	v_cndmask_b32_e64 v106, v111, v80, s20
	v_cndmask_b32_e64 v110, v112, v84, s20
	;; [unrolled: 1-line block ×11, first 2 shown]
	v_lshrrev_b32_e32 v97, 16, v81
	v_lshrrev_b32_e32 v101, 16, v85
	v_cndmask_b32_e64 v99, v106, v96, s22
	v_cndmask_b32_e64 v102, v110, v100, s22
	;; [unrolled: 1-line block ×7, first 2 shown]
	v_lshrrev_b32_e32 v105, 16, v89
	v_cndmask_b32_e64 v80, v80, v104, s5
	v_cndmask_b32_e64 v84, v84, v81, s6
	;; [unrolled: 1-line block ×16, first 2 shown]
	v_perm_b32 v81, v79, v78, 0x5040100
	v_perm_b32 v79, v95, v85, 0x5040100
	v_cndmask_b32_e64 v78, v119, v91, s13
	v_cndmask_b32_e64 v85, v117, v91, s11
	;; [unrolled: 1-line block ×3, first 2 shown]
	v_perm_b32 v80, v94, v90, 0x5040100
	v_cndmask_b32_e64 v90, v98, v103, s16
	v_cndmask_b32_e64 v86, v86, v103, s17
	v_cndmask_b32_e64 v87, v87, v107, s17
	v_cndmask_b32_e64 v78, v78, v107, s16
	v_cndmask_b32_e64 v85, v85, v107, s12
	v_lshrrev_b32_e32 v108, 16, v92
	v_cndmask_b32_e64 v90, v90, v88, s20
	v_cndmask_b32_e64 v86, v86, v88, s21
	;; [unrolled: 1-line block ×11, first 2 shown]
	v_lshrrev_b32_e32 v109, 16, v93
	v_cndmask_b32_e64 v82, v82, v93, s6
	v_cndmask_b32_e64 v88, v88, v89, s25
	v_cndmask_b32_e64 v86, v86, v89, s26
	v_cndmask_b32_e64 v87, v87, v93, s26
	v_cndmask_b32_e64 v78, v78, v93, s25
	v_cndmask_b32_e64 v85, v85, v93, s24
	v_cndmask_b32_e64 v88, v88, v105, s27
	v_cndmask_b32_e64 v86, v86, v105, s28
	v_cndmask_b32_e64 v87, v87, v109, s28
	v_cndmask_b32_e64 v89, v78, v109, s27
	v_cndmask_b32_e64 v90, v85, v109, s29
	v_cndmask_b32_e64 v82, v82, v109, s7
	v_perm_b32 v78, v84, v83, 0x5040100
	v_perm_b32 v85, v87, v86, 0x5040100
	;; [unrolled: 1-line block ×5, first 2 shown]
	s_mul_i32 s7, s33, 14
	s_mov_b32 s2, exec_lo
	ds_store_b128 v74, v[78:81]
	ds_store_b128 v74, v[82:85] offset:1024
	v_cmpx_gt_u32_e32 14, v0
	s_cbranch_execz .LBB943_14
; %bb.13:
	s_mul_i32 s3, s7, s30
	s_load_b128 s[8:11], s[0:1], 0x58
	v_add3_u32 v68, s3, s31, v68
	s_delay_alu instid0(VALU_DEP_1) | instskip(NEXT) | instid1(VALU_DEP_1)
	v_mad_u64_u32 v[78:79], null, v68, s34, s[14:15]
	v_ashrrev_i32_e32 v79, 31, v78
	s_delay_alu instid0(VALU_DEP_1) | instskip(SKIP_1) | instid1(VALU_DEP_1)
	v_lshlrev_b64 v[78:79], 2, v[78:79]
	s_waitcnt lgkmcnt(0)
	v_add_co_u32 v80, vcc_lo, s10, v78
	s_delay_alu instid0(VALU_DEP_2)
	v_add_co_ci_u32_e32 v81, vcc_lo, s11, v79, vcc_lo
	v_add_co_u32 v78, vcc_lo, s8, v78
	v_add_co_ci_u32_e32 v79, vcc_lo, s9, v79, vcc_lo
	global_store_b32 v[80:81], v76, off
	global_store_b32 v[78:79], v77, off
.LBB943_14:
	s_or_b32 exec_lo, exec_lo, s2
	s_waitcnt lgkmcnt(0)
	s_waitcnt_vscnt null, 0x0
	s_barrier
	buffer_gl0_inv
	ds_load_b128 v[84:87], v73
	ds_load_b128 v[88:91], v73 offset:16
	ds_load_b128 v[96:99], v73 offset:2064
	ds_load_b128 v[92:95], v73 offset:2048
	ds_load_b128 v[104:107], v73 offset:4112
	ds_load_b128 v[100:103], v73 offset:4096
	v_cmp_eq_u32_e32 vcc_lo, 1, v70
	v_mov_b32_e32 v76, 0
	ds_load_b128 v[112:115], v73 offset:6160
	ds_load_b128 v[108:111], v73 offset:6144
	;; [unrolled: 1-line block ×4, first 2 shown]
	v_cmp_eq_u32_e64 s3, 1, v69
	v_cmp_eq_u32_e64 s2, 1, v72
	;; [unrolled: 1-line block ×3, first 2 shown]
	v_mov_b32_e32 v77, v76
	v_mov_b32_e32 v78, v76
	;; [unrolled: 1-line block ×7, first 2 shown]
	v_cmp_eq_u32_e64 s5, 3, v72
	v_cmp_eq_u32_e64 s6, 7, v72
	s_waitcnt lgkmcnt(8)
	s_delay_alu instid0(VALU_DEP_3)
	v_wmma_f32_16x16x16_f16 v[76:83], v[49:56], v[84:91], v[76:83]
	ds_load_b128 v[53:56], v73 offset:10256
	ds_load_b128 v[49:52], v73 offset:10240
	s_waitcnt lgkmcnt(8)
	v_wmma_f32_16x16x16_f16 v[76:83], v[41:48], v[92:99], v[76:83]
	ds_load_b128 v[45:48], v73 offset:12304
	ds_load_b128 v[41:44], v73 offset:12288
	s_waitcnt lgkmcnt(8)
	;; [unrolled: 4-line block ×3, first 2 shown]
	s_barrier
	buffer_gl0_inv
	v_wmma_f32_16x16x16_f16 v[76:83], v[1:8], v[108:115], v[76:83]
	s_delay_alu instid0(VALU_DEP_1) | instskip(NEXT) | instid1(VALU_DEP_1)
	v_wmma_f32_16x16x16_f16 v[76:83], v[9:16], v[116:123], v[76:83]
	v_wmma_f32_16x16x16_f16 v[76:83], v[17:24], v[49:56], v[76:83]
	s_delay_alu instid0(VALU_DEP_1) | instskip(NEXT) | instid1(VALU_DEP_1)
	v_wmma_f32_16x16x16_f16 v[76:83], v[25:32], v[41:48], v[76:83]
	v_wmma_f32_16x16x16_f16 v[76:83], v[57:64], v[33:40], v[76:83]
	s_delay_alu instid0(VALU_DEP_1) | instskip(NEXT) | instid1(VALU_DEP_2)
	v_cvt_f16_f32_e32 v1, v76
	v_cvt_f16_f32_e32 v2, v77
	s_delay_alu instid0(VALU_DEP_3) | instskip(NEXT) | instid1(VALU_DEP_4)
	v_cvt_f16_f32_e32 v3, v78
	v_cvt_f16_f32_e32 v4, v79
	;; [unrolled: 1-line block ×6, first 2 shown]
	v_pack_b32_f16 v1, v1, v2
	v_pack_b32_f16 v2, v3, v4
	;; [unrolled: 1-line block ×3, first 2 shown]
	s_delay_alu instid0(VALU_DEP_4)
	v_pack_b32_f16 v4, v7, v8
	ds_store_b128 v74, v[1:4]
	s_waitcnt lgkmcnt(0)
	s_barrier
	buffer_gl0_inv
	ds_load_b128 v[1:4], v75
	ds_load_b128 v[5:8], v75 offset:16
	s_waitcnt lgkmcnt(1)
	v_lshrrev_b32_e32 v9, 16, v1
	s_waitcnt lgkmcnt(0)
	v_lshrrev_b32_e32 v13, 16, v5
	v_lshrrev_b32_e32 v10, 16, v2
	;; [unrolled: 1-line block ×4, first 2 shown]
	v_cndmask_b32_e32 v17, v1, v9, vcc_lo
	v_cndmask_b32_e32 v18, v5, v13, vcc_lo
	v_cndmask_b32_e64 v21, v1, v9, s3
	v_cmp_eq_u32_e32 vcc_lo, 1, v71
	v_cndmask_b32_e64 v22, v5, v13, s3
	v_cmp_eq_u32_e64 s3, 2, v70
	v_cndmask_b32_e64 v19, v1, v9, s2
	v_cndmask_b32_e64 v20, v5, v13, s2
	v_cndmask_b32_e32 v1, v1, v9, vcc_lo
	v_cmp_eq_u32_e64 s2, 2, v71
	v_cndmask_b32_e32 v5, v5, v13, vcc_lo
	v_cndmask_b32_e64 v9, v17, v2, s3
	v_cmp_eq_u32_e32 vcc_lo, 3, v70
	v_cndmask_b32_e64 v13, v18, v6, s3
	v_cmp_eq_u32_e64 s3, 2, v69
	v_cndmask_b32_e64 v17, v19, v2, s4
	v_cndmask_b32_e64 v18, v20, v6, s4
	v_cmp_eq_u32_e64 s4, 3, v69
	v_cndmask_b32_e64 v1, v1, v2, s2
	v_cndmask_b32_e64 v19, v21, v2, s3
	;; [unrolled: 1-line block ×4, first 2 shown]
	v_cndmask_b32_e32 v5, v9, v10, vcc_lo
	v_cndmask_b32_e32 v6, v13, v14, vcc_lo
	v_cmp_eq_u32_e32 vcc_lo, 3, v71
	v_cndmask_b32_e64 v9, v17, v10, s5
	v_cndmask_b32_e64 v13, v18, v14, s5
	;; [unrolled: 1-line block ×3, first 2 shown]
	v_cmp_eq_u32_e64 s3, 4, v70
	v_cndmask_b32_e32 v1, v1, v10, vcc_lo
	v_cndmask_b32_e32 v2, v2, v14, vcc_lo
	v_cmp_eq_u32_e32 vcc_lo, 4, v72
	v_lshrrev_b32_e32 v15, 16, v7
	v_lshrrev_b32_e32 v16, 16, v8
	v_cndmask_b32_e64 v17, v19, v10, s4
	v_cmp_eq_u32_e64 s2, 4, v71
	v_cndmask_b32_e64 v5, v5, v3, s3
	v_cndmask_b32_e64 v6, v6, v7, s3
	v_cndmask_b32_e32 v9, v9, v3, vcc_lo
	v_cmp_eq_u32_e64 s3, 5, v72
	v_cndmask_b32_e32 v10, v13, v7, vcc_lo
	v_cmp_eq_u32_e32 vcc_lo, 4, v69
	v_cmp_eq_u32_e64 s4, 5, v70
	v_cndmask_b32_e64 v2, v2, v7, s2
	v_cndmask_b32_e64 v9, v9, v11, s3
	;; [unrolled: 1-line block ×3, first 2 shown]
	v_cndmask_b32_e32 v13, v17, v3, vcc_lo
	v_cmp_eq_u32_e64 s3, 5, v69
	v_cndmask_b32_e32 v14, v18, v7, vcc_lo
	v_cndmask_b32_e64 v1, v1, v3, s2
	v_cmp_eq_u32_e32 vcc_lo, 5, v71
	v_lshrrev_b32_e32 v12, 16, v4
	v_cndmask_b32_e64 v13, v13, v11, s3
	v_cndmask_b32_e64 v3, v14, v15, s3
	v_cmp_eq_u32_e64 s3, 6, v71
	v_cndmask_b32_e32 v1, v1, v11, vcc_lo
	v_cndmask_b32_e64 v5, v5, v11, s4
	v_cmp_eq_u32_e64 s5, 6, v70
	v_cndmask_b32_e64 v6, v6, v15, s4
	v_cmp_eq_u32_e64 s4, 6, v72
	v_cmp_eq_u32_e64 s2, 6, v69
	v_cndmask_b32_e64 v1, v1, v4, s3
	v_cndmask_b32_e32 v2, v2, v15, vcc_lo
	v_cmp_eq_u32_e32 vcc_lo, 7, v71
	v_cndmask_b32_e64 v5, v5, v4, s5
	v_cndmask_b32_e64 v9, v9, v4, s4
	v_cndmask_b32_e64 v6, v6, v8, s5
	v_cmp_eq_u32_e64 s5, 7, v70
	v_cndmask_b32_e32 v1, v1, v12, vcc_lo
	v_cndmask_b32_e64 v7, v13, v4, s2
	v_cndmask_b32_e64 v3, v3, v8, s2
	;; [unrolled: 1-line block ×3, first 2 shown]
	v_cmp_eq_u32_e64 s2, 7, v69
	v_cndmask_b32_e64 v4, v10, v8, s4
	v_cndmask_b32_e64 v5, v5, v12, s5
	;; [unrolled: 1-line block ×3, first 2 shown]
	v_cndmask_b32_e32 v2, v2, v16, vcc_lo
	v_cndmask_b32_e64 v7, v7, v12, s2
	v_cndmask_b32_e64 v3, v3, v16, s2
	;; [unrolled: 1-line block ×4, first 2 shown]
	v_perm_b32 v4, v2, v1, 0x5040100
	s_mov_b32 s2, exec_lo
	v_perm_b32 v3, v3, v7, 0x5040100
	v_perm_b32 v2, v8, v9, 0x5040100
	;; [unrolled: 1-line block ×3, first 2 shown]
	ds_store_b128 v74, v[1:4]
	s_waitcnt lgkmcnt(0)
	s_barrier
	buffer_gl0_inv
	v_cmpx_gt_u32_e32 32, v0
	s_cbranch_execz .LBB943_2
; %bb.15:
	s_load_b64 s[0:1], s[0:1], 0x68
	v_lshlrev_b32_e32 v0, 10, v0
	s_lshl_b32 s4, s34, 7
	v_or_b32_e32 v3, s31, v66
	s_mul_i32 s2, s4, s30
	v_lshlrev_b32_e32 v1, 4, v67
	v_lshlrev_b32_e32 v2, 6, v66
	v_and_b32_e32 v0, 0x3800, v0
	s_mul_i32 s2, s2, s7
	v_mul_lo_u32 v8, v3, s4
	s_ashr_i32 s3, s2, 31
	s_delay_alu instid0(SALU_CYCLE_1)
	s_lshl_b64 s[2:3], s[2:3], 1
	v_or3_b32 v16, v0, v1, v2
	ds_load_b128 v[0:3], v16
	ds_load_b128 v[4:7], v16 offset:128
	v_ashrrev_i32_e32 v9, 31, v8
	s_waitcnt lgkmcnt(0)
	s_add_u32 s2, s0, s2
	s_addc_u32 s3, s1, s3
	s_lshl_b32 s0, s14, 7
	s_delay_alu instid0(SALU_CYCLE_1) | instskip(SKIP_2) | instid1(SALU_CYCLE_1)
	s_ashr_i32 s1, s0, 31
	v_lshlrev_b64 v[9:10], 1, v[8:9]
	s_lshl_b64 s[0:1], s[0:1], 1
	s_add_u32 s0, s2, s0
	s_addc_u32 s1, s3, s1
	s_lshl_b32 s2, s34, 8
	v_add_co_u32 v30, s0, s0, v65
	v_add_nc_u32_e32 v11, s2, v8
	v_add_co_ci_u32_e64 v31, null, s1, 0, s0
	s_delay_alu instid0(VALU_DEP_3) | instskip(NEXT) | instid1(VALU_DEP_3)
	v_add_co_u32 v9, vcc_lo, v30, v9
	v_add_nc_u32_e32 v8, s2, v11
	s_delay_alu instid0(VALU_DEP_3) | instskip(SKIP_1) | instid1(VALU_DEP_3)
	v_add_co_ci_u32_e32 v10, vcc_lo, v31, v10, vcc_lo
	v_ashrrev_i32_e32 v12, 31, v11
	v_add_nc_u32_e32 v13, s2, v8
	global_store_b128 v[9:10], v[0:3], off
	v_ashrrev_i32_e32 v9, 31, v8
	v_lshlrev_b64 v[11:12], 1, v[11:12]
	v_ashrrev_i32_e32 v14, 31, v13
	v_add_nc_u32_e32 v10, s2, v13
	s_delay_alu instid0(VALU_DEP_4) | instskip(NEXT) | instid1(VALU_DEP_4)
	v_lshlrev_b64 v[2:3], 1, v[8:9]
	v_add_co_u32 v0, vcc_lo, v30, v11
	s_delay_alu instid0(VALU_DEP_4)
	v_lshlrev_b64 v[8:9], 1, v[13:14]
	v_add_co_ci_u32_e32 v1, vcc_lo, v31, v12, vcc_lo
	v_ashrrev_i32_e32 v11, 31, v10
	v_add_co_u32 v22, vcc_lo, v30, v2
	v_add_nc_u32_e32 v20, s2, v10
	v_add_co_ci_u32_e32 v23, vcc_lo, v31, v3, vcc_lo
	v_add_co_u32 v24, vcc_lo, v30, v8
	global_store_b128 v[0:1], v[4:7], off
	v_add_co_ci_u32_e32 v25, vcc_lo, v31, v9, vcc_lo
	ds_load_b128 v[0:3], v16 offset:256
	ds_load_b128 v[4:7], v16 offset:384
	v_lshlrev_b64 v[26:27], 1, v[10:11]
	ds_load_b128 v[8:11], v16 offset:512
	ds_load_b128 v[12:15], v16 offset:640
	;; [unrolled: 1-line block ×3, first 2 shown]
	v_add_nc_u32_e32 v28, s2, v20
	v_ashrrev_i32_e32 v21, 31, v20
	v_add_co_u32 v26, vcc_lo, v30, v26
	s_delay_alu instid0(VALU_DEP_3) | instskip(NEXT) | instid1(VALU_DEP_3)
	v_ashrrev_i32_e32 v29, 31, v28
	v_lshlrev_b64 v[20:21], 1, v[20:21]
	v_add_co_ci_u32_e32 v27, vcc_lo, v31, v27, vcc_lo
	s_delay_alu instid0(VALU_DEP_3) | instskip(NEXT) | instid1(VALU_DEP_3)
	v_lshlrev_b64 v[28:29], 1, v[28:29]
	v_add_co_u32 v20, vcc_lo, v30, v20
	s_delay_alu instid0(VALU_DEP_4) | instskip(NEXT) | instid1(VALU_DEP_3)
	v_add_co_ci_u32_e32 v21, vcc_lo, v31, v21, vcc_lo
	v_add_co_u32 v28, vcc_lo, v30, v28
	s_delay_alu instid0(VALU_DEP_4)
	v_add_co_ci_u32_e32 v29, vcc_lo, v31, v29, vcc_lo
	s_waitcnt lgkmcnt(4)
	global_store_b128 v[22:23], v[0:3], off
	s_waitcnt lgkmcnt(3)
	global_store_b128 v[24:25], v[4:7], off
	s_waitcnt lgkmcnt(2)
	global_store_b128 v[26:27], v[8:11], off
	s_waitcnt lgkmcnt(1)
	global_store_b128 v[20:21], v[12:15], off
	s_waitcnt lgkmcnt(0)
	global_store_b128 v[28:29], v[16:19], off
	s_nop 0
	s_sendmsg sendmsg(MSG_DEALLOC_VGPRS)
	s_endpgm
	.section	.rodata,"a",@progbits
	.p2align	6, 0x0
	.amdhsa_kernel _Z39paged_attention_ll4mi_QKV_mfma16_kernelIDF16_hLN4vllm18Fp8KVCacheDataTypeE1EhLi16ELi128ELi256ELb1ELi14EL8MFMAType1EEvPKT_PKT0_S8_ifPKiSA_SA_iPKfiiiPfSD_PS3_PT2_iSC_SC_
		.amdhsa_group_segment_fixed_size 17472
		.amdhsa_private_segment_fixed_size 0
		.amdhsa_kernarg_size 400
		.amdhsa_user_sgpr_count 13
		.amdhsa_user_sgpr_dispatch_ptr 0
		.amdhsa_user_sgpr_queue_ptr 0
		.amdhsa_user_sgpr_kernarg_segment_ptr 1
		.amdhsa_user_sgpr_dispatch_id 0
		.amdhsa_user_sgpr_private_segment_size 0
		.amdhsa_wavefront_size32 1
		.amdhsa_uses_dynamic_stack 0
		.amdhsa_enable_private_segment 0
		.amdhsa_system_sgpr_workgroup_id_x 1
		.amdhsa_system_sgpr_workgroup_id_y 1
		.amdhsa_system_sgpr_workgroup_id_z 1
		.amdhsa_system_sgpr_workgroup_info 0
		.amdhsa_system_vgpr_workitem_id 0
		.amdhsa_next_free_vgpr 150
		.amdhsa_next_free_sgpr 36
		.amdhsa_reserve_vcc 1
		.amdhsa_float_round_mode_32 0
		.amdhsa_float_round_mode_16_64 0
		.amdhsa_float_denorm_mode_32 3
		.amdhsa_float_denorm_mode_16_64 3
		.amdhsa_dx10_clamp 1
		.amdhsa_ieee_mode 1
		.amdhsa_fp16_overflow 0
		.amdhsa_workgroup_processor_mode 1
		.amdhsa_memory_ordered 1
		.amdhsa_forward_progress 0
		.amdhsa_shared_vgpr_count 0
		.amdhsa_exception_fp_ieee_invalid_op 0
		.amdhsa_exception_fp_denorm_src 0
		.amdhsa_exception_fp_ieee_div_zero 0
		.amdhsa_exception_fp_ieee_overflow 0
		.amdhsa_exception_fp_ieee_underflow 0
		.amdhsa_exception_fp_ieee_inexact 0
		.amdhsa_exception_int_div_zero 0
	.end_amdhsa_kernel
	.section	.text._Z39paged_attention_ll4mi_QKV_mfma16_kernelIDF16_hLN4vllm18Fp8KVCacheDataTypeE1EhLi16ELi128ELi256ELb1ELi14EL8MFMAType1EEvPKT_PKT0_S8_ifPKiSA_SA_iPKfiiiPfSD_PS3_PT2_iSC_SC_,"axG",@progbits,_Z39paged_attention_ll4mi_QKV_mfma16_kernelIDF16_hLN4vllm18Fp8KVCacheDataTypeE1EhLi16ELi128ELi256ELb1ELi14EL8MFMAType1EEvPKT_PKT0_S8_ifPKiSA_SA_iPKfiiiPfSD_PS3_PT2_iSC_SC_,comdat
.Lfunc_end943:
	.size	_Z39paged_attention_ll4mi_QKV_mfma16_kernelIDF16_hLN4vllm18Fp8KVCacheDataTypeE1EhLi16ELi128ELi256ELb1ELi14EL8MFMAType1EEvPKT_PKT0_S8_ifPKiSA_SA_iPKfiiiPfSD_PS3_PT2_iSC_SC_, .Lfunc_end943-_Z39paged_attention_ll4mi_QKV_mfma16_kernelIDF16_hLN4vllm18Fp8KVCacheDataTypeE1EhLi16ELi128ELi256ELb1ELi14EL8MFMAType1EEvPKT_PKT0_S8_ifPKiSA_SA_iPKfiiiPfSD_PS3_PT2_iSC_SC_
                                        ; -- End function
	.section	.AMDGPU.csdata,"",@progbits
; Kernel info:
; codeLenInByte = 6804
; NumSgprs: 38
; NumVgprs: 150
; ScratchSize: 0
; MemoryBound: 0
; FloatMode: 240
; IeeeMode: 1
; LDSByteSize: 17472 bytes/workgroup (compile time only)
; SGPRBlocks: 4
; VGPRBlocks: 18
; NumSGPRsForWavesPerEU: 38
; NumVGPRsForWavesPerEU: 150
; Occupancy: 9
; WaveLimiterHint : 1
; COMPUTE_PGM_RSRC2:SCRATCH_EN: 0
; COMPUTE_PGM_RSRC2:USER_SGPR: 13
; COMPUTE_PGM_RSRC2:TRAP_HANDLER: 0
; COMPUTE_PGM_RSRC2:TGID_X_EN: 1
; COMPUTE_PGM_RSRC2:TGID_Y_EN: 1
; COMPUTE_PGM_RSRC2:TGID_Z_EN: 1
; COMPUTE_PGM_RSRC2:TIDIG_COMP_CNT: 0
	.section	.text._Z39paged_attention_ll4mi_QKV_mfma16_kernelIDF16_hLN4vllm18Fp8KVCacheDataTypeE1EhLi16ELi128ELi256ELb1ELi15EL8MFMAType1EEvPKT_PKT0_S8_ifPKiSA_SA_iPKfiiiPfSD_PS3_PT2_iSC_SC_,"axG",@progbits,_Z39paged_attention_ll4mi_QKV_mfma16_kernelIDF16_hLN4vllm18Fp8KVCacheDataTypeE1EhLi16ELi128ELi256ELb1ELi15EL8MFMAType1EEvPKT_PKT0_S8_ifPKiSA_SA_iPKfiiiPfSD_PS3_PT2_iSC_SC_,comdat
	.protected	_Z39paged_attention_ll4mi_QKV_mfma16_kernelIDF16_hLN4vllm18Fp8KVCacheDataTypeE1EhLi16ELi128ELi256ELb1ELi15EL8MFMAType1EEvPKT_PKT0_S8_ifPKiSA_SA_iPKfiiiPfSD_PS3_PT2_iSC_SC_ ; -- Begin function _Z39paged_attention_ll4mi_QKV_mfma16_kernelIDF16_hLN4vllm18Fp8KVCacheDataTypeE1EhLi16ELi128ELi256ELb1ELi15EL8MFMAType1EEvPKT_PKT0_S8_ifPKiSA_SA_iPKfiiiPfSD_PS3_PT2_iSC_SC_
	.globl	_Z39paged_attention_ll4mi_QKV_mfma16_kernelIDF16_hLN4vllm18Fp8KVCacheDataTypeE1EhLi16ELi128ELi256ELb1ELi15EL8MFMAType1EEvPKT_PKT0_S8_ifPKiSA_SA_iPKfiiiPfSD_PS3_PT2_iSC_SC_
	.p2align	8
	.type	_Z39paged_attention_ll4mi_QKV_mfma16_kernelIDF16_hLN4vllm18Fp8KVCacheDataTypeE1EhLi16ELi128ELi256ELb1ELi15EL8MFMAType1EEvPKT_PKT0_S8_ifPKiSA_SA_iPKfiiiPfSD_PS3_PT2_iSC_SC_,@function
_Z39paged_attention_ll4mi_QKV_mfma16_kernelIDF16_hLN4vllm18Fp8KVCacheDataTypeE1EhLi16ELi128ELi256ELb1ELi15EL8MFMAType1EEvPKT_PKT0_S8_ifPKiSA_SA_iPKfiiiPfSD_PS3_PT2_iSC_SC_: ; @_Z39paged_attention_ll4mi_QKV_mfma16_kernelIDF16_hLN4vllm18Fp8KVCacheDataTypeE1EhLi16ELi128ELi256ELb1ELi15EL8MFMAType1EEvPKT_PKT0_S8_ifPKiSA_SA_iPKfiiiPfSD_PS3_PT2_iSC_SC_
; %bb.0:
	s_load_b64 s[4:5], s[0:1], 0x30
	s_mov_b32 s34, s13
	s_waitcnt lgkmcnt(0)
	s_cmp_lg_u64 s[4:5], 0
	s_cselect_b32 s8, -1, 0
	s_ashr_i32 s35, s13, 31
	s_cmp_eq_u64 s[4:5], 0
	s_cbranch_scc1 .LBB944_3
; %bb.1:
	s_lshl_b64 s[2:3], s[34:35], 2
	s_delay_alu instid0(SALU_CYCLE_1) | instskip(SKIP_4) | instid1(SALU_CYCLE_1)
	s_add_u32 s2, s4, s2
	s_addc_u32 s3, s5, s3
	s_load_b64 s[2:3], s[2:3], 0x0
	s_waitcnt lgkmcnt(0)
	s_sub_i32 s2, s3, s2
	s_cmp_eq_u32 s2, 1
	s_cselect_b32 s2, -1, 0
	s_delay_alu instid0(SALU_CYCLE_1)
	s_and_not1_b32 vcc_lo, exec_lo, s2
	s_cbranch_vccz .LBB944_4
.LBB944_2:
	s_nop 0
	s_sendmsg sendmsg(MSG_DEALLOC_VGPRS)
	s_endpgm
.LBB944_3:
.LBB944_4:
	s_load_b64 s[2:3], s[0:1], 0x28
	s_lshl_b64 s[6:7], s[34:35], 2
	s_waitcnt lgkmcnt(0)
	s_add_u32 s2, s2, s6
	s_addc_u32 s3, s3, s7
	s_lshl_b32 s12, s14, 8
	s_load_b32 s24, s[2:3], 0x0
	s_waitcnt lgkmcnt(0)
	s_cmp_ge_i32 s12, s24
	s_cbranch_scc1 .LBB944_2
; %bb.5:
	s_clause 0x1
	s_load_b128 s[20:23], s[0:1], 0x8
	s_load_b64 s[2:3], s[0:1], 0x20
	s_and_not1_b32 vcc_lo, exec_lo, s8
	s_cbranch_vccnz .LBB944_7
; %bb.6:
	s_add_u32 s4, s4, s6
	s_addc_u32 s5, s5, s7
	s_load_b32 s5, s[4:5], 0x0
	s_branch .LBB944_8
.LBB944_7:
	s_mov_b32 s5, s34
.LBB944_8:
	s_load_b128 s[16:19], s[0:1], 0x48
	v_and_b32_e32 v68, 15, v0
	v_lshrrev_b32_e32 v69, 5, v0
	v_bfe_u32 v66, v0, 4, 1
	v_and_b32_e32 v70, 31, v0
	v_and_b32_e32 v67, 1, v0
	v_lshlrev_b32_e32 v2, 3, v68
	s_mul_i32 s31, s15, 15
	v_lshl_or_b32 v1, v69, 1, v66
	s_mov_b32 s4, exec_lo
	s_delay_alu instid0(VALU_DEP_2) | instskip(NEXT) | instid1(VALU_DEP_2)
	v_lshlrev_b32_e32 v65, 1, v2
	v_cmpx_gt_u32_e32 15, v1
	s_cbranch_execz .LBB944_10
; %bb.9:
	s_load_b64 s[6:7], s[0:1], 0x0
	v_add_lshl_u32 v2, v1, s31, 7
	s_waitcnt lgkmcnt(0)
	s_mul_hi_i32 s9, s5, s16
	s_mul_i32 s8, s5, s16
	v_lshlrev_b32_e32 v6, 10, v68
	s_lshl_b64 s[8:9], s[8:9], 1
	v_ashrrev_i32_e32 v3, 31, v2
	v_lshlrev_b32_e32 v1, 6, v1
	v_lshlrev_b32_e32 v7, 10, v67
	v_and_b32_e32 v6, 0x3800, v6
	s_delay_alu instid0(VALU_DEP_4) | instskip(NEXT) | instid1(VALU_DEP_2)
	v_lshlrev_b64 v[2:3], 1, v[2:3]
	v_or3_b32 v1, v6, v7, v1
	s_add_u32 s5, s6, s8
	s_addc_u32 s6, s7, s9
	s_delay_alu instid0(VALU_DEP_2) | instskip(NEXT) | instid1(VALU_DEP_3)
	v_add_co_u32 v2, vcc_lo, s5, v2
	v_add_co_ci_u32_e32 v3, vcc_lo, s6, v3, vcc_lo
	s_delay_alu instid0(VALU_DEP_2) | instskip(NEXT) | instid1(VALU_DEP_2)
	v_add_co_u32 v2, vcc_lo, v2, v65
	v_add_co_ci_u32_e32 v3, vcc_lo, 0, v3, vcc_lo
	global_load_b128 v[2:5], v[2:3], off
	s_waitcnt vmcnt(0)
	ds_store_b128 v1, v[2:5]
.LBB944_10:
	s_or_b32 exec_lo, exec_lo, s4
	v_and_b32_e32 v1, 0xef, v0
	s_waitcnt lgkmcnt(0)
	s_add_i32 s5, s24, 15
	s_clause 0x1
	s_load_b32 s4, s[0:1], 0x38
	s_load_b32 s33, s[0:1], 0x98
	s_ashr_i32 s6, s5, 31
	v_add_nc_u32_e32 v1, s12, v1
	s_lshr_b32 s6, s6, 28
	s_load_b32 s19, s[0:1], 0x1c
	s_add_i32 s5, s5, s6
	s_waitcnt lgkmcnt(0)
	v_ashrrev_i32_e32 v2, 31, v1
	v_or_b32_e32 v3, 16, v1
	s_ashr_i32 s13, s5, 4
	v_cmp_gt_i32_e32 vcc_lo, s24, v1
	s_add_i32 s13, s13, -1
	v_lshrrev_b32_e32 v2, 28, v2
	s_barrier
	buffer_gl0_inv
	s_mul_i32 s15, s15, s18
	v_add_nc_u32_e32 v4, v1, v2
	s_mul_i32 s4, s34, s4
	s_delay_alu instid0(SALU_CYCLE_1) | instskip(NEXT) | instid1(VALU_DEP_1)
	s_ashr_i32 s5, s4, 31
	v_ashrrev_i32_e32 v4, 4, v4
	v_add_nc_u32_e32 v2, v3, v2
	s_lshl_b64 s[4:5], s[4:5], 2
	s_delay_alu instid0(SALU_CYCLE_1) | instskip(NEXT) | instid1(VALU_DEP_2)
	s_add_u32 s16, s2, s4
	v_cndmask_b32_e32 v1, s13, v4, vcc_lo
	s_delay_alu instid0(VALU_DEP_2)
	v_ashrrev_i32_e32 v2, 4, v2
	v_cmp_gt_i32_e32 vcc_lo, s24, v3
	s_addc_u32 s25, s3, s5
	s_ashr_i32 s18, s15, 31
	s_add_u32 s26, s20, s15
	s_addc_u32 s27, s21, s18
	v_cndmask_b32_e32 v3, s13, v2, vcc_lo
	v_ashrrev_i32_e32 v2, 31, v1
	s_lshl_b32 s2, s14, 4
	s_delay_alu instid0(SALU_CYCLE_1) | instskip(NEXT) | instid1(VALU_DEP_2)
	s_ashr_i32 s3, s2, 31
	v_ashrrev_i32_e32 v4, 31, v3
	s_delay_alu instid0(VALU_DEP_2) | instskip(SKIP_1) | instid1(SALU_CYCLE_1)
	v_lshlrev_b64 v[1:2], 2, v[1:2]
	s_lshl_b64 s[2:3], s[2:3], 2
	s_add_u32 s2, s16, s2
	s_delay_alu instid0(VALU_DEP_2) | instskip(SKIP_1) | instid1(VALU_DEP_2)
	v_lshlrev_b64 v[3:4], 2, v[3:4]
	s_addc_u32 s3, s25, s3
	v_add_co_u32 v1, vcc_lo, s16, v1
	v_add_co_ci_u32_e32 v2, vcc_lo, s25, v2, vcc_lo
	s_delay_alu instid0(VALU_DEP_3) | instskip(NEXT) | instid1(VALU_DEP_4)
	v_add_co_u32 v3, vcc_lo, s16, v3
	v_add_co_ci_u32_e32 v4, vcc_lo, s25, v4, vcc_lo
	s_clause 0x1
	global_load_b32 v5, v[1:2], off
	global_load_b32 v7, v[3:4], off
	s_or_b32 s4, s12, 32
	v_lshlrev_b32_e32 v1, 4, v0
	s_ashr_i32 s5, s4, 4
	s_cmp_lt_i32 s4, s24
	v_cmp_ne_u32_e32 vcc_lo, 15, v68
	s_cselect_b32 s4, s5, s13
	v_and_b32_e32 v1, 0xf0, v1
	s_ashr_i32 s5, s4, 31
	s_delay_alu instid0(SALU_CYCLE_1) | instskip(NEXT) | instid1(SALU_CYCLE_1)
	s_lshl_b64 s[4:5], s[4:5], 2
	s_add_u32 s4, s16, s4
	s_addc_u32 s5, s25, s5
	s_or_b32 s6, s12, 64
	v_add_co_u32 v1, s26, s26, v1
	s_ashr_i32 s7, s6, 4
	s_cmp_lt_i32 s6, s24
	v_add_co_ci_u32_e64 v2, null, s27, 0, s26
	s_cselect_b32 s6, s7, s13
	s_delay_alu instid0(SALU_CYCLE_1) | instskip(NEXT) | instid1(SALU_CYCLE_1)
	s_ashr_i32 s7, s6, 31
	s_lshl_b64 s[6:7], s[6:7], 2
	s_delay_alu instid0(SALU_CYCLE_1) | instskip(SKIP_2) | instid1(SALU_CYCLE_1)
	s_add_u32 s6, s16, s6
	s_addc_u32 s7, s25, s7
	s_or_b32 s8, s12, 0x60
	s_ashr_i32 s9, s8, 4
	s_cmp_lt_i32 s8, s24
	s_cselect_b32 s8, s9, s13
	s_delay_alu instid0(SALU_CYCLE_1) | instskip(NEXT) | instid1(SALU_CYCLE_1)
	s_ashr_i32 s9, s8, 31
	s_lshl_b64 s[8:9], s[8:9], 2
	s_delay_alu instid0(SALU_CYCLE_1) | instskip(SKIP_2) | instid1(SALU_CYCLE_1)
	s_add_u32 s8, s16, s8
	s_addc_u32 s9, s25, s9
	s_or_b32 s10, s12, 0x80
	s_ashr_i32 s11, s10, 4
	s_cmp_lt_i32 s10, s24
	;; [unrolled: 10-line block ×3, first 2 shown]
	s_cselect_b32 s20, s21, s13
	s_delay_alu instid0(SALU_CYCLE_1) | instskip(NEXT) | instid1(SALU_CYCLE_1)
	s_ashr_i32 s21, s20, 31
	s_lshl_b64 s[20:21], s[20:21], 2
	s_delay_alu instid0(SALU_CYCLE_1)
	s_add_u32 s20, s16, s20
	s_addc_u32 s21, s25, s21
	s_clause 0x5
	s_load_b32 s26, s[2:3], 0x0
	s_load_b32 s27, s[4:5], 0x0
	;; [unrolled: 1-line block ×6, first 2 shown]
	s_or_b32 s2, s12, 0xc0
	s_mov_b32 s4, 0
	s_ashr_i32 s3, s2, 4
	s_cmp_lt_i32 s2, s24
	s_mov_b32 s11, s4
	s_cselect_b32 s2, s3, s13
	s_mov_b32 s5, s4
	s_ashr_i32 s3, s2, 31
	s_mov_b32 s6, s4
	s_lshl_b64 s[2:3], s[2:3], 2
	s_mov_b32 s7, s4
	s_add_u32 s2, s16, s2
	s_addc_u32 s3, s25, s3
	s_or_b32 s20, s12, 0xe0
	s_mov_b32 s8, s4
	s_ashr_i32 s21, s20, 4
	s_cmp_lt_i32 s20, s24
	s_mov_b32 s9, s4
	s_cselect_b32 s20, s21, s13
	s_mov_b32 s10, s4
	s_ashr_i32 s21, s20, 31
	v_mov_b32_e32 v118, s11
	v_dual_mov_b32 v112, s5 :: v_dual_mov_b32 v117, s10
	v_dual_mov_b32 v116, s9 :: v_dual_mov_b32 v115, s8
	;; [unrolled: 1-line block ×3, first 2 shown]
	v_mov_b32_e32 v111, s4
	s_lshl_b64 s[4:5], s[20:21], 2
	s_delay_alu instid0(SALU_CYCLE_1)
	s_add_u32 s4, s16, s4
	s_addc_u32 s5, s25, s5
	s_add_u32 s6, s22, s15
	s_addc_u32 s7, s23, s18
	s_waitcnt vmcnt(1)
	v_mad_i64_i32 v[3:4], null, v5, s17, v[1:2]
	s_waitcnt vmcnt(0)
	v_mad_i64_i32 v[5:6], null, v7, s17, v[1:2]
	v_cndmask_b32_e32 v1, 0, v68, vcc_lo
	v_lshlrev_b32_e32 v2, 4, v68
	s_clause 0xf
	global_load_b128 v[17:20], v[3:4], off
	global_load_b128 v[21:24], v[3:4], off offset:256
	global_load_b128 v[25:28], v[5:6], off
	global_load_b128 v[29:32], v[5:6], off offset:256
	global_load_b128 v[57:60], v[3:4], off offset:512
	;; [unrolled: 1-line block ×13, first 2 shown]
	v_lshlrev_b32_e32 v149, 6, v1
	v_lshl_or_b32 v1, v69, 8, v2
	ds_load_b128 v[119:122], v149
	ds_load_b128 v[123:126], v149 offset:1024
	ds_load_b128 v[127:130], v149 offset:2048
	;; [unrolled: 1-line block ×3, first 2 shown]
	s_clause 0x1
	s_load_b32 s2, s[2:3], 0x0
	s_load_b32 s3, s[4:5], 0x0
	v_add_co_u32 v135, s6, s6, v1
	s_delay_alu instid0(VALU_DEP_1) | instskip(SKIP_1) | instid1(VALU_DEP_1)
	v_add_co_ci_u32_e64 v136, null, s7, 0, s6
	s_waitcnt lgkmcnt(0)
	v_mad_i64_i32 v[1:2], null, s26, s17, v[135:136]
	v_mad_i64_i32 v[3:4], null, s27, s17, v[135:136]
	v_mad_i64_i32 v[5:6], null, s28, s17, v[135:136]
	v_mad_i64_i32 v[7:8], null, s29, s17, v[135:136]
	v_mad_i64_i32 v[143:144], null, s35, s17, v[135:136]
	v_mad_i64_i32 v[13:14], null, s30, s17, v[135:136]
	s_clause 0x9
	global_load_b128 v[49:52], v[1:2], off
	global_load_b128 v[53:56], v[1:2], off offset:16
	global_load_b128 v[41:44], v[3:4], off
	global_load_b128 v[45:48], v[3:4], off offset:16
	global_load_b128 v[33:36], v[5:6], off
	global_load_b128 v[37:40], v[5:6], off offset:16
	global_load_b128 v[1:4], v[7:8], off
	global_load_b128 v[5:8], v[7:8], off offset:16
	global_load_b128 v[9:12], v[13:14], off
	global_load_b128 v[13:16], v[13:14], off offset:16
	v_mad_i64_i32 v[145:146], null, s2, s17, v[135:136]
	v_mad_i64_i32 v[147:148], null, s3, s17, v[135:136]
	s_waitcnt vmcnt(24)
	v_wmma_f32_16x16x16_f16 v[135:142], v[17:24], v[119:126], v[111:118]
	s_waitcnt vmcnt(22)
	v_wmma_f32_16x16x16_f16 v[111:118], v[25:32], v[119:126], v[111:118]
	s_clause 0x3
	global_load_b128 v[17:20], v[143:144], off
	global_load_b128 v[21:24], v[143:144], off offset:16
	global_load_b128 v[25:28], v[145:146], off
	global_load_b128 v[29:32], v[145:146], off offset:16
	v_and_b32_e32 v119, 0xe0, v0
	s_waitcnt vmcnt(24)
	v_wmma_f32_16x16x16_f16 v[135:142], v[57:64], v[127:134], v[135:142]
	s_clause 0x1
	global_load_b128 v[57:60], v[147:148], off
	global_load_b128 v[61:64], v[147:148], off offset:16
	s_waitcnt vmcnt(24)
	v_wmma_f32_16x16x16_f16 v[111:118], v[71:78], v[127:134], v[111:118]
	ds_load_b128 v[71:74], v149 offset:4096
	ds_load_b128 v[75:78], v149 offset:5120
	v_add_nc_u32_e32 v128, s12, v119
	ds_load_b128 v[119:122], v149 offset:6144
	ds_load_b128 v[123:126], v149 offset:7168
	v_mbcnt_lo_u32_b32 v127, -1, 0
	s_waitcnt vmcnt(0) lgkmcnt(0)
	s_barrier
	v_or_b32_e32 v128, v128, v66
	buffer_gl0_inv
	v_xor_b32_e32 v129, 16, v127
	v_or_b32_e32 v130, 4, v128
	v_or_b32_e32 v131, 6, v128
	s_delay_alu instid0(VALU_DEP_3) | instskip(SKIP_4) | instid1(VALU_DEP_4)
	v_cmp_gt_i32_e32 vcc_lo, 32, v129
	v_or_b32_e32 v132, 8, v128
	v_or_b32_e32 v133, 10, v128
	v_cmp_gt_i32_e64 s3, s24, v130
	v_cmp_gt_i32_e64 s4, s24, v131
	;; [unrolled: 1-line block ×3, first 2 shown]
	v_wmma_f32_16x16x16_f16 v[135:142], v[79:86], v[71:78], v[135:142]
	v_wmma_f32_16x16x16_f16 v[111:118], v[87:94], v[71:78], v[111:118]
	v_or_b32_e32 v79, 12, v128
	v_or_b32_e32 v80, 14, v128
	v_cmp_gt_i32_e64 s6, s24, v133
	v_wmma_f32_16x16x16_f16 v[135:142], v[95:102], v[119:126], v[135:142]
	v_wmma_f32_16x16x16_f16 v[111:118], v[103:110], v[119:126], v[111:118]
	v_cndmask_b32_e32 v127, v127, v129, vcc_lo
	v_or_b32_e32 v129, 2, v128
	v_cmp_gt_i32_e32 vcc_lo, s24, v128
	s_delay_alu instid0(VALU_DEP_4) | instskip(SKIP_1) | instid1(VALU_DEP_4)
	v_dual_mul_f32 v87, s19, v136 :: v_dual_mul_f32 v94, s19, v113
	v_mul_f32_e32 v88, s19, v135
	v_cmp_gt_i32_e64 s2, s24, v129
	v_mul_f32_e32 v78, s19, v138
	v_mul_f32_e32 v86, s19, v137
	v_mul_f32_e32 v76, s19, v140
	v_cndmask_b32_e32 v88, 0xff7fffff, v88, vcc_lo
	v_cndmask_b32_e64 v87, 0xff7fffff, v87, s2
	v_dual_mul_f32 v77, s19, v139 :: v_dual_mul_f32 v90, s19, v117
	v_cndmask_b32_e64 v86, 0xff7fffff, v86, s3
	v_cndmask_b32_e64 v78, 0xff7fffff, v78, s4
	s_delay_alu instid0(VALU_DEP_4)
	v_max3_f32 v87, v88, 0xff7fffff, v87
	v_or_b32_e32 v81, 16, v128
	v_or_b32_e32 v82, 18, v128
	v_dual_mul_f32 v74, s19, v142 :: v_dual_mul_f32 v75, s19, v141
	v_mul_f32_e32 v96, s19, v111
	v_cndmask_b32_e64 v77, 0xff7fffff, v77, s5
	v_cndmask_b32_e64 v76, 0xff7fffff, v76, s6
	v_max3_f32 v78, v87, v86, v78
	v_cmp_gt_i32_e64 s7, s24, v79
	v_cmp_gt_i32_e64 s8, s24, v80
	v_or_b32_e32 v83, 20, v128
	v_or_b32_e32 v84, 22, v128
	v_mul_f32_e32 v95, s19, v112
	v_cndmask_b32_e64 v75, 0xff7fffff, v75, s7
	v_cndmask_b32_e64 v74, 0xff7fffff, v74, s8
	v_max3_f32 v76, v78, v77, v76
	v_cmp_gt_i32_e64 s9, s24, v81
	v_cmp_gt_i32_e64 s10, s24, v82
	v_or_b32_e32 v85, 24, v128
	v_or_b32_e32 v71, 26, v128
	;; [unrolled: 8-line block ×3, first 2 shown]
	v_dual_mul_f32 v91, s19, v116 :: v_dual_mul_f32 v92, s19, v115
	v_cndmask_b32_e64 v75, 0xff7fffff, v94, s11
	v_cndmask_b32_e64 v76, 0xff7fffff, v93, s12
	v_max3_f32 v74, v74, v77, v78
	v_cmp_gt_i32_e64 s13, s24, v85
	v_cmp_gt_i32_e64 s15, s24, v71
	v_mul_f32_e32 v89, s19, v118
	v_cmp_gt_i32_e64 s16, s24, v72
	v_max3_f32 v74, v74, v75, v76
	v_cndmask_b32_e64 v77, 0xff7fffff, v92, s13
	v_cndmask_b32_e64 v71, 0xff7fffff, v91, s15
	v_cmp_gt_i32_e64 s17, s24, v73
	v_cndmask_b32_e64 v72, 0xff7fffff, v90, s16
	s_delay_alu instid0(VALU_DEP_3) | instskip(SKIP_1) | instid1(VALU_DEP_4)
	v_max3_f32 v71, v74, v77, v71
	v_lshlrev_b32_e32 v74, 2, v127
	v_cndmask_b32_e64 v73, 0xff7fffff, v89, s17
	s_delay_alu instid0(VALU_DEP_1) | instskip(SKIP_3) | instid1(VALU_DEP_1)
	v_max3_f32 v71, v71, v72, v73
	ds_bpermute_b32 v72, v74, v71
	s_waitcnt lgkmcnt(0)
	v_max_f32_e32 v72, v72, v72
	v_max_f32_e32 v71, v71, v72
	s_delay_alu instid0(VALU_DEP_1) | instskip(SKIP_4) | instid1(VALU_DEP_4)
	v_fma_f32 v72, s19, v135, -v71
	v_fma_f32 v73, s19, v136, -v71
	;; [unrolled: 1-line block ×5, first 2 shown]
	v_dual_mul_f32 v72, 0x3fb8aa3b, v72 :: v_dual_mul_f32 v73, 0x3fb8aa3b, v73
	s_delay_alu instid0(VALU_DEP_3) | instskip(SKIP_1) | instid1(VALU_DEP_3)
	v_dual_mul_f32 v75, 0x3fb8aa3b, v75 :: v_dual_mul_f32 v76, 0x3fb8aa3b, v76
	v_fma_f32 v80, s19, v141, -v71
	v_exp_f32_e32 v72, v72
	s_delay_alu instid0(VALU_DEP_3) | instskip(NEXT) | instid1(VALU_DEP_2)
	v_exp_f32_e32 v73, v73
	v_exp_f32_e32 v75, v75
	;; [unrolled: 1-line block ×3, first 2 shown]
	v_mul_f32_e32 v82, 0x3fb8aa3b, v80
	s_delay_alu instid0(VALU_DEP_1) | instskip(SKIP_4) | instid1(TRANS32_DEP_3)
	v_exp_f32_e32 v84, v82
	v_cndmask_b32_e32 v79, 0, v72, vcc_lo
	v_fma_f32 v72, s19, v140, -v71
	v_mul_f32_e32 v77, 0x3fb8aa3b, v77
	v_cndmask_b32_e64 v78, 0, v73, s2
	v_cndmask_b32_e64 v81, 0, v75, s3
	s_delay_alu instid0(VALU_DEP_4) | instskip(NEXT) | instid1(VALU_DEP_4)
	v_dual_add_f32 v73, 0, v79 :: v_dual_mul_f32 v72, 0x3fb8aa3b, v72
	v_exp_f32_e32 v77, v77
	v_cndmask_b32_e64 v80, 0, v76, s4
	s_delay_alu instid0(TRANS32_DEP_2) | instskip(NEXT) | instid1(VALU_DEP_3)
	v_cndmask_b32_e64 v85, 0, v84, s7
	v_add_f32_e32 v73, v73, v78
	v_exp_f32_e32 v72, v72
	v_cmp_gt_u32_e64 s2, 16, v70
	s_delay_alu instid0(VALU_DEP_2) | instskip(NEXT) | instid1(TRANS32_DEP_2)
	v_add_f32_e32 v73, v73, v81
	v_cndmask_b32_e64 v83, 0, v77, s5
	s_delay_alu instid0(VALU_DEP_2) | instskip(SKIP_3) | instid1(VALU_DEP_1)
	v_add_f32_e32 v73, v73, v80
	s_waitcnt_depctr 0xfff
	v_cndmask_b32_e64 v82, 0, v72, s6
	v_add_f32_e32 v72, v73, v83
	v_add_f32_e32 v72, v72, v82
	s_delay_alu instid0(VALU_DEP_1)
	v_add_f32_e32 v72, v72, v85
	v_fma_f32 v76, s19, v111, -v71
	v_fma_f32 v75, s19, v142, -v71
	;; [unrolled: 1-line block ×5, first 2 shown]
	s_delay_alu instid0(VALU_DEP_4) | instskip(NEXT) | instid1(VALU_DEP_3)
	v_dual_mul_f32 v76, 0x3fb8aa3b, v76 :: v_dual_mul_f32 v75, 0x3fb8aa3b, v75
	v_mul_f32_e32 v86, 0x3fb8aa3b, v86
	s_delay_alu instid0(VALU_DEP_2) | instskip(NEXT) | instid1(VALU_DEP_2)
	v_exp_f32_e32 v76, v76
	v_exp_f32_e32 v75, v75
	s_delay_alu instid0(VALU_DEP_1) | instskip(NEXT) | instid1(TRANS32_DEP_3)
	v_exp_f32_e32 v88, v86
	v_cndmask_b32_e64 v87, 0, v76, s9
	v_fma_f32 v76, s19, v116, -v71
	v_mul_f32_e32 v77, 0x3fb8aa3b, v77
	s_waitcnt_depctr 0xfff
	v_cndmask_b32_e64 v84, 0, v75, s8
	v_fma_f32 v75, s19, v115, -v71
	v_cndmask_b32_e64 v88, 0, v88, s12
	v_mul_f32_e32 v76, 0x3fb8aa3b, v76
	v_exp_f32_e32 v77, v77
	v_add_f32_e32 v72, v72, v84
	s_delay_alu instid0(VALU_DEP_2) | instskip(NEXT) | instid1(VALU_DEP_1)
	v_exp_f32_e32 v76, v76
	v_add_f32_e32 v72, v72, v87
	s_waitcnt_depctr 0xfff
	v_cndmask_b32_e64 v86, 0, v77, s10
	v_mul_f32_e32 v73, 0x3fb8aa3b, v73
	v_fma_f32 v77, s19, v117, -v71
	v_cndmask_b32_e64 v90, 0, v76, s15
	s_delay_alu instid0(VALU_DEP_4) | instskip(NEXT) | instid1(VALU_DEP_4)
	v_add_f32_e32 v72, v72, v86
	v_exp_f32_e32 v73, v73
	s_waitcnt_depctr 0xfff
	v_cndmask_b32_e64 v89, 0, v73, s11
	s_delay_alu instid0(VALU_DEP_1) | instskip(NEXT) | instid1(VALU_DEP_1)
	v_dual_mul_f32 v75, 0x3fb8aa3b, v75 :: v_dual_add_f32 v72, v72, v89
	v_exp_f32_e32 v75, v75
	v_mul_f32_e32 v73, 0x3fb8aa3b, v77
	v_fma_f32 v77, s19, v118, -v71
	s_delay_alu instid0(VALU_DEP_3) | instskip(NEXT) | instid1(VALU_DEP_3)
	v_add_f32_e32 v72, v72, v88
	v_exp_f32_e32 v73, v73
	s_waitcnt_depctr 0xfff
	v_cndmask_b32_e64 v91, 0, v75, s13
	s_delay_alu instid0(VALU_DEP_1) | instskip(NEXT) | instid1(VALU_DEP_1)
	v_dual_mul_f32 v75, 0x3fb8aa3b, v77 :: v_dual_add_f32 v72, v72, v91
	v_exp_f32_e32 v75, v75
	v_cndmask_b32_e64 v93, 0, v73, s16
	s_delay_alu instid0(VALU_DEP_2) | instskip(NEXT) | instid1(VALU_DEP_1)
	v_add_f32_e32 v72, v72, v90
	v_add_f32_e32 v72, v72, v93
	s_waitcnt_depctr 0xfff
	v_cndmask_b32_e64 v92, 0, v75, s17
	s_delay_alu instid0(VALU_DEP_1)
	v_add_f32_e32 v72, v72, v92
	ds_bpermute_b32 v73, v74, v72
	s_and_saveexec_b32 s3, s2
	s_cbranch_execz .LBB944_12
; %bb.11:
	v_mul_u32_u24_e32 v70, 0x44, v69
	s_waitcnt lgkmcnt(0)
	v_add_f32_e32 v72, v72, v73
	s_delay_alu instid0(VALU_DEP_2) | instskip(NEXT) | instid1(VALU_DEP_1)
	v_lshl_add_u32 v70, v68, 2, v70
	v_add_nc_u32_e32 v70, 0x4000, v70
	ds_store_2addr_b32 v70, v71, v72 offset1:136
.LBB944_12:
	s_or_b32 exec_lo, exec_lo, s3
	v_lshlrev_b32_e32 v70, 2, v68
	s_load_b32 s35, s[0:1], 0x94
	s_waitcnt lgkmcnt(0)
	s_barrier
	buffer_gl0_inv
	v_add_nc_u32_e32 v98, 0x4000, v70
	v_cmp_eq_u32_e32 vcc_lo, 1, v69
	v_cmp_eq_u32_e64 s3, 2, v69
	v_cmp_eq_u32_e64 s4, 3, v69
	;; [unrolled: 1-line block ×3, first 2 shown]
	ds_load_2addr_b32 v[70:71], v98 offset1:17
	ds_load_2addr_b32 v[72:73], v98 offset0:34 offset1:51
	ds_load_2addr_b32 v[74:75], v98 offset0:68 offset1:85
	;; [unrolled: 1-line block ×3, first 2 shown]
	v_cmp_eq_u32_e64 s6, 5, v69
	v_cmp_eq_u32_e64 s7, 7, v69
	s_waitcnt lgkmcnt(3)
	v_max3_f32 v76, v70, 0xff7fffff, v71
	s_waitcnt lgkmcnt(2)
	s_delay_alu instid0(VALU_DEP_1) | instskip(SKIP_1) | instid1(VALU_DEP_1)
	v_max3_f32 v76, v76, v72, v73
	s_waitcnt lgkmcnt(1)
	v_max3_f32 v76, v76, v74, v75
	s_waitcnt lgkmcnt(0)
	s_delay_alu instid0(VALU_DEP_1) | instskip(NEXT) | instid1(VALU_DEP_1)
	v_max3_f32 v76, v76, v94, v95
	v_sub_f32_e32 v77, v71, v76
	ds_load_2addr_b32 v[96:97], v98 offset0:136 offset1:153
	v_sub_f32_e32 v74, v74, v76
	v_sub_f32_e32 v70, v70, v76
	;; [unrolled: 1-line block ×3, first 2 shown]
	v_dual_sub_f32 v72, v72, v76 :: v_dual_mul_f32 v77, 0x3fb8aa3b, v77
	s_delay_alu instid0(VALU_DEP_4) | instskip(NEXT) | instid1(VALU_DEP_4)
	v_mul_f32_e32 v103, 0x3fb8aa3b, v74
	v_mul_f32_e32 v99, 0x3fb8aa3b, v70
	ds_load_2addr_b32 v[70:71], v98 offset0:170 offset1:187
	v_dual_mul_f32 v101, 0x3fb8aa3b, v72 :: v_dual_mul_f32 v94, 0x3fb8aa3b, v94
	v_exp_f32_e32 v102, v77
	v_exp_f32_e32 v99, v99
	s_delay_alu instid0(VALU_DEP_1) | instskip(NEXT) | instid1(VALU_DEP_1)
	v_exp_f32_e32 v101, v101
	v_exp_f32_e32 v94, v94
	s_waitcnt lgkmcnt(1)
	s_delay_alu instid0(TRANS32_DEP_3)
	v_fma_f32 v77, v99, v96, 0
	v_sub_f32_e32 v100, v73, v76
	ds_load_2addr_b32 v[72:73], v98 offset0:204 offset1:221
	v_fmac_f32_e32 v77, v102, v97
	v_exp_f32_e32 v97, v103
	s_waitcnt lgkmcnt(1)
	s_delay_alu instid0(VALU_DEP_1)
	v_dual_fmac_f32 v77, v101, v70 :: v_dual_sub_f32 v96, v75, v76
	ds_load_2addr_b32 v[74:75], v98 offset0:238 offset1:255
	v_sub_f32_e32 v70, v95, v76
	s_waitcnt lgkmcnt(0)
	s_barrier
	v_mul_f32_e32 v96, 0x3fb8aa3b, v96
	buffer_gl0_inv
	v_exp_f32_e32 v95, v96
	v_mul_f32_e32 v100, 0x3fb8aa3b, v100
	s_delay_alu instid0(VALU_DEP_1) | instskip(SKIP_3) | instid1(VALU_DEP_2)
	v_exp_f32_e32 v100, v100
	s_waitcnt_depctr 0xfff
	v_dual_fmac_f32 v77, v100, v71 :: v_dual_mul_f32 v70, 0x3fb8aa3b, v70
	v_cndmask_b32_e32 v71, v99, v102, vcc_lo
	v_fmac_f32_e32 v77, v97, v72
	s_delay_alu instid0(VALU_DEP_3) | instskip(NEXT) | instid1(VALU_DEP_1)
	v_exp_f32_e32 v96, v70
	v_fmac_f32_e32 v77, v95, v73
	s_delay_alu instid0(VALU_DEP_1) | instskip(SKIP_2) | instid1(VALU_DEP_1)
	v_fmac_f32_e32 v77, v94, v74
	s_waitcnt_depctr 0xfff
	v_fmac_f32_e32 v77, v96, v75
	v_add_f32_e32 v74, 0x358637bd, v77
	s_delay_alu instid0(VALU_DEP_1) | instskip(SKIP_1) | instid1(VALU_DEP_2)
	v_div_scale_f32 v98, null, v74, v74, 1.0
	v_div_scale_f32 v99, vcc_lo, 1.0, v74, 1.0
	v_rcp_f32_e32 v103, v98
	s_waitcnt_depctr 0xfff
	v_fma_f32 v70, -v98, v103, 1.0
	s_delay_alu instid0(VALU_DEP_1) | instskip(SKIP_2) | instid1(VALU_DEP_2)
	v_fmac_f32_e32 v103, v70, v103
	v_cndmask_b32_e64 v70, v71, v101, s3
	v_cmp_eq_u32_e64 s3, 6, v69
	v_cndmask_b32_e64 v71, v70, v100, s4
	s_delay_alu instid0(VALU_DEP_4) | instskip(NEXT) | instid1(VALU_DEP_2)
	v_dual_mul_f32 v101, v99, v103 :: v_dual_lshlrev_b32 v70, 2, v66
	v_cndmask_b32_e64 v71, v71, v97, s5
	s_delay_alu instid0(VALU_DEP_2) | instskip(NEXT) | instid1(VALU_DEP_3)
	v_or_b32_e32 v72, 1, v70
	v_fma_f32 v100, -v98, v101, v99
	v_cmp_eq_u32_e64 s4, 1, v70
	v_cmp_eq_u32_e64 s5, 2, v70
	v_cndmask_b32_e64 v95, v71, v95, s6
	v_or_b32_e32 v71, 3, v70
	v_fmac_f32_e32 v101, v100, v103
	v_cmp_eq_u32_e64 s9, 1, v72
	v_cmp_eq_u32_e64 s12, 2, v72
	v_cndmask_b32_e64 v94, v95, v94, s3
	v_cmp_eq_u32_e64 s11, 1, v71
	v_fma_f32 v97, -v98, v101, v99
	v_cmp_eq_u32_e64 s16, 2, v71
	v_cmp_eq_u32_e64 s13, 3, v72
	v_cndmask_b32_e64 v94, v94, v96, s7
	v_cmp_eq_u32_e64 s18, 3, v71
	v_div_fmas_f32 v95, v97, v103, v101
	v_cmp_eq_u32_e32 vcc_lo, 3, v70
	v_cmp_eq_u32_e64 s3, 4, v70
	v_cmp_eq_u32_e64 s19, 4, v72
	;; [unrolled: 1-line block ×3, first 2 shown]
	v_div_fixup_f32 v95, v95, v74, 1.0
	v_lshlrev_b32_e32 v73, 6, v68
	v_cmp_eq_u32_e64 s6, 5, v70
	v_cmp_eq_u32_e64 s20, 5, v72
	;; [unrolled: 1-line block ×3, first 2 shown]
	v_mul_f32_e32 v102, v94, v95
	v_lshl_or_b32 v75, v69, 11, v73
	v_or_b32_e32 v69, 2, v70
	v_cmp_eq_u32_e64 s25, 6, v72
	v_cmp_eq_u32_e64 s27, 6, v71
	v_fma_mixlo_f16 v94, v102, v79, 0
	v_fma_mixlo_f16 v95, v102, v81, 0
	;; [unrolled: 1-line block ×8, first 2 shown]
	v_lshl_or_b32 v74, v66, 4, v75
	v_fma_mixhi_f16 v94, v102, v78, 0
	v_fma_mixhi_f16 v95, v102, v80, 0
	;; [unrolled: 1-line block ×8, first 2 shown]
	ds_store_b128 v74, v[94:97]
	ds_store_b128 v74, v[98:101] offset:1024
	s_waitcnt lgkmcnt(0)
	s_barrier
	buffer_gl0_inv
	ds_load_b128 v[78:81], v75
	ds_load_b128 v[82:85], v75 offset:16
	ds_load_b128 v[86:89], v75 offset:1024
	;; [unrolled: 1-line block ×3, first 2 shown]
	v_cmp_eq_u32_e64 s10, 1, v69
	v_cmp_eq_u32_e64 s15, 2, v69
	;; [unrolled: 1-line block ×11, first 2 shown]
	s_waitcnt lgkmcnt(3)
	v_lshrrev_b32_e32 v94, 16, v78
	s_waitcnt lgkmcnt(2)
	v_lshrrev_b32_e32 v98, 16, v82
	;; [unrolled: 2-line block ×4, first 2 shown]
	v_lshrrev_b32_e32 v95, 16, v79
	v_cndmask_b32_e64 v110, v78, v94, s4
	v_cndmask_b32_e64 v111, v82, v98, s4
	;; [unrolled: 1-line block ×8, first 2 shown]
	v_lshrrev_b32_e32 v99, 16, v83
	v_cndmask_b32_e64 v94, v86, v102, s4
	v_cndmask_b32_e64 v98, v90, v106, s4
	v_cndmask_b32_e64 v116, v86, v102, s9
	v_cndmask_b32_e64 v117, v90, v106, s9
	v_cndmask_b32_e64 v118, v86, v102, s10
	v_cndmask_b32_e64 v119, v90, v106, s10
	v_cndmask_b32_e64 v86, v86, v102, s11
	v_cndmask_b32_e64 v90, v90, v106, s11
	v_cndmask_b32_e64 v102, v110, v79, s5
	v_cndmask_b32_e64 v106, v111, v83, s5
	v_cndmask_b32_e64 v110, v112, v79, s12
	v_cndmask_b32_e64 v111, v113, v83, s12
	v_cndmask_b32_e64 v112, v114, v79, s15
	v_cndmask_b32_e64 v78, v78, v79, s16
	v_cndmask_b32_e64 v79, v82, v83, s16
	v_lshrrev_b32_e32 v103, 16, v87
	v_lshrrev_b32_e32 v107, 16, v91
	v_cndmask_b32_e64 v113, v115, v83, s15
	v_cndmask_b32_e64 v82, v94, v87, s5
	;; [unrolled: 1-line block ×7, first 2 shown]
	v_cndmask_b32_e32 v90, v102, v95, vcc_lo
	v_cndmask_b32_e32 v102, v106, v99, vcc_lo
	v_cndmask_b32_e64 v106, v110, v95, s13
	v_cndmask_b32_e64 v110, v111, v99, s13
	;; [unrolled: 1-line block ×4, first 2 shown]
	v_lshrrev_b32_e32 v96, 16, v80
	v_lshrrev_b32_e32 v100, 16, v84
	v_cndmask_b32_e64 v111, v112, v95, s17
	v_cndmask_b32_e64 v112, v113, v99, s17
	v_cndmask_b32_e32 v82, v82, v103, vcc_lo
	v_cndmask_b32_e32 v83, v83, v107, vcc_lo
	v_cndmask_b32_e64 v94, v94, v103, s13
	v_cndmask_b32_e64 v90, v90, v80, s3
	;; [unrolled: 1-line block ×7, first 2 shown]
	v_lshrrev_b32_e32 v104, 16, v88
	v_cndmask_b32_e64 v106, v111, v80, s21
	v_cndmask_b32_e64 v110, v112, v84, s21
	v_cndmask_b32_e64 v80, v82, v88, s3
	v_cndmask_b32_e64 v82, v83, v92, s3
	v_cndmask_b32_e64 v83, v94, v88, s19
	v_cndmask_b32_e64 v84, v90, v96, s6
	v_cndmask_b32_e64 v90, v95, v100, s6
	v_cndmask_b32_e64 v94, v99, v96, s20
	v_cndmask_b32_e64 v95, v102, v100, s20
	v_cndmask_b32_e64 v78, v78, v96, s24
	v_cndmask_b32_e64 v79, v79, v100, s24
	v_lshrrev_b32_e32 v97, 16, v81
	v_lshrrev_b32_e32 v101, 16, v85
	v_cndmask_b32_e64 v99, v106, v96, s23
	v_cndmask_b32_e64 v102, v110, v100, s23
	;; [unrolled: 1-line block ×7, first 2 shown]
	v_lshrrev_b32_e32 v105, 16, v89
	v_cndmask_b32_e64 v80, v80, v104, s6
	v_cndmask_b32_e64 v84, v84, v81, s7
	;; [unrolled: 1-line block ×16, first 2 shown]
	v_perm_b32 v81, v79, v78, 0x5040100
	v_perm_b32 v79, v95, v85, 0x5040100
	v_cndmask_b32_e64 v78, v119, v91, s15
	v_cndmask_b32_e64 v85, v117, v91, s12
	v_cndmask_b32_e64 v96, v80, v105, s8
	v_perm_b32 v80, v94, v90, 0x5040100
	v_cndmask_b32_e64 v90, v98, v103, s17
	v_cndmask_b32_e64 v86, v86, v103, s18
	;; [unrolled: 1-line block ×5, first 2 shown]
	v_lshrrev_b32_e32 v108, 16, v92
	v_cndmask_b32_e64 v90, v90, v88, s21
	v_cndmask_b32_e64 v86, v86, v88, s22
	;; [unrolled: 1-line block ×11, first 2 shown]
	v_lshrrev_b32_e32 v109, 16, v93
	v_cndmask_b32_e64 v82, v82, v93, s7
	v_cndmask_b32_e64 v88, v88, v89, s26
	;; [unrolled: 1-line block ×12, first 2 shown]
	v_perm_b32 v78, v84, v83, 0x5040100
	v_perm_b32 v85, v87, v86, 0x5040100
	;; [unrolled: 1-line block ×5, first 2 shown]
	s_mul_i32 s8, s33, 15
	s_mov_b32 s3, exec_lo
	ds_store_b128 v74, v[78:81]
	ds_store_b128 v74, v[82:85] offset:1024
	v_cmpx_gt_u32_e32 15, v0
	s_cbranch_execz .LBB944_14
; %bb.13:
	s_mul_i32 s4, s8, s34
	s_delay_alu instid0(SALU_CYCLE_1) | instskip(SKIP_1) | instid1(VALU_DEP_1)
	v_add3_u32 v68, s4, s31, v68
	s_load_b128 s[4:7], s[0:1], 0x58
	v_mad_u64_u32 v[78:79], null, v68, s35, s[14:15]
	s_delay_alu instid0(VALU_DEP_1) | instskip(NEXT) | instid1(VALU_DEP_1)
	v_ashrrev_i32_e32 v79, 31, v78
	v_lshlrev_b64 v[78:79], 2, v[78:79]
	s_waitcnt lgkmcnt(0)
	s_delay_alu instid0(VALU_DEP_1) | instskip(NEXT) | instid1(VALU_DEP_2)
	v_add_co_u32 v80, vcc_lo, s6, v78
	v_add_co_ci_u32_e32 v81, vcc_lo, s7, v79, vcc_lo
	v_add_co_u32 v78, vcc_lo, s4, v78
	v_add_co_ci_u32_e32 v79, vcc_lo, s5, v79, vcc_lo
	global_store_b32 v[80:81], v76, off
	global_store_b32 v[78:79], v77, off
.LBB944_14:
	s_or_b32 exec_lo, exec_lo, s3
	s_waitcnt lgkmcnt(0)
	s_waitcnt_vscnt null, 0x0
	s_barrier
	buffer_gl0_inv
	ds_load_b128 v[84:87], v73
	ds_load_b128 v[88:91], v73 offset:16
	ds_load_b128 v[96:99], v73 offset:2064
	;; [unrolled: 1-line block ×5, first 2 shown]
	v_cmp_eq_u32_e32 vcc_lo, 1, v70
	v_mov_b32_e32 v76, 0
	ds_load_b128 v[112:115], v73 offset:6160
	ds_load_b128 v[108:111], v73 offset:6144
	;; [unrolled: 1-line block ×4, first 2 shown]
	v_cmp_eq_u32_e64 s4, 1, v69
	v_cmp_eq_u32_e64 s3, 1, v72
	;; [unrolled: 1-line block ×3, first 2 shown]
	v_mov_b32_e32 v77, v76
	v_mov_b32_e32 v78, v76
	;; [unrolled: 1-line block ×7, first 2 shown]
	v_cmp_eq_u32_e64 s6, 3, v72
	v_cmp_eq_u32_e64 s7, 7, v72
	s_waitcnt lgkmcnt(8)
	s_delay_alu instid0(VALU_DEP_3)
	v_wmma_f32_16x16x16_f16 v[76:83], v[49:56], v[84:91], v[76:83]
	ds_load_b128 v[53:56], v73 offset:10256
	ds_load_b128 v[49:52], v73 offset:10240
	s_waitcnt lgkmcnt(8)
	v_wmma_f32_16x16x16_f16 v[76:83], v[41:48], v[92:99], v[76:83]
	ds_load_b128 v[45:48], v73 offset:12304
	ds_load_b128 v[41:44], v73 offset:12288
	s_waitcnt lgkmcnt(8)
	;; [unrolled: 4-line block ×3, first 2 shown]
	s_barrier
	buffer_gl0_inv
	v_wmma_f32_16x16x16_f16 v[76:83], v[1:8], v[108:115], v[76:83]
	s_delay_alu instid0(VALU_DEP_1) | instskip(NEXT) | instid1(VALU_DEP_1)
	v_wmma_f32_16x16x16_f16 v[76:83], v[9:16], v[116:123], v[76:83]
	v_wmma_f32_16x16x16_f16 v[76:83], v[17:24], v[49:56], v[76:83]
	s_delay_alu instid0(VALU_DEP_1) | instskip(NEXT) | instid1(VALU_DEP_1)
	v_wmma_f32_16x16x16_f16 v[76:83], v[25:32], v[41:48], v[76:83]
	v_wmma_f32_16x16x16_f16 v[76:83], v[57:64], v[33:40], v[76:83]
	s_delay_alu instid0(VALU_DEP_1) | instskip(NEXT) | instid1(VALU_DEP_2)
	v_cvt_f16_f32_e32 v1, v76
	v_cvt_f16_f32_e32 v2, v77
	s_delay_alu instid0(VALU_DEP_3) | instskip(NEXT) | instid1(VALU_DEP_4)
	v_cvt_f16_f32_e32 v3, v78
	v_cvt_f16_f32_e32 v4, v79
	;; [unrolled: 1-line block ×6, first 2 shown]
	v_pack_b32_f16 v1, v1, v2
	v_pack_b32_f16 v2, v3, v4
	;; [unrolled: 1-line block ×3, first 2 shown]
	s_delay_alu instid0(VALU_DEP_4)
	v_pack_b32_f16 v4, v7, v8
	ds_store_b128 v74, v[1:4]
	s_waitcnt lgkmcnt(0)
	s_barrier
	buffer_gl0_inv
	ds_load_b128 v[1:4], v75
	ds_load_b128 v[5:8], v75 offset:16
	s_waitcnt lgkmcnt(1)
	v_lshrrev_b32_e32 v9, 16, v1
	s_waitcnt lgkmcnt(0)
	v_lshrrev_b32_e32 v13, 16, v5
	v_lshrrev_b32_e32 v10, 16, v2
	;; [unrolled: 1-line block ×4, first 2 shown]
	v_cndmask_b32_e32 v17, v1, v9, vcc_lo
	v_cndmask_b32_e32 v18, v5, v13, vcc_lo
	v_cndmask_b32_e64 v21, v1, v9, s4
	v_cmp_eq_u32_e32 vcc_lo, 1, v71
	v_cndmask_b32_e64 v22, v5, v13, s4
	v_cmp_eq_u32_e64 s4, 2, v70
	v_cndmask_b32_e64 v19, v1, v9, s3
	v_cndmask_b32_e64 v20, v5, v13, s3
	v_cndmask_b32_e32 v1, v1, v9, vcc_lo
	v_cmp_eq_u32_e64 s3, 2, v71
	v_cndmask_b32_e32 v5, v5, v13, vcc_lo
	v_cndmask_b32_e64 v9, v17, v2, s4
	v_cmp_eq_u32_e32 vcc_lo, 3, v70
	v_cndmask_b32_e64 v13, v18, v6, s4
	v_cmp_eq_u32_e64 s4, 2, v69
	v_cndmask_b32_e64 v17, v19, v2, s5
	v_cndmask_b32_e64 v18, v20, v6, s5
	v_cmp_eq_u32_e64 s5, 3, v69
	v_cndmask_b32_e64 v1, v1, v2, s3
	v_cndmask_b32_e64 v19, v21, v2, s4
	;; [unrolled: 1-line block ×4, first 2 shown]
	v_cndmask_b32_e32 v5, v9, v10, vcc_lo
	v_cndmask_b32_e32 v6, v13, v14, vcc_lo
	v_cmp_eq_u32_e32 vcc_lo, 3, v71
	v_cndmask_b32_e64 v9, v17, v10, s6
	v_cndmask_b32_e64 v13, v18, v14, s6
	v_cndmask_b32_e64 v18, v20, v14, s5
	v_cmp_eq_u32_e64 s4, 4, v70
	v_cndmask_b32_e32 v1, v1, v10, vcc_lo
	v_cndmask_b32_e32 v2, v2, v14, vcc_lo
	v_cmp_eq_u32_e32 vcc_lo, 4, v72
	v_lshrrev_b32_e32 v15, 16, v7
	v_lshrrev_b32_e32 v16, 16, v8
	v_cndmask_b32_e64 v17, v19, v10, s5
	v_cmp_eq_u32_e64 s3, 4, v71
	v_cndmask_b32_e64 v5, v5, v3, s4
	v_cndmask_b32_e64 v6, v6, v7, s4
	v_cndmask_b32_e32 v9, v9, v3, vcc_lo
	v_cmp_eq_u32_e64 s4, 5, v72
	v_cndmask_b32_e32 v10, v13, v7, vcc_lo
	v_cmp_eq_u32_e32 vcc_lo, 4, v69
	v_cmp_eq_u32_e64 s5, 5, v70
	v_cndmask_b32_e64 v2, v2, v7, s3
	v_cndmask_b32_e64 v9, v9, v11, s4
	;; [unrolled: 1-line block ×3, first 2 shown]
	v_cndmask_b32_e32 v13, v17, v3, vcc_lo
	v_cmp_eq_u32_e64 s4, 5, v69
	v_cndmask_b32_e32 v14, v18, v7, vcc_lo
	v_cndmask_b32_e64 v1, v1, v3, s3
	v_cmp_eq_u32_e32 vcc_lo, 5, v71
	v_lshrrev_b32_e32 v12, 16, v4
	v_cndmask_b32_e64 v13, v13, v11, s4
	v_cndmask_b32_e64 v3, v14, v15, s4
	v_cmp_eq_u32_e64 s4, 6, v71
	v_cndmask_b32_e32 v1, v1, v11, vcc_lo
	v_cndmask_b32_e64 v5, v5, v11, s5
	v_cmp_eq_u32_e64 s6, 6, v70
	v_cndmask_b32_e64 v6, v6, v15, s5
	v_cmp_eq_u32_e64 s5, 6, v72
	v_cmp_eq_u32_e64 s3, 6, v69
	v_cndmask_b32_e64 v1, v1, v4, s4
	v_cndmask_b32_e32 v2, v2, v15, vcc_lo
	v_cmp_eq_u32_e32 vcc_lo, 7, v71
	v_cndmask_b32_e64 v5, v5, v4, s6
	v_cndmask_b32_e64 v9, v9, v4, s5
	;; [unrolled: 1-line block ×3, first 2 shown]
	v_cmp_eq_u32_e64 s6, 7, v70
	v_cndmask_b32_e32 v1, v1, v12, vcc_lo
	v_cndmask_b32_e64 v7, v13, v4, s3
	v_cndmask_b32_e64 v3, v3, v8, s3
	;; [unrolled: 1-line block ×3, first 2 shown]
	v_cmp_eq_u32_e64 s3, 7, v69
	v_cndmask_b32_e64 v4, v10, v8, s5
	v_cndmask_b32_e64 v5, v5, v12, s6
	;; [unrolled: 1-line block ×3, first 2 shown]
	v_cndmask_b32_e32 v2, v2, v16, vcc_lo
	v_cndmask_b32_e64 v7, v7, v12, s3
	v_cndmask_b32_e64 v3, v3, v16, s3
	;; [unrolled: 1-line block ×4, first 2 shown]
	v_perm_b32 v4, v2, v1, 0x5040100
	s_mov_b32 s3, exec_lo
	v_perm_b32 v3, v3, v7, 0x5040100
	v_perm_b32 v2, v8, v9, 0x5040100
	;; [unrolled: 1-line block ×3, first 2 shown]
	ds_store_b128 v74, v[1:4]
	s_waitcnt lgkmcnt(0)
	s_barrier
	buffer_gl0_inv
	v_cmpx_gt_u32_e32 32, v0
	s_cbranch_execz .LBB944_2
; %bb.15:
	s_load_b64 s[4:5], s[0:1], 0x68
	v_add_nc_u32_e32 v20, s31, v66
	v_lshlrev_b32_e32 v0, 10, v0
	v_lshlrev_b32_e32 v1, 4, v67
	s_lshl_b32 s0, s35, 7
	s_delay_alu instid0(SALU_CYCLE_1)
	s_mul_i32 s1, s0, s34
	v_add_nc_u32_e32 v2, 2, v20
	s_mul_i32 s6, s1, s8
	v_and_or_b32 v0, 0x3800, v0, v1
	v_mul_lo_u32 v1, v20, s0
	s_ashr_i32 s7, s6, 31
	v_mul_lo_u32 v11, v2, s0
	s_lshl_b64 s[6:7], s[6:7], 1
	v_add_nc_u32_e32 v3, 4, v20
	v_lshl_or_b32 v21, v66, 6, v0
	v_add_nc_u32_e32 v16, 6, v20
	v_ashrrev_i32_e32 v2, 31, v1
	s_delay_alu instid0(VALU_DEP_4)
	v_mul_lo_u32 v13, v3, s0
	s_waitcnt lgkmcnt(0)
	s_add_u32 s1, s4, s6
	s_addc_u32 s3, s5, s7
	s_lshl_b32 s4, s14, 7
	ds_load_b128 v[3:6], v21
	ds_load_b128 v[7:10], v21 offset:128
	s_ashr_i32 s5, s4, 31
	v_ashrrev_i32_e32 v12, 31, v11
	s_lshl_b64 s[4:5], s[4:5], 1
	v_lshlrev_b64 v[14:15], 1, v[1:2]
	s_add_u32 s1, s1, s4
	s_addc_u32 s3, s3, s5
	v_add_co_u32 v1, s1, s1, v65
	s_delay_alu instid0(VALU_DEP_1) | instskip(SKIP_1) | instid1(VALU_DEP_3)
	v_add_co_ci_u32_e64 v2, null, s3, 0, s1
	v_lshlrev_b64 v[11:12], 1, v[11:12]
	v_add_co_u32 v18, vcc_lo, v1, v14
	v_mul_lo_u32 v16, v16, s0
	s_delay_alu instid0(VALU_DEP_4) | instskip(NEXT) | instid1(VALU_DEP_4)
	v_add_co_ci_u32_e32 v19, vcc_lo, v2, v15, vcc_lo
	v_add_co_u32 v11, vcc_lo, v1, v11
	v_ashrrev_i32_e32 v14, 31, v13
	v_add_co_ci_u32_e32 v12, vcc_lo, v2, v12, vcc_lo
	v_add_nc_u32_e32 v15, 8, v20
	v_ashrrev_i32_e32 v17, 31, v16
	s_waitcnt lgkmcnt(1)
	global_store_b128 v[18:19], v[3:6], off
	v_lshlrev_b64 v[3:4], 1, v[13:14]
	s_waitcnt lgkmcnt(0)
	global_store_b128 v[11:12], v[7:10], off
	v_mul_lo_u32 v11, v15, s0
	v_add_nc_u32_e32 v7, 10, v20
	v_lshlrev_b64 v[5:6], 1, v[16:17]
	v_add_co_u32 v23, vcc_lo, v1, v3
	v_add_nc_u32_e32 v3, 12, v20
	s_delay_alu instid0(VALU_DEP_4)
	v_mul_lo_u32 v25, v7, s0
	v_ashrrev_i32_e32 v12, 31, v11
	v_add_co_ci_u32_e32 v24, vcc_lo, v2, v4, vcc_lo
	v_add_co_u32 v27, vcc_lo, v1, v5
	v_mul_lo_u32 v29, v3, s0
	v_add_co_ci_u32_e32 v28, vcc_lo, v2, v6, vcc_lo
	ds_load_b128 v[3:6], v21 offset:256
	ds_load_b128 v[7:10], v21 offset:384
	v_lshlrev_b64 v[31:32], 1, v[11:12]
	ds_load_b128 v[11:14], v21 offset:512
	ds_load_b128 v[15:18], v21 offset:640
	;; [unrolled: 1-line block ×3, first 2 shown]
	v_ashrrev_i32_e32 v26, 31, v25
	v_ashrrev_i32_e32 v30, 31, v29
	v_add_co_u32 v31, vcc_lo, v1, v31
	s_delay_alu instid0(VALU_DEP_3) | instskip(NEXT) | instid1(VALU_DEP_3)
	v_lshlrev_b64 v[25:26], 1, v[25:26]
	v_lshlrev_b64 v[29:30], 1, v[29:30]
	v_add_co_ci_u32_e32 v32, vcc_lo, v2, v32, vcc_lo
	s_delay_alu instid0(VALU_DEP_3) | instskip(NEXT) | instid1(VALU_DEP_4)
	v_add_co_u32 v25, vcc_lo, v1, v25
	v_add_co_ci_u32_e32 v26, vcc_lo, v2, v26, vcc_lo
	s_delay_alu instid0(VALU_DEP_4)
	v_add_co_u32 v29, vcc_lo, v1, v29
	v_add_co_ci_u32_e32 v30, vcc_lo, v2, v30, vcc_lo
	s_waitcnt lgkmcnt(4)
	global_store_b128 v[23:24], v[3:6], off
	s_waitcnt lgkmcnt(3)
	global_store_b128 v[27:28], v[7:10], off
	;; [unrolled: 2-line block ×5, first 2 shown]
	s_and_b32 exec_lo, exec_lo, s2
	s_cbranch_execz .LBB944_2
; %bb.16:
	ds_load_b128 v[3:6], v0 offset:896
	s_add_i32 s1, s31, 14
	s_delay_alu instid0(SALU_CYCLE_1) | instskip(NEXT) | instid1(SALU_CYCLE_1)
	s_mul_i32 s0, s1, s0
	s_ashr_i32 s1, s0, 31
	s_delay_alu instid0(SALU_CYCLE_1) | instskip(NEXT) | instid1(SALU_CYCLE_1)
	s_lshl_b64 s[0:1], s[0:1], 1
	v_add_co_u32 v0, vcc_lo, v1, s0
	v_add_co_ci_u32_e32 v1, vcc_lo, s1, v2, vcc_lo
	s_waitcnt lgkmcnt(0)
	global_store_b128 v[0:1], v[3:6], off
	s_nop 0
	s_sendmsg sendmsg(MSG_DEALLOC_VGPRS)
	s_endpgm
	.section	.rodata,"a",@progbits
	.p2align	6, 0x0
	.amdhsa_kernel _Z39paged_attention_ll4mi_QKV_mfma16_kernelIDF16_hLN4vllm18Fp8KVCacheDataTypeE1EhLi16ELi128ELi256ELb1ELi15EL8MFMAType1EEvPKT_PKT0_S8_ifPKiSA_SA_iPKfiiiPfSD_PS3_PT2_iSC_SC_
		.amdhsa_group_segment_fixed_size 17472
		.amdhsa_private_segment_fixed_size 0
		.amdhsa_kernarg_size 400
		.amdhsa_user_sgpr_count 13
		.amdhsa_user_sgpr_dispatch_ptr 0
		.amdhsa_user_sgpr_queue_ptr 0
		.amdhsa_user_sgpr_kernarg_segment_ptr 1
		.amdhsa_user_sgpr_dispatch_id 0
		.amdhsa_user_sgpr_private_segment_size 0
		.amdhsa_wavefront_size32 1
		.amdhsa_uses_dynamic_stack 0
		.amdhsa_enable_private_segment 0
		.amdhsa_system_sgpr_workgroup_id_x 1
		.amdhsa_system_sgpr_workgroup_id_y 1
		.amdhsa_system_sgpr_workgroup_id_z 1
		.amdhsa_system_sgpr_workgroup_info 0
		.amdhsa_system_vgpr_workitem_id 0
		.amdhsa_next_free_vgpr 150
		.amdhsa_next_free_sgpr 36
		.amdhsa_reserve_vcc 1
		.amdhsa_float_round_mode_32 0
		.amdhsa_float_round_mode_16_64 0
		.amdhsa_float_denorm_mode_32 3
		.amdhsa_float_denorm_mode_16_64 3
		.amdhsa_dx10_clamp 1
		.amdhsa_ieee_mode 1
		.amdhsa_fp16_overflow 0
		.amdhsa_workgroup_processor_mode 1
		.amdhsa_memory_ordered 1
		.amdhsa_forward_progress 0
		.amdhsa_shared_vgpr_count 0
		.amdhsa_exception_fp_ieee_invalid_op 0
		.amdhsa_exception_fp_denorm_src 0
		.amdhsa_exception_fp_ieee_div_zero 0
		.amdhsa_exception_fp_ieee_overflow 0
		.amdhsa_exception_fp_ieee_underflow 0
		.amdhsa_exception_fp_ieee_inexact 0
		.amdhsa_exception_int_div_zero 0
	.end_amdhsa_kernel
	.section	.text._Z39paged_attention_ll4mi_QKV_mfma16_kernelIDF16_hLN4vllm18Fp8KVCacheDataTypeE1EhLi16ELi128ELi256ELb1ELi15EL8MFMAType1EEvPKT_PKT0_S8_ifPKiSA_SA_iPKfiiiPfSD_PS3_PT2_iSC_SC_,"axG",@progbits,_Z39paged_attention_ll4mi_QKV_mfma16_kernelIDF16_hLN4vllm18Fp8KVCacheDataTypeE1EhLi16ELi128ELi256ELb1ELi15EL8MFMAType1EEvPKT_PKT0_S8_ifPKiSA_SA_iPKfiiiPfSD_PS3_PT2_iSC_SC_,comdat
.Lfunc_end944:
	.size	_Z39paged_attention_ll4mi_QKV_mfma16_kernelIDF16_hLN4vllm18Fp8KVCacheDataTypeE1EhLi16ELi128ELi256ELb1ELi15EL8MFMAType1EEvPKT_PKT0_S8_ifPKiSA_SA_iPKfiiiPfSD_PS3_PT2_iSC_SC_, .Lfunc_end944-_Z39paged_attention_ll4mi_QKV_mfma16_kernelIDF16_hLN4vllm18Fp8KVCacheDataTypeE1EhLi16ELi128ELi256ELb1ELi15EL8MFMAType1EEvPKT_PKT0_S8_ifPKiSA_SA_iPKfiiiPfSD_PS3_PT2_iSC_SC_
                                        ; -- End function
	.section	.AMDGPU.csdata,"",@progbits
; Kernel info:
; codeLenInByte = 6892
; NumSgprs: 38
; NumVgprs: 150
; ScratchSize: 0
; MemoryBound: 0
; FloatMode: 240
; IeeeMode: 1
; LDSByteSize: 17472 bytes/workgroup (compile time only)
; SGPRBlocks: 4
; VGPRBlocks: 18
; NumSGPRsForWavesPerEU: 38
; NumVGPRsForWavesPerEU: 150
; Occupancy: 9
; WaveLimiterHint : 1
; COMPUTE_PGM_RSRC2:SCRATCH_EN: 0
; COMPUTE_PGM_RSRC2:USER_SGPR: 13
; COMPUTE_PGM_RSRC2:TRAP_HANDLER: 0
; COMPUTE_PGM_RSRC2:TGID_X_EN: 1
; COMPUTE_PGM_RSRC2:TGID_Y_EN: 1
; COMPUTE_PGM_RSRC2:TGID_Z_EN: 1
; COMPUTE_PGM_RSRC2:TIDIG_COMP_CNT: 0
	.section	.text._Z39paged_attention_ll4mi_QKV_mfma16_kernelIDF16_hLN4vllm18Fp8KVCacheDataTypeE1EhLi16ELi128ELi256ELb1ELi16EL8MFMAType1EEvPKT_PKT0_S8_ifPKiSA_SA_iPKfiiiPfSD_PS3_PT2_iSC_SC_,"axG",@progbits,_Z39paged_attention_ll4mi_QKV_mfma16_kernelIDF16_hLN4vllm18Fp8KVCacheDataTypeE1EhLi16ELi128ELi256ELb1ELi16EL8MFMAType1EEvPKT_PKT0_S8_ifPKiSA_SA_iPKfiiiPfSD_PS3_PT2_iSC_SC_,comdat
	.protected	_Z39paged_attention_ll4mi_QKV_mfma16_kernelIDF16_hLN4vllm18Fp8KVCacheDataTypeE1EhLi16ELi128ELi256ELb1ELi16EL8MFMAType1EEvPKT_PKT0_S8_ifPKiSA_SA_iPKfiiiPfSD_PS3_PT2_iSC_SC_ ; -- Begin function _Z39paged_attention_ll4mi_QKV_mfma16_kernelIDF16_hLN4vllm18Fp8KVCacheDataTypeE1EhLi16ELi128ELi256ELb1ELi16EL8MFMAType1EEvPKT_PKT0_S8_ifPKiSA_SA_iPKfiiiPfSD_PS3_PT2_iSC_SC_
	.globl	_Z39paged_attention_ll4mi_QKV_mfma16_kernelIDF16_hLN4vllm18Fp8KVCacheDataTypeE1EhLi16ELi128ELi256ELb1ELi16EL8MFMAType1EEvPKT_PKT0_S8_ifPKiSA_SA_iPKfiiiPfSD_PS3_PT2_iSC_SC_
	.p2align	8
	.type	_Z39paged_attention_ll4mi_QKV_mfma16_kernelIDF16_hLN4vllm18Fp8KVCacheDataTypeE1EhLi16ELi128ELi256ELb1ELi16EL8MFMAType1EEvPKT_PKT0_S8_ifPKiSA_SA_iPKfiiiPfSD_PS3_PT2_iSC_SC_,@function
_Z39paged_attention_ll4mi_QKV_mfma16_kernelIDF16_hLN4vllm18Fp8KVCacheDataTypeE1EhLi16ELi128ELi256ELb1ELi16EL8MFMAType1EEvPKT_PKT0_S8_ifPKiSA_SA_iPKfiiiPfSD_PS3_PT2_iSC_SC_: ; @_Z39paged_attention_ll4mi_QKV_mfma16_kernelIDF16_hLN4vllm18Fp8KVCacheDataTypeE1EhLi16ELi128ELi256ELb1ELi16EL8MFMAType1EEvPKT_PKT0_S8_ifPKiSA_SA_iPKfiiiPfSD_PS3_PT2_iSC_SC_
; %bb.0:
	s_load_b64 s[4:5], s[0:1], 0x30
	s_mov_b32 s30, s13
	s_waitcnt lgkmcnt(0)
	s_cmp_lg_u64 s[4:5], 0
	s_cselect_b32 s8, -1, 0
	s_ashr_i32 s31, s13, 31
	s_cmp_eq_u64 s[4:5], 0
	s_cbranch_scc1 .LBB945_3
; %bb.1:
	s_lshl_b64 s[2:3], s[30:31], 2
	s_delay_alu instid0(SALU_CYCLE_1) | instskip(SKIP_4) | instid1(SALU_CYCLE_1)
	s_add_u32 s2, s4, s2
	s_addc_u32 s3, s5, s3
	s_load_b64 s[2:3], s[2:3], 0x0
	s_waitcnt lgkmcnt(0)
	s_sub_i32 s2, s3, s2
	s_cmp_eq_u32 s2, 1
	s_cselect_b32 s2, -1, 0
	s_delay_alu instid0(SALU_CYCLE_1)
	s_and_not1_b32 vcc_lo, exec_lo, s2
	s_cbranch_vccz .LBB945_4
.LBB945_2:
	s_endpgm
.LBB945_3:
.LBB945_4:
	s_load_b64 s[2:3], s[0:1], 0x28
	s_lshl_b64 s[6:7], s[30:31], 2
	s_waitcnt lgkmcnt(0)
	s_add_u32 s2, s2, s6
	s_addc_u32 s3, s3, s7
	s_lshl_b32 s12, s14, 8
	s_load_b32 s24, s[2:3], 0x0
	s_waitcnt lgkmcnt(0)
	s_cmp_ge_i32 s12, s24
	s_cbranch_scc1 .LBB945_2
; %bb.5:
	s_clause 0x1
	s_load_b128 s[20:23], s[0:1], 0x8
	s_load_b64 s[2:3], s[0:1], 0x20
	s_and_not1_b32 vcc_lo, exec_lo, s8
	s_cbranch_vccnz .LBB945_7
; %bb.6:
	s_add_u32 s4, s4, s6
	s_addc_u32 s5, s5, s7
	s_load_b32 s5, s[4:5], 0x0
	s_branch .LBB945_8
.LBB945_7:
	s_mov_b32 s5, s30
.LBB945_8:
	s_load_b128 s[16:19], s[0:1], 0x48
	v_and_b32_e32 v70, 15, v0
	v_lshrrev_b32_e32 v69, 5, v0
	v_and_b32_e32 v71, 31, v0
	v_and_b32_e32 v67, 1, v0
	v_bfe_u32 v66, v0, 4, 1
	v_lshlrev_b32_e32 v1, 3, v70
	s_lshl_b32 s31, s15, 4
	s_mov_b32 s4, exec_lo
	s_delay_alu instid0(VALU_DEP_1)
	v_lshlrev_b32_e32 v65, 1, v1
	v_cmpx_gt_u32_e32 0x100, v0
	s_cbranch_execz .LBB945_10
; %bb.9:
	v_lshl_or_b32 v5, v69, 1, v66
	s_load_b64 s[6:7], s[0:1], 0x0
	s_waitcnt lgkmcnt(0)
	s_mul_hi_i32 s9, s5, s16
	s_mul_i32 s8, s5, s16
	v_lshlrev_b32_e32 v6, 10, v70
	v_or_b32_e32 v1, s31, v5
	s_lshl_b64 s[8:9], s[8:9], 1
	v_lshlrev_b32_e32 v5, 6, v5
	v_lshlrev_b32_e32 v7, 10, v67
	v_and_b32_e32 v6, 0x3800, v6
	v_lshlrev_b32_e32 v1, 7, v1
	s_delay_alu instid0(VALU_DEP_2) | instskip(NEXT) | instid1(VALU_DEP_2)
	v_or3_b32 v5, v6, v7, v5
	v_ashrrev_i32_e32 v2, 31, v1
	s_delay_alu instid0(VALU_DEP_1) | instskip(SKIP_2) | instid1(VALU_DEP_1)
	v_lshlrev_b64 v[1:2], 1, v[1:2]
	s_add_u32 s5, s6, s8
	s_addc_u32 s6, s7, s9
	v_add_co_u32 v1, vcc_lo, s5, v1
	s_delay_alu instid0(VALU_DEP_2) | instskip(NEXT) | instid1(VALU_DEP_2)
	v_add_co_ci_u32_e32 v2, vcc_lo, s6, v2, vcc_lo
	v_add_co_u32 v1, vcc_lo, v1, v65
	s_delay_alu instid0(VALU_DEP_2)
	v_add_co_ci_u32_e32 v2, vcc_lo, 0, v2, vcc_lo
	global_load_b128 v[1:4], v[1:2], off
	s_waitcnt vmcnt(0)
	ds_store_b128 v5, v[1:4]
.LBB945_10:
	s_or_b32 exec_lo, exec_lo, s4
	v_and_b32_e32 v1, 0xef, v0
	s_waitcnt lgkmcnt(0)
	s_add_i32 s5, s24, 15
	s_clause 0x1
	s_load_b32 s4, s[0:1], 0x38
	s_load_b32 s33, s[0:1], 0x98
	s_ashr_i32 s6, s5, 31
	v_add_nc_u32_e32 v1, s12, v1
	s_lshr_b32 s6, s6, 28
	s_load_b32 s19, s[0:1], 0x1c
	s_add_i32 s5, s5, s6
	s_waitcnt lgkmcnt(0)
	v_ashrrev_i32_e32 v2, 31, v1
	v_or_b32_e32 v3, 16, v1
	s_ashr_i32 s13, s5, 4
	v_cmp_gt_i32_e32 vcc_lo, s24, v1
	s_add_i32 s13, s13, -1
	v_lshrrev_b32_e32 v2, 28, v2
	s_barrier
	buffer_gl0_inv
	s_mul_i32 s15, s15, s18
	v_lshlrev_b32_e32 v41, 4, v70
	v_add_nc_u32_e32 v4, v1, v2
	s_mul_i32 s4, s30, s4
	s_delay_alu instid0(SALU_CYCLE_1) | instskip(NEXT) | instid1(VALU_DEP_1)
	s_ashr_i32 s5, s4, 31
	v_ashrrev_i32_e32 v4, 4, v4
	v_add_nc_u32_e32 v2, v3, v2
	s_lshl_b64 s[4:5], s[4:5], 2
	v_lshl_or_b32 v41, v69, 8, v41
	s_add_u32 s16, s2, s4
	v_cndmask_b32_e32 v1, s13, v4, vcc_lo
	v_ashrrev_i32_e32 v2, 4, v2
	v_cmp_gt_i32_e32 vcc_lo, s24, v3
	s_addc_u32 s25, s3, s5
	s_ashr_i32 s18, s15, 31
	s_add_u32 s26, s20, s15
	s_addc_u32 s27, s21, s18
	v_cndmask_b32_e32 v3, s13, v2, vcc_lo
	v_ashrrev_i32_e32 v2, 31, v1
	s_lshl_b32 s2, s14, 4
	s_delay_alu instid0(SALU_CYCLE_1) | instskip(NEXT) | instid1(VALU_DEP_2)
	s_ashr_i32 s3, s2, 31
	v_ashrrev_i32_e32 v4, 31, v3
	s_delay_alu instid0(VALU_DEP_2) | instskip(SKIP_1) | instid1(SALU_CYCLE_1)
	v_lshlrev_b64 v[1:2], 2, v[1:2]
	s_lshl_b64 s[2:3], s[2:3], 2
	s_add_u32 s2, s16, s2
	s_delay_alu instid0(VALU_DEP_2) | instskip(SKIP_1) | instid1(VALU_DEP_2)
	v_lshlrev_b64 v[3:4], 2, v[3:4]
	s_addc_u32 s3, s25, s3
	v_add_co_u32 v1, vcc_lo, s16, v1
	v_add_co_ci_u32_e32 v2, vcc_lo, s25, v2, vcc_lo
	s_delay_alu instid0(VALU_DEP_3) | instskip(NEXT) | instid1(VALU_DEP_4)
	v_add_co_u32 v3, vcc_lo, s16, v3
	v_add_co_ci_u32_e32 v4, vcc_lo, s25, v4, vcc_lo
	s_clause 0x1
	global_load_b32 v5, v[1:2], off
	global_load_b32 v3, v[3:4], off
	s_or_b32 s4, s12, 32
	v_lshlrev_b32_e32 v1, 4, v0
	s_ashr_i32 s5, s4, 4
	s_cmp_lt_i32 s4, s24
	s_cselect_b32 s4, s5, s13
	s_delay_alu instid0(VALU_DEP_1) | instskip(SKIP_1) | instid1(SALU_CYCLE_1)
	v_and_b32_e32 v1, 0xf0, v1
	s_ashr_i32 s5, s4, 31
	s_lshl_b64 s[4:5], s[4:5], 2
	s_delay_alu instid0(SALU_CYCLE_1)
	s_add_u32 s4, s16, s4
	s_addc_u32 s5, s25, s5
	s_or_b32 s6, s12, 64
	v_add_co_u32 v1, s26, s26, v1
	s_ashr_i32 s7, s6, 4
	s_cmp_lt_i32 s6, s24
	v_add_co_ci_u32_e64 v2, null, s27, 0, s26
	s_cselect_b32 s6, s7, s13
	s_delay_alu instid0(SALU_CYCLE_1) | instskip(NEXT) | instid1(SALU_CYCLE_1)
	s_ashr_i32 s7, s6, 31
	s_lshl_b64 s[6:7], s[6:7], 2
	s_delay_alu instid0(SALU_CYCLE_1) | instskip(SKIP_2) | instid1(SALU_CYCLE_1)
	s_add_u32 s6, s16, s6
	s_addc_u32 s7, s25, s7
	s_or_b32 s8, s12, 0x60
	s_ashr_i32 s9, s8, 4
	s_cmp_lt_i32 s8, s24
	s_cselect_b32 s8, s9, s13
	s_delay_alu instid0(SALU_CYCLE_1) | instskip(NEXT) | instid1(SALU_CYCLE_1)
	s_ashr_i32 s9, s8, 31
	s_lshl_b64 s[8:9], s[8:9], 2
	s_delay_alu instid0(SALU_CYCLE_1) | instskip(SKIP_2) | instid1(SALU_CYCLE_1)
	s_add_u32 s8, s16, s8
	s_addc_u32 s9, s25, s9
	s_or_b32 s10, s12, 0x80
	s_ashr_i32 s11, s10, 4
	s_cmp_lt_i32 s10, s24
	;; [unrolled: 10-line block ×3, first 2 shown]
	s_cselect_b32 s20, s21, s13
	s_delay_alu instid0(SALU_CYCLE_1) | instskip(NEXT) | instid1(SALU_CYCLE_1)
	s_ashr_i32 s21, s20, 31
	s_lshl_b64 s[20:21], s[20:21], 2
	s_delay_alu instid0(SALU_CYCLE_1)
	s_add_u32 s20, s16, s20
	s_addc_u32 s21, s25, s21
	s_clause 0x5
	s_load_b32 s26, s[2:3], 0x0
	s_load_b32 s27, s[4:5], 0x0
	;; [unrolled: 1-line block ×6, first 2 shown]
	s_or_b32 s2, s12, 0xc0
	s_mov_b32 s4, 0
	s_ashr_i32 s3, s2, 4
	s_cmp_lt_i32 s2, s24
	s_mov_b32 s11, s4
	s_cselect_b32 s2, s3, s13
	s_mov_b32 s5, s4
	s_ashr_i32 s3, s2, 31
	s_mov_b32 s6, s4
	s_lshl_b64 s[2:3], s[2:3], 2
	s_mov_b32 s7, s4
	s_add_u32 s2, s16, s2
	s_mov_b32 s8, s4
	s_mov_b32 s9, s4
	;; [unrolled: 1-line block ×3, first 2 shown]
	s_addc_u32 s3, s25, s3
	s_or_b32 s21, s12, 0xe0
	v_dual_mov_b32 v103, s11 :: v_dual_mov_b32 v96, s4
	v_dual_mov_b32 v101, s9 :: v_dual_lshlrev_b32 v68, 6, v70
	v_mov_b32_e32 v102, s10
	v_dual_mov_b32 v100, s8 :: v_dual_mov_b32 v99, s7
	v_dual_mov_b32 v98, s6 :: v_dual_mov_b32 v97, s5
	s_ashr_i32 s4, s21, 4
	s_cmp_lt_i32 s21, s24
	s_cselect_b32 s4, s4, s13
	s_delay_alu instid0(SALU_CYCLE_1) | instskip(NEXT) | instid1(SALU_CYCLE_1)
	s_ashr_i32 s5, s4, 31
	s_lshl_b64 s[4:5], s[4:5], 2
	s_waitcnt vmcnt(1)
	v_mad_i64_i32 v[33:34], null, v5, s17, v[1:2]
	s_waitcnt vmcnt(0)
	v_mad_i64_i32 v[35:36], null, v3, s17, v[1:2]
	s_clause 0xf
	global_load_b128 v[1:4], v[33:34], off
	global_load_b128 v[5:8], v[33:34], off offset:256
	global_load_b128 v[9:12], v[35:36], off
	global_load_b128 v[13:16], v[35:36], off offset:256
	global_load_b128 v[17:20], v[33:34], off offset:512
	;; [unrolled: 1-line block ×13, first 2 shown]
	ds_load_b128 v[33:36], v68
	ds_load_b128 v[37:40], v68 offset:1024
	ds_load_b128 v[104:107], v68 offset:2048
	;; [unrolled: 1-line block ×3, first 2 shown]
	s_load_b32 s6, s[2:3], 0x0
	s_add_u32 s2, s16, s4
	s_addc_u32 s3, s25, s5
	ds_load_b128 v[112:115], v68 offset:4096
	ds_load_b128 v[116:119], v68 offset:5120
	s_load_b32 s2, s[2:3], 0x0
	s_add_u32 s4, s22, s15
	s_addc_u32 s5, s23, s18
	v_add_co_u32 v128, s4, s4, v41
	s_delay_alu instid0(VALU_DEP_1) | instskip(SKIP_1) | instid1(VALU_DEP_1)
	v_add_co_ci_u32_e64 v129, null, s5, 0, s4
	s_waitcnt lgkmcnt(0)
	v_mad_i64_i32 v[41:42], null, s26, s17, v[128:129]
	v_mad_i64_i32 v[130:131], null, s28, s17, v[128:129]
	;; [unrolled: 1-line block ×7, first 2 shown]
	s_clause 0x3
	global_load_b128 v[49:52], v[41:42], off
	global_load_b128 v[53:56], v[41:42], off offset:16
	global_load_b128 v[41:44], v[45:46], off
	global_load_b128 v[45:48], v[45:46], off offset:16
	s_waitcnt vmcnt(18)
	v_wmma_f32_16x16x16_f16 v[120:127], v[1:8], v[33:40], v[96:103]
	s_waitcnt vmcnt(16)
	v_wmma_f32_16x16x16_f16 v[96:103], v[9:16], v[33:40], v[96:103]
	s_clause 0x3
	global_load_b128 v[33:36], v[130:131], off
	global_load_b128 v[37:40], v[130:131], off offset:16
	global_load_b128 v[1:4], v[132:133], off
	global_load_b128 v[5:8], v[132:133], off offset:16
	s_waitcnt vmcnt(18)
	v_wmma_f32_16x16x16_f16 v[120:127], v[17:24], v[104:111], v[120:127]
	s_clause 0x3
	global_load_b128 v[9:12], v[134:135], off
	global_load_b128 v[13:16], v[134:135], off offset:16
	global_load_b128 v[17:20], v[136:137], off
	global_load_b128 v[21:24], v[136:137], off offset:16
	s_waitcnt vmcnt(20)
	v_wmma_f32_16x16x16_f16 v[96:103], v[25:32], v[104:111], v[96:103]
	v_mad_i64_i32 v[104:105], null, s2, s17, v[128:129]
	s_waitcnt vmcnt(18)
	v_wmma_f32_16x16x16_f16 v[120:127], v[57:64], v[112:119], v[120:127]
	s_clause 0x1
	global_load_b128 v[25:28], v[138:139], off
	global_load_b128 v[29:32], v[138:139], off offset:16
	s_waitcnt vmcnt(18)
	v_wmma_f32_16x16x16_f16 v[96:103], v[72:79], v[112:119], v[96:103]
	s_clause 0x1
	global_load_b128 v[57:60], v[104:105], off
	global_load_b128 v[61:64], v[104:105], off offset:16
	ds_load_b128 v[72:75], v68 offset:6144
	ds_load_b128 v[76:79], v68 offset:7168
	v_and_b32_e32 v104, 0xe0, v0
	v_mbcnt_lo_u32_b32 v105, -1, 0
	s_waitcnt vmcnt(0) lgkmcnt(0)
	s_barrier
	buffer_gl0_inv
	v_add_nc_u32_e32 v104, s12, v104
	v_xor_b32_e32 v106, 16, v105
	s_delay_alu instid0(VALU_DEP_2) | instskip(NEXT) | instid1(VALU_DEP_2)
	v_or_b32_e32 v104, v104, v66
	v_cmp_gt_i32_e32 vcc_lo, 32, v106
	s_delay_alu instid0(VALU_DEP_2)
	v_or_b32_e32 v107, 4, v104
	v_or_b32_e32 v108, 6, v104
	v_cmp_gt_i32_e64 s2, s24, v104
	v_or_b32_e32 v109, 8, v104
	v_wmma_f32_16x16x16_f16 v[120:127], v[80:87], v[72:79], v[120:127]
	v_cndmask_b32_e32 v105, v105, v106, vcc_lo
	v_or_b32_e32 v106, 2, v104
	v_wmma_f32_16x16x16_f16 v[96:103], v[88:95], v[72:79], v[96:103]
	v_or_b32_e32 v80, 10, v104
	v_dual_mul_f32 v90, s19, v120 :: v_dual_mul_f32 v89, s19, v121
	s_delay_alu instid0(VALU_DEP_4) | instskip(NEXT) | instid1(VALU_DEP_4)
	v_cmp_gt_i32_e32 vcc_lo, s24, v106
	v_dual_mul_f32 v94, s19, v100 :: v_dual_mul_f32 v77, s19, v125
	v_dual_mul_f32 v88, s19, v122 :: v_dual_mul_f32 v79, s19, v123
	v_mul_f32_e32 v92, s19, v102
	v_cndmask_b32_e64 v90, 0xff7fffff, v90, s2
	v_cndmask_b32_e32 v89, 0xff7fffff, v89, vcc_lo
	v_cmp_gt_i32_e64 s3, s24, v107
	v_cmp_gt_i32_e64 s4, s24, v108
	v_or_b32_e32 v81, 12, v104
	v_or_b32_e32 v82, 14, v104
	v_mul_f32_e32 v78, s19, v124
	v_cndmask_b32_e64 v88, 0xff7fffff, v88, s3
	v_cndmask_b32_e64 v79, 0xff7fffff, v79, s4
	v_max3_f32 v89, v90, 0xff7fffff, v89
	v_cmp_gt_i32_e64 s5, s24, v109
	v_cmp_gt_i32_e64 s6, s24, v80
	v_or_b32_e32 v83, 16, v104
	v_or_b32_e32 v84, 18, v104
	v_dual_mul_f32 v75, s19, v127 :: v_dual_mul_f32 v76, s19, v126
	v_cndmask_b32_e64 v78, 0xff7fffff, v78, s5
	v_cndmask_b32_e64 v77, 0xff7fffff, v77, s6
	v_max3_f32 v79, v89, v88, v79
	v_cmp_gt_i32_e64 s7, s24, v81
	v_cmp_gt_i32_e64 s8, s24, v82
	v_or_b32_e32 v85, 20, v104
	v_or_b32_e32 v86, 22, v104
	;; [unrolled: 1-line block ×6, first 2 shown]
	v_dual_mul_f32 v95, s19, v99 :: v_dual_mul_f32 v104, s19, v97
	v_mul_f32_e32 v107, s19, v96
	v_cndmask_b32_e64 v76, 0xff7fffff, v76, s7
	v_cndmask_b32_e64 v75, 0xff7fffff, v75, s8
	v_max3_f32 v77, v79, v78, v77
	v_cmp_gt_i32_e64 s9, s24, v83
	v_cmp_gt_i32_e64 s10, s24, v84
	v_dual_mul_f32 v91, s19, v103 :: v_dual_mul_f32 v106, s19, v98
	s_delay_alu instid0(VALU_DEP_4) | instskip(NEXT) | instid1(VALU_DEP_4)
	v_max3_f32 v75, v77, v76, v75
	v_cndmask_b32_e64 v78, 0xff7fffff, v107, s9
	s_delay_alu instid0(VALU_DEP_4)
	v_cndmask_b32_e64 v79, 0xff7fffff, v104, s10
	v_cmp_gt_i32_e64 s11, s24, v85
	v_cmp_gt_i32_e64 s12, s24, v86
	v_mul_f32_e32 v93, s19, v101
	v_cmp_gt_i32_e64 s13, s24, v87
	v_max3_f32 v75, v75, v78, v79
	v_cndmask_b32_e64 v76, 0xff7fffff, v106, s11
	v_cndmask_b32_e64 v77, 0xff7fffff, v95, s12
	v_cmp_gt_i32_e64 s15, s24, v72
	v_cndmask_b32_e64 v78, 0xff7fffff, v94, s13
	v_cmp_gt_i32_e64 s16, s24, v73
	v_cmp_gt_i32_e64 s17, s24, v74
	v_max3_f32 v75, v75, v76, v77
	v_cndmask_b32_e64 v72, 0xff7fffff, v93, s15
	s_delay_alu instid0(VALU_DEP_4) | instskip(NEXT) | instid1(VALU_DEP_4)
	v_cndmask_b32_e64 v73, 0xff7fffff, v92, s16
	v_cndmask_b32_e64 v74, 0xff7fffff, v91, s17
	s_delay_alu instid0(VALU_DEP_3) | instskip(SKIP_1) | instid1(VALU_DEP_2)
	v_max3_f32 v72, v75, v78, v72
	v_lshlrev_b32_e32 v75, 2, v105
	v_max3_f32 v72, v72, v73, v74
	ds_bpermute_b32 v73, v75, v72
	s_waitcnt lgkmcnt(0)
	v_max_f32_e32 v73, v73, v73
	s_delay_alu instid0(VALU_DEP_1) | instskip(NEXT) | instid1(VALU_DEP_1)
	v_max_f32_e32 v72, v72, v73
	v_fma_f32 v76, s19, v122, -v72
	v_fma_f32 v73, s19, v120, -v72
	;; [unrolled: 1-line block ×5, first 2 shown]
	v_mul_f32_e32 v76, 0x3fb8aa3b, v76
	v_fma_f32 v82, s19, v126, -v72
	s_delay_alu instid0(VALU_DEP_4) | instskip(SKIP_1) | instid1(VALU_DEP_4)
	v_dual_mul_f32 v79, 0x3fb8aa3b, v79 :: v_dual_mul_f32 v74, 0x3fb8aa3b, v74
	v_fma_f32 v86, s19, v99, -v72
	v_exp_f32_e32 v76, v76
	s_delay_alu instid0(VALU_DEP_3) | instskip(NEXT) | instid1(VALU_DEP_3)
	v_mul_f32_e32 v82, 0x3fb8aa3b, v82
	v_exp_f32_e32 v83, v79
	v_exp_f32_e32 v74, v74
	v_mul_f32_e32 v88, 0x3fb8aa3b, v86
	v_fma_f32 v91, s19, v103, -v72
	v_exp_f32_e32 v84, v82
	v_fma_f32 v89, s19, v101, -v72
	s_delay_alu instid0(VALU_DEP_3)
	v_exp_f32_e32 v90, v88
	v_cndmask_b32_e64 v80, 0, v76, s3
	v_mul_f32_e32 v73, 0x3fb8aa3b, v73
	v_fma_f32 v76, s19, v127, -v72
	v_mul_f32_e32 v77, 0x3fb8aa3b, v77
	v_cndmask_b32_e64 v82, 0, v83, s5
	v_fma_f32 v83, s19, v97, -v72
	v_exp_f32_e32 v73, v73
	v_mul_f32_e32 v76, 0x3fb8aa3b, v76
	v_exp_f32_e32 v81, v77
	v_cndmask_b32_e64 v84, 0, v84, s7
	v_mul_f32_e32 v83, 0x3fb8aa3b, v83
	v_mul_f32_e32 v89, 0x3fb8aa3b, v89
	v_exp_f32_e32 v76, v76
	s_delay_alu instid0(VALU_DEP_2) | instskip(SKIP_2) | instid1(TRANS32_DEP_3)
	v_exp_f32_e32 v87, v83
	v_cndmask_b32_e64 v78, 0, v73, s2
	v_fma_f32 v73, s19, v125, -v72
	v_cndmask_b32_e64 v79, 0, v81, s4
	v_cndmask_b32_e32 v77, 0, v74, vcc_lo
	v_fma_f32 v81, s19, v96, -v72
	s_delay_alu instid0(VALU_DEP_4) | instskip(NEXT) | instid1(TRANS32_DEP_2)
	v_dual_add_f32 v74, 0, v78 :: v_dual_mul_f32 v73, 0x3fb8aa3b, v73
	v_cndmask_b32_e64 v83, 0, v76, s8
	v_fma_f32 v76, s19, v100, -v72
	s_delay_alu instid0(VALU_DEP_4) | instskip(NEXT) | instid1(VALU_DEP_4)
	v_mul_f32_e32 v85, 0x3fb8aa3b, v81
	v_add_f32_e32 v74, v74, v77
	v_exp_f32_e32 v73, v73
	v_exp_f32_e32 v89, v89
	v_mul_f32_e32 v76, 0x3fb8aa3b, v76
	v_exp_f32_e32 v85, v85
	v_add_f32_e32 v74, v74, v80
	s_mov_b32 s2, exec_lo
	s_delay_alu instid0(VALU_DEP_2) | instskip(NEXT) | instid1(VALU_DEP_1)
	v_exp_f32_e32 v76, v76
	v_add_f32_e32 v74, v74, v79
	v_cndmask_b32_e64 v81, 0, v73, s6
	s_delay_alu instid0(TRANS32_DEP_3)
	v_cndmask_b32_e64 v89, 0, v89, s15
	s_waitcnt_depctr 0xfff
	v_cndmask_b32_e64 v86, 0, v85, s9
	v_cndmask_b32_e64 v85, 0, v87, s10
	v_fma_f32 v87, s19, v102, -v72
	v_add_f32_e32 v73, v74, v82
	v_fma_f32 v74, s19, v98, -v72
	s_delay_alu instid0(VALU_DEP_1) | instskip(NEXT) | instid1(VALU_DEP_1)
	v_mul_f32_e32 v74, 0x3fb8aa3b, v74
	v_exp_f32_e32 v74, v74
	s_waitcnt_depctr 0xfff
	v_cndmask_b32_e64 v88, 0, v74, s11
	v_dual_mul_f32 v74, 0x3fb8aa3b, v87 :: v_dual_add_f32 v73, v73, v81
	v_cndmask_b32_e64 v87, 0, v90, s12
	v_cndmask_b32_e64 v90, 0, v76, s13
	v_mul_f32_e32 v76, 0x3fb8aa3b, v91
	s_delay_alu instid0(VALU_DEP_4) | instskip(SKIP_1) | instid1(VALU_DEP_2)
	v_exp_f32_e32 v74, v74
	v_add_f32_e32 v73, v73, v84
	v_exp_f32_e32 v76, v76
	s_delay_alu instid0(VALU_DEP_1) | instskip(SKIP_4) | instid1(VALU_DEP_2)
	v_add_f32_e32 v73, v73, v83
	s_waitcnt_depctr 0xfff
	v_cndmask_b32_e64 v92, 0, v74, s16
	v_add_f32_e32 v73, v73, v86
	v_cndmask_b32_e64 v91, 0, v76, s17
	v_add_f32_e32 v73, v73, v85
	s_delay_alu instid0(VALU_DEP_1) | instskip(NEXT) | instid1(VALU_DEP_1)
	v_add_f32_e32 v73, v73, v88
	v_add_f32_e32 v73, v73, v87
	s_delay_alu instid0(VALU_DEP_1) | instskip(NEXT) | instid1(VALU_DEP_1)
	v_add_f32_e32 v73, v73, v90
	;; [unrolled: 3-line block ×3, first 2 shown]
	v_add_f32_e32 v73, v73, v91
	ds_bpermute_b32 v74, v75, v73
	v_cmpx_gt_u32_e32 16, v71
	s_cbranch_execz .LBB945_12
; %bb.11:
	v_mul_u32_u24_e32 v71, 0x44, v69
	s_waitcnt lgkmcnt(0)
	v_add_f32_e32 v73, v73, v74
	s_delay_alu instid0(VALU_DEP_2) | instskip(NEXT) | instid1(VALU_DEP_1)
	v_lshl_add_u32 v71, v70, 2, v71
	v_add_nc_u32_e32 v71, 0x4000, v71
	ds_store_2addr_b32 v71, v72, v73 offset1:136
.LBB945_12:
	s_or_b32 exec_lo, exec_lo, s2
	v_lshlrev_b32_e32 v70, 2, v70
	s_load_b32 s34, s[0:1], 0x94
	s_waitcnt lgkmcnt(0)
	s_barrier
	buffer_gl0_inv
	v_add_nc_u32_e32 v74, 0x4000, v70
	v_cmp_eq_u32_e32 vcc_lo, 1, v69
	v_cmp_eq_u32_e64 s2, 2, v69
	v_cmp_eq_u32_e64 s3, 3, v69
	v_cmp_eq_u32_e64 s4, 5, v69
	ds_load_2addr_b32 v[70:71], v74 offset1:17
	ds_load_2addr_b32 v[72:73], v74 offset0:34 offset1:51
	ds_load_2addr_b32 v[93:94], v74 offset0:68 offset1:85
	;; [unrolled: 1-line block ×3, first 2 shown]
	v_cmp_eq_u32_e64 s5, 7, v69
	s_waitcnt lgkmcnt(3)
	v_max3_f32 v75, v70, 0xff7fffff, v71
	s_waitcnt lgkmcnt(2)
	s_delay_alu instid0(VALU_DEP_1) | instskip(SKIP_1) | instid1(VALU_DEP_1)
	v_max3_f32 v75, v75, v72, v73
	s_waitcnt lgkmcnt(1)
	v_max3_f32 v75, v75, v93, v94
	s_waitcnt lgkmcnt(0)
	s_delay_alu instid0(VALU_DEP_1) | instskip(NEXT) | instid1(VALU_DEP_1)
	v_max3_f32 v75, v75, v95, v96
	v_sub_f32_e32 v93, v93, v75
	ds_load_2addr_b32 v[97:98], v74 offset0:136 offset1:153
	v_sub_f32_e32 v70, v70, v75
	v_dual_sub_f32 v100, v73, v75 :: v_dual_mul_f32 v103, 0x3fb8aa3b, v93
	s_delay_alu instid0(VALU_DEP_2) | instskip(SKIP_3) | instid1(VALU_DEP_1)
	v_dual_sub_f32 v76, v71, v75 :: v_dual_mul_f32 v99, 0x3fb8aa3b, v70
	ds_load_2addr_b32 v[70:71], v74 offset0:170 offset1:187
	v_mul_f32_e32 v76, 0x3fb8aa3b, v76
	v_exp_f32_e32 v99, v99
	v_exp_f32_e32 v102, v76
	v_mul_f32_e32 v100, 0x3fb8aa3b, v100
	s_waitcnt lgkmcnt(1)
	s_waitcnt_depctr 0xfff
	v_fma_f32 v76, v99, v97, 0
	v_sub_f32_e32 v97, v94, v75
	v_sub_f32_e32 v72, v72, v75
	v_exp_f32_e32 v100, v100
	ds_load_2addr_b32 v[93:94], v74 offset0:238 offset1:255
	v_dual_fmac_f32 v76, v102, v98 :: v_dual_mul_f32 v101, 0x3fb8aa3b, v72
	ds_load_2addr_b32 v[72:73], v74 offset0:204 offset1:221
	v_dual_sub_f32 v74, v95, v75 :: v_dual_mul_f32 v95, 0x3fb8aa3b, v97
	v_exp_f32_e32 v97, v103
	v_exp_f32_e32 v101, v101
	s_waitcnt lgkmcnt(0)
	s_delay_alu instid0(VALU_DEP_1)
	v_mul_f32_e32 v74, 0x3fb8aa3b, v74
	v_exp_f32_e32 v95, v95
	s_barrier
	buffer_gl0_inv
	v_fmac_f32_e32 v76, v101, v70
	v_sub_f32_e32 v70, v96, v75
	v_exp_f32_e32 v96, v74
	s_delay_alu instid0(VALU_DEP_2) | instskip(NEXT) | instid1(VALU_DEP_2)
	v_fmac_f32_e32 v76, v100, v71
	v_mul_f32_e32 v70, 0x3fb8aa3b, v70
	s_delay_alu instid0(VALU_DEP_2) | instskip(NEXT) | instid1(VALU_DEP_2)
	v_dual_cndmask_b32 v71, v99, v102 :: v_dual_fmac_f32 v76, v97, v72
	v_exp_f32_e32 v98, v70
	s_delay_alu instid0(VALU_DEP_1) | instskip(SKIP_2) | instid1(VALU_DEP_1)
	v_fmac_f32_e32 v76, v95, v73
	s_waitcnt_depctr 0xfff
	v_fmac_f32_e32 v76, v96, v93
	v_fmac_f32_e32 v76, v98, v94
	s_delay_alu instid0(VALU_DEP_1) | instskip(NEXT) | instid1(VALU_DEP_1)
	v_add_f32_e32 v93, 0x358637bd, v76
	v_div_scale_f32 v94, null, v93, v93, 1.0
	v_div_scale_f32 v99, vcc_lo, 1.0, v93, 1.0
	s_delay_alu instid0(VALU_DEP_2) | instskip(SKIP_2) | instid1(VALU_DEP_1)
	v_rcp_f32_e32 v103, v94
	s_waitcnt_depctr 0xfff
	v_fma_f32 v70, -v94, v103, 1.0
	v_fmac_f32_e32 v103, v70, v103
	v_cndmask_b32_e64 v70, v71, v101, s2
	v_cmp_eq_u32_e64 s2, 4, v69
	v_lshlrev_b32_e32 v71, 2, v66
	s_delay_alu instid0(VALU_DEP_4) | instskip(NEXT) | instid1(VALU_DEP_4)
	v_mul_f32_e32 v101, v99, v103
	v_cndmask_b32_e64 v72, v70, v100, s3
	v_cmp_eq_u32_e64 s3, 6, v69
	v_lshl_or_b32 v70, v69, 11, v68
	v_or_b32_e32 v74, 1, v71
	v_fma_f32 v73, -v94, v101, v99
	v_cndmask_b32_e64 v72, v72, v97, s2
	v_cmp_eq_u32_e64 s2, 1, v71
	v_lshl_or_b32 v69, v66, 4, v70
	v_cmp_eq_u32_e64 s8, 1, v74
	v_fmac_f32_e32 v101, v73, v103
	v_cndmask_b32_e64 v95, v72, v95, s4
	v_or_b32_e32 v72, 2, v71
	v_or_b32_e32 v73, 3, v71
	v_cmp_eq_u32_e64 s11, 2, v74
	v_fma_f32 v94, -v94, v101, v99
	v_cndmask_b32_e64 v95, v95, v96, s3
	v_cmp_eq_u32_e64 s9, 1, v72
	v_cmp_eq_u32_e64 s10, 1, v73
	;; [unrolled: 1-line block ×3, first 2 shown]
	v_div_fmas_f32 v94, v94, v103, v101
	v_cndmask_b32_e64 v95, v95, v98, s5
	v_cmp_eq_u32_e32 vcc_lo, 2, v71
	v_cmp_eq_u32_e64 s15, 2, v73
	v_cmp_eq_u32_e64 s17, 3, v73
	v_div_fixup_f32 v93, v94, v93, 1.0
	v_cmp_eq_u32_e64 s3, 3, v71
	v_cmp_eq_u32_e64 s12, 3, v74
	;; [unrolled: 1-line block ×4, first 2 shown]
	v_mul_f32_e32 v101, v95, v93
	v_cmp_eq_u32_e64 s4, 4, v71
	v_cmp_eq_u32_e64 s18, 4, v74
	;; [unrolled: 1-line block ×4, first 2 shown]
	v_fma_mixlo_f16 v93, v101, v78, 0
	v_fma_mixlo_f16 v94, v101, v80, 0
	;; [unrolled: 1-line block ×8, first 2 shown]
	v_fma_mixhi_f16 v93, v101, v77, 0
	v_fma_mixhi_f16 v94, v101, v79, 0
	;; [unrolled: 1-line block ×8, first 2 shown]
	ds_store_b128 v69, v[93:96]
	ds_store_b128 v69, v[97:100] offset:1024
	s_waitcnt lgkmcnt(0)
	s_barrier
	buffer_gl0_inv
	ds_load_b128 v[77:80], v70
	ds_load_b128 v[81:84], v70 offset:16
	ds_load_b128 v[85:88], v70 offset:1024
	;; [unrolled: 1-line block ×3, first 2 shown]
	v_cmp_eq_u32_e64 s5, 5, v71
	v_cmp_eq_u32_e64 s19, 5, v74
	;; [unrolled: 1-line block ×11, first 2 shown]
	s_waitcnt lgkmcnt(3)
	v_lshrrev_b32_e32 v93, 16, v77
	s_waitcnt lgkmcnt(2)
	v_lshrrev_b32_e32 v97, 16, v81
	;; [unrolled: 2-line block ×4, first 2 shown]
	v_lshrrev_b32_e32 v94, 16, v78
	v_cndmask_b32_e64 v109, v77, v93, s2
	v_cndmask_b32_e64 v110, v81, v97, s2
	;; [unrolled: 1-line block ×8, first 2 shown]
	v_lshrrev_b32_e32 v98, 16, v82
	v_cndmask_b32_e64 v93, v85, v101, s2
	v_cndmask_b32_e64 v97, v89, v105, s2
	;; [unrolled: 1-line block ×5, first 2 shown]
	v_cndmask_b32_e32 v101, v109, v78, vcc_lo
	v_cndmask_b32_e64 v109, v111, v78, s11
	v_cndmask_b32_e64 v111, v113, v78, s13
	;; [unrolled: 1-line block ×4, first 2 shown]
	v_lshrrev_b32_e32 v102, 16, v86
	v_lshrrev_b32_e32 v106, 16, v90
	v_cndmask_b32_e64 v116, v89, v105, s8
	v_cndmask_b32_e64 v118, v89, v105, s9
	;; [unrolled: 1-line block ×3, first 2 shown]
	v_cndmask_b32_e32 v105, v110, v82, vcc_lo
	v_cndmask_b32_e64 v110, v112, v82, s11
	v_cndmask_b32_e64 v112, v114, v82, s13
	v_cndmask_b32_e32 v81, v93, v86, vcc_lo
	v_cndmask_b32_e32 v82, v97, v90, vcc_lo
	v_cndmask_b32_e64 v93, v115, v86, s11
	v_cndmask_b32_e64 v77, v77, v94, s17
	;; [unrolled: 1-line block ×3, first 2 shown]
	v_lshrrev_b32_e32 v95, 16, v79
	v_lshrrev_b32_e32 v99, 16, v83
	v_cndmask_b32_e64 v97, v117, v86, s13
	v_cndmask_b32_e64 v85, v85, v86, s15
	;; [unrolled: 1-line block ×14, first 2 shown]
	v_lshrrev_b32_e32 v103, 16, v87
	v_cndmask_b32_e64 v89, v89, v79, s4
	v_cndmask_b32_e64 v94, v101, v83, s4
	;; [unrolled: 1-line block ×11, first 2 shown]
	v_lshrrev_b32_e32 v96, 16, v80
	v_lshrrev_b32_e32 v100, 16, v84
	v_cndmask_b32_e64 v83, v89, v95, s5
	v_cndmask_b32_e64 v89, v94, v99, s5
	;; [unrolled: 1-line block ×9, first 2 shown]
	v_lshrrev_b32_e32 v104, 16, v88
	v_cndmask_b32_e64 v79, v79, v103, s5
	v_cndmask_b32_e64 v83, v83, v80, s6
	;; [unrolled: 1-line block ×19, first 2 shown]
	v_perm_b32 v80, v78, v77, 0x5040100
	v_cndmask_b32_e64 v77, v116, v90, s11
	v_cndmask_b32_e64 v95, v79, v104, s7
	v_perm_b32 v79, v93, v89, 0x5040100
	v_perm_b32 v78, v94, v84, 0x5040100
	v_cndmask_b32_e64 v84, v97, v102, s16
	v_cndmask_b32_e64 v85, v85, v102, s17
	v_cndmask_b32_e64 v86, v86, v106, s17
	v_cndmask_b32_e64 v89, v113, v106, s16
	v_cndmask_b32_e64 v77, v77, v106, s12
	v_lshrrev_b32_e32 v107, 16, v91
	v_cndmask_b32_e64 v84, v84, v87, s20
	v_cndmask_b32_e64 v85, v85, v87, s21
	;; [unrolled: 1-line block ×11, first 2 shown]
	v_lshrrev_b32_e32 v108, 16, v92
	v_cndmask_b32_e64 v81, v81, v92, s6
	v_cndmask_b32_e64 v84, v84, v88, s25
	;; [unrolled: 1-line block ×12, first 2 shown]
	v_perm_b32 v77, v83, v82, 0x5040100
	v_perm_b32 v84, v85, v84, 0x5040100
	;; [unrolled: 1-line block ×5, first 2 shown]
	s_lshl_b32 s7, s33, 4
	s_mov_b32 s2, exec_lo
	ds_store_b128 v69, v[77:80]
	ds_store_b128 v69, v[81:84] offset:1024
	v_cmpx_gt_u32_e32 16, v0
	s_cbranch_execz .LBB945_14
; %bb.13:
	v_or_b32_e32 v77, s31, v0
	s_load_b128 s[8:11], s[0:1], 0x58
	s_delay_alu instid0(VALU_DEP_1) | instskip(NEXT) | instid1(VALU_DEP_1)
	v_mad_u64_u32 v[78:79], null, s7, s30, v[77:78]
	v_mad_u64_u32 v[79:80], null, v78, s34, s[14:15]
	s_delay_alu instid0(VALU_DEP_1) | instskip(NEXT) | instid1(VALU_DEP_1)
	v_ashrrev_i32_e32 v80, 31, v79
	v_lshlrev_b64 v[77:78], 2, v[79:80]
	s_waitcnt lgkmcnt(0)
	s_delay_alu instid0(VALU_DEP_1) | instskip(NEXT) | instid1(VALU_DEP_2)
	v_add_co_u32 v79, vcc_lo, s10, v77
	v_add_co_ci_u32_e32 v80, vcc_lo, s11, v78, vcc_lo
	v_add_co_u32 v77, vcc_lo, s8, v77
	v_add_co_ci_u32_e32 v78, vcc_lo, s9, v78, vcc_lo
	global_store_b32 v[79:80], v75, off
	global_store_b32 v[77:78], v76, off
.LBB945_14:
	s_or_b32 exec_lo, exec_lo, s2
	s_waitcnt lgkmcnt(0)
	s_waitcnt_vscnt null, 0x0
	s_barrier
	buffer_gl0_inv
	ds_load_b128 v[83:86], v68
	ds_load_b128 v[87:90], v68 offset:16
	ds_load_b128 v[95:98], v68 offset:2064
	;; [unrolled: 1-line block ×5, first 2 shown]
	v_cmp_eq_u32_e32 vcc_lo, 1, v71
	v_mov_b32_e32 v75, 0
	ds_load_b128 v[111:114], v68 offset:6160
	ds_load_b128 v[107:110], v68 offset:6144
	;; [unrolled: 1-line block ×4, first 2 shown]
	v_cmp_eq_u32_e64 s3, 1, v72
	v_cmp_eq_u32_e64 s2, 1, v74
	;; [unrolled: 1-line block ×3, first 2 shown]
	v_mov_b32_e32 v76, v75
	v_mov_b32_e32 v77, v75
	;; [unrolled: 1-line block ×7, first 2 shown]
	v_cmp_eq_u32_e64 s5, 3, v74
	v_cmp_eq_u32_e64 s6, 7, v74
	s_waitcnt lgkmcnt(8)
	s_delay_alu instid0(VALU_DEP_3)
	v_wmma_f32_16x16x16_f16 v[75:82], v[49:56], v[83:90], v[75:82]
	ds_load_b128 v[53:56], v68 offset:10256
	ds_load_b128 v[49:52], v68 offset:10240
	s_waitcnt lgkmcnt(8)
	v_wmma_f32_16x16x16_f16 v[75:82], v[41:48], v[91:98], v[75:82]
	ds_load_b128 v[45:48], v68 offset:12304
	ds_load_b128 v[41:44], v68 offset:12288
	s_waitcnt lgkmcnt(8)
	;; [unrolled: 4-line block ×3, first 2 shown]
	s_barrier
	buffer_gl0_inv
	v_wmma_f32_16x16x16_f16 v[75:82], v[1:8], v[107:114], v[75:82]
	s_delay_alu instid0(VALU_DEP_1) | instskip(NEXT) | instid1(VALU_DEP_1)
	v_wmma_f32_16x16x16_f16 v[75:82], v[9:16], v[115:122], v[75:82]
	v_wmma_f32_16x16x16_f16 v[75:82], v[17:24], v[49:56], v[75:82]
	s_delay_alu instid0(VALU_DEP_1) | instskip(NEXT) | instid1(VALU_DEP_1)
	v_wmma_f32_16x16x16_f16 v[75:82], v[25:32], v[41:48], v[75:82]
	v_wmma_f32_16x16x16_f16 v[75:82], v[57:64], v[33:40], v[75:82]
	s_delay_alu instid0(VALU_DEP_1) | instskip(NEXT) | instid1(VALU_DEP_2)
	v_cvt_f16_f32_e32 v1, v75
	v_cvt_f16_f32_e32 v2, v76
	s_delay_alu instid0(VALU_DEP_3) | instskip(NEXT) | instid1(VALU_DEP_4)
	v_cvt_f16_f32_e32 v3, v77
	v_cvt_f16_f32_e32 v4, v78
	;; [unrolled: 1-line block ×6, first 2 shown]
	v_pack_b32_f16 v1, v1, v2
	v_pack_b32_f16 v2, v3, v4
	;; [unrolled: 1-line block ×3, first 2 shown]
	s_delay_alu instid0(VALU_DEP_4)
	v_pack_b32_f16 v4, v7, v8
	ds_store_b128 v69, v[1:4]
	s_waitcnt lgkmcnt(0)
	s_barrier
	buffer_gl0_inv
	ds_load_b128 v[1:4], v70
	ds_load_b128 v[5:8], v70 offset:16
	s_waitcnt lgkmcnt(1)
	v_lshrrev_b32_e32 v9, 16, v1
	s_waitcnt lgkmcnt(0)
	v_lshrrev_b32_e32 v13, 16, v5
	v_lshrrev_b32_e32 v10, 16, v2
	;; [unrolled: 1-line block ×4, first 2 shown]
	v_cndmask_b32_e32 v17, v1, v9, vcc_lo
	v_cndmask_b32_e32 v18, v5, v13, vcc_lo
	v_cndmask_b32_e64 v21, v1, v9, s3
	v_cmp_eq_u32_e32 vcc_lo, 1, v73
	v_cndmask_b32_e64 v22, v5, v13, s3
	v_cmp_eq_u32_e64 s3, 2, v71
	v_cndmask_b32_e64 v19, v1, v9, s2
	v_cndmask_b32_e64 v20, v5, v13, s2
	v_cndmask_b32_e32 v1, v1, v9, vcc_lo
	v_cmp_eq_u32_e64 s2, 2, v73
	v_cndmask_b32_e32 v5, v5, v13, vcc_lo
	v_cndmask_b32_e64 v9, v17, v2, s3
	v_cmp_eq_u32_e32 vcc_lo, 3, v71
	v_cndmask_b32_e64 v13, v18, v6, s3
	v_cmp_eq_u32_e64 s3, 2, v72
	v_cndmask_b32_e64 v17, v19, v2, s4
	v_cndmask_b32_e64 v18, v20, v6, s4
	v_cmp_eq_u32_e64 s4, 3, v72
	v_cndmask_b32_e64 v1, v1, v2, s2
	v_cndmask_b32_e64 v19, v21, v2, s3
	v_cndmask_b32_e64 v20, v22, v6, s3
	v_cndmask_b32_e64 v2, v5, v6, s2
	v_cndmask_b32_e32 v5, v9, v10, vcc_lo
	v_cndmask_b32_e32 v6, v13, v14, vcc_lo
	v_cmp_eq_u32_e32 vcc_lo, 3, v73
	v_cndmask_b32_e64 v9, v17, v10, s5
	v_cndmask_b32_e64 v13, v18, v14, s5
	;; [unrolled: 1-line block ×3, first 2 shown]
	v_cmp_eq_u32_e64 s3, 4, v71
	v_cndmask_b32_e32 v1, v1, v10, vcc_lo
	v_cndmask_b32_e32 v2, v2, v14, vcc_lo
	v_cmp_eq_u32_e32 vcc_lo, 4, v74
	v_lshrrev_b32_e32 v15, 16, v7
	v_lshrrev_b32_e32 v16, 16, v8
	v_cndmask_b32_e64 v17, v19, v10, s4
	v_cmp_eq_u32_e64 s2, 4, v73
	v_cndmask_b32_e64 v5, v5, v3, s3
	v_cndmask_b32_e64 v6, v6, v7, s3
	v_cndmask_b32_e32 v9, v9, v3, vcc_lo
	v_cmp_eq_u32_e64 s3, 5, v74
	v_cndmask_b32_e32 v10, v13, v7, vcc_lo
	v_cmp_eq_u32_e32 vcc_lo, 4, v72
	v_cmp_eq_u32_e64 s4, 5, v71
	v_cndmask_b32_e64 v2, v2, v7, s2
	v_cndmask_b32_e64 v9, v9, v11, s3
	;; [unrolled: 1-line block ×3, first 2 shown]
	v_cndmask_b32_e32 v13, v17, v3, vcc_lo
	v_cmp_eq_u32_e64 s3, 5, v72
	v_cndmask_b32_e32 v14, v18, v7, vcc_lo
	v_cndmask_b32_e64 v1, v1, v3, s2
	v_cmp_eq_u32_e32 vcc_lo, 5, v73
	v_lshrrev_b32_e32 v12, 16, v4
	v_cndmask_b32_e64 v13, v13, v11, s3
	v_cndmask_b32_e64 v3, v14, v15, s3
	v_cmp_eq_u32_e64 s3, 6, v73
	v_cndmask_b32_e32 v1, v1, v11, vcc_lo
	v_cndmask_b32_e64 v5, v5, v11, s4
	v_cmp_eq_u32_e64 s5, 6, v71
	v_cndmask_b32_e64 v6, v6, v15, s4
	v_cmp_eq_u32_e64 s4, 6, v74
	v_cmp_eq_u32_e64 s2, 6, v72
	v_cndmask_b32_e64 v1, v1, v4, s3
	v_cndmask_b32_e32 v2, v2, v15, vcc_lo
	v_cmp_eq_u32_e32 vcc_lo, 7, v73
	v_cndmask_b32_e64 v5, v5, v4, s5
	v_cndmask_b32_e64 v9, v9, v4, s4
	;; [unrolled: 1-line block ×3, first 2 shown]
	v_cmp_eq_u32_e64 s5, 7, v71
	v_cndmask_b32_e32 v1, v1, v12, vcc_lo
	v_cndmask_b32_e64 v7, v13, v4, s2
	v_cndmask_b32_e64 v3, v3, v8, s2
	;; [unrolled: 1-line block ×3, first 2 shown]
	v_cmp_eq_u32_e64 s2, 7, v72
	v_cndmask_b32_e64 v4, v10, v8, s4
	v_cndmask_b32_e64 v5, v5, v12, s5
	;; [unrolled: 1-line block ×3, first 2 shown]
	v_cndmask_b32_e32 v2, v2, v16, vcc_lo
	v_cndmask_b32_e64 v7, v7, v12, s2
	v_cndmask_b32_e64 v3, v3, v16, s2
	;; [unrolled: 1-line block ×4, first 2 shown]
	v_perm_b32 v4, v2, v1, 0x5040100
	s_mov_b32 s2, exec_lo
	v_perm_b32 v3, v3, v7, 0x5040100
	v_perm_b32 v2, v8, v9, 0x5040100
	;; [unrolled: 1-line block ×3, first 2 shown]
	ds_store_b128 v69, v[1:4]
	s_waitcnt lgkmcnt(0)
	s_barrier
	buffer_gl0_inv
	v_cmpx_gt_u32_e32 32, v0
	s_cbranch_execz .LBB945_2
; %bb.15:
	s_load_b64 s[0:1], s[0:1], 0x68
	v_lshlrev_b32_e32 v0, 10, v0
	s_lshl_b32 s4, s34, 7
	v_or_b32_e32 v23, s31, v66
	s_mul_i32 s2, s4, s30
	v_lshlrev_b32_e32 v1, 4, v67
	v_lshlrev_b32_e32 v2, 6, v66
	s_mul_i32 s2, s2, s7
	v_and_b32_e32 v0, 0x3800, v0
	v_mul_lo_u32 v8, v23, s4
	s_ashr_i32 s3, s2, 31
	v_or_b32_e32 v3, 2, v23
	s_lshl_b64 s[2:3], s[2:3], 1
	v_or3_b32 v27, v0, v1, v2
	v_or_b32_e32 v11, 4, v23
	v_or_b32_e32 v18, 6, v23
	v_mul_lo_u32 v10, v3, s4
	v_ashrrev_i32_e32 v9, 31, v8
	ds_load_b128 v[0:3], v27
	ds_load_b128 v[4:7], v27 offset:128
	v_mul_lo_u32 v12, v11, s4
	s_waitcnt lgkmcnt(0)
	s_add_u32 s2, s0, s2
	s_addc_u32 s3, s1, s3
	s_lshl_b32 s0, s14, 7
	v_lshlrev_b64 v[8:9], 1, v[8:9]
	s_ashr_i32 s1, s0, 31
	v_ashrrev_i32_e32 v11, 31, v10
	s_lshl_b64 s[0:1], s[0:1], 1
	v_ashrrev_i32_e32 v13, 31, v12
	s_add_u32 s0, s2, s0
	s_addc_u32 s1, s3, s1
	v_add_co_u32 v30, s0, s0, v65
	s_delay_alu instid0(VALU_DEP_1) | instskip(SKIP_1) | instid1(VALU_DEP_3)
	v_add_co_ci_u32_e64 v31, null, s1, 0, s0
	v_lshlrev_b64 v[16:17], 1, v[10:11]
	v_add_co_u32 v14, vcc_lo, v30, v8
	s_delay_alu instid0(VALU_DEP_3)
	v_add_co_ci_u32_e32 v15, vcc_lo, v31, v9, vcc_lo
	ds_load_b128 v[8:11], v27 offset:256
	v_mul_lo_u32 v18, v18, s4
	v_or_b32_e32 v19, 8, v23
	v_add_co_u32 v16, vcc_lo, v30, v16
	global_store_b128 v[14:15], v[0:3], off
	v_lshlrev_b64 v[0:1], 1, v[12:13]
	v_add_co_ci_u32_e32 v17, vcc_lo, v31, v17, vcc_lo
	v_mul_lo_u32 v12, v19, s4
	v_ashrrev_i32_e32 v19, 31, v18
	v_or_b32_e32 v14, 10, v23
	global_store_b128 v[16:17], v[4:7], off
	v_add_co_u32 v4, vcc_lo, v30, v0
	v_add_co_ci_u32_e32 v5, vcc_lo, v31, v1, vcc_lo
	ds_load_b128 v[0:3], v27 offset:384
	v_ashrrev_i32_e32 v13, 31, v12
	v_lshlrev_b64 v[6:7], 1, v[18:19]
	v_mul_lo_u32 v14, v14, s4
	s_waitcnt lgkmcnt(1)
	global_store_b128 v[4:5], v[8:11], off
	v_or_b32_e32 v8, 12, v23
	v_lshlrev_b64 v[4:5], 1, v[12:13]
	v_add_co_u32 v20, vcc_lo, v30, v6
	v_or_b32_e32 v6, 14, v23
	v_ashrrev_i32_e32 v15, 31, v14
	v_mul_lo_u32 v22, v8, s4
	v_add_co_ci_u32_e32 v21, vcc_lo, v31, v7, vcc_lo
	v_add_co_u32 v24, vcc_lo, v30, v4
	v_mul_lo_u32 v26, v6, s4
	v_add_co_ci_u32_e32 v25, vcc_lo, v31, v5, vcc_lo
	v_lshlrev_b64 v[28:29], 1, v[14:15]
	ds_load_b128 v[4:7], v27 offset:512
	ds_load_b128 v[8:11], v27 offset:640
	;; [unrolled: 1-line block ×4, first 2 shown]
	v_ashrrev_i32_e32 v23, 31, v22
	v_ashrrev_i32_e32 v27, 31, v26
	v_add_co_u32 v28, vcc_lo, v30, v28
	s_delay_alu instid0(VALU_DEP_3) | instskip(SKIP_1) | instid1(VALU_DEP_4)
	v_lshlrev_b64 v[22:23], 1, v[22:23]
	v_add_co_ci_u32_e32 v29, vcc_lo, v31, v29, vcc_lo
	v_lshlrev_b64 v[26:27], 1, v[26:27]
	s_delay_alu instid0(VALU_DEP_3) | instskip(NEXT) | instid1(VALU_DEP_4)
	v_add_co_u32 v22, vcc_lo, v30, v22
	v_add_co_ci_u32_e32 v23, vcc_lo, v31, v23, vcc_lo
	s_delay_alu instid0(VALU_DEP_3) | instskip(NEXT) | instid1(VALU_DEP_4)
	v_add_co_u32 v26, vcc_lo, v30, v26
	v_add_co_ci_u32_e32 v27, vcc_lo, v31, v27, vcc_lo
	s_waitcnt lgkmcnt(4)
	global_store_b128 v[20:21], v[0:3], off
	s_waitcnt lgkmcnt(3)
	global_store_b128 v[24:25], v[4:7], off
	s_waitcnt lgkmcnt(2)
	global_store_b128 v[28:29], v[8:11], off
	s_waitcnt lgkmcnt(1)
	global_store_b128 v[22:23], v[12:15], off
	s_waitcnt lgkmcnt(0)
	global_store_b128 v[26:27], v[16:19], off
	s_nop 0
	s_sendmsg sendmsg(MSG_DEALLOC_VGPRS)
	s_endpgm
	.section	.rodata,"a",@progbits
	.p2align	6, 0x0
	.amdhsa_kernel _Z39paged_attention_ll4mi_QKV_mfma16_kernelIDF16_hLN4vllm18Fp8KVCacheDataTypeE1EhLi16ELi128ELi256ELb1ELi16EL8MFMAType1EEvPKT_PKT0_S8_ifPKiSA_SA_iPKfiiiPfSD_PS3_PT2_iSC_SC_
		.amdhsa_group_segment_fixed_size 17472
		.amdhsa_private_segment_fixed_size 0
		.amdhsa_kernarg_size 400
		.amdhsa_user_sgpr_count 13
		.amdhsa_user_sgpr_dispatch_ptr 0
		.amdhsa_user_sgpr_queue_ptr 0
		.amdhsa_user_sgpr_kernarg_segment_ptr 1
		.amdhsa_user_sgpr_dispatch_id 0
		.amdhsa_user_sgpr_private_segment_size 0
		.amdhsa_wavefront_size32 1
		.amdhsa_uses_dynamic_stack 0
		.amdhsa_enable_private_segment 0
		.amdhsa_system_sgpr_workgroup_id_x 1
		.amdhsa_system_sgpr_workgroup_id_y 1
		.amdhsa_system_sgpr_workgroup_id_z 1
		.amdhsa_system_sgpr_workgroup_info 0
		.amdhsa_system_vgpr_workitem_id 0
		.amdhsa_next_free_vgpr 140
		.amdhsa_next_free_sgpr 35
		.amdhsa_reserve_vcc 1
		.amdhsa_float_round_mode_32 0
		.amdhsa_float_round_mode_16_64 0
		.amdhsa_float_denorm_mode_32 3
		.amdhsa_float_denorm_mode_16_64 3
		.amdhsa_dx10_clamp 1
		.amdhsa_ieee_mode 1
		.amdhsa_fp16_overflow 0
		.amdhsa_workgroup_processor_mode 1
		.amdhsa_memory_ordered 1
		.amdhsa_forward_progress 0
		.amdhsa_shared_vgpr_count 0
		.amdhsa_exception_fp_ieee_invalid_op 0
		.amdhsa_exception_fp_denorm_src 0
		.amdhsa_exception_fp_ieee_div_zero 0
		.amdhsa_exception_fp_ieee_overflow 0
		.amdhsa_exception_fp_ieee_underflow 0
		.amdhsa_exception_fp_ieee_inexact 0
		.amdhsa_exception_int_div_zero 0
	.end_amdhsa_kernel
	.section	.text._Z39paged_attention_ll4mi_QKV_mfma16_kernelIDF16_hLN4vllm18Fp8KVCacheDataTypeE1EhLi16ELi128ELi256ELb1ELi16EL8MFMAType1EEvPKT_PKT0_S8_ifPKiSA_SA_iPKfiiiPfSD_PS3_PT2_iSC_SC_,"axG",@progbits,_Z39paged_attention_ll4mi_QKV_mfma16_kernelIDF16_hLN4vllm18Fp8KVCacheDataTypeE1EhLi16ELi128ELi256ELb1ELi16EL8MFMAType1EEvPKT_PKT0_S8_ifPKiSA_SA_iPKfiiiPfSD_PS3_PT2_iSC_SC_,comdat
.Lfunc_end945:
	.size	_Z39paged_attention_ll4mi_QKV_mfma16_kernelIDF16_hLN4vllm18Fp8KVCacheDataTypeE1EhLi16ELi128ELi256ELb1ELi16EL8MFMAType1EEvPKT_PKT0_S8_ifPKiSA_SA_iPKfiiiPfSD_PS3_PT2_iSC_SC_, .Lfunc_end945-_Z39paged_attention_ll4mi_QKV_mfma16_kernelIDF16_hLN4vllm18Fp8KVCacheDataTypeE1EhLi16ELi128ELi256ELb1ELi16EL8MFMAType1EEvPKT_PKT0_S8_ifPKiSA_SA_iPKfiiiPfSD_PS3_PT2_iSC_SC_
                                        ; -- End function
	.section	.AMDGPU.csdata,"",@progbits
; Kernel info:
; codeLenInByte = 6832
; NumSgprs: 37
; NumVgprs: 140
; ScratchSize: 0
; MemoryBound: 0
; FloatMode: 240
; IeeeMode: 1
; LDSByteSize: 17472 bytes/workgroup (compile time only)
; SGPRBlocks: 4
; VGPRBlocks: 17
; NumSGPRsForWavesPerEU: 37
; NumVGPRsForWavesPerEU: 140
; Occupancy: 10
; WaveLimiterHint : 1
; COMPUTE_PGM_RSRC2:SCRATCH_EN: 0
; COMPUTE_PGM_RSRC2:USER_SGPR: 13
; COMPUTE_PGM_RSRC2:TRAP_HANDLER: 0
; COMPUTE_PGM_RSRC2:TGID_X_EN: 1
; COMPUTE_PGM_RSRC2:TGID_Y_EN: 1
; COMPUTE_PGM_RSRC2:TGID_Z_EN: 1
; COMPUTE_PGM_RSRC2:TIDIG_COMP_CNT: 0
	.section	.text._Z39paged_attention_ll4mi_QKV_mfma16_kernelIDF16_hLN4vllm18Fp8KVCacheDataTypeE1EhLi16ELi128ELi256ELb1ELi1EL8MFMAType1EEvPKT_PKT0_S8_ifPKiSA_SA_iPKfiiiPfSD_PS3_PT2_iSC_SC_,"axG",@progbits,_Z39paged_attention_ll4mi_QKV_mfma16_kernelIDF16_hLN4vllm18Fp8KVCacheDataTypeE1EhLi16ELi128ELi256ELb1ELi1EL8MFMAType1EEvPKT_PKT0_S8_ifPKiSA_SA_iPKfiiiPfSD_PS3_PT2_iSC_SC_,comdat
	.protected	_Z39paged_attention_ll4mi_QKV_mfma16_kernelIDF16_hLN4vllm18Fp8KVCacheDataTypeE1EhLi16ELi128ELi256ELb1ELi1EL8MFMAType1EEvPKT_PKT0_S8_ifPKiSA_SA_iPKfiiiPfSD_PS3_PT2_iSC_SC_ ; -- Begin function _Z39paged_attention_ll4mi_QKV_mfma16_kernelIDF16_hLN4vllm18Fp8KVCacheDataTypeE1EhLi16ELi128ELi256ELb1ELi1EL8MFMAType1EEvPKT_PKT0_S8_ifPKiSA_SA_iPKfiiiPfSD_PS3_PT2_iSC_SC_
	.globl	_Z39paged_attention_ll4mi_QKV_mfma16_kernelIDF16_hLN4vllm18Fp8KVCacheDataTypeE1EhLi16ELi128ELi256ELb1ELi1EL8MFMAType1EEvPKT_PKT0_S8_ifPKiSA_SA_iPKfiiiPfSD_PS3_PT2_iSC_SC_
	.p2align	8
	.type	_Z39paged_attention_ll4mi_QKV_mfma16_kernelIDF16_hLN4vllm18Fp8KVCacheDataTypeE1EhLi16ELi128ELi256ELb1ELi1EL8MFMAType1EEvPKT_PKT0_S8_ifPKiSA_SA_iPKfiiiPfSD_PS3_PT2_iSC_SC_,@function
_Z39paged_attention_ll4mi_QKV_mfma16_kernelIDF16_hLN4vllm18Fp8KVCacheDataTypeE1EhLi16ELi128ELi256ELb1ELi1EL8MFMAType1EEvPKT_PKT0_S8_ifPKiSA_SA_iPKfiiiPfSD_PS3_PT2_iSC_SC_: ; @_Z39paged_attention_ll4mi_QKV_mfma16_kernelIDF16_hLN4vllm18Fp8KVCacheDataTypeE1EhLi16ELi128ELi256ELb1ELi1EL8MFMAType1EEvPKT_PKT0_S8_ifPKiSA_SA_iPKfiiiPfSD_PS3_PT2_iSC_SC_
; %bb.0:
	s_load_b64 s[4:5], s[0:1], 0x30
	s_mov_b32 s34, s13
	s_waitcnt lgkmcnt(0)
	s_cmp_lg_u64 s[4:5], 0
	s_cselect_b32 s6, -1, 0
	s_ashr_i32 s35, s13, 31
	s_cmp_eq_u64 s[4:5], 0
	s_cbranch_scc1 .LBB946_3
; %bb.1:
	s_lshl_b64 s[2:3], s[34:35], 2
	s_delay_alu instid0(SALU_CYCLE_1) | instskip(SKIP_4) | instid1(SALU_CYCLE_1)
	s_add_u32 s2, s4, s2
	s_addc_u32 s3, s5, s3
	s_load_b64 s[2:3], s[2:3], 0x0
	s_waitcnt lgkmcnt(0)
	s_sub_i32 s2, s3, s2
	s_cmp_eq_u32 s2, 1
	s_cselect_b32 s2, -1, 0
	s_delay_alu instid0(SALU_CYCLE_1)
	s_and_not1_b32 vcc_lo, exec_lo, s2
	s_cbranch_vccz .LBB946_4
.LBB946_2:
	s_endpgm
.LBB946_3:
.LBB946_4:
	s_load_b64 s[2:3], s[0:1], 0x28
	s_lshl_b64 s[8:9], s[34:35], 2
	s_waitcnt lgkmcnt(0)
	s_add_u32 s2, s2, s8
	s_addc_u32 s3, s3, s9
	s_lshl_b32 s12, s14, 8
	s_load_b32 s33, s[2:3], 0x0
	s_waitcnt lgkmcnt(0)
	s_cmp_ge_i32 s12, s33
	s_cbranch_scc1 .LBB946_2
; %bb.5:
	s_clause 0x1
	s_load_b128 s[56:59], s[0:1], 0x8
	s_load_b64 s[2:3], s[0:1], 0x20
	s_and_not1_b32 vcc_lo, exec_lo, s6
	s_mov_b64 s[6:7], s[34:35]
	s_cbranch_vccnz .LBB946_7
; %bb.6:
	s_add_u32 s4, s4, s8
	s_addc_u32 s5, s5, s9
	s_load_b32 s6, s[4:5], 0x0
.LBB946_7:
	s_load_b128 s[52:55], s[0:1], 0x48
	v_and_b32_e32 v65, 15, v0
	s_mov_b32 s13, exec_lo
                                        ; implicit-def: $sgpr36
                                        ; implicit-def: $sgpr24
                                        ; implicit-def: $sgpr16
                                        ; implicit-def: $sgpr4
	s_delay_alu instid0(VALU_DEP_1)
	v_cmpx_eq_u32_e32 0, v65
	s_cbranch_execz .LBB946_9
; %bb.8:
	s_load_b64 s[4:5], s[0:1], 0x0
	s_waitcnt lgkmcnt(0)
	s_mul_hi_i32 s7, s6, s52
	s_mul_i32 s6, s6, s52
	s_delay_alu instid0(SALU_CYCLE_1) | instskip(NEXT) | instid1(SALU_CYCLE_1)
	s_lshl_b64 s[6:7], s[6:7], 1
	s_add_u32 s6, s4, s6
	s_addc_u32 s7, s5, s7
	s_lshl_b32 s4, s15, 7
	s_delay_alu instid0(SALU_CYCLE_1) | instskip(NEXT) | instid1(SALU_CYCLE_1)
	s_ashr_i32 s5, s4, 31
	s_lshl_b64 s[4:5], s[4:5], 1
	s_delay_alu instid0(SALU_CYCLE_1)
	s_add_u32 s4, s6, s4
	s_addc_u32 s5, s7, s5
	s_clause 0x3
	s_load_b256 s[36:43], s[4:5], 0x0
	s_load_b256 s[24:31], s[4:5], 0x40
	s_load_b256 s[16:23], s[4:5], 0x80
	s_load_b256 s[4:11], s[4:5], 0xc0
.LBB946_9:
	s_or_b32 exec_lo, exec_lo, s13
	v_and_b32_e32 v1, 0xef, v0
	s_add_i32 s13, s33, 15
	s_load_b32 s44, s[0:1], 0x38
	s_ashr_i32 s35, s13, 31
	s_waitcnt lgkmcnt(0)
	s_mul_i32 s62, s15, s54
	v_add_nc_u32_e32 v1, s12, v1
	s_lshr_b32 s35, s35, 28
	v_dual_mov_b32 v105, s31 :: v_dual_mov_b32 v98, s24
	s_add_i32 s13, s13, s35
	s_delay_alu instid0(VALU_DEP_2)
	v_ashrrev_i32_e32 v2, 31, v1
	v_or_b32_e32 v3, 16, v1
	s_ashr_i32 s13, s13, 4
	v_cmp_gt_i32_e32 vcc_lo, s33, v1
	s_add_i32 s13, s13, -1
	v_lshrrev_b32_e32 v2, 28, v2
	s_load_b32 s35, s[0:1], 0x1c
	v_mov_b32_e32 v103, s29
	v_mov_b32_e32 v101, s27
	s_delay_alu instid0(VALU_DEP_3)
	v_dual_mov_b32 v99, s25 :: v_dual_add_nc_u32 v4, v1, v2
	v_lshlrev_b32_e32 v73, 4, v65
	s_mul_i32 s44, s34, s44
	v_lshrrev_b32_e32 v66, 5, v0
	s_ashr_i32 s45, s44, 31
	v_ashrrev_i32_e32 v4, 4, v4
	v_add_nc_u32_e32 v2, v3, v2
	s_lshl_b64 s[44:45], s[44:45], 2
	v_mov_b32_e32 v104, s30
	s_add_u32 s61, s2, s44
	v_cndmask_b32_e32 v1, s13, v4, vcc_lo
	v_ashrrev_i32_e32 v2, 4, v2
	v_cmp_gt_i32_e32 vcc_lo, s33, v3
	s_addc_u32 s60, s3, s45
	s_ashr_i32 s63, s62, 31
	s_add_u32 s52, s56, s62
	s_addc_u32 s56, s57, s63
	v_cndmask_b32_e32 v3, s13, v2, vcc_lo
	v_ashrrev_i32_e32 v2, 31, v1
	s_lshl_b32 s2, s14, 4
	v_mov_b32_e32 v102, s28
	s_ashr_i32 s3, s2, 31
	v_ashrrev_i32_e32 v4, 31, v3
	v_lshlrev_b64 v[1:2], 2, v[1:2]
	s_lshl_b64 s[2:3], s[2:3], 2
	v_mov_b32_e32 v100, s26
	s_add_u32 s2, s61, s2
	v_lshlrev_b64 v[3:4], 2, v[3:4]
	s_addc_u32 s3, s60, s3
	v_add_co_u32 v1, vcc_lo, s61, v1
	v_add_co_ci_u32_e32 v2, vcc_lo, s60, v2, vcc_lo
	s_delay_alu instid0(VALU_DEP_3) | instskip(NEXT) | instid1(VALU_DEP_4)
	v_add_co_u32 v3, vcc_lo, s61, v3
	v_add_co_ci_u32_e32 v4, vcc_lo, s60, v4, vcc_lo
	s_clause 0x1
	global_load_b32 v5, v[1:2], off
	global_load_b32 v3, v[3:4], off
	s_or_b32 s44, s12, 32
	v_lshlrev_b32_e32 v1, 4, v0
	s_ashr_i32 s45, s44, 4
	s_cmp_lt_i32 s44, s33
	s_cselect_b32 s44, s45, s13
	s_delay_alu instid0(VALU_DEP_1) | instskip(SKIP_1) | instid1(SALU_CYCLE_1)
	v_and_b32_e32 v1, 0xf0, v1
	s_ashr_i32 s45, s44, 31
	s_lshl_b64 s[44:45], s[44:45], 2
	s_delay_alu instid0(SALU_CYCLE_1)
	s_add_u32 s44, s61, s44
	s_addc_u32 s45, s60, s45
	s_or_b32 s46, s12, 64
	v_add_co_u32 v1, s52, s52, v1
	s_ashr_i32 s47, s46, 4
	s_cmp_lt_i32 s46, s33
	v_add_co_ci_u32_e64 v2, null, s56, 0, s52
	s_cselect_b32 s46, s47, s13
	s_delay_alu instid0(SALU_CYCLE_1) | instskip(NEXT) | instid1(SALU_CYCLE_1)
	s_ashr_i32 s47, s46, 31
	s_lshl_b64 s[46:47], s[46:47], 2
	s_delay_alu instid0(SALU_CYCLE_1) | instskip(SKIP_2) | instid1(SALU_CYCLE_1)
	s_add_u32 s46, s61, s46
	s_addc_u32 s47, s60, s47
	s_or_b32 s48, s12, 0x60
	s_ashr_i32 s49, s48, 4
	s_cmp_lt_i32 s48, s33
	s_cselect_b32 s48, s49, s13
	s_delay_alu instid0(SALU_CYCLE_1) | instskip(NEXT) | instid1(SALU_CYCLE_1)
	s_ashr_i32 s49, s48, 31
	s_lshl_b64 s[48:49], s[48:49], 2
	s_delay_alu instid0(SALU_CYCLE_1) | instskip(SKIP_2) | instid1(SALU_CYCLE_1)
	s_add_u32 s48, s61, s48
	s_addc_u32 s49, s60, s49
	s_or_b32 s50, s12, 0x80
	s_ashr_i32 s51, s50, 4
	s_cmp_lt_i32 s50, s33
	;; [unrolled: 10-line block ×3, first 2 shown]
	s_cselect_b32 s54, s55, s13
	s_delay_alu instid0(SALU_CYCLE_1) | instskip(NEXT) | instid1(SALU_CYCLE_1)
	s_ashr_i32 s55, s54, 31
	s_lshl_b64 s[54:55], s[54:55], 2
	s_delay_alu instid0(SALU_CYCLE_1)
	s_add_u32 s64, s61, s54
	s_addc_u32 s65, s60, s55
	s_clause 0x5
	s_load_b32 s56, s[2:3], 0x0
	s_load_b32 s3, s[44:45], 0x0
	;; [unrolled: 1-line block ×6, first 2 shown]
	s_or_b32 s24, s12, 0xc0
	s_mov_b32 s44, 0
	s_ashr_i32 s25, s24, 4
	s_mov_b32 s45, s44
	s_mov_b32 s46, s44
	;; [unrolled: 1-line block ×7, first 2 shown]
	v_dual_mov_b32 v113, s23 :: v_dual_mov_b32 v112, s22
	v_dual_mov_b32 v111, s21 :: v_dual_mov_b32 v110, s20
	;; [unrolled: 1-line block ×4, first 2 shown]
	v_lshl_or_b32 v41, v66, 8, v73
	v_dual_mov_b32 v121, s51 :: v_dual_mov_b32 v120, s50
	v_dual_mov_b32 v119, s49 :: v_dual_mov_b32 v118, s48
	;; [unrolled: 1-line block ×4, first 2 shown]
	s_cmp_lt_i32 s24, s33
	s_cselect_b32 s16, s25, s13
	s_delay_alu instid0(SALU_CYCLE_1) | instskip(NEXT) | instid1(SALU_CYCLE_1)
	s_ashr_i32 s17, s16, 31
	s_lshl_b64 s[16:17], s[16:17], 2
	s_delay_alu instid0(SALU_CYCLE_1) | instskip(SKIP_2) | instid1(SALU_CYCLE_1)
	s_add_u32 s16, s61, s16
	s_addc_u32 s17, s60, s17
	s_or_b32 s18, s12, 0xe0
	s_ashr_i32 s19, s18, 4
	s_cmp_lt_i32 s18, s33
	s_cselect_b32 s18, s19, s13
	s_delay_alu instid0(SALU_CYCLE_1) | instskip(NEXT) | instid1(SALU_CYCLE_1)
	s_ashr_i32 s19, s18, 31
	s_lshl_b64 s[18:19], s[18:19], 2
	s_delay_alu instid0(SALU_CYCLE_1) | instskip(SKIP_4) | instid1(VALU_DEP_1)
	s_add_u32 s18, s61, s18
	s_addc_u32 s19, s60, s19
	s_add_u32 s13, s58, s62
	s_addc_u32 s20, s59, s63
	v_add_co_u32 v67, s13, s13, v41
	v_add_co_ci_u32_e64 v68, null, s20, 0, s13
	s_waitcnt lgkmcnt(0)
	s_delay_alu instid0(VALU_DEP_1)
	v_mad_i64_i32 v[41:42], null, s56, s53, v[67:68]
	v_mad_i64_i32 v[71:72], null, s54, s53, v[67:68]
	;; [unrolled: 1-line block ×5, first 2 shown]
	s_waitcnt vmcnt(1)
	v_mad_i64_i32 v[33:34], null, v5, s53, v[1:2]
	s_waitcnt vmcnt(0)
	v_mad_i64_i32 v[35:36], null, v3, s53, v[1:2]
	s_clause 0xf
	global_load_b128 v[1:4], v[33:34], off
	global_load_b128 v[5:8], v[33:34], off offset:256
	global_load_b128 v[9:12], v[35:36], off
	global_load_b128 v[13:16], v[35:36], off offset:256
	global_load_b128 v[17:20], v[33:34], off offset:512
	global_load_b128 v[21:24], v[33:34], off offset:768
	global_load_b128 v[25:28], v[35:36], off offset:512
	global_load_b128 v[29:32], v[35:36], off offset:768
	global_load_b128 v[57:60], v[33:34], off offset:1024
	global_load_b128 v[61:64], v[33:34], off offset:1280
	global_load_b128 v[74:77], v[35:36], off offset:1024
	global_load_b128 v[78:81], v[35:36], off offset:1280
	global_load_b128 v[82:85], v[33:34], off offset:1536
	global_load_b128 v[86:89], v[33:34], off offset:1792
	global_load_b128 v[90:93], v[35:36], off offset:1536
	global_load_b128 v[94:97], v[35:36], off offset:1792
	v_mov_b32_e32 v33, s36
	v_mov_b32_e32 v35, s38
	;; [unrolled: 1-line block ×4, first 2 shown]
	s_clause 0x1
	s_load_b32 s13, s[16:17], 0x0
	s_load_b32 s16, s[18:19], 0x0
	v_mov_b32_e32 v34, s37
	v_mov_b32_e32 v36, s39
	;; [unrolled: 1-line block ×4, first 2 shown]
	s_waitcnt lgkmcnt(0)
	v_mad_i64_i32 v[132:133], null, s16, s53, v[67:68]
	s_waitcnt vmcnt(14)
	s_delay_alu instid0(VALU_DEP_2)
	v_wmma_f32_16x16x16_f16 v[122:129], v[1:8], v[33:40], v[114:121]
	s_waitcnt vmcnt(12)
	v_wmma_f32_16x16x16_f16 v[114:121], v[9:16], v[33:40], v[114:121]
	s_clause 0x7
	global_load_b128 v[49:52], v[41:42], off
	global_load_b128 v[53:56], v[41:42], off offset:16
	global_load_b128 v[41:44], v[45:46], off
	global_load_b128 v[45:48], v[45:46], off offset:16
	;; [unrolled: 2-line block ×4, first 2 shown]
	v_mad_i64_i32 v[71:72], null, s13, s53, v[67:68]
	v_mad_i64_i32 v[69:70], null, s2, s53, v[67:68]
	s_waitcnt vmcnt(18)
	v_wmma_f32_16x16x16_f16 v[122:129], v[17:24], v[98:105], v[122:129]
	s_waitcnt vmcnt(16)
	v_wmma_f32_16x16x16_f16 v[114:121], v[25:32], v[98:105], v[114:121]
	s_clause 0x3
	global_load_b128 v[9:12], v[130:131], off
	global_load_b128 v[13:16], v[130:131], off offset:16
	global_load_b128 v[17:20], v[69:70], off
	global_load_b128 v[21:24], v[69:70], off offset:16
	s_waitcnt vmcnt(18)
	v_wmma_f32_16x16x16_f16 v[122:129], v[57:64], v[106:113], v[122:129]
	s_clause 0x3
	global_load_b128 v[25:28], v[71:72], off
	global_load_b128 v[29:32], v[71:72], off offset:16
	global_load_b128 v[57:60], v[132:133], off
	global_load_b128 v[61:64], v[132:133], off offset:16
	v_mbcnt_lo_u32_b32 v68, -1, 0
	v_dual_mov_b32 v105, s11 :: v_dual_mov_b32 v104, s10
	v_dual_mov_b32 v103, s9 :: v_dual_mov_b32 v102, s8
	s_delay_alu instid0(VALU_DEP_3) | instskip(SKIP_2) | instid1(VALU_DEP_3)
	v_xor_b32_e32 v69, 16, v68
	v_dual_mov_b32 v101, s7 :: v_dual_mov_b32 v100, s6
	v_dual_mov_b32 v99, s5 :: v_dual_mov_b32 v98, s4
	v_cmp_gt_i32_e32 vcc_lo, 32, v69
	v_and_b32_e32 v67, 0xe0, v0
	s_waitcnt vmcnt(20)
	v_wmma_f32_16x16x16_f16 v[114:121], v[74:81], v[106:113], v[114:121]
	v_bfe_u32 v74, v0, 4, 1
	s_waitcnt vmcnt(18)
	v_wmma_f32_16x16x16_f16 v[122:129], v[82:89], v[98:105], v[122:129]
	v_dual_cndmask_b32 v68, v68, v69 :: v_dual_add_nc_u32 v67, s12, v67
	s_waitcnt vmcnt(0)
	s_barrier
	s_delay_alu instid0(VALU_DEP_2)
	v_mul_f32_e32 v86, s35, v129
	v_mul_f32_e32 v88, s35, v127
	v_or_b32_e32 v67, v67, v74
	v_wmma_f32_16x16x16_f16 v[114:121], v[90:97], v[98:105], v[114:121]
	v_dual_mul_f32 v92, s35, v123 :: v_dual_mul_f32 v93, s35, v122
	v_mul_f32_e32 v90, s35, v125
	s_delay_alu instid0(VALU_DEP_4)
	v_or_b32_e32 v69, 2, v67
	v_or_b32_e32 v70, 4, v67
	;; [unrolled: 1-line block ×3, first 2 shown]
	v_cmp_gt_i32_e64 s2, s33, v67
	v_or_b32_e32 v72, 8, v67
	v_cmp_gt_i32_e32 vcc_lo, s33, v69
	v_or_b32_e32 v75, 10, v67
	v_mul_f32_e32 v91, s35, v124
	v_cndmask_b32_e64 v93, 0xff7fffff, v93, s2
	v_cmp_gt_i32_e64 s3, s33, v70
	v_cndmask_b32_e32 v92, 0xff7fffff, v92, vcc_lo
	v_cmp_gt_i32_e64 s4, s33, v71
	v_or_b32_e32 v76, 12, v67
	v_or_b32_e32 v77, 14, v67
	v_dual_mul_f32 v89, s35, v126 :: v_dual_mul_f32 v98, s35, v117
	v_cndmask_b32_e64 v70, 0xff7fffff, v91, s3
	v_cndmask_b32_e64 v71, 0xff7fffff, v90, s4
	v_max3_f32 v90, v93, 0xff7fffff, v92
	v_cmp_gt_i32_e64 s5, s33, v72
	v_cmp_gt_i32_e64 s6, s33, v75
	v_or_b32_e32 v78, 16, v67
	v_or_b32_e32 v79, 18, v67
	v_dual_mul_f32 v87, s35, v128 :: v_dual_mul_f32 v96, s35, v119
	v_cndmask_b32_e64 v72, 0xff7fffff, v89, s5
	v_cndmask_b32_e64 v75, 0xff7fffff, v88, s6
	v_max3_f32 v70, v90, v70, v71
	v_cmp_gt_i32_e64 s7, s33, v76
	v_cmp_gt_i32_e64 s8, s33, v77
	v_or_b32_e32 v80, 20, v67
	v_or_b32_e32 v81, 22, v67
	;; [unrolled: 1-line block ×6, first 2 shown]
	v_mul_f32_e32 v69, s35, v115
	v_mul_f32_e32 v67, s35, v114
	v_cndmask_b32_e64 v71, 0xff7fffff, v87, s7
	v_cndmask_b32_e64 v76, 0xff7fffff, v86, s8
	v_max3_f32 v70, v70, v72, v75
	v_cmp_gt_i32_e64 s9, s33, v78
	v_cmp_gt_i32_e64 s10, s33, v79
	v_mul_f32_e32 v99, s35, v116
	v_cmp_gt_i32_e64 s11, s33, v80
	v_max3_f32 v70, v70, v71, v76
	v_cndmask_b32_e64 v67, 0xff7fffff, v67, s9
	v_cndmask_b32_e64 v69, 0xff7fffff, v69, s10
	v_cmp_gt_i32_e64 s12, s33, v81
	v_mul_f32_e32 v97, s35, v118
	v_cndmask_b32_e64 v71, 0xff7fffff, v99, s11
	v_cmp_gt_i32_e64 s13, s33, v82
	v_max3_f32 v67, v70, v67, v69
	v_cndmask_b32_e64 v72, 0xff7fffff, v98, s12
	v_cmp_gt_i32_e64 s16, s33, v83
	v_dual_mul_f32 v94, s35, v121 :: v_dual_mul_f32 v95, s35, v120
	v_cndmask_b32_e64 v69, 0xff7fffff, v97, s13
	s_delay_alu instid0(VALU_DEP_4) | instskip(NEXT) | instid1(VALU_DEP_4)
	v_max3_f32 v67, v67, v71, v72
	v_cndmask_b32_e64 v70, 0xff7fffff, v96, s16
	v_cmp_gt_i32_e64 s17, s33, v84
	v_cmp_gt_i32_e64 s18, s33, v85
	v_lshlrev_b32_e32 v75, 2, v68
	buffer_gl0_inv
	v_max3_f32 v67, v67, v69, v70
	v_cndmask_b32_e64 v71, 0xff7fffff, v95, s17
	v_cndmask_b32_e64 v72, 0xff7fffff, v94, s18
	s_delay_alu instid0(VALU_DEP_1) | instskip(SKIP_3) | instid1(VALU_DEP_1)
	v_max3_f32 v67, v67, v71, v72
	ds_bpermute_b32 v68, v75, v67
	s_waitcnt lgkmcnt(0)
	v_max_f32_e32 v68, v68, v68
	v_max_f32_e32 v67, v67, v68
	s_delay_alu instid0(VALU_DEP_1)
	v_fma_f32 v68, s35, v122, -v67
	v_fma_f32 v70, s35, v124, -v67
	v_fma_f32 v69, s35, v123, -v67
	v_fma_f32 v71, s35, v125, -v67
	v_fma_f32 v72, s35, v126, -v67
	v_mul_f32_e32 v68, 0x3fb8aa3b, v68
	s_delay_alu instid0(VALU_DEP_4) | instskip(NEXT) | instid1(VALU_DEP_3)
	v_dual_mul_f32 v70, 0x3fb8aa3b, v70 :: v_dual_mul_f32 v69, 0x3fb8aa3b, v69
	v_mul_f32_e32 v72, 0x3fb8aa3b, v72
	s_delay_alu instid0(VALU_DEP_3) | instskip(NEXT) | instid1(VALU_DEP_2)
	v_exp_f32_e32 v68, v68
	v_exp_f32_e32 v76, v70
	s_delay_alu instid0(VALU_DEP_2) | instskip(NEXT) | instid1(VALU_DEP_1)
	v_exp_f32_e32 v69, v69
	v_exp_f32_e32 v79, v72
	v_cndmask_b32_e64 v70, 0, v68, s2
	v_fma_f32 v68, s35, v127, -v67
	s_waitcnt_depctr 0xfff
	v_cndmask_b32_e32 v69, 0, v69, vcc_lo
	v_cndmask_b32_e64 v72, 0, v76, s3
	v_cndmask_b32_e64 v83, 0, v79, s5
	v_dual_add_f32 v77, 0, v70 :: v_dual_mul_f32 v68, 0x3fb8aa3b, v68
	s_mov_b32 s3, exec_lo
	s_delay_alu instid0(VALU_DEP_1) | instskip(NEXT) | instid1(VALU_DEP_2)
	v_add_f32_e32 v76, v77, v69
	v_exp_f32_e32 v68, v68
	s_delay_alu instid0(VALU_DEP_1) | instskip(SKIP_3) | instid1(VALU_DEP_1)
	v_add_f32_e32 v76, v76, v72
	s_waitcnt_depctr 0xfff
	v_cndmask_b32_e64 v82, 0, v68, s6
	v_mul_f32_e32 v71, 0x3fb8aa3b, v71
	v_exp_f32_e32 v71, v71
	s_waitcnt_depctr 0xfff
	v_cndmask_b32_e64 v71, 0, v71, s4
	s_delay_alu instid0(VALU_DEP_1) | instskip(NEXT) | instid1(VALU_DEP_1)
	v_add_f32_e32 v76, v76, v71
	v_add_f32_e32 v68, v76, v83
	v_fma_f32 v78, s35, v128, -v67
	v_fma_f32 v77, s35, v129, -v67
	;; [unrolled: 1-line block ×4, first 2 shown]
	v_add_f32_e32 v68, v68, v82
	v_mul_f32_e32 v78, 0x3fb8aa3b, v78
	v_fma_f32 v76, s35, v116, -v67
	v_mul_f32_e32 v80, 0x3fb8aa3b, v80
	s_delay_alu instid0(VALU_DEP_3) | instskip(NEXT) | instid1(VALU_DEP_2)
	v_exp_f32_e32 v78, v78
	v_mul_f32_e32 v76, 0x3fb8aa3b, v76
	s_delay_alu instid0(VALU_DEP_2) | instskip(NEXT) | instid1(VALU_DEP_1)
	v_exp_f32_e32 v80, v80
	v_exp_f32_e32 v76, v76
	s_delay_alu instid0(TRANS32_DEP_3)
	v_cndmask_b32_e64 v85, 0, v78, s7
	v_fma_f32 v78, s35, v117, -v67
	v_mul_f32_e32 v77, 0x3fb8aa3b, v77
	v_mul_f32_e32 v79, 0x3fb8aa3b, v79
	s_waitcnt_depctr 0xfff
	v_cndmask_b32_e64 v87, 0, v80, s9
	v_add_f32_e32 v68, v68, v85
	v_mul_f32_e32 v78, 0x3fb8aa3b, v78
	v_exp_f32_e32 v77, v77
	v_exp_f32_e32 v79, v79
	v_fma_f32 v80, s35, v119, -v67
	v_cndmask_b32_e64 v89, 0, v76, s11
	v_exp_f32_e32 v78, v78
	s_delay_alu instid0(VALU_DEP_2) | instskip(NEXT) | instid1(TRANS32_DEP_3)
	v_mul_f32_e32 v80, 0x3fb8aa3b, v80
	v_cndmask_b32_e64 v84, 0, v77, s8
	v_fma_f32 v77, s35, v118, -v67
	s_delay_alu instid0(TRANS32_DEP_2)
	v_cndmask_b32_e64 v86, 0, v79, s10
	v_fma_f32 v79, s35, v120, -v67
	s_waitcnt_depctr 0xfff
	v_cndmask_b32_e64 v88, 0, v78, s12
	v_dual_add_f32 v68, v68, v84 :: v_dual_mul_f32 v77, 0x3fb8aa3b, v77
	v_fma_f32 v78, s35, v121, -v67
	v_mul_f32_e32 v76, 0x3fb8aa3b, v79
	v_exp_f32_e32 v79, v80
	s_delay_alu instid0(VALU_DEP_3) | instskip(SKIP_1) | instid1(VALU_DEP_2)
	v_add_f32_e32 v68, v68, v87
	v_exp_f32_e32 v77, v77
	v_exp_f32_e32 v76, v76
	s_delay_alu instid0(TRANS32_DEP_3)
	v_cndmask_b32_e64 v90, 0, v79, s16
	s_waitcnt_depctr 0xfff
	v_cndmask_b32_e64 v91, 0, v77, s13
	v_mul_f32_e32 v77, 0x3fb8aa3b, v78
	v_add_f32_e32 v68, v68, v86
	v_cndmask_b32_e64 v93, 0, v76, s17
	v_and_b32_e32 v76, 31, v0
	s_delay_alu instid0(VALU_DEP_4) | instskip(NEXT) | instid1(VALU_DEP_3)
	v_exp_f32_e32 v77, v77
	v_add_f32_e32 v68, v68, v89
	s_delay_alu instid0(VALU_DEP_2) | instskip(NEXT) | instid1(VALU_DEP_2)
	v_cmp_lt_u32_e64 s2, 15, v76
	v_add_f32_e32 v68, v68, v88
	s_waitcnt_depctr 0xfff
	v_cndmask_b32_e64 v92, 0, v77, s18
	v_add_f32_e32 v68, v68, v91
	s_delay_alu instid0(VALU_DEP_1) | instskip(NEXT) | instid1(VALU_DEP_1)
	v_add_f32_e32 v68, v68, v90
	v_add_f32_e32 v68, v68, v93
	s_delay_alu instid0(VALU_DEP_1)
	v_add_f32_e32 v68, v68, v92
	ds_bpermute_b32 v75, v75, v68
	v_cmpx_gt_u32_e32 16, v76
	s_cbranch_execz .LBB946_11
; %bb.10:
	v_mul_u32_u24_e32 v76, 0x44, v66
	s_delay_alu instid0(VALU_DEP_1) | instskip(SKIP_1) | instid1(VALU_DEP_1)
	v_lshl_add_u32 v76, v65, 2, v76
	s_waitcnt lgkmcnt(0)
	v_dual_add_f32 v68, v68, v75 :: v_dual_add_nc_u32 v75, 0x4000, v76
	ds_store_2addr_b32 v75, v67, v68 offset1:136
.LBB946_11:
	s_or_b32 exec_lo, exec_lo, s3
	v_lshlrev_b32_e32 v67, 2, v65
	s_load_b64 s[36:37], s[0:1], 0x94
	s_waitcnt lgkmcnt(0)
	s_barrier
	buffer_gl0_inv
	v_add_nc_u32_e32 v81, 0x4000, v67
	v_cmp_eq_u32_e32 vcc_lo, 1, v66
	v_cmp_eq_u32_e64 s3, 2, v66
	v_cmp_eq_u32_e64 s5, 3, v66
	;; [unrolled: 1-line block ×3, first 2 shown]
	ds_load_2addr_b32 v[75:76], v81 offset1:17
	ds_load_2addr_b32 v[77:78], v81 offset0:34 offset1:51
	ds_load_2addr_b32 v[79:80], v81 offset0:68 offset1:85
	;; [unrolled: 1-line block ×4, first 2 shown]
	v_cmp_eq_u32_e64 s7, 5, v66
	v_cmp_eq_u32_e64 s4, 6, v66
	s_waitcnt lgkmcnt(4)
	v_max3_f32 v67, v75, 0xff7fffff, v76
	s_waitcnt lgkmcnt(3)
	s_delay_alu instid0(VALU_DEP_1) | instskip(SKIP_1) | instid1(VALU_DEP_1)
	v_max3_f32 v67, v67, v77, v78
	s_waitcnt lgkmcnt(2)
	v_max3_f32 v67, v67, v79, v80
	s_waitcnt lgkmcnt(1)
	s_delay_alu instid0(VALU_DEP_1) | instskip(NEXT) | instid1(VALU_DEP_1)
	v_max3_f32 v67, v67, v94, v95
	v_sub_f32_e32 v68, v75, v67
	s_delay_alu instid0(VALU_DEP_1) | instskip(NEXT) | instid1(VALU_DEP_1)
	v_dual_sub_f32 v79, v79, v67 :: v_dual_mul_f32 v68, 0x3fb8aa3b, v68
	v_mul_f32_e32 v102, 0x3fb8aa3b, v79
	s_delay_alu instid0(VALU_DEP_2) | instskip(SKIP_1) | instid1(VALU_DEP_1)
	v_exp_f32_e32 v99, v68
	v_sub_f32_e32 v68, v78, v67
	v_dual_sub_f32 v98, v76, v67 :: v_dual_mul_f32 v101, 0x3fb8aa3b, v68
	s_delay_alu instid0(VALU_DEP_1)
	v_dual_sub_f32 v77, v77, v67 :: v_dual_mul_f32 v98, 0x3fb8aa3b, v98
	s_waitcnt lgkmcnt(0)
	s_waitcnt_depctr 0xfff
	v_fma_f32 v68, v99, v96, 0
	v_sub_f32_e32 v96, v80, v67
	v_mul_f32_e32 v100, 0x3fb8aa3b, v77
	v_exp_f32_e32 v98, v98
	v_exp_f32_e32 v101, v101
	s_delay_alu instid0(VALU_DEP_1) | instskip(NEXT) | instid1(TRANS32_DEP_3)
	v_exp_f32_e32 v100, v100
	v_fmac_f32_e32 v68, v98, v97
	ds_load_2addr_b32 v[75:76], v81 offset0:170 offset1:187
	ds_load_2addr_b32 v[77:78], v81 offset0:204 offset1:221
	;; [unrolled: 1-line block ×3, first 2 shown]
	v_dual_sub_f32 v81, v94, v67 :: v_dual_mul_f32 v94, 0x3fb8aa3b, v96
	v_exp_f32_e32 v96, v102
	s_waitcnt lgkmcnt(0)
	s_barrier
	s_delay_alu instid0(VALU_DEP_1)
	v_mul_f32_e32 v81, 0x3fb8aa3b, v81
	v_exp_f32_e32 v94, v94
	buffer_gl0_inv
	v_fmac_f32_e32 v68, v100, v75
	v_sub_f32_e32 v75, v95, v67
	v_exp_f32_e32 v95, v81
	s_delay_alu instid0(VALU_DEP_1) | instskip(SKIP_1) | instid1(VALU_DEP_2)
	v_dual_fmac_f32 v68, v101, v76 :: v_dual_mul_f32 v75, 0x3fb8aa3b, v75
	v_cndmask_b32_e32 v76, v99, v98, vcc_lo
	v_fmac_f32_e32 v68, v96, v77
	s_delay_alu instid0(VALU_DEP_3) | instskip(NEXT) | instid1(VALU_DEP_1)
	v_exp_f32_e32 v97, v75
	v_fmac_f32_e32 v68, v94, v78
	s_waitcnt_depctr 0xfff
	v_dual_fmac_f32 v68, v95, v79 :: v_dual_lshlrev_b32 v79, 6, v65
	s_delay_alu instid0(VALU_DEP_1) | instskip(NEXT) | instid1(VALU_DEP_2)
	v_dual_mov_b32 v65, 0 :: v_dual_fmac_f32 v68, v97, v80
	v_lshl_or_b32 v81, v66, 11, v79
	s_delay_alu instid0(VALU_DEP_2) | instskip(NEXT) | instid1(VALU_DEP_1)
	v_add_f32_e32 v80, 0x358637bd, v68
	v_div_scale_f32 v102, null, v80, v80, 1.0
	v_div_scale_f32 v98, vcc_lo, 1.0, v80, 1.0
	s_delay_alu instid0(VALU_DEP_2) | instskip(SKIP_2) | instid1(VALU_DEP_1)
	v_rcp_f32_e32 v103, v102
	s_waitcnt_depctr 0xfff
	v_fma_f32 v75, -v102, v103, 1.0
	v_fmac_f32_e32 v103, v75, v103
	v_cndmask_b32_e64 v75, v76, v100, s3
	v_cmp_eq_u32_e64 s3, 7, v66
	s_delay_alu instid0(VALU_DEP_3) | instskip(NEXT) | instid1(VALU_DEP_3)
	v_mul_f32_e32 v99, v98, v103
	v_cndmask_b32_e64 v76, v75, v101, s5
	v_lshlrev_b32_e32 v75, 2, v74
	s_delay_alu instid0(VALU_DEP_3) | instskip(NEXT) | instid1(VALU_DEP_3)
	v_fma_f32 v77, -v102, v99, v98
	v_cndmask_b32_e64 v96, v76, v96, s6
	s_delay_alu instid0(VALU_DEP_3)
	v_or_b32_e32 v78, 1, v75
	v_or_b32_e32 v76, 2, v75
	v_cmp_eq_u32_e64 s5, 1, v75
	v_fmac_f32_e32 v99, v77, v103
	v_cndmask_b32_e64 v66, v96, v94, s7
	v_or_b32_e32 v77, 3, v75
	v_cmp_eq_u32_e64 s9, 1, v78
	v_cmp_eq_u32_e64 s10, 1, v76
	v_fma_f32 v94, -v102, v99, v98
	v_cndmask_b32_e64 v66, v66, v95, s4
	v_cmp_eq_u32_e64 s11, 1, v77
	v_cmp_eq_u32_e64 s6, 2, v75
	;; [unrolled: 1-line block ×3, first 2 shown]
	v_div_fmas_f32 v94, v94, v103, v99
	v_cndmask_b32_e64 v66, v66, v97, s3
	v_cmp_eq_u32_e64 s17, 2, v77
	v_cmp_eq_u32_e32 vcc_lo, 3, v75
	v_cmp_eq_u32_e64 s13, 3, v78
	v_div_fixup_f32 v94, v94, v80, 1.0
	v_lshl_or_b32 v80, v74, 4, v81
	v_cmp_eq_u32_e64 s16, 2, v76
	v_cmp_eq_u32_e64 s19, 3, v77
	;; [unrolled: 1-line block ×3, first 2 shown]
	v_mul_f32_e32 v66, v66, v94
	v_cmp_eq_u32_e64 s18, 3, v76
	v_cmp_eq_u32_e64 s20, 4, v78
	;; [unrolled: 1-line block ×4, first 2 shown]
	v_fma_mixlo_f16 v94, v66, v70, 0
	v_fma_mixlo_f16 v95, v66, v72, 0
	;; [unrolled: 1-line block ×8, first 2 shown]
	v_fma_mixhi_f16 v94, v66, v69, 0
	v_fma_mixhi_f16 v95, v66, v71, 0
	;; [unrolled: 1-line block ×8, first 2 shown]
	ds_store_b128 v80, v[94:97]
	ds_store_b128 v80, v[98:101] offset:1024
	s_waitcnt lgkmcnt(0)
	s_barrier
	buffer_gl0_inv
	ds_load_b128 v[69:72], v81
	ds_load_b128 v[82:85], v81 offset:16
	ds_load_b128 v[86:89], v81 offset:1024
	;; [unrolled: 1-line block ×3, first 2 shown]
	v_cmp_eq_u32_e64 s21, 5, v78
	v_cmp_eq_u32_e64 s22, 4, v76
	;; [unrolled: 1-line block ×12, first 2 shown]
	s_waitcnt lgkmcnt(3)
	v_lshrrev_b32_e32 v66, 16, v69
	s_waitcnt lgkmcnt(2)
	v_lshrrev_b32_e32 v97, 16, v82
	;; [unrolled: 2-line block ×4, first 2 shown]
	v_lshrrev_b32_e32 v94, 16, v70
	v_cndmask_b32_e64 v109, v69, v66, s5
	v_cndmask_b32_e64 v110, v82, v97, s5
	;; [unrolled: 1-line block ×7, first 2 shown]
	v_lshrrev_b32_e32 v98, 16, v83
	v_cndmask_b32_e64 v114, v82, v97, s10
	v_cndmask_b32_e64 v82, v86, v101, s5
	;; [unrolled: 1-line block ×15, first 2 shown]
	v_lshrrev_b32_e32 v102, 16, v87
	v_lshrrev_b32_e32 v106, 16, v91
	v_cndmask_b32_e64 v111, v113, v70, s16
	v_cndmask_b32_e64 v112, v114, v83, s16
	v_cndmask_b32_e64 v70, v82, v87, s6
	v_cndmask_b32_e64 v82, v97, v91, s6
	v_cndmask_b32_e64 v83, v115, v87, s12
	v_cndmask_b32_e64 v97, v117, v87, s16
	v_cndmask_b32_e64 v86, v86, v87, s17
	v_cndmask_b32_e32 v87, v101, v94, vcc_lo
	v_cndmask_b32_e32 v101, v105, v98, vcc_lo
	v_cndmask_b32_e64 v105, v109, v94, s13
	v_cndmask_b32_e64 v109, v110, v98, s13
	;; [unrolled: 1-line block ×4, first 2 shown]
	v_lshrrev_b32_e32 v95, 16, v71
	v_lshrrev_b32_e32 v99, 16, v84
	v_cndmask_b32_e64 v110, v111, v94, s18
	v_cndmask_b32_e64 v111, v112, v98, s18
	v_cndmask_b32_e32 v70, v70, v102, vcc_lo
	v_cndmask_b32_e32 v82, v82, v106, vcc_lo
	v_cndmask_b32_e64 v83, v83, v102, s13
	v_cndmask_b32_e64 v87, v87, v71, s4
	;; [unrolled: 1-line block ×7, first 2 shown]
	v_lshrrev_b32_e32 v103, 16, v88
	v_lshrrev_b32_e32 v107, 16, v92
	v_cndmask_b32_e64 v105, v110, v71, s22
	v_cndmask_b32_e64 v109, v111, v84, s22
	;; [unrolled: 1-line block ×11, first 2 shown]
	v_lshrrev_b32_e32 v96, 16, v72
	v_lshrrev_b32_e32 v100, 16, v85
	v_cndmask_b32_e64 v98, v105, v95, s24
	v_cndmask_b32_e64 v101, v109, v99, s24
	;; [unrolled: 1-line block ×11, first 2 shown]
	v_lshrrev_b32_e32 v104, 16, v89
	v_cndmask_b32_e64 v95, v98, v72, s27
	v_cndmask_b32_e64 v98, v101, v85, s27
	;; [unrolled: 1-line block ×14, first 2 shown]
	v_perm_b32 v72, v69, v66, 0x5040100
	v_perm_b32 v70, v94, v84, 0x5040100
	v_cndmask_b32_e64 v66, v90, v91, s17
	v_cndmask_b32_e64 v69, v118, v91, s16
	;; [unrolled: 1-line block ×4, first 2 shown]
	v_perm_b32 v71, v95, v87, 0x5040100
	v_cndmask_b32_e64 v87, v97, v102, s18
	v_cndmask_b32_e64 v86, v86, v102, s19
	;; [unrolled: 1-line block ×15, first 2 shown]
	v_lshrrev_b32_e32 v108, 16, v93
	v_cndmask_b32_e64 v87, v87, v89, s27
	v_cndmask_b32_e64 v86, v86, v89, s28
	;; [unrolled: 1-line block ×11, first 2 shown]
	v_perm_b32 v69, v83, v82, 0x5040100
	v_perm_b32 v85, v66, v86, 0x5040100
	;; [unrolled: 1-line block ×5, first 2 shown]
	s_mov_b32 s3, exec_lo
	ds_store_b128 v80, v[69:72]
	ds_store_b128 v80, v[82:85] offset:1024
	v_cmpx_eq_u32_e32 0, v0
	s_cbranch_execz .LBB946_13
; %bb.12:
	s_load_b128 s[4:7], s[0:1], 0x58
	s_mul_i32 s8, s37, s34
	s_delay_alu instid0(SALU_CYCLE_1) | instskip(NEXT) | instid1(SALU_CYCLE_1)
	s_add_i32 s8, s8, s15
	s_mul_i32 s8, s8, s36
	s_delay_alu instid0(SALU_CYCLE_1) | instskip(NEXT) | instid1(SALU_CYCLE_1)
	s_add_i32 s8, s8, s14
	s_ashr_i32 s9, s8, 31
	s_delay_alu instid0(SALU_CYCLE_1)
	s_lshl_b64 s[8:9], s[8:9], 2
	s_waitcnt lgkmcnt(0)
	s_add_u32 s6, s6, s8
	s_addc_u32 s7, s7, s9
	s_add_u32 s4, s4, s8
	s_addc_u32 s5, s5, s9
	s_clause 0x1
	global_store_b32 v65, v67, s[6:7]
	global_store_b32 v65, v68, s[4:5]
.LBB946_13:
	s_or_b32 exec_lo, exec_lo, s3
	s_waitcnt lgkmcnt(0)
	s_waitcnt_vscnt null, 0x0
	s_barrier
	buffer_gl0_inv
	ds_load_b128 v[82:85], v79
	ds_load_b128 v[86:89], v79 offset:16
	ds_load_b128 v[94:97], v79 offset:2064
	;; [unrolled: 1-line block ×5, first 2 shown]
	v_mov_b32_e32 v66, v65
	v_mov_b32_e32 v67, v65
	;; [unrolled: 1-line block ×7, first 2 shown]
	ds_load_b128 v[110:113], v79 offset:6160
	ds_load_b128 v[106:109], v79 offset:6144
	v_cmp_eq_u32_e32 vcc_lo, 1, v75
	v_cmp_eq_u32_e64 s3, 1, v78
	v_cmp_eq_u32_e64 s4, 1, v77
	v_cmp_eq_u32_e64 s5, 2, v75
	v_cmp_eq_u32_e64 s6, 3, v75
	v_cmp_eq_u32_e64 s7, 6, v76
	s_xor_b32 s2, s2, -1
	s_waitcnt lgkmcnt(6)
	v_wmma_f32_16x16x16_f16 v[65:72], v[49:56], v[82:89], v[65:72]
	ds_load_b128 v[53:56], v79 offset:8208
	ds_load_b128 v[49:52], v79 offset:8192
	;; [unrolled: 1-line block ×4, first 2 shown]
	s_waitcnt lgkmcnt(8)
	v_wmma_f32_16x16x16_f16 v[65:72], v[41:48], v[90:97], v[65:72]
	ds_load_b128 v[45:48], v79 offset:12304
	ds_load_b128 v[41:44], v79 offset:12288
	s_waitcnt lgkmcnt(8)
	v_wmma_f32_16x16x16_f16 v[65:72], v[33:40], v[98:105], v[65:72]
	ds_load_b128 v[37:40], v79 offset:14352
	ds_load_b128 v[33:36], v79 offset:14336
	s_waitcnt lgkmcnt(0)
	s_barrier
	buffer_gl0_inv
	v_wmma_f32_16x16x16_f16 v[65:72], v[1:8], v[106:113], v[65:72]
	s_delay_alu instid0(VALU_DEP_1) | instskip(NEXT) | instid1(VALU_DEP_1)
	v_wmma_f32_16x16x16_f16 v[65:72], v[9:16], v[49:56], v[65:72]
	v_wmma_f32_16x16x16_f16 v[65:72], v[17:24], v[82:89], v[65:72]
	s_delay_alu instid0(VALU_DEP_1) | instskip(NEXT) | instid1(VALU_DEP_1)
	v_wmma_f32_16x16x16_f16 v[65:72], v[25:32], v[41:48], v[65:72]
	v_wmma_f32_16x16x16_f16 v[65:72], v[57:64], v[33:40], v[65:72]
	s_delay_alu instid0(VALU_DEP_1) | instskip(NEXT) | instid1(VALU_DEP_2)
	v_cvt_f16_f32_e32 v1, v65
	v_cvt_f16_f32_e32 v2, v66
	s_delay_alu instid0(VALU_DEP_3) | instskip(NEXT) | instid1(VALU_DEP_4)
	v_cvt_f16_f32_e32 v3, v67
	v_cvt_f16_f32_e32 v4, v68
	;; [unrolled: 1-line block ×6, first 2 shown]
	v_pack_b32_f16 v1, v1, v2
	v_pack_b32_f16 v2, v3, v4
	;; [unrolled: 1-line block ×3, first 2 shown]
	s_delay_alu instid0(VALU_DEP_4)
	v_pack_b32_f16 v4, v7, v8
	ds_store_b128 v80, v[1:4]
	s_waitcnt lgkmcnt(0)
	s_barrier
	buffer_gl0_inv
	ds_load_b128 v[1:4], v81
	ds_load_b128 v[5:8], v81 offset:16
	s_waitcnt lgkmcnt(1)
	v_lshrrev_b32_e32 v9, 16, v1
	s_waitcnt lgkmcnt(0)
	v_lshrrev_b32_e32 v13, 16, v5
	v_lshrrev_b32_e32 v16, 16, v8
	v_lshrrev_b32_e32 v10, 16, v2
	v_lshrrev_b32_e32 v14, 16, v6
	v_cndmask_b32_e32 v17, v1, v9, vcc_lo
	v_cndmask_b32_e32 v18, v5, v13, vcc_lo
	v_cmp_eq_u32_e32 vcc_lo, 1, v76
	v_cndmask_b32_e64 v19, v1, v9, s3
	v_cndmask_b32_e64 v20, v5, v13, s3
	v_cmp_eq_u32_e64 s3, 2, v76
	v_lshrrev_b32_e32 v11, 16, v3
	v_cndmask_b32_e32 v21, v1, v9, vcc_lo
	v_cndmask_b32_e32 v22, v5, v13, vcc_lo
	v_cndmask_b32_e64 v1, v1, v9, s4
	v_cmp_eq_u32_e32 vcc_lo, 2, v77
	v_cndmask_b32_e64 v5, v5, v13, s4
	v_cmp_eq_u32_e64 s4, 2, v78
	v_cndmask_b32_e64 v9, v17, v2, s5
	v_cndmask_b32_e64 v13, v18, v6, s5
	v_cmp_eq_u32_e64 s5, 3, v78
	v_cndmask_b32_e32 v1, v1, v2, vcc_lo
	v_cndmask_b32_e64 v17, v19, v2, s4
	v_cndmask_b32_e64 v18, v20, v6, s4
	;; [unrolled: 1-line block ×4, first 2 shown]
	v_cndmask_b32_e32 v2, v5, v6, vcc_lo
	v_cmp_eq_u32_e32 vcc_lo, 3, v76
	v_cmp_eq_u32_e64 s4, 3, v77
	v_cndmask_b32_e64 v5, v9, v10, s6
	v_cndmask_b32_e64 v6, v13, v14, s6
	;; [unrolled: 1-line block ×4, first 2 shown]
	v_cndmask_b32_e32 v17, v19, v10, vcc_lo
	v_cmp_eq_u32_e64 s3, 4, v76
	v_cndmask_b32_e32 v18, v20, v14, vcc_lo
	v_cndmask_b32_e64 v1, v1, v10, s4
	v_cmp_eq_u32_e32 vcc_lo, 4, v77
	v_cmp_eq_u32_e64 s5, 4, v75
	v_cndmask_b32_e64 v2, v2, v14, s4
	v_cmp_eq_u32_e64 s4, 4, v78
	v_lshrrev_b32_e32 v15, 16, v7
	v_cmp_eq_u32_e64 s6, 5, v75
	v_cndmask_b32_e64 v5, v5, v3, s5
	v_cndmask_b32_e64 v6, v6, v7, s5
	;; [unrolled: 1-line block ×3, first 2 shown]
	v_cmp_eq_u32_e64 s5, 5, v78
	v_cndmask_b32_e64 v10, v13, v7, s4
	v_cndmask_b32_e64 v13, v17, v3, s3
	;; [unrolled: 1-line block ×3, first 2 shown]
	v_cmp_eq_u32_e64 s4, 5, v76
	v_cndmask_b32_e32 v1, v1, v3, vcc_lo
	v_cndmask_b32_e32 v2, v2, v7, vcc_lo
	v_cmp_eq_u32_e32 vcc_lo, 5, v77
	v_cndmask_b32_e64 v5, v5, v11, s6
	v_cmp_eq_u32_e64 s3, 6, v75
	v_cndmask_b32_e64 v6, v6, v15, s6
	v_cndmask_b32_e64 v9, v9, v11, s5
	;; [unrolled: 1-line block ×4, first 2 shown]
	v_cmp_eq_u32_e64 s5, 6, v78
	v_cndmask_b32_e64 v3, v14, v15, s4
	v_cndmask_b32_e32 v1, v1, v11, vcc_lo
	v_cmp_eq_u32_e64 s4, 6, v77
	v_cndmask_b32_e32 v2, v2, v15, vcc_lo
	v_lshrrev_b32_e32 v12, 16, v4
	v_cndmask_b32_e64 v5, v5, v4, s3
	v_cndmask_b32_e64 v9, v9, v4, s5
	;; [unrolled: 1-line block ×3, first 2 shown]
	v_cmp_eq_u32_e64 s3, 7, v75
	v_cmp_eq_u32_e64 s6, 7, v78
	v_cndmask_b32_e64 v7, v13, v4, s7
	v_cndmask_b32_e64 v3, v3, v8, s7
	;; [unrolled: 1-line block ×3, first 2 shown]
	v_cmp_eq_u32_e32 vcc_lo, 7, v77
	v_cndmask_b32_e64 v2, v2, v8, s4
	v_cmp_eq_u32_e64 s4, 7, v76
	v_cndmask_b32_e64 v4, v10, v8, s5
	v_cndmask_b32_e64 v5, v5, v12, s3
	;; [unrolled: 1-line block ×3, first 2 shown]
	v_cndmask_b32_e32 v2, v2, v16, vcc_lo
	v_cndmask_b32_e64 v7, v7, v12, s4
	v_cndmask_b32_e32 v1, v1, v12, vcc_lo
	v_cndmask_b32_e64 v3, v3, v16, s4
	v_cndmask_b32_e64 v8, v4, v16, s6
	;; [unrolled: 1-line block ×3, first 2 shown]
	v_cmp_gt_u32_e32 vcc_lo, 32, v0
	v_perm_b32 v4, v2, v1, 0x5040100
	v_perm_b32 v3, v3, v7, 0x5040100
	;; [unrolled: 1-line block ×4, first 2 shown]
	s_and_b32 s2, vcc_lo, s2
	ds_store_b128 v80, v[1:4]
	s_waitcnt lgkmcnt(0)
	s_barrier
	buffer_gl0_inv
	s_and_saveexec_b32 s3, s2
	s_cbranch_execz .LBB946_2
; %bb.14:
	s_load_b64 s[0:1], s[0:1], 0x68
	v_lshlrev_b32_e32 v1, 10, v0
	v_and_b32_e32 v0, 1, v0
	v_lshlrev_b32_e32 v2, 6, v74
	s_lshl_b32 s4, s36, 7
	s_delay_alu instid0(VALU_DEP_3) | instskip(NEXT) | instid1(VALU_DEP_3)
	v_and_b32_e32 v1, 0x3800, v1
	v_lshlrev_b32_e32 v0, 4, v0
	s_mul_i32 s2, s4, s34
	s_delay_alu instid0(SALU_CYCLE_1) | instskip(NEXT) | instid1(VALU_DEP_1)
	s_mul_i32 s2, s2, s37
	v_or3_b32 v0, v1, v2, v0
	s_ashr_i32 s3, s2, 31
	s_delay_alu instid0(SALU_CYCLE_1)
	s_lshl_b64 s[2:3], s[2:3], 1
	ds_load_b128 v[0:3], v0
	s_waitcnt lgkmcnt(0)
	s_add_u32 s5, s0, s2
	s_addc_u32 s3, s1, s3
	s_lshl_b32 s0, s14, 7
	s_mul_i32 s2, s4, s15
	s_ashr_i32 s1, s0, 31
	s_delay_alu instid0(SALU_CYCLE_1) | instskip(NEXT) | instid1(SALU_CYCLE_1)
	s_lshl_b64 s[0:1], s[0:1], 1
	s_add_u32 s4, s5, s0
	s_addc_u32 s5, s3, s1
	s_ashr_i32 s3, s2, 31
	s_delay_alu instid0(SALU_CYCLE_1) | instskip(NEXT) | instid1(SALU_CYCLE_1)
	s_lshl_b64 s[0:1], s[2:3], 1
	s_add_u32 s0, s4, s0
	s_addc_u32 s1, s5, s1
	global_store_b128 v73, v[0:3], s[0:1]
	s_nop 0
	s_sendmsg sendmsg(MSG_DEALLOC_VGPRS)
	s_endpgm
	.section	.rodata,"a",@progbits
	.p2align	6, 0x0
	.amdhsa_kernel _Z39paged_attention_ll4mi_QKV_mfma16_kernelIDF16_hLN4vllm18Fp8KVCacheDataTypeE1EhLi16ELi128ELi256ELb1ELi1EL8MFMAType1EEvPKT_PKT0_S8_ifPKiSA_SA_iPKfiiiPfSD_PS3_PT2_iSC_SC_
		.amdhsa_group_segment_fixed_size 17472
		.amdhsa_private_segment_fixed_size 0
		.amdhsa_kernarg_size 400
		.amdhsa_user_sgpr_count 13
		.amdhsa_user_sgpr_dispatch_ptr 0
		.amdhsa_user_sgpr_queue_ptr 0
		.amdhsa_user_sgpr_kernarg_segment_ptr 1
		.amdhsa_user_sgpr_dispatch_id 0
		.amdhsa_user_sgpr_private_segment_size 0
		.amdhsa_wavefront_size32 1
		.amdhsa_uses_dynamic_stack 0
		.amdhsa_enable_private_segment 0
		.amdhsa_system_sgpr_workgroup_id_x 1
		.amdhsa_system_sgpr_workgroup_id_y 1
		.amdhsa_system_sgpr_workgroup_id_z 1
		.amdhsa_system_sgpr_workgroup_info 0
		.amdhsa_system_vgpr_workitem_id 0
		.amdhsa_next_free_vgpr 134
		.amdhsa_next_free_sgpr 66
		.amdhsa_reserve_vcc 1
		.amdhsa_float_round_mode_32 0
		.amdhsa_float_round_mode_16_64 0
		.amdhsa_float_denorm_mode_32 3
		.amdhsa_float_denorm_mode_16_64 3
		.amdhsa_dx10_clamp 1
		.amdhsa_ieee_mode 1
		.amdhsa_fp16_overflow 0
		.amdhsa_workgroup_processor_mode 1
		.amdhsa_memory_ordered 1
		.amdhsa_forward_progress 0
		.amdhsa_shared_vgpr_count 0
		.amdhsa_exception_fp_ieee_invalid_op 0
		.amdhsa_exception_fp_denorm_src 0
		.amdhsa_exception_fp_ieee_div_zero 0
		.amdhsa_exception_fp_ieee_overflow 0
		.amdhsa_exception_fp_ieee_underflow 0
		.amdhsa_exception_fp_ieee_inexact 0
		.amdhsa_exception_int_div_zero 0
	.end_amdhsa_kernel
	.section	.text._Z39paged_attention_ll4mi_QKV_mfma16_kernelIDF16_hLN4vllm18Fp8KVCacheDataTypeE1EhLi16ELi128ELi256ELb1ELi1EL8MFMAType1EEvPKT_PKT0_S8_ifPKiSA_SA_iPKfiiiPfSD_PS3_PT2_iSC_SC_,"axG",@progbits,_Z39paged_attention_ll4mi_QKV_mfma16_kernelIDF16_hLN4vllm18Fp8KVCacheDataTypeE1EhLi16ELi128ELi256ELb1ELi1EL8MFMAType1EEvPKT_PKT0_S8_ifPKiSA_SA_iPKfiiiPfSD_PS3_PT2_iSC_SC_,comdat
.Lfunc_end946:
	.size	_Z39paged_attention_ll4mi_QKV_mfma16_kernelIDF16_hLN4vllm18Fp8KVCacheDataTypeE1EhLi16ELi128ELi256ELb1ELi1EL8MFMAType1EEvPKT_PKT0_S8_ifPKiSA_SA_iPKfiiiPfSD_PS3_PT2_iSC_SC_, .Lfunc_end946-_Z39paged_attention_ll4mi_QKV_mfma16_kernelIDF16_hLN4vllm18Fp8KVCacheDataTypeE1EhLi16ELi128ELi256ELb1ELi1EL8MFMAType1EEvPKT_PKT0_S8_ifPKiSA_SA_iPKfiiiPfSD_PS3_PT2_iSC_SC_
                                        ; -- End function
	.section	.AMDGPU.csdata,"",@progbits
; Kernel info:
; codeLenInByte = 6440
; NumSgprs: 68
; NumVgprs: 134
; ScratchSize: 0
; MemoryBound: 1
; FloatMode: 240
; IeeeMode: 1
; LDSByteSize: 17472 bytes/workgroup (compile time only)
; SGPRBlocks: 8
; VGPRBlocks: 16
; NumSGPRsForWavesPerEU: 68
; NumVGPRsForWavesPerEU: 134
; Occupancy: 10
; WaveLimiterHint : 1
; COMPUTE_PGM_RSRC2:SCRATCH_EN: 0
; COMPUTE_PGM_RSRC2:USER_SGPR: 13
; COMPUTE_PGM_RSRC2:TRAP_HANDLER: 0
; COMPUTE_PGM_RSRC2:TGID_X_EN: 1
; COMPUTE_PGM_RSRC2:TGID_Y_EN: 1
; COMPUTE_PGM_RSRC2:TGID_Z_EN: 1
; COMPUTE_PGM_RSRC2:TIDIG_COMP_CNT: 0
	.section	.text._Z39paged_attention_ll4mi_QKV_mfma16_kernelIDF16_hLN4vllm18Fp8KVCacheDataTypeE1EhLi16ELi128ELi256ELb1ELi2EL8MFMAType1EEvPKT_PKT0_S8_ifPKiSA_SA_iPKfiiiPfSD_PS3_PT2_iSC_SC_,"axG",@progbits,_Z39paged_attention_ll4mi_QKV_mfma16_kernelIDF16_hLN4vllm18Fp8KVCacheDataTypeE1EhLi16ELi128ELi256ELb1ELi2EL8MFMAType1EEvPKT_PKT0_S8_ifPKiSA_SA_iPKfiiiPfSD_PS3_PT2_iSC_SC_,comdat
	.protected	_Z39paged_attention_ll4mi_QKV_mfma16_kernelIDF16_hLN4vllm18Fp8KVCacheDataTypeE1EhLi16ELi128ELi256ELb1ELi2EL8MFMAType1EEvPKT_PKT0_S8_ifPKiSA_SA_iPKfiiiPfSD_PS3_PT2_iSC_SC_ ; -- Begin function _Z39paged_attention_ll4mi_QKV_mfma16_kernelIDF16_hLN4vllm18Fp8KVCacheDataTypeE1EhLi16ELi128ELi256ELb1ELi2EL8MFMAType1EEvPKT_PKT0_S8_ifPKiSA_SA_iPKfiiiPfSD_PS3_PT2_iSC_SC_
	.globl	_Z39paged_attention_ll4mi_QKV_mfma16_kernelIDF16_hLN4vllm18Fp8KVCacheDataTypeE1EhLi16ELi128ELi256ELb1ELi2EL8MFMAType1EEvPKT_PKT0_S8_ifPKiSA_SA_iPKfiiiPfSD_PS3_PT2_iSC_SC_
	.p2align	8
	.type	_Z39paged_attention_ll4mi_QKV_mfma16_kernelIDF16_hLN4vllm18Fp8KVCacheDataTypeE1EhLi16ELi128ELi256ELb1ELi2EL8MFMAType1EEvPKT_PKT0_S8_ifPKiSA_SA_iPKfiiiPfSD_PS3_PT2_iSC_SC_,@function
_Z39paged_attention_ll4mi_QKV_mfma16_kernelIDF16_hLN4vllm18Fp8KVCacheDataTypeE1EhLi16ELi128ELi256ELb1ELi2EL8MFMAType1EEvPKT_PKT0_S8_ifPKiSA_SA_iPKfiiiPfSD_PS3_PT2_iSC_SC_: ; @_Z39paged_attention_ll4mi_QKV_mfma16_kernelIDF16_hLN4vllm18Fp8KVCacheDataTypeE1EhLi16ELi128ELi256ELb1ELi2EL8MFMAType1EEvPKT_PKT0_S8_ifPKiSA_SA_iPKfiiiPfSD_PS3_PT2_iSC_SC_
; %bb.0:
	s_load_b64 s[2:3], s[0:1], 0x30
	s_mov_b32 s34, s13
	s_waitcnt lgkmcnt(0)
	s_cmp_lg_u64 s[2:3], 0
	s_cselect_b32 s8, -1, 0
	s_ashr_i32 s35, s13, 31
	s_cmp_eq_u64 s[2:3], 0
	s_cbranch_scc1 .LBB947_3
; %bb.1:
	s_lshl_b64 s[4:5], s[34:35], 2
	s_delay_alu instid0(SALU_CYCLE_1) | instskip(SKIP_4) | instid1(SALU_CYCLE_1)
	s_add_u32 s4, s2, s4
	s_addc_u32 s5, s3, s5
	s_load_b64 s[4:5], s[4:5], 0x0
	s_waitcnt lgkmcnt(0)
	s_sub_i32 s4, s5, s4
	s_cmp_eq_u32 s4, 1
	s_cselect_b32 s4, -1, 0
	s_delay_alu instid0(SALU_CYCLE_1)
	s_and_not1_b32 vcc_lo, exec_lo, s4
	s_cbranch_vccz .LBB947_4
.LBB947_2:
	s_endpgm
.LBB947_3:
.LBB947_4:
	s_load_b64 s[4:5], s[0:1], 0x28
	s_lshl_b64 s[6:7], s[34:35], 2
	s_waitcnt lgkmcnt(0)
	s_add_u32 s4, s4, s6
	s_addc_u32 s5, s5, s7
	s_lshl_b32 s12, s14, 8
	s_load_b32 s24, s[4:5], 0x0
	s_waitcnt lgkmcnt(0)
	s_cmp_ge_i32 s12, s24
	s_cbranch_scc1 .LBB947_2
; %bb.5:
	s_clause 0x1
	s_load_b128 s[20:23], s[0:1], 0x8
	s_load_b64 s[4:5], s[0:1], 0x20
	s_and_not1_b32 vcc_lo, exec_lo, s8
	s_cbranch_vccnz .LBB947_7
; %bb.6:
	s_add_u32 s2, s2, s6
	s_addc_u32 s3, s3, s7
	s_load_b32 s3, s[2:3], 0x0
	s_branch .LBB947_8
.LBB947_7:
	s_mov_b32 s3, s34
.LBB947_8:
	s_load_b128 s[16:19], s[0:1], 0x48
	v_and_b32_e32 v70, 15, v0
	v_bfe_u32 v69, v0, 4, 1
	s_lshl_b32 s31, s15, 1
	v_and_b32_e32 v71, 31, v0
	v_and_b32_e32 v68, 1, v0
	v_lshlrev_b32_e32 v1, 3, v70
	v_cmp_gt_u32_e64 s2, 32, v0
	v_or_b32_e32 v67, s31, v69
	v_lshlrev_b32_e32 v66, 6, v69
	s_delay_alu instid0(VALU_DEP_4) | instskip(NEXT) | instid1(VALU_DEP_4)
	v_lshlrev_b32_e32 v65, 1, v1
	s_and_saveexec_b32 s6, s2
	s_cbranch_execz .LBB947_10
; %bb.9:
	s_load_b64 s[8:9], s[0:1], 0x0
	v_lshlrev_b32_e32 v1, 7, v67
	s_waitcnt lgkmcnt(0)
	s_mul_hi_i32 s11, s3, s16
	s_mul_i32 s10, s3, s16
	v_lshlrev_b32_e32 v5, 10, v70
	s_lshl_b64 s[10:11], s[10:11], 1
	v_ashrrev_i32_e32 v2, 31, v1
	v_lshlrev_b32_e32 v6, 10, v68
	s_delay_alu instid0(VALU_DEP_3) | instskip(NEXT) | instid1(VALU_DEP_3)
	v_and_b32_e32 v5, 0x3800, v5
	v_lshlrev_b64 v[1:2], 1, v[1:2]
	s_delay_alu instid0(VALU_DEP_2) | instskip(SKIP_2) | instid1(VALU_DEP_2)
	v_or3_b32 v5, v5, v6, v66
	s_add_u32 s3, s8, s10
	s_addc_u32 s7, s9, s11
	v_add_co_u32 v1, vcc_lo, s3, v1
	s_delay_alu instid0(VALU_DEP_3) | instskip(NEXT) | instid1(VALU_DEP_2)
	v_add_co_ci_u32_e32 v2, vcc_lo, s7, v2, vcc_lo
	v_add_co_u32 v1, vcc_lo, v1, v65
	s_delay_alu instid0(VALU_DEP_2)
	v_add_co_ci_u32_e32 v2, vcc_lo, 0, v2, vcc_lo
	global_load_b128 v[1:4], v[1:2], off
	s_waitcnt vmcnt(0)
	ds_store_b128 v5, v[1:4]
.LBB947_10:
	s_or_b32 exec_lo, exec_lo, s6
	v_and_b32_e32 v1, 0xef, v0
	s_waitcnt lgkmcnt(0)
	s_add_i32 s3, s24, 15
	s_clause 0x1
	s_load_b32 s6, s[0:1], 0x38
	s_load_b32 s33, s[0:1], 0x98
	s_ashr_i32 s7, s3, 31
	v_add_nc_u32_e32 v1, s12, v1
	s_lshr_b32 s7, s7, 28
	s_load_b32 s19, s[0:1], 0x1c
	s_add_i32 s3, s3, s7
	s_waitcnt lgkmcnt(0)
	v_ashrrev_i32_e32 v2, 31, v1
	v_or_b32_e32 v3, 16, v1
	s_ashr_i32 s3, s3, 4
	v_cmp_gt_i32_e32 vcc_lo, s24, v1
	s_add_i32 s3, s3, -1
	v_lshrrev_b32_e32 v2, 28, v2
	s_barrier
	buffer_gl0_inv
	s_mul_i32 s15, s15, s18
	v_lshlrev_b32_e32 v145, 6, v68
	v_add_nc_u32_e32 v4, v1, v2
	v_lshrrev_b32_e32 v72, 5, v0
	s_mul_i32 s6, s34, s6
	s_delay_alu instid0(SALU_CYCLE_1) | instskip(NEXT) | instid1(VALU_DEP_2)
	s_ashr_i32 s7, s6, 31
	v_ashrrev_i32_e32 v4, 4, v4
	v_add_nc_u32_e32 v2, v3, v2
	s_lshl_b64 s[6:7], s[6:7], 2
	s_delay_alu instid0(SALU_CYCLE_1) | instskip(NEXT) | instid1(VALU_DEP_2)
	s_add_u32 s13, s4, s6
	v_cndmask_b32_e32 v1, s3, v4, vcc_lo
	s_delay_alu instid0(VALU_DEP_2)
	v_ashrrev_i32_e32 v2, 4, v2
	v_cmp_gt_i32_e32 vcc_lo, s24, v3
	s_addc_u32 s16, s5, s7
	s_ashr_i32 s18, s15, 31
	s_add_u32 s25, s20, s15
	s_addc_u32 s28, s21, s18
	v_cndmask_b32_e32 v3, s3, v2, vcc_lo
	v_ashrrev_i32_e32 v2, 31, v1
	s_lshl_b32 s4, s14, 4
	s_delay_alu instid0(SALU_CYCLE_1) | instskip(NEXT) | instid1(VALU_DEP_2)
	s_ashr_i32 s5, s4, 31
	v_ashrrev_i32_e32 v4, 31, v3
	s_delay_alu instid0(VALU_DEP_2) | instskip(SKIP_1) | instid1(SALU_CYCLE_1)
	v_lshlrev_b64 v[1:2], 2, v[1:2]
	s_lshl_b64 s[4:5], s[4:5], 2
	s_add_u32 s4, s13, s4
	s_delay_alu instid0(VALU_DEP_2) | instskip(SKIP_1) | instid1(VALU_DEP_2)
	v_lshlrev_b64 v[3:4], 2, v[3:4]
	s_addc_u32 s5, s16, s5
	v_add_co_u32 v1, vcc_lo, s13, v1
	v_add_co_ci_u32_e32 v2, vcc_lo, s16, v2, vcc_lo
	s_delay_alu instid0(VALU_DEP_3) | instskip(NEXT) | instid1(VALU_DEP_4)
	v_add_co_u32 v3, vcc_lo, s13, v3
	v_add_co_ci_u32_e32 v4, vcc_lo, s16, v4, vcc_lo
	s_clause 0x1
	global_load_b32 v5, v[1:2], off
	global_load_b32 v7, v[3:4], off
	s_or_b32 s6, s12, 32
	v_lshlrev_b32_e32 v1, 4, v0
	s_ashr_i32 s7, s6, 4
	s_cmp_lt_i32 s6, s24
	s_cselect_b32 s6, s7, s3
	s_delay_alu instid0(VALU_DEP_1) | instskip(SKIP_1) | instid1(SALU_CYCLE_1)
	v_and_b32_e32 v1, 0xf0, v1
	s_ashr_i32 s7, s6, 31
	s_lshl_b64 s[6:7], s[6:7], 2
	s_delay_alu instid0(SALU_CYCLE_1)
	s_add_u32 s6, s13, s6
	s_addc_u32 s7, s16, s7
	s_or_b32 s8, s12, 64
	v_add_co_u32 v1, s25, s25, v1
	s_ashr_i32 s9, s8, 4
	s_cmp_lt_i32 s8, s24
	v_add_co_ci_u32_e64 v2, null, s28, 0, s25
	s_cselect_b32 s8, s9, s3
	s_delay_alu instid0(SALU_CYCLE_1) | instskip(NEXT) | instid1(SALU_CYCLE_1)
	s_ashr_i32 s9, s8, 31
	s_lshl_b64 s[8:9], s[8:9], 2
	s_delay_alu instid0(SALU_CYCLE_1) | instskip(SKIP_2) | instid1(SALU_CYCLE_1)
	s_add_u32 s8, s13, s8
	s_addc_u32 s9, s16, s9
	s_or_b32 s10, s12, 0x60
	s_ashr_i32 s11, s10, 4
	s_cmp_lt_i32 s10, s24
	s_cselect_b32 s10, s11, s3
	s_delay_alu instid0(SALU_CYCLE_1) | instskip(NEXT) | instid1(SALU_CYCLE_1)
	s_ashr_i32 s11, s10, 31
	s_lshl_b64 s[10:11], s[10:11], 2
	s_delay_alu instid0(SALU_CYCLE_1) | instskip(SKIP_2) | instid1(SALU_CYCLE_1)
	s_add_u32 s10, s13, s10
	s_addc_u32 s11, s16, s11
	s_or_b32 s20, s12, 0x80
	s_ashr_i32 s21, s20, 4
	s_cmp_lt_i32 s20, s24
	;; [unrolled: 10-line block ×3, first 2 shown]
	s_cselect_b32 s26, s27, s3
	s_delay_alu instid0(SALU_CYCLE_1) | instskip(NEXT) | instid1(SALU_CYCLE_1)
	s_ashr_i32 s27, s26, 31
	s_lshl_b64 s[26:27], s[26:27], 2
	s_delay_alu instid0(SALU_CYCLE_1)
	s_add_u32 s26, s13, s26
	s_addc_u32 s27, s16, s27
	s_clause 0x5
	s_load_b32 s25, s[4:5], 0x0
	s_load_b32 s28, s[6:7], 0x0
	s_load_b32 s29, s[8:9], 0x0
	s_load_b32 s30, s[10:11], 0x0
	s_load_b32 s35, s[20:21], 0x0
	s_load_b32 s26, s[26:27], 0x0
	s_or_b32 s7, s12, 0xc0
	s_mov_b32 s4, 0
	s_ashr_i32 s8, s7, 4
	s_cmp_lt_i32 s7, s24
	s_mov_b32 s5, s4
	s_cselect_b32 s10, s8, s3
	s_mov_b32 s6, s4
	s_ashr_i32 s11, s10, 31
	s_mov_b32 s7, s4
	s_lshl_b64 s[20:21], s[10:11], 2
	s_mov_b32 s11, s4
	s_add_u32 s20, s13, s20
	s_addc_u32 s21, s16, s21
	s_or_b32 s27, s12, 0xe0
	s_mov_b32 s8, s4
	s_ashr_i32 s36, s27, 4
	s_mov_b32 s9, s4
	s_mov_b32 s10, s4
	s_cmp_lt_i32 s27, s24
	v_mov_b32_e32 v120, s11
	v_dual_mov_b32 v114, s5 :: v_dual_mov_b32 v119, s10
	v_dual_mov_b32 v118, s9 :: v_dual_mov_b32 v117, s8
	;; [unrolled: 1-line block ×3, first 2 shown]
	v_mov_b32_e32 v113, s4
	s_cselect_b32 s4, s36, s3
	s_delay_alu instid0(SALU_CYCLE_1) | instskip(NEXT) | instid1(SALU_CYCLE_1)
	s_ashr_i32 s5, s4, 31
	s_lshl_b64 s[4:5], s[4:5], 2
	s_delay_alu instid0(SALU_CYCLE_1)
	s_add_u32 s4, s13, s4
	s_addc_u32 s5, s16, s5
	s_add_u32 s6, s22, s15
	s_addc_u32 s7, s23, s18
	s_waitcnt vmcnt(1)
	v_mad_i64_i32 v[3:4], null, v5, s17, v[1:2]
	s_waitcnt vmcnt(0)
	v_mad_i64_i32 v[5:6], null, v7, s17, v[1:2]
	v_lshlrev_b32_e32 v1, 4, v70
	s_clause 0xf
	global_load_b128 v[9:12], v[3:4], off
	global_load_b128 v[13:16], v[3:4], off offset:256
	global_load_b128 v[17:20], v[5:6], off
	global_load_b128 v[21:24], v[5:6], off offset:256
	global_load_b128 v[57:60], v[3:4], off offset:512
	;; [unrolled: 1-line block ×13, first 2 shown]
	ds_load_b128 v[25:28], v145
	ds_load_b128 v[29:32], v145 offset:1024
	s_load_b32 s3, s[20:21], 0x0
	ds_load_b128 v[121:124], v145 offset:2048
	ds_load_b128 v[125:128], v145 offset:3072
	s_load_b32 s4, s[4:5], 0x0
	v_lshl_or_b32 v1, v72, 8, v1
	s_delay_alu instid0(VALU_DEP_1) | instskip(NEXT) | instid1(VALU_DEP_1)
	v_add_co_u32 v129, s6, s6, v1
	v_add_co_ci_u32_e64 v130, null, s7, 0, s6
	s_waitcnt lgkmcnt(0)
	s_delay_alu instid0(VALU_DEP_1)
	v_mad_i64_i32 v[1:2], null, s25, s17, v[129:130]
	v_mad_i64_i32 v[3:4], null, s28, s17, v[129:130]
	v_mad_i64_i32 v[137:138], null, s35, s17, v[129:130]
	v_mad_i64_i32 v[5:6], null, s29, s17, v[129:130]
	v_mad_i64_i32 v[139:140], null, s26, s17, v[129:130]
	v_mad_i64_i32 v[7:8], null, s30, s17, v[129:130]
	v_mad_i64_i32 v[141:142], null, s3, s17, v[129:130]
	v_mad_i64_i32 v[143:144], null, s4, s17, v[129:130]
	s_clause 0x7
	global_load_b128 v[49:52], v[1:2], off
	global_load_b128 v[53:56], v[1:2], off offset:16
	global_load_b128 v[41:44], v[3:4], off
	global_load_b128 v[45:48], v[3:4], off offset:16
	;; [unrolled: 2-line block ×4, first 2 shown]
	s_waitcnt vmcnt(22)
	v_wmma_f32_16x16x16_f16 v[129:136], v[9:16], v[25:32], v[113:120]
	s_waitcnt vmcnt(20)
	v_wmma_f32_16x16x16_f16 v[113:120], v[17:24], v[25:32], v[113:120]
	s_clause 0x5
	global_load_b128 v[9:12], v[137:138], off
	global_load_b128 v[13:16], v[137:138], off offset:16
	global_load_b128 v[17:20], v[139:140], off
	global_load_b128 v[21:24], v[139:140], off offset:16
	global_load_b128 v[25:28], v[141:142], off
	global_load_b128 v[29:32], v[141:142], off offset:16
	v_mbcnt_lo_u32_b32 v137, -1, 0
	s_waitcnt vmcnt(24)
	v_wmma_f32_16x16x16_f16 v[129:136], v[57:64], v[121:128], v[129:136]
	s_clause 0x1
	global_load_b128 v[57:60], v[143:144], off
	global_load_b128 v[61:64], v[143:144], off offset:16
	s_waitcnt vmcnt(24)
	v_wmma_f32_16x16x16_f16 v[113:120], v[73:80], v[121:128], v[113:120]
	ds_load_b128 v[73:76], v145 offset:4096
	ds_load_b128 v[77:80], v145 offset:5120
	v_and_b32_e32 v121, 0xe0, v0
	v_xor_b32_e32 v139, 16, v137
	s_delay_alu instid0(VALU_DEP_2)
	v_add_nc_u32_e32 v138, s12, v121
	ds_load_b128 v[121:124], v145 offset:6144
	ds_load_b128 v[125:128], v145 offset:7168
	v_cmp_gt_i32_e32 vcc_lo, 32, v139
	s_waitcnt vmcnt(0) lgkmcnt(0)
	s_barrier
	v_or_b32_e32 v138, v138, v69
	buffer_gl0_inv
	v_or_b32_e32 v140, 4, v138
	v_or_b32_e32 v141, 6, v138
	;; [unrolled: 1-line block ×3, first 2 shown]
	v_wmma_f32_16x16x16_f16 v[129:136], v[81:88], v[73:80], v[129:136]
	v_wmma_f32_16x16x16_f16 v[113:120], v[89:96], v[73:80], v[113:120]
	v_or_b32_e32 v81, 10, v138
	v_cmp_gt_i32_e64 s4, s24, v140
	v_cmp_gt_i32_e64 s5, s24, v141
	v_or_b32_e32 v82, 12, v138
	v_or_b32_e32 v83, 14, v138
	v_wmma_f32_16x16x16_f16 v[129:136], v[97:104], v[121:128], v[129:136]
	v_wmma_f32_16x16x16_f16 v[113:120], v[105:112], v[121:128], v[113:120]
	v_cndmask_b32_e32 v137, v137, v139, vcc_lo
	v_or_b32_e32 v139, 2, v138
	v_cmp_gt_i32_e32 vcc_lo, s24, v138
	v_mul_f32_e32 v90, s19, v130
	v_dual_mul_f32 v92, s19, v120 :: v_dual_mul_f32 v91, s19, v129
	s_delay_alu instid0(VALU_DEP_4) | instskip(SKIP_2) | instid1(VALU_DEP_4)
	v_cmp_gt_i32_e64 s3, s24, v139
	v_dual_mul_f32 v80, s19, v132 :: v_dual_mul_f32 v89, s19, v131
	v_mul_f32_e32 v78, s19, v134
	v_cndmask_b32_e32 v91, 0xff7fffff, v91, vcc_lo
	s_delay_alu instid0(VALU_DEP_4) | instskip(SKIP_3) | instid1(VALU_DEP_4)
	v_cndmask_b32_e64 v90, 0xff7fffff, v90, s3
	v_dual_mul_f32 v79, s19, v133 :: v_dual_mul_f32 v98, s19, v114
	v_cndmask_b32_e64 v89, 0xff7fffff, v89, s4
	v_cndmask_b32_e64 v80, 0xff7fffff, v80, s5
	v_max3_f32 v90, v91, 0xff7fffff, v90
	v_cmp_gt_i32_e64 s6, s24, v142
	v_cmp_gt_i32_e64 s7, s24, v81
	v_or_b32_e32 v84, 16, v138
	v_or_b32_e32 v85, 18, v138
	v_dual_mul_f32 v76, s19, v136 :: v_dual_mul_f32 v77, s19, v135
	v_mul_f32_e32 v96, s19, v116
	v_cndmask_b32_e64 v79, 0xff7fffff, v79, s6
	v_cndmask_b32_e64 v78, 0xff7fffff, v78, s7
	v_max3_f32 v80, v90, v89, v80
	v_cmp_gt_i32_e64 s8, s24, v82
	v_cmp_gt_i32_e64 s9, s24, v83
	v_or_b32_e32 v86, 20, v138
	v_or_b32_e32 v87, 22, v138
	v_mul_f32_e32 v99, s19, v113
	v_cndmask_b32_e64 v77, 0xff7fffff, v77, s8
	v_cndmask_b32_e64 v76, 0xff7fffff, v76, s9
	v_max3_f32 v78, v80, v79, v78
	v_cmp_gt_i32_e64 s10, s24, v84
	v_cmp_gt_i32_e64 s11, s24, v85
	v_or_b32_e32 v88, 24, v138
	v_or_b32_e32 v73, 26, v138
	v_mul_f32_e32 v97, s19, v115
	v_cndmask_b32_e64 v79, 0xff7fffff, v99, s10
	v_cndmask_b32_e64 v80, 0xff7fffff, v98, s11
	v_max3_f32 v76, v78, v77, v76
	v_cmp_gt_i32_e64 s12, s24, v86
	v_cmp_gt_i32_e64 s13, s24, v87
	v_or_b32_e32 v74, 28, v138
	v_or_b32_e32 v75, 30, v138
	v_dual_mul_f32 v94, s19, v118 :: v_dual_mul_f32 v95, s19, v117
	v_cndmask_b32_e64 v77, 0xff7fffff, v97, s12
	v_cndmask_b32_e64 v78, 0xff7fffff, v96, s13
	v_max3_f32 v76, v76, v79, v80
	v_cmp_gt_i32_e64 s15, s24, v88
	v_cmp_gt_i32_e64 s16, s24, v73
	v_mul_f32_e32 v93, s19, v119
	v_cmp_gt_i32_e64 s17, s24, v74
	v_max3_f32 v76, v76, v77, v78
	v_cndmask_b32_e64 v79, 0xff7fffff, v95, s15
	v_cndmask_b32_e64 v73, 0xff7fffff, v94, s16
	v_cmp_gt_i32_e64 s18, s24, v75
	v_cndmask_b32_e64 v74, 0xff7fffff, v93, s17
	s_delay_alu instid0(VALU_DEP_3) | instskip(NEXT) | instid1(VALU_DEP_3)
	v_max3_f32 v73, v76, v79, v73
	v_cndmask_b32_e64 v75, 0xff7fffff, v92, s18
	v_lshlrev_b32_e32 v76, 2, v137
	s_delay_alu instid0(VALU_DEP_2) | instskip(SKIP_3) | instid1(VALU_DEP_1)
	v_max3_f32 v73, v73, v74, v75
	ds_bpermute_b32 v74, v76, v73
	s_waitcnt lgkmcnt(0)
	v_max_f32_e32 v74, v74, v74
	v_max_f32_e32 v73, v73, v74
	s_delay_alu instid0(VALU_DEP_1) | instskip(SKIP_4) | instid1(VALU_DEP_4)
	v_fma_f32 v74, s19, v129, -v73
	v_fma_f32 v83, s19, v135, -v73
	;; [unrolled: 1-line block ×5, first 2 shown]
	v_dual_mul_f32 v74, 0x3fb8aa3b, v74 :: v_dual_mul_f32 v83, 0x3fb8aa3b, v83
	s_delay_alu instid0(VALU_DEP_4) | instskip(NEXT) | instid1(VALU_DEP_4)
	v_mul_f32_e32 v75, 0x3fb8aa3b, v75
	v_mul_f32_e32 v77, 0x3fb8aa3b, v77
	v_fma_f32 v80, s19, v133, -v73
	s_delay_alu instid0(VALU_DEP_4)
	v_exp_f32_e32 v74, v74
	v_exp_f32_e32 v85, v83
	;; [unrolled: 1-line block ×3, first 2 shown]
	v_mul_f32_e32 v78, 0x3fb8aa3b, v78
	v_exp_f32_e32 v77, v77
	v_mul_f32_e32 v80, 0x3fb8aa3b, v80
	s_delay_alu instid0(VALU_DEP_2) | instskip(NEXT) | instid1(VALU_DEP_1)
	v_exp_f32_e32 v82, v78
	v_exp_f32_e32 v84, v80
	v_cndmask_b32_e64 v85, 0, v85, s8
	v_cndmask_b32_e32 v79, 0, v74, vcc_lo
	v_fma_f32 v74, s19, v134, -v73
	v_cndmask_b32_e64 v78, 0, v75, s3
	s_delay_alu instid0(TRANS32_DEP_3) | instskip(SKIP_1) | instid1(VALU_DEP_3)
	v_cndmask_b32_e64 v81, 0, v77, s4
	s_mov_b32 s3, exec_lo
	v_dual_add_f32 v75, 0, v79 :: v_dual_mul_f32 v74, 0x3fb8aa3b, v74
	s_delay_alu instid0(TRANS32_DEP_2) | instskip(SKIP_2) | instid1(VALU_DEP_4)
	v_cndmask_b32_e64 v80, 0, v82, s5
	v_fma_f32 v82, s19, v113, -v73
	v_cndmask_b32_e64 v83, 0, v84, s6
	v_add_f32_e32 v75, v75, v78
	v_exp_f32_e32 v74, v74
	s_delay_alu instid0(VALU_DEP_1) | instskip(NEXT) | instid1(VALU_DEP_1)
	v_dual_mul_f32 v86, 0x3fb8aa3b, v82 :: v_dual_add_f32 v75, v75, v81
	v_exp_f32_e32 v86, v86
	s_delay_alu instid0(VALU_DEP_1)
	v_add_f32_e32 v75, v75, v80
	s_waitcnt_depctr 0xfff
	v_cndmask_b32_e64 v82, 0, v74, s7
	v_add_f32_e32 v74, v75, v83
	v_fma_f32 v77, s19, v136, -v73
	v_fma_f32 v90, s19, v118, -v73
	v_fma_f32 v84, s19, v114, -v73
	v_fma_f32 v75, s19, v115, -v73
	s_delay_alu instid0(VALU_DEP_4) | instskip(NEXT) | instid1(VALU_DEP_4)
	v_dual_add_f32 v74, v74, v82 :: v_dual_mul_f32 v77, 0x3fb8aa3b, v77
	v_mul_f32_e32 v90, 0x3fb8aa3b, v90
	s_delay_alu instid0(VALU_DEP_4) | instskip(SKIP_1) | instid1(VALU_DEP_4)
	v_mul_f32_e32 v84, 0x3fb8aa3b, v84
	v_fma_f32 v87, s19, v116, -v73
	v_add_f32_e32 v74, v74, v85
	v_exp_f32_e32 v77, v77
	v_exp_f32_e32 v90, v90
	;; [unrolled: 1-line block ×3, first 2 shown]
	v_mul_f32_e32 v89, 0x3fb8aa3b, v87
	v_cndmask_b32_e64 v87, 0, v86, s10
	v_fma_f32 v92, s19, v120, -v73
	s_delay_alu instid0(VALU_DEP_3) | instskip(SKIP_1) | instid1(TRANS32_DEP_3)
	v_exp_f32_e32 v91, v89
	v_cndmask_b32_e64 v84, 0, v77, s9
	v_cndmask_b32_e64 v90, 0, v90, s16
	v_mul_f32_e32 v75, 0x3fb8aa3b, v75
	v_fma_f32 v77, s19, v117, -v73
	s_delay_alu instid0(TRANS32_DEP_2) | instskip(SKIP_3) | instid1(VALU_DEP_2)
	v_cndmask_b32_e64 v86, 0, v88, s11
	v_add_f32_e32 v74, v74, v84
	v_fma_f32 v88, s19, v119, -v73
	v_exp_f32_e32 v75, v75
	v_dual_mul_f32 v77, 0x3fb8aa3b, v77 :: v_dual_add_f32 v74, v74, v87
	s_delay_alu instid0(VALU_DEP_1) | instskip(NEXT) | instid1(VALU_DEP_1)
	v_exp_f32_e32 v77, v77
	v_add_f32_e32 v74, v74, v86
	s_waitcnt_depctr 0xfff
	v_cndmask_b32_e64 v89, 0, v75, s12
	v_mul_f32_e32 v75, 0x3fb8aa3b, v88
	v_cndmask_b32_e64 v88, 0, v91, s13
	s_delay_alu instid0(VALU_DEP_3) | instskip(NEXT) | instid1(VALU_DEP_3)
	v_add_f32_e32 v74, v74, v89
	v_exp_f32_e32 v75, v75
	v_cndmask_b32_e64 v91, 0, v77, s15
	v_mul_f32_e32 v77, 0x3fb8aa3b, v92
	s_delay_alu instid0(VALU_DEP_3) | instskip(NEXT) | instid1(VALU_DEP_2)
	v_add_f32_e32 v74, v74, v88
	v_exp_f32_e32 v77, v77
	s_delay_alu instid0(VALU_DEP_1) | instskip(SKIP_4) | instid1(VALU_DEP_2)
	v_add_f32_e32 v74, v74, v91
	s_waitcnt_depctr 0xfff
	v_cndmask_b32_e64 v93, 0, v75, s17
	v_add_f32_e32 v74, v74, v90
	v_cndmask_b32_e64 v92, 0, v77, s18
	v_add_f32_e32 v74, v74, v93
	s_delay_alu instid0(VALU_DEP_1)
	v_add_f32_e32 v74, v74, v92
	ds_bpermute_b32 v75, v76, v74
	v_cmpx_gt_u32_e32 16, v71
	s_cbranch_execz .LBB947_12
; %bb.11:
	v_mul_u32_u24_e32 v71, 0x44, v72
	s_waitcnt lgkmcnt(0)
	v_add_f32_e32 v74, v74, v75
	s_delay_alu instid0(VALU_DEP_2) | instskip(NEXT) | instid1(VALU_DEP_1)
	v_lshl_add_u32 v71, v70, 2, v71
	v_add_nc_u32_e32 v71, 0x4000, v71
	ds_store_2addr_b32 v71, v73, v74 offset1:136
.LBB947_12:
	s_or_b32 exec_lo, exec_lo, s3
	v_lshlrev_b32_e32 v71, 2, v70
	s_load_b32 s35, s[0:1], 0x94
	s_waitcnt lgkmcnt(0)
	s_barrier
	buffer_gl0_inv
	v_add_nc_u32_e32 v71, 0x4000, v71
	v_cmp_eq_u32_e32 vcc_lo, 1, v72
	v_cmp_eq_u32_e64 s3, 2, v72
	v_cmp_eq_u32_e64 s4, 3, v72
	;; [unrolled: 1-line block ×3, first 2 shown]
	ds_load_2addr_b32 v[73:74], v71 offset1:17
	ds_load_2addr_b32 v[94:95], v71 offset0:34 offset1:51
	ds_load_2addr_b32 v[96:97], v71 offset0:68 offset1:85
	;; [unrolled: 1-line block ×3, first 2 shown]
	v_cmp_eq_u32_e64 s6, 5, v72
	v_cmp_eq_u32_e64 s7, 7, v72
	s_waitcnt lgkmcnt(3)
	v_max3_f32 v75, v73, 0xff7fffff, v74
	s_waitcnt lgkmcnt(2)
	s_delay_alu instid0(VALU_DEP_1) | instskip(SKIP_1) | instid1(VALU_DEP_1)
	v_max3_f32 v75, v75, v94, v95
	s_waitcnt lgkmcnt(1)
	v_max3_f32 v75, v75, v96, v97
	s_waitcnt lgkmcnt(0)
	s_delay_alu instid0(VALU_DEP_1) | instskip(NEXT) | instid1(VALU_DEP_1)
	v_max3_f32 v76, v75, v98, v99
	v_sub_f32_e32 v96, v96, v76
	ds_load_2addr_b32 v[100:101], v71 offset0:136 offset1:153
	v_sub_f32_e32 v73, v73, v76
	v_sub_f32_e32 v75, v74, v76
	;; [unrolled: 1-line block ×3, first 2 shown]
	v_mul_f32_e32 v105, 0x3fb8aa3b, v96
	s_delay_alu instid0(VALU_DEP_4)
	v_mul_f32_e32 v77, 0x3fb8aa3b, v73
	ds_load_2addr_b32 v[73:74], v71 offset0:170 offset1:187
	v_mul_f32_e32 v103, 0x3fb8aa3b, v94
	v_exp_f32_e32 v102, v77
	v_sub_f32_e32 v77, v95, v76
	ds_load_2addr_b32 v[94:95], v71 offset0:204 offset1:221
	v_exp_f32_e32 v103, v103
	v_mul_f32_e32 v104, 0x3fb8aa3b, v77
	s_waitcnt lgkmcnt(2)
	v_fma_f32 v77, v102, v100, 0
	v_dual_sub_f32 v100, v97, v76 :: v_dual_mul_f32 v75, 0x3fb8aa3b, v75
	ds_load_2addr_b32 v[96:97], v71 offset0:238 offset1:255
	v_sub_f32_e32 v71, v98, v76
	v_exp_f32_e32 v104, v104
	v_mul_f32_e32 v98, 0x3fb8aa3b, v100
	v_exp_f32_e32 v75, v75
	v_exp_f32_e32 v100, v105
	v_mul_f32_e32 v71, 0x3fb8aa3b, v71
	s_waitcnt lgkmcnt(0)
	v_exp_f32_e32 v98, v98
	s_barrier
	buffer_gl0_inv
	v_fmac_f32_e32 v77, v75, v101
	s_delay_alu instid0(VALU_DEP_1) | instskip(SKIP_2) | instid1(VALU_DEP_2)
	v_fmac_f32_e32 v77, v103, v73
	v_sub_f32_e32 v73, v99, v76
	v_exp_f32_e32 v99, v71
	v_fmac_f32_e32 v77, v104, v74
	s_delay_alu instid0(VALU_DEP_2) | instskip(NEXT) | instid1(VALU_DEP_2)
	v_dual_mul_f32 v73, 0x3fb8aa3b, v73 :: v_dual_lshlrev_b32 v74, 6, v70
	v_dual_fmac_f32 v77, v100, v94 :: v_dual_lshlrev_b32 v70, 2, v69
	s_delay_alu instid0(VALU_DEP_2) | instskip(SKIP_1) | instid1(VALU_DEP_3)
	v_exp_f32_e32 v94, v73
	v_cndmask_b32_e32 v73, v102, v75, vcc_lo
	v_lshl_or_b32 v75, v72, 11, v74
	s_delay_alu instid0(VALU_DEP_3) | instskip(SKIP_1) | instid1(VALU_DEP_3)
	v_cmp_eq_u32_e64 s8, 7, v70
	v_fmac_f32_e32 v77, v98, v95
	v_lshl_or_b32 v69, v69, 4, v75
	s_delay_alu instid0(VALU_DEP_2)
	v_fmac_f32_e32 v77, v99, v96
	s_delay_alu instid0(TRANS32_DEP_1) | instid1(VALU_DEP_1)
	v_fmac_f32_e32 v77, v94, v97
	s_delay_alu instid0(VALU_DEP_1) | instskip(NEXT) | instid1(VALU_DEP_1)
	v_add_f32_e32 v95, 0x358637bd, v77
	v_div_scale_f32 v96, null, v95, v95, 1.0
	v_div_scale_f32 v101, vcc_lo, 1.0, v95, 1.0
	s_delay_alu instid0(VALU_DEP_2) | instskip(SKIP_2) | instid1(VALU_DEP_1)
	v_rcp_f32_e32 v97, v96
	s_waitcnt_depctr 0xfff
	v_fma_f32 v71, -v96, v97, 1.0
	v_fmac_f32_e32 v97, v71, v97
	v_cndmask_b32_e64 v71, v73, v103, s3
	v_cmp_eq_u32_e64 s3, 6, v72
	v_or_b32_e32 v73, 1, v70
	v_or_b32_e32 v72, 3, v70
	v_mul_f32_e32 v102, v101, v97
	v_cndmask_b32_e64 v71, v71, v104, s4
	v_cmp_eq_u32_e64 s4, 1, v70
	v_cmp_eq_u32_e64 s9, 1, v73
	;; [unrolled: 1-line block ×3, first 2 shown]
	v_fma_f32 v103, -v96, v102, v101
	v_cndmask_b32_e64 v100, v71, v100, s5
	v_or_b32_e32 v71, 2, v70
	v_cmp_eq_u32_e64 s5, 2, v70
	v_cmp_eq_u32_e64 s12, 2, v73
	v_fmac_f32_e32 v102, v103, v97
	v_cndmask_b32_e64 v98, v100, v98, s6
	v_cmp_eq_u32_e64 s10, 1, v71
	v_cmp_eq_u32_e64 s15, 2, v71
	;; [unrolled: 1-line block ×3, first 2 shown]
	v_fma_f32 v96, -v96, v102, v101
	v_cndmask_b32_e64 v98, v98, v99, s3
	v_cmp_eq_u32_e64 s13, 3, v73
	v_cmp_eq_u32_e64 s18, 3, v72
	v_cmp_eq_u32_e64 s3, 4, v70
	v_div_fmas_f32 v96, v96, v97, v102
	v_cndmask_b32_e64 v94, v98, v94, s7
	v_cmp_eq_u32_e32 vcc_lo, 3, v70
	v_cmp_eq_u32_e64 s17, 3, v71
	v_cmp_eq_u32_e64 s19, 4, v73
	v_div_fixup_f32 v95, v96, v95, 1.0
	v_cmp_eq_u32_e64 s22, 4, v72
	v_cmp_eq_u32_e64 s6, 5, v70
	;; [unrolled: 1-line block ×4, first 2 shown]
	v_mul_f32_e32 v102, v94, v95
	v_cmp_eq_u32_e64 s24, 5, v72
	v_cmp_eq_u32_e64 s23, 5, v71
	;; [unrolled: 1-line block ×4, first 2 shown]
	v_fma_mixlo_f16 v94, v102, v79, 0
	v_fma_mixlo_f16 v95, v102, v81, 0
	;; [unrolled: 1-line block ×8, first 2 shown]
	v_fma_mixhi_f16 v94, v102, v78, 0
	v_fma_mixhi_f16 v95, v102, v80, 0
	;; [unrolled: 1-line block ×8, first 2 shown]
	ds_store_b128 v69, v[94:97]
	ds_store_b128 v69, v[98:101] offset:1024
	s_waitcnt lgkmcnt(0)
	s_barrier
	buffer_gl0_inv
	ds_load_b128 v[78:81], v75
	ds_load_b128 v[82:85], v75 offset:16
	ds_load_b128 v[86:89], v75 offset:1024
	;; [unrolled: 1-line block ×3, first 2 shown]
	v_cmp_eq_u32_e64 s7, 6, v70
	v_cmp_eq_u32_e64 s26, 6, v71
	;; [unrolled: 1-line block ×5, first 2 shown]
	s_waitcnt lgkmcnt(3)
	v_lshrrev_b32_e32 v94, 16, v78
	s_waitcnt lgkmcnt(2)
	v_lshrrev_b32_e32 v98, 16, v82
	s_waitcnt lgkmcnt(1)
	v_lshrrev_b32_e32 v102, 16, v86
	s_waitcnt lgkmcnt(0)
	v_lshrrev_b32_e32 v106, 16, v90
	v_lshrrev_b32_e32 v95, 16, v79
	v_cndmask_b32_e64 v110, v78, v94, s4
	v_cndmask_b32_e64 v111, v82, v98, s4
	;; [unrolled: 1-line block ×8, first 2 shown]
	v_lshrrev_b32_e32 v99, 16, v83
	v_cndmask_b32_e64 v94, v86, v102, s4
	v_cndmask_b32_e64 v98, v90, v106, s4
	;; [unrolled: 1-line block ×15, first 2 shown]
	v_lshrrev_b32_e32 v103, 16, v87
	v_lshrrev_b32_e32 v107, 16, v91
	v_cndmask_b32_e64 v113, v115, v83, s15
	v_cndmask_b32_e64 v82, v94, v87, s5
	;; [unrolled: 1-line block ×7, first 2 shown]
	v_cndmask_b32_e32 v90, v102, v95, vcc_lo
	v_cndmask_b32_e32 v102, v106, v99, vcc_lo
	v_cndmask_b32_e64 v106, v110, v95, s13
	v_cndmask_b32_e64 v110, v111, v99, s13
	;; [unrolled: 1-line block ×4, first 2 shown]
	v_lshrrev_b32_e32 v96, 16, v80
	v_lshrrev_b32_e32 v100, 16, v84
	v_cndmask_b32_e64 v111, v112, v95, s17
	v_cndmask_b32_e64 v112, v113, v99, s17
	v_cndmask_b32_e32 v82, v82, v103, vcc_lo
	v_cndmask_b32_e32 v83, v83, v107, vcc_lo
	v_cndmask_b32_e64 v94, v94, v103, s13
	v_cndmask_b32_e64 v90, v90, v80, s3
	;; [unrolled: 1-line block ×7, first 2 shown]
	v_lshrrev_b32_e32 v104, 16, v88
	v_cndmask_b32_e64 v106, v111, v80, s21
	v_cndmask_b32_e64 v110, v112, v84, s21
	;; [unrolled: 1-line block ×11, first 2 shown]
	v_lshrrev_b32_e32 v97, 16, v81
	v_lshrrev_b32_e32 v101, 16, v85
	v_cndmask_b32_e64 v99, v106, v96, s23
	v_cndmask_b32_e64 v102, v110, v100, s23
	;; [unrolled: 1-line block ×7, first 2 shown]
	v_lshrrev_b32_e32 v105, 16, v89
	v_cndmask_b32_e64 v80, v80, v104, s6
	v_cndmask_b32_e64 v84, v84, v81, s7
	;; [unrolled: 1-line block ×16, first 2 shown]
	v_perm_b32 v81, v79, v78, 0x5040100
	v_perm_b32 v79, v95, v85, 0x5040100
	v_cndmask_b32_e64 v78, v119, v91, s15
	v_cndmask_b32_e64 v85, v117, v91, s12
	;; [unrolled: 1-line block ×3, first 2 shown]
	v_perm_b32 v80, v94, v90, 0x5040100
	v_cndmask_b32_e64 v90, v98, v103, s17
	v_cndmask_b32_e64 v86, v86, v103, s18
	v_cndmask_b32_e64 v87, v87, v107, s18
	v_cndmask_b32_e64 v78, v78, v107, s17
	v_cndmask_b32_e64 v85, v85, v107, s13
	v_lshrrev_b32_e32 v108, 16, v92
	v_cndmask_b32_e64 v90, v90, v88, s21
	v_cndmask_b32_e64 v86, v86, v88, s22
	v_cndmask_b32_e64 v87, v87, v92, s22
	v_cndmask_b32_e64 v78, v78, v92, s21
	v_cndmask_b32_e64 v85, v85, v92, s19
	v_cndmask_b32_e64 v82, v82, v108, s6
	v_cndmask_b32_e64 v88, v90, v104, s23
	v_cndmask_b32_e64 v86, v86, v104, s24
	v_cndmask_b32_e64 v87, v87, v108, s24
	v_cndmask_b32_e64 v78, v78, v108, s23
	v_cndmask_b32_e64 v85, v85, v108, s20
	v_lshrrev_b32_e32 v109, 16, v93
	v_cndmask_b32_e64 v82, v82, v93, s7
	v_cndmask_b32_e64 v88, v88, v89, s26
	;; [unrolled: 1-line block ×12, first 2 shown]
	v_perm_b32 v78, v84, v83, 0x5040100
	v_perm_b32 v85, v87, v86, 0x5040100
	;; [unrolled: 1-line block ×5, first 2 shown]
	s_lshl_b32 s8, s33, 1
	s_mov_b32 s3, exec_lo
	ds_store_b128 v69, v[78:81]
	ds_store_b128 v69, v[82:85] offset:1024
	v_cmpx_gt_u32_e32 2, v0
	s_cbranch_execz .LBB947_14
; %bb.13:
	v_or_b32_e32 v78, s31, v0
	s_load_b128 s[4:7], s[0:1], 0x58
	s_delay_alu instid0(VALU_DEP_1) | instskip(NEXT) | instid1(VALU_DEP_1)
	v_mad_u64_u32 v[79:80], null, s8, s34, v[78:79]
	v_mad_u64_u32 v[80:81], null, v79, s35, s[14:15]
	s_delay_alu instid0(VALU_DEP_1) | instskip(NEXT) | instid1(VALU_DEP_1)
	v_ashrrev_i32_e32 v81, 31, v80
	v_lshlrev_b64 v[78:79], 2, v[80:81]
	s_waitcnt lgkmcnt(0)
	s_delay_alu instid0(VALU_DEP_1) | instskip(NEXT) | instid1(VALU_DEP_2)
	v_add_co_u32 v80, vcc_lo, s6, v78
	v_add_co_ci_u32_e32 v81, vcc_lo, s7, v79, vcc_lo
	v_add_co_u32 v78, vcc_lo, s4, v78
	v_add_co_ci_u32_e32 v79, vcc_lo, s5, v79, vcc_lo
	global_store_b32 v[80:81], v76, off
	global_store_b32 v[78:79], v77, off
.LBB947_14:
	s_or_b32 exec_lo, exec_lo, s3
	s_waitcnt lgkmcnt(0)
	s_waitcnt_vscnt null, 0x0
	s_barrier
	buffer_gl0_inv
	ds_load_b128 v[84:87], v74
	ds_load_b128 v[88:91], v74 offset:16
	ds_load_b128 v[96:99], v74 offset:2064
	;; [unrolled: 1-line block ×5, first 2 shown]
	v_cmp_eq_u32_e32 vcc_lo, 1, v70
	v_mov_b32_e32 v76, 0
	ds_load_b128 v[112:115], v74 offset:6160
	ds_load_b128 v[108:111], v74 offset:6144
	;; [unrolled: 1-line block ×4, first 2 shown]
	v_cmp_eq_u32_e64 s4, 1, v71
	v_cmp_eq_u32_e64 s3, 1, v73
	;; [unrolled: 1-line block ×3, first 2 shown]
	v_mov_b32_e32 v77, v76
	v_mov_b32_e32 v78, v76
	;; [unrolled: 1-line block ×7, first 2 shown]
	v_cmp_eq_u32_e64 s6, 3, v73
	v_cmp_eq_u32_e64 s7, 7, v73
	s_waitcnt lgkmcnt(8)
	s_delay_alu instid0(VALU_DEP_3)
	v_wmma_f32_16x16x16_f16 v[76:83], v[49:56], v[84:91], v[76:83]
	ds_load_b128 v[53:56], v74 offset:10256
	ds_load_b128 v[49:52], v74 offset:10240
	s_waitcnt lgkmcnt(8)
	v_wmma_f32_16x16x16_f16 v[76:83], v[41:48], v[92:99], v[76:83]
	ds_load_b128 v[45:48], v74 offset:12304
	ds_load_b128 v[41:44], v74 offset:12288
	s_waitcnt lgkmcnt(8)
	;; [unrolled: 4-line block ×3, first 2 shown]
	s_barrier
	buffer_gl0_inv
	v_wmma_f32_16x16x16_f16 v[76:83], v[1:8], v[108:115], v[76:83]
	s_delay_alu instid0(VALU_DEP_1) | instskip(NEXT) | instid1(VALU_DEP_1)
	v_wmma_f32_16x16x16_f16 v[76:83], v[9:16], v[116:123], v[76:83]
	v_wmma_f32_16x16x16_f16 v[76:83], v[17:24], v[49:56], v[76:83]
	s_delay_alu instid0(VALU_DEP_1) | instskip(NEXT) | instid1(VALU_DEP_1)
	v_wmma_f32_16x16x16_f16 v[76:83], v[25:32], v[41:48], v[76:83]
	v_wmma_f32_16x16x16_f16 v[76:83], v[57:64], v[33:40], v[76:83]
	s_delay_alu instid0(VALU_DEP_1) | instskip(NEXT) | instid1(VALU_DEP_2)
	v_cvt_f16_f32_e32 v1, v76
	v_cvt_f16_f32_e32 v2, v77
	s_delay_alu instid0(VALU_DEP_3) | instskip(NEXT) | instid1(VALU_DEP_4)
	v_cvt_f16_f32_e32 v3, v78
	v_cvt_f16_f32_e32 v4, v79
	;; [unrolled: 1-line block ×6, first 2 shown]
	v_pack_b32_f16 v1, v1, v2
	v_pack_b32_f16 v2, v3, v4
	;; [unrolled: 1-line block ×3, first 2 shown]
	s_delay_alu instid0(VALU_DEP_4)
	v_pack_b32_f16 v4, v7, v8
	ds_store_b128 v69, v[1:4]
	s_waitcnt lgkmcnt(0)
	s_barrier
	buffer_gl0_inv
	ds_load_b128 v[1:4], v75
	ds_load_b128 v[5:8], v75 offset:16
	s_waitcnt lgkmcnt(1)
	v_lshrrev_b32_e32 v9, 16, v1
	s_waitcnt lgkmcnt(0)
	v_lshrrev_b32_e32 v13, 16, v5
	v_lshrrev_b32_e32 v10, 16, v2
	;; [unrolled: 1-line block ×4, first 2 shown]
	v_cndmask_b32_e32 v17, v1, v9, vcc_lo
	v_cndmask_b32_e32 v18, v5, v13, vcc_lo
	v_cndmask_b32_e64 v21, v1, v9, s4
	v_cmp_eq_u32_e32 vcc_lo, 1, v72
	v_cndmask_b32_e64 v22, v5, v13, s4
	v_cmp_eq_u32_e64 s4, 2, v70
	v_cndmask_b32_e64 v19, v1, v9, s3
	v_cndmask_b32_e64 v20, v5, v13, s3
	v_cndmask_b32_e32 v1, v1, v9, vcc_lo
	v_cmp_eq_u32_e64 s3, 2, v72
	v_cndmask_b32_e32 v5, v5, v13, vcc_lo
	v_cndmask_b32_e64 v9, v17, v2, s4
	v_cmp_eq_u32_e32 vcc_lo, 3, v70
	v_cndmask_b32_e64 v13, v18, v6, s4
	v_cmp_eq_u32_e64 s4, 2, v71
	v_cndmask_b32_e64 v17, v19, v2, s5
	v_cndmask_b32_e64 v18, v20, v6, s5
	v_cmp_eq_u32_e64 s5, 3, v71
	v_cndmask_b32_e64 v1, v1, v2, s3
	v_cndmask_b32_e64 v19, v21, v2, s4
	v_cndmask_b32_e64 v20, v22, v6, s4
	v_cndmask_b32_e64 v2, v5, v6, s3
	v_cndmask_b32_e32 v5, v9, v10, vcc_lo
	v_cndmask_b32_e32 v6, v13, v14, vcc_lo
	v_cmp_eq_u32_e32 vcc_lo, 3, v72
	v_cndmask_b32_e64 v9, v17, v10, s6
	v_cndmask_b32_e64 v13, v18, v14, s6
	;; [unrolled: 1-line block ×3, first 2 shown]
	v_cmp_eq_u32_e64 s4, 4, v70
	v_cndmask_b32_e32 v1, v1, v10, vcc_lo
	v_cndmask_b32_e32 v2, v2, v14, vcc_lo
	v_cmp_eq_u32_e32 vcc_lo, 4, v73
	v_lshrrev_b32_e32 v15, 16, v7
	v_lshrrev_b32_e32 v16, 16, v8
	v_cndmask_b32_e64 v17, v19, v10, s5
	v_cmp_eq_u32_e64 s3, 4, v72
	v_cndmask_b32_e64 v5, v5, v3, s4
	v_cndmask_b32_e64 v6, v6, v7, s4
	v_cndmask_b32_e32 v9, v9, v3, vcc_lo
	v_cmp_eq_u32_e64 s4, 5, v73
	v_cndmask_b32_e32 v10, v13, v7, vcc_lo
	v_cmp_eq_u32_e32 vcc_lo, 4, v71
	v_cmp_eq_u32_e64 s5, 5, v70
	v_cndmask_b32_e64 v2, v2, v7, s3
	v_cndmask_b32_e64 v9, v9, v11, s4
	;; [unrolled: 1-line block ×3, first 2 shown]
	v_cndmask_b32_e32 v13, v17, v3, vcc_lo
	v_cmp_eq_u32_e64 s4, 5, v71
	v_cndmask_b32_e32 v14, v18, v7, vcc_lo
	v_cndmask_b32_e64 v1, v1, v3, s3
	v_cmp_eq_u32_e32 vcc_lo, 5, v72
	v_lshrrev_b32_e32 v12, 16, v4
	v_cndmask_b32_e64 v13, v13, v11, s4
	v_cndmask_b32_e64 v3, v14, v15, s4
	v_cmp_eq_u32_e64 s4, 6, v72
	v_cndmask_b32_e32 v1, v1, v11, vcc_lo
	v_cndmask_b32_e64 v5, v5, v11, s5
	v_cmp_eq_u32_e64 s6, 6, v70
	v_cndmask_b32_e64 v6, v6, v15, s5
	v_cmp_eq_u32_e64 s5, 6, v73
	v_cmp_eq_u32_e64 s3, 6, v71
	v_cndmask_b32_e64 v1, v1, v4, s4
	v_cndmask_b32_e32 v2, v2, v15, vcc_lo
	v_cmp_eq_u32_e32 vcc_lo, 7, v72
	v_cndmask_b32_e64 v5, v5, v4, s6
	v_cndmask_b32_e64 v9, v9, v4, s5
	;; [unrolled: 1-line block ×3, first 2 shown]
	v_cmp_eq_u32_e64 s6, 7, v70
	v_cndmask_b32_e32 v1, v1, v12, vcc_lo
	v_cndmask_b32_e64 v7, v13, v4, s3
	v_cndmask_b32_e64 v3, v3, v8, s3
	;; [unrolled: 1-line block ×3, first 2 shown]
	v_cmp_eq_u32_e64 s3, 7, v71
	v_cndmask_b32_e64 v4, v10, v8, s5
	v_cndmask_b32_e64 v5, v5, v12, s6
	;; [unrolled: 1-line block ×3, first 2 shown]
	v_cndmask_b32_e32 v2, v2, v16, vcc_lo
	v_cndmask_b32_e64 v7, v7, v12, s3
	v_cndmask_b32_e64 v3, v3, v16, s3
	v_cndmask_b32_e64 v8, v4, v16, s7
	v_cndmask_b32_e64 v6, v6, v16, s6
	v_perm_b32 v4, v2, v1, 0x5040100
	s_delay_alu instid0(VALU_DEP_4) | instskip(NEXT) | instid1(VALU_DEP_4)
	v_perm_b32 v3, v3, v7, 0x5040100
	v_perm_b32 v2, v8, v9, 0x5040100
	s_delay_alu instid0(VALU_DEP_4)
	v_perm_b32 v1, v6, v5, 0x5040100
	ds_store_b128 v69, v[1:4]
	s_waitcnt lgkmcnt(0)
	s_barrier
	buffer_gl0_inv
	s_and_saveexec_b32 s3, s2
	s_cbranch_execz .LBB947_2
; %bb.15:
	s_load_b64 s[0:1], s[0:1], 0x68
	v_lshlrev_b32_e32 v0, 10, v0
	s_lshl_b32 s2, s35, 7
	v_lshlrev_b32_e32 v1, 4, v68
	v_mul_lo_u32 v4, s2, v67
	s_mul_i32 s3, s2, s34
	v_and_b32_e32 v0, 0x3800, v0
	s_mul_i32 s2, s3, s8
	s_delay_alu instid0(SALU_CYCLE_1) | instskip(NEXT) | instid1(VALU_DEP_1)
	s_ashr_i32 s3, s2, 31
	v_or3_b32 v0, v0, v66, v1
	s_lshl_b64 s[2:3], s[2:3], 1
	s_delay_alu instid0(VALU_DEP_3)
	v_ashrrev_i32_e32 v5, 31, v4
	ds_load_b128 v[0:3], v0
	v_lshlrev_b64 v[4:5], 1, v[4:5]
	s_waitcnt lgkmcnt(0)
	s_add_u32 s2, s0, s2
	s_addc_u32 s3, s1, s3
	s_lshl_b32 s0, s14, 7
	s_delay_alu instid0(SALU_CYCLE_1) | instskip(NEXT) | instid1(SALU_CYCLE_1)
	s_ashr_i32 s1, s0, 31
	s_lshl_b64 s[0:1], s[0:1], 1
	s_delay_alu instid0(SALU_CYCLE_1) | instskip(SKIP_3) | instid1(VALU_DEP_2)
	s_add_u32 s0, s2, s0
	s_addc_u32 s1, s3, s1
	v_add_co_u32 v4, vcc_lo, s0, v4
	v_add_co_ci_u32_e32 v5, vcc_lo, s1, v5, vcc_lo
	v_add_co_u32 v4, vcc_lo, v4, v65
	s_delay_alu instid0(VALU_DEP_2)
	v_add_co_ci_u32_e32 v5, vcc_lo, 0, v5, vcc_lo
	global_store_b128 v[4:5], v[0:3], off
	s_nop 0
	s_sendmsg sendmsg(MSG_DEALLOC_VGPRS)
	s_endpgm
	.section	.rodata,"a",@progbits
	.p2align	6, 0x0
	.amdhsa_kernel _Z39paged_attention_ll4mi_QKV_mfma16_kernelIDF16_hLN4vllm18Fp8KVCacheDataTypeE1EhLi16ELi128ELi256ELb1ELi2EL8MFMAType1EEvPKT_PKT0_S8_ifPKiSA_SA_iPKfiiiPfSD_PS3_PT2_iSC_SC_
		.amdhsa_group_segment_fixed_size 17472
		.amdhsa_private_segment_fixed_size 0
		.amdhsa_kernarg_size 400
		.amdhsa_user_sgpr_count 13
		.amdhsa_user_sgpr_dispatch_ptr 0
		.amdhsa_user_sgpr_queue_ptr 0
		.amdhsa_user_sgpr_kernarg_segment_ptr 1
		.amdhsa_user_sgpr_dispatch_id 0
		.amdhsa_user_sgpr_private_segment_size 0
		.amdhsa_wavefront_size32 1
		.amdhsa_uses_dynamic_stack 0
		.amdhsa_enable_private_segment 0
		.amdhsa_system_sgpr_workgroup_id_x 1
		.amdhsa_system_sgpr_workgroup_id_y 1
		.amdhsa_system_sgpr_workgroup_id_z 1
		.amdhsa_system_sgpr_workgroup_info 0
		.amdhsa_system_vgpr_workitem_id 0
		.amdhsa_next_free_vgpr 146
		.amdhsa_next_free_sgpr 37
		.amdhsa_reserve_vcc 1
		.amdhsa_float_round_mode_32 0
		.amdhsa_float_round_mode_16_64 0
		.amdhsa_float_denorm_mode_32 3
		.amdhsa_float_denorm_mode_16_64 3
		.amdhsa_dx10_clamp 1
		.amdhsa_ieee_mode 1
		.amdhsa_fp16_overflow 0
		.amdhsa_workgroup_processor_mode 1
		.amdhsa_memory_ordered 1
		.amdhsa_forward_progress 0
		.amdhsa_shared_vgpr_count 0
		.amdhsa_exception_fp_ieee_invalid_op 0
		.amdhsa_exception_fp_denorm_src 0
		.amdhsa_exception_fp_ieee_div_zero 0
		.amdhsa_exception_fp_ieee_overflow 0
		.amdhsa_exception_fp_ieee_underflow 0
		.amdhsa_exception_fp_ieee_inexact 0
		.amdhsa_exception_int_div_zero 0
	.end_amdhsa_kernel
	.section	.text._Z39paged_attention_ll4mi_QKV_mfma16_kernelIDF16_hLN4vllm18Fp8KVCacheDataTypeE1EhLi16ELi128ELi256ELb1ELi2EL8MFMAType1EEvPKT_PKT0_S8_ifPKiSA_SA_iPKfiiiPfSD_PS3_PT2_iSC_SC_,"axG",@progbits,_Z39paged_attention_ll4mi_QKV_mfma16_kernelIDF16_hLN4vllm18Fp8KVCacheDataTypeE1EhLi16ELi128ELi256ELb1ELi2EL8MFMAType1EEvPKT_PKT0_S8_ifPKiSA_SA_iPKfiiiPfSD_PS3_PT2_iSC_SC_,comdat
.Lfunc_end947:
	.size	_Z39paged_attention_ll4mi_QKV_mfma16_kernelIDF16_hLN4vllm18Fp8KVCacheDataTypeE1EhLi16ELi128ELi256ELb1ELi2EL8MFMAType1EEvPKT_PKT0_S8_ifPKiSA_SA_iPKfiiiPfSD_PS3_PT2_iSC_SC_, .Lfunc_end947-_Z39paged_attention_ll4mi_QKV_mfma16_kernelIDF16_hLN4vllm18Fp8KVCacheDataTypeE1EhLi16ELi128ELi256ELb1ELi2EL8MFMAType1EEvPKT_PKT0_S8_ifPKiSA_SA_iPKfiiiPfSD_PS3_PT2_iSC_SC_
                                        ; -- End function
	.section	.AMDGPU.csdata,"",@progbits
; Kernel info:
; codeLenInByte = 6428
; NumSgprs: 39
; NumVgprs: 146
; ScratchSize: 0
; MemoryBound: 0
; FloatMode: 240
; IeeeMode: 1
; LDSByteSize: 17472 bytes/workgroup (compile time only)
; SGPRBlocks: 4
; VGPRBlocks: 18
; NumSGPRsForWavesPerEU: 39
; NumVGPRsForWavesPerEU: 146
; Occupancy: 9
; WaveLimiterHint : 1
; COMPUTE_PGM_RSRC2:SCRATCH_EN: 0
; COMPUTE_PGM_RSRC2:USER_SGPR: 13
; COMPUTE_PGM_RSRC2:TRAP_HANDLER: 0
; COMPUTE_PGM_RSRC2:TGID_X_EN: 1
; COMPUTE_PGM_RSRC2:TGID_Y_EN: 1
; COMPUTE_PGM_RSRC2:TGID_Z_EN: 1
; COMPUTE_PGM_RSRC2:TIDIG_COMP_CNT: 0
	.section	.text._Z39paged_attention_ll4mi_QKV_mfma16_kernelIDF16_hLN4vllm18Fp8KVCacheDataTypeE1EhLi16ELi128ELi256ELb1ELi3EL8MFMAType1EEvPKT_PKT0_S8_ifPKiSA_SA_iPKfiiiPfSD_PS3_PT2_iSC_SC_,"axG",@progbits,_Z39paged_attention_ll4mi_QKV_mfma16_kernelIDF16_hLN4vllm18Fp8KVCacheDataTypeE1EhLi16ELi128ELi256ELb1ELi3EL8MFMAType1EEvPKT_PKT0_S8_ifPKiSA_SA_iPKfiiiPfSD_PS3_PT2_iSC_SC_,comdat
	.protected	_Z39paged_attention_ll4mi_QKV_mfma16_kernelIDF16_hLN4vllm18Fp8KVCacheDataTypeE1EhLi16ELi128ELi256ELb1ELi3EL8MFMAType1EEvPKT_PKT0_S8_ifPKiSA_SA_iPKfiiiPfSD_PS3_PT2_iSC_SC_ ; -- Begin function _Z39paged_attention_ll4mi_QKV_mfma16_kernelIDF16_hLN4vllm18Fp8KVCacheDataTypeE1EhLi16ELi128ELi256ELb1ELi3EL8MFMAType1EEvPKT_PKT0_S8_ifPKiSA_SA_iPKfiiiPfSD_PS3_PT2_iSC_SC_
	.globl	_Z39paged_attention_ll4mi_QKV_mfma16_kernelIDF16_hLN4vllm18Fp8KVCacheDataTypeE1EhLi16ELi128ELi256ELb1ELi3EL8MFMAType1EEvPKT_PKT0_S8_ifPKiSA_SA_iPKfiiiPfSD_PS3_PT2_iSC_SC_
	.p2align	8
	.type	_Z39paged_attention_ll4mi_QKV_mfma16_kernelIDF16_hLN4vllm18Fp8KVCacheDataTypeE1EhLi16ELi128ELi256ELb1ELi3EL8MFMAType1EEvPKT_PKT0_S8_ifPKiSA_SA_iPKfiiiPfSD_PS3_PT2_iSC_SC_,@function
_Z39paged_attention_ll4mi_QKV_mfma16_kernelIDF16_hLN4vllm18Fp8KVCacheDataTypeE1EhLi16ELi128ELi256ELb1ELi3EL8MFMAType1EEvPKT_PKT0_S8_ifPKiSA_SA_iPKfiiiPfSD_PS3_PT2_iSC_SC_: ; @_Z39paged_attention_ll4mi_QKV_mfma16_kernelIDF16_hLN4vllm18Fp8KVCacheDataTypeE1EhLi16ELi128ELi256ELb1ELi3EL8MFMAType1EEvPKT_PKT0_S8_ifPKiSA_SA_iPKfiiiPfSD_PS3_PT2_iSC_SC_
; %bb.0:
	s_load_b64 s[4:5], s[0:1], 0x30
	s_mov_b32 s34, s13
	s_waitcnt lgkmcnt(0)
	s_cmp_lg_u64 s[4:5], 0
	s_cselect_b32 s8, -1, 0
	s_ashr_i32 s35, s13, 31
	s_cmp_eq_u64 s[4:5], 0
	s_cbranch_scc1 .LBB948_3
; %bb.1:
	s_lshl_b64 s[2:3], s[34:35], 2
	s_delay_alu instid0(SALU_CYCLE_1) | instskip(SKIP_4) | instid1(SALU_CYCLE_1)
	s_add_u32 s2, s4, s2
	s_addc_u32 s3, s5, s3
	s_load_b64 s[2:3], s[2:3], 0x0
	s_waitcnt lgkmcnt(0)
	s_sub_i32 s2, s3, s2
	s_cmp_eq_u32 s2, 1
	s_cselect_b32 s2, -1, 0
	s_delay_alu instid0(SALU_CYCLE_1)
	s_and_not1_b32 vcc_lo, exec_lo, s2
	s_cbranch_vccz .LBB948_4
.LBB948_2:
	s_nop 0
	s_sendmsg sendmsg(MSG_DEALLOC_VGPRS)
	s_endpgm
.LBB948_3:
.LBB948_4:
	s_load_b64 s[2:3], s[0:1], 0x28
	s_lshl_b64 s[6:7], s[34:35], 2
	s_waitcnt lgkmcnt(0)
	s_add_u32 s2, s2, s6
	s_addc_u32 s3, s3, s7
	s_lshl_b32 s12, s14, 8
	s_load_b32 s24, s[2:3], 0x0
	s_waitcnt lgkmcnt(0)
	s_cmp_ge_i32 s12, s24
	s_cbranch_scc1 .LBB948_2
; %bb.5:
	s_clause 0x1
	s_load_b128 s[20:23], s[0:1], 0x8
	s_load_b64 s[2:3], s[0:1], 0x20
	s_and_not1_b32 vcc_lo, exec_lo, s8
	s_cbranch_vccnz .LBB948_7
; %bb.6:
	s_add_u32 s4, s4, s6
	s_addc_u32 s5, s5, s7
	s_load_b32 s5, s[4:5], 0x0
	s_branch .LBB948_8
.LBB948_7:
	s_mov_b32 s5, s34
.LBB948_8:
	s_load_b128 s[16:19], s[0:1], 0x48
	v_and_b32_e32 v68, 15, v0
	v_lshrrev_b32_e32 v69, 5, v0
	v_bfe_u32 v66, v0, 4, 1
	v_and_b32_e32 v70, 31, v0
	v_and_b32_e32 v67, 1, v0
	v_lshlrev_b32_e32 v2, 3, v68
	s_mul_i32 s31, s15, 3
	v_lshl_or_b32 v1, v69, 1, v66
	s_mov_b32 s4, exec_lo
	s_delay_alu instid0(VALU_DEP_2) | instskip(NEXT) | instid1(VALU_DEP_2)
	v_lshlrev_b32_e32 v65, 1, v2
	v_cmpx_gt_u32_e32 3, v1
	s_cbranch_execz .LBB948_10
; %bb.9:
	s_load_b64 s[6:7], s[0:1], 0x0
	v_add_lshl_u32 v2, v1, s31, 7
	s_waitcnt lgkmcnt(0)
	s_mul_hi_i32 s9, s5, s16
	s_mul_i32 s8, s5, s16
	v_lshlrev_b32_e32 v6, 10, v68
	s_lshl_b64 s[8:9], s[8:9], 1
	v_ashrrev_i32_e32 v3, 31, v2
	v_lshlrev_b32_e32 v1, 6, v1
	v_lshlrev_b32_e32 v7, 10, v67
	v_and_b32_e32 v6, 0x3800, v6
	s_delay_alu instid0(VALU_DEP_4) | instskip(NEXT) | instid1(VALU_DEP_2)
	v_lshlrev_b64 v[2:3], 1, v[2:3]
	v_or3_b32 v1, v6, v7, v1
	s_add_u32 s5, s6, s8
	s_addc_u32 s6, s7, s9
	s_delay_alu instid0(VALU_DEP_2) | instskip(NEXT) | instid1(VALU_DEP_3)
	v_add_co_u32 v2, vcc_lo, s5, v2
	v_add_co_ci_u32_e32 v3, vcc_lo, s6, v3, vcc_lo
	s_delay_alu instid0(VALU_DEP_2) | instskip(NEXT) | instid1(VALU_DEP_2)
	v_add_co_u32 v2, vcc_lo, v2, v65
	v_add_co_ci_u32_e32 v3, vcc_lo, 0, v3, vcc_lo
	global_load_b128 v[2:5], v[2:3], off
	s_waitcnt vmcnt(0)
	ds_store_b128 v1, v[2:5]
.LBB948_10:
	s_or_b32 exec_lo, exec_lo, s4
	v_and_b32_e32 v1, 0xef, v0
	s_waitcnt lgkmcnt(0)
	s_add_i32 s5, s24, 15
	s_clause 0x1
	s_load_b32 s4, s[0:1], 0x38
	s_load_b32 s33, s[0:1], 0x98
	s_ashr_i32 s6, s5, 31
	v_add_nc_u32_e32 v1, s12, v1
	s_lshr_b32 s6, s6, 28
	s_load_b32 s19, s[0:1], 0x1c
	s_add_i32 s5, s5, s6
	s_waitcnt lgkmcnt(0)
	v_ashrrev_i32_e32 v2, 31, v1
	v_or_b32_e32 v3, 16, v1
	s_ashr_i32 s13, s5, 4
	v_cmp_gt_i32_e32 vcc_lo, s24, v1
	s_add_i32 s13, s13, -1
	v_lshrrev_b32_e32 v2, 28, v2
	s_barrier
	buffer_gl0_inv
	s_mul_i32 s15, s15, s18
	v_add_nc_u32_e32 v4, v1, v2
	s_mul_i32 s4, s34, s4
	s_delay_alu instid0(SALU_CYCLE_1) | instskip(NEXT) | instid1(VALU_DEP_1)
	s_ashr_i32 s5, s4, 31
	v_ashrrev_i32_e32 v4, 4, v4
	v_add_nc_u32_e32 v2, v3, v2
	s_lshl_b64 s[4:5], s[4:5], 2
	s_delay_alu instid0(SALU_CYCLE_1) | instskip(NEXT) | instid1(VALU_DEP_2)
	s_add_u32 s16, s2, s4
	v_cndmask_b32_e32 v1, s13, v4, vcc_lo
	s_delay_alu instid0(VALU_DEP_2)
	v_ashrrev_i32_e32 v2, 4, v2
	v_cmp_gt_i32_e32 vcc_lo, s24, v3
	s_addc_u32 s25, s3, s5
	s_ashr_i32 s18, s15, 31
	s_add_u32 s26, s20, s15
	s_addc_u32 s27, s21, s18
	v_cndmask_b32_e32 v3, s13, v2, vcc_lo
	v_ashrrev_i32_e32 v2, 31, v1
	s_lshl_b32 s2, s14, 4
	s_delay_alu instid0(SALU_CYCLE_1) | instskip(NEXT) | instid1(VALU_DEP_2)
	s_ashr_i32 s3, s2, 31
	v_ashrrev_i32_e32 v4, 31, v3
	s_delay_alu instid0(VALU_DEP_2) | instskip(SKIP_1) | instid1(SALU_CYCLE_1)
	v_lshlrev_b64 v[1:2], 2, v[1:2]
	s_lshl_b64 s[2:3], s[2:3], 2
	s_add_u32 s2, s16, s2
	s_delay_alu instid0(VALU_DEP_2) | instskip(SKIP_1) | instid1(VALU_DEP_2)
	v_lshlrev_b64 v[3:4], 2, v[3:4]
	s_addc_u32 s3, s25, s3
	v_add_co_u32 v1, vcc_lo, s16, v1
	v_add_co_ci_u32_e32 v2, vcc_lo, s25, v2, vcc_lo
	s_delay_alu instid0(VALU_DEP_3) | instskip(NEXT) | instid1(VALU_DEP_4)
	v_add_co_u32 v3, vcc_lo, s16, v3
	v_add_co_ci_u32_e32 v4, vcc_lo, s25, v4, vcc_lo
	s_clause 0x1
	global_load_b32 v5, v[1:2], off
	global_load_b32 v7, v[3:4], off
	s_or_b32 s4, s12, 32
	v_lshlrev_b32_e32 v1, 4, v0
	s_ashr_i32 s5, s4, 4
	s_cmp_lt_i32 s4, s24
	s_cselect_b32 s4, s5, s13
	s_delay_alu instid0(VALU_DEP_1) | instskip(SKIP_1) | instid1(SALU_CYCLE_1)
	v_and_b32_e32 v1, 0xf0, v1
	s_ashr_i32 s5, s4, 31
	s_lshl_b64 s[4:5], s[4:5], 2
	s_delay_alu instid0(SALU_CYCLE_1)
	s_add_u32 s4, s16, s4
	s_addc_u32 s5, s25, s5
	s_or_b32 s6, s12, 64
	v_add_co_u32 v1, s26, s26, v1
	s_ashr_i32 s7, s6, 4
	s_cmp_lt_i32 s6, s24
	v_add_co_ci_u32_e64 v2, null, s27, 0, s26
	s_cselect_b32 s6, s7, s13
	s_delay_alu instid0(SALU_CYCLE_1) | instskip(NEXT) | instid1(SALU_CYCLE_1)
	s_ashr_i32 s7, s6, 31
	s_lshl_b64 s[6:7], s[6:7], 2
	s_delay_alu instid0(SALU_CYCLE_1) | instskip(SKIP_2) | instid1(SALU_CYCLE_1)
	s_add_u32 s6, s16, s6
	s_addc_u32 s7, s25, s7
	s_or_b32 s8, s12, 0x60
	s_ashr_i32 s9, s8, 4
	s_cmp_lt_i32 s8, s24
	s_cselect_b32 s8, s9, s13
	s_delay_alu instid0(SALU_CYCLE_1) | instskip(NEXT) | instid1(SALU_CYCLE_1)
	s_ashr_i32 s9, s8, 31
	s_lshl_b64 s[8:9], s[8:9], 2
	s_delay_alu instid0(SALU_CYCLE_1) | instskip(SKIP_2) | instid1(SALU_CYCLE_1)
	s_add_u32 s8, s16, s8
	s_addc_u32 s9, s25, s9
	s_or_b32 s10, s12, 0x80
	s_ashr_i32 s11, s10, 4
	s_cmp_lt_i32 s10, s24
	;; [unrolled: 10-line block ×3, first 2 shown]
	s_cselect_b32 s20, s21, s13
	s_delay_alu instid0(SALU_CYCLE_1) | instskip(NEXT) | instid1(SALU_CYCLE_1)
	s_ashr_i32 s21, s20, 31
	s_lshl_b64 s[20:21], s[20:21], 2
	s_delay_alu instid0(SALU_CYCLE_1)
	s_add_u32 s20, s16, s20
	s_addc_u32 s21, s25, s21
	s_clause 0x5
	s_load_b32 s26, s[2:3], 0x0
	s_load_b32 s27, s[4:5], 0x0
	;; [unrolled: 1-line block ×6, first 2 shown]
	s_or_b32 s2, s12, 0xc0
	s_mov_b32 s4, 0
	s_ashr_i32 s3, s2, 4
	s_cmp_lt_i32 s2, s24
	s_mov_b32 s11, s4
	s_cselect_b32 s2, s3, s13
	s_mov_b32 s5, s4
	s_ashr_i32 s3, s2, 31
	s_mov_b32 s6, s4
	s_lshl_b64 s[2:3], s[2:3], 2
	s_mov_b32 s7, s4
	s_add_u32 s2, s16, s2
	s_addc_u32 s3, s25, s3
	s_or_b32 s20, s12, 0xe0
	s_mov_b32 s8, s4
	s_ashr_i32 s21, s20, 4
	s_cmp_lt_i32 s20, s24
	s_mov_b32 s9, s4
	s_cselect_b32 s20, s21, s13
	s_mov_b32 s10, s4
	s_ashr_i32 s21, s20, 31
	v_mov_b32_e32 v118, s11
	v_dual_mov_b32 v112, s5 :: v_dual_mov_b32 v117, s10
	v_dual_mov_b32 v116, s9 :: v_dual_mov_b32 v115, s8
	;; [unrolled: 1-line block ×3, first 2 shown]
	v_mov_b32_e32 v111, s4
	s_lshl_b64 s[4:5], s[20:21], 2
	s_delay_alu instid0(SALU_CYCLE_1)
	s_add_u32 s4, s16, s4
	s_addc_u32 s5, s25, s5
	s_add_u32 s6, s22, s15
	s_addc_u32 s7, s23, s18
	s_waitcnt vmcnt(1)
	v_mad_i64_i32 v[3:4], null, v5, s17, v[1:2]
	s_waitcnt vmcnt(0)
	v_mad_i64_i32 v[5:6], null, v7, s17, v[1:2]
	v_mul_lo_u16 v1, 0x56, v68
	v_lshlrev_b32_e32 v2, 4, v68
	s_clause 0xf
	global_load_b128 v[17:20], v[3:4], off
	global_load_b128 v[21:24], v[3:4], off offset:256
	global_load_b128 v[25:28], v[5:6], off
	global_load_b128 v[29:32], v[5:6], off offset:256
	global_load_b128 v[57:60], v[3:4], off offset:512
	;; [unrolled: 1-line block ×13, first 2 shown]
	v_lshrrev_b16 v1, 8, v1
	s_delay_alu instid0(VALU_DEP_1) | instskip(NEXT) | instid1(VALU_DEP_1)
	v_mul_lo_u16 v1, v1, 3
	v_sub_nc_u16 v1, v68, v1
	s_delay_alu instid0(VALU_DEP_1) | instskip(NEXT) | instid1(VALU_DEP_1)
	v_and_b32_e32 v1, 0xff, v1
	v_lshlrev_b32_e32 v149, 6, v1
	v_lshl_or_b32 v1, v69, 8, v2
	ds_load_b128 v[119:122], v149
	ds_load_b128 v[123:126], v149 offset:1024
	ds_load_b128 v[127:130], v149 offset:2048
	;; [unrolled: 1-line block ×3, first 2 shown]
	s_clause 0x1
	s_load_b32 s2, s[2:3], 0x0
	s_load_b32 s3, s[4:5], 0x0
	v_add_co_u32 v135, s6, s6, v1
	s_delay_alu instid0(VALU_DEP_1) | instskip(SKIP_1) | instid1(VALU_DEP_1)
	v_add_co_ci_u32_e64 v136, null, s7, 0, s6
	s_waitcnt lgkmcnt(0)
	v_mad_i64_i32 v[1:2], null, s26, s17, v[135:136]
	v_mad_i64_i32 v[3:4], null, s27, s17, v[135:136]
	;; [unrolled: 1-line block ×6, first 2 shown]
	s_clause 0x9
	global_load_b128 v[49:52], v[1:2], off
	global_load_b128 v[53:56], v[1:2], off offset:16
	global_load_b128 v[41:44], v[3:4], off
	global_load_b128 v[45:48], v[3:4], off offset:16
	;; [unrolled: 2-line block ×5, first 2 shown]
	v_mad_i64_i32 v[145:146], null, s2, s17, v[135:136]
	v_mad_i64_i32 v[147:148], null, s3, s17, v[135:136]
	s_waitcnt vmcnt(24)
	v_wmma_f32_16x16x16_f16 v[135:142], v[17:24], v[119:126], v[111:118]
	s_waitcnt vmcnt(22)
	v_wmma_f32_16x16x16_f16 v[111:118], v[25:32], v[119:126], v[111:118]
	s_clause 0x3
	global_load_b128 v[17:20], v[143:144], off
	global_load_b128 v[21:24], v[143:144], off offset:16
	global_load_b128 v[25:28], v[145:146], off
	global_load_b128 v[29:32], v[145:146], off offset:16
	v_and_b32_e32 v119, 0xe0, v0
	s_waitcnt vmcnt(24)
	v_wmma_f32_16x16x16_f16 v[135:142], v[57:64], v[127:134], v[135:142]
	s_clause 0x1
	global_load_b128 v[57:60], v[147:148], off
	global_load_b128 v[61:64], v[147:148], off offset:16
	s_waitcnt vmcnt(24)
	v_wmma_f32_16x16x16_f16 v[111:118], v[71:78], v[127:134], v[111:118]
	ds_load_b128 v[71:74], v149 offset:4096
	ds_load_b128 v[75:78], v149 offset:5120
	v_add_nc_u32_e32 v128, s12, v119
	ds_load_b128 v[119:122], v149 offset:6144
	ds_load_b128 v[123:126], v149 offset:7168
	v_mbcnt_lo_u32_b32 v127, -1, 0
	s_waitcnt vmcnt(0) lgkmcnt(0)
	s_barrier
	v_or_b32_e32 v128, v128, v66
	buffer_gl0_inv
	v_xor_b32_e32 v129, 16, v127
	v_or_b32_e32 v130, 4, v128
	v_or_b32_e32 v131, 6, v128
	s_delay_alu instid0(VALU_DEP_3) | instskip(SKIP_4) | instid1(VALU_DEP_4)
	v_cmp_gt_i32_e32 vcc_lo, 32, v129
	v_or_b32_e32 v132, 8, v128
	v_or_b32_e32 v133, 10, v128
	v_cmp_gt_i32_e64 s3, s24, v130
	v_cmp_gt_i32_e64 s4, s24, v131
	;; [unrolled: 1-line block ×3, first 2 shown]
	v_wmma_f32_16x16x16_f16 v[135:142], v[79:86], v[71:78], v[135:142]
	v_wmma_f32_16x16x16_f16 v[111:118], v[87:94], v[71:78], v[111:118]
	v_or_b32_e32 v79, 12, v128
	v_or_b32_e32 v80, 14, v128
	v_cmp_gt_i32_e64 s6, s24, v133
	v_wmma_f32_16x16x16_f16 v[135:142], v[95:102], v[119:126], v[135:142]
	v_wmma_f32_16x16x16_f16 v[111:118], v[103:110], v[119:126], v[111:118]
	v_cndmask_b32_e32 v127, v127, v129, vcc_lo
	v_or_b32_e32 v129, 2, v128
	v_cmp_gt_i32_e32 vcc_lo, s24, v128
	s_delay_alu instid0(VALU_DEP_4) | instskip(SKIP_1) | instid1(VALU_DEP_4)
	v_dual_mul_f32 v87, s19, v136 :: v_dual_mul_f32 v94, s19, v113
	v_mul_f32_e32 v88, s19, v135
	v_cmp_gt_i32_e64 s2, s24, v129
	v_mul_f32_e32 v78, s19, v138
	v_mul_f32_e32 v86, s19, v137
	;; [unrolled: 1-line block ×3, first 2 shown]
	v_cndmask_b32_e32 v88, 0xff7fffff, v88, vcc_lo
	v_cndmask_b32_e64 v87, 0xff7fffff, v87, s2
	v_dual_mul_f32 v77, s19, v139 :: v_dual_mul_f32 v90, s19, v117
	v_cndmask_b32_e64 v86, 0xff7fffff, v86, s3
	v_cndmask_b32_e64 v78, 0xff7fffff, v78, s4
	s_delay_alu instid0(VALU_DEP_4)
	v_max3_f32 v87, v88, 0xff7fffff, v87
	v_or_b32_e32 v81, 16, v128
	v_or_b32_e32 v82, 18, v128
	v_dual_mul_f32 v74, s19, v142 :: v_dual_mul_f32 v75, s19, v141
	v_mul_f32_e32 v96, s19, v111
	v_cndmask_b32_e64 v77, 0xff7fffff, v77, s5
	v_cndmask_b32_e64 v76, 0xff7fffff, v76, s6
	v_max3_f32 v78, v87, v86, v78
	v_cmp_gt_i32_e64 s7, s24, v79
	v_cmp_gt_i32_e64 s8, s24, v80
	v_or_b32_e32 v83, 20, v128
	v_or_b32_e32 v84, 22, v128
	v_mul_f32_e32 v95, s19, v112
	v_cndmask_b32_e64 v75, 0xff7fffff, v75, s7
	v_cndmask_b32_e64 v74, 0xff7fffff, v74, s8
	v_max3_f32 v76, v78, v77, v76
	v_cmp_gt_i32_e64 s9, s24, v81
	v_cmp_gt_i32_e64 s10, s24, v82
	v_or_b32_e32 v85, 24, v128
	v_or_b32_e32 v71, 26, v128
	;; [unrolled: 8-line block ×3, first 2 shown]
	v_dual_mul_f32 v91, s19, v116 :: v_dual_mul_f32 v92, s19, v115
	v_cndmask_b32_e64 v75, 0xff7fffff, v94, s11
	v_cndmask_b32_e64 v76, 0xff7fffff, v93, s12
	v_max3_f32 v74, v74, v77, v78
	v_cmp_gt_i32_e64 s13, s24, v85
	v_cmp_gt_i32_e64 s15, s24, v71
	v_mul_f32_e32 v89, s19, v118
	v_cmp_gt_i32_e64 s16, s24, v72
	v_max3_f32 v74, v74, v75, v76
	v_cndmask_b32_e64 v77, 0xff7fffff, v92, s13
	v_cndmask_b32_e64 v71, 0xff7fffff, v91, s15
	v_cmp_gt_i32_e64 s17, s24, v73
	v_cndmask_b32_e64 v72, 0xff7fffff, v90, s16
	s_delay_alu instid0(VALU_DEP_3) | instskip(SKIP_1) | instid1(VALU_DEP_4)
	v_max3_f32 v71, v74, v77, v71
	v_lshlrev_b32_e32 v74, 2, v127
	v_cndmask_b32_e64 v73, 0xff7fffff, v89, s17
	s_delay_alu instid0(VALU_DEP_1) | instskip(SKIP_3) | instid1(VALU_DEP_1)
	v_max3_f32 v71, v71, v72, v73
	ds_bpermute_b32 v72, v74, v71
	s_waitcnt lgkmcnt(0)
	v_max_f32_e32 v72, v72, v72
	v_max_f32_e32 v71, v71, v72
	s_delay_alu instid0(VALU_DEP_1) | instskip(SKIP_4) | instid1(VALU_DEP_4)
	v_fma_f32 v72, s19, v135, -v71
	v_fma_f32 v73, s19, v136, -v71
	;; [unrolled: 1-line block ×5, first 2 shown]
	v_dual_mul_f32 v72, 0x3fb8aa3b, v72 :: v_dual_mul_f32 v73, 0x3fb8aa3b, v73
	s_delay_alu instid0(VALU_DEP_3) | instskip(SKIP_1) | instid1(VALU_DEP_3)
	v_dual_mul_f32 v75, 0x3fb8aa3b, v75 :: v_dual_mul_f32 v76, 0x3fb8aa3b, v76
	v_fma_f32 v80, s19, v141, -v71
	v_exp_f32_e32 v72, v72
	s_delay_alu instid0(VALU_DEP_3) | instskip(NEXT) | instid1(VALU_DEP_2)
	v_exp_f32_e32 v73, v73
	v_exp_f32_e32 v75, v75
	;; [unrolled: 1-line block ×3, first 2 shown]
	v_mul_f32_e32 v82, 0x3fb8aa3b, v80
	s_delay_alu instid0(VALU_DEP_1) | instskip(SKIP_4) | instid1(TRANS32_DEP_3)
	v_exp_f32_e32 v84, v82
	v_cndmask_b32_e32 v79, 0, v72, vcc_lo
	v_fma_f32 v72, s19, v140, -v71
	v_mul_f32_e32 v77, 0x3fb8aa3b, v77
	v_cndmask_b32_e64 v78, 0, v73, s2
	v_cndmask_b32_e64 v81, 0, v75, s3
	s_delay_alu instid0(VALU_DEP_4) | instskip(NEXT) | instid1(VALU_DEP_4)
	v_dual_add_f32 v73, 0, v79 :: v_dual_mul_f32 v72, 0x3fb8aa3b, v72
	v_exp_f32_e32 v77, v77
	v_cndmask_b32_e64 v80, 0, v76, s4
	s_delay_alu instid0(TRANS32_DEP_2) | instskip(NEXT) | instid1(VALU_DEP_3)
	v_cndmask_b32_e64 v85, 0, v84, s7
	v_add_f32_e32 v73, v73, v78
	v_exp_f32_e32 v72, v72
	v_cmp_gt_u32_e64 s2, 16, v70
	s_delay_alu instid0(VALU_DEP_2) | instskip(NEXT) | instid1(TRANS32_DEP_2)
	v_add_f32_e32 v73, v73, v81
	v_cndmask_b32_e64 v83, 0, v77, s5
	s_delay_alu instid0(VALU_DEP_2) | instskip(SKIP_3) | instid1(VALU_DEP_1)
	v_add_f32_e32 v73, v73, v80
	s_waitcnt_depctr 0xfff
	v_cndmask_b32_e64 v82, 0, v72, s6
	v_add_f32_e32 v72, v73, v83
	v_add_f32_e32 v72, v72, v82
	s_delay_alu instid0(VALU_DEP_1)
	v_add_f32_e32 v72, v72, v85
	v_fma_f32 v76, s19, v111, -v71
	v_fma_f32 v75, s19, v142, -v71
	;; [unrolled: 1-line block ×5, first 2 shown]
	s_delay_alu instid0(VALU_DEP_4) | instskip(NEXT) | instid1(VALU_DEP_3)
	v_dual_mul_f32 v76, 0x3fb8aa3b, v76 :: v_dual_mul_f32 v75, 0x3fb8aa3b, v75
	v_mul_f32_e32 v86, 0x3fb8aa3b, v86
	s_delay_alu instid0(VALU_DEP_2) | instskip(NEXT) | instid1(VALU_DEP_2)
	v_exp_f32_e32 v76, v76
	v_exp_f32_e32 v75, v75
	s_delay_alu instid0(VALU_DEP_1) | instskip(NEXT) | instid1(TRANS32_DEP_3)
	v_exp_f32_e32 v88, v86
	v_cndmask_b32_e64 v87, 0, v76, s9
	v_fma_f32 v76, s19, v116, -v71
	v_mul_f32_e32 v77, 0x3fb8aa3b, v77
	s_waitcnt_depctr 0xfff
	v_cndmask_b32_e64 v84, 0, v75, s8
	v_fma_f32 v75, s19, v115, -v71
	v_cndmask_b32_e64 v88, 0, v88, s12
	v_mul_f32_e32 v76, 0x3fb8aa3b, v76
	v_exp_f32_e32 v77, v77
	v_add_f32_e32 v72, v72, v84
	s_delay_alu instid0(VALU_DEP_2) | instskip(NEXT) | instid1(VALU_DEP_1)
	v_exp_f32_e32 v76, v76
	v_add_f32_e32 v72, v72, v87
	s_waitcnt_depctr 0xfff
	v_cndmask_b32_e64 v86, 0, v77, s10
	v_mul_f32_e32 v73, 0x3fb8aa3b, v73
	v_fma_f32 v77, s19, v117, -v71
	v_cndmask_b32_e64 v90, 0, v76, s15
	s_delay_alu instid0(VALU_DEP_4) | instskip(NEXT) | instid1(VALU_DEP_4)
	v_add_f32_e32 v72, v72, v86
	v_exp_f32_e32 v73, v73
	s_waitcnt_depctr 0xfff
	v_cndmask_b32_e64 v89, 0, v73, s11
	s_delay_alu instid0(VALU_DEP_1) | instskip(NEXT) | instid1(VALU_DEP_1)
	v_dual_mul_f32 v75, 0x3fb8aa3b, v75 :: v_dual_add_f32 v72, v72, v89
	v_exp_f32_e32 v75, v75
	v_mul_f32_e32 v73, 0x3fb8aa3b, v77
	v_fma_f32 v77, s19, v118, -v71
	s_delay_alu instid0(VALU_DEP_3) | instskip(NEXT) | instid1(VALU_DEP_3)
	v_add_f32_e32 v72, v72, v88
	v_exp_f32_e32 v73, v73
	s_waitcnt_depctr 0xfff
	v_cndmask_b32_e64 v91, 0, v75, s13
	s_delay_alu instid0(VALU_DEP_1) | instskip(NEXT) | instid1(VALU_DEP_1)
	v_dual_mul_f32 v75, 0x3fb8aa3b, v77 :: v_dual_add_f32 v72, v72, v91
	v_exp_f32_e32 v75, v75
	v_cndmask_b32_e64 v93, 0, v73, s16
	s_delay_alu instid0(VALU_DEP_2) | instskip(NEXT) | instid1(VALU_DEP_1)
	v_add_f32_e32 v72, v72, v90
	v_add_f32_e32 v72, v72, v93
	s_waitcnt_depctr 0xfff
	v_cndmask_b32_e64 v92, 0, v75, s17
	s_delay_alu instid0(VALU_DEP_1)
	v_add_f32_e32 v72, v72, v92
	ds_bpermute_b32 v73, v74, v72
	s_and_saveexec_b32 s3, s2
	s_cbranch_execz .LBB948_12
; %bb.11:
	v_mul_u32_u24_e32 v70, 0x44, v69
	s_waitcnt lgkmcnt(0)
	v_add_f32_e32 v72, v72, v73
	s_delay_alu instid0(VALU_DEP_2) | instskip(NEXT) | instid1(VALU_DEP_1)
	v_lshl_add_u32 v70, v68, 2, v70
	v_add_nc_u32_e32 v70, 0x4000, v70
	ds_store_2addr_b32 v70, v71, v72 offset1:136
.LBB948_12:
	s_or_b32 exec_lo, exec_lo, s3
	v_lshlrev_b32_e32 v70, 2, v68
	s_load_b32 s35, s[0:1], 0x94
	s_waitcnt lgkmcnt(0)
	s_barrier
	buffer_gl0_inv
	v_add_nc_u32_e32 v98, 0x4000, v70
	v_cmp_eq_u32_e32 vcc_lo, 1, v69
	v_cmp_eq_u32_e64 s3, 2, v69
	v_cmp_eq_u32_e64 s4, 3, v69
	;; [unrolled: 1-line block ×3, first 2 shown]
	ds_load_2addr_b32 v[70:71], v98 offset1:17
	ds_load_2addr_b32 v[72:73], v98 offset0:34 offset1:51
	ds_load_2addr_b32 v[74:75], v98 offset0:68 offset1:85
	;; [unrolled: 1-line block ×3, first 2 shown]
	v_cmp_eq_u32_e64 s6, 5, v69
	v_cmp_eq_u32_e64 s7, 7, v69
	s_waitcnt lgkmcnt(3)
	v_max3_f32 v76, v70, 0xff7fffff, v71
	s_waitcnt lgkmcnt(2)
	s_delay_alu instid0(VALU_DEP_1) | instskip(SKIP_1) | instid1(VALU_DEP_1)
	v_max3_f32 v76, v76, v72, v73
	s_waitcnt lgkmcnt(1)
	v_max3_f32 v76, v76, v74, v75
	s_waitcnt lgkmcnt(0)
	s_delay_alu instid0(VALU_DEP_1) | instskip(NEXT) | instid1(VALU_DEP_1)
	v_max3_f32 v76, v76, v94, v95
	v_sub_f32_e32 v77, v71, v76
	ds_load_2addr_b32 v[96:97], v98 offset0:136 offset1:153
	v_sub_f32_e32 v74, v74, v76
	v_sub_f32_e32 v70, v70, v76
	;; [unrolled: 1-line block ×3, first 2 shown]
	v_dual_sub_f32 v72, v72, v76 :: v_dual_mul_f32 v77, 0x3fb8aa3b, v77
	s_delay_alu instid0(VALU_DEP_4) | instskip(NEXT) | instid1(VALU_DEP_4)
	v_mul_f32_e32 v103, 0x3fb8aa3b, v74
	v_mul_f32_e32 v99, 0x3fb8aa3b, v70
	ds_load_2addr_b32 v[70:71], v98 offset0:170 offset1:187
	v_dual_mul_f32 v101, 0x3fb8aa3b, v72 :: v_dual_mul_f32 v94, 0x3fb8aa3b, v94
	v_exp_f32_e32 v102, v77
	v_exp_f32_e32 v99, v99
	s_delay_alu instid0(VALU_DEP_1) | instskip(NEXT) | instid1(VALU_DEP_1)
	v_exp_f32_e32 v101, v101
	v_exp_f32_e32 v94, v94
	s_waitcnt lgkmcnt(1)
	s_delay_alu instid0(TRANS32_DEP_3)
	v_fma_f32 v77, v99, v96, 0
	v_sub_f32_e32 v100, v73, v76
	ds_load_2addr_b32 v[72:73], v98 offset0:204 offset1:221
	v_fmac_f32_e32 v77, v102, v97
	v_exp_f32_e32 v97, v103
	s_waitcnt lgkmcnt(1)
	s_delay_alu instid0(VALU_DEP_1)
	v_dual_fmac_f32 v77, v101, v70 :: v_dual_sub_f32 v96, v75, v76
	ds_load_2addr_b32 v[74:75], v98 offset0:238 offset1:255
	v_sub_f32_e32 v70, v95, v76
	s_waitcnt lgkmcnt(0)
	s_barrier
	v_mul_f32_e32 v96, 0x3fb8aa3b, v96
	buffer_gl0_inv
	v_exp_f32_e32 v95, v96
	v_mul_f32_e32 v100, 0x3fb8aa3b, v100
	s_delay_alu instid0(VALU_DEP_1) | instskip(SKIP_3) | instid1(VALU_DEP_2)
	v_exp_f32_e32 v100, v100
	s_waitcnt_depctr 0xfff
	v_dual_fmac_f32 v77, v100, v71 :: v_dual_mul_f32 v70, 0x3fb8aa3b, v70
	v_cndmask_b32_e32 v71, v99, v102, vcc_lo
	v_fmac_f32_e32 v77, v97, v72
	s_delay_alu instid0(VALU_DEP_3) | instskip(NEXT) | instid1(VALU_DEP_1)
	v_exp_f32_e32 v96, v70
	v_fmac_f32_e32 v77, v95, v73
	s_delay_alu instid0(VALU_DEP_1) | instskip(SKIP_2) | instid1(VALU_DEP_1)
	v_fmac_f32_e32 v77, v94, v74
	s_waitcnt_depctr 0xfff
	v_fmac_f32_e32 v77, v96, v75
	v_add_f32_e32 v74, 0x358637bd, v77
	s_delay_alu instid0(VALU_DEP_1) | instskip(SKIP_1) | instid1(VALU_DEP_2)
	v_div_scale_f32 v98, null, v74, v74, 1.0
	v_div_scale_f32 v99, vcc_lo, 1.0, v74, 1.0
	v_rcp_f32_e32 v103, v98
	s_waitcnt_depctr 0xfff
	v_fma_f32 v70, -v98, v103, 1.0
	s_delay_alu instid0(VALU_DEP_1) | instskip(SKIP_2) | instid1(VALU_DEP_2)
	v_fmac_f32_e32 v103, v70, v103
	v_cndmask_b32_e64 v70, v71, v101, s3
	v_cmp_eq_u32_e64 s3, 6, v69
	v_cndmask_b32_e64 v71, v70, v100, s4
	s_delay_alu instid0(VALU_DEP_4) | instskip(NEXT) | instid1(VALU_DEP_2)
	v_dual_mul_f32 v101, v99, v103 :: v_dual_lshlrev_b32 v70, 2, v66
	v_cndmask_b32_e64 v71, v71, v97, s5
	s_delay_alu instid0(VALU_DEP_2) | instskip(NEXT) | instid1(VALU_DEP_3)
	v_or_b32_e32 v72, 1, v70
	v_fma_f32 v100, -v98, v101, v99
	v_cmp_eq_u32_e64 s4, 1, v70
	v_cmp_eq_u32_e64 s5, 2, v70
	v_cndmask_b32_e64 v95, v71, v95, s6
	v_or_b32_e32 v71, 3, v70
	v_fmac_f32_e32 v101, v100, v103
	v_cmp_eq_u32_e64 s9, 1, v72
	v_cmp_eq_u32_e64 s12, 2, v72
	v_cndmask_b32_e64 v94, v95, v94, s3
	v_cmp_eq_u32_e64 s11, 1, v71
	v_fma_f32 v97, -v98, v101, v99
	v_cmp_eq_u32_e64 s16, 2, v71
	v_cmp_eq_u32_e64 s13, 3, v72
	v_cndmask_b32_e64 v94, v94, v96, s7
	v_cmp_eq_u32_e64 s18, 3, v71
	v_div_fmas_f32 v95, v97, v103, v101
	v_cmp_eq_u32_e32 vcc_lo, 3, v70
	v_cmp_eq_u32_e64 s3, 4, v70
	v_cmp_eq_u32_e64 s19, 4, v72
	;; [unrolled: 1-line block ×3, first 2 shown]
	v_div_fixup_f32 v95, v95, v74, 1.0
	v_lshlrev_b32_e32 v73, 6, v68
	v_cmp_eq_u32_e64 s6, 5, v70
	v_cmp_eq_u32_e64 s20, 5, v72
	;; [unrolled: 1-line block ×3, first 2 shown]
	v_mul_f32_e32 v102, v94, v95
	v_lshl_or_b32 v75, v69, 11, v73
	v_or_b32_e32 v69, 2, v70
	v_cmp_eq_u32_e64 s25, 6, v72
	v_cmp_eq_u32_e64 s27, 6, v71
	v_fma_mixlo_f16 v94, v102, v79, 0
	v_fma_mixlo_f16 v95, v102, v81, 0
	;; [unrolled: 1-line block ×8, first 2 shown]
	v_lshl_or_b32 v74, v66, 4, v75
	v_fma_mixhi_f16 v94, v102, v78, 0
	v_fma_mixhi_f16 v95, v102, v80, 0
	;; [unrolled: 1-line block ×8, first 2 shown]
	ds_store_b128 v74, v[94:97]
	ds_store_b128 v74, v[98:101] offset:1024
	s_waitcnt lgkmcnt(0)
	s_barrier
	buffer_gl0_inv
	ds_load_b128 v[78:81], v75
	ds_load_b128 v[82:85], v75 offset:16
	ds_load_b128 v[86:89], v75 offset:1024
	ds_load_b128 v[90:93], v75 offset:1040
	v_cmp_eq_u32_e64 s10, 1, v69
	v_cmp_eq_u32_e64 s15, 2, v69
	;; [unrolled: 1-line block ×11, first 2 shown]
	s_waitcnt lgkmcnt(3)
	v_lshrrev_b32_e32 v94, 16, v78
	s_waitcnt lgkmcnt(2)
	v_lshrrev_b32_e32 v98, 16, v82
	;; [unrolled: 2-line block ×4, first 2 shown]
	v_lshrrev_b32_e32 v95, 16, v79
	v_cndmask_b32_e64 v110, v78, v94, s4
	v_cndmask_b32_e64 v111, v82, v98, s4
	v_cndmask_b32_e64 v112, v78, v94, s9
	v_cndmask_b32_e64 v113, v82, v98, s9
	v_cndmask_b32_e64 v114, v78, v94, s10
	v_cndmask_b32_e64 v115, v82, v98, s10
	v_cndmask_b32_e64 v78, v78, v94, s11
	v_cndmask_b32_e64 v82, v82, v98, s11
	v_lshrrev_b32_e32 v99, 16, v83
	v_cndmask_b32_e64 v94, v86, v102, s4
	v_cndmask_b32_e64 v98, v90, v106, s4
	;; [unrolled: 1-line block ×15, first 2 shown]
	v_lshrrev_b32_e32 v103, 16, v87
	v_lshrrev_b32_e32 v107, 16, v91
	v_cndmask_b32_e64 v113, v115, v83, s15
	v_cndmask_b32_e64 v82, v94, v87, s5
	;; [unrolled: 1-line block ×7, first 2 shown]
	v_cndmask_b32_e32 v90, v102, v95, vcc_lo
	v_cndmask_b32_e32 v102, v106, v99, vcc_lo
	v_cndmask_b32_e64 v106, v110, v95, s13
	v_cndmask_b32_e64 v110, v111, v99, s13
	;; [unrolled: 1-line block ×4, first 2 shown]
	v_lshrrev_b32_e32 v96, 16, v80
	v_lshrrev_b32_e32 v100, 16, v84
	v_cndmask_b32_e64 v111, v112, v95, s17
	v_cndmask_b32_e64 v112, v113, v99, s17
	v_cndmask_b32_e32 v82, v82, v103, vcc_lo
	v_cndmask_b32_e32 v83, v83, v107, vcc_lo
	v_cndmask_b32_e64 v94, v94, v103, s13
	v_cndmask_b32_e64 v90, v90, v80, s3
	;; [unrolled: 1-line block ×7, first 2 shown]
	v_lshrrev_b32_e32 v104, 16, v88
	v_cndmask_b32_e64 v106, v111, v80, s21
	v_cndmask_b32_e64 v110, v112, v84, s21
	;; [unrolled: 1-line block ×11, first 2 shown]
	v_lshrrev_b32_e32 v97, 16, v81
	v_lshrrev_b32_e32 v101, 16, v85
	v_cndmask_b32_e64 v99, v106, v96, s23
	v_cndmask_b32_e64 v102, v110, v100, s23
	;; [unrolled: 1-line block ×7, first 2 shown]
	v_lshrrev_b32_e32 v105, 16, v89
	v_cndmask_b32_e64 v80, v80, v104, s6
	v_cndmask_b32_e64 v84, v84, v81, s7
	;; [unrolled: 1-line block ×16, first 2 shown]
	v_perm_b32 v81, v79, v78, 0x5040100
	v_perm_b32 v79, v95, v85, 0x5040100
	v_cndmask_b32_e64 v78, v119, v91, s15
	v_cndmask_b32_e64 v85, v117, v91, s12
	;; [unrolled: 1-line block ×3, first 2 shown]
	v_perm_b32 v80, v94, v90, 0x5040100
	v_cndmask_b32_e64 v90, v98, v103, s17
	v_cndmask_b32_e64 v86, v86, v103, s18
	;; [unrolled: 1-line block ×5, first 2 shown]
	v_lshrrev_b32_e32 v108, 16, v92
	v_cndmask_b32_e64 v90, v90, v88, s21
	v_cndmask_b32_e64 v86, v86, v88, s22
	;; [unrolled: 1-line block ×11, first 2 shown]
	v_lshrrev_b32_e32 v109, 16, v93
	v_cndmask_b32_e64 v82, v82, v93, s7
	v_cndmask_b32_e64 v88, v88, v89, s26
	v_cndmask_b32_e64 v86, v86, v89, s27
	v_cndmask_b32_e64 v87, v87, v93, s27
	v_cndmask_b32_e64 v78, v78, v93, s26
	v_cndmask_b32_e64 v85, v85, v93, s25
	v_cndmask_b32_e64 v88, v88, v105, s28
	v_cndmask_b32_e64 v86, v86, v105, s29
	v_cndmask_b32_e64 v87, v87, v109, s29
	v_cndmask_b32_e64 v89, v78, v109, s28
	v_cndmask_b32_e64 v90, v85, v109, s30
	v_cndmask_b32_e64 v82, v82, v109, s8
	v_perm_b32 v78, v84, v83, 0x5040100
	v_perm_b32 v85, v87, v86, 0x5040100
	;; [unrolled: 1-line block ×5, first 2 shown]
	s_mul_i32 s8, s33, 3
	s_mov_b32 s3, exec_lo
	ds_store_b128 v74, v[78:81]
	ds_store_b128 v74, v[82:85] offset:1024
	v_cmpx_gt_u32_e32 3, v0
	s_cbranch_execz .LBB948_14
; %bb.13:
	s_mul_i32 s4, s8, s34
	s_delay_alu instid0(SALU_CYCLE_1) | instskip(SKIP_1) | instid1(VALU_DEP_1)
	v_add3_u32 v68, s4, s31, v68
	s_load_b128 s[4:7], s[0:1], 0x58
	v_mad_u64_u32 v[78:79], null, v68, s35, s[14:15]
	s_delay_alu instid0(VALU_DEP_1) | instskip(NEXT) | instid1(VALU_DEP_1)
	v_ashrrev_i32_e32 v79, 31, v78
	v_lshlrev_b64 v[78:79], 2, v[78:79]
	s_waitcnt lgkmcnt(0)
	s_delay_alu instid0(VALU_DEP_1) | instskip(NEXT) | instid1(VALU_DEP_2)
	v_add_co_u32 v80, vcc_lo, s6, v78
	v_add_co_ci_u32_e32 v81, vcc_lo, s7, v79, vcc_lo
	v_add_co_u32 v78, vcc_lo, s4, v78
	v_add_co_ci_u32_e32 v79, vcc_lo, s5, v79, vcc_lo
	global_store_b32 v[80:81], v76, off
	global_store_b32 v[78:79], v77, off
.LBB948_14:
	s_or_b32 exec_lo, exec_lo, s3
	s_waitcnt lgkmcnt(0)
	s_waitcnt_vscnt null, 0x0
	s_barrier
	buffer_gl0_inv
	ds_load_b128 v[84:87], v73
	ds_load_b128 v[88:91], v73 offset:16
	ds_load_b128 v[96:99], v73 offset:2064
	;; [unrolled: 1-line block ×5, first 2 shown]
	v_cmp_eq_u32_e32 vcc_lo, 1, v70
	v_mov_b32_e32 v76, 0
	ds_load_b128 v[112:115], v73 offset:6160
	ds_load_b128 v[108:111], v73 offset:6144
	;; [unrolled: 1-line block ×4, first 2 shown]
	v_cmp_eq_u32_e64 s4, 1, v69
	v_cmp_eq_u32_e64 s3, 1, v72
	;; [unrolled: 1-line block ×3, first 2 shown]
	v_mov_b32_e32 v77, v76
	v_mov_b32_e32 v78, v76
	;; [unrolled: 1-line block ×7, first 2 shown]
	v_cmp_eq_u32_e64 s6, 3, v72
	v_cmp_eq_u32_e64 s7, 7, v72
	s_waitcnt lgkmcnt(8)
	s_delay_alu instid0(VALU_DEP_3)
	v_wmma_f32_16x16x16_f16 v[76:83], v[49:56], v[84:91], v[76:83]
	ds_load_b128 v[53:56], v73 offset:10256
	ds_load_b128 v[49:52], v73 offset:10240
	s_waitcnt lgkmcnt(8)
	v_wmma_f32_16x16x16_f16 v[76:83], v[41:48], v[92:99], v[76:83]
	ds_load_b128 v[45:48], v73 offset:12304
	ds_load_b128 v[41:44], v73 offset:12288
	s_waitcnt lgkmcnt(8)
	v_wmma_f32_16x16x16_f16 v[76:83], v[33:40], v[100:107], v[76:83]
	ds_load_b128 v[37:40], v73 offset:14352
	ds_load_b128 v[33:36], v73 offset:14336
	s_waitcnt lgkmcnt(0)
	s_barrier
	buffer_gl0_inv
	v_wmma_f32_16x16x16_f16 v[76:83], v[1:8], v[108:115], v[76:83]
	s_delay_alu instid0(VALU_DEP_1) | instskip(NEXT) | instid1(VALU_DEP_1)
	v_wmma_f32_16x16x16_f16 v[76:83], v[9:16], v[116:123], v[76:83]
	v_wmma_f32_16x16x16_f16 v[76:83], v[17:24], v[49:56], v[76:83]
	s_delay_alu instid0(VALU_DEP_1) | instskip(NEXT) | instid1(VALU_DEP_1)
	v_wmma_f32_16x16x16_f16 v[76:83], v[25:32], v[41:48], v[76:83]
	v_wmma_f32_16x16x16_f16 v[76:83], v[57:64], v[33:40], v[76:83]
	s_delay_alu instid0(VALU_DEP_1) | instskip(NEXT) | instid1(VALU_DEP_2)
	v_cvt_f16_f32_e32 v1, v76
	v_cvt_f16_f32_e32 v2, v77
	s_delay_alu instid0(VALU_DEP_3) | instskip(NEXT) | instid1(VALU_DEP_4)
	v_cvt_f16_f32_e32 v3, v78
	v_cvt_f16_f32_e32 v4, v79
	;; [unrolled: 1-line block ×6, first 2 shown]
	v_pack_b32_f16 v1, v1, v2
	v_pack_b32_f16 v2, v3, v4
	;; [unrolled: 1-line block ×3, first 2 shown]
	s_delay_alu instid0(VALU_DEP_4)
	v_pack_b32_f16 v4, v7, v8
	ds_store_b128 v74, v[1:4]
	s_waitcnt lgkmcnt(0)
	s_barrier
	buffer_gl0_inv
	ds_load_b128 v[1:4], v75
	ds_load_b128 v[5:8], v75 offset:16
	s_waitcnt lgkmcnt(1)
	v_lshrrev_b32_e32 v9, 16, v1
	s_waitcnt lgkmcnt(0)
	v_lshrrev_b32_e32 v13, 16, v5
	v_lshrrev_b32_e32 v10, 16, v2
	;; [unrolled: 1-line block ×4, first 2 shown]
	v_cndmask_b32_e32 v17, v1, v9, vcc_lo
	v_cndmask_b32_e32 v18, v5, v13, vcc_lo
	v_cndmask_b32_e64 v21, v1, v9, s4
	v_cmp_eq_u32_e32 vcc_lo, 1, v71
	v_cndmask_b32_e64 v22, v5, v13, s4
	v_cmp_eq_u32_e64 s4, 2, v70
	v_cndmask_b32_e64 v19, v1, v9, s3
	v_cndmask_b32_e64 v20, v5, v13, s3
	v_cndmask_b32_e32 v1, v1, v9, vcc_lo
	v_cmp_eq_u32_e64 s3, 2, v71
	v_cndmask_b32_e32 v5, v5, v13, vcc_lo
	v_cndmask_b32_e64 v9, v17, v2, s4
	v_cmp_eq_u32_e32 vcc_lo, 3, v70
	v_cndmask_b32_e64 v13, v18, v6, s4
	v_cmp_eq_u32_e64 s4, 2, v69
	v_cndmask_b32_e64 v17, v19, v2, s5
	v_cndmask_b32_e64 v18, v20, v6, s5
	v_cmp_eq_u32_e64 s5, 3, v69
	v_cndmask_b32_e64 v1, v1, v2, s3
	v_cndmask_b32_e64 v19, v21, v2, s4
	v_cndmask_b32_e64 v20, v22, v6, s4
	v_cndmask_b32_e64 v2, v5, v6, s3
	v_cndmask_b32_e32 v5, v9, v10, vcc_lo
	v_cndmask_b32_e32 v6, v13, v14, vcc_lo
	v_cmp_eq_u32_e32 vcc_lo, 3, v71
	v_cndmask_b32_e64 v9, v17, v10, s6
	v_cndmask_b32_e64 v13, v18, v14, s6
	;; [unrolled: 1-line block ×3, first 2 shown]
	v_cmp_eq_u32_e64 s4, 4, v70
	v_cndmask_b32_e32 v1, v1, v10, vcc_lo
	v_cndmask_b32_e32 v2, v2, v14, vcc_lo
	v_cmp_eq_u32_e32 vcc_lo, 4, v72
	v_lshrrev_b32_e32 v15, 16, v7
	v_lshrrev_b32_e32 v16, 16, v8
	v_cndmask_b32_e64 v17, v19, v10, s5
	v_cmp_eq_u32_e64 s3, 4, v71
	v_cndmask_b32_e64 v5, v5, v3, s4
	v_cndmask_b32_e64 v6, v6, v7, s4
	v_cndmask_b32_e32 v9, v9, v3, vcc_lo
	v_cmp_eq_u32_e64 s4, 5, v72
	v_cndmask_b32_e32 v10, v13, v7, vcc_lo
	v_cmp_eq_u32_e32 vcc_lo, 4, v69
	v_cmp_eq_u32_e64 s5, 5, v70
	v_cndmask_b32_e64 v2, v2, v7, s3
	v_cndmask_b32_e64 v9, v9, v11, s4
	;; [unrolled: 1-line block ×3, first 2 shown]
	v_cndmask_b32_e32 v13, v17, v3, vcc_lo
	v_cmp_eq_u32_e64 s4, 5, v69
	v_cndmask_b32_e32 v14, v18, v7, vcc_lo
	v_cndmask_b32_e64 v1, v1, v3, s3
	v_cmp_eq_u32_e32 vcc_lo, 5, v71
	v_lshrrev_b32_e32 v12, 16, v4
	v_cndmask_b32_e64 v13, v13, v11, s4
	v_cndmask_b32_e64 v3, v14, v15, s4
	v_cmp_eq_u32_e64 s4, 6, v71
	v_cndmask_b32_e32 v1, v1, v11, vcc_lo
	v_cndmask_b32_e64 v5, v5, v11, s5
	v_cmp_eq_u32_e64 s6, 6, v70
	v_cndmask_b32_e64 v6, v6, v15, s5
	v_cmp_eq_u32_e64 s5, 6, v72
	v_cmp_eq_u32_e64 s3, 6, v69
	v_cndmask_b32_e64 v1, v1, v4, s4
	v_cndmask_b32_e32 v2, v2, v15, vcc_lo
	v_cmp_eq_u32_e32 vcc_lo, 7, v71
	v_cndmask_b32_e64 v5, v5, v4, s6
	v_cndmask_b32_e64 v9, v9, v4, s5
	;; [unrolled: 1-line block ×3, first 2 shown]
	v_cmp_eq_u32_e64 s6, 7, v70
	v_cndmask_b32_e32 v1, v1, v12, vcc_lo
	v_cndmask_b32_e64 v7, v13, v4, s3
	v_cndmask_b32_e64 v3, v3, v8, s3
	;; [unrolled: 1-line block ×3, first 2 shown]
	v_cmp_eq_u32_e64 s3, 7, v69
	v_cndmask_b32_e64 v4, v10, v8, s5
	v_cndmask_b32_e64 v5, v5, v12, s6
	;; [unrolled: 1-line block ×3, first 2 shown]
	v_cndmask_b32_e32 v2, v2, v16, vcc_lo
	v_cndmask_b32_e64 v7, v7, v12, s3
	v_cndmask_b32_e64 v3, v3, v16, s3
	v_cndmask_b32_e64 v8, v4, v16, s7
	v_cndmask_b32_e64 v6, v6, v16, s6
	v_perm_b32 v4, v2, v1, 0x5040100
	s_mov_b32 s3, exec_lo
	v_perm_b32 v3, v3, v7, 0x5040100
	v_perm_b32 v2, v8, v9, 0x5040100
	;; [unrolled: 1-line block ×3, first 2 shown]
	ds_store_b128 v74, v[1:4]
	s_waitcnt lgkmcnt(0)
	s_barrier
	buffer_gl0_inv
	v_cmpx_gt_u32_e32 32, v0
	s_cbranch_execz .LBB948_2
; %bb.15:
	s_load_b64 s[4:5], s[0:1], 0x68
	v_lshlrev_b32_e32 v0, 10, v0
	v_lshlrev_b32_e32 v2, 4, v67
	v_add_nc_u32_e32 v1, s31, v66
	s_lshl_b32 s0, s35, 7
	s_delay_alu instid0(SALU_CYCLE_1) | instskip(NEXT) | instid1(VALU_DEP_2)
	s_mul_i32 s1, s0, s34
	v_and_or_b32 v0, 0x3800, v0, v2
	s_mul_i32 s6, s1, s8
	v_mul_lo_u32 v1, v1, s0
	s_ashr_i32 s7, s6, 31
	s_delay_alu instid0(VALU_DEP_2) | instskip(SKIP_1) | instid1(VALU_DEP_2)
	v_lshl_or_b32 v3, v66, 6, v0
	s_lshl_b64 s[6:7], s[6:7], 1
	v_ashrrev_i32_e32 v2, 31, v1
	ds_load_b128 v[3:6], v3
	s_waitcnt lgkmcnt(0)
	s_add_u32 s1, s4, s6
	s_addc_u32 s3, s5, s7
	s_lshl_b32 s4, s14, 7
	v_lshlrev_b64 v[7:8], 1, v[1:2]
	s_ashr_i32 s5, s4, 31
	s_delay_alu instid0(SALU_CYCLE_1) | instskip(NEXT) | instid1(SALU_CYCLE_1)
	s_lshl_b64 s[4:5], s[4:5], 1
	s_add_u32 s1, s1, s4
	s_addc_u32 s3, s3, s5
	v_add_co_u32 v1, s1, s1, v65
	s_delay_alu instid0(VALU_DEP_1) | instskip(NEXT) | instid1(VALU_DEP_2)
	v_add_co_ci_u32_e64 v2, null, s3, 0, s1
	v_add_co_u32 v7, vcc_lo, v1, v7
	s_delay_alu instid0(VALU_DEP_2)
	v_add_co_ci_u32_e32 v8, vcc_lo, v2, v8, vcc_lo
	global_store_b128 v[7:8], v[3:6], off
	s_and_b32 exec_lo, exec_lo, s2
	s_cbranch_execz .LBB948_2
; %bb.16:
	ds_load_b128 v[3:6], v0 offset:128
	s_add_i32 s1, s31, 2
	s_delay_alu instid0(SALU_CYCLE_1) | instskip(NEXT) | instid1(SALU_CYCLE_1)
	s_mul_i32 s0, s1, s0
	s_ashr_i32 s1, s0, 31
	s_delay_alu instid0(SALU_CYCLE_1) | instskip(NEXT) | instid1(SALU_CYCLE_1)
	s_lshl_b64 s[0:1], s[0:1], 1
	v_add_co_u32 v0, vcc_lo, v1, s0
	v_add_co_ci_u32_e32 v1, vcc_lo, s1, v2, vcc_lo
	s_waitcnt lgkmcnt(0)
	global_store_b128 v[0:1], v[3:6], off
	s_nop 0
	s_sendmsg sendmsg(MSG_DEALLOC_VGPRS)
	s_endpgm
	.section	.rodata,"a",@progbits
	.p2align	6, 0x0
	.amdhsa_kernel _Z39paged_attention_ll4mi_QKV_mfma16_kernelIDF16_hLN4vllm18Fp8KVCacheDataTypeE1EhLi16ELi128ELi256ELb1ELi3EL8MFMAType1EEvPKT_PKT0_S8_ifPKiSA_SA_iPKfiiiPfSD_PS3_PT2_iSC_SC_
		.amdhsa_group_segment_fixed_size 17472
		.amdhsa_private_segment_fixed_size 0
		.amdhsa_kernarg_size 400
		.amdhsa_user_sgpr_count 13
		.amdhsa_user_sgpr_dispatch_ptr 0
		.amdhsa_user_sgpr_queue_ptr 0
		.amdhsa_user_sgpr_kernarg_segment_ptr 1
		.amdhsa_user_sgpr_dispatch_id 0
		.amdhsa_user_sgpr_private_segment_size 0
		.amdhsa_wavefront_size32 1
		.amdhsa_uses_dynamic_stack 0
		.amdhsa_enable_private_segment 0
		.amdhsa_system_sgpr_workgroup_id_x 1
		.amdhsa_system_sgpr_workgroup_id_y 1
		.amdhsa_system_sgpr_workgroup_id_z 1
		.amdhsa_system_sgpr_workgroup_info 0
		.amdhsa_system_vgpr_workitem_id 0
		.amdhsa_next_free_vgpr 150
		.amdhsa_next_free_sgpr 36
		.amdhsa_reserve_vcc 1
		.amdhsa_float_round_mode_32 0
		.amdhsa_float_round_mode_16_64 0
		.amdhsa_float_denorm_mode_32 3
		.amdhsa_float_denorm_mode_16_64 3
		.amdhsa_dx10_clamp 1
		.amdhsa_ieee_mode 1
		.amdhsa_fp16_overflow 0
		.amdhsa_workgroup_processor_mode 1
		.amdhsa_memory_ordered 1
		.amdhsa_forward_progress 0
		.amdhsa_shared_vgpr_count 0
		.amdhsa_exception_fp_ieee_invalid_op 0
		.amdhsa_exception_fp_denorm_src 0
		.amdhsa_exception_fp_ieee_div_zero 0
		.amdhsa_exception_fp_ieee_overflow 0
		.amdhsa_exception_fp_ieee_underflow 0
		.amdhsa_exception_fp_ieee_inexact 0
		.amdhsa_exception_int_div_zero 0
	.end_amdhsa_kernel
	.section	.text._Z39paged_attention_ll4mi_QKV_mfma16_kernelIDF16_hLN4vllm18Fp8KVCacheDataTypeE1EhLi16ELi128ELi256ELb1ELi3EL8MFMAType1EEvPKT_PKT0_S8_ifPKiSA_SA_iPKfiiiPfSD_PS3_PT2_iSC_SC_,"axG",@progbits,_Z39paged_attention_ll4mi_QKV_mfma16_kernelIDF16_hLN4vllm18Fp8KVCacheDataTypeE1EhLi16ELi128ELi256ELb1ELi3EL8MFMAType1EEvPKT_PKT0_S8_ifPKiSA_SA_iPKfiiiPfSD_PS3_PT2_iSC_SC_,comdat
.Lfunc_end948:
	.size	_Z39paged_attention_ll4mi_QKV_mfma16_kernelIDF16_hLN4vllm18Fp8KVCacheDataTypeE1EhLi16ELi128ELi256ELb1ELi3EL8MFMAType1EEvPKT_PKT0_S8_ifPKiSA_SA_iPKfiiiPfSD_PS3_PT2_iSC_SC_, .Lfunc_end948-_Z39paged_attention_ll4mi_QKV_mfma16_kernelIDF16_hLN4vllm18Fp8KVCacheDataTypeE1EhLi16ELi128ELi256ELb1ELi3EL8MFMAType1EEvPKT_PKT0_S8_ifPKiSA_SA_iPKfiiiPfSD_PS3_PT2_iSC_SC_
                                        ; -- End function
	.section	.AMDGPU.csdata,"",@progbits
; Kernel info:
; codeLenInByte = 6588
; NumSgprs: 38
; NumVgprs: 150
; ScratchSize: 0
; MemoryBound: 0
; FloatMode: 240
; IeeeMode: 1
; LDSByteSize: 17472 bytes/workgroup (compile time only)
; SGPRBlocks: 4
; VGPRBlocks: 18
; NumSGPRsForWavesPerEU: 38
; NumVGPRsForWavesPerEU: 150
; Occupancy: 9
; WaveLimiterHint : 1
; COMPUTE_PGM_RSRC2:SCRATCH_EN: 0
; COMPUTE_PGM_RSRC2:USER_SGPR: 13
; COMPUTE_PGM_RSRC2:TRAP_HANDLER: 0
; COMPUTE_PGM_RSRC2:TGID_X_EN: 1
; COMPUTE_PGM_RSRC2:TGID_Y_EN: 1
; COMPUTE_PGM_RSRC2:TGID_Z_EN: 1
; COMPUTE_PGM_RSRC2:TIDIG_COMP_CNT: 0
	.section	.text._Z39paged_attention_ll4mi_QKV_mfma16_kernelIDF16_hLN4vllm18Fp8KVCacheDataTypeE1EhLi16ELi128ELi256ELb1ELi4EL8MFMAType1EEvPKT_PKT0_S8_ifPKiSA_SA_iPKfiiiPfSD_PS3_PT2_iSC_SC_,"axG",@progbits,_Z39paged_attention_ll4mi_QKV_mfma16_kernelIDF16_hLN4vllm18Fp8KVCacheDataTypeE1EhLi16ELi128ELi256ELb1ELi4EL8MFMAType1EEvPKT_PKT0_S8_ifPKiSA_SA_iPKfiiiPfSD_PS3_PT2_iSC_SC_,comdat
	.protected	_Z39paged_attention_ll4mi_QKV_mfma16_kernelIDF16_hLN4vllm18Fp8KVCacheDataTypeE1EhLi16ELi128ELi256ELb1ELi4EL8MFMAType1EEvPKT_PKT0_S8_ifPKiSA_SA_iPKfiiiPfSD_PS3_PT2_iSC_SC_ ; -- Begin function _Z39paged_attention_ll4mi_QKV_mfma16_kernelIDF16_hLN4vllm18Fp8KVCacheDataTypeE1EhLi16ELi128ELi256ELb1ELi4EL8MFMAType1EEvPKT_PKT0_S8_ifPKiSA_SA_iPKfiiiPfSD_PS3_PT2_iSC_SC_
	.globl	_Z39paged_attention_ll4mi_QKV_mfma16_kernelIDF16_hLN4vllm18Fp8KVCacheDataTypeE1EhLi16ELi128ELi256ELb1ELi4EL8MFMAType1EEvPKT_PKT0_S8_ifPKiSA_SA_iPKfiiiPfSD_PS3_PT2_iSC_SC_
	.p2align	8
	.type	_Z39paged_attention_ll4mi_QKV_mfma16_kernelIDF16_hLN4vllm18Fp8KVCacheDataTypeE1EhLi16ELi128ELi256ELb1ELi4EL8MFMAType1EEvPKT_PKT0_S8_ifPKiSA_SA_iPKfiiiPfSD_PS3_PT2_iSC_SC_,@function
_Z39paged_attention_ll4mi_QKV_mfma16_kernelIDF16_hLN4vllm18Fp8KVCacheDataTypeE1EhLi16ELi128ELi256ELb1ELi4EL8MFMAType1EEvPKT_PKT0_S8_ifPKiSA_SA_iPKfiiiPfSD_PS3_PT2_iSC_SC_: ; @_Z39paged_attention_ll4mi_QKV_mfma16_kernelIDF16_hLN4vllm18Fp8KVCacheDataTypeE1EhLi16ELi128ELi256ELb1ELi4EL8MFMAType1EEvPKT_PKT0_S8_ifPKiSA_SA_iPKfiiiPfSD_PS3_PT2_iSC_SC_
; %bb.0:
	s_load_b64 s[4:5], s[0:1], 0x30
	s_mov_b32 s30, s13
	s_waitcnt lgkmcnt(0)
	s_cmp_lg_u64 s[4:5], 0
	s_cselect_b32 s13, -1, 0
	s_ashr_i32 s31, s30, 31
	s_cmp_eq_u64 s[4:5], 0
	s_cbranch_scc1 .LBB949_3
; %bb.1:
	s_lshl_b64 s[2:3], s[30:31], 2
	s_delay_alu instid0(SALU_CYCLE_1) | instskip(SKIP_4) | instid1(SALU_CYCLE_1)
	s_add_u32 s2, s4, s2
	s_addc_u32 s3, s5, s3
	s_load_b64 s[2:3], s[2:3], 0x0
	s_waitcnt lgkmcnt(0)
	s_sub_i32 s2, s3, s2
	s_cmp_eq_u32 s2, 1
	s_cselect_b32 s2, -1, 0
	s_delay_alu instid0(SALU_CYCLE_1)
	s_and_not1_b32 vcc_lo, exec_lo, s2
	s_cbranch_vccz .LBB949_4
.LBB949_2:
	s_endpgm
.LBB949_3:
.LBB949_4:
	s_load_b64 s[2:3], s[0:1], 0x28
	s_lshl_b64 s[6:7], s[30:31], 2
	s_waitcnt lgkmcnt(0)
	s_add_u32 s2, s2, s6
	s_addc_u32 s3, s3, s7
	s_lshl_b32 s12, s14, 8
	s_load_b32 s17, s[2:3], 0x0
	s_waitcnt lgkmcnt(0)
	s_cmp_ge_i32 s12, s17
	s_cbranch_scc1 .LBB949_2
; %bb.5:
	s_clause 0x1
	s_load_b128 s[8:11], s[0:1], 0x8
	s_load_b64 s[2:3], s[0:1], 0x20
	s_and_not1_b32 vcc_lo, exec_lo, s13
	s_cbranch_vccnz .LBB949_7
; %bb.6:
	s_add_u32 s4, s4, s6
	s_addc_u32 s5, s5, s7
	s_load_b32 s13, s[4:5], 0x0
	s_branch .LBB949_8
.LBB949_7:
	s_mov_b32 s13, s30
.LBB949_8:
	s_load_b128 s[4:7], s[0:1], 0x48
	v_and_b32_e32 v69, 15, v0
	v_lshrrev_b32_e32 v68, 5, v0
	v_and_b32_e32 v70, 31, v0
	v_and_b32_e32 v67, 1, v0
	v_bfe_u32 v66, v0, 4, 1
	v_lshlrev_b32_e32 v1, 3, v69
	s_lshl_b32 s31, s15, 2
	s_waitcnt lgkmcnt(0)
	s_mov_b32 s7, exec_lo
	s_delay_alu instid0(VALU_DEP_1)
	v_lshlrev_b32_e32 v65, 1, v1
	v_cmpx_gt_u32_e32 64, v0
	s_cbranch_execz .LBB949_10
; %bb.9:
	v_lshl_or_b32 v5, v68, 1, v66
	s_load_b64 s[18:19], s[0:1], 0x0
	s_mul_hi_i32 s21, s13, s4
	s_mul_i32 s20, s13, s4
	v_lshlrev_b32_e32 v6, 10, v69
	v_or_b32_e32 v1, s31, v5
	s_lshl_b64 s[20:21], s[20:21], 1
	v_lshlrev_b32_e32 v5, 6, v5
	v_lshlrev_b32_e32 v7, 10, v67
	v_and_b32_e32 v6, 0x3800, v6
	v_lshlrev_b32_e32 v1, 7, v1
	s_delay_alu instid0(VALU_DEP_2) | instskip(NEXT) | instid1(VALU_DEP_2)
	v_or3_b32 v5, v6, v7, v5
	v_ashrrev_i32_e32 v2, 31, v1
	s_delay_alu instid0(VALU_DEP_1) | instskip(SKIP_3) | instid1(VALU_DEP_1)
	v_lshlrev_b64 v[1:2], 1, v[1:2]
	s_waitcnt lgkmcnt(0)
	s_add_u32 s4, s18, s20
	s_addc_u32 s13, s19, s21
	v_add_co_u32 v1, vcc_lo, s4, v1
	s_delay_alu instid0(VALU_DEP_2) | instskip(NEXT) | instid1(VALU_DEP_2)
	v_add_co_ci_u32_e32 v2, vcc_lo, s13, v2, vcc_lo
	v_add_co_u32 v1, vcc_lo, v1, v65
	s_delay_alu instid0(VALU_DEP_2)
	v_add_co_ci_u32_e32 v2, vcc_lo, 0, v2, vcc_lo
	global_load_b128 v[1:4], v[1:2], off
	s_waitcnt vmcnt(0)
	ds_store_b128 v5, v[1:4]
.LBB949_10:
	s_or_b32 exec_lo, exec_lo, s7
	v_and_b32_e32 v1, 0xef, v0
	s_add_i32 s4, s17, 15
	s_clause 0x1
	s_load_b32 s7, s[0:1], 0x38
	s_load_b32 s33, s[0:1], 0x98
	s_ashr_i32 s13, s4, 31
	v_add_nc_u32_e32 v1, s12, v1
	s_lshr_b32 s13, s13, 28
	s_load_b32 s18, s[0:1], 0x1c
	s_add_i32 s4, s4, s13
	s_waitcnt lgkmcnt(0)
	v_ashrrev_i32_e32 v2, 31, v1
	v_or_b32_e32 v3, 16, v1
	s_ashr_i32 s4, s4, 4
	v_cmp_gt_i32_e32 vcc_lo, s17, v1
	s_add_i32 s4, s4, -1
	v_lshrrev_b32_e32 v2, 28, v2
	s_barrier
	buffer_gl0_inv
	s_mul_i32 s15, s15, s6
	v_add_nc_u32_e32 v4, v1, v2
	s_mul_i32 s20, s30, s7
	s_delay_alu instid0(SALU_CYCLE_1) | instskip(NEXT) | instid1(VALU_DEP_1)
	s_ashr_i32 s21, s20, 31
	v_ashrrev_i32_e32 v4, 4, v4
	v_add_nc_u32_e32 v2, v3, v2
	s_lshl_b64 s[20:21], s[20:21], 2
	s_delay_alu instid0(SALU_CYCLE_1) | instskip(NEXT) | instid1(VALU_DEP_2)
	s_add_u32 s13, s2, s20
	v_cndmask_b32_e32 v1, s4, v4, vcc_lo
	s_delay_alu instid0(VALU_DEP_2)
	v_ashrrev_i32_e32 v2, 4, v2
	v_cmp_gt_i32_e32 vcc_lo, s17, v3
	s_addc_u32 s16, s3, s21
	s_ashr_i32 s19, s15, 31
	s_add_u32 s26, s8, s15
	s_addc_u32 s27, s9, s19
	v_cndmask_b32_e32 v3, s4, v2, vcc_lo
	v_ashrrev_i32_e32 v2, 31, v1
	s_lshl_b32 s2, s14, 4
	s_delay_alu instid0(SALU_CYCLE_1) | instskip(NEXT) | instid1(VALU_DEP_2)
	s_ashr_i32 s3, s2, 31
	v_ashrrev_i32_e32 v4, 31, v3
	s_delay_alu instid0(VALU_DEP_2) | instskip(SKIP_1) | instid1(SALU_CYCLE_1)
	v_lshlrev_b64 v[1:2], 2, v[1:2]
	s_lshl_b64 s[2:3], s[2:3], 2
	s_add_u32 s2, s13, s2
	s_delay_alu instid0(VALU_DEP_2) | instskip(SKIP_1) | instid1(VALU_DEP_2)
	v_lshlrev_b64 v[3:4], 2, v[3:4]
	s_addc_u32 s3, s16, s3
	v_add_co_u32 v1, vcc_lo, s13, v1
	v_add_co_ci_u32_e32 v2, vcc_lo, s16, v2, vcc_lo
	s_delay_alu instid0(VALU_DEP_3) | instskip(NEXT) | instid1(VALU_DEP_4)
	v_add_co_u32 v3, vcc_lo, s13, v3
	v_add_co_ci_u32_e32 v4, vcc_lo, s16, v4, vcc_lo
	s_clause 0x1
	global_load_b32 v5, v[1:2], off
	global_load_b32 v3, v[3:4], off
	s_or_b32 s6, s12, 32
	s_delay_alu instid0(SALU_CYCLE_1) | instskip(SKIP_2) | instid1(SALU_CYCLE_1)
	s_ashr_i32 s7, s6, 4
	s_cmp_lt_i32 s6, s17
	s_cselect_b32 s6, s7, s4
	s_ashr_i32 s7, s6, 31
	s_delay_alu instid0(SALU_CYCLE_1) | instskip(NEXT) | instid1(SALU_CYCLE_1)
	s_lshl_b64 s[6:7], s[6:7], 2
	s_add_u32 s6, s13, s6
	s_addc_u32 s7, s16, s7
	s_or_b32 s8, s12, 64
	s_delay_alu instid0(SALU_CYCLE_1) | instskip(SKIP_2) | instid1(SALU_CYCLE_1)
	s_ashr_i32 s9, s8, 4
	s_cmp_lt_i32 s8, s17
	s_cselect_b32 s8, s9, s4
	s_ashr_i32 s9, s8, 31
	s_delay_alu instid0(SALU_CYCLE_1) | instskip(NEXT) | instid1(SALU_CYCLE_1)
	s_lshl_b64 s[8:9], s[8:9], 2
	s_add_u32 s8, s13, s8
	s_addc_u32 s9, s16, s9
	;; [unrolled: 10-line block ×5, first 2 shown]
	s_clause 0x5
	s_load_b32 s28, s[2:3], 0x0
	s_load_b32 s29, s[6:7], 0x0
	;; [unrolled: 1-line block ×6, first 2 shown]
	s_mov_b32 s20, 0
	s_or_b32 s2, s12, 0xc0
	s_mov_b32 s21, s20
	s_mov_b32 s22, s20
	;; [unrolled: 1-line block ×5, first 2 shown]
	v_lshlrev_b32_e32 v1, 4, v0
	s_ashr_i32 s3, s2, 4
	s_cmp_lt_i32 s2, s17
	s_cselect_b32 s2, s3, s4
	s_delay_alu instid0(VALU_DEP_1) | instskip(SKIP_1) | instid1(SALU_CYCLE_1)
	v_and_b32_e32 v1, 0xf0, v1
	s_ashr_i32 s3, s2, 31
	s_lshl_b64 s[2:3], s[2:3], 2
	s_delay_alu instid0(VALU_DEP_1) | instskip(NEXT) | instid1(VALU_DEP_1)
	v_add_co_u32 v1, s26, s26, v1
	v_add_co_ci_u32_e64 v2, null, s27, 0, s26
	s_add_u32 s2, s13, s2
	s_addc_u32 s3, s16, s3
	s_or_b32 s6, s12, 0xe0
	s_mov_b32 s27, s20
	s_ashr_i32 s7, s6, 4
	s_cmp_lt_i32 s6, s17
	s_mov_b32 s26, s20
	s_cselect_b32 s6, s7, s4
	v_mov_b32_e32 v102, s27
	v_mov_b32_e32 v96, s21
	s_ashr_i32 s7, s6, 31
	v_mov_b32_e32 v101, s26
	s_lshl_b64 s[6:7], s[6:7], 2
	v_dual_mov_b32 v100, s25 :: v_dual_mov_b32 v99, s24
	v_dual_mov_b32 v98, s23 :: v_dual_mov_b32 v97, s22
	v_mov_b32_e32 v95, s20
	s_waitcnt vmcnt(1)
	v_mad_i64_i32 v[33:34], null, v5, s5, v[1:2]
	s_waitcnt vmcnt(0)
	v_mad_i64_i32 v[35:36], null, v3, s5, v[1:2]
	s_clause 0xf
	global_load_b128 v[1:4], v[33:34], off
	global_load_b128 v[5:8], v[33:34], off offset:256
	global_load_b128 v[9:12], v[35:36], off
	global_load_b128 v[13:16], v[35:36], off offset:256
	global_load_b128 v[17:20], v[33:34], off offset:512
	global_load_b128 v[21:24], v[33:34], off offset:768
	global_load_b128 v[25:28], v[35:36], off offset:512
	global_load_b128 v[29:32], v[35:36], off offset:768
	global_load_b128 v[57:60], v[33:34], off offset:1024
	global_load_b128 v[61:64], v[33:34], off offset:1280
	global_load_b128 v[71:74], v[35:36], off offset:1024
	global_load_b128 v[75:78], v[35:36], off offset:1280
	global_load_b128 v[79:82], v[33:34], off offset:1536
	global_load_b128 v[83:86], v[33:34], off offset:1792
	global_load_b128 v[87:90], v[35:36], off offset:1536
	global_load_b128 v[91:94], v[35:36], off offset:1792
	v_and_b32_e32 v33, 3, v0
	v_lshlrev_b32_e32 v34, 4, v69
	s_delay_alu instid0(VALU_DEP_2) | instskip(NEXT) | instid1(VALU_DEP_2)
	v_lshlrev_b32_e32 v139, 6, v33
	v_lshl_or_b32 v41, v68, 8, v34
	ds_load_b128 v[33:36], v139
	ds_load_b128 v[37:40], v139 offset:1024
	ds_load_b128 v[103:106], v139 offset:2048
	;; [unrolled: 1-line block ×3, first 2 shown]
	s_load_b32 s4, s[2:3], 0x0
	s_add_u32 s2, s13, s6
	s_addc_u32 s3, s16, s7
	ds_load_b128 v[111:114], v139 offset:4096
	ds_load_b128 v[115:118], v139 offset:5120
	s_load_b32 s2, s[2:3], 0x0
	s_add_u32 s6, s10, s15
	s_addc_u32 s7, s11, s19
	v_add_co_u32 v127, s6, s6, v41
	s_delay_alu instid0(VALU_DEP_1) | instskip(SKIP_1) | instid1(VALU_DEP_1)
	v_add_co_ci_u32_e64 v128, null, s7, 0, s6
	s_waitcnt lgkmcnt(0)
	v_mad_i64_i32 v[41:42], null, s28, s5, v[127:128]
	v_mad_i64_i32 v[129:130], null, s8, s5, v[127:128]
	;; [unrolled: 1-line block ×7, first 2 shown]
	s_clause 0x3
	global_load_b128 v[49:52], v[41:42], off
	global_load_b128 v[53:56], v[41:42], off offset:16
	global_load_b128 v[41:44], v[45:46], off
	global_load_b128 v[45:48], v[45:46], off offset:16
	s_waitcnt vmcnt(18)
	v_wmma_f32_16x16x16_f16 v[119:126], v[1:8], v[33:40], v[95:102]
	s_waitcnt vmcnt(16)
	v_wmma_f32_16x16x16_f16 v[95:102], v[9:16], v[33:40], v[95:102]
	s_clause 0x3
	global_load_b128 v[33:36], v[129:130], off
	global_load_b128 v[37:40], v[129:130], off offset:16
	global_load_b128 v[1:4], v[131:132], off
	global_load_b128 v[5:8], v[131:132], off offset:16
	s_waitcnt vmcnt(18)
	v_wmma_f32_16x16x16_f16 v[119:126], v[17:24], v[103:110], v[119:126]
	s_clause 0x3
	global_load_b128 v[9:12], v[133:134], off
	global_load_b128 v[13:16], v[133:134], off offset:16
	global_load_b128 v[17:20], v[135:136], off
	global_load_b128 v[21:24], v[135:136], off offset:16
	s_waitcnt vmcnt(20)
	v_wmma_f32_16x16x16_f16 v[95:102], v[25:32], v[103:110], v[95:102]
	v_mad_i64_i32 v[103:104], null, s2, s5, v[127:128]
	s_waitcnt vmcnt(18)
	v_wmma_f32_16x16x16_f16 v[119:126], v[57:64], v[111:118], v[119:126]
	s_clause 0x1
	global_load_b128 v[25:28], v[137:138], off
	global_load_b128 v[29:32], v[137:138], off offset:16
	s_waitcnt vmcnt(18)
	v_wmma_f32_16x16x16_f16 v[95:102], v[71:78], v[111:118], v[95:102]
	s_clause 0x1
	global_load_b128 v[57:60], v[103:104], off
	global_load_b128 v[61:64], v[103:104], off offset:16
	ds_load_b128 v[71:74], v139 offset:6144
	ds_load_b128 v[75:78], v139 offset:7168
	v_mbcnt_lo_u32_b32 v104, -1, 0
	s_waitcnt vmcnt(0) lgkmcnt(0)
	s_barrier
	buffer_gl0_inv
	v_xor_b32_e32 v105, 16, v104
	s_delay_alu instid0(VALU_DEP_1) | instskip(SKIP_4) | instid1(VALU_DEP_2)
	v_cmp_gt_i32_e32 vcc_lo, 32, v105
	v_cndmask_b32_e32 v104, v104, v105, vcc_lo
	v_wmma_f32_16x16x16_f16 v[95:102], v[87:94], v[71:78], v[95:102]
	v_and_b32_e32 v103, 0xe0, v0
	v_wmma_f32_16x16x16_f16 v[119:126], v[79:86], v[71:78], v[119:126]
	v_dual_mul_f32 v90, s18, v101 :: v_dual_add_nc_u32 v103, s12, v103
	s_delay_alu instid0(VALU_DEP_2) | instskip(NEXT) | instid1(VALU_DEP_3)
	v_dual_mul_f32 v94, s18, v97 :: v_dual_mul_f32 v87, s18, v120
	v_dual_mul_f32 v88, s18, v119 :: v_dual_mul_f32 v77, s18, v122
	s_delay_alu instid0(VALU_DEP_3) | instskip(SKIP_3) | instid1(VALU_DEP_4)
	v_or_b32_e32 v103, v103, v66
	v_dual_mul_f32 v78, s18, v121 :: v_dual_mul_f32 v75, s18, v124
	v_dual_mul_f32 v76, s18, v123 :: v_dual_mul_f32 v73, s18, v126
	v_mul_f32_e32 v92, s18, v99
	v_or_b32_e32 v105, 2, v103
	v_or_b32_e32 v106, 4, v103
	;; [unrolled: 1-line block ×3, first 2 shown]
	v_cmp_gt_i32_e64 s2, s17, v103
	v_or_b32_e32 v108, 8, v103
	v_cmp_gt_i32_e32 vcc_lo, s17, v105
	v_or_b32_e32 v109, 10, v103
	v_cmp_gt_i32_e64 s3, s17, v106
	v_cndmask_b32_e64 v88, 0xff7fffff, v88, s2
	v_cmp_gt_i32_e64 s4, s17, v107
	v_cndmask_b32_e32 v87, 0xff7fffff, v87, vcc_lo
	v_or_b32_e32 v79, 12, v103
	v_or_b32_e32 v80, 14, v103
	v_cndmask_b32_e64 v78, 0xff7fffff, v78, s3
	v_cndmask_b32_e64 v77, 0xff7fffff, v77, s4
	v_max3_f32 v87, v88, 0xff7fffff, v87
	v_cmp_gt_i32_e64 s5, s17, v108
	v_cmp_gt_i32_e64 s6, s17, v109
	v_or_b32_e32 v81, 16, v103
	v_or_b32_e32 v82, 18, v103
	v_mul_f32_e32 v74, s18, v125
	v_cndmask_b32_e64 v76, 0xff7fffff, v76, s5
	v_cndmask_b32_e64 v75, 0xff7fffff, v75, s6
	v_max3_f32 v77, v87, v78, v77
	v_cmp_gt_i32_e64 s7, s17, v79
	v_cmp_gt_i32_e64 s8, s17, v80
	v_or_b32_e32 v83, 20, v103
	v_or_b32_e32 v84, 22, v103
	;; [unrolled: 1-line block ×6, first 2 shown]
	v_mul_f32_e32 v105, s18, v96
	v_mul_f32_e32 v103, s18, v95
	v_cndmask_b32_e64 v74, 0xff7fffff, v74, s7
	v_cndmask_b32_e64 v73, 0xff7fffff, v73, s8
	v_max3_f32 v75, v77, v76, v75
	v_cmp_gt_i32_e64 s9, s17, v81
	v_cmp_gt_i32_e64 s10, s17, v82
	v_mul_f32_e32 v93, s18, v98
	v_cmp_gt_i32_e64 s11, s17, v83
	v_max3_f32 v73, v75, v74, v73
	v_cndmask_b32_e64 v76, 0xff7fffff, v103, s9
	v_cndmask_b32_e64 v77, 0xff7fffff, v105, s10
	v_cmp_gt_i32_e64 s12, s17, v84
	v_mul_f32_e32 v91, s18, v100
	v_cndmask_b32_e64 v74, 0xff7fffff, v94, s11
	v_cmp_gt_i32_e64 s13, s17, v85
	v_max3_f32 v73, v73, v76, v77
	v_cndmask_b32_e64 v75, 0xff7fffff, v93, s12
	v_cmp_gt_i32_e64 s15, s17, v86
	v_mul_f32_e32 v89, s18, v102
	v_cndmask_b32_e64 v76, 0xff7fffff, v92, s13
	v_cmp_gt_i32_e64 s16, s17, v71
	v_max3_f32 v73, v73, v74, v75
	v_cndmask_b32_e64 v77, 0xff7fffff, v91, s15
	v_cmp_gt_i32_e64 s17, s17, v72
	v_lshlrev_b32_e32 v74, 2, v104
	v_cndmask_b32_e64 v71, 0xff7fffff, v90, s16
	s_delay_alu instid0(VALU_DEP_4) | instskip(NEXT) | instid1(VALU_DEP_4)
	v_max3_f32 v73, v73, v76, v77
	v_cndmask_b32_e64 v72, 0xff7fffff, v89, s17
	s_delay_alu instid0(VALU_DEP_1) | instskip(SKIP_3) | instid1(VALU_DEP_1)
	v_max3_f32 v71, v73, v71, v72
	ds_bpermute_b32 v72, v74, v71
	s_waitcnt lgkmcnt(0)
	v_max_f32_e32 v72, v72, v72
	v_max_f32_e32 v71, v71, v72
	s_delay_alu instid0(VALU_DEP_1)
	v_fma_f32 v72, s18, v119, -v71
	v_fma_f32 v76, s18, v122, -v71
	;; [unrolled: 1-line block ×5, first 2 shown]
	v_mul_f32_e32 v72, 0x3fb8aa3b, v72
	v_mul_f32_e32 v76, 0x3fb8aa3b, v76
	v_fma_f32 v75, s18, v121, -v71
	v_mul_f32_e32 v79, 0x3fb8aa3b, v77
	v_mul_f32_e32 v87, 0x3fb8aa3b, v86
	v_exp_f32_e32 v72, v72
	v_exp_f32_e32 v76, v76
	v_fma_f32 v81, s18, v125, -v71
	v_exp_f32_e32 v82, v79
	v_exp_f32_e32 v87, v87
	v_fma_f32 v84, s18, v96, -v71
	s_delay_alu instid0(VALU_DEP_2) | instskip(SKIP_3) | instid1(TRANS32_DEP_3)
	v_mul_f32_e32 v81, 0x3fb8aa3b, v81
	v_cndmask_b32_e64 v78, 0, v72, s2
	v_fma_f32 v72, s18, v124, -v71
	v_mul_f32_e32 v73, 0x3fb8aa3b, v73
	v_cndmask_b32_e64 v79, 0, v76, s4
	v_fma_f32 v76, s18, v95, -v71
	s_delay_alu instid0(VALU_DEP_4) | instskip(NEXT) | instid1(VALU_DEP_4)
	v_dual_mul_f32 v75, 0x3fb8aa3b, v75 :: v_dual_mul_f32 v72, 0x3fb8aa3b, v72
	v_exp_f32_e32 v73, v73
	v_cndmask_b32_e64 v87, 0, v87, s12
	s_delay_alu instid0(VALU_DEP_3) | instskip(NEXT) | instid1(VALU_DEP_3)
	v_mul_f32_e32 v76, 0x3fb8aa3b, v76
	v_exp_f32_e32 v75, v75
	v_exp_f32_e32 v72, v72
	;; [unrolled: 1-line block ×3, first 2 shown]
	v_cndmask_b32_e64 v82, 0, v82, s5
	v_mul_f32_e32 v85, 0x3fb8aa3b, v84
	v_exp_f32_e32 v76, v76
	s_mov_b32 s2, exec_lo
	v_cndmask_b32_e32 v77, 0, v73, vcc_lo
	v_add_f32_e32 v73, 0, v78
	v_exp_f32_e32 v85, v85
	v_cndmask_b32_e64 v80, 0, v75, s3
	v_fma_f32 v75, s18, v126, -v71
	v_cndmask_b32_e64 v81, 0, v72, s6
	v_add_f32_e32 v73, v73, v77
	v_cndmask_b32_e64 v84, 0, v83, s7
	v_cndmask_b32_e64 v86, 0, v76, s9
	v_mul_f32_e32 v75, 0x3fb8aa3b, v75
	s_delay_alu instid0(VALU_DEP_4) | instskip(NEXT) | instid1(TRANS32_DEP_1)
	v_add_f32_e32 v73, v73, v80
	v_cndmask_b32_e64 v85, 0, v85, s10
	s_delay_alu instid0(VALU_DEP_3) | instskip(NEXT) | instid1(VALU_DEP_2)
	v_exp_f32_e32 v75, v75
	v_add_f32_e32 v73, v73, v79
	s_delay_alu instid0(VALU_DEP_1) | instskip(SKIP_3) | instid1(VALU_DEP_1)
	v_add_f32_e32 v72, v73, v82
	s_waitcnt_depctr 0xfff
	v_cndmask_b32_e64 v83, 0, v75, s8
	v_add_f32_e32 v72, v72, v81
	v_add_f32_e32 v72, v72, v84
	s_delay_alu instid0(VALU_DEP_1) | instskip(NEXT) | instid1(VALU_DEP_1)
	v_add_f32_e32 v72, v72, v83
	v_add_f32_e32 v72, v72, v86
	s_delay_alu instid0(VALU_DEP_1) | instskip(SKIP_4) | instid1(VALU_DEP_4)
	v_add_f32_e32 v72, v72, v85
	v_fma_f32 v73, s18, v97, -v71
	v_fma_f32 v75, s18, v99, -v71
	;; [unrolled: 1-line block ×4, first 2 shown]
	v_mul_f32_e32 v73, 0x3fb8aa3b, v73
	s_delay_alu instid0(VALU_DEP_3) | instskip(NEXT) | instid1(VALU_DEP_2)
	v_dual_mul_f32 v75, 0x3fb8aa3b, v75 :: v_dual_mul_f32 v76, 0x3fb8aa3b, v76
	v_exp_f32_e32 v73, v73
	s_delay_alu instid0(VALU_DEP_1) | instskip(NEXT) | instid1(VALU_DEP_1)
	v_exp_f32_e32 v75, v75
	v_exp_f32_e32 v76, v76
	s_delay_alu instid0(TRANS32_DEP_3)
	v_cndmask_b32_e64 v88, 0, v73, s11
	v_mul_f32_e32 v73, 0x3fb8aa3b, v89
	v_fma_f32 v89, s18, v102, -v71
	s_waitcnt_depctr 0xfff
	v_cndmask_b32_e64 v90, 0, v75, s13
	v_add_f32_e32 v72, v72, v88
	v_exp_f32_e32 v73, v73
	v_mul_f32_e32 v75, 0x3fb8aa3b, v89
	v_cndmask_b32_e64 v89, 0, v76, s15
	s_delay_alu instid0(VALU_DEP_3) | instskip(NEXT) | instid1(VALU_DEP_3)
	v_add_f32_e32 v72, v72, v87
	v_exp_f32_e32 v75, v75
	s_delay_alu instid0(VALU_DEP_1) | instskip(SKIP_4) | instid1(VALU_DEP_2)
	v_add_f32_e32 v72, v72, v90
	s_waitcnt_depctr 0xfff
	v_cndmask_b32_e64 v92, 0, v73, s16
	v_add_f32_e32 v72, v72, v89
	v_cndmask_b32_e64 v91, 0, v75, s17
	v_add_f32_e32 v72, v72, v92
	s_delay_alu instid0(VALU_DEP_1)
	v_add_f32_e32 v72, v72, v91
	ds_bpermute_b32 v73, v74, v72
	v_cmpx_gt_u32_e32 16, v70
	s_cbranch_execz .LBB949_12
; %bb.11:
	v_mul_u32_u24_e32 v70, 0x44, v68
	s_waitcnt lgkmcnt(0)
	v_add_f32_e32 v72, v72, v73
	s_delay_alu instid0(VALU_DEP_2) | instskip(NEXT) | instid1(VALU_DEP_1)
	v_lshl_add_u32 v70, v69, 2, v70
	v_add_nc_u32_e32 v70, 0x4000, v70
	ds_store_2addr_b32 v70, v71, v72 offset1:136
.LBB949_12:
	s_or_b32 exec_lo, exec_lo, s2
	v_lshlrev_b32_e32 v70, 2, v69
	s_load_b32 s34, s[0:1], 0x94
	s_waitcnt lgkmcnt(0)
	s_barrier
	buffer_gl0_inv
	v_add_nc_u32_e32 v74, 0x4000, v70
	v_cmp_eq_u32_e32 vcc_lo, 1, v68
	v_cmp_eq_u32_e64 s2, 2, v68
	v_cmp_eq_u32_e64 s3, 3, v68
	v_cmp_eq_u32_e64 s4, 4, v68
	ds_load_2addr_b32 v[70:71], v74 offset1:17
	ds_load_2addr_b32 v[72:73], v74 offset0:34 offset1:51
	ds_load_2addr_b32 v[93:94], v74 offset0:68 offset1:85
	;; [unrolled: 1-line block ×3, first 2 shown]
	v_cmp_eq_u32_e64 s5, 5, v68
	v_cmp_eq_u32_e64 s6, 7, v68
	s_waitcnt lgkmcnt(3)
	v_max3_f32 v75, v70, 0xff7fffff, v71
	s_waitcnt lgkmcnt(2)
	s_delay_alu instid0(VALU_DEP_1) | instskip(SKIP_1) | instid1(VALU_DEP_1)
	v_max3_f32 v75, v75, v72, v73
	s_waitcnt lgkmcnt(1)
	v_max3_f32 v75, v75, v93, v94
	s_waitcnt lgkmcnt(0)
	s_delay_alu instid0(VALU_DEP_1) | instskip(NEXT) | instid1(VALU_DEP_1)
	v_max3_f32 v75, v75, v95, v96
	v_sub_f32_e32 v93, v93, v75
	ds_load_2addr_b32 v[97:98], v74 offset0:136 offset1:153
	v_sub_f32_e32 v70, v70, v75
	v_dual_sub_f32 v100, v73, v75 :: v_dual_mul_f32 v103, 0x3fb8aa3b, v93
	s_delay_alu instid0(VALU_DEP_2) | instskip(SKIP_3) | instid1(VALU_DEP_1)
	v_dual_sub_f32 v76, v71, v75 :: v_dual_mul_f32 v99, 0x3fb8aa3b, v70
	ds_load_2addr_b32 v[70:71], v74 offset0:170 offset1:187
	v_mul_f32_e32 v76, 0x3fb8aa3b, v76
	v_exp_f32_e32 v99, v99
	v_exp_f32_e32 v102, v76
	v_mul_f32_e32 v100, 0x3fb8aa3b, v100
	s_waitcnt lgkmcnt(1)
	s_waitcnt_depctr 0xfff
	v_fma_f32 v76, v99, v97, 0
	v_sub_f32_e32 v97, v94, v75
	v_sub_f32_e32 v72, v72, v75
	v_exp_f32_e32 v100, v100
	ds_load_2addr_b32 v[93:94], v74 offset0:238 offset1:255
	v_dual_fmac_f32 v76, v102, v98 :: v_dual_mul_f32 v101, 0x3fb8aa3b, v72
	ds_load_2addr_b32 v[72:73], v74 offset0:204 offset1:221
	v_dual_sub_f32 v74, v95, v75 :: v_dual_mul_f32 v95, 0x3fb8aa3b, v97
	v_exp_f32_e32 v97, v103
	v_exp_f32_e32 v101, v101
	s_waitcnt lgkmcnt(0)
	s_barrier
	v_exp_f32_e32 v95, v95
	buffer_gl0_inv
	v_fmac_f32_e32 v76, v101, v70
	v_sub_f32_e32 v70, v96, v75
	s_delay_alu instid0(VALU_DEP_2) | instskip(NEXT) | instid1(VALU_DEP_2)
	v_fmac_f32_e32 v76, v100, v71
	v_mul_f32_e32 v70, 0x3fb8aa3b, v70
	s_delay_alu instid0(VALU_DEP_2)
	v_dual_cndmask_b32 v71, v99, v102 :: v_dual_fmac_f32 v76, v97, v72
	v_lshlrev_b32_e32 v72, 6, v69
	v_lshlrev_b32_e32 v69, 2, v66
	v_mul_f32_e32 v74, 0x3fb8aa3b, v74
	v_exp_f32_e32 v98, v70
	v_fmac_f32_e32 v76, v95, v73
	s_delay_alu instid0(VALU_DEP_3) | instskip(NEXT) | instid1(VALU_DEP_3)
	v_cmp_eq_u32_e64 s7, 7, v69
	v_exp_f32_e32 v96, v74
	v_lshl_or_b32 v74, v68, 11, v72
	s_waitcnt_depctr 0xfff
	v_fmac_f32_e32 v76, v96, v93
	s_delay_alu instid0(VALU_DEP_1) | instskip(NEXT) | instid1(VALU_DEP_1)
	v_fmac_f32_e32 v76, v98, v94
	v_add_f32_e32 v73, 0x358637bd, v76
	s_delay_alu instid0(VALU_DEP_1) | instskip(SKIP_1) | instid1(VALU_DEP_2)
	v_div_scale_f32 v93, null, v73, v73, 1.0
	v_div_scale_f32 v99, vcc_lo, 1.0, v73, 1.0
	v_rcp_f32_e32 v94, v93
	s_waitcnt_depctr 0xfff
	v_fma_f32 v70, -v93, v94, 1.0
	s_delay_alu instid0(VALU_DEP_1)
	v_fmac_f32_e32 v94, v70, v94
	v_cndmask_b32_e64 v70, v71, v101, s2
	v_cmp_eq_u32_e64 s2, 6, v68
	v_or_b32_e32 v71, 1, v69
	v_or_b32_e32 v68, 2, v69
	v_mul_f32_e32 v101, v99, v94
	v_cndmask_b32_e64 v70, v70, v100, s3
	v_cmp_eq_u32_e64 s3, 1, v69
	v_cmp_eq_u32_e64 s8, 1, v71
	;; [unrolled: 1-line block ×3, first 2 shown]
	v_fma_f32 v100, -v93, v101, v99
	v_cndmask_b32_e64 v70, v70, v97, s4
	v_cmp_eq_u32_e64 s4, 2, v69
	v_cmp_eq_u32_e64 s11, 2, v71
	;; [unrolled: 1-line block ×3, first 2 shown]
	v_fmac_f32_e32 v101, v100, v94
	v_cndmask_b32_e64 v95, v70, v95, s5
	v_or_b32_e32 v70, 3, v69
	v_cmp_eq_u32_e64 s12, 3, v71
	v_cmp_eq_u32_e64 s16, 3, v68
	v_fma_f32 v93, -v93, v101, v99
	v_cndmask_b32_e64 v95, v95, v96, s2
	v_cmp_eq_u32_e64 s10, 1, v70
	v_cmp_eq_u32_e64 s15, 2, v70
	;; [unrolled: 1-line block ×3, first 2 shown]
	v_div_fmas_f32 v93, v93, v94, v101
	v_cndmask_b32_e64 v94, v95, v98, s6
	v_cmp_eq_u32_e32 vcc_lo, 3, v69
	v_cmp_eq_u32_e64 s2, 4, v69
	v_cmp_eq_u32_e64 s18, 4, v71
	v_div_fixup_f32 v93, v93, v73, 1.0
	v_lshl_or_b32 v73, v66, 4, v74
	v_cmp_eq_u32_e64 s21, 4, v70
	v_cmp_eq_u32_e64 s5, 5, v69
	;; [unrolled: 1-line block ×3, first 2 shown]
	v_mul_f32_e32 v101, v94, v93
	v_cmp_eq_u32_e64 s20, 4, v68
	v_cmp_eq_u32_e64 s23, 5, v70
	;; [unrolled: 1-line block ×4, first 2 shown]
	v_fma_mixlo_f16 v93, v101, v78, 0
	v_fma_mixlo_f16 v94, v101, v80, 0
	;; [unrolled: 1-line block ×8, first 2 shown]
	v_fma_mixhi_f16 v93, v101, v77, 0
	v_fma_mixhi_f16 v94, v101, v79, 0
	;; [unrolled: 1-line block ×8, first 2 shown]
	ds_store_b128 v73, v[93:96]
	ds_store_b128 v73, v[97:100] offset:1024
	s_waitcnt lgkmcnt(0)
	s_barrier
	buffer_gl0_inv
	ds_load_b128 v[77:80], v74
	ds_load_b128 v[81:84], v74 offset:16
	ds_load_b128 v[85:88], v74 offset:1024
	;; [unrolled: 1-line block ×3, first 2 shown]
	v_cmp_eq_u32_e64 s26, 6, v70
	v_cmp_eq_u32_e64 s6, 6, v69
	;; [unrolled: 1-line block ×6, first 2 shown]
	s_waitcnt lgkmcnt(3)
	v_lshrrev_b32_e32 v93, 16, v77
	s_waitcnt lgkmcnt(2)
	v_lshrrev_b32_e32 v97, 16, v81
	;; [unrolled: 2-line block ×4, first 2 shown]
	v_lshrrev_b32_e32 v94, 16, v78
	v_cndmask_b32_e64 v109, v77, v93, s3
	v_cndmask_b32_e64 v110, v81, v97, s3
	;; [unrolled: 1-line block ×8, first 2 shown]
	v_lshrrev_b32_e32 v98, 16, v82
	v_cndmask_b32_e64 v93, v85, v101, s3
	v_cndmask_b32_e64 v97, v89, v105, s3
	v_cndmask_b32_e64 v115, v85, v101, s8
	v_cndmask_b32_e64 v116, v89, v105, s8
	v_cndmask_b32_e64 v117, v85, v101, s9
	v_cndmask_b32_e64 v118, v89, v105, s9
	v_cndmask_b32_e64 v85, v85, v101, s10
	v_cndmask_b32_e64 v89, v89, v105, s10
	v_cndmask_b32_e64 v101, v109, v78, s4
	v_cndmask_b32_e64 v105, v110, v82, s4
	v_cndmask_b32_e64 v109, v111, v78, s11
	v_cndmask_b32_e64 v110, v112, v82, s11
	v_cndmask_b32_e64 v111, v113, v78, s13
	v_cndmask_b32_e64 v77, v77, v78, s15
	v_cndmask_b32_e64 v78, v81, v82, s15
	v_lshrrev_b32_e32 v102, 16, v86
	v_lshrrev_b32_e32 v106, 16, v90
	v_cndmask_b32_e64 v112, v114, v82, s13
	v_cndmask_b32_e64 v81, v93, v86, s4
	;; [unrolled: 1-line block ×7, first 2 shown]
	v_cndmask_b32_e32 v89, v101, v94, vcc_lo
	v_cndmask_b32_e32 v101, v105, v98, vcc_lo
	v_cndmask_b32_e64 v105, v109, v94, s12
	v_cndmask_b32_e64 v109, v110, v98, s12
	;; [unrolled: 1-line block ×4, first 2 shown]
	v_lshrrev_b32_e32 v95, 16, v79
	v_lshrrev_b32_e32 v99, 16, v83
	v_cndmask_b32_e64 v110, v111, v94, s16
	v_cndmask_b32_e64 v111, v112, v98, s16
	v_cndmask_b32_e32 v81, v81, v102, vcc_lo
	v_cndmask_b32_e32 v82, v82, v106, vcc_lo
	v_cndmask_b32_e64 v93, v93, v102, s12
	v_cndmask_b32_e64 v89, v89, v79, s2
	;; [unrolled: 1-line block ×7, first 2 shown]
	v_lshrrev_b32_e32 v103, 16, v87
	v_cndmask_b32_e64 v105, v110, v79, s20
	v_cndmask_b32_e64 v109, v111, v83, s20
	;; [unrolled: 1-line block ×11, first 2 shown]
	v_lshrrev_b32_e32 v96, 16, v80
	v_lshrrev_b32_e32 v100, 16, v84
	v_cndmask_b32_e64 v98, v105, v95, s22
	v_cndmask_b32_e64 v101, v109, v99, s22
	;; [unrolled: 1-line block ×7, first 2 shown]
	v_lshrrev_b32_e32 v104, 16, v88
	v_cndmask_b32_e64 v79, v79, v103, s5
	v_cndmask_b32_e64 v83, v83, v80, s6
	;; [unrolled: 1-line block ×16, first 2 shown]
	v_perm_b32 v80, v78, v77, 0x5040100
	v_perm_b32 v78, v94, v84, 0x5040100
	v_cndmask_b32_e64 v77, v118, v90, s13
	v_cndmask_b32_e64 v84, v116, v90, s11
	;; [unrolled: 1-line block ×3, first 2 shown]
	v_perm_b32 v79, v93, v89, 0x5040100
	v_cndmask_b32_e64 v89, v97, v102, s16
	v_cndmask_b32_e64 v85, v85, v102, s17
	;; [unrolled: 1-line block ×5, first 2 shown]
	v_lshrrev_b32_e32 v107, 16, v91
	v_cndmask_b32_e64 v89, v89, v87, s20
	v_cndmask_b32_e64 v85, v85, v87, s21
	;; [unrolled: 1-line block ×11, first 2 shown]
	v_lshrrev_b32_e32 v108, 16, v92
	v_cndmask_b32_e64 v81, v81, v92, s6
	v_cndmask_b32_e64 v87, v87, v88, s25
	;; [unrolled: 1-line block ×12, first 2 shown]
	v_perm_b32 v77, v83, v82, 0x5040100
	v_perm_b32 v84, v86, v85, 0x5040100
	;; [unrolled: 1-line block ×5, first 2 shown]
	s_lshl_b32 s7, s33, 2
	s_mov_b32 s2, exec_lo
	ds_store_b128 v73, v[77:80]
	ds_store_b128 v73, v[81:84] offset:1024
	v_cmpx_gt_u32_e32 4, v0
	s_cbranch_execz .LBB949_14
; %bb.13:
	v_or_b32_e32 v77, s31, v0
	s_load_b128 s[8:11], s[0:1], 0x58
	s_delay_alu instid0(VALU_DEP_1) | instskip(NEXT) | instid1(VALU_DEP_1)
	v_mad_u64_u32 v[78:79], null, s7, s30, v[77:78]
	v_mad_u64_u32 v[79:80], null, v78, s34, s[14:15]
	s_delay_alu instid0(VALU_DEP_1) | instskip(NEXT) | instid1(VALU_DEP_1)
	v_ashrrev_i32_e32 v80, 31, v79
	v_lshlrev_b64 v[77:78], 2, v[79:80]
	s_waitcnt lgkmcnt(0)
	s_delay_alu instid0(VALU_DEP_1) | instskip(NEXT) | instid1(VALU_DEP_2)
	v_add_co_u32 v79, vcc_lo, s10, v77
	v_add_co_ci_u32_e32 v80, vcc_lo, s11, v78, vcc_lo
	v_add_co_u32 v77, vcc_lo, s8, v77
	v_add_co_ci_u32_e32 v78, vcc_lo, s9, v78, vcc_lo
	global_store_b32 v[79:80], v75, off
	global_store_b32 v[77:78], v76, off
.LBB949_14:
	s_or_b32 exec_lo, exec_lo, s2
	s_waitcnt lgkmcnt(0)
	s_waitcnt_vscnt null, 0x0
	s_barrier
	buffer_gl0_inv
	ds_load_b128 v[83:86], v72
	ds_load_b128 v[87:90], v72 offset:16
	ds_load_b128 v[95:98], v72 offset:2064
	;; [unrolled: 1-line block ×5, first 2 shown]
	v_cmp_eq_u32_e32 vcc_lo, 1, v69
	v_mov_b32_e32 v75, 0
	ds_load_b128 v[111:114], v72 offset:6160
	ds_load_b128 v[107:110], v72 offset:6144
	;; [unrolled: 1-line block ×4, first 2 shown]
	v_cmp_eq_u32_e64 s3, 1, v68
	v_cmp_eq_u32_e64 s2, 1, v71
	;; [unrolled: 1-line block ×3, first 2 shown]
	v_mov_b32_e32 v76, v75
	v_mov_b32_e32 v77, v75
	;; [unrolled: 1-line block ×7, first 2 shown]
	v_cmp_eq_u32_e64 s5, 3, v71
	v_cmp_eq_u32_e64 s6, 7, v71
	s_waitcnt lgkmcnt(8)
	s_delay_alu instid0(VALU_DEP_3)
	v_wmma_f32_16x16x16_f16 v[75:82], v[49:56], v[83:90], v[75:82]
	ds_load_b128 v[53:56], v72 offset:10256
	ds_load_b128 v[49:52], v72 offset:10240
	s_waitcnt lgkmcnt(8)
	v_wmma_f32_16x16x16_f16 v[75:82], v[41:48], v[91:98], v[75:82]
	ds_load_b128 v[45:48], v72 offset:12304
	ds_load_b128 v[41:44], v72 offset:12288
	s_waitcnt lgkmcnt(8)
	;; [unrolled: 4-line block ×3, first 2 shown]
	s_barrier
	buffer_gl0_inv
	v_wmma_f32_16x16x16_f16 v[75:82], v[1:8], v[107:114], v[75:82]
	s_delay_alu instid0(VALU_DEP_1) | instskip(NEXT) | instid1(VALU_DEP_1)
	v_wmma_f32_16x16x16_f16 v[75:82], v[9:16], v[115:122], v[75:82]
	v_wmma_f32_16x16x16_f16 v[75:82], v[17:24], v[49:56], v[75:82]
	s_delay_alu instid0(VALU_DEP_1) | instskip(NEXT) | instid1(VALU_DEP_1)
	v_wmma_f32_16x16x16_f16 v[75:82], v[25:32], v[41:48], v[75:82]
	v_wmma_f32_16x16x16_f16 v[75:82], v[57:64], v[33:40], v[75:82]
	s_delay_alu instid0(VALU_DEP_1) | instskip(NEXT) | instid1(VALU_DEP_2)
	v_cvt_f16_f32_e32 v1, v75
	v_cvt_f16_f32_e32 v2, v76
	s_delay_alu instid0(VALU_DEP_3) | instskip(NEXT) | instid1(VALU_DEP_4)
	v_cvt_f16_f32_e32 v3, v77
	v_cvt_f16_f32_e32 v4, v78
	;; [unrolled: 1-line block ×6, first 2 shown]
	v_pack_b32_f16 v1, v1, v2
	v_pack_b32_f16 v2, v3, v4
	;; [unrolled: 1-line block ×3, first 2 shown]
	s_delay_alu instid0(VALU_DEP_4)
	v_pack_b32_f16 v4, v7, v8
	ds_store_b128 v73, v[1:4]
	s_waitcnt lgkmcnt(0)
	s_barrier
	buffer_gl0_inv
	ds_load_b128 v[1:4], v74
	ds_load_b128 v[5:8], v74 offset:16
	s_waitcnt lgkmcnt(1)
	v_lshrrev_b32_e32 v9, 16, v1
	s_waitcnt lgkmcnt(0)
	v_lshrrev_b32_e32 v13, 16, v5
	v_lshrrev_b32_e32 v10, 16, v2
	;; [unrolled: 1-line block ×4, first 2 shown]
	v_cndmask_b32_e32 v17, v1, v9, vcc_lo
	v_cndmask_b32_e32 v18, v5, v13, vcc_lo
	v_cndmask_b32_e64 v21, v1, v9, s3
	v_cmp_eq_u32_e32 vcc_lo, 1, v70
	v_cndmask_b32_e64 v22, v5, v13, s3
	v_cmp_eq_u32_e64 s3, 2, v69
	v_cndmask_b32_e64 v19, v1, v9, s2
	v_cndmask_b32_e64 v20, v5, v13, s2
	v_cndmask_b32_e32 v1, v1, v9, vcc_lo
	v_cmp_eq_u32_e64 s2, 2, v70
	v_cndmask_b32_e32 v5, v5, v13, vcc_lo
	v_cndmask_b32_e64 v9, v17, v2, s3
	v_cmp_eq_u32_e32 vcc_lo, 3, v69
	v_cndmask_b32_e64 v13, v18, v6, s3
	v_cmp_eq_u32_e64 s3, 2, v68
	v_cndmask_b32_e64 v17, v19, v2, s4
	v_cndmask_b32_e64 v18, v20, v6, s4
	v_cmp_eq_u32_e64 s4, 3, v68
	v_cndmask_b32_e64 v1, v1, v2, s2
	v_cndmask_b32_e64 v19, v21, v2, s3
	;; [unrolled: 1-line block ×4, first 2 shown]
	v_cndmask_b32_e32 v5, v9, v10, vcc_lo
	v_cndmask_b32_e32 v6, v13, v14, vcc_lo
	v_cmp_eq_u32_e32 vcc_lo, 3, v70
	v_cndmask_b32_e64 v9, v17, v10, s5
	v_cndmask_b32_e64 v13, v18, v14, s5
	;; [unrolled: 1-line block ×3, first 2 shown]
	v_cmp_eq_u32_e64 s3, 4, v69
	v_cndmask_b32_e32 v1, v1, v10, vcc_lo
	v_cndmask_b32_e32 v2, v2, v14, vcc_lo
	v_cmp_eq_u32_e32 vcc_lo, 4, v71
	v_lshrrev_b32_e32 v15, 16, v7
	v_lshrrev_b32_e32 v16, 16, v8
	v_cndmask_b32_e64 v17, v19, v10, s4
	v_cmp_eq_u32_e64 s2, 4, v70
	v_cndmask_b32_e64 v5, v5, v3, s3
	v_cndmask_b32_e64 v6, v6, v7, s3
	v_cndmask_b32_e32 v9, v9, v3, vcc_lo
	v_cmp_eq_u32_e64 s3, 5, v71
	v_cndmask_b32_e32 v10, v13, v7, vcc_lo
	v_cmp_eq_u32_e32 vcc_lo, 4, v68
	v_cmp_eq_u32_e64 s4, 5, v69
	v_cndmask_b32_e64 v2, v2, v7, s2
	v_cndmask_b32_e64 v9, v9, v11, s3
	;; [unrolled: 1-line block ×3, first 2 shown]
	v_cndmask_b32_e32 v13, v17, v3, vcc_lo
	v_cmp_eq_u32_e64 s3, 5, v68
	v_cndmask_b32_e32 v14, v18, v7, vcc_lo
	v_cndmask_b32_e64 v1, v1, v3, s2
	v_cmp_eq_u32_e32 vcc_lo, 5, v70
	v_lshrrev_b32_e32 v12, 16, v4
	v_cndmask_b32_e64 v13, v13, v11, s3
	v_cndmask_b32_e64 v3, v14, v15, s3
	v_cmp_eq_u32_e64 s3, 6, v70
	v_cndmask_b32_e32 v1, v1, v11, vcc_lo
	v_cndmask_b32_e64 v5, v5, v11, s4
	v_cmp_eq_u32_e64 s5, 6, v69
	v_cndmask_b32_e64 v6, v6, v15, s4
	v_cmp_eq_u32_e64 s4, 6, v71
	v_cmp_eq_u32_e64 s2, 6, v68
	v_cndmask_b32_e64 v1, v1, v4, s3
	v_cndmask_b32_e32 v2, v2, v15, vcc_lo
	v_cmp_eq_u32_e32 vcc_lo, 7, v70
	v_cndmask_b32_e64 v5, v5, v4, s5
	v_cndmask_b32_e64 v9, v9, v4, s4
	;; [unrolled: 1-line block ×3, first 2 shown]
	v_cmp_eq_u32_e64 s5, 7, v69
	v_cndmask_b32_e32 v1, v1, v12, vcc_lo
	v_cndmask_b32_e64 v7, v13, v4, s2
	v_cndmask_b32_e64 v3, v3, v8, s2
	;; [unrolled: 1-line block ×3, first 2 shown]
	v_cmp_eq_u32_e64 s2, 7, v68
	v_cndmask_b32_e64 v4, v10, v8, s4
	v_cndmask_b32_e64 v5, v5, v12, s5
	;; [unrolled: 1-line block ×3, first 2 shown]
	v_cndmask_b32_e32 v2, v2, v16, vcc_lo
	v_cndmask_b32_e64 v7, v7, v12, s2
	v_cndmask_b32_e64 v3, v3, v16, s2
	;; [unrolled: 1-line block ×4, first 2 shown]
	v_perm_b32 v4, v2, v1, 0x5040100
	s_mov_b32 s2, exec_lo
	v_perm_b32 v3, v3, v7, 0x5040100
	v_perm_b32 v2, v8, v9, 0x5040100
	;; [unrolled: 1-line block ×3, first 2 shown]
	ds_store_b128 v73, v[1:4]
	s_waitcnt lgkmcnt(0)
	s_barrier
	buffer_gl0_inv
	v_cmpx_gt_u32_e32 32, v0
	s_cbranch_execz .LBB949_2
; %bb.15:
	s_load_b64 s[0:1], s[0:1], 0x68
	v_lshlrev_b32_e32 v0, 10, v0
	v_or_b32_e32 v1, s31, v66
	s_lshl_b32 s4, s34, 7
	v_lshlrev_b32_e32 v2, 4, v67
	s_mul_i32 s2, s4, s30
	v_lshlrev_b32_e32 v3, 6, v66
	v_mul_lo_u32 v8, v1, s4
	v_and_b32_e32 v0, 0x3800, v0
	v_or_b32_e32 v1, 2, v1
	s_mul_i32 s2, s2, s7
	s_delay_alu instid0(SALU_CYCLE_1) | instskip(NEXT) | instid1(VALU_DEP_2)
	s_ashr_i32 s3, s2, 31
	v_or3_b32 v4, v0, v2, v3
	s_lshl_b64 s[2:3], s[2:3], 1
	v_mul_lo_u32 v10, v1, s4
	v_ashrrev_i32_e32 v9, 31, v8
	ds_load_b128 v[0:3], v4
	ds_load_b128 v[4:7], v4 offset:128
	s_waitcnt lgkmcnt(0)
	s_add_u32 s2, s0, s2
	s_addc_u32 s3, s1, s3
	s_lshl_b32 s0, s14, 7
	v_ashrrev_i32_e32 v11, 31, v10
	s_ashr_i32 s1, s0, 31
	v_lshlrev_b64 v[8:9], 1, v[8:9]
	s_lshl_b64 s[0:1], s[0:1], 1
	s_delay_alu instid0(SALU_CYCLE_1) | instskip(SKIP_2) | instid1(VALU_DEP_1)
	s_add_u32 s0, s2, s0
	s_addc_u32 s1, s3, s1
	v_add_co_u32 v12, s0, s0, v65
	v_add_co_ci_u32_e64 v13, null, s1, 0, s0
	v_lshlrev_b64 v[10:11], 1, v[10:11]
	s_delay_alu instid0(VALU_DEP_3) | instskip(NEXT) | instid1(VALU_DEP_3)
	v_add_co_u32 v8, vcc_lo, v12, v8
	v_add_co_ci_u32_e32 v9, vcc_lo, v13, v9, vcc_lo
	s_delay_alu instid0(VALU_DEP_3) | instskip(NEXT) | instid1(VALU_DEP_4)
	v_add_co_u32 v10, vcc_lo, v12, v10
	v_add_co_ci_u32_e32 v11, vcc_lo, v13, v11, vcc_lo
	s_clause 0x1
	global_store_b128 v[8:9], v[0:3], off
	global_store_b128 v[10:11], v[4:7], off
	s_nop 0
	s_sendmsg sendmsg(MSG_DEALLOC_VGPRS)
	s_endpgm
	.section	.rodata,"a",@progbits
	.p2align	6, 0x0
	.amdhsa_kernel _Z39paged_attention_ll4mi_QKV_mfma16_kernelIDF16_hLN4vllm18Fp8KVCacheDataTypeE1EhLi16ELi128ELi256ELb1ELi4EL8MFMAType1EEvPKT_PKT0_S8_ifPKiSA_SA_iPKfiiiPfSD_PS3_PT2_iSC_SC_
		.amdhsa_group_segment_fixed_size 17472
		.amdhsa_private_segment_fixed_size 0
		.amdhsa_kernarg_size 400
		.amdhsa_user_sgpr_count 13
		.amdhsa_user_sgpr_dispatch_ptr 0
		.amdhsa_user_sgpr_queue_ptr 0
		.amdhsa_user_sgpr_kernarg_segment_ptr 1
		.amdhsa_user_sgpr_dispatch_id 0
		.amdhsa_user_sgpr_private_segment_size 0
		.amdhsa_wavefront_size32 1
		.amdhsa_uses_dynamic_stack 0
		.amdhsa_enable_private_segment 0
		.amdhsa_system_sgpr_workgroup_id_x 1
		.amdhsa_system_sgpr_workgroup_id_y 1
		.amdhsa_system_sgpr_workgroup_id_z 1
		.amdhsa_system_sgpr_workgroup_info 0
		.amdhsa_system_vgpr_workitem_id 0
		.amdhsa_next_free_vgpr 140
		.amdhsa_next_free_sgpr 36
		.amdhsa_reserve_vcc 1
		.amdhsa_float_round_mode_32 0
		.amdhsa_float_round_mode_16_64 0
		.amdhsa_float_denorm_mode_32 3
		.amdhsa_float_denorm_mode_16_64 3
		.amdhsa_dx10_clamp 1
		.amdhsa_ieee_mode 1
		.amdhsa_fp16_overflow 0
		.amdhsa_workgroup_processor_mode 1
		.amdhsa_memory_ordered 1
		.amdhsa_forward_progress 0
		.amdhsa_shared_vgpr_count 0
		.amdhsa_exception_fp_ieee_invalid_op 0
		.amdhsa_exception_fp_denorm_src 0
		.amdhsa_exception_fp_ieee_div_zero 0
		.amdhsa_exception_fp_ieee_overflow 0
		.amdhsa_exception_fp_ieee_underflow 0
		.amdhsa_exception_fp_ieee_inexact 0
		.amdhsa_exception_int_div_zero 0
	.end_amdhsa_kernel
	.section	.text._Z39paged_attention_ll4mi_QKV_mfma16_kernelIDF16_hLN4vllm18Fp8KVCacheDataTypeE1EhLi16ELi128ELi256ELb1ELi4EL8MFMAType1EEvPKT_PKT0_S8_ifPKiSA_SA_iPKfiiiPfSD_PS3_PT2_iSC_SC_,"axG",@progbits,_Z39paged_attention_ll4mi_QKV_mfma16_kernelIDF16_hLN4vllm18Fp8KVCacheDataTypeE1EhLi16ELi128ELi256ELb1ELi4EL8MFMAType1EEvPKT_PKT0_S8_ifPKiSA_SA_iPKfiiiPfSD_PS3_PT2_iSC_SC_,comdat
.Lfunc_end949:
	.size	_Z39paged_attention_ll4mi_QKV_mfma16_kernelIDF16_hLN4vllm18Fp8KVCacheDataTypeE1EhLi16ELi128ELi256ELb1ELi4EL8MFMAType1EEvPKT_PKT0_S8_ifPKiSA_SA_iPKfiiiPfSD_PS3_PT2_iSC_SC_, .Lfunc_end949-_Z39paged_attention_ll4mi_QKV_mfma16_kernelIDF16_hLN4vllm18Fp8KVCacheDataTypeE1EhLi16ELi128ELi256ELb1ELi4EL8MFMAType1EEvPKT_PKT0_S8_ifPKiSA_SA_iPKfiiiPfSD_PS3_PT2_iSC_SC_
                                        ; -- End function
	.section	.AMDGPU.csdata,"",@progbits
; Kernel info:
; codeLenInByte = 6500
; NumSgprs: 38
; NumVgprs: 140
; ScratchSize: 0
; MemoryBound: 0
; FloatMode: 240
; IeeeMode: 1
; LDSByteSize: 17472 bytes/workgroup (compile time only)
; SGPRBlocks: 4
; VGPRBlocks: 17
; NumSGPRsForWavesPerEU: 38
; NumVGPRsForWavesPerEU: 140
; Occupancy: 10
; WaveLimiterHint : 1
; COMPUTE_PGM_RSRC2:SCRATCH_EN: 0
; COMPUTE_PGM_RSRC2:USER_SGPR: 13
; COMPUTE_PGM_RSRC2:TRAP_HANDLER: 0
; COMPUTE_PGM_RSRC2:TGID_X_EN: 1
; COMPUTE_PGM_RSRC2:TGID_Y_EN: 1
; COMPUTE_PGM_RSRC2:TGID_Z_EN: 1
; COMPUTE_PGM_RSRC2:TIDIG_COMP_CNT: 0
	.section	.text._Z38paged_attention_ll4mi_QKV_mfma4_kernelIDF16_hLN4vllm18Fp8KVCacheDataTypeE1EhLi16ELi128ELi256ELb0ELi1EEvPKT_PKT0_S7_ifPKiS9_S9_iPKfiiiPfSC_PS2_PT2_iSB_SB_,"axG",@progbits,_Z38paged_attention_ll4mi_QKV_mfma4_kernelIDF16_hLN4vllm18Fp8KVCacheDataTypeE1EhLi16ELi128ELi256ELb0ELi1EEvPKT_PKT0_S7_ifPKiS9_S9_iPKfiiiPfSC_PS2_PT2_iSB_SB_,comdat
	.protected	_Z38paged_attention_ll4mi_QKV_mfma4_kernelIDF16_hLN4vllm18Fp8KVCacheDataTypeE1EhLi16ELi128ELi256ELb0ELi1EEvPKT_PKT0_S7_ifPKiS9_S9_iPKfiiiPfSC_PS2_PT2_iSB_SB_ ; -- Begin function _Z38paged_attention_ll4mi_QKV_mfma4_kernelIDF16_hLN4vllm18Fp8KVCacheDataTypeE1EhLi16ELi128ELi256ELb0ELi1EEvPKT_PKT0_S7_ifPKiS9_S9_iPKfiiiPfSC_PS2_PT2_iSB_SB_
	.globl	_Z38paged_attention_ll4mi_QKV_mfma4_kernelIDF16_hLN4vllm18Fp8KVCacheDataTypeE1EhLi16ELi128ELi256ELb0ELi1EEvPKT_PKT0_S7_ifPKiS9_S9_iPKfiiiPfSC_PS2_PT2_iSB_SB_
	.p2align	8
	.type	_Z38paged_attention_ll4mi_QKV_mfma4_kernelIDF16_hLN4vllm18Fp8KVCacheDataTypeE1EhLi16ELi128ELi256ELb0ELi1EEvPKT_PKT0_S7_ifPKiS9_S9_iPKfiiiPfSC_PS2_PT2_iSB_SB_,@function
_Z38paged_attention_ll4mi_QKV_mfma4_kernelIDF16_hLN4vllm18Fp8KVCacheDataTypeE1EhLi16ELi128ELi256ELb0ELi1EEvPKT_PKT0_S7_ifPKiS9_S9_iPKfiiiPfSC_PS2_PT2_iSB_SB_: ; @_Z38paged_attention_ll4mi_QKV_mfma4_kernelIDF16_hLN4vllm18Fp8KVCacheDataTypeE1EhLi16ELi128ELi256ELb0ELi1EEvPKT_PKT0_S7_ifPKiS9_S9_iPKfiiiPfSC_PS2_PT2_iSB_SB_
; %bb.0:
	s_add_u32 s8, s0, 0x90
	s_addc_u32 s9, s1, 0
	s_getpc_b64 s[0:1]
	s_add_u32 s0, s0, __PRETTY_FUNCTION__._Z38paged_attention_ll4mi_QKV_mfma4_kernelIDF16_hLN4vllm18Fp8KVCacheDataTypeE1EhLi16ELi128ELi256ELb0ELi1EEvPKT_PKT0_S7_ifPKiS9_S9_iPKfiiiPfSC_PS2_PT2_iSB_SB_@rel32@lo+4
	s_addc_u32 s1, s1, __PRETTY_FUNCTION__._Z38paged_attention_ll4mi_QKV_mfma4_kernelIDF16_hLN4vllm18Fp8KVCacheDataTypeE1EhLi16ELi128ELi256ELb0ELi1EEvPKT_PKT0_S7_ifPKiS9_S9_iPKfiiiPfSC_PS2_PT2_iSB_SB_@rel32@hi+12
	s_delay_alu instid0(SALU_CYCLE_1) | instskip(SKIP_4) | instid1(SALU_CYCLE_1)
	v_dual_mov_b32 v0, s0 :: v_dual_mov_b32 v1, s1
	s_mov_b32 s32, 0
	s_getpc_b64 s[2:3]
	s_add_u32 s2, s2, __assert_fail@rel32@lo+4
	s_addc_u32 s3, s3, __assert_fail@rel32@hi+12
	s_swappc_b64 s[30:31], s[2:3]
	.section	.rodata,"a",@progbits
	.p2align	6, 0x0
	.amdhsa_kernel _Z38paged_attention_ll4mi_QKV_mfma4_kernelIDF16_hLN4vllm18Fp8KVCacheDataTypeE1EhLi16ELi128ELi256ELb0ELi1EEvPKT_PKT0_S7_ifPKiS9_S9_iPKfiiiPfSC_PS2_PT2_iSB_SB_
		.amdhsa_group_segment_fixed_size 0
		.amdhsa_private_segment_fixed_size 64
		.amdhsa_kernarg_size 400
		.amdhsa_user_sgpr_count 15
		.amdhsa_user_sgpr_dispatch_ptr 0
		.amdhsa_user_sgpr_queue_ptr 0
		.amdhsa_user_sgpr_kernarg_segment_ptr 1
		.amdhsa_user_sgpr_dispatch_id 0
		.amdhsa_user_sgpr_private_segment_size 0
		.amdhsa_wavefront_size32 1
		.amdhsa_uses_dynamic_stack 0
		.amdhsa_enable_private_segment 1
		.amdhsa_system_sgpr_workgroup_id_x 1
		.amdhsa_system_sgpr_workgroup_id_y 0
		.amdhsa_system_sgpr_workgroup_id_z 0
		.amdhsa_system_sgpr_workgroup_info 0
		.amdhsa_system_vgpr_workitem_id 0
		.amdhsa_next_free_vgpr 41
		.amdhsa_next_free_sgpr 34
		.amdhsa_reserve_vcc 1
		.amdhsa_float_round_mode_32 0
		.amdhsa_float_round_mode_16_64 0
		.amdhsa_float_denorm_mode_32 3
		.amdhsa_float_denorm_mode_16_64 3
		.amdhsa_dx10_clamp 1
		.amdhsa_ieee_mode 1
		.amdhsa_fp16_overflow 0
		.amdhsa_workgroup_processor_mode 1
		.amdhsa_memory_ordered 1
		.amdhsa_forward_progress 0
		.amdhsa_shared_vgpr_count 0
		.amdhsa_exception_fp_ieee_invalid_op 0
		.amdhsa_exception_fp_denorm_src 0
		.amdhsa_exception_fp_ieee_div_zero 0
		.amdhsa_exception_fp_ieee_overflow 0
		.amdhsa_exception_fp_ieee_underflow 0
		.amdhsa_exception_fp_ieee_inexact 0
		.amdhsa_exception_int_div_zero 0
	.end_amdhsa_kernel
	.section	.text._Z38paged_attention_ll4mi_QKV_mfma4_kernelIDF16_hLN4vllm18Fp8KVCacheDataTypeE1EhLi16ELi128ELi256ELb0ELi1EEvPKT_PKT0_S7_ifPKiS9_S9_iPKfiiiPfSC_PS2_PT2_iSB_SB_,"axG",@progbits,_Z38paged_attention_ll4mi_QKV_mfma4_kernelIDF16_hLN4vllm18Fp8KVCacheDataTypeE1EhLi16ELi128ELi256ELb0ELi1EEvPKT_PKT0_S7_ifPKiS9_S9_iPKfiiiPfSC_PS2_PT2_iSB_SB_,comdat
.Lfunc_end950:
	.size	_Z38paged_attention_ll4mi_QKV_mfma4_kernelIDF16_hLN4vllm18Fp8KVCacheDataTypeE1EhLi16ELi128ELi256ELb0ELi1EEvPKT_PKT0_S7_ifPKiS9_S9_iPKfiiiPfSC_PS2_PT2_iSB_SB_, .Lfunc_end950-_Z38paged_attention_ll4mi_QKV_mfma4_kernelIDF16_hLN4vllm18Fp8KVCacheDataTypeE1EhLi16ELi128ELi256ELb0ELi1EEvPKT_PKT0_S7_ifPKiS9_S9_iPKfiiiPfSC_PS2_PT2_iSB_SB_
                                        ; -- End function
	.section	.AMDGPU.csdata,"",@progbits
; Kernel info:
; codeLenInByte = 72
; NumSgprs: 36
; NumVgprs: 41
; ScratchSize: 64
; MemoryBound: 0
; FloatMode: 240
; IeeeMode: 1
; LDSByteSize: 0 bytes/workgroup (compile time only)
; SGPRBlocks: 4
; VGPRBlocks: 5
; NumSGPRsForWavesPerEU: 36
; NumVGPRsForWavesPerEU: 41
; Occupancy: 16
; WaveLimiterHint : 1
; COMPUTE_PGM_RSRC2:SCRATCH_EN: 1
; COMPUTE_PGM_RSRC2:USER_SGPR: 15
; COMPUTE_PGM_RSRC2:TRAP_HANDLER: 0
; COMPUTE_PGM_RSRC2:TGID_X_EN: 1
; COMPUTE_PGM_RSRC2:TGID_Y_EN: 0
; COMPUTE_PGM_RSRC2:TGID_Z_EN: 0
; COMPUTE_PGM_RSRC2:TIDIG_COMP_CNT: 0
	.section	.text._Z38paged_attention_ll4mi_QKV_mfma4_kernelIDF16_hLN4vllm18Fp8KVCacheDataTypeE1EhLi16ELi128ELi256ELb0ELi2EEvPKT_PKT0_S7_ifPKiS9_S9_iPKfiiiPfSC_PS2_PT2_iSB_SB_,"axG",@progbits,_Z38paged_attention_ll4mi_QKV_mfma4_kernelIDF16_hLN4vllm18Fp8KVCacheDataTypeE1EhLi16ELi128ELi256ELb0ELi2EEvPKT_PKT0_S7_ifPKiS9_S9_iPKfiiiPfSC_PS2_PT2_iSB_SB_,comdat
	.protected	_Z38paged_attention_ll4mi_QKV_mfma4_kernelIDF16_hLN4vllm18Fp8KVCacheDataTypeE1EhLi16ELi128ELi256ELb0ELi2EEvPKT_PKT0_S7_ifPKiS9_S9_iPKfiiiPfSC_PS2_PT2_iSB_SB_ ; -- Begin function _Z38paged_attention_ll4mi_QKV_mfma4_kernelIDF16_hLN4vllm18Fp8KVCacheDataTypeE1EhLi16ELi128ELi256ELb0ELi2EEvPKT_PKT0_S7_ifPKiS9_S9_iPKfiiiPfSC_PS2_PT2_iSB_SB_
	.globl	_Z38paged_attention_ll4mi_QKV_mfma4_kernelIDF16_hLN4vllm18Fp8KVCacheDataTypeE1EhLi16ELi128ELi256ELb0ELi2EEvPKT_PKT0_S7_ifPKiS9_S9_iPKfiiiPfSC_PS2_PT2_iSB_SB_
	.p2align	8
	.type	_Z38paged_attention_ll4mi_QKV_mfma4_kernelIDF16_hLN4vllm18Fp8KVCacheDataTypeE1EhLi16ELi128ELi256ELb0ELi2EEvPKT_PKT0_S7_ifPKiS9_S9_iPKfiiiPfSC_PS2_PT2_iSB_SB_,@function
_Z38paged_attention_ll4mi_QKV_mfma4_kernelIDF16_hLN4vllm18Fp8KVCacheDataTypeE1EhLi16ELi128ELi256ELb0ELi2EEvPKT_PKT0_S7_ifPKiS9_S9_iPKfiiiPfSC_PS2_PT2_iSB_SB_: ; @_Z38paged_attention_ll4mi_QKV_mfma4_kernelIDF16_hLN4vllm18Fp8KVCacheDataTypeE1EhLi16ELi128ELi256ELb0ELi2EEvPKT_PKT0_S7_ifPKiS9_S9_iPKfiiiPfSC_PS2_PT2_iSB_SB_
; %bb.0:
	s_add_u32 s8, s0, 0x90
	s_addc_u32 s9, s1, 0
	s_getpc_b64 s[0:1]
	s_add_u32 s0, s0, __PRETTY_FUNCTION__._Z38paged_attention_ll4mi_QKV_mfma4_kernelIDF16_hLN4vllm18Fp8KVCacheDataTypeE1EhLi16ELi128ELi256ELb0ELi2EEvPKT_PKT0_S7_ifPKiS9_S9_iPKfiiiPfSC_PS2_PT2_iSB_SB_@rel32@lo+4
	s_addc_u32 s1, s1, __PRETTY_FUNCTION__._Z38paged_attention_ll4mi_QKV_mfma4_kernelIDF16_hLN4vllm18Fp8KVCacheDataTypeE1EhLi16ELi128ELi256ELb0ELi2EEvPKT_PKT0_S7_ifPKiS9_S9_iPKfiiiPfSC_PS2_PT2_iSB_SB_@rel32@hi+12
	s_delay_alu instid0(SALU_CYCLE_1) | instskip(SKIP_4) | instid1(SALU_CYCLE_1)
	v_dual_mov_b32 v0, s0 :: v_dual_mov_b32 v1, s1
	s_mov_b32 s32, 0
	s_getpc_b64 s[2:3]
	s_add_u32 s2, s2, __assert_fail@rel32@lo+4
	s_addc_u32 s3, s3, __assert_fail@rel32@hi+12
	s_swappc_b64 s[30:31], s[2:3]
	.section	.rodata,"a",@progbits
	.p2align	6, 0x0
	.amdhsa_kernel _Z38paged_attention_ll4mi_QKV_mfma4_kernelIDF16_hLN4vllm18Fp8KVCacheDataTypeE1EhLi16ELi128ELi256ELb0ELi2EEvPKT_PKT0_S7_ifPKiS9_S9_iPKfiiiPfSC_PS2_PT2_iSB_SB_
		.amdhsa_group_segment_fixed_size 0
		.amdhsa_private_segment_fixed_size 64
		.amdhsa_kernarg_size 400
		.amdhsa_user_sgpr_count 15
		.amdhsa_user_sgpr_dispatch_ptr 0
		.amdhsa_user_sgpr_queue_ptr 0
		.amdhsa_user_sgpr_kernarg_segment_ptr 1
		.amdhsa_user_sgpr_dispatch_id 0
		.amdhsa_user_sgpr_private_segment_size 0
		.amdhsa_wavefront_size32 1
		.amdhsa_uses_dynamic_stack 0
		.amdhsa_enable_private_segment 1
		.amdhsa_system_sgpr_workgroup_id_x 1
		.amdhsa_system_sgpr_workgroup_id_y 0
		.amdhsa_system_sgpr_workgroup_id_z 0
		.amdhsa_system_sgpr_workgroup_info 0
		.amdhsa_system_vgpr_workitem_id 0
		.amdhsa_next_free_vgpr 41
		.amdhsa_next_free_sgpr 34
		.amdhsa_reserve_vcc 1
		.amdhsa_float_round_mode_32 0
		.amdhsa_float_round_mode_16_64 0
		.amdhsa_float_denorm_mode_32 3
		.amdhsa_float_denorm_mode_16_64 3
		.amdhsa_dx10_clamp 1
		.amdhsa_ieee_mode 1
		.amdhsa_fp16_overflow 0
		.amdhsa_workgroup_processor_mode 1
		.amdhsa_memory_ordered 1
		.amdhsa_forward_progress 0
		.amdhsa_shared_vgpr_count 0
		.amdhsa_exception_fp_ieee_invalid_op 0
		.amdhsa_exception_fp_denorm_src 0
		.amdhsa_exception_fp_ieee_div_zero 0
		.amdhsa_exception_fp_ieee_overflow 0
		.amdhsa_exception_fp_ieee_underflow 0
		.amdhsa_exception_fp_ieee_inexact 0
		.amdhsa_exception_int_div_zero 0
	.end_amdhsa_kernel
	.section	.text._Z38paged_attention_ll4mi_QKV_mfma4_kernelIDF16_hLN4vllm18Fp8KVCacheDataTypeE1EhLi16ELi128ELi256ELb0ELi2EEvPKT_PKT0_S7_ifPKiS9_S9_iPKfiiiPfSC_PS2_PT2_iSB_SB_,"axG",@progbits,_Z38paged_attention_ll4mi_QKV_mfma4_kernelIDF16_hLN4vllm18Fp8KVCacheDataTypeE1EhLi16ELi128ELi256ELb0ELi2EEvPKT_PKT0_S7_ifPKiS9_S9_iPKfiiiPfSC_PS2_PT2_iSB_SB_,comdat
.Lfunc_end951:
	.size	_Z38paged_attention_ll4mi_QKV_mfma4_kernelIDF16_hLN4vllm18Fp8KVCacheDataTypeE1EhLi16ELi128ELi256ELb0ELi2EEvPKT_PKT0_S7_ifPKiS9_S9_iPKfiiiPfSC_PS2_PT2_iSB_SB_, .Lfunc_end951-_Z38paged_attention_ll4mi_QKV_mfma4_kernelIDF16_hLN4vllm18Fp8KVCacheDataTypeE1EhLi16ELi128ELi256ELb0ELi2EEvPKT_PKT0_S7_ifPKiS9_S9_iPKfiiiPfSC_PS2_PT2_iSB_SB_
                                        ; -- End function
	.section	.AMDGPU.csdata,"",@progbits
; Kernel info:
; codeLenInByte = 72
; NumSgprs: 36
; NumVgprs: 41
; ScratchSize: 64
; MemoryBound: 0
; FloatMode: 240
; IeeeMode: 1
; LDSByteSize: 0 bytes/workgroup (compile time only)
; SGPRBlocks: 4
; VGPRBlocks: 5
; NumSGPRsForWavesPerEU: 36
; NumVGPRsForWavesPerEU: 41
; Occupancy: 16
; WaveLimiterHint : 1
; COMPUTE_PGM_RSRC2:SCRATCH_EN: 1
; COMPUTE_PGM_RSRC2:USER_SGPR: 15
; COMPUTE_PGM_RSRC2:TRAP_HANDLER: 0
; COMPUTE_PGM_RSRC2:TGID_X_EN: 1
; COMPUTE_PGM_RSRC2:TGID_Y_EN: 0
; COMPUTE_PGM_RSRC2:TGID_Z_EN: 0
; COMPUTE_PGM_RSRC2:TIDIG_COMP_CNT: 0
	.section	.text._Z38paged_attention_ll4mi_QKV_mfma4_kernelIDF16_hLN4vllm18Fp8KVCacheDataTypeE1EhLi16ELi128ELi256ELb0ELi3EEvPKT_PKT0_S7_ifPKiS9_S9_iPKfiiiPfSC_PS2_PT2_iSB_SB_,"axG",@progbits,_Z38paged_attention_ll4mi_QKV_mfma4_kernelIDF16_hLN4vllm18Fp8KVCacheDataTypeE1EhLi16ELi128ELi256ELb0ELi3EEvPKT_PKT0_S7_ifPKiS9_S9_iPKfiiiPfSC_PS2_PT2_iSB_SB_,comdat
	.protected	_Z38paged_attention_ll4mi_QKV_mfma4_kernelIDF16_hLN4vllm18Fp8KVCacheDataTypeE1EhLi16ELi128ELi256ELb0ELi3EEvPKT_PKT0_S7_ifPKiS9_S9_iPKfiiiPfSC_PS2_PT2_iSB_SB_ ; -- Begin function _Z38paged_attention_ll4mi_QKV_mfma4_kernelIDF16_hLN4vllm18Fp8KVCacheDataTypeE1EhLi16ELi128ELi256ELb0ELi3EEvPKT_PKT0_S7_ifPKiS9_S9_iPKfiiiPfSC_PS2_PT2_iSB_SB_
	.globl	_Z38paged_attention_ll4mi_QKV_mfma4_kernelIDF16_hLN4vllm18Fp8KVCacheDataTypeE1EhLi16ELi128ELi256ELb0ELi3EEvPKT_PKT0_S7_ifPKiS9_S9_iPKfiiiPfSC_PS2_PT2_iSB_SB_
	.p2align	8
	.type	_Z38paged_attention_ll4mi_QKV_mfma4_kernelIDF16_hLN4vllm18Fp8KVCacheDataTypeE1EhLi16ELi128ELi256ELb0ELi3EEvPKT_PKT0_S7_ifPKiS9_S9_iPKfiiiPfSC_PS2_PT2_iSB_SB_,@function
_Z38paged_attention_ll4mi_QKV_mfma4_kernelIDF16_hLN4vllm18Fp8KVCacheDataTypeE1EhLi16ELi128ELi256ELb0ELi3EEvPKT_PKT0_S7_ifPKiS9_S9_iPKfiiiPfSC_PS2_PT2_iSB_SB_: ; @_Z38paged_attention_ll4mi_QKV_mfma4_kernelIDF16_hLN4vllm18Fp8KVCacheDataTypeE1EhLi16ELi128ELi256ELb0ELi3EEvPKT_PKT0_S7_ifPKiS9_S9_iPKfiiiPfSC_PS2_PT2_iSB_SB_
; %bb.0:
	s_add_u32 s8, s0, 0x90
	s_addc_u32 s9, s1, 0
	s_getpc_b64 s[0:1]
	s_add_u32 s0, s0, __PRETTY_FUNCTION__._Z38paged_attention_ll4mi_QKV_mfma4_kernelIDF16_hLN4vllm18Fp8KVCacheDataTypeE1EhLi16ELi128ELi256ELb0ELi3EEvPKT_PKT0_S7_ifPKiS9_S9_iPKfiiiPfSC_PS2_PT2_iSB_SB_@rel32@lo+4
	s_addc_u32 s1, s1, __PRETTY_FUNCTION__._Z38paged_attention_ll4mi_QKV_mfma4_kernelIDF16_hLN4vllm18Fp8KVCacheDataTypeE1EhLi16ELi128ELi256ELb0ELi3EEvPKT_PKT0_S7_ifPKiS9_S9_iPKfiiiPfSC_PS2_PT2_iSB_SB_@rel32@hi+12
	s_delay_alu instid0(SALU_CYCLE_1) | instskip(SKIP_4) | instid1(SALU_CYCLE_1)
	v_dual_mov_b32 v0, s0 :: v_dual_mov_b32 v1, s1
	s_mov_b32 s32, 0
	s_getpc_b64 s[2:3]
	s_add_u32 s2, s2, __assert_fail@rel32@lo+4
	s_addc_u32 s3, s3, __assert_fail@rel32@hi+12
	s_swappc_b64 s[30:31], s[2:3]
	.section	.rodata,"a",@progbits
	.p2align	6, 0x0
	.amdhsa_kernel _Z38paged_attention_ll4mi_QKV_mfma4_kernelIDF16_hLN4vllm18Fp8KVCacheDataTypeE1EhLi16ELi128ELi256ELb0ELi3EEvPKT_PKT0_S7_ifPKiS9_S9_iPKfiiiPfSC_PS2_PT2_iSB_SB_
		.amdhsa_group_segment_fixed_size 0
		.amdhsa_private_segment_fixed_size 64
		.amdhsa_kernarg_size 400
		.amdhsa_user_sgpr_count 15
		.amdhsa_user_sgpr_dispatch_ptr 0
		.amdhsa_user_sgpr_queue_ptr 0
		.amdhsa_user_sgpr_kernarg_segment_ptr 1
		.amdhsa_user_sgpr_dispatch_id 0
		.amdhsa_user_sgpr_private_segment_size 0
		.amdhsa_wavefront_size32 1
		.amdhsa_uses_dynamic_stack 0
		.amdhsa_enable_private_segment 1
		.amdhsa_system_sgpr_workgroup_id_x 1
		.amdhsa_system_sgpr_workgroup_id_y 0
		.amdhsa_system_sgpr_workgroup_id_z 0
		.amdhsa_system_sgpr_workgroup_info 0
		.amdhsa_system_vgpr_workitem_id 0
		.amdhsa_next_free_vgpr 41
		.amdhsa_next_free_sgpr 34
		.amdhsa_reserve_vcc 1
		.amdhsa_float_round_mode_32 0
		.amdhsa_float_round_mode_16_64 0
		.amdhsa_float_denorm_mode_32 3
		.amdhsa_float_denorm_mode_16_64 3
		.amdhsa_dx10_clamp 1
		.amdhsa_ieee_mode 1
		.amdhsa_fp16_overflow 0
		.amdhsa_workgroup_processor_mode 1
		.amdhsa_memory_ordered 1
		.amdhsa_forward_progress 0
		.amdhsa_shared_vgpr_count 0
		.amdhsa_exception_fp_ieee_invalid_op 0
		.amdhsa_exception_fp_denorm_src 0
		.amdhsa_exception_fp_ieee_div_zero 0
		.amdhsa_exception_fp_ieee_overflow 0
		.amdhsa_exception_fp_ieee_underflow 0
		.amdhsa_exception_fp_ieee_inexact 0
		.amdhsa_exception_int_div_zero 0
	.end_amdhsa_kernel
	.section	.text._Z38paged_attention_ll4mi_QKV_mfma4_kernelIDF16_hLN4vllm18Fp8KVCacheDataTypeE1EhLi16ELi128ELi256ELb0ELi3EEvPKT_PKT0_S7_ifPKiS9_S9_iPKfiiiPfSC_PS2_PT2_iSB_SB_,"axG",@progbits,_Z38paged_attention_ll4mi_QKV_mfma4_kernelIDF16_hLN4vllm18Fp8KVCacheDataTypeE1EhLi16ELi128ELi256ELb0ELi3EEvPKT_PKT0_S7_ifPKiS9_S9_iPKfiiiPfSC_PS2_PT2_iSB_SB_,comdat
.Lfunc_end952:
	.size	_Z38paged_attention_ll4mi_QKV_mfma4_kernelIDF16_hLN4vllm18Fp8KVCacheDataTypeE1EhLi16ELi128ELi256ELb0ELi3EEvPKT_PKT0_S7_ifPKiS9_S9_iPKfiiiPfSC_PS2_PT2_iSB_SB_, .Lfunc_end952-_Z38paged_attention_ll4mi_QKV_mfma4_kernelIDF16_hLN4vllm18Fp8KVCacheDataTypeE1EhLi16ELi128ELi256ELb0ELi3EEvPKT_PKT0_S7_ifPKiS9_S9_iPKfiiiPfSC_PS2_PT2_iSB_SB_
                                        ; -- End function
	.section	.AMDGPU.csdata,"",@progbits
; Kernel info:
; codeLenInByte = 72
; NumSgprs: 36
; NumVgprs: 41
; ScratchSize: 64
; MemoryBound: 0
; FloatMode: 240
; IeeeMode: 1
; LDSByteSize: 0 bytes/workgroup (compile time only)
; SGPRBlocks: 4
; VGPRBlocks: 5
; NumSGPRsForWavesPerEU: 36
; NumVGPRsForWavesPerEU: 41
; Occupancy: 16
; WaveLimiterHint : 1
; COMPUTE_PGM_RSRC2:SCRATCH_EN: 1
; COMPUTE_PGM_RSRC2:USER_SGPR: 15
; COMPUTE_PGM_RSRC2:TRAP_HANDLER: 0
; COMPUTE_PGM_RSRC2:TGID_X_EN: 1
; COMPUTE_PGM_RSRC2:TGID_Y_EN: 0
; COMPUTE_PGM_RSRC2:TGID_Z_EN: 0
; COMPUTE_PGM_RSRC2:TIDIG_COMP_CNT: 0
	.section	.text._Z38paged_attention_ll4mi_QKV_mfma4_kernelIDF16_hLN4vllm18Fp8KVCacheDataTypeE1EhLi16ELi128ELi256ELb0ELi4EEvPKT_PKT0_S7_ifPKiS9_S9_iPKfiiiPfSC_PS2_PT2_iSB_SB_,"axG",@progbits,_Z38paged_attention_ll4mi_QKV_mfma4_kernelIDF16_hLN4vllm18Fp8KVCacheDataTypeE1EhLi16ELi128ELi256ELb0ELi4EEvPKT_PKT0_S7_ifPKiS9_S9_iPKfiiiPfSC_PS2_PT2_iSB_SB_,comdat
	.protected	_Z38paged_attention_ll4mi_QKV_mfma4_kernelIDF16_hLN4vllm18Fp8KVCacheDataTypeE1EhLi16ELi128ELi256ELb0ELi4EEvPKT_PKT0_S7_ifPKiS9_S9_iPKfiiiPfSC_PS2_PT2_iSB_SB_ ; -- Begin function _Z38paged_attention_ll4mi_QKV_mfma4_kernelIDF16_hLN4vllm18Fp8KVCacheDataTypeE1EhLi16ELi128ELi256ELb0ELi4EEvPKT_PKT0_S7_ifPKiS9_S9_iPKfiiiPfSC_PS2_PT2_iSB_SB_
	.globl	_Z38paged_attention_ll4mi_QKV_mfma4_kernelIDF16_hLN4vllm18Fp8KVCacheDataTypeE1EhLi16ELi128ELi256ELb0ELi4EEvPKT_PKT0_S7_ifPKiS9_S9_iPKfiiiPfSC_PS2_PT2_iSB_SB_
	.p2align	8
	.type	_Z38paged_attention_ll4mi_QKV_mfma4_kernelIDF16_hLN4vllm18Fp8KVCacheDataTypeE1EhLi16ELi128ELi256ELb0ELi4EEvPKT_PKT0_S7_ifPKiS9_S9_iPKfiiiPfSC_PS2_PT2_iSB_SB_,@function
_Z38paged_attention_ll4mi_QKV_mfma4_kernelIDF16_hLN4vllm18Fp8KVCacheDataTypeE1EhLi16ELi128ELi256ELb0ELi4EEvPKT_PKT0_S7_ifPKiS9_S9_iPKfiiiPfSC_PS2_PT2_iSB_SB_: ; @_Z38paged_attention_ll4mi_QKV_mfma4_kernelIDF16_hLN4vllm18Fp8KVCacheDataTypeE1EhLi16ELi128ELi256ELb0ELi4EEvPKT_PKT0_S7_ifPKiS9_S9_iPKfiiiPfSC_PS2_PT2_iSB_SB_
; %bb.0:
	s_add_u32 s8, s0, 0x90
	s_addc_u32 s9, s1, 0
	s_getpc_b64 s[0:1]
	s_add_u32 s0, s0, __PRETTY_FUNCTION__._Z38paged_attention_ll4mi_QKV_mfma4_kernelIDF16_hLN4vllm18Fp8KVCacheDataTypeE1EhLi16ELi128ELi256ELb0ELi4EEvPKT_PKT0_S7_ifPKiS9_S9_iPKfiiiPfSC_PS2_PT2_iSB_SB_@rel32@lo+4
	s_addc_u32 s1, s1, __PRETTY_FUNCTION__._Z38paged_attention_ll4mi_QKV_mfma4_kernelIDF16_hLN4vllm18Fp8KVCacheDataTypeE1EhLi16ELi128ELi256ELb0ELi4EEvPKT_PKT0_S7_ifPKiS9_S9_iPKfiiiPfSC_PS2_PT2_iSB_SB_@rel32@hi+12
	s_delay_alu instid0(SALU_CYCLE_1) | instskip(SKIP_4) | instid1(SALU_CYCLE_1)
	v_dual_mov_b32 v0, s0 :: v_dual_mov_b32 v1, s1
	s_mov_b32 s32, 0
	s_getpc_b64 s[2:3]
	s_add_u32 s2, s2, __assert_fail@rel32@lo+4
	s_addc_u32 s3, s3, __assert_fail@rel32@hi+12
	s_swappc_b64 s[30:31], s[2:3]
	.section	.rodata,"a",@progbits
	.p2align	6, 0x0
	.amdhsa_kernel _Z38paged_attention_ll4mi_QKV_mfma4_kernelIDF16_hLN4vllm18Fp8KVCacheDataTypeE1EhLi16ELi128ELi256ELb0ELi4EEvPKT_PKT0_S7_ifPKiS9_S9_iPKfiiiPfSC_PS2_PT2_iSB_SB_
		.amdhsa_group_segment_fixed_size 0
		.amdhsa_private_segment_fixed_size 64
		.amdhsa_kernarg_size 400
		.amdhsa_user_sgpr_count 15
		.amdhsa_user_sgpr_dispatch_ptr 0
		.amdhsa_user_sgpr_queue_ptr 0
		.amdhsa_user_sgpr_kernarg_segment_ptr 1
		.amdhsa_user_sgpr_dispatch_id 0
		.amdhsa_user_sgpr_private_segment_size 0
		.amdhsa_wavefront_size32 1
		.amdhsa_uses_dynamic_stack 0
		.amdhsa_enable_private_segment 1
		.amdhsa_system_sgpr_workgroup_id_x 1
		.amdhsa_system_sgpr_workgroup_id_y 0
		.amdhsa_system_sgpr_workgroup_id_z 0
		.amdhsa_system_sgpr_workgroup_info 0
		.amdhsa_system_vgpr_workitem_id 0
		.amdhsa_next_free_vgpr 41
		.amdhsa_next_free_sgpr 34
		.amdhsa_reserve_vcc 1
		.amdhsa_float_round_mode_32 0
		.amdhsa_float_round_mode_16_64 0
		.amdhsa_float_denorm_mode_32 3
		.amdhsa_float_denorm_mode_16_64 3
		.amdhsa_dx10_clamp 1
		.amdhsa_ieee_mode 1
		.amdhsa_fp16_overflow 0
		.amdhsa_workgroup_processor_mode 1
		.amdhsa_memory_ordered 1
		.amdhsa_forward_progress 0
		.amdhsa_shared_vgpr_count 0
		.amdhsa_exception_fp_ieee_invalid_op 0
		.amdhsa_exception_fp_denorm_src 0
		.amdhsa_exception_fp_ieee_div_zero 0
		.amdhsa_exception_fp_ieee_overflow 0
		.amdhsa_exception_fp_ieee_underflow 0
		.amdhsa_exception_fp_ieee_inexact 0
		.amdhsa_exception_int_div_zero 0
	.end_amdhsa_kernel
	.section	.text._Z38paged_attention_ll4mi_QKV_mfma4_kernelIDF16_hLN4vllm18Fp8KVCacheDataTypeE1EhLi16ELi128ELi256ELb0ELi4EEvPKT_PKT0_S7_ifPKiS9_S9_iPKfiiiPfSC_PS2_PT2_iSB_SB_,"axG",@progbits,_Z38paged_attention_ll4mi_QKV_mfma4_kernelIDF16_hLN4vllm18Fp8KVCacheDataTypeE1EhLi16ELi128ELi256ELb0ELi4EEvPKT_PKT0_S7_ifPKiS9_S9_iPKfiiiPfSC_PS2_PT2_iSB_SB_,comdat
.Lfunc_end953:
	.size	_Z38paged_attention_ll4mi_QKV_mfma4_kernelIDF16_hLN4vllm18Fp8KVCacheDataTypeE1EhLi16ELi128ELi256ELb0ELi4EEvPKT_PKT0_S7_ifPKiS9_S9_iPKfiiiPfSC_PS2_PT2_iSB_SB_, .Lfunc_end953-_Z38paged_attention_ll4mi_QKV_mfma4_kernelIDF16_hLN4vllm18Fp8KVCacheDataTypeE1EhLi16ELi128ELi256ELb0ELi4EEvPKT_PKT0_S7_ifPKiS9_S9_iPKfiiiPfSC_PS2_PT2_iSB_SB_
                                        ; -- End function
	.section	.AMDGPU.csdata,"",@progbits
; Kernel info:
; codeLenInByte = 72
; NumSgprs: 36
; NumVgprs: 41
; ScratchSize: 64
; MemoryBound: 0
; FloatMode: 240
; IeeeMode: 1
; LDSByteSize: 0 bytes/workgroup (compile time only)
; SGPRBlocks: 4
; VGPRBlocks: 5
; NumSGPRsForWavesPerEU: 36
; NumVGPRsForWavesPerEU: 41
; Occupancy: 16
; WaveLimiterHint : 1
; COMPUTE_PGM_RSRC2:SCRATCH_EN: 1
; COMPUTE_PGM_RSRC2:USER_SGPR: 15
; COMPUTE_PGM_RSRC2:TRAP_HANDLER: 0
; COMPUTE_PGM_RSRC2:TGID_X_EN: 1
; COMPUTE_PGM_RSRC2:TGID_Y_EN: 0
; COMPUTE_PGM_RSRC2:TGID_Z_EN: 0
; COMPUTE_PGM_RSRC2:TIDIG_COMP_CNT: 0
	.section	.text._Z39paged_attention_ll4mi_QKV_mfma16_kernelIDF16_hLN4vllm18Fp8KVCacheDataTypeE1EhLi16ELi128ELi256ELb0ELi5EL8MFMAType1EEvPKT_PKT0_S8_ifPKiSA_SA_iPKfiiiPfSD_PS3_PT2_iSC_SC_,"axG",@progbits,_Z39paged_attention_ll4mi_QKV_mfma16_kernelIDF16_hLN4vllm18Fp8KVCacheDataTypeE1EhLi16ELi128ELi256ELb0ELi5EL8MFMAType1EEvPKT_PKT0_S8_ifPKiSA_SA_iPKfiiiPfSD_PS3_PT2_iSC_SC_,comdat
	.protected	_Z39paged_attention_ll4mi_QKV_mfma16_kernelIDF16_hLN4vllm18Fp8KVCacheDataTypeE1EhLi16ELi128ELi256ELb0ELi5EL8MFMAType1EEvPKT_PKT0_S8_ifPKiSA_SA_iPKfiiiPfSD_PS3_PT2_iSC_SC_ ; -- Begin function _Z39paged_attention_ll4mi_QKV_mfma16_kernelIDF16_hLN4vllm18Fp8KVCacheDataTypeE1EhLi16ELi128ELi256ELb0ELi5EL8MFMAType1EEvPKT_PKT0_S8_ifPKiSA_SA_iPKfiiiPfSD_PS3_PT2_iSC_SC_
	.globl	_Z39paged_attention_ll4mi_QKV_mfma16_kernelIDF16_hLN4vllm18Fp8KVCacheDataTypeE1EhLi16ELi128ELi256ELb0ELi5EL8MFMAType1EEvPKT_PKT0_S8_ifPKiSA_SA_iPKfiiiPfSD_PS3_PT2_iSC_SC_
	.p2align	8
	.type	_Z39paged_attention_ll4mi_QKV_mfma16_kernelIDF16_hLN4vllm18Fp8KVCacheDataTypeE1EhLi16ELi128ELi256ELb0ELi5EL8MFMAType1EEvPKT_PKT0_S8_ifPKiSA_SA_iPKfiiiPfSD_PS3_PT2_iSC_SC_,@function
_Z39paged_attention_ll4mi_QKV_mfma16_kernelIDF16_hLN4vllm18Fp8KVCacheDataTypeE1EhLi16ELi128ELi256ELb0ELi5EL8MFMAType1EEvPKT_PKT0_S8_ifPKiSA_SA_iPKfiiiPfSD_PS3_PT2_iSC_SC_: ; @_Z39paged_attention_ll4mi_QKV_mfma16_kernelIDF16_hLN4vllm18Fp8KVCacheDataTypeE1EhLi16ELi128ELi256ELb0ELi5EL8MFMAType1EEvPKT_PKT0_S8_ifPKiSA_SA_iPKfiiiPfSD_PS3_PT2_iSC_SC_
; %bb.0:
	s_load_b64 s[4:5], s[0:1], 0x30
	s_mov_b32 s34, s13
	s_waitcnt lgkmcnt(0)
	s_cmp_lg_u64 s[4:5], 0
	s_cselect_b32 s8, -1, 0
	s_ashr_i32 s35, s13, 31
	s_cmp_eq_u64 s[4:5], 0
	s_cbranch_scc1 .LBB954_3
; %bb.1:
	s_lshl_b64 s[2:3], s[34:35], 2
	s_delay_alu instid0(SALU_CYCLE_1) | instskip(SKIP_4) | instid1(SALU_CYCLE_1)
	s_add_u32 s2, s4, s2
	s_addc_u32 s3, s5, s3
	s_load_b64 s[2:3], s[2:3], 0x0
	s_waitcnt lgkmcnt(0)
	s_sub_i32 s2, s3, s2
	s_cmp_eq_u32 s2, 1
	s_cselect_b32 s2, -1, 0
	s_delay_alu instid0(SALU_CYCLE_1)
	s_and_not1_b32 vcc_lo, exec_lo, s2
	s_cbranch_vccz .LBB954_4
.LBB954_2:
	s_nop 0
	s_sendmsg sendmsg(MSG_DEALLOC_VGPRS)
	s_endpgm
.LBB954_3:
.LBB954_4:
	s_load_b64 s[2:3], s[0:1], 0x28
	s_lshl_b64 s[6:7], s[34:35], 2
	s_waitcnt lgkmcnt(0)
	s_add_u32 s2, s2, s6
	s_addc_u32 s3, s3, s7
	s_lshl_b32 s12, s14, 8
	s_load_b32 s24, s[2:3], 0x0
	s_waitcnt lgkmcnt(0)
	s_cmp_ge_i32 s12, s24
	s_cbranch_scc1 .LBB954_2
; %bb.5:
	s_clause 0x1
	s_load_b128 s[20:23], s[0:1], 0x8
	s_load_b64 s[2:3], s[0:1], 0x20
	s_and_not1_b32 vcc_lo, exec_lo, s8
	s_cbranch_vccnz .LBB954_7
; %bb.6:
	s_add_u32 s4, s4, s6
	s_addc_u32 s5, s5, s7
	s_load_b32 s5, s[4:5], 0x0
	s_branch .LBB954_8
.LBB954_7:
	s_mov_b32 s5, s34
.LBB954_8:
	s_load_b128 s[16:19], s[0:1], 0x48
	v_and_b32_e32 v68, 15, v0
	v_lshrrev_b32_e32 v69, 5, v0
	v_bfe_u32 v66, v0, 4, 1
	v_and_b32_e32 v70, 31, v0
	v_and_b32_e32 v67, 1, v0
	v_lshlrev_b32_e32 v2, 3, v68
	s_mul_i32 s31, s15, 5
	v_lshl_or_b32 v1, v69, 1, v66
	s_mov_b32 s4, exec_lo
	s_delay_alu instid0(VALU_DEP_2) | instskip(NEXT) | instid1(VALU_DEP_2)
	v_lshlrev_b32_e32 v65, 1, v2
	v_cmpx_gt_u32_e32 5, v1
	s_cbranch_execz .LBB954_10
; %bb.9:
	s_load_b64 s[6:7], s[0:1], 0x0
	v_add_lshl_u32 v2, v1, s31, 7
	s_waitcnt lgkmcnt(0)
	s_mul_hi_i32 s9, s5, s16
	s_mul_i32 s8, s5, s16
	v_lshlrev_b32_e32 v6, 10, v68
	s_lshl_b64 s[8:9], s[8:9], 1
	v_ashrrev_i32_e32 v3, 31, v2
	v_lshlrev_b32_e32 v1, 6, v1
	v_lshlrev_b32_e32 v7, 10, v67
	v_and_b32_e32 v6, 0x3800, v6
	s_delay_alu instid0(VALU_DEP_4) | instskip(NEXT) | instid1(VALU_DEP_2)
	v_lshlrev_b64 v[2:3], 1, v[2:3]
	v_or3_b32 v1, v6, v7, v1
	s_add_u32 s5, s6, s8
	s_addc_u32 s6, s7, s9
	s_delay_alu instid0(VALU_DEP_2) | instskip(NEXT) | instid1(VALU_DEP_3)
	v_add_co_u32 v2, vcc_lo, s5, v2
	v_add_co_ci_u32_e32 v3, vcc_lo, s6, v3, vcc_lo
	s_delay_alu instid0(VALU_DEP_2) | instskip(NEXT) | instid1(VALU_DEP_2)
	v_add_co_u32 v2, vcc_lo, v2, v65
	v_add_co_ci_u32_e32 v3, vcc_lo, 0, v3, vcc_lo
	global_load_b128 v[2:5], v[2:3], off
	s_waitcnt vmcnt(0)
	ds_store_b128 v1, v[2:5]
.LBB954_10:
	s_or_b32 exec_lo, exec_lo, s4
	v_and_b32_e32 v1, 0xef, v0
	s_waitcnt lgkmcnt(0)
	s_add_i32 s5, s24, 15
	s_clause 0x1
	s_load_b32 s4, s[0:1], 0x38
	s_load_b32 s33, s[0:1], 0x98
	s_ashr_i32 s6, s5, 31
	v_add_nc_u32_e32 v1, s12, v1
	s_lshr_b32 s6, s6, 28
	s_load_b32 s19, s[0:1], 0x1c
	s_add_i32 s5, s5, s6
	s_waitcnt lgkmcnt(0)
	v_ashrrev_i32_e32 v2, 31, v1
	v_or_b32_e32 v3, 16, v1
	s_ashr_i32 s13, s5, 4
	v_cmp_gt_i32_e32 vcc_lo, s24, v1
	s_add_i32 s13, s13, -1
	v_lshrrev_b32_e32 v2, 28, v2
	s_barrier
	buffer_gl0_inv
	s_mul_i32 s15, s15, s18
	v_add_nc_u32_e32 v4, v1, v2
	s_mul_i32 s4, s34, s4
	s_delay_alu instid0(SALU_CYCLE_1) | instskip(NEXT) | instid1(VALU_DEP_1)
	s_ashr_i32 s5, s4, 31
	v_ashrrev_i32_e32 v4, 4, v4
	v_add_nc_u32_e32 v2, v3, v2
	s_lshl_b64 s[4:5], s[4:5], 2
	s_delay_alu instid0(SALU_CYCLE_1) | instskip(NEXT) | instid1(VALU_DEP_2)
	s_add_u32 s16, s2, s4
	v_cndmask_b32_e32 v1, s13, v4, vcc_lo
	s_delay_alu instid0(VALU_DEP_2)
	v_ashrrev_i32_e32 v2, 4, v2
	v_cmp_gt_i32_e32 vcc_lo, s24, v3
	s_addc_u32 s25, s3, s5
	s_ashr_i32 s18, s15, 31
	s_add_u32 s26, s20, s15
	s_addc_u32 s27, s21, s18
	v_cndmask_b32_e32 v3, s13, v2, vcc_lo
	v_ashrrev_i32_e32 v2, 31, v1
	s_lshl_b32 s2, s14, 4
	s_delay_alu instid0(SALU_CYCLE_1) | instskip(NEXT) | instid1(VALU_DEP_2)
	s_ashr_i32 s3, s2, 31
	v_ashrrev_i32_e32 v4, 31, v3
	s_delay_alu instid0(VALU_DEP_2) | instskip(SKIP_1) | instid1(SALU_CYCLE_1)
	v_lshlrev_b64 v[1:2], 2, v[1:2]
	s_lshl_b64 s[2:3], s[2:3], 2
	s_add_u32 s2, s16, s2
	s_delay_alu instid0(VALU_DEP_2) | instskip(SKIP_1) | instid1(VALU_DEP_2)
	v_lshlrev_b64 v[3:4], 2, v[3:4]
	s_addc_u32 s3, s25, s3
	v_add_co_u32 v1, vcc_lo, s16, v1
	v_add_co_ci_u32_e32 v2, vcc_lo, s25, v2, vcc_lo
	s_delay_alu instid0(VALU_DEP_3) | instskip(NEXT) | instid1(VALU_DEP_4)
	v_add_co_u32 v3, vcc_lo, s16, v3
	v_add_co_ci_u32_e32 v4, vcc_lo, s25, v4, vcc_lo
	s_clause 0x1
	global_load_b32 v5, v[1:2], off
	global_load_b32 v7, v[3:4], off
	s_or_b32 s4, s12, 32
	v_lshlrev_b32_e32 v1, 4, v0
	s_ashr_i32 s5, s4, 4
	s_cmp_lt_i32 s4, s24
	s_cselect_b32 s4, s5, s13
	s_delay_alu instid0(VALU_DEP_1) | instskip(SKIP_1) | instid1(SALU_CYCLE_1)
	v_and_b32_e32 v1, 0xf0, v1
	s_ashr_i32 s5, s4, 31
	s_lshl_b64 s[4:5], s[4:5], 2
	s_delay_alu instid0(SALU_CYCLE_1)
	s_add_u32 s4, s16, s4
	s_addc_u32 s5, s25, s5
	s_or_b32 s6, s12, 64
	v_add_co_u32 v1, s26, s26, v1
	s_ashr_i32 s7, s6, 4
	s_cmp_lt_i32 s6, s24
	v_add_co_ci_u32_e64 v2, null, s27, 0, s26
	s_cselect_b32 s6, s7, s13
	s_delay_alu instid0(SALU_CYCLE_1) | instskip(NEXT) | instid1(SALU_CYCLE_1)
	s_ashr_i32 s7, s6, 31
	s_lshl_b64 s[6:7], s[6:7], 2
	s_delay_alu instid0(SALU_CYCLE_1) | instskip(SKIP_2) | instid1(SALU_CYCLE_1)
	s_add_u32 s6, s16, s6
	s_addc_u32 s7, s25, s7
	s_or_b32 s8, s12, 0x60
	s_ashr_i32 s9, s8, 4
	s_cmp_lt_i32 s8, s24
	s_cselect_b32 s8, s9, s13
	s_delay_alu instid0(SALU_CYCLE_1) | instskip(NEXT) | instid1(SALU_CYCLE_1)
	s_ashr_i32 s9, s8, 31
	s_lshl_b64 s[8:9], s[8:9], 2
	s_delay_alu instid0(SALU_CYCLE_1) | instskip(SKIP_2) | instid1(SALU_CYCLE_1)
	s_add_u32 s8, s16, s8
	s_addc_u32 s9, s25, s9
	s_or_b32 s10, s12, 0x80
	s_ashr_i32 s11, s10, 4
	s_cmp_lt_i32 s10, s24
	;; [unrolled: 10-line block ×3, first 2 shown]
	s_cselect_b32 s20, s21, s13
	s_delay_alu instid0(SALU_CYCLE_1) | instskip(NEXT) | instid1(SALU_CYCLE_1)
	s_ashr_i32 s21, s20, 31
	s_lshl_b64 s[20:21], s[20:21], 2
	s_delay_alu instid0(SALU_CYCLE_1)
	s_add_u32 s20, s16, s20
	s_addc_u32 s21, s25, s21
	s_clause 0x5
	s_load_b32 s26, s[2:3], 0x0
	s_load_b32 s27, s[4:5], 0x0
	;; [unrolled: 1-line block ×6, first 2 shown]
	s_or_b32 s2, s12, 0xc0
	s_mov_b32 s4, 0
	s_ashr_i32 s3, s2, 4
	s_cmp_lt_i32 s2, s24
	s_mov_b32 s11, s4
	s_cselect_b32 s2, s3, s13
	s_mov_b32 s5, s4
	s_ashr_i32 s3, s2, 31
	s_mov_b32 s6, s4
	s_lshl_b64 s[2:3], s[2:3], 2
	s_mov_b32 s7, s4
	s_add_u32 s2, s16, s2
	s_addc_u32 s3, s25, s3
	s_or_b32 s20, s12, 0xe0
	s_mov_b32 s8, s4
	s_ashr_i32 s21, s20, 4
	s_cmp_lt_i32 s20, s24
	s_mov_b32 s9, s4
	s_cselect_b32 s20, s21, s13
	s_mov_b32 s10, s4
	s_ashr_i32 s21, s20, 31
	v_mov_b32_e32 v118, s11
	v_dual_mov_b32 v112, s5 :: v_dual_mov_b32 v117, s10
	v_dual_mov_b32 v116, s9 :: v_dual_mov_b32 v115, s8
	;; [unrolled: 1-line block ×3, first 2 shown]
	v_mov_b32_e32 v111, s4
	s_lshl_b64 s[4:5], s[20:21], 2
	s_delay_alu instid0(SALU_CYCLE_1)
	s_add_u32 s4, s16, s4
	s_addc_u32 s5, s25, s5
	s_add_u32 s6, s22, s15
	s_addc_u32 s7, s23, s18
	s_waitcnt vmcnt(1)
	v_mad_i64_i32 v[3:4], null, v5, s17, v[1:2]
	s_waitcnt vmcnt(0)
	v_mad_i64_i32 v[5:6], null, v7, s17, v[1:2]
	v_mul_lo_u16 v1, v68, 52
	v_lshlrev_b32_e32 v2, 4, v68
	s_clause 0xf
	global_load_b128 v[17:20], v[3:4], off
	global_load_b128 v[21:24], v[3:4], off offset:256
	global_load_b128 v[25:28], v[5:6], off
	global_load_b128 v[29:32], v[5:6], off offset:256
	global_load_b128 v[57:60], v[3:4], off offset:512
	global_load_b128 v[61:64], v[3:4], off offset:768
	global_load_b128 v[71:74], v[5:6], off offset:512
	global_load_b128 v[75:78], v[5:6], off offset:768
	global_load_b128 v[79:82], v[3:4], off offset:1024
	global_load_b128 v[83:86], v[3:4], off offset:1280
	global_load_b128 v[87:90], v[5:6], off offset:1024
	global_load_b128 v[91:94], v[5:6], off offset:1280
	global_load_b128 v[95:98], v[3:4], off offset:1536
	global_load_b128 v[99:102], v[3:4], off offset:1792
	global_load_b128 v[103:106], v[5:6], off offset:1536
	global_load_b128 v[107:110], v[5:6], off offset:1792
	v_lshrrev_b16 v1, 8, v1
	s_delay_alu instid0(VALU_DEP_1) | instskip(NEXT) | instid1(VALU_DEP_1)
	v_mul_lo_u16 v1, v1, 5
	v_sub_nc_u16 v1, v68, v1
	s_delay_alu instid0(VALU_DEP_1) | instskip(NEXT) | instid1(VALU_DEP_1)
	v_and_b32_e32 v1, 0xff, v1
	v_lshlrev_b32_e32 v149, 6, v1
	v_lshl_or_b32 v1, v69, 8, v2
	ds_load_b128 v[119:122], v149
	ds_load_b128 v[123:126], v149 offset:1024
	ds_load_b128 v[127:130], v149 offset:2048
	;; [unrolled: 1-line block ×3, first 2 shown]
	s_clause 0x1
	s_load_b32 s2, s[2:3], 0x0
	s_load_b32 s3, s[4:5], 0x0
	v_add_co_u32 v135, s6, s6, v1
	s_delay_alu instid0(VALU_DEP_1) | instskip(SKIP_1) | instid1(VALU_DEP_1)
	v_add_co_ci_u32_e64 v136, null, s7, 0, s6
	s_waitcnt lgkmcnt(0)
	v_mad_i64_i32 v[1:2], null, s26, s17, v[135:136]
	v_mad_i64_i32 v[3:4], null, s27, s17, v[135:136]
	;; [unrolled: 1-line block ×6, first 2 shown]
	s_clause 0x9
	global_load_b128 v[49:52], v[1:2], off
	global_load_b128 v[53:56], v[1:2], off offset:16
	global_load_b128 v[41:44], v[3:4], off
	global_load_b128 v[45:48], v[3:4], off offset:16
	;; [unrolled: 2-line block ×5, first 2 shown]
	v_mad_i64_i32 v[145:146], null, s2, s17, v[135:136]
	v_mad_i64_i32 v[147:148], null, s3, s17, v[135:136]
	s_waitcnt vmcnt(24)
	v_wmma_f32_16x16x16_f16 v[135:142], v[17:24], v[119:126], v[111:118]
	s_waitcnt vmcnt(22)
	v_wmma_f32_16x16x16_f16 v[111:118], v[25:32], v[119:126], v[111:118]
	s_clause 0x3
	global_load_b128 v[17:20], v[143:144], off
	global_load_b128 v[21:24], v[143:144], off offset:16
	global_load_b128 v[25:28], v[145:146], off
	global_load_b128 v[29:32], v[145:146], off offset:16
	v_and_b32_e32 v119, 0xe0, v0
	s_waitcnt vmcnt(24)
	v_wmma_f32_16x16x16_f16 v[135:142], v[57:64], v[127:134], v[135:142]
	s_clause 0x1
	global_load_b128 v[57:60], v[147:148], off
	global_load_b128 v[61:64], v[147:148], off offset:16
	s_waitcnt vmcnt(24)
	v_wmma_f32_16x16x16_f16 v[111:118], v[71:78], v[127:134], v[111:118]
	ds_load_b128 v[71:74], v149 offset:4096
	ds_load_b128 v[75:78], v149 offset:5120
	v_add_nc_u32_e32 v128, s12, v119
	ds_load_b128 v[119:122], v149 offset:6144
	ds_load_b128 v[123:126], v149 offset:7168
	v_mbcnt_lo_u32_b32 v127, -1, 0
	s_waitcnt vmcnt(0) lgkmcnt(0)
	s_barrier
	v_or_b32_e32 v128, v128, v66
	buffer_gl0_inv
	v_xor_b32_e32 v129, 16, v127
	v_or_b32_e32 v130, 4, v128
	v_or_b32_e32 v131, 6, v128
	s_delay_alu instid0(VALU_DEP_3) | instskip(SKIP_4) | instid1(VALU_DEP_4)
	v_cmp_gt_i32_e32 vcc_lo, 32, v129
	v_or_b32_e32 v132, 8, v128
	v_or_b32_e32 v133, 10, v128
	v_cmp_gt_i32_e64 s3, s24, v130
	v_cmp_gt_i32_e64 s4, s24, v131
	v_cmp_gt_i32_e64 s5, s24, v132
	v_wmma_f32_16x16x16_f16 v[135:142], v[79:86], v[71:78], v[135:142]
	v_wmma_f32_16x16x16_f16 v[111:118], v[87:94], v[71:78], v[111:118]
	v_or_b32_e32 v79, 12, v128
	v_or_b32_e32 v80, 14, v128
	v_cmp_gt_i32_e64 s6, s24, v133
	v_wmma_f32_16x16x16_f16 v[135:142], v[95:102], v[119:126], v[135:142]
	v_wmma_f32_16x16x16_f16 v[111:118], v[103:110], v[119:126], v[111:118]
	v_cndmask_b32_e32 v127, v127, v129, vcc_lo
	v_or_b32_e32 v129, 2, v128
	v_cmp_gt_i32_e32 vcc_lo, s24, v128
	s_delay_alu instid0(VALU_DEP_4) | instskip(SKIP_1) | instid1(VALU_DEP_4)
	v_dual_mul_f32 v87, s19, v136 :: v_dual_mul_f32 v94, s19, v113
	v_mul_f32_e32 v88, s19, v135
	v_cmp_gt_i32_e64 s2, s24, v129
	v_mul_f32_e32 v78, s19, v138
	v_mul_f32_e32 v86, s19, v137
	;; [unrolled: 1-line block ×3, first 2 shown]
	v_cndmask_b32_e32 v88, 0xff7fffff, v88, vcc_lo
	v_cndmask_b32_e64 v87, 0xff7fffff, v87, s2
	v_dual_mul_f32 v77, s19, v139 :: v_dual_mul_f32 v90, s19, v117
	v_cndmask_b32_e64 v86, 0xff7fffff, v86, s3
	v_cndmask_b32_e64 v78, 0xff7fffff, v78, s4
	s_delay_alu instid0(VALU_DEP_4)
	v_max3_f32 v87, v88, 0xff7fffff, v87
	v_or_b32_e32 v81, 16, v128
	v_or_b32_e32 v82, 18, v128
	v_dual_mul_f32 v74, s19, v142 :: v_dual_mul_f32 v75, s19, v141
	v_mul_f32_e32 v96, s19, v111
	v_cndmask_b32_e64 v77, 0xff7fffff, v77, s5
	v_cndmask_b32_e64 v76, 0xff7fffff, v76, s6
	v_max3_f32 v78, v87, v86, v78
	v_cmp_gt_i32_e64 s7, s24, v79
	v_cmp_gt_i32_e64 s8, s24, v80
	v_or_b32_e32 v83, 20, v128
	v_or_b32_e32 v84, 22, v128
	v_mul_f32_e32 v95, s19, v112
	v_cndmask_b32_e64 v75, 0xff7fffff, v75, s7
	v_cndmask_b32_e64 v74, 0xff7fffff, v74, s8
	v_max3_f32 v76, v78, v77, v76
	v_cmp_gt_i32_e64 s9, s24, v81
	v_cmp_gt_i32_e64 s10, s24, v82
	v_or_b32_e32 v85, 24, v128
	v_or_b32_e32 v71, 26, v128
	;; [unrolled: 8-line block ×3, first 2 shown]
	v_dual_mul_f32 v91, s19, v116 :: v_dual_mul_f32 v92, s19, v115
	v_cndmask_b32_e64 v75, 0xff7fffff, v94, s11
	v_cndmask_b32_e64 v76, 0xff7fffff, v93, s12
	v_max3_f32 v74, v74, v77, v78
	v_cmp_gt_i32_e64 s13, s24, v85
	v_cmp_gt_i32_e64 s15, s24, v71
	v_mul_f32_e32 v89, s19, v118
	v_cmp_gt_i32_e64 s16, s24, v72
	v_max3_f32 v74, v74, v75, v76
	v_cndmask_b32_e64 v77, 0xff7fffff, v92, s13
	v_cndmask_b32_e64 v71, 0xff7fffff, v91, s15
	v_cmp_gt_i32_e64 s17, s24, v73
	v_cndmask_b32_e64 v72, 0xff7fffff, v90, s16
	s_delay_alu instid0(VALU_DEP_3) | instskip(SKIP_1) | instid1(VALU_DEP_4)
	v_max3_f32 v71, v74, v77, v71
	v_lshlrev_b32_e32 v74, 2, v127
	v_cndmask_b32_e64 v73, 0xff7fffff, v89, s17
	s_delay_alu instid0(VALU_DEP_1) | instskip(SKIP_3) | instid1(VALU_DEP_1)
	v_max3_f32 v71, v71, v72, v73
	ds_bpermute_b32 v72, v74, v71
	s_waitcnt lgkmcnt(0)
	v_max_f32_e32 v72, v72, v72
	v_max_f32_e32 v71, v71, v72
	s_delay_alu instid0(VALU_DEP_1) | instskip(SKIP_4) | instid1(VALU_DEP_4)
	v_fma_f32 v72, s19, v135, -v71
	v_fma_f32 v73, s19, v136, -v71
	;; [unrolled: 1-line block ×5, first 2 shown]
	v_dual_mul_f32 v72, 0x3fb8aa3b, v72 :: v_dual_mul_f32 v73, 0x3fb8aa3b, v73
	s_delay_alu instid0(VALU_DEP_3) | instskip(SKIP_1) | instid1(VALU_DEP_3)
	v_dual_mul_f32 v75, 0x3fb8aa3b, v75 :: v_dual_mul_f32 v76, 0x3fb8aa3b, v76
	v_fma_f32 v80, s19, v141, -v71
	v_exp_f32_e32 v72, v72
	s_delay_alu instid0(VALU_DEP_3) | instskip(NEXT) | instid1(VALU_DEP_2)
	v_exp_f32_e32 v73, v73
	v_exp_f32_e32 v75, v75
	;; [unrolled: 1-line block ×3, first 2 shown]
	v_mul_f32_e32 v82, 0x3fb8aa3b, v80
	s_delay_alu instid0(VALU_DEP_1) | instskip(SKIP_4) | instid1(TRANS32_DEP_3)
	v_exp_f32_e32 v84, v82
	v_cndmask_b32_e32 v79, 0, v72, vcc_lo
	v_fma_f32 v72, s19, v140, -v71
	v_mul_f32_e32 v77, 0x3fb8aa3b, v77
	v_cndmask_b32_e64 v78, 0, v73, s2
	v_cndmask_b32_e64 v81, 0, v75, s3
	s_delay_alu instid0(VALU_DEP_4) | instskip(NEXT) | instid1(VALU_DEP_4)
	v_dual_add_f32 v73, 0, v79 :: v_dual_mul_f32 v72, 0x3fb8aa3b, v72
	v_exp_f32_e32 v77, v77
	v_cndmask_b32_e64 v80, 0, v76, s4
	s_delay_alu instid0(TRANS32_DEP_2) | instskip(NEXT) | instid1(VALU_DEP_3)
	v_cndmask_b32_e64 v85, 0, v84, s7
	v_add_f32_e32 v73, v73, v78
	v_exp_f32_e32 v72, v72
	v_cmp_gt_u32_e64 s2, 16, v70
	s_delay_alu instid0(VALU_DEP_2) | instskip(NEXT) | instid1(TRANS32_DEP_2)
	v_add_f32_e32 v73, v73, v81
	v_cndmask_b32_e64 v83, 0, v77, s5
	s_delay_alu instid0(VALU_DEP_2) | instskip(SKIP_3) | instid1(VALU_DEP_1)
	v_add_f32_e32 v73, v73, v80
	s_waitcnt_depctr 0xfff
	v_cndmask_b32_e64 v82, 0, v72, s6
	v_add_f32_e32 v72, v73, v83
	v_add_f32_e32 v72, v72, v82
	s_delay_alu instid0(VALU_DEP_1)
	v_add_f32_e32 v72, v72, v85
	v_fma_f32 v76, s19, v111, -v71
	v_fma_f32 v75, s19, v142, -v71
	;; [unrolled: 1-line block ×5, first 2 shown]
	s_delay_alu instid0(VALU_DEP_4) | instskip(NEXT) | instid1(VALU_DEP_3)
	v_dual_mul_f32 v76, 0x3fb8aa3b, v76 :: v_dual_mul_f32 v75, 0x3fb8aa3b, v75
	v_mul_f32_e32 v86, 0x3fb8aa3b, v86
	s_delay_alu instid0(VALU_DEP_2) | instskip(NEXT) | instid1(VALU_DEP_2)
	v_exp_f32_e32 v76, v76
	v_exp_f32_e32 v75, v75
	s_delay_alu instid0(VALU_DEP_1) | instskip(NEXT) | instid1(TRANS32_DEP_3)
	v_exp_f32_e32 v88, v86
	v_cndmask_b32_e64 v87, 0, v76, s9
	v_fma_f32 v76, s19, v116, -v71
	v_mul_f32_e32 v77, 0x3fb8aa3b, v77
	s_waitcnt_depctr 0xfff
	v_cndmask_b32_e64 v84, 0, v75, s8
	v_fma_f32 v75, s19, v115, -v71
	v_cndmask_b32_e64 v88, 0, v88, s12
	v_mul_f32_e32 v76, 0x3fb8aa3b, v76
	v_exp_f32_e32 v77, v77
	v_add_f32_e32 v72, v72, v84
	s_delay_alu instid0(VALU_DEP_2) | instskip(NEXT) | instid1(VALU_DEP_1)
	v_exp_f32_e32 v76, v76
	v_add_f32_e32 v72, v72, v87
	s_waitcnt_depctr 0xfff
	v_cndmask_b32_e64 v86, 0, v77, s10
	v_mul_f32_e32 v73, 0x3fb8aa3b, v73
	v_fma_f32 v77, s19, v117, -v71
	v_cndmask_b32_e64 v90, 0, v76, s15
	s_delay_alu instid0(VALU_DEP_4) | instskip(NEXT) | instid1(VALU_DEP_4)
	v_add_f32_e32 v72, v72, v86
	v_exp_f32_e32 v73, v73
	s_waitcnt_depctr 0xfff
	v_cndmask_b32_e64 v89, 0, v73, s11
	s_delay_alu instid0(VALU_DEP_1) | instskip(NEXT) | instid1(VALU_DEP_1)
	v_dual_mul_f32 v75, 0x3fb8aa3b, v75 :: v_dual_add_f32 v72, v72, v89
	v_exp_f32_e32 v75, v75
	v_mul_f32_e32 v73, 0x3fb8aa3b, v77
	v_fma_f32 v77, s19, v118, -v71
	s_delay_alu instid0(VALU_DEP_3) | instskip(NEXT) | instid1(VALU_DEP_3)
	v_add_f32_e32 v72, v72, v88
	v_exp_f32_e32 v73, v73
	s_waitcnt_depctr 0xfff
	v_cndmask_b32_e64 v91, 0, v75, s13
	s_delay_alu instid0(VALU_DEP_1) | instskip(NEXT) | instid1(VALU_DEP_1)
	v_dual_mul_f32 v75, 0x3fb8aa3b, v77 :: v_dual_add_f32 v72, v72, v91
	v_exp_f32_e32 v75, v75
	v_cndmask_b32_e64 v93, 0, v73, s16
	s_delay_alu instid0(VALU_DEP_2) | instskip(NEXT) | instid1(VALU_DEP_1)
	v_add_f32_e32 v72, v72, v90
	v_add_f32_e32 v72, v72, v93
	s_waitcnt_depctr 0xfff
	v_cndmask_b32_e64 v92, 0, v75, s17
	s_delay_alu instid0(VALU_DEP_1)
	v_add_f32_e32 v72, v72, v92
	ds_bpermute_b32 v73, v74, v72
	s_and_saveexec_b32 s3, s2
	s_cbranch_execz .LBB954_12
; %bb.11:
	v_mul_u32_u24_e32 v70, 0x44, v69
	s_waitcnt lgkmcnt(0)
	v_add_f32_e32 v72, v72, v73
	s_delay_alu instid0(VALU_DEP_2) | instskip(NEXT) | instid1(VALU_DEP_1)
	v_lshl_add_u32 v70, v68, 2, v70
	v_add_nc_u32_e32 v70, 0x4000, v70
	ds_store_2addr_b32 v70, v71, v72 offset1:136
.LBB954_12:
	s_or_b32 exec_lo, exec_lo, s3
	v_lshlrev_b32_e32 v70, 2, v68
	s_load_b32 s35, s[0:1], 0x94
	s_waitcnt lgkmcnt(0)
	s_barrier
	buffer_gl0_inv
	v_add_nc_u32_e32 v98, 0x4000, v70
	v_cmp_eq_u32_e32 vcc_lo, 1, v69
	v_cmp_eq_u32_e64 s3, 2, v69
	v_cmp_eq_u32_e64 s4, 3, v69
	;; [unrolled: 1-line block ×3, first 2 shown]
	ds_load_2addr_b32 v[70:71], v98 offset1:17
	ds_load_2addr_b32 v[72:73], v98 offset0:34 offset1:51
	ds_load_2addr_b32 v[74:75], v98 offset0:68 offset1:85
	;; [unrolled: 1-line block ×3, first 2 shown]
	v_cmp_eq_u32_e64 s6, 5, v69
	v_cmp_eq_u32_e64 s7, 7, v69
	s_waitcnt lgkmcnt(3)
	v_max3_f32 v76, v70, 0xff7fffff, v71
	s_waitcnt lgkmcnt(2)
	s_delay_alu instid0(VALU_DEP_1) | instskip(SKIP_1) | instid1(VALU_DEP_1)
	v_max3_f32 v76, v76, v72, v73
	s_waitcnt lgkmcnt(1)
	v_max3_f32 v76, v76, v74, v75
	s_waitcnt lgkmcnt(0)
	s_delay_alu instid0(VALU_DEP_1) | instskip(NEXT) | instid1(VALU_DEP_1)
	v_max3_f32 v76, v76, v94, v95
	v_sub_f32_e32 v77, v71, v76
	ds_load_2addr_b32 v[96:97], v98 offset0:136 offset1:153
	v_sub_f32_e32 v74, v74, v76
	v_sub_f32_e32 v70, v70, v76
	;; [unrolled: 1-line block ×3, first 2 shown]
	v_dual_sub_f32 v72, v72, v76 :: v_dual_mul_f32 v77, 0x3fb8aa3b, v77
	s_delay_alu instid0(VALU_DEP_4) | instskip(NEXT) | instid1(VALU_DEP_4)
	v_mul_f32_e32 v103, 0x3fb8aa3b, v74
	v_mul_f32_e32 v99, 0x3fb8aa3b, v70
	ds_load_2addr_b32 v[70:71], v98 offset0:170 offset1:187
	v_dual_mul_f32 v101, 0x3fb8aa3b, v72 :: v_dual_mul_f32 v94, 0x3fb8aa3b, v94
	v_exp_f32_e32 v102, v77
	v_exp_f32_e32 v99, v99
	s_delay_alu instid0(VALU_DEP_1) | instskip(NEXT) | instid1(VALU_DEP_1)
	v_exp_f32_e32 v101, v101
	v_exp_f32_e32 v94, v94
	s_waitcnt lgkmcnt(1)
	s_delay_alu instid0(TRANS32_DEP_3)
	v_fma_f32 v77, v99, v96, 0
	v_sub_f32_e32 v100, v73, v76
	ds_load_2addr_b32 v[72:73], v98 offset0:204 offset1:221
	v_fmac_f32_e32 v77, v102, v97
	v_exp_f32_e32 v97, v103
	s_waitcnt lgkmcnt(1)
	s_delay_alu instid0(VALU_DEP_1)
	v_dual_fmac_f32 v77, v101, v70 :: v_dual_sub_f32 v96, v75, v76
	ds_load_2addr_b32 v[74:75], v98 offset0:238 offset1:255
	v_sub_f32_e32 v70, v95, v76
	s_waitcnt lgkmcnt(0)
	s_barrier
	v_mul_f32_e32 v96, 0x3fb8aa3b, v96
	buffer_gl0_inv
	v_exp_f32_e32 v95, v96
	v_mul_f32_e32 v100, 0x3fb8aa3b, v100
	s_delay_alu instid0(VALU_DEP_1) | instskip(SKIP_3) | instid1(VALU_DEP_2)
	v_exp_f32_e32 v100, v100
	s_waitcnt_depctr 0xfff
	v_dual_fmac_f32 v77, v100, v71 :: v_dual_mul_f32 v70, 0x3fb8aa3b, v70
	v_cndmask_b32_e32 v71, v99, v102, vcc_lo
	v_fmac_f32_e32 v77, v97, v72
	s_delay_alu instid0(VALU_DEP_3) | instskip(NEXT) | instid1(VALU_DEP_1)
	v_exp_f32_e32 v96, v70
	v_fmac_f32_e32 v77, v95, v73
	s_delay_alu instid0(VALU_DEP_1) | instskip(SKIP_2) | instid1(VALU_DEP_1)
	v_fmac_f32_e32 v77, v94, v74
	s_waitcnt_depctr 0xfff
	v_fmac_f32_e32 v77, v96, v75
	v_add_f32_e32 v74, 0x358637bd, v77
	s_delay_alu instid0(VALU_DEP_1) | instskip(SKIP_1) | instid1(VALU_DEP_2)
	v_div_scale_f32 v98, null, v74, v74, 1.0
	v_div_scale_f32 v99, vcc_lo, 1.0, v74, 1.0
	v_rcp_f32_e32 v103, v98
	s_waitcnt_depctr 0xfff
	v_fma_f32 v70, -v98, v103, 1.0
	s_delay_alu instid0(VALU_DEP_1) | instskip(SKIP_2) | instid1(VALU_DEP_2)
	v_fmac_f32_e32 v103, v70, v103
	v_cndmask_b32_e64 v70, v71, v101, s3
	v_cmp_eq_u32_e64 s3, 6, v69
	v_cndmask_b32_e64 v71, v70, v100, s4
	s_delay_alu instid0(VALU_DEP_4) | instskip(NEXT) | instid1(VALU_DEP_2)
	v_dual_mul_f32 v101, v99, v103 :: v_dual_lshlrev_b32 v70, 2, v66
	v_cndmask_b32_e64 v71, v71, v97, s5
	s_delay_alu instid0(VALU_DEP_2) | instskip(NEXT) | instid1(VALU_DEP_3)
	v_or_b32_e32 v72, 1, v70
	v_fma_f32 v100, -v98, v101, v99
	v_cmp_eq_u32_e64 s4, 1, v70
	v_cmp_eq_u32_e64 s5, 2, v70
	v_cndmask_b32_e64 v95, v71, v95, s6
	v_or_b32_e32 v71, 3, v70
	v_fmac_f32_e32 v101, v100, v103
	v_cmp_eq_u32_e64 s9, 1, v72
	v_cmp_eq_u32_e64 s12, 2, v72
	v_cndmask_b32_e64 v94, v95, v94, s3
	v_cmp_eq_u32_e64 s11, 1, v71
	v_fma_f32 v97, -v98, v101, v99
	v_cmp_eq_u32_e64 s16, 2, v71
	v_cmp_eq_u32_e64 s13, 3, v72
	v_cndmask_b32_e64 v94, v94, v96, s7
	v_cmp_eq_u32_e64 s18, 3, v71
	v_div_fmas_f32 v95, v97, v103, v101
	v_cmp_eq_u32_e32 vcc_lo, 3, v70
	v_cmp_eq_u32_e64 s3, 4, v70
	v_cmp_eq_u32_e64 s19, 4, v72
	v_cmp_eq_u32_e64 s22, 4, v71
	v_div_fixup_f32 v95, v95, v74, 1.0
	v_lshlrev_b32_e32 v73, 6, v68
	v_cmp_eq_u32_e64 s6, 5, v70
	v_cmp_eq_u32_e64 s20, 5, v72
	;; [unrolled: 1-line block ×3, first 2 shown]
	v_mul_f32_e32 v102, v94, v95
	v_lshl_or_b32 v75, v69, 11, v73
	v_or_b32_e32 v69, 2, v70
	v_cmp_eq_u32_e64 s25, 6, v72
	v_cmp_eq_u32_e64 s27, 6, v71
	v_fma_mixlo_f16 v94, v102, v79, 0
	v_fma_mixlo_f16 v95, v102, v81, 0
	;; [unrolled: 1-line block ×8, first 2 shown]
	v_lshl_or_b32 v74, v66, 4, v75
	v_fma_mixhi_f16 v94, v102, v78, 0
	v_fma_mixhi_f16 v95, v102, v80, 0
	;; [unrolled: 1-line block ×8, first 2 shown]
	ds_store_b128 v74, v[94:97]
	ds_store_b128 v74, v[98:101] offset:1024
	s_waitcnt lgkmcnt(0)
	s_barrier
	buffer_gl0_inv
	ds_load_b128 v[78:81], v75
	ds_load_b128 v[82:85], v75 offset:16
	ds_load_b128 v[86:89], v75 offset:1024
	;; [unrolled: 1-line block ×3, first 2 shown]
	v_cmp_eq_u32_e64 s10, 1, v69
	v_cmp_eq_u32_e64 s15, 2, v69
	;; [unrolled: 1-line block ×11, first 2 shown]
	s_waitcnt lgkmcnt(3)
	v_lshrrev_b32_e32 v94, 16, v78
	s_waitcnt lgkmcnt(2)
	v_lshrrev_b32_e32 v98, 16, v82
	s_waitcnt lgkmcnt(1)
	v_lshrrev_b32_e32 v102, 16, v86
	s_waitcnt lgkmcnt(0)
	v_lshrrev_b32_e32 v106, 16, v90
	v_lshrrev_b32_e32 v95, 16, v79
	v_cndmask_b32_e64 v110, v78, v94, s4
	v_cndmask_b32_e64 v111, v82, v98, s4
	;; [unrolled: 1-line block ×8, first 2 shown]
	v_lshrrev_b32_e32 v99, 16, v83
	v_cndmask_b32_e64 v94, v86, v102, s4
	v_cndmask_b32_e64 v98, v90, v106, s4
	;; [unrolled: 1-line block ×15, first 2 shown]
	v_lshrrev_b32_e32 v103, 16, v87
	v_lshrrev_b32_e32 v107, 16, v91
	v_cndmask_b32_e64 v113, v115, v83, s15
	v_cndmask_b32_e64 v82, v94, v87, s5
	;; [unrolled: 1-line block ×7, first 2 shown]
	v_cndmask_b32_e32 v90, v102, v95, vcc_lo
	v_cndmask_b32_e32 v102, v106, v99, vcc_lo
	v_cndmask_b32_e64 v106, v110, v95, s13
	v_cndmask_b32_e64 v110, v111, v99, s13
	;; [unrolled: 1-line block ×4, first 2 shown]
	v_lshrrev_b32_e32 v96, 16, v80
	v_lshrrev_b32_e32 v100, 16, v84
	v_cndmask_b32_e64 v111, v112, v95, s17
	v_cndmask_b32_e64 v112, v113, v99, s17
	v_cndmask_b32_e32 v82, v82, v103, vcc_lo
	v_cndmask_b32_e32 v83, v83, v107, vcc_lo
	v_cndmask_b32_e64 v94, v94, v103, s13
	v_cndmask_b32_e64 v90, v90, v80, s3
	;; [unrolled: 1-line block ×7, first 2 shown]
	v_lshrrev_b32_e32 v104, 16, v88
	v_cndmask_b32_e64 v106, v111, v80, s21
	v_cndmask_b32_e64 v110, v112, v84, s21
	;; [unrolled: 1-line block ×11, first 2 shown]
	v_lshrrev_b32_e32 v97, 16, v81
	v_lshrrev_b32_e32 v101, 16, v85
	v_cndmask_b32_e64 v99, v106, v96, s23
	v_cndmask_b32_e64 v102, v110, v100, s23
	;; [unrolled: 1-line block ×7, first 2 shown]
	v_lshrrev_b32_e32 v105, 16, v89
	v_cndmask_b32_e64 v80, v80, v104, s6
	v_cndmask_b32_e64 v84, v84, v81, s7
	;; [unrolled: 1-line block ×16, first 2 shown]
	v_perm_b32 v81, v79, v78, 0x5040100
	v_perm_b32 v79, v95, v85, 0x5040100
	v_cndmask_b32_e64 v78, v119, v91, s15
	v_cndmask_b32_e64 v85, v117, v91, s12
	;; [unrolled: 1-line block ×3, first 2 shown]
	v_perm_b32 v80, v94, v90, 0x5040100
	v_cndmask_b32_e64 v90, v98, v103, s17
	v_cndmask_b32_e64 v86, v86, v103, s18
	;; [unrolled: 1-line block ×5, first 2 shown]
	v_lshrrev_b32_e32 v108, 16, v92
	v_cndmask_b32_e64 v90, v90, v88, s21
	v_cndmask_b32_e64 v86, v86, v88, s22
	;; [unrolled: 1-line block ×11, first 2 shown]
	v_lshrrev_b32_e32 v109, 16, v93
	v_cndmask_b32_e64 v82, v82, v93, s7
	v_cndmask_b32_e64 v88, v88, v89, s26
	;; [unrolled: 1-line block ×12, first 2 shown]
	v_perm_b32 v78, v84, v83, 0x5040100
	v_perm_b32 v85, v87, v86, 0x5040100
	;; [unrolled: 1-line block ×5, first 2 shown]
	s_mul_i32 s8, s33, 5
	s_mov_b32 s3, exec_lo
	ds_store_b128 v74, v[78:81]
	ds_store_b128 v74, v[82:85] offset:1024
	v_cmpx_gt_u32_e32 5, v0
	s_cbranch_execz .LBB954_14
; %bb.13:
	s_mul_i32 s4, s8, s34
	s_delay_alu instid0(SALU_CYCLE_1) | instskip(SKIP_1) | instid1(VALU_DEP_1)
	v_add3_u32 v68, s4, s31, v68
	s_load_b128 s[4:7], s[0:1], 0x58
	v_mad_u64_u32 v[78:79], null, v68, s35, s[14:15]
	s_delay_alu instid0(VALU_DEP_1) | instskip(NEXT) | instid1(VALU_DEP_1)
	v_ashrrev_i32_e32 v79, 31, v78
	v_lshlrev_b64 v[78:79], 2, v[78:79]
	s_waitcnt lgkmcnt(0)
	s_delay_alu instid0(VALU_DEP_1) | instskip(NEXT) | instid1(VALU_DEP_2)
	v_add_co_u32 v80, vcc_lo, s6, v78
	v_add_co_ci_u32_e32 v81, vcc_lo, s7, v79, vcc_lo
	v_add_co_u32 v78, vcc_lo, s4, v78
	v_add_co_ci_u32_e32 v79, vcc_lo, s5, v79, vcc_lo
	global_store_b32 v[80:81], v76, off
	global_store_b32 v[78:79], v77, off
.LBB954_14:
	s_or_b32 exec_lo, exec_lo, s3
	s_waitcnt lgkmcnt(0)
	s_waitcnt_vscnt null, 0x0
	s_barrier
	buffer_gl0_inv
	ds_load_b128 v[84:87], v73
	ds_load_b128 v[88:91], v73 offset:16
	ds_load_b128 v[96:99], v73 offset:2064
	;; [unrolled: 1-line block ×5, first 2 shown]
	v_cmp_eq_u32_e32 vcc_lo, 1, v70
	v_mov_b32_e32 v76, 0
	ds_load_b128 v[112:115], v73 offset:6160
	ds_load_b128 v[108:111], v73 offset:6144
	;; [unrolled: 1-line block ×4, first 2 shown]
	v_cmp_eq_u32_e64 s4, 1, v69
	v_cmp_eq_u32_e64 s3, 1, v72
	;; [unrolled: 1-line block ×3, first 2 shown]
	v_mov_b32_e32 v77, v76
	v_mov_b32_e32 v78, v76
	v_mov_b32_e32 v79, v76
	v_mov_b32_e32 v80, v76
	v_mov_b32_e32 v81, v76
	v_mov_b32_e32 v82, v76
	v_mov_b32_e32 v83, v76
	v_cmp_eq_u32_e64 s6, 3, v72
	v_cmp_eq_u32_e64 s7, 7, v72
	s_waitcnt lgkmcnt(8)
	s_delay_alu instid0(VALU_DEP_3)
	v_wmma_f32_16x16x16_f16 v[76:83], v[49:56], v[84:91], v[76:83]
	ds_load_b128 v[53:56], v73 offset:10256
	ds_load_b128 v[49:52], v73 offset:10240
	s_waitcnt lgkmcnt(8)
	v_wmma_f32_16x16x16_f16 v[76:83], v[41:48], v[92:99], v[76:83]
	ds_load_b128 v[45:48], v73 offset:12304
	ds_load_b128 v[41:44], v73 offset:12288
	s_waitcnt lgkmcnt(8)
	;; [unrolled: 4-line block ×3, first 2 shown]
	s_barrier
	buffer_gl0_inv
	v_wmma_f32_16x16x16_f16 v[76:83], v[1:8], v[108:115], v[76:83]
	s_delay_alu instid0(VALU_DEP_1) | instskip(NEXT) | instid1(VALU_DEP_1)
	v_wmma_f32_16x16x16_f16 v[76:83], v[9:16], v[116:123], v[76:83]
	v_wmma_f32_16x16x16_f16 v[76:83], v[17:24], v[49:56], v[76:83]
	s_delay_alu instid0(VALU_DEP_1) | instskip(NEXT) | instid1(VALU_DEP_1)
	v_wmma_f32_16x16x16_f16 v[76:83], v[25:32], v[41:48], v[76:83]
	v_wmma_f32_16x16x16_f16 v[76:83], v[57:64], v[33:40], v[76:83]
	s_delay_alu instid0(VALU_DEP_1) | instskip(NEXT) | instid1(VALU_DEP_2)
	v_cvt_f16_f32_e32 v1, v76
	v_cvt_f16_f32_e32 v2, v77
	s_delay_alu instid0(VALU_DEP_3) | instskip(NEXT) | instid1(VALU_DEP_4)
	v_cvt_f16_f32_e32 v3, v78
	v_cvt_f16_f32_e32 v4, v79
	;; [unrolled: 1-line block ×6, first 2 shown]
	v_pack_b32_f16 v1, v1, v2
	v_pack_b32_f16 v2, v3, v4
	;; [unrolled: 1-line block ×3, first 2 shown]
	s_delay_alu instid0(VALU_DEP_4)
	v_pack_b32_f16 v4, v7, v8
	ds_store_b128 v74, v[1:4]
	s_waitcnt lgkmcnt(0)
	s_barrier
	buffer_gl0_inv
	ds_load_b128 v[1:4], v75
	ds_load_b128 v[5:8], v75 offset:16
	s_waitcnt lgkmcnt(1)
	v_lshrrev_b32_e32 v9, 16, v1
	s_waitcnt lgkmcnt(0)
	v_lshrrev_b32_e32 v13, 16, v5
	v_lshrrev_b32_e32 v10, 16, v2
	;; [unrolled: 1-line block ×4, first 2 shown]
	v_cndmask_b32_e32 v17, v1, v9, vcc_lo
	v_cndmask_b32_e32 v18, v5, v13, vcc_lo
	v_cndmask_b32_e64 v21, v1, v9, s4
	v_cmp_eq_u32_e32 vcc_lo, 1, v71
	v_cndmask_b32_e64 v22, v5, v13, s4
	v_cmp_eq_u32_e64 s4, 2, v70
	v_cndmask_b32_e64 v19, v1, v9, s3
	v_cndmask_b32_e64 v20, v5, v13, s3
	v_cndmask_b32_e32 v1, v1, v9, vcc_lo
	v_cmp_eq_u32_e64 s3, 2, v71
	v_cndmask_b32_e32 v5, v5, v13, vcc_lo
	v_cndmask_b32_e64 v9, v17, v2, s4
	v_cmp_eq_u32_e32 vcc_lo, 3, v70
	v_cndmask_b32_e64 v13, v18, v6, s4
	v_cmp_eq_u32_e64 s4, 2, v69
	v_cndmask_b32_e64 v17, v19, v2, s5
	v_cndmask_b32_e64 v18, v20, v6, s5
	v_cmp_eq_u32_e64 s5, 3, v69
	v_cndmask_b32_e64 v1, v1, v2, s3
	v_cndmask_b32_e64 v19, v21, v2, s4
	;; [unrolled: 1-line block ×4, first 2 shown]
	v_cndmask_b32_e32 v5, v9, v10, vcc_lo
	v_cndmask_b32_e32 v6, v13, v14, vcc_lo
	v_cmp_eq_u32_e32 vcc_lo, 3, v71
	v_cndmask_b32_e64 v9, v17, v10, s6
	v_cndmask_b32_e64 v13, v18, v14, s6
	;; [unrolled: 1-line block ×3, first 2 shown]
	v_cmp_eq_u32_e64 s4, 4, v70
	v_cndmask_b32_e32 v1, v1, v10, vcc_lo
	v_cndmask_b32_e32 v2, v2, v14, vcc_lo
	v_cmp_eq_u32_e32 vcc_lo, 4, v72
	v_lshrrev_b32_e32 v15, 16, v7
	v_lshrrev_b32_e32 v16, 16, v8
	v_cndmask_b32_e64 v17, v19, v10, s5
	v_cmp_eq_u32_e64 s3, 4, v71
	v_cndmask_b32_e64 v5, v5, v3, s4
	v_cndmask_b32_e64 v6, v6, v7, s4
	v_cndmask_b32_e32 v9, v9, v3, vcc_lo
	v_cmp_eq_u32_e64 s4, 5, v72
	v_cndmask_b32_e32 v10, v13, v7, vcc_lo
	v_cmp_eq_u32_e32 vcc_lo, 4, v69
	v_cmp_eq_u32_e64 s5, 5, v70
	v_cndmask_b32_e64 v2, v2, v7, s3
	v_cndmask_b32_e64 v9, v9, v11, s4
	;; [unrolled: 1-line block ×3, first 2 shown]
	v_cndmask_b32_e32 v13, v17, v3, vcc_lo
	v_cmp_eq_u32_e64 s4, 5, v69
	v_cndmask_b32_e32 v14, v18, v7, vcc_lo
	v_cndmask_b32_e64 v1, v1, v3, s3
	v_cmp_eq_u32_e32 vcc_lo, 5, v71
	v_lshrrev_b32_e32 v12, 16, v4
	v_cndmask_b32_e64 v13, v13, v11, s4
	v_cndmask_b32_e64 v3, v14, v15, s4
	v_cmp_eq_u32_e64 s4, 6, v71
	v_cndmask_b32_e32 v1, v1, v11, vcc_lo
	v_cndmask_b32_e64 v5, v5, v11, s5
	v_cmp_eq_u32_e64 s6, 6, v70
	v_cndmask_b32_e64 v6, v6, v15, s5
	v_cmp_eq_u32_e64 s5, 6, v72
	v_cmp_eq_u32_e64 s3, 6, v69
	v_cndmask_b32_e64 v1, v1, v4, s4
	v_cndmask_b32_e32 v2, v2, v15, vcc_lo
	v_cmp_eq_u32_e32 vcc_lo, 7, v71
	v_cndmask_b32_e64 v5, v5, v4, s6
	v_cndmask_b32_e64 v9, v9, v4, s5
	;; [unrolled: 1-line block ×3, first 2 shown]
	v_cmp_eq_u32_e64 s6, 7, v70
	v_cndmask_b32_e32 v1, v1, v12, vcc_lo
	v_cndmask_b32_e64 v7, v13, v4, s3
	v_cndmask_b32_e64 v3, v3, v8, s3
	;; [unrolled: 1-line block ×3, first 2 shown]
	v_cmp_eq_u32_e64 s3, 7, v69
	v_cndmask_b32_e64 v4, v10, v8, s5
	v_cndmask_b32_e64 v5, v5, v12, s6
	;; [unrolled: 1-line block ×3, first 2 shown]
	v_cndmask_b32_e32 v2, v2, v16, vcc_lo
	v_cndmask_b32_e64 v7, v7, v12, s3
	v_cndmask_b32_e64 v3, v3, v16, s3
	;; [unrolled: 1-line block ×4, first 2 shown]
	v_perm_b32 v4, v2, v1, 0x5040100
	s_mov_b32 s3, exec_lo
	v_perm_b32 v3, v3, v7, 0x5040100
	v_perm_b32 v2, v8, v9, 0x5040100
	v_perm_b32 v1, v6, v5, 0x5040100
	ds_store_b128 v74, v[1:4]
	s_waitcnt lgkmcnt(0)
	s_barrier
	buffer_gl0_inv
	v_cmpx_gt_u32_e32 32, v0
	s_cbranch_execz .LBB954_2
; %bb.15:
	s_load_b64 s[4:5], s[0:1], 0x68
	v_lshlrev_b32_e32 v0, 10, v0
	v_add_nc_u32_e32 v2, s31, v66
	v_lshlrev_b32_e32 v3, 4, v67
	s_lshl_b32 s0, s35, 7
	s_delay_alu instid0(SALU_CYCLE_1) | instskip(NEXT) | instid1(VALU_DEP_2)
	s_mul_i32 s1, s0, s34
	v_mul_lo_u32 v1, v2, s0
	s_delay_alu instid0(VALU_DEP_2) | instskip(SKIP_2) | instid1(SALU_CYCLE_1)
	v_and_or_b32 v0, 0x3800, v0, v3
	v_add_nc_u32_e32 v2, 2, v2
	s_mul_i32 s6, s1, s8
	s_ashr_i32 s7, s6, 31
	s_delay_alu instid0(VALU_DEP_2)
	v_lshl_or_b32 v7, v66, 6, v0
	s_lshl_b64 s[6:7], s[6:7], 1
	v_mul_lo_u32 v11, v2, s0
	v_ashrrev_i32_e32 v2, 31, v1
	ds_load_b128 v[3:6], v7
	ds_load_b128 v[7:10], v7 offset:128
	s_waitcnt lgkmcnt(0)
	s_add_u32 s1, s4, s6
	s_addc_u32 s3, s5, s7
	s_lshl_b32 s4, s14, 7
	v_ashrrev_i32_e32 v12, 31, v11
	s_ashr_i32 s5, s4, 31
	v_lshlrev_b64 v[13:14], 1, v[1:2]
	s_lshl_b64 s[4:5], s[4:5], 1
	s_delay_alu instid0(SALU_CYCLE_1) | instskip(SKIP_2) | instid1(VALU_DEP_1)
	s_add_u32 s1, s1, s4
	s_addc_u32 s3, s3, s5
	v_add_co_u32 v1, s1, s1, v65
	v_add_co_ci_u32_e64 v2, null, s3, 0, s1
	v_lshlrev_b64 v[11:12], 1, v[11:12]
	s_delay_alu instid0(VALU_DEP_3) | instskip(NEXT) | instid1(VALU_DEP_3)
	v_add_co_u32 v13, vcc_lo, v1, v13
	v_add_co_ci_u32_e32 v14, vcc_lo, v2, v14, vcc_lo
	s_delay_alu instid0(VALU_DEP_3) | instskip(NEXT) | instid1(VALU_DEP_4)
	v_add_co_u32 v11, vcc_lo, v1, v11
	v_add_co_ci_u32_e32 v12, vcc_lo, v2, v12, vcc_lo
	s_clause 0x1
	global_store_b128 v[13:14], v[3:6], off
	global_store_b128 v[11:12], v[7:10], off
	s_and_b32 exec_lo, exec_lo, s2
	s_cbranch_execz .LBB954_2
; %bb.16:
	ds_load_b128 v[3:6], v0 offset:256
	s_add_i32 s1, s31, 4
	s_delay_alu instid0(SALU_CYCLE_1) | instskip(NEXT) | instid1(SALU_CYCLE_1)
	s_mul_i32 s0, s1, s0
	s_ashr_i32 s1, s0, 31
	s_delay_alu instid0(SALU_CYCLE_1) | instskip(NEXT) | instid1(SALU_CYCLE_1)
	s_lshl_b64 s[0:1], s[0:1], 1
	v_add_co_u32 v0, vcc_lo, v1, s0
	v_add_co_ci_u32_e32 v1, vcc_lo, s1, v2, vcc_lo
	s_waitcnt lgkmcnt(0)
	global_store_b128 v[0:1], v[3:6], off
	s_nop 0
	s_sendmsg sendmsg(MSG_DEALLOC_VGPRS)
	s_endpgm
	.section	.rodata,"a",@progbits
	.p2align	6, 0x0
	.amdhsa_kernel _Z39paged_attention_ll4mi_QKV_mfma16_kernelIDF16_hLN4vllm18Fp8KVCacheDataTypeE1EhLi16ELi128ELi256ELb0ELi5EL8MFMAType1EEvPKT_PKT0_S8_ifPKiSA_SA_iPKfiiiPfSD_PS3_PT2_iSC_SC_
		.amdhsa_group_segment_fixed_size 17472
		.amdhsa_private_segment_fixed_size 0
		.amdhsa_kernarg_size 400
		.amdhsa_user_sgpr_count 13
		.amdhsa_user_sgpr_dispatch_ptr 0
		.amdhsa_user_sgpr_queue_ptr 0
		.amdhsa_user_sgpr_kernarg_segment_ptr 1
		.amdhsa_user_sgpr_dispatch_id 0
		.amdhsa_user_sgpr_private_segment_size 0
		.amdhsa_wavefront_size32 1
		.amdhsa_uses_dynamic_stack 0
		.amdhsa_enable_private_segment 0
		.amdhsa_system_sgpr_workgroup_id_x 1
		.amdhsa_system_sgpr_workgroup_id_y 1
		.amdhsa_system_sgpr_workgroup_id_z 1
		.amdhsa_system_sgpr_workgroup_info 0
		.amdhsa_system_vgpr_workitem_id 0
		.amdhsa_next_free_vgpr 150
		.amdhsa_next_free_sgpr 36
		.amdhsa_reserve_vcc 1
		.amdhsa_float_round_mode_32 0
		.amdhsa_float_round_mode_16_64 0
		.amdhsa_float_denorm_mode_32 3
		.amdhsa_float_denorm_mode_16_64 3
		.amdhsa_dx10_clamp 1
		.amdhsa_ieee_mode 1
		.amdhsa_fp16_overflow 0
		.amdhsa_workgroup_processor_mode 1
		.amdhsa_memory_ordered 1
		.amdhsa_forward_progress 0
		.amdhsa_shared_vgpr_count 0
		.amdhsa_exception_fp_ieee_invalid_op 0
		.amdhsa_exception_fp_denorm_src 0
		.amdhsa_exception_fp_ieee_div_zero 0
		.amdhsa_exception_fp_ieee_overflow 0
		.amdhsa_exception_fp_ieee_underflow 0
		.amdhsa_exception_fp_ieee_inexact 0
		.amdhsa_exception_int_div_zero 0
	.end_amdhsa_kernel
	.section	.text._Z39paged_attention_ll4mi_QKV_mfma16_kernelIDF16_hLN4vllm18Fp8KVCacheDataTypeE1EhLi16ELi128ELi256ELb0ELi5EL8MFMAType1EEvPKT_PKT0_S8_ifPKiSA_SA_iPKfiiiPfSD_PS3_PT2_iSC_SC_,"axG",@progbits,_Z39paged_attention_ll4mi_QKV_mfma16_kernelIDF16_hLN4vllm18Fp8KVCacheDataTypeE1EhLi16ELi128ELi256ELb0ELi5EL8MFMAType1EEvPKT_PKT0_S8_ifPKiSA_SA_iPKfiiiPfSD_PS3_PT2_iSC_SC_,comdat
.Lfunc_end954:
	.size	_Z39paged_attention_ll4mi_QKV_mfma16_kernelIDF16_hLN4vllm18Fp8KVCacheDataTypeE1EhLi16ELi128ELi256ELb0ELi5EL8MFMAType1EEvPKT_PKT0_S8_ifPKiSA_SA_iPKfiiiPfSD_PS3_PT2_iSC_SC_, .Lfunc_end954-_Z39paged_attention_ll4mi_QKV_mfma16_kernelIDF16_hLN4vllm18Fp8KVCacheDataTypeE1EhLi16ELi128ELi256ELb0ELi5EL8MFMAType1EEvPKT_PKT0_S8_ifPKiSA_SA_iPKfiiiPfSD_PS3_PT2_iSC_SC_
                                        ; -- End function
	.section	.AMDGPU.csdata,"",@progbits
; Kernel info:
; codeLenInByte = 6644
; NumSgprs: 38
; NumVgprs: 150
; ScratchSize: 0
; MemoryBound: 0
; FloatMode: 240
; IeeeMode: 1
; LDSByteSize: 17472 bytes/workgroup (compile time only)
; SGPRBlocks: 4
; VGPRBlocks: 18
; NumSGPRsForWavesPerEU: 38
; NumVGPRsForWavesPerEU: 150
; Occupancy: 9
; WaveLimiterHint : 1
; COMPUTE_PGM_RSRC2:SCRATCH_EN: 0
; COMPUTE_PGM_RSRC2:USER_SGPR: 13
; COMPUTE_PGM_RSRC2:TRAP_HANDLER: 0
; COMPUTE_PGM_RSRC2:TGID_X_EN: 1
; COMPUTE_PGM_RSRC2:TGID_Y_EN: 1
; COMPUTE_PGM_RSRC2:TGID_Z_EN: 1
; COMPUTE_PGM_RSRC2:TIDIG_COMP_CNT: 0
	.section	.text._Z39paged_attention_ll4mi_QKV_mfma16_kernelIDF16_hLN4vllm18Fp8KVCacheDataTypeE1EhLi16ELi128ELi256ELb0ELi6EL8MFMAType1EEvPKT_PKT0_S8_ifPKiSA_SA_iPKfiiiPfSD_PS3_PT2_iSC_SC_,"axG",@progbits,_Z39paged_attention_ll4mi_QKV_mfma16_kernelIDF16_hLN4vllm18Fp8KVCacheDataTypeE1EhLi16ELi128ELi256ELb0ELi6EL8MFMAType1EEvPKT_PKT0_S8_ifPKiSA_SA_iPKfiiiPfSD_PS3_PT2_iSC_SC_,comdat
	.protected	_Z39paged_attention_ll4mi_QKV_mfma16_kernelIDF16_hLN4vllm18Fp8KVCacheDataTypeE1EhLi16ELi128ELi256ELb0ELi6EL8MFMAType1EEvPKT_PKT0_S8_ifPKiSA_SA_iPKfiiiPfSD_PS3_PT2_iSC_SC_ ; -- Begin function _Z39paged_attention_ll4mi_QKV_mfma16_kernelIDF16_hLN4vllm18Fp8KVCacheDataTypeE1EhLi16ELi128ELi256ELb0ELi6EL8MFMAType1EEvPKT_PKT0_S8_ifPKiSA_SA_iPKfiiiPfSD_PS3_PT2_iSC_SC_
	.globl	_Z39paged_attention_ll4mi_QKV_mfma16_kernelIDF16_hLN4vllm18Fp8KVCacheDataTypeE1EhLi16ELi128ELi256ELb0ELi6EL8MFMAType1EEvPKT_PKT0_S8_ifPKiSA_SA_iPKfiiiPfSD_PS3_PT2_iSC_SC_
	.p2align	8
	.type	_Z39paged_attention_ll4mi_QKV_mfma16_kernelIDF16_hLN4vllm18Fp8KVCacheDataTypeE1EhLi16ELi128ELi256ELb0ELi6EL8MFMAType1EEvPKT_PKT0_S8_ifPKiSA_SA_iPKfiiiPfSD_PS3_PT2_iSC_SC_,@function
_Z39paged_attention_ll4mi_QKV_mfma16_kernelIDF16_hLN4vllm18Fp8KVCacheDataTypeE1EhLi16ELi128ELi256ELb0ELi6EL8MFMAType1EEvPKT_PKT0_S8_ifPKiSA_SA_iPKfiiiPfSD_PS3_PT2_iSC_SC_: ; @_Z39paged_attention_ll4mi_QKV_mfma16_kernelIDF16_hLN4vllm18Fp8KVCacheDataTypeE1EhLi16ELi128ELi256ELb0ELi6EL8MFMAType1EEvPKT_PKT0_S8_ifPKiSA_SA_iPKfiiiPfSD_PS3_PT2_iSC_SC_
; %bb.0:
	s_load_b64 s[4:5], s[0:1], 0x30
	s_mov_b32 s30, s13
	s_waitcnt lgkmcnt(0)
	s_cmp_lg_u64 s[4:5], 0
	s_cselect_b32 s8, -1, 0
	s_ashr_i32 s31, s13, 31
	s_cmp_eq_u64 s[4:5], 0
	s_cbranch_scc1 .LBB955_3
; %bb.1:
	s_lshl_b64 s[2:3], s[30:31], 2
	s_delay_alu instid0(SALU_CYCLE_1) | instskip(SKIP_4) | instid1(SALU_CYCLE_1)
	s_add_u32 s2, s4, s2
	s_addc_u32 s3, s5, s3
	s_load_b64 s[2:3], s[2:3], 0x0
	s_waitcnt lgkmcnt(0)
	s_sub_i32 s2, s3, s2
	s_cmp_eq_u32 s2, 1
	s_cselect_b32 s2, -1, 0
	s_delay_alu instid0(SALU_CYCLE_1)
	s_and_not1_b32 vcc_lo, exec_lo, s2
	s_cbranch_vccz .LBB955_4
.LBB955_2:
	s_endpgm
.LBB955_3:
.LBB955_4:
	s_load_b64 s[2:3], s[0:1], 0x28
	s_lshl_b64 s[6:7], s[30:31], 2
	s_waitcnt lgkmcnt(0)
	s_add_u32 s2, s2, s6
	s_addc_u32 s3, s3, s7
	s_lshl_b32 s12, s14, 8
	s_load_b32 s24, s[2:3], 0x0
	s_waitcnt lgkmcnt(0)
	s_cmp_ge_i32 s12, s24
	s_cbranch_scc1 .LBB955_2
; %bb.5:
	s_clause 0x1
	s_load_b128 s[20:23], s[0:1], 0x8
	s_load_b64 s[2:3], s[0:1], 0x20
	s_and_not1_b32 vcc_lo, exec_lo, s8
	s_cbranch_vccnz .LBB955_7
; %bb.6:
	s_add_u32 s4, s4, s6
	s_addc_u32 s5, s5, s7
	s_load_b32 s5, s[4:5], 0x0
	s_branch .LBB955_8
.LBB955_7:
	s_mov_b32 s5, s30
.LBB955_8:
	s_load_b128 s[16:19], s[0:1], 0x48
	v_and_b32_e32 v68, 15, v0
	v_lshrrev_b32_e32 v69, 5, v0
	v_and_b32_e32 v70, 31, v0
	v_and_b32_e32 v67, 1, v0
	v_bfe_u32 v66, v0, 4, 1
	v_lshlrev_b32_e32 v1, 3, v68
	s_mul_i32 s31, s15, 6
	s_mov_b32 s4, exec_lo
	s_delay_alu instid0(VALU_DEP_1)
	v_lshlrev_b32_e32 v65, 1, v1
	v_cmpx_gt_u32_e32 0x60, v0
	s_cbranch_execz .LBB955_10
; %bb.9:
	s_load_b64 s[6:7], s[0:1], 0x0
	v_lshl_or_b32 v5, v69, 1, v66
	s_waitcnt lgkmcnt(0)
	s_mul_hi_i32 s9, s5, s16
	s_mul_i32 s8, s5, s16
	v_lshlrev_b32_e32 v6, 10, v68
	s_lshl_b64 s[8:9], s[8:9], 1
	v_add_lshl_u32 v1, v5, s31, 7
	v_lshlrev_b32_e32 v5, 6, v5
	v_lshlrev_b32_e32 v7, 10, v67
	v_and_b32_e32 v6, 0x3800, v6
	s_delay_alu instid0(VALU_DEP_4) | instskip(NEXT) | instid1(VALU_DEP_2)
	v_ashrrev_i32_e32 v2, 31, v1
	v_or3_b32 v5, v6, v7, v5
	s_delay_alu instid0(VALU_DEP_2) | instskip(SKIP_2) | instid1(VALU_DEP_1)
	v_lshlrev_b64 v[1:2], 1, v[1:2]
	s_add_u32 s5, s6, s8
	s_addc_u32 s6, s7, s9
	v_add_co_u32 v1, vcc_lo, s5, v1
	s_delay_alu instid0(VALU_DEP_2) | instskip(NEXT) | instid1(VALU_DEP_2)
	v_add_co_ci_u32_e32 v2, vcc_lo, s6, v2, vcc_lo
	v_add_co_u32 v1, vcc_lo, v1, v65
	s_delay_alu instid0(VALU_DEP_2)
	v_add_co_ci_u32_e32 v2, vcc_lo, 0, v2, vcc_lo
	global_load_b128 v[1:4], v[1:2], off
	s_waitcnt vmcnt(0)
	ds_store_b128 v5, v[1:4]
.LBB955_10:
	s_or_b32 exec_lo, exec_lo, s4
	v_and_b32_e32 v1, 0xef, v0
	s_waitcnt lgkmcnt(0)
	s_add_i32 s5, s24, 15
	s_clause 0x1
	s_load_b32 s4, s[0:1], 0x38
	s_load_b32 s33, s[0:1], 0x98
	s_ashr_i32 s6, s5, 31
	v_add_nc_u32_e32 v1, s12, v1
	s_lshr_b32 s6, s6, 28
	s_load_b32 s19, s[0:1], 0x1c
	s_add_i32 s5, s5, s6
	s_waitcnt lgkmcnt(0)
	v_ashrrev_i32_e32 v2, 31, v1
	v_or_b32_e32 v3, 16, v1
	s_ashr_i32 s13, s5, 4
	v_cmp_gt_i32_e32 vcc_lo, s24, v1
	s_add_i32 s13, s13, -1
	v_lshrrev_b32_e32 v2, 28, v2
	s_barrier
	buffer_gl0_inv
	s_mul_i32 s15, s15, s18
	v_add_nc_u32_e32 v4, v1, v2
	s_mul_i32 s4, s30, s4
	s_delay_alu instid0(SALU_CYCLE_1) | instskip(NEXT) | instid1(VALU_DEP_1)
	s_ashr_i32 s5, s4, 31
	v_ashrrev_i32_e32 v4, 4, v4
	v_add_nc_u32_e32 v2, v3, v2
	s_lshl_b64 s[4:5], s[4:5], 2
	s_delay_alu instid0(SALU_CYCLE_1) | instskip(NEXT) | instid1(VALU_DEP_2)
	s_add_u32 s16, s2, s4
	v_cndmask_b32_e32 v1, s13, v4, vcc_lo
	s_delay_alu instid0(VALU_DEP_2)
	v_ashrrev_i32_e32 v2, 4, v2
	v_cmp_gt_i32_e32 vcc_lo, s24, v3
	s_addc_u32 s25, s3, s5
	s_ashr_i32 s18, s15, 31
	s_add_u32 s26, s20, s15
	s_addc_u32 s27, s21, s18
	v_cndmask_b32_e32 v3, s13, v2, vcc_lo
	v_ashrrev_i32_e32 v2, 31, v1
	s_lshl_b32 s2, s14, 4
	s_delay_alu instid0(SALU_CYCLE_1) | instskip(NEXT) | instid1(VALU_DEP_2)
	s_ashr_i32 s3, s2, 31
	v_ashrrev_i32_e32 v4, 31, v3
	s_delay_alu instid0(VALU_DEP_2) | instskip(SKIP_1) | instid1(SALU_CYCLE_1)
	v_lshlrev_b64 v[1:2], 2, v[1:2]
	s_lshl_b64 s[2:3], s[2:3], 2
	s_add_u32 s2, s16, s2
	s_delay_alu instid0(VALU_DEP_2) | instskip(SKIP_1) | instid1(VALU_DEP_2)
	v_lshlrev_b64 v[3:4], 2, v[3:4]
	s_addc_u32 s3, s25, s3
	v_add_co_u32 v1, vcc_lo, s16, v1
	v_add_co_ci_u32_e32 v2, vcc_lo, s25, v2, vcc_lo
	s_delay_alu instid0(VALU_DEP_3) | instskip(NEXT) | instid1(VALU_DEP_4)
	v_add_co_u32 v3, vcc_lo, s16, v3
	v_add_co_ci_u32_e32 v4, vcc_lo, s25, v4, vcc_lo
	s_clause 0x1
	global_load_b32 v5, v[1:2], off
	global_load_b32 v7, v[3:4], off
	s_or_b32 s4, s12, 32
	v_lshlrev_b32_e32 v1, 4, v0
	s_ashr_i32 s5, s4, 4
	s_cmp_lt_i32 s4, s24
	s_cselect_b32 s4, s5, s13
	s_delay_alu instid0(VALU_DEP_1) | instskip(SKIP_1) | instid1(SALU_CYCLE_1)
	v_and_b32_e32 v1, 0xf0, v1
	s_ashr_i32 s5, s4, 31
	s_lshl_b64 s[4:5], s[4:5], 2
	s_delay_alu instid0(SALU_CYCLE_1)
	s_add_u32 s4, s16, s4
	s_addc_u32 s5, s25, s5
	s_or_b32 s6, s12, 64
	v_add_co_u32 v1, s26, s26, v1
	s_ashr_i32 s7, s6, 4
	s_cmp_lt_i32 s6, s24
	v_add_co_ci_u32_e64 v2, null, s27, 0, s26
	s_cselect_b32 s6, s7, s13
	s_delay_alu instid0(SALU_CYCLE_1) | instskip(NEXT) | instid1(SALU_CYCLE_1)
	s_ashr_i32 s7, s6, 31
	s_lshl_b64 s[6:7], s[6:7], 2
	s_delay_alu instid0(SALU_CYCLE_1) | instskip(SKIP_2) | instid1(SALU_CYCLE_1)
	s_add_u32 s6, s16, s6
	s_addc_u32 s7, s25, s7
	s_or_b32 s8, s12, 0x60
	s_ashr_i32 s9, s8, 4
	s_cmp_lt_i32 s8, s24
	s_cselect_b32 s8, s9, s13
	s_delay_alu instid0(SALU_CYCLE_1) | instskip(NEXT) | instid1(SALU_CYCLE_1)
	s_ashr_i32 s9, s8, 31
	s_lshl_b64 s[8:9], s[8:9], 2
	s_delay_alu instid0(SALU_CYCLE_1) | instskip(SKIP_2) | instid1(SALU_CYCLE_1)
	s_add_u32 s8, s16, s8
	s_addc_u32 s9, s25, s9
	s_or_b32 s10, s12, 0x80
	s_ashr_i32 s11, s10, 4
	s_cmp_lt_i32 s10, s24
	;; [unrolled: 10-line block ×3, first 2 shown]
	s_cselect_b32 s20, s21, s13
	s_delay_alu instid0(SALU_CYCLE_1) | instskip(NEXT) | instid1(SALU_CYCLE_1)
	s_ashr_i32 s21, s20, 31
	s_lshl_b64 s[20:21], s[20:21], 2
	s_delay_alu instid0(SALU_CYCLE_1)
	s_add_u32 s20, s16, s20
	s_addc_u32 s21, s25, s21
	s_clause 0x5
	s_load_b32 s26, s[2:3], 0x0
	s_load_b32 s27, s[4:5], 0x0
	;; [unrolled: 1-line block ×6, first 2 shown]
	s_or_b32 s2, s12, 0xc0
	s_mov_b32 s4, 0
	s_ashr_i32 s3, s2, 4
	s_cmp_lt_i32 s2, s24
	s_mov_b32 s11, s4
	s_cselect_b32 s2, s3, s13
	s_mov_b32 s5, s4
	s_ashr_i32 s3, s2, 31
	s_mov_b32 s6, s4
	s_lshl_b64 s[2:3], s[2:3], 2
	s_mov_b32 s7, s4
	s_add_u32 s2, s16, s2
	s_addc_u32 s3, s25, s3
	s_or_b32 s20, s12, 0xe0
	s_mov_b32 s8, s4
	s_ashr_i32 s21, s20, 4
	s_cmp_lt_i32 s20, s24
	s_mov_b32 s9, s4
	s_cselect_b32 s20, s21, s13
	s_mov_b32 s10, s4
	s_ashr_i32 s21, s20, 31
	v_mov_b32_e32 v118, s11
	v_dual_mov_b32 v112, s5 :: v_dual_mov_b32 v117, s10
	v_dual_mov_b32 v116, s9 :: v_dual_mov_b32 v115, s8
	;; [unrolled: 1-line block ×3, first 2 shown]
	v_mov_b32_e32 v111, s4
	s_lshl_b64 s[4:5], s[20:21], 2
	s_delay_alu instid0(SALU_CYCLE_1)
	s_add_u32 s4, s16, s4
	s_addc_u32 s5, s25, s5
	s_add_u32 s6, s22, s15
	s_addc_u32 s7, s23, s18
	s_waitcnt vmcnt(1)
	v_mad_i64_i32 v[3:4], null, v5, s17, v[1:2]
	s_waitcnt vmcnt(0)
	v_mad_i64_i32 v[5:6], null, v7, s17, v[1:2]
	v_mul_lo_u16 v1, v68, 43
	v_lshlrev_b32_e32 v2, 4, v68
	s_clause 0xf
	global_load_b128 v[17:20], v[3:4], off
	global_load_b128 v[21:24], v[3:4], off offset:256
	global_load_b128 v[25:28], v[5:6], off
	global_load_b128 v[29:32], v[5:6], off offset:256
	global_load_b128 v[57:60], v[3:4], off offset:512
	;; [unrolled: 1-line block ×13, first 2 shown]
	v_lshrrev_b16 v1, 8, v1
	s_delay_alu instid0(VALU_DEP_1) | instskip(NEXT) | instid1(VALU_DEP_1)
	v_mul_lo_u16 v1, v1, 6
	v_sub_nc_u16 v1, v68, v1
	s_delay_alu instid0(VALU_DEP_1) | instskip(NEXT) | instid1(VALU_DEP_1)
	v_and_b32_e32 v1, 0xff, v1
	v_lshlrev_b32_e32 v149, 6, v1
	v_lshl_or_b32 v1, v69, 8, v2
	ds_load_b128 v[119:122], v149
	ds_load_b128 v[123:126], v149 offset:1024
	ds_load_b128 v[127:130], v149 offset:2048
	;; [unrolled: 1-line block ×3, first 2 shown]
	s_clause 0x1
	s_load_b32 s2, s[2:3], 0x0
	s_load_b32 s3, s[4:5], 0x0
	v_add_co_u32 v135, s6, s6, v1
	s_delay_alu instid0(VALU_DEP_1) | instskip(SKIP_1) | instid1(VALU_DEP_1)
	v_add_co_ci_u32_e64 v136, null, s7, 0, s6
	s_waitcnt lgkmcnt(0)
	v_mad_i64_i32 v[1:2], null, s26, s17, v[135:136]
	v_mad_i64_i32 v[3:4], null, s27, s17, v[135:136]
	;; [unrolled: 1-line block ×6, first 2 shown]
	s_clause 0x9
	global_load_b128 v[49:52], v[1:2], off
	global_load_b128 v[53:56], v[1:2], off offset:16
	global_load_b128 v[41:44], v[3:4], off
	global_load_b128 v[45:48], v[3:4], off offset:16
	global_load_b128 v[33:36], v[5:6], off
	global_load_b128 v[37:40], v[5:6], off offset:16
	global_load_b128 v[1:4], v[7:8], off
	global_load_b128 v[5:8], v[7:8], off offset:16
	global_load_b128 v[9:12], v[13:14], off
	global_load_b128 v[13:16], v[13:14], off offset:16
	v_mad_i64_i32 v[145:146], null, s2, s17, v[135:136]
	v_mad_i64_i32 v[147:148], null, s3, s17, v[135:136]
	s_waitcnt vmcnt(24)
	v_wmma_f32_16x16x16_f16 v[135:142], v[17:24], v[119:126], v[111:118]
	s_waitcnt vmcnt(22)
	v_wmma_f32_16x16x16_f16 v[111:118], v[25:32], v[119:126], v[111:118]
	s_clause 0x3
	global_load_b128 v[17:20], v[143:144], off
	global_load_b128 v[21:24], v[143:144], off offset:16
	global_load_b128 v[25:28], v[145:146], off
	global_load_b128 v[29:32], v[145:146], off offset:16
	v_and_b32_e32 v119, 0xe0, v0
	s_waitcnt vmcnt(24)
	v_wmma_f32_16x16x16_f16 v[135:142], v[57:64], v[127:134], v[135:142]
	s_clause 0x1
	global_load_b128 v[57:60], v[147:148], off
	global_load_b128 v[61:64], v[147:148], off offset:16
	s_waitcnt vmcnt(24)
	v_wmma_f32_16x16x16_f16 v[111:118], v[71:78], v[127:134], v[111:118]
	ds_load_b128 v[71:74], v149 offset:4096
	ds_load_b128 v[75:78], v149 offset:5120
	v_add_nc_u32_e32 v128, s12, v119
	ds_load_b128 v[119:122], v149 offset:6144
	ds_load_b128 v[123:126], v149 offset:7168
	v_mbcnt_lo_u32_b32 v127, -1, 0
	s_waitcnt vmcnt(0) lgkmcnt(0)
	s_barrier
	v_or_b32_e32 v128, v128, v66
	buffer_gl0_inv
	v_xor_b32_e32 v129, 16, v127
	v_or_b32_e32 v130, 4, v128
	v_or_b32_e32 v131, 6, v128
	s_delay_alu instid0(VALU_DEP_3) | instskip(SKIP_4) | instid1(VALU_DEP_4)
	v_cmp_gt_i32_e32 vcc_lo, 32, v129
	v_or_b32_e32 v132, 8, v128
	v_or_b32_e32 v133, 10, v128
	v_cmp_gt_i32_e64 s3, s24, v130
	v_cmp_gt_i32_e64 s4, s24, v131
	;; [unrolled: 1-line block ×3, first 2 shown]
	v_wmma_f32_16x16x16_f16 v[135:142], v[79:86], v[71:78], v[135:142]
	v_wmma_f32_16x16x16_f16 v[111:118], v[87:94], v[71:78], v[111:118]
	v_or_b32_e32 v79, 12, v128
	v_or_b32_e32 v80, 14, v128
	v_cmp_gt_i32_e64 s6, s24, v133
	v_wmma_f32_16x16x16_f16 v[135:142], v[95:102], v[119:126], v[135:142]
	v_wmma_f32_16x16x16_f16 v[111:118], v[103:110], v[119:126], v[111:118]
	v_cndmask_b32_e32 v127, v127, v129, vcc_lo
	v_or_b32_e32 v129, 2, v128
	v_cmp_gt_i32_e32 vcc_lo, s24, v128
	s_delay_alu instid0(VALU_DEP_4) | instskip(SKIP_1) | instid1(VALU_DEP_4)
	v_dual_mul_f32 v87, s19, v136 :: v_dual_mul_f32 v94, s19, v113
	v_mul_f32_e32 v88, s19, v135
	v_cmp_gt_i32_e64 s2, s24, v129
	v_mul_f32_e32 v78, s19, v138
	v_mul_f32_e32 v86, s19, v137
	v_mul_f32_e32 v76, s19, v140
	v_cndmask_b32_e32 v88, 0xff7fffff, v88, vcc_lo
	v_cndmask_b32_e64 v87, 0xff7fffff, v87, s2
	v_dual_mul_f32 v77, s19, v139 :: v_dual_mul_f32 v90, s19, v117
	v_cndmask_b32_e64 v86, 0xff7fffff, v86, s3
	v_cndmask_b32_e64 v78, 0xff7fffff, v78, s4
	s_delay_alu instid0(VALU_DEP_4)
	v_max3_f32 v87, v88, 0xff7fffff, v87
	v_or_b32_e32 v81, 16, v128
	v_or_b32_e32 v82, 18, v128
	v_dual_mul_f32 v74, s19, v142 :: v_dual_mul_f32 v75, s19, v141
	v_mul_f32_e32 v96, s19, v111
	v_cndmask_b32_e64 v77, 0xff7fffff, v77, s5
	v_cndmask_b32_e64 v76, 0xff7fffff, v76, s6
	v_max3_f32 v78, v87, v86, v78
	v_cmp_gt_i32_e64 s7, s24, v79
	v_cmp_gt_i32_e64 s8, s24, v80
	v_or_b32_e32 v83, 20, v128
	v_or_b32_e32 v84, 22, v128
	v_mul_f32_e32 v95, s19, v112
	v_cndmask_b32_e64 v75, 0xff7fffff, v75, s7
	v_cndmask_b32_e64 v74, 0xff7fffff, v74, s8
	v_max3_f32 v76, v78, v77, v76
	v_cmp_gt_i32_e64 s9, s24, v81
	v_cmp_gt_i32_e64 s10, s24, v82
	v_or_b32_e32 v85, 24, v128
	v_or_b32_e32 v71, 26, v128
	;; [unrolled: 8-line block ×3, first 2 shown]
	v_dual_mul_f32 v91, s19, v116 :: v_dual_mul_f32 v92, s19, v115
	v_cndmask_b32_e64 v75, 0xff7fffff, v94, s11
	v_cndmask_b32_e64 v76, 0xff7fffff, v93, s12
	v_max3_f32 v74, v74, v77, v78
	v_cmp_gt_i32_e64 s13, s24, v85
	v_cmp_gt_i32_e64 s15, s24, v71
	v_mul_f32_e32 v89, s19, v118
	v_cmp_gt_i32_e64 s16, s24, v72
	v_max3_f32 v74, v74, v75, v76
	v_cndmask_b32_e64 v77, 0xff7fffff, v92, s13
	v_cndmask_b32_e64 v71, 0xff7fffff, v91, s15
	v_cmp_gt_i32_e64 s17, s24, v73
	v_cndmask_b32_e64 v72, 0xff7fffff, v90, s16
	s_delay_alu instid0(VALU_DEP_3) | instskip(SKIP_1) | instid1(VALU_DEP_4)
	v_max3_f32 v71, v74, v77, v71
	v_lshlrev_b32_e32 v74, 2, v127
	v_cndmask_b32_e64 v73, 0xff7fffff, v89, s17
	s_delay_alu instid0(VALU_DEP_1) | instskip(SKIP_3) | instid1(VALU_DEP_1)
	v_max3_f32 v71, v71, v72, v73
	ds_bpermute_b32 v72, v74, v71
	s_waitcnt lgkmcnt(0)
	v_max_f32_e32 v72, v72, v72
	v_max_f32_e32 v71, v71, v72
	s_delay_alu instid0(VALU_DEP_1) | instskip(SKIP_4) | instid1(VALU_DEP_4)
	v_fma_f32 v72, s19, v135, -v71
	v_fma_f32 v73, s19, v136, -v71
	;; [unrolled: 1-line block ×5, first 2 shown]
	v_dual_mul_f32 v72, 0x3fb8aa3b, v72 :: v_dual_mul_f32 v73, 0x3fb8aa3b, v73
	s_delay_alu instid0(VALU_DEP_3) | instskip(SKIP_1) | instid1(VALU_DEP_3)
	v_dual_mul_f32 v75, 0x3fb8aa3b, v75 :: v_dual_mul_f32 v76, 0x3fb8aa3b, v76
	v_fma_f32 v80, s19, v141, -v71
	v_exp_f32_e32 v72, v72
	s_delay_alu instid0(VALU_DEP_3) | instskip(NEXT) | instid1(VALU_DEP_2)
	v_exp_f32_e32 v73, v73
	v_exp_f32_e32 v75, v75
	;; [unrolled: 1-line block ×3, first 2 shown]
	v_mul_f32_e32 v82, 0x3fb8aa3b, v80
	s_delay_alu instid0(VALU_DEP_1) | instskip(SKIP_4) | instid1(TRANS32_DEP_3)
	v_exp_f32_e32 v84, v82
	v_cndmask_b32_e32 v79, 0, v72, vcc_lo
	v_fma_f32 v72, s19, v140, -v71
	v_mul_f32_e32 v77, 0x3fb8aa3b, v77
	v_cndmask_b32_e64 v78, 0, v73, s2
	v_cndmask_b32_e64 v81, 0, v75, s3
	s_delay_alu instid0(VALU_DEP_4) | instskip(NEXT) | instid1(VALU_DEP_4)
	v_dual_add_f32 v73, 0, v79 :: v_dual_mul_f32 v72, 0x3fb8aa3b, v72
	v_exp_f32_e32 v77, v77
	v_cndmask_b32_e64 v80, 0, v76, s4
	s_delay_alu instid0(TRANS32_DEP_2) | instskip(NEXT) | instid1(VALU_DEP_3)
	v_cndmask_b32_e64 v85, 0, v84, s7
	v_add_f32_e32 v73, v73, v78
	v_exp_f32_e32 v72, v72
	s_mov_b32 s2, exec_lo
	s_delay_alu instid0(VALU_DEP_1) | instskip(SKIP_4) | instid1(VALU_DEP_2)
	v_add_f32_e32 v73, v73, v81
	s_waitcnt_depctr 0xfff
	v_cndmask_b32_e64 v83, 0, v77, s5
	v_add_f32_e32 v73, v73, v80
	v_cndmask_b32_e64 v82, 0, v72, s6
	v_add_f32_e32 v72, v73, v83
	s_delay_alu instid0(VALU_DEP_1) | instskip(NEXT) | instid1(VALU_DEP_1)
	v_add_f32_e32 v72, v72, v82
	v_add_f32_e32 v72, v72, v85
	v_fma_f32 v76, s19, v111, -v71
	v_fma_f32 v75, s19, v142, -v71
	;; [unrolled: 1-line block ×5, first 2 shown]
	s_delay_alu instid0(VALU_DEP_4) | instskip(NEXT) | instid1(VALU_DEP_3)
	v_dual_mul_f32 v76, 0x3fb8aa3b, v76 :: v_dual_mul_f32 v75, 0x3fb8aa3b, v75
	v_mul_f32_e32 v86, 0x3fb8aa3b, v86
	s_delay_alu instid0(VALU_DEP_2) | instskip(NEXT) | instid1(VALU_DEP_2)
	v_exp_f32_e32 v76, v76
	v_exp_f32_e32 v75, v75
	s_delay_alu instid0(VALU_DEP_1) | instskip(NEXT) | instid1(TRANS32_DEP_3)
	v_exp_f32_e32 v88, v86
	v_cndmask_b32_e64 v87, 0, v76, s9
	v_fma_f32 v76, s19, v116, -v71
	v_mul_f32_e32 v77, 0x3fb8aa3b, v77
	s_waitcnt_depctr 0xfff
	v_cndmask_b32_e64 v84, 0, v75, s8
	v_fma_f32 v75, s19, v115, -v71
	v_cndmask_b32_e64 v88, 0, v88, s12
	v_mul_f32_e32 v76, 0x3fb8aa3b, v76
	v_exp_f32_e32 v77, v77
	v_add_f32_e32 v72, v72, v84
	s_delay_alu instid0(VALU_DEP_2) | instskip(NEXT) | instid1(VALU_DEP_1)
	v_exp_f32_e32 v76, v76
	v_add_f32_e32 v72, v72, v87
	s_waitcnt_depctr 0xfff
	v_cndmask_b32_e64 v86, 0, v77, s10
	v_mul_f32_e32 v73, 0x3fb8aa3b, v73
	v_fma_f32 v77, s19, v117, -v71
	v_cndmask_b32_e64 v90, 0, v76, s15
	s_delay_alu instid0(VALU_DEP_4) | instskip(NEXT) | instid1(VALU_DEP_4)
	v_add_f32_e32 v72, v72, v86
	v_exp_f32_e32 v73, v73
	s_waitcnt_depctr 0xfff
	v_cndmask_b32_e64 v89, 0, v73, s11
	s_delay_alu instid0(VALU_DEP_1) | instskip(NEXT) | instid1(VALU_DEP_1)
	v_dual_mul_f32 v75, 0x3fb8aa3b, v75 :: v_dual_add_f32 v72, v72, v89
	v_exp_f32_e32 v75, v75
	v_mul_f32_e32 v73, 0x3fb8aa3b, v77
	v_fma_f32 v77, s19, v118, -v71
	s_delay_alu instid0(VALU_DEP_3) | instskip(NEXT) | instid1(VALU_DEP_3)
	v_add_f32_e32 v72, v72, v88
	v_exp_f32_e32 v73, v73
	s_waitcnt_depctr 0xfff
	v_cndmask_b32_e64 v91, 0, v75, s13
	s_delay_alu instid0(VALU_DEP_1) | instskip(NEXT) | instid1(VALU_DEP_1)
	v_dual_mul_f32 v75, 0x3fb8aa3b, v77 :: v_dual_add_f32 v72, v72, v91
	v_exp_f32_e32 v75, v75
	v_cndmask_b32_e64 v93, 0, v73, s16
	s_delay_alu instid0(VALU_DEP_2) | instskip(NEXT) | instid1(VALU_DEP_1)
	v_add_f32_e32 v72, v72, v90
	v_add_f32_e32 v72, v72, v93
	s_waitcnt_depctr 0xfff
	v_cndmask_b32_e64 v92, 0, v75, s17
	s_delay_alu instid0(VALU_DEP_1)
	v_add_f32_e32 v72, v72, v92
	ds_bpermute_b32 v73, v74, v72
	v_cmpx_gt_u32_e32 16, v70
	s_cbranch_execz .LBB955_12
; %bb.11:
	v_mul_u32_u24_e32 v70, 0x44, v69
	s_waitcnt lgkmcnt(0)
	v_add_f32_e32 v72, v72, v73
	s_delay_alu instid0(VALU_DEP_2) | instskip(NEXT) | instid1(VALU_DEP_1)
	v_lshl_add_u32 v70, v68, 2, v70
	v_add_nc_u32_e32 v70, 0x4000, v70
	ds_store_2addr_b32 v70, v71, v72 offset1:136
.LBB955_12:
	s_or_b32 exec_lo, exec_lo, s2
	v_lshlrev_b32_e32 v70, 2, v68
	s_load_b32 s34, s[0:1], 0x94
	s_waitcnt lgkmcnt(0)
	s_barrier
	buffer_gl0_inv
	v_add_nc_u32_e32 v98, 0x4000, v70
	v_cmp_eq_u32_e32 vcc_lo, 1, v69
	v_cmp_eq_u32_e64 s2, 2, v69
	v_cmp_eq_u32_e64 s3, 3, v69
	;; [unrolled: 1-line block ×3, first 2 shown]
	ds_load_2addr_b32 v[70:71], v98 offset1:17
	ds_load_2addr_b32 v[72:73], v98 offset0:34 offset1:51
	ds_load_2addr_b32 v[74:75], v98 offset0:68 offset1:85
	;; [unrolled: 1-line block ×3, first 2 shown]
	v_cmp_eq_u32_e64 s5, 5, v69
	v_cmp_eq_u32_e64 s6, 7, v69
	s_waitcnt lgkmcnt(3)
	v_max3_f32 v76, v70, 0xff7fffff, v71
	s_waitcnt lgkmcnt(2)
	s_delay_alu instid0(VALU_DEP_1) | instskip(SKIP_1) | instid1(VALU_DEP_1)
	v_max3_f32 v76, v76, v72, v73
	s_waitcnt lgkmcnt(1)
	v_max3_f32 v76, v76, v74, v75
	s_waitcnt lgkmcnt(0)
	s_delay_alu instid0(VALU_DEP_1) | instskip(NEXT) | instid1(VALU_DEP_1)
	v_max3_f32 v76, v76, v94, v95
	v_sub_f32_e32 v77, v71, v76
	ds_load_2addr_b32 v[96:97], v98 offset0:136 offset1:153
	v_sub_f32_e32 v74, v74, v76
	v_sub_f32_e32 v70, v70, v76
	;; [unrolled: 1-line block ×3, first 2 shown]
	v_dual_sub_f32 v72, v72, v76 :: v_dual_mul_f32 v77, 0x3fb8aa3b, v77
	s_delay_alu instid0(VALU_DEP_4) | instskip(NEXT) | instid1(VALU_DEP_4)
	v_mul_f32_e32 v103, 0x3fb8aa3b, v74
	v_mul_f32_e32 v99, 0x3fb8aa3b, v70
	ds_load_2addr_b32 v[70:71], v98 offset0:170 offset1:187
	v_dual_mul_f32 v101, 0x3fb8aa3b, v72 :: v_dual_mul_f32 v94, 0x3fb8aa3b, v94
	v_exp_f32_e32 v102, v77
	v_exp_f32_e32 v99, v99
	s_delay_alu instid0(VALU_DEP_1) | instskip(NEXT) | instid1(VALU_DEP_1)
	v_exp_f32_e32 v101, v101
	v_exp_f32_e32 v94, v94
	s_waitcnt lgkmcnt(1)
	s_delay_alu instid0(TRANS32_DEP_3)
	v_fma_f32 v77, v99, v96, 0
	v_sub_f32_e32 v100, v73, v76
	ds_load_2addr_b32 v[72:73], v98 offset0:204 offset1:221
	v_fmac_f32_e32 v77, v102, v97
	v_exp_f32_e32 v97, v103
	s_waitcnt lgkmcnt(1)
	s_delay_alu instid0(VALU_DEP_1)
	v_dual_fmac_f32 v77, v101, v70 :: v_dual_sub_f32 v96, v75, v76
	ds_load_2addr_b32 v[74:75], v98 offset0:238 offset1:255
	v_sub_f32_e32 v70, v95, v76
	s_waitcnt lgkmcnt(0)
	s_barrier
	v_mul_f32_e32 v96, 0x3fb8aa3b, v96
	buffer_gl0_inv
	v_exp_f32_e32 v95, v96
	v_mul_f32_e32 v100, 0x3fb8aa3b, v100
	s_delay_alu instid0(VALU_DEP_1) | instskip(SKIP_3) | instid1(VALU_DEP_2)
	v_exp_f32_e32 v100, v100
	s_waitcnt_depctr 0xfff
	v_dual_fmac_f32 v77, v100, v71 :: v_dual_mul_f32 v70, 0x3fb8aa3b, v70
	v_cndmask_b32_e32 v71, v99, v102, vcc_lo
	v_fmac_f32_e32 v77, v97, v72
	s_delay_alu instid0(VALU_DEP_3) | instskip(NEXT) | instid1(VALU_DEP_1)
	v_exp_f32_e32 v96, v70
	v_fmac_f32_e32 v77, v95, v73
	s_delay_alu instid0(VALU_DEP_1) | instskip(SKIP_2) | instid1(VALU_DEP_1)
	v_fmac_f32_e32 v77, v94, v74
	s_waitcnt_depctr 0xfff
	v_fmac_f32_e32 v77, v96, v75
	v_add_f32_e32 v74, 0x358637bd, v77
	s_delay_alu instid0(VALU_DEP_1) | instskip(SKIP_1) | instid1(VALU_DEP_2)
	v_div_scale_f32 v98, null, v74, v74, 1.0
	v_div_scale_f32 v99, vcc_lo, 1.0, v74, 1.0
	v_rcp_f32_e32 v103, v98
	s_waitcnt_depctr 0xfff
	v_fma_f32 v70, -v98, v103, 1.0
	s_delay_alu instid0(VALU_DEP_1) | instskip(SKIP_2) | instid1(VALU_DEP_2)
	v_fmac_f32_e32 v103, v70, v103
	v_cndmask_b32_e64 v70, v71, v101, s2
	v_cmp_eq_u32_e64 s2, 6, v69
	v_cndmask_b32_e64 v71, v70, v100, s3
	s_delay_alu instid0(VALU_DEP_4) | instskip(NEXT) | instid1(VALU_DEP_2)
	v_dual_mul_f32 v101, v99, v103 :: v_dual_lshlrev_b32 v70, 2, v66
	v_cndmask_b32_e64 v71, v71, v97, s4
	s_delay_alu instid0(VALU_DEP_2) | instskip(NEXT) | instid1(VALU_DEP_3)
	v_or_b32_e32 v72, 1, v70
	v_fma_f32 v100, -v98, v101, v99
	v_cmp_eq_u32_e64 s3, 1, v70
	v_cmp_eq_u32_e64 s4, 2, v70
	v_cndmask_b32_e64 v95, v71, v95, s5
	v_or_b32_e32 v71, 3, v70
	v_fmac_f32_e32 v101, v100, v103
	v_cmp_eq_u32_e64 s8, 1, v72
	v_cmp_eq_u32_e64 s11, 2, v72
	v_cndmask_b32_e64 v94, v95, v94, s2
	v_cmp_eq_u32_e64 s10, 1, v71
	v_fma_f32 v97, -v98, v101, v99
	v_cmp_eq_u32_e64 s15, 2, v71
	v_cmp_eq_u32_e64 s12, 3, v72
	v_cndmask_b32_e64 v94, v94, v96, s6
	v_cmp_eq_u32_e64 s17, 3, v71
	v_div_fmas_f32 v95, v97, v103, v101
	v_cmp_eq_u32_e32 vcc_lo, 3, v70
	v_cmp_eq_u32_e64 s2, 4, v70
	v_cmp_eq_u32_e64 s18, 4, v72
	;; [unrolled: 1-line block ×3, first 2 shown]
	v_div_fixup_f32 v95, v95, v74, 1.0
	v_lshlrev_b32_e32 v73, 6, v68
	v_cmp_eq_u32_e64 s5, 5, v70
	v_cmp_eq_u32_e64 s19, 5, v72
	;; [unrolled: 1-line block ×3, first 2 shown]
	v_mul_f32_e32 v102, v94, v95
	v_lshl_or_b32 v75, v69, 11, v73
	v_or_b32_e32 v69, 2, v70
	v_cmp_eq_u32_e64 s24, 6, v72
	v_cmp_eq_u32_e64 s26, 6, v71
	v_fma_mixlo_f16 v94, v102, v79, 0
	v_fma_mixlo_f16 v95, v102, v81, 0
	;; [unrolled: 1-line block ×8, first 2 shown]
	v_lshl_or_b32 v74, v66, 4, v75
	v_fma_mixhi_f16 v94, v102, v78, 0
	v_fma_mixhi_f16 v95, v102, v80, 0
	;; [unrolled: 1-line block ×8, first 2 shown]
	ds_store_b128 v74, v[94:97]
	ds_store_b128 v74, v[98:101] offset:1024
	s_waitcnt lgkmcnt(0)
	s_barrier
	buffer_gl0_inv
	ds_load_b128 v[78:81], v75
	ds_load_b128 v[82:85], v75 offset:16
	ds_load_b128 v[86:89], v75 offset:1024
	;; [unrolled: 1-line block ×3, first 2 shown]
	v_cmp_eq_u32_e64 s9, 1, v69
	v_cmp_eq_u32_e64 s13, 2, v69
	;; [unrolled: 1-line block ×11, first 2 shown]
	s_waitcnt lgkmcnt(3)
	v_lshrrev_b32_e32 v94, 16, v78
	s_waitcnt lgkmcnt(2)
	v_lshrrev_b32_e32 v98, 16, v82
	;; [unrolled: 2-line block ×4, first 2 shown]
	v_lshrrev_b32_e32 v95, 16, v79
	v_cndmask_b32_e64 v110, v78, v94, s3
	v_cndmask_b32_e64 v111, v82, v98, s3
	;; [unrolled: 1-line block ×8, first 2 shown]
	v_lshrrev_b32_e32 v99, 16, v83
	v_cndmask_b32_e64 v94, v86, v102, s3
	v_cndmask_b32_e64 v98, v90, v106, s3
	v_cndmask_b32_e64 v116, v86, v102, s8
	v_cndmask_b32_e64 v117, v90, v106, s8
	v_cndmask_b32_e64 v118, v86, v102, s9
	v_cndmask_b32_e64 v119, v90, v106, s9
	v_cndmask_b32_e64 v86, v86, v102, s10
	v_cndmask_b32_e64 v90, v90, v106, s10
	v_cndmask_b32_e64 v102, v110, v79, s4
	v_cndmask_b32_e64 v106, v111, v83, s4
	v_cndmask_b32_e64 v110, v112, v79, s11
	v_cndmask_b32_e64 v111, v113, v83, s11
	v_cndmask_b32_e64 v112, v114, v79, s13
	v_cndmask_b32_e64 v78, v78, v79, s15
	v_cndmask_b32_e64 v79, v82, v83, s15
	v_lshrrev_b32_e32 v103, 16, v87
	v_lshrrev_b32_e32 v107, 16, v91
	v_cndmask_b32_e64 v113, v115, v83, s13
	v_cndmask_b32_e64 v82, v94, v87, s4
	;; [unrolled: 1-line block ×7, first 2 shown]
	v_cndmask_b32_e32 v90, v102, v95, vcc_lo
	v_cndmask_b32_e32 v102, v106, v99, vcc_lo
	v_cndmask_b32_e64 v106, v110, v95, s12
	v_cndmask_b32_e64 v110, v111, v99, s12
	;; [unrolled: 1-line block ×4, first 2 shown]
	v_lshrrev_b32_e32 v96, 16, v80
	v_lshrrev_b32_e32 v100, 16, v84
	v_cndmask_b32_e64 v111, v112, v95, s16
	v_cndmask_b32_e64 v112, v113, v99, s16
	v_cndmask_b32_e32 v82, v82, v103, vcc_lo
	v_cndmask_b32_e32 v83, v83, v107, vcc_lo
	v_cndmask_b32_e64 v94, v94, v103, s12
	v_cndmask_b32_e64 v90, v90, v80, s2
	;; [unrolled: 1-line block ×7, first 2 shown]
	v_lshrrev_b32_e32 v104, 16, v88
	v_cndmask_b32_e64 v106, v111, v80, s20
	v_cndmask_b32_e64 v110, v112, v84, s20
	;; [unrolled: 1-line block ×11, first 2 shown]
	v_lshrrev_b32_e32 v97, 16, v81
	v_lshrrev_b32_e32 v101, 16, v85
	v_cndmask_b32_e64 v99, v106, v96, s22
	v_cndmask_b32_e64 v102, v110, v100, s22
	;; [unrolled: 1-line block ×7, first 2 shown]
	v_lshrrev_b32_e32 v105, 16, v89
	v_cndmask_b32_e64 v80, v80, v104, s5
	v_cndmask_b32_e64 v84, v84, v81, s6
	v_cndmask_b32_e64 v90, v90, v85, s6
	v_cndmask_b32_e64 v96, v99, v81, s25
	v_cndmask_b32_e64 v99, v102, v85, s25
	v_cndmask_b32_e64 v81, v83, v89, s24
	v_cndmask_b32_e64 v85, v94, v97, s29
	v_cndmask_b32_e64 v78, v78, v97, s28
	v_cndmask_b32_e64 v79, v79, v101, s28
	v_cndmask_b32_e64 v95, v95, v101, s29
	v_cndmask_b32_e64 v80, v80, v89, s6
	v_cndmask_b32_e64 v83, v84, v97, s7
	v_cndmask_b32_e64 v84, v90, v101, s7
	v_cndmask_b32_e64 v90, v96, v97, s27
	v_cndmask_b32_e64 v94, v99, v101, s27
	v_cndmask_b32_e64 v97, v81, v105, s29
	v_perm_b32 v81, v79, v78, 0x5040100
	v_perm_b32 v79, v95, v85, 0x5040100
	v_cndmask_b32_e64 v78, v119, v91, s13
	v_cndmask_b32_e64 v85, v117, v91, s11
	;; [unrolled: 1-line block ×3, first 2 shown]
	v_perm_b32 v80, v94, v90, 0x5040100
	v_cndmask_b32_e64 v90, v98, v103, s16
	v_cndmask_b32_e64 v86, v86, v103, s17
	;; [unrolled: 1-line block ×5, first 2 shown]
	v_lshrrev_b32_e32 v108, 16, v92
	v_cndmask_b32_e64 v90, v90, v88, s20
	v_cndmask_b32_e64 v86, v86, v88, s21
	;; [unrolled: 1-line block ×11, first 2 shown]
	v_lshrrev_b32_e32 v109, 16, v93
	v_cndmask_b32_e64 v82, v82, v93, s6
	v_cndmask_b32_e64 v88, v88, v89, s25
	;; [unrolled: 1-line block ×12, first 2 shown]
	v_perm_b32 v78, v84, v83, 0x5040100
	v_perm_b32 v85, v87, v86, 0x5040100
	v_perm_b32 v84, v89, v88, 0x5040100
	v_perm_b32 v83, v90, v97, 0x5040100
	v_perm_b32 v82, v82, v96, 0x5040100
	s_mul_i32 s7, s33, 6
	s_mov_b32 s2, exec_lo
	ds_store_b128 v74, v[78:81]
	ds_store_b128 v74, v[82:85] offset:1024
	v_cmpx_gt_u32_e32 6, v0
	s_cbranch_execz .LBB955_14
; %bb.13:
	s_mul_i32 s3, s7, s30
	s_load_b128 s[8:11], s[0:1], 0x58
	v_add3_u32 v68, s3, s31, v68
	s_delay_alu instid0(VALU_DEP_1) | instskip(NEXT) | instid1(VALU_DEP_1)
	v_mad_u64_u32 v[78:79], null, v68, s34, s[14:15]
	v_ashrrev_i32_e32 v79, 31, v78
	s_delay_alu instid0(VALU_DEP_1) | instskip(SKIP_1) | instid1(VALU_DEP_1)
	v_lshlrev_b64 v[78:79], 2, v[78:79]
	s_waitcnt lgkmcnt(0)
	v_add_co_u32 v80, vcc_lo, s10, v78
	s_delay_alu instid0(VALU_DEP_2)
	v_add_co_ci_u32_e32 v81, vcc_lo, s11, v79, vcc_lo
	v_add_co_u32 v78, vcc_lo, s8, v78
	v_add_co_ci_u32_e32 v79, vcc_lo, s9, v79, vcc_lo
	global_store_b32 v[80:81], v76, off
	global_store_b32 v[78:79], v77, off
.LBB955_14:
	s_or_b32 exec_lo, exec_lo, s2
	s_waitcnt lgkmcnt(0)
	s_waitcnt_vscnt null, 0x0
	s_barrier
	buffer_gl0_inv
	ds_load_b128 v[84:87], v73
	ds_load_b128 v[88:91], v73 offset:16
	ds_load_b128 v[96:99], v73 offset:2064
	;; [unrolled: 1-line block ×5, first 2 shown]
	v_cmp_eq_u32_e32 vcc_lo, 1, v70
	v_mov_b32_e32 v76, 0
	ds_load_b128 v[112:115], v73 offset:6160
	ds_load_b128 v[108:111], v73 offset:6144
	;; [unrolled: 1-line block ×4, first 2 shown]
	v_cmp_eq_u32_e64 s3, 1, v69
	v_cmp_eq_u32_e64 s2, 1, v72
	;; [unrolled: 1-line block ×3, first 2 shown]
	v_mov_b32_e32 v77, v76
	v_mov_b32_e32 v78, v76
	;; [unrolled: 1-line block ×7, first 2 shown]
	v_cmp_eq_u32_e64 s5, 3, v72
	v_cmp_eq_u32_e64 s6, 7, v72
	s_waitcnt lgkmcnt(8)
	s_delay_alu instid0(VALU_DEP_3)
	v_wmma_f32_16x16x16_f16 v[76:83], v[49:56], v[84:91], v[76:83]
	ds_load_b128 v[53:56], v73 offset:10256
	ds_load_b128 v[49:52], v73 offset:10240
	s_waitcnt lgkmcnt(8)
	v_wmma_f32_16x16x16_f16 v[76:83], v[41:48], v[92:99], v[76:83]
	ds_load_b128 v[45:48], v73 offset:12304
	ds_load_b128 v[41:44], v73 offset:12288
	s_waitcnt lgkmcnt(8)
	;; [unrolled: 4-line block ×3, first 2 shown]
	s_barrier
	buffer_gl0_inv
	v_wmma_f32_16x16x16_f16 v[76:83], v[1:8], v[108:115], v[76:83]
	s_delay_alu instid0(VALU_DEP_1) | instskip(NEXT) | instid1(VALU_DEP_1)
	v_wmma_f32_16x16x16_f16 v[76:83], v[9:16], v[116:123], v[76:83]
	v_wmma_f32_16x16x16_f16 v[76:83], v[17:24], v[49:56], v[76:83]
	s_delay_alu instid0(VALU_DEP_1) | instskip(NEXT) | instid1(VALU_DEP_1)
	v_wmma_f32_16x16x16_f16 v[76:83], v[25:32], v[41:48], v[76:83]
	v_wmma_f32_16x16x16_f16 v[76:83], v[57:64], v[33:40], v[76:83]
	s_delay_alu instid0(VALU_DEP_1) | instskip(NEXT) | instid1(VALU_DEP_2)
	v_cvt_f16_f32_e32 v1, v76
	v_cvt_f16_f32_e32 v2, v77
	s_delay_alu instid0(VALU_DEP_3) | instskip(NEXT) | instid1(VALU_DEP_4)
	v_cvt_f16_f32_e32 v3, v78
	v_cvt_f16_f32_e32 v4, v79
	;; [unrolled: 1-line block ×6, first 2 shown]
	v_pack_b32_f16 v1, v1, v2
	v_pack_b32_f16 v2, v3, v4
	;; [unrolled: 1-line block ×3, first 2 shown]
	s_delay_alu instid0(VALU_DEP_4)
	v_pack_b32_f16 v4, v7, v8
	ds_store_b128 v74, v[1:4]
	s_waitcnt lgkmcnt(0)
	s_barrier
	buffer_gl0_inv
	ds_load_b128 v[1:4], v75
	ds_load_b128 v[5:8], v75 offset:16
	s_waitcnt lgkmcnt(1)
	v_lshrrev_b32_e32 v9, 16, v1
	s_waitcnt lgkmcnt(0)
	v_lshrrev_b32_e32 v13, 16, v5
	v_lshrrev_b32_e32 v10, 16, v2
	;; [unrolled: 1-line block ×4, first 2 shown]
	v_cndmask_b32_e32 v17, v1, v9, vcc_lo
	v_cndmask_b32_e32 v18, v5, v13, vcc_lo
	v_cndmask_b32_e64 v21, v1, v9, s3
	v_cmp_eq_u32_e32 vcc_lo, 1, v71
	v_cndmask_b32_e64 v22, v5, v13, s3
	v_cmp_eq_u32_e64 s3, 2, v70
	v_cndmask_b32_e64 v19, v1, v9, s2
	v_cndmask_b32_e64 v20, v5, v13, s2
	v_cndmask_b32_e32 v1, v1, v9, vcc_lo
	v_cmp_eq_u32_e64 s2, 2, v71
	v_cndmask_b32_e32 v5, v5, v13, vcc_lo
	v_cndmask_b32_e64 v9, v17, v2, s3
	v_cmp_eq_u32_e32 vcc_lo, 3, v70
	v_cndmask_b32_e64 v13, v18, v6, s3
	v_cmp_eq_u32_e64 s3, 2, v69
	v_cndmask_b32_e64 v17, v19, v2, s4
	v_cndmask_b32_e64 v18, v20, v6, s4
	v_cmp_eq_u32_e64 s4, 3, v69
	v_cndmask_b32_e64 v1, v1, v2, s2
	v_cndmask_b32_e64 v19, v21, v2, s3
	;; [unrolled: 1-line block ×4, first 2 shown]
	v_cndmask_b32_e32 v5, v9, v10, vcc_lo
	v_cndmask_b32_e32 v6, v13, v14, vcc_lo
	v_cmp_eq_u32_e32 vcc_lo, 3, v71
	v_cndmask_b32_e64 v9, v17, v10, s5
	v_cndmask_b32_e64 v13, v18, v14, s5
	;; [unrolled: 1-line block ×3, first 2 shown]
	v_cmp_eq_u32_e64 s3, 4, v70
	v_cndmask_b32_e32 v1, v1, v10, vcc_lo
	v_cndmask_b32_e32 v2, v2, v14, vcc_lo
	v_cmp_eq_u32_e32 vcc_lo, 4, v72
	v_lshrrev_b32_e32 v15, 16, v7
	v_lshrrev_b32_e32 v16, 16, v8
	v_cndmask_b32_e64 v17, v19, v10, s4
	v_cmp_eq_u32_e64 s2, 4, v71
	v_cndmask_b32_e64 v5, v5, v3, s3
	v_cndmask_b32_e64 v6, v6, v7, s3
	v_cndmask_b32_e32 v9, v9, v3, vcc_lo
	v_cmp_eq_u32_e64 s3, 5, v72
	v_cndmask_b32_e32 v10, v13, v7, vcc_lo
	v_cmp_eq_u32_e32 vcc_lo, 4, v69
	v_cmp_eq_u32_e64 s4, 5, v70
	v_cndmask_b32_e64 v2, v2, v7, s2
	v_cndmask_b32_e64 v9, v9, v11, s3
	;; [unrolled: 1-line block ×3, first 2 shown]
	v_cndmask_b32_e32 v13, v17, v3, vcc_lo
	v_cmp_eq_u32_e64 s3, 5, v69
	v_cndmask_b32_e32 v14, v18, v7, vcc_lo
	v_cndmask_b32_e64 v1, v1, v3, s2
	v_cmp_eq_u32_e32 vcc_lo, 5, v71
	v_lshrrev_b32_e32 v12, 16, v4
	v_cndmask_b32_e64 v13, v13, v11, s3
	v_cndmask_b32_e64 v3, v14, v15, s3
	v_cmp_eq_u32_e64 s3, 6, v71
	v_cndmask_b32_e32 v1, v1, v11, vcc_lo
	v_cndmask_b32_e64 v5, v5, v11, s4
	v_cmp_eq_u32_e64 s5, 6, v70
	v_cndmask_b32_e64 v6, v6, v15, s4
	v_cmp_eq_u32_e64 s4, 6, v72
	v_cmp_eq_u32_e64 s2, 6, v69
	v_cndmask_b32_e64 v1, v1, v4, s3
	v_cndmask_b32_e32 v2, v2, v15, vcc_lo
	v_cmp_eq_u32_e32 vcc_lo, 7, v71
	v_cndmask_b32_e64 v5, v5, v4, s5
	v_cndmask_b32_e64 v9, v9, v4, s4
	;; [unrolled: 1-line block ×3, first 2 shown]
	v_cmp_eq_u32_e64 s5, 7, v70
	v_cndmask_b32_e32 v1, v1, v12, vcc_lo
	v_cndmask_b32_e64 v7, v13, v4, s2
	v_cndmask_b32_e64 v3, v3, v8, s2
	v_cndmask_b32_e64 v2, v2, v8, s3
	v_cmp_eq_u32_e64 s2, 7, v69
	v_cndmask_b32_e64 v4, v10, v8, s4
	v_cndmask_b32_e64 v5, v5, v12, s5
	;; [unrolled: 1-line block ×3, first 2 shown]
	v_cndmask_b32_e32 v2, v2, v16, vcc_lo
	v_cndmask_b32_e64 v7, v7, v12, s2
	v_cndmask_b32_e64 v3, v3, v16, s2
	;; [unrolled: 1-line block ×4, first 2 shown]
	v_perm_b32 v4, v2, v1, 0x5040100
	s_mov_b32 s2, exec_lo
	v_perm_b32 v3, v3, v7, 0x5040100
	v_perm_b32 v2, v8, v9, 0x5040100
	;; [unrolled: 1-line block ×3, first 2 shown]
	ds_store_b128 v74, v[1:4]
	s_waitcnt lgkmcnt(0)
	s_barrier
	buffer_gl0_inv
	v_cmpx_gt_u32_e32 32, v0
	s_cbranch_execz .LBB955_2
; %bb.15:
	s_load_b64 s[0:1], s[0:1], 0x68
	s_lshl_b32 s4, s34, 7
	v_or_b32_e32 v3, s31, v66
	s_mul_i32 s2, s4, s30
	v_lshlrev_b32_e32 v0, 10, v0
	s_mul_i32 s2, s2, s7
	v_lshlrev_b32_e32 v1, 4, v67
	s_ashr_i32 s3, s2, 31
	v_mul_lo_u32 v12, v3, s4
	s_lshl_b64 s[2:3], s[2:3], 1
	v_lshlrev_b32_e32 v2, 6, v66
	v_and_b32_e32 v0, 0x3800, v0
	s_delay_alu instid0(VALU_DEP_1) | instskip(NEXT) | instid1(VALU_DEP_4)
	v_or3_b32 v8, v0, v1, v2
	v_ashrrev_i32_e32 v13, 31, v12
	ds_load_b128 v[0:3], v8
	ds_load_b128 v[4:7], v8 offset:128
	ds_load_b128 v[8:11], v8 offset:256
	s_waitcnt lgkmcnt(0)
	s_add_u32 s2, s0, s2
	s_addc_u32 s3, s1, s3
	s_lshl_b32 s0, s14, 7
	s_delay_alu instid0(SALU_CYCLE_1) | instskip(NEXT) | instid1(SALU_CYCLE_1)
	s_ashr_i32 s1, s0, 31
	s_lshl_b64 s[0:1], s[0:1], 1
	s_delay_alu instid0(SALU_CYCLE_1)
	s_add_u32 s0, s2, s0
	s_addc_u32 s1, s3, s1
	s_lshl_b32 s2, s34, 8
	v_add_co_u32 v18, s0, s0, v65
	v_add_nc_u32_e32 v14, s2, v12
	v_lshlrev_b64 v[12:13], 1, v[12:13]
	v_add_co_ci_u32_e64 v19, null, s1, 0, s0
	s_delay_alu instid0(VALU_DEP_3) | instskip(SKIP_1) | instid1(VALU_DEP_4)
	v_add_nc_u32_e32 v16, s2, v14
	v_ashrrev_i32_e32 v15, 31, v14
	v_add_co_u32 v12, vcc_lo, v18, v12
	s_delay_alu instid0(VALU_DEP_4) | instskip(NEXT) | instid1(VALU_DEP_4)
	v_add_co_ci_u32_e32 v13, vcc_lo, v19, v13, vcc_lo
	v_ashrrev_i32_e32 v17, 31, v16
	s_delay_alu instid0(VALU_DEP_4) | instskip(NEXT) | instid1(VALU_DEP_2)
	v_lshlrev_b64 v[14:15], 1, v[14:15]
	v_lshlrev_b64 v[16:17], 1, v[16:17]
	s_delay_alu instid0(VALU_DEP_2) | instskip(NEXT) | instid1(VALU_DEP_3)
	v_add_co_u32 v14, vcc_lo, v18, v14
	v_add_co_ci_u32_e32 v15, vcc_lo, v19, v15, vcc_lo
	s_delay_alu instid0(VALU_DEP_3) | instskip(NEXT) | instid1(VALU_DEP_4)
	v_add_co_u32 v16, vcc_lo, v18, v16
	v_add_co_ci_u32_e32 v17, vcc_lo, v19, v17, vcc_lo
	s_clause 0x2
	global_store_b128 v[12:13], v[0:3], off
	global_store_b128 v[14:15], v[4:7], off
	;; [unrolled: 1-line block ×3, first 2 shown]
	s_nop 0
	s_sendmsg sendmsg(MSG_DEALLOC_VGPRS)
	s_endpgm
	.section	.rodata,"a",@progbits
	.p2align	6, 0x0
	.amdhsa_kernel _Z39paged_attention_ll4mi_QKV_mfma16_kernelIDF16_hLN4vllm18Fp8KVCacheDataTypeE1EhLi16ELi128ELi256ELb0ELi6EL8MFMAType1EEvPKT_PKT0_S8_ifPKiSA_SA_iPKfiiiPfSD_PS3_PT2_iSC_SC_
		.amdhsa_group_segment_fixed_size 17472
		.amdhsa_private_segment_fixed_size 0
		.amdhsa_kernarg_size 400
		.amdhsa_user_sgpr_count 13
		.amdhsa_user_sgpr_dispatch_ptr 0
		.amdhsa_user_sgpr_queue_ptr 0
		.amdhsa_user_sgpr_kernarg_segment_ptr 1
		.amdhsa_user_sgpr_dispatch_id 0
		.amdhsa_user_sgpr_private_segment_size 0
		.amdhsa_wavefront_size32 1
		.amdhsa_uses_dynamic_stack 0
		.amdhsa_enable_private_segment 0
		.amdhsa_system_sgpr_workgroup_id_x 1
		.amdhsa_system_sgpr_workgroup_id_y 1
		.amdhsa_system_sgpr_workgroup_id_z 1
		.amdhsa_system_sgpr_workgroup_info 0
		.amdhsa_system_vgpr_workitem_id 0
		.amdhsa_next_free_vgpr 150
		.amdhsa_next_free_sgpr 36
		.amdhsa_reserve_vcc 1
		.amdhsa_float_round_mode_32 0
		.amdhsa_float_round_mode_16_64 0
		.amdhsa_float_denorm_mode_32 3
		.amdhsa_float_denorm_mode_16_64 3
		.amdhsa_dx10_clamp 1
		.amdhsa_ieee_mode 1
		.amdhsa_fp16_overflow 0
		.amdhsa_workgroup_processor_mode 1
		.amdhsa_memory_ordered 1
		.amdhsa_forward_progress 0
		.amdhsa_shared_vgpr_count 0
		.amdhsa_exception_fp_ieee_invalid_op 0
		.amdhsa_exception_fp_denorm_src 0
		.amdhsa_exception_fp_ieee_div_zero 0
		.amdhsa_exception_fp_ieee_overflow 0
		.amdhsa_exception_fp_ieee_underflow 0
		.amdhsa_exception_fp_ieee_inexact 0
		.amdhsa_exception_int_div_zero 0
	.end_amdhsa_kernel
	.section	.text._Z39paged_attention_ll4mi_QKV_mfma16_kernelIDF16_hLN4vllm18Fp8KVCacheDataTypeE1EhLi16ELi128ELi256ELb0ELi6EL8MFMAType1EEvPKT_PKT0_S8_ifPKiSA_SA_iPKfiiiPfSD_PS3_PT2_iSC_SC_,"axG",@progbits,_Z39paged_attention_ll4mi_QKV_mfma16_kernelIDF16_hLN4vllm18Fp8KVCacheDataTypeE1EhLi16ELi128ELi256ELb0ELi6EL8MFMAType1EEvPKT_PKT0_S8_ifPKiSA_SA_iPKfiiiPfSD_PS3_PT2_iSC_SC_,comdat
.Lfunc_end955:
	.size	_Z39paged_attention_ll4mi_QKV_mfma16_kernelIDF16_hLN4vllm18Fp8KVCacheDataTypeE1EhLi16ELi128ELi256ELb0ELi6EL8MFMAType1EEvPKT_PKT0_S8_ifPKiSA_SA_iPKfiiiPfSD_PS3_PT2_iSC_SC_, .Lfunc_end955-_Z39paged_attention_ll4mi_QKV_mfma16_kernelIDF16_hLN4vllm18Fp8KVCacheDataTypeE1EhLi16ELi128ELi256ELb0ELi6EL8MFMAType1EEvPKT_PKT0_S8_ifPKiSA_SA_iPKfiiiPfSD_PS3_PT2_iSC_SC_
                                        ; -- End function
	.section	.AMDGPU.csdata,"",@progbits
; Kernel info:
; codeLenInByte = 6620
; NumSgprs: 38
; NumVgprs: 150
; ScratchSize: 0
; MemoryBound: 0
; FloatMode: 240
; IeeeMode: 1
; LDSByteSize: 17472 bytes/workgroup (compile time only)
; SGPRBlocks: 4
; VGPRBlocks: 18
; NumSGPRsForWavesPerEU: 38
; NumVGPRsForWavesPerEU: 150
; Occupancy: 9
; WaveLimiterHint : 1
; COMPUTE_PGM_RSRC2:SCRATCH_EN: 0
; COMPUTE_PGM_RSRC2:USER_SGPR: 13
; COMPUTE_PGM_RSRC2:TRAP_HANDLER: 0
; COMPUTE_PGM_RSRC2:TGID_X_EN: 1
; COMPUTE_PGM_RSRC2:TGID_Y_EN: 1
; COMPUTE_PGM_RSRC2:TGID_Z_EN: 1
; COMPUTE_PGM_RSRC2:TIDIG_COMP_CNT: 0
	.section	.text._Z39paged_attention_ll4mi_QKV_mfma16_kernelIDF16_hLN4vllm18Fp8KVCacheDataTypeE1EhLi16ELi128ELi256ELb0ELi7EL8MFMAType1EEvPKT_PKT0_S8_ifPKiSA_SA_iPKfiiiPfSD_PS3_PT2_iSC_SC_,"axG",@progbits,_Z39paged_attention_ll4mi_QKV_mfma16_kernelIDF16_hLN4vllm18Fp8KVCacheDataTypeE1EhLi16ELi128ELi256ELb0ELi7EL8MFMAType1EEvPKT_PKT0_S8_ifPKiSA_SA_iPKfiiiPfSD_PS3_PT2_iSC_SC_,comdat
	.protected	_Z39paged_attention_ll4mi_QKV_mfma16_kernelIDF16_hLN4vllm18Fp8KVCacheDataTypeE1EhLi16ELi128ELi256ELb0ELi7EL8MFMAType1EEvPKT_PKT0_S8_ifPKiSA_SA_iPKfiiiPfSD_PS3_PT2_iSC_SC_ ; -- Begin function _Z39paged_attention_ll4mi_QKV_mfma16_kernelIDF16_hLN4vllm18Fp8KVCacheDataTypeE1EhLi16ELi128ELi256ELb0ELi7EL8MFMAType1EEvPKT_PKT0_S8_ifPKiSA_SA_iPKfiiiPfSD_PS3_PT2_iSC_SC_
	.globl	_Z39paged_attention_ll4mi_QKV_mfma16_kernelIDF16_hLN4vllm18Fp8KVCacheDataTypeE1EhLi16ELi128ELi256ELb0ELi7EL8MFMAType1EEvPKT_PKT0_S8_ifPKiSA_SA_iPKfiiiPfSD_PS3_PT2_iSC_SC_
	.p2align	8
	.type	_Z39paged_attention_ll4mi_QKV_mfma16_kernelIDF16_hLN4vllm18Fp8KVCacheDataTypeE1EhLi16ELi128ELi256ELb0ELi7EL8MFMAType1EEvPKT_PKT0_S8_ifPKiSA_SA_iPKfiiiPfSD_PS3_PT2_iSC_SC_,@function
_Z39paged_attention_ll4mi_QKV_mfma16_kernelIDF16_hLN4vllm18Fp8KVCacheDataTypeE1EhLi16ELi128ELi256ELb0ELi7EL8MFMAType1EEvPKT_PKT0_S8_ifPKiSA_SA_iPKfiiiPfSD_PS3_PT2_iSC_SC_: ; @_Z39paged_attention_ll4mi_QKV_mfma16_kernelIDF16_hLN4vllm18Fp8KVCacheDataTypeE1EhLi16ELi128ELi256ELb0ELi7EL8MFMAType1EEvPKT_PKT0_S8_ifPKiSA_SA_iPKfiiiPfSD_PS3_PT2_iSC_SC_
; %bb.0:
	s_load_b64 s[4:5], s[0:1], 0x30
	s_mov_b32 s34, s13
	s_waitcnt lgkmcnt(0)
	s_cmp_lg_u64 s[4:5], 0
	s_cselect_b32 s8, -1, 0
	s_ashr_i32 s35, s13, 31
	s_cmp_eq_u64 s[4:5], 0
	s_cbranch_scc1 .LBB956_3
; %bb.1:
	s_lshl_b64 s[2:3], s[34:35], 2
	s_delay_alu instid0(SALU_CYCLE_1) | instskip(SKIP_4) | instid1(SALU_CYCLE_1)
	s_add_u32 s2, s4, s2
	s_addc_u32 s3, s5, s3
	s_load_b64 s[2:3], s[2:3], 0x0
	s_waitcnt lgkmcnt(0)
	s_sub_i32 s2, s3, s2
	s_cmp_eq_u32 s2, 1
	s_cselect_b32 s2, -1, 0
	s_delay_alu instid0(SALU_CYCLE_1)
	s_and_not1_b32 vcc_lo, exec_lo, s2
	s_cbranch_vccz .LBB956_4
.LBB956_2:
	s_nop 0
	s_sendmsg sendmsg(MSG_DEALLOC_VGPRS)
	s_endpgm
.LBB956_3:
.LBB956_4:
	s_load_b64 s[2:3], s[0:1], 0x28
	s_lshl_b64 s[6:7], s[34:35], 2
	s_waitcnt lgkmcnt(0)
	s_add_u32 s2, s2, s6
	s_addc_u32 s3, s3, s7
	s_lshl_b32 s12, s14, 8
	s_load_b32 s24, s[2:3], 0x0
	s_waitcnt lgkmcnt(0)
	s_cmp_ge_i32 s12, s24
	s_cbranch_scc1 .LBB956_2
; %bb.5:
	s_clause 0x1
	s_load_b128 s[20:23], s[0:1], 0x8
	s_load_b64 s[2:3], s[0:1], 0x20
	s_and_not1_b32 vcc_lo, exec_lo, s8
	s_cbranch_vccnz .LBB956_7
; %bb.6:
	s_add_u32 s4, s4, s6
	s_addc_u32 s5, s5, s7
	s_load_b32 s5, s[4:5], 0x0
	s_branch .LBB956_8
.LBB956_7:
	s_mov_b32 s5, s34
.LBB956_8:
	s_load_b128 s[16:19], s[0:1], 0x48
	v_and_b32_e32 v68, 15, v0
	v_lshrrev_b32_e32 v69, 5, v0
	v_bfe_u32 v66, v0, 4, 1
	v_and_b32_e32 v70, 31, v0
	v_and_b32_e32 v67, 1, v0
	v_lshlrev_b32_e32 v2, 3, v68
	s_mul_i32 s31, s15, 7
	v_lshl_or_b32 v1, v69, 1, v66
	s_mov_b32 s4, exec_lo
	s_delay_alu instid0(VALU_DEP_2) | instskip(NEXT) | instid1(VALU_DEP_2)
	v_lshlrev_b32_e32 v65, 1, v2
	v_cmpx_gt_u32_e32 7, v1
	s_cbranch_execz .LBB956_10
; %bb.9:
	s_load_b64 s[6:7], s[0:1], 0x0
	v_add_lshl_u32 v2, v1, s31, 7
	s_waitcnt lgkmcnt(0)
	s_mul_hi_i32 s9, s5, s16
	s_mul_i32 s8, s5, s16
	v_lshlrev_b32_e32 v6, 10, v68
	s_lshl_b64 s[8:9], s[8:9], 1
	v_ashrrev_i32_e32 v3, 31, v2
	v_lshlrev_b32_e32 v1, 6, v1
	v_lshlrev_b32_e32 v7, 10, v67
	v_and_b32_e32 v6, 0x3800, v6
	s_delay_alu instid0(VALU_DEP_4) | instskip(NEXT) | instid1(VALU_DEP_2)
	v_lshlrev_b64 v[2:3], 1, v[2:3]
	v_or3_b32 v1, v6, v7, v1
	s_add_u32 s5, s6, s8
	s_addc_u32 s6, s7, s9
	s_delay_alu instid0(VALU_DEP_2) | instskip(NEXT) | instid1(VALU_DEP_3)
	v_add_co_u32 v2, vcc_lo, s5, v2
	v_add_co_ci_u32_e32 v3, vcc_lo, s6, v3, vcc_lo
	s_delay_alu instid0(VALU_DEP_2) | instskip(NEXT) | instid1(VALU_DEP_2)
	v_add_co_u32 v2, vcc_lo, v2, v65
	v_add_co_ci_u32_e32 v3, vcc_lo, 0, v3, vcc_lo
	global_load_b128 v[2:5], v[2:3], off
	s_waitcnt vmcnt(0)
	ds_store_b128 v1, v[2:5]
.LBB956_10:
	s_or_b32 exec_lo, exec_lo, s4
	v_and_b32_e32 v1, 0xef, v0
	s_waitcnt lgkmcnt(0)
	s_add_i32 s5, s24, 15
	s_clause 0x1
	s_load_b32 s4, s[0:1], 0x38
	s_load_b32 s33, s[0:1], 0x98
	s_ashr_i32 s6, s5, 31
	v_add_nc_u32_e32 v1, s12, v1
	s_lshr_b32 s6, s6, 28
	s_load_b32 s19, s[0:1], 0x1c
	s_add_i32 s5, s5, s6
	s_waitcnt lgkmcnt(0)
	v_ashrrev_i32_e32 v2, 31, v1
	v_or_b32_e32 v3, 16, v1
	s_ashr_i32 s13, s5, 4
	v_cmp_gt_i32_e32 vcc_lo, s24, v1
	s_add_i32 s13, s13, -1
	v_lshrrev_b32_e32 v2, 28, v2
	s_barrier
	buffer_gl0_inv
	s_mul_i32 s15, s15, s18
	v_add_nc_u32_e32 v4, v1, v2
	s_mul_i32 s4, s34, s4
	s_delay_alu instid0(SALU_CYCLE_1) | instskip(NEXT) | instid1(VALU_DEP_1)
	s_ashr_i32 s5, s4, 31
	v_ashrrev_i32_e32 v4, 4, v4
	v_add_nc_u32_e32 v2, v3, v2
	s_lshl_b64 s[4:5], s[4:5], 2
	s_delay_alu instid0(SALU_CYCLE_1) | instskip(NEXT) | instid1(VALU_DEP_2)
	s_add_u32 s16, s2, s4
	v_cndmask_b32_e32 v1, s13, v4, vcc_lo
	s_delay_alu instid0(VALU_DEP_2)
	v_ashrrev_i32_e32 v2, 4, v2
	v_cmp_gt_i32_e32 vcc_lo, s24, v3
	s_addc_u32 s25, s3, s5
	s_ashr_i32 s18, s15, 31
	s_add_u32 s26, s20, s15
	s_addc_u32 s27, s21, s18
	v_cndmask_b32_e32 v3, s13, v2, vcc_lo
	v_ashrrev_i32_e32 v2, 31, v1
	s_lshl_b32 s2, s14, 4
	s_delay_alu instid0(SALU_CYCLE_1) | instskip(NEXT) | instid1(VALU_DEP_2)
	s_ashr_i32 s3, s2, 31
	v_ashrrev_i32_e32 v4, 31, v3
	s_delay_alu instid0(VALU_DEP_2) | instskip(SKIP_1) | instid1(SALU_CYCLE_1)
	v_lshlrev_b64 v[1:2], 2, v[1:2]
	s_lshl_b64 s[2:3], s[2:3], 2
	s_add_u32 s2, s16, s2
	s_delay_alu instid0(VALU_DEP_2) | instskip(SKIP_1) | instid1(VALU_DEP_2)
	v_lshlrev_b64 v[3:4], 2, v[3:4]
	s_addc_u32 s3, s25, s3
	v_add_co_u32 v1, vcc_lo, s16, v1
	v_add_co_ci_u32_e32 v2, vcc_lo, s25, v2, vcc_lo
	s_delay_alu instid0(VALU_DEP_3) | instskip(NEXT) | instid1(VALU_DEP_4)
	v_add_co_u32 v3, vcc_lo, s16, v3
	v_add_co_ci_u32_e32 v4, vcc_lo, s25, v4, vcc_lo
	s_clause 0x1
	global_load_b32 v5, v[1:2], off
	global_load_b32 v7, v[3:4], off
	s_or_b32 s4, s12, 32
	v_lshlrev_b32_e32 v1, 4, v0
	s_ashr_i32 s5, s4, 4
	s_cmp_lt_i32 s4, s24
	s_cselect_b32 s4, s5, s13
	s_delay_alu instid0(VALU_DEP_1) | instskip(SKIP_1) | instid1(SALU_CYCLE_1)
	v_and_b32_e32 v1, 0xf0, v1
	s_ashr_i32 s5, s4, 31
	s_lshl_b64 s[4:5], s[4:5], 2
	s_delay_alu instid0(SALU_CYCLE_1)
	s_add_u32 s4, s16, s4
	s_addc_u32 s5, s25, s5
	s_or_b32 s6, s12, 64
	v_add_co_u32 v1, s26, s26, v1
	s_ashr_i32 s7, s6, 4
	s_cmp_lt_i32 s6, s24
	v_add_co_ci_u32_e64 v2, null, s27, 0, s26
	s_cselect_b32 s6, s7, s13
	s_delay_alu instid0(SALU_CYCLE_1) | instskip(NEXT) | instid1(SALU_CYCLE_1)
	s_ashr_i32 s7, s6, 31
	s_lshl_b64 s[6:7], s[6:7], 2
	s_delay_alu instid0(SALU_CYCLE_1) | instskip(SKIP_2) | instid1(SALU_CYCLE_1)
	s_add_u32 s6, s16, s6
	s_addc_u32 s7, s25, s7
	s_or_b32 s8, s12, 0x60
	s_ashr_i32 s9, s8, 4
	s_cmp_lt_i32 s8, s24
	s_cselect_b32 s8, s9, s13
	s_delay_alu instid0(SALU_CYCLE_1) | instskip(NEXT) | instid1(SALU_CYCLE_1)
	s_ashr_i32 s9, s8, 31
	s_lshl_b64 s[8:9], s[8:9], 2
	s_delay_alu instid0(SALU_CYCLE_1) | instskip(SKIP_2) | instid1(SALU_CYCLE_1)
	s_add_u32 s8, s16, s8
	s_addc_u32 s9, s25, s9
	s_or_b32 s10, s12, 0x80
	s_ashr_i32 s11, s10, 4
	s_cmp_lt_i32 s10, s24
	;; [unrolled: 10-line block ×3, first 2 shown]
	s_cselect_b32 s20, s21, s13
	s_delay_alu instid0(SALU_CYCLE_1) | instskip(NEXT) | instid1(SALU_CYCLE_1)
	s_ashr_i32 s21, s20, 31
	s_lshl_b64 s[20:21], s[20:21], 2
	s_delay_alu instid0(SALU_CYCLE_1)
	s_add_u32 s20, s16, s20
	s_addc_u32 s21, s25, s21
	s_clause 0x5
	s_load_b32 s26, s[2:3], 0x0
	s_load_b32 s27, s[4:5], 0x0
	;; [unrolled: 1-line block ×6, first 2 shown]
	s_or_b32 s2, s12, 0xc0
	s_mov_b32 s4, 0
	s_ashr_i32 s3, s2, 4
	s_cmp_lt_i32 s2, s24
	s_mov_b32 s11, s4
	s_cselect_b32 s2, s3, s13
	s_mov_b32 s5, s4
	s_ashr_i32 s3, s2, 31
	s_mov_b32 s6, s4
	s_lshl_b64 s[2:3], s[2:3], 2
	s_mov_b32 s7, s4
	s_add_u32 s2, s16, s2
	s_addc_u32 s3, s25, s3
	s_or_b32 s20, s12, 0xe0
	s_mov_b32 s8, s4
	s_ashr_i32 s21, s20, 4
	s_cmp_lt_i32 s20, s24
	s_mov_b32 s9, s4
	s_cselect_b32 s20, s21, s13
	s_mov_b32 s10, s4
	s_ashr_i32 s21, s20, 31
	v_mov_b32_e32 v118, s11
	v_dual_mov_b32 v112, s5 :: v_dual_mov_b32 v117, s10
	v_dual_mov_b32 v116, s9 :: v_dual_mov_b32 v115, s8
	;; [unrolled: 1-line block ×3, first 2 shown]
	v_mov_b32_e32 v111, s4
	s_lshl_b64 s[4:5], s[20:21], 2
	s_delay_alu instid0(SALU_CYCLE_1)
	s_add_u32 s4, s16, s4
	s_addc_u32 s5, s25, s5
	s_add_u32 s6, s22, s15
	s_addc_u32 s7, s23, s18
	s_waitcnt vmcnt(1)
	v_mad_i64_i32 v[3:4], null, v5, s17, v[1:2]
	s_waitcnt vmcnt(0)
	v_mad_i64_i32 v[5:6], null, v7, s17, v[1:2]
	v_mul_lo_u16 v1, v68, 37
	v_lshlrev_b32_e32 v2, 4, v68
	s_clause 0xf
	global_load_b128 v[17:20], v[3:4], off
	global_load_b128 v[21:24], v[3:4], off offset:256
	global_load_b128 v[25:28], v[5:6], off
	global_load_b128 v[29:32], v[5:6], off offset:256
	global_load_b128 v[57:60], v[3:4], off offset:512
	;; [unrolled: 1-line block ×13, first 2 shown]
	v_lshrrev_b16 v1, 8, v1
	s_delay_alu instid0(VALU_DEP_1) | instskip(NEXT) | instid1(VALU_DEP_1)
	v_mul_lo_u16 v1, v1, 7
	v_sub_nc_u16 v1, v68, v1
	s_delay_alu instid0(VALU_DEP_1) | instskip(NEXT) | instid1(VALU_DEP_1)
	v_and_b32_e32 v1, 0xff, v1
	v_lshlrev_b32_e32 v149, 6, v1
	v_lshl_or_b32 v1, v69, 8, v2
	ds_load_b128 v[119:122], v149
	ds_load_b128 v[123:126], v149 offset:1024
	ds_load_b128 v[127:130], v149 offset:2048
	;; [unrolled: 1-line block ×3, first 2 shown]
	s_clause 0x1
	s_load_b32 s2, s[2:3], 0x0
	s_load_b32 s3, s[4:5], 0x0
	v_add_co_u32 v135, s6, s6, v1
	s_delay_alu instid0(VALU_DEP_1) | instskip(SKIP_1) | instid1(VALU_DEP_1)
	v_add_co_ci_u32_e64 v136, null, s7, 0, s6
	s_waitcnt lgkmcnt(0)
	v_mad_i64_i32 v[1:2], null, s26, s17, v[135:136]
	v_mad_i64_i32 v[3:4], null, s27, s17, v[135:136]
	v_mad_i64_i32 v[5:6], null, s28, s17, v[135:136]
	v_mad_i64_i32 v[7:8], null, s29, s17, v[135:136]
	v_mad_i64_i32 v[143:144], null, s35, s17, v[135:136]
	v_mad_i64_i32 v[13:14], null, s30, s17, v[135:136]
	s_clause 0x9
	global_load_b128 v[49:52], v[1:2], off
	global_load_b128 v[53:56], v[1:2], off offset:16
	global_load_b128 v[41:44], v[3:4], off
	global_load_b128 v[45:48], v[3:4], off offset:16
	;; [unrolled: 2-line block ×5, first 2 shown]
	v_mad_i64_i32 v[145:146], null, s2, s17, v[135:136]
	v_mad_i64_i32 v[147:148], null, s3, s17, v[135:136]
	s_waitcnt vmcnt(24)
	v_wmma_f32_16x16x16_f16 v[135:142], v[17:24], v[119:126], v[111:118]
	s_waitcnt vmcnt(22)
	v_wmma_f32_16x16x16_f16 v[111:118], v[25:32], v[119:126], v[111:118]
	s_clause 0x3
	global_load_b128 v[17:20], v[143:144], off
	global_load_b128 v[21:24], v[143:144], off offset:16
	global_load_b128 v[25:28], v[145:146], off
	global_load_b128 v[29:32], v[145:146], off offset:16
	v_and_b32_e32 v119, 0xe0, v0
	s_waitcnt vmcnt(24)
	v_wmma_f32_16x16x16_f16 v[135:142], v[57:64], v[127:134], v[135:142]
	s_clause 0x1
	global_load_b128 v[57:60], v[147:148], off
	global_load_b128 v[61:64], v[147:148], off offset:16
	s_waitcnt vmcnt(24)
	v_wmma_f32_16x16x16_f16 v[111:118], v[71:78], v[127:134], v[111:118]
	ds_load_b128 v[71:74], v149 offset:4096
	ds_load_b128 v[75:78], v149 offset:5120
	v_add_nc_u32_e32 v128, s12, v119
	ds_load_b128 v[119:122], v149 offset:6144
	ds_load_b128 v[123:126], v149 offset:7168
	v_mbcnt_lo_u32_b32 v127, -1, 0
	s_waitcnt vmcnt(0) lgkmcnt(0)
	s_barrier
	v_or_b32_e32 v128, v128, v66
	buffer_gl0_inv
	v_xor_b32_e32 v129, 16, v127
	v_or_b32_e32 v130, 4, v128
	v_or_b32_e32 v131, 6, v128
	s_delay_alu instid0(VALU_DEP_3) | instskip(SKIP_4) | instid1(VALU_DEP_4)
	v_cmp_gt_i32_e32 vcc_lo, 32, v129
	v_or_b32_e32 v132, 8, v128
	v_or_b32_e32 v133, 10, v128
	v_cmp_gt_i32_e64 s3, s24, v130
	v_cmp_gt_i32_e64 s4, s24, v131
	;; [unrolled: 1-line block ×3, first 2 shown]
	v_wmma_f32_16x16x16_f16 v[135:142], v[79:86], v[71:78], v[135:142]
	v_wmma_f32_16x16x16_f16 v[111:118], v[87:94], v[71:78], v[111:118]
	v_or_b32_e32 v79, 12, v128
	v_or_b32_e32 v80, 14, v128
	v_cmp_gt_i32_e64 s6, s24, v133
	v_wmma_f32_16x16x16_f16 v[135:142], v[95:102], v[119:126], v[135:142]
	v_wmma_f32_16x16x16_f16 v[111:118], v[103:110], v[119:126], v[111:118]
	v_cndmask_b32_e32 v127, v127, v129, vcc_lo
	v_or_b32_e32 v129, 2, v128
	v_cmp_gt_i32_e32 vcc_lo, s24, v128
	s_delay_alu instid0(VALU_DEP_4) | instskip(SKIP_1) | instid1(VALU_DEP_4)
	v_dual_mul_f32 v87, s19, v136 :: v_dual_mul_f32 v94, s19, v113
	v_mul_f32_e32 v88, s19, v135
	v_cmp_gt_i32_e64 s2, s24, v129
	v_mul_f32_e32 v78, s19, v138
	v_mul_f32_e32 v86, s19, v137
	;; [unrolled: 1-line block ×3, first 2 shown]
	v_cndmask_b32_e32 v88, 0xff7fffff, v88, vcc_lo
	v_cndmask_b32_e64 v87, 0xff7fffff, v87, s2
	v_dual_mul_f32 v77, s19, v139 :: v_dual_mul_f32 v90, s19, v117
	v_cndmask_b32_e64 v86, 0xff7fffff, v86, s3
	v_cndmask_b32_e64 v78, 0xff7fffff, v78, s4
	s_delay_alu instid0(VALU_DEP_4)
	v_max3_f32 v87, v88, 0xff7fffff, v87
	v_or_b32_e32 v81, 16, v128
	v_or_b32_e32 v82, 18, v128
	v_dual_mul_f32 v74, s19, v142 :: v_dual_mul_f32 v75, s19, v141
	v_mul_f32_e32 v96, s19, v111
	v_cndmask_b32_e64 v77, 0xff7fffff, v77, s5
	v_cndmask_b32_e64 v76, 0xff7fffff, v76, s6
	v_max3_f32 v78, v87, v86, v78
	v_cmp_gt_i32_e64 s7, s24, v79
	v_cmp_gt_i32_e64 s8, s24, v80
	v_or_b32_e32 v83, 20, v128
	v_or_b32_e32 v84, 22, v128
	v_mul_f32_e32 v95, s19, v112
	v_cndmask_b32_e64 v75, 0xff7fffff, v75, s7
	v_cndmask_b32_e64 v74, 0xff7fffff, v74, s8
	v_max3_f32 v76, v78, v77, v76
	v_cmp_gt_i32_e64 s9, s24, v81
	v_cmp_gt_i32_e64 s10, s24, v82
	v_or_b32_e32 v85, 24, v128
	v_or_b32_e32 v71, 26, v128
	;; [unrolled: 8-line block ×3, first 2 shown]
	v_dual_mul_f32 v91, s19, v116 :: v_dual_mul_f32 v92, s19, v115
	v_cndmask_b32_e64 v75, 0xff7fffff, v94, s11
	v_cndmask_b32_e64 v76, 0xff7fffff, v93, s12
	v_max3_f32 v74, v74, v77, v78
	v_cmp_gt_i32_e64 s13, s24, v85
	v_cmp_gt_i32_e64 s15, s24, v71
	v_mul_f32_e32 v89, s19, v118
	v_cmp_gt_i32_e64 s16, s24, v72
	v_max3_f32 v74, v74, v75, v76
	v_cndmask_b32_e64 v77, 0xff7fffff, v92, s13
	v_cndmask_b32_e64 v71, 0xff7fffff, v91, s15
	v_cmp_gt_i32_e64 s17, s24, v73
	v_cndmask_b32_e64 v72, 0xff7fffff, v90, s16
	s_delay_alu instid0(VALU_DEP_3) | instskip(SKIP_1) | instid1(VALU_DEP_4)
	v_max3_f32 v71, v74, v77, v71
	v_lshlrev_b32_e32 v74, 2, v127
	v_cndmask_b32_e64 v73, 0xff7fffff, v89, s17
	s_delay_alu instid0(VALU_DEP_1) | instskip(SKIP_3) | instid1(VALU_DEP_1)
	v_max3_f32 v71, v71, v72, v73
	ds_bpermute_b32 v72, v74, v71
	s_waitcnt lgkmcnt(0)
	v_max_f32_e32 v72, v72, v72
	v_max_f32_e32 v71, v71, v72
	s_delay_alu instid0(VALU_DEP_1) | instskip(SKIP_4) | instid1(VALU_DEP_4)
	v_fma_f32 v72, s19, v135, -v71
	v_fma_f32 v73, s19, v136, -v71
	;; [unrolled: 1-line block ×5, first 2 shown]
	v_dual_mul_f32 v72, 0x3fb8aa3b, v72 :: v_dual_mul_f32 v73, 0x3fb8aa3b, v73
	s_delay_alu instid0(VALU_DEP_3) | instskip(SKIP_1) | instid1(VALU_DEP_3)
	v_dual_mul_f32 v75, 0x3fb8aa3b, v75 :: v_dual_mul_f32 v76, 0x3fb8aa3b, v76
	v_fma_f32 v80, s19, v141, -v71
	v_exp_f32_e32 v72, v72
	s_delay_alu instid0(VALU_DEP_3) | instskip(NEXT) | instid1(VALU_DEP_2)
	v_exp_f32_e32 v73, v73
	v_exp_f32_e32 v75, v75
	;; [unrolled: 1-line block ×3, first 2 shown]
	v_mul_f32_e32 v82, 0x3fb8aa3b, v80
	s_delay_alu instid0(VALU_DEP_1) | instskip(SKIP_4) | instid1(TRANS32_DEP_3)
	v_exp_f32_e32 v84, v82
	v_cndmask_b32_e32 v79, 0, v72, vcc_lo
	v_fma_f32 v72, s19, v140, -v71
	v_mul_f32_e32 v77, 0x3fb8aa3b, v77
	v_cndmask_b32_e64 v78, 0, v73, s2
	v_cndmask_b32_e64 v81, 0, v75, s3
	s_delay_alu instid0(VALU_DEP_4) | instskip(NEXT) | instid1(VALU_DEP_4)
	v_dual_add_f32 v73, 0, v79 :: v_dual_mul_f32 v72, 0x3fb8aa3b, v72
	v_exp_f32_e32 v77, v77
	v_cndmask_b32_e64 v80, 0, v76, s4
	s_delay_alu instid0(TRANS32_DEP_2) | instskip(NEXT) | instid1(VALU_DEP_3)
	v_cndmask_b32_e64 v85, 0, v84, s7
	v_add_f32_e32 v73, v73, v78
	v_exp_f32_e32 v72, v72
	v_cmp_gt_u32_e64 s2, 16, v70
	s_delay_alu instid0(VALU_DEP_2) | instskip(NEXT) | instid1(TRANS32_DEP_2)
	v_add_f32_e32 v73, v73, v81
	v_cndmask_b32_e64 v83, 0, v77, s5
	s_delay_alu instid0(VALU_DEP_2) | instskip(SKIP_3) | instid1(VALU_DEP_1)
	v_add_f32_e32 v73, v73, v80
	s_waitcnt_depctr 0xfff
	v_cndmask_b32_e64 v82, 0, v72, s6
	v_add_f32_e32 v72, v73, v83
	v_add_f32_e32 v72, v72, v82
	s_delay_alu instid0(VALU_DEP_1)
	v_add_f32_e32 v72, v72, v85
	v_fma_f32 v76, s19, v111, -v71
	v_fma_f32 v75, s19, v142, -v71
	;; [unrolled: 1-line block ×5, first 2 shown]
	s_delay_alu instid0(VALU_DEP_4) | instskip(NEXT) | instid1(VALU_DEP_3)
	v_dual_mul_f32 v76, 0x3fb8aa3b, v76 :: v_dual_mul_f32 v75, 0x3fb8aa3b, v75
	v_mul_f32_e32 v86, 0x3fb8aa3b, v86
	s_delay_alu instid0(VALU_DEP_2) | instskip(NEXT) | instid1(VALU_DEP_2)
	v_exp_f32_e32 v76, v76
	v_exp_f32_e32 v75, v75
	s_delay_alu instid0(VALU_DEP_1) | instskip(NEXT) | instid1(TRANS32_DEP_3)
	v_exp_f32_e32 v88, v86
	v_cndmask_b32_e64 v87, 0, v76, s9
	v_fma_f32 v76, s19, v116, -v71
	v_mul_f32_e32 v77, 0x3fb8aa3b, v77
	s_waitcnt_depctr 0xfff
	v_cndmask_b32_e64 v84, 0, v75, s8
	v_fma_f32 v75, s19, v115, -v71
	v_cndmask_b32_e64 v88, 0, v88, s12
	v_mul_f32_e32 v76, 0x3fb8aa3b, v76
	v_exp_f32_e32 v77, v77
	v_add_f32_e32 v72, v72, v84
	s_delay_alu instid0(VALU_DEP_2) | instskip(NEXT) | instid1(VALU_DEP_1)
	v_exp_f32_e32 v76, v76
	v_add_f32_e32 v72, v72, v87
	s_waitcnt_depctr 0xfff
	v_cndmask_b32_e64 v86, 0, v77, s10
	v_mul_f32_e32 v73, 0x3fb8aa3b, v73
	v_fma_f32 v77, s19, v117, -v71
	v_cndmask_b32_e64 v90, 0, v76, s15
	s_delay_alu instid0(VALU_DEP_4) | instskip(NEXT) | instid1(VALU_DEP_4)
	v_add_f32_e32 v72, v72, v86
	v_exp_f32_e32 v73, v73
	s_waitcnt_depctr 0xfff
	v_cndmask_b32_e64 v89, 0, v73, s11
	s_delay_alu instid0(VALU_DEP_1) | instskip(NEXT) | instid1(VALU_DEP_1)
	v_dual_mul_f32 v75, 0x3fb8aa3b, v75 :: v_dual_add_f32 v72, v72, v89
	v_exp_f32_e32 v75, v75
	v_mul_f32_e32 v73, 0x3fb8aa3b, v77
	v_fma_f32 v77, s19, v118, -v71
	s_delay_alu instid0(VALU_DEP_3) | instskip(NEXT) | instid1(VALU_DEP_3)
	v_add_f32_e32 v72, v72, v88
	v_exp_f32_e32 v73, v73
	s_waitcnt_depctr 0xfff
	v_cndmask_b32_e64 v91, 0, v75, s13
	s_delay_alu instid0(VALU_DEP_1) | instskip(NEXT) | instid1(VALU_DEP_1)
	v_dual_mul_f32 v75, 0x3fb8aa3b, v77 :: v_dual_add_f32 v72, v72, v91
	v_exp_f32_e32 v75, v75
	v_cndmask_b32_e64 v93, 0, v73, s16
	s_delay_alu instid0(VALU_DEP_2) | instskip(NEXT) | instid1(VALU_DEP_1)
	v_add_f32_e32 v72, v72, v90
	v_add_f32_e32 v72, v72, v93
	s_waitcnt_depctr 0xfff
	v_cndmask_b32_e64 v92, 0, v75, s17
	s_delay_alu instid0(VALU_DEP_1)
	v_add_f32_e32 v72, v72, v92
	ds_bpermute_b32 v73, v74, v72
	s_and_saveexec_b32 s3, s2
	s_cbranch_execz .LBB956_12
; %bb.11:
	v_mul_u32_u24_e32 v70, 0x44, v69
	s_waitcnt lgkmcnt(0)
	v_add_f32_e32 v72, v72, v73
	s_delay_alu instid0(VALU_DEP_2) | instskip(NEXT) | instid1(VALU_DEP_1)
	v_lshl_add_u32 v70, v68, 2, v70
	v_add_nc_u32_e32 v70, 0x4000, v70
	ds_store_2addr_b32 v70, v71, v72 offset1:136
.LBB956_12:
	s_or_b32 exec_lo, exec_lo, s3
	v_lshlrev_b32_e32 v70, 2, v68
	s_load_b32 s35, s[0:1], 0x94
	s_waitcnt lgkmcnt(0)
	s_barrier
	buffer_gl0_inv
	v_add_nc_u32_e32 v98, 0x4000, v70
	v_cmp_eq_u32_e32 vcc_lo, 1, v69
	v_cmp_eq_u32_e64 s3, 2, v69
	v_cmp_eq_u32_e64 s4, 3, v69
	v_cmp_eq_u32_e64 s5, 4, v69
	ds_load_2addr_b32 v[70:71], v98 offset1:17
	ds_load_2addr_b32 v[72:73], v98 offset0:34 offset1:51
	ds_load_2addr_b32 v[74:75], v98 offset0:68 offset1:85
	;; [unrolled: 1-line block ×3, first 2 shown]
	v_cmp_eq_u32_e64 s6, 5, v69
	v_cmp_eq_u32_e64 s7, 7, v69
	s_waitcnt lgkmcnt(3)
	v_max3_f32 v76, v70, 0xff7fffff, v71
	s_waitcnt lgkmcnt(2)
	s_delay_alu instid0(VALU_DEP_1) | instskip(SKIP_1) | instid1(VALU_DEP_1)
	v_max3_f32 v76, v76, v72, v73
	s_waitcnt lgkmcnt(1)
	v_max3_f32 v76, v76, v74, v75
	s_waitcnt lgkmcnt(0)
	s_delay_alu instid0(VALU_DEP_1) | instskip(NEXT) | instid1(VALU_DEP_1)
	v_max3_f32 v76, v76, v94, v95
	v_sub_f32_e32 v77, v71, v76
	ds_load_2addr_b32 v[96:97], v98 offset0:136 offset1:153
	v_sub_f32_e32 v74, v74, v76
	v_sub_f32_e32 v70, v70, v76
	;; [unrolled: 1-line block ×3, first 2 shown]
	v_dual_sub_f32 v72, v72, v76 :: v_dual_mul_f32 v77, 0x3fb8aa3b, v77
	s_delay_alu instid0(VALU_DEP_4) | instskip(NEXT) | instid1(VALU_DEP_4)
	v_mul_f32_e32 v103, 0x3fb8aa3b, v74
	v_mul_f32_e32 v99, 0x3fb8aa3b, v70
	ds_load_2addr_b32 v[70:71], v98 offset0:170 offset1:187
	v_dual_mul_f32 v101, 0x3fb8aa3b, v72 :: v_dual_mul_f32 v94, 0x3fb8aa3b, v94
	v_exp_f32_e32 v102, v77
	v_exp_f32_e32 v99, v99
	s_delay_alu instid0(VALU_DEP_1) | instskip(NEXT) | instid1(VALU_DEP_1)
	v_exp_f32_e32 v101, v101
	v_exp_f32_e32 v94, v94
	s_waitcnt lgkmcnt(1)
	s_delay_alu instid0(TRANS32_DEP_3)
	v_fma_f32 v77, v99, v96, 0
	v_sub_f32_e32 v100, v73, v76
	ds_load_2addr_b32 v[72:73], v98 offset0:204 offset1:221
	v_fmac_f32_e32 v77, v102, v97
	v_exp_f32_e32 v97, v103
	s_waitcnt lgkmcnt(1)
	s_delay_alu instid0(VALU_DEP_1)
	v_dual_fmac_f32 v77, v101, v70 :: v_dual_sub_f32 v96, v75, v76
	ds_load_2addr_b32 v[74:75], v98 offset0:238 offset1:255
	v_sub_f32_e32 v70, v95, v76
	s_waitcnt lgkmcnt(0)
	s_barrier
	v_mul_f32_e32 v96, 0x3fb8aa3b, v96
	buffer_gl0_inv
	v_exp_f32_e32 v95, v96
	v_mul_f32_e32 v100, 0x3fb8aa3b, v100
	s_delay_alu instid0(VALU_DEP_1) | instskip(SKIP_3) | instid1(VALU_DEP_2)
	v_exp_f32_e32 v100, v100
	s_waitcnt_depctr 0xfff
	v_dual_fmac_f32 v77, v100, v71 :: v_dual_mul_f32 v70, 0x3fb8aa3b, v70
	v_cndmask_b32_e32 v71, v99, v102, vcc_lo
	v_fmac_f32_e32 v77, v97, v72
	s_delay_alu instid0(VALU_DEP_3) | instskip(NEXT) | instid1(VALU_DEP_1)
	v_exp_f32_e32 v96, v70
	v_fmac_f32_e32 v77, v95, v73
	s_delay_alu instid0(VALU_DEP_1) | instskip(SKIP_2) | instid1(VALU_DEP_1)
	v_fmac_f32_e32 v77, v94, v74
	s_waitcnt_depctr 0xfff
	v_fmac_f32_e32 v77, v96, v75
	v_add_f32_e32 v74, 0x358637bd, v77
	s_delay_alu instid0(VALU_DEP_1) | instskip(SKIP_1) | instid1(VALU_DEP_2)
	v_div_scale_f32 v98, null, v74, v74, 1.0
	v_div_scale_f32 v99, vcc_lo, 1.0, v74, 1.0
	v_rcp_f32_e32 v103, v98
	s_waitcnt_depctr 0xfff
	v_fma_f32 v70, -v98, v103, 1.0
	s_delay_alu instid0(VALU_DEP_1) | instskip(SKIP_2) | instid1(VALU_DEP_2)
	v_fmac_f32_e32 v103, v70, v103
	v_cndmask_b32_e64 v70, v71, v101, s3
	v_cmp_eq_u32_e64 s3, 6, v69
	v_cndmask_b32_e64 v71, v70, v100, s4
	s_delay_alu instid0(VALU_DEP_4) | instskip(NEXT) | instid1(VALU_DEP_2)
	v_dual_mul_f32 v101, v99, v103 :: v_dual_lshlrev_b32 v70, 2, v66
	v_cndmask_b32_e64 v71, v71, v97, s5
	s_delay_alu instid0(VALU_DEP_2) | instskip(NEXT) | instid1(VALU_DEP_3)
	v_or_b32_e32 v72, 1, v70
	v_fma_f32 v100, -v98, v101, v99
	v_cmp_eq_u32_e64 s4, 1, v70
	v_cmp_eq_u32_e64 s5, 2, v70
	v_cndmask_b32_e64 v95, v71, v95, s6
	v_or_b32_e32 v71, 3, v70
	v_fmac_f32_e32 v101, v100, v103
	v_cmp_eq_u32_e64 s9, 1, v72
	v_cmp_eq_u32_e64 s12, 2, v72
	v_cndmask_b32_e64 v94, v95, v94, s3
	v_cmp_eq_u32_e64 s11, 1, v71
	v_fma_f32 v97, -v98, v101, v99
	v_cmp_eq_u32_e64 s16, 2, v71
	v_cmp_eq_u32_e64 s13, 3, v72
	v_cndmask_b32_e64 v94, v94, v96, s7
	v_cmp_eq_u32_e64 s18, 3, v71
	v_div_fmas_f32 v95, v97, v103, v101
	v_cmp_eq_u32_e32 vcc_lo, 3, v70
	v_cmp_eq_u32_e64 s3, 4, v70
	v_cmp_eq_u32_e64 s19, 4, v72
	;; [unrolled: 1-line block ×3, first 2 shown]
	v_div_fixup_f32 v95, v95, v74, 1.0
	v_lshlrev_b32_e32 v73, 6, v68
	v_cmp_eq_u32_e64 s6, 5, v70
	v_cmp_eq_u32_e64 s20, 5, v72
	;; [unrolled: 1-line block ×3, first 2 shown]
	v_mul_f32_e32 v102, v94, v95
	v_lshl_or_b32 v75, v69, 11, v73
	v_or_b32_e32 v69, 2, v70
	v_cmp_eq_u32_e64 s25, 6, v72
	v_cmp_eq_u32_e64 s27, 6, v71
	v_fma_mixlo_f16 v94, v102, v79, 0
	v_fma_mixlo_f16 v95, v102, v81, 0
	;; [unrolled: 1-line block ×8, first 2 shown]
	v_lshl_or_b32 v74, v66, 4, v75
	v_fma_mixhi_f16 v94, v102, v78, 0
	v_fma_mixhi_f16 v95, v102, v80, 0
	;; [unrolled: 1-line block ×8, first 2 shown]
	ds_store_b128 v74, v[94:97]
	ds_store_b128 v74, v[98:101] offset:1024
	s_waitcnt lgkmcnt(0)
	s_barrier
	buffer_gl0_inv
	ds_load_b128 v[78:81], v75
	ds_load_b128 v[82:85], v75 offset:16
	ds_load_b128 v[86:89], v75 offset:1024
	;; [unrolled: 1-line block ×3, first 2 shown]
	v_cmp_eq_u32_e64 s10, 1, v69
	v_cmp_eq_u32_e64 s15, 2, v69
	;; [unrolled: 1-line block ×11, first 2 shown]
	s_waitcnt lgkmcnt(3)
	v_lshrrev_b32_e32 v94, 16, v78
	s_waitcnt lgkmcnt(2)
	v_lshrrev_b32_e32 v98, 16, v82
	;; [unrolled: 2-line block ×4, first 2 shown]
	v_lshrrev_b32_e32 v95, 16, v79
	v_cndmask_b32_e64 v110, v78, v94, s4
	v_cndmask_b32_e64 v111, v82, v98, s4
	;; [unrolled: 1-line block ×8, first 2 shown]
	v_lshrrev_b32_e32 v99, 16, v83
	v_cndmask_b32_e64 v94, v86, v102, s4
	v_cndmask_b32_e64 v98, v90, v106, s4
	;; [unrolled: 1-line block ×15, first 2 shown]
	v_lshrrev_b32_e32 v103, 16, v87
	v_lshrrev_b32_e32 v107, 16, v91
	v_cndmask_b32_e64 v113, v115, v83, s15
	v_cndmask_b32_e64 v82, v94, v87, s5
	;; [unrolled: 1-line block ×7, first 2 shown]
	v_cndmask_b32_e32 v90, v102, v95, vcc_lo
	v_cndmask_b32_e32 v102, v106, v99, vcc_lo
	v_cndmask_b32_e64 v106, v110, v95, s13
	v_cndmask_b32_e64 v110, v111, v99, s13
	;; [unrolled: 1-line block ×4, first 2 shown]
	v_lshrrev_b32_e32 v96, 16, v80
	v_lshrrev_b32_e32 v100, 16, v84
	v_cndmask_b32_e64 v111, v112, v95, s17
	v_cndmask_b32_e64 v112, v113, v99, s17
	v_cndmask_b32_e32 v82, v82, v103, vcc_lo
	v_cndmask_b32_e32 v83, v83, v107, vcc_lo
	v_cndmask_b32_e64 v94, v94, v103, s13
	v_cndmask_b32_e64 v90, v90, v80, s3
	v_cndmask_b32_e64 v95, v102, v84, s3
	v_cndmask_b32_e64 v99, v106, v80, s19
	v_cndmask_b32_e64 v102, v110, v84, s19
	v_cndmask_b32_e64 v78, v78, v80, s22
	v_cndmask_b32_e64 v79, v79, v84, s22
	v_lshrrev_b32_e32 v104, 16, v88
	v_cndmask_b32_e64 v106, v111, v80, s21
	v_cndmask_b32_e64 v110, v112, v84, s21
	;; [unrolled: 1-line block ×11, first 2 shown]
	v_lshrrev_b32_e32 v97, 16, v81
	v_lshrrev_b32_e32 v101, 16, v85
	v_cndmask_b32_e64 v99, v106, v96, s23
	v_cndmask_b32_e64 v102, v110, v100, s23
	;; [unrolled: 1-line block ×7, first 2 shown]
	v_lshrrev_b32_e32 v105, 16, v89
	v_cndmask_b32_e64 v80, v80, v104, s6
	v_cndmask_b32_e64 v84, v84, v81, s7
	;; [unrolled: 1-line block ×16, first 2 shown]
	v_perm_b32 v81, v79, v78, 0x5040100
	v_perm_b32 v79, v95, v85, 0x5040100
	v_cndmask_b32_e64 v78, v119, v91, s15
	v_cndmask_b32_e64 v85, v117, v91, s12
	;; [unrolled: 1-line block ×3, first 2 shown]
	v_perm_b32 v80, v94, v90, 0x5040100
	v_cndmask_b32_e64 v90, v98, v103, s17
	v_cndmask_b32_e64 v86, v86, v103, s18
	;; [unrolled: 1-line block ×5, first 2 shown]
	v_lshrrev_b32_e32 v108, 16, v92
	v_cndmask_b32_e64 v90, v90, v88, s21
	v_cndmask_b32_e64 v86, v86, v88, s22
	;; [unrolled: 1-line block ×11, first 2 shown]
	v_lshrrev_b32_e32 v109, 16, v93
	v_cndmask_b32_e64 v82, v82, v93, s7
	v_cndmask_b32_e64 v88, v88, v89, s26
	;; [unrolled: 1-line block ×12, first 2 shown]
	v_perm_b32 v78, v84, v83, 0x5040100
	v_perm_b32 v85, v87, v86, 0x5040100
	;; [unrolled: 1-line block ×5, first 2 shown]
	s_mul_i32 s8, s33, 7
	s_mov_b32 s3, exec_lo
	ds_store_b128 v74, v[78:81]
	ds_store_b128 v74, v[82:85] offset:1024
	v_cmpx_gt_u32_e32 7, v0
	s_cbranch_execz .LBB956_14
; %bb.13:
	s_mul_i32 s4, s8, s34
	s_delay_alu instid0(SALU_CYCLE_1) | instskip(SKIP_1) | instid1(VALU_DEP_1)
	v_add3_u32 v68, s4, s31, v68
	s_load_b128 s[4:7], s[0:1], 0x58
	v_mad_u64_u32 v[78:79], null, v68, s35, s[14:15]
	s_delay_alu instid0(VALU_DEP_1) | instskip(NEXT) | instid1(VALU_DEP_1)
	v_ashrrev_i32_e32 v79, 31, v78
	v_lshlrev_b64 v[78:79], 2, v[78:79]
	s_waitcnt lgkmcnt(0)
	s_delay_alu instid0(VALU_DEP_1) | instskip(NEXT) | instid1(VALU_DEP_2)
	v_add_co_u32 v80, vcc_lo, s6, v78
	v_add_co_ci_u32_e32 v81, vcc_lo, s7, v79, vcc_lo
	v_add_co_u32 v78, vcc_lo, s4, v78
	v_add_co_ci_u32_e32 v79, vcc_lo, s5, v79, vcc_lo
	global_store_b32 v[80:81], v76, off
	global_store_b32 v[78:79], v77, off
.LBB956_14:
	s_or_b32 exec_lo, exec_lo, s3
	s_waitcnt lgkmcnt(0)
	s_waitcnt_vscnt null, 0x0
	s_barrier
	buffer_gl0_inv
	ds_load_b128 v[84:87], v73
	ds_load_b128 v[88:91], v73 offset:16
	ds_load_b128 v[96:99], v73 offset:2064
	;; [unrolled: 1-line block ×5, first 2 shown]
	v_cmp_eq_u32_e32 vcc_lo, 1, v70
	v_mov_b32_e32 v76, 0
	ds_load_b128 v[112:115], v73 offset:6160
	ds_load_b128 v[108:111], v73 offset:6144
	;; [unrolled: 1-line block ×4, first 2 shown]
	v_cmp_eq_u32_e64 s4, 1, v69
	v_cmp_eq_u32_e64 s3, 1, v72
	;; [unrolled: 1-line block ×3, first 2 shown]
	v_mov_b32_e32 v77, v76
	v_mov_b32_e32 v78, v76
	;; [unrolled: 1-line block ×7, first 2 shown]
	v_cmp_eq_u32_e64 s6, 3, v72
	v_cmp_eq_u32_e64 s7, 7, v72
	s_waitcnt lgkmcnt(8)
	s_delay_alu instid0(VALU_DEP_3)
	v_wmma_f32_16x16x16_f16 v[76:83], v[49:56], v[84:91], v[76:83]
	ds_load_b128 v[53:56], v73 offset:10256
	ds_load_b128 v[49:52], v73 offset:10240
	s_waitcnt lgkmcnt(8)
	v_wmma_f32_16x16x16_f16 v[76:83], v[41:48], v[92:99], v[76:83]
	ds_load_b128 v[45:48], v73 offset:12304
	ds_load_b128 v[41:44], v73 offset:12288
	s_waitcnt lgkmcnt(8)
	;; [unrolled: 4-line block ×3, first 2 shown]
	s_barrier
	buffer_gl0_inv
	v_wmma_f32_16x16x16_f16 v[76:83], v[1:8], v[108:115], v[76:83]
	s_delay_alu instid0(VALU_DEP_1) | instskip(NEXT) | instid1(VALU_DEP_1)
	v_wmma_f32_16x16x16_f16 v[76:83], v[9:16], v[116:123], v[76:83]
	v_wmma_f32_16x16x16_f16 v[76:83], v[17:24], v[49:56], v[76:83]
	s_delay_alu instid0(VALU_DEP_1) | instskip(NEXT) | instid1(VALU_DEP_1)
	v_wmma_f32_16x16x16_f16 v[76:83], v[25:32], v[41:48], v[76:83]
	v_wmma_f32_16x16x16_f16 v[76:83], v[57:64], v[33:40], v[76:83]
	s_delay_alu instid0(VALU_DEP_1) | instskip(NEXT) | instid1(VALU_DEP_2)
	v_cvt_f16_f32_e32 v1, v76
	v_cvt_f16_f32_e32 v2, v77
	s_delay_alu instid0(VALU_DEP_3) | instskip(NEXT) | instid1(VALU_DEP_4)
	v_cvt_f16_f32_e32 v3, v78
	v_cvt_f16_f32_e32 v4, v79
	;; [unrolled: 1-line block ×6, first 2 shown]
	v_pack_b32_f16 v1, v1, v2
	v_pack_b32_f16 v2, v3, v4
	;; [unrolled: 1-line block ×3, first 2 shown]
	s_delay_alu instid0(VALU_DEP_4)
	v_pack_b32_f16 v4, v7, v8
	ds_store_b128 v74, v[1:4]
	s_waitcnt lgkmcnt(0)
	s_barrier
	buffer_gl0_inv
	ds_load_b128 v[1:4], v75
	ds_load_b128 v[5:8], v75 offset:16
	s_waitcnt lgkmcnt(1)
	v_lshrrev_b32_e32 v9, 16, v1
	s_waitcnt lgkmcnt(0)
	v_lshrrev_b32_e32 v13, 16, v5
	v_lshrrev_b32_e32 v10, 16, v2
	;; [unrolled: 1-line block ×4, first 2 shown]
	v_cndmask_b32_e32 v17, v1, v9, vcc_lo
	v_cndmask_b32_e32 v18, v5, v13, vcc_lo
	v_cndmask_b32_e64 v21, v1, v9, s4
	v_cmp_eq_u32_e32 vcc_lo, 1, v71
	v_cndmask_b32_e64 v22, v5, v13, s4
	v_cmp_eq_u32_e64 s4, 2, v70
	v_cndmask_b32_e64 v19, v1, v9, s3
	v_cndmask_b32_e64 v20, v5, v13, s3
	v_cndmask_b32_e32 v1, v1, v9, vcc_lo
	v_cmp_eq_u32_e64 s3, 2, v71
	v_cndmask_b32_e32 v5, v5, v13, vcc_lo
	v_cndmask_b32_e64 v9, v17, v2, s4
	v_cmp_eq_u32_e32 vcc_lo, 3, v70
	v_cndmask_b32_e64 v13, v18, v6, s4
	v_cmp_eq_u32_e64 s4, 2, v69
	v_cndmask_b32_e64 v17, v19, v2, s5
	v_cndmask_b32_e64 v18, v20, v6, s5
	v_cmp_eq_u32_e64 s5, 3, v69
	v_cndmask_b32_e64 v1, v1, v2, s3
	v_cndmask_b32_e64 v19, v21, v2, s4
	;; [unrolled: 1-line block ×4, first 2 shown]
	v_cndmask_b32_e32 v5, v9, v10, vcc_lo
	v_cndmask_b32_e32 v6, v13, v14, vcc_lo
	v_cmp_eq_u32_e32 vcc_lo, 3, v71
	v_cndmask_b32_e64 v9, v17, v10, s6
	v_cndmask_b32_e64 v13, v18, v14, s6
	v_cndmask_b32_e64 v18, v20, v14, s5
	v_cmp_eq_u32_e64 s4, 4, v70
	v_cndmask_b32_e32 v1, v1, v10, vcc_lo
	v_cndmask_b32_e32 v2, v2, v14, vcc_lo
	v_cmp_eq_u32_e32 vcc_lo, 4, v72
	v_lshrrev_b32_e32 v15, 16, v7
	v_lshrrev_b32_e32 v16, 16, v8
	v_cndmask_b32_e64 v17, v19, v10, s5
	v_cmp_eq_u32_e64 s3, 4, v71
	v_cndmask_b32_e64 v5, v5, v3, s4
	v_cndmask_b32_e64 v6, v6, v7, s4
	v_cndmask_b32_e32 v9, v9, v3, vcc_lo
	v_cmp_eq_u32_e64 s4, 5, v72
	v_cndmask_b32_e32 v10, v13, v7, vcc_lo
	v_cmp_eq_u32_e32 vcc_lo, 4, v69
	v_cmp_eq_u32_e64 s5, 5, v70
	v_cndmask_b32_e64 v2, v2, v7, s3
	v_cndmask_b32_e64 v9, v9, v11, s4
	;; [unrolled: 1-line block ×3, first 2 shown]
	v_cndmask_b32_e32 v13, v17, v3, vcc_lo
	v_cmp_eq_u32_e64 s4, 5, v69
	v_cndmask_b32_e32 v14, v18, v7, vcc_lo
	v_cndmask_b32_e64 v1, v1, v3, s3
	v_cmp_eq_u32_e32 vcc_lo, 5, v71
	v_lshrrev_b32_e32 v12, 16, v4
	v_cndmask_b32_e64 v13, v13, v11, s4
	v_cndmask_b32_e64 v3, v14, v15, s4
	v_cmp_eq_u32_e64 s4, 6, v71
	v_cndmask_b32_e32 v1, v1, v11, vcc_lo
	v_cndmask_b32_e64 v5, v5, v11, s5
	v_cmp_eq_u32_e64 s6, 6, v70
	v_cndmask_b32_e64 v6, v6, v15, s5
	v_cmp_eq_u32_e64 s5, 6, v72
	v_cmp_eq_u32_e64 s3, 6, v69
	v_cndmask_b32_e64 v1, v1, v4, s4
	v_cndmask_b32_e32 v2, v2, v15, vcc_lo
	v_cmp_eq_u32_e32 vcc_lo, 7, v71
	v_cndmask_b32_e64 v5, v5, v4, s6
	v_cndmask_b32_e64 v9, v9, v4, s5
	;; [unrolled: 1-line block ×3, first 2 shown]
	v_cmp_eq_u32_e64 s6, 7, v70
	v_cndmask_b32_e32 v1, v1, v12, vcc_lo
	v_cndmask_b32_e64 v7, v13, v4, s3
	v_cndmask_b32_e64 v3, v3, v8, s3
	;; [unrolled: 1-line block ×3, first 2 shown]
	v_cmp_eq_u32_e64 s3, 7, v69
	v_cndmask_b32_e64 v4, v10, v8, s5
	v_cndmask_b32_e64 v5, v5, v12, s6
	;; [unrolled: 1-line block ×3, first 2 shown]
	v_cndmask_b32_e32 v2, v2, v16, vcc_lo
	v_cndmask_b32_e64 v7, v7, v12, s3
	v_cndmask_b32_e64 v3, v3, v16, s3
	;; [unrolled: 1-line block ×4, first 2 shown]
	v_perm_b32 v4, v2, v1, 0x5040100
	s_mov_b32 s3, exec_lo
	v_perm_b32 v3, v3, v7, 0x5040100
	v_perm_b32 v2, v8, v9, 0x5040100
	;; [unrolled: 1-line block ×3, first 2 shown]
	ds_store_b128 v74, v[1:4]
	s_waitcnt lgkmcnt(0)
	s_barrier
	buffer_gl0_inv
	v_cmpx_gt_u32_e32 32, v0
	s_cbranch_execz .LBB956_2
; %bb.15:
	s_load_b64 s[4:5], s[0:1], 0x68
	v_lshlrev_b32_e32 v0, 10, v0
	v_add_nc_u32_e32 v2, s31, v66
	v_lshlrev_b32_e32 v3, 4, v67
	s_lshl_b32 s0, s35, 7
	s_delay_alu instid0(SALU_CYCLE_1) | instskip(NEXT) | instid1(VALU_DEP_2)
	s_mul_i32 s1, s0, s34
	v_mul_lo_u32 v1, v2, s0
	s_delay_alu instid0(VALU_DEP_2)
	v_and_or_b32 v0, 0x3800, v0, v3
	v_add_nc_u32_e32 v3, 2, v2
	s_mul_i32 s6, s1, s8
	v_add_nc_u32_e32 v4, 4, v2
	s_ashr_i32 s7, s6, 31
	v_lshl_or_b32 v11, v66, 6, v0
	s_lshl_b64 s[6:7], s[6:7], 1
	v_mul_lo_u32 v15, v3, s0
	v_mul_lo_u32 v17, v4, s0
	v_ashrrev_i32_e32 v2, 31, v1
	ds_load_b128 v[3:6], v11
	ds_load_b128 v[7:10], v11 offset:128
	ds_load_b128 v[11:14], v11 offset:256
	s_waitcnt lgkmcnt(0)
	s_add_u32 s1, s4, s6
	s_addc_u32 s3, s5, s7
	s_lshl_b32 s4, s14, 7
	v_ashrrev_i32_e32 v16, 31, v15
	s_ashr_i32 s5, s4, 31
	v_lshlrev_b64 v[19:20], 1, v[1:2]
	s_lshl_b64 s[4:5], s[4:5], 1
	v_ashrrev_i32_e32 v18, 31, v17
	s_add_u32 s1, s1, s4
	s_addc_u32 s3, s3, s5
	v_add_co_u32 v1, s1, s1, v65
	s_delay_alu instid0(VALU_DEP_1) | instskip(SKIP_1) | instid1(VALU_DEP_3)
	v_add_co_ci_u32_e64 v2, null, s3, 0, s1
	v_lshlrev_b64 v[15:16], 1, v[15:16]
	v_add_co_u32 v19, vcc_lo, v1, v19
	v_lshlrev_b64 v[17:18], 1, v[17:18]
	s_delay_alu instid0(VALU_DEP_4) | instskip(NEXT) | instid1(VALU_DEP_4)
	v_add_co_ci_u32_e32 v20, vcc_lo, v2, v20, vcc_lo
	v_add_co_u32 v15, vcc_lo, v1, v15
	v_add_co_ci_u32_e32 v16, vcc_lo, v2, v16, vcc_lo
	s_delay_alu instid0(VALU_DEP_4)
	v_add_co_u32 v17, vcc_lo, v1, v17
	v_add_co_ci_u32_e32 v18, vcc_lo, v2, v18, vcc_lo
	s_clause 0x2
	global_store_b128 v[19:20], v[3:6], off
	global_store_b128 v[15:16], v[7:10], off
	;; [unrolled: 1-line block ×3, first 2 shown]
	s_and_b32 exec_lo, exec_lo, s2
	s_cbranch_execz .LBB956_2
; %bb.16:
	ds_load_b128 v[3:6], v0 offset:384
	s_add_i32 s1, s31, 6
	s_delay_alu instid0(SALU_CYCLE_1) | instskip(NEXT) | instid1(SALU_CYCLE_1)
	s_mul_i32 s0, s1, s0
	s_ashr_i32 s1, s0, 31
	s_delay_alu instid0(SALU_CYCLE_1) | instskip(NEXT) | instid1(SALU_CYCLE_1)
	s_lshl_b64 s[0:1], s[0:1], 1
	v_add_co_u32 v0, vcc_lo, v1, s0
	v_add_co_ci_u32_e32 v1, vcc_lo, s1, v2, vcc_lo
	s_waitcnt lgkmcnt(0)
	global_store_b128 v[0:1], v[3:6], off
	s_nop 0
	s_sendmsg sendmsg(MSG_DEALLOC_VGPRS)
	s_endpgm
	.section	.rodata,"a",@progbits
	.p2align	6, 0x0
	.amdhsa_kernel _Z39paged_attention_ll4mi_QKV_mfma16_kernelIDF16_hLN4vllm18Fp8KVCacheDataTypeE1EhLi16ELi128ELi256ELb0ELi7EL8MFMAType1EEvPKT_PKT0_S8_ifPKiSA_SA_iPKfiiiPfSD_PS3_PT2_iSC_SC_
		.amdhsa_group_segment_fixed_size 17472
		.amdhsa_private_segment_fixed_size 0
		.amdhsa_kernarg_size 400
		.amdhsa_user_sgpr_count 13
		.amdhsa_user_sgpr_dispatch_ptr 0
		.amdhsa_user_sgpr_queue_ptr 0
		.amdhsa_user_sgpr_kernarg_segment_ptr 1
		.amdhsa_user_sgpr_dispatch_id 0
		.amdhsa_user_sgpr_private_segment_size 0
		.amdhsa_wavefront_size32 1
		.amdhsa_uses_dynamic_stack 0
		.amdhsa_enable_private_segment 0
		.amdhsa_system_sgpr_workgroup_id_x 1
		.amdhsa_system_sgpr_workgroup_id_y 1
		.amdhsa_system_sgpr_workgroup_id_z 1
		.amdhsa_system_sgpr_workgroup_info 0
		.amdhsa_system_vgpr_workitem_id 0
		.amdhsa_next_free_vgpr 150
		.amdhsa_next_free_sgpr 36
		.amdhsa_reserve_vcc 1
		.amdhsa_float_round_mode_32 0
		.amdhsa_float_round_mode_16_64 0
		.amdhsa_float_denorm_mode_32 3
		.amdhsa_float_denorm_mode_16_64 3
		.amdhsa_dx10_clamp 1
		.amdhsa_ieee_mode 1
		.amdhsa_fp16_overflow 0
		.amdhsa_workgroup_processor_mode 1
		.amdhsa_memory_ordered 1
		.amdhsa_forward_progress 0
		.amdhsa_shared_vgpr_count 0
		.amdhsa_exception_fp_ieee_invalid_op 0
		.amdhsa_exception_fp_denorm_src 0
		.amdhsa_exception_fp_ieee_div_zero 0
		.amdhsa_exception_fp_ieee_overflow 0
		.amdhsa_exception_fp_ieee_underflow 0
		.amdhsa_exception_fp_ieee_inexact 0
		.amdhsa_exception_int_div_zero 0
	.end_amdhsa_kernel
	.section	.text._Z39paged_attention_ll4mi_QKV_mfma16_kernelIDF16_hLN4vllm18Fp8KVCacheDataTypeE1EhLi16ELi128ELi256ELb0ELi7EL8MFMAType1EEvPKT_PKT0_S8_ifPKiSA_SA_iPKfiiiPfSD_PS3_PT2_iSC_SC_,"axG",@progbits,_Z39paged_attention_ll4mi_QKV_mfma16_kernelIDF16_hLN4vllm18Fp8KVCacheDataTypeE1EhLi16ELi128ELi256ELb0ELi7EL8MFMAType1EEvPKT_PKT0_S8_ifPKiSA_SA_iPKfiiiPfSD_PS3_PT2_iSC_SC_,comdat
.Lfunc_end956:
	.size	_Z39paged_attention_ll4mi_QKV_mfma16_kernelIDF16_hLN4vllm18Fp8KVCacheDataTypeE1EhLi16ELi128ELi256ELb0ELi7EL8MFMAType1EEvPKT_PKT0_S8_ifPKiSA_SA_iPKfiiiPfSD_PS3_PT2_iSC_SC_, .Lfunc_end956-_Z39paged_attention_ll4mi_QKV_mfma16_kernelIDF16_hLN4vllm18Fp8KVCacheDataTypeE1EhLi16ELi128ELi256ELb0ELi7EL8MFMAType1EEvPKT_PKT0_S8_ifPKiSA_SA_iPKfiiiPfSD_PS3_PT2_iSC_SC_
                                        ; -- End function
	.section	.AMDGPU.csdata,"",@progbits
; Kernel info:
; codeLenInByte = 6692
; NumSgprs: 38
; NumVgprs: 150
; ScratchSize: 0
; MemoryBound: 0
; FloatMode: 240
; IeeeMode: 1
; LDSByteSize: 17472 bytes/workgroup (compile time only)
; SGPRBlocks: 4
; VGPRBlocks: 18
; NumSGPRsForWavesPerEU: 38
; NumVGPRsForWavesPerEU: 150
; Occupancy: 9
; WaveLimiterHint : 1
; COMPUTE_PGM_RSRC2:SCRATCH_EN: 0
; COMPUTE_PGM_RSRC2:USER_SGPR: 13
; COMPUTE_PGM_RSRC2:TRAP_HANDLER: 0
; COMPUTE_PGM_RSRC2:TGID_X_EN: 1
; COMPUTE_PGM_RSRC2:TGID_Y_EN: 1
; COMPUTE_PGM_RSRC2:TGID_Z_EN: 1
; COMPUTE_PGM_RSRC2:TIDIG_COMP_CNT: 0
	.section	.text._Z39paged_attention_ll4mi_QKV_mfma16_kernelIDF16_hLN4vllm18Fp8KVCacheDataTypeE1EhLi16ELi128ELi256ELb0ELi8EL8MFMAType1EEvPKT_PKT0_S8_ifPKiSA_SA_iPKfiiiPfSD_PS3_PT2_iSC_SC_,"axG",@progbits,_Z39paged_attention_ll4mi_QKV_mfma16_kernelIDF16_hLN4vllm18Fp8KVCacheDataTypeE1EhLi16ELi128ELi256ELb0ELi8EL8MFMAType1EEvPKT_PKT0_S8_ifPKiSA_SA_iPKfiiiPfSD_PS3_PT2_iSC_SC_,comdat
	.protected	_Z39paged_attention_ll4mi_QKV_mfma16_kernelIDF16_hLN4vllm18Fp8KVCacheDataTypeE1EhLi16ELi128ELi256ELb0ELi8EL8MFMAType1EEvPKT_PKT0_S8_ifPKiSA_SA_iPKfiiiPfSD_PS3_PT2_iSC_SC_ ; -- Begin function _Z39paged_attention_ll4mi_QKV_mfma16_kernelIDF16_hLN4vllm18Fp8KVCacheDataTypeE1EhLi16ELi128ELi256ELb0ELi8EL8MFMAType1EEvPKT_PKT0_S8_ifPKiSA_SA_iPKfiiiPfSD_PS3_PT2_iSC_SC_
	.globl	_Z39paged_attention_ll4mi_QKV_mfma16_kernelIDF16_hLN4vllm18Fp8KVCacheDataTypeE1EhLi16ELi128ELi256ELb0ELi8EL8MFMAType1EEvPKT_PKT0_S8_ifPKiSA_SA_iPKfiiiPfSD_PS3_PT2_iSC_SC_
	.p2align	8
	.type	_Z39paged_attention_ll4mi_QKV_mfma16_kernelIDF16_hLN4vllm18Fp8KVCacheDataTypeE1EhLi16ELi128ELi256ELb0ELi8EL8MFMAType1EEvPKT_PKT0_S8_ifPKiSA_SA_iPKfiiiPfSD_PS3_PT2_iSC_SC_,@function
_Z39paged_attention_ll4mi_QKV_mfma16_kernelIDF16_hLN4vllm18Fp8KVCacheDataTypeE1EhLi16ELi128ELi256ELb0ELi8EL8MFMAType1EEvPKT_PKT0_S8_ifPKiSA_SA_iPKfiiiPfSD_PS3_PT2_iSC_SC_: ; @_Z39paged_attention_ll4mi_QKV_mfma16_kernelIDF16_hLN4vllm18Fp8KVCacheDataTypeE1EhLi16ELi128ELi256ELb0ELi8EL8MFMAType1EEvPKT_PKT0_S8_ifPKiSA_SA_iPKfiiiPfSD_PS3_PT2_iSC_SC_
; %bb.0:
	s_load_b64 s[4:5], s[0:1], 0x30
	s_mov_b32 s30, s13
	s_waitcnt lgkmcnt(0)
	s_cmp_lg_u64 s[4:5], 0
	s_cselect_b32 s13, -1, 0
	s_ashr_i32 s31, s30, 31
	s_cmp_eq_u64 s[4:5], 0
	s_cbranch_scc1 .LBB957_3
; %bb.1:
	s_lshl_b64 s[2:3], s[30:31], 2
	s_delay_alu instid0(SALU_CYCLE_1) | instskip(SKIP_4) | instid1(SALU_CYCLE_1)
	s_add_u32 s2, s4, s2
	s_addc_u32 s3, s5, s3
	s_load_b64 s[2:3], s[2:3], 0x0
	s_waitcnt lgkmcnt(0)
	s_sub_i32 s2, s3, s2
	s_cmp_eq_u32 s2, 1
	s_cselect_b32 s2, -1, 0
	s_delay_alu instid0(SALU_CYCLE_1)
	s_and_not1_b32 vcc_lo, exec_lo, s2
	s_cbranch_vccz .LBB957_4
.LBB957_2:
	s_endpgm
.LBB957_3:
.LBB957_4:
	s_load_b64 s[2:3], s[0:1], 0x28
	s_lshl_b64 s[6:7], s[30:31], 2
	s_waitcnt lgkmcnt(0)
	s_add_u32 s2, s2, s6
	s_addc_u32 s3, s3, s7
	s_lshl_b32 s12, s14, 8
	s_load_b32 s17, s[2:3], 0x0
	s_waitcnt lgkmcnt(0)
	s_cmp_ge_i32 s12, s17
	s_cbranch_scc1 .LBB957_2
; %bb.5:
	s_clause 0x1
	s_load_b128 s[8:11], s[0:1], 0x8
	s_load_b64 s[2:3], s[0:1], 0x20
	s_and_not1_b32 vcc_lo, exec_lo, s13
	s_cbranch_vccnz .LBB957_7
; %bb.6:
	s_add_u32 s4, s4, s6
	s_addc_u32 s5, s5, s7
	s_load_b32 s13, s[4:5], 0x0
	s_branch .LBB957_8
.LBB957_7:
	s_mov_b32 s13, s30
.LBB957_8:
	s_load_b128 s[4:7], s[0:1], 0x48
	v_and_b32_e32 v69, 15, v0
	v_lshrrev_b32_e32 v68, 5, v0
	v_and_b32_e32 v70, 31, v0
	v_and_b32_e32 v67, 1, v0
	v_bfe_u32 v66, v0, 4, 1
	v_lshlrev_b32_e32 v1, 3, v69
	s_lshl_b32 s31, s15, 3
	s_waitcnt lgkmcnt(0)
	s_mov_b32 s7, exec_lo
	s_delay_alu instid0(VALU_DEP_1)
	v_lshlrev_b32_e32 v65, 1, v1
	v_cmpx_gt_u32_e32 0x80, v0
	s_cbranch_execz .LBB957_10
; %bb.9:
	v_lshl_or_b32 v5, v68, 1, v66
	s_load_b64 s[18:19], s[0:1], 0x0
	s_mul_hi_i32 s21, s13, s4
	s_mul_i32 s20, s13, s4
	v_lshlrev_b32_e32 v6, 10, v69
	v_or_b32_e32 v1, s31, v5
	s_lshl_b64 s[20:21], s[20:21], 1
	v_lshlrev_b32_e32 v5, 6, v5
	v_lshlrev_b32_e32 v7, 10, v67
	v_and_b32_e32 v6, 0x3800, v6
	v_lshlrev_b32_e32 v1, 7, v1
	s_delay_alu instid0(VALU_DEP_2) | instskip(NEXT) | instid1(VALU_DEP_2)
	v_or3_b32 v5, v6, v7, v5
	v_ashrrev_i32_e32 v2, 31, v1
	s_delay_alu instid0(VALU_DEP_1) | instskip(SKIP_3) | instid1(VALU_DEP_1)
	v_lshlrev_b64 v[1:2], 1, v[1:2]
	s_waitcnt lgkmcnt(0)
	s_add_u32 s4, s18, s20
	s_addc_u32 s13, s19, s21
	v_add_co_u32 v1, vcc_lo, s4, v1
	s_delay_alu instid0(VALU_DEP_2) | instskip(NEXT) | instid1(VALU_DEP_2)
	v_add_co_ci_u32_e32 v2, vcc_lo, s13, v2, vcc_lo
	v_add_co_u32 v1, vcc_lo, v1, v65
	s_delay_alu instid0(VALU_DEP_2)
	v_add_co_ci_u32_e32 v2, vcc_lo, 0, v2, vcc_lo
	global_load_b128 v[1:4], v[1:2], off
	s_waitcnt vmcnt(0)
	ds_store_b128 v5, v[1:4]
.LBB957_10:
	s_or_b32 exec_lo, exec_lo, s7
	v_and_b32_e32 v1, 0xef, v0
	s_add_i32 s4, s17, 15
	s_clause 0x1
	s_load_b32 s7, s[0:1], 0x38
	s_load_b32 s33, s[0:1], 0x98
	s_ashr_i32 s13, s4, 31
	v_add_nc_u32_e32 v1, s12, v1
	s_lshr_b32 s13, s13, 28
	s_load_b32 s18, s[0:1], 0x1c
	s_add_i32 s4, s4, s13
	s_waitcnt lgkmcnt(0)
	v_ashrrev_i32_e32 v2, 31, v1
	v_or_b32_e32 v3, 16, v1
	s_ashr_i32 s4, s4, 4
	v_cmp_gt_i32_e32 vcc_lo, s17, v1
	s_add_i32 s4, s4, -1
	v_lshrrev_b32_e32 v2, 28, v2
	s_barrier
	buffer_gl0_inv
	s_mul_i32 s15, s15, s6
	v_add_nc_u32_e32 v4, v1, v2
	s_mul_i32 s20, s30, s7
	s_delay_alu instid0(SALU_CYCLE_1) | instskip(NEXT) | instid1(VALU_DEP_1)
	s_ashr_i32 s21, s20, 31
	v_ashrrev_i32_e32 v4, 4, v4
	v_add_nc_u32_e32 v2, v3, v2
	s_lshl_b64 s[20:21], s[20:21], 2
	s_delay_alu instid0(SALU_CYCLE_1) | instskip(NEXT) | instid1(VALU_DEP_2)
	s_add_u32 s13, s2, s20
	v_cndmask_b32_e32 v1, s4, v4, vcc_lo
	s_delay_alu instid0(VALU_DEP_2)
	v_ashrrev_i32_e32 v2, 4, v2
	v_cmp_gt_i32_e32 vcc_lo, s17, v3
	s_addc_u32 s16, s3, s21
	s_ashr_i32 s19, s15, 31
	s_add_u32 s26, s8, s15
	s_addc_u32 s27, s9, s19
	v_cndmask_b32_e32 v3, s4, v2, vcc_lo
	v_ashrrev_i32_e32 v2, 31, v1
	s_lshl_b32 s2, s14, 4
	s_delay_alu instid0(SALU_CYCLE_1) | instskip(NEXT) | instid1(VALU_DEP_2)
	s_ashr_i32 s3, s2, 31
	v_ashrrev_i32_e32 v4, 31, v3
	s_delay_alu instid0(VALU_DEP_2) | instskip(SKIP_1) | instid1(SALU_CYCLE_1)
	v_lshlrev_b64 v[1:2], 2, v[1:2]
	s_lshl_b64 s[2:3], s[2:3], 2
	s_add_u32 s2, s13, s2
	s_delay_alu instid0(VALU_DEP_2) | instskip(SKIP_1) | instid1(VALU_DEP_2)
	v_lshlrev_b64 v[3:4], 2, v[3:4]
	s_addc_u32 s3, s16, s3
	v_add_co_u32 v1, vcc_lo, s13, v1
	v_add_co_ci_u32_e32 v2, vcc_lo, s16, v2, vcc_lo
	s_delay_alu instid0(VALU_DEP_3) | instskip(NEXT) | instid1(VALU_DEP_4)
	v_add_co_u32 v3, vcc_lo, s13, v3
	v_add_co_ci_u32_e32 v4, vcc_lo, s16, v4, vcc_lo
	s_clause 0x1
	global_load_b32 v5, v[1:2], off
	global_load_b32 v3, v[3:4], off
	s_or_b32 s6, s12, 32
	s_delay_alu instid0(SALU_CYCLE_1) | instskip(SKIP_2) | instid1(SALU_CYCLE_1)
	s_ashr_i32 s7, s6, 4
	s_cmp_lt_i32 s6, s17
	s_cselect_b32 s6, s7, s4
	s_ashr_i32 s7, s6, 31
	s_delay_alu instid0(SALU_CYCLE_1) | instskip(NEXT) | instid1(SALU_CYCLE_1)
	s_lshl_b64 s[6:7], s[6:7], 2
	s_add_u32 s6, s13, s6
	s_addc_u32 s7, s16, s7
	s_or_b32 s8, s12, 64
	s_delay_alu instid0(SALU_CYCLE_1) | instskip(SKIP_2) | instid1(SALU_CYCLE_1)
	s_ashr_i32 s9, s8, 4
	s_cmp_lt_i32 s8, s17
	s_cselect_b32 s8, s9, s4
	s_ashr_i32 s9, s8, 31
	s_delay_alu instid0(SALU_CYCLE_1) | instskip(NEXT) | instid1(SALU_CYCLE_1)
	s_lshl_b64 s[8:9], s[8:9], 2
	s_add_u32 s8, s13, s8
	s_addc_u32 s9, s16, s9
	;; [unrolled: 10-line block ×5, first 2 shown]
	s_clause 0x5
	s_load_b32 s28, s[2:3], 0x0
	s_load_b32 s29, s[6:7], 0x0
	;; [unrolled: 1-line block ×6, first 2 shown]
	s_mov_b32 s20, 0
	s_or_b32 s2, s12, 0xc0
	s_mov_b32 s21, s20
	s_mov_b32 s22, s20
	;; [unrolled: 1-line block ×5, first 2 shown]
	v_lshlrev_b32_e32 v1, 4, v0
	s_ashr_i32 s3, s2, 4
	s_cmp_lt_i32 s2, s17
	s_cselect_b32 s2, s3, s4
	s_delay_alu instid0(VALU_DEP_1) | instskip(SKIP_1) | instid1(SALU_CYCLE_1)
	v_and_b32_e32 v1, 0xf0, v1
	s_ashr_i32 s3, s2, 31
	s_lshl_b64 s[2:3], s[2:3], 2
	s_delay_alu instid0(VALU_DEP_1) | instskip(NEXT) | instid1(VALU_DEP_1)
	v_add_co_u32 v1, s26, s26, v1
	v_add_co_ci_u32_e64 v2, null, s27, 0, s26
	s_add_u32 s2, s13, s2
	s_addc_u32 s3, s16, s3
	s_or_b32 s6, s12, 0xe0
	s_mov_b32 s27, s20
	s_ashr_i32 s7, s6, 4
	s_cmp_lt_i32 s6, s17
	s_mov_b32 s26, s20
	s_cselect_b32 s6, s7, s4
	v_mov_b32_e32 v102, s27
	v_mov_b32_e32 v96, s21
	s_ashr_i32 s7, s6, 31
	v_mov_b32_e32 v101, s26
	s_lshl_b64 s[6:7], s[6:7], 2
	v_dual_mov_b32 v100, s25 :: v_dual_mov_b32 v99, s24
	v_dual_mov_b32 v98, s23 :: v_dual_mov_b32 v97, s22
	v_mov_b32_e32 v95, s20
	s_waitcnt vmcnt(1)
	v_mad_i64_i32 v[33:34], null, v5, s5, v[1:2]
	s_waitcnt vmcnt(0)
	v_mad_i64_i32 v[35:36], null, v3, s5, v[1:2]
	s_clause 0xf
	global_load_b128 v[1:4], v[33:34], off
	global_load_b128 v[5:8], v[33:34], off offset:256
	global_load_b128 v[9:12], v[35:36], off
	global_load_b128 v[13:16], v[35:36], off offset:256
	global_load_b128 v[17:20], v[33:34], off offset:512
	;; [unrolled: 1-line block ×13, first 2 shown]
	v_and_b32_e32 v33, 7, v0
	v_lshlrev_b32_e32 v34, 4, v69
	s_delay_alu instid0(VALU_DEP_2) | instskip(NEXT) | instid1(VALU_DEP_2)
	v_lshlrev_b32_e32 v139, 6, v33
	v_lshl_or_b32 v41, v68, 8, v34
	ds_load_b128 v[33:36], v139
	ds_load_b128 v[37:40], v139 offset:1024
	ds_load_b128 v[103:106], v139 offset:2048
	;; [unrolled: 1-line block ×3, first 2 shown]
	s_load_b32 s4, s[2:3], 0x0
	s_add_u32 s2, s13, s6
	s_addc_u32 s3, s16, s7
	ds_load_b128 v[111:114], v139 offset:4096
	ds_load_b128 v[115:118], v139 offset:5120
	s_load_b32 s2, s[2:3], 0x0
	s_add_u32 s6, s10, s15
	s_addc_u32 s7, s11, s19
	v_add_co_u32 v127, s6, s6, v41
	s_delay_alu instid0(VALU_DEP_1) | instskip(SKIP_1) | instid1(VALU_DEP_1)
	v_add_co_ci_u32_e64 v128, null, s7, 0, s6
	s_waitcnt lgkmcnt(0)
	v_mad_i64_i32 v[41:42], null, s28, s5, v[127:128]
	v_mad_i64_i32 v[129:130], null, s8, s5, v[127:128]
	;; [unrolled: 1-line block ×7, first 2 shown]
	s_clause 0x3
	global_load_b128 v[49:52], v[41:42], off
	global_load_b128 v[53:56], v[41:42], off offset:16
	global_load_b128 v[41:44], v[45:46], off
	global_load_b128 v[45:48], v[45:46], off offset:16
	s_waitcnt vmcnt(18)
	v_wmma_f32_16x16x16_f16 v[119:126], v[1:8], v[33:40], v[95:102]
	s_waitcnt vmcnt(16)
	v_wmma_f32_16x16x16_f16 v[95:102], v[9:16], v[33:40], v[95:102]
	s_clause 0x3
	global_load_b128 v[33:36], v[129:130], off
	global_load_b128 v[37:40], v[129:130], off offset:16
	global_load_b128 v[1:4], v[131:132], off
	global_load_b128 v[5:8], v[131:132], off offset:16
	s_waitcnt vmcnt(18)
	v_wmma_f32_16x16x16_f16 v[119:126], v[17:24], v[103:110], v[119:126]
	s_clause 0x3
	global_load_b128 v[9:12], v[133:134], off
	global_load_b128 v[13:16], v[133:134], off offset:16
	global_load_b128 v[17:20], v[135:136], off
	global_load_b128 v[21:24], v[135:136], off offset:16
	s_waitcnt vmcnt(20)
	v_wmma_f32_16x16x16_f16 v[95:102], v[25:32], v[103:110], v[95:102]
	v_mad_i64_i32 v[103:104], null, s2, s5, v[127:128]
	s_waitcnt vmcnt(18)
	v_wmma_f32_16x16x16_f16 v[119:126], v[57:64], v[111:118], v[119:126]
	s_clause 0x1
	global_load_b128 v[25:28], v[137:138], off
	global_load_b128 v[29:32], v[137:138], off offset:16
	s_waitcnt vmcnt(18)
	v_wmma_f32_16x16x16_f16 v[95:102], v[71:78], v[111:118], v[95:102]
	s_clause 0x1
	global_load_b128 v[57:60], v[103:104], off
	global_load_b128 v[61:64], v[103:104], off offset:16
	ds_load_b128 v[71:74], v139 offset:6144
	ds_load_b128 v[75:78], v139 offset:7168
	v_mbcnt_lo_u32_b32 v104, -1, 0
	s_waitcnt vmcnt(0) lgkmcnt(0)
	s_barrier
	buffer_gl0_inv
	v_xor_b32_e32 v105, 16, v104
	s_delay_alu instid0(VALU_DEP_1) | instskip(SKIP_4) | instid1(VALU_DEP_2)
	v_cmp_gt_i32_e32 vcc_lo, 32, v105
	v_cndmask_b32_e32 v104, v104, v105, vcc_lo
	v_wmma_f32_16x16x16_f16 v[95:102], v[87:94], v[71:78], v[95:102]
	v_and_b32_e32 v103, 0xe0, v0
	v_wmma_f32_16x16x16_f16 v[119:126], v[79:86], v[71:78], v[119:126]
	v_dual_mul_f32 v90, s18, v101 :: v_dual_add_nc_u32 v103, s12, v103
	s_delay_alu instid0(VALU_DEP_2) | instskip(NEXT) | instid1(VALU_DEP_3)
	v_dual_mul_f32 v94, s18, v97 :: v_dual_mul_f32 v87, s18, v120
	v_dual_mul_f32 v88, s18, v119 :: v_dual_mul_f32 v77, s18, v122
	s_delay_alu instid0(VALU_DEP_3) | instskip(SKIP_3) | instid1(VALU_DEP_4)
	v_or_b32_e32 v103, v103, v66
	v_dual_mul_f32 v78, s18, v121 :: v_dual_mul_f32 v75, s18, v124
	v_dual_mul_f32 v76, s18, v123 :: v_dual_mul_f32 v73, s18, v126
	v_mul_f32_e32 v92, s18, v99
	v_or_b32_e32 v105, 2, v103
	v_or_b32_e32 v106, 4, v103
	;; [unrolled: 1-line block ×3, first 2 shown]
	v_cmp_gt_i32_e64 s2, s17, v103
	v_or_b32_e32 v108, 8, v103
	v_cmp_gt_i32_e32 vcc_lo, s17, v105
	v_or_b32_e32 v109, 10, v103
	v_cmp_gt_i32_e64 s3, s17, v106
	v_cndmask_b32_e64 v88, 0xff7fffff, v88, s2
	v_cmp_gt_i32_e64 s4, s17, v107
	v_cndmask_b32_e32 v87, 0xff7fffff, v87, vcc_lo
	v_or_b32_e32 v79, 12, v103
	v_or_b32_e32 v80, 14, v103
	v_cndmask_b32_e64 v78, 0xff7fffff, v78, s3
	v_cndmask_b32_e64 v77, 0xff7fffff, v77, s4
	v_max3_f32 v87, v88, 0xff7fffff, v87
	v_cmp_gt_i32_e64 s5, s17, v108
	v_cmp_gt_i32_e64 s6, s17, v109
	v_or_b32_e32 v81, 16, v103
	v_or_b32_e32 v82, 18, v103
	v_mul_f32_e32 v74, s18, v125
	v_cndmask_b32_e64 v76, 0xff7fffff, v76, s5
	v_cndmask_b32_e64 v75, 0xff7fffff, v75, s6
	v_max3_f32 v77, v87, v78, v77
	v_cmp_gt_i32_e64 s7, s17, v79
	v_cmp_gt_i32_e64 s8, s17, v80
	v_or_b32_e32 v83, 20, v103
	v_or_b32_e32 v84, 22, v103
	;; [unrolled: 1-line block ×6, first 2 shown]
	v_mul_f32_e32 v105, s18, v96
	v_mul_f32_e32 v103, s18, v95
	v_cndmask_b32_e64 v74, 0xff7fffff, v74, s7
	v_cndmask_b32_e64 v73, 0xff7fffff, v73, s8
	v_max3_f32 v75, v77, v76, v75
	v_cmp_gt_i32_e64 s9, s17, v81
	v_cmp_gt_i32_e64 s10, s17, v82
	v_mul_f32_e32 v93, s18, v98
	v_cmp_gt_i32_e64 s11, s17, v83
	v_max3_f32 v73, v75, v74, v73
	v_cndmask_b32_e64 v76, 0xff7fffff, v103, s9
	v_cndmask_b32_e64 v77, 0xff7fffff, v105, s10
	v_cmp_gt_i32_e64 s12, s17, v84
	v_mul_f32_e32 v91, s18, v100
	v_cndmask_b32_e64 v74, 0xff7fffff, v94, s11
	v_cmp_gt_i32_e64 s13, s17, v85
	v_max3_f32 v73, v73, v76, v77
	v_cndmask_b32_e64 v75, 0xff7fffff, v93, s12
	v_cmp_gt_i32_e64 s15, s17, v86
	v_mul_f32_e32 v89, s18, v102
	v_cndmask_b32_e64 v76, 0xff7fffff, v92, s13
	v_cmp_gt_i32_e64 s16, s17, v71
	v_max3_f32 v73, v73, v74, v75
	v_cndmask_b32_e64 v77, 0xff7fffff, v91, s15
	v_cmp_gt_i32_e64 s17, s17, v72
	v_lshlrev_b32_e32 v74, 2, v104
	v_cndmask_b32_e64 v71, 0xff7fffff, v90, s16
	s_delay_alu instid0(VALU_DEP_4) | instskip(NEXT) | instid1(VALU_DEP_4)
	v_max3_f32 v73, v73, v76, v77
	v_cndmask_b32_e64 v72, 0xff7fffff, v89, s17
	s_delay_alu instid0(VALU_DEP_1) | instskip(SKIP_3) | instid1(VALU_DEP_1)
	v_max3_f32 v71, v73, v71, v72
	ds_bpermute_b32 v72, v74, v71
	s_waitcnt lgkmcnt(0)
	v_max_f32_e32 v72, v72, v72
	v_max_f32_e32 v71, v71, v72
	s_delay_alu instid0(VALU_DEP_1)
	v_fma_f32 v72, s18, v119, -v71
	v_fma_f32 v76, s18, v122, -v71
	;; [unrolled: 1-line block ×5, first 2 shown]
	v_mul_f32_e32 v72, 0x3fb8aa3b, v72
	v_mul_f32_e32 v76, 0x3fb8aa3b, v76
	v_fma_f32 v75, s18, v121, -v71
	v_mul_f32_e32 v79, 0x3fb8aa3b, v77
	v_mul_f32_e32 v87, 0x3fb8aa3b, v86
	v_exp_f32_e32 v72, v72
	v_exp_f32_e32 v76, v76
	v_fma_f32 v81, s18, v125, -v71
	v_exp_f32_e32 v82, v79
	v_exp_f32_e32 v87, v87
	v_fma_f32 v84, s18, v96, -v71
	s_delay_alu instid0(VALU_DEP_2) | instskip(SKIP_3) | instid1(TRANS32_DEP_3)
	v_mul_f32_e32 v81, 0x3fb8aa3b, v81
	v_cndmask_b32_e64 v78, 0, v72, s2
	v_fma_f32 v72, s18, v124, -v71
	v_mul_f32_e32 v73, 0x3fb8aa3b, v73
	v_cndmask_b32_e64 v79, 0, v76, s4
	v_fma_f32 v76, s18, v95, -v71
	s_delay_alu instid0(VALU_DEP_4) | instskip(NEXT) | instid1(VALU_DEP_4)
	v_dual_mul_f32 v75, 0x3fb8aa3b, v75 :: v_dual_mul_f32 v72, 0x3fb8aa3b, v72
	v_exp_f32_e32 v73, v73
	v_cndmask_b32_e64 v87, 0, v87, s12
	s_delay_alu instid0(VALU_DEP_3) | instskip(NEXT) | instid1(VALU_DEP_3)
	v_mul_f32_e32 v76, 0x3fb8aa3b, v76
	v_exp_f32_e32 v75, v75
	v_exp_f32_e32 v72, v72
	;; [unrolled: 1-line block ×3, first 2 shown]
	v_cndmask_b32_e64 v82, 0, v82, s5
	v_mul_f32_e32 v85, 0x3fb8aa3b, v84
	v_exp_f32_e32 v76, v76
	s_mov_b32 s2, exec_lo
	v_cndmask_b32_e32 v77, 0, v73, vcc_lo
	v_add_f32_e32 v73, 0, v78
	v_exp_f32_e32 v85, v85
	v_cndmask_b32_e64 v80, 0, v75, s3
	v_fma_f32 v75, s18, v126, -v71
	v_cndmask_b32_e64 v81, 0, v72, s6
	v_add_f32_e32 v73, v73, v77
	v_cndmask_b32_e64 v84, 0, v83, s7
	v_cndmask_b32_e64 v86, 0, v76, s9
	v_mul_f32_e32 v75, 0x3fb8aa3b, v75
	s_delay_alu instid0(VALU_DEP_4) | instskip(NEXT) | instid1(TRANS32_DEP_1)
	v_add_f32_e32 v73, v73, v80
	v_cndmask_b32_e64 v85, 0, v85, s10
	s_delay_alu instid0(VALU_DEP_3) | instskip(NEXT) | instid1(VALU_DEP_2)
	v_exp_f32_e32 v75, v75
	v_add_f32_e32 v73, v73, v79
	s_delay_alu instid0(VALU_DEP_1) | instskip(SKIP_3) | instid1(VALU_DEP_1)
	v_add_f32_e32 v72, v73, v82
	s_waitcnt_depctr 0xfff
	v_cndmask_b32_e64 v83, 0, v75, s8
	v_add_f32_e32 v72, v72, v81
	v_add_f32_e32 v72, v72, v84
	s_delay_alu instid0(VALU_DEP_1) | instskip(NEXT) | instid1(VALU_DEP_1)
	v_add_f32_e32 v72, v72, v83
	v_add_f32_e32 v72, v72, v86
	s_delay_alu instid0(VALU_DEP_1) | instskip(SKIP_4) | instid1(VALU_DEP_4)
	v_add_f32_e32 v72, v72, v85
	v_fma_f32 v73, s18, v97, -v71
	v_fma_f32 v75, s18, v99, -v71
	;; [unrolled: 1-line block ×4, first 2 shown]
	v_mul_f32_e32 v73, 0x3fb8aa3b, v73
	s_delay_alu instid0(VALU_DEP_3) | instskip(NEXT) | instid1(VALU_DEP_2)
	v_dual_mul_f32 v75, 0x3fb8aa3b, v75 :: v_dual_mul_f32 v76, 0x3fb8aa3b, v76
	v_exp_f32_e32 v73, v73
	s_delay_alu instid0(VALU_DEP_1) | instskip(NEXT) | instid1(VALU_DEP_1)
	v_exp_f32_e32 v75, v75
	v_exp_f32_e32 v76, v76
	s_delay_alu instid0(TRANS32_DEP_3)
	v_cndmask_b32_e64 v88, 0, v73, s11
	v_mul_f32_e32 v73, 0x3fb8aa3b, v89
	v_fma_f32 v89, s18, v102, -v71
	s_waitcnt_depctr 0xfff
	v_cndmask_b32_e64 v90, 0, v75, s13
	v_add_f32_e32 v72, v72, v88
	v_exp_f32_e32 v73, v73
	v_mul_f32_e32 v75, 0x3fb8aa3b, v89
	v_cndmask_b32_e64 v89, 0, v76, s15
	s_delay_alu instid0(VALU_DEP_3) | instskip(NEXT) | instid1(VALU_DEP_3)
	v_add_f32_e32 v72, v72, v87
	v_exp_f32_e32 v75, v75
	s_delay_alu instid0(VALU_DEP_1) | instskip(SKIP_4) | instid1(VALU_DEP_2)
	v_add_f32_e32 v72, v72, v90
	s_waitcnt_depctr 0xfff
	v_cndmask_b32_e64 v92, 0, v73, s16
	v_add_f32_e32 v72, v72, v89
	v_cndmask_b32_e64 v91, 0, v75, s17
	v_add_f32_e32 v72, v72, v92
	s_delay_alu instid0(VALU_DEP_1)
	v_add_f32_e32 v72, v72, v91
	ds_bpermute_b32 v73, v74, v72
	v_cmpx_gt_u32_e32 16, v70
	s_cbranch_execz .LBB957_12
; %bb.11:
	v_mul_u32_u24_e32 v70, 0x44, v68
	s_waitcnt lgkmcnt(0)
	v_add_f32_e32 v72, v72, v73
	s_delay_alu instid0(VALU_DEP_2) | instskip(NEXT) | instid1(VALU_DEP_1)
	v_lshl_add_u32 v70, v69, 2, v70
	v_add_nc_u32_e32 v70, 0x4000, v70
	ds_store_2addr_b32 v70, v71, v72 offset1:136
.LBB957_12:
	s_or_b32 exec_lo, exec_lo, s2
	v_lshlrev_b32_e32 v70, 2, v69
	s_load_b32 s34, s[0:1], 0x94
	s_waitcnt lgkmcnt(0)
	s_barrier
	buffer_gl0_inv
	v_add_nc_u32_e32 v74, 0x4000, v70
	v_cmp_eq_u32_e32 vcc_lo, 1, v68
	v_cmp_eq_u32_e64 s2, 2, v68
	v_cmp_eq_u32_e64 s3, 3, v68
	;; [unrolled: 1-line block ×3, first 2 shown]
	ds_load_2addr_b32 v[70:71], v74 offset1:17
	ds_load_2addr_b32 v[72:73], v74 offset0:34 offset1:51
	ds_load_2addr_b32 v[93:94], v74 offset0:68 offset1:85
	;; [unrolled: 1-line block ×3, first 2 shown]
	v_cmp_eq_u32_e64 s5, 5, v68
	v_cmp_eq_u32_e64 s6, 7, v68
	s_waitcnt lgkmcnt(3)
	v_max3_f32 v75, v70, 0xff7fffff, v71
	s_waitcnt lgkmcnt(2)
	s_delay_alu instid0(VALU_DEP_1) | instskip(SKIP_1) | instid1(VALU_DEP_1)
	v_max3_f32 v75, v75, v72, v73
	s_waitcnt lgkmcnt(1)
	v_max3_f32 v75, v75, v93, v94
	s_waitcnt lgkmcnt(0)
	s_delay_alu instid0(VALU_DEP_1) | instskip(NEXT) | instid1(VALU_DEP_1)
	v_max3_f32 v75, v75, v95, v96
	v_sub_f32_e32 v93, v93, v75
	ds_load_2addr_b32 v[97:98], v74 offset0:136 offset1:153
	v_sub_f32_e32 v70, v70, v75
	v_dual_sub_f32 v100, v73, v75 :: v_dual_mul_f32 v103, 0x3fb8aa3b, v93
	s_delay_alu instid0(VALU_DEP_2) | instskip(SKIP_3) | instid1(VALU_DEP_1)
	v_dual_sub_f32 v76, v71, v75 :: v_dual_mul_f32 v99, 0x3fb8aa3b, v70
	ds_load_2addr_b32 v[70:71], v74 offset0:170 offset1:187
	v_mul_f32_e32 v76, 0x3fb8aa3b, v76
	v_exp_f32_e32 v99, v99
	v_exp_f32_e32 v102, v76
	v_mul_f32_e32 v100, 0x3fb8aa3b, v100
	s_waitcnt lgkmcnt(1)
	s_waitcnt_depctr 0xfff
	v_fma_f32 v76, v99, v97, 0
	v_sub_f32_e32 v97, v94, v75
	v_sub_f32_e32 v72, v72, v75
	v_exp_f32_e32 v100, v100
	ds_load_2addr_b32 v[93:94], v74 offset0:238 offset1:255
	v_dual_fmac_f32 v76, v102, v98 :: v_dual_mul_f32 v101, 0x3fb8aa3b, v72
	ds_load_2addr_b32 v[72:73], v74 offset0:204 offset1:221
	v_dual_sub_f32 v74, v95, v75 :: v_dual_mul_f32 v95, 0x3fb8aa3b, v97
	v_exp_f32_e32 v97, v103
	v_exp_f32_e32 v101, v101
	s_waitcnt lgkmcnt(0)
	s_barrier
	v_exp_f32_e32 v95, v95
	buffer_gl0_inv
	v_fmac_f32_e32 v76, v101, v70
	v_sub_f32_e32 v70, v96, v75
	s_delay_alu instid0(VALU_DEP_2) | instskip(NEXT) | instid1(VALU_DEP_2)
	v_fmac_f32_e32 v76, v100, v71
	v_mul_f32_e32 v70, 0x3fb8aa3b, v70
	s_delay_alu instid0(VALU_DEP_2)
	v_dual_cndmask_b32 v71, v99, v102 :: v_dual_fmac_f32 v76, v97, v72
	v_lshlrev_b32_e32 v72, 6, v69
	v_lshlrev_b32_e32 v69, 2, v66
	v_mul_f32_e32 v74, 0x3fb8aa3b, v74
	v_exp_f32_e32 v98, v70
	v_fmac_f32_e32 v76, v95, v73
	s_delay_alu instid0(VALU_DEP_3) | instskip(NEXT) | instid1(VALU_DEP_3)
	v_cmp_eq_u32_e64 s7, 7, v69
	v_exp_f32_e32 v96, v74
	v_lshl_or_b32 v74, v68, 11, v72
	s_waitcnt_depctr 0xfff
	v_fmac_f32_e32 v76, v96, v93
	s_delay_alu instid0(VALU_DEP_1) | instskip(NEXT) | instid1(VALU_DEP_1)
	v_fmac_f32_e32 v76, v98, v94
	v_add_f32_e32 v73, 0x358637bd, v76
	s_delay_alu instid0(VALU_DEP_1) | instskip(SKIP_1) | instid1(VALU_DEP_2)
	v_div_scale_f32 v93, null, v73, v73, 1.0
	v_div_scale_f32 v99, vcc_lo, 1.0, v73, 1.0
	v_rcp_f32_e32 v94, v93
	s_waitcnt_depctr 0xfff
	v_fma_f32 v70, -v93, v94, 1.0
	s_delay_alu instid0(VALU_DEP_1)
	v_fmac_f32_e32 v94, v70, v94
	v_cndmask_b32_e64 v70, v71, v101, s2
	v_cmp_eq_u32_e64 s2, 6, v68
	v_or_b32_e32 v71, 1, v69
	v_or_b32_e32 v68, 2, v69
	v_mul_f32_e32 v101, v99, v94
	v_cndmask_b32_e64 v70, v70, v100, s3
	v_cmp_eq_u32_e64 s3, 1, v69
	v_cmp_eq_u32_e64 s8, 1, v71
	;; [unrolled: 1-line block ×3, first 2 shown]
	v_fma_f32 v100, -v93, v101, v99
	v_cndmask_b32_e64 v70, v70, v97, s4
	v_cmp_eq_u32_e64 s4, 2, v69
	v_cmp_eq_u32_e64 s11, 2, v71
	v_cmp_eq_u32_e64 s13, 2, v68
	v_fmac_f32_e32 v101, v100, v94
	v_cndmask_b32_e64 v95, v70, v95, s5
	v_or_b32_e32 v70, 3, v69
	v_cmp_eq_u32_e64 s12, 3, v71
	v_cmp_eq_u32_e64 s16, 3, v68
	v_fma_f32 v93, -v93, v101, v99
	v_cndmask_b32_e64 v95, v95, v96, s2
	v_cmp_eq_u32_e64 s10, 1, v70
	v_cmp_eq_u32_e64 s15, 2, v70
	;; [unrolled: 1-line block ×3, first 2 shown]
	v_div_fmas_f32 v93, v93, v94, v101
	v_cndmask_b32_e64 v94, v95, v98, s6
	v_cmp_eq_u32_e32 vcc_lo, 3, v69
	v_cmp_eq_u32_e64 s2, 4, v69
	v_cmp_eq_u32_e64 s18, 4, v71
	v_div_fixup_f32 v93, v93, v73, 1.0
	v_lshl_or_b32 v73, v66, 4, v74
	v_cmp_eq_u32_e64 s21, 4, v70
	v_cmp_eq_u32_e64 s5, 5, v69
	;; [unrolled: 1-line block ×3, first 2 shown]
	v_mul_f32_e32 v101, v94, v93
	v_cmp_eq_u32_e64 s20, 4, v68
	v_cmp_eq_u32_e64 s23, 5, v70
	;; [unrolled: 1-line block ×4, first 2 shown]
	v_fma_mixlo_f16 v93, v101, v78, 0
	v_fma_mixlo_f16 v94, v101, v80, 0
	;; [unrolled: 1-line block ×8, first 2 shown]
	v_fma_mixhi_f16 v93, v101, v77, 0
	v_fma_mixhi_f16 v94, v101, v79, 0
	;; [unrolled: 1-line block ×8, first 2 shown]
	ds_store_b128 v73, v[93:96]
	ds_store_b128 v73, v[97:100] offset:1024
	s_waitcnt lgkmcnt(0)
	s_barrier
	buffer_gl0_inv
	ds_load_b128 v[77:80], v74
	ds_load_b128 v[81:84], v74 offset:16
	ds_load_b128 v[85:88], v74 offset:1024
	;; [unrolled: 1-line block ×3, first 2 shown]
	v_cmp_eq_u32_e64 s26, 6, v70
	v_cmp_eq_u32_e64 s6, 6, v69
	;; [unrolled: 1-line block ×6, first 2 shown]
	s_waitcnt lgkmcnt(3)
	v_lshrrev_b32_e32 v93, 16, v77
	s_waitcnt lgkmcnt(2)
	v_lshrrev_b32_e32 v97, 16, v81
	;; [unrolled: 2-line block ×4, first 2 shown]
	v_lshrrev_b32_e32 v94, 16, v78
	v_cndmask_b32_e64 v109, v77, v93, s3
	v_cndmask_b32_e64 v110, v81, v97, s3
	;; [unrolled: 1-line block ×8, first 2 shown]
	v_lshrrev_b32_e32 v98, 16, v82
	v_cndmask_b32_e64 v93, v85, v101, s3
	v_cndmask_b32_e64 v97, v89, v105, s3
	;; [unrolled: 1-line block ×15, first 2 shown]
	v_lshrrev_b32_e32 v102, 16, v86
	v_lshrrev_b32_e32 v106, 16, v90
	v_cndmask_b32_e64 v112, v114, v82, s13
	v_cndmask_b32_e64 v81, v93, v86, s4
	;; [unrolled: 1-line block ×7, first 2 shown]
	v_cndmask_b32_e32 v89, v101, v94, vcc_lo
	v_cndmask_b32_e32 v101, v105, v98, vcc_lo
	v_cndmask_b32_e64 v105, v109, v94, s12
	v_cndmask_b32_e64 v109, v110, v98, s12
	;; [unrolled: 1-line block ×4, first 2 shown]
	v_lshrrev_b32_e32 v95, 16, v79
	v_lshrrev_b32_e32 v99, 16, v83
	v_cndmask_b32_e64 v110, v111, v94, s16
	v_cndmask_b32_e64 v111, v112, v98, s16
	v_cndmask_b32_e32 v81, v81, v102, vcc_lo
	v_cndmask_b32_e32 v82, v82, v106, vcc_lo
	v_cndmask_b32_e64 v93, v93, v102, s12
	v_cndmask_b32_e64 v89, v89, v79, s2
	;; [unrolled: 1-line block ×7, first 2 shown]
	v_lshrrev_b32_e32 v103, 16, v87
	v_cndmask_b32_e64 v105, v110, v79, s20
	v_cndmask_b32_e64 v109, v111, v83, s20
	;; [unrolled: 1-line block ×11, first 2 shown]
	v_lshrrev_b32_e32 v96, 16, v80
	v_lshrrev_b32_e32 v100, 16, v84
	v_cndmask_b32_e64 v98, v105, v95, s22
	v_cndmask_b32_e64 v101, v109, v99, s22
	;; [unrolled: 1-line block ×7, first 2 shown]
	v_lshrrev_b32_e32 v104, 16, v88
	v_cndmask_b32_e64 v79, v79, v103, s5
	v_cndmask_b32_e64 v83, v83, v80, s6
	;; [unrolled: 1-line block ×16, first 2 shown]
	v_perm_b32 v80, v78, v77, 0x5040100
	v_perm_b32 v78, v94, v84, 0x5040100
	v_cndmask_b32_e64 v77, v118, v90, s13
	v_cndmask_b32_e64 v84, v116, v90, s11
	;; [unrolled: 1-line block ×3, first 2 shown]
	v_perm_b32 v79, v93, v89, 0x5040100
	v_cndmask_b32_e64 v89, v97, v102, s16
	v_cndmask_b32_e64 v85, v85, v102, s17
	;; [unrolled: 1-line block ×5, first 2 shown]
	v_lshrrev_b32_e32 v107, 16, v91
	v_cndmask_b32_e64 v89, v89, v87, s20
	v_cndmask_b32_e64 v85, v85, v87, s21
	v_cndmask_b32_e64 v86, v86, v91, s21
	v_cndmask_b32_e64 v77, v77, v91, s20
	v_cndmask_b32_e64 v84, v84, v91, s18
	v_cndmask_b32_e64 v81, v81, v107, s5
	v_cndmask_b32_e64 v87, v89, v103, s22
	v_cndmask_b32_e64 v85, v85, v103, s23
	v_cndmask_b32_e64 v86, v86, v107, s23
	v_cndmask_b32_e64 v77, v77, v107, s22
	v_cndmask_b32_e64 v84, v84, v107, s19
	v_lshrrev_b32_e32 v108, 16, v92
	v_cndmask_b32_e64 v81, v81, v92, s6
	v_cndmask_b32_e64 v87, v87, v88, s25
	v_cndmask_b32_e64 v85, v85, v88, s26
	v_cndmask_b32_e64 v86, v86, v92, s26
	v_cndmask_b32_e64 v77, v77, v92, s25
	v_cndmask_b32_e64 v84, v84, v92, s24
	v_cndmask_b32_e64 v87, v87, v104, s27
	v_cndmask_b32_e64 v85, v85, v104, s28
	v_cndmask_b32_e64 v86, v86, v108, s28
	v_cndmask_b32_e64 v88, v77, v108, s27
	v_cndmask_b32_e64 v89, v84, v108, s29
	v_cndmask_b32_e64 v81, v81, v108, s7
	v_perm_b32 v77, v83, v82, 0x5040100
	v_perm_b32 v84, v86, v85, 0x5040100
	;; [unrolled: 1-line block ×5, first 2 shown]
	s_lshl_b32 s7, s33, 3
	s_mov_b32 s2, exec_lo
	ds_store_b128 v73, v[77:80]
	ds_store_b128 v73, v[81:84] offset:1024
	v_cmpx_gt_u32_e32 8, v0
	s_cbranch_execz .LBB957_14
; %bb.13:
	v_or_b32_e32 v77, s31, v0
	s_load_b128 s[8:11], s[0:1], 0x58
	s_delay_alu instid0(VALU_DEP_1) | instskip(NEXT) | instid1(VALU_DEP_1)
	v_mad_u64_u32 v[78:79], null, s7, s30, v[77:78]
	v_mad_u64_u32 v[79:80], null, v78, s34, s[14:15]
	s_delay_alu instid0(VALU_DEP_1) | instskip(NEXT) | instid1(VALU_DEP_1)
	v_ashrrev_i32_e32 v80, 31, v79
	v_lshlrev_b64 v[77:78], 2, v[79:80]
	s_waitcnt lgkmcnt(0)
	s_delay_alu instid0(VALU_DEP_1) | instskip(NEXT) | instid1(VALU_DEP_2)
	v_add_co_u32 v79, vcc_lo, s10, v77
	v_add_co_ci_u32_e32 v80, vcc_lo, s11, v78, vcc_lo
	v_add_co_u32 v77, vcc_lo, s8, v77
	v_add_co_ci_u32_e32 v78, vcc_lo, s9, v78, vcc_lo
	global_store_b32 v[79:80], v75, off
	global_store_b32 v[77:78], v76, off
.LBB957_14:
	s_or_b32 exec_lo, exec_lo, s2
	s_waitcnt lgkmcnt(0)
	s_waitcnt_vscnt null, 0x0
	s_barrier
	buffer_gl0_inv
	ds_load_b128 v[83:86], v72
	ds_load_b128 v[87:90], v72 offset:16
	ds_load_b128 v[95:98], v72 offset:2064
	;; [unrolled: 1-line block ×5, first 2 shown]
	v_cmp_eq_u32_e32 vcc_lo, 1, v69
	v_mov_b32_e32 v75, 0
	ds_load_b128 v[111:114], v72 offset:6160
	ds_load_b128 v[107:110], v72 offset:6144
	;; [unrolled: 1-line block ×4, first 2 shown]
	v_cmp_eq_u32_e64 s3, 1, v68
	v_cmp_eq_u32_e64 s2, 1, v71
	v_cmp_eq_u32_e64 s4, 2, v71
	v_mov_b32_e32 v76, v75
	v_mov_b32_e32 v77, v75
	;; [unrolled: 1-line block ×7, first 2 shown]
	v_cmp_eq_u32_e64 s5, 3, v71
	v_cmp_eq_u32_e64 s6, 7, v71
	s_waitcnt lgkmcnt(8)
	s_delay_alu instid0(VALU_DEP_3)
	v_wmma_f32_16x16x16_f16 v[75:82], v[49:56], v[83:90], v[75:82]
	ds_load_b128 v[53:56], v72 offset:10256
	ds_load_b128 v[49:52], v72 offset:10240
	s_waitcnt lgkmcnt(8)
	v_wmma_f32_16x16x16_f16 v[75:82], v[41:48], v[91:98], v[75:82]
	ds_load_b128 v[45:48], v72 offset:12304
	ds_load_b128 v[41:44], v72 offset:12288
	s_waitcnt lgkmcnt(8)
	;; [unrolled: 4-line block ×3, first 2 shown]
	s_barrier
	buffer_gl0_inv
	v_wmma_f32_16x16x16_f16 v[75:82], v[1:8], v[107:114], v[75:82]
	s_delay_alu instid0(VALU_DEP_1) | instskip(NEXT) | instid1(VALU_DEP_1)
	v_wmma_f32_16x16x16_f16 v[75:82], v[9:16], v[115:122], v[75:82]
	v_wmma_f32_16x16x16_f16 v[75:82], v[17:24], v[49:56], v[75:82]
	s_delay_alu instid0(VALU_DEP_1) | instskip(NEXT) | instid1(VALU_DEP_1)
	v_wmma_f32_16x16x16_f16 v[75:82], v[25:32], v[41:48], v[75:82]
	v_wmma_f32_16x16x16_f16 v[75:82], v[57:64], v[33:40], v[75:82]
	s_delay_alu instid0(VALU_DEP_1) | instskip(NEXT) | instid1(VALU_DEP_2)
	v_cvt_f16_f32_e32 v1, v75
	v_cvt_f16_f32_e32 v2, v76
	s_delay_alu instid0(VALU_DEP_3) | instskip(NEXT) | instid1(VALU_DEP_4)
	v_cvt_f16_f32_e32 v3, v77
	v_cvt_f16_f32_e32 v4, v78
	;; [unrolled: 1-line block ×6, first 2 shown]
	v_pack_b32_f16 v1, v1, v2
	v_pack_b32_f16 v2, v3, v4
	;; [unrolled: 1-line block ×3, first 2 shown]
	s_delay_alu instid0(VALU_DEP_4)
	v_pack_b32_f16 v4, v7, v8
	ds_store_b128 v73, v[1:4]
	s_waitcnt lgkmcnt(0)
	s_barrier
	buffer_gl0_inv
	ds_load_b128 v[1:4], v74
	ds_load_b128 v[5:8], v74 offset:16
	s_waitcnt lgkmcnt(1)
	v_lshrrev_b32_e32 v9, 16, v1
	s_waitcnt lgkmcnt(0)
	v_lshrrev_b32_e32 v13, 16, v5
	v_lshrrev_b32_e32 v10, 16, v2
	;; [unrolled: 1-line block ×4, first 2 shown]
	v_cndmask_b32_e32 v17, v1, v9, vcc_lo
	v_cndmask_b32_e32 v18, v5, v13, vcc_lo
	v_cndmask_b32_e64 v21, v1, v9, s3
	v_cmp_eq_u32_e32 vcc_lo, 1, v70
	v_cndmask_b32_e64 v22, v5, v13, s3
	v_cmp_eq_u32_e64 s3, 2, v69
	v_cndmask_b32_e64 v19, v1, v9, s2
	v_cndmask_b32_e64 v20, v5, v13, s2
	v_cndmask_b32_e32 v1, v1, v9, vcc_lo
	v_cmp_eq_u32_e64 s2, 2, v70
	v_cndmask_b32_e32 v5, v5, v13, vcc_lo
	v_cndmask_b32_e64 v9, v17, v2, s3
	v_cmp_eq_u32_e32 vcc_lo, 3, v69
	v_cndmask_b32_e64 v13, v18, v6, s3
	v_cmp_eq_u32_e64 s3, 2, v68
	v_cndmask_b32_e64 v17, v19, v2, s4
	v_cndmask_b32_e64 v18, v20, v6, s4
	v_cmp_eq_u32_e64 s4, 3, v68
	v_cndmask_b32_e64 v1, v1, v2, s2
	v_cndmask_b32_e64 v19, v21, v2, s3
	;; [unrolled: 1-line block ×4, first 2 shown]
	v_cndmask_b32_e32 v5, v9, v10, vcc_lo
	v_cndmask_b32_e32 v6, v13, v14, vcc_lo
	v_cmp_eq_u32_e32 vcc_lo, 3, v70
	v_cndmask_b32_e64 v9, v17, v10, s5
	v_cndmask_b32_e64 v13, v18, v14, s5
	;; [unrolled: 1-line block ×3, first 2 shown]
	v_cmp_eq_u32_e64 s3, 4, v69
	v_cndmask_b32_e32 v1, v1, v10, vcc_lo
	v_cndmask_b32_e32 v2, v2, v14, vcc_lo
	v_cmp_eq_u32_e32 vcc_lo, 4, v71
	v_lshrrev_b32_e32 v15, 16, v7
	v_lshrrev_b32_e32 v16, 16, v8
	v_cndmask_b32_e64 v17, v19, v10, s4
	v_cmp_eq_u32_e64 s2, 4, v70
	v_cndmask_b32_e64 v5, v5, v3, s3
	v_cndmask_b32_e64 v6, v6, v7, s3
	v_cndmask_b32_e32 v9, v9, v3, vcc_lo
	v_cmp_eq_u32_e64 s3, 5, v71
	v_cndmask_b32_e32 v10, v13, v7, vcc_lo
	v_cmp_eq_u32_e32 vcc_lo, 4, v68
	v_cmp_eq_u32_e64 s4, 5, v69
	v_cndmask_b32_e64 v2, v2, v7, s2
	v_cndmask_b32_e64 v9, v9, v11, s3
	;; [unrolled: 1-line block ×3, first 2 shown]
	v_cndmask_b32_e32 v13, v17, v3, vcc_lo
	v_cmp_eq_u32_e64 s3, 5, v68
	v_cndmask_b32_e32 v14, v18, v7, vcc_lo
	v_cndmask_b32_e64 v1, v1, v3, s2
	v_cmp_eq_u32_e32 vcc_lo, 5, v70
	v_lshrrev_b32_e32 v12, 16, v4
	v_cndmask_b32_e64 v13, v13, v11, s3
	v_cndmask_b32_e64 v3, v14, v15, s3
	v_cmp_eq_u32_e64 s3, 6, v70
	v_cndmask_b32_e32 v1, v1, v11, vcc_lo
	v_cndmask_b32_e64 v5, v5, v11, s4
	v_cmp_eq_u32_e64 s5, 6, v69
	v_cndmask_b32_e64 v6, v6, v15, s4
	v_cmp_eq_u32_e64 s4, 6, v71
	v_cmp_eq_u32_e64 s2, 6, v68
	v_cndmask_b32_e64 v1, v1, v4, s3
	v_cndmask_b32_e32 v2, v2, v15, vcc_lo
	v_cmp_eq_u32_e32 vcc_lo, 7, v70
	v_cndmask_b32_e64 v5, v5, v4, s5
	v_cndmask_b32_e64 v9, v9, v4, s4
	;; [unrolled: 1-line block ×3, first 2 shown]
	v_cmp_eq_u32_e64 s5, 7, v69
	v_cndmask_b32_e32 v1, v1, v12, vcc_lo
	v_cndmask_b32_e64 v7, v13, v4, s2
	v_cndmask_b32_e64 v3, v3, v8, s2
	;; [unrolled: 1-line block ×3, first 2 shown]
	v_cmp_eq_u32_e64 s2, 7, v68
	v_cndmask_b32_e64 v4, v10, v8, s4
	v_cndmask_b32_e64 v5, v5, v12, s5
	;; [unrolled: 1-line block ×3, first 2 shown]
	v_cndmask_b32_e32 v2, v2, v16, vcc_lo
	v_cndmask_b32_e64 v7, v7, v12, s2
	v_cndmask_b32_e64 v3, v3, v16, s2
	;; [unrolled: 1-line block ×4, first 2 shown]
	v_perm_b32 v4, v2, v1, 0x5040100
	s_mov_b32 s2, exec_lo
	v_perm_b32 v3, v3, v7, 0x5040100
	v_perm_b32 v2, v8, v9, 0x5040100
	;; [unrolled: 1-line block ×3, first 2 shown]
	ds_store_b128 v73, v[1:4]
	s_waitcnt lgkmcnt(0)
	s_barrier
	buffer_gl0_inv
	v_cmpx_gt_u32_e32 32, v0
	s_cbranch_execz .LBB957_2
; %bb.15:
	s_load_b64 s[0:1], s[0:1], 0x68
	s_lshl_b32 s4, s34, 7
	v_or_b32_e32 v2, s31, v66
	s_mul_i32 s2, s4, s30
	v_lshlrev_b32_e32 v1, 10, v0
	s_mul_i32 s2, s2, s7
	v_lshlrev_b32_e32 v3, 4, v67
	v_mul_lo_u32 v0, v2, s4
	s_ashr_i32 s3, s2, 31
	v_lshlrev_b32_e32 v4, 6, v66
	v_and_b32_e32 v1, 0x3800, v1
	v_or_b32_e32 v5, 2, v2
	s_lshl_b64 s[2:3], s[2:3], 1
	v_or_b32_e32 v6, 4, v2
	v_or_b32_e32 v7, 6, v2
	v_or3_b32 v12, v1, v3, v4
	v_ashrrev_i32_e32 v1, 31, v0
	v_mul_lo_u32 v2, v5, s4
	v_mul_lo_u32 v16, v6, s4
	;; [unrolled: 1-line block ×3, first 2 shown]
	s_waitcnt lgkmcnt(0)
	s_add_u32 s2, s0, s2
	s_addc_u32 s3, s1, s3
	s_lshl_b32 s0, s14, 7
	v_lshlrev_b64 v[0:1], 1, v[0:1]
	s_ashr_i32 s1, s0, 31
	v_ashrrev_i32_e32 v3, 31, v2
	s_lshl_b64 s[0:1], s[0:1], 1
	v_ashrrev_i32_e32 v17, 31, v16
	s_add_u32 s0, s2, s0
	s_addc_u32 s1, s3, s1
	v_add_co_u32 v24, s0, s0, v65
	s_delay_alu instid0(VALU_DEP_1) | instskip(SKIP_1) | instid1(VALU_DEP_3)
	v_add_co_ci_u32_e64 v25, null, s1, 0, s0
	v_lshlrev_b64 v[22:23], 1, v[2:3]
	v_add_co_u32 v18, vcc_lo, v24, v0
	s_delay_alu instid0(VALU_DEP_3)
	v_add_co_ci_u32_e32 v19, vcc_lo, v25, v1, vcc_lo
	ds_load_b128 v[0:3], v12
	ds_load_b128 v[4:7], v12 offset:128
	ds_load_b128 v[8:11], v12 offset:256
	;; [unrolled: 1-line block ×3, first 2 shown]
	v_ashrrev_i32_e32 v21, 31, v20
	v_lshlrev_b64 v[16:17], 1, v[16:17]
	v_add_co_u32 v22, vcc_lo, v24, v22
	v_add_co_ci_u32_e32 v23, vcc_lo, v25, v23, vcc_lo
	s_delay_alu instid0(VALU_DEP_4) | instskip(NEXT) | instid1(VALU_DEP_4)
	v_lshlrev_b64 v[20:21], 1, v[20:21]
	v_add_co_u32 v16, vcc_lo, v24, v16
	v_add_co_ci_u32_e32 v17, vcc_lo, v25, v17, vcc_lo
	s_delay_alu instid0(VALU_DEP_3) | instskip(NEXT) | instid1(VALU_DEP_4)
	v_add_co_u32 v20, vcc_lo, v24, v20
	v_add_co_ci_u32_e32 v21, vcc_lo, v25, v21, vcc_lo
	s_waitcnt lgkmcnt(3)
	global_store_b128 v[18:19], v[0:3], off
	s_waitcnt lgkmcnt(2)
	global_store_b128 v[22:23], v[4:7], off
	s_waitcnt lgkmcnt(1)
	global_store_b128 v[16:17], v[8:11], off
	s_waitcnt lgkmcnt(0)
	global_store_b128 v[20:21], v[12:15], off
	s_nop 0
	s_sendmsg sendmsg(MSG_DEALLOC_VGPRS)
	s_endpgm
	.section	.rodata,"a",@progbits
	.p2align	6, 0x0
	.amdhsa_kernel _Z39paged_attention_ll4mi_QKV_mfma16_kernelIDF16_hLN4vllm18Fp8KVCacheDataTypeE1EhLi16ELi128ELi256ELb0ELi8EL8MFMAType1EEvPKT_PKT0_S8_ifPKiSA_SA_iPKfiiiPfSD_PS3_PT2_iSC_SC_
		.amdhsa_group_segment_fixed_size 17472
		.amdhsa_private_segment_fixed_size 0
		.amdhsa_kernarg_size 400
		.amdhsa_user_sgpr_count 13
		.amdhsa_user_sgpr_dispatch_ptr 0
		.amdhsa_user_sgpr_queue_ptr 0
		.amdhsa_user_sgpr_kernarg_segment_ptr 1
		.amdhsa_user_sgpr_dispatch_id 0
		.amdhsa_user_sgpr_private_segment_size 0
		.amdhsa_wavefront_size32 1
		.amdhsa_uses_dynamic_stack 0
		.amdhsa_enable_private_segment 0
		.amdhsa_system_sgpr_workgroup_id_x 1
		.amdhsa_system_sgpr_workgroup_id_y 1
		.amdhsa_system_sgpr_workgroup_id_z 1
		.amdhsa_system_sgpr_workgroup_info 0
		.amdhsa_system_vgpr_workitem_id 0
		.amdhsa_next_free_vgpr 140
		.amdhsa_next_free_sgpr 36
		.amdhsa_reserve_vcc 1
		.amdhsa_float_round_mode_32 0
		.amdhsa_float_round_mode_16_64 0
		.amdhsa_float_denorm_mode_32 3
		.amdhsa_float_denorm_mode_16_64 3
		.amdhsa_dx10_clamp 1
		.amdhsa_ieee_mode 1
		.amdhsa_fp16_overflow 0
		.amdhsa_workgroup_processor_mode 1
		.amdhsa_memory_ordered 1
		.amdhsa_forward_progress 0
		.amdhsa_shared_vgpr_count 0
		.amdhsa_exception_fp_ieee_invalid_op 0
		.amdhsa_exception_fp_denorm_src 0
		.amdhsa_exception_fp_ieee_div_zero 0
		.amdhsa_exception_fp_ieee_overflow 0
		.amdhsa_exception_fp_ieee_underflow 0
		.amdhsa_exception_fp_ieee_inexact 0
		.amdhsa_exception_int_div_zero 0
	.end_amdhsa_kernel
	.section	.text._Z39paged_attention_ll4mi_QKV_mfma16_kernelIDF16_hLN4vllm18Fp8KVCacheDataTypeE1EhLi16ELi128ELi256ELb0ELi8EL8MFMAType1EEvPKT_PKT0_S8_ifPKiSA_SA_iPKfiiiPfSD_PS3_PT2_iSC_SC_,"axG",@progbits,_Z39paged_attention_ll4mi_QKV_mfma16_kernelIDF16_hLN4vllm18Fp8KVCacheDataTypeE1EhLi16ELi128ELi256ELb0ELi8EL8MFMAType1EEvPKT_PKT0_S8_ifPKiSA_SA_iPKfiiiPfSD_PS3_PT2_iSC_SC_,comdat
.Lfunc_end957:
	.size	_Z39paged_attention_ll4mi_QKV_mfma16_kernelIDF16_hLN4vllm18Fp8KVCacheDataTypeE1EhLi16ELi128ELi256ELb0ELi8EL8MFMAType1EEvPKT_PKT0_S8_ifPKiSA_SA_iPKfiiiPfSD_PS3_PT2_iSC_SC_, .Lfunc_end957-_Z39paged_attention_ll4mi_QKV_mfma16_kernelIDF16_hLN4vllm18Fp8KVCacheDataTypeE1EhLi16ELi128ELi256ELb0ELi8EL8MFMAType1EEvPKT_PKT0_S8_ifPKiSA_SA_iPKfiiiPfSD_PS3_PT2_iSC_SC_
                                        ; -- End function
	.section	.AMDGPU.csdata,"",@progbits
; Kernel info:
; codeLenInByte = 6620
; NumSgprs: 38
; NumVgprs: 140
; ScratchSize: 0
; MemoryBound: 0
; FloatMode: 240
; IeeeMode: 1
; LDSByteSize: 17472 bytes/workgroup (compile time only)
; SGPRBlocks: 4
; VGPRBlocks: 17
; NumSGPRsForWavesPerEU: 38
; NumVGPRsForWavesPerEU: 140
; Occupancy: 10
; WaveLimiterHint : 1
; COMPUTE_PGM_RSRC2:SCRATCH_EN: 0
; COMPUTE_PGM_RSRC2:USER_SGPR: 13
; COMPUTE_PGM_RSRC2:TRAP_HANDLER: 0
; COMPUTE_PGM_RSRC2:TGID_X_EN: 1
; COMPUTE_PGM_RSRC2:TGID_Y_EN: 1
; COMPUTE_PGM_RSRC2:TGID_Z_EN: 1
; COMPUTE_PGM_RSRC2:TIDIG_COMP_CNT: 0
	.section	.text._Z39paged_attention_ll4mi_QKV_mfma16_kernelIDF16_hLN4vllm18Fp8KVCacheDataTypeE1EhLi16ELi128ELi256ELb0ELi9EL8MFMAType1EEvPKT_PKT0_S8_ifPKiSA_SA_iPKfiiiPfSD_PS3_PT2_iSC_SC_,"axG",@progbits,_Z39paged_attention_ll4mi_QKV_mfma16_kernelIDF16_hLN4vllm18Fp8KVCacheDataTypeE1EhLi16ELi128ELi256ELb0ELi9EL8MFMAType1EEvPKT_PKT0_S8_ifPKiSA_SA_iPKfiiiPfSD_PS3_PT2_iSC_SC_,comdat
	.protected	_Z39paged_attention_ll4mi_QKV_mfma16_kernelIDF16_hLN4vllm18Fp8KVCacheDataTypeE1EhLi16ELi128ELi256ELb0ELi9EL8MFMAType1EEvPKT_PKT0_S8_ifPKiSA_SA_iPKfiiiPfSD_PS3_PT2_iSC_SC_ ; -- Begin function _Z39paged_attention_ll4mi_QKV_mfma16_kernelIDF16_hLN4vllm18Fp8KVCacheDataTypeE1EhLi16ELi128ELi256ELb0ELi9EL8MFMAType1EEvPKT_PKT0_S8_ifPKiSA_SA_iPKfiiiPfSD_PS3_PT2_iSC_SC_
	.globl	_Z39paged_attention_ll4mi_QKV_mfma16_kernelIDF16_hLN4vllm18Fp8KVCacheDataTypeE1EhLi16ELi128ELi256ELb0ELi9EL8MFMAType1EEvPKT_PKT0_S8_ifPKiSA_SA_iPKfiiiPfSD_PS3_PT2_iSC_SC_
	.p2align	8
	.type	_Z39paged_attention_ll4mi_QKV_mfma16_kernelIDF16_hLN4vllm18Fp8KVCacheDataTypeE1EhLi16ELi128ELi256ELb0ELi9EL8MFMAType1EEvPKT_PKT0_S8_ifPKiSA_SA_iPKfiiiPfSD_PS3_PT2_iSC_SC_,@function
_Z39paged_attention_ll4mi_QKV_mfma16_kernelIDF16_hLN4vllm18Fp8KVCacheDataTypeE1EhLi16ELi128ELi256ELb0ELi9EL8MFMAType1EEvPKT_PKT0_S8_ifPKiSA_SA_iPKfiiiPfSD_PS3_PT2_iSC_SC_: ; @_Z39paged_attention_ll4mi_QKV_mfma16_kernelIDF16_hLN4vllm18Fp8KVCacheDataTypeE1EhLi16ELi128ELi256ELb0ELi9EL8MFMAType1EEvPKT_PKT0_S8_ifPKiSA_SA_iPKfiiiPfSD_PS3_PT2_iSC_SC_
; %bb.0:
	s_load_b64 s[4:5], s[0:1], 0x30
	s_mov_b32 s34, s13
	s_waitcnt lgkmcnt(0)
	s_cmp_lg_u64 s[4:5], 0
	s_cselect_b32 s8, -1, 0
	s_ashr_i32 s35, s13, 31
	s_cmp_eq_u64 s[4:5], 0
	s_cbranch_scc1 .LBB958_3
; %bb.1:
	s_lshl_b64 s[2:3], s[34:35], 2
	s_delay_alu instid0(SALU_CYCLE_1) | instskip(SKIP_4) | instid1(SALU_CYCLE_1)
	s_add_u32 s2, s4, s2
	s_addc_u32 s3, s5, s3
	s_load_b64 s[2:3], s[2:3], 0x0
	s_waitcnt lgkmcnt(0)
	s_sub_i32 s2, s3, s2
	s_cmp_eq_u32 s2, 1
	s_cselect_b32 s2, -1, 0
	s_delay_alu instid0(SALU_CYCLE_1)
	s_and_not1_b32 vcc_lo, exec_lo, s2
	s_cbranch_vccz .LBB958_4
.LBB958_2:
	s_nop 0
	s_sendmsg sendmsg(MSG_DEALLOC_VGPRS)
	s_endpgm
.LBB958_3:
.LBB958_4:
	s_load_b64 s[2:3], s[0:1], 0x28
	s_lshl_b64 s[6:7], s[34:35], 2
	s_waitcnt lgkmcnt(0)
	s_add_u32 s2, s2, s6
	s_addc_u32 s3, s3, s7
	s_lshl_b32 s12, s14, 8
	s_load_b32 s24, s[2:3], 0x0
	s_waitcnt lgkmcnt(0)
	s_cmp_ge_i32 s12, s24
	s_cbranch_scc1 .LBB958_2
; %bb.5:
	s_clause 0x1
	s_load_b128 s[20:23], s[0:1], 0x8
	s_load_b64 s[2:3], s[0:1], 0x20
	s_and_not1_b32 vcc_lo, exec_lo, s8
	s_cbranch_vccnz .LBB958_7
; %bb.6:
	s_add_u32 s4, s4, s6
	s_addc_u32 s5, s5, s7
	s_load_b32 s5, s[4:5], 0x0
	s_branch .LBB958_8
.LBB958_7:
	s_mov_b32 s5, s34
.LBB958_8:
	s_load_b128 s[16:19], s[0:1], 0x48
	v_and_b32_e32 v68, 15, v0
	v_lshrrev_b32_e32 v69, 5, v0
	v_bfe_u32 v66, v0, 4, 1
	v_and_b32_e32 v70, 31, v0
	v_and_b32_e32 v67, 1, v0
	v_lshlrev_b32_e32 v2, 3, v68
	s_mul_i32 s31, s15, 9
	v_lshl_or_b32 v1, v69, 1, v66
	s_mov_b32 s4, exec_lo
	s_delay_alu instid0(VALU_DEP_2) | instskip(NEXT) | instid1(VALU_DEP_2)
	v_lshlrev_b32_e32 v65, 1, v2
	v_cmpx_gt_u32_e32 9, v1
	s_cbranch_execz .LBB958_10
; %bb.9:
	s_load_b64 s[6:7], s[0:1], 0x0
	v_add_lshl_u32 v2, v1, s31, 7
	s_waitcnt lgkmcnt(0)
	s_mul_hi_i32 s9, s5, s16
	s_mul_i32 s8, s5, s16
	v_lshlrev_b32_e32 v6, 10, v68
	s_lshl_b64 s[8:9], s[8:9], 1
	v_ashrrev_i32_e32 v3, 31, v2
	v_lshlrev_b32_e32 v1, 6, v1
	v_lshlrev_b32_e32 v7, 10, v67
	v_and_b32_e32 v6, 0x3800, v6
	s_delay_alu instid0(VALU_DEP_4) | instskip(NEXT) | instid1(VALU_DEP_2)
	v_lshlrev_b64 v[2:3], 1, v[2:3]
	v_or3_b32 v1, v6, v7, v1
	s_add_u32 s5, s6, s8
	s_addc_u32 s6, s7, s9
	s_delay_alu instid0(VALU_DEP_2) | instskip(NEXT) | instid1(VALU_DEP_3)
	v_add_co_u32 v2, vcc_lo, s5, v2
	v_add_co_ci_u32_e32 v3, vcc_lo, s6, v3, vcc_lo
	s_delay_alu instid0(VALU_DEP_2) | instskip(NEXT) | instid1(VALU_DEP_2)
	v_add_co_u32 v2, vcc_lo, v2, v65
	v_add_co_ci_u32_e32 v3, vcc_lo, 0, v3, vcc_lo
	global_load_b128 v[2:5], v[2:3], off
	s_waitcnt vmcnt(0)
	ds_store_b128 v1, v[2:5]
.LBB958_10:
	s_or_b32 exec_lo, exec_lo, s4
	v_and_b32_e32 v1, 0xef, v0
	s_waitcnt lgkmcnt(0)
	s_add_i32 s5, s24, 15
	s_clause 0x1
	s_load_b32 s4, s[0:1], 0x38
	s_load_b32 s33, s[0:1], 0x98
	s_ashr_i32 s6, s5, 31
	v_add_nc_u32_e32 v1, s12, v1
	s_lshr_b32 s6, s6, 28
	s_load_b32 s19, s[0:1], 0x1c
	s_add_i32 s5, s5, s6
	s_waitcnt lgkmcnt(0)
	v_ashrrev_i32_e32 v2, 31, v1
	v_or_b32_e32 v3, 16, v1
	s_ashr_i32 s13, s5, 4
	v_cmp_gt_i32_e32 vcc_lo, s24, v1
	s_add_i32 s13, s13, -1
	v_lshrrev_b32_e32 v2, 28, v2
	s_barrier
	buffer_gl0_inv
	s_mul_i32 s15, s15, s18
	v_add_nc_u32_e32 v4, v1, v2
	s_mul_i32 s4, s34, s4
	s_delay_alu instid0(SALU_CYCLE_1) | instskip(NEXT) | instid1(VALU_DEP_1)
	s_ashr_i32 s5, s4, 31
	v_ashrrev_i32_e32 v4, 4, v4
	v_add_nc_u32_e32 v2, v3, v2
	s_lshl_b64 s[4:5], s[4:5], 2
	s_delay_alu instid0(SALU_CYCLE_1) | instskip(NEXT) | instid1(VALU_DEP_2)
	s_add_u32 s16, s2, s4
	v_cndmask_b32_e32 v1, s13, v4, vcc_lo
	s_delay_alu instid0(VALU_DEP_2)
	v_ashrrev_i32_e32 v2, 4, v2
	v_cmp_gt_i32_e32 vcc_lo, s24, v3
	s_addc_u32 s25, s3, s5
	s_ashr_i32 s18, s15, 31
	s_add_u32 s26, s20, s15
	s_addc_u32 s27, s21, s18
	v_cndmask_b32_e32 v3, s13, v2, vcc_lo
	v_ashrrev_i32_e32 v2, 31, v1
	s_lshl_b32 s2, s14, 4
	s_delay_alu instid0(SALU_CYCLE_1) | instskip(NEXT) | instid1(VALU_DEP_2)
	s_ashr_i32 s3, s2, 31
	v_ashrrev_i32_e32 v4, 31, v3
	s_delay_alu instid0(VALU_DEP_2) | instskip(SKIP_1) | instid1(SALU_CYCLE_1)
	v_lshlrev_b64 v[1:2], 2, v[1:2]
	s_lshl_b64 s[2:3], s[2:3], 2
	s_add_u32 s2, s16, s2
	s_delay_alu instid0(VALU_DEP_2) | instskip(SKIP_1) | instid1(VALU_DEP_2)
	v_lshlrev_b64 v[3:4], 2, v[3:4]
	s_addc_u32 s3, s25, s3
	v_add_co_u32 v1, vcc_lo, s16, v1
	v_add_co_ci_u32_e32 v2, vcc_lo, s25, v2, vcc_lo
	s_delay_alu instid0(VALU_DEP_3) | instskip(NEXT) | instid1(VALU_DEP_4)
	v_add_co_u32 v3, vcc_lo, s16, v3
	v_add_co_ci_u32_e32 v4, vcc_lo, s25, v4, vcc_lo
	s_clause 0x1
	global_load_b32 v5, v[1:2], off
	global_load_b32 v7, v[3:4], off
	s_or_b32 s4, s12, 32
	v_lshlrev_b32_e32 v1, 4, v0
	s_ashr_i32 s5, s4, 4
	s_cmp_lt_i32 s4, s24
	v_cmp_gt_u32_e32 vcc_lo, 9, v68
	s_cselect_b32 s4, s5, s13
	v_and_b32_e32 v1, 0xf0, v1
	s_ashr_i32 s5, s4, 31
	s_delay_alu instid0(SALU_CYCLE_1) | instskip(NEXT) | instid1(SALU_CYCLE_1)
	s_lshl_b64 s[4:5], s[4:5], 2
	s_add_u32 s4, s16, s4
	s_addc_u32 s5, s25, s5
	s_or_b32 s6, s12, 64
	v_add_co_u32 v1, s26, s26, v1
	s_ashr_i32 s7, s6, 4
	s_cmp_lt_i32 s6, s24
	v_add_co_ci_u32_e64 v2, null, s27, 0, s26
	s_cselect_b32 s6, s7, s13
	s_delay_alu instid0(SALU_CYCLE_1) | instskip(NEXT) | instid1(SALU_CYCLE_1)
	s_ashr_i32 s7, s6, 31
	s_lshl_b64 s[6:7], s[6:7], 2
	s_delay_alu instid0(SALU_CYCLE_1) | instskip(SKIP_2) | instid1(SALU_CYCLE_1)
	s_add_u32 s6, s16, s6
	s_addc_u32 s7, s25, s7
	s_or_b32 s8, s12, 0x60
	s_ashr_i32 s9, s8, 4
	s_cmp_lt_i32 s8, s24
	s_cselect_b32 s8, s9, s13
	s_delay_alu instid0(SALU_CYCLE_1) | instskip(NEXT) | instid1(SALU_CYCLE_1)
	s_ashr_i32 s9, s8, 31
	s_lshl_b64 s[8:9], s[8:9], 2
	s_delay_alu instid0(SALU_CYCLE_1) | instskip(SKIP_2) | instid1(SALU_CYCLE_1)
	s_add_u32 s8, s16, s8
	s_addc_u32 s9, s25, s9
	s_or_b32 s10, s12, 0x80
	s_ashr_i32 s11, s10, 4
	s_cmp_lt_i32 s10, s24
	;; [unrolled: 10-line block ×3, first 2 shown]
	s_cselect_b32 s20, s21, s13
	s_delay_alu instid0(SALU_CYCLE_1) | instskip(NEXT) | instid1(SALU_CYCLE_1)
	s_ashr_i32 s21, s20, 31
	s_lshl_b64 s[20:21], s[20:21], 2
	s_delay_alu instid0(SALU_CYCLE_1)
	s_add_u32 s20, s16, s20
	s_addc_u32 s21, s25, s21
	s_clause 0x5
	s_load_b32 s26, s[2:3], 0x0
	s_load_b32 s27, s[4:5], 0x0
	;; [unrolled: 1-line block ×6, first 2 shown]
	s_or_b32 s2, s12, 0xc0
	s_mov_b32 s4, 0
	s_ashr_i32 s3, s2, 4
	s_cmp_lt_i32 s2, s24
	s_mov_b32 s11, s4
	s_cselect_b32 s2, s3, s13
	s_mov_b32 s5, s4
	s_ashr_i32 s3, s2, 31
	s_mov_b32 s6, s4
	s_lshl_b64 s[2:3], s[2:3], 2
	s_mov_b32 s7, s4
	s_add_u32 s2, s16, s2
	s_addc_u32 s3, s25, s3
	s_or_b32 s20, s12, 0xe0
	s_mov_b32 s8, s4
	s_ashr_i32 s21, s20, 4
	s_cmp_lt_i32 s20, s24
	s_mov_b32 s9, s4
	s_cselect_b32 s20, s21, s13
	s_mov_b32 s10, s4
	s_ashr_i32 s21, s20, 31
	v_mov_b32_e32 v118, s11
	v_dual_mov_b32 v112, s5 :: v_dual_mov_b32 v117, s10
	v_dual_mov_b32 v116, s9 :: v_dual_mov_b32 v115, s8
	;; [unrolled: 1-line block ×3, first 2 shown]
	v_mov_b32_e32 v111, s4
	s_lshl_b64 s[4:5], s[20:21], 2
	s_delay_alu instid0(SALU_CYCLE_1)
	s_add_u32 s4, s16, s4
	s_addc_u32 s5, s25, s5
	s_add_u32 s6, s22, s15
	s_addc_u32 s7, s23, s18
	s_waitcnt vmcnt(1)
	v_mad_i64_i32 v[3:4], null, v5, s17, v[1:2]
	s_waitcnt vmcnt(0)
	v_mad_i64_i32 v[5:6], null, v7, s17, v[1:2]
	v_add_nc_u32_e32 v1, -9, v68
	v_lshlrev_b32_e32 v2, 4, v68
	s_clause 0xf
	global_load_b128 v[17:20], v[3:4], off
	global_load_b128 v[21:24], v[3:4], off offset:256
	global_load_b128 v[25:28], v[5:6], off
	global_load_b128 v[29:32], v[5:6], off offset:256
	global_load_b128 v[57:60], v[3:4], off offset:512
	;; [unrolled: 1-line block ×13, first 2 shown]
	v_cndmask_b32_e32 v1, v1, v68, vcc_lo
	s_delay_alu instid0(VALU_DEP_1)
	v_lshlrev_b32_e32 v149, 6, v1
	v_lshl_or_b32 v1, v69, 8, v2
	ds_load_b128 v[119:122], v149
	ds_load_b128 v[123:126], v149 offset:1024
	ds_load_b128 v[127:130], v149 offset:2048
	;; [unrolled: 1-line block ×3, first 2 shown]
	s_clause 0x1
	s_load_b32 s2, s[2:3], 0x0
	s_load_b32 s3, s[4:5], 0x0
	v_add_co_u32 v135, s6, s6, v1
	s_delay_alu instid0(VALU_DEP_1) | instskip(SKIP_1) | instid1(VALU_DEP_1)
	v_add_co_ci_u32_e64 v136, null, s7, 0, s6
	s_waitcnt lgkmcnt(0)
	v_mad_i64_i32 v[1:2], null, s26, s17, v[135:136]
	v_mad_i64_i32 v[3:4], null, s27, s17, v[135:136]
	;; [unrolled: 1-line block ×6, first 2 shown]
	s_clause 0x9
	global_load_b128 v[49:52], v[1:2], off
	global_load_b128 v[53:56], v[1:2], off offset:16
	global_load_b128 v[41:44], v[3:4], off
	global_load_b128 v[45:48], v[3:4], off offset:16
	;; [unrolled: 2-line block ×5, first 2 shown]
	v_mad_i64_i32 v[145:146], null, s2, s17, v[135:136]
	v_mad_i64_i32 v[147:148], null, s3, s17, v[135:136]
	s_waitcnt vmcnt(24)
	v_wmma_f32_16x16x16_f16 v[135:142], v[17:24], v[119:126], v[111:118]
	s_waitcnt vmcnt(22)
	v_wmma_f32_16x16x16_f16 v[111:118], v[25:32], v[119:126], v[111:118]
	s_clause 0x3
	global_load_b128 v[17:20], v[143:144], off
	global_load_b128 v[21:24], v[143:144], off offset:16
	global_load_b128 v[25:28], v[145:146], off
	global_load_b128 v[29:32], v[145:146], off offset:16
	v_and_b32_e32 v119, 0xe0, v0
	s_waitcnt vmcnt(24)
	v_wmma_f32_16x16x16_f16 v[135:142], v[57:64], v[127:134], v[135:142]
	s_clause 0x1
	global_load_b128 v[57:60], v[147:148], off
	global_load_b128 v[61:64], v[147:148], off offset:16
	s_waitcnt vmcnt(24)
	v_wmma_f32_16x16x16_f16 v[111:118], v[71:78], v[127:134], v[111:118]
	ds_load_b128 v[71:74], v149 offset:4096
	ds_load_b128 v[75:78], v149 offset:5120
	v_add_nc_u32_e32 v128, s12, v119
	ds_load_b128 v[119:122], v149 offset:6144
	ds_load_b128 v[123:126], v149 offset:7168
	v_mbcnt_lo_u32_b32 v127, -1, 0
	s_waitcnt vmcnt(0) lgkmcnt(0)
	s_barrier
	v_or_b32_e32 v128, v128, v66
	buffer_gl0_inv
	v_xor_b32_e32 v129, 16, v127
	v_or_b32_e32 v130, 4, v128
	v_or_b32_e32 v131, 6, v128
	s_delay_alu instid0(VALU_DEP_3) | instskip(SKIP_4) | instid1(VALU_DEP_4)
	v_cmp_gt_i32_e32 vcc_lo, 32, v129
	v_or_b32_e32 v132, 8, v128
	v_or_b32_e32 v133, 10, v128
	v_cmp_gt_i32_e64 s3, s24, v130
	v_cmp_gt_i32_e64 s4, s24, v131
	;; [unrolled: 1-line block ×3, first 2 shown]
	v_wmma_f32_16x16x16_f16 v[135:142], v[79:86], v[71:78], v[135:142]
	v_wmma_f32_16x16x16_f16 v[111:118], v[87:94], v[71:78], v[111:118]
	v_or_b32_e32 v79, 12, v128
	v_or_b32_e32 v80, 14, v128
	v_cmp_gt_i32_e64 s6, s24, v133
	v_wmma_f32_16x16x16_f16 v[135:142], v[95:102], v[119:126], v[135:142]
	v_wmma_f32_16x16x16_f16 v[111:118], v[103:110], v[119:126], v[111:118]
	v_cndmask_b32_e32 v127, v127, v129, vcc_lo
	v_or_b32_e32 v129, 2, v128
	v_cmp_gt_i32_e32 vcc_lo, s24, v128
	v_mul_f32_e32 v88, s19, v135
	v_dual_mul_f32 v92, s19, v115 :: v_dual_mul_f32 v87, s19, v136
	s_delay_alu instid0(VALU_DEP_4)
	v_cmp_gt_i32_e64 s2, s24, v129
	v_mul_f32_e32 v78, s19, v138
	v_mul_f32_e32 v86, s19, v137
	v_cndmask_b32_e32 v88, 0xff7fffff, v88, vcc_lo
	v_mul_f32_e32 v76, s19, v140
	v_cndmask_b32_e64 v87, 0xff7fffff, v87, s2
	v_dual_mul_f32 v77, s19, v139 :: v_dual_mul_f32 v94, s19, v113
	v_cndmask_b32_e64 v86, 0xff7fffff, v86, s3
	v_cndmask_b32_e64 v78, 0xff7fffff, v78, s4
	s_delay_alu instid0(VALU_DEP_4)
	v_max3_f32 v87, v88, 0xff7fffff, v87
	v_or_b32_e32 v81, 16, v128
	v_or_b32_e32 v82, 18, v128
	v_dual_mul_f32 v74, s19, v142 :: v_dual_mul_f32 v75, s19, v141
	v_mul_f32_e32 v96, s19, v111
	v_cndmask_b32_e64 v77, 0xff7fffff, v77, s5
	v_cndmask_b32_e64 v76, 0xff7fffff, v76, s6
	v_max3_f32 v78, v87, v86, v78
	v_cmp_gt_i32_e64 s7, s24, v79
	v_cmp_gt_i32_e64 s8, s24, v80
	v_or_b32_e32 v83, 20, v128
	v_or_b32_e32 v84, 22, v128
	v_mul_f32_e32 v95, s19, v112
	v_cndmask_b32_e64 v75, 0xff7fffff, v75, s7
	v_cndmask_b32_e64 v74, 0xff7fffff, v74, s8
	v_max3_f32 v76, v78, v77, v76
	v_cmp_gt_i32_e64 s9, s24, v81
	v_cmp_gt_i32_e64 s10, s24, v82
	v_or_b32_e32 v85, 24, v128
	v_or_b32_e32 v71, 26, v128
	;; [unrolled: 8-line block ×3, first 2 shown]
	v_mul_f32_e32 v91, s19, v116
	v_cndmask_b32_e64 v75, 0xff7fffff, v94, s11
	v_cndmask_b32_e64 v76, 0xff7fffff, v93, s12
	v_max3_f32 v74, v74, v77, v78
	v_cmp_gt_i32_e64 s13, s24, v85
	v_cmp_gt_i32_e64 s15, s24, v71
	v_dual_mul_f32 v89, s19, v118 :: v_dual_mul_f32 v90, s19, v117
	s_delay_alu instid0(VALU_DEP_4) | instskip(NEXT) | instid1(VALU_DEP_4)
	v_max3_f32 v74, v74, v75, v76
	v_cndmask_b32_e64 v77, 0xff7fffff, v92, s13
	s_delay_alu instid0(VALU_DEP_4) | instskip(SKIP_2) | instid1(VALU_DEP_3)
	v_cndmask_b32_e64 v71, 0xff7fffff, v91, s15
	v_cmp_gt_i32_e64 s16, s24, v72
	v_cmp_gt_i32_e64 s17, s24, v73
	v_max3_f32 v71, v74, v77, v71
	s_delay_alu instid0(VALU_DEP_3) | instskip(NEXT) | instid1(VALU_DEP_3)
	v_cndmask_b32_e64 v72, 0xff7fffff, v90, s16
	v_cndmask_b32_e64 v73, 0xff7fffff, v89, s17
	v_lshlrev_b32_e32 v74, 2, v127
	s_delay_alu instid0(VALU_DEP_2) | instskip(SKIP_3) | instid1(VALU_DEP_1)
	v_max3_f32 v71, v71, v72, v73
	ds_bpermute_b32 v72, v74, v71
	s_waitcnt lgkmcnt(0)
	v_max_f32_e32 v72, v72, v72
	v_max_f32_e32 v71, v71, v72
	s_delay_alu instid0(VALU_DEP_1) | instskip(SKIP_4) | instid1(VALU_DEP_4)
	v_fma_f32 v72, s19, v135, -v71
	v_fma_f32 v73, s19, v136, -v71
	;; [unrolled: 1-line block ×5, first 2 shown]
	v_dual_mul_f32 v72, 0x3fb8aa3b, v72 :: v_dual_mul_f32 v73, 0x3fb8aa3b, v73
	v_fma_f32 v80, s19, v141, -v71
	s_delay_alu instid0(VALU_DEP_3) | instskip(NEXT) | instid1(VALU_DEP_3)
	v_dual_mul_f32 v76, 0x3fb8aa3b, v76 :: v_dual_mul_f32 v77, 0x3fb8aa3b, v77
	v_exp_f32_e32 v72, v72
	s_delay_alu instid0(VALU_DEP_3) | instskip(NEXT) | instid1(VALU_DEP_2)
	v_exp_f32_e32 v73, v73
	v_mul_f32_e32 v82, 0x3fb8aa3b, v80
	s_delay_alu instid0(VALU_DEP_2) | instskip(SKIP_1) | instid1(VALU_DEP_1)
	v_exp_f32_e32 v76, v76
	v_exp_f32_e32 v77, v77
	;; [unrolled: 1-line block ×3, first 2 shown]
	v_cndmask_b32_e32 v79, 0, v72, vcc_lo
	v_fma_f32 v72, s19, v140, -v71
	v_mul_f32_e32 v75, 0x3fb8aa3b, v75
	v_cndmask_b32_e64 v78, 0, v73, s2
	s_delay_alu instid0(TRANS32_DEP_3) | instskip(NEXT) | instid1(VALU_DEP_4)
	v_cndmask_b32_e64 v80, 0, v76, s4
	v_dual_add_f32 v73, 0, v79 :: v_dual_mul_f32 v72, 0x3fb8aa3b, v72
	s_delay_alu instid0(VALU_DEP_4) | instskip(NEXT) | instid1(TRANS32_DEP_3)
	v_exp_f32_e32 v75, v75
	v_cndmask_b32_e64 v83, 0, v77, s5
	s_delay_alu instid0(TRANS32_DEP_2) | instskip(NEXT) | instid1(VALU_DEP_3)
	v_cndmask_b32_e64 v85, 0, v84, s7
	v_add_f32_e32 v73, v73, v78
	v_exp_f32_e32 v72, v72
	v_cmp_gt_u32_e64 s2, 16, v70
	s_waitcnt_depctr 0xfff
	v_cndmask_b32_e64 v81, 0, v75, s3
	v_cndmask_b32_e64 v82, 0, v72, s6
	s_delay_alu instid0(VALU_DEP_2) | instskip(NEXT) | instid1(VALU_DEP_1)
	v_add_f32_e32 v73, v73, v81
	v_add_f32_e32 v73, v73, v80
	s_delay_alu instid0(VALU_DEP_1) | instskip(NEXT) | instid1(VALU_DEP_1)
	v_add_f32_e32 v72, v73, v83
	v_add_f32_e32 v72, v72, v82
	s_delay_alu instid0(VALU_DEP_1)
	v_add_f32_e32 v72, v72, v85
	v_fma_f32 v76, s19, v111, -v71
	v_fma_f32 v75, s19, v142, -v71
	;; [unrolled: 1-line block ×5, first 2 shown]
	v_mul_f32_e32 v76, 0x3fb8aa3b, v76
	s_delay_alu instid0(VALU_DEP_4) | instskip(NEXT) | instid1(VALU_DEP_2)
	v_mul_f32_e32 v86, 0x3fb8aa3b, v86
	v_exp_f32_e32 v76, v76
	s_delay_alu instid0(VALU_DEP_1)
	v_exp_f32_e32 v88, v86
	s_waitcnt_depctr 0xfff
	v_cndmask_b32_e64 v87, 0, v76, s9
	v_fma_f32 v76, s19, v116, -v71
	v_mul_f32_e32 v75, 0x3fb8aa3b, v75
	v_cndmask_b32_e64 v88, 0, v88, s12
	s_delay_alu instid0(VALU_DEP_3) | instskip(NEXT) | instid1(VALU_DEP_3)
	v_dual_mul_f32 v73, 0x3fb8aa3b, v73 :: v_dual_mul_f32 v76, 0x3fb8aa3b, v76
	v_exp_f32_e32 v75, v75
	s_delay_alu instid0(VALU_DEP_1) | instskip(NEXT) | instid1(VALU_DEP_1)
	v_exp_f32_e32 v73, v73
	v_exp_f32_e32 v76, v76
	s_delay_alu instid0(TRANS32_DEP_3)
	v_cndmask_b32_e64 v84, 0, v75, s8
	v_fma_f32 v75, s19, v115, -v71
	s_waitcnt_depctr 0xfff
	v_cndmask_b32_e64 v89, 0, v73, s11
	v_cndmask_b32_e64 v90, 0, v76, s15
	v_add_f32_e32 v72, v72, v84
	s_delay_alu instid0(VALU_DEP_1) | instskip(NEXT) | instid1(VALU_DEP_1)
	v_dual_add_f32 v72, v72, v87 :: v_dual_mul_f32 v77, 0x3fb8aa3b, v77
	v_exp_f32_e32 v77, v77
	s_waitcnt_depctr 0xfff
	v_cndmask_b32_e64 v86, 0, v77, s10
	v_fma_f32 v77, s19, v117, -v71
	s_delay_alu instid0(VALU_DEP_2) | instskip(NEXT) | instid1(VALU_DEP_1)
	v_dual_add_f32 v72, v72, v86 :: v_dual_mul_f32 v75, 0x3fb8aa3b, v75
	v_add_f32_e32 v72, v72, v89
	s_delay_alu instid0(VALU_DEP_2) | instskip(NEXT) | instid1(VALU_DEP_1)
	v_exp_f32_e32 v75, v75
	v_add_f32_e32 v72, v72, v88
	s_waitcnt_depctr 0xfff
	v_cndmask_b32_e64 v91, 0, v75, s13
	v_mul_f32_e32 v73, 0x3fb8aa3b, v77
	v_fma_f32 v77, s19, v118, -v71
	s_delay_alu instid0(VALU_DEP_3) | instskip(NEXT) | instid1(VALU_DEP_3)
	v_add_f32_e32 v72, v72, v91
	v_exp_f32_e32 v73, v73
	s_delay_alu instid0(VALU_DEP_1) | instskip(NEXT) | instid1(VALU_DEP_1)
	v_dual_mul_f32 v75, 0x3fb8aa3b, v77 :: v_dual_add_f32 v72, v72, v90
	v_exp_f32_e32 v75, v75
	s_waitcnt_depctr 0xfff
	v_cndmask_b32_e64 v93, 0, v73, s16
	s_delay_alu instid0(VALU_DEP_1) | instskip(SKIP_1) | instid1(VALU_DEP_1)
	v_add_f32_e32 v72, v72, v93
	v_cndmask_b32_e64 v92, 0, v75, s17
	v_add_f32_e32 v72, v72, v92
	ds_bpermute_b32 v73, v74, v72
	s_and_saveexec_b32 s3, s2
	s_cbranch_execz .LBB958_12
; %bb.11:
	v_mul_u32_u24_e32 v70, 0x44, v69
	s_waitcnt lgkmcnt(0)
	v_add_f32_e32 v72, v72, v73
	s_delay_alu instid0(VALU_DEP_2) | instskip(NEXT) | instid1(VALU_DEP_1)
	v_lshl_add_u32 v70, v68, 2, v70
	v_add_nc_u32_e32 v70, 0x4000, v70
	ds_store_2addr_b32 v70, v71, v72 offset1:136
.LBB958_12:
	s_or_b32 exec_lo, exec_lo, s3
	v_lshlrev_b32_e32 v70, 2, v68
	s_load_b32 s35, s[0:1], 0x94
	s_waitcnt lgkmcnt(0)
	s_barrier
	buffer_gl0_inv
	v_add_nc_u32_e32 v98, 0x4000, v70
	v_cmp_eq_u32_e32 vcc_lo, 1, v69
	v_cmp_eq_u32_e64 s3, 2, v69
	v_cmp_eq_u32_e64 s4, 3, v69
	;; [unrolled: 1-line block ×3, first 2 shown]
	ds_load_2addr_b32 v[70:71], v98 offset1:17
	ds_load_2addr_b32 v[72:73], v98 offset0:34 offset1:51
	ds_load_2addr_b32 v[74:75], v98 offset0:68 offset1:85
	;; [unrolled: 1-line block ×3, first 2 shown]
	v_cmp_eq_u32_e64 s6, 5, v69
	v_cmp_eq_u32_e64 s7, 7, v69
	s_waitcnt lgkmcnt(3)
	v_max3_f32 v76, v70, 0xff7fffff, v71
	s_waitcnt lgkmcnt(2)
	s_delay_alu instid0(VALU_DEP_1) | instskip(SKIP_1) | instid1(VALU_DEP_1)
	v_max3_f32 v76, v76, v72, v73
	s_waitcnt lgkmcnt(1)
	v_max3_f32 v76, v76, v74, v75
	s_waitcnt lgkmcnt(0)
	s_delay_alu instid0(VALU_DEP_1) | instskip(NEXT) | instid1(VALU_DEP_1)
	v_max3_f32 v76, v76, v94, v95
	v_sub_f32_e32 v77, v71, v76
	ds_load_2addr_b32 v[96:97], v98 offset0:136 offset1:153
	v_sub_f32_e32 v74, v74, v76
	v_sub_f32_e32 v70, v70, v76
	;; [unrolled: 1-line block ×3, first 2 shown]
	v_dual_sub_f32 v72, v72, v76 :: v_dual_mul_f32 v77, 0x3fb8aa3b, v77
	s_delay_alu instid0(VALU_DEP_4) | instskip(NEXT) | instid1(VALU_DEP_4)
	v_mul_f32_e32 v103, 0x3fb8aa3b, v74
	v_mul_f32_e32 v99, 0x3fb8aa3b, v70
	ds_load_2addr_b32 v[70:71], v98 offset0:170 offset1:187
	v_dual_mul_f32 v101, 0x3fb8aa3b, v72 :: v_dual_mul_f32 v94, 0x3fb8aa3b, v94
	v_exp_f32_e32 v102, v77
	v_exp_f32_e32 v99, v99
	s_delay_alu instid0(VALU_DEP_1) | instskip(NEXT) | instid1(VALU_DEP_1)
	v_exp_f32_e32 v101, v101
	v_exp_f32_e32 v94, v94
	s_waitcnt lgkmcnt(1)
	s_delay_alu instid0(TRANS32_DEP_3)
	v_fma_f32 v77, v99, v96, 0
	v_sub_f32_e32 v100, v73, v76
	ds_load_2addr_b32 v[72:73], v98 offset0:204 offset1:221
	v_fmac_f32_e32 v77, v102, v97
	v_exp_f32_e32 v97, v103
	s_waitcnt lgkmcnt(1)
	s_delay_alu instid0(VALU_DEP_1)
	v_dual_fmac_f32 v77, v101, v70 :: v_dual_sub_f32 v96, v75, v76
	ds_load_2addr_b32 v[74:75], v98 offset0:238 offset1:255
	v_sub_f32_e32 v70, v95, v76
	s_waitcnt lgkmcnt(0)
	s_barrier
	v_mul_f32_e32 v96, 0x3fb8aa3b, v96
	buffer_gl0_inv
	v_exp_f32_e32 v95, v96
	v_mul_f32_e32 v100, 0x3fb8aa3b, v100
	s_delay_alu instid0(VALU_DEP_1) | instskip(SKIP_3) | instid1(VALU_DEP_2)
	v_exp_f32_e32 v100, v100
	s_waitcnt_depctr 0xfff
	v_dual_fmac_f32 v77, v100, v71 :: v_dual_mul_f32 v70, 0x3fb8aa3b, v70
	v_cndmask_b32_e32 v71, v99, v102, vcc_lo
	v_fmac_f32_e32 v77, v97, v72
	s_delay_alu instid0(VALU_DEP_3) | instskip(NEXT) | instid1(VALU_DEP_1)
	v_exp_f32_e32 v96, v70
	v_fmac_f32_e32 v77, v95, v73
	s_delay_alu instid0(VALU_DEP_1) | instskip(SKIP_2) | instid1(VALU_DEP_1)
	v_fmac_f32_e32 v77, v94, v74
	s_waitcnt_depctr 0xfff
	v_fmac_f32_e32 v77, v96, v75
	v_add_f32_e32 v74, 0x358637bd, v77
	s_delay_alu instid0(VALU_DEP_1) | instskip(SKIP_1) | instid1(VALU_DEP_2)
	v_div_scale_f32 v98, null, v74, v74, 1.0
	v_div_scale_f32 v99, vcc_lo, 1.0, v74, 1.0
	v_rcp_f32_e32 v103, v98
	s_waitcnt_depctr 0xfff
	v_fma_f32 v70, -v98, v103, 1.0
	s_delay_alu instid0(VALU_DEP_1) | instskip(SKIP_2) | instid1(VALU_DEP_2)
	v_fmac_f32_e32 v103, v70, v103
	v_cndmask_b32_e64 v70, v71, v101, s3
	v_cmp_eq_u32_e64 s3, 6, v69
	v_cndmask_b32_e64 v71, v70, v100, s4
	s_delay_alu instid0(VALU_DEP_4) | instskip(NEXT) | instid1(VALU_DEP_2)
	v_dual_mul_f32 v101, v99, v103 :: v_dual_lshlrev_b32 v70, 2, v66
	v_cndmask_b32_e64 v71, v71, v97, s5
	s_delay_alu instid0(VALU_DEP_2) | instskip(NEXT) | instid1(VALU_DEP_3)
	v_or_b32_e32 v72, 1, v70
	v_fma_f32 v100, -v98, v101, v99
	v_cmp_eq_u32_e64 s4, 1, v70
	v_cmp_eq_u32_e64 s5, 2, v70
	v_cndmask_b32_e64 v95, v71, v95, s6
	v_or_b32_e32 v71, 3, v70
	v_fmac_f32_e32 v101, v100, v103
	v_cmp_eq_u32_e64 s9, 1, v72
	v_cmp_eq_u32_e64 s12, 2, v72
	v_cndmask_b32_e64 v94, v95, v94, s3
	v_cmp_eq_u32_e64 s11, 1, v71
	v_fma_f32 v97, -v98, v101, v99
	v_cmp_eq_u32_e64 s16, 2, v71
	v_cmp_eq_u32_e64 s13, 3, v72
	v_cndmask_b32_e64 v94, v94, v96, s7
	v_cmp_eq_u32_e64 s18, 3, v71
	v_div_fmas_f32 v95, v97, v103, v101
	v_cmp_eq_u32_e32 vcc_lo, 3, v70
	v_cmp_eq_u32_e64 s3, 4, v70
	v_cmp_eq_u32_e64 s19, 4, v72
	;; [unrolled: 1-line block ×3, first 2 shown]
	v_div_fixup_f32 v95, v95, v74, 1.0
	v_lshlrev_b32_e32 v73, 6, v68
	v_cmp_eq_u32_e64 s6, 5, v70
	v_cmp_eq_u32_e64 s20, 5, v72
	;; [unrolled: 1-line block ×3, first 2 shown]
	v_mul_f32_e32 v102, v94, v95
	v_lshl_or_b32 v75, v69, 11, v73
	v_or_b32_e32 v69, 2, v70
	v_cmp_eq_u32_e64 s25, 6, v72
	v_cmp_eq_u32_e64 s27, 6, v71
	v_fma_mixlo_f16 v94, v102, v79, 0
	v_fma_mixlo_f16 v95, v102, v81, 0
	;; [unrolled: 1-line block ×8, first 2 shown]
	v_lshl_or_b32 v74, v66, 4, v75
	v_fma_mixhi_f16 v94, v102, v78, 0
	v_fma_mixhi_f16 v95, v102, v80, 0
	v_fma_mixhi_f16 v96, v102, v82, 0
	v_fma_mixhi_f16 v97, v102, v84, 0
	v_fma_mixhi_f16 v98, v102, v86, 0
	v_fma_mixhi_f16 v99, v102, v88, 0
	v_fma_mixhi_f16 v100, v102, v90, 0
	v_fma_mixhi_f16 v101, v102, v92, 0
	ds_store_b128 v74, v[94:97]
	ds_store_b128 v74, v[98:101] offset:1024
	s_waitcnt lgkmcnt(0)
	s_barrier
	buffer_gl0_inv
	ds_load_b128 v[78:81], v75
	ds_load_b128 v[82:85], v75 offset:16
	ds_load_b128 v[86:89], v75 offset:1024
	;; [unrolled: 1-line block ×3, first 2 shown]
	v_cmp_eq_u32_e64 s10, 1, v69
	v_cmp_eq_u32_e64 s15, 2, v69
	;; [unrolled: 1-line block ×11, first 2 shown]
	s_waitcnt lgkmcnt(3)
	v_lshrrev_b32_e32 v94, 16, v78
	s_waitcnt lgkmcnt(2)
	v_lshrrev_b32_e32 v98, 16, v82
	;; [unrolled: 2-line block ×4, first 2 shown]
	v_lshrrev_b32_e32 v95, 16, v79
	v_cndmask_b32_e64 v110, v78, v94, s4
	v_cndmask_b32_e64 v111, v82, v98, s4
	v_cndmask_b32_e64 v112, v78, v94, s9
	v_cndmask_b32_e64 v113, v82, v98, s9
	v_cndmask_b32_e64 v114, v78, v94, s10
	v_cndmask_b32_e64 v115, v82, v98, s10
	v_cndmask_b32_e64 v78, v78, v94, s11
	v_cndmask_b32_e64 v82, v82, v98, s11
	v_lshrrev_b32_e32 v99, 16, v83
	v_cndmask_b32_e64 v94, v86, v102, s4
	v_cndmask_b32_e64 v98, v90, v106, s4
	;; [unrolled: 1-line block ×15, first 2 shown]
	v_lshrrev_b32_e32 v103, 16, v87
	v_lshrrev_b32_e32 v107, 16, v91
	v_cndmask_b32_e64 v113, v115, v83, s15
	v_cndmask_b32_e64 v82, v94, v87, s5
	;; [unrolled: 1-line block ×7, first 2 shown]
	v_cndmask_b32_e32 v90, v102, v95, vcc_lo
	v_cndmask_b32_e32 v102, v106, v99, vcc_lo
	v_cndmask_b32_e64 v106, v110, v95, s13
	v_cndmask_b32_e64 v110, v111, v99, s13
	;; [unrolled: 1-line block ×4, first 2 shown]
	v_lshrrev_b32_e32 v96, 16, v80
	v_lshrrev_b32_e32 v100, 16, v84
	v_cndmask_b32_e64 v111, v112, v95, s17
	v_cndmask_b32_e64 v112, v113, v99, s17
	v_cndmask_b32_e32 v82, v82, v103, vcc_lo
	v_cndmask_b32_e32 v83, v83, v107, vcc_lo
	v_cndmask_b32_e64 v94, v94, v103, s13
	v_cndmask_b32_e64 v90, v90, v80, s3
	;; [unrolled: 1-line block ×7, first 2 shown]
	v_lshrrev_b32_e32 v104, 16, v88
	v_cndmask_b32_e64 v106, v111, v80, s21
	v_cndmask_b32_e64 v110, v112, v84, s21
	;; [unrolled: 1-line block ×11, first 2 shown]
	v_lshrrev_b32_e32 v97, 16, v81
	v_lshrrev_b32_e32 v101, 16, v85
	v_cndmask_b32_e64 v99, v106, v96, s23
	v_cndmask_b32_e64 v102, v110, v100, s23
	;; [unrolled: 1-line block ×7, first 2 shown]
	v_lshrrev_b32_e32 v105, 16, v89
	v_cndmask_b32_e64 v80, v80, v104, s6
	v_cndmask_b32_e64 v84, v84, v81, s7
	;; [unrolled: 1-line block ×16, first 2 shown]
	v_perm_b32 v81, v79, v78, 0x5040100
	v_perm_b32 v79, v95, v85, 0x5040100
	v_cndmask_b32_e64 v78, v119, v91, s15
	v_cndmask_b32_e64 v85, v117, v91, s12
	;; [unrolled: 1-line block ×3, first 2 shown]
	v_perm_b32 v80, v94, v90, 0x5040100
	v_cndmask_b32_e64 v90, v98, v103, s17
	v_cndmask_b32_e64 v86, v86, v103, s18
	;; [unrolled: 1-line block ×5, first 2 shown]
	v_lshrrev_b32_e32 v108, 16, v92
	v_cndmask_b32_e64 v90, v90, v88, s21
	v_cndmask_b32_e64 v86, v86, v88, s22
	;; [unrolled: 1-line block ×11, first 2 shown]
	v_lshrrev_b32_e32 v109, 16, v93
	v_cndmask_b32_e64 v82, v82, v93, s7
	v_cndmask_b32_e64 v88, v88, v89, s26
	;; [unrolled: 1-line block ×12, first 2 shown]
	v_perm_b32 v78, v84, v83, 0x5040100
	v_perm_b32 v85, v87, v86, 0x5040100
	;; [unrolled: 1-line block ×5, first 2 shown]
	s_mul_i32 s8, s33, 9
	s_mov_b32 s3, exec_lo
	ds_store_b128 v74, v[78:81]
	ds_store_b128 v74, v[82:85] offset:1024
	v_cmpx_gt_u32_e32 9, v0
	s_cbranch_execz .LBB958_14
; %bb.13:
	s_mul_i32 s4, s8, s34
	s_delay_alu instid0(SALU_CYCLE_1) | instskip(SKIP_1) | instid1(VALU_DEP_1)
	v_add3_u32 v68, s4, s31, v68
	s_load_b128 s[4:7], s[0:1], 0x58
	v_mad_u64_u32 v[78:79], null, v68, s35, s[14:15]
	s_delay_alu instid0(VALU_DEP_1) | instskip(NEXT) | instid1(VALU_DEP_1)
	v_ashrrev_i32_e32 v79, 31, v78
	v_lshlrev_b64 v[78:79], 2, v[78:79]
	s_waitcnt lgkmcnt(0)
	s_delay_alu instid0(VALU_DEP_1) | instskip(NEXT) | instid1(VALU_DEP_2)
	v_add_co_u32 v80, vcc_lo, s6, v78
	v_add_co_ci_u32_e32 v81, vcc_lo, s7, v79, vcc_lo
	v_add_co_u32 v78, vcc_lo, s4, v78
	v_add_co_ci_u32_e32 v79, vcc_lo, s5, v79, vcc_lo
	global_store_b32 v[80:81], v76, off
	global_store_b32 v[78:79], v77, off
.LBB958_14:
	s_or_b32 exec_lo, exec_lo, s3
	s_waitcnt lgkmcnt(0)
	s_waitcnt_vscnt null, 0x0
	s_barrier
	buffer_gl0_inv
	ds_load_b128 v[84:87], v73
	ds_load_b128 v[88:91], v73 offset:16
	ds_load_b128 v[96:99], v73 offset:2064
	;; [unrolled: 1-line block ×5, first 2 shown]
	v_cmp_eq_u32_e32 vcc_lo, 1, v70
	v_mov_b32_e32 v76, 0
	ds_load_b128 v[112:115], v73 offset:6160
	ds_load_b128 v[108:111], v73 offset:6144
	;; [unrolled: 1-line block ×4, first 2 shown]
	v_cmp_eq_u32_e64 s4, 1, v69
	v_cmp_eq_u32_e64 s3, 1, v72
	;; [unrolled: 1-line block ×3, first 2 shown]
	v_mov_b32_e32 v77, v76
	v_mov_b32_e32 v78, v76
	;; [unrolled: 1-line block ×7, first 2 shown]
	v_cmp_eq_u32_e64 s6, 3, v72
	v_cmp_eq_u32_e64 s7, 7, v72
	s_waitcnt lgkmcnt(8)
	s_delay_alu instid0(VALU_DEP_3)
	v_wmma_f32_16x16x16_f16 v[76:83], v[49:56], v[84:91], v[76:83]
	ds_load_b128 v[53:56], v73 offset:10256
	ds_load_b128 v[49:52], v73 offset:10240
	s_waitcnt lgkmcnt(8)
	v_wmma_f32_16x16x16_f16 v[76:83], v[41:48], v[92:99], v[76:83]
	ds_load_b128 v[45:48], v73 offset:12304
	ds_load_b128 v[41:44], v73 offset:12288
	s_waitcnt lgkmcnt(8)
	;; [unrolled: 4-line block ×3, first 2 shown]
	s_barrier
	buffer_gl0_inv
	v_wmma_f32_16x16x16_f16 v[76:83], v[1:8], v[108:115], v[76:83]
	s_delay_alu instid0(VALU_DEP_1) | instskip(NEXT) | instid1(VALU_DEP_1)
	v_wmma_f32_16x16x16_f16 v[76:83], v[9:16], v[116:123], v[76:83]
	v_wmma_f32_16x16x16_f16 v[76:83], v[17:24], v[49:56], v[76:83]
	s_delay_alu instid0(VALU_DEP_1) | instskip(NEXT) | instid1(VALU_DEP_1)
	v_wmma_f32_16x16x16_f16 v[76:83], v[25:32], v[41:48], v[76:83]
	v_wmma_f32_16x16x16_f16 v[76:83], v[57:64], v[33:40], v[76:83]
	s_delay_alu instid0(VALU_DEP_1) | instskip(NEXT) | instid1(VALU_DEP_2)
	v_cvt_f16_f32_e32 v1, v76
	v_cvt_f16_f32_e32 v2, v77
	s_delay_alu instid0(VALU_DEP_3) | instskip(NEXT) | instid1(VALU_DEP_4)
	v_cvt_f16_f32_e32 v3, v78
	v_cvt_f16_f32_e32 v4, v79
	;; [unrolled: 1-line block ×6, first 2 shown]
	v_pack_b32_f16 v1, v1, v2
	v_pack_b32_f16 v2, v3, v4
	;; [unrolled: 1-line block ×3, first 2 shown]
	s_delay_alu instid0(VALU_DEP_4)
	v_pack_b32_f16 v4, v7, v8
	ds_store_b128 v74, v[1:4]
	s_waitcnt lgkmcnt(0)
	s_barrier
	buffer_gl0_inv
	ds_load_b128 v[1:4], v75
	ds_load_b128 v[5:8], v75 offset:16
	s_waitcnt lgkmcnt(1)
	v_lshrrev_b32_e32 v9, 16, v1
	s_waitcnt lgkmcnt(0)
	v_lshrrev_b32_e32 v13, 16, v5
	v_lshrrev_b32_e32 v10, 16, v2
	;; [unrolled: 1-line block ×4, first 2 shown]
	v_cndmask_b32_e32 v17, v1, v9, vcc_lo
	v_cndmask_b32_e32 v18, v5, v13, vcc_lo
	v_cndmask_b32_e64 v21, v1, v9, s4
	v_cmp_eq_u32_e32 vcc_lo, 1, v71
	v_cndmask_b32_e64 v22, v5, v13, s4
	v_cmp_eq_u32_e64 s4, 2, v70
	v_cndmask_b32_e64 v19, v1, v9, s3
	v_cndmask_b32_e64 v20, v5, v13, s3
	v_cndmask_b32_e32 v1, v1, v9, vcc_lo
	v_cmp_eq_u32_e64 s3, 2, v71
	v_cndmask_b32_e32 v5, v5, v13, vcc_lo
	v_cndmask_b32_e64 v9, v17, v2, s4
	v_cmp_eq_u32_e32 vcc_lo, 3, v70
	v_cndmask_b32_e64 v13, v18, v6, s4
	v_cmp_eq_u32_e64 s4, 2, v69
	v_cndmask_b32_e64 v17, v19, v2, s5
	v_cndmask_b32_e64 v18, v20, v6, s5
	v_cmp_eq_u32_e64 s5, 3, v69
	v_cndmask_b32_e64 v1, v1, v2, s3
	v_cndmask_b32_e64 v19, v21, v2, s4
	;; [unrolled: 1-line block ×4, first 2 shown]
	v_cndmask_b32_e32 v5, v9, v10, vcc_lo
	v_cndmask_b32_e32 v6, v13, v14, vcc_lo
	v_cmp_eq_u32_e32 vcc_lo, 3, v71
	v_cndmask_b32_e64 v9, v17, v10, s6
	v_cndmask_b32_e64 v13, v18, v14, s6
	;; [unrolled: 1-line block ×3, first 2 shown]
	v_cmp_eq_u32_e64 s4, 4, v70
	v_cndmask_b32_e32 v1, v1, v10, vcc_lo
	v_cndmask_b32_e32 v2, v2, v14, vcc_lo
	v_cmp_eq_u32_e32 vcc_lo, 4, v72
	v_lshrrev_b32_e32 v15, 16, v7
	v_lshrrev_b32_e32 v16, 16, v8
	v_cndmask_b32_e64 v17, v19, v10, s5
	v_cmp_eq_u32_e64 s3, 4, v71
	v_cndmask_b32_e64 v5, v5, v3, s4
	v_cndmask_b32_e64 v6, v6, v7, s4
	v_cndmask_b32_e32 v9, v9, v3, vcc_lo
	v_cmp_eq_u32_e64 s4, 5, v72
	v_cndmask_b32_e32 v10, v13, v7, vcc_lo
	v_cmp_eq_u32_e32 vcc_lo, 4, v69
	v_cmp_eq_u32_e64 s5, 5, v70
	v_cndmask_b32_e64 v2, v2, v7, s3
	v_cndmask_b32_e64 v9, v9, v11, s4
	;; [unrolled: 1-line block ×3, first 2 shown]
	v_cndmask_b32_e32 v13, v17, v3, vcc_lo
	v_cmp_eq_u32_e64 s4, 5, v69
	v_cndmask_b32_e32 v14, v18, v7, vcc_lo
	v_cndmask_b32_e64 v1, v1, v3, s3
	v_cmp_eq_u32_e32 vcc_lo, 5, v71
	v_lshrrev_b32_e32 v12, 16, v4
	v_cndmask_b32_e64 v13, v13, v11, s4
	v_cndmask_b32_e64 v3, v14, v15, s4
	v_cmp_eq_u32_e64 s4, 6, v71
	v_cndmask_b32_e32 v1, v1, v11, vcc_lo
	v_cndmask_b32_e64 v5, v5, v11, s5
	v_cmp_eq_u32_e64 s6, 6, v70
	v_cndmask_b32_e64 v6, v6, v15, s5
	v_cmp_eq_u32_e64 s5, 6, v72
	v_cmp_eq_u32_e64 s3, 6, v69
	v_cndmask_b32_e64 v1, v1, v4, s4
	v_cndmask_b32_e32 v2, v2, v15, vcc_lo
	v_cmp_eq_u32_e32 vcc_lo, 7, v71
	v_cndmask_b32_e64 v5, v5, v4, s6
	v_cndmask_b32_e64 v9, v9, v4, s5
	;; [unrolled: 1-line block ×3, first 2 shown]
	v_cmp_eq_u32_e64 s6, 7, v70
	v_cndmask_b32_e32 v1, v1, v12, vcc_lo
	v_cndmask_b32_e64 v7, v13, v4, s3
	v_cndmask_b32_e64 v3, v3, v8, s3
	;; [unrolled: 1-line block ×3, first 2 shown]
	v_cmp_eq_u32_e64 s3, 7, v69
	v_cndmask_b32_e64 v4, v10, v8, s5
	v_cndmask_b32_e64 v5, v5, v12, s6
	;; [unrolled: 1-line block ×3, first 2 shown]
	v_cndmask_b32_e32 v2, v2, v16, vcc_lo
	v_cndmask_b32_e64 v7, v7, v12, s3
	v_cndmask_b32_e64 v3, v3, v16, s3
	;; [unrolled: 1-line block ×4, first 2 shown]
	v_perm_b32 v4, v2, v1, 0x5040100
	s_mov_b32 s3, exec_lo
	v_perm_b32 v3, v3, v7, 0x5040100
	v_perm_b32 v2, v8, v9, 0x5040100
	;; [unrolled: 1-line block ×3, first 2 shown]
	ds_store_b128 v74, v[1:4]
	s_waitcnt lgkmcnt(0)
	s_barrier
	buffer_gl0_inv
	v_cmpx_gt_u32_e32 32, v0
	s_cbranch_execz .LBB958_2
; %bb.15:
	s_load_b64 s[4:5], s[0:1], 0x68
	v_lshlrev_b32_e32 v0, 10, v0
	v_lshlrev_b32_e32 v1, 4, v67
	s_lshl_b32 s0, s35, 7
	v_add_nc_u32_e32 v2, s31, v66
	s_mul_i32 s1, s0, s34
	s_delay_alu instid0(SALU_CYCLE_1) | instskip(SKIP_1) | instid1(VALU_DEP_2)
	s_mul_i32 s6, s1, s8
	v_and_or_b32 v0, 0x3800, v0, v1
	v_mul_lo_u32 v1, v2, s0
	s_ashr_i32 s7, s6, 31
	v_add_nc_u32_e32 v3, 2, v2
	s_lshl_b64 s[6:7], s[6:7], 1
	v_add_nc_u32_e32 v4, 4, v2
	v_add_nc_u32_e32 v5, 6, v2
	v_lshl_or_b32 v15, v66, 6, v0
	v_mul_lo_u32 v3, v3, s0
	v_ashrrev_i32_e32 v2, 31, v1
	v_mul_lo_u32 v19, v4, s0
	v_mul_lo_u32 v21, v5, s0
	s_waitcnt lgkmcnt(0)
	s_add_u32 s1, s4, s6
	s_addc_u32 s3, s5, s7
	s_lshl_b32 s4, s14, 7
	v_lshlrev_b64 v[5:6], 1, v[1:2]
	s_ashr_i32 s5, s4, 31
	v_ashrrev_i32_e32 v4, 31, v3
	s_lshl_b64 s[4:5], s[4:5], 1
	v_ashrrev_i32_e32 v20, 31, v19
	s_add_u32 s1, s1, s4
	s_addc_u32 s3, s3, s5
	v_add_co_u32 v1, s1, s1, v65
	s_delay_alu instid0(VALU_DEP_1) | instskip(SKIP_1) | instid1(VALU_DEP_3)
	v_add_co_ci_u32_e64 v2, null, s3, 0, s1
	v_lshlrev_b64 v[25:26], 1, v[3:4]
	v_add_co_u32 v23, vcc_lo, v1, v5
	s_delay_alu instid0(VALU_DEP_3)
	v_add_co_ci_u32_e32 v24, vcc_lo, v2, v6, vcc_lo
	ds_load_b128 v[3:6], v15
	ds_load_b128 v[7:10], v15 offset:128
	ds_load_b128 v[11:14], v15 offset:256
	;; [unrolled: 1-line block ×3, first 2 shown]
	v_ashrrev_i32_e32 v22, 31, v21
	v_lshlrev_b64 v[19:20], 1, v[19:20]
	v_add_co_u32 v25, vcc_lo, v1, v25
	v_add_co_ci_u32_e32 v26, vcc_lo, v2, v26, vcc_lo
	s_delay_alu instid0(VALU_DEP_4) | instskip(NEXT) | instid1(VALU_DEP_4)
	v_lshlrev_b64 v[21:22], 1, v[21:22]
	v_add_co_u32 v19, vcc_lo, v1, v19
	v_add_co_ci_u32_e32 v20, vcc_lo, v2, v20, vcc_lo
	s_delay_alu instid0(VALU_DEP_3) | instskip(NEXT) | instid1(VALU_DEP_4)
	v_add_co_u32 v21, vcc_lo, v1, v21
	v_add_co_ci_u32_e32 v22, vcc_lo, v2, v22, vcc_lo
	s_waitcnt lgkmcnt(3)
	global_store_b128 v[23:24], v[3:6], off
	s_waitcnt lgkmcnt(2)
	global_store_b128 v[25:26], v[7:10], off
	;; [unrolled: 2-line block ×4, first 2 shown]
	s_and_b32 exec_lo, exec_lo, s2
	s_cbranch_execz .LBB958_2
; %bb.16:
	ds_load_b128 v[3:6], v0 offset:512
	s_add_i32 s1, s31, 8
	s_delay_alu instid0(SALU_CYCLE_1) | instskip(NEXT) | instid1(SALU_CYCLE_1)
	s_mul_i32 s0, s1, s0
	s_ashr_i32 s1, s0, 31
	s_delay_alu instid0(SALU_CYCLE_1) | instskip(NEXT) | instid1(SALU_CYCLE_1)
	s_lshl_b64 s[0:1], s[0:1], 1
	v_add_co_u32 v0, vcc_lo, v1, s0
	v_add_co_ci_u32_e32 v1, vcc_lo, s1, v2, vcc_lo
	s_waitcnt lgkmcnt(0)
	global_store_b128 v[0:1], v[3:6], off
	s_nop 0
	s_sendmsg sendmsg(MSG_DEALLOC_VGPRS)
	s_endpgm
	.section	.rodata,"a",@progbits
	.p2align	6, 0x0
	.amdhsa_kernel _Z39paged_attention_ll4mi_QKV_mfma16_kernelIDF16_hLN4vllm18Fp8KVCacheDataTypeE1EhLi16ELi128ELi256ELb0ELi9EL8MFMAType1EEvPKT_PKT0_S8_ifPKiSA_SA_iPKfiiiPfSD_PS3_PT2_iSC_SC_
		.amdhsa_group_segment_fixed_size 17472
		.amdhsa_private_segment_fixed_size 0
		.amdhsa_kernarg_size 400
		.amdhsa_user_sgpr_count 13
		.amdhsa_user_sgpr_dispatch_ptr 0
		.amdhsa_user_sgpr_queue_ptr 0
		.amdhsa_user_sgpr_kernarg_segment_ptr 1
		.amdhsa_user_sgpr_dispatch_id 0
		.amdhsa_user_sgpr_private_segment_size 0
		.amdhsa_wavefront_size32 1
		.amdhsa_uses_dynamic_stack 0
		.amdhsa_enable_private_segment 0
		.amdhsa_system_sgpr_workgroup_id_x 1
		.amdhsa_system_sgpr_workgroup_id_y 1
		.amdhsa_system_sgpr_workgroup_id_z 1
		.amdhsa_system_sgpr_workgroup_info 0
		.amdhsa_system_vgpr_workitem_id 0
		.amdhsa_next_free_vgpr 150
		.amdhsa_next_free_sgpr 36
		.amdhsa_reserve_vcc 1
		.amdhsa_float_round_mode_32 0
		.amdhsa_float_round_mode_16_64 0
		.amdhsa_float_denorm_mode_32 3
		.amdhsa_float_denorm_mode_16_64 3
		.amdhsa_dx10_clamp 1
		.amdhsa_ieee_mode 1
		.amdhsa_fp16_overflow 0
		.amdhsa_workgroup_processor_mode 1
		.amdhsa_memory_ordered 1
		.amdhsa_forward_progress 0
		.amdhsa_shared_vgpr_count 0
		.amdhsa_exception_fp_ieee_invalid_op 0
		.amdhsa_exception_fp_denorm_src 0
		.amdhsa_exception_fp_ieee_div_zero 0
		.amdhsa_exception_fp_ieee_overflow 0
		.amdhsa_exception_fp_ieee_underflow 0
		.amdhsa_exception_fp_ieee_inexact 0
		.amdhsa_exception_int_div_zero 0
	.end_amdhsa_kernel
	.section	.text._Z39paged_attention_ll4mi_QKV_mfma16_kernelIDF16_hLN4vllm18Fp8KVCacheDataTypeE1EhLi16ELi128ELi256ELb0ELi9EL8MFMAType1EEvPKT_PKT0_S8_ifPKiSA_SA_iPKfiiiPfSD_PS3_PT2_iSC_SC_,"axG",@progbits,_Z39paged_attention_ll4mi_QKV_mfma16_kernelIDF16_hLN4vllm18Fp8KVCacheDataTypeE1EhLi16ELi128ELi256ELb0ELi9EL8MFMAType1EEvPKT_PKT0_S8_ifPKiSA_SA_iPKfiiiPfSD_PS3_PT2_iSC_SC_,comdat
.Lfunc_end958:
	.size	_Z39paged_attention_ll4mi_QKV_mfma16_kernelIDF16_hLN4vllm18Fp8KVCacheDataTypeE1EhLi16ELi128ELi256ELb0ELi9EL8MFMAType1EEvPKT_PKT0_S8_ifPKiSA_SA_iPKfiiiPfSD_PS3_PT2_iSC_SC_, .Lfunc_end958-_Z39paged_attention_ll4mi_QKV_mfma16_kernelIDF16_hLN4vllm18Fp8KVCacheDataTypeE1EhLi16ELi128ELi256ELb0ELi9EL8MFMAType1EEvPKT_PKT0_S8_ifPKiSA_SA_iPKfiiiPfSD_PS3_PT2_iSC_SC_
                                        ; -- End function
	.section	.AMDGPU.csdata,"",@progbits
; Kernel info:
; codeLenInByte = 6736
; NumSgprs: 38
; NumVgprs: 150
; ScratchSize: 0
; MemoryBound: 0
; FloatMode: 240
; IeeeMode: 1
; LDSByteSize: 17472 bytes/workgroup (compile time only)
; SGPRBlocks: 4
; VGPRBlocks: 18
; NumSGPRsForWavesPerEU: 38
; NumVGPRsForWavesPerEU: 150
; Occupancy: 9
; WaveLimiterHint : 1
; COMPUTE_PGM_RSRC2:SCRATCH_EN: 0
; COMPUTE_PGM_RSRC2:USER_SGPR: 13
; COMPUTE_PGM_RSRC2:TRAP_HANDLER: 0
; COMPUTE_PGM_RSRC2:TGID_X_EN: 1
; COMPUTE_PGM_RSRC2:TGID_Y_EN: 1
; COMPUTE_PGM_RSRC2:TGID_Z_EN: 1
; COMPUTE_PGM_RSRC2:TIDIG_COMP_CNT: 0
	.section	.text._Z39paged_attention_ll4mi_QKV_mfma16_kernelIDF16_hLN4vllm18Fp8KVCacheDataTypeE1EhLi16ELi128ELi256ELb0ELi10EL8MFMAType1EEvPKT_PKT0_S8_ifPKiSA_SA_iPKfiiiPfSD_PS3_PT2_iSC_SC_,"axG",@progbits,_Z39paged_attention_ll4mi_QKV_mfma16_kernelIDF16_hLN4vllm18Fp8KVCacheDataTypeE1EhLi16ELi128ELi256ELb0ELi10EL8MFMAType1EEvPKT_PKT0_S8_ifPKiSA_SA_iPKfiiiPfSD_PS3_PT2_iSC_SC_,comdat
	.protected	_Z39paged_attention_ll4mi_QKV_mfma16_kernelIDF16_hLN4vllm18Fp8KVCacheDataTypeE1EhLi16ELi128ELi256ELb0ELi10EL8MFMAType1EEvPKT_PKT0_S8_ifPKiSA_SA_iPKfiiiPfSD_PS3_PT2_iSC_SC_ ; -- Begin function _Z39paged_attention_ll4mi_QKV_mfma16_kernelIDF16_hLN4vllm18Fp8KVCacheDataTypeE1EhLi16ELi128ELi256ELb0ELi10EL8MFMAType1EEvPKT_PKT0_S8_ifPKiSA_SA_iPKfiiiPfSD_PS3_PT2_iSC_SC_
	.globl	_Z39paged_attention_ll4mi_QKV_mfma16_kernelIDF16_hLN4vllm18Fp8KVCacheDataTypeE1EhLi16ELi128ELi256ELb0ELi10EL8MFMAType1EEvPKT_PKT0_S8_ifPKiSA_SA_iPKfiiiPfSD_PS3_PT2_iSC_SC_
	.p2align	8
	.type	_Z39paged_attention_ll4mi_QKV_mfma16_kernelIDF16_hLN4vllm18Fp8KVCacheDataTypeE1EhLi16ELi128ELi256ELb0ELi10EL8MFMAType1EEvPKT_PKT0_S8_ifPKiSA_SA_iPKfiiiPfSD_PS3_PT2_iSC_SC_,@function
_Z39paged_attention_ll4mi_QKV_mfma16_kernelIDF16_hLN4vllm18Fp8KVCacheDataTypeE1EhLi16ELi128ELi256ELb0ELi10EL8MFMAType1EEvPKT_PKT0_S8_ifPKiSA_SA_iPKfiiiPfSD_PS3_PT2_iSC_SC_: ; @_Z39paged_attention_ll4mi_QKV_mfma16_kernelIDF16_hLN4vllm18Fp8KVCacheDataTypeE1EhLi16ELi128ELi256ELb0ELi10EL8MFMAType1EEvPKT_PKT0_S8_ifPKiSA_SA_iPKfiiiPfSD_PS3_PT2_iSC_SC_
; %bb.0:
	s_load_b64 s[4:5], s[0:1], 0x30
	s_mov_b32 s30, s13
	s_waitcnt lgkmcnt(0)
	s_cmp_lg_u64 s[4:5], 0
	s_cselect_b32 s8, -1, 0
	s_ashr_i32 s31, s13, 31
	s_cmp_eq_u64 s[4:5], 0
	s_cbranch_scc1 .LBB959_3
; %bb.1:
	s_lshl_b64 s[2:3], s[30:31], 2
	s_delay_alu instid0(SALU_CYCLE_1) | instskip(SKIP_4) | instid1(SALU_CYCLE_1)
	s_add_u32 s2, s4, s2
	s_addc_u32 s3, s5, s3
	s_load_b64 s[2:3], s[2:3], 0x0
	s_waitcnt lgkmcnt(0)
	s_sub_i32 s2, s3, s2
	s_cmp_eq_u32 s2, 1
	s_cselect_b32 s2, -1, 0
	s_delay_alu instid0(SALU_CYCLE_1)
	s_and_not1_b32 vcc_lo, exec_lo, s2
	s_cbranch_vccz .LBB959_4
.LBB959_2:
	s_endpgm
.LBB959_3:
.LBB959_4:
	s_load_b64 s[2:3], s[0:1], 0x28
	s_lshl_b64 s[6:7], s[30:31], 2
	s_waitcnt lgkmcnt(0)
	s_add_u32 s2, s2, s6
	s_addc_u32 s3, s3, s7
	s_lshl_b32 s12, s14, 8
	s_load_b32 s24, s[2:3], 0x0
	s_waitcnt lgkmcnt(0)
	s_cmp_ge_i32 s12, s24
	s_cbranch_scc1 .LBB959_2
; %bb.5:
	s_clause 0x1
	s_load_b128 s[20:23], s[0:1], 0x8
	s_load_b64 s[2:3], s[0:1], 0x20
	s_and_not1_b32 vcc_lo, exec_lo, s8
	s_cbranch_vccnz .LBB959_7
; %bb.6:
	s_add_u32 s4, s4, s6
	s_addc_u32 s5, s5, s7
	s_load_b32 s5, s[4:5], 0x0
	s_branch .LBB959_8
.LBB959_7:
	s_mov_b32 s5, s30
.LBB959_8:
	s_load_b128 s[16:19], s[0:1], 0x48
	v_and_b32_e32 v68, 15, v0
	v_lshrrev_b32_e32 v69, 5, v0
	v_and_b32_e32 v70, 31, v0
	v_and_b32_e32 v67, 1, v0
	v_bfe_u32 v66, v0, 4, 1
	v_lshlrev_b32_e32 v1, 3, v68
	s_mul_i32 s31, s15, 10
	s_mov_b32 s4, exec_lo
	s_delay_alu instid0(VALU_DEP_1)
	v_lshlrev_b32_e32 v65, 1, v1
	v_cmpx_gt_u32_e32 0xa0, v0
	s_cbranch_execz .LBB959_10
; %bb.9:
	s_load_b64 s[6:7], s[0:1], 0x0
	v_lshl_or_b32 v5, v69, 1, v66
	s_waitcnt lgkmcnt(0)
	s_mul_hi_i32 s9, s5, s16
	s_mul_i32 s8, s5, s16
	v_lshlrev_b32_e32 v6, 10, v68
	s_lshl_b64 s[8:9], s[8:9], 1
	v_add_lshl_u32 v1, v5, s31, 7
	v_lshlrev_b32_e32 v5, 6, v5
	v_lshlrev_b32_e32 v7, 10, v67
	v_and_b32_e32 v6, 0x3800, v6
	s_delay_alu instid0(VALU_DEP_4) | instskip(NEXT) | instid1(VALU_DEP_2)
	v_ashrrev_i32_e32 v2, 31, v1
	v_or3_b32 v5, v6, v7, v5
	s_delay_alu instid0(VALU_DEP_2) | instskip(SKIP_2) | instid1(VALU_DEP_1)
	v_lshlrev_b64 v[1:2], 1, v[1:2]
	s_add_u32 s5, s6, s8
	s_addc_u32 s6, s7, s9
	v_add_co_u32 v1, vcc_lo, s5, v1
	s_delay_alu instid0(VALU_DEP_2) | instskip(NEXT) | instid1(VALU_DEP_2)
	v_add_co_ci_u32_e32 v2, vcc_lo, s6, v2, vcc_lo
	v_add_co_u32 v1, vcc_lo, v1, v65
	s_delay_alu instid0(VALU_DEP_2)
	v_add_co_ci_u32_e32 v2, vcc_lo, 0, v2, vcc_lo
	global_load_b128 v[1:4], v[1:2], off
	s_waitcnt vmcnt(0)
	ds_store_b128 v5, v[1:4]
.LBB959_10:
	s_or_b32 exec_lo, exec_lo, s4
	v_and_b32_e32 v1, 0xef, v0
	s_waitcnt lgkmcnt(0)
	s_add_i32 s5, s24, 15
	s_clause 0x1
	s_load_b32 s4, s[0:1], 0x38
	s_load_b32 s33, s[0:1], 0x98
	s_ashr_i32 s6, s5, 31
	v_add_nc_u32_e32 v1, s12, v1
	s_lshr_b32 s6, s6, 28
	s_load_b32 s19, s[0:1], 0x1c
	s_add_i32 s5, s5, s6
	s_waitcnt lgkmcnt(0)
	v_ashrrev_i32_e32 v2, 31, v1
	v_or_b32_e32 v3, 16, v1
	s_ashr_i32 s13, s5, 4
	v_cmp_gt_i32_e32 vcc_lo, s24, v1
	s_add_i32 s13, s13, -1
	v_lshrrev_b32_e32 v2, 28, v2
	s_barrier
	buffer_gl0_inv
	s_mul_i32 s15, s15, s18
	v_add_nc_u32_e32 v4, v1, v2
	s_mul_i32 s4, s30, s4
	s_delay_alu instid0(SALU_CYCLE_1) | instskip(NEXT) | instid1(VALU_DEP_1)
	s_ashr_i32 s5, s4, 31
	v_ashrrev_i32_e32 v4, 4, v4
	v_add_nc_u32_e32 v2, v3, v2
	s_lshl_b64 s[4:5], s[4:5], 2
	s_delay_alu instid0(SALU_CYCLE_1) | instskip(NEXT) | instid1(VALU_DEP_2)
	s_add_u32 s16, s2, s4
	v_cndmask_b32_e32 v1, s13, v4, vcc_lo
	s_delay_alu instid0(VALU_DEP_2)
	v_ashrrev_i32_e32 v2, 4, v2
	v_cmp_gt_i32_e32 vcc_lo, s24, v3
	s_addc_u32 s25, s3, s5
	s_ashr_i32 s18, s15, 31
	s_add_u32 s26, s20, s15
	s_addc_u32 s27, s21, s18
	v_cndmask_b32_e32 v3, s13, v2, vcc_lo
	v_ashrrev_i32_e32 v2, 31, v1
	s_lshl_b32 s2, s14, 4
	s_delay_alu instid0(SALU_CYCLE_1) | instskip(NEXT) | instid1(VALU_DEP_2)
	s_ashr_i32 s3, s2, 31
	v_ashrrev_i32_e32 v4, 31, v3
	s_delay_alu instid0(VALU_DEP_2) | instskip(SKIP_1) | instid1(SALU_CYCLE_1)
	v_lshlrev_b64 v[1:2], 2, v[1:2]
	s_lshl_b64 s[2:3], s[2:3], 2
	s_add_u32 s2, s16, s2
	s_delay_alu instid0(VALU_DEP_2) | instskip(SKIP_1) | instid1(VALU_DEP_2)
	v_lshlrev_b64 v[3:4], 2, v[3:4]
	s_addc_u32 s3, s25, s3
	v_add_co_u32 v1, vcc_lo, s16, v1
	v_add_co_ci_u32_e32 v2, vcc_lo, s25, v2, vcc_lo
	s_delay_alu instid0(VALU_DEP_3) | instskip(NEXT) | instid1(VALU_DEP_4)
	v_add_co_u32 v3, vcc_lo, s16, v3
	v_add_co_ci_u32_e32 v4, vcc_lo, s25, v4, vcc_lo
	s_clause 0x1
	global_load_b32 v5, v[1:2], off
	global_load_b32 v7, v[3:4], off
	s_or_b32 s4, s12, 32
	v_lshlrev_b32_e32 v1, 4, v0
	s_ashr_i32 s5, s4, 4
	s_cmp_lt_i32 s4, s24
	v_cmp_gt_u32_e32 vcc_lo, 10, v68
	s_cselect_b32 s4, s5, s13
	v_and_b32_e32 v1, 0xf0, v1
	s_ashr_i32 s5, s4, 31
	s_delay_alu instid0(SALU_CYCLE_1) | instskip(NEXT) | instid1(SALU_CYCLE_1)
	s_lshl_b64 s[4:5], s[4:5], 2
	s_add_u32 s4, s16, s4
	s_addc_u32 s5, s25, s5
	s_or_b32 s6, s12, 64
	v_add_co_u32 v1, s26, s26, v1
	s_ashr_i32 s7, s6, 4
	s_cmp_lt_i32 s6, s24
	v_add_co_ci_u32_e64 v2, null, s27, 0, s26
	s_cselect_b32 s6, s7, s13
	s_delay_alu instid0(SALU_CYCLE_1) | instskip(NEXT) | instid1(SALU_CYCLE_1)
	s_ashr_i32 s7, s6, 31
	s_lshl_b64 s[6:7], s[6:7], 2
	s_delay_alu instid0(SALU_CYCLE_1) | instskip(SKIP_2) | instid1(SALU_CYCLE_1)
	s_add_u32 s6, s16, s6
	s_addc_u32 s7, s25, s7
	s_or_b32 s8, s12, 0x60
	s_ashr_i32 s9, s8, 4
	s_cmp_lt_i32 s8, s24
	s_cselect_b32 s8, s9, s13
	s_delay_alu instid0(SALU_CYCLE_1) | instskip(NEXT) | instid1(SALU_CYCLE_1)
	s_ashr_i32 s9, s8, 31
	s_lshl_b64 s[8:9], s[8:9], 2
	s_delay_alu instid0(SALU_CYCLE_1) | instskip(SKIP_2) | instid1(SALU_CYCLE_1)
	s_add_u32 s8, s16, s8
	s_addc_u32 s9, s25, s9
	s_or_b32 s10, s12, 0x80
	s_ashr_i32 s11, s10, 4
	s_cmp_lt_i32 s10, s24
	s_cselect_b32 s10, s11, s13
	s_delay_alu instid0(SALU_CYCLE_1) | instskip(NEXT) | instid1(SALU_CYCLE_1)
	s_ashr_i32 s11, s10, 31
	s_lshl_b64 s[10:11], s[10:11], 2
	s_delay_alu instid0(SALU_CYCLE_1) | instskip(SKIP_2) | instid1(SALU_CYCLE_1)
	s_add_u32 s10, s16, s10
	s_addc_u32 s11, s25, s11
	s_or_b32 s20, s12, 0xa0
	s_ashr_i32 s21, s20, 4
	s_cmp_lt_i32 s20, s24
	s_cselect_b32 s20, s21, s13
	s_delay_alu instid0(SALU_CYCLE_1) | instskip(NEXT) | instid1(SALU_CYCLE_1)
	s_ashr_i32 s21, s20, 31
	s_lshl_b64 s[20:21], s[20:21], 2
	s_delay_alu instid0(SALU_CYCLE_1)
	s_add_u32 s20, s16, s20
	s_addc_u32 s21, s25, s21
	s_clause 0x5
	s_load_b32 s26, s[2:3], 0x0
	s_load_b32 s27, s[4:5], 0x0
	;; [unrolled: 1-line block ×6, first 2 shown]
	s_or_b32 s2, s12, 0xc0
	s_mov_b32 s4, 0
	s_ashr_i32 s3, s2, 4
	s_cmp_lt_i32 s2, s24
	s_mov_b32 s11, s4
	s_cselect_b32 s2, s3, s13
	s_mov_b32 s5, s4
	s_ashr_i32 s3, s2, 31
	s_mov_b32 s6, s4
	s_lshl_b64 s[2:3], s[2:3], 2
	s_mov_b32 s7, s4
	s_add_u32 s2, s16, s2
	s_addc_u32 s3, s25, s3
	s_or_b32 s20, s12, 0xe0
	s_mov_b32 s8, s4
	s_ashr_i32 s21, s20, 4
	s_cmp_lt_i32 s20, s24
	s_mov_b32 s9, s4
	s_cselect_b32 s20, s21, s13
	s_mov_b32 s10, s4
	s_ashr_i32 s21, s20, 31
	v_mov_b32_e32 v118, s11
	v_dual_mov_b32 v112, s5 :: v_dual_mov_b32 v117, s10
	v_dual_mov_b32 v116, s9 :: v_dual_mov_b32 v115, s8
	;; [unrolled: 1-line block ×3, first 2 shown]
	v_mov_b32_e32 v111, s4
	s_lshl_b64 s[4:5], s[20:21], 2
	s_delay_alu instid0(SALU_CYCLE_1)
	s_add_u32 s4, s16, s4
	s_addc_u32 s5, s25, s5
	s_add_u32 s6, s22, s15
	s_addc_u32 s7, s23, s18
	s_waitcnt vmcnt(1)
	v_mad_i64_i32 v[3:4], null, v5, s17, v[1:2]
	s_waitcnt vmcnt(0)
	v_mad_i64_i32 v[5:6], null, v7, s17, v[1:2]
	v_add_nc_u32_e32 v1, -10, v68
	v_lshlrev_b32_e32 v2, 4, v68
	s_clause 0xf
	global_load_b128 v[17:20], v[3:4], off
	global_load_b128 v[21:24], v[3:4], off offset:256
	global_load_b128 v[25:28], v[5:6], off
	global_load_b128 v[29:32], v[5:6], off offset:256
	global_load_b128 v[57:60], v[3:4], off offset:512
	;; [unrolled: 1-line block ×13, first 2 shown]
	v_cndmask_b32_e32 v1, v1, v68, vcc_lo
	s_delay_alu instid0(VALU_DEP_1)
	v_lshlrev_b32_e32 v149, 6, v1
	v_lshl_or_b32 v1, v69, 8, v2
	ds_load_b128 v[119:122], v149
	ds_load_b128 v[123:126], v149 offset:1024
	ds_load_b128 v[127:130], v149 offset:2048
	;; [unrolled: 1-line block ×3, first 2 shown]
	s_clause 0x1
	s_load_b32 s2, s[2:3], 0x0
	s_load_b32 s3, s[4:5], 0x0
	v_add_co_u32 v135, s6, s6, v1
	s_delay_alu instid0(VALU_DEP_1) | instskip(SKIP_1) | instid1(VALU_DEP_1)
	v_add_co_ci_u32_e64 v136, null, s7, 0, s6
	s_waitcnt lgkmcnt(0)
	v_mad_i64_i32 v[1:2], null, s26, s17, v[135:136]
	v_mad_i64_i32 v[3:4], null, s27, s17, v[135:136]
	;; [unrolled: 1-line block ×6, first 2 shown]
	s_clause 0x9
	global_load_b128 v[49:52], v[1:2], off
	global_load_b128 v[53:56], v[1:2], off offset:16
	global_load_b128 v[41:44], v[3:4], off
	global_load_b128 v[45:48], v[3:4], off offset:16
	;; [unrolled: 2-line block ×5, first 2 shown]
	v_mad_i64_i32 v[145:146], null, s2, s17, v[135:136]
	v_mad_i64_i32 v[147:148], null, s3, s17, v[135:136]
	s_waitcnt vmcnt(24)
	v_wmma_f32_16x16x16_f16 v[135:142], v[17:24], v[119:126], v[111:118]
	s_waitcnt vmcnt(22)
	v_wmma_f32_16x16x16_f16 v[111:118], v[25:32], v[119:126], v[111:118]
	s_clause 0x3
	global_load_b128 v[17:20], v[143:144], off
	global_load_b128 v[21:24], v[143:144], off offset:16
	global_load_b128 v[25:28], v[145:146], off
	global_load_b128 v[29:32], v[145:146], off offset:16
	v_and_b32_e32 v119, 0xe0, v0
	s_waitcnt vmcnt(24)
	v_wmma_f32_16x16x16_f16 v[135:142], v[57:64], v[127:134], v[135:142]
	s_clause 0x1
	global_load_b128 v[57:60], v[147:148], off
	global_load_b128 v[61:64], v[147:148], off offset:16
	s_waitcnt vmcnt(24)
	v_wmma_f32_16x16x16_f16 v[111:118], v[71:78], v[127:134], v[111:118]
	ds_load_b128 v[71:74], v149 offset:4096
	ds_load_b128 v[75:78], v149 offset:5120
	v_add_nc_u32_e32 v128, s12, v119
	ds_load_b128 v[119:122], v149 offset:6144
	ds_load_b128 v[123:126], v149 offset:7168
	v_mbcnt_lo_u32_b32 v127, -1, 0
	s_waitcnt vmcnt(0) lgkmcnt(0)
	s_barrier
	v_or_b32_e32 v128, v128, v66
	buffer_gl0_inv
	v_xor_b32_e32 v129, 16, v127
	v_or_b32_e32 v130, 4, v128
	v_or_b32_e32 v131, 6, v128
	s_delay_alu instid0(VALU_DEP_3) | instskip(SKIP_4) | instid1(VALU_DEP_4)
	v_cmp_gt_i32_e32 vcc_lo, 32, v129
	v_or_b32_e32 v132, 8, v128
	v_or_b32_e32 v133, 10, v128
	v_cmp_gt_i32_e64 s3, s24, v130
	v_cmp_gt_i32_e64 s4, s24, v131
	v_cmp_gt_i32_e64 s5, s24, v132
	v_wmma_f32_16x16x16_f16 v[135:142], v[79:86], v[71:78], v[135:142]
	v_wmma_f32_16x16x16_f16 v[111:118], v[87:94], v[71:78], v[111:118]
	v_or_b32_e32 v79, 12, v128
	v_or_b32_e32 v80, 14, v128
	v_cmp_gt_i32_e64 s6, s24, v133
	v_wmma_f32_16x16x16_f16 v[135:142], v[95:102], v[119:126], v[135:142]
	v_wmma_f32_16x16x16_f16 v[111:118], v[103:110], v[119:126], v[111:118]
	v_cndmask_b32_e32 v127, v127, v129, vcc_lo
	v_or_b32_e32 v129, 2, v128
	v_cmp_gt_i32_e32 vcc_lo, s24, v128
	v_mul_f32_e32 v88, s19, v135
	v_dual_mul_f32 v92, s19, v115 :: v_dual_mul_f32 v87, s19, v136
	s_delay_alu instid0(VALU_DEP_4)
	v_cmp_gt_i32_e64 s2, s24, v129
	v_mul_f32_e32 v78, s19, v138
	v_mul_f32_e32 v86, s19, v137
	v_cndmask_b32_e32 v88, 0xff7fffff, v88, vcc_lo
	v_mul_f32_e32 v76, s19, v140
	v_cndmask_b32_e64 v87, 0xff7fffff, v87, s2
	v_dual_mul_f32 v77, s19, v139 :: v_dual_mul_f32 v94, s19, v113
	v_cndmask_b32_e64 v86, 0xff7fffff, v86, s3
	v_cndmask_b32_e64 v78, 0xff7fffff, v78, s4
	s_delay_alu instid0(VALU_DEP_4)
	v_max3_f32 v87, v88, 0xff7fffff, v87
	v_or_b32_e32 v81, 16, v128
	v_or_b32_e32 v82, 18, v128
	v_dual_mul_f32 v74, s19, v142 :: v_dual_mul_f32 v75, s19, v141
	v_mul_f32_e32 v96, s19, v111
	v_cndmask_b32_e64 v77, 0xff7fffff, v77, s5
	v_cndmask_b32_e64 v76, 0xff7fffff, v76, s6
	v_max3_f32 v78, v87, v86, v78
	v_cmp_gt_i32_e64 s7, s24, v79
	v_cmp_gt_i32_e64 s8, s24, v80
	v_or_b32_e32 v83, 20, v128
	v_or_b32_e32 v84, 22, v128
	v_mul_f32_e32 v95, s19, v112
	v_cndmask_b32_e64 v75, 0xff7fffff, v75, s7
	v_cndmask_b32_e64 v74, 0xff7fffff, v74, s8
	v_max3_f32 v76, v78, v77, v76
	v_cmp_gt_i32_e64 s9, s24, v81
	v_cmp_gt_i32_e64 s10, s24, v82
	v_or_b32_e32 v85, 24, v128
	v_or_b32_e32 v71, 26, v128
	;; [unrolled: 8-line block ×3, first 2 shown]
	v_mul_f32_e32 v91, s19, v116
	v_cndmask_b32_e64 v75, 0xff7fffff, v94, s11
	v_cndmask_b32_e64 v76, 0xff7fffff, v93, s12
	v_max3_f32 v74, v74, v77, v78
	v_cmp_gt_i32_e64 s13, s24, v85
	v_cmp_gt_i32_e64 s15, s24, v71
	v_dual_mul_f32 v89, s19, v118 :: v_dual_mul_f32 v90, s19, v117
	s_delay_alu instid0(VALU_DEP_4) | instskip(NEXT) | instid1(VALU_DEP_4)
	v_max3_f32 v74, v74, v75, v76
	v_cndmask_b32_e64 v77, 0xff7fffff, v92, s13
	s_delay_alu instid0(VALU_DEP_4) | instskip(SKIP_2) | instid1(VALU_DEP_3)
	v_cndmask_b32_e64 v71, 0xff7fffff, v91, s15
	v_cmp_gt_i32_e64 s16, s24, v72
	v_cmp_gt_i32_e64 s17, s24, v73
	v_max3_f32 v71, v74, v77, v71
	s_delay_alu instid0(VALU_DEP_3) | instskip(NEXT) | instid1(VALU_DEP_3)
	v_cndmask_b32_e64 v72, 0xff7fffff, v90, s16
	v_cndmask_b32_e64 v73, 0xff7fffff, v89, s17
	v_lshlrev_b32_e32 v74, 2, v127
	s_delay_alu instid0(VALU_DEP_2) | instskip(SKIP_3) | instid1(VALU_DEP_1)
	v_max3_f32 v71, v71, v72, v73
	ds_bpermute_b32 v72, v74, v71
	s_waitcnt lgkmcnt(0)
	v_max_f32_e32 v72, v72, v72
	v_max_f32_e32 v71, v71, v72
	s_delay_alu instid0(VALU_DEP_1) | instskip(SKIP_4) | instid1(VALU_DEP_4)
	v_fma_f32 v72, s19, v135, -v71
	v_fma_f32 v73, s19, v136, -v71
	;; [unrolled: 1-line block ×5, first 2 shown]
	v_dual_mul_f32 v72, 0x3fb8aa3b, v72 :: v_dual_mul_f32 v73, 0x3fb8aa3b, v73
	v_fma_f32 v80, s19, v141, -v71
	s_delay_alu instid0(VALU_DEP_3) | instskip(NEXT) | instid1(VALU_DEP_3)
	v_dual_mul_f32 v76, 0x3fb8aa3b, v76 :: v_dual_mul_f32 v77, 0x3fb8aa3b, v77
	v_exp_f32_e32 v72, v72
	s_delay_alu instid0(VALU_DEP_3) | instskip(NEXT) | instid1(VALU_DEP_2)
	v_exp_f32_e32 v73, v73
	v_mul_f32_e32 v82, 0x3fb8aa3b, v80
	s_delay_alu instid0(VALU_DEP_2) | instskip(SKIP_1) | instid1(VALU_DEP_1)
	v_exp_f32_e32 v76, v76
	v_exp_f32_e32 v77, v77
	;; [unrolled: 1-line block ×3, first 2 shown]
	v_cndmask_b32_e32 v79, 0, v72, vcc_lo
	v_fma_f32 v72, s19, v140, -v71
	v_mul_f32_e32 v75, 0x3fb8aa3b, v75
	v_cndmask_b32_e64 v78, 0, v73, s2
	s_delay_alu instid0(TRANS32_DEP_3) | instskip(NEXT) | instid1(VALU_DEP_4)
	v_cndmask_b32_e64 v80, 0, v76, s4
	v_dual_add_f32 v73, 0, v79 :: v_dual_mul_f32 v72, 0x3fb8aa3b, v72
	s_delay_alu instid0(VALU_DEP_4) | instskip(NEXT) | instid1(TRANS32_DEP_3)
	v_exp_f32_e32 v75, v75
	v_cndmask_b32_e64 v83, 0, v77, s5
	s_delay_alu instid0(TRANS32_DEP_2) | instskip(NEXT) | instid1(VALU_DEP_3)
	v_cndmask_b32_e64 v85, 0, v84, s7
	v_add_f32_e32 v73, v73, v78
	v_exp_f32_e32 v72, v72
	s_mov_b32 s2, exec_lo
	s_waitcnt_depctr 0xfff
	v_cndmask_b32_e64 v81, 0, v75, s3
	v_cndmask_b32_e64 v82, 0, v72, s6
	s_delay_alu instid0(VALU_DEP_2) | instskip(NEXT) | instid1(VALU_DEP_1)
	v_add_f32_e32 v73, v73, v81
	v_add_f32_e32 v73, v73, v80
	s_delay_alu instid0(VALU_DEP_1) | instskip(NEXT) | instid1(VALU_DEP_1)
	v_add_f32_e32 v72, v73, v83
	v_add_f32_e32 v72, v72, v82
	s_delay_alu instid0(VALU_DEP_1)
	v_add_f32_e32 v72, v72, v85
	v_fma_f32 v76, s19, v111, -v71
	v_fma_f32 v75, s19, v142, -v71
	;; [unrolled: 1-line block ×5, first 2 shown]
	v_mul_f32_e32 v76, 0x3fb8aa3b, v76
	s_delay_alu instid0(VALU_DEP_4) | instskip(NEXT) | instid1(VALU_DEP_2)
	v_mul_f32_e32 v86, 0x3fb8aa3b, v86
	v_exp_f32_e32 v76, v76
	s_delay_alu instid0(VALU_DEP_1)
	v_exp_f32_e32 v88, v86
	s_waitcnt_depctr 0xfff
	v_cndmask_b32_e64 v87, 0, v76, s9
	v_fma_f32 v76, s19, v116, -v71
	v_mul_f32_e32 v75, 0x3fb8aa3b, v75
	v_cndmask_b32_e64 v88, 0, v88, s12
	s_delay_alu instid0(VALU_DEP_3) | instskip(NEXT) | instid1(VALU_DEP_3)
	v_dual_mul_f32 v73, 0x3fb8aa3b, v73 :: v_dual_mul_f32 v76, 0x3fb8aa3b, v76
	v_exp_f32_e32 v75, v75
	s_delay_alu instid0(VALU_DEP_1) | instskip(NEXT) | instid1(VALU_DEP_1)
	v_exp_f32_e32 v73, v73
	v_exp_f32_e32 v76, v76
	s_delay_alu instid0(TRANS32_DEP_3)
	v_cndmask_b32_e64 v84, 0, v75, s8
	v_fma_f32 v75, s19, v115, -v71
	s_waitcnt_depctr 0xfff
	v_cndmask_b32_e64 v89, 0, v73, s11
	v_cndmask_b32_e64 v90, 0, v76, s15
	v_add_f32_e32 v72, v72, v84
	s_delay_alu instid0(VALU_DEP_1) | instskip(NEXT) | instid1(VALU_DEP_1)
	v_dual_add_f32 v72, v72, v87 :: v_dual_mul_f32 v77, 0x3fb8aa3b, v77
	v_exp_f32_e32 v77, v77
	s_waitcnt_depctr 0xfff
	v_cndmask_b32_e64 v86, 0, v77, s10
	v_fma_f32 v77, s19, v117, -v71
	s_delay_alu instid0(VALU_DEP_2) | instskip(NEXT) | instid1(VALU_DEP_1)
	v_dual_add_f32 v72, v72, v86 :: v_dual_mul_f32 v75, 0x3fb8aa3b, v75
	v_add_f32_e32 v72, v72, v89
	s_delay_alu instid0(VALU_DEP_2) | instskip(NEXT) | instid1(VALU_DEP_1)
	v_exp_f32_e32 v75, v75
	v_add_f32_e32 v72, v72, v88
	s_waitcnt_depctr 0xfff
	v_cndmask_b32_e64 v91, 0, v75, s13
	v_mul_f32_e32 v73, 0x3fb8aa3b, v77
	v_fma_f32 v77, s19, v118, -v71
	s_delay_alu instid0(VALU_DEP_3) | instskip(NEXT) | instid1(VALU_DEP_3)
	v_add_f32_e32 v72, v72, v91
	v_exp_f32_e32 v73, v73
	s_delay_alu instid0(VALU_DEP_1) | instskip(NEXT) | instid1(VALU_DEP_1)
	v_dual_mul_f32 v75, 0x3fb8aa3b, v77 :: v_dual_add_f32 v72, v72, v90
	v_exp_f32_e32 v75, v75
	s_waitcnt_depctr 0xfff
	v_cndmask_b32_e64 v93, 0, v73, s16
	s_delay_alu instid0(VALU_DEP_1) | instskip(SKIP_1) | instid1(VALU_DEP_1)
	v_add_f32_e32 v72, v72, v93
	v_cndmask_b32_e64 v92, 0, v75, s17
	v_add_f32_e32 v72, v72, v92
	ds_bpermute_b32 v73, v74, v72
	v_cmpx_gt_u32_e32 16, v70
	s_cbranch_execz .LBB959_12
; %bb.11:
	v_mul_u32_u24_e32 v70, 0x44, v69
	s_waitcnt lgkmcnt(0)
	v_add_f32_e32 v72, v72, v73
	s_delay_alu instid0(VALU_DEP_2) | instskip(NEXT) | instid1(VALU_DEP_1)
	v_lshl_add_u32 v70, v68, 2, v70
	v_add_nc_u32_e32 v70, 0x4000, v70
	ds_store_2addr_b32 v70, v71, v72 offset1:136
.LBB959_12:
	s_or_b32 exec_lo, exec_lo, s2
	v_lshlrev_b32_e32 v70, 2, v68
	s_load_b32 s34, s[0:1], 0x94
	s_waitcnt lgkmcnt(0)
	s_barrier
	buffer_gl0_inv
	v_add_nc_u32_e32 v98, 0x4000, v70
	v_cmp_eq_u32_e32 vcc_lo, 1, v69
	v_cmp_eq_u32_e64 s2, 2, v69
	v_cmp_eq_u32_e64 s3, 3, v69
	v_cmp_eq_u32_e64 s4, 4, v69
	ds_load_2addr_b32 v[70:71], v98 offset1:17
	ds_load_2addr_b32 v[72:73], v98 offset0:34 offset1:51
	ds_load_2addr_b32 v[74:75], v98 offset0:68 offset1:85
	;; [unrolled: 1-line block ×3, first 2 shown]
	v_cmp_eq_u32_e64 s5, 5, v69
	v_cmp_eq_u32_e64 s6, 7, v69
	s_waitcnt lgkmcnt(3)
	v_max3_f32 v76, v70, 0xff7fffff, v71
	s_waitcnt lgkmcnt(2)
	s_delay_alu instid0(VALU_DEP_1) | instskip(SKIP_1) | instid1(VALU_DEP_1)
	v_max3_f32 v76, v76, v72, v73
	s_waitcnt lgkmcnt(1)
	v_max3_f32 v76, v76, v74, v75
	s_waitcnt lgkmcnt(0)
	s_delay_alu instid0(VALU_DEP_1) | instskip(NEXT) | instid1(VALU_DEP_1)
	v_max3_f32 v76, v76, v94, v95
	v_sub_f32_e32 v77, v71, v76
	ds_load_2addr_b32 v[96:97], v98 offset0:136 offset1:153
	v_sub_f32_e32 v74, v74, v76
	v_sub_f32_e32 v70, v70, v76
	;; [unrolled: 1-line block ×3, first 2 shown]
	v_dual_sub_f32 v72, v72, v76 :: v_dual_mul_f32 v77, 0x3fb8aa3b, v77
	s_delay_alu instid0(VALU_DEP_4) | instskip(NEXT) | instid1(VALU_DEP_4)
	v_mul_f32_e32 v103, 0x3fb8aa3b, v74
	v_mul_f32_e32 v99, 0x3fb8aa3b, v70
	ds_load_2addr_b32 v[70:71], v98 offset0:170 offset1:187
	v_dual_mul_f32 v101, 0x3fb8aa3b, v72 :: v_dual_mul_f32 v94, 0x3fb8aa3b, v94
	v_exp_f32_e32 v102, v77
	v_exp_f32_e32 v99, v99
	s_delay_alu instid0(VALU_DEP_1) | instskip(NEXT) | instid1(VALU_DEP_1)
	v_exp_f32_e32 v101, v101
	v_exp_f32_e32 v94, v94
	s_waitcnt lgkmcnt(1)
	s_delay_alu instid0(TRANS32_DEP_3)
	v_fma_f32 v77, v99, v96, 0
	v_sub_f32_e32 v100, v73, v76
	ds_load_2addr_b32 v[72:73], v98 offset0:204 offset1:221
	v_fmac_f32_e32 v77, v102, v97
	v_exp_f32_e32 v97, v103
	s_waitcnt lgkmcnt(1)
	s_delay_alu instid0(VALU_DEP_1)
	v_dual_fmac_f32 v77, v101, v70 :: v_dual_sub_f32 v96, v75, v76
	ds_load_2addr_b32 v[74:75], v98 offset0:238 offset1:255
	v_sub_f32_e32 v70, v95, v76
	s_waitcnt lgkmcnt(0)
	s_barrier
	v_mul_f32_e32 v96, 0x3fb8aa3b, v96
	buffer_gl0_inv
	v_exp_f32_e32 v95, v96
	v_mul_f32_e32 v100, 0x3fb8aa3b, v100
	s_delay_alu instid0(VALU_DEP_1) | instskip(SKIP_3) | instid1(VALU_DEP_2)
	v_exp_f32_e32 v100, v100
	s_waitcnt_depctr 0xfff
	v_dual_fmac_f32 v77, v100, v71 :: v_dual_mul_f32 v70, 0x3fb8aa3b, v70
	v_cndmask_b32_e32 v71, v99, v102, vcc_lo
	v_fmac_f32_e32 v77, v97, v72
	s_delay_alu instid0(VALU_DEP_3) | instskip(NEXT) | instid1(VALU_DEP_1)
	v_exp_f32_e32 v96, v70
	v_fmac_f32_e32 v77, v95, v73
	s_delay_alu instid0(VALU_DEP_1) | instskip(SKIP_2) | instid1(VALU_DEP_1)
	v_fmac_f32_e32 v77, v94, v74
	s_waitcnt_depctr 0xfff
	v_fmac_f32_e32 v77, v96, v75
	v_add_f32_e32 v74, 0x358637bd, v77
	s_delay_alu instid0(VALU_DEP_1) | instskip(SKIP_1) | instid1(VALU_DEP_2)
	v_div_scale_f32 v98, null, v74, v74, 1.0
	v_div_scale_f32 v99, vcc_lo, 1.0, v74, 1.0
	v_rcp_f32_e32 v103, v98
	s_waitcnt_depctr 0xfff
	v_fma_f32 v70, -v98, v103, 1.0
	s_delay_alu instid0(VALU_DEP_1) | instskip(SKIP_2) | instid1(VALU_DEP_2)
	v_fmac_f32_e32 v103, v70, v103
	v_cndmask_b32_e64 v70, v71, v101, s2
	v_cmp_eq_u32_e64 s2, 6, v69
	v_cndmask_b32_e64 v71, v70, v100, s3
	s_delay_alu instid0(VALU_DEP_4) | instskip(NEXT) | instid1(VALU_DEP_2)
	v_dual_mul_f32 v101, v99, v103 :: v_dual_lshlrev_b32 v70, 2, v66
	v_cndmask_b32_e64 v71, v71, v97, s4
	s_delay_alu instid0(VALU_DEP_2) | instskip(NEXT) | instid1(VALU_DEP_3)
	v_or_b32_e32 v72, 1, v70
	v_fma_f32 v100, -v98, v101, v99
	v_cmp_eq_u32_e64 s3, 1, v70
	v_cmp_eq_u32_e64 s4, 2, v70
	v_cndmask_b32_e64 v95, v71, v95, s5
	v_or_b32_e32 v71, 3, v70
	v_fmac_f32_e32 v101, v100, v103
	v_cmp_eq_u32_e64 s8, 1, v72
	v_cmp_eq_u32_e64 s11, 2, v72
	v_cndmask_b32_e64 v94, v95, v94, s2
	v_cmp_eq_u32_e64 s10, 1, v71
	v_fma_f32 v97, -v98, v101, v99
	v_cmp_eq_u32_e64 s15, 2, v71
	v_cmp_eq_u32_e64 s12, 3, v72
	v_cndmask_b32_e64 v94, v94, v96, s6
	v_cmp_eq_u32_e64 s17, 3, v71
	v_div_fmas_f32 v95, v97, v103, v101
	v_cmp_eq_u32_e32 vcc_lo, 3, v70
	v_cmp_eq_u32_e64 s2, 4, v70
	v_cmp_eq_u32_e64 s18, 4, v72
	;; [unrolled: 1-line block ×3, first 2 shown]
	v_div_fixup_f32 v95, v95, v74, 1.0
	v_lshlrev_b32_e32 v73, 6, v68
	v_cmp_eq_u32_e64 s5, 5, v70
	v_cmp_eq_u32_e64 s19, 5, v72
	;; [unrolled: 1-line block ×3, first 2 shown]
	v_mul_f32_e32 v102, v94, v95
	v_lshl_or_b32 v75, v69, 11, v73
	v_or_b32_e32 v69, 2, v70
	v_cmp_eq_u32_e64 s24, 6, v72
	v_cmp_eq_u32_e64 s26, 6, v71
	v_fma_mixlo_f16 v94, v102, v79, 0
	v_fma_mixlo_f16 v95, v102, v81, 0
	;; [unrolled: 1-line block ×8, first 2 shown]
	v_lshl_or_b32 v74, v66, 4, v75
	v_fma_mixhi_f16 v94, v102, v78, 0
	v_fma_mixhi_f16 v95, v102, v80, 0
	;; [unrolled: 1-line block ×8, first 2 shown]
	ds_store_b128 v74, v[94:97]
	ds_store_b128 v74, v[98:101] offset:1024
	s_waitcnt lgkmcnt(0)
	s_barrier
	buffer_gl0_inv
	ds_load_b128 v[78:81], v75
	ds_load_b128 v[82:85], v75 offset:16
	ds_load_b128 v[86:89], v75 offset:1024
	;; [unrolled: 1-line block ×3, first 2 shown]
	v_cmp_eq_u32_e64 s9, 1, v69
	v_cmp_eq_u32_e64 s13, 2, v69
	;; [unrolled: 1-line block ×11, first 2 shown]
	s_waitcnt lgkmcnt(3)
	v_lshrrev_b32_e32 v94, 16, v78
	s_waitcnt lgkmcnt(2)
	v_lshrrev_b32_e32 v98, 16, v82
	;; [unrolled: 2-line block ×4, first 2 shown]
	v_lshrrev_b32_e32 v95, 16, v79
	v_cndmask_b32_e64 v110, v78, v94, s3
	v_cndmask_b32_e64 v111, v82, v98, s3
	v_cndmask_b32_e64 v112, v78, v94, s8
	v_cndmask_b32_e64 v113, v82, v98, s8
	v_cndmask_b32_e64 v114, v78, v94, s9
	v_cndmask_b32_e64 v115, v82, v98, s9
	v_cndmask_b32_e64 v78, v78, v94, s10
	v_cndmask_b32_e64 v82, v82, v98, s10
	v_lshrrev_b32_e32 v99, 16, v83
	v_cndmask_b32_e64 v94, v86, v102, s3
	v_cndmask_b32_e64 v98, v90, v106, s3
	;; [unrolled: 1-line block ×15, first 2 shown]
	v_lshrrev_b32_e32 v103, 16, v87
	v_lshrrev_b32_e32 v107, 16, v91
	v_cndmask_b32_e64 v113, v115, v83, s13
	v_cndmask_b32_e64 v82, v94, v87, s4
	;; [unrolled: 1-line block ×7, first 2 shown]
	v_cndmask_b32_e32 v90, v102, v95, vcc_lo
	v_cndmask_b32_e32 v102, v106, v99, vcc_lo
	v_cndmask_b32_e64 v106, v110, v95, s12
	v_cndmask_b32_e64 v110, v111, v99, s12
	;; [unrolled: 1-line block ×4, first 2 shown]
	v_lshrrev_b32_e32 v96, 16, v80
	v_lshrrev_b32_e32 v100, 16, v84
	v_cndmask_b32_e64 v111, v112, v95, s16
	v_cndmask_b32_e64 v112, v113, v99, s16
	v_cndmask_b32_e32 v82, v82, v103, vcc_lo
	v_cndmask_b32_e32 v83, v83, v107, vcc_lo
	v_cndmask_b32_e64 v94, v94, v103, s12
	v_cndmask_b32_e64 v90, v90, v80, s2
	v_cndmask_b32_e64 v95, v102, v84, s2
	v_cndmask_b32_e64 v99, v106, v80, s18
	v_cndmask_b32_e64 v102, v110, v84, s18
	v_cndmask_b32_e64 v78, v78, v80, s21
	v_cndmask_b32_e64 v79, v79, v84, s21
	v_lshrrev_b32_e32 v104, 16, v88
	v_cndmask_b32_e64 v106, v111, v80, s20
	v_cndmask_b32_e64 v110, v112, v84, s20
	;; [unrolled: 1-line block ×11, first 2 shown]
	v_lshrrev_b32_e32 v97, 16, v81
	v_lshrrev_b32_e32 v101, 16, v85
	v_cndmask_b32_e64 v99, v106, v96, s22
	v_cndmask_b32_e64 v102, v110, v100, s22
	;; [unrolled: 1-line block ×7, first 2 shown]
	v_lshrrev_b32_e32 v105, 16, v89
	v_cndmask_b32_e64 v80, v80, v104, s5
	v_cndmask_b32_e64 v84, v84, v81, s6
	;; [unrolled: 1-line block ×16, first 2 shown]
	v_perm_b32 v81, v79, v78, 0x5040100
	v_perm_b32 v79, v95, v85, 0x5040100
	v_cndmask_b32_e64 v78, v119, v91, s13
	v_cndmask_b32_e64 v85, v117, v91, s11
	;; [unrolled: 1-line block ×3, first 2 shown]
	v_perm_b32 v80, v94, v90, 0x5040100
	v_cndmask_b32_e64 v90, v98, v103, s16
	v_cndmask_b32_e64 v86, v86, v103, s17
	;; [unrolled: 1-line block ×5, first 2 shown]
	v_lshrrev_b32_e32 v108, 16, v92
	v_cndmask_b32_e64 v90, v90, v88, s20
	v_cndmask_b32_e64 v86, v86, v88, s21
	;; [unrolled: 1-line block ×11, first 2 shown]
	v_lshrrev_b32_e32 v109, 16, v93
	v_cndmask_b32_e64 v82, v82, v93, s6
	v_cndmask_b32_e64 v88, v88, v89, s25
	;; [unrolled: 1-line block ×12, first 2 shown]
	v_perm_b32 v78, v84, v83, 0x5040100
	v_perm_b32 v85, v87, v86, 0x5040100
	;; [unrolled: 1-line block ×5, first 2 shown]
	s_mul_i32 s7, s33, 10
	s_mov_b32 s2, exec_lo
	ds_store_b128 v74, v[78:81]
	ds_store_b128 v74, v[82:85] offset:1024
	v_cmpx_gt_u32_e32 10, v0
	s_cbranch_execz .LBB959_14
; %bb.13:
	s_mul_i32 s3, s7, s30
	s_load_b128 s[8:11], s[0:1], 0x58
	v_add3_u32 v68, s3, s31, v68
	s_delay_alu instid0(VALU_DEP_1) | instskip(NEXT) | instid1(VALU_DEP_1)
	v_mad_u64_u32 v[78:79], null, v68, s34, s[14:15]
	v_ashrrev_i32_e32 v79, 31, v78
	s_delay_alu instid0(VALU_DEP_1) | instskip(SKIP_1) | instid1(VALU_DEP_1)
	v_lshlrev_b64 v[78:79], 2, v[78:79]
	s_waitcnt lgkmcnt(0)
	v_add_co_u32 v80, vcc_lo, s10, v78
	s_delay_alu instid0(VALU_DEP_2)
	v_add_co_ci_u32_e32 v81, vcc_lo, s11, v79, vcc_lo
	v_add_co_u32 v78, vcc_lo, s8, v78
	v_add_co_ci_u32_e32 v79, vcc_lo, s9, v79, vcc_lo
	global_store_b32 v[80:81], v76, off
	global_store_b32 v[78:79], v77, off
.LBB959_14:
	s_or_b32 exec_lo, exec_lo, s2
	s_waitcnt lgkmcnt(0)
	s_waitcnt_vscnt null, 0x0
	s_barrier
	buffer_gl0_inv
	ds_load_b128 v[84:87], v73
	ds_load_b128 v[88:91], v73 offset:16
	ds_load_b128 v[96:99], v73 offset:2064
	;; [unrolled: 1-line block ×5, first 2 shown]
	v_cmp_eq_u32_e32 vcc_lo, 1, v70
	v_mov_b32_e32 v76, 0
	ds_load_b128 v[112:115], v73 offset:6160
	ds_load_b128 v[108:111], v73 offset:6144
	;; [unrolled: 1-line block ×4, first 2 shown]
	v_cmp_eq_u32_e64 s3, 1, v69
	v_cmp_eq_u32_e64 s2, 1, v72
	;; [unrolled: 1-line block ×3, first 2 shown]
	v_mov_b32_e32 v77, v76
	v_mov_b32_e32 v78, v76
	;; [unrolled: 1-line block ×7, first 2 shown]
	v_cmp_eq_u32_e64 s5, 3, v72
	v_cmp_eq_u32_e64 s6, 7, v72
	s_waitcnt lgkmcnt(8)
	s_delay_alu instid0(VALU_DEP_3)
	v_wmma_f32_16x16x16_f16 v[76:83], v[49:56], v[84:91], v[76:83]
	ds_load_b128 v[53:56], v73 offset:10256
	ds_load_b128 v[49:52], v73 offset:10240
	s_waitcnt lgkmcnt(8)
	v_wmma_f32_16x16x16_f16 v[76:83], v[41:48], v[92:99], v[76:83]
	ds_load_b128 v[45:48], v73 offset:12304
	ds_load_b128 v[41:44], v73 offset:12288
	s_waitcnt lgkmcnt(8)
	;; [unrolled: 4-line block ×3, first 2 shown]
	s_barrier
	buffer_gl0_inv
	v_wmma_f32_16x16x16_f16 v[76:83], v[1:8], v[108:115], v[76:83]
	s_delay_alu instid0(VALU_DEP_1) | instskip(NEXT) | instid1(VALU_DEP_1)
	v_wmma_f32_16x16x16_f16 v[76:83], v[9:16], v[116:123], v[76:83]
	v_wmma_f32_16x16x16_f16 v[76:83], v[17:24], v[49:56], v[76:83]
	s_delay_alu instid0(VALU_DEP_1) | instskip(NEXT) | instid1(VALU_DEP_1)
	v_wmma_f32_16x16x16_f16 v[76:83], v[25:32], v[41:48], v[76:83]
	v_wmma_f32_16x16x16_f16 v[76:83], v[57:64], v[33:40], v[76:83]
	s_delay_alu instid0(VALU_DEP_1) | instskip(NEXT) | instid1(VALU_DEP_2)
	v_cvt_f16_f32_e32 v1, v76
	v_cvt_f16_f32_e32 v2, v77
	s_delay_alu instid0(VALU_DEP_3) | instskip(NEXT) | instid1(VALU_DEP_4)
	v_cvt_f16_f32_e32 v3, v78
	v_cvt_f16_f32_e32 v4, v79
	;; [unrolled: 1-line block ×6, first 2 shown]
	v_pack_b32_f16 v1, v1, v2
	v_pack_b32_f16 v2, v3, v4
	v_pack_b32_f16 v3, v5, v6
	s_delay_alu instid0(VALU_DEP_4)
	v_pack_b32_f16 v4, v7, v8
	ds_store_b128 v74, v[1:4]
	s_waitcnt lgkmcnt(0)
	s_barrier
	buffer_gl0_inv
	ds_load_b128 v[1:4], v75
	ds_load_b128 v[5:8], v75 offset:16
	s_waitcnt lgkmcnt(1)
	v_lshrrev_b32_e32 v9, 16, v1
	s_waitcnt lgkmcnt(0)
	v_lshrrev_b32_e32 v13, 16, v5
	v_lshrrev_b32_e32 v10, 16, v2
	;; [unrolled: 1-line block ×4, first 2 shown]
	v_cndmask_b32_e32 v17, v1, v9, vcc_lo
	v_cndmask_b32_e32 v18, v5, v13, vcc_lo
	v_cndmask_b32_e64 v21, v1, v9, s3
	v_cmp_eq_u32_e32 vcc_lo, 1, v71
	v_cndmask_b32_e64 v22, v5, v13, s3
	v_cmp_eq_u32_e64 s3, 2, v70
	v_cndmask_b32_e64 v19, v1, v9, s2
	v_cndmask_b32_e64 v20, v5, v13, s2
	v_cndmask_b32_e32 v1, v1, v9, vcc_lo
	v_cmp_eq_u32_e64 s2, 2, v71
	v_cndmask_b32_e32 v5, v5, v13, vcc_lo
	v_cndmask_b32_e64 v9, v17, v2, s3
	v_cmp_eq_u32_e32 vcc_lo, 3, v70
	v_cndmask_b32_e64 v13, v18, v6, s3
	v_cmp_eq_u32_e64 s3, 2, v69
	v_cndmask_b32_e64 v17, v19, v2, s4
	v_cndmask_b32_e64 v18, v20, v6, s4
	v_cmp_eq_u32_e64 s4, 3, v69
	v_cndmask_b32_e64 v1, v1, v2, s2
	v_cndmask_b32_e64 v19, v21, v2, s3
	v_cndmask_b32_e64 v20, v22, v6, s3
	v_cndmask_b32_e64 v2, v5, v6, s2
	v_cndmask_b32_e32 v5, v9, v10, vcc_lo
	v_cndmask_b32_e32 v6, v13, v14, vcc_lo
	v_cmp_eq_u32_e32 vcc_lo, 3, v71
	v_cndmask_b32_e64 v9, v17, v10, s5
	v_cndmask_b32_e64 v13, v18, v14, s5
	;; [unrolled: 1-line block ×3, first 2 shown]
	v_cmp_eq_u32_e64 s3, 4, v70
	v_cndmask_b32_e32 v1, v1, v10, vcc_lo
	v_cndmask_b32_e32 v2, v2, v14, vcc_lo
	v_cmp_eq_u32_e32 vcc_lo, 4, v72
	v_lshrrev_b32_e32 v15, 16, v7
	v_lshrrev_b32_e32 v16, 16, v8
	v_cndmask_b32_e64 v17, v19, v10, s4
	v_cmp_eq_u32_e64 s2, 4, v71
	v_cndmask_b32_e64 v5, v5, v3, s3
	v_cndmask_b32_e64 v6, v6, v7, s3
	v_cndmask_b32_e32 v9, v9, v3, vcc_lo
	v_cmp_eq_u32_e64 s3, 5, v72
	v_cndmask_b32_e32 v10, v13, v7, vcc_lo
	v_cmp_eq_u32_e32 vcc_lo, 4, v69
	v_cmp_eq_u32_e64 s4, 5, v70
	v_cndmask_b32_e64 v2, v2, v7, s2
	v_cndmask_b32_e64 v9, v9, v11, s3
	v_cndmask_b32_e64 v10, v10, v15, s3
	v_cndmask_b32_e32 v13, v17, v3, vcc_lo
	v_cmp_eq_u32_e64 s3, 5, v69
	v_cndmask_b32_e32 v14, v18, v7, vcc_lo
	v_cndmask_b32_e64 v1, v1, v3, s2
	v_cmp_eq_u32_e32 vcc_lo, 5, v71
	v_lshrrev_b32_e32 v12, 16, v4
	v_cndmask_b32_e64 v13, v13, v11, s3
	v_cndmask_b32_e64 v3, v14, v15, s3
	v_cmp_eq_u32_e64 s3, 6, v71
	v_cndmask_b32_e32 v1, v1, v11, vcc_lo
	v_cndmask_b32_e64 v5, v5, v11, s4
	v_cmp_eq_u32_e64 s5, 6, v70
	v_cndmask_b32_e64 v6, v6, v15, s4
	v_cmp_eq_u32_e64 s4, 6, v72
	v_cmp_eq_u32_e64 s2, 6, v69
	v_cndmask_b32_e64 v1, v1, v4, s3
	v_cndmask_b32_e32 v2, v2, v15, vcc_lo
	v_cmp_eq_u32_e32 vcc_lo, 7, v71
	v_cndmask_b32_e64 v5, v5, v4, s5
	v_cndmask_b32_e64 v9, v9, v4, s4
	;; [unrolled: 1-line block ×3, first 2 shown]
	v_cmp_eq_u32_e64 s5, 7, v70
	v_cndmask_b32_e32 v1, v1, v12, vcc_lo
	v_cndmask_b32_e64 v7, v13, v4, s2
	v_cndmask_b32_e64 v3, v3, v8, s2
	v_cndmask_b32_e64 v2, v2, v8, s3
	v_cmp_eq_u32_e64 s2, 7, v69
	v_cndmask_b32_e64 v4, v10, v8, s4
	v_cndmask_b32_e64 v5, v5, v12, s5
	;; [unrolled: 1-line block ×3, first 2 shown]
	v_cndmask_b32_e32 v2, v2, v16, vcc_lo
	v_cndmask_b32_e64 v7, v7, v12, s2
	v_cndmask_b32_e64 v3, v3, v16, s2
	;; [unrolled: 1-line block ×4, first 2 shown]
	v_perm_b32 v4, v2, v1, 0x5040100
	s_mov_b32 s2, exec_lo
	v_perm_b32 v3, v3, v7, 0x5040100
	v_perm_b32 v2, v8, v9, 0x5040100
	;; [unrolled: 1-line block ×3, first 2 shown]
	ds_store_b128 v74, v[1:4]
	s_waitcnt lgkmcnt(0)
	s_barrier
	buffer_gl0_inv
	v_cmpx_gt_u32_e32 32, v0
	s_cbranch_execz .LBB959_2
; %bb.15:
	s_load_b64 s[0:1], s[0:1], 0x68
	s_lshl_b32 s4, s34, 7
	v_or_b32_e32 v2, s31, v66
	s_mul_i32 s2, s4, s30
	v_lshlrev_b32_e32 v0, 10, v0
	s_mul_i32 s2, s2, s7
	v_lshlrev_b32_e32 v1, 4, v67
	s_ashr_i32 s3, s2, 31
	v_mul_lo_u32 v20, v2, s4
	s_lshl_b64 s[2:3], s[2:3], 1
	v_lshlrev_b32_e32 v3, 6, v66
	v_and_b32_e32 v0, 0x3800, v0
	s_delay_alu instid0(VALU_DEP_1) | instskip(NEXT) | instid1(VALU_DEP_4)
	v_or3_b32 v16, v0, v1, v3
	v_ashrrev_i32_e32 v21, 31, v20
	ds_load_b128 v[0:3], v16
	ds_load_b128 v[4:7], v16 offset:128
	s_waitcnt lgkmcnt(0)
	s_add_u32 s2, s0, s2
	s_addc_u32 s3, s1, s3
	s_lshl_b32 s0, s14, 7
	ds_load_b128 v[8:11], v16 offset:256
	ds_load_b128 v[12:15], v16 offset:384
	;; [unrolled: 1-line block ×3, first 2 shown]
	s_ashr_i32 s1, s0, 31
	s_delay_alu instid0(SALU_CYCLE_1) | instskip(NEXT) | instid1(SALU_CYCLE_1)
	s_lshl_b64 s[0:1], s[0:1], 1
	s_add_u32 s0, s2, s0
	s_addc_u32 s1, s3, s1
	s_lshl_b32 s2, s34, 8
	v_add_co_u32 v30, s0, s0, v65
	v_add_nc_u32_e32 v22, s2, v20
	v_lshlrev_b64 v[20:21], 1, v[20:21]
	v_add_co_ci_u32_e64 v31, null, s1, 0, s0
	s_delay_alu instid0(VALU_DEP_3) | instskip(SKIP_1) | instid1(VALU_DEP_4)
	v_add_nc_u32_e32 v24, s2, v22
	v_ashrrev_i32_e32 v23, 31, v22
	v_add_co_u32 v20, vcc_lo, v30, v20
	s_delay_alu instid0(VALU_DEP_4) | instskip(NEXT) | instid1(VALU_DEP_4)
	v_add_co_ci_u32_e32 v21, vcc_lo, v31, v21, vcc_lo
	v_add_nc_u32_e32 v26, s2, v24
	v_ashrrev_i32_e32 v25, 31, v24
	v_lshlrev_b64 v[22:23], 1, v[22:23]
	s_delay_alu instid0(VALU_DEP_3) | instskip(SKIP_1) | instid1(VALU_DEP_4)
	v_add_nc_u32_e32 v28, s2, v26
	v_ashrrev_i32_e32 v27, 31, v26
	v_lshlrev_b64 v[24:25], 1, v[24:25]
	s_delay_alu instid0(VALU_DEP_4) | instskip(NEXT) | instid1(VALU_DEP_4)
	v_add_co_u32 v22, vcc_lo, v30, v22
	v_ashrrev_i32_e32 v29, 31, v28
	s_delay_alu instid0(VALU_DEP_4) | instskip(SKIP_2) | instid1(VALU_DEP_4)
	v_lshlrev_b64 v[26:27], 1, v[26:27]
	v_add_co_ci_u32_e32 v23, vcc_lo, v31, v23, vcc_lo
	v_add_co_u32 v24, vcc_lo, v30, v24
	v_lshlrev_b64 v[28:29], 1, v[28:29]
	v_add_co_ci_u32_e32 v25, vcc_lo, v31, v25, vcc_lo
	v_add_co_u32 v26, vcc_lo, v30, v26
	v_add_co_ci_u32_e32 v27, vcc_lo, v31, v27, vcc_lo
	s_delay_alu instid0(VALU_DEP_4)
	v_add_co_u32 v28, vcc_lo, v30, v28
	v_add_co_ci_u32_e32 v29, vcc_lo, v31, v29, vcc_lo
	s_clause 0x1
	global_store_b128 v[20:21], v[0:3], off
	global_store_b128 v[22:23], v[4:7], off
	s_waitcnt lgkmcnt(2)
	global_store_b128 v[24:25], v[8:11], off
	s_waitcnt lgkmcnt(1)
	;; [unrolled: 2-line block ×3, first 2 shown]
	global_store_b128 v[28:29], v[16:19], off
	s_nop 0
	s_sendmsg sendmsg(MSG_DEALLOC_VGPRS)
	s_endpgm
	.section	.rodata,"a",@progbits
	.p2align	6, 0x0
	.amdhsa_kernel _Z39paged_attention_ll4mi_QKV_mfma16_kernelIDF16_hLN4vllm18Fp8KVCacheDataTypeE1EhLi16ELi128ELi256ELb0ELi10EL8MFMAType1EEvPKT_PKT0_S8_ifPKiSA_SA_iPKfiiiPfSD_PS3_PT2_iSC_SC_
		.amdhsa_group_segment_fixed_size 17472
		.amdhsa_private_segment_fixed_size 0
		.amdhsa_kernarg_size 400
		.amdhsa_user_sgpr_count 13
		.amdhsa_user_sgpr_dispatch_ptr 0
		.amdhsa_user_sgpr_queue_ptr 0
		.amdhsa_user_sgpr_kernarg_segment_ptr 1
		.amdhsa_user_sgpr_dispatch_id 0
		.amdhsa_user_sgpr_private_segment_size 0
		.amdhsa_wavefront_size32 1
		.amdhsa_uses_dynamic_stack 0
		.amdhsa_enable_private_segment 0
		.amdhsa_system_sgpr_workgroup_id_x 1
		.amdhsa_system_sgpr_workgroup_id_y 1
		.amdhsa_system_sgpr_workgroup_id_z 1
		.amdhsa_system_sgpr_workgroup_info 0
		.amdhsa_system_vgpr_workitem_id 0
		.amdhsa_next_free_vgpr 150
		.amdhsa_next_free_sgpr 36
		.amdhsa_reserve_vcc 1
		.amdhsa_float_round_mode_32 0
		.amdhsa_float_round_mode_16_64 0
		.amdhsa_float_denorm_mode_32 3
		.amdhsa_float_denorm_mode_16_64 3
		.amdhsa_dx10_clamp 1
		.amdhsa_ieee_mode 1
		.amdhsa_fp16_overflow 0
		.amdhsa_workgroup_processor_mode 1
		.amdhsa_memory_ordered 1
		.amdhsa_forward_progress 0
		.amdhsa_shared_vgpr_count 0
		.amdhsa_exception_fp_ieee_invalid_op 0
		.amdhsa_exception_fp_denorm_src 0
		.amdhsa_exception_fp_ieee_div_zero 0
		.amdhsa_exception_fp_ieee_overflow 0
		.amdhsa_exception_fp_ieee_underflow 0
		.amdhsa_exception_fp_ieee_inexact 0
		.amdhsa_exception_int_div_zero 0
	.end_amdhsa_kernel
	.section	.text._Z39paged_attention_ll4mi_QKV_mfma16_kernelIDF16_hLN4vllm18Fp8KVCacheDataTypeE1EhLi16ELi128ELi256ELb0ELi10EL8MFMAType1EEvPKT_PKT0_S8_ifPKiSA_SA_iPKfiiiPfSD_PS3_PT2_iSC_SC_,"axG",@progbits,_Z39paged_attention_ll4mi_QKV_mfma16_kernelIDF16_hLN4vllm18Fp8KVCacheDataTypeE1EhLi16ELi128ELi256ELb0ELi10EL8MFMAType1EEvPKT_PKT0_S8_ifPKiSA_SA_iPKfiiiPfSD_PS3_PT2_iSC_SC_,comdat
.Lfunc_end959:
	.size	_Z39paged_attention_ll4mi_QKV_mfma16_kernelIDF16_hLN4vllm18Fp8KVCacheDataTypeE1EhLi16ELi128ELi256ELb0ELi10EL8MFMAType1EEvPKT_PKT0_S8_ifPKiSA_SA_iPKfiiiPfSD_PS3_PT2_iSC_SC_, .Lfunc_end959-_Z39paged_attention_ll4mi_QKV_mfma16_kernelIDF16_hLN4vllm18Fp8KVCacheDataTypeE1EhLi16ELi128ELi256ELb0ELi10EL8MFMAType1EEvPKT_PKT0_S8_ifPKiSA_SA_iPKfiiiPfSD_PS3_PT2_iSC_SC_
                                        ; -- End function
	.section	.AMDGPU.csdata,"",@progbits
; Kernel info:
; codeLenInByte = 6704
; NumSgprs: 38
; NumVgprs: 150
; ScratchSize: 0
; MemoryBound: 0
; FloatMode: 240
; IeeeMode: 1
; LDSByteSize: 17472 bytes/workgroup (compile time only)
; SGPRBlocks: 4
; VGPRBlocks: 18
; NumSGPRsForWavesPerEU: 38
; NumVGPRsForWavesPerEU: 150
; Occupancy: 9
; WaveLimiterHint : 1
; COMPUTE_PGM_RSRC2:SCRATCH_EN: 0
; COMPUTE_PGM_RSRC2:USER_SGPR: 13
; COMPUTE_PGM_RSRC2:TRAP_HANDLER: 0
; COMPUTE_PGM_RSRC2:TGID_X_EN: 1
; COMPUTE_PGM_RSRC2:TGID_Y_EN: 1
; COMPUTE_PGM_RSRC2:TGID_Z_EN: 1
; COMPUTE_PGM_RSRC2:TIDIG_COMP_CNT: 0
	.section	.text._Z39paged_attention_ll4mi_QKV_mfma16_kernelIDF16_hLN4vllm18Fp8KVCacheDataTypeE1EhLi16ELi128ELi256ELb0ELi11EL8MFMAType1EEvPKT_PKT0_S8_ifPKiSA_SA_iPKfiiiPfSD_PS3_PT2_iSC_SC_,"axG",@progbits,_Z39paged_attention_ll4mi_QKV_mfma16_kernelIDF16_hLN4vllm18Fp8KVCacheDataTypeE1EhLi16ELi128ELi256ELb0ELi11EL8MFMAType1EEvPKT_PKT0_S8_ifPKiSA_SA_iPKfiiiPfSD_PS3_PT2_iSC_SC_,comdat
	.protected	_Z39paged_attention_ll4mi_QKV_mfma16_kernelIDF16_hLN4vllm18Fp8KVCacheDataTypeE1EhLi16ELi128ELi256ELb0ELi11EL8MFMAType1EEvPKT_PKT0_S8_ifPKiSA_SA_iPKfiiiPfSD_PS3_PT2_iSC_SC_ ; -- Begin function _Z39paged_attention_ll4mi_QKV_mfma16_kernelIDF16_hLN4vllm18Fp8KVCacheDataTypeE1EhLi16ELi128ELi256ELb0ELi11EL8MFMAType1EEvPKT_PKT0_S8_ifPKiSA_SA_iPKfiiiPfSD_PS3_PT2_iSC_SC_
	.globl	_Z39paged_attention_ll4mi_QKV_mfma16_kernelIDF16_hLN4vllm18Fp8KVCacheDataTypeE1EhLi16ELi128ELi256ELb0ELi11EL8MFMAType1EEvPKT_PKT0_S8_ifPKiSA_SA_iPKfiiiPfSD_PS3_PT2_iSC_SC_
	.p2align	8
	.type	_Z39paged_attention_ll4mi_QKV_mfma16_kernelIDF16_hLN4vllm18Fp8KVCacheDataTypeE1EhLi16ELi128ELi256ELb0ELi11EL8MFMAType1EEvPKT_PKT0_S8_ifPKiSA_SA_iPKfiiiPfSD_PS3_PT2_iSC_SC_,@function
_Z39paged_attention_ll4mi_QKV_mfma16_kernelIDF16_hLN4vllm18Fp8KVCacheDataTypeE1EhLi16ELi128ELi256ELb0ELi11EL8MFMAType1EEvPKT_PKT0_S8_ifPKiSA_SA_iPKfiiiPfSD_PS3_PT2_iSC_SC_: ; @_Z39paged_attention_ll4mi_QKV_mfma16_kernelIDF16_hLN4vllm18Fp8KVCacheDataTypeE1EhLi16ELi128ELi256ELb0ELi11EL8MFMAType1EEvPKT_PKT0_S8_ifPKiSA_SA_iPKfiiiPfSD_PS3_PT2_iSC_SC_
; %bb.0:
	s_load_b64 s[4:5], s[0:1], 0x30
	s_mov_b32 s34, s13
	s_waitcnt lgkmcnt(0)
	s_cmp_lg_u64 s[4:5], 0
	s_cselect_b32 s8, -1, 0
	s_ashr_i32 s35, s13, 31
	s_cmp_eq_u64 s[4:5], 0
	s_cbranch_scc1 .LBB960_3
; %bb.1:
	s_lshl_b64 s[2:3], s[34:35], 2
	s_delay_alu instid0(SALU_CYCLE_1) | instskip(SKIP_4) | instid1(SALU_CYCLE_1)
	s_add_u32 s2, s4, s2
	s_addc_u32 s3, s5, s3
	s_load_b64 s[2:3], s[2:3], 0x0
	s_waitcnt lgkmcnt(0)
	s_sub_i32 s2, s3, s2
	s_cmp_eq_u32 s2, 1
	s_cselect_b32 s2, -1, 0
	s_delay_alu instid0(SALU_CYCLE_1)
	s_and_not1_b32 vcc_lo, exec_lo, s2
	s_cbranch_vccz .LBB960_4
.LBB960_2:
	s_nop 0
	s_sendmsg sendmsg(MSG_DEALLOC_VGPRS)
	s_endpgm
.LBB960_3:
.LBB960_4:
	s_load_b64 s[2:3], s[0:1], 0x28
	s_lshl_b64 s[6:7], s[34:35], 2
	s_waitcnt lgkmcnt(0)
	s_add_u32 s2, s2, s6
	s_addc_u32 s3, s3, s7
	s_lshl_b32 s12, s14, 8
	s_load_b32 s24, s[2:3], 0x0
	s_waitcnt lgkmcnt(0)
	s_cmp_ge_i32 s12, s24
	s_cbranch_scc1 .LBB960_2
; %bb.5:
	s_clause 0x1
	s_load_b128 s[20:23], s[0:1], 0x8
	s_load_b64 s[2:3], s[0:1], 0x20
	s_and_not1_b32 vcc_lo, exec_lo, s8
	s_cbranch_vccnz .LBB960_7
; %bb.6:
	s_add_u32 s4, s4, s6
	s_addc_u32 s5, s5, s7
	s_load_b32 s5, s[4:5], 0x0
	s_branch .LBB960_8
.LBB960_7:
	s_mov_b32 s5, s34
.LBB960_8:
	s_load_b128 s[16:19], s[0:1], 0x48
	v_and_b32_e32 v68, 15, v0
	v_lshrrev_b32_e32 v69, 5, v0
	v_bfe_u32 v66, v0, 4, 1
	v_and_b32_e32 v70, 31, v0
	v_and_b32_e32 v67, 1, v0
	v_lshlrev_b32_e32 v2, 3, v68
	s_mul_i32 s31, s15, 11
	v_lshl_or_b32 v1, v69, 1, v66
	s_mov_b32 s4, exec_lo
	s_delay_alu instid0(VALU_DEP_2) | instskip(NEXT) | instid1(VALU_DEP_2)
	v_lshlrev_b32_e32 v65, 1, v2
	v_cmpx_gt_u32_e32 11, v1
	s_cbranch_execz .LBB960_10
; %bb.9:
	s_load_b64 s[6:7], s[0:1], 0x0
	v_add_lshl_u32 v2, v1, s31, 7
	s_waitcnt lgkmcnt(0)
	s_mul_hi_i32 s9, s5, s16
	s_mul_i32 s8, s5, s16
	v_lshlrev_b32_e32 v6, 10, v68
	s_lshl_b64 s[8:9], s[8:9], 1
	v_ashrrev_i32_e32 v3, 31, v2
	v_lshlrev_b32_e32 v1, 6, v1
	v_lshlrev_b32_e32 v7, 10, v67
	v_and_b32_e32 v6, 0x3800, v6
	s_delay_alu instid0(VALU_DEP_4) | instskip(NEXT) | instid1(VALU_DEP_2)
	v_lshlrev_b64 v[2:3], 1, v[2:3]
	v_or3_b32 v1, v6, v7, v1
	s_add_u32 s5, s6, s8
	s_addc_u32 s6, s7, s9
	s_delay_alu instid0(VALU_DEP_2) | instskip(NEXT) | instid1(VALU_DEP_3)
	v_add_co_u32 v2, vcc_lo, s5, v2
	v_add_co_ci_u32_e32 v3, vcc_lo, s6, v3, vcc_lo
	s_delay_alu instid0(VALU_DEP_2) | instskip(NEXT) | instid1(VALU_DEP_2)
	v_add_co_u32 v2, vcc_lo, v2, v65
	v_add_co_ci_u32_e32 v3, vcc_lo, 0, v3, vcc_lo
	global_load_b128 v[2:5], v[2:3], off
	s_waitcnt vmcnt(0)
	ds_store_b128 v1, v[2:5]
.LBB960_10:
	s_or_b32 exec_lo, exec_lo, s4
	v_and_b32_e32 v1, 0xef, v0
	s_waitcnt lgkmcnt(0)
	s_add_i32 s5, s24, 15
	s_clause 0x1
	s_load_b32 s4, s[0:1], 0x38
	s_load_b32 s33, s[0:1], 0x98
	s_ashr_i32 s6, s5, 31
	v_add_nc_u32_e32 v1, s12, v1
	s_lshr_b32 s6, s6, 28
	s_load_b32 s19, s[0:1], 0x1c
	s_add_i32 s5, s5, s6
	s_waitcnt lgkmcnt(0)
	v_ashrrev_i32_e32 v2, 31, v1
	v_or_b32_e32 v3, 16, v1
	s_ashr_i32 s13, s5, 4
	v_cmp_gt_i32_e32 vcc_lo, s24, v1
	s_add_i32 s13, s13, -1
	v_lshrrev_b32_e32 v2, 28, v2
	s_barrier
	buffer_gl0_inv
	s_mul_i32 s15, s15, s18
	v_add_nc_u32_e32 v4, v1, v2
	s_mul_i32 s4, s34, s4
	s_delay_alu instid0(SALU_CYCLE_1) | instskip(NEXT) | instid1(VALU_DEP_1)
	s_ashr_i32 s5, s4, 31
	v_ashrrev_i32_e32 v4, 4, v4
	v_add_nc_u32_e32 v2, v3, v2
	s_lshl_b64 s[4:5], s[4:5], 2
	s_delay_alu instid0(SALU_CYCLE_1) | instskip(NEXT) | instid1(VALU_DEP_2)
	s_add_u32 s16, s2, s4
	v_cndmask_b32_e32 v1, s13, v4, vcc_lo
	s_delay_alu instid0(VALU_DEP_2)
	v_ashrrev_i32_e32 v2, 4, v2
	v_cmp_gt_i32_e32 vcc_lo, s24, v3
	s_addc_u32 s25, s3, s5
	s_ashr_i32 s18, s15, 31
	s_add_u32 s26, s20, s15
	s_addc_u32 s27, s21, s18
	v_cndmask_b32_e32 v3, s13, v2, vcc_lo
	v_ashrrev_i32_e32 v2, 31, v1
	s_lshl_b32 s2, s14, 4
	s_delay_alu instid0(SALU_CYCLE_1) | instskip(NEXT) | instid1(VALU_DEP_2)
	s_ashr_i32 s3, s2, 31
	v_ashrrev_i32_e32 v4, 31, v3
	s_delay_alu instid0(VALU_DEP_2) | instskip(SKIP_1) | instid1(SALU_CYCLE_1)
	v_lshlrev_b64 v[1:2], 2, v[1:2]
	s_lshl_b64 s[2:3], s[2:3], 2
	s_add_u32 s2, s16, s2
	s_delay_alu instid0(VALU_DEP_2) | instskip(SKIP_1) | instid1(VALU_DEP_2)
	v_lshlrev_b64 v[3:4], 2, v[3:4]
	s_addc_u32 s3, s25, s3
	v_add_co_u32 v1, vcc_lo, s16, v1
	v_add_co_ci_u32_e32 v2, vcc_lo, s25, v2, vcc_lo
	s_delay_alu instid0(VALU_DEP_3) | instskip(NEXT) | instid1(VALU_DEP_4)
	v_add_co_u32 v3, vcc_lo, s16, v3
	v_add_co_ci_u32_e32 v4, vcc_lo, s25, v4, vcc_lo
	s_clause 0x1
	global_load_b32 v5, v[1:2], off
	global_load_b32 v7, v[3:4], off
	s_or_b32 s4, s12, 32
	v_lshlrev_b32_e32 v1, 4, v0
	s_ashr_i32 s5, s4, 4
	s_cmp_lt_i32 s4, s24
	v_cmp_gt_u32_e32 vcc_lo, 11, v68
	s_cselect_b32 s4, s5, s13
	v_and_b32_e32 v1, 0xf0, v1
	s_ashr_i32 s5, s4, 31
	s_delay_alu instid0(SALU_CYCLE_1) | instskip(NEXT) | instid1(SALU_CYCLE_1)
	s_lshl_b64 s[4:5], s[4:5], 2
	s_add_u32 s4, s16, s4
	s_addc_u32 s5, s25, s5
	s_or_b32 s6, s12, 64
	v_add_co_u32 v1, s26, s26, v1
	s_ashr_i32 s7, s6, 4
	s_cmp_lt_i32 s6, s24
	v_add_co_ci_u32_e64 v2, null, s27, 0, s26
	s_cselect_b32 s6, s7, s13
	s_delay_alu instid0(SALU_CYCLE_1) | instskip(NEXT) | instid1(SALU_CYCLE_1)
	s_ashr_i32 s7, s6, 31
	s_lshl_b64 s[6:7], s[6:7], 2
	s_delay_alu instid0(SALU_CYCLE_1) | instskip(SKIP_2) | instid1(SALU_CYCLE_1)
	s_add_u32 s6, s16, s6
	s_addc_u32 s7, s25, s7
	s_or_b32 s8, s12, 0x60
	s_ashr_i32 s9, s8, 4
	s_cmp_lt_i32 s8, s24
	s_cselect_b32 s8, s9, s13
	s_delay_alu instid0(SALU_CYCLE_1) | instskip(NEXT) | instid1(SALU_CYCLE_1)
	s_ashr_i32 s9, s8, 31
	s_lshl_b64 s[8:9], s[8:9], 2
	s_delay_alu instid0(SALU_CYCLE_1) | instskip(SKIP_2) | instid1(SALU_CYCLE_1)
	s_add_u32 s8, s16, s8
	s_addc_u32 s9, s25, s9
	s_or_b32 s10, s12, 0x80
	s_ashr_i32 s11, s10, 4
	s_cmp_lt_i32 s10, s24
	;; [unrolled: 10-line block ×3, first 2 shown]
	s_cselect_b32 s20, s21, s13
	s_delay_alu instid0(SALU_CYCLE_1) | instskip(NEXT) | instid1(SALU_CYCLE_1)
	s_ashr_i32 s21, s20, 31
	s_lshl_b64 s[20:21], s[20:21], 2
	s_delay_alu instid0(SALU_CYCLE_1)
	s_add_u32 s20, s16, s20
	s_addc_u32 s21, s25, s21
	s_clause 0x5
	s_load_b32 s26, s[2:3], 0x0
	s_load_b32 s27, s[4:5], 0x0
	;; [unrolled: 1-line block ×6, first 2 shown]
	s_or_b32 s2, s12, 0xc0
	s_mov_b32 s4, 0
	s_ashr_i32 s3, s2, 4
	s_cmp_lt_i32 s2, s24
	s_mov_b32 s11, s4
	s_cselect_b32 s2, s3, s13
	s_mov_b32 s5, s4
	s_ashr_i32 s3, s2, 31
	s_mov_b32 s6, s4
	s_lshl_b64 s[2:3], s[2:3], 2
	s_mov_b32 s7, s4
	s_add_u32 s2, s16, s2
	s_addc_u32 s3, s25, s3
	s_or_b32 s20, s12, 0xe0
	s_mov_b32 s8, s4
	s_ashr_i32 s21, s20, 4
	s_cmp_lt_i32 s20, s24
	s_mov_b32 s9, s4
	s_cselect_b32 s20, s21, s13
	s_mov_b32 s10, s4
	s_ashr_i32 s21, s20, 31
	v_mov_b32_e32 v118, s11
	v_dual_mov_b32 v112, s5 :: v_dual_mov_b32 v117, s10
	v_dual_mov_b32 v116, s9 :: v_dual_mov_b32 v115, s8
	;; [unrolled: 1-line block ×3, first 2 shown]
	v_mov_b32_e32 v111, s4
	s_lshl_b64 s[4:5], s[20:21], 2
	s_delay_alu instid0(SALU_CYCLE_1)
	s_add_u32 s4, s16, s4
	s_addc_u32 s5, s25, s5
	s_add_u32 s6, s22, s15
	s_addc_u32 s7, s23, s18
	s_waitcnt vmcnt(1)
	v_mad_i64_i32 v[3:4], null, v5, s17, v[1:2]
	s_waitcnt vmcnt(0)
	v_mad_i64_i32 v[5:6], null, v7, s17, v[1:2]
	v_add_nc_u32_e32 v1, -11, v68
	v_lshlrev_b32_e32 v2, 4, v68
	s_clause 0xf
	global_load_b128 v[17:20], v[3:4], off
	global_load_b128 v[21:24], v[3:4], off offset:256
	global_load_b128 v[25:28], v[5:6], off
	global_load_b128 v[29:32], v[5:6], off offset:256
	global_load_b128 v[57:60], v[3:4], off offset:512
	;; [unrolled: 1-line block ×13, first 2 shown]
	v_cndmask_b32_e32 v1, v1, v68, vcc_lo
	s_delay_alu instid0(VALU_DEP_1)
	v_lshlrev_b32_e32 v149, 6, v1
	v_lshl_or_b32 v1, v69, 8, v2
	ds_load_b128 v[119:122], v149
	ds_load_b128 v[123:126], v149 offset:1024
	ds_load_b128 v[127:130], v149 offset:2048
	ds_load_b128 v[131:134], v149 offset:3072
	s_clause 0x1
	s_load_b32 s2, s[2:3], 0x0
	s_load_b32 s3, s[4:5], 0x0
	v_add_co_u32 v135, s6, s6, v1
	s_delay_alu instid0(VALU_DEP_1) | instskip(SKIP_1) | instid1(VALU_DEP_1)
	v_add_co_ci_u32_e64 v136, null, s7, 0, s6
	s_waitcnt lgkmcnt(0)
	v_mad_i64_i32 v[1:2], null, s26, s17, v[135:136]
	v_mad_i64_i32 v[3:4], null, s27, s17, v[135:136]
	;; [unrolled: 1-line block ×6, first 2 shown]
	s_clause 0x9
	global_load_b128 v[49:52], v[1:2], off
	global_load_b128 v[53:56], v[1:2], off offset:16
	global_load_b128 v[41:44], v[3:4], off
	global_load_b128 v[45:48], v[3:4], off offset:16
	;; [unrolled: 2-line block ×5, first 2 shown]
	v_mad_i64_i32 v[145:146], null, s2, s17, v[135:136]
	v_mad_i64_i32 v[147:148], null, s3, s17, v[135:136]
	s_waitcnt vmcnt(24)
	v_wmma_f32_16x16x16_f16 v[135:142], v[17:24], v[119:126], v[111:118]
	s_waitcnt vmcnt(22)
	v_wmma_f32_16x16x16_f16 v[111:118], v[25:32], v[119:126], v[111:118]
	s_clause 0x3
	global_load_b128 v[17:20], v[143:144], off
	global_load_b128 v[21:24], v[143:144], off offset:16
	global_load_b128 v[25:28], v[145:146], off
	global_load_b128 v[29:32], v[145:146], off offset:16
	v_and_b32_e32 v119, 0xe0, v0
	s_waitcnt vmcnt(24)
	v_wmma_f32_16x16x16_f16 v[135:142], v[57:64], v[127:134], v[135:142]
	s_clause 0x1
	global_load_b128 v[57:60], v[147:148], off
	global_load_b128 v[61:64], v[147:148], off offset:16
	s_waitcnt vmcnt(24)
	v_wmma_f32_16x16x16_f16 v[111:118], v[71:78], v[127:134], v[111:118]
	ds_load_b128 v[71:74], v149 offset:4096
	ds_load_b128 v[75:78], v149 offset:5120
	v_add_nc_u32_e32 v128, s12, v119
	ds_load_b128 v[119:122], v149 offset:6144
	ds_load_b128 v[123:126], v149 offset:7168
	v_mbcnt_lo_u32_b32 v127, -1, 0
	s_waitcnt vmcnt(0) lgkmcnt(0)
	s_barrier
	v_or_b32_e32 v128, v128, v66
	buffer_gl0_inv
	v_xor_b32_e32 v129, 16, v127
	v_or_b32_e32 v130, 4, v128
	v_or_b32_e32 v131, 6, v128
	s_delay_alu instid0(VALU_DEP_3) | instskip(SKIP_4) | instid1(VALU_DEP_4)
	v_cmp_gt_i32_e32 vcc_lo, 32, v129
	v_or_b32_e32 v132, 8, v128
	v_or_b32_e32 v133, 10, v128
	v_cmp_gt_i32_e64 s3, s24, v130
	v_cmp_gt_i32_e64 s4, s24, v131
	v_cmp_gt_i32_e64 s5, s24, v132
	v_wmma_f32_16x16x16_f16 v[135:142], v[79:86], v[71:78], v[135:142]
	v_wmma_f32_16x16x16_f16 v[111:118], v[87:94], v[71:78], v[111:118]
	v_or_b32_e32 v79, 12, v128
	v_or_b32_e32 v80, 14, v128
	v_cmp_gt_i32_e64 s6, s24, v133
	v_wmma_f32_16x16x16_f16 v[135:142], v[95:102], v[119:126], v[135:142]
	v_wmma_f32_16x16x16_f16 v[111:118], v[103:110], v[119:126], v[111:118]
	v_cndmask_b32_e32 v127, v127, v129, vcc_lo
	v_or_b32_e32 v129, 2, v128
	v_cmp_gt_i32_e32 vcc_lo, s24, v128
	v_mul_f32_e32 v88, s19, v135
	v_dual_mul_f32 v92, s19, v115 :: v_dual_mul_f32 v87, s19, v136
	s_delay_alu instid0(VALU_DEP_4)
	v_cmp_gt_i32_e64 s2, s24, v129
	v_mul_f32_e32 v78, s19, v138
	v_mul_f32_e32 v86, s19, v137
	v_cndmask_b32_e32 v88, 0xff7fffff, v88, vcc_lo
	v_mul_f32_e32 v76, s19, v140
	v_cndmask_b32_e64 v87, 0xff7fffff, v87, s2
	v_dual_mul_f32 v77, s19, v139 :: v_dual_mul_f32 v94, s19, v113
	v_cndmask_b32_e64 v86, 0xff7fffff, v86, s3
	v_cndmask_b32_e64 v78, 0xff7fffff, v78, s4
	s_delay_alu instid0(VALU_DEP_4)
	v_max3_f32 v87, v88, 0xff7fffff, v87
	v_or_b32_e32 v81, 16, v128
	v_or_b32_e32 v82, 18, v128
	v_dual_mul_f32 v74, s19, v142 :: v_dual_mul_f32 v75, s19, v141
	v_mul_f32_e32 v96, s19, v111
	v_cndmask_b32_e64 v77, 0xff7fffff, v77, s5
	v_cndmask_b32_e64 v76, 0xff7fffff, v76, s6
	v_max3_f32 v78, v87, v86, v78
	v_cmp_gt_i32_e64 s7, s24, v79
	v_cmp_gt_i32_e64 s8, s24, v80
	v_or_b32_e32 v83, 20, v128
	v_or_b32_e32 v84, 22, v128
	v_mul_f32_e32 v95, s19, v112
	v_cndmask_b32_e64 v75, 0xff7fffff, v75, s7
	v_cndmask_b32_e64 v74, 0xff7fffff, v74, s8
	v_max3_f32 v76, v78, v77, v76
	v_cmp_gt_i32_e64 s9, s24, v81
	v_cmp_gt_i32_e64 s10, s24, v82
	v_or_b32_e32 v85, 24, v128
	v_or_b32_e32 v71, 26, v128
	;; [unrolled: 8-line block ×3, first 2 shown]
	v_mul_f32_e32 v91, s19, v116
	v_cndmask_b32_e64 v75, 0xff7fffff, v94, s11
	v_cndmask_b32_e64 v76, 0xff7fffff, v93, s12
	v_max3_f32 v74, v74, v77, v78
	v_cmp_gt_i32_e64 s13, s24, v85
	v_cmp_gt_i32_e64 s15, s24, v71
	v_dual_mul_f32 v89, s19, v118 :: v_dual_mul_f32 v90, s19, v117
	s_delay_alu instid0(VALU_DEP_4) | instskip(NEXT) | instid1(VALU_DEP_4)
	v_max3_f32 v74, v74, v75, v76
	v_cndmask_b32_e64 v77, 0xff7fffff, v92, s13
	s_delay_alu instid0(VALU_DEP_4) | instskip(SKIP_2) | instid1(VALU_DEP_3)
	v_cndmask_b32_e64 v71, 0xff7fffff, v91, s15
	v_cmp_gt_i32_e64 s16, s24, v72
	v_cmp_gt_i32_e64 s17, s24, v73
	v_max3_f32 v71, v74, v77, v71
	s_delay_alu instid0(VALU_DEP_3) | instskip(NEXT) | instid1(VALU_DEP_3)
	v_cndmask_b32_e64 v72, 0xff7fffff, v90, s16
	v_cndmask_b32_e64 v73, 0xff7fffff, v89, s17
	v_lshlrev_b32_e32 v74, 2, v127
	s_delay_alu instid0(VALU_DEP_2) | instskip(SKIP_3) | instid1(VALU_DEP_1)
	v_max3_f32 v71, v71, v72, v73
	ds_bpermute_b32 v72, v74, v71
	s_waitcnt lgkmcnt(0)
	v_max_f32_e32 v72, v72, v72
	v_max_f32_e32 v71, v71, v72
	s_delay_alu instid0(VALU_DEP_1) | instskip(SKIP_4) | instid1(VALU_DEP_4)
	v_fma_f32 v72, s19, v135, -v71
	v_fma_f32 v73, s19, v136, -v71
	;; [unrolled: 1-line block ×5, first 2 shown]
	v_dual_mul_f32 v72, 0x3fb8aa3b, v72 :: v_dual_mul_f32 v73, 0x3fb8aa3b, v73
	v_fma_f32 v80, s19, v141, -v71
	s_delay_alu instid0(VALU_DEP_3) | instskip(NEXT) | instid1(VALU_DEP_3)
	v_dual_mul_f32 v76, 0x3fb8aa3b, v76 :: v_dual_mul_f32 v77, 0x3fb8aa3b, v77
	v_exp_f32_e32 v72, v72
	s_delay_alu instid0(VALU_DEP_3) | instskip(NEXT) | instid1(VALU_DEP_2)
	v_exp_f32_e32 v73, v73
	v_mul_f32_e32 v82, 0x3fb8aa3b, v80
	s_delay_alu instid0(VALU_DEP_2) | instskip(SKIP_1) | instid1(VALU_DEP_1)
	v_exp_f32_e32 v76, v76
	v_exp_f32_e32 v77, v77
	v_exp_f32_e32 v84, v82
	v_cndmask_b32_e32 v79, 0, v72, vcc_lo
	v_fma_f32 v72, s19, v140, -v71
	v_mul_f32_e32 v75, 0x3fb8aa3b, v75
	v_cndmask_b32_e64 v78, 0, v73, s2
	s_delay_alu instid0(TRANS32_DEP_3) | instskip(NEXT) | instid1(VALU_DEP_4)
	v_cndmask_b32_e64 v80, 0, v76, s4
	v_dual_add_f32 v73, 0, v79 :: v_dual_mul_f32 v72, 0x3fb8aa3b, v72
	s_delay_alu instid0(VALU_DEP_4) | instskip(NEXT) | instid1(TRANS32_DEP_3)
	v_exp_f32_e32 v75, v75
	v_cndmask_b32_e64 v83, 0, v77, s5
	s_delay_alu instid0(TRANS32_DEP_2) | instskip(NEXT) | instid1(VALU_DEP_3)
	v_cndmask_b32_e64 v85, 0, v84, s7
	v_add_f32_e32 v73, v73, v78
	v_exp_f32_e32 v72, v72
	v_cmp_gt_u32_e64 s2, 16, v70
	s_waitcnt_depctr 0xfff
	v_cndmask_b32_e64 v81, 0, v75, s3
	v_cndmask_b32_e64 v82, 0, v72, s6
	s_delay_alu instid0(VALU_DEP_2) | instskip(NEXT) | instid1(VALU_DEP_1)
	v_add_f32_e32 v73, v73, v81
	v_add_f32_e32 v73, v73, v80
	s_delay_alu instid0(VALU_DEP_1) | instskip(NEXT) | instid1(VALU_DEP_1)
	v_add_f32_e32 v72, v73, v83
	v_add_f32_e32 v72, v72, v82
	s_delay_alu instid0(VALU_DEP_1)
	v_add_f32_e32 v72, v72, v85
	v_fma_f32 v76, s19, v111, -v71
	v_fma_f32 v75, s19, v142, -v71
	v_fma_f32 v86, s19, v114, -v71
	v_fma_f32 v77, s19, v112, -v71
	v_fma_f32 v73, s19, v113, -v71
	v_mul_f32_e32 v76, 0x3fb8aa3b, v76
	s_delay_alu instid0(VALU_DEP_4) | instskip(NEXT) | instid1(VALU_DEP_2)
	v_mul_f32_e32 v86, 0x3fb8aa3b, v86
	v_exp_f32_e32 v76, v76
	s_delay_alu instid0(VALU_DEP_1)
	v_exp_f32_e32 v88, v86
	s_waitcnt_depctr 0xfff
	v_cndmask_b32_e64 v87, 0, v76, s9
	v_fma_f32 v76, s19, v116, -v71
	v_mul_f32_e32 v75, 0x3fb8aa3b, v75
	v_cndmask_b32_e64 v88, 0, v88, s12
	s_delay_alu instid0(VALU_DEP_3) | instskip(NEXT) | instid1(VALU_DEP_3)
	v_dual_mul_f32 v73, 0x3fb8aa3b, v73 :: v_dual_mul_f32 v76, 0x3fb8aa3b, v76
	v_exp_f32_e32 v75, v75
	s_delay_alu instid0(VALU_DEP_1) | instskip(NEXT) | instid1(VALU_DEP_1)
	v_exp_f32_e32 v73, v73
	v_exp_f32_e32 v76, v76
	s_delay_alu instid0(TRANS32_DEP_3)
	v_cndmask_b32_e64 v84, 0, v75, s8
	v_fma_f32 v75, s19, v115, -v71
	s_waitcnt_depctr 0xfff
	v_cndmask_b32_e64 v89, 0, v73, s11
	v_cndmask_b32_e64 v90, 0, v76, s15
	v_add_f32_e32 v72, v72, v84
	s_delay_alu instid0(VALU_DEP_1) | instskip(NEXT) | instid1(VALU_DEP_1)
	v_dual_add_f32 v72, v72, v87 :: v_dual_mul_f32 v77, 0x3fb8aa3b, v77
	v_exp_f32_e32 v77, v77
	s_waitcnt_depctr 0xfff
	v_cndmask_b32_e64 v86, 0, v77, s10
	v_fma_f32 v77, s19, v117, -v71
	s_delay_alu instid0(VALU_DEP_2) | instskip(NEXT) | instid1(VALU_DEP_1)
	v_dual_add_f32 v72, v72, v86 :: v_dual_mul_f32 v75, 0x3fb8aa3b, v75
	v_add_f32_e32 v72, v72, v89
	s_delay_alu instid0(VALU_DEP_2) | instskip(NEXT) | instid1(VALU_DEP_1)
	v_exp_f32_e32 v75, v75
	v_add_f32_e32 v72, v72, v88
	s_waitcnt_depctr 0xfff
	v_cndmask_b32_e64 v91, 0, v75, s13
	v_mul_f32_e32 v73, 0x3fb8aa3b, v77
	v_fma_f32 v77, s19, v118, -v71
	s_delay_alu instid0(VALU_DEP_3) | instskip(NEXT) | instid1(VALU_DEP_3)
	v_add_f32_e32 v72, v72, v91
	v_exp_f32_e32 v73, v73
	s_delay_alu instid0(VALU_DEP_1) | instskip(NEXT) | instid1(VALU_DEP_1)
	v_dual_mul_f32 v75, 0x3fb8aa3b, v77 :: v_dual_add_f32 v72, v72, v90
	v_exp_f32_e32 v75, v75
	s_waitcnt_depctr 0xfff
	v_cndmask_b32_e64 v93, 0, v73, s16
	s_delay_alu instid0(VALU_DEP_1) | instskip(SKIP_1) | instid1(VALU_DEP_1)
	v_add_f32_e32 v72, v72, v93
	v_cndmask_b32_e64 v92, 0, v75, s17
	v_add_f32_e32 v72, v72, v92
	ds_bpermute_b32 v73, v74, v72
	s_and_saveexec_b32 s3, s2
	s_cbranch_execz .LBB960_12
; %bb.11:
	v_mul_u32_u24_e32 v70, 0x44, v69
	s_waitcnt lgkmcnt(0)
	v_add_f32_e32 v72, v72, v73
	s_delay_alu instid0(VALU_DEP_2) | instskip(NEXT) | instid1(VALU_DEP_1)
	v_lshl_add_u32 v70, v68, 2, v70
	v_add_nc_u32_e32 v70, 0x4000, v70
	ds_store_2addr_b32 v70, v71, v72 offset1:136
.LBB960_12:
	s_or_b32 exec_lo, exec_lo, s3
	v_lshlrev_b32_e32 v70, 2, v68
	s_load_b32 s35, s[0:1], 0x94
	s_waitcnt lgkmcnt(0)
	s_barrier
	buffer_gl0_inv
	v_add_nc_u32_e32 v98, 0x4000, v70
	v_cmp_eq_u32_e32 vcc_lo, 1, v69
	v_cmp_eq_u32_e64 s3, 2, v69
	v_cmp_eq_u32_e64 s4, 3, v69
	;; [unrolled: 1-line block ×3, first 2 shown]
	ds_load_2addr_b32 v[70:71], v98 offset1:17
	ds_load_2addr_b32 v[72:73], v98 offset0:34 offset1:51
	ds_load_2addr_b32 v[74:75], v98 offset0:68 offset1:85
	;; [unrolled: 1-line block ×3, first 2 shown]
	v_cmp_eq_u32_e64 s6, 5, v69
	v_cmp_eq_u32_e64 s7, 7, v69
	s_waitcnt lgkmcnt(3)
	v_max3_f32 v76, v70, 0xff7fffff, v71
	s_waitcnt lgkmcnt(2)
	s_delay_alu instid0(VALU_DEP_1) | instskip(SKIP_1) | instid1(VALU_DEP_1)
	v_max3_f32 v76, v76, v72, v73
	s_waitcnt lgkmcnt(1)
	v_max3_f32 v76, v76, v74, v75
	s_waitcnt lgkmcnt(0)
	s_delay_alu instid0(VALU_DEP_1) | instskip(NEXT) | instid1(VALU_DEP_1)
	v_max3_f32 v76, v76, v94, v95
	v_sub_f32_e32 v77, v71, v76
	ds_load_2addr_b32 v[96:97], v98 offset0:136 offset1:153
	v_sub_f32_e32 v74, v74, v76
	v_sub_f32_e32 v70, v70, v76
	;; [unrolled: 1-line block ×3, first 2 shown]
	v_dual_sub_f32 v72, v72, v76 :: v_dual_mul_f32 v77, 0x3fb8aa3b, v77
	s_delay_alu instid0(VALU_DEP_4) | instskip(NEXT) | instid1(VALU_DEP_4)
	v_mul_f32_e32 v103, 0x3fb8aa3b, v74
	v_mul_f32_e32 v99, 0x3fb8aa3b, v70
	ds_load_2addr_b32 v[70:71], v98 offset0:170 offset1:187
	v_dual_mul_f32 v101, 0x3fb8aa3b, v72 :: v_dual_mul_f32 v94, 0x3fb8aa3b, v94
	v_exp_f32_e32 v102, v77
	v_exp_f32_e32 v99, v99
	s_delay_alu instid0(VALU_DEP_1) | instskip(NEXT) | instid1(VALU_DEP_1)
	v_exp_f32_e32 v101, v101
	v_exp_f32_e32 v94, v94
	s_waitcnt lgkmcnt(1)
	s_delay_alu instid0(TRANS32_DEP_3)
	v_fma_f32 v77, v99, v96, 0
	v_sub_f32_e32 v100, v73, v76
	ds_load_2addr_b32 v[72:73], v98 offset0:204 offset1:221
	v_fmac_f32_e32 v77, v102, v97
	v_exp_f32_e32 v97, v103
	s_waitcnt lgkmcnt(1)
	s_delay_alu instid0(VALU_DEP_1)
	v_dual_fmac_f32 v77, v101, v70 :: v_dual_sub_f32 v96, v75, v76
	ds_load_2addr_b32 v[74:75], v98 offset0:238 offset1:255
	v_sub_f32_e32 v70, v95, v76
	s_waitcnt lgkmcnt(0)
	s_barrier
	v_mul_f32_e32 v96, 0x3fb8aa3b, v96
	buffer_gl0_inv
	v_exp_f32_e32 v95, v96
	v_mul_f32_e32 v100, 0x3fb8aa3b, v100
	s_delay_alu instid0(VALU_DEP_1) | instskip(SKIP_3) | instid1(VALU_DEP_2)
	v_exp_f32_e32 v100, v100
	s_waitcnt_depctr 0xfff
	v_dual_fmac_f32 v77, v100, v71 :: v_dual_mul_f32 v70, 0x3fb8aa3b, v70
	v_cndmask_b32_e32 v71, v99, v102, vcc_lo
	v_fmac_f32_e32 v77, v97, v72
	s_delay_alu instid0(VALU_DEP_3) | instskip(NEXT) | instid1(VALU_DEP_1)
	v_exp_f32_e32 v96, v70
	v_fmac_f32_e32 v77, v95, v73
	s_delay_alu instid0(VALU_DEP_1) | instskip(SKIP_2) | instid1(VALU_DEP_1)
	v_fmac_f32_e32 v77, v94, v74
	s_waitcnt_depctr 0xfff
	v_fmac_f32_e32 v77, v96, v75
	v_add_f32_e32 v74, 0x358637bd, v77
	s_delay_alu instid0(VALU_DEP_1) | instskip(SKIP_1) | instid1(VALU_DEP_2)
	v_div_scale_f32 v98, null, v74, v74, 1.0
	v_div_scale_f32 v99, vcc_lo, 1.0, v74, 1.0
	v_rcp_f32_e32 v103, v98
	s_waitcnt_depctr 0xfff
	v_fma_f32 v70, -v98, v103, 1.0
	s_delay_alu instid0(VALU_DEP_1) | instskip(SKIP_2) | instid1(VALU_DEP_2)
	v_fmac_f32_e32 v103, v70, v103
	v_cndmask_b32_e64 v70, v71, v101, s3
	v_cmp_eq_u32_e64 s3, 6, v69
	v_cndmask_b32_e64 v71, v70, v100, s4
	s_delay_alu instid0(VALU_DEP_4) | instskip(NEXT) | instid1(VALU_DEP_2)
	v_dual_mul_f32 v101, v99, v103 :: v_dual_lshlrev_b32 v70, 2, v66
	v_cndmask_b32_e64 v71, v71, v97, s5
	s_delay_alu instid0(VALU_DEP_2) | instskip(NEXT) | instid1(VALU_DEP_3)
	v_or_b32_e32 v72, 1, v70
	v_fma_f32 v100, -v98, v101, v99
	v_cmp_eq_u32_e64 s4, 1, v70
	v_cmp_eq_u32_e64 s5, 2, v70
	v_cndmask_b32_e64 v95, v71, v95, s6
	v_or_b32_e32 v71, 3, v70
	v_fmac_f32_e32 v101, v100, v103
	v_cmp_eq_u32_e64 s9, 1, v72
	v_cmp_eq_u32_e64 s12, 2, v72
	v_cndmask_b32_e64 v94, v95, v94, s3
	v_cmp_eq_u32_e64 s11, 1, v71
	v_fma_f32 v97, -v98, v101, v99
	v_cmp_eq_u32_e64 s16, 2, v71
	v_cmp_eq_u32_e64 s13, 3, v72
	v_cndmask_b32_e64 v94, v94, v96, s7
	v_cmp_eq_u32_e64 s18, 3, v71
	v_div_fmas_f32 v95, v97, v103, v101
	v_cmp_eq_u32_e32 vcc_lo, 3, v70
	v_cmp_eq_u32_e64 s3, 4, v70
	v_cmp_eq_u32_e64 s19, 4, v72
	;; [unrolled: 1-line block ×3, first 2 shown]
	v_div_fixup_f32 v95, v95, v74, 1.0
	v_lshlrev_b32_e32 v73, 6, v68
	v_cmp_eq_u32_e64 s6, 5, v70
	v_cmp_eq_u32_e64 s20, 5, v72
	;; [unrolled: 1-line block ×3, first 2 shown]
	v_mul_f32_e32 v102, v94, v95
	v_lshl_or_b32 v75, v69, 11, v73
	v_or_b32_e32 v69, 2, v70
	v_cmp_eq_u32_e64 s25, 6, v72
	v_cmp_eq_u32_e64 s27, 6, v71
	v_fma_mixlo_f16 v94, v102, v79, 0
	v_fma_mixlo_f16 v95, v102, v81, 0
	;; [unrolled: 1-line block ×8, first 2 shown]
	v_lshl_or_b32 v74, v66, 4, v75
	v_fma_mixhi_f16 v94, v102, v78, 0
	v_fma_mixhi_f16 v95, v102, v80, 0
	;; [unrolled: 1-line block ×8, first 2 shown]
	ds_store_b128 v74, v[94:97]
	ds_store_b128 v74, v[98:101] offset:1024
	s_waitcnt lgkmcnt(0)
	s_barrier
	buffer_gl0_inv
	ds_load_b128 v[78:81], v75
	ds_load_b128 v[82:85], v75 offset:16
	ds_load_b128 v[86:89], v75 offset:1024
	;; [unrolled: 1-line block ×3, first 2 shown]
	v_cmp_eq_u32_e64 s10, 1, v69
	v_cmp_eq_u32_e64 s15, 2, v69
	;; [unrolled: 1-line block ×11, first 2 shown]
	s_waitcnt lgkmcnt(3)
	v_lshrrev_b32_e32 v94, 16, v78
	s_waitcnt lgkmcnt(2)
	v_lshrrev_b32_e32 v98, 16, v82
	;; [unrolled: 2-line block ×4, first 2 shown]
	v_lshrrev_b32_e32 v95, 16, v79
	v_cndmask_b32_e64 v110, v78, v94, s4
	v_cndmask_b32_e64 v111, v82, v98, s4
	;; [unrolled: 1-line block ×8, first 2 shown]
	v_lshrrev_b32_e32 v99, 16, v83
	v_cndmask_b32_e64 v94, v86, v102, s4
	v_cndmask_b32_e64 v98, v90, v106, s4
	;; [unrolled: 1-line block ×15, first 2 shown]
	v_lshrrev_b32_e32 v103, 16, v87
	v_lshrrev_b32_e32 v107, 16, v91
	v_cndmask_b32_e64 v113, v115, v83, s15
	v_cndmask_b32_e64 v82, v94, v87, s5
	;; [unrolled: 1-line block ×7, first 2 shown]
	v_cndmask_b32_e32 v90, v102, v95, vcc_lo
	v_cndmask_b32_e32 v102, v106, v99, vcc_lo
	v_cndmask_b32_e64 v106, v110, v95, s13
	v_cndmask_b32_e64 v110, v111, v99, s13
	;; [unrolled: 1-line block ×4, first 2 shown]
	v_lshrrev_b32_e32 v96, 16, v80
	v_lshrrev_b32_e32 v100, 16, v84
	v_cndmask_b32_e64 v111, v112, v95, s17
	v_cndmask_b32_e64 v112, v113, v99, s17
	v_cndmask_b32_e32 v82, v82, v103, vcc_lo
	v_cndmask_b32_e32 v83, v83, v107, vcc_lo
	v_cndmask_b32_e64 v94, v94, v103, s13
	v_cndmask_b32_e64 v90, v90, v80, s3
	;; [unrolled: 1-line block ×7, first 2 shown]
	v_lshrrev_b32_e32 v104, 16, v88
	v_cndmask_b32_e64 v106, v111, v80, s21
	v_cndmask_b32_e64 v110, v112, v84, s21
	;; [unrolled: 1-line block ×11, first 2 shown]
	v_lshrrev_b32_e32 v97, 16, v81
	v_lshrrev_b32_e32 v101, 16, v85
	v_cndmask_b32_e64 v99, v106, v96, s23
	v_cndmask_b32_e64 v102, v110, v100, s23
	;; [unrolled: 1-line block ×7, first 2 shown]
	v_lshrrev_b32_e32 v105, 16, v89
	v_cndmask_b32_e64 v80, v80, v104, s6
	v_cndmask_b32_e64 v84, v84, v81, s7
	;; [unrolled: 1-line block ×16, first 2 shown]
	v_perm_b32 v81, v79, v78, 0x5040100
	v_perm_b32 v79, v95, v85, 0x5040100
	v_cndmask_b32_e64 v78, v119, v91, s15
	v_cndmask_b32_e64 v85, v117, v91, s12
	;; [unrolled: 1-line block ×3, first 2 shown]
	v_perm_b32 v80, v94, v90, 0x5040100
	v_cndmask_b32_e64 v90, v98, v103, s17
	v_cndmask_b32_e64 v86, v86, v103, s18
	;; [unrolled: 1-line block ×5, first 2 shown]
	v_lshrrev_b32_e32 v108, 16, v92
	v_cndmask_b32_e64 v90, v90, v88, s21
	v_cndmask_b32_e64 v86, v86, v88, s22
	;; [unrolled: 1-line block ×11, first 2 shown]
	v_lshrrev_b32_e32 v109, 16, v93
	v_cndmask_b32_e64 v82, v82, v93, s7
	v_cndmask_b32_e64 v88, v88, v89, s26
	;; [unrolled: 1-line block ×12, first 2 shown]
	v_perm_b32 v78, v84, v83, 0x5040100
	v_perm_b32 v85, v87, v86, 0x5040100
	;; [unrolled: 1-line block ×5, first 2 shown]
	s_mul_i32 s8, s33, 11
	s_mov_b32 s3, exec_lo
	ds_store_b128 v74, v[78:81]
	ds_store_b128 v74, v[82:85] offset:1024
	v_cmpx_gt_u32_e32 11, v0
	s_cbranch_execz .LBB960_14
; %bb.13:
	s_mul_i32 s4, s8, s34
	s_delay_alu instid0(SALU_CYCLE_1) | instskip(SKIP_1) | instid1(VALU_DEP_1)
	v_add3_u32 v68, s4, s31, v68
	s_load_b128 s[4:7], s[0:1], 0x58
	v_mad_u64_u32 v[78:79], null, v68, s35, s[14:15]
	s_delay_alu instid0(VALU_DEP_1) | instskip(NEXT) | instid1(VALU_DEP_1)
	v_ashrrev_i32_e32 v79, 31, v78
	v_lshlrev_b64 v[78:79], 2, v[78:79]
	s_waitcnt lgkmcnt(0)
	s_delay_alu instid0(VALU_DEP_1) | instskip(NEXT) | instid1(VALU_DEP_2)
	v_add_co_u32 v80, vcc_lo, s6, v78
	v_add_co_ci_u32_e32 v81, vcc_lo, s7, v79, vcc_lo
	v_add_co_u32 v78, vcc_lo, s4, v78
	v_add_co_ci_u32_e32 v79, vcc_lo, s5, v79, vcc_lo
	global_store_b32 v[80:81], v76, off
	global_store_b32 v[78:79], v77, off
.LBB960_14:
	s_or_b32 exec_lo, exec_lo, s3
	s_waitcnt lgkmcnt(0)
	s_waitcnt_vscnt null, 0x0
	s_barrier
	buffer_gl0_inv
	ds_load_b128 v[84:87], v73
	ds_load_b128 v[88:91], v73 offset:16
	ds_load_b128 v[96:99], v73 offset:2064
	;; [unrolled: 1-line block ×5, first 2 shown]
	v_cmp_eq_u32_e32 vcc_lo, 1, v70
	v_mov_b32_e32 v76, 0
	ds_load_b128 v[112:115], v73 offset:6160
	ds_load_b128 v[108:111], v73 offset:6144
	;; [unrolled: 1-line block ×4, first 2 shown]
	v_cmp_eq_u32_e64 s4, 1, v69
	v_cmp_eq_u32_e64 s3, 1, v72
	;; [unrolled: 1-line block ×3, first 2 shown]
	v_mov_b32_e32 v77, v76
	v_mov_b32_e32 v78, v76
	;; [unrolled: 1-line block ×7, first 2 shown]
	v_cmp_eq_u32_e64 s6, 3, v72
	v_cmp_eq_u32_e64 s7, 7, v72
	s_waitcnt lgkmcnt(8)
	s_delay_alu instid0(VALU_DEP_3)
	v_wmma_f32_16x16x16_f16 v[76:83], v[49:56], v[84:91], v[76:83]
	ds_load_b128 v[53:56], v73 offset:10256
	ds_load_b128 v[49:52], v73 offset:10240
	s_waitcnt lgkmcnt(8)
	v_wmma_f32_16x16x16_f16 v[76:83], v[41:48], v[92:99], v[76:83]
	ds_load_b128 v[45:48], v73 offset:12304
	ds_load_b128 v[41:44], v73 offset:12288
	s_waitcnt lgkmcnt(8)
	v_wmma_f32_16x16x16_f16 v[76:83], v[33:40], v[100:107], v[76:83]
	ds_load_b128 v[37:40], v73 offset:14352
	ds_load_b128 v[33:36], v73 offset:14336
	s_waitcnt lgkmcnt(0)
	s_barrier
	buffer_gl0_inv
	v_wmma_f32_16x16x16_f16 v[76:83], v[1:8], v[108:115], v[76:83]
	s_delay_alu instid0(VALU_DEP_1) | instskip(NEXT) | instid1(VALU_DEP_1)
	v_wmma_f32_16x16x16_f16 v[76:83], v[9:16], v[116:123], v[76:83]
	v_wmma_f32_16x16x16_f16 v[76:83], v[17:24], v[49:56], v[76:83]
	s_delay_alu instid0(VALU_DEP_1) | instskip(NEXT) | instid1(VALU_DEP_1)
	v_wmma_f32_16x16x16_f16 v[76:83], v[25:32], v[41:48], v[76:83]
	v_wmma_f32_16x16x16_f16 v[76:83], v[57:64], v[33:40], v[76:83]
	s_delay_alu instid0(VALU_DEP_1) | instskip(NEXT) | instid1(VALU_DEP_2)
	v_cvt_f16_f32_e32 v1, v76
	v_cvt_f16_f32_e32 v2, v77
	s_delay_alu instid0(VALU_DEP_3) | instskip(NEXT) | instid1(VALU_DEP_4)
	v_cvt_f16_f32_e32 v3, v78
	v_cvt_f16_f32_e32 v4, v79
	;; [unrolled: 1-line block ×6, first 2 shown]
	v_pack_b32_f16 v1, v1, v2
	v_pack_b32_f16 v2, v3, v4
	;; [unrolled: 1-line block ×3, first 2 shown]
	s_delay_alu instid0(VALU_DEP_4)
	v_pack_b32_f16 v4, v7, v8
	ds_store_b128 v74, v[1:4]
	s_waitcnt lgkmcnt(0)
	s_barrier
	buffer_gl0_inv
	ds_load_b128 v[1:4], v75
	ds_load_b128 v[5:8], v75 offset:16
	s_waitcnt lgkmcnt(1)
	v_lshrrev_b32_e32 v9, 16, v1
	s_waitcnt lgkmcnt(0)
	v_lshrrev_b32_e32 v13, 16, v5
	v_lshrrev_b32_e32 v10, 16, v2
	;; [unrolled: 1-line block ×4, first 2 shown]
	v_cndmask_b32_e32 v17, v1, v9, vcc_lo
	v_cndmask_b32_e32 v18, v5, v13, vcc_lo
	v_cndmask_b32_e64 v21, v1, v9, s4
	v_cmp_eq_u32_e32 vcc_lo, 1, v71
	v_cndmask_b32_e64 v22, v5, v13, s4
	v_cmp_eq_u32_e64 s4, 2, v70
	v_cndmask_b32_e64 v19, v1, v9, s3
	v_cndmask_b32_e64 v20, v5, v13, s3
	v_cndmask_b32_e32 v1, v1, v9, vcc_lo
	v_cmp_eq_u32_e64 s3, 2, v71
	v_cndmask_b32_e32 v5, v5, v13, vcc_lo
	v_cndmask_b32_e64 v9, v17, v2, s4
	v_cmp_eq_u32_e32 vcc_lo, 3, v70
	v_cndmask_b32_e64 v13, v18, v6, s4
	v_cmp_eq_u32_e64 s4, 2, v69
	v_cndmask_b32_e64 v17, v19, v2, s5
	v_cndmask_b32_e64 v18, v20, v6, s5
	v_cmp_eq_u32_e64 s5, 3, v69
	v_cndmask_b32_e64 v1, v1, v2, s3
	v_cndmask_b32_e64 v19, v21, v2, s4
	;; [unrolled: 1-line block ×4, first 2 shown]
	v_cndmask_b32_e32 v5, v9, v10, vcc_lo
	v_cndmask_b32_e32 v6, v13, v14, vcc_lo
	v_cmp_eq_u32_e32 vcc_lo, 3, v71
	v_cndmask_b32_e64 v9, v17, v10, s6
	v_cndmask_b32_e64 v13, v18, v14, s6
	;; [unrolled: 1-line block ×3, first 2 shown]
	v_cmp_eq_u32_e64 s4, 4, v70
	v_cndmask_b32_e32 v1, v1, v10, vcc_lo
	v_cndmask_b32_e32 v2, v2, v14, vcc_lo
	v_cmp_eq_u32_e32 vcc_lo, 4, v72
	v_lshrrev_b32_e32 v15, 16, v7
	v_lshrrev_b32_e32 v16, 16, v8
	v_cndmask_b32_e64 v17, v19, v10, s5
	v_cmp_eq_u32_e64 s3, 4, v71
	v_cndmask_b32_e64 v5, v5, v3, s4
	v_cndmask_b32_e64 v6, v6, v7, s4
	v_cndmask_b32_e32 v9, v9, v3, vcc_lo
	v_cmp_eq_u32_e64 s4, 5, v72
	v_cndmask_b32_e32 v10, v13, v7, vcc_lo
	v_cmp_eq_u32_e32 vcc_lo, 4, v69
	v_cmp_eq_u32_e64 s5, 5, v70
	v_cndmask_b32_e64 v2, v2, v7, s3
	v_cndmask_b32_e64 v9, v9, v11, s4
	;; [unrolled: 1-line block ×3, first 2 shown]
	v_cndmask_b32_e32 v13, v17, v3, vcc_lo
	v_cmp_eq_u32_e64 s4, 5, v69
	v_cndmask_b32_e32 v14, v18, v7, vcc_lo
	v_cndmask_b32_e64 v1, v1, v3, s3
	v_cmp_eq_u32_e32 vcc_lo, 5, v71
	v_lshrrev_b32_e32 v12, 16, v4
	v_cndmask_b32_e64 v13, v13, v11, s4
	v_cndmask_b32_e64 v3, v14, v15, s4
	v_cmp_eq_u32_e64 s4, 6, v71
	v_cndmask_b32_e32 v1, v1, v11, vcc_lo
	v_cndmask_b32_e64 v5, v5, v11, s5
	v_cmp_eq_u32_e64 s6, 6, v70
	v_cndmask_b32_e64 v6, v6, v15, s5
	v_cmp_eq_u32_e64 s5, 6, v72
	v_cmp_eq_u32_e64 s3, 6, v69
	v_cndmask_b32_e64 v1, v1, v4, s4
	v_cndmask_b32_e32 v2, v2, v15, vcc_lo
	v_cmp_eq_u32_e32 vcc_lo, 7, v71
	v_cndmask_b32_e64 v5, v5, v4, s6
	v_cndmask_b32_e64 v9, v9, v4, s5
	;; [unrolled: 1-line block ×3, first 2 shown]
	v_cmp_eq_u32_e64 s6, 7, v70
	v_cndmask_b32_e32 v1, v1, v12, vcc_lo
	v_cndmask_b32_e64 v7, v13, v4, s3
	v_cndmask_b32_e64 v3, v3, v8, s3
	;; [unrolled: 1-line block ×3, first 2 shown]
	v_cmp_eq_u32_e64 s3, 7, v69
	v_cndmask_b32_e64 v4, v10, v8, s5
	v_cndmask_b32_e64 v5, v5, v12, s6
	;; [unrolled: 1-line block ×3, first 2 shown]
	v_cndmask_b32_e32 v2, v2, v16, vcc_lo
	v_cndmask_b32_e64 v7, v7, v12, s3
	v_cndmask_b32_e64 v3, v3, v16, s3
	;; [unrolled: 1-line block ×4, first 2 shown]
	v_perm_b32 v4, v2, v1, 0x5040100
	s_mov_b32 s3, exec_lo
	v_perm_b32 v3, v3, v7, 0x5040100
	v_perm_b32 v2, v8, v9, 0x5040100
	;; [unrolled: 1-line block ×3, first 2 shown]
	ds_store_b128 v74, v[1:4]
	s_waitcnt lgkmcnt(0)
	s_barrier
	buffer_gl0_inv
	v_cmpx_gt_u32_e32 32, v0
	s_cbranch_execz .LBB960_2
; %bb.15:
	s_load_b64 s[4:5], s[0:1], 0x68
	v_lshlrev_b32_e32 v0, 10, v0
	v_lshlrev_b32_e32 v1, 4, v67
	s_lshl_b32 s0, s35, 7
	v_add_nc_u32_e32 v7, s31, v66
	s_mul_i32 s1, s0, s34
	s_delay_alu instid0(SALU_CYCLE_1) | instskip(SKIP_1) | instid1(VALU_DEP_2)
	s_mul_i32 s6, s1, s8
	v_and_or_b32 v0, 0x3800, v0, v1
	v_mul_lo_u32 v1, v7, s0
	v_add_nc_u32_e32 v2, 2, v7
	s_ashr_i32 s7, s6, 31
	v_add_nc_u32_e32 v4, 4, v7
	s_lshl_b64 s[6:7], s[6:7], 1
	v_add_nc_u32_e32 v8, 6, v7
	v_mul_lo_u32 v3, v2, s0
	v_lshl_or_b32 v19, v66, 6, v0
	v_ashrrev_i32_e32 v2, 31, v1
	v_mul_lo_u32 v11, v4, s0
	v_mul_lo_u32 v25, v8, s0
	s_waitcnt lgkmcnt(0)
	s_add_u32 s1, s4, s6
	s_addc_u32 s3, s5, s7
	s_lshl_b32 s4, s14, 7
	v_lshlrev_b64 v[5:6], 1, v[1:2]
	s_ashr_i32 s5, s4, 31
	v_ashrrev_i32_e32 v4, 31, v3
	s_lshl_b64 s[4:5], s[4:5], 1
	v_ashrrev_i32_e32 v12, 31, v11
	s_add_u32 s1, s1, s4
	s_addc_u32 s3, s3, s5
	v_add_co_u32 v1, s1, s1, v65
	s_delay_alu instid0(VALU_DEP_1) | instskip(SKIP_1) | instid1(VALU_DEP_3)
	v_add_co_ci_u32_e64 v2, null, s3, 0, s1
	v_lshlrev_b64 v[3:4], 1, v[3:4]
	v_add_co_u32 v23, vcc_lo, v1, v5
	v_add_nc_u32_e32 v5, 8, v7
	s_delay_alu instid0(VALU_DEP_4) | instskip(NEXT) | instid1(VALU_DEP_4)
	v_add_co_ci_u32_e32 v24, vcc_lo, v2, v6, vcc_lo
	v_add_co_u32 v27, vcc_lo, v1, v3
	s_delay_alu instid0(VALU_DEP_3)
	v_mul_lo_u32 v29, v5, s0
	v_add_co_ci_u32_e32 v28, vcc_lo, v2, v4, vcc_lo
	ds_load_b128 v[3:6], v19
	ds_load_b128 v[7:10], v19 offset:128
	v_lshlrev_b64 v[31:32], 1, v[11:12]
	ds_load_b128 v[11:14], v19 offset:256
	ds_load_b128 v[15:18], v19 offset:384
	;; [unrolled: 1-line block ×3, first 2 shown]
	v_ashrrev_i32_e32 v26, 31, v25
	v_ashrrev_i32_e32 v30, 31, v29
	v_add_co_u32 v31, vcc_lo, v1, v31
	s_delay_alu instid0(VALU_DEP_3) | instskip(NEXT) | instid1(VALU_DEP_3)
	v_lshlrev_b64 v[25:26], 1, v[25:26]
	v_lshlrev_b64 v[29:30], 1, v[29:30]
	v_add_co_ci_u32_e32 v32, vcc_lo, v2, v32, vcc_lo
	s_delay_alu instid0(VALU_DEP_3) | instskip(NEXT) | instid1(VALU_DEP_4)
	v_add_co_u32 v25, vcc_lo, v1, v25
	v_add_co_ci_u32_e32 v26, vcc_lo, v2, v26, vcc_lo
	s_delay_alu instid0(VALU_DEP_4)
	v_add_co_u32 v29, vcc_lo, v1, v29
	v_add_co_ci_u32_e32 v30, vcc_lo, v2, v30, vcc_lo
	s_waitcnt lgkmcnt(4)
	global_store_b128 v[23:24], v[3:6], off
	s_waitcnt lgkmcnt(3)
	global_store_b128 v[27:28], v[7:10], off
	;; [unrolled: 2-line block ×5, first 2 shown]
	s_and_b32 exec_lo, exec_lo, s2
	s_cbranch_execz .LBB960_2
; %bb.16:
	ds_load_b128 v[3:6], v0 offset:640
	s_add_i32 s1, s31, 10
	s_delay_alu instid0(SALU_CYCLE_1) | instskip(NEXT) | instid1(SALU_CYCLE_1)
	s_mul_i32 s0, s1, s0
	s_ashr_i32 s1, s0, 31
	s_delay_alu instid0(SALU_CYCLE_1) | instskip(NEXT) | instid1(SALU_CYCLE_1)
	s_lshl_b64 s[0:1], s[0:1], 1
	v_add_co_u32 v0, vcc_lo, v1, s0
	v_add_co_ci_u32_e32 v1, vcc_lo, s1, v2, vcc_lo
	s_waitcnt lgkmcnt(0)
	global_store_b128 v[0:1], v[3:6], off
	s_nop 0
	s_sendmsg sendmsg(MSG_DEALLOC_VGPRS)
	s_endpgm
	.section	.rodata,"a",@progbits
	.p2align	6, 0x0
	.amdhsa_kernel _Z39paged_attention_ll4mi_QKV_mfma16_kernelIDF16_hLN4vllm18Fp8KVCacheDataTypeE1EhLi16ELi128ELi256ELb0ELi11EL8MFMAType1EEvPKT_PKT0_S8_ifPKiSA_SA_iPKfiiiPfSD_PS3_PT2_iSC_SC_
		.amdhsa_group_segment_fixed_size 17472
		.amdhsa_private_segment_fixed_size 0
		.amdhsa_kernarg_size 400
		.amdhsa_user_sgpr_count 13
		.amdhsa_user_sgpr_dispatch_ptr 0
		.amdhsa_user_sgpr_queue_ptr 0
		.amdhsa_user_sgpr_kernarg_segment_ptr 1
		.amdhsa_user_sgpr_dispatch_id 0
		.amdhsa_user_sgpr_private_segment_size 0
		.amdhsa_wavefront_size32 1
		.amdhsa_uses_dynamic_stack 0
		.amdhsa_enable_private_segment 0
		.amdhsa_system_sgpr_workgroup_id_x 1
		.amdhsa_system_sgpr_workgroup_id_y 1
		.amdhsa_system_sgpr_workgroup_id_z 1
		.amdhsa_system_sgpr_workgroup_info 0
		.amdhsa_system_vgpr_workitem_id 0
		.amdhsa_next_free_vgpr 150
		.amdhsa_next_free_sgpr 36
		.amdhsa_reserve_vcc 1
		.amdhsa_float_round_mode_32 0
		.amdhsa_float_round_mode_16_64 0
		.amdhsa_float_denorm_mode_32 3
		.amdhsa_float_denorm_mode_16_64 3
		.amdhsa_dx10_clamp 1
		.amdhsa_ieee_mode 1
		.amdhsa_fp16_overflow 0
		.amdhsa_workgroup_processor_mode 1
		.amdhsa_memory_ordered 1
		.amdhsa_forward_progress 0
		.amdhsa_shared_vgpr_count 0
		.amdhsa_exception_fp_ieee_invalid_op 0
		.amdhsa_exception_fp_denorm_src 0
		.amdhsa_exception_fp_ieee_div_zero 0
		.amdhsa_exception_fp_ieee_overflow 0
		.amdhsa_exception_fp_ieee_underflow 0
		.amdhsa_exception_fp_ieee_inexact 0
		.amdhsa_exception_int_div_zero 0
	.end_amdhsa_kernel
	.section	.text._Z39paged_attention_ll4mi_QKV_mfma16_kernelIDF16_hLN4vllm18Fp8KVCacheDataTypeE1EhLi16ELi128ELi256ELb0ELi11EL8MFMAType1EEvPKT_PKT0_S8_ifPKiSA_SA_iPKfiiiPfSD_PS3_PT2_iSC_SC_,"axG",@progbits,_Z39paged_attention_ll4mi_QKV_mfma16_kernelIDF16_hLN4vllm18Fp8KVCacheDataTypeE1EhLi16ELi128ELi256ELb0ELi11EL8MFMAType1EEvPKT_PKT0_S8_ifPKiSA_SA_iPKfiiiPfSD_PS3_PT2_iSC_SC_,comdat
.Lfunc_end960:
	.size	_Z39paged_attention_ll4mi_QKV_mfma16_kernelIDF16_hLN4vllm18Fp8KVCacheDataTypeE1EhLi16ELi128ELi256ELb0ELi11EL8MFMAType1EEvPKT_PKT0_S8_ifPKiSA_SA_iPKfiiiPfSD_PS3_PT2_iSC_SC_, .Lfunc_end960-_Z39paged_attention_ll4mi_QKV_mfma16_kernelIDF16_hLN4vllm18Fp8KVCacheDataTypeE1EhLi16ELi128ELi256ELb0ELi11EL8MFMAType1EEvPKT_PKT0_S8_ifPKiSA_SA_iPKfiiiPfSD_PS3_PT2_iSC_SC_
                                        ; -- End function
	.section	.AMDGPU.csdata,"",@progbits
; Kernel info:
; codeLenInByte = 6800
; NumSgprs: 38
; NumVgprs: 150
; ScratchSize: 0
; MemoryBound: 0
; FloatMode: 240
; IeeeMode: 1
; LDSByteSize: 17472 bytes/workgroup (compile time only)
; SGPRBlocks: 4
; VGPRBlocks: 18
; NumSGPRsForWavesPerEU: 38
; NumVGPRsForWavesPerEU: 150
; Occupancy: 9
; WaveLimiterHint : 1
; COMPUTE_PGM_RSRC2:SCRATCH_EN: 0
; COMPUTE_PGM_RSRC2:USER_SGPR: 13
; COMPUTE_PGM_RSRC2:TRAP_HANDLER: 0
; COMPUTE_PGM_RSRC2:TGID_X_EN: 1
; COMPUTE_PGM_RSRC2:TGID_Y_EN: 1
; COMPUTE_PGM_RSRC2:TGID_Z_EN: 1
; COMPUTE_PGM_RSRC2:TIDIG_COMP_CNT: 0
	.section	.text._Z39paged_attention_ll4mi_QKV_mfma16_kernelIDF16_hLN4vllm18Fp8KVCacheDataTypeE1EhLi16ELi128ELi256ELb0ELi12EL8MFMAType1EEvPKT_PKT0_S8_ifPKiSA_SA_iPKfiiiPfSD_PS3_PT2_iSC_SC_,"axG",@progbits,_Z39paged_attention_ll4mi_QKV_mfma16_kernelIDF16_hLN4vllm18Fp8KVCacheDataTypeE1EhLi16ELi128ELi256ELb0ELi12EL8MFMAType1EEvPKT_PKT0_S8_ifPKiSA_SA_iPKfiiiPfSD_PS3_PT2_iSC_SC_,comdat
	.protected	_Z39paged_attention_ll4mi_QKV_mfma16_kernelIDF16_hLN4vllm18Fp8KVCacheDataTypeE1EhLi16ELi128ELi256ELb0ELi12EL8MFMAType1EEvPKT_PKT0_S8_ifPKiSA_SA_iPKfiiiPfSD_PS3_PT2_iSC_SC_ ; -- Begin function _Z39paged_attention_ll4mi_QKV_mfma16_kernelIDF16_hLN4vllm18Fp8KVCacheDataTypeE1EhLi16ELi128ELi256ELb0ELi12EL8MFMAType1EEvPKT_PKT0_S8_ifPKiSA_SA_iPKfiiiPfSD_PS3_PT2_iSC_SC_
	.globl	_Z39paged_attention_ll4mi_QKV_mfma16_kernelIDF16_hLN4vllm18Fp8KVCacheDataTypeE1EhLi16ELi128ELi256ELb0ELi12EL8MFMAType1EEvPKT_PKT0_S8_ifPKiSA_SA_iPKfiiiPfSD_PS3_PT2_iSC_SC_
	.p2align	8
	.type	_Z39paged_attention_ll4mi_QKV_mfma16_kernelIDF16_hLN4vllm18Fp8KVCacheDataTypeE1EhLi16ELi128ELi256ELb0ELi12EL8MFMAType1EEvPKT_PKT0_S8_ifPKiSA_SA_iPKfiiiPfSD_PS3_PT2_iSC_SC_,@function
_Z39paged_attention_ll4mi_QKV_mfma16_kernelIDF16_hLN4vllm18Fp8KVCacheDataTypeE1EhLi16ELi128ELi256ELb0ELi12EL8MFMAType1EEvPKT_PKT0_S8_ifPKiSA_SA_iPKfiiiPfSD_PS3_PT2_iSC_SC_: ; @_Z39paged_attention_ll4mi_QKV_mfma16_kernelIDF16_hLN4vllm18Fp8KVCacheDataTypeE1EhLi16ELi128ELi256ELb0ELi12EL8MFMAType1EEvPKT_PKT0_S8_ifPKiSA_SA_iPKfiiiPfSD_PS3_PT2_iSC_SC_
; %bb.0:
	s_load_b64 s[4:5], s[0:1], 0x30
	s_mov_b32 s30, s13
	s_waitcnt lgkmcnt(0)
	s_cmp_lg_u64 s[4:5], 0
	s_cselect_b32 s8, -1, 0
	s_ashr_i32 s31, s13, 31
	s_cmp_eq_u64 s[4:5], 0
	s_cbranch_scc1 .LBB961_3
; %bb.1:
	s_lshl_b64 s[2:3], s[30:31], 2
	s_delay_alu instid0(SALU_CYCLE_1) | instskip(SKIP_4) | instid1(SALU_CYCLE_1)
	s_add_u32 s2, s4, s2
	s_addc_u32 s3, s5, s3
	s_load_b64 s[2:3], s[2:3], 0x0
	s_waitcnt lgkmcnt(0)
	s_sub_i32 s2, s3, s2
	s_cmp_eq_u32 s2, 1
	s_cselect_b32 s2, -1, 0
	s_delay_alu instid0(SALU_CYCLE_1)
	s_and_not1_b32 vcc_lo, exec_lo, s2
	s_cbranch_vccz .LBB961_4
.LBB961_2:
	s_endpgm
.LBB961_3:
.LBB961_4:
	s_load_b64 s[2:3], s[0:1], 0x28
	s_lshl_b64 s[6:7], s[30:31], 2
	s_waitcnt lgkmcnt(0)
	s_add_u32 s2, s2, s6
	s_addc_u32 s3, s3, s7
	s_lshl_b32 s12, s14, 8
	s_load_b32 s24, s[2:3], 0x0
	s_waitcnt lgkmcnt(0)
	s_cmp_ge_i32 s12, s24
	s_cbranch_scc1 .LBB961_2
; %bb.5:
	s_clause 0x1
	s_load_b128 s[20:23], s[0:1], 0x8
	s_load_b64 s[2:3], s[0:1], 0x20
	s_and_not1_b32 vcc_lo, exec_lo, s8
	s_cbranch_vccnz .LBB961_7
; %bb.6:
	s_add_u32 s4, s4, s6
	s_addc_u32 s5, s5, s7
	s_load_b32 s5, s[4:5], 0x0
	s_branch .LBB961_8
.LBB961_7:
	s_mov_b32 s5, s30
.LBB961_8:
	s_load_b128 s[16:19], s[0:1], 0x48
	v_and_b32_e32 v68, 15, v0
	v_lshrrev_b32_e32 v69, 5, v0
	v_and_b32_e32 v70, 31, v0
	v_and_b32_e32 v67, 1, v0
	v_bfe_u32 v66, v0, 4, 1
	v_lshlrev_b32_e32 v1, 3, v68
	s_mul_i32 s31, s15, 12
	s_mov_b32 s4, exec_lo
	s_delay_alu instid0(VALU_DEP_1)
	v_lshlrev_b32_e32 v65, 1, v1
	v_cmpx_gt_u32_e32 0xc0, v0
	s_cbranch_execz .LBB961_10
; %bb.9:
	s_load_b64 s[6:7], s[0:1], 0x0
	v_lshl_or_b32 v5, v69, 1, v66
	s_waitcnt lgkmcnt(0)
	s_mul_hi_i32 s9, s5, s16
	s_mul_i32 s8, s5, s16
	v_lshlrev_b32_e32 v6, 10, v68
	s_lshl_b64 s[8:9], s[8:9], 1
	v_add_lshl_u32 v1, v5, s31, 7
	v_lshlrev_b32_e32 v5, 6, v5
	v_lshlrev_b32_e32 v7, 10, v67
	v_and_b32_e32 v6, 0x3800, v6
	s_delay_alu instid0(VALU_DEP_4) | instskip(NEXT) | instid1(VALU_DEP_2)
	v_ashrrev_i32_e32 v2, 31, v1
	v_or3_b32 v5, v6, v7, v5
	s_delay_alu instid0(VALU_DEP_2) | instskip(SKIP_2) | instid1(VALU_DEP_1)
	v_lshlrev_b64 v[1:2], 1, v[1:2]
	s_add_u32 s5, s6, s8
	s_addc_u32 s6, s7, s9
	v_add_co_u32 v1, vcc_lo, s5, v1
	s_delay_alu instid0(VALU_DEP_2) | instskip(NEXT) | instid1(VALU_DEP_2)
	v_add_co_ci_u32_e32 v2, vcc_lo, s6, v2, vcc_lo
	v_add_co_u32 v1, vcc_lo, v1, v65
	s_delay_alu instid0(VALU_DEP_2)
	v_add_co_ci_u32_e32 v2, vcc_lo, 0, v2, vcc_lo
	global_load_b128 v[1:4], v[1:2], off
	s_waitcnt vmcnt(0)
	ds_store_b128 v5, v[1:4]
.LBB961_10:
	s_or_b32 exec_lo, exec_lo, s4
	v_and_b32_e32 v1, 0xef, v0
	s_waitcnt lgkmcnt(0)
	s_add_i32 s5, s24, 15
	s_clause 0x1
	s_load_b32 s4, s[0:1], 0x38
	s_load_b32 s33, s[0:1], 0x98
	s_ashr_i32 s6, s5, 31
	v_add_nc_u32_e32 v1, s12, v1
	s_lshr_b32 s6, s6, 28
	s_load_b32 s19, s[0:1], 0x1c
	s_add_i32 s5, s5, s6
	s_waitcnt lgkmcnt(0)
	v_ashrrev_i32_e32 v2, 31, v1
	v_or_b32_e32 v3, 16, v1
	s_ashr_i32 s13, s5, 4
	v_cmp_gt_i32_e32 vcc_lo, s24, v1
	s_add_i32 s13, s13, -1
	v_lshrrev_b32_e32 v2, 28, v2
	s_barrier
	buffer_gl0_inv
	s_mul_i32 s15, s15, s18
	v_add_nc_u32_e32 v4, v1, v2
	s_mul_i32 s4, s30, s4
	s_delay_alu instid0(SALU_CYCLE_1) | instskip(NEXT) | instid1(VALU_DEP_1)
	s_ashr_i32 s5, s4, 31
	v_ashrrev_i32_e32 v4, 4, v4
	v_add_nc_u32_e32 v2, v3, v2
	s_lshl_b64 s[4:5], s[4:5], 2
	s_delay_alu instid0(SALU_CYCLE_1) | instskip(NEXT) | instid1(VALU_DEP_2)
	s_add_u32 s16, s2, s4
	v_cndmask_b32_e32 v1, s13, v4, vcc_lo
	s_delay_alu instid0(VALU_DEP_2)
	v_ashrrev_i32_e32 v2, 4, v2
	v_cmp_gt_i32_e32 vcc_lo, s24, v3
	s_addc_u32 s25, s3, s5
	s_ashr_i32 s18, s15, 31
	s_add_u32 s26, s20, s15
	s_addc_u32 s27, s21, s18
	v_cndmask_b32_e32 v3, s13, v2, vcc_lo
	v_ashrrev_i32_e32 v2, 31, v1
	s_lshl_b32 s2, s14, 4
	s_delay_alu instid0(SALU_CYCLE_1) | instskip(NEXT) | instid1(VALU_DEP_2)
	s_ashr_i32 s3, s2, 31
	v_ashrrev_i32_e32 v4, 31, v3
	s_delay_alu instid0(VALU_DEP_2) | instskip(SKIP_1) | instid1(SALU_CYCLE_1)
	v_lshlrev_b64 v[1:2], 2, v[1:2]
	s_lshl_b64 s[2:3], s[2:3], 2
	s_add_u32 s2, s16, s2
	s_delay_alu instid0(VALU_DEP_2) | instskip(SKIP_1) | instid1(VALU_DEP_2)
	v_lshlrev_b64 v[3:4], 2, v[3:4]
	s_addc_u32 s3, s25, s3
	v_add_co_u32 v1, vcc_lo, s16, v1
	v_add_co_ci_u32_e32 v2, vcc_lo, s25, v2, vcc_lo
	s_delay_alu instid0(VALU_DEP_3) | instskip(NEXT) | instid1(VALU_DEP_4)
	v_add_co_u32 v3, vcc_lo, s16, v3
	v_add_co_ci_u32_e32 v4, vcc_lo, s25, v4, vcc_lo
	s_clause 0x1
	global_load_b32 v5, v[1:2], off
	global_load_b32 v7, v[3:4], off
	s_or_b32 s4, s12, 32
	v_lshlrev_b32_e32 v1, 4, v0
	s_ashr_i32 s5, s4, 4
	s_cmp_lt_i32 s4, s24
	v_cmp_gt_u32_e32 vcc_lo, 12, v68
	s_cselect_b32 s4, s5, s13
	v_and_b32_e32 v1, 0xf0, v1
	s_ashr_i32 s5, s4, 31
	s_delay_alu instid0(SALU_CYCLE_1) | instskip(NEXT) | instid1(SALU_CYCLE_1)
	s_lshl_b64 s[4:5], s[4:5], 2
	s_add_u32 s4, s16, s4
	s_addc_u32 s5, s25, s5
	s_or_b32 s6, s12, 64
	v_add_co_u32 v1, s26, s26, v1
	s_ashr_i32 s7, s6, 4
	s_cmp_lt_i32 s6, s24
	v_add_co_ci_u32_e64 v2, null, s27, 0, s26
	s_cselect_b32 s6, s7, s13
	s_delay_alu instid0(SALU_CYCLE_1) | instskip(NEXT) | instid1(SALU_CYCLE_1)
	s_ashr_i32 s7, s6, 31
	s_lshl_b64 s[6:7], s[6:7], 2
	s_delay_alu instid0(SALU_CYCLE_1) | instskip(SKIP_2) | instid1(SALU_CYCLE_1)
	s_add_u32 s6, s16, s6
	s_addc_u32 s7, s25, s7
	s_or_b32 s8, s12, 0x60
	s_ashr_i32 s9, s8, 4
	s_cmp_lt_i32 s8, s24
	s_cselect_b32 s8, s9, s13
	s_delay_alu instid0(SALU_CYCLE_1) | instskip(NEXT) | instid1(SALU_CYCLE_1)
	s_ashr_i32 s9, s8, 31
	s_lshl_b64 s[8:9], s[8:9], 2
	s_delay_alu instid0(SALU_CYCLE_1) | instskip(SKIP_2) | instid1(SALU_CYCLE_1)
	s_add_u32 s8, s16, s8
	s_addc_u32 s9, s25, s9
	s_or_b32 s10, s12, 0x80
	s_ashr_i32 s11, s10, 4
	s_cmp_lt_i32 s10, s24
	;; [unrolled: 10-line block ×3, first 2 shown]
	s_cselect_b32 s20, s21, s13
	s_delay_alu instid0(SALU_CYCLE_1) | instskip(NEXT) | instid1(SALU_CYCLE_1)
	s_ashr_i32 s21, s20, 31
	s_lshl_b64 s[20:21], s[20:21], 2
	s_delay_alu instid0(SALU_CYCLE_1)
	s_add_u32 s20, s16, s20
	s_addc_u32 s21, s25, s21
	s_clause 0x5
	s_load_b32 s26, s[2:3], 0x0
	s_load_b32 s27, s[4:5], 0x0
	;; [unrolled: 1-line block ×6, first 2 shown]
	s_or_b32 s2, s12, 0xc0
	s_mov_b32 s4, 0
	s_ashr_i32 s3, s2, 4
	s_cmp_lt_i32 s2, s24
	s_mov_b32 s11, s4
	s_cselect_b32 s2, s3, s13
	s_mov_b32 s5, s4
	s_ashr_i32 s3, s2, 31
	s_mov_b32 s6, s4
	s_lshl_b64 s[2:3], s[2:3], 2
	s_mov_b32 s7, s4
	s_add_u32 s2, s16, s2
	s_addc_u32 s3, s25, s3
	s_or_b32 s20, s12, 0xe0
	s_mov_b32 s8, s4
	s_ashr_i32 s21, s20, 4
	s_cmp_lt_i32 s20, s24
	s_mov_b32 s9, s4
	s_cselect_b32 s20, s21, s13
	s_mov_b32 s10, s4
	s_ashr_i32 s21, s20, 31
	v_mov_b32_e32 v118, s11
	v_dual_mov_b32 v112, s5 :: v_dual_mov_b32 v117, s10
	v_dual_mov_b32 v116, s9 :: v_dual_mov_b32 v115, s8
	;; [unrolled: 1-line block ×3, first 2 shown]
	v_mov_b32_e32 v111, s4
	s_lshl_b64 s[4:5], s[20:21], 2
	s_delay_alu instid0(SALU_CYCLE_1)
	s_add_u32 s4, s16, s4
	s_addc_u32 s5, s25, s5
	s_add_u32 s6, s22, s15
	s_addc_u32 s7, s23, s18
	s_waitcnt vmcnt(1)
	v_mad_i64_i32 v[3:4], null, v5, s17, v[1:2]
	s_waitcnt vmcnt(0)
	v_mad_i64_i32 v[5:6], null, v7, s17, v[1:2]
	v_add_nc_u32_e32 v1, -12, v68
	v_lshlrev_b32_e32 v2, 4, v68
	s_clause 0xf
	global_load_b128 v[17:20], v[3:4], off
	global_load_b128 v[21:24], v[3:4], off offset:256
	global_load_b128 v[25:28], v[5:6], off
	global_load_b128 v[29:32], v[5:6], off offset:256
	global_load_b128 v[57:60], v[3:4], off offset:512
	;; [unrolled: 1-line block ×13, first 2 shown]
	v_cndmask_b32_e32 v1, v1, v68, vcc_lo
	s_delay_alu instid0(VALU_DEP_1)
	v_lshlrev_b32_e32 v149, 6, v1
	v_lshl_or_b32 v1, v69, 8, v2
	ds_load_b128 v[119:122], v149
	ds_load_b128 v[123:126], v149 offset:1024
	ds_load_b128 v[127:130], v149 offset:2048
	;; [unrolled: 1-line block ×3, first 2 shown]
	s_clause 0x1
	s_load_b32 s2, s[2:3], 0x0
	s_load_b32 s3, s[4:5], 0x0
	v_add_co_u32 v135, s6, s6, v1
	s_delay_alu instid0(VALU_DEP_1) | instskip(SKIP_1) | instid1(VALU_DEP_1)
	v_add_co_ci_u32_e64 v136, null, s7, 0, s6
	s_waitcnt lgkmcnt(0)
	v_mad_i64_i32 v[1:2], null, s26, s17, v[135:136]
	v_mad_i64_i32 v[3:4], null, s27, s17, v[135:136]
	;; [unrolled: 1-line block ×6, first 2 shown]
	s_clause 0x9
	global_load_b128 v[49:52], v[1:2], off
	global_load_b128 v[53:56], v[1:2], off offset:16
	global_load_b128 v[41:44], v[3:4], off
	global_load_b128 v[45:48], v[3:4], off offset:16
	;; [unrolled: 2-line block ×5, first 2 shown]
	v_mad_i64_i32 v[145:146], null, s2, s17, v[135:136]
	v_mad_i64_i32 v[147:148], null, s3, s17, v[135:136]
	s_waitcnt vmcnt(24)
	v_wmma_f32_16x16x16_f16 v[135:142], v[17:24], v[119:126], v[111:118]
	s_waitcnt vmcnt(22)
	v_wmma_f32_16x16x16_f16 v[111:118], v[25:32], v[119:126], v[111:118]
	s_clause 0x3
	global_load_b128 v[17:20], v[143:144], off
	global_load_b128 v[21:24], v[143:144], off offset:16
	global_load_b128 v[25:28], v[145:146], off
	global_load_b128 v[29:32], v[145:146], off offset:16
	v_and_b32_e32 v119, 0xe0, v0
	s_waitcnt vmcnt(24)
	v_wmma_f32_16x16x16_f16 v[135:142], v[57:64], v[127:134], v[135:142]
	s_clause 0x1
	global_load_b128 v[57:60], v[147:148], off
	global_load_b128 v[61:64], v[147:148], off offset:16
	s_waitcnt vmcnt(24)
	v_wmma_f32_16x16x16_f16 v[111:118], v[71:78], v[127:134], v[111:118]
	ds_load_b128 v[71:74], v149 offset:4096
	ds_load_b128 v[75:78], v149 offset:5120
	v_add_nc_u32_e32 v128, s12, v119
	ds_load_b128 v[119:122], v149 offset:6144
	ds_load_b128 v[123:126], v149 offset:7168
	v_mbcnt_lo_u32_b32 v127, -1, 0
	s_waitcnt vmcnt(0) lgkmcnt(0)
	s_barrier
	v_or_b32_e32 v128, v128, v66
	buffer_gl0_inv
	v_xor_b32_e32 v129, 16, v127
	v_or_b32_e32 v130, 4, v128
	v_or_b32_e32 v131, 6, v128
	s_delay_alu instid0(VALU_DEP_3) | instskip(SKIP_4) | instid1(VALU_DEP_4)
	v_cmp_gt_i32_e32 vcc_lo, 32, v129
	v_or_b32_e32 v132, 8, v128
	v_or_b32_e32 v133, 10, v128
	v_cmp_gt_i32_e64 s3, s24, v130
	v_cmp_gt_i32_e64 s4, s24, v131
	v_cmp_gt_i32_e64 s5, s24, v132
	v_wmma_f32_16x16x16_f16 v[135:142], v[79:86], v[71:78], v[135:142]
	v_wmma_f32_16x16x16_f16 v[111:118], v[87:94], v[71:78], v[111:118]
	v_or_b32_e32 v79, 12, v128
	v_or_b32_e32 v80, 14, v128
	v_cmp_gt_i32_e64 s6, s24, v133
	v_wmma_f32_16x16x16_f16 v[135:142], v[95:102], v[119:126], v[135:142]
	v_wmma_f32_16x16x16_f16 v[111:118], v[103:110], v[119:126], v[111:118]
	v_cndmask_b32_e32 v127, v127, v129, vcc_lo
	v_or_b32_e32 v129, 2, v128
	v_cmp_gt_i32_e32 vcc_lo, s24, v128
	v_mul_f32_e32 v88, s19, v135
	v_dual_mul_f32 v92, s19, v115 :: v_dual_mul_f32 v87, s19, v136
	s_delay_alu instid0(VALU_DEP_4)
	v_cmp_gt_i32_e64 s2, s24, v129
	v_mul_f32_e32 v78, s19, v138
	v_mul_f32_e32 v86, s19, v137
	v_cndmask_b32_e32 v88, 0xff7fffff, v88, vcc_lo
	v_mul_f32_e32 v76, s19, v140
	v_cndmask_b32_e64 v87, 0xff7fffff, v87, s2
	v_dual_mul_f32 v77, s19, v139 :: v_dual_mul_f32 v94, s19, v113
	v_cndmask_b32_e64 v86, 0xff7fffff, v86, s3
	v_cndmask_b32_e64 v78, 0xff7fffff, v78, s4
	s_delay_alu instid0(VALU_DEP_4)
	v_max3_f32 v87, v88, 0xff7fffff, v87
	v_or_b32_e32 v81, 16, v128
	v_or_b32_e32 v82, 18, v128
	v_dual_mul_f32 v74, s19, v142 :: v_dual_mul_f32 v75, s19, v141
	v_mul_f32_e32 v96, s19, v111
	v_cndmask_b32_e64 v77, 0xff7fffff, v77, s5
	v_cndmask_b32_e64 v76, 0xff7fffff, v76, s6
	v_max3_f32 v78, v87, v86, v78
	v_cmp_gt_i32_e64 s7, s24, v79
	v_cmp_gt_i32_e64 s8, s24, v80
	v_or_b32_e32 v83, 20, v128
	v_or_b32_e32 v84, 22, v128
	v_mul_f32_e32 v95, s19, v112
	v_cndmask_b32_e64 v75, 0xff7fffff, v75, s7
	v_cndmask_b32_e64 v74, 0xff7fffff, v74, s8
	v_max3_f32 v76, v78, v77, v76
	v_cmp_gt_i32_e64 s9, s24, v81
	v_cmp_gt_i32_e64 s10, s24, v82
	v_or_b32_e32 v85, 24, v128
	v_or_b32_e32 v71, 26, v128
	;; [unrolled: 8-line block ×3, first 2 shown]
	v_mul_f32_e32 v91, s19, v116
	v_cndmask_b32_e64 v75, 0xff7fffff, v94, s11
	v_cndmask_b32_e64 v76, 0xff7fffff, v93, s12
	v_max3_f32 v74, v74, v77, v78
	v_cmp_gt_i32_e64 s13, s24, v85
	v_cmp_gt_i32_e64 s15, s24, v71
	v_dual_mul_f32 v89, s19, v118 :: v_dual_mul_f32 v90, s19, v117
	s_delay_alu instid0(VALU_DEP_4) | instskip(NEXT) | instid1(VALU_DEP_4)
	v_max3_f32 v74, v74, v75, v76
	v_cndmask_b32_e64 v77, 0xff7fffff, v92, s13
	s_delay_alu instid0(VALU_DEP_4) | instskip(SKIP_2) | instid1(VALU_DEP_3)
	v_cndmask_b32_e64 v71, 0xff7fffff, v91, s15
	v_cmp_gt_i32_e64 s16, s24, v72
	v_cmp_gt_i32_e64 s17, s24, v73
	v_max3_f32 v71, v74, v77, v71
	s_delay_alu instid0(VALU_DEP_3) | instskip(NEXT) | instid1(VALU_DEP_3)
	v_cndmask_b32_e64 v72, 0xff7fffff, v90, s16
	v_cndmask_b32_e64 v73, 0xff7fffff, v89, s17
	v_lshlrev_b32_e32 v74, 2, v127
	s_delay_alu instid0(VALU_DEP_2) | instskip(SKIP_3) | instid1(VALU_DEP_1)
	v_max3_f32 v71, v71, v72, v73
	ds_bpermute_b32 v72, v74, v71
	s_waitcnt lgkmcnt(0)
	v_max_f32_e32 v72, v72, v72
	v_max_f32_e32 v71, v71, v72
	s_delay_alu instid0(VALU_DEP_1) | instskip(SKIP_4) | instid1(VALU_DEP_4)
	v_fma_f32 v72, s19, v135, -v71
	v_fma_f32 v73, s19, v136, -v71
	;; [unrolled: 1-line block ×5, first 2 shown]
	v_dual_mul_f32 v72, 0x3fb8aa3b, v72 :: v_dual_mul_f32 v73, 0x3fb8aa3b, v73
	v_fma_f32 v80, s19, v141, -v71
	s_delay_alu instid0(VALU_DEP_3) | instskip(NEXT) | instid1(VALU_DEP_3)
	v_dual_mul_f32 v76, 0x3fb8aa3b, v76 :: v_dual_mul_f32 v77, 0x3fb8aa3b, v77
	v_exp_f32_e32 v72, v72
	s_delay_alu instid0(VALU_DEP_3) | instskip(NEXT) | instid1(VALU_DEP_2)
	v_exp_f32_e32 v73, v73
	v_mul_f32_e32 v82, 0x3fb8aa3b, v80
	s_delay_alu instid0(VALU_DEP_2) | instskip(SKIP_1) | instid1(VALU_DEP_1)
	v_exp_f32_e32 v76, v76
	v_exp_f32_e32 v77, v77
	;; [unrolled: 1-line block ×3, first 2 shown]
	v_cndmask_b32_e32 v79, 0, v72, vcc_lo
	v_fma_f32 v72, s19, v140, -v71
	v_mul_f32_e32 v75, 0x3fb8aa3b, v75
	v_cndmask_b32_e64 v78, 0, v73, s2
	s_delay_alu instid0(TRANS32_DEP_3) | instskip(NEXT) | instid1(VALU_DEP_4)
	v_cndmask_b32_e64 v80, 0, v76, s4
	v_dual_add_f32 v73, 0, v79 :: v_dual_mul_f32 v72, 0x3fb8aa3b, v72
	s_delay_alu instid0(VALU_DEP_4) | instskip(NEXT) | instid1(TRANS32_DEP_3)
	v_exp_f32_e32 v75, v75
	v_cndmask_b32_e64 v83, 0, v77, s5
	s_delay_alu instid0(TRANS32_DEP_2) | instskip(NEXT) | instid1(VALU_DEP_3)
	v_cndmask_b32_e64 v85, 0, v84, s7
	v_add_f32_e32 v73, v73, v78
	v_exp_f32_e32 v72, v72
	s_mov_b32 s2, exec_lo
	s_waitcnt_depctr 0xfff
	v_cndmask_b32_e64 v81, 0, v75, s3
	v_cndmask_b32_e64 v82, 0, v72, s6
	s_delay_alu instid0(VALU_DEP_2) | instskip(NEXT) | instid1(VALU_DEP_1)
	v_add_f32_e32 v73, v73, v81
	v_add_f32_e32 v73, v73, v80
	s_delay_alu instid0(VALU_DEP_1) | instskip(NEXT) | instid1(VALU_DEP_1)
	v_add_f32_e32 v72, v73, v83
	v_add_f32_e32 v72, v72, v82
	s_delay_alu instid0(VALU_DEP_1)
	v_add_f32_e32 v72, v72, v85
	v_fma_f32 v76, s19, v111, -v71
	v_fma_f32 v75, s19, v142, -v71
	;; [unrolled: 1-line block ×5, first 2 shown]
	v_mul_f32_e32 v76, 0x3fb8aa3b, v76
	s_delay_alu instid0(VALU_DEP_4) | instskip(NEXT) | instid1(VALU_DEP_2)
	v_mul_f32_e32 v86, 0x3fb8aa3b, v86
	v_exp_f32_e32 v76, v76
	s_delay_alu instid0(VALU_DEP_1)
	v_exp_f32_e32 v88, v86
	s_waitcnt_depctr 0xfff
	v_cndmask_b32_e64 v87, 0, v76, s9
	v_fma_f32 v76, s19, v116, -v71
	v_mul_f32_e32 v75, 0x3fb8aa3b, v75
	v_cndmask_b32_e64 v88, 0, v88, s12
	s_delay_alu instid0(VALU_DEP_3) | instskip(NEXT) | instid1(VALU_DEP_3)
	v_dual_mul_f32 v73, 0x3fb8aa3b, v73 :: v_dual_mul_f32 v76, 0x3fb8aa3b, v76
	v_exp_f32_e32 v75, v75
	s_delay_alu instid0(VALU_DEP_1) | instskip(NEXT) | instid1(VALU_DEP_1)
	v_exp_f32_e32 v73, v73
	v_exp_f32_e32 v76, v76
	s_delay_alu instid0(TRANS32_DEP_3)
	v_cndmask_b32_e64 v84, 0, v75, s8
	v_fma_f32 v75, s19, v115, -v71
	s_waitcnt_depctr 0xfff
	v_cndmask_b32_e64 v89, 0, v73, s11
	v_cndmask_b32_e64 v90, 0, v76, s15
	v_add_f32_e32 v72, v72, v84
	s_delay_alu instid0(VALU_DEP_1) | instskip(NEXT) | instid1(VALU_DEP_1)
	v_dual_add_f32 v72, v72, v87 :: v_dual_mul_f32 v77, 0x3fb8aa3b, v77
	v_exp_f32_e32 v77, v77
	s_waitcnt_depctr 0xfff
	v_cndmask_b32_e64 v86, 0, v77, s10
	v_fma_f32 v77, s19, v117, -v71
	s_delay_alu instid0(VALU_DEP_2) | instskip(NEXT) | instid1(VALU_DEP_1)
	v_dual_add_f32 v72, v72, v86 :: v_dual_mul_f32 v75, 0x3fb8aa3b, v75
	v_add_f32_e32 v72, v72, v89
	s_delay_alu instid0(VALU_DEP_2) | instskip(NEXT) | instid1(VALU_DEP_1)
	v_exp_f32_e32 v75, v75
	v_add_f32_e32 v72, v72, v88
	s_waitcnt_depctr 0xfff
	v_cndmask_b32_e64 v91, 0, v75, s13
	v_mul_f32_e32 v73, 0x3fb8aa3b, v77
	v_fma_f32 v77, s19, v118, -v71
	s_delay_alu instid0(VALU_DEP_3) | instskip(NEXT) | instid1(VALU_DEP_3)
	v_add_f32_e32 v72, v72, v91
	v_exp_f32_e32 v73, v73
	s_delay_alu instid0(VALU_DEP_1) | instskip(NEXT) | instid1(VALU_DEP_1)
	v_dual_mul_f32 v75, 0x3fb8aa3b, v77 :: v_dual_add_f32 v72, v72, v90
	v_exp_f32_e32 v75, v75
	s_waitcnt_depctr 0xfff
	v_cndmask_b32_e64 v93, 0, v73, s16
	s_delay_alu instid0(VALU_DEP_1) | instskip(SKIP_1) | instid1(VALU_DEP_1)
	v_add_f32_e32 v72, v72, v93
	v_cndmask_b32_e64 v92, 0, v75, s17
	v_add_f32_e32 v72, v72, v92
	ds_bpermute_b32 v73, v74, v72
	v_cmpx_gt_u32_e32 16, v70
	s_cbranch_execz .LBB961_12
; %bb.11:
	v_mul_u32_u24_e32 v70, 0x44, v69
	s_waitcnt lgkmcnt(0)
	v_add_f32_e32 v72, v72, v73
	s_delay_alu instid0(VALU_DEP_2) | instskip(NEXT) | instid1(VALU_DEP_1)
	v_lshl_add_u32 v70, v68, 2, v70
	v_add_nc_u32_e32 v70, 0x4000, v70
	ds_store_2addr_b32 v70, v71, v72 offset1:136
.LBB961_12:
	s_or_b32 exec_lo, exec_lo, s2
	v_lshlrev_b32_e32 v70, 2, v68
	s_load_b32 s34, s[0:1], 0x94
	s_waitcnt lgkmcnt(0)
	s_barrier
	buffer_gl0_inv
	v_add_nc_u32_e32 v98, 0x4000, v70
	v_cmp_eq_u32_e32 vcc_lo, 1, v69
	v_cmp_eq_u32_e64 s2, 2, v69
	v_cmp_eq_u32_e64 s3, 3, v69
	;; [unrolled: 1-line block ×3, first 2 shown]
	ds_load_2addr_b32 v[70:71], v98 offset1:17
	ds_load_2addr_b32 v[72:73], v98 offset0:34 offset1:51
	ds_load_2addr_b32 v[74:75], v98 offset0:68 offset1:85
	;; [unrolled: 1-line block ×3, first 2 shown]
	v_cmp_eq_u32_e64 s5, 5, v69
	v_cmp_eq_u32_e64 s6, 7, v69
	s_waitcnt lgkmcnt(3)
	v_max3_f32 v76, v70, 0xff7fffff, v71
	s_waitcnt lgkmcnt(2)
	s_delay_alu instid0(VALU_DEP_1) | instskip(SKIP_1) | instid1(VALU_DEP_1)
	v_max3_f32 v76, v76, v72, v73
	s_waitcnt lgkmcnt(1)
	v_max3_f32 v76, v76, v74, v75
	s_waitcnt lgkmcnt(0)
	s_delay_alu instid0(VALU_DEP_1) | instskip(NEXT) | instid1(VALU_DEP_1)
	v_max3_f32 v76, v76, v94, v95
	v_sub_f32_e32 v77, v71, v76
	ds_load_2addr_b32 v[96:97], v98 offset0:136 offset1:153
	v_sub_f32_e32 v74, v74, v76
	v_sub_f32_e32 v70, v70, v76
	;; [unrolled: 1-line block ×3, first 2 shown]
	v_dual_sub_f32 v72, v72, v76 :: v_dual_mul_f32 v77, 0x3fb8aa3b, v77
	s_delay_alu instid0(VALU_DEP_4) | instskip(NEXT) | instid1(VALU_DEP_4)
	v_mul_f32_e32 v103, 0x3fb8aa3b, v74
	v_mul_f32_e32 v99, 0x3fb8aa3b, v70
	ds_load_2addr_b32 v[70:71], v98 offset0:170 offset1:187
	v_dual_mul_f32 v101, 0x3fb8aa3b, v72 :: v_dual_mul_f32 v94, 0x3fb8aa3b, v94
	v_exp_f32_e32 v102, v77
	v_exp_f32_e32 v99, v99
	s_delay_alu instid0(VALU_DEP_1) | instskip(NEXT) | instid1(VALU_DEP_1)
	v_exp_f32_e32 v101, v101
	v_exp_f32_e32 v94, v94
	s_waitcnt lgkmcnt(1)
	s_delay_alu instid0(TRANS32_DEP_3)
	v_fma_f32 v77, v99, v96, 0
	v_sub_f32_e32 v100, v73, v76
	ds_load_2addr_b32 v[72:73], v98 offset0:204 offset1:221
	v_fmac_f32_e32 v77, v102, v97
	v_exp_f32_e32 v97, v103
	s_waitcnt lgkmcnt(1)
	s_delay_alu instid0(VALU_DEP_1)
	v_dual_fmac_f32 v77, v101, v70 :: v_dual_sub_f32 v96, v75, v76
	ds_load_2addr_b32 v[74:75], v98 offset0:238 offset1:255
	v_sub_f32_e32 v70, v95, v76
	s_waitcnt lgkmcnt(0)
	s_barrier
	v_mul_f32_e32 v96, 0x3fb8aa3b, v96
	buffer_gl0_inv
	v_exp_f32_e32 v95, v96
	v_mul_f32_e32 v100, 0x3fb8aa3b, v100
	s_delay_alu instid0(VALU_DEP_1) | instskip(SKIP_3) | instid1(VALU_DEP_2)
	v_exp_f32_e32 v100, v100
	s_waitcnt_depctr 0xfff
	v_dual_fmac_f32 v77, v100, v71 :: v_dual_mul_f32 v70, 0x3fb8aa3b, v70
	v_cndmask_b32_e32 v71, v99, v102, vcc_lo
	v_fmac_f32_e32 v77, v97, v72
	s_delay_alu instid0(VALU_DEP_3) | instskip(NEXT) | instid1(VALU_DEP_1)
	v_exp_f32_e32 v96, v70
	v_fmac_f32_e32 v77, v95, v73
	s_delay_alu instid0(VALU_DEP_1) | instskip(SKIP_2) | instid1(VALU_DEP_1)
	v_fmac_f32_e32 v77, v94, v74
	s_waitcnt_depctr 0xfff
	v_fmac_f32_e32 v77, v96, v75
	v_add_f32_e32 v74, 0x358637bd, v77
	s_delay_alu instid0(VALU_DEP_1) | instskip(SKIP_1) | instid1(VALU_DEP_2)
	v_div_scale_f32 v98, null, v74, v74, 1.0
	v_div_scale_f32 v99, vcc_lo, 1.0, v74, 1.0
	v_rcp_f32_e32 v103, v98
	s_waitcnt_depctr 0xfff
	v_fma_f32 v70, -v98, v103, 1.0
	s_delay_alu instid0(VALU_DEP_1) | instskip(SKIP_2) | instid1(VALU_DEP_2)
	v_fmac_f32_e32 v103, v70, v103
	v_cndmask_b32_e64 v70, v71, v101, s2
	v_cmp_eq_u32_e64 s2, 6, v69
	v_cndmask_b32_e64 v71, v70, v100, s3
	s_delay_alu instid0(VALU_DEP_4) | instskip(NEXT) | instid1(VALU_DEP_2)
	v_dual_mul_f32 v101, v99, v103 :: v_dual_lshlrev_b32 v70, 2, v66
	v_cndmask_b32_e64 v71, v71, v97, s4
	s_delay_alu instid0(VALU_DEP_2) | instskip(NEXT) | instid1(VALU_DEP_3)
	v_or_b32_e32 v72, 1, v70
	v_fma_f32 v100, -v98, v101, v99
	v_cmp_eq_u32_e64 s3, 1, v70
	v_cmp_eq_u32_e64 s4, 2, v70
	v_cndmask_b32_e64 v95, v71, v95, s5
	v_or_b32_e32 v71, 3, v70
	v_fmac_f32_e32 v101, v100, v103
	v_cmp_eq_u32_e64 s8, 1, v72
	v_cmp_eq_u32_e64 s11, 2, v72
	v_cndmask_b32_e64 v94, v95, v94, s2
	v_cmp_eq_u32_e64 s10, 1, v71
	v_fma_f32 v97, -v98, v101, v99
	v_cmp_eq_u32_e64 s15, 2, v71
	v_cmp_eq_u32_e64 s12, 3, v72
	v_cndmask_b32_e64 v94, v94, v96, s6
	v_cmp_eq_u32_e64 s17, 3, v71
	v_div_fmas_f32 v95, v97, v103, v101
	v_cmp_eq_u32_e32 vcc_lo, 3, v70
	v_cmp_eq_u32_e64 s2, 4, v70
	v_cmp_eq_u32_e64 s18, 4, v72
	;; [unrolled: 1-line block ×3, first 2 shown]
	v_div_fixup_f32 v95, v95, v74, 1.0
	v_lshlrev_b32_e32 v73, 6, v68
	v_cmp_eq_u32_e64 s5, 5, v70
	v_cmp_eq_u32_e64 s19, 5, v72
	v_cmp_eq_u32_e64 s23, 5, v71
	v_mul_f32_e32 v102, v94, v95
	v_lshl_or_b32 v75, v69, 11, v73
	v_or_b32_e32 v69, 2, v70
	v_cmp_eq_u32_e64 s24, 6, v72
	v_cmp_eq_u32_e64 s26, 6, v71
	v_fma_mixlo_f16 v94, v102, v79, 0
	v_fma_mixlo_f16 v95, v102, v81, 0
	;; [unrolled: 1-line block ×8, first 2 shown]
	v_lshl_or_b32 v74, v66, 4, v75
	v_fma_mixhi_f16 v94, v102, v78, 0
	v_fma_mixhi_f16 v95, v102, v80, 0
	;; [unrolled: 1-line block ×8, first 2 shown]
	ds_store_b128 v74, v[94:97]
	ds_store_b128 v74, v[98:101] offset:1024
	s_waitcnt lgkmcnt(0)
	s_barrier
	buffer_gl0_inv
	ds_load_b128 v[78:81], v75
	ds_load_b128 v[82:85], v75 offset:16
	ds_load_b128 v[86:89], v75 offset:1024
	;; [unrolled: 1-line block ×3, first 2 shown]
	v_cmp_eq_u32_e64 s9, 1, v69
	v_cmp_eq_u32_e64 s13, 2, v69
	;; [unrolled: 1-line block ×11, first 2 shown]
	s_waitcnt lgkmcnt(3)
	v_lshrrev_b32_e32 v94, 16, v78
	s_waitcnt lgkmcnt(2)
	v_lshrrev_b32_e32 v98, 16, v82
	;; [unrolled: 2-line block ×4, first 2 shown]
	v_lshrrev_b32_e32 v95, 16, v79
	v_cndmask_b32_e64 v110, v78, v94, s3
	v_cndmask_b32_e64 v111, v82, v98, s3
	v_cndmask_b32_e64 v112, v78, v94, s8
	v_cndmask_b32_e64 v113, v82, v98, s8
	v_cndmask_b32_e64 v114, v78, v94, s9
	v_cndmask_b32_e64 v115, v82, v98, s9
	v_cndmask_b32_e64 v78, v78, v94, s10
	v_cndmask_b32_e64 v82, v82, v98, s10
	v_lshrrev_b32_e32 v99, 16, v83
	v_cndmask_b32_e64 v94, v86, v102, s3
	v_cndmask_b32_e64 v98, v90, v106, s3
	;; [unrolled: 1-line block ×15, first 2 shown]
	v_lshrrev_b32_e32 v103, 16, v87
	v_lshrrev_b32_e32 v107, 16, v91
	v_cndmask_b32_e64 v113, v115, v83, s13
	v_cndmask_b32_e64 v82, v94, v87, s4
	;; [unrolled: 1-line block ×7, first 2 shown]
	v_cndmask_b32_e32 v90, v102, v95, vcc_lo
	v_cndmask_b32_e32 v102, v106, v99, vcc_lo
	v_cndmask_b32_e64 v106, v110, v95, s12
	v_cndmask_b32_e64 v110, v111, v99, s12
	;; [unrolled: 1-line block ×4, first 2 shown]
	v_lshrrev_b32_e32 v96, 16, v80
	v_lshrrev_b32_e32 v100, 16, v84
	v_cndmask_b32_e64 v111, v112, v95, s16
	v_cndmask_b32_e64 v112, v113, v99, s16
	v_cndmask_b32_e32 v82, v82, v103, vcc_lo
	v_cndmask_b32_e32 v83, v83, v107, vcc_lo
	v_cndmask_b32_e64 v94, v94, v103, s12
	v_cndmask_b32_e64 v90, v90, v80, s2
	;; [unrolled: 1-line block ×7, first 2 shown]
	v_lshrrev_b32_e32 v104, 16, v88
	v_cndmask_b32_e64 v106, v111, v80, s20
	v_cndmask_b32_e64 v110, v112, v84, s20
	;; [unrolled: 1-line block ×11, first 2 shown]
	v_lshrrev_b32_e32 v97, 16, v81
	v_lshrrev_b32_e32 v101, 16, v85
	v_cndmask_b32_e64 v99, v106, v96, s22
	v_cndmask_b32_e64 v102, v110, v100, s22
	;; [unrolled: 1-line block ×7, first 2 shown]
	v_lshrrev_b32_e32 v105, 16, v89
	v_cndmask_b32_e64 v80, v80, v104, s5
	v_cndmask_b32_e64 v84, v84, v81, s6
	;; [unrolled: 1-line block ×16, first 2 shown]
	v_perm_b32 v81, v79, v78, 0x5040100
	v_perm_b32 v79, v95, v85, 0x5040100
	v_cndmask_b32_e64 v78, v119, v91, s13
	v_cndmask_b32_e64 v85, v117, v91, s11
	;; [unrolled: 1-line block ×3, first 2 shown]
	v_perm_b32 v80, v94, v90, 0x5040100
	v_cndmask_b32_e64 v90, v98, v103, s16
	v_cndmask_b32_e64 v86, v86, v103, s17
	;; [unrolled: 1-line block ×5, first 2 shown]
	v_lshrrev_b32_e32 v108, 16, v92
	v_cndmask_b32_e64 v90, v90, v88, s20
	v_cndmask_b32_e64 v86, v86, v88, s21
	;; [unrolled: 1-line block ×11, first 2 shown]
	v_lshrrev_b32_e32 v109, 16, v93
	v_cndmask_b32_e64 v82, v82, v93, s6
	v_cndmask_b32_e64 v88, v88, v89, s25
	;; [unrolled: 1-line block ×12, first 2 shown]
	v_perm_b32 v78, v84, v83, 0x5040100
	v_perm_b32 v85, v87, v86, 0x5040100
	;; [unrolled: 1-line block ×5, first 2 shown]
	s_mul_i32 s7, s33, 12
	s_mov_b32 s2, exec_lo
	ds_store_b128 v74, v[78:81]
	ds_store_b128 v74, v[82:85] offset:1024
	v_cmpx_gt_u32_e32 12, v0
	s_cbranch_execz .LBB961_14
; %bb.13:
	s_mul_i32 s3, s7, s30
	s_load_b128 s[8:11], s[0:1], 0x58
	v_add3_u32 v68, s3, s31, v68
	s_delay_alu instid0(VALU_DEP_1) | instskip(NEXT) | instid1(VALU_DEP_1)
	v_mad_u64_u32 v[78:79], null, v68, s34, s[14:15]
	v_ashrrev_i32_e32 v79, 31, v78
	s_delay_alu instid0(VALU_DEP_1) | instskip(SKIP_1) | instid1(VALU_DEP_1)
	v_lshlrev_b64 v[78:79], 2, v[78:79]
	s_waitcnt lgkmcnt(0)
	v_add_co_u32 v80, vcc_lo, s10, v78
	s_delay_alu instid0(VALU_DEP_2)
	v_add_co_ci_u32_e32 v81, vcc_lo, s11, v79, vcc_lo
	v_add_co_u32 v78, vcc_lo, s8, v78
	v_add_co_ci_u32_e32 v79, vcc_lo, s9, v79, vcc_lo
	global_store_b32 v[80:81], v76, off
	global_store_b32 v[78:79], v77, off
.LBB961_14:
	s_or_b32 exec_lo, exec_lo, s2
	s_waitcnt lgkmcnt(0)
	s_waitcnt_vscnt null, 0x0
	s_barrier
	buffer_gl0_inv
	ds_load_b128 v[84:87], v73
	ds_load_b128 v[88:91], v73 offset:16
	ds_load_b128 v[96:99], v73 offset:2064
	;; [unrolled: 1-line block ×5, first 2 shown]
	v_cmp_eq_u32_e32 vcc_lo, 1, v70
	v_mov_b32_e32 v76, 0
	ds_load_b128 v[112:115], v73 offset:6160
	ds_load_b128 v[108:111], v73 offset:6144
	;; [unrolled: 1-line block ×4, first 2 shown]
	v_cmp_eq_u32_e64 s3, 1, v69
	v_cmp_eq_u32_e64 s2, 1, v72
	;; [unrolled: 1-line block ×3, first 2 shown]
	v_mov_b32_e32 v77, v76
	v_mov_b32_e32 v78, v76
	;; [unrolled: 1-line block ×7, first 2 shown]
	v_cmp_eq_u32_e64 s5, 3, v72
	v_cmp_eq_u32_e64 s6, 7, v72
	s_waitcnt lgkmcnt(8)
	s_delay_alu instid0(VALU_DEP_3)
	v_wmma_f32_16x16x16_f16 v[76:83], v[49:56], v[84:91], v[76:83]
	ds_load_b128 v[53:56], v73 offset:10256
	ds_load_b128 v[49:52], v73 offset:10240
	s_waitcnt lgkmcnt(8)
	v_wmma_f32_16x16x16_f16 v[76:83], v[41:48], v[92:99], v[76:83]
	ds_load_b128 v[45:48], v73 offset:12304
	ds_load_b128 v[41:44], v73 offset:12288
	s_waitcnt lgkmcnt(8)
	;; [unrolled: 4-line block ×3, first 2 shown]
	s_barrier
	buffer_gl0_inv
	v_wmma_f32_16x16x16_f16 v[76:83], v[1:8], v[108:115], v[76:83]
	s_delay_alu instid0(VALU_DEP_1) | instskip(NEXT) | instid1(VALU_DEP_1)
	v_wmma_f32_16x16x16_f16 v[76:83], v[9:16], v[116:123], v[76:83]
	v_wmma_f32_16x16x16_f16 v[76:83], v[17:24], v[49:56], v[76:83]
	s_delay_alu instid0(VALU_DEP_1) | instskip(NEXT) | instid1(VALU_DEP_1)
	v_wmma_f32_16x16x16_f16 v[76:83], v[25:32], v[41:48], v[76:83]
	v_wmma_f32_16x16x16_f16 v[76:83], v[57:64], v[33:40], v[76:83]
	s_delay_alu instid0(VALU_DEP_1) | instskip(NEXT) | instid1(VALU_DEP_2)
	v_cvt_f16_f32_e32 v1, v76
	v_cvt_f16_f32_e32 v2, v77
	s_delay_alu instid0(VALU_DEP_3) | instskip(NEXT) | instid1(VALU_DEP_4)
	v_cvt_f16_f32_e32 v3, v78
	v_cvt_f16_f32_e32 v4, v79
	;; [unrolled: 1-line block ×6, first 2 shown]
	v_pack_b32_f16 v1, v1, v2
	v_pack_b32_f16 v2, v3, v4
	v_pack_b32_f16 v3, v5, v6
	s_delay_alu instid0(VALU_DEP_4)
	v_pack_b32_f16 v4, v7, v8
	ds_store_b128 v74, v[1:4]
	s_waitcnt lgkmcnt(0)
	s_barrier
	buffer_gl0_inv
	ds_load_b128 v[1:4], v75
	ds_load_b128 v[5:8], v75 offset:16
	s_waitcnt lgkmcnt(1)
	v_lshrrev_b32_e32 v9, 16, v1
	s_waitcnt lgkmcnt(0)
	v_lshrrev_b32_e32 v13, 16, v5
	v_lshrrev_b32_e32 v10, 16, v2
	;; [unrolled: 1-line block ×4, first 2 shown]
	v_cndmask_b32_e32 v17, v1, v9, vcc_lo
	v_cndmask_b32_e32 v18, v5, v13, vcc_lo
	v_cndmask_b32_e64 v21, v1, v9, s3
	v_cmp_eq_u32_e32 vcc_lo, 1, v71
	v_cndmask_b32_e64 v22, v5, v13, s3
	v_cmp_eq_u32_e64 s3, 2, v70
	v_cndmask_b32_e64 v19, v1, v9, s2
	v_cndmask_b32_e64 v20, v5, v13, s2
	v_cndmask_b32_e32 v1, v1, v9, vcc_lo
	v_cmp_eq_u32_e64 s2, 2, v71
	v_cndmask_b32_e32 v5, v5, v13, vcc_lo
	v_cndmask_b32_e64 v9, v17, v2, s3
	v_cmp_eq_u32_e32 vcc_lo, 3, v70
	v_cndmask_b32_e64 v13, v18, v6, s3
	v_cmp_eq_u32_e64 s3, 2, v69
	v_cndmask_b32_e64 v17, v19, v2, s4
	v_cndmask_b32_e64 v18, v20, v6, s4
	v_cmp_eq_u32_e64 s4, 3, v69
	v_cndmask_b32_e64 v1, v1, v2, s2
	v_cndmask_b32_e64 v19, v21, v2, s3
	;; [unrolled: 1-line block ×4, first 2 shown]
	v_cndmask_b32_e32 v5, v9, v10, vcc_lo
	v_cndmask_b32_e32 v6, v13, v14, vcc_lo
	v_cmp_eq_u32_e32 vcc_lo, 3, v71
	v_cndmask_b32_e64 v9, v17, v10, s5
	v_cndmask_b32_e64 v13, v18, v14, s5
	;; [unrolled: 1-line block ×3, first 2 shown]
	v_cmp_eq_u32_e64 s3, 4, v70
	v_cndmask_b32_e32 v1, v1, v10, vcc_lo
	v_cndmask_b32_e32 v2, v2, v14, vcc_lo
	v_cmp_eq_u32_e32 vcc_lo, 4, v72
	v_lshrrev_b32_e32 v15, 16, v7
	v_lshrrev_b32_e32 v16, 16, v8
	v_cndmask_b32_e64 v17, v19, v10, s4
	v_cmp_eq_u32_e64 s2, 4, v71
	v_cndmask_b32_e64 v5, v5, v3, s3
	v_cndmask_b32_e64 v6, v6, v7, s3
	v_cndmask_b32_e32 v9, v9, v3, vcc_lo
	v_cmp_eq_u32_e64 s3, 5, v72
	v_cndmask_b32_e32 v10, v13, v7, vcc_lo
	v_cmp_eq_u32_e32 vcc_lo, 4, v69
	v_cmp_eq_u32_e64 s4, 5, v70
	v_cndmask_b32_e64 v2, v2, v7, s2
	v_cndmask_b32_e64 v9, v9, v11, s3
	;; [unrolled: 1-line block ×3, first 2 shown]
	v_cndmask_b32_e32 v13, v17, v3, vcc_lo
	v_cmp_eq_u32_e64 s3, 5, v69
	v_cndmask_b32_e32 v14, v18, v7, vcc_lo
	v_cndmask_b32_e64 v1, v1, v3, s2
	v_cmp_eq_u32_e32 vcc_lo, 5, v71
	v_lshrrev_b32_e32 v12, 16, v4
	v_cndmask_b32_e64 v13, v13, v11, s3
	v_cndmask_b32_e64 v3, v14, v15, s3
	v_cmp_eq_u32_e64 s3, 6, v71
	v_cndmask_b32_e32 v1, v1, v11, vcc_lo
	v_cndmask_b32_e64 v5, v5, v11, s4
	v_cmp_eq_u32_e64 s5, 6, v70
	v_cndmask_b32_e64 v6, v6, v15, s4
	v_cmp_eq_u32_e64 s4, 6, v72
	v_cmp_eq_u32_e64 s2, 6, v69
	v_cndmask_b32_e64 v1, v1, v4, s3
	v_cndmask_b32_e32 v2, v2, v15, vcc_lo
	v_cmp_eq_u32_e32 vcc_lo, 7, v71
	v_cndmask_b32_e64 v5, v5, v4, s5
	v_cndmask_b32_e64 v9, v9, v4, s4
	;; [unrolled: 1-line block ×3, first 2 shown]
	v_cmp_eq_u32_e64 s5, 7, v70
	v_cndmask_b32_e32 v1, v1, v12, vcc_lo
	v_cndmask_b32_e64 v7, v13, v4, s2
	v_cndmask_b32_e64 v3, v3, v8, s2
	;; [unrolled: 1-line block ×3, first 2 shown]
	v_cmp_eq_u32_e64 s2, 7, v69
	v_cndmask_b32_e64 v4, v10, v8, s4
	v_cndmask_b32_e64 v5, v5, v12, s5
	v_cndmask_b32_e64 v9, v9, v12, s6
	v_cndmask_b32_e32 v2, v2, v16, vcc_lo
	v_cndmask_b32_e64 v7, v7, v12, s2
	v_cndmask_b32_e64 v3, v3, v16, s2
	;; [unrolled: 1-line block ×4, first 2 shown]
	v_perm_b32 v4, v2, v1, 0x5040100
	s_mov_b32 s2, exec_lo
	v_perm_b32 v3, v3, v7, 0x5040100
	v_perm_b32 v2, v8, v9, 0x5040100
	;; [unrolled: 1-line block ×3, first 2 shown]
	ds_store_b128 v74, v[1:4]
	s_waitcnt lgkmcnt(0)
	s_barrier
	buffer_gl0_inv
	v_cmpx_gt_u32_e32 32, v0
	s_cbranch_execz .LBB961_2
; %bb.15:
	s_load_b64 s[0:1], s[0:1], 0x68
	v_lshlrev_b32_e32 v0, 10, v0
	s_lshl_b32 s4, s34, 7
	v_or_b32_e32 v3, s31, v66
	s_mul_i32 s2, s4, s30
	v_lshlrev_b32_e32 v1, 4, v67
	s_mul_i32 s2, s2, s7
	v_lshlrev_b32_e32 v2, 6, v66
	v_and_b32_e32 v0, 0x3800, v0
	s_ashr_i32 s3, s2, 31
	v_mul_lo_u32 v4, v3, s4
	s_lshl_b64 s[2:3], s[2:3], 1
	s_delay_alu instid0(VALU_DEP_2) | instskip(NEXT) | instid1(VALU_DEP_2)
	v_or3_b32 v16, v0, v1, v2
	v_ashrrev_i32_e32 v5, 31, v4
	ds_load_b128 v[0:3], v16
	s_waitcnt lgkmcnt(0)
	s_add_u32 s2, s0, s2
	s_addc_u32 s3, s1, s3
	s_lshl_b32 s0, s14, 7
	v_lshlrev_b64 v[5:6], 1, v[4:5]
	s_ashr_i32 s1, s0, 31
	s_delay_alu instid0(SALU_CYCLE_1) | instskip(NEXT) | instid1(SALU_CYCLE_1)
	s_lshl_b64 s[0:1], s[0:1], 1
	s_add_u32 s0, s2, s0
	s_addc_u32 s1, s3, s1
	s_lshl_b32 s2, s34, 8
	v_add_co_u32 v30, s0, s0, v65
	v_add_nc_u32_e32 v8, s2, v4
	v_add_co_ci_u32_e64 v31, null, s1, 0, s0
	s_delay_alu instid0(VALU_DEP_3) | instskip(NEXT) | instid1(VALU_DEP_3)
	v_add_co_u32 v12, vcc_lo, v30, v5
	v_add_nc_u32_e32 v10, s2, v8
	v_ashrrev_i32_e32 v9, 31, v8
	s_delay_alu instid0(VALU_DEP_4)
	v_add_co_ci_u32_e32 v13, vcc_lo, v31, v6, vcc_lo
	ds_load_b128 v[4:7], v16 offset:128
	v_ashrrev_i32_e32 v11, 31, v10
	v_lshlrev_b64 v[8:9], 1, v[8:9]
	v_add_nc_u32_e32 v14, s2, v10
	global_store_b128 v[12:13], v[0:3], off
	v_lshlrev_b64 v[0:1], 1, v[10:11]
	v_ashrrev_i32_e32 v15, 31, v14
	v_add_co_u32 v22, vcc_lo, v30, v8
	v_add_nc_u32_e32 v20, s2, v14
	v_add_co_ci_u32_e32 v23, vcc_lo, v31, v9, vcc_lo
	v_add_co_u32 v26, vcc_lo, v30, v0
	v_lshlrev_b64 v[24:25], 1, v[14:15]
	v_add_co_ci_u32_e32 v27, vcc_lo, v31, v1, vcc_lo
	ds_load_b128 v[0:3], v16 offset:256
	ds_load_b128 v[8:11], v16 offset:384
	;; [unrolled: 1-line block ×4, first 2 shown]
	v_add_nc_u32_e32 v28, s2, v20
	v_ashrrev_i32_e32 v21, 31, v20
	v_add_co_u32 v24, vcc_lo, v30, v24
	v_add_co_ci_u32_e32 v25, vcc_lo, v31, v25, vcc_lo
	s_delay_alu instid0(VALU_DEP_4) | instskip(NEXT) | instid1(VALU_DEP_4)
	v_ashrrev_i32_e32 v29, 31, v28
	v_lshlrev_b64 v[20:21], 1, v[20:21]
	s_delay_alu instid0(VALU_DEP_2) | instskip(NEXT) | instid1(VALU_DEP_2)
	v_lshlrev_b64 v[28:29], 1, v[28:29]
	v_add_co_u32 v20, vcc_lo, v30, v20
	s_delay_alu instid0(VALU_DEP_3) | instskip(NEXT) | instid1(VALU_DEP_3)
	v_add_co_ci_u32_e32 v21, vcc_lo, v31, v21, vcc_lo
	v_add_co_u32 v28, vcc_lo, v30, v28
	s_delay_alu instid0(VALU_DEP_4)
	v_add_co_ci_u32_e32 v29, vcc_lo, v31, v29, vcc_lo
	s_waitcnt lgkmcnt(4)
	global_store_b128 v[22:23], v[4:7], off
	s_waitcnt lgkmcnt(3)
	global_store_b128 v[26:27], v[0:3], off
	;; [unrolled: 2-line block ×5, first 2 shown]
	s_nop 0
	s_sendmsg sendmsg(MSG_DEALLOC_VGPRS)
	s_endpgm
	.section	.rodata,"a",@progbits
	.p2align	6, 0x0
	.amdhsa_kernel _Z39paged_attention_ll4mi_QKV_mfma16_kernelIDF16_hLN4vllm18Fp8KVCacheDataTypeE1EhLi16ELi128ELi256ELb0ELi12EL8MFMAType1EEvPKT_PKT0_S8_ifPKiSA_SA_iPKfiiiPfSD_PS3_PT2_iSC_SC_
		.amdhsa_group_segment_fixed_size 17472
		.amdhsa_private_segment_fixed_size 0
		.amdhsa_kernarg_size 400
		.amdhsa_user_sgpr_count 13
		.amdhsa_user_sgpr_dispatch_ptr 0
		.amdhsa_user_sgpr_queue_ptr 0
		.amdhsa_user_sgpr_kernarg_segment_ptr 1
		.amdhsa_user_sgpr_dispatch_id 0
		.amdhsa_user_sgpr_private_segment_size 0
		.amdhsa_wavefront_size32 1
		.amdhsa_uses_dynamic_stack 0
		.amdhsa_enable_private_segment 0
		.amdhsa_system_sgpr_workgroup_id_x 1
		.amdhsa_system_sgpr_workgroup_id_y 1
		.amdhsa_system_sgpr_workgroup_id_z 1
		.amdhsa_system_sgpr_workgroup_info 0
		.amdhsa_system_vgpr_workitem_id 0
		.amdhsa_next_free_vgpr 150
		.amdhsa_next_free_sgpr 36
		.amdhsa_reserve_vcc 1
		.amdhsa_float_round_mode_32 0
		.amdhsa_float_round_mode_16_64 0
		.amdhsa_float_denorm_mode_32 3
		.amdhsa_float_denorm_mode_16_64 3
		.amdhsa_dx10_clamp 1
		.amdhsa_ieee_mode 1
		.amdhsa_fp16_overflow 0
		.amdhsa_workgroup_processor_mode 1
		.amdhsa_memory_ordered 1
		.amdhsa_forward_progress 0
		.amdhsa_shared_vgpr_count 0
		.amdhsa_exception_fp_ieee_invalid_op 0
		.amdhsa_exception_fp_denorm_src 0
		.amdhsa_exception_fp_ieee_div_zero 0
		.amdhsa_exception_fp_ieee_overflow 0
		.amdhsa_exception_fp_ieee_underflow 0
		.amdhsa_exception_fp_ieee_inexact 0
		.amdhsa_exception_int_div_zero 0
	.end_amdhsa_kernel
	.section	.text._Z39paged_attention_ll4mi_QKV_mfma16_kernelIDF16_hLN4vllm18Fp8KVCacheDataTypeE1EhLi16ELi128ELi256ELb0ELi12EL8MFMAType1EEvPKT_PKT0_S8_ifPKiSA_SA_iPKfiiiPfSD_PS3_PT2_iSC_SC_,"axG",@progbits,_Z39paged_attention_ll4mi_QKV_mfma16_kernelIDF16_hLN4vllm18Fp8KVCacheDataTypeE1EhLi16ELi128ELi256ELb0ELi12EL8MFMAType1EEvPKT_PKT0_S8_ifPKiSA_SA_iPKfiiiPfSD_PS3_PT2_iSC_SC_,comdat
.Lfunc_end961:
	.size	_Z39paged_attention_ll4mi_QKV_mfma16_kernelIDF16_hLN4vllm18Fp8KVCacheDataTypeE1EhLi16ELi128ELi256ELb0ELi12EL8MFMAType1EEvPKT_PKT0_S8_ifPKiSA_SA_iPKfiiiPfSD_PS3_PT2_iSC_SC_, .Lfunc_end961-_Z39paged_attention_ll4mi_QKV_mfma16_kernelIDF16_hLN4vllm18Fp8KVCacheDataTypeE1EhLi16ELi128ELi256ELb0ELi12EL8MFMAType1EEvPKT_PKT0_S8_ifPKiSA_SA_iPKfiiiPfSD_PS3_PT2_iSC_SC_
                                        ; -- End function
	.section	.AMDGPU.csdata,"",@progbits
; Kernel info:
; codeLenInByte = 6752
; NumSgprs: 38
; NumVgprs: 150
; ScratchSize: 0
; MemoryBound: 0
; FloatMode: 240
; IeeeMode: 1
; LDSByteSize: 17472 bytes/workgroup (compile time only)
; SGPRBlocks: 4
; VGPRBlocks: 18
; NumSGPRsForWavesPerEU: 38
; NumVGPRsForWavesPerEU: 150
; Occupancy: 9
; WaveLimiterHint : 1
; COMPUTE_PGM_RSRC2:SCRATCH_EN: 0
; COMPUTE_PGM_RSRC2:USER_SGPR: 13
; COMPUTE_PGM_RSRC2:TRAP_HANDLER: 0
; COMPUTE_PGM_RSRC2:TGID_X_EN: 1
; COMPUTE_PGM_RSRC2:TGID_Y_EN: 1
; COMPUTE_PGM_RSRC2:TGID_Z_EN: 1
; COMPUTE_PGM_RSRC2:TIDIG_COMP_CNT: 0
	.section	.text._Z39paged_attention_ll4mi_QKV_mfma16_kernelIDF16_hLN4vllm18Fp8KVCacheDataTypeE1EhLi16ELi128ELi256ELb0ELi13EL8MFMAType1EEvPKT_PKT0_S8_ifPKiSA_SA_iPKfiiiPfSD_PS3_PT2_iSC_SC_,"axG",@progbits,_Z39paged_attention_ll4mi_QKV_mfma16_kernelIDF16_hLN4vllm18Fp8KVCacheDataTypeE1EhLi16ELi128ELi256ELb0ELi13EL8MFMAType1EEvPKT_PKT0_S8_ifPKiSA_SA_iPKfiiiPfSD_PS3_PT2_iSC_SC_,comdat
	.protected	_Z39paged_attention_ll4mi_QKV_mfma16_kernelIDF16_hLN4vllm18Fp8KVCacheDataTypeE1EhLi16ELi128ELi256ELb0ELi13EL8MFMAType1EEvPKT_PKT0_S8_ifPKiSA_SA_iPKfiiiPfSD_PS3_PT2_iSC_SC_ ; -- Begin function _Z39paged_attention_ll4mi_QKV_mfma16_kernelIDF16_hLN4vllm18Fp8KVCacheDataTypeE1EhLi16ELi128ELi256ELb0ELi13EL8MFMAType1EEvPKT_PKT0_S8_ifPKiSA_SA_iPKfiiiPfSD_PS3_PT2_iSC_SC_
	.globl	_Z39paged_attention_ll4mi_QKV_mfma16_kernelIDF16_hLN4vllm18Fp8KVCacheDataTypeE1EhLi16ELi128ELi256ELb0ELi13EL8MFMAType1EEvPKT_PKT0_S8_ifPKiSA_SA_iPKfiiiPfSD_PS3_PT2_iSC_SC_
	.p2align	8
	.type	_Z39paged_attention_ll4mi_QKV_mfma16_kernelIDF16_hLN4vllm18Fp8KVCacheDataTypeE1EhLi16ELi128ELi256ELb0ELi13EL8MFMAType1EEvPKT_PKT0_S8_ifPKiSA_SA_iPKfiiiPfSD_PS3_PT2_iSC_SC_,@function
_Z39paged_attention_ll4mi_QKV_mfma16_kernelIDF16_hLN4vllm18Fp8KVCacheDataTypeE1EhLi16ELi128ELi256ELb0ELi13EL8MFMAType1EEvPKT_PKT0_S8_ifPKiSA_SA_iPKfiiiPfSD_PS3_PT2_iSC_SC_: ; @_Z39paged_attention_ll4mi_QKV_mfma16_kernelIDF16_hLN4vllm18Fp8KVCacheDataTypeE1EhLi16ELi128ELi256ELb0ELi13EL8MFMAType1EEvPKT_PKT0_S8_ifPKiSA_SA_iPKfiiiPfSD_PS3_PT2_iSC_SC_
; %bb.0:
	s_load_b64 s[4:5], s[0:1], 0x30
	s_mov_b32 s34, s13
	s_waitcnt lgkmcnt(0)
	s_cmp_lg_u64 s[4:5], 0
	s_cselect_b32 s8, -1, 0
	s_ashr_i32 s35, s13, 31
	s_cmp_eq_u64 s[4:5], 0
	s_cbranch_scc1 .LBB962_3
; %bb.1:
	s_lshl_b64 s[2:3], s[34:35], 2
	s_delay_alu instid0(SALU_CYCLE_1) | instskip(SKIP_4) | instid1(SALU_CYCLE_1)
	s_add_u32 s2, s4, s2
	s_addc_u32 s3, s5, s3
	s_load_b64 s[2:3], s[2:3], 0x0
	s_waitcnt lgkmcnt(0)
	s_sub_i32 s2, s3, s2
	s_cmp_eq_u32 s2, 1
	s_cselect_b32 s2, -1, 0
	s_delay_alu instid0(SALU_CYCLE_1)
	s_and_not1_b32 vcc_lo, exec_lo, s2
	s_cbranch_vccz .LBB962_4
.LBB962_2:
	s_nop 0
	s_sendmsg sendmsg(MSG_DEALLOC_VGPRS)
	s_endpgm
.LBB962_3:
.LBB962_4:
	s_load_b64 s[2:3], s[0:1], 0x28
	s_lshl_b64 s[6:7], s[34:35], 2
	s_waitcnt lgkmcnt(0)
	s_add_u32 s2, s2, s6
	s_addc_u32 s3, s3, s7
	s_lshl_b32 s12, s14, 8
	s_load_b32 s24, s[2:3], 0x0
	s_waitcnt lgkmcnt(0)
	s_cmp_ge_i32 s12, s24
	s_cbranch_scc1 .LBB962_2
; %bb.5:
	s_clause 0x1
	s_load_b128 s[20:23], s[0:1], 0x8
	s_load_b64 s[2:3], s[0:1], 0x20
	s_and_not1_b32 vcc_lo, exec_lo, s8
	s_cbranch_vccnz .LBB962_7
; %bb.6:
	s_add_u32 s4, s4, s6
	s_addc_u32 s5, s5, s7
	s_load_b32 s5, s[4:5], 0x0
	s_branch .LBB962_8
.LBB962_7:
	s_mov_b32 s5, s34
.LBB962_8:
	s_load_b128 s[16:19], s[0:1], 0x48
	v_and_b32_e32 v68, 15, v0
	v_lshrrev_b32_e32 v69, 5, v0
	v_bfe_u32 v66, v0, 4, 1
	v_and_b32_e32 v70, 31, v0
	v_and_b32_e32 v67, 1, v0
	v_lshlrev_b32_e32 v2, 3, v68
	s_mul_i32 s31, s15, 13
	v_lshl_or_b32 v1, v69, 1, v66
	s_mov_b32 s4, exec_lo
	s_delay_alu instid0(VALU_DEP_2) | instskip(NEXT) | instid1(VALU_DEP_2)
	v_lshlrev_b32_e32 v65, 1, v2
	v_cmpx_gt_u32_e32 13, v1
	s_cbranch_execz .LBB962_10
; %bb.9:
	s_load_b64 s[6:7], s[0:1], 0x0
	v_add_lshl_u32 v2, v1, s31, 7
	s_waitcnt lgkmcnt(0)
	s_mul_hi_i32 s9, s5, s16
	s_mul_i32 s8, s5, s16
	v_lshlrev_b32_e32 v6, 10, v68
	s_lshl_b64 s[8:9], s[8:9], 1
	v_ashrrev_i32_e32 v3, 31, v2
	v_lshlrev_b32_e32 v1, 6, v1
	v_lshlrev_b32_e32 v7, 10, v67
	v_and_b32_e32 v6, 0x3800, v6
	s_delay_alu instid0(VALU_DEP_4) | instskip(NEXT) | instid1(VALU_DEP_2)
	v_lshlrev_b64 v[2:3], 1, v[2:3]
	v_or3_b32 v1, v6, v7, v1
	s_add_u32 s5, s6, s8
	s_addc_u32 s6, s7, s9
	s_delay_alu instid0(VALU_DEP_2) | instskip(NEXT) | instid1(VALU_DEP_3)
	v_add_co_u32 v2, vcc_lo, s5, v2
	v_add_co_ci_u32_e32 v3, vcc_lo, s6, v3, vcc_lo
	s_delay_alu instid0(VALU_DEP_2) | instskip(NEXT) | instid1(VALU_DEP_2)
	v_add_co_u32 v2, vcc_lo, v2, v65
	v_add_co_ci_u32_e32 v3, vcc_lo, 0, v3, vcc_lo
	global_load_b128 v[2:5], v[2:3], off
	s_waitcnt vmcnt(0)
	ds_store_b128 v1, v[2:5]
.LBB962_10:
	s_or_b32 exec_lo, exec_lo, s4
	v_and_b32_e32 v1, 0xef, v0
	s_waitcnt lgkmcnt(0)
	s_add_i32 s5, s24, 15
	s_clause 0x1
	s_load_b32 s4, s[0:1], 0x38
	s_load_b32 s33, s[0:1], 0x98
	s_ashr_i32 s6, s5, 31
	v_add_nc_u32_e32 v1, s12, v1
	s_lshr_b32 s6, s6, 28
	s_load_b32 s19, s[0:1], 0x1c
	s_add_i32 s5, s5, s6
	s_waitcnt lgkmcnt(0)
	v_ashrrev_i32_e32 v2, 31, v1
	v_or_b32_e32 v3, 16, v1
	s_ashr_i32 s13, s5, 4
	v_cmp_gt_i32_e32 vcc_lo, s24, v1
	s_add_i32 s13, s13, -1
	v_lshrrev_b32_e32 v2, 28, v2
	s_barrier
	buffer_gl0_inv
	s_mul_i32 s15, s15, s18
	v_add_nc_u32_e32 v4, v1, v2
	s_mul_i32 s4, s34, s4
	s_delay_alu instid0(SALU_CYCLE_1) | instskip(NEXT) | instid1(VALU_DEP_1)
	s_ashr_i32 s5, s4, 31
	v_ashrrev_i32_e32 v4, 4, v4
	v_add_nc_u32_e32 v2, v3, v2
	s_lshl_b64 s[4:5], s[4:5], 2
	s_delay_alu instid0(SALU_CYCLE_1) | instskip(NEXT) | instid1(VALU_DEP_2)
	s_add_u32 s16, s2, s4
	v_cndmask_b32_e32 v1, s13, v4, vcc_lo
	s_delay_alu instid0(VALU_DEP_2)
	v_ashrrev_i32_e32 v2, 4, v2
	v_cmp_gt_i32_e32 vcc_lo, s24, v3
	s_addc_u32 s25, s3, s5
	s_ashr_i32 s18, s15, 31
	s_add_u32 s26, s20, s15
	s_addc_u32 s27, s21, s18
	v_cndmask_b32_e32 v3, s13, v2, vcc_lo
	v_ashrrev_i32_e32 v2, 31, v1
	s_lshl_b32 s2, s14, 4
	s_delay_alu instid0(SALU_CYCLE_1) | instskip(NEXT) | instid1(VALU_DEP_2)
	s_ashr_i32 s3, s2, 31
	v_ashrrev_i32_e32 v4, 31, v3
	s_delay_alu instid0(VALU_DEP_2) | instskip(SKIP_1) | instid1(SALU_CYCLE_1)
	v_lshlrev_b64 v[1:2], 2, v[1:2]
	s_lshl_b64 s[2:3], s[2:3], 2
	s_add_u32 s2, s16, s2
	s_delay_alu instid0(VALU_DEP_2) | instskip(SKIP_1) | instid1(VALU_DEP_2)
	v_lshlrev_b64 v[3:4], 2, v[3:4]
	s_addc_u32 s3, s25, s3
	v_add_co_u32 v1, vcc_lo, s16, v1
	v_add_co_ci_u32_e32 v2, vcc_lo, s25, v2, vcc_lo
	s_delay_alu instid0(VALU_DEP_3) | instskip(NEXT) | instid1(VALU_DEP_4)
	v_add_co_u32 v3, vcc_lo, s16, v3
	v_add_co_ci_u32_e32 v4, vcc_lo, s25, v4, vcc_lo
	s_clause 0x1
	global_load_b32 v5, v[1:2], off
	global_load_b32 v7, v[3:4], off
	s_or_b32 s4, s12, 32
	v_lshlrev_b32_e32 v1, 4, v0
	s_ashr_i32 s5, s4, 4
	s_cmp_lt_i32 s4, s24
	v_cmp_gt_u32_e32 vcc_lo, 13, v68
	s_cselect_b32 s4, s5, s13
	v_and_b32_e32 v1, 0xf0, v1
	s_ashr_i32 s5, s4, 31
	s_delay_alu instid0(SALU_CYCLE_1) | instskip(NEXT) | instid1(SALU_CYCLE_1)
	s_lshl_b64 s[4:5], s[4:5], 2
	s_add_u32 s4, s16, s4
	s_addc_u32 s5, s25, s5
	s_or_b32 s6, s12, 64
	v_add_co_u32 v1, s26, s26, v1
	s_ashr_i32 s7, s6, 4
	s_cmp_lt_i32 s6, s24
	v_add_co_ci_u32_e64 v2, null, s27, 0, s26
	s_cselect_b32 s6, s7, s13
	s_delay_alu instid0(SALU_CYCLE_1) | instskip(NEXT) | instid1(SALU_CYCLE_1)
	s_ashr_i32 s7, s6, 31
	s_lshl_b64 s[6:7], s[6:7], 2
	s_delay_alu instid0(SALU_CYCLE_1) | instskip(SKIP_2) | instid1(SALU_CYCLE_1)
	s_add_u32 s6, s16, s6
	s_addc_u32 s7, s25, s7
	s_or_b32 s8, s12, 0x60
	s_ashr_i32 s9, s8, 4
	s_cmp_lt_i32 s8, s24
	s_cselect_b32 s8, s9, s13
	s_delay_alu instid0(SALU_CYCLE_1) | instskip(NEXT) | instid1(SALU_CYCLE_1)
	s_ashr_i32 s9, s8, 31
	s_lshl_b64 s[8:9], s[8:9], 2
	s_delay_alu instid0(SALU_CYCLE_1) | instskip(SKIP_2) | instid1(SALU_CYCLE_1)
	s_add_u32 s8, s16, s8
	s_addc_u32 s9, s25, s9
	s_or_b32 s10, s12, 0x80
	s_ashr_i32 s11, s10, 4
	s_cmp_lt_i32 s10, s24
	;; [unrolled: 10-line block ×3, first 2 shown]
	s_cselect_b32 s20, s21, s13
	s_delay_alu instid0(SALU_CYCLE_1) | instskip(NEXT) | instid1(SALU_CYCLE_1)
	s_ashr_i32 s21, s20, 31
	s_lshl_b64 s[20:21], s[20:21], 2
	s_delay_alu instid0(SALU_CYCLE_1)
	s_add_u32 s20, s16, s20
	s_addc_u32 s21, s25, s21
	s_clause 0x5
	s_load_b32 s26, s[2:3], 0x0
	s_load_b32 s27, s[4:5], 0x0
	;; [unrolled: 1-line block ×6, first 2 shown]
	s_or_b32 s2, s12, 0xc0
	s_mov_b32 s4, 0
	s_ashr_i32 s3, s2, 4
	s_cmp_lt_i32 s2, s24
	s_mov_b32 s11, s4
	s_cselect_b32 s2, s3, s13
	s_mov_b32 s5, s4
	s_ashr_i32 s3, s2, 31
	s_mov_b32 s6, s4
	s_lshl_b64 s[2:3], s[2:3], 2
	s_mov_b32 s7, s4
	s_add_u32 s2, s16, s2
	s_addc_u32 s3, s25, s3
	s_or_b32 s20, s12, 0xe0
	s_mov_b32 s8, s4
	s_ashr_i32 s21, s20, 4
	s_cmp_lt_i32 s20, s24
	s_mov_b32 s9, s4
	s_cselect_b32 s20, s21, s13
	s_mov_b32 s10, s4
	s_ashr_i32 s21, s20, 31
	v_mov_b32_e32 v118, s11
	v_dual_mov_b32 v112, s5 :: v_dual_mov_b32 v117, s10
	v_dual_mov_b32 v116, s9 :: v_dual_mov_b32 v115, s8
	;; [unrolled: 1-line block ×3, first 2 shown]
	v_mov_b32_e32 v111, s4
	s_lshl_b64 s[4:5], s[20:21], 2
	s_delay_alu instid0(SALU_CYCLE_1)
	s_add_u32 s4, s16, s4
	s_addc_u32 s5, s25, s5
	s_add_u32 s6, s22, s15
	s_addc_u32 s7, s23, s18
	s_waitcnt vmcnt(1)
	v_mad_i64_i32 v[3:4], null, v5, s17, v[1:2]
	s_waitcnt vmcnt(0)
	v_mad_i64_i32 v[5:6], null, v7, s17, v[1:2]
	v_add_nc_u32_e32 v1, -13, v68
	v_lshlrev_b32_e32 v2, 4, v68
	s_clause 0xf
	global_load_b128 v[17:20], v[3:4], off
	global_load_b128 v[21:24], v[3:4], off offset:256
	global_load_b128 v[25:28], v[5:6], off
	global_load_b128 v[29:32], v[5:6], off offset:256
	global_load_b128 v[57:60], v[3:4], off offset:512
	;; [unrolled: 1-line block ×13, first 2 shown]
	v_cndmask_b32_e32 v1, v1, v68, vcc_lo
	s_delay_alu instid0(VALU_DEP_1)
	v_lshlrev_b32_e32 v149, 6, v1
	v_lshl_or_b32 v1, v69, 8, v2
	ds_load_b128 v[119:122], v149
	ds_load_b128 v[123:126], v149 offset:1024
	ds_load_b128 v[127:130], v149 offset:2048
	ds_load_b128 v[131:134], v149 offset:3072
	s_clause 0x1
	s_load_b32 s2, s[2:3], 0x0
	s_load_b32 s3, s[4:5], 0x0
	v_add_co_u32 v135, s6, s6, v1
	s_delay_alu instid0(VALU_DEP_1) | instskip(SKIP_1) | instid1(VALU_DEP_1)
	v_add_co_ci_u32_e64 v136, null, s7, 0, s6
	s_waitcnt lgkmcnt(0)
	v_mad_i64_i32 v[1:2], null, s26, s17, v[135:136]
	v_mad_i64_i32 v[3:4], null, s27, s17, v[135:136]
	;; [unrolled: 1-line block ×6, first 2 shown]
	s_clause 0x9
	global_load_b128 v[49:52], v[1:2], off
	global_load_b128 v[53:56], v[1:2], off offset:16
	global_load_b128 v[41:44], v[3:4], off
	global_load_b128 v[45:48], v[3:4], off offset:16
	;; [unrolled: 2-line block ×5, first 2 shown]
	v_mad_i64_i32 v[145:146], null, s2, s17, v[135:136]
	v_mad_i64_i32 v[147:148], null, s3, s17, v[135:136]
	s_waitcnt vmcnt(24)
	v_wmma_f32_16x16x16_f16 v[135:142], v[17:24], v[119:126], v[111:118]
	s_waitcnt vmcnt(22)
	v_wmma_f32_16x16x16_f16 v[111:118], v[25:32], v[119:126], v[111:118]
	s_clause 0x3
	global_load_b128 v[17:20], v[143:144], off
	global_load_b128 v[21:24], v[143:144], off offset:16
	global_load_b128 v[25:28], v[145:146], off
	global_load_b128 v[29:32], v[145:146], off offset:16
	v_and_b32_e32 v119, 0xe0, v0
	s_waitcnt vmcnt(24)
	v_wmma_f32_16x16x16_f16 v[135:142], v[57:64], v[127:134], v[135:142]
	s_clause 0x1
	global_load_b128 v[57:60], v[147:148], off
	global_load_b128 v[61:64], v[147:148], off offset:16
	s_waitcnt vmcnt(24)
	v_wmma_f32_16x16x16_f16 v[111:118], v[71:78], v[127:134], v[111:118]
	ds_load_b128 v[71:74], v149 offset:4096
	ds_load_b128 v[75:78], v149 offset:5120
	v_add_nc_u32_e32 v128, s12, v119
	ds_load_b128 v[119:122], v149 offset:6144
	ds_load_b128 v[123:126], v149 offset:7168
	v_mbcnt_lo_u32_b32 v127, -1, 0
	s_waitcnt vmcnt(0) lgkmcnt(0)
	s_barrier
	v_or_b32_e32 v128, v128, v66
	buffer_gl0_inv
	v_xor_b32_e32 v129, 16, v127
	v_or_b32_e32 v130, 4, v128
	v_or_b32_e32 v131, 6, v128
	s_delay_alu instid0(VALU_DEP_3) | instskip(SKIP_4) | instid1(VALU_DEP_4)
	v_cmp_gt_i32_e32 vcc_lo, 32, v129
	v_or_b32_e32 v132, 8, v128
	v_or_b32_e32 v133, 10, v128
	v_cmp_gt_i32_e64 s3, s24, v130
	v_cmp_gt_i32_e64 s4, s24, v131
	;; [unrolled: 1-line block ×3, first 2 shown]
	v_wmma_f32_16x16x16_f16 v[135:142], v[79:86], v[71:78], v[135:142]
	v_wmma_f32_16x16x16_f16 v[111:118], v[87:94], v[71:78], v[111:118]
	v_or_b32_e32 v79, 12, v128
	v_or_b32_e32 v80, 14, v128
	v_cmp_gt_i32_e64 s6, s24, v133
	v_wmma_f32_16x16x16_f16 v[135:142], v[95:102], v[119:126], v[135:142]
	v_wmma_f32_16x16x16_f16 v[111:118], v[103:110], v[119:126], v[111:118]
	v_cndmask_b32_e32 v127, v127, v129, vcc_lo
	v_or_b32_e32 v129, 2, v128
	v_cmp_gt_i32_e32 vcc_lo, s24, v128
	v_mul_f32_e32 v88, s19, v135
	v_dual_mul_f32 v92, s19, v115 :: v_dual_mul_f32 v87, s19, v136
	s_delay_alu instid0(VALU_DEP_4)
	v_cmp_gt_i32_e64 s2, s24, v129
	v_mul_f32_e32 v78, s19, v138
	v_mul_f32_e32 v86, s19, v137
	v_cndmask_b32_e32 v88, 0xff7fffff, v88, vcc_lo
	v_mul_f32_e32 v76, s19, v140
	v_cndmask_b32_e64 v87, 0xff7fffff, v87, s2
	v_dual_mul_f32 v77, s19, v139 :: v_dual_mul_f32 v94, s19, v113
	v_cndmask_b32_e64 v86, 0xff7fffff, v86, s3
	v_cndmask_b32_e64 v78, 0xff7fffff, v78, s4
	s_delay_alu instid0(VALU_DEP_4)
	v_max3_f32 v87, v88, 0xff7fffff, v87
	v_or_b32_e32 v81, 16, v128
	v_or_b32_e32 v82, 18, v128
	v_dual_mul_f32 v74, s19, v142 :: v_dual_mul_f32 v75, s19, v141
	v_mul_f32_e32 v96, s19, v111
	v_cndmask_b32_e64 v77, 0xff7fffff, v77, s5
	v_cndmask_b32_e64 v76, 0xff7fffff, v76, s6
	v_max3_f32 v78, v87, v86, v78
	v_cmp_gt_i32_e64 s7, s24, v79
	v_cmp_gt_i32_e64 s8, s24, v80
	v_or_b32_e32 v83, 20, v128
	v_or_b32_e32 v84, 22, v128
	v_mul_f32_e32 v95, s19, v112
	v_cndmask_b32_e64 v75, 0xff7fffff, v75, s7
	v_cndmask_b32_e64 v74, 0xff7fffff, v74, s8
	v_max3_f32 v76, v78, v77, v76
	v_cmp_gt_i32_e64 s9, s24, v81
	v_cmp_gt_i32_e64 s10, s24, v82
	v_or_b32_e32 v85, 24, v128
	v_or_b32_e32 v71, 26, v128
	;; [unrolled: 8-line block ×3, first 2 shown]
	v_mul_f32_e32 v91, s19, v116
	v_cndmask_b32_e64 v75, 0xff7fffff, v94, s11
	v_cndmask_b32_e64 v76, 0xff7fffff, v93, s12
	v_max3_f32 v74, v74, v77, v78
	v_cmp_gt_i32_e64 s13, s24, v85
	v_cmp_gt_i32_e64 s15, s24, v71
	v_dual_mul_f32 v89, s19, v118 :: v_dual_mul_f32 v90, s19, v117
	s_delay_alu instid0(VALU_DEP_4) | instskip(NEXT) | instid1(VALU_DEP_4)
	v_max3_f32 v74, v74, v75, v76
	v_cndmask_b32_e64 v77, 0xff7fffff, v92, s13
	s_delay_alu instid0(VALU_DEP_4) | instskip(SKIP_2) | instid1(VALU_DEP_3)
	v_cndmask_b32_e64 v71, 0xff7fffff, v91, s15
	v_cmp_gt_i32_e64 s16, s24, v72
	v_cmp_gt_i32_e64 s17, s24, v73
	v_max3_f32 v71, v74, v77, v71
	s_delay_alu instid0(VALU_DEP_3) | instskip(NEXT) | instid1(VALU_DEP_3)
	v_cndmask_b32_e64 v72, 0xff7fffff, v90, s16
	v_cndmask_b32_e64 v73, 0xff7fffff, v89, s17
	v_lshlrev_b32_e32 v74, 2, v127
	s_delay_alu instid0(VALU_DEP_2) | instskip(SKIP_3) | instid1(VALU_DEP_1)
	v_max3_f32 v71, v71, v72, v73
	ds_bpermute_b32 v72, v74, v71
	s_waitcnt lgkmcnt(0)
	v_max_f32_e32 v72, v72, v72
	v_max_f32_e32 v71, v71, v72
	s_delay_alu instid0(VALU_DEP_1) | instskip(SKIP_4) | instid1(VALU_DEP_4)
	v_fma_f32 v72, s19, v135, -v71
	v_fma_f32 v73, s19, v136, -v71
	;; [unrolled: 1-line block ×5, first 2 shown]
	v_dual_mul_f32 v72, 0x3fb8aa3b, v72 :: v_dual_mul_f32 v73, 0x3fb8aa3b, v73
	v_fma_f32 v80, s19, v141, -v71
	s_delay_alu instid0(VALU_DEP_3) | instskip(NEXT) | instid1(VALU_DEP_3)
	v_dual_mul_f32 v76, 0x3fb8aa3b, v76 :: v_dual_mul_f32 v77, 0x3fb8aa3b, v77
	v_exp_f32_e32 v72, v72
	s_delay_alu instid0(VALU_DEP_3) | instskip(NEXT) | instid1(VALU_DEP_2)
	v_exp_f32_e32 v73, v73
	v_mul_f32_e32 v82, 0x3fb8aa3b, v80
	s_delay_alu instid0(VALU_DEP_2) | instskip(SKIP_1) | instid1(VALU_DEP_1)
	v_exp_f32_e32 v76, v76
	v_exp_f32_e32 v77, v77
	;; [unrolled: 1-line block ×3, first 2 shown]
	v_cndmask_b32_e32 v79, 0, v72, vcc_lo
	v_fma_f32 v72, s19, v140, -v71
	v_mul_f32_e32 v75, 0x3fb8aa3b, v75
	v_cndmask_b32_e64 v78, 0, v73, s2
	s_delay_alu instid0(TRANS32_DEP_3) | instskip(NEXT) | instid1(VALU_DEP_4)
	v_cndmask_b32_e64 v80, 0, v76, s4
	v_dual_add_f32 v73, 0, v79 :: v_dual_mul_f32 v72, 0x3fb8aa3b, v72
	s_delay_alu instid0(VALU_DEP_4) | instskip(NEXT) | instid1(TRANS32_DEP_3)
	v_exp_f32_e32 v75, v75
	v_cndmask_b32_e64 v83, 0, v77, s5
	s_delay_alu instid0(TRANS32_DEP_2) | instskip(NEXT) | instid1(VALU_DEP_3)
	v_cndmask_b32_e64 v85, 0, v84, s7
	v_add_f32_e32 v73, v73, v78
	v_exp_f32_e32 v72, v72
	v_cmp_gt_u32_e64 s2, 16, v70
	s_waitcnt_depctr 0xfff
	v_cndmask_b32_e64 v81, 0, v75, s3
	v_cndmask_b32_e64 v82, 0, v72, s6
	s_delay_alu instid0(VALU_DEP_2) | instskip(NEXT) | instid1(VALU_DEP_1)
	v_add_f32_e32 v73, v73, v81
	v_add_f32_e32 v73, v73, v80
	s_delay_alu instid0(VALU_DEP_1) | instskip(NEXT) | instid1(VALU_DEP_1)
	v_add_f32_e32 v72, v73, v83
	v_add_f32_e32 v72, v72, v82
	s_delay_alu instid0(VALU_DEP_1)
	v_add_f32_e32 v72, v72, v85
	v_fma_f32 v76, s19, v111, -v71
	v_fma_f32 v75, s19, v142, -v71
	;; [unrolled: 1-line block ×5, first 2 shown]
	v_mul_f32_e32 v76, 0x3fb8aa3b, v76
	s_delay_alu instid0(VALU_DEP_4) | instskip(NEXT) | instid1(VALU_DEP_2)
	v_mul_f32_e32 v86, 0x3fb8aa3b, v86
	v_exp_f32_e32 v76, v76
	s_delay_alu instid0(VALU_DEP_1)
	v_exp_f32_e32 v88, v86
	s_waitcnt_depctr 0xfff
	v_cndmask_b32_e64 v87, 0, v76, s9
	v_fma_f32 v76, s19, v116, -v71
	v_mul_f32_e32 v75, 0x3fb8aa3b, v75
	v_cndmask_b32_e64 v88, 0, v88, s12
	s_delay_alu instid0(VALU_DEP_3) | instskip(NEXT) | instid1(VALU_DEP_3)
	v_dual_mul_f32 v73, 0x3fb8aa3b, v73 :: v_dual_mul_f32 v76, 0x3fb8aa3b, v76
	v_exp_f32_e32 v75, v75
	s_delay_alu instid0(VALU_DEP_1) | instskip(NEXT) | instid1(VALU_DEP_1)
	v_exp_f32_e32 v73, v73
	v_exp_f32_e32 v76, v76
	s_delay_alu instid0(TRANS32_DEP_3)
	v_cndmask_b32_e64 v84, 0, v75, s8
	v_fma_f32 v75, s19, v115, -v71
	s_waitcnt_depctr 0xfff
	v_cndmask_b32_e64 v89, 0, v73, s11
	v_cndmask_b32_e64 v90, 0, v76, s15
	v_add_f32_e32 v72, v72, v84
	s_delay_alu instid0(VALU_DEP_1) | instskip(NEXT) | instid1(VALU_DEP_1)
	v_dual_add_f32 v72, v72, v87 :: v_dual_mul_f32 v77, 0x3fb8aa3b, v77
	v_exp_f32_e32 v77, v77
	s_waitcnt_depctr 0xfff
	v_cndmask_b32_e64 v86, 0, v77, s10
	v_fma_f32 v77, s19, v117, -v71
	s_delay_alu instid0(VALU_DEP_2) | instskip(NEXT) | instid1(VALU_DEP_1)
	v_dual_add_f32 v72, v72, v86 :: v_dual_mul_f32 v75, 0x3fb8aa3b, v75
	v_add_f32_e32 v72, v72, v89
	s_delay_alu instid0(VALU_DEP_2) | instskip(NEXT) | instid1(VALU_DEP_1)
	v_exp_f32_e32 v75, v75
	v_add_f32_e32 v72, v72, v88
	s_waitcnt_depctr 0xfff
	v_cndmask_b32_e64 v91, 0, v75, s13
	v_mul_f32_e32 v73, 0x3fb8aa3b, v77
	v_fma_f32 v77, s19, v118, -v71
	s_delay_alu instid0(VALU_DEP_3) | instskip(NEXT) | instid1(VALU_DEP_3)
	v_add_f32_e32 v72, v72, v91
	v_exp_f32_e32 v73, v73
	s_delay_alu instid0(VALU_DEP_1) | instskip(NEXT) | instid1(VALU_DEP_1)
	v_dual_mul_f32 v75, 0x3fb8aa3b, v77 :: v_dual_add_f32 v72, v72, v90
	v_exp_f32_e32 v75, v75
	s_waitcnt_depctr 0xfff
	v_cndmask_b32_e64 v93, 0, v73, s16
	s_delay_alu instid0(VALU_DEP_1) | instskip(SKIP_1) | instid1(VALU_DEP_1)
	v_add_f32_e32 v72, v72, v93
	v_cndmask_b32_e64 v92, 0, v75, s17
	v_add_f32_e32 v72, v72, v92
	ds_bpermute_b32 v73, v74, v72
	s_and_saveexec_b32 s3, s2
	s_cbranch_execz .LBB962_12
; %bb.11:
	v_mul_u32_u24_e32 v70, 0x44, v69
	s_waitcnt lgkmcnt(0)
	v_add_f32_e32 v72, v72, v73
	s_delay_alu instid0(VALU_DEP_2) | instskip(NEXT) | instid1(VALU_DEP_1)
	v_lshl_add_u32 v70, v68, 2, v70
	v_add_nc_u32_e32 v70, 0x4000, v70
	ds_store_2addr_b32 v70, v71, v72 offset1:136
.LBB962_12:
	s_or_b32 exec_lo, exec_lo, s3
	v_lshlrev_b32_e32 v70, 2, v68
	s_load_b32 s35, s[0:1], 0x94
	s_waitcnt lgkmcnt(0)
	s_barrier
	buffer_gl0_inv
	v_add_nc_u32_e32 v98, 0x4000, v70
	v_cmp_eq_u32_e32 vcc_lo, 1, v69
	v_cmp_eq_u32_e64 s3, 2, v69
	v_cmp_eq_u32_e64 s4, 3, v69
	;; [unrolled: 1-line block ×3, first 2 shown]
	ds_load_2addr_b32 v[70:71], v98 offset1:17
	ds_load_2addr_b32 v[72:73], v98 offset0:34 offset1:51
	ds_load_2addr_b32 v[74:75], v98 offset0:68 offset1:85
	;; [unrolled: 1-line block ×3, first 2 shown]
	v_cmp_eq_u32_e64 s6, 5, v69
	v_cmp_eq_u32_e64 s7, 7, v69
	s_waitcnt lgkmcnt(3)
	v_max3_f32 v76, v70, 0xff7fffff, v71
	s_waitcnt lgkmcnt(2)
	s_delay_alu instid0(VALU_DEP_1) | instskip(SKIP_1) | instid1(VALU_DEP_1)
	v_max3_f32 v76, v76, v72, v73
	s_waitcnt lgkmcnt(1)
	v_max3_f32 v76, v76, v74, v75
	s_waitcnt lgkmcnt(0)
	s_delay_alu instid0(VALU_DEP_1) | instskip(NEXT) | instid1(VALU_DEP_1)
	v_max3_f32 v76, v76, v94, v95
	v_sub_f32_e32 v77, v71, v76
	ds_load_2addr_b32 v[96:97], v98 offset0:136 offset1:153
	v_sub_f32_e32 v74, v74, v76
	v_sub_f32_e32 v70, v70, v76
	;; [unrolled: 1-line block ×3, first 2 shown]
	v_dual_sub_f32 v72, v72, v76 :: v_dual_mul_f32 v77, 0x3fb8aa3b, v77
	s_delay_alu instid0(VALU_DEP_4) | instskip(NEXT) | instid1(VALU_DEP_4)
	v_mul_f32_e32 v103, 0x3fb8aa3b, v74
	v_mul_f32_e32 v99, 0x3fb8aa3b, v70
	ds_load_2addr_b32 v[70:71], v98 offset0:170 offset1:187
	v_dual_mul_f32 v101, 0x3fb8aa3b, v72 :: v_dual_mul_f32 v94, 0x3fb8aa3b, v94
	v_exp_f32_e32 v102, v77
	v_exp_f32_e32 v99, v99
	s_delay_alu instid0(VALU_DEP_1) | instskip(NEXT) | instid1(VALU_DEP_1)
	v_exp_f32_e32 v101, v101
	v_exp_f32_e32 v94, v94
	s_waitcnt lgkmcnt(1)
	s_delay_alu instid0(TRANS32_DEP_3)
	v_fma_f32 v77, v99, v96, 0
	v_sub_f32_e32 v100, v73, v76
	ds_load_2addr_b32 v[72:73], v98 offset0:204 offset1:221
	v_fmac_f32_e32 v77, v102, v97
	v_exp_f32_e32 v97, v103
	s_waitcnt lgkmcnt(1)
	s_delay_alu instid0(VALU_DEP_1)
	v_dual_fmac_f32 v77, v101, v70 :: v_dual_sub_f32 v96, v75, v76
	ds_load_2addr_b32 v[74:75], v98 offset0:238 offset1:255
	v_sub_f32_e32 v70, v95, v76
	s_waitcnt lgkmcnt(0)
	s_barrier
	v_mul_f32_e32 v96, 0x3fb8aa3b, v96
	buffer_gl0_inv
	v_exp_f32_e32 v95, v96
	v_mul_f32_e32 v100, 0x3fb8aa3b, v100
	s_delay_alu instid0(VALU_DEP_1) | instskip(SKIP_3) | instid1(VALU_DEP_2)
	v_exp_f32_e32 v100, v100
	s_waitcnt_depctr 0xfff
	v_dual_fmac_f32 v77, v100, v71 :: v_dual_mul_f32 v70, 0x3fb8aa3b, v70
	v_cndmask_b32_e32 v71, v99, v102, vcc_lo
	v_fmac_f32_e32 v77, v97, v72
	s_delay_alu instid0(VALU_DEP_3) | instskip(NEXT) | instid1(VALU_DEP_1)
	v_exp_f32_e32 v96, v70
	v_fmac_f32_e32 v77, v95, v73
	s_delay_alu instid0(VALU_DEP_1) | instskip(SKIP_2) | instid1(VALU_DEP_1)
	v_fmac_f32_e32 v77, v94, v74
	s_waitcnt_depctr 0xfff
	v_fmac_f32_e32 v77, v96, v75
	v_add_f32_e32 v74, 0x358637bd, v77
	s_delay_alu instid0(VALU_DEP_1) | instskip(SKIP_1) | instid1(VALU_DEP_2)
	v_div_scale_f32 v98, null, v74, v74, 1.0
	v_div_scale_f32 v99, vcc_lo, 1.0, v74, 1.0
	v_rcp_f32_e32 v103, v98
	s_waitcnt_depctr 0xfff
	v_fma_f32 v70, -v98, v103, 1.0
	s_delay_alu instid0(VALU_DEP_1) | instskip(SKIP_2) | instid1(VALU_DEP_2)
	v_fmac_f32_e32 v103, v70, v103
	v_cndmask_b32_e64 v70, v71, v101, s3
	v_cmp_eq_u32_e64 s3, 6, v69
	v_cndmask_b32_e64 v71, v70, v100, s4
	s_delay_alu instid0(VALU_DEP_4) | instskip(NEXT) | instid1(VALU_DEP_2)
	v_dual_mul_f32 v101, v99, v103 :: v_dual_lshlrev_b32 v70, 2, v66
	v_cndmask_b32_e64 v71, v71, v97, s5
	s_delay_alu instid0(VALU_DEP_2) | instskip(NEXT) | instid1(VALU_DEP_3)
	v_or_b32_e32 v72, 1, v70
	v_fma_f32 v100, -v98, v101, v99
	v_cmp_eq_u32_e64 s4, 1, v70
	v_cmp_eq_u32_e64 s5, 2, v70
	v_cndmask_b32_e64 v95, v71, v95, s6
	v_or_b32_e32 v71, 3, v70
	v_fmac_f32_e32 v101, v100, v103
	v_cmp_eq_u32_e64 s9, 1, v72
	v_cmp_eq_u32_e64 s12, 2, v72
	v_cndmask_b32_e64 v94, v95, v94, s3
	v_cmp_eq_u32_e64 s11, 1, v71
	v_fma_f32 v97, -v98, v101, v99
	v_cmp_eq_u32_e64 s16, 2, v71
	v_cmp_eq_u32_e64 s13, 3, v72
	v_cndmask_b32_e64 v94, v94, v96, s7
	v_cmp_eq_u32_e64 s18, 3, v71
	v_div_fmas_f32 v95, v97, v103, v101
	v_cmp_eq_u32_e32 vcc_lo, 3, v70
	v_cmp_eq_u32_e64 s3, 4, v70
	v_cmp_eq_u32_e64 s19, 4, v72
	;; [unrolled: 1-line block ×3, first 2 shown]
	v_div_fixup_f32 v95, v95, v74, 1.0
	v_lshlrev_b32_e32 v73, 6, v68
	v_cmp_eq_u32_e64 s6, 5, v70
	v_cmp_eq_u32_e64 s20, 5, v72
	;; [unrolled: 1-line block ×3, first 2 shown]
	v_mul_f32_e32 v102, v94, v95
	v_lshl_or_b32 v75, v69, 11, v73
	v_or_b32_e32 v69, 2, v70
	v_cmp_eq_u32_e64 s25, 6, v72
	v_cmp_eq_u32_e64 s27, 6, v71
	v_fma_mixlo_f16 v94, v102, v79, 0
	v_fma_mixlo_f16 v95, v102, v81, 0
	v_fma_mixlo_f16 v96, v102, v83, 0
	v_fma_mixlo_f16 v97, v102, v85, 0
	v_fma_mixlo_f16 v98, v102, v87, 0
	v_fma_mixlo_f16 v99, v102, v89, 0
	v_fma_mixlo_f16 v100, v102, v91, 0
	v_fma_mixlo_f16 v101, v102, v93, 0
	v_lshl_or_b32 v74, v66, 4, v75
	v_fma_mixhi_f16 v94, v102, v78, 0
	v_fma_mixhi_f16 v95, v102, v80, 0
	;; [unrolled: 1-line block ×8, first 2 shown]
	ds_store_b128 v74, v[94:97]
	ds_store_b128 v74, v[98:101] offset:1024
	s_waitcnt lgkmcnt(0)
	s_barrier
	buffer_gl0_inv
	ds_load_b128 v[78:81], v75
	ds_load_b128 v[82:85], v75 offset:16
	ds_load_b128 v[86:89], v75 offset:1024
	;; [unrolled: 1-line block ×3, first 2 shown]
	v_cmp_eq_u32_e64 s10, 1, v69
	v_cmp_eq_u32_e64 s15, 2, v69
	;; [unrolled: 1-line block ×11, first 2 shown]
	s_waitcnt lgkmcnt(3)
	v_lshrrev_b32_e32 v94, 16, v78
	s_waitcnt lgkmcnt(2)
	v_lshrrev_b32_e32 v98, 16, v82
	;; [unrolled: 2-line block ×4, first 2 shown]
	v_lshrrev_b32_e32 v95, 16, v79
	v_cndmask_b32_e64 v110, v78, v94, s4
	v_cndmask_b32_e64 v111, v82, v98, s4
	;; [unrolled: 1-line block ×8, first 2 shown]
	v_lshrrev_b32_e32 v99, 16, v83
	v_cndmask_b32_e64 v94, v86, v102, s4
	v_cndmask_b32_e64 v98, v90, v106, s4
	;; [unrolled: 1-line block ×15, first 2 shown]
	v_lshrrev_b32_e32 v103, 16, v87
	v_lshrrev_b32_e32 v107, 16, v91
	v_cndmask_b32_e64 v113, v115, v83, s15
	v_cndmask_b32_e64 v82, v94, v87, s5
	;; [unrolled: 1-line block ×7, first 2 shown]
	v_cndmask_b32_e32 v90, v102, v95, vcc_lo
	v_cndmask_b32_e32 v102, v106, v99, vcc_lo
	v_cndmask_b32_e64 v106, v110, v95, s13
	v_cndmask_b32_e64 v110, v111, v99, s13
	;; [unrolled: 1-line block ×4, first 2 shown]
	v_lshrrev_b32_e32 v96, 16, v80
	v_lshrrev_b32_e32 v100, 16, v84
	v_cndmask_b32_e64 v111, v112, v95, s17
	v_cndmask_b32_e64 v112, v113, v99, s17
	v_cndmask_b32_e32 v82, v82, v103, vcc_lo
	v_cndmask_b32_e32 v83, v83, v107, vcc_lo
	v_cndmask_b32_e64 v94, v94, v103, s13
	v_cndmask_b32_e64 v90, v90, v80, s3
	;; [unrolled: 1-line block ×7, first 2 shown]
	v_lshrrev_b32_e32 v104, 16, v88
	v_cndmask_b32_e64 v106, v111, v80, s21
	v_cndmask_b32_e64 v110, v112, v84, s21
	;; [unrolled: 1-line block ×11, first 2 shown]
	v_lshrrev_b32_e32 v97, 16, v81
	v_lshrrev_b32_e32 v101, 16, v85
	v_cndmask_b32_e64 v99, v106, v96, s23
	v_cndmask_b32_e64 v102, v110, v100, s23
	;; [unrolled: 1-line block ×7, first 2 shown]
	v_lshrrev_b32_e32 v105, 16, v89
	v_cndmask_b32_e64 v80, v80, v104, s6
	v_cndmask_b32_e64 v84, v84, v81, s7
	;; [unrolled: 1-line block ×16, first 2 shown]
	v_perm_b32 v81, v79, v78, 0x5040100
	v_perm_b32 v79, v95, v85, 0x5040100
	v_cndmask_b32_e64 v78, v119, v91, s15
	v_cndmask_b32_e64 v85, v117, v91, s12
	;; [unrolled: 1-line block ×3, first 2 shown]
	v_perm_b32 v80, v94, v90, 0x5040100
	v_cndmask_b32_e64 v90, v98, v103, s17
	v_cndmask_b32_e64 v86, v86, v103, s18
	;; [unrolled: 1-line block ×5, first 2 shown]
	v_lshrrev_b32_e32 v108, 16, v92
	v_cndmask_b32_e64 v90, v90, v88, s21
	v_cndmask_b32_e64 v86, v86, v88, s22
	;; [unrolled: 1-line block ×11, first 2 shown]
	v_lshrrev_b32_e32 v109, 16, v93
	v_cndmask_b32_e64 v82, v82, v93, s7
	v_cndmask_b32_e64 v88, v88, v89, s26
	;; [unrolled: 1-line block ×12, first 2 shown]
	v_perm_b32 v78, v84, v83, 0x5040100
	v_perm_b32 v85, v87, v86, 0x5040100
	;; [unrolled: 1-line block ×5, first 2 shown]
	s_mul_i32 s8, s33, 13
	s_mov_b32 s3, exec_lo
	ds_store_b128 v74, v[78:81]
	ds_store_b128 v74, v[82:85] offset:1024
	v_cmpx_gt_u32_e32 13, v0
	s_cbranch_execz .LBB962_14
; %bb.13:
	s_mul_i32 s4, s8, s34
	s_delay_alu instid0(SALU_CYCLE_1) | instskip(SKIP_1) | instid1(VALU_DEP_1)
	v_add3_u32 v68, s4, s31, v68
	s_load_b128 s[4:7], s[0:1], 0x58
	v_mad_u64_u32 v[78:79], null, v68, s35, s[14:15]
	s_delay_alu instid0(VALU_DEP_1) | instskip(NEXT) | instid1(VALU_DEP_1)
	v_ashrrev_i32_e32 v79, 31, v78
	v_lshlrev_b64 v[78:79], 2, v[78:79]
	s_waitcnt lgkmcnt(0)
	s_delay_alu instid0(VALU_DEP_1) | instskip(NEXT) | instid1(VALU_DEP_2)
	v_add_co_u32 v80, vcc_lo, s6, v78
	v_add_co_ci_u32_e32 v81, vcc_lo, s7, v79, vcc_lo
	v_add_co_u32 v78, vcc_lo, s4, v78
	v_add_co_ci_u32_e32 v79, vcc_lo, s5, v79, vcc_lo
	global_store_b32 v[80:81], v76, off
	global_store_b32 v[78:79], v77, off
.LBB962_14:
	s_or_b32 exec_lo, exec_lo, s3
	s_waitcnt lgkmcnt(0)
	s_waitcnt_vscnt null, 0x0
	s_barrier
	buffer_gl0_inv
	ds_load_b128 v[84:87], v73
	ds_load_b128 v[88:91], v73 offset:16
	ds_load_b128 v[96:99], v73 offset:2064
	ds_load_b128 v[92:95], v73 offset:2048
	ds_load_b128 v[104:107], v73 offset:4112
	ds_load_b128 v[100:103], v73 offset:4096
	v_cmp_eq_u32_e32 vcc_lo, 1, v70
	v_mov_b32_e32 v76, 0
	ds_load_b128 v[112:115], v73 offset:6160
	ds_load_b128 v[108:111], v73 offset:6144
	;; [unrolled: 1-line block ×4, first 2 shown]
	v_cmp_eq_u32_e64 s4, 1, v69
	v_cmp_eq_u32_e64 s3, 1, v72
	;; [unrolled: 1-line block ×3, first 2 shown]
	v_mov_b32_e32 v77, v76
	v_mov_b32_e32 v78, v76
	;; [unrolled: 1-line block ×7, first 2 shown]
	v_cmp_eq_u32_e64 s6, 3, v72
	v_cmp_eq_u32_e64 s7, 7, v72
	s_waitcnt lgkmcnt(8)
	s_delay_alu instid0(VALU_DEP_3)
	v_wmma_f32_16x16x16_f16 v[76:83], v[49:56], v[84:91], v[76:83]
	ds_load_b128 v[53:56], v73 offset:10256
	ds_load_b128 v[49:52], v73 offset:10240
	s_waitcnt lgkmcnt(8)
	v_wmma_f32_16x16x16_f16 v[76:83], v[41:48], v[92:99], v[76:83]
	ds_load_b128 v[45:48], v73 offset:12304
	ds_load_b128 v[41:44], v73 offset:12288
	s_waitcnt lgkmcnt(8)
	;; [unrolled: 4-line block ×3, first 2 shown]
	s_barrier
	buffer_gl0_inv
	v_wmma_f32_16x16x16_f16 v[76:83], v[1:8], v[108:115], v[76:83]
	s_delay_alu instid0(VALU_DEP_1) | instskip(NEXT) | instid1(VALU_DEP_1)
	v_wmma_f32_16x16x16_f16 v[76:83], v[9:16], v[116:123], v[76:83]
	v_wmma_f32_16x16x16_f16 v[76:83], v[17:24], v[49:56], v[76:83]
	s_delay_alu instid0(VALU_DEP_1) | instskip(NEXT) | instid1(VALU_DEP_1)
	v_wmma_f32_16x16x16_f16 v[76:83], v[25:32], v[41:48], v[76:83]
	v_wmma_f32_16x16x16_f16 v[76:83], v[57:64], v[33:40], v[76:83]
	s_delay_alu instid0(VALU_DEP_1) | instskip(NEXT) | instid1(VALU_DEP_2)
	v_cvt_f16_f32_e32 v1, v76
	v_cvt_f16_f32_e32 v2, v77
	s_delay_alu instid0(VALU_DEP_3) | instskip(NEXT) | instid1(VALU_DEP_4)
	v_cvt_f16_f32_e32 v3, v78
	v_cvt_f16_f32_e32 v4, v79
	;; [unrolled: 1-line block ×6, first 2 shown]
	v_pack_b32_f16 v1, v1, v2
	v_pack_b32_f16 v2, v3, v4
	;; [unrolled: 1-line block ×3, first 2 shown]
	s_delay_alu instid0(VALU_DEP_4)
	v_pack_b32_f16 v4, v7, v8
	ds_store_b128 v74, v[1:4]
	s_waitcnt lgkmcnt(0)
	s_barrier
	buffer_gl0_inv
	ds_load_b128 v[1:4], v75
	ds_load_b128 v[5:8], v75 offset:16
	s_waitcnt lgkmcnt(1)
	v_lshrrev_b32_e32 v9, 16, v1
	s_waitcnt lgkmcnt(0)
	v_lshrrev_b32_e32 v13, 16, v5
	v_lshrrev_b32_e32 v10, 16, v2
	;; [unrolled: 1-line block ×4, first 2 shown]
	v_cndmask_b32_e32 v17, v1, v9, vcc_lo
	v_cndmask_b32_e32 v18, v5, v13, vcc_lo
	v_cndmask_b32_e64 v21, v1, v9, s4
	v_cmp_eq_u32_e32 vcc_lo, 1, v71
	v_cndmask_b32_e64 v22, v5, v13, s4
	v_cmp_eq_u32_e64 s4, 2, v70
	v_cndmask_b32_e64 v19, v1, v9, s3
	v_cndmask_b32_e64 v20, v5, v13, s3
	v_cndmask_b32_e32 v1, v1, v9, vcc_lo
	v_cmp_eq_u32_e64 s3, 2, v71
	v_cndmask_b32_e32 v5, v5, v13, vcc_lo
	v_cndmask_b32_e64 v9, v17, v2, s4
	v_cmp_eq_u32_e32 vcc_lo, 3, v70
	v_cndmask_b32_e64 v13, v18, v6, s4
	v_cmp_eq_u32_e64 s4, 2, v69
	v_cndmask_b32_e64 v17, v19, v2, s5
	v_cndmask_b32_e64 v18, v20, v6, s5
	v_cmp_eq_u32_e64 s5, 3, v69
	v_cndmask_b32_e64 v1, v1, v2, s3
	v_cndmask_b32_e64 v19, v21, v2, s4
	;; [unrolled: 1-line block ×4, first 2 shown]
	v_cndmask_b32_e32 v5, v9, v10, vcc_lo
	v_cndmask_b32_e32 v6, v13, v14, vcc_lo
	v_cmp_eq_u32_e32 vcc_lo, 3, v71
	v_cndmask_b32_e64 v9, v17, v10, s6
	v_cndmask_b32_e64 v13, v18, v14, s6
	;; [unrolled: 1-line block ×3, first 2 shown]
	v_cmp_eq_u32_e64 s4, 4, v70
	v_cndmask_b32_e32 v1, v1, v10, vcc_lo
	v_cndmask_b32_e32 v2, v2, v14, vcc_lo
	v_cmp_eq_u32_e32 vcc_lo, 4, v72
	v_lshrrev_b32_e32 v15, 16, v7
	v_lshrrev_b32_e32 v16, 16, v8
	v_cndmask_b32_e64 v17, v19, v10, s5
	v_cmp_eq_u32_e64 s3, 4, v71
	v_cndmask_b32_e64 v5, v5, v3, s4
	v_cndmask_b32_e64 v6, v6, v7, s4
	v_cndmask_b32_e32 v9, v9, v3, vcc_lo
	v_cmp_eq_u32_e64 s4, 5, v72
	v_cndmask_b32_e32 v10, v13, v7, vcc_lo
	v_cmp_eq_u32_e32 vcc_lo, 4, v69
	v_cmp_eq_u32_e64 s5, 5, v70
	v_cndmask_b32_e64 v2, v2, v7, s3
	v_cndmask_b32_e64 v9, v9, v11, s4
	;; [unrolled: 1-line block ×3, first 2 shown]
	v_cndmask_b32_e32 v13, v17, v3, vcc_lo
	v_cmp_eq_u32_e64 s4, 5, v69
	v_cndmask_b32_e32 v14, v18, v7, vcc_lo
	v_cndmask_b32_e64 v1, v1, v3, s3
	v_cmp_eq_u32_e32 vcc_lo, 5, v71
	v_lshrrev_b32_e32 v12, 16, v4
	v_cndmask_b32_e64 v13, v13, v11, s4
	v_cndmask_b32_e64 v3, v14, v15, s4
	v_cmp_eq_u32_e64 s4, 6, v71
	v_cndmask_b32_e32 v1, v1, v11, vcc_lo
	v_cndmask_b32_e64 v5, v5, v11, s5
	v_cmp_eq_u32_e64 s6, 6, v70
	v_cndmask_b32_e64 v6, v6, v15, s5
	v_cmp_eq_u32_e64 s5, 6, v72
	v_cmp_eq_u32_e64 s3, 6, v69
	v_cndmask_b32_e64 v1, v1, v4, s4
	v_cndmask_b32_e32 v2, v2, v15, vcc_lo
	v_cmp_eq_u32_e32 vcc_lo, 7, v71
	v_cndmask_b32_e64 v5, v5, v4, s6
	v_cndmask_b32_e64 v9, v9, v4, s5
	;; [unrolled: 1-line block ×3, first 2 shown]
	v_cmp_eq_u32_e64 s6, 7, v70
	v_cndmask_b32_e32 v1, v1, v12, vcc_lo
	v_cndmask_b32_e64 v7, v13, v4, s3
	v_cndmask_b32_e64 v3, v3, v8, s3
	;; [unrolled: 1-line block ×3, first 2 shown]
	v_cmp_eq_u32_e64 s3, 7, v69
	v_cndmask_b32_e64 v4, v10, v8, s5
	v_cndmask_b32_e64 v5, v5, v12, s6
	;; [unrolled: 1-line block ×3, first 2 shown]
	v_cndmask_b32_e32 v2, v2, v16, vcc_lo
	v_cndmask_b32_e64 v7, v7, v12, s3
	v_cndmask_b32_e64 v3, v3, v16, s3
	;; [unrolled: 1-line block ×4, first 2 shown]
	v_perm_b32 v4, v2, v1, 0x5040100
	s_mov_b32 s3, exec_lo
	v_perm_b32 v3, v3, v7, 0x5040100
	v_perm_b32 v2, v8, v9, 0x5040100
	;; [unrolled: 1-line block ×3, first 2 shown]
	ds_store_b128 v74, v[1:4]
	s_waitcnt lgkmcnt(0)
	s_barrier
	buffer_gl0_inv
	v_cmpx_gt_u32_e32 32, v0
	s_cbranch_execz .LBB962_2
; %bb.15:
	s_load_b64 s[4:5], s[0:1], 0x68
	v_lshlrev_b32_e32 v0, 10, v0
	v_lshlrev_b32_e32 v1, 4, v67
	s_lshl_b32 s0, s35, 7
	v_add_nc_u32_e32 v18, s31, v66
	s_mul_i32 s1, s0, s34
	s_delay_alu instid0(VALU_DEP_2) | instskip(SKIP_1) | instid1(VALU_DEP_2)
	v_and_or_b32 v0, 0x3800, v0, v1
	s_mul_i32 s6, s1, s8
	v_mul_lo_u32 v1, v18, s0
	s_ashr_i32 s7, s6, 31
	v_add_nc_u32_e32 v2, 2, v18
	v_lshl_or_b32 v19, v66, 6, v0
	s_lshl_b64 s[6:7], s[6:7], 1
	v_add_nc_u32_e32 v8, 4, v18
	v_add_nc_u32_e32 v15, 6, v18
	v_mul_lo_u32 v7, v2, s0
	ds_load_b128 v[3:6], v19
	v_ashrrev_i32_e32 v2, 31, v1
	v_mul_lo_u32 v11, v8, s0
	s_waitcnt lgkmcnt(0)
	s_add_u32 s1, s4, s6
	s_addc_u32 s3, s5, s7
	s_lshl_b32 s4, s14, 7
	v_lshlrev_b64 v[9:10], 1, v[1:2]
	s_ashr_i32 s5, s4, 31
	v_ashrrev_i32_e32 v8, 31, v7
	s_lshl_b64 s[4:5], s[4:5], 1
	v_ashrrev_i32_e32 v12, 31, v11
	s_add_u32 s1, s1, s4
	s_addc_u32 s3, s3, s5
	v_add_co_u32 v1, s1, s1, v65
	s_delay_alu instid0(VALU_DEP_1) | instskip(SKIP_1) | instid1(VALU_DEP_3)
	v_add_co_ci_u32_e64 v2, null, s3, 0, s1
	v_mul_lo_u32 v15, v15, s0
	v_add_co_u32 v13, vcc_lo, v1, v9
	s_delay_alu instid0(VALU_DEP_3)
	v_add_co_ci_u32_e32 v14, vcc_lo, v2, v10, vcc_lo
	v_lshlrev_b64 v[16:17], 1, v[7:8]
	ds_load_b128 v[7:10], v19 offset:128
	global_store_b128 v[13:14], v[3:6], off
	v_add_nc_u32_e32 v5, 8, v18
	v_lshlrev_b64 v[3:4], 1, v[11:12]
	v_add_co_u32 v23, vcc_lo, v1, v16
	v_ashrrev_i32_e32 v16, 31, v15
	s_delay_alu instid0(VALU_DEP_4) | instskip(SKIP_3) | instid1(VALU_DEP_3)
	v_mul_lo_u32 v25, v5, s0
	v_add_nc_u32_e32 v5, 10, v18
	v_add_co_ci_u32_e32 v24, vcc_lo, v2, v17, vcc_lo
	v_add_co_u32 v27, vcc_lo, v1, v3
	v_mul_lo_u32 v29, v5, s0
	v_add_co_ci_u32_e32 v28, vcc_lo, v2, v4, vcc_lo
	v_lshlrev_b64 v[31:32], 1, v[15:16]
	ds_load_b128 v[3:6], v19 offset:256
	ds_load_b128 v[11:14], v19 offset:384
	;; [unrolled: 1-line block ×4, first 2 shown]
	v_ashrrev_i32_e32 v26, 31, v25
	v_ashrrev_i32_e32 v30, 31, v29
	v_add_co_u32 v31, vcc_lo, v1, v31
	s_delay_alu instid0(VALU_DEP_3) | instskip(SKIP_1) | instid1(VALU_DEP_4)
	v_lshlrev_b64 v[25:26], 1, v[25:26]
	v_add_co_ci_u32_e32 v32, vcc_lo, v2, v32, vcc_lo
	v_lshlrev_b64 v[29:30], 1, v[29:30]
	s_delay_alu instid0(VALU_DEP_3) | instskip(NEXT) | instid1(VALU_DEP_4)
	v_add_co_u32 v25, vcc_lo, v1, v25
	v_add_co_ci_u32_e32 v26, vcc_lo, v2, v26, vcc_lo
	s_delay_alu instid0(VALU_DEP_3) | instskip(NEXT) | instid1(VALU_DEP_4)
	v_add_co_u32 v29, vcc_lo, v1, v29
	v_add_co_ci_u32_e32 v30, vcc_lo, v2, v30, vcc_lo
	s_waitcnt lgkmcnt(4)
	global_store_b128 v[23:24], v[7:10], off
	s_waitcnt lgkmcnt(3)
	global_store_b128 v[27:28], v[3:6], off
	;; [unrolled: 2-line block ×5, first 2 shown]
	s_and_b32 exec_lo, exec_lo, s2
	s_cbranch_execz .LBB962_2
; %bb.16:
	ds_load_b128 v[3:6], v0 offset:768
	s_add_i32 s1, s31, 12
	s_delay_alu instid0(SALU_CYCLE_1) | instskip(NEXT) | instid1(SALU_CYCLE_1)
	s_mul_i32 s0, s1, s0
	s_ashr_i32 s1, s0, 31
	s_delay_alu instid0(SALU_CYCLE_1) | instskip(NEXT) | instid1(SALU_CYCLE_1)
	s_lshl_b64 s[0:1], s[0:1], 1
	v_add_co_u32 v0, vcc_lo, v1, s0
	v_add_co_ci_u32_e32 v1, vcc_lo, s1, v2, vcc_lo
	s_waitcnt lgkmcnt(0)
	global_store_b128 v[0:1], v[3:6], off
	s_nop 0
	s_sendmsg sendmsg(MSG_DEALLOC_VGPRS)
	s_endpgm
	.section	.rodata,"a",@progbits
	.p2align	6, 0x0
	.amdhsa_kernel _Z39paged_attention_ll4mi_QKV_mfma16_kernelIDF16_hLN4vllm18Fp8KVCacheDataTypeE1EhLi16ELi128ELi256ELb0ELi13EL8MFMAType1EEvPKT_PKT0_S8_ifPKiSA_SA_iPKfiiiPfSD_PS3_PT2_iSC_SC_
		.amdhsa_group_segment_fixed_size 17472
		.amdhsa_private_segment_fixed_size 0
		.amdhsa_kernarg_size 400
		.amdhsa_user_sgpr_count 13
		.amdhsa_user_sgpr_dispatch_ptr 0
		.amdhsa_user_sgpr_queue_ptr 0
		.amdhsa_user_sgpr_kernarg_segment_ptr 1
		.amdhsa_user_sgpr_dispatch_id 0
		.amdhsa_user_sgpr_private_segment_size 0
		.amdhsa_wavefront_size32 1
		.amdhsa_uses_dynamic_stack 0
		.amdhsa_enable_private_segment 0
		.amdhsa_system_sgpr_workgroup_id_x 1
		.amdhsa_system_sgpr_workgroup_id_y 1
		.amdhsa_system_sgpr_workgroup_id_z 1
		.amdhsa_system_sgpr_workgroup_info 0
		.amdhsa_system_vgpr_workitem_id 0
		.amdhsa_next_free_vgpr 150
		.amdhsa_next_free_sgpr 36
		.amdhsa_reserve_vcc 1
		.amdhsa_float_round_mode_32 0
		.amdhsa_float_round_mode_16_64 0
		.amdhsa_float_denorm_mode_32 3
		.amdhsa_float_denorm_mode_16_64 3
		.amdhsa_dx10_clamp 1
		.amdhsa_ieee_mode 1
		.amdhsa_fp16_overflow 0
		.amdhsa_workgroup_processor_mode 1
		.amdhsa_memory_ordered 1
		.amdhsa_forward_progress 0
		.amdhsa_shared_vgpr_count 0
		.amdhsa_exception_fp_ieee_invalid_op 0
		.amdhsa_exception_fp_denorm_src 0
		.amdhsa_exception_fp_ieee_div_zero 0
		.amdhsa_exception_fp_ieee_overflow 0
		.amdhsa_exception_fp_ieee_underflow 0
		.amdhsa_exception_fp_ieee_inexact 0
		.amdhsa_exception_int_div_zero 0
	.end_amdhsa_kernel
	.section	.text._Z39paged_attention_ll4mi_QKV_mfma16_kernelIDF16_hLN4vllm18Fp8KVCacheDataTypeE1EhLi16ELi128ELi256ELb0ELi13EL8MFMAType1EEvPKT_PKT0_S8_ifPKiSA_SA_iPKfiiiPfSD_PS3_PT2_iSC_SC_,"axG",@progbits,_Z39paged_attention_ll4mi_QKV_mfma16_kernelIDF16_hLN4vllm18Fp8KVCacheDataTypeE1EhLi16ELi128ELi256ELb0ELi13EL8MFMAType1EEvPKT_PKT0_S8_ifPKiSA_SA_iPKfiiiPfSD_PS3_PT2_iSC_SC_,comdat
.Lfunc_end962:
	.size	_Z39paged_attention_ll4mi_QKV_mfma16_kernelIDF16_hLN4vllm18Fp8KVCacheDataTypeE1EhLi16ELi128ELi256ELb0ELi13EL8MFMAType1EEvPKT_PKT0_S8_ifPKiSA_SA_iPKfiiiPfSD_PS3_PT2_iSC_SC_, .Lfunc_end962-_Z39paged_attention_ll4mi_QKV_mfma16_kernelIDF16_hLN4vllm18Fp8KVCacheDataTypeE1EhLi16ELi128ELi256ELb0ELi13EL8MFMAType1EEvPKT_PKT0_S8_ifPKiSA_SA_iPKfiiiPfSD_PS3_PT2_iSC_SC_
                                        ; -- End function
	.section	.AMDGPU.csdata,"",@progbits
; Kernel info:
; codeLenInByte = 6852
; NumSgprs: 38
; NumVgprs: 150
; ScratchSize: 0
; MemoryBound: 0
; FloatMode: 240
; IeeeMode: 1
; LDSByteSize: 17472 bytes/workgroup (compile time only)
; SGPRBlocks: 4
; VGPRBlocks: 18
; NumSGPRsForWavesPerEU: 38
; NumVGPRsForWavesPerEU: 150
; Occupancy: 9
; WaveLimiterHint : 1
; COMPUTE_PGM_RSRC2:SCRATCH_EN: 0
; COMPUTE_PGM_RSRC2:USER_SGPR: 13
; COMPUTE_PGM_RSRC2:TRAP_HANDLER: 0
; COMPUTE_PGM_RSRC2:TGID_X_EN: 1
; COMPUTE_PGM_RSRC2:TGID_Y_EN: 1
; COMPUTE_PGM_RSRC2:TGID_Z_EN: 1
; COMPUTE_PGM_RSRC2:TIDIG_COMP_CNT: 0
	.section	.text._Z39paged_attention_ll4mi_QKV_mfma16_kernelIDF16_hLN4vllm18Fp8KVCacheDataTypeE1EhLi16ELi128ELi256ELb0ELi14EL8MFMAType1EEvPKT_PKT0_S8_ifPKiSA_SA_iPKfiiiPfSD_PS3_PT2_iSC_SC_,"axG",@progbits,_Z39paged_attention_ll4mi_QKV_mfma16_kernelIDF16_hLN4vllm18Fp8KVCacheDataTypeE1EhLi16ELi128ELi256ELb0ELi14EL8MFMAType1EEvPKT_PKT0_S8_ifPKiSA_SA_iPKfiiiPfSD_PS3_PT2_iSC_SC_,comdat
	.protected	_Z39paged_attention_ll4mi_QKV_mfma16_kernelIDF16_hLN4vllm18Fp8KVCacheDataTypeE1EhLi16ELi128ELi256ELb0ELi14EL8MFMAType1EEvPKT_PKT0_S8_ifPKiSA_SA_iPKfiiiPfSD_PS3_PT2_iSC_SC_ ; -- Begin function _Z39paged_attention_ll4mi_QKV_mfma16_kernelIDF16_hLN4vllm18Fp8KVCacheDataTypeE1EhLi16ELi128ELi256ELb0ELi14EL8MFMAType1EEvPKT_PKT0_S8_ifPKiSA_SA_iPKfiiiPfSD_PS3_PT2_iSC_SC_
	.globl	_Z39paged_attention_ll4mi_QKV_mfma16_kernelIDF16_hLN4vllm18Fp8KVCacheDataTypeE1EhLi16ELi128ELi256ELb0ELi14EL8MFMAType1EEvPKT_PKT0_S8_ifPKiSA_SA_iPKfiiiPfSD_PS3_PT2_iSC_SC_
	.p2align	8
	.type	_Z39paged_attention_ll4mi_QKV_mfma16_kernelIDF16_hLN4vllm18Fp8KVCacheDataTypeE1EhLi16ELi128ELi256ELb0ELi14EL8MFMAType1EEvPKT_PKT0_S8_ifPKiSA_SA_iPKfiiiPfSD_PS3_PT2_iSC_SC_,@function
_Z39paged_attention_ll4mi_QKV_mfma16_kernelIDF16_hLN4vllm18Fp8KVCacheDataTypeE1EhLi16ELi128ELi256ELb0ELi14EL8MFMAType1EEvPKT_PKT0_S8_ifPKiSA_SA_iPKfiiiPfSD_PS3_PT2_iSC_SC_: ; @_Z39paged_attention_ll4mi_QKV_mfma16_kernelIDF16_hLN4vllm18Fp8KVCacheDataTypeE1EhLi16ELi128ELi256ELb0ELi14EL8MFMAType1EEvPKT_PKT0_S8_ifPKiSA_SA_iPKfiiiPfSD_PS3_PT2_iSC_SC_
; %bb.0:
	s_load_b64 s[4:5], s[0:1], 0x30
	s_mov_b32 s30, s13
	s_waitcnt lgkmcnt(0)
	s_cmp_lg_u64 s[4:5], 0
	s_cselect_b32 s8, -1, 0
	s_ashr_i32 s31, s13, 31
	s_cmp_eq_u64 s[4:5], 0
	s_cbranch_scc1 .LBB963_3
; %bb.1:
	s_lshl_b64 s[2:3], s[30:31], 2
	s_delay_alu instid0(SALU_CYCLE_1) | instskip(SKIP_4) | instid1(SALU_CYCLE_1)
	s_add_u32 s2, s4, s2
	s_addc_u32 s3, s5, s3
	s_load_b64 s[2:3], s[2:3], 0x0
	s_waitcnt lgkmcnt(0)
	s_sub_i32 s2, s3, s2
	s_cmp_eq_u32 s2, 1
	s_cselect_b32 s2, -1, 0
	s_delay_alu instid0(SALU_CYCLE_1)
	s_and_not1_b32 vcc_lo, exec_lo, s2
	s_cbranch_vccz .LBB963_4
.LBB963_2:
	s_endpgm
.LBB963_3:
.LBB963_4:
	s_load_b64 s[2:3], s[0:1], 0x28
	s_lshl_b64 s[6:7], s[30:31], 2
	s_waitcnt lgkmcnt(0)
	s_add_u32 s2, s2, s6
	s_addc_u32 s3, s3, s7
	s_lshl_b32 s12, s14, 8
	s_load_b32 s24, s[2:3], 0x0
	s_waitcnt lgkmcnt(0)
	s_cmp_ge_i32 s12, s24
	s_cbranch_scc1 .LBB963_2
; %bb.5:
	s_clause 0x1
	s_load_b128 s[20:23], s[0:1], 0x8
	s_load_b64 s[2:3], s[0:1], 0x20
	s_and_not1_b32 vcc_lo, exec_lo, s8
	s_cbranch_vccnz .LBB963_7
; %bb.6:
	s_add_u32 s4, s4, s6
	s_addc_u32 s5, s5, s7
	s_load_b32 s5, s[4:5], 0x0
	s_branch .LBB963_8
.LBB963_7:
	s_mov_b32 s5, s30
.LBB963_8:
	s_load_b128 s[16:19], s[0:1], 0x48
	v_and_b32_e32 v68, 15, v0
	v_lshrrev_b32_e32 v69, 5, v0
	v_and_b32_e32 v70, 31, v0
	v_and_b32_e32 v67, 1, v0
	v_bfe_u32 v66, v0, 4, 1
	v_lshlrev_b32_e32 v1, 3, v68
	s_mul_i32 s31, s15, 14
	s_mov_b32 s4, exec_lo
	s_delay_alu instid0(VALU_DEP_1)
	v_lshlrev_b32_e32 v65, 1, v1
	v_cmpx_gt_u32_e32 0xe0, v0
	s_cbranch_execz .LBB963_10
; %bb.9:
	s_load_b64 s[6:7], s[0:1], 0x0
	v_lshl_or_b32 v5, v69, 1, v66
	s_waitcnt lgkmcnt(0)
	s_mul_hi_i32 s9, s5, s16
	s_mul_i32 s8, s5, s16
	v_lshlrev_b32_e32 v6, 10, v68
	s_lshl_b64 s[8:9], s[8:9], 1
	v_add_lshl_u32 v1, v5, s31, 7
	v_lshlrev_b32_e32 v5, 6, v5
	v_lshlrev_b32_e32 v7, 10, v67
	v_and_b32_e32 v6, 0x3800, v6
	s_delay_alu instid0(VALU_DEP_4) | instskip(NEXT) | instid1(VALU_DEP_2)
	v_ashrrev_i32_e32 v2, 31, v1
	v_or3_b32 v5, v6, v7, v5
	s_delay_alu instid0(VALU_DEP_2) | instskip(SKIP_2) | instid1(VALU_DEP_1)
	v_lshlrev_b64 v[1:2], 1, v[1:2]
	s_add_u32 s5, s6, s8
	s_addc_u32 s6, s7, s9
	v_add_co_u32 v1, vcc_lo, s5, v1
	s_delay_alu instid0(VALU_DEP_2) | instskip(NEXT) | instid1(VALU_DEP_2)
	v_add_co_ci_u32_e32 v2, vcc_lo, s6, v2, vcc_lo
	v_add_co_u32 v1, vcc_lo, v1, v65
	s_delay_alu instid0(VALU_DEP_2)
	v_add_co_ci_u32_e32 v2, vcc_lo, 0, v2, vcc_lo
	global_load_b128 v[1:4], v[1:2], off
	s_waitcnt vmcnt(0)
	ds_store_b128 v5, v[1:4]
.LBB963_10:
	s_or_b32 exec_lo, exec_lo, s4
	v_and_b32_e32 v1, 0xef, v0
	s_waitcnt lgkmcnt(0)
	s_add_i32 s5, s24, 15
	s_clause 0x1
	s_load_b32 s4, s[0:1], 0x38
	s_load_b32 s33, s[0:1], 0x98
	s_ashr_i32 s6, s5, 31
	v_add_nc_u32_e32 v1, s12, v1
	s_lshr_b32 s6, s6, 28
	s_load_b32 s19, s[0:1], 0x1c
	s_add_i32 s5, s5, s6
	s_waitcnt lgkmcnt(0)
	v_ashrrev_i32_e32 v2, 31, v1
	v_or_b32_e32 v3, 16, v1
	s_ashr_i32 s13, s5, 4
	v_cmp_gt_i32_e32 vcc_lo, s24, v1
	s_add_i32 s13, s13, -1
	v_lshrrev_b32_e32 v2, 28, v2
	s_barrier
	buffer_gl0_inv
	s_mul_i32 s15, s15, s18
	v_add_nc_u32_e32 v4, v1, v2
	s_mul_i32 s4, s30, s4
	s_delay_alu instid0(SALU_CYCLE_1) | instskip(NEXT) | instid1(VALU_DEP_1)
	s_ashr_i32 s5, s4, 31
	v_ashrrev_i32_e32 v4, 4, v4
	v_add_nc_u32_e32 v2, v3, v2
	s_lshl_b64 s[4:5], s[4:5], 2
	s_delay_alu instid0(SALU_CYCLE_1) | instskip(NEXT) | instid1(VALU_DEP_2)
	s_add_u32 s16, s2, s4
	v_cndmask_b32_e32 v1, s13, v4, vcc_lo
	s_delay_alu instid0(VALU_DEP_2)
	v_ashrrev_i32_e32 v2, 4, v2
	v_cmp_gt_i32_e32 vcc_lo, s24, v3
	s_addc_u32 s25, s3, s5
	s_ashr_i32 s18, s15, 31
	s_add_u32 s26, s20, s15
	s_addc_u32 s27, s21, s18
	v_cndmask_b32_e32 v3, s13, v2, vcc_lo
	v_ashrrev_i32_e32 v2, 31, v1
	s_lshl_b32 s2, s14, 4
	s_delay_alu instid0(SALU_CYCLE_1) | instskip(NEXT) | instid1(VALU_DEP_2)
	s_ashr_i32 s3, s2, 31
	v_ashrrev_i32_e32 v4, 31, v3
	s_delay_alu instid0(VALU_DEP_2) | instskip(SKIP_1) | instid1(SALU_CYCLE_1)
	v_lshlrev_b64 v[1:2], 2, v[1:2]
	s_lshl_b64 s[2:3], s[2:3], 2
	s_add_u32 s2, s16, s2
	s_delay_alu instid0(VALU_DEP_2) | instskip(SKIP_1) | instid1(VALU_DEP_2)
	v_lshlrev_b64 v[3:4], 2, v[3:4]
	s_addc_u32 s3, s25, s3
	v_add_co_u32 v1, vcc_lo, s16, v1
	v_add_co_ci_u32_e32 v2, vcc_lo, s25, v2, vcc_lo
	s_delay_alu instid0(VALU_DEP_3) | instskip(NEXT) | instid1(VALU_DEP_4)
	v_add_co_u32 v3, vcc_lo, s16, v3
	v_add_co_ci_u32_e32 v4, vcc_lo, s25, v4, vcc_lo
	s_clause 0x1
	global_load_b32 v5, v[1:2], off
	global_load_b32 v7, v[3:4], off
	s_or_b32 s4, s12, 32
	v_lshlrev_b32_e32 v1, 4, v0
	s_ashr_i32 s5, s4, 4
	s_cmp_lt_i32 s4, s24
	v_cmp_gt_u32_e32 vcc_lo, 14, v68
	s_cselect_b32 s4, s5, s13
	v_and_b32_e32 v1, 0xf0, v1
	s_ashr_i32 s5, s4, 31
	s_delay_alu instid0(SALU_CYCLE_1) | instskip(NEXT) | instid1(SALU_CYCLE_1)
	s_lshl_b64 s[4:5], s[4:5], 2
	s_add_u32 s4, s16, s4
	s_addc_u32 s5, s25, s5
	s_or_b32 s6, s12, 64
	v_add_co_u32 v1, s26, s26, v1
	s_ashr_i32 s7, s6, 4
	s_cmp_lt_i32 s6, s24
	v_add_co_ci_u32_e64 v2, null, s27, 0, s26
	s_cselect_b32 s6, s7, s13
	s_delay_alu instid0(SALU_CYCLE_1) | instskip(NEXT) | instid1(SALU_CYCLE_1)
	s_ashr_i32 s7, s6, 31
	s_lshl_b64 s[6:7], s[6:7], 2
	s_delay_alu instid0(SALU_CYCLE_1) | instskip(SKIP_2) | instid1(SALU_CYCLE_1)
	s_add_u32 s6, s16, s6
	s_addc_u32 s7, s25, s7
	s_or_b32 s8, s12, 0x60
	s_ashr_i32 s9, s8, 4
	s_cmp_lt_i32 s8, s24
	s_cselect_b32 s8, s9, s13
	s_delay_alu instid0(SALU_CYCLE_1) | instskip(NEXT) | instid1(SALU_CYCLE_1)
	s_ashr_i32 s9, s8, 31
	s_lshl_b64 s[8:9], s[8:9], 2
	s_delay_alu instid0(SALU_CYCLE_1) | instskip(SKIP_2) | instid1(SALU_CYCLE_1)
	s_add_u32 s8, s16, s8
	s_addc_u32 s9, s25, s9
	s_or_b32 s10, s12, 0x80
	s_ashr_i32 s11, s10, 4
	s_cmp_lt_i32 s10, s24
	;; [unrolled: 10-line block ×3, first 2 shown]
	s_cselect_b32 s20, s21, s13
	s_delay_alu instid0(SALU_CYCLE_1) | instskip(NEXT) | instid1(SALU_CYCLE_1)
	s_ashr_i32 s21, s20, 31
	s_lshl_b64 s[20:21], s[20:21], 2
	s_delay_alu instid0(SALU_CYCLE_1)
	s_add_u32 s20, s16, s20
	s_addc_u32 s21, s25, s21
	s_clause 0x5
	s_load_b32 s26, s[2:3], 0x0
	s_load_b32 s27, s[4:5], 0x0
	;; [unrolled: 1-line block ×6, first 2 shown]
	s_or_b32 s2, s12, 0xc0
	s_mov_b32 s4, 0
	s_ashr_i32 s3, s2, 4
	s_cmp_lt_i32 s2, s24
	s_mov_b32 s11, s4
	s_cselect_b32 s2, s3, s13
	s_mov_b32 s5, s4
	s_ashr_i32 s3, s2, 31
	s_mov_b32 s6, s4
	s_lshl_b64 s[2:3], s[2:3], 2
	s_mov_b32 s7, s4
	s_add_u32 s2, s16, s2
	s_addc_u32 s3, s25, s3
	s_or_b32 s20, s12, 0xe0
	s_mov_b32 s8, s4
	s_ashr_i32 s21, s20, 4
	s_cmp_lt_i32 s20, s24
	s_mov_b32 s9, s4
	s_cselect_b32 s20, s21, s13
	s_mov_b32 s10, s4
	s_ashr_i32 s21, s20, 31
	v_mov_b32_e32 v118, s11
	v_dual_mov_b32 v112, s5 :: v_dual_mov_b32 v117, s10
	v_dual_mov_b32 v116, s9 :: v_dual_mov_b32 v115, s8
	;; [unrolled: 1-line block ×3, first 2 shown]
	v_mov_b32_e32 v111, s4
	s_lshl_b64 s[4:5], s[20:21], 2
	s_delay_alu instid0(SALU_CYCLE_1)
	s_add_u32 s4, s16, s4
	s_addc_u32 s5, s25, s5
	s_add_u32 s6, s22, s15
	s_addc_u32 s7, s23, s18
	s_waitcnt vmcnt(1)
	v_mad_i64_i32 v[3:4], null, v5, s17, v[1:2]
	s_waitcnt vmcnt(0)
	v_mad_i64_i32 v[5:6], null, v7, s17, v[1:2]
	v_add_nc_u32_e32 v1, -14, v68
	v_lshlrev_b32_e32 v2, 4, v68
	s_clause 0xf
	global_load_b128 v[17:20], v[3:4], off
	global_load_b128 v[21:24], v[3:4], off offset:256
	global_load_b128 v[25:28], v[5:6], off
	global_load_b128 v[29:32], v[5:6], off offset:256
	global_load_b128 v[57:60], v[3:4], off offset:512
	;; [unrolled: 1-line block ×13, first 2 shown]
	v_cndmask_b32_e32 v1, v1, v68, vcc_lo
	s_delay_alu instid0(VALU_DEP_1)
	v_lshlrev_b32_e32 v149, 6, v1
	v_lshl_or_b32 v1, v69, 8, v2
	ds_load_b128 v[119:122], v149
	ds_load_b128 v[123:126], v149 offset:1024
	ds_load_b128 v[127:130], v149 offset:2048
	;; [unrolled: 1-line block ×3, first 2 shown]
	s_clause 0x1
	s_load_b32 s2, s[2:3], 0x0
	s_load_b32 s3, s[4:5], 0x0
	v_add_co_u32 v135, s6, s6, v1
	s_delay_alu instid0(VALU_DEP_1) | instskip(SKIP_1) | instid1(VALU_DEP_1)
	v_add_co_ci_u32_e64 v136, null, s7, 0, s6
	s_waitcnt lgkmcnt(0)
	v_mad_i64_i32 v[1:2], null, s26, s17, v[135:136]
	v_mad_i64_i32 v[3:4], null, s27, s17, v[135:136]
	;; [unrolled: 1-line block ×6, first 2 shown]
	s_clause 0x9
	global_load_b128 v[49:52], v[1:2], off
	global_load_b128 v[53:56], v[1:2], off offset:16
	global_load_b128 v[41:44], v[3:4], off
	global_load_b128 v[45:48], v[3:4], off offset:16
	;; [unrolled: 2-line block ×5, first 2 shown]
	v_mad_i64_i32 v[145:146], null, s2, s17, v[135:136]
	v_mad_i64_i32 v[147:148], null, s3, s17, v[135:136]
	s_waitcnt vmcnt(24)
	v_wmma_f32_16x16x16_f16 v[135:142], v[17:24], v[119:126], v[111:118]
	s_waitcnt vmcnt(22)
	v_wmma_f32_16x16x16_f16 v[111:118], v[25:32], v[119:126], v[111:118]
	s_clause 0x3
	global_load_b128 v[17:20], v[143:144], off
	global_load_b128 v[21:24], v[143:144], off offset:16
	global_load_b128 v[25:28], v[145:146], off
	global_load_b128 v[29:32], v[145:146], off offset:16
	v_and_b32_e32 v119, 0xe0, v0
	s_waitcnt vmcnt(24)
	v_wmma_f32_16x16x16_f16 v[135:142], v[57:64], v[127:134], v[135:142]
	s_clause 0x1
	global_load_b128 v[57:60], v[147:148], off
	global_load_b128 v[61:64], v[147:148], off offset:16
	s_waitcnt vmcnt(24)
	v_wmma_f32_16x16x16_f16 v[111:118], v[71:78], v[127:134], v[111:118]
	ds_load_b128 v[71:74], v149 offset:4096
	ds_load_b128 v[75:78], v149 offset:5120
	v_add_nc_u32_e32 v128, s12, v119
	ds_load_b128 v[119:122], v149 offset:6144
	ds_load_b128 v[123:126], v149 offset:7168
	v_mbcnt_lo_u32_b32 v127, -1, 0
	s_waitcnt vmcnt(0) lgkmcnt(0)
	s_barrier
	v_or_b32_e32 v128, v128, v66
	buffer_gl0_inv
	v_xor_b32_e32 v129, 16, v127
	v_or_b32_e32 v130, 4, v128
	v_or_b32_e32 v131, 6, v128
	s_delay_alu instid0(VALU_DEP_3) | instskip(SKIP_4) | instid1(VALU_DEP_4)
	v_cmp_gt_i32_e32 vcc_lo, 32, v129
	v_or_b32_e32 v132, 8, v128
	v_or_b32_e32 v133, 10, v128
	v_cmp_gt_i32_e64 s3, s24, v130
	v_cmp_gt_i32_e64 s4, s24, v131
	v_cmp_gt_i32_e64 s5, s24, v132
	v_wmma_f32_16x16x16_f16 v[135:142], v[79:86], v[71:78], v[135:142]
	v_wmma_f32_16x16x16_f16 v[111:118], v[87:94], v[71:78], v[111:118]
	v_or_b32_e32 v79, 12, v128
	v_or_b32_e32 v80, 14, v128
	v_cmp_gt_i32_e64 s6, s24, v133
	v_wmma_f32_16x16x16_f16 v[135:142], v[95:102], v[119:126], v[135:142]
	v_wmma_f32_16x16x16_f16 v[111:118], v[103:110], v[119:126], v[111:118]
	v_cndmask_b32_e32 v127, v127, v129, vcc_lo
	v_or_b32_e32 v129, 2, v128
	v_cmp_gt_i32_e32 vcc_lo, s24, v128
	v_mul_f32_e32 v88, s19, v135
	v_dual_mul_f32 v92, s19, v115 :: v_dual_mul_f32 v87, s19, v136
	s_delay_alu instid0(VALU_DEP_4)
	v_cmp_gt_i32_e64 s2, s24, v129
	v_mul_f32_e32 v78, s19, v138
	v_mul_f32_e32 v86, s19, v137
	v_cndmask_b32_e32 v88, 0xff7fffff, v88, vcc_lo
	v_mul_f32_e32 v76, s19, v140
	v_cndmask_b32_e64 v87, 0xff7fffff, v87, s2
	v_dual_mul_f32 v77, s19, v139 :: v_dual_mul_f32 v94, s19, v113
	v_cndmask_b32_e64 v86, 0xff7fffff, v86, s3
	v_cndmask_b32_e64 v78, 0xff7fffff, v78, s4
	s_delay_alu instid0(VALU_DEP_4)
	v_max3_f32 v87, v88, 0xff7fffff, v87
	v_or_b32_e32 v81, 16, v128
	v_or_b32_e32 v82, 18, v128
	v_dual_mul_f32 v74, s19, v142 :: v_dual_mul_f32 v75, s19, v141
	v_mul_f32_e32 v96, s19, v111
	v_cndmask_b32_e64 v77, 0xff7fffff, v77, s5
	v_cndmask_b32_e64 v76, 0xff7fffff, v76, s6
	v_max3_f32 v78, v87, v86, v78
	v_cmp_gt_i32_e64 s7, s24, v79
	v_cmp_gt_i32_e64 s8, s24, v80
	v_or_b32_e32 v83, 20, v128
	v_or_b32_e32 v84, 22, v128
	v_mul_f32_e32 v95, s19, v112
	v_cndmask_b32_e64 v75, 0xff7fffff, v75, s7
	v_cndmask_b32_e64 v74, 0xff7fffff, v74, s8
	v_max3_f32 v76, v78, v77, v76
	v_cmp_gt_i32_e64 s9, s24, v81
	v_cmp_gt_i32_e64 s10, s24, v82
	v_or_b32_e32 v85, 24, v128
	v_or_b32_e32 v71, 26, v128
	;; [unrolled: 8-line block ×3, first 2 shown]
	v_mul_f32_e32 v91, s19, v116
	v_cndmask_b32_e64 v75, 0xff7fffff, v94, s11
	v_cndmask_b32_e64 v76, 0xff7fffff, v93, s12
	v_max3_f32 v74, v74, v77, v78
	v_cmp_gt_i32_e64 s13, s24, v85
	v_cmp_gt_i32_e64 s15, s24, v71
	v_dual_mul_f32 v89, s19, v118 :: v_dual_mul_f32 v90, s19, v117
	s_delay_alu instid0(VALU_DEP_4) | instskip(NEXT) | instid1(VALU_DEP_4)
	v_max3_f32 v74, v74, v75, v76
	v_cndmask_b32_e64 v77, 0xff7fffff, v92, s13
	s_delay_alu instid0(VALU_DEP_4) | instskip(SKIP_2) | instid1(VALU_DEP_3)
	v_cndmask_b32_e64 v71, 0xff7fffff, v91, s15
	v_cmp_gt_i32_e64 s16, s24, v72
	v_cmp_gt_i32_e64 s17, s24, v73
	v_max3_f32 v71, v74, v77, v71
	s_delay_alu instid0(VALU_DEP_3) | instskip(NEXT) | instid1(VALU_DEP_3)
	v_cndmask_b32_e64 v72, 0xff7fffff, v90, s16
	v_cndmask_b32_e64 v73, 0xff7fffff, v89, s17
	v_lshlrev_b32_e32 v74, 2, v127
	s_delay_alu instid0(VALU_DEP_2) | instskip(SKIP_3) | instid1(VALU_DEP_1)
	v_max3_f32 v71, v71, v72, v73
	ds_bpermute_b32 v72, v74, v71
	s_waitcnt lgkmcnt(0)
	v_max_f32_e32 v72, v72, v72
	v_max_f32_e32 v71, v71, v72
	s_delay_alu instid0(VALU_DEP_1) | instskip(SKIP_4) | instid1(VALU_DEP_4)
	v_fma_f32 v72, s19, v135, -v71
	v_fma_f32 v73, s19, v136, -v71
	;; [unrolled: 1-line block ×5, first 2 shown]
	v_dual_mul_f32 v72, 0x3fb8aa3b, v72 :: v_dual_mul_f32 v73, 0x3fb8aa3b, v73
	v_fma_f32 v80, s19, v141, -v71
	s_delay_alu instid0(VALU_DEP_3) | instskip(NEXT) | instid1(VALU_DEP_3)
	v_dual_mul_f32 v76, 0x3fb8aa3b, v76 :: v_dual_mul_f32 v77, 0x3fb8aa3b, v77
	v_exp_f32_e32 v72, v72
	s_delay_alu instid0(VALU_DEP_3) | instskip(NEXT) | instid1(VALU_DEP_2)
	v_exp_f32_e32 v73, v73
	v_mul_f32_e32 v82, 0x3fb8aa3b, v80
	s_delay_alu instid0(VALU_DEP_2) | instskip(SKIP_1) | instid1(VALU_DEP_1)
	v_exp_f32_e32 v76, v76
	v_exp_f32_e32 v77, v77
	;; [unrolled: 1-line block ×3, first 2 shown]
	v_cndmask_b32_e32 v79, 0, v72, vcc_lo
	v_fma_f32 v72, s19, v140, -v71
	v_mul_f32_e32 v75, 0x3fb8aa3b, v75
	v_cndmask_b32_e64 v78, 0, v73, s2
	s_delay_alu instid0(TRANS32_DEP_3) | instskip(NEXT) | instid1(VALU_DEP_4)
	v_cndmask_b32_e64 v80, 0, v76, s4
	v_dual_add_f32 v73, 0, v79 :: v_dual_mul_f32 v72, 0x3fb8aa3b, v72
	s_delay_alu instid0(VALU_DEP_4) | instskip(NEXT) | instid1(TRANS32_DEP_3)
	v_exp_f32_e32 v75, v75
	v_cndmask_b32_e64 v83, 0, v77, s5
	s_delay_alu instid0(TRANS32_DEP_2) | instskip(NEXT) | instid1(VALU_DEP_3)
	v_cndmask_b32_e64 v85, 0, v84, s7
	v_add_f32_e32 v73, v73, v78
	v_exp_f32_e32 v72, v72
	s_mov_b32 s2, exec_lo
	s_waitcnt_depctr 0xfff
	v_cndmask_b32_e64 v81, 0, v75, s3
	v_cndmask_b32_e64 v82, 0, v72, s6
	s_delay_alu instid0(VALU_DEP_2) | instskip(NEXT) | instid1(VALU_DEP_1)
	v_add_f32_e32 v73, v73, v81
	v_add_f32_e32 v73, v73, v80
	s_delay_alu instid0(VALU_DEP_1) | instskip(NEXT) | instid1(VALU_DEP_1)
	v_add_f32_e32 v72, v73, v83
	v_add_f32_e32 v72, v72, v82
	s_delay_alu instid0(VALU_DEP_1)
	v_add_f32_e32 v72, v72, v85
	v_fma_f32 v76, s19, v111, -v71
	v_fma_f32 v75, s19, v142, -v71
	;; [unrolled: 1-line block ×5, first 2 shown]
	v_mul_f32_e32 v76, 0x3fb8aa3b, v76
	s_delay_alu instid0(VALU_DEP_4) | instskip(NEXT) | instid1(VALU_DEP_2)
	v_mul_f32_e32 v86, 0x3fb8aa3b, v86
	v_exp_f32_e32 v76, v76
	s_delay_alu instid0(VALU_DEP_1)
	v_exp_f32_e32 v88, v86
	s_waitcnt_depctr 0xfff
	v_cndmask_b32_e64 v87, 0, v76, s9
	v_fma_f32 v76, s19, v116, -v71
	v_mul_f32_e32 v75, 0x3fb8aa3b, v75
	v_cndmask_b32_e64 v88, 0, v88, s12
	s_delay_alu instid0(VALU_DEP_3) | instskip(NEXT) | instid1(VALU_DEP_3)
	v_dual_mul_f32 v73, 0x3fb8aa3b, v73 :: v_dual_mul_f32 v76, 0x3fb8aa3b, v76
	v_exp_f32_e32 v75, v75
	s_delay_alu instid0(VALU_DEP_1) | instskip(NEXT) | instid1(VALU_DEP_1)
	v_exp_f32_e32 v73, v73
	v_exp_f32_e32 v76, v76
	s_delay_alu instid0(TRANS32_DEP_3)
	v_cndmask_b32_e64 v84, 0, v75, s8
	v_fma_f32 v75, s19, v115, -v71
	s_waitcnt_depctr 0xfff
	v_cndmask_b32_e64 v89, 0, v73, s11
	v_cndmask_b32_e64 v90, 0, v76, s15
	v_add_f32_e32 v72, v72, v84
	s_delay_alu instid0(VALU_DEP_1) | instskip(NEXT) | instid1(VALU_DEP_1)
	v_dual_add_f32 v72, v72, v87 :: v_dual_mul_f32 v77, 0x3fb8aa3b, v77
	v_exp_f32_e32 v77, v77
	s_waitcnt_depctr 0xfff
	v_cndmask_b32_e64 v86, 0, v77, s10
	v_fma_f32 v77, s19, v117, -v71
	s_delay_alu instid0(VALU_DEP_2) | instskip(NEXT) | instid1(VALU_DEP_1)
	v_dual_add_f32 v72, v72, v86 :: v_dual_mul_f32 v75, 0x3fb8aa3b, v75
	v_add_f32_e32 v72, v72, v89
	s_delay_alu instid0(VALU_DEP_2) | instskip(NEXT) | instid1(VALU_DEP_1)
	v_exp_f32_e32 v75, v75
	v_add_f32_e32 v72, v72, v88
	s_waitcnt_depctr 0xfff
	v_cndmask_b32_e64 v91, 0, v75, s13
	v_mul_f32_e32 v73, 0x3fb8aa3b, v77
	v_fma_f32 v77, s19, v118, -v71
	s_delay_alu instid0(VALU_DEP_3) | instskip(NEXT) | instid1(VALU_DEP_3)
	v_add_f32_e32 v72, v72, v91
	v_exp_f32_e32 v73, v73
	s_delay_alu instid0(VALU_DEP_1) | instskip(NEXT) | instid1(VALU_DEP_1)
	v_dual_mul_f32 v75, 0x3fb8aa3b, v77 :: v_dual_add_f32 v72, v72, v90
	v_exp_f32_e32 v75, v75
	s_waitcnt_depctr 0xfff
	v_cndmask_b32_e64 v93, 0, v73, s16
	s_delay_alu instid0(VALU_DEP_1) | instskip(SKIP_1) | instid1(VALU_DEP_1)
	v_add_f32_e32 v72, v72, v93
	v_cndmask_b32_e64 v92, 0, v75, s17
	v_add_f32_e32 v72, v72, v92
	ds_bpermute_b32 v73, v74, v72
	v_cmpx_gt_u32_e32 16, v70
	s_cbranch_execz .LBB963_12
; %bb.11:
	v_mul_u32_u24_e32 v70, 0x44, v69
	s_waitcnt lgkmcnt(0)
	v_add_f32_e32 v72, v72, v73
	s_delay_alu instid0(VALU_DEP_2) | instskip(NEXT) | instid1(VALU_DEP_1)
	v_lshl_add_u32 v70, v68, 2, v70
	v_add_nc_u32_e32 v70, 0x4000, v70
	ds_store_2addr_b32 v70, v71, v72 offset1:136
.LBB963_12:
	s_or_b32 exec_lo, exec_lo, s2
	v_lshlrev_b32_e32 v70, 2, v68
	s_load_b32 s34, s[0:1], 0x94
	s_waitcnt lgkmcnt(0)
	s_barrier
	buffer_gl0_inv
	v_add_nc_u32_e32 v98, 0x4000, v70
	v_cmp_eq_u32_e32 vcc_lo, 1, v69
	v_cmp_eq_u32_e64 s2, 2, v69
	v_cmp_eq_u32_e64 s3, 3, v69
	;; [unrolled: 1-line block ×3, first 2 shown]
	ds_load_2addr_b32 v[70:71], v98 offset1:17
	ds_load_2addr_b32 v[72:73], v98 offset0:34 offset1:51
	ds_load_2addr_b32 v[74:75], v98 offset0:68 offset1:85
	;; [unrolled: 1-line block ×3, first 2 shown]
	v_cmp_eq_u32_e64 s5, 5, v69
	v_cmp_eq_u32_e64 s6, 7, v69
	s_waitcnt lgkmcnt(3)
	v_max3_f32 v76, v70, 0xff7fffff, v71
	s_waitcnt lgkmcnt(2)
	s_delay_alu instid0(VALU_DEP_1) | instskip(SKIP_1) | instid1(VALU_DEP_1)
	v_max3_f32 v76, v76, v72, v73
	s_waitcnt lgkmcnt(1)
	v_max3_f32 v76, v76, v74, v75
	s_waitcnt lgkmcnt(0)
	s_delay_alu instid0(VALU_DEP_1) | instskip(NEXT) | instid1(VALU_DEP_1)
	v_max3_f32 v76, v76, v94, v95
	v_sub_f32_e32 v77, v71, v76
	ds_load_2addr_b32 v[96:97], v98 offset0:136 offset1:153
	v_sub_f32_e32 v74, v74, v76
	v_sub_f32_e32 v70, v70, v76
	;; [unrolled: 1-line block ×3, first 2 shown]
	v_dual_sub_f32 v72, v72, v76 :: v_dual_mul_f32 v77, 0x3fb8aa3b, v77
	s_delay_alu instid0(VALU_DEP_4) | instskip(NEXT) | instid1(VALU_DEP_4)
	v_mul_f32_e32 v103, 0x3fb8aa3b, v74
	v_mul_f32_e32 v99, 0x3fb8aa3b, v70
	ds_load_2addr_b32 v[70:71], v98 offset0:170 offset1:187
	v_dual_mul_f32 v101, 0x3fb8aa3b, v72 :: v_dual_mul_f32 v94, 0x3fb8aa3b, v94
	v_exp_f32_e32 v102, v77
	v_exp_f32_e32 v99, v99
	s_delay_alu instid0(VALU_DEP_1) | instskip(NEXT) | instid1(VALU_DEP_1)
	v_exp_f32_e32 v101, v101
	v_exp_f32_e32 v94, v94
	s_waitcnt lgkmcnt(1)
	s_delay_alu instid0(TRANS32_DEP_3)
	v_fma_f32 v77, v99, v96, 0
	v_sub_f32_e32 v100, v73, v76
	ds_load_2addr_b32 v[72:73], v98 offset0:204 offset1:221
	v_fmac_f32_e32 v77, v102, v97
	v_exp_f32_e32 v97, v103
	s_waitcnt lgkmcnt(1)
	s_delay_alu instid0(VALU_DEP_1)
	v_dual_fmac_f32 v77, v101, v70 :: v_dual_sub_f32 v96, v75, v76
	ds_load_2addr_b32 v[74:75], v98 offset0:238 offset1:255
	v_sub_f32_e32 v70, v95, v76
	s_waitcnt lgkmcnt(0)
	s_barrier
	v_mul_f32_e32 v96, 0x3fb8aa3b, v96
	buffer_gl0_inv
	v_exp_f32_e32 v95, v96
	v_mul_f32_e32 v100, 0x3fb8aa3b, v100
	s_delay_alu instid0(VALU_DEP_1) | instskip(SKIP_3) | instid1(VALU_DEP_2)
	v_exp_f32_e32 v100, v100
	s_waitcnt_depctr 0xfff
	v_dual_fmac_f32 v77, v100, v71 :: v_dual_mul_f32 v70, 0x3fb8aa3b, v70
	v_cndmask_b32_e32 v71, v99, v102, vcc_lo
	v_fmac_f32_e32 v77, v97, v72
	s_delay_alu instid0(VALU_DEP_3) | instskip(NEXT) | instid1(VALU_DEP_1)
	v_exp_f32_e32 v96, v70
	v_fmac_f32_e32 v77, v95, v73
	s_delay_alu instid0(VALU_DEP_1) | instskip(SKIP_2) | instid1(VALU_DEP_1)
	v_fmac_f32_e32 v77, v94, v74
	s_waitcnt_depctr 0xfff
	v_fmac_f32_e32 v77, v96, v75
	v_add_f32_e32 v74, 0x358637bd, v77
	s_delay_alu instid0(VALU_DEP_1) | instskip(SKIP_1) | instid1(VALU_DEP_2)
	v_div_scale_f32 v98, null, v74, v74, 1.0
	v_div_scale_f32 v99, vcc_lo, 1.0, v74, 1.0
	v_rcp_f32_e32 v103, v98
	s_waitcnt_depctr 0xfff
	v_fma_f32 v70, -v98, v103, 1.0
	s_delay_alu instid0(VALU_DEP_1) | instskip(SKIP_2) | instid1(VALU_DEP_2)
	v_fmac_f32_e32 v103, v70, v103
	v_cndmask_b32_e64 v70, v71, v101, s2
	v_cmp_eq_u32_e64 s2, 6, v69
	v_cndmask_b32_e64 v71, v70, v100, s3
	s_delay_alu instid0(VALU_DEP_4) | instskip(NEXT) | instid1(VALU_DEP_2)
	v_dual_mul_f32 v101, v99, v103 :: v_dual_lshlrev_b32 v70, 2, v66
	v_cndmask_b32_e64 v71, v71, v97, s4
	s_delay_alu instid0(VALU_DEP_2) | instskip(NEXT) | instid1(VALU_DEP_3)
	v_or_b32_e32 v72, 1, v70
	v_fma_f32 v100, -v98, v101, v99
	v_cmp_eq_u32_e64 s3, 1, v70
	v_cmp_eq_u32_e64 s4, 2, v70
	v_cndmask_b32_e64 v95, v71, v95, s5
	v_or_b32_e32 v71, 3, v70
	v_fmac_f32_e32 v101, v100, v103
	v_cmp_eq_u32_e64 s8, 1, v72
	v_cmp_eq_u32_e64 s11, 2, v72
	v_cndmask_b32_e64 v94, v95, v94, s2
	v_cmp_eq_u32_e64 s10, 1, v71
	v_fma_f32 v97, -v98, v101, v99
	v_cmp_eq_u32_e64 s15, 2, v71
	v_cmp_eq_u32_e64 s12, 3, v72
	v_cndmask_b32_e64 v94, v94, v96, s6
	v_cmp_eq_u32_e64 s17, 3, v71
	v_div_fmas_f32 v95, v97, v103, v101
	v_cmp_eq_u32_e32 vcc_lo, 3, v70
	v_cmp_eq_u32_e64 s2, 4, v70
	v_cmp_eq_u32_e64 s18, 4, v72
	;; [unrolled: 1-line block ×3, first 2 shown]
	v_div_fixup_f32 v95, v95, v74, 1.0
	v_lshlrev_b32_e32 v73, 6, v68
	v_cmp_eq_u32_e64 s5, 5, v70
	v_cmp_eq_u32_e64 s19, 5, v72
	;; [unrolled: 1-line block ×3, first 2 shown]
	v_mul_f32_e32 v102, v94, v95
	v_lshl_or_b32 v75, v69, 11, v73
	v_or_b32_e32 v69, 2, v70
	v_cmp_eq_u32_e64 s24, 6, v72
	v_cmp_eq_u32_e64 s26, 6, v71
	v_fma_mixlo_f16 v94, v102, v79, 0
	v_fma_mixlo_f16 v95, v102, v81, 0
	;; [unrolled: 1-line block ×8, first 2 shown]
	v_lshl_or_b32 v74, v66, 4, v75
	v_fma_mixhi_f16 v94, v102, v78, 0
	v_fma_mixhi_f16 v95, v102, v80, 0
	;; [unrolled: 1-line block ×8, first 2 shown]
	ds_store_b128 v74, v[94:97]
	ds_store_b128 v74, v[98:101] offset:1024
	s_waitcnt lgkmcnt(0)
	s_barrier
	buffer_gl0_inv
	ds_load_b128 v[78:81], v75
	ds_load_b128 v[82:85], v75 offset:16
	ds_load_b128 v[86:89], v75 offset:1024
	;; [unrolled: 1-line block ×3, first 2 shown]
	v_cmp_eq_u32_e64 s9, 1, v69
	v_cmp_eq_u32_e64 s13, 2, v69
	;; [unrolled: 1-line block ×11, first 2 shown]
	s_waitcnt lgkmcnt(3)
	v_lshrrev_b32_e32 v94, 16, v78
	s_waitcnt lgkmcnt(2)
	v_lshrrev_b32_e32 v98, 16, v82
	;; [unrolled: 2-line block ×4, first 2 shown]
	v_lshrrev_b32_e32 v95, 16, v79
	v_cndmask_b32_e64 v110, v78, v94, s3
	v_cndmask_b32_e64 v111, v82, v98, s3
	;; [unrolled: 1-line block ×8, first 2 shown]
	v_lshrrev_b32_e32 v99, 16, v83
	v_cndmask_b32_e64 v94, v86, v102, s3
	v_cndmask_b32_e64 v98, v90, v106, s3
	;; [unrolled: 1-line block ×15, first 2 shown]
	v_lshrrev_b32_e32 v103, 16, v87
	v_lshrrev_b32_e32 v107, 16, v91
	v_cndmask_b32_e64 v113, v115, v83, s13
	v_cndmask_b32_e64 v82, v94, v87, s4
	;; [unrolled: 1-line block ×7, first 2 shown]
	v_cndmask_b32_e32 v90, v102, v95, vcc_lo
	v_cndmask_b32_e32 v102, v106, v99, vcc_lo
	v_cndmask_b32_e64 v106, v110, v95, s12
	v_cndmask_b32_e64 v110, v111, v99, s12
	;; [unrolled: 1-line block ×4, first 2 shown]
	v_lshrrev_b32_e32 v96, 16, v80
	v_lshrrev_b32_e32 v100, 16, v84
	v_cndmask_b32_e64 v111, v112, v95, s16
	v_cndmask_b32_e64 v112, v113, v99, s16
	v_cndmask_b32_e32 v82, v82, v103, vcc_lo
	v_cndmask_b32_e32 v83, v83, v107, vcc_lo
	v_cndmask_b32_e64 v94, v94, v103, s12
	v_cndmask_b32_e64 v90, v90, v80, s2
	;; [unrolled: 1-line block ×7, first 2 shown]
	v_lshrrev_b32_e32 v104, 16, v88
	v_cndmask_b32_e64 v106, v111, v80, s20
	v_cndmask_b32_e64 v110, v112, v84, s20
	;; [unrolled: 1-line block ×11, first 2 shown]
	v_lshrrev_b32_e32 v97, 16, v81
	v_lshrrev_b32_e32 v101, 16, v85
	v_cndmask_b32_e64 v99, v106, v96, s22
	v_cndmask_b32_e64 v102, v110, v100, s22
	;; [unrolled: 1-line block ×7, first 2 shown]
	v_lshrrev_b32_e32 v105, 16, v89
	v_cndmask_b32_e64 v80, v80, v104, s5
	v_cndmask_b32_e64 v84, v84, v81, s6
	;; [unrolled: 1-line block ×16, first 2 shown]
	v_perm_b32 v81, v79, v78, 0x5040100
	v_perm_b32 v79, v95, v85, 0x5040100
	v_cndmask_b32_e64 v78, v119, v91, s13
	v_cndmask_b32_e64 v85, v117, v91, s11
	;; [unrolled: 1-line block ×3, first 2 shown]
	v_perm_b32 v80, v94, v90, 0x5040100
	v_cndmask_b32_e64 v90, v98, v103, s16
	v_cndmask_b32_e64 v86, v86, v103, s17
	;; [unrolled: 1-line block ×5, first 2 shown]
	v_lshrrev_b32_e32 v108, 16, v92
	v_cndmask_b32_e64 v90, v90, v88, s20
	v_cndmask_b32_e64 v86, v86, v88, s21
	;; [unrolled: 1-line block ×11, first 2 shown]
	v_lshrrev_b32_e32 v109, 16, v93
	v_cndmask_b32_e64 v82, v82, v93, s6
	v_cndmask_b32_e64 v88, v88, v89, s25
	;; [unrolled: 1-line block ×12, first 2 shown]
	v_perm_b32 v78, v84, v83, 0x5040100
	v_perm_b32 v85, v87, v86, 0x5040100
	;; [unrolled: 1-line block ×5, first 2 shown]
	s_mul_i32 s7, s33, 14
	s_mov_b32 s2, exec_lo
	ds_store_b128 v74, v[78:81]
	ds_store_b128 v74, v[82:85] offset:1024
	v_cmpx_gt_u32_e32 14, v0
	s_cbranch_execz .LBB963_14
; %bb.13:
	s_mul_i32 s3, s7, s30
	s_load_b128 s[8:11], s[0:1], 0x58
	v_add3_u32 v68, s3, s31, v68
	s_delay_alu instid0(VALU_DEP_1) | instskip(NEXT) | instid1(VALU_DEP_1)
	v_mad_u64_u32 v[78:79], null, v68, s34, s[14:15]
	v_ashrrev_i32_e32 v79, 31, v78
	s_delay_alu instid0(VALU_DEP_1) | instskip(SKIP_1) | instid1(VALU_DEP_1)
	v_lshlrev_b64 v[78:79], 2, v[78:79]
	s_waitcnt lgkmcnt(0)
	v_add_co_u32 v80, vcc_lo, s10, v78
	s_delay_alu instid0(VALU_DEP_2)
	v_add_co_ci_u32_e32 v81, vcc_lo, s11, v79, vcc_lo
	v_add_co_u32 v78, vcc_lo, s8, v78
	v_add_co_ci_u32_e32 v79, vcc_lo, s9, v79, vcc_lo
	global_store_b32 v[80:81], v76, off
	global_store_b32 v[78:79], v77, off
.LBB963_14:
	s_or_b32 exec_lo, exec_lo, s2
	s_waitcnt lgkmcnt(0)
	s_waitcnt_vscnt null, 0x0
	s_barrier
	buffer_gl0_inv
	ds_load_b128 v[84:87], v73
	ds_load_b128 v[88:91], v73 offset:16
	ds_load_b128 v[96:99], v73 offset:2064
	ds_load_b128 v[92:95], v73 offset:2048
	ds_load_b128 v[104:107], v73 offset:4112
	ds_load_b128 v[100:103], v73 offset:4096
	v_cmp_eq_u32_e32 vcc_lo, 1, v70
	v_mov_b32_e32 v76, 0
	ds_load_b128 v[112:115], v73 offset:6160
	ds_load_b128 v[108:111], v73 offset:6144
	;; [unrolled: 1-line block ×4, first 2 shown]
	v_cmp_eq_u32_e64 s3, 1, v69
	v_cmp_eq_u32_e64 s2, 1, v72
	;; [unrolled: 1-line block ×3, first 2 shown]
	v_mov_b32_e32 v77, v76
	v_mov_b32_e32 v78, v76
	;; [unrolled: 1-line block ×7, first 2 shown]
	v_cmp_eq_u32_e64 s5, 3, v72
	v_cmp_eq_u32_e64 s6, 7, v72
	s_waitcnt lgkmcnt(8)
	s_delay_alu instid0(VALU_DEP_3)
	v_wmma_f32_16x16x16_f16 v[76:83], v[49:56], v[84:91], v[76:83]
	ds_load_b128 v[53:56], v73 offset:10256
	ds_load_b128 v[49:52], v73 offset:10240
	s_waitcnt lgkmcnt(8)
	v_wmma_f32_16x16x16_f16 v[76:83], v[41:48], v[92:99], v[76:83]
	ds_load_b128 v[45:48], v73 offset:12304
	ds_load_b128 v[41:44], v73 offset:12288
	s_waitcnt lgkmcnt(8)
	;; [unrolled: 4-line block ×3, first 2 shown]
	s_barrier
	buffer_gl0_inv
	v_wmma_f32_16x16x16_f16 v[76:83], v[1:8], v[108:115], v[76:83]
	s_delay_alu instid0(VALU_DEP_1) | instskip(NEXT) | instid1(VALU_DEP_1)
	v_wmma_f32_16x16x16_f16 v[76:83], v[9:16], v[116:123], v[76:83]
	v_wmma_f32_16x16x16_f16 v[76:83], v[17:24], v[49:56], v[76:83]
	s_delay_alu instid0(VALU_DEP_1) | instskip(NEXT) | instid1(VALU_DEP_1)
	v_wmma_f32_16x16x16_f16 v[76:83], v[25:32], v[41:48], v[76:83]
	v_wmma_f32_16x16x16_f16 v[76:83], v[57:64], v[33:40], v[76:83]
	s_delay_alu instid0(VALU_DEP_1) | instskip(NEXT) | instid1(VALU_DEP_2)
	v_cvt_f16_f32_e32 v1, v76
	v_cvt_f16_f32_e32 v2, v77
	s_delay_alu instid0(VALU_DEP_3) | instskip(NEXT) | instid1(VALU_DEP_4)
	v_cvt_f16_f32_e32 v3, v78
	v_cvt_f16_f32_e32 v4, v79
	;; [unrolled: 1-line block ×6, first 2 shown]
	v_pack_b32_f16 v1, v1, v2
	v_pack_b32_f16 v2, v3, v4
	;; [unrolled: 1-line block ×3, first 2 shown]
	s_delay_alu instid0(VALU_DEP_4)
	v_pack_b32_f16 v4, v7, v8
	ds_store_b128 v74, v[1:4]
	s_waitcnt lgkmcnt(0)
	s_barrier
	buffer_gl0_inv
	ds_load_b128 v[1:4], v75
	ds_load_b128 v[5:8], v75 offset:16
	s_waitcnt lgkmcnt(1)
	v_lshrrev_b32_e32 v9, 16, v1
	s_waitcnt lgkmcnt(0)
	v_lshrrev_b32_e32 v13, 16, v5
	v_lshrrev_b32_e32 v10, 16, v2
	;; [unrolled: 1-line block ×4, first 2 shown]
	v_cndmask_b32_e32 v17, v1, v9, vcc_lo
	v_cndmask_b32_e32 v18, v5, v13, vcc_lo
	v_cndmask_b32_e64 v21, v1, v9, s3
	v_cmp_eq_u32_e32 vcc_lo, 1, v71
	v_cndmask_b32_e64 v22, v5, v13, s3
	v_cmp_eq_u32_e64 s3, 2, v70
	v_cndmask_b32_e64 v19, v1, v9, s2
	v_cndmask_b32_e64 v20, v5, v13, s2
	v_cndmask_b32_e32 v1, v1, v9, vcc_lo
	v_cmp_eq_u32_e64 s2, 2, v71
	v_cndmask_b32_e32 v5, v5, v13, vcc_lo
	v_cndmask_b32_e64 v9, v17, v2, s3
	v_cmp_eq_u32_e32 vcc_lo, 3, v70
	v_cndmask_b32_e64 v13, v18, v6, s3
	v_cmp_eq_u32_e64 s3, 2, v69
	v_cndmask_b32_e64 v17, v19, v2, s4
	v_cndmask_b32_e64 v18, v20, v6, s4
	v_cmp_eq_u32_e64 s4, 3, v69
	v_cndmask_b32_e64 v1, v1, v2, s2
	v_cndmask_b32_e64 v19, v21, v2, s3
	;; [unrolled: 1-line block ×4, first 2 shown]
	v_cndmask_b32_e32 v5, v9, v10, vcc_lo
	v_cndmask_b32_e32 v6, v13, v14, vcc_lo
	v_cmp_eq_u32_e32 vcc_lo, 3, v71
	v_cndmask_b32_e64 v9, v17, v10, s5
	v_cndmask_b32_e64 v13, v18, v14, s5
	;; [unrolled: 1-line block ×3, first 2 shown]
	v_cmp_eq_u32_e64 s3, 4, v70
	v_cndmask_b32_e32 v1, v1, v10, vcc_lo
	v_cndmask_b32_e32 v2, v2, v14, vcc_lo
	v_cmp_eq_u32_e32 vcc_lo, 4, v72
	v_lshrrev_b32_e32 v15, 16, v7
	v_lshrrev_b32_e32 v16, 16, v8
	v_cndmask_b32_e64 v17, v19, v10, s4
	v_cmp_eq_u32_e64 s2, 4, v71
	v_cndmask_b32_e64 v5, v5, v3, s3
	v_cndmask_b32_e64 v6, v6, v7, s3
	v_cndmask_b32_e32 v9, v9, v3, vcc_lo
	v_cmp_eq_u32_e64 s3, 5, v72
	v_cndmask_b32_e32 v10, v13, v7, vcc_lo
	v_cmp_eq_u32_e32 vcc_lo, 4, v69
	v_cmp_eq_u32_e64 s4, 5, v70
	v_cndmask_b32_e64 v2, v2, v7, s2
	v_cndmask_b32_e64 v9, v9, v11, s3
	;; [unrolled: 1-line block ×3, first 2 shown]
	v_cndmask_b32_e32 v13, v17, v3, vcc_lo
	v_cmp_eq_u32_e64 s3, 5, v69
	v_cndmask_b32_e32 v14, v18, v7, vcc_lo
	v_cndmask_b32_e64 v1, v1, v3, s2
	v_cmp_eq_u32_e32 vcc_lo, 5, v71
	v_lshrrev_b32_e32 v12, 16, v4
	v_cndmask_b32_e64 v13, v13, v11, s3
	v_cndmask_b32_e64 v3, v14, v15, s3
	v_cmp_eq_u32_e64 s3, 6, v71
	v_cndmask_b32_e32 v1, v1, v11, vcc_lo
	v_cndmask_b32_e64 v5, v5, v11, s4
	v_cmp_eq_u32_e64 s5, 6, v70
	v_cndmask_b32_e64 v6, v6, v15, s4
	v_cmp_eq_u32_e64 s4, 6, v72
	v_cmp_eq_u32_e64 s2, 6, v69
	v_cndmask_b32_e64 v1, v1, v4, s3
	v_cndmask_b32_e32 v2, v2, v15, vcc_lo
	v_cmp_eq_u32_e32 vcc_lo, 7, v71
	v_cndmask_b32_e64 v5, v5, v4, s5
	v_cndmask_b32_e64 v9, v9, v4, s4
	;; [unrolled: 1-line block ×3, first 2 shown]
	v_cmp_eq_u32_e64 s5, 7, v70
	v_cndmask_b32_e32 v1, v1, v12, vcc_lo
	v_cndmask_b32_e64 v7, v13, v4, s2
	v_cndmask_b32_e64 v3, v3, v8, s2
	;; [unrolled: 1-line block ×3, first 2 shown]
	v_cmp_eq_u32_e64 s2, 7, v69
	v_cndmask_b32_e64 v4, v10, v8, s4
	v_cndmask_b32_e64 v5, v5, v12, s5
	;; [unrolled: 1-line block ×3, first 2 shown]
	v_cndmask_b32_e32 v2, v2, v16, vcc_lo
	v_cndmask_b32_e64 v7, v7, v12, s2
	v_cndmask_b32_e64 v3, v3, v16, s2
	;; [unrolled: 1-line block ×4, first 2 shown]
	v_perm_b32 v4, v2, v1, 0x5040100
	s_mov_b32 s2, exec_lo
	v_perm_b32 v3, v3, v7, 0x5040100
	v_perm_b32 v2, v8, v9, 0x5040100
	v_perm_b32 v1, v6, v5, 0x5040100
	ds_store_b128 v74, v[1:4]
	s_waitcnt lgkmcnt(0)
	s_barrier
	buffer_gl0_inv
	v_cmpx_gt_u32_e32 32, v0
	s_cbranch_execz .LBB963_2
; %bb.15:
	s_load_b64 s[0:1], s[0:1], 0x68
	v_lshlrev_b32_e32 v0, 10, v0
	s_lshl_b32 s4, s34, 7
	v_or_b32_e32 v3, s31, v66
	s_mul_i32 s2, s4, s30
	v_lshlrev_b32_e32 v1, 4, v67
	v_lshlrev_b32_e32 v2, 6, v66
	v_and_b32_e32 v0, 0x3800, v0
	s_mul_i32 s2, s2, s7
	v_mul_lo_u32 v8, v3, s4
	s_ashr_i32 s3, s2, 31
	s_delay_alu instid0(SALU_CYCLE_1)
	s_lshl_b64 s[2:3], s[2:3], 1
	v_or3_b32 v16, v0, v1, v2
	ds_load_b128 v[0:3], v16
	ds_load_b128 v[4:7], v16 offset:128
	v_ashrrev_i32_e32 v9, 31, v8
	s_waitcnt lgkmcnt(0)
	s_add_u32 s2, s0, s2
	s_addc_u32 s3, s1, s3
	s_lshl_b32 s0, s14, 7
	s_delay_alu instid0(SALU_CYCLE_1) | instskip(SKIP_2) | instid1(SALU_CYCLE_1)
	s_ashr_i32 s1, s0, 31
	v_lshlrev_b64 v[9:10], 1, v[8:9]
	s_lshl_b64 s[0:1], s[0:1], 1
	s_add_u32 s0, s2, s0
	s_addc_u32 s1, s3, s1
	s_lshl_b32 s2, s34, 8
	v_add_co_u32 v30, s0, s0, v65
	v_add_nc_u32_e32 v11, s2, v8
	v_add_co_ci_u32_e64 v31, null, s1, 0, s0
	s_delay_alu instid0(VALU_DEP_3) | instskip(NEXT) | instid1(VALU_DEP_3)
	v_add_co_u32 v9, vcc_lo, v30, v9
	v_add_nc_u32_e32 v8, s2, v11
	s_delay_alu instid0(VALU_DEP_3) | instskip(SKIP_1) | instid1(VALU_DEP_3)
	v_add_co_ci_u32_e32 v10, vcc_lo, v31, v10, vcc_lo
	v_ashrrev_i32_e32 v12, 31, v11
	v_add_nc_u32_e32 v13, s2, v8
	global_store_b128 v[9:10], v[0:3], off
	v_ashrrev_i32_e32 v9, 31, v8
	v_lshlrev_b64 v[11:12], 1, v[11:12]
	v_ashrrev_i32_e32 v14, 31, v13
	v_add_nc_u32_e32 v10, s2, v13
	s_delay_alu instid0(VALU_DEP_4) | instskip(NEXT) | instid1(VALU_DEP_4)
	v_lshlrev_b64 v[2:3], 1, v[8:9]
	v_add_co_u32 v0, vcc_lo, v30, v11
	s_delay_alu instid0(VALU_DEP_4)
	v_lshlrev_b64 v[8:9], 1, v[13:14]
	v_add_co_ci_u32_e32 v1, vcc_lo, v31, v12, vcc_lo
	v_ashrrev_i32_e32 v11, 31, v10
	v_add_co_u32 v22, vcc_lo, v30, v2
	v_add_nc_u32_e32 v20, s2, v10
	v_add_co_ci_u32_e32 v23, vcc_lo, v31, v3, vcc_lo
	v_add_co_u32 v24, vcc_lo, v30, v8
	global_store_b128 v[0:1], v[4:7], off
	v_add_co_ci_u32_e32 v25, vcc_lo, v31, v9, vcc_lo
	ds_load_b128 v[0:3], v16 offset:256
	ds_load_b128 v[4:7], v16 offset:384
	v_lshlrev_b64 v[26:27], 1, v[10:11]
	ds_load_b128 v[8:11], v16 offset:512
	ds_load_b128 v[12:15], v16 offset:640
	;; [unrolled: 1-line block ×3, first 2 shown]
	v_add_nc_u32_e32 v28, s2, v20
	v_ashrrev_i32_e32 v21, 31, v20
	v_add_co_u32 v26, vcc_lo, v30, v26
	s_delay_alu instid0(VALU_DEP_3) | instskip(NEXT) | instid1(VALU_DEP_3)
	v_ashrrev_i32_e32 v29, 31, v28
	v_lshlrev_b64 v[20:21], 1, v[20:21]
	v_add_co_ci_u32_e32 v27, vcc_lo, v31, v27, vcc_lo
	s_delay_alu instid0(VALU_DEP_3) | instskip(NEXT) | instid1(VALU_DEP_3)
	v_lshlrev_b64 v[28:29], 1, v[28:29]
	v_add_co_u32 v20, vcc_lo, v30, v20
	s_delay_alu instid0(VALU_DEP_4) | instskip(NEXT) | instid1(VALU_DEP_3)
	v_add_co_ci_u32_e32 v21, vcc_lo, v31, v21, vcc_lo
	v_add_co_u32 v28, vcc_lo, v30, v28
	s_delay_alu instid0(VALU_DEP_4)
	v_add_co_ci_u32_e32 v29, vcc_lo, v31, v29, vcc_lo
	s_waitcnt lgkmcnt(4)
	global_store_b128 v[22:23], v[0:3], off
	s_waitcnt lgkmcnt(3)
	global_store_b128 v[24:25], v[4:7], off
	;; [unrolled: 2-line block ×5, first 2 shown]
	s_nop 0
	s_sendmsg sendmsg(MSG_DEALLOC_VGPRS)
	s_endpgm
	.section	.rodata,"a",@progbits
	.p2align	6, 0x0
	.amdhsa_kernel _Z39paged_attention_ll4mi_QKV_mfma16_kernelIDF16_hLN4vllm18Fp8KVCacheDataTypeE1EhLi16ELi128ELi256ELb0ELi14EL8MFMAType1EEvPKT_PKT0_S8_ifPKiSA_SA_iPKfiiiPfSD_PS3_PT2_iSC_SC_
		.amdhsa_group_segment_fixed_size 17472
		.amdhsa_private_segment_fixed_size 0
		.amdhsa_kernarg_size 400
		.amdhsa_user_sgpr_count 13
		.amdhsa_user_sgpr_dispatch_ptr 0
		.amdhsa_user_sgpr_queue_ptr 0
		.amdhsa_user_sgpr_kernarg_segment_ptr 1
		.amdhsa_user_sgpr_dispatch_id 0
		.amdhsa_user_sgpr_private_segment_size 0
		.amdhsa_wavefront_size32 1
		.amdhsa_uses_dynamic_stack 0
		.amdhsa_enable_private_segment 0
		.amdhsa_system_sgpr_workgroup_id_x 1
		.amdhsa_system_sgpr_workgroup_id_y 1
		.amdhsa_system_sgpr_workgroup_id_z 1
		.amdhsa_system_sgpr_workgroup_info 0
		.amdhsa_system_vgpr_workitem_id 0
		.amdhsa_next_free_vgpr 150
		.amdhsa_next_free_sgpr 36
		.amdhsa_reserve_vcc 1
		.amdhsa_float_round_mode_32 0
		.amdhsa_float_round_mode_16_64 0
		.amdhsa_float_denorm_mode_32 3
		.amdhsa_float_denorm_mode_16_64 3
		.amdhsa_dx10_clamp 1
		.amdhsa_ieee_mode 1
		.amdhsa_fp16_overflow 0
		.amdhsa_workgroup_processor_mode 1
		.amdhsa_memory_ordered 1
		.amdhsa_forward_progress 0
		.amdhsa_shared_vgpr_count 0
		.amdhsa_exception_fp_ieee_invalid_op 0
		.amdhsa_exception_fp_denorm_src 0
		.amdhsa_exception_fp_ieee_div_zero 0
		.amdhsa_exception_fp_ieee_overflow 0
		.amdhsa_exception_fp_ieee_underflow 0
		.amdhsa_exception_fp_ieee_inexact 0
		.amdhsa_exception_int_div_zero 0
	.end_amdhsa_kernel
	.section	.text._Z39paged_attention_ll4mi_QKV_mfma16_kernelIDF16_hLN4vllm18Fp8KVCacheDataTypeE1EhLi16ELi128ELi256ELb0ELi14EL8MFMAType1EEvPKT_PKT0_S8_ifPKiSA_SA_iPKfiiiPfSD_PS3_PT2_iSC_SC_,"axG",@progbits,_Z39paged_attention_ll4mi_QKV_mfma16_kernelIDF16_hLN4vllm18Fp8KVCacheDataTypeE1EhLi16ELi128ELi256ELb0ELi14EL8MFMAType1EEvPKT_PKT0_S8_ifPKiSA_SA_iPKfiiiPfSD_PS3_PT2_iSC_SC_,comdat
.Lfunc_end963:
	.size	_Z39paged_attention_ll4mi_QKV_mfma16_kernelIDF16_hLN4vllm18Fp8KVCacheDataTypeE1EhLi16ELi128ELi256ELb0ELi14EL8MFMAType1EEvPKT_PKT0_S8_ifPKiSA_SA_iPKfiiiPfSD_PS3_PT2_iSC_SC_, .Lfunc_end963-_Z39paged_attention_ll4mi_QKV_mfma16_kernelIDF16_hLN4vllm18Fp8KVCacheDataTypeE1EhLi16ELi128ELi256ELb0ELi14EL8MFMAType1EEvPKT_PKT0_S8_ifPKiSA_SA_iPKfiiiPfSD_PS3_PT2_iSC_SC_
                                        ; -- End function
	.section	.AMDGPU.csdata,"",@progbits
; Kernel info:
; codeLenInByte = 6804
; NumSgprs: 38
; NumVgprs: 150
; ScratchSize: 0
; MemoryBound: 0
; FloatMode: 240
; IeeeMode: 1
; LDSByteSize: 17472 bytes/workgroup (compile time only)
; SGPRBlocks: 4
; VGPRBlocks: 18
; NumSGPRsForWavesPerEU: 38
; NumVGPRsForWavesPerEU: 150
; Occupancy: 9
; WaveLimiterHint : 1
; COMPUTE_PGM_RSRC2:SCRATCH_EN: 0
; COMPUTE_PGM_RSRC2:USER_SGPR: 13
; COMPUTE_PGM_RSRC2:TRAP_HANDLER: 0
; COMPUTE_PGM_RSRC2:TGID_X_EN: 1
; COMPUTE_PGM_RSRC2:TGID_Y_EN: 1
; COMPUTE_PGM_RSRC2:TGID_Z_EN: 1
; COMPUTE_PGM_RSRC2:TIDIG_COMP_CNT: 0
	.section	.text._Z39paged_attention_ll4mi_QKV_mfma16_kernelIDF16_hLN4vllm18Fp8KVCacheDataTypeE1EhLi16ELi128ELi256ELb0ELi15EL8MFMAType1EEvPKT_PKT0_S8_ifPKiSA_SA_iPKfiiiPfSD_PS3_PT2_iSC_SC_,"axG",@progbits,_Z39paged_attention_ll4mi_QKV_mfma16_kernelIDF16_hLN4vllm18Fp8KVCacheDataTypeE1EhLi16ELi128ELi256ELb0ELi15EL8MFMAType1EEvPKT_PKT0_S8_ifPKiSA_SA_iPKfiiiPfSD_PS3_PT2_iSC_SC_,comdat
	.protected	_Z39paged_attention_ll4mi_QKV_mfma16_kernelIDF16_hLN4vllm18Fp8KVCacheDataTypeE1EhLi16ELi128ELi256ELb0ELi15EL8MFMAType1EEvPKT_PKT0_S8_ifPKiSA_SA_iPKfiiiPfSD_PS3_PT2_iSC_SC_ ; -- Begin function _Z39paged_attention_ll4mi_QKV_mfma16_kernelIDF16_hLN4vllm18Fp8KVCacheDataTypeE1EhLi16ELi128ELi256ELb0ELi15EL8MFMAType1EEvPKT_PKT0_S8_ifPKiSA_SA_iPKfiiiPfSD_PS3_PT2_iSC_SC_
	.globl	_Z39paged_attention_ll4mi_QKV_mfma16_kernelIDF16_hLN4vllm18Fp8KVCacheDataTypeE1EhLi16ELi128ELi256ELb0ELi15EL8MFMAType1EEvPKT_PKT0_S8_ifPKiSA_SA_iPKfiiiPfSD_PS3_PT2_iSC_SC_
	.p2align	8
	.type	_Z39paged_attention_ll4mi_QKV_mfma16_kernelIDF16_hLN4vllm18Fp8KVCacheDataTypeE1EhLi16ELi128ELi256ELb0ELi15EL8MFMAType1EEvPKT_PKT0_S8_ifPKiSA_SA_iPKfiiiPfSD_PS3_PT2_iSC_SC_,@function
_Z39paged_attention_ll4mi_QKV_mfma16_kernelIDF16_hLN4vllm18Fp8KVCacheDataTypeE1EhLi16ELi128ELi256ELb0ELi15EL8MFMAType1EEvPKT_PKT0_S8_ifPKiSA_SA_iPKfiiiPfSD_PS3_PT2_iSC_SC_: ; @_Z39paged_attention_ll4mi_QKV_mfma16_kernelIDF16_hLN4vllm18Fp8KVCacheDataTypeE1EhLi16ELi128ELi256ELb0ELi15EL8MFMAType1EEvPKT_PKT0_S8_ifPKiSA_SA_iPKfiiiPfSD_PS3_PT2_iSC_SC_
; %bb.0:
	s_load_b64 s[4:5], s[0:1], 0x30
	s_mov_b32 s34, s13
	s_waitcnt lgkmcnt(0)
	s_cmp_lg_u64 s[4:5], 0
	s_cselect_b32 s8, -1, 0
	s_ashr_i32 s35, s13, 31
	s_cmp_eq_u64 s[4:5], 0
	s_cbranch_scc1 .LBB964_3
; %bb.1:
	s_lshl_b64 s[2:3], s[34:35], 2
	s_delay_alu instid0(SALU_CYCLE_1) | instskip(SKIP_4) | instid1(SALU_CYCLE_1)
	s_add_u32 s2, s4, s2
	s_addc_u32 s3, s5, s3
	s_load_b64 s[2:3], s[2:3], 0x0
	s_waitcnt lgkmcnt(0)
	s_sub_i32 s2, s3, s2
	s_cmp_eq_u32 s2, 1
	s_cselect_b32 s2, -1, 0
	s_delay_alu instid0(SALU_CYCLE_1)
	s_and_not1_b32 vcc_lo, exec_lo, s2
	s_cbranch_vccz .LBB964_4
.LBB964_2:
	s_nop 0
	s_sendmsg sendmsg(MSG_DEALLOC_VGPRS)
	s_endpgm
.LBB964_3:
.LBB964_4:
	s_load_b64 s[2:3], s[0:1], 0x28
	s_lshl_b64 s[6:7], s[34:35], 2
	s_waitcnt lgkmcnt(0)
	s_add_u32 s2, s2, s6
	s_addc_u32 s3, s3, s7
	s_lshl_b32 s12, s14, 8
	s_load_b32 s24, s[2:3], 0x0
	s_waitcnt lgkmcnt(0)
	s_cmp_ge_i32 s12, s24
	s_cbranch_scc1 .LBB964_2
; %bb.5:
	s_clause 0x1
	s_load_b128 s[20:23], s[0:1], 0x8
	s_load_b64 s[2:3], s[0:1], 0x20
	s_and_not1_b32 vcc_lo, exec_lo, s8
	s_cbranch_vccnz .LBB964_7
; %bb.6:
	s_add_u32 s4, s4, s6
	s_addc_u32 s5, s5, s7
	s_load_b32 s5, s[4:5], 0x0
	s_branch .LBB964_8
.LBB964_7:
	s_mov_b32 s5, s34
.LBB964_8:
	s_load_b128 s[16:19], s[0:1], 0x48
	v_and_b32_e32 v68, 15, v0
	v_lshrrev_b32_e32 v69, 5, v0
	v_bfe_u32 v66, v0, 4, 1
	v_and_b32_e32 v70, 31, v0
	v_and_b32_e32 v67, 1, v0
	v_lshlrev_b32_e32 v2, 3, v68
	s_mul_i32 s31, s15, 15
	v_lshl_or_b32 v1, v69, 1, v66
	s_mov_b32 s4, exec_lo
	s_delay_alu instid0(VALU_DEP_2) | instskip(NEXT) | instid1(VALU_DEP_2)
	v_lshlrev_b32_e32 v65, 1, v2
	v_cmpx_gt_u32_e32 15, v1
	s_cbranch_execz .LBB964_10
; %bb.9:
	s_load_b64 s[6:7], s[0:1], 0x0
	v_add_lshl_u32 v2, v1, s31, 7
	s_waitcnt lgkmcnt(0)
	s_mul_hi_i32 s9, s5, s16
	s_mul_i32 s8, s5, s16
	v_lshlrev_b32_e32 v6, 10, v68
	s_lshl_b64 s[8:9], s[8:9], 1
	v_ashrrev_i32_e32 v3, 31, v2
	v_lshlrev_b32_e32 v1, 6, v1
	v_lshlrev_b32_e32 v7, 10, v67
	v_and_b32_e32 v6, 0x3800, v6
	s_delay_alu instid0(VALU_DEP_4) | instskip(NEXT) | instid1(VALU_DEP_2)
	v_lshlrev_b64 v[2:3], 1, v[2:3]
	v_or3_b32 v1, v6, v7, v1
	s_add_u32 s5, s6, s8
	s_addc_u32 s6, s7, s9
	s_delay_alu instid0(VALU_DEP_2) | instskip(NEXT) | instid1(VALU_DEP_3)
	v_add_co_u32 v2, vcc_lo, s5, v2
	v_add_co_ci_u32_e32 v3, vcc_lo, s6, v3, vcc_lo
	s_delay_alu instid0(VALU_DEP_2) | instskip(NEXT) | instid1(VALU_DEP_2)
	v_add_co_u32 v2, vcc_lo, v2, v65
	v_add_co_ci_u32_e32 v3, vcc_lo, 0, v3, vcc_lo
	global_load_b128 v[2:5], v[2:3], off
	s_waitcnt vmcnt(0)
	ds_store_b128 v1, v[2:5]
.LBB964_10:
	s_or_b32 exec_lo, exec_lo, s4
	v_and_b32_e32 v1, 0xef, v0
	s_waitcnt lgkmcnt(0)
	s_add_i32 s5, s24, 15
	s_clause 0x1
	s_load_b32 s4, s[0:1], 0x38
	s_load_b32 s33, s[0:1], 0x98
	s_ashr_i32 s6, s5, 31
	v_add_nc_u32_e32 v1, s12, v1
	s_lshr_b32 s6, s6, 28
	s_load_b32 s19, s[0:1], 0x1c
	s_add_i32 s5, s5, s6
	s_waitcnt lgkmcnt(0)
	v_ashrrev_i32_e32 v2, 31, v1
	v_or_b32_e32 v3, 16, v1
	s_ashr_i32 s13, s5, 4
	v_cmp_gt_i32_e32 vcc_lo, s24, v1
	s_add_i32 s13, s13, -1
	v_lshrrev_b32_e32 v2, 28, v2
	s_barrier
	buffer_gl0_inv
	s_mul_i32 s15, s15, s18
	v_add_nc_u32_e32 v4, v1, v2
	s_mul_i32 s4, s34, s4
	s_delay_alu instid0(SALU_CYCLE_1) | instskip(NEXT) | instid1(VALU_DEP_1)
	s_ashr_i32 s5, s4, 31
	v_ashrrev_i32_e32 v4, 4, v4
	v_add_nc_u32_e32 v2, v3, v2
	s_lshl_b64 s[4:5], s[4:5], 2
	s_delay_alu instid0(SALU_CYCLE_1) | instskip(NEXT) | instid1(VALU_DEP_2)
	s_add_u32 s16, s2, s4
	v_cndmask_b32_e32 v1, s13, v4, vcc_lo
	s_delay_alu instid0(VALU_DEP_2)
	v_ashrrev_i32_e32 v2, 4, v2
	v_cmp_gt_i32_e32 vcc_lo, s24, v3
	s_addc_u32 s25, s3, s5
	s_ashr_i32 s18, s15, 31
	s_add_u32 s26, s20, s15
	s_addc_u32 s27, s21, s18
	v_cndmask_b32_e32 v3, s13, v2, vcc_lo
	v_ashrrev_i32_e32 v2, 31, v1
	s_lshl_b32 s2, s14, 4
	s_delay_alu instid0(SALU_CYCLE_1) | instskip(NEXT) | instid1(VALU_DEP_2)
	s_ashr_i32 s3, s2, 31
	v_ashrrev_i32_e32 v4, 31, v3
	s_delay_alu instid0(VALU_DEP_2) | instskip(SKIP_1) | instid1(SALU_CYCLE_1)
	v_lshlrev_b64 v[1:2], 2, v[1:2]
	s_lshl_b64 s[2:3], s[2:3], 2
	s_add_u32 s2, s16, s2
	s_delay_alu instid0(VALU_DEP_2) | instskip(SKIP_1) | instid1(VALU_DEP_2)
	v_lshlrev_b64 v[3:4], 2, v[3:4]
	s_addc_u32 s3, s25, s3
	v_add_co_u32 v1, vcc_lo, s16, v1
	v_add_co_ci_u32_e32 v2, vcc_lo, s25, v2, vcc_lo
	s_delay_alu instid0(VALU_DEP_3) | instskip(NEXT) | instid1(VALU_DEP_4)
	v_add_co_u32 v3, vcc_lo, s16, v3
	v_add_co_ci_u32_e32 v4, vcc_lo, s25, v4, vcc_lo
	s_clause 0x1
	global_load_b32 v5, v[1:2], off
	global_load_b32 v7, v[3:4], off
	s_or_b32 s4, s12, 32
	v_lshlrev_b32_e32 v1, 4, v0
	s_ashr_i32 s5, s4, 4
	s_cmp_lt_i32 s4, s24
	v_cmp_ne_u32_e32 vcc_lo, 15, v68
	s_cselect_b32 s4, s5, s13
	v_and_b32_e32 v1, 0xf0, v1
	s_ashr_i32 s5, s4, 31
	s_delay_alu instid0(SALU_CYCLE_1) | instskip(NEXT) | instid1(SALU_CYCLE_1)
	s_lshl_b64 s[4:5], s[4:5], 2
	s_add_u32 s4, s16, s4
	s_addc_u32 s5, s25, s5
	s_or_b32 s6, s12, 64
	v_add_co_u32 v1, s26, s26, v1
	s_ashr_i32 s7, s6, 4
	s_cmp_lt_i32 s6, s24
	v_add_co_ci_u32_e64 v2, null, s27, 0, s26
	s_cselect_b32 s6, s7, s13
	s_delay_alu instid0(SALU_CYCLE_1) | instskip(NEXT) | instid1(SALU_CYCLE_1)
	s_ashr_i32 s7, s6, 31
	s_lshl_b64 s[6:7], s[6:7], 2
	s_delay_alu instid0(SALU_CYCLE_1) | instskip(SKIP_2) | instid1(SALU_CYCLE_1)
	s_add_u32 s6, s16, s6
	s_addc_u32 s7, s25, s7
	s_or_b32 s8, s12, 0x60
	s_ashr_i32 s9, s8, 4
	s_cmp_lt_i32 s8, s24
	s_cselect_b32 s8, s9, s13
	s_delay_alu instid0(SALU_CYCLE_1) | instskip(NEXT) | instid1(SALU_CYCLE_1)
	s_ashr_i32 s9, s8, 31
	s_lshl_b64 s[8:9], s[8:9], 2
	s_delay_alu instid0(SALU_CYCLE_1) | instskip(SKIP_2) | instid1(SALU_CYCLE_1)
	s_add_u32 s8, s16, s8
	s_addc_u32 s9, s25, s9
	s_or_b32 s10, s12, 0x80
	s_ashr_i32 s11, s10, 4
	s_cmp_lt_i32 s10, s24
	;; [unrolled: 10-line block ×3, first 2 shown]
	s_cselect_b32 s20, s21, s13
	s_delay_alu instid0(SALU_CYCLE_1) | instskip(NEXT) | instid1(SALU_CYCLE_1)
	s_ashr_i32 s21, s20, 31
	s_lshl_b64 s[20:21], s[20:21], 2
	s_delay_alu instid0(SALU_CYCLE_1)
	s_add_u32 s20, s16, s20
	s_addc_u32 s21, s25, s21
	s_clause 0x5
	s_load_b32 s26, s[2:3], 0x0
	s_load_b32 s27, s[4:5], 0x0
	;; [unrolled: 1-line block ×6, first 2 shown]
	s_or_b32 s2, s12, 0xc0
	s_mov_b32 s4, 0
	s_ashr_i32 s3, s2, 4
	s_cmp_lt_i32 s2, s24
	s_mov_b32 s11, s4
	s_cselect_b32 s2, s3, s13
	s_mov_b32 s5, s4
	s_ashr_i32 s3, s2, 31
	s_mov_b32 s6, s4
	s_lshl_b64 s[2:3], s[2:3], 2
	s_mov_b32 s7, s4
	s_add_u32 s2, s16, s2
	s_addc_u32 s3, s25, s3
	s_or_b32 s20, s12, 0xe0
	s_mov_b32 s8, s4
	s_ashr_i32 s21, s20, 4
	s_cmp_lt_i32 s20, s24
	s_mov_b32 s9, s4
	s_cselect_b32 s20, s21, s13
	s_mov_b32 s10, s4
	s_ashr_i32 s21, s20, 31
	v_mov_b32_e32 v118, s11
	v_dual_mov_b32 v112, s5 :: v_dual_mov_b32 v117, s10
	v_dual_mov_b32 v116, s9 :: v_dual_mov_b32 v115, s8
	;; [unrolled: 1-line block ×3, first 2 shown]
	v_mov_b32_e32 v111, s4
	s_lshl_b64 s[4:5], s[20:21], 2
	s_delay_alu instid0(SALU_CYCLE_1)
	s_add_u32 s4, s16, s4
	s_addc_u32 s5, s25, s5
	s_add_u32 s6, s22, s15
	s_addc_u32 s7, s23, s18
	s_waitcnt vmcnt(1)
	v_mad_i64_i32 v[3:4], null, v5, s17, v[1:2]
	s_waitcnt vmcnt(0)
	v_mad_i64_i32 v[5:6], null, v7, s17, v[1:2]
	v_cndmask_b32_e32 v1, 0, v68, vcc_lo
	v_lshlrev_b32_e32 v2, 4, v68
	s_clause 0xf
	global_load_b128 v[17:20], v[3:4], off
	global_load_b128 v[21:24], v[3:4], off offset:256
	global_load_b128 v[25:28], v[5:6], off
	global_load_b128 v[29:32], v[5:6], off offset:256
	global_load_b128 v[57:60], v[3:4], off offset:512
	;; [unrolled: 1-line block ×13, first 2 shown]
	v_lshlrev_b32_e32 v149, 6, v1
	v_lshl_or_b32 v1, v69, 8, v2
	ds_load_b128 v[119:122], v149
	ds_load_b128 v[123:126], v149 offset:1024
	ds_load_b128 v[127:130], v149 offset:2048
	;; [unrolled: 1-line block ×3, first 2 shown]
	s_clause 0x1
	s_load_b32 s2, s[2:3], 0x0
	s_load_b32 s3, s[4:5], 0x0
	v_add_co_u32 v135, s6, s6, v1
	s_delay_alu instid0(VALU_DEP_1) | instskip(SKIP_1) | instid1(VALU_DEP_1)
	v_add_co_ci_u32_e64 v136, null, s7, 0, s6
	s_waitcnt lgkmcnt(0)
	v_mad_i64_i32 v[1:2], null, s26, s17, v[135:136]
	v_mad_i64_i32 v[3:4], null, s27, s17, v[135:136]
	;; [unrolled: 1-line block ×6, first 2 shown]
	s_clause 0x9
	global_load_b128 v[49:52], v[1:2], off
	global_load_b128 v[53:56], v[1:2], off offset:16
	global_load_b128 v[41:44], v[3:4], off
	global_load_b128 v[45:48], v[3:4], off offset:16
	;; [unrolled: 2-line block ×5, first 2 shown]
	v_mad_i64_i32 v[145:146], null, s2, s17, v[135:136]
	v_mad_i64_i32 v[147:148], null, s3, s17, v[135:136]
	s_waitcnt vmcnt(24)
	v_wmma_f32_16x16x16_f16 v[135:142], v[17:24], v[119:126], v[111:118]
	s_waitcnt vmcnt(22)
	v_wmma_f32_16x16x16_f16 v[111:118], v[25:32], v[119:126], v[111:118]
	s_clause 0x3
	global_load_b128 v[17:20], v[143:144], off
	global_load_b128 v[21:24], v[143:144], off offset:16
	global_load_b128 v[25:28], v[145:146], off
	global_load_b128 v[29:32], v[145:146], off offset:16
	v_and_b32_e32 v119, 0xe0, v0
	s_waitcnt vmcnt(24)
	v_wmma_f32_16x16x16_f16 v[135:142], v[57:64], v[127:134], v[135:142]
	s_clause 0x1
	global_load_b128 v[57:60], v[147:148], off
	global_load_b128 v[61:64], v[147:148], off offset:16
	s_waitcnt vmcnt(24)
	v_wmma_f32_16x16x16_f16 v[111:118], v[71:78], v[127:134], v[111:118]
	ds_load_b128 v[71:74], v149 offset:4096
	ds_load_b128 v[75:78], v149 offset:5120
	v_add_nc_u32_e32 v128, s12, v119
	ds_load_b128 v[119:122], v149 offset:6144
	ds_load_b128 v[123:126], v149 offset:7168
	v_mbcnt_lo_u32_b32 v127, -1, 0
	s_waitcnt vmcnt(0) lgkmcnt(0)
	s_barrier
	v_or_b32_e32 v128, v128, v66
	buffer_gl0_inv
	v_xor_b32_e32 v129, 16, v127
	v_or_b32_e32 v130, 4, v128
	v_or_b32_e32 v131, 6, v128
	s_delay_alu instid0(VALU_DEP_3) | instskip(SKIP_4) | instid1(VALU_DEP_4)
	v_cmp_gt_i32_e32 vcc_lo, 32, v129
	v_or_b32_e32 v132, 8, v128
	v_or_b32_e32 v133, 10, v128
	v_cmp_gt_i32_e64 s3, s24, v130
	v_cmp_gt_i32_e64 s4, s24, v131
	;; [unrolled: 1-line block ×3, first 2 shown]
	v_wmma_f32_16x16x16_f16 v[135:142], v[79:86], v[71:78], v[135:142]
	v_wmma_f32_16x16x16_f16 v[111:118], v[87:94], v[71:78], v[111:118]
	v_or_b32_e32 v79, 12, v128
	v_or_b32_e32 v80, 14, v128
	v_cmp_gt_i32_e64 s6, s24, v133
	v_wmma_f32_16x16x16_f16 v[135:142], v[95:102], v[119:126], v[135:142]
	v_wmma_f32_16x16x16_f16 v[111:118], v[103:110], v[119:126], v[111:118]
	v_cndmask_b32_e32 v127, v127, v129, vcc_lo
	v_or_b32_e32 v129, 2, v128
	v_cmp_gt_i32_e32 vcc_lo, s24, v128
	s_delay_alu instid0(VALU_DEP_4) | instskip(SKIP_1) | instid1(VALU_DEP_4)
	v_dual_mul_f32 v87, s19, v136 :: v_dual_mul_f32 v94, s19, v113
	v_mul_f32_e32 v88, s19, v135
	v_cmp_gt_i32_e64 s2, s24, v129
	v_mul_f32_e32 v78, s19, v138
	v_mul_f32_e32 v86, s19, v137
	;; [unrolled: 1-line block ×3, first 2 shown]
	v_cndmask_b32_e32 v88, 0xff7fffff, v88, vcc_lo
	v_cndmask_b32_e64 v87, 0xff7fffff, v87, s2
	v_dual_mul_f32 v77, s19, v139 :: v_dual_mul_f32 v90, s19, v117
	v_cndmask_b32_e64 v86, 0xff7fffff, v86, s3
	v_cndmask_b32_e64 v78, 0xff7fffff, v78, s4
	s_delay_alu instid0(VALU_DEP_4)
	v_max3_f32 v87, v88, 0xff7fffff, v87
	v_or_b32_e32 v81, 16, v128
	v_or_b32_e32 v82, 18, v128
	v_dual_mul_f32 v74, s19, v142 :: v_dual_mul_f32 v75, s19, v141
	v_mul_f32_e32 v96, s19, v111
	v_cndmask_b32_e64 v77, 0xff7fffff, v77, s5
	v_cndmask_b32_e64 v76, 0xff7fffff, v76, s6
	v_max3_f32 v78, v87, v86, v78
	v_cmp_gt_i32_e64 s7, s24, v79
	v_cmp_gt_i32_e64 s8, s24, v80
	v_or_b32_e32 v83, 20, v128
	v_or_b32_e32 v84, 22, v128
	v_mul_f32_e32 v95, s19, v112
	v_cndmask_b32_e64 v75, 0xff7fffff, v75, s7
	v_cndmask_b32_e64 v74, 0xff7fffff, v74, s8
	v_max3_f32 v76, v78, v77, v76
	v_cmp_gt_i32_e64 s9, s24, v81
	v_cmp_gt_i32_e64 s10, s24, v82
	v_or_b32_e32 v85, 24, v128
	v_or_b32_e32 v71, 26, v128
	;; [unrolled: 8-line block ×3, first 2 shown]
	v_dual_mul_f32 v91, s19, v116 :: v_dual_mul_f32 v92, s19, v115
	v_cndmask_b32_e64 v75, 0xff7fffff, v94, s11
	v_cndmask_b32_e64 v76, 0xff7fffff, v93, s12
	v_max3_f32 v74, v74, v77, v78
	v_cmp_gt_i32_e64 s13, s24, v85
	v_cmp_gt_i32_e64 s15, s24, v71
	v_mul_f32_e32 v89, s19, v118
	v_cmp_gt_i32_e64 s16, s24, v72
	v_max3_f32 v74, v74, v75, v76
	v_cndmask_b32_e64 v77, 0xff7fffff, v92, s13
	v_cndmask_b32_e64 v71, 0xff7fffff, v91, s15
	v_cmp_gt_i32_e64 s17, s24, v73
	v_cndmask_b32_e64 v72, 0xff7fffff, v90, s16
	s_delay_alu instid0(VALU_DEP_3) | instskip(SKIP_1) | instid1(VALU_DEP_4)
	v_max3_f32 v71, v74, v77, v71
	v_lshlrev_b32_e32 v74, 2, v127
	v_cndmask_b32_e64 v73, 0xff7fffff, v89, s17
	s_delay_alu instid0(VALU_DEP_1) | instskip(SKIP_3) | instid1(VALU_DEP_1)
	v_max3_f32 v71, v71, v72, v73
	ds_bpermute_b32 v72, v74, v71
	s_waitcnt lgkmcnt(0)
	v_max_f32_e32 v72, v72, v72
	v_max_f32_e32 v71, v71, v72
	s_delay_alu instid0(VALU_DEP_1) | instskip(SKIP_4) | instid1(VALU_DEP_4)
	v_fma_f32 v72, s19, v135, -v71
	v_fma_f32 v73, s19, v136, -v71
	;; [unrolled: 1-line block ×5, first 2 shown]
	v_dual_mul_f32 v72, 0x3fb8aa3b, v72 :: v_dual_mul_f32 v73, 0x3fb8aa3b, v73
	s_delay_alu instid0(VALU_DEP_3) | instskip(SKIP_1) | instid1(VALU_DEP_3)
	v_dual_mul_f32 v75, 0x3fb8aa3b, v75 :: v_dual_mul_f32 v76, 0x3fb8aa3b, v76
	v_fma_f32 v80, s19, v141, -v71
	v_exp_f32_e32 v72, v72
	s_delay_alu instid0(VALU_DEP_3) | instskip(NEXT) | instid1(VALU_DEP_2)
	v_exp_f32_e32 v73, v73
	v_exp_f32_e32 v75, v75
	;; [unrolled: 1-line block ×3, first 2 shown]
	v_mul_f32_e32 v82, 0x3fb8aa3b, v80
	s_delay_alu instid0(VALU_DEP_1) | instskip(SKIP_4) | instid1(TRANS32_DEP_3)
	v_exp_f32_e32 v84, v82
	v_cndmask_b32_e32 v79, 0, v72, vcc_lo
	v_fma_f32 v72, s19, v140, -v71
	v_mul_f32_e32 v77, 0x3fb8aa3b, v77
	v_cndmask_b32_e64 v78, 0, v73, s2
	v_cndmask_b32_e64 v81, 0, v75, s3
	s_delay_alu instid0(VALU_DEP_4) | instskip(NEXT) | instid1(VALU_DEP_4)
	v_dual_add_f32 v73, 0, v79 :: v_dual_mul_f32 v72, 0x3fb8aa3b, v72
	v_exp_f32_e32 v77, v77
	v_cndmask_b32_e64 v80, 0, v76, s4
	s_delay_alu instid0(TRANS32_DEP_2) | instskip(NEXT) | instid1(VALU_DEP_3)
	v_cndmask_b32_e64 v85, 0, v84, s7
	v_add_f32_e32 v73, v73, v78
	v_exp_f32_e32 v72, v72
	v_cmp_gt_u32_e64 s2, 16, v70
	s_delay_alu instid0(VALU_DEP_2) | instskip(NEXT) | instid1(TRANS32_DEP_2)
	v_add_f32_e32 v73, v73, v81
	v_cndmask_b32_e64 v83, 0, v77, s5
	s_delay_alu instid0(VALU_DEP_2) | instskip(SKIP_3) | instid1(VALU_DEP_1)
	v_add_f32_e32 v73, v73, v80
	s_waitcnt_depctr 0xfff
	v_cndmask_b32_e64 v82, 0, v72, s6
	v_add_f32_e32 v72, v73, v83
	v_add_f32_e32 v72, v72, v82
	s_delay_alu instid0(VALU_DEP_1)
	v_add_f32_e32 v72, v72, v85
	v_fma_f32 v76, s19, v111, -v71
	v_fma_f32 v75, s19, v142, -v71
	;; [unrolled: 1-line block ×5, first 2 shown]
	s_delay_alu instid0(VALU_DEP_4) | instskip(NEXT) | instid1(VALU_DEP_3)
	v_dual_mul_f32 v76, 0x3fb8aa3b, v76 :: v_dual_mul_f32 v75, 0x3fb8aa3b, v75
	v_mul_f32_e32 v86, 0x3fb8aa3b, v86
	s_delay_alu instid0(VALU_DEP_2) | instskip(NEXT) | instid1(VALU_DEP_2)
	v_exp_f32_e32 v76, v76
	v_exp_f32_e32 v75, v75
	s_delay_alu instid0(VALU_DEP_1) | instskip(NEXT) | instid1(TRANS32_DEP_3)
	v_exp_f32_e32 v88, v86
	v_cndmask_b32_e64 v87, 0, v76, s9
	v_fma_f32 v76, s19, v116, -v71
	v_mul_f32_e32 v77, 0x3fb8aa3b, v77
	s_waitcnt_depctr 0xfff
	v_cndmask_b32_e64 v84, 0, v75, s8
	v_fma_f32 v75, s19, v115, -v71
	v_cndmask_b32_e64 v88, 0, v88, s12
	v_mul_f32_e32 v76, 0x3fb8aa3b, v76
	v_exp_f32_e32 v77, v77
	v_add_f32_e32 v72, v72, v84
	s_delay_alu instid0(VALU_DEP_2) | instskip(NEXT) | instid1(VALU_DEP_1)
	v_exp_f32_e32 v76, v76
	v_add_f32_e32 v72, v72, v87
	s_waitcnt_depctr 0xfff
	v_cndmask_b32_e64 v86, 0, v77, s10
	v_mul_f32_e32 v73, 0x3fb8aa3b, v73
	v_fma_f32 v77, s19, v117, -v71
	v_cndmask_b32_e64 v90, 0, v76, s15
	s_delay_alu instid0(VALU_DEP_4) | instskip(NEXT) | instid1(VALU_DEP_4)
	v_add_f32_e32 v72, v72, v86
	v_exp_f32_e32 v73, v73
	s_waitcnt_depctr 0xfff
	v_cndmask_b32_e64 v89, 0, v73, s11
	s_delay_alu instid0(VALU_DEP_1) | instskip(NEXT) | instid1(VALU_DEP_1)
	v_dual_mul_f32 v75, 0x3fb8aa3b, v75 :: v_dual_add_f32 v72, v72, v89
	v_exp_f32_e32 v75, v75
	v_mul_f32_e32 v73, 0x3fb8aa3b, v77
	v_fma_f32 v77, s19, v118, -v71
	s_delay_alu instid0(VALU_DEP_3) | instskip(NEXT) | instid1(VALU_DEP_3)
	v_add_f32_e32 v72, v72, v88
	v_exp_f32_e32 v73, v73
	s_waitcnt_depctr 0xfff
	v_cndmask_b32_e64 v91, 0, v75, s13
	s_delay_alu instid0(VALU_DEP_1) | instskip(NEXT) | instid1(VALU_DEP_1)
	v_dual_mul_f32 v75, 0x3fb8aa3b, v77 :: v_dual_add_f32 v72, v72, v91
	v_exp_f32_e32 v75, v75
	v_cndmask_b32_e64 v93, 0, v73, s16
	s_delay_alu instid0(VALU_DEP_2) | instskip(NEXT) | instid1(VALU_DEP_1)
	v_add_f32_e32 v72, v72, v90
	v_add_f32_e32 v72, v72, v93
	s_waitcnt_depctr 0xfff
	v_cndmask_b32_e64 v92, 0, v75, s17
	s_delay_alu instid0(VALU_DEP_1)
	v_add_f32_e32 v72, v72, v92
	ds_bpermute_b32 v73, v74, v72
	s_and_saveexec_b32 s3, s2
	s_cbranch_execz .LBB964_12
; %bb.11:
	v_mul_u32_u24_e32 v70, 0x44, v69
	s_waitcnt lgkmcnt(0)
	v_add_f32_e32 v72, v72, v73
	s_delay_alu instid0(VALU_DEP_2) | instskip(NEXT) | instid1(VALU_DEP_1)
	v_lshl_add_u32 v70, v68, 2, v70
	v_add_nc_u32_e32 v70, 0x4000, v70
	ds_store_2addr_b32 v70, v71, v72 offset1:136
.LBB964_12:
	s_or_b32 exec_lo, exec_lo, s3
	v_lshlrev_b32_e32 v70, 2, v68
	s_load_b32 s35, s[0:1], 0x94
	s_waitcnt lgkmcnt(0)
	s_barrier
	buffer_gl0_inv
	v_add_nc_u32_e32 v98, 0x4000, v70
	v_cmp_eq_u32_e32 vcc_lo, 1, v69
	v_cmp_eq_u32_e64 s3, 2, v69
	v_cmp_eq_u32_e64 s4, 3, v69
	;; [unrolled: 1-line block ×3, first 2 shown]
	ds_load_2addr_b32 v[70:71], v98 offset1:17
	ds_load_2addr_b32 v[72:73], v98 offset0:34 offset1:51
	ds_load_2addr_b32 v[74:75], v98 offset0:68 offset1:85
	;; [unrolled: 1-line block ×3, first 2 shown]
	v_cmp_eq_u32_e64 s6, 5, v69
	v_cmp_eq_u32_e64 s7, 7, v69
	s_waitcnt lgkmcnt(3)
	v_max3_f32 v76, v70, 0xff7fffff, v71
	s_waitcnt lgkmcnt(2)
	s_delay_alu instid0(VALU_DEP_1) | instskip(SKIP_1) | instid1(VALU_DEP_1)
	v_max3_f32 v76, v76, v72, v73
	s_waitcnt lgkmcnt(1)
	v_max3_f32 v76, v76, v74, v75
	s_waitcnt lgkmcnt(0)
	s_delay_alu instid0(VALU_DEP_1) | instskip(NEXT) | instid1(VALU_DEP_1)
	v_max3_f32 v76, v76, v94, v95
	v_sub_f32_e32 v77, v71, v76
	ds_load_2addr_b32 v[96:97], v98 offset0:136 offset1:153
	v_sub_f32_e32 v74, v74, v76
	v_sub_f32_e32 v70, v70, v76
	;; [unrolled: 1-line block ×3, first 2 shown]
	v_dual_sub_f32 v72, v72, v76 :: v_dual_mul_f32 v77, 0x3fb8aa3b, v77
	s_delay_alu instid0(VALU_DEP_4) | instskip(NEXT) | instid1(VALU_DEP_4)
	v_mul_f32_e32 v103, 0x3fb8aa3b, v74
	v_mul_f32_e32 v99, 0x3fb8aa3b, v70
	ds_load_2addr_b32 v[70:71], v98 offset0:170 offset1:187
	v_dual_mul_f32 v101, 0x3fb8aa3b, v72 :: v_dual_mul_f32 v94, 0x3fb8aa3b, v94
	v_exp_f32_e32 v102, v77
	v_exp_f32_e32 v99, v99
	s_delay_alu instid0(VALU_DEP_1) | instskip(NEXT) | instid1(VALU_DEP_1)
	v_exp_f32_e32 v101, v101
	v_exp_f32_e32 v94, v94
	s_waitcnt lgkmcnt(1)
	s_delay_alu instid0(TRANS32_DEP_3)
	v_fma_f32 v77, v99, v96, 0
	v_sub_f32_e32 v100, v73, v76
	ds_load_2addr_b32 v[72:73], v98 offset0:204 offset1:221
	v_fmac_f32_e32 v77, v102, v97
	v_exp_f32_e32 v97, v103
	s_waitcnt lgkmcnt(1)
	s_delay_alu instid0(VALU_DEP_1)
	v_dual_fmac_f32 v77, v101, v70 :: v_dual_sub_f32 v96, v75, v76
	ds_load_2addr_b32 v[74:75], v98 offset0:238 offset1:255
	v_sub_f32_e32 v70, v95, v76
	s_waitcnt lgkmcnt(0)
	s_barrier
	v_mul_f32_e32 v96, 0x3fb8aa3b, v96
	buffer_gl0_inv
	v_exp_f32_e32 v95, v96
	v_mul_f32_e32 v100, 0x3fb8aa3b, v100
	s_delay_alu instid0(VALU_DEP_1) | instskip(SKIP_3) | instid1(VALU_DEP_2)
	v_exp_f32_e32 v100, v100
	s_waitcnt_depctr 0xfff
	v_dual_fmac_f32 v77, v100, v71 :: v_dual_mul_f32 v70, 0x3fb8aa3b, v70
	v_cndmask_b32_e32 v71, v99, v102, vcc_lo
	v_fmac_f32_e32 v77, v97, v72
	s_delay_alu instid0(VALU_DEP_3) | instskip(NEXT) | instid1(VALU_DEP_1)
	v_exp_f32_e32 v96, v70
	v_fmac_f32_e32 v77, v95, v73
	s_delay_alu instid0(VALU_DEP_1) | instskip(SKIP_2) | instid1(VALU_DEP_1)
	v_fmac_f32_e32 v77, v94, v74
	s_waitcnt_depctr 0xfff
	v_fmac_f32_e32 v77, v96, v75
	v_add_f32_e32 v74, 0x358637bd, v77
	s_delay_alu instid0(VALU_DEP_1) | instskip(SKIP_1) | instid1(VALU_DEP_2)
	v_div_scale_f32 v98, null, v74, v74, 1.0
	v_div_scale_f32 v99, vcc_lo, 1.0, v74, 1.0
	v_rcp_f32_e32 v103, v98
	s_waitcnt_depctr 0xfff
	v_fma_f32 v70, -v98, v103, 1.0
	s_delay_alu instid0(VALU_DEP_1) | instskip(SKIP_2) | instid1(VALU_DEP_2)
	v_fmac_f32_e32 v103, v70, v103
	v_cndmask_b32_e64 v70, v71, v101, s3
	v_cmp_eq_u32_e64 s3, 6, v69
	v_cndmask_b32_e64 v71, v70, v100, s4
	s_delay_alu instid0(VALU_DEP_4) | instskip(NEXT) | instid1(VALU_DEP_2)
	v_dual_mul_f32 v101, v99, v103 :: v_dual_lshlrev_b32 v70, 2, v66
	v_cndmask_b32_e64 v71, v71, v97, s5
	s_delay_alu instid0(VALU_DEP_2) | instskip(NEXT) | instid1(VALU_DEP_3)
	v_or_b32_e32 v72, 1, v70
	v_fma_f32 v100, -v98, v101, v99
	v_cmp_eq_u32_e64 s4, 1, v70
	v_cmp_eq_u32_e64 s5, 2, v70
	v_cndmask_b32_e64 v95, v71, v95, s6
	v_or_b32_e32 v71, 3, v70
	v_fmac_f32_e32 v101, v100, v103
	v_cmp_eq_u32_e64 s9, 1, v72
	v_cmp_eq_u32_e64 s12, 2, v72
	v_cndmask_b32_e64 v94, v95, v94, s3
	v_cmp_eq_u32_e64 s11, 1, v71
	v_fma_f32 v97, -v98, v101, v99
	v_cmp_eq_u32_e64 s16, 2, v71
	v_cmp_eq_u32_e64 s13, 3, v72
	v_cndmask_b32_e64 v94, v94, v96, s7
	v_cmp_eq_u32_e64 s18, 3, v71
	v_div_fmas_f32 v95, v97, v103, v101
	v_cmp_eq_u32_e32 vcc_lo, 3, v70
	v_cmp_eq_u32_e64 s3, 4, v70
	v_cmp_eq_u32_e64 s19, 4, v72
	;; [unrolled: 1-line block ×3, first 2 shown]
	v_div_fixup_f32 v95, v95, v74, 1.0
	v_lshlrev_b32_e32 v73, 6, v68
	v_cmp_eq_u32_e64 s6, 5, v70
	v_cmp_eq_u32_e64 s20, 5, v72
	;; [unrolled: 1-line block ×3, first 2 shown]
	v_mul_f32_e32 v102, v94, v95
	v_lshl_or_b32 v75, v69, 11, v73
	v_or_b32_e32 v69, 2, v70
	v_cmp_eq_u32_e64 s25, 6, v72
	v_cmp_eq_u32_e64 s27, 6, v71
	v_fma_mixlo_f16 v94, v102, v79, 0
	v_fma_mixlo_f16 v95, v102, v81, 0
	;; [unrolled: 1-line block ×8, first 2 shown]
	v_lshl_or_b32 v74, v66, 4, v75
	v_fma_mixhi_f16 v94, v102, v78, 0
	v_fma_mixhi_f16 v95, v102, v80, 0
	;; [unrolled: 1-line block ×8, first 2 shown]
	ds_store_b128 v74, v[94:97]
	ds_store_b128 v74, v[98:101] offset:1024
	s_waitcnt lgkmcnt(0)
	s_barrier
	buffer_gl0_inv
	ds_load_b128 v[78:81], v75
	ds_load_b128 v[82:85], v75 offset:16
	ds_load_b128 v[86:89], v75 offset:1024
	;; [unrolled: 1-line block ×3, first 2 shown]
	v_cmp_eq_u32_e64 s10, 1, v69
	v_cmp_eq_u32_e64 s15, 2, v69
	;; [unrolled: 1-line block ×11, first 2 shown]
	s_waitcnt lgkmcnt(3)
	v_lshrrev_b32_e32 v94, 16, v78
	s_waitcnt lgkmcnt(2)
	v_lshrrev_b32_e32 v98, 16, v82
	;; [unrolled: 2-line block ×4, first 2 shown]
	v_lshrrev_b32_e32 v95, 16, v79
	v_cndmask_b32_e64 v110, v78, v94, s4
	v_cndmask_b32_e64 v111, v82, v98, s4
	v_cndmask_b32_e64 v112, v78, v94, s9
	v_cndmask_b32_e64 v113, v82, v98, s9
	v_cndmask_b32_e64 v114, v78, v94, s10
	v_cndmask_b32_e64 v115, v82, v98, s10
	v_cndmask_b32_e64 v78, v78, v94, s11
	v_cndmask_b32_e64 v82, v82, v98, s11
	v_lshrrev_b32_e32 v99, 16, v83
	v_cndmask_b32_e64 v94, v86, v102, s4
	v_cndmask_b32_e64 v98, v90, v106, s4
	;; [unrolled: 1-line block ×15, first 2 shown]
	v_lshrrev_b32_e32 v103, 16, v87
	v_lshrrev_b32_e32 v107, 16, v91
	v_cndmask_b32_e64 v113, v115, v83, s15
	v_cndmask_b32_e64 v82, v94, v87, s5
	;; [unrolled: 1-line block ×7, first 2 shown]
	v_cndmask_b32_e32 v90, v102, v95, vcc_lo
	v_cndmask_b32_e32 v102, v106, v99, vcc_lo
	v_cndmask_b32_e64 v106, v110, v95, s13
	v_cndmask_b32_e64 v110, v111, v99, s13
	;; [unrolled: 1-line block ×4, first 2 shown]
	v_lshrrev_b32_e32 v96, 16, v80
	v_lshrrev_b32_e32 v100, 16, v84
	v_cndmask_b32_e64 v111, v112, v95, s17
	v_cndmask_b32_e64 v112, v113, v99, s17
	v_cndmask_b32_e32 v82, v82, v103, vcc_lo
	v_cndmask_b32_e32 v83, v83, v107, vcc_lo
	v_cndmask_b32_e64 v94, v94, v103, s13
	v_cndmask_b32_e64 v90, v90, v80, s3
	;; [unrolled: 1-line block ×7, first 2 shown]
	v_lshrrev_b32_e32 v104, 16, v88
	v_cndmask_b32_e64 v106, v111, v80, s21
	v_cndmask_b32_e64 v110, v112, v84, s21
	;; [unrolled: 1-line block ×11, first 2 shown]
	v_lshrrev_b32_e32 v97, 16, v81
	v_lshrrev_b32_e32 v101, 16, v85
	v_cndmask_b32_e64 v99, v106, v96, s23
	v_cndmask_b32_e64 v102, v110, v100, s23
	;; [unrolled: 1-line block ×7, first 2 shown]
	v_lshrrev_b32_e32 v105, 16, v89
	v_cndmask_b32_e64 v80, v80, v104, s6
	v_cndmask_b32_e64 v84, v84, v81, s7
	;; [unrolled: 1-line block ×16, first 2 shown]
	v_perm_b32 v81, v79, v78, 0x5040100
	v_perm_b32 v79, v95, v85, 0x5040100
	v_cndmask_b32_e64 v78, v119, v91, s15
	v_cndmask_b32_e64 v85, v117, v91, s12
	;; [unrolled: 1-line block ×3, first 2 shown]
	v_perm_b32 v80, v94, v90, 0x5040100
	v_cndmask_b32_e64 v90, v98, v103, s17
	v_cndmask_b32_e64 v86, v86, v103, s18
	;; [unrolled: 1-line block ×5, first 2 shown]
	v_lshrrev_b32_e32 v108, 16, v92
	v_cndmask_b32_e64 v90, v90, v88, s21
	v_cndmask_b32_e64 v86, v86, v88, s22
	v_cndmask_b32_e64 v87, v87, v92, s22
	v_cndmask_b32_e64 v78, v78, v92, s21
	v_cndmask_b32_e64 v85, v85, v92, s19
	v_cndmask_b32_e64 v82, v82, v108, s6
	v_cndmask_b32_e64 v88, v90, v104, s23
	v_cndmask_b32_e64 v86, v86, v104, s24
	v_cndmask_b32_e64 v87, v87, v108, s24
	v_cndmask_b32_e64 v78, v78, v108, s23
	v_cndmask_b32_e64 v85, v85, v108, s20
	v_lshrrev_b32_e32 v109, 16, v93
	v_cndmask_b32_e64 v82, v82, v93, s7
	v_cndmask_b32_e64 v88, v88, v89, s26
	v_cndmask_b32_e64 v86, v86, v89, s27
	v_cndmask_b32_e64 v87, v87, v93, s27
	v_cndmask_b32_e64 v78, v78, v93, s26
	v_cndmask_b32_e64 v85, v85, v93, s25
	v_cndmask_b32_e64 v88, v88, v105, s28
	v_cndmask_b32_e64 v86, v86, v105, s29
	v_cndmask_b32_e64 v87, v87, v109, s29
	v_cndmask_b32_e64 v89, v78, v109, s28
	v_cndmask_b32_e64 v90, v85, v109, s30
	v_cndmask_b32_e64 v82, v82, v109, s8
	v_perm_b32 v78, v84, v83, 0x5040100
	v_perm_b32 v85, v87, v86, 0x5040100
	;; [unrolled: 1-line block ×5, first 2 shown]
	s_mul_i32 s8, s33, 15
	s_mov_b32 s3, exec_lo
	ds_store_b128 v74, v[78:81]
	ds_store_b128 v74, v[82:85] offset:1024
	v_cmpx_gt_u32_e32 15, v0
	s_cbranch_execz .LBB964_14
; %bb.13:
	s_mul_i32 s4, s8, s34
	s_delay_alu instid0(SALU_CYCLE_1) | instskip(SKIP_1) | instid1(VALU_DEP_1)
	v_add3_u32 v68, s4, s31, v68
	s_load_b128 s[4:7], s[0:1], 0x58
	v_mad_u64_u32 v[78:79], null, v68, s35, s[14:15]
	s_delay_alu instid0(VALU_DEP_1) | instskip(NEXT) | instid1(VALU_DEP_1)
	v_ashrrev_i32_e32 v79, 31, v78
	v_lshlrev_b64 v[78:79], 2, v[78:79]
	s_waitcnt lgkmcnt(0)
	s_delay_alu instid0(VALU_DEP_1) | instskip(NEXT) | instid1(VALU_DEP_2)
	v_add_co_u32 v80, vcc_lo, s6, v78
	v_add_co_ci_u32_e32 v81, vcc_lo, s7, v79, vcc_lo
	v_add_co_u32 v78, vcc_lo, s4, v78
	v_add_co_ci_u32_e32 v79, vcc_lo, s5, v79, vcc_lo
	global_store_b32 v[80:81], v76, off
	global_store_b32 v[78:79], v77, off
.LBB964_14:
	s_or_b32 exec_lo, exec_lo, s3
	s_waitcnt lgkmcnt(0)
	s_waitcnt_vscnt null, 0x0
	s_barrier
	buffer_gl0_inv
	ds_load_b128 v[84:87], v73
	ds_load_b128 v[88:91], v73 offset:16
	ds_load_b128 v[96:99], v73 offset:2064
	;; [unrolled: 1-line block ×5, first 2 shown]
	v_cmp_eq_u32_e32 vcc_lo, 1, v70
	v_mov_b32_e32 v76, 0
	ds_load_b128 v[112:115], v73 offset:6160
	ds_load_b128 v[108:111], v73 offset:6144
	;; [unrolled: 1-line block ×4, first 2 shown]
	v_cmp_eq_u32_e64 s4, 1, v69
	v_cmp_eq_u32_e64 s3, 1, v72
	;; [unrolled: 1-line block ×3, first 2 shown]
	v_mov_b32_e32 v77, v76
	v_mov_b32_e32 v78, v76
	;; [unrolled: 1-line block ×7, first 2 shown]
	v_cmp_eq_u32_e64 s6, 3, v72
	v_cmp_eq_u32_e64 s7, 7, v72
	s_waitcnt lgkmcnt(8)
	s_delay_alu instid0(VALU_DEP_3)
	v_wmma_f32_16x16x16_f16 v[76:83], v[49:56], v[84:91], v[76:83]
	ds_load_b128 v[53:56], v73 offset:10256
	ds_load_b128 v[49:52], v73 offset:10240
	s_waitcnt lgkmcnt(8)
	v_wmma_f32_16x16x16_f16 v[76:83], v[41:48], v[92:99], v[76:83]
	ds_load_b128 v[45:48], v73 offset:12304
	ds_load_b128 v[41:44], v73 offset:12288
	s_waitcnt lgkmcnt(8)
	;; [unrolled: 4-line block ×3, first 2 shown]
	s_barrier
	buffer_gl0_inv
	v_wmma_f32_16x16x16_f16 v[76:83], v[1:8], v[108:115], v[76:83]
	s_delay_alu instid0(VALU_DEP_1) | instskip(NEXT) | instid1(VALU_DEP_1)
	v_wmma_f32_16x16x16_f16 v[76:83], v[9:16], v[116:123], v[76:83]
	v_wmma_f32_16x16x16_f16 v[76:83], v[17:24], v[49:56], v[76:83]
	s_delay_alu instid0(VALU_DEP_1) | instskip(NEXT) | instid1(VALU_DEP_1)
	v_wmma_f32_16x16x16_f16 v[76:83], v[25:32], v[41:48], v[76:83]
	v_wmma_f32_16x16x16_f16 v[76:83], v[57:64], v[33:40], v[76:83]
	s_delay_alu instid0(VALU_DEP_1) | instskip(NEXT) | instid1(VALU_DEP_2)
	v_cvt_f16_f32_e32 v1, v76
	v_cvt_f16_f32_e32 v2, v77
	s_delay_alu instid0(VALU_DEP_3) | instskip(NEXT) | instid1(VALU_DEP_4)
	v_cvt_f16_f32_e32 v3, v78
	v_cvt_f16_f32_e32 v4, v79
	;; [unrolled: 1-line block ×6, first 2 shown]
	v_pack_b32_f16 v1, v1, v2
	v_pack_b32_f16 v2, v3, v4
	;; [unrolled: 1-line block ×3, first 2 shown]
	s_delay_alu instid0(VALU_DEP_4)
	v_pack_b32_f16 v4, v7, v8
	ds_store_b128 v74, v[1:4]
	s_waitcnt lgkmcnt(0)
	s_barrier
	buffer_gl0_inv
	ds_load_b128 v[1:4], v75
	ds_load_b128 v[5:8], v75 offset:16
	s_waitcnt lgkmcnt(1)
	v_lshrrev_b32_e32 v9, 16, v1
	s_waitcnt lgkmcnt(0)
	v_lshrrev_b32_e32 v13, 16, v5
	v_lshrrev_b32_e32 v10, 16, v2
	;; [unrolled: 1-line block ×4, first 2 shown]
	v_cndmask_b32_e32 v17, v1, v9, vcc_lo
	v_cndmask_b32_e32 v18, v5, v13, vcc_lo
	v_cndmask_b32_e64 v21, v1, v9, s4
	v_cmp_eq_u32_e32 vcc_lo, 1, v71
	v_cndmask_b32_e64 v22, v5, v13, s4
	v_cmp_eq_u32_e64 s4, 2, v70
	v_cndmask_b32_e64 v19, v1, v9, s3
	v_cndmask_b32_e64 v20, v5, v13, s3
	v_cndmask_b32_e32 v1, v1, v9, vcc_lo
	v_cmp_eq_u32_e64 s3, 2, v71
	v_cndmask_b32_e32 v5, v5, v13, vcc_lo
	v_cndmask_b32_e64 v9, v17, v2, s4
	v_cmp_eq_u32_e32 vcc_lo, 3, v70
	v_cndmask_b32_e64 v13, v18, v6, s4
	v_cmp_eq_u32_e64 s4, 2, v69
	v_cndmask_b32_e64 v17, v19, v2, s5
	v_cndmask_b32_e64 v18, v20, v6, s5
	v_cmp_eq_u32_e64 s5, 3, v69
	v_cndmask_b32_e64 v1, v1, v2, s3
	v_cndmask_b32_e64 v19, v21, v2, s4
	;; [unrolled: 1-line block ×4, first 2 shown]
	v_cndmask_b32_e32 v5, v9, v10, vcc_lo
	v_cndmask_b32_e32 v6, v13, v14, vcc_lo
	v_cmp_eq_u32_e32 vcc_lo, 3, v71
	v_cndmask_b32_e64 v9, v17, v10, s6
	v_cndmask_b32_e64 v13, v18, v14, s6
	;; [unrolled: 1-line block ×3, first 2 shown]
	v_cmp_eq_u32_e64 s4, 4, v70
	v_cndmask_b32_e32 v1, v1, v10, vcc_lo
	v_cndmask_b32_e32 v2, v2, v14, vcc_lo
	v_cmp_eq_u32_e32 vcc_lo, 4, v72
	v_lshrrev_b32_e32 v15, 16, v7
	v_lshrrev_b32_e32 v16, 16, v8
	v_cndmask_b32_e64 v17, v19, v10, s5
	v_cmp_eq_u32_e64 s3, 4, v71
	v_cndmask_b32_e64 v5, v5, v3, s4
	v_cndmask_b32_e64 v6, v6, v7, s4
	v_cndmask_b32_e32 v9, v9, v3, vcc_lo
	v_cmp_eq_u32_e64 s4, 5, v72
	v_cndmask_b32_e32 v10, v13, v7, vcc_lo
	v_cmp_eq_u32_e32 vcc_lo, 4, v69
	v_cmp_eq_u32_e64 s5, 5, v70
	v_cndmask_b32_e64 v2, v2, v7, s3
	v_cndmask_b32_e64 v9, v9, v11, s4
	;; [unrolled: 1-line block ×3, first 2 shown]
	v_cndmask_b32_e32 v13, v17, v3, vcc_lo
	v_cmp_eq_u32_e64 s4, 5, v69
	v_cndmask_b32_e32 v14, v18, v7, vcc_lo
	v_cndmask_b32_e64 v1, v1, v3, s3
	v_cmp_eq_u32_e32 vcc_lo, 5, v71
	v_lshrrev_b32_e32 v12, 16, v4
	v_cndmask_b32_e64 v13, v13, v11, s4
	v_cndmask_b32_e64 v3, v14, v15, s4
	v_cmp_eq_u32_e64 s4, 6, v71
	v_cndmask_b32_e32 v1, v1, v11, vcc_lo
	v_cndmask_b32_e64 v5, v5, v11, s5
	v_cmp_eq_u32_e64 s6, 6, v70
	v_cndmask_b32_e64 v6, v6, v15, s5
	v_cmp_eq_u32_e64 s5, 6, v72
	v_cmp_eq_u32_e64 s3, 6, v69
	v_cndmask_b32_e64 v1, v1, v4, s4
	v_cndmask_b32_e32 v2, v2, v15, vcc_lo
	v_cmp_eq_u32_e32 vcc_lo, 7, v71
	v_cndmask_b32_e64 v5, v5, v4, s6
	v_cndmask_b32_e64 v9, v9, v4, s5
	;; [unrolled: 1-line block ×3, first 2 shown]
	v_cmp_eq_u32_e64 s6, 7, v70
	v_cndmask_b32_e32 v1, v1, v12, vcc_lo
	v_cndmask_b32_e64 v7, v13, v4, s3
	v_cndmask_b32_e64 v3, v3, v8, s3
	;; [unrolled: 1-line block ×3, first 2 shown]
	v_cmp_eq_u32_e64 s3, 7, v69
	v_cndmask_b32_e64 v4, v10, v8, s5
	v_cndmask_b32_e64 v5, v5, v12, s6
	;; [unrolled: 1-line block ×3, first 2 shown]
	v_cndmask_b32_e32 v2, v2, v16, vcc_lo
	v_cndmask_b32_e64 v7, v7, v12, s3
	v_cndmask_b32_e64 v3, v3, v16, s3
	;; [unrolled: 1-line block ×4, first 2 shown]
	v_perm_b32 v4, v2, v1, 0x5040100
	s_mov_b32 s3, exec_lo
	v_perm_b32 v3, v3, v7, 0x5040100
	v_perm_b32 v2, v8, v9, 0x5040100
	;; [unrolled: 1-line block ×3, first 2 shown]
	ds_store_b128 v74, v[1:4]
	s_waitcnt lgkmcnt(0)
	s_barrier
	buffer_gl0_inv
	v_cmpx_gt_u32_e32 32, v0
	s_cbranch_execz .LBB964_2
; %bb.15:
	s_load_b64 s[4:5], s[0:1], 0x68
	v_add_nc_u32_e32 v20, s31, v66
	v_lshlrev_b32_e32 v0, 10, v0
	v_lshlrev_b32_e32 v1, 4, v67
	s_lshl_b32 s0, s35, 7
	s_delay_alu instid0(SALU_CYCLE_1)
	s_mul_i32 s1, s0, s34
	v_add_nc_u32_e32 v2, 2, v20
	s_mul_i32 s6, s1, s8
	v_and_or_b32 v0, 0x3800, v0, v1
	v_mul_lo_u32 v1, v20, s0
	s_ashr_i32 s7, s6, 31
	v_mul_lo_u32 v11, v2, s0
	s_lshl_b64 s[6:7], s[6:7], 1
	v_add_nc_u32_e32 v3, 4, v20
	v_lshl_or_b32 v21, v66, 6, v0
	v_add_nc_u32_e32 v16, 6, v20
	v_ashrrev_i32_e32 v2, 31, v1
	s_delay_alu instid0(VALU_DEP_4)
	v_mul_lo_u32 v13, v3, s0
	s_waitcnt lgkmcnt(0)
	s_add_u32 s1, s4, s6
	s_addc_u32 s3, s5, s7
	s_lshl_b32 s4, s14, 7
	ds_load_b128 v[3:6], v21
	ds_load_b128 v[7:10], v21 offset:128
	s_ashr_i32 s5, s4, 31
	v_ashrrev_i32_e32 v12, 31, v11
	s_lshl_b64 s[4:5], s[4:5], 1
	v_lshlrev_b64 v[14:15], 1, v[1:2]
	s_add_u32 s1, s1, s4
	s_addc_u32 s3, s3, s5
	v_add_co_u32 v1, s1, s1, v65
	s_delay_alu instid0(VALU_DEP_1) | instskip(SKIP_1) | instid1(VALU_DEP_3)
	v_add_co_ci_u32_e64 v2, null, s3, 0, s1
	v_lshlrev_b64 v[11:12], 1, v[11:12]
	v_add_co_u32 v18, vcc_lo, v1, v14
	v_mul_lo_u32 v16, v16, s0
	s_delay_alu instid0(VALU_DEP_4) | instskip(NEXT) | instid1(VALU_DEP_4)
	v_add_co_ci_u32_e32 v19, vcc_lo, v2, v15, vcc_lo
	v_add_co_u32 v11, vcc_lo, v1, v11
	v_ashrrev_i32_e32 v14, 31, v13
	v_add_co_ci_u32_e32 v12, vcc_lo, v2, v12, vcc_lo
	v_add_nc_u32_e32 v15, 8, v20
	v_ashrrev_i32_e32 v17, 31, v16
	s_waitcnt lgkmcnt(1)
	global_store_b128 v[18:19], v[3:6], off
	v_lshlrev_b64 v[3:4], 1, v[13:14]
	s_waitcnt lgkmcnt(0)
	global_store_b128 v[11:12], v[7:10], off
	v_mul_lo_u32 v11, v15, s0
	v_add_nc_u32_e32 v7, 10, v20
	v_lshlrev_b64 v[5:6], 1, v[16:17]
	v_add_co_u32 v23, vcc_lo, v1, v3
	v_add_nc_u32_e32 v3, 12, v20
	s_delay_alu instid0(VALU_DEP_4)
	v_mul_lo_u32 v25, v7, s0
	v_ashrrev_i32_e32 v12, 31, v11
	v_add_co_ci_u32_e32 v24, vcc_lo, v2, v4, vcc_lo
	v_add_co_u32 v27, vcc_lo, v1, v5
	v_mul_lo_u32 v29, v3, s0
	v_add_co_ci_u32_e32 v28, vcc_lo, v2, v6, vcc_lo
	ds_load_b128 v[3:6], v21 offset:256
	ds_load_b128 v[7:10], v21 offset:384
	v_lshlrev_b64 v[31:32], 1, v[11:12]
	ds_load_b128 v[11:14], v21 offset:512
	ds_load_b128 v[15:18], v21 offset:640
	;; [unrolled: 1-line block ×3, first 2 shown]
	v_ashrrev_i32_e32 v26, 31, v25
	v_ashrrev_i32_e32 v30, 31, v29
	v_add_co_u32 v31, vcc_lo, v1, v31
	s_delay_alu instid0(VALU_DEP_3) | instskip(NEXT) | instid1(VALU_DEP_3)
	v_lshlrev_b64 v[25:26], 1, v[25:26]
	v_lshlrev_b64 v[29:30], 1, v[29:30]
	v_add_co_ci_u32_e32 v32, vcc_lo, v2, v32, vcc_lo
	s_delay_alu instid0(VALU_DEP_3) | instskip(NEXT) | instid1(VALU_DEP_4)
	v_add_co_u32 v25, vcc_lo, v1, v25
	v_add_co_ci_u32_e32 v26, vcc_lo, v2, v26, vcc_lo
	s_delay_alu instid0(VALU_DEP_4)
	v_add_co_u32 v29, vcc_lo, v1, v29
	v_add_co_ci_u32_e32 v30, vcc_lo, v2, v30, vcc_lo
	s_waitcnt lgkmcnt(4)
	global_store_b128 v[23:24], v[3:6], off
	s_waitcnt lgkmcnt(3)
	global_store_b128 v[27:28], v[7:10], off
	;; [unrolled: 2-line block ×5, first 2 shown]
	s_and_b32 exec_lo, exec_lo, s2
	s_cbranch_execz .LBB964_2
; %bb.16:
	ds_load_b128 v[3:6], v0 offset:896
	s_add_i32 s1, s31, 14
	s_delay_alu instid0(SALU_CYCLE_1) | instskip(NEXT) | instid1(SALU_CYCLE_1)
	s_mul_i32 s0, s1, s0
	s_ashr_i32 s1, s0, 31
	s_delay_alu instid0(SALU_CYCLE_1) | instskip(NEXT) | instid1(SALU_CYCLE_1)
	s_lshl_b64 s[0:1], s[0:1], 1
	v_add_co_u32 v0, vcc_lo, v1, s0
	v_add_co_ci_u32_e32 v1, vcc_lo, s1, v2, vcc_lo
	s_waitcnt lgkmcnt(0)
	global_store_b128 v[0:1], v[3:6], off
	s_nop 0
	s_sendmsg sendmsg(MSG_DEALLOC_VGPRS)
	s_endpgm
	.section	.rodata,"a",@progbits
	.p2align	6, 0x0
	.amdhsa_kernel _Z39paged_attention_ll4mi_QKV_mfma16_kernelIDF16_hLN4vllm18Fp8KVCacheDataTypeE1EhLi16ELi128ELi256ELb0ELi15EL8MFMAType1EEvPKT_PKT0_S8_ifPKiSA_SA_iPKfiiiPfSD_PS3_PT2_iSC_SC_
		.amdhsa_group_segment_fixed_size 17472
		.amdhsa_private_segment_fixed_size 0
		.amdhsa_kernarg_size 400
		.amdhsa_user_sgpr_count 13
		.amdhsa_user_sgpr_dispatch_ptr 0
		.amdhsa_user_sgpr_queue_ptr 0
		.amdhsa_user_sgpr_kernarg_segment_ptr 1
		.amdhsa_user_sgpr_dispatch_id 0
		.amdhsa_user_sgpr_private_segment_size 0
		.amdhsa_wavefront_size32 1
		.amdhsa_uses_dynamic_stack 0
		.amdhsa_enable_private_segment 0
		.amdhsa_system_sgpr_workgroup_id_x 1
		.amdhsa_system_sgpr_workgroup_id_y 1
		.amdhsa_system_sgpr_workgroup_id_z 1
		.amdhsa_system_sgpr_workgroup_info 0
		.amdhsa_system_vgpr_workitem_id 0
		.amdhsa_next_free_vgpr 150
		.amdhsa_next_free_sgpr 36
		.amdhsa_reserve_vcc 1
		.amdhsa_float_round_mode_32 0
		.amdhsa_float_round_mode_16_64 0
		.amdhsa_float_denorm_mode_32 3
		.amdhsa_float_denorm_mode_16_64 3
		.amdhsa_dx10_clamp 1
		.amdhsa_ieee_mode 1
		.amdhsa_fp16_overflow 0
		.amdhsa_workgroup_processor_mode 1
		.amdhsa_memory_ordered 1
		.amdhsa_forward_progress 0
		.amdhsa_shared_vgpr_count 0
		.amdhsa_exception_fp_ieee_invalid_op 0
		.amdhsa_exception_fp_denorm_src 0
		.amdhsa_exception_fp_ieee_div_zero 0
		.amdhsa_exception_fp_ieee_overflow 0
		.amdhsa_exception_fp_ieee_underflow 0
		.amdhsa_exception_fp_ieee_inexact 0
		.amdhsa_exception_int_div_zero 0
	.end_amdhsa_kernel
	.section	.text._Z39paged_attention_ll4mi_QKV_mfma16_kernelIDF16_hLN4vllm18Fp8KVCacheDataTypeE1EhLi16ELi128ELi256ELb0ELi15EL8MFMAType1EEvPKT_PKT0_S8_ifPKiSA_SA_iPKfiiiPfSD_PS3_PT2_iSC_SC_,"axG",@progbits,_Z39paged_attention_ll4mi_QKV_mfma16_kernelIDF16_hLN4vllm18Fp8KVCacheDataTypeE1EhLi16ELi128ELi256ELb0ELi15EL8MFMAType1EEvPKT_PKT0_S8_ifPKiSA_SA_iPKfiiiPfSD_PS3_PT2_iSC_SC_,comdat
.Lfunc_end964:
	.size	_Z39paged_attention_ll4mi_QKV_mfma16_kernelIDF16_hLN4vllm18Fp8KVCacheDataTypeE1EhLi16ELi128ELi256ELb0ELi15EL8MFMAType1EEvPKT_PKT0_S8_ifPKiSA_SA_iPKfiiiPfSD_PS3_PT2_iSC_SC_, .Lfunc_end964-_Z39paged_attention_ll4mi_QKV_mfma16_kernelIDF16_hLN4vllm18Fp8KVCacheDataTypeE1EhLi16ELi128ELi256ELb0ELi15EL8MFMAType1EEvPKT_PKT0_S8_ifPKiSA_SA_iPKfiiiPfSD_PS3_PT2_iSC_SC_
                                        ; -- End function
	.section	.AMDGPU.csdata,"",@progbits
; Kernel info:
; codeLenInByte = 6892
; NumSgprs: 38
; NumVgprs: 150
; ScratchSize: 0
; MemoryBound: 0
; FloatMode: 240
; IeeeMode: 1
; LDSByteSize: 17472 bytes/workgroup (compile time only)
; SGPRBlocks: 4
; VGPRBlocks: 18
; NumSGPRsForWavesPerEU: 38
; NumVGPRsForWavesPerEU: 150
; Occupancy: 9
; WaveLimiterHint : 1
; COMPUTE_PGM_RSRC2:SCRATCH_EN: 0
; COMPUTE_PGM_RSRC2:USER_SGPR: 13
; COMPUTE_PGM_RSRC2:TRAP_HANDLER: 0
; COMPUTE_PGM_RSRC2:TGID_X_EN: 1
; COMPUTE_PGM_RSRC2:TGID_Y_EN: 1
; COMPUTE_PGM_RSRC2:TGID_Z_EN: 1
; COMPUTE_PGM_RSRC2:TIDIG_COMP_CNT: 0
	.section	.text._Z39paged_attention_ll4mi_QKV_mfma16_kernelIDF16_hLN4vllm18Fp8KVCacheDataTypeE1EhLi16ELi128ELi256ELb0ELi16EL8MFMAType1EEvPKT_PKT0_S8_ifPKiSA_SA_iPKfiiiPfSD_PS3_PT2_iSC_SC_,"axG",@progbits,_Z39paged_attention_ll4mi_QKV_mfma16_kernelIDF16_hLN4vllm18Fp8KVCacheDataTypeE1EhLi16ELi128ELi256ELb0ELi16EL8MFMAType1EEvPKT_PKT0_S8_ifPKiSA_SA_iPKfiiiPfSD_PS3_PT2_iSC_SC_,comdat
	.protected	_Z39paged_attention_ll4mi_QKV_mfma16_kernelIDF16_hLN4vllm18Fp8KVCacheDataTypeE1EhLi16ELi128ELi256ELb0ELi16EL8MFMAType1EEvPKT_PKT0_S8_ifPKiSA_SA_iPKfiiiPfSD_PS3_PT2_iSC_SC_ ; -- Begin function _Z39paged_attention_ll4mi_QKV_mfma16_kernelIDF16_hLN4vllm18Fp8KVCacheDataTypeE1EhLi16ELi128ELi256ELb0ELi16EL8MFMAType1EEvPKT_PKT0_S8_ifPKiSA_SA_iPKfiiiPfSD_PS3_PT2_iSC_SC_
	.globl	_Z39paged_attention_ll4mi_QKV_mfma16_kernelIDF16_hLN4vllm18Fp8KVCacheDataTypeE1EhLi16ELi128ELi256ELb0ELi16EL8MFMAType1EEvPKT_PKT0_S8_ifPKiSA_SA_iPKfiiiPfSD_PS3_PT2_iSC_SC_
	.p2align	8
	.type	_Z39paged_attention_ll4mi_QKV_mfma16_kernelIDF16_hLN4vllm18Fp8KVCacheDataTypeE1EhLi16ELi128ELi256ELb0ELi16EL8MFMAType1EEvPKT_PKT0_S8_ifPKiSA_SA_iPKfiiiPfSD_PS3_PT2_iSC_SC_,@function
_Z39paged_attention_ll4mi_QKV_mfma16_kernelIDF16_hLN4vllm18Fp8KVCacheDataTypeE1EhLi16ELi128ELi256ELb0ELi16EL8MFMAType1EEvPKT_PKT0_S8_ifPKiSA_SA_iPKfiiiPfSD_PS3_PT2_iSC_SC_: ; @_Z39paged_attention_ll4mi_QKV_mfma16_kernelIDF16_hLN4vllm18Fp8KVCacheDataTypeE1EhLi16ELi128ELi256ELb0ELi16EL8MFMAType1EEvPKT_PKT0_S8_ifPKiSA_SA_iPKfiiiPfSD_PS3_PT2_iSC_SC_
; %bb.0:
	s_load_b64 s[4:5], s[0:1], 0x30
	s_mov_b32 s30, s13
	s_waitcnt lgkmcnt(0)
	s_cmp_lg_u64 s[4:5], 0
	s_cselect_b32 s8, -1, 0
	s_ashr_i32 s31, s13, 31
	s_cmp_eq_u64 s[4:5], 0
	s_cbranch_scc1 .LBB965_3
; %bb.1:
	s_lshl_b64 s[2:3], s[30:31], 2
	s_delay_alu instid0(SALU_CYCLE_1) | instskip(SKIP_4) | instid1(SALU_CYCLE_1)
	s_add_u32 s2, s4, s2
	s_addc_u32 s3, s5, s3
	s_load_b64 s[2:3], s[2:3], 0x0
	s_waitcnt lgkmcnt(0)
	s_sub_i32 s2, s3, s2
	s_cmp_eq_u32 s2, 1
	s_cselect_b32 s2, -1, 0
	s_delay_alu instid0(SALU_CYCLE_1)
	s_and_not1_b32 vcc_lo, exec_lo, s2
	s_cbranch_vccz .LBB965_4
.LBB965_2:
	s_endpgm
.LBB965_3:
.LBB965_4:
	s_load_b64 s[2:3], s[0:1], 0x28
	s_lshl_b64 s[6:7], s[30:31], 2
	s_waitcnt lgkmcnt(0)
	s_add_u32 s2, s2, s6
	s_addc_u32 s3, s3, s7
	s_lshl_b32 s12, s14, 8
	s_load_b32 s24, s[2:3], 0x0
	s_waitcnt lgkmcnt(0)
	s_cmp_ge_i32 s12, s24
	s_cbranch_scc1 .LBB965_2
; %bb.5:
	s_clause 0x1
	s_load_b128 s[20:23], s[0:1], 0x8
	s_load_b64 s[2:3], s[0:1], 0x20
	s_and_not1_b32 vcc_lo, exec_lo, s8
	s_cbranch_vccnz .LBB965_7
; %bb.6:
	s_add_u32 s4, s4, s6
	s_addc_u32 s5, s5, s7
	s_load_b32 s5, s[4:5], 0x0
	s_branch .LBB965_8
.LBB965_7:
	s_mov_b32 s5, s30
.LBB965_8:
	s_load_b128 s[16:19], s[0:1], 0x48
	v_and_b32_e32 v70, 15, v0
	v_lshrrev_b32_e32 v69, 5, v0
	v_and_b32_e32 v71, 31, v0
	v_and_b32_e32 v67, 1, v0
	v_bfe_u32 v66, v0, 4, 1
	v_lshlrev_b32_e32 v1, 3, v70
	s_lshl_b32 s31, s15, 4
	s_mov_b32 s4, exec_lo
	s_delay_alu instid0(VALU_DEP_1)
	v_lshlrev_b32_e32 v65, 1, v1
	v_cmpx_gt_u32_e32 0x100, v0
	s_cbranch_execz .LBB965_10
; %bb.9:
	v_lshl_or_b32 v5, v69, 1, v66
	s_load_b64 s[6:7], s[0:1], 0x0
	s_waitcnt lgkmcnt(0)
	s_mul_hi_i32 s9, s5, s16
	s_mul_i32 s8, s5, s16
	v_lshlrev_b32_e32 v6, 10, v70
	v_or_b32_e32 v1, s31, v5
	s_lshl_b64 s[8:9], s[8:9], 1
	v_lshlrev_b32_e32 v5, 6, v5
	v_lshlrev_b32_e32 v7, 10, v67
	v_and_b32_e32 v6, 0x3800, v6
	v_lshlrev_b32_e32 v1, 7, v1
	s_delay_alu instid0(VALU_DEP_2) | instskip(NEXT) | instid1(VALU_DEP_2)
	v_or3_b32 v5, v6, v7, v5
	v_ashrrev_i32_e32 v2, 31, v1
	s_delay_alu instid0(VALU_DEP_1) | instskip(SKIP_2) | instid1(VALU_DEP_1)
	v_lshlrev_b64 v[1:2], 1, v[1:2]
	s_add_u32 s5, s6, s8
	s_addc_u32 s6, s7, s9
	v_add_co_u32 v1, vcc_lo, s5, v1
	s_delay_alu instid0(VALU_DEP_2) | instskip(NEXT) | instid1(VALU_DEP_2)
	v_add_co_ci_u32_e32 v2, vcc_lo, s6, v2, vcc_lo
	v_add_co_u32 v1, vcc_lo, v1, v65
	s_delay_alu instid0(VALU_DEP_2)
	v_add_co_ci_u32_e32 v2, vcc_lo, 0, v2, vcc_lo
	global_load_b128 v[1:4], v[1:2], off
	s_waitcnt vmcnt(0)
	ds_store_b128 v5, v[1:4]
.LBB965_10:
	s_or_b32 exec_lo, exec_lo, s4
	v_and_b32_e32 v1, 0xef, v0
	s_waitcnt lgkmcnt(0)
	s_add_i32 s5, s24, 15
	s_clause 0x1
	s_load_b32 s4, s[0:1], 0x38
	s_load_b32 s33, s[0:1], 0x98
	s_ashr_i32 s6, s5, 31
	v_add_nc_u32_e32 v1, s12, v1
	s_lshr_b32 s6, s6, 28
	s_load_b32 s19, s[0:1], 0x1c
	s_add_i32 s5, s5, s6
	s_waitcnt lgkmcnt(0)
	v_ashrrev_i32_e32 v2, 31, v1
	v_or_b32_e32 v3, 16, v1
	s_ashr_i32 s13, s5, 4
	v_cmp_gt_i32_e32 vcc_lo, s24, v1
	s_add_i32 s13, s13, -1
	v_lshrrev_b32_e32 v2, 28, v2
	s_barrier
	buffer_gl0_inv
	s_mul_i32 s15, s15, s18
	v_lshlrev_b32_e32 v41, 4, v70
	v_add_nc_u32_e32 v4, v1, v2
	s_mul_i32 s4, s30, s4
	s_delay_alu instid0(SALU_CYCLE_1) | instskip(NEXT) | instid1(VALU_DEP_1)
	s_ashr_i32 s5, s4, 31
	v_ashrrev_i32_e32 v4, 4, v4
	v_add_nc_u32_e32 v2, v3, v2
	s_lshl_b64 s[4:5], s[4:5], 2
	v_lshl_or_b32 v41, v69, 8, v41
	s_add_u32 s16, s2, s4
	v_cndmask_b32_e32 v1, s13, v4, vcc_lo
	v_ashrrev_i32_e32 v2, 4, v2
	v_cmp_gt_i32_e32 vcc_lo, s24, v3
	s_addc_u32 s25, s3, s5
	s_ashr_i32 s18, s15, 31
	s_add_u32 s26, s20, s15
	s_addc_u32 s27, s21, s18
	v_cndmask_b32_e32 v3, s13, v2, vcc_lo
	v_ashrrev_i32_e32 v2, 31, v1
	s_lshl_b32 s2, s14, 4
	s_delay_alu instid0(SALU_CYCLE_1) | instskip(NEXT) | instid1(VALU_DEP_2)
	s_ashr_i32 s3, s2, 31
	v_ashrrev_i32_e32 v4, 31, v3
	s_delay_alu instid0(VALU_DEP_2) | instskip(SKIP_1) | instid1(SALU_CYCLE_1)
	v_lshlrev_b64 v[1:2], 2, v[1:2]
	s_lshl_b64 s[2:3], s[2:3], 2
	s_add_u32 s2, s16, s2
	s_delay_alu instid0(VALU_DEP_2) | instskip(SKIP_1) | instid1(VALU_DEP_2)
	v_lshlrev_b64 v[3:4], 2, v[3:4]
	s_addc_u32 s3, s25, s3
	v_add_co_u32 v1, vcc_lo, s16, v1
	v_add_co_ci_u32_e32 v2, vcc_lo, s25, v2, vcc_lo
	s_delay_alu instid0(VALU_DEP_3) | instskip(NEXT) | instid1(VALU_DEP_4)
	v_add_co_u32 v3, vcc_lo, s16, v3
	v_add_co_ci_u32_e32 v4, vcc_lo, s25, v4, vcc_lo
	s_clause 0x1
	global_load_b32 v5, v[1:2], off
	global_load_b32 v3, v[3:4], off
	s_or_b32 s4, s12, 32
	v_lshlrev_b32_e32 v1, 4, v0
	s_ashr_i32 s5, s4, 4
	s_cmp_lt_i32 s4, s24
	s_cselect_b32 s4, s5, s13
	s_delay_alu instid0(VALU_DEP_1) | instskip(SKIP_1) | instid1(SALU_CYCLE_1)
	v_and_b32_e32 v1, 0xf0, v1
	s_ashr_i32 s5, s4, 31
	s_lshl_b64 s[4:5], s[4:5], 2
	s_delay_alu instid0(SALU_CYCLE_1)
	s_add_u32 s4, s16, s4
	s_addc_u32 s5, s25, s5
	s_or_b32 s6, s12, 64
	v_add_co_u32 v1, s26, s26, v1
	s_ashr_i32 s7, s6, 4
	s_cmp_lt_i32 s6, s24
	v_add_co_ci_u32_e64 v2, null, s27, 0, s26
	s_cselect_b32 s6, s7, s13
	s_delay_alu instid0(SALU_CYCLE_1) | instskip(NEXT) | instid1(SALU_CYCLE_1)
	s_ashr_i32 s7, s6, 31
	s_lshl_b64 s[6:7], s[6:7], 2
	s_delay_alu instid0(SALU_CYCLE_1) | instskip(SKIP_2) | instid1(SALU_CYCLE_1)
	s_add_u32 s6, s16, s6
	s_addc_u32 s7, s25, s7
	s_or_b32 s8, s12, 0x60
	s_ashr_i32 s9, s8, 4
	s_cmp_lt_i32 s8, s24
	s_cselect_b32 s8, s9, s13
	s_delay_alu instid0(SALU_CYCLE_1) | instskip(NEXT) | instid1(SALU_CYCLE_1)
	s_ashr_i32 s9, s8, 31
	s_lshl_b64 s[8:9], s[8:9], 2
	s_delay_alu instid0(SALU_CYCLE_1) | instskip(SKIP_2) | instid1(SALU_CYCLE_1)
	s_add_u32 s8, s16, s8
	s_addc_u32 s9, s25, s9
	s_or_b32 s10, s12, 0x80
	s_ashr_i32 s11, s10, 4
	s_cmp_lt_i32 s10, s24
	;; [unrolled: 10-line block ×3, first 2 shown]
	s_cselect_b32 s20, s21, s13
	s_delay_alu instid0(SALU_CYCLE_1) | instskip(NEXT) | instid1(SALU_CYCLE_1)
	s_ashr_i32 s21, s20, 31
	s_lshl_b64 s[20:21], s[20:21], 2
	s_delay_alu instid0(SALU_CYCLE_1)
	s_add_u32 s20, s16, s20
	s_addc_u32 s21, s25, s21
	s_clause 0x5
	s_load_b32 s26, s[2:3], 0x0
	s_load_b32 s27, s[4:5], 0x0
	;; [unrolled: 1-line block ×6, first 2 shown]
	s_or_b32 s2, s12, 0xc0
	s_mov_b32 s4, 0
	s_ashr_i32 s3, s2, 4
	s_cmp_lt_i32 s2, s24
	s_mov_b32 s11, s4
	s_cselect_b32 s2, s3, s13
	s_mov_b32 s5, s4
	s_ashr_i32 s3, s2, 31
	s_mov_b32 s6, s4
	s_lshl_b64 s[2:3], s[2:3], 2
	s_mov_b32 s7, s4
	s_add_u32 s2, s16, s2
	s_mov_b32 s8, s4
	s_mov_b32 s9, s4
	;; [unrolled: 1-line block ×3, first 2 shown]
	s_addc_u32 s3, s25, s3
	s_or_b32 s21, s12, 0xe0
	v_dual_mov_b32 v103, s11 :: v_dual_mov_b32 v96, s4
	v_dual_mov_b32 v101, s9 :: v_dual_lshlrev_b32 v68, 6, v70
	v_mov_b32_e32 v102, s10
	v_dual_mov_b32 v100, s8 :: v_dual_mov_b32 v99, s7
	v_dual_mov_b32 v98, s6 :: v_dual_mov_b32 v97, s5
	s_ashr_i32 s4, s21, 4
	s_cmp_lt_i32 s21, s24
	s_cselect_b32 s4, s4, s13
	s_delay_alu instid0(SALU_CYCLE_1) | instskip(NEXT) | instid1(SALU_CYCLE_1)
	s_ashr_i32 s5, s4, 31
	s_lshl_b64 s[4:5], s[4:5], 2
	s_waitcnt vmcnt(1)
	v_mad_i64_i32 v[33:34], null, v5, s17, v[1:2]
	s_waitcnt vmcnt(0)
	v_mad_i64_i32 v[35:36], null, v3, s17, v[1:2]
	s_clause 0xf
	global_load_b128 v[1:4], v[33:34], off
	global_load_b128 v[5:8], v[33:34], off offset:256
	global_load_b128 v[9:12], v[35:36], off
	global_load_b128 v[13:16], v[35:36], off offset:256
	global_load_b128 v[17:20], v[33:34], off offset:512
	;; [unrolled: 1-line block ×13, first 2 shown]
	ds_load_b128 v[33:36], v68
	ds_load_b128 v[37:40], v68 offset:1024
	ds_load_b128 v[104:107], v68 offset:2048
	;; [unrolled: 1-line block ×3, first 2 shown]
	s_load_b32 s6, s[2:3], 0x0
	s_add_u32 s2, s16, s4
	s_addc_u32 s3, s25, s5
	ds_load_b128 v[112:115], v68 offset:4096
	ds_load_b128 v[116:119], v68 offset:5120
	s_load_b32 s2, s[2:3], 0x0
	s_add_u32 s4, s22, s15
	s_addc_u32 s5, s23, s18
	v_add_co_u32 v128, s4, s4, v41
	s_delay_alu instid0(VALU_DEP_1) | instskip(SKIP_1) | instid1(VALU_DEP_1)
	v_add_co_ci_u32_e64 v129, null, s5, 0, s4
	s_waitcnt lgkmcnt(0)
	v_mad_i64_i32 v[41:42], null, s26, s17, v[128:129]
	v_mad_i64_i32 v[130:131], null, s28, s17, v[128:129]
	;; [unrolled: 1-line block ×7, first 2 shown]
	s_clause 0x3
	global_load_b128 v[49:52], v[41:42], off
	global_load_b128 v[53:56], v[41:42], off offset:16
	global_load_b128 v[41:44], v[45:46], off
	global_load_b128 v[45:48], v[45:46], off offset:16
	s_waitcnt vmcnt(18)
	v_wmma_f32_16x16x16_f16 v[120:127], v[1:8], v[33:40], v[96:103]
	s_waitcnt vmcnt(16)
	v_wmma_f32_16x16x16_f16 v[96:103], v[9:16], v[33:40], v[96:103]
	s_clause 0x3
	global_load_b128 v[33:36], v[130:131], off
	global_load_b128 v[37:40], v[130:131], off offset:16
	global_load_b128 v[1:4], v[132:133], off
	global_load_b128 v[5:8], v[132:133], off offset:16
	s_waitcnt vmcnt(18)
	v_wmma_f32_16x16x16_f16 v[120:127], v[17:24], v[104:111], v[120:127]
	s_clause 0x3
	global_load_b128 v[9:12], v[134:135], off
	global_load_b128 v[13:16], v[134:135], off offset:16
	global_load_b128 v[17:20], v[136:137], off
	global_load_b128 v[21:24], v[136:137], off offset:16
	s_waitcnt vmcnt(20)
	v_wmma_f32_16x16x16_f16 v[96:103], v[25:32], v[104:111], v[96:103]
	v_mad_i64_i32 v[104:105], null, s2, s17, v[128:129]
	s_waitcnt vmcnt(18)
	v_wmma_f32_16x16x16_f16 v[120:127], v[57:64], v[112:119], v[120:127]
	s_clause 0x1
	global_load_b128 v[25:28], v[138:139], off
	global_load_b128 v[29:32], v[138:139], off offset:16
	s_waitcnt vmcnt(18)
	v_wmma_f32_16x16x16_f16 v[96:103], v[72:79], v[112:119], v[96:103]
	s_clause 0x1
	global_load_b128 v[57:60], v[104:105], off
	global_load_b128 v[61:64], v[104:105], off offset:16
	ds_load_b128 v[72:75], v68 offset:6144
	ds_load_b128 v[76:79], v68 offset:7168
	v_and_b32_e32 v104, 0xe0, v0
	v_mbcnt_lo_u32_b32 v105, -1, 0
	s_waitcnt vmcnt(0) lgkmcnt(0)
	s_barrier
	buffer_gl0_inv
	v_add_nc_u32_e32 v104, s12, v104
	v_xor_b32_e32 v106, 16, v105
	s_delay_alu instid0(VALU_DEP_2) | instskip(NEXT) | instid1(VALU_DEP_2)
	v_or_b32_e32 v104, v104, v66
	v_cmp_gt_i32_e32 vcc_lo, 32, v106
	s_delay_alu instid0(VALU_DEP_2)
	v_or_b32_e32 v107, 4, v104
	v_or_b32_e32 v108, 6, v104
	v_cmp_gt_i32_e64 s2, s24, v104
	v_or_b32_e32 v109, 8, v104
	v_wmma_f32_16x16x16_f16 v[120:127], v[80:87], v[72:79], v[120:127]
	v_cndmask_b32_e32 v105, v105, v106, vcc_lo
	v_or_b32_e32 v106, 2, v104
	v_wmma_f32_16x16x16_f16 v[96:103], v[88:95], v[72:79], v[96:103]
	v_or_b32_e32 v80, 10, v104
	v_dual_mul_f32 v90, s19, v120 :: v_dual_mul_f32 v89, s19, v121
	s_delay_alu instid0(VALU_DEP_4) | instskip(NEXT) | instid1(VALU_DEP_4)
	v_cmp_gt_i32_e32 vcc_lo, s24, v106
	v_dual_mul_f32 v94, s19, v100 :: v_dual_mul_f32 v77, s19, v125
	v_dual_mul_f32 v88, s19, v122 :: v_dual_mul_f32 v79, s19, v123
	v_mul_f32_e32 v92, s19, v102
	v_cndmask_b32_e64 v90, 0xff7fffff, v90, s2
	v_cndmask_b32_e32 v89, 0xff7fffff, v89, vcc_lo
	v_cmp_gt_i32_e64 s3, s24, v107
	v_cmp_gt_i32_e64 s4, s24, v108
	v_or_b32_e32 v81, 12, v104
	v_or_b32_e32 v82, 14, v104
	v_mul_f32_e32 v78, s19, v124
	v_cndmask_b32_e64 v88, 0xff7fffff, v88, s3
	v_cndmask_b32_e64 v79, 0xff7fffff, v79, s4
	v_max3_f32 v89, v90, 0xff7fffff, v89
	v_cmp_gt_i32_e64 s5, s24, v109
	v_cmp_gt_i32_e64 s6, s24, v80
	v_or_b32_e32 v83, 16, v104
	v_or_b32_e32 v84, 18, v104
	v_dual_mul_f32 v75, s19, v127 :: v_dual_mul_f32 v76, s19, v126
	v_cndmask_b32_e64 v78, 0xff7fffff, v78, s5
	v_cndmask_b32_e64 v77, 0xff7fffff, v77, s6
	v_max3_f32 v79, v89, v88, v79
	v_cmp_gt_i32_e64 s7, s24, v81
	v_cmp_gt_i32_e64 s8, s24, v82
	v_or_b32_e32 v85, 20, v104
	v_or_b32_e32 v86, 22, v104
	v_or_b32_e32 v87, 24, v104
	v_or_b32_e32 v72, 26, v104
	v_or_b32_e32 v73, 28, v104
	v_or_b32_e32 v74, 30, v104
	v_dual_mul_f32 v95, s19, v99 :: v_dual_mul_f32 v104, s19, v97
	v_mul_f32_e32 v107, s19, v96
	v_cndmask_b32_e64 v76, 0xff7fffff, v76, s7
	v_cndmask_b32_e64 v75, 0xff7fffff, v75, s8
	v_max3_f32 v77, v79, v78, v77
	v_cmp_gt_i32_e64 s9, s24, v83
	v_cmp_gt_i32_e64 s10, s24, v84
	v_dual_mul_f32 v91, s19, v103 :: v_dual_mul_f32 v106, s19, v98
	s_delay_alu instid0(VALU_DEP_4) | instskip(NEXT) | instid1(VALU_DEP_4)
	v_max3_f32 v75, v77, v76, v75
	v_cndmask_b32_e64 v78, 0xff7fffff, v107, s9
	s_delay_alu instid0(VALU_DEP_4)
	v_cndmask_b32_e64 v79, 0xff7fffff, v104, s10
	v_cmp_gt_i32_e64 s11, s24, v85
	v_cmp_gt_i32_e64 s12, s24, v86
	v_mul_f32_e32 v93, s19, v101
	v_cmp_gt_i32_e64 s13, s24, v87
	v_max3_f32 v75, v75, v78, v79
	v_cndmask_b32_e64 v76, 0xff7fffff, v106, s11
	v_cndmask_b32_e64 v77, 0xff7fffff, v95, s12
	v_cmp_gt_i32_e64 s15, s24, v72
	v_cndmask_b32_e64 v78, 0xff7fffff, v94, s13
	v_cmp_gt_i32_e64 s16, s24, v73
	v_cmp_gt_i32_e64 s17, s24, v74
	v_max3_f32 v75, v75, v76, v77
	v_cndmask_b32_e64 v72, 0xff7fffff, v93, s15
	s_delay_alu instid0(VALU_DEP_4) | instskip(NEXT) | instid1(VALU_DEP_4)
	v_cndmask_b32_e64 v73, 0xff7fffff, v92, s16
	v_cndmask_b32_e64 v74, 0xff7fffff, v91, s17
	s_delay_alu instid0(VALU_DEP_3) | instskip(SKIP_1) | instid1(VALU_DEP_2)
	v_max3_f32 v72, v75, v78, v72
	v_lshlrev_b32_e32 v75, 2, v105
	v_max3_f32 v72, v72, v73, v74
	ds_bpermute_b32 v73, v75, v72
	s_waitcnt lgkmcnt(0)
	v_max_f32_e32 v73, v73, v73
	s_delay_alu instid0(VALU_DEP_1) | instskip(NEXT) | instid1(VALU_DEP_1)
	v_max_f32_e32 v72, v72, v73
	v_fma_f32 v76, s19, v122, -v72
	v_fma_f32 v73, s19, v120, -v72
	;; [unrolled: 1-line block ×5, first 2 shown]
	v_mul_f32_e32 v76, 0x3fb8aa3b, v76
	v_fma_f32 v82, s19, v126, -v72
	s_delay_alu instid0(VALU_DEP_4) | instskip(SKIP_1) | instid1(VALU_DEP_4)
	v_dual_mul_f32 v79, 0x3fb8aa3b, v79 :: v_dual_mul_f32 v74, 0x3fb8aa3b, v74
	v_fma_f32 v86, s19, v99, -v72
	v_exp_f32_e32 v76, v76
	s_delay_alu instid0(VALU_DEP_3) | instskip(NEXT) | instid1(VALU_DEP_3)
	v_mul_f32_e32 v82, 0x3fb8aa3b, v82
	v_exp_f32_e32 v83, v79
	v_exp_f32_e32 v74, v74
	v_mul_f32_e32 v88, 0x3fb8aa3b, v86
	v_fma_f32 v91, s19, v103, -v72
	v_exp_f32_e32 v84, v82
	v_fma_f32 v89, s19, v101, -v72
	s_delay_alu instid0(VALU_DEP_3)
	v_exp_f32_e32 v90, v88
	v_cndmask_b32_e64 v80, 0, v76, s3
	v_mul_f32_e32 v73, 0x3fb8aa3b, v73
	v_fma_f32 v76, s19, v127, -v72
	v_mul_f32_e32 v77, 0x3fb8aa3b, v77
	v_cndmask_b32_e64 v82, 0, v83, s5
	v_fma_f32 v83, s19, v97, -v72
	v_exp_f32_e32 v73, v73
	v_mul_f32_e32 v76, 0x3fb8aa3b, v76
	v_exp_f32_e32 v81, v77
	v_cndmask_b32_e64 v84, 0, v84, s7
	v_mul_f32_e32 v83, 0x3fb8aa3b, v83
	v_mul_f32_e32 v89, 0x3fb8aa3b, v89
	v_exp_f32_e32 v76, v76
	s_delay_alu instid0(VALU_DEP_2) | instskip(SKIP_2) | instid1(TRANS32_DEP_3)
	v_exp_f32_e32 v87, v83
	v_cndmask_b32_e64 v78, 0, v73, s2
	v_fma_f32 v73, s19, v125, -v72
	v_cndmask_b32_e64 v79, 0, v81, s4
	v_cndmask_b32_e32 v77, 0, v74, vcc_lo
	v_fma_f32 v81, s19, v96, -v72
	s_delay_alu instid0(VALU_DEP_4) | instskip(NEXT) | instid1(TRANS32_DEP_2)
	v_dual_add_f32 v74, 0, v78 :: v_dual_mul_f32 v73, 0x3fb8aa3b, v73
	v_cndmask_b32_e64 v83, 0, v76, s8
	v_fma_f32 v76, s19, v100, -v72
	s_delay_alu instid0(VALU_DEP_4) | instskip(NEXT) | instid1(VALU_DEP_4)
	v_mul_f32_e32 v85, 0x3fb8aa3b, v81
	v_add_f32_e32 v74, v74, v77
	v_exp_f32_e32 v73, v73
	v_exp_f32_e32 v89, v89
	v_mul_f32_e32 v76, 0x3fb8aa3b, v76
	v_exp_f32_e32 v85, v85
	v_add_f32_e32 v74, v74, v80
	s_mov_b32 s2, exec_lo
	s_delay_alu instid0(VALU_DEP_2) | instskip(NEXT) | instid1(VALU_DEP_1)
	v_exp_f32_e32 v76, v76
	v_add_f32_e32 v74, v74, v79
	v_cndmask_b32_e64 v81, 0, v73, s6
	s_delay_alu instid0(TRANS32_DEP_3)
	v_cndmask_b32_e64 v89, 0, v89, s15
	s_waitcnt_depctr 0xfff
	v_cndmask_b32_e64 v86, 0, v85, s9
	v_cndmask_b32_e64 v85, 0, v87, s10
	v_fma_f32 v87, s19, v102, -v72
	v_add_f32_e32 v73, v74, v82
	v_fma_f32 v74, s19, v98, -v72
	s_delay_alu instid0(VALU_DEP_1) | instskip(NEXT) | instid1(VALU_DEP_1)
	v_mul_f32_e32 v74, 0x3fb8aa3b, v74
	v_exp_f32_e32 v74, v74
	s_waitcnt_depctr 0xfff
	v_cndmask_b32_e64 v88, 0, v74, s11
	v_dual_mul_f32 v74, 0x3fb8aa3b, v87 :: v_dual_add_f32 v73, v73, v81
	v_cndmask_b32_e64 v87, 0, v90, s12
	v_cndmask_b32_e64 v90, 0, v76, s13
	v_mul_f32_e32 v76, 0x3fb8aa3b, v91
	s_delay_alu instid0(VALU_DEP_4) | instskip(SKIP_1) | instid1(VALU_DEP_2)
	v_exp_f32_e32 v74, v74
	v_add_f32_e32 v73, v73, v84
	v_exp_f32_e32 v76, v76
	s_delay_alu instid0(VALU_DEP_1) | instskip(SKIP_4) | instid1(VALU_DEP_2)
	v_add_f32_e32 v73, v73, v83
	s_waitcnt_depctr 0xfff
	v_cndmask_b32_e64 v92, 0, v74, s16
	v_add_f32_e32 v73, v73, v86
	v_cndmask_b32_e64 v91, 0, v76, s17
	v_add_f32_e32 v73, v73, v85
	s_delay_alu instid0(VALU_DEP_1) | instskip(NEXT) | instid1(VALU_DEP_1)
	v_add_f32_e32 v73, v73, v88
	v_add_f32_e32 v73, v73, v87
	s_delay_alu instid0(VALU_DEP_1) | instskip(NEXT) | instid1(VALU_DEP_1)
	v_add_f32_e32 v73, v73, v90
	;; [unrolled: 3-line block ×3, first 2 shown]
	v_add_f32_e32 v73, v73, v91
	ds_bpermute_b32 v74, v75, v73
	v_cmpx_gt_u32_e32 16, v71
	s_cbranch_execz .LBB965_12
; %bb.11:
	v_mul_u32_u24_e32 v71, 0x44, v69
	s_waitcnt lgkmcnt(0)
	v_add_f32_e32 v73, v73, v74
	s_delay_alu instid0(VALU_DEP_2) | instskip(NEXT) | instid1(VALU_DEP_1)
	v_lshl_add_u32 v71, v70, 2, v71
	v_add_nc_u32_e32 v71, 0x4000, v71
	ds_store_2addr_b32 v71, v72, v73 offset1:136
.LBB965_12:
	s_or_b32 exec_lo, exec_lo, s2
	v_lshlrev_b32_e32 v70, 2, v70
	s_load_b32 s34, s[0:1], 0x94
	s_waitcnt lgkmcnt(0)
	s_barrier
	buffer_gl0_inv
	v_add_nc_u32_e32 v74, 0x4000, v70
	v_cmp_eq_u32_e32 vcc_lo, 1, v69
	v_cmp_eq_u32_e64 s2, 2, v69
	v_cmp_eq_u32_e64 s3, 3, v69
	;; [unrolled: 1-line block ×3, first 2 shown]
	ds_load_2addr_b32 v[70:71], v74 offset1:17
	ds_load_2addr_b32 v[72:73], v74 offset0:34 offset1:51
	ds_load_2addr_b32 v[93:94], v74 offset0:68 offset1:85
	;; [unrolled: 1-line block ×3, first 2 shown]
	v_cmp_eq_u32_e64 s5, 7, v69
	s_waitcnt lgkmcnt(3)
	v_max3_f32 v75, v70, 0xff7fffff, v71
	s_waitcnt lgkmcnt(2)
	s_delay_alu instid0(VALU_DEP_1) | instskip(SKIP_1) | instid1(VALU_DEP_1)
	v_max3_f32 v75, v75, v72, v73
	s_waitcnt lgkmcnt(1)
	v_max3_f32 v75, v75, v93, v94
	s_waitcnt lgkmcnt(0)
	s_delay_alu instid0(VALU_DEP_1) | instskip(NEXT) | instid1(VALU_DEP_1)
	v_max3_f32 v75, v75, v95, v96
	v_sub_f32_e32 v93, v93, v75
	ds_load_2addr_b32 v[97:98], v74 offset0:136 offset1:153
	v_sub_f32_e32 v70, v70, v75
	v_dual_sub_f32 v100, v73, v75 :: v_dual_mul_f32 v103, 0x3fb8aa3b, v93
	s_delay_alu instid0(VALU_DEP_2) | instskip(SKIP_3) | instid1(VALU_DEP_1)
	v_dual_sub_f32 v76, v71, v75 :: v_dual_mul_f32 v99, 0x3fb8aa3b, v70
	ds_load_2addr_b32 v[70:71], v74 offset0:170 offset1:187
	v_mul_f32_e32 v76, 0x3fb8aa3b, v76
	v_exp_f32_e32 v99, v99
	v_exp_f32_e32 v102, v76
	v_mul_f32_e32 v100, 0x3fb8aa3b, v100
	s_waitcnt lgkmcnt(1)
	s_waitcnt_depctr 0xfff
	v_fma_f32 v76, v99, v97, 0
	v_sub_f32_e32 v97, v94, v75
	v_sub_f32_e32 v72, v72, v75
	v_exp_f32_e32 v100, v100
	ds_load_2addr_b32 v[93:94], v74 offset0:238 offset1:255
	v_dual_fmac_f32 v76, v102, v98 :: v_dual_mul_f32 v101, 0x3fb8aa3b, v72
	ds_load_2addr_b32 v[72:73], v74 offset0:204 offset1:221
	v_dual_sub_f32 v74, v95, v75 :: v_dual_mul_f32 v95, 0x3fb8aa3b, v97
	v_exp_f32_e32 v97, v103
	v_exp_f32_e32 v101, v101
	s_waitcnt lgkmcnt(0)
	s_delay_alu instid0(VALU_DEP_1)
	v_mul_f32_e32 v74, 0x3fb8aa3b, v74
	v_exp_f32_e32 v95, v95
	s_barrier
	buffer_gl0_inv
	v_fmac_f32_e32 v76, v101, v70
	v_sub_f32_e32 v70, v96, v75
	v_exp_f32_e32 v96, v74
	s_delay_alu instid0(VALU_DEP_2) | instskip(NEXT) | instid1(VALU_DEP_2)
	v_fmac_f32_e32 v76, v100, v71
	v_mul_f32_e32 v70, 0x3fb8aa3b, v70
	s_delay_alu instid0(VALU_DEP_2) | instskip(NEXT) | instid1(VALU_DEP_2)
	v_dual_cndmask_b32 v71, v99, v102 :: v_dual_fmac_f32 v76, v97, v72
	v_exp_f32_e32 v98, v70
	s_delay_alu instid0(VALU_DEP_1) | instskip(SKIP_2) | instid1(VALU_DEP_1)
	v_fmac_f32_e32 v76, v95, v73
	s_waitcnt_depctr 0xfff
	v_fmac_f32_e32 v76, v96, v93
	v_fmac_f32_e32 v76, v98, v94
	s_delay_alu instid0(VALU_DEP_1) | instskip(NEXT) | instid1(VALU_DEP_1)
	v_add_f32_e32 v93, 0x358637bd, v76
	v_div_scale_f32 v94, null, v93, v93, 1.0
	v_div_scale_f32 v99, vcc_lo, 1.0, v93, 1.0
	s_delay_alu instid0(VALU_DEP_2) | instskip(SKIP_2) | instid1(VALU_DEP_1)
	v_rcp_f32_e32 v103, v94
	s_waitcnt_depctr 0xfff
	v_fma_f32 v70, -v94, v103, 1.0
	v_fmac_f32_e32 v103, v70, v103
	v_cndmask_b32_e64 v70, v71, v101, s2
	v_cmp_eq_u32_e64 s2, 4, v69
	v_lshlrev_b32_e32 v71, 2, v66
	s_delay_alu instid0(VALU_DEP_4) | instskip(NEXT) | instid1(VALU_DEP_4)
	v_mul_f32_e32 v101, v99, v103
	v_cndmask_b32_e64 v72, v70, v100, s3
	v_cmp_eq_u32_e64 s3, 6, v69
	v_lshl_or_b32 v70, v69, 11, v68
	v_or_b32_e32 v74, 1, v71
	v_fma_f32 v73, -v94, v101, v99
	v_cndmask_b32_e64 v72, v72, v97, s2
	v_cmp_eq_u32_e64 s2, 1, v71
	v_lshl_or_b32 v69, v66, 4, v70
	v_cmp_eq_u32_e64 s8, 1, v74
	v_fmac_f32_e32 v101, v73, v103
	v_cndmask_b32_e64 v95, v72, v95, s4
	v_or_b32_e32 v72, 2, v71
	v_or_b32_e32 v73, 3, v71
	v_cmp_eq_u32_e64 s11, 2, v74
	v_fma_f32 v94, -v94, v101, v99
	v_cndmask_b32_e64 v95, v95, v96, s3
	v_cmp_eq_u32_e64 s9, 1, v72
	v_cmp_eq_u32_e64 s10, 1, v73
	;; [unrolled: 1-line block ×3, first 2 shown]
	v_div_fmas_f32 v94, v94, v103, v101
	v_cndmask_b32_e64 v95, v95, v98, s5
	v_cmp_eq_u32_e32 vcc_lo, 2, v71
	v_cmp_eq_u32_e64 s15, 2, v73
	v_cmp_eq_u32_e64 s17, 3, v73
	v_div_fixup_f32 v93, v94, v93, 1.0
	v_cmp_eq_u32_e64 s3, 3, v71
	v_cmp_eq_u32_e64 s12, 3, v74
	v_cmp_eq_u32_e64 s16, 3, v72
	v_cmp_eq_u32_e64 s21, 4, v73
	v_mul_f32_e32 v101, v95, v93
	v_cmp_eq_u32_e64 s4, 4, v71
	v_cmp_eq_u32_e64 s18, 4, v74
	;; [unrolled: 1-line block ×4, first 2 shown]
	v_fma_mixlo_f16 v93, v101, v78, 0
	v_fma_mixlo_f16 v94, v101, v80, 0
	;; [unrolled: 1-line block ×8, first 2 shown]
	v_fma_mixhi_f16 v93, v101, v77, 0
	v_fma_mixhi_f16 v94, v101, v79, 0
	;; [unrolled: 1-line block ×8, first 2 shown]
	ds_store_b128 v69, v[93:96]
	ds_store_b128 v69, v[97:100] offset:1024
	s_waitcnt lgkmcnt(0)
	s_barrier
	buffer_gl0_inv
	ds_load_b128 v[77:80], v70
	ds_load_b128 v[81:84], v70 offset:16
	ds_load_b128 v[85:88], v70 offset:1024
	;; [unrolled: 1-line block ×3, first 2 shown]
	v_cmp_eq_u32_e64 s5, 5, v71
	v_cmp_eq_u32_e64 s19, 5, v74
	;; [unrolled: 1-line block ×11, first 2 shown]
	s_waitcnt lgkmcnt(3)
	v_lshrrev_b32_e32 v93, 16, v77
	s_waitcnt lgkmcnt(2)
	v_lshrrev_b32_e32 v97, 16, v81
	;; [unrolled: 2-line block ×4, first 2 shown]
	v_lshrrev_b32_e32 v94, 16, v78
	v_cndmask_b32_e64 v109, v77, v93, s2
	v_cndmask_b32_e64 v110, v81, v97, s2
	;; [unrolled: 1-line block ×8, first 2 shown]
	v_lshrrev_b32_e32 v98, 16, v82
	v_cndmask_b32_e64 v93, v85, v101, s2
	v_cndmask_b32_e64 v97, v89, v105, s2
	;; [unrolled: 1-line block ×5, first 2 shown]
	v_cndmask_b32_e32 v101, v109, v78, vcc_lo
	v_cndmask_b32_e64 v109, v111, v78, s11
	v_cndmask_b32_e64 v111, v113, v78, s13
	;; [unrolled: 1-line block ×4, first 2 shown]
	v_lshrrev_b32_e32 v102, 16, v86
	v_lshrrev_b32_e32 v106, 16, v90
	v_cndmask_b32_e64 v116, v89, v105, s8
	v_cndmask_b32_e64 v118, v89, v105, s9
	v_cndmask_b32_e64 v89, v89, v105, s10
	v_cndmask_b32_e32 v105, v110, v82, vcc_lo
	v_cndmask_b32_e64 v110, v112, v82, s11
	v_cndmask_b32_e64 v112, v114, v82, s13
	v_cndmask_b32_e32 v81, v93, v86, vcc_lo
	v_cndmask_b32_e32 v82, v97, v90, vcc_lo
	v_cndmask_b32_e64 v93, v115, v86, s11
	v_cndmask_b32_e64 v77, v77, v94, s17
	;; [unrolled: 1-line block ×3, first 2 shown]
	v_lshrrev_b32_e32 v95, 16, v79
	v_lshrrev_b32_e32 v99, 16, v83
	v_cndmask_b32_e64 v97, v117, v86, s13
	v_cndmask_b32_e64 v85, v85, v86, s15
	;; [unrolled: 1-line block ×14, first 2 shown]
	v_lshrrev_b32_e32 v103, 16, v87
	v_cndmask_b32_e64 v89, v89, v79, s4
	v_cndmask_b32_e64 v94, v101, v83, s4
	;; [unrolled: 1-line block ×11, first 2 shown]
	v_lshrrev_b32_e32 v96, 16, v80
	v_lshrrev_b32_e32 v100, 16, v84
	v_cndmask_b32_e64 v83, v89, v95, s5
	v_cndmask_b32_e64 v89, v94, v99, s5
	;; [unrolled: 1-line block ×9, first 2 shown]
	v_lshrrev_b32_e32 v104, 16, v88
	v_cndmask_b32_e64 v79, v79, v103, s5
	v_cndmask_b32_e64 v83, v83, v80, s6
	;; [unrolled: 1-line block ×19, first 2 shown]
	v_perm_b32 v80, v78, v77, 0x5040100
	v_cndmask_b32_e64 v77, v116, v90, s11
	v_cndmask_b32_e64 v95, v79, v104, s7
	v_perm_b32 v79, v93, v89, 0x5040100
	v_perm_b32 v78, v94, v84, 0x5040100
	v_cndmask_b32_e64 v84, v97, v102, s16
	v_cndmask_b32_e64 v85, v85, v102, s17
	;; [unrolled: 1-line block ×5, first 2 shown]
	v_lshrrev_b32_e32 v107, 16, v91
	v_cndmask_b32_e64 v84, v84, v87, s20
	v_cndmask_b32_e64 v85, v85, v87, s21
	;; [unrolled: 1-line block ×11, first 2 shown]
	v_lshrrev_b32_e32 v108, 16, v92
	v_cndmask_b32_e64 v81, v81, v92, s6
	v_cndmask_b32_e64 v84, v84, v88, s25
	;; [unrolled: 1-line block ×12, first 2 shown]
	v_perm_b32 v77, v83, v82, 0x5040100
	v_perm_b32 v84, v85, v84, 0x5040100
	;; [unrolled: 1-line block ×5, first 2 shown]
	s_lshl_b32 s7, s33, 4
	s_mov_b32 s2, exec_lo
	ds_store_b128 v69, v[77:80]
	ds_store_b128 v69, v[81:84] offset:1024
	v_cmpx_gt_u32_e32 16, v0
	s_cbranch_execz .LBB965_14
; %bb.13:
	v_or_b32_e32 v77, s31, v0
	s_load_b128 s[8:11], s[0:1], 0x58
	s_delay_alu instid0(VALU_DEP_1) | instskip(NEXT) | instid1(VALU_DEP_1)
	v_mad_u64_u32 v[78:79], null, s7, s30, v[77:78]
	v_mad_u64_u32 v[79:80], null, v78, s34, s[14:15]
	s_delay_alu instid0(VALU_DEP_1) | instskip(NEXT) | instid1(VALU_DEP_1)
	v_ashrrev_i32_e32 v80, 31, v79
	v_lshlrev_b64 v[77:78], 2, v[79:80]
	s_waitcnt lgkmcnt(0)
	s_delay_alu instid0(VALU_DEP_1) | instskip(NEXT) | instid1(VALU_DEP_2)
	v_add_co_u32 v79, vcc_lo, s10, v77
	v_add_co_ci_u32_e32 v80, vcc_lo, s11, v78, vcc_lo
	v_add_co_u32 v77, vcc_lo, s8, v77
	v_add_co_ci_u32_e32 v78, vcc_lo, s9, v78, vcc_lo
	global_store_b32 v[79:80], v75, off
	global_store_b32 v[77:78], v76, off
.LBB965_14:
	s_or_b32 exec_lo, exec_lo, s2
	s_waitcnt lgkmcnt(0)
	s_waitcnt_vscnt null, 0x0
	s_barrier
	buffer_gl0_inv
	ds_load_b128 v[83:86], v68
	ds_load_b128 v[87:90], v68 offset:16
	ds_load_b128 v[95:98], v68 offset:2064
	;; [unrolled: 1-line block ×5, first 2 shown]
	v_cmp_eq_u32_e32 vcc_lo, 1, v71
	v_mov_b32_e32 v75, 0
	ds_load_b128 v[111:114], v68 offset:6160
	ds_load_b128 v[107:110], v68 offset:6144
	;; [unrolled: 1-line block ×4, first 2 shown]
	v_cmp_eq_u32_e64 s3, 1, v72
	v_cmp_eq_u32_e64 s2, 1, v74
	;; [unrolled: 1-line block ×3, first 2 shown]
	v_mov_b32_e32 v76, v75
	v_mov_b32_e32 v77, v75
	;; [unrolled: 1-line block ×7, first 2 shown]
	v_cmp_eq_u32_e64 s5, 3, v74
	v_cmp_eq_u32_e64 s6, 7, v74
	s_waitcnt lgkmcnt(8)
	s_delay_alu instid0(VALU_DEP_3)
	v_wmma_f32_16x16x16_f16 v[75:82], v[49:56], v[83:90], v[75:82]
	ds_load_b128 v[53:56], v68 offset:10256
	ds_load_b128 v[49:52], v68 offset:10240
	s_waitcnt lgkmcnt(8)
	v_wmma_f32_16x16x16_f16 v[75:82], v[41:48], v[91:98], v[75:82]
	ds_load_b128 v[45:48], v68 offset:12304
	ds_load_b128 v[41:44], v68 offset:12288
	s_waitcnt lgkmcnt(8)
	;; [unrolled: 4-line block ×3, first 2 shown]
	s_barrier
	buffer_gl0_inv
	v_wmma_f32_16x16x16_f16 v[75:82], v[1:8], v[107:114], v[75:82]
	s_delay_alu instid0(VALU_DEP_1) | instskip(NEXT) | instid1(VALU_DEP_1)
	v_wmma_f32_16x16x16_f16 v[75:82], v[9:16], v[115:122], v[75:82]
	v_wmma_f32_16x16x16_f16 v[75:82], v[17:24], v[49:56], v[75:82]
	s_delay_alu instid0(VALU_DEP_1) | instskip(NEXT) | instid1(VALU_DEP_1)
	v_wmma_f32_16x16x16_f16 v[75:82], v[25:32], v[41:48], v[75:82]
	v_wmma_f32_16x16x16_f16 v[75:82], v[57:64], v[33:40], v[75:82]
	s_delay_alu instid0(VALU_DEP_1) | instskip(NEXT) | instid1(VALU_DEP_2)
	v_cvt_f16_f32_e32 v1, v75
	v_cvt_f16_f32_e32 v2, v76
	s_delay_alu instid0(VALU_DEP_3) | instskip(NEXT) | instid1(VALU_DEP_4)
	v_cvt_f16_f32_e32 v3, v77
	v_cvt_f16_f32_e32 v4, v78
	;; [unrolled: 1-line block ×6, first 2 shown]
	v_pack_b32_f16 v1, v1, v2
	v_pack_b32_f16 v2, v3, v4
	;; [unrolled: 1-line block ×3, first 2 shown]
	s_delay_alu instid0(VALU_DEP_4)
	v_pack_b32_f16 v4, v7, v8
	ds_store_b128 v69, v[1:4]
	s_waitcnt lgkmcnt(0)
	s_barrier
	buffer_gl0_inv
	ds_load_b128 v[1:4], v70
	ds_load_b128 v[5:8], v70 offset:16
	s_waitcnt lgkmcnt(1)
	v_lshrrev_b32_e32 v9, 16, v1
	s_waitcnt lgkmcnt(0)
	v_lshrrev_b32_e32 v13, 16, v5
	v_lshrrev_b32_e32 v10, 16, v2
	;; [unrolled: 1-line block ×4, first 2 shown]
	v_cndmask_b32_e32 v17, v1, v9, vcc_lo
	v_cndmask_b32_e32 v18, v5, v13, vcc_lo
	v_cndmask_b32_e64 v21, v1, v9, s3
	v_cmp_eq_u32_e32 vcc_lo, 1, v73
	v_cndmask_b32_e64 v22, v5, v13, s3
	v_cmp_eq_u32_e64 s3, 2, v71
	v_cndmask_b32_e64 v19, v1, v9, s2
	v_cndmask_b32_e64 v20, v5, v13, s2
	v_cndmask_b32_e32 v1, v1, v9, vcc_lo
	v_cmp_eq_u32_e64 s2, 2, v73
	v_cndmask_b32_e32 v5, v5, v13, vcc_lo
	v_cndmask_b32_e64 v9, v17, v2, s3
	v_cmp_eq_u32_e32 vcc_lo, 3, v71
	v_cndmask_b32_e64 v13, v18, v6, s3
	v_cmp_eq_u32_e64 s3, 2, v72
	v_cndmask_b32_e64 v17, v19, v2, s4
	v_cndmask_b32_e64 v18, v20, v6, s4
	v_cmp_eq_u32_e64 s4, 3, v72
	v_cndmask_b32_e64 v1, v1, v2, s2
	v_cndmask_b32_e64 v19, v21, v2, s3
	;; [unrolled: 1-line block ×4, first 2 shown]
	v_cndmask_b32_e32 v5, v9, v10, vcc_lo
	v_cndmask_b32_e32 v6, v13, v14, vcc_lo
	v_cmp_eq_u32_e32 vcc_lo, 3, v73
	v_cndmask_b32_e64 v9, v17, v10, s5
	v_cndmask_b32_e64 v13, v18, v14, s5
	;; [unrolled: 1-line block ×3, first 2 shown]
	v_cmp_eq_u32_e64 s3, 4, v71
	v_cndmask_b32_e32 v1, v1, v10, vcc_lo
	v_cndmask_b32_e32 v2, v2, v14, vcc_lo
	v_cmp_eq_u32_e32 vcc_lo, 4, v74
	v_lshrrev_b32_e32 v15, 16, v7
	v_lshrrev_b32_e32 v16, 16, v8
	v_cndmask_b32_e64 v17, v19, v10, s4
	v_cmp_eq_u32_e64 s2, 4, v73
	v_cndmask_b32_e64 v5, v5, v3, s3
	v_cndmask_b32_e64 v6, v6, v7, s3
	v_cndmask_b32_e32 v9, v9, v3, vcc_lo
	v_cmp_eq_u32_e64 s3, 5, v74
	v_cndmask_b32_e32 v10, v13, v7, vcc_lo
	v_cmp_eq_u32_e32 vcc_lo, 4, v72
	v_cmp_eq_u32_e64 s4, 5, v71
	v_cndmask_b32_e64 v2, v2, v7, s2
	v_cndmask_b32_e64 v9, v9, v11, s3
	;; [unrolled: 1-line block ×3, first 2 shown]
	v_cndmask_b32_e32 v13, v17, v3, vcc_lo
	v_cmp_eq_u32_e64 s3, 5, v72
	v_cndmask_b32_e32 v14, v18, v7, vcc_lo
	v_cndmask_b32_e64 v1, v1, v3, s2
	v_cmp_eq_u32_e32 vcc_lo, 5, v73
	v_lshrrev_b32_e32 v12, 16, v4
	v_cndmask_b32_e64 v13, v13, v11, s3
	v_cndmask_b32_e64 v3, v14, v15, s3
	v_cmp_eq_u32_e64 s3, 6, v73
	v_cndmask_b32_e32 v1, v1, v11, vcc_lo
	v_cndmask_b32_e64 v5, v5, v11, s4
	v_cmp_eq_u32_e64 s5, 6, v71
	v_cndmask_b32_e64 v6, v6, v15, s4
	v_cmp_eq_u32_e64 s4, 6, v74
	v_cmp_eq_u32_e64 s2, 6, v72
	v_cndmask_b32_e64 v1, v1, v4, s3
	v_cndmask_b32_e32 v2, v2, v15, vcc_lo
	v_cmp_eq_u32_e32 vcc_lo, 7, v73
	v_cndmask_b32_e64 v5, v5, v4, s5
	v_cndmask_b32_e64 v9, v9, v4, s4
	;; [unrolled: 1-line block ×3, first 2 shown]
	v_cmp_eq_u32_e64 s5, 7, v71
	v_cndmask_b32_e32 v1, v1, v12, vcc_lo
	v_cndmask_b32_e64 v7, v13, v4, s2
	v_cndmask_b32_e64 v3, v3, v8, s2
	;; [unrolled: 1-line block ×3, first 2 shown]
	v_cmp_eq_u32_e64 s2, 7, v72
	v_cndmask_b32_e64 v4, v10, v8, s4
	v_cndmask_b32_e64 v5, v5, v12, s5
	;; [unrolled: 1-line block ×3, first 2 shown]
	v_cndmask_b32_e32 v2, v2, v16, vcc_lo
	v_cndmask_b32_e64 v7, v7, v12, s2
	v_cndmask_b32_e64 v3, v3, v16, s2
	;; [unrolled: 1-line block ×4, first 2 shown]
	v_perm_b32 v4, v2, v1, 0x5040100
	s_mov_b32 s2, exec_lo
	v_perm_b32 v3, v3, v7, 0x5040100
	v_perm_b32 v2, v8, v9, 0x5040100
	;; [unrolled: 1-line block ×3, first 2 shown]
	ds_store_b128 v69, v[1:4]
	s_waitcnt lgkmcnt(0)
	s_barrier
	buffer_gl0_inv
	v_cmpx_gt_u32_e32 32, v0
	s_cbranch_execz .LBB965_2
; %bb.15:
	s_load_b64 s[0:1], s[0:1], 0x68
	v_lshlrev_b32_e32 v0, 10, v0
	s_lshl_b32 s4, s34, 7
	v_or_b32_e32 v23, s31, v66
	s_mul_i32 s2, s4, s30
	v_lshlrev_b32_e32 v1, 4, v67
	v_lshlrev_b32_e32 v2, 6, v66
	s_mul_i32 s2, s2, s7
	v_and_b32_e32 v0, 0x3800, v0
	v_mul_lo_u32 v8, v23, s4
	s_ashr_i32 s3, s2, 31
	v_or_b32_e32 v3, 2, v23
	s_lshl_b64 s[2:3], s[2:3], 1
	v_or3_b32 v27, v0, v1, v2
	v_or_b32_e32 v11, 4, v23
	v_or_b32_e32 v18, 6, v23
	v_mul_lo_u32 v10, v3, s4
	v_ashrrev_i32_e32 v9, 31, v8
	ds_load_b128 v[0:3], v27
	ds_load_b128 v[4:7], v27 offset:128
	v_mul_lo_u32 v12, v11, s4
	s_waitcnt lgkmcnt(0)
	s_add_u32 s2, s0, s2
	s_addc_u32 s3, s1, s3
	s_lshl_b32 s0, s14, 7
	v_lshlrev_b64 v[8:9], 1, v[8:9]
	s_ashr_i32 s1, s0, 31
	v_ashrrev_i32_e32 v11, 31, v10
	s_lshl_b64 s[0:1], s[0:1], 1
	v_ashrrev_i32_e32 v13, 31, v12
	s_add_u32 s0, s2, s0
	s_addc_u32 s1, s3, s1
	v_add_co_u32 v30, s0, s0, v65
	s_delay_alu instid0(VALU_DEP_1) | instskip(SKIP_1) | instid1(VALU_DEP_3)
	v_add_co_ci_u32_e64 v31, null, s1, 0, s0
	v_lshlrev_b64 v[16:17], 1, v[10:11]
	v_add_co_u32 v14, vcc_lo, v30, v8
	s_delay_alu instid0(VALU_DEP_3)
	v_add_co_ci_u32_e32 v15, vcc_lo, v31, v9, vcc_lo
	ds_load_b128 v[8:11], v27 offset:256
	v_mul_lo_u32 v18, v18, s4
	v_or_b32_e32 v19, 8, v23
	v_add_co_u32 v16, vcc_lo, v30, v16
	global_store_b128 v[14:15], v[0:3], off
	v_lshlrev_b64 v[0:1], 1, v[12:13]
	v_add_co_ci_u32_e32 v17, vcc_lo, v31, v17, vcc_lo
	v_mul_lo_u32 v12, v19, s4
	v_ashrrev_i32_e32 v19, 31, v18
	v_or_b32_e32 v14, 10, v23
	global_store_b128 v[16:17], v[4:7], off
	v_add_co_u32 v4, vcc_lo, v30, v0
	v_add_co_ci_u32_e32 v5, vcc_lo, v31, v1, vcc_lo
	ds_load_b128 v[0:3], v27 offset:384
	v_ashrrev_i32_e32 v13, 31, v12
	v_lshlrev_b64 v[6:7], 1, v[18:19]
	v_mul_lo_u32 v14, v14, s4
	s_waitcnt lgkmcnt(1)
	global_store_b128 v[4:5], v[8:11], off
	v_or_b32_e32 v8, 12, v23
	v_lshlrev_b64 v[4:5], 1, v[12:13]
	v_add_co_u32 v20, vcc_lo, v30, v6
	v_or_b32_e32 v6, 14, v23
	v_ashrrev_i32_e32 v15, 31, v14
	v_mul_lo_u32 v22, v8, s4
	v_add_co_ci_u32_e32 v21, vcc_lo, v31, v7, vcc_lo
	v_add_co_u32 v24, vcc_lo, v30, v4
	v_mul_lo_u32 v26, v6, s4
	v_add_co_ci_u32_e32 v25, vcc_lo, v31, v5, vcc_lo
	v_lshlrev_b64 v[28:29], 1, v[14:15]
	ds_load_b128 v[4:7], v27 offset:512
	ds_load_b128 v[8:11], v27 offset:640
	;; [unrolled: 1-line block ×4, first 2 shown]
	v_ashrrev_i32_e32 v23, 31, v22
	v_ashrrev_i32_e32 v27, 31, v26
	v_add_co_u32 v28, vcc_lo, v30, v28
	s_delay_alu instid0(VALU_DEP_3) | instskip(SKIP_1) | instid1(VALU_DEP_4)
	v_lshlrev_b64 v[22:23], 1, v[22:23]
	v_add_co_ci_u32_e32 v29, vcc_lo, v31, v29, vcc_lo
	v_lshlrev_b64 v[26:27], 1, v[26:27]
	s_delay_alu instid0(VALU_DEP_3) | instskip(NEXT) | instid1(VALU_DEP_4)
	v_add_co_u32 v22, vcc_lo, v30, v22
	v_add_co_ci_u32_e32 v23, vcc_lo, v31, v23, vcc_lo
	s_delay_alu instid0(VALU_DEP_3) | instskip(NEXT) | instid1(VALU_DEP_4)
	v_add_co_u32 v26, vcc_lo, v30, v26
	v_add_co_ci_u32_e32 v27, vcc_lo, v31, v27, vcc_lo
	s_waitcnt lgkmcnt(4)
	global_store_b128 v[20:21], v[0:3], off
	s_waitcnt lgkmcnt(3)
	global_store_b128 v[24:25], v[4:7], off
	;; [unrolled: 2-line block ×5, first 2 shown]
	s_nop 0
	s_sendmsg sendmsg(MSG_DEALLOC_VGPRS)
	s_endpgm
	.section	.rodata,"a",@progbits
	.p2align	6, 0x0
	.amdhsa_kernel _Z39paged_attention_ll4mi_QKV_mfma16_kernelIDF16_hLN4vllm18Fp8KVCacheDataTypeE1EhLi16ELi128ELi256ELb0ELi16EL8MFMAType1EEvPKT_PKT0_S8_ifPKiSA_SA_iPKfiiiPfSD_PS3_PT2_iSC_SC_
		.amdhsa_group_segment_fixed_size 17472
		.amdhsa_private_segment_fixed_size 0
		.amdhsa_kernarg_size 400
		.amdhsa_user_sgpr_count 13
		.amdhsa_user_sgpr_dispatch_ptr 0
		.amdhsa_user_sgpr_queue_ptr 0
		.amdhsa_user_sgpr_kernarg_segment_ptr 1
		.amdhsa_user_sgpr_dispatch_id 0
		.amdhsa_user_sgpr_private_segment_size 0
		.amdhsa_wavefront_size32 1
		.amdhsa_uses_dynamic_stack 0
		.amdhsa_enable_private_segment 0
		.amdhsa_system_sgpr_workgroup_id_x 1
		.amdhsa_system_sgpr_workgroup_id_y 1
		.amdhsa_system_sgpr_workgroup_id_z 1
		.amdhsa_system_sgpr_workgroup_info 0
		.amdhsa_system_vgpr_workitem_id 0
		.amdhsa_next_free_vgpr 140
		.amdhsa_next_free_sgpr 35
		.amdhsa_reserve_vcc 1
		.amdhsa_float_round_mode_32 0
		.amdhsa_float_round_mode_16_64 0
		.amdhsa_float_denorm_mode_32 3
		.amdhsa_float_denorm_mode_16_64 3
		.amdhsa_dx10_clamp 1
		.amdhsa_ieee_mode 1
		.amdhsa_fp16_overflow 0
		.amdhsa_workgroup_processor_mode 1
		.amdhsa_memory_ordered 1
		.amdhsa_forward_progress 0
		.amdhsa_shared_vgpr_count 0
		.amdhsa_exception_fp_ieee_invalid_op 0
		.amdhsa_exception_fp_denorm_src 0
		.amdhsa_exception_fp_ieee_div_zero 0
		.amdhsa_exception_fp_ieee_overflow 0
		.amdhsa_exception_fp_ieee_underflow 0
		.amdhsa_exception_fp_ieee_inexact 0
		.amdhsa_exception_int_div_zero 0
	.end_amdhsa_kernel
	.section	.text._Z39paged_attention_ll4mi_QKV_mfma16_kernelIDF16_hLN4vllm18Fp8KVCacheDataTypeE1EhLi16ELi128ELi256ELb0ELi16EL8MFMAType1EEvPKT_PKT0_S8_ifPKiSA_SA_iPKfiiiPfSD_PS3_PT2_iSC_SC_,"axG",@progbits,_Z39paged_attention_ll4mi_QKV_mfma16_kernelIDF16_hLN4vllm18Fp8KVCacheDataTypeE1EhLi16ELi128ELi256ELb0ELi16EL8MFMAType1EEvPKT_PKT0_S8_ifPKiSA_SA_iPKfiiiPfSD_PS3_PT2_iSC_SC_,comdat
.Lfunc_end965:
	.size	_Z39paged_attention_ll4mi_QKV_mfma16_kernelIDF16_hLN4vllm18Fp8KVCacheDataTypeE1EhLi16ELi128ELi256ELb0ELi16EL8MFMAType1EEvPKT_PKT0_S8_ifPKiSA_SA_iPKfiiiPfSD_PS3_PT2_iSC_SC_, .Lfunc_end965-_Z39paged_attention_ll4mi_QKV_mfma16_kernelIDF16_hLN4vllm18Fp8KVCacheDataTypeE1EhLi16ELi128ELi256ELb0ELi16EL8MFMAType1EEvPKT_PKT0_S8_ifPKiSA_SA_iPKfiiiPfSD_PS3_PT2_iSC_SC_
                                        ; -- End function
	.section	.AMDGPU.csdata,"",@progbits
; Kernel info:
; codeLenInByte = 6832
; NumSgprs: 37
; NumVgprs: 140
; ScratchSize: 0
; MemoryBound: 0
; FloatMode: 240
; IeeeMode: 1
; LDSByteSize: 17472 bytes/workgroup (compile time only)
; SGPRBlocks: 4
; VGPRBlocks: 17
; NumSGPRsForWavesPerEU: 37
; NumVGPRsForWavesPerEU: 140
; Occupancy: 10
; WaveLimiterHint : 1
; COMPUTE_PGM_RSRC2:SCRATCH_EN: 0
; COMPUTE_PGM_RSRC2:USER_SGPR: 13
; COMPUTE_PGM_RSRC2:TRAP_HANDLER: 0
; COMPUTE_PGM_RSRC2:TGID_X_EN: 1
; COMPUTE_PGM_RSRC2:TGID_Y_EN: 1
; COMPUTE_PGM_RSRC2:TGID_Z_EN: 1
; COMPUTE_PGM_RSRC2:TIDIG_COMP_CNT: 0
	.section	.text._Z39paged_attention_ll4mi_QKV_mfma16_kernelIDF16_hLN4vllm18Fp8KVCacheDataTypeE1EhLi16ELi128ELi256ELb0ELi1EL8MFMAType1EEvPKT_PKT0_S8_ifPKiSA_SA_iPKfiiiPfSD_PS3_PT2_iSC_SC_,"axG",@progbits,_Z39paged_attention_ll4mi_QKV_mfma16_kernelIDF16_hLN4vllm18Fp8KVCacheDataTypeE1EhLi16ELi128ELi256ELb0ELi1EL8MFMAType1EEvPKT_PKT0_S8_ifPKiSA_SA_iPKfiiiPfSD_PS3_PT2_iSC_SC_,comdat
	.protected	_Z39paged_attention_ll4mi_QKV_mfma16_kernelIDF16_hLN4vllm18Fp8KVCacheDataTypeE1EhLi16ELi128ELi256ELb0ELi1EL8MFMAType1EEvPKT_PKT0_S8_ifPKiSA_SA_iPKfiiiPfSD_PS3_PT2_iSC_SC_ ; -- Begin function _Z39paged_attention_ll4mi_QKV_mfma16_kernelIDF16_hLN4vllm18Fp8KVCacheDataTypeE1EhLi16ELi128ELi256ELb0ELi1EL8MFMAType1EEvPKT_PKT0_S8_ifPKiSA_SA_iPKfiiiPfSD_PS3_PT2_iSC_SC_
	.globl	_Z39paged_attention_ll4mi_QKV_mfma16_kernelIDF16_hLN4vllm18Fp8KVCacheDataTypeE1EhLi16ELi128ELi256ELb0ELi1EL8MFMAType1EEvPKT_PKT0_S8_ifPKiSA_SA_iPKfiiiPfSD_PS3_PT2_iSC_SC_
	.p2align	8
	.type	_Z39paged_attention_ll4mi_QKV_mfma16_kernelIDF16_hLN4vllm18Fp8KVCacheDataTypeE1EhLi16ELi128ELi256ELb0ELi1EL8MFMAType1EEvPKT_PKT0_S8_ifPKiSA_SA_iPKfiiiPfSD_PS3_PT2_iSC_SC_,@function
_Z39paged_attention_ll4mi_QKV_mfma16_kernelIDF16_hLN4vllm18Fp8KVCacheDataTypeE1EhLi16ELi128ELi256ELb0ELi1EL8MFMAType1EEvPKT_PKT0_S8_ifPKiSA_SA_iPKfiiiPfSD_PS3_PT2_iSC_SC_: ; @_Z39paged_attention_ll4mi_QKV_mfma16_kernelIDF16_hLN4vllm18Fp8KVCacheDataTypeE1EhLi16ELi128ELi256ELb0ELi1EL8MFMAType1EEvPKT_PKT0_S8_ifPKiSA_SA_iPKfiiiPfSD_PS3_PT2_iSC_SC_
; %bb.0:
	s_load_b64 s[4:5], s[0:1], 0x30
	s_mov_b32 s34, s13
	s_waitcnt lgkmcnt(0)
	s_cmp_lg_u64 s[4:5], 0
	s_cselect_b32 s6, -1, 0
	s_ashr_i32 s35, s13, 31
	s_cmp_eq_u64 s[4:5], 0
	s_cbranch_scc1 .LBB966_3
; %bb.1:
	s_lshl_b64 s[2:3], s[34:35], 2
	s_delay_alu instid0(SALU_CYCLE_1) | instskip(SKIP_4) | instid1(SALU_CYCLE_1)
	s_add_u32 s2, s4, s2
	s_addc_u32 s3, s5, s3
	s_load_b64 s[2:3], s[2:3], 0x0
	s_waitcnt lgkmcnt(0)
	s_sub_i32 s2, s3, s2
	s_cmp_eq_u32 s2, 1
	s_cselect_b32 s2, -1, 0
	s_delay_alu instid0(SALU_CYCLE_1)
	s_and_not1_b32 vcc_lo, exec_lo, s2
	s_cbranch_vccz .LBB966_4
.LBB966_2:
	s_endpgm
.LBB966_3:
.LBB966_4:
	s_load_b64 s[2:3], s[0:1], 0x28
	s_lshl_b64 s[8:9], s[34:35], 2
	s_waitcnt lgkmcnt(0)
	s_add_u32 s2, s2, s8
	s_addc_u32 s3, s3, s9
	s_lshl_b32 s12, s14, 8
	s_load_b32 s33, s[2:3], 0x0
	s_waitcnt lgkmcnt(0)
	s_cmp_ge_i32 s12, s33
	s_cbranch_scc1 .LBB966_2
; %bb.5:
	s_clause 0x1
	s_load_b128 s[56:59], s[0:1], 0x8
	s_load_b64 s[2:3], s[0:1], 0x20
	s_and_not1_b32 vcc_lo, exec_lo, s6
	s_mov_b64 s[6:7], s[34:35]
	s_cbranch_vccnz .LBB966_7
; %bb.6:
	s_add_u32 s4, s4, s8
	s_addc_u32 s5, s5, s9
	s_load_b32 s6, s[4:5], 0x0
.LBB966_7:
	s_load_b128 s[52:55], s[0:1], 0x48
	v_and_b32_e32 v65, 15, v0
	s_mov_b32 s13, exec_lo
                                        ; implicit-def: $sgpr36
                                        ; implicit-def: $sgpr24
                                        ; implicit-def: $sgpr16
                                        ; implicit-def: $sgpr4
	s_delay_alu instid0(VALU_DEP_1)
	v_cmpx_eq_u32_e32 0, v65
	s_cbranch_execz .LBB966_9
; %bb.8:
	s_load_b64 s[4:5], s[0:1], 0x0
	s_waitcnt lgkmcnt(0)
	s_mul_hi_i32 s7, s6, s52
	s_mul_i32 s6, s6, s52
	s_delay_alu instid0(SALU_CYCLE_1) | instskip(NEXT) | instid1(SALU_CYCLE_1)
	s_lshl_b64 s[6:7], s[6:7], 1
	s_add_u32 s6, s4, s6
	s_addc_u32 s7, s5, s7
	s_lshl_b32 s4, s15, 7
	s_delay_alu instid0(SALU_CYCLE_1) | instskip(NEXT) | instid1(SALU_CYCLE_1)
	s_ashr_i32 s5, s4, 31
	s_lshl_b64 s[4:5], s[4:5], 1
	s_delay_alu instid0(SALU_CYCLE_1)
	s_add_u32 s4, s6, s4
	s_addc_u32 s5, s7, s5
	s_clause 0x3
	s_load_b256 s[36:43], s[4:5], 0x0
	s_load_b256 s[24:31], s[4:5], 0x40
	;; [unrolled: 1-line block ×4, first 2 shown]
.LBB966_9:
	s_or_b32 exec_lo, exec_lo, s13
	v_and_b32_e32 v1, 0xef, v0
	s_add_i32 s13, s33, 15
	s_load_b32 s44, s[0:1], 0x38
	s_ashr_i32 s35, s13, 31
	s_waitcnt lgkmcnt(0)
	s_mul_i32 s62, s15, s54
	v_add_nc_u32_e32 v1, s12, v1
	s_lshr_b32 s35, s35, 28
	v_dual_mov_b32 v105, s31 :: v_dual_mov_b32 v98, s24
	s_add_i32 s13, s13, s35
	s_delay_alu instid0(VALU_DEP_2)
	v_ashrrev_i32_e32 v2, 31, v1
	v_or_b32_e32 v3, 16, v1
	s_ashr_i32 s13, s13, 4
	v_cmp_gt_i32_e32 vcc_lo, s33, v1
	s_add_i32 s13, s13, -1
	v_lshrrev_b32_e32 v2, 28, v2
	s_load_b32 s35, s[0:1], 0x1c
	v_mov_b32_e32 v103, s29
	v_mov_b32_e32 v101, s27
	s_delay_alu instid0(VALU_DEP_3)
	v_dual_mov_b32 v99, s25 :: v_dual_add_nc_u32 v4, v1, v2
	v_lshlrev_b32_e32 v73, 4, v65
	s_mul_i32 s44, s34, s44
	v_lshrrev_b32_e32 v66, 5, v0
	s_ashr_i32 s45, s44, 31
	v_ashrrev_i32_e32 v4, 4, v4
	v_add_nc_u32_e32 v2, v3, v2
	s_lshl_b64 s[44:45], s[44:45], 2
	v_mov_b32_e32 v104, s30
	s_add_u32 s61, s2, s44
	v_cndmask_b32_e32 v1, s13, v4, vcc_lo
	v_ashrrev_i32_e32 v2, 4, v2
	v_cmp_gt_i32_e32 vcc_lo, s33, v3
	s_addc_u32 s60, s3, s45
	s_ashr_i32 s63, s62, 31
	s_add_u32 s52, s56, s62
	s_addc_u32 s56, s57, s63
	v_cndmask_b32_e32 v3, s13, v2, vcc_lo
	v_ashrrev_i32_e32 v2, 31, v1
	s_lshl_b32 s2, s14, 4
	v_mov_b32_e32 v102, s28
	s_ashr_i32 s3, s2, 31
	v_ashrrev_i32_e32 v4, 31, v3
	v_lshlrev_b64 v[1:2], 2, v[1:2]
	s_lshl_b64 s[2:3], s[2:3], 2
	v_mov_b32_e32 v100, s26
	s_add_u32 s2, s61, s2
	v_lshlrev_b64 v[3:4], 2, v[3:4]
	s_addc_u32 s3, s60, s3
	v_add_co_u32 v1, vcc_lo, s61, v1
	v_add_co_ci_u32_e32 v2, vcc_lo, s60, v2, vcc_lo
	s_delay_alu instid0(VALU_DEP_3) | instskip(NEXT) | instid1(VALU_DEP_4)
	v_add_co_u32 v3, vcc_lo, s61, v3
	v_add_co_ci_u32_e32 v4, vcc_lo, s60, v4, vcc_lo
	s_clause 0x1
	global_load_b32 v5, v[1:2], off
	global_load_b32 v3, v[3:4], off
	s_or_b32 s44, s12, 32
	v_lshlrev_b32_e32 v1, 4, v0
	s_ashr_i32 s45, s44, 4
	s_cmp_lt_i32 s44, s33
	s_cselect_b32 s44, s45, s13
	s_delay_alu instid0(VALU_DEP_1) | instskip(SKIP_1) | instid1(SALU_CYCLE_1)
	v_and_b32_e32 v1, 0xf0, v1
	s_ashr_i32 s45, s44, 31
	s_lshl_b64 s[44:45], s[44:45], 2
	s_delay_alu instid0(SALU_CYCLE_1)
	s_add_u32 s44, s61, s44
	s_addc_u32 s45, s60, s45
	s_or_b32 s46, s12, 64
	v_add_co_u32 v1, s52, s52, v1
	s_ashr_i32 s47, s46, 4
	s_cmp_lt_i32 s46, s33
	v_add_co_ci_u32_e64 v2, null, s56, 0, s52
	s_cselect_b32 s46, s47, s13
	s_delay_alu instid0(SALU_CYCLE_1) | instskip(NEXT) | instid1(SALU_CYCLE_1)
	s_ashr_i32 s47, s46, 31
	s_lshl_b64 s[46:47], s[46:47], 2
	s_delay_alu instid0(SALU_CYCLE_1) | instskip(SKIP_2) | instid1(SALU_CYCLE_1)
	s_add_u32 s46, s61, s46
	s_addc_u32 s47, s60, s47
	s_or_b32 s48, s12, 0x60
	s_ashr_i32 s49, s48, 4
	s_cmp_lt_i32 s48, s33
	s_cselect_b32 s48, s49, s13
	s_delay_alu instid0(SALU_CYCLE_1) | instskip(NEXT) | instid1(SALU_CYCLE_1)
	s_ashr_i32 s49, s48, 31
	s_lshl_b64 s[48:49], s[48:49], 2
	s_delay_alu instid0(SALU_CYCLE_1) | instskip(SKIP_2) | instid1(SALU_CYCLE_1)
	s_add_u32 s48, s61, s48
	s_addc_u32 s49, s60, s49
	s_or_b32 s50, s12, 0x80
	s_ashr_i32 s51, s50, 4
	s_cmp_lt_i32 s50, s33
	;; [unrolled: 10-line block ×3, first 2 shown]
	s_cselect_b32 s54, s55, s13
	s_delay_alu instid0(SALU_CYCLE_1) | instskip(NEXT) | instid1(SALU_CYCLE_1)
	s_ashr_i32 s55, s54, 31
	s_lshl_b64 s[54:55], s[54:55], 2
	s_delay_alu instid0(SALU_CYCLE_1)
	s_add_u32 s64, s61, s54
	s_addc_u32 s65, s60, s55
	s_clause 0x5
	s_load_b32 s56, s[2:3], 0x0
	s_load_b32 s3, s[44:45], 0x0
	;; [unrolled: 1-line block ×6, first 2 shown]
	s_or_b32 s24, s12, 0xc0
	s_mov_b32 s44, 0
	s_ashr_i32 s25, s24, 4
	s_mov_b32 s45, s44
	s_mov_b32 s46, s44
	;; [unrolled: 1-line block ×7, first 2 shown]
	v_dual_mov_b32 v113, s23 :: v_dual_mov_b32 v112, s22
	v_dual_mov_b32 v111, s21 :: v_dual_mov_b32 v110, s20
	;; [unrolled: 1-line block ×4, first 2 shown]
	v_lshl_or_b32 v41, v66, 8, v73
	v_dual_mov_b32 v121, s51 :: v_dual_mov_b32 v120, s50
	v_dual_mov_b32 v119, s49 :: v_dual_mov_b32 v118, s48
	;; [unrolled: 1-line block ×4, first 2 shown]
	s_cmp_lt_i32 s24, s33
	s_cselect_b32 s16, s25, s13
	s_delay_alu instid0(SALU_CYCLE_1) | instskip(NEXT) | instid1(SALU_CYCLE_1)
	s_ashr_i32 s17, s16, 31
	s_lshl_b64 s[16:17], s[16:17], 2
	s_delay_alu instid0(SALU_CYCLE_1) | instskip(SKIP_2) | instid1(SALU_CYCLE_1)
	s_add_u32 s16, s61, s16
	s_addc_u32 s17, s60, s17
	s_or_b32 s18, s12, 0xe0
	s_ashr_i32 s19, s18, 4
	s_cmp_lt_i32 s18, s33
	s_cselect_b32 s18, s19, s13
	s_delay_alu instid0(SALU_CYCLE_1) | instskip(NEXT) | instid1(SALU_CYCLE_1)
	s_ashr_i32 s19, s18, 31
	s_lshl_b64 s[18:19], s[18:19], 2
	s_delay_alu instid0(SALU_CYCLE_1) | instskip(SKIP_4) | instid1(VALU_DEP_1)
	s_add_u32 s18, s61, s18
	s_addc_u32 s19, s60, s19
	s_add_u32 s13, s58, s62
	s_addc_u32 s20, s59, s63
	v_add_co_u32 v67, s13, s13, v41
	v_add_co_ci_u32_e64 v68, null, s20, 0, s13
	s_waitcnt lgkmcnt(0)
	s_delay_alu instid0(VALU_DEP_1)
	v_mad_i64_i32 v[41:42], null, s56, s53, v[67:68]
	v_mad_i64_i32 v[71:72], null, s54, s53, v[67:68]
	;; [unrolled: 1-line block ×5, first 2 shown]
	s_waitcnt vmcnt(1)
	v_mad_i64_i32 v[33:34], null, v5, s53, v[1:2]
	s_waitcnt vmcnt(0)
	v_mad_i64_i32 v[35:36], null, v3, s53, v[1:2]
	s_clause 0xf
	global_load_b128 v[1:4], v[33:34], off
	global_load_b128 v[5:8], v[33:34], off offset:256
	global_load_b128 v[9:12], v[35:36], off
	global_load_b128 v[13:16], v[35:36], off offset:256
	global_load_b128 v[17:20], v[33:34], off offset:512
	;; [unrolled: 1-line block ×13, first 2 shown]
	v_mov_b32_e32 v33, s36
	v_mov_b32_e32 v35, s38
	;; [unrolled: 1-line block ×4, first 2 shown]
	s_clause 0x1
	s_load_b32 s13, s[16:17], 0x0
	s_load_b32 s16, s[18:19], 0x0
	v_mov_b32_e32 v34, s37
	v_mov_b32_e32 v36, s39
	v_mov_b32_e32 v38, s41
	v_mov_b32_e32 v40, s43
	s_waitcnt lgkmcnt(0)
	v_mad_i64_i32 v[132:133], null, s16, s53, v[67:68]
	s_waitcnt vmcnt(14)
	s_delay_alu instid0(VALU_DEP_2)
	v_wmma_f32_16x16x16_f16 v[122:129], v[1:8], v[33:40], v[114:121]
	s_waitcnt vmcnt(12)
	v_wmma_f32_16x16x16_f16 v[114:121], v[9:16], v[33:40], v[114:121]
	s_clause 0x7
	global_load_b128 v[49:52], v[41:42], off
	global_load_b128 v[53:56], v[41:42], off offset:16
	global_load_b128 v[41:44], v[45:46], off
	global_load_b128 v[45:48], v[45:46], off offset:16
	;; [unrolled: 2-line block ×4, first 2 shown]
	v_mad_i64_i32 v[71:72], null, s13, s53, v[67:68]
	v_mad_i64_i32 v[69:70], null, s2, s53, v[67:68]
	s_waitcnt vmcnt(18)
	v_wmma_f32_16x16x16_f16 v[122:129], v[17:24], v[98:105], v[122:129]
	s_waitcnt vmcnt(16)
	v_wmma_f32_16x16x16_f16 v[114:121], v[25:32], v[98:105], v[114:121]
	s_clause 0x3
	global_load_b128 v[9:12], v[130:131], off
	global_load_b128 v[13:16], v[130:131], off offset:16
	global_load_b128 v[17:20], v[69:70], off
	global_load_b128 v[21:24], v[69:70], off offset:16
	s_waitcnt vmcnt(18)
	v_wmma_f32_16x16x16_f16 v[122:129], v[57:64], v[106:113], v[122:129]
	s_clause 0x3
	global_load_b128 v[25:28], v[71:72], off
	global_load_b128 v[29:32], v[71:72], off offset:16
	global_load_b128 v[57:60], v[132:133], off
	global_load_b128 v[61:64], v[132:133], off offset:16
	v_mbcnt_lo_u32_b32 v68, -1, 0
	v_dual_mov_b32 v105, s11 :: v_dual_mov_b32 v104, s10
	v_dual_mov_b32 v103, s9 :: v_dual_mov_b32 v102, s8
	s_delay_alu instid0(VALU_DEP_3) | instskip(SKIP_2) | instid1(VALU_DEP_3)
	v_xor_b32_e32 v69, 16, v68
	v_dual_mov_b32 v101, s7 :: v_dual_mov_b32 v100, s6
	v_dual_mov_b32 v99, s5 :: v_dual_mov_b32 v98, s4
	v_cmp_gt_i32_e32 vcc_lo, 32, v69
	v_and_b32_e32 v67, 0xe0, v0
	s_waitcnt vmcnt(20)
	v_wmma_f32_16x16x16_f16 v[114:121], v[74:81], v[106:113], v[114:121]
	v_bfe_u32 v74, v0, 4, 1
	s_waitcnt vmcnt(18)
	v_wmma_f32_16x16x16_f16 v[122:129], v[82:89], v[98:105], v[122:129]
	v_dual_cndmask_b32 v68, v68, v69 :: v_dual_add_nc_u32 v67, s12, v67
	s_waitcnt vmcnt(0)
	s_barrier
	s_delay_alu instid0(VALU_DEP_2)
	v_mul_f32_e32 v86, s35, v129
	v_mul_f32_e32 v88, s35, v127
	v_or_b32_e32 v67, v67, v74
	v_wmma_f32_16x16x16_f16 v[114:121], v[90:97], v[98:105], v[114:121]
	v_dual_mul_f32 v92, s35, v123 :: v_dual_mul_f32 v93, s35, v122
	v_mul_f32_e32 v90, s35, v125
	s_delay_alu instid0(VALU_DEP_4)
	v_or_b32_e32 v69, 2, v67
	v_or_b32_e32 v70, 4, v67
	;; [unrolled: 1-line block ×3, first 2 shown]
	v_cmp_gt_i32_e64 s2, s33, v67
	v_or_b32_e32 v72, 8, v67
	v_cmp_gt_i32_e32 vcc_lo, s33, v69
	v_or_b32_e32 v75, 10, v67
	v_mul_f32_e32 v91, s35, v124
	v_cndmask_b32_e64 v93, 0xff7fffff, v93, s2
	v_cmp_gt_i32_e64 s3, s33, v70
	v_cndmask_b32_e32 v92, 0xff7fffff, v92, vcc_lo
	v_cmp_gt_i32_e64 s4, s33, v71
	v_or_b32_e32 v76, 12, v67
	v_or_b32_e32 v77, 14, v67
	v_dual_mul_f32 v89, s35, v126 :: v_dual_mul_f32 v98, s35, v117
	v_cndmask_b32_e64 v70, 0xff7fffff, v91, s3
	v_cndmask_b32_e64 v71, 0xff7fffff, v90, s4
	v_max3_f32 v90, v93, 0xff7fffff, v92
	v_cmp_gt_i32_e64 s5, s33, v72
	v_cmp_gt_i32_e64 s6, s33, v75
	v_or_b32_e32 v78, 16, v67
	v_or_b32_e32 v79, 18, v67
	v_dual_mul_f32 v87, s35, v128 :: v_dual_mul_f32 v96, s35, v119
	v_cndmask_b32_e64 v72, 0xff7fffff, v89, s5
	v_cndmask_b32_e64 v75, 0xff7fffff, v88, s6
	v_max3_f32 v70, v90, v70, v71
	v_cmp_gt_i32_e64 s7, s33, v76
	v_cmp_gt_i32_e64 s8, s33, v77
	v_or_b32_e32 v80, 20, v67
	v_or_b32_e32 v81, 22, v67
	;; [unrolled: 1-line block ×6, first 2 shown]
	v_mul_f32_e32 v69, s35, v115
	v_mul_f32_e32 v67, s35, v114
	v_cndmask_b32_e64 v71, 0xff7fffff, v87, s7
	v_cndmask_b32_e64 v76, 0xff7fffff, v86, s8
	v_max3_f32 v70, v70, v72, v75
	v_cmp_gt_i32_e64 s9, s33, v78
	v_cmp_gt_i32_e64 s10, s33, v79
	v_mul_f32_e32 v99, s35, v116
	v_cmp_gt_i32_e64 s11, s33, v80
	v_max3_f32 v70, v70, v71, v76
	v_cndmask_b32_e64 v67, 0xff7fffff, v67, s9
	v_cndmask_b32_e64 v69, 0xff7fffff, v69, s10
	v_cmp_gt_i32_e64 s12, s33, v81
	v_mul_f32_e32 v97, s35, v118
	v_cndmask_b32_e64 v71, 0xff7fffff, v99, s11
	v_cmp_gt_i32_e64 s13, s33, v82
	v_max3_f32 v67, v70, v67, v69
	v_cndmask_b32_e64 v72, 0xff7fffff, v98, s12
	v_cmp_gt_i32_e64 s16, s33, v83
	v_dual_mul_f32 v94, s35, v121 :: v_dual_mul_f32 v95, s35, v120
	v_cndmask_b32_e64 v69, 0xff7fffff, v97, s13
	s_delay_alu instid0(VALU_DEP_4) | instskip(NEXT) | instid1(VALU_DEP_4)
	v_max3_f32 v67, v67, v71, v72
	v_cndmask_b32_e64 v70, 0xff7fffff, v96, s16
	v_cmp_gt_i32_e64 s17, s33, v84
	v_cmp_gt_i32_e64 s18, s33, v85
	v_lshlrev_b32_e32 v75, 2, v68
	buffer_gl0_inv
	v_max3_f32 v67, v67, v69, v70
	v_cndmask_b32_e64 v71, 0xff7fffff, v95, s17
	v_cndmask_b32_e64 v72, 0xff7fffff, v94, s18
	s_delay_alu instid0(VALU_DEP_1) | instskip(SKIP_3) | instid1(VALU_DEP_1)
	v_max3_f32 v67, v67, v71, v72
	ds_bpermute_b32 v68, v75, v67
	s_waitcnt lgkmcnt(0)
	v_max_f32_e32 v68, v68, v68
	v_max_f32_e32 v67, v67, v68
	s_delay_alu instid0(VALU_DEP_1)
	v_fma_f32 v68, s35, v122, -v67
	v_fma_f32 v70, s35, v124, -v67
	v_fma_f32 v69, s35, v123, -v67
	v_fma_f32 v71, s35, v125, -v67
	v_fma_f32 v72, s35, v126, -v67
	v_mul_f32_e32 v68, 0x3fb8aa3b, v68
	s_delay_alu instid0(VALU_DEP_4) | instskip(NEXT) | instid1(VALU_DEP_3)
	v_dual_mul_f32 v70, 0x3fb8aa3b, v70 :: v_dual_mul_f32 v69, 0x3fb8aa3b, v69
	v_mul_f32_e32 v72, 0x3fb8aa3b, v72
	s_delay_alu instid0(VALU_DEP_3) | instskip(NEXT) | instid1(VALU_DEP_2)
	v_exp_f32_e32 v68, v68
	v_exp_f32_e32 v76, v70
	s_delay_alu instid0(VALU_DEP_2) | instskip(NEXT) | instid1(VALU_DEP_1)
	v_exp_f32_e32 v69, v69
	v_exp_f32_e32 v79, v72
	v_cndmask_b32_e64 v70, 0, v68, s2
	v_fma_f32 v68, s35, v127, -v67
	s_waitcnt_depctr 0xfff
	v_cndmask_b32_e32 v69, 0, v69, vcc_lo
	v_cndmask_b32_e64 v72, 0, v76, s3
	v_cndmask_b32_e64 v83, 0, v79, s5
	v_dual_add_f32 v77, 0, v70 :: v_dual_mul_f32 v68, 0x3fb8aa3b, v68
	s_mov_b32 s3, exec_lo
	s_delay_alu instid0(VALU_DEP_1) | instskip(NEXT) | instid1(VALU_DEP_2)
	v_add_f32_e32 v76, v77, v69
	v_exp_f32_e32 v68, v68
	s_delay_alu instid0(VALU_DEP_1) | instskip(SKIP_3) | instid1(VALU_DEP_1)
	v_add_f32_e32 v76, v76, v72
	s_waitcnt_depctr 0xfff
	v_cndmask_b32_e64 v82, 0, v68, s6
	v_mul_f32_e32 v71, 0x3fb8aa3b, v71
	v_exp_f32_e32 v71, v71
	s_waitcnt_depctr 0xfff
	v_cndmask_b32_e64 v71, 0, v71, s4
	s_delay_alu instid0(VALU_DEP_1) | instskip(NEXT) | instid1(VALU_DEP_1)
	v_add_f32_e32 v76, v76, v71
	v_add_f32_e32 v68, v76, v83
	v_fma_f32 v78, s35, v128, -v67
	v_fma_f32 v77, s35, v129, -v67
	v_fma_f32 v80, s35, v114, -v67
	v_fma_f32 v79, s35, v115, -v67
	v_add_f32_e32 v68, v68, v82
	v_mul_f32_e32 v78, 0x3fb8aa3b, v78
	v_fma_f32 v76, s35, v116, -v67
	v_mul_f32_e32 v80, 0x3fb8aa3b, v80
	s_delay_alu instid0(VALU_DEP_3) | instskip(NEXT) | instid1(VALU_DEP_2)
	v_exp_f32_e32 v78, v78
	v_mul_f32_e32 v76, 0x3fb8aa3b, v76
	s_delay_alu instid0(VALU_DEP_2) | instskip(NEXT) | instid1(VALU_DEP_1)
	v_exp_f32_e32 v80, v80
	v_exp_f32_e32 v76, v76
	s_delay_alu instid0(TRANS32_DEP_3)
	v_cndmask_b32_e64 v85, 0, v78, s7
	v_fma_f32 v78, s35, v117, -v67
	v_mul_f32_e32 v77, 0x3fb8aa3b, v77
	v_mul_f32_e32 v79, 0x3fb8aa3b, v79
	s_waitcnt_depctr 0xfff
	v_cndmask_b32_e64 v87, 0, v80, s9
	v_add_f32_e32 v68, v68, v85
	v_mul_f32_e32 v78, 0x3fb8aa3b, v78
	v_exp_f32_e32 v77, v77
	v_exp_f32_e32 v79, v79
	v_fma_f32 v80, s35, v119, -v67
	v_cndmask_b32_e64 v89, 0, v76, s11
	v_exp_f32_e32 v78, v78
	s_delay_alu instid0(VALU_DEP_2) | instskip(NEXT) | instid1(TRANS32_DEP_3)
	v_mul_f32_e32 v80, 0x3fb8aa3b, v80
	v_cndmask_b32_e64 v84, 0, v77, s8
	v_fma_f32 v77, s35, v118, -v67
	s_delay_alu instid0(TRANS32_DEP_2)
	v_cndmask_b32_e64 v86, 0, v79, s10
	v_fma_f32 v79, s35, v120, -v67
	s_waitcnt_depctr 0xfff
	v_cndmask_b32_e64 v88, 0, v78, s12
	v_dual_add_f32 v68, v68, v84 :: v_dual_mul_f32 v77, 0x3fb8aa3b, v77
	v_fma_f32 v78, s35, v121, -v67
	v_mul_f32_e32 v76, 0x3fb8aa3b, v79
	v_exp_f32_e32 v79, v80
	s_delay_alu instid0(VALU_DEP_3) | instskip(SKIP_1) | instid1(VALU_DEP_2)
	v_add_f32_e32 v68, v68, v87
	v_exp_f32_e32 v77, v77
	v_exp_f32_e32 v76, v76
	s_delay_alu instid0(TRANS32_DEP_3)
	v_cndmask_b32_e64 v90, 0, v79, s16
	s_waitcnt_depctr 0xfff
	v_cndmask_b32_e64 v91, 0, v77, s13
	v_mul_f32_e32 v77, 0x3fb8aa3b, v78
	v_add_f32_e32 v68, v68, v86
	v_cndmask_b32_e64 v93, 0, v76, s17
	v_and_b32_e32 v76, 31, v0
	s_delay_alu instid0(VALU_DEP_4) | instskip(NEXT) | instid1(VALU_DEP_3)
	v_exp_f32_e32 v77, v77
	v_add_f32_e32 v68, v68, v89
	s_delay_alu instid0(VALU_DEP_2) | instskip(NEXT) | instid1(VALU_DEP_2)
	v_cmp_lt_u32_e64 s2, 15, v76
	v_add_f32_e32 v68, v68, v88
	s_waitcnt_depctr 0xfff
	v_cndmask_b32_e64 v92, 0, v77, s18
	v_add_f32_e32 v68, v68, v91
	s_delay_alu instid0(VALU_DEP_1) | instskip(NEXT) | instid1(VALU_DEP_1)
	v_add_f32_e32 v68, v68, v90
	v_add_f32_e32 v68, v68, v93
	s_delay_alu instid0(VALU_DEP_1)
	v_add_f32_e32 v68, v68, v92
	ds_bpermute_b32 v75, v75, v68
	v_cmpx_gt_u32_e32 16, v76
	s_cbranch_execz .LBB966_11
; %bb.10:
	v_mul_u32_u24_e32 v76, 0x44, v66
	s_delay_alu instid0(VALU_DEP_1) | instskip(SKIP_1) | instid1(VALU_DEP_1)
	v_lshl_add_u32 v76, v65, 2, v76
	s_waitcnt lgkmcnt(0)
	v_dual_add_f32 v68, v68, v75 :: v_dual_add_nc_u32 v75, 0x4000, v76
	ds_store_2addr_b32 v75, v67, v68 offset1:136
.LBB966_11:
	s_or_b32 exec_lo, exec_lo, s3
	v_lshlrev_b32_e32 v67, 2, v65
	s_load_b64 s[36:37], s[0:1], 0x94
	s_waitcnt lgkmcnt(0)
	s_barrier
	buffer_gl0_inv
	v_add_nc_u32_e32 v81, 0x4000, v67
	v_cmp_eq_u32_e32 vcc_lo, 1, v66
	v_cmp_eq_u32_e64 s3, 2, v66
	v_cmp_eq_u32_e64 s5, 3, v66
	;; [unrolled: 1-line block ×3, first 2 shown]
	ds_load_2addr_b32 v[75:76], v81 offset1:17
	ds_load_2addr_b32 v[77:78], v81 offset0:34 offset1:51
	ds_load_2addr_b32 v[79:80], v81 offset0:68 offset1:85
	;; [unrolled: 1-line block ×4, first 2 shown]
	v_cmp_eq_u32_e64 s7, 5, v66
	v_cmp_eq_u32_e64 s4, 6, v66
	s_waitcnt lgkmcnt(4)
	v_max3_f32 v67, v75, 0xff7fffff, v76
	s_waitcnt lgkmcnt(3)
	s_delay_alu instid0(VALU_DEP_1) | instskip(SKIP_1) | instid1(VALU_DEP_1)
	v_max3_f32 v67, v67, v77, v78
	s_waitcnt lgkmcnt(2)
	v_max3_f32 v67, v67, v79, v80
	s_waitcnt lgkmcnt(1)
	s_delay_alu instid0(VALU_DEP_1) | instskip(NEXT) | instid1(VALU_DEP_1)
	v_max3_f32 v67, v67, v94, v95
	v_sub_f32_e32 v68, v75, v67
	s_delay_alu instid0(VALU_DEP_1) | instskip(NEXT) | instid1(VALU_DEP_1)
	v_dual_sub_f32 v79, v79, v67 :: v_dual_mul_f32 v68, 0x3fb8aa3b, v68
	v_mul_f32_e32 v102, 0x3fb8aa3b, v79
	s_delay_alu instid0(VALU_DEP_2) | instskip(SKIP_1) | instid1(VALU_DEP_1)
	v_exp_f32_e32 v99, v68
	v_sub_f32_e32 v68, v78, v67
	v_dual_sub_f32 v98, v76, v67 :: v_dual_mul_f32 v101, 0x3fb8aa3b, v68
	s_delay_alu instid0(VALU_DEP_1)
	v_dual_sub_f32 v77, v77, v67 :: v_dual_mul_f32 v98, 0x3fb8aa3b, v98
	s_waitcnt lgkmcnt(0)
	s_waitcnt_depctr 0xfff
	v_fma_f32 v68, v99, v96, 0
	v_sub_f32_e32 v96, v80, v67
	v_mul_f32_e32 v100, 0x3fb8aa3b, v77
	v_exp_f32_e32 v98, v98
	v_exp_f32_e32 v101, v101
	s_delay_alu instid0(VALU_DEP_1) | instskip(NEXT) | instid1(TRANS32_DEP_3)
	v_exp_f32_e32 v100, v100
	v_fmac_f32_e32 v68, v98, v97
	ds_load_2addr_b32 v[75:76], v81 offset0:170 offset1:187
	ds_load_2addr_b32 v[77:78], v81 offset0:204 offset1:221
	;; [unrolled: 1-line block ×3, first 2 shown]
	v_dual_sub_f32 v81, v94, v67 :: v_dual_mul_f32 v94, 0x3fb8aa3b, v96
	v_exp_f32_e32 v96, v102
	s_waitcnt lgkmcnt(0)
	s_barrier
	s_delay_alu instid0(VALU_DEP_1)
	v_mul_f32_e32 v81, 0x3fb8aa3b, v81
	v_exp_f32_e32 v94, v94
	buffer_gl0_inv
	v_fmac_f32_e32 v68, v100, v75
	v_sub_f32_e32 v75, v95, v67
	v_exp_f32_e32 v95, v81
	s_delay_alu instid0(VALU_DEP_1) | instskip(SKIP_1) | instid1(VALU_DEP_2)
	v_dual_fmac_f32 v68, v101, v76 :: v_dual_mul_f32 v75, 0x3fb8aa3b, v75
	v_cndmask_b32_e32 v76, v99, v98, vcc_lo
	v_fmac_f32_e32 v68, v96, v77
	s_delay_alu instid0(VALU_DEP_3) | instskip(NEXT) | instid1(VALU_DEP_1)
	v_exp_f32_e32 v97, v75
	v_fmac_f32_e32 v68, v94, v78
	s_waitcnt_depctr 0xfff
	v_dual_fmac_f32 v68, v95, v79 :: v_dual_lshlrev_b32 v79, 6, v65
	s_delay_alu instid0(VALU_DEP_1) | instskip(NEXT) | instid1(VALU_DEP_2)
	v_dual_mov_b32 v65, 0 :: v_dual_fmac_f32 v68, v97, v80
	v_lshl_or_b32 v81, v66, 11, v79
	s_delay_alu instid0(VALU_DEP_2) | instskip(NEXT) | instid1(VALU_DEP_1)
	v_add_f32_e32 v80, 0x358637bd, v68
	v_div_scale_f32 v102, null, v80, v80, 1.0
	v_div_scale_f32 v98, vcc_lo, 1.0, v80, 1.0
	s_delay_alu instid0(VALU_DEP_2) | instskip(SKIP_2) | instid1(VALU_DEP_1)
	v_rcp_f32_e32 v103, v102
	s_waitcnt_depctr 0xfff
	v_fma_f32 v75, -v102, v103, 1.0
	v_fmac_f32_e32 v103, v75, v103
	v_cndmask_b32_e64 v75, v76, v100, s3
	v_cmp_eq_u32_e64 s3, 7, v66
	s_delay_alu instid0(VALU_DEP_3) | instskip(NEXT) | instid1(VALU_DEP_3)
	v_mul_f32_e32 v99, v98, v103
	v_cndmask_b32_e64 v76, v75, v101, s5
	v_lshlrev_b32_e32 v75, 2, v74
	s_delay_alu instid0(VALU_DEP_3) | instskip(NEXT) | instid1(VALU_DEP_3)
	v_fma_f32 v77, -v102, v99, v98
	v_cndmask_b32_e64 v96, v76, v96, s6
	s_delay_alu instid0(VALU_DEP_3)
	v_or_b32_e32 v78, 1, v75
	v_or_b32_e32 v76, 2, v75
	v_cmp_eq_u32_e64 s5, 1, v75
	v_fmac_f32_e32 v99, v77, v103
	v_cndmask_b32_e64 v66, v96, v94, s7
	v_or_b32_e32 v77, 3, v75
	v_cmp_eq_u32_e64 s9, 1, v78
	v_cmp_eq_u32_e64 s10, 1, v76
	v_fma_f32 v94, -v102, v99, v98
	v_cndmask_b32_e64 v66, v66, v95, s4
	v_cmp_eq_u32_e64 s11, 1, v77
	v_cmp_eq_u32_e64 s6, 2, v75
	;; [unrolled: 1-line block ×3, first 2 shown]
	v_div_fmas_f32 v94, v94, v103, v99
	v_cndmask_b32_e64 v66, v66, v97, s3
	v_cmp_eq_u32_e64 s17, 2, v77
	v_cmp_eq_u32_e32 vcc_lo, 3, v75
	v_cmp_eq_u32_e64 s13, 3, v78
	v_div_fixup_f32 v94, v94, v80, 1.0
	v_lshl_or_b32 v80, v74, 4, v81
	v_cmp_eq_u32_e64 s16, 2, v76
	v_cmp_eq_u32_e64 s19, 3, v77
	;; [unrolled: 1-line block ×3, first 2 shown]
	v_mul_f32_e32 v66, v66, v94
	v_cmp_eq_u32_e64 s18, 3, v76
	v_cmp_eq_u32_e64 s20, 4, v78
	;; [unrolled: 1-line block ×4, first 2 shown]
	v_fma_mixlo_f16 v94, v66, v70, 0
	v_fma_mixlo_f16 v95, v66, v72, 0
	;; [unrolled: 1-line block ×8, first 2 shown]
	v_fma_mixhi_f16 v94, v66, v69, 0
	v_fma_mixhi_f16 v95, v66, v71, 0
	v_fma_mixhi_f16 v96, v66, v82, 0
	v_fma_mixhi_f16 v97, v66, v84, 0
	v_fma_mixhi_f16 v98, v66, v86, 0
	v_fma_mixhi_f16 v99, v66, v88, 0
	v_fma_mixhi_f16 v100, v66, v90, 0
	v_fma_mixhi_f16 v101, v66, v92, 0
	ds_store_b128 v80, v[94:97]
	ds_store_b128 v80, v[98:101] offset:1024
	s_waitcnt lgkmcnt(0)
	s_barrier
	buffer_gl0_inv
	ds_load_b128 v[69:72], v81
	ds_load_b128 v[82:85], v81 offset:16
	ds_load_b128 v[86:89], v81 offset:1024
	;; [unrolled: 1-line block ×3, first 2 shown]
	v_cmp_eq_u32_e64 s21, 5, v78
	v_cmp_eq_u32_e64 s22, 4, v76
	;; [unrolled: 1-line block ×12, first 2 shown]
	s_waitcnt lgkmcnt(3)
	v_lshrrev_b32_e32 v66, 16, v69
	s_waitcnt lgkmcnt(2)
	v_lshrrev_b32_e32 v97, 16, v82
	;; [unrolled: 2-line block ×4, first 2 shown]
	v_lshrrev_b32_e32 v94, 16, v70
	v_cndmask_b32_e64 v109, v69, v66, s5
	v_cndmask_b32_e64 v110, v82, v97, s5
	;; [unrolled: 1-line block ×7, first 2 shown]
	v_lshrrev_b32_e32 v98, 16, v83
	v_cndmask_b32_e64 v114, v82, v97, s10
	v_cndmask_b32_e64 v82, v86, v101, s5
	;; [unrolled: 1-line block ×15, first 2 shown]
	v_lshrrev_b32_e32 v102, 16, v87
	v_lshrrev_b32_e32 v106, 16, v91
	v_cndmask_b32_e64 v111, v113, v70, s16
	v_cndmask_b32_e64 v112, v114, v83, s16
	;; [unrolled: 1-line block ×7, first 2 shown]
	v_cndmask_b32_e32 v87, v101, v94, vcc_lo
	v_cndmask_b32_e32 v101, v105, v98, vcc_lo
	v_cndmask_b32_e64 v105, v109, v94, s13
	v_cndmask_b32_e64 v109, v110, v98, s13
	v_cndmask_b32_e64 v66, v66, v94, s19
	v_cndmask_b32_e64 v69, v69, v98, s19
	v_lshrrev_b32_e32 v95, 16, v71
	v_lshrrev_b32_e32 v99, 16, v84
	v_cndmask_b32_e64 v110, v111, v94, s18
	v_cndmask_b32_e64 v111, v112, v98, s18
	v_cndmask_b32_e32 v70, v70, v102, vcc_lo
	v_cndmask_b32_e32 v82, v82, v106, vcc_lo
	v_cndmask_b32_e64 v83, v83, v102, s13
	v_cndmask_b32_e64 v87, v87, v71, s4
	;; [unrolled: 1-line block ×7, first 2 shown]
	v_lshrrev_b32_e32 v103, 16, v88
	v_lshrrev_b32_e32 v107, 16, v92
	v_cndmask_b32_e64 v105, v110, v71, s22
	v_cndmask_b32_e64 v109, v111, v84, s22
	v_cndmask_b32_e64 v70, v70, v88, s4
	v_cndmask_b32_e64 v71, v82, v92, s4
	v_cndmask_b32_e64 v82, v83, v88, s20
	v_cndmask_b32_e64 v83, v87, v95, s7
	v_cndmask_b32_e64 v84, v94, v99, s7
	v_cndmask_b32_e64 v87, v98, v95, s21
	v_cndmask_b32_e64 v94, v101, v99, s21
	v_cndmask_b32_e64 v66, v66, v95, s25
	v_cndmask_b32_e64 v69, v69, v99, s25
	v_lshrrev_b32_e32 v96, 16, v72
	v_lshrrev_b32_e32 v100, 16, v85
	v_cndmask_b32_e64 v98, v105, v95, s24
	v_cndmask_b32_e64 v101, v109, v99, s24
	;; [unrolled: 1-line block ×11, first 2 shown]
	v_lshrrev_b32_e32 v104, 16, v89
	v_cndmask_b32_e64 v95, v98, v72, s27
	v_cndmask_b32_e64 v98, v101, v85, s27
	;; [unrolled: 1-line block ×14, first 2 shown]
	v_perm_b32 v72, v69, v66, 0x5040100
	v_perm_b32 v70, v94, v84, 0x5040100
	v_cndmask_b32_e64 v66, v90, v91, s17
	v_cndmask_b32_e64 v69, v118, v91, s16
	;; [unrolled: 1-line block ×4, first 2 shown]
	v_perm_b32 v71, v95, v87, 0x5040100
	v_cndmask_b32_e64 v87, v97, v102, s18
	v_cndmask_b32_e64 v86, v86, v102, s19
	v_cndmask_b32_e64 v66, v66, v106, s19
	v_cndmask_b32_e64 v69, v69, v106, s18
	v_cndmask_b32_e64 v84, v84, v106, s13
	v_cndmask_b32_e64 v87, v87, v88, s22
	v_cndmask_b32_e64 v86, v86, v88, s23
	v_cndmask_b32_e64 v66, v66, v92, s23
	v_cndmask_b32_e64 v69, v69, v92, s22
	v_cndmask_b32_e64 v84, v84, v92, s20
	v_cndmask_b32_e64 v87, v87, v103, s24
	v_cndmask_b32_e64 v86, v86, v103, s25
	v_cndmask_b32_e64 v66, v66, v107, s25
	v_cndmask_b32_e64 v69, v69, v107, s24
	v_cndmask_b32_e64 v84, v84, v107, s21
	v_lshrrev_b32_e32 v108, 16, v93
	v_cndmask_b32_e64 v87, v87, v89, s27
	v_cndmask_b32_e64 v86, v86, v89, s28
	v_cndmask_b32_e64 v66, v66, v93, s28
	v_cndmask_b32_e64 v69, v69, v93, s27
	v_cndmask_b32_e64 v84, v84, v93, s26
	v_cndmask_b32_e64 v87, v87, v104, s29
	v_cndmask_b32_e64 v86, v86, v104, s30
	v_cndmask_b32_e64 v66, v66, v108, s30
	v_cndmask_b32_e64 v88, v69, v108, s29
	v_cndmask_b32_e64 v89, v84, v108, s31
	v_cndmask_b32_e64 v90, v85, v108, s8
	v_perm_b32 v69, v83, v82, 0x5040100
	v_perm_b32 v85, v66, v86, 0x5040100
	;; [unrolled: 1-line block ×5, first 2 shown]
	s_mov_b32 s3, exec_lo
	ds_store_b128 v80, v[69:72]
	ds_store_b128 v80, v[82:85] offset:1024
	v_cmpx_eq_u32_e32 0, v0
	s_cbranch_execz .LBB966_13
; %bb.12:
	s_load_b128 s[4:7], s[0:1], 0x58
	s_mul_i32 s8, s37, s34
	s_delay_alu instid0(SALU_CYCLE_1) | instskip(NEXT) | instid1(SALU_CYCLE_1)
	s_add_i32 s8, s8, s15
	s_mul_i32 s8, s8, s36
	s_delay_alu instid0(SALU_CYCLE_1) | instskip(NEXT) | instid1(SALU_CYCLE_1)
	s_add_i32 s8, s8, s14
	s_ashr_i32 s9, s8, 31
	s_delay_alu instid0(SALU_CYCLE_1)
	s_lshl_b64 s[8:9], s[8:9], 2
	s_waitcnt lgkmcnt(0)
	s_add_u32 s6, s6, s8
	s_addc_u32 s7, s7, s9
	s_add_u32 s4, s4, s8
	s_addc_u32 s5, s5, s9
	s_clause 0x1
	global_store_b32 v65, v67, s[6:7]
	global_store_b32 v65, v68, s[4:5]
.LBB966_13:
	s_or_b32 exec_lo, exec_lo, s3
	s_waitcnt lgkmcnt(0)
	s_waitcnt_vscnt null, 0x0
	s_barrier
	buffer_gl0_inv
	ds_load_b128 v[82:85], v79
	ds_load_b128 v[86:89], v79 offset:16
	ds_load_b128 v[94:97], v79 offset:2064
	;; [unrolled: 1-line block ×5, first 2 shown]
	v_mov_b32_e32 v66, v65
	v_mov_b32_e32 v67, v65
	;; [unrolled: 1-line block ×7, first 2 shown]
	ds_load_b128 v[110:113], v79 offset:6160
	ds_load_b128 v[106:109], v79 offset:6144
	v_cmp_eq_u32_e32 vcc_lo, 1, v75
	v_cmp_eq_u32_e64 s3, 1, v78
	v_cmp_eq_u32_e64 s4, 1, v77
	;; [unrolled: 1-line block ×5, first 2 shown]
	s_xor_b32 s2, s2, -1
	s_waitcnt lgkmcnt(6)
	v_wmma_f32_16x16x16_f16 v[65:72], v[49:56], v[82:89], v[65:72]
	ds_load_b128 v[53:56], v79 offset:8208
	ds_load_b128 v[49:52], v79 offset:8192
	;; [unrolled: 1-line block ×4, first 2 shown]
	s_waitcnt lgkmcnt(8)
	v_wmma_f32_16x16x16_f16 v[65:72], v[41:48], v[90:97], v[65:72]
	ds_load_b128 v[45:48], v79 offset:12304
	ds_load_b128 v[41:44], v79 offset:12288
	s_waitcnt lgkmcnt(8)
	v_wmma_f32_16x16x16_f16 v[65:72], v[33:40], v[98:105], v[65:72]
	ds_load_b128 v[37:40], v79 offset:14352
	ds_load_b128 v[33:36], v79 offset:14336
	s_waitcnt lgkmcnt(0)
	s_barrier
	buffer_gl0_inv
	v_wmma_f32_16x16x16_f16 v[65:72], v[1:8], v[106:113], v[65:72]
	s_delay_alu instid0(VALU_DEP_1) | instskip(NEXT) | instid1(VALU_DEP_1)
	v_wmma_f32_16x16x16_f16 v[65:72], v[9:16], v[49:56], v[65:72]
	v_wmma_f32_16x16x16_f16 v[65:72], v[17:24], v[82:89], v[65:72]
	s_delay_alu instid0(VALU_DEP_1) | instskip(NEXT) | instid1(VALU_DEP_1)
	v_wmma_f32_16x16x16_f16 v[65:72], v[25:32], v[41:48], v[65:72]
	v_wmma_f32_16x16x16_f16 v[65:72], v[57:64], v[33:40], v[65:72]
	s_delay_alu instid0(VALU_DEP_1) | instskip(NEXT) | instid1(VALU_DEP_2)
	v_cvt_f16_f32_e32 v1, v65
	v_cvt_f16_f32_e32 v2, v66
	s_delay_alu instid0(VALU_DEP_3) | instskip(NEXT) | instid1(VALU_DEP_4)
	v_cvt_f16_f32_e32 v3, v67
	v_cvt_f16_f32_e32 v4, v68
	;; [unrolled: 1-line block ×6, first 2 shown]
	v_pack_b32_f16 v1, v1, v2
	v_pack_b32_f16 v2, v3, v4
	;; [unrolled: 1-line block ×3, first 2 shown]
	s_delay_alu instid0(VALU_DEP_4)
	v_pack_b32_f16 v4, v7, v8
	ds_store_b128 v80, v[1:4]
	s_waitcnt lgkmcnt(0)
	s_barrier
	buffer_gl0_inv
	ds_load_b128 v[1:4], v81
	ds_load_b128 v[5:8], v81 offset:16
	s_waitcnt lgkmcnt(1)
	v_lshrrev_b32_e32 v9, 16, v1
	s_waitcnt lgkmcnt(0)
	v_lshrrev_b32_e32 v13, 16, v5
	v_lshrrev_b32_e32 v16, 16, v8
	;; [unrolled: 1-line block ×4, first 2 shown]
	v_cndmask_b32_e32 v17, v1, v9, vcc_lo
	v_cndmask_b32_e32 v18, v5, v13, vcc_lo
	v_cmp_eq_u32_e32 vcc_lo, 1, v76
	v_cndmask_b32_e64 v19, v1, v9, s3
	v_cndmask_b32_e64 v20, v5, v13, s3
	v_cmp_eq_u32_e64 s3, 2, v76
	v_lshrrev_b32_e32 v11, 16, v3
	v_cndmask_b32_e32 v21, v1, v9, vcc_lo
	v_cndmask_b32_e32 v22, v5, v13, vcc_lo
	v_cndmask_b32_e64 v1, v1, v9, s4
	v_cmp_eq_u32_e32 vcc_lo, 2, v77
	v_cndmask_b32_e64 v5, v5, v13, s4
	v_cmp_eq_u32_e64 s4, 2, v78
	v_cndmask_b32_e64 v9, v17, v2, s5
	v_cndmask_b32_e64 v13, v18, v6, s5
	v_cmp_eq_u32_e64 s5, 3, v78
	v_cndmask_b32_e32 v1, v1, v2, vcc_lo
	v_cndmask_b32_e64 v17, v19, v2, s4
	v_cndmask_b32_e64 v18, v20, v6, s4
	v_cndmask_b32_e64 v19, v21, v2, s3
	v_cndmask_b32_e64 v20, v22, v6, s3
	v_cndmask_b32_e32 v2, v5, v6, vcc_lo
	v_cmp_eq_u32_e32 vcc_lo, 3, v76
	v_cmp_eq_u32_e64 s4, 3, v77
	v_cndmask_b32_e64 v5, v9, v10, s6
	v_cndmask_b32_e64 v6, v13, v14, s6
	;; [unrolled: 1-line block ×4, first 2 shown]
	v_cndmask_b32_e32 v17, v19, v10, vcc_lo
	v_cmp_eq_u32_e64 s3, 4, v76
	v_cndmask_b32_e32 v18, v20, v14, vcc_lo
	v_cndmask_b32_e64 v1, v1, v10, s4
	v_cmp_eq_u32_e32 vcc_lo, 4, v77
	v_cmp_eq_u32_e64 s5, 4, v75
	v_cndmask_b32_e64 v2, v2, v14, s4
	v_cmp_eq_u32_e64 s4, 4, v78
	v_lshrrev_b32_e32 v15, 16, v7
	v_cmp_eq_u32_e64 s6, 5, v75
	v_cndmask_b32_e64 v5, v5, v3, s5
	v_cndmask_b32_e64 v6, v6, v7, s5
	;; [unrolled: 1-line block ×3, first 2 shown]
	v_cmp_eq_u32_e64 s5, 5, v78
	v_cndmask_b32_e64 v10, v13, v7, s4
	v_cndmask_b32_e64 v13, v17, v3, s3
	;; [unrolled: 1-line block ×3, first 2 shown]
	v_cmp_eq_u32_e64 s4, 5, v76
	v_cndmask_b32_e32 v1, v1, v3, vcc_lo
	v_cndmask_b32_e32 v2, v2, v7, vcc_lo
	v_cmp_eq_u32_e32 vcc_lo, 5, v77
	v_cndmask_b32_e64 v5, v5, v11, s6
	v_cmp_eq_u32_e64 s3, 6, v75
	v_cndmask_b32_e64 v6, v6, v15, s6
	v_cndmask_b32_e64 v9, v9, v11, s5
	;; [unrolled: 1-line block ×4, first 2 shown]
	v_cmp_eq_u32_e64 s5, 6, v78
	v_cndmask_b32_e64 v3, v14, v15, s4
	v_cndmask_b32_e32 v1, v1, v11, vcc_lo
	v_cmp_eq_u32_e64 s4, 6, v77
	v_cndmask_b32_e32 v2, v2, v15, vcc_lo
	v_lshrrev_b32_e32 v12, 16, v4
	v_cndmask_b32_e64 v5, v5, v4, s3
	v_cndmask_b32_e64 v9, v9, v4, s5
	;; [unrolled: 1-line block ×3, first 2 shown]
	v_cmp_eq_u32_e64 s3, 7, v75
	v_cmp_eq_u32_e64 s6, 7, v78
	v_cndmask_b32_e64 v7, v13, v4, s7
	v_cndmask_b32_e64 v3, v3, v8, s7
	;; [unrolled: 1-line block ×3, first 2 shown]
	v_cmp_eq_u32_e32 vcc_lo, 7, v77
	v_cndmask_b32_e64 v2, v2, v8, s4
	v_cmp_eq_u32_e64 s4, 7, v76
	v_cndmask_b32_e64 v4, v10, v8, s5
	v_cndmask_b32_e64 v5, v5, v12, s3
	;; [unrolled: 1-line block ×3, first 2 shown]
	v_cndmask_b32_e32 v2, v2, v16, vcc_lo
	v_cndmask_b32_e64 v7, v7, v12, s4
	v_cndmask_b32_e32 v1, v1, v12, vcc_lo
	v_cndmask_b32_e64 v3, v3, v16, s4
	v_cndmask_b32_e64 v8, v4, v16, s6
	;; [unrolled: 1-line block ×3, first 2 shown]
	v_cmp_gt_u32_e32 vcc_lo, 32, v0
	v_perm_b32 v4, v2, v1, 0x5040100
	v_perm_b32 v3, v3, v7, 0x5040100
	;; [unrolled: 1-line block ×4, first 2 shown]
	s_and_b32 s2, vcc_lo, s2
	ds_store_b128 v80, v[1:4]
	s_waitcnt lgkmcnt(0)
	s_barrier
	buffer_gl0_inv
	s_and_saveexec_b32 s3, s2
	s_cbranch_execz .LBB966_2
; %bb.14:
	s_load_b64 s[0:1], s[0:1], 0x68
	v_lshlrev_b32_e32 v1, 10, v0
	v_and_b32_e32 v0, 1, v0
	v_lshlrev_b32_e32 v2, 6, v74
	s_lshl_b32 s4, s36, 7
	s_delay_alu instid0(VALU_DEP_3) | instskip(NEXT) | instid1(VALU_DEP_3)
	v_and_b32_e32 v1, 0x3800, v1
	v_lshlrev_b32_e32 v0, 4, v0
	s_mul_i32 s2, s4, s34
	s_delay_alu instid0(SALU_CYCLE_1) | instskip(NEXT) | instid1(VALU_DEP_1)
	s_mul_i32 s2, s2, s37
	v_or3_b32 v0, v1, v2, v0
	s_ashr_i32 s3, s2, 31
	s_delay_alu instid0(SALU_CYCLE_1)
	s_lshl_b64 s[2:3], s[2:3], 1
	ds_load_b128 v[0:3], v0
	s_waitcnt lgkmcnt(0)
	s_add_u32 s5, s0, s2
	s_addc_u32 s3, s1, s3
	s_lshl_b32 s0, s14, 7
	s_mul_i32 s2, s4, s15
	s_ashr_i32 s1, s0, 31
	s_delay_alu instid0(SALU_CYCLE_1) | instskip(NEXT) | instid1(SALU_CYCLE_1)
	s_lshl_b64 s[0:1], s[0:1], 1
	s_add_u32 s4, s5, s0
	s_addc_u32 s5, s3, s1
	s_ashr_i32 s3, s2, 31
	s_delay_alu instid0(SALU_CYCLE_1) | instskip(NEXT) | instid1(SALU_CYCLE_1)
	s_lshl_b64 s[0:1], s[2:3], 1
	s_add_u32 s0, s4, s0
	s_addc_u32 s1, s5, s1
	global_store_b128 v73, v[0:3], s[0:1]
	s_nop 0
	s_sendmsg sendmsg(MSG_DEALLOC_VGPRS)
	s_endpgm
	.section	.rodata,"a",@progbits
	.p2align	6, 0x0
	.amdhsa_kernel _Z39paged_attention_ll4mi_QKV_mfma16_kernelIDF16_hLN4vllm18Fp8KVCacheDataTypeE1EhLi16ELi128ELi256ELb0ELi1EL8MFMAType1EEvPKT_PKT0_S8_ifPKiSA_SA_iPKfiiiPfSD_PS3_PT2_iSC_SC_
		.amdhsa_group_segment_fixed_size 17472
		.amdhsa_private_segment_fixed_size 0
		.amdhsa_kernarg_size 400
		.amdhsa_user_sgpr_count 13
		.amdhsa_user_sgpr_dispatch_ptr 0
		.amdhsa_user_sgpr_queue_ptr 0
		.amdhsa_user_sgpr_kernarg_segment_ptr 1
		.amdhsa_user_sgpr_dispatch_id 0
		.amdhsa_user_sgpr_private_segment_size 0
		.amdhsa_wavefront_size32 1
		.amdhsa_uses_dynamic_stack 0
		.amdhsa_enable_private_segment 0
		.amdhsa_system_sgpr_workgroup_id_x 1
		.amdhsa_system_sgpr_workgroup_id_y 1
		.amdhsa_system_sgpr_workgroup_id_z 1
		.amdhsa_system_sgpr_workgroup_info 0
		.amdhsa_system_vgpr_workitem_id 0
		.amdhsa_next_free_vgpr 134
		.amdhsa_next_free_sgpr 66
		.amdhsa_reserve_vcc 1
		.amdhsa_float_round_mode_32 0
		.amdhsa_float_round_mode_16_64 0
		.amdhsa_float_denorm_mode_32 3
		.amdhsa_float_denorm_mode_16_64 3
		.amdhsa_dx10_clamp 1
		.amdhsa_ieee_mode 1
		.amdhsa_fp16_overflow 0
		.amdhsa_workgroup_processor_mode 1
		.amdhsa_memory_ordered 1
		.amdhsa_forward_progress 0
		.amdhsa_shared_vgpr_count 0
		.amdhsa_exception_fp_ieee_invalid_op 0
		.amdhsa_exception_fp_denorm_src 0
		.amdhsa_exception_fp_ieee_div_zero 0
		.amdhsa_exception_fp_ieee_overflow 0
		.amdhsa_exception_fp_ieee_underflow 0
		.amdhsa_exception_fp_ieee_inexact 0
		.amdhsa_exception_int_div_zero 0
	.end_amdhsa_kernel
	.section	.text._Z39paged_attention_ll4mi_QKV_mfma16_kernelIDF16_hLN4vllm18Fp8KVCacheDataTypeE1EhLi16ELi128ELi256ELb0ELi1EL8MFMAType1EEvPKT_PKT0_S8_ifPKiSA_SA_iPKfiiiPfSD_PS3_PT2_iSC_SC_,"axG",@progbits,_Z39paged_attention_ll4mi_QKV_mfma16_kernelIDF16_hLN4vllm18Fp8KVCacheDataTypeE1EhLi16ELi128ELi256ELb0ELi1EL8MFMAType1EEvPKT_PKT0_S8_ifPKiSA_SA_iPKfiiiPfSD_PS3_PT2_iSC_SC_,comdat
.Lfunc_end966:
	.size	_Z39paged_attention_ll4mi_QKV_mfma16_kernelIDF16_hLN4vllm18Fp8KVCacheDataTypeE1EhLi16ELi128ELi256ELb0ELi1EL8MFMAType1EEvPKT_PKT0_S8_ifPKiSA_SA_iPKfiiiPfSD_PS3_PT2_iSC_SC_, .Lfunc_end966-_Z39paged_attention_ll4mi_QKV_mfma16_kernelIDF16_hLN4vllm18Fp8KVCacheDataTypeE1EhLi16ELi128ELi256ELb0ELi1EL8MFMAType1EEvPKT_PKT0_S8_ifPKiSA_SA_iPKfiiiPfSD_PS3_PT2_iSC_SC_
                                        ; -- End function
	.section	.AMDGPU.csdata,"",@progbits
; Kernel info:
; codeLenInByte = 6440
; NumSgprs: 68
; NumVgprs: 134
; ScratchSize: 0
; MemoryBound: 1
; FloatMode: 240
; IeeeMode: 1
; LDSByteSize: 17472 bytes/workgroup (compile time only)
; SGPRBlocks: 8
; VGPRBlocks: 16
; NumSGPRsForWavesPerEU: 68
; NumVGPRsForWavesPerEU: 134
; Occupancy: 10
; WaveLimiterHint : 1
; COMPUTE_PGM_RSRC2:SCRATCH_EN: 0
; COMPUTE_PGM_RSRC2:USER_SGPR: 13
; COMPUTE_PGM_RSRC2:TRAP_HANDLER: 0
; COMPUTE_PGM_RSRC2:TGID_X_EN: 1
; COMPUTE_PGM_RSRC2:TGID_Y_EN: 1
; COMPUTE_PGM_RSRC2:TGID_Z_EN: 1
; COMPUTE_PGM_RSRC2:TIDIG_COMP_CNT: 0
	.section	.text._Z39paged_attention_ll4mi_QKV_mfma16_kernelIDF16_hLN4vllm18Fp8KVCacheDataTypeE1EhLi16ELi128ELi256ELb0ELi2EL8MFMAType1EEvPKT_PKT0_S8_ifPKiSA_SA_iPKfiiiPfSD_PS3_PT2_iSC_SC_,"axG",@progbits,_Z39paged_attention_ll4mi_QKV_mfma16_kernelIDF16_hLN4vllm18Fp8KVCacheDataTypeE1EhLi16ELi128ELi256ELb0ELi2EL8MFMAType1EEvPKT_PKT0_S8_ifPKiSA_SA_iPKfiiiPfSD_PS3_PT2_iSC_SC_,comdat
	.protected	_Z39paged_attention_ll4mi_QKV_mfma16_kernelIDF16_hLN4vllm18Fp8KVCacheDataTypeE1EhLi16ELi128ELi256ELb0ELi2EL8MFMAType1EEvPKT_PKT0_S8_ifPKiSA_SA_iPKfiiiPfSD_PS3_PT2_iSC_SC_ ; -- Begin function _Z39paged_attention_ll4mi_QKV_mfma16_kernelIDF16_hLN4vllm18Fp8KVCacheDataTypeE1EhLi16ELi128ELi256ELb0ELi2EL8MFMAType1EEvPKT_PKT0_S8_ifPKiSA_SA_iPKfiiiPfSD_PS3_PT2_iSC_SC_
	.globl	_Z39paged_attention_ll4mi_QKV_mfma16_kernelIDF16_hLN4vllm18Fp8KVCacheDataTypeE1EhLi16ELi128ELi256ELb0ELi2EL8MFMAType1EEvPKT_PKT0_S8_ifPKiSA_SA_iPKfiiiPfSD_PS3_PT2_iSC_SC_
	.p2align	8
	.type	_Z39paged_attention_ll4mi_QKV_mfma16_kernelIDF16_hLN4vllm18Fp8KVCacheDataTypeE1EhLi16ELi128ELi256ELb0ELi2EL8MFMAType1EEvPKT_PKT0_S8_ifPKiSA_SA_iPKfiiiPfSD_PS3_PT2_iSC_SC_,@function
_Z39paged_attention_ll4mi_QKV_mfma16_kernelIDF16_hLN4vllm18Fp8KVCacheDataTypeE1EhLi16ELi128ELi256ELb0ELi2EL8MFMAType1EEvPKT_PKT0_S8_ifPKiSA_SA_iPKfiiiPfSD_PS3_PT2_iSC_SC_: ; @_Z39paged_attention_ll4mi_QKV_mfma16_kernelIDF16_hLN4vllm18Fp8KVCacheDataTypeE1EhLi16ELi128ELi256ELb0ELi2EL8MFMAType1EEvPKT_PKT0_S8_ifPKiSA_SA_iPKfiiiPfSD_PS3_PT2_iSC_SC_
; %bb.0:
	s_load_b64 s[2:3], s[0:1], 0x30
	s_mov_b32 s34, s13
	s_waitcnt lgkmcnt(0)
	s_cmp_lg_u64 s[2:3], 0
	s_cselect_b32 s8, -1, 0
	s_ashr_i32 s35, s13, 31
	s_cmp_eq_u64 s[2:3], 0
	s_cbranch_scc1 .LBB967_3
; %bb.1:
	s_lshl_b64 s[4:5], s[34:35], 2
	s_delay_alu instid0(SALU_CYCLE_1) | instskip(SKIP_4) | instid1(SALU_CYCLE_1)
	s_add_u32 s4, s2, s4
	s_addc_u32 s5, s3, s5
	s_load_b64 s[4:5], s[4:5], 0x0
	s_waitcnt lgkmcnt(0)
	s_sub_i32 s4, s5, s4
	s_cmp_eq_u32 s4, 1
	s_cselect_b32 s4, -1, 0
	s_delay_alu instid0(SALU_CYCLE_1)
	s_and_not1_b32 vcc_lo, exec_lo, s4
	s_cbranch_vccz .LBB967_4
.LBB967_2:
	s_endpgm
.LBB967_3:
.LBB967_4:
	s_load_b64 s[4:5], s[0:1], 0x28
	s_lshl_b64 s[6:7], s[34:35], 2
	s_waitcnt lgkmcnt(0)
	s_add_u32 s4, s4, s6
	s_addc_u32 s5, s5, s7
	s_lshl_b32 s12, s14, 8
	s_load_b32 s24, s[4:5], 0x0
	s_waitcnt lgkmcnt(0)
	s_cmp_ge_i32 s12, s24
	s_cbranch_scc1 .LBB967_2
; %bb.5:
	s_clause 0x1
	s_load_b128 s[20:23], s[0:1], 0x8
	s_load_b64 s[4:5], s[0:1], 0x20
	s_and_not1_b32 vcc_lo, exec_lo, s8
	s_cbranch_vccnz .LBB967_7
; %bb.6:
	s_add_u32 s2, s2, s6
	s_addc_u32 s3, s3, s7
	s_load_b32 s3, s[2:3], 0x0
	s_branch .LBB967_8
.LBB967_7:
	s_mov_b32 s3, s34
.LBB967_8:
	s_load_b128 s[16:19], s[0:1], 0x48
	v_and_b32_e32 v70, 15, v0
	v_bfe_u32 v69, v0, 4, 1
	s_lshl_b32 s31, s15, 1
	v_and_b32_e32 v71, 31, v0
	v_and_b32_e32 v68, 1, v0
	v_lshlrev_b32_e32 v1, 3, v70
	v_cmp_gt_u32_e64 s2, 32, v0
	v_or_b32_e32 v67, s31, v69
	v_lshlrev_b32_e32 v66, 6, v69
	s_delay_alu instid0(VALU_DEP_4) | instskip(NEXT) | instid1(VALU_DEP_4)
	v_lshlrev_b32_e32 v65, 1, v1
	s_and_saveexec_b32 s6, s2
	s_cbranch_execz .LBB967_10
; %bb.9:
	s_load_b64 s[8:9], s[0:1], 0x0
	v_lshlrev_b32_e32 v1, 7, v67
	s_waitcnt lgkmcnt(0)
	s_mul_hi_i32 s11, s3, s16
	s_mul_i32 s10, s3, s16
	v_lshlrev_b32_e32 v5, 10, v70
	s_lshl_b64 s[10:11], s[10:11], 1
	v_ashrrev_i32_e32 v2, 31, v1
	v_lshlrev_b32_e32 v6, 10, v68
	s_delay_alu instid0(VALU_DEP_3) | instskip(NEXT) | instid1(VALU_DEP_3)
	v_and_b32_e32 v5, 0x3800, v5
	v_lshlrev_b64 v[1:2], 1, v[1:2]
	s_delay_alu instid0(VALU_DEP_2) | instskip(SKIP_2) | instid1(VALU_DEP_2)
	v_or3_b32 v5, v5, v6, v66
	s_add_u32 s3, s8, s10
	s_addc_u32 s7, s9, s11
	v_add_co_u32 v1, vcc_lo, s3, v1
	s_delay_alu instid0(VALU_DEP_3) | instskip(NEXT) | instid1(VALU_DEP_2)
	v_add_co_ci_u32_e32 v2, vcc_lo, s7, v2, vcc_lo
	v_add_co_u32 v1, vcc_lo, v1, v65
	s_delay_alu instid0(VALU_DEP_2)
	v_add_co_ci_u32_e32 v2, vcc_lo, 0, v2, vcc_lo
	global_load_b128 v[1:4], v[1:2], off
	s_waitcnt vmcnt(0)
	ds_store_b128 v5, v[1:4]
.LBB967_10:
	s_or_b32 exec_lo, exec_lo, s6
	v_and_b32_e32 v1, 0xef, v0
	s_waitcnt lgkmcnt(0)
	s_add_i32 s3, s24, 15
	s_clause 0x1
	s_load_b32 s6, s[0:1], 0x38
	s_load_b32 s33, s[0:1], 0x98
	s_ashr_i32 s7, s3, 31
	v_add_nc_u32_e32 v1, s12, v1
	s_lshr_b32 s7, s7, 28
	s_load_b32 s19, s[0:1], 0x1c
	s_add_i32 s3, s3, s7
	s_waitcnt lgkmcnt(0)
	v_ashrrev_i32_e32 v2, 31, v1
	v_or_b32_e32 v3, 16, v1
	s_ashr_i32 s3, s3, 4
	v_cmp_gt_i32_e32 vcc_lo, s24, v1
	s_add_i32 s3, s3, -1
	v_lshrrev_b32_e32 v2, 28, v2
	s_barrier
	buffer_gl0_inv
	s_mul_i32 s15, s15, s18
	v_lshlrev_b32_e32 v145, 6, v68
	v_add_nc_u32_e32 v4, v1, v2
	v_lshrrev_b32_e32 v72, 5, v0
	s_mul_i32 s6, s34, s6
	s_delay_alu instid0(SALU_CYCLE_1) | instskip(NEXT) | instid1(VALU_DEP_2)
	s_ashr_i32 s7, s6, 31
	v_ashrrev_i32_e32 v4, 4, v4
	v_add_nc_u32_e32 v2, v3, v2
	s_lshl_b64 s[6:7], s[6:7], 2
	s_delay_alu instid0(SALU_CYCLE_1) | instskip(NEXT) | instid1(VALU_DEP_2)
	s_add_u32 s13, s4, s6
	v_cndmask_b32_e32 v1, s3, v4, vcc_lo
	s_delay_alu instid0(VALU_DEP_2)
	v_ashrrev_i32_e32 v2, 4, v2
	v_cmp_gt_i32_e32 vcc_lo, s24, v3
	s_addc_u32 s16, s5, s7
	s_ashr_i32 s18, s15, 31
	s_add_u32 s25, s20, s15
	s_addc_u32 s28, s21, s18
	v_cndmask_b32_e32 v3, s3, v2, vcc_lo
	v_ashrrev_i32_e32 v2, 31, v1
	s_lshl_b32 s4, s14, 4
	s_delay_alu instid0(SALU_CYCLE_1) | instskip(NEXT) | instid1(VALU_DEP_2)
	s_ashr_i32 s5, s4, 31
	v_ashrrev_i32_e32 v4, 31, v3
	s_delay_alu instid0(VALU_DEP_2) | instskip(SKIP_1) | instid1(SALU_CYCLE_1)
	v_lshlrev_b64 v[1:2], 2, v[1:2]
	s_lshl_b64 s[4:5], s[4:5], 2
	s_add_u32 s4, s13, s4
	s_delay_alu instid0(VALU_DEP_2) | instskip(SKIP_1) | instid1(VALU_DEP_2)
	v_lshlrev_b64 v[3:4], 2, v[3:4]
	s_addc_u32 s5, s16, s5
	v_add_co_u32 v1, vcc_lo, s13, v1
	v_add_co_ci_u32_e32 v2, vcc_lo, s16, v2, vcc_lo
	s_delay_alu instid0(VALU_DEP_3) | instskip(NEXT) | instid1(VALU_DEP_4)
	v_add_co_u32 v3, vcc_lo, s13, v3
	v_add_co_ci_u32_e32 v4, vcc_lo, s16, v4, vcc_lo
	s_clause 0x1
	global_load_b32 v5, v[1:2], off
	global_load_b32 v7, v[3:4], off
	s_or_b32 s6, s12, 32
	v_lshlrev_b32_e32 v1, 4, v0
	s_ashr_i32 s7, s6, 4
	s_cmp_lt_i32 s6, s24
	s_cselect_b32 s6, s7, s3
	s_delay_alu instid0(VALU_DEP_1) | instskip(SKIP_1) | instid1(SALU_CYCLE_1)
	v_and_b32_e32 v1, 0xf0, v1
	s_ashr_i32 s7, s6, 31
	s_lshl_b64 s[6:7], s[6:7], 2
	s_delay_alu instid0(SALU_CYCLE_1)
	s_add_u32 s6, s13, s6
	s_addc_u32 s7, s16, s7
	s_or_b32 s8, s12, 64
	v_add_co_u32 v1, s25, s25, v1
	s_ashr_i32 s9, s8, 4
	s_cmp_lt_i32 s8, s24
	v_add_co_ci_u32_e64 v2, null, s28, 0, s25
	s_cselect_b32 s8, s9, s3
	s_delay_alu instid0(SALU_CYCLE_1) | instskip(NEXT) | instid1(SALU_CYCLE_1)
	s_ashr_i32 s9, s8, 31
	s_lshl_b64 s[8:9], s[8:9], 2
	s_delay_alu instid0(SALU_CYCLE_1) | instskip(SKIP_2) | instid1(SALU_CYCLE_1)
	s_add_u32 s8, s13, s8
	s_addc_u32 s9, s16, s9
	s_or_b32 s10, s12, 0x60
	s_ashr_i32 s11, s10, 4
	s_cmp_lt_i32 s10, s24
	s_cselect_b32 s10, s11, s3
	s_delay_alu instid0(SALU_CYCLE_1) | instskip(NEXT) | instid1(SALU_CYCLE_1)
	s_ashr_i32 s11, s10, 31
	s_lshl_b64 s[10:11], s[10:11], 2
	s_delay_alu instid0(SALU_CYCLE_1) | instskip(SKIP_2) | instid1(SALU_CYCLE_1)
	s_add_u32 s10, s13, s10
	s_addc_u32 s11, s16, s11
	s_or_b32 s20, s12, 0x80
	s_ashr_i32 s21, s20, 4
	s_cmp_lt_i32 s20, s24
	;; [unrolled: 10-line block ×3, first 2 shown]
	s_cselect_b32 s26, s27, s3
	s_delay_alu instid0(SALU_CYCLE_1) | instskip(NEXT) | instid1(SALU_CYCLE_1)
	s_ashr_i32 s27, s26, 31
	s_lshl_b64 s[26:27], s[26:27], 2
	s_delay_alu instid0(SALU_CYCLE_1)
	s_add_u32 s26, s13, s26
	s_addc_u32 s27, s16, s27
	s_clause 0x5
	s_load_b32 s25, s[4:5], 0x0
	s_load_b32 s28, s[6:7], 0x0
	;; [unrolled: 1-line block ×6, first 2 shown]
	s_or_b32 s7, s12, 0xc0
	s_mov_b32 s4, 0
	s_ashr_i32 s8, s7, 4
	s_cmp_lt_i32 s7, s24
	s_mov_b32 s5, s4
	s_cselect_b32 s10, s8, s3
	s_mov_b32 s6, s4
	s_ashr_i32 s11, s10, 31
	s_mov_b32 s7, s4
	s_lshl_b64 s[20:21], s[10:11], 2
	s_mov_b32 s11, s4
	s_add_u32 s20, s13, s20
	s_addc_u32 s21, s16, s21
	s_or_b32 s27, s12, 0xe0
	s_mov_b32 s8, s4
	s_ashr_i32 s36, s27, 4
	s_mov_b32 s9, s4
	s_mov_b32 s10, s4
	s_cmp_lt_i32 s27, s24
	v_mov_b32_e32 v120, s11
	v_dual_mov_b32 v114, s5 :: v_dual_mov_b32 v119, s10
	v_dual_mov_b32 v118, s9 :: v_dual_mov_b32 v117, s8
	;; [unrolled: 1-line block ×3, first 2 shown]
	v_mov_b32_e32 v113, s4
	s_cselect_b32 s4, s36, s3
	s_delay_alu instid0(SALU_CYCLE_1) | instskip(NEXT) | instid1(SALU_CYCLE_1)
	s_ashr_i32 s5, s4, 31
	s_lshl_b64 s[4:5], s[4:5], 2
	s_delay_alu instid0(SALU_CYCLE_1)
	s_add_u32 s4, s13, s4
	s_addc_u32 s5, s16, s5
	s_add_u32 s6, s22, s15
	s_addc_u32 s7, s23, s18
	s_waitcnt vmcnt(1)
	v_mad_i64_i32 v[3:4], null, v5, s17, v[1:2]
	s_waitcnt vmcnt(0)
	v_mad_i64_i32 v[5:6], null, v7, s17, v[1:2]
	v_lshlrev_b32_e32 v1, 4, v70
	s_clause 0xf
	global_load_b128 v[9:12], v[3:4], off
	global_load_b128 v[13:16], v[3:4], off offset:256
	global_load_b128 v[17:20], v[5:6], off
	global_load_b128 v[21:24], v[5:6], off offset:256
	global_load_b128 v[57:60], v[3:4], off offset:512
	;; [unrolled: 1-line block ×13, first 2 shown]
	ds_load_b128 v[25:28], v145
	ds_load_b128 v[29:32], v145 offset:1024
	s_load_b32 s3, s[20:21], 0x0
	ds_load_b128 v[121:124], v145 offset:2048
	ds_load_b128 v[125:128], v145 offset:3072
	s_load_b32 s4, s[4:5], 0x0
	v_lshl_or_b32 v1, v72, 8, v1
	s_delay_alu instid0(VALU_DEP_1) | instskip(NEXT) | instid1(VALU_DEP_1)
	v_add_co_u32 v129, s6, s6, v1
	v_add_co_ci_u32_e64 v130, null, s7, 0, s6
	s_waitcnt lgkmcnt(0)
	s_delay_alu instid0(VALU_DEP_1)
	v_mad_i64_i32 v[1:2], null, s25, s17, v[129:130]
	v_mad_i64_i32 v[3:4], null, s28, s17, v[129:130]
	;; [unrolled: 1-line block ×8, first 2 shown]
	s_clause 0x7
	global_load_b128 v[49:52], v[1:2], off
	global_load_b128 v[53:56], v[1:2], off offset:16
	global_load_b128 v[41:44], v[3:4], off
	global_load_b128 v[45:48], v[3:4], off offset:16
	;; [unrolled: 2-line block ×4, first 2 shown]
	s_waitcnt vmcnt(22)
	v_wmma_f32_16x16x16_f16 v[129:136], v[9:16], v[25:32], v[113:120]
	s_waitcnt vmcnt(20)
	v_wmma_f32_16x16x16_f16 v[113:120], v[17:24], v[25:32], v[113:120]
	s_clause 0x5
	global_load_b128 v[9:12], v[137:138], off
	global_load_b128 v[13:16], v[137:138], off offset:16
	global_load_b128 v[17:20], v[139:140], off
	global_load_b128 v[21:24], v[139:140], off offset:16
	;; [unrolled: 2-line block ×3, first 2 shown]
	v_mbcnt_lo_u32_b32 v137, -1, 0
	s_waitcnt vmcnt(24)
	v_wmma_f32_16x16x16_f16 v[129:136], v[57:64], v[121:128], v[129:136]
	s_clause 0x1
	global_load_b128 v[57:60], v[143:144], off
	global_load_b128 v[61:64], v[143:144], off offset:16
	s_waitcnt vmcnt(24)
	v_wmma_f32_16x16x16_f16 v[113:120], v[73:80], v[121:128], v[113:120]
	ds_load_b128 v[73:76], v145 offset:4096
	ds_load_b128 v[77:80], v145 offset:5120
	v_and_b32_e32 v121, 0xe0, v0
	v_xor_b32_e32 v139, 16, v137
	s_delay_alu instid0(VALU_DEP_2)
	v_add_nc_u32_e32 v138, s12, v121
	ds_load_b128 v[121:124], v145 offset:6144
	ds_load_b128 v[125:128], v145 offset:7168
	v_cmp_gt_i32_e32 vcc_lo, 32, v139
	s_waitcnt vmcnt(0) lgkmcnt(0)
	s_barrier
	v_or_b32_e32 v138, v138, v69
	buffer_gl0_inv
	v_or_b32_e32 v140, 4, v138
	v_or_b32_e32 v141, 6, v138
	v_or_b32_e32 v142, 8, v138
	v_wmma_f32_16x16x16_f16 v[129:136], v[81:88], v[73:80], v[129:136]
	v_wmma_f32_16x16x16_f16 v[113:120], v[89:96], v[73:80], v[113:120]
	v_or_b32_e32 v81, 10, v138
	v_cmp_gt_i32_e64 s4, s24, v140
	v_cmp_gt_i32_e64 s5, s24, v141
	v_or_b32_e32 v82, 12, v138
	v_or_b32_e32 v83, 14, v138
	v_wmma_f32_16x16x16_f16 v[129:136], v[97:104], v[121:128], v[129:136]
	v_wmma_f32_16x16x16_f16 v[113:120], v[105:112], v[121:128], v[113:120]
	v_cndmask_b32_e32 v137, v137, v139, vcc_lo
	v_or_b32_e32 v139, 2, v138
	v_cmp_gt_i32_e32 vcc_lo, s24, v138
	v_mul_f32_e32 v90, s19, v130
	v_dual_mul_f32 v92, s19, v120 :: v_dual_mul_f32 v91, s19, v129
	s_delay_alu instid0(VALU_DEP_4) | instskip(SKIP_2) | instid1(VALU_DEP_4)
	v_cmp_gt_i32_e64 s3, s24, v139
	v_dual_mul_f32 v80, s19, v132 :: v_dual_mul_f32 v89, s19, v131
	v_mul_f32_e32 v78, s19, v134
	v_cndmask_b32_e32 v91, 0xff7fffff, v91, vcc_lo
	s_delay_alu instid0(VALU_DEP_4) | instskip(SKIP_3) | instid1(VALU_DEP_4)
	v_cndmask_b32_e64 v90, 0xff7fffff, v90, s3
	v_dual_mul_f32 v79, s19, v133 :: v_dual_mul_f32 v98, s19, v114
	v_cndmask_b32_e64 v89, 0xff7fffff, v89, s4
	v_cndmask_b32_e64 v80, 0xff7fffff, v80, s5
	v_max3_f32 v90, v91, 0xff7fffff, v90
	v_cmp_gt_i32_e64 s6, s24, v142
	v_cmp_gt_i32_e64 s7, s24, v81
	v_or_b32_e32 v84, 16, v138
	v_or_b32_e32 v85, 18, v138
	v_dual_mul_f32 v76, s19, v136 :: v_dual_mul_f32 v77, s19, v135
	v_mul_f32_e32 v96, s19, v116
	v_cndmask_b32_e64 v79, 0xff7fffff, v79, s6
	v_cndmask_b32_e64 v78, 0xff7fffff, v78, s7
	v_max3_f32 v80, v90, v89, v80
	v_cmp_gt_i32_e64 s8, s24, v82
	v_cmp_gt_i32_e64 s9, s24, v83
	v_or_b32_e32 v86, 20, v138
	v_or_b32_e32 v87, 22, v138
	v_mul_f32_e32 v99, s19, v113
	v_cndmask_b32_e64 v77, 0xff7fffff, v77, s8
	v_cndmask_b32_e64 v76, 0xff7fffff, v76, s9
	v_max3_f32 v78, v80, v79, v78
	v_cmp_gt_i32_e64 s10, s24, v84
	v_cmp_gt_i32_e64 s11, s24, v85
	v_or_b32_e32 v88, 24, v138
	v_or_b32_e32 v73, 26, v138
	;; [unrolled: 8-line block ×3, first 2 shown]
	v_dual_mul_f32 v94, s19, v118 :: v_dual_mul_f32 v95, s19, v117
	v_cndmask_b32_e64 v77, 0xff7fffff, v97, s12
	v_cndmask_b32_e64 v78, 0xff7fffff, v96, s13
	v_max3_f32 v76, v76, v79, v80
	v_cmp_gt_i32_e64 s15, s24, v88
	v_cmp_gt_i32_e64 s16, s24, v73
	v_mul_f32_e32 v93, s19, v119
	v_cmp_gt_i32_e64 s17, s24, v74
	v_max3_f32 v76, v76, v77, v78
	v_cndmask_b32_e64 v79, 0xff7fffff, v95, s15
	v_cndmask_b32_e64 v73, 0xff7fffff, v94, s16
	v_cmp_gt_i32_e64 s18, s24, v75
	v_cndmask_b32_e64 v74, 0xff7fffff, v93, s17
	s_delay_alu instid0(VALU_DEP_3) | instskip(NEXT) | instid1(VALU_DEP_3)
	v_max3_f32 v73, v76, v79, v73
	v_cndmask_b32_e64 v75, 0xff7fffff, v92, s18
	v_lshlrev_b32_e32 v76, 2, v137
	s_delay_alu instid0(VALU_DEP_2) | instskip(SKIP_3) | instid1(VALU_DEP_1)
	v_max3_f32 v73, v73, v74, v75
	ds_bpermute_b32 v74, v76, v73
	s_waitcnt lgkmcnt(0)
	v_max_f32_e32 v74, v74, v74
	v_max_f32_e32 v73, v73, v74
	s_delay_alu instid0(VALU_DEP_1) | instskip(SKIP_4) | instid1(VALU_DEP_4)
	v_fma_f32 v74, s19, v129, -v73
	v_fma_f32 v83, s19, v135, -v73
	;; [unrolled: 1-line block ×5, first 2 shown]
	v_dual_mul_f32 v74, 0x3fb8aa3b, v74 :: v_dual_mul_f32 v83, 0x3fb8aa3b, v83
	s_delay_alu instid0(VALU_DEP_4) | instskip(NEXT) | instid1(VALU_DEP_4)
	v_mul_f32_e32 v75, 0x3fb8aa3b, v75
	v_mul_f32_e32 v77, 0x3fb8aa3b, v77
	v_fma_f32 v80, s19, v133, -v73
	s_delay_alu instid0(VALU_DEP_4)
	v_exp_f32_e32 v74, v74
	v_exp_f32_e32 v85, v83
	;; [unrolled: 1-line block ×3, first 2 shown]
	v_mul_f32_e32 v78, 0x3fb8aa3b, v78
	v_exp_f32_e32 v77, v77
	v_mul_f32_e32 v80, 0x3fb8aa3b, v80
	s_delay_alu instid0(VALU_DEP_2) | instskip(NEXT) | instid1(VALU_DEP_1)
	v_exp_f32_e32 v82, v78
	v_exp_f32_e32 v84, v80
	v_cndmask_b32_e64 v85, 0, v85, s8
	v_cndmask_b32_e32 v79, 0, v74, vcc_lo
	v_fma_f32 v74, s19, v134, -v73
	v_cndmask_b32_e64 v78, 0, v75, s3
	s_delay_alu instid0(TRANS32_DEP_3) | instskip(SKIP_1) | instid1(VALU_DEP_3)
	v_cndmask_b32_e64 v81, 0, v77, s4
	s_mov_b32 s3, exec_lo
	v_dual_add_f32 v75, 0, v79 :: v_dual_mul_f32 v74, 0x3fb8aa3b, v74
	s_delay_alu instid0(TRANS32_DEP_2) | instskip(SKIP_2) | instid1(VALU_DEP_4)
	v_cndmask_b32_e64 v80, 0, v82, s5
	v_fma_f32 v82, s19, v113, -v73
	v_cndmask_b32_e64 v83, 0, v84, s6
	v_add_f32_e32 v75, v75, v78
	v_exp_f32_e32 v74, v74
	s_delay_alu instid0(VALU_DEP_1) | instskip(NEXT) | instid1(VALU_DEP_1)
	v_dual_mul_f32 v86, 0x3fb8aa3b, v82 :: v_dual_add_f32 v75, v75, v81
	v_exp_f32_e32 v86, v86
	s_delay_alu instid0(VALU_DEP_1)
	v_add_f32_e32 v75, v75, v80
	s_waitcnt_depctr 0xfff
	v_cndmask_b32_e64 v82, 0, v74, s7
	v_add_f32_e32 v74, v75, v83
	v_fma_f32 v77, s19, v136, -v73
	v_fma_f32 v90, s19, v118, -v73
	;; [unrolled: 1-line block ×4, first 2 shown]
	s_delay_alu instid0(VALU_DEP_4) | instskip(NEXT) | instid1(VALU_DEP_4)
	v_dual_add_f32 v74, v74, v82 :: v_dual_mul_f32 v77, 0x3fb8aa3b, v77
	v_mul_f32_e32 v90, 0x3fb8aa3b, v90
	s_delay_alu instid0(VALU_DEP_4) | instskip(SKIP_1) | instid1(VALU_DEP_4)
	v_mul_f32_e32 v84, 0x3fb8aa3b, v84
	v_fma_f32 v87, s19, v116, -v73
	v_add_f32_e32 v74, v74, v85
	v_exp_f32_e32 v77, v77
	v_exp_f32_e32 v90, v90
	;; [unrolled: 1-line block ×3, first 2 shown]
	v_mul_f32_e32 v89, 0x3fb8aa3b, v87
	v_cndmask_b32_e64 v87, 0, v86, s10
	v_fma_f32 v92, s19, v120, -v73
	s_delay_alu instid0(VALU_DEP_3) | instskip(SKIP_1) | instid1(TRANS32_DEP_3)
	v_exp_f32_e32 v91, v89
	v_cndmask_b32_e64 v84, 0, v77, s9
	v_cndmask_b32_e64 v90, 0, v90, s16
	v_mul_f32_e32 v75, 0x3fb8aa3b, v75
	v_fma_f32 v77, s19, v117, -v73
	s_delay_alu instid0(TRANS32_DEP_2) | instskip(SKIP_3) | instid1(VALU_DEP_2)
	v_cndmask_b32_e64 v86, 0, v88, s11
	v_add_f32_e32 v74, v74, v84
	v_fma_f32 v88, s19, v119, -v73
	v_exp_f32_e32 v75, v75
	v_dual_mul_f32 v77, 0x3fb8aa3b, v77 :: v_dual_add_f32 v74, v74, v87
	s_delay_alu instid0(VALU_DEP_1) | instskip(NEXT) | instid1(VALU_DEP_1)
	v_exp_f32_e32 v77, v77
	v_add_f32_e32 v74, v74, v86
	s_waitcnt_depctr 0xfff
	v_cndmask_b32_e64 v89, 0, v75, s12
	v_mul_f32_e32 v75, 0x3fb8aa3b, v88
	v_cndmask_b32_e64 v88, 0, v91, s13
	s_delay_alu instid0(VALU_DEP_3) | instskip(NEXT) | instid1(VALU_DEP_3)
	v_add_f32_e32 v74, v74, v89
	v_exp_f32_e32 v75, v75
	v_cndmask_b32_e64 v91, 0, v77, s15
	v_mul_f32_e32 v77, 0x3fb8aa3b, v92
	s_delay_alu instid0(VALU_DEP_3) | instskip(NEXT) | instid1(VALU_DEP_2)
	v_add_f32_e32 v74, v74, v88
	v_exp_f32_e32 v77, v77
	s_delay_alu instid0(VALU_DEP_1) | instskip(SKIP_4) | instid1(VALU_DEP_2)
	v_add_f32_e32 v74, v74, v91
	s_waitcnt_depctr 0xfff
	v_cndmask_b32_e64 v93, 0, v75, s17
	v_add_f32_e32 v74, v74, v90
	v_cndmask_b32_e64 v92, 0, v77, s18
	v_add_f32_e32 v74, v74, v93
	s_delay_alu instid0(VALU_DEP_1)
	v_add_f32_e32 v74, v74, v92
	ds_bpermute_b32 v75, v76, v74
	v_cmpx_gt_u32_e32 16, v71
	s_cbranch_execz .LBB967_12
; %bb.11:
	v_mul_u32_u24_e32 v71, 0x44, v72
	s_waitcnt lgkmcnt(0)
	v_add_f32_e32 v74, v74, v75
	s_delay_alu instid0(VALU_DEP_2) | instskip(NEXT) | instid1(VALU_DEP_1)
	v_lshl_add_u32 v71, v70, 2, v71
	v_add_nc_u32_e32 v71, 0x4000, v71
	ds_store_2addr_b32 v71, v73, v74 offset1:136
.LBB967_12:
	s_or_b32 exec_lo, exec_lo, s3
	v_lshlrev_b32_e32 v71, 2, v70
	s_load_b32 s35, s[0:1], 0x94
	s_waitcnt lgkmcnt(0)
	s_barrier
	buffer_gl0_inv
	v_add_nc_u32_e32 v71, 0x4000, v71
	v_cmp_eq_u32_e32 vcc_lo, 1, v72
	v_cmp_eq_u32_e64 s3, 2, v72
	v_cmp_eq_u32_e64 s4, 3, v72
	;; [unrolled: 1-line block ×3, first 2 shown]
	ds_load_2addr_b32 v[73:74], v71 offset1:17
	ds_load_2addr_b32 v[94:95], v71 offset0:34 offset1:51
	ds_load_2addr_b32 v[96:97], v71 offset0:68 offset1:85
	;; [unrolled: 1-line block ×3, first 2 shown]
	v_cmp_eq_u32_e64 s6, 5, v72
	v_cmp_eq_u32_e64 s7, 7, v72
	s_waitcnt lgkmcnt(3)
	v_max3_f32 v75, v73, 0xff7fffff, v74
	s_waitcnt lgkmcnt(2)
	s_delay_alu instid0(VALU_DEP_1) | instskip(SKIP_1) | instid1(VALU_DEP_1)
	v_max3_f32 v75, v75, v94, v95
	s_waitcnt lgkmcnt(1)
	v_max3_f32 v75, v75, v96, v97
	s_waitcnt lgkmcnt(0)
	s_delay_alu instid0(VALU_DEP_1) | instskip(NEXT) | instid1(VALU_DEP_1)
	v_max3_f32 v76, v75, v98, v99
	v_sub_f32_e32 v96, v96, v76
	ds_load_2addr_b32 v[100:101], v71 offset0:136 offset1:153
	v_sub_f32_e32 v73, v73, v76
	v_sub_f32_e32 v75, v74, v76
	;; [unrolled: 1-line block ×3, first 2 shown]
	v_mul_f32_e32 v105, 0x3fb8aa3b, v96
	s_delay_alu instid0(VALU_DEP_4)
	v_mul_f32_e32 v77, 0x3fb8aa3b, v73
	ds_load_2addr_b32 v[73:74], v71 offset0:170 offset1:187
	v_mul_f32_e32 v103, 0x3fb8aa3b, v94
	v_exp_f32_e32 v102, v77
	v_sub_f32_e32 v77, v95, v76
	ds_load_2addr_b32 v[94:95], v71 offset0:204 offset1:221
	v_exp_f32_e32 v103, v103
	v_mul_f32_e32 v104, 0x3fb8aa3b, v77
	s_waitcnt lgkmcnt(2)
	v_fma_f32 v77, v102, v100, 0
	v_dual_sub_f32 v100, v97, v76 :: v_dual_mul_f32 v75, 0x3fb8aa3b, v75
	ds_load_2addr_b32 v[96:97], v71 offset0:238 offset1:255
	v_sub_f32_e32 v71, v98, v76
	v_exp_f32_e32 v104, v104
	v_mul_f32_e32 v98, 0x3fb8aa3b, v100
	v_exp_f32_e32 v75, v75
	v_exp_f32_e32 v100, v105
	v_mul_f32_e32 v71, 0x3fb8aa3b, v71
	s_waitcnt lgkmcnt(0)
	v_exp_f32_e32 v98, v98
	s_barrier
	buffer_gl0_inv
	v_fmac_f32_e32 v77, v75, v101
	s_delay_alu instid0(VALU_DEP_1) | instskip(SKIP_2) | instid1(VALU_DEP_2)
	v_fmac_f32_e32 v77, v103, v73
	v_sub_f32_e32 v73, v99, v76
	v_exp_f32_e32 v99, v71
	v_fmac_f32_e32 v77, v104, v74
	s_delay_alu instid0(VALU_DEP_2) | instskip(NEXT) | instid1(VALU_DEP_2)
	v_dual_mul_f32 v73, 0x3fb8aa3b, v73 :: v_dual_lshlrev_b32 v74, 6, v70
	v_dual_fmac_f32 v77, v100, v94 :: v_dual_lshlrev_b32 v70, 2, v69
	s_delay_alu instid0(VALU_DEP_2) | instskip(SKIP_1) | instid1(VALU_DEP_3)
	v_exp_f32_e32 v94, v73
	v_cndmask_b32_e32 v73, v102, v75, vcc_lo
	v_lshl_or_b32 v75, v72, 11, v74
	s_delay_alu instid0(VALU_DEP_3) | instskip(SKIP_1) | instid1(VALU_DEP_3)
	v_cmp_eq_u32_e64 s8, 7, v70
	v_fmac_f32_e32 v77, v98, v95
	v_lshl_or_b32 v69, v69, 4, v75
	s_delay_alu instid0(VALU_DEP_2)
	v_fmac_f32_e32 v77, v99, v96
	s_delay_alu instid0(TRANS32_DEP_1) | instid1(VALU_DEP_1)
	v_fmac_f32_e32 v77, v94, v97
	s_delay_alu instid0(VALU_DEP_1) | instskip(NEXT) | instid1(VALU_DEP_1)
	v_add_f32_e32 v95, 0x358637bd, v77
	v_div_scale_f32 v96, null, v95, v95, 1.0
	v_div_scale_f32 v101, vcc_lo, 1.0, v95, 1.0
	s_delay_alu instid0(VALU_DEP_2) | instskip(SKIP_2) | instid1(VALU_DEP_1)
	v_rcp_f32_e32 v97, v96
	s_waitcnt_depctr 0xfff
	v_fma_f32 v71, -v96, v97, 1.0
	v_fmac_f32_e32 v97, v71, v97
	v_cndmask_b32_e64 v71, v73, v103, s3
	v_cmp_eq_u32_e64 s3, 6, v72
	v_or_b32_e32 v73, 1, v70
	v_or_b32_e32 v72, 3, v70
	v_mul_f32_e32 v102, v101, v97
	v_cndmask_b32_e64 v71, v71, v104, s4
	v_cmp_eq_u32_e64 s4, 1, v70
	v_cmp_eq_u32_e64 s9, 1, v73
	;; [unrolled: 1-line block ×3, first 2 shown]
	v_fma_f32 v103, -v96, v102, v101
	v_cndmask_b32_e64 v100, v71, v100, s5
	v_or_b32_e32 v71, 2, v70
	v_cmp_eq_u32_e64 s5, 2, v70
	v_cmp_eq_u32_e64 s12, 2, v73
	v_fmac_f32_e32 v102, v103, v97
	v_cndmask_b32_e64 v98, v100, v98, s6
	v_cmp_eq_u32_e64 s10, 1, v71
	v_cmp_eq_u32_e64 s15, 2, v71
	v_cmp_eq_u32_e64 s16, 2, v72
	v_fma_f32 v96, -v96, v102, v101
	v_cndmask_b32_e64 v98, v98, v99, s3
	v_cmp_eq_u32_e64 s13, 3, v73
	v_cmp_eq_u32_e64 s18, 3, v72
	;; [unrolled: 1-line block ×3, first 2 shown]
	v_div_fmas_f32 v96, v96, v97, v102
	v_cndmask_b32_e64 v94, v98, v94, s7
	v_cmp_eq_u32_e32 vcc_lo, 3, v70
	v_cmp_eq_u32_e64 s17, 3, v71
	v_cmp_eq_u32_e64 s19, 4, v73
	v_div_fixup_f32 v95, v96, v95, 1.0
	v_cmp_eq_u32_e64 s22, 4, v72
	v_cmp_eq_u32_e64 s6, 5, v70
	;; [unrolled: 1-line block ×4, first 2 shown]
	v_mul_f32_e32 v102, v94, v95
	v_cmp_eq_u32_e64 s24, 5, v72
	v_cmp_eq_u32_e64 s23, 5, v71
	;; [unrolled: 1-line block ×4, first 2 shown]
	v_fma_mixlo_f16 v94, v102, v79, 0
	v_fma_mixlo_f16 v95, v102, v81, 0
	;; [unrolled: 1-line block ×8, first 2 shown]
	v_fma_mixhi_f16 v94, v102, v78, 0
	v_fma_mixhi_f16 v95, v102, v80, 0
	;; [unrolled: 1-line block ×8, first 2 shown]
	ds_store_b128 v69, v[94:97]
	ds_store_b128 v69, v[98:101] offset:1024
	s_waitcnt lgkmcnt(0)
	s_barrier
	buffer_gl0_inv
	ds_load_b128 v[78:81], v75
	ds_load_b128 v[82:85], v75 offset:16
	ds_load_b128 v[86:89], v75 offset:1024
	;; [unrolled: 1-line block ×3, first 2 shown]
	v_cmp_eq_u32_e64 s7, 6, v70
	v_cmp_eq_u32_e64 s26, 6, v71
	v_cmp_eq_u32_e64 s29, 7, v72
	v_cmp_eq_u32_e64 s30, 7, v73
	v_cmp_eq_u32_e64 s28, 7, v71
	s_waitcnt lgkmcnt(3)
	v_lshrrev_b32_e32 v94, 16, v78
	s_waitcnt lgkmcnt(2)
	v_lshrrev_b32_e32 v98, 16, v82
	s_waitcnt lgkmcnt(1)
	v_lshrrev_b32_e32 v102, 16, v86
	s_waitcnt lgkmcnt(0)
	v_lshrrev_b32_e32 v106, 16, v90
	v_lshrrev_b32_e32 v95, 16, v79
	v_cndmask_b32_e64 v110, v78, v94, s4
	v_cndmask_b32_e64 v111, v82, v98, s4
	;; [unrolled: 1-line block ×8, first 2 shown]
	v_lshrrev_b32_e32 v99, 16, v83
	v_cndmask_b32_e64 v94, v86, v102, s4
	v_cndmask_b32_e64 v98, v90, v106, s4
	;; [unrolled: 1-line block ×15, first 2 shown]
	v_lshrrev_b32_e32 v103, 16, v87
	v_lshrrev_b32_e32 v107, 16, v91
	v_cndmask_b32_e64 v113, v115, v83, s15
	v_cndmask_b32_e64 v82, v94, v87, s5
	;; [unrolled: 1-line block ×7, first 2 shown]
	v_cndmask_b32_e32 v90, v102, v95, vcc_lo
	v_cndmask_b32_e32 v102, v106, v99, vcc_lo
	v_cndmask_b32_e64 v106, v110, v95, s13
	v_cndmask_b32_e64 v110, v111, v99, s13
	v_cndmask_b32_e64 v78, v78, v95, s18
	v_cndmask_b32_e64 v79, v79, v99, s18
	v_lshrrev_b32_e32 v96, 16, v80
	v_lshrrev_b32_e32 v100, 16, v84
	v_cndmask_b32_e64 v111, v112, v95, s17
	v_cndmask_b32_e64 v112, v113, v99, s17
	v_cndmask_b32_e32 v82, v82, v103, vcc_lo
	v_cndmask_b32_e32 v83, v83, v107, vcc_lo
	v_cndmask_b32_e64 v94, v94, v103, s13
	v_cndmask_b32_e64 v90, v90, v80, s3
	;; [unrolled: 1-line block ×7, first 2 shown]
	v_lshrrev_b32_e32 v104, 16, v88
	v_cndmask_b32_e64 v106, v111, v80, s21
	v_cndmask_b32_e64 v110, v112, v84, s21
	;; [unrolled: 1-line block ×11, first 2 shown]
	v_lshrrev_b32_e32 v97, 16, v81
	v_lshrrev_b32_e32 v101, 16, v85
	v_cndmask_b32_e64 v99, v106, v96, s23
	v_cndmask_b32_e64 v102, v110, v100, s23
	;; [unrolled: 1-line block ×7, first 2 shown]
	v_lshrrev_b32_e32 v105, 16, v89
	v_cndmask_b32_e64 v80, v80, v104, s6
	v_cndmask_b32_e64 v84, v84, v81, s7
	;; [unrolled: 1-line block ×16, first 2 shown]
	v_perm_b32 v81, v79, v78, 0x5040100
	v_perm_b32 v79, v95, v85, 0x5040100
	v_cndmask_b32_e64 v78, v119, v91, s15
	v_cndmask_b32_e64 v85, v117, v91, s12
	;; [unrolled: 1-line block ×3, first 2 shown]
	v_perm_b32 v80, v94, v90, 0x5040100
	v_cndmask_b32_e64 v90, v98, v103, s17
	v_cndmask_b32_e64 v86, v86, v103, s18
	;; [unrolled: 1-line block ×5, first 2 shown]
	v_lshrrev_b32_e32 v108, 16, v92
	v_cndmask_b32_e64 v90, v90, v88, s21
	v_cndmask_b32_e64 v86, v86, v88, s22
	;; [unrolled: 1-line block ×11, first 2 shown]
	v_lshrrev_b32_e32 v109, 16, v93
	v_cndmask_b32_e64 v82, v82, v93, s7
	v_cndmask_b32_e64 v88, v88, v89, s26
	v_cndmask_b32_e64 v86, v86, v89, s27
	v_cndmask_b32_e64 v87, v87, v93, s27
	v_cndmask_b32_e64 v78, v78, v93, s26
	v_cndmask_b32_e64 v85, v85, v93, s25
	v_cndmask_b32_e64 v88, v88, v105, s28
	v_cndmask_b32_e64 v86, v86, v105, s29
	v_cndmask_b32_e64 v87, v87, v109, s29
	v_cndmask_b32_e64 v89, v78, v109, s28
	v_cndmask_b32_e64 v90, v85, v109, s30
	v_cndmask_b32_e64 v82, v82, v109, s8
	v_perm_b32 v78, v84, v83, 0x5040100
	v_perm_b32 v85, v87, v86, 0x5040100
	;; [unrolled: 1-line block ×5, first 2 shown]
	s_lshl_b32 s8, s33, 1
	s_mov_b32 s3, exec_lo
	ds_store_b128 v69, v[78:81]
	ds_store_b128 v69, v[82:85] offset:1024
	v_cmpx_gt_u32_e32 2, v0
	s_cbranch_execz .LBB967_14
; %bb.13:
	v_or_b32_e32 v78, s31, v0
	s_load_b128 s[4:7], s[0:1], 0x58
	s_delay_alu instid0(VALU_DEP_1) | instskip(NEXT) | instid1(VALU_DEP_1)
	v_mad_u64_u32 v[79:80], null, s8, s34, v[78:79]
	v_mad_u64_u32 v[80:81], null, v79, s35, s[14:15]
	s_delay_alu instid0(VALU_DEP_1) | instskip(NEXT) | instid1(VALU_DEP_1)
	v_ashrrev_i32_e32 v81, 31, v80
	v_lshlrev_b64 v[78:79], 2, v[80:81]
	s_waitcnt lgkmcnt(0)
	s_delay_alu instid0(VALU_DEP_1) | instskip(NEXT) | instid1(VALU_DEP_2)
	v_add_co_u32 v80, vcc_lo, s6, v78
	v_add_co_ci_u32_e32 v81, vcc_lo, s7, v79, vcc_lo
	v_add_co_u32 v78, vcc_lo, s4, v78
	v_add_co_ci_u32_e32 v79, vcc_lo, s5, v79, vcc_lo
	global_store_b32 v[80:81], v76, off
	global_store_b32 v[78:79], v77, off
.LBB967_14:
	s_or_b32 exec_lo, exec_lo, s3
	s_waitcnt lgkmcnt(0)
	s_waitcnt_vscnt null, 0x0
	s_barrier
	buffer_gl0_inv
	ds_load_b128 v[84:87], v74
	ds_load_b128 v[88:91], v74 offset:16
	ds_load_b128 v[96:99], v74 offset:2064
	;; [unrolled: 1-line block ×5, first 2 shown]
	v_cmp_eq_u32_e32 vcc_lo, 1, v70
	v_mov_b32_e32 v76, 0
	ds_load_b128 v[112:115], v74 offset:6160
	ds_load_b128 v[108:111], v74 offset:6144
	;; [unrolled: 1-line block ×4, first 2 shown]
	v_cmp_eq_u32_e64 s4, 1, v71
	v_cmp_eq_u32_e64 s3, 1, v73
	;; [unrolled: 1-line block ×3, first 2 shown]
	v_mov_b32_e32 v77, v76
	v_mov_b32_e32 v78, v76
	;; [unrolled: 1-line block ×7, first 2 shown]
	v_cmp_eq_u32_e64 s6, 3, v73
	v_cmp_eq_u32_e64 s7, 7, v73
	s_waitcnt lgkmcnt(8)
	s_delay_alu instid0(VALU_DEP_3)
	v_wmma_f32_16x16x16_f16 v[76:83], v[49:56], v[84:91], v[76:83]
	ds_load_b128 v[53:56], v74 offset:10256
	ds_load_b128 v[49:52], v74 offset:10240
	s_waitcnt lgkmcnt(8)
	v_wmma_f32_16x16x16_f16 v[76:83], v[41:48], v[92:99], v[76:83]
	ds_load_b128 v[45:48], v74 offset:12304
	ds_load_b128 v[41:44], v74 offset:12288
	s_waitcnt lgkmcnt(8)
	;; [unrolled: 4-line block ×3, first 2 shown]
	s_barrier
	buffer_gl0_inv
	v_wmma_f32_16x16x16_f16 v[76:83], v[1:8], v[108:115], v[76:83]
	s_delay_alu instid0(VALU_DEP_1) | instskip(NEXT) | instid1(VALU_DEP_1)
	v_wmma_f32_16x16x16_f16 v[76:83], v[9:16], v[116:123], v[76:83]
	v_wmma_f32_16x16x16_f16 v[76:83], v[17:24], v[49:56], v[76:83]
	s_delay_alu instid0(VALU_DEP_1) | instskip(NEXT) | instid1(VALU_DEP_1)
	v_wmma_f32_16x16x16_f16 v[76:83], v[25:32], v[41:48], v[76:83]
	v_wmma_f32_16x16x16_f16 v[76:83], v[57:64], v[33:40], v[76:83]
	s_delay_alu instid0(VALU_DEP_1) | instskip(NEXT) | instid1(VALU_DEP_2)
	v_cvt_f16_f32_e32 v1, v76
	v_cvt_f16_f32_e32 v2, v77
	s_delay_alu instid0(VALU_DEP_3) | instskip(NEXT) | instid1(VALU_DEP_4)
	v_cvt_f16_f32_e32 v3, v78
	v_cvt_f16_f32_e32 v4, v79
	;; [unrolled: 1-line block ×6, first 2 shown]
	v_pack_b32_f16 v1, v1, v2
	v_pack_b32_f16 v2, v3, v4
	;; [unrolled: 1-line block ×3, first 2 shown]
	s_delay_alu instid0(VALU_DEP_4)
	v_pack_b32_f16 v4, v7, v8
	ds_store_b128 v69, v[1:4]
	s_waitcnt lgkmcnt(0)
	s_barrier
	buffer_gl0_inv
	ds_load_b128 v[1:4], v75
	ds_load_b128 v[5:8], v75 offset:16
	s_waitcnt lgkmcnt(1)
	v_lshrrev_b32_e32 v9, 16, v1
	s_waitcnt lgkmcnt(0)
	v_lshrrev_b32_e32 v13, 16, v5
	v_lshrrev_b32_e32 v10, 16, v2
	;; [unrolled: 1-line block ×4, first 2 shown]
	v_cndmask_b32_e32 v17, v1, v9, vcc_lo
	v_cndmask_b32_e32 v18, v5, v13, vcc_lo
	v_cndmask_b32_e64 v21, v1, v9, s4
	v_cmp_eq_u32_e32 vcc_lo, 1, v72
	v_cndmask_b32_e64 v22, v5, v13, s4
	v_cmp_eq_u32_e64 s4, 2, v70
	v_cndmask_b32_e64 v19, v1, v9, s3
	v_cndmask_b32_e64 v20, v5, v13, s3
	v_cndmask_b32_e32 v1, v1, v9, vcc_lo
	v_cmp_eq_u32_e64 s3, 2, v72
	v_cndmask_b32_e32 v5, v5, v13, vcc_lo
	v_cndmask_b32_e64 v9, v17, v2, s4
	v_cmp_eq_u32_e32 vcc_lo, 3, v70
	v_cndmask_b32_e64 v13, v18, v6, s4
	v_cmp_eq_u32_e64 s4, 2, v71
	v_cndmask_b32_e64 v17, v19, v2, s5
	v_cndmask_b32_e64 v18, v20, v6, s5
	v_cmp_eq_u32_e64 s5, 3, v71
	v_cndmask_b32_e64 v1, v1, v2, s3
	v_cndmask_b32_e64 v19, v21, v2, s4
	;; [unrolled: 1-line block ×4, first 2 shown]
	v_cndmask_b32_e32 v5, v9, v10, vcc_lo
	v_cndmask_b32_e32 v6, v13, v14, vcc_lo
	v_cmp_eq_u32_e32 vcc_lo, 3, v72
	v_cndmask_b32_e64 v9, v17, v10, s6
	v_cndmask_b32_e64 v13, v18, v14, s6
	;; [unrolled: 1-line block ×3, first 2 shown]
	v_cmp_eq_u32_e64 s4, 4, v70
	v_cndmask_b32_e32 v1, v1, v10, vcc_lo
	v_cndmask_b32_e32 v2, v2, v14, vcc_lo
	v_cmp_eq_u32_e32 vcc_lo, 4, v73
	v_lshrrev_b32_e32 v15, 16, v7
	v_lshrrev_b32_e32 v16, 16, v8
	v_cndmask_b32_e64 v17, v19, v10, s5
	v_cmp_eq_u32_e64 s3, 4, v72
	v_cndmask_b32_e64 v5, v5, v3, s4
	v_cndmask_b32_e64 v6, v6, v7, s4
	v_cndmask_b32_e32 v9, v9, v3, vcc_lo
	v_cmp_eq_u32_e64 s4, 5, v73
	v_cndmask_b32_e32 v10, v13, v7, vcc_lo
	v_cmp_eq_u32_e32 vcc_lo, 4, v71
	v_cmp_eq_u32_e64 s5, 5, v70
	v_cndmask_b32_e64 v2, v2, v7, s3
	v_cndmask_b32_e64 v9, v9, v11, s4
	;; [unrolled: 1-line block ×3, first 2 shown]
	v_cndmask_b32_e32 v13, v17, v3, vcc_lo
	v_cmp_eq_u32_e64 s4, 5, v71
	v_cndmask_b32_e32 v14, v18, v7, vcc_lo
	v_cndmask_b32_e64 v1, v1, v3, s3
	v_cmp_eq_u32_e32 vcc_lo, 5, v72
	v_lshrrev_b32_e32 v12, 16, v4
	v_cndmask_b32_e64 v13, v13, v11, s4
	v_cndmask_b32_e64 v3, v14, v15, s4
	v_cmp_eq_u32_e64 s4, 6, v72
	v_cndmask_b32_e32 v1, v1, v11, vcc_lo
	v_cndmask_b32_e64 v5, v5, v11, s5
	v_cmp_eq_u32_e64 s6, 6, v70
	v_cndmask_b32_e64 v6, v6, v15, s5
	v_cmp_eq_u32_e64 s5, 6, v73
	v_cmp_eq_u32_e64 s3, 6, v71
	v_cndmask_b32_e64 v1, v1, v4, s4
	v_cndmask_b32_e32 v2, v2, v15, vcc_lo
	v_cmp_eq_u32_e32 vcc_lo, 7, v72
	v_cndmask_b32_e64 v5, v5, v4, s6
	v_cndmask_b32_e64 v9, v9, v4, s5
	;; [unrolled: 1-line block ×3, first 2 shown]
	v_cmp_eq_u32_e64 s6, 7, v70
	v_cndmask_b32_e32 v1, v1, v12, vcc_lo
	v_cndmask_b32_e64 v7, v13, v4, s3
	v_cndmask_b32_e64 v3, v3, v8, s3
	;; [unrolled: 1-line block ×3, first 2 shown]
	v_cmp_eq_u32_e64 s3, 7, v71
	v_cndmask_b32_e64 v4, v10, v8, s5
	v_cndmask_b32_e64 v5, v5, v12, s6
	;; [unrolled: 1-line block ×3, first 2 shown]
	v_cndmask_b32_e32 v2, v2, v16, vcc_lo
	v_cndmask_b32_e64 v7, v7, v12, s3
	v_cndmask_b32_e64 v3, v3, v16, s3
	;; [unrolled: 1-line block ×4, first 2 shown]
	v_perm_b32 v4, v2, v1, 0x5040100
	s_delay_alu instid0(VALU_DEP_4) | instskip(NEXT) | instid1(VALU_DEP_4)
	v_perm_b32 v3, v3, v7, 0x5040100
	v_perm_b32 v2, v8, v9, 0x5040100
	s_delay_alu instid0(VALU_DEP_4)
	v_perm_b32 v1, v6, v5, 0x5040100
	ds_store_b128 v69, v[1:4]
	s_waitcnt lgkmcnt(0)
	s_barrier
	buffer_gl0_inv
	s_and_saveexec_b32 s3, s2
	s_cbranch_execz .LBB967_2
; %bb.15:
	s_load_b64 s[0:1], s[0:1], 0x68
	v_lshlrev_b32_e32 v0, 10, v0
	s_lshl_b32 s2, s35, 7
	v_lshlrev_b32_e32 v1, 4, v68
	v_mul_lo_u32 v4, s2, v67
	s_mul_i32 s3, s2, s34
	v_and_b32_e32 v0, 0x3800, v0
	s_mul_i32 s2, s3, s8
	s_delay_alu instid0(SALU_CYCLE_1) | instskip(NEXT) | instid1(VALU_DEP_1)
	s_ashr_i32 s3, s2, 31
	v_or3_b32 v0, v0, v66, v1
	s_lshl_b64 s[2:3], s[2:3], 1
	s_delay_alu instid0(VALU_DEP_3)
	v_ashrrev_i32_e32 v5, 31, v4
	ds_load_b128 v[0:3], v0
	v_lshlrev_b64 v[4:5], 1, v[4:5]
	s_waitcnt lgkmcnt(0)
	s_add_u32 s2, s0, s2
	s_addc_u32 s3, s1, s3
	s_lshl_b32 s0, s14, 7
	s_delay_alu instid0(SALU_CYCLE_1) | instskip(NEXT) | instid1(SALU_CYCLE_1)
	s_ashr_i32 s1, s0, 31
	s_lshl_b64 s[0:1], s[0:1], 1
	s_delay_alu instid0(SALU_CYCLE_1) | instskip(SKIP_3) | instid1(VALU_DEP_2)
	s_add_u32 s0, s2, s0
	s_addc_u32 s1, s3, s1
	v_add_co_u32 v4, vcc_lo, s0, v4
	v_add_co_ci_u32_e32 v5, vcc_lo, s1, v5, vcc_lo
	v_add_co_u32 v4, vcc_lo, v4, v65
	s_delay_alu instid0(VALU_DEP_2)
	v_add_co_ci_u32_e32 v5, vcc_lo, 0, v5, vcc_lo
	global_store_b128 v[4:5], v[0:3], off
	s_nop 0
	s_sendmsg sendmsg(MSG_DEALLOC_VGPRS)
	s_endpgm
	.section	.rodata,"a",@progbits
	.p2align	6, 0x0
	.amdhsa_kernel _Z39paged_attention_ll4mi_QKV_mfma16_kernelIDF16_hLN4vllm18Fp8KVCacheDataTypeE1EhLi16ELi128ELi256ELb0ELi2EL8MFMAType1EEvPKT_PKT0_S8_ifPKiSA_SA_iPKfiiiPfSD_PS3_PT2_iSC_SC_
		.amdhsa_group_segment_fixed_size 17472
		.amdhsa_private_segment_fixed_size 0
		.amdhsa_kernarg_size 400
		.amdhsa_user_sgpr_count 13
		.amdhsa_user_sgpr_dispatch_ptr 0
		.amdhsa_user_sgpr_queue_ptr 0
		.amdhsa_user_sgpr_kernarg_segment_ptr 1
		.amdhsa_user_sgpr_dispatch_id 0
		.amdhsa_user_sgpr_private_segment_size 0
		.amdhsa_wavefront_size32 1
		.amdhsa_uses_dynamic_stack 0
		.amdhsa_enable_private_segment 0
		.amdhsa_system_sgpr_workgroup_id_x 1
		.amdhsa_system_sgpr_workgroup_id_y 1
		.amdhsa_system_sgpr_workgroup_id_z 1
		.amdhsa_system_sgpr_workgroup_info 0
		.amdhsa_system_vgpr_workitem_id 0
		.amdhsa_next_free_vgpr 146
		.amdhsa_next_free_sgpr 37
		.amdhsa_reserve_vcc 1
		.amdhsa_float_round_mode_32 0
		.amdhsa_float_round_mode_16_64 0
		.amdhsa_float_denorm_mode_32 3
		.amdhsa_float_denorm_mode_16_64 3
		.amdhsa_dx10_clamp 1
		.amdhsa_ieee_mode 1
		.amdhsa_fp16_overflow 0
		.amdhsa_workgroup_processor_mode 1
		.amdhsa_memory_ordered 1
		.amdhsa_forward_progress 0
		.amdhsa_shared_vgpr_count 0
		.amdhsa_exception_fp_ieee_invalid_op 0
		.amdhsa_exception_fp_denorm_src 0
		.amdhsa_exception_fp_ieee_div_zero 0
		.amdhsa_exception_fp_ieee_overflow 0
		.amdhsa_exception_fp_ieee_underflow 0
		.amdhsa_exception_fp_ieee_inexact 0
		.amdhsa_exception_int_div_zero 0
	.end_amdhsa_kernel
	.section	.text._Z39paged_attention_ll4mi_QKV_mfma16_kernelIDF16_hLN4vllm18Fp8KVCacheDataTypeE1EhLi16ELi128ELi256ELb0ELi2EL8MFMAType1EEvPKT_PKT0_S8_ifPKiSA_SA_iPKfiiiPfSD_PS3_PT2_iSC_SC_,"axG",@progbits,_Z39paged_attention_ll4mi_QKV_mfma16_kernelIDF16_hLN4vllm18Fp8KVCacheDataTypeE1EhLi16ELi128ELi256ELb0ELi2EL8MFMAType1EEvPKT_PKT0_S8_ifPKiSA_SA_iPKfiiiPfSD_PS3_PT2_iSC_SC_,comdat
.Lfunc_end967:
	.size	_Z39paged_attention_ll4mi_QKV_mfma16_kernelIDF16_hLN4vllm18Fp8KVCacheDataTypeE1EhLi16ELi128ELi256ELb0ELi2EL8MFMAType1EEvPKT_PKT0_S8_ifPKiSA_SA_iPKfiiiPfSD_PS3_PT2_iSC_SC_, .Lfunc_end967-_Z39paged_attention_ll4mi_QKV_mfma16_kernelIDF16_hLN4vllm18Fp8KVCacheDataTypeE1EhLi16ELi128ELi256ELb0ELi2EL8MFMAType1EEvPKT_PKT0_S8_ifPKiSA_SA_iPKfiiiPfSD_PS3_PT2_iSC_SC_
                                        ; -- End function
	.section	.AMDGPU.csdata,"",@progbits
; Kernel info:
; codeLenInByte = 6428
; NumSgprs: 39
; NumVgprs: 146
; ScratchSize: 0
; MemoryBound: 0
; FloatMode: 240
; IeeeMode: 1
; LDSByteSize: 17472 bytes/workgroup (compile time only)
; SGPRBlocks: 4
; VGPRBlocks: 18
; NumSGPRsForWavesPerEU: 39
; NumVGPRsForWavesPerEU: 146
; Occupancy: 9
; WaveLimiterHint : 1
; COMPUTE_PGM_RSRC2:SCRATCH_EN: 0
; COMPUTE_PGM_RSRC2:USER_SGPR: 13
; COMPUTE_PGM_RSRC2:TRAP_HANDLER: 0
; COMPUTE_PGM_RSRC2:TGID_X_EN: 1
; COMPUTE_PGM_RSRC2:TGID_Y_EN: 1
; COMPUTE_PGM_RSRC2:TGID_Z_EN: 1
; COMPUTE_PGM_RSRC2:TIDIG_COMP_CNT: 0
	.section	.text._Z39paged_attention_ll4mi_QKV_mfma16_kernelIDF16_hLN4vllm18Fp8KVCacheDataTypeE1EhLi16ELi128ELi256ELb0ELi3EL8MFMAType1EEvPKT_PKT0_S8_ifPKiSA_SA_iPKfiiiPfSD_PS3_PT2_iSC_SC_,"axG",@progbits,_Z39paged_attention_ll4mi_QKV_mfma16_kernelIDF16_hLN4vllm18Fp8KVCacheDataTypeE1EhLi16ELi128ELi256ELb0ELi3EL8MFMAType1EEvPKT_PKT0_S8_ifPKiSA_SA_iPKfiiiPfSD_PS3_PT2_iSC_SC_,comdat
	.protected	_Z39paged_attention_ll4mi_QKV_mfma16_kernelIDF16_hLN4vllm18Fp8KVCacheDataTypeE1EhLi16ELi128ELi256ELb0ELi3EL8MFMAType1EEvPKT_PKT0_S8_ifPKiSA_SA_iPKfiiiPfSD_PS3_PT2_iSC_SC_ ; -- Begin function _Z39paged_attention_ll4mi_QKV_mfma16_kernelIDF16_hLN4vllm18Fp8KVCacheDataTypeE1EhLi16ELi128ELi256ELb0ELi3EL8MFMAType1EEvPKT_PKT0_S8_ifPKiSA_SA_iPKfiiiPfSD_PS3_PT2_iSC_SC_
	.globl	_Z39paged_attention_ll4mi_QKV_mfma16_kernelIDF16_hLN4vllm18Fp8KVCacheDataTypeE1EhLi16ELi128ELi256ELb0ELi3EL8MFMAType1EEvPKT_PKT0_S8_ifPKiSA_SA_iPKfiiiPfSD_PS3_PT2_iSC_SC_
	.p2align	8
	.type	_Z39paged_attention_ll4mi_QKV_mfma16_kernelIDF16_hLN4vllm18Fp8KVCacheDataTypeE1EhLi16ELi128ELi256ELb0ELi3EL8MFMAType1EEvPKT_PKT0_S8_ifPKiSA_SA_iPKfiiiPfSD_PS3_PT2_iSC_SC_,@function
_Z39paged_attention_ll4mi_QKV_mfma16_kernelIDF16_hLN4vllm18Fp8KVCacheDataTypeE1EhLi16ELi128ELi256ELb0ELi3EL8MFMAType1EEvPKT_PKT0_S8_ifPKiSA_SA_iPKfiiiPfSD_PS3_PT2_iSC_SC_: ; @_Z39paged_attention_ll4mi_QKV_mfma16_kernelIDF16_hLN4vllm18Fp8KVCacheDataTypeE1EhLi16ELi128ELi256ELb0ELi3EL8MFMAType1EEvPKT_PKT0_S8_ifPKiSA_SA_iPKfiiiPfSD_PS3_PT2_iSC_SC_
; %bb.0:
	s_load_b64 s[4:5], s[0:1], 0x30
	s_mov_b32 s34, s13
	s_waitcnt lgkmcnt(0)
	s_cmp_lg_u64 s[4:5], 0
	s_cselect_b32 s8, -1, 0
	s_ashr_i32 s35, s13, 31
	s_cmp_eq_u64 s[4:5], 0
	s_cbranch_scc1 .LBB968_3
; %bb.1:
	s_lshl_b64 s[2:3], s[34:35], 2
	s_delay_alu instid0(SALU_CYCLE_1) | instskip(SKIP_4) | instid1(SALU_CYCLE_1)
	s_add_u32 s2, s4, s2
	s_addc_u32 s3, s5, s3
	s_load_b64 s[2:3], s[2:3], 0x0
	s_waitcnt lgkmcnt(0)
	s_sub_i32 s2, s3, s2
	s_cmp_eq_u32 s2, 1
	s_cselect_b32 s2, -1, 0
	s_delay_alu instid0(SALU_CYCLE_1)
	s_and_not1_b32 vcc_lo, exec_lo, s2
	s_cbranch_vccz .LBB968_4
.LBB968_2:
	s_nop 0
	s_sendmsg sendmsg(MSG_DEALLOC_VGPRS)
	s_endpgm
.LBB968_3:
.LBB968_4:
	s_load_b64 s[2:3], s[0:1], 0x28
	s_lshl_b64 s[6:7], s[34:35], 2
	s_waitcnt lgkmcnt(0)
	s_add_u32 s2, s2, s6
	s_addc_u32 s3, s3, s7
	s_lshl_b32 s12, s14, 8
	s_load_b32 s24, s[2:3], 0x0
	s_waitcnt lgkmcnt(0)
	s_cmp_ge_i32 s12, s24
	s_cbranch_scc1 .LBB968_2
; %bb.5:
	s_clause 0x1
	s_load_b128 s[20:23], s[0:1], 0x8
	s_load_b64 s[2:3], s[0:1], 0x20
	s_and_not1_b32 vcc_lo, exec_lo, s8
	s_cbranch_vccnz .LBB968_7
; %bb.6:
	s_add_u32 s4, s4, s6
	s_addc_u32 s5, s5, s7
	s_load_b32 s5, s[4:5], 0x0
	s_branch .LBB968_8
.LBB968_7:
	s_mov_b32 s5, s34
.LBB968_8:
	s_load_b128 s[16:19], s[0:1], 0x48
	v_and_b32_e32 v68, 15, v0
	v_lshrrev_b32_e32 v69, 5, v0
	v_bfe_u32 v66, v0, 4, 1
	v_and_b32_e32 v70, 31, v0
	v_and_b32_e32 v67, 1, v0
	v_lshlrev_b32_e32 v2, 3, v68
	s_mul_i32 s31, s15, 3
	v_lshl_or_b32 v1, v69, 1, v66
	s_mov_b32 s4, exec_lo
	s_delay_alu instid0(VALU_DEP_2) | instskip(NEXT) | instid1(VALU_DEP_2)
	v_lshlrev_b32_e32 v65, 1, v2
	v_cmpx_gt_u32_e32 3, v1
	s_cbranch_execz .LBB968_10
; %bb.9:
	s_load_b64 s[6:7], s[0:1], 0x0
	v_add_lshl_u32 v2, v1, s31, 7
	s_waitcnt lgkmcnt(0)
	s_mul_hi_i32 s9, s5, s16
	s_mul_i32 s8, s5, s16
	v_lshlrev_b32_e32 v6, 10, v68
	s_lshl_b64 s[8:9], s[8:9], 1
	v_ashrrev_i32_e32 v3, 31, v2
	v_lshlrev_b32_e32 v1, 6, v1
	v_lshlrev_b32_e32 v7, 10, v67
	v_and_b32_e32 v6, 0x3800, v6
	s_delay_alu instid0(VALU_DEP_4) | instskip(NEXT) | instid1(VALU_DEP_2)
	v_lshlrev_b64 v[2:3], 1, v[2:3]
	v_or3_b32 v1, v6, v7, v1
	s_add_u32 s5, s6, s8
	s_addc_u32 s6, s7, s9
	s_delay_alu instid0(VALU_DEP_2) | instskip(NEXT) | instid1(VALU_DEP_3)
	v_add_co_u32 v2, vcc_lo, s5, v2
	v_add_co_ci_u32_e32 v3, vcc_lo, s6, v3, vcc_lo
	s_delay_alu instid0(VALU_DEP_2) | instskip(NEXT) | instid1(VALU_DEP_2)
	v_add_co_u32 v2, vcc_lo, v2, v65
	v_add_co_ci_u32_e32 v3, vcc_lo, 0, v3, vcc_lo
	global_load_b128 v[2:5], v[2:3], off
	s_waitcnt vmcnt(0)
	ds_store_b128 v1, v[2:5]
.LBB968_10:
	s_or_b32 exec_lo, exec_lo, s4
	v_and_b32_e32 v1, 0xef, v0
	s_waitcnt lgkmcnt(0)
	s_add_i32 s5, s24, 15
	s_clause 0x1
	s_load_b32 s4, s[0:1], 0x38
	s_load_b32 s33, s[0:1], 0x98
	s_ashr_i32 s6, s5, 31
	v_add_nc_u32_e32 v1, s12, v1
	s_lshr_b32 s6, s6, 28
	s_load_b32 s19, s[0:1], 0x1c
	s_add_i32 s5, s5, s6
	s_waitcnt lgkmcnt(0)
	v_ashrrev_i32_e32 v2, 31, v1
	v_or_b32_e32 v3, 16, v1
	s_ashr_i32 s13, s5, 4
	v_cmp_gt_i32_e32 vcc_lo, s24, v1
	s_add_i32 s13, s13, -1
	v_lshrrev_b32_e32 v2, 28, v2
	s_barrier
	buffer_gl0_inv
	s_mul_i32 s15, s15, s18
	v_add_nc_u32_e32 v4, v1, v2
	s_mul_i32 s4, s34, s4
	s_delay_alu instid0(SALU_CYCLE_1) | instskip(NEXT) | instid1(VALU_DEP_1)
	s_ashr_i32 s5, s4, 31
	v_ashrrev_i32_e32 v4, 4, v4
	v_add_nc_u32_e32 v2, v3, v2
	s_lshl_b64 s[4:5], s[4:5], 2
	s_delay_alu instid0(SALU_CYCLE_1) | instskip(NEXT) | instid1(VALU_DEP_2)
	s_add_u32 s16, s2, s4
	v_cndmask_b32_e32 v1, s13, v4, vcc_lo
	s_delay_alu instid0(VALU_DEP_2)
	v_ashrrev_i32_e32 v2, 4, v2
	v_cmp_gt_i32_e32 vcc_lo, s24, v3
	s_addc_u32 s25, s3, s5
	s_ashr_i32 s18, s15, 31
	s_add_u32 s26, s20, s15
	s_addc_u32 s27, s21, s18
	v_cndmask_b32_e32 v3, s13, v2, vcc_lo
	v_ashrrev_i32_e32 v2, 31, v1
	s_lshl_b32 s2, s14, 4
	s_delay_alu instid0(SALU_CYCLE_1) | instskip(NEXT) | instid1(VALU_DEP_2)
	s_ashr_i32 s3, s2, 31
	v_ashrrev_i32_e32 v4, 31, v3
	s_delay_alu instid0(VALU_DEP_2) | instskip(SKIP_1) | instid1(SALU_CYCLE_1)
	v_lshlrev_b64 v[1:2], 2, v[1:2]
	s_lshl_b64 s[2:3], s[2:3], 2
	s_add_u32 s2, s16, s2
	s_delay_alu instid0(VALU_DEP_2) | instskip(SKIP_1) | instid1(VALU_DEP_2)
	v_lshlrev_b64 v[3:4], 2, v[3:4]
	s_addc_u32 s3, s25, s3
	v_add_co_u32 v1, vcc_lo, s16, v1
	v_add_co_ci_u32_e32 v2, vcc_lo, s25, v2, vcc_lo
	s_delay_alu instid0(VALU_DEP_3) | instskip(NEXT) | instid1(VALU_DEP_4)
	v_add_co_u32 v3, vcc_lo, s16, v3
	v_add_co_ci_u32_e32 v4, vcc_lo, s25, v4, vcc_lo
	s_clause 0x1
	global_load_b32 v5, v[1:2], off
	global_load_b32 v7, v[3:4], off
	s_or_b32 s4, s12, 32
	v_lshlrev_b32_e32 v1, 4, v0
	s_ashr_i32 s5, s4, 4
	s_cmp_lt_i32 s4, s24
	s_cselect_b32 s4, s5, s13
	s_delay_alu instid0(VALU_DEP_1) | instskip(SKIP_1) | instid1(SALU_CYCLE_1)
	v_and_b32_e32 v1, 0xf0, v1
	s_ashr_i32 s5, s4, 31
	s_lshl_b64 s[4:5], s[4:5], 2
	s_delay_alu instid0(SALU_CYCLE_1)
	s_add_u32 s4, s16, s4
	s_addc_u32 s5, s25, s5
	s_or_b32 s6, s12, 64
	v_add_co_u32 v1, s26, s26, v1
	s_ashr_i32 s7, s6, 4
	s_cmp_lt_i32 s6, s24
	v_add_co_ci_u32_e64 v2, null, s27, 0, s26
	s_cselect_b32 s6, s7, s13
	s_delay_alu instid0(SALU_CYCLE_1) | instskip(NEXT) | instid1(SALU_CYCLE_1)
	s_ashr_i32 s7, s6, 31
	s_lshl_b64 s[6:7], s[6:7], 2
	s_delay_alu instid0(SALU_CYCLE_1) | instskip(SKIP_2) | instid1(SALU_CYCLE_1)
	s_add_u32 s6, s16, s6
	s_addc_u32 s7, s25, s7
	s_or_b32 s8, s12, 0x60
	s_ashr_i32 s9, s8, 4
	s_cmp_lt_i32 s8, s24
	s_cselect_b32 s8, s9, s13
	s_delay_alu instid0(SALU_CYCLE_1) | instskip(NEXT) | instid1(SALU_CYCLE_1)
	s_ashr_i32 s9, s8, 31
	s_lshl_b64 s[8:9], s[8:9], 2
	s_delay_alu instid0(SALU_CYCLE_1) | instskip(SKIP_2) | instid1(SALU_CYCLE_1)
	s_add_u32 s8, s16, s8
	s_addc_u32 s9, s25, s9
	s_or_b32 s10, s12, 0x80
	s_ashr_i32 s11, s10, 4
	s_cmp_lt_i32 s10, s24
	;; [unrolled: 10-line block ×3, first 2 shown]
	s_cselect_b32 s20, s21, s13
	s_delay_alu instid0(SALU_CYCLE_1) | instskip(NEXT) | instid1(SALU_CYCLE_1)
	s_ashr_i32 s21, s20, 31
	s_lshl_b64 s[20:21], s[20:21], 2
	s_delay_alu instid0(SALU_CYCLE_1)
	s_add_u32 s20, s16, s20
	s_addc_u32 s21, s25, s21
	s_clause 0x5
	s_load_b32 s26, s[2:3], 0x0
	s_load_b32 s27, s[4:5], 0x0
	;; [unrolled: 1-line block ×6, first 2 shown]
	s_or_b32 s2, s12, 0xc0
	s_mov_b32 s4, 0
	s_ashr_i32 s3, s2, 4
	s_cmp_lt_i32 s2, s24
	s_mov_b32 s11, s4
	s_cselect_b32 s2, s3, s13
	s_mov_b32 s5, s4
	s_ashr_i32 s3, s2, 31
	s_mov_b32 s6, s4
	s_lshl_b64 s[2:3], s[2:3], 2
	s_mov_b32 s7, s4
	s_add_u32 s2, s16, s2
	s_addc_u32 s3, s25, s3
	s_or_b32 s20, s12, 0xe0
	s_mov_b32 s8, s4
	s_ashr_i32 s21, s20, 4
	s_cmp_lt_i32 s20, s24
	s_mov_b32 s9, s4
	s_cselect_b32 s20, s21, s13
	s_mov_b32 s10, s4
	s_ashr_i32 s21, s20, 31
	v_mov_b32_e32 v118, s11
	v_dual_mov_b32 v112, s5 :: v_dual_mov_b32 v117, s10
	v_dual_mov_b32 v116, s9 :: v_dual_mov_b32 v115, s8
	;; [unrolled: 1-line block ×3, first 2 shown]
	v_mov_b32_e32 v111, s4
	s_lshl_b64 s[4:5], s[20:21], 2
	s_delay_alu instid0(SALU_CYCLE_1)
	s_add_u32 s4, s16, s4
	s_addc_u32 s5, s25, s5
	s_add_u32 s6, s22, s15
	s_addc_u32 s7, s23, s18
	s_waitcnt vmcnt(1)
	v_mad_i64_i32 v[3:4], null, v5, s17, v[1:2]
	s_waitcnt vmcnt(0)
	v_mad_i64_i32 v[5:6], null, v7, s17, v[1:2]
	v_mul_lo_u16 v1, 0x56, v68
	v_lshlrev_b32_e32 v2, 4, v68
	s_clause 0xf
	global_load_b128 v[17:20], v[3:4], off
	global_load_b128 v[21:24], v[3:4], off offset:256
	global_load_b128 v[25:28], v[5:6], off
	global_load_b128 v[29:32], v[5:6], off offset:256
	global_load_b128 v[57:60], v[3:4], off offset:512
	;; [unrolled: 1-line block ×13, first 2 shown]
	v_lshrrev_b16 v1, 8, v1
	s_delay_alu instid0(VALU_DEP_1) | instskip(NEXT) | instid1(VALU_DEP_1)
	v_mul_lo_u16 v1, v1, 3
	v_sub_nc_u16 v1, v68, v1
	s_delay_alu instid0(VALU_DEP_1) | instskip(NEXT) | instid1(VALU_DEP_1)
	v_and_b32_e32 v1, 0xff, v1
	v_lshlrev_b32_e32 v149, 6, v1
	v_lshl_or_b32 v1, v69, 8, v2
	ds_load_b128 v[119:122], v149
	ds_load_b128 v[123:126], v149 offset:1024
	ds_load_b128 v[127:130], v149 offset:2048
	;; [unrolled: 1-line block ×3, first 2 shown]
	s_clause 0x1
	s_load_b32 s2, s[2:3], 0x0
	s_load_b32 s3, s[4:5], 0x0
	v_add_co_u32 v135, s6, s6, v1
	s_delay_alu instid0(VALU_DEP_1) | instskip(SKIP_1) | instid1(VALU_DEP_1)
	v_add_co_ci_u32_e64 v136, null, s7, 0, s6
	s_waitcnt lgkmcnt(0)
	v_mad_i64_i32 v[1:2], null, s26, s17, v[135:136]
	v_mad_i64_i32 v[3:4], null, s27, s17, v[135:136]
	;; [unrolled: 1-line block ×6, first 2 shown]
	s_clause 0x9
	global_load_b128 v[49:52], v[1:2], off
	global_load_b128 v[53:56], v[1:2], off offset:16
	global_load_b128 v[41:44], v[3:4], off
	global_load_b128 v[45:48], v[3:4], off offset:16
	global_load_b128 v[33:36], v[5:6], off
	global_load_b128 v[37:40], v[5:6], off offset:16
	global_load_b128 v[1:4], v[7:8], off
	global_load_b128 v[5:8], v[7:8], off offset:16
	global_load_b128 v[9:12], v[13:14], off
	global_load_b128 v[13:16], v[13:14], off offset:16
	v_mad_i64_i32 v[145:146], null, s2, s17, v[135:136]
	v_mad_i64_i32 v[147:148], null, s3, s17, v[135:136]
	s_waitcnt vmcnt(24)
	v_wmma_f32_16x16x16_f16 v[135:142], v[17:24], v[119:126], v[111:118]
	s_waitcnt vmcnt(22)
	v_wmma_f32_16x16x16_f16 v[111:118], v[25:32], v[119:126], v[111:118]
	s_clause 0x3
	global_load_b128 v[17:20], v[143:144], off
	global_load_b128 v[21:24], v[143:144], off offset:16
	global_load_b128 v[25:28], v[145:146], off
	global_load_b128 v[29:32], v[145:146], off offset:16
	v_and_b32_e32 v119, 0xe0, v0
	s_waitcnt vmcnt(24)
	v_wmma_f32_16x16x16_f16 v[135:142], v[57:64], v[127:134], v[135:142]
	s_clause 0x1
	global_load_b128 v[57:60], v[147:148], off
	global_load_b128 v[61:64], v[147:148], off offset:16
	s_waitcnt vmcnt(24)
	v_wmma_f32_16x16x16_f16 v[111:118], v[71:78], v[127:134], v[111:118]
	ds_load_b128 v[71:74], v149 offset:4096
	ds_load_b128 v[75:78], v149 offset:5120
	v_add_nc_u32_e32 v128, s12, v119
	ds_load_b128 v[119:122], v149 offset:6144
	ds_load_b128 v[123:126], v149 offset:7168
	v_mbcnt_lo_u32_b32 v127, -1, 0
	s_waitcnt vmcnt(0) lgkmcnt(0)
	s_barrier
	v_or_b32_e32 v128, v128, v66
	buffer_gl0_inv
	v_xor_b32_e32 v129, 16, v127
	v_or_b32_e32 v130, 4, v128
	v_or_b32_e32 v131, 6, v128
	s_delay_alu instid0(VALU_DEP_3) | instskip(SKIP_4) | instid1(VALU_DEP_4)
	v_cmp_gt_i32_e32 vcc_lo, 32, v129
	v_or_b32_e32 v132, 8, v128
	v_or_b32_e32 v133, 10, v128
	v_cmp_gt_i32_e64 s3, s24, v130
	v_cmp_gt_i32_e64 s4, s24, v131
	;; [unrolled: 1-line block ×3, first 2 shown]
	v_wmma_f32_16x16x16_f16 v[135:142], v[79:86], v[71:78], v[135:142]
	v_wmma_f32_16x16x16_f16 v[111:118], v[87:94], v[71:78], v[111:118]
	v_or_b32_e32 v79, 12, v128
	v_or_b32_e32 v80, 14, v128
	v_cmp_gt_i32_e64 s6, s24, v133
	v_wmma_f32_16x16x16_f16 v[135:142], v[95:102], v[119:126], v[135:142]
	v_wmma_f32_16x16x16_f16 v[111:118], v[103:110], v[119:126], v[111:118]
	v_cndmask_b32_e32 v127, v127, v129, vcc_lo
	v_or_b32_e32 v129, 2, v128
	v_cmp_gt_i32_e32 vcc_lo, s24, v128
	s_delay_alu instid0(VALU_DEP_4) | instskip(SKIP_1) | instid1(VALU_DEP_4)
	v_dual_mul_f32 v87, s19, v136 :: v_dual_mul_f32 v94, s19, v113
	v_mul_f32_e32 v88, s19, v135
	v_cmp_gt_i32_e64 s2, s24, v129
	v_mul_f32_e32 v78, s19, v138
	v_mul_f32_e32 v86, s19, v137
	;; [unrolled: 1-line block ×3, first 2 shown]
	v_cndmask_b32_e32 v88, 0xff7fffff, v88, vcc_lo
	v_cndmask_b32_e64 v87, 0xff7fffff, v87, s2
	v_dual_mul_f32 v77, s19, v139 :: v_dual_mul_f32 v90, s19, v117
	v_cndmask_b32_e64 v86, 0xff7fffff, v86, s3
	v_cndmask_b32_e64 v78, 0xff7fffff, v78, s4
	s_delay_alu instid0(VALU_DEP_4)
	v_max3_f32 v87, v88, 0xff7fffff, v87
	v_or_b32_e32 v81, 16, v128
	v_or_b32_e32 v82, 18, v128
	v_dual_mul_f32 v74, s19, v142 :: v_dual_mul_f32 v75, s19, v141
	v_mul_f32_e32 v96, s19, v111
	v_cndmask_b32_e64 v77, 0xff7fffff, v77, s5
	v_cndmask_b32_e64 v76, 0xff7fffff, v76, s6
	v_max3_f32 v78, v87, v86, v78
	v_cmp_gt_i32_e64 s7, s24, v79
	v_cmp_gt_i32_e64 s8, s24, v80
	v_or_b32_e32 v83, 20, v128
	v_or_b32_e32 v84, 22, v128
	v_mul_f32_e32 v95, s19, v112
	v_cndmask_b32_e64 v75, 0xff7fffff, v75, s7
	v_cndmask_b32_e64 v74, 0xff7fffff, v74, s8
	v_max3_f32 v76, v78, v77, v76
	v_cmp_gt_i32_e64 s9, s24, v81
	v_cmp_gt_i32_e64 s10, s24, v82
	v_or_b32_e32 v85, 24, v128
	v_or_b32_e32 v71, 26, v128
	;; [unrolled: 8-line block ×3, first 2 shown]
	v_dual_mul_f32 v91, s19, v116 :: v_dual_mul_f32 v92, s19, v115
	v_cndmask_b32_e64 v75, 0xff7fffff, v94, s11
	v_cndmask_b32_e64 v76, 0xff7fffff, v93, s12
	v_max3_f32 v74, v74, v77, v78
	v_cmp_gt_i32_e64 s13, s24, v85
	v_cmp_gt_i32_e64 s15, s24, v71
	v_mul_f32_e32 v89, s19, v118
	v_cmp_gt_i32_e64 s16, s24, v72
	v_max3_f32 v74, v74, v75, v76
	v_cndmask_b32_e64 v77, 0xff7fffff, v92, s13
	v_cndmask_b32_e64 v71, 0xff7fffff, v91, s15
	v_cmp_gt_i32_e64 s17, s24, v73
	v_cndmask_b32_e64 v72, 0xff7fffff, v90, s16
	s_delay_alu instid0(VALU_DEP_3) | instskip(SKIP_1) | instid1(VALU_DEP_4)
	v_max3_f32 v71, v74, v77, v71
	v_lshlrev_b32_e32 v74, 2, v127
	v_cndmask_b32_e64 v73, 0xff7fffff, v89, s17
	s_delay_alu instid0(VALU_DEP_1) | instskip(SKIP_3) | instid1(VALU_DEP_1)
	v_max3_f32 v71, v71, v72, v73
	ds_bpermute_b32 v72, v74, v71
	s_waitcnt lgkmcnt(0)
	v_max_f32_e32 v72, v72, v72
	v_max_f32_e32 v71, v71, v72
	s_delay_alu instid0(VALU_DEP_1) | instskip(SKIP_4) | instid1(VALU_DEP_4)
	v_fma_f32 v72, s19, v135, -v71
	v_fma_f32 v73, s19, v136, -v71
	;; [unrolled: 1-line block ×5, first 2 shown]
	v_dual_mul_f32 v72, 0x3fb8aa3b, v72 :: v_dual_mul_f32 v73, 0x3fb8aa3b, v73
	s_delay_alu instid0(VALU_DEP_3) | instskip(SKIP_1) | instid1(VALU_DEP_3)
	v_dual_mul_f32 v75, 0x3fb8aa3b, v75 :: v_dual_mul_f32 v76, 0x3fb8aa3b, v76
	v_fma_f32 v80, s19, v141, -v71
	v_exp_f32_e32 v72, v72
	s_delay_alu instid0(VALU_DEP_3) | instskip(NEXT) | instid1(VALU_DEP_2)
	v_exp_f32_e32 v73, v73
	v_exp_f32_e32 v75, v75
	;; [unrolled: 1-line block ×3, first 2 shown]
	v_mul_f32_e32 v82, 0x3fb8aa3b, v80
	s_delay_alu instid0(VALU_DEP_1) | instskip(SKIP_4) | instid1(TRANS32_DEP_3)
	v_exp_f32_e32 v84, v82
	v_cndmask_b32_e32 v79, 0, v72, vcc_lo
	v_fma_f32 v72, s19, v140, -v71
	v_mul_f32_e32 v77, 0x3fb8aa3b, v77
	v_cndmask_b32_e64 v78, 0, v73, s2
	v_cndmask_b32_e64 v81, 0, v75, s3
	s_delay_alu instid0(VALU_DEP_4) | instskip(NEXT) | instid1(VALU_DEP_4)
	v_dual_add_f32 v73, 0, v79 :: v_dual_mul_f32 v72, 0x3fb8aa3b, v72
	v_exp_f32_e32 v77, v77
	v_cndmask_b32_e64 v80, 0, v76, s4
	s_delay_alu instid0(TRANS32_DEP_2) | instskip(NEXT) | instid1(VALU_DEP_3)
	v_cndmask_b32_e64 v85, 0, v84, s7
	v_add_f32_e32 v73, v73, v78
	v_exp_f32_e32 v72, v72
	v_cmp_gt_u32_e64 s2, 16, v70
	s_delay_alu instid0(VALU_DEP_2) | instskip(NEXT) | instid1(TRANS32_DEP_2)
	v_add_f32_e32 v73, v73, v81
	v_cndmask_b32_e64 v83, 0, v77, s5
	s_delay_alu instid0(VALU_DEP_2) | instskip(SKIP_3) | instid1(VALU_DEP_1)
	v_add_f32_e32 v73, v73, v80
	s_waitcnt_depctr 0xfff
	v_cndmask_b32_e64 v82, 0, v72, s6
	v_add_f32_e32 v72, v73, v83
	v_add_f32_e32 v72, v72, v82
	s_delay_alu instid0(VALU_DEP_1)
	v_add_f32_e32 v72, v72, v85
	v_fma_f32 v76, s19, v111, -v71
	v_fma_f32 v75, s19, v142, -v71
	;; [unrolled: 1-line block ×5, first 2 shown]
	s_delay_alu instid0(VALU_DEP_4) | instskip(NEXT) | instid1(VALU_DEP_3)
	v_dual_mul_f32 v76, 0x3fb8aa3b, v76 :: v_dual_mul_f32 v75, 0x3fb8aa3b, v75
	v_mul_f32_e32 v86, 0x3fb8aa3b, v86
	s_delay_alu instid0(VALU_DEP_2) | instskip(NEXT) | instid1(VALU_DEP_2)
	v_exp_f32_e32 v76, v76
	v_exp_f32_e32 v75, v75
	s_delay_alu instid0(VALU_DEP_1) | instskip(NEXT) | instid1(TRANS32_DEP_3)
	v_exp_f32_e32 v88, v86
	v_cndmask_b32_e64 v87, 0, v76, s9
	v_fma_f32 v76, s19, v116, -v71
	v_mul_f32_e32 v77, 0x3fb8aa3b, v77
	s_waitcnt_depctr 0xfff
	v_cndmask_b32_e64 v84, 0, v75, s8
	v_fma_f32 v75, s19, v115, -v71
	v_cndmask_b32_e64 v88, 0, v88, s12
	v_mul_f32_e32 v76, 0x3fb8aa3b, v76
	v_exp_f32_e32 v77, v77
	v_add_f32_e32 v72, v72, v84
	s_delay_alu instid0(VALU_DEP_2) | instskip(NEXT) | instid1(VALU_DEP_1)
	v_exp_f32_e32 v76, v76
	v_add_f32_e32 v72, v72, v87
	s_waitcnt_depctr 0xfff
	v_cndmask_b32_e64 v86, 0, v77, s10
	v_mul_f32_e32 v73, 0x3fb8aa3b, v73
	v_fma_f32 v77, s19, v117, -v71
	v_cndmask_b32_e64 v90, 0, v76, s15
	s_delay_alu instid0(VALU_DEP_4) | instskip(NEXT) | instid1(VALU_DEP_4)
	v_add_f32_e32 v72, v72, v86
	v_exp_f32_e32 v73, v73
	s_waitcnt_depctr 0xfff
	v_cndmask_b32_e64 v89, 0, v73, s11
	s_delay_alu instid0(VALU_DEP_1) | instskip(NEXT) | instid1(VALU_DEP_1)
	v_dual_mul_f32 v75, 0x3fb8aa3b, v75 :: v_dual_add_f32 v72, v72, v89
	v_exp_f32_e32 v75, v75
	v_mul_f32_e32 v73, 0x3fb8aa3b, v77
	v_fma_f32 v77, s19, v118, -v71
	s_delay_alu instid0(VALU_DEP_3) | instskip(NEXT) | instid1(VALU_DEP_3)
	v_add_f32_e32 v72, v72, v88
	v_exp_f32_e32 v73, v73
	s_waitcnt_depctr 0xfff
	v_cndmask_b32_e64 v91, 0, v75, s13
	s_delay_alu instid0(VALU_DEP_1) | instskip(NEXT) | instid1(VALU_DEP_1)
	v_dual_mul_f32 v75, 0x3fb8aa3b, v77 :: v_dual_add_f32 v72, v72, v91
	v_exp_f32_e32 v75, v75
	v_cndmask_b32_e64 v93, 0, v73, s16
	s_delay_alu instid0(VALU_DEP_2) | instskip(NEXT) | instid1(VALU_DEP_1)
	v_add_f32_e32 v72, v72, v90
	v_add_f32_e32 v72, v72, v93
	s_waitcnt_depctr 0xfff
	v_cndmask_b32_e64 v92, 0, v75, s17
	s_delay_alu instid0(VALU_DEP_1)
	v_add_f32_e32 v72, v72, v92
	ds_bpermute_b32 v73, v74, v72
	s_and_saveexec_b32 s3, s2
	s_cbranch_execz .LBB968_12
; %bb.11:
	v_mul_u32_u24_e32 v70, 0x44, v69
	s_waitcnt lgkmcnt(0)
	v_add_f32_e32 v72, v72, v73
	s_delay_alu instid0(VALU_DEP_2) | instskip(NEXT) | instid1(VALU_DEP_1)
	v_lshl_add_u32 v70, v68, 2, v70
	v_add_nc_u32_e32 v70, 0x4000, v70
	ds_store_2addr_b32 v70, v71, v72 offset1:136
.LBB968_12:
	s_or_b32 exec_lo, exec_lo, s3
	v_lshlrev_b32_e32 v70, 2, v68
	s_load_b32 s35, s[0:1], 0x94
	s_waitcnt lgkmcnt(0)
	s_barrier
	buffer_gl0_inv
	v_add_nc_u32_e32 v98, 0x4000, v70
	v_cmp_eq_u32_e32 vcc_lo, 1, v69
	v_cmp_eq_u32_e64 s3, 2, v69
	v_cmp_eq_u32_e64 s4, 3, v69
	;; [unrolled: 1-line block ×3, first 2 shown]
	ds_load_2addr_b32 v[70:71], v98 offset1:17
	ds_load_2addr_b32 v[72:73], v98 offset0:34 offset1:51
	ds_load_2addr_b32 v[74:75], v98 offset0:68 offset1:85
	;; [unrolled: 1-line block ×3, first 2 shown]
	v_cmp_eq_u32_e64 s6, 5, v69
	v_cmp_eq_u32_e64 s7, 7, v69
	s_waitcnt lgkmcnt(3)
	v_max3_f32 v76, v70, 0xff7fffff, v71
	s_waitcnt lgkmcnt(2)
	s_delay_alu instid0(VALU_DEP_1) | instskip(SKIP_1) | instid1(VALU_DEP_1)
	v_max3_f32 v76, v76, v72, v73
	s_waitcnt lgkmcnt(1)
	v_max3_f32 v76, v76, v74, v75
	s_waitcnt lgkmcnt(0)
	s_delay_alu instid0(VALU_DEP_1) | instskip(NEXT) | instid1(VALU_DEP_1)
	v_max3_f32 v76, v76, v94, v95
	v_sub_f32_e32 v77, v71, v76
	ds_load_2addr_b32 v[96:97], v98 offset0:136 offset1:153
	v_sub_f32_e32 v74, v74, v76
	v_sub_f32_e32 v70, v70, v76
	;; [unrolled: 1-line block ×3, first 2 shown]
	v_dual_sub_f32 v72, v72, v76 :: v_dual_mul_f32 v77, 0x3fb8aa3b, v77
	s_delay_alu instid0(VALU_DEP_4) | instskip(NEXT) | instid1(VALU_DEP_4)
	v_mul_f32_e32 v103, 0x3fb8aa3b, v74
	v_mul_f32_e32 v99, 0x3fb8aa3b, v70
	ds_load_2addr_b32 v[70:71], v98 offset0:170 offset1:187
	v_dual_mul_f32 v101, 0x3fb8aa3b, v72 :: v_dual_mul_f32 v94, 0x3fb8aa3b, v94
	v_exp_f32_e32 v102, v77
	v_exp_f32_e32 v99, v99
	s_delay_alu instid0(VALU_DEP_1) | instskip(NEXT) | instid1(VALU_DEP_1)
	v_exp_f32_e32 v101, v101
	v_exp_f32_e32 v94, v94
	s_waitcnt lgkmcnt(1)
	s_delay_alu instid0(TRANS32_DEP_3)
	v_fma_f32 v77, v99, v96, 0
	v_sub_f32_e32 v100, v73, v76
	ds_load_2addr_b32 v[72:73], v98 offset0:204 offset1:221
	v_fmac_f32_e32 v77, v102, v97
	v_exp_f32_e32 v97, v103
	s_waitcnt lgkmcnt(1)
	s_delay_alu instid0(VALU_DEP_1)
	v_dual_fmac_f32 v77, v101, v70 :: v_dual_sub_f32 v96, v75, v76
	ds_load_2addr_b32 v[74:75], v98 offset0:238 offset1:255
	v_sub_f32_e32 v70, v95, v76
	s_waitcnt lgkmcnt(0)
	s_barrier
	v_mul_f32_e32 v96, 0x3fb8aa3b, v96
	buffer_gl0_inv
	v_exp_f32_e32 v95, v96
	v_mul_f32_e32 v100, 0x3fb8aa3b, v100
	s_delay_alu instid0(VALU_DEP_1) | instskip(SKIP_3) | instid1(VALU_DEP_2)
	v_exp_f32_e32 v100, v100
	s_waitcnt_depctr 0xfff
	v_dual_fmac_f32 v77, v100, v71 :: v_dual_mul_f32 v70, 0x3fb8aa3b, v70
	v_cndmask_b32_e32 v71, v99, v102, vcc_lo
	v_fmac_f32_e32 v77, v97, v72
	s_delay_alu instid0(VALU_DEP_3) | instskip(NEXT) | instid1(VALU_DEP_1)
	v_exp_f32_e32 v96, v70
	v_fmac_f32_e32 v77, v95, v73
	s_delay_alu instid0(VALU_DEP_1) | instskip(SKIP_2) | instid1(VALU_DEP_1)
	v_fmac_f32_e32 v77, v94, v74
	s_waitcnt_depctr 0xfff
	v_fmac_f32_e32 v77, v96, v75
	v_add_f32_e32 v74, 0x358637bd, v77
	s_delay_alu instid0(VALU_DEP_1) | instskip(SKIP_1) | instid1(VALU_DEP_2)
	v_div_scale_f32 v98, null, v74, v74, 1.0
	v_div_scale_f32 v99, vcc_lo, 1.0, v74, 1.0
	v_rcp_f32_e32 v103, v98
	s_waitcnt_depctr 0xfff
	v_fma_f32 v70, -v98, v103, 1.0
	s_delay_alu instid0(VALU_DEP_1) | instskip(SKIP_2) | instid1(VALU_DEP_2)
	v_fmac_f32_e32 v103, v70, v103
	v_cndmask_b32_e64 v70, v71, v101, s3
	v_cmp_eq_u32_e64 s3, 6, v69
	v_cndmask_b32_e64 v71, v70, v100, s4
	s_delay_alu instid0(VALU_DEP_4) | instskip(NEXT) | instid1(VALU_DEP_2)
	v_dual_mul_f32 v101, v99, v103 :: v_dual_lshlrev_b32 v70, 2, v66
	v_cndmask_b32_e64 v71, v71, v97, s5
	s_delay_alu instid0(VALU_DEP_2) | instskip(NEXT) | instid1(VALU_DEP_3)
	v_or_b32_e32 v72, 1, v70
	v_fma_f32 v100, -v98, v101, v99
	v_cmp_eq_u32_e64 s4, 1, v70
	v_cmp_eq_u32_e64 s5, 2, v70
	v_cndmask_b32_e64 v95, v71, v95, s6
	v_or_b32_e32 v71, 3, v70
	v_fmac_f32_e32 v101, v100, v103
	v_cmp_eq_u32_e64 s9, 1, v72
	v_cmp_eq_u32_e64 s12, 2, v72
	v_cndmask_b32_e64 v94, v95, v94, s3
	v_cmp_eq_u32_e64 s11, 1, v71
	v_fma_f32 v97, -v98, v101, v99
	v_cmp_eq_u32_e64 s16, 2, v71
	v_cmp_eq_u32_e64 s13, 3, v72
	v_cndmask_b32_e64 v94, v94, v96, s7
	v_cmp_eq_u32_e64 s18, 3, v71
	v_div_fmas_f32 v95, v97, v103, v101
	v_cmp_eq_u32_e32 vcc_lo, 3, v70
	v_cmp_eq_u32_e64 s3, 4, v70
	v_cmp_eq_u32_e64 s19, 4, v72
	;; [unrolled: 1-line block ×3, first 2 shown]
	v_div_fixup_f32 v95, v95, v74, 1.0
	v_lshlrev_b32_e32 v73, 6, v68
	v_cmp_eq_u32_e64 s6, 5, v70
	v_cmp_eq_u32_e64 s20, 5, v72
	;; [unrolled: 1-line block ×3, first 2 shown]
	v_mul_f32_e32 v102, v94, v95
	v_lshl_or_b32 v75, v69, 11, v73
	v_or_b32_e32 v69, 2, v70
	v_cmp_eq_u32_e64 s25, 6, v72
	v_cmp_eq_u32_e64 s27, 6, v71
	v_fma_mixlo_f16 v94, v102, v79, 0
	v_fma_mixlo_f16 v95, v102, v81, 0
	;; [unrolled: 1-line block ×8, first 2 shown]
	v_lshl_or_b32 v74, v66, 4, v75
	v_fma_mixhi_f16 v94, v102, v78, 0
	v_fma_mixhi_f16 v95, v102, v80, 0
	;; [unrolled: 1-line block ×8, first 2 shown]
	ds_store_b128 v74, v[94:97]
	ds_store_b128 v74, v[98:101] offset:1024
	s_waitcnt lgkmcnt(0)
	s_barrier
	buffer_gl0_inv
	ds_load_b128 v[78:81], v75
	ds_load_b128 v[82:85], v75 offset:16
	ds_load_b128 v[86:89], v75 offset:1024
	;; [unrolled: 1-line block ×3, first 2 shown]
	v_cmp_eq_u32_e64 s10, 1, v69
	v_cmp_eq_u32_e64 s15, 2, v69
	v_cmp_eq_u32_e64 s17, 3, v69
	v_cmp_eq_u32_e64 s21, 4, v69
	v_cmp_eq_u32_e64 s23, 5, v69
	v_cmp_eq_u32_e64 s7, 6, v70
	v_cmp_eq_u32_e64 s26, 6, v69
	v_cmp_eq_u32_e64 s29, 7, v71
	v_cmp_eq_u32_e64 s30, 7, v72
	v_cmp_eq_u32_e64 s8, 7, v70
	v_cmp_eq_u32_e64 s28, 7, v69
	s_waitcnt lgkmcnt(3)
	v_lshrrev_b32_e32 v94, 16, v78
	s_waitcnt lgkmcnt(2)
	v_lshrrev_b32_e32 v98, 16, v82
	;; [unrolled: 2-line block ×4, first 2 shown]
	v_lshrrev_b32_e32 v95, 16, v79
	v_cndmask_b32_e64 v110, v78, v94, s4
	v_cndmask_b32_e64 v111, v82, v98, s4
	v_cndmask_b32_e64 v112, v78, v94, s9
	v_cndmask_b32_e64 v113, v82, v98, s9
	v_cndmask_b32_e64 v114, v78, v94, s10
	v_cndmask_b32_e64 v115, v82, v98, s10
	v_cndmask_b32_e64 v78, v78, v94, s11
	v_cndmask_b32_e64 v82, v82, v98, s11
	v_lshrrev_b32_e32 v99, 16, v83
	v_cndmask_b32_e64 v94, v86, v102, s4
	v_cndmask_b32_e64 v98, v90, v106, s4
	;; [unrolled: 1-line block ×15, first 2 shown]
	v_lshrrev_b32_e32 v103, 16, v87
	v_lshrrev_b32_e32 v107, 16, v91
	v_cndmask_b32_e64 v113, v115, v83, s15
	v_cndmask_b32_e64 v82, v94, v87, s5
	;; [unrolled: 1-line block ×7, first 2 shown]
	v_cndmask_b32_e32 v90, v102, v95, vcc_lo
	v_cndmask_b32_e32 v102, v106, v99, vcc_lo
	v_cndmask_b32_e64 v106, v110, v95, s13
	v_cndmask_b32_e64 v110, v111, v99, s13
	;; [unrolled: 1-line block ×4, first 2 shown]
	v_lshrrev_b32_e32 v96, 16, v80
	v_lshrrev_b32_e32 v100, 16, v84
	v_cndmask_b32_e64 v111, v112, v95, s17
	v_cndmask_b32_e64 v112, v113, v99, s17
	v_cndmask_b32_e32 v82, v82, v103, vcc_lo
	v_cndmask_b32_e32 v83, v83, v107, vcc_lo
	v_cndmask_b32_e64 v94, v94, v103, s13
	v_cndmask_b32_e64 v90, v90, v80, s3
	v_cndmask_b32_e64 v95, v102, v84, s3
	v_cndmask_b32_e64 v99, v106, v80, s19
	v_cndmask_b32_e64 v102, v110, v84, s19
	v_cndmask_b32_e64 v78, v78, v80, s22
	v_cndmask_b32_e64 v79, v79, v84, s22
	v_lshrrev_b32_e32 v104, 16, v88
	v_cndmask_b32_e64 v106, v111, v80, s21
	v_cndmask_b32_e64 v110, v112, v84, s21
	;; [unrolled: 1-line block ×11, first 2 shown]
	v_lshrrev_b32_e32 v97, 16, v81
	v_lshrrev_b32_e32 v101, 16, v85
	v_cndmask_b32_e64 v99, v106, v96, s23
	v_cndmask_b32_e64 v102, v110, v100, s23
	;; [unrolled: 1-line block ×7, first 2 shown]
	v_lshrrev_b32_e32 v105, 16, v89
	v_cndmask_b32_e64 v80, v80, v104, s6
	v_cndmask_b32_e64 v84, v84, v81, s7
	;; [unrolled: 1-line block ×16, first 2 shown]
	v_perm_b32 v81, v79, v78, 0x5040100
	v_perm_b32 v79, v95, v85, 0x5040100
	v_cndmask_b32_e64 v78, v119, v91, s15
	v_cndmask_b32_e64 v85, v117, v91, s12
	;; [unrolled: 1-line block ×3, first 2 shown]
	v_perm_b32 v80, v94, v90, 0x5040100
	v_cndmask_b32_e64 v90, v98, v103, s17
	v_cndmask_b32_e64 v86, v86, v103, s18
	;; [unrolled: 1-line block ×5, first 2 shown]
	v_lshrrev_b32_e32 v108, 16, v92
	v_cndmask_b32_e64 v90, v90, v88, s21
	v_cndmask_b32_e64 v86, v86, v88, s22
	v_cndmask_b32_e64 v87, v87, v92, s22
	v_cndmask_b32_e64 v78, v78, v92, s21
	v_cndmask_b32_e64 v85, v85, v92, s19
	v_cndmask_b32_e64 v82, v82, v108, s6
	v_cndmask_b32_e64 v88, v90, v104, s23
	v_cndmask_b32_e64 v86, v86, v104, s24
	v_cndmask_b32_e64 v87, v87, v108, s24
	v_cndmask_b32_e64 v78, v78, v108, s23
	v_cndmask_b32_e64 v85, v85, v108, s20
	v_lshrrev_b32_e32 v109, 16, v93
	v_cndmask_b32_e64 v82, v82, v93, s7
	v_cndmask_b32_e64 v88, v88, v89, s26
	v_cndmask_b32_e64 v86, v86, v89, s27
	v_cndmask_b32_e64 v87, v87, v93, s27
	v_cndmask_b32_e64 v78, v78, v93, s26
	v_cndmask_b32_e64 v85, v85, v93, s25
	v_cndmask_b32_e64 v88, v88, v105, s28
	v_cndmask_b32_e64 v86, v86, v105, s29
	v_cndmask_b32_e64 v87, v87, v109, s29
	v_cndmask_b32_e64 v89, v78, v109, s28
	v_cndmask_b32_e64 v90, v85, v109, s30
	v_cndmask_b32_e64 v82, v82, v109, s8
	v_perm_b32 v78, v84, v83, 0x5040100
	v_perm_b32 v85, v87, v86, 0x5040100
	v_perm_b32 v84, v89, v88, 0x5040100
	v_perm_b32 v83, v90, v97, 0x5040100
	v_perm_b32 v82, v82, v96, 0x5040100
	s_mul_i32 s8, s33, 3
	s_mov_b32 s3, exec_lo
	ds_store_b128 v74, v[78:81]
	ds_store_b128 v74, v[82:85] offset:1024
	v_cmpx_gt_u32_e32 3, v0
	s_cbranch_execz .LBB968_14
; %bb.13:
	s_mul_i32 s4, s8, s34
	s_delay_alu instid0(SALU_CYCLE_1) | instskip(SKIP_1) | instid1(VALU_DEP_1)
	v_add3_u32 v68, s4, s31, v68
	s_load_b128 s[4:7], s[0:1], 0x58
	v_mad_u64_u32 v[78:79], null, v68, s35, s[14:15]
	s_delay_alu instid0(VALU_DEP_1) | instskip(NEXT) | instid1(VALU_DEP_1)
	v_ashrrev_i32_e32 v79, 31, v78
	v_lshlrev_b64 v[78:79], 2, v[78:79]
	s_waitcnt lgkmcnt(0)
	s_delay_alu instid0(VALU_DEP_1) | instskip(NEXT) | instid1(VALU_DEP_2)
	v_add_co_u32 v80, vcc_lo, s6, v78
	v_add_co_ci_u32_e32 v81, vcc_lo, s7, v79, vcc_lo
	v_add_co_u32 v78, vcc_lo, s4, v78
	v_add_co_ci_u32_e32 v79, vcc_lo, s5, v79, vcc_lo
	global_store_b32 v[80:81], v76, off
	global_store_b32 v[78:79], v77, off
.LBB968_14:
	s_or_b32 exec_lo, exec_lo, s3
	s_waitcnt lgkmcnt(0)
	s_waitcnt_vscnt null, 0x0
	s_barrier
	buffer_gl0_inv
	ds_load_b128 v[84:87], v73
	ds_load_b128 v[88:91], v73 offset:16
	ds_load_b128 v[96:99], v73 offset:2064
	;; [unrolled: 1-line block ×5, first 2 shown]
	v_cmp_eq_u32_e32 vcc_lo, 1, v70
	v_mov_b32_e32 v76, 0
	ds_load_b128 v[112:115], v73 offset:6160
	ds_load_b128 v[108:111], v73 offset:6144
	;; [unrolled: 1-line block ×4, first 2 shown]
	v_cmp_eq_u32_e64 s4, 1, v69
	v_cmp_eq_u32_e64 s3, 1, v72
	v_cmp_eq_u32_e64 s5, 2, v72
	v_mov_b32_e32 v77, v76
	v_mov_b32_e32 v78, v76
	;; [unrolled: 1-line block ×7, first 2 shown]
	v_cmp_eq_u32_e64 s6, 3, v72
	v_cmp_eq_u32_e64 s7, 7, v72
	s_waitcnt lgkmcnt(8)
	s_delay_alu instid0(VALU_DEP_3)
	v_wmma_f32_16x16x16_f16 v[76:83], v[49:56], v[84:91], v[76:83]
	ds_load_b128 v[53:56], v73 offset:10256
	ds_load_b128 v[49:52], v73 offset:10240
	s_waitcnt lgkmcnt(8)
	v_wmma_f32_16x16x16_f16 v[76:83], v[41:48], v[92:99], v[76:83]
	ds_load_b128 v[45:48], v73 offset:12304
	ds_load_b128 v[41:44], v73 offset:12288
	s_waitcnt lgkmcnt(8)
	;; [unrolled: 4-line block ×3, first 2 shown]
	s_barrier
	buffer_gl0_inv
	v_wmma_f32_16x16x16_f16 v[76:83], v[1:8], v[108:115], v[76:83]
	s_delay_alu instid0(VALU_DEP_1) | instskip(NEXT) | instid1(VALU_DEP_1)
	v_wmma_f32_16x16x16_f16 v[76:83], v[9:16], v[116:123], v[76:83]
	v_wmma_f32_16x16x16_f16 v[76:83], v[17:24], v[49:56], v[76:83]
	s_delay_alu instid0(VALU_DEP_1) | instskip(NEXT) | instid1(VALU_DEP_1)
	v_wmma_f32_16x16x16_f16 v[76:83], v[25:32], v[41:48], v[76:83]
	v_wmma_f32_16x16x16_f16 v[76:83], v[57:64], v[33:40], v[76:83]
	s_delay_alu instid0(VALU_DEP_1) | instskip(NEXT) | instid1(VALU_DEP_2)
	v_cvt_f16_f32_e32 v1, v76
	v_cvt_f16_f32_e32 v2, v77
	s_delay_alu instid0(VALU_DEP_3) | instskip(NEXT) | instid1(VALU_DEP_4)
	v_cvt_f16_f32_e32 v3, v78
	v_cvt_f16_f32_e32 v4, v79
	v_cvt_f16_f32_e32 v5, v80
	v_cvt_f16_f32_e32 v6, v81
	v_cvt_f16_f32_e32 v7, v82
	v_cvt_f16_f32_e32 v8, v83
	v_pack_b32_f16 v1, v1, v2
	v_pack_b32_f16 v2, v3, v4
	;; [unrolled: 1-line block ×3, first 2 shown]
	s_delay_alu instid0(VALU_DEP_4)
	v_pack_b32_f16 v4, v7, v8
	ds_store_b128 v74, v[1:4]
	s_waitcnt lgkmcnt(0)
	s_barrier
	buffer_gl0_inv
	ds_load_b128 v[1:4], v75
	ds_load_b128 v[5:8], v75 offset:16
	s_waitcnt lgkmcnt(1)
	v_lshrrev_b32_e32 v9, 16, v1
	s_waitcnt lgkmcnt(0)
	v_lshrrev_b32_e32 v13, 16, v5
	v_lshrrev_b32_e32 v10, 16, v2
	;; [unrolled: 1-line block ×4, first 2 shown]
	v_cndmask_b32_e32 v17, v1, v9, vcc_lo
	v_cndmask_b32_e32 v18, v5, v13, vcc_lo
	v_cndmask_b32_e64 v21, v1, v9, s4
	v_cmp_eq_u32_e32 vcc_lo, 1, v71
	v_cndmask_b32_e64 v22, v5, v13, s4
	v_cmp_eq_u32_e64 s4, 2, v70
	v_cndmask_b32_e64 v19, v1, v9, s3
	v_cndmask_b32_e64 v20, v5, v13, s3
	v_cndmask_b32_e32 v1, v1, v9, vcc_lo
	v_cmp_eq_u32_e64 s3, 2, v71
	v_cndmask_b32_e32 v5, v5, v13, vcc_lo
	v_cndmask_b32_e64 v9, v17, v2, s4
	v_cmp_eq_u32_e32 vcc_lo, 3, v70
	v_cndmask_b32_e64 v13, v18, v6, s4
	v_cmp_eq_u32_e64 s4, 2, v69
	v_cndmask_b32_e64 v17, v19, v2, s5
	v_cndmask_b32_e64 v18, v20, v6, s5
	v_cmp_eq_u32_e64 s5, 3, v69
	v_cndmask_b32_e64 v1, v1, v2, s3
	v_cndmask_b32_e64 v19, v21, v2, s4
	;; [unrolled: 1-line block ×4, first 2 shown]
	v_cndmask_b32_e32 v5, v9, v10, vcc_lo
	v_cndmask_b32_e32 v6, v13, v14, vcc_lo
	v_cmp_eq_u32_e32 vcc_lo, 3, v71
	v_cndmask_b32_e64 v9, v17, v10, s6
	v_cndmask_b32_e64 v13, v18, v14, s6
	;; [unrolled: 1-line block ×3, first 2 shown]
	v_cmp_eq_u32_e64 s4, 4, v70
	v_cndmask_b32_e32 v1, v1, v10, vcc_lo
	v_cndmask_b32_e32 v2, v2, v14, vcc_lo
	v_cmp_eq_u32_e32 vcc_lo, 4, v72
	v_lshrrev_b32_e32 v15, 16, v7
	v_lshrrev_b32_e32 v16, 16, v8
	v_cndmask_b32_e64 v17, v19, v10, s5
	v_cmp_eq_u32_e64 s3, 4, v71
	v_cndmask_b32_e64 v5, v5, v3, s4
	v_cndmask_b32_e64 v6, v6, v7, s4
	v_cndmask_b32_e32 v9, v9, v3, vcc_lo
	v_cmp_eq_u32_e64 s4, 5, v72
	v_cndmask_b32_e32 v10, v13, v7, vcc_lo
	v_cmp_eq_u32_e32 vcc_lo, 4, v69
	v_cmp_eq_u32_e64 s5, 5, v70
	v_cndmask_b32_e64 v2, v2, v7, s3
	v_cndmask_b32_e64 v9, v9, v11, s4
	;; [unrolled: 1-line block ×3, first 2 shown]
	v_cndmask_b32_e32 v13, v17, v3, vcc_lo
	v_cmp_eq_u32_e64 s4, 5, v69
	v_cndmask_b32_e32 v14, v18, v7, vcc_lo
	v_cndmask_b32_e64 v1, v1, v3, s3
	v_cmp_eq_u32_e32 vcc_lo, 5, v71
	v_lshrrev_b32_e32 v12, 16, v4
	v_cndmask_b32_e64 v13, v13, v11, s4
	v_cndmask_b32_e64 v3, v14, v15, s4
	v_cmp_eq_u32_e64 s4, 6, v71
	v_cndmask_b32_e32 v1, v1, v11, vcc_lo
	v_cndmask_b32_e64 v5, v5, v11, s5
	v_cmp_eq_u32_e64 s6, 6, v70
	v_cndmask_b32_e64 v6, v6, v15, s5
	v_cmp_eq_u32_e64 s5, 6, v72
	v_cmp_eq_u32_e64 s3, 6, v69
	v_cndmask_b32_e64 v1, v1, v4, s4
	v_cndmask_b32_e32 v2, v2, v15, vcc_lo
	v_cmp_eq_u32_e32 vcc_lo, 7, v71
	v_cndmask_b32_e64 v5, v5, v4, s6
	v_cndmask_b32_e64 v9, v9, v4, s5
	;; [unrolled: 1-line block ×3, first 2 shown]
	v_cmp_eq_u32_e64 s6, 7, v70
	v_cndmask_b32_e32 v1, v1, v12, vcc_lo
	v_cndmask_b32_e64 v7, v13, v4, s3
	v_cndmask_b32_e64 v3, v3, v8, s3
	;; [unrolled: 1-line block ×3, first 2 shown]
	v_cmp_eq_u32_e64 s3, 7, v69
	v_cndmask_b32_e64 v4, v10, v8, s5
	v_cndmask_b32_e64 v5, v5, v12, s6
	;; [unrolled: 1-line block ×3, first 2 shown]
	v_cndmask_b32_e32 v2, v2, v16, vcc_lo
	v_cndmask_b32_e64 v7, v7, v12, s3
	v_cndmask_b32_e64 v3, v3, v16, s3
	;; [unrolled: 1-line block ×4, first 2 shown]
	v_perm_b32 v4, v2, v1, 0x5040100
	s_mov_b32 s3, exec_lo
	v_perm_b32 v3, v3, v7, 0x5040100
	v_perm_b32 v2, v8, v9, 0x5040100
	;; [unrolled: 1-line block ×3, first 2 shown]
	ds_store_b128 v74, v[1:4]
	s_waitcnt lgkmcnt(0)
	s_barrier
	buffer_gl0_inv
	v_cmpx_gt_u32_e32 32, v0
	s_cbranch_execz .LBB968_2
; %bb.15:
	s_load_b64 s[4:5], s[0:1], 0x68
	v_lshlrev_b32_e32 v0, 10, v0
	v_lshlrev_b32_e32 v2, 4, v67
	v_add_nc_u32_e32 v1, s31, v66
	s_lshl_b32 s0, s35, 7
	s_delay_alu instid0(SALU_CYCLE_1) | instskip(NEXT) | instid1(VALU_DEP_2)
	s_mul_i32 s1, s0, s34
	v_and_or_b32 v0, 0x3800, v0, v2
	s_mul_i32 s6, s1, s8
	v_mul_lo_u32 v1, v1, s0
	s_ashr_i32 s7, s6, 31
	s_delay_alu instid0(VALU_DEP_2) | instskip(SKIP_1) | instid1(VALU_DEP_2)
	v_lshl_or_b32 v3, v66, 6, v0
	s_lshl_b64 s[6:7], s[6:7], 1
	v_ashrrev_i32_e32 v2, 31, v1
	ds_load_b128 v[3:6], v3
	s_waitcnt lgkmcnt(0)
	s_add_u32 s1, s4, s6
	s_addc_u32 s3, s5, s7
	s_lshl_b32 s4, s14, 7
	v_lshlrev_b64 v[7:8], 1, v[1:2]
	s_ashr_i32 s5, s4, 31
	s_delay_alu instid0(SALU_CYCLE_1) | instskip(NEXT) | instid1(SALU_CYCLE_1)
	s_lshl_b64 s[4:5], s[4:5], 1
	s_add_u32 s1, s1, s4
	s_addc_u32 s3, s3, s5
	v_add_co_u32 v1, s1, s1, v65
	s_delay_alu instid0(VALU_DEP_1) | instskip(NEXT) | instid1(VALU_DEP_2)
	v_add_co_ci_u32_e64 v2, null, s3, 0, s1
	v_add_co_u32 v7, vcc_lo, v1, v7
	s_delay_alu instid0(VALU_DEP_2)
	v_add_co_ci_u32_e32 v8, vcc_lo, v2, v8, vcc_lo
	global_store_b128 v[7:8], v[3:6], off
	s_and_b32 exec_lo, exec_lo, s2
	s_cbranch_execz .LBB968_2
; %bb.16:
	ds_load_b128 v[3:6], v0 offset:128
	s_add_i32 s1, s31, 2
	s_delay_alu instid0(SALU_CYCLE_1) | instskip(NEXT) | instid1(SALU_CYCLE_1)
	s_mul_i32 s0, s1, s0
	s_ashr_i32 s1, s0, 31
	s_delay_alu instid0(SALU_CYCLE_1) | instskip(NEXT) | instid1(SALU_CYCLE_1)
	s_lshl_b64 s[0:1], s[0:1], 1
	v_add_co_u32 v0, vcc_lo, v1, s0
	v_add_co_ci_u32_e32 v1, vcc_lo, s1, v2, vcc_lo
	s_waitcnt lgkmcnt(0)
	global_store_b128 v[0:1], v[3:6], off
	s_nop 0
	s_sendmsg sendmsg(MSG_DEALLOC_VGPRS)
	s_endpgm
	.section	.rodata,"a",@progbits
	.p2align	6, 0x0
	.amdhsa_kernel _Z39paged_attention_ll4mi_QKV_mfma16_kernelIDF16_hLN4vllm18Fp8KVCacheDataTypeE1EhLi16ELi128ELi256ELb0ELi3EL8MFMAType1EEvPKT_PKT0_S8_ifPKiSA_SA_iPKfiiiPfSD_PS3_PT2_iSC_SC_
		.amdhsa_group_segment_fixed_size 17472
		.amdhsa_private_segment_fixed_size 0
		.amdhsa_kernarg_size 400
		.amdhsa_user_sgpr_count 13
		.amdhsa_user_sgpr_dispatch_ptr 0
		.amdhsa_user_sgpr_queue_ptr 0
		.amdhsa_user_sgpr_kernarg_segment_ptr 1
		.amdhsa_user_sgpr_dispatch_id 0
		.amdhsa_user_sgpr_private_segment_size 0
		.amdhsa_wavefront_size32 1
		.amdhsa_uses_dynamic_stack 0
		.amdhsa_enable_private_segment 0
		.amdhsa_system_sgpr_workgroup_id_x 1
		.amdhsa_system_sgpr_workgroup_id_y 1
		.amdhsa_system_sgpr_workgroup_id_z 1
		.amdhsa_system_sgpr_workgroup_info 0
		.amdhsa_system_vgpr_workitem_id 0
		.amdhsa_next_free_vgpr 150
		.amdhsa_next_free_sgpr 36
		.amdhsa_reserve_vcc 1
		.amdhsa_float_round_mode_32 0
		.amdhsa_float_round_mode_16_64 0
		.amdhsa_float_denorm_mode_32 3
		.amdhsa_float_denorm_mode_16_64 3
		.amdhsa_dx10_clamp 1
		.amdhsa_ieee_mode 1
		.amdhsa_fp16_overflow 0
		.amdhsa_workgroup_processor_mode 1
		.amdhsa_memory_ordered 1
		.amdhsa_forward_progress 0
		.amdhsa_shared_vgpr_count 0
		.amdhsa_exception_fp_ieee_invalid_op 0
		.amdhsa_exception_fp_denorm_src 0
		.amdhsa_exception_fp_ieee_div_zero 0
		.amdhsa_exception_fp_ieee_overflow 0
		.amdhsa_exception_fp_ieee_underflow 0
		.amdhsa_exception_fp_ieee_inexact 0
		.amdhsa_exception_int_div_zero 0
	.end_amdhsa_kernel
	.section	.text._Z39paged_attention_ll4mi_QKV_mfma16_kernelIDF16_hLN4vllm18Fp8KVCacheDataTypeE1EhLi16ELi128ELi256ELb0ELi3EL8MFMAType1EEvPKT_PKT0_S8_ifPKiSA_SA_iPKfiiiPfSD_PS3_PT2_iSC_SC_,"axG",@progbits,_Z39paged_attention_ll4mi_QKV_mfma16_kernelIDF16_hLN4vllm18Fp8KVCacheDataTypeE1EhLi16ELi128ELi256ELb0ELi3EL8MFMAType1EEvPKT_PKT0_S8_ifPKiSA_SA_iPKfiiiPfSD_PS3_PT2_iSC_SC_,comdat
.Lfunc_end968:
	.size	_Z39paged_attention_ll4mi_QKV_mfma16_kernelIDF16_hLN4vllm18Fp8KVCacheDataTypeE1EhLi16ELi128ELi256ELb0ELi3EL8MFMAType1EEvPKT_PKT0_S8_ifPKiSA_SA_iPKfiiiPfSD_PS3_PT2_iSC_SC_, .Lfunc_end968-_Z39paged_attention_ll4mi_QKV_mfma16_kernelIDF16_hLN4vllm18Fp8KVCacheDataTypeE1EhLi16ELi128ELi256ELb0ELi3EL8MFMAType1EEvPKT_PKT0_S8_ifPKiSA_SA_iPKfiiiPfSD_PS3_PT2_iSC_SC_
                                        ; -- End function
	.section	.AMDGPU.csdata,"",@progbits
; Kernel info:
; codeLenInByte = 6588
; NumSgprs: 38
; NumVgprs: 150
; ScratchSize: 0
; MemoryBound: 0
; FloatMode: 240
; IeeeMode: 1
; LDSByteSize: 17472 bytes/workgroup (compile time only)
; SGPRBlocks: 4
; VGPRBlocks: 18
; NumSGPRsForWavesPerEU: 38
; NumVGPRsForWavesPerEU: 150
; Occupancy: 9
; WaveLimiterHint : 1
; COMPUTE_PGM_RSRC2:SCRATCH_EN: 0
; COMPUTE_PGM_RSRC2:USER_SGPR: 13
; COMPUTE_PGM_RSRC2:TRAP_HANDLER: 0
; COMPUTE_PGM_RSRC2:TGID_X_EN: 1
; COMPUTE_PGM_RSRC2:TGID_Y_EN: 1
; COMPUTE_PGM_RSRC2:TGID_Z_EN: 1
; COMPUTE_PGM_RSRC2:TIDIG_COMP_CNT: 0
	.section	.text._Z39paged_attention_ll4mi_QKV_mfma16_kernelIDF16_hLN4vllm18Fp8KVCacheDataTypeE1EhLi16ELi128ELi256ELb0ELi4EL8MFMAType1EEvPKT_PKT0_S8_ifPKiSA_SA_iPKfiiiPfSD_PS3_PT2_iSC_SC_,"axG",@progbits,_Z39paged_attention_ll4mi_QKV_mfma16_kernelIDF16_hLN4vllm18Fp8KVCacheDataTypeE1EhLi16ELi128ELi256ELb0ELi4EL8MFMAType1EEvPKT_PKT0_S8_ifPKiSA_SA_iPKfiiiPfSD_PS3_PT2_iSC_SC_,comdat
	.protected	_Z39paged_attention_ll4mi_QKV_mfma16_kernelIDF16_hLN4vllm18Fp8KVCacheDataTypeE1EhLi16ELi128ELi256ELb0ELi4EL8MFMAType1EEvPKT_PKT0_S8_ifPKiSA_SA_iPKfiiiPfSD_PS3_PT2_iSC_SC_ ; -- Begin function _Z39paged_attention_ll4mi_QKV_mfma16_kernelIDF16_hLN4vllm18Fp8KVCacheDataTypeE1EhLi16ELi128ELi256ELb0ELi4EL8MFMAType1EEvPKT_PKT0_S8_ifPKiSA_SA_iPKfiiiPfSD_PS3_PT2_iSC_SC_
	.globl	_Z39paged_attention_ll4mi_QKV_mfma16_kernelIDF16_hLN4vllm18Fp8KVCacheDataTypeE1EhLi16ELi128ELi256ELb0ELi4EL8MFMAType1EEvPKT_PKT0_S8_ifPKiSA_SA_iPKfiiiPfSD_PS3_PT2_iSC_SC_
	.p2align	8
	.type	_Z39paged_attention_ll4mi_QKV_mfma16_kernelIDF16_hLN4vllm18Fp8KVCacheDataTypeE1EhLi16ELi128ELi256ELb0ELi4EL8MFMAType1EEvPKT_PKT0_S8_ifPKiSA_SA_iPKfiiiPfSD_PS3_PT2_iSC_SC_,@function
_Z39paged_attention_ll4mi_QKV_mfma16_kernelIDF16_hLN4vllm18Fp8KVCacheDataTypeE1EhLi16ELi128ELi256ELb0ELi4EL8MFMAType1EEvPKT_PKT0_S8_ifPKiSA_SA_iPKfiiiPfSD_PS3_PT2_iSC_SC_: ; @_Z39paged_attention_ll4mi_QKV_mfma16_kernelIDF16_hLN4vllm18Fp8KVCacheDataTypeE1EhLi16ELi128ELi256ELb0ELi4EL8MFMAType1EEvPKT_PKT0_S8_ifPKiSA_SA_iPKfiiiPfSD_PS3_PT2_iSC_SC_
; %bb.0:
	s_load_b64 s[4:5], s[0:1], 0x30
	s_mov_b32 s30, s13
	s_waitcnt lgkmcnt(0)
	s_cmp_lg_u64 s[4:5], 0
	s_cselect_b32 s13, -1, 0
	s_ashr_i32 s31, s30, 31
	s_cmp_eq_u64 s[4:5], 0
	s_cbranch_scc1 .LBB969_3
; %bb.1:
	s_lshl_b64 s[2:3], s[30:31], 2
	s_delay_alu instid0(SALU_CYCLE_1) | instskip(SKIP_4) | instid1(SALU_CYCLE_1)
	s_add_u32 s2, s4, s2
	s_addc_u32 s3, s5, s3
	s_load_b64 s[2:3], s[2:3], 0x0
	s_waitcnt lgkmcnt(0)
	s_sub_i32 s2, s3, s2
	s_cmp_eq_u32 s2, 1
	s_cselect_b32 s2, -1, 0
	s_delay_alu instid0(SALU_CYCLE_1)
	s_and_not1_b32 vcc_lo, exec_lo, s2
	s_cbranch_vccz .LBB969_4
.LBB969_2:
	s_endpgm
.LBB969_3:
.LBB969_4:
	s_load_b64 s[2:3], s[0:1], 0x28
	s_lshl_b64 s[6:7], s[30:31], 2
	s_waitcnt lgkmcnt(0)
	s_add_u32 s2, s2, s6
	s_addc_u32 s3, s3, s7
	s_lshl_b32 s12, s14, 8
	s_load_b32 s17, s[2:3], 0x0
	s_waitcnt lgkmcnt(0)
	s_cmp_ge_i32 s12, s17
	s_cbranch_scc1 .LBB969_2
; %bb.5:
	s_clause 0x1
	s_load_b128 s[8:11], s[0:1], 0x8
	s_load_b64 s[2:3], s[0:1], 0x20
	s_and_not1_b32 vcc_lo, exec_lo, s13
	s_cbranch_vccnz .LBB969_7
; %bb.6:
	s_add_u32 s4, s4, s6
	s_addc_u32 s5, s5, s7
	s_load_b32 s13, s[4:5], 0x0
	s_branch .LBB969_8
.LBB969_7:
	s_mov_b32 s13, s30
.LBB969_8:
	s_load_b128 s[4:7], s[0:1], 0x48
	v_and_b32_e32 v69, 15, v0
	v_lshrrev_b32_e32 v68, 5, v0
	v_and_b32_e32 v70, 31, v0
	v_and_b32_e32 v67, 1, v0
	v_bfe_u32 v66, v0, 4, 1
	v_lshlrev_b32_e32 v1, 3, v69
	s_lshl_b32 s31, s15, 2
	s_waitcnt lgkmcnt(0)
	s_mov_b32 s7, exec_lo
	s_delay_alu instid0(VALU_DEP_1)
	v_lshlrev_b32_e32 v65, 1, v1
	v_cmpx_gt_u32_e32 64, v0
	s_cbranch_execz .LBB969_10
; %bb.9:
	v_lshl_or_b32 v5, v68, 1, v66
	s_load_b64 s[18:19], s[0:1], 0x0
	s_mul_hi_i32 s21, s13, s4
	s_mul_i32 s20, s13, s4
	v_lshlrev_b32_e32 v6, 10, v69
	v_or_b32_e32 v1, s31, v5
	s_lshl_b64 s[20:21], s[20:21], 1
	v_lshlrev_b32_e32 v5, 6, v5
	v_lshlrev_b32_e32 v7, 10, v67
	v_and_b32_e32 v6, 0x3800, v6
	v_lshlrev_b32_e32 v1, 7, v1
	s_delay_alu instid0(VALU_DEP_2) | instskip(NEXT) | instid1(VALU_DEP_2)
	v_or3_b32 v5, v6, v7, v5
	v_ashrrev_i32_e32 v2, 31, v1
	s_delay_alu instid0(VALU_DEP_1) | instskip(SKIP_3) | instid1(VALU_DEP_1)
	v_lshlrev_b64 v[1:2], 1, v[1:2]
	s_waitcnt lgkmcnt(0)
	s_add_u32 s4, s18, s20
	s_addc_u32 s13, s19, s21
	v_add_co_u32 v1, vcc_lo, s4, v1
	s_delay_alu instid0(VALU_DEP_2) | instskip(NEXT) | instid1(VALU_DEP_2)
	v_add_co_ci_u32_e32 v2, vcc_lo, s13, v2, vcc_lo
	v_add_co_u32 v1, vcc_lo, v1, v65
	s_delay_alu instid0(VALU_DEP_2)
	v_add_co_ci_u32_e32 v2, vcc_lo, 0, v2, vcc_lo
	global_load_b128 v[1:4], v[1:2], off
	s_waitcnt vmcnt(0)
	ds_store_b128 v5, v[1:4]
.LBB969_10:
	s_or_b32 exec_lo, exec_lo, s7
	v_and_b32_e32 v1, 0xef, v0
	s_add_i32 s4, s17, 15
	s_clause 0x1
	s_load_b32 s7, s[0:1], 0x38
	s_load_b32 s33, s[0:1], 0x98
	s_ashr_i32 s13, s4, 31
	v_add_nc_u32_e32 v1, s12, v1
	s_lshr_b32 s13, s13, 28
	s_load_b32 s18, s[0:1], 0x1c
	s_add_i32 s4, s4, s13
	s_waitcnt lgkmcnt(0)
	v_ashrrev_i32_e32 v2, 31, v1
	v_or_b32_e32 v3, 16, v1
	s_ashr_i32 s4, s4, 4
	v_cmp_gt_i32_e32 vcc_lo, s17, v1
	s_add_i32 s4, s4, -1
	v_lshrrev_b32_e32 v2, 28, v2
	s_barrier
	buffer_gl0_inv
	s_mul_i32 s15, s15, s6
	v_add_nc_u32_e32 v4, v1, v2
	s_mul_i32 s20, s30, s7
	s_delay_alu instid0(SALU_CYCLE_1) | instskip(NEXT) | instid1(VALU_DEP_1)
	s_ashr_i32 s21, s20, 31
	v_ashrrev_i32_e32 v4, 4, v4
	v_add_nc_u32_e32 v2, v3, v2
	s_lshl_b64 s[20:21], s[20:21], 2
	s_delay_alu instid0(SALU_CYCLE_1) | instskip(NEXT) | instid1(VALU_DEP_2)
	s_add_u32 s13, s2, s20
	v_cndmask_b32_e32 v1, s4, v4, vcc_lo
	s_delay_alu instid0(VALU_DEP_2)
	v_ashrrev_i32_e32 v2, 4, v2
	v_cmp_gt_i32_e32 vcc_lo, s17, v3
	s_addc_u32 s16, s3, s21
	s_ashr_i32 s19, s15, 31
	s_add_u32 s26, s8, s15
	s_addc_u32 s27, s9, s19
	v_cndmask_b32_e32 v3, s4, v2, vcc_lo
	v_ashrrev_i32_e32 v2, 31, v1
	s_lshl_b32 s2, s14, 4
	s_delay_alu instid0(SALU_CYCLE_1) | instskip(NEXT) | instid1(VALU_DEP_2)
	s_ashr_i32 s3, s2, 31
	v_ashrrev_i32_e32 v4, 31, v3
	s_delay_alu instid0(VALU_DEP_2) | instskip(SKIP_1) | instid1(SALU_CYCLE_1)
	v_lshlrev_b64 v[1:2], 2, v[1:2]
	s_lshl_b64 s[2:3], s[2:3], 2
	s_add_u32 s2, s13, s2
	s_delay_alu instid0(VALU_DEP_2) | instskip(SKIP_1) | instid1(VALU_DEP_2)
	v_lshlrev_b64 v[3:4], 2, v[3:4]
	s_addc_u32 s3, s16, s3
	v_add_co_u32 v1, vcc_lo, s13, v1
	v_add_co_ci_u32_e32 v2, vcc_lo, s16, v2, vcc_lo
	s_delay_alu instid0(VALU_DEP_3) | instskip(NEXT) | instid1(VALU_DEP_4)
	v_add_co_u32 v3, vcc_lo, s13, v3
	v_add_co_ci_u32_e32 v4, vcc_lo, s16, v4, vcc_lo
	s_clause 0x1
	global_load_b32 v5, v[1:2], off
	global_load_b32 v3, v[3:4], off
	s_or_b32 s6, s12, 32
	s_delay_alu instid0(SALU_CYCLE_1) | instskip(SKIP_2) | instid1(SALU_CYCLE_1)
	s_ashr_i32 s7, s6, 4
	s_cmp_lt_i32 s6, s17
	s_cselect_b32 s6, s7, s4
	s_ashr_i32 s7, s6, 31
	s_delay_alu instid0(SALU_CYCLE_1) | instskip(NEXT) | instid1(SALU_CYCLE_1)
	s_lshl_b64 s[6:7], s[6:7], 2
	s_add_u32 s6, s13, s6
	s_addc_u32 s7, s16, s7
	s_or_b32 s8, s12, 64
	s_delay_alu instid0(SALU_CYCLE_1) | instskip(SKIP_2) | instid1(SALU_CYCLE_1)
	s_ashr_i32 s9, s8, 4
	s_cmp_lt_i32 s8, s17
	s_cselect_b32 s8, s9, s4
	s_ashr_i32 s9, s8, 31
	s_delay_alu instid0(SALU_CYCLE_1) | instskip(NEXT) | instid1(SALU_CYCLE_1)
	s_lshl_b64 s[8:9], s[8:9], 2
	s_add_u32 s8, s13, s8
	s_addc_u32 s9, s16, s9
	s_or_b32 s20, s12, 0x60
	s_delay_alu instid0(SALU_CYCLE_1) | instskip(SKIP_2) | instid1(SALU_CYCLE_1)
	s_ashr_i32 s21, s20, 4
	s_cmp_lt_i32 s20, s17
	s_cselect_b32 s20, s21, s4
	s_ashr_i32 s21, s20, 31
	s_delay_alu instid0(SALU_CYCLE_1) | instskip(NEXT) | instid1(SALU_CYCLE_1)
	s_lshl_b64 s[20:21], s[20:21], 2
	s_add_u32 s20, s13, s20
	s_addc_u32 s21, s16, s21
	s_or_b32 s22, s12, 0x80
	s_delay_alu instid0(SALU_CYCLE_1) | instskip(SKIP_2) | instid1(SALU_CYCLE_1)
	s_ashr_i32 s23, s22, 4
	s_cmp_lt_i32 s22, s17
	s_cselect_b32 s22, s23, s4
	s_ashr_i32 s23, s22, 31
	s_delay_alu instid0(SALU_CYCLE_1) | instskip(NEXT) | instid1(SALU_CYCLE_1)
	s_lshl_b64 s[22:23], s[22:23], 2
	s_add_u32 s22, s13, s22
	s_addc_u32 s23, s16, s23
	s_or_b32 s24, s12, 0xa0
	s_delay_alu instid0(SALU_CYCLE_1) | instskip(SKIP_2) | instid1(SALU_CYCLE_1)
	s_ashr_i32 s25, s24, 4
	s_cmp_lt_i32 s24, s17
	s_cselect_b32 s24, s25, s4
	s_ashr_i32 s25, s24, 31
	s_delay_alu instid0(SALU_CYCLE_1) | instskip(NEXT) | instid1(SALU_CYCLE_1)
	s_lshl_b64 s[24:25], s[24:25], 2
	s_add_u32 s24, s13, s24
	s_addc_u32 s25, s16, s25
	s_clause 0x5
	s_load_b32 s28, s[2:3], 0x0
	s_load_b32 s29, s[6:7], 0x0
	;; [unrolled: 1-line block ×6, first 2 shown]
	s_mov_b32 s20, 0
	s_or_b32 s2, s12, 0xc0
	s_mov_b32 s21, s20
	s_mov_b32 s22, s20
	;; [unrolled: 1-line block ×5, first 2 shown]
	v_lshlrev_b32_e32 v1, 4, v0
	s_ashr_i32 s3, s2, 4
	s_cmp_lt_i32 s2, s17
	s_cselect_b32 s2, s3, s4
	s_delay_alu instid0(VALU_DEP_1) | instskip(SKIP_1) | instid1(SALU_CYCLE_1)
	v_and_b32_e32 v1, 0xf0, v1
	s_ashr_i32 s3, s2, 31
	s_lshl_b64 s[2:3], s[2:3], 2
	s_delay_alu instid0(VALU_DEP_1) | instskip(NEXT) | instid1(VALU_DEP_1)
	v_add_co_u32 v1, s26, s26, v1
	v_add_co_ci_u32_e64 v2, null, s27, 0, s26
	s_add_u32 s2, s13, s2
	s_addc_u32 s3, s16, s3
	s_or_b32 s6, s12, 0xe0
	s_mov_b32 s27, s20
	s_ashr_i32 s7, s6, 4
	s_cmp_lt_i32 s6, s17
	s_mov_b32 s26, s20
	s_cselect_b32 s6, s7, s4
	v_mov_b32_e32 v102, s27
	v_mov_b32_e32 v96, s21
	s_ashr_i32 s7, s6, 31
	v_mov_b32_e32 v101, s26
	s_lshl_b64 s[6:7], s[6:7], 2
	v_dual_mov_b32 v100, s25 :: v_dual_mov_b32 v99, s24
	v_dual_mov_b32 v98, s23 :: v_dual_mov_b32 v97, s22
	v_mov_b32_e32 v95, s20
	s_waitcnt vmcnt(1)
	v_mad_i64_i32 v[33:34], null, v5, s5, v[1:2]
	s_waitcnt vmcnt(0)
	v_mad_i64_i32 v[35:36], null, v3, s5, v[1:2]
	s_clause 0xf
	global_load_b128 v[1:4], v[33:34], off
	global_load_b128 v[5:8], v[33:34], off offset:256
	global_load_b128 v[9:12], v[35:36], off
	global_load_b128 v[13:16], v[35:36], off offset:256
	global_load_b128 v[17:20], v[33:34], off offset:512
	;; [unrolled: 1-line block ×13, first 2 shown]
	v_and_b32_e32 v33, 3, v0
	v_lshlrev_b32_e32 v34, 4, v69
	s_delay_alu instid0(VALU_DEP_2) | instskip(NEXT) | instid1(VALU_DEP_2)
	v_lshlrev_b32_e32 v139, 6, v33
	v_lshl_or_b32 v41, v68, 8, v34
	ds_load_b128 v[33:36], v139
	ds_load_b128 v[37:40], v139 offset:1024
	ds_load_b128 v[103:106], v139 offset:2048
	;; [unrolled: 1-line block ×3, first 2 shown]
	s_load_b32 s4, s[2:3], 0x0
	s_add_u32 s2, s13, s6
	s_addc_u32 s3, s16, s7
	ds_load_b128 v[111:114], v139 offset:4096
	ds_load_b128 v[115:118], v139 offset:5120
	s_load_b32 s2, s[2:3], 0x0
	s_add_u32 s6, s10, s15
	s_addc_u32 s7, s11, s19
	v_add_co_u32 v127, s6, s6, v41
	s_delay_alu instid0(VALU_DEP_1) | instskip(SKIP_1) | instid1(VALU_DEP_1)
	v_add_co_ci_u32_e64 v128, null, s7, 0, s6
	s_waitcnt lgkmcnt(0)
	v_mad_i64_i32 v[41:42], null, s28, s5, v[127:128]
	v_mad_i64_i32 v[129:130], null, s8, s5, v[127:128]
	;; [unrolled: 1-line block ×7, first 2 shown]
	s_clause 0x3
	global_load_b128 v[49:52], v[41:42], off
	global_load_b128 v[53:56], v[41:42], off offset:16
	global_load_b128 v[41:44], v[45:46], off
	global_load_b128 v[45:48], v[45:46], off offset:16
	s_waitcnt vmcnt(18)
	v_wmma_f32_16x16x16_f16 v[119:126], v[1:8], v[33:40], v[95:102]
	s_waitcnt vmcnt(16)
	v_wmma_f32_16x16x16_f16 v[95:102], v[9:16], v[33:40], v[95:102]
	s_clause 0x3
	global_load_b128 v[33:36], v[129:130], off
	global_load_b128 v[37:40], v[129:130], off offset:16
	global_load_b128 v[1:4], v[131:132], off
	global_load_b128 v[5:8], v[131:132], off offset:16
	s_waitcnt vmcnt(18)
	v_wmma_f32_16x16x16_f16 v[119:126], v[17:24], v[103:110], v[119:126]
	s_clause 0x3
	global_load_b128 v[9:12], v[133:134], off
	global_load_b128 v[13:16], v[133:134], off offset:16
	global_load_b128 v[17:20], v[135:136], off
	global_load_b128 v[21:24], v[135:136], off offset:16
	s_waitcnt vmcnt(20)
	v_wmma_f32_16x16x16_f16 v[95:102], v[25:32], v[103:110], v[95:102]
	v_mad_i64_i32 v[103:104], null, s2, s5, v[127:128]
	s_waitcnt vmcnt(18)
	v_wmma_f32_16x16x16_f16 v[119:126], v[57:64], v[111:118], v[119:126]
	s_clause 0x1
	global_load_b128 v[25:28], v[137:138], off
	global_load_b128 v[29:32], v[137:138], off offset:16
	s_waitcnt vmcnt(18)
	v_wmma_f32_16x16x16_f16 v[95:102], v[71:78], v[111:118], v[95:102]
	s_clause 0x1
	global_load_b128 v[57:60], v[103:104], off
	global_load_b128 v[61:64], v[103:104], off offset:16
	ds_load_b128 v[71:74], v139 offset:6144
	ds_load_b128 v[75:78], v139 offset:7168
	v_mbcnt_lo_u32_b32 v104, -1, 0
	s_waitcnt vmcnt(0) lgkmcnt(0)
	s_barrier
	buffer_gl0_inv
	v_xor_b32_e32 v105, 16, v104
	s_delay_alu instid0(VALU_DEP_1) | instskip(SKIP_4) | instid1(VALU_DEP_2)
	v_cmp_gt_i32_e32 vcc_lo, 32, v105
	v_cndmask_b32_e32 v104, v104, v105, vcc_lo
	v_wmma_f32_16x16x16_f16 v[95:102], v[87:94], v[71:78], v[95:102]
	v_and_b32_e32 v103, 0xe0, v0
	v_wmma_f32_16x16x16_f16 v[119:126], v[79:86], v[71:78], v[119:126]
	v_dual_mul_f32 v90, s18, v101 :: v_dual_add_nc_u32 v103, s12, v103
	s_delay_alu instid0(VALU_DEP_2) | instskip(NEXT) | instid1(VALU_DEP_3)
	v_dual_mul_f32 v94, s18, v97 :: v_dual_mul_f32 v87, s18, v120
	v_dual_mul_f32 v88, s18, v119 :: v_dual_mul_f32 v77, s18, v122
	s_delay_alu instid0(VALU_DEP_3) | instskip(SKIP_3) | instid1(VALU_DEP_4)
	v_or_b32_e32 v103, v103, v66
	v_dual_mul_f32 v78, s18, v121 :: v_dual_mul_f32 v75, s18, v124
	v_dual_mul_f32 v76, s18, v123 :: v_dual_mul_f32 v73, s18, v126
	v_mul_f32_e32 v92, s18, v99
	v_or_b32_e32 v105, 2, v103
	v_or_b32_e32 v106, 4, v103
	;; [unrolled: 1-line block ×3, first 2 shown]
	v_cmp_gt_i32_e64 s2, s17, v103
	v_or_b32_e32 v108, 8, v103
	v_cmp_gt_i32_e32 vcc_lo, s17, v105
	v_or_b32_e32 v109, 10, v103
	v_cmp_gt_i32_e64 s3, s17, v106
	v_cndmask_b32_e64 v88, 0xff7fffff, v88, s2
	v_cmp_gt_i32_e64 s4, s17, v107
	v_cndmask_b32_e32 v87, 0xff7fffff, v87, vcc_lo
	v_or_b32_e32 v79, 12, v103
	v_or_b32_e32 v80, 14, v103
	v_cndmask_b32_e64 v78, 0xff7fffff, v78, s3
	v_cndmask_b32_e64 v77, 0xff7fffff, v77, s4
	v_max3_f32 v87, v88, 0xff7fffff, v87
	v_cmp_gt_i32_e64 s5, s17, v108
	v_cmp_gt_i32_e64 s6, s17, v109
	v_or_b32_e32 v81, 16, v103
	v_or_b32_e32 v82, 18, v103
	v_mul_f32_e32 v74, s18, v125
	v_cndmask_b32_e64 v76, 0xff7fffff, v76, s5
	v_cndmask_b32_e64 v75, 0xff7fffff, v75, s6
	v_max3_f32 v77, v87, v78, v77
	v_cmp_gt_i32_e64 s7, s17, v79
	v_cmp_gt_i32_e64 s8, s17, v80
	v_or_b32_e32 v83, 20, v103
	v_or_b32_e32 v84, 22, v103
	;; [unrolled: 1-line block ×6, first 2 shown]
	v_mul_f32_e32 v105, s18, v96
	v_mul_f32_e32 v103, s18, v95
	v_cndmask_b32_e64 v74, 0xff7fffff, v74, s7
	v_cndmask_b32_e64 v73, 0xff7fffff, v73, s8
	v_max3_f32 v75, v77, v76, v75
	v_cmp_gt_i32_e64 s9, s17, v81
	v_cmp_gt_i32_e64 s10, s17, v82
	v_mul_f32_e32 v93, s18, v98
	v_cmp_gt_i32_e64 s11, s17, v83
	v_max3_f32 v73, v75, v74, v73
	v_cndmask_b32_e64 v76, 0xff7fffff, v103, s9
	v_cndmask_b32_e64 v77, 0xff7fffff, v105, s10
	v_cmp_gt_i32_e64 s12, s17, v84
	v_mul_f32_e32 v91, s18, v100
	v_cndmask_b32_e64 v74, 0xff7fffff, v94, s11
	v_cmp_gt_i32_e64 s13, s17, v85
	v_max3_f32 v73, v73, v76, v77
	v_cndmask_b32_e64 v75, 0xff7fffff, v93, s12
	v_cmp_gt_i32_e64 s15, s17, v86
	v_mul_f32_e32 v89, s18, v102
	v_cndmask_b32_e64 v76, 0xff7fffff, v92, s13
	v_cmp_gt_i32_e64 s16, s17, v71
	v_max3_f32 v73, v73, v74, v75
	v_cndmask_b32_e64 v77, 0xff7fffff, v91, s15
	v_cmp_gt_i32_e64 s17, s17, v72
	v_lshlrev_b32_e32 v74, 2, v104
	v_cndmask_b32_e64 v71, 0xff7fffff, v90, s16
	s_delay_alu instid0(VALU_DEP_4) | instskip(NEXT) | instid1(VALU_DEP_4)
	v_max3_f32 v73, v73, v76, v77
	v_cndmask_b32_e64 v72, 0xff7fffff, v89, s17
	s_delay_alu instid0(VALU_DEP_1) | instskip(SKIP_3) | instid1(VALU_DEP_1)
	v_max3_f32 v71, v73, v71, v72
	ds_bpermute_b32 v72, v74, v71
	s_waitcnt lgkmcnt(0)
	v_max_f32_e32 v72, v72, v72
	v_max_f32_e32 v71, v71, v72
	s_delay_alu instid0(VALU_DEP_1)
	v_fma_f32 v72, s18, v119, -v71
	v_fma_f32 v76, s18, v122, -v71
	;; [unrolled: 1-line block ×5, first 2 shown]
	v_mul_f32_e32 v72, 0x3fb8aa3b, v72
	v_mul_f32_e32 v76, 0x3fb8aa3b, v76
	v_fma_f32 v75, s18, v121, -v71
	v_mul_f32_e32 v79, 0x3fb8aa3b, v77
	v_mul_f32_e32 v87, 0x3fb8aa3b, v86
	v_exp_f32_e32 v72, v72
	v_exp_f32_e32 v76, v76
	v_fma_f32 v81, s18, v125, -v71
	v_exp_f32_e32 v82, v79
	v_exp_f32_e32 v87, v87
	v_fma_f32 v84, s18, v96, -v71
	s_delay_alu instid0(VALU_DEP_2) | instskip(SKIP_3) | instid1(TRANS32_DEP_3)
	v_mul_f32_e32 v81, 0x3fb8aa3b, v81
	v_cndmask_b32_e64 v78, 0, v72, s2
	v_fma_f32 v72, s18, v124, -v71
	v_mul_f32_e32 v73, 0x3fb8aa3b, v73
	v_cndmask_b32_e64 v79, 0, v76, s4
	v_fma_f32 v76, s18, v95, -v71
	s_delay_alu instid0(VALU_DEP_4) | instskip(NEXT) | instid1(VALU_DEP_4)
	v_dual_mul_f32 v75, 0x3fb8aa3b, v75 :: v_dual_mul_f32 v72, 0x3fb8aa3b, v72
	v_exp_f32_e32 v73, v73
	v_cndmask_b32_e64 v87, 0, v87, s12
	s_delay_alu instid0(VALU_DEP_3) | instskip(NEXT) | instid1(VALU_DEP_3)
	v_mul_f32_e32 v76, 0x3fb8aa3b, v76
	v_exp_f32_e32 v75, v75
	v_exp_f32_e32 v72, v72
	;; [unrolled: 1-line block ×3, first 2 shown]
	v_cndmask_b32_e64 v82, 0, v82, s5
	v_mul_f32_e32 v85, 0x3fb8aa3b, v84
	v_exp_f32_e32 v76, v76
	s_mov_b32 s2, exec_lo
	v_cndmask_b32_e32 v77, 0, v73, vcc_lo
	v_add_f32_e32 v73, 0, v78
	v_exp_f32_e32 v85, v85
	v_cndmask_b32_e64 v80, 0, v75, s3
	v_fma_f32 v75, s18, v126, -v71
	v_cndmask_b32_e64 v81, 0, v72, s6
	v_add_f32_e32 v73, v73, v77
	v_cndmask_b32_e64 v84, 0, v83, s7
	v_cndmask_b32_e64 v86, 0, v76, s9
	v_mul_f32_e32 v75, 0x3fb8aa3b, v75
	s_delay_alu instid0(VALU_DEP_4) | instskip(NEXT) | instid1(TRANS32_DEP_1)
	v_add_f32_e32 v73, v73, v80
	v_cndmask_b32_e64 v85, 0, v85, s10
	s_delay_alu instid0(VALU_DEP_3) | instskip(NEXT) | instid1(VALU_DEP_2)
	v_exp_f32_e32 v75, v75
	v_add_f32_e32 v73, v73, v79
	s_delay_alu instid0(VALU_DEP_1) | instskip(SKIP_3) | instid1(VALU_DEP_1)
	v_add_f32_e32 v72, v73, v82
	s_waitcnt_depctr 0xfff
	v_cndmask_b32_e64 v83, 0, v75, s8
	v_add_f32_e32 v72, v72, v81
	v_add_f32_e32 v72, v72, v84
	s_delay_alu instid0(VALU_DEP_1) | instskip(NEXT) | instid1(VALU_DEP_1)
	v_add_f32_e32 v72, v72, v83
	v_add_f32_e32 v72, v72, v86
	s_delay_alu instid0(VALU_DEP_1) | instskip(SKIP_4) | instid1(VALU_DEP_4)
	v_add_f32_e32 v72, v72, v85
	v_fma_f32 v73, s18, v97, -v71
	v_fma_f32 v75, s18, v99, -v71
	;; [unrolled: 1-line block ×4, first 2 shown]
	v_mul_f32_e32 v73, 0x3fb8aa3b, v73
	s_delay_alu instid0(VALU_DEP_3) | instskip(NEXT) | instid1(VALU_DEP_2)
	v_dual_mul_f32 v75, 0x3fb8aa3b, v75 :: v_dual_mul_f32 v76, 0x3fb8aa3b, v76
	v_exp_f32_e32 v73, v73
	s_delay_alu instid0(VALU_DEP_1) | instskip(NEXT) | instid1(VALU_DEP_1)
	v_exp_f32_e32 v75, v75
	v_exp_f32_e32 v76, v76
	s_delay_alu instid0(TRANS32_DEP_3)
	v_cndmask_b32_e64 v88, 0, v73, s11
	v_mul_f32_e32 v73, 0x3fb8aa3b, v89
	v_fma_f32 v89, s18, v102, -v71
	s_waitcnt_depctr 0xfff
	v_cndmask_b32_e64 v90, 0, v75, s13
	v_add_f32_e32 v72, v72, v88
	v_exp_f32_e32 v73, v73
	v_mul_f32_e32 v75, 0x3fb8aa3b, v89
	v_cndmask_b32_e64 v89, 0, v76, s15
	s_delay_alu instid0(VALU_DEP_3) | instskip(NEXT) | instid1(VALU_DEP_3)
	v_add_f32_e32 v72, v72, v87
	v_exp_f32_e32 v75, v75
	s_delay_alu instid0(VALU_DEP_1) | instskip(SKIP_4) | instid1(VALU_DEP_2)
	v_add_f32_e32 v72, v72, v90
	s_waitcnt_depctr 0xfff
	v_cndmask_b32_e64 v92, 0, v73, s16
	v_add_f32_e32 v72, v72, v89
	v_cndmask_b32_e64 v91, 0, v75, s17
	v_add_f32_e32 v72, v72, v92
	s_delay_alu instid0(VALU_DEP_1)
	v_add_f32_e32 v72, v72, v91
	ds_bpermute_b32 v73, v74, v72
	v_cmpx_gt_u32_e32 16, v70
	s_cbranch_execz .LBB969_12
; %bb.11:
	v_mul_u32_u24_e32 v70, 0x44, v68
	s_waitcnt lgkmcnt(0)
	v_add_f32_e32 v72, v72, v73
	s_delay_alu instid0(VALU_DEP_2) | instskip(NEXT) | instid1(VALU_DEP_1)
	v_lshl_add_u32 v70, v69, 2, v70
	v_add_nc_u32_e32 v70, 0x4000, v70
	ds_store_2addr_b32 v70, v71, v72 offset1:136
.LBB969_12:
	s_or_b32 exec_lo, exec_lo, s2
	v_lshlrev_b32_e32 v70, 2, v69
	s_load_b32 s34, s[0:1], 0x94
	s_waitcnt lgkmcnt(0)
	s_barrier
	buffer_gl0_inv
	v_add_nc_u32_e32 v74, 0x4000, v70
	v_cmp_eq_u32_e32 vcc_lo, 1, v68
	v_cmp_eq_u32_e64 s2, 2, v68
	v_cmp_eq_u32_e64 s3, 3, v68
	;; [unrolled: 1-line block ×3, first 2 shown]
	ds_load_2addr_b32 v[70:71], v74 offset1:17
	ds_load_2addr_b32 v[72:73], v74 offset0:34 offset1:51
	ds_load_2addr_b32 v[93:94], v74 offset0:68 offset1:85
	;; [unrolled: 1-line block ×3, first 2 shown]
	v_cmp_eq_u32_e64 s5, 5, v68
	v_cmp_eq_u32_e64 s6, 7, v68
	s_waitcnt lgkmcnt(3)
	v_max3_f32 v75, v70, 0xff7fffff, v71
	s_waitcnt lgkmcnt(2)
	s_delay_alu instid0(VALU_DEP_1) | instskip(SKIP_1) | instid1(VALU_DEP_1)
	v_max3_f32 v75, v75, v72, v73
	s_waitcnt lgkmcnt(1)
	v_max3_f32 v75, v75, v93, v94
	s_waitcnt lgkmcnt(0)
	s_delay_alu instid0(VALU_DEP_1) | instskip(NEXT) | instid1(VALU_DEP_1)
	v_max3_f32 v75, v75, v95, v96
	v_sub_f32_e32 v93, v93, v75
	ds_load_2addr_b32 v[97:98], v74 offset0:136 offset1:153
	v_sub_f32_e32 v70, v70, v75
	v_dual_sub_f32 v100, v73, v75 :: v_dual_mul_f32 v103, 0x3fb8aa3b, v93
	s_delay_alu instid0(VALU_DEP_2) | instskip(SKIP_3) | instid1(VALU_DEP_1)
	v_dual_sub_f32 v76, v71, v75 :: v_dual_mul_f32 v99, 0x3fb8aa3b, v70
	ds_load_2addr_b32 v[70:71], v74 offset0:170 offset1:187
	v_mul_f32_e32 v76, 0x3fb8aa3b, v76
	v_exp_f32_e32 v99, v99
	v_exp_f32_e32 v102, v76
	v_mul_f32_e32 v100, 0x3fb8aa3b, v100
	s_waitcnt lgkmcnt(1)
	s_waitcnt_depctr 0xfff
	v_fma_f32 v76, v99, v97, 0
	v_sub_f32_e32 v97, v94, v75
	v_sub_f32_e32 v72, v72, v75
	v_exp_f32_e32 v100, v100
	ds_load_2addr_b32 v[93:94], v74 offset0:238 offset1:255
	v_dual_fmac_f32 v76, v102, v98 :: v_dual_mul_f32 v101, 0x3fb8aa3b, v72
	ds_load_2addr_b32 v[72:73], v74 offset0:204 offset1:221
	v_dual_sub_f32 v74, v95, v75 :: v_dual_mul_f32 v95, 0x3fb8aa3b, v97
	v_exp_f32_e32 v97, v103
	v_exp_f32_e32 v101, v101
	s_waitcnt lgkmcnt(0)
	s_barrier
	v_exp_f32_e32 v95, v95
	buffer_gl0_inv
	v_fmac_f32_e32 v76, v101, v70
	v_sub_f32_e32 v70, v96, v75
	s_delay_alu instid0(VALU_DEP_2) | instskip(NEXT) | instid1(VALU_DEP_2)
	v_fmac_f32_e32 v76, v100, v71
	v_mul_f32_e32 v70, 0x3fb8aa3b, v70
	s_delay_alu instid0(VALU_DEP_2)
	v_dual_cndmask_b32 v71, v99, v102 :: v_dual_fmac_f32 v76, v97, v72
	v_lshlrev_b32_e32 v72, 6, v69
	v_lshlrev_b32_e32 v69, 2, v66
	v_mul_f32_e32 v74, 0x3fb8aa3b, v74
	v_exp_f32_e32 v98, v70
	v_fmac_f32_e32 v76, v95, v73
	s_delay_alu instid0(VALU_DEP_3) | instskip(NEXT) | instid1(VALU_DEP_3)
	v_cmp_eq_u32_e64 s7, 7, v69
	v_exp_f32_e32 v96, v74
	v_lshl_or_b32 v74, v68, 11, v72
	s_waitcnt_depctr 0xfff
	v_fmac_f32_e32 v76, v96, v93
	s_delay_alu instid0(VALU_DEP_1) | instskip(NEXT) | instid1(VALU_DEP_1)
	v_fmac_f32_e32 v76, v98, v94
	v_add_f32_e32 v73, 0x358637bd, v76
	s_delay_alu instid0(VALU_DEP_1) | instskip(SKIP_1) | instid1(VALU_DEP_2)
	v_div_scale_f32 v93, null, v73, v73, 1.0
	v_div_scale_f32 v99, vcc_lo, 1.0, v73, 1.0
	v_rcp_f32_e32 v94, v93
	s_waitcnt_depctr 0xfff
	v_fma_f32 v70, -v93, v94, 1.0
	s_delay_alu instid0(VALU_DEP_1)
	v_fmac_f32_e32 v94, v70, v94
	v_cndmask_b32_e64 v70, v71, v101, s2
	v_cmp_eq_u32_e64 s2, 6, v68
	v_or_b32_e32 v71, 1, v69
	v_or_b32_e32 v68, 2, v69
	v_mul_f32_e32 v101, v99, v94
	v_cndmask_b32_e64 v70, v70, v100, s3
	v_cmp_eq_u32_e64 s3, 1, v69
	v_cmp_eq_u32_e64 s8, 1, v71
	;; [unrolled: 1-line block ×3, first 2 shown]
	v_fma_f32 v100, -v93, v101, v99
	v_cndmask_b32_e64 v70, v70, v97, s4
	v_cmp_eq_u32_e64 s4, 2, v69
	v_cmp_eq_u32_e64 s11, 2, v71
	;; [unrolled: 1-line block ×3, first 2 shown]
	v_fmac_f32_e32 v101, v100, v94
	v_cndmask_b32_e64 v95, v70, v95, s5
	v_or_b32_e32 v70, 3, v69
	v_cmp_eq_u32_e64 s12, 3, v71
	v_cmp_eq_u32_e64 s16, 3, v68
	v_fma_f32 v93, -v93, v101, v99
	v_cndmask_b32_e64 v95, v95, v96, s2
	v_cmp_eq_u32_e64 s10, 1, v70
	v_cmp_eq_u32_e64 s15, 2, v70
	v_cmp_eq_u32_e64 s17, 3, v70
	v_div_fmas_f32 v93, v93, v94, v101
	v_cndmask_b32_e64 v94, v95, v98, s6
	v_cmp_eq_u32_e32 vcc_lo, 3, v69
	v_cmp_eq_u32_e64 s2, 4, v69
	v_cmp_eq_u32_e64 s18, 4, v71
	v_div_fixup_f32 v93, v93, v73, 1.0
	v_lshl_or_b32 v73, v66, 4, v74
	v_cmp_eq_u32_e64 s21, 4, v70
	v_cmp_eq_u32_e64 s5, 5, v69
	;; [unrolled: 1-line block ×3, first 2 shown]
	v_mul_f32_e32 v101, v94, v93
	v_cmp_eq_u32_e64 s20, 4, v68
	v_cmp_eq_u32_e64 s23, 5, v70
	;; [unrolled: 1-line block ×4, first 2 shown]
	v_fma_mixlo_f16 v93, v101, v78, 0
	v_fma_mixlo_f16 v94, v101, v80, 0
	;; [unrolled: 1-line block ×8, first 2 shown]
	v_fma_mixhi_f16 v93, v101, v77, 0
	v_fma_mixhi_f16 v94, v101, v79, 0
	;; [unrolled: 1-line block ×8, first 2 shown]
	ds_store_b128 v73, v[93:96]
	ds_store_b128 v73, v[97:100] offset:1024
	s_waitcnt lgkmcnt(0)
	s_barrier
	buffer_gl0_inv
	ds_load_b128 v[77:80], v74
	ds_load_b128 v[81:84], v74 offset:16
	ds_load_b128 v[85:88], v74 offset:1024
	;; [unrolled: 1-line block ×3, first 2 shown]
	v_cmp_eq_u32_e64 s26, 6, v70
	v_cmp_eq_u32_e64 s6, 6, v69
	;; [unrolled: 1-line block ×6, first 2 shown]
	s_waitcnt lgkmcnt(3)
	v_lshrrev_b32_e32 v93, 16, v77
	s_waitcnt lgkmcnt(2)
	v_lshrrev_b32_e32 v97, 16, v81
	;; [unrolled: 2-line block ×4, first 2 shown]
	v_lshrrev_b32_e32 v94, 16, v78
	v_cndmask_b32_e64 v109, v77, v93, s3
	v_cndmask_b32_e64 v110, v81, v97, s3
	;; [unrolled: 1-line block ×8, first 2 shown]
	v_lshrrev_b32_e32 v98, 16, v82
	v_cndmask_b32_e64 v93, v85, v101, s3
	v_cndmask_b32_e64 v97, v89, v105, s3
	v_cndmask_b32_e64 v115, v85, v101, s8
	v_cndmask_b32_e64 v116, v89, v105, s8
	v_cndmask_b32_e64 v117, v85, v101, s9
	v_cndmask_b32_e64 v118, v89, v105, s9
	v_cndmask_b32_e64 v85, v85, v101, s10
	v_cndmask_b32_e64 v89, v89, v105, s10
	v_cndmask_b32_e64 v101, v109, v78, s4
	v_cndmask_b32_e64 v105, v110, v82, s4
	v_cndmask_b32_e64 v109, v111, v78, s11
	v_cndmask_b32_e64 v110, v112, v82, s11
	v_cndmask_b32_e64 v111, v113, v78, s13
	v_cndmask_b32_e64 v77, v77, v78, s15
	v_cndmask_b32_e64 v78, v81, v82, s15
	v_lshrrev_b32_e32 v102, 16, v86
	v_lshrrev_b32_e32 v106, 16, v90
	v_cndmask_b32_e64 v112, v114, v82, s13
	v_cndmask_b32_e64 v81, v93, v86, s4
	v_cndmask_b32_e64 v82, v97, v90, s4
	v_cndmask_b32_e64 v93, v115, v86, s11
	v_cndmask_b32_e64 v97, v117, v86, s13
	v_cndmask_b32_e64 v85, v85, v86, s15
	v_cndmask_b32_e64 v86, v89, v90, s15
	v_cndmask_b32_e32 v89, v101, v94, vcc_lo
	v_cndmask_b32_e32 v101, v105, v98, vcc_lo
	v_cndmask_b32_e64 v105, v109, v94, s12
	v_cndmask_b32_e64 v109, v110, v98, s12
	;; [unrolled: 1-line block ×4, first 2 shown]
	v_lshrrev_b32_e32 v95, 16, v79
	v_lshrrev_b32_e32 v99, 16, v83
	v_cndmask_b32_e64 v110, v111, v94, s16
	v_cndmask_b32_e64 v111, v112, v98, s16
	v_cndmask_b32_e32 v81, v81, v102, vcc_lo
	v_cndmask_b32_e32 v82, v82, v106, vcc_lo
	v_cndmask_b32_e64 v93, v93, v102, s12
	v_cndmask_b32_e64 v89, v89, v79, s2
	;; [unrolled: 1-line block ×7, first 2 shown]
	v_lshrrev_b32_e32 v103, 16, v87
	v_cndmask_b32_e64 v105, v110, v79, s20
	v_cndmask_b32_e64 v109, v111, v83, s20
	;; [unrolled: 1-line block ×11, first 2 shown]
	v_lshrrev_b32_e32 v96, 16, v80
	v_lshrrev_b32_e32 v100, 16, v84
	v_cndmask_b32_e64 v98, v105, v95, s22
	v_cndmask_b32_e64 v101, v109, v99, s22
	;; [unrolled: 1-line block ×7, first 2 shown]
	v_lshrrev_b32_e32 v104, 16, v88
	v_cndmask_b32_e64 v79, v79, v103, s5
	v_cndmask_b32_e64 v83, v83, v80, s6
	;; [unrolled: 1-line block ×16, first 2 shown]
	v_perm_b32 v80, v78, v77, 0x5040100
	v_perm_b32 v78, v94, v84, 0x5040100
	v_cndmask_b32_e64 v77, v118, v90, s13
	v_cndmask_b32_e64 v84, v116, v90, s11
	;; [unrolled: 1-line block ×3, first 2 shown]
	v_perm_b32 v79, v93, v89, 0x5040100
	v_cndmask_b32_e64 v89, v97, v102, s16
	v_cndmask_b32_e64 v85, v85, v102, s17
	;; [unrolled: 1-line block ×5, first 2 shown]
	v_lshrrev_b32_e32 v107, 16, v91
	v_cndmask_b32_e64 v89, v89, v87, s20
	v_cndmask_b32_e64 v85, v85, v87, s21
	;; [unrolled: 1-line block ×11, first 2 shown]
	v_lshrrev_b32_e32 v108, 16, v92
	v_cndmask_b32_e64 v81, v81, v92, s6
	v_cndmask_b32_e64 v87, v87, v88, s25
	;; [unrolled: 1-line block ×12, first 2 shown]
	v_perm_b32 v77, v83, v82, 0x5040100
	v_perm_b32 v84, v86, v85, 0x5040100
	;; [unrolled: 1-line block ×5, first 2 shown]
	s_lshl_b32 s7, s33, 2
	s_mov_b32 s2, exec_lo
	ds_store_b128 v73, v[77:80]
	ds_store_b128 v73, v[81:84] offset:1024
	v_cmpx_gt_u32_e32 4, v0
	s_cbranch_execz .LBB969_14
; %bb.13:
	v_or_b32_e32 v77, s31, v0
	s_load_b128 s[8:11], s[0:1], 0x58
	s_delay_alu instid0(VALU_DEP_1) | instskip(NEXT) | instid1(VALU_DEP_1)
	v_mad_u64_u32 v[78:79], null, s7, s30, v[77:78]
	v_mad_u64_u32 v[79:80], null, v78, s34, s[14:15]
	s_delay_alu instid0(VALU_DEP_1) | instskip(NEXT) | instid1(VALU_DEP_1)
	v_ashrrev_i32_e32 v80, 31, v79
	v_lshlrev_b64 v[77:78], 2, v[79:80]
	s_waitcnt lgkmcnt(0)
	s_delay_alu instid0(VALU_DEP_1) | instskip(NEXT) | instid1(VALU_DEP_2)
	v_add_co_u32 v79, vcc_lo, s10, v77
	v_add_co_ci_u32_e32 v80, vcc_lo, s11, v78, vcc_lo
	v_add_co_u32 v77, vcc_lo, s8, v77
	v_add_co_ci_u32_e32 v78, vcc_lo, s9, v78, vcc_lo
	global_store_b32 v[79:80], v75, off
	global_store_b32 v[77:78], v76, off
.LBB969_14:
	s_or_b32 exec_lo, exec_lo, s2
	s_waitcnt lgkmcnt(0)
	s_waitcnt_vscnt null, 0x0
	s_barrier
	buffer_gl0_inv
	ds_load_b128 v[83:86], v72
	ds_load_b128 v[87:90], v72 offset:16
	ds_load_b128 v[95:98], v72 offset:2064
	;; [unrolled: 1-line block ×5, first 2 shown]
	v_cmp_eq_u32_e32 vcc_lo, 1, v69
	v_mov_b32_e32 v75, 0
	ds_load_b128 v[111:114], v72 offset:6160
	ds_load_b128 v[107:110], v72 offset:6144
	ds_load_b128 v[119:122], v72 offset:8208
	ds_load_b128 v[115:118], v72 offset:8192
	v_cmp_eq_u32_e64 s3, 1, v68
	v_cmp_eq_u32_e64 s2, 1, v71
	;; [unrolled: 1-line block ×3, first 2 shown]
	v_mov_b32_e32 v76, v75
	v_mov_b32_e32 v77, v75
	v_mov_b32_e32 v78, v75
	v_mov_b32_e32 v79, v75
	v_mov_b32_e32 v80, v75
	v_mov_b32_e32 v81, v75
	v_mov_b32_e32 v82, v75
	v_cmp_eq_u32_e64 s5, 3, v71
	v_cmp_eq_u32_e64 s6, 7, v71
	s_waitcnt lgkmcnt(8)
	s_delay_alu instid0(VALU_DEP_3)
	v_wmma_f32_16x16x16_f16 v[75:82], v[49:56], v[83:90], v[75:82]
	ds_load_b128 v[53:56], v72 offset:10256
	ds_load_b128 v[49:52], v72 offset:10240
	s_waitcnt lgkmcnt(8)
	v_wmma_f32_16x16x16_f16 v[75:82], v[41:48], v[91:98], v[75:82]
	ds_load_b128 v[45:48], v72 offset:12304
	ds_load_b128 v[41:44], v72 offset:12288
	s_waitcnt lgkmcnt(8)
	;; [unrolled: 4-line block ×3, first 2 shown]
	s_barrier
	buffer_gl0_inv
	v_wmma_f32_16x16x16_f16 v[75:82], v[1:8], v[107:114], v[75:82]
	s_delay_alu instid0(VALU_DEP_1) | instskip(NEXT) | instid1(VALU_DEP_1)
	v_wmma_f32_16x16x16_f16 v[75:82], v[9:16], v[115:122], v[75:82]
	v_wmma_f32_16x16x16_f16 v[75:82], v[17:24], v[49:56], v[75:82]
	s_delay_alu instid0(VALU_DEP_1) | instskip(NEXT) | instid1(VALU_DEP_1)
	v_wmma_f32_16x16x16_f16 v[75:82], v[25:32], v[41:48], v[75:82]
	v_wmma_f32_16x16x16_f16 v[75:82], v[57:64], v[33:40], v[75:82]
	s_delay_alu instid0(VALU_DEP_1) | instskip(NEXT) | instid1(VALU_DEP_2)
	v_cvt_f16_f32_e32 v1, v75
	v_cvt_f16_f32_e32 v2, v76
	s_delay_alu instid0(VALU_DEP_3) | instskip(NEXT) | instid1(VALU_DEP_4)
	v_cvt_f16_f32_e32 v3, v77
	v_cvt_f16_f32_e32 v4, v78
	;; [unrolled: 1-line block ×6, first 2 shown]
	v_pack_b32_f16 v1, v1, v2
	v_pack_b32_f16 v2, v3, v4
	;; [unrolled: 1-line block ×3, first 2 shown]
	s_delay_alu instid0(VALU_DEP_4)
	v_pack_b32_f16 v4, v7, v8
	ds_store_b128 v73, v[1:4]
	s_waitcnt lgkmcnt(0)
	s_barrier
	buffer_gl0_inv
	ds_load_b128 v[1:4], v74
	ds_load_b128 v[5:8], v74 offset:16
	s_waitcnt lgkmcnt(1)
	v_lshrrev_b32_e32 v9, 16, v1
	s_waitcnt lgkmcnt(0)
	v_lshrrev_b32_e32 v13, 16, v5
	v_lshrrev_b32_e32 v10, 16, v2
	;; [unrolled: 1-line block ×4, first 2 shown]
	v_cndmask_b32_e32 v17, v1, v9, vcc_lo
	v_cndmask_b32_e32 v18, v5, v13, vcc_lo
	v_cndmask_b32_e64 v21, v1, v9, s3
	v_cmp_eq_u32_e32 vcc_lo, 1, v70
	v_cndmask_b32_e64 v22, v5, v13, s3
	v_cmp_eq_u32_e64 s3, 2, v69
	v_cndmask_b32_e64 v19, v1, v9, s2
	v_cndmask_b32_e64 v20, v5, v13, s2
	v_cndmask_b32_e32 v1, v1, v9, vcc_lo
	v_cmp_eq_u32_e64 s2, 2, v70
	v_cndmask_b32_e32 v5, v5, v13, vcc_lo
	v_cndmask_b32_e64 v9, v17, v2, s3
	v_cmp_eq_u32_e32 vcc_lo, 3, v69
	v_cndmask_b32_e64 v13, v18, v6, s3
	v_cmp_eq_u32_e64 s3, 2, v68
	v_cndmask_b32_e64 v17, v19, v2, s4
	v_cndmask_b32_e64 v18, v20, v6, s4
	v_cmp_eq_u32_e64 s4, 3, v68
	v_cndmask_b32_e64 v1, v1, v2, s2
	v_cndmask_b32_e64 v19, v21, v2, s3
	;; [unrolled: 1-line block ×4, first 2 shown]
	v_cndmask_b32_e32 v5, v9, v10, vcc_lo
	v_cndmask_b32_e32 v6, v13, v14, vcc_lo
	v_cmp_eq_u32_e32 vcc_lo, 3, v70
	v_cndmask_b32_e64 v9, v17, v10, s5
	v_cndmask_b32_e64 v13, v18, v14, s5
	;; [unrolled: 1-line block ×3, first 2 shown]
	v_cmp_eq_u32_e64 s3, 4, v69
	v_cndmask_b32_e32 v1, v1, v10, vcc_lo
	v_cndmask_b32_e32 v2, v2, v14, vcc_lo
	v_cmp_eq_u32_e32 vcc_lo, 4, v71
	v_lshrrev_b32_e32 v15, 16, v7
	v_lshrrev_b32_e32 v16, 16, v8
	v_cndmask_b32_e64 v17, v19, v10, s4
	v_cmp_eq_u32_e64 s2, 4, v70
	v_cndmask_b32_e64 v5, v5, v3, s3
	v_cndmask_b32_e64 v6, v6, v7, s3
	v_cndmask_b32_e32 v9, v9, v3, vcc_lo
	v_cmp_eq_u32_e64 s3, 5, v71
	v_cndmask_b32_e32 v10, v13, v7, vcc_lo
	v_cmp_eq_u32_e32 vcc_lo, 4, v68
	v_cmp_eq_u32_e64 s4, 5, v69
	v_cndmask_b32_e64 v2, v2, v7, s2
	v_cndmask_b32_e64 v9, v9, v11, s3
	;; [unrolled: 1-line block ×3, first 2 shown]
	v_cndmask_b32_e32 v13, v17, v3, vcc_lo
	v_cmp_eq_u32_e64 s3, 5, v68
	v_cndmask_b32_e32 v14, v18, v7, vcc_lo
	v_cndmask_b32_e64 v1, v1, v3, s2
	v_cmp_eq_u32_e32 vcc_lo, 5, v70
	v_lshrrev_b32_e32 v12, 16, v4
	v_cndmask_b32_e64 v13, v13, v11, s3
	v_cndmask_b32_e64 v3, v14, v15, s3
	v_cmp_eq_u32_e64 s3, 6, v70
	v_cndmask_b32_e32 v1, v1, v11, vcc_lo
	v_cndmask_b32_e64 v5, v5, v11, s4
	v_cmp_eq_u32_e64 s5, 6, v69
	v_cndmask_b32_e64 v6, v6, v15, s4
	v_cmp_eq_u32_e64 s4, 6, v71
	v_cmp_eq_u32_e64 s2, 6, v68
	v_cndmask_b32_e64 v1, v1, v4, s3
	v_cndmask_b32_e32 v2, v2, v15, vcc_lo
	v_cmp_eq_u32_e32 vcc_lo, 7, v70
	v_cndmask_b32_e64 v5, v5, v4, s5
	v_cndmask_b32_e64 v9, v9, v4, s4
	;; [unrolled: 1-line block ×3, first 2 shown]
	v_cmp_eq_u32_e64 s5, 7, v69
	v_cndmask_b32_e32 v1, v1, v12, vcc_lo
	v_cndmask_b32_e64 v7, v13, v4, s2
	v_cndmask_b32_e64 v3, v3, v8, s2
	;; [unrolled: 1-line block ×3, first 2 shown]
	v_cmp_eq_u32_e64 s2, 7, v68
	v_cndmask_b32_e64 v4, v10, v8, s4
	v_cndmask_b32_e64 v5, v5, v12, s5
	;; [unrolled: 1-line block ×3, first 2 shown]
	v_cndmask_b32_e32 v2, v2, v16, vcc_lo
	v_cndmask_b32_e64 v7, v7, v12, s2
	v_cndmask_b32_e64 v3, v3, v16, s2
	;; [unrolled: 1-line block ×4, first 2 shown]
	v_perm_b32 v4, v2, v1, 0x5040100
	s_mov_b32 s2, exec_lo
	v_perm_b32 v3, v3, v7, 0x5040100
	v_perm_b32 v2, v8, v9, 0x5040100
	;; [unrolled: 1-line block ×3, first 2 shown]
	ds_store_b128 v73, v[1:4]
	s_waitcnt lgkmcnt(0)
	s_barrier
	buffer_gl0_inv
	v_cmpx_gt_u32_e32 32, v0
	s_cbranch_execz .LBB969_2
; %bb.15:
	s_load_b64 s[0:1], s[0:1], 0x68
	v_lshlrev_b32_e32 v0, 10, v0
	v_or_b32_e32 v1, s31, v66
	s_lshl_b32 s4, s34, 7
	v_lshlrev_b32_e32 v2, 4, v67
	s_mul_i32 s2, s4, s30
	v_lshlrev_b32_e32 v3, 6, v66
	v_mul_lo_u32 v8, v1, s4
	v_and_b32_e32 v0, 0x3800, v0
	v_or_b32_e32 v1, 2, v1
	s_mul_i32 s2, s2, s7
	s_delay_alu instid0(SALU_CYCLE_1) | instskip(NEXT) | instid1(VALU_DEP_2)
	s_ashr_i32 s3, s2, 31
	v_or3_b32 v4, v0, v2, v3
	s_lshl_b64 s[2:3], s[2:3], 1
	v_mul_lo_u32 v10, v1, s4
	v_ashrrev_i32_e32 v9, 31, v8
	ds_load_b128 v[0:3], v4
	ds_load_b128 v[4:7], v4 offset:128
	s_waitcnt lgkmcnt(0)
	s_add_u32 s2, s0, s2
	s_addc_u32 s3, s1, s3
	s_lshl_b32 s0, s14, 7
	v_ashrrev_i32_e32 v11, 31, v10
	s_ashr_i32 s1, s0, 31
	v_lshlrev_b64 v[8:9], 1, v[8:9]
	s_lshl_b64 s[0:1], s[0:1], 1
	s_delay_alu instid0(SALU_CYCLE_1) | instskip(SKIP_2) | instid1(VALU_DEP_1)
	s_add_u32 s0, s2, s0
	s_addc_u32 s1, s3, s1
	v_add_co_u32 v12, s0, s0, v65
	v_add_co_ci_u32_e64 v13, null, s1, 0, s0
	v_lshlrev_b64 v[10:11], 1, v[10:11]
	s_delay_alu instid0(VALU_DEP_3) | instskip(NEXT) | instid1(VALU_DEP_3)
	v_add_co_u32 v8, vcc_lo, v12, v8
	v_add_co_ci_u32_e32 v9, vcc_lo, v13, v9, vcc_lo
	s_delay_alu instid0(VALU_DEP_3) | instskip(NEXT) | instid1(VALU_DEP_4)
	v_add_co_u32 v10, vcc_lo, v12, v10
	v_add_co_ci_u32_e32 v11, vcc_lo, v13, v11, vcc_lo
	s_clause 0x1
	global_store_b128 v[8:9], v[0:3], off
	global_store_b128 v[10:11], v[4:7], off
	s_nop 0
	s_sendmsg sendmsg(MSG_DEALLOC_VGPRS)
	s_endpgm
	.section	.rodata,"a",@progbits
	.p2align	6, 0x0
	.amdhsa_kernel _Z39paged_attention_ll4mi_QKV_mfma16_kernelIDF16_hLN4vllm18Fp8KVCacheDataTypeE1EhLi16ELi128ELi256ELb0ELi4EL8MFMAType1EEvPKT_PKT0_S8_ifPKiSA_SA_iPKfiiiPfSD_PS3_PT2_iSC_SC_
		.amdhsa_group_segment_fixed_size 17472
		.amdhsa_private_segment_fixed_size 0
		.amdhsa_kernarg_size 400
		.amdhsa_user_sgpr_count 13
		.amdhsa_user_sgpr_dispatch_ptr 0
		.amdhsa_user_sgpr_queue_ptr 0
		.amdhsa_user_sgpr_kernarg_segment_ptr 1
		.amdhsa_user_sgpr_dispatch_id 0
		.amdhsa_user_sgpr_private_segment_size 0
		.amdhsa_wavefront_size32 1
		.amdhsa_uses_dynamic_stack 0
		.amdhsa_enable_private_segment 0
		.amdhsa_system_sgpr_workgroup_id_x 1
		.amdhsa_system_sgpr_workgroup_id_y 1
		.amdhsa_system_sgpr_workgroup_id_z 1
		.amdhsa_system_sgpr_workgroup_info 0
		.amdhsa_system_vgpr_workitem_id 0
		.amdhsa_next_free_vgpr 140
		.amdhsa_next_free_sgpr 36
		.amdhsa_reserve_vcc 1
		.amdhsa_float_round_mode_32 0
		.amdhsa_float_round_mode_16_64 0
		.amdhsa_float_denorm_mode_32 3
		.amdhsa_float_denorm_mode_16_64 3
		.amdhsa_dx10_clamp 1
		.amdhsa_ieee_mode 1
		.amdhsa_fp16_overflow 0
		.amdhsa_workgroup_processor_mode 1
		.amdhsa_memory_ordered 1
		.amdhsa_forward_progress 0
		.amdhsa_shared_vgpr_count 0
		.amdhsa_exception_fp_ieee_invalid_op 0
		.amdhsa_exception_fp_denorm_src 0
		.amdhsa_exception_fp_ieee_div_zero 0
		.amdhsa_exception_fp_ieee_overflow 0
		.amdhsa_exception_fp_ieee_underflow 0
		.amdhsa_exception_fp_ieee_inexact 0
		.amdhsa_exception_int_div_zero 0
	.end_amdhsa_kernel
	.section	.text._Z39paged_attention_ll4mi_QKV_mfma16_kernelIDF16_hLN4vllm18Fp8KVCacheDataTypeE1EhLi16ELi128ELi256ELb0ELi4EL8MFMAType1EEvPKT_PKT0_S8_ifPKiSA_SA_iPKfiiiPfSD_PS3_PT2_iSC_SC_,"axG",@progbits,_Z39paged_attention_ll4mi_QKV_mfma16_kernelIDF16_hLN4vllm18Fp8KVCacheDataTypeE1EhLi16ELi128ELi256ELb0ELi4EL8MFMAType1EEvPKT_PKT0_S8_ifPKiSA_SA_iPKfiiiPfSD_PS3_PT2_iSC_SC_,comdat
.Lfunc_end969:
	.size	_Z39paged_attention_ll4mi_QKV_mfma16_kernelIDF16_hLN4vllm18Fp8KVCacheDataTypeE1EhLi16ELi128ELi256ELb0ELi4EL8MFMAType1EEvPKT_PKT0_S8_ifPKiSA_SA_iPKfiiiPfSD_PS3_PT2_iSC_SC_, .Lfunc_end969-_Z39paged_attention_ll4mi_QKV_mfma16_kernelIDF16_hLN4vllm18Fp8KVCacheDataTypeE1EhLi16ELi128ELi256ELb0ELi4EL8MFMAType1EEvPKT_PKT0_S8_ifPKiSA_SA_iPKfiiiPfSD_PS3_PT2_iSC_SC_
                                        ; -- End function
	.section	.AMDGPU.csdata,"",@progbits
; Kernel info:
; codeLenInByte = 6500
; NumSgprs: 38
; NumVgprs: 140
; ScratchSize: 0
; MemoryBound: 0
; FloatMode: 240
; IeeeMode: 1
; LDSByteSize: 17472 bytes/workgroup (compile time only)
; SGPRBlocks: 4
; VGPRBlocks: 17
; NumSGPRsForWavesPerEU: 38
; NumVGPRsForWavesPerEU: 140
; Occupancy: 10
; WaveLimiterHint : 1
; COMPUTE_PGM_RSRC2:SCRATCH_EN: 0
; COMPUTE_PGM_RSRC2:USER_SGPR: 13
; COMPUTE_PGM_RSRC2:TRAP_HANDLER: 0
; COMPUTE_PGM_RSRC2:TGID_X_EN: 1
; COMPUTE_PGM_RSRC2:TGID_Y_EN: 1
; COMPUTE_PGM_RSRC2:TGID_Z_EN: 1
; COMPUTE_PGM_RSRC2:TIDIG_COMP_CNT: 0
	.section	.text._Z38paged_attention_ll4mi_QKV_mfma4_kernelIDF16_hLN4vllm18Fp8KVCacheDataTypeE1EDF16_Li16ELi128ELi256ELb1ELi1EEvPKT_PKT0_S7_ifPKiS9_S9_iPKfiiiPfSC_PS2_PT2_iSB_SB_,"axG",@progbits,_Z38paged_attention_ll4mi_QKV_mfma4_kernelIDF16_hLN4vllm18Fp8KVCacheDataTypeE1EDF16_Li16ELi128ELi256ELb1ELi1EEvPKT_PKT0_S7_ifPKiS9_S9_iPKfiiiPfSC_PS2_PT2_iSB_SB_,comdat
	.protected	_Z38paged_attention_ll4mi_QKV_mfma4_kernelIDF16_hLN4vllm18Fp8KVCacheDataTypeE1EDF16_Li16ELi128ELi256ELb1ELi1EEvPKT_PKT0_S7_ifPKiS9_S9_iPKfiiiPfSC_PS2_PT2_iSB_SB_ ; -- Begin function _Z38paged_attention_ll4mi_QKV_mfma4_kernelIDF16_hLN4vllm18Fp8KVCacheDataTypeE1EDF16_Li16ELi128ELi256ELb1ELi1EEvPKT_PKT0_S7_ifPKiS9_S9_iPKfiiiPfSC_PS2_PT2_iSB_SB_
	.globl	_Z38paged_attention_ll4mi_QKV_mfma4_kernelIDF16_hLN4vllm18Fp8KVCacheDataTypeE1EDF16_Li16ELi128ELi256ELb1ELi1EEvPKT_PKT0_S7_ifPKiS9_S9_iPKfiiiPfSC_PS2_PT2_iSB_SB_
	.p2align	8
	.type	_Z38paged_attention_ll4mi_QKV_mfma4_kernelIDF16_hLN4vllm18Fp8KVCacheDataTypeE1EDF16_Li16ELi128ELi256ELb1ELi1EEvPKT_PKT0_S7_ifPKiS9_S9_iPKfiiiPfSC_PS2_PT2_iSB_SB_,@function
_Z38paged_attention_ll4mi_QKV_mfma4_kernelIDF16_hLN4vllm18Fp8KVCacheDataTypeE1EDF16_Li16ELi128ELi256ELb1ELi1EEvPKT_PKT0_S7_ifPKiS9_S9_iPKfiiiPfSC_PS2_PT2_iSB_SB_: ; @_Z38paged_attention_ll4mi_QKV_mfma4_kernelIDF16_hLN4vllm18Fp8KVCacheDataTypeE1EDF16_Li16ELi128ELi256ELb1ELi1EEvPKT_PKT0_S7_ifPKiS9_S9_iPKfiiiPfSC_PS2_PT2_iSB_SB_
; %bb.0:
	s_add_u32 s8, s0, 0x90
	s_addc_u32 s9, s1, 0
	s_getpc_b64 s[0:1]
	s_add_u32 s0, s0, __PRETTY_FUNCTION__._Z38paged_attention_ll4mi_QKV_mfma4_kernelIDF16_hLN4vllm18Fp8KVCacheDataTypeE1EDF16_Li16ELi128ELi256ELb1ELi1EEvPKT_PKT0_S7_ifPKiS9_S9_iPKfiiiPfSC_PS2_PT2_iSB_SB_@rel32@lo+4
	s_addc_u32 s1, s1, __PRETTY_FUNCTION__._Z38paged_attention_ll4mi_QKV_mfma4_kernelIDF16_hLN4vllm18Fp8KVCacheDataTypeE1EDF16_Li16ELi128ELi256ELb1ELi1EEvPKT_PKT0_S7_ifPKiS9_S9_iPKfiiiPfSC_PS2_PT2_iSB_SB_@rel32@hi+12
	s_delay_alu instid0(SALU_CYCLE_1) | instskip(SKIP_4) | instid1(SALU_CYCLE_1)
	v_dual_mov_b32 v0, s0 :: v_dual_mov_b32 v1, s1
	s_mov_b32 s32, 0
	s_getpc_b64 s[2:3]
	s_add_u32 s2, s2, __assert_fail@rel32@lo+4
	s_addc_u32 s3, s3, __assert_fail@rel32@hi+12
	s_swappc_b64 s[30:31], s[2:3]
	.section	.rodata,"a",@progbits
	.p2align	6, 0x0
	.amdhsa_kernel _Z38paged_attention_ll4mi_QKV_mfma4_kernelIDF16_hLN4vllm18Fp8KVCacheDataTypeE1EDF16_Li16ELi128ELi256ELb1ELi1EEvPKT_PKT0_S7_ifPKiS9_S9_iPKfiiiPfSC_PS2_PT2_iSB_SB_
		.amdhsa_group_segment_fixed_size 0
		.amdhsa_private_segment_fixed_size 64
		.amdhsa_kernarg_size 400
		.amdhsa_user_sgpr_count 15
		.amdhsa_user_sgpr_dispatch_ptr 0
		.amdhsa_user_sgpr_queue_ptr 0
		.amdhsa_user_sgpr_kernarg_segment_ptr 1
		.amdhsa_user_sgpr_dispatch_id 0
		.amdhsa_user_sgpr_private_segment_size 0
		.amdhsa_wavefront_size32 1
		.amdhsa_uses_dynamic_stack 0
		.amdhsa_enable_private_segment 1
		.amdhsa_system_sgpr_workgroup_id_x 1
		.amdhsa_system_sgpr_workgroup_id_y 0
		.amdhsa_system_sgpr_workgroup_id_z 0
		.amdhsa_system_sgpr_workgroup_info 0
		.amdhsa_system_vgpr_workitem_id 0
		.amdhsa_next_free_vgpr 41
		.amdhsa_next_free_sgpr 34
		.amdhsa_reserve_vcc 1
		.amdhsa_float_round_mode_32 0
		.amdhsa_float_round_mode_16_64 0
		.amdhsa_float_denorm_mode_32 3
		.amdhsa_float_denorm_mode_16_64 3
		.amdhsa_dx10_clamp 1
		.amdhsa_ieee_mode 1
		.amdhsa_fp16_overflow 0
		.amdhsa_workgroup_processor_mode 1
		.amdhsa_memory_ordered 1
		.amdhsa_forward_progress 0
		.amdhsa_shared_vgpr_count 0
		.amdhsa_exception_fp_ieee_invalid_op 0
		.amdhsa_exception_fp_denorm_src 0
		.amdhsa_exception_fp_ieee_div_zero 0
		.amdhsa_exception_fp_ieee_overflow 0
		.amdhsa_exception_fp_ieee_underflow 0
		.amdhsa_exception_fp_ieee_inexact 0
		.amdhsa_exception_int_div_zero 0
	.end_amdhsa_kernel
	.section	.text._Z38paged_attention_ll4mi_QKV_mfma4_kernelIDF16_hLN4vllm18Fp8KVCacheDataTypeE1EDF16_Li16ELi128ELi256ELb1ELi1EEvPKT_PKT0_S7_ifPKiS9_S9_iPKfiiiPfSC_PS2_PT2_iSB_SB_,"axG",@progbits,_Z38paged_attention_ll4mi_QKV_mfma4_kernelIDF16_hLN4vllm18Fp8KVCacheDataTypeE1EDF16_Li16ELi128ELi256ELb1ELi1EEvPKT_PKT0_S7_ifPKiS9_S9_iPKfiiiPfSC_PS2_PT2_iSB_SB_,comdat
.Lfunc_end970:
	.size	_Z38paged_attention_ll4mi_QKV_mfma4_kernelIDF16_hLN4vllm18Fp8KVCacheDataTypeE1EDF16_Li16ELi128ELi256ELb1ELi1EEvPKT_PKT0_S7_ifPKiS9_S9_iPKfiiiPfSC_PS2_PT2_iSB_SB_, .Lfunc_end970-_Z38paged_attention_ll4mi_QKV_mfma4_kernelIDF16_hLN4vllm18Fp8KVCacheDataTypeE1EDF16_Li16ELi128ELi256ELb1ELi1EEvPKT_PKT0_S7_ifPKiS9_S9_iPKfiiiPfSC_PS2_PT2_iSB_SB_
                                        ; -- End function
	.section	.AMDGPU.csdata,"",@progbits
; Kernel info:
; codeLenInByte = 72
; NumSgprs: 36
; NumVgprs: 41
; ScratchSize: 64
; MemoryBound: 0
; FloatMode: 240
; IeeeMode: 1
; LDSByteSize: 0 bytes/workgroup (compile time only)
; SGPRBlocks: 4
; VGPRBlocks: 5
; NumSGPRsForWavesPerEU: 36
; NumVGPRsForWavesPerEU: 41
; Occupancy: 16
; WaveLimiterHint : 1
; COMPUTE_PGM_RSRC2:SCRATCH_EN: 1
; COMPUTE_PGM_RSRC2:USER_SGPR: 15
; COMPUTE_PGM_RSRC2:TRAP_HANDLER: 0
; COMPUTE_PGM_RSRC2:TGID_X_EN: 1
; COMPUTE_PGM_RSRC2:TGID_Y_EN: 0
; COMPUTE_PGM_RSRC2:TGID_Z_EN: 0
; COMPUTE_PGM_RSRC2:TIDIG_COMP_CNT: 0
	.section	.text._Z38paged_attention_ll4mi_QKV_mfma4_kernelIDF16_hLN4vllm18Fp8KVCacheDataTypeE1EDF16_Li16ELi128ELi256ELb1ELi2EEvPKT_PKT0_S7_ifPKiS9_S9_iPKfiiiPfSC_PS2_PT2_iSB_SB_,"axG",@progbits,_Z38paged_attention_ll4mi_QKV_mfma4_kernelIDF16_hLN4vllm18Fp8KVCacheDataTypeE1EDF16_Li16ELi128ELi256ELb1ELi2EEvPKT_PKT0_S7_ifPKiS9_S9_iPKfiiiPfSC_PS2_PT2_iSB_SB_,comdat
	.protected	_Z38paged_attention_ll4mi_QKV_mfma4_kernelIDF16_hLN4vllm18Fp8KVCacheDataTypeE1EDF16_Li16ELi128ELi256ELb1ELi2EEvPKT_PKT0_S7_ifPKiS9_S9_iPKfiiiPfSC_PS2_PT2_iSB_SB_ ; -- Begin function _Z38paged_attention_ll4mi_QKV_mfma4_kernelIDF16_hLN4vllm18Fp8KVCacheDataTypeE1EDF16_Li16ELi128ELi256ELb1ELi2EEvPKT_PKT0_S7_ifPKiS9_S9_iPKfiiiPfSC_PS2_PT2_iSB_SB_
	.globl	_Z38paged_attention_ll4mi_QKV_mfma4_kernelIDF16_hLN4vllm18Fp8KVCacheDataTypeE1EDF16_Li16ELi128ELi256ELb1ELi2EEvPKT_PKT0_S7_ifPKiS9_S9_iPKfiiiPfSC_PS2_PT2_iSB_SB_
	.p2align	8
	.type	_Z38paged_attention_ll4mi_QKV_mfma4_kernelIDF16_hLN4vllm18Fp8KVCacheDataTypeE1EDF16_Li16ELi128ELi256ELb1ELi2EEvPKT_PKT0_S7_ifPKiS9_S9_iPKfiiiPfSC_PS2_PT2_iSB_SB_,@function
_Z38paged_attention_ll4mi_QKV_mfma4_kernelIDF16_hLN4vllm18Fp8KVCacheDataTypeE1EDF16_Li16ELi128ELi256ELb1ELi2EEvPKT_PKT0_S7_ifPKiS9_S9_iPKfiiiPfSC_PS2_PT2_iSB_SB_: ; @_Z38paged_attention_ll4mi_QKV_mfma4_kernelIDF16_hLN4vllm18Fp8KVCacheDataTypeE1EDF16_Li16ELi128ELi256ELb1ELi2EEvPKT_PKT0_S7_ifPKiS9_S9_iPKfiiiPfSC_PS2_PT2_iSB_SB_
; %bb.0:
	s_add_u32 s8, s0, 0x90
	s_addc_u32 s9, s1, 0
	s_getpc_b64 s[0:1]
	s_add_u32 s0, s0, __PRETTY_FUNCTION__._Z38paged_attention_ll4mi_QKV_mfma4_kernelIDF16_hLN4vllm18Fp8KVCacheDataTypeE1EDF16_Li16ELi128ELi256ELb1ELi2EEvPKT_PKT0_S7_ifPKiS9_S9_iPKfiiiPfSC_PS2_PT2_iSB_SB_@rel32@lo+4
	s_addc_u32 s1, s1, __PRETTY_FUNCTION__._Z38paged_attention_ll4mi_QKV_mfma4_kernelIDF16_hLN4vllm18Fp8KVCacheDataTypeE1EDF16_Li16ELi128ELi256ELb1ELi2EEvPKT_PKT0_S7_ifPKiS9_S9_iPKfiiiPfSC_PS2_PT2_iSB_SB_@rel32@hi+12
	s_delay_alu instid0(SALU_CYCLE_1) | instskip(SKIP_4) | instid1(SALU_CYCLE_1)
	v_dual_mov_b32 v0, s0 :: v_dual_mov_b32 v1, s1
	s_mov_b32 s32, 0
	s_getpc_b64 s[2:3]
	s_add_u32 s2, s2, __assert_fail@rel32@lo+4
	s_addc_u32 s3, s3, __assert_fail@rel32@hi+12
	s_swappc_b64 s[30:31], s[2:3]
	.section	.rodata,"a",@progbits
	.p2align	6, 0x0
	.amdhsa_kernel _Z38paged_attention_ll4mi_QKV_mfma4_kernelIDF16_hLN4vllm18Fp8KVCacheDataTypeE1EDF16_Li16ELi128ELi256ELb1ELi2EEvPKT_PKT0_S7_ifPKiS9_S9_iPKfiiiPfSC_PS2_PT2_iSB_SB_
		.amdhsa_group_segment_fixed_size 0
		.amdhsa_private_segment_fixed_size 64
		.amdhsa_kernarg_size 400
		.amdhsa_user_sgpr_count 15
		.amdhsa_user_sgpr_dispatch_ptr 0
		.amdhsa_user_sgpr_queue_ptr 0
		.amdhsa_user_sgpr_kernarg_segment_ptr 1
		.amdhsa_user_sgpr_dispatch_id 0
		.amdhsa_user_sgpr_private_segment_size 0
		.amdhsa_wavefront_size32 1
		.amdhsa_uses_dynamic_stack 0
		.amdhsa_enable_private_segment 1
		.amdhsa_system_sgpr_workgroup_id_x 1
		.amdhsa_system_sgpr_workgroup_id_y 0
		.amdhsa_system_sgpr_workgroup_id_z 0
		.amdhsa_system_sgpr_workgroup_info 0
		.amdhsa_system_vgpr_workitem_id 0
		.amdhsa_next_free_vgpr 41
		.amdhsa_next_free_sgpr 34
		.amdhsa_reserve_vcc 1
		.amdhsa_float_round_mode_32 0
		.amdhsa_float_round_mode_16_64 0
		.amdhsa_float_denorm_mode_32 3
		.amdhsa_float_denorm_mode_16_64 3
		.amdhsa_dx10_clamp 1
		.amdhsa_ieee_mode 1
		.amdhsa_fp16_overflow 0
		.amdhsa_workgroup_processor_mode 1
		.amdhsa_memory_ordered 1
		.amdhsa_forward_progress 0
		.amdhsa_shared_vgpr_count 0
		.amdhsa_exception_fp_ieee_invalid_op 0
		.amdhsa_exception_fp_denorm_src 0
		.amdhsa_exception_fp_ieee_div_zero 0
		.amdhsa_exception_fp_ieee_overflow 0
		.amdhsa_exception_fp_ieee_underflow 0
		.amdhsa_exception_fp_ieee_inexact 0
		.amdhsa_exception_int_div_zero 0
	.end_amdhsa_kernel
	.section	.text._Z38paged_attention_ll4mi_QKV_mfma4_kernelIDF16_hLN4vllm18Fp8KVCacheDataTypeE1EDF16_Li16ELi128ELi256ELb1ELi2EEvPKT_PKT0_S7_ifPKiS9_S9_iPKfiiiPfSC_PS2_PT2_iSB_SB_,"axG",@progbits,_Z38paged_attention_ll4mi_QKV_mfma4_kernelIDF16_hLN4vllm18Fp8KVCacheDataTypeE1EDF16_Li16ELi128ELi256ELb1ELi2EEvPKT_PKT0_S7_ifPKiS9_S9_iPKfiiiPfSC_PS2_PT2_iSB_SB_,comdat
.Lfunc_end971:
	.size	_Z38paged_attention_ll4mi_QKV_mfma4_kernelIDF16_hLN4vllm18Fp8KVCacheDataTypeE1EDF16_Li16ELi128ELi256ELb1ELi2EEvPKT_PKT0_S7_ifPKiS9_S9_iPKfiiiPfSC_PS2_PT2_iSB_SB_, .Lfunc_end971-_Z38paged_attention_ll4mi_QKV_mfma4_kernelIDF16_hLN4vllm18Fp8KVCacheDataTypeE1EDF16_Li16ELi128ELi256ELb1ELi2EEvPKT_PKT0_S7_ifPKiS9_S9_iPKfiiiPfSC_PS2_PT2_iSB_SB_
                                        ; -- End function
	.section	.AMDGPU.csdata,"",@progbits
; Kernel info:
; codeLenInByte = 72
; NumSgprs: 36
; NumVgprs: 41
; ScratchSize: 64
; MemoryBound: 0
; FloatMode: 240
; IeeeMode: 1
; LDSByteSize: 0 bytes/workgroup (compile time only)
; SGPRBlocks: 4
; VGPRBlocks: 5
; NumSGPRsForWavesPerEU: 36
; NumVGPRsForWavesPerEU: 41
; Occupancy: 16
; WaveLimiterHint : 1
; COMPUTE_PGM_RSRC2:SCRATCH_EN: 1
; COMPUTE_PGM_RSRC2:USER_SGPR: 15
; COMPUTE_PGM_RSRC2:TRAP_HANDLER: 0
; COMPUTE_PGM_RSRC2:TGID_X_EN: 1
; COMPUTE_PGM_RSRC2:TGID_Y_EN: 0
; COMPUTE_PGM_RSRC2:TGID_Z_EN: 0
; COMPUTE_PGM_RSRC2:TIDIG_COMP_CNT: 0
	.section	.text._Z38paged_attention_ll4mi_QKV_mfma4_kernelIDF16_hLN4vllm18Fp8KVCacheDataTypeE1EDF16_Li16ELi128ELi256ELb1ELi3EEvPKT_PKT0_S7_ifPKiS9_S9_iPKfiiiPfSC_PS2_PT2_iSB_SB_,"axG",@progbits,_Z38paged_attention_ll4mi_QKV_mfma4_kernelIDF16_hLN4vllm18Fp8KVCacheDataTypeE1EDF16_Li16ELi128ELi256ELb1ELi3EEvPKT_PKT0_S7_ifPKiS9_S9_iPKfiiiPfSC_PS2_PT2_iSB_SB_,comdat
	.protected	_Z38paged_attention_ll4mi_QKV_mfma4_kernelIDF16_hLN4vllm18Fp8KVCacheDataTypeE1EDF16_Li16ELi128ELi256ELb1ELi3EEvPKT_PKT0_S7_ifPKiS9_S9_iPKfiiiPfSC_PS2_PT2_iSB_SB_ ; -- Begin function _Z38paged_attention_ll4mi_QKV_mfma4_kernelIDF16_hLN4vllm18Fp8KVCacheDataTypeE1EDF16_Li16ELi128ELi256ELb1ELi3EEvPKT_PKT0_S7_ifPKiS9_S9_iPKfiiiPfSC_PS2_PT2_iSB_SB_
	.globl	_Z38paged_attention_ll4mi_QKV_mfma4_kernelIDF16_hLN4vllm18Fp8KVCacheDataTypeE1EDF16_Li16ELi128ELi256ELb1ELi3EEvPKT_PKT0_S7_ifPKiS9_S9_iPKfiiiPfSC_PS2_PT2_iSB_SB_
	.p2align	8
	.type	_Z38paged_attention_ll4mi_QKV_mfma4_kernelIDF16_hLN4vllm18Fp8KVCacheDataTypeE1EDF16_Li16ELi128ELi256ELb1ELi3EEvPKT_PKT0_S7_ifPKiS9_S9_iPKfiiiPfSC_PS2_PT2_iSB_SB_,@function
_Z38paged_attention_ll4mi_QKV_mfma4_kernelIDF16_hLN4vllm18Fp8KVCacheDataTypeE1EDF16_Li16ELi128ELi256ELb1ELi3EEvPKT_PKT0_S7_ifPKiS9_S9_iPKfiiiPfSC_PS2_PT2_iSB_SB_: ; @_Z38paged_attention_ll4mi_QKV_mfma4_kernelIDF16_hLN4vllm18Fp8KVCacheDataTypeE1EDF16_Li16ELi128ELi256ELb1ELi3EEvPKT_PKT0_S7_ifPKiS9_S9_iPKfiiiPfSC_PS2_PT2_iSB_SB_
; %bb.0:
	s_add_u32 s8, s0, 0x90
	s_addc_u32 s9, s1, 0
	s_getpc_b64 s[0:1]
	s_add_u32 s0, s0, __PRETTY_FUNCTION__._Z38paged_attention_ll4mi_QKV_mfma4_kernelIDF16_hLN4vllm18Fp8KVCacheDataTypeE1EDF16_Li16ELi128ELi256ELb1ELi3EEvPKT_PKT0_S7_ifPKiS9_S9_iPKfiiiPfSC_PS2_PT2_iSB_SB_@rel32@lo+4
	s_addc_u32 s1, s1, __PRETTY_FUNCTION__._Z38paged_attention_ll4mi_QKV_mfma4_kernelIDF16_hLN4vllm18Fp8KVCacheDataTypeE1EDF16_Li16ELi128ELi256ELb1ELi3EEvPKT_PKT0_S7_ifPKiS9_S9_iPKfiiiPfSC_PS2_PT2_iSB_SB_@rel32@hi+12
	s_delay_alu instid0(SALU_CYCLE_1) | instskip(SKIP_4) | instid1(SALU_CYCLE_1)
	v_dual_mov_b32 v0, s0 :: v_dual_mov_b32 v1, s1
	s_mov_b32 s32, 0
	s_getpc_b64 s[2:3]
	s_add_u32 s2, s2, __assert_fail@rel32@lo+4
	s_addc_u32 s3, s3, __assert_fail@rel32@hi+12
	s_swappc_b64 s[30:31], s[2:3]
	.section	.rodata,"a",@progbits
	.p2align	6, 0x0
	.amdhsa_kernel _Z38paged_attention_ll4mi_QKV_mfma4_kernelIDF16_hLN4vllm18Fp8KVCacheDataTypeE1EDF16_Li16ELi128ELi256ELb1ELi3EEvPKT_PKT0_S7_ifPKiS9_S9_iPKfiiiPfSC_PS2_PT2_iSB_SB_
		.amdhsa_group_segment_fixed_size 0
		.amdhsa_private_segment_fixed_size 64
		.amdhsa_kernarg_size 400
		.amdhsa_user_sgpr_count 15
		.amdhsa_user_sgpr_dispatch_ptr 0
		.amdhsa_user_sgpr_queue_ptr 0
		.amdhsa_user_sgpr_kernarg_segment_ptr 1
		.amdhsa_user_sgpr_dispatch_id 0
		.amdhsa_user_sgpr_private_segment_size 0
		.amdhsa_wavefront_size32 1
		.amdhsa_uses_dynamic_stack 0
		.amdhsa_enable_private_segment 1
		.amdhsa_system_sgpr_workgroup_id_x 1
		.amdhsa_system_sgpr_workgroup_id_y 0
		.amdhsa_system_sgpr_workgroup_id_z 0
		.amdhsa_system_sgpr_workgroup_info 0
		.amdhsa_system_vgpr_workitem_id 0
		.amdhsa_next_free_vgpr 41
		.amdhsa_next_free_sgpr 34
		.amdhsa_reserve_vcc 1
		.amdhsa_float_round_mode_32 0
		.amdhsa_float_round_mode_16_64 0
		.amdhsa_float_denorm_mode_32 3
		.amdhsa_float_denorm_mode_16_64 3
		.amdhsa_dx10_clamp 1
		.amdhsa_ieee_mode 1
		.amdhsa_fp16_overflow 0
		.amdhsa_workgroup_processor_mode 1
		.amdhsa_memory_ordered 1
		.amdhsa_forward_progress 0
		.amdhsa_shared_vgpr_count 0
		.amdhsa_exception_fp_ieee_invalid_op 0
		.amdhsa_exception_fp_denorm_src 0
		.amdhsa_exception_fp_ieee_div_zero 0
		.amdhsa_exception_fp_ieee_overflow 0
		.amdhsa_exception_fp_ieee_underflow 0
		.amdhsa_exception_fp_ieee_inexact 0
		.amdhsa_exception_int_div_zero 0
	.end_amdhsa_kernel
	.section	.text._Z38paged_attention_ll4mi_QKV_mfma4_kernelIDF16_hLN4vllm18Fp8KVCacheDataTypeE1EDF16_Li16ELi128ELi256ELb1ELi3EEvPKT_PKT0_S7_ifPKiS9_S9_iPKfiiiPfSC_PS2_PT2_iSB_SB_,"axG",@progbits,_Z38paged_attention_ll4mi_QKV_mfma4_kernelIDF16_hLN4vllm18Fp8KVCacheDataTypeE1EDF16_Li16ELi128ELi256ELb1ELi3EEvPKT_PKT0_S7_ifPKiS9_S9_iPKfiiiPfSC_PS2_PT2_iSB_SB_,comdat
.Lfunc_end972:
	.size	_Z38paged_attention_ll4mi_QKV_mfma4_kernelIDF16_hLN4vllm18Fp8KVCacheDataTypeE1EDF16_Li16ELi128ELi256ELb1ELi3EEvPKT_PKT0_S7_ifPKiS9_S9_iPKfiiiPfSC_PS2_PT2_iSB_SB_, .Lfunc_end972-_Z38paged_attention_ll4mi_QKV_mfma4_kernelIDF16_hLN4vllm18Fp8KVCacheDataTypeE1EDF16_Li16ELi128ELi256ELb1ELi3EEvPKT_PKT0_S7_ifPKiS9_S9_iPKfiiiPfSC_PS2_PT2_iSB_SB_
                                        ; -- End function
	.section	.AMDGPU.csdata,"",@progbits
; Kernel info:
; codeLenInByte = 72
; NumSgprs: 36
; NumVgprs: 41
; ScratchSize: 64
; MemoryBound: 0
; FloatMode: 240
; IeeeMode: 1
; LDSByteSize: 0 bytes/workgroup (compile time only)
; SGPRBlocks: 4
; VGPRBlocks: 5
; NumSGPRsForWavesPerEU: 36
; NumVGPRsForWavesPerEU: 41
; Occupancy: 16
; WaveLimiterHint : 1
; COMPUTE_PGM_RSRC2:SCRATCH_EN: 1
; COMPUTE_PGM_RSRC2:USER_SGPR: 15
; COMPUTE_PGM_RSRC2:TRAP_HANDLER: 0
; COMPUTE_PGM_RSRC2:TGID_X_EN: 1
; COMPUTE_PGM_RSRC2:TGID_Y_EN: 0
; COMPUTE_PGM_RSRC2:TGID_Z_EN: 0
; COMPUTE_PGM_RSRC2:TIDIG_COMP_CNT: 0
	.section	.text._Z38paged_attention_ll4mi_QKV_mfma4_kernelIDF16_hLN4vllm18Fp8KVCacheDataTypeE1EDF16_Li16ELi128ELi256ELb1ELi4EEvPKT_PKT0_S7_ifPKiS9_S9_iPKfiiiPfSC_PS2_PT2_iSB_SB_,"axG",@progbits,_Z38paged_attention_ll4mi_QKV_mfma4_kernelIDF16_hLN4vllm18Fp8KVCacheDataTypeE1EDF16_Li16ELi128ELi256ELb1ELi4EEvPKT_PKT0_S7_ifPKiS9_S9_iPKfiiiPfSC_PS2_PT2_iSB_SB_,comdat
	.protected	_Z38paged_attention_ll4mi_QKV_mfma4_kernelIDF16_hLN4vllm18Fp8KVCacheDataTypeE1EDF16_Li16ELi128ELi256ELb1ELi4EEvPKT_PKT0_S7_ifPKiS9_S9_iPKfiiiPfSC_PS2_PT2_iSB_SB_ ; -- Begin function _Z38paged_attention_ll4mi_QKV_mfma4_kernelIDF16_hLN4vllm18Fp8KVCacheDataTypeE1EDF16_Li16ELi128ELi256ELb1ELi4EEvPKT_PKT0_S7_ifPKiS9_S9_iPKfiiiPfSC_PS2_PT2_iSB_SB_
	.globl	_Z38paged_attention_ll4mi_QKV_mfma4_kernelIDF16_hLN4vllm18Fp8KVCacheDataTypeE1EDF16_Li16ELi128ELi256ELb1ELi4EEvPKT_PKT0_S7_ifPKiS9_S9_iPKfiiiPfSC_PS2_PT2_iSB_SB_
	.p2align	8
	.type	_Z38paged_attention_ll4mi_QKV_mfma4_kernelIDF16_hLN4vllm18Fp8KVCacheDataTypeE1EDF16_Li16ELi128ELi256ELb1ELi4EEvPKT_PKT0_S7_ifPKiS9_S9_iPKfiiiPfSC_PS2_PT2_iSB_SB_,@function
_Z38paged_attention_ll4mi_QKV_mfma4_kernelIDF16_hLN4vllm18Fp8KVCacheDataTypeE1EDF16_Li16ELi128ELi256ELb1ELi4EEvPKT_PKT0_S7_ifPKiS9_S9_iPKfiiiPfSC_PS2_PT2_iSB_SB_: ; @_Z38paged_attention_ll4mi_QKV_mfma4_kernelIDF16_hLN4vllm18Fp8KVCacheDataTypeE1EDF16_Li16ELi128ELi256ELb1ELi4EEvPKT_PKT0_S7_ifPKiS9_S9_iPKfiiiPfSC_PS2_PT2_iSB_SB_
; %bb.0:
	s_add_u32 s8, s0, 0x90
	s_addc_u32 s9, s1, 0
	s_getpc_b64 s[0:1]
	s_add_u32 s0, s0, __PRETTY_FUNCTION__._Z38paged_attention_ll4mi_QKV_mfma4_kernelIDF16_hLN4vllm18Fp8KVCacheDataTypeE1EDF16_Li16ELi128ELi256ELb1ELi4EEvPKT_PKT0_S7_ifPKiS9_S9_iPKfiiiPfSC_PS2_PT2_iSB_SB_@rel32@lo+4
	s_addc_u32 s1, s1, __PRETTY_FUNCTION__._Z38paged_attention_ll4mi_QKV_mfma4_kernelIDF16_hLN4vllm18Fp8KVCacheDataTypeE1EDF16_Li16ELi128ELi256ELb1ELi4EEvPKT_PKT0_S7_ifPKiS9_S9_iPKfiiiPfSC_PS2_PT2_iSB_SB_@rel32@hi+12
	s_delay_alu instid0(SALU_CYCLE_1) | instskip(SKIP_4) | instid1(SALU_CYCLE_1)
	v_dual_mov_b32 v0, s0 :: v_dual_mov_b32 v1, s1
	s_mov_b32 s32, 0
	s_getpc_b64 s[2:3]
	s_add_u32 s2, s2, __assert_fail@rel32@lo+4
	s_addc_u32 s3, s3, __assert_fail@rel32@hi+12
	s_swappc_b64 s[30:31], s[2:3]
	.section	.rodata,"a",@progbits
	.p2align	6, 0x0
	.amdhsa_kernel _Z38paged_attention_ll4mi_QKV_mfma4_kernelIDF16_hLN4vllm18Fp8KVCacheDataTypeE1EDF16_Li16ELi128ELi256ELb1ELi4EEvPKT_PKT0_S7_ifPKiS9_S9_iPKfiiiPfSC_PS2_PT2_iSB_SB_
		.amdhsa_group_segment_fixed_size 0
		.amdhsa_private_segment_fixed_size 64
		.amdhsa_kernarg_size 400
		.amdhsa_user_sgpr_count 15
		.amdhsa_user_sgpr_dispatch_ptr 0
		.amdhsa_user_sgpr_queue_ptr 0
		.amdhsa_user_sgpr_kernarg_segment_ptr 1
		.amdhsa_user_sgpr_dispatch_id 0
		.amdhsa_user_sgpr_private_segment_size 0
		.amdhsa_wavefront_size32 1
		.amdhsa_uses_dynamic_stack 0
		.amdhsa_enable_private_segment 1
		.amdhsa_system_sgpr_workgroup_id_x 1
		.amdhsa_system_sgpr_workgroup_id_y 0
		.amdhsa_system_sgpr_workgroup_id_z 0
		.amdhsa_system_sgpr_workgroup_info 0
		.amdhsa_system_vgpr_workitem_id 0
		.amdhsa_next_free_vgpr 41
		.amdhsa_next_free_sgpr 34
		.amdhsa_reserve_vcc 1
		.amdhsa_float_round_mode_32 0
		.amdhsa_float_round_mode_16_64 0
		.amdhsa_float_denorm_mode_32 3
		.amdhsa_float_denorm_mode_16_64 3
		.amdhsa_dx10_clamp 1
		.amdhsa_ieee_mode 1
		.amdhsa_fp16_overflow 0
		.amdhsa_workgroup_processor_mode 1
		.amdhsa_memory_ordered 1
		.amdhsa_forward_progress 0
		.amdhsa_shared_vgpr_count 0
		.amdhsa_exception_fp_ieee_invalid_op 0
		.amdhsa_exception_fp_denorm_src 0
		.amdhsa_exception_fp_ieee_div_zero 0
		.amdhsa_exception_fp_ieee_overflow 0
		.amdhsa_exception_fp_ieee_underflow 0
		.amdhsa_exception_fp_ieee_inexact 0
		.amdhsa_exception_int_div_zero 0
	.end_amdhsa_kernel
	.section	.text._Z38paged_attention_ll4mi_QKV_mfma4_kernelIDF16_hLN4vllm18Fp8KVCacheDataTypeE1EDF16_Li16ELi128ELi256ELb1ELi4EEvPKT_PKT0_S7_ifPKiS9_S9_iPKfiiiPfSC_PS2_PT2_iSB_SB_,"axG",@progbits,_Z38paged_attention_ll4mi_QKV_mfma4_kernelIDF16_hLN4vllm18Fp8KVCacheDataTypeE1EDF16_Li16ELi128ELi256ELb1ELi4EEvPKT_PKT0_S7_ifPKiS9_S9_iPKfiiiPfSC_PS2_PT2_iSB_SB_,comdat
.Lfunc_end973:
	.size	_Z38paged_attention_ll4mi_QKV_mfma4_kernelIDF16_hLN4vllm18Fp8KVCacheDataTypeE1EDF16_Li16ELi128ELi256ELb1ELi4EEvPKT_PKT0_S7_ifPKiS9_S9_iPKfiiiPfSC_PS2_PT2_iSB_SB_, .Lfunc_end973-_Z38paged_attention_ll4mi_QKV_mfma4_kernelIDF16_hLN4vllm18Fp8KVCacheDataTypeE1EDF16_Li16ELi128ELi256ELb1ELi4EEvPKT_PKT0_S7_ifPKiS9_S9_iPKfiiiPfSC_PS2_PT2_iSB_SB_
                                        ; -- End function
	.section	.AMDGPU.csdata,"",@progbits
; Kernel info:
; codeLenInByte = 72
; NumSgprs: 36
; NumVgprs: 41
; ScratchSize: 64
; MemoryBound: 0
; FloatMode: 240
; IeeeMode: 1
; LDSByteSize: 0 bytes/workgroup (compile time only)
; SGPRBlocks: 4
; VGPRBlocks: 5
; NumSGPRsForWavesPerEU: 36
; NumVGPRsForWavesPerEU: 41
; Occupancy: 16
; WaveLimiterHint : 1
; COMPUTE_PGM_RSRC2:SCRATCH_EN: 1
; COMPUTE_PGM_RSRC2:USER_SGPR: 15
; COMPUTE_PGM_RSRC2:TRAP_HANDLER: 0
; COMPUTE_PGM_RSRC2:TGID_X_EN: 1
; COMPUTE_PGM_RSRC2:TGID_Y_EN: 0
; COMPUTE_PGM_RSRC2:TGID_Z_EN: 0
; COMPUTE_PGM_RSRC2:TIDIG_COMP_CNT: 0
	.section	.text._Z39paged_attention_ll4mi_QKV_mfma16_kernelIDF16_hLN4vllm18Fp8KVCacheDataTypeE1EDF16_Li16ELi128ELi256ELb1ELi5EL8MFMAType1EEvPKT_PKT0_S8_ifPKiSA_SA_iPKfiiiPfSD_PS3_PT2_iSC_SC_,"axG",@progbits,_Z39paged_attention_ll4mi_QKV_mfma16_kernelIDF16_hLN4vllm18Fp8KVCacheDataTypeE1EDF16_Li16ELi128ELi256ELb1ELi5EL8MFMAType1EEvPKT_PKT0_S8_ifPKiSA_SA_iPKfiiiPfSD_PS3_PT2_iSC_SC_,comdat
	.protected	_Z39paged_attention_ll4mi_QKV_mfma16_kernelIDF16_hLN4vllm18Fp8KVCacheDataTypeE1EDF16_Li16ELi128ELi256ELb1ELi5EL8MFMAType1EEvPKT_PKT0_S8_ifPKiSA_SA_iPKfiiiPfSD_PS3_PT2_iSC_SC_ ; -- Begin function _Z39paged_attention_ll4mi_QKV_mfma16_kernelIDF16_hLN4vllm18Fp8KVCacheDataTypeE1EDF16_Li16ELi128ELi256ELb1ELi5EL8MFMAType1EEvPKT_PKT0_S8_ifPKiSA_SA_iPKfiiiPfSD_PS3_PT2_iSC_SC_
	.globl	_Z39paged_attention_ll4mi_QKV_mfma16_kernelIDF16_hLN4vllm18Fp8KVCacheDataTypeE1EDF16_Li16ELi128ELi256ELb1ELi5EL8MFMAType1EEvPKT_PKT0_S8_ifPKiSA_SA_iPKfiiiPfSD_PS3_PT2_iSC_SC_
	.p2align	8
	.type	_Z39paged_attention_ll4mi_QKV_mfma16_kernelIDF16_hLN4vllm18Fp8KVCacheDataTypeE1EDF16_Li16ELi128ELi256ELb1ELi5EL8MFMAType1EEvPKT_PKT0_S8_ifPKiSA_SA_iPKfiiiPfSD_PS3_PT2_iSC_SC_,@function
_Z39paged_attention_ll4mi_QKV_mfma16_kernelIDF16_hLN4vllm18Fp8KVCacheDataTypeE1EDF16_Li16ELi128ELi256ELb1ELi5EL8MFMAType1EEvPKT_PKT0_S8_ifPKiSA_SA_iPKfiiiPfSD_PS3_PT2_iSC_SC_: ; @_Z39paged_attention_ll4mi_QKV_mfma16_kernelIDF16_hLN4vllm18Fp8KVCacheDataTypeE1EDF16_Li16ELi128ELi256ELb1ELi5EL8MFMAType1EEvPKT_PKT0_S8_ifPKiSA_SA_iPKfiiiPfSD_PS3_PT2_iSC_SC_
; %bb.0:
	s_load_b64 s[4:5], s[0:1], 0x30
	s_mov_b32 s34, s13
	s_waitcnt lgkmcnt(0)
	s_cmp_lg_u64 s[4:5], 0
	s_cselect_b32 s8, -1, 0
	s_ashr_i32 s35, s13, 31
	s_cmp_eq_u64 s[4:5], 0
	s_cbranch_scc1 .LBB974_3
; %bb.1:
	s_lshl_b64 s[2:3], s[34:35], 2
	s_delay_alu instid0(SALU_CYCLE_1) | instskip(SKIP_4) | instid1(SALU_CYCLE_1)
	s_add_u32 s2, s4, s2
	s_addc_u32 s3, s5, s3
	s_load_b64 s[2:3], s[2:3], 0x0
	s_waitcnt lgkmcnt(0)
	s_sub_i32 s2, s3, s2
	s_cmp_eq_u32 s2, 1
	s_cselect_b32 s2, -1, 0
	s_delay_alu instid0(SALU_CYCLE_1)
	s_and_not1_b32 vcc_lo, exec_lo, s2
	s_cbranch_vccz .LBB974_4
.LBB974_2:
	s_nop 0
	s_sendmsg sendmsg(MSG_DEALLOC_VGPRS)
	s_endpgm
.LBB974_3:
.LBB974_4:
	s_load_b64 s[2:3], s[0:1], 0x28
	s_lshl_b64 s[6:7], s[34:35], 2
	s_waitcnt lgkmcnt(0)
	s_add_u32 s2, s2, s6
	s_addc_u32 s3, s3, s7
	s_lshl_b32 s12, s14, 8
	s_load_b32 s24, s[2:3], 0x0
	s_waitcnt lgkmcnt(0)
	s_cmp_ge_i32 s12, s24
	s_cbranch_scc1 .LBB974_2
; %bb.5:
	s_clause 0x1
	s_load_b128 s[20:23], s[0:1], 0x8
	s_load_b64 s[2:3], s[0:1], 0x20
	s_and_not1_b32 vcc_lo, exec_lo, s8
	s_cbranch_vccnz .LBB974_7
; %bb.6:
	s_add_u32 s4, s4, s6
	s_addc_u32 s5, s5, s7
	s_load_b32 s5, s[4:5], 0x0
	s_branch .LBB974_8
.LBB974_7:
	s_mov_b32 s5, s34
.LBB974_8:
	s_load_b128 s[16:19], s[0:1], 0x48
	v_and_b32_e32 v68, 15, v0
	v_lshrrev_b32_e32 v69, 5, v0
	v_bfe_u32 v66, v0, 4, 1
	v_and_b32_e32 v70, 31, v0
	v_and_b32_e32 v67, 1, v0
	v_lshlrev_b32_e32 v2, 3, v68
	s_mul_i32 s31, s15, 5
	v_lshl_or_b32 v1, v69, 1, v66
	s_mov_b32 s4, exec_lo
	s_delay_alu instid0(VALU_DEP_2) | instskip(NEXT) | instid1(VALU_DEP_2)
	v_lshlrev_b32_e32 v65, 1, v2
	v_cmpx_gt_u32_e32 5, v1
	s_cbranch_execz .LBB974_10
; %bb.9:
	s_load_b64 s[6:7], s[0:1], 0x0
	v_add_lshl_u32 v2, v1, s31, 7
	s_waitcnt lgkmcnt(0)
	s_mul_hi_i32 s9, s5, s16
	s_mul_i32 s8, s5, s16
	v_lshlrev_b32_e32 v6, 10, v68
	s_lshl_b64 s[8:9], s[8:9], 1
	v_ashrrev_i32_e32 v3, 31, v2
	v_lshlrev_b32_e32 v1, 6, v1
	v_lshlrev_b32_e32 v7, 10, v67
	v_and_b32_e32 v6, 0x3800, v6
	s_delay_alu instid0(VALU_DEP_4) | instskip(NEXT) | instid1(VALU_DEP_2)
	v_lshlrev_b64 v[2:3], 1, v[2:3]
	v_or3_b32 v1, v6, v7, v1
	s_add_u32 s5, s6, s8
	s_addc_u32 s6, s7, s9
	s_delay_alu instid0(VALU_DEP_2) | instskip(NEXT) | instid1(VALU_DEP_3)
	v_add_co_u32 v2, vcc_lo, s5, v2
	v_add_co_ci_u32_e32 v3, vcc_lo, s6, v3, vcc_lo
	s_delay_alu instid0(VALU_DEP_2) | instskip(NEXT) | instid1(VALU_DEP_2)
	v_add_co_u32 v2, vcc_lo, v2, v65
	v_add_co_ci_u32_e32 v3, vcc_lo, 0, v3, vcc_lo
	global_load_b128 v[2:5], v[2:3], off
	s_waitcnt vmcnt(0)
	ds_store_b128 v1, v[2:5]
.LBB974_10:
	s_or_b32 exec_lo, exec_lo, s4
	v_and_b32_e32 v1, 0xef, v0
	s_waitcnt lgkmcnt(0)
	s_add_i32 s5, s24, 15
	s_clause 0x1
	s_load_b32 s4, s[0:1], 0x38
	s_load_b32 s33, s[0:1], 0x98
	s_ashr_i32 s6, s5, 31
	v_add_nc_u32_e32 v1, s12, v1
	s_lshr_b32 s6, s6, 28
	s_load_b32 s19, s[0:1], 0x1c
	s_add_i32 s5, s5, s6
	s_waitcnt lgkmcnt(0)
	v_ashrrev_i32_e32 v2, 31, v1
	v_or_b32_e32 v3, 16, v1
	s_ashr_i32 s13, s5, 4
	v_cmp_gt_i32_e32 vcc_lo, s24, v1
	s_add_i32 s13, s13, -1
	v_lshrrev_b32_e32 v2, 28, v2
	s_barrier
	buffer_gl0_inv
	s_mul_i32 s15, s15, s18
	v_add_nc_u32_e32 v4, v1, v2
	s_mul_i32 s4, s34, s4
	s_delay_alu instid0(SALU_CYCLE_1) | instskip(NEXT) | instid1(VALU_DEP_1)
	s_ashr_i32 s5, s4, 31
	v_ashrrev_i32_e32 v4, 4, v4
	v_add_nc_u32_e32 v2, v3, v2
	s_lshl_b64 s[4:5], s[4:5], 2
	s_delay_alu instid0(SALU_CYCLE_1) | instskip(NEXT) | instid1(VALU_DEP_2)
	s_add_u32 s16, s2, s4
	v_cndmask_b32_e32 v1, s13, v4, vcc_lo
	s_delay_alu instid0(VALU_DEP_2)
	v_ashrrev_i32_e32 v2, 4, v2
	v_cmp_gt_i32_e32 vcc_lo, s24, v3
	s_addc_u32 s25, s3, s5
	s_ashr_i32 s18, s15, 31
	s_add_u32 s26, s20, s15
	s_addc_u32 s27, s21, s18
	v_cndmask_b32_e32 v3, s13, v2, vcc_lo
	v_ashrrev_i32_e32 v2, 31, v1
	s_lshl_b32 s2, s14, 4
	s_delay_alu instid0(SALU_CYCLE_1) | instskip(NEXT) | instid1(VALU_DEP_2)
	s_ashr_i32 s3, s2, 31
	v_ashrrev_i32_e32 v4, 31, v3
	s_delay_alu instid0(VALU_DEP_2) | instskip(SKIP_1) | instid1(SALU_CYCLE_1)
	v_lshlrev_b64 v[1:2], 2, v[1:2]
	s_lshl_b64 s[2:3], s[2:3], 2
	s_add_u32 s2, s16, s2
	s_delay_alu instid0(VALU_DEP_2) | instskip(SKIP_1) | instid1(VALU_DEP_2)
	v_lshlrev_b64 v[3:4], 2, v[3:4]
	s_addc_u32 s3, s25, s3
	v_add_co_u32 v1, vcc_lo, s16, v1
	v_add_co_ci_u32_e32 v2, vcc_lo, s25, v2, vcc_lo
	s_delay_alu instid0(VALU_DEP_3) | instskip(NEXT) | instid1(VALU_DEP_4)
	v_add_co_u32 v3, vcc_lo, s16, v3
	v_add_co_ci_u32_e32 v4, vcc_lo, s25, v4, vcc_lo
	s_clause 0x1
	global_load_b32 v5, v[1:2], off
	global_load_b32 v7, v[3:4], off
	s_or_b32 s4, s12, 32
	v_lshlrev_b32_e32 v1, 4, v0
	s_ashr_i32 s5, s4, 4
	s_cmp_lt_i32 s4, s24
	s_cselect_b32 s4, s5, s13
	s_delay_alu instid0(VALU_DEP_1) | instskip(SKIP_1) | instid1(SALU_CYCLE_1)
	v_and_b32_e32 v1, 0xf0, v1
	s_ashr_i32 s5, s4, 31
	s_lshl_b64 s[4:5], s[4:5], 2
	s_delay_alu instid0(SALU_CYCLE_1)
	s_add_u32 s4, s16, s4
	s_addc_u32 s5, s25, s5
	s_or_b32 s6, s12, 64
	v_add_co_u32 v1, s26, s26, v1
	s_ashr_i32 s7, s6, 4
	s_cmp_lt_i32 s6, s24
	v_add_co_ci_u32_e64 v2, null, s27, 0, s26
	s_cselect_b32 s6, s7, s13
	s_delay_alu instid0(SALU_CYCLE_1) | instskip(NEXT) | instid1(SALU_CYCLE_1)
	s_ashr_i32 s7, s6, 31
	s_lshl_b64 s[6:7], s[6:7], 2
	s_delay_alu instid0(SALU_CYCLE_1) | instskip(SKIP_2) | instid1(SALU_CYCLE_1)
	s_add_u32 s6, s16, s6
	s_addc_u32 s7, s25, s7
	s_or_b32 s8, s12, 0x60
	s_ashr_i32 s9, s8, 4
	s_cmp_lt_i32 s8, s24
	s_cselect_b32 s8, s9, s13
	s_delay_alu instid0(SALU_CYCLE_1) | instskip(NEXT) | instid1(SALU_CYCLE_1)
	s_ashr_i32 s9, s8, 31
	s_lshl_b64 s[8:9], s[8:9], 2
	s_delay_alu instid0(SALU_CYCLE_1) | instskip(SKIP_2) | instid1(SALU_CYCLE_1)
	s_add_u32 s8, s16, s8
	s_addc_u32 s9, s25, s9
	s_or_b32 s10, s12, 0x80
	s_ashr_i32 s11, s10, 4
	s_cmp_lt_i32 s10, s24
	s_cselect_b32 s10, s11, s13
	s_delay_alu instid0(SALU_CYCLE_1) | instskip(NEXT) | instid1(SALU_CYCLE_1)
	s_ashr_i32 s11, s10, 31
	s_lshl_b64 s[10:11], s[10:11], 2
	s_delay_alu instid0(SALU_CYCLE_1) | instskip(SKIP_2) | instid1(SALU_CYCLE_1)
	s_add_u32 s10, s16, s10
	s_addc_u32 s11, s25, s11
	s_or_b32 s20, s12, 0xa0
	s_ashr_i32 s21, s20, 4
	s_cmp_lt_i32 s20, s24
	s_cselect_b32 s20, s21, s13
	s_delay_alu instid0(SALU_CYCLE_1) | instskip(NEXT) | instid1(SALU_CYCLE_1)
	s_ashr_i32 s21, s20, 31
	s_lshl_b64 s[20:21], s[20:21], 2
	s_delay_alu instid0(SALU_CYCLE_1)
	s_add_u32 s20, s16, s20
	s_addc_u32 s21, s25, s21
	s_clause 0x5
	s_load_b32 s26, s[2:3], 0x0
	s_load_b32 s27, s[4:5], 0x0
	;; [unrolled: 1-line block ×6, first 2 shown]
	s_or_b32 s2, s12, 0xc0
	s_mov_b32 s4, 0
	s_ashr_i32 s3, s2, 4
	s_cmp_lt_i32 s2, s24
	s_mov_b32 s11, s4
	s_cselect_b32 s2, s3, s13
	s_mov_b32 s5, s4
	s_ashr_i32 s3, s2, 31
	s_mov_b32 s6, s4
	s_lshl_b64 s[2:3], s[2:3], 2
	s_mov_b32 s7, s4
	s_add_u32 s2, s16, s2
	s_addc_u32 s3, s25, s3
	s_or_b32 s20, s12, 0xe0
	s_mov_b32 s8, s4
	s_ashr_i32 s21, s20, 4
	s_cmp_lt_i32 s20, s24
	s_mov_b32 s9, s4
	s_cselect_b32 s20, s21, s13
	s_mov_b32 s10, s4
	s_ashr_i32 s21, s20, 31
	v_mov_b32_e32 v118, s11
	v_dual_mov_b32 v112, s5 :: v_dual_mov_b32 v117, s10
	v_dual_mov_b32 v116, s9 :: v_dual_mov_b32 v115, s8
	v_dual_mov_b32 v114, s7 :: v_dual_mov_b32 v113, s6
	v_mov_b32_e32 v111, s4
	s_lshl_b64 s[4:5], s[20:21], 2
	s_delay_alu instid0(SALU_CYCLE_1)
	s_add_u32 s4, s16, s4
	s_addc_u32 s5, s25, s5
	s_add_u32 s6, s22, s15
	s_addc_u32 s7, s23, s18
	s_waitcnt vmcnt(1)
	v_mad_i64_i32 v[3:4], null, v5, s17, v[1:2]
	s_waitcnt vmcnt(0)
	v_mad_i64_i32 v[5:6], null, v7, s17, v[1:2]
	v_mul_lo_u16 v1, v68, 52
	v_lshlrev_b32_e32 v2, 4, v68
	s_clause 0xf
	global_load_b128 v[17:20], v[3:4], off
	global_load_b128 v[21:24], v[3:4], off offset:256
	global_load_b128 v[25:28], v[5:6], off
	global_load_b128 v[29:32], v[5:6], off offset:256
	global_load_b128 v[57:60], v[3:4], off offset:512
	;; [unrolled: 1-line block ×13, first 2 shown]
	v_lshrrev_b16 v1, 8, v1
	s_delay_alu instid0(VALU_DEP_1) | instskip(NEXT) | instid1(VALU_DEP_1)
	v_mul_lo_u16 v1, v1, 5
	v_sub_nc_u16 v1, v68, v1
	s_delay_alu instid0(VALU_DEP_1) | instskip(NEXT) | instid1(VALU_DEP_1)
	v_and_b32_e32 v1, 0xff, v1
	v_lshlrev_b32_e32 v149, 6, v1
	v_lshl_or_b32 v1, v69, 8, v2
	ds_load_b128 v[119:122], v149
	ds_load_b128 v[123:126], v149 offset:1024
	ds_load_b128 v[127:130], v149 offset:2048
	;; [unrolled: 1-line block ×3, first 2 shown]
	s_clause 0x1
	s_load_b32 s2, s[2:3], 0x0
	s_load_b32 s3, s[4:5], 0x0
	v_add_co_u32 v135, s6, s6, v1
	s_delay_alu instid0(VALU_DEP_1) | instskip(SKIP_1) | instid1(VALU_DEP_1)
	v_add_co_ci_u32_e64 v136, null, s7, 0, s6
	s_waitcnt lgkmcnt(0)
	v_mad_i64_i32 v[1:2], null, s26, s17, v[135:136]
	v_mad_i64_i32 v[3:4], null, s27, s17, v[135:136]
	;; [unrolled: 1-line block ×6, first 2 shown]
	s_clause 0x9
	global_load_b128 v[49:52], v[1:2], off
	global_load_b128 v[53:56], v[1:2], off offset:16
	global_load_b128 v[41:44], v[3:4], off
	global_load_b128 v[45:48], v[3:4], off offset:16
	;; [unrolled: 2-line block ×5, first 2 shown]
	v_mad_i64_i32 v[145:146], null, s2, s17, v[135:136]
	v_mad_i64_i32 v[147:148], null, s3, s17, v[135:136]
	s_waitcnt vmcnt(24)
	v_wmma_f32_16x16x16_f16 v[135:142], v[17:24], v[119:126], v[111:118]
	s_waitcnt vmcnt(22)
	v_wmma_f32_16x16x16_f16 v[111:118], v[25:32], v[119:126], v[111:118]
	s_clause 0x3
	global_load_b128 v[17:20], v[143:144], off
	global_load_b128 v[21:24], v[143:144], off offset:16
	global_load_b128 v[25:28], v[145:146], off
	global_load_b128 v[29:32], v[145:146], off offset:16
	v_and_b32_e32 v119, 0xe0, v0
	s_waitcnt vmcnt(24)
	v_wmma_f32_16x16x16_f16 v[135:142], v[57:64], v[127:134], v[135:142]
	s_clause 0x1
	global_load_b128 v[57:60], v[147:148], off
	global_load_b128 v[61:64], v[147:148], off offset:16
	s_waitcnt vmcnt(24)
	v_wmma_f32_16x16x16_f16 v[111:118], v[71:78], v[127:134], v[111:118]
	ds_load_b128 v[71:74], v149 offset:4096
	ds_load_b128 v[75:78], v149 offset:5120
	v_add_nc_u32_e32 v128, s12, v119
	ds_load_b128 v[119:122], v149 offset:6144
	ds_load_b128 v[123:126], v149 offset:7168
	v_mbcnt_lo_u32_b32 v127, -1, 0
	s_waitcnt vmcnt(0) lgkmcnt(0)
	s_barrier
	v_or_b32_e32 v128, v128, v66
	buffer_gl0_inv
	v_xor_b32_e32 v129, 16, v127
	v_or_b32_e32 v130, 4, v128
	v_or_b32_e32 v131, 6, v128
	s_delay_alu instid0(VALU_DEP_3) | instskip(SKIP_4) | instid1(VALU_DEP_4)
	v_cmp_gt_i32_e32 vcc_lo, 32, v129
	v_or_b32_e32 v132, 8, v128
	v_or_b32_e32 v133, 10, v128
	v_cmp_gt_i32_e64 s3, s24, v130
	v_cmp_gt_i32_e64 s4, s24, v131
	;; [unrolled: 1-line block ×3, first 2 shown]
	v_wmma_f32_16x16x16_f16 v[135:142], v[79:86], v[71:78], v[135:142]
	v_wmma_f32_16x16x16_f16 v[111:118], v[87:94], v[71:78], v[111:118]
	v_or_b32_e32 v79, 12, v128
	v_or_b32_e32 v80, 14, v128
	v_cmp_gt_i32_e64 s6, s24, v133
	v_wmma_f32_16x16x16_f16 v[135:142], v[95:102], v[119:126], v[135:142]
	v_wmma_f32_16x16x16_f16 v[111:118], v[103:110], v[119:126], v[111:118]
	v_cndmask_b32_e32 v127, v127, v129, vcc_lo
	v_or_b32_e32 v129, 2, v128
	v_cmp_gt_i32_e32 vcc_lo, s24, v128
	s_delay_alu instid0(VALU_DEP_4) | instskip(SKIP_1) | instid1(VALU_DEP_4)
	v_dual_mul_f32 v87, s19, v136 :: v_dual_mul_f32 v94, s19, v113
	v_mul_f32_e32 v88, s19, v135
	v_cmp_gt_i32_e64 s2, s24, v129
	v_mul_f32_e32 v78, s19, v138
	v_mul_f32_e32 v86, s19, v137
	;; [unrolled: 1-line block ×3, first 2 shown]
	v_cndmask_b32_e32 v88, 0xff7fffff, v88, vcc_lo
	v_cndmask_b32_e64 v87, 0xff7fffff, v87, s2
	v_dual_mul_f32 v77, s19, v139 :: v_dual_mul_f32 v90, s19, v117
	v_cndmask_b32_e64 v86, 0xff7fffff, v86, s3
	v_cndmask_b32_e64 v78, 0xff7fffff, v78, s4
	s_delay_alu instid0(VALU_DEP_4)
	v_max3_f32 v87, v88, 0xff7fffff, v87
	v_or_b32_e32 v81, 16, v128
	v_or_b32_e32 v82, 18, v128
	v_dual_mul_f32 v74, s19, v142 :: v_dual_mul_f32 v75, s19, v141
	v_mul_f32_e32 v96, s19, v111
	v_cndmask_b32_e64 v77, 0xff7fffff, v77, s5
	v_cndmask_b32_e64 v76, 0xff7fffff, v76, s6
	v_max3_f32 v78, v87, v86, v78
	v_cmp_gt_i32_e64 s7, s24, v79
	v_cmp_gt_i32_e64 s8, s24, v80
	v_or_b32_e32 v83, 20, v128
	v_or_b32_e32 v84, 22, v128
	v_mul_f32_e32 v95, s19, v112
	v_cndmask_b32_e64 v75, 0xff7fffff, v75, s7
	v_cndmask_b32_e64 v74, 0xff7fffff, v74, s8
	v_max3_f32 v76, v78, v77, v76
	v_cmp_gt_i32_e64 s9, s24, v81
	v_cmp_gt_i32_e64 s10, s24, v82
	v_or_b32_e32 v85, 24, v128
	v_or_b32_e32 v71, 26, v128
	;; [unrolled: 8-line block ×3, first 2 shown]
	v_dual_mul_f32 v91, s19, v116 :: v_dual_mul_f32 v92, s19, v115
	v_cndmask_b32_e64 v75, 0xff7fffff, v94, s11
	v_cndmask_b32_e64 v76, 0xff7fffff, v93, s12
	v_max3_f32 v74, v74, v77, v78
	v_cmp_gt_i32_e64 s13, s24, v85
	v_cmp_gt_i32_e64 s15, s24, v71
	v_mul_f32_e32 v89, s19, v118
	v_cmp_gt_i32_e64 s16, s24, v72
	v_max3_f32 v74, v74, v75, v76
	v_cndmask_b32_e64 v77, 0xff7fffff, v92, s13
	v_cndmask_b32_e64 v71, 0xff7fffff, v91, s15
	v_cmp_gt_i32_e64 s17, s24, v73
	v_cndmask_b32_e64 v72, 0xff7fffff, v90, s16
	s_delay_alu instid0(VALU_DEP_3) | instskip(SKIP_1) | instid1(VALU_DEP_4)
	v_max3_f32 v71, v74, v77, v71
	v_lshlrev_b32_e32 v74, 2, v127
	v_cndmask_b32_e64 v73, 0xff7fffff, v89, s17
	s_delay_alu instid0(VALU_DEP_1) | instskip(SKIP_3) | instid1(VALU_DEP_1)
	v_max3_f32 v71, v71, v72, v73
	ds_bpermute_b32 v72, v74, v71
	s_waitcnt lgkmcnt(0)
	v_max_f32_e32 v72, v72, v72
	v_max_f32_e32 v71, v71, v72
	s_delay_alu instid0(VALU_DEP_1) | instskip(SKIP_4) | instid1(VALU_DEP_4)
	v_fma_f32 v72, s19, v135, -v71
	v_fma_f32 v73, s19, v136, -v71
	;; [unrolled: 1-line block ×5, first 2 shown]
	v_dual_mul_f32 v72, 0x3fb8aa3b, v72 :: v_dual_mul_f32 v73, 0x3fb8aa3b, v73
	s_delay_alu instid0(VALU_DEP_3) | instskip(SKIP_1) | instid1(VALU_DEP_3)
	v_dual_mul_f32 v75, 0x3fb8aa3b, v75 :: v_dual_mul_f32 v76, 0x3fb8aa3b, v76
	v_fma_f32 v80, s19, v141, -v71
	v_exp_f32_e32 v72, v72
	s_delay_alu instid0(VALU_DEP_3) | instskip(NEXT) | instid1(VALU_DEP_2)
	v_exp_f32_e32 v73, v73
	v_exp_f32_e32 v75, v75
	;; [unrolled: 1-line block ×3, first 2 shown]
	v_mul_f32_e32 v82, 0x3fb8aa3b, v80
	s_delay_alu instid0(VALU_DEP_1) | instskip(SKIP_4) | instid1(TRANS32_DEP_3)
	v_exp_f32_e32 v84, v82
	v_cndmask_b32_e32 v79, 0, v72, vcc_lo
	v_fma_f32 v72, s19, v140, -v71
	v_mul_f32_e32 v77, 0x3fb8aa3b, v77
	v_cndmask_b32_e64 v78, 0, v73, s2
	v_cndmask_b32_e64 v81, 0, v75, s3
	s_delay_alu instid0(VALU_DEP_4) | instskip(NEXT) | instid1(VALU_DEP_4)
	v_dual_add_f32 v73, 0, v79 :: v_dual_mul_f32 v72, 0x3fb8aa3b, v72
	v_exp_f32_e32 v77, v77
	v_cndmask_b32_e64 v80, 0, v76, s4
	s_delay_alu instid0(TRANS32_DEP_2) | instskip(NEXT) | instid1(VALU_DEP_3)
	v_cndmask_b32_e64 v85, 0, v84, s7
	v_add_f32_e32 v73, v73, v78
	v_exp_f32_e32 v72, v72
	v_cmp_gt_u32_e64 s2, 16, v70
	s_delay_alu instid0(VALU_DEP_2) | instskip(NEXT) | instid1(TRANS32_DEP_2)
	v_add_f32_e32 v73, v73, v81
	v_cndmask_b32_e64 v83, 0, v77, s5
	s_delay_alu instid0(VALU_DEP_2) | instskip(SKIP_3) | instid1(VALU_DEP_1)
	v_add_f32_e32 v73, v73, v80
	s_waitcnt_depctr 0xfff
	v_cndmask_b32_e64 v82, 0, v72, s6
	v_add_f32_e32 v72, v73, v83
	v_add_f32_e32 v72, v72, v82
	s_delay_alu instid0(VALU_DEP_1)
	v_add_f32_e32 v72, v72, v85
	v_fma_f32 v76, s19, v111, -v71
	v_fma_f32 v75, s19, v142, -v71
	;; [unrolled: 1-line block ×5, first 2 shown]
	s_delay_alu instid0(VALU_DEP_4) | instskip(NEXT) | instid1(VALU_DEP_3)
	v_dual_mul_f32 v76, 0x3fb8aa3b, v76 :: v_dual_mul_f32 v75, 0x3fb8aa3b, v75
	v_mul_f32_e32 v86, 0x3fb8aa3b, v86
	s_delay_alu instid0(VALU_DEP_2) | instskip(NEXT) | instid1(VALU_DEP_2)
	v_exp_f32_e32 v76, v76
	v_exp_f32_e32 v75, v75
	s_delay_alu instid0(VALU_DEP_1) | instskip(NEXT) | instid1(TRANS32_DEP_3)
	v_exp_f32_e32 v88, v86
	v_cndmask_b32_e64 v87, 0, v76, s9
	v_fma_f32 v76, s19, v116, -v71
	v_mul_f32_e32 v77, 0x3fb8aa3b, v77
	s_waitcnt_depctr 0xfff
	v_cndmask_b32_e64 v84, 0, v75, s8
	v_fma_f32 v75, s19, v115, -v71
	v_cndmask_b32_e64 v88, 0, v88, s12
	v_mul_f32_e32 v76, 0x3fb8aa3b, v76
	v_exp_f32_e32 v77, v77
	v_add_f32_e32 v72, v72, v84
	s_delay_alu instid0(VALU_DEP_2) | instskip(NEXT) | instid1(VALU_DEP_1)
	v_exp_f32_e32 v76, v76
	v_add_f32_e32 v72, v72, v87
	s_waitcnt_depctr 0xfff
	v_cndmask_b32_e64 v86, 0, v77, s10
	v_mul_f32_e32 v73, 0x3fb8aa3b, v73
	v_fma_f32 v77, s19, v117, -v71
	v_cndmask_b32_e64 v90, 0, v76, s15
	s_delay_alu instid0(VALU_DEP_4) | instskip(NEXT) | instid1(VALU_DEP_4)
	v_add_f32_e32 v72, v72, v86
	v_exp_f32_e32 v73, v73
	s_waitcnt_depctr 0xfff
	v_cndmask_b32_e64 v89, 0, v73, s11
	s_delay_alu instid0(VALU_DEP_1) | instskip(NEXT) | instid1(VALU_DEP_1)
	v_dual_mul_f32 v75, 0x3fb8aa3b, v75 :: v_dual_add_f32 v72, v72, v89
	v_exp_f32_e32 v75, v75
	v_mul_f32_e32 v73, 0x3fb8aa3b, v77
	v_fma_f32 v77, s19, v118, -v71
	s_delay_alu instid0(VALU_DEP_3) | instskip(NEXT) | instid1(VALU_DEP_3)
	v_add_f32_e32 v72, v72, v88
	v_exp_f32_e32 v73, v73
	s_waitcnt_depctr 0xfff
	v_cndmask_b32_e64 v91, 0, v75, s13
	s_delay_alu instid0(VALU_DEP_1) | instskip(NEXT) | instid1(VALU_DEP_1)
	v_dual_mul_f32 v75, 0x3fb8aa3b, v77 :: v_dual_add_f32 v72, v72, v91
	v_exp_f32_e32 v75, v75
	v_cndmask_b32_e64 v93, 0, v73, s16
	s_delay_alu instid0(VALU_DEP_2) | instskip(NEXT) | instid1(VALU_DEP_1)
	v_add_f32_e32 v72, v72, v90
	v_add_f32_e32 v72, v72, v93
	s_waitcnt_depctr 0xfff
	v_cndmask_b32_e64 v92, 0, v75, s17
	s_delay_alu instid0(VALU_DEP_1)
	v_add_f32_e32 v72, v72, v92
	ds_bpermute_b32 v73, v74, v72
	s_and_saveexec_b32 s3, s2
	s_cbranch_execz .LBB974_12
; %bb.11:
	v_mul_u32_u24_e32 v70, 0x44, v69
	s_waitcnt lgkmcnt(0)
	v_add_f32_e32 v72, v72, v73
	s_delay_alu instid0(VALU_DEP_2) | instskip(NEXT) | instid1(VALU_DEP_1)
	v_lshl_add_u32 v70, v68, 2, v70
	v_add_nc_u32_e32 v70, 0x4000, v70
	ds_store_2addr_b32 v70, v71, v72 offset1:136
.LBB974_12:
	s_or_b32 exec_lo, exec_lo, s3
	v_lshlrev_b32_e32 v70, 2, v68
	s_load_b32 s35, s[0:1], 0x94
	s_waitcnt lgkmcnt(0)
	s_barrier
	buffer_gl0_inv
	v_add_nc_u32_e32 v98, 0x4000, v70
	v_cmp_eq_u32_e32 vcc_lo, 1, v69
	v_cmp_eq_u32_e64 s3, 2, v69
	v_cmp_eq_u32_e64 s4, 3, v69
	;; [unrolled: 1-line block ×3, first 2 shown]
	ds_load_2addr_b32 v[70:71], v98 offset1:17
	ds_load_2addr_b32 v[72:73], v98 offset0:34 offset1:51
	ds_load_2addr_b32 v[74:75], v98 offset0:68 offset1:85
	;; [unrolled: 1-line block ×3, first 2 shown]
	v_cmp_eq_u32_e64 s6, 5, v69
	v_cmp_eq_u32_e64 s7, 7, v69
	s_waitcnt lgkmcnt(3)
	v_max3_f32 v76, v70, 0xff7fffff, v71
	s_waitcnt lgkmcnt(2)
	s_delay_alu instid0(VALU_DEP_1) | instskip(SKIP_1) | instid1(VALU_DEP_1)
	v_max3_f32 v76, v76, v72, v73
	s_waitcnt lgkmcnt(1)
	v_max3_f32 v76, v76, v74, v75
	s_waitcnt lgkmcnt(0)
	s_delay_alu instid0(VALU_DEP_1) | instskip(NEXT) | instid1(VALU_DEP_1)
	v_max3_f32 v76, v76, v94, v95
	v_sub_f32_e32 v77, v71, v76
	ds_load_2addr_b32 v[96:97], v98 offset0:136 offset1:153
	v_sub_f32_e32 v74, v74, v76
	v_sub_f32_e32 v70, v70, v76
	;; [unrolled: 1-line block ×3, first 2 shown]
	v_dual_sub_f32 v72, v72, v76 :: v_dual_mul_f32 v77, 0x3fb8aa3b, v77
	s_delay_alu instid0(VALU_DEP_4) | instskip(NEXT) | instid1(VALU_DEP_4)
	v_mul_f32_e32 v103, 0x3fb8aa3b, v74
	v_mul_f32_e32 v99, 0x3fb8aa3b, v70
	ds_load_2addr_b32 v[70:71], v98 offset0:170 offset1:187
	v_dual_mul_f32 v101, 0x3fb8aa3b, v72 :: v_dual_mul_f32 v94, 0x3fb8aa3b, v94
	v_exp_f32_e32 v102, v77
	v_exp_f32_e32 v99, v99
	s_delay_alu instid0(VALU_DEP_1) | instskip(NEXT) | instid1(VALU_DEP_1)
	v_exp_f32_e32 v101, v101
	v_exp_f32_e32 v94, v94
	s_waitcnt lgkmcnt(1)
	s_delay_alu instid0(TRANS32_DEP_3)
	v_fma_f32 v77, v99, v96, 0
	v_sub_f32_e32 v100, v73, v76
	ds_load_2addr_b32 v[72:73], v98 offset0:204 offset1:221
	v_fmac_f32_e32 v77, v102, v97
	v_exp_f32_e32 v97, v103
	s_waitcnt lgkmcnt(1)
	s_delay_alu instid0(VALU_DEP_1)
	v_dual_fmac_f32 v77, v101, v70 :: v_dual_sub_f32 v96, v75, v76
	ds_load_2addr_b32 v[74:75], v98 offset0:238 offset1:255
	v_sub_f32_e32 v70, v95, v76
	s_waitcnt lgkmcnt(0)
	s_barrier
	v_mul_f32_e32 v96, 0x3fb8aa3b, v96
	buffer_gl0_inv
	v_exp_f32_e32 v95, v96
	v_mul_f32_e32 v100, 0x3fb8aa3b, v100
	s_delay_alu instid0(VALU_DEP_1) | instskip(SKIP_3) | instid1(VALU_DEP_2)
	v_exp_f32_e32 v100, v100
	s_waitcnt_depctr 0xfff
	v_dual_fmac_f32 v77, v100, v71 :: v_dual_mul_f32 v70, 0x3fb8aa3b, v70
	v_cndmask_b32_e32 v71, v99, v102, vcc_lo
	v_fmac_f32_e32 v77, v97, v72
	s_delay_alu instid0(VALU_DEP_3) | instskip(NEXT) | instid1(VALU_DEP_1)
	v_exp_f32_e32 v96, v70
	v_fmac_f32_e32 v77, v95, v73
	s_delay_alu instid0(VALU_DEP_1) | instskip(SKIP_2) | instid1(VALU_DEP_1)
	v_fmac_f32_e32 v77, v94, v74
	s_waitcnt_depctr 0xfff
	v_fmac_f32_e32 v77, v96, v75
	v_add_f32_e32 v74, 0x358637bd, v77
	s_delay_alu instid0(VALU_DEP_1) | instskip(SKIP_1) | instid1(VALU_DEP_2)
	v_div_scale_f32 v98, null, v74, v74, 1.0
	v_div_scale_f32 v99, vcc_lo, 1.0, v74, 1.0
	v_rcp_f32_e32 v103, v98
	s_waitcnt_depctr 0xfff
	v_fma_f32 v70, -v98, v103, 1.0
	s_delay_alu instid0(VALU_DEP_1) | instskip(SKIP_2) | instid1(VALU_DEP_2)
	v_fmac_f32_e32 v103, v70, v103
	v_cndmask_b32_e64 v70, v71, v101, s3
	v_cmp_eq_u32_e64 s3, 6, v69
	v_cndmask_b32_e64 v71, v70, v100, s4
	s_delay_alu instid0(VALU_DEP_4) | instskip(NEXT) | instid1(VALU_DEP_2)
	v_dual_mul_f32 v101, v99, v103 :: v_dual_lshlrev_b32 v70, 2, v66
	v_cndmask_b32_e64 v71, v71, v97, s5
	s_delay_alu instid0(VALU_DEP_2) | instskip(NEXT) | instid1(VALU_DEP_3)
	v_or_b32_e32 v72, 1, v70
	v_fma_f32 v100, -v98, v101, v99
	v_cmp_eq_u32_e64 s4, 1, v70
	v_cmp_eq_u32_e64 s5, 2, v70
	v_cndmask_b32_e64 v95, v71, v95, s6
	v_or_b32_e32 v71, 3, v70
	v_fmac_f32_e32 v101, v100, v103
	v_cmp_eq_u32_e64 s9, 1, v72
	v_cmp_eq_u32_e64 s12, 2, v72
	v_cndmask_b32_e64 v94, v95, v94, s3
	v_cmp_eq_u32_e64 s11, 1, v71
	v_fma_f32 v97, -v98, v101, v99
	v_cmp_eq_u32_e64 s16, 2, v71
	v_cmp_eq_u32_e64 s13, 3, v72
	v_cndmask_b32_e64 v94, v94, v96, s7
	v_cmp_eq_u32_e64 s18, 3, v71
	v_div_fmas_f32 v95, v97, v103, v101
	v_cmp_eq_u32_e32 vcc_lo, 3, v70
	v_cmp_eq_u32_e64 s3, 4, v70
	v_cmp_eq_u32_e64 s19, 4, v72
	;; [unrolled: 1-line block ×3, first 2 shown]
	v_div_fixup_f32 v95, v95, v74, 1.0
	v_lshlrev_b32_e32 v73, 6, v68
	v_cmp_eq_u32_e64 s6, 5, v70
	v_cmp_eq_u32_e64 s20, 5, v72
	v_cmp_eq_u32_e64 s24, 5, v71
	v_mul_f32_e32 v102, v94, v95
	v_lshl_or_b32 v75, v69, 11, v73
	v_or_b32_e32 v69, 2, v70
	v_cmp_eq_u32_e64 s25, 6, v72
	v_cmp_eq_u32_e64 s27, 6, v71
	v_fma_mixlo_f16 v94, v102, v79, 0
	v_fma_mixlo_f16 v95, v102, v81, 0
	;; [unrolled: 1-line block ×8, first 2 shown]
	v_lshl_or_b32 v74, v66, 4, v75
	v_fma_mixhi_f16 v94, v102, v78, 0
	v_fma_mixhi_f16 v95, v102, v80, 0
	;; [unrolled: 1-line block ×8, first 2 shown]
	ds_store_b128 v74, v[94:97]
	ds_store_b128 v74, v[98:101] offset:1024
	s_waitcnt lgkmcnt(0)
	s_barrier
	buffer_gl0_inv
	ds_load_b128 v[78:81], v75
	ds_load_b128 v[82:85], v75 offset:16
	ds_load_b128 v[86:89], v75 offset:1024
	;; [unrolled: 1-line block ×3, first 2 shown]
	v_cmp_eq_u32_e64 s10, 1, v69
	v_cmp_eq_u32_e64 s15, 2, v69
	;; [unrolled: 1-line block ×11, first 2 shown]
	s_waitcnt lgkmcnt(3)
	v_lshrrev_b32_e32 v94, 16, v78
	s_waitcnt lgkmcnt(2)
	v_lshrrev_b32_e32 v98, 16, v82
	;; [unrolled: 2-line block ×4, first 2 shown]
	v_lshrrev_b32_e32 v95, 16, v79
	v_cndmask_b32_e64 v110, v78, v94, s4
	v_cndmask_b32_e64 v111, v82, v98, s4
	;; [unrolled: 1-line block ×8, first 2 shown]
	v_lshrrev_b32_e32 v99, 16, v83
	v_cndmask_b32_e64 v94, v86, v102, s4
	v_cndmask_b32_e64 v98, v90, v106, s4
	;; [unrolled: 1-line block ×15, first 2 shown]
	v_lshrrev_b32_e32 v103, 16, v87
	v_lshrrev_b32_e32 v107, 16, v91
	v_cndmask_b32_e64 v113, v115, v83, s15
	v_cndmask_b32_e64 v82, v94, v87, s5
	;; [unrolled: 1-line block ×7, first 2 shown]
	v_cndmask_b32_e32 v90, v102, v95, vcc_lo
	v_cndmask_b32_e32 v102, v106, v99, vcc_lo
	v_cndmask_b32_e64 v106, v110, v95, s13
	v_cndmask_b32_e64 v110, v111, v99, s13
	;; [unrolled: 1-line block ×4, first 2 shown]
	v_lshrrev_b32_e32 v96, 16, v80
	v_lshrrev_b32_e32 v100, 16, v84
	v_cndmask_b32_e64 v111, v112, v95, s17
	v_cndmask_b32_e64 v112, v113, v99, s17
	v_cndmask_b32_e32 v82, v82, v103, vcc_lo
	v_cndmask_b32_e32 v83, v83, v107, vcc_lo
	v_cndmask_b32_e64 v94, v94, v103, s13
	v_cndmask_b32_e64 v90, v90, v80, s3
	;; [unrolled: 1-line block ×7, first 2 shown]
	v_lshrrev_b32_e32 v104, 16, v88
	v_cndmask_b32_e64 v106, v111, v80, s21
	v_cndmask_b32_e64 v110, v112, v84, s21
	;; [unrolled: 1-line block ×11, first 2 shown]
	v_lshrrev_b32_e32 v97, 16, v81
	v_lshrrev_b32_e32 v101, 16, v85
	v_cndmask_b32_e64 v99, v106, v96, s23
	v_cndmask_b32_e64 v102, v110, v100, s23
	;; [unrolled: 1-line block ×7, first 2 shown]
	v_lshrrev_b32_e32 v105, 16, v89
	v_cndmask_b32_e64 v80, v80, v104, s6
	v_cndmask_b32_e64 v84, v84, v81, s7
	;; [unrolled: 1-line block ×16, first 2 shown]
	v_perm_b32 v81, v79, v78, 0x5040100
	v_perm_b32 v79, v95, v85, 0x5040100
	v_cndmask_b32_e64 v78, v119, v91, s15
	v_cndmask_b32_e64 v85, v117, v91, s12
	;; [unrolled: 1-line block ×3, first 2 shown]
	v_perm_b32 v80, v94, v90, 0x5040100
	v_cndmask_b32_e64 v90, v98, v103, s17
	v_cndmask_b32_e64 v86, v86, v103, s18
	;; [unrolled: 1-line block ×5, first 2 shown]
	v_lshrrev_b32_e32 v108, 16, v92
	v_cndmask_b32_e64 v90, v90, v88, s21
	v_cndmask_b32_e64 v86, v86, v88, s22
	;; [unrolled: 1-line block ×11, first 2 shown]
	v_lshrrev_b32_e32 v109, 16, v93
	v_cndmask_b32_e64 v82, v82, v93, s7
	v_cndmask_b32_e64 v88, v88, v89, s26
	;; [unrolled: 1-line block ×12, first 2 shown]
	v_perm_b32 v78, v84, v83, 0x5040100
	v_perm_b32 v85, v87, v86, 0x5040100
	;; [unrolled: 1-line block ×5, first 2 shown]
	s_mul_i32 s8, s33, 5
	s_mov_b32 s3, exec_lo
	ds_store_b128 v74, v[78:81]
	ds_store_b128 v74, v[82:85] offset:1024
	v_cmpx_gt_u32_e32 5, v0
	s_cbranch_execz .LBB974_14
; %bb.13:
	s_mul_i32 s4, s8, s34
	s_delay_alu instid0(SALU_CYCLE_1) | instskip(SKIP_1) | instid1(VALU_DEP_1)
	v_add3_u32 v68, s4, s31, v68
	s_load_b128 s[4:7], s[0:1], 0x58
	v_mad_u64_u32 v[78:79], null, v68, s35, s[14:15]
	s_delay_alu instid0(VALU_DEP_1) | instskip(NEXT) | instid1(VALU_DEP_1)
	v_ashrrev_i32_e32 v79, 31, v78
	v_lshlrev_b64 v[78:79], 2, v[78:79]
	s_waitcnt lgkmcnt(0)
	s_delay_alu instid0(VALU_DEP_1) | instskip(NEXT) | instid1(VALU_DEP_2)
	v_add_co_u32 v80, vcc_lo, s6, v78
	v_add_co_ci_u32_e32 v81, vcc_lo, s7, v79, vcc_lo
	v_add_co_u32 v78, vcc_lo, s4, v78
	v_add_co_ci_u32_e32 v79, vcc_lo, s5, v79, vcc_lo
	global_store_b32 v[80:81], v76, off
	global_store_b32 v[78:79], v77, off
.LBB974_14:
	s_or_b32 exec_lo, exec_lo, s3
	s_waitcnt lgkmcnt(0)
	s_waitcnt_vscnt null, 0x0
	s_barrier
	buffer_gl0_inv
	ds_load_b128 v[84:87], v73
	ds_load_b128 v[88:91], v73 offset:16
	ds_load_b128 v[96:99], v73 offset:2064
	;; [unrolled: 1-line block ×5, first 2 shown]
	v_cmp_eq_u32_e32 vcc_lo, 1, v70
	v_mov_b32_e32 v76, 0
	ds_load_b128 v[112:115], v73 offset:6160
	ds_load_b128 v[108:111], v73 offset:6144
	;; [unrolled: 1-line block ×4, first 2 shown]
	v_cmp_eq_u32_e64 s4, 1, v69
	v_cmp_eq_u32_e64 s3, 1, v72
	;; [unrolled: 1-line block ×3, first 2 shown]
	v_mov_b32_e32 v77, v76
	v_mov_b32_e32 v78, v76
	v_mov_b32_e32 v79, v76
	v_mov_b32_e32 v80, v76
	v_mov_b32_e32 v81, v76
	v_mov_b32_e32 v82, v76
	v_mov_b32_e32 v83, v76
	v_cmp_eq_u32_e64 s6, 3, v72
	v_cmp_eq_u32_e64 s7, 7, v72
	s_waitcnt lgkmcnt(8)
	s_delay_alu instid0(VALU_DEP_3)
	v_wmma_f32_16x16x16_f16 v[76:83], v[49:56], v[84:91], v[76:83]
	ds_load_b128 v[53:56], v73 offset:10256
	ds_load_b128 v[49:52], v73 offset:10240
	s_waitcnt lgkmcnt(8)
	v_wmma_f32_16x16x16_f16 v[76:83], v[41:48], v[92:99], v[76:83]
	ds_load_b128 v[45:48], v73 offset:12304
	ds_load_b128 v[41:44], v73 offset:12288
	s_waitcnt lgkmcnt(8)
	;; [unrolled: 4-line block ×3, first 2 shown]
	s_barrier
	buffer_gl0_inv
	v_wmma_f32_16x16x16_f16 v[76:83], v[1:8], v[108:115], v[76:83]
	s_delay_alu instid0(VALU_DEP_1) | instskip(NEXT) | instid1(VALU_DEP_1)
	v_wmma_f32_16x16x16_f16 v[76:83], v[9:16], v[116:123], v[76:83]
	v_wmma_f32_16x16x16_f16 v[76:83], v[17:24], v[49:56], v[76:83]
	s_delay_alu instid0(VALU_DEP_1) | instskip(NEXT) | instid1(VALU_DEP_1)
	v_wmma_f32_16x16x16_f16 v[76:83], v[25:32], v[41:48], v[76:83]
	v_wmma_f32_16x16x16_f16 v[76:83], v[57:64], v[33:40], v[76:83]
	s_delay_alu instid0(VALU_DEP_1) | instskip(NEXT) | instid1(VALU_DEP_2)
	v_cvt_f16_f32_e32 v1, v76
	v_cvt_f16_f32_e32 v2, v77
	s_delay_alu instid0(VALU_DEP_3) | instskip(NEXT) | instid1(VALU_DEP_4)
	v_cvt_f16_f32_e32 v3, v78
	v_cvt_f16_f32_e32 v4, v79
	;; [unrolled: 1-line block ×6, first 2 shown]
	v_pack_b32_f16 v1, v1, v2
	v_pack_b32_f16 v2, v3, v4
	;; [unrolled: 1-line block ×3, first 2 shown]
	s_delay_alu instid0(VALU_DEP_4)
	v_pack_b32_f16 v4, v7, v8
	ds_store_b128 v74, v[1:4]
	s_waitcnt lgkmcnt(0)
	s_barrier
	buffer_gl0_inv
	ds_load_b128 v[1:4], v75
	ds_load_b128 v[5:8], v75 offset:16
	s_waitcnt lgkmcnt(1)
	v_lshrrev_b32_e32 v9, 16, v1
	s_waitcnt lgkmcnt(0)
	v_lshrrev_b32_e32 v13, 16, v5
	v_lshrrev_b32_e32 v10, 16, v2
	;; [unrolled: 1-line block ×4, first 2 shown]
	v_cndmask_b32_e32 v17, v1, v9, vcc_lo
	v_cndmask_b32_e32 v18, v5, v13, vcc_lo
	v_cndmask_b32_e64 v21, v1, v9, s4
	v_cmp_eq_u32_e32 vcc_lo, 1, v71
	v_cndmask_b32_e64 v22, v5, v13, s4
	v_cmp_eq_u32_e64 s4, 2, v70
	v_cndmask_b32_e64 v19, v1, v9, s3
	v_cndmask_b32_e64 v20, v5, v13, s3
	v_cndmask_b32_e32 v1, v1, v9, vcc_lo
	v_cmp_eq_u32_e64 s3, 2, v71
	v_cndmask_b32_e32 v5, v5, v13, vcc_lo
	v_cndmask_b32_e64 v9, v17, v2, s4
	v_cmp_eq_u32_e32 vcc_lo, 3, v70
	v_cndmask_b32_e64 v13, v18, v6, s4
	v_cmp_eq_u32_e64 s4, 2, v69
	v_cndmask_b32_e64 v17, v19, v2, s5
	v_cndmask_b32_e64 v18, v20, v6, s5
	v_cmp_eq_u32_e64 s5, 3, v69
	v_cndmask_b32_e64 v1, v1, v2, s3
	v_cndmask_b32_e64 v19, v21, v2, s4
	;; [unrolled: 1-line block ×4, first 2 shown]
	v_cndmask_b32_e32 v5, v9, v10, vcc_lo
	v_cndmask_b32_e32 v6, v13, v14, vcc_lo
	v_cmp_eq_u32_e32 vcc_lo, 3, v71
	v_cndmask_b32_e64 v9, v17, v10, s6
	v_cndmask_b32_e64 v13, v18, v14, s6
	;; [unrolled: 1-line block ×3, first 2 shown]
	v_cmp_eq_u32_e64 s4, 4, v70
	v_cndmask_b32_e32 v1, v1, v10, vcc_lo
	v_cndmask_b32_e32 v2, v2, v14, vcc_lo
	v_cmp_eq_u32_e32 vcc_lo, 4, v72
	v_lshrrev_b32_e32 v15, 16, v7
	v_lshrrev_b32_e32 v16, 16, v8
	v_cndmask_b32_e64 v17, v19, v10, s5
	v_cmp_eq_u32_e64 s3, 4, v71
	v_cndmask_b32_e64 v5, v5, v3, s4
	v_cndmask_b32_e64 v6, v6, v7, s4
	v_cndmask_b32_e32 v9, v9, v3, vcc_lo
	v_cmp_eq_u32_e64 s4, 5, v72
	v_cndmask_b32_e32 v10, v13, v7, vcc_lo
	v_cmp_eq_u32_e32 vcc_lo, 4, v69
	v_cmp_eq_u32_e64 s5, 5, v70
	v_cndmask_b32_e64 v2, v2, v7, s3
	v_cndmask_b32_e64 v9, v9, v11, s4
	;; [unrolled: 1-line block ×3, first 2 shown]
	v_cndmask_b32_e32 v13, v17, v3, vcc_lo
	v_cmp_eq_u32_e64 s4, 5, v69
	v_cndmask_b32_e32 v14, v18, v7, vcc_lo
	v_cndmask_b32_e64 v1, v1, v3, s3
	v_cmp_eq_u32_e32 vcc_lo, 5, v71
	v_lshrrev_b32_e32 v12, 16, v4
	v_cndmask_b32_e64 v13, v13, v11, s4
	v_cndmask_b32_e64 v3, v14, v15, s4
	v_cmp_eq_u32_e64 s4, 6, v71
	v_cndmask_b32_e32 v1, v1, v11, vcc_lo
	v_cndmask_b32_e64 v5, v5, v11, s5
	v_cmp_eq_u32_e64 s6, 6, v70
	v_cndmask_b32_e64 v6, v6, v15, s5
	v_cmp_eq_u32_e64 s5, 6, v72
	v_cmp_eq_u32_e64 s3, 6, v69
	v_cndmask_b32_e64 v1, v1, v4, s4
	v_cndmask_b32_e32 v2, v2, v15, vcc_lo
	v_cmp_eq_u32_e32 vcc_lo, 7, v71
	v_cndmask_b32_e64 v5, v5, v4, s6
	v_cndmask_b32_e64 v9, v9, v4, s5
	;; [unrolled: 1-line block ×3, first 2 shown]
	v_cmp_eq_u32_e64 s6, 7, v70
	v_cndmask_b32_e32 v1, v1, v12, vcc_lo
	v_cndmask_b32_e64 v7, v13, v4, s3
	v_cndmask_b32_e64 v3, v3, v8, s3
	v_cndmask_b32_e64 v2, v2, v8, s4
	v_cmp_eq_u32_e64 s3, 7, v69
	v_cndmask_b32_e64 v4, v10, v8, s5
	v_cndmask_b32_e64 v5, v5, v12, s6
	;; [unrolled: 1-line block ×3, first 2 shown]
	v_cndmask_b32_e32 v2, v2, v16, vcc_lo
	v_cndmask_b32_e64 v7, v7, v12, s3
	v_cndmask_b32_e64 v3, v3, v16, s3
	;; [unrolled: 1-line block ×4, first 2 shown]
	v_perm_b32 v4, v2, v1, 0x5040100
	s_mov_b32 s3, exec_lo
	v_perm_b32 v3, v3, v7, 0x5040100
	v_perm_b32 v2, v8, v9, 0x5040100
	;; [unrolled: 1-line block ×3, first 2 shown]
	ds_store_b128 v74, v[1:4]
	s_waitcnt lgkmcnt(0)
	s_barrier
	buffer_gl0_inv
	v_cmpx_gt_u32_e32 32, v0
	s_cbranch_execz .LBB974_2
; %bb.15:
	s_load_b64 s[4:5], s[0:1], 0x68
	v_lshlrev_b32_e32 v0, 10, v0
	v_add_nc_u32_e32 v2, s31, v66
	v_lshlrev_b32_e32 v3, 4, v67
	s_lshl_b32 s0, s35, 7
	s_delay_alu instid0(SALU_CYCLE_1) | instskip(NEXT) | instid1(VALU_DEP_2)
	s_mul_i32 s1, s0, s34
	v_mul_lo_u32 v1, v2, s0
	s_delay_alu instid0(VALU_DEP_2) | instskip(SKIP_2) | instid1(SALU_CYCLE_1)
	v_and_or_b32 v0, 0x3800, v0, v3
	v_add_nc_u32_e32 v2, 2, v2
	s_mul_i32 s6, s1, s8
	s_ashr_i32 s7, s6, 31
	s_delay_alu instid0(VALU_DEP_2)
	v_lshl_or_b32 v7, v66, 6, v0
	s_lshl_b64 s[6:7], s[6:7], 1
	v_mul_lo_u32 v11, v2, s0
	v_ashrrev_i32_e32 v2, 31, v1
	ds_load_b128 v[3:6], v7
	ds_load_b128 v[7:10], v7 offset:128
	s_waitcnt lgkmcnt(0)
	s_add_u32 s1, s4, s6
	s_addc_u32 s3, s5, s7
	s_lshl_b32 s4, s14, 7
	v_ashrrev_i32_e32 v12, 31, v11
	s_ashr_i32 s5, s4, 31
	v_lshlrev_b64 v[13:14], 1, v[1:2]
	s_lshl_b64 s[4:5], s[4:5], 1
	s_delay_alu instid0(SALU_CYCLE_1) | instskip(SKIP_2) | instid1(VALU_DEP_1)
	s_add_u32 s1, s1, s4
	s_addc_u32 s3, s3, s5
	v_add_co_u32 v1, s1, s1, v65
	v_add_co_ci_u32_e64 v2, null, s3, 0, s1
	v_lshlrev_b64 v[11:12], 1, v[11:12]
	s_delay_alu instid0(VALU_DEP_3) | instskip(NEXT) | instid1(VALU_DEP_3)
	v_add_co_u32 v13, vcc_lo, v1, v13
	v_add_co_ci_u32_e32 v14, vcc_lo, v2, v14, vcc_lo
	s_delay_alu instid0(VALU_DEP_3) | instskip(NEXT) | instid1(VALU_DEP_4)
	v_add_co_u32 v11, vcc_lo, v1, v11
	v_add_co_ci_u32_e32 v12, vcc_lo, v2, v12, vcc_lo
	s_clause 0x1
	global_store_b128 v[13:14], v[3:6], off
	global_store_b128 v[11:12], v[7:10], off
	s_and_b32 exec_lo, exec_lo, s2
	s_cbranch_execz .LBB974_2
; %bb.16:
	ds_load_b128 v[3:6], v0 offset:256
	s_add_i32 s1, s31, 4
	s_delay_alu instid0(SALU_CYCLE_1) | instskip(NEXT) | instid1(SALU_CYCLE_1)
	s_mul_i32 s0, s1, s0
	s_ashr_i32 s1, s0, 31
	s_delay_alu instid0(SALU_CYCLE_1) | instskip(NEXT) | instid1(SALU_CYCLE_1)
	s_lshl_b64 s[0:1], s[0:1], 1
	v_add_co_u32 v0, vcc_lo, v1, s0
	v_add_co_ci_u32_e32 v1, vcc_lo, s1, v2, vcc_lo
	s_waitcnt lgkmcnt(0)
	global_store_b128 v[0:1], v[3:6], off
	s_nop 0
	s_sendmsg sendmsg(MSG_DEALLOC_VGPRS)
	s_endpgm
	.section	.rodata,"a",@progbits
	.p2align	6, 0x0
	.amdhsa_kernel _Z39paged_attention_ll4mi_QKV_mfma16_kernelIDF16_hLN4vllm18Fp8KVCacheDataTypeE1EDF16_Li16ELi128ELi256ELb1ELi5EL8MFMAType1EEvPKT_PKT0_S8_ifPKiSA_SA_iPKfiiiPfSD_PS3_PT2_iSC_SC_
		.amdhsa_group_segment_fixed_size 17472
		.amdhsa_private_segment_fixed_size 0
		.amdhsa_kernarg_size 400
		.amdhsa_user_sgpr_count 13
		.amdhsa_user_sgpr_dispatch_ptr 0
		.amdhsa_user_sgpr_queue_ptr 0
		.amdhsa_user_sgpr_kernarg_segment_ptr 1
		.amdhsa_user_sgpr_dispatch_id 0
		.amdhsa_user_sgpr_private_segment_size 0
		.amdhsa_wavefront_size32 1
		.amdhsa_uses_dynamic_stack 0
		.amdhsa_enable_private_segment 0
		.amdhsa_system_sgpr_workgroup_id_x 1
		.amdhsa_system_sgpr_workgroup_id_y 1
		.amdhsa_system_sgpr_workgroup_id_z 1
		.amdhsa_system_sgpr_workgroup_info 0
		.amdhsa_system_vgpr_workitem_id 0
		.amdhsa_next_free_vgpr 150
		.amdhsa_next_free_sgpr 36
		.amdhsa_reserve_vcc 1
		.amdhsa_float_round_mode_32 0
		.amdhsa_float_round_mode_16_64 0
		.amdhsa_float_denorm_mode_32 3
		.amdhsa_float_denorm_mode_16_64 3
		.amdhsa_dx10_clamp 1
		.amdhsa_ieee_mode 1
		.amdhsa_fp16_overflow 0
		.amdhsa_workgroup_processor_mode 1
		.amdhsa_memory_ordered 1
		.amdhsa_forward_progress 0
		.amdhsa_shared_vgpr_count 0
		.amdhsa_exception_fp_ieee_invalid_op 0
		.amdhsa_exception_fp_denorm_src 0
		.amdhsa_exception_fp_ieee_div_zero 0
		.amdhsa_exception_fp_ieee_overflow 0
		.amdhsa_exception_fp_ieee_underflow 0
		.amdhsa_exception_fp_ieee_inexact 0
		.amdhsa_exception_int_div_zero 0
	.end_amdhsa_kernel
	.section	.text._Z39paged_attention_ll4mi_QKV_mfma16_kernelIDF16_hLN4vllm18Fp8KVCacheDataTypeE1EDF16_Li16ELi128ELi256ELb1ELi5EL8MFMAType1EEvPKT_PKT0_S8_ifPKiSA_SA_iPKfiiiPfSD_PS3_PT2_iSC_SC_,"axG",@progbits,_Z39paged_attention_ll4mi_QKV_mfma16_kernelIDF16_hLN4vllm18Fp8KVCacheDataTypeE1EDF16_Li16ELi128ELi256ELb1ELi5EL8MFMAType1EEvPKT_PKT0_S8_ifPKiSA_SA_iPKfiiiPfSD_PS3_PT2_iSC_SC_,comdat
.Lfunc_end974:
	.size	_Z39paged_attention_ll4mi_QKV_mfma16_kernelIDF16_hLN4vllm18Fp8KVCacheDataTypeE1EDF16_Li16ELi128ELi256ELb1ELi5EL8MFMAType1EEvPKT_PKT0_S8_ifPKiSA_SA_iPKfiiiPfSD_PS3_PT2_iSC_SC_, .Lfunc_end974-_Z39paged_attention_ll4mi_QKV_mfma16_kernelIDF16_hLN4vllm18Fp8KVCacheDataTypeE1EDF16_Li16ELi128ELi256ELb1ELi5EL8MFMAType1EEvPKT_PKT0_S8_ifPKiSA_SA_iPKfiiiPfSD_PS3_PT2_iSC_SC_
                                        ; -- End function
	.section	.AMDGPU.csdata,"",@progbits
; Kernel info:
; codeLenInByte = 6644
; NumSgprs: 38
; NumVgprs: 150
; ScratchSize: 0
; MemoryBound: 0
; FloatMode: 240
; IeeeMode: 1
; LDSByteSize: 17472 bytes/workgroup (compile time only)
; SGPRBlocks: 4
; VGPRBlocks: 18
; NumSGPRsForWavesPerEU: 38
; NumVGPRsForWavesPerEU: 150
; Occupancy: 9
; WaveLimiterHint : 1
; COMPUTE_PGM_RSRC2:SCRATCH_EN: 0
; COMPUTE_PGM_RSRC2:USER_SGPR: 13
; COMPUTE_PGM_RSRC2:TRAP_HANDLER: 0
; COMPUTE_PGM_RSRC2:TGID_X_EN: 1
; COMPUTE_PGM_RSRC2:TGID_Y_EN: 1
; COMPUTE_PGM_RSRC2:TGID_Z_EN: 1
; COMPUTE_PGM_RSRC2:TIDIG_COMP_CNT: 0
	.section	.text._Z39paged_attention_ll4mi_QKV_mfma16_kernelIDF16_hLN4vllm18Fp8KVCacheDataTypeE1EDF16_Li16ELi128ELi256ELb1ELi6EL8MFMAType1EEvPKT_PKT0_S8_ifPKiSA_SA_iPKfiiiPfSD_PS3_PT2_iSC_SC_,"axG",@progbits,_Z39paged_attention_ll4mi_QKV_mfma16_kernelIDF16_hLN4vllm18Fp8KVCacheDataTypeE1EDF16_Li16ELi128ELi256ELb1ELi6EL8MFMAType1EEvPKT_PKT0_S8_ifPKiSA_SA_iPKfiiiPfSD_PS3_PT2_iSC_SC_,comdat
	.protected	_Z39paged_attention_ll4mi_QKV_mfma16_kernelIDF16_hLN4vllm18Fp8KVCacheDataTypeE1EDF16_Li16ELi128ELi256ELb1ELi6EL8MFMAType1EEvPKT_PKT0_S8_ifPKiSA_SA_iPKfiiiPfSD_PS3_PT2_iSC_SC_ ; -- Begin function _Z39paged_attention_ll4mi_QKV_mfma16_kernelIDF16_hLN4vllm18Fp8KVCacheDataTypeE1EDF16_Li16ELi128ELi256ELb1ELi6EL8MFMAType1EEvPKT_PKT0_S8_ifPKiSA_SA_iPKfiiiPfSD_PS3_PT2_iSC_SC_
	.globl	_Z39paged_attention_ll4mi_QKV_mfma16_kernelIDF16_hLN4vllm18Fp8KVCacheDataTypeE1EDF16_Li16ELi128ELi256ELb1ELi6EL8MFMAType1EEvPKT_PKT0_S8_ifPKiSA_SA_iPKfiiiPfSD_PS3_PT2_iSC_SC_
	.p2align	8
	.type	_Z39paged_attention_ll4mi_QKV_mfma16_kernelIDF16_hLN4vllm18Fp8KVCacheDataTypeE1EDF16_Li16ELi128ELi256ELb1ELi6EL8MFMAType1EEvPKT_PKT0_S8_ifPKiSA_SA_iPKfiiiPfSD_PS3_PT2_iSC_SC_,@function
_Z39paged_attention_ll4mi_QKV_mfma16_kernelIDF16_hLN4vllm18Fp8KVCacheDataTypeE1EDF16_Li16ELi128ELi256ELb1ELi6EL8MFMAType1EEvPKT_PKT0_S8_ifPKiSA_SA_iPKfiiiPfSD_PS3_PT2_iSC_SC_: ; @_Z39paged_attention_ll4mi_QKV_mfma16_kernelIDF16_hLN4vllm18Fp8KVCacheDataTypeE1EDF16_Li16ELi128ELi256ELb1ELi6EL8MFMAType1EEvPKT_PKT0_S8_ifPKiSA_SA_iPKfiiiPfSD_PS3_PT2_iSC_SC_
; %bb.0:
	s_load_b64 s[4:5], s[0:1], 0x30
	s_mov_b32 s30, s13
	s_waitcnt lgkmcnt(0)
	s_cmp_lg_u64 s[4:5], 0
	s_cselect_b32 s8, -1, 0
	s_ashr_i32 s31, s13, 31
	s_cmp_eq_u64 s[4:5], 0
	s_cbranch_scc1 .LBB975_3
; %bb.1:
	s_lshl_b64 s[2:3], s[30:31], 2
	s_delay_alu instid0(SALU_CYCLE_1) | instskip(SKIP_4) | instid1(SALU_CYCLE_1)
	s_add_u32 s2, s4, s2
	s_addc_u32 s3, s5, s3
	s_load_b64 s[2:3], s[2:3], 0x0
	s_waitcnt lgkmcnt(0)
	s_sub_i32 s2, s3, s2
	s_cmp_eq_u32 s2, 1
	s_cselect_b32 s2, -1, 0
	s_delay_alu instid0(SALU_CYCLE_1)
	s_and_not1_b32 vcc_lo, exec_lo, s2
	s_cbranch_vccz .LBB975_4
.LBB975_2:
	s_endpgm
.LBB975_3:
.LBB975_4:
	s_load_b64 s[2:3], s[0:1], 0x28
	s_lshl_b64 s[6:7], s[30:31], 2
	s_waitcnt lgkmcnt(0)
	s_add_u32 s2, s2, s6
	s_addc_u32 s3, s3, s7
	s_lshl_b32 s12, s14, 8
	s_load_b32 s24, s[2:3], 0x0
	s_waitcnt lgkmcnt(0)
	s_cmp_ge_i32 s12, s24
	s_cbranch_scc1 .LBB975_2
; %bb.5:
	s_clause 0x1
	s_load_b128 s[20:23], s[0:1], 0x8
	s_load_b64 s[2:3], s[0:1], 0x20
	s_and_not1_b32 vcc_lo, exec_lo, s8
	s_cbranch_vccnz .LBB975_7
; %bb.6:
	s_add_u32 s4, s4, s6
	s_addc_u32 s5, s5, s7
	s_load_b32 s5, s[4:5], 0x0
	s_branch .LBB975_8
.LBB975_7:
	s_mov_b32 s5, s30
.LBB975_8:
	s_load_b128 s[16:19], s[0:1], 0x48
	v_and_b32_e32 v68, 15, v0
	v_lshrrev_b32_e32 v69, 5, v0
	v_and_b32_e32 v70, 31, v0
	v_and_b32_e32 v67, 1, v0
	v_bfe_u32 v66, v0, 4, 1
	v_lshlrev_b32_e32 v1, 3, v68
	s_mul_i32 s31, s15, 6
	s_mov_b32 s4, exec_lo
	s_delay_alu instid0(VALU_DEP_1)
	v_lshlrev_b32_e32 v65, 1, v1
	v_cmpx_gt_u32_e32 0x60, v0
	s_cbranch_execz .LBB975_10
; %bb.9:
	s_load_b64 s[6:7], s[0:1], 0x0
	v_lshl_or_b32 v5, v69, 1, v66
	s_waitcnt lgkmcnt(0)
	s_mul_hi_i32 s9, s5, s16
	s_mul_i32 s8, s5, s16
	v_lshlrev_b32_e32 v6, 10, v68
	s_lshl_b64 s[8:9], s[8:9], 1
	v_add_lshl_u32 v1, v5, s31, 7
	v_lshlrev_b32_e32 v5, 6, v5
	v_lshlrev_b32_e32 v7, 10, v67
	v_and_b32_e32 v6, 0x3800, v6
	s_delay_alu instid0(VALU_DEP_4) | instskip(NEXT) | instid1(VALU_DEP_2)
	v_ashrrev_i32_e32 v2, 31, v1
	v_or3_b32 v5, v6, v7, v5
	s_delay_alu instid0(VALU_DEP_2) | instskip(SKIP_2) | instid1(VALU_DEP_1)
	v_lshlrev_b64 v[1:2], 1, v[1:2]
	s_add_u32 s5, s6, s8
	s_addc_u32 s6, s7, s9
	v_add_co_u32 v1, vcc_lo, s5, v1
	s_delay_alu instid0(VALU_DEP_2) | instskip(NEXT) | instid1(VALU_DEP_2)
	v_add_co_ci_u32_e32 v2, vcc_lo, s6, v2, vcc_lo
	v_add_co_u32 v1, vcc_lo, v1, v65
	s_delay_alu instid0(VALU_DEP_2)
	v_add_co_ci_u32_e32 v2, vcc_lo, 0, v2, vcc_lo
	global_load_b128 v[1:4], v[1:2], off
	s_waitcnt vmcnt(0)
	ds_store_b128 v5, v[1:4]
.LBB975_10:
	s_or_b32 exec_lo, exec_lo, s4
	v_and_b32_e32 v1, 0xef, v0
	s_waitcnt lgkmcnt(0)
	s_add_i32 s5, s24, 15
	s_clause 0x1
	s_load_b32 s4, s[0:1], 0x38
	s_load_b32 s33, s[0:1], 0x98
	s_ashr_i32 s6, s5, 31
	v_add_nc_u32_e32 v1, s12, v1
	s_lshr_b32 s6, s6, 28
	s_load_b32 s19, s[0:1], 0x1c
	s_add_i32 s5, s5, s6
	s_waitcnt lgkmcnt(0)
	v_ashrrev_i32_e32 v2, 31, v1
	v_or_b32_e32 v3, 16, v1
	s_ashr_i32 s13, s5, 4
	v_cmp_gt_i32_e32 vcc_lo, s24, v1
	s_add_i32 s13, s13, -1
	v_lshrrev_b32_e32 v2, 28, v2
	s_barrier
	buffer_gl0_inv
	s_mul_i32 s15, s15, s18
	v_add_nc_u32_e32 v4, v1, v2
	s_mul_i32 s4, s30, s4
	s_delay_alu instid0(SALU_CYCLE_1) | instskip(NEXT) | instid1(VALU_DEP_1)
	s_ashr_i32 s5, s4, 31
	v_ashrrev_i32_e32 v4, 4, v4
	v_add_nc_u32_e32 v2, v3, v2
	s_lshl_b64 s[4:5], s[4:5], 2
	s_delay_alu instid0(SALU_CYCLE_1) | instskip(NEXT) | instid1(VALU_DEP_2)
	s_add_u32 s16, s2, s4
	v_cndmask_b32_e32 v1, s13, v4, vcc_lo
	s_delay_alu instid0(VALU_DEP_2)
	v_ashrrev_i32_e32 v2, 4, v2
	v_cmp_gt_i32_e32 vcc_lo, s24, v3
	s_addc_u32 s25, s3, s5
	s_ashr_i32 s18, s15, 31
	s_add_u32 s26, s20, s15
	s_addc_u32 s27, s21, s18
	v_cndmask_b32_e32 v3, s13, v2, vcc_lo
	v_ashrrev_i32_e32 v2, 31, v1
	s_lshl_b32 s2, s14, 4
	s_delay_alu instid0(SALU_CYCLE_1) | instskip(NEXT) | instid1(VALU_DEP_2)
	s_ashr_i32 s3, s2, 31
	v_ashrrev_i32_e32 v4, 31, v3
	s_delay_alu instid0(VALU_DEP_2) | instskip(SKIP_1) | instid1(SALU_CYCLE_1)
	v_lshlrev_b64 v[1:2], 2, v[1:2]
	s_lshl_b64 s[2:3], s[2:3], 2
	s_add_u32 s2, s16, s2
	s_delay_alu instid0(VALU_DEP_2) | instskip(SKIP_1) | instid1(VALU_DEP_2)
	v_lshlrev_b64 v[3:4], 2, v[3:4]
	s_addc_u32 s3, s25, s3
	v_add_co_u32 v1, vcc_lo, s16, v1
	v_add_co_ci_u32_e32 v2, vcc_lo, s25, v2, vcc_lo
	s_delay_alu instid0(VALU_DEP_3) | instskip(NEXT) | instid1(VALU_DEP_4)
	v_add_co_u32 v3, vcc_lo, s16, v3
	v_add_co_ci_u32_e32 v4, vcc_lo, s25, v4, vcc_lo
	s_clause 0x1
	global_load_b32 v5, v[1:2], off
	global_load_b32 v7, v[3:4], off
	s_or_b32 s4, s12, 32
	v_lshlrev_b32_e32 v1, 4, v0
	s_ashr_i32 s5, s4, 4
	s_cmp_lt_i32 s4, s24
	s_cselect_b32 s4, s5, s13
	s_delay_alu instid0(VALU_DEP_1) | instskip(SKIP_1) | instid1(SALU_CYCLE_1)
	v_and_b32_e32 v1, 0xf0, v1
	s_ashr_i32 s5, s4, 31
	s_lshl_b64 s[4:5], s[4:5], 2
	s_delay_alu instid0(SALU_CYCLE_1)
	s_add_u32 s4, s16, s4
	s_addc_u32 s5, s25, s5
	s_or_b32 s6, s12, 64
	v_add_co_u32 v1, s26, s26, v1
	s_ashr_i32 s7, s6, 4
	s_cmp_lt_i32 s6, s24
	v_add_co_ci_u32_e64 v2, null, s27, 0, s26
	s_cselect_b32 s6, s7, s13
	s_delay_alu instid0(SALU_CYCLE_1) | instskip(NEXT) | instid1(SALU_CYCLE_1)
	s_ashr_i32 s7, s6, 31
	s_lshl_b64 s[6:7], s[6:7], 2
	s_delay_alu instid0(SALU_CYCLE_1) | instskip(SKIP_2) | instid1(SALU_CYCLE_1)
	s_add_u32 s6, s16, s6
	s_addc_u32 s7, s25, s7
	s_or_b32 s8, s12, 0x60
	s_ashr_i32 s9, s8, 4
	s_cmp_lt_i32 s8, s24
	s_cselect_b32 s8, s9, s13
	s_delay_alu instid0(SALU_CYCLE_1) | instskip(NEXT) | instid1(SALU_CYCLE_1)
	s_ashr_i32 s9, s8, 31
	s_lshl_b64 s[8:9], s[8:9], 2
	s_delay_alu instid0(SALU_CYCLE_1) | instskip(SKIP_2) | instid1(SALU_CYCLE_1)
	s_add_u32 s8, s16, s8
	s_addc_u32 s9, s25, s9
	s_or_b32 s10, s12, 0x80
	s_ashr_i32 s11, s10, 4
	s_cmp_lt_i32 s10, s24
	;; [unrolled: 10-line block ×3, first 2 shown]
	s_cselect_b32 s20, s21, s13
	s_delay_alu instid0(SALU_CYCLE_1) | instskip(NEXT) | instid1(SALU_CYCLE_1)
	s_ashr_i32 s21, s20, 31
	s_lshl_b64 s[20:21], s[20:21], 2
	s_delay_alu instid0(SALU_CYCLE_1)
	s_add_u32 s20, s16, s20
	s_addc_u32 s21, s25, s21
	s_clause 0x5
	s_load_b32 s26, s[2:3], 0x0
	s_load_b32 s27, s[4:5], 0x0
	;; [unrolled: 1-line block ×6, first 2 shown]
	s_or_b32 s2, s12, 0xc0
	s_mov_b32 s4, 0
	s_ashr_i32 s3, s2, 4
	s_cmp_lt_i32 s2, s24
	s_mov_b32 s11, s4
	s_cselect_b32 s2, s3, s13
	s_mov_b32 s5, s4
	s_ashr_i32 s3, s2, 31
	s_mov_b32 s6, s4
	s_lshl_b64 s[2:3], s[2:3], 2
	s_mov_b32 s7, s4
	s_add_u32 s2, s16, s2
	s_addc_u32 s3, s25, s3
	s_or_b32 s20, s12, 0xe0
	s_mov_b32 s8, s4
	s_ashr_i32 s21, s20, 4
	s_cmp_lt_i32 s20, s24
	s_mov_b32 s9, s4
	s_cselect_b32 s20, s21, s13
	s_mov_b32 s10, s4
	s_ashr_i32 s21, s20, 31
	v_mov_b32_e32 v118, s11
	v_dual_mov_b32 v112, s5 :: v_dual_mov_b32 v117, s10
	v_dual_mov_b32 v116, s9 :: v_dual_mov_b32 v115, s8
	;; [unrolled: 1-line block ×3, first 2 shown]
	v_mov_b32_e32 v111, s4
	s_lshl_b64 s[4:5], s[20:21], 2
	s_delay_alu instid0(SALU_CYCLE_1)
	s_add_u32 s4, s16, s4
	s_addc_u32 s5, s25, s5
	s_add_u32 s6, s22, s15
	s_addc_u32 s7, s23, s18
	s_waitcnt vmcnt(1)
	v_mad_i64_i32 v[3:4], null, v5, s17, v[1:2]
	s_waitcnt vmcnt(0)
	v_mad_i64_i32 v[5:6], null, v7, s17, v[1:2]
	v_mul_lo_u16 v1, v68, 43
	v_lshlrev_b32_e32 v2, 4, v68
	s_clause 0xf
	global_load_b128 v[17:20], v[3:4], off
	global_load_b128 v[21:24], v[3:4], off offset:256
	global_load_b128 v[25:28], v[5:6], off
	global_load_b128 v[29:32], v[5:6], off offset:256
	global_load_b128 v[57:60], v[3:4], off offset:512
	;; [unrolled: 1-line block ×13, first 2 shown]
	v_lshrrev_b16 v1, 8, v1
	s_delay_alu instid0(VALU_DEP_1) | instskip(NEXT) | instid1(VALU_DEP_1)
	v_mul_lo_u16 v1, v1, 6
	v_sub_nc_u16 v1, v68, v1
	s_delay_alu instid0(VALU_DEP_1) | instskip(NEXT) | instid1(VALU_DEP_1)
	v_and_b32_e32 v1, 0xff, v1
	v_lshlrev_b32_e32 v149, 6, v1
	v_lshl_or_b32 v1, v69, 8, v2
	ds_load_b128 v[119:122], v149
	ds_load_b128 v[123:126], v149 offset:1024
	ds_load_b128 v[127:130], v149 offset:2048
	;; [unrolled: 1-line block ×3, first 2 shown]
	s_clause 0x1
	s_load_b32 s2, s[2:3], 0x0
	s_load_b32 s3, s[4:5], 0x0
	v_add_co_u32 v135, s6, s6, v1
	s_delay_alu instid0(VALU_DEP_1) | instskip(SKIP_1) | instid1(VALU_DEP_1)
	v_add_co_ci_u32_e64 v136, null, s7, 0, s6
	s_waitcnt lgkmcnt(0)
	v_mad_i64_i32 v[1:2], null, s26, s17, v[135:136]
	v_mad_i64_i32 v[3:4], null, s27, s17, v[135:136]
	;; [unrolled: 1-line block ×6, first 2 shown]
	s_clause 0x9
	global_load_b128 v[49:52], v[1:2], off
	global_load_b128 v[53:56], v[1:2], off offset:16
	global_load_b128 v[41:44], v[3:4], off
	global_load_b128 v[45:48], v[3:4], off offset:16
	;; [unrolled: 2-line block ×5, first 2 shown]
	v_mad_i64_i32 v[145:146], null, s2, s17, v[135:136]
	v_mad_i64_i32 v[147:148], null, s3, s17, v[135:136]
	s_waitcnt vmcnt(24)
	v_wmma_f32_16x16x16_f16 v[135:142], v[17:24], v[119:126], v[111:118]
	s_waitcnt vmcnt(22)
	v_wmma_f32_16x16x16_f16 v[111:118], v[25:32], v[119:126], v[111:118]
	s_clause 0x3
	global_load_b128 v[17:20], v[143:144], off
	global_load_b128 v[21:24], v[143:144], off offset:16
	global_load_b128 v[25:28], v[145:146], off
	global_load_b128 v[29:32], v[145:146], off offset:16
	v_and_b32_e32 v119, 0xe0, v0
	s_waitcnt vmcnt(24)
	v_wmma_f32_16x16x16_f16 v[135:142], v[57:64], v[127:134], v[135:142]
	s_clause 0x1
	global_load_b128 v[57:60], v[147:148], off
	global_load_b128 v[61:64], v[147:148], off offset:16
	s_waitcnt vmcnt(24)
	v_wmma_f32_16x16x16_f16 v[111:118], v[71:78], v[127:134], v[111:118]
	ds_load_b128 v[71:74], v149 offset:4096
	ds_load_b128 v[75:78], v149 offset:5120
	v_add_nc_u32_e32 v128, s12, v119
	ds_load_b128 v[119:122], v149 offset:6144
	ds_load_b128 v[123:126], v149 offset:7168
	v_mbcnt_lo_u32_b32 v127, -1, 0
	s_waitcnt vmcnt(0) lgkmcnt(0)
	s_barrier
	v_or_b32_e32 v128, v128, v66
	buffer_gl0_inv
	v_xor_b32_e32 v129, 16, v127
	v_or_b32_e32 v130, 4, v128
	v_or_b32_e32 v131, 6, v128
	s_delay_alu instid0(VALU_DEP_3) | instskip(SKIP_4) | instid1(VALU_DEP_4)
	v_cmp_gt_i32_e32 vcc_lo, 32, v129
	v_or_b32_e32 v132, 8, v128
	v_or_b32_e32 v133, 10, v128
	v_cmp_gt_i32_e64 s3, s24, v130
	v_cmp_gt_i32_e64 s4, s24, v131
	;; [unrolled: 1-line block ×3, first 2 shown]
	v_wmma_f32_16x16x16_f16 v[135:142], v[79:86], v[71:78], v[135:142]
	v_wmma_f32_16x16x16_f16 v[111:118], v[87:94], v[71:78], v[111:118]
	v_or_b32_e32 v79, 12, v128
	v_or_b32_e32 v80, 14, v128
	v_cmp_gt_i32_e64 s6, s24, v133
	v_wmma_f32_16x16x16_f16 v[135:142], v[95:102], v[119:126], v[135:142]
	v_wmma_f32_16x16x16_f16 v[111:118], v[103:110], v[119:126], v[111:118]
	v_cndmask_b32_e32 v127, v127, v129, vcc_lo
	v_or_b32_e32 v129, 2, v128
	v_cmp_gt_i32_e32 vcc_lo, s24, v128
	s_delay_alu instid0(VALU_DEP_4) | instskip(SKIP_1) | instid1(VALU_DEP_4)
	v_dual_mul_f32 v87, s19, v136 :: v_dual_mul_f32 v94, s19, v113
	v_mul_f32_e32 v88, s19, v135
	v_cmp_gt_i32_e64 s2, s24, v129
	v_mul_f32_e32 v78, s19, v138
	v_mul_f32_e32 v86, s19, v137
	;; [unrolled: 1-line block ×3, first 2 shown]
	v_cndmask_b32_e32 v88, 0xff7fffff, v88, vcc_lo
	v_cndmask_b32_e64 v87, 0xff7fffff, v87, s2
	v_dual_mul_f32 v77, s19, v139 :: v_dual_mul_f32 v90, s19, v117
	v_cndmask_b32_e64 v86, 0xff7fffff, v86, s3
	v_cndmask_b32_e64 v78, 0xff7fffff, v78, s4
	s_delay_alu instid0(VALU_DEP_4)
	v_max3_f32 v87, v88, 0xff7fffff, v87
	v_or_b32_e32 v81, 16, v128
	v_or_b32_e32 v82, 18, v128
	v_dual_mul_f32 v74, s19, v142 :: v_dual_mul_f32 v75, s19, v141
	v_mul_f32_e32 v96, s19, v111
	v_cndmask_b32_e64 v77, 0xff7fffff, v77, s5
	v_cndmask_b32_e64 v76, 0xff7fffff, v76, s6
	v_max3_f32 v78, v87, v86, v78
	v_cmp_gt_i32_e64 s7, s24, v79
	v_cmp_gt_i32_e64 s8, s24, v80
	v_or_b32_e32 v83, 20, v128
	v_or_b32_e32 v84, 22, v128
	v_mul_f32_e32 v95, s19, v112
	v_cndmask_b32_e64 v75, 0xff7fffff, v75, s7
	v_cndmask_b32_e64 v74, 0xff7fffff, v74, s8
	v_max3_f32 v76, v78, v77, v76
	v_cmp_gt_i32_e64 s9, s24, v81
	v_cmp_gt_i32_e64 s10, s24, v82
	v_or_b32_e32 v85, 24, v128
	v_or_b32_e32 v71, 26, v128
	;; [unrolled: 8-line block ×3, first 2 shown]
	v_dual_mul_f32 v91, s19, v116 :: v_dual_mul_f32 v92, s19, v115
	v_cndmask_b32_e64 v75, 0xff7fffff, v94, s11
	v_cndmask_b32_e64 v76, 0xff7fffff, v93, s12
	v_max3_f32 v74, v74, v77, v78
	v_cmp_gt_i32_e64 s13, s24, v85
	v_cmp_gt_i32_e64 s15, s24, v71
	v_mul_f32_e32 v89, s19, v118
	v_cmp_gt_i32_e64 s16, s24, v72
	v_max3_f32 v74, v74, v75, v76
	v_cndmask_b32_e64 v77, 0xff7fffff, v92, s13
	v_cndmask_b32_e64 v71, 0xff7fffff, v91, s15
	v_cmp_gt_i32_e64 s17, s24, v73
	v_cndmask_b32_e64 v72, 0xff7fffff, v90, s16
	s_delay_alu instid0(VALU_DEP_3) | instskip(SKIP_1) | instid1(VALU_DEP_4)
	v_max3_f32 v71, v74, v77, v71
	v_lshlrev_b32_e32 v74, 2, v127
	v_cndmask_b32_e64 v73, 0xff7fffff, v89, s17
	s_delay_alu instid0(VALU_DEP_1) | instskip(SKIP_3) | instid1(VALU_DEP_1)
	v_max3_f32 v71, v71, v72, v73
	ds_bpermute_b32 v72, v74, v71
	s_waitcnt lgkmcnt(0)
	v_max_f32_e32 v72, v72, v72
	v_max_f32_e32 v71, v71, v72
	s_delay_alu instid0(VALU_DEP_1) | instskip(SKIP_4) | instid1(VALU_DEP_4)
	v_fma_f32 v72, s19, v135, -v71
	v_fma_f32 v73, s19, v136, -v71
	;; [unrolled: 1-line block ×5, first 2 shown]
	v_dual_mul_f32 v72, 0x3fb8aa3b, v72 :: v_dual_mul_f32 v73, 0x3fb8aa3b, v73
	s_delay_alu instid0(VALU_DEP_3) | instskip(SKIP_1) | instid1(VALU_DEP_3)
	v_dual_mul_f32 v75, 0x3fb8aa3b, v75 :: v_dual_mul_f32 v76, 0x3fb8aa3b, v76
	v_fma_f32 v80, s19, v141, -v71
	v_exp_f32_e32 v72, v72
	s_delay_alu instid0(VALU_DEP_3) | instskip(NEXT) | instid1(VALU_DEP_2)
	v_exp_f32_e32 v73, v73
	v_exp_f32_e32 v75, v75
	;; [unrolled: 1-line block ×3, first 2 shown]
	v_mul_f32_e32 v82, 0x3fb8aa3b, v80
	s_delay_alu instid0(VALU_DEP_1) | instskip(SKIP_4) | instid1(TRANS32_DEP_3)
	v_exp_f32_e32 v84, v82
	v_cndmask_b32_e32 v79, 0, v72, vcc_lo
	v_fma_f32 v72, s19, v140, -v71
	v_mul_f32_e32 v77, 0x3fb8aa3b, v77
	v_cndmask_b32_e64 v78, 0, v73, s2
	v_cndmask_b32_e64 v81, 0, v75, s3
	s_delay_alu instid0(VALU_DEP_4) | instskip(NEXT) | instid1(VALU_DEP_4)
	v_dual_add_f32 v73, 0, v79 :: v_dual_mul_f32 v72, 0x3fb8aa3b, v72
	v_exp_f32_e32 v77, v77
	v_cndmask_b32_e64 v80, 0, v76, s4
	s_delay_alu instid0(TRANS32_DEP_2) | instskip(NEXT) | instid1(VALU_DEP_3)
	v_cndmask_b32_e64 v85, 0, v84, s7
	v_add_f32_e32 v73, v73, v78
	v_exp_f32_e32 v72, v72
	s_mov_b32 s2, exec_lo
	s_delay_alu instid0(VALU_DEP_1) | instskip(SKIP_4) | instid1(VALU_DEP_2)
	v_add_f32_e32 v73, v73, v81
	s_waitcnt_depctr 0xfff
	v_cndmask_b32_e64 v83, 0, v77, s5
	v_add_f32_e32 v73, v73, v80
	v_cndmask_b32_e64 v82, 0, v72, s6
	v_add_f32_e32 v72, v73, v83
	s_delay_alu instid0(VALU_DEP_1) | instskip(NEXT) | instid1(VALU_DEP_1)
	v_add_f32_e32 v72, v72, v82
	v_add_f32_e32 v72, v72, v85
	v_fma_f32 v76, s19, v111, -v71
	v_fma_f32 v75, s19, v142, -v71
	;; [unrolled: 1-line block ×5, first 2 shown]
	s_delay_alu instid0(VALU_DEP_4) | instskip(NEXT) | instid1(VALU_DEP_3)
	v_dual_mul_f32 v76, 0x3fb8aa3b, v76 :: v_dual_mul_f32 v75, 0x3fb8aa3b, v75
	v_mul_f32_e32 v86, 0x3fb8aa3b, v86
	s_delay_alu instid0(VALU_DEP_2) | instskip(NEXT) | instid1(VALU_DEP_2)
	v_exp_f32_e32 v76, v76
	v_exp_f32_e32 v75, v75
	s_delay_alu instid0(VALU_DEP_1) | instskip(NEXT) | instid1(TRANS32_DEP_3)
	v_exp_f32_e32 v88, v86
	v_cndmask_b32_e64 v87, 0, v76, s9
	v_fma_f32 v76, s19, v116, -v71
	v_mul_f32_e32 v77, 0x3fb8aa3b, v77
	s_waitcnt_depctr 0xfff
	v_cndmask_b32_e64 v84, 0, v75, s8
	v_fma_f32 v75, s19, v115, -v71
	v_cndmask_b32_e64 v88, 0, v88, s12
	v_mul_f32_e32 v76, 0x3fb8aa3b, v76
	v_exp_f32_e32 v77, v77
	v_add_f32_e32 v72, v72, v84
	s_delay_alu instid0(VALU_DEP_2) | instskip(NEXT) | instid1(VALU_DEP_1)
	v_exp_f32_e32 v76, v76
	v_add_f32_e32 v72, v72, v87
	s_waitcnt_depctr 0xfff
	v_cndmask_b32_e64 v86, 0, v77, s10
	v_mul_f32_e32 v73, 0x3fb8aa3b, v73
	v_fma_f32 v77, s19, v117, -v71
	v_cndmask_b32_e64 v90, 0, v76, s15
	s_delay_alu instid0(VALU_DEP_4) | instskip(NEXT) | instid1(VALU_DEP_4)
	v_add_f32_e32 v72, v72, v86
	v_exp_f32_e32 v73, v73
	s_waitcnt_depctr 0xfff
	v_cndmask_b32_e64 v89, 0, v73, s11
	s_delay_alu instid0(VALU_DEP_1) | instskip(NEXT) | instid1(VALU_DEP_1)
	v_dual_mul_f32 v75, 0x3fb8aa3b, v75 :: v_dual_add_f32 v72, v72, v89
	v_exp_f32_e32 v75, v75
	v_mul_f32_e32 v73, 0x3fb8aa3b, v77
	v_fma_f32 v77, s19, v118, -v71
	s_delay_alu instid0(VALU_DEP_3) | instskip(NEXT) | instid1(VALU_DEP_3)
	v_add_f32_e32 v72, v72, v88
	v_exp_f32_e32 v73, v73
	s_waitcnt_depctr 0xfff
	v_cndmask_b32_e64 v91, 0, v75, s13
	s_delay_alu instid0(VALU_DEP_1) | instskip(NEXT) | instid1(VALU_DEP_1)
	v_dual_mul_f32 v75, 0x3fb8aa3b, v77 :: v_dual_add_f32 v72, v72, v91
	v_exp_f32_e32 v75, v75
	v_cndmask_b32_e64 v93, 0, v73, s16
	s_delay_alu instid0(VALU_DEP_2) | instskip(NEXT) | instid1(VALU_DEP_1)
	v_add_f32_e32 v72, v72, v90
	v_add_f32_e32 v72, v72, v93
	s_waitcnt_depctr 0xfff
	v_cndmask_b32_e64 v92, 0, v75, s17
	s_delay_alu instid0(VALU_DEP_1)
	v_add_f32_e32 v72, v72, v92
	ds_bpermute_b32 v73, v74, v72
	v_cmpx_gt_u32_e32 16, v70
	s_cbranch_execz .LBB975_12
; %bb.11:
	v_mul_u32_u24_e32 v70, 0x44, v69
	s_waitcnt lgkmcnt(0)
	v_add_f32_e32 v72, v72, v73
	s_delay_alu instid0(VALU_DEP_2) | instskip(NEXT) | instid1(VALU_DEP_1)
	v_lshl_add_u32 v70, v68, 2, v70
	v_add_nc_u32_e32 v70, 0x4000, v70
	ds_store_2addr_b32 v70, v71, v72 offset1:136
.LBB975_12:
	s_or_b32 exec_lo, exec_lo, s2
	v_lshlrev_b32_e32 v70, 2, v68
	s_load_b32 s34, s[0:1], 0x94
	s_waitcnt lgkmcnt(0)
	s_barrier
	buffer_gl0_inv
	v_add_nc_u32_e32 v98, 0x4000, v70
	v_cmp_eq_u32_e32 vcc_lo, 1, v69
	v_cmp_eq_u32_e64 s2, 2, v69
	v_cmp_eq_u32_e64 s3, 3, v69
	;; [unrolled: 1-line block ×3, first 2 shown]
	ds_load_2addr_b32 v[70:71], v98 offset1:17
	ds_load_2addr_b32 v[72:73], v98 offset0:34 offset1:51
	ds_load_2addr_b32 v[74:75], v98 offset0:68 offset1:85
	ds_load_2addr_b32 v[94:95], v98 offset0:102 offset1:119
	v_cmp_eq_u32_e64 s5, 5, v69
	v_cmp_eq_u32_e64 s6, 7, v69
	s_waitcnt lgkmcnt(3)
	v_max3_f32 v76, v70, 0xff7fffff, v71
	s_waitcnt lgkmcnt(2)
	s_delay_alu instid0(VALU_DEP_1) | instskip(SKIP_1) | instid1(VALU_DEP_1)
	v_max3_f32 v76, v76, v72, v73
	s_waitcnt lgkmcnt(1)
	v_max3_f32 v76, v76, v74, v75
	s_waitcnt lgkmcnt(0)
	s_delay_alu instid0(VALU_DEP_1) | instskip(NEXT) | instid1(VALU_DEP_1)
	v_max3_f32 v76, v76, v94, v95
	v_sub_f32_e32 v77, v71, v76
	ds_load_2addr_b32 v[96:97], v98 offset0:136 offset1:153
	v_sub_f32_e32 v74, v74, v76
	v_sub_f32_e32 v70, v70, v76
	;; [unrolled: 1-line block ×3, first 2 shown]
	v_dual_sub_f32 v72, v72, v76 :: v_dual_mul_f32 v77, 0x3fb8aa3b, v77
	s_delay_alu instid0(VALU_DEP_4) | instskip(NEXT) | instid1(VALU_DEP_4)
	v_mul_f32_e32 v103, 0x3fb8aa3b, v74
	v_mul_f32_e32 v99, 0x3fb8aa3b, v70
	ds_load_2addr_b32 v[70:71], v98 offset0:170 offset1:187
	v_dual_mul_f32 v101, 0x3fb8aa3b, v72 :: v_dual_mul_f32 v94, 0x3fb8aa3b, v94
	v_exp_f32_e32 v102, v77
	v_exp_f32_e32 v99, v99
	s_delay_alu instid0(VALU_DEP_1) | instskip(NEXT) | instid1(VALU_DEP_1)
	v_exp_f32_e32 v101, v101
	v_exp_f32_e32 v94, v94
	s_waitcnt lgkmcnt(1)
	s_delay_alu instid0(TRANS32_DEP_3)
	v_fma_f32 v77, v99, v96, 0
	v_sub_f32_e32 v100, v73, v76
	ds_load_2addr_b32 v[72:73], v98 offset0:204 offset1:221
	v_fmac_f32_e32 v77, v102, v97
	v_exp_f32_e32 v97, v103
	s_waitcnt lgkmcnt(1)
	s_delay_alu instid0(VALU_DEP_1)
	v_dual_fmac_f32 v77, v101, v70 :: v_dual_sub_f32 v96, v75, v76
	ds_load_2addr_b32 v[74:75], v98 offset0:238 offset1:255
	v_sub_f32_e32 v70, v95, v76
	s_waitcnt lgkmcnt(0)
	s_barrier
	v_mul_f32_e32 v96, 0x3fb8aa3b, v96
	buffer_gl0_inv
	v_exp_f32_e32 v95, v96
	v_mul_f32_e32 v100, 0x3fb8aa3b, v100
	s_delay_alu instid0(VALU_DEP_1) | instskip(SKIP_3) | instid1(VALU_DEP_2)
	v_exp_f32_e32 v100, v100
	s_waitcnt_depctr 0xfff
	v_dual_fmac_f32 v77, v100, v71 :: v_dual_mul_f32 v70, 0x3fb8aa3b, v70
	v_cndmask_b32_e32 v71, v99, v102, vcc_lo
	v_fmac_f32_e32 v77, v97, v72
	s_delay_alu instid0(VALU_DEP_3) | instskip(NEXT) | instid1(VALU_DEP_1)
	v_exp_f32_e32 v96, v70
	v_fmac_f32_e32 v77, v95, v73
	s_delay_alu instid0(VALU_DEP_1) | instskip(SKIP_2) | instid1(VALU_DEP_1)
	v_fmac_f32_e32 v77, v94, v74
	s_waitcnt_depctr 0xfff
	v_fmac_f32_e32 v77, v96, v75
	v_add_f32_e32 v74, 0x358637bd, v77
	s_delay_alu instid0(VALU_DEP_1) | instskip(SKIP_1) | instid1(VALU_DEP_2)
	v_div_scale_f32 v98, null, v74, v74, 1.0
	v_div_scale_f32 v99, vcc_lo, 1.0, v74, 1.0
	v_rcp_f32_e32 v103, v98
	s_waitcnt_depctr 0xfff
	v_fma_f32 v70, -v98, v103, 1.0
	s_delay_alu instid0(VALU_DEP_1) | instskip(SKIP_2) | instid1(VALU_DEP_2)
	v_fmac_f32_e32 v103, v70, v103
	v_cndmask_b32_e64 v70, v71, v101, s2
	v_cmp_eq_u32_e64 s2, 6, v69
	v_cndmask_b32_e64 v71, v70, v100, s3
	s_delay_alu instid0(VALU_DEP_4) | instskip(NEXT) | instid1(VALU_DEP_2)
	v_dual_mul_f32 v101, v99, v103 :: v_dual_lshlrev_b32 v70, 2, v66
	v_cndmask_b32_e64 v71, v71, v97, s4
	s_delay_alu instid0(VALU_DEP_2) | instskip(NEXT) | instid1(VALU_DEP_3)
	v_or_b32_e32 v72, 1, v70
	v_fma_f32 v100, -v98, v101, v99
	v_cmp_eq_u32_e64 s3, 1, v70
	v_cmp_eq_u32_e64 s4, 2, v70
	v_cndmask_b32_e64 v95, v71, v95, s5
	v_or_b32_e32 v71, 3, v70
	v_fmac_f32_e32 v101, v100, v103
	v_cmp_eq_u32_e64 s8, 1, v72
	v_cmp_eq_u32_e64 s11, 2, v72
	v_cndmask_b32_e64 v94, v95, v94, s2
	v_cmp_eq_u32_e64 s10, 1, v71
	v_fma_f32 v97, -v98, v101, v99
	v_cmp_eq_u32_e64 s15, 2, v71
	v_cmp_eq_u32_e64 s12, 3, v72
	v_cndmask_b32_e64 v94, v94, v96, s6
	v_cmp_eq_u32_e64 s17, 3, v71
	v_div_fmas_f32 v95, v97, v103, v101
	v_cmp_eq_u32_e32 vcc_lo, 3, v70
	v_cmp_eq_u32_e64 s2, 4, v70
	v_cmp_eq_u32_e64 s18, 4, v72
	;; [unrolled: 1-line block ×3, first 2 shown]
	v_div_fixup_f32 v95, v95, v74, 1.0
	v_lshlrev_b32_e32 v73, 6, v68
	v_cmp_eq_u32_e64 s5, 5, v70
	v_cmp_eq_u32_e64 s19, 5, v72
	;; [unrolled: 1-line block ×3, first 2 shown]
	v_mul_f32_e32 v102, v94, v95
	v_lshl_or_b32 v75, v69, 11, v73
	v_or_b32_e32 v69, 2, v70
	v_cmp_eq_u32_e64 s24, 6, v72
	v_cmp_eq_u32_e64 s26, 6, v71
	v_fma_mixlo_f16 v94, v102, v79, 0
	v_fma_mixlo_f16 v95, v102, v81, 0
	;; [unrolled: 1-line block ×8, first 2 shown]
	v_lshl_or_b32 v74, v66, 4, v75
	v_fma_mixhi_f16 v94, v102, v78, 0
	v_fma_mixhi_f16 v95, v102, v80, 0
	;; [unrolled: 1-line block ×8, first 2 shown]
	ds_store_b128 v74, v[94:97]
	ds_store_b128 v74, v[98:101] offset:1024
	s_waitcnt lgkmcnt(0)
	s_barrier
	buffer_gl0_inv
	ds_load_b128 v[78:81], v75
	ds_load_b128 v[82:85], v75 offset:16
	ds_load_b128 v[86:89], v75 offset:1024
	;; [unrolled: 1-line block ×3, first 2 shown]
	v_cmp_eq_u32_e64 s9, 1, v69
	v_cmp_eq_u32_e64 s13, 2, v69
	;; [unrolled: 1-line block ×11, first 2 shown]
	s_waitcnt lgkmcnt(3)
	v_lshrrev_b32_e32 v94, 16, v78
	s_waitcnt lgkmcnt(2)
	v_lshrrev_b32_e32 v98, 16, v82
	s_waitcnt lgkmcnt(1)
	v_lshrrev_b32_e32 v102, 16, v86
	s_waitcnt lgkmcnt(0)
	v_lshrrev_b32_e32 v106, 16, v90
	v_lshrrev_b32_e32 v95, 16, v79
	v_cndmask_b32_e64 v110, v78, v94, s3
	v_cndmask_b32_e64 v111, v82, v98, s3
	;; [unrolled: 1-line block ×8, first 2 shown]
	v_lshrrev_b32_e32 v99, 16, v83
	v_cndmask_b32_e64 v94, v86, v102, s3
	v_cndmask_b32_e64 v98, v90, v106, s3
	;; [unrolled: 1-line block ×15, first 2 shown]
	v_lshrrev_b32_e32 v103, 16, v87
	v_lshrrev_b32_e32 v107, 16, v91
	v_cndmask_b32_e64 v113, v115, v83, s13
	v_cndmask_b32_e64 v82, v94, v87, s4
	;; [unrolled: 1-line block ×7, first 2 shown]
	v_cndmask_b32_e32 v90, v102, v95, vcc_lo
	v_cndmask_b32_e32 v102, v106, v99, vcc_lo
	v_cndmask_b32_e64 v106, v110, v95, s12
	v_cndmask_b32_e64 v110, v111, v99, s12
	;; [unrolled: 1-line block ×4, first 2 shown]
	v_lshrrev_b32_e32 v96, 16, v80
	v_lshrrev_b32_e32 v100, 16, v84
	v_cndmask_b32_e64 v111, v112, v95, s16
	v_cndmask_b32_e64 v112, v113, v99, s16
	v_cndmask_b32_e32 v82, v82, v103, vcc_lo
	v_cndmask_b32_e32 v83, v83, v107, vcc_lo
	v_cndmask_b32_e64 v94, v94, v103, s12
	v_cndmask_b32_e64 v90, v90, v80, s2
	;; [unrolled: 1-line block ×7, first 2 shown]
	v_lshrrev_b32_e32 v104, 16, v88
	v_cndmask_b32_e64 v106, v111, v80, s20
	v_cndmask_b32_e64 v110, v112, v84, s20
	;; [unrolled: 1-line block ×11, first 2 shown]
	v_lshrrev_b32_e32 v97, 16, v81
	v_lshrrev_b32_e32 v101, 16, v85
	v_cndmask_b32_e64 v99, v106, v96, s22
	v_cndmask_b32_e64 v102, v110, v100, s22
	;; [unrolled: 1-line block ×7, first 2 shown]
	v_lshrrev_b32_e32 v105, 16, v89
	v_cndmask_b32_e64 v80, v80, v104, s5
	v_cndmask_b32_e64 v84, v84, v81, s6
	;; [unrolled: 1-line block ×16, first 2 shown]
	v_perm_b32 v81, v79, v78, 0x5040100
	v_perm_b32 v79, v95, v85, 0x5040100
	v_cndmask_b32_e64 v78, v119, v91, s13
	v_cndmask_b32_e64 v85, v117, v91, s11
	;; [unrolled: 1-line block ×3, first 2 shown]
	v_perm_b32 v80, v94, v90, 0x5040100
	v_cndmask_b32_e64 v90, v98, v103, s16
	v_cndmask_b32_e64 v86, v86, v103, s17
	;; [unrolled: 1-line block ×5, first 2 shown]
	v_lshrrev_b32_e32 v108, 16, v92
	v_cndmask_b32_e64 v90, v90, v88, s20
	v_cndmask_b32_e64 v86, v86, v88, s21
	;; [unrolled: 1-line block ×11, first 2 shown]
	v_lshrrev_b32_e32 v109, 16, v93
	v_cndmask_b32_e64 v82, v82, v93, s6
	v_cndmask_b32_e64 v88, v88, v89, s25
	;; [unrolled: 1-line block ×12, first 2 shown]
	v_perm_b32 v78, v84, v83, 0x5040100
	v_perm_b32 v85, v87, v86, 0x5040100
	;; [unrolled: 1-line block ×5, first 2 shown]
	s_mul_i32 s7, s33, 6
	s_mov_b32 s2, exec_lo
	ds_store_b128 v74, v[78:81]
	ds_store_b128 v74, v[82:85] offset:1024
	v_cmpx_gt_u32_e32 6, v0
	s_cbranch_execz .LBB975_14
; %bb.13:
	s_mul_i32 s3, s7, s30
	s_load_b128 s[8:11], s[0:1], 0x58
	v_add3_u32 v68, s3, s31, v68
	s_delay_alu instid0(VALU_DEP_1) | instskip(NEXT) | instid1(VALU_DEP_1)
	v_mad_u64_u32 v[78:79], null, v68, s34, s[14:15]
	v_ashrrev_i32_e32 v79, 31, v78
	s_delay_alu instid0(VALU_DEP_1) | instskip(SKIP_1) | instid1(VALU_DEP_1)
	v_lshlrev_b64 v[78:79], 2, v[78:79]
	s_waitcnt lgkmcnt(0)
	v_add_co_u32 v80, vcc_lo, s10, v78
	s_delay_alu instid0(VALU_DEP_2)
	v_add_co_ci_u32_e32 v81, vcc_lo, s11, v79, vcc_lo
	v_add_co_u32 v78, vcc_lo, s8, v78
	v_add_co_ci_u32_e32 v79, vcc_lo, s9, v79, vcc_lo
	global_store_b32 v[80:81], v76, off
	global_store_b32 v[78:79], v77, off
.LBB975_14:
	s_or_b32 exec_lo, exec_lo, s2
	s_waitcnt lgkmcnt(0)
	s_waitcnt_vscnt null, 0x0
	s_barrier
	buffer_gl0_inv
	ds_load_b128 v[84:87], v73
	ds_load_b128 v[88:91], v73 offset:16
	ds_load_b128 v[96:99], v73 offset:2064
	;; [unrolled: 1-line block ×5, first 2 shown]
	v_cmp_eq_u32_e32 vcc_lo, 1, v70
	v_mov_b32_e32 v76, 0
	ds_load_b128 v[112:115], v73 offset:6160
	ds_load_b128 v[108:111], v73 offset:6144
	ds_load_b128 v[120:123], v73 offset:8208
	ds_load_b128 v[116:119], v73 offset:8192
	v_cmp_eq_u32_e64 s3, 1, v69
	v_cmp_eq_u32_e64 s2, 1, v72
	;; [unrolled: 1-line block ×3, first 2 shown]
	v_mov_b32_e32 v77, v76
	v_mov_b32_e32 v78, v76
	;; [unrolled: 1-line block ×7, first 2 shown]
	v_cmp_eq_u32_e64 s5, 3, v72
	v_cmp_eq_u32_e64 s6, 7, v72
	s_waitcnt lgkmcnt(8)
	s_delay_alu instid0(VALU_DEP_3)
	v_wmma_f32_16x16x16_f16 v[76:83], v[49:56], v[84:91], v[76:83]
	ds_load_b128 v[53:56], v73 offset:10256
	ds_load_b128 v[49:52], v73 offset:10240
	s_waitcnt lgkmcnt(8)
	v_wmma_f32_16x16x16_f16 v[76:83], v[41:48], v[92:99], v[76:83]
	ds_load_b128 v[45:48], v73 offset:12304
	ds_load_b128 v[41:44], v73 offset:12288
	s_waitcnt lgkmcnt(8)
	;; [unrolled: 4-line block ×3, first 2 shown]
	s_barrier
	buffer_gl0_inv
	v_wmma_f32_16x16x16_f16 v[76:83], v[1:8], v[108:115], v[76:83]
	s_delay_alu instid0(VALU_DEP_1) | instskip(NEXT) | instid1(VALU_DEP_1)
	v_wmma_f32_16x16x16_f16 v[76:83], v[9:16], v[116:123], v[76:83]
	v_wmma_f32_16x16x16_f16 v[76:83], v[17:24], v[49:56], v[76:83]
	s_delay_alu instid0(VALU_DEP_1) | instskip(NEXT) | instid1(VALU_DEP_1)
	v_wmma_f32_16x16x16_f16 v[76:83], v[25:32], v[41:48], v[76:83]
	v_wmma_f32_16x16x16_f16 v[76:83], v[57:64], v[33:40], v[76:83]
	s_delay_alu instid0(VALU_DEP_1) | instskip(NEXT) | instid1(VALU_DEP_2)
	v_cvt_f16_f32_e32 v1, v76
	v_cvt_f16_f32_e32 v2, v77
	s_delay_alu instid0(VALU_DEP_3) | instskip(NEXT) | instid1(VALU_DEP_4)
	v_cvt_f16_f32_e32 v3, v78
	v_cvt_f16_f32_e32 v4, v79
	;; [unrolled: 1-line block ×6, first 2 shown]
	v_pack_b32_f16 v1, v1, v2
	v_pack_b32_f16 v2, v3, v4
	;; [unrolled: 1-line block ×3, first 2 shown]
	s_delay_alu instid0(VALU_DEP_4)
	v_pack_b32_f16 v4, v7, v8
	ds_store_b128 v74, v[1:4]
	s_waitcnt lgkmcnt(0)
	s_barrier
	buffer_gl0_inv
	ds_load_b128 v[1:4], v75
	ds_load_b128 v[5:8], v75 offset:16
	s_waitcnt lgkmcnt(1)
	v_lshrrev_b32_e32 v9, 16, v1
	s_waitcnt lgkmcnt(0)
	v_lshrrev_b32_e32 v13, 16, v5
	v_lshrrev_b32_e32 v10, 16, v2
	;; [unrolled: 1-line block ×4, first 2 shown]
	v_cndmask_b32_e32 v17, v1, v9, vcc_lo
	v_cndmask_b32_e32 v18, v5, v13, vcc_lo
	v_cndmask_b32_e64 v21, v1, v9, s3
	v_cmp_eq_u32_e32 vcc_lo, 1, v71
	v_cndmask_b32_e64 v22, v5, v13, s3
	v_cmp_eq_u32_e64 s3, 2, v70
	v_cndmask_b32_e64 v19, v1, v9, s2
	v_cndmask_b32_e64 v20, v5, v13, s2
	v_cndmask_b32_e32 v1, v1, v9, vcc_lo
	v_cmp_eq_u32_e64 s2, 2, v71
	v_cndmask_b32_e32 v5, v5, v13, vcc_lo
	v_cndmask_b32_e64 v9, v17, v2, s3
	v_cmp_eq_u32_e32 vcc_lo, 3, v70
	v_cndmask_b32_e64 v13, v18, v6, s3
	v_cmp_eq_u32_e64 s3, 2, v69
	v_cndmask_b32_e64 v17, v19, v2, s4
	v_cndmask_b32_e64 v18, v20, v6, s4
	v_cmp_eq_u32_e64 s4, 3, v69
	v_cndmask_b32_e64 v1, v1, v2, s2
	v_cndmask_b32_e64 v19, v21, v2, s3
	;; [unrolled: 1-line block ×4, first 2 shown]
	v_cndmask_b32_e32 v5, v9, v10, vcc_lo
	v_cndmask_b32_e32 v6, v13, v14, vcc_lo
	v_cmp_eq_u32_e32 vcc_lo, 3, v71
	v_cndmask_b32_e64 v9, v17, v10, s5
	v_cndmask_b32_e64 v13, v18, v14, s5
	;; [unrolled: 1-line block ×3, first 2 shown]
	v_cmp_eq_u32_e64 s3, 4, v70
	v_cndmask_b32_e32 v1, v1, v10, vcc_lo
	v_cndmask_b32_e32 v2, v2, v14, vcc_lo
	v_cmp_eq_u32_e32 vcc_lo, 4, v72
	v_lshrrev_b32_e32 v15, 16, v7
	v_lshrrev_b32_e32 v16, 16, v8
	v_cndmask_b32_e64 v17, v19, v10, s4
	v_cmp_eq_u32_e64 s2, 4, v71
	v_cndmask_b32_e64 v5, v5, v3, s3
	v_cndmask_b32_e64 v6, v6, v7, s3
	v_cndmask_b32_e32 v9, v9, v3, vcc_lo
	v_cmp_eq_u32_e64 s3, 5, v72
	v_cndmask_b32_e32 v10, v13, v7, vcc_lo
	v_cmp_eq_u32_e32 vcc_lo, 4, v69
	v_cmp_eq_u32_e64 s4, 5, v70
	v_cndmask_b32_e64 v2, v2, v7, s2
	v_cndmask_b32_e64 v9, v9, v11, s3
	;; [unrolled: 1-line block ×3, first 2 shown]
	v_cndmask_b32_e32 v13, v17, v3, vcc_lo
	v_cmp_eq_u32_e64 s3, 5, v69
	v_cndmask_b32_e32 v14, v18, v7, vcc_lo
	v_cndmask_b32_e64 v1, v1, v3, s2
	v_cmp_eq_u32_e32 vcc_lo, 5, v71
	v_lshrrev_b32_e32 v12, 16, v4
	v_cndmask_b32_e64 v13, v13, v11, s3
	v_cndmask_b32_e64 v3, v14, v15, s3
	v_cmp_eq_u32_e64 s3, 6, v71
	v_cndmask_b32_e32 v1, v1, v11, vcc_lo
	v_cndmask_b32_e64 v5, v5, v11, s4
	v_cmp_eq_u32_e64 s5, 6, v70
	v_cndmask_b32_e64 v6, v6, v15, s4
	v_cmp_eq_u32_e64 s4, 6, v72
	v_cmp_eq_u32_e64 s2, 6, v69
	v_cndmask_b32_e64 v1, v1, v4, s3
	v_cndmask_b32_e32 v2, v2, v15, vcc_lo
	v_cmp_eq_u32_e32 vcc_lo, 7, v71
	v_cndmask_b32_e64 v5, v5, v4, s5
	v_cndmask_b32_e64 v9, v9, v4, s4
	;; [unrolled: 1-line block ×3, first 2 shown]
	v_cmp_eq_u32_e64 s5, 7, v70
	v_cndmask_b32_e32 v1, v1, v12, vcc_lo
	v_cndmask_b32_e64 v7, v13, v4, s2
	v_cndmask_b32_e64 v3, v3, v8, s2
	;; [unrolled: 1-line block ×3, first 2 shown]
	v_cmp_eq_u32_e64 s2, 7, v69
	v_cndmask_b32_e64 v4, v10, v8, s4
	v_cndmask_b32_e64 v5, v5, v12, s5
	;; [unrolled: 1-line block ×3, first 2 shown]
	v_cndmask_b32_e32 v2, v2, v16, vcc_lo
	v_cndmask_b32_e64 v7, v7, v12, s2
	v_cndmask_b32_e64 v3, v3, v16, s2
	v_cndmask_b32_e64 v8, v4, v16, s6
	v_cndmask_b32_e64 v6, v6, v16, s5
	v_perm_b32 v4, v2, v1, 0x5040100
	s_mov_b32 s2, exec_lo
	v_perm_b32 v3, v3, v7, 0x5040100
	v_perm_b32 v2, v8, v9, 0x5040100
	;; [unrolled: 1-line block ×3, first 2 shown]
	ds_store_b128 v74, v[1:4]
	s_waitcnt lgkmcnt(0)
	s_barrier
	buffer_gl0_inv
	v_cmpx_gt_u32_e32 32, v0
	s_cbranch_execz .LBB975_2
; %bb.15:
	s_load_b64 s[0:1], s[0:1], 0x68
	s_lshl_b32 s4, s34, 7
	v_or_b32_e32 v3, s31, v66
	s_mul_i32 s2, s4, s30
	v_lshlrev_b32_e32 v0, 10, v0
	s_mul_i32 s2, s2, s7
	v_lshlrev_b32_e32 v1, 4, v67
	s_ashr_i32 s3, s2, 31
	v_mul_lo_u32 v12, v3, s4
	s_lshl_b64 s[2:3], s[2:3], 1
	v_lshlrev_b32_e32 v2, 6, v66
	v_and_b32_e32 v0, 0x3800, v0
	s_delay_alu instid0(VALU_DEP_1) | instskip(NEXT) | instid1(VALU_DEP_4)
	v_or3_b32 v8, v0, v1, v2
	v_ashrrev_i32_e32 v13, 31, v12
	ds_load_b128 v[0:3], v8
	ds_load_b128 v[4:7], v8 offset:128
	ds_load_b128 v[8:11], v8 offset:256
	s_waitcnt lgkmcnt(0)
	s_add_u32 s2, s0, s2
	s_addc_u32 s3, s1, s3
	s_lshl_b32 s0, s14, 7
	s_delay_alu instid0(SALU_CYCLE_1) | instskip(NEXT) | instid1(SALU_CYCLE_1)
	s_ashr_i32 s1, s0, 31
	s_lshl_b64 s[0:1], s[0:1], 1
	s_delay_alu instid0(SALU_CYCLE_1)
	s_add_u32 s0, s2, s0
	s_addc_u32 s1, s3, s1
	s_lshl_b32 s2, s34, 8
	v_add_co_u32 v18, s0, s0, v65
	v_add_nc_u32_e32 v14, s2, v12
	v_lshlrev_b64 v[12:13], 1, v[12:13]
	v_add_co_ci_u32_e64 v19, null, s1, 0, s0
	s_delay_alu instid0(VALU_DEP_3) | instskip(SKIP_1) | instid1(VALU_DEP_4)
	v_add_nc_u32_e32 v16, s2, v14
	v_ashrrev_i32_e32 v15, 31, v14
	v_add_co_u32 v12, vcc_lo, v18, v12
	s_delay_alu instid0(VALU_DEP_4) | instskip(NEXT) | instid1(VALU_DEP_4)
	v_add_co_ci_u32_e32 v13, vcc_lo, v19, v13, vcc_lo
	v_ashrrev_i32_e32 v17, 31, v16
	s_delay_alu instid0(VALU_DEP_4) | instskip(NEXT) | instid1(VALU_DEP_2)
	v_lshlrev_b64 v[14:15], 1, v[14:15]
	v_lshlrev_b64 v[16:17], 1, v[16:17]
	s_delay_alu instid0(VALU_DEP_2) | instskip(NEXT) | instid1(VALU_DEP_3)
	v_add_co_u32 v14, vcc_lo, v18, v14
	v_add_co_ci_u32_e32 v15, vcc_lo, v19, v15, vcc_lo
	s_delay_alu instid0(VALU_DEP_3) | instskip(NEXT) | instid1(VALU_DEP_4)
	v_add_co_u32 v16, vcc_lo, v18, v16
	v_add_co_ci_u32_e32 v17, vcc_lo, v19, v17, vcc_lo
	s_clause 0x2
	global_store_b128 v[12:13], v[0:3], off
	global_store_b128 v[14:15], v[4:7], off
	;; [unrolled: 1-line block ×3, first 2 shown]
	s_nop 0
	s_sendmsg sendmsg(MSG_DEALLOC_VGPRS)
	s_endpgm
	.section	.rodata,"a",@progbits
	.p2align	6, 0x0
	.amdhsa_kernel _Z39paged_attention_ll4mi_QKV_mfma16_kernelIDF16_hLN4vllm18Fp8KVCacheDataTypeE1EDF16_Li16ELi128ELi256ELb1ELi6EL8MFMAType1EEvPKT_PKT0_S8_ifPKiSA_SA_iPKfiiiPfSD_PS3_PT2_iSC_SC_
		.amdhsa_group_segment_fixed_size 17472
		.amdhsa_private_segment_fixed_size 0
		.amdhsa_kernarg_size 400
		.amdhsa_user_sgpr_count 13
		.amdhsa_user_sgpr_dispatch_ptr 0
		.amdhsa_user_sgpr_queue_ptr 0
		.amdhsa_user_sgpr_kernarg_segment_ptr 1
		.amdhsa_user_sgpr_dispatch_id 0
		.amdhsa_user_sgpr_private_segment_size 0
		.amdhsa_wavefront_size32 1
		.amdhsa_uses_dynamic_stack 0
		.amdhsa_enable_private_segment 0
		.amdhsa_system_sgpr_workgroup_id_x 1
		.amdhsa_system_sgpr_workgroup_id_y 1
		.amdhsa_system_sgpr_workgroup_id_z 1
		.amdhsa_system_sgpr_workgroup_info 0
		.amdhsa_system_vgpr_workitem_id 0
		.amdhsa_next_free_vgpr 150
		.amdhsa_next_free_sgpr 36
		.amdhsa_reserve_vcc 1
		.amdhsa_float_round_mode_32 0
		.amdhsa_float_round_mode_16_64 0
		.amdhsa_float_denorm_mode_32 3
		.amdhsa_float_denorm_mode_16_64 3
		.amdhsa_dx10_clamp 1
		.amdhsa_ieee_mode 1
		.amdhsa_fp16_overflow 0
		.amdhsa_workgroup_processor_mode 1
		.amdhsa_memory_ordered 1
		.amdhsa_forward_progress 0
		.amdhsa_shared_vgpr_count 0
		.amdhsa_exception_fp_ieee_invalid_op 0
		.amdhsa_exception_fp_denorm_src 0
		.amdhsa_exception_fp_ieee_div_zero 0
		.amdhsa_exception_fp_ieee_overflow 0
		.amdhsa_exception_fp_ieee_underflow 0
		.amdhsa_exception_fp_ieee_inexact 0
		.amdhsa_exception_int_div_zero 0
	.end_amdhsa_kernel
	.section	.text._Z39paged_attention_ll4mi_QKV_mfma16_kernelIDF16_hLN4vllm18Fp8KVCacheDataTypeE1EDF16_Li16ELi128ELi256ELb1ELi6EL8MFMAType1EEvPKT_PKT0_S8_ifPKiSA_SA_iPKfiiiPfSD_PS3_PT2_iSC_SC_,"axG",@progbits,_Z39paged_attention_ll4mi_QKV_mfma16_kernelIDF16_hLN4vllm18Fp8KVCacheDataTypeE1EDF16_Li16ELi128ELi256ELb1ELi6EL8MFMAType1EEvPKT_PKT0_S8_ifPKiSA_SA_iPKfiiiPfSD_PS3_PT2_iSC_SC_,comdat
.Lfunc_end975:
	.size	_Z39paged_attention_ll4mi_QKV_mfma16_kernelIDF16_hLN4vllm18Fp8KVCacheDataTypeE1EDF16_Li16ELi128ELi256ELb1ELi6EL8MFMAType1EEvPKT_PKT0_S8_ifPKiSA_SA_iPKfiiiPfSD_PS3_PT2_iSC_SC_, .Lfunc_end975-_Z39paged_attention_ll4mi_QKV_mfma16_kernelIDF16_hLN4vllm18Fp8KVCacheDataTypeE1EDF16_Li16ELi128ELi256ELb1ELi6EL8MFMAType1EEvPKT_PKT0_S8_ifPKiSA_SA_iPKfiiiPfSD_PS3_PT2_iSC_SC_
                                        ; -- End function
	.section	.AMDGPU.csdata,"",@progbits
; Kernel info:
; codeLenInByte = 6620
; NumSgprs: 38
; NumVgprs: 150
; ScratchSize: 0
; MemoryBound: 0
; FloatMode: 240
; IeeeMode: 1
; LDSByteSize: 17472 bytes/workgroup (compile time only)
; SGPRBlocks: 4
; VGPRBlocks: 18
; NumSGPRsForWavesPerEU: 38
; NumVGPRsForWavesPerEU: 150
; Occupancy: 9
; WaveLimiterHint : 1
; COMPUTE_PGM_RSRC2:SCRATCH_EN: 0
; COMPUTE_PGM_RSRC2:USER_SGPR: 13
; COMPUTE_PGM_RSRC2:TRAP_HANDLER: 0
; COMPUTE_PGM_RSRC2:TGID_X_EN: 1
; COMPUTE_PGM_RSRC2:TGID_Y_EN: 1
; COMPUTE_PGM_RSRC2:TGID_Z_EN: 1
; COMPUTE_PGM_RSRC2:TIDIG_COMP_CNT: 0
	.section	.text._Z39paged_attention_ll4mi_QKV_mfma16_kernelIDF16_hLN4vllm18Fp8KVCacheDataTypeE1EDF16_Li16ELi128ELi256ELb1ELi7EL8MFMAType1EEvPKT_PKT0_S8_ifPKiSA_SA_iPKfiiiPfSD_PS3_PT2_iSC_SC_,"axG",@progbits,_Z39paged_attention_ll4mi_QKV_mfma16_kernelIDF16_hLN4vllm18Fp8KVCacheDataTypeE1EDF16_Li16ELi128ELi256ELb1ELi7EL8MFMAType1EEvPKT_PKT0_S8_ifPKiSA_SA_iPKfiiiPfSD_PS3_PT2_iSC_SC_,comdat
	.protected	_Z39paged_attention_ll4mi_QKV_mfma16_kernelIDF16_hLN4vllm18Fp8KVCacheDataTypeE1EDF16_Li16ELi128ELi256ELb1ELi7EL8MFMAType1EEvPKT_PKT0_S8_ifPKiSA_SA_iPKfiiiPfSD_PS3_PT2_iSC_SC_ ; -- Begin function _Z39paged_attention_ll4mi_QKV_mfma16_kernelIDF16_hLN4vllm18Fp8KVCacheDataTypeE1EDF16_Li16ELi128ELi256ELb1ELi7EL8MFMAType1EEvPKT_PKT0_S8_ifPKiSA_SA_iPKfiiiPfSD_PS3_PT2_iSC_SC_
	.globl	_Z39paged_attention_ll4mi_QKV_mfma16_kernelIDF16_hLN4vllm18Fp8KVCacheDataTypeE1EDF16_Li16ELi128ELi256ELb1ELi7EL8MFMAType1EEvPKT_PKT0_S8_ifPKiSA_SA_iPKfiiiPfSD_PS3_PT2_iSC_SC_
	.p2align	8
	.type	_Z39paged_attention_ll4mi_QKV_mfma16_kernelIDF16_hLN4vllm18Fp8KVCacheDataTypeE1EDF16_Li16ELi128ELi256ELb1ELi7EL8MFMAType1EEvPKT_PKT0_S8_ifPKiSA_SA_iPKfiiiPfSD_PS3_PT2_iSC_SC_,@function
_Z39paged_attention_ll4mi_QKV_mfma16_kernelIDF16_hLN4vllm18Fp8KVCacheDataTypeE1EDF16_Li16ELi128ELi256ELb1ELi7EL8MFMAType1EEvPKT_PKT0_S8_ifPKiSA_SA_iPKfiiiPfSD_PS3_PT2_iSC_SC_: ; @_Z39paged_attention_ll4mi_QKV_mfma16_kernelIDF16_hLN4vllm18Fp8KVCacheDataTypeE1EDF16_Li16ELi128ELi256ELb1ELi7EL8MFMAType1EEvPKT_PKT0_S8_ifPKiSA_SA_iPKfiiiPfSD_PS3_PT2_iSC_SC_
; %bb.0:
	s_load_b64 s[4:5], s[0:1], 0x30
	s_mov_b32 s34, s13
	s_waitcnt lgkmcnt(0)
	s_cmp_lg_u64 s[4:5], 0
	s_cselect_b32 s8, -1, 0
	s_ashr_i32 s35, s13, 31
	s_cmp_eq_u64 s[4:5], 0
	s_cbranch_scc1 .LBB976_3
; %bb.1:
	s_lshl_b64 s[2:3], s[34:35], 2
	s_delay_alu instid0(SALU_CYCLE_1) | instskip(SKIP_4) | instid1(SALU_CYCLE_1)
	s_add_u32 s2, s4, s2
	s_addc_u32 s3, s5, s3
	s_load_b64 s[2:3], s[2:3], 0x0
	s_waitcnt lgkmcnt(0)
	s_sub_i32 s2, s3, s2
	s_cmp_eq_u32 s2, 1
	s_cselect_b32 s2, -1, 0
	s_delay_alu instid0(SALU_CYCLE_1)
	s_and_not1_b32 vcc_lo, exec_lo, s2
	s_cbranch_vccz .LBB976_4
.LBB976_2:
	s_nop 0
	s_sendmsg sendmsg(MSG_DEALLOC_VGPRS)
	s_endpgm
.LBB976_3:
.LBB976_4:
	s_load_b64 s[2:3], s[0:1], 0x28
	s_lshl_b64 s[6:7], s[34:35], 2
	s_waitcnt lgkmcnt(0)
	s_add_u32 s2, s2, s6
	s_addc_u32 s3, s3, s7
	s_lshl_b32 s12, s14, 8
	s_load_b32 s24, s[2:3], 0x0
	s_waitcnt lgkmcnt(0)
	s_cmp_ge_i32 s12, s24
	s_cbranch_scc1 .LBB976_2
; %bb.5:
	s_clause 0x1
	s_load_b128 s[20:23], s[0:1], 0x8
	s_load_b64 s[2:3], s[0:1], 0x20
	s_and_not1_b32 vcc_lo, exec_lo, s8
	s_cbranch_vccnz .LBB976_7
; %bb.6:
	s_add_u32 s4, s4, s6
	s_addc_u32 s5, s5, s7
	s_load_b32 s5, s[4:5], 0x0
	s_branch .LBB976_8
.LBB976_7:
	s_mov_b32 s5, s34
.LBB976_8:
	s_load_b128 s[16:19], s[0:1], 0x48
	v_and_b32_e32 v68, 15, v0
	v_lshrrev_b32_e32 v69, 5, v0
	v_bfe_u32 v66, v0, 4, 1
	v_and_b32_e32 v70, 31, v0
	v_and_b32_e32 v67, 1, v0
	v_lshlrev_b32_e32 v2, 3, v68
	s_mul_i32 s31, s15, 7
	v_lshl_or_b32 v1, v69, 1, v66
	s_mov_b32 s4, exec_lo
	s_delay_alu instid0(VALU_DEP_2) | instskip(NEXT) | instid1(VALU_DEP_2)
	v_lshlrev_b32_e32 v65, 1, v2
	v_cmpx_gt_u32_e32 7, v1
	s_cbranch_execz .LBB976_10
; %bb.9:
	s_load_b64 s[6:7], s[0:1], 0x0
	v_add_lshl_u32 v2, v1, s31, 7
	s_waitcnt lgkmcnt(0)
	s_mul_hi_i32 s9, s5, s16
	s_mul_i32 s8, s5, s16
	v_lshlrev_b32_e32 v6, 10, v68
	s_lshl_b64 s[8:9], s[8:9], 1
	v_ashrrev_i32_e32 v3, 31, v2
	v_lshlrev_b32_e32 v1, 6, v1
	v_lshlrev_b32_e32 v7, 10, v67
	v_and_b32_e32 v6, 0x3800, v6
	s_delay_alu instid0(VALU_DEP_4) | instskip(NEXT) | instid1(VALU_DEP_2)
	v_lshlrev_b64 v[2:3], 1, v[2:3]
	v_or3_b32 v1, v6, v7, v1
	s_add_u32 s5, s6, s8
	s_addc_u32 s6, s7, s9
	s_delay_alu instid0(VALU_DEP_2) | instskip(NEXT) | instid1(VALU_DEP_3)
	v_add_co_u32 v2, vcc_lo, s5, v2
	v_add_co_ci_u32_e32 v3, vcc_lo, s6, v3, vcc_lo
	s_delay_alu instid0(VALU_DEP_2) | instskip(NEXT) | instid1(VALU_DEP_2)
	v_add_co_u32 v2, vcc_lo, v2, v65
	v_add_co_ci_u32_e32 v3, vcc_lo, 0, v3, vcc_lo
	global_load_b128 v[2:5], v[2:3], off
	s_waitcnt vmcnt(0)
	ds_store_b128 v1, v[2:5]
.LBB976_10:
	s_or_b32 exec_lo, exec_lo, s4
	v_and_b32_e32 v1, 0xef, v0
	s_waitcnt lgkmcnt(0)
	s_add_i32 s5, s24, 15
	s_clause 0x1
	s_load_b32 s4, s[0:1], 0x38
	s_load_b32 s33, s[0:1], 0x98
	s_ashr_i32 s6, s5, 31
	v_add_nc_u32_e32 v1, s12, v1
	s_lshr_b32 s6, s6, 28
	s_load_b32 s19, s[0:1], 0x1c
	s_add_i32 s5, s5, s6
	s_waitcnt lgkmcnt(0)
	v_ashrrev_i32_e32 v2, 31, v1
	v_or_b32_e32 v3, 16, v1
	s_ashr_i32 s13, s5, 4
	v_cmp_gt_i32_e32 vcc_lo, s24, v1
	s_add_i32 s13, s13, -1
	v_lshrrev_b32_e32 v2, 28, v2
	s_barrier
	buffer_gl0_inv
	s_mul_i32 s15, s15, s18
	v_add_nc_u32_e32 v4, v1, v2
	s_mul_i32 s4, s34, s4
	s_delay_alu instid0(SALU_CYCLE_1) | instskip(NEXT) | instid1(VALU_DEP_1)
	s_ashr_i32 s5, s4, 31
	v_ashrrev_i32_e32 v4, 4, v4
	v_add_nc_u32_e32 v2, v3, v2
	s_lshl_b64 s[4:5], s[4:5], 2
	s_delay_alu instid0(SALU_CYCLE_1) | instskip(NEXT) | instid1(VALU_DEP_2)
	s_add_u32 s16, s2, s4
	v_cndmask_b32_e32 v1, s13, v4, vcc_lo
	s_delay_alu instid0(VALU_DEP_2)
	v_ashrrev_i32_e32 v2, 4, v2
	v_cmp_gt_i32_e32 vcc_lo, s24, v3
	s_addc_u32 s25, s3, s5
	s_ashr_i32 s18, s15, 31
	s_add_u32 s26, s20, s15
	s_addc_u32 s27, s21, s18
	v_cndmask_b32_e32 v3, s13, v2, vcc_lo
	v_ashrrev_i32_e32 v2, 31, v1
	s_lshl_b32 s2, s14, 4
	s_delay_alu instid0(SALU_CYCLE_1) | instskip(NEXT) | instid1(VALU_DEP_2)
	s_ashr_i32 s3, s2, 31
	v_ashrrev_i32_e32 v4, 31, v3
	s_delay_alu instid0(VALU_DEP_2) | instskip(SKIP_1) | instid1(SALU_CYCLE_1)
	v_lshlrev_b64 v[1:2], 2, v[1:2]
	s_lshl_b64 s[2:3], s[2:3], 2
	s_add_u32 s2, s16, s2
	s_delay_alu instid0(VALU_DEP_2) | instskip(SKIP_1) | instid1(VALU_DEP_2)
	v_lshlrev_b64 v[3:4], 2, v[3:4]
	s_addc_u32 s3, s25, s3
	v_add_co_u32 v1, vcc_lo, s16, v1
	v_add_co_ci_u32_e32 v2, vcc_lo, s25, v2, vcc_lo
	s_delay_alu instid0(VALU_DEP_3) | instskip(NEXT) | instid1(VALU_DEP_4)
	v_add_co_u32 v3, vcc_lo, s16, v3
	v_add_co_ci_u32_e32 v4, vcc_lo, s25, v4, vcc_lo
	s_clause 0x1
	global_load_b32 v5, v[1:2], off
	global_load_b32 v7, v[3:4], off
	s_or_b32 s4, s12, 32
	v_lshlrev_b32_e32 v1, 4, v0
	s_ashr_i32 s5, s4, 4
	s_cmp_lt_i32 s4, s24
	s_cselect_b32 s4, s5, s13
	s_delay_alu instid0(VALU_DEP_1) | instskip(SKIP_1) | instid1(SALU_CYCLE_1)
	v_and_b32_e32 v1, 0xf0, v1
	s_ashr_i32 s5, s4, 31
	s_lshl_b64 s[4:5], s[4:5], 2
	s_delay_alu instid0(SALU_CYCLE_1)
	s_add_u32 s4, s16, s4
	s_addc_u32 s5, s25, s5
	s_or_b32 s6, s12, 64
	v_add_co_u32 v1, s26, s26, v1
	s_ashr_i32 s7, s6, 4
	s_cmp_lt_i32 s6, s24
	v_add_co_ci_u32_e64 v2, null, s27, 0, s26
	s_cselect_b32 s6, s7, s13
	s_delay_alu instid0(SALU_CYCLE_1) | instskip(NEXT) | instid1(SALU_CYCLE_1)
	s_ashr_i32 s7, s6, 31
	s_lshl_b64 s[6:7], s[6:7], 2
	s_delay_alu instid0(SALU_CYCLE_1) | instskip(SKIP_2) | instid1(SALU_CYCLE_1)
	s_add_u32 s6, s16, s6
	s_addc_u32 s7, s25, s7
	s_or_b32 s8, s12, 0x60
	s_ashr_i32 s9, s8, 4
	s_cmp_lt_i32 s8, s24
	s_cselect_b32 s8, s9, s13
	s_delay_alu instid0(SALU_CYCLE_1) | instskip(NEXT) | instid1(SALU_CYCLE_1)
	s_ashr_i32 s9, s8, 31
	s_lshl_b64 s[8:9], s[8:9], 2
	s_delay_alu instid0(SALU_CYCLE_1) | instskip(SKIP_2) | instid1(SALU_CYCLE_1)
	s_add_u32 s8, s16, s8
	s_addc_u32 s9, s25, s9
	s_or_b32 s10, s12, 0x80
	s_ashr_i32 s11, s10, 4
	s_cmp_lt_i32 s10, s24
	;; [unrolled: 10-line block ×3, first 2 shown]
	s_cselect_b32 s20, s21, s13
	s_delay_alu instid0(SALU_CYCLE_1) | instskip(NEXT) | instid1(SALU_CYCLE_1)
	s_ashr_i32 s21, s20, 31
	s_lshl_b64 s[20:21], s[20:21], 2
	s_delay_alu instid0(SALU_CYCLE_1)
	s_add_u32 s20, s16, s20
	s_addc_u32 s21, s25, s21
	s_clause 0x5
	s_load_b32 s26, s[2:3], 0x0
	s_load_b32 s27, s[4:5], 0x0
	;; [unrolled: 1-line block ×6, first 2 shown]
	s_or_b32 s2, s12, 0xc0
	s_mov_b32 s4, 0
	s_ashr_i32 s3, s2, 4
	s_cmp_lt_i32 s2, s24
	s_mov_b32 s11, s4
	s_cselect_b32 s2, s3, s13
	s_mov_b32 s5, s4
	s_ashr_i32 s3, s2, 31
	s_mov_b32 s6, s4
	s_lshl_b64 s[2:3], s[2:3], 2
	s_mov_b32 s7, s4
	s_add_u32 s2, s16, s2
	s_addc_u32 s3, s25, s3
	s_or_b32 s20, s12, 0xe0
	s_mov_b32 s8, s4
	s_ashr_i32 s21, s20, 4
	s_cmp_lt_i32 s20, s24
	s_mov_b32 s9, s4
	s_cselect_b32 s20, s21, s13
	s_mov_b32 s10, s4
	s_ashr_i32 s21, s20, 31
	v_mov_b32_e32 v118, s11
	v_dual_mov_b32 v112, s5 :: v_dual_mov_b32 v117, s10
	v_dual_mov_b32 v116, s9 :: v_dual_mov_b32 v115, s8
	v_dual_mov_b32 v114, s7 :: v_dual_mov_b32 v113, s6
	v_mov_b32_e32 v111, s4
	s_lshl_b64 s[4:5], s[20:21], 2
	s_delay_alu instid0(SALU_CYCLE_1)
	s_add_u32 s4, s16, s4
	s_addc_u32 s5, s25, s5
	s_add_u32 s6, s22, s15
	s_addc_u32 s7, s23, s18
	s_waitcnt vmcnt(1)
	v_mad_i64_i32 v[3:4], null, v5, s17, v[1:2]
	s_waitcnt vmcnt(0)
	v_mad_i64_i32 v[5:6], null, v7, s17, v[1:2]
	v_mul_lo_u16 v1, v68, 37
	v_lshlrev_b32_e32 v2, 4, v68
	s_clause 0xf
	global_load_b128 v[17:20], v[3:4], off
	global_load_b128 v[21:24], v[3:4], off offset:256
	global_load_b128 v[25:28], v[5:6], off
	global_load_b128 v[29:32], v[5:6], off offset:256
	global_load_b128 v[57:60], v[3:4], off offset:512
	;; [unrolled: 1-line block ×13, first 2 shown]
	v_lshrrev_b16 v1, 8, v1
	s_delay_alu instid0(VALU_DEP_1) | instskip(NEXT) | instid1(VALU_DEP_1)
	v_mul_lo_u16 v1, v1, 7
	v_sub_nc_u16 v1, v68, v1
	s_delay_alu instid0(VALU_DEP_1) | instskip(NEXT) | instid1(VALU_DEP_1)
	v_and_b32_e32 v1, 0xff, v1
	v_lshlrev_b32_e32 v149, 6, v1
	v_lshl_or_b32 v1, v69, 8, v2
	ds_load_b128 v[119:122], v149
	ds_load_b128 v[123:126], v149 offset:1024
	ds_load_b128 v[127:130], v149 offset:2048
	;; [unrolled: 1-line block ×3, first 2 shown]
	s_clause 0x1
	s_load_b32 s2, s[2:3], 0x0
	s_load_b32 s3, s[4:5], 0x0
	v_add_co_u32 v135, s6, s6, v1
	s_delay_alu instid0(VALU_DEP_1) | instskip(SKIP_1) | instid1(VALU_DEP_1)
	v_add_co_ci_u32_e64 v136, null, s7, 0, s6
	s_waitcnt lgkmcnt(0)
	v_mad_i64_i32 v[1:2], null, s26, s17, v[135:136]
	v_mad_i64_i32 v[3:4], null, s27, s17, v[135:136]
	;; [unrolled: 1-line block ×6, first 2 shown]
	s_clause 0x9
	global_load_b128 v[49:52], v[1:2], off
	global_load_b128 v[53:56], v[1:2], off offset:16
	global_load_b128 v[41:44], v[3:4], off
	global_load_b128 v[45:48], v[3:4], off offset:16
	;; [unrolled: 2-line block ×5, first 2 shown]
	v_mad_i64_i32 v[145:146], null, s2, s17, v[135:136]
	v_mad_i64_i32 v[147:148], null, s3, s17, v[135:136]
	s_waitcnt vmcnt(24)
	v_wmma_f32_16x16x16_f16 v[135:142], v[17:24], v[119:126], v[111:118]
	s_waitcnt vmcnt(22)
	v_wmma_f32_16x16x16_f16 v[111:118], v[25:32], v[119:126], v[111:118]
	s_clause 0x3
	global_load_b128 v[17:20], v[143:144], off
	global_load_b128 v[21:24], v[143:144], off offset:16
	global_load_b128 v[25:28], v[145:146], off
	global_load_b128 v[29:32], v[145:146], off offset:16
	v_and_b32_e32 v119, 0xe0, v0
	s_waitcnt vmcnt(24)
	v_wmma_f32_16x16x16_f16 v[135:142], v[57:64], v[127:134], v[135:142]
	s_clause 0x1
	global_load_b128 v[57:60], v[147:148], off
	global_load_b128 v[61:64], v[147:148], off offset:16
	s_waitcnt vmcnt(24)
	v_wmma_f32_16x16x16_f16 v[111:118], v[71:78], v[127:134], v[111:118]
	ds_load_b128 v[71:74], v149 offset:4096
	ds_load_b128 v[75:78], v149 offset:5120
	v_add_nc_u32_e32 v128, s12, v119
	ds_load_b128 v[119:122], v149 offset:6144
	ds_load_b128 v[123:126], v149 offset:7168
	v_mbcnt_lo_u32_b32 v127, -1, 0
	s_waitcnt vmcnt(0) lgkmcnt(0)
	s_barrier
	v_or_b32_e32 v128, v128, v66
	buffer_gl0_inv
	v_xor_b32_e32 v129, 16, v127
	v_or_b32_e32 v130, 4, v128
	v_or_b32_e32 v131, 6, v128
	s_delay_alu instid0(VALU_DEP_3) | instskip(SKIP_4) | instid1(VALU_DEP_4)
	v_cmp_gt_i32_e32 vcc_lo, 32, v129
	v_or_b32_e32 v132, 8, v128
	v_or_b32_e32 v133, 10, v128
	v_cmp_gt_i32_e64 s3, s24, v130
	v_cmp_gt_i32_e64 s4, s24, v131
	v_cmp_gt_i32_e64 s5, s24, v132
	v_wmma_f32_16x16x16_f16 v[135:142], v[79:86], v[71:78], v[135:142]
	v_wmma_f32_16x16x16_f16 v[111:118], v[87:94], v[71:78], v[111:118]
	v_or_b32_e32 v79, 12, v128
	v_or_b32_e32 v80, 14, v128
	v_cmp_gt_i32_e64 s6, s24, v133
	v_wmma_f32_16x16x16_f16 v[135:142], v[95:102], v[119:126], v[135:142]
	v_wmma_f32_16x16x16_f16 v[111:118], v[103:110], v[119:126], v[111:118]
	v_cndmask_b32_e32 v127, v127, v129, vcc_lo
	v_or_b32_e32 v129, 2, v128
	v_cmp_gt_i32_e32 vcc_lo, s24, v128
	s_delay_alu instid0(VALU_DEP_4) | instskip(SKIP_1) | instid1(VALU_DEP_4)
	v_dual_mul_f32 v87, s19, v136 :: v_dual_mul_f32 v94, s19, v113
	v_mul_f32_e32 v88, s19, v135
	v_cmp_gt_i32_e64 s2, s24, v129
	v_mul_f32_e32 v78, s19, v138
	v_mul_f32_e32 v86, s19, v137
	;; [unrolled: 1-line block ×3, first 2 shown]
	v_cndmask_b32_e32 v88, 0xff7fffff, v88, vcc_lo
	v_cndmask_b32_e64 v87, 0xff7fffff, v87, s2
	v_dual_mul_f32 v77, s19, v139 :: v_dual_mul_f32 v90, s19, v117
	v_cndmask_b32_e64 v86, 0xff7fffff, v86, s3
	v_cndmask_b32_e64 v78, 0xff7fffff, v78, s4
	s_delay_alu instid0(VALU_DEP_4)
	v_max3_f32 v87, v88, 0xff7fffff, v87
	v_or_b32_e32 v81, 16, v128
	v_or_b32_e32 v82, 18, v128
	v_dual_mul_f32 v74, s19, v142 :: v_dual_mul_f32 v75, s19, v141
	v_mul_f32_e32 v96, s19, v111
	v_cndmask_b32_e64 v77, 0xff7fffff, v77, s5
	v_cndmask_b32_e64 v76, 0xff7fffff, v76, s6
	v_max3_f32 v78, v87, v86, v78
	v_cmp_gt_i32_e64 s7, s24, v79
	v_cmp_gt_i32_e64 s8, s24, v80
	v_or_b32_e32 v83, 20, v128
	v_or_b32_e32 v84, 22, v128
	v_mul_f32_e32 v95, s19, v112
	v_cndmask_b32_e64 v75, 0xff7fffff, v75, s7
	v_cndmask_b32_e64 v74, 0xff7fffff, v74, s8
	v_max3_f32 v76, v78, v77, v76
	v_cmp_gt_i32_e64 s9, s24, v81
	v_cmp_gt_i32_e64 s10, s24, v82
	v_or_b32_e32 v85, 24, v128
	v_or_b32_e32 v71, 26, v128
	;; [unrolled: 8-line block ×3, first 2 shown]
	v_dual_mul_f32 v91, s19, v116 :: v_dual_mul_f32 v92, s19, v115
	v_cndmask_b32_e64 v75, 0xff7fffff, v94, s11
	v_cndmask_b32_e64 v76, 0xff7fffff, v93, s12
	v_max3_f32 v74, v74, v77, v78
	v_cmp_gt_i32_e64 s13, s24, v85
	v_cmp_gt_i32_e64 s15, s24, v71
	v_mul_f32_e32 v89, s19, v118
	v_cmp_gt_i32_e64 s16, s24, v72
	v_max3_f32 v74, v74, v75, v76
	v_cndmask_b32_e64 v77, 0xff7fffff, v92, s13
	v_cndmask_b32_e64 v71, 0xff7fffff, v91, s15
	v_cmp_gt_i32_e64 s17, s24, v73
	v_cndmask_b32_e64 v72, 0xff7fffff, v90, s16
	s_delay_alu instid0(VALU_DEP_3) | instskip(SKIP_1) | instid1(VALU_DEP_4)
	v_max3_f32 v71, v74, v77, v71
	v_lshlrev_b32_e32 v74, 2, v127
	v_cndmask_b32_e64 v73, 0xff7fffff, v89, s17
	s_delay_alu instid0(VALU_DEP_1) | instskip(SKIP_3) | instid1(VALU_DEP_1)
	v_max3_f32 v71, v71, v72, v73
	ds_bpermute_b32 v72, v74, v71
	s_waitcnt lgkmcnt(0)
	v_max_f32_e32 v72, v72, v72
	v_max_f32_e32 v71, v71, v72
	s_delay_alu instid0(VALU_DEP_1) | instskip(SKIP_4) | instid1(VALU_DEP_4)
	v_fma_f32 v72, s19, v135, -v71
	v_fma_f32 v73, s19, v136, -v71
	;; [unrolled: 1-line block ×5, first 2 shown]
	v_dual_mul_f32 v72, 0x3fb8aa3b, v72 :: v_dual_mul_f32 v73, 0x3fb8aa3b, v73
	s_delay_alu instid0(VALU_DEP_3) | instskip(SKIP_1) | instid1(VALU_DEP_3)
	v_dual_mul_f32 v75, 0x3fb8aa3b, v75 :: v_dual_mul_f32 v76, 0x3fb8aa3b, v76
	v_fma_f32 v80, s19, v141, -v71
	v_exp_f32_e32 v72, v72
	s_delay_alu instid0(VALU_DEP_3) | instskip(NEXT) | instid1(VALU_DEP_2)
	v_exp_f32_e32 v73, v73
	v_exp_f32_e32 v75, v75
	;; [unrolled: 1-line block ×3, first 2 shown]
	v_mul_f32_e32 v82, 0x3fb8aa3b, v80
	s_delay_alu instid0(VALU_DEP_1) | instskip(SKIP_4) | instid1(TRANS32_DEP_3)
	v_exp_f32_e32 v84, v82
	v_cndmask_b32_e32 v79, 0, v72, vcc_lo
	v_fma_f32 v72, s19, v140, -v71
	v_mul_f32_e32 v77, 0x3fb8aa3b, v77
	v_cndmask_b32_e64 v78, 0, v73, s2
	v_cndmask_b32_e64 v81, 0, v75, s3
	s_delay_alu instid0(VALU_DEP_4) | instskip(NEXT) | instid1(VALU_DEP_4)
	v_dual_add_f32 v73, 0, v79 :: v_dual_mul_f32 v72, 0x3fb8aa3b, v72
	v_exp_f32_e32 v77, v77
	v_cndmask_b32_e64 v80, 0, v76, s4
	s_delay_alu instid0(TRANS32_DEP_2) | instskip(NEXT) | instid1(VALU_DEP_3)
	v_cndmask_b32_e64 v85, 0, v84, s7
	v_add_f32_e32 v73, v73, v78
	v_exp_f32_e32 v72, v72
	v_cmp_gt_u32_e64 s2, 16, v70
	s_delay_alu instid0(VALU_DEP_2) | instskip(NEXT) | instid1(TRANS32_DEP_2)
	v_add_f32_e32 v73, v73, v81
	v_cndmask_b32_e64 v83, 0, v77, s5
	s_delay_alu instid0(VALU_DEP_2) | instskip(SKIP_3) | instid1(VALU_DEP_1)
	v_add_f32_e32 v73, v73, v80
	s_waitcnt_depctr 0xfff
	v_cndmask_b32_e64 v82, 0, v72, s6
	v_add_f32_e32 v72, v73, v83
	v_add_f32_e32 v72, v72, v82
	s_delay_alu instid0(VALU_DEP_1)
	v_add_f32_e32 v72, v72, v85
	v_fma_f32 v76, s19, v111, -v71
	v_fma_f32 v75, s19, v142, -v71
	;; [unrolled: 1-line block ×5, first 2 shown]
	s_delay_alu instid0(VALU_DEP_4) | instskip(NEXT) | instid1(VALU_DEP_3)
	v_dual_mul_f32 v76, 0x3fb8aa3b, v76 :: v_dual_mul_f32 v75, 0x3fb8aa3b, v75
	v_mul_f32_e32 v86, 0x3fb8aa3b, v86
	s_delay_alu instid0(VALU_DEP_2) | instskip(NEXT) | instid1(VALU_DEP_2)
	v_exp_f32_e32 v76, v76
	v_exp_f32_e32 v75, v75
	s_delay_alu instid0(VALU_DEP_1) | instskip(NEXT) | instid1(TRANS32_DEP_3)
	v_exp_f32_e32 v88, v86
	v_cndmask_b32_e64 v87, 0, v76, s9
	v_fma_f32 v76, s19, v116, -v71
	v_mul_f32_e32 v77, 0x3fb8aa3b, v77
	s_waitcnt_depctr 0xfff
	v_cndmask_b32_e64 v84, 0, v75, s8
	v_fma_f32 v75, s19, v115, -v71
	v_cndmask_b32_e64 v88, 0, v88, s12
	v_mul_f32_e32 v76, 0x3fb8aa3b, v76
	v_exp_f32_e32 v77, v77
	v_add_f32_e32 v72, v72, v84
	s_delay_alu instid0(VALU_DEP_2) | instskip(NEXT) | instid1(VALU_DEP_1)
	v_exp_f32_e32 v76, v76
	v_add_f32_e32 v72, v72, v87
	s_waitcnt_depctr 0xfff
	v_cndmask_b32_e64 v86, 0, v77, s10
	v_mul_f32_e32 v73, 0x3fb8aa3b, v73
	v_fma_f32 v77, s19, v117, -v71
	v_cndmask_b32_e64 v90, 0, v76, s15
	s_delay_alu instid0(VALU_DEP_4) | instskip(NEXT) | instid1(VALU_DEP_4)
	v_add_f32_e32 v72, v72, v86
	v_exp_f32_e32 v73, v73
	s_waitcnt_depctr 0xfff
	v_cndmask_b32_e64 v89, 0, v73, s11
	s_delay_alu instid0(VALU_DEP_1) | instskip(NEXT) | instid1(VALU_DEP_1)
	v_dual_mul_f32 v75, 0x3fb8aa3b, v75 :: v_dual_add_f32 v72, v72, v89
	v_exp_f32_e32 v75, v75
	v_mul_f32_e32 v73, 0x3fb8aa3b, v77
	v_fma_f32 v77, s19, v118, -v71
	s_delay_alu instid0(VALU_DEP_3) | instskip(NEXT) | instid1(VALU_DEP_3)
	v_add_f32_e32 v72, v72, v88
	v_exp_f32_e32 v73, v73
	s_waitcnt_depctr 0xfff
	v_cndmask_b32_e64 v91, 0, v75, s13
	s_delay_alu instid0(VALU_DEP_1) | instskip(NEXT) | instid1(VALU_DEP_1)
	v_dual_mul_f32 v75, 0x3fb8aa3b, v77 :: v_dual_add_f32 v72, v72, v91
	v_exp_f32_e32 v75, v75
	v_cndmask_b32_e64 v93, 0, v73, s16
	s_delay_alu instid0(VALU_DEP_2) | instskip(NEXT) | instid1(VALU_DEP_1)
	v_add_f32_e32 v72, v72, v90
	v_add_f32_e32 v72, v72, v93
	s_waitcnt_depctr 0xfff
	v_cndmask_b32_e64 v92, 0, v75, s17
	s_delay_alu instid0(VALU_DEP_1)
	v_add_f32_e32 v72, v72, v92
	ds_bpermute_b32 v73, v74, v72
	s_and_saveexec_b32 s3, s2
	s_cbranch_execz .LBB976_12
; %bb.11:
	v_mul_u32_u24_e32 v70, 0x44, v69
	s_waitcnt lgkmcnt(0)
	v_add_f32_e32 v72, v72, v73
	s_delay_alu instid0(VALU_DEP_2) | instskip(NEXT) | instid1(VALU_DEP_1)
	v_lshl_add_u32 v70, v68, 2, v70
	v_add_nc_u32_e32 v70, 0x4000, v70
	ds_store_2addr_b32 v70, v71, v72 offset1:136
.LBB976_12:
	s_or_b32 exec_lo, exec_lo, s3
	v_lshlrev_b32_e32 v70, 2, v68
	s_load_b32 s35, s[0:1], 0x94
	s_waitcnt lgkmcnt(0)
	s_barrier
	buffer_gl0_inv
	v_add_nc_u32_e32 v98, 0x4000, v70
	v_cmp_eq_u32_e32 vcc_lo, 1, v69
	v_cmp_eq_u32_e64 s3, 2, v69
	v_cmp_eq_u32_e64 s4, 3, v69
	;; [unrolled: 1-line block ×3, first 2 shown]
	ds_load_2addr_b32 v[70:71], v98 offset1:17
	ds_load_2addr_b32 v[72:73], v98 offset0:34 offset1:51
	ds_load_2addr_b32 v[74:75], v98 offset0:68 offset1:85
	;; [unrolled: 1-line block ×3, first 2 shown]
	v_cmp_eq_u32_e64 s6, 5, v69
	v_cmp_eq_u32_e64 s7, 7, v69
	s_waitcnt lgkmcnt(3)
	v_max3_f32 v76, v70, 0xff7fffff, v71
	s_waitcnt lgkmcnt(2)
	s_delay_alu instid0(VALU_DEP_1) | instskip(SKIP_1) | instid1(VALU_DEP_1)
	v_max3_f32 v76, v76, v72, v73
	s_waitcnt lgkmcnt(1)
	v_max3_f32 v76, v76, v74, v75
	s_waitcnt lgkmcnt(0)
	s_delay_alu instid0(VALU_DEP_1) | instskip(NEXT) | instid1(VALU_DEP_1)
	v_max3_f32 v76, v76, v94, v95
	v_sub_f32_e32 v77, v71, v76
	ds_load_2addr_b32 v[96:97], v98 offset0:136 offset1:153
	v_sub_f32_e32 v74, v74, v76
	v_sub_f32_e32 v70, v70, v76
	;; [unrolled: 1-line block ×3, first 2 shown]
	v_dual_sub_f32 v72, v72, v76 :: v_dual_mul_f32 v77, 0x3fb8aa3b, v77
	s_delay_alu instid0(VALU_DEP_4) | instskip(NEXT) | instid1(VALU_DEP_4)
	v_mul_f32_e32 v103, 0x3fb8aa3b, v74
	v_mul_f32_e32 v99, 0x3fb8aa3b, v70
	ds_load_2addr_b32 v[70:71], v98 offset0:170 offset1:187
	v_dual_mul_f32 v101, 0x3fb8aa3b, v72 :: v_dual_mul_f32 v94, 0x3fb8aa3b, v94
	v_exp_f32_e32 v102, v77
	v_exp_f32_e32 v99, v99
	s_delay_alu instid0(VALU_DEP_1) | instskip(NEXT) | instid1(VALU_DEP_1)
	v_exp_f32_e32 v101, v101
	v_exp_f32_e32 v94, v94
	s_waitcnt lgkmcnt(1)
	s_delay_alu instid0(TRANS32_DEP_3)
	v_fma_f32 v77, v99, v96, 0
	v_sub_f32_e32 v100, v73, v76
	ds_load_2addr_b32 v[72:73], v98 offset0:204 offset1:221
	v_fmac_f32_e32 v77, v102, v97
	v_exp_f32_e32 v97, v103
	s_waitcnt lgkmcnt(1)
	s_delay_alu instid0(VALU_DEP_1)
	v_dual_fmac_f32 v77, v101, v70 :: v_dual_sub_f32 v96, v75, v76
	ds_load_2addr_b32 v[74:75], v98 offset0:238 offset1:255
	v_sub_f32_e32 v70, v95, v76
	s_waitcnt lgkmcnt(0)
	s_barrier
	v_mul_f32_e32 v96, 0x3fb8aa3b, v96
	buffer_gl0_inv
	v_exp_f32_e32 v95, v96
	v_mul_f32_e32 v100, 0x3fb8aa3b, v100
	s_delay_alu instid0(VALU_DEP_1) | instskip(SKIP_3) | instid1(VALU_DEP_2)
	v_exp_f32_e32 v100, v100
	s_waitcnt_depctr 0xfff
	v_dual_fmac_f32 v77, v100, v71 :: v_dual_mul_f32 v70, 0x3fb8aa3b, v70
	v_cndmask_b32_e32 v71, v99, v102, vcc_lo
	v_fmac_f32_e32 v77, v97, v72
	s_delay_alu instid0(VALU_DEP_3) | instskip(NEXT) | instid1(VALU_DEP_1)
	v_exp_f32_e32 v96, v70
	v_fmac_f32_e32 v77, v95, v73
	s_delay_alu instid0(VALU_DEP_1) | instskip(SKIP_2) | instid1(VALU_DEP_1)
	v_fmac_f32_e32 v77, v94, v74
	s_waitcnt_depctr 0xfff
	v_fmac_f32_e32 v77, v96, v75
	v_add_f32_e32 v74, 0x358637bd, v77
	s_delay_alu instid0(VALU_DEP_1) | instskip(SKIP_1) | instid1(VALU_DEP_2)
	v_div_scale_f32 v98, null, v74, v74, 1.0
	v_div_scale_f32 v99, vcc_lo, 1.0, v74, 1.0
	v_rcp_f32_e32 v103, v98
	s_waitcnt_depctr 0xfff
	v_fma_f32 v70, -v98, v103, 1.0
	s_delay_alu instid0(VALU_DEP_1) | instskip(SKIP_2) | instid1(VALU_DEP_2)
	v_fmac_f32_e32 v103, v70, v103
	v_cndmask_b32_e64 v70, v71, v101, s3
	v_cmp_eq_u32_e64 s3, 6, v69
	v_cndmask_b32_e64 v71, v70, v100, s4
	s_delay_alu instid0(VALU_DEP_4) | instskip(NEXT) | instid1(VALU_DEP_2)
	v_dual_mul_f32 v101, v99, v103 :: v_dual_lshlrev_b32 v70, 2, v66
	v_cndmask_b32_e64 v71, v71, v97, s5
	s_delay_alu instid0(VALU_DEP_2) | instskip(NEXT) | instid1(VALU_DEP_3)
	v_or_b32_e32 v72, 1, v70
	v_fma_f32 v100, -v98, v101, v99
	v_cmp_eq_u32_e64 s4, 1, v70
	v_cmp_eq_u32_e64 s5, 2, v70
	v_cndmask_b32_e64 v95, v71, v95, s6
	v_or_b32_e32 v71, 3, v70
	v_fmac_f32_e32 v101, v100, v103
	v_cmp_eq_u32_e64 s9, 1, v72
	v_cmp_eq_u32_e64 s12, 2, v72
	v_cndmask_b32_e64 v94, v95, v94, s3
	v_cmp_eq_u32_e64 s11, 1, v71
	v_fma_f32 v97, -v98, v101, v99
	v_cmp_eq_u32_e64 s16, 2, v71
	v_cmp_eq_u32_e64 s13, 3, v72
	v_cndmask_b32_e64 v94, v94, v96, s7
	v_cmp_eq_u32_e64 s18, 3, v71
	v_div_fmas_f32 v95, v97, v103, v101
	v_cmp_eq_u32_e32 vcc_lo, 3, v70
	v_cmp_eq_u32_e64 s3, 4, v70
	v_cmp_eq_u32_e64 s19, 4, v72
	;; [unrolled: 1-line block ×3, first 2 shown]
	v_div_fixup_f32 v95, v95, v74, 1.0
	v_lshlrev_b32_e32 v73, 6, v68
	v_cmp_eq_u32_e64 s6, 5, v70
	v_cmp_eq_u32_e64 s20, 5, v72
	;; [unrolled: 1-line block ×3, first 2 shown]
	v_mul_f32_e32 v102, v94, v95
	v_lshl_or_b32 v75, v69, 11, v73
	v_or_b32_e32 v69, 2, v70
	v_cmp_eq_u32_e64 s25, 6, v72
	v_cmp_eq_u32_e64 s27, 6, v71
	v_fma_mixlo_f16 v94, v102, v79, 0
	v_fma_mixlo_f16 v95, v102, v81, 0
	;; [unrolled: 1-line block ×8, first 2 shown]
	v_lshl_or_b32 v74, v66, 4, v75
	v_fma_mixhi_f16 v94, v102, v78, 0
	v_fma_mixhi_f16 v95, v102, v80, 0
	;; [unrolled: 1-line block ×8, first 2 shown]
	ds_store_b128 v74, v[94:97]
	ds_store_b128 v74, v[98:101] offset:1024
	s_waitcnt lgkmcnt(0)
	s_barrier
	buffer_gl0_inv
	ds_load_b128 v[78:81], v75
	ds_load_b128 v[82:85], v75 offset:16
	ds_load_b128 v[86:89], v75 offset:1024
	;; [unrolled: 1-line block ×3, first 2 shown]
	v_cmp_eq_u32_e64 s10, 1, v69
	v_cmp_eq_u32_e64 s15, 2, v69
	;; [unrolled: 1-line block ×11, first 2 shown]
	s_waitcnt lgkmcnt(3)
	v_lshrrev_b32_e32 v94, 16, v78
	s_waitcnt lgkmcnt(2)
	v_lshrrev_b32_e32 v98, 16, v82
	;; [unrolled: 2-line block ×4, first 2 shown]
	v_lshrrev_b32_e32 v95, 16, v79
	v_cndmask_b32_e64 v110, v78, v94, s4
	v_cndmask_b32_e64 v111, v82, v98, s4
	;; [unrolled: 1-line block ×8, first 2 shown]
	v_lshrrev_b32_e32 v99, 16, v83
	v_cndmask_b32_e64 v94, v86, v102, s4
	v_cndmask_b32_e64 v98, v90, v106, s4
	;; [unrolled: 1-line block ×15, first 2 shown]
	v_lshrrev_b32_e32 v103, 16, v87
	v_lshrrev_b32_e32 v107, 16, v91
	v_cndmask_b32_e64 v113, v115, v83, s15
	v_cndmask_b32_e64 v82, v94, v87, s5
	;; [unrolled: 1-line block ×7, first 2 shown]
	v_cndmask_b32_e32 v90, v102, v95, vcc_lo
	v_cndmask_b32_e32 v102, v106, v99, vcc_lo
	v_cndmask_b32_e64 v106, v110, v95, s13
	v_cndmask_b32_e64 v110, v111, v99, s13
	v_cndmask_b32_e64 v78, v78, v95, s18
	v_cndmask_b32_e64 v79, v79, v99, s18
	v_lshrrev_b32_e32 v96, 16, v80
	v_lshrrev_b32_e32 v100, 16, v84
	v_cndmask_b32_e64 v111, v112, v95, s17
	v_cndmask_b32_e64 v112, v113, v99, s17
	v_cndmask_b32_e32 v82, v82, v103, vcc_lo
	v_cndmask_b32_e32 v83, v83, v107, vcc_lo
	v_cndmask_b32_e64 v94, v94, v103, s13
	v_cndmask_b32_e64 v90, v90, v80, s3
	;; [unrolled: 1-line block ×7, first 2 shown]
	v_lshrrev_b32_e32 v104, 16, v88
	v_cndmask_b32_e64 v106, v111, v80, s21
	v_cndmask_b32_e64 v110, v112, v84, s21
	;; [unrolled: 1-line block ×11, first 2 shown]
	v_lshrrev_b32_e32 v97, 16, v81
	v_lshrrev_b32_e32 v101, 16, v85
	v_cndmask_b32_e64 v99, v106, v96, s23
	v_cndmask_b32_e64 v102, v110, v100, s23
	;; [unrolled: 1-line block ×7, first 2 shown]
	v_lshrrev_b32_e32 v105, 16, v89
	v_cndmask_b32_e64 v80, v80, v104, s6
	v_cndmask_b32_e64 v84, v84, v81, s7
	;; [unrolled: 1-line block ×16, first 2 shown]
	v_perm_b32 v81, v79, v78, 0x5040100
	v_perm_b32 v79, v95, v85, 0x5040100
	v_cndmask_b32_e64 v78, v119, v91, s15
	v_cndmask_b32_e64 v85, v117, v91, s12
	;; [unrolled: 1-line block ×3, first 2 shown]
	v_perm_b32 v80, v94, v90, 0x5040100
	v_cndmask_b32_e64 v90, v98, v103, s17
	v_cndmask_b32_e64 v86, v86, v103, s18
	;; [unrolled: 1-line block ×5, first 2 shown]
	v_lshrrev_b32_e32 v108, 16, v92
	v_cndmask_b32_e64 v90, v90, v88, s21
	v_cndmask_b32_e64 v86, v86, v88, s22
	;; [unrolled: 1-line block ×11, first 2 shown]
	v_lshrrev_b32_e32 v109, 16, v93
	v_cndmask_b32_e64 v82, v82, v93, s7
	v_cndmask_b32_e64 v88, v88, v89, s26
	;; [unrolled: 1-line block ×12, first 2 shown]
	v_perm_b32 v78, v84, v83, 0x5040100
	v_perm_b32 v85, v87, v86, 0x5040100
	;; [unrolled: 1-line block ×5, first 2 shown]
	s_mul_i32 s8, s33, 7
	s_mov_b32 s3, exec_lo
	ds_store_b128 v74, v[78:81]
	ds_store_b128 v74, v[82:85] offset:1024
	v_cmpx_gt_u32_e32 7, v0
	s_cbranch_execz .LBB976_14
; %bb.13:
	s_mul_i32 s4, s8, s34
	s_delay_alu instid0(SALU_CYCLE_1) | instskip(SKIP_1) | instid1(VALU_DEP_1)
	v_add3_u32 v68, s4, s31, v68
	s_load_b128 s[4:7], s[0:1], 0x58
	v_mad_u64_u32 v[78:79], null, v68, s35, s[14:15]
	s_delay_alu instid0(VALU_DEP_1) | instskip(NEXT) | instid1(VALU_DEP_1)
	v_ashrrev_i32_e32 v79, 31, v78
	v_lshlrev_b64 v[78:79], 2, v[78:79]
	s_waitcnt lgkmcnt(0)
	s_delay_alu instid0(VALU_DEP_1) | instskip(NEXT) | instid1(VALU_DEP_2)
	v_add_co_u32 v80, vcc_lo, s6, v78
	v_add_co_ci_u32_e32 v81, vcc_lo, s7, v79, vcc_lo
	v_add_co_u32 v78, vcc_lo, s4, v78
	v_add_co_ci_u32_e32 v79, vcc_lo, s5, v79, vcc_lo
	global_store_b32 v[80:81], v76, off
	global_store_b32 v[78:79], v77, off
.LBB976_14:
	s_or_b32 exec_lo, exec_lo, s3
	s_waitcnt lgkmcnt(0)
	s_waitcnt_vscnt null, 0x0
	s_barrier
	buffer_gl0_inv
	ds_load_b128 v[84:87], v73
	ds_load_b128 v[88:91], v73 offset:16
	ds_load_b128 v[96:99], v73 offset:2064
	;; [unrolled: 1-line block ×5, first 2 shown]
	v_cmp_eq_u32_e32 vcc_lo, 1, v70
	v_mov_b32_e32 v76, 0
	ds_load_b128 v[112:115], v73 offset:6160
	ds_load_b128 v[108:111], v73 offset:6144
	ds_load_b128 v[120:123], v73 offset:8208
	ds_load_b128 v[116:119], v73 offset:8192
	v_cmp_eq_u32_e64 s4, 1, v69
	v_cmp_eq_u32_e64 s3, 1, v72
	;; [unrolled: 1-line block ×3, first 2 shown]
	v_mov_b32_e32 v77, v76
	v_mov_b32_e32 v78, v76
	;; [unrolled: 1-line block ×7, first 2 shown]
	v_cmp_eq_u32_e64 s6, 3, v72
	v_cmp_eq_u32_e64 s7, 7, v72
	s_waitcnt lgkmcnt(8)
	s_delay_alu instid0(VALU_DEP_3)
	v_wmma_f32_16x16x16_f16 v[76:83], v[49:56], v[84:91], v[76:83]
	ds_load_b128 v[53:56], v73 offset:10256
	ds_load_b128 v[49:52], v73 offset:10240
	s_waitcnt lgkmcnt(8)
	v_wmma_f32_16x16x16_f16 v[76:83], v[41:48], v[92:99], v[76:83]
	ds_load_b128 v[45:48], v73 offset:12304
	ds_load_b128 v[41:44], v73 offset:12288
	s_waitcnt lgkmcnt(8)
	v_wmma_f32_16x16x16_f16 v[76:83], v[33:40], v[100:107], v[76:83]
	ds_load_b128 v[37:40], v73 offset:14352
	ds_load_b128 v[33:36], v73 offset:14336
	s_waitcnt lgkmcnt(0)
	s_barrier
	buffer_gl0_inv
	v_wmma_f32_16x16x16_f16 v[76:83], v[1:8], v[108:115], v[76:83]
	s_delay_alu instid0(VALU_DEP_1) | instskip(NEXT) | instid1(VALU_DEP_1)
	v_wmma_f32_16x16x16_f16 v[76:83], v[9:16], v[116:123], v[76:83]
	v_wmma_f32_16x16x16_f16 v[76:83], v[17:24], v[49:56], v[76:83]
	s_delay_alu instid0(VALU_DEP_1) | instskip(NEXT) | instid1(VALU_DEP_1)
	v_wmma_f32_16x16x16_f16 v[76:83], v[25:32], v[41:48], v[76:83]
	v_wmma_f32_16x16x16_f16 v[76:83], v[57:64], v[33:40], v[76:83]
	s_delay_alu instid0(VALU_DEP_1) | instskip(NEXT) | instid1(VALU_DEP_2)
	v_cvt_f16_f32_e32 v1, v76
	v_cvt_f16_f32_e32 v2, v77
	s_delay_alu instid0(VALU_DEP_3) | instskip(NEXT) | instid1(VALU_DEP_4)
	v_cvt_f16_f32_e32 v3, v78
	v_cvt_f16_f32_e32 v4, v79
	;; [unrolled: 1-line block ×6, first 2 shown]
	v_pack_b32_f16 v1, v1, v2
	v_pack_b32_f16 v2, v3, v4
	;; [unrolled: 1-line block ×3, first 2 shown]
	s_delay_alu instid0(VALU_DEP_4)
	v_pack_b32_f16 v4, v7, v8
	ds_store_b128 v74, v[1:4]
	s_waitcnt lgkmcnt(0)
	s_barrier
	buffer_gl0_inv
	ds_load_b128 v[1:4], v75
	ds_load_b128 v[5:8], v75 offset:16
	s_waitcnt lgkmcnt(1)
	v_lshrrev_b32_e32 v9, 16, v1
	s_waitcnt lgkmcnt(0)
	v_lshrrev_b32_e32 v13, 16, v5
	v_lshrrev_b32_e32 v10, 16, v2
	;; [unrolled: 1-line block ×4, first 2 shown]
	v_cndmask_b32_e32 v17, v1, v9, vcc_lo
	v_cndmask_b32_e32 v18, v5, v13, vcc_lo
	v_cndmask_b32_e64 v21, v1, v9, s4
	v_cmp_eq_u32_e32 vcc_lo, 1, v71
	v_cndmask_b32_e64 v22, v5, v13, s4
	v_cmp_eq_u32_e64 s4, 2, v70
	v_cndmask_b32_e64 v19, v1, v9, s3
	v_cndmask_b32_e64 v20, v5, v13, s3
	v_cndmask_b32_e32 v1, v1, v9, vcc_lo
	v_cmp_eq_u32_e64 s3, 2, v71
	v_cndmask_b32_e32 v5, v5, v13, vcc_lo
	v_cndmask_b32_e64 v9, v17, v2, s4
	v_cmp_eq_u32_e32 vcc_lo, 3, v70
	v_cndmask_b32_e64 v13, v18, v6, s4
	v_cmp_eq_u32_e64 s4, 2, v69
	v_cndmask_b32_e64 v17, v19, v2, s5
	v_cndmask_b32_e64 v18, v20, v6, s5
	v_cmp_eq_u32_e64 s5, 3, v69
	v_cndmask_b32_e64 v1, v1, v2, s3
	v_cndmask_b32_e64 v19, v21, v2, s4
	;; [unrolled: 1-line block ×4, first 2 shown]
	v_cndmask_b32_e32 v5, v9, v10, vcc_lo
	v_cndmask_b32_e32 v6, v13, v14, vcc_lo
	v_cmp_eq_u32_e32 vcc_lo, 3, v71
	v_cndmask_b32_e64 v9, v17, v10, s6
	v_cndmask_b32_e64 v13, v18, v14, s6
	;; [unrolled: 1-line block ×3, first 2 shown]
	v_cmp_eq_u32_e64 s4, 4, v70
	v_cndmask_b32_e32 v1, v1, v10, vcc_lo
	v_cndmask_b32_e32 v2, v2, v14, vcc_lo
	v_cmp_eq_u32_e32 vcc_lo, 4, v72
	v_lshrrev_b32_e32 v15, 16, v7
	v_lshrrev_b32_e32 v16, 16, v8
	v_cndmask_b32_e64 v17, v19, v10, s5
	v_cmp_eq_u32_e64 s3, 4, v71
	v_cndmask_b32_e64 v5, v5, v3, s4
	v_cndmask_b32_e64 v6, v6, v7, s4
	v_cndmask_b32_e32 v9, v9, v3, vcc_lo
	v_cmp_eq_u32_e64 s4, 5, v72
	v_cndmask_b32_e32 v10, v13, v7, vcc_lo
	v_cmp_eq_u32_e32 vcc_lo, 4, v69
	v_cmp_eq_u32_e64 s5, 5, v70
	v_cndmask_b32_e64 v2, v2, v7, s3
	v_cndmask_b32_e64 v9, v9, v11, s4
	;; [unrolled: 1-line block ×3, first 2 shown]
	v_cndmask_b32_e32 v13, v17, v3, vcc_lo
	v_cmp_eq_u32_e64 s4, 5, v69
	v_cndmask_b32_e32 v14, v18, v7, vcc_lo
	v_cndmask_b32_e64 v1, v1, v3, s3
	v_cmp_eq_u32_e32 vcc_lo, 5, v71
	v_lshrrev_b32_e32 v12, 16, v4
	v_cndmask_b32_e64 v13, v13, v11, s4
	v_cndmask_b32_e64 v3, v14, v15, s4
	v_cmp_eq_u32_e64 s4, 6, v71
	v_cndmask_b32_e32 v1, v1, v11, vcc_lo
	v_cndmask_b32_e64 v5, v5, v11, s5
	v_cmp_eq_u32_e64 s6, 6, v70
	v_cndmask_b32_e64 v6, v6, v15, s5
	v_cmp_eq_u32_e64 s5, 6, v72
	v_cmp_eq_u32_e64 s3, 6, v69
	v_cndmask_b32_e64 v1, v1, v4, s4
	v_cndmask_b32_e32 v2, v2, v15, vcc_lo
	v_cmp_eq_u32_e32 vcc_lo, 7, v71
	v_cndmask_b32_e64 v5, v5, v4, s6
	v_cndmask_b32_e64 v9, v9, v4, s5
	;; [unrolled: 1-line block ×3, first 2 shown]
	v_cmp_eq_u32_e64 s6, 7, v70
	v_cndmask_b32_e32 v1, v1, v12, vcc_lo
	v_cndmask_b32_e64 v7, v13, v4, s3
	v_cndmask_b32_e64 v3, v3, v8, s3
	;; [unrolled: 1-line block ×3, first 2 shown]
	v_cmp_eq_u32_e64 s3, 7, v69
	v_cndmask_b32_e64 v4, v10, v8, s5
	v_cndmask_b32_e64 v5, v5, v12, s6
	;; [unrolled: 1-line block ×3, first 2 shown]
	v_cndmask_b32_e32 v2, v2, v16, vcc_lo
	v_cndmask_b32_e64 v7, v7, v12, s3
	v_cndmask_b32_e64 v3, v3, v16, s3
	v_cndmask_b32_e64 v8, v4, v16, s7
	v_cndmask_b32_e64 v6, v6, v16, s6
	v_perm_b32 v4, v2, v1, 0x5040100
	s_mov_b32 s3, exec_lo
	v_perm_b32 v3, v3, v7, 0x5040100
	v_perm_b32 v2, v8, v9, 0x5040100
	v_perm_b32 v1, v6, v5, 0x5040100
	ds_store_b128 v74, v[1:4]
	s_waitcnt lgkmcnt(0)
	s_barrier
	buffer_gl0_inv
	v_cmpx_gt_u32_e32 32, v0
	s_cbranch_execz .LBB976_2
; %bb.15:
	s_load_b64 s[4:5], s[0:1], 0x68
	v_lshlrev_b32_e32 v0, 10, v0
	v_add_nc_u32_e32 v2, s31, v66
	v_lshlrev_b32_e32 v3, 4, v67
	s_lshl_b32 s0, s35, 7
	s_delay_alu instid0(SALU_CYCLE_1) | instskip(NEXT) | instid1(VALU_DEP_2)
	s_mul_i32 s1, s0, s34
	v_mul_lo_u32 v1, v2, s0
	s_delay_alu instid0(VALU_DEP_2)
	v_and_or_b32 v0, 0x3800, v0, v3
	v_add_nc_u32_e32 v3, 2, v2
	s_mul_i32 s6, s1, s8
	v_add_nc_u32_e32 v4, 4, v2
	s_ashr_i32 s7, s6, 31
	v_lshl_or_b32 v11, v66, 6, v0
	s_lshl_b64 s[6:7], s[6:7], 1
	v_mul_lo_u32 v15, v3, s0
	v_mul_lo_u32 v17, v4, s0
	v_ashrrev_i32_e32 v2, 31, v1
	ds_load_b128 v[3:6], v11
	ds_load_b128 v[7:10], v11 offset:128
	ds_load_b128 v[11:14], v11 offset:256
	s_waitcnt lgkmcnt(0)
	s_add_u32 s1, s4, s6
	s_addc_u32 s3, s5, s7
	s_lshl_b32 s4, s14, 7
	v_ashrrev_i32_e32 v16, 31, v15
	s_ashr_i32 s5, s4, 31
	v_lshlrev_b64 v[19:20], 1, v[1:2]
	s_lshl_b64 s[4:5], s[4:5], 1
	v_ashrrev_i32_e32 v18, 31, v17
	s_add_u32 s1, s1, s4
	s_addc_u32 s3, s3, s5
	v_add_co_u32 v1, s1, s1, v65
	s_delay_alu instid0(VALU_DEP_1) | instskip(SKIP_1) | instid1(VALU_DEP_3)
	v_add_co_ci_u32_e64 v2, null, s3, 0, s1
	v_lshlrev_b64 v[15:16], 1, v[15:16]
	v_add_co_u32 v19, vcc_lo, v1, v19
	v_lshlrev_b64 v[17:18], 1, v[17:18]
	s_delay_alu instid0(VALU_DEP_4) | instskip(NEXT) | instid1(VALU_DEP_4)
	v_add_co_ci_u32_e32 v20, vcc_lo, v2, v20, vcc_lo
	v_add_co_u32 v15, vcc_lo, v1, v15
	v_add_co_ci_u32_e32 v16, vcc_lo, v2, v16, vcc_lo
	s_delay_alu instid0(VALU_DEP_4)
	v_add_co_u32 v17, vcc_lo, v1, v17
	v_add_co_ci_u32_e32 v18, vcc_lo, v2, v18, vcc_lo
	s_clause 0x2
	global_store_b128 v[19:20], v[3:6], off
	global_store_b128 v[15:16], v[7:10], off
	;; [unrolled: 1-line block ×3, first 2 shown]
	s_and_b32 exec_lo, exec_lo, s2
	s_cbranch_execz .LBB976_2
; %bb.16:
	ds_load_b128 v[3:6], v0 offset:384
	s_add_i32 s1, s31, 6
	s_delay_alu instid0(SALU_CYCLE_1) | instskip(NEXT) | instid1(SALU_CYCLE_1)
	s_mul_i32 s0, s1, s0
	s_ashr_i32 s1, s0, 31
	s_delay_alu instid0(SALU_CYCLE_1) | instskip(NEXT) | instid1(SALU_CYCLE_1)
	s_lshl_b64 s[0:1], s[0:1], 1
	v_add_co_u32 v0, vcc_lo, v1, s0
	v_add_co_ci_u32_e32 v1, vcc_lo, s1, v2, vcc_lo
	s_waitcnt lgkmcnt(0)
	global_store_b128 v[0:1], v[3:6], off
	s_nop 0
	s_sendmsg sendmsg(MSG_DEALLOC_VGPRS)
	s_endpgm
	.section	.rodata,"a",@progbits
	.p2align	6, 0x0
	.amdhsa_kernel _Z39paged_attention_ll4mi_QKV_mfma16_kernelIDF16_hLN4vllm18Fp8KVCacheDataTypeE1EDF16_Li16ELi128ELi256ELb1ELi7EL8MFMAType1EEvPKT_PKT0_S8_ifPKiSA_SA_iPKfiiiPfSD_PS3_PT2_iSC_SC_
		.amdhsa_group_segment_fixed_size 17472
		.amdhsa_private_segment_fixed_size 0
		.amdhsa_kernarg_size 400
		.amdhsa_user_sgpr_count 13
		.amdhsa_user_sgpr_dispatch_ptr 0
		.amdhsa_user_sgpr_queue_ptr 0
		.amdhsa_user_sgpr_kernarg_segment_ptr 1
		.amdhsa_user_sgpr_dispatch_id 0
		.amdhsa_user_sgpr_private_segment_size 0
		.amdhsa_wavefront_size32 1
		.amdhsa_uses_dynamic_stack 0
		.amdhsa_enable_private_segment 0
		.amdhsa_system_sgpr_workgroup_id_x 1
		.amdhsa_system_sgpr_workgroup_id_y 1
		.amdhsa_system_sgpr_workgroup_id_z 1
		.amdhsa_system_sgpr_workgroup_info 0
		.amdhsa_system_vgpr_workitem_id 0
		.amdhsa_next_free_vgpr 150
		.amdhsa_next_free_sgpr 36
		.amdhsa_reserve_vcc 1
		.amdhsa_float_round_mode_32 0
		.amdhsa_float_round_mode_16_64 0
		.amdhsa_float_denorm_mode_32 3
		.amdhsa_float_denorm_mode_16_64 3
		.amdhsa_dx10_clamp 1
		.amdhsa_ieee_mode 1
		.amdhsa_fp16_overflow 0
		.amdhsa_workgroup_processor_mode 1
		.amdhsa_memory_ordered 1
		.amdhsa_forward_progress 0
		.amdhsa_shared_vgpr_count 0
		.amdhsa_exception_fp_ieee_invalid_op 0
		.amdhsa_exception_fp_denorm_src 0
		.amdhsa_exception_fp_ieee_div_zero 0
		.amdhsa_exception_fp_ieee_overflow 0
		.amdhsa_exception_fp_ieee_underflow 0
		.amdhsa_exception_fp_ieee_inexact 0
		.amdhsa_exception_int_div_zero 0
	.end_amdhsa_kernel
	.section	.text._Z39paged_attention_ll4mi_QKV_mfma16_kernelIDF16_hLN4vllm18Fp8KVCacheDataTypeE1EDF16_Li16ELi128ELi256ELb1ELi7EL8MFMAType1EEvPKT_PKT0_S8_ifPKiSA_SA_iPKfiiiPfSD_PS3_PT2_iSC_SC_,"axG",@progbits,_Z39paged_attention_ll4mi_QKV_mfma16_kernelIDF16_hLN4vllm18Fp8KVCacheDataTypeE1EDF16_Li16ELi128ELi256ELb1ELi7EL8MFMAType1EEvPKT_PKT0_S8_ifPKiSA_SA_iPKfiiiPfSD_PS3_PT2_iSC_SC_,comdat
.Lfunc_end976:
	.size	_Z39paged_attention_ll4mi_QKV_mfma16_kernelIDF16_hLN4vllm18Fp8KVCacheDataTypeE1EDF16_Li16ELi128ELi256ELb1ELi7EL8MFMAType1EEvPKT_PKT0_S8_ifPKiSA_SA_iPKfiiiPfSD_PS3_PT2_iSC_SC_, .Lfunc_end976-_Z39paged_attention_ll4mi_QKV_mfma16_kernelIDF16_hLN4vllm18Fp8KVCacheDataTypeE1EDF16_Li16ELi128ELi256ELb1ELi7EL8MFMAType1EEvPKT_PKT0_S8_ifPKiSA_SA_iPKfiiiPfSD_PS3_PT2_iSC_SC_
                                        ; -- End function
	.section	.AMDGPU.csdata,"",@progbits
; Kernel info:
; codeLenInByte = 6692
; NumSgprs: 38
; NumVgprs: 150
; ScratchSize: 0
; MemoryBound: 0
; FloatMode: 240
; IeeeMode: 1
; LDSByteSize: 17472 bytes/workgroup (compile time only)
; SGPRBlocks: 4
; VGPRBlocks: 18
; NumSGPRsForWavesPerEU: 38
; NumVGPRsForWavesPerEU: 150
; Occupancy: 9
; WaveLimiterHint : 1
; COMPUTE_PGM_RSRC2:SCRATCH_EN: 0
; COMPUTE_PGM_RSRC2:USER_SGPR: 13
; COMPUTE_PGM_RSRC2:TRAP_HANDLER: 0
; COMPUTE_PGM_RSRC2:TGID_X_EN: 1
; COMPUTE_PGM_RSRC2:TGID_Y_EN: 1
; COMPUTE_PGM_RSRC2:TGID_Z_EN: 1
; COMPUTE_PGM_RSRC2:TIDIG_COMP_CNT: 0
	.section	.text._Z39paged_attention_ll4mi_QKV_mfma16_kernelIDF16_hLN4vllm18Fp8KVCacheDataTypeE1EDF16_Li16ELi128ELi256ELb1ELi8EL8MFMAType1EEvPKT_PKT0_S8_ifPKiSA_SA_iPKfiiiPfSD_PS3_PT2_iSC_SC_,"axG",@progbits,_Z39paged_attention_ll4mi_QKV_mfma16_kernelIDF16_hLN4vllm18Fp8KVCacheDataTypeE1EDF16_Li16ELi128ELi256ELb1ELi8EL8MFMAType1EEvPKT_PKT0_S8_ifPKiSA_SA_iPKfiiiPfSD_PS3_PT2_iSC_SC_,comdat
	.protected	_Z39paged_attention_ll4mi_QKV_mfma16_kernelIDF16_hLN4vllm18Fp8KVCacheDataTypeE1EDF16_Li16ELi128ELi256ELb1ELi8EL8MFMAType1EEvPKT_PKT0_S8_ifPKiSA_SA_iPKfiiiPfSD_PS3_PT2_iSC_SC_ ; -- Begin function _Z39paged_attention_ll4mi_QKV_mfma16_kernelIDF16_hLN4vllm18Fp8KVCacheDataTypeE1EDF16_Li16ELi128ELi256ELb1ELi8EL8MFMAType1EEvPKT_PKT0_S8_ifPKiSA_SA_iPKfiiiPfSD_PS3_PT2_iSC_SC_
	.globl	_Z39paged_attention_ll4mi_QKV_mfma16_kernelIDF16_hLN4vllm18Fp8KVCacheDataTypeE1EDF16_Li16ELi128ELi256ELb1ELi8EL8MFMAType1EEvPKT_PKT0_S8_ifPKiSA_SA_iPKfiiiPfSD_PS3_PT2_iSC_SC_
	.p2align	8
	.type	_Z39paged_attention_ll4mi_QKV_mfma16_kernelIDF16_hLN4vllm18Fp8KVCacheDataTypeE1EDF16_Li16ELi128ELi256ELb1ELi8EL8MFMAType1EEvPKT_PKT0_S8_ifPKiSA_SA_iPKfiiiPfSD_PS3_PT2_iSC_SC_,@function
_Z39paged_attention_ll4mi_QKV_mfma16_kernelIDF16_hLN4vllm18Fp8KVCacheDataTypeE1EDF16_Li16ELi128ELi256ELb1ELi8EL8MFMAType1EEvPKT_PKT0_S8_ifPKiSA_SA_iPKfiiiPfSD_PS3_PT2_iSC_SC_: ; @_Z39paged_attention_ll4mi_QKV_mfma16_kernelIDF16_hLN4vllm18Fp8KVCacheDataTypeE1EDF16_Li16ELi128ELi256ELb1ELi8EL8MFMAType1EEvPKT_PKT0_S8_ifPKiSA_SA_iPKfiiiPfSD_PS3_PT2_iSC_SC_
; %bb.0:
	s_load_b64 s[4:5], s[0:1], 0x30
	s_mov_b32 s30, s13
	s_waitcnt lgkmcnt(0)
	s_cmp_lg_u64 s[4:5], 0
	s_cselect_b32 s13, -1, 0
	s_ashr_i32 s31, s30, 31
	s_cmp_eq_u64 s[4:5], 0
	s_cbranch_scc1 .LBB977_3
; %bb.1:
	s_lshl_b64 s[2:3], s[30:31], 2
	s_delay_alu instid0(SALU_CYCLE_1) | instskip(SKIP_4) | instid1(SALU_CYCLE_1)
	s_add_u32 s2, s4, s2
	s_addc_u32 s3, s5, s3
	s_load_b64 s[2:3], s[2:3], 0x0
	s_waitcnt lgkmcnt(0)
	s_sub_i32 s2, s3, s2
	s_cmp_eq_u32 s2, 1
	s_cselect_b32 s2, -1, 0
	s_delay_alu instid0(SALU_CYCLE_1)
	s_and_not1_b32 vcc_lo, exec_lo, s2
	s_cbranch_vccz .LBB977_4
.LBB977_2:
	s_endpgm
.LBB977_3:
.LBB977_4:
	s_load_b64 s[2:3], s[0:1], 0x28
	s_lshl_b64 s[6:7], s[30:31], 2
	s_waitcnt lgkmcnt(0)
	s_add_u32 s2, s2, s6
	s_addc_u32 s3, s3, s7
	s_lshl_b32 s12, s14, 8
	s_load_b32 s17, s[2:3], 0x0
	s_waitcnt lgkmcnt(0)
	s_cmp_ge_i32 s12, s17
	s_cbranch_scc1 .LBB977_2
; %bb.5:
	s_clause 0x1
	s_load_b128 s[8:11], s[0:1], 0x8
	s_load_b64 s[2:3], s[0:1], 0x20
	s_and_not1_b32 vcc_lo, exec_lo, s13
	s_cbranch_vccnz .LBB977_7
; %bb.6:
	s_add_u32 s4, s4, s6
	s_addc_u32 s5, s5, s7
	s_load_b32 s13, s[4:5], 0x0
	s_branch .LBB977_8
.LBB977_7:
	s_mov_b32 s13, s30
.LBB977_8:
	s_load_b128 s[4:7], s[0:1], 0x48
	v_and_b32_e32 v69, 15, v0
	v_lshrrev_b32_e32 v68, 5, v0
	v_and_b32_e32 v70, 31, v0
	v_and_b32_e32 v67, 1, v0
	v_bfe_u32 v66, v0, 4, 1
	v_lshlrev_b32_e32 v1, 3, v69
	s_lshl_b32 s31, s15, 3
	s_waitcnt lgkmcnt(0)
	s_mov_b32 s7, exec_lo
	s_delay_alu instid0(VALU_DEP_1)
	v_lshlrev_b32_e32 v65, 1, v1
	v_cmpx_gt_u32_e32 0x80, v0
	s_cbranch_execz .LBB977_10
; %bb.9:
	v_lshl_or_b32 v5, v68, 1, v66
	s_load_b64 s[18:19], s[0:1], 0x0
	s_mul_hi_i32 s21, s13, s4
	s_mul_i32 s20, s13, s4
	v_lshlrev_b32_e32 v6, 10, v69
	v_or_b32_e32 v1, s31, v5
	s_lshl_b64 s[20:21], s[20:21], 1
	v_lshlrev_b32_e32 v5, 6, v5
	v_lshlrev_b32_e32 v7, 10, v67
	v_and_b32_e32 v6, 0x3800, v6
	v_lshlrev_b32_e32 v1, 7, v1
	s_delay_alu instid0(VALU_DEP_2) | instskip(NEXT) | instid1(VALU_DEP_2)
	v_or3_b32 v5, v6, v7, v5
	v_ashrrev_i32_e32 v2, 31, v1
	s_delay_alu instid0(VALU_DEP_1) | instskip(SKIP_3) | instid1(VALU_DEP_1)
	v_lshlrev_b64 v[1:2], 1, v[1:2]
	s_waitcnt lgkmcnt(0)
	s_add_u32 s4, s18, s20
	s_addc_u32 s13, s19, s21
	v_add_co_u32 v1, vcc_lo, s4, v1
	s_delay_alu instid0(VALU_DEP_2) | instskip(NEXT) | instid1(VALU_DEP_2)
	v_add_co_ci_u32_e32 v2, vcc_lo, s13, v2, vcc_lo
	v_add_co_u32 v1, vcc_lo, v1, v65
	s_delay_alu instid0(VALU_DEP_2)
	v_add_co_ci_u32_e32 v2, vcc_lo, 0, v2, vcc_lo
	global_load_b128 v[1:4], v[1:2], off
	s_waitcnt vmcnt(0)
	ds_store_b128 v5, v[1:4]
.LBB977_10:
	s_or_b32 exec_lo, exec_lo, s7
	v_and_b32_e32 v1, 0xef, v0
	s_add_i32 s4, s17, 15
	s_clause 0x1
	s_load_b32 s7, s[0:1], 0x38
	s_load_b32 s33, s[0:1], 0x98
	s_ashr_i32 s13, s4, 31
	v_add_nc_u32_e32 v1, s12, v1
	s_lshr_b32 s13, s13, 28
	s_load_b32 s18, s[0:1], 0x1c
	s_add_i32 s4, s4, s13
	s_waitcnt lgkmcnt(0)
	v_ashrrev_i32_e32 v2, 31, v1
	v_or_b32_e32 v3, 16, v1
	s_ashr_i32 s4, s4, 4
	v_cmp_gt_i32_e32 vcc_lo, s17, v1
	s_add_i32 s4, s4, -1
	v_lshrrev_b32_e32 v2, 28, v2
	s_barrier
	buffer_gl0_inv
	s_mul_i32 s15, s15, s6
	v_add_nc_u32_e32 v4, v1, v2
	s_mul_i32 s20, s30, s7
	s_delay_alu instid0(SALU_CYCLE_1) | instskip(NEXT) | instid1(VALU_DEP_1)
	s_ashr_i32 s21, s20, 31
	v_ashrrev_i32_e32 v4, 4, v4
	v_add_nc_u32_e32 v2, v3, v2
	s_lshl_b64 s[20:21], s[20:21], 2
	s_delay_alu instid0(SALU_CYCLE_1) | instskip(NEXT) | instid1(VALU_DEP_2)
	s_add_u32 s13, s2, s20
	v_cndmask_b32_e32 v1, s4, v4, vcc_lo
	s_delay_alu instid0(VALU_DEP_2)
	v_ashrrev_i32_e32 v2, 4, v2
	v_cmp_gt_i32_e32 vcc_lo, s17, v3
	s_addc_u32 s16, s3, s21
	s_ashr_i32 s19, s15, 31
	s_add_u32 s26, s8, s15
	s_addc_u32 s27, s9, s19
	v_cndmask_b32_e32 v3, s4, v2, vcc_lo
	v_ashrrev_i32_e32 v2, 31, v1
	s_lshl_b32 s2, s14, 4
	s_delay_alu instid0(SALU_CYCLE_1) | instskip(NEXT) | instid1(VALU_DEP_2)
	s_ashr_i32 s3, s2, 31
	v_ashrrev_i32_e32 v4, 31, v3
	s_delay_alu instid0(VALU_DEP_2) | instskip(SKIP_1) | instid1(SALU_CYCLE_1)
	v_lshlrev_b64 v[1:2], 2, v[1:2]
	s_lshl_b64 s[2:3], s[2:3], 2
	s_add_u32 s2, s13, s2
	s_delay_alu instid0(VALU_DEP_2) | instskip(SKIP_1) | instid1(VALU_DEP_2)
	v_lshlrev_b64 v[3:4], 2, v[3:4]
	s_addc_u32 s3, s16, s3
	v_add_co_u32 v1, vcc_lo, s13, v1
	v_add_co_ci_u32_e32 v2, vcc_lo, s16, v2, vcc_lo
	s_delay_alu instid0(VALU_DEP_3) | instskip(NEXT) | instid1(VALU_DEP_4)
	v_add_co_u32 v3, vcc_lo, s13, v3
	v_add_co_ci_u32_e32 v4, vcc_lo, s16, v4, vcc_lo
	s_clause 0x1
	global_load_b32 v5, v[1:2], off
	global_load_b32 v3, v[3:4], off
	s_or_b32 s6, s12, 32
	s_delay_alu instid0(SALU_CYCLE_1) | instskip(SKIP_2) | instid1(SALU_CYCLE_1)
	s_ashr_i32 s7, s6, 4
	s_cmp_lt_i32 s6, s17
	s_cselect_b32 s6, s7, s4
	s_ashr_i32 s7, s6, 31
	s_delay_alu instid0(SALU_CYCLE_1) | instskip(NEXT) | instid1(SALU_CYCLE_1)
	s_lshl_b64 s[6:7], s[6:7], 2
	s_add_u32 s6, s13, s6
	s_addc_u32 s7, s16, s7
	s_or_b32 s8, s12, 64
	s_delay_alu instid0(SALU_CYCLE_1) | instskip(SKIP_2) | instid1(SALU_CYCLE_1)
	s_ashr_i32 s9, s8, 4
	s_cmp_lt_i32 s8, s17
	s_cselect_b32 s8, s9, s4
	s_ashr_i32 s9, s8, 31
	s_delay_alu instid0(SALU_CYCLE_1) | instskip(NEXT) | instid1(SALU_CYCLE_1)
	s_lshl_b64 s[8:9], s[8:9], 2
	s_add_u32 s8, s13, s8
	s_addc_u32 s9, s16, s9
	;; [unrolled: 10-line block ×5, first 2 shown]
	s_clause 0x5
	s_load_b32 s28, s[2:3], 0x0
	s_load_b32 s29, s[6:7], 0x0
	;; [unrolled: 1-line block ×6, first 2 shown]
	s_mov_b32 s20, 0
	s_or_b32 s2, s12, 0xc0
	s_mov_b32 s21, s20
	s_mov_b32 s22, s20
	;; [unrolled: 1-line block ×5, first 2 shown]
	v_lshlrev_b32_e32 v1, 4, v0
	s_ashr_i32 s3, s2, 4
	s_cmp_lt_i32 s2, s17
	s_cselect_b32 s2, s3, s4
	s_delay_alu instid0(VALU_DEP_1) | instskip(SKIP_1) | instid1(SALU_CYCLE_1)
	v_and_b32_e32 v1, 0xf0, v1
	s_ashr_i32 s3, s2, 31
	s_lshl_b64 s[2:3], s[2:3], 2
	s_delay_alu instid0(VALU_DEP_1) | instskip(NEXT) | instid1(VALU_DEP_1)
	v_add_co_u32 v1, s26, s26, v1
	v_add_co_ci_u32_e64 v2, null, s27, 0, s26
	s_add_u32 s2, s13, s2
	s_addc_u32 s3, s16, s3
	s_or_b32 s6, s12, 0xe0
	s_mov_b32 s27, s20
	s_ashr_i32 s7, s6, 4
	s_cmp_lt_i32 s6, s17
	s_mov_b32 s26, s20
	s_cselect_b32 s6, s7, s4
	v_mov_b32_e32 v102, s27
	v_mov_b32_e32 v96, s21
	s_ashr_i32 s7, s6, 31
	v_mov_b32_e32 v101, s26
	s_lshl_b64 s[6:7], s[6:7], 2
	v_dual_mov_b32 v100, s25 :: v_dual_mov_b32 v99, s24
	v_dual_mov_b32 v98, s23 :: v_dual_mov_b32 v97, s22
	v_mov_b32_e32 v95, s20
	s_waitcnt vmcnt(1)
	v_mad_i64_i32 v[33:34], null, v5, s5, v[1:2]
	s_waitcnt vmcnt(0)
	v_mad_i64_i32 v[35:36], null, v3, s5, v[1:2]
	s_clause 0xf
	global_load_b128 v[1:4], v[33:34], off
	global_load_b128 v[5:8], v[33:34], off offset:256
	global_load_b128 v[9:12], v[35:36], off
	global_load_b128 v[13:16], v[35:36], off offset:256
	global_load_b128 v[17:20], v[33:34], off offset:512
	global_load_b128 v[21:24], v[33:34], off offset:768
	global_load_b128 v[25:28], v[35:36], off offset:512
	global_load_b128 v[29:32], v[35:36], off offset:768
	global_load_b128 v[57:60], v[33:34], off offset:1024
	global_load_b128 v[61:64], v[33:34], off offset:1280
	global_load_b128 v[71:74], v[35:36], off offset:1024
	global_load_b128 v[75:78], v[35:36], off offset:1280
	global_load_b128 v[79:82], v[33:34], off offset:1536
	global_load_b128 v[83:86], v[33:34], off offset:1792
	global_load_b128 v[87:90], v[35:36], off offset:1536
	global_load_b128 v[91:94], v[35:36], off offset:1792
	v_and_b32_e32 v33, 7, v0
	v_lshlrev_b32_e32 v34, 4, v69
	s_delay_alu instid0(VALU_DEP_2) | instskip(NEXT) | instid1(VALU_DEP_2)
	v_lshlrev_b32_e32 v139, 6, v33
	v_lshl_or_b32 v41, v68, 8, v34
	ds_load_b128 v[33:36], v139
	ds_load_b128 v[37:40], v139 offset:1024
	ds_load_b128 v[103:106], v139 offset:2048
	;; [unrolled: 1-line block ×3, first 2 shown]
	s_load_b32 s4, s[2:3], 0x0
	s_add_u32 s2, s13, s6
	s_addc_u32 s3, s16, s7
	ds_load_b128 v[111:114], v139 offset:4096
	ds_load_b128 v[115:118], v139 offset:5120
	s_load_b32 s2, s[2:3], 0x0
	s_add_u32 s6, s10, s15
	s_addc_u32 s7, s11, s19
	v_add_co_u32 v127, s6, s6, v41
	s_delay_alu instid0(VALU_DEP_1) | instskip(SKIP_1) | instid1(VALU_DEP_1)
	v_add_co_ci_u32_e64 v128, null, s7, 0, s6
	s_waitcnt lgkmcnt(0)
	v_mad_i64_i32 v[41:42], null, s28, s5, v[127:128]
	v_mad_i64_i32 v[129:130], null, s8, s5, v[127:128]
	;; [unrolled: 1-line block ×7, first 2 shown]
	s_clause 0x3
	global_load_b128 v[49:52], v[41:42], off
	global_load_b128 v[53:56], v[41:42], off offset:16
	global_load_b128 v[41:44], v[45:46], off
	global_load_b128 v[45:48], v[45:46], off offset:16
	s_waitcnt vmcnt(18)
	v_wmma_f32_16x16x16_f16 v[119:126], v[1:8], v[33:40], v[95:102]
	s_waitcnt vmcnt(16)
	v_wmma_f32_16x16x16_f16 v[95:102], v[9:16], v[33:40], v[95:102]
	s_clause 0x3
	global_load_b128 v[33:36], v[129:130], off
	global_load_b128 v[37:40], v[129:130], off offset:16
	global_load_b128 v[1:4], v[131:132], off
	global_load_b128 v[5:8], v[131:132], off offset:16
	s_waitcnt vmcnt(18)
	v_wmma_f32_16x16x16_f16 v[119:126], v[17:24], v[103:110], v[119:126]
	s_clause 0x3
	global_load_b128 v[9:12], v[133:134], off
	global_load_b128 v[13:16], v[133:134], off offset:16
	global_load_b128 v[17:20], v[135:136], off
	global_load_b128 v[21:24], v[135:136], off offset:16
	s_waitcnt vmcnt(20)
	v_wmma_f32_16x16x16_f16 v[95:102], v[25:32], v[103:110], v[95:102]
	v_mad_i64_i32 v[103:104], null, s2, s5, v[127:128]
	s_waitcnt vmcnt(18)
	v_wmma_f32_16x16x16_f16 v[119:126], v[57:64], v[111:118], v[119:126]
	s_clause 0x1
	global_load_b128 v[25:28], v[137:138], off
	global_load_b128 v[29:32], v[137:138], off offset:16
	s_waitcnt vmcnt(18)
	v_wmma_f32_16x16x16_f16 v[95:102], v[71:78], v[111:118], v[95:102]
	s_clause 0x1
	global_load_b128 v[57:60], v[103:104], off
	global_load_b128 v[61:64], v[103:104], off offset:16
	ds_load_b128 v[71:74], v139 offset:6144
	ds_load_b128 v[75:78], v139 offset:7168
	v_mbcnt_lo_u32_b32 v104, -1, 0
	s_waitcnt vmcnt(0) lgkmcnt(0)
	s_barrier
	buffer_gl0_inv
	v_xor_b32_e32 v105, 16, v104
	s_delay_alu instid0(VALU_DEP_1) | instskip(SKIP_4) | instid1(VALU_DEP_2)
	v_cmp_gt_i32_e32 vcc_lo, 32, v105
	v_cndmask_b32_e32 v104, v104, v105, vcc_lo
	v_wmma_f32_16x16x16_f16 v[95:102], v[87:94], v[71:78], v[95:102]
	v_and_b32_e32 v103, 0xe0, v0
	v_wmma_f32_16x16x16_f16 v[119:126], v[79:86], v[71:78], v[119:126]
	v_dual_mul_f32 v90, s18, v101 :: v_dual_add_nc_u32 v103, s12, v103
	s_delay_alu instid0(VALU_DEP_2) | instskip(NEXT) | instid1(VALU_DEP_3)
	v_dual_mul_f32 v94, s18, v97 :: v_dual_mul_f32 v87, s18, v120
	v_dual_mul_f32 v88, s18, v119 :: v_dual_mul_f32 v77, s18, v122
	s_delay_alu instid0(VALU_DEP_3) | instskip(SKIP_3) | instid1(VALU_DEP_4)
	v_or_b32_e32 v103, v103, v66
	v_dual_mul_f32 v78, s18, v121 :: v_dual_mul_f32 v75, s18, v124
	v_dual_mul_f32 v76, s18, v123 :: v_dual_mul_f32 v73, s18, v126
	v_mul_f32_e32 v92, s18, v99
	v_or_b32_e32 v105, 2, v103
	v_or_b32_e32 v106, 4, v103
	;; [unrolled: 1-line block ×3, first 2 shown]
	v_cmp_gt_i32_e64 s2, s17, v103
	v_or_b32_e32 v108, 8, v103
	v_cmp_gt_i32_e32 vcc_lo, s17, v105
	v_or_b32_e32 v109, 10, v103
	v_cmp_gt_i32_e64 s3, s17, v106
	v_cndmask_b32_e64 v88, 0xff7fffff, v88, s2
	v_cmp_gt_i32_e64 s4, s17, v107
	v_cndmask_b32_e32 v87, 0xff7fffff, v87, vcc_lo
	v_or_b32_e32 v79, 12, v103
	v_or_b32_e32 v80, 14, v103
	v_cndmask_b32_e64 v78, 0xff7fffff, v78, s3
	v_cndmask_b32_e64 v77, 0xff7fffff, v77, s4
	v_max3_f32 v87, v88, 0xff7fffff, v87
	v_cmp_gt_i32_e64 s5, s17, v108
	v_cmp_gt_i32_e64 s6, s17, v109
	v_or_b32_e32 v81, 16, v103
	v_or_b32_e32 v82, 18, v103
	v_mul_f32_e32 v74, s18, v125
	v_cndmask_b32_e64 v76, 0xff7fffff, v76, s5
	v_cndmask_b32_e64 v75, 0xff7fffff, v75, s6
	v_max3_f32 v77, v87, v78, v77
	v_cmp_gt_i32_e64 s7, s17, v79
	v_cmp_gt_i32_e64 s8, s17, v80
	v_or_b32_e32 v83, 20, v103
	v_or_b32_e32 v84, 22, v103
	;; [unrolled: 1-line block ×6, first 2 shown]
	v_mul_f32_e32 v105, s18, v96
	v_mul_f32_e32 v103, s18, v95
	v_cndmask_b32_e64 v74, 0xff7fffff, v74, s7
	v_cndmask_b32_e64 v73, 0xff7fffff, v73, s8
	v_max3_f32 v75, v77, v76, v75
	v_cmp_gt_i32_e64 s9, s17, v81
	v_cmp_gt_i32_e64 s10, s17, v82
	v_mul_f32_e32 v93, s18, v98
	v_cmp_gt_i32_e64 s11, s17, v83
	v_max3_f32 v73, v75, v74, v73
	v_cndmask_b32_e64 v76, 0xff7fffff, v103, s9
	v_cndmask_b32_e64 v77, 0xff7fffff, v105, s10
	v_cmp_gt_i32_e64 s12, s17, v84
	v_mul_f32_e32 v91, s18, v100
	v_cndmask_b32_e64 v74, 0xff7fffff, v94, s11
	v_cmp_gt_i32_e64 s13, s17, v85
	v_max3_f32 v73, v73, v76, v77
	v_cndmask_b32_e64 v75, 0xff7fffff, v93, s12
	v_cmp_gt_i32_e64 s15, s17, v86
	v_mul_f32_e32 v89, s18, v102
	v_cndmask_b32_e64 v76, 0xff7fffff, v92, s13
	v_cmp_gt_i32_e64 s16, s17, v71
	v_max3_f32 v73, v73, v74, v75
	v_cndmask_b32_e64 v77, 0xff7fffff, v91, s15
	v_cmp_gt_i32_e64 s17, s17, v72
	v_lshlrev_b32_e32 v74, 2, v104
	v_cndmask_b32_e64 v71, 0xff7fffff, v90, s16
	s_delay_alu instid0(VALU_DEP_4) | instskip(NEXT) | instid1(VALU_DEP_4)
	v_max3_f32 v73, v73, v76, v77
	v_cndmask_b32_e64 v72, 0xff7fffff, v89, s17
	s_delay_alu instid0(VALU_DEP_1) | instskip(SKIP_3) | instid1(VALU_DEP_1)
	v_max3_f32 v71, v73, v71, v72
	ds_bpermute_b32 v72, v74, v71
	s_waitcnt lgkmcnt(0)
	v_max_f32_e32 v72, v72, v72
	v_max_f32_e32 v71, v71, v72
	s_delay_alu instid0(VALU_DEP_1)
	v_fma_f32 v72, s18, v119, -v71
	v_fma_f32 v76, s18, v122, -v71
	;; [unrolled: 1-line block ×5, first 2 shown]
	v_mul_f32_e32 v72, 0x3fb8aa3b, v72
	v_mul_f32_e32 v76, 0x3fb8aa3b, v76
	v_fma_f32 v75, s18, v121, -v71
	v_mul_f32_e32 v79, 0x3fb8aa3b, v77
	v_mul_f32_e32 v87, 0x3fb8aa3b, v86
	v_exp_f32_e32 v72, v72
	v_exp_f32_e32 v76, v76
	v_fma_f32 v81, s18, v125, -v71
	v_exp_f32_e32 v82, v79
	v_exp_f32_e32 v87, v87
	v_fma_f32 v84, s18, v96, -v71
	s_delay_alu instid0(VALU_DEP_2) | instskip(SKIP_3) | instid1(TRANS32_DEP_3)
	v_mul_f32_e32 v81, 0x3fb8aa3b, v81
	v_cndmask_b32_e64 v78, 0, v72, s2
	v_fma_f32 v72, s18, v124, -v71
	v_mul_f32_e32 v73, 0x3fb8aa3b, v73
	v_cndmask_b32_e64 v79, 0, v76, s4
	v_fma_f32 v76, s18, v95, -v71
	s_delay_alu instid0(VALU_DEP_4) | instskip(NEXT) | instid1(VALU_DEP_4)
	v_dual_mul_f32 v75, 0x3fb8aa3b, v75 :: v_dual_mul_f32 v72, 0x3fb8aa3b, v72
	v_exp_f32_e32 v73, v73
	v_cndmask_b32_e64 v87, 0, v87, s12
	s_delay_alu instid0(VALU_DEP_3) | instskip(NEXT) | instid1(VALU_DEP_3)
	v_mul_f32_e32 v76, 0x3fb8aa3b, v76
	v_exp_f32_e32 v75, v75
	v_exp_f32_e32 v72, v72
	;; [unrolled: 1-line block ×3, first 2 shown]
	v_cndmask_b32_e64 v82, 0, v82, s5
	v_mul_f32_e32 v85, 0x3fb8aa3b, v84
	v_exp_f32_e32 v76, v76
	s_mov_b32 s2, exec_lo
	v_cndmask_b32_e32 v77, 0, v73, vcc_lo
	v_add_f32_e32 v73, 0, v78
	v_exp_f32_e32 v85, v85
	v_cndmask_b32_e64 v80, 0, v75, s3
	v_fma_f32 v75, s18, v126, -v71
	v_cndmask_b32_e64 v81, 0, v72, s6
	v_add_f32_e32 v73, v73, v77
	v_cndmask_b32_e64 v84, 0, v83, s7
	v_cndmask_b32_e64 v86, 0, v76, s9
	v_mul_f32_e32 v75, 0x3fb8aa3b, v75
	s_delay_alu instid0(VALU_DEP_4) | instskip(NEXT) | instid1(TRANS32_DEP_1)
	v_add_f32_e32 v73, v73, v80
	v_cndmask_b32_e64 v85, 0, v85, s10
	s_delay_alu instid0(VALU_DEP_3) | instskip(NEXT) | instid1(VALU_DEP_2)
	v_exp_f32_e32 v75, v75
	v_add_f32_e32 v73, v73, v79
	s_delay_alu instid0(VALU_DEP_1) | instskip(SKIP_3) | instid1(VALU_DEP_1)
	v_add_f32_e32 v72, v73, v82
	s_waitcnt_depctr 0xfff
	v_cndmask_b32_e64 v83, 0, v75, s8
	v_add_f32_e32 v72, v72, v81
	v_add_f32_e32 v72, v72, v84
	s_delay_alu instid0(VALU_DEP_1) | instskip(NEXT) | instid1(VALU_DEP_1)
	v_add_f32_e32 v72, v72, v83
	v_add_f32_e32 v72, v72, v86
	s_delay_alu instid0(VALU_DEP_1) | instskip(SKIP_4) | instid1(VALU_DEP_4)
	v_add_f32_e32 v72, v72, v85
	v_fma_f32 v73, s18, v97, -v71
	v_fma_f32 v75, s18, v99, -v71
	v_fma_f32 v76, s18, v100, -v71
	v_fma_f32 v89, s18, v101, -v71
	v_mul_f32_e32 v73, 0x3fb8aa3b, v73
	s_delay_alu instid0(VALU_DEP_3) | instskip(NEXT) | instid1(VALU_DEP_2)
	v_dual_mul_f32 v75, 0x3fb8aa3b, v75 :: v_dual_mul_f32 v76, 0x3fb8aa3b, v76
	v_exp_f32_e32 v73, v73
	s_delay_alu instid0(VALU_DEP_1) | instskip(NEXT) | instid1(VALU_DEP_1)
	v_exp_f32_e32 v75, v75
	v_exp_f32_e32 v76, v76
	s_delay_alu instid0(TRANS32_DEP_3)
	v_cndmask_b32_e64 v88, 0, v73, s11
	v_mul_f32_e32 v73, 0x3fb8aa3b, v89
	v_fma_f32 v89, s18, v102, -v71
	s_waitcnt_depctr 0xfff
	v_cndmask_b32_e64 v90, 0, v75, s13
	v_add_f32_e32 v72, v72, v88
	v_exp_f32_e32 v73, v73
	v_mul_f32_e32 v75, 0x3fb8aa3b, v89
	v_cndmask_b32_e64 v89, 0, v76, s15
	s_delay_alu instid0(VALU_DEP_3) | instskip(NEXT) | instid1(VALU_DEP_3)
	v_add_f32_e32 v72, v72, v87
	v_exp_f32_e32 v75, v75
	s_delay_alu instid0(VALU_DEP_1) | instskip(SKIP_4) | instid1(VALU_DEP_2)
	v_add_f32_e32 v72, v72, v90
	s_waitcnt_depctr 0xfff
	v_cndmask_b32_e64 v92, 0, v73, s16
	v_add_f32_e32 v72, v72, v89
	v_cndmask_b32_e64 v91, 0, v75, s17
	v_add_f32_e32 v72, v72, v92
	s_delay_alu instid0(VALU_DEP_1)
	v_add_f32_e32 v72, v72, v91
	ds_bpermute_b32 v73, v74, v72
	v_cmpx_gt_u32_e32 16, v70
	s_cbranch_execz .LBB977_12
; %bb.11:
	v_mul_u32_u24_e32 v70, 0x44, v68
	s_waitcnt lgkmcnt(0)
	v_add_f32_e32 v72, v72, v73
	s_delay_alu instid0(VALU_DEP_2) | instskip(NEXT) | instid1(VALU_DEP_1)
	v_lshl_add_u32 v70, v69, 2, v70
	v_add_nc_u32_e32 v70, 0x4000, v70
	ds_store_2addr_b32 v70, v71, v72 offset1:136
.LBB977_12:
	s_or_b32 exec_lo, exec_lo, s2
	v_lshlrev_b32_e32 v70, 2, v69
	s_load_b32 s34, s[0:1], 0x94
	s_waitcnt lgkmcnt(0)
	s_barrier
	buffer_gl0_inv
	v_add_nc_u32_e32 v74, 0x4000, v70
	v_cmp_eq_u32_e32 vcc_lo, 1, v68
	v_cmp_eq_u32_e64 s2, 2, v68
	v_cmp_eq_u32_e64 s3, 3, v68
	;; [unrolled: 1-line block ×3, first 2 shown]
	ds_load_2addr_b32 v[70:71], v74 offset1:17
	ds_load_2addr_b32 v[72:73], v74 offset0:34 offset1:51
	ds_load_2addr_b32 v[93:94], v74 offset0:68 offset1:85
	;; [unrolled: 1-line block ×3, first 2 shown]
	v_cmp_eq_u32_e64 s5, 5, v68
	v_cmp_eq_u32_e64 s6, 7, v68
	s_waitcnt lgkmcnt(3)
	v_max3_f32 v75, v70, 0xff7fffff, v71
	s_waitcnt lgkmcnt(2)
	s_delay_alu instid0(VALU_DEP_1) | instskip(SKIP_1) | instid1(VALU_DEP_1)
	v_max3_f32 v75, v75, v72, v73
	s_waitcnt lgkmcnt(1)
	v_max3_f32 v75, v75, v93, v94
	s_waitcnt lgkmcnt(0)
	s_delay_alu instid0(VALU_DEP_1) | instskip(NEXT) | instid1(VALU_DEP_1)
	v_max3_f32 v75, v75, v95, v96
	v_sub_f32_e32 v93, v93, v75
	ds_load_2addr_b32 v[97:98], v74 offset0:136 offset1:153
	v_sub_f32_e32 v70, v70, v75
	v_dual_sub_f32 v100, v73, v75 :: v_dual_mul_f32 v103, 0x3fb8aa3b, v93
	s_delay_alu instid0(VALU_DEP_2) | instskip(SKIP_3) | instid1(VALU_DEP_1)
	v_dual_sub_f32 v76, v71, v75 :: v_dual_mul_f32 v99, 0x3fb8aa3b, v70
	ds_load_2addr_b32 v[70:71], v74 offset0:170 offset1:187
	v_mul_f32_e32 v76, 0x3fb8aa3b, v76
	v_exp_f32_e32 v99, v99
	v_exp_f32_e32 v102, v76
	v_mul_f32_e32 v100, 0x3fb8aa3b, v100
	s_waitcnt lgkmcnt(1)
	s_waitcnt_depctr 0xfff
	v_fma_f32 v76, v99, v97, 0
	v_sub_f32_e32 v97, v94, v75
	v_sub_f32_e32 v72, v72, v75
	v_exp_f32_e32 v100, v100
	ds_load_2addr_b32 v[93:94], v74 offset0:238 offset1:255
	v_dual_fmac_f32 v76, v102, v98 :: v_dual_mul_f32 v101, 0x3fb8aa3b, v72
	ds_load_2addr_b32 v[72:73], v74 offset0:204 offset1:221
	v_dual_sub_f32 v74, v95, v75 :: v_dual_mul_f32 v95, 0x3fb8aa3b, v97
	v_exp_f32_e32 v97, v103
	v_exp_f32_e32 v101, v101
	s_waitcnt lgkmcnt(0)
	s_barrier
	v_exp_f32_e32 v95, v95
	buffer_gl0_inv
	v_fmac_f32_e32 v76, v101, v70
	v_sub_f32_e32 v70, v96, v75
	s_delay_alu instid0(VALU_DEP_2) | instskip(NEXT) | instid1(VALU_DEP_2)
	v_fmac_f32_e32 v76, v100, v71
	v_mul_f32_e32 v70, 0x3fb8aa3b, v70
	s_delay_alu instid0(VALU_DEP_2)
	v_dual_cndmask_b32 v71, v99, v102 :: v_dual_fmac_f32 v76, v97, v72
	v_lshlrev_b32_e32 v72, 6, v69
	v_lshlrev_b32_e32 v69, 2, v66
	v_mul_f32_e32 v74, 0x3fb8aa3b, v74
	v_exp_f32_e32 v98, v70
	v_fmac_f32_e32 v76, v95, v73
	s_delay_alu instid0(VALU_DEP_3) | instskip(NEXT) | instid1(VALU_DEP_3)
	v_cmp_eq_u32_e64 s7, 7, v69
	v_exp_f32_e32 v96, v74
	v_lshl_or_b32 v74, v68, 11, v72
	s_waitcnt_depctr 0xfff
	v_fmac_f32_e32 v76, v96, v93
	s_delay_alu instid0(VALU_DEP_1) | instskip(NEXT) | instid1(VALU_DEP_1)
	v_fmac_f32_e32 v76, v98, v94
	v_add_f32_e32 v73, 0x358637bd, v76
	s_delay_alu instid0(VALU_DEP_1) | instskip(SKIP_1) | instid1(VALU_DEP_2)
	v_div_scale_f32 v93, null, v73, v73, 1.0
	v_div_scale_f32 v99, vcc_lo, 1.0, v73, 1.0
	v_rcp_f32_e32 v94, v93
	s_waitcnt_depctr 0xfff
	v_fma_f32 v70, -v93, v94, 1.0
	s_delay_alu instid0(VALU_DEP_1)
	v_fmac_f32_e32 v94, v70, v94
	v_cndmask_b32_e64 v70, v71, v101, s2
	v_cmp_eq_u32_e64 s2, 6, v68
	v_or_b32_e32 v71, 1, v69
	v_or_b32_e32 v68, 2, v69
	v_mul_f32_e32 v101, v99, v94
	v_cndmask_b32_e64 v70, v70, v100, s3
	v_cmp_eq_u32_e64 s3, 1, v69
	v_cmp_eq_u32_e64 s8, 1, v71
	;; [unrolled: 1-line block ×3, first 2 shown]
	v_fma_f32 v100, -v93, v101, v99
	v_cndmask_b32_e64 v70, v70, v97, s4
	v_cmp_eq_u32_e64 s4, 2, v69
	v_cmp_eq_u32_e64 s11, 2, v71
	v_cmp_eq_u32_e64 s13, 2, v68
	v_fmac_f32_e32 v101, v100, v94
	v_cndmask_b32_e64 v95, v70, v95, s5
	v_or_b32_e32 v70, 3, v69
	v_cmp_eq_u32_e64 s12, 3, v71
	v_cmp_eq_u32_e64 s16, 3, v68
	v_fma_f32 v93, -v93, v101, v99
	v_cndmask_b32_e64 v95, v95, v96, s2
	v_cmp_eq_u32_e64 s10, 1, v70
	v_cmp_eq_u32_e64 s15, 2, v70
	;; [unrolled: 1-line block ×3, first 2 shown]
	v_div_fmas_f32 v93, v93, v94, v101
	v_cndmask_b32_e64 v94, v95, v98, s6
	v_cmp_eq_u32_e32 vcc_lo, 3, v69
	v_cmp_eq_u32_e64 s2, 4, v69
	v_cmp_eq_u32_e64 s18, 4, v71
	v_div_fixup_f32 v93, v93, v73, 1.0
	v_lshl_or_b32 v73, v66, 4, v74
	v_cmp_eq_u32_e64 s21, 4, v70
	v_cmp_eq_u32_e64 s5, 5, v69
	;; [unrolled: 1-line block ×3, first 2 shown]
	v_mul_f32_e32 v101, v94, v93
	v_cmp_eq_u32_e64 s20, 4, v68
	v_cmp_eq_u32_e64 s23, 5, v70
	;; [unrolled: 1-line block ×4, first 2 shown]
	v_fma_mixlo_f16 v93, v101, v78, 0
	v_fma_mixlo_f16 v94, v101, v80, 0
	;; [unrolled: 1-line block ×8, first 2 shown]
	v_fma_mixhi_f16 v93, v101, v77, 0
	v_fma_mixhi_f16 v94, v101, v79, 0
	;; [unrolled: 1-line block ×8, first 2 shown]
	ds_store_b128 v73, v[93:96]
	ds_store_b128 v73, v[97:100] offset:1024
	s_waitcnt lgkmcnt(0)
	s_barrier
	buffer_gl0_inv
	ds_load_b128 v[77:80], v74
	ds_load_b128 v[81:84], v74 offset:16
	ds_load_b128 v[85:88], v74 offset:1024
	;; [unrolled: 1-line block ×3, first 2 shown]
	v_cmp_eq_u32_e64 s26, 6, v70
	v_cmp_eq_u32_e64 s6, 6, v69
	;; [unrolled: 1-line block ×6, first 2 shown]
	s_waitcnt lgkmcnt(3)
	v_lshrrev_b32_e32 v93, 16, v77
	s_waitcnt lgkmcnt(2)
	v_lshrrev_b32_e32 v97, 16, v81
	;; [unrolled: 2-line block ×4, first 2 shown]
	v_lshrrev_b32_e32 v94, 16, v78
	v_cndmask_b32_e64 v109, v77, v93, s3
	v_cndmask_b32_e64 v110, v81, v97, s3
	;; [unrolled: 1-line block ×8, first 2 shown]
	v_lshrrev_b32_e32 v98, 16, v82
	v_cndmask_b32_e64 v93, v85, v101, s3
	v_cndmask_b32_e64 v97, v89, v105, s3
	;; [unrolled: 1-line block ×15, first 2 shown]
	v_lshrrev_b32_e32 v102, 16, v86
	v_lshrrev_b32_e32 v106, 16, v90
	v_cndmask_b32_e64 v112, v114, v82, s13
	v_cndmask_b32_e64 v81, v93, v86, s4
	;; [unrolled: 1-line block ×7, first 2 shown]
	v_cndmask_b32_e32 v89, v101, v94, vcc_lo
	v_cndmask_b32_e32 v101, v105, v98, vcc_lo
	v_cndmask_b32_e64 v105, v109, v94, s12
	v_cndmask_b32_e64 v109, v110, v98, s12
	;; [unrolled: 1-line block ×4, first 2 shown]
	v_lshrrev_b32_e32 v95, 16, v79
	v_lshrrev_b32_e32 v99, 16, v83
	v_cndmask_b32_e64 v110, v111, v94, s16
	v_cndmask_b32_e64 v111, v112, v98, s16
	v_cndmask_b32_e32 v81, v81, v102, vcc_lo
	v_cndmask_b32_e32 v82, v82, v106, vcc_lo
	v_cndmask_b32_e64 v93, v93, v102, s12
	v_cndmask_b32_e64 v89, v89, v79, s2
	;; [unrolled: 1-line block ×7, first 2 shown]
	v_lshrrev_b32_e32 v103, 16, v87
	v_cndmask_b32_e64 v105, v110, v79, s20
	v_cndmask_b32_e64 v109, v111, v83, s20
	;; [unrolled: 1-line block ×11, first 2 shown]
	v_lshrrev_b32_e32 v96, 16, v80
	v_lshrrev_b32_e32 v100, 16, v84
	v_cndmask_b32_e64 v98, v105, v95, s22
	v_cndmask_b32_e64 v101, v109, v99, s22
	;; [unrolled: 1-line block ×7, first 2 shown]
	v_lshrrev_b32_e32 v104, 16, v88
	v_cndmask_b32_e64 v79, v79, v103, s5
	v_cndmask_b32_e64 v83, v83, v80, s6
	;; [unrolled: 1-line block ×16, first 2 shown]
	v_perm_b32 v80, v78, v77, 0x5040100
	v_perm_b32 v78, v94, v84, 0x5040100
	v_cndmask_b32_e64 v77, v118, v90, s13
	v_cndmask_b32_e64 v84, v116, v90, s11
	v_cndmask_b32_e64 v95, v79, v104, s7
	v_perm_b32 v79, v93, v89, 0x5040100
	v_cndmask_b32_e64 v89, v97, v102, s16
	v_cndmask_b32_e64 v85, v85, v102, s17
	;; [unrolled: 1-line block ×5, first 2 shown]
	v_lshrrev_b32_e32 v107, 16, v91
	v_cndmask_b32_e64 v89, v89, v87, s20
	v_cndmask_b32_e64 v85, v85, v87, s21
	v_cndmask_b32_e64 v86, v86, v91, s21
	v_cndmask_b32_e64 v77, v77, v91, s20
	v_cndmask_b32_e64 v84, v84, v91, s18
	v_cndmask_b32_e64 v81, v81, v107, s5
	v_cndmask_b32_e64 v87, v89, v103, s22
	v_cndmask_b32_e64 v85, v85, v103, s23
	v_cndmask_b32_e64 v86, v86, v107, s23
	v_cndmask_b32_e64 v77, v77, v107, s22
	v_cndmask_b32_e64 v84, v84, v107, s19
	v_lshrrev_b32_e32 v108, 16, v92
	v_cndmask_b32_e64 v81, v81, v92, s6
	v_cndmask_b32_e64 v87, v87, v88, s25
	;; [unrolled: 1-line block ×12, first 2 shown]
	v_perm_b32 v77, v83, v82, 0x5040100
	v_perm_b32 v84, v86, v85, 0x5040100
	;; [unrolled: 1-line block ×5, first 2 shown]
	s_lshl_b32 s7, s33, 3
	s_mov_b32 s2, exec_lo
	ds_store_b128 v73, v[77:80]
	ds_store_b128 v73, v[81:84] offset:1024
	v_cmpx_gt_u32_e32 8, v0
	s_cbranch_execz .LBB977_14
; %bb.13:
	v_or_b32_e32 v77, s31, v0
	s_load_b128 s[8:11], s[0:1], 0x58
	s_delay_alu instid0(VALU_DEP_1) | instskip(NEXT) | instid1(VALU_DEP_1)
	v_mad_u64_u32 v[78:79], null, s7, s30, v[77:78]
	v_mad_u64_u32 v[79:80], null, v78, s34, s[14:15]
	s_delay_alu instid0(VALU_DEP_1) | instskip(NEXT) | instid1(VALU_DEP_1)
	v_ashrrev_i32_e32 v80, 31, v79
	v_lshlrev_b64 v[77:78], 2, v[79:80]
	s_waitcnt lgkmcnt(0)
	s_delay_alu instid0(VALU_DEP_1) | instskip(NEXT) | instid1(VALU_DEP_2)
	v_add_co_u32 v79, vcc_lo, s10, v77
	v_add_co_ci_u32_e32 v80, vcc_lo, s11, v78, vcc_lo
	v_add_co_u32 v77, vcc_lo, s8, v77
	v_add_co_ci_u32_e32 v78, vcc_lo, s9, v78, vcc_lo
	global_store_b32 v[79:80], v75, off
	global_store_b32 v[77:78], v76, off
.LBB977_14:
	s_or_b32 exec_lo, exec_lo, s2
	s_waitcnt lgkmcnt(0)
	s_waitcnt_vscnt null, 0x0
	s_barrier
	buffer_gl0_inv
	ds_load_b128 v[83:86], v72
	ds_load_b128 v[87:90], v72 offset:16
	ds_load_b128 v[95:98], v72 offset:2064
	;; [unrolled: 1-line block ×5, first 2 shown]
	v_cmp_eq_u32_e32 vcc_lo, 1, v69
	v_mov_b32_e32 v75, 0
	ds_load_b128 v[111:114], v72 offset:6160
	ds_load_b128 v[107:110], v72 offset:6144
	;; [unrolled: 1-line block ×4, first 2 shown]
	v_cmp_eq_u32_e64 s3, 1, v68
	v_cmp_eq_u32_e64 s2, 1, v71
	;; [unrolled: 1-line block ×3, first 2 shown]
	v_mov_b32_e32 v76, v75
	v_mov_b32_e32 v77, v75
	;; [unrolled: 1-line block ×7, first 2 shown]
	v_cmp_eq_u32_e64 s5, 3, v71
	v_cmp_eq_u32_e64 s6, 7, v71
	s_waitcnt lgkmcnt(8)
	s_delay_alu instid0(VALU_DEP_3)
	v_wmma_f32_16x16x16_f16 v[75:82], v[49:56], v[83:90], v[75:82]
	ds_load_b128 v[53:56], v72 offset:10256
	ds_load_b128 v[49:52], v72 offset:10240
	s_waitcnt lgkmcnt(8)
	v_wmma_f32_16x16x16_f16 v[75:82], v[41:48], v[91:98], v[75:82]
	ds_load_b128 v[45:48], v72 offset:12304
	ds_load_b128 v[41:44], v72 offset:12288
	s_waitcnt lgkmcnt(8)
	;; [unrolled: 4-line block ×3, first 2 shown]
	s_barrier
	buffer_gl0_inv
	v_wmma_f32_16x16x16_f16 v[75:82], v[1:8], v[107:114], v[75:82]
	s_delay_alu instid0(VALU_DEP_1) | instskip(NEXT) | instid1(VALU_DEP_1)
	v_wmma_f32_16x16x16_f16 v[75:82], v[9:16], v[115:122], v[75:82]
	v_wmma_f32_16x16x16_f16 v[75:82], v[17:24], v[49:56], v[75:82]
	s_delay_alu instid0(VALU_DEP_1) | instskip(NEXT) | instid1(VALU_DEP_1)
	v_wmma_f32_16x16x16_f16 v[75:82], v[25:32], v[41:48], v[75:82]
	v_wmma_f32_16x16x16_f16 v[75:82], v[57:64], v[33:40], v[75:82]
	s_delay_alu instid0(VALU_DEP_1) | instskip(NEXT) | instid1(VALU_DEP_2)
	v_cvt_f16_f32_e32 v1, v75
	v_cvt_f16_f32_e32 v2, v76
	s_delay_alu instid0(VALU_DEP_3) | instskip(NEXT) | instid1(VALU_DEP_4)
	v_cvt_f16_f32_e32 v3, v77
	v_cvt_f16_f32_e32 v4, v78
	;; [unrolled: 1-line block ×6, first 2 shown]
	v_pack_b32_f16 v1, v1, v2
	v_pack_b32_f16 v2, v3, v4
	;; [unrolled: 1-line block ×3, first 2 shown]
	s_delay_alu instid0(VALU_DEP_4)
	v_pack_b32_f16 v4, v7, v8
	ds_store_b128 v73, v[1:4]
	s_waitcnt lgkmcnt(0)
	s_barrier
	buffer_gl0_inv
	ds_load_b128 v[1:4], v74
	ds_load_b128 v[5:8], v74 offset:16
	s_waitcnt lgkmcnt(1)
	v_lshrrev_b32_e32 v9, 16, v1
	s_waitcnt lgkmcnt(0)
	v_lshrrev_b32_e32 v13, 16, v5
	v_lshrrev_b32_e32 v10, 16, v2
	;; [unrolled: 1-line block ×4, first 2 shown]
	v_cndmask_b32_e32 v17, v1, v9, vcc_lo
	v_cndmask_b32_e32 v18, v5, v13, vcc_lo
	v_cndmask_b32_e64 v21, v1, v9, s3
	v_cmp_eq_u32_e32 vcc_lo, 1, v70
	v_cndmask_b32_e64 v22, v5, v13, s3
	v_cmp_eq_u32_e64 s3, 2, v69
	v_cndmask_b32_e64 v19, v1, v9, s2
	v_cndmask_b32_e64 v20, v5, v13, s2
	v_cndmask_b32_e32 v1, v1, v9, vcc_lo
	v_cmp_eq_u32_e64 s2, 2, v70
	v_cndmask_b32_e32 v5, v5, v13, vcc_lo
	v_cndmask_b32_e64 v9, v17, v2, s3
	v_cmp_eq_u32_e32 vcc_lo, 3, v69
	v_cndmask_b32_e64 v13, v18, v6, s3
	v_cmp_eq_u32_e64 s3, 2, v68
	v_cndmask_b32_e64 v17, v19, v2, s4
	v_cndmask_b32_e64 v18, v20, v6, s4
	v_cmp_eq_u32_e64 s4, 3, v68
	v_cndmask_b32_e64 v1, v1, v2, s2
	v_cndmask_b32_e64 v19, v21, v2, s3
	;; [unrolled: 1-line block ×4, first 2 shown]
	v_cndmask_b32_e32 v5, v9, v10, vcc_lo
	v_cndmask_b32_e32 v6, v13, v14, vcc_lo
	v_cmp_eq_u32_e32 vcc_lo, 3, v70
	v_cndmask_b32_e64 v9, v17, v10, s5
	v_cndmask_b32_e64 v13, v18, v14, s5
	;; [unrolled: 1-line block ×3, first 2 shown]
	v_cmp_eq_u32_e64 s3, 4, v69
	v_cndmask_b32_e32 v1, v1, v10, vcc_lo
	v_cndmask_b32_e32 v2, v2, v14, vcc_lo
	v_cmp_eq_u32_e32 vcc_lo, 4, v71
	v_lshrrev_b32_e32 v15, 16, v7
	v_lshrrev_b32_e32 v16, 16, v8
	v_cndmask_b32_e64 v17, v19, v10, s4
	v_cmp_eq_u32_e64 s2, 4, v70
	v_cndmask_b32_e64 v5, v5, v3, s3
	v_cndmask_b32_e64 v6, v6, v7, s3
	v_cndmask_b32_e32 v9, v9, v3, vcc_lo
	v_cmp_eq_u32_e64 s3, 5, v71
	v_cndmask_b32_e32 v10, v13, v7, vcc_lo
	v_cmp_eq_u32_e32 vcc_lo, 4, v68
	v_cmp_eq_u32_e64 s4, 5, v69
	v_cndmask_b32_e64 v2, v2, v7, s2
	v_cndmask_b32_e64 v9, v9, v11, s3
	;; [unrolled: 1-line block ×3, first 2 shown]
	v_cndmask_b32_e32 v13, v17, v3, vcc_lo
	v_cmp_eq_u32_e64 s3, 5, v68
	v_cndmask_b32_e32 v14, v18, v7, vcc_lo
	v_cndmask_b32_e64 v1, v1, v3, s2
	v_cmp_eq_u32_e32 vcc_lo, 5, v70
	v_lshrrev_b32_e32 v12, 16, v4
	v_cndmask_b32_e64 v13, v13, v11, s3
	v_cndmask_b32_e64 v3, v14, v15, s3
	v_cmp_eq_u32_e64 s3, 6, v70
	v_cndmask_b32_e32 v1, v1, v11, vcc_lo
	v_cndmask_b32_e64 v5, v5, v11, s4
	v_cmp_eq_u32_e64 s5, 6, v69
	v_cndmask_b32_e64 v6, v6, v15, s4
	v_cmp_eq_u32_e64 s4, 6, v71
	v_cmp_eq_u32_e64 s2, 6, v68
	v_cndmask_b32_e64 v1, v1, v4, s3
	v_cndmask_b32_e32 v2, v2, v15, vcc_lo
	v_cmp_eq_u32_e32 vcc_lo, 7, v70
	v_cndmask_b32_e64 v5, v5, v4, s5
	v_cndmask_b32_e64 v9, v9, v4, s4
	;; [unrolled: 1-line block ×3, first 2 shown]
	v_cmp_eq_u32_e64 s5, 7, v69
	v_cndmask_b32_e32 v1, v1, v12, vcc_lo
	v_cndmask_b32_e64 v7, v13, v4, s2
	v_cndmask_b32_e64 v3, v3, v8, s2
	;; [unrolled: 1-line block ×3, first 2 shown]
	v_cmp_eq_u32_e64 s2, 7, v68
	v_cndmask_b32_e64 v4, v10, v8, s4
	v_cndmask_b32_e64 v5, v5, v12, s5
	;; [unrolled: 1-line block ×3, first 2 shown]
	v_cndmask_b32_e32 v2, v2, v16, vcc_lo
	v_cndmask_b32_e64 v7, v7, v12, s2
	v_cndmask_b32_e64 v3, v3, v16, s2
	;; [unrolled: 1-line block ×4, first 2 shown]
	v_perm_b32 v4, v2, v1, 0x5040100
	s_mov_b32 s2, exec_lo
	v_perm_b32 v3, v3, v7, 0x5040100
	v_perm_b32 v2, v8, v9, 0x5040100
	;; [unrolled: 1-line block ×3, first 2 shown]
	ds_store_b128 v73, v[1:4]
	s_waitcnt lgkmcnt(0)
	s_barrier
	buffer_gl0_inv
	v_cmpx_gt_u32_e32 32, v0
	s_cbranch_execz .LBB977_2
; %bb.15:
	s_load_b64 s[0:1], s[0:1], 0x68
	s_lshl_b32 s4, s34, 7
	v_or_b32_e32 v2, s31, v66
	s_mul_i32 s2, s4, s30
	v_lshlrev_b32_e32 v1, 10, v0
	s_mul_i32 s2, s2, s7
	v_lshlrev_b32_e32 v3, 4, v67
	v_mul_lo_u32 v0, v2, s4
	s_ashr_i32 s3, s2, 31
	v_lshlrev_b32_e32 v4, 6, v66
	v_and_b32_e32 v1, 0x3800, v1
	v_or_b32_e32 v5, 2, v2
	s_lshl_b64 s[2:3], s[2:3], 1
	v_or_b32_e32 v6, 4, v2
	v_or_b32_e32 v7, 6, v2
	v_or3_b32 v12, v1, v3, v4
	v_ashrrev_i32_e32 v1, 31, v0
	v_mul_lo_u32 v2, v5, s4
	v_mul_lo_u32 v16, v6, s4
	;; [unrolled: 1-line block ×3, first 2 shown]
	s_waitcnt lgkmcnt(0)
	s_add_u32 s2, s0, s2
	s_addc_u32 s3, s1, s3
	s_lshl_b32 s0, s14, 7
	v_lshlrev_b64 v[0:1], 1, v[0:1]
	s_ashr_i32 s1, s0, 31
	v_ashrrev_i32_e32 v3, 31, v2
	s_lshl_b64 s[0:1], s[0:1], 1
	v_ashrrev_i32_e32 v17, 31, v16
	s_add_u32 s0, s2, s0
	s_addc_u32 s1, s3, s1
	v_add_co_u32 v24, s0, s0, v65
	s_delay_alu instid0(VALU_DEP_1) | instskip(SKIP_1) | instid1(VALU_DEP_3)
	v_add_co_ci_u32_e64 v25, null, s1, 0, s0
	v_lshlrev_b64 v[22:23], 1, v[2:3]
	v_add_co_u32 v18, vcc_lo, v24, v0
	s_delay_alu instid0(VALU_DEP_3)
	v_add_co_ci_u32_e32 v19, vcc_lo, v25, v1, vcc_lo
	ds_load_b128 v[0:3], v12
	ds_load_b128 v[4:7], v12 offset:128
	ds_load_b128 v[8:11], v12 offset:256
	;; [unrolled: 1-line block ×3, first 2 shown]
	v_ashrrev_i32_e32 v21, 31, v20
	v_lshlrev_b64 v[16:17], 1, v[16:17]
	v_add_co_u32 v22, vcc_lo, v24, v22
	v_add_co_ci_u32_e32 v23, vcc_lo, v25, v23, vcc_lo
	s_delay_alu instid0(VALU_DEP_4) | instskip(NEXT) | instid1(VALU_DEP_4)
	v_lshlrev_b64 v[20:21], 1, v[20:21]
	v_add_co_u32 v16, vcc_lo, v24, v16
	v_add_co_ci_u32_e32 v17, vcc_lo, v25, v17, vcc_lo
	s_delay_alu instid0(VALU_DEP_3) | instskip(NEXT) | instid1(VALU_DEP_4)
	v_add_co_u32 v20, vcc_lo, v24, v20
	v_add_co_ci_u32_e32 v21, vcc_lo, v25, v21, vcc_lo
	s_waitcnt lgkmcnt(3)
	global_store_b128 v[18:19], v[0:3], off
	s_waitcnt lgkmcnt(2)
	global_store_b128 v[22:23], v[4:7], off
	;; [unrolled: 2-line block ×4, first 2 shown]
	s_nop 0
	s_sendmsg sendmsg(MSG_DEALLOC_VGPRS)
	s_endpgm
	.section	.rodata,"a",@progbits
	.p2align	6, 0x0
	.amdhsa_kernel _Z39paged_attention_ll4mi_QKV_mfma16_kernelIDF16_hLN4vllm18Fp8KVCacheDataTypeE1EDF16_Li16ELi128ELi256ELb1ELi8EL8MFMAType1EEvPKT_PKT0_S8_ifPKiSA_SA_iPKfiiiPfSD_PS3_PT2_iSC_SC_
		.amdhsa_group_segment_fixed_size 17472
		.amdhsa_private_segment_fixed_size 0
		.amdhsa_kernarg_size 400
		.amdhsa_user_sgpr_count 13
		.amdhsa_user_sgpr_dispatch_ptr 0
		.amdhsa_user_sgpr_queue_ptr 0
		.amdhsa_user_sgpr_kernarg_segment_ptr 1
		.amdhsa_user_sgpr_dispatch_id 0
		.amdhsa_user_sgpr_private_segment_size 0
		.amdhsa_wavefront_size32 1
		.amdhsa_uses_dynamic_stack 0
		.amdhsa_enable_private_segment 0
		.amdhsa_system_sgpr_workgroup_id_x 1
		.amdhsa_system_sgpr_workgroup_id_y 1
		.amdhsa_system_sgpr_workgroup_id_z 1
		.amdhsa_system_sgpr_workgroup_info 0
		.amdhsa_system_vgpr_workitem_id 0
		.amdhsa_next_free_vgpr 140
		.amdhsa_next_free_sgpr 36
		.amdhsa_reserve_vcc 1
		.amdhsa_float_round_mode_32 0
		.amdhsa_float_round_mode_16_64 0
		.amdhsa_float_denorm_mode_32 3
		.amdhsa_float_denorm_mode_16_64 3
		.amdhsa_dx10_clamp 1
		.amdhsa_ieee_mode 1
		.amdhsa_fp16_overflow 0
		.amdhsa_workgroup_processor_mode 1
		.amdhsa_memory_ordered 1
		.amdhsa_forward_progress 0
		.amdhsa_shared_vgpr_count 0
		.amdhsa_exception_fp_ieee_invalid_op 0
		.amdhsa_exception_fp_denorm_src 0
		.amdhsa_exception_fp_ieee_div_zero 0
		.amdhsa_exception_fp_ieee_overflow 0
		.amdhsa_exception_fp_ieee_underflow 0
		.amdhsa_exception_fp_ieee_inexact 0
		.amdhsa_exception_int_div_zero 0
	.end_amdhsa_kernel
	.section	.text._Z39paged_attention_ll4mi_QKV_mfma16_kernelIDF16_hLN4vllm18Fp8KVCacheDataTypeE1EDF16_Li16ELi128ELi256ELb1ELi8EL8MFMAType1EEvPKT_PKT0_S8_ifPKiSA_SA_iPKfiiiPfSD_PS3_PT2_iSC_SC_,"axG",@progbits,_Z39paged_attention_ll4mi_QKV_mfma16_kernelIDF16_hLN4vllm18Fp8KVCacheDataTypeE1EDF16_Li16ELi128ELi256ELb1ELi8EL8MFMAType1EEvPKT_PKT0_S8_ifPKiSA_SA_iPKfiiiPfSD_PS3_PT2_iSC_SC_,comdat
.Lfunc_end977:
	.size	_Z39paged_attention_ll4mi_QKV_mfma16_kernelIDF16_hLN4vllm18Fp8KVCacheDataTypeE1EDF16_Li16ELi128ELi256ELb1ELi8EL8MFMAType1EEvPKT_PKT0_S8_ifPKiSA_SA_iPKfiiiPfSD_PS3_PT2_iSC_SC_, .Lfunc_end977-_Z39paged_attention_ll4mi_QKV_mfma16_kernelIDF16_hLN4vllm18Fp8KVCacheDataTypeE1EDF16_Li16ELi128ELi256ELb1ELi8EL8MFMAType1EEvPKT_PKT0_S8_ifPKiSA_SA_iPKfiiiPfSD_PS3_PT2_iSC_SC_
                                        ; -- End function
	.section	.AMDGPU.csdata,"",@progbits
; Kernel info:
; codeLenInByte = 6620
; NumSgprs: 38
; NumVgprs: 140
; ScratchSize: 0
; MemoryBound: 0
; FloatMode: 240
; IeeeMode: 1
; LDSByteSize: 17472 bytes/workgroup (compile time only)
; SGPRBlocks: 4
; VGPRBlocks: 17
; NumSGPRsForWavesPerEU: 38
; NumVGPRsForWavesPerEU: 140
; Occupancy: 10
; WaveLimiterHint : 1
; COMPUTE_PGM_RSRC2:SCRATCH_EN: 0
; COMPUTE_PGM_RSRC2:USER_SGPR: 13
; COMPUTE_PGM_RSRC2:TRAP_HANDLER: 0
; COMPUTE_PGM_RSRC2:TGID_X_EN: 1
; COMPUTE_PGM_RSRC2:TGID_Y_EN: 1
; COMPUTE_PGM_RSRC2:TGID_Z_EN: 1
; COMPUTE_PGM_RSRC2:TIDIG_COMP_CNT: 0
	.section	.text._Z39paged_attention_ll4mi_QKV_mfma16_kernelIDF16_hLN4vllm18Fp8KVCacheDataTypeE1EDF16_Li16ELi128ELi256ELb1ELi9EL8MFMAType1EEvPKT_PKT0_S8_ifPKiSA_SA_iPKfiiiPfSD_PS3_PT2_iSC_SC_,"axG",@progbits,_Z39paged_attention_ll4mi_QKV_mfma16_kernelIDF16_hLN4vllm18Fp8KVCacheDataTypeE1EDF16_Li16ELi128ELi256ELb1ELi9EL8MFMAType1EEvPKT_PKT0_S8_ifPKiSA_SA_iPKfiiiPfSD_PS3_PT2_iSC_SC_,comdat
	.protected	_Z39paged_attention_ll4mi_QKV_mfma16_kernelIDF16_hLN4vllm18Fp8KVCacheDataTypeE1EDF16_Li16ELi128ELi256ELb1ELi9EL8MFMAType1EEvPKT_PKT0_S8_ifPKiSA_SA_iPKfiiiPfSD_PS3_PT2_iSC_SC_ ; -- Begin function _Z39paged_attention_ll4mi_QKV_mfma16_kernelIDF16_hLN4vllm18Fp8KVCacheDataTypeE1EDF16_Li16ELi128ELi256ELb1ELi9EL8MFMAType1EEvPKT_PKT0_S8_ifPKiSA_SA_iPKfiiiPfSD_PS3_PT2_iSC_SC_
	.globl	_Z39paged_attention_ll4mi_QKV_mfma16_kernelIDF16_hLN4vllm18Fp8KVCacheDataTypeE1EDF16_Li16ELi128ELi256ELb1ELi9EL8MFMAType1EEvPKT_PKT0_S8_ifPKiSA_SA_iPKfiiiPfSD_PS3_PT2_iSC_SC_
	.p2align	8
	.type	_Z39paged_attention_ll4mi_QKV_mfma16_kernelIDF16_hLN4vllm18Fp8KVCacheDataTypeE1EDF16_Li16ELi128ELi256ELb1ELi9EL8MFMAType1EEvPKT_PKT0_S8_ifPKiSA_SA_iPKfiiiPfSD_PS3_PT2_iSC_SC_,@function
_Z39paged_attention_ll4mi_QKV_mfma16_kernelIDF16_hLN4vllm18Fp8KVCacheDataTypeE1EDF16_Li16ELi128ELi256ELb1ELi9EL8MFMAType1EEvPKT_PKT0_S8_ifPKiSA_SA_iPKfiiiPfSD_PS3_PT2_iSC_SC_: ; @_Z39paged_attention_ll4mi_QKV_mfma16_kernelIDF16_hLN4vllm18Fp8KVCacheDataTypeE1EDF16_Li16ELi128ELi256ELb1ELi9EL8MFMAType1EEvPKT_PKT0_S8_ifPKiSA_SA_iPKfiiiPfSD_PS3_PT2_iSC_SC_
; %bb.0:
	s_load_b64 s[4:5], s[0:1], 0x30
	s_mov_b32 s34, s13
	s_waitcnt lgkmcnt(0)
	s_cmp_lg_u64 s[4:5], 0
	s_cselect_b32 s8, -1, 0
	s_ashr_i32 s35, s13, 31
	s_cmp_eq_u64 s[4:5], 0
	s_cbranch_scc1 .LBB978_3
; %bb.1:
	s_lshl_b64 s[2:3], s[34:35], 2
	s_delay_alu instid0(SALU_CYCLE_1) | instskip(SKIP_4) | instid1(SALU_CYCLE_1)
	s_add_u32 s2, s4, s2
	s_addc_u32 s3, s5, s3
	s_load_b64 s[2:3], s[2:3], 0x0
	s_waitcnt lgkmcnt(0)
	s_sub_i32 s2, s3, s2
	s_cmp_eq_u32 s2, 1
	s_cselect_b32 s2, -1, 0
	s_delay_alu instid0(SALU_CYCLE_1)
	s_and_not1_b32 vcc_lo, exec_lo, s2
	s_cbranch_vccz .LBB978_4
.LBB978_2:
	s_nop 0
	s_sendmsg sendmsg(MSG_DEALLOC_VGPRS)
	s_endpgm
.LBB978_3:
.LBB978_4:
	s_load_b64 s[2:3], s[0:1], 0x28
	s_lshl_b64 s[6:7], s[34:35], 2
	s_waitcnt lgkmcnt(0)
	s_add_u32 s2, s2, s6
	s_addc_u32 s3, s3, s7
	s_lshl_b32 s12, s14, 8
	s_load_b32 s24, s[2:3], 0x0
	s_waitcnt lgkmcnt(0)
	s_cmp_ge_i32 s12, s24
	s_cbranch_scc1 .LBB978_2
; %bb.5:
	s_clause 0x1
	s_load_b128 s[20:23], s[0:1], 0x8
	s_load_b64 s[2:3], s[0:1], 0x20
	s_and_not1_b32 vcc_lo, exec_lo, s8
	s_cbranch_vccnz .LBB978_7
; %bb.6:
	s_add_u32 s4, s4, s6
	s_addc_u32 s5, s5, s7
	s_load_b32 s5, s[4:5], 0x0
	s_branch .LBB978_8
.LBB978_7:
	s_mov_b32 s5, s34
.LBB978_8:
	s_load_b128 s[16:19], s[0:1], 0x48
	v_and_b32_e32 v68, 15, v0
	v_lshrrev_b32_e32 v69, 5, v0
	v_bfe_u32 v66, v0, 4, 1
	v_and_b32_e32 v70, 31, v0
	v_and_b32_e32 v67, 1, v0
	v_lshlrev_b32_e32 v2, 3, v68
	s_mul_i32 s31, s15, 9
	v_lshl_or_b32 v1, v69, 1, v66
	s_mov_b32 s4, exec_lo
	s_delay_alu instid0(VALU_DEP_2) | instskip(NEXT) | instid1(VALU_DEP_2)
	v_lshlrev_b32_e32 v65, 1, v2
	v_cmpx_gt_u32_e32 9, v1
	s_cbranch_execz .LBB978_10
; %bb.9:
	s_load_b64 s[6:7], s[0:1], 0x0
	v_add_lshl_u32 v2, v1, s31, 7
	s_waitcnt lgkmcnt(0)
	s_mul_hi_i32 s9, s5, s16
	s_mul_i32 s8, s5, s16
	v_lshlrev_b32_e32 v6, 10, v68
	s_lshl_b64 s[8:9], s[8:9], 1
	v_ashrrev_i32_e32 v3, 31, v2
	v_lshlrev_b32_e32 v1, 6, v1
	v_lshlrev_b32_e32 v7, 10, v67
	v_and_b32_e32 v6, 0x3800, v6
	s_delay_alu instid0(VALU_DEP_4) | instskip(NEXT) | instid1(VALU_DEP_2)
	v_lshlrev_b64 v[2:3], 1, v[2:3]
	v_or3_b32 v1, v6, v7, v1
	s_add_u32 s5, s6, s8
	s_addc_u32 s6, s7, s9
	s_delay_alu instid0(VALU_DEP_2) | instskip(NEXT) | instid1(VALU_DEP_3)
	v_add_co_u32 v2, vcc_lo, s5, v2
	v_add_co_ci_u32_e32 v3, vcc_lo, s6, v3, vcc_lo
	s_delay_alu instid0(VALU_DEP_2) | instskip(NEXT) | instid1(VALU_DEP_2)
	v_add_co_u32 v2, vcc_lo, v2, v65
	v_add_co_ci_u32_e32 v3, vcc_lo, 0, v3, vcc_lo
	global_load_b128 v[2:5], v[2:3], off
	s_waitcnt vmcnt(0)
	ds_store_b128 v1, v[2:5]
.LBB978_10:
	s_or_b32 exec_lo, exec_lo, s4
	v_and_b32_e32 v1, 0xef, v0
	s_waitcnt lgkmcnt(0)
	s_add_i32 s5, s24, 15
	s_clause 0x1
	s_load_b32 s4, s[0:1], 0x38
	s_load_b32 s33, s[0:1], 0x98
	s_ashr_i32 s6, s5, 31
	v_add_nc_u32_e32 v1, s12, v1
	s_lshr_b32 s6, s6, 28
	s_load_b32 s19, s[0:1], 0x1c
	s_add_i32 s5, s5, s6
	s_waitcnt lgkmcnt(0)
	v_ashrrev_i32_e32 v2, 31, v1
	v_or_b32_e32 v3, 16, v1
	s_ashr_i32 s13, s5, 4
	v_cmp_gt_i32_e32 vcc_lo, s24, v1
	s_add_i32 s13, s13, -1
	v_lshrrev_b32_e32 v2, 28, v2
	s_barrier
	buffer_gl0_inv
	s_mul_i32 s15, s15, s18
	v_add_nc_u32_e32 v4, v1, v2
	s_mul_i32 s4, s34, s4
	s_delay_alu instid0(SALU_CYCLE_1) | instskip(NEXT) | instid1(VALU_DEP_1)
	s_ashr_i32 s5, s4, 31
	v_ashrrev_i32_e32 v4, 4, v4
	v_add_nc_u32_e32 v2, v3, v2
	s_lshl_b64 s[4:5], s[4:5], 2
	s_delay_alu instid0(SALU_CYCLE_1) | instskip(NEXT) | instid1(VALU_DEP_2)
	s_add_u32 s16, s2, s4
	v_cndmask_b32_e32 v1, s13, v4, vcc_lo
	s_delay_alu instid0(VALU_DEP_2)
	v_ashrrev_i32_e32 v2, 4, v2
	v_cmp_gt_i32_e32 vcc_lo, s24, v3
	s_addc_u32 s25, s3, s5
	s_ashr_i32 s18, s15, 31
	s_add_u32 s26, s20, s15
	s_addc_u32 s27, s21, s18
	v_cndmask_b32_e32 v3, s13, v2, vcc_lo
	v_ashrrev_i32_e32 v2, 31, v1
	s_lshl_b32 s2, s14, 4
	s_delay_alu instid0(SALU_CYCLE_1) | instskip(NEXT) | instid1(VALU_DEP_2)
	s_ashr_i32 s3, s2, 31
	v_ashrrev_i32_e32 v4, 31, v3
	s_delay_alu instid0(VALU_DEP_2) | instskip(SKIP_1) | instid1(SALU_CYCLE_1)
	v_lshlrev_b64 v[1:2], 2, v[1:2]
	s_lshl_b64 s[2:3], s[2:3], 2
	s_add_u32 s2, s16, s2
	s_delay_alu instid0(VALU_DEP_2) | instskip(SKIP_1) | instid1(VALU_DEP_2)
	v_lshlrev_b64 v[3:4], 2, v[3:4]
	s_addc_u32 s3, s25, s3
	v_add_co_u32 v1, vcc_lo, s16, v1
	v_add_co_ci_u32_e32 v2, vcc_lo, s25, v2, vcc_lo
	s_delay_alu instid0(VALU_DEP_3) | instskip(NEXT) | instid1(VALU_DEP_4)
	v_add_co_u32 v3, vcc_lo, s16, v3
	v_add_co_ci_u32_e32 v4, vcc_lo, s25, v4, vcc_lo
	s_clause 0x1
	global_load_b32 v5, v[1:2], off
	global_load_b32 v7, v[3:4], off
	s_or_b32 s4, s12, 32
	v_lshlrev_b32_e32 v1, 4, v0
	s_ashr_i32 s5, s4, 4
	s_cmp_lt_i32 s4, s24
	v_cmp_gt_u32_e32 vcc_lo, 9, v68
	s_cselect_b32 s4, s5, s13
	v_and_b32_e32 v1, 0xf0, v1
	s_ashr_i32 s5, s4, 31
	s_delay_alu instid0(SALU_CYCLE_1) | instskip(NEXT) | instid1(SALU_CYCLE_1)
	s_lshl_b64 s[4:5], s[4:5], 2
	s_add_u32 s4, s16, s4
	s_addc_u32 s5, s25, s5
	s_or_b32 s6, s12, 64
	v_add_co_u32 v1, s26, s26, v1
	s_ashr_i32 s7, s6, 4
	s_cmp_lt_i32 s6, s24
	v_add_co_ci_u32_e64 v2, null, s27, 0, s26
	s_cselect_b32 s6, s7, s13
	s_delay_alu instid0(SALU_CYCLE_1) | instskip(NEXT) | instid1(SALU_CYCLE_1)
	s_ashr_i32 s7, s6, 31
	s_lshl_b64 s[6:7], s[6:7], 2
	s_delay_alu instid0(SALU_CYCLE_1) | instskip(SKIP_2) | instid1(SALU_CYCLE_1)
	s_add_u32 s6, s16, s6
	s_addc_u32 s7, s25, s7
	s_or_b32 s8, s12, 0x60
	s_ashr_i32 s9, s8, 4
	s_cmp_lt_i32 s8, s24
	s_cselect_b32 s8, s9, s13
	s_delay_alu instid0(SALU_CYCLE_1) | instskip(NEXT) | instid1(SALU_CYCLE_1)
	s_ashr_i32 s9, s8, 31
	s_lshl_b64 s[8:9], s[8:9], 2
	s_delay_alu instid0(SALU_CYCLE_1) | instskip(SKIP_2) | instid1(SALU_CYCLE_1)
	s_add_u32 s8, s16, s8
	s_addc_u32 s9, s25, s9
	s_or_b32 s10, s12, 0x80
	s_ashr_i32 s11, s10, 4
	s_cmp_lt_i32 s10, s24
	;; [unrolled: 10-line block ×3, first 2 shown]
	s_cselect_b32 s20, s21, s13
	s_delay_alu instid0(SALU_CYCLE_1) | instskip(NEXT) | instid1(SALU_CYCLE_1)
	s_ashr_i32 s21, s20, 31
	s_lshl_b64 s[20:21], s[20:21], 2
	s_delay_alu instid0(SALU_CYCLE_1)
	s_add_u32 s20, s16, s20
	s_addc_u32 s21, s25, s21
	s_clause 0x5
	s_load_b32 s26, s[2:3], 0x0
	s_load_b32 s27, s[4:5], 0x0
	;; [unrolled: 1-line block ×6, first 2 shown]
	s_or_b32 s2, s12, 0xc0
	s_mov_b32 s4, 0
	s_ashr_i32 s3, s2, 4
	s_cmp_lt_i32 s2, s24
	s_mov_b32 s11, s4
	s_cselect_b32 s2, s3, s13
	s_mov_b32 s5, s4
	s_ashr_i32 s3, s2, 31
	s_mov_b32 s6, s4
	s_lshl_b64 s[2:3], s[2:3], 2
	s_mov_b32 s7, s4
	s_add_u32 s2, s16, s2
	s_addc_u32 s3, s25, s3
	s_or_b32 s20, s12, 0xe0
	s_mov_b32 s8, s4
	s_ashr_i32 s21, s20, 4
	s_cmp_lt_i32 s20, s24
	s_mov_b32 s9, s4
	s_cselect_b32 s20, s21, s13
	s_mov_b32 s10, s4
	s_ashr_i32 s21, s20, 31
	v_mov_b32_e32 v118, s11
	v_dual_mov_b32 v112, s5 :: v_dual_mov_b32 v117, s10
	v_dual_mov_b32 v116, s9 :: v_dual_mov_b32 v115, s8
	;; [unrolled: 1-line block ×3, first 2 shown]
	v_mov_b32_e32 v111, s4
	s_lshl_b64 s[4:5], s[20:21], 2
	s_delay_alu instid0(SALU_CYCLE_1)
	s_add_u32 s4, s16, s4
	s_addc_u32 s5, s25, s5
	s_add_u32 s6, s22, s15
	s_addc_u32 s7, s23, s18
	s_waitcnt vmcnt(1)
	v_mad_i64_i32 v[3:4], null, v5, s17, v[1:2]
	s_waitcnt vmcnt(0)
	v_mad_i64_i32 v[5:6], null, v7, s17, v[1:2]
	v_add_nc_u32_e32 v1, -9, v68
	v_lshlrev_b32_e32 v2, 4, v68
	s_clause 0xf
	global_load_b128 v[17:20], v[3:4], off
	global_load_b128 v[21:24], v[3:4], off offset:256
	global_load_b128 v[25:28], v[5:6], off
	global_load_b128 v[29:32], v[5:6], off offset:256
	global_load_b128 v[57:60], v[3:4], off offset:512
	;; [unrolled: 1-line block ×13, first 2 shown]
	v_cndmask_b32_e32 v1, v1, v68, vcc_lo
	s_delay_alu instid0(VALU_DEP_1)
	v_lshlrev_b32_e32 v149, 6, v1
	v_lshl_or_b32 v1, v69, 8, v2
	ds_load_b128 v[119:122], v149
	ds_load_b128 v[123:126], v149 offset:1024
	ds_load_b128 v[127:130], v149 offset:2048
	;; [unrolled: 1-line block ×3, first 2 shown]
	s_clause 0x1
	s_load_b32 s2, s[2:3], 0x0
	s_load_b32 s3, s[4:5], 0x0
	v_add_co_u32 v135, s6, s6, v1
	s_delay_alu instid0(VALU_DEP_1) | instskip(SKIP_1) | instid1(VALU_DEP_1)
	v_add_co_ci_u32_e64 v136, null, s7, 0, s6
	s_waitcnt lgkmcnt(0)
	v_mad_i64_i32 v[1:2], null, s26, s17, v[135:136]
	v_mad_i64_i32 v[3:4], null, s27, s17, v[135:136]
	;; [unrolled: 1-line block ×6, first 2 shown]
	s_clause 0x9
	global_load_b128 v[49:52], v[1:2], off
	global_load_b128 v[53:56], v[1:2], off offset:16
	global_load_b128 v[41:44], v[3:4], off
	global_load_b128 v[45:48], v[3:4], off offset:16
	;; [unrolled: 2-line block ×5, first 2 shown]
	v_mad_i64_i32 v[145:146], null, s2, s17, v[135:136]
	v_mad_i64_i32 v[147:148], null, s3, s17, v[135:136]
	s_waitcnt vmcnt(24)
	v_wmma_f32_16x16x16_f16 v[135:142], v[17:24], v[119:126], v[111:118]
	s_waitcnt vmcnt(22)
	v_wmma_f32_16x16x16_f16 v[111:118], v[25:32], v[119:126], v[111:118]
	s_clause 0x3
	global_load_b128 v[17:20], v[143:144], off
	global_load_b128 v[21:24], v[143:144], off offset:16
	global_load_b128 v[25:28], v[145:146], off
	global_load_b128 v[29:32], v[145:146], off offset:16
	v_and_b32_e32 v119, 0xe0, v0
	s_waitcnt vmcnt(24)
	v_wmma_f32_16x16x16_f16 v[135:142], v[57:64], v[127:134], v[135:142]
	s_clause 0x1
	global_load_b128 v[57:60], v[147:148], off
	global_load_b128 v[61:64], v[147:148], off offset:16
	s_waitcnt vmcnt(24)
	v_wmma_f32_16x16x16_f16 v[111:118], v[71:78], v[127:134], v[111:118]
	ds_load_b128 v[71:74], v149 offset:4096
	ds_load_b128 v[75:78], v149 offset:5120
	v_add_nc_u32_e32 v128, s12, v119
	ds_load_b128 v[119:122], v149 offset:6144
	ds_load_b128 v[123:126], v149 offset:7168
	v_mbcnt_lo_u32_b32 v127, -1, 0
	s_waitcnt vmcnt(0) lgkmcnt(0)
	s_barrier
	v_or_b32_e32 v128, v128, v66
	buffer_gl0_inv
	v_xor_b32_e32 v129, 16, v127
	v_or_b32_e32 v130, 4, v128
	v_or_b32_e32 v131, 6, v128
	s_delay_alu instid0(VALU_DEP_3) | instskip(SKIP_4) | instid1(VALU_DEP_4)
	v_cmp_gt_i32_e32 vcc_lo, 32, v129
	v_or_b32_e32 v132, 8, v128
	v_or_b32_e32 v133, 10, v128
	v_cmp_gt_i32_e64 s3, s24, v130
	v_cmp_gt_i32_e64 s4, s24, v131
	v_cmp_gt_i32_e64 s5, s24, v132
	v_wmma_f32_16x16x16_f16 v[135:142], v[79:86], v[71:78], v[135:142]
	v_wmma_f32_16x16x16_f16 v[111:118], v[87:94], v[71:78], v[111:118]
	v_or_b32_e32 v79, 12, v128
	v_or_b32_e32 v80, 14, v128
	v_cmp_gt_i32_e64 s6, s24, v133
	v_wmma_f32_16x16x16_f16 v[135:142], v[95:102], v[119:126], v[135:142]
	v_wmma_f32_16x16x16_f16 v[111:118], v[103:110], v[119:126], v[111:118]
	v_cndmask_b32_e32 v127, v127, v129, vcc_lo
	v_or_b32_e32 v129, 2, v128
	v_cmp_gt_i32_e32 vcc_lo, s24, v128
	v_mul_f32_e32 v88, s19, v135
	v_dual_mul_f32 v92, s19, v115 :: v_dual_mul_f32 v87, s19, v136
	s_delay_alu instid0(VALU_DEP_4)
	v_cmp_gt_i32_e64 s2, s24, v129
	v_mul_f32_e32 v78, s19, v138
	v_mul_f32_e32 v86, s19, v137
	v_cndmask_b32_e32 v88, 0xff7fffff, v88, vcc_lo
	v_mul_f32_e32 v76, s19, v140
	v_cndmask_b32_e64 v87, 0xff7fffff, v87, s2
	v_dual_mul_f32 v77, s19, v139 :: v_dual_mul_f32 v94, s19, v113
	v_cndmask_b32_e64 v86, 0xff7fffff, v86, s3
	v_cndmask_b32_e64 v78, 0xff7fffff, v78, s4
	s_delay_alu instid0(VALU_DEP_4)
	v_max3_f32 v87, v88, 0xff7fffff, v87
	v_or_b32_e32 v81, 16, v128
	v_or_b32_e32 v82, 18, v128
	v_dual_mul_f32 v74, s19, v142 :: v_dual_mul_f32 v75, s19, v141
	v_mul_f32_e32 v96, s19, v111
	v_cndmask_b32_e64 v77, 0xff7fffff, v77, s5
	v_cndmask_b32_e64 v76, 0xff7fffff, v76, s6
	v_max3_f32 v78, v87, v86, v78
	v_cmp_gt_i32_e64 s7, s24, v79
	v_cmp_gt_i32_e64 s8, s24, v80
	v_or_b32_e32 v83, 20, v128
	v_or_b32_e32 v84, 22, v128
	v_mul_f32_e32 v95, s19, v112
	v_cndmask_b32_e64 v75, 0xff7fffff, v75, s7
	v_cndmask_b32_e64 v74, 0xff7fffff, v74, s8
	v_max3_f32 v76, v78, v77, v76
	v_cmp_gt_i32_e64 s9, s24, v81
	v_cmp_gt_i32_e64 s10, s24, v82
	v_or_b32_e32 v85, 24, v128
	v_or_b32_e32 v71, 26, v128
	;; [unrolled: 8-line block ×3, first 2 shown]
	v_mul_f32_e32 v91, s19, v116
	v_cndmask_b32_e64 v75, 0xff7fffff, v94, s11
	v_cndmask_b32_e64 v76, 0xff7fffff, v93, s12
	v_max3_f32 v74, v74, v77, v78
	v_cmp_gt_i32_e64 s13, s24, v85
	v_cmp_gt_i32_e64 s15, s24, v71
	v_dual_mul_f32 v89, s19, v118 :: v_dual_mul_f32 v90, s19, v117
	s_delay_alu instid0(VALU_DEP_4) | instskip(NEXT) | instid1(VALU_DEP_4)
	v_max3_f32 v74, v74, v75, v76
	v_cndmask_b32_e64 v77, 0xff7fffff, v92, s13
	s_delay_alu instid0(VALU_DEP_4) | instskip(SKIP_2) | instid1(VALU_DEP_3)
	v_cndmask_b32_e64 v71, 0xff7fffff, v91, s15
	v_cmp_gt_i32_e64 s16, s24, v72
	v_cmp_gt_i32_e64 s17, s24, v73
	v_max3_f32 v71, v74, v77, v71
	s_delay_alu instid0(VALU_DEP_3) | instskip(NEXT) | instid1(VALU_DEP_3)
	v_cndmask_b32_e64 v72, 0xff7fffff, v90, s16
	v_cndmask_b32_e64 v73, 0xff7fffff, v89, s17
	v_lshlrev_b32_e32 v74, 2, v127
	s_delay_alu instid0(VALU_DEP_2) | instskip(SKIP_3) | instid1(VALU_DEP_1)
	v_max3_f32 v71, v71, v72, v73
	ds_bpermute_b32 v72, v74, v71
	s_waitcnt lgkmcnt(0)
	v_max_f32_e32 v72, v72, v72
	v_max_f32_e32 v71, v71, v72
	s_delay_alu instid0(VALU_DEP_1) | instskip(SKIP_4) | instid1(VALU_DEP_4)
	v_fma_f32 v72, s19, v135, -v71
	v_fma_f32 v73, s19, v136, -v71
	;; [unrolled: 1-line block ×5, first 2 shown]
	v_dual_mul_f32 v72, 0x3fb8aa3b, v72 :: v_dual_mul_f32 v73, 0x3fb8aa3b, v73
	v_fma_f32 v80, s19, v141, -v71
	s_delay_alu instid0(VALU_DEP_3) | instskip(NEXT) | instid1(VALU_DEP_3)
	v_dual_mul_f32 v76, 0x3fb8aa3b, v76 :: v_dual_mul_f32 v77, 0x3fb8aa3b, v77
	v_exp_f32_e32 v72, v72
	s_delay_alu instid0(VALU_DEP_3) | instskip(NEXT) | instid1(VALU_DEP_2)
	v_exp_f32_e32 v73, v73
	v_mul_f32_e32 v82, 0x3fb8aa3b, v80
	s_delay_alu instid0(VALU_DEP_2) | instskip(SKIP_1) | instid1(VALU_DEP_1)
	v_exp_f32_e32 v76, v76
	v_exp_f32_e32 v77, v77
	;; [unrolled: 1-line block ×3, first 2 shown]
	v_cndmask_b32_e32 v79, 0, v72, vcc_lo
	v_fma_f32 v72, s19, v140, -v71
	v_mul_f32_e32 v75, 0x3fb8aa3b, v75
	v_cndmask_b32_e64 v78, 0, v73, s2
	s_delay_alu instid0(TRANS32_DEP_3) | instskip(NEXT) | instid1(VALU_DEP_4)
	v_cndmask_b32_e64 v80, 0, v76, s4
	v_dual_add_f32 v73, 0, v79 :: v_dual_mul_f32 v72, 0x3fb8aa3b, v72
	s_delay_alu instid0(VALU_DEP_4) | instskip(NEXT) | instid1(TRANS32_DEP_3)
	v_exp_f32_e32 v75, v75
	v_cndmask_b32_e64 v83, 0, v77, s5
	s_delay_alu instid0(TRANS32_DEP_2) | instskip(NEXT) | instid1(VALU_DEP_3)
	v_cndmask_b32_e64 v85, 0, v84, s7
	v_add_f32_e32 v73, v73, v78
	v_exp_f32_e32 v72, v72
	v_cmp_gt_u32_e64 s2, 16, v70
	s_waitcnt_depctr 0xfff
	v_cndmask_b32_e64 v81, 0, v75, s3
	v_cndmask_b32_e64 v82, 0, v72, s6
	s_delay_alu instid0(VALU_DEP_2) | instskip(NEXT) | instid1(VALU_DEP_1)
	v_add_f32_e32 v73, v73, v81
	v_add_f32_e32 v73, v73, v80
	s_delay_alu instid0(VALU_DEP_1) | instskip(NEXT) | instid1(VALU_DEP_1)
	v_add_f32_e32 v72, v73, v83
	v_add_f32_e32 v72, v72, v82
	s_delay_alu instid0(VALU_DEP_1)
	v_add_f32_e32 v72, v72, v85
	v_fma_f32 v76, s19, v111, -v71
	v_fma_f32 v75, s19, v142, -v71
	;; [unrolled: 1-line block ×5, first 2 shown]
	v_mul_f32_e32 v76, 0x3fb8aa3b, v76
	s_delay_alu instid0(VALU_DEP_4) | instskip(NEXT) | instid1(VALU_DEP_2)
	v_mul_f32_e32 v86, 0x3fb8aa3b, v86
	v_exp_f32_e32 v76, v76
	s_delay_alu instid0(VALU_DEP_1)
	v_exp_f32_e32 v88, v86
	s_waitcnt_depctr 0xfff
	v_cndmask_b32_e64 v87, 0, v76, s9
	v_fma_f32 v76, s19, v116, -v71
	v_mul_f32_e32 v75, 0x3fb8aa3b, v75
	v_cndmask_b32_e64 v88, 0, v88, s12
	s_delay_alu instid0(VALU_DEP_3) | instskip(NEXT) | instid1(VALU_DEP_3)
	v_dual_mul_f32 v73, 0x3fb8aa3b, v73 :: v_dual_mul_f32 v76, 0x3fb8aa3b, v76
	v_exp_f32_e32 v75, v75
	s_delay_alu instid0(VALU_DEP_1) | instskip(NEXT) | instid1(VALU_DEP_1)
	v_exp_f32_e32 v73, v73
	v_exp_f32_e32 v76, v76
	s_delay_alu instid0(TRANS32_DEP_3)
	v_cndmask_b32_e64 v84, 0, v75, s8
	v_fma_f32 v75, s19, v115, -v71
	s_waitcnt_depctr 0xfff
	v_cndmask_b32_e64 v89, 0, v73, s11
	v_cndmask_b32_e64 v90, 0, v76, s15
	v_add_f32_e32 v72, v72, v84
	s_delay_alu instid0(VALU_DEP_1) | instskip(NEXT) | instid1(VALU_DEP_1)
	v_dual_add_f32 v72, v72, v87 :: v_dual_mul_f32 v77, 0x3fb8aa3b, v77
	v_exp_f32_e32 v77, v77
	s_waitcnt_depctr 0xfff
	v_cndmask_b32_e64 v86, 0, v77, s10
	v_fma_f32 v77, s19, v117, -v71
	s_delay_alu instid0(VALU_DEP_2) | instskip(NEXT) | instid1(VALU_DEP_1)
	v_dual_add_f32 v72, v72, v86 :: v_dual_mul_f32 v75, 0x3fb8aa3b, v75
	v_add_f32_e32 v72, v72, v89
	s_delay_alu instid0(VALU_DEP_2) | instskip(NEXT) | instid1(VALU_DEP_1)
	v_exp_f32_e32 v75, v75
	v_add_f32_e32 v72, v72, v88
	s_waitcnt_depctr 0xfff
	v_cndmask_b32_e64 v91, 0, v75, s13
	v_mul_f32_e32 v73, 0x3fb8aa3b, v77
	v_fma_f32 v77, s19, v118, -v71
	s_delay_alu instid0(VALU_DEP_3) | instskip(NEXT) | instid1(VALU_DEP_3)
	v_add_f32_e32 v72, v72, v91
	v_exp_f32_e32 v73, v73
	s_delay_alu instid0(VALU_DEP_1) | instskip(NEXT) | instid1(VALU_DEP_1)
	v_dual_mul_f32 v75, 0x3fb8aa3b, v77 :: v_dual_add_f32 v72, v72, v90
	v_exp_f32_e32 v75, v75
	s_waitcnt_depctr 0xfff
	v_cndmask_b32_e64 v93, 0, v73, s16
	s_delay_alu instid0(VALU_DEP_1) | instskip(SKIP_1) | instid1(VALU_DEP_1)
	v_add_f32_e32 v72, v72, v93
	v_cndmask_b32_e64 v92, 0, v75, s17
	v_add_f32_e32 v72, v72, v92
	ds_bpermute_b32 v73, v74, v72
	s_and_saveexec_b32 s3, s2
	s_cbranch_execz .LBB978_12
; %bb.11:
	v_mul_u32_u24_e32 v70, 0x44, v69
	s_waitcnt lgkmcnt(0)
	v_add_f32_e32 v72, v72, v73
	s_delay_alu instid0(VALU_DEP_2) | instskip(NEXT) | instid1(VALU_DEP_1)
	v_lshl_add_u32 v70, v68, 2, v70
	v_add_nc_u32_e32 v70, 0x4000, v70
	ds_store_2addr_b32 v70, v71, v72 offset1:136
.LBB978_12:
	s_or_b32 exec_lo, exec_lo, s3
	v_lshlrev_b32_e32 v70, 2, v68
	s_load_b32 s35, s[0:1], 0x94
	s_waitcnt lgkmcnt(0)
	s_barrier
	buffer_gl0_inv
	v_add_nc_u32_e32 v98, 0x4000, v70
	v_cmp_eq_u32_e32 vcc_lo, 1, v69
	v_cmp_eq_u32_e64 s3, 2, v69
	v_cmp_eq_u32_e64 s4, 3, v69
	;; [unrolled: 1-line block ×3, first 2 shown]
	ds_load_2addr_b32 v[70:71], v98 offset1:17
	ds_load_2addr_b32 v[72:73], v98 offset0:34 offset1:51
	ds_load_2addr_b32 v[74:75], v98 offset0:68 offset1:85
	;; [unrolled: 1-line block ×3, first 2 shown]
	v_cmp_eq_u32_e64 s6, 5, v69
	v_cmp_eq_u32_e64 s7, 7, v69
	s_waitcnt lgkmcnt(3)
	v_max3_f32 v76, v70, 0xff7fffff, v71
	s_waitcnt lgkmcnt(2)
	s_delay_alu instid0(VALU_DEP_1) | instskip(SKIP_1) | instid1(VALU_DEP_1)
	v_max3_f32 v76, v76, v72, v73
	s_waitcnt lgkmcnt(1)
	v_max3_f32 v76, v76, v74, v75
	s_waitcnt lgkmcnt(0)
	s_delay_alu instid0(VALU_DEP_1) | instskip(NEXT) | instid1(VALU_DEP_1)
	v_max3_f32 v76, v76, v94, v95
	v_sub_f32_e32 v77, v71, v76
	ds_load_2addr_b32 v[96:97], v98 offset0:136 offset1:153
	v_sub_f32_e32 v74, v74, v76
	v_sub_f32_e32 v70, v70, v76
	;; [unrolled: 1-line block ×3, first 2 shown]
	v_dual_sub_f32 v72, v72, v76 :: v_dual_mul_f32 v77, 0x3fb8aa3b, v77
	s_delay_alu instid0(VALU_DEP_4) | instskip(NEXT) | instid1(VALU_DEP_4)
	v_mul_f32_e32 v103, 0x3fb8aa3b, v74
	v_mul_f32_e32 v99, 0x3fb8aa3b, v70
	ds_load_2addr_b32 v[70:71], v98 offset0:170 offset1:187
	v_dual_mul_f32 v101, 0x3fb8aa3b, v72 :: v_dual_mul_f32 v94, 0x3fb8aa3b, v94
	v_exp_f32_e32 v102, v77
	v_exp_f32_e32 v99, v99
	s_delay_alu instid0(VALU_DEP_1) | instskip(NEXT) | instid1(VALU_DEP_1)
	v_exp_f32_e32 v101, v101
	v_exp_f32_e32 v94, v94
	s_waitcnt lgkmcnt(1)
	s_delay_alu instid0(TRANS32_DEP_3)
	v_fma_f32 v77, v99, v96, 0
	v_sub_f32_e32 v100, v73, v76
	ds_load_2addr_b32 v[72:73], v98 offset0:204 offset1:221
	v_fmac_f32_e32 v77, v102, v97
	v_exp_f32_e32 v97, v103
	s_waitcnt lgkmcnt(1)
	s_delay_alu instid0(VALU_DEP_1)
	v_dual_fmac_f32 v77, v101, v70 :: v_dual_sub_f32 v96, v75, v76
	ds_load_2addr_b32 v[74:75], v98 offset0:238 offset1:255
	v_sub_f32_e32 v70, v95, v76
	s_waitcnt lgkmcnt(0)
	s_barrier
	v_mul_f32_e32 v96, 0x3fb8aa3b, v96
	buffer_gl0_inv
	v_exp_f32_e32 v95, v96
	v_mul_f32_e32 v100, 0x3fb8aa3b, v100
	s_delay_alu instid0(VALU_DEP_1) | instskip(SKIP_3) | instid1(VALU_DEP_2)
	v_exp_f32_e32 v100, v100
	s_waitcnt_depctr 0xfff
	v_dual_fmac_f32 v77, v100, v71 :: v_dual_mul_f32 v70, 0x3fb8aa3b, v70
	v_cndmask_b32_e32 v71, v99, v102, vcc_lo
	v_fmac_f32_e32 v77, v97, v72
	s_delay_alu instid0(VALU_DEP_3) | instskip(NEXT) | instid1(VALU_DEP_1)
	v_exp_f32_e32 v96, v70
	v_fmac_f32_e32 v77, v95, v73
	s_delay_alu instid0(VALU_DEP_1) | instskip(SKIP_2) | instid1(VALU_DEP_1)
	v_fmac_f32_e32 v77, v94, v74
	s_waitcnt_depctr 0xfff
	v_fmac_f32_e32 v77, v96, v75
	v_add_f32_e32 v74, 0x358637bd, v77
	s_delay_alu instid0(VALU_DEP_1) | instskip(SKIP_1) | instid1(VALU_DEP_2)
	v_div_scale_f32 v98, null, v74, v74, 1.0
	v_div_scale_f32 v99, vcc_lo, 1.0, v74, 1.0
	v_rcp_f32_e32 v103, v98
	s_waitcnt_depctr 0xfff
	v_fma_f32 v70, -v98, v103, 1.0
	s_delay_alu instid0(VALU_DEP_1) | instskip(SKIP_2) | instid1(VALU_DEP_2)
	v_fmac_f32_e32 v103, v70, v103
	v_cndmask_b32_e64 v70, v71, v101, s3
	v_cmp_eq_u32_e64 s3, 6, v69
	v_cndmask_b32_e64 v71, v70, v100, s4
	s_delay_alu instid0(VALU_DEP_4) | instskip(NEXT) | instid1(VALU_DEP_2)
	v_dual_mul_f32 v101, v99, v103 :: v_dual_lshlrev_b32 v70, 2, v66
	v_cndmask_b32_e64 v71, v71, v97, s5
	s_delay_alu instid0(VALU_DEP_2) | instskip(NEXT) | instid1(VALU_DEP_3)
	v_or_b32_e32 v72, 1, v70
	v_fma_f32 v100, -v98, v101, v99
	v_cmp_eq_u32_e64 s4, 1, v70
	v_cmp_eq_u32_e64 s5, 2, v70
	v_cndmask_b32_e64 v95, v71, v95, s6
	v_or_b32_e32 v71, 3, v70
	v_fmac_f32_e32 v101, v100, v103
	v_cmp_eq_u32_e64 s9, 1, v72
	v_cmp_eq_u32_e64 s12, 2, v72
	v_cndmask_b32_e64 v94, v95, v94, s3
	v_cmp_eq_u32_e64 s11, 1, v71
	v_fma_f32 v97, -v98, v101, v99
	v_cmp_eq_u32_e64 s16, 2, v71
	v_cmp_eq_u32_e64 s13, 3, v72
	v_cndmask_b32_e64 v94, v94, v96, s7
	v_cmp_eq_u32_e64 s18, 3, v71
	v_div_fmas_f32 v95, v97, v103, v101
	v_cmp_eq_u32_e32 vcc_lo, 3, v70
	v_cmp_eq_u32_e64 s3, 4, v70
	v_cmp_eq_u32_e64 s19, 4, v72
	;; [unrolled: 1-line block ×3, first 2 shown]
	v_div_fixup_f32 v95, v95, v74, 1.0
	v_lshlrev_b32_e32 v73, 6, v68
	v_cmp_eq_u32_e64 s6, 5, v70
	v_cmp_eq_u32_e64 s20, 5, v72
	;; [unrolled: 1-line block ×3, first 2 shown]
	v_mul_f32_e32 v102, v94, v95
	v_lshl_or_b32 v75, v69, 11, v73
	v_or_b32_e32 v69, 2, v70
	v_cmp_eq_u32_e64 s25, 6, v72
	v_cmp_eq_u32_e64 s27, 6, v71
	v_fma_mixlo_f16 v94, v102, v79, 0
	v_fma_mixlo_f16 v95, v102, v81, 0
	v_fma_mixlo_f16 v96, v102, v83, 0
	v_fma_mixlo_f16 v97, v102, v85, 0
	v_fma_mixlo_f16 v98, v102, v87, 0
	v_fma_mixlo_f16 v99, v102, v89, 0
	v_fma_mixlo_f16 v100, v102, v91, 0
	v_fma_mixlo_f16 v101, v102, v93, 0
	v_lshl_or_b32 v74, v66, 4, v75
	v_fma_mixhi_f16 v94, v102, v78, 0
	v_fma_mixhi_f16 v95, v102, v80, 0
	;; [unrolled: 1-line block ×8, first 2 shown]
	ds_store_b128 v74, v[94:97]
	ds_store_b128 v74, v[98:101] offset:1024
	s_waitcnt lgkmcnt(0)
	s_barrier
	buffer_gl0_inv
	ds_load_b128 v[78:81], v75
	ds_load_b128 v[82:85], v75 offset:16
	ds_load_b128 v[86:89], v75 offset:1024
	;; [unrolled: 1-line block ×3, first 2 shown]
	v_cmp_eq_u32_e64 s10, 1, v69
	v_cmp_eq_u32_e64 s15, 2, v69
	;; [unrolled: 1-line block ×11, first 2 shown]
	s_waitcnt lgkmcnt(3)
	v_lshrrev_b32_e32 v94, 16, v78
	s_waitcnt lgkmcnt(2)
	v_lshrrev_b32_e32 v98, 16, v82
	;; [unrolled: 2-line block ×4, first 2 shown]
	v_lshrrev_b32_e32 v95, 16, v79
	v_cndmask_b32_e64 v110, v78, v94, s4
	v_cndmask_b32_e64 v111, v82, v98, s4
	;; [unrolled: 1-line block ×8, first 2 shown]
	v_lshrrev_b32_e32 v99, 16, v83
	v_cndmask_b32_e64 v94, v86, v102, s4
	v_cndmask_b32_e64 v98, v90, v106, s4
	;; [unrolled: 1-line block ×15, first 2 shown]
	v_lshrrev_b32_e32 v103, 16, v87
	v_lshrrev_b32_e32 v107, 16, v91
	v_cndmask_b32_e64 v113, v115, v83, s15
	v_cndmask_b32_e64 v82, v94, v87, s5
	;; [unrolled: 1-line block ×7, first 2 shown]
	v_cndmask_b32_e32 v90, v102, v95, vcc_lo
	v_cndmask_b32_e32 v102, v106, v99, vcc_lo
	v_cndmask_b32_e64 v106, v110, v95, s13
	v_cndmask_b32_e64 v110, v111, v99, s13
	;; [unrolled: 1-line block ×4, first 2 shown]
	v_lshrrev_b32_e32 v96, 16, v80
	v_lshrrev_b32_e32 v100, 16, v84
	v_cndmask_b32_e64 v111, v112, v95, s17
	v_cndmask_b32_e64 v112, v113, v99, s17
	v_cndmask_b32_e32 v82, v82, v103, vcc_lo
	v_cndmask_b32_e32 v83, v83, v107, vcc_lo
	v_cndmask_b32_e64 v94, v94, v103, s13
	v_cndmask_b32_e64 v90, v90, v80, s3
	;; [unrolled: 1-line block ×7, first 2 shown]
	v_lshrrev_b32_e32 v104, 16, v88
	v_cndmask_b32_e64 v106, v111, v80, s21
	v_cndmask_b32_e64 v110, v112, v84, s21
	;; [unrolled: 1-line block ×11, first 2 shown]
	v_lshrrev_b32_e32 v97, 16, v81
	v_lshrrev_b32_e32 v101, 16, v85
	v_cndmask_b32_e64 v99, v106, v96, s23
	v_cndmask_b32_e64 v102, v110, v100, s23
	;; [unrolled: 1-line block ×7, first 2 shown]
	v_lshrrev_b32_e32 v105, 16, v89
	v_cndmask_b32_e64 v80, v80, v104, s6
	v_cndmask_b32_e64 v84, v84, v81, s7
	;; [unrolled: 1-line block ×16, first 2 shown]
	v_perm_b32 v81, v79, v78, 0x5040100
	v_perm_b32 v79, v95, v85, 0x5040100
	v_cndmask_b32_e64 v78, v119, v91, s15
	v_cndmask_b32_e64 v85, v117, v91, s12
	;; [unrolled: 1-line block ×3, first 2 shown]
	v_perm_b32 v80, v94, v90, 0x5040100
	v_cndmask_b32_e64 v90, v98, v103, s17
	v_cndmask_b32_e64 v86, v86, v103, s18
	;; [unrolled: 1-line block ×5, first 2 shown]
	v_lshrrev_b32_e32 v108, 16, v92
	v_cndmask_b32_e64 v90, v90, v88, s21
	v_cndmask_b32_e64 v86, v86, v88, s22
	;; [unrolled: 1-line block ×11, first 2 shown]
	v_lshrrev_b32_e32 v109, 16, v93
	v_cndmask_b32_e64 v82, v82, v93, s7
	v_cndmask_b32_e64 v88, v88, v89, s26
	;; [unrolled: 1-line block ×12, first 2 shown]
	v_perm_b32 v78, v84, v83, 0x5040100
	v_perm_b32 v85, v87, v86, 0x5040100
	;; [unrolled: 1-line block ×5, first 2 shown]
	s_mul_i32 s8, s33, 9
	s_mov_b32 s3, exec_lo
	ds_store_b128 v74, v[78:81]
	ds_store_b128 v74, v[82:85] offset:1024
	v_cmpx_gt_u32_e32 9, v0
	s_cbranch_execz .LBB978_14
; %bb.13:
	s_mul_i32 s4, s8, s34
	s_delay_alu instid0(SALU_CYCLE_1) | instskip(SKIP_1) | instid1(VALU_DEP_1)
	v_add3_u32 v68, s4, s31, v68
	s_load_b128 s[4:7], s[0:1], 0x58
	v_mad_u64_u32 v[78:79], null, v68, s35, s[14:15]
	s_delay_alu instid0(VALU_DEP_1) | instskip(NEXT) | instid1(VALU_DEP_1)
	v_ashrrev_i32_e32 v79, 31, v78
	v_lshlrev_b64 v[78:79], 2, v[78:79]
	s_waitcnt lgkmcnt(0)
	s_delay_alu instid0(VALU_DEP_1) | instskip(NEXT) | instid1(VALU_DEP_2)
	v_add_co_u32 v80, vcc_lo, s6, v78
	v_add_co_ci_u32_e32 v81, vcc_lo, s7, v79, vcc_lo
	v_add_co_u32 v78, vcc_lo, s4, v78
	v_add_co_ci_u32_e32 v79, vcc_lo, s5, v79, vcc_lo
	global_store_b32 v[80:81], v76, off
	global_store_b32 v[78:79], v77, off
.LBB978_14:
	s_or_b32 exec_lo, exec_lo, s3
	s_waitcnt lgkmcnt(0)
	s_waitcnt_vscnt null, 0x0
	s_barrier
	buffer_gl0_inv
	ds_load_b128 v[84:87], v73
	ds_load_b128 v[88:91], v73 offset:16
	ds_load_b128 v[96:99], v73 offset:2064
	;; [unrolled: 1-line block ×5, first 2 shown]
	v_cmp_eq_u32_e32 vcc_lo, 1, v70
	v_mov_b32_e32 v76, 0
	ds_load_b128 v[112:115], v73 offset:6160
	ds_load_b128 v[108:111], v73 offset:6144
	;; [unrolled: 1-line block ×4, first 2 shown]
	v_cmp_eq_u32_e64 s4, 1, v69
	v_cmp_eq_u32_e64 s3, 1, v72
	;; [unrolled: 1-line block ×3, first 2 shown]
	v_mov_b32_e32 v77, v76
	v_mov_b32_e32 v78, v76
	;; [unrolled: 1-line block ×7, first 2 shown]
	v_cmp_eq_u32_e64 s6, 3, v72
	v_cmp_eq_u32_e64 s7, 7, v72
	s_waitcnt lgkmcnt(8)
	s_delay_alu instid0(VALU_DEP_3)
	v_wmma_f32_16x16x16_f16 v[76:83], v[49:56], v[84:91], v[76:83]
	ds_load_b128 v[53:56], v73 offset:10256
	ds_load_b128 v[49:52], v73 offset:10240
	s_waitcnt lgkmcnt(8)
	v_wmma_f32_16x16x16_f16 v[76:83], v[41:48], v[92:99], v[76:83]
	ds_load_b128 v[45:48], v73 offset:12304
	ds_load_b128 v[41:44], v73 offset:12288
	s_waitcnt lgkmcnt(8)
	;; [unrolled: 4-line block ×3, first 2 shown]
	s_barrier
	buffer_gl0_inv
	v_wmma_f32_16x16x16_f16 v[76:83], v[1:8], v[108:115], v[76:83]
	s_delay_alu instid0(VALU_DEP_1) | instskip(NEXT) | instid1(VALU_DEP_1)
	v_wmma_f32_16x16x16_f16 v[76:83], v[9:16], v[116:123], v[76:83]
	v_wmma_f32_16x16x16_f16 v[76:83], v[17:24], v[49:56], v[76:83]
	s_delay_alu instid0(VALU_DEP_1) | instskip(NEXT) | instid1(VALU_DEP_1)
	v_wmma_f32_16x16x16_f16 v[76:83], v[25:32], v[41:48], v[76:83]
	v_wmma_f32_16x16x16_f16 v[76:83], v[57:64], v[33:40], v[76:83]
	s_delay_alu instid0(VALU_DEP_1) | instskip(NEXT) | instid1(VALU_DEP_2)
	v_cvt_f16_f32_e32 v1, v76
	v_cvt_f16_f32_e32 v2, v77
	s_delay_alu instid0(VALU_DEP_3) | instskip(NEXT) | instid1(VALU_DEP_4)
	v_cvt_f16_f32_e32 v3, v78
	v_cvt_f16_f32_e32 v4, v79
	;; [unrolled: 1-line block ×6, first 2 shown]
	v_pack_b32_f16 v1, v1, v2
	v_pack_b32_f16 v2, v3, v4
	;; [unrolled: 1-line block ×3, first 2 shown]
	s_delay_alu instid0(VALU_DEP_4)
	v_pack_b32_f16 v4, v7, v8
	ds_store_b128 v74, v[1:4]
	s_waitcnt lgkmcnt(0)
	s_barrier
	buffer_gl0_inv
	ds_load_b128 v[1:4], v75
	ds_load_b128 v[5:8], v75 offset:16
	s_waitcnt lgkmcnt(1)
	v_lshrrev_b32_e32 v9, 16, v1
	s_waitcnt lgkmcnt(0)
	v_lshrrev_b32_e32 v13, 16, v5
	v_lshrrev_b32_e32 v10, 16, v2
	;; [unrolled: 1-line block ×4, first 2 shown]
	v_cndmask_b32_e32 v17, v1, v9, vcc_lo
	v_cndmask_b32_e32 v18, v5, v13, vcc_lo
	v_cndmask_b32_e64 v21, v1, v9, s4
	v_cmp_eq_u32_e32 vcc_lo, 1, v71
	v_cndmask_b32_e64 v22, v5, v13, s4
	v_cmp_eq_u32_e64 s4, 2, v70
	v_cndmask_b32_e64 v19, v1, v9, s3
	v_cndmask_b32_e64 v20, v5, v13, s3
	v_cndmask_b32_e32 v1, v1, v9, vcc_lo
	v_cmp_eq_u32_e64 s3, 2, v71
	v_cndmask_b32_e32 v5, v5, v13, vcc_lo
	v_cndmask_b32_e64 v9, v17, v2, s4
	v_cmp_eq_u32_e32 vcc_lo, 3, v70
	v_cndmask_b32_e64 v13, v18, v6, s4
	v_cmp_eq_u32_e64 s4, 2, v69
	v_cndmask_b32_e64 v17, v19, v2, s5
	v_cndmask_b32_e64 v18, v20, v6, s5
	v_cmp_eq_u32_e64 s5, 3, v69
	v_cndmask_b32_e64 v1, v1, v2, s3
	v_cndmask_b32_e64 v19, v21, v2, s4
	;; [unrolled: 1-line block ×4, first 2 shown]
	v_cndmask_b32_e32 v5, v9, v10, vcc_lo
	v_cndmask_b32_e32 v6, v13, v14, vcc_lo
	v_cmp_eq_u32_e32 vcc_lo, 3, v71
	v_cndmask_b32_e64 v9, v17, v10, s6
	v_cndmask_b32_e64 v13, v18, v14, s6
	;; [unrolled: 1-line block ×3, first 2 shown]
	v_cmp_eq_u32_e64 s4, 4, v70
	v_cndmask_b32_e32 v1, v1, v10, vcc_lo
	v_cndmask_b32_e32 v2, v2, v14, vcc_lo
	v_cmp_eq_u32_e32 vcc_lo, 4, v72
	v_lshrrev_b32_e32 v15, 16, v7
	v_lshrrev_b32_e32 v16, 16, v8
	v_cndmask_b32_e64 v17, v19, v10, s5
	v_cmp_eq_u32_e64 s3, 4, v71
	v_cndmask_b32_e64 v5, v5, v3, s4
	v_cndmask_b32_e64 v6, v6, v7, s4
	v_cndmask_b32_e32 v9, v9, v3, vcc_lo
	v_cmp_eq_u32_e64 s4, 5, v72
	v_cndmask_b32_e32 v10, v13, v7, vcc_lo
	v_cmp_eq_u32_e32 vcc_lo, 4, v69
	v_cmp_eq_u32_e64 s5, 5, v70
	v_cndmask_b32_e64 v2, v2, v7, s3
	v_cndmask_b32_e64 v9, v9, v11, s4
	;; [unrolled: 1-line block ×3, first 2 shown]
	v_cndmask_b32_e32 v13, v17, v3, vcc_lo
	v_cmp_eq_u32_e64 s4, 5, v69
	v_cndmask_b32_e32 v14, v18, v7, vcc_lo
	v_cndmask_b32_e64 v1, v1, v3, s3
	v_cmp_eq_u32_e32 vcc_lo, 5, v71
	v_lshrrev_b32_e32 v12, 16, v4
	v_cndmask_b32_e64 v13, v13, v11, s4
	v_cndmask_b32_e64 v3, v14, v15, s4
	v_cmp_eq_u32_e64 s4, 6, v71
	v_cndmask_b32_e32 v1, v1, v11, vcc_lo
	v_cndmask_b32_e64 v5, v5, v11, s5
	v_cmp_eq_u32_e64 s6, 6, v70
	v_cndmask_b32_e64 v6, v6, v15, s5
	v_cmp_eq_u32_e64 s5, 6, v72
	v_cmp_eq_u32_e64 s3, 6, v69
	v_cndmask_b32_e64 v1, v1, v4, s4
	v_cndmask_b32_e32 v2, v2, v15, vcc_lo
	v_cmp_eq_u32_e32 vcc_lo, 7, v71
	v_cndmask_b32_e64 v5, v5, v4, s6
	v_cndmask_b32_e64 v9, v9, v4, s5
	;; [unrolled: 1-line block ×3, first 2 shown]
	v_cmp_eq_u32_e64 s6, 7, v70
	v_cndmask_b32_e32 v1, v1, v12, vcc_lo
	v_cndmask_b32_e64 v7, v13, v4, s3
	v_cndmask_b32_e64 v3, v3, v8, s3
	;; [unrolled: 1-line block ×3, first 2 shown]
	v_cmp_eq_u32_e64 s3, 7, v69
	v_cndmask_b32_e64 v4, v10, v8, s5
	v_cndmask_b32_e64 v5, v5, v12, s6
	;; [unrolled: 1-line block ×3, first 2 shown]
	v_cndmask_b32_e32 v2, v2, v16, vcc_lo
	v_cndmask_b32_e64 v7, v7, v12, s3
	v_cndmask_b32_e64 v3, v3, v16, s3
	;; [unrolled: 1-line block ×4, first 2 shown]
	v_perm_b32 v4, v2, v1, 0x5040100
	s_mov_b32 s3, exec_lo
	v_perm_b32 v3, v3, v7, 0x5040100
	v_perm_b32 v2, v8, v9, 0x5040100
	;; [unrolled: 1-line block ×3, first 2 shown]
	ds_store_b128 v74, v[1:4]
	s_waitcnt lgkmcnt(0)
	s_barrier
	buffer_gl0_inv
	v_cmpx_gt_u32_e32 32, v0
	s_cbranch_execz .LBB978_2
; %bb.15:
	s_load_b64 s[4:5], s[0:1], 0x68
	v_lshlrev_b32_e32 v0, 10, v0
	v_lshlrev_b32_e32 v1, 4, v67
	s_lshl_b32 s0, s35, 7
	v_add_nc_u32_e32 v2, s31, v66
	s_mul_i32 s1, s0, s34
	s_delay_alu instid0(SALU_CYCLE_1) | instskip(SKIP_1) | instid1(VALU_DEP_2)
	s_mul_i32 s6, s1, s8
	v_and_or_b32 v0, 0x3800, v0, v1
	v_mul_lo_u32 v1, v2, s0
	s_ashr_i32 s7, s6, 31
	v_add_nc_u32_e32 v3, 2, v2
	s_lshl_b64 s[6:7], s[6:7], 1
	v_add_nc_u32_e32 v4, 4, v2
	v_add_nc_u32_e32 v5, 6, v2
	v_lshl_or_b32 v15, v66, 6, v0
	v_mul_lo_u32 v3, v3, s0
	v_ashrrev_i32_e32 v2, 31, v1
	v_mul_lo_u32 v19, v4, s0
	v_mul_lo_u32 v21, v5, s0
	s_waitcnt lgkmcnt(0)
	s_add_u32 s1, s4, s6
	s_addc_u32 s3, s5, s7
	s_lshl_b32 s4, s14, 7
	v_lshlrev_b64 v[5:6], 1, v[1:2]
	s_ashr_i32 s5, s4, 31
	v_ashrrev_i32_e32 v4, 31, v3
	s_lshl_b64 s[4:5], s[4:5], 1
	v_ashrrev_i32_e32 v20, 31, v19
	s_add_u32 s1, s1, s4
	s_addc_u32 s3, s3, s5
	v_add_co_u32 v1, s1, s1, v65
	s_delay_alu instid0(VALU_DEP_1) | instskip(SKIP_1) | instid1(VALU_DEP_3)
	v_add_co_ci_u32_e64 v2, null, s3, 0, s1
	v_lshlrev_b64 v[25:26], 1, v[3:4]
	v_add_co_u32 v23, vcc_lo, v1, v5
	s_delay_alu instid0(VALU_DEP_3)
	v_add_co_ci_u32_e32 v24, vcc_lo, v2, v6, vcc_lo
	ds_load_b128 v[3:6], v15
	ds_load_b128 v[7:10], v15 offset:128
	ds_load_b128 v[11:14], v15 offset:256
	;; [unrolled: 1-line block ×3, first 2 shown]
	v_ashrrev_i32_e32 v22, 31, v21
	v_lshlrev_b64 v[19:20], 1, v[19:20]
	v_add_co_u32 v25, vcc_lo, v1, v25
	v_add_co_ci_u32_e32 v26, vcc_lo, v2, v26, vcc_lo
	s_delay_alu instid0(VALU_DEP_4) | instskip(NEXT) | instid1(VALU_DEP_4)
	v_lshlrev_b64 v[21:22], 1, v[21:22]
	v_add_co_u32 v19, vcc_lo, v1, v19
	v_add_co_ci_u32_e32 v20, vcc_lo, v2, v20, vcc_lo
	s_delay_alu instid0(VALU_DEP_3) | instskip(NEXT) | instid1(VALU_DEP_4)
	v_add_co_u32 v21, vcc_lo, v1, v21
	v_add_co_ci_u32_e32 v22, vcc_lo, v2, v22, vcc_lo
	s_waitcnt lgkmcnt(3)
	global_store_b128 v[23:24], v[3:6], off
	s_waitcnt lgkmcnt(2)
	global_store_b128 v[25:26], v[7:10], off
	;; [unrolled: 2-line block ×4, first 2 shown]
	s_and_b32 exec_lo, exec_lo, s2
	s_cbranch_execz .LBB978_2
; %bb.16:
	ds_load_b128 v[3:6], v0 offset:512
	s_add_i32 s1, s31, 8
	s_delay_alu instid0(SALU_CYCLE_1) | instskip(NEXT) | instid1(SALU_CYCLE_1)
	s_mul_i32 s0, s1, s0
	s_ashr_i32 s1, s0, 31
	s_delay_alu instid0(SALU_CYCLE_1) | instskip(NEXT) | instid1(SALU_CYCLE_1)
	s_lshl_b64 s[0:1], s[0:1], 1
	v_add_co_u32 v0, vcc_lo, v1, s0
	v_add_co_ci_u32_e32 v1, vcc_lo, s1, v2, vcc_lo
	s_waitcnt lgkmcnt(0)
	global_store_b128 v[0:1], v[3:6], off
	s_nop 0
	s_sendmsg sendmsg(MSG_DEALLOC_VGPRS)
	s_endpgm
	.section	.rodata,"a",@progbits
	.p2align	6, 0x0
	.amdhsa_kernel _Z39paged_attention_ll4mi_QKV_mfma16_kernelIDF16_hLN4vllm18Fp8KVCacheDataTypeE1EDF16_Li16ELi128ELi256ELb1ELi9EL8MFMAType1EEvPKT_PKT0_S8_ifPKiSA_SA_iPKfiiiPfSD_PS3_PT2_iSC_SC_
		.amdhsa_group_segment_fixed_size 17472
		.amdhsa_private_segment_fixed_size 0
		.amdhsa_kernarg_size 400
		.amdhsa_user_sgpr_count 13
		.amdhsa_user_sgpr_dispatch_ptr 0
		.amdhsa_user_sgpr_queue_ptr 0
		.amdhsa_user_sgpr_kernarg_segment_ptr 1
		.amdhsa_user_sgpr_dispatch_id 0
		.amdhsa_user_sgpr_private_segment_size 0
		.amdhsa_wavefront_size32 1
		.amdhsa_uses_dynamic_stack 0
		.amdhsa_enable_private_segment 0
		.amdhsa_system_sgpr_workgroup_id_x 1
		.amdhsa_system_sgpr_workgroup_id_y 1
		.amdhsa_system_sgpr_workgroup_id_z 1
		.amdhsa_system_sgpr_workgroup_info 0
		.amdhsa_system_vgpr_workitem_id 0
		.amdhsa_next_free_vgpr 150
		.amdhsa_next_free_sgpr 36
		.amdhsa_reserve_vcc 1
		.amdhsa_float_round_mode_32 0
		.amdhsa_float_round_mode_16_64 0
		.amdhsa_float_denorm_mode_32 3
		.amdhsa_float_denorm_mode_16_64 3
		.amdhsa_dx10_clamp 1
		.amdhsa_ieee_mode 1
		.amdhsa_fp16_overflow 0
		.amdhsa_workgroup_processor_mode 1
		.amdhsa_memory_ordered 1
		.amdhsa_forward_progress 0
		.amdhsa_shared_vgpr_count 0
		.amdhsa_exception_fp_ieee_invalid_op 0
		.amdhsa_exception_fp_denorm_src 0
		.amdhsa_exception_fp_ieee_div_zero 0
		.amdhsa_exception_fp_ieee_overflow 0
		.amdhsa_exception_fp_ieee_underflow 0
		.amdhsa_exception_fp_ieee_inexact 0
		.amdhsa_exception_int_div_zero 0
	.end_amdhsa_kernel
	.section	.text._Z39paged_attention_ll4mi_QKV_mfma16_kernelIDF16_hLN4vllm18Fp8KVCacheDataTypeE1EDF16_Li16ELi128ELi256ELb1ELi9EL8MFMAType1EEvPKT_PKT0_S8_ifPKiSA_SA_iPKfiiiPfSD_PS3_PT2_iSC_SC_,"axG",@progbits,_Z39paged_attention_ll4mi_QKV_mfma16_kernelIDF16_hLN4vllm18Fp8KVCacheDataTypeE1EDF16_Li16ELi128ELi256ELb1ELi9EL8MFMAType1EEvPKT_PKT0_S8_ifPKiSA_SA_iPKfiiiPfSD_PS3_PT2_iSC_SC_,comdat
.Lfunc_end978:
	.size	_Z39paged_attention_ll4mi_QKV_mfma16_kernelIDF16_hLN4vllm18Fp8KVCacheDataTypeE1EDF16_Li16ELi128ELi256ELb1ELi9EL8MFMAType1EEvPKT_PKT0_S8_ifPKiSA_SA_iPKfiiiPfSD_PS3_PT2_iSC_SC_, .Lfunc_end978-_Z39paged_attention_ll4mi_QKV_mfma16_kernelIDF16_hLN4vllm18Fp8KVCacheDataTypeE1EDF16_Li16ELi128ELi256ELb1ELi9EL8MFMAType1EEvPKT_PKT0_S8_ifPKiSA_SA_iPKfiiiPfSD_PS3_PT2_iSC_SC_
                                        ; -- End function
	.section	.AMDGPU.csdata,"",@progbits
; Kernel info:
; codeLenInByte = 6736
; NumSgprs: 38
; NumVgprs: 150
; ScratchSize: 0
; MemoryBound: 0
; FloatMode: 240
; IeeeMode: 1
; LDSByteSize: 17472 bytes/workgroup (compile time only)
; SGPRBlocks: 4
; VGPRBlocks: 18
; NumSGPRsForWavesPerEU: 38
; NumVGPRsForWavesPerEU: 150
; Occupancy: 9
; WaveLimiterHint : 1
; COMPUTE_PGM_RSRC2:SCRATCH_EN: 0
; COMPUTE_PGM_RSRC2:USER_SGPR: 13
; COMPUTE_PGM_RSRC2:TRAP_HANDLER: 0
; COMPUTE_PGM_RSRC2:TGID_X_EN: 1
; COMPUTE_PGM_RSRC2:TGID_Y_EN: 1
; COMPUTE_PGM_RSRC2:TGID_Z_EN: 1
; COMPUTE_PGM_RSRC2:TIDIG_COMP_CNT: 0
	.section	.text._Z39paged_attention_ll4mi_QKV_mfma16_kernelIDF16_hLN4vllm18Fp8KVCacheDataTypeE1EDF16_Li16ELi128ELi256ELb1ELi10EL8MFMAType1EEvPKT_PKT0_S8_ifPKiSA_SA_iPKfiiiPfSD_PS3_PT2_iSC_SC_,"axG",@progbits,_Z39paged_attention_ll4mi_QKV_mfma16_kernelIDF16_hLN4vllm18Fp8KVCacheDataTypeE1EDF16_Li16ELi128ELi256ELb1ELi10EL8MFMAType1EEvPKT_PKT0_S8_ifPKiSA_SA_iPKfiiiPfSD_PS3_PT2_iSC_SC_,comdat
	.protected	_Z39paged_attention_ll4mi_QKV_mfma16_kernelIDF16_hLN4vllm18Fp8KVCacheDataTypeE1EDF16_Li16ELi128ELi256ELb1ELi10EL8MFMAType1EEvPKT_PKT0_S8_ifPKiSA_SA_iPKfiiiPfSD_PS3_PT2_iSC_SC_ ; -- Begin function _Z39paged_attention_ll4mi_QKV_mfma16_kernelIDF16_hLN4vllm18Fp8KVCacheDataTypeE1EDF16_Li16ELi128ELi256ELb1ELi10EL8MFMAType1EEvPKT_PKT0_S8_ifPKiSA_SA_iPKfiiiPfSD_PS3_PT2_iSC_SC_
	.globl	_Z39paged_attention_ll4mi_QKV_mfma16_kernelIDF16_hLN4vllm18Fp8KVCacheDataTypeE1EDF16_Li16ELi128ELi256ELb1ELi10EL8MFMAType1EEvPKT_PKT0_S8_ifPKiSA_SA_iPKfiiiPfSD_PS3_PT2_iSC_SC_
	.p2align	8
	.type	_Z39paged_attention_ll4mi_QKV_mfma16_kernelIDF16_hLN4vllm18Fp8KVCacheDataTypeE1EDF16_Li16ELi128ELi256ELb1ELi10EL8MFMAType1EEvPKT_PKT0_S8_ifPKiSA_SA_iPKfiiiPfSD_PS3_PT2_iSC_SC_,@function
_Z39paged_attention_ll4mi_QKV_mfma16_kernelIDF16_hLN4vllm18Fp8KVCacheDataTypeE1EDF16_Li16ELi128ELi256ELb1ELi10EL8MFMAType1EEvPKT_PKT0_S8_ifPKiSA_SA_iPKfiiiPfSD_PS3_PT2_iSC_SC_: ; @_Z39paged_attention_ll4mi_QKV_mfma16_kernelIDF16_hLN4vllm18Fp8KVCacheDataTypeE1EDF16_Li16ELi128ELi256ELb1ELi10EL8MFMAType1EEvPKT_PKT0_S8_ifPKiSA_SA_iPKfiiiPfSD_PS3_PT2_iSC_SC_
; %bb.0:
	s_load_b64 s[4:5], s[0:1], 0x30
	s_mov_b32 s30, s13
	s_waitcnt lgkmcnt(0)
	s_cmp_lg_u64 s[4:5], 0
	s_cselect_b32 s8, -1, 0
	s_ashr_i32 s31, s13, 31
	s_cmp_eq_u64 s[4:5], 0
	s_cbranch_scc1 .LBB979_3
; %bb.1:
	s_lshl_b64 s[2:3], s[30:31], 2
	s_delay_alu instid0(SALU_CYCLE_1) | instskip(SKIP_4) | instid1(SALU_CYCLE_1)
	s_add_u32 s2, s4, s2
	s_addc_u32 s3, s5, s3
	s_load_b64 s[2:3], s[2:3], 0x0
	s_waitcnt lgkmcnt(0)
	s_sub_i32 s2, s3, s2
	s_cmp_eq_u32 s2, 1
	s_cselect_b32 s2, -1, 0
	s_delay_alu instid0(SALU_CYCLE_1)
	s_and_not1_b32 vcc_lo, exec_lo, s2
	s_cbranch_vccz .LBB979_4
.LBB979_2:
	s_endpgm
.LBB979_3:
.LBB979_4:
	s_load_b64 s[2:3], s[0:1], 0x28
	s_lshl_b64 s[6:7], s[30:31], 2
	s_waitcnt lgkmcnt(0)
	s_add_u32 s2, s2, s6
	s_addc_u32 s3, s3, s7
	s_lshl_b32 s12, s14, 8
	s_load_b32 s24, s[2:3], 0x0
	s_waitcnt lgkmcnt(0)
	s_cmp_ge_i32 s12, s24
	s_cbranch_scc1 .LBB979_2
; %bb.5:
	s_clause 0x1
	s_load_b128 s[20:23], s[0:1], 0x8
	s_load_b64 s[2:3], s[0:1], 0x20
	s_and_not1_b32 vcc_lo, exec_lo, s8
	s_cbranch_vccnz .LBB979_7
; %bb.6:
	s_add_u32 s4, s4, s6
	s_addc_u32 s5, s5, s7
	s_load_b32 s5, s[4:5], 0x0
	s_branch .LBB979_8
.LBB979_7:
	s_mov_b32 s5, s30
.LBB979_8:
	s_load_b128 s[16:19], s[0:1], 0x48
	v_and_b32_e32 v68, 15, v0
	v_lshrrev_b32_e32 v69, 5, v0
	v_and_b32_e32 v70, 31, v0
	v_and_b32_e32 v67, 1, v0
	v_bfe_u32 v66, v0, 4, 1
	v_lshlrev_b32_e32 v1, 3, v68
	s_mul_i32 s31, s15, 10
	s_mov_b32 s4, exec_lo
	s_delay_alu instid0(VALU_DEP_1)
	v_lshlrev_b32_e32 v65, 1, v1
	v_cmpx_gt_u32_e32 0xa0, v0
	s_cbranch_execz .LBB979_10
; %bb.9:
	s_load_b64 s[6:7], s[0:1], 0x0
	v_lshl_or_b32 v5, v69, 1, v66
	s_waitcnt lgkmcnt(0)
	s_mul_hi_i32 s9, s5, s16
	s_mul_i32 s8, s5, s16
	v_lshlrev_b32_e32 v6, 10, v68
	s_lshl_b64 s[8:9], s[8:9], 1
	v_add_lshl_u32 v1, v5, s31, 7
	v_lshlrev_b32_e32 v5, 6, v5
	v_lshlrev_b32_e32 v7, 10, v67
	v_and_b32_e32 v6, 0x3800, v6
	s_delay_alu instid0(VALU_DEP_4) | instskip(NEXT) | instid1(VALU_DEP_2)
	v_ashrrev_i32_e32 v2, 31, v1
	v_or3_b32 v5, v6, v7, v5
	s_delay_alu instid0(VALU_DEP_2) | instskip(SKIP_2) | instid1(VALU_DEP_1)
	v_lshlrev_b64 v[1:2], 1, v[1:2]
	s_add_u32 s5, s6, s8
	s_addc_u32 s6, s7, s9
	v_add_co_u32 v1, vcc_lo, s5, v1
	s_delay_alu instid0(VALU_DEP_2) | instskip(NEXT) | instid1(VALU_DEP_2)
	v_add_co_ci_u32_e32 v2, vcc_lo, s6, v2, vcc_lo
	v_add_co_u32 v1, vcc_lo, v1, v65
	s_delay_alu instid0(VALU_DEP_2)
	v_add_co_ci_u32_e32 v2, vcc_lo, 0, v2, vcc_lo
	global_load_b128 v[1:4], v[1:2], off
	s_waitcnt vmcnt(0)
	ds_store_b128 v5, v[1:4]
.LBB979_10:
	s_or_b32 exec_lo, exec_lo, s4
	v_and_b32_e32 v1, 0xef, v0
	s_waitcnt lgkmcnt(0)
	s_add_i32 s5, s24, 15
	s_clause 0x1
	s_load_b32 s4, s[0:1], 0x38
	s_load_b32 s33, s[0:1], 0x98
	s_ashr_i32 s6, s5, 31
	v_add_nc_u32_e32 v1, s12, v1
	s_lshr_b32 s6, s6, 28
	s_load_b32 s19, s[0:1], 0x1c
	s_add_i32 s5, s5, s6
	s_waitcnt lgkmcnt(0)
	v_ashrrev_i32_e32 v2, 31, v1
	v_or_b32_e32 v3, 16, v1
	s_ashr_i32 s13, s5, 4
	v_cmp_gt_i32_e32 vcc_lo, s24, v1
	s_add_i32 s13, s13, -1
	v_lshrrev_b32_e32 v2, 28, v2
	s_barrier
	buffer_gl0_inv
	s_mul_i32 s15, s15, s18
	v_add_nc_u32_e32 v4, v1, v2
	s_mul_i32 s4, s30, s4
	s_delay_alu instid0(SALU_CYCLE_1) | instskip(NEXT) | instid1(VALU_DEP_1)
	s_ashr_i32 s5, s4, 31
	v_ashrrev_i32_e32 v4, 4, v4
	v_add_nc_u32_e32 v2, v3, v2
	s_lshl_b64 s[4:5], s[4:5], 2
	s_delay_alu instid0(SALU_CYCLE_1) | instskip(NEXT) | instid1(VALU_DEP_2)
	s_add_u32 s16, s2, s4
	v_cndmask_b32_e32 v1, s13, v4, vcc_lo
	s_delay_alu instid0(VALU_DEP_2)
	v_ashrrev_i32_e32 v2, 4, v2
	v_cmp_gt_i32_e32 vcc_lo, s24, v3
	s_addc_u32 s25, s3, s5
	s_ashr_i32 s18, s15, 31
	s_add_u32 s26, s20, s15
	s_addc_u32 s27, s21, s18
	v_cndmask_b32_e32 v3, s13, v2, vcc_lo
	v_ashrrev_i32_e32 v2, 31, v1
	s_lshl_b32 s2, s14, 4
	s_delay_alu instid0(SALU_CYCLE_1) | instskip(NEXT) | instid1(VALU_DEP_2)
	s_ashr_i32 s3, s2, 31
	v_ashrrev_i32_e32 v4, 31, v3
	s_delay_alu instid0(VALU_DEP_2) | instskip(SKIP_1) | instid1(SALU_CYCLE_1)
	v_lshlrev_b64 v[1:2], 2, v[1:2]
	s_lshl_b64 s[2:3], s[2:3], 2
	s_add_u32 s2, s16, s2
	s_delay_alu instid0(VALU_DEP_2) | instskip(SKIP_1) | instid1(VALU_DEP_2)
	v_lshlrev_b64 v[3:4], 2, v[3:4]
	s_addc_u32 s3, s25, s3
	v_add_co_u32 v1, vcc_lo, s16, v1
	v_add_co_ci_u32_e32 v2, vcc_lo, s25, v2, vcc_lo
	s_delay_alu instid0(VALU_DEP_3) | instskip(NEXT) | instid1(VALU_DEP_4)
	v_add_co_u32 v3, vcc_lo, s16, v3
	v_add_co_ci_u32_e32 v4, vcc_lo, s25, v4, vcc_lo
	s_clause 0x1
	global_load_b32 v5, v[1:2], off
	global_load_b32 v7, v[3:4], off
	s_or_b32 s4, s12, 32
	v_lshlrev_b32_e32 v1, 4, v0
	s_ashr_i32 s5, s4, 4
	s_cmp_lt_i32 s4, s24
	v_cmp_gt_u32_e32 vcc_lo, 10, v68
	s_cselect_b32 s4, s5, s13
	v_and_b32_e32 v1, 0xf0, v1
	s_ashr_i32 s5, s4, 31
	s_delay_alu instid0(SALU_CYCLE_1) | instskip(NEXT) | instid1(SALU_CYCLE_1)
	s_lshl_b64 s[4:5], s[4:5], 2
	s_add_u32 s4, s16, s4
	s_addc_u32 s5, s25, s5
	s_or_b32 s6, s12, 64
	v_add_co_u32 v1, s26, s26, v1
	s_ashr_i32 s7, s6, 4
	s_cmp_lt_i32 s6, s24
	v_add_co_ci_u32_e64 v2, null, s27, 0, s26
	s_cselect_b32 s6, s7, s13
	s_delay_alu instid0(SALU_CYCLE_1) | instskip(NEXT) | instid1(SALU_CYCLE_1)
	s_ashr_i32 s7, s6, 31
	s_lshl_b64 s[6:7], s[6:7], 2
	s_delay_alu instid0(SALU_CYCLE_1) | instskip(SKIP_2) | instid1(SALU_CYCLE_1)
	s_add_u32 s6, s16, s6
	s_addc_u32 s7, s25, s7
	s_or_b32 s8, s12, 0x60
	s_ashr_i32 s9, s8, 4
	s_cmp_lt_i32 s8, s24
	s_cselect_b32 s8, s9, s13
	s_delay_alu instid0(SALU_CYCLE_1) | instskip(NEXT) | instid1(SALU_CYCLE_1)
	s_ashr_i32 s9, s8, 31
	s_lshl_b64 s[8:9], s[8:9], 2
	s_delay_alu instid0(SALU_CYCLE_1) | instskip(SKIP_2) | instid1(SALU_CYCLE_1)
	s_add_u32 s8, s16, s8
	s_addc_u32 s9, s25, s9
	s_or_b32 s10, s12, 0x80
	s_ashr_i32 s11, s10, 4
	s_cmp_lt_i32 s10, s24
	;; [unrolled: 10-line block ×3, first 2 shown]
	s_cselect_b32 s20, s21, s13
	s_delay_alu instid0(SALU_CYCLE_1) | instskip(NEXT) | instid1(SALU_CYCLE_1)
	s_ashr_i32 s21, s20, 31
	s_lshl_b64 s[20:21], s[20:21], 2
	s_delay_alu instid0(SALU_CYCLE_1)
	s_add_u32 s20, s16, s20
	s_addc_u32 s21, s25, s21
	s_clause 0x5
	s_load_b32 s26, s[2:3], 0x0
	s_load_b32 s27, s[4:5], 0x0
	;; [unrolled: 1-line block ×6, first 2 shown]
	s_or_b32 s2, s12, 0xc0
	s_mov_b32 s4, 0
	s_ashr_i32 s3, s2, 4
	s_cmp_lt_i32 s2, s24
	s_mov_b32 s11, s4
	s_cselect_b32 s2, s3, s13
	s_mov_b32 s5, s4
	s_ashr_i32 s3, s2, 31
	s_mov_b32 s6, s4
	s_lshl_b64 s[2:3], s[2:3], 2
	s_mov_b32 s7, s4
	s_add_u32 s2, s16, s2
	s_addc_u32 s3, s25, s3
	s_or_b32 s20, s12, 0xe0
	s_mov_b32 s8, s4
	s_ashr_i32 s21, s20, 4
	s_cmp_lt_i32 s20, s24
	s_mov_b32 s9, s4
	s_cselect_b32 s20, s21, s13
	s_mov_b32 s10, s4
	s_ashr_i32 s21, s20, 31
	v_mov_b32_e32 v118, s11
	v_dual_mov_b32 v112, s5 :: v_dual_mov_b32 v117, s10
	v_dual_mov_b32 v116, s9 :: v_dual_mov_b32 v115, s8
	;; [unrolled: 1-line block ×3, first 2 shown]
	v_mov_b32_e32 v111, s4
	s_lshl_b64 s[4:5], s[20:21], 2
	s_delay_alu instid0(SALU_CYCLE_1)
	s_add_u32 s4, s16, s4
	s_addc_u32 s5, s25, s5
	s_add_u32 s6, s22, s15
	s_addc_u32 s7, s23, s18
	s_waitcnt vmcnt(1)
	v_mad_i64_i32 v[3:4], null, v5, s17, v[1:2]
	s_waitcnt vmcnt(0)
	v_mad_i64_i32 v[5:6], null, v7, s17, v[1:2]
	v_add_nc_u32_e32 v1, -10, v68
	v_lshlrev_b32_e32 v2, 4, v68
	s_clause 0xf
	global_load_b128 v[17:20], v[3:4], off
	global_load_b128 v[21:24], v[3:4], off offset:256
	global_load_b128 v[25:28], v[5:6], off
	global_load_b128 v[29:32], v[5:6], off offset:256
	global_load_b128 v[57:60], v[3:4], off offset:512
	global_load_b128 v[61:64], v[3:4], off offset:768
	global_load_b128 v[71:74], v[5:6], off offset:512
	global_load_b128 v[75:78], v[5:6], off offset:768
	global_load_b128 v[79:82], v[3:4], off offset:1024
	global_load_b128 v[83:86], v[3:4], off offset:1280
	global_load_b128 v[87:90], v[5:6], off offset:1024
	global_load_b128 v[91:94], v[5:6], off offset:1280
	global_load_b128 v[95:98], v[3:4], off offset:1536
	global_load_b128 v[99:102], v[3:4], off offset:1792
	global_load_b128 v[103:106], v[5:6], off offset:1536
	global_load_b128 v[107:110], v[5:6], off offset:1792
	v_cndmask_b32_e32 v1, v1, v68, vcc_lo
	s_delay_alu instid0(VALU_DEP_1)
	v_lshlrev_b32_e32 v149, 6, v1
	v_lshl_or_b32 v1, v69, 8, v2
	ds_load_b128 v[119:122], v149
	ds_load_b128 v[123:126], v149 offset:1024
	ds_load_b128 v[127:130], v149 offset:2048
	;; [unrolled: 1-line block ×3, first 2 shown]
	s_clause 0x1
	s_load_b32 s2, s[2:3], 0x0
	s_load_b32 s3, s[4:5], 0x0
	v_add_co_u32 v135, s6, s6, v1
	s_delay_alu instid0(VALU_DEP_1) | instskip(SKIP_1) | instid1(VALU_DEP_1)
	v_add_co_ci_u32_e64 v136, null, s7, 0, s6
	s_waitcnt lgkmcnt(0)
	v_mad_i64_i32 v[1:2], null, s26, s17, v[135:136]
	v_mad_i64_i32 v[3:4], null, s27, s17, v[135:136]
	;; [unrolled: 1-line block ×6, first 2 shown]
	s_clause 0x9
	global_load_b128 v[49:52], v[1:2], off
	global_load_b128 v[53:56], v[1:2], off offset:16
	global_load_b128 v[41:44], v[3:4], off
	global_load_b128 v[45:48], v[3:4], off offset:16
	;; [unrolled: 2-line block ×5, first 2 shown]
	v_mad_i64_i32 v[145:146], null, s2, s17, v[135:136]
	v_mad_i64_i32 v[147:148], null, s3, s17, v[135:136]
	s_waitcnt vmcnt(24)
	v_wmma_f32_16x16x16_f16 v[135:142], v[17:24], v[119:126], v[111:118]
	s_waitcnt vmcnt(22)
	v_wmma_f32_16x16x16_f16 v[111:118], v[25:32], v[119:126], v[111:118]
	s_clause 0x3
	global_load_b128 v[17:20], v[143:144], off
	global_load_b128 v[21:24], v[143:144], off offset:16
	global_load_b128 v[25:28], v[145:146], off
	global_load_b128 v[29:32], v[145:146], off offset:16
	v_and_b32_e32 v119, 0xe0, v0
	s_waitcnt vmcnt(24)
	v_wmma_f32_16x16x16_f16 v[135:142], v[57:64], v[127:134], v[135:142]
	s_clause 0x1
	global_load_b128 v[57:60], v[147:148], off
	global_load_b128 v[61:64], v[147:148], off offset:16
	s_waitcnt vmcnt(24)
	v_wmma_f32_16x16x16_f16 v[111:118], v[71:78], v[127:134], v[111:118]
	ds_load_b128 v[71:74], v149 offset:4096
	ds_load_b128 v[75:78], v149 offset:5120
	v_add_nc_u32_e32 v128, s12, v119
	ds_load_b128 v[119:122], v149 offset:6144
	ds_load_b128 v[123:126], v149 offset:7168
	v_mbcnt_lo_u32_b32 v127, -1, 0
	s_waitcnt vmcnt(0) lgkmcnt(0)
	s_barrier
	v_or_b32_e32 v128, v128, v66
	buffer_gl0_inv
	v_xor_b32_e32 v129, 16, v127
	v_or_b32_e32 v130, 4, v128
	v_or_b32_e32 v131, 6, v128
	s_delay_alu instid0(VALU_DEP_3) | instskip(SKIP_4) | instid1(VALU_DEP_4)
	v_cmp_gt_i32_e32 vcc_lo, 32, v129
	v_or_b32_e32 v132, 8, v128
	v_or_b32_e32 v133, 10, v128
	v_cmp_gt_i32_e64 s3, s24, v130
	v_cmp_gt_i32_e64 s4, s24, v131
	;; [unrolled: 1-line block ×3, first 2 shown]
	v_wmma_f32_16x16x16_f16 v[135:142], v[79:86], v[71:78], v[135:142]
	v_wmma_f32_16x16x16_f16 v[111:118], v[87:94], v[71:78], v[111:118]
	v_or_b32_e32 v79, 12, v128
	v_or_b32_e32 v80, 14, v128
	v_cmp_gt_i32_e64 s6, s24, v133
	v_wmma_f32_16x16x16_f16 v[135:142], v[95:102], v[119:126], v[135:142]
	v_wmma_f32_16x16x16_f16 v[111:118], v[103:110], v[119:126], v[111:118]
	v_cndmask_b32_e32 v127, v127, v129, vcc_lo
	v_or_b32_e32 v129, 2, v128
	v_cmp_gt_i32_e32 vcc_lo, s24, v128
	v_mul_f32_e32 v88, s19, v135
	v_dual_mul_f32 v92, s19, v115 :: v_dual_mul_f32 v87, s19, v136
	s_delay_alu instid0(VALU_DEP_4)
	v_cmp_gt_i32_e64 s2, s24, v129
	v_mul_f32_e32 v78, s19, v138
	v_mul_f32_e32 v86, s19, v137
	v_cndmask_b32_e32 v88, 0xff7fffff, v88, vcc_lo
	v_mul_f32_e32 v76, s19, v140
	v_cndmask_b32_e64 v87, 0xff7fffff, v87, s2
	v_dual_mul_f32 v77, s19, v139 :: v_dual_mul_f32 v94, s19, v113
	v_cndmask_b32_e64 v86, 0xff7fffff, v86, s3
	v_cndmask_b32_e64 v78, 0xff7fffff, v78, s4
	s_delay_alu instid0(VALU_DEP_4)
	v_max3_f32 v87, v88, 0xff7fffff, v87
	v_or_b32_e32 v81, 16, v128
	v_or_b32_e32 v82, 18, v128
	v_dual_mul_f32 v74, s19, v142 :: v_dual_mul_f32 v75, s19, v141
	v_mul_f32_e32 v96, s19, v111
	v_cndmask_b32_e64 v77, 0xff7fffff, v77, s5
	v_cndmask_b32_e64 v76, 0xff7fffff, v76, s6
	v_max3_f32 v78, v87, v86, v78
	v_cmp_gt_i32_e64 s7, s24, v79
	v_cmp_gt_i32_e64 s8, s24, v80
	v_or_b32_e32 v83, 20, v128
	v_or_b32_e32 v84, 22, v128
	v_mul_f32_e32 v95, s19, v112
	v_cndmask_b32_e64 v75, 0xff7fffff, v75, s7
	v_cndmask_b32_e64 v74, 0xff7fffff, v74, s8
	v_max3_f32 v76, v78, v77, v76
	v_cmp_gt_i32_e64 s9, s24, v81
	v_cmp_gt_i32_e64 s10, s24, v82
	v_or_b32_e32 v85, 24, v128
	v_or_b32_e32 v71, 26, v128
	;; [unrolled: 8-line block ×3, first 2 shown]
	v_mul_f32_e32 v91, s19, v116
	v_cndmask_b32_e64 v75, 0xff7fffff, v94, s11
	v_cndmask_b32_e64 v76, 0xff7fffff, v93, s12
	v_max3_f32 v74, v74, v77, v78
	v_cmp_gt_i32_e64 s13, s24, v85
	v_cmp_gt_i32_e64 s15, s24, v71
	v_dual_mul_f32 v89, s19, v118 :: v_dual_mul_f32 v90, s19, v117
	s_delay_alu instid0(VALU_DEP_4) | instskip(NEXT) | instid1(VALU_DEP_4)
	v_max3_f32 v74, v74, v75, v76
	v_cndmask_b32_e64 v77, 0xff7fffff, v92, s13
	s_delay_alu instid0(VALU_DEP_4) | instskip(SKIP_2) | instid1(VALU_DEP_3)
	v_cndmask_b32_e64 v71, 0xff7fffff, v91, s15
	v_cmp_gt_i32_e64 s16, s24, v72
	v_cmp_gt_i32_e64 s17, s24, v73
	v_max3_f32 v71, v74, v77, v71
	s_delay_alu instid0(VALU_DEP_3) | instskip(NEXT) | instid1(VALU_DEP_3)
	v_cndmask_b32_e64 v72, 0xff7fffff, v90, s16
	v_cndmask_b32_e64 v73, 0xff7fffff, v89, s17
	v_lshlrev_b32_e32 v74, 2, v127
	s_delay_alu instid0(VALU_DEP_2) | instskip(SKIP_3) | instid1(VALU_DEP_1)
	v_max3_f32 v71, v71, v72, v73
	ds_bpermute_b32 v72, v74, v71
	s_waitcnt lgkmcnt(0)
	v_max_f32_e32 v72, v72, v72
	v_max_f32_e32 v71, v71, v72
	s_delay_alu instid0(VALU_DEP_1) | instskip(SKIP_4) | instid1(VALU_DEP_4)
	v_fma_f32 v72, s19, v135, -v71
	v_fma_f32 v73, s19, v136, -v71
	;; [unrolled: 1-line block ×5, first 2 shown]
	v_dual_mul_f32 v72, 0x3fb8aa3b, v72 :: v_dual_mul_f32 v73, 0x3fb8aa3b, v73
	v_fma_f32 v80, s19, v141, -v71
	s_delay_alu instid0(VALU_DEP_3) | instskip(NEXT) | instid1(VALU_DEP_3)
	v_dual_mul_f32 v76, 0x3fb8aa3b, v76 :: v_dual_mul_f32 v77, 0x3fb8aa3b, v77
	v_exp_f32_e32 v72, v72
	s_delay_alu instid0(VALU_DEP_3) | instskip(NEXT) | instid1(VALU_DEP_2)
	v_exp_f32_e32 v73, v73
	v_mul_f32_e32 v82, 0x3fb8aa3b, v80
	s_delay_alu instid0(VALU_DEP_2) | instskip(SKIP_1) | instid1(VALU_DEP_1)
	v_exp_f32_e32 v76, v76
	v_exp_f32_e32 v77, v77
	;; [unrolled: 1-line block ×3, first 2 shown]
	v_cndmask_b32_e32 v79, 0, v72, vcc_lo
	v_fma_f32 v72, s19, v140, -v71
	v_mul_f32_e32 v75, 0x3fb8aa3b, v75
	v_cndmask_b32_e64 v78, 0, v73, s2
	s_delay_alu instid0(TRANS32_DEP_3) | instskip(NEXT) | instid1(VALU_DEP_4)
	v_cndmask_b32_e64 v80, 0, v76, s4
	v_dual_add_f32 v73, 0, v79 :: v_dual_mul_f32 v72, 0x3fb8aa3b, v72
	s_delay_alu instid0(VALU_DEP_4) | instskip(NEXT) | instid1(TRANS32_DEP_3)
	v_exp_f32_e32 v75, v75
	v_cndmask_b32_e64 v83, 0, v77, s5
	s_delay_alu instid0(TRANS32_DEP_2) | instskip(NEXT) | instid1(VALU_DEP_3)
	v_cndmask_b32_e64 v85, 0, v84, s7
	v_add_f32_e32 v73, v73, v78
	v_exp_f32_e32 v72, v72
	s_mov_b32 s2, exec_lo
	s_waitcnt_depctr 0xfff
	v_cndmask_b32_e64 v81, 0, v75, s3
	v_cndmask_b32_e64 v82, 0, v72, s6
	s_delay_alu instid0(VALU_DEP_2) | instskip(NEXT) | instid1(VALU_DEP_1)
	v_add_f32_e32 v73, v73, v81
	v_add_f32_e32 v73, v73, v80
	s_delay_alu instid0(VALU_DEP_1) | instskip(NEXT) | instid1(VALU_DEP_1)
	v_add_f32_e32 v72, v73, v83
	v_add_f32_e32 v72, v72, v82
	s_delay_alu instid0(VALU_DEP_1)
	v_add_f32_e32 v72, v72, v85
	v_fma_f32 v76, s19, v111, -v71
	v_fma_f32 v75, s19, v142, -v71
	;; [unrolled: 1-line block ×5, first 2 shown]
	v_mul_f32_e32 v76, 0x3fb8aa3b, v76
	s_delay_alu instid0(VALU_DEP_4) | instskip(NEXT) | instid1(VALU_DEP_2)
	v_mul_f32_e32 v86, 0x3fb8aa3b, v86
	v_exp_f32_e32 v76, v76
	s_delay_alu instid0(VALU_DEP_1)
	v_exp_f32_e32 v88, v86
	s_waitcnt_depctr 0xfff
	v_cndmask_b32_e64 v87, 0, v76, s9
	v_fma_f32 v76, s19, v116, -v71
	v_mul_f32_e32 v75, 0x3fb8aa3b, v75
	v_cndmask_b32_e64 v88, 0, v88, s12
	s_delay_alu instid0(VALU_DEP_3) | instskip(NEXT) | instid1(VALU_DEP_3)
	v_dual_mul_f32 v73, 0x3fb8aa3b, v73 :: v_dual_mul_f32 v76, 0x3fb8aa3b, v76
	v_exp_f32_e32 v75, v75
	s_delay_alu instid0(VALU_DEP_1) | instskip(NEXT) | instid1(VALU_DEP_1)
	v_exp_f32_e32 v73, v73
	v_exp_f32_e32 v76, v76
	s_delay_alu instid0(TRANS32_DEP_3)
	v_cndmask_b32_e64 v84, 0, v75, s8
	v_fma_f32 v75, s19, v115, -v71
	s_waitcnt_depctr 0xfff
	v_cndmask_b32_e64 v89, 0, v73, s11
	v_cndmask_b32_e64 v90, 0, v76, s15
	v_add_f32_e32 v72, v72, v84
	s_delay_alu instid0(VALU_DEP_1) | instskip(NEXT) | instid1(VALU_DEP_1)
	v_dual_add_f32 v72, v72, v87 :: v_dual_mul_f32 v77, 0x3fb8aa3b, v77
	v_exp_f32_e32 v77, v77
	s_waitcnt_depctr 0xfff
	v_cndmask_b32_e64 v86, 0, v77, s10
	v_fma_f32 v77, s19, v117, -v71
	s_delay_alu instid0(VALU_DEP_2) | instskip(NEXT) | instid1(VALU_DEP_1)
	v_dual_add_f32 v72, v72, v86 :: v_dual_mul_f32 v75, 0x3fb8aa3b, v75
	v_add_f32_e32 v72, v72, v89
	s_delay_alu instid0(VALU_DEP_2) | instskip(NEXT) | instid1(VALU_DEP_1)
	v_exp_f32_e32 v75, v75
	v_add_f32_e32 v72, v72, v88
	s_waitcnt_depctr 0xfff
	v_cndmask_b32_e64 v91, 0, v75, s13
	v_mul_f32_e32 v73, 0x3fb8aa3b, v77
	v_fma_f32 v77, s19, v118, -v71
	s_delay_alu instid0(VALU_DEP_3) | instskip(NEXT) | instid1(VALU_DEP_3)
	v_add_f32_e32 v72, v72, v91
	v_exp_f32_e32 v73, v73
	s_delay_alu instid0(VALU_DEP_1) | instskip(NEXT) | instid1(VALU_DEP_1)
	v_dual_mul_f32 v75, 0x3fb8aa3b, v77 :: v_dual_add_f32 v72, v72, v90
	v_exp_f32_e32 v75, v75
	s_waitcnt_depctr 0xfff
	v_cndmask_b32_e64 v93, 0, v73, s16
	s_delay_alu instid0(VALU_DEP_1) | instskip(SKIP_1) | instid1(VALU_DEP_1)
	v_add_f32_e32 v72, v72, v93
	v_cndmask_b32_e64 v92, 0, v75, s17
	v_add_f32_e32 v72, v72, v92
	ds_bpermute_b32 v73, v74, v72
	v_cmpx_gt_u32_e32 16, v70
	s_cbranch_execz .LBB979_12
; %bb.11:
	v_mul_u32_u24_e32 v70, 0x44, v69
	s_waitcnt lgkmcnt(0)
	v_add_f32_e32 v72, v72, v73
	s_delay_alu instid0(VALU_DEP_2) | instskip(NEXT) | instid1(VALU_DEP_1)
	v_lshl_add_u32 v70, v68, 2, v70
	v_add_nc_u32_e32 v70, 0x4000, v70
	ds_store_2addr_b32 v70, v71, v72 offset1:136
.LBB979_12:
	s_or_b32 exec_lo, exec_lo, s2
	v_lshlrev_b32_e32 v70, 2, v68
	s_load_b32 s34, s[0:1], 0x94
	s_waitcnt lgkmcnt(0)
	s_barrier
	buffer_gl0_inv
	v_add_nc_u32_e32 v98, 0x4000, v70
	v_cmp_eq_u32_e32 vcc_lo, 1, v69
	v_cmp_eq_u32_e64 s2, 2, v69
	v_cmp_eq_u32_e64 s3, 3, v69
	;; [unrolled: 1-line block ×3, first 2 shown]
	ds_load_2addr_b32 v[70:71], v98 offset1:17
	ds_load_2addr_b32 v[72:73], v98 offset0:34 offset1:51
	ds_load_2addr_b32 v[74:75], v98 offset0:68 offset1:85
	;; [unrolled: 1-line block ×3, first 2 shown]
	v_cmp_eq_u32_e64 s5, 5, v69
	v_cmp_eq_u32_e64 s6, 7, v69
	s_waitcnt lgkmcnt(3)
	v_max3_f32 v76, v70, 0xff7fffff, v71
	s_waitcnt lgkmcnt(2)
	s_delay_alu instid0(VALU_DEP_1) | instskip(SKIP_1) | instid1(VALU_DEP_1)
	v_max3_f32 v76, v76, v72, v73
	s_waitcnt lgkmcnt(1)
	v_max3_f32 v76, v76, v74, v75
	s_waitcnt lgkmcnt(0)
	s_delay_alu instid0(VALU_DEP_1) | instskip(NEXT) | instid1(VALU_DEP_1)
	v_max3_f32 v76, v76, v94, v95
	v_sub_f32_e32 v77, v71, v76
	ds_load_2addr_b32 v[96:97], v98 offset0:136 offset1:153
	v_sub_f32_e32 v74, v74, v76
	v_sub_f32_e32 v70, v70, v76
	v_sub_f32_e32 v94, v94, v76
	v_dual_sub_f32 v72, v72, v76 :: v_dual_mul_f32 v77, 0x3fb8aa3b, v77
	s_delay_alu instid0(VALU_DEP_4) | instskip(NEXT) | instid1(VALU_DEP_4)
	v_mul_f32_e32 v103, 0x3fb8aa3b, v74
	v_mul_f32_e32 v99, 0x3fb8aa3b, v70
	ds_load_2addr_b32 v[70:71], v98 offset0:170 offset1:187
	v_dual_mul_f32 v101, 0x3fb8aa3b, v72 :: v_dual_mul_f32 v94, 0x3fb8aa3b, v94
	v_exp_f32_e32 v102, v77
	v_exp_f32_e32 v99, v99
	s_delay_alu instid0(VALU_DEP_1) | instskip(NEXT) | instid1(VALU_DEP_1)
	v_exp_f32_e32 v101, v101
	v_exp_f32_e32 v94, v94
	s_waitcnt lgkmcnt(1)
	s_delay_alu instid0(TRANS32_DEP_3)
	v_fma_f32 v77, v99, v96, 0
	v_sub_f32_e32 v100, v73, v76
	ds_load_2addr_b32 v[72:73], v98 offset0:204 offset1:221
	v_fmac_f32_e32 v77, v102, v97
	v_exp_f32_e32 v97, v103
	s_waitcnt lgkmcnt(1)
	s_delay_alu instid0(VALU_DEP_1)
	v_dual_fmac_f32 v77, v101, v70 :: v_dual_sub_f32 v96, v75, v76
	ds_load_2addr_b32 v[74:75], v98 offset0:238 offset1:255
	v_sub_f32_e32 v70, v95, v76
	s_waitcnt lgkmcnt(0)
	s_barrier
	v_mul_f32_e32 v96, 0x3fb8aa3b, v96
	buffer_gl0_inv
	v_exp_f32_e32 v95, v96
	v_mul_f32_e32 v100, 0x3fb8aa3b, v100
	s_delay_alu instid0(VALU_DEP_1) | instskip(SKIP_3) | instid1(VALU_DEP_2)
	v_exp_f32_e32 v100, v100
	s_waitcnt_depctr 0xfff
	v_dual_fmac_f32 v77, v100, v71 :: v_dual_mul_f32 v70, 0x3fb8aa3b, v70
	v_cndmask_b32_e32 v71, v99, v102, vcc_lo
	v_fmac_f32_e32 v77, v97, v72
	s_delay_alu instid0(VALU_DEP_3) | instskip(NEXT) | instid1(VALU_DEP_1)
	v_exp_f32_e32 v96, v70
	v_fmac_f32_e32 v77, v95, v73
	s_delay_alu instid0(VALU_DEP_1) | instskip(SKIP_2) | instid1(VALU_DEP_1)
	v_fmac_f32_e32 v77, v94, v74
	s_waitcnt_depctr 0xfff
	v_fmac_f32_e32 v77, v96, v75
	v_add_f32_e32 v74, 0x358637bd, v77
	s_delay_alu instid0(VALU_DEP_1) | instskip(SKIP_1) | instid1(VALU_DEP_2)
	v_div_scale_f32 v98, null, v74, v74, 1.0
	v_div_scale_f32 v99, vcc_lo, 1.0, v74, 1.0
	v_rcp_f32_e32 v103, v98
	s_waitcnt_depctr 0xfff
	v_fma_f32 v70, -v98, v103, 1.0
	s_delay_alu instid0(VALU_DEP_1) | instskip(SKIP_2) | instid1(VALU_DEP_2)
	v_fmac_f32_e32 v103, v70, v103
	v_cndmask_b32_e64 v70, v71, v101, s2
	v_cmp_eq_u32_e64 s2, 6, v69
	v_cndmask_b32_e64 v71, v70, v100, s3
	s_delay_alu instid0(VALU_DEP_4) | instskip(NEXT) | instid1(VALU_DEP_2)
	v_dual_mul_f32 v101, v99, v103 :: v_dual_lshlrev_b32 v70, 2, v66
	v_cndmask_b32_e64 v71, v71, v97, s4
	s_delay_alu instid0(VALU_DEP_2) | instskip(NEXT) | instid1(VALU_DEP_3)
	v_or_b32_e32 v72, 1, v70
	v_fma_f32 v100, -v98, v101, v99
	v_cmp_eq_u32_e64 s3, 1, v70
	v_cmp_eq_u32_e64 s4, 2, v70
	v_cndmask_b32_e64 v95, v71, v95, s5
	v_or_b32_e32 v71, 3, v70
	v_fmac_f32_e32 v101, v100, v103
	v_cmp_eq_u32_e64 s8, 1, v72
	v_cmp_eq_u32_e64 s11, 2, v72
	v_cndmask_b32_e64 v94, v95, v94, s2
	v_cmp_eq_u32_e64 s10, 1, v71
	v_fma_f32 v97, -v98, v101, v99
	v_cmp_eq_u32_e64 s15, 2, v71
	v_cmp_eq_u32_e64 s12, 3, v72
	v_cndmask_b32_e64 v94, v94, v96, s6
	v_cmp_eq_u32_e64 s17, 3, v71
	v_div_fmas_f32 v95, v97, v103, v101
	v_cmp_eq_u32_e32 vcc_lo, 3, v70
	v_cmp_eq_u32_e64 s2, 4, v70
	v_cmp_eq_u32_e64 s18, 4, v72
	;; [unrolled: 1-line block ×3, first 2 shown]
	v_div_fixup_f32 v95, v95, v74, 1.0
	v_lshlrev_b32_e32 v73, 6, v68
	v_cmp_eq_u32_e64 s5, 5, v70
	v_cmp_eq_u32_e64 s19, 5, v72
	;; [unrolled: 1-line block ×3, first 2 shown]
	v_mul_f32_e32 v102, v94, v95
	v_lshl_or_b32 v75, v69, 11, v73
	v_or_b32_e32 v69, 2, v70
	v_cmp_eq_u32_e64 s24, 6, v72
	v_cmp_eq_u32_e64 s26, 6, v71
	v_fma_mixlo_f16 v94, v102, v79, 0
	v_fma_mixlo_f16 v95, v102, v81, 0
	;; [unrolled: 1-line block ×8, first 2 shown]
	v_lshl_or_b32 v74, v66, 4, v75
	v_fma_mixhi_f16 v94, v102, v78, 0
	v_fma_mixhi_f16 v95, v102, v80, 0
	;; [unrolled: 1-line block ×8, first 2 shown]
	ds_store_b128 v74, v[94:97]
	ds_store_b128 v74, v[98:101] offset:1024
	s_waitcnt lgkmcnt(0)
	s_barrier
	buffer_gl0_inv
	ds_load_b128 v[78:81], v75
	ds_load_b128 v[82:85], v75 offset:16
	ds_load_b128 v[86:89], v75 offset:1024
	;; [unrolled: 1-line block ×3, first 2 shown]
	v_cmp_eq_u32_e64 s9, 1, v69
	v_cmp_eq_u32_e64 s13, 2, v69
	;; [unrolled: 1-line block ×11, first 2 shown]
	s_waitcnt lgkmcnt(3)
	v_lshrrev_b32_e32 v94, 16, v78
	s_waitcnt lgkmcnt(2)
	v_lshrrev_b32_e32 v98, 16, v82
	;; [unrolled: 2-line block ×4, first 2 shown]
	v_lshrrev_b32_e32 v95, 16, v79
	v_cndmask_b32_e64 v110, v78, v94, s3
	v_cndmask_b32_e64 v111, v82, v98, s3
	;; [unrolled: 1-line block ×8, first 2 shown]
	v_lshrrev_b32_e32 v99, 16, v83
	v_cndmask_b32_e64 v94, v86, v102, s3
	v_cndmask_b32_e64 v98, v90, v106, s3
	v_cndmask_b32_e64 v116, v86, v102, s8
	v_cndmask_b32_e64 v117, v90, v106, s8
	v_cndmask_b32_e64 v118, v86, v102, s9
	v_cndmask_b32_e64 v119, v90, v106, s9
	v_cndmask_b32_e64 v86, v86, v102, s10
	v_cndmask_b32_e64 v90, v90, v106, s10
	v_cndmask_b32_e64 v102, v110, v79, s4
	v_cndmask_b32_e64 v106, v111, v83, s4
	v_cndmask_b32_e64 v110, v112, v79, s11
	v_cndmask_b32_e64 v111, v113, v83, s11
	v_cndmask_b32_e64 v112, v114, v79, s13
	v_cndmask_b32_e64 v78, v78, v79, s15
	v_cndmask_b32_e64 v79, v82, v83, s15
	v_lshrrev_b32_e32 v103, 16, v87
	v_lshrrev_b32_e32 v107, 16, v91
	v_cndmask_b32_e64 v113, v115, v83, s13
	v_cndmask_b32_e64 v82, v94, v87, s4
	;; [unrolled: 1-line block ×7, first 2 shown]
	v_cndmask_b32_e32 v90, v102, v95, vcc_lo
	v_cndmask_b32_e32 v102, v106, v99, vcc_lo
	v_cndmask_b32_e64 v106, v110, v95, s12
	v_cndmask_b32_e64 v110, v111, v99, s12
	;; [unrolled: 1-line block ×4, first 2 shown]
	v_lshrrev_b32_e32 v96, 16, v80
	v_lshrrev_b32_e32 v100, 16, v84
	v_cndmask_b32_e64 v111, v112, v95, s16
	v_cndmask_b32_e64 v112, v113, v99, s16
	v_cndmask_b32_e32 v82, v82, v103, vcc_lo
	v_cndmask_b32_e32 v83, v83, v107, vcc_lo
	v_cndmask_b32_e64 v94, v94, v103, s12
	v_cndmask_b32_e64 v90, v90, v80, s2
	;; [unrolled: 1-line block ×7, first 2 shown]
	v_lshrrev_b32_e32 v104, 16, v88
	v_cndmask_b32_e64 v106, v111, v80, s20
	v_cndmask_b32_e64 v110, v112, v84, s20
	;; [unrolled: 1-line block ×11, first 2 shown]
	v_lshrrev_b32_e32 v97, 16, v81
	v_lshrrev_b32_e32 v101, 16, v85
	v_cndmask_b32_e64 v99, v106, v96, s22
	v_cndmask_b32_e64 v102, v110, v100, s22
	;; [unrolled: 1-line block ×7, first 2 shown]
	v_lshrrev_b32_e32 v105, 16, v89
	v_cndmask_b32_e64 v80, v80, v104, s5
	v_cndmask_b32_e64 v84, v84, v81, s6
	;; [unrolled: 1-line block ×16, first 2 shown]
	v_perm_b32 v81, v79, v78, 0x5040100
	v_perm_b32 v79, v95, v85, 0x5040100
	v_cndmask_b32_e64 v78, v119, v91, s13
	v_cndmask_b32_e64 v85, v117, v91, s11
	;; [unrolled: 1-line block ×3, first 2 shown]
	v_perm_b32 v80, v94, v90, 0x5040100
	v_cndmask_b32_e64 v90, v98, v103, s16
	v_cndmask_b32_e64 v86, v86, v103, s17
	;; [unrolled: 1-line block ×5, first 2 shown]
	v_lshrrev_b32_e32 v108, 16, v92
	v_cndmask_b32_e64 v90, v90, v88, s20
	v_cndmask_b32_e64 v86, v86, v88, s21
	;; [unrolled: 1-line block ×11, first 2 shown]
	v_lshrrev_b32_e32 v109, 16, v93
	v_cndmask_b32_e64 v82, v82, v93, s6
	v_cndmask_b32_e64 v88, v88, v89, s25
	;; [unrolled: 1-line block ×12, first 2 shown]
	v_perm_b32 v78, v84, v83, 0x5040100
	v_perm_b32 v85, v87, v86, 0x5040100
	;; [unrolled: 1-line block ×5, first 2 shown]
	s_mul_i32 s7, s33, 10
	s_mov_b32 s2, exec_lo
	ds_store_b128 v74, v[78:81]
	ds_store_b128 v74, v[82:85] offset:1024
	v_cmpx_gt_u32_e32 10, v0
	s_cbranch_execz .LBB979_14
; %bb.13:
	s_mul_i32 s3, s7, s30
	s_load_b128 s[8:11], s[0:1], 0x58
	v_add3_u32 v68, s3, s31, v68
	s_delay_alu instid0(VALU_DEP_1) | instskip(NEXT) | instid1(VALU_DEP_1)
	v_mad_u64_u32 v[78:79], null, v68, s34, s[14:15]
	v_ashrrev_i32_e32 v79, 31, v78
	s_delay_alu instid0(VALU_DEP_1) | instskip(SKIP_1) | instid1(VALU_DEP_1)
	v_lshlrev_b64 v[78:79], 2, v[78:79]
	s_waitcnt lgkmcnt(0)
	v_add_co_u32 v80, vcc_lo, s10, v78
	s_delay_alu instid0(VALU_DEP_2)
	v_add_co_ci_u32_e32 v81, vcc_lo, s11, v79, vcc_lo
	v_add_co_u32 v78, vcc_lo, s8, v78
	v_add_co_ci_u32_e32 v79, vcc_lo, s9, v79, vcc_lo
	global_store_b32 v[80:81], v76, off
	global_store_b32 v[78:79], v77, off
.LBB979_14:
	s_or_b32 exec_lo, exec_lo, s2
	s_waitcnt lgkmcnt(0)
	s_waitcnt_vscnt null, 0x0
	s_barrier
	buffer_gl0_inv
	ds_load_b128 v[84:87], v73
	ds_load_b128 v[88:91], v73 offset:16
	ds_load_b128 v[96:99], v73 offset:2064
	;; [unrolled: 1-line block ×5, first 2 shown]
	v_cmp_eq_u32_e32 vcc_lo, 1, v70
	v_mov_b32_e32 v76, 0
	ds_load_b128 v[112:115], v73 offset:6160
	ds_load_b128 v[108:111], v73 offset:6144
	;; [unrolled: 1-line block ×4, first 2 shown]
	v_cmp_eq_u32_e64 s3, 1, v69
	v_cmp_eq_u32_e64 s2, 1, v72
	;; [unrolled: 1-line block ×3, first 2 shown]
	v_mov_b32_e32 v77, v76
	v_mov_b32_e32 v78, v76
	;; [unrolled: 1-line block ×7, first 2 shown]
	v_cmp_eq_u32_e64 s5, 3, v72
	v_cmp_eq_u32_e64 s6, 7, v72
	s_waitcnt lgkmcnt(8)
	s_delay_alu instid0(VALU_DEP_3)
	v_wmma_f32_16x16x16_f16 v[76:83], v[49:56], v[84:91], v[76:83]
	ds_load_b128 v[53:56], v73 offset:10256
	ds_load_b128 v[49:52], v73 offset:10240
	s_waitcnt lgkmcnt(8)
	v_wmma_f32_16x16x16_f16 v[76:83], v[41:48], v[92:99], v[76:83]
	ds_load_b128 v[45:48], v73 offset:12304
	ds_load_b128 v[41:44], v73 offset:12288
	s_waitcnt lgkmcnt(8)
	;; [unrolled: 4-line block ×3, first 2 shown]
	s_barrier
	buffer_gl0_inv
	v_wmma_f32_16x16x16_f16 v[76:83], v[1:8], v[108:115], v[76:83]
	s_delay_alu instid0(VALU_DEP_1) | instskip(NEXT) | instid1(VALU_DEP_1)
	v_wmma_f32_16x16x16_f16 v[76:83], v[9:16], v[116:123], v[76:83]
	v_wmma_f32_16x16x16_f16 v[76:83], v[17:24], v[49:56], v[76:83]
	s_delay_alu instid0(VALU_DEP_1) | instskip(NEXT) | instid1(VALU_DEP_1)
	v_wmma_f32_16x16x16_f16 v[76:83], v[25:32], v[41:48], v[76:83]
	v_wmma_f32_16x16x16_f16 v[76:83], v[57:64], v[33:40], v[76:83]
	s_delay_alu instid0(VALU_DEP_1) | instskip(NEXT) | instid1(VALU_DEP_2)
	v_cvt_f16_f32_e32 v1, v76
	v_cvt_f16_f32_e32 v2, v77
	s_delay_alu instid0(VALU_DEP_3) | instskip(NEXT) | instid1(VALU_DEP_4)
	v_cvt_f16_f32_e32 v3, v78
	v_cvt_f16_f32_e32 v4, v79
	;; [unrolled: 1-line block ×6, first 2 shown]
	v_pack_b32_f16 v1, v1, v2
	v_pack_b32_f16 v2, v3, v4
	;; [unrolled: 1-line block ×3, first 2 shown]
	s_delay_alu instid0(VALU_DEP_4)
	v_pack_b32_f16 v4, v7, v8
	ds_store_b128 v74, v[1:4]
	s_waitcnt lgkmcnt(0)
	s_barrier
	buffer_gl0_inv
	ds_load_b128 v[1:4], v75
	ds_load_b128 v[5:8], v75 offset:16
	s_waitcnt lgkmcnt(1)
	v_lshrrev_b32_e32 v9, 16, v1
	s_waitcnt lgkmcnt(0)
	v_lshrrev_b32_e32 v13, 16, v5
	v_lshrrev_b32_e32 v10, 16, v2
	;; [unrolled: 1-line block ×4, first 2 shown]
	v_cndmask_b32_e32 v17, v1, v9, vcc_lo
	v_cndmask_b32_e32 v18, v5, v13, vcc_lo
	v_cndmask_b32_e64 v21, v1, v9, s3
	v_cmp_eq_u32_e32 vcc_lo, 1, v71
	v_cndmask_b32_e64 v22, v5, v13, s3
	v_cmp_eq_u32_e64 s3, 2, v70
	v_cndmask_b32_e64 v19, v1, v9, s2
	v_cndmask_b32_e64 v20, v5, v13, s2
	v_cndmask_b32_e32 v1, v1, v9, vcc_lo
	v_cmp_eq_u32_e64 s2, 2, v71
	v_cndmask_b32_e32 v5, v5, v13, vcc_lo
	v_cndmask_b32_e64 v9, v17, v2, s3
	v_cmp_eq_u32_e32 vcc_lo, 3, v70
	v_cndmask_b32_e64 v13, v18, v6, s3
	v_cmp_eq_u32_e64 s3, 2, v69
	v_cndmask_b32_e64 v17, v19, v2, s4
	v_cndmask_b32_e64 v18, v20, v6, s4
	v_cmp_eq_u32_e64 s4, 3, v69
	v_cndmask_b32_e64 v1, v1, v2, s2
	v_cndmask_b32_e64 v19, v21, v2, s3
	;; [unrolled: 1-line block ×4, first 2 shown]
	v_cndmask_b32_e32 v5, v9, v10, vcc_lo
	v_cndmask_b32_e32 v6, v13, v14, vcc_lo
	v_cmp_eq_u32_e32 vcc_lo, 3, v71
	v_cndmask_b32_e64 v9, v17, v10, s5
	v_cndmask_b32_e64 v13, v18, v14, s5
	;; [unrolled: 1-line block ×3, first 2 shown]
	v_cmp_eq_u32_e64 s3, 4, v70
	v_cndmask_b32_e32 v1, v1, v10, vcc_lo
	v_cndmask_b32_e32 v2, v2, v14, vcc_lo
	v_cmp_eq_u32_e32 vcc_lo, 4, v72
	v_lshrrev_b32_e32 v15, 16, v7
	v_lshrrev_b32_e32 v16, 16, v8
	v_cndmask_b32_e64 v17, v19, v10, s4
	v_cmp_eq_u32_e64 s2, 4, v71
	v_cndmask_b32_e64 v5, v5, v3, s3
	v_cndmask_b32_e64 v6, v6, v7, s3
	v_cndmask_b32_e32 v9, v9, v3, vcc_lo
	v_cmp_eq_u32_e64 s3, 5, v72
	v_cndmask_b32_e32 v10, v13, v7, vcc_lo
	v_cmp_eq_u32_e32 vcc_lo, 4, v69
	v_cmp_eq_u32_e64 s4, 5, v70
	v_cndmask_b32_e64 v2, v2, v7, s2
	v_cndmask_b32_e64 v9, v9, v11, s3
	;; [unrolled: 1-line block ×3, first 2 shown]
	v_cndmask_b32_e32 v13, v17, v3, vcc_lo
	v_cmp_eq_u32_e64 s3, 5, v69
	v_cndmask_b32_e32 v14, v18, v7, vcc_lo
	v_cndmask_b32_e64 v1, v1, v3, s2
	v_cmp_eq_u32_e32 vcc_lo, 5, v71
	v_lshrrev_b32_e32 v12, 16, v4
	v_cndmask_b32_e64 v13, v13, v11, s3
	v_cndmask_b32_e64 v3, v14, v15, s3
	v_cmp_eq_u32_e64 s3, 6, v71
	v_cndmask_b32_e32 v1, v1, v11, vcc_lo
	v_cndmask_b32_e64 v5, v5, v11, s4
	v_cmp_eq_u32_e64 s5, 6, v70
	v_cndmask_b32_e64 v6, v6, v15, s4
	v_cmp_eq_u32_e64 s4, 6, v72
	v_cmp_eq_u32_e64 s2, 6, v69
	v_cndmask_b32_e64 v1, v1, v4, s3
	v_cndmask_b32_e32 v2, v2, v15, vcc_lo
	v_cmp_eq_u32_e32 vcc_lo, 7, v71
	v_cndmask_b32_e64 v5, v5, v4, s5
	v_cndmask_b32_e64 v9, v9, v4, s4
	;; [unrolled: 1-line block ×3, first 2 shown]
	v_cmp_eq_u32_e64 s5, 7, v70
	v_cndmask_b32_e32 v1, v1, v12, vcc_lo
	v_cndmask_b32_e64 v7, v13, v4, s2
	v_cndmask_b32_e64 v3, v3, v8, s2
	;; [unrolled: 1-line block ×3, first 2 shown]
	v_cmp_eq_u32_e64 s2, 7, v69
	v_cndmask_b32_e64 v4, v10, v8, s4
	v_cndmask_b32_e64 v5, v5, v12, s5
	;; [unrolled: 1-line block ×3, first 2 shown]
	v_cndmask_b32_e32 v2, v2, v16, vcc_lo
	v_cndmask_b32_e64 v7, v7, v12, s2
	v_cndmask_b32_e64 v3, v3, v16, s2
	;; [unrolled: 1-line block ×4, first 2 shown]
	v_perm_b32 v4, v2, v1, 0x5040100
	s_mov_b32 s2, exec_lo
	v_perm_b32 v3, v3, v7, 0x5040100
	v_perm_b32 v2, v8, v9, 0x5040100
	;; [unrolled: 1-line block ×3, first 2 shown]
	ds_store_b128 v74, v[1:4]
	s_waitcnt lgkmcnt(0)
	s_barrier
	buffer_gl0_inv
	v_cmpx_gt_u32_e32 32, v0
	s_cbranch_execz .LBB979_2
; %bb.15:
	s_load_b64 s[0:1], s[0:1], 0x68
	s_lshl_b32 s4, s34, 7
	v_or_b32_e32 v2, s31, v66
	s_mul_i32 s2, s4, s30
	v_lshlrev_b32_e32 v0, 10, v0
	s_mul_i32 s2, s2, s7
	v_lshlrev_b32_e32 v1, 4, v67
	s_ashr_i32 s3, s2, 31
	v_mul_lo_u32 v20, v2, s4
	s_lshl_b64 s[2:3], s[2:3], 1
	v_lshlrev_b32_e32 v3, 6, v66
	v_and_b32_e32 v0, 0x3800, v0
	s_delay_alu instid0(VALU_DEP_1) | instskip(NEXT) | instid1(VALU_DEP_4)
	v_or3_b32 v16, v0, v1, v3
	v_ashrrev_i32_e32 v21, 31, v20
	ds_load_b128 v[0:3], v16
	ds_load_b128 v[4:7], v16 offset:128
	s_waitcnt lgkmcnt(0)
	s_add_u32 s2, s0, s2
	s_addc_u32 s3, s1, s3
	s_lshl_b32 s0, s14, 7
	ds_load_b128 v[8:11], v16 offset:256
	ds_load_b128 v[12:15], v16 offset:384
	;; [unrolled: 1-line block ×3, first 2 shown]
	s_ashr_i32 s1, s0, 31
	s_delay_alu instid0(SALU_CYCLE_1) | instskip(NEXT) | instid1(SALU_CYCLE_1)
	s_lshl_b64 s[0:1], s[0:1], 1
	s_add_u32 s0, s2, s0
	s_addc_u32 s1, s3, s1
	s_lshl_b32 s2, s34, 8
	v_add_co_u32 v30, s0, s0, v65
	v_add_nc_u32_e32 v22, s2, v20
	v_lshlrev_b64 v[20:21], 1, v[20:21]
	v_add_co_ci_u32_e64 v31, null, s1, 0, s0
	s_delay_alu instid0(VALU_DEP_3) | instskip(SKIP_1) | instid1(VALU_DEP_4)
	v_add_nc_u32_e32 v24, s2, v22
	v_ashrrev_i32_e32 v23, 31, v22
	v_add_co_u32 v20, vcc_lo, v30, v20
	s_delay_alu instid0(VALU_DEP_4) | instskip(NEXT) | instid1(VALU_DEP_4)
	v_add_co_ci_u32_e32 v21, vcc_lo, v31, v21, vcc_lo
	v_add_nc_u32_e32 v26, s2, v24
	v_ashrrev_i32_e32 v25, 31, v24
	v_lshlrev_b64 v[22:23], 1, v[22:23]
	s_delay_alu instid0(VALU_DEP_3) | instskip(SKIP_1) | instid1(VALU_DEP_4)
	v_add_nc_u32_e32 v28, s2, v26
	v_ashrrev_i32_e32 v27, 31, v26
	v_lshlrev_b64 v[24:25], 1, v[24:25]
	s_delay_alu instid0(VALU_DEP_4) | instskip(NEXT) | instid1(VALU_DEP_4)
	v_add_co_u32 v22, vcc_lo, v30, v22
	v_ashrrev_i32_e32 v29, 31, v28
	s_delay_alu instid0(VALU_DEP_4) | instskip(SKIP_2) | instid1(VALU_DEP_4)
	v_lshlrev_b64 v[26:27], 1, v[26:27]
	v_add_co_ci_u32_e32 v23, vcc_lo, v31, v23, vcc_lo
	v_add_co_u32 v24, vcc_lo, v30, v24
	v_lshlrev_b64 v[28:29], 1, v[28:29]
	v_add_co_ci_u32_e32 v25, vcc_lo, v31, v25, vcc_lo
	v_add_co_u32 v26, vcc_lo, v30, v26
	v_add_co_ci_u32_e32 v27, vcc_lo, v31, v27, vcc_lo
	s_delay_alu instid0(VALU_DEP_4)
	v_add_co_u32 v28, vcc_lo, v30, v28
	v_add_co_ci_u32_e32 v29, vcc_lo, v31, v29, vcc_lo
	s_clause 0x1
	global_store_b128 v[20:21], v[0:3], off
	global_store_b128 v[22:23], v[4:7], off
	s_waitcnt lgkmcnt(2)
	global_store_b128 v[24:25], v[8:11], off
	s_waitcnt lgkmcnt(1)
	;; [unrolled: 2-line block ×3, first 2 shown]
	global_store_b128 v[28:29], v[16:19], off
	s_nop 0
	s_sendmsg sendmsg(MSG_DEALLOC_VGPRS)
	s_endpgm
	.section	.rodata,"a",@progbits
	.p2align	6, 0x0
	.amdhsa_kernel _Z39paged_attention_ll4mi_QKV_mfma16_kernelIDF16_hLN4vllm18Fp8KVCacheDataTypeE1EDF16_Li16ELi128ELi256ELb1ELi10EL8MFMAType1EEvPKT_PKT0_S8_ifPKiSA_SA_iPKfiiiPfSD_PS3_PT2_iSC_SC_
		.amdhsa_group_segment_fixed_size 17472
		.amdhsa_private_segment_fixed_size 0
		.amdhsa_kernarg_size 400
		.amdhsa_user_sgpr_count 13
		.amdhsa_user_sgpr_dispatch_ptr 0
		.amdhsa_user_sgpr_queue_ptr 0
		.amdhsa_user_sgpr_kernarg_segment_ptr 1
		.amdhsa_user_sgpr_dispatch_id 0
		.amdhsa_user_sgpr_private_segment_size 0
		.amdhsa_wavefront_size32 1
		.amdhsa_uses_dynamic_stack 0
		.amdhsa_enable_private_segment 0
		.amdhsa_system_sgpr_workgroup_id_x 1
		.amdhsa_system_sgpr_workgroup_id_y 1
		.amdhsa_system_sgpr_workgroup_id_z 1
		.amdhsa_system_sgpr_workgroup_info 0
		.amdhsa_system_vgpr_workitem_id 0
		.amdhsa_next_free_vgpr 150
		.amdhsa_next_free_sgpr 36
		.amdhsa_reserve_vcc 1
		.amdhsa_float_round_mode_32 0
		.amdhsa_float_round_mode_16_64 0
		.amdhsa_float_denorm_mode_32 3
		.amdhsa_float_denorm_mode_16_64 3
		.amdhsa_dx10_clamp 1
		.amdhsa_ieee_mode 1
		.amdhsa_fp16_overflow 0
		.amdhsa_workgroup_processor_mode 1
		.amdhsa_memory_ordered 1
		.amdhsa_forward_progress 0
		.amdhsa_shared_vgpr_count 0
		.amdhsa_exception_fp_ieee_invalid_op 0
		.amdhsa_exception_fp_denorm_src 0
		.amdhsa_exception_fp_ieee_div_zero 0
		.amdhsa_exception_fp_ieee_overflow 0
		.amdhsa_exception_fp_ieee_underflow 0
		.amdhsa_exception_fp_ieee_inexact 0
		.amdhsa_exception_int_div_zero 0
	.end_amdhsa_kernel
	.section	.text._Z39paged_attention_ll4mi_QKV_mfma16_kernelIDF16_hLN4vllm18Fp8KVCacheDataTypeE1EDF16_Li16ELi128ELi256ELb1ELi10EL8MFMAType1EEvPKT_PKT0_S8_ifPKiSA_SA_iPKfiiiPfSD_PS3_PT2_iSC_SC_,"axG",@progbits,_Z39paged_attention_ll4mi_QKV_mfma16_kernelIDF16_hLN4vllm18Fp8KVCacheDataTypeE1EDF16_Li16ELi128ELi256ELb1ELi10EL8MFMAType1EEvPKT_PKT0_S8_ifPKiSA_SA_iPKfiiiPfSD_PS3_PT2_iSC_SC_,comdat
.Lfunc_end979:
	.size	_Z39paged_attention_ll4mi_QKV_mfma16_kernelIDF16_hLN4vllm18Fp8KVCacheDataTypeE1EDF16_Li16ELi128ELi256ELb1ELi10EL8MFMAType1EEvPKT_PKT0_S8_ifPKiSA_SA_iPKfiiiPfSD_PS3_PT2_iSC_SC_, .Lfunc_end979-_Z39paged_attention_ll4mi_QKV_mfma16_kernelIDF16_hLN4vllm18Fp8KVCacheDataTypeE1EDF16_Li16ELi128ELi256ELb1ELi10EL8MFMAType1EEvPKT_PKT0_S8_ifPKiSA_SA_iPKfiiiPfSD_PS3_PT2_iSC_SC_
                                        ; -- End function
	.section	.AMDGPU.csdata,"",@progbits
; Kernel info:
; codeLenInByte = 6704
; NumSgprs: 38
; NumVgprs: 150
; ScratchSize: 0
; MemoryBound: 0
; FloatMode: 240
; IeeeMode: 1
; LDSByteSize: 17472 bytes/workgroup (compile time only)
; SGPRBlocks: 4
; VGPRBlocks: 18
; NumSGPRsForWavesPerEU: 38
; NumVGPRsForWavesPerEU: 150
; Occupancy: 9
; WaveLimiterHint : 1
; COMPUTE_PGM_RSRC2:SCRATCH_EN: 0
; COMPUTE_PGM_RSRC2:USER_SGPR: 13
; COMPUTE_PGM_RSRC2:TRAP_HANDLER: 0
; COMPUTE_PGM_RSRC2:TGID_X_EN: 1
; COMPUTE_PGM_RSRC2:TGID_Y_EN: 1
; COMPUTE_PGM_RSRC2:TGID_Z_EN: 1
; COMPUTE_PGM_RSRC2:TIDIG_COMP_CNT: 0
	.section	.text._Z39paged_attention_ll4mi_QKV_mfma16_kernelIDF16_hLN4vllm18Fp8KVCacheDataTypeE1EDF16_Li16ELi128ELi256ELb1ELi11EL8MFMAType1EEvPKT_PKT0_S8_ifPKiSA_SA_iPKfiiiPfSD_PS3_PT2_iSC_SC_,"axG",@progbits,_Z39paged_attention_ll4mi_QKV_mfma16_kernelIDF16_hLN4vllm18Fp8KVCacheDataTypeE1EDF16_Li16ELi128ELi256ELb1ELi11EL8MFMAType1EEvPKT_PKT0_S8_ifPKiSA_SA_iPKfiiiPfSD_PS3_PT2_iSC_SC_,comdat
	.protected	_Z39paged_attention_ll4mi_QKV_mfma16_kernelIDF16_hLN4vllm18Fp8KVCacheDataTypeE1EDF16_Li16ELi128ELi256ELb1ELi11EL8MFMAType1EEvPKT_PKT0_S8_ifPKiSA_SA_iPKfiiiPfSD_PS3_PT2_iSC_SC_ ; -- Begin function _Z39paged_attention_ll4mi_QKV_mfma16_kernelIDF16_hLN4vllm18Fp8KVCacheDataTypeE1EDF16_Li16ELi128ELi256ELb1ELi11EL8MFMAType1EEvPKT_PKT0_S8_ifPKiSA_SA_iPKfiiiPfSD_PS3_PT2_iSC_SC_
	.globl	_Z39paged_attention_ll4mi_QKV_mfma16_kernelIDF16_hLN4vllm18Fp8KVCacheDataTypeE1EDF16_Li16ELi128ELi256ELb1ELi11EL8MFMAType1EEvPKT_PKT0_S8_ifPKiSA_SA_iPKfiiiPfSD_PS3_PT2_iSC_SC_
	.p2align	8
	.type	_Z39paged_attention_ll4mi_QKV_mfma16_kernelIDF16_hLN4vllm18Fp8KVCacheDataTypeE1EDF16_Li16ELi128ELi256ELb1ELi11EL8MFMAType1EEvPKT_PKT0_S8_ifPKiSA_SA_iPKfiiiPfSD_PS3_PT2_iSC_SC_,@function
_Z39paged_attention_ll4mi_QKV_mfma16_kernelIDF16_hLN4vllm18Fp8KVCacheDataTypeE1EDF16_Li16ELi128ELi256ELb1ELi11EL8MFMAType1EEvPKT_PKT0_S8_ifPKiSA_SA_iPKfiiiPfSD_PS3_PT2_iSC_SC_: ; @_Z39paged_attention_ll4mi_QKV_mfma16_kernelIDF16_hLN4vllm18Fp8KVCacheDataTypeE1EDF16_Li16ELi128ELi256ELb1ELi11EL8MFMAType1EEvPKT_PKT0_S8_ifPKiSA_SA_iPKfiiiPfSD_PS3_PT2_iSC_SC_
; %bb.0:
	s_load_b64 s[4:5], s[0:1], 0x30
	s_mov_b32 s34, s13
	s_waitcnt lgkmcnt(0)
	s_cmp_lg_u64 s[4:5], 0
	s_cselect_b32 s8, -1, 0
	s_ashr_i32 s35, s13, 31
	s_cmp_eq_u64 s[4:5], 0
	s_cbranch_scc1 .LBB980_3
; %bb.1:
	s_lshl_b64 s[2:3], s[34:35], 2
	s_delay_alu instid0(SALU_CYCLE_1) | instskip(SKIP_4) | instid1(SALU_CYCLE_1)
	s_add_u32 s2, s4, s2
	s_addc_u32 s3, s5, s3
	s_load_b64 s[2:3], s[2:3], 0x0
	s_waitcnt lgkmcnt(0)
	s_sub_i32 s2, s3, s2
	s_cmp_eq_u32 s2, 1
	s_cselect_b32 s2, -1, 0
	s_delay_alu instid0(SALU_CYCLE_1)
	s_and_not1_b32 vcc_lo, exec_lo, s2
	s_cbranch_vccz .LBB980_4
.LBB980_2:
	s_nop 0
	s_sendmsg sendmsg(MSG_DEALLOC_VGPRS)
	s_endpgm
.LBB980_3:
.LBB980_4:
	s_load_b64 s[2:3], s[0:1], 0x28
	s_lshl_b64 s[6:7], s[34:35], 2
	s_waitcnt lgkmcnt(0)
	s_add_u32 s2, s2, s6
	s_addc_u32 s3, s3, s7
	s_lshl_b32 s12, s14, 8
	s_load_b32 s24, s[2:3], 0x0
	s_waitcnt lgkmcnt(0)
	s_cmp_ge_i32 s12, s24
	s_cbranch_scc1 .LBB980_2
; %bb.5:
	s_clause 0x1
	s_load_b128 s[20:23], s[0:1], 0x8
	s_load_b64 s[2:3], s[0:1], 0x20
	s_and_not1_b32 vcc_lo, exec_lo, s8
	s_cbranch_vccnz .LBB980_7
; %bb.6:
	s_add_u32 s4, s4, s6
	s_addc_u32 s5, s5, s7
	s_load_b32 s5, s[4:5], 0x0
	s_branch .LBB980_8
.LBB980_7:
	s_mov_b32 s5, s34
.LBB980_8:
	s_load_b128 s[16:19], s[0:1], 0x48
	v_and_b32_e32 v68, 15, v0
	v_lshrrev_b32_e32 v69, 5, v0
	v_bfe_u32 v66, v0, 4, 1
	v_and_b32_e32 v70, 31, v0
	v_and_b32_e32 v67, 1, v0
	v_lshlrev_b32_e32 v2, 3, v68
	s_mul_i32 s31, s15, 11
	v_lshl_or_b32 v1, v69, 1, v66
	s_mov_b32 s4, exec_lo
	s_delay_alu instid0(VALU_DEP_2) | instskip(NEXT) | instid1(VALU_DEP_2)
	v_lshlrev_b32_e32 v65, 1, v2
	v_cmpx_gt_u32_e32 11, v1
	s_cbranch_execz .LBB980_10
; %bb.9:
	s_load_b64 s[6:7], s[0:1], 0x0
	v_add_lshl_u32 v2, v1, s31, 7
	s_waitcnt lgkmcnt(0)
	s_mul_hi_i32 s9, s5, s16
	s_mul_i32 s8, s5, s16
	v_lshlrev_b32_e32 v6, 10, v68
	s_lshl_b64 s[8:9], s[8:9], 1
	v_ashrrev_i32_e32 v3, 31, v2
	v_lshlrev_b32_e32 v1, 6, v1
	v_lshlrev_b32_e32 v7, 10, v67
	v_and_b32_e32 v6, 0x3800, v6
	s_delay_alu instid0(VALU_DEP_4) | instskip(NEXT) | instid1(VALU_DEP_2)
	v_lshlrev_b64 v[2:3], 1, v[2:3]
	v_or3_b32 v1, v6, v7, v1
	s_add_u32 s5, s6, s8
	s_addc_u32 s6, s7, s9
	s_delay_alu instid0(VALU_DEP_2) | instskip(NEXT) | instid1(VALU_DEP_3)
	v_add_co_u32 v2, vcc_lo, s5, v2
	v_add_co_ci_u32_e32 v3, vcc_lo, s6, v3, vcc_lo
	s_delay_alu instid0(VALU_DEP_2) | instskip(NEXT) | instid1(VALU_DEP_2)
	v_add_co_u32 v2, vcc_lo, v2, v65
	v_add_co_ci_u32_e32 v3, vcc_lo, 0, v3, vcc_lo
	global_load_b128 v[2:5], v[2:3], off
	s_waitcnt vmcnt(0)
	ds_store_b128 v1, v[2:5]
.LBB980_10:
	s_or_b32 exec_lo, exec_lo, s4
	v_and_b32_e32 v1, 0xef, v0
	s_waitcnt lgkmcnt(0)
	s_add_i32 s5, s24, 15
	s_clause 0x1
	s_load_b32 s4, s[0:1], 0x38
	s_load_b32 s33, s[0:1], 0x98
	s_ashr_i32 s6, s5, 31
	v_add_nc_u32_e32 v1, s12, v1
	s_lshr_b32 s6, s6, 28
	s_load_b32 s19, s[0:1], 0x1c
	s_add_i32 s5, s5, s6
	s_waitcnt lgkmcnt(0)
	v_ashrrev_i32_e32 v2, 31, v1
	v_or_b32_e32 v3, 16, v1
	s_ashr_i32 s13, s5, 4
	v_cmp_gt_i32_e32 vcc_lo, s24, v1
	s_add_i32 s13, s13, -1
	v_lshrrev_b32_e32 v2, 28, v2
	s_barrier
	buffer_gl0_inv
	s_mul_i32 s15, s15, s18
	v_add_nc_u32_e32 v4, v1, v2
	s_mul_i32 s4, s34, s4
	s_delay_alu instid0(SALU_CYCLE_1) | instskip(NEXT) | instid1(VALU_DEP_1)
	s_ashr_i32 s5, s4, 31
	v_ashrrev_i32_e32 v4, 4, v4
	v_add_nc_u32_e32 v2, v3, v2
	s_lshl_b64 s[4:5], s[4:5], 2
	s_delay_alu instid0(SALU_CYCLE_1) | instskip(NEXT) | instid1(VALU_DEP_2)
	s_add_u32 s16, s2, s4
	v_cndmask_b32_e32 v1, s13, v4, vcc_lo
	s_delay_alu instid0(VALU_DEP_2)
	v_ashrrev_i32_e32 v2, 4, v2
	v_cmp_gt_i32_e32 vcc_lo, s24, v3
	s_addc_u32 s25, s3, s5
	s_ashr_i32 s18, s15, 31
	s_add_u32 s26, s20, s15
	s_addc_u32 s27, s21, s18
	v_cndmask_b32_e32 v3, s13, v2, vcc_lo
	v_ashrrev_i32_e32 v2, 31, v1
	s_lshl_b32 s2, s14, 4
	s_delay_alu instid0(SALU_CYCLE_1) | instskip(NEXT) | instid1(VALU_DEP_2)
	s_ashr_i32 s3, s2, 31
	v_ashrrev_i32_e32 v4, 31, v3
	s_delay_alu instid0(VALU_DEP_2) | instskip(SKIP_1) | instid1(SALU_CYCLE_1)
	v_lshlrev_b64 v[1:2], 2, v[1:2]
	s_lshl_b64 s[2:3], s[2:3], 2
	s_add_u32 s2, s16, s2
	s_delay_alu instid0(VALU_DEP_2) | instskip(SKIP_1) | instid1(VALU_DEP_2)
	v_lshlrev_b64 v[3:4], 2, v[3:4]
	s_addc_u32 s3, s25, s3
	v_add_co_u32 v1, vcc_lo, s16, v1
	v_add_co_ci_u32_e32 v2, vcc_lo, s25, v2, vcc_lo
	s_delay_alu instid0(VALU_DEP_3) | instskip(NEXT) | instid1(VALU_DEP_4)
	v_add_co_u32 v3, vcc_lo, s16, v3
	v_add_co_ci_u32_e32 v4, vcc_lo, s25, v4, vcc_lo
	s_clause 0x1
	global_load_b32 v5, v[1:2], off
	global_load_b32 v7, v[3:4], off
	s_or_b32 s4, s12, 32
	v_lshlrev_b32_e32 v1, 4, v0
	s_ashr_i32 s5, s4, 4
	s_cmp_lt_i32 s4, s24
	v_cmp_gt_u32_e32 vcc_lo, 11, v68
	s_cselect_b32 s4, s5, s13
	v_and_b32_e32 v1, 0xf0, v1
	s_ashr_i32 s5, s4, 31
	s_delay_alu instid0(SALU_CYCLE_1) | instskip(NEXT) | instid1(SALU_CYCLE_1)
	s_lshl_b64 s[4:5], s[4:5], 2
	s_add_u32 s4, s16, s4
	s_addc_u32 s5, s25, s5
	s_or_b32 s6, s12, 64
	v_add_co_u32 v1, s26, s26, v1
	s_ashr_i32 s7, s6, 4
	s_cmp_lt_i32 s6, s24
	v_add_co_ci_u32_e64 v2, null, s27, 0, s26
	s_cselect_b32 s6, s7, s13
	s_delay_alu instid0(SALU_CYCLE_1) | instskip(NEXT) | instid1(SALU_CYCLE_1)
	s_ashr_i32 s7, s6, 31
	s_lshl_b64 s[6:7], s[6:7], 2
	s_delay_alu instid0(SALU_CYCLE_1) | instskip(SKIP_2) | instid1(SALU_CYCLE_1)
	s_add_u32 s6, s16, s6
	s_addc_u32 s7, s25, s7
	s_or_b32 s8, s12, 0x60
	s_ashr_i32 s9, s8, 4
	s_cmp_lt_i32 s8, s24
	s_cselect_b32 s8, s9, s13
	s_delay_alu instid0(SALU_CYCLE_1) | instskip(NEXT) | instid1(SALU_CYCLE_1)
	s_ashr_i32 s9, s8, 31
	s_lshl_b64 s[8:9], s[8:9], 2
	s_delay_alu instid0(SALU_CYCLE_1) | instskip(SKIP_2) | instid1(SALU_CYCLE_1)
	s_add_u32 s8, s16, s8
	s_addc_u32 s9, s25, s9
	s_or_b32 s10, s12, 0x80
	s_ashr_i32 s11, s10, 4
	s_cmp_lt_i32 s10, s24
	;; [unrolled: 10-line block ×3, first 2 shown]
	s_cselect_b32 s20, s21, s13
	s_delay_alu instid0(SALU_CYCLE_1) | instskip(NEXT) | instid1(SALU_CYCLE_1)
	s_ashr_i32 s21, s20, 31
	s_lshl_b64 s[20:21], s[20:21], 2
	s_delay_alu instid0(SALU_CYCLE_1)
	s_add_u32 s20, s16, s20
	s_addc_u32 s21, s25, s21
	s_clause 0x5
	s_load_b32 s26, s[2:3], 0x0
	s_load_b32 s27, s[4:5], 0x0
	;; [unrolled: 1-line block ×6, first 2 shown]
	s_or_b32 s2, s12, 0xc0
	s_mov_b32 s4, 0
	s_ashr_i32 s3, s2, 4
	s_cmp_lt_i32 s2, s24
	s_mov_b32 s11, s4
	s_cselect_b32 s2, s3, s13
	s_mov_b32 s5, s4
	s_ashr_i32 s3, s2, 31
	s_mov_b32 s6, s4
	s_lshl_b64 s[2:3], s[2:3], 2
	s_mov_b32 s7, s4
	s_add_u32 s2, s16, s2
	s_addc_u32 s3, s25, s3
	s_or_b32 s20, s12, 0xe0
	s_mov_b32 s8, s4
	s_ashr_i32 s21, s20, 4
	s_cmp_lt_i32 s20, s24
	s_mov_b32 s9, s4
	s_cselect_b32 s20, s21, s13
	s_mov_b32 s10, s4
	s_ashr_i32 s21, s20, 31
	v_mov_b32_e32 v118, s11
	v_dual_mov_b32 v112, s5 :: v_dual_mov_b32 v117, s10
	v_dual_mov_b32 v116, s9 :: v_dual_mov_b32 v115, s8
	;; [unrolled: 1-line block ×3, first 2 shown]
	v_mov_b32_e32 v111, s4
	s_lshl_b64 s[4:5], s[20:21], 2
	s_delay_alu instid0(SALU_CYCLE_1)
	s_add_u32 s4, s16, s4
	s_addc_u32 s5, s25, s5
	s_add_u32 s6, s22, s15
	s_addc_u32 s7, s23, s18
	s_waitcnt vmcnt(1)
	v_mad_i64_i32 v[3:4], null, v5, s17, v[1:2]
	s_waitcnt vmcnt(0)
	v_mad_i64_i32 v[5:6], null, v7, s17, v[1:2]
	v_add_nc_u32_e32 v1, -11, v68
	v_lshlrev_b32_e32 v2, 4, v68
	s_clause 0xf
	global_load_b128 v[17:20], v[3:4], off
	global_load_b128 v[21:24], v[3:4], off offset:256
	global_load_b128 v[25:28], v[5:6], off
	global_load_b128 v[29:32], v[5:6], off offset:256
	global_load_b128 v[57:60], v[3:4], off offset:512
	;; [unrolled: 1-line block ×13, first 2 shown]
	v_cndmask_b32_e32 v1, v1, v68, vcc_lo
	s_delay_alu instid0(VALU_DEP_1)
	v_lshlrev_b32_e32 v149, 6, v1
	v_lshl_or_b32 v1, v69, 8, v2
	ds_load_b128 v[119:122], v149
	ds_load_b128 v[123:126], v149 offset:1024
	ds_load_b128 v[127:130], v149 offset:2048
	;; [unrolled: 1-line block ×3, first 2 shown]
	s_clause 0x1
	s_load_b32 s2, s[2:3], 0x0
	s_load_b32 s3, s[4:5], 0x0
	v_add_co_u32 v135, s6, s6, v1
	s_delay_alu instid0(VALU_DEP_1) | instskip(SKIP_1) | instid1(VALU_DEP_1)
	v_add_co_ci_u32_e64 v136, null, s7, 0, s6
	s_waitcnt lgkmcnt(0)
	v_mad_i64_i32 v[1:2], null, s26, s17, v[135:136]
	v_mad_i64_i32 v[3:4], null, s27, s17, v[135:136]
	;; [unrolled: 1-line block ×6, first 2 shown]
	s_clause 0x9
	global_load_b128 v[49:52], v[1:2], off
	global_load_b128 v[53:56], v[1:2], off offset:16
	global_load_b128 v[41:44], v[3:4], off
	global_load_b128 v[45:48], v[3:4], off offset:16
	;; [unrolled: 2-line block ×5, first 2 shown]
	v_mad_i64_i32 v[145:146], null, s2, s17, v[135:136]
	v_mad_i64_i32 v[147:148], null, s3, s17, v[135:136]
	s_waitcnt vmcnt(24)
	v_wmma_f32_16x16x16_f16 v[135:142], v[17:24], v[119:126], v[111:118]
	s_waitcnt vmcnt(22)
	v_wmma_f32_16x16x16_f16 v[111:118], v[25:32], v[119:126], v[111:118]
	s_clause 0x3
	global_load_b128 v[17:20], v[143:144], off
	global_load_b128 v[21:24], v[143:144], off offset:16
	global_load_b128 v[25:28], v[145:146], off
	global_load_b128 v[29:32], v[145:146], off offset:16
	v_and_b32_e32 v119, 0xe0, v0
	s_waitcnt vmcnt(24)
	v_wmma_f32_16x16x16_f16 v[135:142], v[57:64], v[127:134], v[135:142]
	s_clause 0x1
	global_load_b128 v[57:60], v[147:148], off
	global_load_b128 v[61:64], v[147:148], off offset:16
	s_waitcnt vmcnt(24)
	v_wmma_f32_16x16x16_f16 v[111:118], v[71:78], v[127:134], v[111:118]
	ds_load_b128 v[71:74], v149 offset:4096
	ds_load_b128 v[75:78], v149 offset:5120
	v_add_nc_u32_e32 v128, s12, v119
	ds_load_b128 v[119:122], v149 offset:6144
	ds_load_b128 v[123:126], v149 offset:7168
	v_mbcnt_lo_u32_b32 v127, -1, 0
	s_waitcnt vmcnt(0) lgkmcnt(0)
	s_barrier
	v_or_b32_e32 v128, v128, v66
	buffer_gl0_inv
	v_xor_b32_e32 v129, 16, v127
	v_or_b32_e32 v130, 4, v128
	v_or_b32_e32 v131, 6, v128
	s_delay_alu instid0(VALU_DEP_3) | instskip(SKIP_4) | instid1(VALU_DEP_4)
	v_cmp_gt_i32_e32 vcc_lo, 32, v129
	v_or_b32_e32 v132, 8, v128
	v_or_b32_e32 v133, 10, v128
	v_cmp_gt_i32_e64 s3, s24, v130
	v_cmp_gt_i32_e64 s4, s24, v131
	;; [unrolled: 1-line block ×3, first 2 shown]
	v_wmma_f32_16x16x16_f16 v[135:142], v[79:86], v[71:78], v[135:142]
	v_wmma_f32_16x16x16_f16 v[111:118], v[87:94], v[71:78], v[111:118]
	v_or_b32_e32 v79, 12, v128
	v_or_b32_e32 v80, 14, v128
	v_cmp_gt_i32_e64 s6, s24, v133
	v_wmma_f32_16x16x16_f16 v[135:142], v[95:102], v[119:126], v[135:142]
	v_wmma_f32_16x16x16_f16 v[111:118], v[103:110], v[119:126], v[111:118]
	v_cndmask_b32_e32 v127, v127, v129, vcc_lo
	v_or_b32_e32 v129, 2, v128
	v_cmp_gt_i32_e32 vcc_lo, s24, v128
	v_mul_f32_e32 v88, s19, v135
	v_dual_mul_f32 v92, s19, v115 :: v_dual_mul_f32 v87, s19, v136
	s_delay_alu instid0(VALU_DEP_4)
	v_cmp_gt_i32_e64 s2, s24, v129
	v_mul_f32_e32 v78, s19, v138
	v_mul_f32_e32 v86, s19, v137
	v_cndmask_b32_e32 v88, 0xff7fffff, v88, vcc_lo
	v_mul_f32_e32 v76, s19, v140
	v_cndmask_b32_e64 v87, 0xff7fffff, v87, s2
	v_dual_mul_f32 v77, s19, v139 :: v_dual_mul_f32 v94, s19, v113
	v_cndmask_b32_e64 v86, 0xff7fffff, v86, s3
	v_cndmask_b32_e64 v78, 0xff7fffff, v78, s4
	s_delay_alu instid0(VALU_DEP_4)
	v_max3_f32 v87, v88, 0xff7fffff, v87
	v_or_b32_e32 v81, 16, v128
	v_or_b32_e32 v82, 18, v128
	v_dual_mul_f32 v74, s19, v142 :: v_dual_mul_f32 v75, s19, v141
	v_mul_f32_e32 v96, s19, v111
	v_cndmask_b32_e64 v77, 0xff7fffff, v77, s5
	v_cndmask_b32_e64 v76, 0xff7fffff, v76, s6
	v_max3_f32 v78, v87, v86, v78
	v_cmp_gt_i32_e64 s7, s24, v79
	v_cmp_gt_i32_e64 s8, s24, v80
	v_or_b32_e32 v83, 20, v128
	v_or_b32_e32 v84, 22, v128
	v_mul_f32_e32 v95, s19, v112
	v_cndmask_b32_e64 v75, 0xff7fffff, v75, s7
	v_cndmask_b32_e64 v74, 0xff7fffff, v74, s8
	v_max3_f32 v76, v78, v77, v76
	v_cmp_gt_i32_e64 s9, s24, v81
	v_cmp_gt_i32_e64 s10, s24, v82
	v_or_b32_e32 v85, 24, v128
	v_or_b32_e32 v71, 26, v128
	;; [unrolled: 8-line block ×3, first 2 shown]
	v_mul_f32_e32 v91, s19, v116
	v_cndmask_b32_e64 v75, 0xff7fffff, v94, s11
	v_cndmask_b32_e64 v76, 0xff7fffff, v93, s12
	v_max3_f32 v74, v74, v77, v78
	v_cmp_gt_i32_e64 s13, s24, v85
	v_cmp_gt_i32_e64 s15, s24, v71
	v_dual_mul_f32 v89, s19, v118 :: v_dual_mul_f32 v90, s19, v117
	s_delay_alu instid0(VALU_DEP_4) | instskip(NEXT) | instid1(VALU_DEP_4)
	v_max3_f32 v74, v74, v75, v76
	v_cndmask_b32_e64 v77, 0xff7fffff, v92, s13
	s_delay_alu instid0(VALU_DEP_4) | instskip(SKIP_2) | instid1(VALU_DEP_3)
	v_cndmask_b32_e64 v71, 0xff7fffff, v91, s15
	v_cmp_gt_i32_e64 s16, s24, v72
	v_cmp_gt_i32_e64 s17, s24, v73
	v_max3_f32 v71, v74, v77, v71
	s_delay_alu instid0(VALU_DEP_3) | instskip(NEXT) | instid1(VALU_DEP_3)
	v_cndmask_b32_e64 v72, 0xff7fffff, v90, s16
	v_cndmask_b32_e64 v73, 0xff7fffff, v89, s17
	v_lshlrev_b32_e32 v74, 2, v127
	s_delay_alu instid0(VALU_DEP_2) | instskip(SKIP_3) | instid1(VALU_DEP_1)
	v_max3_f32 v71, v71, v72, v73
	ds_bpermute_b32 v72, v74, v71
	s_waitcnt lgkmcnt(0)
	v_max_f32_e32 v72, v72, v72
	v_max_f32_e32 v71, v71, v72
	s_delay_alu instid0(VALU_DEP_1) | instskip(SKIP_4) | instid1(VALU_DEP_4)
	v_fma_f32 v72, s19, v135, -v71
	v_fma_f32 v73, s19, v136, -v71
	;; [unrolled: 1-line block ×5, first 2 shown]
	v_dual_mul_f32 v72, 0x3fb8aa3b, v72 :: v_dual_mul_f32 v73, 0x3fb8aa3b, v73
	v_fma_f32 v80, s19, v141, -v71
	s_delay_alu instid0(VALU_DEP_3) | instskip(NEXT) | instid1(VALU_DEP_3)
	v_dual_mul_f32 v76, 0x3fb8aa3b, v76 :: v_dual_mul_f32 v77, 0x3fb8aa3b, v77
	v_exp_f32_e32 v72, v72
	s_delay_alu instid0(VALU_DEP_3) | instskip(NEXT) | instid1(VALU_DEP_2)
	v_exp_f32_e32 v73, v73
	v_mul_f32_e32 v82, 0x3fb8aa3b, v80
	s_delay_alu instid0(VALU_DEP_2) | instskip(SKIP_1) | instid1(VALU_DEP_1)
	v_exp_f32_e32 v76, v76
	v_exp_f32_e32 v77, v77
	;; [unrolled: 1-line block ×3, first 2 shown]
	v_cndmask_b32_e32 v79, 0, v72, vcc_lo
	v_fma_f32 v72, s19, v140, -v71
	v_mul_f32_e32 v75, 0x3fb8aa3b, v75
	v_cndmask_b32_e64 v78, 0, v73, s2
	s_delay_alu instid0(TRANS32_DEP_3) | instskip(NEXT) | instid1(VALU_DEP_4)
	v_cndmask_b32_e64 v80, 0, v76, s4
	v_dual_add_f32 v73, 0, v79 :: v_dual_mul_f32 v72, 0x3fb8aa3b, v72
	s_delay_alu instid0(VALU_DEP_4) | instskip(NEXT) | instid1(TRANS32_DEP_3)
	v_exp_f32_e32 v75, v75
	v_cndmask_b32_e64 v83, 0, v77, s5
	s_delay_alu instid0(TRANS32_DEP_2) | instskip(NEXT) | instid1(VALU_DEP_3)
	v_cndmask_b32_e64 v85, 0, v84, s7
	v_add_f32_e32 v73, v73, v78
	v_exp_f32_e32 v72, v72
	v_cmp_gt_u32_e64 s2, 16, v70
	s_waitcnt_depctr 0xfff
	v_cndmask_b32_e64 v81, 0, v75, s3
	v_cndmask_b32_e64 v82, 0, v72, s6
	s_delay_alu instid0(VALU_DEP_2) | instskip(NEXT) | instid1(VALU_DEP_1)
	v_add_f32_e32 v73, v73, v81
	v_add_f32_e32 v73, v73, v80
	s_delay_alu instid0(VALU_DEP_1) | instskip(NEXT) | instid1(VALU_DEP_1)
	v_add_f32_e32 v72, v73, v83
	v_add_f32_e32 v72, v72, v82
	s_delay_alu instid0(VALU_DEP_1)
	v_add_f32_e32 v72, v72, v85
	v_fma_f32 v76, s19, v111, -v71
	v_fma_f32 v75, s19, v142, -v71
	;; [unrolled: 1-line block ×5, first 2 shown]
	v_mul_f32_e32 v76, 0x3fb8aa3b, v76
	s_delay_alu instid0(VALU_DEP_4) | instskip(NEXT) | instid1(VALU_DEP_2)
	v_mul_f32_e32 v86, 0x3fb8aa3b, v86
	v_exp_f32_e32 v76, v76
	s_delay_alu instid0(VALU_DEP_1)
	v_exp_f32_e32 v88, v86
	s_waitcnt_depctr 0xfff
	v_cndmask_b32_e64 v87, 0, v76, s9
	v_fma_f32 v76, s19, v116, -v71
	v_mul_f32_e32 v75, 0x3fb8aa3b, v75
	v_cndmask_b32_e64 v88, 0, v88, s12
	s_delay_alu instid0(VALU_DEP_3) | instskip(NEXT) | instid1(VALU_DEP_3)
	v_dual_mul_f32 v73, 0x3fb8aa3b, v73 :: v_dual_mul_f32 v76, 0x3fb8aa3b, v76
	v_exp_f32_e32 v75, v75
	s_delay_alu instid0(VALU_DEP_1) | instskip(NEXT) | instid1(VALU_DEP_1)
	v_exp_f32_e32 v73, v73
	v_exp_f32_e32 v76, v76
	s_delay_alu instid0(TRANS32_DEP_3)
	v_cndmask_b32_e64 v84, 0, v75, s8
	v_fma_f32 v75, s19, v115, -v71
	s_waitcnt_depctr 0xfff
	v_cndmask_b32_e64 v89, 0, v73, s11
	v_cndmask_b32_e64 v90, 0, v76, s15
	v_add_f32_e32 v72, v72, v84
	s_delay_alu instid0(VALU_DEP_1) | instskip(NEXT) | instid1(VALU_DEP_1)
	v_dual_add_f32 v72, v72, v87 :: v_dual_mul_f32 v77, 0x3fb8aa3b, v77
	v_exp_f32_e32 v77, v77
	s_waitcnt_depctr 0xfff
	v_cndmask_b32_e64 v86, 0, v77, s10
	v_fma_f32 v77, s19, v117, -v71
	s_delay_alu instid0(VALU_DEP_2) | instskip(NEXT) | instid1(VALU_DEP_1)
	v_dual_add_f32 v72, v72, v86 :: v_dual_mul_f32 v75, 0x3fb8aa3b, v75
	v_add_f32_e32 v72, v72, v89
	s_delay_alu instid0(VALU_DEP_2) | instskip(NEXT) | instid1(VALU_DEP_1)
	v_exp_f32_e32 v75, v75
	v_add_f32_e32 v72, v72, v88
	s_waitcnt_depctr 0xfff
	v_cndmask_b32_e64 v91, 0, v75, s13
	v_mul_f32_e32 v73, 0x3fb8aa3b, v77
	v_fma_f32 v77, s19, v118, -v71
	s_delay_alu instid0(VALU_DEP_3) | instskip(NEXT) | instid1(VALU_DEP_3)
	v_add_f32_e32 v72, v72, v91
	v_exp_f32_e32 v73, v73
	s_delay_alu instid0(VALU_DEP_1) | instskip(NEXT) | instid1(VALU_DEP_1)
	v_dual_mul_f32 v75, 0x3fb8aa3b, v77 :: v_dual_add_f32 v72, v72, v90
	v_exp_f32_e32 v75, v75
	s_waitcnt_depctr 0xfff
	v_cndmask_b32_e64 v93, 0, v73, s16
	s_delay_alu instid0(VALU_DEP_1) | instskip(SKIP_1) | instid1(VALU_DEP_1)
	v_add_f32_e32 v72, v72, v93
	v_cndmask_b32_e64 v92, 0, v75, s17
	v_add_f32_e32 v72, v72, v92
	ds_bpermute_b32 v73, v74, v72
	s_and_saveexec_b32 s3, s2
	s_cbranch_execz .LBB980_12
; %bb.11:
	v_mul_u32_u24_e32 v70, 0x44, v69
	s_waitcnt lgkmcnt(0)
	v_add_f32_e32 v72, v72, v73
	s_delay_alu instid0(VALU_DEP_2) | instskip(NEXT) | instid1(VALU_DEP_1)
	v_lshl_add_u32 v70, v68, 2, v70
	v_add_nc_u32_e32 v70, 0x4000, v70
	ds_store_2addr_b32 v70, v71, v72 offset1:136
.LBB980_12:
	s_or_b32 exec_lo, exec_lo, s3
	v_lshlrev_b32_e32 v70, 2, v68
	s_load_b32 s35, s[0:1], 0x94
	s_waitcnt lgkmcnt(0)
	s_barrier
	buffer_gl0_inv
	v_add_nc_u32_e32 v98, 0x4000, v70
	v_cmp_eq_u32_e32 vcc_lo, 1, v69
	v_cmp_eq_u32_e64 s3, 2, v69
	v_cmp_eq_u32_e64 s4, 3, v69
	;; [unrolled: 1-line block ×3, first 2 shown]
	ds_load_2addr_b32 v[70:71], v98 offset1:17
	ds_load_2addr_b32 v[72:73], v98 offset0:34 offset1:51
	ds_load_2addr_b32 v[74:75], v98 offset0:68 offset1:85
	ds_load_2addr_b32 v[94:95], v98 offset0:102 offset1:119
	v_cmp_eq_u32_e64 s6, 5, v69
	v_cmp_eq_u32_e64 s7, 7, v69
	s_waitcnt lgkmcnt(3)
	v_max3_f32 v76, v70, 0xff7fffff, v71
	s_waitcnt lgkmcnt(2)
	s_delay_alu instid0(VALU_DEP_1) | instskip(SKIP_1) | instid1(VALU_DEP_1)
	v_max3_f32 v76, v76, v72, v73
	s_waitcnt lgkmcnt(1)
	v_max3_f32 v76, v76, v74, v75
	s_waitcnt lgkmcnt(0)
	s_delay_alu instid0(VALU_DEP_1) | instskip(NEXT) | instid1(VALU_DEP_1)
	v_max3_f32 v76, v76, v94, v95
	v_sub_f32_e32 v77, v71, v76
	ds_load_2addr_b32 v[96:97], v98 offset0:136 offset1:153
	v_sub_f32_e32 v74, v74, v76
	v_sub_f32_e32 v70, v70, v76
	;; [unrolled: 1-line block ×3, first 2 shown]
	v_dual_sub_f32 v72, v72, v76 :: v_dual_mul_f32 v77, 0x3fb8aa3b, v77
	s_delay_alu instid0(VALU_DEP_4) | instskip(NEXT) | instid1(VALU_DEP_4)
	v_mul_f32_e32 v103, 0x3fb8aa3b, v74
	v_mul_f32_e32 v99, 0x3fb8aa3b, v70
	ds_load_2addr_b32 v[70:71], v98 offset0:170 offset1:187
	v_dual_mul_f32 v101, 0x3fb8aa3b, v72 :: v_dual_mul_f32 v94, 0x3fb8aa3b, v94
	v_exp_f32_e32 v102, v77
	v_exp_f32_e32 v99, v99
	s_delay_alu instid0(VALU_DEP_1) | instskip(NEXT) | instid1(VALU_DEP_1)
	v_exp_f32_e32 v101, v101
	v_exp_f32_e32 v94, v94
	s_waitcnt lgkmcnt(1)
	s_delay_alu instid0(TRANS32_DEP_3)
	v_fma_f32 v77, v99, v96, 0
	v_sub_f32_e32 v100, v73, v76
	ds_load_2addr_b32 v[72:73], v98 offset0:204 offset1:221
	v_fmac_f32_e32 v77, v102, v97
	v_exp_f32_e32 v97, v103
	s_waitcnt lgkmcnt(1)
	s_delay_alu instid0(VALU_DEP_1)
	v_dual_fmac_f32 v77, v101, v70 :: v_dual_sub_f32 v96, v75, v76
	ds_load_2addr_b32 v[74:75], v98 offset0:238 offset1:255
	v_sub_f32_e32 v70, v95, v76
	s_waitcnt lgkmcnt(0)
	s_barrier
	v_mul_f32_e32 v96, 0x3fb8aa3b, v96
	buffer_gl0_inv
	v_exp_f32_e32 v95, v96
	v_mul_f32_e32 v100, 0x3fb8aa3b, v100
	s_delay_alu instid0(VALU_DEP_1) | instskip(SKIP_3) | instid1(VALU_DEP_2)
	v_exp_f32_e32 v100, v100
	s_waitcnt_depctr 0xfff
	v_dual_fmac_f32 v77, v100, v71 :: v_dual_mul_f32 v70, 0x3fb8aa3b, v70
	v_cndmask_b32_e32 v71, v99, v102, vcc_lo
	v_fmac_f32_e32 v77, v97, v72
	s_delay_alu instid0(VALU_DEP_3) | instskip(NEXT) | instid1(VALU_DEP_1)
	v_exp_f32_e32 v96, v70
	v_fmac_f32_e32 v77, v95, v73
	s_delay_alu instid0(VALU_DEP_1) | instskip(SKIP_2) | instid1(VALU_DEP_1)
	v_fmac_f32_e32 v77, v94, v74
	s_waitcnt_depctr 0xfff
	v_fmac_f32_e32 v77, v96, v75
	v_add_f32_e32 v74, 0x358637bd, v77
	s_delay_alu instid0(VALU_DEP_1) | instskip(SKIP_1) | instid1(VALU_DEP_2)
	v_div_scale_f32 v98, null, v74, v74, 1.0
	v_div_scale_f32 v99, vcc_lo, 1.0, v74, 1.0
	v_rcp_f32_e32 v103, v98
	s_waitcnt_depctr 0xfff
	v_fma_f32 v70, -v98, v103, 1.0
	s_delay_alu instid0(VALU_DEP_1) | instskip(SKIP_2) | instid1(VALU_DEP_2)
	v_fmac_f32_e32 v103, v70, v103
	v_cndmask_b32_e64 v70, v71, v101, s3
	v_cmp_eq_u32_e64 s3, 6, v69
	v_cndmask_b32_e64 v71, v70, v100, s4
	s_delay_alu instid0(VALU_DEP_4) | instskip(NEXT) | instid1(VALU_DEP_2)
	v_dual_mul_f32 v101, v99, v103 :: v_dual_lshlrev_b32 v70, 2, v66
	v_cndmask_b32_e64 v71, v71, v97, s5
	s_delay_alu instid0(VALU_DEP_2) | instskip(NEXT) | instid1(VALU_DEP_3)
	v_or_b32_e32 v72, 1, v70
	v_fma_f32 v100, -v98, v101, v99
	v_cmp_eq_u32_e64 s4, 1, v70
	v_cmp_eq_u32_e64 s5, 2, v70
	v_cndmask_b32_e64 v95, v71, v95, s6
	v_or_b32_e32 v71, 3, v70
	v_fmac_f32_e32 v101, v100, v103
	v_cmp_eq_u32_e64 s9, 1, v72
	v_cmp_eq_u32_e64 s12, 2, v72
	v_cndmask_b32_e64 v94, v95, v94, s3
	v_cmp_eq_u32_e64 s11, 1, v71
	v_fma_f32 v97, -v98, v101, v99
	v_cmp_eq_u32_e64 s16, 2, v71
	v_cmp_eq_u32_e64 s13, 3, v72
	v_cndmask_b32_e64 v94, v94, v96, s7
	v_cmp_eq_u32_e64 s18, 3, v71
	v_div_fmas_f32 v95, v97, v103, v101
	v_cmp_eq_u32_e32 vcc_lo, 3, v70
	v_cmp_eq_u32_e64 s3, 4, v70
	v_cmp_eq_u32_e64 s19, 4, v72
	;; [unrolled: 1-line block ×3, first 2 shown]
	v_div_fixup_f32 v95, v95, v74, 1.0
	v_lshlrev_b32_e32 v73, 6, v68
	v_cmp_eq_u32_e64 s6, 5, v70
	v_cmp_eq_u32_e64 s20, 5, v72
	;; [unrolled: 1-line block ×3, first 2 shown]
	v_mul_f32_e32 v102, v94, v95
	v_lshl_or_b32 v75, v69, 11, v73
	v_or_b32_e32 v69, 2, v70
	v_cmp_eq_u32_e64 s25, 6, v72
	v_cmp_eq_u32_e64 s27, 6, v71
	v_fma_mixlo_f16 v94, v102, v79, 0
	v_fma_mixlo_f16 v95, v102, v81, 0
	;; [unrolled: 1-line block ×8, first 2 shown]
	v_lshl_or_b32 v74, v66, 4, v75
	v_fma_mixhi_f16 v94, v102, v78, 0
	v_fma_mixhi_f16 v95, v102, v80, 0
	;; [unrolled: 1-line block ×8, first 2 shown]
	ds_store_b128 v74, v[94:97]
	ds_store_b128 v74, v[98:101] offset:1024
	s_waitcnt lgkmcnt(0)
	s_barrier
	buffer_gl0_inv
	ds_load_b128 v[78:81], v75
	ds_load_b128 v[82:85], v75 offset:16
	ds_load_b128 v[86:89], v75 offset:1024
	;; [unrolled: 1-line block ×3, first 2 shown]
	v_cmp_eq_u32_e64 s10, 1, v69
	v_cmp_eq_u32_e64 s15, 2, v69
	;; [unrolled: 1-line block ×11, first 2 shown]
	s_waitcnt lgkmcnt(3)
	v_lshrrev_b32_e32 v94, 16, v78
	s_waitcnt lgkmcnt(2)
	v_lshrrev_b32_e32 v98, 16, v82
	;; [unrolled: 2-line block ×4, first 2 shown]
	v_lshrrev_b32_e32 v95, 16, v79
	v_cndmask_b32_e64 v110, v78, v94, s4
	v_cndmask_b32_e64 v111, v82, v98, s4
	;; [unrolled: 1-line block ×8, first 2 shown]
	v_lshrrev_b32_e32 v99, 16, v83
	v_cndmask_b32_e64 v94, v86, v102, s4
	v_cndmask_b32_e64 v98, v90, v106, s4
	;; [unrolled: 1-line block ×15, first 2 shown]
	v_lshrrev_b32_e32 v103, 16, v87
	v_lshrrev_b32_e32 v107, 16, v91
	v_cndmask_b32_e64 v113, v115, v83, s15
	v_cndmask_b32_e64 v82, v94, v87, s5
	v_cndmask_b32_e64 v83, v98, v91, s5
	v_cndmask_b32_e64 v94, v116, v87, s12
	v_cndmask_b32_e64 v98, v118, v87, s15
	v_cndmask_b32_e64 v86, v86, v87, s16
	v_cndmask_b32_e64 v87, v90, v91, s16
	v_cndmask_b32_e32 v90, v102, v95, vcc_lo
	v_cndmask_b32_e32 v102, v106, v99, vcc_lo
	v_cndmask_b32_e64 v106, v110, v95, s13
	v_cndmask_b32_e64 v110, v111, v99, s13
	;; [unrolled: 1-line block ×4, first 2 shown]
	v_lshrrev_b32_e32 v96, 16, v80
	v_lshrrev_b32_e32 v100, 16, v84
	v_cndmask_b32_e64 v111, v112, v95, s17
	v_cndmask_b32_e64 v112, v113, v99, s17
	v_cndmask_b32_e32 v82, v82, v103, vcc_lo
	v_cndmask_b32_e32 v83, v83, v107, vcc_lo
	v_cndmask_b32_e64 v94, v94, v103, s13
	v_cndmask_b32_e64 v90, v90, v80, s3
	;; [unrolled: 1-line block ×7, first 2 shown]
	v_lshrrev_b32_e32 v104, 16, v88
	v_cndmask_b32_e64 v106, v111, v80, s21
	v_cndmask_b32_e64 v110, v112, v84, s21
	v_cndmask_b32_e64 v80, v82, v88, s3
	v_cndmask_b32_e64 v82, v83, v92, s3
	v_cndmask_b32_e64 v83, v94, v88, s19
	v_cndmask_b32_e64 v84, v90, v96, s6
	v_cndmask_b32_e64 v90, v95, v100, s6
	v_cndmask_b32_e64 v94, v99, v96, s20
	v_cndmask_b32_e64 v95, v102, v100, s20
	v_cndmask_b32_e64 v78, v78, v96, s24
	v_cndmask_b32_e64 v79, v79, v100, s24
	v_lshrrev_b32_e32 v97, 16, v81
	v_lshrrev_b32_e32 v101, 16, v85
	v_cndmask_b32_e64 v99, v106, v96, s23
	v_cndmask_b32_e64 v102, v110, v100, s23
	;; [unrolled: 1-line block ×7, first 2 shown]
	v_lshrrev_b32_e32 v105, 16, v89
	v_cndmask_b32_e64 v80, v80, v104, s6
	v_cndmask_b32_e64 v84, v84, v81, s7
	;; [unrolled: 1-line block ×16, first 2 shown]
	v_perm_b32 v81, v79, v78, 0x5040100
	v_perm_b32 v79, v95, v85, 0x5040100
	v_cndmask_b32_e64 v78, v119, v91, s15
	v_cndmask_b32_e64 v85, v117, v91, s12
	v_cndmask_b32_e64 v96, v80, v105, s8
	v_perm_b32 v80, v94, v90, 0x5040100
	v_cndmask_b32_e64 v90, v98, v103, s17
	v_cndmask_b32_e64 v86, v86, v103, s18
	;; [unrolled: 1-line block ×5, first 2 shown]
	v_lshrrev_b32_e32 v108, 16, v92
	v_cndmask_b32_e64 v90, v90, v88, s21
	v_cndmask_b32_e64 v86, v86, v88, s22
	;; [unrolled: 1-line block ×11, first 2 shown]
	v_lshrrev_b32_e32 v109, 16, v93
	v_cndmask_b32_e64 v82, v82, v93, s7
	v_cndmask_b32_e64 v88, v88, v89, s26
	;; [unrolled: 1-line block ×12, first 2 shown]
	v_perm_b32 v78, v84, v83, 0x5040100
	v_perm_b32 v85, v87, v86, 0x5040100
	;; [unrolled: 1-line block ×5, first 2 shown]
	s_mul_i32 s8, s33, 11
	s_mov_b32 s3, exec_lo
	ds_store_b128 v74, v[78:81]
	ds_store_b128 v74, v[82:85] offset:1024
	v_cmpx_gt_u32_e32 11, v0
	s_cbranch_execz .LBB980_14
; %bb.13:
	s_mul_i32 s4, s8, s34
	s_delay_alu instid0(SALU_CYCLE_1) | instskip(SKIP_1) | instid1(VALU_DEP_1)
	v_add3_u32 v68, s4, s31, v68
	s_load_b128 s[4:7], s[0:1], 0x58
	v_mad_u64_u32 v[78:79], null, v68, s35, s[14:15]
	s_delay_alu instid0(VALU_DEP_1) | instskip(NEXT) | instid1(VALU_DEP_1)
	v_ashrrev_i32_e32 v79, 31, v78
	v_lshlrev_b64 v[78:79], 2, v[78:79]
	s_waitcnt lgkmcnt(0)
	s_delay_alu instid0(VALU_DEP_1) | instskip(NEXT) | instid1(VALU_DEP_2)
	v_add_co_u32 v80, vcc_lo, s6, v78
	v_add_co_ci_u32_e32 v81, vcc_lo, s7, v79, vcc_lo
	v_add_co_u32 v78, vcc_lo, s4, v78
	v_add_co_ci_u32_e32 v79, vcc_lo, s5, v79, vcc_lo
	global_store_b32 v[80:81], v76, off
	global_store_b32 v[78:79], v77, off
.LBB980_14:
	s_or_b32 exec_lo, exec_lo, s3
	s_waitcnt lgkmcnt(0)
	s_waitcnt_vscnt null, 0x0
	s_barrier
	buffer_gl0_inv
	ds_load_b128 v[84:87], v73
	ds_load_b128 v[88:91], v73 offset:16
	ds_load_b128 v[96:99], v73 offset:2064
	;; [unrolled: 1-line block ×5, first 2 shown]
	v_cmp_eq_u32_e32 vcc_lo, 1, v70
	v_mov_b32_e32 v76, 0
	ds_load_b128 v[112:115], v73 offset:6160
	ds_load_b128 v[108:111], v73 offset:6144
	;; [unrolled: 1-line block ×4, first 2 shown]
	v_cmp_eq_u32_e64 s4, 1, v69
	v_cmp_eq_u32_e64 s3, 1, v72
	v_cmp_eq_u32_e64 s5, 2, v72
	v_mov_b32_e32 v77, v76
	v_mov_b32_e32 v78, v76
	;; [unrolled: 1-line block ×7, first 2 shown]
	v_cmp_eq_u32_e64 s6, 3, v72
	v_cmp_eq_u32_e64 s7, 7, v72
	s_waitcnt lgkmcnt(8)
	s_delay_alu instid0(VALU_DEP_3)
	v_wmma_f32_16x16x16_f16 v[76:83], v[49:56], v[84:91], v[76:83]
	ds_load_b128 v[53:56], v73 offset:10256
	ds_load_b128 v[49:52], v73 offset:10240
	s_waitcnt lgkmcnt(8)
	v_wmma_f32_16x16x16_f16 v[76:83], v[41:48], v[92:99], v[76:83]
	ds_load_b128 v[45:48], v73 offset:12304
	ds_load_b128 v[41:44], v73 offset:12288
	s_waitcnt lgkmcnt(8)
	;; [unrolled: 4-line block ×3, first 2 shown]
	s_barrier
	buffer_gl0_inv
	v_wmma_f32_16x16x16_f16 v[76:83], v[1:8], v[108:115], v[76:83]
	s_delay_alu instid0(VALU_DEP_1) | instskip(NEXT) | instid1(VALU_DEP_1)
	v_wmma_f32_16x16x16_f16 v[76:83], v[9:16], v[116:123], v[76:83]
	v_wmma_f32_16x16x16_f16 v[76:83], v[17:24], v[49:56], v[76:83]
	s_delay_alu instid0(VALU_DEP_1) | instskip(NEXT) | instid1(VALU_DEP_1)
	v_wmma_f32_16x16x16_f16 v[76:83], v[25:32], v[41:48], v[76:83]
	v_wmma_f32_16x16x16_f16 v[76:83], v[57:64], v[33:40], v[76:83]
	s_delay_alu instid0(VALU_DEP_1) | instskip(NEXT) | instid1(VALU_DEP_2)
	v_cvt_f16_f32_e32 v1, v76
	v_cvt_f16_f32_e32 v2, v77
	s_delay_alu instid0(VALU_DEP_3) | instskip(NEXT) | instid1(VALU_DEP_4)
	v_cvt_f16_f32_e32 v3, v78
	v_cvt_f16_f32_e32 v4, v79
	;; [unrolled: 1-line block ×6, first 2 shown]
	v_pack_b32_f16 v1, v1, v2
	v_pack_b32_f16 v2, v3, v4
	;; [unrolled: 1-line block ×3, first 2 shown]
	s_delay_alu instid0(VALU_DEP_4)
	v_pack_b32_f16 v4, v7, v8
	ds_store_b128 v74, v[1:4]
	s_waitcnt lgkmcnt(0)
	s_barrier
	buffer_gl0_inv
	ds_load_b128 v[1:4], v75
	ds_load_b128 v[5:8], v75 offset:16
	s_waitcnt lgkmcnt(1)
	v_lshrrev_b32_e32 v9, 16, v1
	s_waitcnt lgkmcnt(0)
	v_lshrrev_b32_e32 v13, 16, v5
	v_lshrrev_b32_e32 v10, 16, v2
	;; [unrolled: 1-line block ×4, first 2 shown]
	v_cndmask_b32_e32 v17, v1, v9, vcc_lo
	v_cndmask_b32_e32 v18, v5, v13, vcc_lo
	v_cndmask_b32_e64 v21, v1, v9, s4
	v_cmp_eq_u32_e32 vcc_lo, 1, v71
	v_cndmask_b32_e64 v22, v5, v13, s4
	v_cmp_eq_u32_e64 s4, 2, v70
	v_cndmask_b32_e64 v19, v1, v9, s3
	v_cndmask_b32_e64 v20, v5, v13, s3
	v_cndmask_b32_e32 v1, v1, v9, vcc_lo
	v_cmp_eq_u32_e64 s3, 2, v71
	v_cndmask_b32_e32 v5, v5, v13, vcc_lo
	v_cndmask_b32_e64 v9, v17, v2, s4
	v_cmp_eq_u32_e32 vcc_lo, 3, v70
	v_cndmask_b32_e64 v13, v18, v6, s4
	v_cmp_eq_u32_e64 s4, 2, v69
	v_cndmask_b32_e64 v17, v19, v2, s5
	v_cndmask_b32_e64 v18, v20, v6, s5
	v_cmp_eq_u32_e64 s5, 3, v69
	v_cndmask_b32_e64 v1, v1, v2, s3
	v_cndmask_b32_e64 v19, v21, v2, s4
	;; [unrolled: 1-line block ×4, first 2 shown]
	v_cndmask_b32_e32 v5, v9, v10, vcc_lo
	v_cndmask_b32_e32 v6, v13, v14, vcc_lo
	v_cmp_eq_u32_e32 vcc_lo, 3, v71
	v_cndmask_b32_e64 v9, v17, v10, s6
	v_cndmask_b32_e64 v13, v18, v14, s6
	;; [unrolled: 1-line block ×3, first 2 shown]
	v_cmp_eq_u32_e64 s4, 4, v70
	v_cndmask_b32_e32 v1, v1, v10, vcc_lo
	v_cndmask_b32_e32 v2, v2, v14, vcc_lo
	v_cmp_eq_u32_e32 vcc_lo, 4, v72
	v_lshrrev_b32_e32 v15, 16, v7
	v_lshrrev_b32_e32 v16, 16, v8
	v_cndmask_b32_e64 v17, v19, v10, s5
	v_cmp_eq_u32_e64 s3, 4, v71
	v_cndmask_b32_e64 v5, v5, v3, s4
	v_cndmask_b32_e64 v6, v6, v7, s4
	v_cndmask_b32_e32 v9, v9, v3, vcc_lo
	v_cmp_eq_u32_e64 s4, 5, v72
	v_cndmask_b32_e32 v10, v13, v7, vcc_lo
	v_cmp_eq_u32_e32 vcc_lo, 4, v69
	v_cmp_eq_u32_e64 s5, 5, v70
	v_cndmask_b32_e64 v2, v2, v7, s3
	v_cndmask_b32_e64 v9, v9, v11, s4
	;; [unrolled: 1-line block ×3, first 2 shown]
	v_cndmask_b32_e32 v13, v17, v3, vcc_lo
	v_cmp_eq_u32_e64 s4, 5, v69
	v_cndmask_b32_e32 v14, v18, v7, vcc_lo
	v_cndmask_b32_e64 v1, v1, v3, s3
	v_cmp_eq_u32_e32 vcc_lo, 5, v71
	v_lshrrev_b32_e32 v12, 16, v4
	v_cndmask_b32_e64 v13, v13, v11, s4
	v_cndmask_b32_e64 v3, v14, v15, s4
	v_cmp_eq_u32_e64 s4, 6, v71
	v_cndmask_b32_e32 v1, v1, v11, vcc_lo
	v_cndmask_b32_e64 v5, v5, v11, s5
	v_cmp_eq_u32_e64 s6, 6, v70
	v_cndmask_b32_e64 v6, v6, v15, s5
	v_cmp_eq_u32_e64 s5, 6, v72
	v_cmp_eq_u32_e64 s3, 6, v69
	v_cndmask_b32_e64 v1, v1, v4, s4
	v_cndmask_b32_e32 v2, v2, v15, vcc_lo
	v_cmp_eq_u32_e32 vcc_lo, 7, v71
	v_cndmask_b32_e64 v5, v5, v4, s6
	v_cndmask_b32_e64 v9, v9, v4, s5
	;; [unrolled: 1-line block ×3, first 2 shown]
	v_cmp_eq_u32_e64 s6, 7, v70
	v_cndmask_b32_e32 v1, v1, v12, vcc_lo
	v_cndmask_b32_e64 v7, v13, v4, s3
	v_cndmask_b32_e64 v3, v3, v8, s3
	;; [unrolled: 1-line block ×3, first 2 shown]
	v_cmp_eq_u32_e64 s3, 7, v69
	v_cndmask_b32_e64 v4, v10, v8, s5
	v_cndmask_b32_e64 v5, v5, v12, s6
	;; [unrolled: 1-line block ×3, first 2 shown]
	v_cndmask_b32_e32 v2, v2, v16, vcc_lo
	v_cndmask_b32_e64 v7, v7, v12, s3
	v_cndmask_b32_e64 v3, v3, v16, s3
	v_cndmask_b32_e64 v8, v4, v16, s7
	v_cndmask_b32_e64 v6, v6, v16, s6
	v_perm_b32 v4, v2, v1, 0x5040100
	s_mov_b32 s3, exec_lo
	v_perm_b32 v3, v3, v7, 0x5040100
	v_perm_b32 v2, v8, v9, 0x5040100
	;; [unrolled: 1-line block ×3, first 2 shown]
	ds_store_b128 v74, v[1:4]
	s_waitcnt lgkmcnt(0)
	s_barrier
	buffer_gl0_inv
	v_cmpx_gt_u32_e32 32, v0
	s_cbranch_execz .LBB980_2
; %bb.15:
	s_load_b64 s[4:5], s[0:1], 0x68
	v_lshlrev_b32_e32 v0, 10, v0
	v_lshlrev_b32_e32 v1, 4, v67
	s_lshl_b32 s0, s35, 7
	v_add_nc_u32_e32 v7, s31, v66
	s_mul_i32 s1, s0, s34
	s_delay_alu instid0(SALU_CYCLE_1) | instskip(SKIP_1) | instid1(VALU_DEP_2)
	s_mul_i32 s6, s1, s8
	v_and_or_b32 v0, 0x3800, v0, v1
	v_mul_lo_u32 v1, v7, s0
	v_add_nc_u32_e32 v2, 2, v7
	s_ashr_i32 s7, s6, 31
	v_add_nc_u32_e32 v4, 4, v7
	s_lshl_b64 s[6:7], s[6:7], 1
	v_add_nc_u32_e32 v8, 6, v7
	v_mul_lo_u32 v3, v2, s0
	v_lshl_or_b32 v19, v66, 6, v0
	v_ashrrev_i32_e32 v2, 31, v1
	v_mul_lo_u32 v11, v4, s0
	v_mul_lo_u32 v25, v8, s0
	s_waitcnt lgkmcnt(0)
	s_add_u32 s1, s4, s6
	s_addc_u32 s3, s5, s7
	s_lshl_b32 s4, s14, 7
	v_lshlrev_b64 v[5:6], 1, v[1:2]
	s_ashr_i32 s5, s4, 31
	v_ashrrev_i32_e32 v4, 31, v3
	s_lshl_b64 s[4:5], s[4:5], 1
	v_ashrrev_i32_e32 v12, 31, v11
	s_add_u32 s1, s1, s4
	s_addc_u32 s3, s3, s5
	v_add_co_u32 v1, s1, s1, v65
	s_delay_alu instid0(VALU_DEP_1) | instskip(SKIP_1) | instid1(VALU_DEP_3)
	v_add_co_ci_u32_e64 v2, null, s3, 0, s1
	v_lshlrev_b64 v[3:4], 1, v[3:4]
	v_add_co_u32 v23, vcc_lo, v1, v5
	v_add_nc_u32_e32 v5, 8, v7
	s_delay_alu instid0(VALU_DEP_4) | instskip(NEXT) | instid1(VALU_DEP_4)
	v_add_co_ci_u32_e32 v24, vcc_lo, v2, v6, vcc_lo
	v_add_co_u32 v27, vcc_lo, v1, v3
	s_delay_alu instid0(VALU_DEP_3)
	v_mul_lo_u32 v29, v5, s0
	v_add_co_ci_u32_e32 v28, vcc_lo, v2, v4, vcc_lo
	ds_load_b128 v[3:6], v19
	ds_load_b128 v[7:10], v19 offset:128
	v_lshlrev_b64 v[31:32], 1, v[11:12]
	ds_load_b128 v[11:14], v19 offset:256
	ds_load_b128 v[15:18], v19 offset:384
	;; [unrolled: 1-line block ×3, first 2 shown]
	v_ashrrev_i32_e32 v26, 31, v25
	v_ashrrev_i32_e32 v30, 31, v29
	v_add_co_u32 v31, vcc_lo, v1, v31
	s_delay_alu instid0(VALU_DEP_3) | instskip(NEXT) | instid1(VALU_DEP_3)
	v_lshlrev_b64 v[25:26], 1, v[25:26]
	v_lshlrev_b64 v[29:30], 1, v[29:30]
	v_add_co_ci_u32_e32 v32, vcc_lo, v2, v32, vcc_lo
	s_delay_alu instid0(VALU_DEP_3) | instskip(NEXT) | instid1(VALU_DEP_4)
	v_add_co_u32 v25, vcc_lo, v1, v25
	v_add_co_ci_u32_e32 v26, vcc_lo, v2, v26, vcc_lo
	s_delay_alu instid0(VALU_DEP_4)
	v_add_co_u32 v29, vcc_lo, v1, v29
	v_add_co_ci_u32_e32 v30, vcc_lo, v2, v30, vcc_lo
	s_waitcnt lgkmcnt(4)
	global_store_b128 v[23:24], v[3:6], off
	s_waitcnt lgkmcnt(3)
	global_store_b128 v[27:28], v[7:10], off
	;; [unrolled: 2-line block ×5, first 2 shown]
	s_and_b32 exec_lo, exec_lo, s2
	s_cbranch_execz .LBB980_2
; %bb.16:
	ds_load_b128 v[3:6], v0 offset:640
	s_add_i32 s1, s31, 10
	s_delay_alu instid0(SALU_CYCLE_1) | instskip(NEXT) | instid1(SALU_CYCLE_1)
	s_mul_i32 s0, s1, s0
	s_ashr_i32 s1, s0, 31
	s_delay_alu instid0(SALU_CYCLE_1) | instskip(NEXT) | instid1(SALU_CYCLE_1)
	s_lshl_b64 s[0:1], s[0:1], 1
	v_add_co_u32 v0, vcc_lo, v1, s0
	v_add_co_ci_u32_e32 v1, vcc_lo, s1, v2, vcc_lo
	s_waitcnt lgkmcnt(0)
	global_store_b128 v[0:1], v[3:6], off
	s_nop 0
	s_sendmsg sendmsg(MSG_DEALLOC_VGPRS)
	s_endpgm
	.section	.rodata,"a",@progbits
	.p2align	6, 0x0
	.amdhsa_kernel _Z39paged_attention_ll4mi_QKV_mfma16_kernelIDF16_hLN4vllm18Fp8KVCacheDataTypeE1EDF16_Li16ELi128ELi256ELb1ELi11EL8MFMAType1EEvPKT_PKT0_S8_ifPKiSA_SA_iPKfiiiPfSD_PS3_PT2_iSC_SC_
		.amdhsa_group_segment_fixed_size 17472
		.amdhsa_private_segment_fixed_size 0
		.amdhsa_kernarg_size 400
		.amdhsa_user_sgpr_count 13
		.amdhsa_user_sgpr_dispatch_ptr 0
		.amdhsa_user_sgpr_queue_ptr 0
		.amdhsa_user_sgpr_kernarg_segment_ptr 1
		.amdhsa_user_sgpr_dispatch_id 0
		.amdhsa_user_sgpr_private_segment_size 0
		.amdhsa_wavefront_size32 1
		.amdhsa_uses_dynamic_stack 0
		.amdhsa_enable_private_segment 0
		.amdhsa_system_sgpr_workgroup_id_x 1
		.amdhsa_system_sgpr_workgroup_id_y 1
		.amdhsa_system_sgpr_workgroup_id_z 1
		.amdhsa_system_sgpr_workgroup_info 0
		.amdhsa_system_vgpr_workitem_id 0
		.amdhsa_next_free_vgpr 150
		.amdhsa_next_free_sgpr 36
		.amdhsa_reserve_vcc 1
		.amdhsa_float_round_mode_32 0
		.amdhsa_float_round_mode_16_64 0
		.amdhsa_float_denorm_mode_32 3
		.amdhsa_float_denorm_mode_16_64 3
		.amdhsa_dx10_clamp 1
		.amdhsa_ieee_mode 1
		.amdhsa_fp16_overflow 0
		.amdhsa_workgroup_processor_mode 1
		.amdhsa_memory_ordered 1
		.amdhsa_forward_progress 0
		.amdhsa_shared_vgpr_count 0
		.amdhsa_exception_fp_ieee_invalid_op 0
		.amdhsa_exception_fp_denorm_src 0
		.amdhsa_exception_fp_ieee_div_zero 0
		.amdhsa_exception_fp_ieee_overflow 0
		.amdhsa_exception_fp_ieee_underflow 0
		.amdhsa_exception_fp_ieee_inexact 0
		.amdhsa_exception_int_div_zero 0
	.end_amdhsa_kernel
	.section	.text._Z39paged_attention_ll4mi_QKV_mfma16_kernelIDF16_hLN4vllm18Fp8KVCacheDataTypeE1EDF16_Li16ELi128ELi256ELb1ELi11EL8MFMAType1EEvPKT_PKT0_S8_ifPKiSA_SA_iPKfiiiPfSD_PS3_PT2_iSC_SC_,"axG",@progbits,_Z39paged_attention_ll4mi_QKV_mfma16_kernelIDF16_hLN4vllm18Fp8KVCacheDataTypeE1EDF16_Li16ELi128ELi256ELb1ELi11EL8MFMAType1EEvPKT_PKT0_S8_ifPKiSA_SA_iPKfiiiPfSD_PS3_PT2_iSC_SC_,comdat
.Lfunc_end980:
	.size	_Z39paged_attention_ll4mi_QKV_mfma16_kernelIDF16_hLN4vllm18Fp8KVCacheDataTypeE1EDF16_Li16ELi128ELi256ELb1ELi11EL8MFMAType1EEvPKT_PKT0_S8_ifPKiSA_SA_iPKfiiiPfSD_PS3_PT2_iSC_SC_, .Lfunc_end980-_Z39paged_attention_ll4mi_QKV_mfma16_kernelIDF16_hLN4vllm18Fp8KVCacheDataTypeE1EDF16_Li16ELi128ELi256ELb1ELi11EL8MFMAType1EEvPKT_PKT0_S8_ifPKiSA_SA_iPKfiiiPfSD_PS3_PT2_iSC_SC_
                                        ; -- End function
	.section	.AMDGPU.csdata,"",@progbits
; Kernel info:
; codeLenInByte = 6800
; NumSgprs: 38
; NumVgprs: 150
; ScratchSize: 0
; MemoryBound: 0
; FloatMode: 240
; IeeeMode: 1
; LDSByteSize: 17472 bytes/workgroup (compile time only)
; SGPRBlocks: 4
; VGPRBlocks: 18
; NumSGPRsForWavesPerEU: 38
; NumVGPRsForWavesPerEU: 150
; Occupancy: 9
; WaveLimiterHint : 1
; COMPUTE_PGM_RSRC2:SCRATCH_EN: 0
; COMPUTE_PGM_RSRC2:USER_SGPR: 13
; COMPUTE_PGM_RSRC2:TRAP_HANDLER: 0
; COMPUTE_PGM_RSRC2:TGID_X_EN: 1
; COMPUTE_PGM_RSRC2:TGID_Y_EN: 1
; COMPUTE_PGM_RSRC2:TGID_Z_EN: 1
; COMPUTE_PGM_RSRC2:TIDIG_COMP_CNT: 0
	.section	.text._Z39paged_attention_ll4mi_QKV_mfma16_kernelIDF16_hLN4vllm18Fp8KVCacheDataTypeE1EDF16_Li16ELi128ELi256ELb1ELi12EL8MFMAType1EEvPKT_PKT0_S8_ifPKiSA_SA_iPKfiiiPfSD_PS3_PT2_iSC_SC_,"axG",@progbits,_Z39paged_attention_ll4mi_QKV_mfma16_kernelIDF16_hLN4vllm18Fp8KVCacheDataTypeE1EDF16_Li16ELi128ELi256ELb1ELi12EL8MFMAType1EEvPKT_PKT0_S8_ifPKiSA_SA_iPKfiiiPfSD_PS3_PT2_iSC_SC_,comdat
	.protected	_Z39paged_attention_ll4mi_QKV_mfma16_kernelIDF16_hLN4vllm18Fp8KVCacheDataTypeE1EDF16_Li16ELi128ELi256ELb1ELi12EL8MFMAType1EEvPKT_PKT0_S8_ifPKiSA_SA_iPKfiiiPfSD_PS3_PT2_iSC_SC_ ; -- Begin function _Z39paged_attention_ll4mi_QKV_mfma16_kernelIDF16_hLN4vllm18Fp8KVCacheDataTypeE1EDF16_Li16ELi128ELi256ELb1ELi12EL8MFMAType1EEvPKT_PKT0_S8_ifPKiSA_SA_iPKfiiiPfSD_PS3_PT2_iSC_SC_
	.globl	_Z39paged_attention_ll4mi_QKV_mfma16_kernelIDF16_hLN4vllm18Fp8KVCacheDataTypeE1EDF16_Li16ELi128ELi256ELb1ELi12EL8MFMAType1EEvPKT_PKT0_S8_ifPKiSA_SA_iPKfiiiPfSD_PS3_PT2_iSC_SC_
	.p2align	8
	.type	_Z39paged_attention_ll4mi_QKV_mfma16_kernelIDF16_hLN4vllm18Fp8KVCacheDataTypeE1EDF16_Li16ELi128ELi256ELb1ELi12EL8MFMAType1EEvPKT_PKT0_S8_ifPKiSA_SA_iPKfiiiPfSD_PS3_PT2_iSC_SC_,@function
_Z39paged_attention_ll4mi_QKV_mfma16_kernelIDF16_hLN4vllm18Fp8KVCacheDataTypeE1EDF16_Li16ELi128ELi256ELb1ELi12EL8MFMAType1EEvPKT_PKT0_S8_ifPKiSA_SA_iPKfiiiPfSD_PS3_PT2_iSC_SC_: ; @_Z39paged_attention_ll4mi_QKV_mfma16_kernelIDF16_hLN4vllm18Fp8KVCacheDataTypeE1EDF16_Li16ELi128ELi256ELb1ELi12EL8MFMAType1EEvPKT_PKT0_S8_ifPKiSA_SA_iPKfiiiPfSD_PS3_PT2_iSC_SC_
; %bb.0:
	s_load_b64 s[4:5], s[0:1], 0x30
	s_mov_b32 s30, s13
	s_waitcnt lgkmcnt(0)
	s_cmp_lg_u64 s[4:5], 0
	s_cselect_b32 s8, -1, 0
	s_ashr_i32 s31, s13, 31
	s_cmp_eq_u64 s[4:5], 0
	s_cbranch_scc1 .LBB981_3
; %bb.1:
	s_lshl_b64 s[2:3], s[30:31], 2
	s_delay_alu instid0(SALU_CYCLE_1) | instskip(SKIP_4) | instid1(SALU_CYCLE_1)
	s_add_u32 s2, s4, s2
	s_addc_u32 s3, s5, s3
	s_load_b64 s[2:3], s[2:3], 0x0
	s_waitcnt lgkmcnt(0)
	s_sub_i32 s2, s3, s2
	s_cmp_eq_u32 s2, 1
	s_cselect_b32 s2, -1, 0
	s_delay_alu instid0(SALU_CYCLE_1)
	s_and_not1_b32 vcc_lo, exec_lo, s2
	s_cbranch_vccz .LBB981_4
.LBB981_2:
	s_endpgm
.LBB981_3:
.LBB981_4:
	s_load_b64 s[2:3], s[0:1], 0x28
	s_lshl_b64 s[6:7], s[30:31], 2
	s_waitcnt lgkmcnt(0)
	s_add_u32 s2, s2, s6
	s_addc_u32 s3, s3, s7
	s_lshl_b32 s12, s14, 8
	s_load_b32 s24, s[2:3], 0x0
	s_waitcnt lgkmcnt(0)
	s_cmp_ge_i32 s12, s24
	s_cbranch_scc1 .LBB981_2
; %bb.5:
	s_clause 0x1
	s_load_b128 s[20:23], s[0:1], 0x8
	s_load_b64 s[2:3], s[0:1], 0x20
	s_and_not1_b32 vcc_lo, exec_lo, s8
	s_cbranch_vccnz .LBB981_7
; %bb.6:
	s_add_u32 s4, s4, s6
	s_addc_u32 s5, s5, s7
	s_load_b32 s5, s[4:5], 0x0
	s_branch .LBB981_8
.LBB981_7:
	s_mov_b32 s5, s30
.LBB981_8:
	s_load_b128 s[16:19], s[0:1], 0x48
	v_and_b32_e32 v68, 15, v0
	v_lshrrev_b32_e32 v69, 5, v0
	v_and_b32_e32 v70, 31, v0
	v_and_b32_e32 v67, 1, v0
	v_bfe_u32 v66, v0, 4, 1
	v_lshlrev_b32_e32 v1, 3, v68
	s_mul_i32 s31, s15, 12
	s_mov_b32 s4, exec_lo
	s_delay_alu instid0(VALU_DEP_1)
	v_lshlrev_b32_e32 v65, 1, v1
	v_cmpx_gt_u32_e32 0xc0, v0
	s_cbranch_execz .LBB981_10
; %bb.9:
	s_load_b64 s[6:7], s[0:1], 0x0
	v_lshl_or_b32 v5, v69, 1, v66
	s_waitcnt lgkmcnt(0)
	s_mul_hi_i32 s9, s5, s16
	s_mul_i32 s8, s5, s16
	v_lshlrev_b32_e32 v6, 10, v68
	s_lshl_b64 s[8:9], s[8:9], 1
	v_add_lshl_u32 v1, v5, s31, 7
	v_lshlrev_b32_e32 v5, 6, v5
	v_lshlrev_b32_e32 v7, 10, v67
	v_and_b32_e32 v6, 0x3800, v6
	s_delay_alu instid0(VALU_DEP_4) | instskip(NEXT) | instid1(VALU_DEP_2)
	v_ashrrev_i32_e32 v2, 31, v1
	v_or3_b32 v5, v6, v7, v5
	s_delay_alu instid0(VALU_DEP_2) | instskip(SKIP_2) | instid1(VALU_DEP_1)
	v_lshlrev_b64 v[1:2], 1, v[1:2]
	s_add_u32 s5, s6, s8
	s_addc_u32 s6, s7, s9
	v_add_co_u32 v1, vcc_lo, s5, v1
	s_delay_alu instid0(VALU_DEP_2) | instskip(NEXT) | instid1(VALU_DEP_2)
	v_add_co_ci_u32_e32 v2, vcc_lo, s6, v2, vcc_lo
	v_add_co_u32 v1, vcc_lo, v1, v65
	s_delay_alu instid0(VALU_DEP_2)
	v_add_co_ci_u32_e32 v2, vcc_lo, 0, v2, vcc_lo
	global_load_b128 v[1:4], v[1:2], off
	s_waitcnt vmcnt(0)
	ds_store_b128 v5, v[1:4]
.LBB981_10:
	s_or_b32 exec_lo, exec_lo, s4
	v_and_b32_e32 v1, 0xef, v0
	s_waitcnt lgkmcnt(0)
	s_add_i32 s5, s24, 15
	s_clause 0x1
	s_load_b32 s4, s[0:1], 0x38
	s_load_b32 s33, s[0:1], 0x98
	s_ashr_i32 s6, s5, 31
	v_add_nc_u32_e32 v1, s12, v1
	s_lshr_b32 s6, s6, 28
	s_load_b32 s19, s[0:1], 0x1c
	s_add_i32 s5, s5, s6
	s_waitcnt lgkmcnt(0)
	v_ashrrev_i32_e32 v2, 31, v1
	v_or_b32_e32 v3, 16, v1
	s_ashr_i32 s13, s5, 4
	v_cmp_gt_i32_e32 vcc_lo, s24, v1
	s_add_i32 s13, s13, -1
	v_lshrrev_b32_e32 v2, 28, v2
	s_barrier
	buffer_gl0_inv
	s_mul_i32 s15, s15, s18
	v_add_nc_u32_e32 v4, v1, v2
	s_mul_i32 s4, s30, s4
	s_delay_alu instid0(SALU_CYCLE_1) | instskip(NEXT) | instid1(VALU_DEP_1)
	s_ashr_i32 s5, s4, 31
	v_ashrrev_i32_e32 v4, 4, v4
	v_add_nc_u32_e32 v2, v3, v2
	s_lshl_b64 s[4:5], s[4:5], 2
	s_delay_alu instid0(SALU_CYCLE_1) | instskip(NEXT) | instid1(VALU_DEP_2)
	s_add_u32 s16, s2, s4
	v_cndmask_b32_e32 v1, s13, v4, vcc_lo
	s_delay_alu instid0(VALU_DEP_2)
	v_ashrrev_i32_e32 v2, 4, v2
	v_cmp_gt_i32_e32 vcc_lo, s24, v3
	s_addc_u32 s25, s3, s5
	s_ashr_i32 s18, s15, 31
	s_add_u32 s26, s20, s15
	s_addc_u32 s27, s21, s18
	v_cndmask_b32_e32 v3, s13, v2, vcc_lo
	v_ashrrev_i32_e32 v2, 31, v1
	s_lshl_b32 s2, s14, 4
	s_delay_alu instid0(SALU_CYCLE_1) | instskip(NEXT) | instid1(VALU_DEP_2)
	s_ashr_i32 s3, s2, 31
	v_ashrrev_i32_e32 v4, 31, v3
	s_delay_alu instid0(VALU_DEP_2) | instskip(SKIP_1) | instid1(SALU_CYCLE_1)
	v_lshlrev_b64 v[1:2], 2, v[1:2]
	s_lshl_b64 s[2:3], s[2:3], 2
	s_add_u32 s2, s16, s2
	s_delay_alu instid0(VALU_DEP_2) | instskip(SKIP_1) | instid1(VALU_DEP_2)
	v_lshlrev_b64 v[3:4], 2, v[3:4]
	s_addc_u32 s3, s25, s3
	v_add_co_u32 v1, vcc_lo, s16, v1
	v_add_co_ci_u32_e32 v2, vcc_lo, s25, v2, vcc_lo
	s_delay_alu instid0(VALU_DEP_3) | instskip(NEXT) | instid1(VALU_DEP_4)
	v_add_co_u32 v3, vcc_lo, s16, v3
	v_add_co_ci_u32_e32 v4, vcc_lo, s25, v4, vcc_lo
	s_clause 0x1
	global_load_b32 v5, v[1:2], off
	global_load_b32 v7, v[3:4], off
	s_or_b32 s4, s12, 32
	v_lshlrev_b32_e32 v1, 4, v0
	s_ashr_i32 s5, s4, 4
	s_cmp_lt_i32 s4, s24
	v_cmp_gt_u32_e32 vcc_lo, 12, v68
	s_cselect_b32 s4, s5, s13
	v_and_b32_e32 v1, 0xf0, v1
	s_ashr_i32 s5, s4, 31
	s_delay_alu instid0(SALU_CYCLE_1) | instskip(NEXT) | instid1(SALU_CYCLE_1)
	s_lshl_b64 s[4:5], s[4:5], 2
	s_add_u32 s4, s16, s4
	s_addc_u32 s5, s25, s5
	s_or_b32 s6, s12, 64
	v_add_co_u32 v1, s26, s26, v1
	s_ashr_i32 s7, s6, 4
	s_cmp_lt_i32 s6, s24
	v_add_co_ci_u32_e64 v2, null, s27, 0, s26
	s_cselect_b32 s6, s7, s13
	s_delay_alu instid0(SALU_CYCLE_1) | instskip(NEXT) | instid1(SALU_CYCLE_1)
	s_ashr_i32 s7, s6, 31
	s_lshl_b64 s[6:7], s[6:7], 2
	s_delay_alu instid0(SALU_CYCLE_1) | instskip(SKIP_2) | instid1(SALU_CYCLE_1)
	s_add_u32 s6, s16, s6
	s_addc_u32 s7, s25, s7
	s_or_b32 s8, s12, 0x60
	s_ashr_i32 s9, s8, 4
	s_cmp_lt_i32 s8, s24
	s_cselect_b32 s8, s9, s13
	s_delay_alu instid0(SALU_CYCLE_1) | instskip(NEXT) | instid1(SALU_CYCLE_1)
	s_ashr_i32 s9, s8, 31
	s_lshl_b64 s[8:9], s[8:9], 2
	s_delay_alu instid0(SALU_CYCLE_1) | instskip(SKIP_2) | instid1(SALU_CYCLE_1)
	s_add_u32 s8, s16, s8
	s_addc_u32 s9, s25, s9
	s_or_b32 s10, s12, 0x80
	s_ashr_i32 s11, s10, 4
	s_cmp_lt_i32 s10, s24
	;; [unrolled: 10-line block ×3, first 2 shown]
	s_cselect_b32 s20, s21, s13
	s_delay_alu instid0(SALU_CYCLE_1) | instskip(NEXT) | instid1(SALU_CYCLE_1)
	s_ashr_i32 s21, s20, 31
	s_lshl_b64 s[20:21], s[20:21], 2
	s_delay_alu instid0(SALU_CYCLE_1)
	s_add_u32 s20, s16, s20
	s_addc_u32 s21, s25, s21
	s_clause 0x5
	s_load_b32 s26, s[2:3], 0x0
	s_load_b32 s27, s[4:5], 0x0
	;; [unrolled: 1-line block ×6, first 2 shown]
	s_or_b32 s2, s12, 0xc0
	s_mov_b32 s4, 0
	s_ashr_i32 s3, s2, 4
	s_cmp_lt_i32 s2, s24
	s_mov_b32 s11, s4
	s_cselect_b32 s2, s3, s13
	s_mov_b32 s5, s4
	s_ashr_i32 s3, s2, 31
	s_mov_b32 s6, s4
	s_lshl_b64 s[2:3], s[2:3], 2
	s_mov_b32 s7, s4
	s_add_u32 s2, s16, s2
	s_addc_u32 s3, s25, s3
	s_or_b32 s20, s12, 0xe0
	s_mov_b32 s8, s4
	s_ashr_i32 s21, s20, 4
	s_cmp_lt_i32 s20, s24
	s_mov_b32 s9, s4
	s_cselect_b32 s20, s21, s13
	s_mov_b32 s10, s4
	s_ashr_i32 s21, s20, 31
	v_mov_b32_e32 v118, s11
	v_dual_mov_b32 v112, s5 :: v_dual_mov_b32 v117, s10
	v_dual_mov_b32 v116, s9 :: v_dual_mov_b32 v115, s8
	;; [unrolled: 1-line block ×3, first 2 shown]
	v_mov_b32_e32 v111, s4
	s_lshl_b64 s[4:5], s[20:21], 2
	s_delay_alu instid0(SALU_CYCLE_1)
	s_add_u32 s4, s16, s4
	s_addc_u32 s5, s25, s5
	s_add_u32 s6, s22, s15
	s_addc_u32 s7, s23, s18
	s_waitcnt vmcnt(1)
	v_mad_i64_i32 v[3:4], null, v5, s17, v[1:2]
	s_waitcnt vmcnt(0)
	v_mad_i64_i32 v[5:6], null, v7, s17, v[1:2]
	v_add_nc_u32_e32 v1, -12, v68
	v_lshlrev_b32_e32 v2, 4, v68
	s_clause 0xf
	global_load_b128 v[17:20], v[3:4], off
	global_load_b128 v[21:24], v[3:4], off offset:256
	global_load_b128 v[25:28], v[5:6], off
	global_load_b128 v[29:32], v[5:6], off offset:256
	global_load_b128 v[57:60], v[3:4], off offset:512
	;; [unrolled: 1-line block ×13, first 2 shown]
	v_cndmask_b32_e32 v1, v1, v68, vcc_lo
	s_delay_alu instid0(VALU_DEP_1)
	v_lshlrev_b32_e32 v149, 6, v1
	v_lshl_or_b32 v1, v69, 8, v2
	ds_load_b128 v[119:122], v149
	ds_load_b128 v[123:126], v149 offset:1024
	ds_load_b128 v[127:130], v149 offset:2048
	;; [unrolled: 1-line block ×3, first 2 shown]
	s_clause 0x1
	s_load_b32 s2, s[2:3], 0x0
	s_load_b32 s3, s[4:5], 0x0
	v_add_co_u32 v135, s6, s6, v1
	s_delay_alu instid0(VALU_DEP_1) | instskip(SKIP_1) | instid1(VALU_DEP_1)
	v_add_co_ci_u32_e64 v136, null, s7, 0, s6
	s_waitcnt lgkmcnt(0)
	v_mad_i64_i32 v[1:2], null, s26, s17, v[135:136]
	v_mad_i64_i32 v[3:4], null, s27, s17, v[135:136]
	;; [unrolled: 1-line block ×6, first 2 shown]
	s_clause 0x9
	global_load_b128 v[49:52], v[1:2], off
	global_load_b128 v[53:56], v[1:2], off offset:16
	global_load_b128 v[41:44], v[3:4], off
	global_load_b128 v[45:48], v[3:4], off offset:16
	;; [unrolled: 2-line block ×5, first 2 shown]
	v_mad_i64_i32 v[145:146], null, s2, s17, v[135:136]
	v_mad_i64_i32 v[147:148], null, s3, s17, v[135:136]
	s_waitcnt vmcnt(24)
	v_wmma_f32_16x16x16_f16 v[135:142], v[17:24], v[119:126], v[111:118]
	s_waitcnt vmcnt(22)
	v_wmma_f32_16x16x16_f16 v[111:118], v[25:32], v[119:126], v[111:118]
	s_clause 0x3
	global_load_b128 v[17:20], v[143:144], off
	global_load_b128 v[21:24], v[143:144], off offset:16
	global_load_b128 v[25:28], v[145:146], off
	global_load_b128 v[29:32], v[145:146], off offset:16
	v_and_b32_e32 v119, 0xe0, v0
	s_waitcnt vmcnt(24)
	v_wmma_f32_16x16x16_f16 v[135:142], v[57:64], v[127:134], v[135:142]
	s_clause 0x1
	global_load_b128 v[57:60], v[147:148], off
	global_load_b128 v[61:64], v[147:148], off offset:16
	s_waitcnt vmcnt(24)
	v_wmma_f32_16x16x16_f16 v[111:118], v[71:78], v[127:134], v[111:118]
	ds_load_b128 v[71:74], v149 offset:4096
	ds_load_b128 v[75:78], v149 offset:5120
	v_add_nc_u32_e32 v128, s12, v119
	ds_load_b128 v[119:122], v149 offset:6144
	ds_load_b128 v[123:126], v149 offset:7168
	v_mbcnt_lo_u32_b32 v127, -1, 0
	s_waitcnt vmcnt(0) lgkmcnt(0)
	s_barrier
	v_or_b32_e32 v128, v128, v66
	buffer_gl0_inv
	v_xor_b32_e32 v129, 16, v127
	v_or_b32_e32 v130, 4, v128
	v_or_b32_e32 v131, 6, v128
	s_delay_alu instid0(VALU_DEP_3) | instskip(SKIP_4) | instid1(VALU_DEP_4)
	v_cmp_gt_i32_e32 vcc_lo, 32, v129
	v_or_b32_e32 v132, 8, v128
	v_or_b32_e32 v133, 10, v128
	v_cmp_gt_i32_e64 s3, s24, v130
	v_cmp_gt_i32_e64 s4, s24, v131
	;; [unrolled: 1-line block ×3, first 2 shown]
	v_wmma_f32_16x16x16_f16 v[135:142], v[79:86], v[71:78], v[135:142]
	v_wmma_f32_16x16x16_f16 v[111:118], v[87:94], v[71:78], v[111:118]
	v_or_b32_e32 v79, 12, v128
	v_or_b32_e32 v80, 14, v128
	v_cmp_gt_i32_e64 s6, s24, v133
	v_wmma_f32_16x16x16_f16 v[135:142], v[95:102], v[119:126], v[135:142]
	v_wmma_f32_16x16x16_f16 v[111:118], v[103:110], v[119:126], v[111:118]
	v_cndmask_b32_e32 v127, v127, v129, vcc_lo
	v_or_b32_e32 v129, 2, v128
	v_cmp_gt_i32_e32 vcc_lo, s24, v128
	v_mul_f32_e32 v88, s19, v135
	v_dual_mul_f32 v92, s19, v115 :: v_dual_mul_f32 v87, s19, v136
	s_delay_alu instid0(VALU_DEP_4)
	v_cmp_gt_i32_e64 s2, s24, v129
	v_mul_f32_e32 v78, s19, v138
	v_mul_f32_e32 v86, s19, v137
	v_cndmask_b32_e32 v88, 0xff7fffff, v88, vcc_lo
	v_mul_f32_e32 v76, s19, v140
	v_cndmask_b32_e64 v87, 0xff7fffff, v87, s2
	v_dual_mul_f32 v77, s19, v139 :: v_dual_mul_f32 v94, s19, v113
	v_cndmask_b32_e64 v86, 0xff7fffff, v86, s3
	v_cndmask_b32_e64 v78, 0xff7fffff, v78, s4
	s_delay_alu instid0(VALU_DEP_4)
	v_max3_f32 v87, v88, 0xff7fffff, v87
	v_or_b32_e32 v81, 16, v128
	v_or_b32_e32 v82, 18, v128
	v_dual_mul_f32 v74, s19, v142 :: v_dual_mul_f32 v75, s19, v141
	v_mul_f32_e32 v96, s19, v111
	v_cndmask_b32_e64 v77, 0xff7fffff, v77, s5
	v_cndmask_b32_e64 v76, 0xff7fffff, v76, s6
	v_max3_f32 v78, v87, v86, v78
	v_cmp_gt_i32_e64 s7, s24, v79
	v_cmp_gt_i32_e64 s8, s24, v80
	v_or_b32_e32 v83, 20, v128
	v_or_b32_e32 v84, 22, v128
	v_mul_f32_e32 v95, s19, v112
	v_cndmask_b32_e64 v75, 0xff7fffff, v75, s7
	v_cndmask_b32_e64 v74, 0xff7fffff, v74, s8
	v_max3_f32 v76, v78, v77, v76
	v_cmp_gt_i32_e64 s9, s24, v81
	v_cmp_gt_i32_e64 s10, s24, v82
	v_or_b32_e32 v85, 24, v128
	v_or_b32_e32 v71, 26, v128
	;; [unrolled: 8-line block ×3, first 2 shown]
	v_mul_f32_e32 v91, s19, v116
	v_cndmask_b32_e64 v75, 0xff7fffff, v94, s11
	v_cndmask_b32_e64 v76, 0xff7fffff, v93, s12
	v_max3_f32 v74, v74, v77, v78
	v_cmp_gt_i32_e64 s13, s24, v85
	v_cmp_gt_i32_e64 s15, s24, v71
	v_dual_mul_f32 v89, s19, v118 :: v_dual_mul_f32 v90, s19, v117
	s_delay_alu instid0(VALU_DEP_4) | instskip(NEXT) | instid1(VALU_DEP_4)
	v_max3_f32 v74, v74, v75, v76
	v_cndmask_b32_e64 v77, 0xff7fffff, v92, s13
	s_delay_alu instid0(VALU_DEP_4) | instskip(SKIP_2) | instid1(VALU_DEP_3)
	v_cndmask_b32_e64 v71, 0xff7fffff, v91, s15
	v_cmp_gt_i32_e64 s16, s24, v72
	v_cmp_gt_i32_e64 s17, s24, v73
	v_max3_f32 v71, v74, v77, v71
	s_delay_alu instid0(VALU_DEP_3) | instskip(NEXT) | instid1(VALU_DEP_3)
	v_cndmask_b32_e64 v72, 0xff7fffff, v90, s16
	v_cndmask_b32_e64 v73, 0xff7fffff, v89, s17
	v_lshlrev_b32_e32 v74, 2, v127
	s_delay_alu instid0(VALU_DEP_2) | instskip(SKIP_3) | instid1(VALU_DEP_1)
	v_max3_f32 v71, v71, v72, v73
	ds_bpermute_b32 v72, v74, v71
	s_waitcnt lgkmcnt(0)
	v_max_f32_e32 v72, v72, v72
	v_max_f32_e32 v71, v71, v72
	s_delay_alu instid0(VALU_DEP_1) | instskip(SKIP_4) | instid1(VALU_DEP_4)
	v_fma_f32 v72, s19, v135, -v71
	v_fma_f32 v73, s19, v136, -v71
	;; [unrolled: 1-line block ×5, first 2 shown]
	v_dual_mul_f32 v72, 0x3fb8aa3b, v72 :: v_dual_mul_f32 v73, 0x3fb8aa3b, v73
	v_fma_f32 v80, s19, v141, -v71
	s_delay_alu instid0(VALU_DEP_3) | instskip(NEXT) | instid1(VALU_DEP_3)
	v_dual_mul_f32 v76, 0x3fb8aa3b, v76 :: v_dual_mul_f32 v77, 0x3fb8aa3b, v77
	v_exp_f32_e32 v72, v72
	s_delay_alu instid0(VALU_DEP_3) | instskip(NEXT) | instid1(VALU_DEP_2)
	v_exp_f32_e32 v73, v73
	v_mul_f32_e32 v82, 0x3fb8aa3b, v80
	s_delay_alu instid0(VALU_DEP_2) | instskip(SKIP_1) | instid1(VALU_DEP_1)
	v_exp_f32_e32 v76, v76
	v_exp_f32_e32 v77, v77
	;; [unrolled: 1-line block ×3, first 2 shown]
	v_cndmask_b32_e32 v79, 0, v72, vcc_lo
	v_fma_f32 v72, s19, v140, -v71
	v_mul_f32_e32 v75, 0x3fb8aa3b, v75
	v_cndmask_b32_e64 v78, 0, v73, s2
	s_delay_alu instid0(TRANS32_DEP_3) | instskip(NEXT) | instid1(VALU_DEP_4)
	v_cndmask_b32_e64 v80, 0, v76, s4
	v_dual_add_f32 v73, 0, v79 :: v_dual_mul_f32 v72, 0x3fb8aa3b, v72
	s_delay_alu instid0(VALU_DEP_4) | instskip(NEXT) | instid1(TRANS32_DEP_3)
	v_exp_f32_e32 v75, v75
	v_cndmask_b32_e64 v83, 0, v77, s5
	s_delay_alu instid0(TRANS32_DEP_2) | instskip(NEXT) | instid1(VALU_DEP_3)
	v_cndmask_b32_e64 v85, 0, v84, s7
	v_add_f32_e32 v73, v73, v78
	v_exp_f32_e32 v72, v72
	s_mov_b32 s2, exec_lo
	s_waitcnt_depctr 0xfff
	v_cndmask_b32_e64 v81, 0, v75, s3
	v_cndmask_b32_e64 v82, 0, v72, s6
	s_delay_alu instid0(VALU_DEP_2) | instskip(NEXT) | instid1(VALU_DEP_1)
	v_add_f32_e32 v73, v73, v81
	v_add_f32_e32 v73, v73, v80
	s_delay_alu instid0(VALU_DEP_1) | instskip(NEXT) | instid1(VALU_DEP_1)
	v_add_f32_e32 v72, v73, v83
	v_add_f32_e32 v72, v72, v82
	s_delay_alu instid0(VALU_DEP_1)
	v_add_f32_e32 v72, v72, v85
	v_fma_f32 v76, s19, v111, -v71
	v_fma_f32 v75, s19, v142, -v71
	;; [unrolled: 1-line block ×5, first 2 shown]
	v_mul_f32_e32 v76, 0x3fb8aa3b, v76
	s_delay_alu instid0(VALU_DEP_4) | instskip(NEXT) | instid1(VALU_DEP_2)
	v_mul_f32_e32 v86, 0x3fb8aa3b, v86
	v_exp_f32_e32 v76, v76
	s_delay_alu instid0(VALU_DEP_1)
	v_exp_f32_e32 v88, v86
	s_waitcnt_depctr 0xfff
	v_cndmask_b32_e64 v87, 0, v76, s9
	v_fma_f32 v76, s19, v116, -v71
	v_mul_f32_e32 v75, 0x3fb8aa3b, v75
	v_cndmask_b32_e64 v88, 0, v88, s12
	s_delay_alu instid0(VALU_DEP_3) | instskip(NEXT) | instid1(VALU_DEP_3)
	v_dual_mul_f32 v73, 0x3fb8aa3b, v73 :: v_dual_mul_f32 v76, 0x3fb8aa3b, v76
	v_exp_f32_e32 v75, v75
	s_delay_alu instid0(VALU_DEP_1) | instskip(NEXT) | instid1(VALU_DEP_1)
	v_exp_f32_e32 v73, v73
	v_exp_f32_e32 v76, v76
	s_delay_alu instid0(TRANS32_DEP_3)
	v_cndmask_b32_e64 v84, 0, v75, s8
	v_fma_f32 v75, s19, v115, -v71
	s_waitcnt_depctr 0xfff
	v_cndmask_b32_e64 v89, 0, v73, s11
	v_cndmask_b32_e64 v90, 0, v76, s15
	v_add_f32_e32 v72, v72, v84
	s_delay_alu instid0(VALU_DEP_1) | instskip(NEXT) | instid1(VALU_DEP_1)
	v_dual_add_f32 v72, v72, v87 :: v_dual_mul_f32 v77, 0x3fb8aa3b, v77
	v_exp_f32_e32 v77, v77
	s_waitcnt_depctr 0xfff
	v_cndmask_b32_e64 v86, 0, v77, s10
	v_fma_f32 v77, s19, v117, -v71
	s_delay_alu instid0(VALU_DEP_2) | instskip(NEXT) | instid1(VALU_DEP_1)
	v_dual_add_f32 v72, v72, v86 :: v_dual_mul_f32 v75, 0x3fb8aa3b, v75
	v_add_f32_e32 v72, v72, v89
	s_delay_alu instid0(VALU_DEP_2) | instskip(NEXT) | instid1(VALU_DEP_1)
	v_exp_f32_e32 v75, v75
	v_add_f32_e32 v72, v72, v88
	s_waitcnt_depctr 0xfff
	v_cndmask_b32_e64 v91, 0, v75, s13
	v_mul_f32_e32 v73, 0x3fb8aa3b, v77
	v_fma_f32 v77, s19, v118, -v71
	s_delay_alu instid0(VALU_DEP_3) | instskip(NEXT) | instid1(VALU_DEP_3)
	v_add_f32_e32 v72, v72, v91
	v_exp_f32_e32 v73, v73
	s_delay_alu instid0(VALU_DEP_1) | instskip(NEXT) | instid1(VALU_DEP_1)
	v_dual_mul_f32 v75, 0x3fb8aa3b, v77 :: v_dual_add_f32 v72, v72, v90
	v_exp_f32_e32 v75, v75
	s_waitcnt_depctr 0xfff
	v_cndmask_b32_e64 v93, 0, v73, s16
	s_delay_alu instid0(VALU_DEP_1) | instskip(SKIP_1) | instid1(VALU_DEP_1)
	v_add_f32_e32 v72, v72, v93
	v_cndmask_b32_e64 v92, 0, v75, s17
	v_add_f32_e32 v72, v72, v92
	ds_bpermute_b32 v73, v74, v72
	v_cmpx_gt_u32_e32 16, v70
	s_cbranch_execz .LBB981_12
; %bb.11:
	v_mul_u32_u24_e32 v70, 0x44, v69
	s_waitcnt lgkmcnt(0)
	v_add_f32_e32 v72, v72, v73
	s_delay_alu instid0(VALU_DEP_2) | instskip(NEXT) | instid1(VALU_DEP_1)
	v_lshl_add_u32 v70, v68, 2, v70
	v_add_nc_u32_e32 v70, 0x4000, v70
	ds_store_2addr_b32 v70, v71, v72 offset1:136
.LBB981_12:
	s_or_b32 exec_lo, exec_lo, s2
	v_lshlrev_b32_e32 v70, 2, v68
	s_load_b32 s34, s[0:1], 0x94
	s_waitcnt lgkmcnt(0)
	s_barrier
	buffer_gl0_inv
	v_add_nc_u32_e32 v98, 0x4000, v70
	v_cmp_eq_u32_e32 vcc_lo, 1, v69
	v_cmp_eq_u32_e64 s2, 2, v69
	v_cmp_eq_u32_e64 s3, 3, v69
	;; [unrolled: 1-line block ×3, first 2 shown]
	ds_load_2addr_b32 v[70:71], v98 offset1:17
	ds_load_2addr_b32 v[72:73], v98 offset0:34 offset1:51
	ds_load_2addr_b32 v[74:75], v98 offset0:68 offset1:85
	;; [unrolled: 1-line block ×3, first 2 shown]
	v_cmp_eq_u32_e64 s5, 5, v69
	v_cmp_eq_u32_e64 s6, 7, v69
	s_waitcnt lgkmcnt(3)
	v_max3_f32 v76, v70, 0xff7fffff, v71
	s_waitcnt lgkmcnt(2)
	s_delay_alu instid0(VALU_DEP_1) | instskip(SKIP_1) | instid1(VALU_DEP_1)
	v_max3_f32 v76, v76, v72, v73
	s_waitcnt lgkmcnt(1)
	v_max3_f32 v76, v76, v74, v75
	s_waitcnt lgkmcnt(0)
	s_delay_alu instid0(VALU_DEP_1) | instskip(NEXT) | instid1(VALU_DEP_1)
	v_max3_f32 v76, v76, v94, v95
	v_sub_f32_e32 v77, v71, v76
	ds_load_2addr_b32 v[96:97], v98 offset0:136 offset1:153
	v_sub_f32_e32 v74, v74, v76
	v_sub_f32_e32 v70, v70, v76
	;; [unrolled: 1-line block ×3, first 2 shown]
	v_dual_sub_f32 v72, v72, v76 :: v_dual_mul_f32 v77, 0x3fb8aa3b, v77
	s_delay_alu instid0(VALU_DEP_4) | instskip(NEXT) | instid1(VALU_DEP_4)
	v_mul_f32_e32 v103, 0x3fb8aa3b, v74
	v_mul_f32_e32 v99, 0x3fb8aa3b, v70
	ds_load_2addr_b32 v[70:71], v98 offset0:170 offset1:187
	v_dual_mul_f32 v101, 0x3fb8aa3b, v72 :: v_dual_mul_f32 v94, 0x3fb8aa3b, v94
	v_exp_f32_e32 v102, v77
	v_exp_f32_e32 v99, v99
	s_delay_alu instid0(VALU_DEP_1) | instskip(NEXT) | instid1(VALU_DEP_1)
	v_exp_f32_e32 v101, v101
	v_exp_f32_e32 v94, v94
	s_waitcnt lgkmcnt(1)
	s_delay_alu instid0(TRANS32_DEP_3)
	v_fma_f32 v77, v99, v96, 0
	v_sub_f32_e32 v100, v73, v76
	ds_load_2addr_b32 v[72:73], v98 offset0:204 offset1:221
	v_fmac_f32_e32 v77, v102, v97
	v_exp_f32_e32 v97, v103
	s_waitcnt lgkmcnt(1)
	s_delay_alu instid0(VALU_DEP_1)
	v_dual_fmac_f32 v77, v101, v70 :: v_dual_sub_f32 v96, v75, v76
	ds_load_2addr_b32 v[74:75], v98 offset0:238 offset1:255
	v_sub_f32_e32 v70, v95, v76
	s_waitcnt lgkmcnt(0)
	s_barrier
	v_mul_f32_e32 v96, 0x3fb8aa3b, v96
	buffer_gl0_inv
	v_exp_f32_e32 v95, v96
	v_mul_f32_e32 v100, 0x3fb8aa3b, v100
	s_delay_alu instid0(VALU_DEP_1) | instskip(SKIP_3) | instid1(VALU_DEP_2)
	v_exp_f32_e32 v100, v100
	s_waitcnt_depctr 0xfff
	v_dual_fmac_f32 v77, v100, v71 :: v_dual_mul_f32 v70, 0x3fb8aa3b, v70
	v_cndmask_b32_e32 v71, v99, v102, vcc_lo
	v_fmac_f32_e32 v77, v97, v72
	s_delay_alu instid0(VALU_DEP_3) | instskip(NEXT) | instid1(VALU_DEP_1)
	v_exp_f32_e32 v96, v70
	v_fmac_f32_e32 v77, v95, v73
	s_delay_alu instid0(VALU_DEP_1) | instskip(SKIP_2) | instid1(VALU_DEP_1)
	v_fmac_f32_e32 v77, v94, v74
	s_waitcnt_depctr 0xfff
	v_fmac_f32_e32 v77, v96, v75
	v_add_f32_e32 v74, 0x358637bd, v77
	s_delay_alu instid0(VALU_DEP_1) | instskip(SKIP_1) | instid1(VALU_DEP_2)
	v_div_scale_f32 v98, null, v74, v74, 1.0
	v_div_scale_f32 v99, vcc_lo, 1.0, v74, 1.0
	v_rcp_f32_e32 v103, v98
	s_waitcnt_depctr 0xfff
	v_fma_f32 v70, -v98, v103, 1.0
	s_delay_alu instid0(VALU_DEP_1) | instskip(SKIP_2) | instid1(VALU_DEP_2)
	v_fmac_f32_e32 v103, v70, v103
	v_cndmask_b32_e64 v70, v71, v101, s2
	v_cmp_eq_u32_e64 s2, 6, v69
	v_cndmask_b32_e64 v71, v70, v100, s3
	s_delay_alu instid0(VALU_DEP_4) | instskip(NEXT) | instid1(VALU_DEP_2)
	v_dual_mul_f32 v101, v99, v103 :: v_dual_lshlrev_b32 v70, 2, v66
	v_cndmask_b32_e64 v71, v71, v97, s4
	s_delay_alu instid0(VALU_DEP_2) | instskip(NEXT) | instid1(VALU_DEP_3)
	v_or_b32_e32 v72, 1, v70
	v_fma_f32 v100, -v98, v101, v99
	v_cmp_eq_u32_e64 s3, 1, v70
	v_cmp_eq_u32_e64 s4, 2, v70
	v_cndmask_b32_e64 v95, v71, v95, s5
	v_or_b32_e32 v71, 3, v70
	v_fmac_f32_e32 v101, v100, v103
	v_cmp_eq_u32_e64 s8, 1, v72
	v_cmp_eq_u32_e64 s11, 2, v72
	v_cndmask_b32_e64 v94, v95, v94, s2
	v_cmp_eq_u32_e64 s10, 1, v71
	v_fma_f32 v97, -v98, v101, v99
	v_cmp_eq_u32_e64 s15, 2, v71
	v_cmp_eq_u32_e64 s12, 3, v72
	v_cndmask_b32_e64 v94, v94, v96, s6
	v_cmp_eq_u32_e64 s17, 3, v71
	v_div_fmas_f32 v95, v97, v103, v101
	v_cmp_eq_u32_e32 vcc_lo, 3, v70
	v_cmp_eq_u32_e64 s2, 4, v70
	v_cmp_eq_u32_e64 s18, 4, v72
	;; [unrolled: 1-line block ×3, first 2 shown]
	v_div_fixup_f32 v95, v95, v74, 1.0
	v_lshlrev_b32_e32 v73, 6, v68
	v_cmp_eq_u32_e64 s5, 5, v70
	v_cmp_eq_u32_e64 s19, 5, v72
	;; [unrolled: 1-line block ×3, first 2 shown]
	v_mul_f32_e32 v102, v94, v95
	v_lshl_or_b32 v75, v69, 11, v73
	v_or_b32_e32 v69, 2, v70
	v_cmp_eq_u32_e64 s24, 6, v72
	v_cmp_eq_u32_e64 s26, 6, v71
	v_fma_mixlo_f16 v94, v102, v79, 0
	v_fma_mixlo_f16 v95, v102, v81, 0
	;; [unrolled: 1-line block ×8, first 2 shown]
	v_lshl_or_b32 v74, v66, 4, v75
	v_fma_mixhi_f16 v94, v102, v78, 0
	v_fma_mixhi_f16 v95, v102, v80, 0
	v_fma_mixhi_f16 v96, v102, v82, 0
	v_fma_mixhi_f16 v97, v102, v84, 0
	v_fma_mixhi_f16 v98, v102, v86, 0
	v_fma_mixhi_f16 v99, v102, v88, 0
	v_fma_mixhi_f16 v100, v102, v90, 0
	v_fma_mixhi_f16 v101, v102, v92, 0
	ds_store_b128 v74, v[94:97]
	ds_store_b128 v74, v[98:101] offset:1024
	s_waitcnt lgkmcnt(0)
	s_barrier
	buffer_gl0_inv
	ds_load_b128 v[78:81], v75
	ds_load_b128 v[82:85], v75 offset:16
	ds_load_b128 v[86:89], v75 offset:1024
	;; [unrolled: 1-line block ×3, first 2 shown]
	v_cmp_eq_u32_e64 s9, 1, v69
	v_cmp_eq_u32_e64 s13, 2, v69
	;; [unrolled: 1-line block ×11, first 2 shown]
	s_waitcnt lgkmcnt(3)
	v_lshrrev_b32_e32 v94, 16, v78
	s_waitcnt lgkmcnt(2)
	v_lshrrev_b32_e32 v98, 16, v82
	;; [unrolled: 2-line block ×4, first 2 shown]
	v_lshrrev_b32_e32 v95, 16, v79
	v_cndmask_b32_e64 v110, v78, v94, s3
	v_cndmask_b32_e64 v111, v82, v98, s3
	v_cndmask_b32_e64 v112, v78, v94, s8
	v_cndmask_b32_e64 v113, v82, v98, s8
	v_cndmask_b32_e64 v114, v78, v94, s9
	v_cndmask_b32_e64 v115, v82, v98, s9
	v_cndmask_b32_e64 v78, v78, v94, s10
	v_cndmask_b32_e64 v82, v82, v98, s10
	v_lshrrev_b32_e32 v99, 16, v83
	v_cndmask_b32_e64 v94, v86, v102, s3
	v_cndmask_b32_e64 v98, v90, v106, s3
	;; [unrolled: 1-line block ×15, first 2 shown]
	v_lshrrev_b32_e32 v103, 16, v87
	v_lshrrev_b32_e32 v107, 16, v91
	v_cndmask_b32_e64 v113, v115, v83, s13
	v_cndmask_b32_e64 v82, v94, v87, s4
	;; [unrolled: 1-line block ×7, first 2 shown]
	v_cndmask_b32_e32 v90, v102, v95, vcc_lo
	v_cndmask_b32_e32 v102, v106, v99, vcc_lo
	v_cndmask_b32_e64 v106, v110, v95, s12
	v_cndmask_b32_e64 v110, v111, v99, s12
	;; [unrolled: 1-line block ×4, first 2 shown]
	v_lshrrev_b32_e32 v96, 16, v80
	v_lshrrev_b32_e32 v100, 16, v84
	v_cndmask_b32_e64 v111, v112, v95, s16
	v_cndmask_b32_e64 v112, v113, v99, s16
	v_cndmask_b32_e32 v82, v82, v103, vcc_lo
	v_cndmask_b32_e32 v83, v83, v107, vcc_lo
	v_cndmask_b32_e64 v94, v94, v103, s12
	v_cndmask_b32_e64 v90, v90, v80, s2
	;; [unrolled: 1-line block ×7, first 2 shown]
	v_lshrrev_b32_e32 v104, 16, v88
	v_cndmask_b32_e64 v106, v111, v80, s20
	v_cndmask_b32_e64 v110, v112, v84, s20
	v_cndmask_b32_e64 v80, v82, v88, s2
	v_cndmask_b32_e64 v82, v83, v92, s2
	v_cndmask_b32_e64 v83, v94, v88, s18
	v_cndmask_b32_e64 v84, v90, v96, s5
	v_cndmask_b32_e64 v90, v95, v100, s5
	v_cndmask_b32_e64 v94, v99, v96, s19
	v_cndmask_b32_e64 v95, v102, v100, s19
	v_cndmask_b32_e64 v78, v78, v96, s23
	v_cndmask_b32_e64 v79, v79, v100, s23
	v_lshrrev_b32_e32 v97, 16, v81
	v_lshrrev_b32_e32 v101, 16, v85
	v_cndmask_b32_e64 v99, v106, v96, s22
	v_cndmask_b32_e64 v102, v110, v100, s22
	;; [unrolled: 1-line block ×7, first 2 shown]
	v_lshrrev_b32_e32 v105, 16, v89
	v_cndmask_b32_e64 v80, v80, v104, s5
	v_cndmask_b32_e64 v84, v84, v81, s6
	;; [unrolled: 1-line block ×16, first 2 shown]
	v_perm_b32 v81, v79, v78, 0x5040100
	v_perm_b32 v79, v95, v85, 0x5040100
	v_cndmask_b32_e64 v78, v119, v91, s13
	v_cndmask_b32_e64 v85, v117, v91, s11
	;; [unrolled: 1-line block ×3, first 2 shown]
	v_perm_b32 v80, v94, v90, 0x5040100
	v_cndmask_b32_e64 v90, v98, v103, s16
	v_cndmask_b32_e64 v86, v86, v103, s17
	;; [unrolled: 1-line block ×5, first 2 shown]
	v_lshrrev_b32_e32 v108, 16, v92
	v_cndmask_b32_e64 v90, v90, v88, s20
	v_cndmask_b32_e64 v86, v86, v88, s21
	;; [unrolled: 1-line block ×11, first 2 shown]
	v_lshrrev_b32_e32 v109, 16, v93
	v_cndmask_b32_e64 v82, v82, v93, s6
	v_cndmask_b32_e64 v88, v88, v89, s25
	;; [unrolled: 1-line block ×12, first 2 shown]
	v_perm_b32 v78, v84, v83, 0x5040100
	v_perm_b32 v85, v87, v86, 0x5040100
	;; [unrolled: 1-line block ×5, first 2 shown]
	s_mul_i32 s7, s33, 12
	s_mov_b32 s2, exec_lo
	ds_store_b128 v74, v[78:81]
	ds_store_b128 v74, v[82:85] offset:1024
	v_cmpx_gt_u32_e32 12, v0
	s_cbranch_execz .LBB981_14
; %bb.13:
	s_mul_i32 s3, s7, s30
	s_load_b128 s[8:11], s[0:1], 0x58
	v_add3_u32 v68, s3, s31, v68
	s_delay_alu instid0(VALU_DEP_1) | instskip(NEXT) | instid1(VALU_DEP_1)
	v_mad_u64_u32 v[78:79], null, v68, s34, s[14:15]
	v_ashrrev_i32_e32 v79, 31, v78
	s_delay_alu instid0(VALU_DEP_1) | instskip(SKIP_1) | instid1(VALU_DEP_1)
	v_lshlrev_b64 v[78:79], 2, v[78:79]
	s_waitcnt lgkmcnt(0)
	v_add_co_u32 v80, vcc_lo, s10, v78
	s_delay_alu instid0(VALU_DEP_2)
	v_add_co_ci_u32_e32 v81, vcc_lo, s11, v79, vcc_lo
	v_add_co_u32 v78, vcc_lo, s8, v78
	v_add_co_ci_u32_e32 v79, vcc_lo, s9, v79, vcc_lo
	global_store_b32 v[80:81], v76, off
	global_store_b32 v[78:79], v77, off
.LBB981_14:
	s_or_b32 exec_lo, exec_lo, s2
	s_waitcnt lgkmcnt(0)
	s_waitcnt_vscnt null, 0x0
	s_barrier
	buffer_gl0_inv
	ds_load_b128 v[84:87], v73
	ds_load_b128 v[88:91], v73 offset:16
	ds_load_b128 v[96:99], v73 offset:2064
	;; [unrolled: 1-line block ×5, first 2 shown]
	v_cmp_eq_u32_e32 vcc_lo, 1, v70
	v_mov_b32_e32 v76, 0
	ds_load_b128 v[112:115], v73 offset:6160
	ds_load_b128 v[108:111], v73 offset:6144
	;; [unrolled: 1-line block ×4, first 2 shown]
	v_cmp_eq_u32_e64 s3, 1, v69
	v_cmp_eq_u32_e64 s2, 1, v72
	;; [unrolled: 1-line block ×3, first 2 shown]
	v_mov_b32_e32 v77, v76
	v_mov_b32_e32 v78, v76
	;; [unrolled: 1-line block ×7, first 2 shown]
	v_cmp_eq_u32_e64 s5, 3, v72
	v_cmp_eq_u32_e64 s6, 7, v72
	s_waitcnt lgkmcnt(8)
	s_delay_alu instid0(VALU_DEP_3)
	v_wmma_f32_16x16x16_f16 v[76:83], v[49:56], v[84:91], v[76:83]
	ds_load_b128 v[53:56], v73 offset:10256
	ds_load_b128 v[49:52], v73 offset:10240
	s_waitcnt lgkmcnt(8)
	v_wmma_f32_16x16x16_f16 v[76:83], v[41:48], v[92:99], v[76:83]
	ds_load_b128 v[45:48], v73 offset:12304
	ds_load_b128 v[41:44], v73 offset:12288
	s_waitcnt lgkmcnt(8)
	;; [unrolled: 4-line block ×3, first 2 shown]
	s_barrier
	buffer_gl0_inv
	v_wmma_f32_16x16x16_f16 v[76:83], v[1:8], v[108:115], v[76:83]
	s_delay_alu instid0(VALU_DEP_1) | instskip(NEXT) | instid1(VALU_DEP_1)
	v_wmma_f32_16x16x16_f16 v[76:83], v[9:16], v[116:123], v[76:83]
	v_wmma_f32_16x16x16_f16 v[76:83], v[17:24], v[49:56], v[76:83]
	s_delay_alu instid0(VALU_DEP_1) | instskip(NEXT) | instid1(VALU_DEP_1)
	v_wmma_f32_16x16x16_f16 v[76:83], v[25:32], v[41:48], v[76:83]
	v_wmma_f32_16x16x16_f16 v[76:83], v[57:64], v[33:40], v[76:83]
	s_delay_alu instid0(VALU_DEP_1) | instskip(NEXT) | instid1(VALU_DEP_2)
	v_cvt_f16_f32_e32 v1, v76
	v_cvt_f16_f32_e32 v2, v77
	s_delay_alu instid0(VALU_DEP_3) | instskip(NEXT) | instid1(VALU_DEP_4)
	v_cvt_f16_f32_e32 v3, v78
	v_cvt_f16_f32_e32 v4, v79
	;; [unrolled: 1-line block ×6, first 2 shown]
	v_pack_b32_f16 v1, v1, v2
	v_pack_b32_f16 v2, v3, v4
	v_pack_b32_f16 v3, v5, v6
	s_delay_alu instid0(VALU_DEP_4)
	v_pack_b32_f16 v4, v7, v8
	ds_store_b128 v74, v[1:4]
	s_waitcnt lgkmcnt(0)
	s_barrier
	buffer_gl0_inv
	ds_load_b128 v[1:4], v75
	ds_load_b128 v[5:8], v75 offset:16
	s_waitcnt lgkmcnt(1)
	v_lshrrev_b32_e32 v9, 16, v1
	s_waitcnt lgkmcnt(0)
	v_lshrrev_b32_e32 v13, 16, v5
	v_lshrrev_b32_e32 v10, 16, v2
	;; [unrolled: 1-line block ×4, first 2 shown]
	v_cndmask_b32_e32 v17, v1, v9, vcc_lo
	v_cndmask_b32_e32 v18, v5, v13, vcc_lo
	v_cndmask_b32_e64 v21, v1, v9, s3
	v_cmp_eq_u32_e32 vcc_lo, 1, v71
	v_cndmask_b32_e64 v22, v5, v13, s3
	v_cmp_eq_u32_e64 s3, 2, v70
	v_cndmask_b32_e64 v19, v1, v9, s2
	v_cndmask_b32_e64 v20, v5, v13, s2
	v_cndmask_b32_e32 v1, v1, v9, vcc_lo
	v_cmp_eq_u32_e64 s2, 2, v71
	v_cndmask_b32_e32 v5, v5, v13, vcc_lo
	v_cndmask_b32_e64 v9, v17, v2, s3
	v_cmp_eq_u32_e32 vcc_lo, 3, v70
	v_cndmask_b32_e64 v13, v18, v6, s3
	v_cmp_eq_u32_e64 s3, 2, v69
	v_cndmask_b32_e64 v17, v19, v2, s4
	v_cndmask_b32_e64 v18, v20, v6, s4
	v_cmp_eq_u32_e64 s4, 3, v69
	v_cndmask_b32_e64 v1, v1, v2, s2
	v_cndmask_b32_e64 v19, v21, v2, s3
	;; [unrolled: 1-line block ×4, first 2 shown]
	v_cndmask_b32_e32 v5, v9, v10, vcc_lo
	v_cndmask_b32_e32 v6, v13, v14, vcc_lo
	v_cmp_eq_u32_e32 vcc_lo, 3, v71
	v_cndmask_b32_e64 v9, v17, v10, s5
	v_cndmask_b32_e64 v13, v18, v14, s5
	;; [unrolled: 1-line block ×3, first 2 shown]
	v_cmp_eq_u32_e64 s3, 4, v70
	v_cndmask_b32_e32 v1, v1, v10, vcc_lo
	v_cndmask_b32_e32 v2, v2, v14, vcc_lo
	v_cmp_eq_u32_e32 vcc_lo, 4, v72
	v_lshrrev_b32_e32 v15, 16, v7
	v_lshrrev_b32_e32 v16, 16, v8
	v_cndmask_b32_e64 v17, v19, v10, s4
	v_cmp_eq_u32_e64 s2, 4, v71
	v_cndmask_b32_e64 v5, v5, v3, s3
	v_cndmask_b32_e64 v6, v6, v7, s3
	v_cndmask_b32_e32 v9, v9, v3, vcc_lo
	v_cmp_eq_u32_e64 s3, 5, v72
	v_cndmask_b32_e32 v10, v13, v7, vcc_lo
	v_cmp_eq_u32_e32 vcc_lo, 4, v69
	v_cmp_eq_u32_e64 s4, 5, v70
	v_cndmask_b32_e64 v2, v2, v7, s2
	v_cndmask_b32_e64 v9, v9, v11, s3
	;; [unrolled: 1-line block ×3, first 2 shown]
	v_cndmask_b32_e32 v13, v17, v3, vcc_lo
	v_cmp_eq_u32_e64 s3, 5, v69
	v_cndmask_b32_e32 v14, v18, v7, vcc_lo
	v_cndmask_b32_e64 v1, v1, v3, s2
	v_cmp_eq_u32_e32 vcc_lo, 5, v71
	v_lshrrev_b32_e32 v12, 16, v4
	v_cndmask_b32_e64 v13, v13, v11, s3
	v_cndmask_b32_e64 v3, v14, v15, s3
	v_cmp_eq_u32_e64 s3, 6, v71
	v_cndmask_b32_e32 v1, v1, v11, vcc_lo
	v_cndmask_b32_e64 v5, v5, v11, s4
	v_cmp_eq_u32_e64 s5, 6, v70
	v_cndmask_b32_e64 v6, v6, v15, s4
	v_cmp_eq_u32_e64 s4, 6, v72
	v_cmp_eq_u32_e64 s2, 6, v69
	v_cndmask_b32_e64 v1, v1, v4, s3
	v_cndmask_b32_e32 v2, v2, v15, vcc_lo
	v_cmp_eq_u32_e32 vcc_lo, 7, v71
	v_cndmask_b32_e64 v5, v5, v4, s5
	v_cndmask_b32_e64 v9, v9, v4, s4
	;; [unrolled: 1-line block ×3, first 2 shown]
	v_cmp_eq_u32_e64 s5, 7, v70
	v_cndmask_b32_e32 v1, v1, v12, vcc_lo
	v_cndmask_b32_e64 v7, v13, v4, s2
	v_cndmask_b32_e64 v3, v3, v8, s2
	;; [unrolled: 1-line block ×3, first 2 shown]
	v_cmp_eq_u32_e64 s2, 7, v69
	v_cndmask_b32_e64 v4, v10, v8, s4
	v_cndmask_b32_e64 v5, v5, v12, s5
	;; [unrolled: 1-line block ×3, first 2 shown]
	v_cndmask_b32_e32 v2, v2, v16, vcc_lo
	v_cndmask_b32_e64 v7, v7, v12, s2
	v_cndmask_b32_e64 v3, v3, v16, s2
	;; [unrolled: 1-line block ×4, first 2 shown]
	v_perm_b32 v4, v2, v1, 0x5040100
	s_mov_b32 s2, exec_lo
	v_perm_b32 v3, v3, v7, 0x5040100
	v_perm_b32 v2, v8, v9, 0x5040100
	;; [unrolled: 1-line block ×3, first 2 shown]
	ds_store_b128 v74, v[1:4]
	s_waitcnt lgkmcnt(0)
	s_barrier
	buffer_gl0_inv
	v_cmpx_gt_u32_e32 32, v0
	s_cbranch_execz .LBB981_2
; %bb.15:
	s_load_b64 s[0:1], s[0:1], 0x68
	v_lshlrev_b32_e32 v0, 10, v0
	s_lshl_b32 s4, s34, 7
	v_or_b32_e32 v3, s31, v66
	s_mul_i32 s2, s4, s30
	v_lshlrev_b32_e32 v1, 4, v67
	s_mul_i32 s2, s2, s7
	v_lshlrev_b32_e32 v2, 6, v66
	v_and_b32_e32 v0, 0x3800, v0
	s_ashr_i32 s3, s2, 31
	v_mul_lo_u32 v4, v3, s4
	s_lshl_b64 s[2:3], s[2:3], 1
	s_delay_alu instid0(VALU_DEP_2) | instskip(NEXT) | instid1(VALU_DEP_2)
	v_or3_b32 v16, v0, v1, v2
	v_ashrrev_i32_e32 v5, 31, v4
	ds_load_b128 v[0:3], v16
	s_waitcnt lgkmcnt(0)
	s_add_u32 s2, s0, s2
	s_addc_u32 s3, s1, s3
	s_lshl_b32 s0, s14, 7
	v_lshlrev_b64 v[5:6], 1, v[4:5]
	s_ashr_i32 s1, s0, 31
	s_delay_alu instid0(SALU_CYCLE_1) | instskip(NEXT) | instid1(SALU_CYCLE_1)
	s_lshl_b64 s[0:1], s[0:1], 1
	s_add_u32 s0, s2, s0
	s_addc_u32 s1, s3, s1
	s_lshl_b32 s2, s34, 8
	v_add_co_u32 v30, s0, s0, v65
	v_add_nc_u32_e32 v8, s2, v4
	v_add_co_ci_u32_e64 v31, null, s1, 0, s0
	s_delay_alu instid0(VALU_DEP_3) | instskip(NEXT) | instid1(VALU_DEP_3)
	v_add_co_u32 v12, vcc_lo, v30, v5
	v_add_nc_u32_e32 v10, s2, v8
	v_ashrrev_i32_e32 v9, 31, v8
	s_delay_alu instid0(VALU_DEP_4)
	v_add_co_ci_u32_e32 v13, vcc_lo, v31, v6, vcc_lo
	ds_load_b128 v[4:7], v16 offset:128
	v_ashrrev_i32_e32 v11, 31, v10
	v_lshlrev_b64 v[8:9], 1, v[8:9]
	v_add_nc_u32_e32 v14, s2, v10
	global_store_b128 v[12:13], v[0:3], off
	v_lshlrev_b64 v[0:1], 1, v[10:11]
	v_ashrrev_i32_e32 v15, 31, v14
	v_add_co_u32 v22, vcc_lo, v30, v8
	v_add_nc_u32_e32 v20, s2, v14
	v_add_co_ci_u32_e32 v23, vcc_lo, v31, v9, vcc_lo
	v_add_co_u32 v26, vcc_lo, v30, v0
	v_lshlrev_b64 v[24:25], 1, v[14:15]
	v_add_co_ci_u32_e32 v27, vcc_lo, v31, v1, vcc_lo
	ds_load_b128 v[0:3], v16 offset:256
	ds_load_b128 v[8:11], v16 offset:384
	;; [unrolled: 1-line block ×4, first 2 shown]
	v_add_nc_u32_e32 v28, s2, v20
	v_ashrrev_i32_e32 v21, 31, v20
	v_add_co_u32 v24, vcc_lo, v30, v24
	v_add_co_ci_u32_e32 v25, vcc_lo, v31, v25, vcc_lo
	s_delay_alu instid0(VALU_DEP_4) | instskip(NEXT) | instid1(VALU_DEP_4)
	v_ashrrev_i32_e32 v29, 31, v28
	v_lshlrev_b64 v[20:21], 1, v[20:21]
	s_delay_alu instid0(VALU_DEP_2) | instskip(NEXT) | instid1(VALU_DEP_2)
	v_lshlrev_b64 v[28:29], 1, v[28:29]
	v_add_co_u32 v20, vcc_lo, v30, v20
	s_delay_alu instid0(VALU_DEP_3) | instskip(NEXT) | instid1(VALU_DEP_3)
	v_add_co_ci_u32_e32 v21, vcc_lo, v31, v21, vcc_lo
	v_add_co_u32 v28, vcc_lo, v30, v28
	s_delay_alu instid0(VALU_DEP_4)
	v_add_co_ci_u32_e32 v29, vcc_lo, v31, v29, vcc_lo
	s_waitcnt lgkmcnt(4)
	global_store_b128 v[22:23], v[4:7], off
	s_waitcnt lgkmcnt(3)
	global_store_b128 v[26:27], v[0:3], off
	;; [unrolled: 2-line block ×5, first 2 shown]
	s_nop 0
	s_sendmsg sendmsg(MSG_DEALLOC_VGPRS)
	s_endpgm
	.section	.rodata,"a",@progbits
	.p2align	6, 0x0
	.amdhsa_kernel _Z39paged_attention_ll4mi_QKV_mfma16_kernelIDF16_hLN4vllm18Fp8KVCacheDataTypeE1EDF16_Li16ELi128ELi256ELb1ELi12EL8MFMAType1EEvPKT_PKT0_S8_ifPKiSA_SA_iPKfiiiPfSD_PS3_PT2_iSC_SC_
		.amdhsa_group_segment_fixed_size 17472
		.amdhsa_private_segment_fixed_size 0
		.amdhsa_kernarg_size 400
		.amdhsa_user_sgpr_count 13
		.amdhsa_user_sgpr_dispatch_ptr 0
		.amdhsa_user_sgpr_queue_ptr 0
		.amdhsa_user_sgpr_kernarg_segment_ptr 1
		.amdhsa_user_sgpr_dispatch_id 0
		.amdhsa_user_sgpr_private_segment_size 0
		.amdhsa_wavefront_size32 1
		.amdhsa_uses_dynamic_stack 0
		.amdhsa_enable_private_segment 0
		.amdhsa_system_sgpr_workgroup_id_x 1
		.amdhsa_system_sgpr_workgroup_id_y 1
		.amdhsa_system_sgpr_workgroup_id_z 1
		.amdhsa_system_sgpr_workgroup_info 0
		.amdhsa_system_vgpr_workitem_id 0
		.amdhsa_next_free_vgpr 150
		.amdhsa_next_free_sgpr 36
		.amdhsa_reserve_vcc 1
		.amdhsa_float_round_mode_32 0
		.amdhsa_float_round_mode_16_64 0
		.amdhsa_float_denorm_mode_32 3
		.amdhsa_float_denorm_mode_16_64 3
		.amdhsa_dx10_clamp 1
		.amdhsa_ieee_mode 1
		.amdhsa_fp16_overflow 0
		.amdhsa_workgroup_processor_mode 1
		.amdhsa_memory_ordered 1
		.amdhsa_forward_progress 0
		.amdhsa_shared_vgpr_count 0
		.amdhsa_exception_fp_ieee_invalid_op 0
		.amdhsa_exception_fp_denorm_src 0
		.amdhsa_exception_fp_ieee_div_zero 0
		.amdhsa_exception_fp_ieee_overflow 0
		.amdhsa_exception_fp_ieee_underflow 0
		.amdhsa_exception_fp_ieee_inexact 0
		.amdhsa_exception_int_div_zero 0
	.end_amdhsa_kernel
	.section	.text._Z39paged_attention_ll4mi_QKV_mfma16_kernelIDF16_hLN4vllm18Fp8KVCacheDataTypeE1EDF16_Li16ELi128ELi256ELb1ELi12EL8MFMAType1EEvPKT_PKT0_S8_ifPKiSA_SA_iPKfiiiPfSD_PS3_PT2_iSC_SC_,"axG",@progbits,_Z39paged_attention_ll4mi_QKV_mfma16_kernelIDF16_hLN4vllm18Fp8KVCacheDataTypeE1EDF16_Li16ELi128ELi256ELb1ELi12EL8MFMAType1EEvPKT_PKT0_S8_ifPKiSA_SA_iPKfiiiPfSD_PS3_PT2_iSC_SC_,comdat
.Lfunc_end981:
	.size	_Z39paged_attention_ll4mi_QKV_mfma16_kernelIDF16_hLN4vllm18Fp8KVCacheDataTypeE1EDF16_Li16ELi128ELi256ELb1ELi12EL8MFMAType1EEvPKT_PKT0_S8_ifPKiSA_SA_iPKfiiiPfSD_PS3_PT2_iSC_SC_, .Lfunc_end981-_Z39paged_attention_ll4mi_QKV_mfma16_kernelIDF16_hLN4vllm18Fp8KVCacheDataTypeE1EDF16_Li16ELi128ELi256ELb1ELi12EL8MFMAType1EEvPKT_PKT0_S8_ifPKiSA_SA_iPKfiiiPfSD_PS3_PT2_iSC_SC_
                                        ; -- End function
	.section	.AMDGPU.csdata,"",@progbits
; Kernel info:
; codeLenInByte = 6752
; NumSgprs: 38
; NumVgprs: 150
; ScratchSize: 0
; MemoryBound: 0
; FloatMode: 240
; IeeeMode: 1
; LDSByteSize: 17472 bytes/workgroup (compile time only)
; SGPRBlocks: 4
; VGPRBlocks: 18
; NumSGPRsForWavesPerEU: 38
; NumVGPRsForWavesPerEU: 150
; Occupancy: 9
; WaveLimiterHint : 1
; COMPUTE_PGM_RSRC2:SCRATCH_EN: 0
; COMPUTE_PGM_RSRC2:USER_SGPR: 13
; COMPUTE_PGM_RSRC2:TRAP_HANDLER: 0
; COMPUTE_PGM_RSRC2:TGID_X_EN: 1
; COMPUTE_PGM_RSRC2:TGID_Y_EN: 1
; COMPUTE_PGM_RSRC2:TGID_Z_EN: 1
; COMPUTE_PGM_RSRC2:TIDIG_COMP_CNT: 0
	.section	.text._Z39paged_attention_ll4mi_QKV_mfma16_kernelIDF16_hLN4vllm18Fp8KVCacheDataTypeE1EDF16_Li16ELi128ELi256ELb1ELi13EL8MFMAType1EEvPKT_PKT0_S8_ifPKiSA_SA_iPKfiiiPfSD_PS3_PT2_iSC_SC_,"axG",@progbits,_Z39paged_attention_ll4mi_QKV_mfma16_kernelIDF16_hLN4vllm18Fp8KVCacheDataTypeE1EDF16_Li16ELi128ELi256ELb1ELi13EL8MFMAType1EEvPKT_PKT0_S8_ifPKiSA_SA_iPKfiiiPfSD_PS3_PT2_iSC_SC_,comdat
	.protected	_Z39paged_attention_ll4mi_QKV_mfma16_kernelIDF16_hLN4vllm18Fp8KVCacheDataTypeE1EDF16_Li16ELi128ELi256ELb1ELi13EL8MFMAType1EEvPKT_PKT0_S8_ifPKiSA_SA_iPKfiiiPfSD_PS3_PT2_iSC_SC_ ; -- Begin function _Z39paged_attention_ll4mi_QKV_mfma16_kernelIDF16_hLN4vllm18Fp8KVCacheDataTypeE1EDF16_Li16ELi128ELi256ELb1ELi13EL8MFMAType1EEvPKT_PKT0_S8_ifPKiSA_SA_iPKfiiiPfSD_PS3_PT2_iSC_SC_
	.globl	_Z39paged_attention_ll4mi_QKV_mfma16_kernelIDF16_hLN4vllm18Fp8KVCacheDataTypeE1EDF16_Li16ELi128ELi256ELb1ELi13EL8MFMAType1EEvPKT_PKT0_S8_ifPKiSA_SA_iPKfiiiPfSD_PS3_PT2_iSC_SC_
	.p2align	8
	.type	_Z39paged_attention_ll4mi_QKV_mfma16_kernelIDF16_hLN4vllm18Fp8KVCacheDataTypeE1EDF16_Li16ELi128ELi256ELb1ELi13EL8MFMAType1EEvPKT_PKT0_S8_ifPKiSA_SA_iPKfiiiPfSD_PS3_PT2_iSC_SC_,@function
_Z39paged_attention_ll4mi_QKV_mfma16_kernelIDF16_hLN4vllm18Fp8KVCacheDataTypeE1EDF16_Li16ELi128ELi256ELb1ELi13EL8MFMAType1EEvPKT_PKT0_S8_ifPKiSA_SA_iPKfiiiPfSD_PS3_PT2_iSC_SC_: ; @_Z39paged_attention_ll4mi_QKV_mfma16_kernelIDF16_hLN4vllm18Fp8KVCacheDataTypeE1EDF16_Li16ELi128ELi256ELb1ELi13EL8MFMAType1EEvPKT_PKT0_S8_ifPKiSA_SA_iPKfiiiPfSD_PS3_PT2_iSC_SC_
; %bb.0:
	s_load_b64 s[4:5], s[0:1], 0x30
	s_mov_b32 s34, s13
	s_waitcnt lgkmcnt(0)
	s_cmp_lg_u64 s[4:5], 0
	s_cselect_b32 s8, -1, 0
	s_ashr_i32 s35, s13, 31
	s_cmp_eq_u64 s[4:5], 0
	s_cbranch_scc1 .LBB982_3
; %bb.1:
	s_lshl_b64 s[2:3], s[34:35], 2
	s_delay_alu instid0(SALU_CYCLE_1) | instskip(SKIP_4) | instid1(SALU_CYCLE_1)
	s_add_u32 s2, s4, s2
	s_addc_u32 s3, s5, s3
	s_load_b64 s[2:3], s[2:3], 0x0
	s_waitcnt lgkmcnt(0)
	s_sub_i32 s2, s3, s2
	s_cmp_eq_u32 s2, 1
	s_cselect_b32 s2, -1, 0
	s_delay_alu instid0(SALU_CYCLE_1)
	s_and_not1_b32 vcc_lo, exec_lo, s2
	s_cbranch_vccz .LBB982_4
.LBB982_2:
	s_nop 0
	s_sendmsg sendmsg(MSG_DEALLOC_VGPRS)
	s_endpgm
.LBB982_3:
.LBB982_4:
	s_load_b64 s[2:3], s[0:1], 0x28
	s_lshl_b64 s[6:7], s[34:35], 2
	s_waitcnt lgkmcnt(0)
	s_add_u32 s2, s2, s6
	s_addc_u32 s3, s3, s7
	s_lshl_b32 s12, s14, 8
	s_load_b32 s24, s[2:3], 0x0
	s_waitcnt lgkmcnt(0)
	s_cmp_ge_i32 s12, s24
	s_cbranch_scc1 .LBB982_2
; %bb.5:
	s_clause 0x1
	s_load_b128 s[20:23], s[0:1], 0x8
	s_load_b64 s[2:3], s[0:1], 0x20
	s_and_not1_b32 vcc_lo, exec_lo, s8
	s_cbranch_vccnz .LBB982_7
; %bb.6:
	s_add_u32 s4, s4, s6
	s_addc_u32 s5, s5, s7
	s_load_b32 s5, s[4:5], 0x0
	s_branch .LBB982_8
.LBB982_7:
	s_mov_b32 s5, s34
.LBB982_8:
	s_load_b128 s[16:19], s[0:1], 0x48
	v_and_b32_e32 v68, 15, v0
	v_lshrrev_b32_e32 v69, 5, v0
	v_bfe_u32 v66, v0, 4, 1
	v_and_b32_e32 v70, 31, v0
	v_and_b32_e32 v67, 1, v0
	v_lshlrev_b32_e32 v2, 3, v68
	s_mul_i32 s31, s15, 13
	v_lshl_or_b32 v1, v69, 1, v66
	s_mov_b32 s4, exec_lo
	s_delay_alu instid0(VALU_DEP_2) | instskip(NEXT) | instid1(VALU_DEP_2)
	v_lshlrev_b32_e32 v65, 1, v2
	v_cmpx_gt_u32_e32 13, v1
	s_cbranch_execz .LBB982_10
; %bb.9:
	s_load_b64 s[6:7], s[0:1], 0x0
	v_add_lshl_u32 v2, v1, s31, 7
	s_waitcnt lgkmcnt(0)
	s_mul_hi_i32 s9, s5, s16
	s_mul_i32 s8, s5, s16
	v_lshlrev_b32_e32 v6, 10, v68
	s_lshl_b64 s[8:9], s[8:9], 1
	v_ashrrev_i32_e32 v3, 31, v2
	v_lshlrev_b32_e32 v1, 6, v1
	v_lshlrev_b32_e32 v7, 10, v67
	v_and_b32_e32 v6, 0x3800, v6
	s_delay_alu instid0(VALU_DEP_4) | instskip(NEXT) | instid1(VALU_DEP_2)
	v_lshlrev_b64 v[2:3], 1, v[2:3]
	v_or3_b32 v1, v6, v7, v1
	s_add_u32 s5, s6, s8
	s_addc_u32 s6, s7, s9
	s_delay_alu instid0(VALU_DEP_2) | instskip(NEXT) | instid1(VALU_DEP_3)
	v_add_co_u32 v2, vcc_lo, s5, v2
	v_add_co_ci_u32_e32 v3, vcc_lo, s6, v3, vcc_lo
	s_delay_alu instid0(VALU_DEP_2) | instskip(NEXT) | instid1(VALU_DEP_2)
	v_add_co_u32 v2, vcc_lo, v2, v65
	v_add_co_ci_u32_e32 v3, vcc_lo, 0, v3, vcc_lo
	global_load_b128 v[2:5], v[2:3], off
	s_waitcnt vmcnt(0)
	ds_store_b128 v1, v[2:5]
.LBB982_10:
	s_or_b32 exec_lo, exec_lo, s4
	v_and_b32_e32 v1, 0xef, v0
	s_waitcnt lgkmcnt(0)
	s_add_i32 s5, s24, 15
	s_clause 0x1
	s_load_b32 s4, s[0:1], 0x38
	s_load_b32 s33, s[0:1], 0x98
	s_ashr_i32 s6, s5, 31
	v_add_nc_u32_e32 v1, s12, v1
	s_lshr_b32 s6, s6, 28
	s_load_b32 s19, s[0:1], 0x1c
	s_add_i32 s5, s5, s6
	s_waitcnt lgkmcnt(0)
	v_ashrrev_i32_e32 v2, 31, v1
	v_or_b32_e32 v3, 16, v1
	s_ashr_i32 s13, s5, 4
	v_cmp_gt_i32_e32 vcc_lo, s24, v1
	s_add_i32 s13, s13, -1
	v_lshrrev_b32_e32 v2, 28, v2
	s_barrier
	buffer_gl0_inv
	s_mul_i32 s15, s15, s18
	v_add_nc_u32_e32 v4, v1, v2
	s_mul_i32 s4, s34, s4
	s_delay_alu instid0(SALU_CYCLE_1) | instskip(NEXT) | instid1(VALU_DEP_1)
	s_ashr_i32 s5, s4, 31
	v_ashrrev_i32_e32 v4, 4, v4
	v_add_nc_u32_e32 v2, v3, v2
	s_lshl_b64 s[4:5], s[4:5], 2
	s_delay_alu instid0(SALU_CYCLE_1) | instskip(NEXT) | instid1(VALU_DEP_2)
	s_add_u32 s16, s2, s4
	v_cndmask_b32_e32 v1, s13, v4, vcc_lo
	s_delay_alu instid0(VALU_DEP_2)
	v_ashrrev_i32_e32 v2, 4, v2
	v_cmp_gt_i32_e32 vcc_lo, s24, v3
	s_addc_u32 s25, s3, s5
	s_ashr_i32 s18, s15, 31
	s_add_u32 s26, s20, s15
	s_addc_u32 s27, s21, s18
	v_cndmask_b32_e32 v3, s13, v2, vcc_lo
	v_ashrrev_i32_e32 v2, 31, v1
	s_lshl_b32 s2, s14, 4
	s_delay_alu instid0(SALU_CYCLE_1) | instskip(NEXT) | instid1(VALU_DEP_2)
	s_ashr_i32 s3, s2, 31
	v_ashrrev_i32_e32 v4, 31, v3
	s_delay_alu instid0(VALU_DEP_2) | instskip(SKIP_1) | instid1(SALU_CYCLE_1)
	v_lshlrev_b64 v[1:2], 2, v[1:2]
	s_lshl_b64 s[2:3], s[2:3], 2
	s_add_u32 s2, s16, s2
	s_delay_alu instid0(VALU_DEP_2) | instskip(SKIP_1) | instid1(VALU_DEP_2)
	v_lshlrev_b64 v[3:4], 2, v[3:4]
	s_addc_u32 s3, s25, s3
	v_add_co_u32 v1, vcc_lo, s16, v1
	v_add_co_ci_u32_e32 v2, vcc_lo, s25, v2, vcc_lo
	s_delay_alu instid0(VALU_DEP_3) | instskip(NEXT) | instid1(VALU_DEP_4)
	v_add_co_u32 v3, vcc_lo, s16, v3
	v_add_co_ci_u32_e32 v4, vcc_lo, s25, v4, vcc_lo
	s_clause 0x1
	global_load_b32 v5, v[1:2], off
	global_load_b32 v7, v[3:4], off
	s_or_b32 s4, s12, 32
	v_lshlrev_b32_e32 v1, 4, v0
	s_ashr_i32 s5, s4, 4
	s_cmp_lt_i32 s4, s24
	v_cmp_gt_u32_e32 vcc_lo, 13, v68
	s_cselect_b32 s4, s5, s13
	v_and_b32_e32 v1, 0xf0, v1
	s_ashr_i32 s5, s4, 31
	s_delay_alu instid0(SALU_CYCLE_1) | instskip(NEXT) | instid1(SALU_CYCLE_1)
	s_lshl_b64 s[4:5], s[4:5], 2
	s_add_u32 s4, s16, s4
	s_addc_u32 s5, s25, s5
	s_or_b32 s6, s12, 64
	v_add_co_u32 v1, s26, s26, v1
	s_ashr_i32 s7, s6, 4
	s_cmp_lt_i32 s6, s24
	v_add_co_ci_u32_e64 v2, null, s27, 0, s26
	s_cselect_b32 s6, s7, s13
	s_delay_alu instid0(SALU_CYCLE_1) | instskip(NEXT) | instid1(SALU_CYCLE_1)
	s_ashr_i32 s7, s6, 31
	s_lshl_b64 s[6:7], s[6:7], 2
	s_delay_alu instid0(SALU_CYCLE_1) | instskip(SKIP_2) | instid1(SALU_CYCLE_1)
	s_add_u32 s6, s16, s6
	s_addc_u32 s7, s25, s7
	s_or_b32 s8, s12, 0x60
	s_ashr_i32 s9, s8, 4
	s_cmp_lt_i32 s8, s24
	s_cselect_b32 s8, s9, s13
	s_delay_alu instid0(SALU_CYCLE_1) | instskip(NEXT) | instid1(SALU_CYCLE_1)
	s_ashr_i32 s9, s8, 31
	s_lshl_b64 s[8:9], s[8:9], 2
	s_delay_alu instid0(SALU_CYCLE_1) | instskip(SKIP_2) | instid1(SALU_CYCLE_1)
	s_add_u32 s8, s16, s8
	s_addc_u32 s9, s25, s9
	s_or_b32 s10, s12, 0x80
	s_ashr_i32 s11, s10, 4
	s_cmp_lt_i32 s10, s24
	;; [unrolled: 10-line block ×3, first 2 shown]
	s_cselect_b32 s20, s21, s13
	s_delay_alu instid0(SALU_CYCLE_1) | instskip(NEXT) | instid1(SALU_CYCLE_1)
	s_ashr_i32 s21, s20, 31
	s_lshl_b64 s[20:21], s[20:21], 2
	s_delay_alu instid0(SALU_CYCLE_1)
	s_add_u32 s20, s16, s20
	s_addc_u32 s21, s25, s21
	s_clause 0x5
	s_load_b32 s26, s[2:3], 0x0
	s_load_b32 s27, s[4:5], 0x0
	;; [unrolled: 1-line block ×6, first 2 shown]
	s_or_b32 s2, s12, 0xc0
	s_mov_b32 s4, 0
	s_ashr_i32 s3, s2, 4
	s_cmp_lt_i32 s2, s24
	s_mov_b32 s11, s4
	s_cselect_b32 s2, s3, s13
	s_mov_b32 s5, s4
	s_ashr_i32 s3, s2, 31
	s_mov_b32 s6, s4
	s_lshl_b64 s[2:3], s[2:3], 2
	s_mov_b32 s7, s4
	s_add_u32 s2, s16, s2
	s_addc_u32 s3, s25, s3
	s_or_b32 s20, s12, 0xe0
	s_mov_b32 s8, s4
	s_ashr_i32 s21, s20, 4
	s_cmp_lt_i32 s20, s24
	s_mov_b32 s9, s4
	s_cselect_b32 s20, s21, s13
	s_mov_b32 s10, s4
	s_ashr_i32 s21, s20, 31
	v_mov_b32_e32 v118, s11
	v_dual_mov_b32 v112, s5 :: v_dual_mov_b32 v117, s10
	v_dual_mov_b32 v116, s9 :: v_dual_mov_b32 v115, s8
	v_dual_mov_b32 v114, s7 :: v_dual_mov_b32 v113, s6
	v_mov_b32_e32 v111, s4
	s_lshl_b64 s[4:5], s[20:21], 2
	s_delay_alu instid0(SALU_CYCLE_1)
	s_add_u32 s4, s16, s4
	s_addc_u32 s5, s25, s5
	s_add_u32 s6, s22, s15
	s_addc_u32 s7, s23, s18
	s_waitcnt vmcnt(1)
	v_mad_i64_i32 v[3:4], null, v5, s17, v[1:2]
	s_waitcnt vmcnt(0)
	v_mad_i64_i32 v[5:6], null, v7, s17, v[1:2]
	v_add_nc_u32_e32 v1, -13, v68
	v_lshlrev_b32_e32 v2, 4, v68
	s_clause 0xf
	global_load_b128 v[17:20], v[3:4], off
	global_load_b128 v[21:24], v[3:4], off offset:256
	global_load_b128 v[25:28], v[5:6], off
	global_load_b128 v[29:32], v[5:6], off offset:256
	global_load_b128 v[57:60], v[3:4], off offset:512
	;; [unrolled: 1-line block ×13, first 2 shown]
	v_cndmask_b32_e32 v1, v1, v68, vcc_lo
	s_delay_alu instid0(VALU_DEP_1)
	v_lshlrev_b32_e32 v149, 6, v1
	v_lshl_or_b32 v1, v69, 8, v2
	ds_load_b128 v[119:122], v149
	ds_load_b128 v[123:126], v149 offset:1024
	ds_load_b128 v[127:130], v149 offset:2048
	;; [unrolled: 1-line block ×3, first 2 shown]
	s_clause 0x1
	s_load_b32 s2, s[2:3], 0x0
	s_load_b32 s3, s[4:5], 0x0
	v_add_co_u32 v135, s6, s6, v1
	s_delay_alu instid0(VALU_DEP_1) | instskip(SKIP_1) | instid1(VALU_DEP_1)
	v_add_co_ci_u32_e64 v136, null, s7, 0, s6
	s_waitcnt lgkmcnt(0)
	v_mad_i64_i32 v[1:2], null, s26, s17, v[135:136]
	v_mad_i64_i32 v[3:4], null, s27, s17, v[135:136]
	;; [unrolled: 1-line block ×6, first 2 shown]
	s_clause 0x9
	global_load_b128 v[49:52], v[1:2], off
	global_load_b128 v[53:56], v[1:2], off offset:16
	global_load_b128 v[41:44], v[3:4], off
	global_load_b128 v[45:48], v[3:4], off offset:16
	global_load_b128 v[33:36], v[5:6], off
	global_load_b128 v[37:40], v[5:6], off offset:16
	global_load_b128 v[1:4], v[7:8], off
	global_load_b128 v[5:8], v[7:8], off offset:16
	global_load_b128 v[9:12], v[13:14], off
	global_load_b128 v[13:16], v[13:14], off offset:16
	v_mad_i64_i32 v[145:146], null, s2, s17, v[135:136]
	v_mad_i64_i32 v[147:148], null, s3, s17, v[135:136]
	s_waitcnt vmcnt(24)
	v_wmma_f32_16x16x16_f16 v[135:142], v[17:24], v[119:126], v[111:118]
	s_waitcnt vmcnt(22)
	v_wmma_f32_16x16x16_f16 v[111:118], v[25:32], v[119:126], v[111:118]
	s_clause 0x3
	global_load_b128 v[17:20], v[143:144], off
	global_load_b128 v[21:24], v[143:144], off offset:16
	global_load_b128 v[25:28], v[145:146], off
	global_load_b128 v[29:32], v[145:146], off offset:16
	v_and_b32_e32 v119, 0xe0, v0
	s_waitcnt vmcnt(24)
	v_wmma_f32_16x16x16_f16 v[135:142], v[57:64], v[127:134], v[135:142]
	s_clause 0x1
	global_load_b128 v[57:60], v[147:148], off
	global_load_b128 v[61:64], v[147:148], off offset:16
	s_waitcnt vmcnt(24)
	v_wmma_f32_16x16x16_f16 v[111:118], v[71:78], v[127:134], v[111:118]
	ds_load_b128 v[71:74], v149 offset:4096
	ds_load_b128 v[75:78], v149 offset:5120
	v_add_nc_u32_e32 v128, s12, v119
	ds_load_b128 v[119:122], v149 offset:6144
	ds_load_b128 v[123:126], v149 offset:7168
	v_mbcnt_lo_u32_b32 v127, -1, 0
	s_waitcnt vmcnt(0) lgkmcnt(0)
	s_barrier
	v_or_b32_e32 v128, v128, v66
	buffer_gl0_inv
	v_xor_b32_e32 v129, 16, v127
	v_or_b32_e32 v130, 4, v128
	v_or_b32_e32 v131, 6, v128
	s_delay_alu instid0(VALU_DEP_3) | instskip(SKIP_4) | instid1(VALU_DEP_4)
	v_cmp_gt_i32_e32 vcc_lo, 32, v129
	v_or_b32_e32 v132, 8, v128
	v_or_b32_e32 v133, 10, v128
	v_cmp_gt_i32_e64 s3, s24, v130
	v_cmp_gt_i32_e64 s4, s24, v131
	;; [unrolled: 1-line block ×3, first 2 shown]
	v_wmma_f32_16x16x16_f16 v[135:142], v[79:86], v[71:78], v[135:142]
	v_wmma_f32_16x16x16_f16 v[111:118], v[87:94], v[71:78], v[111:118]
	v_or_b32_e32 v79, 12, v128
	v_or_b32_e32 v80, 14, v128
	v_cmp_gt_i32_e64 s6, s24, v133
	v_wmma_f32_16x16x16_f16 v[135:142], v[95:102], v[119:126], v[135:142]
	v_wmma_f32_16x16x16_f16 v[111:118], v[103:110], v[119:126], v[111:118]
	v_cndmask_b32_e32 v127, v127, v129, vcc_lo
	v_or_b32_e32 v129, 2, v128
	v_cmp_gt_i32_e32 vcc_lo, s24, v128
	v_mul_f32_e32 v88, s19, v135
	v_dual_mul_f32 v92, s19, v115 :: v_dual_mul_f32 v87, s19, v136
	s_delay_alu instid0(VALU_DEP_4)
	v_cmp_gt_i32_e64 s2, s24, v129
	v_mul_f32_e32 v78, s19, v138
	v_mul_f32_e32 v86, s19, v137
	v_cndmask_b32_e32 v88, 0xff7fffff, v88, vcc_lo
	v_mul_f32_e32 v76, s19, v140
	v_cndmask_b32_e64 v87, 0xff7fffff, v87, s2
	v_dual_mul_f32 v77, s19, v139 :: v_dual_mul_f32 v94, s19, v113
	v_cndmask_b32_e64 v86, 0xff7fffff, v86, s3
	v_cndmask_b32_e64 v78, 0xff7fffff, v78, s4
	s_delay_alu instid0(VALU_DEP_4)
	v_max3_f32 v87, v88, 0xff7fffff, v87
	v_or_b32_e32 v81, 16, v128
	v_or_b32_e32 v82, 18, v128
	v_dual_mul_f32 v74, s19, v142 :: v_dual_mul_f32 v75, s19, v141
	v_mul_f32_e32 v96, s19, v111
	v_cndmask_b32_e64 v77, 0xff7fffff, v77, s5
	v_cndmask_b32_e64 v76, 0xff7fffff, v76, s6
	v_max3_f32 v78, v87, v86, v78
	v_cmp_gt_i32_e64 s7, s24, v79
	v_cmp_gt_i32_e64 s8, s24, v80
	v_or_b32_e32 v83, 20, v128
	v_or_b32_e32 v84, 22, v128
	v_mul_f32_e32 v95, s19, v112
	v_cndmask_b32_e64 v75, 0xff7fffff, v75, s7
	v_cndmask_b32_e64 v74, 0xff7fffff, v74, s8
	v_max3_f32 v76, v78, v77, v76
	v_cmp_gt_i32_e64 s9, s24, v81
	v_cmp_gt_i32_e64 s10, s24, v82
	v_or_b32_e32 v85, 24, v128
	v_or_b32_e32 v71, 26, v128
	;; [unrolled: 8-line block ×3, first 2 shown]
	v_mul_f32_e32 v91, s19, v116
	v_cndmask_b32_e64 v75, 0xff7fffff, v94, s11
	v_cndmask_b32_e64 v76, 0xff7fffff, v93, s12
	v_max3_f32 v74, v74, v77, v78
	v_cmp_gt_i32_e64 s13, s24, v85
	v_cmp_gt_i32_e64 s15, s24, v71
	v_dual_mul_f32 v89, s19, v118 :: v_dual_mul_f32 v90, s19, v117
	s_delay_alu instid0(VALU_DEP_4) | instskip(NEXT) | instid1(VALU_DEP_4)
	v_max3_f32 v74, v74, v75, v76
	v_cndmask_b32_e64 v77, 0xff7fffff, v92, s13
	s_delay_alu instid0(VALU_DEP_4) | instskip(SKIP_2) | instid1(VALU_DEP_3)
	v_cndmask_b32_e64 v71, 0xff7fffff, v91, s15
	v_cmp_gt_i32_e64 s16, s24, v72
	v_cmp_gt_i32_e64 s17, s24, v73
	v_max3_f32 v71, v74, v77, v71
	s_delay_alu instid0(VALU_DEP_3) | instskip(NEXT) | instid1(VALU_DEP_3)
	v_cndmask_b32_e64 v72, 0xff7fffff, v90, s16
	v_cndmask_b32_e64 v73, 0xff7fffff, v89, s17
	v_lshlrev_b32_e32 v74, 2, v127
	s_delay_alu instid0(VALU_DEP_2) | instskip(SKIP_3) | instid1(VALU_DEP_1)
	v_max3_f32 v71, v71, v72, v73
	ds_bpermute_b32 v72, v74, v71
	s_waitcnt lgkmcnt(0)
	v_max_f32_e32 v72, v72, v72
	v_max_f32_e32 v71, v71, v72
	s_delay_alu instid0(VALU_DEP_1) | instskip(SKIP_4) | instid1(VALU_DEP_4)
	v_fma_f32 v72, s19, v135, -v71
	v_fma_f32 v73, s19, v136, -v71
	;; [unrolled: 1-line block ×5, first 2 shown]
	v_dual_mul_f32 v72, 0x3fb8aa3b, v72 :: v_dual_mul_f32 v73, 0x3fb8aa3b, v73
	v_fma_f32 v80, s19, v141, -v71
	s_delay_alu instid0(VALU_DEP_3) | instskip(NEXT) | instid1(VALU_DEP_3)
	v_dual_mul_f32 v76, 0x3fb8aa3b, v76 :: v_dual_mul_f32 v77, 0x3fb8aa3b, v77
	v_exp_f32_e32 v72, v72
	s_delay_alu instid0(VALU_DEP_3) | instskip(NEXT) | instid1(VALU_DEP_2)
	v_exp_f32_e32 v73, v73
	v_mul_f32_e32 v82, 0x3fb8aa3b, v80
	s_delay_alu instid0(VALU_DEP_2) | instskip(SKIP_1) | instid1(VALU_DEP_1)
	v_exp_f32_e32 v76, v76
	v_exp_f32_e32 v77, v77
	;; [unrolled: 1-line block ×3, first 2 shown]
	v_cndmask_b32_e32 v79, 0, v72, vcc_lo
	v_fma_f32 v72, s19, v140, -v71
	v_mul_f32_e32 v75, 0x3fb8aa3b, v75
	v_cndmask_b32_e64 v78, 0, v73, s2
	s_delay_alu instid0(TRANS32_DEP_3) | instskip(NEXT) | instid1(VALU_DEP_4)
	v_cndmask_b32_e64 v80, 0, v76, s4
	v_dual_add_f32 v73, 0, v79 :: v_dual_mul_f32 v72, 0x3fb8aa3b, v72
	s_delay_alu instid0(VALU_DEP_4) | instskip(NEXT) | instid1(TRANS32_DEP_3)
	v_exp_f32_e32 v75, v75
	v_cndmask_b32_e64 v83, 0, v77, s5
	s_delay_alu instid0(TRANS32_DEP_2) | instskip(NEXT) | instid1(VALU_DEP_3)
	v_cndmask_b32_e64 v85, 0, v84, s7
	v_add_f32_e32 v73, v73, v78
	v_exp_f32_e32 v72, v72
	v_cmp_gt_u32_e64 s2, 16, v70
	s_waitcnt_depctr 0xfff
	v_cndmask_b32_e64 v81, 0, v75, s3
	v_cndmask_b32_e64 v82, 0, v72, s6
	s_delay_alu instid0(VALU_DEP_2) | instskip(NEXT) | instid1(VALU_DEP_1)
	v_add_f32_e32 v73, v73, v81
	v_add_f32_e32 v73, v73, v80
	s_delay_alu instid0(VALU_DEP_1) | instskip(NEXT) | instid1(VALU_DEP_1)
	v_add_f32_e32 v72, v73, v83
	v_add_f32_e32 v72, v72, v82
	s_delay_alu instid0(VALU_DEP_1)
	v_add_f32_e32 v72, v72, v85
	v_fma_f32 v76, s19, v111, -v71
	v_fma_f32 v75, s19, v142, -v71
	;; [unrolled: 1-line block ×5, first 2 shown]
	v_mul_f32_e32 v76, 0x3fb8aa3b, v76
	s_delay_alu instid0(VALU_DEP_4) | instskip(NEXT) | instid1(VALU_DEP_2)
	v_mul_f32_e32 v86, 0x3fb8aa3b, v86
	v_exp_f32_e32 v76, v76
	s_delay_alu instid0(VALU_DEP_1)
	v_exp_f32_e32 v88, v86
	s_waitcnt_depctr 0xfff
	v_cndmask_b32_e64 v87, 0, v76, s9
	v_fma_f32 v76, s19, v116, -v71
	v_mul_f32_e32 v75, 0x3fb8aa3b, v75
	v_cndmask_b32_e64 v88, 0, v88, s12
	s_delay_alu instid0(VALU_DEP_3) | instskip(NEXT) | instid1(VALU_DEP_3)
	v_dual_mul_f32 v73, 0x3fb8aa3b, v73 :: v_dual_mul_f32 v76, 0x3fb8aa3b, v76
	v_exp_f32_e32 v75, v75
	s_delay_alu instid0(VALU_DEP_1) | instskip(NEXT) | instid1(VALU_DEP_1)
	v_exp_f32_e32 v73, v73
	v_exp_f32_e32 v76, v76
	s_delay_alu instid0(TRANS32_DEP_3)
	v_cndmask_b32_e64 v84, 0, v75, s8
	v_fma_f32 v75, s19, v115, -v71
	s_waitcnt_depctr 0xfff
	v_cndmask_b32_e64 v89, 0, v73, s11
	v_cndmask_b32_e64 v90, 0, v76, s15
	v_add_f32_e32 v72, v72, v84
	s_delay_alu instid0(VALU_DEP_1) | instskip(NEXT) | instid1(VALU_DEP_1)
	v_dual_add_f32 v72, v72, v87 :: v_dual_mul_f32 v77, 0x3fb8aa3b, v77
	v_exp_f32_e32 v77, v77
	s_waitcnt_depctr 0xfff
	v_cndmask_b32_e64 v86, 0, v77, s10
	v_fma_f32 v77, s19, v117, -v71
	s_delay_alu instid0(VALU_DEP_2) | instskip(NEXT) | instid1(VALU_DEP_1)
	v_dual_add_f32 v72, v72, v86 :: v_dual_mul_f32 v75, 0x3fb8aa3b, v75
	v_add_f32_e32 v72, v72, v89
	s_delay_alu instid0(VALU_DEP_2) | instskip(NEXT) | instid1(VALU_DEP_1)
	v_exp_f32_e32 v75, v75
	v_add_f32_e32 v72, v72, v88
	s_waitcnt_depctr 0xfff
	v_cndmask_b32_e64 v91, 0, v75, s13
	v_mul_f32_e32 v73, 0x3fb8aa3b, v77
	v_fma_f32 v77, s19, v118, -v71
	s_delay_alu instid0(VALU_DEP_3) | instskip(NEXT) | instid1(VALU_DEP_3)
	v_add_f32_e32 v72, v72, v91
	v_exp_f32_e32 v73, v73
	s_delay_alu instid0(VALU_DEP_1) | instskip(NEXT) | instid1(VALU_DEP_1)
	v_dual_mul_f32 v75, 0x3fb8aa3b, v77 :: v_dual_add_f32 v72, v72, v90
	v_exp_f32_e32 v75, v75
	s_waitcnt_depctr 0xfff
	v_cndmask_b32_e64 v93, 0, v73, s16
	s_delay_alu instid0(VALU_DEP_1) | instskip(SKIP_1) | instid1(VALU_DEP_1)
	v_add_f32_e32 v72, v72, v93
	v_cndmask_b32_e64 v92, 0, v75, s17
	v_add_f32_e32 v72, v72, v92
	ds_bpermute_b32 v73, v74, v72
	s_and_saveexec_b32 s3, s2
	s_cbranch_execz .LBB982_12
; %bb.11:
	v_mul_u32_u24_e32 v70, 0x44, v69
	s_waitcnt lgkmcnt(0)
	v_add_f32_e32 v72, v72, v73
	s_delay_alu instid0(VALU_DEP_2) | instskip(NEXT) | instid1(VALU_DEP_1)
	v_lshl_add_u32 v70, v68, 2, v70
	v_add_nc_u32_e32 v70, 0x4000, v70
	ds_store_2addr_b32 v70, v71, v72 offset1:136
.LBB982_12:
	s_or_b32 exec_lo, exec_lo, s3
	v_lshlrev_b32_e32 v70, 2, v68
	s_load_b32 s35, s[0:1], 0x94
	s_waitcnt lgkmcnt(0)
	s_barrier
	buffer_gl0_inv
	v_add_nc_u32_e32 v98, 0x4000, v70
	v_cmp_eq_u32_e32 vcc_lo, 1, v69
	v_cmp_eq_u32_e64 s3, 2, v69
	v_cmp_eq_u32_e64 s4, 3, v69
	;; [unrolled: 1-line block ×3, first 2 shown]
	ds_load_2addr_b32 v[70:71], v98 offset1:17
	ds_load_2addr_b32 v[72:73], v98 offset0:34 offset1:51
	ds_load_2addr_b32 v[74:75], v98 offset0:68 offset1:85
	;; [unrolled: 1-line block ×3, first 2 shown]
	v_cmp_eq_u32_e64 s6, 5, v69
	v_cmp_eq_u32_e64 s7, 7, v69
	s_waitcnt lgkmcnt(3)
	v_max3_f32 v76, v70, 0xff7fffff, v71
	s_waitcnt lgkmcnt(2)
	s_delay_alu instid0(VALU_DEP_1) | instskip(SKIP_1) | instid1(VALU_DEP_1)
	v_max3_f32 v76, v76, v72, v73
	s_waitcnt lgkmcnt(1)
	v_max3_f32 v76, v76, v74, v75
	s_waitcnt lgkmcnt(0)
	s_delay_alu instid0(VALU_DEP_1) | instskip(NEXT) | instid1(VALU_DEP_1)
	v_max3_f32 v76, v76, v94, v95
	v_sub_f32_e32 v77, v71, v76
	ds_load_2addr_b32 v[96:97], v98 offset0:136 offset1:153
	v_sub_f32_e32 v74, v74, v76
	v_sub_f32_e32 v70, v70, v76
	;; [unrolled: 1-line block ×3, first 2 shown]
	v_dual_sub_f32 v72, v72, v76 :: v_dual_mul_f32 v77, 0x3fb8aa3b, v77
	s_delay_alu instid0(VALU_DEP_4) | instskip(NEXT) | instid1(VALU_DEP_4)
	v_mul_f32_e32 v103, 0x3fb8aa3b, v74
	v_mul_f32_e32 v99, 0x3fb8aa3b, v70
	ds_load_2addr_b32 v[70:71], v98 offset0:170 offset1:187
	v_dual_mul_f32 v101, 0x3fb8aa3b, v72 :: v_dual_mul_f32 v94, 0x3fb8aa3b, v94
	v_exp_f32_e32 v102, v77
	v_exp_f32_e32 v99, v99
	s_delay_alu instid0(VALU_DEP_1) | instskip(NEXT) | instid1(VALU_DEP_1)
	v_exp_f32_e32 v101, v101
	v_exp_f32_e32 v94, v94
	s_waitcnt lgkmcnt(1)
	s_delay_alu instid0(TRANS32_DEP_3)
	v_fma_f32 v77, v99, v96, 0
	v_sub_f32_e32 v100, v73, v76
	ds_load_2addr_b32 v[72:73], v98 offset0:204 offset1:221
	v_fmac_f32_e32 v77, v102, v97
	v_exp_f32_e32 v97, v103
	s_waitcnt lgkmcnt(1)
	s_delay_alu instid0(VALU_DEP_1)
	v_dual_fmac_f32 v77, v101, v70 :: v_dual_sub_f32 v96, v75, v76
	ds_load_2addr_b32 v[74:75], v98 offset0:238 offset1:255
	v_sub_f32_e32 v70, v95, v76
	s_waitcnt lgkmcnt(0)
	s_barrier
	v_mul_f32_e32 v96, 0x3fb8aa3b, v96
	buffer_gl0_inv
	v_exp_f32_e32 v95, v96
	v_mul_f32_e32 v100, 0x3fb8aa3b, v100
	s_delay_alu instid0(VALU_DEP_1) | instskip(SKIP_3) | instid1(VALU_DEP_2)
	v_exp_f32_e32 v100, v100
	s_waitcnt_depctr 0xfff
	v_dual_fmac_f32 v77, v100, v71 :: v_dual_mul_f32 v70, 0x3fb8aa3b, v70
	v_cndmask_b32_e32 v71, v99, v102, vcc_lo
	v_fmac_f32_e32 v77, v97, v72
	s_delay_alu instid0(VALU_DEP_3) | instskip(NEXT) | instid1(VALU_DEP_1)
	v_exp_f32_e32 v96, v70
	v_fmac_f32_e32 v77, v95, v73
	s_delay_alu instid0(VALU_DEP_1) | instskip(SKIP_2) | instid1(VALU_DEP_1)
	v_fmac_f32_e32 v77, v94, v74
	s_waitcnt_depctr 0xfff
	v_fmac_f32_e32 v77, v96, v75
	v_add_f32_e32 v74, 0x358637bd, v77
	s_delay_alu instid0(VALU_DEP_1) | instskip(SKIP_1) | instid1(VALU_DEP_2)
	v_div_scale_f32 v98, null, v74, v74, 1.0
	v_div_scale_f32 v99, vcc_lo, 1.0, v74, 1.0
	v_rcp_f32_e32 v103, v98
	s_waitcnt_depctr 0xfff
	v_fma_f32 v70, -v98, v103, 1.0
	s_delay_alu instid0(VALU_DEP_1) | instskip(SKIP_2) | instid1(VALU_DEP_2)
	v_fmac_f32_e32 v103, v70, v103
	v_cndmask_b32_e64 v70, v71, v101, s3
	v_cmp_eq_u32_e64 s3, 6, v69
	v_cndmask_b32_e64 v71, v70, v100, s4
	s_delay_alu instid0(VALU_DEP_4) | instskip(NEXT) | instid1(VALU_DEP_2)
	v_dual_mul_f32 v101, v99, v103 :: v_dual_lshlrev_b32 v70, 2, v66
	v_cndmask_b32_e64 v71, v71, v97, s5
	s_delay_alu instid0(VALU_DEP_2) | instskip(NEXT) | instid1(VALU_DEP_3)
	v_or_b32_e32 v72, 1, v70
	v_fma_f32 v100, -v98, v101, v99
	v_cmp_eq_u32_e64 s4, 1, v70
	v_cmp_eq_u32_e64 s5, 2, v70
	v_cndmask_b32_e64 v95, v71, v95, s6
	v_or_b32_e32 v71, 3, v70
	v_fmac_f32_e32 v101, v100, v103
	v_cmp_eq_u32_e64 s9, 1, v72
	v_cmp_eq_u32_e64 s12, 2, v72
	v_cndmask_b32_e64 v94, v95, v94, s3
	v_cmp_eq_u32_e64 s11, 1, v71
	v_fma_f32 v97, -v98, v101, v99
	v_cmp_eq_u32_e64 s16, 2, v71
	v_cmp_eq_u32_e64 s13, 3, v72
	v_cndmask_b32_e64 v94, v94, v96, s7
	v_cmp_eq_u32_e64 s18, 3, v71
	v_div_fmas_f32 v95, v97, v103, v101
	v_cmp_eq_u32_e32 vcc_lo, 3, v70
	v_cmp_eq_u32_e64 s3, 4, v70
	v_cmp_eq_u32_e64 s19, 4, v72
	;; [unrolled: 1-line block ×3, first 2 shown]
	v_div_fixup_f32 v95, v95, v74, 1.0
	v_lshlrev_b32_e32 v73, 6, v68
	v_cmp_eq_u32_e64 s6, 5, v70
	v_cmp_eq_u32_e64 s20, 5, v72
	;; [unrolled: 1-line block ×3, first 2 shown]
	v_mul_f32_e32 v102, v94, v95
	v_lshl_or_b32 v75, v69, 11, v73
	v_or_b32_e32 v69, 2, v70
	v_cmp_eq_u32_e64 s25, 6, v72
	v_cmp_eq_u32_e64 s27, 6, v71
	v_fma_mixlo_f16 v94, v102, v79, 0
	v_fma_mixlo_f16 v95, v102, v81, 0
	;; [unrolled: 1-line block ×8, first 2 shown]
	v_lshl_or_b32 v74, v66, 4, v75
	v_fma_mixhi_f16 v94, v102, v78, 0
	v_fma_mixhi_f16 v95, v102, v80, 0
	;; [unrolled: 1-line block ×8, first 2 shown]
	ds_store_b128 v74, v[94:97]
	ds_store_b128 v74, v[98:101] offset:1024
	s_waitcnt lgkmcnt(0)
	s_barrier
	buffer_gl0_inv
	ds_load_b128 v[78:81], v75
	ds_load_b128 v[82:85], v75 offset:16
	ds_load_b128 v[86:89], v75 offset:1024
	;; [unrolled: 1-line block ×3, first 2 shown]
	v_cmp_eq_u32_e64 s10, 1, v69
	v_cmp_eq_u32_e64 s15, 2, v69
	;; [unrolled: 1-line block ×11, first 2 shown]
	s_waitcnt lgkmcnt(3)
	v_lshrrev_b32_e32 v94, 16, v78
	s_waitcnt lgkmcnt(2)
	v_lshrrev_b32_e32 v98, 16, v82
	;; [unrolled: 2-line block ×4, first 2 shown]
	v_lshrrev_b32_e32 v95, 16, v79
	v_cndmask_b32_e64 v110, v78, v94, s4
	v_cndmask_b32_e64 v111, v82, v98, s4
	;; [unrolled: 1-line block ×8, first 2 shown]
	v_lshrrev_b32_e32 v99, 16, v83
	v_cndmask_b32_e64 v94, v86, v102, s4
	v_cndmask_b32_e64 v98, v90, v106, s4
	;; [unrolled: 1-line block ×15, first 2 shown]
	v_lshrrev_b32_e32 v103, 16, v87
	v_lshrrev_b32_e32 v107, 16, v91
	v_cndmask_b32_e64 v113, v115, v83, s15
	v_cndmask_b32_e64 v82, v94, v87, s5
	;; [unrolled: 1-line block ×7, first 2 shown]
	v_cndmask_b32_e32 v90, v102, v95, vcc_lo
	v_cndmask_b32_e32 v102, v106, v99, vcc_lo
	v_cndmask_b32_e64 v106, v110, v95, s13
	v_cndmask_b32_e64 v110, v111, v99, s13
	;; [unrolled: 1-line block ×4, first 2 shown]
	v_lshrrev_b32_e32 v96, 16, v80
	v_lshrrev_b32_e32 v100, 16, v84
	v_cndmask_b32_e64 v111, v112, v95, s17
	v_cndmask_b32_e64 v112, v113, v99, s17
	v_cndmask_b32_e32 v82, v82, v103, vcc_lo
	v_cndmask_b32_e32 v83, v83, v107, vcc_lo
	v_cndmask_b32_e64 v94, v94, v103, s13
	v_cndmask_b32_e64 v90, v90, v80, s3
	;; [unrolled: 1-line block ×7, first 2 shown]
	v_lshrrev_b32_e32 v104, 16, v88
	v_cndmask_b32_e64 v106, v111, v80, s21
	v_cndmask_b32_e64 v110, v112, v84, s21
	;; [unrolled: 1-line block ×11, first 2 shown]
	v_lshrrev_b32_e32 v97, 16, v81
	v_lshrrev_b32_e32 v101, 16, v85
	v_cndmask_b32_e64 v99, v106, v96, s23
	v_cndmask_b32_e64 v102, v110, v100, s23
	;; [unrolled: 1-line block ×7, first 2 shown]
	v_lshrrev_b32_e32 v105, 16, v89
	v_cndmask_b32_e64 v80, v80, v104, s6
	v_cndmask_b32_e64 v84, v84, v81, s7
	;; [unrolled: 1-line block ×16, first 2 shown]
	v_perm_b32 v81, v79, v78, 0x5040100
	v_perm_b32 v79, v95, v85, 0x5040100
	v_cndmask_b32_e64 v78, v119, v91, s15
	v_cndmask_b32_e64 v85, v117, v91, s12
	;; [unrolled: 1-line block ×3, first 2 shown]
	v_perm_b32 v80, v94, v90, 0x5040100
	v_cndmask_b32_e64 v90, v98, v103, s17
	v_cndmask_b32_e64 v86, v86, v103, s18
	;; [unrolled: 1-line block ×5, first 2 shown]
	v_lshrrev_b32_e32 v108, 16, v92
	v_cndmask_b32_e64 v90, v90, v88, s21
	v_cndmask_b32_e64 v86, v86, v88, s22
	;; [unrolled: 1-line block ×11, first 2 shown]
	v_lshrrev_b32_e32 v109, 16, v93
	v_cndmask_b32_e64 v82, v82, v93, s7
	v_cndmask_b32_e64 v88, v88, v89, s26
	;; [unrolled: 1-line block ×12, first 2 shown]
	v_perm_b32 v78, v84, v83, 0x5040100
	v_perm_b32 v85, v87, v86, 0x5040100
	;; [unrolled: 1-line block ×5, first 2 shown]
	s_mul_i32 s8, s33, 13
	s_mov_b32 s3, exec_lo
	ds_store_b128 v74, v[78:81]
	ds_store_b128 v74, v[82:85] offset:1024
	v_cmpx_gt_u32_e32 13, v0
	s_cbranch_execz .LBB982_14
; %bb.13:
	s_mul_i32 s4, s8, s34
	s_delay_alu instid0(SALU_CYCLE_1) | instskip(SKIP_1) | instid1(VALU_DEP_1)
	v_add3_u32 v68, s4, s31, v68
	s_load_b128 s[4:7], s[0:1], 0x58
	v_mad_u64_u32 v[78:79], null, v68, s35, s[14:15]
	s_delay_alu instid0(VALU_DEP_1) | instskip(NEXT) | instid1(VALU_DEP_1)
	v_ashrrev_i32_e32 v79, 31, v78
	v_lshlrev_b64 v[78:79], 2, v[78:79]
	s_waitcnt lgkmcnt(0)
	s_delay_alu instid0(VALU_DEP_1) | instskip(NEXT) | instid1(VALU_DEP_2)
	v_add_co_u32 v80, vcc_lo, s6, v78
	v_add_co_ci_u32_e32 v81, vcc_lo, s7, v79, vcc_lo
	v_add_co_u32 v78, vcc_lo, s4, v78
	v_add_co_ci_u32_e32 v79, vcc_lo, s5, v79, vcc_lo
	global_store_b32 v[80:81], v76, off
	global_store_b32 v[78:79], v77, off
.LBB982_14:
	s_or_b32 exec_lo, exec_lo, s3
	s_waitcnt lgkmcnt(0)
	s_waitcnt_vscnt null, 0x0
	s_barrier
	buffer_gl0_inv
	ds_load_b128 v[84:87], v73
	ds_load_b128 v[88:91], v73 offset:16
	ds_load_b128 v[96:99], v73 offset:2064
	;; [unrolled: 1-line block ×5, first 2 shown]
	v_cmp_eq_u32_e32 vcc_lo, 1, v70
	v_mov_b32_e32 v76, 0
	ds_load_b128 v[112:115], v73 offset:6160
	ds_load_b128 v[108:111], v73 offset:6144
	;; [unrolled: 1-line block ×4, first 2 shown]
	v_cmp_eq_u32_e64 s4, 1, v69
	v_cmp_eq_u32_e64 s3, 1, v72
	;; [unrolled: 1-line block ×3, first 2 shown]
	v_mov_b32_e32 v77, v76
	v_mov_b32_e32 v78, v76
	;; [unrolled: 1-line block ×7, first 2 shown]
	v_cmp_eq_u32_e64 s6, 3, v72
	v_cmp_eq_u32_e64 s7, 7, v72
	s_waitcnt lgkmcnt(8)
	s_delay_alu instid0(VALU_DEP_3)
	v_wmma_f32_16x16x16_f16 v[76:83], v[49:56], v[84:91], v[76:83]
	ds_load_b128 v[53:56], v73 offset:10256
	ds_load_b128 v[49:52], v73 offset:10240
	s_waitcnt lgkmcnt(8)
	v_wmma_f32_16x16x16_f16 v[76:83], v[41:48], v[92:99], v[76:83]
	ds_load_b128 v[45:48], v73 offset:12304
	ds_load_b128 v[41:44], v73 offset:12288
	s_waitcnt lgkmcnt(8)
	;; [unrolled: 4-line block ×3, first 2 shown]
	s_barrier
	buffer_gl0_inv
	v_wmma_f32_16x16x16_f16 v[76:83], v[1:8], v[108:115], v[76:83]
	s_delay_alu instid0(VALU_DEP_1) | instskip(NEXT) | instid1(VALU_DEP_1)
	v_wmma_f32_16x16x16_f16 v[76:83], v[9:16], v[116:123], v[76:83]
	v_wmma_f32_16x16x16_f16 v[76:83], v[17:24], v[49:56], v[76:83]
	s_delay_alu instid0(VALU_DEP_1) | instskip(NEXT) | instid1(VALU_DEP_1)
	v_wmma_f32_16x16x16_f16 v[76:83], v[25:32], v[41:48], v[76:83]
	v_wmma_f32_16x16x16_f16 v[76:83], v[57:64], v[33:40], v[76:83]
	s_delay_alu instid0(VALU_DEP_1) | instskip(NEXT) | instid1(VALU_DEP_2)
	v_cvt_f16_f32_e32 v1, v76
	v_cvt_f16_f32_e32 v2, v77
	s_delay_alu instid0(VALU_DEP_3) | instskip(NEXT) | instid1(VALU_DEP_4)
	v_cvt_f16_f32_e32 v3, v78
	v_cvt_f16_f32_e32 v4, v79
	;; [unrolled: 1-line block ×6, first 2 shown]
	v_pack_b32_f16 v1, v1, v2
	v_pack_b32_f16 v2, v3, v4
	;; [unrolled: 1-line block ×3, first 2 shown]
	s_delay_alu instid0(VALU_DEP_4)
	v_pack_b32_f16 v4, v7, v8
	ds_store_b128 v74, v[1:4]
	s_waitcnt lgkmcnt(0)
	s_barrier
	buffer_gl0_inv
	ds_load_b128 v[1:4], v75
	ds_load_b128 v[5:8], v75 offset:16
	s_waitcnt lgkmcnt(1)
	v_lshrrev_b32_e32 v9, 16, v1
	s_waitcnt lgkmcnt(0)
	v_lshrrev_b32_e32 v13, 16, v5
	v_lshrrev_b32_e32 v10, 16, v2
	;; [unrolled: 1-line block ×4, first 2 shown]
	v_cndmask_b32_e32 v17, v1, v9, vcc_lo
	v_cndmask_b32_e32 v18, v5, v13, vcc_lo
	v_cndmask_b32_e64 v21, v1, v9, s4
	v_cmp_eq_u32_e32 vcc_lo, 1, v71
	v_cndmask_b32_e64 v22, v5, v13, s4
	v_cmp_eq_u32_e64 s4, 2, v70
	v_cndmask_b32_e64 v19, v1, v9, s3
	v_cndmask_b32_e64 v20, v5, v13, s3
	v_cndmask_b32_e32 v1, v1, v9, vcc_lo
	v_cmp_eq_u32_e64 s3, 2, v71
	v_cndmask_b32_e32 v5, v5, v13, vcc_lo
	v_cndmask_b32_e64 v9, v17, v2, s4
	v_cmp_eq_u32_e32 vcc_lo, 3, v70
	v_cndmask_b32_e64 v13, v18, v6, s4
	v_cmp_eq_u32_e64 s4, 2, v69
	v_cndmask_b32_e64 v17, v19, v2, s5
	v_cndmask_b32_e64 v18, v20, v6, s5
	v_cmp_eq_u32_e64 s5, 3, v69
	v_cndmask_b32_e64 v1, v1, v2, s3
	v_cndmask_b32_e64 v19, v21, v2, s4
	;; [unrolled: 1-line block ×4, first 2 shown]
	v_cndmask_b32_e32 v5, v9, v10, vcc_lo
	v_cndmask_b32_e32 v6, v13, v14, vcc_lo
	v_cmp_eq_u32_e32 vcc_lo, 3, v71
	v_cndmask_b32_e64 v9, v17, v10, s6
	v_cndmask_b32_e64 v13, v18, v14, s6
	v_cndmask_b32_e64 v18, v20, v14, s5
	v_cmp_eq_u32_e64 s4, 4, v70
	v_cndmask_b32_e32 v1, v1, v10, vcc_lo
	v_cndmask_b32_e32 v2, v2, v14, vcc_lo
	v_cmp_eq_u32_e32 vcc_lo, 4, v72
	v_lshrrev_b32_e32 v15, 16, v7
	v_lshrrev_b32_e32 v16, 16, v8
	v_cndmask_b32_e64 v17, v19, v10, s5
	v_cmp_eq_u32_e64 s3, 4, v71
	v_cndmask_b32_e64 v5, v5, v3, s4
	v_cndmask_b32_e64 v6, v6, v7, s4
	v_cndmask_b32_e32 v9, v9, v3, vcc_lo
	v_cmp_eq_u32_e64 s4, 5, v72
	v_cndmask_b32_e32 v10, v13, v7, vcc_lo
	v_cmp_eq_u32_e32 vcc_lo, 4, v69
	v_cmp_eq_u32_e64 s5, 5, v70
	v_cndmask_b32_e64 v2, v2, v7, s3
	v_cndmask_b32_e64 v9, v9, v11, s4
	v_cndmask_b32_e64 v10, v10, v15, s4
	v_cndmask_b32_e32 v13, v17, v3, vcc_lo
	v_cmp_eq_u32_e64 s4, 5, v69
	v_cndmask_b32_e32 v14, v18, v7, vcc_lo
	v_cndmask_b32_e64 v1, v1, v3, s3
	v_cmp_eq_u32_e32 vcc_lo, 5, v71
	v_lshrrev_b32_e32 v12, 16, v4
	v_cndmask_b32_e64 v13, v13, v11, s4
	v_cndmask_b32_e64 v3, v14, v15, s4
	v_cmp_eq_u32_e64 s4, 6, v71
	v_cndmask_b32_e32 v1, v1, v11, vcc_lo
	v_cndmask_b32_e64 v5, v5, v11, s5
	v_cmp_eq_u32_e64 s6, 6, v70
	v_cndmask_b32_e64 v6, v6, v15, s5
	v_cmp_eq_u32_e64 s5, 6, v72
	v_cmp_eq_u32_e64 s3, 6, v69
	v_cndmask_b32_e64 v1, v1, v4, s4
	v_cndmask_b32_e32 v2, v2, v15, vcc_lo
	v_cmp_eq_u32_e32 vcc_lo, 7, v71
	v_cndmask_b32_e64 v5, v5, v4, s6
	v_cndmask_b32_e64 v9, v9, v4, s5
	;; [unrolled: 1-line block ×3, first 2 shown]
	v_cmp_eq_u32_e64 s6, 7, v70
	v_cndmask_b32_e32 v1, v1, v12, vcc_lo
	v_cndmask_b32_e64 v7, v13, v4, s3
	v_cndmask_b32_e64 v3, v3, v8, s3
	;; [unrolled: 1-line block ×3, first 2 shown]
	v_cmp_eq_u32_e64 s3, 7, v69
	v_cndmask_b32_e64 v4, v10, v8, s5
	v_cndmask_b32_e64 v5, v5, v12, s6
	;; [unrolled: 1-line block ×3, first 2 shown]
	v_cndmask_b32_e32 v2, v2, v16, vcc_lo
	v_cndmask_b32_e64 v7, v7, v12, s3
	v_cndmask_b32_e64 v3, v3, v16, s3
	;; [unrolled: 1-line block ×4, first 2 shown]
	v_perm_b32 v4, v2, v1, 0x5040100
	s_mov_b32 s3, exec_lo
	v_perm_b32 v3, v3, v7, 0x5040100
	v_perm_b32 v2, v8, v9, 0x5040100
	;; [unrolled: 1-line block ×3, first 2 shown]
	ds_store_b128 v74, v[1:4]
	s_waitcnt lgkmcnt(0)
	s_barrier
	buffer_gl0_inv
	v_cmpx_gt_u32_e32 32, v0
	s_cbranch_execz .LBB982_2
; %bb.15:
	s_load_b64 s[4:5], s[0:1], 0x68
	v_lshlrev_b32_e32 v0, 10, v0
	v_lshlrev_b32_e32 v1, 4, v67
	s_lshl_b32 s0, s35, 7
	v_add_nc_u32_e32 v18, s31, v66
	s_mul_i32 s1, s0, s34
	s_delay_alu instid0(VALU_DEP_2) | instskip(SKIP_1) | instid1(VALU_DEP_2)
	v_and_or_b32 v0, 0x3800, v0, v1
	s_mul_i32 s6, s1, s8
	v_mul_lo_u32 v1, v18, s0
	s_ashr_i32 s7, s6, 31
	v_add_nc_u32_e32 v2, 2, v18
	v_lshl_or_b32 v19, v66, 6, v0
	s_lshl_b64 s[6:7], s[6:7], 1
	v_add_nc_u32_e32 v8, 4, v18
	v_add_nc_u32_e32 v15, 6, v18
	v_mul_lo_u32 v7, v2, s0
	ds_load_b128 v[3:6], v19
	v_ashrrev_i32_e32 v2, 31, v1
	v_mul_lo_u32 v11, v8, s0
	s_waitcnt lgkmcnt(0)
	s_add_u32 s1, s4, s6
	s_addc_u32 s3, s5, s7
	s_lshl_b32 s4, s14, 7
	v_lshlrev_b64 v[9:10], 1, v[1:2]
	s_ashr_i32 s5, s4, 31
	v_ashrrev_i32_e32 v8, 31, v7
	s_lshl_b64 s[4:5], s[4:5], 1
	v_ashrrev_i32_e32 v12, 31, v11
	s_add_u32 s1, s1, s4
	s_addc_u32 s3, s3, s5
	v_add_co_u32 v1, s1, s1, v65
	s_delay_alu instid0(VALU_DEP_1) | instskip(SKIP_1) | instid1(VALU_DEP_3)
	v_add_co_ci_u32_e64 v2, null, s3, 0, s1
	v_mul_lo_u32 v15, v15, s0
	v_add_co_u32 v13, vcc_lo, v1, v9
	s_delay_alu instid0(VALU_DEP_3)
	v_add_co_ci_u32_e32 v14, vcc_lo, v2, v10, vcc_lo
	v_lshlrev_b64 v[16:17], 1, v[7:8]
	ds_load_b128 v[7:10], v19 offset:128
	global_store_b128 v[13:14], v[3:6], off
	v_add_nc_u32_e32 v5, 8, v18
	v_lshlrev_b64 v[3:4], 1, v[11:12]
	v_add_co_u32 v23, vcc_lo, v1, v16
	v_ashrrev_i32_e32 v16, 31, v15
	s_delay_alu instid0(VALU_DEP_4) | instskip(SKIP_3) | instid1(VALU_DEP_3)
	v_mul_lo_u32 v25, v5, s0
	v_add_nc_u32_e32 v5, 10, v18
	v_add_co_ci_u32_e32 v24, vcc_lo, v2, v17, vcc_lo
	v_add_co_u32 v27, vcc_lo, v1, v3
	v_mul_lo_u32 v29, v5, s0
	v_add_co_ci_u32_e32 v28, vcc_lo, v2, v4, vcc_lo
	v_lshlrev_b64 v[31:32], 1, v[15:16]
	ds_load_b128 v[3:6], v19 offset:256
	ds_load_b128 v[11:14], v19 offset:384
	;; [unrolled: 1-line block ×4, first 2 shown]
	v_ashrrev_i32_e32 v26, 31, v25
	v_ashrrev_i32_e32 v30, 31, v29
	v_add_co_u32 v31, vcc_lo, v1, v31
	s_delay_alu instid0(VALU_DEP_3) | instskip(SKIP_1) | instid1(VALU_DEP_4)
	v_lshlrev_b64 v[25:26], 1, v[25:26]
	v_add_co_ci_u32_e32 v32, vcc_lo, v2, v32, vcc_lo
	v_lshlrev_b64 v[29:30], 1, v[29:30]
	s_delay_alu instid0(VALU_DEP_3) | instskip(NEXT) | instid1(VALU_DEP_4)
	v_add_co_u32 v25, vcc_lo, v1, v25
	v_add_co_ci_u32_e32 v26, vcc_lo, v2, v26, vcc_lo
	s_delay_alu instid0(VALU_DEP_3) | instskip(NEXT) | instid1(VALU_DEP_4)
	v_add_co_u32 v29, vcc_lo, v1, v29
	v_add_co_ci_u32_e32 v30, vcc_lo, v2, v30, vcc_lo
	s_waitcnt lgkmcnt(4)
	global_store_b128 v[23:24], v[7:10], off
	s_waitcnt lgkmcnt(3)
	global_store_b128 v[27:28], v[3:6], off
	;; [unrolled: 2-line block ×5, first 2 shown]
	s_and_b32 exec_lo, exec_lo, s2
	s_cbranch_execz .LBB982_2
; %bb.16:
	ds_load_b128 v[3:6], v0 offset:768
	s_add_i32 s1, s31, 12
	s_delay_alu instid0(SALU_CYCLE_1) | instskip(NEXT) | instid1(SALU_CYCLE_1)
	s_mul_i32 s0, s1, s0
	s_ashr_i32 s1, s0, 31
	s_delay_alu instid0(SALU_CYCLE_1) | instskip(NEXT) | instid1(SALU_CYCLE_1)
	s_lshl_b64 s[0:1], s[0:1], 1
	v_add_co_u32 v0, vcc_lo, v1, s0
	v_add_co_ci_u32_e32 v1, vcc_lo, s1, v2, vcc_lo
	s_waitcnt lgkmcnt(0)
	global_store_b128 v[0:1], v[3:6], off
	s_nop 0
	s_sendmsg sendmsg(MSG_DEALLOC_VGPRS)
	s_endpgm
	.section	.rodata,"a",@progbits
	.p2align	6, 0x0
	.amdhsa_kernel _Z39paged_attention_ll4mi_QKV_mfma16_kernelIDF16_hLN4vllm18Fp8KVCacheDataTypeE1EDF16_Li16ELi128ELi256ELb1ELi13EL8MFMAType1EEvPKT_PKT0_S8_ifPKiSA_SA_iPKfiiiPfSD_PS3_PT2_iSC_SC_
		.amdhsa_group_segment_fixed_size 17472
		.amdhsa_private_segment_fixed_size 0
		.amdhsa_kernarg_size 400
		.amdhsa_user_sgpr_count 13
		.amdhsa_user_sgpr_dispatch_ptr 0
		.amdhsa_user_sgpr_queue_ptr 0
		.amdhsa_user_sgpr_kernarg_segment_ptr 1
		.amdhsa_user_sgpr_dispatch_id 0
		.amdhsa_user_sgpr_private_segment_size 0
		.amdhsa_wavefront_size32 1
		.amdhsa_uses_dynamic_stack 0
		.amdhsa_enable_private_segment 0
		.amdhsa_system_sgpr_workgroup_id_x 1
		.amdhsa_system_sgpr_workgroup_id_y 1
		.amdhsa_system_sgpr_workgroup_id_z 1
		.amdhsa_system_sgpr_workgroup_info 0
		.amdhsa_system_vgpr_workitem_id 0
		.amdhsa_next_free_vgpr 150
		.amdhsa_next_free_sgpr 36
		.amdhsa_reserve_vcc 1
		.amdhsa_float_round_mode_32 0
		.amdhsa_float_round_mode_16_64 0
		.amdhsa_float_denorm_mode_32 3
		.amdhsa_float_denorm_mode_16_64 3
		.amdhsa_dx10_clamp 1
		.amdhsa_ieee_mode 1
		.amdhsa_fp16_overflow 0
		.amdhsa_workgroup_processor_mode 1
		.amdhsa_memory_ordered 1
		.amdhsa_forward_progress 0
		.amdhsa_shared_vgpr_count 0
		.amdhsa_exception_fp_ieee_invalid_op 0
		.amdhsa_exception_fp_denorm_src 0
		.amdhsa_exception_fp_ieee_div_zero 0
		.amdhsa_exception_fp_ieee_overflow 0
		.amdhsa_exception_fp_ieee_underflow 0
		.amdhsa_exception_fp_ieee_inexact 0
		.amdhsa_exception_int_div_zero 0
	.end_amdhsa_kernel
	.section	.text._Z39paged_attention_ll4mi_QKV_mfma16_kernelIDF16_hLN4vllm18Fp8KVCacheDataTypeE1EDF16_Li16ELi128ELi256ELb1ELi13EL8MFMAType1EEvPKT_PKT0_S8_ifPKiSA_SA_iPKfiiiPfSD_PS3_PT2_iSC_SC_,"axG",@progbits,_Z39paged_attention_ll4mi_QKV_mfma16_kernelIDF16_hLN4vllm18Fp8KVCacheDataTypeE1EDF16_Li16ELi128ELi256ELb1ELi13EL8MFMAType1EEvPKT_PKT0_S8_ifPKiSA_SA_iPKfiiiPfSD_PS3_PT2_iSC_SC_,comdat
.Lfunc_end982:
	.size	_Z39paged_attention_ll4mi_QKV_mfma16_kernelIDF16_hLN4vllm18Fp8KVCacheDataTypeE1EDF16_Li16ELi128ELi256ELb1ELi13EL8MFMAType1EEvPKT_PKT0_S8_ifPKiSA_SA_iPKfiiiPfSD_PS3_PT2_iSC_SC_, .Lfunc_end982-_Z39paged_attention_ll4mi_QKV_mfma16_kernelIDF16_hLN4vllm18Fp8KVCacheDataTypeE1EDF16_Li16ELi128ELi256ELb1ELi13EL8MFMAType1EEvPKT_PKT0_S8_ifPKiSA_SA_iPKfiiiPfSD_PS3_PT2_iSC_SC_
                                        ; -- End function
	.section	.AMDGPU.csdata,"",@progbits
; Kernel info:
; codeLenInByte = 6852
; NumSgprs: 38
; NumVgprs: 150
; ScratchSize: 0
; MemoryBound: 0
; FloatMode: 240
; IeeeMode: 1
; LDSByteSize: 17472 bytes/workgroup (compile time only)
; SGPRBlocks: 4
; VGPRBlocks: 18
; NumSGPRsForWavesPerEU: 38
; NumVGPRsForWavesPerEU: 150
; Occupancy: 9
; WaveLimiterHint : 1
; COMPUTE_PGM_RSRC2:SCRATCH_EN: 0
; COMPUTE_PGM_RSRC2:USER_SGPR: 13
; COMPUTE_PGM_RSRC2:TRAP_HANDLER: 0
; COMPUTE_PGM_RSRC2:TGID_X_EN: 1
; COMPUTE_PGM_RSRC2:TGID_Y_EN: 1
; COMPUTE_PGM_RSRC2:TGID_Z_EN: 1
; COMPUTE_PGM_RSRC2:TIDIG_COMP_CNT: 0
	.section	.text._Z39paged_attention_ll4mi_QKV_mfma16_kernelIDF16_hLN4vllm18Fp8KVCacheDataTypeE1EDF16_Li16ELi128ELi256ELb1ELi14EL8MFMAType1EEvPKT_PKT0_S8_ifPKiSA_SA_iPKfiiiPfSD_PS3_PT2_iSC_SC_,"axG",@progbits,_Z39paged_attention_ll4mi_QKV_mfma16_kernelIDF16_hLN4vllm18Fp8KVCacheDataTypeE1EDF16_Li16ELi128ELi256ELb1ELi14EL8MFMAType1EEvPKT_PKT0_S8_ifPKiSA_SA_iPKfiiiPfSD_PS3_PT2_iSC_SC_,comdat
	.protected	_Z39paged_attention_ll4mi_QKV_mfma16_kernelIDF16_hLN4vllm18Fp8KVCacheDataTypeE1EDF16_Li16ELi128ELi256ELb1ELi14EL8MFMAType1EEvPKT_PKT0_S8_ifPKiSA_SA_iPKfiiiPfSD_PS3_PT2_iSC_SC_ ; -- Begin function _Z39paged_attention_ll4mi_QKV_mfma16_kernelIDF16_hLN4vllm18Fp8KVCacheDataTypeE1EDF16_Li16ELi128ELi256ELb1ELi14EL8MFMAType1EEvPKT_PKT0_S8_ifPKiSA_SA_iPKfiiiPfSD_PS3_PT2_iSC_SC_
	.globl	_Z39paged_attention_ll4mi_QKV_mfma16_kernelIDF16_hLN4vllm18Fp8KVCacheDataTypeE1EDF16_Li16ELi128ELi256ELb1ELi14EL8MFMAType1EEvPKT_PKT0_S8_ifPKiSA_SA_iPKfiiiPfSD_PS3_PT2_iSC_SC_
	.p2align	8
	.type	_Z39paged_attention_ll4mi_QKV_mfma16_kernelIDF16_hLN4vllm18Fp8KVCacheDataTypeE1EDF16_Li16ELi128ELi256ELb1ELi14EL8MFMAType1EEvPKT_PKT0_S8_ifPKiSA_SA_iPKfiiiPfSD_PS3_PT2_iSC_SC_,@function
_Z39paged_attention_ll4mi_QKV_mfma16_kernelIDF16_hLN4vllm18Fp8KVCacheDataTypeE1EDF16_Li16ELi128ELi256ELb1ELi14EL8MFMAType1EEvPKT_PKT0_S8_ifPKiSA_SA_iPKfiiiPfSD_PS3_PT2_iSC_SC_: ; @_Z39paged_attention_ll4mi_QKV_mfma16_kernelIDF16_hLN4vllm18Fp8KVCacheDataTypeE1EDF16_Li16ELi128ELi256ELb1ELi14EL8MFMAType1EEvPKT_PKT0_S8_ifPKiSA_SA_iPKfiiiPfSD_PS3_PT2_iSC_SC_
; %bb.0:
	s_load_b64 s[4:5], s[0:1], 0x30
	s_mov_b32 s30, s13
	s_waitcnt lgkmcnt(0)
	s_cmp_lg_u64 s[4:5], 0
	s_cselect_b32 s8, -1, 0
	s_ashr_i32 s31, s13, 31
	s_cmp_eq_u64 s[4:5], 0
	s_cbranch_scc1 .LBB983_3
; %bb.1:
	s_lshl_b64 s[2:3], s[30:31], 2
	s_delay_alu instid0(SALU_CYCLE_1) | instskip(SKIP_4) | instid1(SALU_CYCLE_1)
	s_add_u32 s2, s4, s2
	s_addc_u32 s3, s5, s3
	s_load_b64 s[2:3], s[2:3], 0x0
	s_waitcnt lgkmcnt(0)
	s_sub_i32 s2, s3, s2
	s_cmp_eq_u32 s2, 1
	s_cselect_b32 s2, -1, 0
	s_delay_alu instid0(SALU_CYCLE_1)
	s_and_not1_b32 vcc_lo, exec_lo, s2
	s_cbranch_vccz .LBB983_4
.LBB983_2:
	s_endpgm
.LBB983_3:
.LBB983_4:
	s_load_b64 s[2:3], s[0:1], 0x28
	s_lshl_b64 s[6:7], s[30:31], 2
	s_waitcnt lgkmcnt(0)
	s_add_u32 s2, s2, s6
	s_addc_u32 s3, s3, s7
	s_lshl_b32 s12, s14, 8
	s_load_b32 s24, s[2:3], 0x0
	s_waitcnt lgkmcnt(0)
	s_cmp_ge_i32 s12, s24
	s_cbranch_scc1 .LBB983_2
; %bb.5:
	s_clause 0x1
	s_load_b128 s[20:23], s[0:1], 0x8
	s_load_b64 s[2:3], s[0:1], 0x20
	s_and_not1_b32 vcc_lo, exec_lo, s8
	s_cbranch_vccnz .LBB983_7
; %bb.6:
	s_add_u32 s4, s4, s6
	s_addc_u32 s5, s5, s7
	s_load_b32 s5, s[4:5], 0x0
	s_branch .LBB983_8
.LBB983_7:
	s_mov_b32 s5, s30
.LBB983_8:
	s_load_b128 s[16:19], s[0:1], 0x48
	v_and_b32_e32 v68, 15, v0
	v_lshrrev_b32_e32 v69, 5, v0
	v_and_b32_e32 v70, 31, v0
	v_and_b32_e32 v67, 1, v0
	v_bfe_u32 v66, v0, 4, 1
	v_lshlrev_b32_e32 v1, 3, v68
	s_mul_i32 s31, s15, 14
	s_mov_b32 s4, exec_lo
	s_delay_alu instid0(VALU_DEP_1)
	v_lshlrev_b32_e32 v65, 1, v1
	v_cmpx_gt_u32_e32 0xe0, v0
	s_cbranch_execz .LBB983_10
; %bb.9:
	s_load_b64 s[6:7], s[0:1], 0x0
	v_lshl_or_b32 v5, v69, 1, v66
	s_waitcnt lgkmcnt(0)
	s_mul_hi_i32 s9, s5, s16
	s_mul_i32 s8, s5, s16
	v_lshlrev_b32_e32 v6, 10, v68
	s_lshl_b64 s[8:9], s[8:9], 1
	v_add_lshl_u32 v1, v5, s31, 7
	v_lshlrev_b32_e32 v5, 6, v5
	v_lshlrev_b32_e32 v7, 10, v67
	v_and_b32_e32 v6, 0x3800, v6
	s_delay_alu instid0(VALU_DEP_4) | instskip(NEXT) | instid1(VALU_DEP_2)
	v_ashrrev_i32_e32 v2, 31, v1
	v_or3_b32 v5, v6, v7, v5
	s_delay_alu instid0(VALU_DEP_2) | instskip(SKIP_2) | instid1(VALU_DEP_1)
	v_lshlrev_b64 v[1:2], 1, v[1:2]
	s_add_u32 s5, s6, s8
	s_addc_u32 s6, s7, s9
	v_add_co_u32 v1, vcc_lo, s5, v1
	s_delay_alu instid0(VALU_DEP_2) | instskip(NEXT) | instid1(VALU_DEP_2)
	v_add_co_ci_u32_e32 v2, vcc_lo, s6, v2, vcc_lo
	v_add_co_u32 v1, vcc_lo, v1, v65
	s_delay_alu instid0(VALU_DEP_2)
	v_add_co_ci_u32_e32 v2, vcc_lo, 0, v2, vcc_lo
	global_load_b128 v[1:4], v[1:2], off
	s_waitcnt vmcnt(0)
	ds_store_b128 v5, v[1:4]
.LBB983_10:
	s_or_b32 exec_lo, exec_lo, s4
	v_and_b32_e32 v1, 0xef, v0
	s_waitcnt lgkmcnt(0)
	s_add_i32 s5, s24, 15
	s_clause 0x1
	s_load_b32 s4, s[0:1], 0x38
	s_load_b32 s33, s[0:1], 0x98
	s_ashr_i32 s6, s5, 31
	v_add_nc_u32_e32 v1, s12, v1
	s_lshr_b32 s6, s6, 28
	s_load_b32 s19, s[0:1], 0x1c
	s_add_i32 s5, s5, s6
	s_waitcnt lgkmcnt(0)
	v_ashrrev_i32_e32 v2, 31, v1
	v_or_b32_e32 v3, 16, v1
	s_ashr_i32 s13, s5, 4
	v_cmp_gt_i32_e32 vcc_lo, s24, v1
	s_add_i32 s13, s13, -1
	v_lshrrev_b32_e32 v2, 28, v2
	s_barrier
	buffer_gl0_inv
	s_mul_i32 s15, s15, s18
	v_add_nc_u32_e32 v4, v1, v2
	s_mul_i32 s4, s30, s4
	s_delay_alu instid0(SALU_CYCLE_1) | instskip(NEXT) | instid1(VALU_DEP_1)
	s_ashr_i32 s5, s4, 31
	v_ashrrev_i32_e32 v4, 4, v4
	v_add_nc_u32_e32 v2, v3, v2
	s_lshl_b64 s[4:5], s[4:5], 2
	s_delay_alu instid0(SALU_CYCLE_1) | instskip(NEXT) | instid1(VALU_DEP_2)
	s_add_u32 s16, s2, s4
	v_cndmask_b32_e32 v1, s13, v4, vcc_lo
	s_delay_alu instid0(VALU_DEP_2)
	v_ashrrev_i32_e32 v2, 4, v2
	v_cmp_gt_i32_e32 vcc_lo, s24, v3
	s_addc_u32 s25, s3, s5
	s_ashr_i32 s18, s15, 31
	s_add_u32 s26, s20, s15
	s_addc_u32 s27, s21, s18
	v_cndmask_b32_e32 v3, s13, v2, vcc_lo
	v_ashrrev_i32_e32 v2, 31, v1
	s_lshl_b32 s2, s14, 4
	s_delay_alu instid0(SALU_CYCLE_1) | instskip(NEXT) | instid1(VALU_DEP_2)
	s_ashr_i32 s3, s2, 31
	v_ashrrev_i32_e32 v4, 31, v3
	s_delay_alu instid0(VALU_DEP_2) | instskip(SKIP_1) | instid1(SALU_CYCLE_1)
	v_lshlrev_b64 v[1:2], 2, v[1:2]
	s_lshl_b64 s[2:3], s[2:3], 2
	s_add_u32 s2, s16, s2
	s_delay_alu instid0(VALU_DEP_2) | instskip(SKIP_1) | instid1(VALU_DEP_2)
	v_lshlrev_b64 v[3:4], 2, v[3:4]
	s_addc_u32 s3, s25, s3
	v_add_co_u32 v1, vcc_lo, s16, v1
	v_add_co_ci_u32_e32 v2, vcc_lo, s25, v2, vcc_lo
	s_delay_alu instid0(VALU_DEP_3) | instskip(NEXT) | instid1(VALU_DEP_4)
	v_add_co_u32 v3, vcc_lo, s16, v3
	v_add_co_ci_u32_e32 v4, vcc_lo, s25, v4, vcc_lo
	s_clause 0x1
	global_load_b32 v5, v[1:2], off
	global_load_b32 v7, v[3:4], off
	s_or_b32 s4, s12, 32
	v_lshlrev_b32_e32 v1, 4, v0
	s_ashr_i32 s5, s4, 4
	s_cmp_lt_i32 s4, s24
	v_cmp_gt_u32_e32 vcc_lo, 14, v68
	s_cselect_b32 s4, s5, s13
	v_and_b32_e32 v1, 0xf0, v1
	s_ashr_i32 s5, s4, 31
	s_delay_alu instid0(SALU_CYCLE_1) | instskip(NEXT) | instid1(SALU_CYCLE_1)
	s_lshl_b64 s[4:5], s[4:5], 2
	s_add_u32 s4, s16, s4
	s_addc_u32 s5, s25, s5
	s_or_b32 s6, s12, 64
	v_add_co_u32 v1, s26, s26, v1
	s_ashr_i32 s7, s6, 4
	s_cmp_lt_i32 s6, s24
	v_add_co_ci_u32_e64 v2, null, s27, 0, s26
	s_cselect_b32 s6, s7, s13
	s_delay_alu instid0(SALU_CYCLE_1) | instskip(NEXT) | instid1(SALU_CYCLE_1)
	s_ashr_i32 s7, s6, 31
	s_lshl_b64 s[6:7], s[6:7], 2
	s_delay_alu instid0(SALU_CYCLE_1) | instskip(SKIP_2) | instid1(SALU_CYCLE_1)
	s_add_u32 s6, s16, s6
	s_addc_u32 s7, s25, s7
	s_or_b32 s8, s12, 0x60
	s_ashr_i32 s9, s8, 4
	s_cmp_lt_i32 s8, s24
	s_cselect_b32 s8, s9, s13
	s_delay_alu instid0(SALU_CYCLE_1) | instskip(NEXT) | instid1(SALU_CYCLE_1)
	s_ashr_i32 s9, s8, 31
	s_lshl_b64 s[8:9], s[8:9], 2
	s_delay_alu instid0(SALU_CYCLE_1) | instskip(SKIP_2) | instid1(SALU_CYCLE_1)
	s_add_u32 s8, s16, s8
	s_addc_u32 s9, s25, s9
	s_or_b32 s10, s12, 0x80
	s_ashr_i32 s11, s10, 4
	s_cmp_lt_i32 s10, s24
	;; [unrolled: 10-line block ×3, first 2 shown]
	s_cselect_b32 s20, s21, s13
	s_delay_alu instid0(SALU_CYCLE_1) | instskip(NEXT) | instid1(SALU_CYCLE_1)
	s_ashr_i32 s21, s20, 31
	s_lshl_b64 s[20:21], s[20:21], 2
	s_delay_alu instid0(SALU_CYCLE_1)
	s_add_u32 s20, s16, s20
	s_addc_u32 s21, s25, s21
	s_clause 0x5
	s_load_b32 s26, s[2:3], 0x0
	s_load_b32 s27, s[4:5], 0x0
	;; [unrolled: 1-line block ×6, first 2 shown]
	s_or_b32 s2, s12, 0xc0
	s_mov_b32 s4, 0
	s_ashr_i32 s3, s2, 4
	s_cmp_lt_i32 s2, s24
	s_mov_b32 s11, s4
	s_cselect_b32 s2, s3, s13
	s_mov_b32 s5, s4
	s_ashr_i32 s3, s2, 31
	s_mov_b32 s6, s4
	s_lshl_b64 s[2:3], s[2:3], 2
	s_mov_b32 s7, s4
	s_add_u32 s2, s16, s2
	s_addc_u32 s3, s25, s3
	s_or_b32 s20, s12, 0xe0
	s_mov_b32 s8, s4
	s_ashr_i32 s21, s20, 4
	s_cmp_lt_i32 s20, s24
	s_mov_b32 s9, s4
	s_cselect_b32 s20, s21, s13
	s_mov_b32 s10, s4
	s_ashr_i32 s21, s20, 31
	v_mov_b32_e32 v118, s11
	v_dual_mov_b32 v112, s5 :: v_dual_mov_b32 v117, s10
	v_dual_mov_b32 v116, s9 :: v_dual_mov_b32 v115, s8
	;; [unrolled: 1-line block ×3, first 2 shown]
	v_mov_b32_e32 v111, s4
	s_lshl_b64 s[4:5], s[20:21], 2
	s_delay_alu instid0(SALU_CYCLE_1)
	s_add_u32 s4, s16, s4
	s_addc_u32 s5, s25, s5
	s_add_u32 s6, s22, s15
	s_addc_u32 s7, s23, s18
	s_waitcnt vmcnt(1)
	v_mad_i64_i32 v[3:4], null, v5, s17, v[1:2]
	s_waitcnt vmcnt(0)
	v_mad_i64_i32 v[5:6], null, v7, s17, v[1:2]
	v_add_nc_u32_e32 v1, -14, v68
	v_lshlrev_b32_e32 v2, 4, v68
	s_clause 0xf
	global_load_b128 v[17:20], v[3:4], off
	global_load_b128 v[21:24], v[3:4], off offset:256
	global_load_b128 v[25:28], v[5:6], off
	global_load_b128 v[29:32], v[5:6], off offset:256
	global_load_b128 v[57:60], v[3:4], off offset:512
	;; [unrolled: 1-line block ×13, first 2 shown]
	v_cndmask_b32_e32 v1, v1, v68, vcc_lo
	s_delay_alu instid0(VALU_DEP_1)
	v_lshlrev_b32_e32 v149, 6, v1
	v_lshl_or_b32 v1, v69, 8, v2
	ds_load_b128 v[119:122], v149
	ds_load_b128 v[123:126], v149 offset:1024
	ds_load_b128 v[127:130], v149 offset:2048
	;; [unrolled: 1-line block ×3, first 2 shown]
	s_clause 0x1
	s_load_b32 s2, s[2:3], 0x0
	s_load_b32 s3, s[4:5], 0x0
	v_add_co_u32 v135, s6, s6, v1
	s_delay_alu instid0(VALU_DEP_1) | instskip(SKIP_1) | instid1(VALU_DEP_1)
	v_add_co_ci_u32_e64 v136, null, s7, 0, s6
	s_waitcnt lgkmcnt(0)
	v_mad_i64_i32 v[1:2], null, s26, s17, v[135:136]
	v_mad_i64_i32 v[3:4], null, s27, s17, v[135:136]
	;; [unrolled: 1-line block ×6, first 2 shown]
	s_clause 0x9
	global_load_b128 v[49:52], v[1:2], off
	global_load_b128 v[53:56], v[1:2], off offset:16
	global_load_b128 v[41:44], v[3:4], off
	global_load_b128 v[45:48], v[3:4], off offset:16
	global_load_b128 v[33:36], v[5:6], off
	global_load_b128 v[37:40], v[5:6], off offset:16
	global_load_b128 v[1:4], v[7:8], off
	global_load_b128 v[5:8], v[7:8], off offset:16
	global_load_b128 v[9:12], v[13:14], off
	global_load_b128 v[13:16], v[13:14], off offset:16
	v_mad_i64_i32 v[145:146], null, s2, s17, v[135:136]
	v_mad_i64_i32 v[147:148], null, s3, s17, v[135:136]
	s_waitcnt vmcnt(24)
	v_wmma_f32_16x16x16_f16 v[135:142], v[17:24], v[119:126], v[111:118]
	s_waitcnt vmcnt(22)
	v_wmma_f32_16x16x16_f16 v[111:118], v[25:32], v[119:126], v[111:118]
	s_clause 0x3
	global_load_b128 v[17:20], v[143:144], off
	global_load_b128 v[21:24], v[143:144], off offset:16
	global_load_b128 v[25:28], v[145:146], off
	global_load_b128 v[29:32], v[145:146], off offset:16
	v_and_b32_e32 v119, 0xe0, v0
	s_waitcnt vmcnt(24)
	v_wmma_f32_16x16x16_f16 v[135:142], v[57:64], v[127:134], v[135:142]
	s_clause 0x1
	global_load_b128 v[57:60], v[147:148], off
	global_load_b128 v[61:64], v[147:148], off offset:16
	s_waitcnt vmcnt(24)
	v_wmma_f32_16x16x16_f16 v[111:118], v[71:78], v[127:134], v[111:118]
	ds_load_b128 v[71:74], v149 offset:4096
	ds_load_b128 v[75:78], v149 offset:5120
	v_add_nc_u32_e32 v128, s12, v119
	ds_load_b128 v[119:122], v149 offset:6144
	ds_load_b128 v[123:126], v149 offset:7168
	v_mbcnt_lo_u32_b32 v127, -1, 0
	s_waitcnt vmcnt(0) lgkmcnt(0)
	s_barrier
	v_or_b32_e32 v128, v128, v66
	buffer_gl0_inv
	v_xor_b32_e32 v129, 16, v127
	v_or_b32_e32 v130, 4, v128
	v_or_b32_e32 v131, 6, v128
	s_delay_alu instid0(VALU_DEP_3) | instskip(SKIP_4) | instid1(VALU_DEP_4)
	v_cmp_gt_i32_e32 vcc_lo, 32, v129
	v_or_b32_e32 v132, 8, v128
	v_or_b32_e32 v133, 10, v128
	v_cmp_gt_i32_e64 s3, s24, v130
	v_cmp_gt_i32_e64 s4, s24, v131
	;; [unrolled: 1-line block ×3, first 2 shown]
	v_wmma_f32_16x16x16_f16 v[135:142], v[79:86], v[71:78], v[135:142]
	v_wmma_f32_16x16x16_f16 v[111:118], v[87:94], v[71:78], v[111:118]
	v_or_b32_e32 v79, 12, v128
	v_or_b32_e32 v80, 14, v128
	v_cmp_gt_i32_e64 s6, s24, v133
	v_wmma_f32_16x16x16_f16 v[135:142], v[95:102], v[119:126], v[135:142]
	v_wmma_f32_16x16x16_f16 v[111:118], v[103:110], v[119:126], v[111:118]
	v_cndmask_b32_e32 v127, v127, v129, vcc_lo
	v_or_b32_e32 v129, 2, v128
	v_cmp_gt_i32_e32 vcc_lo, s24, v128
	v_mul_f32_e32 v88, s19, v135
	v_dual_mul_f32 v92, s19, v115 :: v_dual_mul_f32 v87, s19, v136
	s_delay_alu instid0(VALU_DEP_4)
	v_cmp_gt_i32_e64 s2, s24, v129
	v_mul_f32_e32 v78, s19, v138
	v_mul_f32_e32 v86, s19, v137
	v_cndmask_b32_e32 v88, 0xff7fffff, v88, vcc_lo
	v_mul_f32_e32 v76, s19, v140
	v_cndmask_b32_e64 v87, 0xff7fffff, v87, s2
	v_dual_mul_f32 v77, s19, v139 :: v_dual_mul_f32 v94, s19, v113
	v_cndmask_b32_e64 v86, 0xff7fffff, v86, s3
	v_cndmask_b32_e64 v78, 0xff7fffff, v78, s4
	s_delay_alu instid0(VALU_DEP_4)
	v_max3_f32 v87, v88, 0xff7fffff, v87
	v_or_b32_e32 v81, 16, v128
	v_or_b32_e32 v82, 18, v128
	v_dual_mul_f32 v74, s19, v142 :: v_dual_mul_f32 v75, s19, v141
	v_mul_f32_e32 v96, s19, v111
	v_cndmask_b32_e64 v77, 0xff7fffff, v77, s5
	v_cndmask_b32_e64 v76, 0xff7fffff, v76, s6
	v_max3_f32 v78, v87, v86, v78
	v_cmp_gt_i32_e64 s7, s24, v79
	v_cmp_gt_i32_e64 s8, s24, v80
	v_or_b32_e32 v83, 20, v128
	v_or_b32_e32 v84, 22, v128
	v_mul_f32_e32 v95, s19, v112
	v_cndmask_b32_e64 v75, 0xff7fffff, v75, s7
	v_cndmask_b32_e64 v74, 0xff7fffff, v74, s8
	v_max3_f32 v76, v78, v77, v76
	v_cmp_gt_i32_e64 s9, s24, v81
	v_cmp_gt_i32_e64 s10, s24, v82
	v_or_b32_e32 v85, 24, v128
	v_or_b32_e32 v71, 26, v128
	;; [unrolled: 8-line block ×3, first 2 shown]
	v_mul_f32_e32 v91, s19, v116
	v_cndmask_b32_e64 v75, 0xff7fffff, v94, s11
	v_cndmask_b32_e64 v76, 0xff7fffff, v93, s12
	v_max3_f32 v74, v74, v77, v78
	v_cmp_gt_i32_e64 s13, s24, v85
	v_cmp_gt_i32_e64 s15, s24, v71
	v_dual_mul_f32 v89, s19, v118 :: v_dual_mul_f32 v90, s19, v117
	s_delay_alu instid0(VALU_DEP_4) | instskip(NEXT) | instid1(VALU_DEP_4)
	v_max3_f32 v74, v74, v75, v76
	v_cndmask_b32_e64 v77, 0xff7fffff, v92, s13
	s_delay_alu instid0(VALU_DEP_4) | instskip(SKIP_2) | instid1(VALU_DEP_3)
	v_cndmask_b32_e64 v71, 0xff7fffff, v91, s15
	v_cmp_gt_i32_e64 s16, s24, v72
	v_cmp_gt_i32_e64 s17, s24, v73
	v_max3_f32 v71, v74, v77, v71
	s_delay_alu instid0(VALU_DEP_3) | instskip(NEXT) | instid1(VALU_DEP_3)
	v_cndmask_b32_e64 v72, 0xff7fffff, v90, s16
	v_cndmask_b32_e64 v73, 0xff7fffff, v89, s17
	v_lshlrev_b32_e32 v74, 2, v127
	s_delay_alu instid0(VALU_DEP_2) | instskip(SKIP_3) | instid1(VALU_DEP_1)
	v_max3_f32 v71, v71, v72, v73
	ds_bpermute_b32 v72, v74, v71
	s_waitcnt lgkmcnt(0)
	v_max_f32_e32 v72, v72, v72
	v_max_f32_e32 v71, v71, v72
	s_delay_alu instid0(VALU_DEP_1) | instskip(SKIP_4) | instid1(VALU_DEP_4)
	v_fma_f32 v72, s19, v135, -v71
	v_fma_f32 v73, s19, v136, -v71
	;; [unrolled: 1-line block ×5, first 2 shown]
	v_dual_mul_f32 v72, 0x3fb8aa3b, v72 :: v_dual_mul_f32 v73, 0x3fb8aa3b, v73
	v_fma_f32 v80, s19, v141, -v71
	s_delay_alu instid0(VALU_DEP_3) | instskip(NEXT) | instid1(VALU_DEP_3)
	v_dual_mul_f32 v76, 0x3fb8aa3b, v76 :: v_dual_mul_f32 v77, 0x3fb8aa3b, v77
	v_exp_f32_e32 v72, v72
	s_delay_alu instid0(VALU_DEP_3) | instskip(NEXT) | instid1(VALU_DEP_2)
	v_exp_f32_e32 v73, v73
	v_mul_f32_e32 v82, 0x3fb8aa3b, v80
	s_delay_alu instid0(VALU_DEP_2) | instskip(SKIP_1) | instid1(VALU_DEP_1)
	v_exp_f32_e32 v76, v76
	v_exp_f32_e32 v77, v77
	;; [unrolled: 1-line block ×3, first 2 shown]
	v_cndmask_b32_e32 v79, 0, v72, vcc_lo
	v_fma_f32 v72, s19, v140, -v71
	v_mul_f32_e32 v75, 0x3fb8aa3b, v75
	v_cndmask_b32_e64 v78, 0, v73, s2
	s_delay_alu instid0(TRANS32_DEP_3) | instskip(NEXT) | instid1(VALU_DEP_4)
	v_cndmask_b32_e64 v80, 0, v76, s4
	v_dual_add_f32 v73, 0, v79 :: v_dual_mul_f32 v72, 0x3fb8aa3b, v72
	s_delay_alu instid0(VALU_DEP_4) | instskip(NEXT) | instid1(TRANS32_DEP_3)
	v_exp_f32_e32 v75, v75
	v_cndmask_b32_e64 v83, 0, v77, s5
	s_delay_alu instid0(TRANS32_DEP_2) | instskip(NEXT) | instid1(VALU_DEP_3)
	v_cndmask_b32_e64 v85, 0, v84, s7
	v_add_f32_e32 v73, v73, v78
	v_exp_f32_e32 v72, v72
	s_mov_b32 s2, exec_lo
	s_waitcnt_depctr 0xfff
	v_cndmask_b32_e64 v81, 0, v75, s3
	v_cndmask_b32_e64 v82, 0, v72, s6
	s_delay_alu instid0(VALU_DEP_2) | instskip(NEXT) | instid1(VALU_DEP_1)
	v_add_f32_e32 v73, v73, v81
	v_add_f32_e32 v73, v73, v80
	s_delay_alu instid0(VALU_DEP_1) | instskip(NEXT) | instid1(VALU_DEP_1)
	v_add_f32_e32 v72, v73, v83
	v_add_f32_e32 v72, v72, v82
	s_delay_alu instid0(VALU_DEP_1)
	v_add_f32_e32 v72, v72, v85
	v_fma_f32 v76, s19, v111, -v71
	v_fma_f32 v75, s19, v142, -v71
	;; [unrolled: 1-line block ×5, first 2 shown]
	v_mul_f32_e32 v76, 0x3fb8aa3b, v76
	s_delay_alu instid0(VALU_DEP_4) | instskip(NEXT) | instid1(VALU_DEP_2)
	v_mul_f32_e32 v86, 0x3fb8aa3b, v86
	v_exp_f32_e32 v76, v76
	s_delay_alu instid0(VALU_DEP_1)
	v_exp_f32_e32 v88, v86
	s_waitcnt_depctr 0xfff
	v_cndmask_b32_e64 v87, 0, v76, s9
	v_fma_f32 v76, s19, v116, -v71
	v_mul_f32_e32 v75, 0x3fb8aa3b, v75
	v_cndmask_b32_e64 v88, 0, v88, s12
	s_delay_alu instid0(VALU_DEP_3) | instskip(NEXT) | instid1(VALU_DEP_3)
	v_dual_mul_f32 v73, 0x3fb8aa3b, v73 :: v_dual_mul_f32 v76, 0x3fb8aa3b, v76
	v_exp_f32_e32 v75, v75
	s_delay_alu instid0(VALU_DEP_1) | instskip(NEXT) | instid1(VALU_DEP_1)
	v_exp_f32_e32 v73, v73
	v_exp_f32_e32 v76, v76
	s_delay_alu instid0(TRANS32_DEP_3)
	v_cndmask_b32_e64 v84, 0, v75, s8
	v_fma_f32 v75, s19, v115, -v71
	s_waitcnt_depctr 0xfff
	v_cndmask_b32_e64 v89, 0, v73, s11
	v_cndmask_b32_e64 v90, 0, v76, s15
	v_add_f32_e32 v72, v72, v84
	s_delay_alu instid0(VALU_DEP_1) | instskip(NEXT) | instid1(VALU_DEP_1)
	v_dual_add_f32 v72, v72, v87 :: v_dual_mul_f32 v77, 0x3fb8aa3b, v77
	v_exp_f32_e32 v77, v77
	s_waitcnt_depctr 0xfff
	v_cndmask_b32_e64 v86, 0, v77, s10
	v_fma_f32 v77, s19, v117, -v71
	s_delay_alu instid0(VALU_DEP_2) | instskip(NEXT) | instid1(VALU_DEP_1)
	v_dual_add_f32 v72, v72, v86 :: v_dual_mul_f32 v75, 0x3fb8aa3b, v75
	v_add_f32_e32 v72, v72, v89
	s_delay_alu instid0(VALU_DEP_2) | instskip(NEXT) | instid1(VALU_DEP_1)
	v_exp_f32_e32 v75, v75
	v_add_f32_e32 v72, v72, v88
	s_waitcnt_depctr 0xfff
	v_cndmask_b32_e64 v91, 0, v75, s13
	v_mul_f32_e32 v73, 0x3fb8aa3b, v77
	v_fma_f32 v77, s19, v118, -v71
	s_delay_alu instid0(VALU_DEP_3) | instskip(NEXT) | instid1(VALU_DEP_3)
	v_add_f32_e32 v72, v72, v91
	v_exp_f32_e32 v73, v73
	s_delay_alu instid0(VALU_DEP_1) | instskip(NEXT) | instid1(VALU_DEP_1)
	v_dual_mul_f32 v75, 0x3fb8aa3b, v77 :: v_dual_add_f32 v72, v72, v90
	v_exp_f32_e32 v75, v75
	s_waitcnt_depctr 0xfff
	v_cndmask_b32_e64 v93, 0, v73, s16
	s_delay_alu instid0(VALU_DEP_1) | instskip(SKIP_1) | instid1(VALU_DEP_1)
	v_add_f32_e32 v72, v72, v93
	v_cndmask_b32_e64 v92, 0, v75, s17
	v_add_f32_e32 v72, v72, v92
	ds_bpermute_b32 v73, v74, v72
	v_cmpx_gt_u32_e32 16, v70
	s_cbranch_execz .LBB983_12
; %bb.11:
	v_mul_u32_u24_e32 v70, 0x44, v69
	s_waitcnt lgkmcnt(0)
	v_add_f32_e32 v72, v72, v73
	s_delay_alu instid0(VALU_DEP_2) | instskip(NEXT) | instid1(VALU_DEP_1)
	v_lshl_add_u32 v70, v68, 2, v70
	v_add_nc_u32_e32 v70, 0x4000, v70
	ds_store_2addr_b32 v70, v71, v72 offset1:136
.LBB983_12:
	s_or_b32 exec_lo, exec_lo, s2
	v_lshlrev_b32_e32 v70, 2, v68
	s_load_b32 s34, s[0:1], 0x94
	s_waitcnt lgkmcnt(0)
	s_barrier
	buffer_gl0_inv
	v_add_nc_u32_e32 v98, 0x4000, v70
	v_cmp_eq_u32_e32 vcc_lo, 1, v69
	v_cmp_eq_u32_e64 s2, 2, v69
	v_cmp_eq_u32_e64 s3, 3, v69
	;; [unrolled: 1-line block ×3, first 2 shown]
	ds_load_2addr_b32 v[70:71], v98 offset1:17
	ds_load_2addr_b32 v[72:73], v98 offset0:34 offset1:51
	ds_load_2addr_b32 v[74:75], v98 offset0:68 offset1:85
	;; [unrolled: 1-line block ×3, first 2 shown]
	v_cmp_eq_u32_e64 s5, 5, v69
	v_cmp_eq_u32_e64 s6, 7, v69
	s_waitcnt lgkmcnt(3)
	v_max3_f32 v76, v70, 0xff7fffff, v71
	s_waitcnt lgkmcnt(2)
	s_delay_alu instid0(VALU_DEP_1) | instskip(SKIP_1) | instid1(VALU_DEP_1)
	v_max3_f32 v76, v76, v72, v73
	s_waitcnt lgkmcnt(1)
	v_max3_f32 v76, v76, v74, v75
	s_waitcnt lgkmcnt(0)
	s_delay_alu instid0(VALU_DEP_1) | instskip(NEXT) | instid1(VALU_DEP_1)
	v_max3_f32 v76, v76, v94, v95
	v_sub_f32_e32 v77, v71, v76
	ds_load_2addr_b32 v[96:97], v98 offset0:136 offset1:153
	v_sub_f32_e32 v74, v74, v76
	v_sub_f32_e32 v70, v70, v76
	;; [unrolled: 1-line block ×3, first 2 shown]
	v_dual_sub_f32 v72, v72, v76 :: v_dual_mul_f32 v77, 0x3fb8aa3b, v77
	s_delay_alu instid0(VALU_DEP_4) | instskip(NEXT) | instid1(VALU_DEP_4)
	v_mul_f32_e32 v103, 0x3fb8aa3b, v74
	v_mul_f32_e32 v99, 0x3fb8aa3b, v70
	ds_load_2addr_b32 v[70:71], v98 offset0:170 offset1:187
	v_dual_mul_f32 v101, 0x3fb8aa3b, v72 :: v_dual_mul_f32 v94, 0x3fb8aa3b, v94
	v_exp_f32_e32 v102, v77
	v_exp_f32_e32 v99, v99
	s_delay_alu instid0(VALU_DEP_1) | instskip(NEXT) | instid1(VALU_DEP_1)
	v_exp_f32_e32 v101, v101
	v_exp_f32_e32 v94, v94
	s_waitcnt lgkmcnt(1)
	s_delay_alu instid0(TRANS32_DEP_3)
	v_fma_f32 v77, v99, v96, 0
	v_sub_f32_e32 v100, v73, v76
	ds_load_2addr_b32 v[72:73], v98 offset0:204 offset1:221
	v_fmac_f32_e32 v77, v102, v97
	v_exp_f32_e32 v97, v103
	s_waitcnt lgkmcnt(1)
	s_delay_alu instid0(VALU_DEP_1)
	v_dual_fmac_f32 v77, v101, v70 :: v_dual_sub_f32 v96, v75, v76
	ds_load_2addr_b32 v[74:75], v98 offset0:238 offset1:255
	v_sub_f32_e32 v70, v95, v76
	s_waitcnt lgkmcnt(0)
	s_barrier
	v_mul_f32_e32 v96, 0x3fb8aa3b, v96
	buffer_gl0_inv
	v_exp_f32_e32 v95, v96
	v_mul_f32_e32 v100, 0x3fb8aa3b, v100
	s_delay_alu instid0(VALU_DEP_1) | instskip(SKIP_3) | instid1(VALU_DEP_2)
	v_exp_f32_e32 v100, v100
	s_waitcnt_depctr 0xfff
	v_dual_fmac_f32 v77, v100, v71 :: v_dual_mul_f32 v70, 0x3fb8aa3b, v70
	v_cndmask_b32_e32 v71, v99, v102, vcc_lo
	v_fmac_f32_e32 v77, v97, v72
	s_delay_alu instid0(VALU_DEP_3) | instskip(NEXT) | instid1(VALU_DEP_1)
	v_exp_f32_e32 v96, v70
	v_fmac_f32_e32 v77, v95, v73
	s_delay_alu instid0(VALU_DEP_1) | instskip(SKIP_2) | instid1(VALU_DEP_1)
	v_fmac_f32_e32 v77, v94, v74
	s_waitcnt_depctr 0xfff
	v_fmac_f32_e32 v77, v96, v75
	v_add_f32_e32 v74, 0x358637bd, v77
	s_delay_alu instid0(VALU_DEP_1) | instskip(SKIP_1) | instid1(VALU_DEP_2)
	v_div_scale_f32 v98, null, v74, v74, 1.0
	v_div_scale_f32 v99, vcc_lo, 1.0, v74, 1.0
	v_rcp_f32_e32 v103, v98
	s_waitcnt_depctr 0xfff
	v_fma_f32 v70, -v98, v103, 1.0
	s_delay_alu instid0(VALU_DEP_1) | instskip(SKIP_2) | instid1(VALU_DEP_2)
	v_fmac_f32_e32 v103, v70, v103
	v_cndmask_b32_e64 v70, v71, v101, s2
	v_cmp_eq_u32_e64 s2, 6, v69
	v_cndmask_b32_e64 v71, v70, v100, s3
	s_delay_alu instid0(VALU_DEP_4) | instskip(NEXT) | instid1(VALU_DEP_2)
	v_dual_mul_f32 v101, v99, v103 :: v_dual_lshlrev_b32 v70, 2, v66
	v_cndmask_b32_e64 v71, v71, v97, s4
	s_delay_alu instid0(VALU_DEP_2) | instskip(NEXT) | instid1(VALU_DEP_3)
	v_or_b32_e32 v72, 1, v70
	v_fma_f32 v100, -v98, v101, v99
	v_cmp_eq_u32_e64 s3, 1, v70
	v_cmp_eq_u32_e64 s4, 2, v70
	v_cndmask_b32_e64 v95, v71, v95, s5
	v_or_b32_e32 v71, 3, v70
	v_fmac_f32_e32 v101, v100, v103
	v_cmp_eq_u32_e64 s8, 1, v72
	v_cmp_eq_u32_e64 s11, 2, v72
	v_cndmask_b32_e64 v94, v95, v94, s2
	v_cmp_eq_u32_e64 s10, 1, v71
	v_fma_f32 v97, -v98, v101, v99
	v_cmp_eq_u32_e64 s15, 2, v71
	v_cmp_eq_u32_e64 s12, 3, v72
	v_cndmask_b32_e64 v94, v94, v96, s6
	v_cmp_eq_u32_e64 s17, 3, v71
	v_div_fmas_f32 v95, v97, v103, v101
	v_cmp_eq_u32_e32 vcc_lo, 3, v70
	v_cmp_eq_u32_e64 s2, 4, v70
	v_cmp_eq_u32_e64 s18, 4, v72
	;; [unrolled: 1-line block ×3, first 2 shown]
	v_div_fixup_f32 v95, v95, v74, 1.0
	v_lshlrev_b32_e32 v73, 6, v68
	v_cmp_eq_u32_e64 s5, 5, v70
	v_cmp_eq_u32_e64 s19, 5, v72
	v_cmp_eq_u32_e64 s23, 5, v71
	v_mul_f32_e32 v102, v94, v95
	v_lshl_or_b32 v75, v69, 11, v73
	v_or_b32_e32 v69, 2, v70
	v_cmp_eq_u32_e64 s24, 6, v72
	v_cmp_eq_u32_e64 s26, 6, v71
	v_fma_mixlo_f16 v94, v102, v79, 0
	v_fma_mixlo_f16 v95, v102, v81, 0
	;; [unrolled: 1-line block ×8, first 2 shown]
	v_lshl_or_b32 v74, v66, 4, v75
	v_fma_mixhi_f16 v94, v102, v78, 0
	v_fma_mixhi_f16 v95, v102, v80, 0
	;; [unrolled: 1-line block ×8, first 2 shown]
	ds_store_b128 v74, v[94:97]
	ds_store_b128 v74, v[98:101] offset:1024
	s_waitcnt lgkmcnt(0)
	s_barrier
	buffer_gl0_inv
	ds_load_b128 v[78:81], v75
	ds_load_b128 v[82:85], v75 offset:16
	ds_load_b128 v[86:89], v75 offset:1024
	;; [unrolled: 1-line block ×3, first 2 shown]
	v_cmp_eq_u32_e64 s9, 1, v69
	v_cmp_eq_u32_e64 s13, 2, v69
	;; [unrolled: 1-line block ×11, first 2 shown]
	s_waitcnt lgkmcnt(3)
	v_lshrrev_b32_e32 v94, 16, v78
	s_waitcnt lgkmcnt(2)
	v_lshrrev_b32_e32 v98, 16, v82
	;; [unrolled: 2-line block ×4, first 2 shown]
	v_lshrrev_b32_e32 v95, 16, v79
	v_cndmask_b32_e64 v110, v78, v94, s3
	v_cndmask_b32_e64 v111, v82, v98, s3
	;; [unrolled: 1-line block ×8, first 2 shown]
	v_lshrrev_b32_e32 v99, 16, v83
	v_cndmask_b32_e64 v94, v86, v102, s3
	v_cndmask_b32_e64 v98, v90, v106, s3
	;; [unrolled: 1-line block ×15, first 2 shown]
	v_lshrrev_b32_e32 v103, 16, v87
	v_lshrrev_b32_e32 v107, 16, v91
	v_cndmask_b32_e64 v113, v115, v83, s13
	v_cndmask_b32_e64 v82, v94, v87, s4
	;; [unrolled: 1-line block ×7, first 2 shown]
	v_cndmask_b32_e32 v90, v102, v95, vcc_lo
	v_cndmask_b32_e32 v102, v106, v99, vcc_lo
	v_cndmask_b32_e64 v106, v110, v95, s12
	v_cndmask_b32_e64 v110, v111, v99, s12
	;; [unrolled: 1-line block ×4, first 2 shown]
	v_lshrrev_b32_e32 v96, 16, v80
	v_lshrrev_b32_e32 v100, 16, v84
	v_cndmask_b32_e64 v111, v112, v95, s16
	v_cndmask_b32_e64 v112, v113, v99, s16
	v_cndmask_b32_e32 v82, v82, v103, vcc_lo
	v_cndmask_b32_e32 v83, v83, v107, vcc_lo
	v_cndmask_b32_e64 v94, v94, v103, s12
	v_cndmask_b32_e64 v90, v90, v80, s2
	;; [unrolled: 1-line block ×7, first 2 shown]
	v_lshrrev_b32_e32 v104, 16, v88
	v_cndmask_b32_e64 v106, v111, v80, s20
	v_cndmask_b32_e64 v110, v112, v84, s20
	;; [unrolled: 1-line block ×11, first 2 shown]
	v_lshrrev_b32_e32 v97, 16, v81
	v_lshrrev_b32_e32 v101, 16, v85
	v_cndmask_b32_e64 v99, v106, v96, s22
	v_cndmask_b32_e64 v102, v110, v100, s22
	;; [unrolled: 1-line block ×7, first 2 shown]
	v_lshrrev_b32_e32 v105, 16, v89
	v_cndmask_b32_e64 v80, v80, v104, s5
	v_cndmask_b32_e64 v84, v84, v81, s6
	;; [unrolled: 1-line block ×16, first 2 shown]
	v_perm_b32 v81, v79, v78, 0x5040100
	v_perm_b32 v79, v95, v85, 0x5040100
	v_cndmask_b32_e64 v78, v119, v91, s13
	v_cndmask_b32_e64 v85, v117, v91, s11
	;; [unrolled: 1-line block ×3, first 2 shown]
	v_perm_b32 v80, v94, v90, 0x5040100
	v_cndmask_b32_e64 v90, v98, v103, s16
	v_cndmask_b32_e64 v86, v86, v103, s17
	;; [unrolled: 1-line block ×5, first 2 shown]
	v_lshrrev_b32_e32 v108, 16, v92
	v_cndmask_b32_e64 v90, v90, v88, s20
	v_cndmask_b32_e64 v86, v86, v88, s21
	v_cndmask_b32_e64 v87, v87, v92, s21
	v_cndmask_b32_e64 v78, v78, v92, s20
	v_cndmask_b32_e64 v85, v85, v92, s18
	v_cndmask_b32_e64 v82, v82, v108, s5
	v_cndmask_b32_e64 v88, v90, v104, s22
	v_cndmask_b32_e64 v86, v86, v104, s23
	v_cndmask_b32_e64 v87, v87, v108, s23
	v_cndmask_b32_e64 v78, v78, v108, s22
	v_cndmask_b32_e64 v85, v85, v108, s19
	v_lshrrev_b32_e32 v109, 16, v93
	v_cndmask_b32_e64 v82, v82, v93, s6
	v_cndmask_b32_e64 v88, v88, v89, s25
	;; [unrolled: 1-line block ×12, first 2 shown]
	v_perm_b32 v78, v84, v83, 0x5040100
	v_perm_b32 v85, v87, v86, 0x5040100
	;; [unrolled: 1-line block ×5, first 2 shown]
	s_mul_i32 s7, s33, 14
	s_mov_b32 s2, exec_lo
	ds_store_b128 v74, v[78:81]
	ds_store_b128 v74, v[82:85] offset:1024
	v_cmpx_gt_u32_e32 14, v0
	s_cbranch_execz .LBB983_14
; %bb.13:
	s_mul_i32 s3, s7, s30
	s_load_b128 s[8:11], s[0:1], 0x58
	v_add3_u32 v68, s3, s31, v68
	s_delay_alu instid0(VALU_DEP_1) | instskip(NEXT) | instid1(VALU_DEP_1)
	v_mad_u64_u32 v[78:79], null, v68, s34, s[14:15]
	v_ashrrev_i32_e32 v79, 31, v78
	s_delay_alu instid0(VALU_DEP_1) | instskip(SKIP_1) | instid1(VALU_DEP_1)
	v_lshlrev_b64 v[78:79], 2, v[78:79]
	s_waitcnt lgkmcnt(0)
	v_add_co_u32 v80, vcc_lo, s10, v78
	s_delay_alu instid0(VALU_DEP_2)
	v_add_co_ci_u32_e32 v81, vcc_lo, s11, v79, vcc_lo
	v_add_co_u32 v78, vcc_lo, s8, v78
	v_add_co_ci_u32_e32 v79, vcc_lo, s9, v79, vcc_lo
	global_store_b32 v[80:81], v76, off
	global_store_b32 v[78:79], v77, off
.LBB983_14:
	s_or_b32 exec_lo, exec_lo, s2
	s_waitcnt lgkmcnt(0)
	s_waitcnt_vscnt null, 0x0
	s_barrier
	buffer_gl0_inv
	ds_load_b128 v[84:87], v73
	ds_load_b128 v[88:91], v73 offset:16
	ds_load_b128 v[96:99], v73 offset:2064
	;; [unrolled: 1-line block ×5, first 2 shown]
	v_cmp_eq_u32_e32 vcc_lo, 1, v70
	v_mov_b32_e32 v76, 0
	ds_load_b128 v[112:115], v73 offset:6160
	ds_load_b128 v[108:111], v73 offset:6144
	;; [unrolled: 1-line block ×4, first 2 shown]
	v_cmp_eq_u32_e64 s3, 1, v69
	v_cmp_eq_u32_e64 s2, 1, v72
	;; [unrolled: 1-line block ×3, first 2 shown]
	v_mov_b32_e32 v77, v76
	v_mov_b32_e32 v78, v76
	;; [unrolled: 1-line block ×7, first 2 shown]
	v_cmp_eq_u32_e64 s5, 3, v72
	v_cmp_eq_u32_e64 s6, 7, v72
	s_waitcnt lgkmcnt(8)
	s_delay_alu instid0(VALU_DEP_3)
	v_wmma_f32_16x16x16_f16 v[76:83], v[49:56], v[84:91], v[76:83]
	ds_load_b128 v[53:56], v73 offset:10256
	ds_load_b128 v[49:52], v73 offset:10240
	s_waitcnt lgkmcnt(8)
	v_wmma_f32_16x16x16_f16 v[76:83], v[41:48], v[92:99], v[76:83]
	ds_load_b128 v[45:48], v73 offset:12304
	ds_load_b128 v[41:44], v73 offset:12288
	s_waitcnt lgkmcnt(8)
	;; [unrolled: 4-line block ×3, first 2 shown]
	s_barrier
	buffer_gl0_inv
	v_wmma_f32_16x16x16_f16 v[76:83], v[1:8], v[108:115], v[76:83]
	s_delay_alu instid0(VALU_DEP_1) | instskip(NEXT) | instid1(VALU_DEP_1)
	v_wmma_f32_16x16x16_f16 v[76:83], v[9:16], v[116:123], v[76:83]
	v_wmma_f32_16x16x16_f16 v[76:83], v[17:24], v[49:56], v[76:83]
	s_delay_alu instid0(VALU_DEP_1) | instskip(NEXT) | instid1(VALU_DEP_1)
	v_wmma_f32_16x16x16_f16 v[76:83], v[25:32], v[41:48], v[76:83]
	v_wmma_f32_16x16x16_f16 v[76:83], v[57:64], v[33:40], v[76:83]
	s_delay_alu instid0(VALU_DEP_1) | instskip(NEXT) | instid1(VALU_DEP_2)
	v_cvt_f16_f32_e32 v1, v76
	v_cvt_f16_f32_e32 v2, v77
	s_delay_alu instid0(VALU_DEP_3) | instskip(NEXT) | instid1(VALU_DEP_4)
	v_cvt_f16_f32_e32 v3, v78
	v_cvt_f16_f32_e32 v4, v79
	;; [unrolled: 1-line block ×6, first 2 shown]
	v_pack_b32_f16 v1, v1, v2
	v_pack_b32_f16 v2, v3, v4
	;; [unrolled: 1-line block ×3, first 2 shown]
	s_delay_alu instid0(VALU_DEP_4)
	v_pack_b32_f16 v4, v7, v8
	ds_store_b128 v74, v[1:4]
	s_waitcnt lgkmcnt(0)
	s_barrier
	buffer_gl0_inv
	ds_load_b128 v[1:4], v75
	ds_load_b128 v[5:8], v75 offset:16
	s_waitcnt lgkmcnt(1)
	v_lshrrev_b32_e32 v9, 16, v1
	s_waitcnt lgkmcnt(0)
	v_lshrrev_b32_e32 v13, 16, v5
	v_lshrrev_b32_e32 v10, 16, v2
	;; [unrolled: 1-line block ×4, first 2 shown]
	v_cndmask_b32_e32 v17, v1, v9, vcc_lo
	v_cndmask_b32_e32 v18, v5, v13, vcc_lo
	v_cndmask_b32_e64 v21, v1, v9, s3
	v_cmp_eq_u32_e32 vcc_lo, 1, v71
	v_cndmask_b32_e64 v22, v5, v13, s3
	v_cmp_eq_u32_e64 s3, 2, v70
	v_cndmask_b32_e64 v19, v1, v9, s2
	v_cndmask_b32_e64 v20, v5, v13, s2
	v_cndmask_b32_e32 v1, v1, v9, vcc_lo
	v_cmp_eq_u32_e64 s2, 2, v71
	v_cndmask_b32_e32 v5, v5, v13, vcc_lo
	v_cndmask_b32_e64 v9, v17, v2, s3
	v_cmp_eq_u32_e32 vcc_lo, 3, v70
	v_cndmask_b32_e64 v13, v18, v6, s3
	v_cmp_eq_u32_e64 s3, 2, v69
	v_cndmask_b32_e64 v17, v19, v2, s4
	v_cndmask_b32_e64 v18, v20, v6, s4
	v_cmp_eq_u32_e64 s4, 3, v69
	v_cndmask_b32_e64 v1, v1, v2, s2
	v_cndmask_b32_e64 v19, v21, v2, s3
	;; [unrolled: 1-line block ×4, first 2 shown]
	v_cndmask_b32_e32 v5, v9, v10, vcc_lo
	v_cndmask_b32_e32 v6, v13, v14, vcc_lo
	v_cmp_eq_u32_e32 vcc_lo, 3, v71
	v_cndmask_b32_e64 v9, v17, v10, s5
	v_cndmask_b32_e64 v13, v18, v14, s5
	;; [unrolled: 1-line block ×3, first 2 shown]
	v_cmp_eq_u32_e64 s3, 4, v70
	v_cndmask_b32_e32 v1, v1, v10, vcc_lo
	v_cndmask_b32_e32 v2, v2, v14, vcc_lo
	v_cmp_eq_u32_e32 vcc_lo, 4, v72
	v_lshrrev_b32_e32 v15, 16, v7
	v_lshrrev_b32_e32 v16, 16, v8
	v_cndmask_b32_e64 v17, v19, v10, s4
	v_cmp_eq_u32_e64 s2, 4, v71
	v_cndmask_b32_e64 v5, v5, v3, s3
	v_cndmask_b32_e64 v6, v6, v7, s3
	v_cndmask_b32_e32 v9, v9, v3, vcc_lo
	v_cmp_eq_u32_e64 s3, 5, v72
	v_cndmask_b32_e32 v10, v13, v7, vcc_lo
	v_cmp_eq_u32_e32 vcc_lo, 4, v69
	v_cmp_eq_u32_e64 s4, 5, v70
	v_cndmask_b32_e64 v2, v2, v7, s2
	v_cndmask_b32_e64 v9, v9, v11, s3
	;; [unrolled: 1-line block ×3, first 2 shown]
	v_cndmask_b32_e32 v13, v17, v3, vcc_lo
	v_cmp_eq_u32_e64 s3, 5, v69
	v_cndmask_b32_e32 v14, v18, v7, vcc_lo
	v_cndmask_b32_e64 v1, v1, v3, s2
	v_cmp_eq_u32_e32 vcc_lo, 5, v71
	v_lshrrev_b32_e32 v12, 16, v4
	v_cndmask_b32_e64 v13, v13, v11, s3
	v_cndmask_b32_e64 v3, v14, v15, s3
	v_cmp_eq_u32_e64 s3, 6, v71
	v_cndmask_b32_e32 v1, v1, v11, vcc_lo
	v_cndmask_b32_e64 v5, v5, v11, s4
	v_cmp_eq_u32_e64 s5, 6, v70
	v_cndmask_b32_e64 v6, v6, v15, s4
	v_cmp_eq_u32_e64 s4, 6, v72
	v_cmp_eq_u32_e64 s2, 6, v69
	v_cndmask_b32_e64 v1, v1, v4, s3
	v_cndmask_b32_e32 v2, v2, v15, vcc_lo
	v_cmp_eq_u32_e32 vcc_lo, 7, v71
	v_cndmask_b32_e64 v5, v5, v4, s5
	v_cndmask_b32_e64 v9, v9, v4, s4
	;; [unrolled: 1-line block ×3, first 2 shown]
	v_cmp_eq_u32_e64 s5, 7, v70
	v_cndmask_b32_e32 v1, v1, v12, vcc_lo
	v_cndmask_b32_e64 v7, v13, v4, s2
	v_cndmask_b32_e64 v3, v3, v8, s2
	;; [unrolled: 1-line block ×3, first 2 shown]
	v_cmp_eq_u32_e64 s2, 7, v69
	v_cndmask_b32_e64 v4, v10, v8, s4
	v_cndmask_b32_e64 v5, v5, v12, s5
	;; [unrolled: 1-line block ×3, first 2 shown]
	v_cndmask_b32_e32 v2, v2, v16, vcc_lo
	v_cndmask_b32_e64 v7, v7, v12, s2
	v_cndmask_b32_e64 v3, v3, v16, s2
	;; [unrolled: 1-line block ×4, first 2 shown]
	v_perm_b32 v4, v2, v1, 0x5040100
	s_mov_b32 s2, exec_lo
	v_perm_b32 v3, v3, v7, 0x5040100
	v_perm_b32 v2, v8, v9, 0x5040100
	;; [unrolled: 1-line block ×3, first 2 shown]
	ds_store_b128 v74, v[1:4]
	s_waitcnt lgkmcnt(0)
	s_barrier
	buffer_gl0_inv
	v_cmpx_gt_u32_e32 32, v0
	s_cbranch_execz .LBB983_2
; %bb.15:
	s_load_b64 s[0:1], s[0:1], 0x68
	v_lshlrev_b32_e32 v0, 10, v0
	s_lshl_b32 s4, s34, 7
	v_or_b32_e32 v3, s31, v66
	s_mul_i32 s2, s4, s30
	v_lshlrev_b32_e32 v1, 4, v67
	v_lshlrev_b32_e32 v2, 6, v66
	v_and_b32_e32 v0, 0x3800, v0
	s_mul_i32 s2, s2, s7
	v_mul_lo_u32 v8, v3, s4
	s_ashr_i32 s3, s2, 31
	s_delay_alu instid0(SALU_CYCLE_1)
	s_lshl_b64 s[2:3], s[2:3], 1
	v_or3_b32 v16, v0, v1, v2
	ds_load_b128 v[0:3], v16
	ds_load_b128 v[4:7], v16 offset:128
	v_ashrrev_i32_e32 v9, 31, v8
	s_waitcnt lgkmcnt(0)
	s_add_u32 s2, s0, s2
	s_addc_u32 s3, s1, s3
	s_lshl_b32 s0, s14, 7
	s_delay_alu instid0(SALU_CYCLE_1) | instskip(SKIP_2) | instid1(SALU_CYCLE_1)
	s_ashr_i32 s1, s0, 31
	v_lshlrev_b64 v[9:10], 1, v[8:9]
	s_lshl_b64 s[0:1], s[0:1], 1
	s_add_u32 s0, s2, s0
	s_addc_u32 s1, s3, s1
	s_lshl_b32 s2, s34, 8
	v_add_co_u32 v30, s0, s0, v65
	v_add_nc_u32_e32 v11, s2, v8
	v_add_co_ci_u32_e64 v31, null, s1, 0, s0
	s_delay_alu instid0(VALU_DEP_3) | instskip(NEXT) | instid1(VALU_DEP_3)
	v_add_co_u32 v9, vcc_lo, v30, v9
	v_add_nc_u32_e32 v8, s2, v11
	s_delay_alu instid0(VALU_DEP_3) | instskip(SKIP_1) | instid1(VALU_DEP_3)
	v_add_co_ci_u32_e32 v10, vcc_lo, v31, v10, vcc_lo
	v_ashrrev_i32_e32 v12, 31, v11
	v_add_nc_u32_e32 v13, s2, v8
	global_store_b128 v[9:10], v[0:3], off
	v_ashrrev_i32_e32 v9, 31, v8
	v_lshlrev_b64 v[11:12], 1, v[11:12]
	v_ashrrev_i32_e32 v14, 31, v13
	v_add_nc_u32_e32 v10, s2, v13
	s_delay_alu instid0(VALU_DEP_4) | instskip(NEXT) | instid1(VALU_DEP_4)
	v_lshlrev_b64 v[2:3], 1, v[8:9]
	v_add_co_u32 v0, vcc_lo, v30, v11
	s_delay_alu instid0(VALU_DEP_4)
	v_lshlrev_b64 v[8:9], 1, v[13:14]
	v_add_co_ci_u32_e32 v1, vcc_lo, v31, v12, vcc_lo
	v_ashrrev_i32_e32 v11, 31, v10
	v_add_co_u32 v22, vcc_lo, v30, v2
	v_add_nc_u32_e32 v20, s2, v10
	v_add_co_ci_u32_e32 v23, vcc_lo, v31, v3, vcc_lo
	v_add_co_u32 v24, vcc_lo, v30, v8
	global_store_b128 v[0:1], v[4:7], off
	v_add_co_ci_u32_e32 v25, vcc_lo, v31, v9, vcc_lo
	ds_load_b128 v[0:3], v16 offset:256
	ds_load_b128 v[4:7], v16 offset:384
	v_lshlrev_b64 v[26:27], 1, v[10:11]
	ds_load_b128 v[8:11], v16 offset:512
	ds_load_b128 v[12:15], v16 offset:640
	;; [unrolled: 1-line block ×3, first 2 shown]
	v_add_nc_u32_e32 v28, s2, v20
	v_ashrrev_i32_e32 v21, 31, v20
	v_add_co_u32 v26, vcc_lo, v30, v26
	s_delay_alu instid0(VALU_DEP_3) | instskip(NEXT) | instid1(VALU_DEP_3)
	v_ashrrev_i32_e32 v29, 31, v28
	v_lshlrev_b64 v[20:21], 1, v[20:21]
	v_add_co_ci_u32_e32 v27, vcc_lo, v31, v27, vcc_lo
	s_delay_alu instid0(VALU_DEP_3) | instskip(NEXT) | instid1(VALU_DEP_3)
	v_lshlrev_b64 v[28:29], 1, v[28:29]
	v_add_co_u32 v20, vcc_lo, v30, v20
	s_delay_alu instid0(VALU_DEP_4) | instskip(NEXT) | instid1(VALU_DEP_3)
	v_add_co_ci_u32_e32 v21, vcc_lo, v31, v21, vcc_lo
	v_add_co_u32 v28, vcc_lo, v30, v28
	s_delay_alu instid0(VALU_DEP_4)
	v_add_co_ci_u32_e32 v29, vcc_lo, v31, v29, vcc_lo
	s_waitcnt lgkmcnt(4)
	global_store_b128 v[22:23], v[0:3], off
	s_waitcnt lgkmcnt(3)
	global_store_b128 v[24:25], v[4:7], off
	;; [unrolled: 2-line block ×5, first 2 shown]
	s_nop 0
	s_sendmsg sendmsg(MSG_DEALLOC_VGPRS)
	s_endpgm
	.section	.rodata,"a",@progbits
	.p2align	6, 0x0
	.amdhsa_kernel _Z39paged_attention_ll4mi_QKV_mfma16_kernelIDF16_hLN4vllm18Fp8KVCacheDataTypeE1EDF16_Li16ELi128ELi256ELb1ELi14EL8MFMAType1EEvPKT_PKT0_S8_ifPKiSA_SA_iPKfiiiPfSD_PS3_PT2_iSC_SC_
		.amdhsa_group_segment_fixed_size 17472
		.amdhsa_private_segment_fixed_size 0
		.amdhsa_kernarg_size 400
		.amdhsa_user_sgpr_count 13
		.amdhsa_user_sgpr_dispatch_ptr 0
		.amdhsa_user_sgpr_queue_ptr 0
		.amdhsa_user_sgpr_kernarg_segment_ptr 1
		.amdhsa_user_sgpr_dispatch_id 0
		.amdhsa_user_sgpr_private_segment_size 0
		.amdhsa_wavefront_size32 1
		.amdhsa_uses_dynamic_stack 0
		.amdhsa_enable_private_segment 0
		.amdhsa_system_sgpr_workgroup_id_x 1
		.amdhsa_system_sgpr_workgroup_id_y 1
		.amdhsa_system_sgpr_workgroup_id_z 1
		.amdhsa_system_sgpr_workgroup_info 0
		.amdhsa_system_vgpr_workitem_id 0
		.amdhsa_next_free_vgpr 150
		.amdhsa_next_free_sgpr 36
		.amdhsa_reserve_vcc 1
		.amdhsa_float_round_mode_32 0
		.amdhsa_float_round_mode_16_64 0
		.amdhsa_float_denorm_mode_32 3
		.amdhsa_float_denorm_mode_16_64 3
		.amdhsa_dx10_clamp 1
		.amdhsa_ieee_mode 1
		.amdhsa_fp16_overflow 0
		.amdhsa_workgroup_processor_mode 1
		.amdhsa_memory_ordered 1
		.amdhsa_forward_progress 0
		.amdhsa_shared_vgpr_count 0
		.amdhsa_exception_fp_ieee_invalid_op 0
		.amdhsa_exception_fp_denorm_src 0
		.amdhsa_exception_fp_ieee_div_zero 0
		.amdhsa_exception_fp_ieee_overflow 0
		.amdhsa_exception_fp_ieee_underflow 0
		.amdhsa_exception_fp_ieee_inexact 0
		.amdhsa_exception_int_div_zero 0
	.end_amdhsa_kernel
	.section	.text._Z39paged_attention_ll4mi_QKV_mfma16_kernelIDF16_hLN4vllm18Fp8KVCacheDataTypeE1EDF16_Li16ELi128ELi256ELb1ELi14EL8MFMAType1EEvPKT_PKT0_S8_ifPKiSA_SA_iPKfiiiPfSD_PS3_PT2_iSC_SC_,"axG",@progbits,_Z39paged_attention_ll4mi_QKV_mfma16_kernelIDF16_hLN4vllm18Fp8KVCacheDataTypeE1EDF16_Li16ELi128ELi256ELb1ELi14EL8MFMAType1EEvPKT_PKT0_S8_ifPKiSA_SA_iPKfiiiPfSD_PS3_PT2_iSC_SC_,comdat
.Lfunc_end983:
	.size	_Z39paged_attention_ll4mi_QKV_mfma16_kernelIDF16_hLN4vllm18Fp8KVCacheDataTypeE1EDF16_Li16ELi128ELi256ELb1ELi14EL8MFMAType1EEvPKT_PKT0_S8_ifPKiSA_SA_iPKfiiiPfSD_PS3_PT2_iSC_SC_, .Lfunc_end983-_Z39paged_attention_ll4mi_QKV_mfma16_kernelIDF16_hLN4vllm18Fp8KVCacheDataTypeE1EDF16_Li16ELi128ELi256ELb1ELi14EL8MFMAType1EEvPKT_PKT0_S8_ifPKiSA_SA_iPKfiiiPfSD_PS3_PT2_iSC_SC_
                                        ; -- End function
	.section	.AMDGPU.csdata,"",@progbits
; Kernel info:
; codeLenInByte = 6804
; NumSgprs: 38
; NumVgprs: 150
; ScratchSize: 0
; MemoryBound: 0
; FloatMode: 240
; IeeeMode: 1
; LDSByteSize: 17472 bytes/workgroup (compile time only)
; SGPRBlocks: 4
; VGPRBlocks: 18
; NumSGPRsForWavesPerEU: 38
; NumVGPRsForWavesPerEU: 150
; Occupancy: 9
; WaveLimiterHint : 1
; COMPUTE_PGM_RSRC2:SCRATCH_EN: 0
; COMPUTE_PGM_RSRC2:USER_SGPR: 13
; COMPUTE_PGM_RSRC2:TRAP_HANDLER: 0
; COMPUTE_PGM_RSRC2:TGID_X_EN: 1
; COMPUTE_PGM_RSRC2:TGID_Y_EN: 1
; COMPUTE_PGM_RSRC2:TGID_Z_EN: 1
; COMPUTE_PGM_RSRC2:TIDIG_COMP_CNT: 0
	.section	.text._Z39paged_attention_ll4mi_QKV_mfma16_kernelIDF16_hLN4vllm18Fp8KVCacheDataTypeE1EDF16_Li16ELi128ELi256ELb1ELi15EL8MFMAType1EEvPKT_PKT0_S8_ifPKiSA_SA_iPKfiiiPfSD_PS3_PT2_iSC_SC_,"axG",@progbits,_Z39paged_attention_ll4mi_QKV_mfma16_kernelIDF16_hLN4vllm18Fp8KVCacheDataTypeE1EDF16_Li16ELi128ELi256ELb1ELi15EL8MFMAType1EEvPKT_PKT0_S8_ifPKiSA_SA_iPKfiiiPfSD_PS3_PT2_iSC_SC_,comdat
	.protected	_Z39paged_attention_ll4mi_QKV_mfma16_kernelIDF16_hLN4vllm18Fp8KVCacheDataTypeE1EDF16_Li16ELi128ELi256ELb1ELi15EL8MFMAType1EEvPKT_PKT0_S8_ifPKiSA_SA_iPKfiiiPfSD_PS3_PT2_iSC_SC_ ; -- Begin function _Z39paged_attention_ll4mi_QKV_mfma16_kernelIDF16_hLN4vllm18Fp8KVCacheDataTypeE1EDF16_Li16ELi128ELi256ELb1ELi15EL8MFMAType1EEvPKT_PKT0_S8_ifPKiSA_SA_iPKfiiiPfSD_PS3_PT2_iSC_SC_
	.globl	_Z39paged_attention_ll4mi_QKV_mfma16_kernelIDF16_hLN4vllm18Fp8KVCacheDataTypeE1EDF16_Li16ELi128ELi256ELb1ELi15EL8MFMAType1EEvPKT_PKT0_S8_ifPKiSA_SA_iPKfiiiPfSD_PS3_PT2_iSC_SC_
	.p2align	8
	.type	_Z39paged_attention_ll4mi_QKV_mfma16_kernelIDF16_hLN4vllm18Fp8KVCacheDataTypeE1EDF16_Li16ELi128ELi256ELb1ELi15EL8MFMAType1EEvPKT_PKT0_S8_ifPKiSA_SA_iPKfiiiPfSD_PS3_PT2_iSC_SC_,@function
_Z39paged_attention_ll4mi_QKV_mfma16_kernelIDF16_hLN4vllm18Fp8KVCacheDataTypeE1EDF16_Li16ELi128ELi256ELb1ELi15EL8MFMAType1EEvPKT_PKT0_S8_ifPKiSA_SA_iPKfiiiPfSD_PS3_PT2_iSC_SC_: ; @_Z39paged_attention_ll4mi_QKV_mfma16_kernelIDF16_hLN4vllm18Fp8KVCacheDataTypeE1EDF16_Li16ELi128ELi256ELb1ELi15EL8MFMAType1EEvPKT_PKT0_S8_ifPKiSA_SA_iPKfiiiPfSD_PS3_PT2_iSC_SC_
; %bb.0:
	s_load_b64 s[4:5], s[0:1], 0x30
	s_mov_b32 s34, s13
	s_waitcnt lgkmcnt(0)
	s_cmp_lg_u64 s[4:5], 0
	s_cselect_b32 s8, -1, 0
	s_ashr_i32 s35, s13, 31
	s_cmp_eq_u64 s[4:5], 0
	s_cbranch_scc1 .LBB984_3
; %bb.1:
	s_lshl_b64 s[2:3], s[34:35], 2
	s_delay_alu instid0(SALU_CYCLE_1) | instskip(SKIP_4) | instid1(SALU_CYCLE_1)
	s_add_u32 s2, s4, s2
	s_addc_u32 s3, s5, s3
	s_load_b64 s[2:3], s[2:3], 0x0
	s_waitcnt lgkmcnt(0)
	s_sub_i32 s2, s3, s2
	s_cmp_eq_u32 s2, 1
	s_cselect_b32 s2, -1, 0
	s_delay_alu instid0(SALU_CYCLE_1)
	s_and_not1_b32 vcc_lo, exec_lo, s2
	s_cbranch_vccz .LBB984_4
.LBB984_2:
	s_nop 0
	s_sendmsg sendmsg(MSG_DEALLOC_VGPRS)
	s_endpgm
.LBB984_3:
.LBB984_4:
	s_load_b64 s[2:3], s[0:1], 0x28
	s_lshl_b64 s[6:7], s[34:35], 2
	s_waitcnt lgkmcnt(0)
	s_add_u32 s2, s2, s6
	s_addc_u32 s3, s3, s7
	s_lshl_b32 s12, s14, 8
	s_load_b32 s24, s[2:3], 0x0
	s_waitcnt lgkmcnt(0)
	s_cmp_ge_i32 s12, s24
	s_cbranch_scc1 .LBB984_2
; %bb.5:
	s_clause 0x1
	s_load_b128 s[20:23], s[0:1], 0x8
	s_load_b64 s[2:3], s[0:1], 0x20
	s_and_not1_b32 vcc_lo, exec_lo, s8
	s_cbranch_vccnz .LBB984_7
; %bb.6:
	s_add_u32 s4, s4, s6
	s_addc_u32 s5, s5, s7
	s_load_b32 s5, s[4:5], 0x0
	s_branch .LBB984_8
.LBB984_7:
	s_mov_b32 s5, s34
.LBB984_8:
	s_load_b128 s[16:19], s[0:1], 0x48
	v_and_b32_e32 v68, 15, v0
	v_lshrrev_b32_e32 v69, 5, v0
	v_bfe_u32 v66, v0, 4, 1
	v_and_b32_e32 v70, 31, v0
	v_and_b32_e32 v67, 1, v0
	v_lshlrev_b32_e32 v2, 3, v68
	s_mul_i32 s31, s15, 15
	v_lshl_or_b32 v1, v69, 1, v66
	s_mov_b32 s4, exec_lo
	s_delay_alu instid0(VALU_DEP_2) | instskip(NEXT) | instid1(VALU_DEP_2)
	v_lshlrev_b32_e32 v65, 1, v2
	v_cmpx_gt_u32_e32 15, v1
	s_cbranch_execz .LBB984_10
; %bb.9:
	s_load_b64 s[6:7], s[0:1], 0x0
	v_add_lshl_u32 v2, v1, s31, 7
	s_waitcnt lgkmcnt(0)
	s_mul_hi_i32 s9, s5, s16
	s_mul_i32 s8, s5, s16
	v_lshlrev_b32_e32 v6, 10, v68
	s_lshl_b64 s[8:9], s[8:9], 1
	v_ashrrev_i32_e32 v3, 31, v2
	v_lshlrev_b32_e32 v1, 6, v1
	v_lshlrev_b32_e32 v7, 10, v67
	v_and_b32_e32 v6, 0x3800, v6
	s_delay_alu instid0(VALU_DEP_4) | instskip(NEXT) | instid1(VALU_DEP_2)
	v_lshlrev_b64 v[2:3], 1, v[2:3]
	v_or3_b32 v1, v6, v7, v1
	s_add_u32 s5, s6, s8
	s_addc_u32 s6, s7, s9
	s_delay_alu instid0(VALU_DEP_2) | instskip(NEXT) | instid1(VALU_DEP_3)
	v_add_co_u32 v2, vcc_lo, s5, v2
	v_add_co_ci_u32_e32 v3, vcc_lo, s6, v3, vcc_lo
	s_delay_alu instid0(VALU_DEP_2) | instskip(NEXT) | instid1(VALU_DEP_2)
	v_add_co_u32 v2, vcc_lo, v2, v65
	v_add_co_ci_u32_e32 v3, vcc_lo, 0, v3, vcc_lo
	global_load_b128 v[2:5], v[2:3], off
	s_waitcnt vmcnt(0)
	ds_store_b128 v1, v[2:5]
.LBB984_10:
	s_or_b32 exec_lo, exec_lo, s4
	v_and_b32_e32 v1, 0xef, v0
	s_waitcnt lgkmcnt(0)
	s_add_i32 s5, s24, 15
	s_clause 0x1
	s_load_b32 s4, s[0:1], 0x38
	s_load_b32 s33, s[0:1], 0x98
	s_ashr_i32 s6, s5, 31
	v_add_nc_u32_e32 v1, s12, v1
	s_lshr_b32 s6, s6, 28
	s_load_b32 s19, s[0:1], 0x1c
	s_add_i32 s5, s5, s6
	s_waitcnt lgkmcnt(0)
	v_ashrrev_i32_e32 v2, 31, v1
	v_or_b32_e32 v3, 16, v1
	s_ashr_i32 s13, s5, 4
	v_cmp_gt_i32_e32 vcc_lo, s24, v1
	s_add_i32 s13, s13, -1
	v_lshrrev_b32_e32 v2, 28, v2
	s_barrier
	buffer_gl0_inv
	s_mul_i32 s15, s15, s18
	v_add_nc_u32_e32 v4, v1, v2
	s_mul_i32 s4, s34, s4
	s_delay_alu instid0(SALU_CYCLE_1) | instskip(NEXT) | instid1(VALU_DEP_1)
	s_ashr_i32 s5, s4, 31
	v_ashrrev_i32_e32 v4, 4, v4
	v_add_nc_u32_e32 v2, v3, v2
	s_lshl_b64 s[4:5], s[4:5], 2
	s_delay_alu instid0(SALU_CYCLE_1) | instskip(NEXT) | instid1(VALU_DEP_2)
	s_add_u32 s16, s2, s4
	v_cndmask_b32_e32 v1, s13, v4, vcc_lo
	s_delay_alu instid0(VALU_DEP_2)
	v_ashrrev_i32_e32 v2, 4, v2
	v_cmp_gt_i32_e32 vcc_lo, s24, v3
	s_addc_u32 s25, s3, s5
	s_ashr_i32 s18, s15, 31
	s_add_u32 s26, s20, s15
	s_addc_u32 s27, s21, s18
	v_cndmask_b32_e32 v3, s13, v2, vcc_lo
	v_ashrrev_i32_e32 v2, 31, v1
	s_lshl_b32 s2, s14, 4
	s_delay_alu instid0(SALU_CYCLE_1) | instskip(NEXT) | instid1(VALU_DEP_2)
	s_ashr_i32 s3, s2, 31
	v_ashrrev_i32_e32 v4, 31, v3
	s_delay_alu instid0(VALU_DEP_2) | instskip(SKIP_1) | instid1(SALU_CYCLE_1)
	v_lshlrev_b64 v[1:2], 2, v[1:2]
	s_lshl_b64 s[2:3], s[2:3], 2
	s_add_u32 s2, s16, s2
	s_delay_alu instid0(VALU_DEP_2) | instskip(SKIP_1) | instid1(VALU_DEP_2)
	v_lshlrev_b64 v[3:4], 2, v[3:4]
	s_addc_u32 s3, s25, s3
	v_add_co_u32 v1, vcc_lo, s16, v1
	v_add_co_ci_u32_e32 v2, vcc_lo, s25, v2, vcc_lo
	s_delay_alu instid0(VALU_DEP_3) | instskip(NEXT) | instid1(VALU_DEP_4)
	v_add_co_u32 v3, vcc_lo, s16, v3
	v_add_co_ci_u32_e32 v4, vcc_lo, s25, v4, vcc_lo
	s_clause 0x1
	global_load_b32 v5, v[1:2], off
	global_load_b32 v7, v[3:4], off
	s_or_b32 s4, s12, 32
	v_lshlrev_b32_e32 v1, 4, v0
	s_ashr_i32 s5, s4, 4
	s_cmp_lt_i32 s4, s24
	v_cmp_ne_u32_e32 vcc_lo, 15, v68
	s_cselect_b32 s4, s5, s13
	v_and_b32_e32 v1, 0xf0, v1
	s_ashr_i32 s5, s4, 31
	s_delay_alu instid0(SALU_CYCLE_1) | instskip(NEXT) | instid1(SALU_CYCLE_1)
	s_lshl_b64 s[4:5], s[4:5], 2
	s_add_u32 s4, s16, s4
	s_addc_u32 s5, s25, s5
	s_or_b32 s6, s12, 64
	v_add_co_u32 v1, s26, s26, v1
	s_ashr_i32 s7, s6, 4
	s_cmp_lt_i32 s6, s24
	v_add_co_ci_u32_e64 v2, null, s27, 0, s26
	s_cselect_b32 s6, s7, s13
	s_delay_alu instid0(SALU_CYCLE_1) | instskip(NEXT) | instid1(SALU_CYCLE_1)
	s_ashr_i32 s7, s6, 31
	s_lshl_b64 s[6:7], s[6:7], 2
	s_delay_alu instid0(SALU_CYCLE_1) | instskip(SKIP_2) | instid1(SALU_CYCLE_1)
	s_add_u32 s6, s16, s6
	s_addc_u32 s7, s25, s7
	s_or_b32 s8, s12, 0x60
	s_ashr_i32 s9, s8, 4
	s_cmp_lt_i32 s8, s24
	s_cselect_b32 s8, s9, s13
	s_delay_alu instid0(SALU_CYCLE_1) | instskip(NEXT) | instid1(SALU_CYCLE_1)
	s_ashr_i32 s9, s8, 31
	s_lshl_b64 s[8:9], s[8:9], 2
	s_delay_alu instid0(SALU_CYCLE_1) | instskip(SKIP_2) | instid1(SALU_CYCLE_1)
	s_add_u32 s8, s16, s8
	s_addc_u32 s9, s25, s9
	s_or_b32 s10, s12, 0x80
	s_ashr_i32 s11, s10, 4
	s_cmp_lt_i32 s10, s24
	;; [unrolled: 10-line block ×3, first 2 shown]
	s_cselect_b32 s20, s21, s13
	s_delay_alu instid0(SALU_CYCLE_1) | instskip(NEXT) | instid1(SALU_CYCLE_1)
	s_ashr_i32 s21, s20, 31
	s_lshl_b64 s[20:21], s[20:21], 2
	s_delay_alu instid0(SALU_CYCLE_1)
	s_add_u32 s20, s16, s20
	s_addc_u32 s21, s25, s21
	s_clause 0x5
	s_load_b32 s26, s[2:3], 0x0
	s_load_b32 s27, s[4:5], 0x0
	;; [unrolled: 1-line block ×6, first 2 shown]
	s_or_b32 s2, s12, 0xc0
	s_mov_b32 s4, 0
	s_ashr_i32 s3, s2, 4
	s_cmp_lt_i32 s2, s24
	s_mov_b32 s11, s4
	s_cselect_b32 s2, s3, s13
	s_mov_b32 s5, s4
	s_ashr_i32 s3, s2, 31
	s_mov_b32 s6, s4
	s_lshl_b64 s[2:3], s[2:3], 2
	s_mov_b32 s7, s4
	s_add_u32 s2, s16, s2
	s_addc_u32 s3, s25, s3
	s_or_b32 s20, s12, 0xe0
	s_mov_b32 s8, s4
	s_ashr_i32 s21, s20, 4
	s_cmp_lt_i32 s20, s24
	s_mov_b32 s9, s4
	s_cselect_b32 s20, s21, s13
	s_mov_b32 s10, s4
	s_ashr_i32 s21, s20, 31
	v_mov_b32_e32 v118, s11
	v_dual_mov_b32 v112, s5 :: v_dual_mov_b32 v117, s10
	v_dual_mov_b32 v116, s9 :: v_dual_mov_b32 v115, s8
	;; [unrolled: 1-line block ×3, first 2 shown]
	v_mov_b32_e32 v111, s4
	s_lshl_b64 s[4:5], s[20:21], 2
	s_delay_alu instid0(SALU_CYCLE_1)
	s_add_u32 s4, s16, s4
	s_addc_u32 s5, s25, s5
	s_add_u32 s6, s22, s15
	s_addc_u32 s7, s23, s18
	s_waitcnt vmcnt(1)
	v_mad_i64_i32 v[3:4], null, v5, s17, v[1:2]
	s_waitcnt vmcnt(0)
	v_mad_i64_i32 v[5:6], null, v7, s17, v[1:2]
	v_cndmask_b32_e32 v1, 0, v68, vcc_lo
	v_lshlrev_b32_e32 v2, 4, v68
	s_clause 0xf
	global_load_b128 v[17:20], v[3:4], off
	global_load_b128 v[21:24], v[3:4], off offset:256
	global_load_b128 v[25:28], v[5:6], off
	global_load_b128 v[29:32], v[5:6], off offset:256
	global_load_b128 v[57:60], v[3:4], off offset:512
	;; [unrolled: 1-line block ×13, first 2 shown]
	v_lshlrev_b32_e32 v149, 6, v1
	v_lshl_or_b32 v1, v69, 8, v2
	ds_load_b128 v[119:122], v149
	ds_load_b128 v[123:126], v149 offset:1024
	ds_load_b128 v[127:130], v149 offset:2048
	;; [unrolled: 1-line block ×3, first 2 shown]
	s_clause 0x1
	s_load_b32 s2, s[2:3], 0x0
	s_load_b32 s3, s[4:5], 0x0
	v_add_co_u32 v135, s6, s6, v1
	s_delay_alu instid0(VALU_DEP_1) | instskip(SKIP_1) | instid1(VALU_DEP_1)
	v_add_co_ci_u32_e64 v136, null, s7, 0, s6
	s_waitcnt lgkmcnt(0)
	v_mad_i64_i32 v[1:2], null, s26, s17, v[135:136]
	v_mad_i64_i32 v[3:4], null, s27, s17, v[135:136]
	;; [unrolled: 1-line block ×6, first 2 shown]
	s_clause 0x9
	global_load_b128 v[49:52], v[1:2], off
	global_load_b128 v[53:56], v[1:2], off offset:16
	global_load_b128 v[41:44], v[3:4], off
	global_load_b128 v[45:48], v[3:4], off offset:16
	;; [unrolled: 2-line block ×5, first 2 shown]
	v_mad_i64_i32 v[145:146], null, s2, s17, v[135:136]
	v_mad_i64_i32 v[147:148], null, s3, s17, v[135:136]
	s_waitcnt vmcnt(24)
	v_wmma_f32_16x16x16_f16 v[135:142], v[17:24], v[119:126], v[111:118]
	s_waitcnt vmcnt(22)
	v_wmma_f32_16x16x16_f16 v[111:118], v[25:32], v[119:126], v[111:118]
	s_clause 0x3
	global_load_b128 v[17:20], v[143:144], off
	global_load_b128 v[21:24], v[143:144], off offset:16
	global_load_b128 v[25:28], v[145:146], off
	global_load_b128 v[29:32], v[145:146], off offset:16
	v_and_b32_e32 v119, 0xe0, v0
	s_waitcnt vmcnt(24)
	v_wmma_f32_16x16x16_f16 v[135:142], v[57:64], v[127:134], v[135:142]
	s_clause 0x1
	global_load_b128 v[57:60], v[147:148], off
	global_load_b128 v[61:64], v[147:148], off offset:16
	s_waitcnt vmcnt(24)
	v_wmma_f32_16x16x16_f16 v[111:118], v[71:78], v[127:134], v[111:118]
	ds_load_b128 v[71:74], v149 offset:4096
	ds_load_b128 v[75:78], v149 offset:5120
	v_add_nc_u32_e32 v128, s12, v119
	ds_load_b128 v[119:122], v149 offset:6144
	ds_load_b128 v[123:126], v149 offset:7168
	v_mbcnt_lo_u32_b32 v127, -1, 0
	s_waitcnt vmcnt(0) lgkmcnt(0)
	s_barrier
	v_or_b32_e32 v128, v128, v66
	buffer_gl0_inv
	v_xor_b32_e32 v129, 16, v127
	v_or_b32_e32 v130, 4, v128
	v_or_b32_e32 v131, 6, v128
	s_delay_alu instid0(VALU_DEP_3) | instskip(SKIP_4) | instid1(VALU_DEP_4)
	v_cmp_gt_i32_e32 vcc_lo, 32, v129
	v_or_b32_e32 v132, 8, v128
	v_or_b32_e32 v133, 10, v128
	v_cmp_gt_i32_e64 s3, s24, v130
	v_cmp_gt_i32_e64 s4, s24, v131
	;; [unrolled: 1-line block ×3, first 2 shown]
	v_wmma_f32_16x16x16_f16 v[135:142], v[79:86], v[71:78], v[135:142]
	v_wmma_f32_16x16x16_f16 v[111:118], v[87:94], v[71:78], v[111:118]
	v_or_b32_e32 v79, 12, v128
	v_or_b32_e32 v80, 14, v128
	v_cmp_gt_i32_e64 s6, s24, v133
	v_wmma_f32_16x16x16_f16 v[135:142], v[95:102], v[119:126], v[135:142]
	v_wmma_f32_16x16x16_f16 v[111:118], v[103:110], v[119:126], v[111:118]
	v_cndmask_b32_e32 v127, v127, v129, vcc_lo
	v_or_b32_e32 v129, 2, v128
	v_cmp_gt_i32_e32 vcc_lo, s24, v128
	s_delay_alu instid0(VALU_DEP_4) | instskip(SKIP_1) | instid1(VALU_DEP_4)
	v_dual_mul_f32 v87, s19, v136 :: v_dual_mul_f32 v94, s19, v113
	v_mul_f32_e32 v88, s19, v135
	v_cmp_gt_i32_e64 s2, s24, v129
	v_mul_f32_e32 v78, s19, v138
	v_mul_f32_e32 v86, s19, v137
	;; [unrolled: 1-line block ×3, first 2 shown]
	v_cndmask_b32_e32 v88, 0xff7fffff, v88, vcc_lo
	v_cndmask_b32_e64 v87, 0xff7fffff, v87, s2
	v_dual_mul_f32 v77, s19, v139 :: v_dual_mul_f32 v90, s19, v117
	v_cndmask_b32_e64 v86, 0xff7fffff, v86, s3
	v_cndmask_b32_e64 v78, 0xff7fffff, v78, s4
	s_delay_alu instid0(VALU_DEP_4)
	v_max3_f32 v87, v88, 0xff7fffff, v87
	v_or_b32_e32 v81, 16, v128
	v_or_b32_e32 v82, 18, v128
	v_dual_mul_f32 v74, s19, v142 :: v_dual_mul_f32 v75, s19, v141
	v_mul_f32_e32 v96, s19, v111
	v_cndmask_b32_e64 v77, 0xff7fffff, v77, s5
	v_cndmask_b32_e64 v76, 0xff7fffff, v76, s6
	v_max3_f32 v78, v87, v86, v78
	v_cmp_gt_i32_e64 s7, s24, v79
	v_cmp_gt_i32_e64 s8, s24, v80
	v_or_b32_e32 v83, 20, v128
	v_or_b32_e32 v84, 22, v128
	v_mul_f32_e32 v95, s19, v112
	v_cndmask_b32_e64 v75, 0xff7fffff, v75, s7
	v_cndmask_b32_e64 v74, 0xff7fffff, v74, s8
	v_max3_f32 v76, v78, v77, v76
	v_cmp_gt_i32_e64 s9, s24, v81
	v_cmp_gt_i32_e64 s10, s24, v82
	v_or_b32_e32 v85, 24, v128
	v_or_b32_e32 v71, 26, v128
	;; [unrolled: 8-line block ×3, first 2 shown]
	v_dual_mul_f32 v91, s19, v116 :: v_dual_mul_f32 v92, s19, v115
	v_cndmask_b32_e64 v75, 0xff7fffff, v94, s11
	v_cndmask_b32_e64 v76, 0xff7fffff, v93, s12
	v_max3_f32 v74, v74, v77, v78
	v_cmp_gt_i32_e64 s13, s24, v85
	v_cmp_gt_i32_e64 s15, s24, v71
	v_mul_f32_e32 v89, s19, v118
	v_cmp_gt_i32_e64 s16, s24, v72
	v_max3_f32 v74, v74, v75, v76
	v_cndmask_b32_e64 v77, 0xff7fffff, v92, s13
	v_cndmask_b32_e64 v71, 0xff7fffff, v91, s15
	v_cmp_gt_i32_e64 s17, s24, v73
	v_cndmask_b32_e64 v72, 0xff7fffff, v90, s16
	s_delay_alu instid0(VALU_DEP_3) | instskip(SKIP_1) | instid1(VALU_DEP_4)
	v_max3_f32 v71, v74, v77, v71
	v_lshlrev_b32_e32 v74, 2, v127
	v_cndmask_b32_e64 v73, 0xff7fffff, v89, s17
	s_delay_alu instid0(VALU_DEP_1) | instskip(SKIP_3) | instid1(VALU_DEP_1)
	v_max3_f32 v71, v71, v72, v73
	ds_bpermute_b32 v72, v74, v71
	s_waitcnt lgkmcnt(0)
	v_max_f32_e32 v72, v72, v72
	v_max_f32_e32 v71, v71, v72
	s_delay_alu instid0(VALU_DEP_1) | instskip(SKIP_4) | instid1(VALU_DEP_4)
	v_fma_f32 v72, s19, v135, -v71
	v_fma_f32 v73, s19, v136, -v71
	;; [unrolled: 1-line block ×5, first 2 shown]
	v_dual_mul_f32 v72, 0x3fb8aa3b, v72 :: v_dual_mul_f32 v73, 0x3fb8aa3b, v73
	s_delay_alu instid0(VALU_DEP_3) | instskip(SKIP_1) | instid1(VALU_DEP_3)
	v_dual_mul_f32 v75, 0x3fb8aa3b, v75 :: v_dual_mul_f32 v76, 0x3fb8aa3b, v76
	v_fma_f32 v80, s19, v141, -v71
	v_exp_f32_e32 v72, v72
	s_delay_alu instid0(VALU_DEP_3) | instskip(NEXT) | instid1(VALU_DEP_2)
	v_exp_f32_e32 v73, v73
	v_exp_f32_e32 v75, v75
	;; [unrolled: 1-line block ×3, first 2 shown]
	v_mul_f32_e32 v82, 0x3fb8aa3b, v80
	s_delay_alu instid0(VALU_DEP_1) | instskip(SKIP_4) | instid1(TRANS32_DEP_3)
	v_exp_f32_e32 v84, v82
	v_cndmask_b32_e32 v79, 0, v72, vcc_lo
	v_fma_f32 v72, s19, v140, -v71
	v_mul_f32_e32 v77, 0x3fb8aa3b, v77
	v_cndmask_b32_e64 v78, 0, v73, s2
	v_cndmask_b32_e64 v81, 0, v75, s3
	s_delay_alu instid0(VALU_DEP_4) | instskip(NEXT) | instid1(VALU_DEP_4)
	v_dual_add_f32 v73, 0, v79 :: v_dual_mul_f32 v72, 0x3fb8aa3b, v72
	v_exp_f32_e32 v77, v77
	v_cndmask_b32_e64 v80, 0, v76, s4
	s_delay_alu instid0(TRANS32_DEP_2) | instskip(NEXT) | instid1(VALU_DEP_3)
	v_cndmask_b32_e64 v85, 0, v84, s7
	v_add_f32_e32 v73, v73, v78
	v_exp_f32_e32 v72, v72
	v_cmp_gt_u32_e64 s2, 16, v70
	s_delay_alu instid0(VALU_DEP_2) | instskip(NEXT) | instid1(TRANS32_DEP_2)
	v_add_f32_e32 v73, v73, v81
	v_cndmask_b32_e64 v83, 0, v77, s5
	s_delay_alu instid0(VALU_DEP_2) | instskip(SKIP_3) | instid1(VALU_DEP_1)
	v_add_f32_e32 v73, v73, v80
	s_waitcnt_depctr 0xfff
	v_cndmask_b32_e64 v82, 0, v72, s6
	v_add_f32_e32 v72, v73, v83
	v_add_f32_e32 v72, v72, v82
	s_delay_alu instid0(VALU_DEP_1)
	v_add_f32_e32 v72, v72, v85
	v_fma_f32 v76, s19, v111, -v71
	v_fma_f32 v75, s19, v142, -v71
	;; [unrolled: 1-line block ×5, first 2 shown]
	s_delay_alu instid0(VALU_DEP_4) | instskip(NEXT) | instid1(VALU_DEP_3)
	v_dual_mul_f32 v76, 0x3fb8aa3b, v76 :: v_dual_mul_f32 v75, 0x3fb8aa3b, v75
	v_mul_f32_e32 v86, 0x3fb8aa3b, v86
	s_delay_alu instid0(VALU_DEP_2) | instskip(NEXT) | instid1(VALU_DEP_2)
	v_exp_f32_e32 v76, v76
	v_exp_f32_e32 v75, v75
	s_delay_alu instid0(VALU_DEP_1) | instskip(NEXT) | instid1(TRANS32_DEP_3)
	v_exp_f32_e32 v88, v86
	v_cndmask_b32_e64 v87, 0, v76, s9
	v_fma_f32 v76, s19, v116, -v71
	v_mul_f32_e32 v77, 0x3fb8aa3b, v77
	s_waitcnt_depctr 0xfff
	v_cndmask_b32_e64 v84, 0, v75, s8
	v_fma_f32 v75, s19, v115, -v71
	v_cndmask_b32_e64 v88, 0, v88, s12
	v_mul_f32_e32 v76, 0x3fb8aa3b, v76
	v_exp_f32_e32 v77, v77
	v_add_f32_e32 v72, v72, v84
	s_delay_alu instid0(VALU_DEP_2) | instskip(NEXT) | instid1(VALU_DEP_1)
	v_exp_f32_e32 v76, v76
	v_add_f32_e32 v72, v72, v87
	s_waitcnt_depctr 0xfff
	v_cndmask_b32_e64 v86, 0, v77, s10
	v_mul_f32_e32 v73, 0x3fb8aa3b, v73
	v_fma_f32 v77, s19, v117, -v71
	v_cndmask_b32_e64 v90, 0, v76, s15
	s_delay_alu instid0(VALU_DEP_4) | instskip(NEXT) | instid1(VALU_DEP_4)
	v_add_f32_e32 v72, v72, v86
	v_exp_f32_e32 v73, v73
	s_waitcnt_depctr 0xfff
	v_cndmask_b32_e64 v89, 0, v73, s11
	s_delay_alu instid0(VALU_DEP_1) | instskip(NEXT) | instid1(VALU_DEP_1)
	v_dual_mul_f32 v75, 0x3fb8aa3b, v75 :: v_dual_add_f32 v72, v72, v89
	v_exp_f32_e32 v75, v75
	v_mul_f32_e32 v73, 0x3fb8aa3b, v77
	v_fma_f32 v77, s19, v118, -v71
	s_delay_alu instid0(VALU_DEP_3) | instskip(NEXT) | instid1(VALU_DEP_3)
	v_add_f32_e32 v72, v72, v88
	v_exp_f32_e32 v73, v73
	s_waitcnt_depctr 0xfff
	v_cndmask_b32_e64 v91, 0, v75, s13
	s_delay_alu instid0(VALU_DEP_1) | instskip(NEXT) | instid1(VALU_DEP_1)
	v_dual_mul_f32 v75, 0x3fb8aa3b, v77 :: v_dual_add_f32 v72, v72, v91
	v_exp_f32_e32 v75, v75
	v_cndmask_b32_e64 v93, 0, v73, s16
	s_delay_alu instid0(VALU_DEP_2) | instskip(NEXT) | instid1(VALU_DEP_1)
	v_add_f32_e32 v72, v72, v90
	v_add_f32_e32 v72, v72, v93
	s_waitcnt_depctr 0xfff
	v_cndmask_b32_e64 v92, 0, v75, s17
	s_delay_alu instid0(VALU_DEP_1)
	v_add_f32_e32 v72, v72, v92
	ds_bpermute_b32 v73, v74, v72
	s_and_saveexec_b32 s3, s2
	s_cbranch_execz .LBB984_12
; %bb.11:
	v_mul_u32_u24_e32 v70, 0x44, v69
	s_waitcnt lgkmcnt(0)
	v_add_f32_e32 v72, v72, v73
	s_delay_alu instid0(VALU_DEP_2) | instskip(NEXT) | instid1(VALU_DEP_1)
	v_lshl_add_u32 v70, v68, 2, v70
	v_add_nc_u32_e32 v70, 0x4000, v70
	ds_store_2addr_b32 v70, v71, v72 offset1:136
.LBB984_12:
	s_or_b32 exec_lo, exec_lo, s3
	v_lshlrev_b32_e32 v70, 2, v68
	s_load_b32 s35, s[0:1], 0x94
	s_waitcnt lgkmcnt(0)
	s_barrier
	buffer_gl0_inv
	v_add_nc_u32_e32 v98, 0x4000, v70
	v_cmp_eq_u32_e32 vcc_lo, 1, v69
	v_cmp_eq_u32_e64 s3, 2, v69
	v_cmp_eq_u32_e64 s4, 3, v69
	;; [unrolled: 1-line block ×3, first 2 shown]
	ds_load_2addr_b32 v[70:71], v98 offset1:17
	ds_load_2addr_b32 v[72:73], v98 offset0:34 offset1:51
	ds_load_2addr_b32 v[74:75], v98 offset0:68 offset1:85
	;; [unrolled: 1-line block ×3, first 2 shown]
	v_cmp_eq_u32_e64 s6, 5, v69
	v_cmp_eq_u32_e64 s7, 7, v69
	s_waitcnt lgkmcnt(3)
	v_max3_f32 v76, v70, 0xff7fffff, v71
	s_waitcnt lgkmcnt(2)
	s_delay_alu instid0(VALU_DEP_1) | instskip(SKIP_1) | instid1(VALU_DEP_1)
	v_max3_f32 v76, v76, v72, v73
	s_waitcnt lgkmcnt(1)
	v_max3_f32 v76, v76, v74, v75
	s_waitcnt lgkmcnt(0)
	s_delay_alu instid0(VALU_DEP_1) | instskip(NEXT) | instid1(VALU_DEP_1)
	v_max3_f32 v76, v76, v94, v95
	v_sub_f32_e32 v77, v71, v76
	ds_load_2addr_b32 v[96:97], v98 offset0:136 offset1:153
	v_sub_f32_e32 v74, v74, v76
	v_sub_f32_e32 v70, v70, v76
	v_sub_f32_e32 v94, v94, v76
	v_dual_sub_f32 v72, v72, v76 :: v_dual_mul_f32 v77, 0x3fb8aa3b, v77
	s_delay_alu instid0(VALU_DEP_4) | instskip(NEXT) | instid1(VALU_DEP_4)
	v_mul_f32_e32 v103, 0x3fb8aa3b, v74
	v_mul_f32_e32 v99, 0x3fb8aa3b, v70
	ds_load_2addr_b32 v[70:71], v98 offset0:170 offset1:187
	v_dual_mul_f32 v101, 0x3fb8aa3b, v72 :: v_dual_mul_f32 v94, 0x3fb8aa3b, v94
	v_exp_f32_e32 v102, v77
	v_exp_f32_e32 v99, v99
	s_delay_alu instid0(VALU_DEP_1) | instskip(NEXT) | instid1(VALU_DEP_1)
	v_exp_f32_e32 v101, v101
	v_exp_f32_e32 v94, v94
	s_waitcnt lgkmcnt(1)
	s_delay_alu instid0(TRANS32_DEP_3)
	v_fma_f32 v77, v99, v96, 0
	v_sub_f32_e32 v100, v73, v76
	ds_load_2addr_b32 v[72:73], v98 offset0:204 offset1:221
	v_fmac_f32_e32 v77, v102, v97
	v_exp_f32_e32 v97, v103
	s_waitcnt lgkmcnt(1)
	s_delay_alu instid0(VALU_DEP_1)
	v_dual_fmac_f32 v77, v101, v70 :: v_dual_sub_f32 v96, v75, v76
	ds_load_2addr_b32 v[74:75], v98 offset0:238 offset1:255
	v_sub_f32_e32 v70, v95, v76
	s_waitcnt lgkmcnt(0)
	s_barrier
	v_mul_f32_e32 v96, 0x3fb8aa3b, v96
	buffer_gl0_inv
	v_exp_f32_e32 v95, v96
	v_mul_f32_e32 v100, 0x3fb8aa3b, v100
	s_delay_alu instid0(VALU_DEP_1) | instskip(SKIP_3) | instid1(VALU_DEP_2)
	v_exp_f32_e32 v100, v100
	s_waitcnt_depctr 0xfff
	v_dual_fmac_f32 v77, v100, v71 :: v_dual_mul_f32 v70, 0x3fb8aa3b, v70
	v_cndmask_b32_e32 v71, v99, v102, vcc_lo
	v_fmac_f32_e32 v77, v97, v72
	s_delay_alu instid0(VALU_DEP_3) | instskip(NEXT) | instid1(VALU_DEP_1)
	v_exp_f32_e32 v96, v70
	v_fmac_f32_e32 v77, v95, v73
	s_delay_alu instid0(VALU_DEP_1) | instskip(SKIP_2) | instid1(VALU_DEP_1)
	v_fmac_f32_e32 v77, v94, v74
	s_waitcnt_depctr 0xfff
	v_fmac_f32_e32 v77, v96, v75
	v_add_f32_e32 v74, 0x358637bd, v77
	s_delay_alu instid0(VALU_DEP_1) | instskip(SKIP_1) | instid1(VALU_DEP_2)
	v_div_scale_f32 v98, null, v74, v74, 1.0
	v_div_scale_f32 v99, vcc_lo, 1.0, v74, 1.0
	v_rcp_f32_e32 v103, v98
	s_waitcnt_depctr 0xfff
	v_fma_f32 v70, -v98, v103, 1.0
	s_delay_alu instid0(VALU_DEP_1) | instskip(SKIP_2) | instid1(VALU_DEP_2)
	v_fmac_f32_e32 v103, v70, v103
	v_cndmask_b32_e64 v70, v71, v101, s3
	v_cmp_eq_u32_e64 s3, 6, v69
	v_cndmask_b32_e64 v71, v70, v100, s4
	s_delay_alu instid0(VALU_DEP_4) | instskip(NEXT) | instid1(VALU_DEP_2)
	v_dual_mul_f32 v101, v99, v103 :: v_dual_lshlrev_b32 v70, 2, v66
	v_cndmask_b32_e64 v71, v71, v97, s5
	s_delay_alu instid0(VALU_DEP_2) | instskip(NEXT) | instid1(VALU_DEP_3)
	v_or_b32_e32 v72, 1, v70
	v_fma_f32 v100, -v98, v101, v99
	v_cmp_eq_u32_e64 s4, 1, v70
	v_cmp_eq_u32_e64 s5, 2, v70
	v_cndmask_b32_e64 v95, v71, v95, s6
	v_or_b32_e32 v71, 3, v70
	v_fmac_f32_e32 v101, v100, v103
	v_cmp_eq_u32_e64 s9, 1, v72
	v_cmp_eq_u32_e64 s12, 2, v72
	v_cndmask_b32_e64 v94, v95, v94, s3
	v_cmp_eq_u32_e64 s11, 1, v71
	v_fma_f32 v97, -v98, v101, v99
	v_cmp_eq_u32_e64 s16, 2, v71
	v_cmp_eq_u32_e64 s13, 3, v72
	v_cndmask_b32_e64 v94, v94, v96, s7
	v_cmp_eq_u32_e64 s18, 3, v71
	v_div_fmas_f32 v95, v97, v103, v101
	v_cmp_eq_u32_e32 vcc_lo, 3, v70
	v_cmp_eq_u32_e64 s3, 4, v70
	v_cmp_eq_u32_e64 s19, 4, v72
	;; [unrolled: 1-line block ×3, first 2 shown]
	v_div_fixup_f32 v95, v95, v74, 1.0
	v_lshlrev_b32_e32 v73, 6, v68
	v_cmp_eq_u32_e64 s6, 5, v70
	v_cmp_eq_u32_e64 s20, 5, v72
	;; [unrolled: 1-line block ×3, first 2 shown]
	v_mul_f32_e32 v102, v94, v95
	v_lshl_or_b32 v75, v69, 11, v73
	v_or_b32_e32 v69, 2, v70
	v_cmp_eq_u32_e64 s25, 6, v72
	v_cmp_eq_u32_e64 s27, 6, v71
	v_fma_mixlo_f16 v94, v102, v79, 0
	v_fma_mixlo_f16 v95, v102, v81, 0
	;; [unrolled: 1-line block ×8, first 2 shown]
	v_lshl_or_b32 v74, v66, 4, v75
	v_fma_mixhi_f16 v94, v102, v78, 0
	v_fma_mixhi_f16 v95, v102, v80, 0
	;; [unrolled: 1-line block ×8, first 2 shown]
	ds_store_b128 v74, v[94:97]
	ds_store_b128 v74, v[98:101] offset:1024
	s_waitcnt lgkmcnt(0)
	s_barrier
	buffer_gl0_inv
	ds_load_b128 v[78:81], v75
	ds_load_b128 v[82:85], v75 offset:16
	ds_load_b128 v[86:89], v75 offset:1024
	;; [unrolled: 1-line block ×3, first 2 shown]
	v_cmp_eq_u32_e64 s10, 1, v69
	v_cmp_eq_u32_e64 s15, 2, v69
	;; [unrolled: 1-line block ×11, first 2 shown]
	s_waitcnt lgkmcnt(3)
	v_lshrrev_b32_e32 v94, 16, v78
	s_waitcnt lgkmcnt(2)
	v_lshrrev_b32_e32 v98, 16, v82
	;; [unrolled: 2-line block ×4, first 2 shown]
	v_lshrrev_b32_e32 v95, 16, v79
	v_cndmask_b32_e64 v110, v78, v94, s4
	v_cndmask_b32_e64 v111, v82, v98, s4
	;; [unrolled: 1-line block ×8, first 2 shown]
	v_lshrrev_b32_e32 v99, 16, v83
	v_cndmask_b32_e64 v94, v86, v102, s4
	v_cndmask_b32_e64 v98, v90, v106, s4
	;; [unrolled: 1-line block ×15, first 2 shown]
	v_lshrrev_b32_e32 v103, 16, v87
	v_lshrrev_b32_e32 v107, 16, v91
	v_cndmask_b32_e64 v113, v115, v83, s15
	v_cndmask_b32_e64 v82, v94, v87, s5
	;; [unrolled: 1-line block ×7, first 2 shown]
	v_cndmask_b32_e32 v90, v102, v95, vcc_lo
	v_cndmask_b32_e32 v102, v106, v99, vcc_lo
	v_cndmask_b32_e64 v106, v110, v95, s13
	v_cndmask_b32_e64 v110, v111, v99, s13
	;; [unrolled: 1-line block ×4, first 2 shown]
	v_lshrrev_b32_e32 v96, 16, v80
	v_lshrrev_b32_e32 v100, 16, v84
	v_cndmask_b32_e64 v111, v112, v95, s17
	v_cndmask_b32_e64 v112, v113, v99, s17
	v_cndmask_b32_e32 v82, v82, v103, vcc_lo
	v_cndmask_b32_e32 v83, v83, v107, vcc_lo
	v_cndmask_b32_e64 v94, v94, v103, s13
	v_cndmask_b32_e64 v90, v90, v80, s3
	;; [unrolled: 1-line block ×7, first 2 shown]
	v_lshrrev_b32_e32 v104, 16, v88
	v_cndmask_b32_e64 v106, v111, v80, s21
	v_cndmask_b32_e64 v110, v112, v84, s21
	;; [unrolled: 1-line block ×11, first 2 shown]
	v_lshrrev_b32_e32 v97, 16, v81
	v_lshrrev_b32_e32 v101, 16, v85
	v_cndmask_b32_e64 v99, v106, v96, s23
	v_cndmask_b32_e64 v102, v110, v100, s23
	;; [unrolled: 1-line block ×7, first 2 shown]
	v_lshrrev_b32_e32 v105, 16, v89
	v_cndmask_b32_e64 v80, v80, v104, s6
	v_cndmask_b32_e64 v84, v84, v81, s7
	;; [unrolled: 1-line block ×16, first 2 shown]
	v_perm_b32 v81, v79, v78, 0x5040100
	v_perm_b32 v79, v95, v85, 0x5040100
	v_cndmask_b32_e64 v78, v119, v91, s15
	v_cndmask_b32_e64 v85, v117, v91, s12
	;; [unrolled: 1-line block ×3, first 2 shown]
	v_perm_b32 v80, v94, v90, 0x5040100
	v_cndmask_b32_e64 v90, v98, v103, s17
	v_cndmask_b32_e64 v86, v86, v103, s18
	;; [unrolled: 1-line block ×5, first 2 shown]
	v_lshrrev_b32_e32 v108, 16, v92
	v_cndmask_b32_e64 v90, v90, v88, s21
	v_cndmask_b32_e64 v86, v86, v88, s22
	;; [unrolled: 1-line block ×11, first 2 shown]
	v_lshrrev_b32_e32 v109, 16, v93
	v_cndmask_b32_e64 v82, v82, v93, s7
	v_cndmask_b32_e64 v88, v88, v89, s26
	;; [unrolled: 1-line block ×12, first 2 shown]
	v_perm_b32 v78, v84, v83, 0x5040100
	v_perm_b32 v85, v87, v86, 0x5040100
	;; [unrolled: 1-line block ×5, first 2 shown]
	s_mul_i32 s8, s33, 15
	s_mov_b32 s3, exec_lo
	ds_store_b128 v74, v[78:81]
	ds_store_b128 v74, v[82:85] offset:1024
	v_cmpx_gt_u32_e32 15, v0
	s_cbranch_execz .LBB984_14
; %bb.13:
	s_mul_i32 s4, s8, s34
	s_delay_alu instid0(SALU_CYCLE_1) | instskip(SKIP_1) | instid1(VALU_DEP_1)
	v_add3_u32 v68, s4, s31, v68
	s_load_b128 s[4:7], s[0:1], 0x58
	v_mad_u64_u32 v[78:79], null, v68, s35, s[14:15]
	s_delay_alu instid0(VALU_DEP_1) | instskip(NEXT) | instid1(VALU_DEP_1)
	v_ashrrev_i32_e32 v79, 31, v78
	v_lshlrev_b64 v[78:79], 2, v[78:79]
	s_waitcnt lgkmcnt(0)
	s_delay_alu instid0(VALU_DEP_1) | instskip(NEXT) | instid1(VALU_DEP_2)
	v_add_co_u32 v80, vcc_lo, s6, v78
	v_add_co_ci_u32_e32 v81, vcc_lo, s7, v79, vcc_lo
	v_add_co_u32 v78, vcc_lo, s4, v78
	v_add_co_ci_u32_e32 v79, vcc_lo, s5, v79, vcc_lo
	global_store_b32 v[80:81], v76, off
	global_store_b32 v[78:79], v77, off
.LBB984_14:
	s_or_b32 exec_lo, exec_lo, s3
	s_waitcnt lgkmcnt(0)
	s_waitcnt_vscnt null, 0x0
	s_barrier
	buffer_gl0_inv
	ds_load_b128 v[84:87], v73
	ds_load_b128 v[88:91], v73 offset:16
	ds_load_b128 v[96:99], v73 offset:2064
	;; [unrolled: 1-line block ×5, first 2 shown]
	v_cmp_eq_u32_e32 vcc_lo, 1, v70
	v_mov_b32_e32 v76, 0
	ds_load_b128 v[112:115], v73 offset:6160
	ds_load_b128 v[108:111], v73 offset:6144
	ds_load_b128 v[120:123], v73 offset:8208
	ds_load_b128 v[116:119], v73 offset:8192
	v_cmp_eq_u32_e64 s4, 1, v69
	v_cmp_eq_u32_e64 s3, 1, v72
	;; [unrolled: 1-line block ×3, first 2 shown]
	v_mov_b32_e32 v77, v76
	v_mov_b32_e32 v78, v76
	;; [unrolled: 1-line block ×7, first 2 shown]
	v_cmp_eq_u32_e64 s6, 3, v72
	v_cmp_eq_u32_e64 s7, 7, v72
	s_waitcnt lgkmcnt(8)
	s_delay_alu instid0(VALU_DEP_3)
	v_wmma_f32_16x16x16_f16 v[76:83], v[49:56], v[84:91], v[76:83]
	ds_load_b128 v[53:56], v73 offset:10256
	ds_load_b128 v[49:52], v73 offset:10240
	s_waitcnt lgkmcnt(8)
	v_wmma_f32_16x16x16_f16 v[76:83], v[41:48], v[92:99], v[76:83]
	ds_load_b128 v[45:48], v73 offset:12304
	ds_load_b128 v[41:44], v73 offset:12288
	s_waitcnt lgkmcnt(8)
	;; [unrolled: 4-line block ×3, first 2 shown]
	s_barrier
	buffer_gl0_inv
	v_wmma_f32_16x16x16_f16 v[76:83], v[1:8], v[108:115], v[76:83]
	s_delay_alu instid0(VALU_DEP_1) | instskip(NEXT) | instid1(VALU_DEP_1)
	v_wmma_f32_16x16x16_f16 v[76:83], v[9:16], v[116:123], v[76:83]
	v_wmma_f32_16x16x16_f16 v[76:83], v[17:24], v[49:56], v[76:83]
	s_delay_alu instid0(VALU_DEP_1) | instskip(NEXT) | instid1(VALU_DEP_1)
	v_wmma_f32_16x16x16_f16 v[76:83], v[25:32], v[41:48], v[76:83]
	v_wmma_f32_16x16x16_f16 v[76:83], v[57:64], v[33:40], v[76:83]
	s_delay_alu instid0(VALU_DEP_1) | instskip(NEXT) | instid1(VALU_DEP_2)
	v_cvt_f16_f32_e32 v1, v76
	v_cvt_f16_f32_e32 v2, v77
	s_delay_alu instid0(VALU_DEP_3) | instskip(NEXT) | instid1(VALU_DEP_4)
	v_cvt_f16_f32_e32 v3, v78
	v_cvt_f16_f32_e32 v4, v79
	;; [unrolled: 1-line block ×6, first 2 shown]
	v_pack_b32_f16 v1, v1, v2
	v_pack_b32_f16 v2, v3, v4
	;; [unrolled: 1-line block ×3, first 2 shown]
	s_delay_alu instid0(VALU_DEP_4)
	v_pack_b32_f16 v4, v7, v8
	ds_store_b128 v74, v[1:4]
	s_waitcnt lgkmcnt(0)
	s_barrier
	buffer_gl0_inv
	ds_load_b128 v[1:4], v75
	ds_load_b128 v[5:8], v75 offset:16
	s_waitcnt lgkmcnt(1)
	v_lshrrev_b32_e32 v9, 16, v1
	s_waitcnt lgkmcnt(0)
	v_lshrrev_b32_e32 v13, 16, v5
	v_lshrrev_b32_e32 v10, 16, v2
	;; [unrolled: 1-line block ×4, first 2 shown]
	v_cndmask_b32_e32 v17, v1, v9, vcc_lo
	v_cndmask_b32_e32 v18, v5, v13, vcc_lo
	v_cndmask_b32_e64 v21, v1, v9, s4
	v_cmp_eq_u32_e32 vcc_lo, 1, v71
	v_cndmask_b32_e64 v22, v5, v13, s4
	v_cmp_eq_u32_e64 s4, 2, v70
	v_cndmask_b32_e64 v19, v1, v9, s3
	v_cndmask_b32_e64 v20, v5, v13, s3
	v_cndmask_b32_e32 v1, v1, v9, vcc_lo
	v_cmp_eq_u32_e64 s3, 2, v71
	v_cndmask_b32_e32 v5, v5, v13, vcc_lo
	v_cndmask_b32_e64 v9, v17, v2, s4
	v_cmp_eq_u32_e32 vcc_lo, 3, v70
	v_cndmask_b32_e64 v13, v18, v6, s4
	v_cmp_eq_u32_e64 s4, 2, v69
	v_cndmask_b32_e64 v17, v19, v2, s5
	v_cndmask_b32_e64 v18, v20, v6, s5
	v_cmp_eq_u32_e64 s5, 3, v69
	v_cndmask_b32_e64 v1, v1, v2, s3
	v_cndmask_b32_e64 v19, v21, v2, s4
	;; [unrolled: 1-line block ×4, first 2 shown]
	v_cndmask_b32_e32 v5, v9, v10, vcc_lo
	v_cndmask_b32_e32 v6, v13, v14, vcc_lo
	v_cmp_eq_u32_e32 vcc_lo, 3, v71
	v_cndmask_b32_e64 v9, v17, v10, s6
	v_cndmask_b32_e64 v13, v18, v14, s6
	;; [unrolled: 1-line block ×3, first 2 shown]
	v_cmp_eq_u32_e64 s4, 4, v70
	v_cndmask_b32_e32 v1, v1, v10, vcc_lo
	v_cndmask_b32_e32 v2, v2, v14, vcc_lo
	v_cmp_eq_u32_e32 vcc_lo, 4, v72
	v_lshrrev_b32_e32 v15, 16, v7
	v_lshrrev_b32_e32 v16, 16, v8
	v_cndmask_b32_e64 v17, v19, v10, s5
	v_cmp_eq_u32_e64 s3, 4, v71
	v_cndmask_b32_e64 v5, v5, v3, s4
	v_cndmask_b32_e64 v6, v6, v7, s4
	v_cndmask_b32_e32 v9, v9, v3, vcc_lo
	v_cmp_eq_u32_e64 s4, 5, v72
	v_cndmask_b32_e32 v10, v13, v7, vcc_lo
	v_cmp_eq_u32_e32 vcc_lo, 4, v69
	v_cmp_eq_u32_e64 s5, 5, v70
	v_cndmask_b32_e64 v2, v2, v7, s3
	v_cndmask_b32_e64 v9, v9, v11, s4
	;; [unrolled: 1-line block ×3, first 2 shown]
	v_cndmask_b32_e32 v13, v17, v3, vcc_lo
	v_cmp_eq_u32_e64 s4, 5, v69
	v_cndmask_b32_e32 v14, v18, v7, vcc_lo
	v_cndmask_b32_e64 v1, v1, v3, s3
	v_cmp_eq_u32_e32 vcc_lo, 5, v71
	v_lshrrev_b32_e32 v12, 16, v4
	v_cndmask_b32_e64 v13, v13, v11, s4
	v_cndmask_b32_e64 v3, v14, v15, s4
	v_cmp_eq_u32_e64 s4, 6, v71
	v_cndmask_b32_e32 v1, v1, v11, vcc_lo
	v_cndmask_b32_e64 v5, v5, v11, s5
	v_cmp_eq_u32_e64 s6, 6, v70
	v_cndmask_b32_e64 v6, v6, v15, s5
	v_cmp_eq_u32_e64 s5, 6, v72
	v_cmp_eq_u32_e64 s3, 6, v69
	v_cndmask_b32_e64 v1, v1, v4, s4
	v_cndmask_b32_e32 v2, v2, v15, vcc_lo
	v_cmp_eq_u32_e32 vcc_lo, 7, v71
	v_cndmask_b32_e64 v5, v5, v4, s6
	v_cndmask_b32_e64 v9, v9, v4, s5
	;; [unrolled: 1-line block ×3, first 2 shown]
	v_cmp_eq_u32_e64 s6, 7, v70
	v_cndmask_b32_e32 v1, v1, v12, vcc_lo
	v_cndmask_b32_e64 v7, v13, v4, s3
	v_cndmask_b32_e64 v3, v3, v8, s3
	;; [unrolled: 1-line block ×3, first 2 shown]
	v_cmp_eq_u32_e64 s3, 7, v69
	v_cndmask_b32_e64 v4, v10, v8, s5
	v_cndmask_b32_e64 v5, v5, v12, s6
	;; [unrolled: 1-line block ×3, first 2 shown]
	v_cndmask_b32_e32 v2, v2, v16, vcc_lo
	v_cndmask_b32_e64 v7, v7, v12, s3
	v_cndmask_b32_e64 v3, v3, v16, s3
	;; [unrolled: 1-line block ×4, first 2 shown]
	v_perm_b32 v4, v2, v1, 0x5040100
	s_mov_b32 s3, exec_lo
	v_perm_b32 v3, v3, v7, 0x5040100
	v_perm_b32 v2, v8, v9, 0x5040100
	;; [unrolled: 1-line block ×3, first 2 shown]
	ds_store_b128 v74, v[1:4]
	s_waitcnt lgkmcnt(0)
	s_barrier
	buffer_gl0_inv
	v_cmpx_gt_u32_e32 32, v0
	s_cbranch_execz .LBB984_2
; %bb.15:
	s_load_b64 s[4:5], s[0:1], 0x68
	v_add_nc_u32_e32 v20, s31, v66
	v_lshlrev_b32_e32 v0, 10, v0
	v_lshlrev_b32_e32 v1, 4, v67
	s_lshl_b32 s0, s35, 7
	s_delay_alu instid0(SALU_CYCLE_1)
	s_mul_i32 s1, s0, s34
	v_add_nc_u32_e32 v2, 2, v20
	s_mul_i32 s6, s1, s8
	v_and_or_b32 v0, 0x3800, v0, v1
	v_mul_lo_u32 v1, v20, s0
	s_ashr_i32 s7, s6, 31
	v_mul_lo_u32 v11, v2, s0
	s_lshl_b64 s[6:7], s[6:7], 1
	v_add_nc_u32_e32 v3, 4, v20
	v_lshl_or_b32 v21, v66, 6, v0
	v_add_nc_u32_e32 v16, 6, v20
	v_ashrrev_i32_e32 v2, 31, v1
	s_delay_alu instid0(VALU_DEP_4)
	v_mul_lo_u32 v13, v3, s0
	s_waitcnt lgkmcnt(0)
	s_add_u32 s1, s4, s6
	s_addc_u32 s3, s5, s7
	s_lshl_b32 s4, s14, 7
	ds_load_b128 v[3:6], v21
	ds_load_b128 v[7:10], v21 offset:128
	s_ashr_i32 s5, s4, 31
	v_ashrrev_i32_e32 v12, 31, v11
	s_lshl_b64 s[4:5], s[4:5], 1
	v_lshlrev_b64 v[14:15], 1, v[1:2]
	s_add_u32 s1, s1, s4
	s_addc_u32 s3, s3, s5
	v_add_co_u32 v1, s1, s1, v65
	s_delay_alu instid0(VALU_DEP_1) | instskip(SKIP_1) | instid1(VALU_DEP_3)
	v_add_co_ci_u32_e64 v2, null, s3, 0, s1
	v_lshlrev_b64 v[11:12], 1, v[11:12]
	v_add_co_u32 v18, vcc_lo, v1, v14
	v_mul_lo_u32 v16, v16, s0
	s_delay_alu instid0(VALU_DEP_4) | instskip(NEXT) | instid1(VALU_DEP_4)
	v_add_co_ci_u32_e32 v19, vcc_lo, v2, v15, vcc_lo
	v_add_co_u32 v11, vcc_lo, v1, v11
	v_ashrrev_i32_e32 v14, 31, v13
	v_add_co_ci_u32_e32 v12, vcc_lo, v2, v12, vcc_lo
	v_add_nc_u32_e32 v15, 8, v20
	v_ashrrev_i32_e32 v17, 31, v16
	s_waitcnt lgkmcnt(1)
	global_store_b128 v[18:19], v[3:6], off
	v_lshlrev_b64 v[3:4], 1, v[13:14]
	s_waitcnt lgkmcnt(0)
	global_store_b128 v[11:12], v[7:10], off
	v_mul_lo_u32 v11, v15, s0
	v_add_nc_u32_e32 v7, 10, v20
	v_lshlrev_b64 v[5:6], 1, v[16:17]
	v_add_co_u32 v23, vcc_lo, v1, v3
	v_add_nc_u32_e32 v3, 12, v20
	s_delay_alu instid0(VALU_DEP_4)
	v_mul_lo_u32 v25, v7, s0
	v_ashrrev_i32_e32 v12, 31, v11
	v_add_co_ci_u32_e32 v24, vcc_lo, v2, v4, vcc_lo
	v_add_co_u32 v27, vcc_lo, v1, v5
	v_mul_lo_u32 v29, v3, s0
	v_add_co_ci_u32_e32 v28, vcc_lo, v2, v6, vcc_lo
	ds_load_b128 v[3:6], v21 offset:256
	ds_load_b128 v[7:10], v21 offset:384
	v_lshlrev_b64 v[31:32], 1, v[11:12]
	ds_load_b128 v[11:14], v21 offset:512
	ds_load_b128 v[15:18], v21 offset:640
	;; [unrolled: 1-line block ×3, first 2 shown]
	v_ashrrev_i32_e32 v26, 31, v25
	v_ashrrev_i32_e32 v30, 31, v29
	v_add_co_u32 v31, vcc_lo, v1, v31
	s_delay_alu instid0(VALU_DEP_3) | instskip(NEXT) | instid1(VALU_DEP_3)
	v_lshlrev_b64 v[25:26], 1, v[25:26]
	v_lshlrev_b64 v[29:30], 1, v[29:30]
	v_add_co_ci_u32_e32 v32, vcc_lo, v2, v32, vcc_lo
	s_delay_alu instid0(VALU_DEP_3) | instskip(NEXT) | instid1(VALU_DEP_4)
	v_add_co_u32 v25, vcc_lo, v1, v25
	v_add_co_ci_u32_e32 v26, vcc_lo, v2, v26, vcc_lo
	s_delay_alu instid0(VALU_DEP_4)
	v_add_co_u32 v29, vcc_lo, v1, v29
	v_add_co_ci_u32_e32 v30, vcc_lo, v2, v30, vcc_lo
	s_waitcnt lgkmcnt(4)
	global_store_b128 v[23:24], v[3:6], off
	s_waitcnt lgkmcnt(3)
	global_store_b128 v[27:28], v[7:10], off
	;; [unrolled: 2-line block ×5, first 2 shown]
	s_and_b32 exec_lo, exec_lo, s2
	s_cbranch_execz .LBB984_2
; %bb.16:
	ds_load_b128 v[3:6], v0 offset:896
	s_add_i32 s1, s31, 14
	s_delay_alu instid0(SALU_CYCLE_1) | instskip(NEXT) | instid1(SALU_CYCLE_1)
	s_mul_i32 s0, s1, s0
	s_ashr_i32 s1, s0, 31
	s_delay_alu instid0(SALU_CYCLE_1) | instskip(NEXT) | instid1(SALU_CYCLE_1)
	s_lshl_b64 s[0:1], s[0:1], 1
	v_add_co_u32 v0, vcc_lo, v1, s0
	v_add_co_ci_u32_e32 v1, vcc_lo, s1, v2, vcc_lo
	s_waitcnt lgkmcnt(0)
	global_store_b128 v[0:1], v[3:6], off
	s_nop 0
	s_sendmsg sendmsg(MSG_DEALLOC_VGPRS)
	s_endpgm
	.section	.rodata,"a",@progbits
	.p2align	6, 0x0
	.amdhsa_kernel _Z39paged_attention_ll4mi_QKV_mfma16_kernelIDF16_hLN4vllm18Fp8KVCacheDataTypeE1EDF16_Li16ELi128ELi256ELb1ELi15EL8MFMAType1EEvPKT_PKT0_S8_ifPKiSA_SA_iPKfiiiPfSD_PS3_PT2_iSC_SC_
		.amdhsa_group_segment_fixed_size 17472
		.amdhsa_private_segment_fixed_size 0
		.amdhsa_kernarg_size 400
		.amdhsa_user_sgpr_count 13
		.amdhsa_user_sgpr_dispatch_ptr 0
		.amdhsa_user_sgpr_queue_ptr 0
		.amdhsa_user_sgpr_kernarg_segment_ptr 1
		.amdhsa_user_sgpr_dispatch_id 0
		.amdhsa_user_sgpr_private_segment_size 0
		.amdhsa_wavefront_size32 1
		.amdhsa_uses_dynamic_stack 0
		.amdhsa_enable_private_segment 0
		.amdhsa_system_sgpr_workgroup_id_x 1
		.amdhsa_system_sgpr_workgroup_id_y 1
		.amdhsa_system_sgpr_workgroup_id_z 1
		.amdhsa_system_sgpr_workgroup_info 0
		.amdhsa_system_vgpr_workitem_id 0
		.amdhsa_next_free_vgpr 150
		.amdhsa_next_free_sgpr 36
		.amdhsa_reserve_vcc 1
		.amdhsa_float_round_mode_32 0
		.amdhsa_float_round_mode_16_64 0
		.amdhsa_float_denorm_mode_32 3
		.amdhsa_float_denorm_mode_16_64 3
		.amdhsa_dx10_clamp 1
		.amdhsa_ieee_mode 1
		.amdhsa_fp16_overflow 0
		.amdhsa_workgroup_processor_mode 1
		.amdhsa_memory_ordered 1
		.amdhsa_forward_progress 0
		.amdhsa_shared_vgpr_count 0
		.amdhsa_exception_fp_ieee_invalid_op 0
		.amdhsa_exception_fp_denorm_src 0
		.amdhsa_exception_fp_ieee_div_zero 0
		.amdhsa_exception_fp_ieee_overflow 0
		.amdhsa_exception_fp_ieee_underflow 0
		.amdhsa_exception_fp_ieee_inexact 0
		.amdhsa_exception_int_div_zero 0
	.end_amdhsa_kernel
	.section	.text._Z39paged_attention_ll4mi_QKV_mfma16_kernelIDF16_hLN4vllm18Fp8KVCacheDataTypeE1EDF16_Li16ELi128ELi256ELb1ELi15EL8MFMAType1EEvPKT_PKT0_S8_ifPKiSA_SA_iPKfiiiPfSD_PS3_PT2_iSC_SC_,"axG",@progbits,_Z39paged_attention_ll4mi_QKV_mfma16_kernelIDF16_hLN4vllm18Fp8KVCacheDataTypeE1EDF16_Li16ELi128ELi256ELb1ELi15EL8MFMAType1EEvPKT_PKT0_S8_ifPKiSA_SA_iPKfiiiPfSD_PS3_PT2_iSC_SC_,comdat
.Lfunc_end984:
	.size	_Z39paged_attention_ll4mi_QKV_mfma16_kernelIDF16_hLN4vllm18Fp8KVCacheDataTypeE1EDF16_Li16ELi128ELi256ELb1ELi15EL8MFMAType1EEvPKT_PKT0_S8_ifPKiSA_SA_iPKfiiiPfSD_PS3_PT2_iSC_SC_, .Lfunc_end984-_Z39paged_attention_ll4mi_QKV_mfma16_kernelIDF16_hLN4vllm18Fp8KVCacheDataTypeE1EDF16_Li16ELi128ELi256ELb1ELi15EL8MFMAType1EEvPKT_PKT0_S8_ifPKiSA_SA_iPKfiiiPfSD_PS3_PT2_iSC_SC_
                                        ; -- End function
	.section	.AMDGPU.csdata,"",@progbits
; Kernel info:
; codeLenInByte = 6892
; NumSgprs: 38
; NumVgprs: 150
; ScratchSize: 0
; MemoryBound: 0
; FloatMode: 240
; IeeeMode: 1
; LDSByteSize: 17472 bytes/workgroup (compile time only)
; SGPRBlocks: 4
; VGPRBlocks: 18
; NumSGPRsForWavesPerEU: 38
; NumVGPRsForWavesPerEU: 150
; Occupancy: 9
; WaveLimiterHint : 1
; COMPUTE_PGM_RSRC2:SCRATCH_EN: 0
; COMPUTE_PGM_RSRC2:USER_SGPR: 13
; COMPUTE_PGM_RSRC2:TRAP_HANDLER: 0
; COMPUTE_PGM_RSRC2:TGID_X_EN: 1
; COMPUTE_PGM_RSRC2:TGID_Y_EN: 1
; COMPUTE_PGM_RSRC2:TGID_Z_EN: 1
; COMPUTE_PGM_RSRC2:TIDIG_COMP_CNT: 0
	.section	.text._Z39paged_attention_ll4mi_QKV_mfma16_kernelIDF16_hLN4vllm18Fp8KVCacheDataTypeE1EDF16_Li16ELi128ELi256ELb1ELi16EL8MFMAType1EEvPKT_PKT0_S8_ifPKiSA_SA_iPKfiiiPfSD_PS3_PT2_iSC_SC_,"axG",@progbits,_Z39paged_attention_ll4mi_QKV_mfma16_kernelIDF16_hLN4vllm18Fp8KVCacheDataTypeE1EDF16_Li16ELi128ELi256ELb1ELi16EL8MFMAType1EEvPKT_PKT0_S8_ifPKiSA_SA_iPKfiiiPfSD_PS3_PT2_iSC_SC_,comdat
	.protected	_Z39paged_attention_ll4mi_QKV_mfma16_kernelIDF16_hLN4vllm18Fp8KVCacheDataTypeE1EDF16_Li16ELi128ELi256ELb1ELi16EL8MFMAType1EEvPKT_PKT0_S8_ifPKiSA_SA_iPKfiiiPfSD_PS3_PT2_iSC_SC_ ; -- Begin function _Z39paged_attention_ll4mi_QKV_mfma16_kernelIDF16_hLN4vllm18Fp8KVCacheDataTypeE1EDF16_Li16ELi128ELi256ELb1ELi16EL8MFMAType1EEvPKT_PKT0_S8_ifPKiSA_SA_iPKfiiiPfSD_PS3_PT2_iSC_SC_
	.globl	_Z39paged_attention_ll4mi_QKV_mfma16_kernelIDF16_hLN4vllm18Fp8KVCacheDataTypeE1EDF16_Li16ELi128ELi256ELb1ELi16EL8MFMAType1EEvPKT_PKT0_S8_ifPKiSA_SA_iPKfiiiPfSD_PS3_PT2_iSC_SC_
	.p2align	8
	.type	_Z39paged_attention_ll4mi_QKV_mfma16_kernelIDF16_hLN4vllm18Fp8KVCacheDataTypeE1EDF16_Li16ELi128ELi256ELb1ELi16EL8MFMAType1EEvPKT_PKT0_S8_ifPKiSA_SA_iPKfiiiPfSD_PS3_PT2_iSC_SC_,@function
_Z39paged_attention_ll4mi_QKV_mfma16_kernelIDF16_hLN4vllm18Fp8KVCacheDataTypeE1EDF16_Li16ELi128ELi256ELb1ELi16EL8MFMAType1EEvPKT_PKT0_S8_ifPKiSA_SA_iPKfiiiPfSD_PS3_PT2_iSC_SC_: ; @_Z39paged_attention_ll4mi_QKV_mfma16_kernelIDF16_hLN4vllm18Fp8KVCacheDataTypeE1EDF16_Li16ELi128ELi256ELb1ELi16EL8MFMAType1EEvPKT_PKT0_S8_ifPKiSA_SA_iPKfiiiPfSD_PS3_PT2_iSC_SC_
; %bb.0:
	s_load_b64 s[4:5], s[0:1], 0x30
	s_mov_b32 s30, s13
	s_waitcnt lgkmcnt(0)
	s_cmp_lg_u64 s[4:5], 0
	s_cselect_b32 s8, -1, 0
	s_ashr_i32 s31, s13, 31
	s_cmp_eq_u64 s[4:5], 0
	s_cbranch_scc1 .LBB985_3
; %bb.1:
	s_lshl_b64 s[2:3], s[30:31], 2
	s_delay_alu instid0(SALU_CYCLE_1) | instskip(SKIP_4) | instid1(SALU_CYCLE_1)
	s_add_u32 s2, s4, s2
	s_addc_u32 s3, s5, s3
	s_load_b64 s[2:3], s[2:3], 0x0
	s_waitcnt lgkmcnt(0)
	s_sub_i32 s2, s3, s2
	s_cmp_eq_u32 s2, 1
	s_cselect_b32 s2, -1, 0
	s_delay_alu instid0(SALU_CYCLE_1)
	s_and_not1_b32 vcc_lo, exec_lo, s2
	s_cbranch_vccz .LBB985_4
.LBB985_2:
	s_endpgm
.LBB985_3:
.LBB985_4:
	s_load_b64 s[2:3], s[0:1], 0x28
	s_lshl_b64 s[6:7], s[30:31], 2
	s_waitcnt lgkmcnt(0)
	s_add_u32 s2, s2, s6
	s_addc_u32 s3, s3, s7
	s_lshl_b32 s12, s14, 8
	s_load_b32 s24, s[2:3], 0x0
	s_waitcnt lgkmcnt(0)
	s_cmp_ge_i32 s12, s24
	s_cbranch_scc1 .LBB985_2
; %bb.5:
	s_clause 0x1
	s_load_b128 s[20:23], s[0:1], 0x8
	s_load_b64 s[2:3], s[0:1], 0x20
	s_and_not1_b32 vcc_lo, exec_lo, s8
	s_cbranch_vccnz .LBB985_7
; %bb.6:
	s_add_u32 s4, s4, s6
	s_addc_u32 s5, s5, s7
	s_load_b32 s5, s[4:5], 0x0
	s_branch .LBB985_8
.LBB985_7:
	s_mov_b32 s5, s30
.LBB985_8:
	s_load_b128 s[16:19], s[0:1], 0x48
	v_and_b32_e32 v70, 15, v0
	v_lshrrev_b32_e32 v69, 5, v0
	v_and_b32_e32 v71, 31, v0
	v_and_b32_e32 v67, 1, v0
	v_bfe_u32 v66, v0, 4, 1
	v_lshlrev_b32_e32 v1, 3, v70
	s_lshl_b32 s31, s15, 4
	s_mov_b32 s4, exec_lo
	s_delay_alu instid0(VALU_DEP_1)
	v_lshlrev_b32_e32 v65, 1, v1
	v_cmpx_gt_u32_e32 0x100, v0
	s_cbranch_execz .LBB985_10
; %bb.9:
	v_lshl_or_b32 v5, v69, 1, v66
	s_load_b64 s[6:7], s[0:1], 0x0
	s_waitcnt lgkmcnt(0)
	s_mul_hi_i32 s9, s5, s16
	s_mul_i32 s8, s5, s16
	v_lshlrev_b32_e32 v6, 10, v70
	v_or_b32_e32 v1, s31, v5
	s_lshl_b64 s[8:9], s[8:9], 1
	v_lshlrev_b32_e32 v5, 6, v5
	v_lshlrev_b32_e32 v7, 10, v67
	v_and_b32_e32 v6, 0x3800, v6
	v_lshlrev_b32_e32 v1, 7, v1
	s_delay_alu instid0(VALU_DEP_2) | instskip(NEXT) | instid1(VALU_DEP_2)
	v_or3_b32 v5, v6, v7, v5
	v_ashrrev_i32_e32 v2, 31, v1
	s_delay_alu instid0(VALU_DEP_1) | instskip(SKIP_2) | instid1(VALU_DEP_1)
	v_lshlrev_b64 v[1:2], 1, v[1:2]
	s_add_u32 s5, s6, s8
	s_addc_u32 s6, s7, s9
	v_add_co_u32 v1, vcc_lo, s5, v1
	s_delay_alu instid0(VALU_DEP_2) | instskip(NEXT) | instid1(VALU_DEP_2)
	v_add_co_ci_u32_e32 v2, vcc_lo, s6, v2, vcc_lo
	v_add_co_u32 v1, vcc_lo, v1, v65
	s_delay_alu instid0(VALU_DEP_2)
	v_add_co_ci_u32_e32 v2, vcc_lo, 0, v2, vcc_lo
	global_load_b128 v[1:4], v[1:2], off
	s_waitcnt vmcnt(0)
	ds_store_b128 v5, v[1:4]
.LBB985_10:
	s_or_b32 exec_lo, exec_lo, s4
	v_and_b32_e32 v1, 0xef, v0
	s_waitcnt lgkmcnt(0)
	s_add_i32 s5, s24, 15
	s_clause 0x1
	s_load_b32 s4, s[0:1], 0x38
	s_load_b32 s33, s[0:1], 0x98
	s_ashr_i32 s6, s5, 31
	v_add_nc_u32_e32 v1, s12, v1
	s_lshr_b32 s6, s6, 28
	s_load_b32 s19, s[0:1], 0x1c
	s_add_i32 s5, s5, s6
	s_waitcnt lgkmcnt(0)
	v_ashrrev_i32_e32 v2, 31, v1
	v_or_b32_e32 v3, 16, v1
	s_ashr_i32 s13, s5, 4
	v_cmp_gt_i32_e32 vcc_lo, s24, v1
	s_add_i32 s13, s13, -1
	v_lshrrev_b32_e32 v2, 28, v2
	s_barrier
	buffer_gl0_inv
	s_mul_i32 s15, s15, s18
	v_lshlrev_b32_e32 v41, 4, v70
	v_add_nc_u32_e32 v4, v1, v2
	s_mul_i32 s4, s30, s4
	s_delay_alu instid0(SALU_CYCLE_1) | instskip(NEXT) | instid1(VALU_DEP_1)
	s_ashr_i32 s5, s4, 31
	v_ashrrev_i32_e32 v4, 4, v4
	v_add_nc_u32_e32 v2, v3, v2
	s_lshl_b64 s[4:5], s[4:5], 2
	v_lshl_or_b32 v41, v69, 8, v41
	s_add_u32 s16, s2, s4
	v_cndmask_b32_e32 v1, s13, v4, vcc_lo
	v_ashrrev_i32_e32 v2, 4, v2
	v_cmp_gt_i32_e32 vcc_lo, s24, v3
	s_addc_u32 s25, s3, s5
	s_ashr_i32 s18, s15, 31
	s_add_u32 s26, s20, s15
	s_addc_u32 s27, s21, s18
	v_cndmask_b32_e32 v3, s13, v2, vcc_lo
	v_ashrrev_i32_e32 v2, 31, v1
	s_lshl_b32 s2, s14, 4
	s_delay_alu instid0(SALU_CYCLE_1) | instskip(NEXT) | instid1(VALU_DEP_2)
	s_ashr_i32 s3, s2, 31
	v_ashrrev_i32_e32 v4, 31, v3
	s_delay_alu instid0(VALU_DEP_2) | instskip(SKIP_1) | instid1(SALU_CYCLE_1)
	v_lshlrev_b64 v[1:2], 2, v[1:2]
	s_lshl_b64 s[2:3], s[2:3], 2
	s_add_u32 s2, s16, s2
	s_delay_alu instid0(VALU_DEP_2) | instskip(SKIP_1) | instid1(VALU_DEP_2)
	v_lshlrev_b64 v[3:4], 2, v[3:4]
	s_addc_u32 s3, s25, s3
	v_add_co_u32 v1, vcc_lo, s16, v1
	v_add_co_ci_u32_e32 v2, vcc_lo, s25, v2, vcc_lo
	s_delay_alu instid0(VALU_DEP_3) | instskip(NEXT) | instid1(VALU_DEP_4)
	v_add_co_u32 v3, vcc_lo, s16, v3
	v_add_co_ci_u32_e32 v4, vcc_lo, s25, v4, vcc_lo
	s_clause 0x1
	global_load_b32 v5, v[1:2], off
	global_load_b32 v3, v[3:4], off
	s_or_b32 s4, s12, 32
	v_lshlrev_b32_e32 v1, 4, v0
	s_ashr_i32 s5, s4, 4
	s_cmp_lt_i32 s4, s24
	s_cselect_b32 s4, s5, s13
	s_delay_alu instid0(VALU_DEP_1) | instskip(SKIP_1) | instid1(SALU_CYCLE_1)
	v_and_b32_e32 v1, 0xf0, v1
	s_ashr_i32 s5, s4, 31
	s_lshl_b64 s[4:5], s[4:5], 2
	s_delay_alu instid0(SALU_CYCLE_1)
	s_add_u32 s4, s16, s4
	s_addc_u32 s5, s25, s5
	s_or_b32 s6, s12, 64
	v_add_co_u32 v1, s26, s26, v1
	s_ashr_i32 s7, s6, 4
	s_cmp_lt_i32 s6, s24
	v_add_co_ci_u32_e64 v2, null, s27, 0, s26
	s_cselect_b32 s6, s7, s13
	s_delay_alu instid0(SALU_CYCLE_1) | instskip(NEXT) | instid1(SALU_CYCLE_1)
	s_ashr_i32 s7, s6, 31
	s_lshl_b64 s[6:7], s[6:7], 2
	s_delay_alu instid0(SALU_CYCLE_1) | instskip(SKIP_2) | instid1(SALU_CYCLE_1)
	s_add_u32 s6, s16, s6
	s_addc_u32 s7, s25, s7
	s_or_b32 s8, s12, 0x60
	s_ashr_i32 s9, s8, 4
	s_cmp_lt_i32 s8, s24
	s_cselect_b32 s8, s9, s13
	s_delay_alu instid0(SALU_CYCLE_1) | instskip(NEXT) | instid1(SALU_CYCLE_1)
	s_ashr_i32 s9, s8, 31
	s_lshl_b64 s[8:9], s[8:9], 2
	s_delay_alu instid0(SALU_CYCLE_1) | instskip(SKIP_2) | instid1(SALU_CYCLE_1)
	s_add_u32 s8, s16, s8
	s_addc_u32 s9, s25, s9
	s_or_b32 s10, s12, 0x80
	s_ashr_i32 s11, s10, 4
	s_cmp_lt_i32 s10, s24
	;; [unrolled: 10-line block ×3, first 2 shown]
	s_cselect_b32 s20, s21, s13
	s_delay_alu instid0(SALU_CYCLE_1) | instskip(NEXT) | instid1(SALU_CYCLE_1)
	s_ashr_i32 s21, s20, 31
	s_lshl_b64 s[20:21], s[20:21], 2
	s_delay_alu instid0(SALU_CYCLE_1)
	s_add_u32 s20, s16, s20
	s_addc_u32 s21, s25, s21
	s_clause 0x5
	s_load_b32 s26, s[2:3], 0x0
	s_load_b32 s27, s[4:5], 0x0
	s_load_b32 s28, s[6:7], 0x0
	s_load_b32 s29, s[8:9], 0x0
	s_load_b32 s34, s[10:11], 0x0
	s_load_b32 s20, s[20:21], 0x0
	s_or_b32 s2, s12, 0xc0
	s_mov_b32 s4, 0
	s_ashr_i32 s3, s2, 4
	s_cmp_lt_i32 s2, s24
	s_mov_b32 s11, s4
	s_cselect_b32 s2, s3, s13
	s_mov_b32 s5, s4
	s_ashr_i32 s3, s2, 31
	s_mov_b32 s6, s4
	s_lshl_b64 s[2:3], s[2:3], 2
	s_mov_b32 s7, s4
	s_add_u32 s2, s16, s2
	s_mov_b32 s8, s4
	s_mov_b32 s9, s4
	;; [unrolled: 1-line block ×3, first 2 shown]
	s_addc_u32 s3, s25, s3
	s_or_b32 s21, s12, 0xe0
	v_dual_mov_b32 v103, s11 :: v_dual_mov_b32 v96, s4
	v_dual_mov_b32 v101, s9 :: v_dual_lshlrev_b32 v68, 6, v70
	v_mov_b32_e32 v102, s10
	v_dual_mov_b32 v100, s8 :: v_dual_mov_b32 v99, s7
	v_dual_mov_b32 v98, s6 :: v_dual_mov_b32 v97, s5
	s_ashr_i32 s4, s21, 4
	s_cmp_lt_i32 s21, s24
	s_cselect_b32 s4, s4, s13
	s_delay_alu instid0(SALU_CYCLE_1) | instskip(NEXT) | instid1(SALU_CYCLE_1)
	s_ashr_i32 s5, s4, 31
	s_lshl_b64 s[4:5], s[4:5], 2
	s_waitcnt vmcnt(1)
	v_mad_i64_i32 v[33:34], null, v5, s17, v[1:2]
	s_waitcnt vmcnt(0)
	v_mad_i64_i32 v[35:36], null, v3, s17, v[1:2]
	s_clause 0xf
	global_load_b128 v[1:4], v[33:34], off
	global_load_b128 v[5:8], v[33:34], off offset:256
	global_load_b128 v[9:12], v[35:36], off
	global_load_b128 v[13:16], v[35:36], off offset:256
	global_load_b128 v[17:20], v[33:34], off offset:512
	;; [unrolled: 1-line block ×13, first 2 shown]
	ds_load_b128 v[33:36], v68
	ds_load_b128 v[37:40], v68 offset:1024
	ds_load_b128 v[104:107], v68 offset:2048
	;; [unrolled: 1-line block ×3, first 2 shown]
	s_load_b32 s6, s[2:3], 0x0
	s_add_u32 s2, s16, s4
	s_addc_u32 s3, s25, s5
	ds_load_b128 v[112:115], v68 offset:4096
	ds_load_b128 v[116:119], v68 offset:5120
	s_load_b32 s2, s[2:3], 0x0
	s_add_u32 s4, s22, s15
	s_addc_u32 s5, s23, s18
	v_add_co_u32 v128, s4, s4, v41
	s_delay_alu instid0(VALU_DEP_1) | instskip(SKIP_1) | instid1(VALU_DEP_1)
	v_add_co_ci_u32_e64 v129, null, s5, 0, s4
	s_waitcnt lgkmcnt(0)
	v_mad_i64_i32 v[41:42], null, s26, s17, v[128:129]
	v_mad_i64_i32 v[130:131], null, s28, s17, v[128:129]
	v_mad_i64_i32 v[132:133], null, s29, s17, v[128:129]
	v_mad_i64_i32 v[134:135], null, s34, s17, v[128:129]
	v_mad_i64_i32 v[45:46], null, s27, s17, v[128:129]
	v_mad_i64_i32 v[136:137], null, s20, s17, v[128:129]
	v_mad_i64_i32 v[138:139], null, s6, s17, v[128:129]
	s_clause 0x3
	global_load_b128 v[49:52], v[41:42], off
	global_load_b128 v[53:56], v[41:42], off offset:16
	global_load_b128 v[41:44], v[45:46], off
	global_load_b128 v[45:48], v[45:46], off offset:16
	s_waitcnt vmcnt(18)
	v_wmma_f32_16x16x16_f16 v[120:127], v[1:8], v[33:40], v[96:103]
	s_waitcnt vmcnt(16)
	v_wmma_f32_16x16x16_f16 v[96:103], v[9:16], v[33:40], v[96:103]
	s_clause 0x3
	global_load_b128 v[33:36], v[130:131], off
	global_load_b128 v[37:40], v[130:131], off offset:16
	global_load_b128 v[1:4], v[132:133], off
	global_load_b128 v[5:8], v[132:133], off offset:16
	s_waitcnt vmcnt(18)
	v_wmma_f32_16x16x16_f16 v[120:127], v[17:24], v[104:111], v[120:127]
	s_clause 0x3
	global_load_b128 v[9:12], v[134:135], off
	global_load_b128 v[13:16], v[134:135], off offset:16
	global_load_b128 v[17:20], v[136:137], off
	global_load_b128 v[21:24], v[136:137], off offset:16
	s_waitcnt vmcnt(20)
	v_wmma_f32_16x16x16_f16 v[96:103], v[25:32], v[104:111], v[96:103]
	v_mad_i64_i32 v[104:105], null, s2, s17, v[128:129]
	s_waitcnt vmcnt(18)
	v_wmma_f32_16x16x16_f16 v[120:127], v[57:64], v[112:119], v[120:127]
	s_clause 0x1
	global_load_b128 v[25:28], v[138:139], off
	global_load_b128 v[29:32], v[138:139], off offset:16
	s_waitcnt vmcnt(18)
	v_wmma_f32_16x16x16_f16 v[96:103], v[72:79], v[112:119], v[96:103]
	s_clause 0x1
	global_load_b128 v[57:60], v[104:105], off
	global_load_b128 v[61:64], v[104:105], off offset:16
	ds_load_b128 v[72:75], v68 offset:6144
	ds_load_b128 v[76:79], v68 offset:7168
	v_and_b32_e32 v104, 0xe0, v0
	v_mbcnt_lo_u32_b32 v105, -1, 0
	s_waitcnt vmcnt(0) lgkmcnt(0)
	s_barrier
	buffer_gl0_inv
	v_add_nc_u32_e32 v104, s12, v104
	v_xor_b32_e32 v106, 16, v105
	s_delay_alu instid0(VALU_DEP_2) | instskip(NEXT) | instid1(VALU_DEP_2)
	v_or_b32_e32 v104, v104, v66
	v_cmp_gt_i32_e32 vcc_lo, 32, v106
	s_delay_alu instid0(VALU_DEP_2)
	v_or_b32_e32 v107, 4, v104
	v_or_b32_e32 v108, 6, v104
	v_cmp_gt_i32_e64 s2, s24, v104
	v_or_b32_e32 v109, 8, v104
	v_wmma_f32_16x16x16_f16 v[120:127], v[80:87], v[72:79], v[120:127]
	v_cndmask_b32_e32 v105, v105, v106, vcc_lo
	v_or_b32_e32 v106, 2, v104
	v_wmma_f32_16x16x16_f16 v[96:103], v[88:95], v[72:79], v[96:103]
	v_or_b32_e32 v80, 10, v104
	v_dual_mul_f32 v90, s19, v120 :: v_dual_mul_f32 v89, s19, v121
	s_delay_alu instid0(VALU_DEP_4) | instskip(NEXT) | instid1(VALU_DEP_4)
	v_cmp_gt_i32_e32 vcc_lo, s24, v106
	v_dual_mul_f32 v94, s19, v100 :: v_dual_mul_f32 v77, s19, v125
	v_dual_mul_f32 v88, s19, v122 :: v_dual_mul_f32 v79, s19, v123
	v_mul_f32_e32 v92, s19, v102
	v_cndmask_b32_e64 v90, 0xff7fffff, v90, s2
	v_cndmask_b32_e32 v89, 0xff7fffff, v89, vcc_lo
	v_cmp_gt_i32_e64 s3, s24, v107
	v_cmp_gt_i32_e64 s4, s24, v108
	v_or_b32_e32 v81, 12, v104
	v_or_b32_e32 v82, 14, v104
	v_mul_f32_e32 v78, s19, v124
	v_cndmask_b32_e64 v88, 0xff7fffff, v88, s3
	v_cndmask_b32_e64 v79, 0xff7fffff, v79, s4
	v_max3_f32 v89, v90, 0xff7fffff, v89
	v_cmp_gt_i32_e64 s5, s24, v109
	v_cmp_gt_i32_e64 s6, s24, v80
	v_or_b32_e32 v83, 16, v104
	v_or_b32_e32 v84, 18, v104
	v_dual_mul_f32 v75, s19, v127 :: v_dual_mul_f32 v76, s19, v126
	v_cndmask_b32_e64 v78, 0xff7fffff, v78, s5
	v_cndmask_b32_e64 v77, 0xff7fffff, v77, s6
	v_max3_f32 v79, v89, v88, v79
	v_cmp_gt_i32_e64 s7, s24, v81
	v_cmp_gt_i32_e64 s8, s24, v82
	v_or_b32_e32 v85, 20, v104
	v_or_b32_e32 v86, 22, v104
	;; [unrolled: 1-line block ×6, first 2 shown]
	v_dual_mul_f32 v95, s19, v99 :: v_dual_mul_f32 v104, s19, v97
	v_mul_f32_e32 v107, s19, v96
	v_cndmask_b32_e64 v76, 0xff7fffff, v76, s7
	v_cndmask_b32_e64 v75, 0xff7fffff, v75, s8
	v_max3_f32 v77, v79, v78, v77
	v_cmp_gt_i32_e64 s9, s24, v83
	v_cmp_gt_i32_e64 s10, s24, v84
	v_dual_mul_f32 v91, s19, v103 :: v_dual_mul_f32 v106, s19, v98
	s_delay_alu instid0(VALU_DEP_4) | instskip(NEXT) | instid1(VALU_DEP_4)
	v_max3_f32 v75, v77, v76, v75
	v_cndmask_b32_e64 v78, 0xff7fffff, v107, s9
	s_delay_alu instid0(VALU_DEP_4)
	v_cndmask_b32_e64 v79, 0xff7fffff, v104, s10
	v_cmp_gt_i32_e64 s11, s24, v85
	v_cmp_gt_i32_e64 s12, s24, v86
	v_mul_f32_e32 v93, s19, v101
	v_cmp_gt_i32_e64 s13, s24, v87
	v_max3_f32 v75, v75, v78, v79
	v_cndmask_b32_e64 v76, 0xff7fffff, v106, s11
	v_cndmask_b32_e64 v77, 0xff7fffff, v95, s12
	v_cmp_gt_i32_e64 s15, s24, v72
	v_cndmask_b32_e64 v78, 0xff7fffff, v94, s13
	v_cmp_gt_i32_e64 s16, s24, v73
	v_cmp_gt_i32_e64 s17, s24, v74
	v_max3_f32 v75, v75, v76, v77
	v_cndmask_b32_e64 v72, 0xff7fffff, v93, s15
	s_delay_alu instid0(VALU_DEP_4) | instskip(NEXT) | instid1(VALU_DEP_4)
	v_cndmask_b32_e64 v73, 0xff7fffff, v92, s16
	v_cndmask_b32_e64 v74, 0xff7fffff, v91, s17
	s_delay_alu instid0(VALU_DEP_3) | instskip(SKIP_1) | instid1(VALU_DEP_2)
	v_max3_f32 v72, v75, v78, v72
	v_lshlrev_b32_e32 v75, 2, v105
	v_max3_f32 v72, v72, v73, v74
	ds_bpermute_b32 v73, v75, v72
	s_waitcnt lgkmcnt(0)
	v_max_f32_e32 v73, v73, v73
	s_delay_alu instid0(VALU_DEP_1) | instskip(NEXT) | instid1(VALU_DEP_1)
	v_max_f32_e32 v72, v72, v73
	v_fma_f32 v76, s19, v122, -v72
	v_fma_f32 v73, s19, v120, -v72
	;; [unrolled: 1-line block ×5, first 2 shown]
	v_mul_f32_e32 v76, 0x3fb8aa3b, v76
	v_fma_f32 v82, s19, v126, -v72
	s_delay_alu instid0(VALU_DEP_4) | instskip(SKIP_1) | instid1(VALU_DEP_4)
	v_dual_mul_f32 v79, 0x3fb8aa3b, v79 :: v_dual_mul_f32 v74, 0x3fb8aa3b, v74
	v_fma_f32 v86, s19, v99, -v72
	v_exp_f32_e32 v76, v76
	s_delay_alu instid0(VALU_DEP_3) | instskip(NEXT) | instid1(VALU_DEP_3)
	v_mul_f32_e32 v82, 0x3fb8aa3b, v82
	v_exp_f32_e32 v83, v79
	v_exp_f32_e32 v74, v74
	v_mul_f32_e32 v88, 0x3fb8aa3b, v86
	v_fma_f32 v91, s19, v103, -v72
	v_exp_f32_e32 v84, v82
	v_fma_f32 v89, s19, v101, -v72
	s_delay_alu instid0(VALU_DEP_3)
	v_exp_f32_e32 v90, v88
	v_cndmask_b32_e64 v80, 0, v76, s3
	v_mul_f32_e32 v73, 0x3fb8aa3b, v73
	v_fma_f32 v76, s19, v127, -v72
	v_mul_f32_e32 v77, 0x3fb8aa3b, v77
	v_cndmask_b32_e64 v82, 0, v83, s5
	v_fma_f32 v83, s19, v97, -v72
	v_exp_f32_e32 v73, v73
	v_mul_f32_e32 v76, 0x3fb8aa3b, v76
	v_exp_f32_e32 v81, v77
	v_cndmask_b32_e64 v84, 0, v84, s7
	v_mul_f32_e32 v83, 0x3fb8aa3b, v83
	v_mul_f32_e32 v89, 0x3fb8aa3b, v89
	v_exp_f32_e32 v76, v76
	s_delay_alu instid0(VALU_DEP_2) | instskip(SKIP_2) | instid1(TRANS32_DEP_3)
	v_exp_f32_e32 v87, v83
	v_cndmask_b32_e64 v78, 0, v73, s2
	v_fma_f32 v73, s19, v125, -v72
	v_cndmask_b32_e64 v79, 0, v81, s4
	v_cndmask_b32_e32 v77, 0, v74, vcc_lo
	v_fma_f32 v81, s19, v96, -v72
	s_delay_alu instid0(VALU_DEP_4) | instskip(NEXT) | instid1(TRANS32_DEP_2)
	v_dual_add_f32 v74, 0, v78 :: v_dual_mul_f32 v73, 0x3fb8aa3b, v73
	v_cndmask_b32_e64 v83, 0, v76, s8
	v_fma_f32 v76, s19, v100, -v72
	s_delay_alu instid0(VALU_DEP_4) | instskip(NEXT) | instid1(VALU_DEP_4)
	v_mul_f32_e32 v85, 0x3fb8aa3b, v81
	v_add_f32_e32 v74, v74, v77
	v_exp_f32_e32 v73, v73
	v_exp_f32_e32 v89, v89
	v_mul_f32_e32 v76, 0x3fb8aa3b, v76
	v_exp_f32_e32 v85, v85
	v_add_f32_e32 v74, v74, v80
	s_mov_b32 s2, exec_lo
	s_delay_alu instid0(VALU_DEP_2) | instskip(NEXT) | instid1(VALU_DEP_1)
	v_exp_f32_e32 v76, v76
	v_add_f32_e32 v74, v74, v79
	v_cndmask_b32_e64 v81, 0, v73, s6
	s_delay_alu instid0(TRANS32_DEP_3)
	v_cndmask_b32_e64 v89, 0, v89, s15
	s_waitcnt_depctr 0xfff
	v_cndmask_b32_e64 v86, 0, v85, s9
	v_cndmask_b32_e64 v85, 0, v87, s10
	v_fma_f32 v87, s19, v102, -v72
	v_add_f32_e32 v73, v74, v82
	v_fma_f32 v74, s19, v98, -v72
	s_delay_alu instid0(VALU_DEP_1) | instskip(NEXT) | instid1(VALU_DEP_1)
	v_mul_f32_e32 v74, 0x3fb8aa3b, v74
	v_exp_f32_e32 v74, v74
	s_waitcnt_depctr 0xfff
	v_cndmask_b32_e64 v88, 0, v74, s11
	v_dual_mul_f32 v74, 0x3fb8aa3b, v87 :: v_dual_add_f32 v73, v73, v81
	v_cndmask_b32_e64 v87, 0, v90, s12
	v_cndmask_b32_e64 v90, 0, v76, s13
	v_mul_f32_e32 v76, 0x3fb8aa3b, v91
	s_delay_alu instid0(VALU_DEP_4) | instskip(SKIP_1) | instid1(VALU_DEP_2)
	v_exp_f32_e32 v74, v74
	v_add_f32_e32 v73, v73, v84
	v_exp_f32_e32 v76, v76
	s_delay_alu instid0(VALU_DEP_1) | instskip(SKIP_4) | instid1(VALU_DEP_2)
	v_add_f32_e32 v73, v73, v83
	s_waitcnt_depctr 0xfff
	v_cndmask_b32_e64 v92, 0, v74, s16
	v_add_f32_e32 v73, v73, v86
	v_cndmask_b32_e64 v91, 0, v76, s17
	v_add_f32_e32 v73, v73, v85
	s_delay_alu instid0(VALU_DEP_1) | instskip(NEXT) | instid1(VALU_DEP_1)
	v_add_f32_e32 v73, v73, v88
	v_add_f32_e32 v73, v73, v87
	s_delay_alu instid0(VALU_DEP_1) | instskip(NEXT) | instid1(VALU_DEP_1)
	v_add_f32_e32 v73, v73, v90
	;; [unrolled: 3-line block ×3, first 2 shown]
	v_add_f32_e32 v73, v73, v91
	ds_bpermute_b32 v74, v75, v73
	v_cmpx_gt_u32_e32 16, v71
	s_cbranch_execz .LBB985_12
; %bb.11:
	v_mul_u32_u24_e32 v71, 0x44, v69
	s_waitcnt lgkmcnt(0)
	v_add_f32_e32 v73, v73, v74
	s_delay_alu instid0(VALU_DEP_2) | instskip(NEXT) | instid1(VALU_DEP_1)
	v_lshl_add_u32 v71, v70, 2, v71
	v_add_nc_u32_e32 v71, 0x4000, v71
	ds_store_2addr_b32 v71, v72, v73 offset1:136
.LBB985_12:
	s_or_b32 exec_lo, exec_lo, s2
	v_lshlrev_b32_e32 v70, 2, v70
	s_load_b32 s34, s[0:1], 0x94
	s_waitcnt lgkmcnt(0)
	s_barrier
	buffer_gl0_inv
	v_add_nc_u32_e32 v74, 0x4000, v70
	v_cmp_eq_u32_e32 vcc_lo, 1, v69
	v_cmp_eq_u32_e64 s2, 2, v69
	v_cmp_eq_u32_e64 s3, 3, v69
	;; [unrolled: 1-line block ×3, first 2 shown]
	ds_load_2addr_b32 v[70:71], v74 offset1:17
	ds_load_2addr_b32 v[72:73], v74 offset0:34 offset1:51
	ds_load_2addr_b32 v[93:94], v74 offset0:68 offset1:85
	;; [unrolled: 1-line block ×3, first 2 shown]
	v_cmp_eq_u32_e64 s5, 7, v69
	s_waitcnt lgkmcnt(3)
	v_max3_f32 v75, v70, 0xff7fffff, v71
	s_waitcnt lgkmcnt(2)
	s_delay_alu instid0(VALU_DEP_1) | instskip(SKIP_1) | instid1(VALU_DEP_1)
	v_max3_f32 v75, v75, v72, v73
	s_waitcnt lgkmcnt(1)
	v_max3_f32 v75, v75, v93, v94
	s_waitcnt lgkmcnt(0)
	s_delay_alu instid0(VALU_DEP_1) | instskip(NEXT) | instid1(VALU_DEP_1)
	v_max3_f32 v75, v75, v95, v96
	v_sub_f32_e32 v93, v93, v75
	ds_load_2addr_b32 v[97:98], v74 offset0:136 offset1:153
	v_sub_f32_e32 v70, v70, v75
	v_dual_sub_f32 v100, v73, v75 :: v_dual_mul_f32 v103, 0x3fb8aa3b, v93
	s_delay_alu instid0(VALU_DEP_2) | instskip(SKIP_3) | instid1(VALU_DEP_1)
	v_dual_sub_f32 v76, v71, v75 :: v_dual_mul_f32 v99, 0x3fb8aa3b, v70
	ds_load_2addr_b32 v[70:71], v74 offset0:170 offset1:187
	v_mul_f32_e32 v76, 0x3fb8aa3b, v76
	v_exp_f32_e32 v99, v99
	v_exp_f32_e32 v102, v76
	v_mul_f32_e32 v100, 0x3fb8aa3b, v100
	s_waitcnt lgkmcnt(1)
	s_waitcnt_depctr 0xfff
	v_fma_f32 v76, v99, v97, 0
	v_sub_f32_e32 v97, v94, v75
	v_sub_f32_e32 v72, v72, v75
	v_exp_f32_e32 v100, v100
	ds_load_2addr_b32 v[93:94], v74 offset0:238 offset1:255
	v_dual_fmac_f32 v76, v102, v98 :: v_dual_mul_f32 v101, 0x3fb8aa3b, v72
	ds_load_2addr_b32 v[72:73], v74 offset0:204 offset1:221
	v_dual_sub_f32 v74, v95, v75 :: v_dual_mul_f32 v95, 0x3fb8aa3b, v97
	v_exp_f32_e32 v97, v103
	v_exp_f32_e32 v101, v101
	s_waitcnt lgkmcnt(0)
	s_delay_alu instid0(VALU_DEP_1)
	v_mul_f32_e32 v74, 0x3fb8aa3b, v74
	v_exp_f32_e32 v95, v95
	s_barrier
	buffer_gl0_inv
	v_fmac_f32_e32 v76, v101, v70
	v_sub_f32_e32 v70, v96, v75
	v_exp_f32_e32 v96, v74
	s_delay_alu instid0(VALU_DEP_2) | instskip(NEXT) | instid1(VALU_DEP_2)
	v_fmac_f32_e32 v76, v100, v71
	v_mul_f32_e32 v70, 0x3fb8aa3b, v70
	s_delay_alu instid0(VALU_DEP_2) | instskip(NEXT) | instid1(VALU_DEP_2)
	v_dual_cndmask_b32 v71, v99, v102 :: v_dual_fmac_f32 v76, v97, v72
	v_exp_f32_e32 v98, v70
	s_delay_alu instid0(VALU_DEP_1) | instskip(SKIP_2) | instid1(VALU_DEP_1)
	v_fmac_f32_e32 v76, v95, v73
	s_waitcnt_depctr 0xfff
	v_fmac_f32_e32 v76, v96, v93
	v_fmac_f32_e32 v76, v98, v94
	s_delay_alu instid0(VALU_DEP_1) | instskip(NEXT) | instid1(VALU_DEP_1)
	v_add_f32_e32 v93, 0x358637bd, v76
	v_div_scale_f32 v94, null, v93, v93, 1.0
	v_div_scale_f32 v99, vcc_lo, 1.0, v93, 1.0
	s_delay_alu instid0(VALU_DEP_2) | instskip(SKIP_2) | instid1(VALU_DEP_1)
	v_rcp_f32_e32 v103, v94
	s_waitcnt_depctr 0xfff
	v_fma_f32 v70, -v94, v103, 1.0
	v_fmac_f32_e32 v103, v70, v103
	v_cndmask_b32_e64 v70, v71, v101, s2
	v_cmp_eq_u32_e64 s2, 4, v69
	v_lshlrev_b32_e32 v71, 2, v66
	s_delay_alu instid0(VALU_DEP_4) | instskip(NEXT) | instid1(VALU_DEP_4)
	v_mul_f32_e32 v101, v99, v103
	v_cndmask_b32_e64 v72, v70, v100, s3
	v_cmp_eq_u32_e64 s3, 6, v69
	v_lshl_or_b32 v70, v69, 11, v68
	v_or_b32_e32 v74, 1, v71
	v_fma_f32 v73, -v94, v101, v99
	v_cndmask_b32_e64 v72, v72, v97, s2
	v_cmp_eq_u32_e64 s2, 1, v71
	v_lshl_or_b32 v69, v66, 4, v70
	v_cmp_eq_u32_e64 s8, 1, v74
	v_fmac_f32_e32 v101, v73, v103
	v_cndmask_b32_e64 v95, v72, v95, s4
	v_or_b32_e32 v72, 2, v71
	v_or_b32_e32 v73, 3, v71
	v_cmp_eq_u32_e64 s11, 2, v74
	v_fma_f32 v94, -v94, v101, v99
	v_cndmask_b32_e64 v95, v95, v96, s3
	v_cmp_eq_u32_e64 s9, 1, v72
	v_cmp_eq_u32_e64 s10, 1, v73
	v_cmp_eq_u32_e64 s13, 2, v72
	v_div_fmas_f32 v94, v94, v103, v101
	v_cndmask_b32_e64 v95, v95, v98, s5
	v_cmp_eq_u32_e32 vcc_lo, 2, v71
	v_cmp_eq_u32_e64 s15, 2, v73
	v_cmp_eq_u32_e64 s17, 3, v73
	v_div_fixup_f32 v93, v94, v93, 1.0
	v_cmp_eq_u32_e64 s3, 3, v71
	v_cmp_eq_u32_e64 s12, 3, v74
	;; [unrolled: 1-line block ×4, first 2 shown]
	v_mul_f32_e32 v101, v95, v93
	v_cmp_eq_u32_e64 s4, 4, v71
	v_cmp_eq_u32_e64 s18, 4, v74
	;; [unrolled: 1-line block ×4, first 2 shown]
	v_fma_mixlo_f16 v93, v101, v78, 0
	v_fma_mixlo_f16 v94, v101, v80, 0
	;; [unrolled: 1-line block ×8, first 2 shown]
	v_fma_mixhi_f16 v93, v101, v77, 0
	v_fma_mixhi_f16 v94, v101, v79, 0
	;; [unrolled: 1-line block ×8, first 2 shown]
	ds_store_b128 v69, v[93:96]
	ds_store_b128 v69, v[97:100] offset:1024
	s_waitcnt lgkmcnt(0)
	s_barrier
	buffer_gl0_inv
	ds_load_b128 v[77:80], v70
	ds_load_b128 v[81:84], v70 offset:16
	ds_load_b128 v[85:88], v70 offset:1024
	;; [unrolled: 1-line block ×3, first 2 shown]
	v_cmp_eq_u32_e64 s5, 5, v71
	v_cmp_eq_u32_e64 s19, 5, v74
	;; [unrolled: 1-line block ×11, first 2 shown]
	s_waitcnt lgkmcnt(3)
	v_lshrrev_b32_e32 v93, 16, v77
	s_waitcnt lgkmcnt(2)
	v_lshrrev_b32_e32 v97, 16, v81
	;; [unrolled: 2-line block ×4, first 2 shown]
	v_lshrrev_b32_e32 v94, 16, v78
	v_cndmask_b32_e64 v109, v77, v93, s2
	v_cndmask_b32_e64 v110, v81, v97, s2
	v_cndmask_b32_e64 v111, v77, v93, s8
	v_cndmask_b32_e64 v112, v81, v97, s8
	v_cndmask_b32_e64 v113, v77, v93, s9
	v_cndmask_b32_e64 v114, v81, v97, s9
	v_cndmask_b32_e64 v77, v77, v93, s10
	v_cndmask_b32_e64 v81, v81, v97, s10
	v_lshrrev_b32_e32 v98, 16, v82
	v_cndmask_b32_e64 v93, v85, v101, s2
	v_cndmask_b32_e64 v97, v89, v105, s2
	v_cndmask_b32_e64 v115, v85, v101, s8
	v_cndmask_b32_e64 v117, v85, v101, s9
	v_cndmask_b32_e64 v85, v85, v101, s10
	v_cndmask_b32_e32 v101, v109, v78, vcc_lo
	v_cndmask_b32_e64 v109, v111, v78, s11
	v_cndmask_b32_e64 v111, v113, v78, s13
	v_cndmask_b32_e64 v77, v77, v78, s15
	v_cndmask_b32_e64 v78, v81, v82, s15
	v_lshrrev_b32_e32 v102, 16, v86
	v_lshrrev_b32_e32 v106, 16, v90
	v_cndmask_b32_e64 v116, v89, v105, s8
	v_cndmask_b32_e64 v118, v89, v105, s9
	;; [unrolled: 1-line block ×3, first 2 shown]
	v_cndmask_b32_e32 v105, v110, v82, vcc_lo
	v_cndmask_b32_e64 v110, v112, v82, s11
	v_cndmask_b32_e64 v112, v114, v82, s13
	v_cndmask_b32_e32 v81, v93, v86, vcc_lo
	v_cndmask_b32_e32 v82, v97, v90, vcc_lo
	v_cndmask_b32_e64 v93, v115, v86, s11
	v_cndmask_b32_e64 v77, v77, v94, s17
	;; [unrolled: 1-line block ×3, first 2 shown]
	v_lshrrev_b32_e32 v95, 16, v79
	v_lshrrev_b32_e32 v99, 16, v83
	v_cndmask_b32_e64 v97, v117, v86, s13
	v_cndmask_b32_e64 v85, v85, v86, s15
	;; [unrolled: 1-line block ×14, first 2 shown]
	v_lshrrev_b32_e32 v103, 16, v87
	v_cndmask_b32_e64 v89, v89, v79, s4
	v_cndmask_b32_e64 v94, v101, v83, s4
	;; [unrolled: 1-line block ×11, first 2 shown]
	v_lshrrev_b32_e32 v96, 16, v80
	v_lshrrev_b32_e32 v100, 16, v84
	v_cndmask_b32_e64 v83, v89, v95, s5
	v_cndmask_b32_e64 v89, v94, v99, s5
	;; [unrolled: 1-line block ×9, first 2 shown]
	v_lshrrev_b32_e32 v104, 16, v88
	v_cndmask_b32_e64 v79, v79, v103, s5
	v_cndmask_b32_e64 v83, v83, v80, s6
	;; [unrolled: 1-line block ×19, first 2 shown]
	v_perm_b32 v80, v78, v77, 0x5040100
	v_cndmask_b32_e64 v77, v116, v90, s11
	v_cndmask_b32_e64 v95, v79, v104, s7
	v_perm_b32 v79, v93, v89, 0x5040100
	v_perm_b32 v78, v94, v84, 0x5040100
	v_cndmask_b32_e64 v84, v97, v102, s16
	v_cndmask_b32_e64 v85, v85, v102, s17
	;; [unrolled: 1-line block ×5, first 2 shown]
	v_lshrrev_b32_e32 v107, 16, v91
	v_cndmask_b32_e64 v84, v84, v87, s20
	v_cndmask_b32_e64 v85, v85, v87, s21
	;; [unrolled: 1-line block ×11, first 2 shown]
	v_lshrrev_b32_e32 v108, 16, v92
	v_cndmask_b32_e64 v81, v81, v92, s6
	v_cndmask_b32_e64 v84, v84, v88, s25
	;; [unrolled: 1-line block ×12, first 2 shown]
	v_perm_b32 v77, v83, v82, 0x5040100
	v_perm_b32 v84, v85, v84, 0x5040100
	;; [unrolled: 1-line block ×5, first 2 shown]
	s_lshl_b32 s7, s33, 4
	s_mov_b32 s2, exec_lo
	ds_store_b128 v69, v[77:80]
	ds_store_b128 v69, v[81:84] offset:1024
	v_cmpx_gt_u32_e32 16, v0
	s_cbranch_execz .LBB985_14
; %bb.13:
	v_or_b32_e32 v77, s31, v0
	s_load_b128 s[8:11], s[0:1], 0x58
	s_delay_alu instid0(VALU_DEP_1) | instskip(NEXT) | instid1(VALU_DEP_1)
	v_mad_u64_u32 v[78:79], null, s7, s30, v[77:78]
	v_mad_u64_u32 v[79:80], null, v78, s34, s[14:15]
	s_delay_alu instid0(VALU_DEP_1) | instskip(NEXT) | instid1(VALU_DEP_1)
	v_ashrrev_i32_e32 v80, 31, v79
	v_lshlrev_b64 v[77:78], 2, v[79:80]
	s_waitcnt lgkmcnt(0)
	s_delay_alu instid0(VALU_DEP_1) | instskip(NEXT) | instid1(VALU_DEP_2)
	v_add_co_u32 v79, vcc_lo, s10, v77
	v_add_co_ci_u32_e32 v80, vcc_lo, s11, v78, vcc_lo
	v_add_co_u32 v77, vcc_lo, s8, v77
	v_add_co_ci_u32_e32 v78, vcc_lo, s9, v78, vcc_lo
	global_store_b32 v[79:80], v75, off
	global_store_b32 v[77:78], v76, off
.LBB985_14:
	s_or_b32 exec_lo, exec_lo, s2
	s_waitcnt lgkmcnt(0)
	s_waitcnt_vscnt null, 0x0
	s_barrier
	buffer_gl0_inv
	ds_load_b128 v[83:86], v68
	ds_load_b128 v[87:90], v68 offset:16
	ds_load_b128 v[95:98], v68 offset:2064
	;; [unrolled: 1-line block ×5, first 2 shown]
	v_cmp_eq_u32_e32 vcc_lo, 1, v71
	v_mov_b32_e32 v75, 0
	ds_load_b128 v[111:114], v68 offset:6160
	ds_load_b128 v[107:110], v68 offset:6144
	;; [unrolled: 1-line block ×4, first 2 shown]
	v_cmp_eq_u32_e64 s3, 1, v72
	v_cmp_eq_u32_e64 s2, 1, v74
	v_cmp_eq_u32_e64 s4, 2, v74
	v_mov_b32_e32 v76, v75
	v_mov_b32_e32 v77, v75
	v_mov_b32_e32 v78, v75
	v_mov_b32_e32 v79, v75
	v_mov_b32_e32 v80, v75
	v_mov_b32_e32 v81, v75
	v_mov_b32_e32 v82, v75
	v_cmp_eq_u32_e64 s5, 3, v74
	v_cmp_eq_u32_e64 s6, 7, v74
	s_waitcnt lgkmcnt(8)
	s_delay_alu instid0(VALU_DEP_3)
	v_wmma_f32_16x16x16_f16 v[75:82], v[49:56], v[83:90], v[75:82]
	ds_load_b128 v[53:56], v68 offset:10256
	ds_load_b128 v[49:52], v68 offset:10240
	s_waitcnt lgkmcnt(8)
	v_wmma_f32_16x16x16_f16 v[75:82], v[41:48], v[91:98], v[75:82]
	ds_load_b128 v[45:48], v68 offset:12304
	ds_load_b128 v[41:44], v68 offset:12288
	s_waitcnt lgkmcnt(8)
	;; [unrolled: 4-line block ×3, first 2 shown]
	s_barrier
	buffer_gl0_inv
	v_wmma_f32_16x16x16_f16 v[75:82], v[1:8], v[107:114], v[75:82]
	s_delay_alu instid0(VALU_DEP_1) | instskip(NEXT) | instid1(VALU_DEP_1)
	v_wmma_f32_16x16x16_f16 v[75:82], v[9:16], v[115:122], v[75:82]
	v_wmma_f32_16x16x16_f16 v[75:82], v[17:24], v[49:56], v[75:82]
	s_delay_alu instid0(VALU_DEP_1) | instskip(NEXT) | instid1(VALU_DEP_1)
	v_wmma_f32_16x16x16_f16 v[75:82], v[25:32], v[41:48], v[75:82]
	v_wmma_f32_16x16x16_f16 v[75:82], v[57:64], v[33:40], v[75:82]
	s_delay_alu instid0(VALU_DEP_1) | instskip(NEXT) | instid1(VALU_DEP_2)
	v_cvt_f16_f32_e32 v1, v75
	v_cvt_f16_f32_e32 v2, v76
	s_delay_alu instid0(VALU_DEP_3) | instskip(NEXT) | instid1(VALU_DEP_4)
	v_cvt_f16_f32_e32 v3, v77
	v_cvt_f16_f32_e32 v4, v78
	;; [unrolled: 1-line block ×6, first 2 shown]
	v_pack_b32_f16 v1, v1, v2
	v_pack_b32_f16 v2, v3, v4
	;; [unrolled: 1-line block ×3, first 2 shown]
	s_delay_alu instid0(VALU_DEP_4)
	v_pack_b32_f16 v4, v7, v8
	ds_store_b128 v69, v[1:4]
	s_waitcnt lgkmcnt(0)
	s_barrier
	buffer_gl0_inv
	ds_load_b128 v[1:4], v70
	ds_load_b128 v[5:8], v70 offset:16
	s_waitcnt lgkmcnt(1)
	v_lshrrev_b32_e32 v9, 16, v1
	s_waitcnt lgkmcnt(0)
	v_lshrrev_b32_e32 v13, 16, v5
	v_lshrrev_b32_e32 v10, 16, v2
	v_lshrrev_b32_e32 v14, 16, v6
	v_lshrrev_b32_e32 v11, 16, v3
	v_cndmask_b32_e32 v17, v1, v9, vcc_lo
	v_cndmask_b32_e32 v18, v5, v13, vcc_lo
	v_cndmask_b32_e64 v21, v1, v9, s3
	v_cmp_eq_u32_e32 vcc_lo, 1, v73
	v_cndmask_b32_e64 v22, v5, v13, s3
	v_cmp_eq_u32_e64 s3, 2, v71
	v_cndmask_b32_e64 v19, v1, v9, s2
	v_cndmask_b32_e64 v20, v5, v13, s2
	v_cndmask_b32_e32 v1, v1, v9, vcc_lo
	v_cmp_eq_u32_e64 s2, 2, v73
	v_cndmask_b32_e32 v5, v5, v13, vcc_lo
	v_cndmask_b32_e64 v9, v17, v2, s3
	v_cmp_eq_u32_e32 vcc_lo, 3, v71
	v_cndmask_b32_e64 v13, v18, v6, s3
	v_cmp_eq_u32_e64 s3, 2, v72
	v_cndmask_b32_e64 v17, v19, v2, s4
	v_cndmask_b32_e64 v18, v20, v6, s4
	v_cmp_eq_u32_e64 s4, 3, v72
	v_cndmask_b32_e64 v1, v1, v2, s2
	v_cndmask_b32_e64 v19, v21, v2, s3
	;; [unrolled: 1-line block ×4, first 2 shown]
	v_cndmask_b32_e32 v5, v9, v10, vcc_lo
	v_cndmask_b32_e32 v6, v13, v14, vcc_lo
	v_cmp_eq_u32_e32 vcc_lo, 3, v73
	v_cndmask_b32_e64 v9, v17, v10, s5
	v_cndmask_b32_e64 v13, v18, v14, s5
	;; [unrolled: 1-line block ×3, first 2 shown]
	v_cmp_eq_u32_e64 s3, 4, v71
	v_cndmask_b32_e32 v1, v1, v10, vcc_lo
	v_cndmask_b32_e32 v2, v2, v14, vcc_lo
	v_cmp_eq_u32_e32 vcc_lo, 4, v74
	v_lshrrev_b32_e32 v15, 16, v7
	v_lshrrev_b32_e32 v16, 16, v8
	v_cndmask_b32_e64 v17, v19, v10, s4
	v_cmp_eq_u32_e64 s2, 4, v73
	v_cndmask_b32_e64 v5, v5, v3, s3
	v_cndmask_b32_e64 v6, v6, v7, s3
	v_cndmask_b32_e32 v9, v9, v3, vcc_lo
	v_cmp_eq_u32_e64 s3, 5, v74
	v_cndmask_b32_e32 v10, v13, v7, vcc_lo
	v_cmp_eq_u32_e32 vcc_lo, 4, v72
	v_cmp_eq_u32_e64 s4, 5, v71
	v_cndmask_b32_e64 v2, v2, v7, s2
	v_cndmask_b32_e64 v9, v9, v11, s3
	;; [unrolled: 1-line block ×3, first 2 shown]
	v_cndmask_b32_e32 v13, v17, v3, vcc_lo
	v_cmp_eq_u32_e64 s3, 5, v72
	v_cndmask_b32_e32 v14, v18, v7, vcc_lo
	v_cndmask_b32_e64 v1, v1, v3, s2
	v_cmp_eq_u32_e32 vcc_lo, 5, v73
	v_lshrrev_b32_e32 v12, 16, v4
	v_cndmask_b32_e64 v13, v13, v11, s3
	v_cndmask_b32_e64 v3, v14, v15, s3
	v_cmp_eq_u32_e64 s3, 6, v73
	v_cndmask_b32_e32 v1, v1, v11, vcc_lo
	v_cndmask_b32_e64 v5, v5, v11, s4
	v_cmp_eq_u32_e64 s5, 6, v71
	v_cndmask_b32_e64 v6, v6, v15, s4
	v_cmp_eq_u32_e64 s4, 6, v74
	v_cmp_eq_u32_e64 s2, 6, v72
	v_cndmask_b32_e64 v1, v1, v4, s3
	v_cndmask_b32_e32 v2, v2, v15, vcc_lo
	v_cmp_eq_u32_e32 vcc_lo, 7, v73
	v_cndmask_b32_e64 v5, v5, v4, s5
	v_cndmask_b32_e64 v9, v9, v4, s4
	;; [unrolled: 1-line block ×3, first 2 shown]
	v_cmp_eq_u32_e64 s5, 7, v71
	v_cndmask_b32_e32 v1, v1, v12, vcc_lo
	v_cndmask_b32_e64 v7, v13, v4, s2
	v_cndmask_b32_e64 v3, v3, v8, s2
	;; [unrolled: 1-line block ×3, first 2 shown]
	v_cmp_eq_u32_e64 s2, 7, v72
	v_cndmask_b32_e64 v4, v10, v8, s4
	v_cndmask_b32_e64 v5, v5, v12, s5
	;; [unrolled: 1-line block ×3, first 2 shown]
	v_cndmask_b32_e32 v2, v2, v16, vcc_lo
	v_cndmask_b32_e64 v7, v7, v12, s2
	v_cndmask_b32_e64 v3, v3, v16, s2
	;; [unrolled: 1-line block ×4, first 2 shown]
	v_perm_b32 v4, v2, v1, 0x5040100
	s_mov_b32 s2, exec_lo
	v_perm_b32 v3, v3, v7, 0x5040100
	v_perm_b32 v2, v8, v9, 0x5040100
	;; [unrolled: 1-line block ×3, first 2 shown]
	ds_store_b128 v69, v[1:4]
	s_waitcnt lgkmcnt(0)
	s_barrier
	buffer_gl0_inv
	v_cmpx_gt_u32_e32 32, v0
	s_cbranch_execz .LBB985_2
; %bb.15:
	s_load_b64 s[0:1], s[0:1], 0x68
	v_lshlrev_b32_e32 v0, 10, v0
	s_lshl_b32 s4, s34, 7
	v_or_b32_e32 v23, s31, v66
	s_mul_i32 s2, s4, s30
	v_lshlrev_b32_e32 v1, 4, v67
	v_lshlrev_b32_e32 v2, 6, v66
	s_mul_i32 s2, s2, s7
	v_and_b32_e32 v0, 0x3800, v0
	v_mul_lo_u32 v8, v23, s4
	s_ashr_i32 s3, s2, 31
	v_or_b32_e32 v3, 2, v23
	s_lshl_b64 s[2:3], s[2:3], 1
	v_or3_b32 v27, v0, v1, v2
	v_or_b32_e32 v11, 4, v23
	v_or_b32_e32 v18, 6, v23
	v_mul_lo_u32 v10, v3, s4
	v_ashrrev_i32_e32 v9, 31, v8
	ds_load_b128 v[0:3], v27
	ds_load_b128 v[4:7], v27 offset:128
	v_mul_lo_u32 v12, v11, s4
	s_waitcnt lgkmcnt(0)
	s_add_u32 s2, s0, s2
	s_addc_u32 s3, s1, s3
	s_lshl_b32 s0, s14, 7
	v_lshlrev_b64 v[8:9], 1, v[8:9]
	s_ashr_i32 s1, s0, 31
	v_ashrrev_i32_e32 v11, 31, v10
	s_lshl_b64 s[0:1], s[0:1], 1
	v_ashrrev_i32_e32 v13, 31, v12
	s_add_u32 s0, s2, s0
	s_addc_u32 s1, s3, s1
	v_add_co_u32 v30, s0, s0, v65
	s_delay_alu instid0(VALU_DEP_1) | instskip(SKIP_1) | instid1(VALU_DEP_3)
	v_add_co_ci_u32_e64 v31, null, s1, 0, s0
	v_lshlrev_b64 v[16:17], 1, v[10:11]
	v_add_co_u32 v14, vcc_lo, v30, v8
	s_delay_alu instid0(VALU_DEP_3)
	v_add_co_ci_u32_e32 v15, vcc_lo, v31, v9, vcc_lo
	ds_load_b128 v[8:11], v27 offset:256
	v_mul_lo_u32 v18, v18, s4
	v_or_b32_e32 v19, 8, v23
	v_add_co_u32 v16, vcc_lo, v30, v16
	global_store_b128 v[14:15], v[0:3], off
	v_lshlrev_b64 v[0:1], 1, v[12:13]
	v_add_co_ci_u32_e32 v17, vcc_lo, v31, v17, vcc_lo
	v_mul_lo_u32 v12, v19, s4
	v_ashrrev_i32_e32 v19, 31, v18
	v_or_b32_e32 v14, 10, v23
	global_store_b128 v[16:17], v[4:7], off
	v_add_co_u32 v4, vcc_lo, v30, v0
	v_add_co_ci_u32_e32 v5, vcc_lo, v31, v1, vcc_lo
	ds_load_b128 v[0:3], v27 offset:384
	v_ashrrev_i32_e32 v13, 31, v12
	v_lshlrev_b64 v[6:7], 1, v[18:19]
	v_mul_lo_u32 v14, v14, s4
	s_waitcnt lgkmcnt(1)
	global_store_b128 v[4:5], v[8:11], off
	v_or_b32_e32 v8, 12, v23
	v_lshlrev_b64 v[4:5], 1, v[12:13]
	v_add_co_u32 v20, vcc_lo, v30, v6
	v_or_b32_e32 v6, 14, v23
	v_ashrrev_i32_e32 v15, 31, v14
	v_mul_lo_u32 v22, v8, s4
	v_add_co_ci_u32_e32 v21, vcc_lo, v31, v7, vcc_lo
	v_add_co_u32 v24, vcc_lo, v30, v4
	v_mul_lo_u32 v26, v6, s4
	v_add_co_ci_u32_e32 v25, vcc_lo, v31, v5, vcc_lo
	v_lshlrev_b64 v[28:29], 1, v[14:15]
	ds_load_b128 v[4:7], v27 offset:512
	ds_load_b128 v[8:11], v27 offset:640
	;; [unrolled: 1-line block ×4, first 2 shown]
	v_ashrrev_i32_e32 v23, 31, v22
	v_ashrrev_i32_e32 v27, 31, v26
	v_add_co_u32 v28, vcc_lo, v30, v28
	s_delay_alu instid0(VALU_DEP_3) | instskip(SKIP_1) | instid1(VALU_DEP_4)
	v_lshlrev_b64 v[22:23], 1, v[22:23]
	v_add_co_ci_u32_e32 v29, vcc_lo, v31, v29, vcc_lo
	v_lshlrev_b64 v[26:27], 1, v[26:27]
	s_delay_alu instid0(VALU_DEP_3) | instskip(NEXT) | instid1(VALU_DEP_4)
	v_add_co_u32 v22, vcc_lo, v30, v22
	v_add_co_ci_u32_e32 v23, vcc_lo, v31, v23, vcc_lo
	s_delay_alu instid0(VALU_DEP_3) | instskip(NEXT) | instid1(VALU_DEP_4)
	v_add_co_u32 v26, vcc_lo, v30, v26
	v_add_co_ci_u32_e32 v27, vcc_lo, v31, v27, vcc_lo
	s_waitcnt lgkmcnt(4)
	global_store_b128 v[20:21], v[0:3], off
	s_waitcnt lgkmcnt(3)
	global_store_b128 v[24:25], v[4:7], off
	;; [unrolled: 2-line block ×5, first 2 shown]
	s_nop 0
	s_sendmsg sendmsg(MSG_DEALLOC_VGPRS)
	s_endpgm
	.section	.rodata,"a",@progbits
	.p2align	6, 0x0
	.amdhsa_kernel _Z39paged_attention_ll4mi_QKV_mfma16_kernelIDF16_hLN4vllm18Fp8KVCacheDataTypeE1EDF16_Li16ELi128ELi256ELb1ELi16EL8MFMAType1EEvPKT_PKT0_S8_ifPKiSA_SA_iPKfiiiPfSD_PS3_PT2_iSC_SC_
		.amdhsa_group_segment_fixed_size 17472
		.amdhsa_private_segment_fixed_size 0
		.amdhsa_kernarg_size 400
		.amdhsa_user_sgpr_count 13
		.amdhsa_user_sgpr_dispatch_ptr 0
		.amdhsa_user_sgpr_queue_ptr 0
		.amdhsa_user_sgpr_kernarg_segment_ptr 1
		.amdhsa_user_sgpr_dispatch_id 0
		.amdhsa_user_sgpr_private_segment_size 0
		.amdhsa_wavefront_size32 1
		.amdhsa_uses_dynamic_stack 0
		.amdhsa_enable_private_segment 0
		.amdhsa_system_sgpr_workgroup_id_x 1
		.amdhsa_system_sgpr_workgroup_id_y 1
		.amdhsa_system_sgpr_workgroup_id_z 1
		.amdhsa_system_sgpr_workgroup_info 0
		.amdhsa_system_vgpr_workitem_id 0
		.amdhsa_next_free_vgpr 140
		.amdhsa_next_free_sgpr 35
		.amdhsa_reserve_vcc 1
		.amdhsa_float_round_mode_32 0
		.amdhsa_float_round_mode_16_64 0
		.amdhsa_float_denorm_mode_32 3
		.amdhsa_float_denorm_mode_16_64 3
		.amdhsa_dx10_clamp 1
		.amdhsa_ieee_mode 1
		.amdhsa_fp16_overflow 0
		.amdhsa_workgroup_processor_mode 1
		.amdhsa_memory_ordered 1
		.amdhsa_forward_progress 0
		.amdhsa_shared_vgpr_count 0
		.amdhsa_exception_fp_ieee_invalid_op 0
		.amdhsa_exception_fp_denorm_src 0
		.amdhsa_exception_fp_ieee_div_zero 0
		.amdhsa_exception_fp_ieee_overflow 0
		.amdhsa_exception_fp_ieee_underflow 0
		.amdhsa_exception_fp_ieee_inexact 0
		.amdhsa_exception_int_div_zero 0
	.end_amdhsa_kernel
	.section	.text._Z39paged_attention_ll4mi_QKV_mfma16_kernelIDF16_hLN4vllm18Fp8KVCacheDataTypeE1EDF16_Li16ELi128ELi256ELb1ELi16EL8MFMAType1EEvPKT_PKT0_S8_ifPKiSA_SA_iPKfiiiPfSD_PS3_PT2_iSC_SC_,"axG",@progbits,_Z39paged_attention_ll4mi_QKV_mfma16_kernelIDF16_hLN4vllm18Fp8KVCacheDataTypeE1EDF16_Li16ELi128ELi256ELb1ELi16EL8MFMAType1EEvPKT_PKT0_S8_ifPKiSA_SA_iPKfiiiPfSD_PS3_PT2_iSC_SC_,comdat
.Lfunc_end985:
	.size	_Z39paged_attention_ll4mi_QKV_mfma16_kernelIDF16_hLN4vllm18Fp8KVCacheDataTypeE1EDF16_Li16ELi128ELi256ELb1ELi16EL8MFMAType1EEvPKT_PKT0_S8_ifPKiSA_SA_iPKfiiiPfSD_PS3_PT2_iSC_SC_, .Lfunc_end985-_Z39paged_attention_ll4mi_QKV_mfma16_kernelIDF16_hLN4vllm18Fp8KVCacheDataTypeE1EDF16_Li16ELi128ELi256ELb1ELi16EL8MFMAType1EEvPKT_PKT0_S8_ifPKiSA_SA_iPKfiiiPfSD_PS3_PT2_iSC_SC_
                                        ; -- End function
	.section	.AMDGPU.csdata,"",@progbits
; Kernel info:
; codeLenInByte = 6832
; NumSgprs: 37
; NumVgprs: 140
; ScratchSize: 0
; MemoryBound: 0
; FloatMode: 240
; IeeeMode: 1
; LDSByteSize: 17472 bytes/workgroup (compile time only)
; SGPRBlocks: 4
; VGPRBlocks: 17
; NumSGPRsForWavesPerEU: 37
; NumVGPRsForWavesPerEU: 140
; Occupancy: 10
; WaveLimiterHint : 1
; COMPUTE_PGM_RSRC2:SCRATCH_EN: 0
; COMPUTE_PGM_RSRC2:USER_SGPR: 13
; COMPUTE_PGM_RSRC2:TRAP_HANDLER: 0
; COMPUTE_PGM_RSRC2:TGID_X_EN: 1
; COMPUTE_PGM_RSRC2:TGID_Y_EN: 1
; COMPUTE_PGM_RSRC2:TGID_Z_EN: 1
; COMPUTE_PGM_RSRC2:TIDIG_COMP_CNT: 0
	.section	.text._Z39paged_attention_ll4mi_QKV_mfma16_kernelIDF16_hLN4vllm18Fp8KVCacheDataTypeE1EDF16_Li16ELi128ELi256ELb1ELi1EL8MFMAType1EEvPKT_PKT0_S8_ifPKiSA_SA_iPKfiiiPfSD_PS3_PT2_iSC_SC_,"axG",@progbits,_Z39paged_attention_ll4mi_QKV_mfma16_kernelIDF16_hLN4vllm18Fp8KVCacheDataTypeE1EDF16_Li16ELi128ELi256ELb1ELi1EL8MFMAType1EEvPKT_PKT0_S8_ifPKiSA_SA_iPKfiiiPfSD_PS3_PT2_iSC_SC_,comdat
	.protected	_Z39paged_attention_ll4mi_QKV_mfma16_kernelIDF16_hLN4vllm18Fp8KVCacheDataTypeE1EDF16_Li16ELi128ELi256ELb1ELi1EL8MFMAType1EEvPKT_PKT0_S8_ifPKiSA_SA_iPKfiiiPfSD_PS3_PT2_iSC_SC_ ; -- Begin function _Z39paged_attention_ll4mi_QKV_mfma16_kernelIDF16_hLN4vllm18Fp8KVCacheDataTypeE1EDF16_Li16ELi128ELi256ELb1ELi1EL8MFMAType1EEvPKT_PKT0_S8_ifPKiSA_SA_iPKfiiiPfSD_PS3_PT2_iSC_SC_
	.globl	_Z39paged_attention_ll4mi_QKV_mfma16_kernelIDF16_hLN4vllm18Fp8KVCacheDataTypeE1EDF16_Li16ELi128ELi256ELb1ELi1EL8MFMAType1EEvPKT_PKT0_S8_ifPKiSA_SA_iPKfiiiPfSD_PS3_PT2_iSC_SC_
	.p2align	8
	.type	_Z39paged_attention_ll4mi_QKV_mfma16_kernelIDF16_hLN4vllm18Fp8KVCacheDataTypeE1EDF16_Li16ELi128ELi256ELb1ELi1EL8MFMAType1EEvPKT_PKT0_S8_ifPKiSA_SA_iPKfiiiPfSD_PS3_PT2_iSC_SC_,@function
_Z39paged_attention_ll4mi_QKV_mfma16_kernelIDF16_hLN4vllm18Fp8KVCacheDataTypeE1EDF16_Li16ELi128ELi256ELb1ELi1EL8MFMAType1EEvPKT_PKT0_S8_ifPKiSA_SA_iPKfiiiPfSD_PS3_PT2_iSC_SC_: ; @_Z39paged_attention_ll4mi_QKV_mfma16_kernelIDF16_hLN4vllm18Fp8KVCacheDataTypeE1EDF16_Li16ELi128ELi256ELb1ELi1EL8MFMAType1EEvPKT_PKT0_S8_ifPKiSA_SA_iPKfiiiPfSD_PS3_PT2_iSC_SC_
; %bb.0:
	s_load_b64 s[4:5], s[0:1], 0x30
	s_mov_b32 s34, s13
	s_waitcnt lgkmcnt(0)
	s_cmp_lg_u64 s[4:5], 0
	s_cselect_b32 s6, -1, 0
	s_ashr_i32 s35, s13, 31
	s_cmp_eq_u64 s[4:5], 0
	s_cbranch_scc1 .LBB986_3
; %bb.1:
	s_lshl_b64 s[2:3], s[34:35], 2
	s_delay_alu instid0(SALU_CYCLE_1) | instskip(SKIP_4) | instid1(SALU_CYCLE_1)
	s_add_u32 s2, s4, s2
	s_addc_u32 s3, s5, s3
	s_load_b64 s[2:3], s[2:3], 0x0
	s_waitcnt lgkmcnt(0)
	s_sub_i32 s2, s3, s2
	s_cmp_eq_u32 s2, 1
	s_cselect_b32 s2, -1, 0
	s_delay_alu instid0(SALU_CYCLE_1)
	s_and_not1_b32 vcc_lo, exec_lo, s2
	s_cbranch_vccz .LBB986_4
.LBB986_2:
	s_endpgm
.LBB986_3:
.LBB986_4:
	s_load_b64 s[2:3], s[0:1], 0x28
	s_lshl_b64 s[8:9], s[34:35], 2
	s_waitcnt lgkmcnt(0)
	s_add_u32 s2, s2, s8
	s_addc_u32 s3, s3, s9
	s_lshl_b32 s12, s14, 8
	s_load_b32 s33, s[2:3], 0x0
	s_waitcnt lgkmcnt(0)
	s_cmp_ge_i32 s12, s33
	s_cbranch_scc1 .LBB986_2
; %bb.5:
	s_clause 0x1
	s_load_b128 s[56:59], s[0:1], 0x8
	s_load_b64 s[2:3], s[0:1], 0x20
	s_and_not1_b32 vcc_lo, exec_lo, s6
	s_mov_b64 s[6:7], s[34:35]
	s_cbranch_vccnz .LBB986_7
; %bb.6:
	s_add_u32 s4, s4, s8
	s_addc_u32 s5, s5, s9
	s_load_b32 s6, s[4:5], 0x0
.LBB986_7:
	s_load_b128 s[52:55], s[0:1], 0x48
	v_and_b32_e32 v65, 15, v0
	s_mov_b32 s13, exec_lo
                                        ; implicit-def: $sgpr36
                                        ; implicit-def: $sgpr24
                                        ; implicit-def: $sgpr16
                                        ; implicit-def: $sgpr4
	s_delay_alu instid0(VALU_DEP_1)
	v_cmpx_eq_u32_e32 0, v65
	s_cbranch_execz .LBB986_9
; %bb.8:
	s_load_b64 s[4:5], s[0:1], 0x0
	s_waitcnt lgkmcnt(0)
	s_mul_hi_i32 s7, s6, s52
	s_mul_i32 s6, s6, s52
	s_delay_alu instid0(SALU_CYCLE_1) | instskip(NEXT) | instid1(SALU_CYCLE_1)
	s_lshl_b64 s[6:7], s[6:7], 1
	s_add_u32 s6, s4, s6
	s_addc_u32 s7, s5, s7
	s_lshl_b32 s4, s15, 7
	s_delay_alu instid0(SALU_CYCLE_1) | instskip(NEXT) | instid1(SALU_CYCLE_1)
	s_ashr_i32 s5, s4, 31
	s_lshl_b64 s[4:5], s[4:5], 1
	s_delay_alu instid0(SALU_CYCLE_1)
	s_add_u32 s4, s6, s4
	s_addc_u32 s5, s7, s5
	s_clause 0x3
	s_load_b256 s[36:43], s[4:5], 0x0
	s_load_b256 s[24:31], s[4:5], 0x40
	;; [unrolled: 1-line block ×4, first 2 shown]
.LBB986_9:
	s_or_b32 exec_lo, exec_lo, s13
	v_and_b32_e32 v1, 0xef, v0
	s_add_i32 s13, s33, 15
	s_load_b32 s44, s[0:1], 0x38
	s_ashr_i32 s35, s13, 31
	s_waitcnt lgkmcnt(0)
	s_mul_i32 s62, s15, s54
	v_add_nc_u32_e32 v1, s12, v1
	s_lshr_b32 s35, s35, 28
	v_dual_mov_b32 v105, s31 :: v_dual_mov_b32 v98, s24
	s_add_i32 s13, s13, s35
	s_delay_alu instid0(VALU_DEP_2)
	v_ashrrev_i32_e32 v2, 31, v1
	v_or_b32_e32 v3, 16, v1
	s_ashr_i32 s13, s13, 4
	v_cmp_gt_i32_e32 vcc_lo, s33, v1
	s_add_i32 s13, s13, -1
	v_lshrrev_b32_e32 v2, 28, v2
	s_load_b32 s35, s[0:1], 0x1c
	v_mov_b32_e32 v103, s29
	v_mov_b32_e32 v101, s27
	s_delay_alu instid0(VALU_DEP_3)
	v_dual_mov_b32 v99, s25 :: v_dual_add_nc_u32 v4, v1, v2
	v_lshlrev_b32_e32 v73, 4, v65
	s_mul_i32 s44, s34, s44
	v_lshrrev_b32_e32 v66, 5, v0
	s_ashr_i32 s45, s44, 31
	v_ashrrev_i32_e32 v4, 4, v4
	v_add_nc_u32_e32 v2, v3, v2
	s_lshl_b64 s[44:45], s[44:45], 2
	v_mov_b32_e32 v104, s30
	s_add_u32 s61, s2, s44
	v_cndmask_b32_e32 v1, s13, v4, vcc_lo
	v_ashrrev_i32_e32 v2, 4, v2
	v_cmp_gt_i32_e32 vcc_lo, s33, v3
	s_addc_u32 s60, s3, s45
	s_ashr_i32 s63, s62, 31
	s_add_u32 s52, s56, s62
	s_addc_u32 s56, s57, s63
	v_cndmask_b32_e32 v3, s13, v2, vcc_lo
	v_ashrrev_i32_e32 v2, 31, v1
	s_lshl_b32 s2, s14, 4
	v_mov_b32_e32 v102, s28
	s_ashr_i32 s3, s2, 31
	v_ashrrev_i32_e32 v4, 31, v3
	v_lshlrev_b64 v[1:2], 2, v[1:2]
	s_lshl_b64 s[2:3], s[2:3], 2
	v_mov_b32_e32 v100, s26
	s_add_u32 s2, s61, s2
	v_lshlrev_b64 v[3:4], 2, v[3:4]
	s_addc_u32 s3, s60, s3
	v_add_co_u32 v1, vcc_lo, s61, v1
	v_add_co_ci_u32_e32 v2, vcc_lo, s60, v2, vcc_lo
	s_delay_alu instid0(VALU_DEP_3) | instskip(NEXT) | instid1(VALU_DEP_4)
	v_add_co_u32 v3, vcc_lo, s61, v3
	v_add_co_ci_u32_e32 v4, vcc_lo, s60, v4, vcc_lo
	s_clause 0x1
	global_load_b32 v5, v[1:2], off
	global_load_b32 v3, v[3:4], off
	s_or_b32 s44, s12, 32
	v_lshlrev_b32_e32 v1, 4, v0
	s_ashr_i32 s45, s44, 4
	s_cmp_lt_i32 s44, s33
	s_cselect_b32 s44, s45, s13
	s_delay_alu instid0(VALU_DEP_1) | instskip(SKIP_1) | instid1(SALU_CYCLE_1)
	v_and_b32_e32 v1, 0xf0, v1
	s_ashr_i32 s45, s44, 31
	s_lshl_b64 s[44:45], s[44:45], 2
	s_delay_alu instid0(SALU_CYCLE_1)
	s_add_u32 s44, s61, s44
	s_addc_u32 s45, s60, s45
	s_or_b32 s46, s12, 64
	v_add_co_u32 v1, s52, s52, v1
	s_ashr_i32 s47, s46, 4
	s_cmp_lt_i32 s46, s33
	v_add_co_ci_u32_e64 v2, null, s56, 0, s52
	s_cselect_b32 s46, s47, s13
	s_delay_alu instid0(SALU_CYCLE_1) | instskip(NEXT) | instid1(SALU_CYCLE_1)
	s_ashr_i32 s47, s46, 31
	s_lshl_b64 s[46:47], s[46:47], 2
	s_delay_alu instid0(SALU_CYCLE_1) | instskip(SKIP_2) | instid1(SALU_CYCLE_1)
	s_add_u32 s46, s61, s46
	s_addc_u32 s47, s60, s47
	s_or_b32 s48, s12, 0x60
	s_ashr_i32 s49, s48, 4
	s_cmp_lt_i32 s48, s33
	s_cselect_b32 s48, s49, s13
	s_delay_alu instid0(SALU_CYCLE_1) | instskip(NEXT) | instid1(SALU_CYCLE_1)
	s_ashr_i32 s49, s48, 31
	s_lshl_b64 s[48:49], s[48:49], 2
	s_delay_alu instid0(SALU_CYCLE_1) | instskip(SKIP_2) | instid1(SALU_CYCLE_1)
	s_add_u32 s48, s61, s48
	s_addc_u32 s49, s60, s49
	s_or_b32 s50, s12, 0x80
	s_ashr_i32 s51, s50, 4
	s_cmp_lt_i32 s50, s33
	;; [unrolled: 10-line block ×3, first 2 shown]
	s_cselect_b32 s54, s55, s13
	s_delay_alu instid0(SALU_CYCLE_1) | instskip(NEXT) | instid1(SALU_CYCLE_1)
	s_ashr_i32 s55, s54, 31
	s_lshl_b64 s[54:55], s[54:55], 2
	s_delay_alu instid0(SALU_CYCLE_1)
	s_add_u32 s64, s61, s54
	s_addc_u32 s65, s60, s55
	s_clause 0x5
	s_load_b32 s56, s[2:3], 0x0
	s_load_b32 s3, s[44:45], 0x0
	;; [unrolled: 1-line block ×6, first 2 shown]
	s_or_b32 s24, s12, 0xc0
	s_mov_b32 s44, 0
	s_ashr_i32 s25, s24, 4
	s_mov_b32 s45, s44
	s_mov_b32 s46, s44
	;; [unrolled: 1-line block ×7, first 2 shown]
	v_dual_mov_b32 v113, s23 :: v_dual_mov_b32 v112, s22
	v_dual_mov_b32 v111, s21 :: v_dual_mov_b32 v110, s20
	;; [unrolled: 1-line block ×4, first 2 shown]
	v_lshl_or_b32 v41, v66, 8, v73
	v_dual_mov_b32 v121, s51 :: v_dual_mov_b32 v120, s50
	v_dual_mov_b32 v119, s49 :: v_dual_mov_b32 v118, s48
	;; [unrolled: 1-line block ×4, first 2 shown]
	s_cmp_lt_i32 s24, s33
	s_cselect_b32 s16, s25, s13
	s_delay_alu instid0(SALU_CYCLE_1) | instskip(NEXT) | instid1(SALU_CYCLE_1)
	s_ashr_i32 s17, s16, 31
	s_lshl_b64 s[16:17], s[16:17], 2
	s_delay_alu instid0(SALU_CYCLE_1) | instskip(SKIP_2) | instid1(SALU_CYCLE_1)
	s_add_u32 s16, s61, s16
	s_addc_u32 s17, s60, s17
	s_or_b32 s18, s12, 0xe0
	s_ashr_i32 s19, s18, 4
	s_cmp_lt_i32 s18, s33
	s_cselect_b32 s18, s19, s13
	s_delay_alu instid0(SALU_CYCLE_1) | instskip(NEXT) | instid1(SALU_CYCLE_1)
	s_ashr_i32 s19, s18, 31
	s_lshl_b64 s[18:19], s[18:19], 2
	s_delay_alu instid0(SALU_CYCLE_1) | instskip(SKIP_4) | instid1(VALU_DEP_1)
	s_add_u32 s18, s61, s18
	s_addc_u32 s19, s60, s19
	s_add_u32 s13, s58, s62
	s_addc_u32 s20, s59, s63
	v_add_co_u32 v67, s13, s13, v41
	v_add_co_ci_u32_e64 v68, null, s20, 0, s13
	s_waitcnt lgkmcnt(0)
	s_delay_alu instid0(VALU_DEP_1)
	v_mad_i64_i32 v[41:42], null, s56, s53, v[67:68]
	v_mad_i64_i32 v[71:72], null, s54, s53, v[67:68]
	;; [unrolled: 1-line block ×5, first 2 shown]
	s_waitcnt vmcnt(1)
	v_mad_i64_i32 v[33:34], null, v5, s53, v[1:2]
	s_waitcnt vmcnt(0)
	v_mad_i64_i32 v[35:36], null, v3, s53, v[1:2]
	s_clause 0xf
	global_load_b128 v[1:4], v[33:34], off
	global_load_b128 v[5:8], v[33:34], off offset:256
	global_load_b128 v[9:12], v[35:36], off
	global_load_b128 v[13:16], v[35:36], off offset:256
	global_load_b128 v[17:20], v[33:34], off offset:512
	;; [unrolled: 1-line block ×13, first 2 shown]
	v_mov_b32_e32 v33, s36
	v_mov_b32_e32 v35, s38
	;; [unrolled: 1-line block ×4, first 2 shown]
	s_clause 0x1
	s_load_b32 s13, s[16:17], 0x0
	s_load_b32 s16, s[18:19], 0x0
	v_mov_b32_e32 v34, s37
	v_mov_b32_e32 v36, s39
	;; [unrolled: 1-line block ×4, first 2 shown]
	s_waitcnt lgkmcnt(0)
	v_mad_i64_i32 v[132:133], null, s16, s53, v[67:68]
	s_waitcnt vmcnt(14)
	s_delay_alu instid0(VALU_DEP_2)
	v_wmma_f32_16x16x16_f16 v[122:129], v[1:8], v[33:40], v[114:121]
	s_waitcnt vmcnt(12)
	v_wmma_f32_16x16x16_f16 v[114:121], v[9:16], v[33:40], v[114:121]
	s_clause 0x7
	global_load_b128 v[49:52], v[41:42], off
	global_load_b128 v[53:56], v[41:42], off offset:16
	global_load_b128 v[41:44], v[45:46], off
	global_load_b128 v[45:48], v[45:46], off offset:16
	;; [unrolled: 2-line block ×4, first 2 shown]
	v_mad_i64_i32 v[71:72], null, s13, s53, v[67:68]
	v_mad_i64_i32 v[69:70], null, s2, s53, v[67:68]
	s_waitcnt vmcnt(18)
	v_wmma_f32_16x16x16_f16 v[122:129], v[17:24], v[98:105], v[122:129]
	s_waitcnt vmcnt(16)
	v_wmma_f32_16x16x16_f16 v[114:121], v[25:32], v[98:105], v[114:121]
	s_clause 0x3
	global_load_b128 v[9:12], v[130:131], off
	global_load_b128 v[13:16], v[130:131], off offset:16
	global_load_b128 v[17:20], v[69:70], off
	global_load_b128 v[21:24], v[69:70], off offset:16
	s_waitcnt vmcnt(18)
	v_wmma_f32_16x16x16_f16 v[122:129], v[57:64], v[106:113], v[122:129]
	s_clause 0x3
	global_load_b128 v[25:28], v[71:72], off
	global_load_b128 v[29:32], v[71:72], off offset:16
	global_load_b128 v[57:60], v[132:133], off
	global_load_b128 v[61:64], v[132:133], off offset:16
	v_mbcnt_lo_u32_b32 v68, -1, 0
	v_dual_mov_b32 v105, s11 :: v_dual_mov_b32 v104, s10
	v_dual_mov_b32 v103, s9 :: v_dual_mov_b32 v102, s8
	s_delay_alu instid0(VALU_DEP_3) | instskip(SKIP_2) | instid1(VALU_DEP_3)
	v_xor_b32_e32 v69, 16, v68
	v_dual_mov_b32 v101, s7 :: v_dual_mov_b32 v100, s6
	v_dual_mov_b32 v99, s5 :: v_dual_mov_b32 v98, s4
	v_cmp_gt_i32_e32 vcc_lo, 32, v69
	v_and_b32_e32 v67, 0xe0, v0
	s_waitcnt vmcnt(20)
	v_wmma_f32_16x16x16_f16 v[114:121], v[74:81], v[106:113], v[114:121]
	v_bfe_u32 v74, v0, 4, 1
	s_waitcnt vmcnt(18)
	v_wmma_f32_16x16x16_f16 v[122:129], v[82:89], v[98:105], v[122:129]
	v_dual_cndmask_b32 v68, v68, v69 :: v_dual_add_nc_u32 v67, s12, v67
	s_waitcnt vmcnt(0)
	s_barrier
	s_delay_alu instid0(VALU_DEP_2)
	v_mul_f32_e32 v86, s35, v129
	v_mul_f32_e32 v88, s35, v127
	v_or_b32_e32 v67, v67, v74
	v_wmma_f32_16x16x16_f16 v[114:121], v[90:97], v[98:105], v[114:121]
	v_dual_mul_f32 v92, s35, v123 :: v_dual_mul_f32 v93, s35, v122
	v_mul_f32_e32 v90, s35, v125
	s_delay_alu instid0(VALU_DEP_4)
	v_or_b32_e32 v69, 2, v67
	v_or_b32_e32 v70, 4, v67
	;; [unrolled: 1-line block ×3, first 2 shown]
	v_cmp_gt_i32_e64 s2, s33, v67
	v_or_b32_e32 v72, 8, v67
	v_cmp_gt_i32_e32 vcc_lo, s33, v69
	v_or_b32_e32 v75, 10, v67
	v_mul_f32_e32 v91, s35, v124
	v_cndmask_b32_e64 v93, 0xff7fffff, v93, s2
	v_cmp_gt_i32_e64 s3, s33, v70
	v_cndmask_b32_e32 v92, 0xff7fffff, v92, vcc_lo
	v_cmp_gt_i32_e64 s4, s33, v71
	v_or_b32_e32 v76, 12, v67
	v_or_b32_e32 v77, 14, v67
	v_dual_mul_f32 v89, s35, v126 :: v_dual_mul_f32 v98, s35, v117
	v_cndmask_b32_e64 v70, 0xff7fffff, v91, s3
	v_cndmask_b32_e64 v71, 0xff7fffff, v90, s4
	v_max3_f32 v90, v93, 0xff7fffff, v92
	v_cmp_gt_i32_e64 s5, s33, v72
	v_cmp_gt_i32_e64 s6, s33, v75
	v_or_b32_e32 v78, 16, v67
	v_or_b32_e32 v79, 18, v67
	v_dual_mul_f32 v87, s35, v128 :: v_dual_mul_f32 v96, s35, v119
	v_cndmask_b32_e64 v72, 0xff7fffff, v89, s5
	v_cndmask_b32_e64 v75, 0xff7fffff, v88, s6
	v_max3_f32 v70, v90, v70, v71
	v_cmp_gt_i32_e64 s7, s33, v76
	v_cmp_gt_i32_e64 s8, s33, v77
	v_or_b32_e32 v80, 20, v67
	v_or_b32_e32 v81, 22, v67
	;; [unrolled: 1-line block ×6, first 2 shown]
	v_mul_f32_e32 v69, s35, v115
	v_mul_f32_e32 v67, s35, v114
	v_cndmask_b32_e64 v71, 0xff7fffff, v87, s7
	v_cndmask_b32_e64 v76, 0xff7fffff, v86, s8
	v_max3_f32 v70, v70, v72, v75
	v_cmp_gt_i32_e64 s9, s33, v78
	v_cmp_gt_i32_e64 s10, s33, v79
	v_mul_f32_e32 v99, s35, v116
	v_cmp_gt_i32_e64 s11, s33, v80
	v_max3_f32 v70, v70, v71, v76
	v_cndmask_b32_e64 v67, 0xff7fffff, v67, s9
	v_cndmask_b32_e64 v69, 0xff7fffff, v69, s10
	v_cmp_gt_i32_e64 s12, s33, v81
	v_mul_f32_e32 v97, s35, v118
	v_cndmask_b32_e64 v71, 0xff7fffff, v99, s11
	v_cmp_gt_i32_e64 s13, s33, v82
	v_max3_f32 v67, v70, v67, v69
	v_cndmask_b32_e64 v72, 0xff7fffff, v98, s12
	v_cmp_gt_i32_e64 s16, s33, v83
	v_dual_mul_f32 v94, s35, v121 :: v_dual_mul_f32 v95, s35, v120
	v_cndmask_b32_e64 v69, 0xff7fffff, v97, s13
	s_delay_alu instid0(VALU_DEP_4) | instskip(NEXT) | instid1(VALU_DEP_4)
	v_max3_f32 v67, v67, v71, v72
	v_cndmask_b32_e64 v70, 0xff7fffff, v96, s16
	v_cmp_gt_i32_e64 s17, s33, v84
	v_cmp_gt_i32_e64 s18, s33, v85
	v_lshlrev_b32_e32 v75, 2, v68
	buffer_gl0_inv
	v_max3_f32 v67, v67, v69, v70
	v_cndmask_b32_e64 v71, 0xff7fffff, v95, s17
	v_cndmask_b32_e64 v72, 0xff7fffff, v94, s18
	s_delay_alu instid0(VALU_DEP_1) | instskip(SKIP_3) | instid1(VALU_DEP_1)
	v_max3_f32 v67, v67, v71, v72
	ds_bpermute_b32 v68, v75, v67
	s_waitcnt lgkmcnt(0)
	v_max_f32_e32 v68, v68, v68
	v_max_f32_e32 v67, v67, v68
	s_delay_alu instid0(VALU_DEP_1)
	v_fma_f32 v68, s35, v122, -v67
	v_fma_f32 v70, s35, v124, -v67
	;; [unrolled: 1-line block ×5, first 2 shown]
	v_mul_f32_e32 v68, 0x3fb8aa3b, v68
	s_delay_alu instid0(VALU_DEP_4) | instskip(NEXT) | instid1(VALU_DEP_3)
	v_dual_mul_f32 v70, 0x3fb8aa3b, v70 :: v_dual_mul_f32 v69, 0x3fb8aa3b, v69
	v_mul_f32_e32 v72, 0x3fb8aa3b, v72
	s_delay_alu instid0(VALU_DEP_3) | instskip(NEXT) | instid1(VALU_DEP_2)
	v_exp_f32_e32 v68, v68
	v_exp_f32_e32 v76, v70
	s_delay_alu instid0(VALU_DEP_2) | instskip(NEXT) | instid1(VALU_DEP_1)
	v_exp_f32_e32 v69, v69
	v_exp_f32_e32 v79, v72
	v_cndmask_b32_e64 v70, 0, v68, s2
	v_fma_f32 v68, s35, v127, -v67
	s_waitcnt_depctr 0xfff
	v_cndmask_b32_e32 v69, 0, v69, vcc_lo
	v_cndmask_b32_e64 v72, 0, v76, s3
	v_cndmask_b32_e64 v83, 0, v79, s5
	v_dual_add_f32 v77, 0, v70 :: v_dual_mul_f32 v68, 0x3fb8aa3b, v68
	s_mov_b32 s3, exec_lo
	s_delay_alu instid0(VALU_DEP_1) | instskip(NEXT) | instid1(VALU_DEP_2)
	v_add_f32_e32 v76, v77, v69
	v_exp_f32_e32 v68, v68
	s_delay_alu instid0(VALU_DEP_1) | instskip(SKIP_3) | instid1(VALU_DEP_1)
	v_add_f32_e32 v76, v76, v72
	s_waitcnt_depctr 0xfff
	v_cndmask_b32_e64 v82, 0, v68, s6
	v_mul_f32_e32 v71, 0x3fb8aa3b, v71
	v_exp_f32_e32 v71, v71
	s_waitcnt_depctr 0xfff
	v_cndmask_b32_e64 v71, 0, v71, s4
	s_delay_alu instid0(VALU_DEP_1) | instskip(NEXT) | instid1(VALU_DEP_1)
	v_add_f32_e32 v76, v76, v71
	v_add_f32_e32 v68, v76, v83
	v_fma_f32 v78, s35, v128, -v67
	v_fma_f32 v77, s35, v129, -v67
	;; [unrolled: 1-line block ×4, first 2 shown]
	v_add_f32_e32 v68, v68, v82
	v_mul_f32_e32 v78, 0x3fb8aa3b, v78
	v_fma_f32 v76, s35, v116, -v67
	v_mul_f32_e32 v80, 0x3fb8aa3b, v80
	s_delay_alu instid0(VALU_DEP_3) | instskip(NEXT) | instid1(VALU_DEP_2)
	v_exp_f32_e32 v78, v78
	v_mul_f32_e32 v76, 0x3fb8aa3b, v76
	s_delay_alu instid0(VALU_DEP_2) | instskip(NEXT) | instid1(VALU_DEP_1)
	v_exp_f32_e32 v80, v80
	v_exp_f32_e32 v76, v76
	s_delay_alu instid0(TRANS32_DEP_3)
	v_cndmask_b32_e64 v85, 0, v78, s7
	v_fma_f32 v78, s35, v117, -v67
	v_mul_f32_e32 v77, 0x3fb8aa3b, v77
	v_mul_f32_e32 v79, 0x3fb8aa3b, v79
	s_waitcnt_depctr 0xfff
	v_cndmask_b32_e64 v87, 0, v80, s9
	v_add_f32_e32 v68, v68, v85
	v_mul_f32_e32 v78, 0x3fb8aa3b, v78
	v_exp_f32_e32 v77, v77
	v_exp_f32_e32 v79, v79
	v_fma_f32 v80, s35, v119, -v67
	v_cndmask_b32_e64 v89, 0, v76, s11
	v_exp_f32_e32 v78, v78
	s_delay_alu instid0(VALU_DEP_2) | instskip(NEXT) | instid1(TRANS32_DEP_3)
	v_mul_f32_e32 v80, 0x3fb8aa3b, v80
	v_cndmask_b32_e64 v84, 0, v77, s8
	v_fma_f32 v77, s35, v118, -v67
	s_delay_alu instid0(TRANS32_DEP_2)
	v_cndmask_b32_e64 v86, 0, v79, s10
	v_fma_f32 v79, s35, v120, -v67
	s_waitcnt_depctr 0xfff
	v_cndmask_b32_e64 v88, 0, v78, s12
	v_dual_add_f32 v68, v68, v84 :: v_dual_mul_f32 v77, 0x3fb8aa3b, v77
	v_fma_f32 v78, s35, v121, -v67
	v_mul_f32_e32 v76, 0x3fb8aa3b, v79
	v_exp_f32_e32 v79, v80
	s_delay_alu instid0(VALU_DEP_3) | instskip(SKIP_1) | instid1(VALU_DEP_2)
	v_add_f32_e32 v68, v68, v87
	v_exp_f32_e32 v77, v77
	v_exp_f32_e32 v76, v76
	s_delay_alu instid0(TRANS32_DEP_3)
	v_cndmask_b32_e64 v90, 0, v79, s16
	s_waitcnt_depctr 0xfff
	v_cndmask_b32_e64 v91, 0, v77, s13
	v_mul_f32_e32 v77, 0x3fb8aa3b, v78
	v_add_f32_e32 v68, v68, v86
	v_cndmask_b32_e64 v93, 0, v76, s17
	v_and_b32_e32 v76, 31, v0
	s_delay_alu instid0(VALU_DEP_4) | instskip(NEXT) | instid1(VALU_DEP_3)
	v_exp_f32_e32 v77, v77
	v_add_f32_e32 v68, v68, v89
	s_delay_alu instid0(VALU_DEP_2) | instskip(NEXT) | instid1(VALU_DEP_2)
	v_cmp_lt_u32_e64 s2, 15, v76
	v_add_f32_e32 v68, v68, v88
	s_waitcnt_depctr 0xfff
	v_cndmask_b32_e64 v92, 0, v77, s18
	v_add_f32_e32 v68, v68, v91
	s_delay_alu instid0(VALU_DEP_1) | instskip(NEXT) | instid1(VALU_DEP_1)
	v_add_f32_e32 v68, v68, v90
	v_add_f32_e32 v68, v68, v93
	s_delay_alu instid0(VALU_DEP_1)
	v_add_f32_e32 v68, v68, v92
	ds_bpermute_b32 v75, v75, v68
	v_cmpx_gt_u32_e32 16, v76
	s_cbranch_execz .LBB986_11
; %bb.10:
	v_mul_u32_u24_e32 v76, 0x44, v66
	s_delay_alu instid0(VALU_DEP_1) | instskip(SKIP_1) | instid1(VALU_DEP_1)
	v_lshl_add_u32 v76, v65, 2, v76
	s_waitcnt lgkmcnt(0)
	v_dual_add_f32 v68, v68, v75 :: v_dual_add_nc_u32 v75, 0x4000, v76
	ds_store_2addr_b32 v75, v67, v68 offset1:136
.LBB986_11:
	s_or_b32 exec_lo, exec_lo, s3
	v_lshlrev_b32_e32 v67, 2, v65
	s_load_b64 s[36:37], s[0:1], 0x94
	s_waitcnt lgkmcnt(0)
	s_barrier
	buffer_gl0_inv
	v_add_nc_u32_e32 v81, 0x4000, v67
	v_cmp_eq_u32_e32 vcc_lo, 1, v66
	v_cmp_eq_u32_e64 s3, 2, v66
	v_cmp_eq_u32_e64 s5, 3, v66
	;; [unrolled: 1-line block ×3, first 2 shown]
	ds_load_2addr_b32 v[75:76], v81 offset1:17
	ds_load_2addr_b32 v[77:78], v81 offset0:34 offset1:51
	ds_load_2addr_b32 v[79:80], v81 offset0:68 offset1:85
	;; [unrolled: 1-line block ×4, first 2 shown]
	v_cmp_eq_u32_e64 s7, 5, v66
	v_cmp_eq_u32_e64 s4, 6, v66
	s_waitcnt lgkmcnt(4)
	v_max3_f32 v67, v75, 0xff7fffff, v76
	s_waitcnt lgkmcnt(3)
	s_delay_alu instid0(VALU_DEP_1) | instskip(SKIP_1) | instid1(VALU_DEP_1)
	v_max3_f32 v67, v67, v77, v78
	s_waitcnt lgkmcnt(2)
	v_max3_f32 v67, v67, v79, v80
	s_waitcnt lgkmcnt(1)
	s_delay_alu instid0(VALU_DEP_1) | instskip(NEXT) | instid1(VALU_DEP_1)
	v_max3_f32 v67, v67, v94, v95
	v_sub_f32_e32 v68, v75, v67
	s_delay_alu instid0(VALU_DEP_1) | instskip(NEXT) | instid1(VALU_DEP_1)
	v_dual_sub_f32 v79, v79, v67 :: v_dual_mul_f32 v68, 0x3fb8aa3b, v68
	v_mul_f32_e32 v102, 0x3fb8aa3b, v79
	s_delay_alu instid0(VALU_DEP_2) | instskip(SKIP_1) | instid1(VALU_DEP_1)
	v_exp_f32_e32 v99, v68
	v_sub_f32_e32 v68, v78, v67
	v_dual_sub_f32 v98, v76, v67 :: v_dual_mul_f32 v101, 0x3fb8aa3b, v68
	s_delay_alu instid0(VALU_DEP_1)
	v_dual_sub_f32 v77, v77, v67 :: v_dual_mul_f32 v98, 0x3fb8aa3b, v98
	s_waitcnt lgkmcnt(0)
	s_waitcnt_depctr 0xfff
	v_fma_f32 v68, v99, v96, 0
	v_sub_f32_e32 v96, v80, v67
	v_mul_f32_e32 v100, 0x3fb8aa3b, v77
	v_exp_f32_e32 v98, v98
	v_exp_f32_e32 v101, v101
	s_delay_alu instid0(VALU_DEP_1) | instskip(NEXT) | instid1(TRANS32_DEP_3)
	v_exp_f32_e32 v100, v100
	v_fmac_f32_e32 v68, v98, v97
	ds_load_2addr_b32 v[75:76], v81 offset0:170 offset1:187
	ds_load_2addr_b32 v[77:78], v81 offset0:204 offset1:221
	;; [unrolled: 1-line block ×3, first 2 shown]
	v_dual_sub_f32 v81, v94, v67 :: v_dual_mul_f32 v94, 0x3fb8aa3b, v96
	v_exp_f32_e32 v96, v102
	s_waitcnt lgkmcnt(0)
	s_barrier
	s_delay_alu instid0(VALU_DEP_1)
	v_mul_f32_e32 v81, 0x3fb8aa3b, v81
	v_exp_f32_e32 v94, v94
	buffer_gl0_inv
	v_fmac_f32_e32 v68, v100, v75
	v_sub_f32_e32 v75, v95, v67
	v_exp_f32_e32 v95, v81
	s_delay_alu instid0(VALU_DEP_1) | instskip(SKIP_1) | instid1(VALU_DEP_2)
	v_dual_fmac_f32 v68, v101, v76 :: v_dual_mul_f32 v75, 0x3fb8aa3b, v75
	v_cndmask_b32_e32 v76, v99, v98, vcc_lo
	v_fmac_f32_e32 v68, v96, v77
	s_delay_alu instid0(VALU_DEP_3) | instskip(NEXT) | instid1(VALU_DEP_1)
	v_exp_f32_e32 v97, v75
	v_fmac_f32_e32 v68, v94, v78
	s_waitcnt_depctr 0xfff
	v_dual_fmac_f32 v68, v95, v79 :: v_dual_lshlrev_b32 v79, 6, v65
	s_delay_alu instid0(VALU_DEP_1) | instskip(NEXT) | instid1(VALU_DEP_2)
	v_dual_mov_b32 v65, 0 :: v_dual_fmac_f32 v68, v97, v80
	v_lshl_or_b32 v81, v66, 11, v79
	s_delay_alu instid0(VALU_DEP_2) | instskip(NEXT) | instid1(VALU_DEP_1)
	v_add_f32_e32 v80, 0x358637bd, v68
	v_div_scale_f32 v102, null, v80, v80, 1.0
	v_div_scale_f32 v98, vcc_lo, 1.0, v80, 1.0
	s_delay_alu instid0(VALU_DEP_2) | instskip(SKIP_2) | instid1(VALU_DEP_1)
	v_rcp_f32_e32 v103, v102
	s_waitcnt_depctr 0xfff
	v_fma_f32 v75, -v102, v103, 1.0
	v_fmac_f32_e32 v103, v75, v103
	v_cndmask_b32_e64 v75, v76, v100, s3
	v_cmp_eq_u32_e64 s3, 7, v66
	s_delay_alu instid0(VALU_DEP_3) | instskip(NEXT) | instid1(VALU_DEP_3)
	v_mul_f32_e32 v99, v98, v103
	v_cndmask_b32_e64 v76, v75, v101, s5
	v_lshlrev_b32_e32 v75, 2, v74
	s_delay_alu instid0(VALU_DEP_3) | instskip(NEXT) | instid1(VALU_DEP_3)
	v_fma_f32 v77, -v102, v99, v98
	v_cndmask_b32_e64 v96, v76, v96, s6
	s_delay_alu instid0(VALU_DEP_3)
	v_or_b32_e32 v78, 1, v75
	v_or_b32_e32 v76, 2, v75
	v_cmp_eq_u32_e64 s5, 1, v75
	v_fmac_f32_e32 v99, v77, v103
	v_cndmask_b32_e64 v66, v96, v94, s7
	v_or_b32_e32 v77, 3, v75
	v_cmp_eq_u32_e64 s9, 1, v78
	v_cmp_eq_u32_e64 s10, 1, v76
	v_fma_f32 v94, -v102, v99, v98
	v_cndmask_b32_e64 v66, v66, v95, s4
	v_cmp_eq_u32_e64 s11, 1, v77
	v_cmp_eq_u32_e64 s6, 2, v75
	;; [unrolled: 1-line block ×3, first 2 shown]
	v_div_fmas_f32 v94, v94, v103, v99
	v_cndmask_b32_e64 v66, v66, v97, s3
	v_cmp_eq_u32_e64 s17, 2, v77
	v_cmp_eq_u32_e32 vcc_lo, 3, v75
	v_cmp_eq_u32_e64 s13, 3, v78
	v_div_fixup_f32 v94, v94, v80, 1.0
	v_lshl_or_b32 v80, v74, 4, v81
	v_cmp_eq_u32_e64 s16, 2, v76
	v_cmp_eq_u32_e64 s19, 3, v77
	;; [unrolled: 1-line block ×3, first 2 shown]
	v_mul_f32_e32 v66, v66, v94
	v_cmp_eq_u32_e64 s18, 3, v76
	v_cmp_eq_u32_e64 s20, 4, v78
	;; [unrolled: 1-line block ×4, first 2 shown]
	v_fma_mixlo_f16 v94, v66, v70, 0
	v_fma_mixlo_f16 v95, v66, v72, 0
	v_fma_mixlo_f16 v96, v66, v83, 0
	v_fma_mixlo_f16 v97, v66, v85, 0
	v_fma_mixlo_f16 v98, v66, v87, 0
	v_fma_mixlo_f16 v99, v66, v89, 0
	v_fma_mixlo_f16 v100, v66, v91, 0
	v_fma_mixlo_f16 v101, v66, v93, 0
	v_fma_mixhi_f16 v94, v66, v69, 0
	v_fma_mixhi_f16 v95, v66, v71, 0
	;; [unrolled: 1-line block ×8, first 2 shown]
	ds_store_b128 v80, v[94:97]
	ds_store_b128 v80, v[98:101] offset:1024
	s_waitcnt lgkmcnt(0)
	s_barrier
	buffer_gl0_inv
	ds_load_b128 v[69:72], v81
	ds_load_b128 v[82:85], v81 offset:16
	ds_load_b128 v[86:89], v81 offset:1024
	;; [unrolled: 1-line block ×3, first 2 shown]
	v_cmp_eq_u32_e64 s21, 5, v78
	v_cmp_eq_u32_e64 s22, 4, v76
	;; [unrolled: 1-line block ×12, first 2 shown]
	s_waitcnt lgkmcnt(3)
	v_lshrrev_b32_e32 v66, 16, v69
	s_waitcnt lgkmcnt(2)
	v_lshrrev_b32_e32 v97, 16, v82
	;; [unrolled: 2-line block ×4, first 2 shown]
	v_lshrrev_b32_e32 v94, 16, v70
	v_cndmask_b32_e64 v109, v69, v66, s5
	v_cndmask_b32_e64 v110, v82, v97, s5
	;; [unrolled: 1-line block ×7, first 2 shown]
	v_lshrrev_b32_e32 v98, 16, v83
	v_cndmask_b32_e64 v114, v82, v97, s10
	v_cndmask_b32_e64 v82, v86, v101, s5
	;; [unrolled: 1-line block ×15, first 2 shown]
	v_lshrrev_b32_e32 v102, 16, v87
	v_lshrrev_b32_e32 v106, 16, v91
	v_cndmask_b32_e64 v111, v113, v70, s16
	v_cndmask_b32_e64 v112, v114, v83, s16
	;; [unrolled: 1-line block ×7, first 2 shown]
	v_cndmask_b32_e32 v87, v101, v94, vcc_lo
	v_cndmask_b32_e32 v101, v105, v98, vcc_lo
	v_cndmask_b32_e64 v105, v109, v94, s13
	v_cndmask_b32_e64 v109, v110, v98, s13
	;; [unrolled: 1-line block ×4, first 2 shown]
	v_lshrrev_b32_e32 v95, 16, v71
	v_lshrrev_b32_e32 v99, 16, v84
	v_cndmask_b32_e64 v110, v111, v94, s18
	v_cndmask_b32_e64 v111, v112, v98, s18
	v_cndmask_b32_e32 v70, v70, v102, vcc_lo
	v_cndmask_b32_e32 v82, v82, v106, vcc_lo
	v_cndmask_b32_e64 v83, v83, v102, s13
	v_cndmask_b32_e64 v87, v87, v71, s4
	;; [unrolled: 1-line block ×7, first 2 shown]
	v_lshrrev_b32_e32 v103, 16, v88
	v_lshrrev_b32_e32 v107, 16, v92
	v_cndmask_b32_e64 v105, v110, v71, s22
	v_cndmask_b32_e64 v109, v111, v84, s22
	;; [unrolled: 1-line block ×11, first 2 shown]
	v_lshrrev_b32_e32 v96, 16, v72
	v_lshrrev_b32_e32 v100, 16, v85
	v_cndmask_b32_e64 v98, v105, v95, s24
	v_cndmask_b32_e64 v101, v109, v99, s24
	;; [unrolled: 1-line block ×11, first 2 shown]
	v_lshrrev_b32_e32 v104, 16, v89
	v_cndmask_b32_e64 v95, v98, v72, s27
	v_cndmask_b32_e64 v98, v101, v85, s27
	;; [unrolled: 1-line block ×14, first 2 shown]
	v_perm_b32 v72, v69, v66, 0x5040100
	v_perm_b32 v70, v94, v84, 0x5040100
	v_cndmask_b32_e64 v66, v90, v91, s17
	v_cndmask_b32_e64 v69, v118, v91, s16
	;; [unrolled: 1-line block ×4, first 2 shown]
	v_perm_b32 v71, v95, v87, 0x5040100
	v_cndmask_b32_e64 v87, v97, v102, s18
	v_cndmask_b32_e64 v86, v86, v102, s19
	;; [unrolled: 1-line block ×15, first 2 shown]
	v_lshrrev_b32_e32 v108, 16, v93
	v_cndmask_b32_e64 v87, v87, v89, s27
	v_cndmask_b32_e64 v86, v86, v89, s28
	;; [unrolled: 1-line block ×11, first 2 shown]
	v_perm_b32 v69, v83, v82, 0x5040100
	v_perm_b32 v85, v66, v86, 0x5040100
	v_perm_b32 v84, v88, v87, 0x5040100
	v_perm_b32 v83, v89, v98, 0x5040100
	v_perm_b32 v82, v90, v96, 0x5040100
	s_mov_b32 s3, exec_lo
	ds_store_b128 v80, v[69:72]
	ds_store_b128 v80, v[82:85] offset:1024
	v_cmpx_eq_u32_e32 0, v0
	s_cbranch_execz .LBB986_13
; %bb.12:
	s_load_b128 s[4:7], s[0:1], 0x58
	s_mul_i32 s8, s37, s34
	s_delay_alu instid0(SALU_CYCLE_1) | instskip(NEXT) | instid1(SALU_CYCLE_1)
	s_add_i32 s8, s8, s15
	s_mul_i32 s8, s8, s36
	s_delay_alu instid0(SALU_CYCLE_1) | instskip(NEXT) | instid1(SALU_CYCLE_1)
	s_add_i32 s8, s8, s14
	s_ashr_i32 s9, s8, 31
	s_delay_alu instid0(SALU_CYCLE_1)
	s_lshl_b64 s[8:9], s[8:9], 2
	s_waitcnt lgkmcnt(0)
	s_add_u32 s6, s6, s8
	s_addc_u32 s7, s7, s9
	s_add_u32 s4, s4, s8
	s_addc_u32 s5, s5, s9
	s_clause 0x1
	global_store_b32 v65, v67, s[6:7]
	global_store_b32 v65, v68, s[4:5]
.LBB986_13:
	s_or_b32 exec_lo, exec_lo, s3
	s_waitcnt lgkmcnt(0)
	s_waitcnt_vscnt null, 0x0
	s_barrier
	buffer_gl0_inv
	ds_load_b128 v[82:85], v79
	ds_load_b128 v[86:89], v79 offset:16
	ds_load_b128 v[94:97], v79 offset:2064
	;; [unrolled: 1-line block ×5, first 2 shown]
	v_mov_b32_e32 v66, v65
	v_mov_b32_e32 v67, v65
	;; [unrolled: 1-line block ×7, first 2 shown]
	ds_load_b128 v[110:113], v79 offset:6160
	ds_load_b128 v[106:109], v79 offset:6144
	v_cmp_eq_u32_e32 vcc_lo, 1, v75
	v_cmp_eq_u32_e64 s3, 1, v78
	v_cmp_eq_u32_e64 s4, 1, v77
	v_cmp_eq_u32_e64 s5, 2, v75
	v_cmp_eq_u32_e64 s6, 3, v75
	v_cmp_eq_u32_e64 s7, 6, v76
	s_xor_b32 s2, s2, -1
	s_waitcnt lgkmcnt(6)
	v_wmma_f32_16x16x16_f16 v[65:72], v[49:56], v[82:89], v[65:72]
	ds_load_b128 v[53:56], v79 offset:8208
	ds_load_b128 v[49:52], v79 offset:8192
	;; [unrolled: 1-line block ×4, first 2 shown]
	s_waitcnt lgkmcnt(8)
	v_wmma_f32_16x16x16_f16 v[65:72], v[41:48], v[90:97], v[65:72]
	ds_load_b128 v[45:48], v79 offset:12304
	ds_load_b128 v[41:44], v79 offset:12288
	s_waitcnt lgkmcnt(8)
	v_wmma_f32_16x16x16_f16 v[65:72], v[33:40], v[98:105], v[65:72]
	ds_load_b128 v[37:40], v79 offset:14352
	ds_load_b128 v[33:36], v79 offset:14336
	s_waitcnt lgkmcnt(0)
	s_barrier
	buffer_gl0_inv
	v_wmma_f32_16x16x16_f16 v[65:72], v[1:8], v[106:113], v[65:72]
	s_delay_alu instid0(VALU_DEP_1) | instskip(NEXT) | instid1(VALU_DEP_1)
	v_wmma_f32_16x16x16_f16 v[65:72], v[9:16], v[49:56], v[65:72]
	v_wmma_f32_16x16x16_f16 v[65:72], v[17:24], v[82:89], v[65:72]
	s_delay_alu instid0(VALU_DEP_1) | instskip(NEXT) | instid1(VALU_DEP_1)
	v_wmma_f32_16x16x16_f16 v[65:72], v[25:32], v[41:48], v[65:72]
	v_wmma_f32_16x16x16_f16 v[65:72], v[57:64], v[33:40], v[65:72]
	s_delay_alu instid0(VALU_DEP_1) | instskip(NEXT) | instid1(VALU_DEP_2)
	v_cvt_f16_f32_e32 v1, v65
	v_cvt_f16_f32_e32 v2, v66
	s_delay_alu instid0(VALU_DEP_3) | instskip(NEXT) | instid1(VALU_DEP_4)
	v_cvt_f16_f32_e32 v3, v67
	v_cvt_f16_f32_e32 v4, v68
	;; [unrolled: 1-line block ×6, first 2 shown]
	v_pack_b32_f16 v1, v1, v2
	v_pack_b32_f16 v2, v3, v4
	;; [unrolled: 1-line block ×3, first 2 shown]
	s_delay_alu instid0(VALU_DEP_4)
	v_pack_b32_f16 v4, v7, v8
	ds_store_b128 v80, v[1:4]
	s_waitcnt lgkmcnt(0)
	s_barrier
	buffer_gl0_inv
	ds_load_b128 v[1:4], v81
	ds_load_b128 v[5:8], v81 offset:16
	s_waitcnt lgkmcnt(1)
	v_lshrrev_b32_e32 v9, 16, v1
	s_waitcnt lgkmcnt(0)
	v_lshrrev_b32_e32 v13, 16, v5
	v_lshrrev_b32_e32 v16, 16, v8
	;; [unrolled: 1-line block ×4, first 2 shown]
	v_cndmask_b32_e32 v17, v1, v9, vcc_lo
	v_cndmask_b32_e32 v18, v5, v13, vcc_lo
	v_cmp_eq_u32_e32 vcc_lo, 1, v76
	v_cndmask_b32_e64 v19, v1, v9, s3
	v_cndmask_b32_e64 v20, v5, v13, s3
	v_cmp_eq_u32_e64 s3, 2, v76
	v_lshrrev_b32_e32 v11, 16, v3
	v_cndmask_b32_e32 v21, v1, v9, vcc_lo
	v_cndmask_b32_e32 v22, v5, v13, vcc_lo
	v_cndmask_b32_e64 v1, v1, v9, s4
	v_cmp_eq_u32_e32 vcc_lo, 2, v77
	v_cndmask_b32_e64 v5, v5, v13, s4
	v_cmp_eq_u32_e64 s4, 2, v78
	v_cndmask_b32_e64 v9, v17, v2, s5
	v_cndmask_b32_e64 v13, v18, v6, s5
	v_cmp_eq_u32_e64 s5, 3, v78
	v_cndmask_b32_e32 v1, v1, v2, vcc_lo
	v_cndmask_b32_e64 v17, v19, v2, s4
	v_cndmask_b32_e64 v18, v20, v6, s4
	;; [unrolled: 1-line block ×4, first 2 shown]
	v_cndmask_b32_e32 v2, v5, v6, vcc_lo
	v_cmp_eq_u32_e32 vcc_lo, 3, v76
	v_cmp_eq_u32_e64 s4, 3, v77
	v_cndmask_b32_e64 v5, v9, v10, s6
	v_cndmask_b32_e64 v6, v13, v14, s6
	;; [unrolled: 1-line block ×4, first 2 shown]
	v_cndmask_b32_e32 v17, v19, v10, vcc_lo
	v_cmp_eq_u32_e64 s3, 4, v76
	v_cndmask_b32_e32 v18, v20, v14, vcc_lo
	v_cndmask_b32_e64 v1, v1, v10, s4
	v_cmp_eq_u32_e32 vcc_lo, 4, v77
	v_cmp_eq_u32_e64 s5, 4, v75
	v_cndmask_b32_e64 v2, v2, v14, s4
	v_cmp_eq_u32_e64 s4, 4, v78
	v_lshrrev_b32_e32 v15, 16, v7
	v_cmp_eq_u32_e64 s6, 5, v75
	v_cndmask_b32_e64 v5, v5, v3, s5
	v_cndmask_b32_e64 v6, v6, v7, s5
	;; [unrolled: 1-line block ×3, first 2 shown]
	v_cmp_eq_u32_e64 s5, 5, v78
	v_cndmask_b32_e64 v10, v13, v7, s4
	v_cndmask_b32_e64 v13, v17, v3, s3
	;; [unrolled: 1-line block ×3, first 2 shown]
	v_cmp_eq_u32_e64 s4, 5, v76
	v_cndmask_b32_e32 v1, v1, v3, vcc_lo
	v_cndmask_b32_e32 v2, v2, v7, vcc_lo
	v_cmp_eq_u32_e32 vcc_lo, 5, v77
	v_cndmask_b32_e64 v5, v5, v11, s6
	v_cmp_eq_u32_e64 s3, 6, v75
	v_cndmask_b32_e64 v6, v6, v15, s6
	v_cndmask_b32_e64 v9, v9, v11, s5
	;; [unrolled: 1-line block ×4, first 2 shown]
	v_cmp_eq_u32_e64 s5, 6, v78
	v_cndmask_b32_e64 v3, v14, v15, s4
	v_cndmask_b32_e32 v1, v1, v11, vcc_lo
	v_cmp_eq_u32_e64 s4, 6, v77
	v_cndmask_b32_e32 v2, v2, v15, vcc_lo
	v_lshrrev_b32_e32 v12, 16, v4
	v_cndmask_b32_e64 v5, v5, v4, s3
	v_cndmask_b32_e64 v9, v9, v4, s5
	v_cndmask_b32_e64 v6, v6, v8, s3
	v_cmp_eq_u32_e64 s3, 7, v75
	v_cmp_eq_u32_e64 s6, 7, v78
	v_cndmask_b32_e64 v7, v13, v4, s7
	v_cndmask_b32_e64 v3, v3, v8, s7
	;; [unrolled: 1-line block ×3, first 2 shown]
	v_cmp_eq_u32_e32 vcc_lo, 7, v77
	v_cndmask_b32_e64 v2, v2, v8, s4
	v_cmp_eq_u32_e64 s4, 7, v76
	v_cndmask_b32_e64 v4, v10, v8, s5
	v_cndmask_b32_e64 v5, v5, v12, s3
	;; [unrolled: 1-line block ×3, first 2 shown]
	v_cndmask_b32_e32 v2, v2, v16, vcc_lo
	v_cndmask_b32_e64 v7, v7, v12, s4
	v_cndmask_b32_e32 v1, v1, v12, vcc_lo
	v_cndmask_b32_e64 v3, v3, v16, s4
	v_cndmask_b32_e64 v8, v4, v16, s6
	;; [unrolled: 1-line block ×3, first 2 shown]
	v_cmp_gt_u32_e32 vcc_lo, 32, v0
	v_perm_b32 v4, v2, v1, 0x5040100
	v_perm_b32 v3, v3, v7, 0x5040100
	;; [unrolled: 1-line block ×4, first 2 shown]
	s_and_b32 s2, vcc_lo, s2
	ds_store_b128 v80, v[1:4]
	s_waitcnt lgkmcnt(0)
	s_barrier
	buffer_gl0_inv
	s_and_saveexec_b32 s3, s2
	s_cbranch_execz .LBB986_2
; %bb.14:
	s_load_b64 s[0:1], s[0:1], 0x68
	v_lshlrev_b32_e32 v1, 10, v0
	v_and_b32_e32 v0, 1, v0
	v_lshlrev_b32_e32 v2, 6, v74
	s_lshl_b32 s4, s36, 7
	s_delay_alu instid0(VALU_DEP_3) | instskip(NEXT) | instid1(VALU_DEP_3)
	v_and_b32_e32 v1, 0x3800, v1
	v_lshlrev_b32_e32 v0, 4, v0
	s_mul_i32 s2, s4, s34
	s_delay_alu instid0(SALU_CYCLE_1) | instskip(NEXT) | instid1(VALU_DEP_1)
	s_mul_i32 s2, s2, s37
	v_or3_b32 v0, v1, v2, v0
	s_ashr_i32 s3, s2, 31
	s_delay_alu instid0(SALU_CYCLE_1)
	s_lshl_b64 s[2:3], s[2:3], 1
	ds_load_b128 v[0:3], v0
	s_waitcnt lgkmcnt(0)
	s_add_u32 s5, s0, s2
	s_addc_u32 s3, s1, s3
	s_lshl_b32 s0, s14, 7
	s_mul_i32 s2, s4, s15
	s_ashr_i32 s1, s0, 31
	s_delay_alu instid0(SALU_CYCLE_1) | instskip(NEXT) | instid1(SALU_CYCLE_1)
	s_lshl_b64 s[0:1], s[0:1], 1
	s_add_u32 s4, s5, s0
	s_addc_u32 s5, s3, s1
	s_ashr_i32 s3, s2, 31
	s_delay_alu instid0(SALU_CYCLE_1) | instskip(NEXT) | instid1(SALU_CYCLE_1)
	s_lshl_b64 s[0:1], s[2:3], 1
	s_add_u32 s0, s4, s0
	s_addc_u32 s1, s5, s1
	global_store_b128 v73, v[0:3], s[0:1]
	s_nop 0
	s_sendmsg sendmsg(MSG_DEALLOC_VGPRS)
	s_endpgm
	.section	.rodata,"a",@progbits
	.p2align	6, 0x0
	.amdhsa_kernel _Z39paged_attention_ll4mi_QKV_mfma16_kernelIDF16_hLN4vllm18Fp8KVCacheDataTypeE1EDF16_Li16ELi128ELi256ELb1ELi1EL8MFMAType1EEvPKT_PKT0_S8_ifPKiSA_SA_iPKfiiiPfSD_PS3_PT2_iSC_SC_
		.amdhsa_group_segment_fixed_size 17472
		.amdhsa_private_segment_fixed_size 0
		.amdhsa_kernarg_size 400
		.amdhsa_user_sgpr_count 13
		.amdhsa_user_sgpr_dispatch_ptr 0
		.amdhsa_user_sgpr_queue_ptr 0
		.amdhsa_user_sgpr_kernarg_segment_ptr 1
		.amdhsa_user_sgpr_dispatch_id 0
		.amdhsa_user_sgpr_private_segment_size 0
		.amdhsa_wavefront_size32 1
		.amdhsa_uses_dynamic_stack 0
		.amdhsa_enable_private_segment 0
		.amdhsa_system_sgpr_workgroup_id_x 1
		.amdhsa_system_sgpr_workgroup_id_y 1
		.amdhsa_system_sgpr_workgroup_id_z 1
		.amdhsa_system_sgpr_workgroup_info 0
		.amdhsa_system_vgpr_workitem_id 0
		.amdhsa_next_free_vgpr 134
		.amdhsa_next_free_sgpr 66
		.amdhsa_reserve_vcc 1
		.amdhsa_float_round_mode_32 0
		.amdhsa_float_round_mode_16_64 0
		.amdhsa_float_denorm_mode_32 3
		.amdhsa_float_denorm_mode_16_64 3
		.amdhsa_dx10_clamp 1
		.amdhsa_ieee_mode 1
		.amdhsa_fp16_overflow 0
		.amdhsa_workgroup_processor_mode 1
		.amdhsa_memory_ordered 1
		.amdhsa_forward_progress 0
		.amdhsa_shared_vgpr_count 0
		.amdhsa_exception_fp_ieee_invalid_op 0
		.amdhsa_exception_fp_denorm_src 0
		.amdhsa_exception_fp_ieee_div_zero 0
		.amdhsa_exception_fp_ieee_overflow 0
		.amdhsa_exception_fp_ieee_underflow 0
		.amdhsa_exception_fp_ieee_inexact 0
		.amdhsa_exception_int_div_zero 0
	.end_amdhsa_kernel
	.section	.text._Z39paged_attention_ll4mi_QKV_mfma16_kernelIDF16_hLN4vllm18Fp8KVCacheDataTypeE1EDF16_Li16ELi128ELi256ELb1ELi1EL8MFMAType1EEvPKT_PKT0_S8_ifPKiSA_SA_iPKfiiiPfSD_PS3_PT2_iSC_SC_,"axG",@progbits,_Z39paged_attention_ll4mi_QKV_mfma16_kernelIDF16_hLN4vllm18Fp8KVCacheDataTypeE1EDF16_Li16ELi128ELi256ELb1ELi1EL8MFMAType1EEvPKT_PKT0_S8_ifPKiSA_SA_iPKfiiiPfSD_PS3_PT2_iSC_SC_,comdat
.Lfunc_end986:
	.size	_Z39paged_attention_ll4mi_QKV_mfma16_kernelIDF16_hLN4vllm18Fp8KVCacheDataTypeE1EDF16_Li16ELi128ELi256ELb1ELi1EL8MFMAType1EEvPKT_PKT0_S8_ifPKiSA_SA_iPKfiiiPfSD_PS3_PT2_iSC_SC_, .Lfunc_end986-_Z39paged_attention_ll4mi_QKV_mfma16_kernelIDF16_hLN4vllm18Fp8KVCacheDataTypeE1EDF16_Li16ELi128ELi256ELb1ELi1EL8MFMAType1EEvPKT_PKT0_S8_ifPKiSA_SA_iPKfiiiPfSD_PS3_PT2_iSC_SC_
                                        ; -- End function
	.section	.AMDGPU.csdata,"",@progbits
; Kernel info:
; codeLenInByte = 6440
; NumSgprs: 68
; NumVgprs: 134
; ScratchSize: 0
; MemoryBound: 1
; FloatMode: 240
; IeeeMode: 1
; LDSByteSize: 17472 bytes/workgroup (compile time only)
; SGPRBlocks: 8
; VGPRBlocks: 16
; NumSGPRsForWavesPerEU: 68
; NumVGPRsForWavesPerEU: 134
; Occupancy: 10
; WaveLimiterHint : 1
; COMPUTE_PGM_RSRC2:SCRATCH_EN: 0
; COMPUTE_PGM_RSRC2:USER_SGPR: 13
; COMPUTE_PGM_RSRC2:TRAP_HANDLER: 0
; COMPUTE_PGM_RSRC2:TGID_X_EN: 1
; COMPUTE_PGM_RSRC2:TGID_Y_EN: 1
; COMPUTE_PGM_RSRC2:TGID_Z_EN: 1
; COMPUTE_PGM_RSRC2:TIDIG_COMP_CNT: 0
	.section	.text._Z39paged_attention_ll4mi_QKV_mfma16_kernelIDF16_hLN4vllm18Fp8KVCacheDataTypeE1EDF16_Li16ELi128ELi256ELb1ELi2EL8MFMAType1EEvPKT_PKT0_S8_ifPKiSA_SA_iPKfiiiPfSD_PS3_PT2_iSC_SC_,"axG",@progbits,_Z39paged_attention_ll4mi_QKV_mfma16_kernelIDF16_hLN4vllm18Fp8KVCacheDataTypeE1EDF16_Li16ELi128ELi256ELb1ELi2EL8MFMAType1EEvPKT_PKT0_S8_ifPKiSA_SA_iPKfiiiPfSD_PS3_PT2_iSC_SC_,comdat
	.protected	_Z39paged_attention_ll4mi_QKV_mfma16_kernelIDF16_hLN4vllm18Fp8KVCacheDataTypeE1EDF16_Li16ELi128ELi256ELb1ELi2EL8MFMAType1EEvPKT_PKT0_S8_ifPKiSA_SA_iPKfiiiPfSD_PS3_PT2_iSC_SC_ ; -- Begin function _Z39paged_attention_ll4mi_QKV_mfma16_kernelIDF16_hLN4vllm18Fp8KVCacheDataTypeE1EDF16_Li16ELi128ELi256ELb1ELi2EL8MFMAType1EEvPKT_PKT0_S8_ifPKiSA_SA_iPKfiiiPfSD_PS3_PT2_iSC_SC_
	.globl	_Z39paged_attention_ll4mi_QKV_mfma16_kernelIDF16_hLN4vllm18Fp8KVCacheDataTypeE1EDF16_Li16ELi128ELi256ELb1ELi2EL8MFMAType1EEvPKT_PKT0_S8_ifPKiSA_SA_iPKfiiiPfSD_PS3_PT2_iSC_SC_
	.p2align	8
	.type	_Z39paged_attention_ll4mi_QKV_mfma16_kernelIDF16_hLN4vllm18Fp8KVCacheDataTypeE1EDF16_Li16ELi128ELi256ELb1ELi2EL8MFMAType1EEvPKT_PKT0_S8_ifPKiSA_SA_iPKfiiiPfSD_PS3_PT2_iSC_SC_,@function
_Z39paged_attention_ll4mi_QKV_mfma16_kernelIDF16_hLN4vllm18Fp8KVCacheDataTypeE1EDF16_Li16ELi128ELi256ELb1ELi2EL8MFMAType1EEvPKT_PKT0_S8_ifPKiSA_SA_iPKfiiiPfSD_PS3_PT2_iSC_SC_: ; @_Z39paged_attention_ll4mi_QKV_mfma16_kernelIDF16_hLN4vllm18Fp8KVCacheDataTypeE1EDF16_Li16ELi128ELi256ELb1ELi2EL8MFMAType1EEvPKT_PKT0_S8_ifPKiSA_SA_iPKfiiiPfSD_PS3_PT2_iSC_SC_
; %bb.0:
	s_load_b64 s[2:3], s[0:1], 0x30
	s_mov_b32 s34, s13
	s_waitcnt lgkmcnt(0)
	s_cmp_lg_u64 s[2:3], 0
	s_cselect_b32 s8, -1, 0
	s_ashr_i32 s35, s13, 31
	s_cmp_eq_u64 s[2:3], 0
	s_cbranch_scc1 .LBB987_3
; %bb.1:
	s_lshl_b64 s[4:5], s[34:35], 2
	s_delay_alu instid0(SALU_CYCLE_1) | instskip(SKIP_4) | instid1(SALU_CYCLE_1)
	s_add_u32 s4, s2, s4
	s_addc_u32 s5, s3, s5
	s_load_b64 s[4:5], s[4:5], 0x0
	s_waitcnt lgkmcnt(0)
	s_sub_i32 s4, s5, s4
	s_cmp_eq_u32 s4, 1
	s_cselect_b32 s4, -1, 0
	s_delay_alu instid0(SALU_CYCLE_1)
	s_and_not1_b32 vcc_lo, exec_lo, s4
	s_cbranch_vccz .LBB987_4
.LBB987_2:
	s_endpgm
.LBB987_3:
.LBB987_4:
	s_load_b64 s[4:5], s[0:1], 0x28
	s_lshl_b64 s[6:7], s[34:35], 2
	s_waitcnt lgkmcnt(0)
	s_add_u32 s4, s4, s6
	s_addc_u32 s5, s5, s7
	s_lshl_b32 s12, s14, 8
	s_load_b32 s24, s[4:5], 0x0
	s_waitcnt lgkmcnt(0)
	s_cmp_ge_i32 s12, s24
	s_cbranch_scc1 .LBB987_2
; %bb.5:
	s_clause 0x1
	s_load_b128 s[20:23], s[0:1], 0x8
	s_load_b64 s[4:5], s[0:1], 0x20
	s_and_not1_b32 vcc_lo, exec_lo, s8
	s_cbranch_vccnz .LBB987_7
; %bb.6:
	s_add_u32 s2, s2, s6
	s_addc_u32 s3, s3, s7
	s_load_b32 s3, s[2:3], 0x0
	s_branch .LBB987_8
.LBB987_7:
	s_mov_b32 s3, s34
.LBB987_8:
	s_load_b128 s[16:19], s[0:1], 0x48
	v_and_b32_e32 v70, 15, v0
	v_bfe_u32 v69, v0, 4, 1
	s_lshl_b32 s31, s15, 1
	v_and_b32_e32 v71, 31, v0
	v_and_b32_e32 v68, 1, v0
	v_lshlrev_b32_e32 v1, 3, v70
	v_cmp_gt_u32_e64 s2, 32, v0
	v_or_b32_e32 v67, s31, v69
	v_lshlrev_b32_e32 v66, 6, v69
	s_delay_alu instid0(VALU_DEP_4) | instskip(NEXT) | instid1(VALU_DEP_4)
	v_lshlrev_b32_e32 v65, 1, v1
	s_and_saveexec_b32 s6, s2
	s_cbranch_execz .LBB987_10
; %bb.9:
	s_load_b64 s[8:9], s[0:1], 0x0
	v_lshlrev_b32_e32 v1, 7, v67
	s_waitcnt lgkmcnt(0)
	s_mul_hi_i32 s11, s3, s16
	s_mul_i32 s10, s3, s16
	v_lshlrev_b32_e32 v5, 10, v70
	s_lshl_b64 s[10:11], s[10:11], 1
	v_ashrrev_i32_e32 v2, 31, v1
	v_lshlrev_b32_e32 v6, 10, v68
	s_delay_alu instid0(VALU_DEP_3) | instskip(NEXT) | instid1(VALU_DEP_3)
	v_and_b32_e32 v5, 0x3800, v5
	v_lshlrev_b64 v[1:2], 1, v[1:2]
	s_delay_alu instid0(VALU_DEP_2) | instskip(SKIP_2) | instid1(VALU_DEP_2)
	v_or3_b32 v5, v5, v6, v66
	s_add_u32 s3, s8, s10
	s_addc_u32 s7, s9, s11
	v_add_co_u32 v1, vcc_lo, s3, v1
	s_delay_alu instid0(VALU_DEP_3) | instskip(NEXT) | instid1(VALU_DEP_2)
	v_add_co_ci_u32_e32 v2, vcc_lo, s7, v2, vcc_lo
	v_add_co_u32 v1, vcc_lo, v1, v65
	s_delay_alu instid0(VALU_DEP_2)
	v_add_co_ci_u32_e32 v2, vcc_lo, 0, v2, vcc_lo
	global_load_b128 v[1:4], v[1:2], off
	s_waitcnt vmcnt(0)
	ds_store_b128 v5, v[1:4]
.LBB987_10:
	s_or_b32 exec_lo, exec_lo, s6
	v_and_b32_e32 v1, 0xef, v0
	s_waitcnt lgkmcnt(0)
	s_add_i32 s3, s24, 15
	s_clause 0x1
	s_load_b32 s6, s[0:1], 0x38
	s_load_b32 s33, s[0:1], 0x98
	s_ashr_i32 s7, s3, 31
	v_add_nc_u32_e32 v1, s12, v1
	s_lshr_b32 s7, s7, 28
	s_load_b32 s19, s[0:1], 0x1c
	s_add_i32 s3, s3, s7
	s_waitcnt lgkmcnt(0)
	v_ashrrev_i32_e32 v2, 31, v1
	v_or_b32_e32 v3, 16, v1
	s_ashr_i32 s3, s3, 4
	v_cmp_gt_i32_e32 vcc_lo, s24, v1
	s_add_i32 s3, s3, -1
	v_lshrrev_b32_e32 v2, 28, v2
	s_barrier
	buffer_gl0_inv
	s_mul_i32 s15, s15, s18
	v_lshlrev_b32_e32 v145, 6, v68
	v_add_nc_u32_e32 v4, v1, v2
	v_lshrrev_b32_e32 v72, 5, v0
	s_mul_i32 s6, s34, s6
	s_delay_alu instid0(SALU_CYCLE_1) | instskip(NEXT) | instid1(VALU_DEP_2)
	s_ashr_i32 s7, s6, 31
	v_ashrrev_i32_e32 v4, 4, v4
	v_add_nc_u32_e32 v2, v3, v2
	s_lshl_b64 s[6:7], s[6:7], 2
	s_delay_alu instid0(SALU_CYCLE_1) | instskip(NEXT) | instid1(VALU_DEP_2)
	s_add_u32 s13, s4, s6
	v_cndmask_b32_e32 v1, s3, v4, vcc_lo
	s_delay_alu instid0(VALU_DEP_2)
	v_ashrrev_i32_e32 v2, 4, v2
	v_cmp_gt_i32_e32 vcc_lo, s24, v3
	s_addc_u32 s16, s5, s7
	s_ashr_i32 s18, s15, 31
	s_add_u32 s25, s20, s15
	s_addc_u32 s28, s21, s18
	v_cndmask_b32_e32 v3, s3, v2, vcc_lo
	v_ashrrev_i32_e32 v2, 31, v1
	s_lshl_b32 s4, s14, 4
	s_delay_alu instid0(SALU_CYCLE_1) | instskip(NEXT) | instid1(VALU_DEP_2)
	s_ashr_i32 s5, s4, 31
	v_ashrrev_i32_e32 v4, 31, v3
	s_delay_alu instid0(VALU_DEP_2) | instskip(SKIP_1) | instid1(SALU_CYCLE_1)
	v_lshlrev_b64 v[1:2], 2, v[1:2]
	s_lshl_b64 s[4:5], s[4:5], 2
	s_add_u32 s4, s13, s4
	s_delay_alu instid0(VALU_DEP_2) | instskip(SKIP_1) | instid1(VALU_DEP_2)
	v_lshlrev_b64 v[3:4], 2, v[3:4]
	s_addc_u32 s5, s16, s5
	v_add_co_u32 v1, vcc_lo, s13, v1
	v_add_co_ci_u32_e32 v2, vcc_lo, s16, v2, vcc_lo
	s_delay_alu instid0(VALU_DEP_3) | instskip(NEXT) | instid1(VALU_DEP_4)
	v_add_co_u32 v3, vcc_lo, s13, v3
	v_add_co_ci_u32_e32 v4, vcc_lo, s16, v4, vcc_lo
	s_clause 0x1
	global_load_b32 v5, v[1:2], off
	global_load_b32 v7, v[3:4], off
	s_or_b32 s6, s12, 32
	v_lshlrev_b32_e32 v1, 4, v0
	s_ashr_i32 s7, s6, 4
	s_cmp_lt_i32 s6, s24
	s_cselect_b32 s6, s7, s3
	s_delay_alu instid0(VALU_DEP_1) | instskip(SKIP_1) | instid1(SALU_CYCLE_1)
	v_and_b32_e32 v1, 0xf0, v1
	s_ashr_i32 s7, s6, 31
	s_lshl_b64 s[6:7], s[6:7], 2
	s_delay_alu instid0(SALU_CYCLE_1)
	s_add_u32 s6, s13, s6
	s_addc_u32 s7, s16, s7
	s_or_b32 s8, s12, 64
	v_add_co_u32 v1, s25, s25, v1
	s_ashr_i32 s9, s8, 4
	s_cmp_lt_i32 s8, s24
	v_add_co_ci_u32_e64 v2, null, s28, 0, s25
	s_cselect_b32 s8, s9, s3
	s_delay_alu instid0(SALU_CYCLE_1) | instskip(NEXT) | instid1(SALU_CYCLE_1)
	s_ashr_i32 s9, s8, 31
	s_lshl_b64 s[8:9], s[8:9], 2
	s_delay_alu instid0(SALU_CYCLE_1) | instskip(SKIP_2) | instid1(SALU_CYCLE_1)
	s_add_u32 s8, s13, s8
	s_addc_u32 s9, s16, s9
	s_or_b32 s10, s12, 0x60
	s_ashr_i32 s11, s10, 4
	s_cmp_lt_i32 s10, s24
	s_cselect_b32 s10, s11, s3
	s_delay_alu instid0(SALU_CYCLE_1) | instskip(NEXT) | instid1(SALU_CYCLE_1)
	s_ashr_i32 s11, s10, 31
	s_lshl_b64 s[10:11], s[10:11], 2
	s_delay_alu instid0(SALU_CYCLE_1) | instskip(SKIP_2) | instid1(SALU_CYCLE_1)
	s_add_u32 s10, s13, s10
	s_addc_u32 s11, s16, s11
	s_or_b32 s20, s12, 0x80
	s_ashr_i32 s21, s20, 4
	s_cmp_lt_i32 s20, s24
	;; [unrolled: 10-line block ×3, first 2 shown]
	s_cselect_b32 s26, s27, s3
	s_delay_alu instid0(SALU_CYCLE_1) | instskip(NEXT) | instid1(SALU_CYCLE_1)
	s_ashr_i32 s27, s26, 31
	s_lshl_b64 s[26:27], s[26:27], 2
	s_delay_alu instid0(SALU_CYCLE_1)
	s_add_u32 s26, s13, s26
	s_addc_u32 s27, s16, s27
	s_clause 0x5
	s_load_b32 s25, s[4:5], 0x0
	s_load_b32 s28, s[6:7], 0x0
	;; [unrolled: 1-line block ×6, first 2 shown]
	s_or_b32 s7, s12, 0xc0
	s_mov_b32 s4, 0
	s_ashr_i32 s8, s7, 4
	s_cmp_lt_i32 s7, s24
	s_mov_b32 s5, s4
	s_cselect_b32 s10, s8, s3
	s_mov_b32 s6, s4
	s_ashr_i32 s11, s10, 31
	s_mov_b32 s7, s4
	s_lshl_b64 s[20:21], s[10:11], 2
	s_mov_b32 s11, s4
	s_add_u32 s20, s13, s20
	s_addc_u32 s21, s16, s21
	s_or_b32 s27, s12, 0xe0
	s_mov_b32 s8, s4
	s_ashr_i32 s36, s27, 4
	s_mov_b32 s9, s4
	s_mov_b32 s10, s4
	s_cmp_lt_i32 s27, s24
	v_mov_b32_e32 v120, s11
	v_dual_mov_b32 v114, s5 :: v_dual_mov_b32 v119, s10
	v_dual_mov_b32 v118, s9 :: v_dual_mov_b32 v117, s8
	;; [unrolled: 1-line block ×3, first 2 shown]
	v_mov_b32_e32 v113, s4
	s_cselect_b32 s4, s36, s3
	s_delay_alu instid0(SALU_CYCLE_1) | instskip(NEXT) | instid1(SALU_CYCLE_1)
	s_ashr_i32 s5, s4, 31
	s_lshl_b64 s[4:5], s[4:5], 2
	s_delay_alu instid0(SALU_CYCLE_1)
	s_add_u32 s4, s13, s4
	s_addc_u32 s5, s16, s5
	s_add_u32 s6, s22, s15
	s_addc_u32 s7, s23, s18
	s_waitcnt vmcnt(1)
	v_mad_i64_i32 v[3:4], null, v5, s17, v[1:2]
	s_waitcnt vmcnt(0)
	v_mad_i64_i32 v[5:6], null, v7, s17, v[1:2]
	v_lshlrev_b32_e32 v1, 4, v70
	s_clause 0xf
	global_load_b128 v[9:12], v[3:4], off
	global_load_b128 v[13:16], v[3:4], off offset:256
	global_load_b128 v[17:20], v[5:6], off
	global_load_b128 v[21:24], v[5:6], off offset:256
	global_load_b128 v[57:60], v[3:4], off offset:512
	;; [unrolled: 1-line block ×13, first 2 shown]
	ds_load_b128 v[25:28], v145
	ds_load_b128 v[29:32], v145 offset:1024
	s_load_b32 s3, s[20:21], 0x0
	ds_load_b128 v[121:124], v145 offset:2048
	ds_load_b128 v[125:128], v145 offset:3072
	s_load_b32 s4, s[4:5], 0x0
	v_lshl_or_b32 v1, v72, 8, v1
	s_delay_alu instid0(VALU_DEP_1) | instskip(NEXT) | instid1(VALU_DEP_1)
	v_add_co_u32 v129, s6, s6, v1
	v_add_co_ci_u32_e64 v130, null, s7, 0, s6
	s_waitcnt lgkmcnt(0)
	s_delay_alu instid0(VALU_DEP_1)
	v_mad_i64_i32 v[1:2], null, s25, s17, v[129:130]
	v_mad_i64_i32 v[3:4], null, s28, s17, v[129:130]
	;; [unrolled: 1-line block ×8, first 2 shown]
	s_clause 0x7
	global_load_b128 v[49:52], v[1:2], off
	global_load_b128 v[53:56], v[1:2], off offset:16
	global_load_b128 v[41:44], v[3:4], off
	global_load_b128 v[45:48], v[3:4], off offset:16
	;; [unrolled: 2-line block ×4, first 2 shown]
	s_waitcnt vmcnt(22)
	v_wmma_f32_16x16x16_f16 v[129:136], v[9:16], v[25:32], v[113:120]
	s_waitcnt vmcnt(20)
	v_wmma_f32_16x16x16_f16 v[113:120], v[17:24], v[25:32], v[113:120]
	s_clause 0x5
	global_load_b128 v[9:12], v[137:138], off
	global_load_b128 v[13:16], v[137:138], off offset:16
	global_load_b128 v[17:20], v[139:140], off
	global_load_b128 v[21:24], v[139:140], off offset:16
	;; [unrolled: 2-line block ×3, first 2 shown]
	v_mbcnt_lo_u32_b32 v137, -1, 0
	s_waitcnt vmcnt(24)
	v_wmma_f32_16x16x16_f16 v[129:136], v[57:64], v[121:128], v[129:136]
	s_clause 0x1
	global_load_b128 v[57:60], v[143:144], off
	global_load_b128 v[61:64], v[143:144], off offset:16
	s_waitcnt vmcnt(24)
	v_wmma_f32_16x16x16_f16 v[113:120], v[73:80], v[121:128], v[113:120]
	ds_load_b128 v[73:76], v145 offset:4096
	ds_load_b128 v[77:80], v145 offset:5120
	v_and_b32_e32 v121, 0xe0, v0
	v_xor_b32_e32 v139, 16, v137
	s_delay_alu instid0(VALU_DEP_2)
	v_add_nc_u32_e32 v138, s12, v121
	ds_load_b128 v[121:124], v145 offset:6144
	ds_load_b128 v[125:128], v145 offset:7168
	v_cmp_gt_i32_e32 vcc_lo, 32, v139
	s_waitcnt vmcnt(0) lgkmcnt(0)
	s_barrier
	v_or_b32_e32 v138, v138, v69
	buffer_gl0_inv
	v_or_b32_e32 v140, 4, v138
	v_or_b32_e32 v141, 6, v138
	;; [unrolled: 1-line block ×3, first 2 shown]
	v_wmma_f32_16x16x16_f16 v[129:136], v[81:88], v[73:80], v[129:136]
	v_wmma_f32_16x16x16_f16 v[113:120], v[89:96], v[73:80], v[113:120]
	v_or_b32_e32 v81, 10, v138
	v_cmp_gt_i32_e64 s4, s24, v140
	v_cmp_gt_i32_e64 s5, s24, v141
	v_or_b32_e32 v82, 12, v138
	v_or_b32_e32 v83, 14, v138
	v_wmma_f32_16x16x16_f16 v[129:136], v[97:104], v[121:128], v[129:136]
	v_wmma_f32_16x16x16_f16 v[113:120], v[105:112], v[121:128], v[113:120]
	v_cndmask_b32_e32 v137, v137, v139, vcc_lo
	v_or_b32_e32 v139, 2, v138
	v_cmp_gt_i32_e32 vcc_lo, s24, v138
	v_mul_f32_e32 v90, s19, v130
	v_dual_mul_f32 v92, s19, v120 :: v_dual_mul_f32 v91, s19, v129
	s_delay_alu instid0(VALU_DEP_4) | instskip(SKIP_2) | instid1(VALU_DEP_4)
	v_cmp_gt_i32_e64 s3, s24, v139
	v_dual_mul_f32 v80, s19, v132 :: v_dual_mul_f32 v89, s19, v131
	v_mul_f32_e32 v78, s19, v134
	v_cndmask_b32_e32 v91, 0xff7fffff, v91, vcc_lo
	s_delay_alu instid0(VALU_DEP_4) | instskip(SKIP_3) | instid1(VALU_DEP_4)
	v_cndmask_b32_e64 v90, 0xff7fffff, v90, s3
	v_dual_mul_f32 v79, s19, v133 :: v_dual_mul_f32 v98, s19, v114
	v_cndmask_b32_e64 v89, 0xff7fffff, v89, s4
	v_cndmask_b32_e64 v80, 0xff7fffff, v80, s5
	v_max3_f32 v90, v91, 0xff7fffff, v90
	v_cmp_gt_i32_e64 s6, s24, v142
	v_cmp_gt_i32_e64 s7, s24, v81
	v_or_b32_e32 v84, 16, v138
	v_or_b32_e32 v85, 18, v138
	v_dual_mul_f32 v76, s19, v136 :: v_dual_mul_f32 v77, s19, v135
	v_mul_f32_e32 v96, s19, v116
	v_cndmask_b32_e64 v79, 0xff7fffff, v79, s6
	v_cndmask_b32_e64 v78, 0xff7fffff, v78, s7
	v_max3_f32 v80, v90, v89, v80
	v_cmp_gt_i32_e64 s8, s24, v82
	v_cmp_gt_i32_e64 s9, s24, v83
	v_or_b32_e32 v86, 20, v138
	v_or_b32_e32 v87, 22, v138
	v_mul_f32_e32 v99, s19, v113
	v_cndmask_b32_e64 v77, 0xff7fffff, v77, s8
	v_cndmask_b32_e64 v76, 0xff7fffff, v76, s9
	v_max3_f32 v78, v80, v79, v78
	v_cmp_gt_i32_e64 s10, s24, v84
	v_cmp_gt_i32_e64 s11, s24, v85
	v_or_b32_e32 v88, 24, v138
	v_or_b32_e32 v73, 26, v138
	;; [unrolled: 8-line block ×3, first 2 shown]
	v_dual_mul_f32 v94, s19, v118 :: v_dual_mul_f32 v95, s19, v117
	v_cndmask_b32_e64 v77, 0xff7fffff, v97, s12
	v_cndmask_b32_e64 v78, 0xff7fffff, v96, s13
	v_max3_f32 v76, v76, v79, v80
	v_cmp_gt_i32_e64 s15, s24, v88
	v_cmp_gt_i32_e64 s16, s24, v73
	v_mul_f32_e32 v93, s19, v119
	v_cmp_gt_i32_e64 s17, s24, v74
	v_max3_f32 v76, v76, v77, v78
	v_cndmask_b32_e64 v79, 0xff7fffff, v95, s15
	v_cndmask_b32_e64 v73, 0xff7fffff, v94, s16
	v_cmp_gt_i32_e64 s18, s24, v75
	v_cndmask_b32_e64 v74, 0xff7fffff, v93, s17
	s_delay_alu instid0(VALU_DEP_3) | instskip(NEXT) | instid1(VALU_DEP_3)
	v_max3_f32 v73, v76, v79, v73
	v_cndmask_b32_e64 v75, 0xff7fffff, v92, s18
	v_lshlrev_b32_e32 v76, 2, v137
	s_delay_alu instid0(VALU_DEP_2) | instskip(SKIP_3) | instid1(VALU_DEP_1)
	v_max3_f32 v73, v73, v74, v75
	ds_bpermute_b32 v74, v76, v73
	s_waitcnt lgkmcnt(0)
	v_max_f32_e32 v74, v74, v74
	v_max_f32_e32 v73, v73, v74
	s_delay_alu instid0(VALU_DEP_1) | instskip(SKIP_4) | instid1(VALU_DEP_4)
	v_fma_f32 v74, s19, v129, -v73
	v_fma_f32 v83, s19, v135, -v73
	;; [unrolled: 1-line block ×5, first 2 shown]
	v_dual_mul_f32 v74, 0x3fb8aa3b, v74 :: v_dual_mul_f32 v83, 0x3fb8aa3b, v83
	s_delay_alu instid0(VALU_DEP_4) | instskip(NEXT) | instid1(VALU_DEP_4)
	v_mul_f32_e32 v75, 0x3fb8aa3b, v75
	v_mul_f32_e32 v77, 0x3fb8aa3b, v77
	v_fma_f32 v80, s19, v133, -v73
	s_delay_alu instid0(VALU_DEP_4)
	v_exp_f32_e32 v74, v74
	v_exp_f32_e32 v85, v83
	;; [unrolled: 1-line block ×3, first 2 shown]
	v_mul_f32_e32 v78, 0x3fb8aa3b, v78
	v_exp_f32_e32 v77, v77
	v_mul_f32_e32 v80, 0x3fb8aa3b, v80
	s_delay_alu instid0(VALU_DEP_2) | instskip(NEXT) | instid1(VALU_DEP_1)
	v_exp_f32_e32 v82, v78
	v_exp_f32_e32 v84, v80
	v_cndmask_b32_e64 v85, 0, v85, s8
	v_cndmask_b32_e32 v79, 0, v74, vcc_lo
	v_fma_f32 v74, s19, v134, -v73
	v_cndmask_b32_e64 v78, 0, v75, s3
	s_delay_alu instid0(TRANS32_DEP_3) | instskip(SKIP_1) | instid1(VALU_DEP_3)
	v_cndmask_b32_e64 v81, 0, v77, s4
	s_mov_b32 s3, exec_lo
	v_dual_add_f32 v75, 0, v79 :: v_dual_mul_f32 v74, 0x3fb8aa3b, v74
	s_delay_alu instid0(TRANS32_DEP_2) | instskip(SKIP_2) | instid1(VALU_DEP_4)
	v_cndmask_b32_e64 v80, 0, v82, s5
	v_fma_f32 v82, s19, v113, -v73
	v_cndmask_b32_e64 v83, 0, v84, s6
	v_add_f32_e32 v75, v75, v78
	v_exp_f32_e32 v74, v74
	s_delay_alu instid0(VALU_DEP_1) | instskip(NEXT) | instid1(VALU_DEP_1)
	v_dual_mul_f32 v86, 0x3fb8aa3b, v82 :: v_dual_add_f32 v75, v75, v81
	v_exp_f32_e32 v86, v86
	s_delay_alu instid0(VALU_DEP_1)
	v_add_f32_e32 v75, v75, v80
	s_waitcnt_depctr 0xfff
	v_cndmask_b32_e64 v82, 0, v74, s7
	v_add_f32_e32 v74, v75, v83
	v_fma_f32 v77, s19, v136, -v73
	v_fma_f32 v90, s19, v118, -v73
	;; [unrolled: 1-line block ×4, first 2 shown]
	s_delay_alu instid0(VALU_DEP_4) | instskip(NEXT) | instid1(VALU_DEP_4)
	v_dual_add_f32 v74, v74, v82 :: v_dual_mul_f32 v77, 0x3fb8aa3b, v77
	v_mul_f32_e32 v90, 0x3fb8aa3b, v90
	s_delay_alu instid0(VALU_DEP_4) | instskip(SKIP_1) | instid1(VALU_DEP_4)
	v_mul_f32_e32 v84, 0x3fb8aa3b, v84
	v_fma_f32 v87, s19, v116, -v73
	v_add_f32_e32 v74, v74, v85
	v_exp_f32_e32 v77, v77
	v_exp_f32_e32 v90, v90
	;; [unrolled: 1-line block ×3, first 2 shown]
	v_mul_f32_e32 v89, 0x3fb8aa3b, v87
	v_cndmask_b32_e64 v87, 0, v86, s10
	v_fma_f32 v92, s19, v120, -v73
	s_delay_alu instid0(VALU_DEP_3) | instskip(SKIP_1) | instid1(TRANS32_DEP_3)
	v_exp_f32_e32 v91, v89
	v_cndmask_b32_e64 v84, 0, v77, s9
	v_cndmask_b32_e64 v90, 0, v90, s16
	v_mul_f32_e32 v75, 0x3fb8aa3b, v75
	v_fma_f32 v77, s19, v117, -v73
	s_delay_alu instid0(TRANS32_DEP_2) | instskip(SKIP_3) | instid1(VALU_DEP_2)
	v_cndmask_b32_e64 v86, 0, v88, s11
	v_add_f32_e32 v74, v74, v84
	v_fma_f32 v88, s19, v119, -v73
	v_exp_f32_e32 v75, v75
	v_dual_mul_f32 v77, 0x3fb8aa3b, v77 :: v_dual_add_f32 v74, v74, v87
	s_delay_alu instid0(VALU_DEP_1) | instskip(NEXT) | instid1(VALU_DEP_1)
	v_exp_f32_e32 v77, v77
	v_add_f32_e32 v74, v74, v86
	s_waitcnt_depctr 0xfff
	v_cndmask_b32_e64 v89, 0, v75, s12
	v_mul_f32_e32 v75, 0x3fb8aa3b, v88
	v_cndmask_b32_e64 v88, 0, v91, s13
	s_delay_alu instid0(VALU_DEP_3) | instskip(NEXT) | instid1(VALU_DEP_3)
	v_add_f32_e32 v74, v74, v89
	v_exp_f32_e32 v75, v75
	v_cndmask_b32_e64 v91, 0, v77, s15
	v_mul_f32_e32 v77, 0x3fb8aa3b, v92
	s_delay_alu instid0(VALU_DEP_3) | instskip(NEXT) | instid1(VALU_DEP_2)
	v_add_f32_e32 v74, v74, v88
	v_exp_f32_e32 v77, v77
	s_delay_alu instid0(VALU_DEP_1) | instskip(SKIP_4) | instid1(VALU_DEP_2)
	v_add_f32_e32 v74, v74, v91
	s_waitcnt_depctr 0xfff
	v_cndmask_b32_e64 v93, 0, v75, s17
	v_add_f32_e32 v74, v74, v90
	v_cndmask_b32_e64 v92, 0, v77, s18
	v_add_f32_e32 v74, v74, v93
	s_delay_alu instid0(VALU_DEP_1)
	v_add_f32_e32 v74, v74, v92
	ds_bpermute_b32 v75, v76, v74
	v_cmpx_gt_u32_e32 16, v71
	s_cbranch_execz .LBB987_12
; %bb.11:
	v_mul_u32_u24_e32 v71, 0x44, v72
	s_waitcnt lgkmcnt(0)
	v_add_f32_e32 v74, v74, v75
	s_delay_alu instid0(VALU_DEP_2) | instskip(NEXT) | instid1(VALU_DEP_1)
	v_lshl_add_u32 v71, v70, 2, v71
	v_add_nc_u32_e32 v71, 0x4000, v71
	ds_store_2addr_b32 v71, v73, v74 offset1:136
.LBB987_12:
	s_or_b32 exec_lo, exec_lo, s3
	v_lshlrev_b32_e32 v71, 2, v70
	s_load_b32 s35, s[0:1], 0x94
	s_waitcnt lgkmcnt(0)
	s_barrier
	buffer_gl0_inv
	v_add_nc_u32_e32 v71, 0x4000, v71
	v_cmp_eq_u32_e32 vcc_lo, 1, v72
	v_cmp_eq_u32_e64 s3, 2, v72
	v_cmp_eq_u32_e64 s4, 3, v72
	;; [unrolled: 1-line block ×3, first 2 shown]
	ds_load_2addr_b32 v[73:74], v71 offset1:17
	ds_load_2addr_b32 v[94:95], v71 offset0:34 offset1:51
	ds_load_2addr_b32 v[96:97], v71 offset0:68 offset1:85
	;; [unrolled: 1-line block ×3, first 2 shown]
	v_cmp_eq_u32_e64 s6, 5, v72
	v_cmp_eq_u32_e64 s7, 7, v72
	s_waitcnt lgkmcnt(3)
	v_max3_f32 v75, v73, 0xff7fffff, v74
	s_waitcnt lgkmcnt(2)
	s_delay_alu instid0(VALU_DEP_1) | instskip(SKIP_1) | instid1(VALU_DEP_1)
	v_max3_f32 v75, v75, v94, v95
	s_waitcnt lgkmcnt(1)
	v_max3_f32 v75, v75, v96, v97
	s_waitcnt lgkmcnt(0)
	s_delay_alu instid0(VALU_DEP_1) | instskip(NEXT) | instid1(VALU_DEP_1)
	v_max3_f32 v76, v75, v98, v99
	v_sub_f32_e32 v96, v96, v76
	ds_load_2addr_b32 v[100:101], v71 offset0:136 offset1:153
	v_sub_f32_e32 v73, v73, v76
	v_sub_f32_e32 v75, v74, v76
	;; [unrolled: 1-line block ×3, first 2 shown]
	v_mul_f32_e32 v105, 0x3fb8aa3b, v96
	s_delay_alu instid0(VALU_DEP_4)
	v_mul_f32_e32 v77, 0x3fb8aa3b, v73
	ds_load_2addr_b32 v[73:74], v71 offset0:170 offset1:187
	v_mul_f32_e32 v103, 0x3fb8aa3b, v94
	v_exp_f32_e32 v102, v77
	v_sub_f32_e32 v77, v95, v76
	ds_load_2addr_b32 v[94:95], v71 offset0:204 offset1:221
	v_exp_f32_e32 v103, v103
	v_mul_f32_e32 v104, 0x3fb8aa3b, v77
	s_waitcnt lgkmcnt(2)
	v_fma_f32 v77, v102, v100, 0
	v_dual_sub_f32 v100, v97, v76 :: v_dual_mul_f32 v75, 0x3fb8aa3b, v75
	ds_load_2addr_b32 v[96:97], v71 offset0:238 offset1:255
	v_sub_f32_e32 v71, v98, v76
	v_exp_f32_e32 v104, v104
	v_mul_f32_e32 v98, 0x3fb8aa3b, v100
	v_exp_f32_e32 v75, v75
	v_exp_f32_e32 v100, v105
	v_mul_f32_e32 v71, 0x3fb8aa3b, v71
	s_waitcnt lgkmcnt(0)
	v_exp_f32_e32 v98, v98
	s_barrier
	buffer_gl0_inv
	v_fmac_f32_e32 v77, v75, v101
	s_delay_alu instid0(VALU_DEP_1) | instskip(SKIP_2) | instid1(VALU_DEP_2)
	v_fmac_f32_e32 v77, v103, v73
	v_sub_f32_e32 v73, v99, v76
	v_exp_f32_e32 v99, v71
	v_fmac_f32_e32 v77, v104, v74
	s_delay_alu instid0(VALU_DEP_2) | instskip(NEXT) | instid1(VALU_DEP_2)
	v_dual_mul_f32 v73, 0x3fb8aa3b, v73 :: v_dual_lshlrev_b32 v74, 6, v70
	v_dual_fmac_f32 v77, v100, v94 :: v_dual_lshlrev_b32 v70, 2, v69
	s_delay_alu instid0(VALU_DEP_2) | instskip(SKIP_1) | instid1(VALU_DEP_3)
	v_exp_f32_e32 v94, v73
	v_cndmask_b32_e32 v73, v102, v75, vcc_lo
	v_lshl_or_b32 v75, v72, 11, v74
	s_delay_alu instid0(VALU_DEP_3) | instskip(SKIP_1) | instid1(VALU_DEP_3)
	v_cmp_eq_u32_e64 s8, 7, v70
	v_fmac_f32_e32 v77, v98, v95
	v_lshl_or_b32 v69, v69, 4, v75
	s_delay_alu instid0(VALU_DEP_2)
	v_fmac_f32_e32 v77, v99, v96
	s_delay_alu instid0(TRANS32_DEP_1) | instid1(VALU_DEP_1)
	v_fmac_f32_e32 v77, v94, v97
	s_delay_alu instid0(VALU_DEP_1) | instskip(NEXT) | instid1(VALU_DEP_1)
	v_add_f32_e32 v95, 0x358637bd, v77
	v_div_scale_f32 v96, null, v95, v95, 1.0
	v_div_scale_f32 v101, vcc_lo, 1.0, v95, 1.0
	s_delay_alu instid0(VALU_DEP_2) | instskip(SKIP_2) | instid1(VALU_DEP_1)
	v_rcp_f32_e32 v97, v96
	s_waitcnt_depctr 0xfff
	v_fma_f32 v71, -v96, v97, 1.0
	v_fmac_f32_e32 v97, v71, v97
	v_cndmask_b32_e64 v71, v73, v103, s3
	v_cmp_eq_u32_e64 s3, 6, v72
	v_or_b32_e32 v73, 1, v70
	v_or_b32_e32 v72, 3, v70
	v_mul_f32_e32 v102, v101, v97
	v_cndmask_b32_e64 v71, v71, v104, s4
	v_cmp_eq_u32_e64 s4, 1, v70
	v_cmp_eq_u32_e64 s9, 1, v73
	;; [unrolled: 1-line block ×3, first 2 shown]
	v_fma_f32 v103, -v96, v102, v101
	v_cndmask_b32_e64 v100, v71, v100, s5
	v_or_b32_e32 v71, 2, v70
	v_cmp_eq_u32_e64 s5, 2, v70
	v_cmp_eq_u32_e64 s12, 2, v73
	v_fmac_f32_e32 v102, v103, v97
	v_cndmask_b32_e64 v98, v100, v98, s6
	v_cmp_eq_u32_e64 s10, 1, v71
	v_cmp_eq_u32_e64 s15, 2, v71
	;; [unrolled: 1-line block ×3, first 2 shown]
	v_fma_f32 v96, -v96, v102, v101
	v_cndmask_b32_e64 v98, v98, v99, s3
	v_cmp_eq_u32_e64 s13, 3, v73
	v_cmp_eq_u32_e64 s18, 3, v72
	;; [unrolled: 1-line block ×3, first 2 shown]
	v_div_fmas_f32 v96, v96, v97, v102
	v_cndmask_b32_e64 v94, v98, v94, s7
	v_cmp_eq_u32_e32 vcc_lo, 3, v70
	v_cmp_eq_u32_e64 s17, 3, v71
	v_cmp_eq_u32_e64 s19, 4, v73
	v_div_fixup_f32 v95, v96, v95, 1.0
	v_cmp_eq_u32_e64 s22, 4, v72
	v_cmp_eq_u32_e64 s6, 5, v70
	;; [unrolled: 1-line block ×4, first 2 shown]
	v_mul_f32_e32 v102, v94, v95
	v_cmp_eq_u32_e64 s24, 5, v72
	v_cmp_eq_u32_e64 s23, 5, v71
	;; [unrolled: 1-line block ×4, first 2 shown]
	v_fma_mixlo_f16 v94, v102, v79, 0
	v_fma_mixlo_f16 v95, v102, v81, 0
	;; [unrolled: 1-line block ×8, first 2 shown]
	v_fma_mixhi_f16 v94, v102, v78, 0
	v_fma_mixhi_f16 v95, v102, v80, 0
	;; [unrolled: 1-line block ×8, first 2 shown]
	ds_store_b128 v69, v[94:97]
	ds_store_b128 v69, v[98:101] offset:1024
	s_waitcnt lgkmcnt(0)
	s_barrier
	buffer_gl0_inv
	ds_load_b128 v[78:81], v75
	ds_load_b128 v[82:85], v75 offset:16
	ds_load_b128 v[86:89], v75 offset:1024
	;; [unrolled: 1-line block ×3, first 2 shown]
	v_cmp_eq_u32_e64 s7, 6, v70
	v_cmp_eq_u32_e64 s26, 6, v71
	;; [unrolled: 1-line block ×5, first 2 shown]
	s_waitcnt lgkmcnt(3)
	v_lshrrev_b32_e32 v94, 16, v78
	s_waitcnt lgkmcnt(2)
	v_lshrrev_b32_e32 v98, 16, v82
	;; [unrolled: 2-line block ×4, first 2 shown]
	v_lshrrev_b32_e32 v95, 16, v79
	v_cndmask_b32_e64 v110, v78, v94, s4
	v_cndmask_b32_e64 v111, v82, v98, s4
	;; [unrolled: 1-line block ×8, first 2 shown]
	v_lshrrev_b32_e32 v99, 16, v83
	v_cndmask_b32_e64 v94, v86, v102, s4
	v_cndmask_b32_e64 v98, v90, v106, s4
	v_cndmask_b32_e64 v116, v86, v102, s9
	v_cndmask_b32_e64 v117, v90, v106, s9
	v_cndmask_b32_e64 v118, v86, v102, s10
	v_cndmask_b32_e64 v119, v90, v106, s10
	v_cndmask_b32_e64 v86, v86, v102, s11
	v_cndmask_b32_e64 v90, v90, v106, s11
	v_cndmask_b32_e64 v102, v110, v79, s5
	v_cndmask_b32_e64 v106, v111, v83, s5
	v_cndmask_b32_e64 v110, v112, v79, s12
	v_cndmask_b32_e64 v111, v113, v83, s12
	v_cndmask_b32_e64 v112, v114, v79, s15
	v_cndmask_b32_e64 v78, v78, v79, s16
	v_cndmask_b32_e64 v79, v82, v83, s16
	v_lshrrev_b32_e32 v103, 16, v87
	v_lshrrev_b32_e32 v107, 16, v91
	v_cndmask_b32_e64 v113, v115, v83, s15
	v_cndmask_b32_e64 v82, v94, v87, s5
	v_cndmask_b32_e64 v83, v98, v91, s5
	v_cndmask_b32_e64 v94, v116, v87, s12
	v_cndmask_b32_e64 v98, v118, v87, s15
	v_cndmask_b32_e64 v86, v86, v87, s16
	v_cndmask_b32_e64 v87, v90, v91, s16
	v_cndmask_b32_e32 v90, v102, v95, vcc_lo
	v_cndmask_b32_e32 v102, v106, v99, vcc_lo
	v_cndmask_b32_e64 v106, v110, v95, s13
	v_cndmask_b32_e64 v110, v111, v99, s13
	;; [unrolled: 1-line block ×4, first 2 shown]
	v_lshrrev_b32_e32 v96, 16, v80
	v_lshrrev_b32_e32 v100, 16, v84
	v_cndmask_b32_e64 v111, v112, v95, s17
	v_cndmask_b32_e64 v112, v113, v99, s17
	v_cndmask_b32_e32 v82, v82, v103, vcc_lo
	v_cndmask_b32_e32 v83, v83, v107, vcc_lo
	v_cndmask_b32_e64 v94, v94, v103, s13
	v_cndmask_b32_e64 v90, v90, v80, s3
	;; [unrolled: 1-line block ×7, first 2 shown]
	v_lshrrev_b32_e32 v104, 16, v88
	v_cndmask_b32_e64 v106, v111, v80, s21
	v_cndmask_b32_e64 v110, v112, v84, s21
	;; [unrolled: 1-line block ×11, first 2 shown]
	v_lshrrev_b32_e32 v97, 16, v81
	v_lshrrev_b32_e32 v101, 16, v85
	v_cndmask_b32_e64 v99, v106, v96, s23
	v_cndmask_b32_e64 v102, v110, v100, s23
	;; [unrolled: 1-line block ×7, first 2 shown]
	v_lshrrev_b32_e32 v105, 16, v89
	v_cndmask_b32_e64 v80, v80, v104, s6
	v_cndmask_b32_e64 v84, v84, v81, s7
	;; [unrolled: 1-line block ×16, first 2 shown]
	v_perm_b32 v81, v79, v78, 0x5040100
	v_perm_b32 v79, v95, v85, 0x5040100
	v_cndmask_b32_e64 v78, v119, v91, s15
	v_cndmask_b32_e64 v85, v117, v91, s12
	v_cndmask_b32_e64 v96, v80, v105, s8
	v_perm_b32 v80, v94, v90, 0x5040100
	v_cndmask_b32_e64 v90, v98, v103, s17
	v_cndmask_b32_e64 v86, v86, v103, s18
	;; [unrolled: 1-line block ×5, first 2 shown]
	v_lshrrev_b32_e32 v108, 16, v92
	v_cndmask_b32_e64 v90, v90, v88, s21
	v_cndmask_b32_e64 v86, v86, v88, s22
	;; [unrolled: 1-line block ×11, first 2 shown]
	v_lshrrev_b32_e32 v109, 16, v93
	v_cndmask_b32_e64 v82, v82, v93, s7
	v_cndmask_b32_e64 v88, v88, v89, s26
	;; [unrolled: 1-line block ×12, first 2 shown]
	v_perm_b32 v78, v84, v83, 0x5040100
	v_perm_b32 v85, v87, v86, 0x5040100
	;; [unrolled: 1-line block ×5, first 2 shown]
	s_lshl_b32 s8, s33, 1
	s_mov_b32 s3, exec_lo
	ds_store_b128 v69, v[78:81]
	ds_store_b128 v69, v[82:85] offset:1024
	v_cmpx_gt_u32_e32 2, v0
	s_cbranch_execz .LBB987_14
; %bb.13:
	v_or_b32_e32 v78, s31, v0
	s_load_b128 s[4:7], s[0:1], 0x58
	s_delay_alu instid0(VALU_DEP_1) | instskip(NEXT) | instid1(VALU_DEP_1)
	v_mad_u64_u32 v[79:80], null, s8, s34, v[78:79]
	v_mad_u64_u32 v[80:81], null, v79, s35, s[14:15]
	s_delay_alu instid0(VALU_DEP_1) | instskip(NEXT) | instid1(VALU_DEP_1)
	v_ashrrev_i32_e32 v81, 31, v80
	v_lshlrev_b64 v[78:79], 2, v[80:81]
	s_waitcnt lgkmcnt(0)
	s_delay_alu instid0(VALU_DEP_1) | instskip(NEXT) | instid1(VALU_DEP_2)
	v_add_co_u32 v80, vcc_lo, s6, v78
	v_add_co_ci_u32_e32 v81, vcc_lo, s7, v79, vcc_lo
	v_add_co_u32 v78, vcc_lo, s4, v78
	v_add_co_ci_u32_e32 v79, vcc_lo, s5, v79, vcc_lo
	global_store_b32 v[80:81], v76, off
	global_store_b32 v[78:79], v77, off
.LBB987_14:
	s_or_b32 exec_lo, exec_lo, s3
	s_waitcnt lgkmcnt(0)
	s_waitcnt_vscnt null, 0x0
	s_barrier
	buffer_gl0_inv
	ds_load_b128 v[84:87], v74
	ds_load_b128 v[88:91], v74 offset:16
	ds_load_b128 v[96:99], v74 offset:2064
	;; [unrolled: 1-line block ×5, first 2 shown]
	v_cmp_eq_u32_e32 vcc_lo, 1, v70
	v_mov_b32_e32 v76, 0
	ds_load_b128 v[112:115], v74 offset:6160
	ds_load_b128 v[108:111], v74 offset:6144
	;; [unrolled: 1-line block ×4, first 2 shown]
	v_cmp_eq_u32_e64 s4, 1, v71
	v_cmp_eq_u32_e64 s3, 1, v73
	;; [unrolled: 1-line block ×3, first 2 shown]
	v_mov_b32_e32 v77, v76
	v_mov_b32_e32 v78, v76
	;; [unrolled: 1-line block ×7, first 2 shown]
	v_cmp_eq_u32_e64 s6, 3, v73
	v_cmp_eq_u32_e64 s7, 7, v73
	s_waitcnt lgkmcnt(8)
	s_delay_alu instid0(VALU_DEP_3)
	v_wmma_f32_16x16x16_f16 v[76:83], v[49:56], v[84:91], v[76:83]
	ds_load_b128 v[53:56], v74 offset:10256
	ds_load_b128 v[49:52], v74 offset:10240
	s_waitcnt lgkmcnt(8)
	v_wmma_f32_16x16x16_f16 v[76:83], v[41:48], v[92:99], v[76:83]
	ds_load_b128 v[45:48], v74 offset:12304
	ds_load_b128 v[41:44], v74 offset:12288
	s_waitcnt lgkmcnt(8)
	;; [unrolled: 4-line block ×3, first 2 shown]
	s_barrier
	buffer_gl0_inv
	v_wmma_f32_16x16x16_f16 v[76:83], v[1:8], v[108:115], v[76:83]
	s_delay_alu instid0(VALU_DEP_1) | instskip(NEXT) | instid1(VALU_DEP_1)
	v_wmma_f32_16x16x16_f16 v[76:83], v[9:16], v[116:123], v[76:83]
	v_wmma_f32_16x16x16_f16 v[76:83], v[17:24], v[49:56], v[76:83]
	s_delay_alu instid0(VALU_DEP_1) | instskip(NEXT) | instid1(VALU_DEP_1)
	v_wmma_f32_16x16x16_f16 v[76:83], v[25:32], v[41:48], v[76:83]
	v_wmma_f32_16x16x16_f16 v[76:83], v[57:64], v[33:40], v[76:83]
	s_delay_alu instid0(VALU_DEP_1) | instskip(NEXT) | instid1(VALU_DEP_2)
	v_cvt_f16_f32_e32 v1, v76
	v_cvt_f16_f32_e32 v2, v77
	s_delay_alu instid0(VALU_DEP_3) | instskip(NEXT) | instid1(VALU_DEP_4)
	v_cvt_f16_f32_e32 v3, v78
	v_cvt_f16_f32_e32 v4, v79
	;; [unrolled: 1-line block ×6, first 2 shown]
	v_pack_b32_f16 v1, v1, v2
	v_pack_b32_f16 v2, v3, v4
	;; [unrolled: 1-line block ×3, first 2 shown]
	s_delay_alu instid0(VALU_DEP_4)
	v_pack_b32_f16 v4, v7, v8
	ds_store_b128 v69, v[1:4]
	s_waitcnt lgkmcnt(0)
	s_barrier
	buffer_gl0_inv
	ds_load_b128 v[1:4], v75
	ds_load_b128 v[5:8], v75 offset:16
	s_waitcnt lgkmcnt(1)
	v_lshrrev_b32_e32 v9, 16, v1
	s_waitcnt lgkmcnt(0)
	v_lshrrev_b32_e32 v13, 16, v5
	v_lshrrev_b32_e32 v10, 16, v2
	;; [unrolled: 1-line block ×4, first 2 shown]
	v_cndmask_b32_e32 v17, v1, v9, vcc_lo
	v_cndmask_b32_e32 v18, v5, v13, vcc_lo
	v_cndmask_b32_e64 v21, v1, v9, s4
	v_cmp_eq_u32_e32 vcc_lo, 1, v72
	v_cndmask_b32_e64 v22, v5, v13, s4
	v_cmp_eq_u32_e64 s4, 2, v70
	v_cndmask_b32_e64 v19, v1, v9, s3
	v_cndmask_b32_e64 v20, v5, v13, s3
	v_cndmask_b32_e32 v1, v1, v9, vcc_lo
	v_cmp_eq_u32_e64 s3, 2, v72
	v_cndmask_b32_e32 v5, v5, v13, vcc_lo
	v_cndmask_b32_e64 v9, v17, v2, s4
	v_cmp_eq_u32_e32 vcc_lo, 3, v70
	v_cndmask_b32_e64 v13, v18, v6, s4
	v_cmp_eq_u32_e64 s4, 2, v71
	v_cndmask_b32_e64 v17, v19, v2, s5
	v_cndmask_b32_e64 v18, v20, v6, s5
	v_cmp_eq_u32_e64 s5, 3, v71
	v_cndmask_b32_e64 v1, v1, v2, s3
	v_cndmask_b32_e64 v19, v21, v2, s4
	;; [unrolled: 1-line block ×4, first 2 shown]
	v_cndmask_b32_e32 v5, v9, v10, vcc_lo
	v_cndmask_b32_e32 v6, v13, v14, vcc_lo
	v_cmp_eq_u32_e32 vcc_lo, 3, v72
	v_cndmask_b32_e64 v9, v17, v10, s6
	v_cndmask_b32_e64 v13, v18, v14, s6
	;; [unrolled: 1-line block ×3, first 2 shown]
	v_cmp_eq_u32_e64 s4, 4, v70
	v_cndmask_b32_e32 v1, v1, v10, vcc_lo
	v_cndmask_b32_e32 v2, v2, v14, vcc_lo
	v_cmp_eq_u32_e32 vcc_lo, 4, v73
	v_lshrrev_b32_e32 v15, 16, v7
	v_lshrrev_b32_e32 v16, 16, v8
	v_cndmask_b32_e64 v17, v19, v10, s5
	v_cmp_eq_u32_e64 s3, 4, v72
	v_cndmask_b32_e64 v5, v5, v3, s4
	v_cndmask_b32_e64 v6, v6, v7, s4
	v_cndmask_b32_e32 v9, v9, v3, vcc_lo
	v_cmp_eq_u32_e64 s4, 5, v73
	v_cndmask_b32_e32 v10, v13, v7, vcc_lo
	v_cmp_eq_u32_e32 vcc_lo, 4, v71
	v_cmp_eq_u32_e64 s5, 5, v70
	v_cndmask_b32_e64 v2, v2, v7, s3
	v_cndmask_b32_e64 v9, v9, v11, s4
	v_cndmask_b32_e64 v10, v10, v15, s4
	v_cndmask_b32_e32 v13, v17, v3, vcc_lo
	v_cmp_eq_u32_e64 s4, 5, v71
	v_cndmask_b32_e32 v14, v18, v7, vcc_lo
	v_cndmask_b32_e64 v1, v1, v3, s3
	v_cmp_eq_u32_e32 vcc_lo, 5, v72
	v_lshrrev_b32_e32 v12, 16, v4
	v_cndmask_b32_e64 v13, v13, v11, s4
	v_cndmask_b32_e64 v3, v14, v15, s4
	v_cmp_eq_u32_e64 s4, 6, v72
	v_cndmask_b32_e32 v1, v1, v11, vcc_lo
	v_cndmask_b32_e64 v5, v5, v11, s5
	v_cmp_eq_u32_e64 s6, 6, v70
	v_cndmask_b32_e64 v6, v6, v15, s5
	v_cmp_eq_u32_e64 s5, 6, v73
	v_cmp_eq_u32_e64 s3, 6, v71
	v_cndmask_b32_e64 v1, v1, v4, s4
	v_cndmask_b32_e32 v2, v2, v15, vcc_lo
	v_cmp_eq_u32_e32 vcc_lo, 7, v72
	v_cndmask_b32_e64 v5, v5, v4, s6
	v_cndmask_b32_e64 v9, v9, v4, s5
	;; [unrolled: 1-line block ×3, first 2 shown]
	v_cmp_eq_u32_e64 s6, 7, v70
	v_cndmask_b32_e32 v1, v1, v12, vcc_lo
	v_cndmask_b32_e64 v7, v13, v4, s3
	v_cndmask_b32_e64 v3, v3, v8, s3
	;; [unrolled: 1-line block ×3, first 2 shown]
	v_cmp_eq_u32_e64 s3, 7, v71
	v_cndmask_b32_e64 v4, v10, v8, s5
	v_cndmask_b32_e64 v5, v5, v12, s6
	;; [unrolled: 1-line block ×3, first 2 shown]
	v_cndmask_b32_e32 v2, v2, v16, vcc_lo
	v_cndmask_b32_e64 v7, v7, v12, s3
	v_cndmask_b32_e64 v3, v3, v16, s3
	;; [unrolled: 1-line block ×4, first 2 shown]
	v_perm_b32 v4, v2, v1, 0x5040100
	s_delay_alu instid0(VALU_DEP_4) | instskip(NEXT) | instid1(VALU_DEP_4)
	v_perm_b32 v3, v3, v7, 0x5040100
	v_perm_b32 v2, v8, v9, 0x5040100
	s_delay_alu instid0(VALU_DEP_4)
	v_perm_b32 v1, v6, v5, 0x5040100
	ds_store_b128 v69, v[1:4]
	s_waitcnt lgkmcnt(0)
	s_barrier
	buffer_gl0_inv
	s_and_saveexec_b32 s3, s2
	s_cbranch_execz .LBB987_2
; %bb.15:
	s_load_b64 s[0:1], s[0:1], 0x68
	v_lshlrev_b32_e32 v0, 10, v0
	s_lshl_b32 s2, s35, 7
	v_lshlrev_b32_e32 v1, 4, v68
	v_mul_lo_u32 v4, s2, v67
	s_mul_i32 s3, s2, s34
	v_and_b32_e32 v0, 0x3800, v0
	s_mul_i32 s2, s3, s8
	s_delay_alu instid0(SALU_CYCLE_1) | instskip(NEXT) | instid1(VALU_DEP_1)
	s_ashr_i32 s3, s2, 31
	v_or3_b32 v0, v0, v66, v1
	s_lshl_b64 s[2:3], s[2:3], 1
	s_delay_alu instid0(VALU_DEP_3)
	v_ashrrev_i32_e32 v5, 31, v4
	ds_load_b128 v[0:3], v0
	v_lshlrev_b64 v[4:5], 1, v[4:5]
	s_waitcnt lgkmcnt(0)
	s_add_u32 s2, s0, s2
	s_addc_u32 s3, s1, s3
	s_lshl_b32 s0, s14, 7
	s_delay_alu instid0(SALU_CYCLE_1) | instskip(NEXT) | instid1(SALU_CYCLE_1)
	s_ashr_i32 s1, s0, 31
	s_lshl_b64 s[0:1], s[0:1], 1
	s_delay_alu instid0(SALU_CYCLE_1) | instskip(SKIP_3) | instid1(VALU_DEP_2)
	s_add_u32 s0, s2, s0
	s_addc_u32 s1, s3, s1
	v_add_co_u32 v4, vcc_lo, s0, v4
	v_add_co_ci_u32_e32 v5, vcc_lo, s1, v5, vcc_lo
	v_add_co_u32 v4, vcc_lo, v4, v65
	s_delay_alu instid0(VALU_DEP_2)
	v_add_co_ci_u32_e32 v5, vcc_lo, 0, v5, vcc_lo
	global_store_b128 v[4:5], v[0:3], off
	s_nop 0
	s_sendmsg sendmsg(MSG_DEALLOC_VGPRS)
	s_endpgm
	.section	.rodata,"a",@progbits
	.p2align	6, 0x0
	.amdhsa_kernel _Z39paged_attention_ll4mi_QKV_mfma16_kernelIDF16_hLN4vllm18Fp8KVCacheDataTypeE1EDF16_Li16ELi128ELi256ELb1ELi2EL8MFMAType1EEvPKT_PKT0_S8_ifPKiSA_SA_iPKfiiiPfSD_PS3_PT2_iSC_SC_
		.amdhsa_group_segment_fixed_size 17472
		.amdhsa_private_segment_fixed_size 0
		.amdhsa_kernarg_size 400
		.amdhsa_user_sgpr_count 13
		.amdhsa_user_sgpr_dispatch_ptr 0
		.amdhsa_user_sgpr_queue_ptr 0
		.amdhsa_user_sgpr_kernarg_segment_ptr 1
		.amdhsa_user_sgpr_dispatch_id 0
		.amdhsa_user_sgpr_private_segment_size 0
		.amdhsa_wavefront_size32 1
		.amdhsa_uses_dynamic_stack 0
		.amdhsa_enable_private_segment 0
		.amdhsa_system_sgpr_workgroup_id_x 1
		.amdhsa_system_sgpr_workgroup_id_y 1
		.amdhsa_system_sgpr_workgroup_id_z 1
		.amdhsa_system_sgpr_workgroup_info 0
		.amdhsa_system_vgpr_workitem_id 0
		.amdhsa_next_free_vgpr 146
		.amdhsa_next_free_sgpr 37
		.amdhsa_reserve_vcc 1
		.amdhsa_float_round_mode_32 0
		.amdhsa_float_round_mode_16_64 0
		.amdhsa_float_denorm_mode_32 3
		.amdhsa_float_denorm_mode_16_64 3
		.amdhsa_dx10_clamp 1
		.amdhsa_ieee_mode 1
		.amdhsa_fp16_overflow 0
		.amdhsa_workgroup_processor_mode 1
		.amdhsa_memory_ordered 1
		.amdhsa_forward_progress 0
		.amdhsa_shared_vgpr_count 0
		.amdhsa_exception_fp_ieee_invalid_op 0
		.amdhsa_exception_fp_denorm_src 0
		.amdhsa_exception_fp_ieee_div_zero 0
		.amdhsa_exception_fp_ieee_overflow 0
		.amdhsa_exception_fp_ieee_underflow 0
		.amdhsa_exception_fp_ieee_inexact 0
		.amdhsa_exception_int_div_zero 0
	.end_amdhsa_kernel
	.section	.text._Z39paged_attention_ll4mi_QKV_mfma16_kernelIDF16_hLN4vllm18Fp8KVCacheDataTypeE1EDF16_Li16ELi128ELi256ELb1ELi2EL8MFMAType1EEvPKT_PKT0_S8_ifPKiSA_SA_iPKfiiiPfSD_PS3_PT2_iSC_SC_,"axG",@progbits,_Z39paged_attention_ll4mi_QKV_mfma16_kernelIDF16_hLN4vllm18Fp8KVCacheDataTypeE1EDF16_Li16ELi128ELi256ELb1ELi2EL8MFMAType1EEvPKT_PKT0_S8_ifPKiSA_SA_iPKfiiiPfSD_PS3_PT2_iSC_SC_,comdat
.Lfunc_end987:
	.size	_Z39paged_attention_ll4mi_QKV_mfma16_kernelIDF16_hLN4vllm18Fp8KVCacheDataTypeE1EDF16_Li16ELi128ELi256ELb1ELi2EL8MFMAType1EEvPKT_PKT0_S8_ifPKiSA_SA_iPKfiiiPfSD_PS3_PT2_iSC_SC_, .Lfunc_end987-_Z39paged_attention_ll4mi_QKV_mfma16_kernelIDF16_hLN4vllm18Fp8KVCacheDataTypeE1EDF16_Li16ELi128ELi256ELb1ELi2EL8MFMAType1EEvPKT_PKT0_S8_ifPKiSA_SA_iPKfiiiPfSD_PS3_PT2_iSC_SC_
                                        ; -- End function
	.section	.AMDGPU.csdata,"",@progbits
; Kernel info:
; codeLenInByte = 6428
; NumSgprs: 39
; NumVgprs: 146
; ScratchSize: 0
; MemoryBound: 0
; FloatMode: 240
; IeeeMode: 1
; LDSByteSize: 17472 bytes/workgroup (compile time only)
; SGPRBlocks: 4
; VGPRBlocks: 18
; NumSGPRsForWavesPerEU: 39
; NumVGPRsForWavesPerEU: 146
; Occupancy: 9
; WaveLimiterHint : 1
; COMPUTE_PGM_RSRC2:SCRATCH_EN: 0
; COMPUTE_PGM_RSRC2:USER_SGPR: 13
; COMPUTE_PGM_RSRC2:TRAP_HANDLER: 0
; COMPUTE_PGM_RSRC2:TGID_X_EN: 1
; COMPUTE_PGM_RSRC2:TGID_Y_EN: 1
; COMPUTE_PGM_RSRC2:TGID_Z_EN: 1
; COMPUTE_PGM_RSRC2:TIDIG_COMP_CNT: 0
	.section	.text._Z39paged_attention_ll4mi_QKV_mfma16_kernelIDF16_hLN4vllm18Fp8KVCacheDataTypeE1EDF16_Li16ELi128ELi256ELb1ELi3EL8MFMAType1EEvPKT_PKT0_S8_ifPKiSA_SA_iPKfiiiPfSD_PS3_PT2_iSC_SC_,"axG",@progbits,_Z39paged_attention_ll4mi_QKV_mfma16_kernelIDF16_hLN4vllm18Fp8KVCacheDataTypeE1EDF16_Li16ELi128ELi256ELb1ELi3EL8MFMAType1EEvPKT_PKT0_S8_ifPKiSA_SA_iPKfiiiPfSD_PS3_PT2_iSC_SC_,comdat
	.protected	_Z39paged_attention_ll4mi_QKV_mfma16_kernelIDF16_hLN4vllm18Fp8KVCacheDataTypeE1EDF16_Li16ELi128ELi256ELb1ELi3EL8MFMAType1EEvPKT_PKT0_S8_ifPKiSA_SA_iPKfiiiPfSD_PS3_PT2_iSC_SC_ ; -- Begin function _Z39paged_attention_ll4mi_QKV_mfma16_kernelIDF16_hLN4vllm18Fp8KVCacheDataTypeE1EDF16_Li16ELi128ELi256ELb1ELi3EL8MFMAType1EEvPKT_PKT0_S8_ifPKiSA_SA_iPKfiiiPfSD_PS3_PT2_iSC_SC_
	.globl	_Z39paged_attention_ll4mi_QKV_mfma16_kernelIDF16_hLN4vllm18Fp8KVCacheDataTypeE1EDF16_Li16ELi128ELi256ELb1ELi3EL8MFMAType1EEvPKT_PKT0_S8_ifPKiSA_SA_iPKfiiiPfSD_PS3_PT2_iSC_SC_
	.p2align	8
	.type	_Z39paged_attention_ll4mi_QKV_mfma16_kernelIDF16_hLN4vllm18Fp8KVCacheDataTypeE1EDF16_Li16ELi128ELi256ELb1ELi3EL8MFMAType1EEvPKT_PKT0_S8_ifPKiSA_SA_iPKfiiiPfSD_PS3_PT2_iSC_SC_,@function
_Z39paged_attention_ll4mi_QKV_mfma16_kernelIDF16_hLN4vllm18Fp8KVCacheDataTypeE1EDF16_Li16ELi128ELi256ELb1ELi3EL8MFMAType1EEvPKT_PKT0_S8_ifPKiSA_SA_iPKfiiiPfSD_PS3_PT2_iSC_SC_: ; @_Z39paged_attention_ll4mi_QKV_mfma16_kernelIDF16_hLN4vllm18Fp8KVCacheDataTypeE1EDF16_Li16ELi128ELi256ELb1ELi3EL8MFMAType1EEvPKT_PKT0_S8_ifPKiSA_SA_iPKfiiiPfSD_PS3_PT2_iSC_SC_
; %bb.0:
	s_load_b64 s[4:5], s[0:1], 0x30
	s_mov_b32 s34, s13
	s_waitcnt lgkmcnt(0)
	s_cmp_lg_u64 s[4:5], 0
	s_cselect_b32 s8, -1, 0
	s_ashr_i32 s35, s13, 31
	s_cmp_eq_u64 s[4:5], 0
	s_cbranch_scc1 .LBB988_3
; %bb.1:
	s_lshl_b64 s[2:3], s[34:35], 2
	s_delay_alu instid0(SALU_CYCLE_1) | instskip(SKIP_4) | instid1(SALU_CYCLE_1)
	s_add_u32 s2, s4, s2
	s_addc_u32 s3, s5, s3
	s_load_b64 s[2:3], s[2:3], 0x0
	s_waitcnt lgkmcnt(0)
	s_sub_i32 s2, s3, s2
	s_cmp_eq_u32 s2, 1
	s_cselect_b32 s2, -1, 0
	s_delay_alu instid0(SALU_CYCLE_1)
	s_and_not1_b32 vcc_lo, exec_lo, s2
	s_cbranch_vccz .LBB988_4
.LBB988_2:
	s_nop 0
	s_sendmsg sendmsg(MSG_DEALLOC_VGPRS)
	s_endpgm
.LBB988_3:
.LBB988_4:
	s_load_b64 s[2:3], s[0:1], 0x28
	s_lshl_b64 s[6:7], s[34:35], 2
	s_waitcnt lgkmcnt(0)
	s_add_u32 s2, s2, s6
	s_addc_u32 s3, s3, s7
	s_lshl_b32 s12, s14, 8
	s_load_b32 s24, s[2:3], 0x0
	s_waitcnt lgkmcnt(0)
	s_cmp_ge_i32 s12, s24
	s_cbranch_scc1 .LBB988_2
; %bb.5:
	s_clause 0x1
	s_load_b128 s[20:23], s[0:1], 0x8
	s_load_b64 s[2:3], s[0:1], 0x20
	s_and_not1_b32 vcc_lo, exec_lo, s8
	s_cbranch_vccnz .LBB988_7
; %bb.6:
	s_add_u32 s4, s4, s6
	s_addc_u32 s5, s5, s7
	s_load_b32 s5, s[4:5], 0x0
	s_branch .LBB988_8
.LBB988_7:
	s_mov_b32 s5, s34
.LBB988_8:
	s_load_b128 s[16:19], s[0:1], 0x48
	v_and_b32_e32 v68, 15, v0
	v_lshrrev_b32_e32 v69, 5, v0
	v_bfe_u32 v66, v0, 4, 1
	v_and_b32_e32 v70, 31, v0
	v_and_b32_e32 v67, 1, v0
	v_lshlrev_b32_e32 v2, 3, v68
	s_mul_i32 s31, s15, 3
	v_lshl_or_b32 v1, v69, 1, v66
	s_mov_b32 s4, exec_lo
	s_delay_alu instid0(VALU_DEP_2) | instskip(NEXT) | instid1(VALU_DEP_2)
	v_lshlrev_b32_e32 v65, 1, v2
	v_cmpx_gt_u32_e32 3, v1
	s_cbranch_execz .LBB988_10
; %bb.9:
	s_load_b64 s[6:7], s[0:1], 0x0
	v_add_lshl_u32 v2, v1, s31, 7
	s_waitcnt lgkmcnt(0)
	s_mul_hi_i32 s9, s5, s16
	s_mul_i32 s8, s5, s16
	v_lshlrev_b32_e32 v6, 10, v68
	s_lshl_b64 s[8:9], s[8:9], 1
	v_ashrrev_i32_e32 v3, 31, v2
	v_lshlrev_b32_e32 v1, 6, v1
	v_lshlrev_b32_e32 v7, 10, v67
	v_and_b32_e32 v6, 0x3800, v6
	s_delay_alu instid0(VALU_DEP_4) | instskip(NEXT) | instid1(VALU_DEP_2)
	v_lshlrev_b64 v[2:3], 1, v[2:3]
	v_or3_b32 v1, v6, v7, v1
	s_add_u32 s5, s6, s8
	s_addc_u32 s6, s7, s9
	s_delay_alu instid0(VALU_DEP_2) | instskip(NEXT) | instid1(VALU_DEP_3)
	v_add_co_u32 v2, vcc_lo, s5, v2
	v_add_co_ci_u32_e32 v3, vcc_lo, s6, v3, vcc_lo
	s_delay_alu instid0(VALU_DEP_2) | instskip(NEXT) | instid1(VALU_DEP_2)
	v_add_co_u32 v2, vcc_lo, v2, v65
	v_add_co_ci_u32_e32 v3, vcc_lo, 0, v3, vcc_lo
	global_load_b128 v[2:5], v[2:3], off
	s_waitcnt vmcnt(0)
	ds_store_b128 v1, v[2:5]
.LBB988_10:
	s_or_b32 exec_lo, exec_lo, s4
	v_and_b32_e32 v1, 0xef, v0
	s_waitcnt lgkmcnt(0)
	s_add_i32 s5, s24, 15
	s_clause 0x1
	s_load_b32 s4, s[0:1], 0x38
	s_load_b32 s33, s[0:1], 0x98
	s_ashr_i32 s6, s5, 31
	v_add_nc_u32_e32 v1, s12, v1
	s_lshr_b32 s6, s6, 28
	s_load_b32 s19, s[0:1], 0x1c
	s_add_i32 s5, s5, s6
	s_waitcnt lgkmcnt(0)
	v_ashrrev_i32_e32 v2, 31, v1
	v_or_b32_e32 v3, 16, v1
	s_ashr_i32 s13, s5, 4
	v_cmp_gt_i32_e32 vcc_lo, s24, v1
	s_add_i32 s13, s13, -1
	v_lshrrev_b32_e32 v2, 28, v2
	s_barrier
	buffer_gl0_inv
	s_mul_i32 s15, s15, s18
	v_add_nc_u32_e32 v4, v1, v2
	s_mul_i32 s4, s34, s4
	s_delay_alu instid0(SALU_CYCLE_1) | instskip(NEXT) | instid1(VALU_DEP_1)
	s_ashr_i32 s5, s4, 31
	v_ashrrev_i32_e32 v4, 4, v4
	v_add_nc_u32_e32 v2, v3, v2
	s_lshl_b64 s[4:5], s[4:5], 2
	s_delay_alu instid0(SALU_CYCLE_1) | instskip(NEXT) | instid1(VALU_DEP_2)
	s_add_u32 s16, s2, s4
	v_cndmask_b32_e32 v1, s13, v4, vcc_lo
	s_delay_alu instid0(VALU_DEP_2)
	v_ashrrev_i32_e32 v2, 4, v2
	v_cmp_gt_i32_e32 vcc_lo, s24, v3
	s_addc_u32 s25, s3, s5
	s_ashr_i32 s18, s15, 31
	s_add_u32 s26, s20, s15
	s_addc_u32 s27, s21, s18
	v_cndmask_b32_e32 v3, s13, v2, vcc_lo
	v_ashrrev_i32_e32 v2, 31, v1
	s_lshl_b32 s2, s14, 4
	s_delay_alu instid0(SALU_CYCLE_1) | instskip(NEXT) | instid1(VALU_DEP_2)
	s_ashr_i32 s3, s2, 31
	v_ashrrev_i32_e32 v4, 31, v3
	s_delay_alu instid0(VALU_DEP_2) | instskip(SKIP_1) | instid1(SALU_CYCLE_1)
	v_lshlrev_b64 v[1:2], 2, v[1:2]
	s_lshl_b64 s[2:3], s[2:3], 2
	s_add_u32 s2, s16, s2
	s_delay_alu instid0(VALU_DEP_2) | instskip(SKIP_1) | instid1(VALU_DEP_2)
	v_lshlrev_b64 v[3:4], 2, v[3:4]
	s_addc_u32 s3, s25, s3
	v_add_co_u32 v1, vcc_lo, s16, v1
	v_add_co_ci_u32_e32 v2, vcc_lo, s25, v2, vcc_lo
	s_delay_alu instid0(VALU_DEP_3) | instskip(NEXT) | instid1(VALU_DEP_4)
	v_add_co_u32 v3, vcc_lo, s16, v3
	v_add_co_ci_u32_e32 v4, vcc_lo, s25, v4, vcc_lo
	s_clause 0x1
	global_load_b32 v5, v[1:2], off
	global_load_b32 v7, v[3:4], off
	s_or_b32 s4, s12, 32
	v_lshlrev_b32_e32 v1, 4, v0
	s_ashr_i32 s5, s4, 4
	s_cmp_lt_i32 s4, s24
	s_cselect_b32 s4, s5, s13
	s_delay_alu instid0(VALU_DEP_1) | instskip(SKIP_1) | instid1(SALU_CYCLE_1)
	v_and_b32_e32 v1, 0xf0, v1
	s_ashr_i32 s5, s4, 31
	s_lshl_b64 s[4:5], s[4:5], 2
	s_delay_alu instid0(SALU_CYCLE_1)
	s_add_u32 s4, s16, s4
	s_addc_u32 s5, s25, s5
	s_or_b32 s6, s12, 64
	v_add_co_u32 v1, s26, s26, v1
	s_ashr_i32 s7, s6, 4
	s_cmp_lt_i32 s6, s24
	v_add_co_ci_u32_e64 v2, null, s27, 0, s26
	s_cselect_b32 s6, s7, s13
	s_delay_alu instid0(SALU_CYCLE_1) | instskip(NEXT) | instid1(SALU_CYCLE_1)
	s_ashr_i32 s7, s6, 31
	s_lshl_b64 s[6:7], s[6:7], 2
	s_delay_alu instid0(SALU_CYCLE_1) | instskip(SKIP_2) | instid1(SALU_CYCLE_1)
	s_add_u32 s6, s16, s6
	s_addc_u32 s7, s25, s7
	s_or_b32 s8, s12, 0x60
	s_ashr_i32 s9, s8, 4
	s_cmp_lt_i32 s8, s24
	s_cselect_b32 s8, s9, s13
	s_delay_alu instid0(SALU_CYCLE_1) | instskip(NEXT) | instid1(SALU_CYCLE_1)
	s_ashr_i32 s9, s8, 31
	s_lshl_b64 s[8:9], s[8:9], 2
	s_delay_alu instid0(SALU_CYCLE_1) | instskip(SKIP_2) | instid1(SALU_CYCLE_1)
	s_add_u32 s8, s16, s8
	s_addc_u32 s9, s25, s9
	s_or_b32 s10, s12, 0x80
	s_ashr_i32 s11, s10, 4
	s_cmp_lt_i32 s10, s24
	;; [unrolled: 10-line block ×3, first 2 shown]
	s_cselect_b32 s20, s21, s13
	s_delay_alu instid0(SALU_CYCLE_1) | instskip(NEXT) | instid1(SALU_CYCLE_1)
	s_ashr_i32 s21, s20, 31
	s_lshl_b64 s[20:21], s[20:21], 2
	s_delay_alu instid0(SALU_CYCLE_1)
	s_add_u32 s20, s16, s20
	s_addc_u32 s21, s25, s21
	s_clause 0x5
	s_load_b32 s26, s[2:3], 0x0
	s_load_b32 s27, s[4:5], 0x0
	;; [unrolled: 1-line block ×6, first 2 shown]
	s_or_b32 s2, s12, 0xc0
	s_mov_b32 s4, 0
	s_ashr_i32 s3, s2, 4
	s_cmp_lt_i32 s2, s24
	s_mov_b32 s11, s4
	s_cselect_b32 s2, s3, s13
	s_mov_b32 s5, s4
	s_ashr_i32 s3, s2, 31
	s_mov_b32 s6, s4
	s_lshl_b64 s[2:3], s[2:3], 2
	s_mov_b32 s7, s4
	s_add_u32 s2, s16, s2
	s_addc_u32 s3, s25, s3
	s_or_b32 s20, s12, 0xe0
	s_mov_b32 s8, s4
	s_ashr_i32 s21, s20, 4
	s_cmp_lt_i32 s20, s24
	s_mov_b32 s9, s4
	s_cselect_b32 s20, s21, s13
	s_mov_b32 s10, s4
	s_ashr_i32 s21, s20, 31
	v_mov_b32_e32 v118, s11
	v_dual_mov_b32 v112, s5 :: v_dual_mov_b32 v117, s10
	v_dual_mov_b32 v116, s9 :: v_dual_mov_b32 v115, s8
	;; [unrolled: 1-line block ×3, first 2 shown]
	v_mov_b32_e32 v111, s4
	s_lshl_b64 s[4:5], s[20:21], 2
	s_delay_alu instid0(SALU_CYCLE_1)
	s_add_u32 s4, s16, s4
	s_addc_u32 s5, s25, s5
	s_add_u32 s6, s22, s15
	s_addc_u32 s7, s23, s18
	s_waitcnt vmcnt(1)
	v_mad_i64_i32 v[3:4], null, v5, s17, v[1:2]
	s_waitcnt vmcnt(0)
	v_mad_i64_i32 v[5:6], null, v7, s17, v[1:2]
	v_mul_lo_u16 v1, 0x56, v68
	v_lshlrev_b32_e32 v2, 4, v68
	s_clause 0xf
	global_load_b128 v[17:20], v[3:4], off
	global_load_b128 v[21:24], v[3:4], off offset:256
	global_load_b128 v[25:28], v[5:6], off
	global_load_b128 v[29:32], v[5:6], off offset:256
	global_load_b128 v[57:60], v[3:4], off offset:512
	global_load_b128 v[61:64], v[3:4], off offset:768
	global_load_b128 v[71:74], v[5:6], off offset:512
	global_load_b128 v[75:78], v[5:6], off offset:768
	global_load_b128 v[79:82], v[3:4], off offset:1024
	global_load_b128 v[83:86], v[3:4], off offset:1280
	global_load_b128 v[87:90], v[5:6], off offset:1024
	global_load_b128 v[91:94], v[5:6], off offset:1280
	global_load_b128 v[95:98], v[3:4], off offset:1536
	global_load_b128 v[99:102], v[3:4], off offset:1792
	global_load_b128 v[103:106], v[5:6], off offset:1536
	global_load_b128 v[107:110], v[5:6], off offset:1792
	v_lshrrev_b16 v1, 8, v1
	s_delay_alu instid0(VALU_DEP_1) | instskip(NEXT) | instid1(VALU_DEP_1)
	v_mul_lo_u16 v1, v1, 3
	v_sub_nc_u16 v1, v68, v1
	s_delay_alu instid0(VALU_DEP_1) | instskip(NEXT) | instid1(VALU_DEP_1)
	v_and_b32_e32 v1, 0xff, v1
	v_lshlrev_b32_e32 v149, 6, v1
	v_lshl_or_b32 v1, v69, 8, v2
	ds_load_b128 v[119:122], v149
	ds_load_b128 v[123:126], v149 offset:1024
	ds_load_b128 v[127:130], v149 offset:2048
	;; [unrolled: 1-line block ×3, first 2 shown]
	s_clause 0x1
	s_load_b32 s2, s[2:3], 0x0
	s_load_b32 s3, s[4:5], 0x0
	v_add_co_u32 v135, s6, s6, v1
	s_delay_alu instid0(VALU_DEP_1) | instskip(SKIP_1) | instid1(VALU_DEP_1)
	v_add_co_ci_u32_e64 v136, null, s7, 0, s6
	s_waitcnt lgkmcnt(0)
	v_mad_i64_i32 v[1:2], null, s26, s17, v[135:136]
	v_mad_i64_i32 v[3:4], null, s27, s17, v[135:136]
	;; [unrolled: 1-line block ×6, first 2 shown]
	s_clause 0x9
	global_load_b128 v[49:52], v[1:2], off
	global_load_b128 v[53:56], v[1:2], off offset:16
	global_load_b128 v[41:44], v[3:4], off
	global_load_b128 v[45:48], v[3:4], off offset:16
	;; [unrolled: 2-line block ×5, first 2 shown]
	v_mad_i64_i32 v[145:146], null, s2, s17, v[135:136]
	v_mad_i64_i32 v[147:148], null, s3, s17, v[135:136]
	s_waitcnt vmcnt(24)
	v_wmma_f32_16x16x16_f16 v[135:142], v[17:24], v[119:126], v[111:118]
	s_waitcnt vmcnt(22)
	v_wmma_f32_16x16x16_f16 v[111:118], v[25:32], v[119:126], v[111:118]
	s_clause 0x3
	global_load_b128 v[17:20], v[143:144], off
	global_load_b128 v[21:24], v[143:144], off offset:16
	global_load_b128 v[25:28], v[145:146], off
	global_load_b128 v[29:32], v[145:146], off offset:16
	v_and_b32_e32 v119, 0xe0, v0
	s_waitcnt vmcnt(24)
	v_wmma_f32_16x16x16_f16 v[135:142], v[57:64], v[127:134], v[135:142]
	s_clause 0x1
	global_load_b128 v[57:60], v[147:148], off
	global_load_b128 v[61:64], v[147:148], off offset:16
	s_waitcnt vmcnt(24)
	v_wmma_f32_16x16x16_f16 v[111:118], v[71:78], v[127:134], v[111:118]
	ds_load_b128 v[71:74], v149 offset:4096
	ds_load_b128 v[75:78], v149 offset:5120
	v_add_nc_u32_e32 v128, s12, v119
	ds_load_b128 v[119:122], v149 offset:6144
	ds_load_b128 v[123:126], v149 offset:7168
	v_mbcnt_lo_u32_b32 v127, -1, 0
	s_waitcnt vmcnt(0) lgkmcnt(0)
	s_barrier
	v_or_b32_e32 v128, v128, v66
	buffer_gl0_inv
	v_xor_b32_e32 v129, 16, v127
	v_or_b32_e32 v130, 4, v128
	v_or_b32_e32 v131, 6, v128
	s_delay_alu instid0(VALU_DEP_3) | instskip(SKIP_4) | instid1(VALU_DEP_4)
	v_cmp_gt_i32_e32 vcc_lo, 32, v129
	v_or_b32_e32 v132, 8, v128
	v_or_b32_e32 v133, 10, v128
	v_cmp_gt_i32_e64 s3, s24, v130
	v_cmp_gt_i32_e64 s4, s24, v131
	v_cmp_gt_i32_e64 s5, s24, v132
	v_wmma_f32_16x16x16_f16 v[135:142], v[79:86], v[71:78], v[135:142]
	v_wmma_f32_16x16x16_f16 v[111:118], v[87:94], v[71:78], v[111:118]
	v_or_b32_e32 v79, 12, v128
	v_or_b32_e32 v80, 14, v128
	v_cmp_gt_i32_e64 s6, s24, v133
	v_wmma_f32_16x16x16_f16 v[135:142], v[95:102], v[119:126], v[135:142]
	v_wmma_f32_16x16x16_f16 v[111:118], v[103:110], v[119:126], v[111:118]
	v_cndmask_b32_e32 v127, v127, v129, vcc_lo
	v_or_b32_e32 v129, 2, v128
	v_cmp_gt_i32_e32 vcc_lo, s24, v128
	s_delay_alu instid0(VALU_DEP_4) | instskip(SKIP_1) | instid1(VALU_DEP_4)
	v_dual_mul_f32 v87, s19, v136 :: v_dual_mul_f32 v94, s19, v113
	v_mul_f32_e32 v88, s19, v135
	v_cmp_gt_i32_e64 s2, s24, v129
	v_mul_f32_e32 v78, s19, v138
	v_mul_f32_e32 v86, s19, v137
	;; [unrolled: 1-line block ×3, first 2 shown]
	v_cndmask_b32_e32 v88, 0xff7fffff, v88, vcc_lo
	v_cndmask_b32_e64 v87, 0xff7fffff, v87, s2
	v_dual_mul_f32 v77, s19, v139 :: v_dual_mul_f32 v90, s19, v117
	v_cndmask_b32_e64 v86, 0xff7fffff, v86, s3
	v_cndmask_b32_e64 v78, 0xff7fffff, v78, s4
	s_delay_alu instid0(VALU_DEP_4)
	v_max3_f32 v87, v88, 0xff7fffff, v87
	v_or_b32_e32 v81, 16, v128
	v_or_b32_e32 v82, 18, v128
	v_dual_mul_f32 v74, s19, v142 :: v_dual_mul_f32 v75, s19, v141
	v_mul_f32_e32 v96, s19, v111
	v_cndmask_b32_e64 v77, 0xff7fffff, v77, s5
	v_cndmask_b32_e64 v76, 0xff7fffff, v76, s6
	v_max3_f32 v78, v87, v86, v78
	v_cmp_gt_i32_e64 s7, s24, v79
	v_cmp_gt_i32_e64 s8, s24, v80
	v_or_b32_e32 v83, 20, v128
	v_or_b32_e32 v84, 22, v128
	v_mul_f32_e32 v95, s19, v112
	v_cndmask_b32_e64 v75, 0xff7fffff, v75, s7
	v_cndmask_b32_e64 v74, 0xff7fffff, v74, s8
	v_max3_f32 v76, v78, v77, v76
	v_cmp_gt_i32_e64 s9, s24, v81
	v_cmp_gt_i32_e64 s10, s24, v82
	v_or_b32_e32 v85, 24, v128
	v_or_b32_e32 v71, 26, v128
	v_mul_f32_e32 v93, s19, v114
	v_cndmask_b32_e64 v77, 0xff7fffff, v96, s9
	v_cndmask_b32_e64 v78, 0xff7fffff, v95, s10
	v_max3_f32 v74, v76, v75, v74
	v_cmp_gt_i32_e64 s11, s24, v83
	v_cmp_gt_i32_e64 s12, s24, v84
	v_or_b32_e32 v72, 28, v128
	v_or_b32_e32 v73, 30, v128
	v_dual_mul_f32 v91, s19, v116 :: v_dual_mul_f32 v92, s19, v115
	v_cndmask_b32_e64 v75, 0xff7fffff, v94, s11
	v_cndmask_b32_e64 v76, 0xff7fffff, v93, s12
	v_max3_f32 v74, v74, v77, v78
	v_cmp_gt_i32_e64 s13, s24, v85
	v_cmp_gt_i32_e64 s15, s24, v71
	v_mul_f32_e32 v89, s19, v118
	v_cmp_gt_i32_e64 s16, s24, v72
	v_max3_f32 v74, v74, v75, v76
	v_cndmask_b32_e64 v77, 0xff7fffff, v92, s13
	v_cndmask_b32_e64 v71, 0xff7fffff, v91, s15
	v_cmp_gt_i32_e64 s17, s24, v73
	v_cndmask_b32_e64 v72, 0xff7fffff, v90, s16
	s_delay_alu instid0(VALU_DEP_3) | instskip(SKIP_1) | instid1(VALU_DEP_4)
	v_max3_f32 v71, v74, v77, v71
	v_lshlrev_b32_e32 v74, 2, v127
	v_cndmask_b32_e64 v73, 0xff7fffff, v89, s17
	s_delay_alu instid0(VALU_DEP_1) | instskip(SKIP_3) | instid1(VALU_DEP_1)
	v_max3_f32 v71, v71, v72, v73
	ds_bpermute_b32 v72, v74, v71
	s_waitcnt lgkmcnt(0)
	v_max_f32_e32 v72, v72, v72
	v_max_f32_e32 v71, v71, v72
	s_delay_alu instid0(VALU_DEP_1) | instskip(SKIP_4) | instid1(VALU_DEP_4)
	v_fma_f32 v72, s19, v135, -v71
	v_fma_f32 v73, s19, v136, -v71
	;; [unrolled: 1-line block ×5, first 2 shown]
	v_dual_mul_f32 v72, 0x3fb8aa3b, v72 :: v_dual_mul_f32 v73, 0x3fb8aa3b, v73
	s_delay_alu instid0(VALU_DEP_3) | instskip(SKIP_1) | instid1(VALU_DEP_3)
	v_dual_mul_f32 v75, 0x3fb8aa3b, v75 :: v_dual_mul_f32 v76, 0x3fb8aa3b, v76
	v_fma_f32 v80, s19, v141, -v71
	v_exp_f32_e32 v72, v72
	s_delay_alu instid0(VALU_DEP_3) | instskip(NEXT) | instid1(VALU_DEP_2)
	v_exp_f32_e32 v73, v73
	v_exp_f32_e32 v75, v75
	;; [unrolled: 1-line block ×3, first 2 shown]
	v_mul_f32_e32 v82, 0x3fb8aa3b, v80
	s_delay_alu instid0(VALU_DEP_1) | instskip(SKIP_4) | instid1(TRANS32_DEP_3)
	v_exp_f32_e32 v84, v82
	v_cndmask_b32_e32 v79, 0, v72, vcc_lo
	v_fma_f32 v72, s19, v140, -v71
	v_mul_f32_e32 v77, 0x3fb8aa3b, v77
	v_cndmask_b32_e64 v78, 0, v73, s2
	v_cndmask_b32_e64 v81, 0, v75, s3
	s_delay_alu instid0(VALU_DEP_4) | instskip(NEXT) | instid1(VALU_DEP_4)
	v_dual_add_f32 v73, 0, v79 :: v_dual_mul_f32 v72, 0x3fb8aa3b, v72
	v_exp_f32_e32 v77, v77
	v_cndmask_b32_e64 v80, 0, v76, s4
	s_delay_alu instid0(TRANS32_DEP_2) | instskip(NEXT) | instid1(VALU_DEP_3)
	v_cndmask_b32_e64 v85, 0, v84, s7
	v_add_f32_e32 v73, v73, v78
	v_exp_f32_e32 v72, v72
	v_cmp_gt_u32_e64 s2, 16, v70
	s_delay_alu instid0(VALU_DEP_2) | instskip(NEXT) | instid1(TRANS32_DEP_2)
	v_add_f32_e32 v73, v73, v81
	v_cndmask_b32_e64 v83, 0, v77, s5
	s_delay_alu instid0(VALU_DEP_2) | instskip(SKIP_3) | instid1(VALU_DEP_1)
	v_add_f32_e32 v73, v73, v80
	s_waitcnt_depctr 0xfff
	v_cndmask_b32_e64 v82, 0, v72, s6
	v_add_f32_e32 v72, v73, v83
	v_add_f32_e32 v72, v72, v82
	s_delay_alu instid0(VALU_DEP_1)
	v_add_f32_e32 v72, v72, v85
	v_fma_f32 v76, s19, v111, -v71
	v_fma_f32 v75, s19, v142, -v71
	;; [unrolled: 1-line block ×5, first 2 shown]
	s_delay_alu instid0(VALU_DEP_4) | instskip(NEXT) | instid1(VALU_DEP_3)
	v_dual_mul_f32 v76, 0x3fb8aa3b, v76 :: v_dual_mul_f32 v75, 0x3fb8aa3b, v75
	v_mul_f32_e32 v86, 0x3fb8aa3b, v86
	s_delay_alu instid0(VALU_DEP_2) | instskip(NEXT) | instid1(VALU_DEP_2)
	v_exp_f32_e32 v76, v76
	v_exp_f32_e32 v75, v75
	s_delay_alu instid0(VALU_DEP_1) | instskip(NEXT) | instid1(TRANS32_DEP_3)
	v_exp_f32_e32 v88, v86
	v_cndmask_b32_e64 v87, 0, v76, s9
	v_fma_f32 v76, s19, v116, -v71
	v_mul_f32_e32 v77, 0x3fb8aa3b, v77
	s_waitcnt_depctr 0xfff
	v_cndmask_b32_e64 v84, 0, v75, s8
	v_fma_f32 v75, s19, v115, -v71
	v_cndmask_b32_e64 v88, 0, v88, s12
	v_mul_f32_e32 v76, 0x3fb8aa3b, v76
	v_exp_f32_e32 v77, v77
	v_add_f32_e32 v72, v72, v84
	s_delay_alu instid0(VALU_DEP_2) | instskip(NEXT) | instid1(VALU_DEP_1)
	v_exp_f32_e32 v76, v76
	v_add_f32_e32 v72, v72, v87
	s_waitcnt_depctr 0xfff
	v_cndmask_b32_e64 v86, 0, v77, s10
	v_mul_f32_e32 v73, 0x3fb8aa3b, v73
	v_fma_f32 v77, s19, v117, -v71
	v_cndmask_b32_e64 v90, 0, v76, s15
	s_delay_alu instid0(VALU_DEP_4) | instskip(NEXT) | instid1(VALU_DEP_4)
	v_add_f32_e32 v72, v72, v86
	v_exp_f32_e32 v73, v73
	s_waitcnt_depctr 0xfff
	v_cndmask_b32_e64 v89, 0, v73, s11
	s_delay_alu instid0(VALU_DEP_1) | instskip(NEXT) | instid1(VALU_DEP_1)
	v_dual_mul_f32 v75, 0x3fb8aa3b, v75 :: v_dual_add_f32 v72, v72, v89
	v_exp_f32_e32 v75, v75
	v_mul_f32_e32 v73, 0x3fb8aa3b, v77
	v_fma_f32 v77, s19, v118, -v71
	s_delay_alu instid0(VALU_DEP_3) | instskip(NEXT) | instid1(VALU_DEP_3)
	v_add_f32_e32 v72, v72, v88
	v_exp_f32_e32 v73, v73
	s_waitcnt_depctr 0xfff
	v_cndmask_b32_e64 v91, 0, v75, s13
	s_delay_alu instid0(VALU_DEP_1) | instskip(NEXT) | instid1(VALU_DEP_1)
	v_dual_mul_f32 v75, 0x3fb8aa3b, v77 :: v_dual_add_f32 v72, v72, v91
	v_exp_f32_e32 v75, v75
	v_cndmask_b32_e64 v93, 0, v73, s16
	s_delay_alu instid0(VALU_DEP_2) | instskip(NEXT) | instid1(VALU_DEP_1)
	v_add_f32_e32 v72, v72, v90
	v_add_f32_e32 v72, v72, v93
	s_waitcnt_depctr 0xfff
	v_cndmask_b32_e64 v92, 0, v75, s17
	s_delay_alu instid0(VALU_DEP_1)
	v_add_f32_e32 v72, v72, v92
	ds_bpermute_b32 v73, v74, v72
	s_and_saveexec_b32 s3, s2
	s_cbranch_execz .LBB988_12
; %bb.11:
	v_mul_u32_u24_e32 v70, 0x44, v69
	s_waitcnt lgkmcnt(0)
	v_add_f32_e32 v72, v72, v73
	s_delay_alu instid0(VALU_DEP_2) | instskip(NEXT) | instid1(VALU_DEP_1)
	v_lshl_add_u32 v70, v68, 2, v70
	v_add_nc_u32_e32 v70, 0x4000, v70
	ds_store_2addr_b32 v70, v71, v72 offset1:136
.LBB988_12:
	s_or_b32 exec_lo, exec_lo, s3
	v_lshlrev_b32_e32 v70, 2, v68
	s_load_b32 s35, s[0:1], 0x94
	s_waitcnt lgkmcnt(0)
	s_barrier
	buffer_gl0_inv
	v_add_nc_u32_e32 v98, 0x4000, v70
	v_cmp_eq_u32_e32 vcc_lo, 1, v69
	v_cmp_eq_u32_e64 s3, 2, v69
	v_cmp_eq_u32_e64 s4, 3, v69
	;; [unrolled: 1-line block ×3, first 2 shown]
	ds_load_2addr_b32 v[70:71], v98 offset1:17
	ds_load_2addr_b32 v[72:73], v98 offset0:34 offset1:51
	ds_load_2addr_b32 v[74:75], v98 offset0:68 offset1:85
	;; [unrolled: 1-line block ×3, first 2 shown]
	v_cmp_eq_u32_e64 s6, 5, v69
	v_cmp_eq_u32_e64 s7, 7, v69
	s_waitcnt lgkmcnt(3)
	v_max3_f32 v76, v70, 0xff7fffff, v71
	s_waitcnt lgkmcnt(2)
	s_delay_alu instid0(VALU_DEP_1) | instskip(SKIP_1) | instid1(VALU_DEP_1)
	v_max3_f32 v76, v76, v72, v73
	s_waitcnt lgkmcnt(1)
	v_max3_f32 v76, v76, v74, v75
	s_waitcnt lgkmcnt(0)
	s_delay_alu instid0(VALU_DEP_1) | instskip(NEXT) | instid1(VALU_DEP_1)
	v_max3_f32 v76, v76, v94, v95
	v_sub_f32_e32 v77, v71, v76
	ds_load_2addr_b32 v[96:97], v98 offset0:136 offset1:153
	v_sub_f32_e32 v74, v74, v76
	v_sub_f32_e32 v70, v70, v76
	;; [unrolled: 1-line block ×3, first 2 shown]
	v_dual_sub_f32 v72, v72, v76 :: v_dual_mul_f32 v77, 0x3fb8aa3b, v77
	s_delay_alu instid0(VALU_DEP_4) | instskip(NEXT) | instid1(VALU_DEP_4)
	v_mul_f32_e32 v103, 0x3fb8aa3b, v74
	v_mul_f32_e32 v99, 0x3fb8aa3b, v70
	ds_load_2addr_b32 v[70:71], v98 offset0:170 offset1:187
	v_dual_mul_f32 v101, 0x3fb8aa3b, v72 :: v_dual_mul_f32 v94, 0x3fb8aa3b, v94
	v_exp_f32_e32 v102, v77
	v_exp_f32_e32 v99, v99
	s_delay_alu instid0(VALU_DEP_1) | instskip(NEXT) | instid1(VALU_DEP_1)
	v_exp_f32_e32 v101, v101
	v_exp_f32_e32 v94, v94
	s_waitcnt lgkmcnt(1)
	s_delay_alu instid0(TRANS32_DEP_3)
	v_fma_f32 v77, v99, v96, 0
	v_sub_f32_e32 v100, v73, v76
	ds_load_2addr_b32 v[72:73], v98 offset0:204 offset1:221
	v_fmac_f32_e32 v77, v102, v97
	v_exp_f32_e32 v97, v103
	s_waitcnt lgkmcnt(1)
	s_delay_alu instid0(VALU_DEP_1)
	v_dual_fmac_f32 v77, v101, v70 :: v_dual_sub_f32 v96, v75, v76
	ds_load_2addr_b32 v[74:75], v98 offset0:238 offset1:255
	v_sub_f32_e32 v70, v95, v76
	s_waitcnt lgkmcnt(0)
	s_barrier
	v_mul_f32_e32 v96, 0x3fb8aa3b, v96
	buffer_gl0_inv
	v_exp_f32_e32 v95, v96
	v_mul_f32_e32 v100, 0x3fb8aa3b, v100
	s_delay_alu instid0(VALU_DEP_1) | instskip(SKIP_3) | instid1(VALU_DEP_2)
	v_exp_f32_e32 v100, v100
	s_waitcnt_depctr 0xfff
	v_dual_fmac_f32 v77, v100, v71 :: v_dual_mul_f32 v70, 0x3fb8aa3b, v70
	v_cndmask_b32_e32 v71, v99, v102, vcc_lo
	v_fmac_f32_e32 v77, v97, v72
	s_delay_alu instid0(VALU_DEP_3) | instskip(NEXT) | instid1(VALU_DEP_1)
	v_exp_f32_e32 v96, v70
	v_fmac_f32_e32 v77, v95, v73
	s_delay_alu instid0(VALU_DEP_1) | instskip(SKIP_2) | instid1(VALU_DEP_1)
	v_fmac_f32_e32 v77, v94, v74
	s_waitcnt_depctr 0xfff
	v_fmac_f32_e32 v77, v96, v75
	v_add_f32_e32 v74, 0x358637bd, v77
	s_delay_alu instid0(VALU_DEP_1) | instskip(SKIP_1) | instid1(VALU_DEP_2)
	v_div_scale_f32 v98, null, v74, v74, 1.0
	v_div_scale_f32 v99, vcc_lo, 1.0, v74, 1.0
	v_rcp_f32_e32 v103, v98
	s_waitcnt_depctr 0xfff
	v_fma_f32 v70, -v98, v103, 1.0
	s_delay_alu instid0(VALU_DEP_1) | instskip(SKIP_2) | instid1(VALU_DEP_2)
	v_fmac_f32_e32 v103, v70, v103
	v_cndmask_b32_e64 v70, v71, v101, s3
	v_cmp_eq_u32_e64 s3, 6, v69
	v_cndmask_b32_e64 v71, v70, v100, s4
	s_delay_alu instid0(VALU_DEP_4) | instskip(NEXT) | instid1(VALU_DEP_2)
	v_dual_mul_f32 v101, v99, v103 :: v_dual_lshlrev_b32 v70, 2, v66
	v_cndmask_b32_e64 v71, v71, v97, s5
	s_delay_alu instid0(VALU_DEP_2) | instskip(NEXT) | instid1(VALU_DEP_3)
	v_or_b32_e32 v72, 1, v70
	v_fma_f32 v100, -v98, v101, v99
	v_cmp_eq_u32_e64 s4, 1, v70
	v_cmp_eq_u32_e64 s5, 2, v70
	v_cndmask_b32_e64 v95, v71, v95, s6
	v_or_b32_e32 v71, 3, v70
	v_fmac_f32_e32 v101, v100, v103
	v_cmp_eq_u32_e64 s9, 1, v72
	v_cmp_eq_u32_e64 s12, 2, v72
	v_cndmask_b32_e64 v94, v95, v94, s3
	v_cmp_eq_u32_e64 s11, 1, v71
	v_fma_f32 v97, -v98, v101, v99
	v_cmp_eq_u32_e64 s16, 2, v71
	v_cmp_eq_u32_e64 s13, 3, v72
	v_cndmask_b32_e64 v94, v94, v96, s7
	v_cmp_eq_u32_e64 s18, 3, v71
	v_div_fmas_f32 v95, v97, v103, v101
	v_cmp_eq_u32_e32 vcc_lo, 3, v70
	v_cmp_eq_u32_e64 s3, 4, v70
	v_cmp_eq_u32_e64 s19, 4, v72
	;; [unrolled: 1-line block ×3, first 2 shown]
	v_div_fixup_f32 v95, v95, v74, 1.0
	v_lshlrev_b32_e32 v73, 6, v68
	v_cmp_eq_u32_e64 s6, 5, v70
	v_cmp_eq_u32_e64 s20, 5, v72
	;; [unrolled: 1-line block ×3, first 2 shown]
	v_mul_f32_e32 v102, v94, v95
	v_lshl_or_b32 v75, v69, 11, v73
	v_or_b32_e32 v69, 2, v70
	v_cmp_eq_u32_e64 s25, 6, v72
	v_cmp_eq_u32_e64 s27, 6, v71
	v_fma_mixlo_f16 v94, v102, v79, 0
	v_fma_mixlo_f16 v95, v102, v81, 0
	;; [unrolled: 1-line block ×8, first 2 shown]
	v_lshl_or_b32 v74, v66, 4, v75
	v_fma_mixhi_f16 v94, v102, v78, 0
	v_fma_mixhi_f16 v95, v102, v80, 0
	;; [unrolled: 1-line block ×8, first 2 shown]
	ds_store_b128 v74, v[94:97]
	ds_store_b128 v74, v[98:101] offset:1024
	s_waitcnt lgkmcnt(0)
	s_barrier
	buffer_gl0_inv
	ds_load_b128 v[78:81], v75
	ds_load_b128 v[82:85], v75 offset:16
	ds_load_b128 v[86:89], v75 offset:1024
	;; [unrolled: 1-line block ×3, first 2 shown]
	v_cmp_eq_u32_e64 s10, 1, v69
	v_cmp_eq_u32_e64 s15, 2, v69
	;; [unrolled: 1-line block ×11, first 2 shown]
	s_waitcnt lgkmcnt(3)
	v_lshrrev_b32_e32 v94, 16, v78
	s_waitcnt lgkmcnt(2)
	v_lshrrev_b32_e32 v98, 16, v82
	;; [unrolled: 2-line block ×4, first 2 shown]
	v_lshrrev_b32_e32 v95, 16, v79
	v_cndmask_b32_e64 v110, v78, v94, s4
	v_cndmask_b32_e64 v111, v82, v98, s4
	;; [unrolled: 1-line block ×8, first 2 shown]
	v_lshrrev_b32_e32 v99, 16, v83
	v_cndmask_b32_e64 v94, v86, v102, s4
	v_cndmask_b32_e64 v98, v90, v106, s4
	;; [unrolled: 1-line block ×15, first 2 shown]
	v_lshrrev_b32_e32 v103, 16, v87
	v_lshrrev_b32_e32 v107, 16, v91
	v_cndmask_b32_e64 v113, v115, v83, s15
	v_cndmask_b32_e64 v82, v94, v87, s5
	;; [unrolled: 1-line block ×7, first 2 shown]
	v_cndmask_b32_e32 v90, v102, v95, vcc_lo
	v_cndmask_b32_e32 v102, v106, v99, vcc_lo
	v_cndmask_b32_e64 v106, v110, v95, s13
	v_cndmask_b32_e64 v110, v111, v99, s13
	v_cndmask_b32_e64 v78, v78, v95, s18
	v_cndmask_b32_e64 v79, v79, v99, s18
	v_lshrrev_b32_e32 v96, 16, v80
	v_lshrrev_b32_e32 v100, 16, v84
	v_cndmask_b32_e64 v111, v112, v95, s17
	v_cndmask_b32_e64 v112, v113, v99, s17
	v_cndmask_b32_e32 v82, v82, v103, vcc_lo
	v_cndmask_b32_e32 v83, v83, v107, vcc_lo
	v_cndmask_b32_e64 v94, v94, v103, s13
	v_cndmask_b32_e64 v90, v90, v80, s3
	;; [unrolled: 1-line block ×7, first 2 shown]
	v_lshrrev_b32_e32 v104, 16, v88
	v_cndmask_b32_e64 v106, v111, v80, s21
	v_cndmask_b32_e64 v110, v112, v84, s21
	;; [unrolled: 1-line block ×11, first 2 shown]
	v_lshrrev_b32_e32 v97, 16, v81
	v_lshrrev_b32_e32 v101, 16, v85
	v_cndmask_b32_e64 v99, v106, v96, s23
	v_cndmask_b32_e64 v102, v110, v100, s23
	;; [unrolled: 1-line block ×7, first 2 shown]
	v_lshrrev_b32_e32 v105, 16, v89
	v_cndmask_b32_e64 v80, v80, v104, s6
	v_cndmask_b32_e64 v84, v84, v81, s7
	;; [unrolled: 1-line block ×16, first 2 shown]
	v_perm_b32 v81, v79, v78, 0x5040100
	v_perm_b32 v79, v95, v85, 0x5040100
	v_cndmask_b32_e64 v78, v119, v91, s15
	v_cndmask_b32_e64 v85, v117, v91, s12
	;; [unrolled: 1-line block ×3, first 2 shown]
	v_perm_b32 v80, v94, v90, 0x5040100
	v_cndmask_b32_e64 v90, v98, v103, s17
	v_cndmask_b32_e64 v86, v86, v103, s18
	;; [unrolled: 1-line block ×5, first 2 shown]
	v_lshrrev_b32_e32 v108, 16, v92
	v_cndmask_b32_e64 v90, v90, v88, s21
	v_cndmask_b32_e64 v86, v86, v88, s22
	v_cndmask_b32_e64 v87, v87, v92, s22
	v_cndmask_b32_e64 v78, v78, v92, s21
	v_cndmask_b32_e64 v85, v85, v92, s19
	v_cndmask_b32_e64 v82, v82, v108, s6
	v_cndmask_b32_e64 v88, v90, v104, s23
	v_cndmask_b32_e64 v86, v86, v104, s24
	v_cndmask_b32_e64 v87, v87, v108, s24
	v_cndmask_b32_e64 v78, v78, v108, s23
	v_cndmask_b32_e64 v85, v85, v108, s20
	v_lshrrev_b32_e32 v109, 16, v93
	v_cndmask_b32_e64 v82, v82, v93, s7
	v_cndmask_b32_e64 v88, v88, v89, s26
	;; [unrolled: 1-line block ×12, first 2 shown]
	v_perm_b32 v78, v84, v83, 0x5040100
	v_perm_b32 v85, v87, v86, 0x5040100
	;; [unrolled: 1-line block ×5, first 2 shown]
	s_mul_i32 s8, s33, 3
	s_mov_b32 s3, exec_lo
	ds_store_b128 v74, v[78:81]
	ds_store_b128 v74, v[82:85] offset:1024
	v_cmpx_gt_u32_e32 3, v0
	s_cbranch_execz .LBB988_14
; %bb.13:
	s_mul_i32 s4, s8, s34
	s_delay_alu instid0(SALU_CYCLE_1) | instskip(SKIP_1) | instid1(VALU_DEP_1)
	v_add3_u32 v68, s4, s31, v68
	s_load_b128 s[4:7], s[0:1], 0x58
	v_mad_u64_u32 v[78:79], null, v68, s35, s[14:15]
	s_delay_alu instid0(VALU_DEP_1) | instskip(NEXT) | instid1(VALU_DEP_1)
	v_ashrrev_i32_e32 v79, 31, v78
	v_lshlrev_b64 v[78:79], 2, v[78:79]
	s_waitcnt lgkmcnt(0)
	s_delay_alu instid0(VALU_DEP_1) | instskip(NEXT) | instid1(VALU_DEP_2)
	v_add_co_u32 v80, vcc_lo, s6, v78
	v_add_co_ci_u32_e32 v81, vcc_lo, s7, v79, vcc_lo
	v_add_co_u32 v78, vcc_lo, s4, v78
	v_add_co_ci_u32_e32 v79, vcc_lo, s5, v79, vcc_lo
	global_store_b32 v[80:81], v76, off
	global_store_b32 v[78:79], v77, off
.LBB988_14:
	s_or_b32 exec_lo, exec_lo, s3
	s_waitcnt lgkmcnt(0)
	s_waitcnt_vscnt null, 0x0
	s_barrier
	buffer_gl0_inv
	ds_load_b128 v[84:87], v73
	ds_load_b128 v[88:91], v73 offset:16
	ds_load_b128 v[96:99], v73 offset:2064
	;; [unrolled: 1-line block ×5, first 2 shown]
	v_cmp_eq_u32_e32 vcc_lo, 1, v70
	v_mov_b32_e32 v76, 0
	ds_load_b128 v[112:115], v73 offset:6160
	ds_load_b128 v[108:111], v73 offset:6144
	;; [unrolled: 1-line block ×4, first 2 shown]
	v_cmp_eq_u32_e64 s4, 1, v69
	v_cmp_eq_u32_e64 s3, 1, v72
	;; [unrolled: 1-line block ×3, first 2 shown]
	v_mov_b32_e32 v77, v76
	v_mov_b32_e32 v78, v76
	;; [unrolled: 1-line block ×7, first 2 shown]
	v_cmp_eq_u32_e64 s6, 3, v72
	v_cmp_eq_u32_e64 s7, 7, v72
	s_waitcnt lgkmcnt(8)
	s_delay_alu instid0(VALU_DEP_3)
	v_wmma_f32_16x16x16_f16 v[76:83], v[49:56], v[84:91], v[76:83]
	ds_load_b128 v[53:56], v73 offset:10256
	ds_load_b128 v[49:52], v73 offset:10240
	s_waitcnt lgkmcnt(8)
	v_wmma_f32_16x16x16_f16 v[76:83], v[41:48], v[92:99], v[76:83]
	ds_load_b128 v[45:48], v73 offset:12304
	ds_load_b128 v[41:44], v73 offset:12288
	s_waitcnt lgkmcnt(8)
	;; [unrolled: 4-line block ×3, first 2 shown]
	s_barrier
	buffer_gl0_inv
	v_wmma_f32_16x16x16_f16 v[76:83], v[1:8], v[108:115], v[76:83]
	s_delay_alu instid0(VALU_DEP_1) | instskip(NEXT) | instid1(VALU_DEP_1)
	v_wmma_f32_16x16x16_f16 v[76:83], v[9:16], v[116:123], v[76:83]
	v_wmma_f32_16x16x16_f16 v[76:83], v[17:24], v[49:56], v[76:83]
	s_delay_alu instid0(VALU_DEP_1) | instskip(NEXT) | instid1(VALU_DEP_1)
	v_wmma_f32_16x16x16_f16 v[76:83], v[25:32], v[41:48], v[76:83]
	v_wmma_f32_16x16x16_f16 v[76:83], v[57:64], v[33:40], v[76:83]
	s_delay_alu instid0(VALU_DEP_1) | instskip(NEXT) | instid1(VALU_DEP_2)
	v_cvt_f16_f32_e32 v1, v76
	v_cvt_f16_f32_e32 v2, v77
	s_delay_alu instid0(VALU_DEP_3) | instskip(NEXT) | instid1(VALU_DEP_4)
	v_cvt_f16_f32_e32 v3, v78
	v_cvt_f16_f32_e32 v4, v79
	;; [unrolled: 1-line block ×6, first 2 shown]
	v_pack_b32_f16 v1, v1, v2
	v_pack_b32_f16 v2, v3, v4
	;; [unrolled: 1-line block ×3, first 2 shown]
	s_delay_alu instid0(VALU_DEP_4)
	v_pack_b32_f16 v4, v7, v8
	ds_store_b128 v74, v[1:4]
	s_waitcnt lgkmcnt(0)
	s_barrier
	buffer_gl0_inv
	ds_load_b128 v[1:4], v75
	ds_load_b128 v[5:8], v75 offset:16
	s_waitcnt lgkmcnt(1)
	v_lshrrev_b32_e32 v9, 16, v1
	s_waitcnt lgkmcnt(0)
	v_lshrrev_b32_e32 v13, 16, v5
	v_lshrrev_b32_e32 v10, 16, v2
	;; [unrolled: 1-line block ×4, first 2 shown]
	v_cndmask_b32_e32 v17, v1, v9, vcc_lo
	v_cndmask_b32_e32 v18, v5, v13, vcc_lo
	v_cndmask_b32_e64 v21, v1, v9, s4
	v_cmp_eq_u32_e32 vcc_lo, 1, v71
	v_cndmask_b32_e64 v22, v5, v13, s4
	v_cmp_eq_u32_e64 s4, 2, v70
	v_cndmask_b32_e64 v19, v1, v9, s3
	v_cndmask_b32_e64 v20, v5, v13, s3
	v_cndmask_b32_e32 v1, v1, v9, vcc_lo
	v_cmp_eq_u32_e64 s3, 2, v71
	v_cndmask_b32_e32 v5, v5, v13, vcc_lo
	v_cndmask_b32_e64 v9, v17, v2, s4
	v_cmp_eq_u32_e32 vcc_lo, 3, v70
	v_cndmask_b32_e64 v13, v18, v6, s4
	v_cmp_eq_u32_e64 s4, 2, v69
	v_cndmask_b32_e64 v17, v19, v2, s5
	v_cndmask_b32_e64 v18, v20, v6, s5
	v_cmp_eq_u32_e64 s5, 3, v69
	v_cndmask_b32_e64 v1, v1, v2, s3
	v_cndmask_b32_e64 v19, v21, v2, s4
	;; [unrolled: 1-line block ×4, first 2 shown]
	v_cndmask_b32_e32 v5, v9, v10, vcc_lo
	v_cndmask_b32_e32 v6, v13, v14, vcc_lo
	v_cmp_eq_u32_e32 vcc_lo, 3, v71
	v_cndmask_b32_e64 v9, v17, v10, s6
	v_cndmask_b32_e64 v13, v18, v14, s6
	;; [unrolled: 1-line block ×3, first 2 shown]
	v_cmp_eq_u32_e64 s4, 4, v70
	v_cndmask_b32_e32 v1, v1, v10, vcc_lo
	v_cndmask_b32_e32 v2, v2, v14, vcc_lo
	v_cmp_eq_u32_e32 vcc_lo, 4, v72
	v_lshrrev_b32_e32 v15, 16, v7
	v_lshrrev_b32_e32 v16, 16, v8
	v_cndmask_b32_e64 v17, v19, v10, s5
	v_cmp_eq_u32_e64 s3, 4, v71
	v_cndmask_b32_e64 v5, v5, v3, s4
	v_cndmask_b32_e64 v6, v6, v7, s4
	v_cndmask_b32_e32 v9, v9, v3, vcc_lo
	v_cmp_eq_u32_e64 s4, 5, v72
	v_cndmask_b32_e32 v10, v13, v7, vcc_lo
	v_cmp_eq_u32_e32 vcc_lo, 4, v69
	v_cmp_eq_u32_e64 s5, 5, v70
	v_cndmask_b32_e64 v2, v2, v7, s3
	v_cndmask_b32_e64 v9, v9, v11, s4
	;; [unrolled: 1-line block ×3, first 2 shown]
	v_cndmask_b32_e32 v13, v17, v3, vcc_lo
	v_cmp_eq_u32_e64 s4, 5, v69
	v_cndmask_b32_e32 v14, v18, v7, vcc_lo
	v_cndmask_b32_e64 v1, v1, v3, s3
	v_cmp_eq_u32_e32 vcc_lo, 5, v71
	v_lshrrev_b32_e32 v12, 16, v4
	v_cndmask_b32_e64 v13, v13, v11, s4
	v_cndmask_b32_e64 v3, v14, v15, s4
	v_cmp_eq_u32_e64 s4, 6, v71
	v_cndmask_b32_e32 v1, v1, v11, vcc_lo
	v_cndmask_b32_e64 v5, v5, v11, s5
	v_cmp_eq_u32_e64 s6, 6, v70
	v_cndmask_b32_e64 v6, v6, v15, s5
	v_cmp_eq_u32_e64 s5, 6, v72
	v_cmp_eq_u32_e64 s3, 6, v69
	v_cndmask_b32_e64 v1, v1, v4, s4
	v_cndmask_b32_e32 v2, v2, v15, vcc_lo
	v_cmp_eq_u32_e32 vcc_lo, 7, v71
	v_cndmask_b32_e64 v5, v5, v4, s6
	v_cndmask_b32_e64 v9, v9, v4, s5
	v_cndmask_b32_e64 v6, v6, v8, s6
	v_cmp_eq_u32_e64 s6, 7, v70
	v_cndmask_b32_e32 v1, v1, v12, vcc_lo
	v_cndmask_b32_e64 v7, v13, v4, s3
	v_cndmask_b32_e64 v3, v3, v8, s3
	;; [unrolled: 1-line block ×3, first 2 shown]
	v_cmp_eq_u32_e64 s3, 7, v69
	v_cndmask_b32_e64 v4, v10, v8, s5
	v_cndmask_b32_e64 v5, v5, v12, s6
	;; [unrolled: 1-line block ×3, first 2 shown]
	v_cndmask_b32_e32 v2, v2, v16, vcc_lo
	v_cndmask_b32_e64 v7, v7, v12, s3
	v_cndmask_b32_e64 v3, v3, v16, s3
	;; [unrolled: 1-line block ×4, first 2 shown]
	v_perm_b32 v4, v2, v1, 0x5040100
	s_mov_b32 s3, exec_lo
	v_perm_b32 v3, v3, v7, 0x5040100
	v_perm_b32 v2, v8, v9, 0x5040100
	;; [unrolled: 1-line block ×3, first 2 shown]
	ds_store_b128 v74, v[1:4]
	s_waitcnt lgkmcnt(0)
	s_barrier
	buffer_gl0_inv
	v_cmpx_gt_u32_e32 32, v0
	s_cbranch_execz .LBB988_2
; %bb.15:
	s_load_b64 s[4:5], s[0:1], 0x68
	v_lshlrev_b32_e32 v0, 10, v0
	v_lshlrev_b32_e32 v2, 4, v67
	v_add_nc_u32_e32 v1, s31, v66
	s_lshl_b32 s0, s35, 7
	s_delay_alu instid0(SALU_CYCLE_1) | instskip(NEXT) | instid1(VALU_DEP_2)
	s_mul_i32 s1, s0, s34
	v_and_or_b32 v0, 0x3800, v0, v2
	s_mul_i32 s6, s1, s8
	v_mul_lo_u32 v1, v1, s0
	s_ashr_i32 s7, s6, 31
	s_delay_alu instid0(VALU_DEP_2) | instskip(SKIP_1) | instid1(VALU_DEP_2)
	v_lshl_or_b32 v3, v66, 6, v0
	s_lshl_b64 s[6:7], s[6:7], 1
	v_ashrrev_i32_e32 v2, 31, v1
	ds_load_b128 v[3:6], v3
	s_waitcnt lgkmcnt(0)
	s_add_u32 s1, s4, s6
	s_addc_u32 s3, s5, s7
	s_lshl_b32 s4, s14, 7
	v_lshlrev_b64 v[7:8], 1, v[1:2]
	s_ashr_i32 s5, s4, 31
	s_delay_alu instid0(SALU_CYCLE_1) | instskip(NEXT) | instid1(SALU_CYCLE_1)
	s_lshl_b64 s[4:5], s[4:5], 1
	s_add_u32 s1, s1, s4
	s_addc_u32 s3, s3, s5
	v_add_co_u32 v1, s1, s1, v65
	s_delay_alu instid0(VALU_DEP_1) | instskip(NEXT) | instid1(VALU_DEP_2)
	v_add_co_ci_u32_e64 v2, null, s3, 0, s1
	v_add_co_u32 v7, vcc_lo, v1, v7
	s_delay_alu instid0(VALU_DEP_2)
	v_add_co_ci_u32_e32 v8, vcc_lo, v2, v8, vcc_lo
	global_store_b128 v[7:8], v[3:6], off
	s_and_b32 exec_lo, exec_lo, s2
	s_cbranch_execz .LBB988_2
; %bb.16:
	ds_load_b128 v[3:6], v0 offset:128
	s_add_i32 s1, s31, 2
	s_delay_alu instid0(SALU_CYCLE_1) | instskip(NEXT) | instid1(SALU_CYCLE_1)
	s_mul_i32 s0, s1, s0
	s_ashr_i32 s1, s0, 31
	s_delay_alu instid0(SALU_CYCLE_1) | instskip(NEXT) | instid1(SALU_CYCLE_1)
	s_lshl_b64 s[0:1], s[0:1], 1
	v_add_co_u32 v0, vcc_lo, v1, s0
	v_add_co_ci_u32_e32 v1, vcc_lo, s1, v2, vcc_lo
	s_waitcnt lgkmcnt(0)
	global_store_b128 v[0:1], v[3:6], off
	s_nop 0
	s_sendmsg sendmsg(MSG_DEALLOC_VGPRS)
	s_endpgm
	.section	.rodata,"a",@progbits
	.p2align	6, 0x0
	.amdhsa_kernel _Z39paged_attention_ll4mi_QKV_mfma16_kernelIDF16_hLN4vllm18Fp8KVCacheDataTypeE1EDF16_Li16ELi128ELi256ELb1ELi3EL8MFMAType1EEvPKT_PKT0_S8_ifPKiSA_SA_iPKfiiiPfSD_PS3_PT2_iSC_SC_
		.amdhsa_group_segment_fixed_size 17472
		.amdhsa_private_segment_fixed_size 0
		.amdhsa_kernarg_size 400
		.amdhsa_user_sgpr_count 13
		.amdhsa_user_sgpr_dispatch_ptr 0
		.amdhsa_user_sgpr_queue_ptr 0
		.amdhsa_user_sgpr_kernarg_segment_ptr 1
		.amdhsa_user_sgpr_dispatch_id 0
		.amdhsa_user_sgpr_private_segment_size 0
		.amdhsa_wavefront_size32 1
		.amdhsa_uses_dynamic_stack 0
		.amdhsa_enable_private_segment 0
		.amdhsa_system_sgpr_workgroup_id_x 1
		.amdhsa_system_sgpr_workgroup_id_y 1
		.amdhsa_system_sgpr_workgroup_id_z 1
		.amdhsa_system_sgpr_workgroup_info 0
		.amdhsa_system_vgpr_workitem_id 0
		.amdhsa_next_free_vgpr 150
		.amdhsa_next_free_sgpr 36
		.amdhsa_reserve_vcc 1
		.amdhsa_float_round_mode_32 0
		.amdhsa_float_round_mode_16_64 0
		.amdhsa_float_denorm_mode_32 3
		.amdhsa_float_denorm_mode_16_64 3
		.amdhsa_dx10_clamp 1
		.amdhsa_ieee_mode 1
		.amdhsa_fp16_overflow 0
		.amdhsa_workgroup_processor_mode 1
		.amdhsa_memory_ordered 1
		.amdhsa_forward_progress 0
		.amdhsa_shared_vgpr_count 0
		.amdhsa_exception_fp_ieee_invalid_op 0
		.amdhsa_exception_fp_denorm_src 0
		.amdhsa_exception_fp_ieee_div_zero 0
		.amdhsa_exception_fp_ieee_overflow 0
		.amdhsa_exception_fp_ieee_underflow 0
		.amdhsa_exception_fp_ieee_inexact 0
		.amdhsa_exception_int_div_zero 0
	.end_amdhsa_kernel
	.section	.text._Z39paged_attention_ll4mi_QKV_mfma16_kernelIDF16_hLN4vllm18Fp8KVCacheDataTypeE1EDF16_Li16ELi128ELi256ELb1ELi3EL8MFMAType1EEvPKT_PKT0_S8_ifPKiSA_SA_iPKfiiiPfSD_PS3_PT2_iSC_SC_,"axG",@progbits,_Z39paged_attention_ll4mi_QKV_mfma16_kernelIDF16_hLN4vllm18Fp8KVCacheDataTypeE1EDF16_Li16ELi128ELi256ELb1ELi3EL8MFMAType1EEvPKT_PKT0_S8_ifPKiSA_SA_iPKfiiiPfSD_PS3_PT2_iSC_SC_,comdat
.Lfunc_end988:
	.size	_Z39paged_attention_ll4mi_QKV_mfma16_kernelIDF16_hLN4vllm18Fp8KVCacheDataTypeE1EDF16_Li16ELi128ELi256ELb1ELi3EL8MFMAType1EEvPKT_PKT0_S8_ifPKiSA_SA_iPKfiiiPfSD_PS3_PT2_iSC_SC_, .Lfunc_end988-_Z39paged_attention_ll4mi_QKV_mfma16_kernelIDF16_hLN4vllm18Fp8KVCacheDataTypeE1EDF16_Li16ELi128ELi256ELb1ELi3EL8MFMAType1EEvPKT_PKT0_S8_ifPKiSA_SA_iPKfiiiPfSD_PS3_PT2_iSC_SC_
                                        ; -- End function
	.section	.AMDGPU.csdata,"",@progbits
; Kernel info:
; codeLenInByte = 6588
; NumSgprs: 38
; NumVgprs: 150
; ScratchSize: 0
; MemoryBound: 0
; FloatMode: 240
; IeeeMode: 1
; LDSByteSize: 17472 bytes/workgroup (compile time only)
; SGPRBlocks: 4
; VGPRBlocks: 18
; NumSGPRsForWavesPerEU: 38
; NumVGPRsForWavesPerEU: 150
; Occupancy: 9
; WaveLimiterHint : 1
; COMPUTE_PGM_RSRC2:SCRATCH_EN: 0
; COMPUTE_PGM_RSRC2:USER_SGPR: 13
; COMPUTE_PGM_RSRC2:TRAP_HANDLER: 0
; COMPUTE_PGM_RSRC2:TGID_X_EN: 1
; COMPUTE_PGM_RSRC2:TGID_Y_EN: 1
; COMPUTE_PGM_RSRC2:TGID_Z_EN: 1
; COMPUTE_PGM_RSRC2:TIDIG_COMP_CNT: 0
	.section	.text._Z39paged_attention_ll4mi_QKV_mfma16_kernelIDF16_hLN4vllm18Fp8KVCacheDataTypeE1EDF16_Li16ELi128ELi256ELb1ELi4EL8MFMAType1EEvPKT_PKT0_S8_ifPKiSA_SA_iPKfiiiPfSD_PS3_PT2_iSC_SC_,"axG",@progbits,_Z39paged_attention_ll4mi_QKV_mfma16_kernelIDF16_hLN4vllm18Fp8KVCacheDataTypeE1EDF16_Li16ELi128ELi256ELb1ELi4EL8MFMAType1EEvPKT_PKT0_S8_ifPKiSA_SA_iPKfiiiPfSD_PS3_PT2_iSC_SC_,comdat
	.protected	_Z39paged_attention_ll4mi_QKV_mfma16_kernelIDF16_hLN4vllm18Fp8KVCacheDataTypeE1EDF16_Li16ELi128ELi256ELb1ELi4EL8MFMAType1EEvPKT_PKT0_S8_ifPKiSA_SA_iPKfiiiPfSD_PS3_PT2_iSC_SC_ ; -- Begin function _Z39paged_attention_ll4mi_QKV_mfma16_kernelIDF16_hLN4vllm18Fp8KVCacheDataTypeE1EDF16_Li16ELi128ELi256ELb1ELi4EL8MFMAType1EEvPKT_PKT0_S8_ifPKiSA_SA_iPKfiiiPfSD_PS3_PT2_iSC_SC_
	.globl	_Z39paged_attention_ll4mi_QKV_mfma16_kernelIDF16_hLN4vllm18Fp8KVCacheDataTypeE1EDF16_Li16ELi128ELi256ELb1ELi4EL8MFMAType1EEvPKT_PKT0_S8_ifPKiSA_SA_iPKfiiiPfSD_PS3_PT2_iSC_SC_
	.p2align	8
	.type	_Z39paged_attention_ll4mi_QKV_mfma16_kernelIDF16_hLN4vllm18Fp8KVCacheDataTypeE1EDF16_Li16ELi128ELi256ELb1ELi4EL8MFMAType1EEvPKT_PKT0_S8_ifPKiSA_SA_iPKfiiiPfSD_PS3_PT2_iSC_SC_,@function
_Z39paged_attention_ll4mi_QKV_mfma16_kernelIDF16_hLN4vllm18Fp8KVCacheDataTypeE1EDF16_Li16ELi128ELi256ELb1ELi4EL8MFMAType1EEvPKT_PKT0_S8_ifPKiSA_SA_iPKfiiiPfSD_PS3_PT2_iSC_SC_: ; @_Z39paged_attention_ll4mi_QKV_mfma16_kernelIDF16_hLN4vllm18Fp8KVCacheDataTypeE1EDF16_Li16ELi128ELi256ELb1ELi4EL8MFMAType1EEvPKT_PKT0_S8_ifPKiSA_SA_iPKfiiiPfSD_PS3_PT2_iSC_SC_
; %bb.0:
	s_load_b64 s[4:5], s[0:1], 0x30
	s_mov_b32 s30, s13
	s_waitcnt lgkmcnt(0)
	s_cmp_lg_u64 s[4:5], 0
	s_cselect_b32 s13, -1, 0
	s_ashr_i32 s31, s30, 31
	s_cmp_eq_u64 s[4:5], 0
	s_cbranch_scc1 .LBB989_3
; %bb.1:
	s_lshl_b64 s[2:3], s[30:31], 2
	s_delay_alu instid0(SALU_CYCLE_1) | instskip(SKIP_4) | instid1(SALU_CYCLE_1)
	s_add_u32 s2, s4, s2
	s_addc_u32 s3, s5, s3
	s_load_b64 s[2:3], s[2:3], 0x0
	s_waitcnt lgkmcnt(0)
	s_sub_i32 s2, s3, s2
	s_cmp_eq_u32 s2, 1
	s_cselect_b32 s2, -1, 0
	s_delay_alu instid0(SALU_CYCLE_1)
	s_and_not1_b32 vcc_lo, exec_lo, s2
	s_cbranch_vccz .LBB989_4
.LBB989_2:
	s_endpgm
.LBB989_3:
.LBB989_4:
	s_load_b64 s[2:3], s[0:1], 0x28
	s_lshl_b64 s[6:7], s[30:31], 2
	s_waitcnt lgkmcnt(0)
	s_add_u32 s2, s2, s6
	s_addc_u32 s3, s3, s7
	s_lshl_b32 s12, s14, 8
	s_load_b32 s17, s[2:3], 0x0
	s_waitcnt lgkmcnt(0)
	s_cmp_ge_i32 s12, s17
	s_cbranch_scc1 .LBB989_2
; %bb.5:
	s_clause 0x1
	s_load_b128 s[8:11], s[0:1], 0x8
	s_load_b64 s[2:3], s[0:1], 0x20
	s_and_not1_b32 vcc_lo, exec_lo, s13
	s_cbranch_vccnz .LBB989_7
; %bb.6:
	s_add_u32 s4, s4, s6
	s_addc_u32 s5, s5, s7
	s_load_b32 s13, s[4:5], 0x0
	s_branch .LBB989_8
.LBB989_7:
	s_mov_b32 s13, s30
.LBB989_8:
	s_load_b128 s[4:7], s[0:1], 0x48
	v_and_b32_e32 v69, 15, v0
	v_lshrrev_b32_e32 v68, 5, v0
	v_and_b32_e32 v70, 31, v0
	v_and_b32_e32 v67, 1, v0
	v_bfe_u32 v66, v0, 4, 1
	v_lshlrev_b32_e32 v1, 3, v69
	s_lshl_b32 s31, s15, 2
	s_waitcnt lgkmcnt(0)
	s_mov_b32 s7, exec_lo
	s_delay_alu instid0(VALU_DEP_1)
	v_lshlrev_b32_e32 v65, 1, v1
	v_cmpx_gt_u32_e32 64, v0
	s_cbranch_execz .LBB989_10
; %bb.9:
	v_lshl_or_b32 v5, v68, 1, v66
	s_load_b64 s[18:19], s[0:1], 0x0
	s_mul_hi_i32 s21, s13, s4
	s_mul_i32 s20, s13, s4
	v_lshlrev_b32_e32 v6, 10, v69
	v_or_b32_e32 v1, s31, v5
	s_lshl_b64 s[20:21], s[20:21], 1
	v_lshlrev_b32_e32 v5, 6, v5
	v_lshlrev_b32_e32 v7, 10, v67
	v_and_b32_e32 v6, 0x3800, v6
	v_lshlrev_b32_e32 v1, 7, v1
	s_delay_alu instid0(VALU_DEP_2) | instskip(NEXT) | instid1(VALU_DEP_2)
	v_or3_b32 v5, v6, v7, v5
	v_ashrrev_i32_e32 v2, 31, v1
	s_delay_alu instid0(VALU_DEP_1) | instskip(SKIP_3) | instid1(VALU_DEP_1)
	v_lshlrev_b64 v[1:2], 1, v[1:2]
	s_waitcnt lgkmcnt(0)
	s_add_u32 s4, s18, s20
	s_addc_u32 s13, s19, s21
	v_add_co_u32 v1, vcc_lo, s4, v1
	s_delay_alu instid0(VALU_DEP_2) | instskip(NEXT) | instid1(VALU_DEP_2)
	v_add_co_ci_u32_e32 v2, vcc_lo, s13, v2, vcc_lo
	v_add_co_u32 v1, vcc_lo, v1, v65
	s_delay_alu instid0(VALU_DEP_2)
	v_add_co_ci_u32_e32 v2, vcc_lo, 0, v2, vcc_lo
	global_load_b128 v[1:4], v[1:2], off
	s_waitcnt vmcnt(0)
	ds_store_b128 v5, v[1:4]
.LBB989_10:
	s_or_b32 exec_lo, exec_lo, s7
	v_and_b32_e32 v1, 0xef, v0
	s_add_i32 s4, s17, 15
	s_clause 0x1
	s_load_b32 s7, s[0:1], 0x38
	s_load_b32 s33, s[0:1], 0x98
	s_ashr_i32 s13, s4, 31
	v_add_nc_u32_e32 v1, s12, v1
	s_lshr_b32 s13, s13, 28
	s_load_b32 s18, s[0:1], 0x1c
	s_add_i32 s4, s4, s13
	s_waitcnt lgkmcnt(0)
	v_ashrrev_i32_e32 v2, 31, v1
	v_or_b32_e32 v3, 16, v1
	s_ashr_i32 s4, s4, 4
	v_cmp_gt_i32_e32 vcc_lo, s17, v1
	s_add_i32 s4, s4, -1
	v_lshrrev_b32_e32 v2, 28, v2
	s_barrier
	buffer_gl0_inv
	s_mul_i32 s15, s15, s6
	v_add_nc_u32_e32 v4, v1, v2
	s_mul_i32 s20, s30, s7
	s_delay_alu instid0(SALU_CYCLE_1) | instskip(NEXT) | instid1(VALU_DEP_1)
	s_ashr_i32 s21, s20, 31
	v_ashrrev_i32_e32 v4, 4, v4
	v_add_nc_u32_e32 v2, v3, v2
	s_lshl_b64 s[20:21], s[20:21], 2
	s_delay_alu instid0(SALU_CYCLE_1) | instskip(NEXT) | instid1(VALU_DEP_2)
	s_add_u32 s13, s2, s20
	v_cndmask_b32_e32 v1, s4, v4, vcc_lo
	s_delay_alu instid0(VALU_DEP_2)
	v_ashrrev_i32_e32 v2, 4, v2
	v_cmp_gt_i32_e32 vcc_lo, s17, v3
	s_addc_u32 s16, s3, s21
	s_ashr_i32 s19, s15, 31
	s_add_u32 s26, s8, s15
	s_addc_u32 s27, s9, s19
	v_cndmask_b32_e32 v3, s4, v2, vcc_lo
	v_ashrrev_i32_e32 v2, 31, v1
	s_lshl_b32 s2, s14, 4
	s_delay_alu instid0(SALU_CYCLE_1) | instskip(NEXT) | instid1(VALU_DEP_2)
	s_ashr_i32 s3, s2, 31
	v_ashrrev_i32_e32 v4, 31, v3
	s_delay_alu instid0(VALU_DEP_2) | instskip(SKIP_1) | instid1(SALU_CYCLE_1)
	v_lshlrev_b64 v[1:2], 2, v[1:2]
	s_lshl_b64 s[2:3], s[2:3], 2
	s_add_u32 s2, s13, s2
	s_delay_alu instid0(VALU_DEP_2) | instskip(SKIP_1) | instid1(VALU_DEP_2)
	v_lshlrev_b64 v[3:4], 2, v[3:4]
	s_addc_u32 s3, s16, s3
	v_add_co_u32 v1, vcc_lo, s13, v1
	v_add_co_ci_u32_e32 v2, vcc_lo, s16, v2, vcc_lo
	s_delay_alu instid0(VALU_DEP_3) | instskip(NEXT) | instid1(VALU_DEP_4)
	v_add_co_u32 v3, vcc_lo, s13, v3
	v_add_co_ci_u32_e32 v4, vcc_lo, s16, v4, vcc_lo
	s_clause 0x1
	global_load_b32 v5, v[1:2], off
	global_load_b32 v3, v[3:4], off
	s_or_b32 s6, s12, 32
	s_delay_alu instid0(SALU_CYCLE_1) | instskip(SKIP_2) | instid1(SALU_CYCLE_1)
	s_ashr_i32 s7, s6, 4
	s_cmp_lt_i32 s6, s17
	s_cselect_b32 s6, s7, s4
	s_ashr_i32 s7, s6, 31
	s_delay_alu instid0(SALU_CYCLE_1) | instskip(NEXT) | instid1(SALU_CYCLE_1)
	s_lshl_b64 s[6:7], s[6:7], 2
	s_add_u32 s6, s13, s6
	s_addc_u32 s7, s16, s7
	s_or_b32 s8, s12, 64
	s_delay_alu instid0(SALU_CYCLE_1) | instskip(SKIP_2) | instid1(SALU_CYCLE_1)
	s_ashr_i32 s9, s8, 4
	s_cmp_lt_i32 s8, s17
	s_cselect_b32 s8, s9, s4
	s_ashr_i32 s9, s8, 31
	s_delay_alu instid0(SALU_CYCLE_1) | instskip(NEXT) | instid1(SALU_CYCLE_1)
	s_lshl_b64 s[8:9], s[8:9], 2
	s_add_u32 s8, s13, s8
	s_addc_u32 s9, s16, s9
	;; [unrolled: 10-line block ×5, first 2 shown]
	s_clause 0x5
	s_load_b32 s28, s[2:3], 0x0
	s_load_b32 s29, s[6:7], 0x0
	;; [unrolled: 1-line block ×6, first 2 shown]
	s_mov_b32 s20, 0
	s_or_b32 s2, s12, 0xc0
	s_mov_b32 s21, s20
	s_mov_b32 s22, s20
	;; [unrolled: 1-line block ×5, first 2 shown]
	v_lshlrev_b32_e32 v1, 4, v0
	s_ashr_i32 s3, s2, 4
	s_cmp_lt_i32 s2, s17
	s_cselect_b32 s2, s3, s4
	s_delay_alu instid0(VALU_DEP_1) | instskip(SKIP_1) | instid1(SALU_CYCLE_1)
	v_and_b32_e32 v1, 0xf0, v1
	s_ashr_i32 s3, s2, 31
	s_lshl_b64 s[2:3], s[2:3], 2
	s_delay_alu instid0(VALU_DEP_1) | instskip(NEXT) | instid1(VALU_DEP_1)
	v_add_co_u32 v1, s26, s26, v1
	v_add_co_ci_u32_e64 v2, null, s27, 0, s26
	s_add_u32 s2, s13, s2
	s_addc_u32 s3, s16, s3
	s_or_b32 s6, s12, 0xe0
	s_mov_b32 s27, s20
	s_ashr_i32 s7, s6, 4
	s_cmp_lt_i32 s6, s17
	s_mov_b32 s26, s20
	s_cselect_b32 s6, s7, s4
	v_mov_b32_e32 v102, s27
	v_mov_b32_e32 v96, s21
	s_ashr_i32 s7, s6, 31
	v_mov_b32_e32 v101, s26
	s_lshl_b64 s[6:7], s[6:7], 2
	v_dual_mov_b32 v100, s25 :: v_dual_mov_b32 v99, s24
	v_dual_mov_b32 v98, s23 :: v_dual_mov_b32 v97, s22
	v_mov_b32_e32 v95, s20
	s_waitcnt vmcnt(1)
	v_mad_i64_i32 v[33:34], null, v5, s5, v[1:2]
	s_waitcnt vmcnt(0)
	v_mad_i64_i32 v[35:36], null, v3, s5, v[1:2]
	s_clause 0xf
	global_load_b128 v[1:4], v[33:34], off
	global_load_b128 v[5:8], v[33:34], off offset:256
	global_load_b128 v[9:12], v[35:36], off
	global_load_b128 v[13:16], v[35:36], off offset:256
	global_load_b128 v[17:20], v[33:34], off offset:512
	;; [unrolled: 1-line block ×13, first 2 shown]
	v_and_b32_e32 v33, 3, v0
	v_lshlrev_b32_e32 v34, 4, v69
	s_delay_alu instid0(VALU_DEP_2) | instskip(NEXT) | instid1(VALU_DEP_2)
	v_lshlrev_b32_e32 v139, 6, v33
	v_lshl_or_b32 v41, v68, 8, v34
	ds_load_b128 v[33:36], v139
	ds_load_b128 v[37:40], v139 offset:1024
	ds_load_b128 v[103:106], v139 offset:2048
	;; [unrolled: 1-line block ×3, first 2 shown]
	s_load_b32 s4, s[2:3], 0x0
	s_add_u32 s2, s13, s6
	s_addc_u32 s3, s16, s7
	ds_load_b128 v[111:114], v139 offset:4096
	ds_load_b128 v[115:118], v139 offset:5120
	s_load_b32 s2, s[2:3], 0x0
	s_add_u32 s6, s10, s15
	s_addc_u32 s7, s11, s19
	v_add_co_u32 v127, s6, s6, v41
	s_delay_alu instid0(VALU_DEP_1) | instskip(SKIP_1) | instid1(VALU_DEP_1)
	v_add_co_ci_u32_e64 v128, null, s7, 0, s6
	s_waitcnt lgkmcnt(0)
	v_mad_i64_i32 v[41:42], null, s28, s5, v[127:128]
	v_mad_i64_i32 v[129:130], null, s8, s5, v[127:128]
	;; [unrolled: 1-line block ×7, first 2 shown]
	s_clause 0x3
	global_load_b128 v[49:52], v[41:42], off
	global_load_b128 v[53:56], v[41:42], off offset:16
	global_load_b128 v[41:44], v[45:46], off
	global_load_b128 v[45:48], v[45:46], off offset:16
	s_waitcnt vmcnt(18)
	v_wmma_f32_16x16x16_f16 v[119:126], v[1:8], v[33:40], v[95:102]
	s_waitcnt vmcnt(16)
	v_wmma_f32_16x16x16_f16 v[95:102], v[9:16], v[33:40], v[95:102]
	s_clause 0x3
	global_load_b128 v[33:36], v[129:130], off
	global_load_b128 v[37:40], v[129:130], off offset:16
	global_load_b128 v[1:4], v[131:132], off
	global_load_b128 v[5:8], v[131:132], off offset:16
	s_waitcnt vmcnt(18)
	v_wmma_f32_16x16x16_f16 v[119:126], v[17:24], v[103:110], v[119:126]
	s_clause 0x3
	global_load_b128 v[9:12], v[133:134], off
	global_load_b128 v[13:16], v[133:134], off offset:16
	global_load_b128 v[17:20], v[135:136], off
	global_load_b128 v[21:24], v[135:136], off offset:16
	s_waitcnt vmcnt(20)
	v_wmma_f32_16x16x16_f16 v[95:102], v[25:32], v[103:110], v[95:102]
	v_mad_i64_i32 v[103:104], null, s2, s5, v[127:128]
	s_waitcnt vmcnt(18)
	v_wmma_f32_16x16x16_f16 v[119:126], v[57:64], v[111:118], v[119:126]
	s_clause 0x1
	global_load_b128 v[25:28], v[137:138], off
	global_load_b128 v[29:32], v[137:138], off offset:16
	s_waitcnt vmcnt(18)
	v_wmma_f32_16x16x16_f16 v[95:102], v[71:78], v[111:118], v[95:102]
	s_clause 0x1
	global_load_b128 v[57:60], v[103:104], off
	global_load_b128 v[61:64], v[103:104], off offset:16
	ds_load_b128 v[71:74], v139 offset:6144
	ds_load_b128 v[75:78], v139 offset:7168
	v_mbcnt_lo_u32_b32 v104, -1, 0
	s_waitcnt vmcnt(0) lgkmcnt(0)
	s_barrier
	buffer_gl0_inv
	v_xor_b32_e32 v105, 16, v104
	s_delay_alu instid0(VALU_DEP_1) | instskip(SKIP_4) | instid1(VALU_DEP_2)
	v_cmp_gt_i32_e32 vcc_lo, 32, v105
	v_cndmask_b32_e32 v104, v104, v105, vcc_lo
	v_wmma_f32_16x16x16_f16 v[95:102], v[87:94], v[71:78], v[95:102]
	v_and_b32_e32 v103, 0xe0, v0
	v_wmma_f32_16x16x16_f16 v[119:126], v[79:86], v[71:78], v[119:126]
	v_dual_mul_f32 v90, s18, v101 :: v_dual_add_nc_u32 v103, s12, v103
	s_delay_alu instid0(VALU_DEP_2) | instskip(NEXT) | instid1(VALU_DEP_3)
	v_dual_mul_f32 v94, s18, v97 :: v_dual_mul_f32 v87, s18, v120
	v_dual_mul_f32 v88, s18, v119 :: v_dual_mul_f32 v77, s18, v122
	s_delay_alu instid0(VALU_DEP_3) | instskip(SKIP_3) | instid1(VALU_DEP_4)
	v_or_b32_e32 v103, v103, v66
	v_dual_mul_f32 v78, s18, v121 :: v_dual_mul_f32 v75, s18, v124
	v_dual_mul_f32 v76, s18, v123 :: v_dual_mul_f32 v73, s18, v126
	v_mul_f32_e32 v92, s18, v99
	v_or_b32_e32 v105, 2, v103
	v_or_b32_e32 v106, 4, v103
	;; [unrolled: 1-line block ×3, first 2 shown]
	v_cmp_gt_i32_e64 s2, s17, v103
	v_or_b32_e32 v108, 8, v103
	v_cmp_gt_i32_e32 vcc_lo, s17, v105
	v_or_b32_e32 v109, 10, v103
	v_cmp_gt_i32_e64 s3, s17, v106
	v_cndmask_b32_e64 v88, 0xff7fffff, v88, s2
	v_cmp_gt_i32_e64 s4, s17, v107
	v_cndmask_b32_e32 v87, 0xff7fffff, v87, vcc_lo
	v_or_b32_e32 v79, 12, v103
	v_or_b32_e32 v80, 14, v103
	v_cndmask_b32_e64 v78, 0xff7fffff, v78, s3
	v_cndmask_b32_e64 v77, 0xff7fffff, v77, s4
	v_max3_f32 v87, v88, 0xff7fffff, v87
	v_cmp_gt_i32_e64 s5, s17, v108
	v_cmp_gt_i32_e64 s6, s17, v109
	v_or_b32_e32 v81, 16, v103
	v_or_b32_e32 v82, 18, v103
	v_mul_f32_e32 v74, s18, v125
	v_cndmask_b32_e64 v76, 0xff7fffff, v76, s5
	v_cndmask_b32_e64 v75, 0xff7fffff, v75, s6
	v_max3_f32 v77, v87, v78, v77
	v_cmp_gt_i32_e64 s7, s17, v79
	v_cmp_gt_i32_e64 s8, s17, v80
	v_or_b32_e32 v83, 20, v103
	v_or_b32_e32 v84, 22, v103
	;; [unrolled: 1-line block ×6, first 2 shown]
	v_mul_f32_e32 v105, s18, v96
	v_mul_f32_e32 v103, s18, v95
	v_cndmask_b32_e64 v74, 0xff7fffff, v74, s7
	v_cndmask_b32_e64 v73, 0xff7fffff, v73, s8
	v_max3_f32 v75, v77, v76, v75
	v_cmp_gt_i32_e64 s9, s17, v81
	v_cmp_gt_i32_e64 s10, s17, v82
	v_mul_f32_e32 v93, s18, v98
	v_cmp_gt_i32_e64 s11, s17, v83
	v_max3_f32 v73, v75, v74, v73
	v_cndmask_b32_e64 v76, 0xff7fffff, v103, s9
	v_cndmask_b32_e64 v77, 0xff7fffff, v105, s10
	v_cmp_gt_i32_e64 s12, s17, v84
	v_mul_f32_e32 v91, s18, v100
	v_cndmask_b32_e64 v74, 0xff7fffff, v94, s11
	v_cmp_gt_i32_e64 s13, s17, v85
	v_max3_f32 v73, v73, v76, v77
	v_cndmask_b32_e64 v75, 0xff7fffff, v93, s12
	v_cmp_gt_i32_e64 s15, s17, v86
	v_mul_f32_e32 v89, s18, v102
	v_cndmask_b32_e64 v76, 0xff7fffff, v92, s13
	v_cmp_gt_i32_e64 s16, s17, v71
	v_max3_f32 v73, v73, v74, v75
	v_cndmask_b32_e64 v77, 0xff7fffff, v91, s15
	v_cmp_gt_i32_e64 s17, s17, v72
	v_lshlrev_b32_e32 v74, 2, v104
	v_cndmask_b32_e64 v71, 0xff7fffff, v90, s16
	s_delay_alu instid0(VALU_DEP_4) | instskip(NEXT) | instid1(VALU_DEP_4)
	v_max3_f32 v73, v73, v76, v77
	v_cndmask_b32_e64 v72, 0xff7fffff, v89, s17
	s_delay_alu instid0(VALU_DEP_1) | instskip(SKIP_3) | instid1(VALU_DEP_1)
	v_max3_f32 v71, v73, v71, v72
	ds_bpermute_b32 v72, v74, v71
	s_waitcnt lgkmcnt(0)
	v_max_f32_e32 v72, v72, v72
	v_max_f32_e32 v71, v71, v72
	s_delay_alu instid0(VALU_DEP_1)
	v_fma_f32 v72, s18, v119, -v71
	v_fma_f32 v76, s18, v122, -v71
	;; [unrolled: 1-line block ×5, first 2 shown]
	v_mul_f32_e32 v72, 0x3fb8aa3b, v72
	v_mul_f32_e32 v76, 0x3fb8aa3b, v76
	v_fma_f32 v75, s18, v121, -v71
	v_mul_f32_e32 v79, 0x3fb8aa3b, v77
	v_mul_f32_e32 v87, 0x3fb8aa3b, v86
	v_exp_f32_e32 v72, v72
	v_exp_f32_e32 v76, v76
	v_fma_f32 v81, s18, v125, -v71
	v_exp_f32_e32 v82, v79
	v_exp_f32_e32 v87, v87
	v_fma_f32 v84, s18, v96, -v71
	s_delay_alu instid0(VALU_DEP_2) | instskip(SKIP_3) | instid1(TRANS32_DEP_3)
	v_mul_f32_e32 v81, 0x3fb8aa3b, v81
	v_cndmask_b32_e64 v78, 0, v72, s2
	v_fma_f32 v72, s18, v124, -v71
	v_mul_f32_e32 v73, 0x3fb8aa3b, v73
	v_cndmask_b32_e64 v79, 0, v76, s4
	v_fma_f32 v76, s18, v95, -v71
	s_delay_alu instid0(VALU_DEP_4) | instskip(NEXT) | instid1(VALU_DEP_4)
	v_dual_mul_f32 v75, 0x3fb8aa3b, v75 :: v_dual_mul_f32 v72, 0x3fb8aa3b, v72
	v_exp_f32_e32 v73, v73
	v_cndmask_b32_e64 v87, 0, v87, s12
	s_delay_alu instid0(VALU_DEP_3) | instskip(NEXT) | instid1(VALU_DEP_3)
	v_mul_f32_e32 v76, 0x3fb8aa3b, v76
	v_exp_f32_e32 v75, v75
	v_exp_f32_e32 v72, v72
	;; [unrolled: 1-line block ×3, first 2 shown]
	v_cndmask_b32_e64 v82, 0, v82, s5
	v_mul_f32_e32 v85, 0x3fb8aa3b, v84
	v_exp_f32_e32 v76, v76
	s_mov_b32 s2, exec_lo
	v_cndmask_b32_e32 v77, 0, v73, vcc_lo
	v_add_f32_e32 v73, 0, v78
	v_exp_f32_e32 v85, v85
	v_cndmask_b32_e64 v80, 0, v75, s3
	v_fma_f32 v75, s18, v126, -v71
	v_cndmask_b32_e64 v81, 0, v72, s6
	v_add_f32_e32 v73, v73, v77
	v_cndmask_b32_e64 v84, 0, v83, s7
	v_cndmask_b32_e64 v86, 0, v76, s9
	v_mul_f32_e32 v75, 0x3fb8aa3b, v75
	s_delay_alu instid0(VALU_DEP_4) | instskip(NEXT) | instid1(TRANS32_DEP_1)
	v_add_f32_e32 v73, v73, v80
	v_cndmask_b32_e64 v85, 0, v85, s10
	s_delay_alu instid0(VALU_DEP_3) | instskip(NEXT) | instid1(VALU_DEP_2)
	v_exp_f32_e32 v75, v75
	v_add_f32_e32 v73, v73, v79
	s_delay_alu instid0(VALU_DEP_1) | instskip(SKIP_3) | instid1(VALU_DEP_1)
	v_add_f32_e32 v72, v73, v82
	s_waitcnt_depctr 0xfff
	v_cndmask_b32_e64 v83, 0, v75, s8
	v_add_f32_e32 v72, v72, v81
	v_add_f32_e32 v72, v72, v84
	s_delay_alu instid0(VALU_DEP_1) | instskip(NEXT) | instid1(VALU_DEP_1)
	v_add_f32_e32 v72, v72, v83
	v_add_f32_e32 v72, v72, v86
	s_delay_alu instid0(VALU_DEP_1) | instskip(SKIP_4) | instid1(VALU_DEP_4)
	v_add_f32_e32 v72, v72, v85
	v_fma_f32 v73, s18, v97, -v71
	v_fma_f32 v75, s18, v99, -v71
	;; [unrolled: 1-line block ×4, first 2 shown]
	v_mul_f32_e32 v73, 0x3fb8aa3b, v73
	s_delay_alu instid0(VALU_DEP_3) | instskip(NEXT) | instid1(VALU_DEP_2)
	v_dual_mul_f32 v75, 0x3fb8aa3b, v75 :: v_dual_mul_f32 v76, 0x3fb8aa3b, v76
	v_exp_f32_e32 v73, v73
	s_delay_alu instid0(VALU_DEP_1) | instskip(NEXT) | instid1(VALU_DEP_1)
	v_exp_f32_e32 v75, v75
	v_exp_f32_e32 v76, v76
	s_delay_alu instid0(TRANS32_DEP_3)
	v_cndmask_b32_e64 v88, 0, v73, s11
	v_mul_f32_e32 v73, 0x3fb8aa3b, v89
	v_fma_f32 v89, s18, v102, -v71
	s_waitcnt_depctr 0xfff
	v_cndmask_b32_e64 v90, 0, v75, s13
	v_add_f32_e32 v72, v72, v88
	v_exp_f32_e32 v73, v73
	v_mul_f32_e32 v75, 0x3fb8aa3b, v89
	v_cndmask_b32_e64 v89, 0, v76, s15
	s_delay_alu instid0(VALU_DEP_3) | instskip(NEXT) | instid1(VALU_DEP_3)
	v_add_f32_e32 v72, v72, v87
	v_exp_f32_e32 v75, v75
	s_delay_alu instid0(VALU_DEP_1) | instskip(SKIP_4) | instid1(VALU_DEP_2)
	v_add_f32_e32 v72, v72, v90
	s_waitcnt_depctr 0xfff
	v_cndmask_b32_e64 v92, 0, v73, s16
	v_add_f32_e32 v72, v72, v89
	v_cndmask_b32_e64 v91, 0, v75, s17
	v_add_f32_e32 v72, v72, v92
	s_delay_alu instid0(VALU_DEP_1)
	v_add_f32_e32 v72, v72, v91
	ds_bpermute_b32 v73, v74, v72
	v_cmpx_gt_u32_e32 16, v70
	s_cbranch_execz .LBB989_12
; %bb.11:
	v_mul_u32_u24_e32 v70, 0x44, v68
	s_waitcnt lgkmcnt(0)
	v_add_f32_e32 v72, v72, v73
	s_delay_alu instid0(VALU_DEP_2) | instskip(NEXT) | instid1(VALU_DEP_1)
	v_lshl_add_u32 v70, v69, 2, v70
	v_add_nc_u32_e32 v70, 0x4000, v70
	ds_store_2addr_b32 v70, v71, v72 offset1:136
.LBB989_12:
	s_or_b32 exec_lo, exec_lo, s2
	v_lshlrev_b32_e32 v70, 2, v69
	s_load_b32 s34, s[0:1], 0x94
	s_waitcnt lgkmcnt(0)
	s_barrier
	buffer_gl0_inv
	v_add_nc_u32_e32 v74, 0x4000, v70
	v_cmp_eq_u32_e32 vcc_lo, 1, v68
	v_cmp_eq_u32_e64 s2, 2, v68
	v_cmp_eq_u32_e64 s3, 3, v68
	;; [unrolled: 1-line block ×3, first 2 shown]
	ds_load_2addr_b32 v[70:71], v74 offset1:17
	ds_load_2addr_b32 v[72:73], v74 offset0:34 offset1:51
	ds_load_2addr_b32 v[93:94], v74 offset0:68 offset1:85
	;; [unrolled: 1-line block ×3, first 2 shown]
	v_cmp_eq_u32_e64 s5, 5, v68
	v_cmp_eq_u32_e64 s6, 7, v68
	s_waitcnt lgkmcnt(3)
	v_max3_f32 v75, v70, 0xff7fffff, v71
	s_waitcnt lgkmcnt(2)
	s_delay_alu instid0(VALU_DEP_1) | instskip(SKIP_1) | instid1(VALU_DEP_1)
	v_max3_f32 v75, v75, v72, v73
	s_waitcnt lgkmcnt(1)
	v_max3_f32 v75, v75, v93, v94
	s_waitcnt lgkmcnt(0)
	s_delay_alu instid0(VALU_DEP_1) | instskip(NEXT) | instid1(VALU_DEP_1)
	v_max3_f32 v75, v75, v95, v96
	v_sub_f32_e32 v93, v93, v75
	ds_load_2addr_b32 v[97:98], v74 offset0:136 offset1:153
	v_sub_f32_e32 v70, v70, v75
	v_dual_sub_f32 v100, v73, v75 :: v_dual_mul_f32 v103, 0x3fb8aa3b, v93
	s_delay_alu instid0(VALU_DEP_2) | instskip(SKIP_3) | instid1(VALU_DEP_1)
	v_dual_sub_f32 v76, v71, v75 :: v_dual_mul_f32 v99, 0x3fb8aa3b, v70
	ds_load_2addr_b32 v[70:71], v74 offset0:170 offset1:187
	v_mul_f32_e32 v76, 0x3fb8aa3b, v76
	v_exp_f32_e32 v99, v99
	v_exp_f32_e32 v102, v76
	v_mul_f32_e32 v100, 0x3fb8aa3b, v100
	s_waitcnt lgkmcnt(1)
	s_waitcnt_depctr 0xfff
	v_fma_f32 v76, v99, v97, 0
	v_sub_f32_e32 v97, v94, v75
	v_sub_f32_e32 v72, v72, v75
	v_exp_f32_e32 v100, v100
	ds_load_2addr_b32 v[93:94], v74 offset0:238 offset1:255
	v_dual_fmac_f32 v76, v102, v98 :: v_dual_mul_f32 v101, 0x3fb8aa3b, v72
	ds_load_2addr_b32 v[72:73], v74 offset0:204 offset1:221
	v_dual_sub_f32 v74, v95, v75 :: v_dual_mul_f32 v95, 0x3fb8aa3b, v97
	v_exp_f32_e32 v97, v103
	v_exp_f32_e32 v101, v101
	s_waitcnt lgkmcnt(0)
	s_barrier
	v_exp_f32_e32 v95, v95
	buffer_gl0_inv
	v_fmac_f32_e32 v76, v101, v70
	v_sub_f32_e32 v70, v96, v75
	s_delay_alu instid0(VALU_DEP_2) | instskip(NEXT) | instid1(VALU_DEP_2)
	v_fmac_f32_e32 v76, v100, v71
	v_mul_f32_e32 v70, 0x3fb8aa3b, v70
	s_delay_alu instid0(VALU_DEP_2)
	v_dual_cndmask_b32 v71, v99, v102 :: v_dual_fmac_f32 v76, v97, v72
	v_lshlrev_b32_e32 v72, 6, v69
	v_lshlrev_b32_e32 v69, 2, v66
	v_mul_f32_e32 v74, 0x3fb8aa3b, v74
	v_exp_f32_e32 v98, v70
	v_fmac_f32_e32 v76, v95, v73
	s_delay_alu instid0(VALU_DEP_3) | instskip(NEXT) | instid1(VALU_DEP_3)
	v_cmp_eq_u32_e64 s7, 7, v69
	v_exp_f32_e32 v96, v74
	v_lshl_or_b32 v74, v68, 11, v72
	s_waitcnt_depctr 0xfff
	v_fmac_f32_e32 v76, v96, v93
	s_delay_alu instid0(VALU_DEP_1) | instskip(NEXT) | instid1(VALU_DEP_1)
	v_fmac_f32_e32 v76, v98, v94
	v_add_f32_e32 v73, 0x358637bd, v76
	s_delay_alu instid0(VALU_DEP_1) | instskip(SKIP_1) | instid1(VALU_DEP_2)
	v_div_scale_f32 v93, null, v73, v73, 1.0
	v_div_scale_f32 v99, vcc_lo, 1.0, v73, 1.0
	v_rcp_f32_e32 v94, v93
	s_waitcnt_depctr 0xfff
	v_fma_f32 v70, -v93, v94, 1.0
	s_delay_alu instid0(VALU_DEP_1)
	v_fmac_f32_e32 v94, v70, v94
	v_cndmask_b32_e64 v70, v71, v101, s2
	v_cmp_eq_u32_e64 s2, 6, v68
	v_or_b32_e32 v71, 1, v69
	v_or_b32_e32 v68, 2, v69
	v_mul_f32_e32 v101, v99, v94
	v_cndmask_b32_e64 v70, v70, v100, s3
	v_cmp_eq_u32_e64 s3, 1, v69
	v_cmp_eq_u32_e64 s8, 1, v71
	;; [unrolled: 1-line block ×3, first 2 shown]
	v_fma_f32 v100, -v93, v101, v99
	v_cndmask_b32_e64 v70, v70, v97, s4
	v_cmp_eq_u32_e64 s4, 2, v69
	v_cmp_eq_u32_e64 s11, 2, v71
	v_cmp_eq_u32_e64 s13, 2, v68
	v_fmac_f32_e32 v101, v100, v94
	v_cndmask_b32_e64 v95, v70, v95, s5
	v_or_b32_e32 v70, 3, v69
	v_cmp_eq_u32_e64 s12, 3, v71
	v_cmp_eq_u32_e64 s16, 3, v68
	v_fma_f32 v93, -v93, v101, v99
	v_cndmask_b32_e64 v95, v95, v96, s2
	v_cmp_eq_u32_e64 s10, 1, v70
	v_cmp_eq_u32_e64 s15, 2, v70
	;; [unrolled: 1-line block ×3, first 2 shown]
	v_div_fmas_f32 v93, v93, v94, v101
	v_cndmask_b32_e64 v94, v95, v98, s6
	v_cmp_eq_u32_e32 vcc_lo, 3, v69
	v_cmp_eq_u32_e64 s2, 4, v69
	v_cmp_eq_u32_e64 s18, 4, v71
	v_div_fixup_f32 v93, v93, v73, 1.0
	v_lshl_or_b32 v73, v66, 4, v74
	v_cmp_eq_u32_e64 s21, 4, v70
	v_cmp_eq_u32_e64 s5, 5, v69
	;; [unrolled: 1-line block ×3, first 2 shown]
	v_mul_f32_e32 v101, v94, v93
	v_cmp_eq_u32_e64 s20, 4, v68
	v_cmp_eq_u32_e64 s23, 5, v70
	;; [unrolled: 1-line block ×4, first 2 shown]
	v_fma_mixlo_f16 v93, v101, v78, 0
	v_fma_mixlo_f16 v94, v101, v80, 0
	;; [unrolled: 1-line block ×8, first 2 shown]
	v_fma_mixhi_f16 v93, v101, v77, 0
	v_fma_mixhi_f16 v94, v101, v79, 0
	;; [unrolled: 1-line block ×8, first 2 shown]
	ds_store_b128 v73, v[93:96]
	ds_store_b128 v73, v[97:100] offset:1024
	s_waitcnt lgkmcnt(0)
	s_barrier
	buffer_gl0_inv
	ds_load_b128 v[77:80], v74
	ds_load_b128 v[81:84], v74 offset:16
	ds_load_b128 v[85:88], v74 offset:1024
	;; [unrolled: 1-line block ×3, first 2 shown]
	v_cmp_eq_u32_e64 s26, 6, v70
	v_cmp_eq_u32_e64 s6, 6, v69
	;; [unrolled: 1-line block ×6, first 2 shown]
	s_waitcnt lgkmcnt(3)
	v_lshrrev_b32_e32 v93, 16, v77
	s_waitcnt lgkmcnt(2)
	v_lshrrev_b32_e32 v97, 16, v81
	s_waitcnt lgkmcnt(1)
	v_lshrrev_b32_e32 v101, 16, v85
	s_waitcnt lgkmcnt(0)
	v_lshrrev_b32_e32 v105, 16, v89
	v_lshrrev_b32_e32 v94, 16, v78
	v_cndmask_b32_e64 v109, v77, v93, s3
	v_cndmask_b32_e64 v110, v81, v97, s3
	;; [unrolled: 1-line block ×8, first 2 shown]
	v_lshrrev_b32_e32 v98, 16, v82
	v_cndmask_b32_e64 v93, v85, v101, s3
	v_cndmask_b32_e64 v97, v89, v105, s3
	;; [unrolled: 1-line block ×15, first 2 shown]
	v_lshrrev_b32_e32 v102, 16, v86
	v_lshrrev_b32_e32 v106, 16, v90
	v_cndmask_b32_e64 v112, v114, v82, s13
	v_cndmask_b32_e64 v81, v93, v86, s4
	;; [unrolled: 1-line block ×7, first 2 shown]
	v_cndmask_b32_e32 v89, v101, v94, vcc_lo
	v_cndmask_b32_e32 v101, v105, v98, vcc_lo
	v_cndmask_b32_e64 v105, v109, v94, s12
	v_cndmask_b32_e64 v109, v110, v98, s12
	;; [unrolled: 1-line block ×4, first 2 shown]
	v_lshrrev_b32_e32 v95, 16, v79
	v_lshrrev_b32_e32 v99, 16, v83
	v_cndmask_b32_e64 v110, v111, v94, s16
	v_cndmask_b32_e64 v111, v112, v98, s16
	v_cndmask_b32_e32 v81, v81, v102, vcc_lo
	v_cndmask_b32_e32 v82, v82, v106, vcc_lo
	v_cndmask_b32_e64 v93, v93, v102, s12
	v_cndmask_b32_e64 v89, v89, v79, s2
	;; [unrolled: 1-line block ×7, first 2 shown]
	v_lshrrev_b32_e32 v103, 16, v87
	v_cndmask_b32_e64 v105, v110, v79, s20
	v_cndmask_b32_e64 v109, v111, v83, s20
	;; [unrolled: 1-line block ×11, first 2 shown]
	v_lshrrev_b32_e32 v96, 16, v80
	v_lshrrev_b32_e32 v100, 16, v84
	v_cndmask_b32_e64 v98, v105, v95, s22
	v_cndmask_b32_e64 v101, v109, v99, s22
	;; [unrolled: 1-line block ×7, first 2 shown]
	v_lshrrev_b32_e32 v104, 16, v88
	v_cndmask_b32_e64 v79, v79, v103, s5
	v_cndmask_b32_e64 v83, v83, v80, s6
	;; [unrolled: 1-line block ×16, first 2 shown]
	v_perm_b32 v80, v78, v77, 0x5040100
	v_perm_b32 v78, v94, v84, 0x5040100
	v_cndmask_b32_e64 v77, v118, v90, s13
	v_cndmask_b32_e64 v84, v116, v90, s11
	;; [unrolled: 1-line block ×3, first 2 shown]
	v_perm_b32 v79, v93, v89, 0x5040100
	v_cndmask_b32_e64 v89, v97, v102, s16
	v_cndmask_b32_e64 v85, v85, v102, s17
	;; [unrolled: 1-line block ×5, first 2 shown]
	v_lshrrev_b32_e32 v107, 16, v91
	v_cndmask_b32_e64 v89, v89, v87, s20
	v_cndmask_b32_e64 v85, v85, v87, s21
	;; [unrolled: 1-line block ×11, first 2 shown]
	v_lshrrev_b32_e32 v108, 16, v92
	v_cndmask_b32_e64 v81, v81, v92, s6
	v_cndmask_b32_e64 v87, v87, v88, s25
	;; [unrolled: 1-line block ×12, first 2 shown]
	v_perm_b32 v77, v83, v82, 0x5040100
	v_perm_b32 v84, v86, v85, 0x5040100
	;; [unrolled: 1-line block ×5, first 2 shown]
	s_lshl_b32 s7, s33, 2
	s_mov_b32 s2, exec_lo
	ds_store_b128 v73, v[77:80]
	ds_store_b128 v73, v[81:84] offset:1024
	v_cmpx_gt_u32_e32 4, v0
	s_cbranch_execz .LBB989_14
; %bb.13:
	v_or_b32_e32 v77, s31, v0
	s_load_b128 s[8:11], s[0:1], 0x58
	s_delay_alu instid0(VALU_DEP_1) | instskip(NEXT) | instid1(VALU_DEP_1)
	v_mad_u64_u32 v[78:79], null, s7, s30, v[77:78]
	v_mad_u64_u32 v[79:80], null, v78, s34, s[14:15]
	s_delay_alu instid0(VALU_DEP_1) | instskip(NEXT) | instid1(VALU_DEP_1)
	v_ashrrev_i32_e32 v80, 31, v79
	v_lshlrev_b64 v[77:78], 2, v[79:80]
	s_waitcnt lgkmcnt(0)
	s_delay_alu instid0(VALU_DEP_1) | instskip(NEXT) | instid1(VALU_DEP_2)
	v_add_co_u32 v79, vcc_lo, s10, v77
	v_add_co_ci_u32_e32 v80, vcc_lo, s11, v78, vcc_lo
	v_add_co_u32 v77, vcc_lo, s8, v77
	v_add_co_ci_u32_e32 v78, vcc_lo, s9, v78, vcc_lo
	global_store_b32 v[79:80], v75, off
	global_store_b32 v[77:78], v76, off
.LBB989_14:
	s_or_b32 exec_lo, exec_lo, s2
	s_waitcnt lgkmcnt(0)
	s_waitcnt_vscnt null, 0x0
	s_barrier
	buffer_gl0_inv
	ds_load_b128 v[83:86], v72
	ds_load_b128 v[87:90], v72 offset:16
	ds_load_b128 v[95:98], v72 offset:2064
	;; [unrolled: 1-line block ×5, first 2 shown]
	v_cmp_eq_u32_e32 vcc_lo, 1, v69
	v_mov_b32_e32 v75, 0
	ds_load_b128 v[111:114], v72 offset:6160
	ds_load_b128 v[107:110], v72 offset:6144
	;; [unrolled: 1-line block ×4, first 2 shown]
	v_cmp_eq_u32_e64 s3, 1, v68
	v_cmp_eq_u32_e64 s2, 1, v71
	v_cmp_eq_u32_e64 s4, 2, v71
	v_mov_b32_e32 v76, v75
	v_mov_b32_e32 v77, v75
	;; [unrolled: 1-line block ×7, first 2 shown]
	v_cmp_eq_u32_e64 s5, 3, v71
	v_cmp_eq_u32_e64 s6, 7, v71
	s_waitcnt lgkmcnt(8)
	s_delay_alu instid0(VALU_DEP_3)
	v_wmma_f32_16x16x16_f16 v[75:82], v[49:56], v[83:90], v[75:82]
	ds_load_b128 v[53:56], v72 offset:10256
	ds_load_b128 v[49:52], v72 offset:10240
	s_waitcnt lgkmcnt(8)
	v_wmma_f32_16x16x16_f16 v[75:82], v[41:48], v[91:98], v[75:82]
	ds_load_b128 v[45:48], v72 offset:12304
	ds_load_b128 v[41:44], v72 offset:12288
	s_waitcnt lgkmcnt(8)
	;; [unrolled: 4-line block ×3, first 2 shown]
	s_barrier
	buffer_gl0_inv
	v_wmma_f32_16x16x16_f16 v[75:82], v[1:8], v[107:114], v[75:82]
	s_delay_alu instid0(VALU_DEP_1) | instskip(NEXT) | instid1(VALU_DEP_1)
	v_wmma_f32_16x16x16_f16 v[75:82], v[9:16], v[115:122], v[75:82]
	v_wmma_f32_16x16x16_f16 v[75:82], v[17:24], v[49:56], v[75:82]
	s_delay_alu instid0(VALU_DEP_1) | instskip(NEXT) | instid1(VALU_DEP_1)
	v_wmma_f32_16x16x16_f16 v[75:82], v[25:32], v[41:48], v[75:82]
	v_wmma_f32_16x16x16_f16 v[75:82], v[57:64], v[33:40], v[75:82]
	s_delay_alu instid0(VALU_DEP_1) | instskip(NEXT) | instid1(VALU_DEP_2)
	v_cvt_f16_f32_e32 v1, v75
	v_cvt_f16_f32_e32 v2, v76
	s_delay_alu instid0(VALU_DEP_3) | instskip(NEXT) | instid1(VALU_DEP_4)
	v_cvt_f16_f32_e32 v3, v77
	v_cvt_f16_f32_e32 v4, v78
	;; [unrolled: 1-line block ×6, first 2 shown]
	v_pack_b32_f16 v1, v1, v2
	v_pack_b32_f16 v2, v3, v4
	;; [unrolled: 1-line block ×3, first 2 shown]
	s_delay_alu instid0(VALU_DEP_4)
	v_pack_b32_f16 v4, v7, v8
	ds_store_b128 v73, v[1:4]
	s_waitcnt lgkmcnt(0)
	s_barrier
	buffer_gl0_inv
	ds_load_b128 v[1:4], v74
	ds_load_b128 v[5:8], v74 offset:16
	s_waitcnt lgkmcnt(1)
	v_lshrrev_b32_e32 v9, 16, v1
	s_waitcnt lgkmcnt(0)
	v_lshrrev_b32_e32 v13, 16, v5
	v_lshrrev_b32_e32 v10, 16, v2
	;; [unrolled: 1-line block ×4, first 2 shown]
	v_cndmask_b32_e32 v17, v1, v9, vcc_lo
	v_cndmask_b32_e32 v18, v5, v13, vcc_lo
	v_cndmask_b32_e64 v21, v1, v9, s3
	v_cmp_eq_u32_e32 vcc_lo, 1, v70
	v_cndmask_b32_e64 v22, v5, v13, s3
	v_cmp_eq_u32_e64 s3, 2, v69
	v_cndmask_b32_e64 v19, v1, v9, s2
	v_cndmask_b32_e64 v20, v5, v13, s2
	v_cndmask_b32_e32 v1, v1, v9, vcc_lo
	v_cmp_eq_u32_e64 s2, 2, v70
	v_cndmask_b32_e32 v5, v5, v13, vcc_lo
	v_cndmask_b32_e64 v9, v17, v2, s3
	v_cmp_eq_u32_e32 vcc_lo, 3, v69
	v_cndmask_b32_e64 v13, v18, v6, s3
	v_cmp_eq_u32_e64 s3, 2, v68
	v_cndmask_b32_e64 v17, v19, v2, s4
	v_cndmask_b32_e64 v18, v20, v6, s4
	v_cmp_eq_u32_e64 s4, 3, v68
	v_cndmask_b32_e64 v1, v1, v2, s2
	v_cndmask_b32_e64 v19, v21, v2, s3
	;; [unrolled: 1-line block ×4, first 2 shown]
	v_cndmask_b32_e32 v5, v9, v10, vcc_lo
	v_cndmask_b32_e32 v6, v13, v14, vcc_lo
	v_cmp_eq_u32_e32 vcc_lo, 3, v70
	v_cndmask_b32_e64 v9, v17, v10, s5
	v_cndmask_b32_e64 v13, v18, v14, s5
	;; [unrolled: 1-line block ×3, first 2 shown]
	v_cmp_eq_u32_e64 s3, 4, v69
	v_cndmask_b32_e32 v1, v1, v10, vcc_lo
	v_cndmask_b32_e32 v2, v2, v14, vcc_lo
	v_cmp_eq_u32_e32 vcc_lo, 4, v71
	v_lshrrev_b32_e32 v15, 16, v7
	v_lshrrev_b32_e32 v16, 16, v8
	v_cndmask_b32_e64 v17, v19, v10, s4
	v_cmp_eq_u32_e64 s2, 4, v70
	v_cndmask_b32_e64 v5, v5, v3, s3
	v_cndmask_b32_e64 v6, v6, v7, s3
	v_cndmask_b32_e32 v9, v9, v3, vcc_lo
	v_cmp_eq_u32_e64 s3, 5, v71
	v_cndmask_b32_e32 v10, v13, v7, vcc_lo
	v_cmp_eq_u32_e32 vcc_lo, 4, v68
	v_cmp_eq_u32_e64 s4, 5, v69
	v_cndmask_b32_e64 v2, v2, v7, s2
	v_cndmask_b32_e64 v9, v9, v11, s3
	;; [unrolled: 1-line block ×3, first 2 shown]
	v_cndmask_b32_e32 v13, v17, v3, vcc_lo
	v_cmp_eq_u32_e64 s3, 5, v68
	v_cndmask_b32_e32 v14, v18, v7, vcc_lo
	v_cndmask_b32_e64 v1, v1, v3, s2
	v_cmp_eq_u32_e32 vcc_lo, 5, v70
	v_lshrrev_b32_e32 v12, 16, v4
	v_cndmask_b32_e64 v13, v13, v11, s3
	v_cndmask_b32_e64 v3, v14, v15, s3
	v_cmp_eq_u32_e64 s3, 6, v70
	v_cndmask_b32_e32 v1, v1, v11, vcc_lo
	v_cndmask_b32_e64 v5, v5, v11, s4
	v_cmp_eq_u32_e64 s5, 6, v69
	v_cndmask_b32_e64 v6, v6, v15, s4
	v_cmp_eq_u32_e64 s4, 6, v71
	v_cmp_eq_u32_e64 s2, 6, v68
	v_cndmask_b32_e64 v1, v1, v4, s3
	v_cndmask_b32_e32 v2, v2, v15, vcc_lo
	v_cmp_eq_u32_e32 vcc_lo, 7, v70
	v_cndmask_b32_e64 v5, v5, v4, s5
	v_cndmask_b32_e64 v9, v9, v4, s4
	;; [unrolled: 1-line block ×3, first 2 shown]
	v_cmp_eq_u32_e64 s5, 7, v69
	v_cndmask_b32_e32 v1, v1, v12, vcc_lo
	v_cndmask_b32_e64 v7, v13, v4, s2
	v_cndmask_b32_e64 v3, v3, v8, s2
	;; [unrolled: 1-line block ×3, first 2 shown]
	v_cmp_eq_u32_e64 s2, 7, v68
	v_cndmask_b32_e64 v4, v10, v8, s4
	v_cndmask_b32_e64 v5, v5, v12, s5
	;; [unrolled: 1-line block ×3, first 2 shown]
	v_cndmask_b32_e32 v2, v2, v16, vcc_lo
	v_cndmask_b32_e64 v7, v7, v12, s2
	v_cndmask_b32_e64 v3, v3, v16, s2
	;; [unrolled: 1-line block ×4, first 2 shown]
	v_perm_b32 v4, v2, v1, 0x5040100
	s_mov_b32 s2, exec_lo
	v_perm_b32 v3, v3, v7, 0x5040100
	v_perm_b32 v2, v8, v9, 0x5040100
	v_perm_b32 v1, v6, v5, 0x5040100
	ds_store_b128 v73, v[1:4]
	s_waitcnt lgkmcnt(0)
	s_barrier
	buffer_gl0_inv
	v_cmpx_gt_u32_e32 32, v0
	s_cbranch_execz .LBB989_2
; %bb.15:
	s_load_b64 s[0:1], s[0:1], 0x68
	v_lshlrev_b32_e32 v0, 10, v0
	v_or_b32_e32 v1, s31, v66
	s_lshl_b32 s4, s34, 7
	v_lshlrev_b32_e32 v2, 4, v67
	s_mul_i32 s2, s4, s30
	v_lshlrev_b32_e32 v3, 6, v66
	v_mul_lo_u32 v8, v1, s4
	v_and_b32_e32 v0, 0x3800, v0
	v_or_b32_e32 v1, 2, v1
	s_mul_i32 s2, s2, s7
	s_delay_alu instid0(SALU_CYCLE_1) | instskip(NEXT) | instid1(VALU_DEP_2)
	s_ashr_i32 s3, s2, 31
	v_or3_b32 v4, v0, v2, v3
	s_lshl_b64 s[2:3], s[2:3], 1
	v_mul_lo_u32 v10, v1, s4
	v_ashrrev_i32_e32 v9, 31, v8
	ds_load_b128 v[0:3], v4
	ds_load_b128 v[4:7], v4 offset:128
	s_waitcnt lgkmcnt(0)
	s_add_u32 s2, s0, s2
	s_addc_u32 s3, s1, s3
	s_lshl_b32 s0, s14, 7
	v_ashrrev_i32_e32 v11, 31, v10
	s_ashr_i32 s1, s0, 31
	v_lshlrev_b64 v[8:9], 1, v[8:9]
	s_lshl_b64 s[0:1], s[0:1], 1
	s_delay_alu instid0(SALU_CYCLE_1) | instskip(SKIP_2) | instid1(VALU_DEP_1)
	s_add_u32 s0, s2, s0
	s_addc_u32 s1, s3, s1
	v_add_co_u32 v12, s0, s0, v65
	v_add_co_ci_u32_e64 v13, null, s1, 0, s0
	v_lshlrev_b64 v[10:11], 1, v[10:11]
	s_delay_alu instid0(VALU_DEP_3) | instskip(NEXT) | instid1(VALU_DEP_3)
	v_add_co_u32 v8, vcc_lo, v12, v8
	v_add_co_ci_u32_e32 v9, vcc_lo, v13, v9, vcc_lo
	s_delay_alu instid0(VALU_DEP_3) | instskip(NEXT) | instid1(VALU_DEP_4)
	v_add_co_u32 v10, vcc_lo, v12, v10
	v_add_co_ci_u32_e32 v11, vcc_lo, v13, v11, vcc_lo
	s_clause 0x1
	global_store_b128 v[8:9], v[0:3], off
	global_store_b128 v[10:11], v[4:7], off
	s_nop 0
	s_sendmsg sendmsg(MSG_DEALLOC_VGPRS)
	s_endpgm
	.section	.rodata,"a",@progbits
	.p2align	6, 0x0
	.amdhsa_kernel _Z39paged_attention_ll4mi_QKV_mfma16_kernelIDF16_hLN4vllm18Fp8KVCacheDataTypeE1EDF16_Li16ELi128ELi256ELb1ELi4EL8MFMAType1EEvPKT_PKT0_S8_ifPKiSA_SA_iPKfiiiPfSD_PS3_PT2_iSC_SC_
		.amdhsa_group_segment_fixed_size 17472
		.amdhsa_private_segment_fixed_size 0
		.amdhsa_kernarg_size 400
		.amdhsa_user_sgpr_count 13
		.amdhsa_user_sgpr_dispatch_ptr 0
		.amdhsa_user_sgpr_queue_ptr 0
		.amdhsa_user_sgpr_kernarg_segment_ptr 1
		.amdhsa_user_sgpr_dispatch_id 0
		.amdhsa_user_sgpr_private_segment_size 0
		.amdhsa_wavefront_size32 1
		.amdhsa_uses_dynamic_stack 0
		.amdhsa_enable_private_segment 0
		.amdhsa_system_sgpr_workgroup_id_x 1
		.amdhsa_system_sgpr_workgroup_id_y 1
		.amdhsa_system_sgpr_workgroup_id_z 1
		.amdhsa_system_sgpr_workgroup_info 0
		.amdhsa_system_vgpr_workitem_id 0
		.amdhsa_next_free_vgpr 140
		.amdhsa_next_free_sgpr 36
		.amdhsa_reserve_vcc 1
		.amdhsa_float_round_mode_32 0
		.amdhsa_float_round_mode_16_64 0
		.amdhsa_float_denorm_mode_32 3
		.amdhsa_float_denorm_mode_16_64 3
		.amdhsa_dx10_clamp 1
		.amdhsa_ieee_mode 1
		.amdhsa_fp16_overflow 0
		.amdhsa_workgroup_processor_mode 1
		.amdhsa_memory_ordered 1
		.amdhsa_forward_progress 0
		.amdhsa_shared_vgpr_count 0
		.amdhsa_exception_fp_ieee_invalid_op 0
		.amdhsa_exception_fp_denorm_src 0
		.amdhsa_exception_fp_ieee_div_zero 0
		.amdhsa_exception_fp_ieee_overflow 0
		.amdhsa_exception_fp_ieee_underflow 0
		.amdhsa_exception_fp_ieee_inexact 0
		.amdhsa_exception_int_div_zero 0
	.end_amdhsa_kernel
	.section	.text._Z39paged_attention_ll4mi_QKV_mfma16_kernelIDF16_hLN4vllm18Fp8KVCacheDataTypeE1EDF16_Li16ELi128ELi256ELb1ELi4EL8MFMAType1EEvPKT_PKT0_S8_ifPKiSA_SA_iPKfiiiPfSD_PS3_PT2_iSC_SC_,"axG",@progbits,_Z39paged_attention_ll4mi_QKV_mfma16_kernelIDF16_hLN4vllm18Fp8KVCacheDataTypeE1EDF16_Li16ELi128ELi256ELb1ELi4EL8MFMAType1EEvPKT_PKT0_S8_ifPKiSA_SA_iPKfiiiPfSD_PS3_PT2_iSC_SC_,comdat
.Lfunc_end989:
	.size	_Z39paged_attention_ll4mi_QKV_mfma16_kernelIDF16_hLN4vllm18Fp8KVCacheDataTypeE1EDF16_Li16ELi128ELi256ELb1ELi4EL8MFMAType1EEvPKT_PKT0_S8_ifPKiSA_SA_iPKfiiiPfSD_PS3_PT2_iSC_SC_, .Lfunc_end989-_Z39paged_attention_ll4mi_QKV_mfma16_kernelIDF16_hLN4vllm18Fp8KVCacheDataTypeE1EDF16_Li16ELi128ELi256ELb1ELi4EL8MFMAType1EEvPKT_PKT0_S8_ifPKiSA_SA_iPKfiiiPfSD_PS3_PT2_iSC_SC_
                                        ; -- End function
	.section	.AMDGPU.csdata,"",@progbits
; Kernel info:
; codeLenInByte = 6500
; NumSgprs: 38
; NumVgprs: 140
; ScratchSize: 0
; MemoryBound: 0
; FloatMode: 240
; IeeeMode: 1
; LDSByteSize: 17472 bytes/workgroup (compile time only)
; SGPRBlocks: 4
; VGPRBlocks: 17
; NumSGPRsForWavesPerEU: 38
; NumVGPRsForWavesPerEU: 140
; Occupancy: 10
; WaveLimiterHint : 1
; COMPUTE_PGM_RSRC2:SCRATCH_EN: 0
; COMPUTE_PGM_RSRC2:USER_SGPR: 13
; COMPUTE_PGM_RSRC2:TRAP_HANDLER: 0
; COMPUTE_PGM_RSRC2:TGID_X_EN: 1
; COMPUTE_PGM_RSRC2:TGID_Y_EN: 1
; COMPUTE_PGM_RSRC2:TGID_Z_EN: 1
; COMPUTE_PGM_RSRC2:TIDIG_COMP_CNT: 0
	.section	.text._Z38paged_attention_ll4mi_QKV_mfma4_kernelIDF16_hLN4vllm18Fp8KVCacheDataTypeE1EDF16_Li16ELi128ELi256ELb0ELi1EEvPKT_PKT0_S7_ifPKiS9_S9_iPKfiiiPfSC_PS2_PT2_iSB_SB_,"axG",@progbits,_Z38paged_attention_ll4mi_QKV_mfma4_kernelIDF16_hLN4vllm18Fp8KVCacheDataTypeE1EDF16_Li16ELi128ELi256ELb0ELi1EEvPKT_PKT0_S7_ifPKiS9_S9_iPKfiiiPfSC_PS2_PT2_iSB_SB_,comdat
	.protected	_Z38paged_attention_ll4mi_QKV_mfma4_kernelIDF16_hLN4vllm18Fp8KVCacheDataTypeE1EDF16_Li16ELi128ELi256ELb0ELi1EEvPKT_PKT0_S7_ifPKiS9_S9_iPKfiiiPfSC_PS2_PT2_iSB_SB_ ; -- Begin function _Z38paged_attention_ll4mi_QKV_mfma4_kernelIDF16_hLN4vllm18Fp8KVCacheDataTypeE1EDF16_Li16ELi128ELi256ELb0ELi1EEvPKT_PKT0_S7_ifPKiS9_S9_iPKfiiiPfSC_PS2_PT2_iSB_SB_
	.globl	_Z38paged_attention_ll4mi_QKV_mfma4_kernelIDF16_hLN4vllm18Fp8KVCacheDataTypeE1EDF16_Li16ELi128ELi256ELb0ELi1EEvPKT_PKT0_S7_ifPKiS9_S9_iPKfiiiPfSC_PS2_PT2_iSB_SB_
	.p2align	8
	.type	_Z38paged_attention_ll4mi_QKV_mfma4_kernelIDF16_hLN4vllm18Fp8KVCacheDataTypeE1EDF16_Li16ELi128ELi256ELb0ELi1EEvPKT_PKT0_S7_ifPKiS9_S9_iPKfiiiPfSC_PS2_PT2_iSB_SB_,@function
_Z38paged_attention_ll4mi_QKV_mfma4_kernelIDF16_hLN4vllm18Fp8KVCacheDataTypeE1EDF16_Li16ELi128ELi256ELb0ELi1EEvPKT_PKT0_S7_ifPKiS9_S9_iPKfiiiPfSC_PS2_PT2_iSB_SB_: ; @_Z38paged_attention_ll4mi_QKV_mfma4_kernelIDF16_hLN4vllm18Fp8KVCacheDataTypeE1EDF16_Li16ELi128ELi256ELb0ELi1EEvPKT_PKT0_S7_ifPKiS9_S9_iPKfiiiPfSC_PS2_PT2_iSB_SB_
; %bb.0:
	s_add_u32 s8, s0, 0x90
	s_addc_u32 s9, s1, 0
	s_getpc_b64 s[0:1]
	s_add_u32 s0, s0, __PRETTY_FUNCTION__._Z38paged_attention_ll4mi_QKV_mfma4_kernelIDF16_hLN4vllm18Fp8KVCacheDataTypeE1EDF16_Li16ELi128ELi256ELb0ELi1EEvPKT_PKT0_S7_ifPKiS9_S9_iPKfiiiPfSC_PS2_PT2_iSB_SB_@rel32@lo+4
	s_addc_u32 s1, s1, __PRETTY_FUNCTION__._Z38paged_attention_ll4mi_QKV_mfma4_kernelIDF16_hLN4vllm18Fp8KVCacheDataTypeE1EDF16_Li16ELi128ELi256ELb0ELi1EEvPKT_PKT0_S7_ifPKiS9_S9_iPKfiiiPfSC_PS2_PT2_iSB_SB_@rel32@hi+12
	s_delay_alu instid0(SALU_CYCLE_1) | instskip(SKIP_4) | instid1(SALU_CYCLE_1)
	v_dual_mov_b32 v0, s0 :: v_dual_mov_b32 v1, s1
	s_mov_b32 s32, 0
	s_getpc_b64 s[2:3]
	s_add_u32 s2, s2, __assert_fail@rel32@lo+4
	s_addc_u32 s3, s3, __assert_fail@rel32@hi+12
	s_swappc_b64 s[30:31], s[2:3]
	.section	.rodata,"a",@progbits
	.p2align	6, 0x0
	.amdhsa_kernel _Z38paged_attention_ll4mi_QKV_mfma4_kernelIDF16_hLN4vllm18Fp8KVCacheDataTypeE1EDF16_Li16ELi128ELi256ELb0ELi1EEvPKT_PKT0_S7_ifPKiS9_S9_iPKfiiiPfSC_PS2_PT2_iSB_SB_
		.amdhsa_group_segment_fixed_size 0
		.amdhsa_private_segment_fixed_size 64
		.amdhsa_kernarg_size 400
		.amdhsa_user_sgpr_count 15
		.amdhsa_user_sgpr_dispatch_ptr 0
		.amdhsa_user_sgpr_queue_ptr 0
		.amdhsa_user_sgpr_kernarg_segment_ptr 1
		.amdhsa_user_sgpr_dispatch_id 0
		.amdhsa_user_sgpr_private_segment_size 0
		.amdhsa_wavefront_size32 1
		.amdhsa_uses_dynamic_stack 0
		.amdhsa_enable_private_segment 1
		.amdhsa_system_sgpr_workgroup_id_x 1
		.amdhsa_system_sgpr_workgroup_id_y 0
		.amdhsa_system_sgpr_workgroup_id_z 0
		.amdhsa_system_sgpr_workgroup_info 0
		.amdhsa_system_vgpr_workitem_id 0
		.amdhsa_next_free_vgpr 41
		.amdhsa_next_free_sgpr 34
		.amdhsa_reserve_vcc 1
		.amdhsa_float_round_mode_32 0
		.amdhsa_float_round_mode_16_64 0
		.amdhsa_float_denorm_mode_32 3
		.amdhsa_float_denorm_mode_16_64 3
		.amdhsa_dx10_clamp 1
		.amdhsa_ieee_mode 1
		.amdhsa_fp16_overflow 0
		.amdhsa_workgroup_processor_mode 1
		.amdhsa_memory_ordered 1
		.amdhsa_forward_progress 0
		.amdhsa_shared_vgpr_count 0
		.amdhsa_exception_fp_ieee_invalid_op 0
		.amdhsa_exception_fp_denorm_src 0
		.amdhsa_exception_fp_ieee_div_zero 0
		.amdhsa_exception_fp_ieee_overflow 0
		.amdhsa_exception_fp_ieee_underflow 0
		.amdhsa_exception_fp_ieee_inexact 0
		.amdhsa_exception_int_div_zero 0
	.end_amdhsa_kernel
	.section	.text._Z38paged_attention_ll4mi_QKV_mfma4_kernelIDF16_hLN4vllm18Fp8KVCacheDataTypeE1EDF16_Li16ELi128ELi256ELb0ELi1EEvPKT_PKT0_S7_ifPKiS9_S9_iPKfiiiPfSC_PS2_PT2_iSB_SB_,"axG",@progbits,_Z38paged_attention_ll4mi_QKV_mfma4_kernelIDF16_hLN4vllm18Fp8KVCacheDataTypeE1EDF16_Li16ELi128ELi256ELb0ELi1EEvPKT_PKT0_S7_ifPKiS9_S9_iPKfiiiPfSC_PS2_PT2_iSB_SB_,comdat
.Lfunc_end990:
	.size	_Z38paged_attention_ll4mi_QKV_mfma4_kernelIDF16_hLN4vllm18Fp8KVCacheDataTypeE1EDF16_Li16ELi128ELi256ELb0ELi1EEvPKT_PKT0_S7_ifPKiS9_S9_iPKfiiiPfSC_PS2_PT2_iSB_SB_, .Lfunc_end990-_Z38paged_attention_ll4mi_QKV_mfma4_kernelIDF16_hLN4vllm18Fp8KVCacheDataTypeE1EDF16_Li16ELi128ELi256ELb0ELi1EEvPKT_PKT0_S7_ifPKiS9_S9_iPKfiiiPfSC_PS2_PT2_iSB_SB_
                                        ; -- End function
	.section	.AMDGPU.csdata,"",@progbits
; Kernel info:
; codeLenInByte = 72
; NumSgprs: 36
; NumVgprs: 41
; ScratchSize: 64
; MemoryBound: 0
; FloatMode: 240
; IeeeMode: 1
; LDSByteSize: 0 bytes/workgroup (compile time only)
; SGPRBlocks: 4
; VGPRBlocks: 5
; NumSGPRsForWavesPerEU: 36
; NumVGPRsForWavesPerEU: 41
; Occupancy: 16
; WaveLimiterHint : 1
; COMPUTE_PGM_RSRC2:SCRATCH_EN: 1
; COMPUTE_PGM_RSRC2:USER_SGPR: 15
; COMPUTE_PGM_RSRC2:TRAP_HANDLER: 0
; COMPUTE_PGM_RSRC2:TGID_X_EN: 1
; COMPUTE_PGM_RSRC2:TGID_Y_EN: 0
; COMPUTE_PGM_RSRC2:TGID_Z_EN: 0
; COMPUTE_PGM_RSRC2:TIDIG_COMP_CNT: 0
	.section	.text._Z38paged_attention_ll4mi_QKV_mfma4_kernelIDF16_hLN4vllm18Fp8KVCacheDataTypeE1EDF16_Li16ELi128ELi256ELb0ELi2EEvPKT_PKT0_S7_ifPKiS9_S9_iPKfiiiPfSC_PS2_PT2_iSB_SB_,"axG",@progbits,_Z38paged_attention_ll4mi_QKV_mfma4_kernelIDF16_hLN4vllm18Fp8KVCacheDataTypeE1EDF16_Li16ELi128ELi256ELb0ELi2EEvPKT_PKT0_S7_ifPKiS9_S9_iPKfiiiPfSC_PS2_PT2_iSB_SB_,comdat
	.protected	_Z38paged_attention_ll4mi_QKV_mfma4_kernelIDF16_hLN4vllm18Fp8KVCacheDataTypeE1EDF16_Li16ELi128ELi256ELb0ELi2EEvPKT_PKT0_S7_ifPKiS9_S9_iPKfiiiPfSC_PS2_PT2_iSB_SB_ ; -- Begin function _Z38paged_attention_ll4mi_QKV_mfma4_kernelIDF16_hLN4vllm18Fp8KVCacheDataTypeE1EDF16_Li16ELi128ELi256ELb0ELi2EEvPKT_PKT0_S7_ifPKiS9_S9_iPKfiiiPfSC_PS2_PT2_iSB_SB_
	.globl	_Z38paged_attention_ll4mi_QKV_mfma4_kernelIDF16_hLN4vllm18Fp8KVCacheDataTypeE1EDF16_Li16ELi128ELi256ELb0ELi2EEvPKT_PKT0_S7_ifPKiS9_S9_iPKfiiiPfSC_PS2_PT2_iSB_SB_
	.p2align	8
	.type	_Z38paged_attention_ll4mi_QKV_mfma4_kernelIDF16_hLN4vllm18Fp8KVCacheDataTypeE1EDF16_Li16ELi128ELi256ELb0ELi2EEvPKT_PKT0_S7_ifPKiS9_S9_iPKfiiiPfSC_PS2_PT2_iSB_SB_,@function
_Z38paged_attention_ll4mi_QKV_mfma4_kernelIDF16_hLN4vllm18Fp8KVCacheDataTypeE1EDF16_Li16ELi128ELi256ELb0ELi2EEvPKT_PKT0_S7_ifPKiS9_S9_iPKfiiiPfSC_PS2_PT2_iSB_SB_: ; @_Z38paged_attention_ll4mi_QKV_mfma4_kernelIDF16_hLN4vllm18Fp8KVCacheDataTypeE1EDF16_Li16ELi128ELi256ELb0ELi2EEvPKT_PKT0_S7_ifPKiS9_S9_iPKfiiiPfSC_PS2_PT2_iSB_SB_
; %bb.0:
	s_add_u32 s8, s0, 0x90
	s_addc_u32 s9, s1, 0
	s_getpc_b64 s[0:1]
	s_add_u32 s0, s0, __PRETTY_FUNCTION__._Z38paged_attention_ll4mi_QKV_mfma4_kernelIDF16_hLN4vllm18Fp8KVCacheDataTypeE1EDF16_Li16ELi128ELi256ELb0ELi2EEvPKT_PKT0_S7_ifPKiS9_S9_iPKfiiiPfSC_PS2_PT2_iSB_SB_@rel32@lo+4
	s_addc_u32 s1, s1, __PRETTY_FUNCTION__._Z38paged_attention_ll4mi_QKV_mfma4_kernelIDF16_hLN4vllm18Fp8KVCacheDataTypeE1EDF16_Li16ELi128ELi256ELb0ELi2EEvPKT_PKT0_S7_ifPKiS9_S9_iPKfiiiPfSC_PS2_PT2_iSB_SB_@rel32@hi+12
	s_delay_alu instid0(SALU_CYCLE_1) | instskip(SKIP_4) | instid1(SALU_CYCLE_1)
	v_dual_mov_b32 v0, s0 :: v_dual_mov_b32 v1, s1
	s_mov_b32 s32, 0
	s_getpc_b64 s[2:3]
	s_add_u32 s2, s2, __assert_fail@rel32@lo+4
	s_addc_u32 s3, s3, __assert_fail@rel32@hi+12
	s_swappc_b64 s[30:31], s[2:3]
	.section	.rodata,"a",@progbits
	.p2align	6, 0x0
	.amdhsa_kernel _Z38paged_attention_ll4mi_QKV_mfma4_kernelIDF16_hLN4vllm18Fp8KVCacheDataTypeE1EDF16_Li16ELi128ELi256ELb0ELi2EEvPKT_PKT0_S7_ifPKiS9_S9_iPKfiiiPfSC_PS2_PT2_iSB_SB_
		.amdhsa_group_segment_fixed_size 0
		.amdhsa_private_segment_fixed_size 64
		.amdhsa_kernarg_size 400
		.amdhsa_user_sgpr_count 15
		.amdhsa_user_sgpr_dispatch_ptr 0
		.amdhsa_user_sgpr_queue_ptr 0
		.amdhsa_user_sgpr_kernarg_segment_ptr 1
		.amdhsa_user_sgpr_dispatch_id 0
		.amdhsa_user_sgpr_private_segment_size 0
		.amdhsa_wavefront_size32 1
		.amdhsa_uses_dynamic_stack 0
		.amdhsa_enable_private_segment 1
		.amdhsa_system_sgpr_workgroup_id_x 1
		.amdhsa_system_sgpr_workgroup_id_y 0
		.amdhsa_system_sgpr_workgroup_id_z 0
		.amdhsa_system_sgpr_workgroup_info 0
		.amdhsa_system_vgpr_workitem_id 0
		.amdhsa_next_free_vgpr 41
		.amdhsa_next_free_sgpr 34
		.amdhsa_reserve_vcc 1
		.amdhsa_float_round_mode_32 0
		.amdhsa_float_round_mode_16_64 0
		.amdhsa_float_denorm_mode_32 3
		.amdhsa_float_denorm_mode_16_64 3
		.amdhsa_dx10_clamp 1
		.amdhsa_ieee_mode 1
		.amdhsa_fp16_overflow 0
		.amdhsa_workgroup_processor_mode 1
		.amdhsa_memory_ordered 1
		.amdhsa_forward_progress 0
		.amdhsa_shared_vgpr_count 0
		.amdhsa_exception_fp_ieee_invalid_op 0
		.amdhsa_exception_fp_denorm_src 0
		.amdhsa_exception_fp_ieee_div_zero 0
		.amdhsa_exception_fp_ieee_overflow 0
		.amdhsa_exception_fp_ieee_underflow 0
		.amdhsa_exception_fp_ieee_inexact 0
		.amdhsa_exception_int_div_zero 0
	.end_amdhsa_kernel
	.section	.text._Z38paged_attention_ll4mi_QKV_mfma4_kernelIDF16_hLN4vllm18Fp8KVCacheDataTypeE1EDF16_Li16ELi128ELi256ELb0ELi2EEvPKT_PKT0_S7_ifPKiS9_S9_iPKfiiiPfSC_PS2_PT2_iSB_SB_,"axG",@progbits,_Z38paged_attention_ll4mi_QKV_mfma4_kernelIDF16_hLN4vllm18Fp8KVCacheDataTypeE1EDF16_Li16ELi128ELi256ELb0ELi2EEvPKT_PKT0_S7_ifPKiS9_S9_iPKfiiiPfSC_PS2_PT2_iSB_SB_,comdat
.Lfunc_end991:
	.size	_Z38paged_attention_ll4mi_QKV_mfma4_kernelIDF16_hLN4vllm18Fp8KVCacheDataTypeE1EDF16_Li16ELi128ELi256ELb0ELi2EEvPKT_PKT0_S7_ifPKiS9_S9_iPKfiiiPfSC_PS2_PT2_iSB_SB_, .Lfunc_end991-_Z38paged_attention_ll4mi_QKV_mfma4_kernelIDF16_hLN4vllm18Fp8KVCacheDataTypeE1EDF16_Li16ELi128ELi256ELb0ELi2EEvPKT_PKT0_S7_ifPKiS9_S9_iPKfiiiPfSC_PS2_PT2_iSB_SB_
                                        ; -- End function
	.section	.AMDGPU.csdata,"",@progbits
; Kernel info:
; codeLenInByte = 72
; NumSgprs: 36
; NumVgprs: 41
; ScratchSize: 64
; MemoryBound: 0
; FloatMode: 240
; IeeeMode: 1
; LDSByteSize: 0 bytes/workgroup (compile time only)
; SGPRBlocks: 4
; VGPRBlocks: 5
; NumSGPRsForWavesPerEU: 36
; NumVGPRsForWavesPerEU: 41
; Occupancy: 16
; WaveLimiterHint : 1
; COMPUTE_PGM_RSRC2:SCRATCH_EN: 1
; COMPUTE_PGM_RSRC2:USER_SGPR: 15
; COMPUTE_PGM_RSRC2:TRAP_HANDLER: 0
; COMPUTE_PGM_RSRC2:TGID_X_EN: 1
; COMPUTE_PGM_RSRC2:TGID_Y_EN: 0
; COMPUTE_PGM_RSRC2:TGID_Z_EN: 0
; COMPUTE_PGM_RSRC2:TIDIG_COMP_CNT: 0
	.section	.text._Z38paged_attention_ll4mi_QKV_mfma4_kernelIDF16_hLN4vllm18Fp8KVCacheDataTypeE1EDF16_Li16ELi128ELi256ELb0ELi3EEvPKT_PKT0_S7_ifPKiS9_S9_iPKfiiiPfSC_PS2_PT2_iSB_SB_,"axG",@progbits,_Z38paged_attention_ll4mi_QKV_mfma4_kernelIDF16_hLN4vllm18Fp8KVCacheDataTypeE1EDF16_Li16ELi128ELi256ELb0ELi3EEvPKT_PKT0_S7_ifPKiS9_S9_iPKfiiiPfSC_PS2_PT2_iSB_SB_,comdat
	.protected	_Z38paged_attention_ll4mi_QKV_mfma4_kernelIDF16_hLN4vllm18Fp8KVCacheDataTypeE1EDF16_Li16ELi128ELi256ELb0ELi3EEvPKT_PKT0_S7_ifPKiS9_S9_iPKfiiiPfSC_PS2_PT2_iSB_SB_ ; -- Begin function _Z38paged_attention_ll4mi_QKV_mfma4_kernelIDF16_hLN4vllm18Fp8KVCacheDataTypeE1EDF16_Li16ELi128ELi256ELb0ELi3EEvPKT_PKT0_S7_ifPKiS9_S9_iPKfiiiPfSC_PS2_PT2_iSB_SB_
	.globl	_Z38paged_attention_ll4mi_QKV_mfma4_kernelIDF16_hLN4vllm18Fp8KVCacheDataTypeE1EDF16_Li16ELi128ELi256ELb0ELi3EEvPKT_PKT0_S7_ifPKiS9_S9_iPKfiiiPfSC_PS2_PT2_iSB_SB_
	.p2align	8
	.type	_Z38paged_attention_ll4mi_QKV_mfma4_kernelIDF16_hLN4vllm18Fp8KVCacheDataTypeE1EDF16_Li16ELi128ELi256ELb0ELi3EEvPKT_PKT0_S7_ifPKiS9_S9_iPKfiiiPfSC_PS2_PT2_iSB_SB_,@function
_Z38paged_attention_ll4mi_QKV_mfma4_kernelIDF16_hLN4vllm18Fp8KVCacheDataTypeE1EDF16_Li16ELi128ELi256ELb0ELi3EEvPKT_PKT0_S7_ifPKiS9_S9_iPKfiiiPfSC_PS2_PT2_iSB_SB_: ; @_Z38paged_attention_ll4mi_QKV_mfma4_kernelIDF16_hLN4vllm18Fp8KVCacheDataTypeE1EDF16_Li16ELi128ELi256ELb0ELi3EEvPKT_PKT0_S7_ifPKiS9_S9_iPKfiiiPfSC_PS2_PT2_iSB_SB_
; %bb.0:
	s_add_u32 s8, s0, 0x90
	s_addc_u32 s9, s1, 0
	s_getpc_b64 s[0:1]
	s_add_u32 s0, s0, __PRETTY_FUNCTION__._Z38paged_attention_ll4mi_QKV_mfma4_kernelIDF16_hLN4vllm18Fp8KVCacheDataTypeE1EDF16_Li16ELi128ELi256ELb0ELi3EEvPKT_PKT0_S7_ifPKiS9_S9_iPKfiiiPfSC_PS2_PT2_iSB_SB_@rel32@lo+4
	s_addc_u32 s1, s1, __PRETTY_FUNCTION__._Z38paged_attention_ll4mi_QKV_mfma4_kernelIDF16_hLN4vllm18Fp8KVCacheDataTypeE1EDF16_Li16ELi128ELi256ELb0ELi3EEvPKT_PKT0_S7_ifPKiS9_S9_iPKfiiiPfSC_PS2_PT2_iSB_SB_@rel32@hi+12
	s_delay_alu instid0(SALU_CYCLE_1) | instskip(SKIP_4) | instid1(SALU_CYCLE_1)
	v_dual_mov_b32 v0, s0 :: v_dual_mov_b32 v1, s1
	s_mov_b32 s32, 0
	s_getpc_b64 s[2:3]
	s_add_u32 s2, s2, __assert_fail@rel32@lo+4
	s_addc_u32 s3, s3, __assert_fail@rel32@hi+12
	s_swappc_b64 s[30:31], s[2:3]
	.section	.rodata,"a",@progbits
	.p2align	6, 0x0
	.amdhsa_kernel _Z38paged_attention_ll4mi_QKV_mfma4_kernelIDF16_hLN4vllm18Fp8KVCacheDataTypeE1EDF16_Li16ELi128ELi256ELb0ELi3EEvPKT_PKT0_S7_ifPKiS9_S9_iPKfiiiPfSC_PS2_PT2_iSB_SB_
		.amdhsa_group_segment_fixed_size 0
		.amdhsa_private_segment_fixed_size 64
		.amdhsa_kernarg_size 400
		.amdhsa_user_sgpr_count 15
		.amdhsa_user_sgpr_dispatch_ptr 0
		.amdhsa_user_sgpr_queue_ptr 0
		.amdhsa_user_sgpr_kernarg_segment_ptr 1
		.amdhsa_user_sgpr_dispatch_id 0
		.amdhsa_user_sgpr_private_segment_size 0
		.amdhsa_wavefront_size32 1
		.amdhsa_uses_dynamic_stack 0
		.amdhsa_enable_private_segment 1
		.amdhsa_system_sgpr_workgroup_id_x 1
		.amdhsa_system_sgpr_workgroup_id_y 0
		.amdhsa_system_sgpr_workgroup_id_z 0
		.amdhsa_system_sgpr_workgroup_info 0
		.amdhsa_system_vgpr_workitem_id 0
		.amdhsa_next_free_vgpr 41
		.amdhsa_next_free_sgpr 34
		.amdhsa_reserve_vcc 1
		.amdhsa_float_round_mode_32 0
		.amdhsa_float_round_mode_16_64 0
		.amdhsa_float_denorm_mode_32 3
		.amdhsa_float_denorm_mode_16_64 3
		.amdhsa_dx10_clamp 1
		.amdhsa_ieee_mode 1
		.amdhsa_fp16_overflow 0
		.amdhsa_workgroup_processor_mode 1
		.amdhsa_memory_ordered 1
		.amdhsa_forward_progress 0
		.amdhsa_shared_vgpr_count 0
		.amdhsa_exception_fp_ieee_invalid_op 0
		.amdhsa_exception_fp_denorm_src 0
		.amdhsa_exception_fp_ieee_div_zero 0
		.amdhsa_exception_fp_ieee_overflow 0
		.amdhsa_exception_fp_ieee_underflow 0
		.amdhsa_exception_fp_ieee_inexact 0
		.amdhsa_exception_int_div_zero 0
	.end_amdhsa_kernel
	.section	.text._Z38paged_attention_ll4mi_QKV_mfma4_kernelIDF16_hLN4vllm18Fp8KVCacheDataTypeE1EDF16_Li16ELi128ELi256ELb0ELi3EEvPKT_PKT0_S7_ifPKiS9_S9_iPKfiiiPfSC_PS2_PT2_iSB_SB_,"axG",@progbits,_Z38paged_attention_ll4mi_QKV_mfma4_kernelIDF16_hLN4vllm18Fp8KVCacheDataTypeE1EDF16_Li16ELi128ELi256ELb0ELi3EEvPKT_PKT0_S7_ifPKiS9_S9_iPKfiiiPfSC_PS2_PT2_iSB_SB_,comdat
.Lfunc_end992:
	.size	_Z38paged_attention_ll4mi_QKV_mfma4_kernelIDF16_hLN4vllm18Fp8KVCacheDataTypeE1EDF16_Li16ELi128ELi256ELb0ELi3EEvPKT_PKT0_S7_ifPKiS9_S9_iPKfiiiPfSC_PS2_PT2_iSB_SB_, .Lfunc_end992-_Z38paged_attention_ll4mi_QKV_mfma4_kernelIDF16_hLN4vllm18Fp8KVCacheDataTypeE1EDF16_Li16ELi128ELi256ELb0ELi3EEvPKT_PKT0_S7_ifPKiS9_S9_iPKfiiiPfSC_PS2_PT2_iSB_SB_
                                        ; -- End function
	.section	.AMDGPU.csdata,"",@progbits
; Kernel info:
; codeLenInByte = 72
; NumSgprs: 36
; NumVgprs: 41
; ScratchSize: 64
; MemoryBound: 0
; FloatMode: 240
; IeeeMode: 1
; LDSByteSize: 0 bytes/workgroup (compile time only)
; SGPRBlocks: 4
; VGPRBlocks: 5
; NumSGPRsForWavesPerEU: 36
; NumVGPRsForWavesPerEU: 41
; Occupancy: 16
; WaveLimiterHint : 1
; COMPUTE_PGM_RSRC2:SCRATCH_EN: 1
; COMPUTE_PGM_RSRC2:USER_SGPR: 15
; COMPUTE_PGM_RSRC2:TRAP_HANDLER: 0
; COMPUTE_PGM_RSRC2:TGID_X_EN: 1
; COMPUTE_PGM_RSRC2:TGID_Y_EN: 0
; COMPUTE_PGM_RSRC2:TGID_Z_EN: 0
; COMPUTE_PGM_RSRC2:TIDIG_COMP_CNT: 0
	.section	.text._Z38paged_attention_ll4mi_QKV_mfma4_kernelIDF16_hLN4vllm18Fp8KVCacheDataTypeE1EDF16_Li16ELi128ELi256ELb0ELi4EEvPKT_PKT0_S7_ifPKiS9_S9_iPKfiiiPfSC_PS2_PT2_iSB_SB_,"axG",@progbits,_Z38paged_attention_ll4mi_QKV_mfma4_kernelIDF16_hLN4vllm18Fp8KVCacheDataTypeE1EDF16_Li16ELi128ELi256ELb0ELi4EEvPKT_PKT0_S7_ifPKiS9_S9_iPKfiiiPfSC_PS2_PT2_iSB_SB_,comdat
	.protected	_Z38paged_attention_ll4mi_QKV_mfma4_kernelIDF16_hLN4vllm18Fp8KVCacheDataTypeE1EDF16_Li16ELi128ELi256ELb0ELi4EEvPKT_PKT0_S7_ifPKiS9_S9_iPKfiiiPfSC_PS2_PT2_iSB_SB_ ; -- Begin function _Z38paged_attention_ll4mi_QKV_mfma4_kernelIDF16_hLN4vllm18Fp8KVCacheDataTypeE1EDF16_Li16ELi128ELi256ELb0ELi4EEvPKT_PKT0_S7_ifPKiS9_S9_iPKfiiiPfSC_PS2_PT2_iSB_SB_
	.globl	_Z38paged_attention_ll4mi_QKV_mfma4_kernelIDF16_hLN4vllm18Fp8KVCacheDataTypeE1EDF16_Li16ELi128ELi256ELb0ELi4EEvPKT_PKT0_S7_ifPKiS9_S9_iPKfiiiPfSC_PS2_PT2_iSB_SB_
	.p2align	8
	.type	_Z38paged_attention_ll4mi_QKV_mfma4_kernelIDF16_hLN4vllm18Fp8KVCacheDataTypeE1EDF16_Li16ELi128ELi256ELb0ELi4EEvPKT_PKT0_S7_ifPKiS9_S9_iPKfiiiPfSC_PS2_PT2_iSB_SB_,@function
_Z38paged_attention_ll4mi_QKV_mfma4_kernelIDF16_hLN4vllm18Fp8KVCacheDataTypeE1EDF16_Li16ELi128ELi256ELb0ELi4EEvPKT_PKT0_S7_ifPKiS9_S9_iPKfiiiPfSC_PS2_PT2_iSB_SB_: ; @_Z38paged_attention_ll4mi_QKV_mfma4_kernelIDF16_hLN4vllm18Fp8KVCacheDataTypeE1EDF16_Li16ELi128ELi256ELb0ELi4EEvPKT_PKT0_S7_ifPKiS9_S9_iPKfiiiPfSC_PS2_PT2_iSB_SB_
; %bb.0:
	s_add_u32 s8, s0, 0x90
	s_addc_u32 s9, s1, 0
	s_getpc_b64 s[0:1]
	s_add_u32 s0, s0, __PRETTY_FUNCTION__._Z38paged_attention_ll4mi_QKV_mfma4_kernelIDF16_hLN4vllm18Fp8KVCacheDataTypeE1EDF16_Li16ELi128ELi256ELb0ELi4EEvPKT_PKT0_S7_ifPKiS9_S9_iPKfiiiPfSC_PS2_PT2_iSB_SB_@rel32@lo+4
	s_addc_u32 s1, s1, __PRETTY_FUNCTION__._Z38paged_attention_ll4mi_QKV_mfma4_kernelIDF16_hLN4vllm18Fp8KVCacheDataTypeE1EDF16_Li16ELi128ELi256ELb0ELi4EEvPKT_PKT0_S7_ifPKiS9_S9_iPKfiiiPfSC_PS2_PT2_iSB_SB_@rel32@hi+12
	s_delay_alu instid0(SALU_CYCLE_1) | instskip(SKIP_4) | instid1(SALU_CYCLE_1)
	v_dual_mov_b32 v0, s0 :: v_dual_mov_b32 v1, s1
	s_mov_b32 s32, 0
	s_getpc_b64 s[2:3]
	s_add_u32 s2, s2, __assert_fail@rel32@lo+4
	s_addc_u32 s3, s3, __assert_fail@rel32@hi+12
	s_swappc_b64 s[30:31], s[2:3]
	.section	.rodata,"a",@progbits
	.p2align	6, 0x0
	.amdhsa_kernel _Z38paged_attention_ll4mi_QKV_mfma4_kernelIDF16_hLN4vllm18Fp8KVCacheDataTypeE1EDF16_Li16ELi128ELi256ELb0ELi4EEvPKT_PKT0_S7_ifPKiS9_S9_iPKfiiiPfSC_PS2_PT2_iSB_SB_
		.amdhsa_group_segment_fixed_size 0
		.amdhsa_private_segment_fixed_size 64
		.amdhsa_kernarg_size 400
		.amdhsa_user_sgpr_count 15
		.amdhsa_user_sgpr_dispatch_ptr 0
		.amdhsa_user_sgpr_queue_ptr 0
		.amdhsa_user_sgpr_kernarg_segment_ptr 1
		.amdhsa_user_sgpr_dispatch_id 0
		.amdhsa_user_sgpr_private_segment_size 0
		.amdhsa_wavefront_size32 1
		.amdhsa_uses_dynamic_stack 0
		.amdhsa_enable_private_segment 1
		.amdhsa_system_sgpr_workgroup_id_x 1
		.amdhsa_system_sgpr_workgroup_id_y 0
		.amdhsa_system_sgpr_workgroup_id_z 0
		.amdhsa_system_sgpr_workgroup_info 0
		.amdhsa_system_vgpr_workitem_id 0
		.amdhsa_next_free_vgpr 41
		.amdhsa_next_free_sgpr 34
		.amdhsa_reserve_vcc 1
		.amdhsa_float_round_mode_32 0
		.amdhsa_float_round_mode_16_64 0
		.amdhsa_float_denorm_mode_32 3
		.amdhsa_float_denorm_mode_16_64 3
		.amdhsa_dx10_clamp 1
		.amdhsa_ieee_mode 1
		.amdhsa_fp16_overflow 0
		.amdhsa_workgroup_processor_mode 1
		.amdhsa_memory_ordered 1
		.amdhsa_forward_progress 0
		.amdhsa_shared_vgpr_count 0
		.amdhsa_exception_fp_ieee_invalid_op 0
		.amdhsa_exception_fp_denorm_src 0
		.amdhsa_exception_fp_ieee_div_zero 0
		.amdhsa_exception_fp_ieee_overflow 0
		.amdhsa_exception_fp_ieee_underflow 0
		.amdhsa_exception_fp_ieee_inexact 0
		.amdhsa_exception_int_div_zero 0
	.end_amdhsa_kernel
	.section	.text._Z38paged_attention_ll4mi_QKV_mfma4_kernelIDF16_hLN4vllm18Fp8KVCacheDataTypeE1EDF16_Li16ELi128ELi256ELb0ELi4EEvPKT_PKT0_S7_ifPKiS9_S9_iPKfiiiPfSC_PS2_PT2_iSB_SB_,"axG",@progbits,_Z38paged_attention_ll4mi_QKV_mfma4_kernelIDF16_hLN4vllm18Fp8KVCacheDataTypeE1EDF16_Li16ELi128ELi256ELb0ELi4EEvPKT_PKT0_S7_ifPKiS9_S9_iPKfiiiPfSC_PS2_PT2_iSB_SB_,comdat
.Lfunc_end993:
	.size	_Z38paged_attention_ll4mi_QKV_mfma4_kernelIDF16_hLN4vllm18Fp8KVCacheDataTypeE1EDF16_Li16ELi128ELi256ELb0ELi4EEvPKT_PKT0_S7_ifPKiS9_S9_iPKfiiiPfSC_PS2_PT2_iSB_SB_, .Lfunc_end993-_Z38paged_attention_ll4mi_QKV_mfma4_kernelIDF16_hLN4vllm18Fp8KVCacheDataTypeE1EDF16_Li16ELi128ELi256ELb0ELi4EEvPKT_PKT0_S7_ifPKiS9_S9_iPKfiiiPfSC_PS2_PT2_iSB_SB_
                                        ; -- End function
	.section	.AMDGPU.csdata,"",@progbits
; Kernel info:
; codeLenInByte = 72
; NumSgprs: 36
; NumVgprs: 41
; ScratchSize: 64
; MemoryBound: 0
; FloatMode: 240
; IeeeMode: 1
; LDSByteSize: 0 bytes/workgroup (compile time only)
; SGPRBlocks: 4
; VGPRBlocks: 5
; NumSGPRsForWavesPerEU: 36
; NumVGPRsForWavesPerEU: 41
; Occupancy: 16
; WaveLimiterHint : 1
; COMPUTE_PGM_RSRC2:SCRATCH_EN: 1
; COMPUTE_PGM_RSRC2:USER_SGPR: 15
; COMPUTE_PGM_RSRC2:TRAP_HANDLER: 0
; COMPUTE_PGM_RSRC2:TGID_X_EN: 1
; COMPUTE_PGM_RSRC2:TGID_Y_EN: 0
; COMPUTE_PGM_RSRC2:TGID_Z_EN: 0
; COMPUTE_PGM_RSRC2:TIDIG_COMP_CNT: 0
	.section	.text._Z39paged_attention_ll4mi_QKV_mfma16_kernelIDF16_hLN4vllm18Fp8KVCacheDataTypeE1EDF16_Li16ELi128ELi256ELb0ELi5EL8MFMAType1EEvPKT_PKT0_S8_ifPKiSA_SA_iPKfiiiPfSD_PS3_PT2_iSC_SC_,"axG",@progbits,_Z39paged_attention_ll4mi_QKV_mfma16_kernelIDF16_hLN4vllm18Fp8KVCacheDataTypeE1EDF16_Li16ELi128ELi256ELb0ELi5EL8MFMAType1EEvPKT_PKT0_S8_ifPKiSA_SA_iPKfiiiPfSD_PS3_PT2_iSC_SC_,comdat
	.protected	_Z39paged_attention_ll4mi_QKV_mfma16_kernelIDF16_hLN4vllm18Fp8KVCacheDataTypeE1EDF16_Li16ELi128ELi256ELb0ELi5EL8MFMAType1EEvPKT_PKT0_S8_ifPKiSA_SA_iPKfiiiPfSD_PS3_PT2_iSC_SC_ ; -- Begin function _Z39paged_attention_ll4mi_QKV_mfma16_kernelIDF16_hLN4vllm18Fp8KVCacheDataTypeE1EDF16_Li16ELi128ELi256ELb0ELi5EL8MFMAType1EEvPKT_PKT0_S8_ifPKiSA_SA_iPKfiiiPfSD_PS3_PT2_iSC_SC_
	.globl	_Z39paged_attention_ll4mi_QKV_mfma16_kernelIDF16_hLN4vllm18Fp8KVCacheDataTypeE1EDF16_Li16ELi128ELi256ELb0ELi5EL8MFMAType1EEvPKT_PKT0_S8_ifPKiSA_SA_iPKfiiiPfSD_PS3_PT2_iSC_SC_
	.p2align	8
	.type	_Z39paged_attention_ll4mi_QKV_mfma16_kernelIDF16_hLN4vllm18Fp8KVCacheDataTypeE1EDF16_Li16ELi128ELi256ELb0ELi5EL8MFMAType1EEvPKT_PKT0_S8_ifPKiSA_SA_iPKfiiiPfSD_PS3_PT2_iSC_SC_,@function
_Z39paged_attention_ll4mi_QKV_mfma16_kernelIDF16_hLN4vllm18Fp8KVCacheDataTypeE1EDF16_Li16ELi128ELi256ELb0ELi5EL8MFMAType1EEvPKT_PKT0_S8_ifPKiSA_SA_iPKfiiiPfSD_PS3_PT2_iSC_SC_: ; @_Z39paged_attention_ll4mi_QKV_mfma16_kernelIDF16_hLN4vllm18Fp8KVCacheDataTypeE1EDF16_Li16ELi128ELi256ELb0ELi5EL8MFMAType1EEvPKT_PKT0_S8_ifPKiSA_SA_iPKfiiiPfSD_PS3_PT2_iSC_SC_
; %bb.0:
	s_load_b64 s[4:5], s[0:1], 0x30
	s_mov_b32 s34, s13
	s_waitcnt lgkmcnt(0)
	s_cmp_lg_u64 s[4:5], 0
	s_cselect_b32 s8, -1, 0
	s_ashr_i32 s35, s13, 31
	s_cmp_eq_u64 s[4:5], 0
	s_cbranch_scc1 .LBB994_3
; %bb.1:
	s_lshl_b64 s[2:3], s[34:35], 2
	s_delay_alu instid0(SALU_CYCLE_1) | instskip(SKIP_4) | instid1(SALU_CYCLE_1)
	s_add_u32 s2, s4, s2
	s_addc_u32 s3, s5, s3
	s_load_b64 s[2:3], s[2:3], 0x0
	s_waitcnt lgkmcnt(0)
	s_sub_i32 s2, s3, s2
	s_cmp_eq_u32 s2, 1
	s_cselect_b32 s2, -1, 0
	s_delay_alu instid0(SALU_CYCLE_1)
	s_and_not1_b32 vcc_lo, exec_lo, s2
	s_cbranch_vccz .LBB994_4
.LBB994_2:
	s_nop 0
	s_sendmsg sendmsg(MSG_DEALLOC_VGPRS)
	s_endpgm
.LBB994_3:
.LBB994_4:
	s_load_b64 s[2:3], s[0:1], 0x28
	s_lshl_b64 s[6:7], s[34:35], 2
	s_waitcnt lgkmcnt(0)
	s_add_u32 s2, s2, s6
	s_addc_u32 s3, s3, s7
	s_lshl_b32 s12, s14, 8
	s_load_b32 s24, s[2:3], 0x0
	s_waitcnt lgkmcnt(0)
	s_cmp_ge_i32 s12, s24
	s_cbranch_scc1 .LBB994_2
; %bb.5:
	s_clause 0x1
	s_load_b128 s[20:23], s[0:1], 0x8
	s_load_b64 s[2:3], s[0:1], 0x20
	s_and_not1_b32 vcc_lo, exec_lo, s8
	s_cbranch_vccnz .LBB994_7
; %bb.6:
	s_add_u32 s4, s4, s6
	s_addc_u32 s5, s5, s7
	s_load_b32 s5, s[4:5], 0x0
	s_branch .LBB994_8
.LBB994_7:
	s_mov_b32 s5, s34
.LBB994_8:
	s_load_b128 s[16:19], s[0:1], 0x48
	v_and_b32_e32 v68, 15, v0
	v_lshrrev_b32_e32 v69, 5, v0
	v_bfe_u32 v66, v0, 4, 1
	v_and_b32_e32 v70, 31, v0
	v_and_b32_e32 v67, 1, v0
	v_lshlrev_b32_e32 v2, 3, v68
	s_mul_i32 s31, s15, 5
	v_lshl_or_b32 v1, v69, 1, v66
	s_mov_b32 s4, exec_lo
	s_delay_alu instid0(VALU_DEP_2) | instskip(NEXT) | instid1(VALU_DEP_2)
	v_lshlrev_b32_e32 v65, 1, v2
	v_cmpx_gt_u32_e32 5, v1
	s_cbranch_execz .LBB994_10
; %bb.9:
	s_load_b64 s[6:7], s[0:1], 0x0
	v_add_lshl_u32 v2, v1, s31, 7
	s_waitcnt lgkmcnt(0)
	s_mul_hi_i32 s9, s5, s16
	s_mul_i32 s8, s5, s16
	v_lshlrev_b32_e32 v6, 10, v68
	s_lshl_b64 s[8:9], s[8:9], 1
	v_ashrrev_i32_e32 v3, 31, v2
	v_lshlrev_b32_e32 v1, 6, v1
	v_lshlrev_b32_e32 v7, 10, v67
	v_and_b32_e32 v6, 0x3800, v6
	s_delay_alu instid0(VALU_DEP_4) | instskip(NEXT) | instid1(VALU_DEP_2)
	v_lshlrev_b64 v[2:3], 1, v[2:3]
	v_or3_b32 v1, v6, v7, v1
	s_add_u32 s5, s6, s8
	s_addc_u32 s6, s7, s9
	s_delay_alu instid0(VALU_DEP_2) | instskip(NEXT) | instid1(VALU_DEP_3)
	v_add_co_u32 v2, vcc_lo, s5, v2
	v_add_co_ci_u32_e32 v3, vcc_lo, s6, v3, vcc_lo
	s_delay_alu instid0(VALU_DEP_2) | instskip(NEXT) | instid1(VALU_DEP_2)
	v_add_co_u32 v2, vcc_lo, v2, v65
	v_add_co_ci_u32_e32 v3, vcc_lo, 0, v3, vcc_lo
	global_load_b128 v[2:5], v[2:3], off
	s_waitcnt vmcnt(0)
	ds_store_b128 v1, v[2:5]
.LBB994_10:
	s_or_b32 exec_lo, exec_lo, s4
	v_and_b32_e32 v1, 0xef, v0
	s_waitcnt lgkmcnt(0)
	s_add_i32 s5, s24, 15
	s_clause 0x1
	s_load_b32 s4, s[0:1], 0x38
	s_load_b32 s33, s[0:1], 0x98
	s_ashr_i32 s6, s5, 31
	v_add_nc_u32_e32 v1, s12, v1
	s_lshr_b32 s6, s6, 28
	s_load_b32 s19, s[0:1], 0x1c
	s_add_i32 s5, s5, s6
	s_waitcnt lgkmcnt(0)
	v_ashrrev_i32_e32 v2, 31, v1
	v_or_b32_e32 v3, 16, v1
	s_ashr_i32 s13, s5, 4
	v_cmp_gt_i32_e32 vcc_lo, s24, v1
	s_add_i32 s13, s13, -1
	v_lshrrev_b32_e32 v2, 28, v2
	s_barrier
	buffer_gl0_inv
	s_mul_i32 s15, s15, s18
	v_add_nc_u32_e32 v4, v1, v2
	s_mul_i32 s4, s34, s4
	s_delay_alu instid0(SALU_CYCLE_1) | instskip(NEXT) | instid1(VALU_DEP_1)
	s_ashr_i32 s5, s4, 31
	v_ashrrev_i32_e32 v4, 4, v4
	v_add_nc_u32_e32 v2, v3, v2
	s_lshl_b64 s[4:5], s[4:5], 2
	s_delay_alu instid0(SALU_CYCLE_1) | instskip(NEXT) | instid1(VALU_DEP_2)
	s_add_u32 s16, s2, s4
	v_cndmask_b32_e32 v1, s13, v4, vcc_lo
	s_delay_alu instid0(VALU_DEP_2)
	v_ashrrev_i32_e32 v2, 4, v2
	v_cmp_gt_i32_e32 vcc_lo, s24, v3
	s_addc_u32 s25, s3, s5
	s_ashr_i32 s18, s15, 31
	s_add_u32 s26, s20, s15
	s_addc_u32 s27, s21, s18
	v_cndmask_b32_e32 v3, s13, v2, vcc_lo
	v_ashrrev_i32_e32 v2, 31, v1
	s_lshl_b32 s2, s14, 4
	s_delay_alu instid0(SALU_CYCLE_1) | instskip(NEXT) | instid1(VALU_DEP_2)
	s_ashr_i32 s3, s2, 31
	v_ashrrev_i32_e32 v4, 31, v3
	s_delay_alu instid0(VALU_DEP_2) | instskip(SKIP_1) | instid1(SALU_CYCLE_1)
	v_lshlrev_b64 v[1:2], 2, v[1:2]
	s_lshl_b64 s[2:3], s[2:3], 2
	s_add_u32 s2, s16, s2
	s_delay_alu instid0(VALU_DEP_2) | instskip(SKIP_1) | instid1(VALU_DEP_2)
	v_lshlrev_b64 v[3:4], 2, v[3:4]
	s_addc_u32 s3, s25, s3
	v_add_co_u32 v1, vcc_lo, s16, v1
	v_add_co_ci_u32_e32 v2, vcc_lo, s25, v2, vcc_lo
	s_delay_alu instid0(VALU_DEP_3) | instskip(NEXT) | instid1(VALU_DEP_4)
	v_add_co_u32 v3, vcc_lo, s16, v3
	v_add_co_ci_u32_e32 v4, vcc_lo, s25, v4, vcc_lo
	s_clause 0x1
	global_load_b32 v5, v[1:2], off
	global_load_b32 v7, v[3:4], off
	s_or_b32 s4, s12, 32
	v_lshlrev_b32_e32 v1, 4, v0
	s_ashr_i32 s5, s4, 4
	s_cmp_lt_i32 s4, s24
	s_cselect_b32 s4, s5, s13
	s_delay_alu instid0(VALU_DEP_1) | instskip(SKIP_1) | instid1(SALU_CYCLE_1)
	v_and_b32_e32 v1, 0xf0, v1
	s_ashr_i32 s5, s4, 31
	s_lshl_b64 s[4:5], s[4:5], 2
	s_delay_alu instid0(SALU_CYCLE_1)
	s_add_u32 s4, s16, s4
	s_addc_u32 s5, s25, s5
	s_or_b32 s6, s12, 64
	v_add_co_u32 v1, s26, s26, v1
	s_ashr_i32 s7, s6, 4
	s_cmp_lt_i32 s6, s24
	v_add_co_ci_u32_e64 v2, null, s27, 0, s26
	s_cselect_b32 s6, s7, s13
	s_delay_alu instid0(SALU_CYCLE_1) | instskip(NEXT) | instid1(SALU_CYCLE_1)
	s_ashr_i32 s7, s6, 31
	s_lshl_b64 s[6:7], s[6:7], 2
	s_delay_alu instid0(SALU_CYCLE_1) | instskip(SKIP_2) | instid1(SALU_CYCLE_1)
	s_add_u32 s6, s16, s6
	s_addc_u32 s7, s25, s7
	s_or_b32 s8, s12, 0x60
	s_ashr_i32 s9, s8, 4
	s_cmp_lt_i32 s8, s24
	s_cselect_b32 s8, s9, s13
	s_delay_alu instid0(SALU_CYCLE_1) | instskip(NEXT) | instid1(SALU_CYCLE_1)
	s_ashr_i32 s9, s8, 31
	s_lshl_b64 s[8:9], s[8:9], 2
	s_delay_alu instid0(SALU_CYCLE_1) | instskip(SKIP_2) | instid1(SALU_CYCLE_1)
	s_add_u32 s8, s16, s8
	s_addc_u32 s9, s25, s9
	s_or_b32 s10, s12, 0x80
	s_ashr_i32 s11, s10, 4
	s_cmp_lt_i32 s10, s24
	;; [unrolled: 10-line block ×3, first 2 shown]
	s_cselect_b32 s20, s21, s13
	s_delay_alu instid0(SALU_CYCLE_1) | instskip(NEXT) | instid1(SALU_CYCLE_1)
	s_ashr_i32 s21, s20, 31
	s_lshl_b64 s[20:21], s[20:21], 2
	s_delay_alu instid0(SALU_CYCLE_1)
	s_add_u32 s20, s16, s20
	s_addc_u32 s21, s25, s21
	s_clause 0x5
	s_load_b32 s26, s[2:3], 0x0
	s_load_b32 s27, s[4:5], 0x0
	;; [unrolled: 1-line block ×6, first 2 shown]
	s_or_b32 s2, s12, 0xc0
	s_mov_b32 s4, 0
	s_ashr_i32 s3, s2, 4
	s_cmp_lt_i32 s2, s24
	s_mov_b32 s11, s4
	s_cselect_b32 s2, s3, s13
	s_mov_b32 s5, s4
	s_ashr_i32 s3, s2, 31
	s_mov_b32 s6, s4
	s_lshl_b64 s[2:3], s[2:3], 2
	s_mov_b32 s7, s4
	s_add_u32 s2, s16, s2
	s_addc_u32 s3, s25, s3
	s_or_b32 s20, s12, 0xe0
	s_mov_b32 s8, s4
	s_ashr_i32 s21, s20, 4
	s_cmp_lt_i32 s20, s24
	s_mov_b32 s9, s4
	s_cselect_b32 s20, s21, s13
	s_mov_b32 s10, s4
	s_ashr_i32 s21, s20, 31
	v_mov_b32_e32 v118, s11
	v_dual_mov_b32 v112, s5 :: v_dual_mov_b32 v117, s10
	v_dual_mov_b32 v116, s9 :: v_dual_mov_b32 v115, s8
	;; [unrolled: 1-line block ×3, first 2 shown]
	v_mov_b32_e32 v111, s4
	s_lshl_b64 s[4:5], s[20:21], 2
	s_delay_alu instid0(SALU_CYCLE_1)
	s_add_u32 s4, s16, s4
	s_addc_u32 s5, s25, s5
	s_add_u32 s6, s22, s15
	s_addc_u32 s7, s23, s18
	s_waitcnt vmcnt(1)
	v_mad_i64_i32 v[3:4], null, v5, s17, v[1:2]
	s_waitcnt vmcnt(0)
	v_mad_i64_i32 v[5:6], null, v7, s17, v[1:2]
	v_mul_lo_u16 v1, v68, 52
	v_lshlrev_b32_e32 v2, 4, v68
	s_clause 0xf
	global_load_b128 v[17:20], v[3:4], off
	global_load_b128 v[21:24], v[3:4], off offset:256
	global_load_b128 v[25:28], v[5:6], off
	global_load_b128 v[29:32], v[5:6], off offset:256
	global_load_b128 v[57:60], v[3:4], off offset:512
	;; [unrolled: 1-line block ×13, first 2 shown]
	v_lshrrev_b16 v1, 8, v1
	s_delay_alu instid0(VALU_DEP_1) | instskip(NEXT) | instid1(VALU_DEP_1)
	v_mul_lo_u16 v1, v1, 5
	v_sub_nc_u16 v1, v68, v1
	s_delay_alu instid0(VALU_DEP_1) | instskip(NEXT) | instid1(VALU_DEP_1)
	v_and_b32_e32 v1, 0xff, v1
	v_lshlrev_b32_e32 v149, 6, v1
	v_lshl_or_b32 v1, v69, 8, v2
	ds_load_b128 v[119:122], v149
	ds_load_b128 v[123:126], v149 offset:1024
	ds_load_b128 v[127:130], v149 offset:2048
	;; [unrolled: 1-line block ×3, first 2 shown]
	s_clause 0x1
	s_load_b32 s2, s[2:3], 0x0
	s_load_b32 s3, s[4:5], 0x0
	v_add_co_u32 v135, s6, s6, v1
	s_delay_alu instid0(VALU_DEP_1) | instskip(SKIP_1) | instid1(VALU_DEP_1)
	v_add_co_ci_u32_e64 v136, null, s7, 0, s6
	s_waitcnt lgkmcnt(0)
	v_mad_i64_i32 v[1:2], null, s26, s17, v[135:136]
	v_mad_i64_i32 v[3:4], null, s27, s17, v[135:136]
	;; [unrolled: 1-line block ×6, first 2 shown]
	s_clause 0x9
	global_load_b128 v[49:52], v[1:2], off
	global_load_b128 v[53:56], v[1:2], off offset:16
	global_load_b128 v[41:44], v[3:4], off
	global_load_b128 v[45:48], v[3:4], off offset:16
	;; [unrolled: 2-line block ×5, first 2 shown]
	v_mad_i64_i32 v[145:146], null, s2, s17, v[135:136]
	v_mad_i64_i32 v[147:148], null, s3, s17, v[135:136]
	s_waitcnt vmcnt(24)
	v_wmma_f32_16x16x16_f16 v[135:142], v[17:24], v[119:126], v[111:118]
	s_waitcnt vmcnt(22)
	v_wmma_f32_16x16x16_f16 v[111:118], v[25:32], v[119:126], v[111:118]
	s_clause 0x3
	global_load_b128 v[17:20], v[143:144], off
	global_load_b128 v[21:24], v[143:144], off offset:16
	global_load_b128 v[25:28], v[145:146], off
	global_load_b128 v[29:32], v[145:146], off offset:16
	v_and_b32_e32 v119, 0xe0, v0
	s_waitcnt vmcnt(24)
	v_wmma_f32_16x16x16_f16 v[135:142], v[57:64], v[127:134], v[135:142]
	s_clause 0x1
	global_load_b128 v[57:60], v[147:148], off
	global_load_b128 v[61:64], v[147:148], off offset:16
	s_waitcnt vmcnt(24)
	v_wmma_f32_16x16x16_f16 v[111:118], v[71:78], v[127:134], v[111:118]
	ds_load_b128 v[71:74], v149 offset:4096
	ds_load_b128 v[75:78], v149 offset:5120
	v_add_nc_u32_e32 v128, s12, v119
	ds_load_b128 v[119:122], v149 offset:6144
	ds_load_b128 v[123:126], v149 offset:7168
	v_mbcnt_lo_u32_b32 v127, -1, 0
	s_waitcnt vmcnt(0) lgkmcnt(0)
	s_barrier
	v_or_b32_e32 v128, v128, v66
	buffer_gl0_inv
	v_xor_b32_e32 v129, 16, v127
	v_or_b32_e32 v130, 4, v128
	v_or_b32_e32 v131, 6, v128
	s_delay_alu instid0(VALU_DEP_3) | instskip(SKIP_4) | instid1(VALU_DEP_4)
	v_cmp_gt_i32_e32 vcc_lo, 32, v129
	v_or_b32_e32 v132, 8, v128
	v_or_b32_e32 v133, 10, v128
	v_cmp_gt_i32_e64 s3, s24, v130
	v_cmp_gt_i32_e64 s4, s24, v131
	;; [unrolled: 1-line block ×3, first 2 shown]
	v_wmma_f32_16x16x16_f16 v[135:142], v[79:86], v[71:78], v[135:142]
	v_wmma_f32_16x16x16_f16 v[111:118], v[87:94], v[71:78], v[111:118]
	v_or_b32_e32 v79, 12, v128
	v_or_b32_e32 v80, 14, v128
	v_cmp_gt_i32_e64 s6, s24, v133
	v_wmma_f32_16x16x16_f16 v[135:142], v[95:102], v[119:126], v[135:142]
	v_wmma_f32_16x16x16_f16 v[111:118], v[103:110], v[119:126], v[111:118]
	v_cndmask_b32_e32 v127, v127, v129, vcc_lo
	v_or_b32_e32 v129, 2, v128
	v_cmp_gt_i32_e32 vcc_lo, s24, v128
	s_delay_alu instid0(VALU_DEP_4) | instskip(SKIP_1) | instid1(VALU_DEP_4)
	v_dual_mul_f32 v87, s19, v136 :: v_dual_mul_f32 v94, s19, v113
	v_mul_f32_e32 v88, s19, v135
	v_cmp_gt_i32_e64 s2, s24, v129
	v_mul_f32_e32 v78, s19, v138
	v_mul_f32_e32 v86, s19, v137
	;; [unrolled: 1-line block ×3, first 2 shown]
	v_cndmask_b32_e32 v88, 0xff7fffff, v88, vcc_lo
	v_cndmask_b32_e64 v87, 0xff7fffff, v87, s2
	v_dual_mul_f32 v77, s19, v139 :: v_dual_mul_f32 v90, s19, v117
	v_cndmask_b32_e64 v86, 0xff7fffff, v86, s3
	v_cndmask_b32_e64 v78, 0xff7fffff, v78, s4
	s_delay_alu instid0(VALU_DEP_4)
	v_max3_f32 v87, v88, 0xff7fffff, v87
	v_or_b32_e32 v81, 16, v128
	v_or_b32_e32 v82, 18, v128
	v_dual_mul_f32 v74, s19, v142 :: v_dual_mul_f32 v75, s19, v141
	v_mul_f32_e32 v96, s19, v111
	v_cndmask_b32_e64 v77, 0xff7fffff, v77, s5
	v_cndmask_b32_e64 v76, 0xff7fffff, v76, s6
	v_max3_f32 v78, v87, v86, v78
	v_cmp_gt_i32_e64 s7, s24, v79
	v_cmp_gt_i32_e64 s8, s24, v80
	v_or_b32_e32 v83, 20, v128
	v_or_b32_e32 v84, 22, v128
	v_mul_f32_e32 v95, s19, v112
	v_cndmask_b32_e64 v75, 0xff7fffff, v75, s7
	v_cndmask_b32_e64 v74, 0xff7fffff, v74, s8
	v_max3_f32 v76, v78, v77, v76
	v_cmp_gt_i32_e64 s9, s24, v81
	v_cmp_gt_i32_e64 s10, s24, v82
	v_or_b32_e32 v85, 24, v128
	v_or_b32_e32 v71, 26, v128
	;; [unrolled: 8-line block ×3, first 2 shown]
	v_dual_mul_f32 v91, s19, v116 :: v_dual_mul_f32 v92, s19, v115
	v_cndmask_b32_e64 v75, 0xff7fffff, v94, s11
	v_cndmask_b32_e64 v76, 0xff7fffff, v93, s12
	v_max3_f32 v74, v74, v77, v78
	v_cmp_gt_i32_e64 s13, s24, v85
	v_cmp_gt_i32_e64 s15, s24, v71
	v_mul_f32_e32 v89, s19, v118
	v_cmp_gt_i32_e64 s16, s24, v72
	v_max3_f32 v74, v74, v75, v76
	v_cndmask_b32_e64 v77, 0xff7fffff, v92, s13
	v_cndmask_b32_e64 v71, 0xff7fffff, v91, s15
	v_cmp_gt_i32_e64 s17, s24, v73
	v_cndmask_b32_e64 v72, 0xff7fffff, v90, s16
	s_delay_alu instid0(VALU_DEP_3) | instskip(SKIP_1) | instid1(VALU_DEP_4)
	v_max3_f32 v71, v74, v77, v71
	v_lshlrev_b32_e32 v74, 2, v127
	v_cndmask_b32_e64 v73, 0xff7fffff, v89, s17
	s_delay_alu instid0(VALU_DEP_1) | instskip(SKIP_3) | instid1(VALU_DEP_1)
	v_max3_f32 v71, v71, v72, v73
	ds_bpermute_b32 v72, v74, v71
	s_waitcnt lgkmcnt(0)
	v_max_f32_e32 v72, v72, v72
	v_max_f32_e32 v71, v71, v72
	s_delay_alu instid0(VALU_DEP_1) | instskip(SKIP_4) | instid1(VALU_DEP_4)
	v_fma_f32 v72, s19, v135, -v71
	v_fma_f32 v73, s19, v136, -v71
	;; [unrolled: 1-line block ×5, first 2 shown]
	v_dual_mul_f32 v72, 0x3fb8aa3b, v72 :: v_dual_mul_f32 v73, 0x3fb8aa3b, v73
	s_delay_alu instid0(VALU_DEP_3) | instskip(SKIP_1) | instid1(VALU_DEP_3)
	v_dual_mul_f32 v75, 0x3fb8aa3b, v75 :: v_dual_mul_f32 v76, 0x3fb8aa3b, v76
	v_fma_f32 v80, s19, v141, -v71
	v_exp_f32_e32 v72, v72
	s_delay_alu instid0(VALU_DEP_3) | instskip(NEXT) | instid1(VALU_DEP_2)
	v_exp_f32_e32 v73, v73
	v_exp_f32_e32 v75, v75
	;; [unrolled: 1-line block ×3, first 2 shown]
	v_mul_f32_e32 v82, 0x3fb8aa3b, v80
	s_delay_alu instid0(VALU_DEP_1) | instskip(SKIP_4) | instid1(TRANS32_DEP_3)
	v_exp_f32_e32 v84, v82
	v_cndmask_b32_e32 v79, 0, v72, vcc_lo
	v_fma_f32 v72, s19, v140, -v71
	v_mul_f32_e32 v77, 0x3fb8aa3b, v77
	v_cndmask_b32_e64 v78, 0, v73, s2
	v_cndmask_b32_e64 v81, 0, v75, s3
	s_delay_alu instid0(VALU_DEP_4) | instskip(NEXT) | instid1(VALU_DEP_4)
	v_dual_add_f32 v73, 0, v79 :: v_dual_mul_f32 v72, 0x3fb8aa3b, v72
	v_exp_f32_e32 v77, v77
	v_cndmask_b32_e64 v80, 0, v76, s4
	s_delay_alu instid0(TRANS32_DEP_2) | instskip(NEXT) | instid1(VALU_DEP_3)
	v_cndmask_b32_e64 v85, 0, v84, s7
	v_add_f32_e32 v73, v73, v78
	v_exp_f32_e32 v72, v72
	v_cmp_gt_u32_e64 s2, 16, v70
	s_delay_alu instid0(VALU_DEP_2) | instskip(NEXT) | instid1(TRANS32_DEP_2)
	v_add_f32_e32 v73, v73, v81
	v_cndmask_b32_e64 v83, 0, v77, s5
	s_delay_alu instid0(VALU_DEP_2) | instskip(SKIP_3) | instid1(VALU_DEP_1)
	v_add_f32_e32 v73, v73, v80
	s_waitcnt_depctr 0xfff
	v_cndmask_b32_e64 v82, 0, v72, s6
	v_add_f32_e32 v72, v73, v83
	v_add_f32_e32 v72, v72, v82
	s_delay_alu instid0(VALU_DEP_1)
	v_add_f32_e32 v72, v72, v85
	v_fma_f32 v76, s19, v111, -v71
	v_fma_f32 v75, s19, v142, -v71
	;; [unrolled: 1-line block ×5, first 2 shown]
	s_delay_alu instid0(VALU_DEP_4) | instskip(NEXT) | instid1(VALU_DEP_3)
	v_dual_mul_f32 v76, 0x3fb8aa3b, v76 :: v_dual_mul_f32 v75, 0x3fb8aa3b, v75
	v_mul_f32_e32 v86, 0x3fb8aa3b, v86
	s_delay_alu instid0(VALU_DEP_2) | instskip(NEXT) | instid1(VALU_DEP_2)
	v_exp_f32_e32 v76, v76
	v_exp_f32_e32 v75, v75
	s_delay_alu instid0(VALU_DEP_1) | instskip(NEXT) | instid1(TRANS32_DEP_3)
	v_exp_f32_e32 v88, v86
	v_cndmask_b32_e64 v87, 0, v76, s9
	v_fma_f32 v76, s19, v116, -v71
	v_mul_f32_e32 v77, 0x3fb8aa3b, v77
	s_waitcnt_depctr 0xfff
	v_cndmask_b32_e64 v84, 0, v75, s8
	v_fma_f32 v75, s19, v115, -v71
	v_cndmask_b32_e64 v88, 0, v88, s12
	v_mul_f32_e32 v76, 0x3fb8aa3b, v76
	v_exp_f32_e32 v77, v77
	v_add_f32_e32 v72, v72, v84
	s_delay_alu instid0(VALU_DEP_2) | instskip(NEXT) | instid1(VALU_DEP_1)
	v_exp_f32_e32 v76, v76
	v_add_f32_e32 v72, v72, v87
	s_waitcnt_depctr 0xfff
	v_cndmask_b32_e64 v86, 0, v77, s10
	v_mul_f32_e32 v73, 0x3fb8aa3b, v73
	v_fma_f32 v77, s19, v117, -v71
	v_cndmask_b32_e64 v90, 0, v76, s15
	s_delay_alu instid0(VALU_DEP_4) | instskip(NEXT) | instid1(VALU_DEP_4)
	v_add_f32_e32 v72, v72, v86
	v_exp_f32_e32 v73, v73
	s_waitcnt_depctr 0xfff
	v_cndmask_b32_e64 v89, 0, v73, s11
	s_delay_alu instid0(VALU_DEP_1) | instskip(NEXT) | instid1(VALU_DEP_1)
	v_dual_mul_f32 v75, 0x3fb8aa3b, v75 :: v_dual_add_f32 v72, v72, v89
	v_exp_f32_e32 v75, v75
	v_mul_f32_e32 v73, 0x3fb8aa3b, v77
	v_fma_f32 v77, s19, v118, -v71
	s_delay_alu instid0(VALU_DEP_3) | instskip(NEXT) | instid1(VALU_DEP_3)
	v_add_f32_e32 v72, v72, v88
	v_exp_f32_e32 v73, v73
	s_waitcnt_depctr 0xfff
	v_cndmask_b32_e64 v91, 0, v75, s13
	s_delay_alu instid0(VALU_DEP_1) | instskip(NEXT) | instid1(VALU_DEP_1)
	v_dual_mul_f32 v75, 0x3fb8aa3b, v77 :: v_dual_add_f32 v72, v72, v91
	v_exp_f32_e32 v75, v75
	v_cndmask_b32_e64 v93, 0, v73, s16
	s_delay_alu instid0(VALU_DEP_2) | instskip(NEXT) | instid1(VALU_DEP_1)
	v_add_f32_e32 v72, v72, v90
	v_add_f32_e32 v72, v72, v93
	s_waitcnt_depctr 0xfff
	v_cndmask_b32_e64 v92, 0, v75, s17
	s_delay_alu instid0(VALU_DEP_1)
	v_add_f32_e32 v72, v72, v92
	ds_bpermute_b32 v73, v74, v72
	s_and_saveexec_b32 s3, s2
	s_cbranch_execz .LBB994_12
; %bb.11:
	v_mul_u32_u24_e32 v70, 0x44, v69
	s_waitcnt lgkmcnt(0)
	v_add_f32_e32 v72, v72, v73
	s_delay_alu instid0(VALU_DEP_2) | instskip(NEXT) | instid1(VALU_DEP_1)
	v_lshl_add_u32 v70, v68, 2, v70
	v_add_nc_u32_e32 v70, 0x4000, v70
	ds_store_2addr_b32 v70, v71, v72 offset1:136
.LBB994_12:
	s_or_b32 exec_lo, exec_lo, s3
	v_lshlrev_b32_e32 v70, 2, v68
	s_load_b32 s35, s[0:1], 0x94
	s_waitcnt lgkmcnt(0)
	s_barrier
	buffer_gl0_inv
	v_add_nc_u32_e32 v98, 0x4000, v70
	v_cmp_eq_u32_e32 vcc_lo, 1, v69
	v_cmp_eq_u32_e64 s3, 2, v69
	v_cmp_eq_u32_e64 s4, 3, v69
	;; [unrolled: 1-line block ×3, first 2 shown]
	ds_load_2addr_b32 v[70:71], v98 offset1:17
	ds_load_2addr_b32 v[72:73], v98 offset0:34 offset1:51
	ds_load_2addr_b32 v[74:75], v98 offset0:68 offset1:85
	;; [unrolled: 1-line block ×3, first 2 shown]
	v_cmp_eq_u32_e64 s6, 5, v69
	v_cmp_eq_u32_e64 s7, 7, v69
	s_waitcnt lgkmcnt(3)
	v_max3_f32 v76, v70, 0xff7fffff, v71
	s_waitcnt lgkmcnt(2)
	s_delay_alu instid0(VALU_DEP_1) | instskip(SKIP_1) | instid1(VALU_DEP_1)
	v_max3_f32 v76, v76, v72, v73
	s_waitcnt lgkmcnt(1)
	v_max3_f32 v76, v76, v74, v75
	s_waitcnt lgkmcnt(0)
	s_delay_alu instid0(VALU_DEP_1) | instskip(NEXT) | instid1(VALU_DEP_1)
	v_max3_f32 v76, v76, v94, v95
	v_sub_f32_e32 v77, v71, v76
	ds_load_2addr_b32 v[96:97], v98 offset0:136 offset1:153
	v_sub_f32_e32 v74, v74, v76
	v_sub_f32_e32 v70, v70, v76
	;; [unrolled: 1-line block ×3, first 2 shown]
	v_dual_sub_f32 v72, v72, v76 :: v_dual_mul_f32 v77, 0x3fb8aa3b, v77
	s_delay_alu instid0(VALU_DEP_4) | instskip(NEXT) | instid1(VALU_DEP_4)
	v_mul_f32_e32 v103, 0x3fb8aa3b, v74
	v_mul_f32_e32 v99, 0x3fb8aa3b, v70
	ds_load_2addr_b32 v[70:71], v98 offset0:170 offset1:187
	v_dual_mul_f32 v101, 0x3fb8aa3b, v72 :: v_dual_mul_f32 v94, 0x3fb8aa3b, v94
	v_exp_f32_e32 v102, v77
	v_exp_f32_e32 v99, v99
	s_delay_alu instid0(VALU_DEP_1) | instskip(NEXT) | instid1(VALU_DEP_1)
	v_exp_f32_e32 v101, v101
	v_exp_f32_e32 v94, v94
	s_waitcnt lgkmcnt(1)
	s_delay_alu instid0(TRANS32_DEP_3)
	v_fma_f32 v77, v99, v96, 0
	v_sub_f32_e32 v100, v73, v76
	ds_load_2addr_b32 v[72:73], v98 offset0:204 offset1:221
	v_fmac_f32_e32 v77, v102, v97
	v_exp_f32_e32 v97, v103
	s_waitcnt lgkmcnt(1)
	s_delay_alu instid0(VALU_DEP_1)
	v_dual_fmac_f32 v77, v101, v70 :: v_dual_sub_f32 v96, v75, v76
	ds_load_2addr_b32 v[74:75], v98 offset0:238 offset1:255
	v_sub_f32_e32 v70, v95, v76
	s_waitcnt lgkmcnt(0)
	s_barrier
	v_mul_f32_e32 v96, 0x3fb8aa3b, v96
	buffer_gl0_inv
	v_exp_f32_e32 v95, v96
	v_mul_f32_e32 v100, 0x3fb8aa3b, v100
	s_delay_alu instid0(VALU_DEP_1) | instskip(SKIP_3) | instid1(VALU_DEP_2)
	v_exp_f32_e32 v100, v100
	s_waitcnt_depctr 0xfff
	v_dual_fmac_f32 v77, v100, v71 :: v_dual_mul_f32 v70, 0x3fb8aa3b, v70
	v_cndmask_b32_e32 v71, v99, v102, vcc_lo
	v_fmac_f32_e32 v77, v97, v72
	s_delay_alu instid0(VALU_DEP_3) | instskip(NEXT) | instid1(VALU_DEP_1)
	v_exp_f32_e32 v96, v70
	v_fmac_f32_e32 v77, v95, v73
	s_delay_alu instid0(VALU_DEP_1) | instskip(SKIP_2) | instid1(VALU_DEP_1)
	v_fmac_f32_e32 v77, v94, v74
	s_waitcnt_depctr 0xfff
	v_fmac_f32_e32 v77, v96, v75
	v_add_f32_e32 v74, 0x358637bd, v77
	s_delay_alu instid0(VALU_DEP_1) | instskip(SKIP_1) | instid1(VALU_DEP_2)
	v_div_scale_f32 v98, null, v74, v74, 1.0
	v_div_scale_f32 v99, vcc_lo, 1.0, v74, 1.0
	v_rcp_f32_e32 v103, v98
	s_waitcnt_depctr 0xfff
	v_fma_f32 v70, -v98, v103, 1.0
	s_delay_alu instid0(VALU_DEP_1) | instskip(SKIP_2) | instid1(VALU_DEP_2)
	v_fmac_f32_e32 v103, v70, v103
	v_cndmask_b32_e64 v70, v71, v101, s3
	v_cmp_eq_u32_e64 s3, 6, v69
	v_cndmask_b32_e64 v71, v70, v100, s4
	s_delay_alu instid0(VALU_DEP_4) | instskip(NEXT) | instid1(VALU_DEP_2)
	v_dual_mul_f32 v101, v99, v103 :: v_dual_lshlrev_b32 v70, 2, v66
	v_cndmask_b32_e64 v71, v71, v97, s5
	s_delay_alu instid0(VALU_DEP_2) | instskip(NEXT) | instid1(VALU_DEP_3)
	v_or_b32_e32 v72, 1, v70
	v_fma_f32 v100, -v98, v101, v99
	v_cmp_eq_u32_e64 s4, 1, v70
	v_cmp_eq_u32_e64 s5, 2, v70
	v_cndmask_b32_e64 v95, v71, v95, s6
	v_or_b32_e32 v71, 3, v70
	v_fmac_f32_e32 v101, v100, v103
	v_cmp_eq_u32_e64 s9, 1, v72
	v_cmp_eq_u32_e64 s12, 2, v72
	v_cndmask_b32_e64 v94, v95, v94, s3
	v_cmp_eq_u32_e64 s11, 1, v71
	v_fma_f32 v97, -v98, v101, v99
	v_cmp_eq_u32_e64 s16, 2, v71
	v_cmp_eq_u32_e64 s13, 3, v72
	v_cndmask_b32_e64 v94, v94, v96, s7
	v_cmp_eq_u32_e64 s18, 3, v71
	v_div_fmas_f32 v95, v97, v103, v101
	v_cmp_eq_u32_e32 vcc_lo, 3, v70
	v_cmp_eq_u32_e64 s3, 4, v70
	v_cmp_eq_u32_e64 s19, 4, v72
	;; [unrolled: 1-line block ×3, first 2 shown]
	v_div_fixup_f32 v95, v95, v74, 1.0
	v_lshlrev_b32_e32 v73, 6, v68
	v_cmp_eq_u32_e64 s6, 5, v70
	v_cmp_eq_u32_e64 s20, 5, v72
	v_cmp_eq_u32_e64 s24, 5, v71
	v_mul_f32_e32 v102, v94, v95
	v_lshl_or_b32 v75, v69, 11, v73
	v_or_b32_e32 v69, 2, v70
	v_cmp_eq_u32_e64 s25, 6, v72
	v_cmp_eq_u32_e64 s27, 6, v71
	v_fma_mixlo_f16 v94, v102, v79, 0
	v_fma_mixlo_f16 v95, v102, v81, 0
	;; [unrolled: 1-line block ×8, first 2 shown]
	v_lshl_or_b32 v74, v66, 4, v75
	v_fma_mixhi_f16 v94, v102, v78, 0
	v_fma_mixhi_f16 v95, v102, v80, 0
	;; [unrolled: 1-line block ×8, first 2 shown]
	ds_store_b128 v74, v[94:97]
	ds_store_b128 v74, v[98:101] offset:1024
	s_waitcnt lgkmcnt(0)
	s_barrier
	buffer_gl0_inv
	ds_load_b128 v[78:81], v75
	ds_load_b128 v[82:85], v75 offset:16
	ds_load_b128 v[86:89], v75 offset:1024
	;; [unrolled: 1-line block ×3, first 2 shown]
	v_cmp_eq_u32_e64 s10, 1, v69
	v_cmp_eq_u32_e64 s15, 2, v69
	;; [unrolled: 1-line block ×11, first 2 shown]
	s_waitcnt lgkmcnt(3)
	v_lshrrev_b32_e32 v94, 16, v78
	s_waitcnt lgkmcnt(2)
	v_lshrrev_b32_e32 v98, 16, v82
	;; [unrolled: 2-line block ×4, first 2 shown]
	v_lshrrev_b32_e32 v95, 16, v79
	v_cndmask_b32_e64 v110, v78, v94, s4
	v_cndmask_b32_e64 v111, v82, v98, s4
	;; [unrolled: 1-line block ×8, first 2 shown]
	v_lshrrev_b32_e32 v99, 16, v83
	v_cndmask_b32_e64 v94, v86, v102, s4
	v_cndmask_b32_e64 v98, v90, v106, s4
	;; [unrolled: 1-line block ×15, first 2 shown]
	v_lshrrev_b32_e32 v103, 16, v87
	v_lshrrev_b32_e32 v107, 16, v91
	v_cndmask_b32_e64 v113, v115, v83, s15
	v_cndmask_b32_e64 v82, v94, v87, s5
	;; [unrolled: 1-line block ×7, first 2 shown]
	v_cndmask_b32_e32 v90, v102, v95, vcc_lo
	v_cndmask_b32_e32 v102, v106, v99, vcc_lo
	v_cndmask_b32_e64 v106, v110, v95, s13
	v_cndmask_b32_e64 v110, v111, v99, s13
	;; [unrolled: 1-line block ×4, first 2 shown]
	v_lshrrev_b32_e32 v96, 16, v80
	v_lshrrev_b32_e32 v100, 16, v84
	v_cndmask_b32_e64 v111, v112, v95, s17
	v_cndmask_b32_e64 v112, v113, v99, s17
	v_cndmask_b32_e32 v82, v82, v103, vcc_lo
	v_cndmask_b32_e32 v83, v83, v107, vcc_lo
	v_cndmask_b32_e64 v94, v94, v103, s13
	v_cndmask_b32_e64 v90, v90, v80, s3
	;; [unrolled: 1-line block ×7, first 2 shown]
	v_lshrrev_b32_e32 v104, 16, v88
	v_cndmask_b32_e64 v106, v111, v80, s21
	v_cndmask_b32_e64 v110, v112, v84, s21
	;; [unrolled: 1-line block ×11, first 2 shown]
	v_lshrrev_b32_e32 v97, 16, v81
	v_lshrrev_b32_e32 v101, 16, v85
	v_cndmask_b32_e64 v99, v106, v96, s23
	v_cndmask_b32_e64 v102, v110, v100, s23
	;; [unrolled: 1-line block ×7, first 2 shown]
	v_lshrrev_b32_e32 v105, 16, v89
	v_cndmask_b32_e64 v80, v80, v104, s6
	v_cndmask_b32_e64 v84, v84, v81, s7
	;; [unrolled: 1-line block ×16, first 2 shown]
	v_perm_b32 v81, v79, v78, 0x5040100
	v_perm_b32 v79, v95, v85, 0x5040100
	v_cndmask_b32_e64 v78, v119, v91, s15
	v_cndmask_b32_e64 v85, v117, v91, s12
	v_cndmask_b32_e64 v96, v80, v105, s8
	v_perm_b32 v80, v94, v90, 0x5040100
	v_cndmask_b32_e64 v90, v98, v103, s17
	v_cndmask_b32_e64 v86, v86, v103, s18
	;; [unrolled: 1-line block ×5, first 2 shown]
	v_lshrrev_b32_e32 v108, 16, v92
	v_cndmask_b32_e64 v90, v90, v88, s21
	v_cndmask_b32_e64 v86, v86, v88, s22
	;; [unrolled: 1-line block ×11, first 2 shown]
	v_lshrrev_b32_e32 v109, 16, v93
	v_cndmask_b32_e64 v82, v82, v93, s7
	v_cndmask_b32_e64 v88, v88, v89, s26
	;; [unrolled: 1-line block ×12, first 2 shown]
	v_perm_b32 v78, v84, v83, 0x5040100
	v_perm_b32 v85, v87, v86, 0x5040100
	;; [unrolled: 1-line block ×5, first 2 shown]
	s_mul_i32 s8, s33, 5
	s_mov_b32 s3, exec_lo
	ds_store_b128 v74, v[78:81]
	ds_store_b128 v74, v[82:85] offset:1024
	v_cmpx_gt_u32_e32 5, v0
	s_cbranch_execz .LBB994_14
; %bb.13:
	s_mul_i32 s4, s8, s34
	s_delay_alu instid0(SALU_CYCLE_1) | instskip(SKIP_1) | instid1(VALU_DEP_1)
	v_add3_u32 v68, s4, s31, v68
	s_load_b128 s[4:7], s[0:1], 0x58
	v_mad_u64_u32 v[78:79], null, v68, s35, s[14:15]
	s_delay_alu instid0(VALU_DEP_1) | instskip(NEXT) | instid1(VALU_DEP_1)
	v_ashrrev_i32_e32 v79, 31, v78
	v_lshlrev_b64 v[78:79], 2, v[78:79]
	s_waitcnt lgkmcnt(0)
	s_delay_alu instid0(VALU_DEP_1) | instskip(NEXT) | instid1(VALU_DEP_2)
	v_add_co_u32 v80, vcc_lo, s6, v78
	v_add_co_ci_u32_e32 v81, vcc_lo, s7, v79, vcc_lo
	v_add_co_u32 v78, vcc_lo, s4, v78
	v_add_co_ci_u32_e32 v79, vcc_lo, s5, v79, vcc_lo
	global_store_b32 v[80:81], v76, off
	global_store_b32 v[78:79], v77, off
.LBB994_14:
	s_or_b32 exec_lo, exec_lo, s3
	s_waitcnt lgkmcnt(0)
	s_waitcnt_vscnt null, 0x0
	s_barrier
	buffer_gl0_inv
	ds_load_b128 v[84:87], v73
	ds_load_b128 v[88:91], v73 offset:16
	ds_load_b128 v[96:99], v73 offset:2064
	;; [unrolled: 1-line block ×5, first 2 shown]
	v_cmp_eq_u32_e32 vcc_lo, 1, v70
	v_mov_b32_e32 v76, 0
	ds_load_b128 v[112:115], v73 offset:6160
	ds_load_b128 v[108:111], v73 offset:6144
	;; [unrolled: 1-line block ×4, first 2 shown]
	v_cmp_eq_u32_e64 s4, 1, v69
	v_cmp_eq_u32_e64 s3, 1, v72
	;; [unrolled: 1-line block ×3, first 2 shown]
	v_mov_b32_e32 v77, v76
	v_mov_b32_e32 v78, v76
	;; [unrolled: 1-line block ×7, first 2 shown]
	v_cmp_eq_u32_e64 s6, 3, v72
	v_cmp_eq_u32_e64 s7, 7, v72
	s_waitcnt lgkmcnt(8)
	s_delay_alu instid0(VALU_DEP_3)
	v_wmma_f32_16x16x16_f16 v[76:83], v[49:56], v[84:91], v[76:83]
	ds_load_b128 v[53:56], v73 offset:10256
	ds_load_b128 v[49:52], v73 offset:10240
	s_waitcnt lgkmcnt(8)
	v_wmma_f32_16x16x16_f16 v[76:83], v[41:48], v[92:99], v[76:83]
	ds_load_b128 v[45:48], v73 offset:12304
	ds_load_b128 v[41:44], v73 offset:12288
	s_waitcnt lgkmcnt(8)
	;; [unrolled: 4-line block ×3, first 2 shown]
	s_barrier
	buffer_gl0_inv
	v_wmma_f32_16x16x16_f16 v[76:83], v[1:8], v[108:115], v[76:83]
	s_delay_alu instid0(VALU_DEP_1) | instskip(NEXT) | instid1(VALU_DEP_1)
	v_wmma_f32_16x16x16_f16 v[76:83], v[9:16], v[116:123], v[76:83]
	v_wmma_f32_16x16x16_f16 v[76:83], v[17:24], v[49:56], v[76:83]
	s_delay_alu instid0(VALU_DEP_1) | instskip(NEXT) | instid1(VALU_DEP_1)
	v_wmma_f32_16x16x16_f16 v[76:83], v[25:32], v[41:48], v[76:83]
	v_wmma_f32_16x16x16_f16 v[76:83], v[57:64], v[33:40], v[76:83]
	s_delay_alu instid0(VALU_DEP_1) | instskip(NEXT) | instid1(VALU_DEP_2)
	v_cvt_f16_f32_e32 v1, v76
	v_cvt_f16_f32_e32 v2, v77
	s_delay_alu instid0(VALU_DEP_3) | instskip(NEXT) | instid1(VALU_DEP_4)
	v_cvt_f16_f32_e32 v3, v78
	v_cvt_f16_f32_e32 v4, v79
	;; [unrolled: 1-line block ×6, first 2 shown]
	v_pack_b32_f16 v1, v1, v2
	v_pack_b32_f16 v2, v3, v4
	;; [unrolled: 1-line block ×3, first 2 shown]
	s_delay_alu instid0(VALU_DEP_4)
	v_pack_b32_f16 v4, v7, v8
	ds_store_b128 v74, v[1:4]
	s_waitcnt lgkmcnt(0)
	s_barrier
	buffer_gl0_inv
	ds_load_b128 v[1:4], v75
	ds_load_b128 v[5:8], v75 offset:16
	s_waitcnt lgkmcnt(1)
	v_lshrrev_b32_e32 v9, 16, v1
	s_waitcnt lgkmcnt(0)
	v_lshrrev_b32_e32 v13, 16, v5
	v_lshrrev_b32_e32 v10, 16, v2
	;; [unrolled: 1-line block ×4, first 2 shown]
	v_cndmask_b32_e32 v17, v1, v9, vcc_lo
	v_cndmask_b32_e32 v18, v5, v13, vcc_lo
	v_cndmask_b32_e64 v21, v1, v9, s4
	v_cmp_eq_u32_e32 vcc_lo, 1, v71
	v_cndmask_b32_e64 v22, v5, v13, s4
	v_cmp_eq_u32_e64 s4, 2, v70
	v_cndmask_b32_e64 v19, v1, v9, s3
	v_cndmask_b32_e64 v20, v5, v13, s3
	v_cndmask_b32_e32 v1, v1, v9, vcc_lo
	v_cmp_eq_u32_e64 s3, 2, v71
	v_cndmask_b32_e32 v5, v5, v13, vcc_lo
	v_cndmask_b32_e64 v9, v17, v2, s4
	v_cmp_eq_u32_e32 vcc_lo, 3, v70
	v_cndmask_b32_e64 v13, v18, v6, s4
	v_cmp_eq_u32_e64 s4, 2, v69
	v_cndmask_b32_e64 v17, v19, v2, s5
	v_cndmask_b32_e64 v18, v20, v6, s5
	v_cmp_eq_u32_e64 s5, 3, v69
	v_cndmask_b32_e64 v1, v1, v2, s3
	v_cndmask_b32_e64 v19, v21, v2, s4
	;; [unrolled: 1-line block ×4, first 2 shown]
	v_cndmask_b32_e32 v5, v9, v10, vcc_lo
	v_cndmask_b32_e32 v6, v13, v14, vcc_lo
	v_cmp_eq_u32_e32 vcc_lo, 3, v71
	v_cndmask_b32_e64 v9, v17, v10, s6
	v_cndmask_b32_e64 v13, v18, v14, s6
	;; [unrolled: 1-line block ×3, first 2 shown]
	v_cmp_eq_u32_e64 s4, 4, v70
	v_cndmask_b32_e32 v1, v1, v10, vcc_lo
	v_cndmask_b32_e32 v2, v2, v14, vcc_lo
	v_cmp_eq_u32_e32 vcc_lo, 4, v72
	v_lshrrev_b32_e32 v15, 16, v7
	v_lshrrev_b32_e32 v16, 16, v8
	v_cndmask_b32_e64 v17, v19, v10, s5
	v_cmp_eq_u32_e64 s3, 4, v71
	v_cndmask_b32_e64 v5, v5, v3, s4
	v_cndmask_b32_e64 v6, v6, v7, s4
	v_cndmask_b32_e32 v9, v9, v3, vcc_lo
	v_cmp_eq_u32_e64 s4, 5, v72
	v_cndmask_b32_e32 v10, v13, v7, vcc_lo
	v_cmp_eq_u32_e32 vcc_lo, 4, v69
	v_cmp_eq_u32_e64 s5, 5, v70
	v_cndmask_b32_e64 v2, v2, v7, s3
	v_cndmask_b32_e64 v9, v9, v11, s4
	;; [unrolled: 1-line block ×3, first 2 shown]
	v_cndmask_b32_e32 v13, v17, v3, vcc_lo
	v_cmp_eq_u32_e64 s4, 5, v69
	v_cndmask_b32_e32 v14, v18, v7, vcc_lo
	v_cndmask_b32_e64 v1, v1, v3, s3
	v_cmp_eq_u32_e32 vcc_lo, 5, v71
	v_lshrrev_b32_e32 v12, 16, v4
	v_cndmask_b32_e64 v13, v13, v11, s4
	v_cndmask_b32_e64 v3, v14, v15, s4
	v_cmp_eq_u32_e64 s4, 6, v71
	v_cndmask_b32_e32 v1, v1, v11, vcc_lo
	v_cndmask_b32_e64 v5, v5, v11, s5
	v_cmp_eq_u32_e64 s6, 6, v70
	v_cndmask_b32_e64 v6, v6, v15, s5
	v_cmp_eq_u32_e64 s5, 6, v72
	v_cmp_eq_u32_e64 s3, 6, v69
	v_cndmask_b32_e64 v1, v1, v4, s4
	v_cndmask_b32_e32 v2, v2, v15, vcc_lo
	v_cmp_eq_u32_e32 vcc_lo, 7, v71
	v_cndmask_b32_e64 v5, v5, v4, s6
	v_cndmask_b32_e64 v9, v9, v4, s5
	v_cndmask_b32_e64 v6, v6, v8, s6
	v_cmp_eq_u32_e64 s6, 7, v70
	v_cndmask_b32_e32 v1, v1, v12, vcc_lo
	v_cndmask_b32_e64 v7, v13, v4, s3
	v_cndmask_b32_e64 v3, v3, v8, s3
	;; [unrolled: 1-line block ×3, first 2 shown]
	v_cmp_eq_u32_e64 s3, 7, v69
	v_cndmask_b32_e64 v4, v10, v8, s5
	v_cndmask_b32_e64 v5, v5, v12, s6
	;; [unrolled: 1-line block ×3, first 2 shown]
	v_cndmask_b32_e32 v2, v2, v16, vcc_lo
	v_cndmask_b32_e64 v7, v7, v12, s3
	v_cndmask_b32_e64 v3, v3, v16, s3
	;; [unrolled: 1-line block ×4, first 2 shown]
	v_perm_b32 v4, v2, v1, 0x5040100
	s_mov_b32 s3, exec_lo
	v_perm_b32 v3, v3, v7, 0x5040100
	v_perm_b32 v2, v8, v9, 0x5040100
	;; [unrolled: 1-line block ×3, first 2 shown]
	ds_store_b128 v74, v[1:4]
	s_waitcnt lgkmcnt(0)
	s_barrier
	buffer_gl0_inv
	v_cmpx_gt_u32_e32 32, v0
	s_cbranch_execz .LBB994_2
; %bb.15:
	s_load_b64 s[4:5], s[0:1], 0x68
	v_lshlrev_b32_e32 v0, 10, v0
	v_add_nc_u32_e32 v2, s31, v66
	v_lshlrev_b32_e32 v3, 4, v67
	s_lshl_b32 s0, s35, 7
	s_delay_alu instid0(SALU_CYCLE_1) | instskip(NEXT) | instid1(VALU_DEP_2)
	s_mul_i32 s1, s0, s34
	v_mul_lo_u32 v1, v2, s0
	s_delay_alu instid0(VALU_DEP_2) | instskip(SKIP_2) | instid1(SALU_CYCLE_1)
	v_and_or_b32 v0, 0x3800, v0, v3
	v_add_nc_u32_e32 v2, 2, v2
	s_mul_i32 s6, s1, s8
	s_ashr_i32 s7, s6, 31
	s_delay_alu instid0(VALU_DEP_2)
	v_lshl_or_b32 v7, v66, 6, v0
	s_lshl_b64 s[6:7], s[6:7], 1
	v_mul_lo_u32 v11, v2, s0
	v_ashrrev_i32_e32 v2, 31, v1
	ds_load_b128 v[3:6], v7
	ds_load_b128 v[7:10], v7 offset:128
	s_waitcnt lgkmcnt(0)
	s_add_u32 s1, s4, s6
	s_addc_u32 s3, s5, s7
	s_lshl_b32 s4, s14, 7
	v_ashrrev_i32_e32 v12, 31, v11
	s_ashr_i32 s5, s4, 31
	v_lshlrev_b64 v[13:14], 1, v[1:2]
	s_lshl_b64 s[4:5], s[4:5], 1
	s_delay_alu instid0(SALU_CYCLE_1) | instskip(SKIP_2) | instid1(VALU_DEP_1)
	s_add_u32 s1, s1, s4
	s_addc_u32 s3, s3, s5
	v_add_co_u32 v1, s1, s1, v65
	v_add_co_ci_u32_e64 v2, null, s3, 0, s1
	v_lshlrev_b64 v[11:12], 1, v[11:12]
	s_delay_alu instid0(VALU_DEP_3) | instskip(NEXT) | instid1(VALU_DEP_3)
	v_add_co_u32 v13, vcc_lo, v1, v13
	v_add_co_ci_u32_e32 v14, vcc_lo, v2, v14, vcc_lo
	s_delay_alu instid0(VALU_DEP_3) | instskip(NEXT) | instid1(VALU_DEP_4)
	v_add_co_u32 v11, vcc_lo, v1, v11
	v_add_co_ci_u32_e32 v12, vcc_lo, v2, v12, vcc_lo
	s_clause 0x1
	global_store_b128 v[13:14], v[3:6], off
	global_store_b128 v[11:12], v[7:10], off
	s_and_b32 exec_lo, exec_lo, s2
	s_cbranch_execz .LBB994_2
; %bb.16:
	ds_load_b128 v[3:6], v0 offset:256
	s_add_i32 s1, s31, 4
	s_delay_alu instid0(SALU_CYCLE_1) | instskip(NEXT) | instid1(SALU_CYCLE_1)
	s_mul_i32 s0, s1, s0
	s_ashr_i32 s1, s0, 31
	s_delay_alu instid0(SALU_CYCLE_1) | instskip(NEXT) | instid1(SALU_CYCLE_1)
	s_lshl_b64 s[0:1], s[0:1], 1
	v_add_co_u32 v0, vcc_lo, v1, s0
	v_add_co_ci_u32_e32 v1, vcc_lo, s1, v2, vcc_lo
	s_waitcnt lgkmcnt(0)
	global_store_b128 v[0:1], v[3:6], off
	s_nop 0
	s_sendmsg sendmsg(MSG_DEALLOC_VGPRS)
	s_endpgm
	.section	.rodata,"a",@progbits
	.p2align	6, 0x0
	.amdhsa_kernel _Z39paged_attention_ll4mi_QKV_mfma16_kernelIDF16_hLN4vllm18Fp8KVCacheDataTypeE1EDF16_Li16ELi128ELi256ELb0ELi5EL8MFMAType1EEvPKT_PKT0_S8_ifPKiSA_SA_iPKfiiiPfSD_PS3_PT2_iSC_SC_
		.amdhsa_group_segment_fixed_size 17472
		.amdhsa_private_segment_fixed_size 0
		.amdhsa_kernarg_size 400
		.amdhsa_user_sgpr_count 13
		.amdhsa_user_sgpr_dispatch_ptr 0
		.amdhsa_user_sgpr_queue_ptr 0
		.amdhsa_user_sgpr_kernarg_segment_ptr 1
		.amdhsa_user_sgpr_dispatch_id 0
		.amdhsa_user_sgpr_private_segment_size 0
		.amdhsa_wavefront_size32 1
		.amdhsa_uses_dynamic_stack 0
		.amdhsa_enable_private_segment 0
		.amdhsa_system_sgpr_workgroup_id_x 1
		.amdhsa_system_sgpr_workgroup_id_y 1
		.amdhsa_system_sgpr_workgroup_id_z 1
		.amdhsa_system_sgpr_workgroup_info 0
		.amdhsa_system_vgpr_workitem_id 0
		.amdhsa_next_free_vgpr 150
		.amdhsa_next_free_sgpr 36
		.amdhsa_reserve_vcc 1
		.amdhsa_float_round_mode_32 0
		.amdhsa_float_round_mode_16_64 0
		.amdhsa_float_denorm_mode_32 3
		.amdhsa_float_denorm_mode_16_64 3
		.amdhsa_dx10_clamp 1
		.amdhsa_ieee_mode 1
		.amdhsa_fp16_overflow 0
		.amdhsa_workgroup_processor_mode 1
		.amdhsa_memory_ordered 1
		.amdhsa_forward_progress 0
		.amdhsa_shared_vgpr_count 0
		.amdhsa_exception_fp_ieee_invalid_op 0
		.amdhsa_exception_fp_denorm_src 0
		.amdhsa_exception_fp_ieee_div_zero 0
		.amdhsa_exception_fp_ieee_overflow 0
		.amdhsa_exception_fp_ieee_underflow 0
		.amdhsa_exception_fp_ieee_inexact 0
		.amdhsa_exception_int_div_zero 0
	.end_amdhsa_kernel
	.section	.text._Z39paged_attention_ll4mi_QKV_mfma16_kernelIDF16_hLN4vllm18Fp8KVCacheDataTypeE1EDF16_Li16ELi128ELi256ELb0ELi5EL8MFMAType1EEvPKT_PKT0_S8_ifPKiSA_SA_iPKfiiiPfSD_PS3_PT2_iSC_SC_,"axG",@progbits,_Z39paged_attention_ll4mi_QKV_mfma16_kernelIDF16_hLN4vllm18Fp8KVCacheDataTypeE1EDF16_Li16ELi128ELi256ELb0ELi5EL8MFMAType1EEvPKT_PKT0_S8_ifPKiSA_SA_iPKfiiiPfSD_PS3_PT2_iSC_SC_,comdat
.Lfunc_end994:
	.size	_Z39paged_attention_ll4mi_QKV_mfma16_kernelIDF16_hLN4vllm18Fp8KVCacheDataTypeE1EDF16_Li16ELi128ELi256ELb0ELi5EL8MFMAType1EEvPKT_PKT0_S8_ifPKiSA_SA_iPKfiiiPfSD_PS3_PT2_iSC_SC_, .Lfunc_end994-_Z39paged_attention_ll4mi_QKV_mfma16_kernelIDF16_hLN4vllm18Fp8KVCacheDataTypeE1EDF16_Li16ELi128ELi256ELb0ELi5EL8MFMAType1EEvPKT_PKT0_S8_ifPKiSA_SA_iPKfiiiPfSD_PS3_PT2_iSC_SC_
                                        ; -- End function
	.section	.AMDGPU.csdata,"",@progbits
; Kernel info:
; codeLenInByte = 6644
; NumSgprs: 38
; NumVgprs: 150
; ScratchSize: 0
; MemoryBound: 0
; FloatMode: 240
; IeeeMode: 1
; LDSByteSize: 17472 bytes/workgroup (compile time only)
; SGPRBlocks: 4
; VGPRBlocks: 18
; NumSGPRsForWavesPerEU: 38
; NumVGPRsForWavesPerEU: 150
; Occupancy: 9
; WaveLimiterHint : 1
; COMPUTE_PGM_RSRC2:SCRATCH_EN: 0
; COMPUTE_PGM_RSRC2:USER_SGPR: 13
; COMPUTE_PGM_RSRC2:TRAP_HANDLER: 0
; COMPUTE_PGM_RSRC2:TGID_X_EN: 1
; COMPUTE_PGM_RSRC2:TGID_Y_EN: 1
; COMPUTE_PGM_RSRC2:TGID_Z_EN: 1
; COMPUTE_PGM_RSRC2:TIDIG_COMP_CNT: 0
	.section	.text._Z39paged_attention_ll4mi_QKV_mfma16_kernelIDF16_hLN4vllm18Fp8KVCacheDataTypeE1EDF16_Li16ELi128ELi256ELb0ELi6EL8MFMAType1EEvPKT_PKT0_S8_ifPKiSA_SA_iPKfiiiPfSD_PS3_PT2_iSC_SC_,"axG",@progbits,_Z39paged_attention_ll4mi_QKV_mfma16_kernelIDF16_hLN4vllm18Fp8KVCacheDataTypeE1EDF16_Li16ELi128ELi256ELb0ELi6EL8MFMAType1EEvPKT_PKT0_S8_ifPKiSA_SA_iPKfiiiPfSD_PS3_PT2_iSC_SC_,comdat
	.protected	_Z39paged_attention_ll4mi_QKV_mfma16_kernelIDF16_hLN4vllm18Fp8KVCacheDataTypeE1EDF16_Li16ELi128ELi256ELb0ELi6EL8MFMAType1EEvPKT_PKT0_S8_ifPKiSA_SA_iPKfiiiPfSD_PS3_PT2_iSC_SC_ ; -- Begin function _Z39paged_attention_ll4mi_QKV_mfma16_kernelIDF16_hLN4vllm18Fp8KVCacheDataTypeE1EDF16_Li16ELi128ELi256ELb0ELi6EL8MFMAType1EEvPKT_PKT0_S8_ifPKiSA_SA_iPKfiiiPfSD_PS3_PT2_iSC_SC_
	.globl	_Z39paged_attention_ll4mi_QKV_mfma16_kernelIDF16_hLN4vllm18Fp8KVCacheDataTypeE1EDF16_Li16ELi128ELi256ELb0ELi6EL8MFMAType1EEvPKT_PKT0_S8_ifPKiSA_SA_iPKfiiiPfSD_PS3_PT2_iSC_SC_
	.p2align	8
	.type	_Z39paged_attention_ll4mi_QKV_mfma16_kernelIDF16_hLN4vllm18Fp8KVCacheDataTypeE1EDF16_Li16ELi128ELi256ELb0ELi6EL8MFMAType1EEvPKT_PKT0_S8_ifPKiSA_SA_iPKfiiiPfSD_PS3_PT2_iSC_SC_,@function
_Z39paged_attention_ll4mi_QKV_mfma16_kernelIDF16_hLN4vllm18Fp8KVCacheDataTypeE1EDF16_Li16ELi128ELi256ELb0ELi6EL8MFMAType1EEvPKT_PKT0_S8_ifPKiSA_SA_iPKfiiiPfSD_PS3_PT2_iSC_SC_: ; @_Z39paged_attention_ll4mi_QKV_mfma16_kernelIDF16_hLN4vllm18Fp8KVCacheDataTypeE1EDF16_Li16ELi128ELi256ELb0ELi6EL8MFMAType1EEvPKT_PKT0_S8_ifPKiSA_SA_iPKfiiiPfSD_PS3_PT2_iSC_SC_
; %bb.0:
	s_load_b64 s[4:5], s[0:1], 0x30
	s_mov_b32 s30, s13
	s_waitcnt lgkmcnt(0)
	s_cmp_lg_u64 s[4:5], 0
	s_cselect_b32 s8, -1, 0
	s_ashr_i32 s31, s13, 31
	s_cmp_eq_u64 s[4:5], 0
	s_cbranch_scc1 .LBB995_3
; %bb.1:
	s_lshl_b64 s[2:3], s[30:31], 2
	s_delay_alu instid0(SALU_CYCLE_1) | instskip(SKIP_4) | instid1(SALU_CYCLE_1)
	s_add_u32 s2, s4, s2
	s_addc_u32 s3, s5, s3
	s_load_b64 s[2:3], s[2:3], 0x0
	s_waitcnt lgkmcnt(0)
	s_sub_i32 s2, s3, s2
	s_cmp_eq_u32 s2, 1
	s_cselect_b32 s2, -1, 0
	s_delay_alu instid0(SALU_CYCLE_1)
	s_and_not1_b32 vcc_lo, exec_lo, s2
	s_cbranch_vccz .LBB995_4
.LBB995_2:
	s_endpgm
.LBB995_3:
.LBB995_4:
	s_load_b64 s[2:3], s[0:1], 0x28
	s_lshl_b64 s[6:7], s[30:31], 2
	s_waitcnt lgkmcnt(0)
	s_add_u32 s2, s2, s6
	s_addc_u32 s3, s3, s7
	s_lshl_b32 s12, s14, 8
	s_load_b32 s24, s[2:3], 0x0
	s_waitcnt lgkmcnt(0)
	s_cmp_ge_i32 s12, s24
	s_cbranch_scc1 .LBB995_2
; %bb.5:
	s_clause 0x1
	s_load_b128 s[20:23], s[0:1], 0x8
	s_load_b64 s[2:3], s[0:1], 0x20
	s_and_not1_b32 vcc_lo, exec_lo, s8
	s_cbranch_vccnz .LBB995_7
; %bb.6:
	s_add_u32 s4, s4, s6
	s_addc_u32 s5, s5, s7
	s_load_b32 s5, s[4:5], 0x0
	s_branch .LBB995_8
.LBB995_7:
	s_mov_b32 s5, s30
.LBB995_8:
	s_load_b128 s[16:19], s[0:1], 0x48
	v_and_b32_e32 v68, 15, v0
	v_lshrrev_b32_e32 v69, 5, v0
	v_and_b32_e32 v70, 31, v0
	v_and_b32_e32 v67, 1, v0
	v_bfe_u32 v66, v0, 4, 1
	v_lshlrev_b32_e32 v1, 3, v68
	s_mul_i32 s31, s15, 6
	s_mov_b32 s4, exec_lo
	s_delay_alu instid0(VALU_DEP_1)
	v_lshlrev_b32_e32 v65, 1, v1
	v_cmpx_gt_u32_e32 0x60, v0
	s_cbranch_execz .LBB995_10
; %bb.9:
	s_load_b64 s[6:7], s[0:1], 0x0
	v_lshl_or_b32 v5, v69, 1, v66
	s_waitcnt lgkmcnt(0)
	s_mul_hi_i32 s9, s5, s16
	s_mul_i32 s8, s5, s16
	v_lshlrev_b32_e32 v6, 10, v68
	s_lshl_b64 s[8:9], s[8:9], 1
	v_add_lshl_u32 v1, v5, s31, 7
	v_lshlrev_b32_e32 v5, 6, v5
	v_lshlrev_b32_e32 v7, 10, v67
	v_and_b32_e32 v6, 0x3800, v6
	s_delay_alu instid0(VALU_DEP_4) | instskip(NEXT) | instid1(VALU_DEP_2)
	v_ashrrev_i32_e32 v2, 31, v1
	v_or3_b32 v5, v6, v7, v5
	s_delay_alu instid0(VALU_DEP_2) | instskip(SKIP_2) | instid1(VALU_DEP_1)
	v_lshlrev_b64 v[1:2], 1, v[1:2]
	s_add_u32 s5, s6, s8
	s_addc_u32 s6, s7, s9
	v_add_co_u32 v1, vcc_lo, s5, v1
	s_delay_alu instid0(VALU_DEP_2) | instskip(NEXT) | instid1(VALU_DEP_2)
	v_add_co_ci_u32_e32 v2, vcc_lo, s6, v2, vcc_lo
	v_add_co_u32 v1, vcc_lo, v1, v65
	s_delay_alu instid0(VALU_DEP_2)
	v_add_co_ci_u32_e32 v2, vcc_lo, 0, v2, vcc_lo
	global_load_b128 v[1:4], v[1:2], off
	s_waitcnt vmcnt(0)
	ds_store_b128 v5, v[1:4]
.LBB995_10:
	s_or_b32 exec_lo, exec_lo, s4
	v_and_b32_e32 v1, 0xef, v0
	s_waitcnt lgkmcnt(0)
	s_add_i32 s5, s24, 15
	s_clause 0x1
	s_load_b32 s4, s[0:1], 0x38
	s_load_b32 s33, s[0:1], 0x98
	s_ashr_i32 s6, s5, 31
	v_add_nc_u32_e32 v1, s12, v1
	s_lshr_b32 s6, s6, 28
	s_load_b32 s19, s[0:1], 0x1c
	s_add_i32 s5, s5, s6
	s_waitcnt lgkmcnt(0)
	v_ashrrev_i32_e32 v2, 31, v1
	v_or_b32_e32 v3, 16, v1
	s_ashr_i32 s13, s5, 4
	v_cmp_gt_i32_e32 vcc_lo, s24, v1
	s_add_i32 s13, s13, -1
	v_lshrrev_b32_e32 v2, 28, v2
	s_barrier
	buffer_gl0_inv
	s_mul_i32 s15, s15, s18
	v_add_nc_u32_e32 v4, v1, v2
	s_mul_i32 s4, s30, s4
	s_delay_alu instid0(SALU_CYCLE_1) | instskip(NEXT) | instid1(VALU_DEP_1)
	s_ashr_i32 s5, s4, 31
	v_ashrrev_i32_e32 v4, 4, v4
	v_add_nc_u32_e32 v2, v3, v2
	s_lshl_b64 s[4:5], s[4:5], 2
	s_delay_alu instid0(SALU_CYCLE_1) | instskip(NEXT) | instid1(VALU_DEP_2)
	s_add_u32 s16, s2, s4
	v_cndmask_b32_e32 v1, s13, v4, vcc_lo
	s_delay_alu instid0(VALU_DEP_2)
	v_ashrrev_i32_e32 v2, 4, v2
	v_cmp_gt_i32_e32 vcc_lo, s24, v3
	s_addc_u32 s25, s3, s5
	s_ashr_i32 s18, s15, 31
	s_add_u32 s26, s20, s15
	s_addc_u32 s27, s21, s18
	v_cndmask_b32_e32 v3, s13, v2, vcc_lo
	v_ashrrev_i32_e32 v2, 31, v1
	s_lshl_b32 s2, s14, 4
	s_delay_alu instid0(SALU_CYCLE_1) | instskip(NEXT) | instid1(VALU_DEP_2)
	s_ashr_i32 s3, s2, 31
	v_ashrrev_i32_e32 v4, 31, v3
	s_delay_alu instid0(VALU_DEP_2) | instskip(SKIP_1) | instid1(SALU_CYCLE_1)
	v_lshlrev_b64 v[1:2], 2, v[1:2]
	s_lshl_b64 s[2:3], s[2:3], 2
	s_add_u32 s2, s16, s2
	s_delay_alu instid0(VALU_DEP_2) | instskip(SKIP_1) | instid1(VALU_DEP_2)
	v_lshlrev_b64 v[3:4], 2, v[3:4]
	s_addc_u32 s3, s25, s3
	v_add_co_u32 v1, vcc_lo, s16, v1
	v_add_co_ci_u32_e32 v2, vcc_lo, s25, v2, vcc_lo
	s_delay_alu instid0(VALU_DEP_3) | instskip(NEXT) | instid1(VALU_DEP_4)
	v_add_co_u32 v3, vcc_lo, s16, v3
	v_add_co_ci_u32_e32 v4, vcc_lo, s25, v4, vcc_lo
	s_clause 0x1
	global_load_b32 v5, v[1:2], off
	global_load_b32 v7, v[3:4], off
	s_or_b32 s4, s12, 32
	v_lshlrev_b32_e32 v1, 4, v0
	s_ashr_i32 s5, s4, 4
	s_cmp_lt_i32 s4, s24
	s_cselect_b32 s4, s5, s13
	s_delay_alu instid0(VALU_DEP_1) | instskip(SKIP_1) | instid1(SALU_CYCLE_1)
	v_and_b32_e32 v1, 0xf0, v1
	s_ashr_i32 s5, s4, 31
	s_lshl_b64 s[4:5], s[4:5], 2
	s_delay_alu instid0(SALU_CYCLE_1)
	s_add_u32 s4, s16, s4
	s_addc_u32 s5, s25, s5
	s_or_b32 s6, s12, 64
	v_add_co_u32 v1, s26, s26, v1
	s_ashr_i32 s7, s6, 4
	s_cmp_lt_i32 s6, s24
	v_add_co_ci_u32_e64 v2, null, s27, 0, s26
	s_cselect_b32 s6, s7, s13
	s_delay_alu instid0(SALU_CYCLE_1) | instskip(NEXT) | instid1(SALU_CYCLE_1)
	s_ashr_i32 s7, s6, 31
	s_lshl_b64 s[6:7], s[6:7], 2
	s_delay_alu instid0(SALU_CYCLE_1) | instskip(SKIP_2) | instid1(SALU_CYCLE_1)
	s_add_u32 s6, s16, s6
	s_addc_u32 s7, s25, s7
	s_or_b32 s8, s12, 0x60
	s_ashr_i32 s9, s8, 4
	s_cmp_lt_i32 s8, s24
	s_cselect_b32 s8, s9, s13
	s_delay_alu instid0(SALU_CYCLE_1) | instskip(NEXT) | instid1(SALU_CYCLE_1)
	s_ashr_i32 s9, s8, 31
	s_lshl_b64 s[8:9], s[8:9], 2
	s_delay_alu instid0(SALU_CYCLE_1) | instskip(SKIP_2) | instid1(SALU_CYCLE_1)
	s_add_u32 s8, s16, s8
	s_addc_u32 s9, s25, s9
	s_or_b32 s10, s12, 0x80
	s_ashr_i32 s11, s10, 4
	s_cmp_lt_i32 s10, s24
	;; [unrolled: 10-line block ×3, first 2 shown]
	s_cselect_b32 s20, s21, s13
	s_delay_alu instid0(SALU_CYCLE_1) | instskip(NEXT) | instid1(SALU_CYCLE_1)
	s_ashr_i32 s21, s20, 31
	s_lshl_b64 s[20:21], s[20:21], 2
	s_delay_alu instid0(SALU_CYCLE_1)
	s_add_u32 s20, s16, s20
	s_addc_u32 s21, s25, s21
	s_clause 0x5
	s_load_b32 s26, s[2:3], 0x0
	s_load_b32 s27, s[4:5], 0x0
	;; [unrolled: 1-line block ×6, first 2 shown]
	s_or_b32 s2, s12, 0xc0
	s_mov_b32 s4, 0
	s_ashr_i32 s3, s2, 4
	s_cmp_lt_i32 s2, s24
	s_mov_b32 s11, s4
	s_cselect_b32 s2, s3, s13
	s_mov_b32 s5, s4
	s_ashr_i32 s3, s2, 31
	s_mov_b32 s6, s4
	s_lshl_b64 s[2:3], s[2:3], 2
	s_mov_b32 s7, s4
	s_add_u32 s2, s16, s2
	s_addc_u32 s3, s25, s3
	s_or_b32 s20, s12, 0xe0
	s_mov_b32 s8, s4
	s_ashr_i32 s21, s20, 4
	s_cmp_lt_i32 s20, s24
	s_mov_b32 s9, s4
	s_cselect_b32 s20, s21, s13
	s_mov_b32 s10, s4
	s_ashr_i32 s21, s20, 31
	v_mov_b32_e32 v118, s11
	v_dual_mov_b32 v112, s5 :: v_dual_mov_b32 v117, s10
	v_dual_mov_b32 v116, s9 :: v_dual_mov_b32 v115, s8
	;; [unrolled: 1-line block ×3, first 2 shown]
	v_mov_b32_e32 v111, s4
	s_lshl_b64 s[4:5], s[20:21], 2
	s_delay_alu instid0(SALU_CYCLE_1)
	s_add_u32 s4, s16, s4
	s_addc_u32 s5, s25, s5
	s_add_u32 s6, s22, s15
	s_addc_u32 s7, s23, s18
	s_waitcnt vmcnt(1)
	v_mad_i64_i32 v[3:4], null, v5, s17, v[1:2]
	s_waitcnt vmcnt(0)
	v_mad_i64_i32 v[5:6], null, v7, s17, v[1:2]
	v_mul_lo_u16 v1, v68, 43
	v_lshlrev_b32_e32 v2, 4, v68
	s_clause 0xf
	global_load_b128 v[17:20], v[3:4], off
	global_load_b128 v[21:24], v[3:4], off offset:256
	global_load_b128 v[25:28], v[5:6], off
	global_load_b128 v[29:32], v[5:6], off offset:256
	global_load_b128 v[57:60], v[3:4], off offset:512
	;; [unrolled: 1-line block ×13, first 2 shown]
	v_lshrrev_b16 v1, 8, v1
	s_delay_alu instid0(VALU_DEP_1) | instskip(NEXT) | instid1(VALU_DEP_1)
	v_mul_lo_u16 v1, v1, 6
	v_sub_nc_u16 v1, v68, v1
	s_delay_alu instid0(VALU_DEP_1) | instskip(NEXT) | instid1(VALU_DEP_1)
	v_and_b32_e32 v1, 0xff, v1
	v_lshlrev_b32_e32 v149, 6, v1
	v_lshl_or_b32 v1, v69, 8, v2
	ds_load_b128 v[119:122], v149
	ds_load_b128 v[123:126], v149 offset:1024
	ds_load_b128 v[127:130], v149 offset:2048
	;; [unrolled: 1-line block ×3, first 2 shown]
	s_clause 0x1
	s_load_b32 s2, s[2:3], 0x0
	s_load_b32 s3, s[4:5], 0x0
	v_add_co_u32 v135, s6, s6, v1
	s_delay_alu instid0(VALU_DEP_1) | instskip(SKIP_1) | instid1(VALU_DEP_1)
	v_add_co_ci_u32_e64 v136, null, s7, 0, s6
	s_waitcnt lgkmcnt(0)
	v_mad_i64_i32 v[1:2], null, s26, s17, v[135:136]
	v_mad_i64_i32 v[3:4], null, s27, s17, v[135:136]
	;; [unrolled: 1-line block ×6, first 2 shown]
	s_clause 0x9
	global_load_b128 v[49:52], v[1:2], off
	global_load_b128 v[53:56], v[1:2], off offset:16
	global_load_b128 v[41:44], v[3:4], off
	global_load_b128 v[45:48], v[3:4], off offset:16
	;; [unrolled: 2-line block ×5, first 2 shown]
	v_mad_i64_i32 v[145:146], null, s2, s17, v[135:136]
	v_mad_i64_i32 v[147:148], null, s3, s17, v[135:136]
	s_waitcnt vmcnt(24)
	v_wmma_f32_16x16x16_f16 v[135:142], v[17:24], v[119:126], v[111:118]
	s_waitcnt vmcnt(22)
	v_wmma_f32_16x16x16_f16 v[111:118], v[25:32], v[119:126], v[111:118]
	s_clause 0x3
	global_load_b128 v[17:20], v[143:144], off
	global_load_b128 v[21:24], v[143:144], off offset:16
	global_load_b128 v[25:28], v[145:146], off
	global_load_b128 v[29:32], v[145:146], off offset:16
	v_and_b32_e32 v119, 0xe0, v0
	s_waitcnt vmcnt(24)
	v_wmma_f32_16x16x16_f16 v[135:142], v[57:64], v[127:134], v[135:142]
	s_clause 0x1
	global_load_b128 v[57:60], v[147:148], off
	global_load_b128 v[61:64], v[147:148], off offset:16
	s_waitcnt vmcnt(24)
	v_wmma_f32_16x16x16_f16 v[111:118], v[71:78], v[127:134], v[111:118]
	ds_load_b128 v[71:74], v149 offset:4096
	ds_load_b128 v[75:78], v149 offset:5120
	v_add_nc_u32_e32 v128, s12, v119
	ds_load_b128 v[119:122], v149 offset:6144
	ds_load_b128 v[123:126], v149 offset:7168
	v_mbcnt_lo_u32_b32 v127, -1, 0
	s_waitcnt vmcnt(0) lgkmcnt(0)
	s_barrier
	v_or_b32_e32 v128, v128, v66
	buffer_gl0_inv
	v_xor_b32_e32 v129, 16, v127
	v_or_b32_e32 v130, 4, v128
	v_or_b32_e32 v131, 6, v128
	s_delay_alu instid0(VALU_DEP_3) | instskip(SKIP_4) | instid1(VALU_DEP_4)
	v_cmp_gt_i32_e32 vcc_lo, 32, v129
	v_or_b32_e32 v132, 8, v128
	v_or_b32_e32 v133, 10, v128
	v_cmp_gt_i32_e64 s3, s24, v130
	v_cmp_gt_i32_e64 s4, s24, v131
	;; [unrolled: 1-line block ×3, first 2 shown]
	v_wmma_f32_16x16x16_f16 v[135:142], v[79:86], v[71:78], v[135:142]
	v_wmma_f32_16x16x16_f16 v[111:118], v[87:94], v[71:78], v[111:118]
	v_or_b32_e32 v79, 12, v128
	v_or_b32_e32 v80, 14, v128
	v_cmp_gt_i32_e64 s6, s24, v133
	v_wmma_f32_16x16x16_f16 v[135:142], v[95:102], v[119:126], v[135:142]
	v_wmma_f32_16x16x16_f16 v[111:118], v[103:110], v[119:126], v[111:118]
	v_cndmask_b32_e32 v127, v127, v129, vcc_lo
	v_or_b32_e32 v129, 2, v128
	v_cmp_gt_i32_e32 vcc_lo, s24, v128
	s_delay_alu instid0(VALU_DEP_4) | instskip(SKIP_1) | instid1(VALU_DEP_4)
	v_dual_mul_f32 v87, s19, v136 :: v_dual_mul_f32 v94, s19, v113
	v_mul_f32_e32 v88, s19, v135
	v_cmp_gt_i32_e64 s2, s24, v129
	v_mul_f32_e32 v78, s19, v138
	v_mul_f32_e32 v86, s19, v137
	;; [unrolled: 1-line block ×3, first 2 shown]
	v_cndmask_b32_e32 v88, 0xff7fffff, v88, vcc_lo
	v_cndmask_b32_e64 v87, 0xff7fffff, v87, s2
	v_dual_mul_f32 v77, s19, v139 :: v_dual_mul_f32 v90, s19, v117
	v_cndmask_b32_e64 v86, 0xff7fffff, v86, s3
	v_cndmask_b32_e64 v78, 0xff7fffff, v78, s4
	s_delay_alu instid0(VALU_DEP_4)
	v_max3_f32 v87, v88, 0xff7fffff, v87
	v_or_b32_e32 v81, 16, v128
	v_or_b32_e32 v82, 18, v128
	v_dual_mul_f32 v74, s19, v142 :: v_dual_mul_f32 v75, s19, v141
	v_mul_f32_e32 v96, s19, v111
	v_cndmask_b32_e64 v77, 0xff7fffff, v77, s5
	v_cndmask_b32_e64 v76, 0xff7fffff, v76, s6
	v_max3_f32 v78, v87, v86, v78
	v_cmp_gt_i32_e64 s7, s24, v79
	v_cmp_gt_i32_e64 s8, s24, v80
	v_or_b32_e32 v83, 20, v128
	v_or_b32_e32 v84, 22, v128
	v_mul_f32_e32 v95, s19, v112
	v_cndmask_b32_e64 v75, 0xff7fffff, v75, s7
	v_cndmask_b32_e64 v74, 0xff7fffff, v74, s8
	v_max3_f32 v76, v78, v77, v76
	v_cmp_gt_i32_e64 s9, s24, v81
	v_cmp_gt_i32_e64 s10, s24, v82
	v_or_b32_e32 v85, 24, v128
	v_or_b32_e32 v71, 26, v128
	;; [unrolled: 8-line block ×3, first 2 shown]
	v_dual_mul_f32 v91, s19, v116 :: v_dual_mul_f32 v92, s19, v115
	v_cndmask_b32_e64 v75, 0xff7fffff, v94, s11
	v_cndmask_b32_e64 v76, 0xff7fffff, v93, s12
	v_max3_f32 v74, v74, v77, v78
	v_cmp_gt_i32_e64 s13, s24, v85
	v_cmp_gt_i32_e64 s15, s24, v71
	v_mul_f32_e32 v89, s19, v118
	v_cmp_gt_i32_e64 s16, s24, v72
	v_max3_f32 v74, v74, v75, v76
	v_cndmask_b32_e64 v77, 0xff7fffff, v92, s13
	v_cndmask_b32_e64 v71, 0xff7fffff, v91, s15
	v_cmp_gt_i32_e64 s17, s24, v73
	v_cndmask_b32_e64 v72, 0xff7fffff, v90, s16
	s_delay_alu instid0(VALU_DEP_3) | instskip(SKIP_1) | instid1(VALU_DEP_4)
	v_max3_f32 v71, v74, v77, v71
	v_lshlrev_b32_e32 v74, 2, v127
	v_cndmask_b32_e64 v73, 0xff7fffff, v89, s17
	s_delay_alu instid0(VALU_DEP_1) | instskip(SKIP_3) | instid1(VALU_DEP_1)
	v_max3_f32 v71, v71, v72, v73
	ds_bpermute_b32 v72, v74, v71
	s_waitcnt lgkmcnt(0)
	v_max_f32_e32 v72, v72, v72
	v_max_f32_e32 v71, v71, v72
	s_delay_alu instid0(VALU_DEP_1) | instskip(SKIP_4) | instid1(VALU_DEP_4)
	v_fma_f32 v72, s19, v135, -v71
	v_fma_f32 v73, s19, v136, -v71
	;; [unrolled: 1-line block ×5, first 2 shown]
	v_dual_mul_f32 v72, 0x3fb8aa3b, v72 :: v_dual_mul_f32 v73, 0x3fb8aa3b, v73
	s_delay_alu instid0(VALU_DEP_3) | instskip(SKIP_1) | instid1(VALU_DEP_3)
	v_dual_mul_f32 v75, 0x3fb8aa3b, v75 :: v_dual_mul_f32 v76, 0x3fb8aa3b, v76
	v_fma_f32 v80, s19, v141, -v71
	v_exp_f32_e32 v72, v72
	s_delay_alu instid0(VALU_DEP_3) | instskip(NEXT) | instid1(VALU_DEP_2)
	v_exp_f32_e32 v73, v73
	v_exp_f32_e32 v75, v75
	;; [unrolled: 1-line block ×3, first 2 shown]
	v_mul_f32_e32 v82, 0x3fb8aa3b, v80
	s_delay_alu instid0(VALU_DEP_1) | instskip(SKIP_4) | instid1(TRANS32_DEP_3)
	v_exp_f32_e32 v84, v82
	v_cndmask_b32_e32 v79, 0, v72, vcc_lo
	v_fma_f32 v72, s19, v140, -v71
	v_mul_f32_e32 v77, 0x3fb8aa3b, v77
	v_cndmask_b32_e64 v78, 0, v73, s2
	v_cndmask_b32_e64 v81, 0, v75, s3
	s_delay_alu instid0(VALU_DEP_4) | instskip(NEXT) | instid1(VALU_DEP_4)
	v_dual_add_f32 v73, 0, v79 :: v_dual_mul_f32 v72, 0x3fb8aa3b, v72
	v_exp_f32_e32 v77, v77
	v_cndmask_b32_e64 v80, 0, v76, s4
	s_delay_alu instid0(TRANS32_DEP_2) | instskip(NEXT) | instid1(VALU_DEP_3)
	v_cndmask_b32_e64 v85, 0, v84, s7
	v_add_f32_e32 v73, v73, v78
	v_exp_f32_e32 v72, v72
	s_mov_b32 s2, exec_lo
	s_delay_alu instid0(VALU_DEP_1) | instskip(SKIP_4) | instid1(VALU_DEP_2)
	v_add_f32_e32 v73, v73, v81
	s_waitcnt_depctr 0xfff
	v_cndmask_b32_e64 v83, 0, v77, s5
	v_add_f32_e32 v73, v73, v80
	v_cndmask_b32_e64 v82, 0, v72, s6
	v_add_f32_e32 v72, v73, v83
	s_delay_alu instid0(VALU_DEP_1) | instskip(NEXT) | instid1(VALU_DEP_1)
	v_add_f32_e32 v72, v72, v82
	v_add_f32_e32 v72, v72, v85
	v_fma_f32 v76, s19, v111, -v71
	v_fma_f32 v75, s19, v142, -v71
	;; [unrolled: 1-line block ×5, first 2 shown]
	s_delay_alu instid0(VALU_DEP_4) | instskip(NEXT) | instid1(VALU_DEP_3)
	v_dual_mul_f32 v76, 0x3fb8aa3b, v76 :: v_dual_mul_f32 v75, 0x3fb8aa3b, v75
	v_mul_f32_e32 v86, 0x3fb8aa3b, v86
	s_delay_alu instid0(VALU_DEP_2) | instskip(NEXT) | instid1(VALU_DEP_2)
	v_exp_f32_e32 v76, v76
	v_exp_f32_e32 v75, v75
	s_delay_alu instid0(VALU_DEP_1) | instskip(NEXT) | instid1(TRANS32_DEP_3)
	v_exp_f32_e32 v88, v86
	v_cndmask_b32_e64 v87, 0, v76, s9
	v_fma_f32 v76, s19, v116, -v71
	v_mul_f32_e32 v77, 0x3fb8aa3b, v77
	s_waitcnt_depctr 0xfff
	v_cndmask_b32_e64 v84, 0, v75, s8
	v_fma_f32 v75, s19, v115, -v71
	v_cndmask_b32_e64 v88, 0, v88, s12
	v_mul_f32_e32 v76, 0x3fb8aa3b, v76
	v_exp_f32_e32 v77, v77
	v_add_f32_e32 v72, v72, v84
	s_delay_alu instid0(VALU_DEP_2) | instskip(NEXT) | instid1(VALU_DEP_1)
	v_exp_f32_e32 v76, v76
	v_add_f32_e32 v72, v72, v87
	s_waitcnt_depctr 0xfff
	v_cndmask_b32_e64 v86, 0, v77, s10
	v_mul_f32_e32 v73, 0x3fb8aa3b, v73
	v_fma_f32 v77, s19, v117, -v71
	v_cndmask_b32_e64 v90, 0, v76, s15
	s_delay_alu instid0(VALU_DEP_4) | instskip(NEXT) | instid1(VALU_DEP_4)
	v_add_f32_e32 v72, v72, v86
	v_exp_f32_e32 v73, v73
	s_waitcnt_depctr 0xfff
	v_cndmask_b32_e64 v89, 0, v73, s11
	s_delay_alu instid0(VALU_DEP_1) | instskip(NEXT) | instid1(VALU_DEP_1)
	v_dual_mul_f32 v75, 0x3fb8aa3b, v75 :: v_dual_add_f32 v72, v72, v89
	v_exp_f32_e32 v75, v75
	v_mul_f32_e32 v73, 0x3fb8aa3b, v77
	v_fma_f32 v77, s19, v118, -v71
	s_delay_alu instid0(VALU_DEP_3) | instskip(NEXT) | instid1(VALU_DEP_3)
	v_add_f32_e32 v72, v72, v88
	v_exp_f32_e32 v73, v73
	s_waitcnt_depctr 0xfff
	v_cndmask_b32_e64 v91, 0, v75, s13
	s_delay_alu instid0(VALU_DEP_1) | instskip(NEXT) | instid1(VALU_DEP_1)
	v_dual_mul_f32 v75, 0x3fb8aa3b, v77 :: v_dual_add_f32 v72, v72, v91
	v_exp_f32_e32 v75, v75
	v_cndmask_b32_e64 v93, 0, v73, s16
	s_delay_alu instid0(VALU_DEP_2) | instskip(NEXT) | instid1(VALU_DEP_1)
	v_add_f32_e32 v72, v72, v90
	v_add_f32_e32 v72, v72, v93
	s_waitcnt_depctr 0xfff
	v_cndmask_b32_e64 v92, 0, v75, s17
	s_delay_alu instid0(VALU_DEP_1)
	v_add_f32_e32 v72, v72, v92
	ds_bpermute_b32 v73, v74, v72
	v_cmpx_gt_u32_e32 16, v70
	s_cbranch_execz .LBB995_12
; %bb.11:
	v_mul_u32_u24_e32 v70, 0x44, v69
	s_waitcnt lgkmcnt(0)
	v_add_f32_e32 v72, v72, v73
	s_delay_alu instid0(VALU_DEP_2) | instskip(NEXT) | instid1(VALU_DEP_1)
	v_lshl_add_u32 v70, v68, 2, v70
	v_add_nc_u32_e32 v70, 0x4000, v70
	ds_store_2addr_b32 v70, v71, v72 offset1:136
.LBB995_12:
	s_or_b32 exec_lo, exec_lo, s2
	v_lshlrev_b32_e32 v70, 2, v68
	s_load_b32 s34, s[0:1], 0x94
	s_waitcnt lgkmcnt(0)
	s_barrier
	buffer_gl0_inv
	v_add_nc_u32_e32 v98, 0x4000, v70
	v_cmp_eq_u32_e32 vcc_lo, 1, v69
	v_cmp_eq_u32_e64 s2, 2, v69
	v_cmp_eq_u32_e64 s3, 3, v69
	;; [unrolled: 1-line block ×3, first 2 shown]
	ds_load_2addr_b32 v[70:71], v98 offset1:17
	ds_load_2addr_b32 v[72:73], v98 offset0:34 offset1:51
	ds_load_2addr_b32 v[74:75], v98 offset0:68 offset1:85
	;; [unrolled: 1-line block ×3, first 2 shown]
	v_cmp_eq_u32_e64 s5, 5, v69
	v_cmp_eq_u32_e64 s6, 7, v69
	s_waitcnt lgkmcnt(3)
	v_max3_f32 v76, v70, 0xff7fffff, v71
	s_waitcnt lgkmcnt(2)
	s_delay_alu instid0(VALU_DEP_1) | instskip(SKIP_1) | instid1(VALU_DEP_1)
	v_max3_f32 v76, v76, v72, v73
	s_waitcnt lgkmcnt(1)
	v_max3_f32 v76, v76, v74, v75
	s_waitcnt lgkmcnt(0)
	s_delay_alu instid0(VALU_DEP_1) | instskip(NEXT) | instid1(VALU_DEP_1)
	v_max3_f32 v76, v76, v94, v95
	v_sub_f32_e32 v77, v71, v76
	ds_load_2addr_b32 v[96:97], v98 offset0:136 offset1:153
	v_sub_f32_e32 v74, v74, v76
	v_sub_f32_e32 v70, v70, v76
	;; [unrolled: 1-line block ×3, first 2 shown]
	v_dual_sub_f32 v72, v72, v76 :: v_dual_mul_f32 v77, 0x3fb8aa3b, v77
	s_delay_alu instid0(VALU_DEP_4) | instskip(NEXT) | instid1(VALU_DEP_4)
	v_mul_f32_e32 v103, 0x3fb8aa3b, v74
	v_mul_f32_e32 v99, 0x3fb8aa3b, v70
	ds_load_2addr_b32 v[70:71], v98 offset0:170 offset1:187
	v_dual_mul_f32 v101, 0x3fb8aa3b, v72 :: v_dual_mul_f32 v94, 0x3fb8aa3b, v94
	v_exp_f32_e32 v102, v77
	v_exp_f32_e32 v99, v99
	s_delay_alu instid0(VALU_DEP_1) | instskip(NEXT) | instid1(VALU_DEP_1)
	v_exp_f32_e32 v101, v101
	v_exp_f32_e32 v94, v94
	s_waitcnt lgkmcnt(1)
	s_delay_alu instid0(TRANS32_DEP_3)
	v_fma_f32 v77, v99, v96, 0
	v_sub_f32_e32 v100, v73, v76
	ds_load_2addr_b32 v[72:73], v98 offset0:204 offset1:221
	v_fmac_f32_e32 v77, v102, v97
	v_exp_f32_e32 v97, v103
	s_waitcnt lgkmcnt(1)
	s_delay_alu instid0(VALU_DEP_1)
	v_dual_fmac_f32 v77, v101, v70 :: v_dual_sub_f32 v96, v75, v76
	ds_load_2addr_b32 v[74:75], v98 offset0:238 offset1:255
	v_sub_f32_e32 v70, v95, v76
	s_waitcnt lgkmcnt(0)
	s_barrier
	v_mul_f32_e32 v96, 0x3fb8aa3b, v96
	buffer_gl0_inv
	v_exp_f32_e32 v95, v96
	v_mul_f32_e32 v100, 0x3fb8aa3b, v100
	s_delay_alu instid0(VALU_DEP_1) | instskip(SKIP_3) | instid1(VALU_DEP_2)
	v_exp_f32_e32 v100, v100
	s_waitcnt_depctr 0xfff
	v_dual_fmac_f32 v77, v100, v71 :: v_dual_mul_f32 v70, 0x3fb8aa3b, v70
	v_cndmask_b32_e32 v71, v99, v102, vcc_lo
	v_fmac_f32_e32 v77, v97, v72
	s_delay_alu instid0(VALU_DEP_3) | instskip(NEXT) | instid1(VALU_DEP_1)
	v_exp_f32_e32 v96, v70
	v_fmac_f32_e32 v77, v95, v73
	s_delay_alu instid0(VALU_DEP_1) | instskip(SKIP_2) | instid1(VALU_DEP_1)
	v_fmac_f32_e32 v77, v94, v74
	s_waitcnt_depctr 0xfff
	v_fmac_f32_e32 v77, v96, v75
	v_add_f32_e32 v74, 0x358637bd, v77
	s_delay_alu instid0(VALU_DEP_1) | instskip(SKIP_1) | instid1(VALU_DEP_2)
	v_div_scale_f32 v98, null, v74, v74, 1.0
	v_div_scale_f32 v99, vcc_lo, 1.0, v74, 1.0
	v_rcp_f32_e32 v103, v98
	s_waitcnt_depctr 0xfff
	v_fma_f32 v70, -v98, v103, 1.0
	s_delay_alu instid0(VALU_DEP_1) | instskip(SKIP_2) | instid1(VALU_DEP_2)
	v_fmac_f32_e32 v103, v70, v103
	v_cndmask_b32_e64 v70, v71, v101, s2
	v_cmp_eq_u32_e64 s2, 6, v69
	v_cndmask_b32_e64 v71, v70, v100, s3
	s_delay_alu instid0(VALU_DEP_4) | instskip(NEXT) | instid1(VALU_DEP_2)
	v_dual_mul_f32 v101, v99, v103 :: v_dual_lshlrev_b32 v70, 2, v66
	v_cndmask_b32_e64 v71, v71, v97, s4
	s_delay_alu instid0(VALU_DEP_2) | instskip(NEXT) | instid1(VALU_DEP_3)
	v_or_b32_e32 v72, 1, v70
	v_fma_f32 v100, -v98, v101, v99
	v_cmp_eq_u32_e64 s3, 1, v70
	v_cmp_eq_u32_e64 s4, 2, v70
	v_cndmask_b32_e64 v95, v71, v95, s5
	v_or_b32_e32 v71, 3, v70
	v_fmac_f32_e32 v101, v100, v103
	v_cmp_eq_u32_e64 s8, 1, v72
	v_cmp_eq_u32_e64 s11, 2, v72
	v_cndmask_b32_e64 v94, v95, v94, s2
	v_cmp_eq_u32_e64 s10, 1, v71
	v_fma_f32 v97, -v98, v101, v99
	v_cmp_eq_u32_e64 s15, 2, v71
	v_cmp_eq_u32_e64 s12, 3, v72
	v_cndmask_b32_e64 v94, v94, v96, s6
	v_cmp_eq_u32_e64 s17, 3, v71
	v_div_fmas_f32 v95, v97, v103, v101
	v_cmp_eq_u32_e32 vcc_lo, 3, v70
	v_cmp_eq_u32_e64 s2, 4, v70
	v_cmp_eq_u32_e64 s18, 4, v72
	;; [unrolled: 1-line block ×3, first 2 shown]
	v_div_fixup_f32 v95, v95, v74, 1.0
	v_lshlrev_b32_e32 v73, 6, v68
	v_cmp_eq_u32_e64 s5, 5, v70
	v_cmp_eq_u32_e64 s19, 5, v72
	;; [unrolled: 1-line block ×3, first 2 shown]
	v_mul_f32_e32 v102, v94, v95
	v_lshl_or_b32 v75, v69, 11, v73
	v_or_b32_e32 v69, 2, v70
	v_cmp_eq_u32_e64 s24, 6, v72
	v_cmp_eq_u32_e64 s26, 6, v71
	v_fma_mixlo_f16 v94, v102, v79, 0
	v_fma_mixlo_f16 v95, v102, v81, 0
	;; [unrolled: 1-line block ×8, first 2 shown]
	v_lshl_or_b32 v74, v66, 4, v75
	v_fma_mixhi_f16 v94, v102, v78, 0
	v_fma_mixhi_f16 v95, v102, v80, 0
	;; [unrolled: 1-line block ×8, first 2 shown]
	ds_store_b128 v74, v[94:97]
	ds_store_b128 v74, v[98:101] offset:1024
	s_waitcnt lgkmcnt(0)
	s_barrier
	buffer_gl0_inv
	ds_load_b128 v[78:81], v75
	ds_load_b128 v[82:85], v75 offset:16
	ds_load_b128 v[86:89], v75 offset:1024
	;; [unrolled: 1-line block ×3, first 2 shown]
	v_cmp_eq_u32_e64 s9, 1, v69
	v_cmp_eq_u32_e64 s13, 2, v69
	;; [unrolled: 1-line block ×11, first 2 shown]
	s_waitcnt lgkmcnt(3)
	v_lshrrev_b32_e32 v94, 16, v78
	s_waitcnt lgkmcnt(2)
	v_lshrrev_b32_e32 v98, 16, v82
	;; [unrolled: 2-line block ×4, first 2 shown]
	v_lshrrev_b32_e32 v95, 16, v79
	v_cndmask_b32_e64 v110, v78, v94, s3
	v_cndmask_b32_e64 v111, v82, v98, s3
	v_cndmask_b32_e64 v112, v78, v94, s8
	v_cndmask_b32_e64 v113, v82, v98, s8
	v_cndmask_b32_e64 v114, v78, v94, s9
	v_cndmask_b32_e64 v115, v82, v98, s9
	v_cndmask_b32_e64 v78, v78, v94, s10
	v_cndmask_b32_e64 v82, v82, v98, s10
	v_lshrrev_b32_e32 v99, 16, v83
	v_cndmask_b32_e64 v94, v86, v102, s3
	v_cndmask_b32_e64 v98, v90, v106, s3
	;; [unrolled: 1-line block ×15, first 2 shown]
	v_lshrrev_b32_e32 v103, 16, v87
	v_lshrrev_b32_e32 v107, 16, v91
	v_cndmask_b32_e64 v113, v115, v83, s13
	v_cndmask_b32_e64 v82, v94, v87, s4
	;; [unrolled: 1-line block ×7, first 2 shown]
	v_cndmask_b32_e32 v90, v102, v95, vcc_lo
	v_cndmask_b32_e32 v102, v106, v99, vcc_lo
	v_cndmask_b32_e64 v106, v110, v95, s12
	v_cndmask_b32_e64 v110, v111, v99, s12
	;; [unrolled: 1-line block ×4, first 2 shown]
	v_lshrrev_b32_e32 v96, 16, v80
	v_lshrrev_b32_e32 v100, 16, v84
	v_cndmask_b32_e64 v111, v112, v95, s16
	v_cndmask_b32_e64 v112, v113, v99, s16
	v_cndmask_b32_e32 v82, v82, v103, vcc_lo
	v_cndmask_b32_e32 v83, v83, v107, vcc_lo
	v_cndmask_b32_e64 v94, v94, v103, s12
	v_cndmask_b32_e64 v90, v90, v80, s2
	;; [unrolled: 1-line block ×7, first 2 shown]
	v_lshrrev_b32_e32 v104, 16, v88
	v_cndmask_b32_e64 v106, v111, v80, s20
	v_cndmask_b32_e64 v110, v112, v84, s20
	;; [unrolled: 1-line block ×11, first 2 shown]
	v_lshrrev_b32_e32 v97, 16, v81
	v_lshrrev_b32_e32 v101, 16, v85
	v_cndmask_b32_e64 v99, v106, v96, s22
	v_cndmask_b32_e64 v102, v110, v100, s22
	;; [unrolled: 1-line block ×7, first 2 shown]
	v_lshrrev_b32_e32 v105, 16, v89
	v_cndmask_b32_e64 v80, v80, v104, s5
	v_cndmask_b32_e64 v84, v84, v81, s6
	;; [unrolled: 1-line block ×16, first 2 shown]
	v_perm_b32 v81, v79, v78, 0x5040100
	v_perm_b32 v79, v95, v85, 0x5040100
	v_cndmask_b32_e64 v78, v119, v91, s13
	v_cndmask_b32_e64 v85, v117, v91, s11
	;; [unrolled: 1-line block ×3, first 2 shown]
	v_perm_b32 v80, v94, v90, 0x5040100
	v_cndmask_b32_e64 v90, v98, v103, s16
	v_cndmask_b32_e64 v86, v86, v103, s17
	;; [unrolled: 1-line block ×5, first 2 shown]
	v_lshrrev_b32_e32 v108, 16, v92
	v_cndmask_b32_e64 v90, v90, v88, s20
	v_cndmask_b32_e64 v86, v86, v88, s21
	;; [unrolled: 1-line block ×11, first 2 shown]
	v_lshrrev_b32_e32 v109, 16, v93
	v_cndmask_b32_e64 v82, v82, v93, s6
	v_cndmask_b32_e64 v88, v88, v89, s25
	;; [unrolled: 1-line block ×12, first 2 shown]
	v_perm_b32 v78, v84, v83, 0x5040100
	v_perm_b32 v85, v87, v86, 0x5040100
	;; [unrolled: 1-line block ×5, first 2 shown]
	s_mul_i32 s7, s33, 6
	s_mov_b32 s2, exec_lo
	ds_store_b128 v74, v[78:81]
	ds_store_b128 v74, v[82:85] offset:1024
	v_cmpx_gt_u32_e32 6, v0
	s_cbranch_execz .LBB995_14
; %bb.13:
	s_mul_i32 s3, s7, s30
	s_load_b128 s[8:11], s[0:1], 0x58
	v_add3_u32 v68, s3, s31, v68
	s_delay_alu instid0(VALU_DEP_1) | instskip(NEXT) | instid1(VALU_DEP_1)
	v_mad_u64_u32 v[78:79], null, v68, s34, s[14:15]
	v_ashrrev_i32_e32 v79, 31, v78
	s_delay_alu instid0(VALU_DEP_1) | instskip(SKIP_1) | instid1(VALU_DEP_1)
	v_lshlrev_b64 v[78:79], 2, v[78:79]
	s_waitcnt lgkmcnt(0)
	v_add_co_u32 v80, vcc_lo, s10, v78
	s_delay_alu instid0(VALU_DEP_2)
	v_add_co_ci_u32_e32 v81, vcc_lo, s11, v79, vcc_lo
	v_add_co_u32 v78, vcc_lo, s8, v78
	v_add_co_ci_u32_e32 v79, vcc_lo, s9, v79, vcc_lo
	global_store_b32 v[80:81], v76, off
	global_store_b32 v[78:79], v77, off
.LBB995_14:
	s_or_b32 exec_lo, exec_lo, s2
	s_waitcnt lgkmcnt(0)
	s_waitcnt_vscnt null, 0x0
	s_barrier
	buffer_gl0_inv
	ds_load_b128 v[84:87], v73
	ds_load_b128 v[88:91], v73 offset:16
	ds_load_b128 v[96:99], v73 offset:2064
	;; [unrolled: 1-line block ×5, first 2 shown]
	v_cmp_eq_u32_e32 vcc_lo, 1, v70
	v_mov_b32_e32 v76, 0
	ds_load_b128 v[112:115], v73 offset:6160
	ds_load_b128 v[108:111], v73 offset:6144
	;; [unrolled: 1-line block ×4, first 2 shown]
	v_cmp_eq_u32_e64 s3, 1, v69
	v_cmp_eq_u32_e64 s2, 1, v72
	;; [unrolled: 1-line block ×3, first 2 shown]
	v_mov_b32_e32 v77, v76
	v_mov_b32_e32 v78, v76
	;; [unrolled: 1-line block ×7, first 2 shown]
	v_cmp_eq_u32_e64 s5, 3, v72
	v_cmp_eq_u32_e64 s6, 7, v72
	s_waitcnt lgkmcnt(8)
	s_delay_alu instid0(VALU_DEP_3)
	v_wmma_f32_16x16x16_f16 v[76:83], v[49:56], v[84:91], v[76:83]
	ds_load_b128 v[53:56], v73 offset:10256
	ds_load_b128 v[49:52], v73 offset:10240
	s_waitcnt lgkmcnt(8)
	v_wmma_f32_16x16x16_f16 v[76:83], v[41:48], v[92:99], v[76:83]
	ds_load_b128 v[45:48], v73 offset:12304
	ds_load_b128 v[41:44], v73 offset:12288
	s_waitcnt lgkmcnt(8)
	;; [unrolled: 4-line block ×3, first 2 shown]
	s_barrier
	buffer_gl0_inv
	v_wmma_f32_16x16x16_f16 v[76:83], v[1:8], v[108:115], v[76:83]
	s_delay_alu instid0(VALU_DEP_1) | instskip(NEXT) | instid1(VALU_DEP_1)
	v_wmma_f32_16x16x16_f16 v[76:83], v[9:16], v[116:123], v[76:83]
	v_wmma_f32_16x16x16_f16 v[76:83], v[17:24], v[49:56], v[76:83]
	s_delay_alu instid0(VALU_DEP_1) | instskip(NEXT) | instid1(VALU_DEP_1)
	v_wmma_f32_16x16x16_f16 v[76:83], v[25:32], v[41:48], v[76:83]
	v_wmma_f32_16x16x16_f16 v[76:83], v[57:64], v[33:40], v[76:83]
	s_delay_alu instid0(VALU_DEP_1) | instskip(NEXT) | instid1(VALU_DEP_2)
	v_cvt_f16_f32_e32 v1, v76
	v_cvt_f16_f32_e32 v2, v77
	s_delay_alu instid0(VALU_DEP_3) | instskip(NEXT) | instid1(VALU_DEP_4)
	v_cvt_f16_f32_e32 v3, v78
	v_cvt_f16_f32_e32 v4, v79
	;; [unrolled: 1-line block ×6, first 2 shown]
	v_pack_b32_f16 v1, v1, v2
	v_pack_b32_f16 v2, v3, v4
	;; [unrolled: 1-line block ×3, first 2 shown]
	s_delay_alu instid0(VALU_DEP_4)
	v_pack_b32_f16 v4, v7, v8
	ds_store_b128 v74, v[1:4]
	s_waitcnt lgkmcnt(0)
	s_barrier
	buffer_gl0_inv
	ds_load_b128 v[1:4], v75
	ds_load_b128 v[5:8], v75 offset:16
	s_waitcnt lgkmcnt(1)
	v_lshrrev_b32_e32 v9, 16, v1
	s_waitcnt lgkmcnt(0)
	v_lshrrev_b32_e32 v13, 16, v5
	v_lshrrev_b32_e32 v10, 16, v2
	;; [unrolled: 1-line block ×4, first 2 shown]
	v_cndmask_b32_e32 v17, v1, v9, vcc_lo
	v_cndmask_b32_e32 v18, v5, v13, vcc_lo
	v_cndmask_b32_e64 v21, v1, v9, s3
	v_cmp_eq_u32_e32 vcc_lo, 1, v71
	v_cndmask_b32_e64 v22, v5, v13, s3
	v_cmp_eq_u32_e64 s3, 2, v70
	v_cndmask_b32_e64 v19, v1, v9, s2
	v_cndmask_b32_e64 v20, v5, v13, s2
	v_cndmask_b32_e32 v1, v1, v9, vcc_lo
	v_cmp_eq_u32_e64 s2, 2, v71
	v_cndmask_b32_e32 v5, v5, v13, vcc_lo
	v_cndmask_b32_e64 v9, v17, v2, s3
	v_cmp_eq_u32_e32 vcc_lo, 3, v70
	v_cndmask_b32_e64 v13, v18, v6, s3
	v_cmp_eq_u32_e64 s3, 2, v69
	v_cndmask_b32_e64 v17, v19, v2, s4
	v_cndmask_b32_e64 v18, v20, v6, s4
	v_cmp_eq_u32_e64 s4, 3, v69
	v_cndmask_b32_e64 v1, v1, v2, s2
	v_cndmask_b32_e64 v19, v21, v2, s3
	;; [unrolled: 1-line block ×4, first 2 shown]
	v_cndmask_b32_e32 v5, v9, v10, vcc_lo
	v_cndmask_b32_e32 v6, v13, v14, vcc_lo
	v_cmp_eq_u32_e32 vcc_lo, 3, v71
	v_cndmask_b32_e64 v9, v17, v10, s5
	v_cndmask_b32_e64 v13, v18, v14, s5
	;; [unrolled: 1-line block ×3, first 2 shown]
	v_cmp_eq_u32_e64 s3, 4, v70
	v_cndmask_b32_e32 v1, v1, v10, vcc_lo
	v_cndmask_b32_e32 v2, v2, v14, vcc_lo
	v_cmp_eq_u32_e32 vcc_lo, 4, v72
	v_lshrrev_b32_e32 v15, 16, v7
	v_lshrrev_b32_e32 v16, 16, v8
	v_cndmask_b32_e64 v17, v19, v10, s4
	v_cmp_eq_u32_e64 s2, 4, v71
	v_cndmask_b32_e64 v5, v5, v3, s3
	v_cndmask_b32_e64 v6, v6, v7, s3
	v_cndmask_b32_e32 v9, v9, v3, vcc_lo
	v_cmp_eq_u32_e64 s3, 5, v72
	v_cndmask_b32_e32 v10, v13, v7, vcc_lo
	v_cmp_eq_u32_e32 vcc_lo, 4, v69
	v_cmp_eq_u32_e64 s4, 5, v70
	v_cndmask_b32_e64 v2, v2, v7, s2
	v_cndmask_b32_e64 v9, v9, v11, s3
	;; [unrolled: 1-line block ×3, first 2 shown]
	v_cndmask_b32_e32 v13, v17, v3, vcc_lo
	v_cmp_eq_u32_e64 s3, 5, v69
	v_cndmask_b32_e32 v14, v18, v7, vcc_lo
	v_cndmask_b32_e64 v1, v1, v3, s2
	v_cmp_eq_u32_e32 vcc_lo, 5, v71
	v_lshrrev_b32_e32 v12, 16, v4
	v_cndmask_b32_e64 v13, v13, v11, s3
	v_cndmask_b32_e64 v3, v14, v15, s3
	v_cmp_eq_u32_e64 s3, 6, v71
	v_cndmask_b32_e32 v1, v1, v11, vcc_lo
	v_cndmask_b32_e64 v5, v5, v11, s4
	v_cmp_eq_u32_e64 s5, 6, v70
	v_cndmask_b32_e64 v6, v6, v15, s4
	v_cmp_eq_u32_e64 s4, 6, v72
	v_cmp_eq_u32_e64 s2, 6, v69
	v_cndmask_b32_e64 v1, v1, v4, s3
	v_cndmask_b32_e32 v2, v2, v15, vcc_lo
	v_cmp_eq_u32_e32 vcc_lo, 7, v71
	v_cndmask_b32_e64 v5, v5, v4, s5
	v_cndmask_b32_e64 v9, v9, v4, s4
	;; [unrolled: 1-line block ×3, first 2 shown]
	v_cmp_eq_u32_e64 s5, 7, v70
	v_cndmask_b32_e32 v1, v1, v12, vcc_lo
	v_cndmask_b32_e64 v7, v13, v4, s2
	v_cndmask_b32_e64 v3, v3, v8, s2
	;; [unrolled: 1-line block ×3, first 2 shown]
	v_cmp_eq_u32_e64 s2, 7, v69
	v_cndmask_b32_e64 v4, v10, v8, s4
	v_cndmask_b32_e64 v5, v5, v12, s5
	;; [unrolled: 1-line block ×3, first 2 shown]
	v_cndmask_b32_e32 v2, v2, v16, vcc_lo
	v_cndmask_b32_e64 v7, v7, v12, s2
	v_cndmask_b32_e64 v3, v3, v16, s2
	;; [unrolled: 1-line block ×4, first 2 shown]
	v_perm_b32 v4, v2, v1, 0x5040100
	s_mov_b32 s2, exec_lo
	v_perm_b32 v3, v3, v7, 0x5040100
	v_perm_b32 v2, v8, v9, 0x5040100
	;; [unrolled: 1-line block ×3, first 2 shown]
	ds_store_b128 v74, v[1:4]
	s_waitcnt lgkmcnt(0)
	s_barrier
	buffer_gl0_inv
	v_cmpx_gt_u32_e32 32, v0
	s_cbranch_execz .LBB995_2
; %bb.15:
	s_load_b64 s[0:1], s[0:1], 0x68
	s_lshl_b32 s4, s34, 7
	v_or_b32_e32 v3, s31, v66
	s_mul_i32 s2, s4, s30
	v_lshlrev_b32_e32 v0, 10, v0
	s_mul_i32 s2, s2, s7
	v_lshlrev_b32_e32 v1, 4, v67
	s_ashr_i32 s3, s2, 31
	v_mul_lo_u32 v12, v3, s4
	s_lshl_b64 s[2:3], s[2:3], 1
	v_lshlrev_b32_e32 v2, 6, v66
	v_and_b32_e32 v0, 0x3800, v0
	s_delay_alu instid0(VALU_DEP_1) | instskip(NEXT) | instid1(VALU_DEP_4)
	v_or3_b32 v8, v0, v1, v2
	v_ashrrev_i32_e32 v13, 31, v12
	ds_load_b128 v[0:3], v8
	ds_load_b128 v[4:7], v8 offset:128
	ds_load_b128 v[8:11], v8 offset:256
	s_waitcnt lgkmcnt(0)
	s_add_u32 s2, s0, s2
	s_addc_u32 s3, s1, s3
	s_lshl_b32 s0, s14, 7
	s_delay_alu instid0(SALU_CYCLE_1) | instskip(NEXT) | instid1(SALU_CYCLE_1)
	s_ashr_i32 s1, s0, 31
	s_lshl_b64 s[0:1], s[0:1], 1
	s_delay_alu instid0(SALU_CYCLE_1)
	s_add_u32 s0, s2, s0
	s_addc_u32 s1, s3, s1
	s_lshl_b32 s2, s34, 8
	v_add_co_u32 v18, s0, s0, v65
	v_add_nc_u32_e32 v14, s2, v12
	v_lshlrev_b64 v[12:13], 1, v[12:13]
	v_add_co_ci_u32_e64 v19, null, s1, 0, s0
	s_delay_alu instid0(VALU_DEP_3) | instskip(SKIP_1) | instid1(VALU_DEP_4)
	v_add_nc_u32_e32 v16, s2, v14
	v_ashrrev_i32_e32 v15, 31, v14
	v_add_co_u32 v12, vcc_lo, v18, v12
	s_delay_alu instid0(VALU_DEP_4) | instskip(NEXT) | instid1(VALU_DEP_4)
	v_add_co_ci_u32_e32 v13, vcc_lo, v19, v13, vcc_lo
	v_ashrrev_i32_e32 v17, 31, v16
	s_delay_alu instid0(VALU_DEP_4) | instskip(NEXT) | instid1(VALU_DEP_2)
	v_lshlrev_b64 v[14:15], 1, v[14:15]
	v_lshlrev_b64 v[16:17], 1, v[16:17]
	s_delay_alu instid0(VALU_DEP_2) | instskip(NEXT) | instid1(VALU_DEP_3)
	v_add_co_u32 v14, vcc_lo, v18, v14
	v_add_co_ci_u32_e32 v15, vcc_lo, v19, v15, vcc_lo
	s_delay_alu instid0(VALU_DEP_3) | instskip(NEXT) | instid1(VALU_DEP_4)
	v_add_co_u32 v16, vcc_lo, v18, v16
	v_add_co_ci_u32_e32 v17, vcc_lo, v19, v17, vcc_lo
	s_clause 0x2
	global_store_b128 v[12:13], v[0:3], off
	global_store_b128 v[14:15], v[4:7], off
	;; [unrolled: 1-line block ×3, first 2 shown]
	s_nop 0
	s_sendmsg sendmsg(MSG_DEALLOC_VGPRS)
	s_endpgm
	.section	.rodata,"a",@progbits
	.p2align	6, 0x0
	.amdhsa_kernel _Z39paged_attention_ll4mi_QKV_mfma16_kernelIDF16_hLN4vllm18Fp8KVCacheDataTypeE1EDF16_Li16ELi128ELi256ELb0ELi6EL8MFMAType1EEvPKT_PKT0_S8_ifPKiSA_SA_iPKfiiiPfSD_PS3_PT2_iSC_SC_
		.amdhsa_group_segment_fixed_size 17472
		.amdhsa_private_segment_fixed_size 0
		.amdhsa_kernarg_size 400
		.amdhsa_user_sgpr_count 13
		.amdhsa_user_sgpr_dispatch_ptr 0
		.amdhsa_user_sgpr_queue_ptr 0
		.amdhsa_user_sgpr_kernarg_segment_ptr 1
		.amdhsa_user_sgpr_dispatch_id 0
		.amdhsa_user_sgpr_private_segment_size 0
		.amdhsa_wavefront_size32 1
		.amdhsa_uses_dynamic_stack 0
		.amdhsa_enable_private_segment 0
		.amdhsa_system_sgpr_workgroup_id_x 1
		.amdhsa_system_sgpr_workgroup_id_y 1
		.amdhsa_system_sgpr_workgroup_id_z 1
		.amdhsa_system_sgpr_workgroup_info 0
		.amdhsa_system_vgpr_workitem_id 0
		.amdhsa_next_free_vgpr 150
		.amdhsa_next_free_sgpr 36
		.amdhsa_reserve_vcc 1
		.amdhsa_float_round_mode_32 0
		.amdhsa_float_round_mode_16_64 0
		.amdhsa_float_denorm_mode_32 3
		.amdhsa_float_denorm_mode_16_64 3
		.amdhsa_dx10_clamp 1
		.amdhsa_ieee_mode 1
		.amdhsa_fp16_overflow 0
		.amdhsa_workgroup_processor_mode 1
		.amdhsa_memory_ordered 1
		.amdhsa_forward_progress 0
		.amdhsa_shared_vgpr_count 0
		.amdhsa_exception_fp_ieee_invalid_op 0
		.amdhsa_exception_fp_denorm_src 0
		.amdhsa_exception_fp_ieee_div_zero 0
		.amdhsa_exception_fp_ieee_overflow 0
		.amdhsa_exception_fp_ieee_underflow 0
		.amdhsa_exception_fp_ieee_inexact 0
		.amdhsa_exception_int_div_zero 0
	.end_amdhsa_kernel
	.section	.text._Z39paged_attention_ll4mi_QKV_mfma16_kernelIDF16_hLN4vllm18Fp8KVCacheDataTypeE1EDF16_Li16ELi128ELi256ELb0ELi6EL8MFMAType1EEvPKT_PKT0_S8_ifPKiSA_SA_iPKfiiiPfSD_PS3_PT2_iSC_SC_,"axG",@progbits,_Z39paged_attention_ll4mi_QKV_mfma16_kernelIDF16_hLN4vllm18Fp8KVCacheDataTypeE1EDF16_Li16ELi128ELi256ELb0ELi6EL8MFMAType1EEvPKT_PKT0_S8_ifPKiSA_SA_iPKfiiiPfSD_PS3_PT2_iSC_SC_,comdat
.Lfunc_end995:
	.size	_Z39paged_attention_ll4mi_QKV_mfma16_kernelIDF16_hLN4vllm18Fp8KVCacheDataTypeE1EDF16_Li16ELi128ELi256ELb0ELi6EL8MFMAType1EEvPKT_PKT0_S8_ifPKiSA_SA_iPKfiiiPfSD_PS3_PT2_iSC_SC_, .Lfunc_end995-_Z39paged_attention_ll4mi_QKV_mfma16_kernelIDF16_hLN4vllm18Fp8KVCacheDataTypeE1EDF16_Li16ELi128ELi256ELb0ELi6EL8MFMAType1EEvPKT_PKT0_S8_ifPKiSA_SA_iPKfiiiPfSD_PS3_PT2_iSC_SC_
                                        ; -- End function
	.section	.AMDGPU.csdata,"",@progbits
; Kernel info:
; codeLenInByte = 6620
; NumSgprs: 38
; NumVgprs: 150
; ScratchSize: 0
; MemoryBound: 0
; FloatMode: 240
; IeeeMode: 1
; LDSByteSize: 17472 bytes/workgroup (compile time only)
; SGPRBlocks: 4
; VGPRBlocks: 18
; NumSGPRsForWavesPerEU: 38
; NumVGPRsForWavesPerEU: 150
; Occupancy: 9
; WaveLimiterHint : 1
; COMPUTE_PGM_RSRC2:SCRATCH_EN: 0
; COMPUTE_PGM_RSRC2:USER_SGPR: 13
; COMPUTE_PGM_RSRC2:TRAP_HANDLER: 0
; COMPUTE_PGM_RSRC2:TGID_X_EN: 1
; COMPUTE_PGM_RSRC2:TGID_Y_EN: 1
; COMPUTE_PGM_RSRC2:TGID_Z_EN: 1
; COMPUTE_PGM_RSRC2:TIDIG_COMP_CNT: 0
	.section	.text._Z39paged_attention_ll4mi_QKV_mfma16_kernelIDF16_hLN4vllm18Fp8KVCacheDataTypeE1EDF16_Li16ELi128ELi256ELb0ELi7EL8MFMAType1EEvPKT_PKT0_S8_ifPKiSA_SA_iPKfiiiPfSD_PS3_PT2_iSC_SC_,"axG",@progbits,_Z39paged_attention_ll4mi_QKV_mfma16_kernelIDF16_hLN4vllm18Fp8KVCacheDataTypeE1EDF16_Li16ELi128ELi256ELb0ELi7EL8MFMAType1EEvPKT_PKT0_S8_ifPKiSA_SA_iPKfiiiPfSD_PS3_PT2_iSC_SC_,comdat
	.protected	_Z39paged_attention_ll4mi_QKV_mfma16_kernelIDF16_hLN4vllm18Fp8KVCacheDataTypeE1EDF16_Li16ELi128ELi256ELb0ELi7EL8MFMAType1EEvPKT_PKT0_S8_ifPKiSA_SA_iPKfiiiPfSD_PS3_PT2_iSC_SC_ ; -- Begin function _Z39paged_attention_ll4mi_QKV_mfma16_kernelIDF16_hLN4vllm18Fp8KVCacheDataTypeE1EDF16_Li16ELi128ELi256ELb0ELi7EL8MFMAType1EEvPKT_PKT0_S8_ifPKiSA_SA_iPKfiiiPfSD_PS3_PT2_iSC_SC_
	.globl	_Z39paged_attention_ll4mi_QKV_mfma16_kernelIDF16_hLN4vllm18Fp8KVCacheDataTypeE1EDF16_Li16ELi128ELi256ELb0ELi7EL8MFMAType1EEvPKT_PKT0_S8_ifPKiSA_SA_iPKfiiiPfSD_PS3_PT2_iSC_SC_
	.p2align	8
	.type	_Z39paged_attention_ll4mi_QKV_mfma16_kernelIDF16_hLN4vllm18Fp8KVCacheDataTypeE1EDF16_Li16ELi128ELi256ELb0ELi7EL8MFMAType1EEvPKT_PKT0_S8_ifPKiSA_SA_iPKfiiiPfSD_PS3_PT2_iSC_SC_,@function
_Z39paged_attention_ll4mi_QKV_mfma16_kernelIDF16_hLN4vllm18Fp8KVCacheDataTypeE1EDF16_Li16ELi128ELi256ELb0ELi7EL8MFMAType1EEvPKT_PKT0_S8_ifPKiSA_SA_iPKfiiiPfSD_PS3_PT2_iSC_SC_: ; @_Z39paged_attention_ll4mi_QKV_mfma16_kernelIDF16_hLN4vllm18Fp8KVCacheDataTypeE1EDF16_Li16ELi128ELi256ELb0ELi7EL8MFMAType1EEvPKT_PKT0_S8_ifPKiSA_SA_iPKfiiiPfSD_PS3_PT2_iSC_SC_
; %bb.0:
	s_load_b64 s[4:5], s[0:1], 0x30
	s_mov_b32 s34, s13
	s_waitcnt lgkmcnt(0)
	s_cmp_lg_u64 s[4:5], 0
	s_cselect_b32 s8, -1, 0
	s_ashr_i32 s35, s13, 31
	s_cmp_eq_u64 s[4:5], 0
	s_cbranch_scc1 .LBB996_3
; %bb.1:
	s_lshl_b64 s[2:3], s[34:35], 2
	s_delay_alu instid0(SALU_CYCLE_1) | instskip(SKIP_4) | instid1(SALU_CYCLE_1)
	s_add_u32 s2, s4, s2
	s_addc_u32 s3, s5, s3
	s_load_b64 s[2:3], s[2:3], 0x0
	s_waitcnt lgkmcnt(0)
	s_sub_i32 s2, s3, s2
	s_cmp_eq_u32 s2, 1
	s_cselect_b32 s2, -1, 0
	s_delay_alu instid0(SALU_CYCLE_1)
	s_and_not1_b32 vcc_lo, exec_lo, s2
	s_cbranch_vccz .LBB996_4
.LBB996_2:
	s_nop 0
	s_sendmsg sendmsg(MSG_DEALLOC_VGPRS)
	s_endpgm
.LBB996_3:
.LBB996_4:
	s_load_b64 s[2:3], s[0:1], 0x28
	s_lshl_b64 s[6:7], s[34:35], 2
	s_waitcnt lgkmcnt(0)
	s_add_u32 s2, s2, s6
	s_addc_u32 s3, s3, s7
	s_lshl_b32 s12, s14, 8
	s_load_b32 s24, s[2:3], 0x0
	s_waitcnt lgkmcnt(0)
	s_cmp_ge_i32 s12, s24
	s_cbranch_scc1 .LBB996_2
; %bb.5:
	s_clause 0x1
	s_load_b128 s[20:23], s[0:1], 0x8
	s_load_b64 s[2:3], s[0:1], 0x20
	s_and_not1_b32 vcc_lo, exec_lo, s8
	s_cbranch_vccnz .LBB996_7
; %bb.6:
	s_add_u32 s4, s4, s6
	s_addc_u32 s5, s5, s7
	s_load_b32 s5, s[4:5], 0x0
	s_branch .LBB996_8
.LBB996_7:
	s_mov_b32 s5, s34
.LBB996_8:
	s_load_b128 s[16:19], s[0:1], 0x48
	v_and_b32_e32 v68, 15, v0
	v_lshrrev_b32_e32 v69, 5, v0
	v_bfe_u32 v66, v0, 4, 1
	v_and_b32_e32 v70, 31, v0
	v_and_b32_e32 v67, 1, v0
	v_lshlrev_b32_e32 v2, 3, v68
	s_mul_i32 s31, s15, 7
	v_lshl_or_b32 v1, v69, 1, v66
	s_mov_b32 s4, exec_lo
	s_delay_alu instid0(VALU_DEP_2) | instskip(NEXT) | instid1(VALU_DEP_2)
	v_lshlrev_b32_e32 v65, 1, v2
	v_cmpx_gt_u32_e32 7, v1
	s_cbranch_execz .LBB996_10
; %bb.9:
	s_load_b64 s[6:7], s[0:1], 0x0
	v_add_lshl_u32 v2, v1, s31, 7
	s_waitcnt lgkmcnt(0)
	s_mul_hi_i32 s9, s5, s16
	s_mul_i32 s8, s5, s16
	v_lshlrev_b32_e32 v6, 10, v68
	s_lshl_b64 s[8:9], s[8:9], 1
	v_ashrrev_i32_e32 v3, 31, v2
	v_lshlrev_b32_e32 v1, 6, v1
	v_lshlrev_b32_e32 v7, 10, v67
	v_and_b32_e32 v6, 0x3800, v6
	s_delay_alu instid0(VALU_DEP_4) | instskip(NEXT) | instid1(VALU_DEP_2)
	v_lshlrev_b64 v[2:3], 1, v[2:3]
	v_or3_b32 v1, v6, v7, v1
	s_add_u32 s5, s6, s8
	s_addc_u32 s6, s7, s9
	s_delay_alu instid0(VALU_DEP_2) | instskip(NEXT) | instid1(VALU_DEP_3)
	v_add_co_u32 v2, vcc_lo, s5, v2
	v_add_co_ci_u32_e32 v3, vcc_lo, s6, v3, vcc_lo
	s_delay_alu instid0(VALU_DEP_2) | instskip(NEXT) | instid1(VALU_DEP_2)
	v_add_co_u32 v2, vcc_lo, v2, v65
	v_add_co_ci_u32_e32 v3, vcc_lo, 0, v3, vcc_lo
	global_load_b128 v[2:5], v[2:3], off
	s_waitcnt vmcnt(0)
	ds_store_b128 v1, v[2:5]
.LBB996_10:
	s_or_b32 exec_lo, exec_lo, s4
	v_and_b32_e32 v1, 0xef, v0
	s_waitcnt lgkmcnt(0)
	s_add_i32 s5, s24, 15
	s_clause 0x1
	s_load_b32 s4, s[0:1], 0x38
	s_load_b32 s33, s[0:1], 0x98
	s_ashr_i32 s6, s5, 31
	v_add_nc_u32_e32 v1, s12, v1
	s_lshr_b32 s6, s6, 28
	s_load_b32 s19, s[0:1], 0x1c
	s_add_i32 s5, s5, s6
	s_waitcnt lgkmcnt(0)
	v_ashrrev_i32_e32 v2, 31, v1
	v_or_b32_e32 v3, 16, v1
	s_ashr_i32 s13, s5, 4
	v_cmp_gt_i32_e32 vcc_lo, s24, v1
	s_add_i32 s13, s13, -1
	v_lshrrev_b32_e32 v2, 28, v2
	s_barrier
	buffer_gl0_inv
	s_mul_i32 s15, s15, s18
	v_add_nc_u32_e32 v4, v1, v2
	s_mul_i32 s4, s34, s4
	s_delay_alu instid0(SALU_CYCLE_1) | instskip(NEXT) | instid1(VALU_DEP_1)
	s_ashr_i32 s5, s4, 31
	v_ashrrev_i32_e32 v4, 4, v4
	v_add_nc_u32_e32 v2, v3, v2
	s_lshl_b64 s[4:5], s[4:5], 2
	s_delay_alu instid0(SALU_CYCLE_1) | instskip(NEXT) | instid1(VALU_DEP_2)
	s_add_u32 s16, s2, s4
	v_cndmask_b32_e32 v1, s13, v4, vcc_lo
	s_delay_alu instid0(VALU_DEP_2)
	v_ashrrev_i32_e32 v2, 4, v2
	v_cmp_gt_i32_e32 vcc_lo, s24, v3
	s_addc_u32 s25, s3, s5
	s_ashr_i32 s18, s15, 31
	s_add_u32 s26, s20, s15
	s_addc_u32 s27, s21, s18
	v_cndmask_b32_e32 v3, s13, v2, vcc_lo
	v_ashrrev_i32_e32 v2, 31, v1
	s_lshl_b32 s2, s14, 4
	s_delay_alu instid0(SALU_CYCLE_1) | instskip(NEXT) | instid1(VALU_DEP_2)
	s_ashr_i32 s3, s2, 31
	v_ashrrev_i32_e32 v4, 31, v3
	s_delay_alu instid0(VALU_DEP_2) | instskip(SKIP_1) | instid1(SALU_CYCLE_1)
	v_lshlrev_b64 v[1:2], 2, v[1:2]
	s_lshl_b64 s[2:3], s[2:3], 2
	s_add_u32 s2, s16, s2
	s_delay_alu instid0(VALU_DEP_2) | instskip(SKIP_1) | instid1(VALU_DEP_2)
	v_lshlrev_b64 v[3:4], 2, v[3:4]
	s_addc_u32 s3, s25, s3
	v_add_co_u32 v1, vcc_lo, s16, v1
	v_add_co_ci_u32_e32 v2, vcc_lo, s25, v2, vcc_lo
	s_delay_alu instid0(VALU_DEP_3) | instskip(NEXT) | instid1(VALU_DEP_4)
	v_add_co_u32 v3, vcc_lo, s16, v3
	v_add_co_ci_u32_e32 v4, vcc_lo, s25, v4, vcc_lo
	s_clause 0x1
	global_load_b32 v5, v[1:2], off
	global_load_b32 v7, v[3:4], off
	s_or_b32 s4, s12, 32
	v_lshlrev_b32_e32 v1, 4, v0
	s_ashr_i32 s5, s4, 4
	s_cmp_lt_i32 s4, s24
	s_cselect_b32 s4, s5, s13
	s_delay_alu instid0(VALU_DEP_1) | instskip(SKIP_1) | instid1(SALU_CYCLE_1)
	v_and_b32_e32 v1, 0xf0, v1
	s_ashr_i32 s5, s4, 31
	s_lshl_b64 s[4:5], s[4:5], 2
	s_delay_alu instid0(SALU_CYCLE_1)
	s_add_u32 s4, s16, s4
	s_addc_u32 s5, s25, s5
	s_or_b32 s6, s12, 64
	v_add_co_u32 v1, s26, s26, v1
	s_ashr_i32 s7, s6, 4
	s_cmp_lt_i32 s6, s24
	v_add_co_ci_u32_e64 v2, null, s27, 0, s26
	s_cselect_b32 s6, s7, s13
	s_delay_alu instid0(SALU_CYCLE_1) | instskip(NEXT) | instid1(SALU_CYCLE_1)
	s_ashr_i32 s7, s6, 31
	s_lshl_b64 s[6:7], s[6:7], 2
	s_delay_alu instid0(SALU_CYCLE_1) | instskip(SKIP_2) | instid1(SALU_CYCLE_1)
	s_add_u32 s6, s16, s6
	s_addc_u32 s7, s25, s7
	s_or_b32 s8, s12, 0x60
	s_ashr_i32 s9, s8, 4
	s_cmp_lt_i32 s8, s24
	s_cselect_b32 s8, s9, s13
	s_delay_alu instid0(SALU_CYCLE_1) | instskip(NEXT) | instid1(SALU_CYCLE_1)
	s_ashr_i32 s9, s8, 31
	s_lshl_b64 s[8:9], s[8:9], 2
	s_delay_alu instid0(SALU_CYCLE_1) | instskip(SKIP_2) | instid1(SALU_CYCLE_1)
	s_add_u32 s8, s16, s8
	s_addc_u32 s9, s25, s9
	s_or_b32 s10, s12, 0x80
	s_ashr_i32 s11, s10, 4
	s_cmp_lt_i32 s10, s24
	;; [unrolled: 10-line block ×3, first 2 shown]
	s_cselect_b32 s20, s21, s13
	s_delay_alu instid0(SALU_CYCLE_1) | instskip(NEXT) | instid1(SALU_CYCLE_1)
	s_ashr_i32 s21, s20, 31
	s_lshl_b64 s[20:21], s[20:21], 2
	s_delay_alu instid0(SALU_CYCLE_1)
	s_add_u32 s20, s16, s20
	s_addc_u32 s21, s25, s21
	s_clause 0x5
	s_load_b32 s26, s[2:3], 0x0
	s_load_b32 s27, s[4:5], 0x0
	;; [unrolled: 1-line block ×6, first 2 shown]
	s_or_b32 s2, s12, 0xc0
	s_mov_b32 s4, 0
	s_ashr_i32 s3, s2, 4
	s_cmp_lt_i32 s2, s24
	s_mov_b32 s11, s4
	s_cselect_b32 s2, s3, s13
	s_mov_b32 s5, s4
	s_ashr_i32 s3, s2, 31
	s_mov_b32 s6, s4
	s_lshl_b64 s[2:3], s[2:3], 2
	s_mov_b32 s7, s4
	s_add_u32 s2, s16, s2
	s_addc_u32 s3, s25, s3
	s_or_b32 s20, s12, 0xe0
	s_mov_b32 s8, s4
	s_ashr_i32 s21, s20, 4
	s_cmp_lt_i32 s20, s24
	s_mov_b32 s9, s4
	s_cselect_b32 s20, s21, s13
	s_mov_b32 s10, s4
	s_ashr_i32 s21, s20, 31
	v_mov_b32_e32 v118, s11
	v_dual_mov_b32 v112, s5 :: v_dual_mov_b32 v117, s10
	v_dual_mov_b32 v116, s9 :: v_dual_mov_b32 v115, s8
	;; [unrolled: 1-line block ×3, first 2 shown]
	v_mov_b32_e32 v111, s4
	s_lshl_b64 s[4:5], s[20:21], 2
	s_delay_alu instid0(SALU_CYCLE_1)
	s_add_u32 s4, s16, s4
	s_addc_u32 s5, s25, s5
	s_add_u32 s6, s22, s15
	s_addc_u32 s7, s23, s18
	s_waitcnt vmcnt(1)
	v_mad_i64_i32 v[3:4], null, v5, s17, v[1:2]
	s_waitcnt vmcnt(0)
	v_mad_i64_i32 v[5:6], null, v7, s17, v[1:2]
	v_mul_lo_u16 v1, v68, 37
	v_lshlrev_b32_e32 v2, 4, v68
	s_clause 0xf
	global_load_b128 v[17:20], v[3:4], off
	global_load_b128 v[21:24], v[3:4], off offset:256
	global_load_b128 v[25:28], v[5:6], off
	global_load_b128 v[29:32], v[5:6], off offset:256
	global_load_b128 v[57:60], v[3:4], off offset:512
	;; [unrolled: 1-line block ×13, first 2 shown]
	v_lshrrev_b16 v1, 8, v1
	s_delay_alu instid0(VALU_DEP_1) | instskip(NEXT) | instid1(VALU_DEP_1)
	v_mul_lo_u16 v1, v1, 7
	v_sub_nc_u16 v1, v68, v1
	s_delay_alu instid0(VALU_DEP_1) | instskip(NEXT) | instid1(VALU_DEP_1)
	v_and_b32_e32 v1, 0xff, v1
	v_lshlrev_b32_e32 v149, 6, v1
	v_lshl_or_b32 v1, v69, 8, v2
	ds_load_b128 v[119:122], v149
	ds_load_b128 v[123:126], v149 offset:1024
	ds_load_b128 v[127:130], v149 offset:2048
	;; [unrolled: 1-line block ×3, first 2 shown]
	s_clause 0x1
	s_load_b32 s2, s[2:3], 0x0
	s_load_b32 s3, s[4:5], 0x0
	v_add_co_u32 v135, s6, s6, v1
	s_delay_alu instid0(VALU_DEP_1) | instskip(SKIP_1) | instid1(VALU_DEP_1)
	v_add_co_ci_u32_e64 v136, null, s7, 0, s6
	s_waitcnt lgkmcnt(0)
	v_mad_i64_i32 v[1:2], null, s26, s17, v[135:136]
	v_mad_i64_i32 v[3:4], null, s27, s17, v[135:136]
	;; [unrolled: 1-line block ×6, first 2 shown]
	s_clause 0x9
	global_load_b128 v[49:52], v[1:2], off
	global_load_b128 v[53:56], v[1:2], off offset:16
	global_load_b128 v[41:44], v[3:4], off
	global_load_b128 v[45:48], v[3:4], off offset:16
	;; [unrolled: 2-line block ×5, first 2 shown]
	v_mad_i64_i32 v[145:146], null, s2, s17, v[135:136]
	v_mad_i64_i32 v[147:148], null, s3, s17, v[135:136]
	s_waitcnt vmcnt(24)
	v_wmma_f32_16x16x16_f16 v[135:142], v[17:24], v[119:126], v[111:118]
	s_waitcnt vmcnt(22)
	v_wmma_f32_16x16x16_f16 v[111:118], v[25:32], v[119:126], v[111:118]
	s_clause 0x3
	global_load_b128 v[17:20], v[143:144], off
	global_load_b128 v[21:24], v[143:144], off offset:16
	global_load_b128 v[25:28], v[145:146], off
	global_load_b128 v[29:32], v[145:146], off offset:16
	v_and_b32_e32 v119, 0xe0, v0
	s_waitcnt vmcnt(24)
	v_wmma_f32_16x16x16_f16 v[135:142], v[57:64], v[127:134], v[135:142]
	s_clause 0x1
	global_load_b128 v[57:60], v[147:148], off
	global_load_b128 v[61:64], v[147:148], off offset:16
	s_waitcnt vmcnt(24)
	v_wmma_f32_16x16x16_f16 v[111:118], v[71:78], v[127:134], v[111:118]
	ds_load_b128 v[71:74], v149 offset:4096
	ds_load_b128 v[75:78], v149 offset:5120
	v_add_nc_u32_e32 v128, s12, v119
	ds_load_b128 v[119:122], v149 offset:6144
	ds_load_b128 v[123:126], v149 offset:7168
	v_mbcnt_lo_u32_b32 v127, -1, 0
	s_waitcnt vmcnt(0) lgkmcnt(0)
	s_barrier
	v_or_b32_e32 v128, v128, v66
	buffer_gl0_inv
	v_xor_b32_e32 v129, 16, v127
	v_or_b32_e32 v130, 4, v128
	v_or_b32_e32 v131, 6, v128
	s_delay_alu instid0(VALU_DEP_3) | instskip(SKIP_4) | instid1(VALU_DEP_4)
	v_cmp_gt_i32_e32 vcc_lo, 32, v129
	v_or_b32_e32 v132, 8, v128
	v_or_b32_e32 v133, 10, v128
	v_cmp_gt_i32_e64 s3, s24, v130
	v_cmp_gt_i32_e64 s4, s24, v131
	;; [unrolled: 1-line block ×3, first 2 shown]
	v_wmma_f32_16x16x16_f16 v[135:142], v[79:86], v[71:78], v[135:142]
	v_wmma_f32_16x16x16_f16 v[111:118], v[87:94], v[71:78], v[111:118]
	v_or_b32_e32 v79, 12, v128
	v_or_b32_e32 v80, 14, v128
	v_cmp_gt_i32_e64 s6, s24, v133
	v_wmma_f32_16x16x16_f16 v[135:142], v[95:102], v[119:126], v[135:142]
	v_wmma_f32_16x16x16_f16 v[111:118], v[103:110], v[119:126], v[111:118]
	v_cndmask_b32_e32 v127, v127, v129, vcc_lo
	v_or_b32_e32 v129, 2, v128
	v_cmp_gt_i32_e32 vcc_lo, s24, v128
	s_delay_alu instid0(VALU_DEP_4) | instskip(SKIP_1) | instid1(VALU_DEP_4)
	v_dual_mul_f32 v87, s19, v136 :: v_dual_mul_f32 v94, s19, v113
	v_mul_f32_e32 v88, s19, v135
	v_cmp_gt_i32_e64 s2, s24, v129
	v_mul_f32_e32 v78, s19, v138
	v_mul_f32_e32 v86, s19, v137
	;; [unrolled: 1-line block ×3, first 2 shown]
	v_cndmask_b32_e32 v88, 0xff7fffff, v88, vcc_lo
	v_cndmask_b32_e64 v87, 0xff7fffff, v87, s2
	v_dual_mul_f32 v77, s19, v139 :: v_dual_mul_f32 v90, s19, v117
	v_cndmask_b32_e64 v86, 0xff7fffff, v86, s3
	v_cndmask_b32_e64 v78, 0xff7fffff, v78, s4
	s_delay_alu instid0(VALU_DEP_4)
	v_max3_f32 v87, v88, 0xff7fffff, v87
	v_or_b32_e32 v81, 16, v128
	v_or_b32_e32 v82, 18, v128
	v_dual_mul_f32 v74, s19, v142 :: v_dual_mul_f32 v75, s19, v141
	v_mul_f32_e32 v96, s19, v111
	v_cndmask_b32_e64 v77, 0xff7fffff, v77, s5
	v_cndmask_b32_e64 v76, 0xff7fffff, v76, s6
	v_max3_f32 v78, v87, v86, v78
	v_cmp_gt_i32_e64 s7, s24, v79
	v_cmp_gt_i32_e64 s8, s24, v80
	v_or_b32_e32 v83, 20, v128
	v_or_b32_e32 v84, 22, v128
	v_mul_f32_e32 v95, s19, v112
	v_cndmask_b32_e64 v75, 0xff7fffff, v75, s7
	v_cndmask_b32_e64 v74, 0xff7fffff, v74, s8
	v_max3_f32 v76, v78, v77, v76
	v_cmp_gt_i32_e64 s9, s24, v81
	v_cmp_gt_i32_e64 s10, s24, v82
	v_or_b32_e32 v85, 24, v128
	v_or_b32_e32 v71, 26, v128
	;; [unrolled: 8-line block ×3, first 2 shown]
	v_dual_mul_f32 v91, s19, v116 :: v_dual_mul_f32 v92, s19, v115
	v_cndmask_b32_e64 v75, 0xff7fffff, v94, s11
	v_cndmask_b32_e64 v76, 0xff7fffff, v93, s12
	v_max3_f32 v74, v74, v77, v78
	v_cmp_gt_i32_e64 s13, s24, v85
	v_cmp_gt_i32_e64 s15, s24, v71
	v_mul_f32_e32 v89, s19, v118
	v_cmp_gt_i32_e64 s16, s24, v72
	v_max3_f32 v74, v74, v75, v76
	v_cndmask_b32_e64 v77, 0xff7fffff, v92, s13
	v_cndmask_b32_e64 v71, 0xff7fffff, v91, s15
	v_cmp_gt_i32_e64 s17, s24, v73
	v_cndmask_b32_e64 v72, 0xff7fffff, v90, s16
	s_delay_alu instid0(VALU_DEP_3) | instskip(SKIP_1) | instid1(VALU_DEP_4)
	v_max3_f32 v71, v74, v77, v71
	v_lshlrev_b32_e32 v74, 2, v127
	v_cndmask_b32_e64 v73, 0xff7fffff, v89, s17
	s_delay_alu instid0(VALU_DEP_1) | instskip(SKIP_3) | instid1(VALU_DEP_1)
	v_max3_f32 v71, v71, v72, v73
	ds_bpermute_b32 v72, v74, v71
	s_waitcnt lgkmcnt(0)
	v_max_f32_e32 v72, v72, v72
	v_max_f32_e32 v71, v71, v72
	s_delay_alu instid0(VALU_DEP_1) | instskip(SKIP_4) | instid1(VALU_DEP_4)
	v_fma_f32 v72, s19, v135, -v71
	v_fma_f32 v73, s19, v136, -v71
	;; [unrolled: 1-line block ×5, first 2 shown]
	v_dual_mul_f32 v72, 0x3fb8aa3b, v72 :: v_dual_mul_f32 v73, 0x3fb8aa3b, v73
	s_delay_alu instid0(VALU_DEP_3) | instskip(SKIP_1) | instid1(VALU_DEP_3)
	v_dual_mul_f32 v75, 0x3fb8aa3b, v75 :: v_dual_mul_f32 v76, 0x3fb8aa3b, v76
	v_fma_f32 v80, s19, v141, -v71
	v_exp_f32_e32 v72, v72
	s_delay_alu instid0(VALU_DEP_3) | instskip(NEXT) | instid1(VALU_DEP_2)
	v_exp_f32_e32 v73, v73
	v_exp_f32_e32 v75, v75
	;; [unrolled: 1-line block ×3, first 2 shown]
	v_mul_f32_e32 v82, 0x3fb8aa3b, v80
	s_delay_alu instid0(VALU_DEP_1) | instskip(SKIP_4) | instid1(TRANS32_DEP_3)
	v_exp_f32_e32 v84, v82
	v_cndmask_b32_e32 v79, 0, v72, vcc_lo
	v_fma_f32 v72, s19, v140, -v71
	v_mul_f32_e32 v77, 0x3fb8aa3b, v77
	v_cndmask_b32_e64 v78, 0, v73, s2
	v_cndmask_b32_e64 v81, 0, v75, s3
	s_delay_alu instid0(VALU_DEP_4) | instskip(NEXT) | instid1(VALU_DEP_4)
	v_dual_add_f32 v73, 0, v79 :: v_dual_mul_f32 v72, 0x3fb8aa3b, v72
	v_exp_f32_e32 v77, v77
	v_cndmask_b32_e64 v80, 0, v76, s4
	s_delay_alu instid0(TRANS32_DEP_2) | instskip(NEXT) | instid1(VALU_DEP_3)
	v_cndmask_b32_e64 v85, 0, v84, s7
	v_add_f32_e32 v73, v73, v78
	v_exp_f32_e32 v72, v72
	v_cmp_gt_u32_e64 s2, 16, v70
	s_delay_alu instid0(VALU_DEP_2) | instskip(NEXT) | instid1(TRANS32_DEP_2)
	v_add_f32_e32 v73, v73, v81
	v_cndmask_b32_e64 v83, 0, v77, s5
	s_delay_alu instid0(VALU_DEP_2) | instskip(SKIP_3) | instid1(VALU_DEP_1)
	v_add_f32_e32 v73, v73, v80
	s_waitcnt_depctr 0xfff
	v_cndmask_b32_e64 v82, 0, v72, s6
	v_add_f32_e32 v72, v73, v83
	v_add_f32_e32 v72, v72, v82
	s_delay_alu instid0(VALU_DEP_1)
	v_add_f32_e32 v72, v72, v85
	v_fma_f32 v76, s19, v111, -v71
	v_fma_f32 v75, s19, v142, -v71
	;; [unrolled: 1-line block ×5, first 2 shown]
	s_delay_alu instid0(VALU_DEP_4) | instskip(NEXT) | instid1(VALU_DEP_3)
	v_dual_mul_f32 v76, 0x3fb8aa3b, v76 :: v_dual_mul_f32 v75, 0x3fb8aa3b, v75
	v_mul_f32_e32 v86, 0x3fb8aa3b, v86
	s_delay_alu instid0(VALU_DEP_2) | instskip(NEXT) | instid1(VALU_DEP_2)
	v_exp_f32_e32 v76, v76
	v_exp_f32_e32 v75, v75
	s_delay_alu instid0(VALU_DEP_1) | instskip(NEXT) | instid1(TRANS32_DEP_3)
	v_exp_f32_e32 v88, v86
	v_cndmask_b32_e64 v87, 0, v76, s9
	v_fma_f32 v76, s19, v116, -v71
	v_mul_f32_e32 v77, 0x3fb8aa3b, v77
	s_waitcnt_depctr 0xfff
	v_cndmask_b32_e64 v84, 0, v75, s8
	v_fma_f32 v75, s19, v115, -v71
	v_cndmask_b32_e64 v88, 0, v88, s12
	v_mul_f32_e32 v76, 0x3fb8aa3b, v76
	v_exp_f32_e32 v77, v77
	v_add_f32_e32 v72, v72, v84
	s_delay_alu instid0(VALU_DEP_2) | instskip(NEXT) | instid1(VALU_DEP_1)
	v_exp_f32_e32 v76, v76
	v_add_f32_e32 v72, v72, v87
	s_waitcnt_depctr 0xfff
	v_cndmask_b32_e64 v86, 0, v77, s10
	v_mul_f32_e32 v73, 0x3fb8aa3b, v73
	v_fma_f32 v77, s19, v117, -v71
	v_cndmask_b32_e64 v90, 0, v76, s15
	s_delay_alu instid0(VALU_DEP_4) | instskip(NEXT) | instid1(VALU_DEP_4)
	v_add_f32_e32 v72, v72, v86
	v_exp_f32_e32 v73, v73
	s_waitcnt_depctr 0xfff
	v_cndmask_b32_e64 v89, 0, v73, s11
	s_delay_alu instid0(VALU_DEP_1) | instskip(NEXT) | instid1(VALU_DEP_1)
	v_dual_mul_f32 v75, 0x3fb8aa3b, v75 :: v_dual_add_f32 v72, v72, v89
	v_exp_f32_e32 v75, v75
	v_mul_f32_e32 v73, 0x3fb8aa3b, v77
	v_fma_f32 v77, s19, v118, -v71
	s_delay_alu instid0(VALU_DEP_3) | instskip(NEXT) | instid1(VALU_DEP_3)
	v_add_f32_e32 v72, v72, v88
	v_exp_f32_e32 v73, v73
	s_waitcnt_depctr 0xfff
	v_cndmask_b32_e64 v91, 0, v75, s13
	s_delay_alu instid0(VALU_DEP_1) | instskip(NEXT) | instid1(VALU_DEP_1)
	v_dual_mul_f32 v75, 0x3fb8aa3b, v77 :: v_dual_add_f32 v72, v72, v91
	v_exp_f32_e32 v75, v75
	v_cndmask_b32_e64 v93, 0, v73, s16
	s_delay_alu instid0(VALU_DEP_2) | instskip(NEXT) | instid1(VALU_DEP_1)
	v_add_f32_e32 v72, v72, v90
	v_add_f32_e32 v72, v72, v93
	s_waitcnt_depctr 0xfff
	v_cndmask_b32_e64 v92, 0, v75, s17
	s_delay_alu instid0(VALU_DEP_1)
	v_add_f32_e32 v72, v72, v92
	ds_bpermute_b32 v73, v74, v72
	s_and_saveexec_b32 s3, s2
	s_cbranch_execz .LBB996_12
; %bb.11:
	v_mul_u32_u24_e32 v70, 0x44, v69
	s_waitcnt lgkmcnt(0)
	v_add_f32_e32 v72, v72, v73
	s_delay_alu instid0(VALU_DEP_2) | instskip(NEXT) | instid1(VALU_DEP_1)
	v_lshl_add_u32 v70, v68, 2, v70
	v_add_nc_u32_e32 v70, 0x4000, v70
	ds_store_2addr_b32 v70, v71, v72 offset1:136
.LBB996_12:
	s_or_b32 exec_lo, exec_lo, s3
	v_lshlrev_b32_e32 v70, 2, v68
	s_load_b32 s35, s[0:1], 0x94
	s_waitcnt lgkmcnt(0)
	s_barrier
	buffer_gl0_inv
	v_add_nc_u32_e32 v98, 0x4000, v70
	v_cmp_eq_u32_e32 vcc_lo, 1, v69
	v_cmp_eq_u32_e64 s3, 2, v69
	v_cmp_eq_u32_e64 s4, 3, v69
	;; [unrolled: 1-line block ×3, first 2 shown]
	ds_load_2addr_b32 v[70:71], v98 offset1:17
	ds_load_2addr_b32 v[72:73], v98 offset0:34 offset1:51
	ds_load_2addr_b32 v[74:75], v98 offset0:68 offset1:85
	;; [unrolled: 1-line block ×3, first 2 shown]
	v_cmp_eq_u32_e64 s6, 5, v69
	v_cmp_eq_u32_e64 s7, 7, v69
	s_waitcnt lgkmcnt(3)
	v_max3_f32 v76, v70, 0xff7fffff, v71
	s_waitcnt lgkmcnt(2)
	s_delay_alu instid0(VALU_DEP_1) | instskip(SKIP_1) | instid1(VALU_DEP_1)
	v_max3_f32 v76, v76, v72, v73
	s_waitcnt lgkmcnt(1)
	v_max3_f32 v76, v76, v74, v75
	s_waitcnt lgkmcnt(0)
	s_delay_alu instid0(VALU_DEP_1) | instskip(NEXT) | instid1(VALU_DEP_1)
	v_max3_f32 v76, v76, v94, v95
	v_sub_f32_e32 v77, v71, v76
	ds_load_2addr_b32 v[96:97], v98 offset0:136 offset1:153
	v_sub_f32_e32 v74, v74, v76
	v_sub_f32_e32 v70, v70, v76
	;; [unrolled: 1-line block ×3, first 2 shown]
	v_dual_sub_f32 v72, v72, v76 :: v_dual_mul_f32 v77, 0x3fb8aa3b, v77
	s_delay_alu instid0(VALU_DEP_4) | instskip(NEXT) | instid1(VALU_DEP_4)
	v_mul_f32_e32 v103, 0x3fb8aa3b, v74
	v_mul_f32_e32 v99, 0x3fb8aa3b, v70
	ds_load_2addr_b32 v[70:71], v98 offset0:170 offset1:187
	v_dual_mul_f32 v101, 0x3fb8aa3b, v72 :: v_dual_mul_f32 v94, 0x3fb8aa3b, v94
	v_exp_f32_e32 v102, v77
	v_exp_f32_e32 v99, v99
	s_delay_alu instid0(VALU_DEP_1) | instskip(NEXT) | instid1(VALU_DEP_1)
	v_exp_f32_e32 v101, v101
	v_exp_f32_e32 v94, v94
	s_waitcnt lgkmcnt(1)
	s_delay_alu instid0(TRANS32_DEP_3)
	v_fma_f32 v77, v99, v96, 0
	v_sub_f32_e32 v100, v73, v76
	ds_load_2addr_b32 v[72:73], v98 offset0:204 offset1:221
	v_fmac_f32_e32 v77, v102, v97
	v_exp_f32_e32 v97, v103
	s_waitcnt lgkmcnt(1)
	s_delay_alu instid0(VALU_DEP_1)
	v_dual_fmac_f32 v77, v101, v70 :: v_dual_sub_f32 v96, v75, v76
	ds_load_2addr_b32 v[74:75], v98 offset0:238 offset1:255
	v_sub_f32_e32 v70, v95, v76
	s_waitcnt lgkmcnt(0)
	s_barrier
	v_mul_f32_e32 v96, 0x3fb8aa3b, v96
	buffer_gl0_inv
	v_exp_f32_e32 v95, v96
	v_mul_f32_e32 v100, 0x3fb8aa3b, v100
	s_delay_alu instid0(VALU_DEP_1) | instskip(SKIP_3) | instid1(VALU_DEP_2)
	v_exp_f32_e32 v100, v100
	s_waitcnt_depctr 0xfff
	v_dual_fmac_f32 v77, v100, v71 :: v_dual_mul_f32 v70, 0x3fb8aa3b, v70
	v_cndmask_b32_e32 v71, v99, v102, vcc_lo
	v_fmac_f32_e32 v77, v97, v72
	s_delay_alu instid0(VALU_DEP_3) | instskip(NEXT) | instid1(VALU_DEP_1)
	v_exp_f32_e32 v96, v70
	v_fmac_f32_e32 v77, v95, v73
	s_delay_alu instid0(VALU_DEP_1) | instskip(SKIP_2) | instid1(VALU_DEP_1)
	v_fmac_f32_e32 v77, v94, v74
	s_waitcnt_depctr 0xfff
	v_fmac_f32_e32 v77, v96, v75
	v_add_f32_e32 v74, 0x358637bd, v77
	s_delay_alu instid0(VALU_DEP_1) | instskip(SKIP_1) | instid1(VALU_DEP_2)
	v_div_scale_f32 v98, null, v74, v74, 1.0
	v_div_scale_f32 v99, vcc_lo, 1.0, v74, 1.0
	v_rcp_f32_e32 v103, v98
	s_waitcnt_depctr 0xfff
	v_fma_f32 v70, -v98, v103, 1.0
	s_delay_alu instid0(VALU_DEP_1) | instskip(SKIP_2) | instid1(VALU_DEP_2)
	v_fmac_f32_e32 v103, v70, v103
	v_cndmask_b32_e64 v70, v71, v101, s3
	v_cmp_eq_u32_e64 s3, 6, v69
	v_cndmask_b32_e64 v71, v70, v100, s4
	s_delay_alu instid0(VALU_DEP_4) | instskip(NEXT) | instid1(VALU_DEP_2)
	v_dual_mul_f32 v101, v99, v103 :: v_dual_lshlrev_b32 v70, 2, v66
	v_cndmask_b32_e64 v71, v71, v97, s5
	s_delay_alu instid0(VALU_DEP_2) | instskip(NEXT) | instid1(VALU_DEP_3)
	v_or_b32_e32 v72, 1, v70
	v_fma_f32 v100, -v98, v101, v99
	v_cmp_eq_u32_e64 s4, 1, v70
	v_cmp_eq_u32_e64 s5, 2, v70
	v_cndmask_b32_e64 v95, v71, v95, s6
	v_or_b32_e32 v71, 3, v70
	v_fmac_f32_e32 v101, v100, v103
	v_cmp_eq_u32_e64 s9, 1, v72
	v_cmp_eq_u32_e64 s12, 2, v72
	v_cndmask_b32_e64 v94, v95, v94, s3
	v_cmp_eq_u32_e64 s11, 1, v71
	v_fma_f32 v97, -v98, v101, v99
	v_cmp_eq_u32_e64 s16, 2, v71
	v_cmp_eq_u32_e64 s13, 3, v72
	v_cndmask_b32_e64 v94, v94, v96, s7
	v_cmp_eq_u32_e64 s18, 3, v71
	v_div_fmas_f32 v95, v97, v103, v101
	v_cmp_eq_u32_e32 vcc_lo, 3, v70
	v_cmp_eq_u32_e64 s3, 4, v70
	v_cmp_eq_u32_e64 s19, 4, v72
	;; [unrolled: 1-line block ×3, first 2 shown]
	v_div_fixup_f32 v95, v95, v74, 1.0
	v_lshlrev_b32_e32 v73, 6, v68
	v_cmp_eq_u32_e64 s6, 5, v70
	v_cmp_eq_u32_e64 s20, 5, v72
	;; [unrolled: 1-line block ×3, first 2 shown]
	v_mul_f32_e32 v102, v94, v95
	v_lshl_or_b32 v75, v69, 11, v73
	v_or_b32_e32 v69, 2, v70
	v_cmp_eq_u32_e64 s25, 6, v72
	v_cmp_eq_u32_e64 s27, 6, v71
	v_fma_mixlo_f16 v94, v102, v79, 0
	v_fma_mixlo_f16 v95, v102, v81, 0
	;; [unrolled: 1-line block ×8, first 2 shown]
	v_lshl_or_b32 v74, v66, 4, v75
	v_fma_mixhi_f16 v94, v102, v78, 0
	v_fma_mixhi_f16 v95, v102, v80, 0
	;; [unrolled: 1-line block ×8, first 2 shown]
	ds_store_b128 v74, v[94:97]
	ds_store_b128 v74, v[98:101] offset:1024
	s_waitcnt lgkmcnt(0)
	s_barrier
	buffer_gl0_inv
	ds_load_b128 v[78:81], v75
	ds_load_b128 v[82:85], v75 offset:16
	ds_load_b128 v[86:89], v75 offset:1024
	;; [unrolled: 1-line block ×3, first 2 shown]
	v_cmp_eq_u32_e64 s10, 1, v69
	v_cmp_eq_u32_e64 s15, 2, v69
	;; [unrolled: 1-line block ×11, first 2 shown]
	s_waitcnt lgkmcnt(3)
	v_lshrrev_b32_e32 v94, 16, v78
	s_waitcnt lgkmcnt(2)
	v_lshrrev_b32_e32 v98, 16, v82
	;; [unrolled: 2-line block ×4, first 2 shown]
	v_lshrrev_b32_e32 v95, 16, v79
	v_cndmask_b32_e64 v110, v78, v94, s4
	v_cndmask_b32_e64 v111, v82, v98, s4
	;; [unrolled: 1-line block ×8, first 2 shown]
	v_lshrrev_b32_e32 v99, 16, v83
	v_cndmask_b32_e64 v94, v86, v102, s4
	v_cndmask_b32_e64 v98, v90, v106, s4
	;; [unrolled: 1-line block ×15, first 2 shown]
	v_lshrrev_b32_e32 v103, 16, v87
	v_lshrrev_b32_e32 v107, 16, v91
	v_cndmask_b32_e64 v113, v115, v83, s15
	v_cndmask_b32_e64 v82, v94, v87, s5
	;; [unrolled: 1-line block ×7, first 2 shown]
	v_cndmask_b32_e32 v90, v102, v95, vcc_lo
	v_cndmask_b32_e32 v102, v106, v99, vcc_lo
	v_cndmask_b32_e64 v106, v110, v95, s13
	v_cndmask_b32_e64 v110, v111, v99, s13
	;; [unrolled: 1-line block ×4, first 2 shown]
	v_lshrrev_b32_e32 v96, 16, v80
	v_lshrrev_b32_e32 v100, 16, v84
	v_cndmask_b32_e64 v111, v112, v95, s17
	v_cndmask_b32_e64 v112, v113, v99, s17
	v_cndmask_b32_e32 v82, v82, v103, vcc_lo
	v_cndmask_b32_e32 v83, v83, v107, vcc_lo
	v_cndmask_b32_e64 v94, v94, v103, s13
	v_cndmask_b32_e64 v90, v90, v80, s3
	;; [unrolled: 1-line block ×7, first 2 shown]
	v_lshrrev_b32_e32 v104, 16, v88
	v_cndmask_b32_e64 v106, v111, v80, s21
	v_cndmask_b32_e64 v110, v112, v84, s21
	;; [unrolled: 1-line block ×11, first 2 shown]
	v_lshrrev_b32_e32 v97, 16, v81
	v_lshrrev_b32_e32 v101, 16, v85
	v_cndmask_b32_e64 v99, v106, v96, s23
	v_cndmask_b32_e64 v102, v110, v100, s23
	;; [unrolled: 1-line block ×7, first 2 shown]
	v_lshrrev_b32_e32 v105, 16, v89
	v_cndmask_b32_e64 v80, v80, v104, s6
	v_cndmask_b32_e64 v84, v84, v81, s7
	;; [unrolled: 1-line block ×16, first 2 shown]
	v_perm_b32 v81, v79, v78, 0x5040100
	v_perm_b32 v79, v95, v85, 0x5040100
	v_cndmask_b32_e64 v78, v119, v91, s15
	v_cndmask_b32_e64 v85, v117, v91, s12
	;; [unrolled: 1-line block ×3, first 2 shown]
	v_perm_b32 v80, v94, v90, 0x5040100
	v_cndmask_b32_e64 v90, v98, v103, s17
	v_cndmask_b32_e64 v86, v86, v103, s18
	;; [unrolled: 1-line block ×5, first 2 shown]
	v_lshrrev_b32_e32 v108, 16, v92
	v_cndmask_b32_e64 v90, v90, v88, s21
	v_cndmask_b32_e64 v86, v86, v88, s22
	;; [unrolled: 1-line block ×11, first 2 shown]
	v_lshrrev_b32_e32 v109, 16, v93
	v_cndmask_b32_e64 v82, v82, v93, s7
	v_cndmask_b32_e64 v88, v88, v89, s26
	;; [unrolled: 1-line block ×12, first 2 shown]
	v_perm_b32 v78, v84, v83, 0x5040100
	v_perm_b32 v85, v87, v86, 0x5040100
	;; [unrolled: 1-line block ×5, first 2 shown]
	s_mul_i32 s8, s33, 7
	s_mov_b32 s3, exec_lo
	ds_store_b128 v74, v[78:81]
	ds_store_b128 v74, v[82:85] offset:1024
	v_cmpx_gt_u32_e32 7, v0
	s_cbranch_execz .LBB996_14
; %bb.13:
	s_mul_i32 s4, s8, s34
	s_delay_alu instid0(SALU_CYCLE_1) | instskip(SKIP_1) | instid1(VALU_DEP_1)
	v_add3_u32 v68, s4, s31, v68
	s_load_b128 s[4:7], s[0:1], 0x58
	v_mad_u64_u32 v[78:79], null, v68, s35, s[14:15]
	s_delay_alu instid0(VALU_DEP_1) | instskip(NEXT) | instid1(VALU_DEP_1)
	v_ashrrev_i32_e32 v79, 31, v78
	v_lshlrev_b64 v[78:79], 2, v[78:79]
	s_waitcnt lgkmcnt(0)
	s_delay_alu instid0(VALU_DEP_1) | instskip(NEXT) | instid1(VALU_DEP_2)
	v_add_co_u32 v80, vcc_lo, s6, v78
	v_add_co_ci_u32_e32 v81, vcc_lo, s7, v79, vcc_lo
	v_add_co_u32 v78, vcc_lo, s4, v78
	v_add_co_ci_u32_e32 v79, vcc_lo, s5, v79, vcc_lo
	global_store_b32 v[80:81], v76, off
	global_store_b32 v[78:79], v77, off
.LBB996_14:
	s_or_b32 exec_lo, exec_lo, s3
	s_waitcnt lgkmcnt(0)
	s_waitcnt_vscnt null, 0x0
	s_barrier
	buffer_gl0_inv
	ds_load_b128 v[84:87], v73
	ds_load_b128 v[88:91], v73 offset:16
	ds_load_b128 v[96:99], v73 offset:2064
	;; [unrolled: 1-line block ×5, first 2 shown]
	v_cmp_eq_u32_e32 vcc_lo, 1, v70
	v_mov_b32_e32 v76, 0
	ds_load_b128 v[112:115], v73 offset:6160
	ds_load_b128 v[108:111], v73 offset:6144
	ds_load_b128 v[120:123], v73 offset:8208
	ds_load_b128 v[116:119], v73 offset:8192
	v_cmp_eq_u32_e64 s4, 1, v69
	v_cmp_eq_u32_e64 s3, 1, v72
	;; [unrolled: 1-line block ×3, first 2 shown]
	v_mov_b32_e32 v77, v76
	v_mov_b32_e32 v78, v76
	;; [unrolled: 1-line block ×7, first 2 shown]
	v_cmp_eq_u32_e64 s6, 3, v72
	v_cmp_eq_u32_e64 s7, 7, v72
	s_waitcnt lgkmcnt(8)
	s_delay_alu instid0(VALU_DEP_3)
	v_wmma_f32_16x16x16_f16 v[76:83], v[49:56], v[84:91], v[76:83]
	ds_load_b128 v[53:56], v73 offset:10256
	ds_load_b128 v[49:52], v73 offset:10240
	s_waitcnt lgkmcnt(8)
	v_wmma_f32_16x16x16_f16 v[76:83], v[41:48], v[92:99], v[76:83]
	ds_load_b128 v[45:48], v73 offset:12304
	ds_load_b128 v[41:44], v73 offset:12288
	s_waitcnt lgkmcnt(8)
	;; [unrolled: 4-line block ×3, first 2 shown]
	s_barrier
	buffer_gl0_inv
	v_wmma_f32_16x16x16_f16 v[76:83], v[1:8], v[108:115], v[76:83]
	s_delay_alu instid0(VALU_DEP_1) | instskip(NEXT) | instid1(VALU_DEP_1)
	v_wmma_f32_16x16x16_f16 v[76:83], v[9:16], v[116:123], v[76:83]
	v_wmma_f32_16x16x16_f16 v[76:83], v[17:24], v[49:56], v[76:83]
	s_delay_alu instid0(VALU_DEP_1) | instskip(NEXT) | instid1(VALU_DEP_1)
	v_wmma_f32_16x16x16_f16 v[76:83], v[25:32], v[41:48], v[76:83]
	v_wmma_f32_16x16x16_f16 v[76:83], v[57:64], v[33:40], v[76:83]
	s_delay_alu instid0(VALU_DEP_1) | instskip(NEXT) | instid1(VALU_DEP_2)
	v_cvt_f16_f32_e32 v1, v76
	v_cvt_f16_f32_e32 v2, v77
	s_delay_alu instid0(VALU_DEP_3) | instskip(NEXT) | instid1(VALU_DEP_4)
	v_cvt_f16_f32_e32 v3, v78
	v_cvt_f16_f32_e32 v4, v79
	;; [unrolled: 1-line block ×6, first 2 shown]
	v_pack_b32_f16 v1, v1, v2
	v_pack_b32_f16 v2, v3, v4
	;; [unrolled: 1-line block ×3, first 2 shown]
	s_delay_alu instid0(VALU_DEP_4)
	v_pack_b32_f16 v4, v7, v8
	ds_store_b128 v74, v[1:4]
	s_waitcnt lgkmcnt(0)
	s_barrier
	buffer_gl0_inv
	ds_load_b128 v[1:4], v75
	ds_load_b128 v[5:8], v75 offset:16
	s_waitcnt lgkmcnt(1)
	v_lshrrev_b32_e32 v9, 16, v1
	s_waitcnt lgkmcnt(0)
	v_lshrrev_b32_e32 v13, 16, v5
	v_lshrrev_b32_e32 v10, 16, v2
	;; [unrolled: 1-line block ×4, first 2 shown]
	v_cndmask_b32_e32 v17, v1, v9, vcc_lo
	v_cndmask_b32_e32 v18, v5, v13, vcc_lo
	v_cndmask_b32_e64 v21, v1, v9, s4
	v_cmp_eq_u32_e32 vcc_lo, 1, v71
	v_cndmask_b32_e64 v22, v5, v13, s4
	v_cmp_eq_u32_e64 s4, 2, v70
	v_cndmask_b32_e64 v19, v1, v9, s3
	v_cndmask_b32_e64 v20, v5, v13, s3
	v_cndmask_b32_e32 v1, v1, v9, vcc_lo
	v_cmp_eq_u32_e64 s3, 2, v71
	v_cndmask_b32_e32 v5, v5, v13, vcc_lo
	v_cndmask_b32_e64 v9, v17, v2, s4
	v_cmp_eq_u32_e32 vcc_lo, 3, v70
	v_cndmask_b32_e64 v13, v18, v6, s4
	v_cmp_eq_u32_e64 s4, 2, v69
	v_cndmask_b32_e64 v17, v19, v2, s5
	v_cndmask_b32_e64 v18, v20, v6, s5
	v_cmp_eq_u32_e64 s5, 3, v69
	v_cndmask_b32_e64 v1, v1, v2, s3
	v_cndmask_b32_e64 v19, v21, v2, s4
	;; [unrolled: 1-line block ×4, first 2 shown]
	v_cndmask_b32_e32 v5, v9, v10, vcc_lo
	v_cndmask_b32_e32 v6, v13, v14, vcc_lo
	v_cmp_eq_u32_e32 vcc_lo, 3, v71
	v_cndmask_b32_e64 v9, v17, v10, s6
	v_cndmask_b32_e64 v13, v18, v14, s6
	;; [unrolled: 1-line block ×3, first 2 shown]
	v_cmp_eq_u32_e64 s4, 4, v70
	v_cndmask_b32_e32 v1, v1, v10, vcc_lo
	v_cndmask_b32_e32 v2, v2, v14, vcc_lo
	v_cmp_eq_u32_e32 vcc_lo, 4, v72
	v_lshrrev_b32_e32 v15, 16, v7
	v_lshrrev_b32_e32 v16, 16, v8
	v_cndmask_b32_e64 v17, v19, v10, s5
	v_cmp_eq_u32_e64 s3, 4, v71
	v_cndmask_b32_e64 v5, v5, v3, s4
	v_cndmask_b32_e64 v6, v6, v7, s4
	v_cndmask_b32_e32 v9, v9, v3, vcc_lo
	v_cmp_eq_u32_e64 s4, 5, v72
	v_cndmask_b32_e32 v10, v13, v7, vcc_lo
	v_cmp_eq_u32_e32 vcc_lo, 4, v69
	v_cmp_eq_u32_e64 s5, 5, v70
	v_cndmask_b32_e64 v2, v2, v7, s3
	v_cndmask_b32_e64 v9, v9, v11, s4
	;; [unrolled: 1-line block ×3, first 2 shown]
	v_cndmask_b32_e32 v13, v17, v3, vcc_lo
	v_cmp_eq_u32_e64 s4, 5, v69
	v_cndmask_b32_e32 v14, v18, v7, vcc_lo
	v_cndmask_b32_e64 v1, v1, v3, s3
	v_cmp_eq_u32_e32 vcc_lo, 5, v71
	v_lshrrev_b32_e32 v12, 16, v4
	v_cndmask_b32_e64 v13, v13, v11, s4
	v_cndmask_b32_e64 v3, v14, v15, s4
	v_cmp_eq_u32_e64 s4, 6, v71
	v_cndmask_b32_e32 v1, v1, v11, vcc_lo
	v_cndmask_b32_e64 v5, v5, v11, s5
	v_cmp_eq_u32_e64 s6, 6, v70
	v_cndmask_b32_e64 v6, v6, v15, s5
	v_cmp_eq_u32_e64 s5, 6, v72
	v_cmp_eq_u32_e64 s3, 6, v69
	v_cndmask_b32_e64 v1, v1, v4, s4
	v_cndmask_b32_e32 v2, v2, v15, vcc_lo
	v_cmp_eq_u32_e32 vcc_lo, 7, v71
	v_cndmask_b32_e64 v5, v5, v4, s6
	v_cndmask_b32_e64 v9, v9, v4, s5
	;; [unrolled: 1-line block ×3, first 2 shown]
	v_cmp_eq_u32_e64 s6, 7, v70
	v_cndmask_b32_e32 v1, v1, v12, vcc_lo
	v_cndmask_b32_e64 v7, v13, v4, s3
	v_cndmask_b32_e64 v3, v3, v8, s3
	;; [unrolled: 1-line block ×3, first 2 shown]
	v_cmp_eq_u32_e64 s3, 7, v69
	v_cndmask_b32_e64 v4, v10, v8, s5
	v_cndmask_b32_e64 v5, v5, v12, s6
	;; [unrolled: 1-line block ×3, first 2 shown]
	v_cndmask_b32_e32 v2, v2, v16, vcc_lo
	v_cndmask_b32_e64 v7, v7, v12, s3
	v_cndmask_b32_e64 v3, v3, v16, s3
	v_cndmask_b32_e64 v8, v4, v16, s7
	v_cndmask_b32_e64 v6, v6, v16, s6
	v_perm_b32 v4, v2, v1, 0x5040100
	s_mov_b32 s3, exec_lo
	v_perm_b32 v3, v3, v7, 0x5040100
	v_perm_b32 v2, v8, v9, 0x5040100
	;; [unrolled: 1-line block ×3, first 2 shown]
	ds_store_b128 v74, v[1:4]
	s_waitcnt lgkmcnt(0)
	s_barrier
	buffer_gl0_inv
	v_cmpx_gt_u32_e32 32, v0
	s_cbranch_execz .LBB996_2
; %bb.15:
	s_load_b64 s[4:5], s[0:1], 0x68
	v_lshlrev_b32_e32 v0, 10, v0
	v_add_nc_u32_e32 v2, s31, v66
	v_lshlrev_b32_e32 v3, 4, v67
	s_lshl_b32 s0, s35, 7
	s_delay_alu instid0(SALU_CYCLE_1) | instskip(NEXT) | instid1(VALU_DEP_2)
	s_mul_i32 s1, s0, s34
	v_mul_lo_u32 v1, v2, s0
	s_delay_alu instid0(VALU_DEP_2)
	v_and_or_b32 v0, 0x3800, v0, v3
	v_add_nc_u32_e32 v3, 2, v2
	s_mul_i32 s6, s1, s8
	v_add_nc_u32_e32 v4, 4, v2
	s_ashr_i32 s7, s6, 31
	v_lshl_or_b32 v11, v66, 6, v0
	s_lshl_b64 s[6:7], s[6:7], 1
	v_mul_lo_u32 v15, v3, s0
	v_mul_lo_u32 v17, v4, s0
	v_ashrrev_i32_e32 v2, 31, v1
	ds_load_b128 v[3:6], v11
	ds_load_b128 v[7:10], v11 offset:128
	ds_load_b128 v[11:14], v11 offset:256
	s_waitcnt lgkmcnt(0)
	s_add_u32 s1, s4, s6
	s_addc_u32 s3, s5, s7
	s_lshl_b32 s4, s14, 7
	v_ashrrev_i32_e32 v16, 31, v15
	s_ashr_i32 s5, s4, 31
	v_lshlrev_b64 v[19:20], 1, v[1:2]
	s_lshl_b64 s[4:5], s[4:5], 1
	v_ashrrev_i32_e32 v18, 31, v17
	s_add_u32 s1, s1, s4
	s_addc_u32 s3, s3, s5
	v_add_co_u32 v1, s1, s1, v65
	s_delay_alu instid0(VALU_DEP_1) | instskip(SKIP_1) | instid1(VALU_DEP_3)
	v_add_co_ci_u32_e64 v2, null, s3, 0, s1
	v_lshlrev_b64 v[15:16], 1, v[15:16]
	v_add_co_u32 v19, vcc_lo, v1, v19
	v_lshlrev_b64 v[17:18], 1, v[17:18]
	s_delay_alu instid0(VALU_DEP_4) | instskip(NEXT) | instid1(VALU_DEP_4)
	v_add_co_ci_u32_e32 v20, vcc_lo, v2, v20, vcc_lo
	v_add_co_u32 v15, vcc_lo, v1, v15
	v_add_co_ci_u32_e32 v16, vcc_lo, v2, v16, vcc_lo
	s_delay_alu instid0(VALU_DEP_4)
	v_add_co_u32 v17, vcc_lo, v1, v17
	v_add_co_ci_u32_e32 v18, vcc_lo, v2, v18, vcc_lo
	s_clause 0x2
	global_store_b128 v[19:20], v[3:6], off
	global_store_b128 v[15:16], v[7:10], off
	;; [unrolled: 1-line block ×3, first 2 shown]
	s_and_b32 exec_lo, exec_lo, s2
	s_cbranch_execz .LBB996_2
; %bb.16:
	ds_load_b128 v[3:6], v0 offset:384
	s_add_i32 s1, s31, 6
	s_delay_alu instid0(SALU_CYCLE_1) | instskip(NEXT) | instid1(SALU_CYCLE_1)
	s_mul_i32 s0, s1, s0
	s_ashr_i32 s1, s0, 31
	s_delay_alu instid0(SALU_CYCLE_1) | instskip(NEXT) | instid1(SALU_CYCLE_1)
	s_lshl_b64 s[0:1], s[0:1], 1
	v_add_co_u32 v0, vcc_lo, v1, s0
	v_add_co_ci_u32_e32 v1, vcc_lo, s1, v2, vcc_lo
	s_waitcnt lgkmcnt(0)
	global_store_b128 v[0:1], v[3:6], off
	s_nop 0
	s_sendmsg sendmsg(MSG_DEALLOC_VGPRS)
	s_endpgm
	.section	.rodata,"a",@progbits
	.p2align	6, 0x0
	.amdhsa_kernel _Z39paged_attention_ll4mi_QKV_mfma16_kernelIDF16_hLN4vllm18Fp8KVCacheDataTypeE1EDF16_Li16ELi128ELi256ELb0ELi7EL8MFMAType1EEvPKT_PKT0_S8_ifPKiSA_SA_iPKfiiiPfSD_PS3_PT2_iSC_SC_
		.amdhsa_group_segment_fixed_size 17472
		.amdhsa_private_segment_fixed_size 0
		.amdhsa_kernarg_size 400
		.amdhsa_user_sgpr_count 13
		.amdhsa_user_sgpr_dispatch_ptr 0
		.amdhsa_user_sgpr_queue_ptr 0
		.amdhsa_user_sgpr_kernarg_segment_ptr 1
		.amdhsa_user_sgpr_dispatch_id 0
		.amdhsa_user_sgpr_private_segment_size 0
		.amdhsa_wavefront_size32 1
		.amdhsa_uses_dynamic_stack 0
		.amdhsa_enable_private_segment 0
		.amdhsa_system_sgpr_workgroup_id_x 1
		.amdhsa_system_sgpr_workgroup_id_y 1
		.amdhsa_system_sgpr_workgroup_id_z 1
		.amdhsa_system_sgpr_workgroup_info 0
		.amdhsa_system_vgpr_workitem_id 0
		.amdhsa_next_free_vgpr 150
		.amdhsa_next_free_sgpr 36
		.amdhsa_reserve_vcc 1
		.amdhsa_float_round_mode_32 0
		.amdhsa_float_round_mode_16_64 0
		.amdhsa_float_denorm_mode_32 3
		.amdhsa_float_denorm_mode_16_64 3
		.amdhsa_dx10_clamp 1
		.amdhsa_ieee_mode 1
		.amdhsa_fp16_overflow 0
		.amdhsa_workgroup_processor_mode 1
		.amdhsa_memory_ordered 1
		.amdhsa_forward_progress 0
		.amdhsa_shared_vgpr_count 0
		.amdhsa_exception_fp_ieee_invalid_op 0
		.amdhsa_exception_fp_denorm_src 0
		.amdhsa_exception_fp_ieee_div_zero 0
		.amdhsa_exception_fp_ieee_overflow 0
		.amdhsa_exception_fp_ieee_underflow 0
		.amdhsa_exception_fp_ieee_inexact 0
		.amdhsa_exception_int_div_zero 0
	.end_amdhsa_kernel
	.section	.text._Z39paged_attention_ll4mi_QKV_mfma16_kernelIDF16_hLN4vllm18Fp8KVCacheDataTypeE1EDF16_Li16ELi128ELi256ELb0ELi7EL8MFMAType1EEvPKT_PKT0_S8_ifPKiSA_SA_iPKfiiiPfSD_PS3_PT2_iSC_SC_,"axG",@progbits,_Z39paged_attention_ll4mi_QKV_mfma16_kernelIDF16_hLN4vllm18Fp8KVCacheDataTypeE1EDF16_Li16ELi128ELi256ELb0ELi7EL8MFMAType1EEvPKT_PKT0_S8_ifPKiSA_SA_iPKfiiiPfSD_PS3_PT2_iSC_SC_,comdat
.Lfunc_end996:
	.size	_Z39paged_attention_ll4mi_QKV_mfma16_kernelIDF16_hLN4vllm18Fp8KVCacheDataTypeE1EDF16_Li16ELi128ELi256ELb0ELi7EL8MFMAType1EEvPKT_PKT0_S8_ifPKiSA_SA_iPKfiiiPfSD_PS3_PT2_iSC_SC_, .Lfunc_end996-_Z39paged_attention_ll4mi_QKV_mfma16_kernelIDF16_hLN4vllm18Fp8KVCacheDataTypeE1EDF16_Li16ELi128ELi256ELb0ELi7EL8MFMAType1EEvPKT_PKT0_S8_ifPKiSA_SA_iPKfiiiPfSD_PS3_PT2_iSC_SC_
                                        ; -- End function
	.section	.AMDGPU.csdata,"",@progbits
; Kernel info:
; codeLenInByte = 6692
; NumSgprs: 38
; NumVgprs: 150
; ScratchSize: 0
; MemoryBound: 0
; FloatMode: 240
; IeeeMode: 1
; LDSByteSize: 17472 bytes/workgroup (compile time only)
; SGPRBlocks: 4
; VGPRBlocks: 18
; NumSGPRsForWavesPerEU: 38
; NumVGPRsForWavesPerEU: 150
; Occupancy: 9
; WaveLimiterHint : 1
; COMPUTE_PGM_RSRC2:SCRATCH_EN: 0
; COMPUTE_PGM_RSRC2:USER_SGPR: 13
; COMPUTE_PGM_RSRC2:TRAP_HANDLER: 0
; COMPUTE_PGM_RSRC2:TGID_X_EN: 1
; COMPUTE_PGM_RSRC2:TGID_Y_EN: 1
; COMPUTE_PGM_RSRC2:TGID_Z_EN: 1
; COMPUTE_PGM_RSRC2:TIDIG_COMP_CNT: 0
	.section	.text._Z39paged_attention_ll4mi_QKV_mfma16_kernelIDF16_hLN4vllm18Fp8KVCacheDataTypeE1EDF16_Li16ELi128ELi256ELb0ELi8EL8MFMAType1EEvPKT_PKT0_S8_ifPKiSA_SA_iPKfiiiPfSD_PS3_PT2_iSC_SC_,"axG",@progbits,_Z39paged_attention_ll4mi_QKV_mfma16_kernelIDF16_hLN4vllm18Fp8KVCacheDataTypeE1EDF16_Li16ELi128ELi256ELb0ELi8EL8MFMAType1EEvPKT_PKT0_S8_ifPKiSA_SA_iPKfiiiPfSD_PS3_PT2_iSC_SC_,comdat
	.protected	_Z39paged_attention_ll4mi_QKV_mfma16_kernelIDF16_hLN4vllm18Fp8KVCacheDataTypeE1EDF16_Li16ELi128ELi256ELb0ELi8EL8MFMAType1EEvPKT_PKT0_S8_ifPKiSA_SA_iPKfiiiPfSD_PS3_PT2_iSC_SC_ ; -- Begin function _Z39paged_attention_ll4mi_QKV_mfma16_kernelIDF16_hLN4vllm18Fp8KVCacheDataTypeE1EDF16_Li16ELi128ELi256ELb0ELi8EL8MFMAType1EEvPKT_PKT0_S8_ifPKiSA_SA_iPKfiiiPfSD_PS3_PT2_iSC_SC_
	.globl	_Z39paged_attention_ll4mi_QKV_mfma16_kernelIDF16_hLN4vllm18Fp8KVCacheDataTypeE1EDF16_Li16ELi128ELi256ELb0ELi8EL8MFMAType1EEvPKT_PKT0_S8_ifPKiSA_SA_iPKfiiiPfSD_PS3_PT2_iSC_SC_
	.p2align	8
	.type	_Z39paged_attention_ll4mi_QKV_mfma16_kernelIDF16_hLN4vllm18Fp8KVCacheDataTypeE1EDF16_Li16ELi128ELi256ELb0ELi8EL8MFMAType1EEvPKT_PKT0_S8_ifPKiSA_SA_iPKfiiiPfSD_PS3_PT2_iSC_SC_,@function
_Z39paged_attention_ll4mi_QKV_mfma16_kernelIDF16_hLN4vllm18Fp8KVCacheDataTypeE1EDF16_Li16ELi128ELi256ELb0ELi8EL8MFMAType1EEvPKT_PKT0_S8_ifPKiSA_SA_iPKfiiiPfSD_PS3_PT2_iSC_SC_: ; @_Z39paged_attention_ll4mi_QKV_mfma16_kernelIDF16_hLN4vllm18Fp8KVCacheDataTypeE1EDF16_Li16ELi128ELi256ELb0ELi8EL8MFMAType1EEvPKT_PKT0_S8_ifPKiSA_SA_iPKfiiiPfSD_PS3_PT2_iSC_SC_
; %bb.0:
	s_load_b64 s[4:5], s[0:1], 0x30
	s_mov_b32 s30, s13
	s_waitcnt lgkmcnt(0)
	s_cmp_lg_u64 s[4:5], 0
	s_cselect_b32 s13, -1, 0
	s_ashr_i32 s31, s30, 31
	s_cmp_eq_u64 s[4:5], 0
	s_cbranch_scc1 .LBB997_3
; %bb.1:
	s_lshl_b64 s[2:3], s[30:31], 2
	s_delay_alu instid0(SALU_CYCLE_1) | instskip(SKIP_4) | instid1(SALU_CYCLE_1)
	s_add_u32 s2, s4, s2
	s_addc_u32 s3, s5, s3
	s_load_b64 s[2:3], s[2:3], 0x0
	s_waitcnt lgkmcnt(0)
	s_sub_i32 s2, s3, s2
	s_cmp_eq_u32 s2, 1
	s_cselect_b32 s2, -1, 0
	s_delay_alu instid0(SALU_CYCLE_1)
	s_and_not1_b32 vcc_lo, exec_lo, s2
	s_cbranch_vccz .LBB997_4
.LBB997_2:
	s_endpgm
.LBB997_3:
.LBB997_4:
	s_load_b64 s[2:3], s[0:1], 0x28
	s_lshl_b64 s[6:7], s[30:31], 2
	s_waitcnt lgkmcnt(0)
	s_add_u32 s2, s2, s6
	s_addc_u32 s3, s3, s7
	s_lshl_b32 s12, s14, 8
	s_load_b32 s17, s[2:3], 0x0
	s_waitcnt lgkmcnt(0)
	s_cmp_ge_i32 s12, s17
	s_cbranch_scc1 .LBB997_2
; %bb.5:
	s_clause 0x1
	s_load_b128 s[8:11], s[0:1], 0x8
	s_load_b64 s[2:3], s[0:1], 0x20
	s_and_not1_b32 vcc_lo, exec_lo, s13
	s_cbranch_vccnz .LBB997_7
; %bb.6:
	s_add_u32 s4, s4, s6
	s_addc_u32 s5, s5, s7
	s_load_b32 s13, s[4:5], 0x0
	s_branch .LBB997_8
.LBB997_7:
	s_mov_b32 s13, s30
.LBB997_8:
	s_load_b128 s[4:7], s[0:1], 0x48
	v_and_b32_e32 v69, 15, v0
	v_lshrrev_b32_e32 v68, 5, v0
	v_and_b32_e32 v70, 31, v0
	v_and_b32_e32 v67, 1, v0
	v_bfe_u32 v66, v0, 4, 1
	v_lshlrev_b32_e32 v1, 3, v69
	s_lshl_b32 s31, s15, 3
	s_waitcnt lgkmcnt(0)
	s_mov_b32 s7, exec_lo
	s_delay_alu instid0(VALU_DEP_1)
	v_lshlrev_b32_e32 v65, 1, v1
	v_cmpx_gt_u32_e32 0x80, v0
	s_cbranch_execz .LBB997_10
; %bb.9:
	v_lshl_or_b32 v5, v68, 1, v66
	s_load_b64 s[18:19], s[0:1], 0x0
	s_mul_hi_i32 s21, s13, s4
	s_mul_i32 s20, s13, s4
	v_lshlrev_b32_e32 v6, 10, v69
	v_or_b32_e32 v1, s31, v5
	s_lshl_b64 s[20:21], s[20:21], 1
	v_lshlrev_b32_e32 v5, 6, v5
	v_lshlrev_b32_e32 v7, 10, v67
	v_and_b32_e32 v6, 0x3800, v6
	v_lshlrev_b32_e32 v1, 7, v1
	s_delay_alu instid0(VALU_DEP_2) | instskip(NEXT) | instid1(VALU_DEP_2)
	v_or3_b32 v5, v6, v7, v5
	v_ashrrev_i32_e32 v2, 31, v1
	s_delay_alu instid0(VALU_DEP_1) | instskip(SKIP_3) | instid1(VALU_DEP_1)
	v_lshlrev_b64 v[1:2], 1, v[1:2]
	s_waitcnt lgkmcnt(0)
	s_add_u32 s4, s18, s20
	s_addc_u32 s13, s19, s21
	v_add_co_u32 v1, vcc_lo, s4, v1
	s_delay_alu instid0(VALU_DEP_2) | instskip(NEXT) | instid1(VALU_DEP_2)
	v_add_co_ci_u32_e32 v2, vcc_lo, s13, v2, vcc_lo
	v_add_co_u32 v1, vcc_lo, v1, v65
	s_delay_alu instid0(VALU_DEP_2)
	v_add_co_ci_u32_e32 v2, vcc_lo, 0, v2, vcc_lo
	global_load_b128 v[1:4], v[1:2], off
	s_waitcnt vmcnt(0)
	ds_store_b128 v5, v[1:4]
.LBB997_10:
	s_or_b32 exec_lo, exec_lo, s7
	v_and_b32_e32 v1, 0xef, v0
	s_add_i32 s4, s17, 15
	s_clause 0x1
	s_load_b32 s7, s[0:1], 0x38
	s_load_b32 s33, s[0:1], 0x98
	s_ashr_i32 s13, s4, 31
	v_add_nc_u32_e32 v1, s12, v1
	s_lshr_b32 s13, s13, 28
	s_load_b32 s18, s[0:1], 0x1c
	s_add_i32 s4, s4, s13
	s_waitcnt lgkmcnt(0)
	v_ashrrev_i32_e32 v2, 31, v1
	v_or_b32_e32 v3, 16, v1
	s_ashr_i32 s4, s4, 4
	v_cmp_gt_i32_e32 vcc_lo, s17, v1
	s_add_i32 s4, s4, -1
	v_lshrrev_b32_e32 v2, 28, v2
	s_barrier
	buffer_gl0_inv
	s_mul_i32 s15, s15, s6
	v_add_nc_u32_e32 v4, v1, v2
	s_mul_i32 s20, s30, s7
	s_delay_alu instid0(SALU_CYCLE_1) | instskip(NEXT) | instid1(VALU_DEP_1)
	s_ashr_i32 s21, s20, 31
	v_ashrrev_i32_e32 v4, 4, v4
	v_add_nc_u32_e32 v2, v3, v2
	s_lshl_b64 s[20:21], s[20:21], 2
	s_delay_alu instid0(SALU_CYCLE_1) | instskip(NEXT) | instid1(VALU_DEP_2)
	s_add_u32 s13, s2, s20
	v_cndmask_b32_e32 v1, s4, v4, vcc_lo
	s_delay_alu instid0(VALU_DEP_2)
	v_ashrrev_i32_e32 v2, 4, v2
	v_cmp_gt_i32_e32 vcc_lo, s17, v3
	s_addc_u32 s16, s3, s21
	s_ashr_i32 s19, s15, 31
	s_add_u32 s26, s8, s15
	s_addc_u32 s27, s9, s19
	v_cndmask_b32_e32 v3, s4, v2, vcc_lo
	v_ashrrev_i32_e32 v2, 31, v1
	s_lshl_b32 s2, s14, 4
	s_delay_alu instid0(SALU_CYCLE_1) | instskip(NEXT) | instid1(VALU_DEP_2)
	s_ashr_i32 s3, s2, 31
	v_ashrrev_i32_e32 v4, 31, v3
	s_delay_alu instid0(VALU_DEP_2) | instskip(SKIP_1) | instid1(SALU_CYCLE_1)
	v_lshlrev_b64 v[1:2], 2, v[1:2]
	s_lshl_b64 s[2:3], s[2:3], 2
	s_add_u32 s2, s13, s2
	s_delay_alu instid0(VALU_DEP_2) | instskip(SKIP_1) | instid1(VALU_DEP_2)
	v_lshlrev_b64 v[3:4], 2, v[3:4]
	s_addc_u32 s3, s16, s3
	v_add_co_u32 v1, vcc_lo, s13, v1
	v_add_co_ci_u32_e32 v2, vcc_lo, s16, v2, vcc_lo
	s_delay_alu instid0(VALU_DEP_3) | instskip(NEXT) | instid1(VALU_DEP_4)
	v_add_co_u32 v3, vcc_lo, s13, v3
	v_add_co_ci_u32_e32 v4, vcc_lo, s16, v4, vcc_lo
	s_clause 0x1
	global_load_b32 v5, v[1:2], off
	global_load_b32 v3, v[3:4], off
	s_or_b32 s6, s12, 32
	s_delay_alu instid0(SALU_CYCLE_1) | instskip(SKIP_2) | instid1(SALU_CYCLE_1)
	s_ashr_i32 s7, s6, 4
	s_cmp_lt_i32 s6, s17
	s_cselect_b32 s6, s7, s4
	s_ashr_i32 s7, s6, 31
	s_delay_alu instid0(SALU_CYCLE_1) | instskip(NEXT) | instid1(SALU_CYCLE_1)
	s_lshl_b64 s[6:7], s[6:7], 2
	s_add_u32 s6, s13, s6
	s_addc_u32 s7, s16, s7
	s_or_b32 s8, s12, 64
	s_delay_alu instid0(SALU_CYCLE_1) | instskip(SKIP_2) | instid1(SALU_CYCLE_1)
	s_ashr_i32 s9, s8, 4
	s_cmp_lt_i32 s8, s17
	s_cselect_b32 s8, s9, s4
	s_ashr_i32 s9, s8, 31
	s_delay_alu instid0(SALU_CYCLE_1) | instskip(NEXT) | instid1(SALU_CYCLE_1)
	s_lshl_b64 s[8:9], s[8:9], 2
	s_add_u32 s8, s13, s8
	s_addc_u32 s9, s16, s9
	;; [unrolled: 10-line block ×5, first 2 shown]
	s_clause 0x5
	s_load_b32 s28, s[2:3], 0x0
	s_load_b32 s29, s[6:7], 0x0
	;; [unrolled: 1-line block ×6, first 2 shown]
	s_mov_b32 s20, 0
	s_or_b32 s2, s12, 0xc0
	s_mov_b32 s21, s20
	s_mov_b32 s22, s20
	;; [unrolled: 1-line block ×5, first 2 shown]
	v_lshlrev_b32_e32 v1, 4, v0
	s_ashr_i32 s3, s2, 4
	s_cmp_lt_i32 s2, s17
	s_cselect_b32 s2, s3, s4
	s_delay_alu instid0(VALU_DEP_1) | instskip(SKIP_1) | instid1(SALU_CYCLE_1)
	v_and_b32_e32 v1, 0xf0, v1
	s_ashr_i32 s3, s2, 31
	s_lshl_b64 s[2:3], s[2:3], 2
	s_delay_alu instid0(VALU_DEP_1) | instskip(NEXT) | instid1(VALU_DEP_1)
	v_add_co_u32 v1, s26, s26, v1
	v_add_co_ci_u32_e64 v2, null, s27, 0, s26
	s_add_u32 s2, s13, s2
	s_addc_u32 s3, s16, s3
	s_or_b32 s6, s12, 0xe0
	s_mov_b32 s27, s20
	s_ashr_i32 s7, s6, 4
	s_cmp_lt_i32 s6, s17
	s_mov_b32 s26, s20
	s_cselect_b32 s6, s7, s4
	v_mov_b32_e32 v102, s27
	v_mov_b32_e32 v96, s21
	s_ashr_i32 s7, s6, 31
	v_mov_b32_e32 v101, s26
	s_lshl_b64 s[6:7], s[6:7], 2
	v_dual_mov_b32 v100, s25 :: v_dual_mov_b32 v99, s24
	v_dual_mov_b32 v98, s23 :: v_dual_mov_b32 v97, s22
	v_mov_b32_e32 v95, s20
	s_waitcnt vmcnt(1)
	v_mad_i64_i32 v[33:34], null, v5, s5, v[1:2]
	s_waitcnt vmcnt(0)
	v_mad_i64_i32 v[35:36], null, v3, s5, v[1:2]
	s_clause 0xf
	global_load_b128 v[1:4], v[33:34], off
	global_load_b128 v[5:8], v[33:34], off offset:256
	global_load_b128 v[9:12], v[35:36], off
	global_load_b128 v[13:16], v[35:36], off offset:256
	global_load_b128 v[17:20], v[33:34], off offset:512
	;; [unrolled: 1-line block ×13, first 2 shown]
	v_and_b32_e32 v33, 7, v0
	v_lshlrev_b32_e32 v34, 4, v69
	s_delay_alu instid0(VALU_DEP_2) | instskip(NEXT) | instid1(VALU_DEP_2)
	v_lshlrev_b32_e32 v139, 6, v33
	v_lshl_or_b32 v41, v68, 8, v34
	ds_load_b128 v[33:36], v139
	ds_load_b128 v[37:40], v139 offset:1024
	ds_load_b128 v[103:106], v139 offset:2048
	;; [unrolled: 1-line block ×3, first 2 shown]
	s_load_b32 s4, s[2:3], 0x0
	s_add_u32 s2, s13, s6
	s_addc_u32 s3, s16, s7
	ds_load_b128 v[111:114], v139 offset:4096
	ds_load_b128 v[115:118], v139 offset:5120
	s_load_b32 s2, s[2:3], 0x0
	s_add_u32 s6, s10, s15
	s_addc_u32 s7, s11, s19
	v_add_co_u32 v127, s6, s6, v41
	s_delay_alu instid0(VALU_DEP_1) | instskip(SKIP_1) | instid1(VALU_DEP_1)
	v_add_co_ci_u32_e64 v128, null, s7, 0, s6
	s_waitcnt lgkmcnt(0)
	v_mad_i64_i32 v[41:42], null, s28, s5, v[127:128]
	v_mad_i64_i32 v[129:130], null, s8, s5, v[127:128]
	;; [unrolled: 1-line block ×7, first 2 shown]
	s_clause 0x3
	global_load_b128 v[49:52], v[41:42], off
	global_load_b128 v[53:56], v[41:42], off offset:16
	global_load_b128 v[41:44], v[45:46], off
	global_load_b128 v[45:48], v[45:46], off offset:16
	s_waitcnt vmcnt(18)
	v_wmma_f32_16x16x16_f16 v[119:126], v[1:8], v[33:40], v[95:102]
	s_waitcnt vmcnt(16)
	v_wmma_f32_16x16x16_f16 v[95:102], v[9:16], v[33:40], v[95:102]
	s_clause 0x3
	global_load_b128 v[33:36], v[129:130], off
	global_load_b128 v[37:40], v[129:130], off offset:16
	global_load_b128 v[1:4], v[131:132], off
	global_load_b128 v[5:8], v[131:132], off offset:16
	s_waitcnt vmcnt(18)
	v_wmma_f32_16x16x16_f16 v[119:126], v[17:24], v[103:110], v[119:126]
	s_clause 0x3
	global_load_b128 v[9:12], v[133:134], off
	global_load_b128 v[13:16], v[133:134], off offset:16
	global_load_b128 v[17:20], v[135:136], off
	global_load_b128 v[21:24], v[135:136], off offset:16
	s_waitcnt vmcnt(20)
	v_wmma_f32_16x16x16_f16 v[95:102], v[25:32], v[103:110], v[95:102]
	v_mad_i64_i32 v[103:104], null, s2, s5, v[127:128]
	s_waitcnt vmcnt(18)
	v_wmma_f32_16x16x16_f16 v[119:126], v[57:64], v[111:118], v[119:126]
	s_clause 0x1
	global_load_b128 v[25:28], v[137:138], off
	global_load_b128 v[29:32], v[137:138], off offset:16
	s_waitcnt vmcnt(18)
	v_wmma_f32_16x16x16_f16 v[95:102], v[71:78], v[111:118], v[95:102]
	s_clause 0x1
	global_load_b128 v[57:60], v[103:104], off
	global_load_b128 v[61:64], v[103:104], off offset:16
	ds_load_b128 v[71:74], v139 offset:6144
	ds_load_b128 v[75:78], v139 offset:7168
	v_mbcnt_lo_u32_b32 v104, -1, 0
	s_waitcnt vmcnt(0) lgkmcnt(0)
	s_barrier
	buffer_gl0_inv
	v_xor_b32_e32 v105, 16, v104
	s_delay_alu instid0(VALU_DEP_1) | instskip(SKIP_4) | instid1(VALU_DEP_2)
	v_cmp_gt_i32_e32 vcc_lo, 32, v105
	v_cndmask_b32_e32 v104, v104, v105, vcc_lo
	v_wmma_f32_16x16x16_f16 v[95:102], v[87:94], v[71:78], v[95:102]
	v_and_b32_e32 v103, 0xe0, v0
	v_wmma_f32_16x16x16_f16 v[119:126], v[79:86], v[71:78], v[119:126]
	v_dual_mul_f32 v90, s18, v101 :: v_dual_add_nc_u32 v103, s12, v103
	s_delay_alu instid0(VALU_DEP_2) | instskip(NEXT) | instid1(VALU_DEP_3)
	v_dual_mul_f32 v94, s18, v97 :: v_dual_mul_f32 v87, s18, v120
	v_dual_mul_f32 v88, s18, v119 :: v_dual_mul_f32 v77, s18, v122
	s_delay_alu instid0(VALU_DEP_3) | instskip(SKIP_3) | instid1(VALU_DEP_4)
	v_or_b32_e32 v103, v103, v66
	v_dual_mul_f32 v78, s18, v121 :: v_dual_mul_f32 v75, s18, v124
	v_dual_mul_f32 v76, s18, v123 :: v_dual_mul_f32 v73, s18, v126
	v_mul_f32_e32 v92, s18, v99
	v_or_b32_e32 v105, 2, v103
	v_or_b32_e32 v106, 4, v103
	;; [unrolled: 1-line block ×3, first 2 shown]
	v_cmp_gt_i32_e64 s2, s17, v103
	v_or_b32_e32 v108, 8, v103
	v_cmp_gt_i32_e32 vcc_lo, s17, v105
	v_or_b32_e32 v109, 10, v103
	v_cmp_gt_i32_e64 s3, s17, v106
	v_cndmask_b32_e64 v88, 0xff7fffff, v88, s2
	v_cmp_gt_i32_e64 s4, s17, v107
	v_cndmask_b32_e32 v87, 0xff7fffff, v87, vcc_lo
	v_or_b32_e32 v79, 12, v103
	v_or_b32_e32 v80, 14, v103
	v_cndmask_b32_e64 v78, 0xff7fffff, v78, s3
	v_cndmask_b32_e64 v77, 0xff7fffff, v77, s4
	v_max3_f32 v87, v88, 0xff7fffff, v87
	v_cmp_gt_i32_e64 s5, s17, v108
	v_cmp_gt_i32_e64 s6, s17, v109
	v_or_b32_e32 v81, 16, v103
	v_or_b32_e32 v82, 18, v103
	v_mul_f32_e32 v74, s18, v125
	v_cndmask_b32_e64 v76, 0xff7fffff, v76, s5
	v_cndmask_b32_e64 v75, 0xff7fffff, v75, s6
	v_max3_f32 v77, v87, v78, v77
	v_cmp_gt_i32_e64 s7, s17, v79
	v_cmp_gt_i32_e64 s8, s17, v80
	v_or_b32_e32 v83, 20, v103
	v_or_b32_e32 v84, 22, v103
	;; [unrolled: 1-line block ×6, first 2 shown]
	v_mul_f32_e32 v105, s18, v96
	v_mul_f32_e32 v103, s18, v95
	v_cndmask_b32_e64 v74, 0xff7fffff, v74, s7
	v_cndmask_b32_e64 v73, 0xff7fffff, v73, s8
	v_max3_f32 v75, v77, v76, v75
	v_cmp_gt_i32_e64 s9, s17, v81
	v_cmp_gt_i32_e64 s10, s17, v82
	v_mul_f32_e32 v93, s18, v98
	v_cmp_gt_i32_e64 s11, s17, v83
	v_max3_f32 v73, v75, v74, v73
	v_cndmask_b32_e64 v76, 0xff7fffff, v103, s9
	v_cndmask_b32_e64 v77, 0xff7fffff, v105, s10
	v_cmp_gt_i32_e64 s12, s17, v84
	v_mul_f32_e32 v91, s18, v100
	v_cndmask_b32_e64 v74, 0xff7fffff, v94, s11
	v_cmp_gt_i32_e64 s13, s17, v85
	v_max3_f32 v73, v73, v76, v77
	v_cndmask_b32_e64 v75, 0xff7fffff, v93, s12
	v_cmp_gt_i32_e64 s15, s17, v86
	v_mul_f32_e32 v89, s18, v102
	v_cndmask_b32_e64 v76, 0xff7fffff, v92, s13
	v_cmp_gt_i32_e64 s16, s17, v71
	v_max3_f32 v73, v73, v74, v75
	v_cndmask_b32_e64 v77, 0xff7fffff, v91, s15
	v_cmp_gt_i32_e64 s17, s17, v72
	v_lshlrev_b32_e32 v74, 2, v104
	v_cndmask_b32_e64 v71, 0xff7fffff, v90, s16
	s_delay_alu instid0(VALU_DEP_4) | instskip(NEXT) | instid1(VALU_DEP_4)
	v_max3_f32 v73, v73, v76, v77
	v_cndmask_b32_e64 v72, 0xff7fffff, v89, s17
	s_delay_alu instid0(VALU_DEP_1) | instskip(SKIP_3) | instid1(VALU_DEP_1)
	v_max3_f32 v71, v73, v71, v72
	ds_bpermute_b32 v72, v74, v71
	s_waitcnt lgkmcnt(0)
	v_max_f32_e32 v72, v72, v72
	v_max_f32_e32 v71, v71, v72
	s_delay_alu instid0(VALU_DEP_1)
	v_fma_f32 v72, s18, v119, -v71
	v_fma_f32 v76, s18, v122, -v71
	v_fma_f32 v73, s18, v120, -v71
	v_fma_f32 v77, s18, v123, -v71
	v_fma_f32 v86, s18, v98, -v71
	v_mul_f32_e32 v72, 0x3fb8aa3b, v72
	v_mul_f32_e32 v76, 0x3fb8aa3b, v76
	v_fma_f32 v75, s18, v121, -v71
	v_mul_f32_e32 v79, 0x3fb8aa3b, v77
	v_mul_f32_e32 v87, 0x3fb8aa3b, v86
	v_exp_f32_e32 v72, v72
	v_exp_f32_e32 v76, v76
	v_fma_f32 v81, s18, v125, -v71
	v_exp_f32_e32 v82, v79
	v_exp_f32_e32 v87, v87
	v_fma_f32 v84, s18, v96, -v71
	s_delay_alu instid0(VALU_DEP_2) | instskip(SKIP_3) | instid1(TRANS32_DEP_3)
	v_mul_f32_e32 v81, 0x3fb8aa3b, v81
	v_cndmask_b32_e64 v78, 0, v72, s2
	v_fma_f32 v72, s18, v124, -v71
	v_mul_f32_e32 v73, 0x3fb8aa3b, v73
	v_cndmask_b32_e64 v79, 0, v76, s4
	v_fma_f32 v76, s18, v95, -v71
	s_delay_alu instid0(VALU_DEP_4) | instskip(NEXT) | instid1(VALU_DEP_4)
	v_dual_mul_f32 v75, 0x3fb8aa3b, v75 :: v_dual_mul_f32 v72, 0x3fb8aa3b, v72
	v_exp_f32_e32 v73, v73
	v_cndmask_b32_e64 v87, 0, v87, s12
	s_delay_alu instid0(VALU_DEP_3) | instskip(NEXT) | instid1(VALU_DEP_3)
	v_mul_f32_e32 v76, 0x3fb8aa3b, v76
	v_exp_f32_e32 v75, v75
	v_exp_f32_e32 v72, v72
	;; [unrolled: 1-line block ×3, first 2 shown]
	v_cndmask_b32_e64 v82, 0, v82, s5
	v_mul_f32_e32 v85, 0x3fb8aa3b, v84
	v_exp_f32_e32 v76, v76
	s_mov_b32 s2, exec_lo
	v_cndmask_b32_e32 v77, 0, v73, vcc_lo
	v_add_f32_e32 v73, 0, v78
	v_exp_f32_e32 v85, v85
	v_cndmask_b32_e64 v80, 0, v75, s3
	v_fma_f32 v75, s18, v126, -v71
	v_cndmask_b32_e64 v81, 0, v72, s6
	v_add_f32_e32 v73, v73, v77
	v_cndmask_b32_e64 v84, 0, v83, s7
	v_cndmask_b32_e64 v86, 0, v76, s9
	v_mul_f32_e32 v75, 0x3fb8aa3b, v75
	s_delay_alu instid0(VALU_DEP_4) | instskip(NEXT) | instid1(TRANS32_DEP_1)
	v_add_f32_e32 v73, v73, v80
	v_cndmask_b32_e64 v85, 0, v85, s10
	s_delay_alu instid0(VALU_DEP_3) | instskip(NEXT) | instid1(VALU_DEP_2)
	v_exp_f32_e32 v75, v75
	v_add_f32_e32 v73, v73, v79
	s_delay_alu instid0(VALU_DEP_1) | instskip(SKIP_3) | instid1(VALU_DEP_1)
	v_add_f32_e32 v72, v73, v82
	s_waitcnt_depctr 0xfff
	v_cndmask_b32_e64 v83, 0, v75, s8
	v_add_f32_e32 v72, v72, v81
	v_add_f32_e32 v72, v72, v84
	s_delay_alu instid0(VALU_DEP_1) | instskip(NEXT) | instid1(VALU_DEP_1)
	v_add_f32_e32 v72, v72, v83
	v_add_f32_e32 v72, v72, v86
	s_delay_alu instid0(VALU_DEP_1) | instskip(SKIP_4) | instid1(VALU_DEP_4)
	v_add_f32_e32 v72, v72, v85
	v_fma_f32 v73, s18, v97, -v71
	v_fma_f32 v75, s18, v99, -v71
	;; [unrolled: 1-line block ×4, first 2 shown]
	v_mul_f32_e32 v73, 0x3fb8aa3b, v73
	s_delay_alu instid0(VALU_DEP_3) | instskip(NEXT) | instid1(VALU_DEP_2)
	v_dual_mul_f32 v75, 0x3fb8aa3b, v75 :: v_dual_mul_f32 v76, 0x3fb8aa3b, v76
	v_exp_f32_e32 v73, v73
	s_delay_alu instid0(VALU_DEP_1) | instskip(NEXT) | instid1(VALU_DEP_1)
	v_exp_f32_e32 v75, v75
	v_exp_f32_e32 v76, v76
	s_delay_alu instid0(TRANS32_DEP_3)
	v_cndmask_b32_e64 v88, 0, v73, s11
	v_mul_f32_e32 v73, 0x3fb8aa3b, v89
	v_fma_f32 v89, s18, v102, -v71
	s_waitcnt_depctr 0xfff
	v_cndmask_b32_e64 v90, 0, v75, s13
	v_add_f32_e32 v72, v72, v88
	v_exp_f32_e32 v73, v73
	v_mul_f32_e32 v75, 0x3fb8aa3b, v89
	v_cndmask_b32_e64 v89, 0, v76, s15
	s_delay_alu instid0(VALU_DEP_3) | instskip(NEXT) | instid1(VALU_DEP_3)
	v_add_f32_e32 v72, v72, v87
	v_exp_f32_e32 v75, v75
	s_delay_alu instid0(VALU_DEP_1) | instskip(SKIP_4) | instid1(VALU_DEP_2)
	v_add_f32_e32 v72, v72, v90
	s_waitcnt_depctr 0xfff
	v_cndmask_b32_e64 v92, 0, v73, s16
	v_add_f32_e32 v72, v72, v89
	v_cndmask_b32_e64 v91, 0, v75, s17
	v_add_f32_e32 v72, v72, v92
	s_delay_alu instid0(VALU_DEP_1)
	v_add_f32_e32 v72, v72, v91
	ds_bpermute_b32 v73, v74, v72
	v_cmpx_gt_u32_e32 16, v70
	s_cbranch_execz .LBB997_12
; %bb.11:
	v_mul_u32_u24_e32 v70, 0x44, v68
	s_waitcnt lgkmcnt(0)
	v_add_f32_e32 v72, v72, v73
	s_delay_alu instid0(VALU_DEP_2) | instskip(NEXT) | instid1(VALU_DEP_1)
	v_lshl_add_u32 v70, v69, 2, v70
	v_add_nc_u32_e32 v70, 0x4000, v70
	ds_store_2addr_b32 v70, v71, v72 offset1:136
.LBB997_12:
	s_or_b32 exec_lo, exec_lo, s2
	v_lshlrev_b32_e32 v70, 2, v69
	s_load_b32 s34, s[0:1], 0x94
	s_waitcnt lgkmcnt(0)
	s_barrier
	buffer_gl0_inv
	v_add_nc_u32_e32 v74, 0x4000, v70
	v_cmp_eq_u32_e32 vcc_lo, 1, v68
	v_cmp_eq_u32_e64 s2, 2, v68
	v_cmp_eq_u32_e64 s3, 3, v68
	;; [unrolled: 1-line block ×3, first 2 shown]
	ds_load_2addr_b32 v[70:71], v74 offset1:17
	ds_load_2addr_b32 v[72:73], v74 offset0:34 offset1:51
	ds_load_2addr_b32 v[93:94], v74 offset0:68 offset1:85
	;; [unrolled: 1-line block ×3, first 2 shown]
	v_cmp_eq_u32_e64 s5, 5, v68
	v_cmp_eq_u32_e64 s6, 7, v68
	s_waitcnt lgkmcnt(3)
	v_max3_f32 v75, v70, 0xff7fffff, v71
	s_waitcnt lgkmcnt(2)
	s_delay_alu instid0(VALU_DEP_1) | instskip(SKIP_1) | instid1(VALU_DEP_1)
	v_max3_f32 v75, v75, v72, v73
	s_waitcnt lgkmcnt(1)
	v_max3_f32 v75, v75, v93, v94
	s_waitcnt lgkmcnt(0)
	s_delay_alu instid0(VALU_DEP_1) | instskip(NEXT) | instid1(VALU_DEP_1)
	v_max3_f32 v75, v75, v95, v96
	v_sub_f32_e32 v93, v93, v75
	ds_load_2addr_b32 v[97:98], v74 offset0:136 offset1:153
	v_sub_f32_e32 v70, v70, v75
	v_dual_sub_f32 v100, v73, v75 :: v_dual_mul_f32 v103, 0x3fb8aa3b, v93
	s_delay_alu instid0(VALU_DEP_2) | instskip(SKIP_3) | instid1(VALU_DEP_1)
	v_dual_sub_f32 v76, v71, v75 :: v_dual_mul_f32 v99, 0x3fb8aa3b, v70
	ds_load_2addr_b32 v[70:71], v74 offset0:170 offset1:187
	v_mul_f32_e32 v76, 0x3fb8aa3b, v76
	v_exp_f32_e32 v99, v99
	v_exp_f32_e32 v102, v76
	v_mul_f32_e32 v100, 0x3fb8aa3b, v100
	s_waitcnt lgkmcnt(1)
	s_waitcnt_depctr 0xfff
	v_fma_f32 v76, v99, v97, 0
	v_sub_f32_e32 v97, v94, v75
	v_sub_f32_e32 v72, v72, v75
	v_exp_f32_e32 v100, v100
	ds_load_2addr_b32 v[93:94], v74 offset0:238 offset1:255
	v_dual_fmac_f32 v76, v102, v98 :: v_dual_mul_f32 v101, 0x3fb8aa3b, v72
	ds_load_2addr_b32 v[72:73], v74 offset0:204 offset1:221
	v_dual_sub_f32 v74, v95, v75 :: v_dual_mul_f32 v95, 0x3fb8aa3b, v97
	v_exp_f32_e32 v97, v103
	v_exp_f32_e32 v101, v101
	s_waitcnt lgkmcnt(0)
	s_barrier
	v_exp_f32_e32 v95, v95
	buffer_gl0_inv
	v_fmac_f32_e32 v76, v101, v70
	v_sub_f32_e32 v70, v96, v75
	s_delay_alu instid0(VALU_DEP_2) | instskip(NEXT) | instid1(VALU_DEP_2)
	v_fmac_f32_e32 v76, v100, v71
	v_mul_f32_e32 v70, 0x3fb8aa3b, v70
	s_delay_alu instid0(VALU_DEP_2)
	v_dual_cndmask_b32 v71, v99, v102 :: v_dual_fmac_f32 v76, v97, v72
	v_lshlrev_b32_e32 v72, 6, v69
	v_lshlrev_b32_e32 v69, 2, v66
	v_mul_f32_e32 v74, 0x3fb8aa3b, v74
	v_exp_f32_e32 v98, v70
	v_fmac_f32_e32 v76, v95, v73
	s_delay_alu instid0(VALU_DEP_3) | instskip(NEXT) | instid1(VALU_DEP_3)
	v_cmp_eq_u32_e64 s7, 7, v69
	v_exp_f32_e32 v96, v74
	v_lshl_or_b32 v74, v68, 11, v72
	s_waitcnt_depctr 0xfff
	v_fmac_f32_e32 v76, v96, v93
	s_delay_alu instid0(VALU_DEP_1) | instskip(NEXT) | instid1(VALU_DEP_1)
	v_fmac_f32_e32 v76, v98, v94
	v_add_f32_e32 v73, 0x358637bd, v76
	s_delay_alu instid0(VALU_DEP_1) | instskip(SKIP_1) | instid1(VALU_DEP_2)
	v_div_scale_f32 v93, null, v73, v73, 1.0
	v_div_scale_f32 v99, vcc_lo, 1.0, v73, 1.0
	v_rcp_f32_e32 v94, v93
	s_waitcnt_depctr 0xfff
	v_fma_f32 v70, -v93, v94, 1.0
	s_delay_alu instid0(VALU_DEP_1)
	v_fmac_f32_e32 v94, v70, v94
	v_cndmask_b32_e64 v70, v71, v101, s2
	v_cmp_eq_u32_e64 s2, 6, v68
	v_or_b32_e32 v71, 1, v69
	v_or_b32_e32 v68, 2, v69
	v_mul_f32_e32 v101, v99, v94
	v_cndmask_b32_e64 v70, v70, v100, s3
	v_cmp_eq_u32_e64 s3, 1, v69
	v_cmp_eq_u32_e64 s8, 1, v71
	;; [unrolled: 1-line block ×3, first 2 shown]
	v_fma_f32 v100, -v93, v101, v99
	v_cndmask_b32_e64 v70, v70, v97, s4
	v_cmp_eq_u32_e64 s4, 2, v69
	v_cmp_eq_u32_e64 s11, 2, v71
	;; [unrolled: 1-line block ×3, first 2 shown]
	v_fmac_f32_e32 v101, v100, v94
	v_cndmask_b32_e64 v95, v70, v95, s5
	v_or_b32_e32 v70, 3, v69
	v_cmp_eq_u32_e64 s12, 3, v71
	v_cmp_eq_u32_e64 s16, 3, v68
	v_fma_f32 v93, -v93, v101, v99
	v_cndmask_b32_e64 v95, v95, v96, s2
	v_cmp_eq_u32_e64 s10, 1, v70
	v_cmp_eq_u32_e64 s15, 2, v70
	;; [unrolled: 1-line block ×3, first 2 shown]
	v_div_fmas_f32 v93, v93, v94, v101
	v_cndmask_b32_e64 v94, v95, v98, s6
	v_cmp_eq_u32_e32 vcc_lo, 3, v69
	v_cmp_eq_u32_e64 s2, 4, v69
	v_cmp_eq_u32_e64 s18, 4, v71
	v_div_fixup_f32 v93, v93, v73, 1.0
	v_lshl_or_b32 v73, v66, 4, v74
	v_cmp_eq_u32_e64 s21, 4, v70
	v_cmp_eq_u32_e64 s5, 5, v69
	;; [unrolled: 1-line block ×3, first 2 shown]
	v_mul_f32_e32 v101, v94, v93
	v_cmp_eq_u32_e64 s20, 4, v68
	v_cmp_eq_u32_e64 s23, 5, v70
	;; [unrolled: 1-line block ×4, first 2 shown]
	v_fma_mixlo_f16 v93, v101, v78, 0
	v_fma_mixlo_f16 v94, v101, v80, 0
	;; [unrolled: 1-line block ×8, first 2 shown]
	v_fma_mixhi_f16 v93, v101, v77, 0
	v_fma_mixhi_f16 v94, v101, v79, 0
	;; [unrolled: 1-line block ×8, first 2 shown]
	ds_store_b128 v73, v[93:96]
	ds_store_b128 v73, v[97:100] offset:1024
	s_waitcnt lgkmcnt(0)
	s_barrier
	buffer_gl0_inv
	ds_load_b128 v[77:80], v74
	ds_load_b128 v[81:84], v74 offset:16
	ds_load_b128 v[85:88], v74 offset:1024
	;; [unrolled: 1-line block ×3, first 2 shown]
	v_cmp_eq_u32_e64 s26, 6, v70
	v_cmp_eq_u32_e64 s6, 6, v69
	;; [unrolled: 1-line block ×6, first 2 shown]
	s_waitcnt lgkmcnt(3)
	v_lshrrev_b32_e32 v93, 16, v77
	s_waitcnt lgkmcnt(2)
	v_lshrrev_b32_e32 v97, 16, v81
	;; [unrolled: 2-line block ×4, first 2 shown]
	v_lshrrev_b32_e32 v94, 16, v78
	v_cndmask_b32_e64 v109, v77, v93, s3
	v_cndmask_b32_e64 v110, v81, v97, s3
	;; [unrolled: 1-line block ×8, first 2 shown]
	v_lshrrev_b32_e32 v98, 16, v82
	v_cndmask_b32_e64 v93, v85, v101, s3
	v_cndmask_b32_e64 v97, v89, v105, s3
	;; [unrolled: 1-line block ×15, first 2 shown]
	v_lshrrev_b32_e32 v102, 16, v86
	v_lshrrev_b32_e32 v106, 16, v90
	v_cndmask_b32_e64 v112, v114, v82, s13
	v_cndmask_b32_e64 v81, v93, v86, s4
	;; [unrolled: 1-line block ×7, first 2 shown]
	v_cndmask_b32_e32 v89, v101, v94, vcc_lo
	v_cndmask_b32_e32 v101, v105, v98, vcc_lo
	v_cndmask_b32_e64 v105, v109, v94, s12
	v_cndmask_b32_e64 v109, v110, v98, s12
	;; [unrolled: 1-line block ×4, first 2 shown]
	v_lshrrev_b32_e32 v95, 16, v79
	v_lshrrev_b32_e32 v99, 16, v83
	v_cndmask_b32_e64 v110, v111, v94, s16
	v_cndmask_b32_e64 v111, v112, v98, s16
	v_cndmask_b32_e32 v81, v81, v102, vcc_lo
	v_cndmask_b32_e32 v82, v82, v106, vcc_lo
	v_cndmask_b32_e64 v93, v93, v102, s12
	v_cndmask_b32_e64 v89, v89, v79, s2
	v_cndmask_b32_e64 v94, v101, v83, s2
	v_cndmask_b32_e64 v98, v105, v79, s18
	v_cndmask_b32_e64 v101, v109, v83, s18
	v_cndmask_b32_e64 v77, v77, v79, s21
	v_cndmask_b32_e64 v78, v78, v83, s21
	v_lshrrev_b32_e32 v103, 16, v87
	v_cndmask_b32_e64 v105, v110, v79, s20
	v_cndmask_b32_e64 v109, v111, v83, s20
	;; [unrolled: 1-line block ×11, first 2 shown]
	v_lshrrev_b32_e32 v96, 16, v80
	v_lshrrev_b32_e32 v100, 16, v84
	v_cndmask_b32_e64 v98, v105, v95, s22
	v_cndmask_b32_e64 v101, v109, v99, s22
	;; [unrolled: 1-line block ×7, first 2 shown]
	v_lshrrev_b32_e32 v104, 16, v88
	v_cndmask_b32_e64 v79, v79, v103, s5
	v_cndmask_b32_e64 v83, v83, v80, s6
	;; [unrolled: 1-line block ×16, first 2 shown]
	v_perm_b32 v80, v78, v77, 0x5040100
	v_perm_b32 v78, v94, v84, 0x5040100
	v_cndmask_b32_e64 v77, v118, v90, s13
	v_cndmask_b32_e64 v84, v116, v90, s11
	v_cndmask_b32_e64 v95, v79, v104, s7
	v_perm_b32 v79, v93, v89, 0x5040100
	v_cndmask_b32_e64 v89, v97, v102, s16
	v_cndmask_b32_e64 v85, v85, v102, s17
	;; [unrolled: 1-line block ×5, first 2 shown]
	v_lshrrev_b32_e32 v107, 16, v91
	v_cndmask_b32_e64 v89, v89, v87, s20
	v_cndmask_b32_e64 v85, v85, v87, s21
	;; [unrolled: 1-line block ×11, first 2 shown]
	v_lshrrev_b32_e32 v108, 16, v92
	v_cndmask_b32_e64 v81, v81, v92, s6
	v_cndmask_b32_e64 v87, v87, v88, s25
	;; [unrolled: 1-line block ×12, first 2 shown]
	v_perm_b32 v77, v83, v82, 0x5040100
	v_perm_b32 v84, v86, v85, 0x5040100
	v_perm_b32 v83, v88, v87, 0x5040100
	v_perm_b32 v82, v89, v96, 0x5040100
	v_perm_b32 v81, v81, v95, 0x5040100
	s_lshl_b32 s7, s33, 3
	s_mov_b32 s2, exec_lo
	ds_store_b128 v73, v[77:80]
	ds_store_b128 v73, v[81:84] offset:1024
	v_cmpx_gt_u32_e32 8, v0
	s_cbranch_execz .LBB997_14
; %bb.13:
	v_or_b32_e32 v77, s31, v0
	s_load_b128 s[8:11], s[0:1], 0x58
	s_delay_alu instid0(VALU_DEP_1) | instskip(NEXT) | instid1(VALU_DEP_1)
	v_mad_u64_u32 v[78:79], null, s7, s30, v[77:78]
	v_mad_u64_u32 v[79:80], null, v78, s34, s[14:15]
	s_delay_alu instid0(VALU_DEP_1) | instskip(NEXT) | instid1(VALU_DEP_1)
	v_ashrrev_i32_e32 v80, 31, v79
	v_lshlrev_b64 v[77:78], 2, v[79:80]
	s_waitcnt lgkmcnt(0)
	s_delay_alu instid0(VALU_DEP_1) | instskip(NEXT) | instid1(VALU_DEP_2)
	v_add_co_u32 v79, vcc_lo, s10, v77
	v_add_co_ci_u32_e32 v80, vcc_lo, s11, v78, vcc_lo
	v_add_co_u32 v77, vcc_lo, s8, v77
	v_add_co_ci_u32_e32 v78, vcc_lo, s9, v78, vcc_lo
	global_store_b32 v[79:80], v75, off
	global_store_b32 v[77:78], v76, off
.LBB997_14:
	s_or_b32 exec_lo, exec_lo, s2
	s_waitcnt lgkmcnt(0)
	s_waitcnt_vscnt null, 0x0
	s_barrier
	buffer_gl0_inv
	ds_load_b128 v[83:86], v72
	ds_load_b128 v[87:90], v72 offset:16
	ds_load_b128 v[95:98], v72 offset:2064
	;; [unrolled: 1-line block ×5, first 2 shown]
	v_cmp_eq_u32_e32 vcc_lo, 1, v69
	v_mov_b32_e32 v75, 0
	ds_load_b128 v[111:114], v72 offset:6160
	ds_load_b128 v[107:110], v72 offset:6144
	;; [unrolled: 1-line block ×4, first 2 shown]
	v_cmp_eq_u32_e64 s3, 1, v68
	v_cmp_eq_u32_e64 s2, 1, v71
	;; [unrolled: 1-line block ×3, first 2 shown]
	v_mov_b32_e32 v76, v75
	v_mov_b32_e32 v77, v75
	;; [unrolled: 1-line block ×7, first 2 shown]
	v_cmp_eq_u32_e64 s5, 3, v71
	v_cmp_eq_u32_e64 s6, 7, v71
	s_waitcnt lgkmcnt(8)
	s_delay_alu instid0(VALU_DEP_3)
	v_wmma_f32_16x16x16_f16 v[75:82], v[49:56], v[83:90], v[75:82]
	ds_load_b128 v[53:56], v72 offset:10256
	ds_load_b128 v[49:52], v72 offset:10240
	s_waitcnt lgkmcnt(8)
	v_wmma_f32_16x16x16_f16 v[75:82], v[41:48], v[91:98], v[75:82]
	ds_load_b128 v[45:48], v72 offset:12304
	ds_load_b128 v[41:44], v72 offset:12288
	s_waitcnt lgkmcnt(8)
	;; [unrolled: 4-line block ×3, first 2 shown]
	s_barrier
	buffer_gl0_inv
	v_wmma_f32_16x16x16_f16 v[75:82], v[1:8], v[107:114], v[75:82]
	s_delay_alu instid0(VALU_DEP_1) | instskip(NEXT) | instid1(VALU_DEP_1)
	v_wmma_f32_16x16x16_f16 v[75:82], v[9:16], v[115:122], v[75:82]
	v_wmma_f32_16x16x16_f16 v[75:82], v[17:24], v[49:56], v[75:82]
	s_delay_alu instid0(VALU_DEP_1) | instskip(NEXT) | instid1(VALU_DEP_1)
	v_wmma_f32_16x16x16_f16 v[75:82], v[25:32], v[41:48], v[75:82]
	v_wmma_f32_16x16x16_f16 v[75:82], v[57:64], v[33:40], v[75:82]
	s_delay_alu instid0(VALU_DEP_1) | instskip(NEXT) | instid1(VALU_DEP_2)
	v_cvt_f16_f32_e32 v1, v75
	v_cvt_f16_f32_e32 v2, v76
	s_delay_alu instid0(VALU_DEP_3) | instskip(NEXT) | instid1(VALU_DEP_4)
	v_cvt_f16_f32_e32 v3, v77
	v_cvt_f16_f32_e32 v4, v78
	;; [unrolled: 1-line block ×6, first 2 shown]
	v_pack_b32_f16 v1, v1, v2
	v_pack_b32_f16 v2, v3, v4
	;; [unrolled: 1-line block ×3, first 2 shown]
	s_delay_alu instid0(VALU_DEP_4)
	v_pack_b32_f16 v4, v7, v8
	ds_store_b128 v73, v[1:4]
	s_waitcnt lgkmcnt(0)
	s_barrier
	buffer_gl0_inv
	ds_load_b128 v[1:4], v74
	ds_load_b128 v[5:8], v74 offset:16
	s_waitcnt lgkmcnt(1)
	v_lshrrev_b32_e32 v9, 16, v1
	s_waitcnt lgkmcnt(0)
	v_lshrrev_b32_e32 v13, 16, v5
	v_lshrrev_b32_e32 v10, 16, v2
	;; [unrolled: 1-line block ×4, first 2 shown]
	v_cndmask_b32_e32 v17, v1, v9, vcc_lo
	v_cndmask_b32_e32 v18, v5, v13, vcc_lo
	v_cndmask_b32_e64 v21, v1, v9, s3
	v_cmp_eq_u32_e32 vcc_lo, 1, v70
	v_cndmask_b32_e64 v22, v5, v13, s3
	v_cmp_eq_u32_e64 s3, 2, v69
	v_cndmask_b32_e64 v19, v1, v9, s2
	v_cndmask_b32_e64 v20, v5, v13, s2
	v_cndmask_b32_e32 v1, v1, v9, vcc_lo
	v_cmp_eq_u32_e64 s2, 2, v70
	v_cndmask_b32_e32 v5, v5, v13, vcc_lo
	v_cndmask_b32_e64 v9, v17, v2, s3
	v_cmp_eq_u32_e32 vcc_lo, 3, v69
	v_cndmask_b32_e64 v13, v18, v6, s3
	v_cmp_eq_u32_e64 s3, 2, v68
	v_cndmask_b32_e64 v17, v19, v2, s4
	v_cndmask_b32_e64 v18, v20, v6, s4
	v_cmp_eq_u32_e64 s4, 3, v68
	v_cndmask_b32_e64 v1, v1, v2, s2
	v_cndmask_b32_e64 v19, v21, v2, s3
	v_cndmask_b32_e64 v20, v22, v6, s3
	v_cndmask_b32_e64 v2, v5, v6, s2
	v_cndmask_b32_e32 v5, v9, v10, vcc_lo
	v_cndmask_b32_e32 v6, v13, v14, vcc_lo
	v_cmp_eq_u32_e32 vcc_lo, 3, v70
	v_cndmask_b32_e64 v9, v17, v10, s5
	v_cndmask_b32_e64 v13, v18, v14, s5
	;; [unrolled: 1-line block ×3, first 2 shown]
	v_cmp_eq_u32_e64 s3, 4, v69
	v_cndmask_b32_e32 v1, v1, v10, vcc_lo
	v_cndmask_b32_e32 v2, v2, v14, vcc_lo
	v_cmp_eq_u32_e32 vcc_lo, 4, v71
	v_lshrrev_b32_e32 v15, 16, v7
	v_lshrrev_b32_e32 v16, 16, v8
	v_cndmask_b32_e64 v17, v19, v10, s4
	v_cmp_eq_u32_e64 s2, 4, v70
	v_cndmask_b32_e64 v5, v5, v3, s3
	v_cndmask_b32_e64 v6, v6, v7, s3
	v_cndmask_b32_e32 v9, v9, v3, vcc_lo
	v_cmp_eq_u32_e64 s3, 5, v71
	v_cndmask_b32_e32 v10, v13, v7, vcc_lo
	v_cmp_eq_u32_e32 vcc_lo, 4, v68
	v_cmp_eq_u32_e64 s4, 5, v69
	v_cndmask_b32_e64 v2, v2, v7, s2
	v_cndmask_b32_e64 v9, v9, v11, s3
	v_cndmask_b32_e64 v10, v10, v15, s3
	v_cndmask_b32_e32 v13, v17, v3, vcc_lo
	v_cmp_eq_u32_e64 s3, 5, v68
	v_cndmask_b32_e32 v14, v18, v7, vcc_lo
	v_cndmask_b32_e64 v1, v1, v3, s2
	v_cmp_eq_u32_e32 vcc_lo, 5, v70
	v_lshrrev_b32_e32 v12, 16, v4
	v_cndmask_b32_e64 v13, v13, v11, s3
	v_cndmask_b32_e64 v3, v14, v15, s3
	v_cmp_eq_u32_e64 s3, 6, v70
	v_cndmask_b32_e32 v1, v1, v11, vcc_lo
	v_cndmask_b32_e64 v5, v5, v11, s4
	v_cmp_eq_u32_e64 s5, 6, v69
	v_cndmask_b32_e64 v6, v6, v15, s4
	v_cmp_eq_u32_e64 s4, 6, v71
	v_cmp_eq_u32_e64 s2, 6, v68
	v_cndmask_b32_e64 v1, v1, v4, s3
	v_cndmask_b32_e32 v2, v2, v15, vcc_lo
	v_cmp_eq_u32_e32 vcc_lo, 7, v70
	v_cndmask_b32_e64 v5, v5, v4, s5
	v_cndmask_b32_e64 v9, v9, v4, s4
	;; [unrolled: 1-line block ×3, first 2 shown]
	v_cmp_eq_u32_e64 s5, 7, v69
	v_cndmask_b32_e32 v1, v1, v12, vcc_lo
	v_cndmask_b32_e64 v7, v13, v4, s2
	v_cndmask_b32_e64 v3, v3, v8, s2
	;; [unrolled: 1-line block ×3, first 2 shown]
	v_cmp_eq_u32_e64 s2, 7, v68
	v_cndmask_b32_e64 v4, v10, v8, s4
	v_cndmask_b32_e64 v5, v5, v12, s5
	;; [unrolled: 1-line block ×3, first 2 shown]
	v_cndmask_b32_e32 v2, v2, v16, vcc_lo
	v_cndmask_b32_e64 v7, v7, v12, s2
	v_cndmask_b32_e64 v3, v3, v16, s2
	;; [unrolled: 1-line block ×4, first 2 shown]
	v_perm_b32 v4, v2, v1, 0x5040100
	s_mov_b32 s2, exec_lo
	v_perm_b32 v3, v3, v7, 0x5040100
	v_perm_b32 v2, v8, v9, 0x5040100
	;; [unrolled: 1-line block ×3, first 2 shown]
	ds_store_b128 v73, v[1:4]
	s_waitcnt lgkmcnt(0)
	s_barrier
	buffer_gl0_inv
	v_cmpx_gt_u32_e32 32, v0
	s_cbranch_execz .LBB997_2
; %bb.15:
	s_load_b64 s[0:1], s[0:1], 0x68
	s_lshl_b32 s4, s34, 7
	v_or_b32_e32 v2, s31, v66
	s_mul_i32 s2, s4, s30
	v_lshlrev_b32_e32 v1, 10, v0
	s_mul_i32 s2, s2, s7
	v_lshlrev_b32_e32 v3, 4, v67
	v_mul_lo_u32 v0, v2, s4
	s_ashr_i32 s3, s2, 31
	v_lshlrev_b32_e32 v4, 6, v66
	v_and_b32_e32 v1, 0x3800, v1
	v_or_b32_e32 v5, 2, v2
	s_lshl_b64 s[2:3], s[2:3], 1
	v_or_b32_e32 v6, 4, v2
	v_or_b32_e32 v7, 6, v2
	v_or3_b32 v12, v1, v3, v4
	v_ashrrev_i32_e32 v1, 31, v0
	v_mul_lo_u32 v2, v5, s4
	v_mul_lo_u32 v16, v6, s4
	;; [unrolled: 1-line block ×3, first 2 shown]
	s_waitcnt lgkmcnt(0)
	s_add_u32 s2, s0, s2
	s_addc_u32 s3, s1, s3
	s_lshl_b32 s0, s14, 7
	v_lshlrev_b64 v[0:1], 1, v[0:1]
	s_ashr_i32 s1, s0, 31
	v_ashrrev_i32_e32 v3, 31, v2
	s_lshl_b64 s[0:1], s[0:1], 1
	v_ashrrev_i32_e32 v17, 31, v16
	s_add_u32 s0, s2, s0
	s_addc_u32 s1, s3, s1
	v_add_co_u32 v24, s0, s0, v65
	s_delay_alu instid0(VALU_DEP_1) | instskip(SKIP_1) | instid1(VALU_DEP_3)
	v_add_co_ci_u32_e64 v25, null, s1, 0, s0
	v_lshlrev_b64 v[22:23], 1, v[2:3]
	v_add_co_u32 v18, vcc_lo, v24, v0
	s_delay_alu instid0(VALU_DEP_3)
	v_add_co_ci_u32_e32 v19, vcc_lo, v25, v1, vcc_lo
	ds_load_b128 v[0:3], v12
	ds_load_b128 v[4:7], v12 offset:128
	ds_load_b128 v[8:11], v12 offset:256
	ds_load_b128 v[12:15], v12 offset:384
	v_ashrrev_i32_e32 v21, 31, v20
	v_lshlrev_b64 v[16:17], 1, v[16:17]
	v_add_co_u32 v22, vcc_lo, v24, v22
	v_add_co_ci_u32_e32 v23, vcc_lo, v25, v23, vcc_lo
	s_delay_alu instid0(VALU_DEP_4) | instskip(NEXT) | instid1(VALU_DEP_4)
	v_lshlrev_b64 v[20:21], 1, v[20:21]
	v_add_co_u32 v16, vcc_lo, v24, v16
	v_add_co_ci_u32_e32 v17, vcc_lo, v25, v17, vcc_lo
	s_delay_alu instid0(VALU_DEP_3) | instskip(NEXT) | instid1(VALU_DEP_4)
	v_add_co_u32 v20, vcc_lo, v24, v20
	v_add_co_ci_u32_e32 v21, vcc_lo, v25, v21, vcc_lo
	s_waitcnt lgkmcnt(3)
	global_store_b128 v[18:19], v[0:3], off
	s_waitcnt lgkmcnt(2)
	global_store_b128 v[22:23], v[4:7], off
	;; [unrolled: 2-line block ×4, first 2 shown]
	s_nop 0
	s_sendmsg sendmsg(MSG_DEALLOC_VGPRS)
	s_endpgm
	.section	.rodata,"a",@progbits
	.p2align	6, 0x0
	.amdhsa_kernel _Z39paged_attention_ll4mi_QKV_mfma16_kernelIDF16_hLN4vllm18Fp8KVCacheDataTypeE1EDF16_Li16ELi128ELi256ELb0ELi8EL8MFMAType1EEvPKT_PKT0_S8_ifPKiSA_SA_iPKfiiiPfSD_PS3_PT2_iSC_SC_
		.amdhsa_group_segment_fixed_size 17472
		.amdhsa_private_segment_fixed_size 0
		.amdhsa_kernarg_size 400
		.amdhsa_user_sgpr_count 13
		.amdhsa_user_sgpr_dispatch_ptr 0
		.amdhsa_user_sgpr_queue_ptr 0
		.amdhsa_user_sgpr_kernarg_segment_ptr 1
		.amdhsa_user_sgpr_dispatch_id 0
		.amdhsa_user_sgpr_private_segment_size 0
		.amdhsa_wavefront_size32 1
		.amdhsa_uses_dynamic_stack 0
		.amdhsa_enable_private_segment 0
		.amdhsa_system_sgpr_workgroup_id_x 1
		.amdhsa_system_sgpr_workgroup_id_y 1
		.amdhsa_system_sgpr_workgroup_id_z 1
		.amdhsa_system_sgpr_workgroup_info 0
		.amdhsa_system_vgpr_workitem_id 0
		.amdhsa_next_free_vgpr 140
		.amdhsa_next_free_sgpr 36
		.amdhsa_reserve_vcc 1
		.amdhsa_float_round_mode_32 0
		.amdhsa_float_round_mode_16_64 0
		.amdhsa_float_denorm_mode_32 3
		.amdhsa_float_denorm_mode_16_64 3
		.amdhsa_dx10_clamp 1
		.amdhsa_ieee_mode 1
		.amdhsa_fp16_overflow 0
		.amdhsa_workgroup_processor_mode 1
		.amdhsa_memory_ordered 1
		.amdhsa_forward_progress 0
		.amdhsa_shared_vgpr_count 0
		.amdhsa_exception_fp_ieee_invalid_op 0
		.amdhsa_exception_fp_denorm_src 0
		.amdhsa_exception_fp_ieee_div_zero 0
		.amdhsa_exception_fp_ieee_overflow 0
		.amdhsa_exception_fp_ieee_underflow 0
		.amdhsa_exception_fp_ieee_inexact 0
		.amdhsa_exception_int_div_zero 0
	.end_amdhsa_kernel
	.section	.text._Z39paged_attention_ll4mi_QKV_mfma16_kernelIDF16_hLN4vllm18Fp8KVCacheDataTypeE1EDF16_Li16ELi128ELi256ELb0ELi8EL8MFMAType1EEvPKT_PKT0_S8_ifPKiSA_SA_iPKfiiiPfSD_PS3_PT2_iSC_SC_,"axG",@progbits,_Z39paged_attention_ll4mi_QKV_mfma16_kernelIDF16_hLN4vllm18Fp8KVCacheDataTypeE1EDF16_Li16ELi128ELi256ELb0ELi8EL8MFMAType1EEvPKT_PKT0_S8_ifPKiSA_SA_iPKfiiiPfSD_PS3_PT2_iSC_SC_,comdat
.Lfunc_end997:
	.size	_Z39paged_attention_ll4mi_QKV_mfma16_kernelIDF16_hLN4vllm18Fp8KVCacheDataTypeE1EDF16_Li16ELi128ELi256ELb0ELi8EL8MFMAType1EEvPKT_PKT0_S8_ifPKiSA_SA_iPKfiiiPfSD_PS3_PT2_iSC_SC_, .Lfunc_end997-_Z39paged_attention_ll4mi_QKV_mfma16_kernelIDF16_hLN4vllm18Fp8KVCacheDataTypeE1EDF16_Li16ELi128ELi256ELb0ELi8EL8MFMAType1EEvPKT_PKT0_S8_ifPKiSA_SA_iPKfiiiPfSD_PS3_PT2_iSC_SC_
                                        ; -- End function
	.section	.AMDGPU.csdata,"",@progbits
; Kernel info:
; codeLenInByte = 6620
; NumSgprs: 38
; NumVgprs: 140
; ScratchSize: 0
; MemoryBound: 0
; FloatMode: 240
; IeeeMode: 1
; LDSByteSize: 17472 bytes/workgroup (compile time only)
; SGPRBlocks: 4
; VGPRBlocks: 17
; NumSGPRsForWavesPerEU: 38
; NumVGPRsForWavesPerEU: 140
; Occupancy: 10
; WaveLimiterHint : 1
; COMPUTE_PGM_RSRC2:SCRATCH_EN: 0
; COMPUTE_PGM_RSRC2:USER_SGPR: 13
; COMPUTE_PGM_RSRC2:TRAP_HANDLER: 0
; COMPUTE_PGM_RSRC2:TGID_X_EN: 1
; COMPUTE_PGM_RSRC2:TGID_Y_EN: 1
; COMPUTE_PGM_RSRC2:TGID_Z_EN: 1
; COMPUTE_PGM_RSRC2:TIDIG_COMP_CNT: 0
	.section	.text._Z39paged_attention_ll4mi_QKV_mfma16_kernelIDF16_hLN4vllm18Fp8KVCacheDataTypeE1EDF16_Li16ELi128ELi256ELb0ELi9EL8MFMAType1EEvPKT_PKT0_S8_ifPKiSA_SA_iPKfiiiPfSD_PS3_PT2_iSC_SC_,"axG",@progbits,_Z39paged_attention_ll4mi_QKV_mfma16_kernelIDF16_hLN4vllm18Fp8KVCacheDataTypeE1EDF16_Li16ELi128ELi256ELb0ELi9EL8MFMAType1EEvPKT_PKT0_S8_ifPKiSA_SA_iPKfiiiPfSD_PS3_PT2_iSC_SC_,comdat
	.protected	_Z39paged_attention_ll4mi_QKV_mfma16_kernelIDF16_hLN4vllm18Fp8KVCacheDataTypeE1EDF16_Li16ELi128ELi256ELb0ELi9EL8MFMAType1EEvPKT_PKT0_S8_ifPKiSA_SA_iPKfiiiPfSD_PS3_PT2_iSC_SC_ ; -- Begin function _Z39paged_attention_ll4mi_QKV_mfma16_kernelIDF16_hLN4vllm18Fp8KVCacheDataTypeE1EDF16_Li16ELi128ELi256ELb0ELi9EL8MFMAType1EEvPKT_PKT0_S8_ifPKiSA_SA_iPKfiiiPfSD_PS3_PT2_iSC_SC_
	.globl	_Z39paged_attention_ll4mi_QKV_mfma16_kernelIDF16_hLN4vllm18Fp8KVCacheDataTypeE1EDF16_Li16ELi128ELi256ELb0ELi9EL8MFMAType1EEvPKT_PKT0_S8_ifPKiSA_SA_iPKfiiiPfSD_PS3_PT2_iSC_SC_
	.p2align	8
	.type	_Z39paged_attention_ll4mi_QKV_mfma16_kernelIDF16_hLN4vllm18Fp8KVCacheDataTypeE1EDF16_Li16ELi128ELi256ELb0ELi9EL8MFMAType1EEvPKT_PKT0_S8_ifPKiSA_SA_iPKfiiiPfSD_PS3_PT2_iSC_SC_,@function
_Z39paged_attention_ll4mi_QKV_mfma16_kernelIDF16_hLN4vllm18Fp8KVCacheDataTypeE1EDF16_Li16ELi128ELi256ELb0ELi9EL8MFMAType1EEvPKT_PKT0_S8_ifPKiSA_SA_iPKfiiiPfSD_PS3_PT2_iSC_SC_: ; @_Z39paged_attention_ll4mi_QKV_mfma16_kernelIDF16_hLN4vllm18Fp8KVCacheDataTypeE1EDF16_Li16ELi128ELi256ELb0ELi9EL8MFMAType1EEvPKT_PKT0_S8_ifPKiSA_SA_iPKfiiiPfSD_PS3_PT2_iSC_SC_
; %bb.0:
	s_load_b64 s[4:5], s[0:1], 0x30
	s_mov_b32 s34, s13
	s_waitcnt lgkmcnt(0)
	s_cmp_lg_u64 s[4:5], 0
	s_cselect_b32 s8, -1, 0
	s_ashr_i32 s35, s13, 31
	s_cmp_eq_u64 s[4:5], 0
	s_cbranch_scc1 .LBB998_3
; %bb.1:
	s_lshl_b64 s[2:3], s[34:35], 2
	s_delay_alu instid0(SALU_CYCLE_1) | instskip(SKIP_4) | instid1(SALU_CYCLE_1)
	s_add_u32 s2, s4, s2
	s_addc_u32 s3, s5, s3
	s_load_b64 s[2:3], s[2:3], 0x0
	s_waitcnt lgkmcnt(0)
	s_sub_i32 s2, s3, s2
	s_cmp_eq_u32 s2, 1
	s_cselect_b32 s2, -1, 0
	s_delay_alu instid0(SALU_CYCLE_1)
	s_and_not1_b32 vcc_lo, exec_lo, s2
	s_cbranch_vccz .LBB998_4
.LBB998_2:
	s_nop 0
	s_sendmsg sendmsg(MSG_DEALLOC_VGPRS)
	s_endpgm
.LBB998_3:
.LBB998_4:
	s_load_b64 s[2:3], s[0:1], 0x28
	s_lshl_b64 s[6:7], s[34:35], 2
	s_waitcnt lgkmcnt(0)
	s_add_u32 s2, s2, s6
	s_addc_u32 s3, s3, s7
	s_lshl_b32 s12, s14, 8
	s_load_b32 s24, s[2:3], 0x0
	s_waitcnt lgkmcnt(0)
	s_cmp_ge_i32 s12, s24
	s_cbranch_scc1 .LBB998_2
; %bb.5:
	s_clause 0x1
	s_load_b128 s[20:23], s[0:1], 0x8
	s_load_b64 s[2:3], s[0:1], 0x20
	s_and_not1_b32 vcc_lo, exec_lo, s8
	s_cbranch_vccnz .LBB998_7
; %bb.6:
	s_add_u32 s4, s4, s6
	s_addc_u32 s5, s5, s7
	s_load_b32 s5, s[4:5], 0x0
	s_branch .LBB998_8
.LBB998_7:
	s_mov_b32 s5, s34
.LBB998_8:
	s_load_b128 s[16:19], s[0:1], 0x48
	v_and_b32_e32 v68, 15, v0
	v_lshrrev_b32_e32 v69, 5, v0
	v_bfe_u32 v66, v0, 4, 1
	v_and_b32_e32 v70, 31, v0
	v_and_b32_e32 v67, 1, v0
	v_lshlrev_b32_e32 v2, 3, v68
	s_mul_i32 s31, s15, 9
	v_lshl_or_b32 v1, v69, 1, v66
	s_mov_b32 s4, exec_lo
	s_delay_alu instid0(VALU_DEP_2) | instskip(NEXT) | instid1(VALU_DEP_2)
	v_lshlrev_b32_e32 v65, 1, v2
	v_cmpx_gt_u32_e32 9, v1
	s_cbranch_execz .LBB998_10
; %bb.9:
	s_load_b64 s[6:7], s[0:1], 0x0
	v_add_lshl_u32 v2, v1, s31, 7
	s_waitcnt lgkmcnt(0)
	s_mul_hi_i32 s9, s5, s16
	s_mul_i32 s8, s5, s16
	v_lshlrev_b32_e32 v6, 10, v68
	s_lshl_b64 s[8:9], s[8:9], 1
	v_ashrrev_i32_e32 v3, 31, v2
	v_lshlrev_b32_e32 v1, 6, v1
	v_lshlrev_b32_e32 v7, 10, v67
	v_and_b32_e32 v6, 0x3800, v6
	s_delay_alu instid0(VALU_DEP_4) | instskip(NEXT) | instid1(VALU_DEP_2)
	v_lshlrev_b64 v[2:3], 1, v[2:3]
	v_or3_b32 v1, v6, v7, v1
	s_add_u32 s5, s6, s8
	s_addc_u32 s6, s7, s9
	s_delay_alu instid0(VALU_DEP_2) | instskip(NEXT) | instid1(VALU_DEP_3)
	v_add_co_u32 v2, vcc_lo, s5, v2
	v_add_co_ci_u32_e32 v3, vcc_lo, s6, v3, vcc_lo
	s_delay_alu instid0(VALU_DEP_2) | instskip(NEXT) | instid1(VALU_DEP_2)
	v_add_co_u32 v2, vcc_lo, v2, v65
	v_add_co_ci_u32_e32 v3, vcc_lo, 0, v3, vcc_lo
	global_load_b128 v[2:5], v[2:3], off
	s_waitcnt vmcnt(0)
	ds_store_b128 v1, v[2:5]
.LBB998_10:
	s_or_b32 exec_lo, exec_lo, s4
	v_and_b32_e32 v1, 0xef, v0
	s_waitcnt lgkmcnt(0)
	s_add_i32 s5, s24, 15
	s_clause 0x1
	s_load_b32 s4, s[0:1], 0x38
	s_load_b32 s33, s[0:1], 0x98
	s_ashr_i32 s6, s5, 31
	v_add_nc_u32_e32 v1, s12, v1
	s_lshr_b32 s6, s6, 28
	s_load_b32 s19, s[0:1], 0x1c
	s_add_i32 s5, s5, s6
	s_waitcnt lgkmcnt(0)
	v_ashrrev_i32_e32 v2, 31, v1
	v_or_b32_e32 v3, 16, v1
	s_ashr_i32 s13, s5, 4
	v_cmp_gt_i32_e32 vcc_lo, s24, v1
	s_add_i32 s13, s13, -1
	v_lshrrev_b32_e32 v2, 28, v2
	s_barrier
	buffer_gl0_inv
	s_mul_i32 s15, s15, s18
	v_add_nc_u32_e32 v4, v1, v2
	s_mul_i32 s4, s34, s4
	s_delay_alu instid0(SALU_CYCLE_1) | instskip(NEXT) | instid1(VALU_DEP_1)
	s_ashr_i32 s5, s4, 31
	v_ashrrev_i32_e32 v4, 4, v4
	v_add_nc_u32_e32 v2, v3, v2
	s_lshl_b64 s[4:5], s[4:5], 2
	s_delay_alu instid0(SALU_CYCLE_1) | instskip(NEXT) | instid1(VALU_DEP_2)
	s_add_u32 s16, s2, s4
	v_cndmask_b32_e32 v1, s13, v4, vcc_lo
	s_delay_alu instid0(VALU_DEP_2)
	v_ashrrev_i32_e32 v2, 4, v2
	v_cmp_gt_i32_e32 vcc_lo, s24, v3
	s_addc_u32 s25, s3, s5
	s_ashr_i32 s18, s15, 31
	s_add_u32 s26, s20, s15
	s_addc_u32 s27, s21, s18
	v_cndmask_b32_e32 v3, s13, v2, vcc_lo
	v_ashrrev_i32_e32 v2, 31, v1
	s_lshl_b32 s2, s14, 4
	s_delay_alu instid0(SALU_CYCLE_1) | instskip(NEXT) | instid1(VALU_DEP_2)
	s_ashr_i32 s3, s2, 31
	v_ashrrev_i32_e32 v4, 31, v3
	s_delay_alu instid0(VALU_DEP_2) | instskip(SKIP_1) | instid1(SALU_CYCLE_1)
	v_lshlrev_b64 v[1:2], 2, v[1:2]
	s_lshl_b64 s[2:3], s[2:3], 2
	s_add_u32 s2, s16, s2
	s_delay_alu instid0(VALU_DEP_2) | instskip(SKIP_1) | instid1(VALU_DEP_2)
	v_lshlrev_b64 v[3:4], 2, v[3:4]
	s_addc_u32 s3, s25, s3
	v_add_co_u32 v1, vcc_lo, s16, v1
	v_add_co_ci_u32_e32 v2, vcc_lo, s25, v2, vcc_lo
	s_delay_alu instid0(VALU_DEP_3) | instskip(NEXT) | instid1(VALU_DEP_4)
	v_add_co_u32 v3, vcc_lo, s16, v3
	v_add_co_ci_u32_e32 v4, vcc_lo, s25, v4, vcc_lo
	s_clause 0x1
	global_load_b32 v5, v[1:2], off
	global_load_b32 v7, v[3:4], off
	s_or_b32 s4, s12, 32
	v_lshlrev_b32_e32 v1, 4, v0
	s_ashr_i32 s5, s4, 4
	s_cmp_lt_i32 s4, s24
	v_cmp_gt_u32_e32 vcc_lo, 9, v68
	s_cselect_b32 s4, s5, s13
	v_and_b32_e32 v1, 0xf0, v1
	s_ashr_i32 s5, s4, 31
	s_delay_alu instid0(SALU_CYCLE_1) | instskip(NEXT) | instid1(SALU_CYCLE_1)
	s_lshl_b64 s[4:5], s[4:5], 2
	s_add_u32 s4, s16, s4
	s_addc_u32 s5, s25, s5
	s_or_b32 s6, s12, 64
	v_add_co_u32 v1, s26, s26, v1
	s_ashr_i32 s7, s6, 4
	s_cmp_lt_i32 s6, s24
	v_add_co_ci_u32_e64 v2, null, s27, 0, s26
	s_cselect_b32 s6, s7, s13
	s_delay_alu instid0(SALU_CYCLE_1) | instskip(NEXT) | instid1(SALU_CYCLE_1)
	s_ashr_i32 s7, s6, 31
	s_lshl_b64 s[6:7], s[6:7], 2
	s_delay_alu instid0(SALU_CYCLE_1) | instskip(SKIP_2) | instid1(SALU_CYCLE_1)
	s_add_u32 s6, s16, s6
	s_addc_u32 s7, s25, s7
	s_or_b32 s8, s12, 0x60
	s_ashr_i32 s9, s8, 4
	s_cmp_lt_i32 s8, s24
	s_cselect_b32 s8, s9, s13
	s_delay_alu instid0(SALU_CYCLE_1) | instskip(NEXT) | instid1(SALU_CYCLE_1)
	s_ashr_i32 s9, s8, 31
	s_lshl_b64 s[8:9], s[8:9], 2
	s_delay_alu instid0(SALU_CYCLE_1) | instskip(SKIP_2) | instid1(SALU_CYCLE_1)
	s_add_u32 s8, s16, s8
	s_addc_u32 s9, s25, s9
	s_or_b32 s10, s12, 0x80
	s_ashr_i32 s11, s10, 4
	s_cmp_lt_i32 s10, s24
	;; [unrolled: 10-line block ×3, first 2 shown]
	s_cselect_b32 s20, s21, s13
	s_delay_alu instid0(SALU_CYCLE_1) | instskip(NEXT) | instid1(SALU_CYCLE_1)
	s_ashr_i32 s21, s20, 31
	s_lshl_b64 s[20:21], s[20:21], 2
	s_delay_alu instid0(SALU_CYCLE_1)
	s_add_u32 s20, s16, s20
	s_addc_u32 s21, s25, s21
	s_clause 0x5
	s_load_b32 s26, s[2:3], 0x0
	s_load_b32 s27, s[4:5], 0x0
	;; [unrolled: 1-line block ×6, first 2 shown]
	s_or_b32 s2, s12, 0xc0
	s_mov_b32 s4, 0
	s_ashr_i32 s3, s2, 4
	s_cmp_lt_i32 s2, s24
	s_mov_b32 s11, s4
	s_cselect_b32 s2, s3, s13
	s_mov_b32 s5, s4
	s_ashr_i32 s3, s2, 31
	s_mov_b32 s6, s4
	s_lshl_b64 s[2:3], s[2:3], 2
	s_mov_b32 s7, s4
	s_add_u32 s2, s16, s2
	s_addc_u32 s3, s25, s3
	s_or_b32 s20, s12, 0xe0
	s_mov_b32 s8, s4
	s_ashr_i32 s21, s20, 4
	s_cmp_lt_i32 s20, s24
	s_mov_b32 s9, s4
	s_cselect_b32 s20, s21, s13
	s_mov_b32 s10, s4
	s_ashr_i32 s21, s20, 31
	v_mov_b32_e32 v118, s11
	v_dual_mov_b32 v112, s5 :: v_dual_mov_b32 v117, s10
	v_dual_mov_b32 v116, s9 :: v_dual_mov_b32 v115, s8
	v_dual_mov_b32 v114, s7 :: v_dual_mov_b32 v113, s6
	v_mov_b32_e32 v111, s4
	s_lshl_b64 s[4:5], s[20:21], 2
	s_delay_alu instid0(SALU_CYCLE_1)
	s_add_u32 s4, s16, s4
	s_addc_u32 s5, s25, s5
	s_add_u32 s6, s22, s15
	s_addc_u32 s7, s23, s18
	s_waitcnt vmcnt(1)
	v_mad_i64_i32 v[3:4], null, v5, s17, v[1:2]
	s_waitcnt vmcnt(0)
	v_mad_i64_i32 v[5:6], null, v7, s17, v[1:2]
	v_add_nc_u32_e32 v1, -9, v68
	v_lshlrev_b32_e32 v2, 4, v68
	s_clause 0xf
	global_load_b128 v[17:20], v[3:4], off
	global_load_b128 v[21:24], v[3:4], off offset:256
	global_load_b128 v[25:28], v[5:6], off
	global_load_b128 v[29:32], v[5:6], off offset:256
	global_load_b128 v[57:60], v[3:4], off offset:512
	;; [unrolled: 1-line block ×13, first 2 shown]
	v_cndmask_b32_e32 v1, v1, v68, vcc_lo
	s_delay_alu instid0(VALU_DEP_1)
	v_lshlrev_b32_e32 v149, 6, v1
	v_lshl_or_b32 v1, v69, 8, v2
	ds_load_b128 v[119:122], v149
	ds_load_b128 v[123:126], v149 offset:1024
	ds_load_b128 v[127:130], v149 offset:2048
	ds_load_b128 v[131:134], v149 offset:3072
	s_clause 0x1
	s_load_b32 s2, s[2:3], 0x0
	s_load_b32 s3, s[4:5], 0x0
	v_add_co_u32 v135, s6, s6, v1
	s_delay_alu instid0(VALU_DEP_1) | instskip(SKIP_1) | instid1(VALU_DEP_1)
	v_add_co_ci_u32_e64 v136, null, s7, 0, s6
	s_waitcnt lgkmcnt(0)
	v_mad_i64_i32 v[1:2], null, s26, s17, v[135:136]
	v_mad_i64_i32 v[3:4], null, s27, s17, v[135:136]
	;; [unrolled: 1-line block ×6, first 2 shown]
	s_clause 0x9
	global_load_b128 v[49:52], v[1:2], off
	global_load_b128 v[53:56], v[1:2], off offset:16
	global_load_b128 v[41:44], v[3:4], off
	global_load_b128 v[45:48], v[3:4], off offset:16
	;; [unrolled: 2-line block ×5, first 2 shown]
	v_mad_i64_i32 v[145:146], null, s2, s17, v[135:136]
	v_mad_i64_i32 v[147:148], null, s3, s17, v[135:136]
	s_waitcnt vmcnt(24)
	v_wmma_f32_16x16x16_f16 v[135:142], v[17:24], v[119:126], v[111:118]
	s_waitcnt vmcnt(22)
	v_wmma_f32_16x16x16_f16 v[111:118], v[25:32], v[119:126], v[111:118]
	s_clause 0x3
	global_load_b128 v[17:20], v[143:144], off
	global_load_b128 v[21:24], v[143:144], off offset:16
	global_load_b128 v[25:28], v[145:146], off
	global_load_b128 v[29:32], v[145:146], off offset:16
	v_and_b32_e32 v119, 0xe0, v0
	s_waitcnt vmcnt(24)
	v_wmma_f32_16x16x16_f16 v[135:142], v[57:64], v[127:134], v[135:142]
	s_clause 0x1
	global_load_b128 v[57:60], v[147:148], off
	global_load_b128 v[61:64], v[147:148], off offset:16
	s_waitcnt vmcnt(24)
	v_wmma_f32_16x16x16_f16 v[111:118], v[71:78], v[127:134], v[111:118]
	ds_load_b128 v[71:74], v149 offset:4096
	ds_load_b128 v[75:78], v149 offset:5120
	v_add_nc_u32_e32 v128, s12, v119
	ds_load_b128 v[119:122], v149 offset:6144
	ds_load_b128 v[123:126], v149 offset:7168
	v_mbcnt_lo_u32_b32 v127, -1, 0
	s_waitcnt vmcnt(0) lgkmcnt(0)
	s_barrier
	v_or_b32_e32 v128, v128, v66
	buffer_gl0_inv
	v_xor_b32_e32 v129, 16, v127
	v_or_b32_e32 v130, 4, v128
	v_or_b32_e32 v131, 6, v128
	s_delay_alu instid0(VALU_DEP_3) | instskip(SKIP_4) | instid1(VALU_DEP_4)
	v_cmp_gt_i32_e32 vcc_lo, 32, v129
	v_or_b32_e32 v132, 8, v128
	v_or_b32_e32 v133, 10, v128
	v_cmp_gt_i32_e64 s3, s24, v130
	v_cmp_gt_i32_e64 s4, s24, v131
	;; [unrolled: 1-line block ×3, first 2 shown]
	v_wmma_f32_16x16x16_f16 v[135:142], v[79:86], v[71:78], v[135:142]
	v_wmma_f32_16x16x16_f16 v[111:118], v[87:94], v[71:78], v[111:118]
	v_or_b32_e32 v79, 12, v128
	v_or_b32_e32 v80, 14, v128
	v_cmp_gt_i32_e64 s6, s24, v133
	v_wmma_f32_16x16x16_f16 v[135:142], v[95:102], v[119:126], v[135:142]
	v_wmma_f32_16x16x16_f16 v[111:118], v[103:110], v[119:126], v[111:118]
	v_cndmask_b32_e32 v127, v127, v129, vcc_lo
	v_or_b32_e32 v129, 2, v128
	v_cmp_gt_i32_e32 vcc_lo, s24, v128
	v_mul_f32_e32 v88, s19, v135
	v_dual_mul_f32 v92, s19, v115 :: v_dual_mul_f32 v87, s19, v136
	s_delay_alu instid0(VALU_DEP_4)
	v_cmp_gt_i32_e64 s2, s24, v129
	v_mul_f32_e32 v78, s19, v138
	v_mul_f32_e32 v86, s19, v137
	v_cndmask_b32_e32 v88, 0xff7fffff, v88, vcc_lo
	v_mul_f32_e32 v76, s19, v140
	v_cndmask_b32_e64 v87, 0xff7fffff, v87, s2
	v_dual_mul_f32 v77, s19, v139 :: v_dual_mul_f32 v94, s19, v113
	v_cndmask_b32_e64 v86, 0xff7fffff, v86, s3
	v_cndmask_b32_e64 v78, 0xff7fffff, v78, s4
	s_delay_alu instid0(VALU_DEP_4)
	v_max3_f32 v87, v88, 0xff7fffff, v87
	v_or_b32_e32 v81, 16, v128
	v_or_b32_e32 v82, 18, v128
	v_dual_mul_f32 v74, s19, v142 :: v_dual_mul_f32 v75, s19, v141
	v_mul_f32_e32 v96, s19, v111
	v_cndmask_b32_e64 v77, 0xff7fffff, v77, s5
	v_cndmask_b32_e64 v76, 0xff7fffff, v76, s6
	v_max3_f32 v78, v87, v86, v78
	v_cmp_gt_i32_e64 s7, s24, v79
	v_cmp_gt_i32_e64 s8, s24, v80
	v_or_b32_e32 v83, 20, v128
	v_or_b32_e32 v84, 22, v128
	v_mul_f32_e32 v95, s19, v112
	v_cndmask_b32_e64 v75, 0xff7fffff, v75, s7
	v_cndmask_b32_e64 v74, 0xff7fffff, v74, s8
	v_max3_f32 v76, v78, v77, v76
	v_cmp_gt_i32_e64 s9, s24, v81
	v_cmp_gt_i32_e64 s10, s24, v82
	v_or_b32_e32 v85, 24, v128
	v_or_b32_e32 v71, 26, v128
	;; [unrolled: 8-line block ×3, first 2 shown]
	v_mul_f32_e32 v91, s19, v116
	v_cndmask_b32_e64 v75, 0xff7fffff, v94, s11
	v_cndmask_b32_e64 v76, 0xff7fffff, v93, s12
	v_max3_f32 v74, v74, v77, v78
	v_cmp_gt_i32_e64 s13, s24, v85
	v_cmp_gt_i32_e64 s15, s24, v71
	v_dual_mul_f32 v89, s19, v118 :: v_dual_mul_f32 v90, s19, v117
	s_delay_alu instid0(VALU_DEP_4) | instskip(NEXT) | instid1(VALU_DEP_4)
	v_max3_f32 v74, v74, v75, v76
	v_cndmask_b32_e64 v77, 0xff7fffff, v92, s13
	s_delay_alu instid0(VALU_DEP_4) | instskip(SKIP_2) | instid1(VALU_DEP_3)
	v_cndmask_b32_e64 v71, 0xff7fffff, v91, s15
	v_cmp_gt_i32_e64 s16, s24, v72
	v_cmp_gt_i32_e64 s17, s24, v73
	v_max3_f32 v71, v74, v77, v71
	s_delay_alu instid0(VALU_DEP_3) | instskip(NEXT) | instid1(VALU_DEP_3)
	v_cndmask_b32_e64 v72, 0xff7fffff, v90, s16
	v_cndmask_b32_e64 v73, 0xff7fffff, v89, s17
	v_lshlrev_b32_e32 v74, 2, v127
	s_delay_alu instid0(VALU_DEP_2) | instskip(SKIP_3) | instid1(VALU_DEP_1)
	v_max3_f32 v71, v71, v72, v73
	ds_bpermute_b32 v72, v74, v71
	s_waitcnt lgkmcnt(0)
	v_max_f32_e32 v72, v72, v72
	v_max_f32_e32 v71, v71, v72
	s_delay_alu instid0(VALU_DEP_1) | instskip(SKIP_4) | instid1(VALU_DEP_4)
	v_fma_f32 v72, s19, v135, -v71
	v_fma_f32 v73, s19, v136, -v71
	;; [unrolled: 1-line block ×5, first 2 shown]
	v_dual_mul_f32 v72, 0x3fb8aa3b, v72 :: v_dual_mul_f32 v73, 0x3fb8aa3b, v73
	v_fma_f32 v80, s19, v141, -v71
	s_delay_alu instid0(VALU_DEP_3) | instskip(NEXT) | instid1(VALU_DEP_3)
	v_dual_mul_f32 v76, 0x3fb8aa3b, v76 :: v_dual_mul_f32 v77, 0x3fb8aa3b, v77
	v_exp_f32_e32 v72, v72
	s_delay_alu instid0(VALU_DEP_3) | instskip(NEXT) | instid1(VALU_DEP_2)
	v_exp_f32_e32 v73, v73
	v_mul_f32_e32 v82, 0x3fb8aa3b, v80
	s_delay_alu instid0(VALU_DEP_2) | instskip(SKIP_1) | instid1(VALU_DEP_1)
	v_exp_f32_e32 v76, v76
	v_exp_f32_e32 v77, v77
	;; [unrolled: 1-line block ×3, first 2 shown]
	v_cndmask_b32_e32 v79, 0, v72, vcc_lo
	v_fma_f32 v72, s19, v140, -v71
	v_mul_f32_e32 v75, 0x3fb8aa3b, v75
	v_cndmask_b32_e64 v78, 0, v73, s2
	s_delay_alu instid0(TRANS32_DEP_3) | instskip(NEXT) | instid1(VALU_DEP_4)
	v_cndmask_b32_e64 v80, 0, v76, s4
	v_dual_add_f32 v73, 0, v79 :: v_dual_mul_f32 v72, 0x3fb8aa3b, v72
	s_delay_alu instid0(VALU_DEP_4) | instskip(NEXT) | instid1(TRANS32_DEP_3)
	v_exp_f32_e32 v75, v75
	v_cndmask_b32_e64 v83, 0, v77, s5
	s_delay_alu instid0(TRANS32_DEP_2) | instskip(NEXT) | instid1(VALU_DEP_3)
	v_cndmask_b32_e64 v85, 0, v84, s7
	v_add_f32_e32 v73, v73, v78
	v_exp_f32_e32 v72, v72
	v_cmp_gt_u32_e64 s2, 16, v70
	s_waitcnt_depctr 0xfff
	v_cndmask_b32_e64 v81, 0, v75, s3
	v_cndmask_b32_e64 v82, 0, v72, s6
	s_delay_alu instid0(VALU_DEP_2) | instskip(NEXT) | instid1(VALU_DEP_1)
	v_add_f32_e32 v73, v73, v81
	v_add_f32_e32 v73, v73, v80
	s_delay_alu instid0(VALU_DEP_1) | instskip(NEXT) | instid1(VALU_DEP_1)
	v_add_f32_e32 v72, v73, v83
	v_add_f32_e32 v72, v72, v82
	s_delay_alu instid0(VALU_DEP_1)
	v_add_f32_e32 v72, v72, v85
	v_fma_f32 v76, s19, v111, -v71
	v_fma_f32 v75, s19, v142, -v71
	;; [unrolled: 1-line block ×5, first 2 shown]
	v_mul_f32_e32 v76, 0x3fb8aa3b, v76
	s_delay_alu instid0(VALU_DEP_4) | instskip(NEXT) | instid1(VALU_DEP_2)
	v_mul_f32_e32 v86, 0x3fb8aa3b, v86
	v_exp_f32_e32 v76, v76
	s_delay_alu instid0(VALU_DEP_1)
	v_exp_f32_e32 v88, v86
	s_waitcnt_depctr 0xfff
	v_cndmask_b32_e64 v87, 0, v76, s9
	v_fma_f32 v76, s19, v116, -v71
	v_mul_f32_e32 v75, 0x3fb8aa3b, v75
	v_cndmask_b32_e64 v88, 0, v88, s12
	s_delay_alu instid0(VALU_DEP_3) | instskip(NEXT) | instid1(VALU_DEP_3)
	v_dual_mul_f32 v73, 0x3fb8aa3b, v73 :: v_dual_mul_f32 v76, 0x3fb8aa3b, v76
	v_exp_f32_e32 v75, v75
	s_delay_alu instid0(VALU_DEP_1) | instskip(NEXT) | instid1(VALU_DEP_1)
	v_exp_f32_e32 v73, v73
	v_exp_f32_e32 v76, v76
	s_delay_alu instid0(TRANS32_DEP_3)
	v_cndmask_b32_e64 v84, 0, v75, s8
	v_fma_f32 v75, s19, v115, -v71
	s_waitcnt_depctr 0xfff
	v_cndmask_b32_e64 v89, 0, v73, s11
	v_cndmask_b32_e64 v90, 0, v76, s15
	v_add_f32_e32 v72, v72, v84
	s_delay_alu instid0(VALU_DEP_1) | instskip(NEXT) | instid1(VALU_DEP_1)
	v_dual_add_f32 v72, v72, v87 :: v_dual_mul_f32 v77, 0x3fb8aa3b, v77
	v_exp_f32_e32 v77, v77
	s_waitcnt_depctr 0xfff
	v_cndmask_b32_e64 v86, 0, v77, s10
	v_fma_f32 v77, s19, v117, -v71
	s_delay_alu instid0(VALU_DEP_2) | instskip(NEXT) | instid1(VALU_DEP_1)
	v_dual_add_f32 v72, v72, v86 :: v_dual_mul_f32 v75, 0x3fb8aa3b, v75
	v_add_f32_e32 v72, v72, v89
	s_delay_alu instid0(VALU_DEP_2) | instskip(NEXT) | instid1(VALU_DEP_1)
	v_exp_f32_e32 v75, v75
	v_add_f32_e32 v72, v72, v88
	s_waitcnt_depctr 0xfff
	v_cndmask_b32_e64 v91, 0, v75, s13
	v_mul_f32_e32 v73, 0x3fb8aa3b, v77
	v_fma_f32 v77, s19, v118, -v71
	s_delay_alu instid0(VALU_DEP_3) | instskip(NEXT) | instid1(VALU_DEP_3)
	v_add_f32_e32 v72, v72, v91
	v_exp_f32_e32 v73, v73
	s_delay_alu instid0(VALU_DEP_1) | instskip(NEXT) | instid1(VALU_DEP_1)
	v_dual_mul_f32 v75, 0x3fb8aa3b, v77 :: v_dual_add_f32 v72, v72, v90
	v_exp_f32_e32 v75, v75
	s_waitcnt_depctr 0xfff
	v_cndmask_b32_e64 v93, 0, v73, s16
	s_delay_alu instid0(VALU_DEP_1) | instskip(SKIP_1) | instid1(VALU_DEP_1)
	v_add_f32_e32 v72, v72, v93
	v_cndmask_b32_e64 v92, 0, v75, s17
	v_add_f32_e32 v72, v72, v92
	ds_bpermute_b32 v73, v74, v72
	s_and_saveexec_b32 s3, s2
	s_cbranch_execz .LBB998_12
; %bb.11:
	v_mul_u32_u24_e32 v70, 0x44, v69
	s_waitcnt lgkmcnt(0)
	v_add_f32_e32 v72, v72, v73
	s_delay_alu instid0(VALU_DEP_2) | instskip(NEXT) | instid1(VALU_DEP_1)
	v_lshl_add_u32 v70, v68, 2, v70
	v_add_nc_u32_e32 v70, 0x4000, v70
	ds_store_2addr_b32 v70, v71, v72 offset1:136
.LBB998_12:
	s_or_b32 exec_lo, exec_lo, s3
	v_lshlrev_b32_e32 v70, 2, v68
	s_load_b32 s35, s[0:1], 0x94
	s_waitcnt lgkmcnt(0)
	s_barrier
	buffer_gl0_inv
	v_add_nc_u32_e32 v98, 0x4000, v70
	v_cmp_eq_u32_e32 vcc_lo, 1, v69
	v_cmp_eq_u32_e64 s3, 2, v69
	v_cmp_eq_u32_e64 s4, 3, v69
	;; [unrolled: 1-line block ×3, first 2 shown]
	ds_load_2addr_b32 v[70:71], v98 offset1:17
	ds_load_2addr_b32 v[72:73], v98 offset0:34 offset1:51
	ds_load_2addr_b32 v[74:75], v98 offset0:68 offset1:85
	;; [unrolled: 1-line block ×3, first 2 shown]
	v_cmp_eq_u32_e64 s6, 5, v69
	v_cmp_eq_u32_e64 s7, 7, v69
	s_waitcnt lgkmcnt(3)
	v_max3_f32 v76, v70, 0xff7fffff, v71
	s_waitcnt lgkmcnt(2)
	s_delay_alu instid0(VALU_DEP_1) | instskip(SKIP_1) | instid1(VALU_DEP_1)
	v_max3_f32 v76, v76, v72, v73
	s_waitcnt lgkmcnt(1)
	v_max3_f32 v76, v76, v74, v75
	s_waitcnt lgkmcnt(0)
	s_delay_alu instid0(VALU_DEP_1) | instskip(NEXT) | instid1(VALU_DEP_1)
	v_max3_f32 v76, v76, v94, v95
	v_sub_f32_e32 v77, v71, v76
	ds_load_2addr_b32 v[96:97], v98 offset0:136 offset1:153
	v_sub_f32_e32 v74, v74, v76
	v_sub_f32_e32 v70, v70, v76
	;; [unrolled: 1-line block ×3, first 2 shown]
	v_dual_sub_f32 v72, v72, v76 :: v_dual_mul_f32 v77, 0x3fb8aa3b, v77
	s_delay_alu instid0(VALU_DEP_4) | instskip(NEXT) | instid1(VALU_DEP_4)
	v_mul_f32_e32 v103, 0x3fb8aa3b, v74
	v_mul_f32_e32 v99, 0x3fb8aa3b, v70
	ds_load_2addr_b32 v[70:71], v98 offset0:170 offset1:187
	v_dual_mul_f32 v101, 0x3fb8aa3b, v72 :: v_dual_mul_f32 v94, 0x3fb8aa3b, v94
	v_exp_f32_e32 v102, v77
	v_exp_f32_e32 v99, v99
	s_delay_alu instid0(VALU_DEP_1) | instskip(NEXT) | instid1(VALU_DEP_1)
	v_exp_f32_e32 v101, v101
	v_exp_f32_e32 v94, v94
	s_waitcnt lgkmcnt(1)
	s_delay_alu instid0(TRANS32_DEP_3)
	v_fma_f32 v77, v99, v96, 0
	v_sub_f32_e32 v100, v73, v76
	ds_load_2addr_b32 v[72:73], v98 offset0:204 offset1:221
	v_fmac_f32_e32 v77, v102, v97
	v_exp_f32_e32 v97, v103
	s_waitcnt lgkmcnt(1)
	s_delay_alu instid0(VALU_DEP_1)
	v_dual_fmac_f32 v77, v101, v70 :: v_dual_sub_f32 v96, v75, v76
	ds_load_2addr_b32 v[74:75], v98 offset0:238 offset1:255
	v_sub_f32_e32 v70, v95, v76
	s_waitcnt lgkmcnt(0)
	s_barrier
	v_mul_f32_e32 v96, 0x3fb8aa3b, v96
	buffer_gl0_inv
	v_exp_f32_e32 v95, v96
	v_mul_f32_e32 v100, 0x3fb8aa3b, v100
	s_delay_alu instid0(VALU_DEP_1) | instskip(SKIP_3) | instid1(VALU_DEP_2)
	v_exp_f32_e32 v100, v100
	s_waitcnt_depctr 0xfff
	v_dual_fmac_f32 v77, v100, v71 :: v_dual_mul_f32 v70, 0x3fb8aa3b, v70
	v_cndmask_b32_e32 v71, v99, v102, vcc_lo
	v_fmac_f32_e32 v77, v97, v72
	s_delay_alu instid0(VALU_DEP_3) | instskip(NEXT) | instid1(VALU_DEP_1)
	v_exp_f32_e32 v96, v70
	v_fmac_f32_e32 v77, v95, v73
	s_delay_alu instid0(VALU_DEP_1) | instskip(SKIP_2) | instid1(VALU_DEP_1)
	v_fmac_f32_e32 v77, v94, v74
	s_waitcnt_depctr 0xfff
	v_fmac_f32_e32 v77, v96, v75
	v_add_f32_e32 v74, 0x358637bd, v77
	s_delay_alu instid0(VALU_DEP_1) | instskip(SKIP_1) | instid1(VALU_DEP_2)
	v_div_scale_f32 v98, null, v74, v74, 1.0
	v_div_scale_f32 v99, vcc_lo, 1.0, v74, 1.0
	v_rcp_f32_e32 v103, v98
	s_waitcnt_depctr 0xfff
	v_fma_f32 v70, -v98, v103, 1.0
	s_delay_alu instid0(VALU_DEP_1) | instskip(SKIP_2) | instid1(VALU_DEP_2)
	v_fmac_f32_e32 v103, v70, v103
	v_cndmask_b32_e64 v70, v71, v101, s3
	v_cmp_eq_u32_e64 s3, 6, v69
	v_cndmask_b32_e64 v71, v70, v100, s4
	s_delay_alu instid0(VALU_DEP_4) | instskip(NEXT) | instid1(VALU_DEP_2)
	v_dual_mul_f32 v101, v99, v103 :: v_dual_lshlrev_b32 v70, 2, v66
	v_cndmask_b32_e64 v71, v71, v97, s5
	s_delay_alu instid0(VALU_DEP_2) | instskip(NEXT) | instid1(VALU_DEP_3)
	v_or_b32_e32 v72, 1, v70
	v_fma_f32 v100, -v98, v101, v99
	v_cmp_eq_u32_e64 s4, 1, v70
	v_cmp_eq_u32_e64 s5, 2, v70
	v_cndmask_b32_e64 v95, v71, v95, s6
	v_or_b32_e32 v71, 3, v70
	v_fmac_f32_e32 v101, v100, v103
	v_cmp_eq_u32_e64 s9, 1, v72
	v_cmp_eq_u32_e64 s12, 2, v72
	v_cndmask_b32_e64 v94, v95, v94, s3
	v_cmp_eq_u32_e64 s11, 1, v71
	v_fma_f32 v97, -v98, v101, v99
	v_cmp_eq_u32_e64 s16, 2, v71
	v_cmp_eq_u32_e64 s13, 3, v72
	v_cndmask_b32_e64 v94, v94, v96, s7
	v_cmp_eq_u32_e64 s18, 3, v71
	v_div_fmas_f32 v95, v97, v103, v101
	v_cmp_eq_u32_e32 vcc_lo, 3, v70
	v_cmp_eq_u32_e64 s3, 4, v70
	v_cmp_eq_u32_e64 s19, 4, v72
	;; [unrolled: 1-line block ×3, first 2 shown]
	v_div_fixup_f32 v95, v95, v74, 1.0
	v_lshlrev_b32_e32 v73, 6, v68
	v_cmp_eq_u32_e64 s6, 5, v70
	v_cmp_eq_u32_e64 s20, 5, v72
	;; [unrolled: 1-line block ×3, first 2 shown]
	v_mul_f32_e32 v102, v94, v95
	v_lshl_or_b32 v75, v69, 11, v73
	v_or_b32_e32 v69, 2, v70
	v_cmp_eq_u32_e64 s25, 6, v72
	v_cmp_eq_u32_e64 s27, 6, v71
	v_fma_mixlo_f16 v94, v102, v79, 0
	v_fma_mixlo_f16 v95, v102, v81, 0
	;; [unrolled: 1-line block ×8, first 2 shown]
	v_lshl_or_b32 v74, v66, 4, v75
	v_fma_mixhi_f16 v94, v102, v78, 0
	v_fma_mixhi_f16 v95, v102, v80, 0
	;; [unrolled: 1-line block ×8, first 2 shown]
	ds_store_b128 v74, v[94:97]
	ds_store_b128 v74, v[98:101] offset:1024
	s_waitcnt lgkmcnt(0)
	s_barrier
	buffer_gl0_inv
	ds_load_b128 v[78:81], v75
	ds_load_b128 v[82:85], v75 offset:16
	ds_load_b128 v[86:89], v75 offset:1024
	;; [unrolled: 1-line block ×3, first 2 shown]
	v_cmp_eq_u32_e64 s10, 1, v69
	v_cmp_eq_u32_e64 s15, 2, v69
	;; [unrolled: 1-line block ×11, first 2 shown]
	s_waitcnt lgkmcnt(3)
	v_lshrrev_b32_e32 v94, 16, v78
	s_waitcnt lgkmcnt(2)
	v_lshrrev_b32_e32 v98, 16, v82
	;; [unrolled: 2-line block ×4, first 2 shown]
	v_lshrrev_b32_e32 v95, 16, v79
	v_cndmask_b32_e64 v110, v78, v94, s4
	v_cndmask_b32_e64 v111, v82, v98, s4
	;; [unrolled: 1-line block ×8, first 2 shown]
	v_lshrrev_b32_e32 v99, 16, v83
	v_cndmask_b32_e64 v94, v86, v102, s4
	v_cndmask_b32_e64 v98, v90, v106, s4
	;; [unrolled: 1-line block ×15, first 2 shown]
	v_lshrrev_b32_e32 v103, 16, v87
	v_lshrrev_b32_e32 v107, 16, v91
	v_cndmask_b32_e64 v113, v115, v83, s15
	v_cndmask_b32_e64 v82, v94, v87, s5
	;; [unrolled: 1-line block ×7, first 2 shown]
	v_cndmask_b32_e32 v90, v102, v95, vcc_lo
	v_cndmask_b32_e32 v102, v106, v99, vcc_lo
	v_cndmask_b32_e64 v106, v110, v95, s13
	v_cndmask_b32_e64 v110, v111, v99, s13
	;; [unrolled: 1-line block ×4, first 2 shown]
	v_lshrrev_b32_e32 v96, 16, v80
	v_lshrrev_b32_e32 v100, 16, v84
	v_cndmask_b32_e64 v111, v112, v95, s17
	v_cndmask_b32_e64 v112, v113, v99, s17
	v_cndmask_b32_e32 v82, v82, v103, vcc_lo
	v_cndmask_b32_e32 v83, v83, v107, vcc_lo
	v_cndmask_b32_e64 v94, v94, v103, s13
	v_cndmask_b32_e64 v90, v90, v80, s3
	;; [unrolled: 1-line block ×7, first 2 shown]
	v_lshrrev_b32_e32 v104, 16, v88
	v_cndmask_b32_e64 v106, v111, v80, s21
	v_cndmask_b32_e64 v110, v112, v84, s21
	;; [unrolled: 1-line block ×11, first 2 shown]
	v_lshrrev_b32_e32 v97, 16, v81
	v_lshrrev_b32_e32 v101, 16, v85
	v_cndmask_b32_e64 v99, v106, v96, s23
	v_cndmask_b32_e64 v102, v110, v100, s23
	;; [unrolled: 1-line block ×7, first 2 shown]
	v_lshrrev_b32_e32 v105, 16, v89
	v_cndmask_b32_e64 v80, v80, v104, s6
	v_cndmask_b32_e64 v84, v84, v81, s7
	;; [unrolled: 1-line block ×16, first 2 shown]
	v_perm_b32 v81, v79, v78, 0x5040100
	v_perm_b32 v79, v95, v85, 0x5040100
	v_cndmask_b32_e64 v78, v119, v91, s15
	v_cndmask_b32_e64 v85, v117, v91, s12
	;; [unrolled: 1-line block ×3, first 2 shown]
	v_perm_b32 v80, v94, v90, 0x5040100
	v_cndmask_b32_e64 v90, v98, v103, s17
	v_cndmask_b32_e64 v86, v86, v103, s18
	;; [unrolled: 1-line block ×5, first 2 shown]
	v_lshrrev_b32_e32 v108, 16, v92
	v_cndmask_b32_e64 v90, v90, v88, s21
	v_cndmask_b32_e64 v86, v86, v88, s22
	;; [unrolled: 1-line block ×11, first 2 shown]
	v_lshrrev_b32_e32 v109, 16, v93
	v_cndmask_b32_e64 v82, v82, v93, s7
	v_cndmask_b32_e64 v88, v88, v89, s26
	;; [unrolled: 1-line block ×12, first 2 shown]
	v_perm_b32 v78, v84, v83, 0x5040100
	v_perm_b32 v85, v87, v86, 0x5040100
	;; [unrolled: 1-line block ×5, first 2 shown]
	s_mul_i32 s8, s33, 9
	s_mov_b32 s3, exec_lo
	ds_store_b128 v74, v[78:81]
	ds_store_b128 v74, v[82:85] offset:1024
	v_cmpx_gt_u32_e32 9, v0
	s_cbranch_execz .LBB998_14
; %bb.13:
	s_mul_i32 s4, s8, s34
	s_delay_alu instid0(SALU_CYCLE_1) | instskip(SKIP_1) | instid1(VALU_DEP_1)
	v_add3_u32 v68, s4, s31, v68
	s_load_b128 s[4:7], s[0:1], 0x58
	v_mad_u64_u32 v[78:79], null, v68, s35, s[14:15]
	s_delay_alu instid0(VALU_DEP_1) | instskip(NEXT) | instid1(VALU_DEP_1)
	v_ashrrev_i32_e32 v79, 31, v78
	v_lshlrev_b64 v[78:79], 2, v[78:79]
	s_waitcnt lgkmcnt(0)
	s_delay_alu instid0(VALU_DEP_1) | instskip(NEXT) | instid1(VALU_DEP_2)
	v_add_co_u32 v80, vcc_lo, s6, v78
	v_add_co_ci_u32_e32 v81, vcc_lo, s7, v79, vcc_lo
	v_add_co_u32 v78, vcc_lo, s4, v78
	v_add_co_ci_u32_e32 v79, vcc_lo, s5, v79, vcc_lo
	global_store_b32 v[80:81], v76, off
	global_store_b32 v[78:79], v77, off
.LBB998_14:
	s_or_b32 exec_lo, exec_lo, s3
	s_waitcnt lgkmcnt(0)
	s_waitcnt_vscnt null, 0x0
	s_barrier
	buffer_gl0_inv
	ds_load_b128 v[84:87], v73
	ds_load_b128 v[88:91], v73 offset:16
	ds_load_b128 v[96:99], v73 offset:2064
	;; [unrolled: 1-line block ×5, first 2 shown]
	v_cmp_eq_u32_e32 vcc_lo, 1, v70
	v_mov_b32_e32 v76, 0
	ds_load_b128 v[112:115], v73 offset:6160
	ds_load_b128 v[108:111], v73 offset:6144
	ds_load_b128 v[120:123], v73 offset:8208
	ds_load_b128 v[116:119], v73 offset:8192
	v_cmp_eq_u32_e64 s4, 1, v69
	v_cmp_eq_u32_e64 s3, 1, v72
	;; [unrolled: 1-line block ×3, first 2 shown]
	v_mov_b32_e32 v77, v76
	v_mov_b32_e32 v78, v76
	;; [unrolled: 1-line block ×7, first 2 shown]
	v_cmp_eq_u32_e64 s6, 3, v72
	v_cmp_eq_u32_e64 s7, 7, v72
	s_waitcnt lgkmcnt(8)
	s_delay_alu instid0(VALU_DEP_3)
	v_wmma_f32_16x16x16_f16 v[76:83], v[49:56], v[84:91], v[76:83]
	ds_load_b128 v[53:56], v73 offset:10256
	ds_load_b128 v[49:52], v73 offset:10240
	s_waitcnt lgkmcnt(8)
	v_wmma_f32_16x16x16_f16 v[76:83], v[41:48], v[92:99], v[76:83]
	ds_load_b128 v[45:48], v73 offset:12304
	ds_load_b128 v[41:44], v73 offset:12288
	s_waitcnt lgkmcnt(8)
	;; [unrolled: 4-line block ×3, first 2 shown]
	s_barrier
	buffer_gl0_inv
	v_wmma_f32_16x16x16_f16 v[76:83], v[1:8], v[108:115], v[76:83]
	s_delay_alu instid0(VALU_DEP_1) | instskip(NEXT) | instid1(VALU_DEP_1)
	v_wmma_f32_16x16x16_f16 v[76:83], v[9:16], v[116:123], v[76:83]
	v_wmma_f32_16x16x16_f16 v[76:83], v[17:24], v[49:56], v[76:83]
	s_delay_alu instid0(VALU_DEP_1) | instskip(NEXT) | instid1(VALU_DEP_1)
	v_wmma_f32_16x16x16_f16 v[76:83], v[25:32], v[41:48], v[76:83]
	v_wmma_f32_16x16x16_f16 v[76:83], v[57:64], v[33:40], v[76:83]
	s_delay_alu instid0(VALU_DEP_1) | instskip(NEXT) | instid1(VALU_DEP_2)
	v_cvt_f16_f32_e32 v1, v76
	v_cvt_f16_f32_e32 v2, v77
	s_delay_alu instid0(VALU_DEP_3) | instskip(NEXT) | instid1(VALU_DEP_4)
	v_cvt_f16_f32_e32 v3, v78
	v_cvt_f16_f32_e32 v4, v79
	;; [unrolled: 1-line block ×6, first 2 shown]
	v_pack_b32_f16 v1, v1, v2
	v_pack_b32_f16 v2, v3, v4
	;; [unrolled: 1-line block ×3, first 2 shown]
	s_delay_alu instid0(VALU_DEP_4)
	v_pack_b32_f16 v4, v7, v8
	ds_store_b128 v74, v[1:4]
	s_waitcnt lgkmcnt(0)
	s_barrier
	buffer_gl0_inv
	ds_load_b128 v[1:4], v75
	ds_load_b128 v[5:8], v75 offset:16
	s_waitcnt lgkmcnt(1)
	v_lshrrev_b32_e32 v9, 16, v1
	s_waitcnt lgkmcnt(0)
	v_lshrrev_b32_e32 v13, 16, v5
	v_lshrrev_b32_e32 v10, 16, v2
	;; [unrolled: 1-line block ×4, first 2 shown]
	v_cndmask_b32_e32 v17, v1, v9, vcc_lo
	v_cndmask_b32_e32 v18, v5, v13, vcc_lo
	v_cndmask_b32_e64 v21, v1, v9, s4
	v_cmp_eq_u32_e32 vcc_lo, 1, v71
	v_cndmask_b32_e64 v22, v5, v13, s4
	v_cmp_eq_u32_e64 s4, 2, v70
	v_cndmask_b32_e64 v19, v1, v9, s3
	v_cndmask_b32_e64 v20, v5, v13, s3
	v_cndmask_b32_e32 v1, v1, v9, vcc_lo
	v_cmp_eq_u32_e64 s3, 2, v71
	v_cndmask_b32_e32 v5, v5, v13, vcc_lo
	v_cndmask_b32_e64 v9, v17, v2, s4
	v_cmp_eq_u32_e32 vcc_lo, 3, v70
	v_cndmask_b32_e64 v13, v18, v6, s4
	v_cmp_eq_u32_e64 s4, 2, v69
	v_cndmask_b32_e64 v17, v19, v2, s5
	v_cndmask_b32_e64 v18, v20, v6, s5
	v_cmp_eq_u32_e64 s5, 3, v69
	v_cndmask_b32_e64 v1, v1, v2, s3
	v_cndmask_b32_e64 v19, v21, v2, s4
	v_cndmask_b32_e64 v20, v22, v6, s4
	v_cndmask_b32_e64 v2, v5, v6, s3
	v_cndmask_b32_e32 v5, v9, v10, vcc_lo
	v_cndmask_b32_e32 v6, v13, v14, vcc_lo
	v_cmp_eq_u32_e32 vcc_lo, 3, v71
	v_cndmask_b32_e64 v9, v17, v10, s6
	v_cndmask_b32_e64 v13, v18, v14, s6
	;; [unrolled: 1-line block ×3, first 2 shown]
	v_cmp_eq_u32_e64 s4, 4, v70
	v_cndmask_b32_e32 v1, v1, v10, vcc_lo
	v_cndmask_b32_e32 v2, v2, v14, vcc_lo
	v_cmp_eq_u32_e32 vcc_lo, 4, v72
	v_lshrrev_b32_e32 v15, 16, v7
	v_lshrrev_b32_e32 v16, 16, v8
	v_cndmask_b32_e64 v17, v19, v10, s5
	v_cmp_eq_u32_e64 s3, 4, v71
	v_cndmask_b32_e64 v5, v5, v3, s4
	v_cndmask_b32_e64 v6, v6, v7, s4
	v_cndmask_b32_e32 v9, v9, v3, vcc_lo
	v_cmp_eq_u32_e64 s4, 5, v72
	v_cndmask_b32_e32 v10, v13, v7, vcc_lo
	v_cmp_eq_u32_e32 vcc_lo, 4, v69
	v_cmp_eq_u32_e64 s5, 5, v70
	v_cndmask_b32_e64 v2, v2, v7, s3
	v_cndmask_b32_e64 v9, v9, v11, s4
	;; [unrolled: 1-line block ×3, first 2 shown]
	v_cndmask_b32_e32 v13, v17, v3, vcc_lo
	v_cmp_eq_u32_e64 s4, 5, v69
	v_cndmask_b32_e32 v14, v18, v7, vcc_lo
	v_cndmask_b32_e64 v1, v1, v3, s3
	v_cmp_eq_u32_e32 vcc_lo, 5, v71
	v_lshrrev_b32_e32 v12, 16, v4
	v_cndmask_b32_e64 v13, v13, v11, s4
	v_cndmask_b32_e64 v3, v14, v15, s4
	v_cmp_eq_u32_e64 s4, 6, v71
	v_cndmask_b32_e32 v1, v1, v11, vcc_lo
	v_cndmask_b32_e64 v5, v5, v11, s5
	v_cmp_eq_u32_e64 s6, 6, v70
	v_cndmask_b32_e64 v6, v6, v15, s5
	v_cmp_eq_u32_e64 s5, 6, v72
	v_cmp_eq_u32_e64 s3, 6, v69
	v_cndmask_b32_e64 v1, v1, v4, s4
	v_cndmask_b32_e32 v2, v2, v15, vcc_lo
	v_cmp_eq_u32_e32 vcc_lo, 7, v71
	v_cndmask_b32_e64 v5, v5, v4, s6
	v_cndmask_b32_e64 v9, v9, v4, s5
	;; [unrolled: 1-line block ×3, first 2 shown]
	v_cmp_eq_u32_e64 s6, 7, v70
	v_cndmask_b32_e32 v1, v1, v12, vcc_lo
	v_cndmask_b32_e64 v7, v13, v4, s3
	v_cndmask_b32_e64 v3, v3, v8, s3
	;; [unrolled: 1-line block ×3, first 2 shown]
	v_cmp_eq_u32_e64 s3, 7, v69
	v_cndmask_b32_e64 v4, v10, v8, s5
	v_cndmask_b32_e64 v5, v5, v12, s6
	;; [unrolled: 1-line block ×3, first 2 shown]
	v_cndmask_b32_e32 v2, v2, v16, vcc_lo
	v_cndmask_b32_e64 v7, v7, v12, s3
	v_cndmask_b32_e64 v3, v3, v16, s3
	;; [unrolled: 1-line block ×4, first 2 shown]
	v_perm_b32 v4, v2, v1, 0x5040100
	s_mov_b32 s3, exec_lo
	v_perm_b32 v3, v3, v7, 0x5040100
	v_perm_b32 v2, v8, v9, 0x5040100
	;; [unrolled: 1-line block ×3, first 2 shown]
	ds_store_b128 v74, v[1:4]
	s_waitcnt lgkmcnt(0)
	s_barrier
	buffer_gl0_inv
	v_cmpx_gt_u32_e32 32, v0
	s_cbranch_execz .LBB998_2
; %bb.15:
	s_load_b64 s[4:5], s[0:1], 0x68
	v_lshlrev_b32_e32 v0, 10, v0
	v_lshlrev_b32_e32 v1, 4, v67
	s_lshl_b32 s0, s35, 7
	v_add_nc_u32_e32 v2, s31, v66
	s_mul_i32 s1, s0, s34
	s_delay_alu instid0(SALU_CYCLE_1) | instskip(SKIP_1) | instid1(VALU_DEP_2)
	s_mul_i32 s6, s1, s8
	v_and_or_b32 v0, 0x3800, v0, v1
	v_mul_lo_u32 v1, v2, s0
	s_ashr_i32 s7, s6, 31
	v_add_nc_u32_e32 v3, 2, v2
	s_lshl_b64 s[6:7], s[6:7], 1
	v_add_nc_u32_e32 v4, 4, v2
	v_add_nc_u32_e32 v5, 6, v2
	v_lshl_or_b32 v15, v66, 6, v0
	v_mul_lo_u32 v3, v3, s0
	v_ashrrev_i32_e32 v2, 31, v1
	v_mul_lo_u32 v19, v4, s0
	v_mul_lo_u32 v21, v5, s0
	s_waitcnt lgkmcnt(0)
	s_add_u32 s1, s4, s6
	s_addc_u32 s3, s5, s7
	s_lshl_b32 s4, s14, 7
	v_lshlrev_b64 v[5:6], 1, v[1:2]
	s_ashr_i32 s5, s4, 31
	v_ashrrev_i32_e32 v4, 31, v3
	s_lshl_b64 s[4:5], s[4:5], 1
	v_ashrrev_i32_e32 v20, 31, v19
	s_add_u32 s1, s1, s4
	s_addc_u32 s3, s3, s5
	v_add_co_u32 v1, s1, s1, v65
	s_delay_alu instid0(VALU_DEP_1) | instskip(SKIP_1) | instid1(VALU_DEP_3)
	v_add_co_ci_u32_e64 v2, null, s3, 0, s1
	v_lshlrev_b64 v[25:26], 1, v[3:4]
	v_add_co_u32 v23, vcc_lo, v1, v5
	s_delay_alu instid0(VALU_DEP_3)
	v_add_co_ci_u32_e32 v24, vcc_lo, v2, v6, vcc_lo
	ds_load_b128 v[3:6], v15
	ds_load_b128 v[7:10], v15 offset:128
	ds_load_b128 v[11:14], v15 offset:256
	;; [unrolled: 1-line block ×3, first 2 shown]
	v_ashrrev_i32_e32 v22, 31, v21
	v_lshlrev_b64 v[19:20], 1, v[19:20]
	v_add_co_u32 v25, vcc_lo, v1, v25
	v_add_co_ci_u32_e32 v26, vcc_lo, v2, v26, vcc_lo
	s_delay_alu instid0(VALU_DEP_4) | instskip(NEXT) | instid1(VALU_DEP_4)
	v_lshlrev_b64 v[21:22], 1, v[21:22]
	v_add_co_u32 v19, vcc_lo, v1, v19
	v_add_co_ci_u32_e32 v20, vcc_lo, v2, v20, vcc_lo
	s_delay_alu instid0(VALU_DEP_3) | instskip(NEXT) | instid1(VALU_DEP_4)
	v_add_co_u32 v21, vcc_lo, v1, v21
	v_add_co_ci_u32_e32 v22, vcc_lo, v2, v22, vcc_lo
	s_waitcnt lgkmcnt(3)
	global_store_b128 v[23:24], v[3:6], off
	s_waitcnt lgkmcnt(2)
	global_store_b128 v[25:26], v[7:10], off
	;; [unrolled: 2-line block ×4, first 2 shown]
	s_and_b32 exec_lo, exec_lo, s2
	s_cbranch_execz .LBB998_2
; %bb.16:
	ds_load_b128 v[3:6], v0 offset:512
	s_add_i32 s1, s31, 8
	s_delay_alu instid0(SALU_CYCLE_1) | instskip(NEXT) | instid1(SALU_CYCLE_1)
	s_mul_i32 s0, s1, s0
	s_ashr_i32 s1, s0, 31
	s_delay_alu instid0(SALU_CYCLE_1) | instskip(NEXT) | instid1(SALU_CYCLE_1)
	s_lshl_b64 s[0:1], s[0:1], 1
	v_add_co_u32 v0, vcc_lo, v1, s0
	v_add_co_ci_u32_e32 v1, vcc_lo, s1, v2, vcc_lo
	s_waitcnt lgkmcnt(0)
	global_store_b128 v[0:1], v[3:6], off
	s_nop 0
	s_sendmsg sendmsg(MSG_DEALLOC_VGPRS)
	s_endpgm
	.section	.rodata,"a",@progbits
	.p2align	6, 0x0
	.amdhsa_kernel _Z39paged_attention_ll4mi_QKV_mfma16_kernelIDF16_hLN4vllm18Fp8KVCacheDataTypeE1EDF16_Li16ELi128ELi256ELb0ELi9EL8MFMAType1EEvPKT_PKT0_S8_ifPKiSA_SA_iPKfiiiPfSD_PS3_PT2_iSC_SC_
		.amdhsa_group_segment_fixed_size 17472
		.amdhsa_private_segment_fixed_size 0
		.amdhsa_kernarg_size 400
		.amdhsa_user_sgpr_count 13
		.amdhsa_user_sgpr_dispatch_ptr 0
		.amdhsa_user_sgpr_queue_ptr 0
		.amdhsa_user_sgpr_kernarg_segment_ptr 1
		.amdhsa_user_sgpr_dispatch_id 0
		.amdhsa_user_sgpr_private_segment_size 0
		.amdhsa_wavefront_size32 1
		.amdhsa_uses_dynamic_stack 0
		.amdhsa_enable_private_segment 0
		.amdhsa_system_sgpr_workgroup_id_x 1
		.amdhsa_system_sgpr_workgroup_id_y 1
		.amdhsa_system_sgpr_workgroup_id_z 1
		.amdhsa_system_sgpr_workgroup_info 0
		.amdhsa_system_vgpr_workitem_id 0
		.amdhsa_next_free_vgpr 150
		.amdhsa_next_free_sgpr 36
		.amdhsa_reserve_vcc 1
		.amdhsa_float_round_mode_32 0
		.amdhsa_float_round_mode_16_64 0
		.amdhsa_float_denorm_mode_32 3
		.amdhsa_float_denorm_mode_16_64 3
		.amdhsa_dx10_clamp 1
		.amdhsa_ieee_mode 1
		.amdhsa_fp16_overflow 0
		.amdhsa_workgroup_processor_mode 1
		.amdhsa_memory_ordered 1
		.amdhsa_forward_progress 0
		.amdhsa_shared_vgpr_count 0
		.amdhsa_exception_fp_ieee_invalid_op 0
		.amdhsa_exception_fp_denorm_src 0
		.amdhsa_exception_fp_ieee_div_zero 0
		.amdhsa_exception_fp_ieee_overflow 0
		.amdhsa_exception_fp_ieee_underflow 0
		.amdhsa_exception_fp_ieee_inexact 0
		.amdhsa_exception_int_div_zero 0
	.end_amdhsa_kernel
	.section	.text._Z39paged_attention_ll4mi_QKV_mfma16_kernelIDF16_hLN4vllm18Fp8KVCacheDataTypeE1EDF16_Li16ELi128ELi256ELb0ELi9EL8MFMAType1EEvPKT_PKT0_S8_ifPKiSA_SA_iPKfiiiPfSD_PS3_PT2_iSC_SC_,"axG",@progbits,_Z39paged_attention_ll4mi_QKV_mfma16_kernelIDF16_hLN4vllm18Fp8KVCacheDataTypeE1EDF16_Li16ELi128ELi256ELb0ELi9EL8MFMAType1EEvPKT_PKT0_S8_ifPKiSA_SA_iPKfiiiPfSD_PS3_PT2_iSC_SC_,comdat
.Lfunc_end998:
	.size	_Z39paged_attention_ll4mi_QKV_mfma16_kernelIDF16_hLN4vllm18Fp8KVCacheDataTypeE1EDF16_Li16ELi128ELi256ELb0ELi9EL8MFMAType1EEvPKT_PKT0_S8_ifPKiSA_SA_iPKfiiiPfSD_PS3_PT2_iSC_SC_, .Lfunc_end998-_Z39paged_attention_ll4mi_QKV_mfma16_kernelIDF16_hLN4vllm18Fp8KVCacheDataTypeE1EDF16_Li16ELi128ELi256ELb0ELi9EL8MFMAType1EEvPKT_PKT0_S8_ifPKiSA_SA_iPKfiiiPfSD_PS3_PT2_iSC_SC_
                                        ; -- End function
	.section	.AMDGPU.csdata,"",@progbits
; Kernel info:
; codeLenInByte = 6736
; NumSgprs: 38
; NumVgprs: 150
; ScratchSize: 0
; MemoryBound: 0
; FloatMode: 240
; IeeeMode: 1
; LDSByteSize: 17472 bytes/workgroup (compile time only)
; SGPRBlocks: 4
; VGPRBlocks: 18
; NumSGPRsForWavesPerEU: 38
; NumVGPRsForWavesPerEU: 150
; Occupancy: 9
; WaveLimiterHint : 1
; COMPUTE_PGM_RSRC2:SCRATCH_EN: 0
; COMPUTE_PGM_RSRC2:USER_SGPR: 13
; COMPUTE_PGM_RSRC2:TRAP_HANDLER: 0
; COMPUTE_PGM_RSRC2:TGID_X_EN: 1
; COMPUTE_PGM_RSRC2:TGID_Y_EN: 1
; COMPUTE_PGM_RSRC2:TGID_Z_EN: 1
; COMPUTE_PGM_RSRC2:TIDIG_COMP_CNT: 0
	.section	.text._Z39paged_attention_ll4mi_QKV_mfma16_kernelIDF16_hLN4vllm18Fp8KVCacheDataTypeE1EDF16_Li16ELi128ELi256ELb0ELi10EL8MFMAType1EEvPKT_PKT0_S8_ifPKiSA_SA_iPKfiiiPfSD_PS3_PT2_iSC_SC_,"axG",@progbits,_Z39paged_attention_ll4mi_QKV_mfma16_kernelIDF16_hLN4vllm18Fp8KVCacheDataTypeE1EDF16_Li16ELi128ELi256ELb0ELi10EL8MFMAType1EEvPKT_PKT0_S8_ifPKiSA_SA_iPKfiiiPfSD_PS3_PT2_iSC_SC_,comdat
	.protected	_Z39paged_attention_ll4mi_QKV_mfma16_kernelIDF16_hLN4vllm18Fp8KVCacheDataTypeE1EDF16_Li16ELi128ELi256ELb0ELi10EL8MFMAType1EEvPKT_PKT0_S8_ifPKiSA_SA_iPKfiiiPfSD_PS3_PT2_iSC_SC_ ; -- Begin function _Z39paged_attention_ll4mi_QKV_mfma16_kernelIDF16_hLN4vllm18Fp8KVCacheDataTypeE1EDF16_Li16ELi128ELi256ELb0ELi10EL8MFMAType1EEvPKT_PKT0_S8_ifPKiSA_SA_iPKfiiiPfSD_PS3_PT2_iSC_SC_
	.globl	_Z39paged_attention_ll4mi_QKV_mfma16_kernelIDF16_hLN4vllm18Fp8KVCacheDataTypeE1EDF16_Li16ELi128ELi256ELb0ELi10EL8MFMAType1EEvPKT_PKT0_S8_ifPKiSA_SA_iPKfiiiPfSD_PS3_PT2_iSC_SC_
	.p2align	8
	.type	_Z39paged_attention_ll4mi_QKV_mfma16_kernelIDF16_hLN4vllm18Fp8KVCacheDataTypeE1EDF16_Li16ELi128ELi256ELb0ELi10EL8MFMAType1EEvPKT_PKT0_S8_ifPKiSA_SA_iPKfiiiPfSD_PS3_PT2_iSC_SC_,@function
_Z39paged_attention_ll4mi_QKV_mfma16_kernelIDF16_hLN4vllm18Fp8KVCacheDataTypeE1EDF16_Li16ELi128ELi256ELb0ELi10EL8MFMAType1EEvPKT_PKT0_S8_ifPKiSA_SA_iPKfiiiPfSD_PS3_PT2_iSC_SC_: ; @_Z39paged_attention_ll4mi_QKV_mfma16_kernelIDF16_hLN4vllm18Fp8KVCacheDataTypeE1EDF16_Li16ELi128ELi256ELb0ELi10EL8MFMAType1EEvPKT_PKT0_S8_ifPKiSA_SA_iPKfiiiPfSD_PS3_PT2_iSC_SC_
; %bb.0:
	s_load_b64 s[4:5], s[0:1], 0x30
	s_mov_b32 s30, s13
	s_waitcnt lgkmcnt(0)
	s_cmp_lg_u64 s[4:5], 0
	s_cselect_b32 s8, -1, 0
	s_ashr_i32 s31, s13, 31
	s_cmp_eq_u64 s[4:5], 0
	s_cbranch_scc1 .LBB999_3
; %bb.1:
	s_lshl_b64 s[2:3], s[30:31], 2
	s_delay_alu instid0(SALU_CYCLE_1) | instskip(SKIP_4) | instid1(SALU_CYCLE_1)
	s_add_u32 s2, s4, s2
	s_addc_u32 s3, s5, s3
	s_load_b64 s[2:3], s[2:3], 0x0
	s_waitcnt lgkmcnt(0)
	s_sub_i32 s2, s3, s2
	s_cmp_eq_u32 s2, 1
	s_cselect_b32 s2, -1, 0
	s_delay_alu instid0(SALU_CYCLE_1)
	s_and_not1_b32 vcc_lo, exec_lo, s2
	s_cbranch_vccz .LBB999_4
.LBB999_2:
	s_endpgm
.LBB999_3:
.LBB999_4:
	s_load_b64 s[2:3], s[0:1], 0x28
	s_lshl_b64 s[6:7], s[30:31], 2
	s_waitcnt lgkmcnt(0)
	s_add_u32 s2, s2, s6
	s_addc_u32 s3, s3, s7
	s_lshl_b32 s12, s14, 8
	s_load_b32 s24, s[2:3], 0x0
	s_waitcnt lgkmcnt(0)
	s_cmp_ge_i32 s12, s24
	s_cbranch_scc1 .LBB999_2
; %bb.5:
	s_clause 0x1
	s_load_b128 s[20:23], s[0:1], 0x8
	s_load_b64 s[2:3], s[0:1], 0x20
	s_and_not1_b32 vcc_lo, exec_lo, s8
	s_cbranch_vccnz .LBB999_7
; %bb.6:
	s_add_u32 s4, s4, s6
	s_addc_u32 s5, s5, s7
	s_load_b32 s5, s[4:5], 0x0
	s_branch .LBB999_8
.LBB999_7:
	s_mov_b32 s5, s30
.LBB999_8:
	s_load_b128 s[16:19], s[0:1], 0x48
	v_and_b32_e32 v68, 15, v0
	v_lshrrev_b32_e32 v69, 5, v0
	v_and_b32_e32 v70, 31, v0
	v_and_b32_e32 v67, 1, v0
	v_bfe_u32 v66, v0, 4, 1
	v_lshlrev_b32_e32 v1, 3, v68
	s_mul_i32 s31, s15, 10
	s_mov_b32 s4, exec_lo
	s_delay_alu instid0(VALU_DEP_1)
	v_lshlrev_b32_e32 v65, 1, v1
	v_cmpx_gt_u32_e32 0xa0, v0
	s_cbranch_execz .LBB999_10
; %bb.9:
	s_load_b64 s[6:7], s[0:1], 0x0
	v_lshl_or_b32 v5, v69, 1, v66
	s_waitcnt lgkmcnt(0)
	s_mul_hi_i32 s9, s5, s16
	s_mul_i32 s8, s5, s16
	v_lshlrev_b32_e32 v6, 10, v68
	s_lshl_b64 s[8:9], s[8:9], 1
	v_add_lshl_u32 v1, v5, s31, 7
	v_lshlrev_b32_e32 v5, 6, v5
	v_lshlrev_b32_e32 v7, 10, v67
	v_and_b32_e32 v6, 0x3800, v6
	s_delay_alu instid0(VALU_DEP_4) | instskip(NEXT) | instid1(VALU_DEP_2)
	v_ashrrev_i32_e32 v2, 31, v1
	v_or3_b32 v5, v6, v7, v5
	s_delay_alu instid0(VALU_DEP_2) | instskip(SKIP_2) | instid1(VALU_DEP_1)
	v_lshlrev_b64 v[1:2], 1, v[1:2]
	s_add_u32 s5, s6, s8
	s_addc_u32 s6, s7, s9
	v_add_co_u32 v1, vcc_lo, s5, v1
	s_delay_alu instid0(VALU_DEP_2) | instskip(NEXT) | instid1(VALU_DEP_2)
	v_add_co_ci_u32_e32 v2, vcc_lo, s6, v2, vcc_lo
	v_add_co_u32 v1, vcc_lo, v1, v65
	s_delay_alu instid0(VALU_DEP_2)
	v_add_co_ci_u32_e32 v2, vcc_lo, 0, v2, vcc_lo
	global_load_b128 v[1:4], v[1:2], off
	s_waitcnt vmcnt(0)
	ds_store_b128 v5, v[1:4]
.LBB999_10:
	s_or_b32 exec_lo, exec_lo, s4
	v_and_b32_e32 v1, 0xef, v0
	s_waitcnt lgkmcnt(0)
	s_add_i32 s5, s24, 15
	s_clause 0x1
	s_load_b32 s4, s[0:1], 0x38
	s_load_b32 s33, s[0:1], 0x98
	s_ashr_i32 s6, s5, 31
	v_add_nc_u32_e32 v1, s12, v1
	s_lshr_b32 s6, s6, 28
	s_load_b32 s19, s[0:1], 0x1c
	s_add_i32 s5, s5, s6
	s_waitcnt lgkmcnt(0)
	v_ashrrev_i32_e32 v2, 31, v1
	v_or_b32_e32 v3, 16, v1
	s_ashr_i32 s13, s5, 4
	v_cmp_gt_i32_e32 vcc_lo, s24, v1
	s_add_i32 s13, s13, -1
	v_lshrrev_b32_e32 v2, 28, v2
	s_barrier
	buffer_gl0_inv
	s_mul_i32 s15, s15, s18
	v_add_nc_u32_e32 v4, v1, v2
	s_mul_i32 s4, s30, s4
	s_delay_alu instid0(SALU_CYCLE_1) | instskip(NEXT) | instid1(VALU_DEP_1)
	s_ashr_i32 s5, s4, 31
	v_ashrrev_i32_e32 v4, 4, v4
	v_add_nc_u32_e32 v2, v3, v2
	s_lshl_b64 s[4:5], s[4:5], 2
	s_delay_alu instid0(SALU_CYCLE_1) | instskip(NEXT) | instid1(VALU_DEP_2)
	s_add_u32 s16, s2, s4
	v_cndmask_b32_e32 v1, s13, v4, vcc_lo
	s_delay_alu instid0(VALU_DEP_2)
	v_ashrrev_i32_e32 v2, 4, v2
	v_cmp_gt_i32_e32 vcc_lo, s24, v3
	s_addc_u32 s25, s3, s5
	s_ashr_i32 s18, s15, 31
	s_add_u32 s26, s20, s15
	s_addc_u32 s27, s21, s18
	v_cndmask_b32_e32 v3, s13, v2, vcc_lo
	v_ashrrev_i32_e32 v2, 31, v1
	s_lshl_b32 s2, s14, 4
	s_delay_alu instid0(SALU_CYCLE_1) | instskip(NEXT) | instid1(VALU_DEP_2)
	s_ashr_i32 s3, s2, 31
	v_ashrrev_i32_e32 v4, 31, v3
	s_delay_alu instid0(VALU_DEP_2) | instskip(SKIP_1) | instid1(SALU_CYCLE_1)
	v_lshlrev_b64 v[1:2], 2, v[1:2]
	s_lshl_b64 s[2:3], s[2:3], 2
	s_add_u32 s2, s16, s2
	s_delay_alu instid0(VALU_DEP_2) | instskip(SKIP_1) | instid1(VALU_DEP_2)
	v_lshlrev_b64 v[3:4], 2, v[3:4]
	s_addc_u32 s3, s25, s3
	v_add_co_u32 v1, vcc_lo, s16, v1
	v_add_co_ci_u32_e32 v2, vcc_lo, s25, v2, vcc_lo
	s_delay_alu instid0(VALU_DEP_3) | instskip(NEXT) | instid1(VALU_DEP_4)
	v_add_co_u32 v3, vcc_lo, s16, v3
	v_add_co_ci_u32_e32 v4, vcc_lo, s25, v4, vcc_lo
	s_clause 0x1
	global_load_b32 v5, v[1:2], off
	global_load_b32 v7, v[3:4], off
	s_or_b32 s4, s12, 32
	v_lshlrev_b32_e32 v1, 4, v0
	s_ashr_i32 s5, s4, 4
	s_cmp_lt_i32 s4, s24
	v_cmp_gt_u32_e32 vcc_lo, 10, v68
	s_cselect_b32 s4, s5, s13
	v_and_b32_e32 v1, 0xf0, v1
	s_ashr_i32 s5, s4, 31
	s_delay_alu instid0(SALU_CYCLE_1) | instskip(NEXT) | instid1(SALU_CYCLE_1)
	s_lshl_b64 s[4:5], s[4:5], 2
	s_add_u32 s4, s16, s4
	s_addc_u32 s5, s25, s5
	s_or_b32 s6, s12, 64
	v_add_co_u32 v1, s26, s26, v1
	s_ashr_i32 s7, s6, 4
	s_cmp_lt_i32 s6, s24
	v_add_co_ci_u32_e64 v2, null, s27, 0, s26
	s_cselect_b32 s6, s7, s13
	s_delay_alu instid0(SALU_CYCLE_1) | instskip(NEXT) | instid1(SALU_CYCLE_1)
	s_ashr_i32 s7, s6, 31
	s_lshl_b64 s[6:7], s[6:7], 2
	s_delay_alu instid0(SALU_CYCLE_1) | instskip(SKIP_2) | instid1(SALU_CYCLE_1)
	s_add_u32 s6, s16, s6
	s_addc_u32 s7, s25, s7
	s_or_b32 s8, s12, 0x60
	s_ashr_i32 s9, s8, 4
	s_cmp_lt_i32 s8, s24
	s_cselect_b32 s8, s9, s13
	s_delay_alu instid0(SALU_CYCLE_1) | instskip(NEXT) | instid1(SALU_CYCLE_1)
	s_ashr_i32 s9, s8, 31
	s_lshl_b64 s[8:9], s[8:9], 2
	s_delay_alu instid0(SALU_CYCLE_1) | instskip(SKIP_2) | instid1(SALU_CYCLE_1)
	s_add_u32 s8, s16, s8
	s_addc_u32 s9, s25, s9
	s_or_b32 s10, s12, 0x80
	s_ashr_i32 s11, s10, 4
	s_cmp_lt_i32 s10, s24
	;; [unrolled: 10-line block ×3, first 2 shown]
	s_cselect_b32 s20, s21, s13
	s_delay_alu instid0(SALU_CYCLE_1) | instskip(NEXT) | instid1(SALU_CYCLE_1)
	s_ashr_i32 s21, s20, 31
	s_lshl_b64 s[20:21], s[20:21], 2
	s_delay_alu instid0(SALU_CYCLE_1)
	s_add_u32 s20, s16, s20
	s_addc_u32 s21, s25, s21
	s_clause 0x5
	s_load_b32 s26, s[2:3], 0x0
	s_load_b32 s27, s[4:5], 0x0
	;; [unrolled: 1-line block ×6, first 2 shown]
	s_or_b32 s2, s12, 0xc0
	s_mov_b32 s4, 0
	s_ashr_i32 s3, s2, 4
	s_cmp_lt_i32 s2, s24
	s_mov_b32 s11, s4
	s_cselect_b32 s2, s3, s13
	s_mov_b32 s5, s4
	s_ashr_i32 s3, s2, 31
	s_mov_b32 s6, s4
	s_lshl_b64 s[2:3], s[2:3], 2
	s_mov_b32 s7, s4
	s_add_u32 s2, s16, s2
	s_addc_u32 s3, s25, s3
	s_or_b32 s20, s12, 0xe0
	s_mov_b32 s8, s4
	s_ashr_i32 s21, s20, 4
	s_cmp_lt_i32 s20, s24
	s_mov_b32 s9, s4
	s_cselect_b32 s20, s21, s13
	s_mov_b32 s10, s4
	s_ashr_i32 s21, s20, 31
	v_mov_b32_e32 v118, s11
	v_dual_mov_b32 v112, s5 :: v_dual_mov_b32 v117, s10
	v_dual_mov_b32 v116, s9 :: v_dual_mov_b32 v115, s8
	;; [unrolled: 1-line block ×3, first 2 shown]
	v_mov_b32_e32 v111, s4
	s_lshl_b64 s[4:5], s[20:21], 2
	s_delay_alu instid0(SALU_CYCLE_1)
	s_add_u32 s4, s16, s4
	s_addc_u32 s5, s25, s5
	s_add_u32 s6, s22, s15
	s_addc_u32 s7, s23, s18
	s_waitcnt vmcnt(1)
	v_mad_i64_i32 v[3:4], null, v5, s17, v[1:2]
	s_waitcnt vmcnt(0)
	v_mad_i64_i32 v[5:6], null, v7, s17, v[1:2]
	v_add_nc_u32_e32 v1, -10, v68
	v_lshlrev_b32_e32 v2, 4, v68
	s_clause 0xf
	global_load_b128 v[17:20], v[3:4], off
	global_load_b128 v[21:24], v[3:4], off offset:256
	global_load_b128 v[25:28], v[5:6], off
	global_load_b128 v[29:32], v[5:6], off offset:256
	global_load_b128 v[57:60], v[3:4], off offset:512
	;; [unrolled: 1-line block ×13, first 2 shown]
	v_cndmask_b32_e32 v1, v1, v68, vcc_lo
	s_delay_alu instid0(VALU_DEP_1)
	v_lshlrev_b32_e32 v149, 6, v1
	v_lshl_or_b32 v1, v69, 8, v2
	ds_load_b128 v[119:122], v149
	ds_load_b128 v[123:126], v149 offset:1024
	ds_load_b128 v[127:130], v149 offset:2048
	;; [unrolled: 1-line block ×3, first 2 shown]
	s_clause 0x1
	s_load_b32 s2, s[2:3], 0x0
	s_load_b32 s3, s[4:5], 0x0
	v_add_co_u32 v135, s6, s6, v1
	s_delay_alu instid0(VALU_DEP_1) | instskip(SKIP_1) | instid1(VALU_DEP_1)
	v_add_co_ci_u32_e64 v136, null, s7, 0, s6
	s_waitcnt lgkmcnt(0)
	v_mad_i64_i32 v[1:2], null, s26, s17, v[135:136]
	v_mad_i64_i32 v[3:4], null, s27, s17, v[135:136]
	;; [unrolled: 1-line block ×6, first 2 shown]
	s_clause 0x9
	global_load_b128 v[49:52], v[1:2], off
	global_load_b128 v[53:56], v[1:2], off offset:16
	global_load_b128 v[41:44], v[3:4], off
	global_load_b128 v[45:48], v[3:4], off offset:16
	global_load_b128 v[33:36], v[5:6], off
	global_load_b128 v[37:40], v[5:6], off offset:16
	global_load_b128 v[1:4], v[7:8], off
	global_load_b128 v[5:8], v[7:8], off offset:16
	global_load_b128 v[9:12], v[13:14], off
	global_load_b128 v[13:16], v[13:14], off offset:16
	v_mad_i64_i32 v[145:146], null, s2, s17, v[135:136]
	v_mad_i64_i32 v[147:148], null, s3, s17, v[135:136]
	s_waitcnt vmcnt(24)
	v_wmma_f32_16x16x16_f16 v[135:142], v[17:24], v[119:126], v[111:118]
	s_waitcnt vmcnt(22)
	v_wmma_f32_16x16x16_f16 v[111:118], v[25:32], v[119:126], v[111:118]
	s_clause 0x3
	global_load_b128 v[17:20], v[143:144], off
	global_load_b128 v[21:24], v[143:144], off offset:16
	global_load_b128 v[25:28], v[145:146], off
	global_load_b128 v[29:32], v[145:146], off offset:16
	v_and_b32_e32 v119, 0xe0, v0
	s_waitcnt vmcnt(24)
	v_wmma_f32_16x16x16_f16 v[135:142], v[57:64], v[127:134], v[135:142]
	s_clause 0x1
	global_load_b128 v[57:60], v[147:148], off
	global_load_b128 v[61:64], v[147:148], off offset:16
	s_waitcnt vmcnt(24)
	v_wmma_f32_16x16x16_f16 v[111:118], v[71:78], v[127:134], v[111:118]
	ds_load_b128 v[71:74], v149 offset:4096
	ds_load_b128 v[75:78], v149 offset:5120
	v_add_nc_u32_e32 v128, s12, v119
	ds_load_b128 v[119:122], v149 offset:6144
	ds_load_b128 v[123:126], v149 offset:7168
	v_mbcnt_lo_u32_b32 v127, -1, 0
	s_waitcnt vmcnt(0) lgkmcnt(0)
	s_barrier
	v_or_b32_e32 v128, v128, v66
	buffer_gl0_inv
	v_xor_b32_e32 v129, 16, v127
	v_or_b32_e32 v130, 4, v128
	v_or_b32_e32 v131, 6, v128
	s_delay_alu instid0(VALU_DEP_3) | instskip(SKIP_4) | instid1(VALU_DEP_4)
	v_cmp_gt_i32_e32 vcc_lo, 32, v129
	v_or_b32_e32 v132, 8, v128
	v_or_b32_e32 v133, 10, v128
	v_cmp_gt_i32_e64 s3, s24, v130
	v_cmp_gt_i32_e64 s4, s24, v131
	;; [unrolled: 1-line block ×3, first 2 shown]
	v_wmma_f32_16x16x16_f16 v[135:142], v[79:86], v[71:78], v[135:142]
	v_wmma_f32_16x16x16_f16 v[111:118], v[87:94], v[71:78], v[111:118]
	v_or_b32_e32 v79, 12, v128
	v_or_b32_e32 v80, 14, v128
	v_cmp_gt_i32_e64 s6, s24, v133
	v_wmma_f32_16x16x16_f16 v[135:142], v[95:102], v[119:126], v[135:142]
	v_wmma_f32_16x16x16_f16 v[111:118], v[103:110], v[119:126], v[111:118]
	v_cndmask_b32_e32 v127, v127, v129, vcc_lo
	v_or_b32_e32 v129, 2, v128
	v_cmp_gt_i32_e32 vcc_lo, s24, v128
	v_mul_f32_e32 v88, s19, v135
	v_dual_mul_f32 v92, s19, v115 :: v_dual_mul_f32 v87, s19, v136
	s_delay_alu instid0(VALU_DEP_4)
	v_cmp_gt_i32_e64 s2, s24, v129
	v_mul_f32_e32 v78, s19, v138
	v_mul_f32_e32 v86, s19, v137
	v_cndmask_b32_e32 v88, 0xff7fffff, v88, vcc_lo
	v_mul_f32_e32 v76, s19, v140
	v_cndmask_b32_e64 v87, 0xff7fffff, v87, s2
	v_dual_mul_f32 v77, s19, v139 :: v_dual_mul_f32 v94, s19, v113
	v_cndmask_b32_e64 v86, 0xff7fffff, v86, s3
	v_cndmask_b32_e64 v78, 0xff7fffff, v78, s4
	s_delay_alu instid0(VALU_DEP_4)
	v_max3_f32 v87, v88, 0xff7fffff, v87
	v_or_b32_e32 v81, 16, v128
	v_or_b32_e32 v82, 18, v128
	v_dual_mul_f32 v74, s19, v142 :: v_dual_mul_f32 v75, s19, v141
	v_mul_f32_e32 v96, s19, v111
	v_cndmask_b32_e64 v77, 0xff7fffff, v77, s5
	v_cndmask_b32_e64 v76, 0xff7fffff, v76, s6
	v_max3_f32 v78, v87, v86, v78
	v_cmp_gt_i32_e64 s7, s24, v79
	v_cmp_gt_i32_e64 s8, s24, v80
	v_or_b32_e32 v83, 20, v128
	v_or_b32_e32 v84, 22, v128
	v_mul_f32_e32 v95, s19, v112
	v_cndmask_b32_e64 v75, 0xff7fffff, v75, s7
	v_cndmask_b32_e64 v74, 0xff7fffff, v74, s8
	v_max3_f32 v76, v78, v77, v76
	v_cmp_gt_i32_e64 s9, s24, v81
	v_cmp_gt_i32_e64 s10, s24, v82
	v_or_b32_e32 v85, 24, v128
	v_or_b32_e32 v71, 26, v128
	;; [unrolled: 8-line block ×3, first 2 shown]
	v_mul_f32_e32 v91, s19, v116
	v_cndmask_b32_e64 v75, 0xff7fffff, v94, s11
	v_cndmask_b32_e64 v76, 0xff7fffff, v93, s12
	v_max3_f32 v74, v74, v77, v78
	v_cmp_gt_i32_e64 s13, s24, v85
	v_cmp_gt_i32_e64 s15, s24, v71
	v_dual_mul_f32 v89, s19, v118 :: v_dual_mul_f32 v90, s19, v117
	s_delay_alu instid0(VALU_DEP_4) | instskip(NEXT) | instid1(VALU_DEP_4)
	v_max3_f32 v74, v74, v75, v76
	v_cndmask_b32_e64 v77, 0xff7fffff, v92, s13
	s_delay_alu instid0(VALU_DEP_4) | instskip(SKIP_2) | instid1(VALU_DEP_3)
	v_cndmask_b32_e64 v71, 0xff7fffff, v91, s15
	v_cmp_gt_i32_e64 s16, s24, v72
	v_cmp_gt_i32_e64 s17, s24, v73
	v_max3_f32 v71, v74, v77, v71
	s_delay_alu instid0(VALU_DEP_3) | instskip(NEXT) | instid1(VALU_DEP_3)
	v_cndmask_b32_e64 v72, 0xff7fffff, v90, s16
	v_cndmask_b32_e64 v73, 0xff7fffff, v89, s17
	v_lshlrev_b32_e32 v74, 2, v127
	s_delay_alu instid0(VALU_DEP_2) | instskip(SKIP_3) | instid1(VALU_DEP_1)
	v_max3_f32 v71, v71, v72, v73
	ds_bpermute_b32 v72, v74, v71
	s_waitcnt lgkmcnt(0)
	v_max_f32_e32 v72, v72, v72
	v_max_f32_e32 v71, v71, v72
	s_delay_alu instid0(VALU_DEP_1) | instskip(SKIP_4) | instid1(VALU_DEP_4)
	v_fma_f32 v72, s19, v135, -v71
	v_fma_f32 v73, s19, v136, -v71
	;; [unrolled: 1-line block ×5, first 2 shown]
	v_dual_mul_f32 v72, 0x3fb8aa3b, v72 :: v_dual_mul_f32 v73, 0x3fb8aa3b, v73
	v_fma_f32 v80, s19, v141, -v71
	s_delay_alu instid0(VALU_DEP_3) | instskip(NEXT) | instid1(VALU_DEP_3)
	v_dual_mul_f32 v76, 0x3fb8aa3b, v76 :: v_dual_mul_f32 v77, 0x3fb8aa3b, v77
	v_exp_f32_e32 v72, v72
	s_delay_alu instid0(VALU_DEP_3) | instskip(NEXT) | instid1(VALU_DEP_2)
	v_exp_f32_e32 v73, v73
	v_mul_f32_e32 v82, 0x3fb8aa3b, v80
	s_delay_alu instid0(VALU_DEP_2) | instskip(SKIP_1) | instid1(VALU_DEP_1)
	v_exp_f32_e32 v76, v76
	v_exp_f32_e32 v77, v77
	;; [unrolled: 1-line block ×3, first 2 shown]
	v_cndmask_b32_e32 v79, 0, v72, vcc_lo
	v_fma_f32 v72, s19, v140, -v71
	v_mul_f32_e32 v75, 0x3fb8aa3b, v75
	v_cndmask_b32_e64 v78, 0, v73, s2
	s_delay_alu instid0(TRANS32_DEP_3) | instskip(NEXT) | instid1(VALU_DEP_4)
	v_cndmask_b32_e64 v80, 0, v76, s4
	v_dual_add_f32 v73, 0, v79 :: v_dual_mul_f32 v72, 0x3fb8aa3b, v72
	s_delay_alu instid0(VALU_DEP_4) | instskip(NEXT) | instid1(TRANS32_DEP_3)
	v_exp_f32_e32 v75, v75
	v_cndmask_b32_e64 v83, 0, v77, s5
	s_delay_alu instid0(TRANS32_DEP_2) | instskip(NEXT) | instid1(VALU_DEP_3)
	v_cndmask_b32_e64 v85, 0, v84, s7
	v_add_f32_e32 v73, v73, v78
	v_exp_f32_e32 v72, v72
	s_mov_b32 s2, exec_lo
	s_waitcnt_depctr 0xfff
	v_cndmask_b32_e64 v81, 0, v75, s3
	v_cndmask_b32_e64 v82, 0, v72, s6
	s_delay_alu instid0(VALU_DEP_2) | instskip(NEXT) | instid1(VALU_DEP_1)
	v_add_f32_e32 v73, v73, v81
	v_add_f32_e32 v73, v73, v80
	s_delay_alu instid0(VALU_DEP_1) | instskip(NEXT) | instid1(VALU_DEP_1)
	v_add_f32_e32 v72, v73, v83
	v_add_f32_e32 v72, v72, v82
	s_delay_alu instid0(VALU_DEP_1)
	v_add_f32_e32 v72, v72, v85
	v_fma_f32 v76, s19, v111, -v71
	v_fma_f32 v75, s19, v142, -v71
	;; [unrolled: 1-line block ×5, first 2 shown]
	v_mul_f32_e32 v76, 0x3fb8aa3b, v76
	s_delay_alu instid0(VALU_DEP_4) | instskip(NEXT) | instid1(VALU_DEP_2)
	v_mul_f32_e32 v86, 0x3fb8aa3b, v86
	v_exp_f32_e32 v76, v76
	s_delay_alu instid0(VALU_DEP_1)
	v_exp_f32_e32 v88, v86
	s_waitcnt_depctr 0xfff
	v_cndmask_b32_e64 v87, 0, v76, s9
	v_fma_f32 v76, s19, v116, -v71
	v_mul_f32_e32 v75, 0x3fb8aa3b, v75
	v_cndmask_b32_e64 v88, 0, v88, s12
	s_delay_alu instid0(VALU_DEP_3) | instskip(NEXT) | instid1(VALU_DEP_3)
	v_dual_mul_f32 v73, 0x3fb8aa3b, v73 :: v_dual_mul_f32 v76, 0x3fb8aa3b, v76
	v_exp_f32_e32 v75, v75
	s_delay_alu instid0(VALU_DEP_1) | instskip(NEXT) | instid1(VALU_DEP_1)
	v_exp_f32_e32 v73, v73
	v_exp_f32_e32 v76, v76
	s_delay_alu instid0(TRANS32_DEP_3)
	v_cndmask_b32_e64 v84, 0, v75, s8
	v_fma_f32 v75, s19, v115, -v71
	s_waitcnt_depctr 0xfff
	v_cndmask_b32_e64 v89, 0, v73, s11
	v_cndmask_b32_e64 v90, 0, v76, s15
	v_add_f32_e32 v72, v72, v84
	s_delay_alu instid0(VALU_DEP_1) | instskip(NEXT) | instid1(VALU_DEP_1)
	v_dual_add_f32 v72, v72, v87 :: v_dual_mul_f32 v77, 0x3fb8aa3b, v77
	v_exp_f32_e32 v77, v77
	s_waitcnt_depctr 0xfff
	v_cndmask_b32_e64 v86, 0, v77, s10
	v_fma_f32 v77, s19, v117, -v71
	s_delay_alu instid0(VALU_DEP_2) | instskip(NEXT) | instid1(VALU_DEP_1)
	v_dual_add_f32 v72, v72, v86 :: v_dual_mul_f32 v75, 0x3fb8aa3b, v75
	v_add_f32_e32 v72, v72, v89
	s_delay_alu instid0(VALU_DEP_2) | instskip(NEXT) | instid1(VALU_DEP_1)
	v_exp_f32_e32 v75, v75
	v_add_f32_e32 v72, v72, v88
	s_waitcnt_depctr 0xfff
	v_cndmask_b32_e64 v91, 0, v75, s13
	v_mul_f32_e32 v73, 0x3fb8aa3b, v77
	v_fma_f32 v77, s19, v118, -v71
	s_delay_alu instid0(VALU_DEP_3) | instskip(NEXT) | instid1(VALU_DEP_3)
	v_add_f32_e32 v72, v72, v91
	v_exp_f32_e32 v73, v73
	s_delay_alu instid0(VALU_DEP_1) | instskip(NEXT) | instid1(VALU_DEP_1)
	v_dual_mul_f32 v75, 0x3fb8aa3b, v77 :: v_dual_add_f32 v72, v72, v90
	v_exp_f32_e32 v75, v75
	s_waitcnt_depctr 0xfff
	v_cndmask_b32_e64 v93, 0, v73, s16
	s_delay_alu instid0(VALU_DEP_1) | instskip(SKIP_1) | instid1(VALU_DEP_1)
	v_add_f32_e32 v72, v72, v93
	v_cndmask_b32_e64 v92, 0, v75, s17
	v_add_f32_e32 v72, v72, v92
	ds_bpermute_b32 v73, v74, v72
	v_cmpx_gt_u32_e32 16, v70
	s_cbranch_execz .LBB999_12
; %bb.11:
	v_mul_u32_u24_e32 v70, 0x44, v69
	s_waitcnt lgkmcnt(0)
	v_add_f32_e32 v72, v72, v73
	s_delay_alu instid0(VALU_DEP_2) | instskip(NEXT) | instid1(VALU_DEP_1)
	v_lshl_add_u32 v70, v68, 2, v70
	v_add_nc_u32_e32 v70, 0x4000, v70
	ds_store_2addr_b32 v70, v71, v72 offset1:136
.LBB999_12:
	s_or_b32 exec_lo, exec_lo, s2
	v_lshlrev_b32_e32 v70, 2, v68
	s_load_b32 s34, s[0:1], 0x94
	s_waitcnt lgkmcnt(0)
	s_barrier
	buffer_gl0_inv
	v_add_nc_u32_e32 v98, 0x4000, v70
	v_cmp_eq_u32_e32 vcc_lo, 1, v69
	v_cmp_eq_u32_e64 s2, 2, v69
	v_cmp_eq_u32_e64 s3, 3, v69
	;; [unrolled: 1-line block ×3, first 2 shown]
	ds_load_2addr_b32 v[70:71], v98 offset1:17
	ds_load_2addr_b32 v[72:73], v98 offset0:34 offset1:51
	ds_load_2addr_b32 v[74:75], v98 offset0:68 offset1:85
	;; [unrolled: 1-line block ×3, first 2 shown]
	v_cmp_eq_u32_e64 s5, 5, v69
	v_cmp_eq_u32_e64 s6, 7, v69
	s_waitcnt lgkmcnt(3)
	v_max3_f32 v76, v70, 0xff7fffff, v71
	s_waitcnt lgkmcnt(2)
	s_delay_alu instid0(VALU_DEP_1) | instskip(SKIP_1) | instid1(VALU_DEP_1)
	v_max3_f32 v76, v76, v72, v73
	s_waitcnt lgkmcnt(1)
	v_max3_f32 v76, v76, v74, v75
	s_waitcnt lgkmcnt(0)
	s_delay_alu instid0(VALU_DEP_1) | instskip(NEXT) | instid1(VALU_DEP_1)
	v_max3_f32 v76, v76, v94, v95
	v_sub_f32_e32 v77, v71, v76
	ds_load_2addr_b32 v[96:97], v98 offset0:136 offset1:153
	v_sub_f32_e32 v74, v74, v76
	v_sub_f32_e32 v70, v70, v76
	;; [unrolled: 1-line block ×3, first 2 shown]
	v_dual_sub_f32 v72, v72, v76 :: v_dual_mul_f32 v77, 0x3fb8aa3b, v77
	s_delay_alu instid0(VALU_DEP_4) | instskip(NEXT) | instid1(VALU_DEP_4)
	v_mul_f32_e32 v103, 0x3fb8aa3b, v74
	v_mul_f32_e32 v99, 0x3fb8aa3b, v70
	ds_load_2addr_b32 v[70:71], v98 offset0:170 offset1:187
	v_dual_mul_f32 v101, 0x3fb8aa3b, v72 :: v_dual_mul_f32 v94, 0x3fb8aa3b, v94
	v_exp_f32_e32 v102, v77
	v_exp_f32_e32 v99, v99
	s_delay_alu instid0(VALU_DEP_1) | instskip(NEXT) | instid1(VALU_DEP_1)
	v_exp_f32_e32 v101, v101
	v_exp_f32_e32 v94, v94
	s_waitcnt lgkmcnt(1)
	s_delay_alu instid0(TRANS32_DEP_3)
	v_fma_f32 v77, v99, v96, 0
	v_sub_f32_e32 v100, v73, v76
	ds_load_2addr_b32 v[72:73], v98 offset0:204 offset1:221
	v_fmac_f32_e32 v77, v102, v97
	v_exp_f32_e32 v97, v103
	s_waitcnt lgkmcnt(1)
	s_delay_alu instid0(VALU_DEP_1)
	v_dual_fmac_f32 v77, v101, v70 :: v_dual_sub_f32 v96, v75, v76
	ds_load_2addr_b32 v[74:75], v98 offset0:238 offset1:255
	v_sub_f32_e32 v70, v95, v76
	s_waitcnt lgkmcnt(0)
	s_barrier
	v_mul_f32_e32 v96, 0x3fb8aa3b, v96
	buffer_gl0_inv
	v_exp_f32_e32 v95, v96
	v_mul_f32_e32 v100, 0x3fb8aa3b, v100
	s_delay_alu instid0(VALU_DEP_1) | instskip(SKIP_3) | instid1(VALU_DEP_2)
	v_exp_f32_e32 v100, v100
	s_waitcnt_depctr 0xfff
	v_dual_fmac_f32 v77, v100, v71 :: v_dual_mul_f32 v70, 0x3fb8aa3b, v70
	v_cndmask_b32_e32 v71, v99, v102, vcc_lo
	v_fmac_f32_e32 v77, v97, v72
	s_delay_alu instid0(VALU_DEP_3) | instskip(NEXT) | instid1(VALU_DEP_1)
	v_exp_f32_e32 v96, v70
	v_fmac_f32_e32 v77, v95, v73
	s_delay_alu instid0(VALU_DEP_1) | instskip(SKIP_2) | instid1(VALU_DEP_1)
	v_fmac_f32_e32 v77, v94, v74
	s_waitcnt_depctr 0xfff
	v_fmac_f32_e32 v77, v96, v75
	v_add_f32_e32 v74, 0x358637bd, v77
	s_delay_alu instid0(VALU_DEP_1) | instskip(SKIP_1) | instid1(VALU_DEP_2)
	v_div_scale_f32 v98, null, v74, v74, 1.0
	v_div_scale_f32 v99, vcc_lo, 1.0, v74, 1.0
	v_rcp_f32_e32 v103, v98
	s_waitcnt_depctr 0xfff
	v_fma_f32 v70, -v98, v103, 1.0
	s_delay_alu instid0(VALU_DEP_1) | instskip(SKIP_2) | instid1(VALU_DEP_2)
	v_fmac_f32_e32 v103, v70, v103
	v_cndmask_b32_e64 v70, v71, v101, s2
	v_cmp_eq_u32_e64 s2, 6, v69
	v_cndmask_b32_e64 v71, v70, v100, s3
	s_delay_alu instid0(VALU_DEP_4) | instskip(NEXT) | instid1(VALU_DEP_2)
	v_dual_mul_f32 v101, v99, v103 :: v_dual_lshlrev_b32 v70, 2, v66
	v_cndmask_b32_e64 v71, v71, v97, s4
	s_delay_alu instid0(VALU_DEP_2) | instskip(NEXT) | instid1(VALU_DEP_3)
	v_or_b32_e32 v72, 1, v70
	v_fma_f32 v100, -v98, v101, v99
	v_cmp_eq_u32_e64 s3, 1, v70
	v_cmp_eq_u32_e64 s4, 2, v70
	v_cndmask_b32_e64 v95, v71, v95, s5
	v_or_b32_e32 v71, 3, v70
	v_fmac_f32_e32 v101, v100, v103
	v_cmp_eq_u32_e64 s8, 1, v72
	v_cmp_eq_u32_e64 s11, 2, v72
	v_cndmask_b32_e64 v94, v95, v94, s2
	v_cmp_eq_u32_e64 s10, 1, v71
	v_fma_f32 v97, -v98, v101, v99
	v_cmp_eq_u32_e64 s15, 2, v71
	v_cmp_eq_u32_e64 s12, 3, v72
	v_cndmask_b32_e64 v94, v94, v96, s6
	v_cmp_eq_u32_e64 s17, 3, v71
	v_div_fmas_f32 v95, v97, v103, v101
	v_cmp_eq_u32_e32 vcc_lo, 3, v70
	v_cmp_eq_u32_e64 s2, 4, v70
	v_cmp_eq_u32_e64 s18, 4, v72
	v_cmp_eq_u32_e64 s21, 4, v71
	v_div_fixup_f32 v95, v95, v74, 1.0
	v_lshlrev_b32_e32 v73, 6, v68
	v_cmp_eq_u32_e64 s5, 5, v70
	v_cmp_eq_u32_e64 s19, 5, v72
	;; [unrolled: 1-line block ×3, first 2 shown]
	v_mul_f32_e32 v102, v94, v95
	v_lshl_or_b32 v75, v69, 11, v73
	v_or_b32_e32 v69, 2, v70
	v_cmp_eq_u32_e64 s24, 6, v72
	v_cmp_eq_u32_e64 s26, 6, v71
	v_fma_mixlo_f16 v94, v102, v79, 0
	v_fma_mixlo_f16 v95, v102, v81, 0
	v_fma_mixlo_f16 v96, v102, v83, 0
	v_fma_mixlo_f16 v97, v102, v85, 0
	v_fma_mixlo_f16 v98, v102, v87, 0
	v_fma_mixlo_f16 v99, v102, v89, 0
	v_fma_mixlo_f16 v100, v102, v91, 0
	v_fma_mixlo_f16 v101, v102, v93, 0
	v_lshl_or_b32 v74, v66, 4, v75
	v_fma_mixhi_f16 v94, v102, v78, 0
	v_fma_mixhi_f16 v95, v102, v80, 0
	;; [unrolled: 1-line block ×8, first 2 shown]
	ds_store_b128 v74, v[94:97]
	ds_store_b128 v74, v[98:101] offset:1024
	s_waitcnt lgkmcnt(0)
	s_barrier
	buffer_gl0_inv
	ds_load_b128 v[78:81], v75
	ds_load_b128 v[82:85], v75 offset:16
	ds_load_b128 v[86:89], v75 offset:1024
	;; [unrolled: 1-line block ×3, first 2 shown]
	v_cmp_eq_u32_e64 s9, 1, v69
	v_cmp_eq_u32_e64 s13, 2, v69
	;; [unrolled: 1-line block ×11, first 2 shown]
	s_waitcnt lgkmcnt(3)
	v_lshrrev_b32_e32 v94, 16, v78
	s_waitcnt lgkmcnt(2)
	v_lshrrev_b32_e32 v98, 16, v82
	s_waitcnt lgkmcnt(1)
	v_lshrrev_b32_e32 v102, 16, v86
	s_waitcnt lgkmcnt(0)
	v_lshrrev_b32_e32 v106, 16, v90
	v_lshrrev_b32_e32 v95, 16, v79
	v_cndmask_b32_e64 v110, v78, v94, s3
	v_cndmask_b32_e64 v111, v82, v98, s3
	;; [unrolled: 1-line block ×8, first 2 shown]
	v_lshrrev_b32_e32 v99, 16, v83
	v_cndmask_b32_e64 v94, v86, v102, s3
	v_cndmask_b32_e64 v98, v90, v106, s3
	;; [unrolled: 1-line block ×15, first 2 shown]
	v_lshrrev_b32_e32 v103, 16, v87
	v_lshrrev_b32_e32 v107, 16, v91
	v_cndmask_b32_e64 v113, v115, v83, s13
	v_cndmask_b32_e64 v82, v94, v87, s4
	;; [unrolled: 1-line block ×7, first 2 shown]
	v_cndmask_b32_e32 v90, v102, v95, vcc_lo
	v_cndmask_b32_e32 v102, v106, v99, vcc_lo
	v_cndmask_b32_e64 v106, v110, v95, s12
	v_cndmask_b32_e64 v110, v111, v99, s12
	;; [unrolled: 1-line block ×4, first 2 shown]
	v_lshrrev_b32_e32 v96, 16, v80
	v_lshrrev_b32_e32 v100, 16, v84
	v_cndmask_b32_e64 v111, v112, v95, s16
	v_cndmask_b32_e64 v112, v113, v99, s16
	v_cndmask_b32_e32 v82, v82, v103, vcc_lo
	v_cndmask_b32_e32 v83, v83, v107, vcc_lo
	v_cndmask_b32_e64 v94, v94, v103, s12
	v_cndmask_b32_e64 v90, v90, v80, s2
	;; [unrolled: 1-line block ×7, first 2 shown]
	v_lshrrev_b32_e32 v104, 16, v88
	v_cndmask_b32_e64 v106, v111, v80, s20
	v_cndmask_b32_e64 v110, v112, v84, s20
	v_cndmask_b32_e64 v80, v82, v88, s2
	v_cndmask_b32_e64 v82, v83, v92, s2
	v_cndmask_b32_e64 v83, v94, v88, s18
	v_cndmask_b32_e64 v84, v90, v96, s5
	v_cndmask_b32_e64 v90, v95, v100, s5
	v_cndmask_b32_e64 v94, v99, v96, s19
	v_cndmask_b32_e64 v95, v102, v100, s19
	v_cndmask_b32_e64 v78, v78, v96, s23
	v_cndmask_b32_e64 v79, v79, v100, s23
	v_lshrrev_b32_e32 v97, 16, v81
	v_lshrrev_b32_e32 v101, 16, v85
	v_cndmask_b32_e64 v99, v106, v96, s22
	v_cndmask_b32_e64 v102, v110, v100, s22
	v_cndmask_b32_e64 v83, v83, v104, s19
	v_cndmask_b32_e64 v94, v94, v81, s24
	v_cndmask_b32_e64 v95, v95, v85, s24
	v_cndmask_b32_e64 v78, v78, v81, s26
	v_cndmask_b32_e64 v79, v79, v85, s26
	v_lshrrev_b32_e32 v105, 16, v89
	v_cndmask_b32_e64 v80, v80, v104, s5
	v_cndmask_b32_e64 v84, v84, v81, s6
	;; [unrolled: 1-line block ×16, first 2 shown]
	v_perm_b32 v81, v79, v78, 0x5040100
	v_perm_b32 v79, v95, v85, 0x5040100
	v_cndmask_b32_e64 v78, v119, v91, s13
	v_cndmask_b32_e64 v85, v117, v91, s11
	;; [unrolled: 1-line block ×3, first 2 shown]
	v_perm_b32 v80, v94, v90, 0x5040100
	v_cndmask_b32_e64 v90, v98, v103, s16
	v_cndmask_b32_e64 v86, v86, v103, s17
	;; [unrolled: 1-line block ×5, first 2 shown]
	v_lshrrev_b32_e32 v108, 16, v92
	v_cndmask_b32_e64 v90, v90, v88, s20
	v_cndmask_b32_e64 v86, v86, v88, s21
	;; [unrolled: 1-line block ×11, first 2 shown]
	v_lshrrev_b32_e32 v109, 16, v93
	v_cndmask_b32_e64 v82, v82, v93, s6
	v_cndmask_b32_e64 v88, v88, v89, s25
	;; [unrolled: 1-line block ×12, first 2 shown]
	v_perm_b32 v78, v84, v83, 0x5040100
	v_perm_b32 v85, v87, v86, 0x5040100
	;; [unrolled: 1-line block ×5, first 2 shown]
	s_mul_i32 s7, s33, 10
	s_mov_b32 s2, exec_lo
	ds_store_b128 v74, v[78:81]
	ds_store_b128 v74, v[82:85] offset:1024
	v_cmpx_gt_u32_e32 10, v0
	s_cbranch_execz .LBB999_14
; %bb.13:
	s_mul_i32 s3, s7, s30
	s_load_b128 s[8:11], s[0:1], 0x58
	v_add3_u32 v68, s3, s31, v68
	s_delay_alu instid0(VALU_DEP_1) | instskip(NEXT) | instid1(VALU_DEP_1)
	v_mad_u64_u32 v[78:79], null, v68, s34, s[14:15]
	v_ashrrev_i32_e32 v79, 31, v78
	s_delay_alu instid0(VALU_DEP_1) | instskip(SKIP_1) | instid1(VALU_DEP_1)
	v_lshlrev_b64 v[78:79], 2, v[78:79]
	s_waitcnt lgkmcnt(0)
	v_add_co_u32 v80, vcc_lo, s10, v78
	s_delay_alu instid0(VALU_DEP_2)
	v_add_co_ci_u32_e32 v81, vcc_lo, s11, v79, vcc_lo
	v_add_co_u32 v78, vcc_lo, s8, v78
	v_add_co_ci_u32_e32 v79, vcc_lo, s9, v79, vcc_lo
	global_store_b32 v[80:81], v76, off
	global_store_b32 v[78:79], v77, off
.LBB999_14:
	s_or_b32 exec_lo, exec_lo, s2
	s_waitcnt lgkmcnt(0)
	s_waitcnt_vscnt null, 0x0
	s_barrier
	buffer_gl0_inv
	ds_load_b128 v[84:87], v73
	ds_load_b128 v[88:91], v73 offset:16
	ds_load_b128 v[96:99], v73 offset:2064
	;; [unrolled: 1-line block ×5, first 2 shown]
	v_cmp_eq_u32_e32 vcc_lo, 1, v70
	v_mov_b32_e32 v76, 0
	ds_load_b128 v[112:115], v73 offset:6160
	ds_load_b128 v[108:111], v73 offset:6144
	;; [unrolled: 1-line block ×4, first 2 shown]
	v_cmp_eq_u32_e64 s3, 1, v69
	v_cmp_eq_u32_e64 s2, 1, v72
	v_cmp_eq_u32_e64 s4, 2, v72
	v_mov_b32_e32 v77, v76
	v_mov_b32_e32 v78, v76
	;; [unrolled: 1-line block ×7, first 2 shown]
	v_cmp_eq_u32_e64 s5, 3, v72
	v_cmp_eq_u32_e64 s6, 7, v72
	s_waitcnt lgkmcnt(8)
	s_delay_alu instid0(VALU_DEP_3)
	v_wmma_f32_16x16x16_f16 v[76:83], v[49:56], v[84:91], v[76:83]
	ds_load_b128 v[53:56], v73 offset:10256
	ds_load_b128 v[49:52], v73 offset:10240
	s_waitcnt lgkmcnt(8)
	v_wmma_f32_16x16x16_f16 v[76:83], v[41:48], v[92:99], v[76:83]
	ds_load_b128 v[45:48], v73 offset:12304
	ds_load_b128 v[41:44], v73 offset:12288
	s_waitcnt lgkmcnt(8)
	v_wmma_f32_16x16x16_f16 v[76:83], v[33:40], v[100:107], v[76:83]
	ds_load_b128 v[37:40], v73 offset:14352
	ds_load_b128 v[33:36], v73 offset:14336
	s_waitcnt lgkmcnt(0)
	s_barrier
	buffer_gl0_inv
	v_wmma_f32_16x16x16_f16 v[76:83], v[1:8], v[108:115], v[76:83]
	s_delay_alu instid0(VALU_DEP_1) | instskip(NEXT) | instid1(VALU_DEP_1)
	v_wmma_f32_16x16x16_f16 v[76:83], v[9:16], v[116:123], v[76:83]
	v_wmma_f32_16x16x16_f16 v[76:83], v[17:24], v[49:56], v[76:83]
	s_delay_alu instid0(VALU_DEP_1) | instskip(NEXT) | instid1(VALU_DEP_1)
	v_wmma_f32_16x16x16_f16 v[76:83], v[25:32], v[41:48], v[76:83]
	v_wmma_f32_16x16x16_f16 v[76:83], v[57:64], v[33:40], v[76:83]
	s_delay_alu instid0(VALU_DEP_1) | instskip(NEXT) | instid1(VALU_DEP_2)
	v_cvt_f16_f32_e32 v1, v76
	v_cvt_f16_f32_e32 v2, v77
	s_delay_alu instid0(VALU_DEP_3) | instskip(NEXT) | instid1(VALU_DEP_4)
	v_cvt_f16_f32_e32 v3, v78
	v_cvt_f16_f32_e32 v4, v79
	;; [unrolled: 1-line block ×6, first 2 shown]
	v_pack_b32_f16 v1, v1, v2
	v_pack_b32_f16 v2, v3, v4
	;; [unrolled: 1-line block ×3, first 2 shown]
	s_delay_alu instid0(VALU_DEP_4)
	v_pack_b32_f16 v4, v7, v8
	ds_store_b128 v74, v[1:4]
	s_waitcnt lgkmcnt(0)
	s_barrier
	buffer_gl0_inv
	ds_load_b128 v[1:4], v75
	ds_load_b128 v[5:8], v75 offset:16
	s_waitcnt lgkmcnt(1)
	v_lshrrev_b32_e32 v9, 16, v1
	s_waitcnt lgkmcnt(0)
	v_lshrrev_b32_e32 v13, 16, v5
	v_lshrrev_b32_e32 v10, 16, v2
	;; [unrolled: 1-line block ×4, first 2 shown]
	v_cndmask_b32_e32 v17, v1, v9, vcc_lo
	v_cndmask_b32_e32 v18, v5, v13, vcc_lo
	v_cndmask_b32_e64 v21, v1, v9, s3
	v_cmp_eq_u32_e32 vcc_lo, 1, v71
	v_cndmask_b32_e64 v22, v5, v13, s3
	v_cmp_eq_u32_e64 s3, 2, v70
	v_cndmask_b32_e64 v19, v1, v9, s2
	v_cndmask_b32_e64 v20, v5, v13, s2
	v_cndmask_b32_e32 v1, v1, v9, vcc_lo
	v_cmp_eq_u32_e64 s2, 2, v71
	v_cndmask_b32_e32 v5, v5, v13, vcc_lo
	v_cndmask_b32_e64 v9, v17, v2, s3
	v_cmp_eq_u32_e32 vcc_lo, 3, v70
	v_cndmask_b32_e64 v13, v18, v6, s3
	v_cmp_eq_u32_e64 s3, 2, v69
	v_cndmask_b32_e64 v17, v19, v2, s4
	v_cndmask_b32_e64 v18, v20, v6, s4
	v_cmp_eq_u32_e64 s4, 3, v69
	v_cndmask_b32_e64 v1, v1, v2, s2
	v_cndmask_b32_e64 v19, v21, v2, s3
	v_cndmask_b32_e64 v20, v22, v6, s3
	v_cndmask_b32_e64 v2, v5, v6, s2
	v_cndmask_b32_e32 v5, v9, v10, vcc_lo
	v_cndmask_b32_e32 v6, v13, v14, vcc_lo
	v_cmp_eq_u32_e32 vcc_lo, 3, v71
	v_cndmask_b32_e64 v9, v17, v10, s5
	v_cndmask_b32_e64 v13, v18, v14, s5
	v_cndmask_b32_e64 v18, v20, v14, s4
	v_cmp_eq_u32_e64 s3, 4, v70
	v_cndmask_b32_e32 v1, v1, v10, vcc_lo
	v_cndmask_b32_e32 v2, v2, v14, vcc_lo
	v_cmp_eq_u32_e32 vcc_lo, 4, v72
	v_lshrrev_b32_e32 v15, 16, v7
	v_lshrrev_b32_e32 v16, 16, v8
	v_cndmask_b32_e64 v17, v19, v10, s4
	v_cmp_eq_u32_e64 s2, 4, v71
	v_cndmask_b32_e64 v5, v5, v3, s3
	v_cndmask_b32_e64 v6, v6, v7, s3
	v_cndmask_b32_e32 v9, v9, v3, vcc_lo
	v_cmp_eq_u32_e64 s3, 5, v72
	v_cndmask_b32_e32 v10, v13, v7, vcc_lo
	v_cmp_eq_u32_e32 vcc_lo, 4, v69
	v_cmp_eq_u32_e64 s4, 5, v70
	v_cndmask_b32_e64 v2, v2, v7, s2
	v_cndmask_b32_e64 v9, v9, v11, s3
	;; [unrolled: 1-line block ×3, first 2 shown]
	v_cndmask_b32_e32 v13, v17, v3, vcc_lo
	v_cmp_eq_u32_e64 s3, 5, v69
	v_cndmask_b32_e32 v14, v18, v7, vcc_lo
	v_cndmask_b32_e64 v1, v1, v3, s2
	v_cmp_eq_u32_e32 vcc_lo, 5, v71
	v_lshrrev_b32_e32 v12, 16, v4
	v_cndmask_b32_e64 v13, v13, v11, s3
	v_cndmask_b32_e64 v3, v14, v15, s3
	v_cmp_eq_u32_e64 s3, 6, v71
	v_cndmask_b32_e32 v1, v1, v11, vcc_lo
	v_cndmask_b32_e64 v5, v5, v11, s4
	v_cmp_eq_u32_e64 s5, 6, v70
	v_cndmask_b32_e64 v6, v6, v15, s4
	v_cmp_eq_u32_e64 s4, 6, v72
	v_cmp_eq_u32_e64 s2, 6, v69
	v_cndmask_b32_e64 v1, v1, v4, s3
	v_cndmask_b32_e32 v2, v2, v15, vcc_lo
	v_cmp_eq_u32_e32 vcc_lo, 7, v71
	v_cndmask_b32_e64 v5, v5, v4, s5
	v_cndmask_b32_e64 v9, v9, v4, s4
	v_cndmask_b32_e64 v6, v6, v8, s5
	v_cmp_eq_u32_e64 s5, 7, v70
	v_cndmask_b32_e32 v1, v1, v12, vcc_lo
	v_cndmask_b32_e64 v7, v13, v4, s2
	v_cndmask_b32_e64 v3, v3, v8, s2
	;; [unrolled: 1-line block ×3, first 2 shown]
	v_cmp_eq_u32_e64 s2, 7, v69
	v_cndmask_b32_e64 v4, v10, v8, s4
	v_cndmask_b32_e64 v5, v5, v12, s5
	;; [unrolled: 1-line block ×3, first 2 shown]
	v_cndmask_b32_e32 v2, v2, v16, vcc_lo
	v_cndmask_b32_e64 v7, v7, v12, s2
	v_cndmask_b32_e64 v3, v3, v16, s2
	;; [unrolled: 1-line block ×4, first 2 shown]
	v_perm_b32 v4, v2, v1, 0x5040100
	s_mov_b32 s2, exec_lo
	v_perm_b32 v3, v3, v7, 0x5040100
	v_perm_b32 v2, v8, v9, 0x5040100
	;; [unrolled: 1-line block ×3, first 2 shown]
	ds_store_b128 v74, v[1:4]
	s_waitcnt lgkmcnt(0)
	s_barrier
	buffer_gl0_inv
	v_cmpx_gt_u32_e32 32, v0
	s_cbranch_execz .LBB999_2
; %bb.15:
	s_load_b64 s[0:1], s[0:1], 0x68
	s_lshl_b32 s4, s34, 7
	v_or_b32_e32 v2, s31, v66
	s_mul_i32 s2, s4, s30
	v_lshlrev_b32_e32 v0, 10, v0
	s_mul_i32 s2, s2, s7
	v_lshlrev_b32_e32 v1, 4, v67
	s_ashr_i32 s3, s2, 31
	v_mul_lo_u32 v20, v2, s4
	s_lshl_b64 s[2:3], s[2:3], 1
	v_lshlrev_b32_e32 v3, 6, v66
	v_and_b32_e32 v0, 0x3800, v0
	s_delay_alu instid0(VALU_DEP_1) | instskip(NEXT) | instid1(VALU_DEP_4)
	v_or3_b32 v16, v0, v1, v3
	v_ashrrev_i32_e32 v21, 31, v20
	ds_load_b128 v[0:3], v16
	ds_load_b128 v[4:7], v16 offset:128
	s_waitcnt lgkmcnt(0)
	s_add_u32 s2, s0, s2
	s_addc_u32 s3, s1, s3
	s_lshl_b32 s0, s14, 7
	ds_load_b128 v[8:11], v16 offset:256
	ds_load_b128 v[12:15], v16 offset:384
	;; [unrolled: 1-line block ×3, first 2 shown]
	s_ashr_i32 s1, s0, 31
	s_delay_alu instid0(SALU_CYCLE_1) | instskip(NEXT) | instid1(SALU_CYCLE_1)
	s_lshl_b64 s[0:1], s[0:1], 1
	s_add_u32 s0, s2, s0
	s_addc_u32 s1, s3, s1
	s_lshl_b32 s2, s34, 8
	v_add_co_u32 v30, s0, s0, v65
	v_add_nc_u32_e32 v22, s2, v20
	v_lshlrev_b64 v[20:21], 1, v[20:21]
	v_add_co_ci_u32_e64 v31, null, s1, 0, s0
	s_delay_alu instid0(VALU_DEP_3) | instskip(SKIP_1) | instid1(VALU_DEP_4)
	v_add_nc_u32_e32 v24, s2, v22
	v_ashrrev_i32_e32 v23, 31, v22
	v_add_co_u32 v20, vcc_lo, v30, v20
	s_delay_alu instid0(VALU_DEP_4) | instskip(NEXT) | instid1(VALU_DEP_4)
	v_add_co_ci_u32_e32 v21, vcc_lo, v31, v21, vcc_lo
	v_add_nc_u32_e32 v26, s2, v24
	v_ashrrev_i32_e32 v25, 31, v24
	v_lshlrev_b64 v[22:23], 1, v[22:23]
	s_delay_alu instid0(VALU_DEP_3) | instskip(SKIP_1) | instid1(VALU_DEP_4)
	v_add_nc_u32_e32 v28, s2, v26
	v_ashrrev_i32_e32 v27, 31, v26
	v_lshlrev_b64 v[24:25], 1, v[24:25]
	s_delay_alu instid0(VALU_DEP_4) | instskip(NEXT) | instid1(VALU_DEP_4)
	v_add_co_u32 v22, vcc_lo, v30, v22
	v_ashrrev_i32_e32 v29, 31, v28
	s_delay_alu instid0(VALU_DEP_4) | instskip(SKIP_2) | instid1(VALU_DEP_4)
	v_lshlrev_b64 v[26:27], 1, v[26:27]
	v_add_co_ci_u32_e32 v23, vcc_lo, v31, v23, vcc_lo
	v_add_co_u32 v24, vcc_lo, v30, v24
	v_lshlrev_b64 v[28:29], 1, v[28:29]
	v_add_co_ci_u32_e32 v25, vcc_lo, v31, v25, vcc_lo
	v_add_co_u32 v26, vcc_lo, v30, v26
	v_add_co_ci_u32_e32 v27, vcc_lo, v31, v27, vcc_lo
	s_delay_alu instid0(VALU_DEP_4)
	v_add_co_u32 v28, vcc_lo, v30, v28
	v_add_co_ci_u32_e32 v29, vcc_lo, v31, v29, vcc_lo
	s_clause 0x1
	global_store_b128 v[20:21], v[0:3], off
	global_store_b128 v[22:23], v[4:7], off
	s_waitcnt lgkmcnt(2)
	global_store_b128 v[24:25], v[8:11], off
	s_waitcnt lgkmcnt(1)
	;; [unrolled: 2-line block ×3, first 2 shown]
	global_store_b128 v[28:29], v[16:19], off
	s_nop 0
	s_sendmsg sendmsg(MSG_DEALLOC_VGPRS)
	s_endpgm
	.section	.rodata,"a",@progbits
	.p2align	6, 0x0
	.amdhsa_kernel _Z39paged_attention_ll4mi_QKV_mfma16_kernelIDF16_hLN4vllm18Fp8KVCacheDataTypeE1EDF16_Li16ELi128ELi256ELb0ELi10EL8MFMAType1EEvPKT_PKT0_S8_ifPKiSA_SA_iPKfiiiPfSD_PS3_PT2_iSC_SC_
		.amdhsa_group_segment_fixed_size 17472
		.amdhsa_private_segment_fixed_size 0
		.amdhsa_kernarg_size 400
		.amdhsa_user_sgpr_count 13
		.amdhsa_user_sgpr_dispatch_ptr 0
		.amdhsa_user_sgpr_queue_ptr 0
		.amdhsa_user_sgpr_kernarg_segment_ptr 1
		.amdhsa_user_sgpr_dispatch_id 0
		.amdhsa_user_sgpr_private_segment_size 0
		.amdhsa_wavefront_size32 1
		.amdhsa_uses_dynamic_stack 0
		.amdhsa_enable_private_segment 0
		.amdhsa_system_sgpr_workgroup_id_x 1
		.amdhsa_system_sgpr_workgroup_id_y 1
		.amdhsa_system_sgpr_workgroup_id_z 1
		.amdhsa_system_sgpr_workgroup_info 0
		.amdhsa_system_vgpr_workitem_id 0
		.amdhsa_next_free_vgpr 150
		.amdhsa_next_free_sgpr 36
		.amdhsa_reserve_vcc 1
		.amdhsa_float_round_mode_32 0
		.amdhsa_float_round_mode_16_64 0
		.amdhsa_float_denorm_mode_32 3
		.amdhsa_float_denorm_mode_16_64 3
		.amdhsa_dx10_clamp 1
		.amdhsa_ieee_mode 1
		.amdhsa_fp16_overflow 0
		.amdhsa_workgroup_processor_mode 1
		.amdhsa_memory_ordered 1
		.amdhsa_forward_progress 0
		.amdhsa_shared_vgpr_count 0
		.amdhsa_exception_fp_ieee_invalid_op 0
		.amdhsa_exception_fp_denorm_src 0
		.amdhsa_exception_fp_ieee_div_zero 0
		.amdhsa_exception_fp_ieee_overflow 0
		.amdhsa_exception_fp_ieee_underflow 0
		.amdhsa_exception_fp_ieee_inexact 0
		.amdhsa_exception_int_div_zero 0
	.end_amdhsa_kernel
	.section	.text._Z39paged_attention_ll4mi_QKV_mfma16_kernelIDF16_hLN4vllm18Fp8KVCacheDataTypeE1EDF16_Li16ELi128ELi256ELb0ELi10EL8MFMAType1EEvPKT_PKT0_S8_ifPKiSA_SA_iPKfiiiPfSD_PS3_PT2_iSC_SC_,"axG",@progbits,_Z39paged_attention_ll4mi_QKV_mfma16_kernelIDF16_hLN4vllm18Fp8KVCacheDataTypeE1EDF16_Li16ELi128ELi256ELb0ELi10EL8MFMAType1EEvPKT_PKT0_S8_ifPKiSA_SA_iPKfiiiPfSD_PS3_PT2_iSC_SC_,comdat
.Lfunc_end999:
	.size	_Z39paged_attention_ll4mi_QKV_mfma16_kernelIDF16_hLN4vllm18Fp8KVCacheDataTypeE1EDF16_Li16ELi128ELi256ELb0ELi10EL8MFMAType1EEvPKT_PKT0_S8_ifPKiSA_SA_iPKfiiiPfSD_PS3_PT2_iSC_SC_, .Lfunc_end999-_Z39paged_attention_ll4mi_QKV_mfma16_kernelIDF16_hLN4vllm18Fp8KVCacheDataTypeE1EDF16_Li16ELi128ELi256ELb0ELi10EL8MFMAType1EEvPKT_PKT0_S8_ifPKiSA_SA_iPKfiiiPfSD_PS3_PT2_iSC_SC_
                                        ; -- End function
	.section	.AMDGPU.csdata,"",@progbits
; Kernel info:
; codeLenInByte = 6704
; NumSgprs: 38
; NumVgprs: 150
; ScratchSize: 0
; MemoryBound: 0
; FloatMode: 240
; IeeeMode: 1
; LDSByteSize: 17472 bytes/workgroup (compile time only)
; SGPRBlocks: 4
; VGPRBlocks: 18
; NumSGPRsForWavesPerEU: 38
; NumVGPRsForWavesPerEU: 150
; Occupancy: 9
; WaveLimiterHint : 1
; COMPUTE_PGM_RSRC2:SCRATCH_EN: 0
; COMPUTE_PGM_RSRC2:USER_SGPR: 13
; COMPUTE_PGM_RSRC2:TRAP_HANDLER: 0
; COMPUTE_PGM_RSRC2:TGID_X_EN: 1
; COMPUTE_PGM_RSRC2:TGID_Y_EN: 1
; COMPUTE_PGM_RSRC2:TGID_Z_EN: 1
; COMPUTE_PGM_RSRC2:TIDIG_COMP_CNT: 0
	.section	.text._Z39paged_attention_ll4mi_QKV_mfma16_kernelIDF16_hLN4vllm18Fp8KVCacheDataTypeE1EDF16_Li16ELi128ELi256ELb0ELi11EL8MFMAType1EEvPKT_PKT0_S8_ifPKiSA_SA_iPKfiiiPfSD_PS3_PT2_iSC_SC_,"axG",@progbits,_Z39paged_attention_ll4mi_QKV_mfma16_kernelIDF16_hLN4vllm18Fp8KVCacheDataTypeE1EDF16_Li16ELi128ELi256ELb0ELi11EL8MFMAType1EEvPKT_PKT0_S8_ifPKiSA_SA_iPKfiiiPfSD_PS3_PT2_iSC_SC_,comdat
	.protected	_Z39paged_attention_ll4mi_QKV_mfma16_kernelIDF16_hLN4vllm18Fp8KVCacheDataTypeE1EDF16_Li16ELi128ELi256ELb0ELi11EL8MFMAType1EEvPKT_PKT0_S8_ifPKiSA_SA_iPKfiiiPfSD_PS3_PT2_iSC_SC_ ; -- Begin function _Z39paged_attention_ll4mi_QKV_mfma16_kernelIDF16_hLN4vllm18Fp8KVCacheDataTypeE1EDF16_Li16ELi128ELi256ELb0ELi11EL8MFMAType1EEvPKT_PKT0_S8_ifPKiSA_SA_iPKfiiiPfSD_PS3_PT2_iSC_SC_
	.globl	_Z39paged_attention_ll4mi_QKV_mfma16_kernelIDF16_hLN4vllm18Fp8KVCacheDataTypeE1EDF16_Li16ELi128ELi256ELb0ELi11EL8MFMAType1EEvPKT_PKT0_S8_ifPKiSA_SA_iPKfiiiPfSD_PS3_PT2_iSC_SC_
	.p2align	8
	.type	_Z39paged_attention_ll4mi_QKV_mfma16_kernelIDF16_hLN4vllm18Fp8KVCacheDataTypeE1EDF16_Li16ELi128ELi256ELb0ELi11EL8MFMAType1EEvPKT_PKT0_S8_ifPKiSA_SA_iPKfiiiPfSD_PS3_PT2_iSC_SC_,@function
_Z39paged_attention_ll4mi_QKV_mfma16_kernelIDF16_hLN4vllm18Fp8KVCacheDataTypeE1EDF16_Li16ELi128ELi256ELb0ELi11EL8MFMAType1EEvPKT_PKT0_S8_ifPKiSA_SA_iPKfiiiPfSD_PS3_PT2_iSC_SC_: ; @_Z39paged_attention_ll4mi_QKV_mfma16_kernelIDF16_hLN4vllm18Fp8KVCacheDataTypeE1EDF16_Li16ELi128ELi256ELb0ELi11EL8MFMAType1EEvPKT_PKT0_S8_ifPKiSA_SA_iPKfiiiPfSD_PS3_PT2_iSC_SC_
; %bb.0:
	s_load_b64 s[4:5], s[0:1], 0x30
	s_mov_b32 s34, s13
	s_waitcnt lgkmcnt(0)
	s_cmp_lg_u64 s[4:5], 0
	s_cselect_b32 s8, -1, 0
	s_ashr_i32 s35, s13, 31
	s_cmp_eq_u64 s[4:5], 0
	s_cbranch_scc1 .LBB1000_3
; %bb.1:
	s_lshl_b64 s[2:3], s[34:35], 2
	s_delay_alu instid0(SALU_CYCLE_1) | instskip(SKIP_4) | instid1(SALU_CYCLE_1)
	s_add_u32 s2, s4, s2
	s_addc_u32 s3, s5, s3
	s_load_b64 s[2:3], s[2:3], 0x0
	s_waitcnt lgkmcnt(0)
	s_sub_i32 s2, s3, s2
	s_cmp_eq_u32 s2, 1
	s_cselect_b32 s2, -1, 0
	s_delay_alu instid0(SALU_CYCLE_1)
	s_and_not1_b32 vcc_lo, exec_lo, s2
	s_cbranch_vccz .LBB1000_4
.LBB1000_2:
	s_nop 0
	s_sendmsg sendmsg(MSG_DEALLOC_VGPRS)
	s_endpgm
.LBB1000_3:
.LBB1000_4:
	s_load_b64 s[2:3], s[0:1], 0x28
	s_lshl_b64 s[6:7], s[34:35], 2
	s_waitcnt lgkmcnt(0)
	s_add_u32 s2, s2, s6
	s_addc_u32 s3, s3, s7
	s_lshl_b32 s12, s14, 8
	s_load_b32 s24, s[2:3], 0x0
	s_waitcnt lgkmcnt(0)
	s_cmp_ge_i32 s12, s24
	s_cbranch_scc1 .LBB1000_2
; %bb.5:
	s_clause 0x1
	s_load_b128 s[20:23], s[0:1], 0x8
	s_load_b64 s[2:3], s[0:1], 0x20
	s_and_not1_b32 vcc_lo, exec_lo, s8
	s_cbranch_vccnz .LBB1000_7
; %bb.6:
	s_add_u32 s4, s4, s6
	s_addc_u32 s5, s5, s7
	s_load_b32 s5, s[4:5], 0x0
	s_branch .LBB1000_8
.LBB1000_7:
	s_mov_b32 s5, s34
.LBB1000_8:
	s_load_b128 s[16:19], s[0:1], 0x48
	v_and_b32_e32 v68, 15, v0
	v_lshrrev_b32_e32 v69, 5, v0
	v_bfe_u32 v66, v0, 4, 1
	v_and_b32_e32 v70, 31, v0
	v_and_b32_e32 v67, 1, v0
	v_lshlrev_b32_e32 v2, 3, v68
	s_mul_i32 s31, s15, 11
	v_lshl_or_b32 v1, v69, 1, v66
	s_mov_b32 s4, exec_lo
	s_delay_alu instid0(VALU_DEP_2) | instskip(NEXT) | instid1(VALU_DEP_2)
	v_lshlrev_b32_e32 v65, 1, v2
	v_cmpx_gt_u32_e32 11, v1
	s_cbranch_execz .LBB1000_10
; %bb.9:
	s_load_b64 s[6:7], s[0:1], 0x0
	v_add_lshl_u32 v2, v1, s31, 7
	s_waitcnt lgkmcnt(0)
	s_mul_hi_i32 s9, s5, s16
	s_mul_i32 s8, s5, s16
	v_lshlrev_b32_e32 v6, 10, v68
	s_lshl_b64 s[8:9], s[8:9], 1
	v_ashrrev_i32_e32 v3, 31, v2
	v_lshlrev_b32_e32 v1, 6, v1
	v_lshlrev_b32_e32 v7, 10, v67
	v_and_b32_e32 v6, 0x3800, v6
	s_delay_alu instid0(VALU_DEP_4) | instskip(NEXT) | instid1(VALU_DEP_2)
	v_lshlrev_b64 v[2:3], 1, v[2:3]
	v_or3_b32 v1, v6, v7, v1
	s_add_u32 s5, s6, s8
	s_addc_u32 s6, s7, s9
	s_delay_alu instid0(VALU_DEP_2) | instskip(NEXT) | instid1(VALU_DEP_3)
	v_add_co_u32 v2, vcc_lo, s5, v2
	v_add_co_ci_u32_e32 v3, vcc_lo, s6, v3, vcc_lo
	s_delay_alu instid0(VALU_DEP_2) | instskip(NEXT) | instid1(VALU_DEP_2)
	v_add_co_u32 v2, vcc_lo, v2, v65
	v_add_co_ci_u32_e32 v3, vcc_lo, 0, v3, vcc_lo
	global_load_b128 v[2:5], v[2:3], off
	s_waitcnt vmcnt(0)
	ds_store_b128 v1, v[2:5]
.LBB1000_10:
	s_or_b32 exec_lo, exec_lo, s4
	v_and_b32_e32 v1, 0xef, v0
	s_waitcnt lgkmcnt(0)
	s_add_i32 s5, s24, 15
	s_clause 0x1
	s_load_b32 s4, s[0:1], 0x38
	s_load_b32 s33, s[0:1], 0x98
	s_ashr_i32 s6, s5, 31
	v_add_nc_u32_e32 v1, s12, v1
	s_lshr_b32 s6, s6, 28
	s_load_b32 s19, s[0:1], 0x1c
	s_add_i32 s5, s5, s6
	s_waitcnt lgkmcnt(0)
	v_ashrrev_i32_e32 v2, 31, v1
	v_or_b32_e32 v3, 16, v1
	s_ashr_i32 s13, s5, 4
	v_cmp_gt_i32_e32 vcc_lo, s24, v1
	s_add_i32 s13, s13, -1
	v_lshrrev_b32_e32 v2, 28, v2
	s_barrier
	buffer_gl0_inv
	s_mul_i32 s15, s15, s18
	v_add_nc_u32_e32 v4, v1, v2
	s_mul_i32 s4, s34, s4
	s_delay_alu instid0(SALU_CYCLE_1) | instskip(NEXT) | instid1(VALU_DEP_1)
	s_ashr_i32 s5, s4, 31
	v_ashrrev_i32_e32 v4, 4, v4
	v_add_nc_u32_e32 v2, v3, v2
	s_lshl_b64 s[4:5], s[4:5], 2
	s_delay_alu instid0(SALU_CYCLE_1) | instskip(NEXT) | instid1(VALU_DEP_2)
	s_add_u32 s16, s2, s4
	v_cndmask_b32_e32 v1, s13, v4, vcc_lo
	s_delay_alu instid0(VALU_DEP_2)
	v_ashrrev_i32_e32 v2, 4, v2
	v_cmp_gt_i32_e32 vcc_lo, s24, v3
	s_addc_u32 s25, s3, s5
	s_ashr_i32 s18, s15, 31
	s_add_u32 s26, s20, s15
	s_addc_u32 s27, s21, s18
	v_cndmask_b32_e32 v3, s13, v2, vcc_lo
	v_ashrrev_i32_e32 v2, 31, v1
	s_lshl_b32 s2, s14, 4
	s_delay_alu instid0(SALU_CYCLE_1) | instskip(NEXT) | instid1(VALU_DEP_2)
	s_ashr_i32 s3, s2, 31
	v_ashrrev_i32_e32 v4, 31, v3
	s_delay_alu instid0(VALU_DEP_2) | instskip(SKIP_1) | instid1(SALU_CYCLE_1)
	v_lshlrev_b64 v[1:2], 2, v[1:2]
	s_lshl_b64 s[2:3], s[2:3], 2
	s_add_u32 s2, s16, s2
	s_delay_alu instid0(VALU_DEP_2) | instskip(SKIP_1) | instid1(VALU_DEP_2)
	v_lshlrev_b64 v[3:4], 2, v[3:4]
	s_addc_u32 s3, s25, s3
	v_add_co_u32 v1, vcc_lo, s16, v1
	v_add_co_ci_u32_e32 v2, vcc_lo, s25, v2, vcc_lo
	s_delay_alu instid0(VALU_DEP_3) | instskip(NEXT) | instid1(VALU_DEP_4)
	v_add_co_u32 v3, vcc_lo, s16, v3
	v_add_co_ci_u32_e32 v4, vcc_lo, s25, v4, vcc_lo
	s_clause 0x1
	global_load_b32 v5, v[1:2], off
	global_load_b32 v7, v[3:4], off
	s_or_b32 s4, s12, 32
	v_lshlrev_b32_e32 v1, 4, v0
	s_ashr_i32 s5, s4, 4
	s_cmp_lt_i32 s4, s24
	v_cmp_gt_u32_e32 vcc_lo, 11, v68
	s_cselect_b32 s4, s5, s13
	v_and_b32_e32 v1, 0xf0, v1
	s_ashr_i32 s5, s4, 31
	s_delay_alu instid0(SALU_CYCLE_1) | instskip(NEXT) | instid1(SALU_CYCLE_1)
	s_lshl_b64 s[4:5], s[4:5], 2
	s_add_u32 s4, s16, s4
	s_addc_u32 s5, s25, s5
	s_or_b32 s6, s12, 64
	v_add_co_u32 v1, s26, s26, v1
	s_ashr_i32 s7, s6, 4
	s_cmp_lt_i32 s6, s24
	v_add_co_ci_u32_e64 v2, null, s27, 0, s26
	s_cselect_b32 s6, s7, s13
	s_delay_alu instid0(SALU_CYCLE_1) | instskip(NEXT) | instid1(SALU_CYCLE_1)
	s_ashr_i32 s7, s6, 31
	s_lshl_b64 s[6:7], s[6:7], 2
	s_delay_alu instid0(SALU_CYCLE_1) | instskip(SKIP_2) | instid1(SALU_CYCLE_1)
	s_add_u32 s6, s16, s6
	s_addc_u32 s7, s25, s7
	s_or_b32 s8, s12, 0x60
	s_ashr_i32 s9, s8, 4
	s_cmp_lt_i32 s8, s24
	s_cselect_b32 s8, s9, s13
	s_delay_alu instid0(SALU_CYCLE_1) | instskip(NEXT) | instid1(SALU_CYCLE_1)
	s_ashr_i32 s9, s8, 31
	s_lshl_b64 s[8:9], s[8:9], 2
	s_delay_alu instid0(SALU_CYCLE_1) | instskip(SKIP_2) | instid1(SALU_CYCLE_1)
	s_add_u32 s8, s16, s8
	s_addc_u32 s9, s25, s9
	s_or_b32 s10, s12, 0x80
	s_ashr_i32 s11, s10, 4
	s_cmp_lt_i32 s10, s24
	;; [unrolled: 10-line block ×3, first 2 shown]
	s_cselect_b32 s20, s21, s13
	s_delay_alu instid0(SALU_CYCLE_1) | instskip(NEXT) | instid1(SALU_CYCLE_1)
	s_ashr_i32 s21, s20, 31
	s_lshl_b64 s[20:21], s[20:21], 2
	s_delay_alu instid0(SALU_CYCLE_1)
	s_add_u32 s20, s16, s20
	s_addc_u32 s21, s25, s21
	s_clause 0x5
	s_load_b32 s26, s[2:3], 0x0
	s_load_b32 s27, s[4:5], 0x0
	;; [unrolled: 1-line block ×6, first 2 shown]
	s_or_b32 s2, s12, 0xc0
	s_mov_b32 s4, 0
	s_ashr_i32 s3, s2, 4
	s_cmp_lt_i32 s2, s24
	s_mov_b32 s11, s4
	s_cselect_b32 s2, s3, s13
	s_mov_b32 s5, s4
	s_ashr_i32 s3, s2, 31
	s_mov_b32 s6, s4
	s_lshl_b64 s[2:3], s[2:3], 2
	s_mov_b32 s7, s4
	s_add_u32 s2, s16, s2
	s_addc_u32 s3, s25, s3
	s_or_b32 s20, s12, 0xe0
	s_mov_b32 s8, s4
	s_ashr_i32 s21, s20, 4
	s_cmp_lt_i32 s20, s24
	s_mov_b32 s9, s4
	s_cselect_b32 s20, s21, s13
	s_mov_b32 s10, s4
	s_ashr_i32 s21, s20, 31
	v_mov_b32_e32 v118, s11
	v_dual_mov_b32 v112, s5 :: v_dual_mov_b32 v117, s10
	v_dual_mov_b32 v116, s9 :: v_dual_mov_b32 v115, s8
	;; [unrolled: 1-line block ×3, first 2 shown]
	v_mov_b32_e32 v111, s4
	s_lshl_b64 s[4:5], s[20:21], 2
	s_delay_alu instid0(SALU_CYCLE_1)
	s_add_u32 s4, s16, s4
	s_addc_u32 s5, s25, s5
	s_add_u32 s6, s22, s15
	s_addc_u32 s7, s23, s18
	s_waitcnt vmcnt(1)
	v_mad_i64_i32 v[3:4], null, v5, s17, v[1:2]
	s_waitcnt vmcnt(0)
	v_mad_i64_i32 v[5:6], null, v7, s17, v[1:2]
	v_add_nc_u32_e32 v1, -11, v68
	v_lshlrev_b32_e32 v2, 4, v68
	s_clause 0xf
	global_load_b128 v[17:20], v[3:4], off
	global_load_b128 v[21:24], v[3:4], off offset:256
	global_load_b128 v[25:28], v[5:6], off
	global_load_b128 v[29:32], v[5:6], off offset:256
	global_load_b128 v[57:60], v[3:4], off offset:512
	;; [unrolled: 1-line block ×13, first 2 shown]
	v_cndmask_b32_e32 v1, v1, v68, vcc_lo
	s_delay_alu instid0(VALU_DEP_1)
	v_lshlrev_b32_e32 v149, 6, v1
	v_lshl_or_b32 v1, v69, 8, v2
	ds_load_b128 v[119:122], v149
	ds_load_b128 v[123:126], v149 offset:1024
	ds_load_b128 v[127:130], v149 offset:2048
	;; [unrolled: 1-line block ×3, first 2 shown]
	s_clause 0x1
	s_load_b32 s2, s[2:3], 0x0
	s_load_b32 s3, s[4:5], 0x0
	v_add_co_u32 v135, s6, s6, v1
	s_delay_alu instid0(VALU_DEP_1) | instskip(SKIP_1) | instid1(VALU_DEP_1)
	v_add_co_ci_u32_e64 v136, null, s7, 0, s6
	s_waitcnt lgkmcnt(0)
	v_mad_i64_i32 v[1:2], null, s26, s17, v[135:136]
	v_mad_i64_i32 v[3:4], null, s27, s17, v[135:136]
	;; [unrolled: 1-line block ×6, first 2 shown]
	s_clause 0x9
	global_load_b128 v[49:52], v[1:2], off
	global_load_b128 v[53:56], v[1:2], off offset:16
	global_load_b128 v[41:44], v[3:4], off
	global_load_b128 v[45:48], v[3:4], off offset:16
	;; [unrolled: 2-line block ×5, first 2 shown]
	v_mad_i64_i32 v[145:146], null, s2, s17, v[135:136]
	v_mad_i64_i32 v[147:148], null, s3, s17, v[135:136]
	s_waitcnt vmcnt(24)
	v_wmma_f32_16x16x16_f16 v[135:142], v[17:24], v[119:126], v[111:118]
	s_waitcnt vmcnt(22)
	v_wmma_f32_16x16x16_f16 v[111:118], v[25:32], v[119:126], v[111:118]
	s_clause 0x3
	global_load_b128 v[17:20], v[143:144], off
	global_load_b128 v[21:24], v[143:144], off offset:16
	global_load_b128 v[25:28], v[145:146], off
	global_load_b128 v[29:32], v[145:146], off offset:16
	v_and_b32_e32 v119, 0xe0, v0
	s_waitcnt vmcnt(24)
	v_wmma_f32_16x16x16_f16 v[135:142], v[57:64], v[127:134], v[135:142]
	s_clause 0x1
	global_load_b128 v[57:60], v[147:148], off
	global_load_b128 v[61:64], v[147:148], off offset:16
	s_waitcnt vmcnt(24)
	v_wmma_f32_16x16x16_f16 v[111:118], v[71:78], v[127:134], v[111:118]
	ds_load_b128 v[71:74], v149 offset:4096
	ds_load_b128 v[75:78], v149 offset:5120
	v_add_nc_u32_e32 v128, s12, v119
	ds_load_b128 v[119:122], v149 offset:6144
	ds_load_b128 v[123:126], v149 offset:7168
	v_mbcnt_lo_u32_b32 v127, -1, 0
	s_waitcnt vmcnt(0) lgkmcnt(0)
	s_barrier
	v_or_b32_e32 v128, v128, v66
	buffer_gl0_inv
	v_xor_b32_e32 v129, 16, v127
	v_or_b32_e32 v130, 4, v128
	v_or_b32_e32 v131, 6, v128
	s_delay_alu instid0(VALU_DEP_3) | instskip(SKIP_4) | instid1(VALU_DEP_4)
	v_cmp_gt_i32_e32 vcc_lo, 32, v129
	v_or_b32_e32 v132, 8, v128
	v_or_b32_e32 v133, 10, v128
	v_cmp_gt_i32_e64 s3, s24, v130
	v_cmp_gt_i32_e64 s4, s24, v131
	;; [unrolled: 1-line block ×3, first 2 shown]
	v_wmma_f32_16x16x16_f16 v[135:142], v[79:86], v[71:78], v[135:142]
	v_wmma_f32_16x16x16_f16 v[111:118], v[87:94], v[71:78], v[111:118]
	v_or_b32_e32 v79, 12, v128
	v_or_b32_e32 v80, 14, v128
	v_cmp_gt_i32_e64 s6, s24, v133
	v_wmma_f32_16x16x16_f16 v[135:142], v[95:102], v[119:126], v[135:142]
	v_wmma_f32_16x16x16_f16 v[111:118], v[103:110], v[119:126], v[111:118]
	v_cndmask_b32_e32 v127, v127, v129, vcc_lo
	v_or_b32_e32 v129, 2, v128
	v_cmp_gt_i32_e32 vcc_lo, s24, v128
	v_mul_f32_e32 v88, s19, v135
	v_dual_mul_f32 v92, s19, v115 :: v_dual_mul_f32 v87, s19, v136
	s_delay_alu instid0(VALU_DEP_4)
	v_cmp_gt_i32_e64 s2, s24, v129
	v_mul_f32_e32 v78, s19, v138
	v_mul_f32_e32 v86, s19, v137
	v_cndmask_b32_e32 v88, 0xff7fffff, v88, vcc_lo
	v_mul_f32_e32 v76, s19, v140
	v_cndmask_b32_e64 v87, 0xff7fffff, v87, s2
	v_dual_mul_f32 v77, s19, v139 :: v_dual_mul_f32 v94, s19, v113
	v_cndmask_b32_e64 v86, 0xff7fffff, v86, s3
	v_cndmask_b32_e64 v78, 0xff7fffff, v78, s4
	s_delay_alu instid0(VALU_DEP_4)
	v_max3_f32 v87, v88, 0xff7fffff, v87
	v_or_b32_e32 v81, 16, v128
	v_or_b32_e32 v82, 18, v128
	v_dual_mul_f32 v74, s19, v142 :: v_dual_mul_f32 v75, s19, v141
	v_mul_f32_e32 v96, s19, v111
	v_cndmask_b32_e64 v77, 0xff7fffff, v77, s5
	v_cndmask_b32_e64 v76, 0xff7fffff, v76, s6
	v_max3_f32 v78, v87, v86, v78
	v_cmp_gt_i32_e64 s7, s24, v79
	v_cmp_gt_i32_e64 s8, s24, v80
	v_or_b32_e32 v83, 20, v128
	v_or_b32_e32 v84, 22, v128
	v_mul_f32_e32 v95, s19, v112
	v_cndmask_b32_e64 v75, 0xff7fffff, v75, s7
	v_cndmask_b32_e64 v74, 0xff7fffff, v74, s8
	v_max3_f32 v76, v78, v77, v76
	v_cmp_gt_i32_e64 s9, s24, v81
	v_cmp_gt_i32_e64 s10, s24, v82
	v_or_b32_e32 v85, 24, v128
	v_or_b32_e32 v71, 26, v128
	;; [unrolled: 8-line block ×3, first 2 shown]
	v_mul_f32_e32 v91, s19, v116
	v_cndmask_b32_e64 v75, 0xff7fffff, v94, s11
	v_cndmask_b32_e64 v76, 0xff7fffff, v93, s12
	v_max3_f32 v74, v74, v77, v78
	v_cmp_gt_i32_e64 s13, s24, v85
	v_cmp_gt_i32_e64 s15, s24, v71
	v_dual_mul_f32 v89, s19, v118 :: v_dual_mul_f32 v90, s19, v117
	s_delay_alu instid0(VALU_DEP_4) | instskip(NEXT) | instid1(VALU_DEP_4)
	v_max3_f32 v74, v74, v75, v76
	v_cndmask_b32_e64 v77, 0xff7fffff, v92, s13
	s_delay_alu instid0(VALU_DEP_4) | instskip(SKIP_2) | instid1(VALU_DEP_3)
	v_cndmask_b32_e64 v71, 0xff7fffff, v91, s15
	v_cmp_gt_i32_e64 s16, s24, v72
	v_cmp_gt_i32_e64 s17, s24, v73
	v_max3_f32 v71, v74, v77, v71
	s_delay_alu instid0(VALU_DEP_3) | instskip(NEXT) | instid1(VALU_DEP_3)
	v_cndmask_b32_e64 v72, 0xff7fffff, v90, s16
	v_cndmask_b32_e64 v73, 0xff7fffff, v89, s17
	v_lshlrev_b32_e32 v74, 2, v127
	s_delay_alu instid0(VALU_DEP_2) | instskip(SKIP_3) | instid1(VALU_DEP_1)
	v_max3_f32 v71, v71, v72, v73
	ds_bpermute_b32 v72, v74, v71
	s_waitcnt lgkmcnt(0)
	v_max_f32_e32 v72, v72, v72
	v_max_f32_e32 v71, v71, v72
	s_delay_alu instid0(VALU_DEP_1) | instskip(SKIP_4) | instid1(VALU_DEP_4)
	v_fma_f32 v72, s19, v135, -v71
	v_fma_f32 v73, s19, v136, -v71
	v_fma_f32 v75, s19, v137, -v71
	v_fma_f32 v76, s19, v138, -v71
	v_fma_f32 v77, s19, v139, -v71
	v_dual_mul_f32 v72, 0x3fb8aa3b, v72 :: v_dual_mul_f32 v73, 0x3fb8aa3b, v73
	v_fma_f32 v80, s19, v141, -v71
	s_delay_alu instid0(VALU_DEP_3) | instskip(NEXT) | instid1(VALU_DEP_3)
	v_dual_mul_f32 v76, 0x3fb8aa3b, v76 :: v_dual_mul_f32 v77, 0x3fb8aa3b, v77
	v_exp_f32_e32 v72, v72
	s_delay_alu instid0(VALU_DEP_3) | instskip(NEXT) | instid1(VALU_DEP_2)
	v_exp_f32_e32 v73, v73
	v_mul_f32_e32 v82, 0x3fb8aa3b, v80
	s_delay_alu instid0(VALU_DEP_2) | instskip(SKIP_1) | instid1(VALU_DEP_1)
	v_exp_f32_e32 v76, v76
	v_exp_f32_e32 v77, v77
	;; [unrolled: 1-line block ×3, first 2 shown]
	v_cndmask_b32_e32 v79, 0, v72, vcc_lo
	v_fma_f32 v72, s19, v140, -v71
	v_mul_f32_e32 v75, 0x3fb8aa3b, v75
	v_cndmask_b32_e64 v78, 0, v73, s2
	s_delay_alu instid0(TRANS32_DEP_3) | instskip(NEXT) | instid1(VALU_DEP_4)
	v_cndmask_b32_e64 v80, 0, v76, s4
	v_dual_add_f32 v73, 0, v79 :: v_dual_mul_f32 v72, 0x3fb8aa3b, v72
	s_delay_alu instid0(VALU_DEP_4) | instskip(NEXT) | instid1(TRANS32_DEP_3)
	v_exp_f32_e32 v75, v75
	v_cndmask_b32_e64 v83, 0, v77, s5
	s_delay_alu instid0(TRANS32_DEP_2) | instskip(NEXT) | instid1(VALU_DEP_3)
	v_cndmask_b32_e64 v85, 0, v84, s7
	v_add_f32_e32 v73, v73, v78
	v_exp_f32_e32 v72, v72
	v_cmp_gt_u32_e64 s2, 16, v70
	s_waitcnt_depctr 0xfff
	v_cndmask_b32_e64 v81, 0, v75, s3
	v_cndmask_b32_e64 v82, 0, v72, s6
	s_delay_alu instid0(VALU_DEP_2) | instskip(NEXT) | instid1(VALU_DEP_1)
	v_add_f32_e32 v73, v73, v81
	v_add_f32_e32 v73, v73, v80
	s_delay_alu instid0(VALU_DEP_1) | instskip(NEXT) | instid1(VALU_DEP_1)
	v_add_f32_e32 v72, v73, v83
	v_add_f32_e32 v72, v72, v82
	s_delay_alu instid0(VALU_DEP_1)
	v_add_f32_e32 v72, v72, v85
	v_fma_f32 v76, s19, v111, -v71
	v_fma_f32 v75, s19, v142, -v71
	v_fma_f32 v86, s19, v114, -v71
	v_fma_f32 v77, s19, v112, -v71
	v_fma_f32 v73, s19, v113, -v71
	v_mul_f32_e32 v76, 0x3fb8aa3b, v76
	s_delay_alu instid0(VALU_DEP_4) | instskip(NEXT) | instid1(VALU_DEP_2)
	v_mul_f32_e32 v86, 0x3fb8aa3b, v86
	v_exp_f32_e32 v76, v76
	s_delay_alu instid0(VALU_DEP_1)
	v_exp_f32_e32 v88, v86
	s_waitcnt_depctr 0xfff
	v_cndmask_b32_e64 v87, 0, v76, s9
	v_fma_f32 v76, s19, v116, -v71
	v_mul_f32_e32 v75, 0x3fb8aa3b, v75
	v_cndmask_b32_e64 v88, 0, v88, s12
	s_delay_alu instid0(VALU_DEP_3) | instskip(NEXT) | instid1(VALU_DEP_3)
	v_dual_mul_f32 v73, 0x3fb8aa3b, v73 :: v_dual_mul_f32 v76, 0x3fb8aa3b, v76
	v_exp_f32_e32 v75, v75
	s_delay_alu instid0(VALU_DEP_1) | instskip(NEXT) | instid1(VALU_DEP_1)
	v_exp_f32_e32 v73, v73
	v_exp_f32_e32 v76, v76
	s_delay_alu instid0(TRANS32_DEP_3)
	v_cndmask_b32_e64 v84, 0, v75, s8
	v_fma_f32 v75, s19, v115, -v71
	s_waitcnt_depctr 0xfff
	v_cndmask_b32_e64 v89, 0, v73, s11
	v_cndmask_b32_e64 v90, 0, v76, s15
	v_add_f32_e32 v72, v72, v84
	s_delay_alu instid0(VALU_DEP_1) | instskip(NEXT) | instid1(VALU_DEP_1)
	v_dual_add_f32 v72, v72, v87 :: v_dual_mul_f32 v77, 0x3fb8aa3b, v77
	v_exp_f32_e32 v77, v77
	s_waitcnt_depctr 0xfff
	v_cndmask_b32_e64 v86, 0, v77, s10
	v_fma_f32 v77, s19, v117, -v71
	s_delay_alu instid0(VALU_DEP_2) | instskip(NEXT) | instid1(VALU_DEP_1)
	v_dual_add_f32 v72, v72, v86 :: v_dual_mul_f32 v75, 0x3fb8aa3b, v75
	v_add_f32_e32 v72, v72, v89
	s_delay_alu instid0(VALU_DEP_2) | instskip(NEXT) | instid1(VALU_DEP_1)
	v_exp_f32_e32 v75, v75
	v_add_f32_e32 v72, v72, v88
	s_waitcnt_depctr 0xfff
	v_cndmask_b32_e64 v91, 0, v75, s13
	v_mul_f32_e32 v73, 0x3fb8aa3b, v77
	v_fma_f32 v77, s19, v118, -v71
	s_delay_alu instid0(VALU_DEP_3) | instskip(NEXT) | instid1(VALU_DEP_3)
	v_add_f32_e32 v72, v72, v91
	v_exp_f32_e32 v73, v73
	s_delay_alu instid0(VALU_DEP_1) | instskip(NEXT) | instid1(VALU_DEP_1)
	v_dual_mul_f32 v75, 0x3fb8aa3b, v77 :: v_dual_add_f32 v72, v72, v90
	v_exp_f32_e32 v75, v75
	s_waitcnt_depctr 0xfff
	v_cndmask_b32_e64 v93, 0, v73, s16
	s_delay_alu instid0(VALU_DEP_1) | instskip(SKIP_1) | instid1(VALU_DEP_1)
	v_add_f32_e32 v72, v72, v93
	v_cndmask_b32_e64 v92, 0, v75, s17
	v_add_f32_e32 v72, v72, v92
	ds_bpermute_b32 v73, v74, v72
	s_and_saveexec_b32 s3, s2
	s_cbranch_execz .LBB1000_12
; %bb.11:
	v_mul_u32_u24_e32 v70, 0x44, v69
	s_waitcnt lgkmcnt(0)
	v_add_f32_e32 v72, v72, v73
	s_delay_alu instid0(VALU_DEP_2) | instskip(NEXT) | instid1(VALU_DEP_1)
	v_lshl_add_u32 v70, v68, 2, v70
	v_add_nc_u32_e32 v70, 0x4000, v70
	ds_store_2addr_b32 v70, v71, v72 offset1:136
.LBB1000_12:
	s_or_b32 exec_lo, exec_lo, s3
	v_lshlrev_b32_e32 v70, 2, v68
	s_load_b32 s35, s[0:1], 0x94
	s_waitcnt lgkmcnt(0)
	s_barrier
	buffer_gl0_inv
	v_add_nc_u32_e32 v98, 0x4000, v70
	v_cmp_eq_u32_e32 vcc_lo, 1, v69
	v_cmp_eq_u32_e64 s3, 2, v69
	v_cmp_eq_u32_e64 s4, 3, v69
	v_cmp_eq_u32_e64 s5, 4, v69
	ds_load_2addr_b32 v[70:71], v98 offset1:17
	ds_load_2addr_b32 v[72:73], v98 offset0:34 offset1:51
	ds_load_2addr_b32 v[74:75], v98 offset0:68 offset1:85
	;; [unrolled: 1-line block ×3, first 2 shown]
	v_cmp_eq_u32_e64 s6, 5, v69
	v_cmp_eq_u32_e64 s7, 7, v69
	s_waitcnt lgkmcnt(3)
	v_max3_f32 v76, v70, 0xff7fffff, v71
	s_waitcnt lgkmcnt(2)
	s_delay_alu instid0(VALU_DEP_1) | instskip(SKIP_1) | instid1(VALU_DEP_1)
	v_max3_f32 v76, v76, v72, v73
	s_waitcnt lgkmcnt(1)
	v_max3_f32 v76, v76, v74, v75
	s_waitcnt lgkmcnt(0)
	s_delay_alu instid0(VALU_DEP_1) | instskip(NEXT) | instid1(VALU_DEP_1)
	v_max3_f32 v76, v76, v94, v95
	v_sub_f32_e32 v77, v71, v76
	ds_load_2addr_b32 v[96:97], v98 offset0:136 offset1:153
	v_sub_f32_e32 v74, v74, v76
	v_sub_f32_e32 v70, v70, v76
	;; [unrolled: 1-line block ×3, first 2 shown]
	v_dual_sub_f32 v72, v72, v76 :: v_dual_mul_f32 v77, 0x3fb8aa3b, v77
	s_delay_alu instid0(VALU_DEP_4) | instskip(NEXT) | instid1(VALU_DEP_4)
	v_mul_f32_e32 v103, 0x3fb8aa3b, v74
	v_mul_f32_e32 v99, 0x3fb8aa3b, v70
	ds_load_2addr_b32 v[70:71], v98 offset0:170 offset1:187
	v_dual_mul_f32 v101, 0x3fb8aa3b, v72 :: v_dual_mul_f32 v94, 0x3fb8aa3b, v94
	v_exp_f32_e32 v102, v77
	v_exp_f32_e32 v99, v99
	s_delay_alu instid0(VALU_DEP_1) | instskip(NEXT) | instid1(VALU_DEP_1)
	v_exp_f32_e32 v101, v101
	v_exp_f32_e32 v94, v94
	s_waitcnt lgkmcnt(1)
	s_delay_alu instid0(TRANS32_DEP_3)
	v_fma_f32 v77, v99, v96, 0
	v_sub_f32_e32 v100, v73, v76
	ds_load_2addr_b32 v[72:73], v98 offset0:204 offset1:221
	v_fmac_f32_e32 v77, v102, v97
	v_exp_f32_e32 v97, v103
	s_waitcnt lgkmcnt(1)
	s_delay_alu instid0(VALU_DEP_1)
	v_dual_fmac_f32 v77, v101, v70 :: v_dual_sub_f32 v96, v75, v76
	ds_load_2addr_b32 v[74:75], v98 offset0:238 offset1:255
	v_sub_f32_e32 v70, v95, v76
	s_waitcnt lgkmcnt(0)
	s_barrier
	v_mul_f32_e32 v96, 0x3fb8aa3b, v96
	buffer_gl0_inv
	v_exp_f32_e32 v95, v96
	v_mul_f32_e32 v100, 0x3fb8aa3b, v100
	s_delay_alu instid0(VALU_DEP_1) | instskip(SKIP_3) | instid1(VALU_DEP_2)
	v_exp_f32_e32 v100, v100
	s_waitcnt_depctr 0xfff
	v_dual_fmac_f32 v77, v100, v71 :: v_dual_mul_f32 v70, 0x3fb8aa3b, v70
	v_cndmask_b32_e32 v71, v99, v102, vcc_lo
	v_fmac_f32_e32 v77, v97, v72
	s_delay_alu instid0(VALU_DEP_3) | instskip(NEXT) | instid1(VALU_DEP_1)
	v_exp_f32_e32 v96, v70
	v_fmac_f32_e32 v77, v95, v73
	s_delay_alu instid0(VALU_DEP_1) | instskip(SKIP_2) | instid1(VALU_DEP_1)
	v_fmac_f32_e32 v77, v94, v74
	s_waitcnt_depctr 0xfff
	v_fmac_f32_e32 v77, v96, v75
	v_add_f32_e32 v74, 0x358637bd, v77
	s_delay_alu instid0(VALU_DEP_1) | instskip(SKIP_1) | instid1(VALU_DEP_2)
	v_div_scale_f32 v98, null, v74, v74, 1.0
	v_div_scale_f32 v99, vcc_lo, 1.0, v74, 1.0
	v_rcp_f32_e32 v103, v98
	s_waitcnt_depctr 0xfff
	v_fma_f32 v70, -v98, v103, 1.0
	s_delay_alu instid0(VALU_DEP_1) | instskip(SKIP_2) | instid1(VALU_DEP_2)
	v_fmac_f32_e32 v103, v70, v103
	v_cndmask_b32_e64 v70, v71, v101, s3
	v_cmp_eq_u32_e64 s3, 6, v69
	v_cndmask_b32_e64 v71, v70, v100, s4
	s_delay_alu instid0(VALU_DEP_4) | instskip(NEXT) | instid1(VALU_DEP_2)
	v_dual_mul_f32 v101, v99, v103 :: v_dual_lshlrev_b32 v70, 2, v66
	v_cndmask_b32_e64 v71, v71, v97, s5
	s_delay_alu instid0(VALU_DEP_2) | instskip(NEXT) | instid1(VALU_DEP_3)
	v_or_b32_e32 v72, 1, v70
	v_fma_f32 v100, -v98, v101, v99
	v_cmp_eq_u32_e64 s4, 1, v70
	v_cmp_eq_u32_e64 s5, 2, v70
	v_cndmask_b32_e64 v95, v71, v95, s6
	v_or_b32_e32 v71, 3, v70
	v_fmac_f32_e32 v101, v100, v103
	v_cmp_eq_u32_e64 s9, 1, v72
	v_cmp_eq_u32_e64 s12, 2, v72
	v_cndmask_b32_e64 v94, v95, v94, s3
	v_cmp_eq_u32_e64 s11, 1, v71
	v_fma_f32 v97, -v98, v101, v99
	v_cmp_eq_u32_e64 s16, 2, v71
	v_cmp_eq_u32_e64 s13, 3, v72
	v_cndmask_b32_e64 v94, v94, v96, s7
	v_cmp_eq_u32_e64 s18, 3, v71
	v_div_fmas_f32 v95, v97, v103, v101
	v_cmp_eq_u32_e32 vcc_lo, 3, v70
	v_cmp_eq_u32_e64 s3, 4, v70
	v_cmp_eq_u32_e64 s19, 4, v72
	;; [unrolled: 1-line block ×3, first 2 shown]
	v_div_fixup_f32 v95, v95, v74, 1.0
	v_lshlrev_b32_e32 v73, 6, v68
	v_cmp_eq_u32_e64 s6, 5, v70
	v_cmp_eq_u32_e64 s20, 5, v72
	;; [unrolled: 1-line block ×3, first 2 shown]
	v_mul_f32_e32 v102, v94, v95
	v_lshl_or_b32 v75, v69, 11, v73
	v_or_b32_e32 v69, 2, v70
	v_cmp_eq_u32_e64 s25, 6, v72
	v_cmp_eq_u32_e64 s27, 6, v71
	v_fma_mixlo_f16 v94, v102, v79, 0
	v_fma_mixlo_f16 v95, v102, v81, 0
	v_fma_mixlo_f16 v96, v102, v83, 0
	v_fma_mixlo_f16 v97, v102, v85, 0
	v_fma_mixlo_f16 v98, v102, v87, 0
	v_fma_mixlo_f16 v99, v102, v89, 0
	v_fma_mixlo_f16 v100, v102, v91, 0
	v_fma_mixlo_f16 v101, v102, v93, 0
	v_lshl_or_b32 v74, v66, 4, v75
	v_fma_mixhi_f16 v94, v102, v78, 0
	v_fma_mixhi_f16 v95, v102, v80, 0
	;; [unrolled: 1-line block ×8, first 2 shown]
	ds_store_b128 v74, v[94:97]
	ds_store_b128 v74, v[98:101] offset:1024
	s_waitcnt lgkmcnt(0)
	s_barrier
	buffer_gl0_inv
	ds_load_b128 v[78:81], v75
	ds_load_b128 v[82:85], v75 offset:16
	ds_load_b128 v[86:89], v75 offset:1024
	;; [unrolled: 1-line block ×3, first 2 shown]
	v_cmp_eq_u32_e64 s10, 1, v69
	v_cmp_eq_u32_e64 s15, 2, v69
	;; [unrolled: 1-line block ×11, first 2 shown]
	s_waitcnt lgkmcnt(3)
	v_lshrrev_b32_e32 v94, 16, v78
	s_waitcnt lgkmcnt(2)
	v_lshrrev_b32_e32 v98, 16, v82
	;; [unrolled: 2-line block ×4, first 2 shown]
	v_lshrrev_b32_e32 v95, 16, v79
	v_cndmask_b32_e64 v110, v78, v94, s4
	v_cndmask_b32_e64 v111, v82, v98, s4
	;; [unrolled: 1-line block ×8, first 2 shown]
	v_lshrrev_b32_e32 v99, 16, v83
	v_cndmask_b32_e64 v94, v86, v102, s4
	v_cndmask_b32_e64 v98, v90, v106, s4
	;; [unrolled: 1-line block ×15, first 2 shown]
	v_lshrrev_b32_e32 v103, 16, v87
	v_lshrrev_b32_e32 v107, 16, v91
	v_cndmask_b32_e64 v113, v115, v83, s15
	v_cndmask_b32_e64 v82, v94, v87, s5
	;; [unrolled: 1-line block ×7, first 2 shown]
	v_cndmask_b32_e32 v90, v102, v95, vcc_lo
	v_cndmask_b32_e32 v102, v106, v99, vcc_lo
	v_cndmask_b32_e64 v106, v110, v95, s13
	v_cndmask_b32_e64 v110, v111, v99, s13
	;; [unrolled: 1-line block ×4, first 2 shown]
	v_lshrrev_b32_e32 v96, 16, v80
	v_lshrrev_b32_e32 v100, 16, v84
	v_cndmask_b32_e64 v111, v112, v95, s17
	v_cndmask_b32_e64 v112, v113, v99, s17
	v_cndmask_b32_e32 v82, v82, v103, vcc_lo
	v_cndmask_b32_e32 v83, v83, v107, vcc_lo
	v_cndmask_b32_e64 v94, v94, v103, s13
	v_cndmask_b32_e64 v90, v90, v80, s3
	;; [unrolled: 1-line block ×7, first 2 shown]
	v_lshrrev_b32_e32 v104, 16, v88
	v_cndmask_b32_e64 v106, v111, v80, s21
	v_cndmask_b32_e64 v110, v112, v84, s21
	;; [unrolled: 1-line block ×11, first 2 shown]
	v_lshrrev_b32_e32 v97, 16, v81
	v_lshrrev_b32_e32 v101, 16, v85
	v_cndmask_b32_e64 v99, v106, v96, s23
	v_cndmask_b32_e64 v102, v110, v100, s23
	v_cndmask_b32_e64 v83, v83, v104, s20
	v_cndmask_b32_e64 v94, v94, v81, s25
	v_cndmask_b32_e64 v95, v95, v85, s25
	v_cndmask_b32_e64 v78, v78, v81, s27
	v_cndmask_b32_e64 v79, v79, v85, s27
	v_lshrrev_b32_e32 v105, 16, v89
	v_cndmask_b32_e64 v80, v80, v104, s6
	v_cndmask_b32_e64 v84, v84, v81, s7
	;; [unrolled: 1-line block ×16, first 2 shown]
	v_perm_b32 v81, v79, v78, 0x5040100
	v_perm_b32 v79, v95, v85, 0x5040100
	v_cndmask_b32_e64 v78, v119, v91, s15
	v_cndmask_b32_e64 v85, v117, v91, s12
	;; [unrolled: 1-line block ×3, first 2 shown]
	v_perm_b32 v80, v94, v90, 0x5040100
	v_cndmask_b32_e64 v90, v98, v103, s17
	v_cndmask_b32_e64 v86, v86, v103, s18
	;; [unrolled: 1-line block ×5, first 2 shown]
	v_lshrrev_b32_e32 v108, 16, v92
	v_cndmask_b32_e64 v90, v90, v88, s21
	v_cndmask_b32_e64 v86, v86, v88, s22
	;; [unrolled: 1-line block ×11, first 2 shown]
	v_lshrrev_b32_e32 v109, 16, v93
	v_cndmask_b32_e64 v82, v82, v93, s7
	v_cndmask_b32_e64 v88, v88, v89, s26
	;; [unrolled: 1-line block ×12, first 2 shown]
	v_perm_b32 v78, v84, v83, 0x5040100
	v_perm_b32 v85, v87, v86, 0x5040100
	;; [unrolled: 1-line block ×5, first 2 shown]
	s_mul_i32 s8, s33, 11
	s_mov_b32 s3, exec_lo
	ds_store_b128 v74, v[78:81]
	ds_store_b128 v74, v[82:85] offset:1024
	v_cmpx_gt_u32_e32 11, v0
	s_cbranch_execz .LBB1000_14
; %bb.13:
	s_mul_i32 s4, s8, s34
	s_delay_alu instid0(SALU_CYCLE_1) | instskip(SKIP_1) | instid1(VALU_DEP_1)
	v_add3_u32 v68, s4, s31, v68
	s_load_b128 s[4:7], s[0:1], 0x58
	v_mad_u64_u32 v[78:79], null, v68, s35, s[14:15]
	s_delay_alu instid0(VALU_DEP_1) | instskip(NEXT) | instid1(VALU_DEP_1)
	v_ashrrev_i32_e32 v79, 31, v78
	v_lshlrev_b64 v[78:79], 2, v[78:79]
	s_waitcnt lgkmcnt(0)
	s_delay_alu instid0(VALU_DEP_1) | instskip(NEXT) | instid1(VALU_DEP_2)
	v_add_co_u32 v80, vcc_lo, s6, v78
	v_add_co_ci_u32_e32 v81, vcc_lo, s7, v79, vcc_lo
	v_add_co_u32 v78, vcc_lo, s4, v78
	v_add_co_ci_u32_e32 v79, vcc_lo, s5, v79, vcc_lo
	global_store_b32 v[80:81], v76, off
	global_store_b32 v[78:79], v77, off
.LBB1000_14:
	s_or_b32 exec_lo, exec_lo, s3
	s_waitcnt lgkmcnt(0)
	s_waitcnt_vscnt null, 0x0
	s_barrier
	buffer_gl0_inv
	ds_load_b128 v[84:87], v73
	ds_load_b128 v[88:91], v73 offset:16
	ds_load_b128 v[96:99], v73 offset:2064
	;; [unrolled: 1-line block ×5, first 2 shown]
	v_cmp_eq_u32_e32 vcc_lo, 1, v70
	v_mov_b32_e32 v76, 0
	ds_load_b128 v[112:115], v73 offset:6160
	ds_load_b128 v[108:111], v73 offset:6144
	;; [unrolled: 1-line block ×4, first 2 shown]
	v_cmp_eq_u32_e64 s4, 1, v69
	v_cmp_eq_u32_e64 s3, 1, v72
	;; [unrolled: 1-line block ×3, first 2 shown]
	v_mov_b32_e32 v77, v76
	v_mov_b32_e32 v78, v76
	;; [unrolled: 1-line block ×7, first 2 shown]
	v_cmp_eq_u32_e64 s6, 3, v72
	v_cmp_eq_u32_e64 s7, 7, v72
	s_waitcnt lgkmcnt(8)
	s_delay_alu instid0(VALU_DEP_3)
	v_wmma_f32_16x16x16_f16 v[76:83], v[49:56], v[84:91], v[76:83]
	ds_load_b128 v[53:56], v73 offset:10256
	ds_load_b128 v[49:52], v73 offset:10240
	s_waitcnt lgkmcnt(8)
	v_wmma_f32_16x16x16_f16 v[76:83], v[41:48], v[92:99], v[76:83]
	ds_load_b128 v[45:48], v73 offset:12304
	ds_load_b128 v[41:44], v73 offset:12288
	s_waitcnt lgkmcnt(8)
	;; [unrolled: 4-line block ×3, first 2 shown]
	s_barrier
	buffer_gl0_inv
	v_wmma_f32_16x16x16_f16 v[76:83], v[1:8], v[108:115], v[76:83]
	s_delay_alu instid0(VALU_DEP_1) | instskip(NEXT) | instid1(VALU_DEP_1)
	v_wmma_f32_16x16x16_f16 v[76:83], v[9:16], v[116:123], v[76:83]
	v_wmma_f32_16x16x16_f16 v[76:83], v[17:24], v[49:56], v[76:83]
	s_delay_alu instid0(VALU_DEP_1) | instskip(NEXT) | instid1(VALU_DEP_1)
	v_wmma_f32_16x16x16_f16 v[76:83], v[25:32], v[41:48], v[76:83]
	v_wmma_f32_16x16x16_f16 v[76:83], v[57:64], v[33:40], v[76:83]
	s_delay_alu instid0(VALU_DEP_1) | instskip(NEXT) | instid1(VALU_DEP_2)
	v_cvt_f16_f32_e32 v1, v76
	v_cvt_f16_f32_e32 v2, v77
	s_delay_alu instid0(VALU_DEP_3) | instskip(NEXT) | instid1(VALU_DEP_4)
	v_cvt_f16_f32_e32 v3, v78
	v_cvt_f16_f32_e32 v4, v79
	;; [unrolled: 1-line block ×6, first 2 shown]
	v_pack_b32_f16 v1, v1, v2
	v_pack_b32_f16 v2, v3, v4
	;; [unrolled: 1-line block ×3, first 2 shown]
	s_delay_alu instid0(VALU_DEP_4)
	v_pack_b32_f16 v4, v7, v8
	ds_store_b128 v74, v[1:4]
	s_waitcnt lgkmcnt(0)
	s_barrier
	buffer_gl0_inv
	ds_load_b128 v[1:4], v75
	ds_load_b128 v[5:8], v75 offset:16
	s_waitcnt lgkmcnt(1)
	v_lshrrev_b32_e32 v9, 16, v1
	s_waitcnt lgkmcnt(0)
	v_lshrrev_b32_e32 v13, 16, v5
	v_lshrrev_b32_e32 v10, 16, v2
	v_lshrrev_b32_e32 v14, 16, v6
	v_lshrrev_b32_e32 v11, 16, v3
	v_cndmask_b32_e32 v17, v1, v9, vcc_lo
	v_cndmask_b32_e32 v18, v5, v13, vcc_lo
	v_cndmask_b32_e64 v21, v1, v9, s4
	v_cmp_eq_u32_e32 vcc_lo, 1, v71
	v_cndmask_b32_e64 v22, v5, v13, s4
	v_cmp_eq_u32_e64 s4, 2, v70
	v_cndmask_b32_e64 v19, v1, v9, s3
	v_cndmask_b32_e64 v20, v5, v13, s3
	v_cndmask_b32_e32 v1, v1, v9, vcc_lo
	v_cmp_eq_u32_e64 s3, 2, v71
	v_cndmask_b32_e32 v5, v5, v13, vcc_lo
	v_cndmask_b32_e64 v9, v17, v2, s4
	v_cmp_eq_u32_e32 vcc_lo, 3, v70
	v_cndmask_b32_e64 v13, v18, v6, s4
	v_cmp_eq_u32_e64 s4, 2, v69
	v_cndmask_b32_e64 v17, v19, v2, s5
	v_cndmask_b32_e64 v18, v20, v6, s5
	v_cmp_eq_u32_e64 s5, 3, v69
	v_cndmask_b32_e64 v1, v1, v2, s3
	v_cndmask_b32_e64 v19, v21, v2, s4
	v_cndmask_b32_e64 v20, v22, v6, s4
	v_cndmask_b32_e64 v2, v5, v6, s3
	v_cndmask_b32_e32 v5, v9, v10, vcc_lo
	v_cndmask_b32_e32 v6, v13, v14, vcc_lo
	v_cmp_eq_u32_e32 vcc_lo, 3, v71
	v_cndmask_b32_e64 v9, v17, v10, s6
	v_cndmask_b32_e64 v13, v18, v14, s6
	;; [unrolled: 1-line block ×3, first 2 shown]
	v_cmp_eq_u32_e64 s4, 4, v70
	v_cndmask_b32_e32 v1, v1, v10, vcc_lo
	v_cndmask_b32_e32 v2, v2, v14, vcc_lo
	v_cmp_eq_u32_e32 vcc_lo, 4, v72
	v_lshrrev_b32_e32 v15, 16, v7
	v_lshrrev_b32_e32 v16, 16, v8
	v_cndmask_b32_e64 v17, v19, v10, s5
	v_cmp_eq_u32_e64 s3, 4, v71
	v_cndmask_b32_e64 v5, v5, v3, s4
	v_cndmask_b32_e64 v6, v6, v7, s4
	v_cndmask_b32_e32 v9, v9, v3, vcc_lo
	v_cmp_eq_u32_e64 s4, 5, v72
	v_cndmask_b32_e32 v10, v13, v7, vcc_lo
	v_cmp_eq_u32_e32 vcc_lo, 4, v69
	v_cmp_eq_u32_e64 s5, 5, v70
	v_cndmask_b32_e64 v2, v2, v7, s3
	v_cndmask_b32_e64 v9, v9, v11, s4
	;; [unrolled: 1-line block ×3, first 2 shown]
	v_cndmask_b32_e32 v13, v17, v3, vcc_lo
	v_cmp_eq_u32_e64 s4, 5, v69
	v_cndmask_b32_e32 v14, v18, v7, vcc_lo
	v_cndmask_b32_e64 v1, v1, v3, s3
	v_cmp_eq_u32_e32 vcc_lo, 5, v71
	v_lshrrev_b32_e32 v12, 16, v4
	v_cndmask_b32_e64 v13, v13, v11, s4
	v_cndmask_b32_e64 v3, v14, v15, s4
	v_cmp_eq_u32_e64 s4, 6, v71
	v_cndmask_b32_e32 v1, v1, v11, vcc_lo
	v_cndmask_b32_e64 v5, v5, v11, s5
	v_cmp_eq_u32_e64 s6, 6, v70
	v_cndmask_b32_e64 v6, v6, v15, s5
	v_cmp_eq_u32_e64 s5, 6, v72
	v_cmp_eq_u32_e64 s3, 6, v69
	v_cndmask_b32_e64 v1, v1, v4, s4
	v_cndmask_b32_e32 v2, v2, v15, vcc_lo
	v_cmp_eq_u32_e32 vcc_lo, 7, v71
	v_cndmask_b32_e64 v5, v5, v4, s6
	v_cndmask_b32_e64 v9, v9, v4, s5
	;; [unrolled: 1-line block ×3, first 2 shown]
	v_cmp_eq_u32_e64 s6, 7, v70
	v_cndmask_b32_e32 v1, v1, v12, vcc_lo
	v_cndmask_b32_e64 v7, v13, v4, s3
	v_cndmask_b32_e64 v3, v3, v8, s3
	;; [unrolled: 1-line block ×3, first 2 shown]
	v_cmp_eq_u32_e64 s3, 7, v69
	v_cndmask_b32_e64 v4, v10, v8, s5
	v_cndmask_b32_e64 v5, v5, v12, s6
	;; [unrolled: 1-line block ×3, first 2 shown]
	v_cndmask_b32_e32 v2, v2, v16, vcc_lo
	v_cndmask_b32_e64 v7, v7, v12, s3
	v_cndmask_b32_e64 v3, v3, v16, s3
	;; [unrolled: 1-line block ×4, first 2 shown]
	v_perm_b32 v4, v2, v1, 0x5040100
	s_mov_b32 s3, exec_lo
	v_perm_b32 v3, v3, v7, 0x5040100
	v_perm_b32 v2, v8, v9, 0x5040100
	;; [unrolled: 1-line block ×3, first 2 shown]
	ds_store_b128 v74, v[1:4]
	s_waitcnt lgkmcnt(0)
	s_barrier
	buffer_gl0_inv
	v_cmpx_gt_u32_e32 32, v0
	s_cbranch_execz .LBB1000_2
; %bb.15:
	s_load_b64 s[4:5], s[0:1], 0x68
	v_lshlrev_b32_e32 v0, 10, v0
	v_lshlrev_b32_e32 v1, 4, v67
	s_lshl_b32 s0, s35, 7
	v_add_nc_u32_e32 v7, s31, v66
	s_mul_i32 s1, s0, s34
	s_delay_alu instid0(SALU_CYCLE_1) | instskip(SKIP_1) | instid1(VALU_DEP_2)
	s_mul_i32 s6, s1, s8
	v_and_or_b32 v0, 0x3800, v0, v1
	v_mul_lo_u32 v1, v7, s0
	v_add_nc_u32_e32 v2, 2, v7
	s_ashr_i32 s7, s6, 31
	v_add_nc_u32_e32 v4, 4, v7
	s_lshl_b64 s[6:7], s[6:7], 1
	v_add_nc_u32_e32 v8, 6, v7
	v_mul_lo_u32 v3, v2, s0
	v_lshl_or_b32 v19, v66, 6, v0
	v_ashrrev_i32_e32 v2, 31, v1
	v_mul_lo_u32 v11, v4, s0
	v_mul_lo_u32 v25, v8, s0
	s_waitcnt lgkmcnt(0)
	s_add_u32 s1, s4, s6
	s_addc_u32 s3, s5, s7
	s_lshl_b32 s4, s14, 7
	v_lshlrev_b64 v[5:6], 1, v[1:2]
	s_ashr_i32 s5, s4, 31
	v_ashrrev_i32_e32 v4, 31, v3
	s_lshl_b64 s[4:5], s[4:5], 1
	v_ashrrev_i32_e32 v12, 31, v11
	s_add_u32 s1, s1, s4
	s_addc_u32 s3, s3, s5
	v_add_co_u32 v1, s1, s1, v65
	s_delay_alu instid0(VALU_DEP_1) | instskip(SKIP_1) | instid1(VALU_DEP_3)
	v_add_co_ci_u32_e64 v2, null, s3, 0, s1
	v_lshlrev_b64 v[3:4], 1, v[3:4]
	v_add_co_u32 v23, vcc_lo, v1, v5
	v_add_nc_u32_e32 v5, 8, v7
	s_delay_alu instid0(VALU_DEP_4) | instskip(NEXT) | instid1(VALU_DEP_4)
	v_add_co_ci_u32_e32 v24, vcc_lo, v2, v6, vcc_lo
	v_add_co_u32 v27, vcc_lo, v1, v3
	s_delay_alu instid0(VALU_DEP_3)
	v_mul_lo_u32 v29, v5, s0
	v_add_co_ci_u32_e32 v28, vcc_lo, v2, v4, vcc_lo
	ds_load_b128 v[3:6], v19
	ds_load_b128 v[7:10], v19 offset:128
	v_lshlrev_b64 v[31:32], 1, v[11:12]
	ds_load_b128 v[11:14], v19 offset:256
	ds_load_b128 v[15:18], v19 offset:384
	ds_load_b128 v[19:22], v19 offset:512
	v_ashrrev_i32_e32 v26, 31, v25
	v_ashrrev_i32_e32 v30, 31, v29
	v_add_co_u32 v31, vcc_lo, v1, v31
	s_delay_alu instid0(VALU_DEP_3) | instskip(NEXT) | instid1(VALU_DEP_3)
	v_lshlrev_b64 v[25:26], 1, v[25:26]
	v_lshlrev_b64 v[29:30], 1, v[29:30]
	v_add_co_ci_u32_e32 v32, vcc_lo, v2, v32, vcc_lo
	s_delay_alu instid0(VALU_DEP_3) | instskip(NEXT) | instid1(VALU_DEP_4)
	v_add_co_u32 v25, vcc_lo, v1, v25
	v_add_co_ci_u32_e32 v26, vcc_lo, v2, v26, vcc_lo
	s_delay_alu instid0(VALU_DEP_4)
	v_add_co_u32 v29, vcc_lo, v1, v29
	v_add_co_ci_u32_e32 v30, vcc_lo, v2, v30, vcc_lo
	s_waitcnt lgkmcnt(4)
	global_store_b128 v[23:24], v[3:6], off
	s_waitcnt lgkmcnt(3)
	global_store_b128 v[27:28], v[7:10], off
	;; [unrolled: 2-line block ×5, first 2 shown]
	s_and_b32 exec_lo, exec_lo, s2
	s_cbranch_execz .LBB1000_2
; %bb.16:
	ds_load_b128 v[3:6], v0 offset:640
	s_add_i32 s1, s31, 10
	s_delay_alu instid0(SALU_CYCLE_1) | instskip(NEXT) | instid1(SALU_CYCLE_1)
	s_mul_i32 s0, s1, s0
	s_ashr_i32 s1, s0, 31
	s_delay_alu instid0(SALU_CYCLE_1) | instskip(NEXT) | instid1(SALU_CYCLE_1)
	s_lshl_b64 s[0:1], s[0:1], 1
	v_add_co_u32 v0, vcc_lo, v1, s0
	v_add_co_ci_u32_e32 v1, vcc_lo, s1, v2, vcc_lo
	s_waitcnt lgkmcnt(0)
	global_store_b128 v[0:1], v[3:6], off
	s_nop 0
	s_sendmsg sendmsg(MSG_DEALLOC_VGPRS)
	s_endpgm
	.section	.rodata,"a",@progbits
	.p2align	6, 0x0
	.amdhsa_kernel _Z39paged_attention_ll4mi_QKV_mfma16_kernelIDF16_hLN4vllm18Fp8KVCacheDataTypeE1EDF16_Li16ELi128ELi256ELb0ELi11EL8MFMAType1EEvPKT_PKT0_S8_ifPKiSA_SA_iPKfiiiPfSD_PS3_PT2_iSC_SC_
		.amdhsa_group_segment_fixed_size 17472
		.amdhsa_private_segment_fixed_size 0
		.amdhsa_kernarg_size 400
		.amdhsa_user_sgpr_count 13
		.amdhsa_user_sgpr_dispatch_ptr 0
		.amdhsa_user_sgpr_queue_ptr 0
		.amdhsa_user_sgpr_kernarg_segment_ptr 1
		.amdhsa_user_sgpr_dispatch_id 0
		.amdhsa_user_sgpr_private_segment_size 0
		.amdhsa_wavefront_size32 1
		.amdhsa_uses_dynamic_stack 0
		.amdhsa_enable_private_segment 0
		.amdhsa_system_sgpr_workgroup_id_x 1
		.amdhsa_system_sgpr_workgroup_id_y 1
		.amdhsa_system_sgpr_workgroup_id_z 1
		.amdhsa_system_sgpr_workgroup_info 0
		.amdhsa_system_vgpr_workitem_id 0
		.amdhsa_next_free_vgpr 150
		.amdhsa_next_free_sgpr 36
		.amdhsa_reserve_vcc 1
		.amdhsa_float_round_mode_32 0
		.amdhsa_float_round_mode_16_64 0
		.amdhsa_float_denorm_mode_32 3
		.amdhsa_float_denorm_mode_16_64 3
		.amdhsa_dx10_clamp 1
		.amdhsa_ieee_mode 1
		.amdhsa_fp16_overflow 0
		.amdhsa_workgroup_processor_mode 1
		.amdhsa_memory_ordered 1
		.amdhsa_forward_progress 0
		.amdhsa_shared_vgpr_count 0
		.amdhsa_exception_fp_ieee_invalid_op 0
		.amdhsa_exception_fp_denorm_src 0
		.amdhsa_exception_fp_ieee_div_zero 0
		.amdhsa_exception_fp_ieee_overflow 0
		.amdhsa_exception_fp_ieee_underflow 0
		.amdhsa_exception_fp_ieee_inexact 0
		.amdhsa_exception_int_div_zero 0
	.end_amdhsa_kernel
	.section	.text._Z39paged_attention_ll4mi_QKV_mfma16_kernelIDF16_hLN4vllm18Fp8KVCacheDataTypeE1EDF16_Li16ELi128ELi256ELb0ELi11EL8MFMAType1EEvPKT_PKT0_S8_ifPKiSA_SA_iPKfiiiPfSD_PS3_PT2_iSC_SC_,"axG",@progbits,_Z39paged_attention_ll4mi_QKV_mfma16_kernelIDF16_hLN4vllm18Fp8KVCacheDataTypeE1EDF16_Li16ELi128ELi256ELb0ELi11EL8MFMAType1EEvPKT_PKT0_S8_ifPKiSA_SA_iPKfiiiPfSD_PS3_PT2_iSC_SC_,comdat
.Lfunc_end1000:
	.size	_Z39paged_attention_ll4mi_QKV_mfma16_kernelIDF16_hLN4vllm18Fp8KVCacheDataTypeE1EDF16_Li16ELi128ELi256ELb0ELi11EL8MFMAType1EEvPKT_PKT0_S8_ifPKiSA_SA_iPKfiiiPfSD_PS3_PT2_iSC_SC_, .Lfunc_end1000-_Z39paged_attention_ll4mi_QKV_mfma16_kernelIDF16_hLN4vllm18Fp8KVCacheDataTypeE1EDF16_Li16ELi128ELi256ELb0ELi11EL8MFMAType1EEvPKT_PKT0_S8_ifPKiSA_SA_iPKfiiiPfSD_PS3_PT2_iSC_SC_
                                        ; -- End function
	.section	.AMDGPU.csdata,"",@progbits
; Kernel info:
; codeLenInByte = 6800
; NumSgprs: 38
; NumVgprs: 150
; ScratchSize: 0
; MemoryBound: 0
; FloatMode: 240
; IeeeMode: 1
; LDSByteSize: 17472 bytes/workgroup (compile time only)
; SGPRBlocks: 4
; VGPRBlocks: 18
; NumSGPRsForWavesPerEU: 38
; NumVGPRsForWavesPerEU: 150
; Occupancy: 9
; WaveLimiterHint : 1
; COMPUTE_PGM_RSRC2:SCRATCH_EN: 0
; COMPUTE_PGM_RSRC2:USER_SGPR: 13
; COMPUTE_PGM_RSRC2:TRAP_HANDLER: 0
; COMPUTE_PGM_RSRC2:TGID_X_EN: 1
; COMPUTE_PGM_RSRC2:TGID_Y_EN: 1
; COMPUTE_PGM_RSRC2:TGID_Z_EN: 1
; COMPUTE_PGM_RSRC2:TIDIG_COMP_CNT: 0
	.section	.text._Z39paged_attention_ll4mi_QKV_mfma16_kernelIDF16_hLN4vllm18Fp8KVCacheDataTypeE1EDF16_Li16ELi128ELi256ELb0ELi12EL8MFMAType1EEvPKT_PKT0_S8_ifPKiSA_SA_iPKfiiiPfSD_PS3_PT2_iSC_SC_,"axG",@progbits,_Z39paged_attention_ll4mi_QKV_mfma16_kernelIDF16_hLN4vllm18Fp8KVCacheDataTypeE1EDF16_Li16ELi128ELi256ELb0ELi12EL8MFMAType1EEvPKT_PKT0_S8_ifPKiSA_SA_iPKfiiiPfSD_PS3_PT2_iSC_SC_,comdat
	.protected	_Z39paged_attention_ll4mi_QKV_mfma16_kernelIDF16_hLN4vllm18Fp8KVCacheDataTypeE1EDF16_Li16ELi128ELi256ELb0ELi12EL8MFMAType1EEvPKT_PKT0_S8_ifPKiSA_SA_iPKfiiiPfSD_PS3_PT2_iSC_SC_ ; -- Begin function _Z39paged_attention_ll4mi_QKV_mfma16_kernelIDF16_hLN4vllm18Fp8KVCacheDataTypeE1EDF16_Li16ELi128ELi256ELb0ELi12EL8MFMAType1EEvPKT_PKT0_S8_ifPKiSA_SA_iPKfiiiPfSD_PS3_PT2_iSC_SC_
	.globl	_Z39paged_attention_ll4mi_QKV_mfma16_kernelIDF16_hLN4vllm18Fp8KVCacheDataTypeE1EDF16_Li16ELi128ELi256ELb0ELi12EL8MFMAType1EEvPKT_PKT0_S8_ifPKiSA_SA_iPKfiiiPfSD_PS3_PT2_iSC_SC_
	.p2align	8
	.type	_Z39paged_attention_ll4mi_QKV_mfma16_kernelIDF16_hLN4vllm18Fp8KVCacheDataTypeE1EDF16_Li16ELi128ELi256ELb0ELi12EL8MFMAType1EEvPKT_PKT0_S8_ifPKiSA_SA_iPKfiiiPfSD_PS3_PT2_iSC_SC_,@function
_Z39paged_attention_ll4mi_QKV_mfma16_kernelIDF16_hLN4vllm18Fp8KVCacheDataTypeE1EDF16_Li16ELi128ELi256ELb0ELi12EL8MFMAType1EEvPKT_PKT0_S8_ifPKiSA_SA_iPKfiiiPfSD_PS3_PT2_iSC_SC_: ; @_Z39paged_attention_ll4mi_QKV_mfma16_kernelIDF16_hLN4vllm18Fp8KVCacheDataTypeE1EDF16_Li16ELi128ELi256ELb0ELi12EL8MFMAType1EEvPKT_PKT0_S8_ifPKiSA_SA_iPKfiiiPfSD_PS3_PT2_iSC_SC_
; %bb.0:
	s_load_b64 s[4:5], s[0:1], 0x30
	s_mov_b32 s30, s13
	s_waitcnt lgkmcnt(0)
	s_cmp_lg_u64 s[4:5], 0
	s_cselect_b32 s8, -1, 0
	s_ashr_i32 s31, s13, 31
	s_cmp_eq_u64 s[4:5], 0
	s_cbranch_scc1 .LBB1001_3
; %bb.1:
	s_lshl_b64 s[2:3], s[30:31], 2
	s_delay_alu instid0(SALU_CYCLE_1) | instskip(SKIP_4) | instid1(SALU_CYCLE_1)
	s_add_u32 s2, s4, s2
	s_addc_u32 s3, s5, s3
	s_load_b64 s[2:3], s[2:3], 0x0
	s_waitcnt lgkmcnt(0)
	s_sub_i32 s2, s3, s2
	s_cmp_eq_u32 s2, 1
	s_cselect_b32 s2, -1, 0
	s_delay_alu instid0(SALU_CYCLE_1)
	s_and_not1_b32 vcc_lo, exec_lo, s2
	s_cbranch_vccz .LBB1001_4
.LBB1001_2:
	s_endpgm
.LBB1001_3:
.LBB1001_4:
	s_load_b64 s[2:3], s[0:1], 0x28
	s_lshl_b64 s[6:7], s[30:31], 2
	s_waitcnt lgkmcnt(0)
	s_add_u32 s2, s2, s6
	s_addc_u32 s3, s3, s7
	s_lshl_b32 s12, s14, 8
	s_load_b32 s24, s[2:3], 0x0
	s_waitcnt lgkmcnt(0)
	s_cmp_ge_i32 s12, s24
	s_cbranch_scc1 .LBB1001_2
; %bb.5:
	s_clause 0x1
	s_load_b128 s[20:23], s[0:1], 0x8
	s_load_b64 s[2:3], s[0:1], 0x20
	s_and_not1_b32 vcc_lo, exec_lo, s8
	s_cbranch_vccnz .LBB1001_7
; %bb.6:
	s_add_u32 s4, s4, s6
	s_addc_u32 s5, s5, s7
	s_load_b32 s5, s[4:5], 0x0
	s_branch .LBB1001_8
.LBB1001_7:
	s_mov_b32 s5, s30
.LBB1001_8:
	s_load_b128 s[16:19], s[0:1], 0x48
	v_and_b32_e32 v68, 15, v0
	v_lshrrev_b32_e32 v69, 5, v0
	v_and_b32_e32 v70, 31, v0
	v_and_b32_e32 v67, 1, v0
	v_bfe_u32 v66, v0, 4, 1
	v_lshlrev_b32_e32 v1, 3, v68
	s_mul_i32 s31, s15, 12
	s_mov_b32 s4, exec_lo
	s_delay_alu instid0(VALU_DEP_1)
	v_lshlrev_b32_e32 v65, 1, v1
	v_cmpx_gt_u32_e32 0xc0, v0
	s_cbranch_execz .LBB1001_10
; %bb.9:
	s_load_b64 s[6:7], s[0:1], 0x0
	v_lshl_or_b32 v5, v69, 1, v66
	s_waitcnt lgkmcnt(0)
	s_mul_hi_i32 s9, s5, s16
	s_mul_i32 s8, s5, s16
	v_lshlrev_b32_e32 v6, 10, v68
	s_lshl_b64 s[8:9], s[8:9], 1
	v_add_lshl_u32 v1, v5, s31, 7
	v_lshlrev_b32_e32 v5, 6, v5
	v_lshlrev_b32_e32 v7, 10, v67
	v_and_b32_e32 v6, 0x3800, v6
	s_delay_alu instid0(VALU_DEP_4) | instskip(NEXT) | instid1(VALU_DEP_2)
	v_ashrrev_i32_e32 v2, 31, v1
	v_or3_b32 v5, v6, v7, v5
	s_delay_alu instid0(VALU_DEP_2) | instskip(SKIP_2) | instid1(VALU_DEP_1)
	v_lshlrev_b64 v[1:2], 1, v[1:2]
	s_add_u32 s5, s6, s8
	s_addc_u32 s6, s7, s9
	v_add_co_u32 v1, vcc_lo, s5, v1
	s_delay_alu instid0(VALU_DEP_2) | instskip(NEXT) | instid1(VALU_DEP_2)
	v_add_co_ci_u32_e32 v2, vcc_lo, s6, v2, vcc_lo
	v_add_co_u32 v1, vcc_lo, v1, v65
	s_delay_alu instid0(VALU_DEP_2)
	v_add_co_ci_u32_e32 v2, vcc_lo, 0, v2, vcc_lo
	global_load_b128 v[1:4], v[1:2], off
	s_waitcnt vmcnt(0)
	ds_store_b128 v5, v[1:4]
.LBB1001_10:
	s_or_b32 exec_lo, exec_lo, s4
	v_and_b32_e32 v1, 0xef, v0
	s_waitcnt lgkmcnt(0)
	s_add_i32 s5, s24, 15
	s_clause 0x1
	s_load_b32 s4, s[0:1], 0x38
	s_load_b32 s33, s[0:1], 0x98
	s_ashr_i32 s6, s5, 31
	v_add_nc_u32_e32 v1, s12, v1
	s_lshr_b32 s6, s6, 28
	s_load_b32 s19, s[0:1], 0x1c
	s_add_i32 s5, s5, s6
	s_waitcnt lgkmcnt(0)
	v_ashrrev_i32_e32 v2, 31, v1
	v_or_b32_e32 v3, 16, v1
	s_ashr_i32 s13, s5, 4
	v_cmp_gt_i32_e32 vcc_lo, s24, v1
	s_add_i32 s13, s13, -1
	v_lshrrev_b32_e32 v2, 28, v2
	s_barrier
	buffer_gl0_inv
	s_mul_i32 s15, s15, s18
	v_add_nc_u32_e32 v4, v1, v2
	s_mul_i32 s4, s30, s4
	s_delay_alu instid0(SALU_CYCLE_1) | instskip(NEXT) | instid1(VALU_DEP_1)
	s_ashr_i32 s5, s4, 31
	v_ashrrev_i32_e32 v4, 4, v4
	v_add_nc_u32_e32 v2, v3, v2
	s_lshl_b64 s[4:5], s[4:5], 2
	s_delay_alu instid0(SALU_CYCLE_1) | instskip(NEXT) | instid1(VALU_DEP_2)
	s_add_u32 s16, s2, s4
	v_cndmask_b32_e32 v1, s13, v4, vcc_lo
	s_delay_alu instid0(VALU_DEP_2)
	v_ashrrev_i32_e32 v2, 4, v2
	v_cmp_gt_i32_e32 vcc_lo, s24, v3
	s_addc_u32 s25, s3, s5
	s_ashr_i32 s18, s15, 31
	s_add_u32 s26, s20, s15
	s_addc_u32 s27, s21, s18
	v_cndmask_b32_e32 v3, s13, v2, vcc_lo
	v_ashrrev_i32_e32 v2, 31, v1
	s_lshl_b32 s2, s14, 4
	s_delay_alu instid0(SALU_CYCLE_1) | instskip(NEXT) | instid1(VALU_DEP_2)
	s_ashr_i32 s3, s2, 31
	v_ashrrev_i32_e32 v4, 31, v3
	s_delay_alu instid0(VALU_DEP_2) | instskip(SKIP_1) | instid1(SALU_CYCLE_1)
	v_lshlrev_b64 v[1:2], 2, v[1:2]
	s_lshl_b64 s[2:3], s[2:3], 2
	s_add_u32 s2, s16, s2
	s_delay_alu instid0(VALU_DEP_2) | instskip(SKIP_1) | instid1(VALU_DEP_2)
	v_lshlrev_b64 v[3:4], 2, v[3:4]
	s_addc_u32 s3, s25, s3
	v_add_co_u32 v1, vcc_lo, s16, v1
	v_add_co_ci_u32_e32 v2, vcc_lo, s25, v2, vcc_lo
	s_delay_alu instid0(VALU_DEP_3) | instskip(NEXT) | instid1(VALU_DEP_4)
	v_add_co_u32 v3, vcc_lo, s16, v3
	v_add_co_ci_u32_e32 v4, vcc_lo, s25, v4, vcc_lo
	s_clause 0x1
	global_load_b32 v5, v[1:2], off
	global_load_b32 v7, v[3:4], off
	s_or_b32 s4, s12, 32
	v_lshlrev_b32_e32 v1, 4, v0
	s_ashr_i32 s5, s4, 4
	s_cmp_lt_i32 s4, s24
	v_cmp_gt_u32_e32 vcc_lo, 12, v68
	s_cselect_b32 s4, s5, s13
	v_and_b32_e32 v1, 0xf0, v1
	s_ashr_i32 s5, s4, 31
	s_delay_alu instid0(SALU_CYCLE_1) | instskip(NEXT) | instid1(SALU_CYCLE_1)
	s_lshl_b64 s[4:5], s[4:5], 2
	s_add_u32 s4, s16, s4
	s_addc_u32 s5, s25, s5
	s_or_b32 s6, s12, 64
	v_add_co_u32 v1, s26, s26, v1
	s_ashr_i32 s7, s6, 4
	s_cmp_lt_i32 s6, s24
	v_add_co_ci_u32_e64 v2, null, s27, 0, s26
	s_cselect_b32 s6, s7, s13
	s_delay_alu instid0(SALU_CYCLE_1) | instskip(NEXT) | instid1(SALU_CYCLE_1)
	s_ashr_i32 s7, s6, 31
	s_lshl_b64 s[6:7], s[6:7], 2
	s_delay_alu instid0(SALU_CYCLE_1) | instskip(SKIP_2) | instid1(SALU_CYCLE_1)
	s_add_u32 s6, s16, s6
	s_addc_u32 s7, s25, s7
	s_or_b32 s8, s12, 0x60
	s_ashr_i32 s9, s8, 4
	s_cmp_lt_i32 s8, s24
	s_cselect_b32 s8, s9, s13
	s_delay_alu instid0(SALU_CYCLE_1) | instskip(NEXT) | instid1(SALU_CYCLE_1)
	s_ashr_i32 s9, s8, 31
	s_lshl_b64 s[8:9], s[8:9], 2
	s_delay_alu instid0(SALU_CYCLE_1) | instskip(SKIP_2) | instid1(SALU_CYCLE_1)
	s_add_u32 s8, s16, s8
	s_addc_u32 s9, s25, s9
	s_or_b32 s10, s12, 0x80
	s_ashr_i32 s11, s10, 4
	s_cmp_lt_i32 s10, s24
	;; [unrolled: 10-line block ×3, first 2 shown]
	s_cselect_b32 s20, s21, s13
	s_delay_alu instid0(SALU_CYCLE_1) | instskip(NEXT) | instid1(SALU_CYCLE_1)
	s_ashr_i32 s21, s20, 31
	s_lshl_b64 s[20:21], s[20:21], 2
	s_delay_alu instid0(SALU_CYCLE_1)
	s_add_u32 s20, s16, s20
	s_addc_u32 s21, s25, s21
	s_clause 0x5
	s_load_b32 s26, s[2:3], 0x0
	s_load_b32 s27, s[4:5], 0x0
	;; [unrolled: 1-line block ×6, first 2 shown]
	s_or_b32 s2, s12, 0xc0
	s_mov_b32 s4, 0
	s_ashr_i32 s3, s2, 4
	s_cmp_lt_i32 s2, s24
	s_mov_b32 s11, s4
	s_cselect_b32 s2, s3, s13
	s_mov_b32 s5, s4
	s_ashr_i32 s3, s2, 31
	s_mov_b32 s6, s4
	s_lshl_b64 s[2:3], s[2:3], 2
	s_mov_b32 s7, s4
	s_add_u32 s2, s16, s2
	s_addc_u32 s3, s25, s3
	s_or_b32 s20, s12, 0xe0
	s_mov_b32 s8, s4
	s_ashr_i32 s21, s20, 4
	s_cmp_lt_i32 s20, s24
	s_mov_b32 s9, s4
	s_cselect_b32 s20, s21, s13
	s_mov_b32 s10, s4
	s_ashr_i32 s21, s20, 31
	v_mov_b32_e32 v118, s11
	v_dual_mov_b32 v112, s5 :: v_dual_mov_b32 v117, s10
	v_dual_mov_b32 v116, s9 :: v_dual_mov_b32 v115, s8
	v_dual_mov_b32 v114, s7 :: v_dual_mov_b32 v113, s6
	v_mov_b32_e32 v111, s4
	s_lshl_b64 s[4:5], s[20:21], 2
	s_delay_alu instid0(SALU_CYCLE_1)
	s_add_u32 s4, s16, s4
	s_addc_u32 s5, s25, s5
	s_add_u32 s6, s22, s15
	s_addc_u32 s7, s23, s18
	s_waitcnt vmcnt(1)
	v_mad_i64_i32 v[3:4], null, v5, s17, v[1:2]
	s_waitcnt vmcnt(0)
	v_mad_i64_i32 v[5:6], null, v7, s17, v[1:2]
	v_add_nc_u32_e32 v1, -12, v68
	v_lshlrev_b32_e32 v2, 4, v68
	s_clause 0xf
	global_load_b128 v[17:20], v[3:4], off
	global_load_b128 v[21:24], v[3:4], off offset:256
	global_load_b128 v[25:28], v[5:6], off
	global_load_b128 v[29:32], v[5:6], off offset:256
	global_load_b128 v[57:60], v[3:4], off offset:512
	;; [unrolled: 1-line block ×13, first 2 shown]
	v_cndmask_b32_e32 v1, v1, v68, vcc_lo
	s_delay_alu instid0(VALU_DEP_1)
	v_lshlrev_b32_e32 v149, 6, v1
	v_lshl_or_b32 v1, v69, 8, v2
	ds_load_b128 v[119:122], v149
	ds_load_b128 v[123:126], v149 offset:1024
	ds_load_b128 v[127:130], v149 offset:2048
	;; [unrolled: 1-line block ×3, first 2 shown]
	s_clause 0x1
	s_load_b32 s2, s[2:3], 0x0
	s_load_b32 s3, s[4:5], 0x0
	v_add_co_u32 v135, s6, s6, v1
	s_delay_alu instid0(VALU_DEP_1) | instskip(SKIP_1) | instid1(VALU_DEP_1)
	v_add_co_ci_u32_e64 v136, null, s7, 0, s6
	s_waitcnt lgkmcnt(0)
	v_mad_i64_i32 v[1:2], null, s26, s17, v[135:136]
	v_mad_i64_i32 v[3:4], null, s27, s17, v[135:136]
	;; [unrolled: 1-line block ×6, first 2 shown]
	s_clause 0x9
	global_load_b128 v[49:52], v[1:2], off
	global_load_b128 v[53:56], v[1:2], off offset:16
	global_load_b128 v[41:44], v[3:4], off
	global_load_b128 v[45:48], v[3:4], off offset:16
	;; [unrolled: 2-line block ×5, first 2 shown]
	v_mad_i64_i32 v[145:146], null, s2, s17, v[135:136]
	v_mad_i64_i32 v[147:148], null, s3, s17, v[135:136]
	s_waitcnt vmcnt(24)
	v_wmma_f32_16x16x16_f16 v[135:142], v[17:24], v[119:126], v[111:118]
	s_waitcnt vmcnt(22)
	v_wmma_f32_16x16x16_f16 v[111:118], v[25:32], v[119:126], v[111:118]
	s_clause 0x3
	global_load_b128 v[17:20], v[143:144], off
	global_load_b128 v[21:24], v[143:144], off offset:16
	global_load_b128 v[25:28], v[145:146], off
	global_load_b128 v[29:32], v[145:146], off offset:16
	v_and_b32_e32 v119, 0xe0, v0
	s_waitcnt vmcnt(24)
	v_wmma_f32_16x16x16_f16 v[135:142], v[57:64], v[127:134], v[135:142]
	s_clause 0x1
	global_load_b128 v[57:60], v[147:148], off
	global_load_b128 v[61:64], v[147:148], off offset:16
	s_waitcnt vmcnt(24)
	v_wmma_f32_16x16x16_f16 v[111:118], v[71:78], v[127:134], v[111:118]
	ds_load_b128 v[71:74], v149 offset:4096
	ds_load_b128 v[75:78], v149 offset:5120
	v_add_nc_u32_e32 v128, s12, v119
	ds_load_b128 v[119:122], v149 offset:6144
	ds_load_b128 v[123:126], v149 offset:7168
	v_mbcnt_lo_u32_b32 v127, -1, 0
	s_waitcnt vmcnt(0) lgkmcnt(0)
	s_barrier
	v_or_b32_e32 v128, v128, v66
	buffer_gl0_inv
	v_xor_b32_e32 v129, 16, v127
	v_or_b32_e32 v130, 4, v128
	v_or_b32_e32 v131, 6, v128
	s_delay_alu instid0(VALU_DEP_3) | instskip(SKIP_4) | instid1(VALU_DEP_4)
	v_cmp_gt_i32_e32 vcc_lo, 32, v129
	v_or_b32_e32 v132, 8, v128
	v_or_b32_e32 v133, 10, v128
	v_cmp_gt_i32_e64 s3, s24, v130
	v_cmp_gt_i32_e64 s4, s24, v131
	;; [unrolled: 1-line block ×3, first 2 shown]
	v_wmma_f32_16x16x16_f16 v[135:142], v[79:86], v[71:78], v[135:142]
	v_wmma_f32_16x16x16_f16 v[111:118], v[87:94], v[71:78], v[111:118]
	v_or_b32_e32 v79, 12, v128
	v_or_b32_e32 v80, 14, v128
	v_cmp_gt_i32_e64 s6, s24, v133
	v_wmma_f32_16x16x16_f16 v[135:142], v[95:102], v[119:126], v[135:142]
	v_wmma_f32_16x16x16_f16 v[111:118], v[103:110], v[119:126], v[111:118]
	v_cndmask_b32_e32 v127, v127, v129, vcc_lo
	v_or_b32_e32 v129, 2, v128
	v_cmp_gt_i32_e32 vcc_lo, s24, v128
	v_mul_f32_e32 v88, s19, v135
	v_dual_mul_f32 v92, s19, v115 :: v_dual_mul_f32 v87, s19, v136
	s_delay_alu instid0(VALU_DEP_4)
	v_cmp_gt_i32_e64 s2, s24, v129
	v_mul_f32_e32 v78, s19, v138
	v_mul_f32_e32 v86, s19, v137
	v_cndmask_b32_e32 v88, 0xff7fffff, v88, vcc_lo
	v_mul_f32_e32 v76, s19, v140
	v_cndmask_b32_e64 v87, 0xff7fffff, v87, s2
	v_dual_mul_f32 v77, s19, v139 :: v_dual_mul_f32 v94, s19, v113
	v_cndmask_b32_e64 v86, 0xff7fffff, v86, s3
	v_cndmask_b32_e64 v78, 0xff7fffff, v78, s4
	s_delay_alu instid0(VALU_DEP_4)
	v_max3_f32 v87, v88, 0xff7fffff, v87
	v_or_b32_e32 v81, 16, v128
	v_or_b32_e32 v82, 18, v128
	v_dual_mul_f32 v74, s19, v142 :: v_dual_mul_f32 v75, s19, v141
	v_mul_f32_e32 v96, s19, v111
	v_cndmask_b32_e64 v77, 0xff7fffff, v77, s5
	v_cndmask_b32_e64 v76, 0xff7fffff, v76, s6
	v_max3_f32 v78, v87, v86, v78
	v_cmp_gt_i32_e64 s7, s24, v79
	v_cmp_gt_i32_e64 s8, s24, v80
	v_or_b32_e32 v83, 20, v128
	v_or_b32_e32 v84, 22, v128
	v_mul_f32_e32 v95, s19, v112
	v_cndmask_b32_e64 v75, 0xff7fffff, v75, s7
	v_cndmask_b32_e64 v74, 0xff7fffff, v74, s8
	v_max3_f32 v76, v78, v77, v76
	v_cmp_gt_i32_e64 s9, s24, v81
	v_cmp_gt_i32_e64 s10, s24, v82
	v_or_b32_e32 v85, 24, v128
	v_or_b32_e32 v71, 26, v128
	;; [unrolled: 8-line block ×3, first 2 shown]
	v_mul_f32_e32 v91, s19, v116
	v_cndmask_b32_e64 v75, 0xff7fffff, v94, s11
	v_cndmask_b32_e64 v76, 0xff7fffff, v93, s12
	v_max3_f32 v74, v74, v77, v78
	v_cmp_gt_i32_e64 s13, s24, v85
	v_cmp_gt_i32_e64 s15, s24, v71
	v_dual_mul_f32 v89, s19, v118 :: v_dual_mul_f32 v90, s19, v117
	s_delay_alu instid0(VALU_DEP_4) | instskip(NEXT) | instid1(VALU_DEP_4)
	v_max3_f32 v74, v74, v75, v76
	v_cndmask_b32_e64 v77, 0xff7fffff, v92, s13
	s_delay_alu instid0(VALU_DEP_4) | instskip(SKIP_2) | instid1(VALU_DEP_3)
	v_cndmask_b32_e64 v71, 0xff7fffff, v91, s15
	v_cmp_gt_i32_e64 s16, s24, v72
	v_cmp_gt_i32_e64 s17, s24, v73
	v_max3_f32 v71, v74, v77, v71
	s_delay_alu instid0(VALU_DEP_3) | instskip(NEXT) | instid1(VALU_DEP_3)
	v_cndmask_b32_e64 v72, 0xff7fffff, v90, s16
	v_cndmask_b32_e64 v73, 0xff7fffff, v89, s17
	v_lshlrev_b32_e32 v74, 2, v127
	s_delay_alu instid0(VALU_DEP_2) | instskip(SKIP_3) | instid1(VALU_DEP_1)
	v_max3_f32 v71, v71, v72, v73
	ds_bpermute_b32 v72, v74, v71
	s_waitcnt lgkmcnt(0)
	v_max_f32_e32 v72, v72, v72
	v_max_f32_e32 v71, v71, v72
	s_delay_alu instid0(VALU_DEP_1) | instskip(SKIP_4) | instid1(VALU_DEP_4)
	v_fma_f32 v72, s19, v135, -v71
	v_fma_f32 v73, s19, v136, -v71
	;; [unrolled: 1-line block ×5, first 2 shown]
	v_dual_mul_f32 v72, 0x3fb8aa3b, v72 :: v_dual_mul_f32 v73, 0x3fb8aa3b, v73
	v_fma_f32 v80, s19, v141, -v71
	s_delay_alu instid0(VALU_DEP_3) | instskip(NEXT) | instid1(VALU_DEP_3)
	v_dual_mul_f32 v76, 0x3fb8aa3b, v76 :: v_dual_mul_f32 v77, 0x3fb8aa3b, v77
	v_exp_f32_e32 v72, v72
	s_delay_alu instid0(VALU_DEP_3) | instskip(NEXT) | instid1(VALU_DEP_2)
	v_exp_f32_e32 v73, v73
	v_mul_f32_e32 v82, 0x3fb8aa3b, v80
	s_delay_alu instid0(VALU_DEP_2) | instskip(SKIP_1) | instid1(VALU_DEP_1)
	v_exp_f32_e32 v76, v76
	v_exp_f32_e32 v77, v77
	;; [unrolled: 1-line block ×3, first 2 shown]
	v_cndmask_b32_e32 v79, 0, v72, vcc_lo
	v_fma_f32 v72, s19, v140, -v71
	v_mul_f32_e32 v75, 0x3fb8aa3b, v75
	v_cndmask_b32_e64 v78, 0, v73, s2
	s_delay_alu instid0(TRANS32_DEP_3) | instskip(NEXT) | instid1(VALU_DEP_4)
	v_cndmask_b32_e64 v80, 0, v76, s4
	v_dual_add_f32 v73, 0, v79 :: v_dual_mul_f32 v72, 0x3fb8aa3b, v72
	s_delay_alu instid0(VALU_DEP_4) | instskip(NEXT) | instid1(TRANS32_DEP_3)
	v_exp_f32_e32 v75, v75
	v_cndmask_b32_e64 v83, 0, v77, s5
	s_delay_alu instid0(TRANS32_DEP_2) | instskip(NEXT) | instid1(VALU_DEP_3)
	v_cndmask_b32_e64 v85, 0, v84, s7
	v_add_f32_e32 v73, v73, v78
	v_exp_f32_e32 v72, v72
	s_mov_b32 s2, exec_lo
	s_waitcnt_depctr 0xfff
	v_cndmask_b32_e64 v81, 0, v75, s3
	v_cndmask_b32_e64 v82, 0, v72, s6
	s_delay_alu instid0(VALU_DEP_2) | instskip(NEXT) | instid1(VALU_DEP_1)
	v_add_f32_e32 v73, v73, v81
	v_add_f32_e32 v73, v73, v80
	s_delay_alu instid0(VALU_DEP_1) | instskip(NEXT) | instid1(VALU_DEP_1)
	v_add_f32_e32 v72, v73, v83
	v_add_f32_e32 v72, v72, v82
	s_delay_alu instid0(VALU_DEP_1)
	v_add_f32_e32 v72, v72, v85
	v_fma_f32 v76, s19, v111, -v71
	v_fma_f32 v75, s19, v142, -v71
	;; [unrolled: 1-line block ×5, first 2 shown]
	v_mul_f32_e32 v76, 0x3fb8aa3b, v76
	s_delay_alu instid0(VALU_DEP_4) | instskip(NEXT) | instid1(VALU_DEP_2)
	v_mul_f32_e32 v86, 0x3fb8aa3b, v86
	v_exp_f32_e32 v76, v76
	s_delay_alu instid0(VALU_DEP_1)
	v_exp_f32_e32 v88, v86
	s_waitcnt_depctr 0xfff
	v_cndmask_b32_e64 v87, 0, v76, s9
	v_fma_f32 v76, s19, v116, -v71
	v_mul_f32_e32 v75, 0x3fb8aa3b, v75
	v_cndmask_b32_e64 v88, 0, v88, s12
	s_delay_alu instid0(VALU_DEP_3) | instskip(NEXT) | instid1(VALU_DEP_3)
	v_dual_mul_f32 v73, 0x3fb8aa3b, v73 :: v_dual_mul_f32 v76, 0x3fb8aa3b, v76
	v_exp_f32_e32 v75, v75
	s_delay_alu instid0(VALU_DEP_1) | instskip(NEXT) | instid1(VALU_DEP_1)
	v_exp_f32_e32 v73, v73
	v_exp_f32_e32 v76, v76
	s_delay_alu instid0(TRANS32_DEP_3)
	v_cndmask_b32_e64 v84, 0, v75, s8
	v_fma_f32 v75, s19, v115, -v71
	s_waitcnt_depctr 0xfff
	v_cndmask_b32_e64 v89, 0, v73, s11
	v_cndmask_b32_e64 v90, 0, v76, s15
	v_add_f32_e32 v72, v72, v84
	s_delay_alu instid0(VALU_DEP_1) | instskip(NEXT) | instid1(VALU_DEP_1)
	v_dual_add_f32 v72, v72, v87 :: v_dual_mul_f32 v77, 0x3fb8aa3b, v77
	v_exp_f32_e32 v77, v77
	s_waitcnt_depctr 0xfff
	v_cndmask_b32_e64 v86, 0, v77, s10
	v_fma_f32 v77, s19, v117, -v71
	s_delay_alu instid0(VALU_DEP_2) | instskip(NEXT) | instid1(VALU_DEP_1)
	v_dual_add_f32 v72, v72, v86 :: v_dual_mul_f32 v75, 0x3fb8aa3b, v75
	v_add_f32_e32 v72, v72, v89
	s_delay_alu instid0(VALU_DEP_2) | instskip(NEXT) | instid1(VALU_DEP_1)
	v_exp_f32_e32 v75, v75
	v_add_f32_e32 v72, v72, v88
	s_waitcnt_depctr 0xfff
	v_cndmask_b32_e64 v91, 0, v75, s13
	v_mul_f32_e32 v73, 0x3fb8aa3b, v77
	v_fma_f32 v77, s19, v118, -v71
	s_delay_alu instid0(VALU_DEP_3) | instskip(NEXT) | instid1(VALU_DEP_3)
	v_add_f32_e32 v72, v72, v91
	v_exp_f32_e32 v73, v73
	s_delay_alu instid0(VALU_DEP_1) | instskip(NEXT) | instid1(VALU_DEP_1)
	v_dual_mul_f32 v75, 0x3fb8aa3b, v77 :: v_dual_add_f32 v72, v72, v90
	v_exp_f32_e32 v75, v75
	s_waitcnt_depctr 0xfff
	v_cndmask_b32_e64 v93, 0, v73, s16
	s_delay_alu instid0(VALU_DEP_1) | instskip(SKIP_1) | instid1(VALU_DEP_1)
	v_add_f32_e32 v72, v72, v93
	v_cndmask_b32_e64 v92, 0, v75, s17
	v_add_f32_e32 v72, v72, v92
	ds_bpermute_b32 v73, v74, v72
	v_cmpx_gt_u32_e32 16, v70
	s_cbranch_execz .LBB1001_12
; %bb.11:
	v_mul_u32_u24_e32 v70, 0x44, v69
	s_waitcnt lgkmcnt(0)
	v_add_f32_e32 v72, v72, v73
	s_delay_alu instid0(VALU_DEP_2) | instskip(NEXT) | instid1(VALU_DEP_1)
	v_lshl_add_u32 v70, v68, 2, v70
	v_add_nc_u32_e32 v70, 0x4000, v70
	ds_store_2addr_b32 v70, v71, v72 offset1:136
.LBB1001_12:
	s_or_b32 exec_lo, exec_lo, s2
	v_lshlrev_b32_e32 v70, 2, v68
	s_load_b32 s34, s[0:1], 0x94
	s_waitcnt lgkmcnt(0)
	s_barrier
	buffer_gl0_inv
	v_add_nc_u32_e32 v98, 0x4000, v70
	v_cmp_eq_u32_e32 vcc_lo, 1, v69
	v_cmp_eq_u32_e64 s2, 2, v69
	v_cmp_eq_u32_e64 s3, 3, v69
	;; [unrolled: 1-line block ×3, first 2 shown]
	ds_load_2addr_b32 v[70:71], v98 offset1:17
	ds_load_2addr_b32 v[72:73], v98 offset0:34 offset1:51
	ds_load_2addr_b32 v[74:75], v98 offset0:68 offset1:85
	ds_load_2addr_b32 v[94:95], v98 offset0:102 offset1:119
	v_cmp_eq_u32_e64 s5, 5, v69
	v_cmp_eq_u32_e64 s6, 7, v69
	s_waitcnt lgkmcnt(3)
	v_max3_f32 v76, v70, 0xff7fffff, v71
	s_waitcnt lgkmcnt(2)
	s_delay_alu instid0(VALU_DEP_1) | instskip(SKIP_1) | instid1(VALU_DEP_1)
	v_max3_f32 v76, v76, v72, v73
	s_waitcnt lgkmcnt(1)
	v_max3_f32 v76, v76, v74, v75
	s_waitcnt lgkmcnt(0)
	s_delay_alu instid0(VALU_DEP_1) | instskip(NEXT) | instid1(VALU_DEP_1)
	v_max3_f32 v76, v76, v94, v95
	v_sub_f32_e32 v77, v71, v76
	ds_load_2addr_b32 v[96:97], v98 offset0:136 offset1:153
	v_sub_f32_e32 v74, v74, v76
	v_sub_f32_e32 v70, v70, v76
	;; [unrolled: 1-line block ×3, first 2 shown]
	v_dual_sub_f32 v72, v72, v76 :: v_dual_mul_f32 v77, 0x3fb8aa3b, v77
	s_delay_alu instid0(VALU_DEP_4) | instskip(NEXT) | instid1(VALU_DEP_4)
	v_mul_f32_e32 v103, 0x3fb8aa3b, v74
	v_mul_f32_e32 v99, 0x3fb8aa3b, v70
	ds_load_2addr_b32 v[70:71], v98 offset0:170 offset1:187
	v_dual_mul_f32 v101, 0x3fb8aa3b, v72 :: v_dual_mul_f32 v94, 0x3fb8aa3b, v94
	v_exp_f32_e32 v102, v77
	v_exp_f32_e32 v99, v99
	s_delay_alu instid0(VALU_DEP_1) | instskip(NEXT) | instid1(VALU_DEP_1)
	v_exp_f32_e32 v101, v101
	v_exp_f32_e32 v94, v94
	s_waitcnt lgkmcnt(1)
	s_delay_alu instid0(TRANS32_DEP_3)
	v_fma_f32 v77, v99, v96, 0
	v_sub_f32_e32 v100, v73, v76
	ds_load_2addr_b32 v[72:73], v98 offset0:204 offset1:221
	v_fmac_f32_e32 v77, v102, v97
	v_exp_f32_e32 v97, v103
	s_waitcnt lgkmcnt(1)
	s_delay_alu instid0(VALU_DEP_1)
	v_dual_fmac_f32 v77, v101, v70 :: v_dual_sub_f32 v96, v75, v76
	ds_load_2addr_b32 v[74:75], v98 offset0:238 offset1:255
	v_sub_f32_e32 v70, v95, v76
	s_waitcnt lgkmcnt(0)
	s_barrier
	v_mul_f32_e32 v96, 0x3fb8aa3b, v96
	buffer_gl0_inv
	v_exp_f32_e32 v95, v96
	v_mul_f32_e32 v100, 0x3fb8aa3b, v100
	s_delay_alu instid0(VALU_DEP_1) | instskip(SKIP_3) | instid1(VALU_DEP_2)
	v_exp_f32_e32 v100, v100
	s_waitcnt_depctr 0xfff
	v_dual_fmac_f32 v77, v100, v71 :: v_dual_mul_f32 v70, 0x3fb8aa3b, v70
	v_cndmask_b32_e32 v71, v99, v102, vcc_lo
	v_fmac_f32_e32 v77, v97, v72
	s_delay_alu instid0(VALU_DEP_3) | instskip(NEXT) | instid1(VALU_DEP_1)
	v_exp_f32_e32 v96, v70
	v_fmac_f32_e32 v77, v95, v73
	s_delay_alu instid0(VALU_DEP_1) | instskip(SKIP_2) | instid1(VALU_DEP_1)
	v_fmac_f32_e32 v77, v94, v74
	s_waitcnt_depctr 0xfff
	v_fmac_f32_e32 v77, v96, v75
	v_add_f32_e32 v74, 0x358637bd, v77
	s_delay_alu instid0(VALU_DEP_1) | instskip(SKIP_1) | instid1(VALU_DEP_2)
	v_div_scale_f32 v98, null, v74, v74, 1.0
	v_div_scale_f32 v99, vcc_lo, 1.0, v74, 1.0
	v_rcp_f32_e32 v103, v98
	s_waitcnt_depctr 0xfff
	v_fma_f32 v70, -v98, v103, 1.0
	s_delay_alu instid0(VALU_DEP_1) | instskip(SKIP_2) | instid1(VALU_DEP_2)
	v_fmac_f32_e32 v103, v70, v103
	v_cndmask_b32_e64 v70, v71, v101, s2
	v_cmp_eq_u32_e64 s2, 6, v69
	v_cndmask_b32_e64 v71, v70, v100, s3
	s_delay_alu instid0(VALU_DEP_4) | instskip(NEXT) | instid1(VALU_DEP_2)
	v_dual_mul_f32 v101, v99, v103 :: v_dual_lshlrev_b32 v70, 2, v66
	v_cndmask_b32_e64 v71, v71, v97, s4
	s_delay_alu instid0(VALU_DEP_2) | instskip(NEXT) | instid1(VALU_DEP_3)
	v_or_b32_e32 v72, 1, v70
	v_fma_f32 v100, -v98, v101, v99
	v_cmp_eq_u32_e64 s3, 1, v70
	v_cmp_eq_u32_e64 s4, 2, v70
	v_cndmask_b32_e64 v95, v71, v95, s5
	v_or_b32_e32 v71, 3, v70
	v_fmac_f32_e32 v101, v100, v103
	v_cmp_eq_u32_e64 s8, 1, v72
	v_cmp_eq_u32_e64 s11, 2, v72
	v_cndmask_b32_e64 v94, v95, v94, s2
	v_cmp_eq_u32_e64 s10, 1, v71
	v_fma_f32 v97, -v98, v101, v99
	v_cmp_eq_u32_e64 s15, 2, v71
	v_cmp_eq_u32_e64 s12, 3, v72
	v_cndmask_b32_e64 v94, v94, v96, s6
	v_cmp_eq_u32_e64 s17, 3, v71
	v_div_fmas_f32 v95, v97, v103, v101
	v_cmp_eq_u32_e32 vcc_lo, 3, v70
	v_cmp_eq_u32_e64 s2, 4, v70
	v_cmp_eq_u32_e64 s18, 4, v72
	;; [unrolled: 1-line block ×3, first 2 shown]
	v_div_fixup_f32 v95, v95, v74, 1.0
	v_lshlrev_b32_e32 v73, 6, v68
	v_cmp_eq_u32_e64 s5, 5, v70
	v_cmp_eq_u32_e64 s19, 5, v72
	;; [unrolled: 1-line block ×3, first 2 shown]
	v_mul_f32_e32 v102, v94, v95
	v_lshl_or_b32 v75, v69, 11, v73
	v_or_b32_e32 v69, 2, v70
	v_cmp_eq_u32_e64 s24, 6, v72
	v_cmp_eq_u32_e64 s26, 6, v71
	v_fma_mixlo_f16 v94, v102, v79, 0
	v_fma_mixlo_f16 v95, v102, v81, 0
	;; [unrolled: 1-line block ×8, first 2 shown]
	v_lshl_or_b32 v74, v66, 4, v75
	v_fma_mixhi_f16 v94, v102, v78, 0
	v_fma_mixhi_f16 v95, v102, v80, 0
	;; [unrolled: 1-line block ×8, first 2 shown]
	ds_store_b128 v74, v[94:97]
	ds_store_b128 v74, v[98:101] offset:1024
	s_waitcnt lgkmcnt(0)
	s_barrier
	buffer_gl0_inv
	ds_load_b128 v[78:81], v75
	ds_load_b128 v[82:85], v75 offset:16
	ds_load_b128 v[86:89], v75 offset:1024
	;; [unrolled: 1-line block ×3, first 2 shown]
	v_cmp_eq_u32_e64 s9, 1, v69
	v_cmp_eq_u32_e64 s13, 2, v69
	;; [unrolled: 1-line block ×11, first 2 shown]
	s_waitcnt lgkmcnt(3)
	v_lshrrev_b32_e32 v94, 16, v78
	s_waitcnt lgkmcnt(2)
	v_lshrrev_b32_e32 v98, 16, v82
	;; [unrolled: 2-line block ×4, first 2 shown]
	v_lshrrev_b32_e32 v95, 16, v79
	v_cndmask_b32_e64 v110, v78, v94, s3
	v_cndmask_b32_e64 v111, v82, v98, s3
	;; [unrolled: 1-line block ×8, first 2 shown]
	v_lshrrev_b32_e32 v99, 16, v83
	v_cndmask_b32_e64 v94, v86, v102, s3
	v_cndmask_b32_e64 v98, v90, v106, s3
	;; [unrolled: 1-line block ×15, first 2 shown]
	v_lshrrev_b32_e32 v103, 16, v87
	v_lshrrev_b32_e32 v107, 16, v91
	v_cndmask_b32_e64 v113, v115, v83, s13
	v_cndmask_b32_e64 v82, v94, v87, s4
	;; [unrolled: 1-line block ×7, first 2 shown]
	v_cndmask_b32_e32 v90, v102, v95, vcc_lo
	v_cndmask_b32_e32 v102, v106, v99, vcc_lo
	v_cndmask_b32_e64 v106, v110, v95, s12
	v_cndmask_b32_e64 v110, v111, v99, s12
	;; [unrolled: 1-line block ×4, first 2 shown]
	v_lshrrev_b32_e32 v96, 16, v80
	v_lshrrev_b32_e32 v100, 16, v84
	v_cndmask_b32_e64 v111, v112, v95, s16
	v_cndmask_b32_e64 v112, v113, v99, s16
	v_cndmask_b32_e32 v82, v82, v103, vcc_lo
	v_cndmask_b32_e32 v83, v83, v107, vcc_lo
	v_cndmask_b32_e64 v94, v94, v103, s12
	v_cndmask_b32_e64 v90, v90, v80, s2
	;; [unrolled: 1-line block ×7, first 2 shown]
	v_lshrrev_b32_e32 v104, 16, v88
	v_cndmask_b32_e64 v106, v111, v80, s20
	v_cndmask_b32_e64 v110, v112, v84, s20
	;; [unrolled: 1-line block ×11, first 2 shown]
	v_lshrrev_b32_e32 v97, 16, v81
	v_lshrrev_b32_e32 v101, 16, v85
	v_cndmask_b32_e64 v99, v106, v96, s22
	v_cndmask_b32_e64 v102, v110, v100, s22
	v_cndmask_b32_e64 v83, v83, v104, s19
	v_cndmask_b32_e64 v94, v94, v81, s24
	v_cndmask_b32_e64 v95, v95, v85, s24
	v_cndmask_b32_e64 v78, v78, v81, s26
	v_cndmask_b32_e64 v79, v79, v85, s26
	v_lshrrev_b32_e32 v105, 16, v89
	v_cndmask_b32_e64 v80, v80, v104, s5
	v_cndmask_b32_e64 v84, v84, v81, s6
	;; [unrolled: 1-line block ×16, first 2 shown]
	v_perm_b32 v81, v79, v78, 0x5040100
	v_perm_b32 v79, v95, v85, 0x5040100
	v_cndmask_b32_e64 v78, v119, v91, s13
	v_cndmask_b32_e64 v85, v117, v91, s11
	;; [unrolled: 1-line block ×3, first 2 shown]
	v_perm_b32 v80, v94, v90, 0x5040100
	v_cndmask_b32_e64 v90, v98, v103, s16
	v_cndmask_b32_e64 v86, v86, v103, s17
	;; [unrolled: 1-line block ×5, first 2 shown]
	v_lshrrev_b32_e32 v108, 16, v92
	v_cndmask_b32_e64 v90, v90, v88, s20
	v_cndmask_b32_e64 v86, v86, v88, s21
	;; [unrolled: 1-line block ×11, first 2 shown]
	v_lshrrev_b32_e32 v109, 16, v93
	v_cndmask_b32_e64 v82, v82, v93, s6
	v_cndmask_b32_e64 v88, v88, v89, s25
	;; [unrolled: 1-line block ×12, first 2 shown]
	v_perm_b32 v78, v84, v83, 0x5040100
	v_perm_b32 v85, v87, v86, 0x5040100
	;; [unrolled: 1-line block ×5, first 2 shown]
	s_mul_i32 s7, s33, 12
	s_mov_b32 s2, exec_lo
	ds_store_b128 v74, v[78:81]
	ds_store_b128 v74, v[82:85] offset:1024
	v_cmpx_gt_u32_e32 12, v0
	s_cbranch_execz .LBB1001_14
; %bb.13:
	s_mul_i32 s3, s7, s30
	s_load_b128 s[8:11], s[0:1], 0x58
	v_add3_u32 v68, s3, s31, v68
	s_delay_alu instid0(VALU_DEP_1) | instskip(NEXT) | instid1(VALU_DEP_1)
	v_mad_u64_u32 v[78:79], null, v68, s34, s[14:15]
	v_ashrrev_i32_e32 v79, 31, v78
	s_delay_alu instid0(VALU_DEP_1) | instskip(SKIP_1) | instid1(VALU_DEP_1)
	v_lshlrev_b64 v[78:79], 2, v[78:79]
	s_waitcnt lgkmcnt(0)
	v_add_co_u32 v80, vcc_lo, s10, v78
	s_delay_alu instid0(VALU_DEP_2)
	v_add_co_ci_u32_e32 v81, vcc_lo, s11, v79, vcc_lo
	v_add_co_u32 v78, vcc_lo, s8, v78
	v_add_co_ci_u32_e32 v79, vcc_lo, s9, v79, vcc_lo
	global_store_b32 v[80:81], v76, off
	global_store_b32 v[78:79], v77, off
.LBB1001_14:
	s_or_b32 exec_lo, exec_lo, s2
	s_waitcnt lgkmcnt(0)
	s_waitcnt_vscnt null, 0x0
	s_barrier
	buffer_gl0_inv
	ds_load_b128 v[84:87], v73
	ds_load_b128 v[88:91], v73 offset:16
	ds_load_b128 v[96:99], v73 offset:2064
	;; [unrolled: 1-line block ×5, first 2 shown]
	v_cmp_eq_u32_e32 vcc_lo, 1, v70
	v_mov_b32_e32 v76, 0
	ds_load_b128 v[112:115], v73 offset:6160
	ds_load_b128 v[108:111], v73 offset:6144
	;; [unrolled: 1-line block ×4, first 2 shown]
	v_cmp_eq_u32_e64 s3, 1, v69
	v_cmp_eq_u32_e64 s2, 1, v72
	;; [unrolled: 1-line block ×3, first 2 shown]
	v_mov_b32_e32 v77, v76
	v_mov_b32_e32 v78, v76
	;; [unrolled: 1-line block ×7, first 2 shown]
	v_cmp_eq_u32_e64 s5, 3, v72
	v_cmp_eq_u32_e64 s6, 7, v72
	s_waitcnt lgkmcnt(8)
	s_delay_alu instid0(VALU_DEP_3)
	v_wmma_f32_16x16x16_f16 v[76:83], v[49:56], v[84:91], v[76:83]
	ds_load_b128 v[53:56], v73 offset:10256
	ds_load_b128 v[49:52], v73 offset:10240
	s_waitcnt lgkmcnt(8)
	v_wmma_f32_16x16x16_f16 v[76:83], v[41:48], v[92:99], v[76:83]
	ds_load_b128 v[45:48], v73 offset:12304
	ds_load_b128 v[41:44], v73 offset:12288
	s_waitcnt lgkmcnt(8)
	;; [unrolled: 4-line block ×3, first 2 shown]
	s_barrier
	buffer_gl0_inv
	v_wmma_f32_16x16x16_f16 v[76:83], v[1:8], v[108:115], v[76:83]
	s_delay_alu instid0(VALU_DEP_1) | instskip(NEXT) | instid1(VALU_DEP_1)
	v_wmma_f32_16x16x16_f16 v[76:83], v[9:16], v[116:123], v[76:83]
	v_wmma_f32_16x16x16_f16 v[76:83], v[17:24], v[49:56], v[76:83]
	s_delay_alu instid0(VALU_DEP_1) | instskip(NEXT) | instid1(VALU_DEP_1)
	v_wmma_f32_16x16x16_f16 v[76:83], v[25:32], v[41:48], v[76:83]
	v_wmma_f32_16x16x16_f16 v[76:83], v[57:64], v[33:40], v[76:83]
	s_delay_alu instid0(VALU_DEP_1) | instskip(NEXT) | instid1(VALU_DEP_2)
	v_cvt_f16_f32_e32 v1, v76
	v_cvt_f16_f32_e32 v2, v77
	s_delay_alu instid0(VALU_DEP_3) | instskip(NEXT) | instid1(VALU_DEP_4)
	v_cvt_f16_f32_e32 v3, v78
	v_cvt_f16_f32_e32 v4, v79
	;; [unrolled: 1-line block ×6, first 2 shown]
	v_pack_b32_f16 v1, v1, v2
	v_pack_b32_f16 v2, v3, v4
	v_pack_b32_f16 v3, v5, v6
	s_delay_alu instid0(VALU_DEP_4)
	v_pack_b32_f16 v4, v7, v8
	ds_store_b128 v74, v[1:4]
	s_waitcnt lgkmcnt(0)
	s_barrier
	buffer_gl0_inv
	ds_load_b128 v[1:4], v75
	ds_load_b128 v[5:8], v75 offset:16
	s_waitcnt lgkmcnt(1)
	v_lshrrev_b32_e32 v9, 16, v1
	s_waitcnt lgkmcnt(0)
	v_lshrrev_b32_e32 v13, 16, v5
	v_lshrrev_b32_e32 v10, 16, v2
	;; [unrolled: 1-line block ×4, first 2 shown]
	v_cndmask_b32_e32 v17, v1, v9, vcc_lo
	v_cndmask_b32_e32 v18, v5, v13, vcc_lo
	v_cndmask_b32_e64 v21, v1, v9, s3
	v_cmp_eq_u32_e32 vcc_lo, 1, v71
	v_cndmask_b32_e64 v22, v5, v13, s3
	v_cmp_eq_u32_e64 s3, 2, v70
	v_cndmask_b32_e64 v19, v1, v9, s2
	v_cndmask_b32_e64 v20, v5, v13, s2
	v_cndmask_b32_e32 v1, v1, v9, vcc_lo
	v_cmp_eq_u32_e64 s2, 2, v71
	v_cndmask_b32_e32 v5, v5, v13, vcc_lo
	v_cndmask_b32_e64 v9, v17, v2, s3
	v_cmp_eq_u32_e32 vcc_lo, 3, v70
	v_cndmask_b32_e64 v13, v18, v6, s3
	v_cmp_eq_u32_e64 s3, 2, v69
	v_cndmask_b32_e64 v17, v19, v2, s4
	v_cndmask_b32_e64 v18, v20, v6, s4
	v_cmp_eq_u32_e64 s4, 3, v69
	v_cndmask_b32_e64 v1, v1, v2, s2
	v_cndmask_b32_e64 v19, v21, v2, s3
	;; [unrolled: 1-line block ×4, first 2 shown]
	v_cndmask_b32_e32 v5, v9, v10, vcc_lo
	v_cndmask_b32_e32 v6, v13, v14, vcc_lo
	v_cmp_eq_u32_e32 vcc_lo, 3, v71
	v_cndmask_b32_e64 v9, v17, v10, s5
	v_cndmask_b32_e64 v13, v18, v14, s5
	;; [unrolled: 1-line block ×3, first 2 shown]
	v_cmp_eq_u32_e64 s3, 4, v70
	v_cndmask_b32_e32 v1, v1, v10, vcc_lo
	v_cndmask_b32_e32 v2, v2, v14, vcc_lo
	v_cmp_eq_u32_e32 vcc_lo, 4, v72
	v_lshrrev_b32_e32 v15, 16, v7
	v_lshrrev_b32_e32 v16, 16, v8
	v_cndmask_b32_e64 v17, v19, v10, s4
	v_cmp_eq_u32_e64 s2, 4, v71
	v_cndmask_b32_e64 v5, v5, v3, s3
	v_cndmask_b32_e64 v6, v6, v7, s3
	v_cndmask_b32_e32 v9, v9, v3, vcc_lo
	v_cmp_eq_u32_e64 s3, 5, v72
	v_cndmask_b32_e32 v10, v13, v7, vcc_lo
	v_cmp_eq_u32_e32 vcc_lo, 4, v69
	v_cmp_eq_u32_e64 s4, 5, v70
	v_cndmask_b32_e64 v2, v2, v7, s2
	v_cndmask_b32_e64 v9, v9, v11, s3
	;; [unrolled: 1-line block ×3, first 2 shown]
	v_cndmask_b32_e32 v13, v17, v3, vcc_lo
	v_cmp_eq_u32_e64 s3, 5, v69
	v_cndmask_b32_e32 v14, v18, v7, vcc_lo
	v_cndmask_b32_e64 v1, v1, v3, s2
	v_cmp_eq_u32_e32 vcc_lo, 5, v71
	v_lshrrev_b32_e32 v12, 16, v4
	v_cndmask_b32_e64 v13, v13, v11, s3
	v_cndmask_b32_e64 v3, v14, v15, s3
	v_cmp_eq_u32_e64 s3, 6, v71
	v_cndmask_b32_e32 v1, v1, v11, vcc_lo
	v_cndmask_b32_e64 v5, v5, v11, s4
	v_cmp_eq_u32_e64 s5, 6, v70
	v_cndmask_b32_e64 v6, v6, v15, s4
	v_cmp_eq_u32_e64 s4, 6, v72
	v_cmp_eq_u32_e64 s2, 6, v69
	v_cndmask_b32_e64 v1, v1, v4, s3
	v_cndmask_b32_e32 v2, v2, v15, vcc_lo
	v_cmp_eq_u32_e32 vcc_lo, 7, v71
	v_cndmask_b32_e64 v5, v5, v4, s5
	v_cndmask_b32_e64 v9, v9, v4, s4
	;; [unrolled: 1-line block ×3, first 2 shown]
	v_cmp_eq_u32_e64 s5, 7, v70
	v_cndmask_b32_e32 v1, v1, v12, vcc_lo
	v_cndmask_b32_e64 v7, v13, v4, s2
	v_cndmask_b32_e64 v3, v3, v8, s2
	;; [unrolled: 1-line block ×3, first 2 shown]
	v_cmp_eq_u32_e64 s2, 7, v69
	v_cndmask_b32_e64 v4, v10, v8, s4
	v_cndmask_b32_e64 v5, v5, v12, s5
	;; [unrolled: 1-line block ×3, first 2 shown]
	v_cndmask_b32_e32 v2, v2, v16, vcc_lo
	v_cndmask_b32_e64 v7, v7, v12, s2
	v_cndmask_b32_e64 v3, v3, v16, s2
	;; [unrolled: 1-line block ×4, first 2 shown]
	v_perm_b32 v4, v2, v1, 0x5040100
	s_mov_b32 s2, exec_lo
	v_perm_b32 v3, v3, v7, 0x5040100
	v_perm_b32 v2, v8, v9, 0x5040100
	;; [unrolled: 1-line block ×3, first 2 shown]
	ds_store_b128 v74, v[1:4]
	s_waitcnt lgkmcnt(0)
	s_barrier
	buffer_gl0_inv
	v_cmpx_gt_u32_e32 32, v0
	s_cbranch_execz .LBB1001_2
; %bb.15:
	s_load_b64 s[0:1], s[0:1], 0x68
	v_lshlrev_b32_e32 v0, 10, v0
	s_lshl_b32 s4, s34, 7
	v_or_b32_e32 v3, s31, v66
	s_mul_i32 s2, s4, s30
	v_lshlrev_b32_e32 v1, 4, v67
	s_mul_i32 s2, s2, s7
	v_lshlrev_b32_e32 v2, 6, v66
	v_and_b32_e32 v0, 0x3800, v0
	s_ashr_i32 s3, s2, 31
	v_mul_lo_u32 v4, v3, s4
	s_lshl_b64 s[2:3], s[2:3], 1
	s_delay_alu instid0(VALU_DEP_2) | instskip(NEXT) | instid1(VALU_DEP_2)
	v_or3_b32 v16, v0, v1, v2
	v_ashrrev_i32_e32 v5, 31, v4
	ds_load_b128 v[0:3], v16
	s_waitcnt lgkmcnt(0)
	s_add_u32 s2, s0, s2
	s_addc_u32 s3, s1, s3
	s_lshl_b32 s0, s14, 7
	v_lshlrev_b64 v[5:6], 1, v[4:5]
	s_ashr_i32 s1, s0, 31
	s_delay_alu instid0(SALU_CYCLE_1) | instskip(NEXT) | instid1(SALU_CYCLE_1)
	s_lshl_b64 s[0:1], s[0:1], 1
	s_add_u32 s0, s2, s0
	s_addc_u32 s1, s3, s1
	s_lshl_b32 s2, s34, 8
	v_add_co_u32 v30, s0, s0, v65
	v_add_nc_u32_e32 v8, s2, v4
	v_add_co_ci_u32_e64 v31, null, s1, 0, s0
	s_delay_alu instid0(VALU_DEP_3) | instskip(NEXT) | instid1(VALU_DEP_3)
	v_add_co_u32 v12, vcc_lo, v30, v5
	v_add_nc_u32_e32 v10, s2, v8
	v_ashrrev_i32_e32 v9, 31, v8
	s_delay_alu instid0(VALU_DEP_4)
	v_add_co_ci_u32_e32 v13, vcc_lo, v31, v6, vcc_lo
	ds_load_b128 v[4:7], v16 offset:128
	v_ashrrev_i32_e32 v11, 31, v10
	v_lshlrev_b64 v[8:9], 1, v[8:9]
	v_add_nc_u32_e32 v14, s2, v10
	global_store_b128 v[12:13], v[0:3], off
	v_lshlrev_b64 v[0:1], 1, v[10:11]
	v_ashrrev_i32_e32 v15, 31, v14
	v_add_co_u32 v22, vcc_lo, v30, v8
	v_add_nc_u32_e32 v20, s2, v14
	v_add_co_ci_u32_e32 v23, vcc_lo, v31, v9, vcc_lo
	v_add_co_u32 v26, vcc_lo, v30, v0
	v_lshlrev_b64 v[24:25], 1, v[14:15]
	v_add_co_ci_u32_e32 v27, vcc_lo, v31, v1, vcc_lo
	ds_load_b128 v[0:3], v16 offset:256
	ds_load_b128 v[8:11], v16 offset:384
	ds_load_b128 v[12:15], v16 offset:512
	ds_load_b128 v[16:19], v16 offset:640
	v_add_nc_u32_e32 v28, s2, v20
	v_ashrrev_i32_e32 v21, 31, v20
	v_add_co_u32 v24, vcc_lo, v30, v24
	v_add_co_ci_u32_e32 v25, vcc_lo, v31, v25, vcc_lo
	s_delay_alu instid0(VALU_DEP_4) | instskip(NEXT) | instid1(VALU_DEP_4)
	v_ashrrev_i32_e32 v29, 31, v28
	v_lshlrev_b64 v[20:21], 1, v[20:21]
	s_delay_alu instid0(VALU_DEP_2) | instskip(NEXT) | instid1(VALU_DEP_2)
	v_lshlrev_b64 v[28:29], 1, v[28:29]
	v_add_co_u32 v20, vcc_lo, v30, v20
	s_delay_alu instid0(VALU_DEP_3) | instskip(NEXT) | instid1(VALU_DEP_3)
	v_add_co_ci_u32_e32 v21, vcc_lo, v31, v21, vcc_lo
	v_add_co_u32 v28, vcc_lo, v30, v28
	s_delay_alu instid0(VALU_DEP_4)
	v_add_co_ci_u32_e32 v29, vcc_lo, v31, v29, vcc_lo
	s_waitcnt lgkmcnt(4)
	global_store_b128 v[22:23], v[4:7], off
	s_waitcnt lgkmcnt(3)
	global_store_b128 v[26:27], v[0:3], off
	;; [unrolled: 2-line block ×5, first 2 shown]
	s_nop 0
	s_sendmsg sendmsg(MSG_DEALLOC_VGPRS)
	s_endpgm
	.section	.rodata,"a",@progbits
	.p2align	6, 0x0
	.amdhsa_kernel _Z39paged_attention_ll4mi_QKV_mfma16_kernelIDF16_hLN4vllm18Fp8KVCacheDataTypeE1EDF16_Li16ELi128ELi256ELb0ELi12EL8MFMAType1EEvPKT_PKT0_S8_ifPKiSA_SA_iPKfiiiPfSD_PS3_PT2_iSC_SC_
		.amdhsa_group_segment_fixed_size 17472
		.amdhsa_private_segment_fixed_size 0
		.amdhsa_kernarg_size 400
		.amdhsa_user_sgpr_count 13
		.amdhsa_user_sgpr_dispatch_ptr 0
		.amdhsa_user_sgpr_queue_ptr 0
		.amdhsa_user_sgpr_kernarg_segment_ptr 1
		.amdhsa_user_sgpr_dispatch_id 0
		.amdhsa_user_sgpr_private_segment_size 0
		.amdhsa_wavefront_size32 1
		.amdhsa_uses_dynamic_stack 0
		.amdhsa_enable_private_segment 0
		.amdhsa_system_sgpr_workgroup_id_x 1
		.amdhsa_system_sgpr_workgroup_id_y 1
		.amdhsa_system_sgpr_workgroup_id_z 1
		.amdhsa_system_sgpr_workgroup_info 0
		.amdhsa_system_vgpr_workitem_id 0
		.amdhsa_next_free_vgpr 150
		.amdhsa_next_free_sgpr 36
		.amdhsa_reserve_vcc 1
		.amdhsa_float_round_mode_32 0
		.amdhsa_float_round_mode_16_64 0
		.amdhsa_float_denorm_mode_32 3
		.amdhsa_float_denorm_mode_16_64 3
		.amdhsa_dx10_clamp 1
		.amdhsa_ieee_mode 1
		.amdhsa_fp16_overflow 0
		.amdhsa_workgroup_processor_mode 1
		.amdhsa_memory_ordered 1
		.amdhsa_forward_progress 0
		.amdhsa_shared_vgpr_count 0
		.amdhsa_exception_fp_ieee_invalid_op 0
		.amdhsa_exception_fp_denorm_src 0
		.amdhsa_exception_fp_ieee_div_zero 0
		.amdhsa_exception_fp_ieee_overflow 0
		.amdhsa_exception_fp_ieee_underflow 0
		.amdhsa_exception_fp_ieee_inexact 0
		.amdhsa_exception_int_div_zero 0
	.end_amdhsa_kernel
	.section	.text._Z39paged_attention_ll4mi_QKV_mfma16_kernelIDF16_hLN4vllm18Fp8KVCacheDataTypeE1EDF16_Li16ELi128ELi256ELb0ELi12EL8MFMAType1EEvPKT_PKT0_S8_ifPKiSA_SA_iPKfiiiPfSD_PS3_PT2_iSC_SC_,"axG",@progbits,_Z39paged_attention_ll4mi_QKV_mfma16_kernelIDF16_hLN4vllm18Fp8KVCacheDataTypeE1EDF16_Li16ELi128ELi256ELb0ELi12EL8MFMAType1EEvPKT_PKT0_S8_ifPKiSA_SA_iPKfiiiPfSD_PS3_PT2_iSC_SC_,comdat
.Lfunc_end1001:
	.size	_Z39paged_attention_ll4mi_QKV_mfma16_kernelIDF16_hLN4vllm18Fp8KVCacheDataTypeE1EDF16_Li16ELi128ELi256ELb0ELi12EL8MFMAType1EEvPKT_PKT0_S8_ifPKiSA_SA_iPKfiiiPfSD_PS3_PT2_iSC_SC_, .Lfunc_end1001-_Z39paged_attention_ll4mi_QKV_mfma16_kernelIDF16_hLN4vllm18Fp8KVCacheDataTypeE1EDF16_Li16ELi128ELi256ELb0ELi12EL8MFMAType1EEvPKT_PKT0_S8_ifPKiSA_SA_iPKfiiiPfSD_PS3_PT2_iSC_SC_
                                        ; -- End function
	.section	.AMDGPU.csdata,"",@progbits
; Kernel info:
; codeLenInByte = 6752
; NumSgprs: 38
; NumVgprs: 150
; ScratchSize: 0
; MemoryBound: 0
; FloatMode: 240
; IeeeMode: 1
; LDSByteSize: 17472 bytes/workgroup (compile time only)
; SGPRBlocks: 4
; VGPRBlocks: 18
; NumSGPRsForWavesPerEU: 38
; NumVGPRsForWavesPerEU: 150
; Occupancy: 9
; WaveLimiterHint : 1
; COMPUTE_PGM_RSRC2:SCRATCH_EN: 0
; COMPUTE_PGM_RSRC2:USER_SGPR: 13
; COMPUTE_PGM_RSRC2:TRAP_HANDLER: 0
; COMPUTE_PGM_RSRC2:TGID_X_EN: 1
; COMPUTE_PGM_RSRC2:TGID_Y_EN: 1
; COMPUTE_PGM_RSRC2:TGID_Z_EN: 1
; COMPUTE_PGM_RSRC2:TIDIG_COMP_CNT: 0
	.section	.text._Z39paged_attention_ll4mi_QKV_mfma16_kernelIDF16_hLN4vllm18Fp8KVCacheDataTypeE1EDF16_Li16ELi128ELi256ELb0ELi13EL8MFMAType1EEvPKT_PKT0_S8_ifPKiSA_SA_iPKfiiiPfSD_PS3_PT2_iSC_SC_,"axG",@progbits,_Z39paged_attention_ll4mi_QKV_mfma16_kernelIDF16_hLN4vllm18Fp8KVCacheDataTypeE1EDF16_Li16ELi128ELi256ELb0ELi13EL8MFMAType1EEvPKT_PKT0_S8_ifPKiSA_SA_iPKfiiiPfSD_PS3_PT2_iSC_SC_,comdat
	.protected	_Z39paged_attention_ll4mi_QKV_mfma16_kernelIDF16_hLN4vllm18Fp8KVCacheDataTypeE1EDF16_Li16ELi128ELi256ELb0ELi13EL8MFMAType1EEvPKT_PKT0_S8_ifPKiSA_SA_iPKfiiiPfSD_PS3_PT2_iSC_SC_ ; -- Begin function _Z39paged_attention_ll4mi_QKV_mfma16_kernelIDF16_hLN4vllm18Fp8KVCacheDataTypeE1EDF16_Li16ELi128ELi256ELb0ELi13EL8MFMAType1EEvPKT_PKT0_S8_ifPKiSA_SA_iPKfiiiPfSD_PS3_PT2_iSC_SC_
	.globl	_Z39paged_attention_ll4mi_QKV_mfma16_kernelIDF16_hLN4vllm18Fp8KVCacheDataTypeE1EDF16_Li16ELi128ELi256ELb0ELi13EL8MFMAType1EEvPKT_PKT0_S8_ifPKiSA_SA_iPKfiiiPfSD_PS3_PT2_iSC_SC_
	.p2align	8
	.type	_Z39paged_attention_ll4mi_QKV_mfma16_kernelIDF16_hLN4vllm18Fp8KVCacheDataTypeE1EDF16_Li16ELi128ELi256ELb0ELi13EL8MFMAType1EEvPKT_PKT0_S8_ifPKiSA_SA_iPKfiiiPfSD_PS3_PT2_iSC_SC_,@function
_Z39paged_attention_ll4mi_QKV_mfma16_kernelIDF16_hLN4vllm18Fp8KVCacheDataTypeE1EDF16_Li16ELi128ELi256ELb0ELi13EL8MFMAType1EEvPKT_PKT0_S8_ifPKiSA_SA_iPKfiiiPfSD_PS3_PT2_iSC_SC_: ; @_Z39paged_attention_ll4mi_QKV_mfma16_kernelIDF16_hLN4vllm18Fp8KVCacheDataTypeE1EDF16_Li16ELi128ELi256ELb0ELi13EL8MFMAType1EEvPKT_PKT0_S8_ifPKiSA_SA_iPKfiiiPfSD_PS3_PT2_iSC_SC_
; %bb.0:
	s_load_b64 s[4:5], s[0:1], 0x30
	s_mov_b32 s34, s13
	s_waitcnt lgkmcnt(0)
	s_cmp_lg_u64 s[4:5], 0
	s_cselect_b32 s8, -1, 0
	s_ashr_i32 s35, s13, 31
	s_cmp_eq_u64 s[4:5], 0
	s_cbranch_scc1 .LBB1002_3
; %bb.1:
	s_lshl_b64 s[2:3], s[34:35], 2
	s_delay_alu instid0(SALU_CYCLE_1) | instskip(SKIP_4) | instid1(SALU_CYCLE_1)
	s_add_u32 s2, s4, s2
	s_addc_u32 s3, s5, s3
	s_load_b64 s[2:3], s[2:3], 0x0
	s_waitcnt lgkmcnt(0)
	s_sub_i32 s2, s3, s2
	s_cmp_eq_u32 s2, 1
	s_cselect_b32 s2, -1, 0
	s_delay_alu instid0(SALU_CYCLE_1)
	s_and_not1_b32 vcc_lo, exec_lo, s2
	s_cbranch_vccz .LBB1002_4
.LBB1002_2:
	s_nop 0
	s_sendmsg sendmsg(MSG_DEALLOC_VGPRS)
	s_endpgm
.LBB1002_3:
.LBB1002_4:
	s_load_b64 s[2:3], s[0:1], 0x28
	s_lshl_b64 s[6:7], s[34:35], 2
	s_waitcnt lgkmcnt(0)
	s_add_u32 s2, s2, s6
	s_addc_u32 s3, s3, s7
	s_lshl_b32 s12, s14, 8
	s_load_b32 s24, s[2:3], 0x0
	s_waitcnt lgkmcnt(0)
	s_cmp_ge_i32 s12, s24
	s_cbranch_scc1 .LBB1002_2
; %bb.5:
	s_clause 0x1
	s_load_b128 s[20:23], s[0:1], 0x8
	s_load_b64 s[2:3], s[0:1], 0x20
	s_and_not1_b32 vcc_lo, exec_lo, s8
	s_cbranch_vccnz .LBB1002_7
; %bb.6:
	s_add_u32 s4, s4, s6
	s_addc_u32 s5, s5, s7
	s_load_b32 s5, s[4:5], 0x0
	s_branch .LBB1002_8
.LBB1002_7:
	s_mov_b32 s5, s34
.LBB1002_8:
	s_load_b128 s[16:19], s[0:1], 0x48
	v_and_b32_e32 v68, 15, v0
	v_lshrrev_b32_e32 v69, 5, v0
	v_bfe_u32 v66, v0, 4, 1
	v_and_b32_e32 v70, 31, v0
	v_and_b32_e32 v67, 1, v0
	v_lshlrev_b32_e32 v2, 3, v68
	s_mul_i32 s31, s15, 13
	v_lshl_or_b32 v1, v69, 1, v66
	s_mov_b32 s4, exec_lo
	s_delay_alu instid0(VALU_DEP_2) | instskip(NEXT) | instid1(VALU_DEP_2)
	v_lshlrev_b32_e32 v65, 1, v2
	v_cmpx_gt_u32_e32 13, v1
	s_cbranch_execz .LBB1002_10
; %bb.9:
	s_load_b64 s[6:7], s[0:1], 0x0
	v_add_lshl_u32 v2, v1, s31, 7
	s_waitcnt lgkmcnt(0)
	s_mul_hi_i32 s9, s5, s16
	s_mul_i32 s8, s5, s16
	v_lshlrev_b32_e32 v6, 10, v68
	s_lshl_b64 s[8:9], s[8:9], 1
	v_ashrrev_i32_e32 v3, 31, v2
	v_lshlrev_b32_e32 v1, 6, v1
	v_lshlrev_b32_e32 v7, 10, v67
	v_and_b32_e32 v6, 0x3800, v6
	s_delay_alu instid0(VALU_DEP_4) | instskip(NEXT) | instid1(VALU_DEP_2)
	v_lshlrev_b64 v[2:3], 1, v[2:3]
	v_or3_b32 v1, v6, v7, v1
	s_add_u32 s5, s6, s8
	s_addc_u32 s6, s7, s9
	s_delay_alu instid0(VALU_DEP_2) | instskip(NEXT) | instid1(VALU_DEP_3)
	v_add_co_u32 v2, vcc_lo, s5, v2
	v_add_co_ci_u32_e32 v3, vcc_lo, s6, v3, vcc_lo
	s_delay_alu instid0(VALU_DEP_2) | instskip(NEXT) | instid1(VALU_DEP_2)
	v_add_co_u32 v2, vcc_lo, v2, v65
	v_add_co_ci_u32_e32 v3, vcc_lo, 0, v3, vcc_lo
	global_load_b128 v[2:5], v[2:3], off
	s_waitcnt vmcnt(0)
	ds_store_b128 v1, v[2:5]
.LBB1002_10:
	s_or_b32 exec_lo, exec_lo, s4
	v_and_b32_e32 v1, 0xef, v0
	s_waitcnt lgkmcnt(0)
	s_add_i32 s5, s24, 15
	s_clause 0x1
	s_load_b32 s4, s[0:1], 0x38
	s_load_b32 s33, s[0:1], 0x98
	s_ashr_i32 s6, s5, 31
	v_add_nc_u32_e32 v1, s12, v1
	s_lshr_b32 s6, s6, 28
	s_load_b32 s19, s[0:1], 0x1c
	s_add_i32 s5, s5, s6
	s_waitcnt lgkmcnt(0)
	v_ashrrev_i32_e32 v2, 31, v1
	v_or_b32_e32 v3, 16, v1
	s_ashr_i32 s13, s5, 4
	v_cmp_gt_i32_e32 vcc_lo, s24, v1
	s_add_i32 s13, s13, -1
	v_lshrrev_b32_e32 v2, 28, v2
	s_barrier
	buffer_gl0_inv
	s_mul_i32 s15, s15, s18
	v_add_nc_u32_e32 v4, v1, v2
	s_mul_i32 s4, s34, s4
	s_delay_alu instid0(SALU_CYCLE_1) | instskip(NEXT) | instid1(VALU_DEP_1)
	s_ashr_i32 s5, s4, 31
	v_ashrrev_i32_e32 v4, 4, v4
	v_add_nc_u32_e32 v2, v3, v2
	s_lshl_b64 s[4:5], s[4:5], 2
	s_delay_alu instid0(SALU_CYCLE_1) | instskip(NEXT) | instid1(VALU_DEP_2)
	s_add_u32 s16, s2, s4
	v_cndmask_b32_e32 v1, s13, v4, vcc_lo
	s_delay_alu instid0(VALU_DEP_2)
	v_ashrrev_i32_e32 v2, 4, v2
	v_cmp_gt_i32_e32 vcc_lo, s24, v3
	s_addc_u32 s25, s3, s5
	s_ashr_i32 s18, s15, 31
	s_add_u32 s26, s20, s15
	s_addc_u32 s27, s21, s18
	v_cndmask_b32_e32 v3, s13, v2, vcc_lo
	v_ashrrev_i32_e32 v2, 31, v1
	s_lshl_b32 s2, s14, 4
	s_delay_alu instid0(SALU_CYCLE_1) | instskip(NEXT) | instid1(VALU_DEP_2)
	s_ashr_i32 s3, s2, 31
	v_ashrrev_i32_e32 v4, 31, v3
	s_delay_alu instid0(VALU_DEP_2) | instskip(SKIP_1) | instid1(SALU_CYCLE_1)
	v_lshlrev_b64 v[1:2], 2, v[1:2]
	s_lshl_b64 s[2:3], s[2:3], 2
	s_add_u32 s2, s16, s2
	s_delay_alu instid0(VALU_DEP_2) | instskip(SKIP_1) | instid1(VALU_DEP_2)
	v_lshlrev_b64 v[3:4], 2, v[3:4]
	s_addc_u32 s3, s25, s3
	v_add_co_u32 v1, vcc_lo, s16, v1
	v_add_co_ci_u32_e32 v2, vcc_lo, s25, v2, vcc_lo
	s_delay_alu instid0(VALU_DEP_3) | instskip(NEXT) | instid1(VALU_DEP_4)
	v_add_co_u32 v3, vcc_lo, s16, v3
	v_add_co_ci_u32_e32 v4, vcc_lo, s25, v4, vcc_lo
	s_clause 0x1
	global_load_b32 v5, v[1:2], off
	global_load_b32 v7, v[3:4], off
	s_or_b32 s4, s12, 32
	v_lshlrev_b32_e32 v1, 4, v0
	s_ashr_i32 s5, s4, 4
	s_cmp_lt_i32 s4, s24
	v_cmp_gt_u32_e32 vcc_lo, 13, v68
	s_cselect_b32 s4, s5, s13
	v_and_b32_e32 v1, 0xf0, v1
	s_ashr_i32 s5, s4, 31
	s_delay_alu instid0(SALU_CYCLE_1) | instskip(NEXT) | instid1(SALU_CYCLE_1)
	s_lshl_b64 s[4:5], s[4:5], 2
	s_add_u32 s4, s16, s4
	s_addc_u32 s5, s25, s5
	s_or_b32 s6, s12, 64
	v_add_co_u32 v1, s26, s26, v1
	s_ashr_i32 s7, s6, 4
	s_cmp_lt_i32 s6, s24
	v_add_co_ci_u32_e64 v2, null, s27, 0, s26
	s_cselect_b32 s6, s7, s13
	s_delay_alu instid0(SALU_CYCLE_1) | instskip(NEXT) | instid1(SALU_CYCLE_1)
	s_ashr_i32 s7, s6, 31
	s_lshl_b64 s[6:7], s[6:7], 2
	s_delay_alu instid0(SALU_CYCLE_1) | instskip(SKIP_2) | instid1(SALU_CYCLE_1)
	s_add_u32 s6, s16, s6
	s_addc_u32 s7, s25, s7
	s_or_b32 s8, s12, 0x60
	s_ashr_i32 s9, s8, 4
	s_cmp_lt_i32 s8, s24
	s_cselect_b32 s8, s9, s13
	s_delay_alu instid0(SALU_CYCLE_1) | instskip(NEXT) | instid1(SALU_CYCLE_1)
	s_ashr_i32 s9, s8, 31
	s_lshl_b64 s[8:9], s[8:9], 2
	s_delay_alu instid0(SALU_CYCLE_1) | instskip(SKIP_2) | instid1(SALU_CYCLE_1)
	s_add_u32 s8, s16, s8
	s_addc_u32 s9, s25, s9
	s_or_b32 s10, s12, 0x80
	s_ashr_i32 s11, s10, 4
	s_cmp_lt_i32 s10, s24
	;; [unrolled: 10-line block ×3, first 2 shown]
	s_cselect_b32 s20, s21, s13
	s_delay_alu instid0(SALU_CYCLE_1) | instskip(NEXT) | instid1(SALU_CYCLE_1)
	s_ashr_i32 s21, s20, 31
	s_lshl_b64 s[20:21], s[20:21], 2
	s_delay_alu instid0(SALU_CYCLE_1)
	s_add_u32 s20, s16, s20
	s_addc_u32 s21, s25, s21
	s_clause 0x5
	s_load_b32 s26, s[2:3], 0x0
	s_load_b32 s27, s[4:5], 0x0
	s_load_b32 s28, s[6:7], 0x0
	s_load_b32 s29, s[8:9], 0x0
	s_load_b32 s30, s[10:11], 0x0
	s_load_b32 s35, s[20:21], 0x0
	s_or_b32 s2, s12, 0xc0
	s_mov_b32 s4, 0
	s_ashr_i32 s3, s2, 4
	s_cmp_lt_i32 s2, s24
	s_mov_b32 s11, s4
	s_cselect_b32 s2, s3, s13
	s_mov_b32 s5, s4
	s_ashr_i32 s3, s2, 31
	s_mov_b32 s6, s4
	s_lshl_b64 s[2:3], s[2:3], 2
	s_mov_b32 s7, s4
	s_add_u32 s2, s16, s2
	s_addc_u32 s3, s25, s3
	s_or_b32 s20, s12, 0xe0
	s_mov_b32 s8, s4
	s_ashr_i32 s21, s20, 4
	s_cmp_lt_i32 s20, s24
	s_mov_b32 s9, s4
	s_cselect_b32 s20, s21, s13
	s_mov_b32 s10, s4
	s_ashr_i32 s21, s20, 31
	v_mov_b32_e32 v118, s11
	v_dual_mov_b32 v112, s5 :: v_dual_mov_b32 v117, s10
	v_dual_mov_b32 v116, s9 :: v_dual_mov_b32 v115, s8
	v_dual_mov_b32 v114, s7 :: v_dual_mov_b32 v113, s6
	v_mov_b32_e32 v111, s4
	s_lshl_b64 s[4:5], s[20:21], 2
	s_delay_alu instid0(SALU_CYCLE_1)
	s_add_u32 s4, s16, s4
	s_addc_u32 s5, s25, s5
	s_add_u32 s6, s22, s15
	s_addc_u32 s7, s23, s18
	s_waitcnt vmcnt(1)
	v_mad_i64_i32 v[3:4], null, v5, s17, v[1:2]
	s_waitcnt vmcnt(0)
	v_mad_i64_i32 v[5:6], null, v7, s17, v[1:2]
	v_add_nc_u32_e32 v1, -13, v68
	v_lshlrev_b32_e32 v2, 4, v68
	s_clause 0xf
	global_load_b128 v[17:20], v[3:4], off
	global_load_b128 v[21:24], v[3:4], off offset:256
	global_load_b128 v[25:28], v[5:6], off
	global_load_b128 v[29:32], v[5:6], off offset:256
	global_load_b128 v[57:60], v[3:4], off offset:512
	;; [unrolled: 1-line block ×13, first 2 shown]
	v_cndmask_b32_e32 v1, v1, v68, vcc_lo
	s_delay_alu instid0(VALU_DEP_1)
	v_lshlrev_b32_e32 v149, 6, v1
	v_lshl_or_b32 v1, v69, 8, v2
	ds_load_b128 v[119:122], v149
	ds_load_b128 v[123:126], v149 offset:1024
	ds_load_b128 v[127:130], v149 offset:2048
	;; [unrolled: 1-line block ×3, first 2 shown]
	s_clause 0x1
	s_load_b32 s2, s[2:3], 0x0
	s_load_b32 s3, s[4:5], 0x0
	v_add_co_u32 v135, s6, s6, v1
	s_delay_alu instid0(VALU_DEP_1) | instskip(SKIP_1) | instid1(VALU_DEP_1)
	v_add_co_ci_u32_e64 v136, null, s7, 0, s6
	s_waitcnt lgkmcnt(0)
	v_mad_i64_i32 v[1:2], null, s26, s17, v[135:136]
	v_mad_i64_i32 v[3:4], null, s27, s17, v[135:136]
	;; [unrolled: 1-line block ×6, first 2 shown]
	s_clause 0x9
	global_load_b128 v[49:52], v[1:2], off
	global_load_b128 v[53:56], v[1:2], off offset:16
	global_load_b128 v[41:44], v[3:4], off
	global_load_b128 v[45:48], v[3:4], off offset:16
	;; [unrolled: 2-line block ×5, first 2 shown]
	v_mad_i64_i32 v[145:146], null, s2, s17, v[135:136]
	v_mad_i64_i32 v[147:148], null, s3, s17, v[135:136]
	s_waitcnt vmcnt(24)
	v_wmma_f32_16x16x16_f16 v[135:142], v[17:24], v[119:126], v[111:118]
	s_waitcnt vmcnt(22)
	v_wmma_f32_16x16x16_f16 v[111:118], v[25:32], v[119:126], v[111:118]
	s_clause 0x3
	global_load_b128 v[17:20], v[143:144], off
	global_load_b128 v[21:24], v[143:144], off offset:16
	global_load_b128 v[25:28], v[145:146], off
	global_load_b128 v[29:32], v[145:146], off offset:16
	v_and_b32_e32 v119, 0xe0, v0
	s_waitcnt vmcnt(24)
	v_wmma_f32_16x16x16_f16 v[135:142], v[57:64], v[127:134], v[135:142]
	s_clause 0x1
	global_load_b128 v[57:60], v[147:148], off
	global_load_b128 v[61:64], v[147:148], off offset:16
	s_waitcnt vmcnt(24)
	v_wmma_f32_16x16x16_f16 v[111:118], v[71:78], v[127:134], v[111:118]
	ds_load_b128 v[71:74], v149 offset:4096
	ds_load_b128 v[75:78], v149 offset:5120
	v_add_nc_u32_e32 v128, s12, v119
	ds_load_b128 v[119:122], v149 offset:6144
	ds_load_b128 v[123:126], v149 offset:7168
	v_mbcnt_lo_u32_b32 v127, -1, 0
	s_waitcnt vmcnt(0) lgkmcnt(0)
	s_barrier
	v_or_b32_e32 v128, v128, v66
	buffer_gl0_inv
	v_xor_b32_e32 v129, 16, v127
	v_or_b32_e32 v130, 4, v128
	v_or_b32_e32 v131, 6, v128
	s_delay_alu instid0(VALU_DEP_3) | instskip(SKIP_4) | instid1(VALU_DEP_4)
	v_cmp_gt_i32_e32 vcc_lo, 32, v129
	v_or_b32_e32 v132, 8, v128
	v_or_b32_e32 v133, 10, v128
	v_cmp_gt_i32_e64 s3, s24, v130
	v_cmp_gt_i32_e64 s4, s24, v131
	;; [unrolled: 1-line block ×3, first 2 shown]
	v_wmma_f32_16x16x16_f16 v[135:142], v[79:86], v[71:78], v[135:142]
	v_wmma_f32_16x16x16_f16 v[111:118], v[87:94], v[71:78], v[111:118]
	v_or_b32_e32 v79, 12, v128
	v_or_b32_e32 v80, 14, v128
	v_cmp_gt_i32_e64 s6, s24, v133
	v_wmma_f32_16x16x16_f16 v[135:142], v[95:102], v[119:126], v[135:142]
	v_wmma_f32_16x16x16_f16 v[111:118], v[103:110], v[119:126], v[111:118]
	v_cndmask_b32_e32 v127, v127, v129, vcc_lo
	v_or_b32_e32 v129, 2, v128
	v_cmp_gt_i32_e32 vcc_lo, s24, v128
	v_mul_f32_e32 v88, s19, v135
	v_dual_mul_f32 v92, s19, v115 :: v_dual_mul_f32 v87, s19, v136
	s_delay_alu instid0(VALU_DEP_4)
	v_cmp_gt_i32_e64 s2, s24, v129
	v_mul_f32_e32 v78, s19, v138
	v_mul_f32_e32 v86, s19, v137
	v_cndmask_b32_e32 v88, 0xff7fffff, v88, vcc_lo
	v_mul_f32_e32 v76, s19, v140
	v_cndmask_b32_e64 v87, 0xff7fffff, v87, s2
	v_dual_mul_f32 v77, s19, v139 :: v_dual_mul_f32 v94, s19, v113
	v_cndmask_b32_e64 v86, 0xff7fffff, v86, s3
	v_cndmask_b32_e64 v78, 0xff7fffff, v78, s4
	s_delay_alu instid0(VALU_DEP_4)
	v_max3_f32 v87, v88, 0xff7fffff, v87
	v_or_b32_e32 v81, 16, v128
	v_or_b32_e32 v82, 18, v128
	v_dual_mul_f32 v74, s19, v142 :: v_dual_mul_f32 v75, s19, v141
	v_mul_f32_e32 v96, s19, v111
	v_cndmask_b32_e64 v77, 0xff7fffff, v77, s5
	v_cndmask_b32_e64 v76, 0xff7fffff, v76, s6
	v_max3_f32 v78, v87, v86, v78
	v_cmp_gt_i32_e64 s7, s24, v79
	v_cmp_gt_i32_e64 s8, s24, v80
	v_or_b32_e32 v83, 20, v128
	v_or_b32_e32 v84, 22, v128
	v_mul_f32_e32 v95, s19, v112
	v_cndmask_b32_e64 v75, 0xff7fffff, v75, s7
	v_cndmask_b32_e64 v74, 0xff7fffff, v74, s8
	v_max3_f32 v76, v78, v77, v76
	v_cmp_gt_i32_e64 s9, s24, v81
	v_cmp_gt_i32_e64 s10, s24, v82
	v_or_b32_e32 v85, 24, v128
	v_or_b32_e32 v71, 26, v128
	;; [unrolled: 8-line block ×3, first 2 shown]
	v_mul_f32_e32 v91, s19, v116
	v_cndmask_b32_e64 v75, 0xff7fffff, v94, s11
	v_cndmask_b32_e64 v76, 0xff7fffff, v93, s12
	v_max3_f32 v74, v74, v77, v78
	v_cmp_gt_i32_e64 s13, s24, v85
	v_cmp_gt_i32_e64 s15, s24, v71
	v_dual_mul_f32 v89, s19, v118 :: v_dual_mul_f32 v90, s19, v117
	s_delay_alu instid0(VALU_DEP_4) | instskip(NEXT) | instid1(VALU_DEP_4)
	v_max3_f32 v74, v74, v75, v76
	v_cndmask_b32_e64 v77, 0xff7fffff, v92, s13
	s_delay_alu instid0(VALU_DEP_4) | instskip(SKIP_2) | instid1(VALU_DEP_3)
	v_cndmask_b32_e64 v71, 0xff7fffff, v91, s15
	v_cmp_gt_i32_e64 s16, s24, v72
	v_cmp_gt_i32_e64 s17, s24, v73
	v_max3_f32 v71, v74, v77, v71
	s_delay_alu instid0(VALU_DEP_3) | instskip(NEXT) | instid1(VALU_DEP_3)
	v_cndmask_b32_e64 v72, 0xff7fffff, v90, s16
	v_cndmask_b32_e64 v73, 0xff7fffff, v89, s17
	v_lshlrev_b32_e32 v74, 2, v127
	s_delay_alu instid0(VALU_DEP_2) | instskip(SKIP_3) | instid1(VALU_DEP_1)
	v_max3_f32 v71, v71, v72, v73
	ds_bpermute_b32 v72, v74, v71
	s_waitcnt lgkmcnt(0)
	v_max_f32_e32 v72, v72, v72
	v_max_f32_e32 v71, v71, v72
	s_delay_alu instid0(VALU_DEP_1) | instskip(SKIP_4) | instid1(VALU_DEP_4)
	v_fma_f32 v72, s19, v135, -v71
	v_fma_f32 v73, s19, v136, -v71
	;; [unrolled: 1-line block ×5, first 2 shown]
	v_dual_mul_f32 v72, 0x3fb8aa3b, v72 :: v_dual_mul_f32 v73, 0x3fb8aa3b, v73
	v_fma_f32 v80, s19, v141, -v71
	s_delay_alu instid0(VALU_DEP_3) | instskip(NEXT) | instid1(VALU_DEP_3)
	v_dual_mul_f32 v76, 0x3fb8aa3b, v76 :: v_dual_mul_f32 v77, 0x3fb8aa3b, v77
	v_exp_f32_e32 v72, v72
	s_delay_alu instid0(VALU_DEP_3) | instskip(NEXT) | instid1(VALU_DEP_2)
	v_exp_f32_e32 v73, v73
	v_mul_f32_e32 v82, 0x3fb8aa3b, v80
	s_delay_alu instid0(VALU_DEP_2) | instskip(SKIP_1) | instid1(VALU_DEP_1)
	v_exp_f32_e32 v76, v76
	v_exp_f32_e32 v77, v77
	;; [unrolled: 1-line block ×3, first 2 shown]
	v_cndmask_b32_e32 v79, 0, v72, vcc_lo
	v_fma_f32 v72, s19, v140, -v71
	v_mul_f32_e32 v75, 0x3fb8aa3b, v75
	v_cndmask_b32_e64 v78, 0, v73, s2
	s_delay_alu instid0(TRANS32_DEP_3) | instskip(NEXT) | instid1(VALU_DEP_4)
	v_cndmask_b32_e64 v80, 0, v76, s4
	v_dual_add_f32 v73, 0, v79 :: v_dual_mul_f32 v72, 0x3fb8aa3b, v72
	s_delay_alu instid0(VALU_DEP_4) | instskip(NEXT) | instid1(TRANS32_DEP_3)
	v_exp_f32_e32 v75, v75
	v_cndmask_b32_e64 v83, 0, v77, s5
	s_delay_alu instid0(TRANS32_DEP_2) | instskip(NEXT) | instid1(VALU_DEP_3)
	v_cndmask_b32_e64 v85, 0, v84, s7
	v_add_f32_e32 v73, v73, v78
	v_exp_f32_e32 v72, v72
	v_cmp_gt_u32_e64 s2, 16, v70
	s_waitcnt_depctr 0xfff
	v_cndmask_b32_e64 v81, 0, v75, s3
	v_cndmask_b32_e64 v82, 0, v72, s6
	s_delay_alu instid0(VALU_DEP_2) | instskip(NEXT) | instid1(VALU_DEP_1)
	v_add_f32_e32 v73, v73, v81
	v_add_f32_e32 v73, v73, v80
	s_delay_alu instid0(VALU_DEP_1) | instskip(NEXT) | instid1(VALU_DEP_1)
	v_add_f32_e32 v72, v73, v83
	v_add_f32_e32 v72, v72, v82
	s_delay_alu instid0(VALU_DEP_1)
	v_add_f32_e32 v72, v72, v85
	v_fma_f32 v76, s19, v111, -v71
	v_fma_f32 v75, s19, v142, -v71
	;; [unrolled: 1-line block ×5, first 2 shown]
	v_mul_f32_e32 v76, 0x3fb8aa3b, v76
	s_delay_alu instid0(VALU_DEP_4) | instskip(NEXT) | instid1(VALU_DEP_2)
	v_mul_f32_e32 v86, 0x3fb8aa3b, v86
	v_exp_f32_e32 v76, v76
	s_delay_alu instid0(VALU_DEP_1)
	v_exp_f32_e32 v88, v86
	s_waitcnt_depctr 0xfff
	v_cndmask_b32_e64 v87, 0, v76, s9
	v_fma_f32 v76, s19, v116, -v71
	v_mul_f32_e32 v75, 0x3fb8aa3b, v75
	v_cndmask_b32_e64 v88, 0, v88, s12
	s_delay_alu instid0(VALU_DEP_3) | instskip(NEXT) | instid1(VALU_DEP_3)
	v_dual_mul_f32 v73, 0x3fb8aa3b, v73 :: v_dual_mul_f32 v76, 0x3fb8aa3b, v76
	v_exp_f32_e32 v75, v75
	s_delay_alu instid0(VALU_DEP_1) | instskip(NEXT) | instid1(VALU_DEP_1)
	v_exp_f32_e32 v73, v73
	v_exp_f32_e32 v76, v76
	s_delay_alu instid0(TRANS32_DEP_3)
	v_cndmask_b32_e64 v84, 0, v75, s8
	v_fma_f32 v75, s19, v115, -v71
	s_waitcnt_depctr 0xfff
	v_cndmask_b32_e64 v89, 0, v73, s11
	v_cndmask_b32_e64 v90, 0, v76, s15
	v_add_f32_e32 v72, v72, v84
	s_delay_alu instid0(VALU_DEP_1) | instskip(NEXT) | instid1(VALU_DEP_1)
	v_dual_add_f32 v72, v72, v87 :: v_dual_mul_f32 v77, 0x3fb8aa3b, v77
	v_exp_f32_e32 v77, v77
	s_waitcnt_depctr 0xfff
	v_cndmask_b32_e64 v86, 0, v77, s10
	v_fma_f32 v77, s19, v117, -v71
	s_delay_alu instid0(VALU_DEP_2) | instskip(NEXT) | instid1(VALU_DEP_1)
	v_dual_add_f32 v72, v72, v86 :: v_dual_mul_f32 v75, 0x3fb8aa3b, v75
	v_add_f32_e32 v72, v72, v89
	s_delay_alu instid0(VALU_DEP_2) | instskip(NEXT) | instid1(VALU_DEP_1)
	v_exp_f32_e32 v75, v75
	v_add_f32_e32 v72, v72, v88
	s_waitcnt_depctr 0xfff
	v_cndmask_b32_e64 v91, 0, v75, s13
	v_mul_f32_e32 v73, 0x3fb8aa3b, v77
	v_fma_f32 v77, s19, v118, -v71
	s_delay_alu instid0(VALU_DEP_3) | instskip(NEXT) | instid1(VALU_DEP_3)
	v_add_f32_e32 v72, v72, v91
	v_exp_f32_e32 v73, v73
	s_delay_alu instid0(VALU_DEP_1) | instskip(NEXT) | instid1(VALU_DEP_1)
	v_dual_mul_f32 v75, 0x3fb8aa3b, v77 :: v_dual_add_f32 v72, v72, v90
	v_exp_f32_e32 v75, v75
	s_waitcnt_depctr 0xfff
	v_cndmask_b32_e64 v93, 0, v73, s16
	s_delay_alu instid0(VALU_DEP_1) | instskip(SKIP_1) | instid1(VALU_DEP_1)
	v_add_f32_e32 v72, v72, v93
	v_cndmask_b32_e64 v92, 0, v75, s17
	v_add_f32_e32 v72, v72, v92
	ds_bpermute_b32 v73, v74, v72
	s_and_saveexec_b32 s3, s2
	s_cbranch_execz .LBB1002_12
; %bb.11:
	v_mul_u32_u24_e32 v70, 0x44, v69
	s_waitcnt lgkmcnt(0)
	v_add_f32_e32 v72, v72, v73
	s_delay_alu instid0(VALU_DEP_2) | instskip(NEXT) | instid1(VALU_DEP_1)
	v_lshl_add_u32 v70, v68, 2, v70
	v_add_nc_u32_e32 v70, 0x4000, v70
	ds_store_2addr_b32 v70, v71, v72 offset1:136
.LBB1002_12:
	s_or_b32 exec_lo, exec_lo, s3
	v_lshlrev_b32_e32 v70, 2, v68
	s_load_b32 s35, s[0:1], 0x94
	s_waitcnt lgkmcnt(0)
	s_barrier
	buffer_gl0_inv
	v_add_nc_u32_e32 v98, 0x4000, v70
	v_cmp_eq_u32_e32 vcc_lo, 1, v69
	v_cmp_eq_u32_e64 s3, 2, v69
	v_cmp_eq_u32_e64 s4, 3, v69
	v_cmp_eq_u32_e64 s5, 4, v69
	ds_load_2addr_b32 v[70:71], v98 offset1:17
	ds_load_2addr_b32 v[72:73], v98 offset0:34 offset1:51
	ds_load_2addr_b32 v[74:75], v98 offset0:68 offset1:85
	;; [unrolled: 1-line block ×3, first 2 shown]
	v_cmp_eq_u32_e64 s6, 5, v69
	v_cmp_eq_u32_e64 s7, 7, v69
	s_waitcnt lgkmcnt(3)
	v_max3_f32 v76, v70, 0xff7fffff, v71
	s_waitcnt lgkmcnt(2)
	s_delay_alu instid0(VALU_DEP_1) | instskip(SKIP_1) | instid1(VALU_DEP_1)
	v_max3_f32 v76, v76, v72, v73
	s_waitcnt lgkmcnt(1)
	v_max3_f32 v76, v76, v74, v75
	s_waitcnt lgkmcnt(0)
	s_delay_alu instid0(VALU_DEP_1) | instskip(NEXT) | instid1(VALU_DEP_1)
	v_max3_f32 v76, v76, v94, v95
	v_sub_f32_e32 v77, v71, v76
	ds_load_2addr_b32 v[96:97], v98 offset0:136 offset1:153
	v_sub_f32_e32 v74, v74, v76
	v_sub_f32_e32 v70, v70, v76
	;; [unrolled: 1-line block ×3, first 2 shown]
	v_dual_sub_f32 v72, v72, v76 :: v_dual_mul_f32 v77, 0x3fb8aa3b, v77
	s_delay_alu instid0(VALU_DEP_4) | instskip(NEXT) | instid1(VALU_DEP_4)
	v_mul_f32_e32 v103, 0x3fb8aa3b, v74
	v_mul_f32_e32 v99, 0x3fb8aa3b, v70
	ds_load_2addr_b32 v[70:71], v98 offset0:170 offset1:187
	v_dual_mul_f32 v101, 0x3fb8aa3b, v72 :: v_dual_mul_f32 v94, 0x3fb8aa3b, v94
	v_exp_f32_e32 v102, v77
	v_exp_f32_e32 v99, v99
	s_delay_alu instid0(VALU_DEP_1) | instskip(NEXT) | instid1(VALU_DEP_1)
	v_exp_f32_e32 v101, v101
	v_exp_f32_e32 v94, v94
	s_waitcnt lgkmcnt(1)
	s_delay_alu instid0(TRANS32_DEP_3)
	v_fma_f32 v77, v99, v96, 0
	v_sub_f32_e32 v100, v73, v76
	ds_load_2addr_b32 v[72:73], v98 offset0:204 offset1:221
	v_fmac_f32_e32 v77, v102, v97
	v_exp_f32_e32 v97, v103
	s_waitcnt lgkmcnt(1)
	s_delay_alu instid0(VALU_DEP_1)
	v_dual_fmac_f32 v77, v101, v70 :: v_dual_sub_f32 v96, v75, v76
	ds_load_2addr_b32 v[74:75], v98 offset0:238 offset1:255
	v_sub_f32_e32 v70, v95, v76
	s_waitcnt lgkmcnt(0)
	s_barrier
	v_mul_f32_e32 v96, 0x3fb8aa3b, v96
	buffer_gl0_inv
	v_exp_f32_e32 v95, v96
	v_mul_f32_e32 v100, 0x3fb8aa3b, v100
	s_delay_alu instid0(VALU_DEP_1) | instskip(SKIP_3) | instid1(VALU_DEP_2)
	v_exp_f32_e32 v100, v100
	s_waitcnt_depctr 0xfff
	v_dual_fmac_f32 v77, v100, v71 :: v_dual_mul_f32 v70, 0x3fb8aa3b, v70
	v_cndmask_b32_e32 v71, v99, v102, vcc_lo
	v_fmac_f32_e32 v77, v97, v72
	s_delay_alu instid0(VALU_DEP_3) | instskip(NEXT) | instid1(VALU_DEP_1)
	v_exp_f32_e32 v96, v70
	v_fmac_f32_e32 v77, v95, v73
	s_delay_alu instid0(VALU_DEP_1) | instskip(SKIP_2) | instid1(VALU_DEP_1)
	v_fmac_f32_e32 v77, v94, v74
	s_waitcnt_depctr 0xfff
	v_fmac_f32_e32 v77, v96, v75
	v_add_f32_e32 v74, 0x358637bd, v77
	s_delay_alu instid0(VALU_DEP_1) | instskip(SKIP_1) | instid1(VALU_DEP_2)
	v_div_scale_f32 v98, null, v74, v74, 1.0
	v_div_scale_f32 v99, vcc_lo, 1.0, v74, 1.0
	v_rcp_f32_e32 v103, v98
	s_waitcnt_depctr 0xfff
	v_fma_f32 v70, -v98, v103, 1.0
	s_delay_alu instid0(VALU_DEP_1) | instskip(SKIP_2) | instid1(VALU_DEP_2)
	v_fmac_f32_e32 v103, v70, v103
	v_cndmask_b32_e64 v70, v71, v101, s3
	v_cmp_eq_u32_e64 s3, 6, v69
	v_cndmask_b32_e64 v71, v70, v100, s4
	s_delay_alu instid0(VALU_DEP_4) | instskip(NEXT) | instid1(VALU_DEP_2)
	v_dual_mul_f32 v101, v99, v103 :: v_dual_lshlrev_b32 v70, 2, v66
	v_cndmask_b32_e64 v71, v71, v97, s5
	s_delay_alu instid0(VALU_DEP_2) | instskip(NEXT) | instid1(VALU_DEP_3)
	v_or_b32_e32 v72, 1, v70
	v_fma_f32 v100, -v98, v101, v99
	v_cmp_eq_u32_e64 s4, 1, v70
	v_cmp_eq_u32_e64 s5, 2, v70
	v_cndmask_b32_e64 v95, v71, v95, s6
	v_or_b32_e32 v71, 3, v70
	v_fmac_f32_e32 v101, v100, v103
	v_cmp_eq_u32_e64 s9, 1, v72
	v_cmp_eq_u32_e64 s12, 2, v72
	v_cndmask_b32_e64 v94, v95, v94, s3
	v_cmp_eq_u32_e64 s11, 1, v71
	v_fma_f32 v97, -v98, v101, v99
	v_cmp_eq_u32_e64 s16, 2, v71
	v_cmp_eq_u32_e64 s13, 3, v72
	v_cndmask_b32_e64 v94, v94, v96, s7
	v_cmp_eq_u32_e64 s18, 3, v71
	v_div_fmas_f32 v95, v97, v103, v101
	v_cmp_eq_u32_e32 vcc_lo, 3, v70
	v_cmp_eq_u32_e64 s3, 4, v70
	v_cmp_eq_u32_e64 s19, 4, v72
	;; [unrolled: 1-line block ×3, first 2 shown]
	v_div_fixup_f32 v95, v95, v74, 1.0
	v_lshlrev_b32_e32 v73, 6, v68
	v_cmp_eq_u32_e64 s6, 5, v70
	v_cmp_eq_u32_e64 s20, 5, v72
	v_cmp_eq_u32_e64 s24, 5, v71
	v_mul_f32_e32 v102, v94, v95
	v_lshl_or_b32 v75, v69, 11, v73
	v_or_b32_e32 v69, 2, v70
	v_cmp_eq_u32_e64 s25, 6, v72
	v_cmp_eq_u32_e64 s27, 6, v71
	v_fma_mixlo_f16 v94, v102, v79, 0
	v_fma_mixlo_f16 v95, v102, v81, 0
	;; [unrolled: 1-line block ×8, first 2 shown]
	v_lshl_or_b32 v74, v66, 4, v75
	v_fma_mixhi_f16 v94, v102, v78, 0
	v_fma_mixhi_f16 v95, v102, v80, 0
	;; [unrolled: 1-line block ×8, first 2 shown]
	ds_store_b128 v74, v[94:97]
	ds_store_b128 v74, v[98:101] offset:1024
	s_waitcnt lgkmcnt(0)
	s_barrier
	buffer_gl0_inv
	ds_load_b128 v[78:81], v75
	ds_load_b128 v[82:85], v75 offset:16
	ds_load_b128 v[86:89], v75 offset:1024
	;; [unrolled: 1-line block ×3, first 2 shown]
	v_cmp_eq_u32_e64 s10, 1, v69
	v_cmp_eq_u32_e64 s15, 2, v69
	v_cmp_eq_u32_e64 s17, 3, v69
	v_cmp_eq_u32_e64 s21, 4, v69
	v_cmp_eq_u32_e64 s23, 5, v69
	v_cmp_eq_u32_e64 s7, 6, v70
	v_cmp_eq_u32_e64 s26, 6, v69
	v_cmp_eq_u32_e64 s29, 7, v71
	v_cmp_eq_u32_e64 s30, 7, v72
	v_cmp_eq_u32_e64 s8, 7, v70
	v_cmp_eq_u32_e64 s28, 7, v69
	s_waitcnt lgkmcnt(3)
	v_lshrrev_b32_e32 v94, 16, v78
	s_waitcnt lgkmcnt(2)
	v_lshrrev_b32_e32 v98, 16, v82
	;; [unrolled: 2-line block ×4, first 2 shown]
	v_lshrrev_b32_e32 v95, 16, v79
	v_cndmask_b32_e64 v110, v78, v94, s4
	v_cndmask_b32_e64 v111, v82, v98, s4
	;; [unrolled: 1-line block ×8, first 2 shown]
	v_lshrrev_b32_e32 v99, 16, v83
	v_cndmask_b32_e64 v94, v86, v102, s4
	v_cndmask_b32_e64 v98, v90, v106, s4
	;; [unrolled: 1-line block ×15, first 2 shown]
	v_lshrrev_b32_e32 v103, 16, v87
	v_lshrrev_b32_e32 v107, 16, v91
	v_cndmask_b32_e64 v113, v115, v83, s15
	v_cndmask_b32_e64 v82, v94, v87, s5
	;; [unrolled: 1-line block ×7, first 2 shown]
	v_cndmask_b32_e32 v90, v102, v95, vcc_lo
	v_cndmask_b32_e32 v102, v106, v99, vcc_lo
	v_cndmask_b32_e64 v106, v110, v95, s13
	v_cndmask_b32_e64 v110, v111, v99, s13
	v_cndmask_b32_e64 v78, v78, v95, s18
	v_cndmask_b32_e64 v79, v79, v99, s18
	v_lshrrev_b32_e32 v96, 16, v80
	v_lshrrev_b32_e32 v100, 16, v84
	v_cndmask_b32_e64 v111, v112, v95, s17
	v_cndmask_b32_e64 v112, v113, v99, s17
	v_cndmask_b32_e32 v82, v82, v103, vcc_lo
	v_cndmask_b32_e32 v83, v83, v107, vcc_lo
	v_cndmask_b32_e64 v94, v94, v103, s13
	v_cndmask_b32_e64 v90, v90, v80, s3
	;; [unrolled: 1-line block ×7, first 2 shown]
	v_lshrrev_b32_e32 v104, 16, v88
	v_cndmask_b32_e64 v106, v111, v80, s21
	v_cndmask_b32_e64 v110, v112, v84, s21
	;; [unrolled: 1-line block ×11, first 2 shown]
	v_lshrrev_b32_e32 v97, 16, v81
	v_lshrrev_b32_e32 v101, 16, v85
	v_cndmask_b32_e64 v99, v106, v96, s23
	v_cndmask_b32_e64 v102, v110, v100, s23
	;; [unrolled: 1-line block ×7, first 2 shown]
	v_lshrrev_b32_e32 v105, 16, v89
	v_cndmask_b32_e64 v80, v80, v104, s6
	v_cndmask_b32_e64 v84, v84, v81, s7
	;; [unrolled: 1-line block ×16, first 2 shown]
	v_perm_b32 v81, v79, v78, 0x5040100
	v_perm_b32 v79, v95, v85, 0x5040100
	v_cndmask_b32_e64 v78, v119, v91, s15
	v_cndmask_b32_e64 v85, v117, v91, s12
	;; [unrolled: 1-line block ×3, first 2 shown]
	v_perm_b32 v80, v94, v90, 0x5040100
	v_cndmask_b32_e64 v90, v98, v103, s17
	v_cndmask_b32_e64 v86, v86, v103, s18
	;; [unrolled: 1-line block ×5, first 2 shown]
	v_lshrrev_b32_e32 v108, 16, v92
	v_cndmask_b32_e64 v90, v90, v88, s21
	v_cndmask_b32_e64 v86, v86, v88, s22
	;; [unrolled: 1-line block ×11, first 2 shown]
	v_lshrrev_b32_e32 v109, 16, v93
	v_cndmask_b32_e64 v82, v82, v93, s7
	v_cndmask_b32_e64 v88, v88, v89, s26
	;; [unrolled: 1-line block ×12, first 2 shown]
	v_perm_b32 v78, v84, v83, 0x5040100
	v_perm_b32 v85, v87, v86, 0x5040100
	;; [unrolled: 1-line block ×5, first 2 shown]
	s_mul_i32 s8, s33, 13
	s_mov_b32 s3, exec_lo
	ds_store_b128 v74, v[78:81]
	ds_store_b128 v74, v[82:85] offset:1024
	v_cmpx_gt_u32_e32 13, v0
	s_cbranch_execz .LBB1002_14
; %bb.13:
	s_mul_i32 s4, s8, s34
	s_delay_alu instid0(SALU_CYCLE_1) | instskip(SKIP_1) | instid1(VALU_DEP_1)
	v_add3_u32 v68, s4, s31, v68
	s_load_b128 s[4:7], s[0:1], 0x58
	v_mad_u64_u32 v[78:79], null, v68, s35, s[14:15]
	s_delay_alu instid0(VALU_DEP_1) | instskip(NEXT) | instid1(VALU_DEP_1)
	v_ashrrev_i32_e32 v79, 31, v78
	v_lshlrev_b64 v[78:79], 2, v[78:79]
	s_waitcnt lgkmcnt(0)
	s_delay_alu instid0(VALU_DEP_1) | instskip(NEXT) | instid1(VALU_DEP_2)
	v_add_co_u32 v80, vcc_lo, s6, v78
	v_add_co_ci_u32_e32 v81, vcc_lo, s7, v79, vcc_lo
	v_add_co_u32 v78, vcc_lo, s4, v78
	v_add_co_ci_u32_e32 v79, vcc_lo, s5, v79, vcc_lo
	global_store_b32 v[80:81], v76, off
	global_store_b32 v[78:79], v77, off
.LBB1002_14:
	s_or_b32 exec_lo, exec_lo, s3
	s_waitcnt lgkmcnt(0)
	s_waitcnt_vscnt null, 0x0
	s_barrier
	buffer_gl0_inv
	ds_load_b128 v[84:87], v73
	ds_load_b128 v[88:91], v73 offset:16
	ds_load_b128 v[96:99], v73 offset:2064
	;; [unrolled: 1-line block ×5, first 2 shown]
	v_cmp_eq_u32_e32 vcc_lo, 1, v70
	v_mov_b32_e32 v76, 0
	ds_load_b128 v[112:115], v73 offset:6160
	ds_load_b128 v[108:111], v73 offset:6144
	;; [unrolled: 1-line block ×4, first 2 shown]
	v_cmp_eq_u32_e64 s4, 1, v69
	v_cmp_eq_u32_e64 s3, 1, v72
	;; [unrolled: 1-line block ×3, first 2 shown]
	v_mov_b32_e32 v77, v76
	v_mov_b32_e32 v78, v76
	;; [unrolled: 1-line block ×7, first 2 shown]
	v_cmp_eq_u32_e64 s6, 3, v72
	v_cmp_eq_u32_e64 s7, 7, v72
	s_waitcnt lgkmcnt(8)
	s_delay_alu instid0(VALU_DEP_3)
	v_wmma_f32_16x16x16_f16 v[76:83], v[49:56], v[84:91], v[76:83]
	ds_load_b128 v[53:56], v73 offset:10256
	ds_load_b128 v[49:52], v73 offset:10240
	s_waitcnt lgkmcnt(8)
	v_wmma_f32_16x16x16_f16 v[76:83], v[41:48], v[92:99], v[76:83]
	ds_load_b128 v[45:48], v73 offset:12304
	ds_load_b128 v[41:44], v73 offset:12288
	s_waitcnt lgkmcnt(8)
	;; [unrolled: 4-line block ×3, first 2 shown]
	s_barrier
	buffer_gl0_inv
	v_wmma_f32_16x16x16_f16 v[76:83], v[1:8], v[108:115], v[76:83]
	s_delay_alu instid0(VALU_DEP_1) | instskip(NEXT) | instid1(VALU_DEP_1)
	v_wmma_f32_16x16x16_f16 v[76:83], v[9:16], v[116:123], v[76:83]
	v_wmma_f32_16x16x16_f16 v[76:83], v[17:24], v[49:56], v[76:83]
	s_delay_alu instid0(VALU_DEP_1) | instskip(NEXT) | instid1(VALU_DEP_1)
	v_wmma_f32_16x16x16_f16 v[76:83], v[25:32], v[41:48], v[76:83]
	v_wmma_f32_16x16x16_f16 v[76:83], v[57:64], v[33:40], v[76:83]
	s_delay_alu instid0(VALU_DEP_1) | instskip(NEXT) | instid1(VALU_DEP_2)
	v_cvt_f16_f32_e32 v1, v76
	v_cvt_f16_f32_e32 v2, v77
	s_delay_alu instid0(VALU_DEP_3) | instskip(NEXT) | instid1(VALU_DEP_4)
	v_cvt_f16_f32_e32 v3, v78
	v_cvt_f16_f32_e32 v4, v79
	;; [unrolled: 1-line block ×6, first 2 shown]
	v_pack_b32_f16 v1, v1, v2
	v_pack_b32_f16 v2, v3, v4
	;; [unrolled: 1-line block ×3, first 2 shown]
	s_delay_alu instid0(VALU_DEP_4)
	v_pack_b32_f16 v4, v7, v8
	ds_store_b128 v74, v[1:4]
	s_waitcnt lgkmcnt(0)
	s_barrier
	buffer_gl0_inv
	ds_load_b128 v[1:4], v75
	ds_load_b128 v[5:8], v75 offset:16
	s_waitcnt lgkmcnt(1)
	v_lshrrev_b32_e32 v9, 16, v1
	s_waitcnt lgkmcnt(0)
	v_lshrrev_b32_e32 v13, 16, v5
	v_lshrrev_b32_e32 v10, 16, v2
	;; [unrolled: 1-line block ×4, first 2 shown]
	v_cndmask_b32_e32 v17, v1, v9, vcc_lo
	v_cndmask_b32_e32 v18, v5, v13, vcc_lo
	v_cndmask_b32_e64 v21, v1, v9, s4
	v_cmp_eq_u32_e32 vcc_lo, 1, v71
	v_cndmask_b32_e64 v22, v5, v13, s4
	v_cmp_eq_u32_e64 s4, 2, v70
	v_cndmask_b32_e64 v19, v1, v9, s3
	v_cndmask_b32_e64 v20, v5, v13, s3
	v_cndmask_b32_e32 v1, v1, v9, vcc_lo
	v_cmp_eq_u32_e64 s3, 2, v71
	v_cndmask_b32_e32 v5, v5, v13, vcc_lo
	v_cndmask_b32_e64 v9, v17, v2, s4
	v_cmp_eq_u32_e32 vcc_lo, 3, v70
	v_cndmask_b32_e64 v13, v18, v6, s4
	v_cmp_eq_u32_e64 s4, 2, v69
	v_cndmask_b32_e64 v17, v19, v2, s5
	v_cndmask_b32_e64 v18, v20, v6, s5
	v_cmp_eq_u32_e64 s5, 3, v69
	v_cndmask_b32_e64 v1, v1, v2, s3
	v_cndmask_b32_e64 v19, v21, v2, s4
	;; [unrolled: 1-line block ×4, first 2 shown]
	v_cndmask_b32_e32 v5, v9, v10, vcc_lo
	v_cndmask_b32_e32 v6, v13, v14, vcc_lo
	v_cmp_eq_u32_e32 vcc_lo, 3, v71
	v_cndmask_b32_e64 v9, v17, v10, s6
	v_cndmask_b32_e64 v13, v18, v14, s6
	v_cndmask_b32_e64 v18, v20, v14, s5
	v_cmp_eq_u32_e64 s4, 4, v70
	v_cndmask_b32_e32 v1, v1, v10, vcc_lo
	v_cndmask_b32_e32 v2, v2, v14, vcc_lo
	v_cmp_eq_u32_e32 vcc_lo, 4, v72
	v_lshrrev_b32_e32 v15, 16, v7
	v_lshrrev_b32_e32 v16, 16, v8
	v_cndmask_b32_e64 v17, v19, v10, s5
	v_cmp_eq_u32_e64 s3, 4, v71
	v_cndmask_b32_e64 v5, v5, v3, s4
	v_cndmask_b32_e64 v6, v6, v7, s4
	v_cndmask_b32_e32 v9, v9, v3, vcc_lo
	v_cmp_eq_u32_e64 s4, 5, v72
	v_cndmask_b32_e32 v10, v13, v7, vcc_lo
	v_cmp_eq_u32_e32 vcc_lo, 4, v69
	v_cmp_eq_u32_e64 s5, 5, v70
	v_cndmask_b32_e64 v2, v2, v7, s3
	v_cndmask_b32_e64 v9, v9, v11, s4
	;; [unrolled: 1-line block ×3, first 2 shown]
	v_cndmask_b32_e32 v13, v17, v3, vcc_lo
	v_cmp_eq_u32_e64 s4, 5, v69
	v_cndmask_b32_e32 v14, v18, v7, vcc_lo
	v_cndmask_b32_e64 v1, v1, v3, s3
	v_cmp_eq_u32_e32 vcc_lo, 5, v71
	v_lshrrev_b32_e32 v12, 16, v4
	v_cndmask_b32_e64 v13, v13, v11, s4
	v_cndmask_b32_e64 v3, v14, v15, s4
	v_cmp_eq_u32_e64 s4, 6, v71
	v_cndmask_b32_e32 v1, v1, v11, vcc_lo
	v_cndmask_b32_e64 v5, v5, v11, s5
	v_cmp_eq_u32_e64 s6, 6, v70
	v_cndmask_b32_e64 v6, v6, v15, s5
	v_cmp_eq_u32_e64 s5, 6, v72
	v_cmp_eq_u32_e64 s3, 6, v69
	v_cndmask_b32_e64 v1, v1, v4, s4
	v_cndmask_b32_e32 v2, v2, v15, vcc_lo
	v_cmp_eq_u32_e32 vcc_lo, 7, v71
	v_cndmask_b32_e64 v5, v5, v4, s6
	v_cndmask_b32_e64 v9, v9, v4, s5
	;; [unrolled: 1-line block ×3, first 2 shown]
	v_cmp_eq_u32_e64 s6, 7, v70
	v_cndmask_b32_e32 v1, v1, v12, vcc_lo
	v_cndmask_b32_e64 v7, v13, v4, s3
	v_cndmask_b32_e64 v3, v3, v8, s3
	;; [unrolled: 1-line block ×3, first 2 shown]
	v_cmp_eq_u32_e64 s3, 7, v69
	v_cndmask_b32_e64 v4, v10, v8, s5
	v_cndmask_b32_e64 v5, v5, v12, s6
	;; [unrolled: 1-line block ×3, first 2 shown]
	v_cndmask_b32_e32 v2, v2, v16, vcc_lo
	v_cndmask_b32_e64 v7, v7, v12, s3
	v_cndmask_b32_e64 v3, v3, v16, s3
	;; [unrolled: 1-line block ×4, first 2 shown]
	v_perm_b32 v4, v2, v1, 0x5040100
	s_mov_b32 s3, exec_lo
	v_perm_b32 v3, v3, v7, 0x5040100
	v_perm_b32 v2, v8, v9, 0x5040100
	;; [unrolled: 1-line block ×3, first 2 shown]
	ds_store_b128 v74, v[1:4]
	s_waitcnt lgkmcnt(0)
	s_barrier
	buffer_gl0_inv
	v_cmpx_gt_u32_e32 32, v0
	s_cbranch_execz .LBB1002_2
; %bb.15:
	s_load_b64 s[4:5], s[0:1], 0x68
	v_lshlrev_b32_e32 v0, 10, v0
	v_lshlrev_b32_e32 v1, 4, v67
	s_lshl_b32 s0, s35, 7
	v_add_nc_u32_e32 v18, s31, v66
	s_mul_i32 s1, s0, s34
	s_delay_alu instid0(VALU_DEP_2) | instskip(SKIP_1) | instid1(VALU_DEP_2)
	v_and_or_b32 v0, 0x3800, v0, v1
	s_mul_i32 s6, s1, s8
	v_mul_lo_u32 v1, v18, s0
	s_ashr_i32 s7, s6, 31
	v_add_nc_u32_e32 v2, 2, v18
	v_lshl_or_b32 v19, v66, 6, v0
	s_lshl_b64 s[6:7], s[6:7], 1
	v_add_nc_u32_e32 v8, 4, v18
	v_add_nc_u32_e32 v15, 6, v18
	v_mul_lo_u32 v7, v2, s0
	ds_load_b128 v[3:6], v19
	v_ashrrev_i32_e32 v2, 31, v1
	v_mul_lo_u32 v11, v8, s0
	s_waitcnt lgkmcnt(0)
	s_add_u32 s1, s4, s6
	s_addc_u32 s3, s5, s7
	s_lshl_b32 s4, s14, 7
	v_lshlrev_b64 v[9:10], 1, v[1:2]
	s_ashr_i32 s5, s4, 31
	v_ashrrev_i32_e32 v8, 31, v7
	s_lshl_b64 s[4:5], s[4:5], 1
	v_ashrrev_i32_e32 v12, 31, v11
	s_add_u32 s1, s1, s4
	s_addc_u32 s3, s3, s5
	v_add_co_u32 v1, s1, s1, v65
	s_delay_alu instid0(VALU_DEP_1) | instskip(SKIP_1) | instid1(VALU_DEP_3)
	v_add_co_ci_u32_e64 v2, null, s3, 0, s1
	v_mul_lo_u32 v15, v15, s0
	v_add_co_u32 v13, vcc_lo, v1, v9
	s_delay_alu instid0(VALU_DEP_3)
	v_add_co_ci_u32_e32 v14, vcc_lo, v2, v10, vcc_lo
	v_lshlrev_b64 v[16:17], 1, v[7:8]
	ds_load_b128 v[7:10], v19 offset:128
	global_store_b128 v[13:14], v[3:6], off
	v_add_nc_u32_e32 v5, 8, v18
	v_lshlrev_b64 v[3:4], 1, v[11:12]
	v_add_co_u32 v23, vcc_lo, v1, v16
	v_ashrrev_i32_e32 v16, 31, v15
	s_delay_alu instid0(VALU_DEP_4) | instskip(SKIP_3) | instid1(VALU_DEP_3)
	v_mul_lo_u32 v25, v5, s0
	v_add_nc_u32_e32 v5, 10, v18
	v_add_co_ci_u32_e32 v24, vcc_lo, v2, v17, vcc_lo
	v_add_co_u32 v27, vcc_lo, v1, v3
	v_mul_lo_u32 v29, v5, s0
	v_add_co_ci_u32_e32 v28, vcc_lo, v2, v4, vcc_lo
	v_lshlrev_b64 v[31:32], 1, v[15:16]
	ds_load_b128 v[3:6], v19 offset:256
	ds_load_b128 v[11:14], v19 offset:384
	;; [unrolled: 1-line block ×4, first 2 shown]
	v_ashrrev_i32_e32 v26, 31, v25
	v_ashrrev_i32_e32 v30, 31, v29
	v_add_co_u32 v31, vcc_lo, v1, v31
	s_delay_alu instid0(VALU_DEP_3) | instskip(SKIP_1) | instid1(VALU_DEP_4)
	v_lshlrev_b64 v[25:26], 1, v[25:26]
	v_add_co_ci_u32_e32 v32, vcc_lo, v2, v32, vcc_lo
	v_lshlrev_b64 v[29:30], 1, v[29:30]
	s_delay_alu instid0(VALU_DEP_3) | instskip(NEXT) | instid1(VALU_DEP_4)
	v_add_co_u32 v25, vcc_lo, v1, v25
	v_add_co_ci_u32_e32 v26, vcc_lo, v2, v26, vcc_lo
	s_delay_alu instid0(VALU_DEP_3) | instskip(NEXT) | instid1(VALU_DEP_4)
	v_add_co_u32 v29, vcc_lo, v1, v29
	v_add_co_ci_u32_e32 v30, vcc_lo, v2, v30, vcc_lo
	s_waitcnt lgkmcnt(4)
	global_store_b128 v[23:24], v[7:10], off
	s_waitcnt lgkmcnt(3)
	global_store_b128 v[27:28], v[3:6], off
	;; [unrolled: 2-line block ×5, first 2 shown]
	s_and_b32 exec_lo, exec_lo, s2
	s_cbranch_execz .LBB1002_2
; %bb.16:
	ds_load_b128 v[3:6], v0 offset:768
	s_add_i32 s1, s31, 12
	s_delay_alu instid0(SALU_CYCLE_1) | instskip(NEXT) | instid1(SALU_CYCLE_1)
	s_mul_i32 s0, s1, s0
	s_ashr_i32 s1, s0, 31
	s_delay_alu instid0(SALU_CYCLE_1) | instskip(NEXT) | instid1(SALU_CYCLE_1)
	s_lshl_b64 s[0:1], s[0:1], 1
	v_add_co_u32 v0, vcc_lo, v1, s0
	v_add_co_ci_u32_e32 v1, vcc_lo, s1, v2, vcc_lo
	s_waitcnt lgkmcnt(0)
	global_store_b128 v[0:1], v[3:6], off
	s_nop 0
	s_sendmsg sendmsg(MSG_DEALLOC_VGPRS)
	s_endpgm
	.section	.rodata,"a",@progbits
	.p2align	6, 0x0
	.amdhsa_kernel _Z39paged_attention_ll4mi_QKV_mfma16_kernelIDF16_hLN4vllm18Fp8KVCacheDataTypeE1EDF16_Li16ELi128ELi256ELb0ELi13EL8MFMAType1EEvPKT_PKT0_S8_ifPKiSA_SA_iPKfiiiPfSD_PS3_PT2_iSC_SC_
		.amdhsa_group_segment_fixed_size 17472
		.amdhsa_private_segment_fixed_size 0
		.amdhsa_kernarg_size 400
		.amdhsa_user_sgpr_count 13
		.amdhsa_user_sgpr_dispatch_ptr 0
		.amdhsa_user_sgpr_queue_ptr 0
		.amdhsa_user_sgpr_kernarg_segment_ptr 1
		.amdhsa_user_sgpr_dispatch_id 0
		.amdhsa_user_sgpr_private_segment_size 0
		.amdhsa_wavefront_size32 1
		.amdhsa_uses_dynamic_stack 0
		.amdhsa_enable_private_segment 0
		.amdhsa_system_sgpr_workgroup_id_x 1
		.amdhsa_system_sgpr_workgroup_id_y 1
		.amdhsa_system_sgpr_workgroup_id_z 1
		.amdhsa_system_sgpr_workgroup_info 0
		.amdhsa_system_vgpr_workitem_id 0
		.amdhsa_next_free_vgpr 150
		.amdhsa_next_free_sgpr 36
		.amdhsa_reserve_vcc 1
		.amdhsa_float_round_mode_32 0
		.amdhsa_float_round_mode_16_64 0
		.amdhsa_float_denorm_mode_32 3
		.amdhsa_float_denorm_mode_16_64 3
		.amdhsa_dx10_clamp 1
		.amdhsa_ieee_mode 1
		.amdhsa_fp16_overflow 0
		.amdhsa_workgroup_processor_mode 1
		.amdhsa_memory_ordered 1
		.amdhsa_forward_progress 0
		.amdhsa_shared_vgpr_count 0
		.amdhsa_exception_fp_ieee_invalid_op 0
		.amdhsa_exception_fp_denorm_src 0
		.amdhsa_exception_fp_ieee_div_zero 0
		.amdhsa_exception_fp_ieee_overflow 0
		.amdhsa_exception_fp_ieee_underflow 0
		.amdhsa_exception_fp_ieee_inexact 0
		.amdhsa_exception_int_div_zero 0
	.end_amdhsa_kernel
	.section	.text._Z39paged_attention_ll4mi_QKV_mfma16_kernelIDF16_hLN4vllm18Fp8KVCacheDataTypeE1EDF16_Li16ELi128ELi256ELb0ELi13EL8MFMAType1EEvPKT_PKT0_S8_ifPKiSA_SA_iPKfiiiPfSD_PS3_PT2_iSC_SC_,"axG",@progbits,_Z39paged_attention_ll4mi_QKV_mfma16_kernelIDF16_hLN4vllm18Fp8KVCacheDataTypeE1EDF16_Li16ELi128ELi256ELb0ELi13EL8MFMAType1EEvPKT_PKT0_S8_ifPKiSA_SA_iPKfiiiPfSD_PS3_PT2_iSC_SC_,comdat
.Lfunc_end1002:
	.size	_Z39paged_attention_ll4mi_QKV_mfma16_kernelIDF16_hLN4vllm18Fp8KVCacheDataTypeE1EDF16_Li16ELi128ELi256ELb0ELi13EL8MFMAType1EEvPKT_PKT0_S8_ifPKiSA_SA_iPKfiiiPfSD_PS3_PT2_iSC_SC_, .Lfunc_end1002-_Z39paged_attention_ll4mi_QKV_mfma16_kernelIDF16_hLN4vllm18Fp8KVCacheDataTypeE1EDF16_Li16ELi128ELi256ELb0ELi13EL8MFMAType1EEvPKT_PKT0_S8_ifPKiSA_SA_iPKfiiiPfSD_PS3_PT2_iSC_SC_
                                        ; -- End function
	.section	.AMDGPU.csdata,"",@progbits
; Kernel info:
; codeLenInByte = 6852
; NumSgprs: 38
; NumVgprs: 150
; ScratchSize: 0
; MemoryBound: 0
; FloatMode: 240
; IeeeMode: 1
; LDSByteSize: 17472 bytes/workgroup (compile time only)
; SGPRBlocks: 4
; VGPRBlocks: 18
; NumSGPRsForWavesPerEU: 38
; NumVGPRsForWavesPerEU: 150
; Occupancy: 9
; WaveLimiterHint : 1
; COMPUTE_PGM_RSRC2:SCRATCH_EN: 0
; COMPUTE_PGM_RSRC2:USER_SGPR: 13
; COMPUTE_PGM_RSRC2:TRAP_HANDLER: 0
; COMPUTE_PGM_RSRC2:TGID_X_EN: 1
; COMPUTE_PGM_RSRC2:TGID_Y_EN: 1
; COMPUTE_PGM_RSRC2:TGID_Z_EN: 1
; COMPUTE_PGM_RSRC2:TIDIG_COMP_CNT: 0
	.section	.text._Z39paged_attention_ll4mi_QKV_mfma16_kernelIDF16_hLN4vllm18Fp8KVCacheDataTypeE1EDF16_Li16ELi128ELi256ELb0ELi14EL8MFMAType1EEvPKT_PKT0_S8_ifPKiSA_SA_iPKfiiiPfSD_PS3_PT2_iSC_SC_,"axG",@progbits,_Z39paged_attention_ll4mi_QKV_mfma16_kernelIDF16_hLN4vllm18Fp8KVCacheDataTypeE1EDF16_Li16ELi128ELi256ELb0ELi14EL8MFMAType1EEvPKT_PKT0_S8_ifPKiSA_SA_iPKfiiiPfSD_PS3_PT2_iSC_SC_,comdat
	.protected	_Z39paged_attention_ll4mi_QKV_mfma16_kernelIDF16_hLN4vllm18Fp8KVCacheDataTypeE1EDF16_Li16ELi128ELi256ELb0ELi14EL8MFMAType1EEvPKT_PKT0_S8_ifPKiSA_SA_iPKfiiiPfSD_PS3_PT2_iSC_SC_ ; -- Begin function _Z39paged_attention_ll4mi_QKV_mfma16_kernelIDF16_hLN4vllm18Fp8KVCacheDataTypeE1EDF16_Li16ELi128ELi256ELb0ELi14EL8MFMAType1EEvPKT_PKT0_S8_ifPKiSA_SA_iPKfiiiPfSD_PS3_PT2_iSC_SC_
	.globl	_Z39paged_attention_ll4mi_QKV_mfma16_kernelIDF16_hLN4vllm18Fp8KVCacheDataTypeE1EDF16_Li16ELi128ELi256ELb0ELi14EL8MFMAType1EEvPKT_PKT0_S8_ifPKiSA_SA_iPKfiiiPfSD_PS3_PT2_iSC_SC_
	.p2align	8
	.type	_Z39paged_attention_ll4mi_QKV_mfma16_kernelIDF16_hLN4vllm18Fp8KVCacheDataTypeE1EDF16_Li16ELi128ELi256ELb0ELi14EL8MFMAType1EEvPKT_PKT0_S8_ifPKiSA_SA_iPKfiiiPfSD_PS3_PT2_iSC_SC_,@function
_Z39paged_attention_ll4mi_QKV_mfma16_kernelIDF16_hLN4vllm18Fp8KVCacheDataTypeE1EDF16_Li16ELi128ELi256ELb0ELi14EL8MFMAType1EEvPKT_PKT0_S8_ifPKiSA_SA_iPKfiiiPfSD_PS3_PT2_iSC_SC_: ; @_Z39paged_attention_ll4mi_QKV_mfma16_kernelIDF16_hLN4vllm18Fp8KVCacheDataTypeE1EDF16_Li16ELi128ELi256ELb0ELi14EL8MFMAType1EEvPKT_PKT0_S8_ifPKiSA_SA_iPKfiiiPfSD_PS3_PT2_iSC_SC_
; %bb.0:
	s_load_b64 s[4:5], s[0:1], 0x30
	s_mov_b32 s30, s13
	s_waitcnt lgkmcnt(0)
	s_cmp_lg_u64 s[4:5], 0
	s_cselect_b32 s8, -1, 0
	s_ashr_i32 s31, s13, 31
	s_cmp_eq_u64 s[4:5], 0
	s_cbranch_scc1 .LBB1003_3
; %bb.1:
	s_lshl_b64 s[2:3], s[30:31], 2
	s_delay_alu instid0(SALU_CYCLE_1) | instskip(SKIP_4) | instid1(SALU_CYCLE_1)
	s_add_u32 s2, s4, s2
	s_addc_u32 s3, s5, s3
	s_load_b64 s[2:3], s[2:3], 0x0
	s_waitcnt lgkmcnt(0)
	s_sub_i32 s2, s3, s2
	s_cmp_eq_u32 s2, 1
	s_cselect_b32 s2, -1, 0
	s_delay_alu instid0(SALU_CYCLE_1)
	s_and_not1_b32 vcc_lo, exec_lo, s2
	s_cbranch_vccz .LBB1003_4
.LBB1003_2:
	s_endpgm
.LBB1003_3:
.LBB1003_4:
	s_load_b64 s[2:3], s[0:1], 0x28
	s_lshl_b64 s[6:7], s[30:31], 2
	s_waitcnt lgkmcnt(0)
	s_add_u32 s2, s2, s6
	s_addc_u32 s3, s3, s7
	s_lshl_b32 s12, s14, 8
	s_load_b32 s24, s[2:3], 0x0
	s_waitcnt lgkmcnt(0)
	s_cmp_ge_i32 s12, s24
	s_cbranch_scc1 .LBB1003_2
; %bb.5:
	s_clause 0x1
	s_load_b128 s[20:23], s[0:1], 0x8
	s_load_b64 s[2:3], s[0:1], 0x20
	s_and_not1_b32 vcc_lo, exec_lo, s8
	s_cbranch_vccnz .LBB1003_7
; %bb.6:
	s_add_u32 s4, s4, s6
	s_addc_u32 s5, s5, s7
	s_load_b32 s5, s[4:5], 0x0
	s_branch .LBB1003_8
.LBB1003_7:
	s_mov_b32 s5, s30
.LBB1003_8:
	s_load_b128 s[16:19], s[0:1], 0x48
	v_and_b32_e32 v68, 15, v0
	v_lshrrev_b32_e32 v69, 5, v0
	v_and_b32_e32 v70, 31, v0
	v_and_b32_e32 v67, 1, v0
	v_bfe_u32 v66, v0, 4, 1
	v_lshlrev_b32_e32 v1, 3, v68
	s_mul_i32 s31, s15, 14
	s_mov_b32 s4, exec_lo
	s_delay_alu instid0(VALU_DEP_1)
	v_lshlrev_b32_e32 v65, 1, v1
	v_cmpx_gt_u32_e32 0xe0, v0
	s_cbranch_execz .LBB1003_10
; %bb.9:
	s_load_b64 s[6:7], s[0:1], 0x0
	v_lshl_or_b32 v5, v69, 1, v66
	s_waitcnt lgkmcnt(0)
	s_mul_hi_i32 s9, s5, s16
	s_mul_i32 s8, s5, s16
	v_lshlrev_b32_e32 v6, 10, v68
	s_lshl_b64 s[8:9], s[8:9], 1
	v_add_lshl_u32 v1, v5, s31, 7
	v_lshlrev_b32_e32 v5, 6, v5
	v_lshlrev_b32_e32 v7, 10, v67
	v_and_b32_e32 v6, 0x3800, v6
	s_delay_alu instid0(VALU_DEP_4) | instskip(NEXT) | instid1(VALU_DEP_2)
	v_ashrrev_i32_e32 v2, 31, v1
	v_or3_b32 v5, v6, v7, v5
	s_delay_alu instid0(VALU_DEP_2) | instskip(SKIP_2) | instid1(VALU_DEP_1)
	v_lshlrev_b64 v[1:2], 1, v[1:2]
	s_add_u32 s5, s6, s8
	s_addc_u32 s6, s7, s9
	v_add_co_u32 v1, vcc_lo, s5, v1
	s_delay_alu instid0(VALU_DEP_2) | instskip(NEXT) | instid1(VALU_DEP_2)
	v_add_co_ci_u32_e32 v2, vcc_lo, s6, v2, vcc_lo
	v_add_co_u32 v1, vcc_lo, v1, v65
	s_delay_alu instid0(VALU_DEP_2)
	v_add_co_ci_u32_e32 v2, vcc_lo, 0, v2, vcc_lo
	global_load_b128 v[1:4], v[1:2], off
	s_waitcnt vmcnt(0)
	ds_store_b128 v5, v[1:4]
.LBB1003_10:
	s_or_b32 exec_lo, exec_lo, s4
	v_and_b32_e32 v1, 0xef, v0
	s_waitcnt lgkmcnt(0)
	s_add_i32 s5, s24, 15
	s_clause 0x1
	s_load_b32 s4, s[0:1], 0x38
	s_load_b32 s33, s[0:1], 0x98
	s_ashr_i32 s6, s5, 31
	v_add_nc_u32_e32 v1, s12, v1
	s_lshr_b32 s6, s6, 28
	s_load_b32 s19, s[0:1], 0x1c
	s_add_i32 s5, s5, s6
	s_waitcnt lgkmcnt(0)
	v_ashrrev_i32_e32 v2, 31, v1
	v_or_b32_e32 v3, 16, v1
	s_ashr_i32 s13, s5, 4
	v_cmp_gt_i32_e32 vcc_lo, s24, v1
	s_add_i32 s13, s13, -1
	v_lshrrev_b32_e32 v2, 28, v2
	s_barrier
	buffer_gl0_inv
	s_mul_i32 s15, s15, s18
	v_add_nc_u32_e32 v4, v1, v2
	s_mul_i32 s4, s30, s4
	s_delay_alu instid0(SALU_CYCLE_1) | instskip(NEXT) | instid1(VALU_DEP_1)
	s_ashr_i32 s5, s4, 31
	v_ashrrev_i32_e32 v4, 4, v4
	v_add_nc_u32_e32 v2, v3, v2
	s_lshl_b64 s[4:5], s[4:5], 2
	s_delay_alu instid0(SALU_CYCLE_1) | instskip(NEXT) | instid1(VALU_DEP_2)
	s_add_u32 s16, s2, s4
	v_cndmask_b32_e32 v1, s13, v4, vcc_lo
	s_delay_alu instid0(VALU_DEP_2)
	v_ashrrev_i32_e32 v2, 4, v2
	v_cmp_gt_i32_e32 vcc_lo, s24, v3
	s_addc_u32 s25, s3, s5
	s_ashr_i32 s18, s15, 31
	s_add_u32 s26, s20, s15
	s_addc_u32 s27, s21, s18
	v_cndmask_b32_e32 v3, s13, v2, vcc_lo
	v_ashrrev_i32_e32 v2, 31, v1
	s_lshl_b32 s2, s14, 4
	s_delay_alu instid0(SALU_CYCLE_1) | instskip(NEXT) | instid1(VALU_DEP_2)
	s_ashr_i32 s3, s2, 31
	v_ashrrev_i32_e32 v4, 31, v3
	s_delay_alu instid0(VALU_DEP_2) | instskip(SKIP_1) | instid1(SALU_CYCLE_1)
	v_lshlrev_b64 v[1:2], 2, v[1:2]
	s_lshl_b64 s[2:3], s[2:3], 2
	s_add_u32 s2, s16, s2
	s_delay_alu instid0(VALU_DEP_2) | instskip(SKIP_1) | instid1(VALU_DEP_2)
	v_lshlrev_b64 v[3:4], 2, v[3:4]
	s_addc_u32 s3, s25, s3
	v_add_co_u32 v1, vcc_lo, s16, v1
	v_add_co_ci_u32_e32 v2, vcc_lo, s25, v2, vcc_lo
	s_delay_alu instid0(VALU_DEP_3) | instskip(NEXT) | instid1(VALU_DEP_4)
	v_add_co_u32 v3, vcc_lo, s16, v3
	v_add_co_ci_u32_e32 v4, vcc_lo, s25, v4, vcc_lo
	s_clause 0x1
	global_load_b32 v5, v[1:2], off
	global_load_b32 v7, v[3:4], off
	s_or_b32 s4, s12, 32
	v_lshlrev_b32_e32 v1, 4, v0
	s_ashr_i32 s5, s4, 4
	s_cmp_lt_i32 s4, s24
	v_cmp_gt_u32_e32 vcc_lo, 14, v68
	s_cselect_b32 s4, s5, s13
	v_and_b32_e32 v1, 0xf0, v1
	s_ashr_i32 s5, s4, 31
	s_delay_alu instid0(SALU_CYCLE_1) | instskip(NEXT) | instid1(SALU_CYCLE_1)
	s_lshl_b64 s[4:5], s[4:5], 2
	s_add_u32 s4, s16, s4
	s_addc_u32 s5, s25, s5
	s_or_b32 s6, s12, 64
	v_add_co_u32 v1, s26, s26, v1
	s_ashr_i32 s7, s6, 4
	s_cmp_lt_i32 s6, s24
	v_add_co_ci_u32_e64 v2, null, s27, 0, s26
	s_cselect_b32 s6, s7, s13
	s_delay_alu instid0(SALU_CYCLE_1) | instskip(NEXT) | instid1(SALU_CYCLE_1)
	s_ashr_i32 s7, s6, 31
	s_lshl_b64 s[6:7], s[6:7], 2
	s_delay_alu instid0(SALU_CYCLE_1) | instskip(SKIP_2) | instid1(SALU_CYCLE_1)
	s_add_u32 s6, s16, s6
	s_addc_u32 s7, s25, s7
	s_or_b32 s8, s12, 0x60
	s_ashr_i32 s9, s8, 4
	s_cmp_lt_i32 s8, s24
	s_cselect_b32 s8, s9, s13
	s_delay_alu instid0(SALU_CYCLE_1) | instskip(NEXT) | instid1(SALU_CYCLE_1)
	s_ashr_i32 s9, s8, 31
	s_lshl_b64 s[8:9], s[8:9], 2
	s_delay_alu instid0(SALU_CYCLE_1) | instskip(SKIP_2) | instid1(SALU_CYCLE_1)
	s_add_u32 s8, s16, s8
	s_addc_u32 s9, s25, s9
	s_or_b32 s10, s12, 0x80
	s_ashr_i32 s11, s10, 4
	s_cmp_lt_i32 s10, s24
	;; [unrolled: 10-line block ×3, first 2 shown]
	s_cselect_b32 s20, s21, s13
	s_delay_alu instid0(SALU_CYCLE_1) | instskip(NEXT) | instid1(SALU_CYCLE_1)
	s_ashr_i32 s21, s20, 31
	s_lshl_b64 s[20:21], s[20:21], 2
	s_delay_alu instid0(SALU_CYCLE_1)
	s_add_u32 s20, s16, s20
	s_addc_u32 s21, s25, s21
	s_clause 0x5
	s_load_b32 s26, s[2:3], 0x0
	s_load_b32 s27, s[4:5], 0x0
	s_load_b32 s28, s[6:7], 0x0
	s_load_b32 s29, s[8:9], 0x0
	s_load_b32 s34, s[10:11], 0x0
	s_load_b32 s35, s[20:21], 0x0
	s_or_b32 s2, s12, 0xc0
	s_mov_b32 s4, 0
	s_ashr_i32 s3, s2, 4
	s_cmp_lt_i32 s2, s24
	s_mov_b32 s11, s4
	s_cselect_b32 s2, s3, s13
	s_mov_b32 s5, s4
	s_ashr_i32 s3, s2, 31
	s_mov_b32 s6, s4
	s_lshl_b64 s[2:3], s[2:3], 2
	s_mov_b32 s7, s4
	s_add_u32 s2, s16, s2
	s_addc_u32 s3, s25, s3
	s_or_b32 s20, s12, 0xe0
	s_mov_b32 s8, s4
	s_ashr_i32 s21, s20, 4
	s_cmp_lt_i32 s20, s24
	s_mov_b32 s9, s4
	s_cselect_b32 s20, s21, s13
	s_mov_b32 s10, s4
	s_ashr_i32 s21, s20, 31
	v_mov_b32_e32 v118, s11
	v_dual_mov_b32 v112, s5 :: v_dual_mov_b32 v117, s10
	v_dual_mov_b32 v116, s9 :: v_dual_mov_b32 v115, s8
	;; [unrolled: 1-line block ×3, first 2 shown]
	v_mov_b32_e32 v111, s4
	s_lshl_b64 s[4:5], s[20:21], 2
	s_delay_alu instid0(SALU_CYCLE_1)
	s_add_u32 s4, s16, s4
	s_addc_u32 s5, s25, s5
	s_add_u32 s6, s22, s15
	s_addc_u32 s7, s23, s18
	s_waitcnt vmcnt(1)
	v_mad_i64_i32 v[3:4], null, v5, s17, v[1:2]
	s_waitcnt vmcnt(0)
	v_mad_i64_i32 v[5:6], null, v7, s17, v[1:2]
	v_add_nc_u32_e32 v1, -14, v68
	v_lshlrev_b32_e32 v2, 4, v68
	s_clause 0xf
	global_load_b128 v[17:20], v[3:4], off
	global_load_b128 v[21:24], v[3:4], off offset:256
	global_load_b128 v[25:28], v[5:6], off
	global_load_b128 v[29:32], v[5:6], off offset:256
	global_load_b128 v[57:60], v[3:4], off offset:512
	;; [unrolled: 1-line block ×13, first 2 shown]
	v_cndmask_b32_e32 v1, v1, v68, vcc_lo
	s_delay_alu instid0(VALU_DEP_1)
	v_lshlrev_b32_e32 v149, 6, v1
	v_lshl_or_b32 v1, v69, 8, v2
	ds_load_b128 v[119:122], v149
	ds_load_b128 v[123:126], v149 offset:1024
	ds_load_b128 v[127:130], v149 offset:2048
	;; [unrolled: 1-line block ×3, first 2 shown]
	s_clause 0x1
	s_load_b32 s2, s[2:3], 0x0
	s_load_b32 s3, s[4:5], 0x0
	v_add_co_u32 v135, s6, s6, v1
	s_delay_alu instid0(VALU_DEP_1) | instskip(SKIP_1) | instid1(VALU_DEP_1)
	v_add_co_ci_u32_e64 v136, null, s7, 0, s6
	s_waitcnt lgkmcnt(0)
	v_mad_i64_i32 v[1:2], null, s26, s17, v[135:136]
	v_mad_i64_i32 v[3:4], null, s27, s17, v[135:136]
	;; [unrolled: 1-line block ×6, first 2 shown]
	s_clause 0x9
	global_load_b128 v[49:52], v[1:2], off
	global_load_b128 v[53:56], v[1:2], off offset:16
	global_load_b128 v[41:44], v[3:4], off
	global_load_b128 v[45:48], v[3:4], off offset:16
	;; [unrolled: 2-line block ×5, first 2 shown]
	v_mad_i64_i32 v[145:146], null, s2, s17, v[135:136]
	v_mad_i64_i32 v[147:148], null, s3, s17, v[135:136]
	s_waitcnt vmcnt(24)
	v_wmma_f32_16x16x16_f16 v[135:142], v[17:24], v[119:126], v[111:118]
	s_waitcnt vmcnt(22)
	v_wmma_f32_16x16x16_f16 v[111:118], v[25:32], v[119:126], v[111:118]
	s_clause 0x3
	global_load_b128 v[17:20], v[143:144], off
	global_load_b128 v[21:24], v[143:144], off offset:16
	global_load_b128 v[25:28], v[145:146], off
	global_load_b128 v[29:32], v[145:146], off offset:16
	v_and_b32_e32 v119, 0xe0, v0
	s_waitcnt vmcnt(24)
	v_wmma_f32_16x16x16_f16 v[135:142], v[57:64], v[127:134], v[135:142]
	s_clause 0x1
	global_load_b128 v[57:60], v[147:148], off
	global_load_b128 v[61:64], v[147:148], off offset:16
	s_waitcnt vmcnt(24)
	v_wmma_f32_16x16x16_f16 v[111:118], v[71:78], v[127:134], v[111:118]
	ds_load_b128 v[71:74], v149 offset:4096
	ds_load_b128 v[75:78], v149 offset:5120
	v_add_nc_u32_e32 v128, s12, v119
	ds_load_b128 v[119:122], v149 offset:6144
	ds_load_b128 v[123:126], v149 offset:7168
	v_mbcnt_lo_u32_b32 v127, -1, 0
	s_waitcnt vmcnt(0) lgkmcnt(0)
	s_barrier
	v_or_b32_e32 v128, v128, v66
	buffer_gl0_inv
	v_xor_b32_e32 v129, 16, v127
	v_or_b32_e32 v130, 4, v128
	v_or_b32_e32 v131, 6, v128
	s_delay_alu instid0(VALU_DEP_3) | instskip(SKIP_4) | instid1(VALU_DEP_4)
	v_cmp_gt_i32_e32 vcc_lo, 32, v129
	v_or_b32_e32 v132, 8, v128
	v_or_b32_e32 v133, 10, v128
	v_cmp_gt_i32_e64 s3, s24, v130
	v_cmp_gt_i32_e64 s4, s24, v131
	;; [unrolled: 1-line block ×3, first 2 shown]
	v_wmma_f32_16x16x16_f16 v[135:142], v[79:86], v[71:78], v[135:142]
	v_wmma_f32_16x16x16_f16 v[111:118], v[87:94], v[71:78], v[111:118]
	v_or_b32_e32 v79, 12, v128
	v_or_b32_e32 v80, 14, v128
	v_cmp_gt_i32_e64 s6, s24, v133
	v_wmma_f32_16x16x16_f16 v[135:142], v[95:102], v[119:126], v[135:142]
	v_wmma_f32_16x16x16_f16 v[111:118], v[103:110], v[119:126], v[111:118]
	v_cndmask_b32_e32 v127, v127, v129, vcc_lo
	v_or_b32_e32 v129, 2, v128
	v_cmp_gt_i32_e32 vcc_lo, s24, v128
	v_mul_f32_e32 v88, s19, v135
	v_dual_mul_f32 v92, s19, v115 :: v_dual_mul_f32 v87, s19, v136
	s_delay_alu instid0(VALU_DEP_4)
	v_cmp_gt_i32_e64 s2, s24, v129
	v_mul_f32_e32 v78, s19, v138
	v_mul_f32_e32 v86, s19, v137
	v_cndmask_b32_e32 v88, 0xff7fffff, v88, vcc_lo
	v_mul_f32_e32 v76, s19, v140
	v_cndmask_b32_e64 v87, 0xff7fffff, v87, s2
	v_dual_mul_f32 v77, s19, v139 :: v_dual_mul_f32 v94, s19, v113
	v_cndmask_b32_e64 v86, 0xff7fffff, v86, s3
	v_cndmask_b32_e64 v78, 0xff7fffff, v78, s4
	s_delay_alu instid0(VALU_DEP_4)
	v_max3_f32 v87, v88, 0xff7fffff, v87
	v_or_b32_e32 v81, 16, v128
	v_or_b32_e32 v82, 18, v128
	v_dual_mul_f32 v74, s19, v142 :: v_dual_mul_f32 v75, s19, v141
	v_mul_f32_e32 v96, s19, v111
	v_cndmask_b32_e64 v77, 0xff7fffff, v77, s5
	v_cndmask_b32_e64 v76, 0xff7fffff, v76, s6
	v_max3_f32 v78, v87, v86, v78
	v_cmp_gt_i32_e64 s7, s24, v79
	v_cmp_gt_i32_e64 s8, s24, v80
	v_or_b32_e32 v83, 20, v128
	v_or_b32_e32 v84, 22, v128
	v_mul_f32_e32 v95, s19, v112
	v_cndmask_b32_e64 v75, 0xff7fffff, v75, s7
	v_cndmask_b32_e64 v74, 0xff7fffff, v74, s8
	v_max3_f32 v76, v78, v77, v76
	v_cmp_gt_i32_e64 s9, s24, v81
	v_cmp_gt_i32_e64 s10, s24, v82
	v_or_b32_e32 v85, 24, v128
	v_or_b32_e32 v71, 26, v128
	;; [unrolled: 8-line block ×3, first 2 shown]
	v_mul_f32_e32 v91, s19, v116
	v_cndmask_b32_e64 v75, 0xff7fffff, v94, s11
	v_cndmask_b32_e64 v76, 0xff7fffff, v93, s12
	v_max3_f32 v74, v74, v77, v78
	v_cmp_gt_i32_e64 s13, s24, v85
	v_cmp_gt_i32_e64 s15, s24, v71
	v_dual_mul_f32 v89, s19, v118 :: v_dual_mul_f32 v90, s19, v117
	s_delay_alu instid0(VALU_DEP_4) | instskip(NEXT) | instid1(VALU_DEP_4)
	v_max3_f32 v74, v74, v75, v76
	v_cndmask_b32_e64 v77, 0xff7fffff, v92, s13
	s_delay_alu instid0(VALU_DEP_4) | instskip(SKIP_2) | instid1(VALU_DEP_3)
	v_cndmask_b32_e64 v71, 0xff7fffff, v91, s15
	v_cmp_gt_i32_e64 s16, s24, v72
	v_cmp_gt_i32_e64 s17, s24, v73
	v_max3_f32 v71, v74, v77, v71
	s_delay_alu instid0(VALU_DEP_3) | instskip(NEXT) | instid1(VALU_DEP_3)
	v_cndmask_b32_e64 v72, 0xff7fffff, v90, s16
	v_cndmask_b32_e64 v73, 0xff7fffff, v89, s17
	v_lshlrev_b32_e32 v74, 2, v127
	s_delay_alu instid0(VALU_DEP_2) | instskip(SKIP_3) | instid1(VALU_DEP_1)
	v_max3_f32 v71, v71, v72, v73
	ds_bpermute_b32 v72, v74, v71
	s_waitcnt lgkmcnt(0)
	v_max_f32_e32 v72, v72, v72
	v_max_f32_e32 v71, v71, v72
	s_delay_alu instid0(VALU_DEP_1) | instskip(SKIP_4) | instid1(VALU_DEP_4)
	v_fma_f32 v72, s19, v135, -v71
	v_fma_f32 v73, s19, v136, -v71
	;; [unrolled: 1-line block ×5, first 2 shown]
	v_dual_mul_f32 v72, 0x3fb8aa3b, v72 :: v_dual_mul_f32 v73, 0x3fb8aa3b, v73
	v_fma_f32 v80, s19, v141, -v71
	s_delay_alu instid0(VALU_DEP_3) | instskip(NEXT) | instid1(VALU_DEP_3)
	v_dual_mul_f32 v76, 0x3fb8aa3b, v76 :: v_dual_mul_f32 v77, 0x3fb8aa3b, v77
	v_exp_f32_e32 v72, v72
	s_delay_alu instid0(VALU_DEP_3) | instskip(NEXT) | instid1(VALU_DEP_2)
	v_exp_f32_e32 v73, v73
	v_mul_f32_e32 v82, 0x3fb8aa3b, v80
	s_delay_alu instid0(VALU_DEP_2) | instskip(SKIP_1) | instid1(VALU_DEP_1)
	v_exp_f32_e32 v76, v76
	v_exp_f32_e32 v77, v77
	v_exp_f32_e32 v84, v82
	v_cndmask_b32_e32 v79, 0, v72, vcc_lo
	v_fma_f32 v72, s19, v140, -v71
	v_mul_f32_e32 v75, 0x3fb8aa3b, v75
	v_cndmask_b32_e64 v78, 0, v73, s2
	s_delay_alu instid0(TRANS32_DEP_3) | instskip(NEXT) | instid1(VALU_DEP_4)
	v_cndmask_b32_e64 v80, 0, v76, s4
	v_dual_add_f32 v73, 0, v79 :: v_dual_mul_f32 v72, 0x3fb8aa3b, v72
	s_delay_alu instid0(VALU_DEP_4) | instskip(NEXT) | instid1(TRANS32_DEP_3)
	v_exp_f32_e32 v75, v75
	v_cndmask_b32_e64 v83, 0, v77, s5
	s_delay_alu instid0(TRANS32_DEP_2) | instskip(NEXT) | instid1(VALU_DEP_3)
	v_cndmask_b32_e64 v85, 0, v84, s7
	v_add_f32_e32 v73, v73, v78
	v_exp_f32_e32 v72, v72
	s_mov_b32 s2, exec_lo
	s_waitcnt_depctr 0xfff
	v_cndmask_b32_e64 v81, 0, v75, s3
	v_cndmask_b32_e64 v82, 0, v72, s6
	s_delay_alu instid0(VALU_DEP_2) | instskip(NEXT) | instid1(VALU_DEP_1)
	v_add_f32_e32 v73, v73, v81
	v_add_f32_e32 v73, v73, v80
	s_delay_alu instid0(VALU_DEP_1) | instskip(NEXT) | instid1(VALU_DEP_1)
	v_add_f32_e32 v72, v73, v83
	v_add_f32_e32 v72, v72, v82
	s_delay_alu instid0(VALU_DEP_1)
	v_add_f32_e32 v72, v72, v85
	v_fma_f32 v76, s19, v111, -v71
	v_fma_f32 v75, s19, v142, -v71
	;; [unrolled: 1-line block ×5, first 2 shown]
	v_mul_f32_e32 v76, 0x3fb8aa3b, v76
	s_delay_alu instid0(VALU_DEP_4) | instskip(NEXT) | instid1(VALU_DEP_2)
	v_mul_f32_e32 v86, 0x3fb8aa3b, v86
	v_exp_f32_e32 v76, v76
	s_delay_alu instid0(VALU_DEP_1)
	v_exp_f32_e32 v88, v86
	s_waitcnt_depctr 0xfff
	v_cndmask_b32_e64 v87, 0, v76, s9
	v_fma_f32 v76, s19, v116, -v71
	v_mul_f32_e32 v75, 0x3fb8aa3b, v75
	v_cndmask_b32_e64 v88, 0, v88, s12
	s_delay_alu instid0(VALU_DEP_3) | instskip(NEXT) | instid1(VALU_DEP_3)
	v_dual_mul_f32 v73, 0x3fb8aa3b, v73 :: v_dual_mul_f32 v76, 0x3fb8aa3b, v76
	v_exp_f32_e32 v75, v75
	s_delay_alu instid0(VALU_DEP_1) | instskip(NEXT) | instid1(VALU_DEP_1)
	v_exp_f32_e32 v73, v73
	v_exp_f32_e32 v76, v76
	s_delay_alu instid0(TRANS32_DEP_3)
	v_cndmask_b32_e64 v84, 0, v75, s8
	v_fma_f32 v75, s19, v115, -v71
	s_waitcnt_depctr 0xfff
	v_cndmask_b32_e64 v89, 0, v73, s11
	v_cndmask_b32_e64 v90, 0, v76, s15
	v_add_f32_e32 v72, v72, v84
	s_delay_alu instid0(VALU_DEP_1) | instskip(NEXT) | instid1(VALU_DEP_1)
	v_dual_add_f32 v72, v72, v87 :: v_dual_mul_f32 v77, 0x3fb8aa3b, v77
	v_exp_f32_e32 v77, v77
	s_waitcnt_depctr 0xfff
	v_cndmask_b32_e64 v86, 0, v77, s10
	v_fma_f32 v77, s19, v117, -v71
	s_delay_alu instid0(VALU_DEP_2) | instskip(NEXT) | instid1(VALU_DEP_1)
	v_dual_add_f32 v72, v72, v86 :: v_dual_mul_f32 v75, 0x3fb8aa3b, v75
	v_add_f32_e32 v72, v72, v89
	s_delay_alu instid0(VALU_DEP_2) | instskip(NEXT) | instid1(VALU_DEP_1)
	v_exp_f32_e32 v75, v75
	v_add_f32_e32 v72, v72, v88
	s_waitcnt_depctr 0xfff
	v_cndmask_b32_e64 v91, 0, v75, s13
	v_mul_f32_e32 v73, 0x3fb8aa3b, v77
	v_fma_f32 v77, s19, v118, -v71
	s_delay_alu instid0(VALU_DEP_3) | instskip(NEXT) | instid1(VALU_DEP_3)
	v_add_f32_e32 v72, v72, v91
	v_exp_f32_e32 v73, v73
	s_delay_alu instid0(VALU_DEP_1) | instskip(NEXT) | instid1(VALU_DEP_1)
	v_dual_mul_f32 v75, 0x3fb8aa3b, v77 :: v_dual_add_f32 v72, v72, v90
	v_exp_f32_e32 v75, v75
	s_waitcnt_depctr 0xfff
	v_cndmask_b32_e64 v93, 0, v73, s16
	s_delay_alu instid0(VALU_DEP_1) | instskip(SKIP_1) | instid1(VALU_DEP_1)
	v_add_f32_e32 v72, v72, v93
	v_cndmask_b32_e64 v92, 0, v75, s17
	v_add_f32_e32 v72, v72, v92
	ds_bpermute_b32 v73, v74, v72
	v_cmpx_gt_u32_e32 16, v70
	s_cbranch_execz .LBB1003_12
; %bb.11:
	v_mul_u32_u24_e32 v70, 0x44, v69
	s_waitcnt lgkmcnt(0)
	v_add_f32_e32 v72, v72, v73
	s_delay_alu instid0(VALU_DEP_2) | instskip(NEXT) | instid1(VALU_DEP_1)
	v_lshl_add_u32 v70, v68, 2, v70
	v_add_nc_u32_e32 v70, 0x4000, v70
	ds_store_2addr_b32 v70, v71, v72 offset1:136
.LBB1003_12:
	s_or_b32 exec_lo, exec_lo, s2
	v_lshlrev_b32_e32 v70, 2, v68
	s_load_b32 s34, s[0:1], 0x94
	s_waitcnt lgkmcnt(0)
	s_barrier
	buffer_gl0_inv
	v_add_nc_u32_e32 v98, 0x4000, v70
	v_cmp_eq_u32_e32 vcc_lo, 1, v69
	v_cmp_eq_u32_e64 s2, 2, v69
	v_cmp_eq_u32_e64 s3, 3, v69
	;; [unrolled: 1-line block ×3, first 2 shown]
	ds_load_2addr_b32 v[70:71], v98 offset1:17
	ds_load_2addr_b32 v[72:73], v98 offset0:34 offset1:51
	ds_load_2addr_b32 v[74:75], v98 offset0:68 offset1:85
	;; [unrolled: 1-line block ×3, first 2 shown]
	v_cmp_eq_u32_e64 s5, 5, v69
	v_cmp_eq_u32_e64 s6, 7, v69
	s_waitcnt lgkmcnt(3)
	v_max3_f32 v76, v70, 0xff7fffff, v71
	s_waitcnt lgkmcnt(2)
	s_delay_alu instid0(VALU_DEP_1) | instskip(SKIP_1) | instid1(VALU_DEP_1)
	v_max3_f32 v76, v76, v72, v73
	s_waitcnt lgkmcnt(1)
	v_max3_f32 v76, v76, v74, v75
	s_waitcnt lgkmcnt(0)
	s_delay_alu instid0(VALU_DEP_1) | instskip(NEXT) | instid1(VALU_DEP_1)
	v_max3_f32 v76, v76, v94, v95
	v_sub_f32_e32 v77, v71, v76
	ds_load_2addr_b32 v[96:97], v98 offset0:136 offset1:153
	v_sub_f32_e32 v74, v74, v76
	v_sub_f32_e32 v70, v70, v76
	;; [unrolled: 1-line block ×3, first 2 shown]
	v_dual_sub_f32 v72, v72, v76 :: v_dual_mul_f32 v77, 0x3fb8aa3b, v77
	s_delay_alu instid0(VALU_DEP_4) | instskip(NEXT) | instid1(VALU_DEP_4)
	v_mul_f32_e32 v103, 0x3fb8aa3b, v74
	v_mul_f32_e32 v99, 0x3fb8aa3b, v70
	ds_load_2addr_b32 v[70:71], v98 offset0:170 offset1:187
	v_dual_mul_f32 v101, 0x3fb8aa3b, v72 :: v_dual_mul_f32 v94, 0x3fb8aa3b, v94
	v_exp_f32_e32 v102, v77
	v_exp_f32_e32 v99, v99
	s_delay_alu instid0(VALU_DEP_1) | instskip(NEXT) | instid1(VALU_DEP_1)
	v_exp_f32_e32 v101, v101
	v_exp_f32_e32 v94, v94
	s_waitcnt lgkmcnt(1)
	s_delay_alu instid0(TRANS32_DEP_3)
	v_fma_f32 v77, v99, v96, 0
	v_sub_f32_e32 v100, v73, v76
	ds_load_2addr_b32 v[72:73], v98 offset0:204 offset1:221
	v_fmac_f32_e32 v77, v102, v97
	v_exp_f32_e32 v97, v103
	s_waitcnt lgkmcnt(1)
	s_delay_alu instid0(VALU_DEP_1)
	v_dual_fmac_f32 v77, v101, v70 :: v_dual_sub_f32 v96, v75, v76
	ds_load_2addr_b32 v[74:75], v98 offset0:238 offset1:255
	v_sub_f32_e32 v70, v95, v76
	s_waitcnt lgkmcnt(0)
	s_barrier
	v_mul_f32_e32 v96, 0x3fb8aa3b, v96
	buffer_gl0_inv
	v_exp_f32_e32 v95, v96
	v_mul_f32_e32 v100, 0x3fb8aa3b, v100
	s_delay_alu instid0(VALU_DEP_1) | instskip(SKIP_3) | instid1(VALU_DEP_2)
	v_exp_f32_e32 v100, v100
	s_waitcnt_depctr 0xfff
	v_dual_fmac_f32 v77, v100, v71 :: v_dual_mul_f32 v70, 0x3fb8aa3b, v70
	v_cndmask_b32_e32 v71, v99, v102, vcc_lo
	v_fmac_f32_e32 v77, v97, v72
	s_delay_alu instid0(VALU_DEP_3) | instskip(NEXT) | instid1(VALU_DEP_1)
	v_exp_f32_e32 v96, v70
	v_fmac_f32_e32 v77, v95, v73
	s_delay_alu instid0(VALU_DEP_1) | instskip(SKIP_2) | instid1(VALU_DEP_1)
	v_fmac_f32_e32 v77, v94, v74
	s_waitcnt_depctr 0xfff
	v_fmac_f32_e32 v77, v96, v75
	v_add_f32_e32 v74, 0x358637bd, v77
	s_delay_alu instid0(VALU_DEP_1) | instskip(SKIP_1) | instid1(VALU_DEP_2)
	v_div_scale_f32 v98, null, v74, v74, 1.0
	v_div_scale_f32 v99, vcc_lo, 1.0, v74, 1.0
	v_rcp_f32_e32 v103, v98
	s_waitcnt_depctr 0xfff
	v_fma_f32 v70, -v98, v103, 1.0
	s_delay_alu instid0(VALU_DEP_1) | instskip(SKIP_2) | instid1(VALU_DEP_2)
	v_fmac_f32_e32 v103, v70, v103
	v_cndmask_b32_e64 v70, v71, v101, s2
	v_cmp_eq_u32_e64 s2, 6, v69
	v_cndmask_b32_e64 v71, v70, v100, s3
	s_delay_alu instid0(VALU_DEP_4) | instskip(NEXT) | instid1(VALU_DEP_2)
	v_dual_mul_f32 v101, v99, v103 :: v_dual_lshlrev_b32 v70, 2, v66
	v_cndmask_b32_e64 v71, v71, v97, s4
	s_delay_alu instid0(VALU_DEP_2) | instskip(NEXT) | instid1(VALU_DEP_3)
	v_or_b32_e32 v72, 1, v70
	v_fma_f32 v100, -v98, v101, v99
	v_cmp_eq_u32_e64 s3, 1, v70
	v_cmp_eq_u32_e64 s4, 2, v70
	v_cndmask_b32_e64 v95, v71, v95, s5
	v_or_b32_e32 v71, 3, v70
	v_fmac_f32_e32 v101, v100, v103
	v_cmp_eq_u32_e64 s8, 1, v72
	v_cmp_eq_u32_e64 s11, 2, v72
	v_cndmask_b32_e64 v94, v95, v94, s2
	v_cmp_eq_u32_e64 s10, 1, v71
	v_fma_f32 v97, -v98, v101, v99
	v_cmp_eq_u32_e64 s15, 2, v71
	v_cmp_eq_u32_e64 s12, 3, v72
	v_cndmask_b32_e64 v94, v94, v96, s6
	v_cmp_eq_u32_e64 s17, 3, v71
	v_div_fmas_f32 v95, v97, v103, v101
	v_cmp_eq_u32_e32 vcc_lo, 3, v70
	v_cmp_eq_u32_e64 s2, 4, v70
	v_cmp_eq_u32_e64 s18, 4, v72
	;; [unrolled: 1-line block ×3, first 2 shown]
	v_div_fixup_f32 v95, v95, v74, 1.0
	v_lshlrev_b32_e32 v73, 6, v68
	v_cmp_eq_u32_e64 s5, 5, v70
	v_cmp_eq_u32_e64 s19, 5, v72
	;; [unrolled: 1-line block ×3, first 2 shown]
	v_mul_f32_e32 v102, v94, v95
	v_lshl_or_b32 v75, v69, 11, v73
	v_or_b32_e32 v69, 2, v70
	v_cmp_eq_u32_e64 s24, 6, v72
	v_cmp_eq_u32_e64 s26, 6, v71
	v_fma_mixlo_f16 v94, v102, v79, 0
	v_fma_mixlo_f16 v95, v102, v81, 0
	;; [unrolled: 1-line block ×8, first 2 shown]
	v_lshl_or_b32 v74, v66, 4, v75
	v_fma_mixhi_f16 v94, v102, v78, 0
	v_fma_mixhi_f16 v95, v102, v80, 0
	;; [unrolled: 1-line block ×8, first 2 shown]
	ds_store_b128 v74, v[94:97]
	ds_store_b128 v74, v[98:101] offset:1024
	s_waitcnt lgkmcnt(0)
	s_barrier
	buffer_gl0_inv
	ds_load_b128 v[78:81], v75
	ds_load_b128 v[82:85], v75 offset:16
	ds_load_b128 v[86:89], v75 offset:1024
	;; [unrolled: 1-line block ×3, first 2 shown]
	v_cmp_eq_u32_e64 s9, 1, v69
	v_cmp_eq_u32_e64 s13, 2, v69
	v_cmp_eq_u32_e64 s16, 3, v69
	v_cmp_eq_u32_e64 s20, 4, v69
	v_cmp_eq_u32_e64 s22, 5, v69
	v_cmp_eq_u32_e64 s6, 6, v70
	v_cmp_eq_u32_e64 s25, 6, v69
	v_cmp_eq_u32_e64 s28, 7, v71
	v_cmp_eq_u32_e64 s29, 7, v72
	v_cmp_eq_u32_e64 s7, 7, v70
	v_cmp_eq_u32_e64 s27, 7, v69
	s_waitcnt lgkmcnt(3)
	v_lshrrev_b32_e32 v94, 16, v78
	s_waitcnt lgkmcnt(2)
	v_lshrrev_b32_e32 v98, 16, v82
	;; [unrolled: 2-line block ×4, first 2 shown]
	v_lshrrev_b32_e32 v95, 16, v79
	v_cndmask_b32_e64 v110, v78, v94, s3
	v_cndmask_b32_e64 v111, v82, v98, s3
	v_cndmask_b32_e64 v112, v78, v94, s8
	v_cndmask_b32_e64 v113, v82, v98, s8
	v_cndmask_b32_e64 v114, v78, v94, s9
	v_cndmask_b32_e64 v115, v82, v98, s9
	v_cndmask_b32_e64 v78, v78, v94, s10
	v_cndmask_b32_e64 v82, v82, v98, s10
	v_lshrrev_b32_e32 v99, 16, v83
	v_cndmask_b32_e64 v94, v86, v102, s3
	v_cndmask_b32_e64 v98, v90, v106, s3
	;; [unrolled: 1-line block ×15, first 2 shown]
	v_lshrrev_b32_e32 v103, 16, v87
	v_lshrrev_b32_e32 v107, 16, v91
	v_cndmask_b32_e64 v113, v115, v83, s13
	v_cndmask_b32_e64 v82, v94, v87, s4
	;; [unrolled: 1-line block ×7, first 2 shown]
	v_cndmask_b32_e32 v90, v102, v95, vcc_lo
	v_cndmask_b32_e32 v102, v106, v99, vcc_lo
	v_cndmask_b32_e64 v106, v110, v95, s12
	v_cndmask_b32_e64 v110, v111, v99, s12
	;; [unrolled: 1-line block ×4, first 2 shown]
	v_lshrrev_b32_e32 v96, 16, v80
	v_lshrrev_b32_e32 v100, 16, v84
	v_cndmask_b32_e64 v111, v112, v95, s16
	v_cndmask_b32_e64 v112, v113, v99, s16
	v_cndmask_b32_e32 v82, v82, v103, vcc_lo
	v_cndmask_b32_e32 v83, v83, v107, vcc_lo
	v_cndmask_b32_e64 v94, v94, v103, s12
	v_cndmask_b32_e64 v90, v90, v80, s2
	;; [unrolled: 1-line block ×7, first 2 shown]
	v_lshrrev_b32_e32 v104, 16, v88
	v_cndmask_b32_e64 v106, v111, v80, s20
	v_cndmask_b32_e64 v110, v112, v84, s20
	;; [unrolled: 1-line block ×11, first 2 shown]
	v_lshrrev_b32_e32 v97, 16, v81
	v_lshrrev_b32_e32 v101, 16, v85
	v_cndmask_b32_e64 v99, v106, v96, s22
	v_cndmask_b32_e64 v102, v110, v100, s22
	;; [unrolled: 1-line block ×7, first 2 shown]
	v_lshrrev_b32_e32 v105, 16, v89
	v_cndmask_b32_e64 v80, v80, v104, s5
	v_cndmask_b32_e64 v84, v84, v81, s6
	;; [unrolled: 1-line block ×16, first 2 shown]
	v_perm_b32 v81, v79, v78, 0x5040100
	v_perm_b32 v79, v95, v85, 0x5040100
	v_cndmask_b32_e64 v78, v119, v91, s13
	v_cndmask_b32_e64 v85, v117, v91, s11
	;; [unrolled: 1-line block ×3, first 2 shown]
	v_perm_b32 v80, v94, v90, 0x5040100
	v_cndmask_b32_e64 v90, v98, v103, s16
	v_cndmask_b32_e64 v86, v86, v103, s17
	;; [unrolled: 1-line block ×5, first 2 shown]
	v_lshrrev_b32_e32 v108, 16, v92
	v_cndmask_b32_e64 v90, v90, v88, s20
	v_cndmask_b32_e64 v86, v86, v88, s21
	;; [unrolled: 1-line block ×11, first 2 shown]
	v_lshrrev_b32_e32 v109, 16, v93
	v_cndmask_b32_e64 v82, v82, v93, s6
	v_cndmask_b32_e64 v88, v88, v89, s25
	v_cndmask_b32_e64 v86, v86, v89, s26
	v_cndmask_b32_e64 v87, v87, v93, s26
	v_cndmask_b32_e64 v78, v78, v93, s25
	v_cndmask_b32_e64 v85, v85, v93, s24
	v_cndmask_b32_e64 v88, v88, v105, s27
	v_cndmask_b32_e64 v86, v86, v105, s28
	v_cndmask_b32_e64 v87, v87, v109, s28
	v_cndmask_b32_e64 v89, v78, v109, s27
	v_cndmask_b32_e64 v90, v85, v109, s29
	v_cndmask_b32_e64 v82, v82, v109, s7
	v_perm_b32 v78, v84, v83, 0x5040100
	v_perm_b32 v85, v87, v86, 0x5040100
	;; [unrolled: 1-line block ×5, first 2 shown]
	s_mul_i32 s7, s33, 14
	s_mov_b32 s2, exec_lo
	ds_store_b128 v74, v[78:81]
	ds_store_b128 v74, v[82:85] offset:1024
	v_cmpx_gt_u32_e32 14, v0
	s_cbranch_execz .LBB1003_14
; %bb.13:
	s_mul_i32 s3, s7, s30
	s_load_b128 s[8:11], s[0:1], 0x58
	v_add3_u32 v68, s3, s31, v68
	s_delay_alu instid0(VALU_DEP_1) | instskip(NEXT) | instid1(VALU_DEP_1)
	v_mad_u64_u32 v[78:79], null, v68, s34, s[14:15]
	v_ashrrev_i32_e32 v79, 31, v78
	s_delay_alu instid0(VALU_DEP_1) | instskip(SKIP_1) | instid1(VALU_DEP_1)
	v_lshlrev_b64 v[78:79], 2, v[78:79]
	s_waitcnt lgkmcnt(0)
	v_add_co_u32 v80, vcc_lo, s10, v78
	s_delay_alu instid0(VALU_DEP_2)
	v_add_co_ci_u32_e32 v81, vcc_lo, s11, v79, vcc_lo
	v_add_co_u32 v78, vcc_lo, s8, v78
	v_add_co_ci_u32_e32 v79, vcc_lo, s9, v79, vcc_lo
	global_store_b32 v[80:81], v76, off
	global_store_b32 v[78:79], v77, off
.LBB1003_14:
	s_or_b32 exec_lo, exec_lo, s2
	s_waitcnt lgkmcnt(0)
	s_waitcnt_vscnt null, 0x0
	s_barrier
	buffer_gl0_inv
	ds_load_b128 v[84:87], v73
	ds_load_b128 v[88:91], v73 offset:16
	ds_load_b128 v[96:99], v73 offset:2064
	ds_load_b128 v[92:95], v73 offset:2048
	ds_load_b128 v[104:107], v73 offset:4112
	ds_load_b128 v[100:103], v73 offset:4096
	v_cmp_eq_u32_e32 vcc_lo, 1, v70
	v_mov_b32_e32 v76, 0
	ds_load_b128 v[112:115], v73 offset:6160
	ds_load_b128 v[108:111], v73 offset:6144
	;; [unrolled: 1-line block ×4, first 2 shown]
	v_cmp_eq_u32_e64 s3, 1, v69
	v_cmp_eq_u32_e64 s2, 1, v72
	;; [unrolled: 1-line block ×3, first 2 shown]
	v_mov_b32_e32 v77, v76
	v_mov_b32_e32 v78, v76
	;; [unrolled: 1-line block ×7, first 2 shown]
	v_cmp_eq_u32_e64 s5, 3, v72
	v_cmp_eq_u32_e64 s6, 7, v72
	s_waitcnt lgkmcnt(8)
	s_delay_alu instid0(VALU_DEP_3)
	v_wmma_f32_16x16x16_f16 v[76:83], v[49:56], v[84:91], v[76:83]
	ds_load_b128 v[53:56], v73 offset:10256
	ds_load_b128 v[49:52], v73 offset:10240
	s_waitcnt lgkmcnt(8)
	v_wmma_f32_16x16x16_f16 v[76:83], v[41:48], v[92:99], v[76:83]
	ds_load_b128 v[45:48], v73 offset:12304
	ds_load_b128 v[41:44], v73 offset:12288
	s_waitcnt lgkmcnt(8)
	;; [unrolled: 4-line block ×3, first 2 shown]
	s_barrier
	buffer_gl0_inv
	v_wmma_f32_16x16x16_f16 v[76:83], v[1:8], v[108:115], v[76:83]
	s_delay_alu instid0(VALU_DEP_1) | instskip(NEXT) | instid1(VALU_DEP_1)
	v_wmma_f32_16x16x16_f16 v[76:83], v[9:16], v[116:123], v[76:83]
	v_wmma_f32_16x16x16_f16 v[76:83], v[17:24], v[49:56], v[76:83]
	s_delay_alu instid0(VALU_DEP_1) | instskip(NEXT) | instid1(VALU_DEP_1)
	v_wmma_f32_16x16x16_f16 v[76:83], v[25:32], v[41:48], v[76:83]
	v_wmma_f32_16x16x16_f16 v[76:83], v[57:64], v[33:40], v[76:83]
	s_delay_alu instid0(VALU_DEP_1) | instskip(NEXT) | instid1(VALU_DEP_2)
	v_cvt_f16_f32_e32 v1, v76
	v_cvt_f16_f32_e32 v2, v77
	s_delay_alu instid0(VALU_DEP_3) | instskip(NEXT) | instid1(VALU_DEP_4)
	v_cvt_f16_f32_e32 v3, v78
	v_cvt_f16_f32_e32 v4, v79
	;; [unrolled: 1-line block ×6, first 2 shown]
	v_pack_b32_f16 v1, v1, v2
	v_pack_b32_f16 v2, v3, v4
	;; [unrolled: 1-line block ×3, first 2 shown]
	s_delay_alu instid0(VALU_DEP_4)
	v_pack_b32_f16 v4, v7, v8
	ds_store_b128 v74, v[1:4]
	s_waitcnt lgkmcnt(0)
	s_barrier
	buffer_gl0_inv
	ds_load_b128 v[1:4], v75
	ds_load_b128 v[5:8], v75 offset:16
	s_waitcnt lgkmcnt(1)
	v_lshrrev_b32_e32 v9, 16, v1
	s_waitcnt lgkmcnt(0)
	v_lshrrev_b32_e32 v13, 16, v5
	v_lshrrev_b32_e32 v10, 16, v2
	;; [unrolled: 1-line block ×4, first 2 shown]
	v_cndmask_b32_e32 v17, v1, v9, vcc_lo
	v_cndmask_b32_e32 v18, v5, v13, vcc_lo
	v_cndmask_b32_e64 v21, v1, v9, s3
	v_cmp_eq_u32_e32 vcc_lo, 1, v71
	v_cndmask_b32_e64 v22, v5, v13, s3
	v_cmp_eq_u32_e64 s3, 2, v70
	v_cndmask_b32_e64 v19, v1, v9, s2
	v_cndmask_b32_e64 v20, v5, v13, s2
	v_cndmask_b32_e32 v1, v1, v9, vcc_lo
	v_cmp_eq_u32_e64 s2, 2, v71
	v_cndmask_b32_e32 v5, v5, v13, vcc_lo
	v_cndmask_b32_e64 v9, v17, v2, s3
	v_cmp_eq_u32_e32 vcc_lo, 3, v70
	v_cndmask_b32_e64 v13, v18, v6, s3
	v_cmp_eq_u32_e64 s3, 2, v69
	v_cndmask_b32_e64 v17, v19, v2, s4
	v_cndmask_b32_e64 v18, v20, v6, s4
	v_cmp_eq_u32_e64 s4, 3, v69
	v_cndmask_b32_e64 v1, v1, v2, s2
	v_cndmask_b32_e64 v19, v21, v2, s3
	;; [unrolled: 1-line block ×4, first 2 shown]
	v_cndmask_b32_e32 v5, v9, v10, vcc_lo
	v_cndmask_b32_e32 v6, v13, v14, vcc_lo
	v_cmp_eq_u32_e32 vcc_lo, 3, v71
	v_cndmask_b32_e64 v9, v17, v10, s5
	v_cndmask_b32_e64 v13, v18, v14, s5
	v_cndmask_b32_e64 v18, v20, v14, s4
	v_cmp_eq_u32_e64 s3, 4, v70
	v_cndmask_b32_e32 v1, v1, v10, vcc_lo
	v_cndmask_b32_e32 v2, v2, v14, vcc_lo
	v_cmp_eq_u32_e32 vcc_lo, 4, v72
	v_lshrrev_b32_e32 v15, 16, v7
	v_lshrrev_b32_e32 v16, 16, v8
	v_cndmask_b32_e64 v17, v19, v10, s4
	v_cmp_eq_u32_e64 s2, 4, v71
	v_cndmask_b32_e64 v5, v5, v3, s3
	v_cndmask_b32_e64 v6, v6, v7, s3
	v_cndmask_b32_e32 v9, v9, v3, vcc_lo
	v_cmp_eq_u32_e64 s3, 5, v72
	v_cndmask_b32_e32 v10, v13, v7, vcc_lo
	v_cmp_eq_u32_e32 vcc_lo, 4, v69
	v_cmp_eq_u32_e64 s4, 5, v70
	v_cndmask_b32_e64 v2, v2, v7, s2
	v_cndmask_b32_e64 v9, v9, v11, s3
	;; [unrolled: 1-line block ×3, first 2 shown]
	v_cndmask_b32_e32 v13, v17, v3, vcc_lo
	v_cmp_eq_u32_e64 s3, 5, v69
	v_cndmask_b32_e32 v14, v18, v7, vcc_lo
	v_cndmask_b32_e64 v1, v1, v3, s2
	v_cmp_eq_u32_e32 vcc_lo, 5, v71
	v_lshrrev_b32_e32 v12, 16, v4
	v_cndmask_b32_e64 v13, v13, v11, s3
	v_cndmask_b32_e64 v3, v14, v15, s3
	v_cmp_eq_u32_e64 s3, 6, v71
	v_cndmask_b32_e32 v1, v1, v11, vcc_lo
	v_cndmask_b32_e64 v5, v5, v11, s4
	v_cmp_eq_u32_e64 s5, 6, v70
	v_cndmask_b32_e64 v6, v6, v15, s4
	v_cmp_eq_u32_e64 s4, 6, v72
	v_cmp_eq_u32_e64 s2, 6, v69
	v_cndmask_b32_e64 v1, v1, v4, s3
	v_cndmask_b32_e32 v2, v2, v15, vcc_lo
	v_cmp_eq_u32_e32 vcc_lo, 7, v71
	v_cndmask_b32_e64 v5, v5, v4, s5
	v_cndmask_b32_e64 v9, v9, v4, s4
	;; [unrolled: 1-line block ×3, first 2 shown]
	v_cmp_eq_u32_e64 s5, 7, v70
	v_cndmask_b32_e32 v1, v1, v12, vcc_lo
	v_cndmask_b32_e64 v7, v13, v4, s2
	v_cndmask_b32_e64 v3, v3, v8, s2
	;; [unrolled: 1-line block ×3, first 2 shown]
	v_cmp_eq_u32_e64 s2, 7, v69
	v_cndmask_b32_e64 v4, v10, v8, s4
	v_cndmask_b32_e64 v5, v5, v12, s5
	;; [unrolled: 1-line block ×3, first 2 shown]
	v_cndmask_b32_e32 v2, v2, v16, vcc_lo
	v_cndmask_b32_e64 v7, v7, v12, s2
	v_cndmask_b32_e64 v3, v3, v16, s2
	;; [unrolled: 1-line block ×4, first 2 shown]
	v_perm_b32 v4, v2, v1, 0x5040100
	s_mov_b32 s2, exec_lo
	v_perm_b32 v3, v3, v7, 0x5040100
	v_perm_b32 v2, v8, v9, 0x5040100
	;; [unrolled: 1-line block ×3, first 2 shown]
	ds_store_b128 v74, v[1:4]
	s_waitcnt lgkmcnt(0)
	s_barrier
	buffer_gl0_inv
	v_cmpx_gt_u32_e32 32, v0
	s_cbranch_execz .LBB1003_2
; %bb.15:
	s_load_b64 s[0:1], s[0:1], 0x68
	v_lshlrev_b32_e32 v0, 10, v0
	s_lshl_b32 s4, s34, 7
	v_or_b32_e32 v3, s31, v66
	s_mul_i32 s2, s4, s30
	v_lshlrev_b32_e32 v1, 4, v67
	v_lshlrev_b32_e32 v2, 6, v66
	v_and_b32_e32 v0, 0x3800, v0
	s_mul_i32 s2, s2, s7
	v_mul_lo_u32 v8, v3, s4
	s_ashr_i32 s3, s2, 31
	s_delay_alu instid0(SALU_CYCLE_1)
	s_lshl_b64 s[2:3], s[2:3], 1
	v_or3_b32 v16, v0, v1, v2
	ds_load_b128 v[0:3], v16
	ds_load_b128 v[4:7], v16 offset:128
	v_ashrrev_i32_e32 v9, 31, v8
	s_waitcnt lgkmcnt(0)
	s_add_u32 s2, s0, s2
	s_addc_u32 s3, s1, s3
	s_lshl_b32 s0, s14, 7
	s_delay_alu instid0(SALU_CYCLE_1) | instskip(SKIP_2) | instid1(SALU_CYCLE_1)
	s_ashr_i32 s1, s0, 31
	v_lshlrev_b64 v[9:10], 1, v[8:9]
	s_lshl_b64 s[0:1], s[0:1], 1
	s_add_u32 s0, s2, s0
	s_addc_u32 s1, s3, s1
	s_lshl_b32 s2, s34, 8
	v_add_co_u32 v30, s0, s0, v65
	v_add_nc_u32_e32 v11, s2, v8
	v_add_co_ci_u32_e64 v31, null, s1, 0, s0
	s_delay_alu instid0(VALU_DEP_3) | instskip(NEXT) | instid1(VALU_DEP_3)
	v_add_co_u32 v9, vcc_lo, v30, v9
	v_add_nc_u32_e32 v8, s2, v11
	s_delay_alu instid0(VALU_DEP_3) | instskip(SKIP_1) | instid1(VALU_DEP_3)
	v_add_co_ci_u32_e32 v10, vcc_lo, v31, v10, vcc_lo
	v_ashrrev_i32_e32 v12, 31, v11
	v_add_nc_u32_e32 v13, s2, v8
	global_store_b128 v[9:10], v[0:3], off
	v_ashrrev_i32_e32 v9, 31, v8
	v_lshlrev_b64 v[11:12], 1, v[11:12]
	v_ashrrev_i32_e32 v14, 31, v13
	v_add_nc_u32_e32 v10, s2, v13
	s_delay_alu instid0(VALU_DEP_4) | instskip(NEXT) | instid1(VALU_DEP_4)
	v_lshlrev_b64 v[2:3], 1, v[8:9]
	v_add_co_u32 v0, vcc_lo, v30, v11
	s_delay_alu instid0(VALU_DEP_4)
	v_lshlrev_b64 v[8:9], 1, v[13:14]
	v_add_co_ci_u32_e32 v1, vcc_lo, v31, v12, vcc_lo
	v_ashrrev_i32_e32 v11, 31, v10
	v_add_co_u32 v22, vcc_lo, v30, v2
	v_add_nc_u32_e32 v20, s2, v10
	v_add_co_ci_u32_e32 v23, vcc_lo, v31, v3, vcc_lo
	v_add_co_u32 v24, vcc_lo, v30, v8
	global_store_b128 v[0:1], v[4:7], off
	v_add_co_ci_u32_e32 v25, vcc_lo, v31, v9, vcc_lo
	ds_load_b128 v[0:3], v16 offset:256
	ds_load_b128 v[4:7], v16 offset:384
	v_lshlrev_b64 v[26:27], 1, v[10:11]
	ds_load_b128 v[8:11], v16 offset:512
	ds_load_b128 v[12:15], v16 offset:640
	;; [unrolled: 1-line block ×3, first 2 shown]
	v_add_nc_u32_e32 v28, s2, v20
	v_ashrrev_i32_e32 v21, 31, v20
	v_add_co_u32 v26, vcc_lo, v30, v26
	s_delay_alu instid0(VALU_DEP_3) | instskip(NEXT) | instid1(VALU_DEP_3)
	v_ashrrev_i32_e32 v29, 31, v28
	v_lshlrev_b64 v[20:21], 1, v[20:21]
	v_add_co_ci_u32_e32 v27, vcc_lo, v31, v27, vcc_lo
	s_delay_alu instid0(VALU_DEP_3) | instskip(NEXT) | instid1(VALU_DEP_3)
	v_lshlrev_b64 v[28:29], 1, v[28:29]
	v_add_co_u32 v20, vcc_lo, v30, v20
	s_delay_alu instid0(VALU_DEP_4) | instskip(NEXT) | instid1(VALU_DEP_3)
	v_add_co_ci_u32_e32 v21, vcc_lo, v31, v21, vcc_lo
	v_add_co_u32 v28, vcc_lo, v30, v28
	s_delay_alu instid0(VALU_DEP_4)
	v_add_co_ci_u32_e32 v29, vcc_lo, v31, v29, vcc_lo
	s_waitcnt lgkmcnt(4)
	global_store_b128 v[22:23], v[0:3], off
	s_waitcnt lgkmcnt(3)
	global_store_b128 v[24:25], v[4:7], off
	;; [unrolled: 2-line block ×5, first 2 shown]
	s_nop 0
	s_sendmsg sendmsg(MSG_DEALLOC_VGPRS)
	s_endpgm
	.section	.rodata,"a",@progbits
	.p2align	6, 0x0
	.amdhsa_kernel _Z39paged_attention_ll4mi_QKV_mfma16_kernelIDF16_hLN4vllm18Fp8KVCacheDataTypeE1EDF16_Li16ELi128ELi256ELb0ELi14EL8MFMAType1EEvPKT_PKT0_S8_ifPKiSA_SA_iPKfiiiPfSD_PS3_PT2_iSC_SC_
		.amdhsa_group_segment_fixed_size 17472
		.amdhsa_private_segment_fixed_size 0
		.amdhsa_kernarg_size 400
		.amdhsa_user_sgpr_count 13
		.amdhsa_user_sgpr_dispatch_ptr 0
		.amdhsa_user_sgpr_queue_ptr 0
		.amdhsa_user_sgpr_kernarg_segment_ptr 1
		.amdhsa_user_sgpr_dispatch_id 0
		.amdhsa_user_sgpr_private_segment_size 0
		.amdhsa_wavefront_size32 1
		.amdhsa_uses_dynamic_stack 0
		.amdhsa_enable_private_segment 0
		.amdhsa_system_sgpr_workgroup_id_x 1
		.amdhsa_system_sgpr_workgroup_id_y 1
		.amdhsa_system_sgpr_workgroup_id_z 1
		.amdhsa_system_sgpr_workgroup_info 0
		.amdhsa_system_vgpr_workitem_id 0
		.amdhsa_next_free_vgpr 150
		.amdhsa_next_free_sgpr 36
		.amdhsa_reserve_vcc 1
		.amdhsa_float_round_mode_32 0
		.amdhsa_float_round_mode_16_64 0
		.amdhsa_float_denorm_mode_32 3
		.amdhsa_float_denorm_mode_16_64 3
		.amdhsa_dx10_clamp 1
		.amdhsa_ieee_mode 1
		.amdhsa_fp16_overflow 0
		.amdhsa_workgroup_processor_mode 1
		.amdhsa_memory_ordered 1
		.amdhsa_forward_progress 0
		.amdhsa_shared_vgpr_count 0
		.amdhsa_exception_fp_ieee_invalid_op 0
		.amdhsa_exception_fp_denorm_src 0
		.amdhsa_exception_fp_ieee_div_zero 0
		.amdhsa_exception_fp_ieee_overflow 0
		.amdhsa_exception_fp_ieee_underflow 0
		.amdhsa_exception_fp_ieee_inexact 0
		.amdhsa_exception_int_div_zero 0
	.end_amdhsa_kernel
	.section	.text._Z39paged_attention_ll4mi_QKV_mfma16_kernelIDF16_hLN4vllm18Fp8KVCacheDataTypeE1EDF16_Li16ELi128ELi256ELb0ELi14EL8MFMAType1EEvPKT_PKT0_S8_ifPKiSA_SA_iPKfiiiPfSD_PS3_PT2_iSC_SC_,"axG",@progbits,_Z39paged_attention_ll4mi_QKV_mfma16_kernelIDF16_hLN4vllm18Fp8KVCacheDataTypeE1EDF16_Li16ELi128ELi256ELb0ELi14EL8MFMAType1EEvPKT_PKT0_S8_ifPKiSA_SA_iPKfiiiPfSD_PS3_PT2_iSC_SC_,comdat
.Lfunc_end1003:
	.size	_Z39paged_attention_ll4mi_QKV_mfma16_kernelIDF16_hLN4vllm18Fp8KVCacheDataTypeE1EDF16_Li16ELi128ELi256ELb0ELi14EL8MFMAType1EEvPKT_PKT0_S8_ifPKiSA_SA_iPKfiiiPfSD_PS3_PT2_iSC_SC_, .Lfunc_end1003-_Z39paged_attention_ll4mi_QKV_mfma16_kernelIDF16_hLN4vllm18Fp8KVCacheDataTypeE1EDF16_Li16ELi128ELi256ELb0ELi14EL8MFMAType1EEvPKT_PKT0_S8_ifPKiSA_SA_iPKfiiiPfSD_PS3_PT2_iSC_SC_
                                        ; -- End function
	.section	.AMDGPU.csdata,"",@progbits
; Kernel info:
; codeLenInByte = 6804
; NumSgprs: 38
; NumVgprs: 150
; ScratchSize: 0
; MemoryBound: 0
; FloatMode: 240
; IeeeMode: 1
; LDSByteSize: 17472 bytes/workgroup (compile time only)
; SGPRBlocks: 4
; VGPRBlocks: 18
; NumSGPRsForWavesPerEU: 38
; NumVGPRsForWavesPerEU: 150
; Occupancy: 9
; WaveLimiterHint : 1
; COMPUTE_PGM_RSRC2:SCRATCH_EN: 0
; COMPUTE_PGM_RSRC2:USER_SGPR: 13
; COMPUTE_PGM_RSRC2:TRAP_HANDLER: 0
; COMPUTE_PGM_RSRC2:TGID_X_EN: 1
; COMPUTE_PGM_RSRC2:TGID_Y_EN: 1
; COMPUTE_PGM_RSRC2:TGID_Z_EN: 1
; COMPUTE_PGM_RSRC2:TIDIG_COMP_CNT: 0
	.section	.text._Z39paged_attention_ll4mi_QKV_mfma16_kernelIDF16_hLN4vllm18Fp8KVCacheDataTypeE1EDF16_Li16ELi128ELi256ELb0ELi15EL8MFMAType1EEvPKT_PKT0_S8_ifPKiSA_SA_iPKfiiiPfSD_PS3_PT2_iSC_SC_,"axG",@progbits,_Z39paged_attention_ll4mi_QKV_mfma16_kernelIDF16_hLN4vllm18Fp8KVCacheDataTypeE1EDF16_Li16ELi128ELi256ELb0ELi15EL8MFMAType1EEvPKT_PKT0_S8_ifPKiSA_SA_iPKfiiiPfSD_PS3_PT2_iSC_SC_,comdat
	.protected	_Z39paged_attention_ll4mi_QKV_mfma16_kernelIDF16_hLN4vllm18Fp8KVCacheDataTypeE1EDF16_Li16ELi128ELi256ELb0ELi15EL8MFMAType1EEvPKT_PKT0_S8_ifPKiSA_SA_iPKfiiiPfSD_PS3_PT2_iSC_SC_ ; -- Begin function _Z39paged_attention_ll4mi_QKV_mfma16_kernelIDF16_hLN4vllm18Fp8KVCacheDataTypeE1EDF16_Li16ELi128ELi256ELb0ELi15EL8MFMAType1EEvPKT_PKT0_S8_ifPKiSA_SA_iPKfiiiPfSD_PS3_PT2_iSC_SC_
	.globl	_Z39paged_attention_ll4mi_QKV_mfma16_kernelIDF16_hLN4vllm18Fp8KVCacheDataTypeE1EDF16_Li16ELi128ELi256ELb0ELi15EL8MFMAType1EEvPKT_PKT0_S8_ifPKiSA_SA_iPKfiiiPfSD_PS3_PT2_iSC_SC_
	.p2align	8
	.type	_Z39paged_attention_ll4mi_QKV_mfma16_kernelIDF16_hLN4vllm18Fp8KVCacheDataTypeE1EDF16_Li16ELi128ELi256ELb0ELi15EL8MFMAType1EEvPKT_PKT0_S8_ifPKiSA_SA_iPKfiiiPfSD_PS3_PT2_iSC_SC_,@function
_Z39paged_attention_ll4mi_QKV_mfma16_kernelIDF16_hLN4vllm18Fp8KVCacheDataTypeE1EDF16_Li16ELi128ELi256ELb0ELi15EL8MFMAType1EEvPKT_PKT0_S8_ifPKiSA_SA_iPKfiiiPfSD_PS3_PT2_iSC_SC_: ; @_Z39paged_attention_ll4mi_QKV_mfma16_kernelIDF16_hLN4vllm18Fp8KVCacheDataTypeE1EDF16_Li16ELi128ELi256ELb0ELi15EL8MFMAType1EEvPKT_PKT0_S8_ifPKiSA_SA_iPKfiiiPfSD_PS3_PT2_iSC_SC_
; %bb.0:
	s_load_b64 s[4:5], s[0:1], 0x30
	s_mov_b32 s34, s13
	s_waitcnt lgkmcnt(0)
	s_cmp_lg_u64 s[4:5], 0
	s_cselect_b32 s8, -1, 0
	s_ashr_i32 s35, s13, 31
	s_cmp_eq_u64 s[4:5], 0
	s_cbranch_scc1 .LBB1004_3
; %bb.1:
	s_lshl_b64 s[2:3], s[34:35], 2
	s_delay_alu instid0(SALU_CYCLE_1) | instskip(SKIP_4) | instid1(SALU_CYCLE_1)
	s_add_u32 s2, s4, s2
	s_addc_u32 s3, s5, s3
	s_load_b64 s[2:3], s[2:3], 0x0
	s_waitcnt lgkmcnt(0)
	s_sub_i32 s2, s3, s2
	s_cmp_eq_u32 s2, 1
	s_cselect_b32 s2, -1, 0
	s_delay_alu instid0(SALU_CYCLE_1)
	s_and_not1_b32 vcc_lo, exec_lo, s2
	s_cbranch_vccz .LBB1004_4
.LBB1004_2:
	s_nop 0
	s_sendmsg sendmsg(MSG_DEALLOC_VGPRS)
	s_endpgm
.LBB1004_3:
.LBB1004_4:
	s_load_b64 s[2:3], s[0:1], 0x28
	s_lshl_b64 s[6:7], s[34:35], 2
	s_waitcnt lgkmcnt(0)
	s_add_u32 s2, s2, s6
	s_addc_u32 s3, s3, s7
	s_lshl_b32 s12, s14, 8
	s_load_b32 s24, s[2:3], 0x0
	s_waitcnt lgkmcnt(0)
	s_cmp_ge_i32 s12, s24
	s_cbranch_scc1 .LBB1004_2
; %bb.5:
	s_clause 0x1
	s_load_b128 s[20:23], s[0:1], 0x8
	s_load_b64 s[2:3], s[0:1], 0x20
	s_and_not1_b32 vcc_lo, exec_lo, s8
	s_cbranch_vccnz .LBB1004_7
; %bb.6:
	s_add_u32 s4, s4, s6
	s_addc_u32 s5, s5, s7
	s_load_b32 s5, s[4:5], 0x0
	s_branch .LBB1004_8
.LBB1004_7:
	s_mov_b32 s5, s34
.LBB1004_8:
	s_load_b128 s[16:19], s[0:1], 0x48
	v_and_b32_e32 v68, 15, v0
	v_lshrrev_b32_e32 v69, 5, v0
	v_bfe_u32 v66, v0, 4, 1
	v_and_b32_e32 v70, 31, v0
	v_and_b32_e32 v67, 1, v0
	v_lshlrev_b32_e32 v2, 3, v68
	s_mul_i32 s31, s15, 15
	v_lshl_or_b32 v1, v69, 1, v66
	s_mov_b32 s4, exec_lo
	s_delay_alu instid0(VALU_DEP_2) | instskip(NEXT) | instid1(VALU_DEP_2)
	v_lshlrev_b32_e32 v65, 1, v2
	v_cmpx_gt_u32_e32 15, v1
	s_cbranch_execz .LBB1004_10
; %bb.9:
	s_load_b64 s[6:7], s[0:1], 0x0
	v_add_lshl_u32 v2, v1, s31, 7
	s_waitcnt lgkmcnt(0)
	s_mul_hi_i32 s9, s5, s16
	s_mul_i32 s8, s5, s16
	v_lshlrev_b32_e32 v6, 10, v68
	s_lshl_b64 s[8:9], s[8:9], 1
	v_ashrrev_i32_e32 v3, 31, v2
	v_lshlrev_b32_e32 v1, 6, v1
	v_lshlrev_b32_e32 v7, 10, v67
	v_and_b32_e32 v6, 0x3800, v6
	s_delay_alu instid0(VALU_DEP_4) | instskip(NEXT) | instid1(VALU_DEP_2)
	v_lshlrev_b64 v[2:3], 1, v[2:3]
	v_or3_b32 v1, v6, v7, v1
	s_add_u32 s5, s6, s8
	s_addc_u32 s6, s7, s9
	s_delay_alu instid0(VALU_DEP_2) | instskip(NEXT) | instid1(VALU_DEP_3)
	v_add_co_u32 v2, vcc_lo, s5, v2
	v_add_co_ci_u32_e32 v3, vcc_lo, s6, v3, vcc_lo
	s_delay_alu instid0(VALU_DEP_2) | instskip(NEXT) | instid1(VALU_DEP_2)
	v_add_co_u32 v2, vcc_lo, v2, v65
	v_add_co_ci_u32_e32 v3, vcc_lo, 0, v3, vcc_lo
	global_load_b128 v[2:5], v[2:3], off
	s_waitcnt vmcnt(0)
	ds_store_b128 v1, v[2:5]
.LBB1004_10:
	s_or_b32 exec_lo, exec_lo, s4
	v_and_b32_e32 v1, 0xef, v0
	s_waitcnt lgkmcnt(0)
	s_add_i32 s5, s24, 15
	s_clause 0x1
	s_load_b32 s4, s[0:1], 0x38
	s_load_b32 s33, s[0:1], 0x98
	s_ashr_i32 s6, s5, 31
	v_add_nc_u32_e32 v1, s12, v1
	s_lshr_b32 s6, s6, 28
	s_load_b32 s19, s[0:1], 0x1c
	s_add_i32 s5, s5, s6
	s_waitcnt lgkmcnt(0)
	v_ashrrev_i32_e32 v2, 31, v1
	v_or_b32_e32 v3, 16, v1
	s_ashr_i32 s13, s5, 4
	v_cmp_gt_i32_e32 vcc_lo, s24, v1
	s_add_i32 s13, s13, -1
	v_lshrrev_b32_e32 v2, 28, v2
	s_barrier
	buffer_gl0_inv
	s_mul_i32 s15, s15, s18
	v_add_nc_u32_e32 v4, v1, v2
	s_mul_i32 s4, s34, s4
	s_delay_alu instid0(SALU_CYCLE_1) | instskip(NEXT) | instid1(VALU_DEP_1)
	s_ashr_i32 s5, s4, 31
	v_ashrrev_i32_e32 v4, 4, v4
	v_add_nc_u32_e32 v2, v3, v2
	s_lshl_b64 s[4:5], s[4:5], 2
	s_delay_alu instid0(SALU_CYCLE_1) | instskip(NEXT) | instid1(VALU_DEP_2)
	s_add_u32 s16, s2, s4
	v_cndmask_b32_e32 v1, s13, v4, vcc_lo
	s_delay_alu instid0(VALU_DEP_2)
	v_ashrrev_i32_e32 v2, 4, v2
	v_cmp_gt_i32_e32 vcc_lo, s24, v3
	s_addc_u32 s25, s3, s5
	s_ashr_i32 s18, s15, 31
	s_add_u32 s26, s20, s15
	s_addc_u32 s27, s21, s18
	v_cndmask_b32_e32 v3, s13, v2, vcc_lo
	v_ashrrev_i32_e32 v2, 31, v1
	s_lshl_b32 s2, s14, 4
	s_delay_alu instid0(SALU_CYCLE_1) | instskip(NEXT) | instid1(VALU_DEP_2)
	s_ashr_i32 s3, s2, 31
	v_ashrrev_i32_e32 v4, 31, v3
	s_delay_alu instid0(VALU_DEP_2) | instskip(SKIP_1) | instid1(SALU_CYCLE_1)
	v_lshlrev_b64 v[1:2], 2, v[1:2]
	s_lshl_b64 s[2:3], s[2:3], 2
	s_add_u32 s2, s16, s2
	s_delay_alu instid0(VALU_DEP_2) | instskip(SKIP_1) | instid1(VALU_DEP_2)
	v_lshlrev_b64 v[3:4], 2, v[3:4]
	s_addc_u32 s3, s25, s3
	v_add_co_u32 v1, vcc_lo, s16, v1
	v_add_co_ci_u32_e32 v2, vcc_lo, s25, v2, vcc_lo
	s_delay_alu instid0(VALU_DEP_3) | instskip(NEXT) | instid1(VALU_DEP_4)
	v_add_co_u32 v3, vcc_lo, s16, v3
	v_add_co_ci_u32_e32 v4, vcc_lo, s25, v4, vcc_lo
	s_clause 0x1
	global_load_b32 v5, v[1:2], off
	global_load_b32 v7, v[3:4], off
	s_or_b32 s4, s12, 32
	v_lshlrev_b32_e32 v1, 4, v0
	s_ashr_i32 s5, s4, 4
	s_cmp_lt_i32 s4, s24
	v_cmp_ne_u32_e32 vcc_lo, 15, v68
	s_cselect_b32 s4, s5, s13
	v_and_b32_e32 v1, 0xf0, v1
	s_ashr_i32 s5, s4, 31
	s_delay_alu instid0(SALU_CYCLE_1) | instskip(NEXT) | instid1(SALU_CYCLE_1)
	s_lshl_b64 s[4:5], s[4:5], 2
	s_add_u32 s4, s16, s4
	s_addc_u32 s5, s25, s5
	s_or_b32 s6, s12, 64
	v_add_co_u32 v1, s26, s26, v1
	s_ashr_i32 s7, s6, 4
	s_cmp_lt_i32 s6, s24
	v_add_co_ci_u32_e64 v2, null, s27, 0, s26
	s_cselect_b32 s6, s7, s13
	s_delay_alu instid0(SALU_CYCLE_1) | instskip(NEXT) | instid1(SALU_CYCLE_1)
	s_ashr_i32 s7, s6, 31
	s_lshl_b64 s[6:7], s[6:7], 2
	s_delay_alu instid0(SALU_CYCLE_1) | instskip(SKIP_2) | instid1(SALU_CYCLE_1)
	s_add_u32 s6, s16, s6
	s_addc_u32 s7, s25, s7
	s_or_b32 s8, s12, 0x60
	s_ashr_i32 s9, s8, 4
	s_cmp_lt_i32 s8, s24
	s_cselect_b32 s8, s9, s13
	s_delay_alu instid0(SALU_CYCLE_1) | instskip(NEXT) | instid1(SALU_CYCLE_1)
	s_ashr_i32 s9, s8, 31
	s_lshl_b64 s[8:9], s[8:9], 2
	s_delay_alu instid0(SALU_CYCLE_1) | instskip(SKIP_2) | instid1(SALU_CYCLE_1)
	s_add_u32 s8, s16, s8
	s_addc_u32 s9, s25, s9
	s_or_b32 s10, s12, 0x80
	s_ashr_i32 s11, s10, 4
	s_cmp_lt_i32 s10, s24
	;; [unrolled: 10-line block ×3, first 2 shown]
	s_cselect_b32 s20, s21, s13
	s_delay_alu instid0(SALU_CYCLE_1) | instskip(NEXT) | instid1(SALU_CYCLE_1)
	s_ashr_i32 s21, s20, 31
	s_lshl_b64 s[20:21], s[20:21], 2
	s_delay_alu instid0(SALU_CYCLE_1)
	s_add_u32 s20, s16, s20
	s_addc_u32 s21, s25, s21
	s_clause 0x5
	s_load_b32 s26, s[2:3], 0x0
	s_load_b32 s27, s[4:5], 0x0
	;; [unrolled: 1-line block ×6, first 2 shown]
	s_or_b32 s2, s12, 0xc0
	s_mov_b32 s4, 0
	s_ashr_i32 s3, s2, 4
	s_cmp_lt_i32 s2, s24
	s_mov_b32 s11, s4
	s_cselect_b32 s2, s3, s13
	s_mov_b32 s5, s4
	s_ashr_i32 s3, s2, 31
	s_mov_b32 s6, s4
	s_lshl_b64 s[2:3], s[2:3], 2
	s_mov_b32 s7, s4
	s_add_u32 s2, s16, s2
	s_addc_u32 s3, s25, s3
	s_or_b32 s20, s12, 0xe0
	s_mov_b32 s8, s4
	s_ashr_i32 s21, s20, 4
	s_cmp_lt_i32 s20, s24
	s_mov_b32 s9, s4
	s_cselect_b32 s20, s21, s13
	s_mov_b32 s10, s4
	s_ashr_i32 s21, s20, 31
	v_mov_b32_e32 v118, s11
	v_dual_mov_b32 v112, s5 :: v_dual_mov_b32 v117, s10
	v_dual_mov_b32 v116, s9 :: v_dual_mov_b32 v115, s8
	;; [unrolled: 1-line block ×3, first 2 shown]
	v_mov_b32_e32 v111, s4
	s_lshl_b64 s[4:5], s[20:21], 2
	s_delay_alu instid0(SALU_CYCLE_1)
	s_add_u32 s4, s16, s4
	s_addc_u32 s5, s25, s5
	s_add_u32 s6, s22, s15
	s_addc_u32 s7, s23, s18
	s_waitcnt vmcnt(1)
	v_mad_i64_i32 v[3:4], null, v5, s17, v[1:2]
	s_waitcnt vmcnt(0)
	v_mad_i64_i32 v[5:6], null, v7, s17, v[1:2]
	v_cndmask_b32_e32 v1, 0, v68, vcc_lo
	v_lshlrev_b32_e32 v2, 4, v68
	s_clause 0xf
	global_load_b128 v[17:20], v[3:4], off
	global_load_b128 v[21:24], v[3:4], off offset:256
	global_load_b128 v[25:28], v[5:6], off
	global_load_b128 v[29:32], v[5:6], off offset:256
	global_load_b128 v[57:60], v[3:4], off offset:512
	;; [unrolled: 1-line block ×13, first 2 shown]
	v_lshlrev_b32_e32 v149, 6, v1
	v_lshl_or_b32 v1, v69, 8, v2
	ds_load_b128 v[119:122], v149
	ds_load_b128 v[123:126], v149 offset:1024
	ds_load_b128 v[127:130], v149 offset:2048
	;; [unrolled: 1-line block ×3, first 2 shown]
	s_clause 0x1
	s_load_b32 s2, s[2:3], 0x0
	s_load_b32 s3, s[4:5], 0x0
	v_add_co_u32 v135, s6, s6, v1
	s_delay_alu instid0(VALU_DEP_1) | instskip(SKIP_1) | instid1(VALU_DEP_1)
	v_add_co_ci_u32_e64 v136, null, s7, 0, s6
	s_waitcnt lgkmcnt(0)
	v_mad_i64_i32 v[1:2], null, s26, s17, v[135:136]
	v_mad_i64_i32 v[3:4], null, s27, s17, v[135:136]
	;; [unrolled: 1-line block ×6, first 2 shown]
	s_clause 0x9
	global_load_b128 v[49:52], v[1:2], off
	global_load_b128 v[53:56], v[1:2], off offset:16
	global_load_b128 v[41:44], v[3:4], off
	global_load_b128 v[45:48], v[3:4], off offset:16
	;; [unrolled: 2-line block ×5, first 2 shown]
	v_mad_i64_i32 v[145:146], null, s2, s17, v[135:136]
	v_mad_i64_i32 v[147:148], null, s3, s17, v[135:136]
	s_waitcnt vmcnt(24)
	v_wmma_f32_16x16x16_f16 v[135:142], v[17:24], v[119:126], v[111:118]
	s_waitcnt vmcnt(22)
	v_wmma_f32_16x16x16_f16 v[111:118], v[25:32], v[119:126], v[111:118]
	s_clause 0x3
	global_load_b128 v[17:20], v[143:144], off
	global_load_b128 v[21:24], v[143:144], off offset:16
	global_load_b128 v[25:28], v[145:146], off
	global_load_b128 v[29:32], v[145:146], off offset:16
	v_and_b32_e32 v119, 0xe0, v0
	s_waitcnt vmcnt(24)
	v_wmma_f32_16x16x16_f16 v[135:142], v[57:64], v[127:134], v[135:142]
	s_clause 0x1
	global_load_b128 v[57:60], v[147:148], off
	global_load_b128 v[61:64], v[147:148], off offset:16
	s_waitcnt vmcnt(24)
	v_wmma_f32_16x16x16_f16 v[111:118], v[71:78], v[127:134], v[111:118]
	ds_load_b128 v[71:74], v149 offset:4096
	ds_load_b128 v[75:78], v149 offset:5120
	v_add_nc_u32_e32 v128, s12, v119
	ds_load_b128 v[119:122], v149 offset:6144
	ds_load_b128 v[123:126], v149 offset:7168
	v_mbcnt_lo_u32_b32 v127, -1, 0
	s_waitcnt vmcnt(0) lgkmcnt(0)
	s_barrier
	v_or_b32_e32 v128, v128, v66
	buffer_gl0_inv
	v_xor_b32_e32 v129, 16, v127
	v_or_b32_e32 v130, 4, v128
	v_or_b32_e32 v131, 6, v128
	s_delay_alu instid0(VALU_DEP_3) | instskip(SKIP_4) | instid1(VALU_DEP_4)
	v_cmp_gt_i32_e32 vcc_lo, 32, v129
	v_or_b32_e32 v132, 8, v128
	v_or_b32_e32 v133, 10, v128
	v_cmp_gt_i32_e64 s3, s24, v130
	v_cmp_gt_i32_e64 s4, s24, v131
	;; [unrolled: 1-line block ×3, first 2 shown]
	v_wmma_f32_16x16x16_f16 v[135:142], v[79:86], v[71:78], v[135:142]
	v_wmma_f32_16x16x16_f16 v[111:118], v[87:94], v[71:78], v[111:118]
	v_or_b32_e32 v79, 12, v128
	v_or_b32_e32 v80, 14, v128
	v_cmp_gt_i32_e64 s6, s24, v133
	v_wmma_f32_16x16x16_f16 v[135:142], v[95:102], v[119:126], v[135:142]
	v_wmma_f32_16x16x16_f16 v[111:118], v[103:110], v[119:126], v[111:118]
	v_cndmask_b32_e32 v127, v127, v129, vcc_lo
	v_or_b32_e32 v129, 2, v128
	v_cmp_gt_i32_e32 vcc_lo, s24, v128
	s_delay_alu instid0(VALU_DEP_4) | instskip(SKIP_1) | instid1(VALU_DEP_4)
	v_dual_mul_f32 v87, s19, v136 :: v_dual_mul_f32 v94, s19, v113
	v_mul_f32_e32 v88, s19, v135
	v_cmp_gt_i32_e64 s2, s24, v129
	v_mul_f32_e32 v78, s19, v138
	v_mul_f32_e32 v86, s19, v137
	;; [unrolled: 1-line block ×3, first 2 shown]
	v_cndmask_b32_e32 v88, 0xff7fffff, v88, vcc_lo
	v_cndmask_b32_e64 v87, 0xff7fffff, v87, s2
	v_dual_mul_f32 v77, s19, v139 :: v_dual_mul_f32 v90, s19, v117
	v_cndmask_b32_e64 v86, 0xff7fffff, v86, s3
	v_cndmask_b32_e64 v78, 0xff7fffff, v78, s4
	s_delay_alu instid0(VALU_DEP_4)
	v_max3_f32 v87, v88, 0xff7fffff, v87
	v_or_b32_e32 v81, 16, v128
	v_or_b32_e32 v82, 18, v128
	v_dual_mul_f32 v74, s19, v142 :: v_dual_mul_f32 v75, s19, v141
	v_mul_f32_e32 v96, s19, v111
	v_cndmask_b32_e64 v77, 0xff7fffff, v77, s5
	v_cndmask_b32_e64 v76, 0xff7fffff, v76, s6
	v_max3_f32 v78, v87, v86, v78
	v_cmp_gt_i32_e64 s7, s24, v79
	v_cmp_gt_i32_e64 s8, s24, v80
	v_or_b32_e32 v83, 20, v128
	v_or_b32_e32 v84, 22, v128
	v_mul_f32_e32 v95, s19, v112
	v_cndmask_b32_e64 v75, 0xff7fffff, v75, s7
	v_cndmask_b32_e64 v74, 0xff7fffff, v74, s8
	v_max3_f32 v76, v78, v77, v76
	v_cmp_gt_i32_e64 s9, s24, v81
	v_cmp_gt_i32_e64 s10, s24, v82
	v_or_b32_e32 v85, 24, v128
	v_or_b32_e32 v71, 26, v128
	;; [unrolled: 8-line block ×3, first 2 shown]
	v_dual_mul_f32 v91, s19, v116 :: v_dual_mul_f32 v92, s19, v115
	v_cndmask_b32_e64 v75, 0xff7fffff, v94, s11
	v_cndmask_b32_e64 v76, 0xff7fffff, v93, s12
	v_max3_f32 v74, v74, v77, v78
	v_cmp_gt_i32_e64 s13, s24, v85
	v_cmp_gt_i32_e64 s15, s24, v71
	v_mul_f32_e32 v89, s19, v118
	v_cmp_gt_i32_e64 s16, s24, v72
	v_max3_f32 v74, v74, v75, v76
	v_cndmask_b32_e64 v77, 0xff7fffff, v92, s13
	v_cndmask_b32_e64 v71, 0xff7fffff, v91, s15
	v_cmp_gt_i32_e64 s17, s24, v73
	v_cndmask_b32_e64 v72, 0xff7fffff, v90, s16
	s_delay_alu instid0(VALU_DEP_3) | instskip(SKIP_1) | instid1(VALU_DEP_4)
	v_max3_f32 v71, v74, v77, v71
	v_lshlrev_b32_e32 v74, 2, v127
	v_cndmask_b32_e64 v73, 0xff7fffff, v89, s17
	s_delay_alu instid0(VALU_DEP_1) | instskip(SKIP_3) | instid1(VALU_DEP_1)
	v_max3_f32 v71, v71, v72, v73
	ds_bpermute_b32 v72, v74, v71
	s_waitcnt lgkmcnt(0)
	v_max_f32_e32 v72, v72, v72
	v_max_f32_e32 v71, v71, v72
	s_delay_alu instid0(VALU_DEP_1) | instskip(SKIP_4) | instid1(VALU_DEP_4)
	v_fma_f32 v72, s19, v135, -v71
	v_fma_f32 v73, s19, v136, -v71
	;; [unrolled: 1-line block ×5, first 2 shown]
	v_dual_mul_f32 v72, 0x3fb8aa3b, v72 :: v_dual_mul_f32 v73, 0x3fb8aa3b, v73
	s_delay_alu instid0(VALU_DEP_3) | instskip(SKIP_1) | instid1(VALU_DEP_3)
	v_dual_mul_f32 v75, 0x3fb8aa3b, v75 :: v_dual_mul_f32 v76, 0x3fb8aa3b, v76
	v_fma_f32 v80, s19, v141, -v71
	v_exp_f32_e32 v72, v72
	s_delay_alu instid0(VALU_DEP_3) | instskip(NEXT) | instid1(VALU_DEP_2)
	v_exp_f32_e32 v73, v73
	v_exp_f32_e32 v75, v75
	v_exp_f32_e32 v76, v76
	v_mul_f32_e32 v82, 0x3fb8aa3b, v80
	s_delay_alu instid0(VALU_DEP_1) | instskip(SKIP_4) | instid1(TRANS32_DEP_3)
	v_exp_f32_e32 v84, v82
	v_cndmask_b32_e32 v79, 0, v72, vcc_lo
	v_fma_f32 v72, s19, v140, -v71
	v_mul_f32_e32 v77, 0x3fb8aa3b, v77
	v_cndmask_b32_e64 v78, 0, v73, s2
	v_cndmask_b32_e64 v81, 0, v75, s3
	s_delay_alu instid0(VALU_DEP_4) | instskip(NEXT) | instid1(VALU_DEP_4)
	v_dual_add_f32 v73, 0, v79 :: v_dual_mul_f32 v72, 0x3fb8aa3b, v72
	v_exp_f32_e32 v77, v77
	v_cndmask_b32_e64 v80, 0, v76, s4
	s_delay_alu instid0(TRANS32_DEP_2) | instskip(NEXT) | instid1(VALU_DEP_3)
	v_cndmask_b32_e64 v85, 0, v84, s7
	v_add_f32_e32 v73, v73, v78
	v_exp_f32_e32 v72, v72
	v_cmp_gt_u32_e64 s2, 16, v70
	s_delay_alu instid0(VALU_DEP_2) | instskip(NEXT) | instid1(TRANS32_DEP_2)
	v_add_f32_e32 v73, v73, v81
	v_cndmask_b32_e64 v83, 0, v77, s5
	s_delay_alu instid0(VALU_DEP_2) | instskip(SKIP_3) | instid1(VALU_DEP_1)
	v_add_f32_e32 v73, v73, v80
	s_waitcnt_depctr 0xfff
	v_cndmask_b32_e64 v82, 0, v72, s6
	v_add_f32_e32 v72, v73, v83
	v_add_f32_e32 v72, v72, v82
	s_delay_alu instid0(VALU_DEP_1)
	v_add_f32_e32 v72, v72, v85
	v_fma_f32 v76, s19, v111, -v71
	v_fma_f32 v75, s19, v142, -v71
	;; [unrolled: 1-line block ×5, first 2 shown]
	s_delay_alu instid0(VALU_DEP_4) | instskip(NEXT) | instid1(VALU_DEP_3)
	v_dual_mul_f32 v76, 0x3fb8aa3b, v76 :: v_dual_mul_f32 v75, 0x3fb8aa3b, v75
	v_mul_f32_e32 v86, 0x3fb8aa3b, v86
	s_delay_alu instid0(VALU_DEP_2) | instskip(NEXT) | instid1(VALU_DEP_2)
	v_exp_f32_e32 v76, v76
	v_exp_f32_e32 v75, v75
	s_delay_alu instid0(VALU_DEP_1) | instskip(NEXT) | instid1(TRANS32_DEP_3)
	v_exp_f32_e32 v88, v86
	v_cndmask_b32_e64 v87, 0, v76, s9
	v_fma_f32 v76, s19, v116, -v71
	v_mul_f32_e32 v77, 0x3fb8aa3b, v77
	s_waitcnt_depctr 0xfff
	v_cndmask_b32_e64 v84, 0, v75, s8
	v_fma_f32 v75, s19, v115, -v71
	v_cndmask_b32_e64 v88, 0, v88, s12
	v_mul_f32_e32 v76, 0x3fb8aa3b, v76
	v_exp_f32_e32 v77, v77
	v_add_f32_e32 v72, v72, v84
	s_delay_alu instid0(VALU_DEP_2) | instskip(NEXT) | instid1(VALU_DEP_1)
	v_exp_f32_e32 v76, v76
	v_add_f32_e32 v72, v72, v87
	s_waitcnt_depctr 0xfff
	v_cndmask_b32_e64 v86, 0, v77, s10
	v_mul_f32_e32 v73, 0x3fb8aa3b, v73
	v_fma_f32 v77, s19, v117, -v71
	v_cndmask_b32_e64 v90, 0, v76, s15
	s_delay_alu instid0(VALU_DEP_4) | instskip(NEXT) | instid1(VALU_DEP_4)
	v_add_f32_e32 v72, v72, v86
	v_exp_f32_e32 v73, v73
	s_waitcnt_depctr 0xfff
	v_cndmask_b32_e64 v89, 0, v73, s11
	s_delay_alu instid0(VALU_DEP_1) | instskip(NEXT) | instid1(VALU_DEP_1)
	v_dual_mul_f32 v75, 0x3fb8aa3b, v75 :: v_dual_add_f32 v72, v72, v89
	v_exp_f32_e32 v75, v75
	v_mul_f32_e32 v73, 0x3fb8aa3b, v77
	v_fma_f32 v77, s19, v118, -v71
	s_delay_alu instid0(VALU_DEP_3) | instskip(NEXT) | instid1(VALU_DEP_3)
	v_add_f32_e32 v72, v72, v88
	v_exp_f32_e32 v73, v73
	s_waitcnt_depctr 0xfff
	v_cndmask_b32_e64 v91, 0, v75, s13
	s_delay_alu instid0(VALU_DEP_1) | instskip(NEXT) | instid1(VALU_DEP_1)
	v_dual_mul_f32 v75, 0x3fb8aa3b, v77 :: v_dual_add_f32 v72, v72, v91
	v_exp_f32_e32 v75, v75
	v_cndmask_b32_e64 v93, 0, v73, s16
	s_delay_alu instid0(VALU_DEP_2) | instskip(NEXT) | instid1(VALU_DEP_1)
	v_add_f32_e32 v72, v72, v90
	v_add_f32_e32 v72, v72, v93
	s_waitcnt_depctr 0xfff
	v_cndmask_b32_e64 v92, 0, v75, s17
	s_delay_alu instid0(VALU_DEP_1)
	v_add_f32_e32 v72, v72, v92
	ds_bpermute_b32 v73, v74, v72
	s_and_saveexec_b32 s3, s2
	s_cbranch_execz .LBB1004_12
; %bb.11:
	v_mul_u32_u24_e32 v70, 0x44, v69
	s_waitcnt lgkmcnt(0)
	v_add_f32_e32 v72, v72, v73
	s_delay_alu instid0(VALU_DEP_2) | instskip(NEXT) | instid1(VALU_DEP_1)
	v_lshl_add_u32 v70, v68, 2, v70
	v_add_nc_u32_e32 v70, 0x4000, v70
	ds_store_2addr_b32 v70, v71, v72 offset1:136
.LBB1004_12:
	s_or_b32 exec_lo, exec_lo, s3
	v_lshlrev_b32_e32 v70, 2, v68
	s_load_b32 s35, s[0:1], 0x94
	s_waitcnt lgkmcnt(0)
	s_barrier
	buffer_gl0_inv
	v_add_nc_u32_e32 v98, 0x4000, v70
	v_cmp_eq_u32_e32 vcc_lo, 1, v69
	v_cmp_eq_u32_e64 s3, 2, v69
	v_cmp_eq_u32_e64 s4, 3, v69
	;; [unrolled: 1-line block ×3, first 2 shown]
	ds_load_2addr_b32 v[70:71], v98 offset1:17
	ds_load_2addr_b32 v[72:73], v98 offset0:34 offset1:51
	ds_load_2addr_b32 v[74:75], v98 offset0:68 offset1:85
	;; [unrolled: 1-line block ×3, first 2 shown]
	v_cmp_eq_u32_e64 s6, 5, v69
	v_cmp_eq_u32_e64 s7, 7, v69
	s_waitcnt lgkmcnt(3)
	v_max3_f32 v76, v70, 0xff7fffff, v71
	s_waitcnt lgkmcnt(2)
	s_delay_alu instid0(VALU_DEP_1) | instskip(SKIP_1) | instid1(VALU_DEP_1)
	v_max3_f32 v76, v76, v72, v73
	s_waitcnt lgkmcnt(1)
	v_max3_f32 v76, v76, v74, v75
	s_waitcnt lgkmcnt(0)
	s_delay_alu instid0(VALU_DEP_1) | instskip(NEXT) | instid1(VALU_DEP_1)
	v_max3_f32 v76, v76, v94, v95
	v_sub_f32_e32 v77, v71, v76
	ds_load_2addr_b32 v[96:97], v98 offset0:136 offset1:153
	v_sub_f32_e32 v74, v74, v76
	v_sub_f32_e32 v70, v70, v76
	;; [unrolled: 1-line block ×3, first 2 shown]
	v_dual_sub_f32 v72, v72, v76 :: v_dual_mul_f32 v77, 0x3fb8aa3b, v77
	s_delay_alu instid0(VALU_DEP_4) | instskip(NEXT) | instid1(VALU_DEP_4)
	v_mul_f32_e32 v103, 0x3fb8aa3b, v74
	v_mul_f32_e32 v99, 0x3fb8aa3b, v70
	ds_load_2addr_b32 v[70:71], v98 offset0:170 offset1:187
	v_dual_mul_f32 v101, 0x3fb8aa3b, v72 :: v_dual_mul_f32 v94, 0x3fb8aa3b, v94
	v_exp_f32_e32 v102, v77
	v_exp_f32_e32 v99, v99
	s_delay_alu instid0(VALU_DEP_1) | instskip(NEXT) | instid1(VALU_DEP_1)
	v_exp_f32_e32 v101, v101
	v_exp_f32_e32 v94, v94
	s_waitcnt lgkmcnt(1)
	s_delay_alu instid0(TRANS32_DEP_3)
	v_fma_f32 v77, v99, v96, 0
	v_sub_f32_e32 v100, v73, v76
	ds_load_2addr_b32 v[72:73], v98 offset0:204 offset1:221
	v_fmac_f32_e32 v77, v102, v97
	v_exp_f32_e32 v97, v103
	s_waitcnt lgkmcnt(1)
	s_delay_alu instid0(VALU_DEP_1)
	v_dual_fmac_f32 v77, v101, v70 :: v_dual_sub_f32 v96, v75, v76
	ds_load_2addr_b32 v[74:75], v98 offset0:238 offset1:255
	v_sub_f32_e32 v70, v95, v76
	s_waitcnt lgkmcnt(0)
	s_barrier
	v_mul_f32_e32 v96, 0x3fb8aa3b, v96
	buffer_gl0_inv
	v_exp_f32_e32 v95, v96
	v_mul_f32_e32 v100, 0x3fb8aa3b, v100
	s_delay_alu instid0(VALU_DEP_1) | instskip(SKIP_3) | instid1(VALU_DEP_2)
	v_exp_f32_e32 v100, v100
	s_waitcnt_depctr 0xfff
	v_dual_fmac_f32 v77, v100, v71 :: v_dual_mul_f32 v70, 0x3fb8aa3b, v70
	v_cndmask_b32_e32 v71, v99, v102, vcc_lo
	v_fmac_f32_e32 v77, v97, v72
	s_delay_alu instid0(VALU_DEP_3) | instskip(NEXT) | instid1(VALU_DEP_1)
	v_exp_f32_e32 v96, v70
	v_fmac_f32_e32 v77, v95, v73
	s_delay_alu instid0(VALU_DEP_1) | instskip(SKIP_2) | instid1(VALU_DEP_1)
	v_fmac_f32_e32 v77, v94, v74
	s_waitcnt_depctr 0xfff
	v_fmac_f32_e32 v77, v96, v75
	v_add_f32_e32 v74, 0x358637bd, v77
	s_delay_alu instid0(VALU_DEP_1) | instskip(SKIP_1) | instid1(VALU_DEP_2)
	v_div_scale_f32 v98, null, v74, v74, 1.0
	v_div_scale_f32 v99, vcc_lo, 1.0, v74, 1.0
	v_rcp_f32_e32 v103, v98
	s_waitcnt_depctr 0xfff
	v_fma_f32 v70, -v98, v103, 1.0
	s_delay_alu instid0(VALU_DEP_1) | instskip(SKIP_2) | instid1(VALU_DEP_2)
	v_fmac_f32_e32 v103, v70, v103
	v_cndmask_b32_e64 v70, v71, v101, s3
	v_cmp_eq_u32_e64 s3, 6, v69
	v_cndmask_b32_e64 v71, v70, v100, s4
	s_delay_alu instid0(VALU_DEP_4) | instskip(NEXT) | instid1(VALU_DEP_2)
	v_dual_mul_f32 v101, v99, v103 :: v_dual_lshlrev_b32 v70, 2, v66
	v_cndmask_b32_e64 v71, v71, v97, s5
	s_delay_alu instid0(VALU_DEP_2) | instskip(NEXT) | instid1(VALU_DEP_3)
	v_or_b32_e32 v72, 1, v70
	v_fma_f32 v100, -v98, v101, v99
	v_cmp_eq_u32_e64 s4, 1, v70
	v_cmp_eq_u32_e64 s5, 2, v70
	v_cndmask_b32_e64 v95, v71, v95, s6
	v_or_b32_e32 v71, 3, v70
	v_fmac_f32_e32 v101, v100, v103
	v_cmp_eq_u32_e64 s9, 1, v72
	v_cmp_eq_u32_e64 s12, 2, v72
	v_cndmask_b32_e64 v94, v95, v94, s3
	v_cmp_eq_u32_e64 s11, 1, v71
	v_fma_f32 v97, -v98, v101, v99
	v_cmp_eq_u32_e64 s16, 2, v71
	v_cmp_eq_u32_e64 s13, 3, v72
	v_cndmask_b32_e64 v94, v94, v96, s7
	v_cmp_eq_u32_e64 s18, 3, v71
	v_div_fmas_f32 v95, v97, v103, v101
	v_cmp_eq_u32_e32 vcc_lo, 3, v70
	v_cmp_eq_u32_e64 s3, 4, v70
	v_cmp_eq_u32_e64 s19, 4, v72
	v_cmp_eq_u32_e64 s22, 4, v71
	v_div_fixup_f32 v95, v95, v74, 1.0
	v_lshlrev_b32_e32 v73, 6, v68
	v_cmp_eq_u32_e64 s6, 5, v70
	v_cmp_eq_u32_e64 s20, 5, v72
	;; [unrolled: 1-line block ×3, first 2 shown]
	v_mul_f32_e32 v102, v94, v95
	v_lshl_or_b32 v75, v69, 11, v73
	v_or_b32_e32 v69, 2, v70
	v_cmp_eq_u32_e64 s25, 6, v72
	v_cmp_eq_u32_e64 s27, 6, v71
	v_fma_mixlo_f16 v94, v102, v79, 0
	v_fma_mixlo_f16 v95, v102, v81, 0
	;; [unrolled: 1-line block ×8, first 2 shown]
	v_lshl_or_b32 v74, v66, 4, v75
	v_fma_mixhi_f16 v94, v102, v78, 0
	v_fma_mixhi_f16 v95, v102, v80, 0
	;; [unrolled: 1-line block ×8, first 2 shown]
	ds_store_b128 v74, v[94:97]
	ds_store_b128 v74, v[98:101] offset:1024
	s_waitcnt lgkmcnt(0)
	s_barrier
	buffer_gl0_inv
	ds_load_b128 v[78:81], v75
	ds_load_b128 v[82:85], v75 offset:16
	ds_load_b128 v[86:89], v75 offset:1024
	;; [unrolled: 1-line block ×3, first 2 shown]
	v_cmp_eq_u32_e64 s10, 1, v69
	v_cmp_eq_u32_e64 s15, 2, v69
	;; [unrolled: 1-line block ×11, first 2 shown]
	s_waitcnt lgkmcnt(3)
	v_lshrrev_b32_e32 v94, 16, v78
	s_waitcnt lgkmcnt(2)
	v_lshrrev_b32_e32 v98, 16, v82
	;; [unrolled: 2-line block ×4, first 2 shown]
	v_lshrrev_b32_e32 v95, 16, v79
	v_cndmask_b32_e64 v110, v78, v94, s4
	v_cndmask_b32_e64 v111, v82, v98, s4
	;; [unrolled: 1-line block ×8, first 2 shown]
	v_lshrrev_b32_e32 v99, 16, v83
	v_cndmask_b32_e64 v94, v86, v102, s4
	v_cndmask_b32_e64 v98, v90, v106, s4
	;; [unrolled: 1-line block ×15, first 2 shown]
	v_lshrrev_b32_e32 v103, 16, v87
	v_lshrrev_b32_e32 v107, 16, v91
	v_cndmask_b32_e64 v113, v115, v83, s15
	v_cndmask_b32_e64 v82, v94, v87, s5
	;; [unrolled: 1-line block ×7, first 2 shown]
	v_cndmask_b32_e32 v90, v102, v95, vcc_lo
	v_cndmask_b32_e32 v102, v106, v99, vcc_lo
	v_cndmask_b32_e64 v106, v110, v95, s13
	v_cndmask_b32_e64 v110, v111, v99, s13
	;; [unrolled: 1-line block ×4, first 2 shown]
	v_lshrrev_b32_e32 v96, 16, v80
	v_lshrrev_b32_e32 v100, 16, v84
	v_cndmask_b32_e64 v111, v112, v95, s17
	v_cndmask_b32_e64 v112, v113, v99, s17
	v_cndmask_b32_e32 v82, v82, v103, vcc_lo
	v_cndmask_b32_e32 v83, v83, v107, vcc_lo
	v_cndmask_b32_e64 v94, v94, v103, s13
	v_cndmask_b32_e64 v90, v90, v80, s3
	;; [unrolled: 1-line block ×7, first 2 shown]
	v_lshrrev_b32_e32 v104, 16, v88
	v_cndmask_b32_e64 v106, v111, v80, s21
	v_cndmask_b32_e64 v110, v112, v84, s21
	;; [unrolled: 1-line block ×11, first 2 shown]
	v_lshrrev_b32_e32 v97, 16, v81
	v_lshrrev_b32_e32 v101, 16, v85
	v_cndmask_b32_e64 v99, v106, v96, s23
	v_cndmask_b32_e64 v102, v110, v100, s23
	;; [unrolled: 1-line block ×7, first 2 shown]
	v_lshrrev_b32_e32 v105, 16, v89
	v_cndmask_b32_e64 v80, v80, v104, s6
	v_cndmask_b32_e64 v84, v84, v81, s7
	;; [unrolled: 1-line block ×16, first 2 shown]
	v_perm_b32 v81, v79, v78, 0x5040100
	v_perm_b32 v79, v95, v85, 0x5040100
	v_cndmask_b32_e64 v78, v119, v91, s15
	v_cndmask_b32_e64 v85, v117, v91, s12
	;; [unrolled: 1-line block ×3, first 2 shown]
	v_perm_b32 v80, v94, v90, 0x5040100
	v_cndmask_b32_e64 v90, v98, v103, s17
	v_cndmask_b32_e64 v86, v86, v103, s18
	;; [unrolled: 1-line block ×5, first 2 shown]
	v_lshrrev_b32_e32 v108, 16, v92
	v_cndmask_b32_e64 v90, v90, v88, s21
	v_cndmask_b32_e64 v86, v86, v88, s22
	;; [unrolled: 1-line block ×11, first 2 shown]
	v_lshrrev_b32_e32 v109, 16, v93
	v_cndmask_b32_e64 v82, v82, v93, s7
	v_cndmask_b32_e64 v88, v88, v89, s26
	;; [unrolled: 1-line block ×12, first 2 shown]
	v_perm_b32 v78, v84, v83, 0x5040100
	v_perm_b32 v85, v87, v86, 0x5040100
	;; [unrolled: 1-line block ×5, first 2 shown]
	s_mul_i32 s8, s33, 15
	s_mov_b32 s3, exec_lo
	ds_store_b128 v74, v[78:81]
	ds_store_b128 v74, v[82:85] offset:1024
	v_cmpx_gt_u32_e32 15, v0
	s_cbranch_execz .LBB1004_14
; %bb.13:
	s_mul_i32 s4, s8, s34
	s_delay_alu instid0(SALU_CYCLE_1) | instskip(SKIP_1) | instid1(VALU_DEP_1)
	v_add3_u32 v68, s4, s31, v68
	s_load_b128 s[4:7], s[0:1], 0x58
	v_mad_u64_u32 v[78:79], null, v68, s35, s[14:15]
	s_delay_alu instid0(VALU_DEP_1) | instskip(NEXT) | instid1(VALU_DEP_1)
	v_ashrrev_i32_e32 v79, 31, v78
	v_lshlrev_b64 v[78:79], 2, v[78:79]
	s_waitcnt lgkmcnt(0)
	s_delay_alu instid0(VALU_DEP_1) | instskip(NEXT) | instid1(VALU_DEP_2)
	v_add_co_u32 v80, vcc_lo, s6, v78
	v_add_co_ci_u32_e32 v81, vcc_lo, s7, v79, vcc_lo
	v_add_co_u32 v78, vcc_lo, s4, v78
	v_add_co_ci_u32_e32 v79, vcc_lo, s5, v79, vcc_lo
	global_store_b32 v[80:81], v76, off
	global_store_b32 v[78:79], v77, off
.LBB1004_14:
	s_or_b32 exec_lo, exec_lo, s3
	s_waitcnt lgkmcnt(0)
	s_waitcnt_vscnt null, 0x0
	s_barrier
	buffer_gl0_inv
	ds_load_b128 v[84:87], v73
	ds_load_b128 v[88:91], v73 offset:16
	ds_load_b128 v[96:99], v73 offset:2064
	;; [unrolled: 1-line block ×5, first 2 shown]
	v_cmp_eq_u32_e32 vcc_lo, 1, v70
	v_mov_b32_e32 v76, 0
	ds_load_b128 v[112:115], v73 offset:6160
	ds_load_b128 v[108:111], v73 offset:6144
	;; [unrolled: 1-line block ×4, first 2 shown]
	v_cmp_eq_u32_e64 s4, 1, v69
	v_cmp_eq_u32_e64 s3, 1, v72
	;; [unrolled: 1-line block ×3, first 2 shown]
	v_mov_b32_e32 v77, v76
	v_mov_b32_e32 v78, v76
	;; [unrolled: 1-line block ×7, first 2 shown]
	v_cmp_eq_u32_e64 s6, 3, v72
	v_cmp_eq_u32_e64 s7, 7, v72
	s_waitcnt lgkmcnt(8)
	s_delay_alu instid0(VALU_DEP_3)
	v_wmma_f32_16x16x16_f16 v[76:83], v[49:56], v[84:91], v[76:83]
	ds_load_b128 v[53:56], v73 offset:10256
	ds_load_b128 v[49:52], v73 offset:10240
	s_waitcnt lgkmcnt(8)
	v_wmma_f32_16x16x16_f16 v[76:83], v[41:48], v[92:99], v[76:83]
	ds_load_b128 v[45:48], v73 offset:12304
	ds_load_b128 v[41:44], v73 offset:12288
	s_waitcnt lgkmcnt(8)
	v_wmma_f32_16x16x16_f16 v[76:83], v[33:40], v[100:107], v[76:83]
	ds_load_b128 v[37:40], v73 offset:14352
	ds_load_b128 v[33:36], v73 offset:14336
	s_waitcnt lgkmcnt(0)
	s_barrier
	buffer_gl0_inv
	v_wmma_f32_16x16x16_f16 v[76:83], v[1:8], v[108:115], v[76:83]
	s_delay_alu instid0(VALU_DEP_1) | instskip(NEXT) | instid1(VALU_DEP_1)
	v_wmma_f32_16x16x16_f16 v[76:83], v[9:16], v[116:123], v[76:83]
	v_wmma_f32_16x16x16_f16 v[76:83], v[17:24], v[49:56], v[76:83]
	s_delay_alu instid0(VALU_DEP_1) | instskip(NEXT) | instid1(VALU_DEP_1)
	v_wmma_f32_16x16x16_f16 v[76:83], v[25:32], v[41:48], v[76:83]
	v_wmma_f32_16x16x16_f16 v[76:83], v[57:64], v[33:40], v[76:83]
	s_delay_alu instid0(VALU_DEP_1) | instskip(NEXT) | instid1(VALU_DEP_2)
	v_cvt_f16_f32_e32 v1, v76
	v_cvt_f16_f32_e32 v2, v77
	s_delay_alu instid0(VALU_DEP_3) | instskip(NEXT) | instid1(VALU_DEP_4)
	v_cvt_f16_f32_e32 v3, v78
	v_cvt_f16_f32_e32 v4, v79
	v_cvt_f16_f32_e32 v5, v80
	v_cvt_f16_f32_e32 v6, v81
	v_cvt_f16_f32_e32 v7, v82
	v_cvt_f16_f32_e32 v8, v83
	v_pack_b32_f16 v1, v1, v2
	v_pack_b32_f16 v2, v3, v4
	;; [unrolled: 1-line block ×3, first 2 shown]
	s_delay_alu instid0(VALU_DEP_4)
	v_pack_b32_f16 v4, v7, v8
	ds_store_b128 v74, v[1:4]
	s_waitcnt lgkmcnt(0)
	s_barrier
	buffer_gl0_inv
	ds_load_b128 v[1:4], v75
	ds_load_b128 v[5:8], v75 offset:16
	s_waitcnt lgkmcnt(1)
	v_lshrrev_b32_e32 v9, 16, v1
	s_waitcnt lgkmcnt(0)
	v_lshrrev_b32_e32 v13, 16, v5
	v_lshrrev_b32_e32 v10, 16, v2
	;; [unrolled: 1-line block ×4, first 2 shown]
	v_cndmask_b32_e32 v17, v1, v9, vcc_lo
	v_cndmask_b32_e32 v18, v5, v13, vcc_lo
	v_cndmask_b32_e64 v21, v1, v9, s4
	v_cmp_eq_u32_e32 vcc_lo, 1, v71
	v_cndmask_b32_e64 v22, v5, v13, s4
	v_cmp_eq_u32_e64 s4, 2, v70
	v_cndmask_b32_e64 v19, v1, v9, s3
	v_cndmask_b32_e64 v20, v5, v13, s3
	v_cndmask_b32_e32 v1, v1, v9, vcc_lo
	v_cmp_eq_u32_e64 s3, 2, v71
	v_cndmask_b32_e32 v5, v5, v13, vcc_lo
	v_cndmask_b32_e64 v9, v17, v2, s4
	v_cmp_eq_u32_e32 vcc_lo, 3, v70
	v_cndmask_b32_e64 v13, v18, v6, s4
	v_cmp_eq_u32_e64 s4, 2, v69
	v_cndmask_b32_e64 v17, v19, v2, s5
	v_cndmask_b32_e64 v18, v20, v6, s5
	v_cmp_eq_u32_e64 s5, 3, v69
	v_cndmask_b32_e64 v1, v1, v2, s3
	v_cndmask_b32_e64 v19, v21, v2, s4
	v_cndmask_b32_e64 v20, v22, v6, s4
	v_cndmask_b32_e64 v2, v5, v6, s3
	v_cndmask_b32_e32 v5, v9, v10, vcc_lo
	v_cndmask_b32_e32 v6, v13, v14, vcc_lo
	v_cmp_eq_u32_e32 vcc_lo, 3, v71
	v_cndmask_b32_e64 v9, v17, v10, s6
	v_cndmask_b32_e64 v13, v18, v14, s6
	;; [unrolled: 1-line block ×3, first 2 shown]
	v_cmp_eq_u32_e64 s4, 4, v70
	v_cndmask_b32_e32 v1, v1, v10, vcc_lo
	v_cndmask_b32_e32 v2, v2, v14, vcc_lo
	v_cmp_eq_u32_e32 vcc_lo, 4, v72
	v_lshrrev_b32_e32 v15, 16, v7
	v_lshrrev_b32_e32 v16, 16, v8
	v_cndmask_b32_e64 v17, v19, v10, s5
	v_cmp_eq_u32_e64 s3, 4, v71
	v_cndmask_b32_e64 v5, v5, v3, s4
	v_cndmask_b32_e64 v6, v6, v7, s4
	v_cndmask_b32_e32 v9, v9, v3, vcc_lo
	v_cmp_eq_u32_e64 s4, 5, v72
	v_cndmask_b32_e32 v10, v13, v7, vcc_lo
	v_cmp_eq_u32_e32 vcc_lo, 4, v69
	v_cmp_eq_u32_e64 s5, 5, v70
	v_cndmask_b32_e64 v2, v2, v7, s3
	v_cndmask_b32_e64 v9, v9, v11, s4
	;; [unrolled: 1-line block ×3, first 2 shown]
	v_cndmask_b32_e32 v13, v17, v3, vcc_lo
	v_cmp_eq_u32_e64 s4, 5, v69
	v_cndmask_b32_e32 v14, v18, v7, vcc_lo
	v_cndmask_b32_e64 v1, v1, v3, s3
	v_cmp_eq_u32_e32 vcc_lo, 5, v71
	v_lshrrev_b32_e32 v12, 16, v4
	v_cndmask_b32_e64 v13, v13, v11, s4
	v_cndmask_b32_e64 v3, v14, v15, s4
	v_cmp_eq_u32_e64 s4, 6, v71
	v_cndmask_b32_e32 v1, v1, v11, vcc_lo
	v_cndmask_b32_e64 v5, v5, v11, s5
	v_cmp_eq_u32_e64 s6, 6, v70
	v_cndmask_b32_e64 v6, v6, v15, s5
	v_cmp_eq_u32_e64 s5, 6, v72
	v_cmp_eq_u32_e64 s3, 6, v69
	v_cndmask_b32_e64 v1, v1, v4, s4
	v_cndmask_b32_e32 v2, v2, v15, vcc_lo
	v_cmp_eq_u32_e32 vcc_lo, 7, v71
	v_cndmask_b32_e64 v5, v5, v4, s6
	v_cndmask_b32_e64 v9, v9, v4, s5
	;; [unrolled: 1-line block ×3, first 2 shown]
	v_cmp_eq_u32_e64 s6, 7, v70
	v_cndmask_b32_e32 v1, v1, v12, vcc_lo
	v_cndmask_b32_e64 v7, v13, v4, s3
	v_cndmask_b32_e64 v3, v3, v8, s3
	;; [unrolled: 1-line block ×3, first 2 shown]
	v_cmp_eq_u32_e64 s3, 7, v69
	v_cndmask_b32_e64 v4, v10, v8, s5
	v_cndmask_b32_e64 v5, v5, v12, s6
	;; [unrolled: 1-line block ×3, first 2 shown]
	v_cndmask_b32_e32 v2, v2, v16, vcc_lo
	v_cndmask_b32_e64 v7, v7, v12, s3
	v_cndmask_b32_e64 v3, v3, v16, s3
	v_cndmask_b32_e64 v8, v4, v16, s7
	v_cndmask_b32_e64 v6, v6, v16, s6
	v_perm_b32 v4, v2, v1, 0x5040100
	s_mov_b32 s3, exec_lo
	v_perm_b32 v3, v3, v7, 0x5040100
	v_perm_b32 v2, v8, v9, 0x5040100
	;; [unrolled: 1-line block ×3, first 2 shown]
	ds_store_b128 v74, v[1:4]
	s_waitcnt lgkmcnt(0)
	s_barrier
	buffer_gl0_inv
	v_cmpx_gt_u32_e32 32, v0
	s_cbranch_execz .LBB1004_2
; %bb.15:
	s_load_b64 s[4:5], s[0:1], 0x68
	v_add_nc_u32_e32 v20, s31, v66
	v_lshlrev_b32_e32 v0, 10, v0
	v_lshlrev_b32_e32 v1, 4, v67
	s_lshl_b32 s0, s35, 7
	s_delay_alu instid0(SALU_CYCLE_1)
	s_mul_i32 s1, s0, s34
	v_add_nc_u32_e32 v2, 2, v20
	s_mul_i32 s6, s1, s8
	v_and_or_b32 v0, 0x3800, v0, v1
	v_mul_lo_u32 v1, v20, s0
	s_ashr_i32 s7, s6, 31
	v_mul_lo_u32 v11, v2, s0
	s_lshl_b64 s[6:7], s[6:7], 1
	v_add_nc_u32_e32 v3, 4, v20
	v_lshl_or_b32 v21, v66, 6, v0
	v_add_nc_u32_e32 v16, 6, v20
	v_ashrrev_i32_e32 v2, 31, v1
	s_delay_alu instid0(VALU_DEP_4)
	v_mul_lo_u32 v13, v3, s0
	s_waitcnt lgkmcnt(0)
	s_add_u32 s1, s4, s6
	s_addc_u32 s3, s5, s7
	s_lshl_b32 s4, s14, 7
	ds_load_b128 v[3:6], v21
	ds_load_b128 v[7:10], v21 offset:128
	s_ashr_i32 s5, s4, 31
	v_ashrrev_i32_e32 v12, 31, v11
	s_lshl_b64 s[4:5], s[4:5], 1
	v_lshlrev_b64 v[14:15], 1, v[1:2]
	s_add_u32 s1, s1, s4
	s_addc_u32 s3, s3, s5
	v_add_co_u32 v1, s1, s1, v65
	s_delay_alu instid0(VALU_DEP_1) | instskip(SKIP_1) | instid1(VALU_DEP_3)
	v_add_co_ci_u32_e64 v2, null, s3, 0, s1
	v_lshlrev_b64 v[11:12], 1, v[11:12]
	v_add_co_u32 v18, vcc_lo, v1, v14
	v_mul_lo_u32 v16, v16, s0
	s_delay_alu instid0(VALU_DEP_4) | instskip(NEXT) | instid1(VALU_DEP_4)
	v_add_co_ci_u32_e32 v19, vcc_lo, v2, v15, vcc_lo
	v_add_co_u32 v11, vcc_lo, v1, v11
	v_ashrrev_i32_e32 v14, 31, v13
	v_add_co_ci_u32_e32 v12, vcc_lo, v2, v12, vcc_lo
	v_add_nc_u32_e32 v15, 8, v20
	v_ashrrev_i32_e32 v17, 31, v16
	s_waitcnt lgkmcnt(1)
	global_store_b128 v[18:19], v[3:6], off
	v_lshlrev_b64 v[3:4], 1, v[13:14]
	s_waitcnt lgkmcnt(0)
	global_store_b128 v[11:12], v[7:10], off
	v_mul_lo_u32 v11, v15, s0
	v_add_nc_u32_e32 v7, 10, v20
	v_lshlrev_b64 v[5:6], 1, v[16:17]
	v_add_co_u32 v23, vcc_lo, v1, v3
	v_add_nc_u32_e32 v3, 12, v20
	s_delay_alu instid0(VALU_DEP_4)
	v_mul_lo_u32 v25, v7, s0
	v_ashrrev_i32_e32 v12, 31, v11
	v_add_co_ci_u32_e32 v24, vcc_lo, v2, v4, vcc_lo
	v_add_co_u32 v27, vcc_lo, v1, v5
	v_mul_lo_u32 v29, v3, s0
	v_add_co_ci_u32_e32 v28, vcc_lo, v2, v6, vcc_lo
	ds_load_b128 v[3:6], v21 offset:256
	ds_load_b128 v[7:10], v21 offset:384
	v_lshlrev_b64 v[31:32], 1, v[11:12]
	ds_load_b128 v[11:14], v21 offset:512
	ds_load_b128 v[15:18], v21 offset:640
	;; [unrolled: 1-line block ×3, first 2 shown]
	v_ashrrev_i32_e32 v26, 31, v25
	v_ashrrev_i32_e32 v30, 31, v29
	v_add_co_u32 v31, vcc_lo, v1, v31
	s_delay_alu instid0(VALU_DEP_3) | instskip(NEXT) | instid1(VALU_DEP_3)
	v_lshlrev_b64 v[25:26], 1, v[25:26]
	v_lshlrev_b64 v[29:30], 1, v[29:30]
	v_add_co_ci_u32_e32 v32, vcc_lo, v2, v32, vcc_lo
	s_delay_alu instid0(VALU_DEP_3) | instskip(NEXT) | instid1(VALU_DEP_4)
	v_add_co_u32 v25, vcc_lo, v1, v25
	v_add_co_ci_u32_e32 v26, vcc_lo, v2, v26, vcc_lo
	s_delay_alu instid0(VALU_DEP_4)
	v_add_co_u32 v29, vcc_lo, v1, v29
	v_add_co_ci_u32_e32 v30, vcc_lo, v2, v30, vcc_lo
	s_waitcnt lgkmcnt(4)
	global_store_b128 v[23:24], v[3:6], off
	s_waitcnt lgkmcnt(3)
	global_store_b128 v[27:28], v[7:10], off
	;; [unrolled: 2-line block ×5, first 2 shown]
	s_and_b32 exec_lo, exec_lo, s2
	s_cbranch_execz .LBB1004_2
; %bb.16:
	ds_load_b128 v[3:6], v0 offset:896
	s_add_i32 s1, s31, 14
	s_delay_alu instid0(SALU_CYCLE_1) | instskip(NEXT) | instid1(SALU_CYCLE_1)
	s_mul_i32 s0, s1, s0
	s_ashr_i32 s1, s0, 31
	s_delay_alu instid0(SALU_CYCLE_1) | instskip(NEXT) | instid1(SALU_CYCLE_1)
	s_lshl_b64 s[0:1], s[0:1], 1
	v_add_co_u32 v0, vcc_lo, v1, s0
	v_add_co_ci_u32_e32 v1, vcc_lo, s1, v2, vcc_lo
	s_waitcnt lgkmcnt(0)
	global_store_b128 v[0:1], v[3:6], off
	s_nop 0
	s_sendmsg sendmsg(MSG_DEALLOC_VGPRS)
	s_endpgm
	.section	.rodata,"a",@progbits
	.p2align	6, 0x0
	.amdhsa_kernel _Z39paged_attention_ll4mi_QKV_mfma16_kernelIDF16_hLN4vllm18Fp8KVCacheDataTypeE1EDF16_Li16ELi128ELi256ELb0ELi15EL8MFMAType1EEvPKT_PKT0_S8_ifPKiSA_SA_iPKfiiiPfSD_PS3_PT2_iSC_SC_
		.amdhsa_group_segment_fixed_size 17472
		.amdhsa_private_segment_fixed_size 0
		.amdhsa_kernarg_size 400
		.amdhsa_user_sgpr_count 13
		.amdhsa_user_sgpr_dispatch_ptr 0
		.amdhsa_user_sgpr_queue_ptr 0
		.amdhsa_user_sgpr_kernarg_segment_ptr 1
		.amdhsa_user_sgpr_dispatch_id 0
		.amdhsa_user_sgpr_private_segment_size 0
		.amdhsa_wavefront_size32 1
		.amdhsa_uses_dynamic_stack 0
		.amdhsa_enable_private_segment 0
		.amdhsa_system_sgpr_workgroup_id_x 1
		.amdhsa_system_sgpr_workgroup_id_y 1
		.amdhsa_system_sgpr_workgroup_id_z 1
		.amdhsa_system_sgpr_workgroup_info 0
		.amdhsa_system_vgpr_workitem_id 0
		.amdhsa_next_free_vgpr 150
		.amdhsa_next_free_sgpr 36
		.amdhsa_reserve_vcc 1
		.amdhsa_float_round_mode_32 0
		.amdhsa_float_round_mode_16_64 0
		.amdhsa_float_denorm_mode_32 3
		.amdhsa_float_denorm_mode_16_64 3
		.amdhsa_dx10_clamp 1
		.amdhsa_ieee_mode 1
		.amdhsa_fp16_overflow 0
		.amdhsa_workgroup_processor_mode 1
		.amdhsa_memory_ordered 1
		.amdhsa_forward_progress 0
		.amdhsa_shared_vgpr_count 0
		.amdhsa_exception_fp_ieee_invalid_op 0
		.amdhsa_exception_fp_denorm_src 0
		.amdhsa_exception_fp_ieee_div_zero 0
		.amdhsa_exception_fp_ieee_overflow 0
		.amdhsa_exception_fp_ieee_underflow 0
		.amdhsa_exception_fp_ieee_inexact 0
		.amdhsa_exception_int_div_zero 0
	.end_amdhsa_kernel
	.section	.text._Z39paged_attention_ll4mi_QKV_mfma16_kernelIDF16_hLN4vllm18Fp8KVCacheDataTypeE1EDF16_Li16ELi128ELi256ELb0ELi15EL8MFMAType1EEvPKT_PKT0_S8_ifPKiSA_SA_iPKfiiiPfSD_PS3_PT2_iSC_SC_,"axG",@progbits,_Z39paged_attention_ll4mi_QKV_mfma16_kernelIDF16_hLN4vllm18Fp8KVCacheDataTypeE1EDF16_Li16ELi128ELi256ELb0ELi15EL8MFMAType1EEvPKT_PKT0_S8_ifPKiSA_SA_iPKfiiiPfSD_PS3_PT2_iSC_SC_,comdat
.Lfunc_end1004:
	.size	_Z39paged_attention_ll4mi_QKV_mfma16_kernelIDF16_hLN4vllm18Fp8KVCacheDataTypeE1EDF16_Li16ELi128ELi256ELb0ELi15EL8MFMAType1EEvPKT_PKT0_S8_ifPKiSA_SA_iPKfiiiPfSD_PS3_PT2_iSC_SC_, .Lfunc_end1004-_Z39paged_attention_ll4mi_QKV_mfma16_kernelIDF16_hLN4vllm18Fp8KVCacheDataTypeE1EDF16_Li16ELi128ELi256ELb0ELi15EL8MFMAType1EEvPKT_PKT0_S8_ifPKiSA_SA_iPKfiiiPfSD_PS3_PT2_iSC_SC_
                                        ; -- End function
	.section	.AMDGPU.csdata,"",@progbits
; Kernel info:
; codeLenInByte = 6892
; NumSgprs: 38
; NumVgprs: 150
; ScratchSize: 0
; MemoryBound: 0
; FloatMode: 240
; IeeeMode: 1
; LDSByteSize: 17472 bytes/workgroup (compile time only)
; SGPRBlocks: 4
; VGPRBlocks: 18
; NumSGPRsForWavesPerEU: 38
; NumVGPRsForWavesPerEU: 150
; Occupancy: 9
; WaveLimiterHint : 1
; COMPUTE_PGM_RSRC2:SCRATCH_EN: 0
; COMPUTE_PGM_RSRC2:USER_SGPR: 13
; COMPUTE_PGM_RSRC2:TRAP_HANDLER: 0
; COMPUTE_PGM_RSRC2:TGID_X_EN: 1
; COMPUTE_PGM_RSRC2:TGID_Y_EN: 1
; COMPUTE_PGM_RSRC2:TGID_Z_EN: 1
; COMPUTE_PGM_RSRC2:TIDIG_COMP_CNT: 0
	.section	.text._Z39paged_attention_ll4mi_QKV_mfma16_kernelIDF16_hLN4vllm18Fp8KVCacheDataTypeE1EDF16_Li16ELi128ELi256ELb0ELi16EL8MFMAType1EEvPKT_PKT0_S8_ifPKiSA_SA_iPKfiiiPfSD_PS3_PT2_iSC_SC_,"axG",@progbits,_Z39paged_attention_ll4mi_QKV_mfma16_kernelIDF16_hLN4vllm18Fp8KVCacheDataTypeE1EDF16_Li16ELi128ELi256ELb0ELi16EL8MFMAType1EEvPKT_PKT0_S8_ifPKiSA_SA_iPKfiiiPfSD_PS3_PT2_iSC_SC_,comdat
	.protected	_Z39paged_attention_ll4mi_QKV_mfma16_kernelIDF16_hLN4vllm18Fp8KVCacheDataTypeE1EDF16_Li16ELi128ELi256ELb0ELi16EL8MFMAType1EEvPKT_PKT0_S8_ifPKiSA_SA_iPKfiiiPfSD_PS3_PT2_iSC_SC_ ; -- Begin function _Z39paged_attention_ll4mi_QKV_mfma16_kernelIDF16_hLN4vllm18Fp8KVCacheDataTypeE1EDF16_Li16ELi128ELi256ELb0ELi16EL8MFMAType1EEvPKT_PKT0_S8_ifPKiSA_SA_iPKfiiiPfSD_PS3_PT2_iSC_SC_
	.globl	_Z39paged_attention_ll4mi_QKV_mfma16_kernelIDF16_hLN4vllm18Fp8KVCacheDataTypeE1EDF16_Li16ELi128ELi256ELb0ELi16EL8MFMAType1EEvPKT_PKT0_S8_ifPKiSA_SA_iPKfiiiPfSD_PS3_PT2_iSC_SC_
	.p2align	8
	.type	_Z39paged_attention_ll4mi_QKV_mfma16_kernelIDF16_hLN4vllm18Fp8KVCacheDataTypeE1EDF16_Li16ELi128ELi256ELb0ELi16EL8MFMAType1EEvPKT_PKT0_S8_ifPKiSA_SA_iPKfiiiPfSD_PS3_PT2_iSC_SC_,@function
_Z39paged_attention_ll4mi_QKV_mfma16_kernelIDF16_hLN4vllm18Fp8KVCacheDataTypeE1EDF16_Li16ELi128ELi256ELb0ELi16EL8MFMAType1EEvPKT_PKT0_S8_ifPKiSA_SA_iPKfiiiPfSD_PS3_PT2_iSC_SC_: ; @_Z39paged_attention_ll4mi_QKV_mfma16_kernelIDF16_hLN4vllm18Fp8KVCacheDataTypeE1EDF16_Li16ELi128ELi256ELb0ELi16EL8MFMAType1EEvPKT_PKT0_S8_ifPKiSA_SA_iPKfiiiPfSD_PS3_PT2_iSC_SC_
; %bb.0:
	s_load_b64 s[4:5], s[0:1], 0x30
	s_mov_b32 s30, s13
	s_waitcnt lgkmcnt(0)
	s_cmp_lg_u64 s[4:5], 0
	s_cselect_b32 s8, -1, 0
	s_ashr_i32 s31, s13, 31
	s_cmp_eq_u64 s[4:5], 0
	s_cbranch_scc1 .LBB1005_3
; %bb.1:
	s_lshl_b64 s[2:3], s[30:31], 2
	s_delay_alu instid0(SALU_CYCLE_1) | instskip(SKIP_4) | instid1(SALU_CYCLE_1)
	s_add_u32 s2, s4, s2
	s_addc_u32 s3, s5, s3
	s_load_b64 s[2:3], s[2:3], 0x0
	s_waitcnt lgkmcnt(0)
	s_sub_i32 s2, s3, s2
	s_cmp_eq_u32 s2, 1
	s_cselect_b32 s2, -1, 0
	s_delay_alu instid0(SALU_CYCLE_1)
	s_and_not1_b32 vcc_lo, exec_lo, s2
	s_cbranch_vccz .LBB1005_4
.LBB1005_2:
	s_endpgm
.LBB1005_3:
.LBB1005_4:
	s_load_b64 s[2:3], s[0:1], 0x28
	s_lshl_b64 s[6:7], s[30:31], 2
	s_waitcnt lgkmcnt(0)
	s_add_u32 s2, s2, s6
	s_addc_u32 s3, s3, s7
	s_lshl_b32 s12, s14, 8
	s_load_b32 s24, s[2:3], 0x0
	s_waitcnt lgkmcnt(0)
	s_cmp_ge_i32 s12, s24
	s_cbranch_scc1 .LBB1005_2
; %bb.5:
	s_clause 0x1
	s_load_b128 s[20:23], s[0:1], 0x8
	s_load_b64 s[2:3], s[0:1], 0x20
	s_and_not1_b32 vcc_lo, exec_lo, s8
	s_cbranch_vccnz .LBB1005_7
; %bb.6:
	s_add_u32 s4, s4, s6
	s_addc_u32 s5, s5, s7
	s_load_b32 s5, s[4:5], 0x0
	s_branch .LBB1005_8
.LBB1005_7:
	s_mov_b32 s5, s30
.LBB1005_8:
	s_load_b128 s[16:19], s[0:1], 0x48
	v_and_b32_e32 v70, 15, v0
	v_lshrrev_b32_e32 v69, 5, v0
	v_and_b32_e32 v71, 31, v0
	v_and_b32_e32 v67, 1, v0
	v_bfe_u32 v66, v0, 4, 1
	v_lshlrev_b32_e32 v1, 3, v70
	s_lshl_b32 s31, s15, 4
	s_mov_b32 s4, exec_lo
	s_delay_alu instid0(VALU_DEP_1)
	v_lshlrev_b32_e32 v65, 1, v1
	v_cmpx_gt_u32_e32 0x100, v0
	s_cbranch_execz .LBB1005_10
; %bb.9:
	v_lshl_or_b32 v5, v69, 1, v66
	s_load_b64 s[6:7], s[0:1], 0x0
	s_waitcnt lgkmcnt(0)
	s_mul_hi_i32 s9, s5, s16
	s_mul_i32 s8, s5, s16
	v_lshlrev_b32_e32 v6, 10, v70
	v_or_b32_e32 v1, s31, v5
	s_lshl_b64 s[8:9], s[8:9], 1
	v_lshlrev_b32_e32 v5, 6, v5
	v_lshlrev_b32_e32 v7, 10, v67
	v_and_b32_e32 v6, 0x3800, v6
	v_lshlrev_b32_e32 v1, 7, v1
	s_delay_alu instid0(VALU_DEP_2) | instskip(NEXT) | instid1(VALU_DEP_2)
	v_or3_b32 v5, v6, v7, v5
	v_ashrrev_i32_e32 v2, 31, v1
	s_delay_alu instid0(VALU_DEP_1) | instskip(SKIP_2) | instid1(VALU_DEP_1)
	v_lshlrev_b64 v[1:2], 1, v[1:2]
	s_add_u32 s5, s6, s8
	s_addc_u32 s6, s7, s9
	v_add_co_u32 v1, vcc_lo, s5, v1
	s_delay_alu instid0(VALU_DEP_2) | instskip(NEXT) | instid1(VALU_DEP_2)
	v_add_co_ci_u32_e32 v2, vcc_lo, s6, v2, vcc_lo
	v_add_co_u32 v1, vcc_lo, v1, v65
	s_delay_alu instid0(VALU_DEP_2)
	v_add_co_ci_u32_e32 v2, vcc_lo, 0, v2, vcc_lo
	global_load_b128 v[1:4], v[1:2], off
	s_waitcnt vmcnt(0)
	ds_store_b128 v5, v[1:4]
.LBB1005_10:
	s_or_b32 exec_lo, exec_lo, s4
	v_and_b32_e32 v1, 0xef, v0
	s_waitcnt lgkmcnt(0)
	s_add_i32 s5, s24, 15
	s_clause 0x1
	s_load_b32 s4, s[0:1], 0x38
	s_load_b32 s33, s[0:1], 0x98
	s_ashr_i32 s6, s5, 31
	v_add_nc_u32_e32 v1, s12, v1
	s_lshr_b32 s6, s6, 28
	s_load_b32 s19, s[0:1], 0x1c
	s_add_i32 s5, s5, s6
	s_waitcnt lgkmcnt(0)
	v_ashrrev_i32_e32 v2, 31, v1
	v_or_b32_e32 v3, 16, v1
	s_ashr_i32 s13, s5, 4
	v_cmp_gt_i32_e32 vcc_lo, s24, v1
	s_add_i32 s13, s13, -1
	v_lshrrev_b32_e32 v2, 28, v2
	s_barrier
	buffer_gl0_inv
	s_mul_i32 s15, s15, s18
	v_lshlrev_b32_e32 v41, 4, v70
	v_add_nc_u32_e32 v4, v1, v2
	s_mul_i32 s4, s30, s4
	s_delay_alu instid0(SALU_CYCLE_1) | instskip(NEXT) | instid1(VALU_DEP_1)
	s_ashr_i32 s5, s4, 31
	v_ashrrev_i32_e32 v4, 4, v4
	v_add_nc_u32_e32 v2, v3, v2
	s_lshl_b64 s[4:5], s[4:5], 2
	v_lshl_or_b32 v41, v69, 8, v41
	s_add_u32 s16, s2, s4
	v_cndmask_b32_e32 v1, s13, v4, vcc_lo
	v_ashrrev_i32_e32 v2, 4, v2
	v_cmp_gt_i32_e32 vcc_lo, s24, v3
	s_addc_u32 s25, s3, s5
	s_ashr_i32 s18, s15, 31
	s_add_u32 s26, s20, s15
	s_addc_u32 s27, s21, s18
	v_cndmask_b32_e32 v3, s13, v2, vcc_lo
	v_ashrrev_i32_e32 v2, 31, v1
	s_lshl_b32 s2, s14, 4
	s_delay_alu instid0(SALU_CYCLE_1) | instskip(NEXT) | instid1(VALU_DEP_2)
	s_ashr_i32 s3, s2, 31
	v_ashrrev_i32_e32 v4, 31, v3
	s_delay_alu instid0(VALU_DEP_2) | instskip(SKIP_1) | instid1(SALU_CYCLE_1)
	v_lshlrev_b64 v[1:2], 2, v[1:2]
	s_lshl_b64 s[2:3], s[2:3], 2
	s_add_u32 s2, s16, s2
	s_delay_alu instid0(VALU_DEP_2) | instskip(SKIP_1) | instid1(VALU_DEP_2)
	v_lshlrev_b64 v[3:4], 2, v[3:4]
	s_addc_u32 s3, s25, s3
	v_add_co_u32 v1, vcc_lo, s16, v1
	v_add_co_ci_u32_e32 v2, vcc_lo, s25, v2, vcc_lo
	s_delay_alu instid0(VALU_DEP_3) | instskip(NEXT) | instid1(VALU_DEP_4)
	v_add_co_u32 v3, vcc_lo, s16, v3
	v_add_co_ci_u32_e32 v4, vcc_lo, s25, v4, vcc_lo
	s_clause 0x1
	global_load_b32 v5, v[1:2], off
	global_load_b32 v3, v[3:4], off
	s_or_b32 s4, s12, 32
	v_lshlrev_b32_e32 v1, 4, v0
	s_ashr_i32 s5, s4, 4
	s_cmp_lt_i32 s4, s24
	s_cselect_b32 s4, s5, s13
	s_delay_alu instid0(VALU_DEP_1) | instskip(SKIP_1) | instid1(SALU_CYCLE_1)
	v_and_b32_e32 v1, 0xf0, v1
	s_ashr_i32 s5, s4, 31
	s_lshl_b64 s[4:5], s[4:5], 2
	s_delay_alu instid0(SALU_CYCLE_1)
	s_add_u32 s4, s16, s4
	s_addc_u32 s5, s25, s5
	s_or_b32 s6, s12, 64
	v_add_co_u32 v1, s26, s26, v1
	s_ashr_i32 s7, s6, 4
	s_cmp_lt_i32 s6, s24
	v_add_co_ci_u32_e64 v2, null, s27, 0, s26
	s_cselect_b32 s6, s7, s13
	s_delay_alu instid0(SALU_CYCLE_1) | instskip(NEXT) | instid1(SALU_CYCLE_1)
	s_ashr_i32 s7, s6, 31
	s_lshl_b64 s[6:7], s[6:7], 2
	s_delay_alu instid0(SALU_CYCLE_1) | instskip(SKIP_2) | instid1(SALU_CYCLE_1)
	s_add_u32 s6, s16, s6
	s_addc_u32 s7, s25, s7
	s_or_b32 s8, s12, 0x60
	s_ashr_i32 s9, s8, 4
	s_cmp_lt_i32 s8, s24
	s_cselect_b32 s8, s9, s13
	s_delay_alu instid0(SALU_CYCLE_1) | instskip(NEXT) | instid1(SALU_CYCLE_1)
	s_ashr_i32 s9, s8, 31
	s_lshl_b64 s[8:9], s[8:9], 2
	s_delay_alu instid0(SALU_CYCLE_1) | instskip(SKIP_2) | instid1(SALU_CYCLE_1)
	s_add_u32 s8, s16, s8
	s_addc_u32 s9, s25, s9
	s_or_b32 s10, s12, 0x80
	s_ashr_i32 s11, s10, 4
	s_cmp_lt_i32 s10, s24
	;; [unrolled: 10-line block ×3, first 2 shown]
	s_cselect_b32 s20, s21, s13
	s_delay_alu instid0(SALU_CYCLE_1) | instskip(NEXT) | instid1(SALU_CYCLE_1)
	s_ashr_i32 s21, s20, 31
	s_lshl_b64 s[20:21], s[20:21], 2
	s_delay_alu instid0(SALU_CYCLE_1)
	s_add_u32 s20, s16, s20
	s_addc_u32 s21, s25, s21
	s_clause 0x5
	s_load_b32 s26, s[2:3], 0x0
	s_load_b32 s27, s[4:5], 0x0
	;; [unrolled: 1-line block ×6, first 2 shown]
	s_or_b32 s2, s12, 0xc0
	s_mov_b32 s4, 0
	s_ashr_i32 s3, s2, 4
	s_cmp_lt_i32 s2, s24
	s_mov_b32 s11, s4
	s_cselect_b32 s2, s3, s13
	s_mov_b32 s5, s4
	s_ashr_i32 s3, s2, 31
	s_mov_b32 s6, s4
	s_lshl_b64 s[2:3], s[2:3], 2
	s_mov_b32 s7, s4
	s_add_u32 s2, s16, s2
	s_mov_b32 s8, s4
	s_mov_b32 s9, s4
	;; [unrolled: 1-line block ×3, first 2 shown]
	s_addc_u32 s3, s25, s3
	s_or_b32 s21, s12, 0xe0
	v_dual_mov_b32 v103, s11 :: v_dual_mov_b32 v96, s4
	v_dual_mov_b32 v101, s9 :: v_dual_lshlrev_b32 v68, 6, v70
	v_mov_b32_e32 v102, s10
	v_dual_mov_b32 v100, s8 :: v_dual_mov_b32 v99, s7
	v_dual_mov_b32 v98, s6 :: v_dual_mov_b32 v97, s5
	s_ashr_i32 s4, s21, 4
	s_cmp_lt_i32 s21, s24
	s_cselect_b32 s4, s4, s13
	s_delay_alu instid0(SALU_CYCLE_1) | instskip(NEXT) | instid1(SALU_CYCLE_1)
	s_ashr_i32 s5, s4, 31
	s_lshl_b64 s[4:5], s[4:5], 2
	s_waitcnt vmcnt(1)
	v_mad_i64_i32 v[33:34], null, v5, s17, v[1:2]
	s_waitcnt vmcnt(0)
	v_mad_i64_i32 v[35:36], null, v3, s17, v[1:2]
	s_clause 0xf
	global_load_b128 v[1:4], v[33:34], off
	global_load_b128 v[5:8], v[33:34], off offset:256
	global_load_b128 v[9:12], v[35:36], off
	global_load_b128 v[13:16], v[35:36], off offset:256
	global_load_b128 v[17:20], v[33:34], off offset:512
	;; [unrolled: 1-line block ×13, first 2 shown]
	ds_load_b128 v[33:36], v68
	ds_load_b128 v[37:40], v68 offset:1024
	ds_load_b128 v[104:107], v68 offset:2048
	;; [unrolled: 1-line block ×3, first 2 shown]
	s_load_b32 s6, s[2:3], 0x0
	s_add_u32 s2, s16, s4
	s_addc_u32 s3, s25, s5
	ds_load_b128 v[112:115], v68 offset:4096
	ds_load_b128 v[116:119], v68 offset:5120
	s_load_b32 s2, s[2:3], 0x0
	s_add_u32 s4, s22, s15
	s_addc_u32 s5, s23, s18
	v_add_co_u32 v128, s4, s4, v41
	s_delay_alu instid0(VALU_DEP_1) | instskip(SKIP_1) | instid1(VALU_DEP_1)
	v_add_co_ci_u32_e64 v129, null, s5, 0, s4
	s_waitcnt lgkmcnt(0)
	v_mad_i64_i32 v[41:42], null, s26, s17, v[128:129]
	v_mad_i64_i32 v[130:131], null, s28, s17, v[128:129]
	;; [unrolled: 1-line block ×7, first 2 shown]
	s_clause 0x3
	global_load_b128 v[49:52], v[41:42], off
	global_load_b128 v[53:56], v[41:42], off offset:16
	global_load_b128 v[41:44], v[45:46], off
	global_load_b128 v[45:48], v[45:46], off offset:16
	s_waitcnt vmcnt(18)
	v_wmma_f32_16x16x16_f16 v[120:127], v[1:8], v[33:40], v[96:103]
	s_waitcnt vmcnt(16)
	v_wmma_f32_16x16x16_f16 v[96:103], v[9:16], v[33:40], v[96:103]
	s_clause 0x3
	global_load_b128 v[33:36], v[130:131], off
	global_load_b128 v[37:40], v[130:131], off offset:16
	global_load_b128 v[1:4], v[132:133], off
	global_load_b128 v[5:8], v[132:133], off offset:16
	s_waitcnt vmcnt(18)
	v_wmma_f32_16x16x16_f16 v[120:127], v[17:24], v[104:111], v[120:127]
	s_clause 0x3
	global_load_b128 v[9:12], v[134:135], off
	global_load_b128 v[13:16], v[134:135], off offset:16
	global_load_b128 v[17:20], v[136:137], off
	global_load_b128 v[21:24], v[136:137], off offset:16
	s_waitcnt vmcnt(20)
	v_wmma_f32_16x16x16_f16 v[96:103], v[25:32], v[104:111], v[96:103]
	v_mad_i64_i32 v[104:105], null, s2, s17, v[128:129]
	s_waitcnt vmcnt(18)
	v_wmma_f32_16x16x16_f16 v[120:127], v[57:64], v[112:119], v[120:127]
	s_clause 0x1
	global_load_b128 v[25:28], v[138:139], off
	global_load_b128 v[29:32], v[138:139], off offset:16
	s_waitcnt vmcnt(18)
	v_wmma_f32_16x16x16_f16 v[96:103], v[72:79], v[112:119], v[96:103]
	s_clause 0x1
	global_load_b128 v[57:60], v[104:105], off
	global_load_b128 v[61:64], v[104:105], off offset:16
	ds_load_b128 v[72:75], v68 offset:6144
	ds_load_b128 v[76:79], v68 offset:7168
	v_and_b32_e32 v104, 0xe0, v0
	v_mbcnt_lo_u32_b32 v105, -1, 0
	s_waitcnt vmcnt(0) lgkmcnt(0)
	s_barrier
	buffer_gl0_inv
	v_add_nc_u32_e32 v104, s12, v104
	v_xor_b32_e32 v106, 16, v105
	s_delay_alu instid0(VALU_DEP_2) | instskip(NEXT) | instid1(VALU_DEP_2)
	v_or_b32_e32 v104, v104, v66
	v_cmp_gt_i32_e32 vcc_lo, 32, v106
	s_delay_alu instid0(VALU_DEP_2)
	v_or_b32_e32 v107, 4, v104
	v_or_b32_e32 v108, 6, v104
	v_cmp_gt_i32_e64 s2, s24, v104
	v_or_b32_e32 v109, 8, v104
	v_wmma_f32_16x16x16_f16 v[120:127], v[80:87], v[72:79], v[120:127]
	v_cndmask_b32_e32 v105, v105, v106, vcc_lo
	v_or_b32_e32 v106, 2, v104
	v_wmma_f32_16x16x16_f16 v[96:103], v[88:95], v[72:79], v[96:103]
	v_or_b32_e32 v80, 10, v104
	v_dual_mul_f32 v90, s19, v120 :: v_dual_mul_f32 v89, s19, v121
	s_delay_alu instid0(VALU_DEP_4) | instskip(NEXT) | instid1(VALU_DEP_4)
	v_cmp_gt_i32_e32 vcc_lo, s24, v106
	v_dual_mul_f32 v94, s19, v100 :: v_dual_mul_f32 v77, s19, v125
	v_dual_mul_f32 v88, s19, v122 :: v_dual_mul_f32 v79, s19, v123
	v_mul_f32_e32 v92, s19, v102
	v_cndmask_b32_e64 v90, 0xff7fffff, v90, s2
	v_cndmask_b32_e32 v89, 0xff7fffff, v89, vcc_lo
	v_cmp_gt_i32_e64 s3, s24, v107
	v_cmp_gt_i32_e64 s4, s24, v108
	v_or_b32_e32 v81, 12, v104
	v_or_b32_e32 v82, 14, v104
	v_mul_f32_e32 v78, s19, v124
	v_cndmask_b32_e64 v88, 0xff7fffff, v88, s3
	v_cndmask_b32_e64 v79, 0xff7fffff, v79, s4
	v_max3_f32 v89, v90, 0xff7fffff, v89
	v_cmp_gt_i32_e64 s5, s24, v109
	v_cmp_gt_i32_e64 s6, s24, v80
	v_or_b32_e32 v83, 16, v104
	v_or_b32_e32 v84, 18, v104
	v_dual_mul_f32 v75, s19, v127 :: v_dual_mul_f32 v76, s19, v126
	v_cndmask_b32_e64 v78, 0xff7fffff, v78, s5
	v_cndmask_b32_e64 v77, 0xff7fffff, v77, s6
	v_max3_f32 v79, v89, v88, v79
	v_cmp_gt_i32_e64 s7, s24, v81
	v_cmp_gt_i32_e64 s8, s24, v82
	v_or_b32_e32 v85, 20, v104
	v_or_b32_e32 v86, 22, v104
	;; [unrolled: 1-line block ×6, first 2 shown]
	v_dual_mul_f32 v95, s19, v99 :: v_dual_mul_f32 v104, s19, v97
	v_mul_f32_e32 v107, s19, v96
	v_cndmask_b32_e64 v76, 0xff7fffff, v76, s7
	v_cndmask_b32_e64 v75, 0xff7fffff, v75, s8
	v_max3_f32 v77, v79, v78, v77
	v_cmp_gt_i32_e64 s9, s24, v83
	v_cmp_gt_i32_e64 s10, s24, v84
	v_dual_mul_f32 v91, s19, v103 :: v_dual_mul_f32 v106, s19, v98
	s_delay_alu instid0(VALU_DEP_4) | instskip(NEXT) | instid1(VALU_DEP_4)
	v_max3_f32 v75, v77, v76, v75
	v_cndmask_b32_e64 v78, 0xff7fffff, v107, s9
	s_delay_alu instid0(VALU_DEP_4)
	v_cndmask_b32_e64 v79, 0xff7fffff, v104, s10
	v_cmp_gt_i32_e64 s11, s24, v85
	v_cmp_gt_i32_e64 s12, s24, v86
	v_mul_f32_e32 v93, s19, v101
	v_cmp_gt_i32_e64 s13, s24, v87
	v_max3_f32 v75, v75, v78, v79
	v_cndmask_b32_e64 v76, 0xff7fffff, v106, s11
	v_cndmask_b32_e64 v77, 0xff7fffff, v95, s12
	v_cmp_gt_i32_e64 s15, s24, v72
	v_cndmask_b32_e64 v78, 0xff7fffff, v94, s13
	v_cmp_gt_i32_e64 s16, s24, v73
	v_cmp_gt_i32_e64 s17, s24, v74
	v_max3_f32 v75, v75, v76, v77
	v_cndmask_b32_e64 v72, 0xff7fffff, v93, s15
	s_delay_alu instid0(VALU_DEP_4) | instskip(NEXT) | instid1(VALU_DEP_4)
	v_cndmask_b32_e64 v73, 0xff7fffff, v92, s16
	v_cndmask_b32_e64 v74, 0xff7fffff, v91, s17
	s_delay_alu instid0(VALU_DEP_3) | instskip(SKIP_1) | instid1(VALU_DEP_2)
	v_max3_f32 v72, v75, v78, v72
	v_lshlrev_b32_e32 v75, 2, v105
	v_max3_f32 v72, v72, v73, v74
	ds_bpermute_b32 v73, v75, v72
	s_waitcnt lgkmcnt(0)
	v_max_f32_e32 v73, v73, v73
	s_delay_alu instid0(VALU_DEP_1) | instskip(NEXT) | instid1(VALU_DEP_1)
	v_max_f32_e32 v72, v72, v73
	v_fma_f32 v76, s19, v122, -v72
	v_fma_f32 v73, s19, v120, -v72
	;; [unrolled: 1-line block ×5, first 2 shown]
	v_mul_f32_e32 v76, 0x3fb8aa3b, v76
	v_fma_f32 v82, s19, v126, -v72
	s_delay_alu instid0(VALU_DEP_4) | instskip(SKIP_1) | instid1(VALU_DEP_4)
	v_dual_mul_f32 v79, 0x3fb8aa3b, v79 :: v_dual_mul_f32 v74, 0x3fb8aa3b, v74
	v_fma_f32 v86, s19, v99, -v72
	v_exp_f32_e32 v76, v76
	s_delay_alu instid0(VALU_DEP_3) | instskip(NEXT) | instid1(VALU_DEP_3)
	v_mul_f32_e32 v82, 0x3fb8aa3b, v82
	v_exp_f32_e32 v83, v79
	v_exp_f32_e32 v74, v74
	v_mul_f32_e32 v88, 0x3fb8aa3b, v86
	v_fma_f32 v91, s19, v103, -v72
	v_exp_f32_e32 v84, v82
	v_fma_f32 v89, s19, v101, -v72
	s_delay_alu instid0(VALU_DEP_3)
	v_exp_f32_e32 v90, v88
	v_cndmask_b32_e64 v80, 0, v76, s3
	v_mul_f32_e32 v73, 0x3fb8aa3b, v73
	v_fma_f32 v76, s19, v127, -v72
	v_mul_f32_e32 v77, 0x3fb8aa3b, v77
	v_cndmask_b32_e64 v82, 0, v83, s5
	v_fma_f32 v83, s19, v97, -v72
	v_exp_f32_e32 v73, v73
	v_mul_f32_e32 v76, 0x3fb8aa3b, v76
	v_exp_f32_e32 v81, v77
	v_cndmask_b32_e64 v84, 0, v84, s7
	v_mul_f32_e32 v83, 0x3fb8aa3b, v83
	v_mul_f32_e32 v89, 0x3fb8aa3b, v89
	v_exp_f32_e32 v76, v76
	s_delay_alu instid0(VALU_DEP_2) | instskip(SKIP_2) | instid1(TRANS32_DEP_3)
	v_exp_f32_e32 v87, v83
	v_cndmask_b32_e64 v78, 0, v73, s2
	v_fma_f32 v73, s19, v125, -v72
	v_cndmask_b32_e64 v79, 0, v81, s4
	v_cndmask_b32_e32 v77, 0, v74, vcc_lo
	v_fma_f32 v81, s19, v96, -v72
	s_delay_alu instid0(VALU_DEP_4) | instskip(NEXT) | instid1(TRANS32_DEP_2)
	v_dual_add_f32 v74, 0, v78 :: v_dual_mul_f32 v73, 0x3fb8aa3b, v73
	v_cndmask_b32_e64 v83, 0, v76, s8
	v_fma_f32 v76, s19, v100, -v72
	s_delay_alu instid0(VALU_DEP_4) | instskip(NEXT) | instid1(VALU_DEP_4)
	v_mul_f32_e32 v85, 0x3fb8aa3b, v81
	v_add_f32_e32 v74, v74, v77
	v_exp_f32_e32 v73, v73
	v_exp_f32_e32 v89, v89
	v_mul_f32_e32 v76, 0x3fb8aa3b, v76
	v_exp_f32_e32 v85, v85
	v_add_f32_e32 v74, v74, v80
	s_mov_b32 s2, exec_lo
	s_delay_alu instid0(VALU_DEP_2) | instskip(NEXT) | instid1(VALU_DEP_1)
	v_exp_f32_e32 v76, v76
	v_add_f32_e32 v74, v74, v79
	v_cndmask_b32_e64 v81, 0, v73, s6
	s_delay_alu instid0(TRANS32_DEP_3)
	v_cndmask_b32_e64 v89, 0, v89, s15
	s_waitcnt_depctr 0xfff
	v_cndmask_b32_e64 v86, 0, v85, s9
	v_cndmask_b32_e64 v85, 0, v87, s10
	v_fma_f32 v87, s19, v102, -v72
	v_add_f32_e32 v73, v74, v82
	v_fma_f32 v74, s19, v98, -v72
	s_delay_alu instid0(VALU_DEP_1) | instskip(NEXT) | instid1(VALU_DEP_1)
	v_mul_f32_e32 v74, 0x3fb8aa3b, v74
	v_exp_f32_e32 v74, v74
	s_waitcnt_depctr 0xfff
	v_cndmask_b32_e64 v88, 0, v74, s11
	v_dual_mul_f32 v74, 0x3fb8aa3b, v87 :: v_dual_add_f32 v73, v73, v81
	v_cndmask_b32_e64 v87, 0, v90, s12
	v_cndmask_b32_e64 v90, 0, v76, s13
	v_mul_f32_e32 v76, 0x3fb8aa3b, v91
	s_delay_alu instid0(VALU_DEP_4) | instskip(SKIP_1) | instid1(VALU_DEP_2)
	v_exp_f32_e32 v74, v74
	v_add_f32_e32 v73, v73, v84
	v_exp_f32_e32 v76, v76
	s_delay_alu instid0(VALU_DEP_1) | instskip(SKIP_4) | instid1(VALU_DEP_2)
	v_add_f32_e32 v73, v73, v83
	s_waitcnt_depctr 0xfff
	v_cndmask_b32_e64 v92, 0, v74, s16
	v_add_f32_e32 v73, v73, v86
	v_cndmask_b32_e64 v91, 0, v76, s17
	v_add_f32_e32 v73, v73, v85
	s_delay_alu instid0(VALU_DEP_1) | instskip(NEXT) | instid1(VALU_DEP_1)
	v_add_f32_e32 v73, v73, v88
	v_add_f32_e32 v73, v73, v87
	s_delay_alu instid0(VALU_DEP_1) | instskip(NEXT) | instid1(VALU_DEP_1)
	v_add_f32_e32 v73, v73, v90
	;; [unrolled: 3-line block ×3, first 2 shown]
	v_add_f32_e32 v73, v73, v91
	ds_bpermute_b32 v74, v75, v73
	v_cmpx_gt_u32_e32 16, v71
	s_cbranch_execz .LBB1005_12
; %bb.11:
	v_mul_u32_u24_e32 v71, 0x44, v69
	s_waitcnt lgkmcnt(0)
	v_add_f32_e32 v73, v73, v74
	s_delay_alu instid0(VALU_DEP_2) | instskip(NEXT) | instid1(VALU_DEP_1)
	v_lshl_add_u32 v71, v70, 2, v71
	v_add_nc_u32_e32 v71, 0x4000, v71
	ds_store_2addr_b32 v71, v72, v73 offset1:136
.LBB1005_12:
	s_or_b32 exec_lo, exec_lo, s2
	v_lshlrev_b32_e32 v70, 2, v70
	s_load_b32 s34, s[0:1], 0x94
	s_waitcnt lgkmcnt(0)
	s_barrier
	buffer_gl0_inv
	v_add_nc_u32_e32 v74, 0x4000, v70
	v_cmp_eq_u32_e32 vcc_lo, 1, v69
	v_cmp_eq_u32_e64 s2, 2, v69
	v_cmp_eq_u32_e64 s3, 3, v69
	;; [unrolled: 1-line block ×3, first 2 shown]
	ds_load_2addr_b32 v[70:71], v74 offset1:17
	ds_load_2addr_b32 v[72:73], v74 offset0:34 offset1:51
	ds_load_2addr_b32 v[93:94], v74 offset0:68 offset1:85
	;; [unrolled: 1-line block ×3, first 2 shown]
	v_cmp_eq_u32_e64 s5, 7, v69
	s_waitcnt lgkmcnt(3)
	v_max3_f32 v75, v70, 0xff7fffff, v71
	s_waitcnt lgkmcnt(2)
	s_delay_alu instid0(VALU_DEP_1) | instskip(SKIP_1) | instid1(VALU_DEP_1)
	v_max3_f32 v75, v75, v72, v73
	s_waitcnt lgkmcnt(1)
	v_max3_f32 v75, v75, v93, v94
	s_waitcnt lgkmcnt(0)
	s_delay_alu instid0(VALU_DEP_1) | instskip(NEXT) | instid1(VALU_DEP_1)
	v_max3_f32 v75, v75, v95, v96
	v_sub_f32_e32 v93, v93, v75
	ds_load_2addr_b32 v[97:98], v74 offset0:136 offset1:153
	v_sub_f32_e32 v70, v70, v75
	v_dual_sub_f32 v100, v73, v75 :: v_dual_mul_f32 v103, 0x3fb8aa3b, v93
	s_delay_alu instid0(VALU_DEP_2) | instskip(SKIP_3) | instid1(VALU_DEP_1)
	v_dual_sub_f32 v76, v71, v75 :: v_dual_mul_f32 v99, 0x3fb8aa3b, v70
	ds_load_2addr_b32 v[70:71], v74 offset0:170 offset1:187
	v_mul_f32_e32 v76, 0x3fb8aa3b, v76
	v_exp_f32_e32 v99, v99
	v_exp_f32_e32 v102, v76
	v_mul_f32_e32 v100, 0x3fb8aa3b, v100
	s_waitcnt lgkmcnt(1)
	s_waitcnt_depctr 0xfff
	v_fma_f32 v76, v99, v97, 0
	v_sub_f32_e32 v97, v94, v75
	v_sub_f32_e32 v72, v72, v75
	v_exp_f32_e32 v100, v100
	ds_load_2addr_b32 v[93:94], v74 offset0:238 offset1:255
	v_dual_fmac_f32 v76, v102, v98 :: v_dual_mul_f32 v101, 0x3fb8aa3b, v72
	ds_load_2addr_b32 v[72:73], v74 offset0:204 offset1:221
	v_dual_sub_f32 v74, v95, v75 :: v_dual_mul_f32 v95, 0x3fb8aa3b, v97
	v_exp_f32_e32 v97, v103
	v_exp_f32_e32 v101, v101
	s_waitcnt lgkmcnt(0)
	s_delay_alu instid0(VALU_DEP_1)
	v_mul_f32_e32 v74, 0x3fb8aa3b, v74
	v_exp_f32_e32 v95, v95
	s_barrier
	buffer_gl0_inv
	v_fmac_f32_e32 v76, v101, v70
	v_sub_f32_e32 v70, v96, v75
	v_exp_f32_e32 v96, v74
	s_delay_alu instid0(VALU_DEP_2) | instskip(NEXT) | instid1(VALU_DEP_2)
	v_fmac_f32_e32 v76, v100, v71
	v_mul_f32_e32 v70, 0x3fb8aa3b, v70
	s_delay_alu instid0(VALU_DEP_2) | instskip(NEXT) | instid1(VALU_DEP_2)
	v_dual_cndmask_b32 v71, v99, v102 :: v_dual_fmac_f32 v76, v97, v72
	v_exp_f32_e32 v98, v70
	s_delay_alu instid0(VALU_DEP_1) | instskip(SKIP_2) | instid1(VALU_DEP_1)
	v_fmac_f32_e32 v76, v95, v73
	s_waitcnt_depctr 0xfff
	v_fmac_f32_e32 v76, v96, v93
	v_fmac_f32_e32 v76, v98, v94
	s_delay_alu instid0(VALU_DEP_1) | instskip(NEXT) | instid1(VALU_DEP_1)
	v_add_f32_e32 v93, 0x358637bd, v76
	v_div_scale_f32 v94, null, v93, v93, 1.0
	v_div_scale_f32 v99, vcc_lo, 1.0, v93, 1.0
	s_delay_alu instid0(VALU_DEP_2) | instskip(SKIP_2) | instid1(VALU_DEP_1)
	v_rcp_f32_e32 v103, v94
	s_waitcnt_depctr 0xfff
	v_fma_f32 v70, -v94, v103, 1.0
	v_fmac_f32_e32 v103, v70, v103
	v_cndmask_b32_e64 v70, v71, v101, s2
	v_cmp_eq_u32_e64 s2, 4, v69
	v_lshlrev_b32_e32 v71, 2, v66
	s_delay_alu instid0(VALU_DEP_4) | instskip(NEXT) | instid1(VALU_DEP_4)
	v_mul_f32_e32 v101, v99, v103
	v_cndmask_b32_e64 v72, v70, v100, s3
	v_cmp_eq_u32_e64 s3, 6, v69
	v_lshl_or_b32 v70, v69, 11, v68
	v_or_b32_e32 v74, 1, v71
	v_fma_f32 v73, -v94, v101, v99
	v_cndmask_b32_e64 v72, v72, v97, s2
	v_cmp_eq_u32_e64 s2, 1, v71
	v_lshl_or_b32 v69, v66, 4, v70
	v_cmp_eq_u32_e64 s8, 1, v74
	v_fmac_f32_e32 v101, v73, v103
	v_cndmask_b32_e64 v95, v72, v95, s4
	v_or_b32_e32 v72, 2, v71
	v_or_b32_e32 v73, 3, v71
	v_cmp_eq_u32_e64 s11, 2, v74
	v_fma_f32 v94, -v94, v101, v99
	v_cndmask_b32_e64 v95, v95, v96, s3
	v_cmp_eq_u32_e64 s9, 1, v72
	v_cmp_eq_u32_e64 s10, 1, v73
	;; [unrolled: 1-line block ×3, first 2 shown]
	v_div_fmas_f32 v94, v94, v103, v101
	v_cndmask_b32_e64 v95, v95, v98, s5
	v_cmp_eq_u32_e32 vcc_lo, 2, v71
	v_cmp_eq_u32_e64 s15, 2, v73
	v_cmp_eq_u32_e64 s17, 3, v73
	v_div_fixup_f32 v93, v94, v93, 1.0
	v_cmp_eq_u32_e64 s3, 3, v71
	v_cmp_eq_u32_e64 s12, 3, v74
	v_cmp_eq_u32_e64 s16, 3, v72
	v_cmp_eq_u32_e64 s21, 4, v73
	v_mul_f32_e32 v101, v95, v93
	v_cmp_eq_u32_e64 s4, 4, v71
	v_cmp_eq_u32_e64 s18, 4, v74
	;; [unrolled: 1-line block ×4, first 2 shown]
	v_fma_mixlo_f16 v93, v101, v78, 0
	v_fma_mixlo_f16 v94, v101, v80, 0
	;; [unrolled: 1-line block ×8, first 2 shown]
	v_fma_mixhi_f16 v93, v101, v77, 0
	v_fma_mixhi_f16 v94, v101, v79, 0
	;; [unrolled: 1-line block ×8, first 2 shown]
	ds_store_b128 v69, v[93:96]
	ds_store_b128 v69, v[97:100] offset:1024
	s_waitcnt lgkmcnt(0)
	s_barrier
	buffer_gl0_inv
	ds_load_b128 v[77:80], v70
	ds_load_b128 v[81:84], v70 offset:16
	ds_load_b128 v[85:88], v70 offset:1024
	;; [unrolled: 1-line block ×3, first 2 shown]
	v_cmp_eq_u32_e64 s5, 5, v71
	v_cmp_eq_u32_e64 s19, 5, v74
	;; [unrolled: 1-line block ×11, first 2 shown]
	s_waitcnt lgkmcnt(3)
	v_lshrrev_b32_e32 v93, 16, v77
	s_waitcnt lgkmcnt(2)
	v_lshrrev_b32_e32 v97, 16, v81
	;; [unrolled: 2-line block ×4, first 2 shown]
	v_lshrrev_b32_e32 v94, 16, v78
	v_cndmask_b32_e64 v109, v77, v93, s2
	v_cndmask_b32_e64 v110, v81, v97, s2
	;; [unrolled: 1-line block ×8, first 2 shown]
	v_lshrrev_b32_e32 v98, 16, v82
	v_cndmask_b32_e64 v93, v85, v101, s2
	v_cndmask_b32_e64 v97, v89, v105, s2
	;; [unrolled: 1-line block ×5, first 2 shown]
	v_cndmask_b32_e32 v101, v109, v78, vcc_lo
	v_cndmask_b32_e64 v109, v111, v78, s11
	v_cndmask_b32_e64 v111, v113, v78, s13
	;; [unrolled: 1-line block ×4, first 2 shown]
	v_lshrrev_b32_e32 v102, 16, v86
	v_lshrrev_b32_e32 v106, 16, v90
	v_cndmask_b32_e64 v116, v89, v105, s8
	v_cndmask_b32_e64 v118, v89, v105, s9
	;; [unrolled: 1-line block ×3, first 2 shown]
	v_cndmask_b32_e32 v105, v110, v82, vcc_lo
	v_cndmask_b32_e64 v110, v112, v82, s11
	v_cndmask_b32_e64 v112, v114, v82, s13
	v_cndmask_b32_e32 v81, v93, v86, vcc_lo
	v_cndmask_b32_e32 v82, v97, v90, vcc_lo
	v_cndmask_b32_e64 v93, v115, v86, s11
	v_cndmask_b32_e64 v77, v77, v94, s17
	;; [unrolled: 1-line block ×3, first 2 shown]
	v_lshrrev_b32_e32 v95, 16, v79
	v_lshrrev_b32_e32 v99, 16, v83
	v_cndmask_b32_e64 v97, v117, v86, s13
	v_cndmask_b32_e64 v85, v85, v86, s15
	;; [unrolled: 1-line block ×14, first 2 shown]
	v_lshrrev_b32_e32 v103, 16, v87
	v_cndmask_b32_e64 v89, v89, v79, s4
	v_cndmask_b32_e64 v94, v101, v83, s4
	;; [unrolled: 1-line block ×11, first 2 shown]
	v_lshrrev_b32_e32 v96, 16, v80
	v_lshrrev_b32_e32 v100, 16, v84
	v_cndmask_b32_e64 v83, v89, v95, s5
	v_cndmask_b32_e64 v89, v94, v99, s5
	;; [unrolled: 1-line block ×9, first 2 shown]
	v_lshrrev_b32_e32 v104, 16, v88
	v_cndmask_b32_e64 v79, v79, v103, s5
	v_cndmask_b32_e64 v83, v83, v80, s6
	;; [unrolled: 1-line block ×19, first 2 shown]
	v_perm_b32 v80, v78, v77, 0x5040100
	v_cndmask_b32_e64 v77, v116, v90, s11
	v_cndmask_b32_e64 v95, v79, v104, s7
	v_perm_b32 v79, v93, v89, 0x5040100
	v_perm_b32 v78, v94, v84, 0x5040100
	v_cndmask_b32_e64 v84, v97, v102, s16
	v_cndmask_b32_e64 v85, v85, v102, s17
	;; [unrolled: 1-line block ×5, first 2 shown]
	v_lshrrev_b32_e32 v107, 16, v91
	v_cndmask_b32_e64 v84, v84, v87, s20
	v_cndmask_b32_e64 v85, v85, v87, s21
	;; [unrolled: 1-line block ×11, first 2 shown]
	v_lshrrev_b32_e32 v108, 16, v92
	v_cndmask_b32_e64 v81, v81, v92, s6
	v_cndmask_b32_e64 v84, v84, v88, s25
	;; [unrolled: 1-line block ×12, first 2 shown]
	v_perm_b32 v77, v83, v82, 0x5040100
	v_perm_b32 v84, v85, v84, 0x5040100
	v_perm_b32 v83, v86, v88, 0x5040100
	v_perm_b32 v82, v87, v96, 0x5040100
	v_perm_b32 v81, v81, v95, 0x5040100
	s_lshl_b32 s7, s33, 4
	s_mov_b32 s2, exec_lo
	ds_store_b128 v69, v[77:80]
	ds_store_b128 v69, v[81:84] offset:1024
	v_cmpx_gt_u32_e32 16, v0
	s_cbranch_execz .LBB1005_14
; %bb.13:
	v_or_b32_e32 v77, s31, v0
	s_load_b128 s[8:11], s[0:1], 0x58
	s_delay_alu instid0(VALU_DEP_1) | instskip(NEXT) | instid1(VALU_DEP_1)
	v_mad_u64_u32 v[78:79], null, s7, s30, v[77:78]
	v_mad_u64_u32 v[79:80], null, v78, s34, s[14:15]
	s_delay_alu instid0(VALU_DEP_1) | instskip(NEXT) | instid1(VALU_DEP_1)
	v_ashrrev_i32_e32 v80, 31, v79
	v_lshlrev_b64 v[77:78], 2, v[79:80]
	s_waitcnt lgkmcnt(0)
	s_delay_alu instid0(VALU_DEP_1) | instskip(NEXT) | instid1(VALU_DEP_2)
	v_add_co_u32 v79, vcc_lo, s10, v77
	v_add_co_ci_u32_e32 v80, vcc_lo, s11, v78, vcc_lo
	v_add_co_u32 v77, vcc_lo, s8, v77
	v_add_co_ci_u32_e32 v78, vcc_lo, s9, v78, vcc_lo
	global_store_b32 v[79:80], v75, off
	global_store_b32 v[77:78], v76, off
.LBB1005_14:
	s_or_b32 exec_lo, exec_lo, s2
	s_waitcnt lgkmcnt(0)
	s_waitcnt_vscnt null, 0x0
	s_barrier
	buffer_gl0_inv
	ds_load_b128 v[83:86], v68
	ds_load_b128 v[87:90], v68 offset:16
	ds_load_b128 v[95:98], v68 offset:2064
	;; [unrolled: 1-line block ×5, first 2 shown]
	v_cmp_eq_u32_e32 vcc_lo, 1, v71
	v_mov_b32_e32 v75, 0
	ds_load_b128 v[111:114], v68 offset:6160
	ds_load_b128 v[107:110], v68 offset:6144
	;; [unrolled: 1-line block ×4, first 2 shown]
	v_cmp_eq_u32_e64 s3, 1, v72
	v_cmp_eq_u32_e64 s2, 1, v74
	;; [unrolled: 1-line block ×3, first 2 shown]
	v_mov_b32_e32 v76, v75
	v_mov_b32_e32 v77, v75
	;; [unrolled: 1-line block ×7, first 2 shown]
	v_cmp_eq_u32_e64 s5, 3, v74
	v_cmp_eq_u32_e64 s6, 7, v74
	s_waitcnt lgkmcnt(8)
	s_delay_alu instid0(VALU_DEP_3)
	v_wmma_f32_16x16x16_f16 v[75:82], v[49:56], v[83:90], v[75:82]
	ds_load_b128 v[53:56], v68 offset:10256
	ds_load_b128 v[49:52], v68 offset:10240
	s_waitcnt lgkmcnt(8)
	v_wmma_f32_16x16x16_f16 v[75:82], v[41:48], v[91:98], v[75:82]
	ds_load_b128 v[45:48], v68 offset:12304
	ds_load_b128 v[41:44], v68 offset:12288
	s_waitcnt lgkmcnt(8)
	;; [unrolled: 4-line block ×3, first 2 shown]
	s_barrier
	buffer_gl0_inv
	v_wmma_f32_16x16x16_f16 v[75:82], v[1:8], v[107:114], v[75:82]
	s_delay_alu instid0(VALU_DEP_1) | instskip(NEXT) | instid1(VALU_DEP_1)
	v_wmma_f32_16x16x16_f16 v[75:82], v[9:16], v[115:122], v[75:82]
	v_wmma_f32_16x16x16_f16 v[75:82], v[17:24], v[49:56], v[75:82]
	s_delay_alu instid0(VALU_DEP_1) | instskip(NEXT) | instid1(VALU_DEP_1)
	v_wmma_f32_16x16x16_f16 v[75:82], v[25:32], v[41:48], v[75:82]
	v_wmma_f32_16x16x16_f16 v[75:82], v[57:64], v[33:40], v[75:82]
	s_delay_alu instid0(VALU_DEP_1) | instskip(NEXT) | instid1(VALU_DEP_2)
	v_cvt_f16_f32_e32 v1, v75
	v_cvt_f16_f32_e32 v2, v76
	s_delay_alu instid0(VALU_DEP_3) | instskip(NEXT) | instid1(VALU_DEP_4)
	v_cvt_f16_f32_e32 v3, v77
	v_cvt_f16_f32_e32 v4, v78
	v_cvt_f16_f32_e32 v5, v79
	v_cvt_f16_f32_e32 v6, v80
	v_cvt_f16_f32_e32 v7, v81
	v_cvt_f16_f32_e32 v8, v82
	v_pack_b32_f16 v1, v1, v2
	v_pack_b32_f16 v2, v3, v4
	;; [unrolled: 1-line block ×3, first 2 shown]
	s_delay_alu instid0(VALU_DEP_4)
	v_pack_b32_f16 v4, v7, v8
	ds_store_b128 v69, v[1:4]
	s_waitcnt lgkmcnt(0)
	s_barrier
	buffer_gl0_inv
	ds_load_b128 v[1:4], v70
	ds_load_b128 v[5:8], v70 offset:16
	s_waitcnt lgkmcnt(1)
	v_lshrrev_b32_e32 v9, 16, v1
	s_waitcnt lgkmcnt(0)
	v_lshrrev_b32_e32 v13, 16, v5
	v_lshrrev_b32_e32 v10, 16, v2
	;; [unrolled: 1-line block ×4, first 2 shown]
	v_cndmask_b32_e32 v17, v1, v9, vcc_lo
	v_cndmask_b32_e32 v18, v5, v13, vcc_lo
	v_cndmask_b32_e64 v21, v1, v9, s3
	v_cmp_eq_u32_e32 vcc_lo, 1, v73
	v_cndmask_b32_e64 v22, v5, v13, s3
	v_cmp_eq_u32_e64 s3, 2, v71
	v_cndmask_b32_e64 v19, v1, v9, s2
	v_cndmask_b32_e64 v20, v5, v13, s2
	v_cndmask_b32_e32 v1, v1, v9, vcc_lo
	v_cmp_eq_u32_e64 s2, 2, v73
	v_cndmask_b32_e32 v5, v5, v13, vcc_lo
	v_cndmask_b32_e64 v9, v17, v2, s3
	v_cmp_eq_u32_e32 vcc_lo, 3, v71
	v_cndmask_b32_e64 v13, v18, v6, s3
	v_cmp_eq_u32_e64 s3, 2, v72
	v_cndmask_b32_e64 v17, v19, v2, s4
	v_cndmask_b32_e64 v18, v20, v6, s4
	v_cmp_eq_u32_e64 s4, 3, v72
	v_cndmask_b32_e64 v1, v1, v2, s2
	v_cndmask_b32_e64 v19, v21, v2, s3
	;; [unrolled: 1-line block ×4, first 2 shown]
	v_cndmask_b32_e32 v5, v9, v10, vcc_lo
	v_cndmask_b32_e32 v6, v13, v14, vcc_lo
	v_cmp_eq_u32_e32 vcc_lo, 3, v73
	v_cndmask_b32_e64 v9, v17, v10, s5
	v_cndmask_b32_e64 v13, v18, v14, s5
	;; [unrolled: 1-line block ×3, first 2 shown]
	v_cmp_eq_u32_e64 s3, 4, v71
	v_cndmask_b32_e32 v1, v1, v10, vcc_lo
	v_cndmask_b32_e32 v2, v2, v14, vcc_lo
	v_cmp_eq_u32_e32 vcc_lo, 4, v74
	v_lshrrev_b32_e32 v15, 16, v7
	v_lshrrev_b32_e32 v16, 16, v8
	v_cndmask_b32_e64 v17, v19, v10, s4
	v_cmp_eq_u32_e64 s2, 4, v73
	v_cndmask_b32_e64 v5, v5, v3, s3
	v_cndmask_b32_e64 v6, v6, v7, s3
	v_cndmask_b32_e32 v9, v9, v3, vcc_lo
	v_cmp_eq_u32_e64 s3, 5, v74
	v_cndmask_b32_e32 v10, v13, v7, vcc_lo
	v_cmp_eq_u32_e32 vcc_lo, 4, v72
	v_cmp_eq_u32_e64 s4, 5, v71
	v_cndmask_b32_e64 v2, v2, v7, s2
	v_cndmask_b32_e64 v9, v9, v11, s3
	;; [unrolled: 1-line block ×3, first 2 shown]
	v_cndmask_b32_e32 v13, v17, v3, vcc_lo
	v_cmp_eq_u32_e64 s3, 5, v72
	v_cndmask_b32_e32 v14, v18, v7, vcc_lo
	v_cndmask_b32_e64 v1, v1, v3, s2
	v_cmp_eq_u32_e32 vcc_lo, 5, v73
	v_lshrrev_b32_e32 v12, 16, v4
	v_cndmask_b32_e64 v13, v13, v11, s3
	v_cndmask_b32_e64 v3, v14, v15, s3
	v_cmp_eq_u32_e64 s3, 6, v73
	v_cndmask_b32_e32 v1, v1, v11, vcc_lo
	v_cndmask_b32_e64 v5, v5, v11, s4
	v_cmp_eq_u32_e64 s5, 6, v71
	v_cndmask_b32_e64 v6, v6, v15, s4
	v_cmp_eq_u32_e64 s4, 6, v74
	v_cmp_eq_u32_e64 s2, 6, v72
	v_cndmask_b32_e64 v1, v1, v4, s3
	v_cndmask_b32_e32 v2, v2, v15, vcc_lo
	v_cmp_eq_u32_e32 vcc_lo, 7, v73
	v_cndmask_b32_e64 v5, v5, v4, s5
	v_cndmask_b32_e64 v9, v9, v4, s4
	v_cndmask_b32_e64 v6, v6, v8, s5
	v_cmp_eq_u32_e64 s5, 7, v71
	v_cndmask_b32_e32 v1, v1, v12, vcc_lo
	v_cndmask_b32_e64 v7, v13, v4, s2
	v_cndmask_b32_e64 v3, v3, v8, s2
	;; [unrolled: 1-line block ×3, first 2 shown]
	v_cmp_eq_u32_e64 s2, 7, v72
	v_cndmask_b32_e64 v4, v10, v8, s4
	v_cndmask_b32_e64 v5, v5, v12, s5
	v_cndmask_b32_e64 v9, v9, v12, s6
	v_cndmask_b32_e32 v2, v2, v16, vcc_lo
	v_cndmask_b32_e64 v7, v7, v12, s2
	v_cndmask_b32_e64 v3, v3, v16, s2
	;; [unrolled: 1-line block ×4, first 2 shown]
	v_perm_b32 v4, v2, v1, 0x5040100
	s_mov_b32 s2, exec_lo
	v_perm_b32 v3, v3, v7, 0x5040100
	v_perm_b32 v2, v8, v9, 0x5040100
	v_perm_b32 v1, v6, v5, 0x5040100
	ds_store_b128 v69, v[1:4]
	s_waitcnt lgkmcnt(0)
	s_barrier
	buffer_gl0_inv
	v_cmpx_gt_u32_e32 32, v0
	s_cbranch_execz .LBB1005_2
; %bb.15:
	s_load_b64 s[0:1], s[0:1], 0x68
	v_lshlrev_b32_e32 v0, 10, v0
	s_lshl_b32 s4, s34, 7
	v_or_b32_e32 v23, s31, v66
	s_mul_i32 s2, s4, s30
	v_lshlrev_b32_e32 v1, 4, v67
	v_lshlrev_b32_e32 v2, 6, v66
	s_mul_i32 s2, s2, s7
	v_and_b32_e32 v0, 0x3800, v0
	v_mul_lo_u32 v8, v23, s4
	s_ashr_i32 s3, s2, 31
	v_or_b32_e32 v3, 2, v23
	s_lshl_b64 s[2:3], s[2:3], 1
	v_or3_b32 v27, v0, v1, v2
	v_or_b32_e32 v11, 4, v23
	v_or_b32_e32 v18, 6, v23
	v_mul_lo_u32 v10, v3, s4
	v_ashrrev_i32_e32 v9, 31, v8
	ds_load_b128 v[0:3], v27
	ds_load_b128 v[4:7], v27 offset:128
	v_mul_lo_u32 v12, v11, s4
	s_waitcnt lgkmcnt(0)
	s_add_u32 s2, s0, s2
	s_addc_u32 s3, s1, s3
	s_lshl_b32 s0, s14, 7
	v_lshlrev_b64 v[8:9], 1, v[8:9]
	s_ashr_i32 s1, s0, 31
	v_ashrrev_i32_e32 v11, 31, v10
	s_lshl_b64 s[0:1], s[0:1], 1
	v_ashrrev_i32_e32 v13, 31, v12
	s_add_u32 s0, s2, s0
	s_addc_u32 s1, s3, s1
	v_add_co_u32 v30, s0, s0, v65
	s_delay_alu instid0(VALU_DEP_1) | instskip(SKIP_1) | instid1(VALU_DEP_3)
	v_add_co_ci_u32_e64 v31, null, s1, 0, s0
	v_lshlrev_b64 v[16:17], 1, v[10:11]
	v_add_co_u32 v14, vcc_lo, v30, v8
	s_delay_alu instid0(VALU_DEP_3)
	v_add_co_ci_u32_e32 v15, vcc_lo, v31, v9, vcc_lo
	ds_load_b128 v[8:11], v27 offset:256
	v_mul_lo_u32 v18, v18, s4
	v_or_b32_e32 v19, 8, v23
	v_add_co_u32 v16, vcc_lo, v30, v16
	global_store_b128 v[14:15], v[0:3], off
	v_lshlrev_b64 v[0:1], 1, v[12:13]
	v_add_co_ci_u32_e32 v17, vcc_lo, v31, v17, vcc_lo
	v_mul_lo_u32 v12, v19, s4
	v_ashrrev_i32_e32 v19, 31, v18
	v_or_b32_e32 v14, 10, v23
	global_store_b128 v[16:17], v[4:7], off
	v_add_co_u32 v4, vcc_lo, v30, v0
	v_add_co_ci_u32_e32 v5, vcc_lo, v31, v1, vcc_lo
	ds_load_b128 v[0:3], v27 offset:384
	v_ashrrev_i32_e32 v13, 31, v12
	v_lshlrev_b64 v[6:7], 1, v[18:19]
	v_mul_lo_u32 v14, v14, s4
	s_waitcnt lgkmcnt(1)
	global_store_b128 v[4:5], v[8:11], off
	v_or_b32_e32 v8, 12, v23
	v_lshlrev_b64 v[4:5], 1, v[12:13]
	v_add_co_u32 v20, vcc_lo, v30, v6
	v_or_b32_e32 v6, 14, v23
	v_ashrrev_i32_e32 v15, 31, v14
	v_mul_lo_u32 v22, v8, s4
	v_add_co_ci_u32_e32 v21, vcc_lo, v31, v7, vcc_lo
	v_add_co_u32 v24, vcc_lo, v30, v4
	v_mul_lo_u32 v26, v6, s4
	v_add_co_ci_u32_e32 v25, vcc_lo, v31, v5, vcc_lo
	v_lshlrev_b64 v[28:29], 1, v[14:15]
	ds_load_b128 v[4:7], v27 offset:512
	ds_load_b128 v[8:11], v27 offset:640
	;; [unrolled: 1-line block ×4, first 2 shown]
	v_ashrrev_i32_e32 v23, 31, v22
	v_ashrrev_i32_e32 v27, 31, v26
	v_add_co_u32 v28, vcc_lo, v30, v28
	s_delay_alu instid0(VALU_DEP_3) | instskip(SKIP_1) | instid1(VALU_DEP_4)
	v_lshlrev_b64 v[22:23], 1, v[22:23]
	v_add_co_ci_u32_e32 v29, vcc_lo, v31, v29, vcc_lo
	v_lshlrev_b64 v[26:27], 1, v[26:27]
	s_delay_alu instid0(VALU_DEP_3) | instskip(NEXT) | instid1(VALU_DEP_4)
	v_add_co_u32 v22, vcc_lo, v30, v22
	v_add_co_ci_u32_e32 v23, vcc_lo, v31, v23, vcc_lo
	s_delay_alu instid0(VALU_DEP_3) | instskip(NEXT) | instid1(VALU_DEP_4)
	v_add_co_u32 v26, vcc_lo, v30, v26
	v_add_co_ci_u32_e32 v27, vcc_lo, v31, v27, vcc_lo
	s_waitcnt lgkmcnt(4)
	global_store_b128 v[20:21], v[0:3], off
	s_waitcnt lgkmcnt(3)
	global_store_b128 v[24:25], v[4:7], off
	;; [unrolled: 2-line block ×5, first 2 shown]
	s_nop 0
	s_sendmsg sendmsg(MSG_DEALLOC_VGPRS)
	s_endpgm
	.section	.rodata,"a",@progbits
	.p2align	6, 0x0
	.amdhsa_kernel _Z39paged_attention_ll4mi_QKV_mfma16_kernelIDF16_hLN4vllm18Fp8KVCacheDataTypeE1EDF16_Li16ELi128ELi256ELb0ELi16EL8MFMAType1EEvPKT_PKT0_S8_ifPKiSA_SA_iPKfiiiPfSD_PS3_PT2_iSC_SC_
		.amdhsa_group_segment_fixed_size 17472
		.amdhsa_private_segment_fixed_size 0
		.amdhsa_kernarg_size 400
		.amdhsa_user_sgpr_count 13
		.amdhsa_user_sgpr_dispatch_ptr 0
		.amdhsa_user_sgpr_queue_ptr 0
		.amdhsa_user_sgpr_kernarg_segment_ptr 1
		.amdhsa_user_sgpr_dispatch_id 0
		.amdhsa_user_sgpr_private_segment_size 0
		.amdhsa_wavefront_size32 1
		.amdhsa_uses_dynamic_stack 0
		.amdhsa_enable_private_segment 0
		.amdhsa_system_sgpr_workgroup_id_x 1
		.amdhsa_system_sgpr_workgroup_id_y 1
		.amdhsa_system_sgpr_workgroup_id_z 1
		.amdhsa_system_sgpr_workgroup_info 0
		.amdhsa_system_vgpr_workitem_id 0
		.amdhsa_next_free_vgpr 140
		.amdhsa_next_free_sgpr 35
		.amdhsa_reserve_vcc 1
		.amdhsa_float_round_mode_32 0
		.amdhsa_float_round_mode_16_64 0
		.amdhsa_float_denorm_mode_32 3
		.amdhsa_float_denorm_mode_16_64 3
		.amdhsa_dx10_clamp 1
		.amdhsa_ieee_mode 1
		.amdhsa_fp16_overflow 0
		.amdhsa_workgroup_processor_mode 1
		.amdhsa_memory_ordered 1
		.amdhsa_forward_progress 0
		.amdhsa_shared_vgpr_count 0
		.amdhsa_exception_fp_ieee_invalid_op 0
		.amdhsa_exception_fp_denorm_src 0
		.amdhsa_exception_fp_ieee_div_zero 0
		.amdhsa_exception_fp_ieee_overflow 0
		.amdhsa_exception_fp_ieee_underflow 0
		.amdhsa_exception_fp_ieee_inexact 0
		.amdhsa_exception_int_div_zero 0
	.end_amdhsa_kernel
	.section	.text._Z39paged_attention_ll4mi_QKV_mfma16_kernelIDF16_hLN4vllm18Fp8KVCacheDataTypeE1EDF16_Li16ELi128ELi256ELb0ELi16EL8MFMAType1EEvPKT_PKT0_S8_ifPKiSA_SA_iPKfiiiPfSD_PS3_PT2_iSC_SC_,"axG",@progbits,_Z39paged_attention_ll4mi_QKV_mfma16_kernelIDF16_hLN4vllm18Fp8KVCacheDataTypeE1EDF16_Li16ELi128ELi256ELb0ELi16EL8MFMAType1EEvPKT_PKT0_S8_ifPKiSA_SA_iPKfiiiPfSD_PS3_PT2_iSC_SC_,comdat
.Lfunc_end1005:
	.size	_Z39paged_attention_ll4mi_QKV_mfma16_kernelIDF16_hLN4vllm18Fp8KVCacheDataTypeE1EDF16_Li16ELi128ELi256ELb0ELi16EL8MFMAType1EEvPKT_PKT0_S8_ifPKiSA_SA_iPKfiiiPfSD_PS3_PT2_iSC_SC_, .Lfunc_end1005-_Z39paged_attention_ll4mi_QKV_mfma16_kernelIDF16_hLN4vllm18Fp8KVCacheDataTypeE1EDF16_Li16ELi128ELi256ELb0ELi16EL8MFMAType1EEvPKT_PKT0_S8_ifPKiSA_SA_iPKfiiiPfSD_PS3_PT2_iSC_SC_
                                        ; -- End function
	.section	.AMDGPU.csdata,"",@progbits
; Kernel info:
; codeLenInByte = 6832
; NumSgprs: 37
; NumVgprs: 140
; ScratchSize: 0
; MemoryBound: 0
; FloatMode: 240
; IeeeMode: 1
; LDSByteSize: 17472 bytes/workgroup (compile time only)
; SGPRBlocks: 4
; VGPRBlocks: 17
; NumSGPRsForWavesPerEU: 37
; NumVGPRsForWavesPerEU: 140
; Occupancy: 10
; WaveLimiterHint : 1
; COMPUTE_PGM_RSRC2:SCRATCH_EN: 0
; COMPUTE_PGM_RSRC2:USER_SGPR: 13
; COMPUTE_PGM_RSRC2:TRAP_HANDLER: 0
; COMPUTE_PGM_RSRC2:TGID_X_EN: 1
; COMPUTE_PGM_RSRC2:TGID_Y_EN: 1
; COMPUTE_PGM_RSRC2:TGID_Z_EN: 1
; COMPUTE_PGM_RSRC2:TIDIG_COMP_CNT: 0
	.section	.text._Z39paged_attention_ll4mi_QKV_mfma16_kernelIDF16_hLN4vllm18Fp8KVCacheDataTypeE1EDF16_Li16ELi128ELi256ELb0ELi1EL8MFMAType1EEvPKT_PKT0_S8_ifPKiSA_SA_iPKfiiiPfSD_PS3_PT2_iSC_SC_,"axG",@progbits,_Z39paged_attention_ll4mi_QKV_mfma16_kernelIDF16_hLN4vllm18Fp8KVCacheDataTypeE1EDF16_Li16ELi128ELi256ELb0ELi1EL8MFMAType1EEvPKT_PKT0_S8_ifPKiSA_SA_iPKfiiiPfSD_PS3_PT2_iSC_SC_,comdat
	.protected	_Z39paged_attention_ll4mi_QKV_mfma16_kernelIDF16_hLN4vllm18Fp8KVCacheDataTypeE1EDF16_Li16ELi128ELi256ELb0ELi1EL8MFMAType1EEvPKT_PKT0_S8_ifPKiSA_SA_iPKfiiiPfSD_PS3_PT2_iSC_SC_ ; -- Begin function _Z39paged_attention_ll4mi_QKV_mfma16_kernelIDF16_hLN4vllm18Fp8KVCacheDataTypeE1EDF16_Li16ELi128ELi256ELb0ELi1EL8MFMAType1EEvPKT_PKT0_S8_ifPKiSA_SA_iPKfiiiPfSD_PS3_PT2_iSC_SC_
	.globl	_Z39paged_attention_ll4mi_QKV_mfma16_kernelIDF16_hLN4vllm18Fp8KVCacheDataTypeE1EDF16_Li16ELi128ELi256ELb0ELi1EL8MFMAType1EEvPKT_PKT0_S8_ifPKiSA_SA_iPKfiiiPfSD_PS3_PT2_iSC_SC_
	.p2align	8
	.type	_Z39paged_attention_ll4mi_QKV_mfma16_kernelIDF16_hLN4vllm18Fp8KVCacheDataTypeE1EDF16_Li16ELi128ELi256ELb0ELi1EL8MFMAType1EEvPKT_PKT0_S8_ifPKiSA_SA_iPKfiiiPfSD_PS3_PT2_iSC_SC_,@function
_Z39paged_attention_ll4mi_QKV_mfma16_kernelIDF16_hLN4vllm18Fp8KVCacheDataTypeE1EDF16_Li16ELi128ELi256ELb0ELi1EL8MFMAType1EEvPKT_PKT0_S8_ifPKiSA_SA_iPKfiiiPfSD_PS3_PT2_iSC_SC_: ; @_Z39paged_attention_ll4mi_QKV_mfma16_kernelIDF16_hLN4vllm18Fp8KVCacheDataTypeE1EDF16_Li16ELi128ELi256ELb0ELi1EL8MFMAType1EEvPKT_PKT0_S8_ifPKiSA_SA_iPKfiiiPfSD_PS3_PT2_iSC_SC_
; %bb.0:
	s_load_b64 s[4:5], s[0:1], 0x30
	s_mov_b32 s34, s13
	s_waitcnt lgkmcnt(0)
	s_cmp_lg_u64 s[4:5], 0
	s_cselect_b32 s6, -1, 0
	s_ashr_i32 s35, s13, 31
	s_cmp_eq_u64 s[4:5], 0
	s_cbranch_scc1 .LBB1006_3
; %bb.1:
	s_lshl_b64 s[2:3], s[34:35], 2
	s_delay_alu instid0(SALU_CYCLE_1) | instskip(SKIP_4) | instid1(SALU_CYCLE_1)
	s_add_u32 s2, s4, s2
	s_addc_u32 s3, s5, s3
	s_load_b64 s[2:3], s[2:3], 0x0
	s_waitcnt lgkmcnt(0)
	s_sub_i32 s2, s3, s2
	s_cmp_eq_u32 s2, 1
	s_cselect_b32 s2, -1, 0
	s_delay_alu instid0(SALU_CYCLE_1)
	s_and_not1_b32 vcc_lo, exec_lo, s2
	s_cbranch_vccz .LBB1006_4
.LBB1006_2:
	s_endpgm
.LBB1006_3:
.LBB1006_4:
	s_load_b64 s[2:3], s[0:1], 0x28
	s_lshl_b64 s[8:9], s[34:35], 2
	s_waitcnt lgkmcnt(0)
	s_add_u32 s2, s2, s8
	s_addc_u32 s3, s3, s9
	s_lshl_b32 s12, s14, 8
	s_load_b32 s33, s[2:3], 0x0
	s_waitcnt lgkmcnt(0)
	s_cmp_ge_i32 s12, s33
	s_cbranch_scc1 .LBB1006_2
; %bb.5:
	s_clause 0x1
	s_load_b128 s[56:59], s[0:1], 0x8
	s_load_b64 s[2:3], s[0:1], 0x20
	s_and_not1_b32 vcc_lo, exec_lo, s6
	s_mov_b64 s[6:7], s[34:35]
	s_cbranch_vccnz .LBB1006_7
; %bb.6:
	s_add_u32 s4, s4, s8
	s_addc_u32 s5, s5, s9
	s_load_b32 s6, s[4:5], 0x0
.LBB1006_7:
	s_load_b128 s[52:55], s[0:1], 0x48
	v_and_b32_e32 v65, 15, v0
	s_mov_b32 s13, exec_lo
                                        ; implicit-def: $sgpr36
                                        ; implicit-def: $sgpr24
                                        ; implicit-def: $sgpr16
                                        ; implicit-def: $sgpr4
	s_delay_alu instid0(VALU_DEP_1)
	v_cmpx_eq_u32_e32 0, v65
	s_cbranch_execz .LBB1006_9
; %bb.8:
	s_load_b64 s[4:5], s[0:1], 0x0
	s_waitcnt lgkmcnt(0)
	s_mul_hi_i32 s7, s6, s52
	s_mul_i32 s6, s6, s52
	s_delay_alu instid0(SALU_CYCLE_1) | instskip(NEXT) | instid1(SALU_CYCLE_1)
	s_lshl_b64 s[6:7], s[6:7], 1
	s_add_u32 s6, s4, s6
	s_addc_u32 s7, s5, s7
	s_lshl_b32 s4, s15, 7
	s_delay_alu instid0(SALU_CYCLE_1) | instskip(NEXT) | instid1(SALU_CYCLE_1)
	s_ashr_i32 s5, s4, 31
	s_lshl_b64 s[4:5], s[4:5], 1
	s_delay_alu instid0(SALU_CYCLE_1)
	s_add_u32 s4, s6, s4
	s_addc_u32 s5, s7, s5
	s_clause 0x3
	s_load_b256 s[36:43], s[4:5], 0x0
	s_load_b256 s[24:31], s[4:5], 0x40
	;; [unrolled: 1-line block ×4, first 2 shown]
.LBB1006_9:
	s_or_b32 exec_lo, exec_lo, s13
	v_and_b32_e32 v1, 0xef, v0
	s_add_i32 s13, s33, 15
	s_load_b32 s44, s[0:1], 0x38
	s_ashr_i32 s35, s13, 31
	s_waitcnt lgkmcnt(0)
	s_mul_i32 s62, s15, s54
	v_add_nc_u32_e32 v1, s12, v1
	s_lshr_b32 s35, s35, 28
	v_dual_mov_b32 v105, s31 :: v_dual_mov_b32 v98, s24
	s_add_i32 s13, s13, s35
	s_delay_alu instid0(VALU_DEP_2)
	v_ashrrev_i32_e32 v2, 31, v1
	v_or_b32_e32 v3, 16, v1
	s_ashr_i32 s13, s13, 4
	v_cmp_gt_i32_e32 vcc_lo, s33, v1
	s_add_i32 s13, s13, -1
	v_lshrrev_b32_e32 v2, 28, v2
	s_load_b32 s35, s[0:1], 0x1c
	v_mov_b32_e32 v103, s29
	v_mov_b32_e32 v101, s27
	s_delay_alu instid0(VALU_DEP_3)
	v_dual_mov_b32 v99, s25 :: v_dual_add_nc_u32 v4, v1, v2
	v_lshlrev_b32_e32 v73, 4, v65
	s_mul_i32 s44, s34, s44
	v_lshrrev_b32_e32 v66, 5, v0
	s_ashr_i32 s45, s44, 31
	v_ashrrev_i32_e32 v4, 4, v4
	v_add_nc_u32_e32 v2, v3, v2
	s_lshl_b64 s[44:45], s[44:45], 2
	v_mov_b32_e32 v104, s30
	s_add_u32 s61, s2, s44
	v_cndmask_b32_e32 v1, s13, v4, vcc_lo
	v_ashrrev_i32_e32 v2, 4, v2
	v_cmp_gt_i32_e32 vcc_lo, s33, v3
	s_addc_u32 s60, s3, s45
	s_ashr_i32 s63, s62, 31
	s_add_u32 s52, s56, s62
	s_addc_u32 s56, s57, s63
	v_cndmask_b32_e32 v3, s13, v2, vcc_lo
	v_ashrrev_i32_e32 v2, 31, v1
	s_lshl_b32 s2, s14, 4
	v_mov_b32_e32 v102, s28
	s_ashr_i32 s3, s2, 31
	v_ashrrev_i32_e32 v4, 31, v3
	v_lshlrev_b64 v[1:2], 2, v[1:2]
	s_lshl_b64 s[2:3], s[2:3], 2
	v_mov_b32_e32 v100, s26
	s_add_u32 s2, s61, s2
	v_lshlrev_b64 v[3:4], 2, v[3:4]
	s_addc_u32 s3, s60, s3
	v_add_co_u32 v1, vcc_lo, s61, v1
	v_add_co_ci_u32_e32 v2, vcc_lo, s60, v2, vcc_lo
	s_delay_alu instid0(VALU_DEP_3) | instskip(NEXT) | instid1(VALU_DEP_4)
	v_add_co_u32 v3, vcc_lo, s61, v3
	v_add_co_ci_u32_e32 v4, vcc_lo, s60, v4, vcc_lo
	s_clause 0x1
	global_load_b32 v5, v[1:2], off
	global_load_b32 v3, v[3:4], off
	s_or_b32 s44, s12, 32
	v_lshlrev_b32_e32 v1, 4, v0
	s_ashr_i32 s45, s44, 4
	s_cmp_lt_i32 s44, s33
	s_cselect_b32 s44, s45, s13
	s_delay_alu instid0(VALU_DEP_1) | instskip(SKIP_1) | instid1(SALU_CYCLE_1)
	v_and_b32_e32 v1, 0xf0, v1
	s_ashr_i32 s45, s44, 31
	s_lshl_b64 s[44:45], s[44:45], 2
	s_delay_alu instid0(SALU_CYCLE_1)
	s_add_u32 s44, s61, s44
	s_addc_u32 s45, s60, s45
	s_or_b32 s46, s12, 64
	v_add_co_u32 v1, s52, s52, v1
	s_ashr_i32 s47, s46, 4
	s_cmp_lt_i32 s46, s33
	v_add_co_ci_u32_e64 v2, null, s56, 0, s52
	s_cselect_b32 s46, s47, s13
	s_delay_alu instid0(SALU_CYCLE_1) | instskip(NEXT) | instid1(SALU_CYCLE_1)
	s_ashr_i32 s47, s46, 31
	s_lshl_b64 s[46:47], s[46:47], 2
	s_delay_alu instid0(SALU_CYCLE_1) | instskip(SKIP_2) | instid1(SALU_CYCLE_1)
	s_add_u32 s46, s61, s46
	s_addc_u32 s47, s60, s47
	s_or_b32 s48, s12, 0x60
	s_ashr_i32 s49, s48, 4
	s_cmp_lt_i32 s48, s33
	s_cselect_b32 s48, s49, s13
	s_delay_alu instid0(SALU_CYCLE_1) | instskip(NEXT) | instid1(SALU_CYCLE_1)
	s_ashr_i32 s49, s48, 31
	s_lshl_b64 s[48:49], s[48:49], 2
	s_delay_alu instid0(SALU_CYCLE_1) | instskip(SKIP_2) | instid1(SALU_CYCLE_1)
	s_add_u32 s48, s61, s48
	s_addc_u32 s49, s60, s49
	s_or_b32 s50, s12, 0x80
	s_ashr_i32 s51, s50, 4
	s_cmp_lt_i32 s50, s33
	;; [unrolled: 10-line block ×3, first 2 shown]
	s_cselect_b32 s54, s55, s13
	s_delay_alu instid0(SALU_CYCLE_1) | instskip(NEXT) | instid1(SALU_CYCLE_1)
	s_ashr_i32 s55, s54, 31
	s_lshl_b64 s[54:55], s[54:55], 2
	s_delay_alu instid0(SALU_CYCLE_1)
	s_add_u32 s64, s61, s54
	s_addc_u32 s65, s60, s55
	s_clause 0x5
	s_load_b32 s56, s[2:3], 0x0
	s_load_b32 s3, s[44:45], 0x0
	;; [unrolled: 1-line block ×6, first 2 shown]
	s_or_b32 s24, s12, 0xc0
	s_mov_b32 s44, 0
	s_ashr_i32 s25, s24, 4
	s_mov_b32 s45, s44
	s_mov_b32 s46, s44
	;; [unrolled: 1-line block ×7, first 2 shown]
	v_dual_mov_b32 v113, s23 :: v_dual_mov_b32 v112, s22
	v_dual_mov_b32 v111, s21 :: v_dual_mov_b32 v110, s20
	;; [unrolled: 1-line block ×4, first 2 shown]
	v_lshl_or_b32 v41, v66, 8, v73
	v_dual_mov_b32 v121, s51 :: v_dual_mov_b32 v120, s50
	v_dual_mov_b32 v119, s49 :: v_dual_mov_b32 v118, s48
	;; [unrolled: 1-line block ×4, first 2 shown]
	s_cmp_lt_i32 s24, s33
	s_cselect_b32 s16, s25, s13
	s_delay_alu instid0(SALU_CYCLE_1) | instskip(NEXT) | instid1(SALU_CYCLE_1)
	s_ashr_i32 s17, s16, 31
	s_lshl_b64 s[16:17], s[16:17], 2
	s_delay_alu instid0(SALU_CYCLE_1) | instskip(SKIP_2) | instid1(SALU_CYCLE_1)
	s_add_u32 s16, s61, s16
	s_addc_u32 s17, s60, s17
	s_or_b32 s18, s12, 0xe0
	s_ashr_i32 s19, s18, 4
	s_cmp_lt_i32 s18, s33
	s_cselect_b32 s18, s19, s13
	s_delay_alu instid0(SALU_CYCLE_1) | instskip(NEXT) | instid1(SALU_CYCLE_1)
	s_ashr_i32 s19, s18, 31
	s_lshl_b64 s[18:19], s[18:19], 2
	s_delay_alu instid0(SALU_CYCLE_1) | instskip(SKIP_4) | instid1(VALU_DEP_1)
	s_add_u32 s18, s61, s18
	s_addc_u32 s19, s60, s19
	s_add_u32 s13, s58, s62
	s_addc_u32 s20, s59, s63
	v_add_co_u32 v67, s13, s13, v41
	v_add_co_ci_u32_e64 v68, null, s20, 0, s13
	s_waitcnt lgkmcnt(0)
	s_delay_alu instid0(VALU_DEP_1)
	v_mad_i64_i32 v[41:42], null, s56, s53, v[67:68]
	v_mad_i64_i32 v[71:72], null, s54, s53, v[67:68]
	;; [unrolled: 1-line block ×5, first 2 shown]
	s_waitcnt vmcnt(1)
	v_mad_i64_i32 v[33:34], null, v5, s53, v[1:2]
	s_waitcnt vmcnt(0)
	v_mad_i64_i32 v[35:36], null, v3, s53, v[1:2]
	s_clause 0xf
	global_load_b128 v[1:4], v[33:34], off
	global_load_b128 v[5:8], v[33:34], off offset:256
	global_load_b128 v[9:12], v[35:36], off
	global_load_b128 v[13:16], v[35:36], off offset:256
	global_load_b128 v[17:20], v[33:34], off offset:512
	global_load_b128 v[21:24], v[33:34], off offset:768
	global_load_b128 v[25:28], v[35:36], off offset:512
	global_load_b128 v[29:32], v[35:36], off offset:768
	global_load_b128 v[57:60], v[33:34], off offset:1024
	global_load_b128 v[61:64], v[33:34], off offset:1280
	global_load_b128 v[74:77], v[35:36], off offset:1024
	global_load_b128 v[78:81], v[35:36], off offset:1280
	global_load_b128 v[82:85], v[33:34], off offset:1536
	global_load_b128 v[86:89], v[33:34], off offset:1792
	global_load_b128 v[90:93], v[35:36], off offset:1536
	global_load_b128 v[94:97], v[35:36], off offset:1792
	v_mov_b32_e32 v33, s36
	v_mov_b32_e32 v35, s38
	;; [unrolled: 1-line block ×4, first 2 shown]
	s_clause 0x1
	s_load_b32 s13, s[16:17], 0x0
	s_load_b32 s16, s[18:19], 0x0
	v_mov_b32_e32 v34, s37
	v_mov_b32_e32 v36, s39
	;; [unrolled: 1-line block ×4, first 2 shown]
	s_waitcnt lgkmcnt(0)
	v_mad_i64_i32 v[132:133], null, s16, s53, v[67:68]
	s_waitcnt vmcnt(14)
	s_delay_alu instid0(VALU_DEP_2)
	v_wmma_f32_16x16x16_f16 v[122:129], v[1:8], v[33:40], v[114:121]
	s_waitcnt vmcnt(12)
	v_wmma_f32_16x16x16_f16 v[114:121], v[9:16], v[33:40], v[114:121]
	s_clause 0x7
	global_load_b128 v[49:52], v[41:42], off
	global_load_b128 v[53:56], v[41:42], off offset:16
	global_load_b128 v[41:44], v[45:46], off
	global_load_b128 v[45:48], v[45:46], off offset:16
	;; [unrolled: 2-line block ×4, first 2 shown]
	v_mad_i64_i32 v[71:72], null, s13, s53, v[67:68]
	v_mad_i64_i32 v[69:70], null, s2, s53, v[67:68]
	s_waitcnt vmcnt(18)
	v_wmma_f32_16x16x16_f16 v[122:129], v[17:24], v[98:105], v[122:129]
	s_waitcnt vmcnt(16)
	v_wmma_f32_16x16x16_f16 v[114:121], v[25:32], v[98:105], v[114:121]
	s_clause 0x3
	global_load_b128 v[9:12], v[130:131], off
	global_load_b128 v[13:16], v[130:131], off offset:16
	global_load_b128 v[17:20], v[69:70], off
	global_load_b128 v[21:24], v[69:70], off offset:16
	s_waitcnt vmcnt(18)
	v_wmma_f32_16x16x16_f16 v[122:129], v[57:64], v[106:113], v[122:129]
	s_clause 0x3
	global_load_b128 v[25:28], v[71:72], off
	global_load_b128 v[29:32], v[71:72], off offset:16
	global_load_b128 v[57:60], v[132:133], off
	global_load_b128 v[61:64], v[132:133], off offset:16
	v_mbcnt_lo_u32_b32 v68, -1, 0
	v_dual_mov_b32 v105, s11 :: v_dual_mov_b32 v104, s10
	v_dual_mov_b32 v103, s9 :: v_dual_mov_b32 v102, s8
	s_delay_alu instid0(VALU_DEP_3) | instskip(SKIP_2) | instid1(VALU_DEP_3)
	v_xor_b32_e32 v69, 16, v68
	v_dual_mov_b32 v101, s7 :: v_dual_mov_b32 v100, s6
	v_dual_mov_b32 v99, s5 :: v_dual_mov_b32 v98, s4
	v_cmp_gt_i32_e32 vcc_lo, 32, v69
	v_and_b32_e32 v67, 0xe0, v0
	s_waitcnt vmcnt(20)
	v_wmma_f32_16x16x16_f16 v[114:121], v[74:81], v[106:113], v[114:121]
	v_bfe_u32 v74, v0, 4, 1
	s_waitcnt vmcnt(18)
	v_wmma_f32_16x16x16_f16 v[122:129], v[82:89], v[98:105], v[122:129]
	v_dual_cndmask_b32 v68, v68, v69 :: v_dual_add_nc_u32 v67, s12, v67
	s_waitcnt vmcnt(0)
	s_barrier
	s_delay_alu instid0(VALU_DEP_2)
	v_mul_f32_e32 v86, s35, v129
	v_mul_f32_e32 v88, s35, v127
	v_or_b32_e32 v67, v67, v74
	v_wmma_f32_16x16x16_f16 v[114:121], v[90:97], v[98:105], v[114:121]
	v_dual_mul_f32 v92, s35, v123 :: v_dual_mul_f32 v93, s35, v122
	v_mul_f32_e32 v90, s35, v125
	s_delay_alu instid0(VALU_DEP_4)
	v_or_b32_e32 v69, 2, v67
	v_or_b32_e32 v70, 4, v67
	;; [unrolled: 1-line block ×3, first 2 shown]
	v_cmp_gt_i32_e64 s2, s33, v67
	v_or_b32_e32 v72, 8, v67
	v_cmp_gt_i32_e32 vcc_lo, s33, v69
	v_or_b32_e32 v75, 10, v67
	v_mul_f32_e32 v91, s35, v124
	v_cndmask_b32_e64 v93, 0xff7fffff, v93, s2
	v_cmp_gt_i32_e64 s3, s33, v70
	v_cndmask_b32_e32 v92, 0xff7fffff, v92, vcc_lo
	v_cmp_gt_i32_e64 s4, s33, v71
	v_or_b32_e32 v76, 12, v67
	v_or_b32_e32 v77, 14, v67
	v_dual_mul_f32 v89, s35, v126 :: v_dual_mul_f32 v98, s35, v117
	v_cndmask_b32_e64 v70, 0xff7fffff, v91, s3
	v_cndmask_b32_e64 v71, 0xff7fffff, v90, s4
	v_max3_f32 v90, v93, 0xff7fffff, v92
	v_cmp_gt_i32_e64 s5, s33, v72
	v_cmp_gt_i32_e64 s6, s33, v75
	v_or_b32_e32 v78, 16, v67
	v_or_b32_e32 v79, 18, v67
	v_dual_mul_f32 v87, s35, v128 :: v_dual_mul_f32 v96, s35, v119
	v_cndmask_b32_e64 v72, 0xff7fffff, v89, s5
	v_cndmask_b32_e64 v75, 0xff7fffff, v88, s6
	v_max3_f32 v70, v90, v70, v71
	v_cmp_gt_i32_e64 s7, s33, v76
	v_cmp_gt_i32_e64 s8, s33, v77
	v_or_b32_e32 v80, 20, v67
	v_or_b32_e32 v81, 22, v67
	;; [unrolled: 1-line block ×6, first 2 shown]
	v_mul_f32_e32 v69, s35, v115
	v_mul_f32_e32 v67, s35, v114
	v_cndmask_b32_e64 v71, 0xff7fffff, v87, s7
	v_cndmask_b32_e64 v76, 0xff7fffff, v86, s8
	v_max3_f32 v70, v70, v72, v75
	v_cmp_gt_i32_e64 s9, s33, v78
	v_cmp_gt_i32_e64 s10, s33, v79
	v_mul_f32_e32 v99, s35, v116
	v_cmp_gt_i32_e64 s11, s33, v80
	v_max3_f32 v70, v70, v71, v76
	v_cndmask_b32_e64 v67, 0xff7fffff, v67, s9
	v_cndmask_b32_e64 v69, 0xff7fffff, v69, s10
	v_cmp_gt_i32_e64 s12, s33, v81
	v_mul_f32_e32 v97, s35, v118
	v_cndmask_b32_e64 v71, 0xff7fffff, v99, s11
	v_cmp_gt_i32_e64 s13, s33, v82
	v_max3_f32 v67, v70, v67, v69
	v_cndmask_b32_e64 v72, 0xff7fffff, v98, s12
	v_cmp_gt_i32_e64 s16, s33, v83
	v_dual_mul_f32 v94, s35, v121 :: v_dual_mul_f32 v95, s35, v120
	v_cndmask_b32_e64 v69, 0xff7fffff, v97, s13
	s_delay_alu instid0(VALU_DEP_4) | instskip(NEXT) | instid1(VALU_DEP_4)
	v_max3_f32 v67, v67, v71, v72
	v_cndmask_b32_e64 v70, 0xff7fffff, v96, s16
	v_cmp_gt_i32_e64 s17, s33, v84
	v_cmp_gt_i32_e64 s18, s33, v85
	v_lshlrev_b32_e32 v75, 2, v68
	buffer_gl0_inv
	v_max3_f32 v67, v67, v69, v70
	v_cndmask_b32_e64 v71, 0xff7fffff, v95, s17
	v_cndmask_b32_e64 v72, 0xff7fffff, v94, s18
	s_delay_alu instid0(VALU_DEP_1) | instskip(SKIP_3) | instid1(VALU_DEP_1)
	v_max3_f32 v67, v67, v71, v72
	ds_bpermute_b32 v68, v75, v67
	s_waitcnt lgkmcnt(0)
	v_max_f32_e32 v68, v68, v68
	v_max_f32_e32 v67, v67, v68
	s_delay_alu instid0(VALU_DEP_1)
	v_fma_f32 v68, s35, v122, -v67
	v_fma_f32 v70, s35, v124, -v67
	;; [unrolled: 1-line block ×5, first 2 shown]
	v_mul_f32_e32 v68, 0x3fb8aa3b, v68
	s_delay_alu instid0(VALU_DEP_4) | instskip(NEXT) | instid1(VALU_DEP_3)
	v_dual_mul_f32 v70, 0x3fb8aa3b, v70 :: v_dual_mul_f32 v69, 0x3fb8aa3b, v69
	v_mul_f32_e32 v72, 0x3fb8aa3b, v72
	s_delay_alu instid0(VALU_DEP_3) | instskip(NEXT) | instid1(VALU_DEP_2)
	v_exp_f32_e32 v68, v68
	v_exp_f32_e32 v76, v70
	s_delay_alu instid0(VALU_DEP_2) | instskip(NEXT) | instid1(VALU_DEP_1)
	v_exp_f32_e32 v69, v69
	v_exp_f32_e32 v79, v72
	v_cndmask_b32_e64 v70, 0, v68, s2
	v_fma_f32 v68, s35, v127, -v67
	s_waitcnt_depctr 0xfff
	v_cndmask_b32_e32 v69, 0, v69, vcc_lo
	v_cndmask_b32_e64 v72, 0, v76, s3
	v_cndmask_b32_e64 v83, 0, v79, s5
	v_dual_add_f32 v77, 0, v70 :: v_dual_mul_f32 v68, 0x3fb8aa3b, v68
	s_mov_b32 s3, exec_lo
	s_delay_alu instid0(VALU_DEP_1) | instskip(NEXT) | instid1(VALU_DEP_2)
	v_add_f32_e32 v76, v77, v69
	v_exp_f32_e32 v68, v68
	s_delay_alu instid0(VALU_DEP_1) | instskip(SKIP_3) | instid1(VALU_DEP_1)
	v_add_f32_e32 v76, v76, v72
	s_waitcnt_depctr 0xfff
	v_cndmask_b32_e64 v82, 0, v68, s6
	v_mul_f32_e32 v71, 0x3fb8aa3b, v71
	v_exp_f32_e32 v71, v71
	s_waitcnt_depctr 0xfff
	v_cndmask_b32_e64 v71, 0, v71, s4
	s_delay_alu instid0(VALU_DEP_1) | instskip(NEXT) | instid1(VALU_DEP_1)
	v_add_f32_e32 v76, v76, v71
	v_add_f32_e32 v68, v76, v83
	v_fma_f32 v78, s35, v128, -v67
	v_fma_f32 v77, s35, v129, -v67
	;; [unrolled: 1-line block ×4, first 2 shown]
	v_add_f32_e32 v68, v68, v82
	v_mul_f32_e32 v78, 0x3fb8aa3b, v78
	v_fma_f32 v76, s35, v116, -v67
	v_mul_f32_e32 v80, 0x3fb8aa3b, v80
	s_delay_alu instid0(VALU_DEP_3) | instskip(NEXT) | instid1(VALU_DEP_2)
	v_exp_f32_e32 v78, v78
	v_mul_f32_e32 v76, 0x3fb8aa3b, v76
	s_delay_alu instid0(VALU_DEP_2) | instskip(NEXT) | instid1(VALU_DEP_1)
	v_exp_f32_e32 v80, v80
	v_exp_f32_e32 v76, v76
	s_delay_alu instid0(TRANS32_DEP_3)
	v_cndmask_b32_e64 v85, 0, v78, s7
	v_fma_f32 v78, s35, v117, -v67
	v_mul_f32_e32 v77, 0x3fb8aa3b, v77
	v_mul_f32_e32 v79, 0x3fb8aa3b, v79
	s_waitcnt_depctr 0xfff
	v_cndmask_b32_e64 v87, 0, v80, s9
	v_add_f32_e32 v68, v68, v85
	v_mul_f32_e32 v78, 0x3fb8aa3b, v78
	v_exp_f32_e32 v77, v77
	v_exp_f32_e32 v79, v79
	v_fma_f32 v80, s35, v119, -v67
	v_cndmask_b32_e64 v89, 0, v76, s11
	v_exp_f32_e32 v78, v78
	s_delay_alu instid0(VALU_DEP_2) | instskip(NEXT) | instid1(TRANS32_DEP_3)
	v_mul_f32_e32 v80, 0x3fb8aa3b, v80
	v_cndmask_b32_e64 v84, 0, v77, s8
	v_fma_f32 v77, s35, v118, -v67
	s_delay_alu instid0(TRANS32_DEP_2)
	v_cndmask_b32_e64 v86, 0, v79, s10
	v_fma_f32 v79, s35, v120, -v67
	s_waitcnt_depctr 0xfff
	v_cndmask_b32_e64 v88, 0, v78, s12
	v_dual_add_f32 v68, v68, v84 :: v_dual_mul_f32 v77, 0x3fb8aa3b, v77
	v_fma_f32 v78, s35, v121, -v67
	v_mul_f32_e32 v76, 0x3fb8aa3b, v79
	v_exp_f32_e32 v79, v80
	s_delay_alu instid0(VALU_DEP_3) | instskip(SKIP_1) | instid1(VALU_DEP_2)
	v_add_f32_e32 v68, v68, v87
	v_exp_f32_e32 v77, v77
	v_exp_f32_e32 v76, v76
	s_delay_alu instid0(TRANS32_DEP_3)
	v_cndmask_b32_e64 v90, 0, v79, s16
	s_waitcnt_depctr 0xfff
	v_cndmask_b32_e64 v91, 0, v77, s13
	v_mul_f32_e32 v77, 0x3fb8aa3b, v78
	v_add_f32_e32 v68, v68, v86
	v_cndmask_b32_e64 v93, 0, v76, s17
	v_and_b32_e32 v76, 31, v0
	s_delay_alu instid0(VALU_DEP_4) | instskip(NEXT) | instid1(VALU_DEP_3)
	v_exp_f32_e32 v77, v77
	v_add_f32_e32 v68, v68, v89
	s_delay_alu instid0(VALU_DEP_2) | instskip(NEXT) | instid1(VALU_DEP_2)
	v_cmp_lt_u32_e64 s2, 15, v76
	v_add_f32_e32 v68, v68, v88
	s_waitcnt_depctr 0xfff
	v_cndmask_b32_e64 v92, 0, v77, s18
	v_add_f32_e32 v68, v68, v91
	s_delay_alu instid0(VALU_DEP_1) | instskip(NEXT) | instid1(VALU_DEP_1)
	v_add_f32_e32 v68, v68, v90
	v_add_f32_e32 v68, v68, v93
	s_delay_alu instid0(VALU_DEP_1)
	v_add_f32_e32 v68, v68, v92
	ds_bpermute_b32 v75, v75, v68
	v_cmpx_gt_u32_e32 16, v76
	s_cbranch_execz .LBB1006_11
; %bb.10:
	v_mul_u32_u24_e32 v76, 0x44, v66
	s_delay_alu instid0(VALU_DEP_1) | instskip(SKIP_1) | instid1(VALU_DEP_1)
	v_lshl_add_u32 v76, v65, 2, v76
	s_waitcnt lgkmcnt(0)
	v_dual_add_f32 v68, v68, v75 :: v_dual_add_nc_u32 v75, 0x4000, v76
	ds_store_2addr_b32 v75, v67, v68 offset1:136
.LBB1006_11:
	s_or_b32 exec_lo, exec_lo, s3
	v_lshlrev_b32_e32 v67, 2, v65
	s_load_b64 s[36:37], s[0:1], 0x94
	s_waitcnt lgkmcnt(0)
	s_barrier
	buffer_gl0_inv
	v_add_nc_u32_e32 v81, 0x4000, v67
	v_cmp_eq_u32_e32 vcc_lo, 1, v66
	v_cmp_eq_u32_e64 s3, 2, v66
	v_cmp_eq_u32_e64 s5, 3, v66
	;; [unrolled: 1-line block ×3, first 2 shown]
	ds_load_2addr_b32 v[75:76], v81 offset1:17
	ds_load_2addr_b32 v[77:78], v81 offset0:34 offset1:51
	ds_load_2addr_b32 v[79:80], v81 offset0:68 offset1:85
	;; [unrolled: 1-line block ×4, first 2 shown]
	v_cmp_eq_u32_e64 s7, 5, v66
	v_cmp_eq_u32_e64 s4, 6, v66
	s_waitcnt lgkmcnt(4)
	v_max3_f32 v67, v75, 0xff7fffff, v76
	s_waitcnt lgkmcnt(3)
	s_delay_alu instid0(VALU_DEP_1) | instskip(SKIP_1) | instid1(VALU_DEP_1)
	v_max3_f32 v67, v67, v77, v78
	s_waitcnt lgkmcnt(2)
	v_max3_f32 v67, v67, v79, v80
	s_waitcnt lgkmcnt(1)
	s_delay_alu instid0(VALU_DEP_1) | instskip(NEXT) | instid1(VALU_DEP_1)
	v_max3_f32 v67, v67, v94, v95
	v_sub_f32_e32 v68, v75, v67
	s_delay_alu instid0(VALU_DEP_1) | instskip(NEXT) | instid1(VALU_DEP_1)
	v_dual_sub_f32 v79, v79, v67 :: v_dual_mul_f32 v68, 0x3fb8aa3b, v68
	v_mul_f32_e32 v102, 0x3fb8aa3b, v79
	s_delay_alu instid0(VALU_DEP_2) | instskip(SKIP_1) | instid1(VALU_DEP_1)
	v_exp_f32_e32 v99, v68
	v_sub_f32_e32 v68, v78, v67
	v_dual_sub_f32 v98, v76, v67 :: v_dual_mul_f32 v101, 0x3fb8aa3b, v68
	s_delay_alu instid0(VALU_DEP_1)
	v_dual_sub_f32 v77, v77, v67 :: v_dual_mul_f32 v98, 0x3fb8aa3b, v98
	s_waitcnt lgkmcnt(0)
	s_waitcnt_depctr 0xfff
	v_fma_f32 v68, v99, v96, 0
	v_sub_f32_e32 v96, v80, v67
	v_mul_f32_e32 v100, 0x3fb8aa3b, v77
	v_exp_f32_e32 v98, v98
	v_exp_f32_e32 v101, v101
	s_delay_alu instid0(VALU_DEP_1) | instskip(NEXT) | instid1(TRANS32_DEP_3)
	v_exp_f32_e32 v100, v100
	v_fmac_f32_e32 v68, v98, v97
	ds_load_2addr_b32 v[75:76], v81 offset0:170 offset1:187
	ds_load_2addr_b32 v[77:78], v81 offset0:204 offset1:221
	;; [unrolled: 1-line block ×3, first 2 shown]
	v_dual_sub_f32 v81, v94, v67 :: v_dual_mul_f32 v94, 0x3fb8aa3b, v96
	v_exp_f32_e32 v96, v102
	s_waitcnt lgkmcnt(0)
	s_barrier
	s_delay_alu instid0(VALU_DEP_1)
	v_mul_f32_e32 v81, 0x3fb8aa3b, v81
	v_exp_f32_e32 v94, v94
	buffer_gl0_inv
	v_fmac_f32_e32 v68, v100, v75
	v_sub_f32_e32 v75, v95, v67
	v_exp_f32_e32 v95, v81
	s_delay_alu instid0(VALU_DEP_1) | instskip(SKIP_1) | instid1(VALU_DEP_2)
	v_dual_fmac_f32 v68, v101, v76 :: v_dual_mul_f32 v75, 0x3fb8aa3b, v75
	v_cndmask_b32_e32 v76, v99, v98, vcc_lo
	v_fmac_f32_e32 v68, v96, v77
	s_delay_alu instid0(VALU_DEP_3) | instskip(NEXT) | instid1(VALU_DEP_1)
	v_exp_f32_e32 v97, v75
	v_fmac_f32_e32 v68, v94, v78
	s_waitcnt_depctr 0xfff
	v_dual_fmac_f32 v68, v95, v79 :: v_dual_lshlrev_b32 v79, 6, v65
	s_delay_alu instid0(VALU_DEP_1) | instskip(NEXT) | instid1(VALU_DEP_2)
	v_dual_mov_b32 v65, 0 :: v_dual_fmac_f32 v68, v97, v80
	v_lshl_or_b32 v81, v66, 11, v79
	s_delay_alu instid0(VALU_DEP_2) | instskip(NEXT) | instid1(VALU_DEP_1)
	v_add_f32_e32 v80, 0x358637bd, v68
	v_div_scale_f32 v102, null, v80, v80, 1.0
	v_div_scale_f32 v98, vcc_lo, 1.0, v80, 1.0
	s_delay_alu instid0(VALU_DEP_2) | instskip(SKIP_2) | instid1(VALU_DEP_1)
	v_rcp_f32_e32 v103, v102
	s_waitcnt_depctr 0xfff
	v_fma_f32 v75, -v102, v103, 1.0
	v_fmac_f32_e32 v103, v75, v103
	v_cndmask_b32_e64 v75, v76, v100, s3
	v_cmp_eq_u32_e64 s3, 7, v66
	s_delay_alu instid0(VALU_DEP_3) | instskip(NEXT) | instid1(VALU_DEP_3)
	v_mul_f32_e32 v99, v98, v103
	v_cndmask_b32_e64 v76, v75, v101, s5
	v_lshlrev_b32_e32 v75, 2, v74
	s_delay_alu instid0(VALU_DEP_3) | instskip(NEXT) | instid1(VALU_DEP_3)
	v_fma_f32 v77, -v102, v99, v98
	v_cndmask_b32_e64 v96, v76, v96, s6
	s_delay_alu instid0(VALU_DEP_3)
	v_or_b32_e32 v78, 1, v75
	v_or_b32_e32 v76, 2, v75
	v_cmp_eq_u32_e64 s5, 1, v75
	v_fmac_f32_e32 v99, v77, v103
	v_cndmask_b32_e64 v66, v96, v94, s7
	v_or_b32_e32 v77, 3, v75
	v_cmp_eq_u32_e64 s9, 1, v78
	v_cmp_eq_u32_e64 s10, 1, v76
	v_fma_f32 v94, -v102, v99, v98
	v_cndmask_b32_e64 v66, v66, v95, s4
	v_cmp_eq_u32_e64 s11, 1, v77
	v_cmp_eq_u32_e64 s6, 2, v75
	;; [unrolled: 1-line block ×3, first 2 shown]
	v_div_fmas_f32 v94, v94, v103, v99
	v_cndmask_b32_e64 v66, v66, v97, s3
	v_cmp_eq_u32_e64 s17, 2, v77
	v_cmp_eq_u32_e32 vcc_lo, 3, v75
	v_cmp_eq_u32_e64 s13, 3, v78
	v_div_fixup_f32 v94, v94, v80, 1.0
	v_lshl_or_b32 v80, v74, 4, v81
	v_cmp_eq_u32_e64 s16, 2, v76
	v_cmp_eq_u32_e64 s19, 3, v77
	v_cmp_eq_u32_e64 s4, 4, v75
	v_mul_f32_e32 v66, v66, v94
	v_cmp_eq_u32_e64 s18, 3, v76
	v_cmp_eq_u32_e64 s20, 4, v78
	;; [unrolled: 1-line block ×4, first 2 shown]
	v_fma_mixlo_f16 v94, v66, v70, 0
	v_fma_mixlo_f16 v95, v66, v72, 0
	;; [unrolled: 1-line block ×8, first 2 shown]
	v_fma_mixhi_f16 v94, v66, v69, 0
	v_fma_mixhi_f16 v95, v66, v71, 0
	;; [unrolled: 1-line block ×8, first 2 shown]
	ds_store_b128 v80, v[94:97]
	ds_store_b128 v80, v[98:101] offset:1024
	s_waitcnt lgkmcnt(0)
	s_barrier
	buffer_gl0_inv
	ds_load_b128 v[69:72], v81
	ds_load_b128 v[82:85], v81 offset:16
	ds_load_b128 v[86:89], v81 offset:1024
	;; [unrolled: 1-line block ×3, first 2 shown]
	v_cmp_eq_u32_e64 s21, 5, v78
	v_cmp_eq_u32_e64 s22, 4, v76
	;; [unrolled: 1-line block ×12, first 2 shown]
	s_waitcnt lgkmcnt(3)
	v_lshrrev_b32_e32 v66, 16, v69
	s_waitcnt lgkmcnt(2)
	v_lshrrev_b32_e32 v97, 16, v82
	;; [unrolled: 2-line block ×4, first 2 shown]
	v_lshrrev_b32_e32 v94, 16, v70
	v_cndmask_b32_e64 v109, v69, v66, s5
	v_cndmask_b32_e64 v110, v82, v97, s5
	;; [unrolled: 1-line block ×7, first 2 shown]
	v_lshrrev_b32_e32 v98, 16, v83
	v_cndmask_b32_e64 v114, v82, v97, s10
	v_cndmask_b32_e64 v82, v86, v101, s5
	;; [unrolled: 1-line block ×15, first 2 shown]
	v_lshrrev_b32_e32 v102, 16, v87
	v_lshrrev_b32_e32 v106, 16, v91
	v_cndmask_b32_e64 v111, v113, v70, s16
	v_cndmask_b32_e64 v112, v114, v83, s16
	;; [unrolled: 1-line block ×7, first 2 shown]
	v_cndmask_b32_e32 v87, v101, v94, vcc_lo
	v_cndmask_b32_e32 v101, v105, v98, vcc_lo
	v_cndmask_b32_e64 v105, v109, v94, s13
	v_cndmask_b32_e64 v109, v110, v98, s13
	v_cndmask_b32_e64 v66, v66, v94, s19
	v_cndmask_b32_e64 v69, v69, v98, s19
	v_lshrrev_b32_e32 v95, 16, v71
	v_lshrrev_b32_e32 v99, 16, v84
	v_cndmask_b32_e64 v110, v111, v94, s18
	v_cndmask_b32_e64 v111, v112, v98, s18
	v_cndmask_b32_e32 v70, v70, v102, vcc_lo
	v_cndmask_b32_e32 v82, v82, v106, vcc_lo
	v_cndmask_b32_e64 v83, v83, v102, s13
	v_cndmask_b32_e64 v87, v87, v71, s4
	;; [unrolled: 1-line block ×7, first 2 shown]
	v_lshrrev_b32_e32 v103, 16, v88
	v_lshrrev_b32_e32 v107, 16, v92
	v_cndmask_b32_e64 v105, v110, v71, s22
	v_cndmask_b32_e64 v109, v111, v84, s22
	;; [unrolled: 1-line block ×11, first 2 shown]
	v_lshrrev_b32_e32 v96, 16, v72
	v_lshrrev_b32_e32 v100, 16, v85
	v_cndmask_b32_e64 v98, v105, v95, s24
	v_cndmask_b32_e64 v101, v109, v99, s24
	;; [unrolled: 1-line block ×11, first 2 shown]
	v_lshrrev_b32_e32 v104, 16, v89
	v_cndmask_b32_e64 v95, v98, v72, s27
	v_cndmask_b32_e64 v98, v101, v85, s27
	;; [unrolled: 1-line block ×14, first 2 shown]
	v_perm_b32 v72, v69, v66, 0x5040100
	v_perm_b32 v70, v94, v84, 0x5040100
	v_cndmask_b32_e64 v66, v90, v91, s17
	v_cndmask_b32_e64 v69, v118, v91, s16
	;; [unrolled: 1-line block ×4, first 2 shown]
	v_perm_b32 v71, v95, v87, 0x5040100
	v_cndmask_b32_e64 v87, v97, v102, s18
	v_cndmask_b32_e64 v86, v86, v102, s19
	;; [unrolled: 1-line block ×15, first 2 shown]
	v_lshrrev_b32_e32 v108, 16, v93
	v_cndmask_b32_e64 v87, v87, v89, s27
	v_cndmask_b32_e64 v86, v86, v89, s28
	;; [unrolled: 1-line block ×11, first 2 shown]
	v_perm_b32 v69, v83, v82, 0x5040100
	v_perm_b32 v85, v66, v86, 0x5040100
	;; [unrolled: 1-line block ×5, first 2 shown]
	s_mov_b32 s3, exec_lo
	ds_store_b128 v80, v[69:72]
	ds_store_b128 v80, v[82:85] offset:1024
	v_cmpx_eq_u32_e32 0, v0
	s_cbranch_execz .LBB1006_13
; %bb.12:
	s_load_b128 s[4:7], s[0:1], 0x58
	s_mul_i32 s8, s37, s34
	s_delay_alu instid0(SALU_CYCLE_1) | instskip(NEXT) | instid1(SALU_CYCLE_1)
	s_add_i32 s8, s8, s15
	s_mul_i32 s8, s8, s36
	s_delay_alu instid0(SALU_CYCLE_1) | instskip(NEXT) | instid1(SALU_CYCLE_1)
	s_add_i32 s8, s8, s14
	s_ashr_i32 s9, s8, 31
	s_delay_alu instid0(SALU_CYCLE_1)
	s_lshl_b64 s[8:9], s[8:9], 2
	s_waitcnt lgkmcnt(0)
	s_add_u32 s6, s6, s8
	s_addc_u32 s7, s7, s9
	s_add_u32 s4, s4, s8
	s_addc_u32 s5, s5, s9
	s_clause 0x1
	global_store_b32 v65, v67, s[6:7]
	global_store_b32 v65, v68, s[4:5]
.LBB1006_13:
	s_or_b32 exec_lo, exec_lo, s3
	s_waitcnt lgkmcnt(0)
	s_waitcnt_vscnt null, 0x0
	s_barrier
	buffer_gl0_inv
	ds_load_b128 v[82:85], v79
	ds_load_b128 v[86:89], v79 offset:16
	ds_load_b128 v[94:97], v79 offset:2064
	;; [unrolled: 1-line block ×5, first 2 shown]
	v_mov_b32_e32 v66, v65
	v_mov_b32_e32 v67, v65
	;; [unrolled: 1-line block ×7, first 2 shown]
	ds_load_b128 v[110:113], v79 offset:6160
	ds_load_b128 v[106:109], v79 offset:6144
	v_cmp_eq_u32_e32 vcc_lo, 1, v75
	v_cmp_eq_u32_e64 s3, 1, v78
	v_cmp_eq_u32_e64 s4, 1, v77
	;; [unrolled: 1-line block ×5, first 2 shown]
	s_xor_b32 s2, s2, -1
	s_waitcnt lgkmcnt(6)
	v_wmma_f32_16x16x16_f16 v[65:72], v[49:56], v[82:89], v[65:72]
	ds_load_b128 v[53:56], v79 offset:8208
	ds_load_b128 v[49:52], v79 offset:8192
	;; [unrolled: 1-line block ×4, first 2 shown]
	s_waitcnt lgkmcnt(8)
	v_wmma_f32_16x16x16_f16 v[65:72], v[41:48], v[90:97], v[65:72]
	ds_load_b128 v[45:48], v79 offset:12304
	ds_load_b128 v[41:44], v79 offset:12288
	s_waitcnt lgkmcnt(8)
	v_wmma_f32_16x16x16_f16 v[65:72], v[33:40], v[98:105], v[65:72]
	ds_load_b128 v[37:40], v79 offset:14352
	ds_load_b128 v[33:36], v79 offset:14336
	s_waitcnt lgkmcnt(0)
	s_barrier
	buffer_gl0_inv
	v_wmma_f32_16x16x16_f16 v[65:72], v[1:8], v[106:113], v[65:72]
	s_delay_alu instid0(VALU_DEP_1) | instskip(NEXT) | instid1(VALU_DEP_1)
	v_wmma_f32_16x16x16_f16 v[65:72], v[9:16], v[49:56], v[65:72]
	v_wmma_f32_16x16x16_f16 v[65:72], v[17:24], v[82:89], v[65:72]
	s_delay_alu instid0(VALU_DEP_1) | instskip(NEXT) | instid1(VALU_DEP_1)
	v_wmma_f32_16x16x16_f16 v[65:72], v[25:32], v[41:48], v[65:72]
	v_wmma_f32_16x16x16_f16 v[65:72], v[57:64], v[33:40], v[65:72]
	s_delay_alu instid0(VALU_DEP_1) | instskip(NEXT) | instid1(VALU_DEP_2)
	v_cvt_f16_f32_e32 v1, v65
	v_cvt_f16_f32_e32 v2, v66
	s_delay_alu instid0(VALU_DEP_3) | instskip(NEXT) | instid1(VALU_DEP_4)
	v_cvt_f16_f32_e32 v3, v67
	v_cvt_f16_f32_e32 v4, v68
	;; [unrolled: 1-line block ×6, first 2 shown]
	v_pack_b32_f16 v1, v1, v2
	v_pack_b32_f16 v2, v3, v4
	;; [unrolled: 1-line block ×3, first 2 shown]
	s_delay_alu instid0(VALU_DEP_4)
	v_pack_b32_f16 v4, v7, v8
	ds_store_b128 v80, v[1:4]
	s_waitcnt lgkmcnt(0)
	s_barrier
	buffer_gl0_inv
	ds_load_b128 v[1:4], v81
	ds_load_b128 v[5:8], v81 offset:16
	s_waitcnt lgkmcnt(1)
	v_lshrrev_b32_e32 v9, 16, v1
	s_waitcnt lgkmcnt(0)
	v_lshrrev_b32_e32 v13, 16, v5
	v_lshrrev_b32_e32 v16, 16, v8
	v_lshrrev_b32_e32 v10, 16, v2
	v_lshrrev_b32_e32 v14, 16, v6
	v_cndmask_b32_e32 v17, v1, v9, vcc_lo
	v_cndmask_b32_e32 v18, v5, v13, vcc_lo
	v_cmp_eq_u32_e32 vcc_lo, 1, v76
	v_cndmask_b32_e64 v19, v1, v9, s3
	v_cndmask_b32_e64 v20, v5, v13, s3
	v_cmp_eq_u32_e64 s3, 2, v76
	v_lshrrev_b32_e32 v11, 16, v3
	v_cndmask_b32_e32 v21, v1, v9, vcc_lo
	v_cndmask_b32_e32 v22, v5, v13, vcc_lo
	v_cndmask_b32_e64 v1, v1, v9, s4
	v_cmp_eq_u32_e32 vcc_lo, 2, v77
	v_cndmask_b32_e64 v5, v5, v13, s4
	v_cmp_eq_u32_e64 s4, 2, v78
	v_cndmask_b32_e64 v9, v17, v2, s5
	v_cndmask_b32_e64 v13, v18, v6, s5
	v_cmp_eq_u32_e64 s5, 3, v78
	v_cndmask_b32_e32 v1, v1, v2, vcc_lo
	v_cndmask_b32_e64 v17, v19, v2, s4
	v_cndmask_b32_e64 v18, v20, v6, s4
	;; [unrolled: 1-line block ×4, first 2 shown]
	v_cndmask_b32_e32 v2, v5, v6, vcc_lo
	v_cmp_eq_u32_e32 vcc_lo, 3, v76
	v_cmp_eq_u32_e64 s4, 3, v77
	v_cndmask_b32_e64 v5, v9, v10, s6
	v_cndmask_b32_e64 v6, v13, v14, s6
	v_cndmask_b32_e64 v9, v17, v10, s5
	v_cndmask_b32_e64 v13, v18, v14, s5
	v_cndmask_b32_e32 v17, v19, v10, vcc_lo
	v_cmp_eq_u32_e64 s3, 4, v76
	v_cndmask_b32_e32 v18, v20, v14, vcc_lo
	v_cndmask_b32_e64 v1, v1, v10, s4
	v_cmp_eq_u32_e32 vcc_lo, 4, v77
	v_cmp_eq_u32_e64 s5, 4, v75
	v_cndmask_b32_e64 v2, v2, v14, s4
	v_cmp_eq_u32_e64 s4, 4, v78
	v_lshrrev_b32_e32 v15, 16, v7
	v_cmp_eq_u32_e64 s6, 5, v75
	v_cndmask_b32_e64 v5, v5, v3, s5
	v_cndmask_b32_e64 v6, v6, v7, s5
	v_cndmask_b32_e64 v9, v9, v3, s4
	v_cmp_eq_u32_e64 s5, 5, v78
	v_cndmask_b32_e64 v10, v13, v7, s4
	v_cndmask_b32_e64 v13, v17, v3, s3
	;; [unrolled: 1-line block ×3, first 2 shown]
	v_cmp_eq_u32_e64 s4, 5, v76
	v_cndmask_b32_e32 v1, v1, v3, vcc_lo
	v_cndmask_b32_e32 v2, v2, v7, vcc_lo
	v_cmp_eq_u32_e32 vcc_lo, 5, v77
	v_cndmask_b32_e64 v5, v5, v11, s6
	v_cmp_eq_u32_e64 s3, 6, v75
	v_cndmask_b32_e64 v6, v6, v15, s6
	v_cndmask_b32_e64 v9, v9, v11, s5
	;; [unrolled: 1-line block ×4, first 2 shown]
	v_cmp_eq_u32_e64 s5, 6, v78
	v_cndmask_b32_e64 v3, v14, v15, s4
	v_cndmask_b32_e32 v1, v1, v11, vcc_lo
	v_cmp_eq_u32_e64 s4, 6, v77
	v_cndmask_b32_e32 v2, v2, v15, vcc_lo
	v_lshrrev_b32_e32 v12, 16, v4
	v_cndmask_b32_e64 v5, v5, v4, s3
	v_cndmask_b32_e64 v9, v9, v4, s5
	;; [unrolled: 1-line block ×3, first 2 shown]
	v_cmp_eq_u32_e64 s3, 7, v75
	v_cmp_eq_u32_e64 s6, 7, v78
	v_cndmask_b32_e64 v7, v13, v4, s7
	v_cndmask_b32_e64 v3, v3, v8, s7
	;; [unrolled: 1-line block ×3, first 2 shown]
	v_cmp_eq_u32_e32 vcc_lo, 7, v77
	v_cndmask_b32_e64 v2, v2, v8, s4
	v_cmp_eq_u32_e64 s4, 7, v76
	v_cndmask_b32_e64 v4, v10, v8, s5
	v_cndmask_b32_e64 v5, v5, v12, s3
	;; [unrolled: 1-line block ×3, first 2 shown]
	v_cndmask_b32_e32 v2, v2, v16, vcc_lo
	v_cndmask_b32_e64 v7, v7, v12, s4
	v_cndmask_b32_e32 v1, v1, v12, vcc_lo
	v_cndmask_b32_e64 v3, v3, v16, s4
	v_cndmask_b32_e64 v8, v4, v16, s6
	;; [unrolled: 1-line block ×3, first 2 shown]
	v_cmp_gt_u32_e32 vcc_lo, 32, v0
	v_perm_b32 v4, v2, v1, 0x5040100
	v_perm_b32 v3, v3, v7, 0x5040100
	;; [unrolled: 1-line block ×4, first 2 shown]
	s_and_b32 s2, vcc_lo, s2
	ds_store_b128 v80, v[1:4]
	s_waitcnt lgkmcnt(0)
	s_barrier
	buffer_gl0_inv
	s_and_saveexec_b32 s3, s2
	s_cbranch_execz .LBB1006_2
; %bb.14:
	s_load_b64 s[0:1], s[0:1], 0x68
	v_lshlrev_b32_e32 v1, 10, v0
	v_and_b32_e32 v0, 1, v0
	v_lshlrev_b32_e32 v2, 6, v74
	s_lshl_b32 s4, s36, 7
	s_delay_alu instid0(VALU_DEP_3) | instskip(NEXT) | instid1(VALU_DEP_3)
	v_and_b32_e32 v1, 0x3800, v1
	v_lshlrev_b32_e32 v0, 4, v0
	s_mul_i32 s2, s4, s34
	s_delay_alu instid0(SALU_CYCLE_1) | instskip(NEXT) | instid1(VALU_DEP_1)
	s_mul_i32 s2, s2, s37
	v_or3_b32 v0, v1, v2, v0
	s_ashr_i32 s3, s2, 31
	s_delay_alu instid0(SALU_CYCLE_1)
	s_lshl_b64 s[2:3], s[2:3], 1
	ds_load_b128 v[0:3], v0
	s_waitcnt lgkmcnt(0)
	s_add_u32 s5, s0, s2
	s_addc_u32 s3, s1, s3
	s_lshl_b32 s0, s14, 7
	s_mul_i32 s2, s4, s15
	s_ashr_i32 s1, s0, 31
	s_delay_alu instid0(SALU_CYCLE_1) | instskip(NEXT) | instid1(SALU_CYCLE_1)
	s_lshl_b64 s[0:1], s[0:1], 1
	s_add_u32 s4, s5, s0
	s_addc_u32 s5, s3, s1
	s_ashr_i32 s3, s2, 31
	s_delay_alu instid0(SALU_CYCLE_1) | instskip(NEXT) | instid1(SALU_CYCLE_1)
	s_lshl_b64 s[0:1], s[2:3], 1
	s_add_u32 s0, s4, s0
	s_addc_u32 s1, s5, s1
	global_store_b128 v73, v[0:3], s[0:1]
	s_nop 0
	s_sendmsg sendmsg(MSG_DEALLOC_VGPRS)
	s_endpgm
	.section	.rodata,"a",@progbits
	.p2align	6, 0x0
	.amdhsa_kernel _Z39paged_attention_ll4mi_QKV_mfma16_kernelIDF16_hLN4vllm18Fp8KVCacheDataTypeE1EDF16_Li16ELi128ELi256ELb0ELi1EL8MFMAType1EEvPKT_PKT0_S8_ifPKiSA_SA_iPKfiiiPfSD_PS3_PT2_iSC_SC_
		.amdhsa_group_segment_fixed_size 17472
		.amdhsa_private_segment_fixed_size 0
		.amdhsa_kernarg_size 400
		.amdhsa_user_sgpr_count 13
		.amdhsa_user_sgpr_dispatch_ptr 0
		.amdhsa_user_sgpr_queue_ptr 0
		.amdhsa_user_sgpr_kernarg_segment_ptr 1
		.amdhsa_user_sgpr_dispatch_id 0
		.amdhsa_user_sgpr_private_segment_size 0
		.amdhsa_wavefront_size32 1
		.amdhsa_uses_dynamic_stack 0
		.amdhsa_enable_private_segment 0
		.amdhsa_system_sgpr_workgroup_id_x 1
		.amdhsa_system_sgpr_workgroup_id_y 1
		.amdhsa_system_sgpr_workgroup_id_z 1
		.amdhsa_system_sgpr_workgroup_info 0
		.amdhsa_system_vgpr_workitem_id 0
		.amdhsa_next_free_vgpr 134
		.amdhsa_next_free_sgpr 66
		.amdhsa_reserve_vcc 1
		.amdhsa_float_round_mode_32 0
		.amdhsa_float_round_mode_16_64 0
		.amdhsa_float_denorm_mode_32 3
		.amdhsa_float_denorm_mode_16_64 3
		.amdhsa_dx10_clamp 1
		.amdhsa_ieee_mode 1
		.amdhsa_fp16_overflow 0
		.amdhsa_workgroup_processor_mode 1
		.amdhsa_memory_ordered 1
		.amdhsa_forward_progress 0
		.amdhsa_shared_vgpr_count 0
		.amdhsa_exception_fp_ieee_invalid_op 0
		.amdhsa_exception_fp_denorm_src 0
		.amdhsa_exception_fp_ieee_div_zero 0
		.amdhsa_exception_fp_ieee_overflow 0
		.amdhsa_exception_fp_ieee_underflow 0
		.amdhsa_exception_fp_ieee_inexact 0
		.amdhsa_exception_int_div_zero 0
	.end_amdhsa_kernel
	.section	.text._Z39paged_attention_ll4mi_QKV_mfma16_kernelIDF16_hLN4vllm18Fp8KVCacheDataTypeE1EDF16_Li16ELi128ELi256ELb0ELi1EL8MFMAType1EEvPKT_PKT0_S8_ifPKiSA_SA_iPKfiiiPfSD_PS3_PT2_iSC_SC_,"axG",@progbits,_Z39paged_attention_ll4mi_QKV_mfma16_kernelIDF16_hLN4vllm18Fp8KVCacheDataTypeE1EDF16_Li16ELi128ELi256ELb0ELi1EL8MFMAType1EEvPKT_PKT0_S8_ifPKiSA_SA_iPKfiiiPfSD_PS3_PT2_iSC_SC_,comdat
.Lfunc_end1006:
	.size	_Z39paged_attention_ll4mi_QKV_mfma16_kernelIDF16_hLN4vllm18Fp8KVCacheDataTypeE1EDF16_Li16ELi128ELi256ELb0ELi1EL8MFMAType1EEvPKT_PKT0_S8_ifPKiSA_SA_iPKfiiiPfSD_PS3_PT2_iSC_SC_, .Lfunc_end1006-_Z39paged_attention_ll4mi_QKV_mfma16_kernelIDF16_hLN4vllm18Fp8KVCacheDataTypeE1EDF16_Li16ELi128ELi256ELb0ELi1EL8MFMAType1EEvPKT_PKT0_S8_ifPKiSA_SA_iPKfiiiPfSD_PS3_PT2_iSC_SC_
                                        ; -- End function
	.section	.AMDGPU.csdata,"",@progbits
; Kernel info:
; codeLenInByte = 6440
; NumSgprs: 68
; NumVgprs: 134
; ScratchSize: 0
; MemoryBound: 1
; FloatMode: 240
; IeeeMode: 1
; LDSByteSize: 17472 bytes/workgroup (compile time only)
; SGPRBlocks: 8
; VGPRBlocks: 16
; NumSGPRsForWavesPerEU: 68
; NumVGPRsForWavesPerEU: 134
; Occupancy: 10
; WaveLimiterHint : 1
; COMPUTE_PGM_RSRC2:SCRATCH_EN: 0
; COMPUTE_PGM_RSRC2:USER_SGPR: 13
; COMPUTE_PGM_RSRC2:TRAP_HANDLER: 0
; COMPUTE_PGM_RSRC2:TGID_X_EN: 1
; COMPUTE_PGM_RSRC2:TGID_Y_EN: 1
; COMPUTE_PGM_RSRC2:TGID_Z_EN: 1
; COMPUTE_PGM_RSRC2:TIDIG_COMP_CNT: 0
	.section	.text._Z39paged_attention_ll4mi_QKV_mfma16_kernelIDF16_hLN4vllm18Fp8KVCacheDataTypeE1EDF16_Li16ELi128ELi256ELb0ELi2EL8MFMAType1EEvPKT_PKT0_S8_ifPKiSA_SA_iPKfiiiPfSD_PS3_PT2_iSC_SC_,"axG",@progbits,_Z39paged_attention_ll4mi_QKV_mfma16_kernelIDF16_hLN4vllm18Fp8KVCacheDataTypeE1EDF16_Li16ELi128ELi256ELb0ELi2EL8MFMAType1EEvPKT_PKT0_S8_ifPKiSA_SA_iPKfiiiPfSD_PS3_PT2_iSC_SC_,comdat
	.protected	_Z39paged_attention_ll4mi_QKV_mfma16_kernelIDF16_hLN4vllm18Fp8KVCacheDataTypeE1EDF16_Li16ELi128ELi256ELb0ELi2EL8MFMAType1EEvPKT_PKT0_S8_ifPKiSA_SA_iPKfiiiPfSD_PS3_PT2_iSC_SC_ ; -- Begin function _Z39paged_attention_ll4mi_QKV_mfma16_kernelIDF16_hLN4vllm18Fp8KVCacheDataTypeE1EDF16_Li16ELi128ELi256ELb0ELi2EL8MFMAType1EEvPKT_PKT0_S8_ifPKiSA_SA_iPKfiiiPfSD_PS3_PT2_iSC_SC_
	.globl	_Z39paged_attention_ll4mi_QKV_mfma16_kernelIDF16_hLN4vllm18Fp8KVCacheDataTypeE1EDF16_Li16ELi128ELi256ELb0ELi2EL8MFMAType1EEvPKT_PKT0_S8_ifPKiSA_SA_iPKfiiiPfSD_PS3_PT2_iSC_SC_
	.p2align	8
	.type	_Z39paged_attention_ll4mi_QKV_mfma16_kernelIDF16_hLN4vllm18Fp8KVCacheDataTypeE1EDF16_Li16ELi128ELi256ELb0ELi2EL8MFMAType1EEvPKT_PKT0_S8_ifPKiSA_SA_iPKfiiiPfSD_PS3_PT2_iSC_SC_,@function
_Z39paged_attention_ll4mi_QKV_mfma16_kernelIDF16_hLN4vllm18Fp8KVCacheDataTypeE1EDF16_Li16ELi128ELi256ELb0ELi2EL8MFMAType1EEvPKT_PKT0_S8_ifPKiSA_SA_iPKfiiiPfSD_PS3_PT2_iSC_SC_: ; @_Z39paged_attention_ll4mi_QKV_mfma16_kernelIDF16_hLN4vllm18Fp8KVCacheDataTypeE1EDF16_Li16ELi128ELi256ELb0ELi2EL8MFMAType1EEvPKT_PKT0_S8_ifPKiSA_SA_iPKfiiiPfSD_PS3_PT2_iSC_SC_
; %bb.0:
	s_load_b64 s[2:3], s[0:1], 0x30
	s_mov_b32 s34, s13
	s_waitcnt lgkmcnt(0)
	s_cmp_lg_u64 s[2:3], 0
	s_cselect_b32 s8, -1, 0
	s_ashr_i32 s35, s13, 31
	s_cmp_eq_u64 s[2:3], 0
	s_cbranch_scc1 .LBB1007_3
; %bb.1:
	s_lshl_b64 s[4:5], s[34:35], 2
	s_delay_alu instid0(SALU_CYCLE_1) | instskip(SKIP_4) | instid1(SALU_CYCLE_1)
	s_add_u32 s4, s2, s4
	s_addc_u32 s5, s3, s5
	s_load_b64 s[4:5], s[4:5], 0x0
	s_waitcnt lgkmcnt(0)
	s_sub_i32 s4, s5, s4
	s_cmp_eq_u32 s4, 1
	s_cselect_b32 s4, -1, 0
	s_delay_alu instid0(SALU_CYCLE_1)
	s_and_not1_b32 vcc_lo, exec_lo, s4
	s_cbranch_vccz .LBB1007_4
.LBB1007_2:
	s_endpgm
.LBB1007_3:
.LBB1007_4:
	s_load_b64 s[4:5], s[0:1], 0x28
	s_lshl_b64 s[6:7], s[34:35], 2
	s_waitcnt lgkmcnt(0)
	s_add_u32 s4, s4, s6
	s_addc_u32 s5, s5, s7
	s_lshl_b32 s12, s14, 8
	s_load_b32 s24, s[4:5], 0x0
	s_waitcnt lgkmcnt(0)
	s_cmp_ge_i32 s12, s24
	s_cbranch_scc1 .LBB1007_2
; %bb.5:
	s_clause 0x1
	s_load_b128 s[20:23], s[0:1], 0x8
	s_load_b64 s[4:5], s[0:1], 0x20
	s_and_not1_b32 vcc_lo, exec_lo, s8
	s_cbranch_vccnz .LBB1007_7
; %bb.6:
	s_add_u32 s2, s2, s6
	s_addc_u32 s3, s3, s7
	s_load_b32 s3, s[2:3], 0x0
	s_branch .LBB1007_8
.LBB1007_7:
	s_mov_b32 s3, s34
.LBB1007_8:
	s_load_b128 s[16:19], s[0:1], 0x48
	v_and_b32_e32 v70, 15, v0
	v_bfe_u32 v69, v0, 4, 1
	s_lshl_b32 s31, s15, 1
	v_and_b32_e32 v71, 31, v0
	v_and_b32_e32 v68, 1, v0
	v_lshlrev_b32_e32 v1, 3, v70
	v_cmp_gt_u32_e64 s2, 32, v0
	v_or_b32_e32 v67, s31, v69
	v_lshlrev_b32_e32 v66, 6, v69
	s_delay_alu instid0(VALU_DEP_4) | instskip(NEXT) | instid1(VALU_DEP_4)
	v_lshlrev_b32_e32 v65, 1, v1
	s_and_saveexec_b32 s6, s2
	s_cbranch_execz .LBB1007_10
; %bb.9:
	s_load_b64 s[8:9], s[0:1], 0x0
	v_lshlrev_b32_e32 v1, 7, v67
	s_waitcnt lgkmcnt(0)
	s_mul_hi_i32 s11, s3, s16
	s_mul_i32 s10, s3, s16
	v_lshlrev_b32_e32 v5, 10, v70
	s_lshl_b64 s[10:11], s[10:11], 1
	v_ashrrev_i32_e32 v2, 31, v1
	v_lshlrev_b32_e32 v6, 10, v68
	s_delay_alu instid0(VALU_DEP_3) | instskip(NEXT) | instid1(VALU_DEP_3)
	v_and_b32_e32 v5, 0x3800, v5
	v_lshlrev_b64 v[1:2], 1, v[1:2]
	s_delay_alu instid0(VALU_DEP_2) | instskip(SKIP_2) | instid1(VALU_DEP_2)
	v_or3_b32 v5, v5, v6, v66
	s_add_u32 s3, s8, s10
	s_addc_u32 s7, s9, s11
	v_add_co_u32 v1, vcc_lo, s3, v1
	s_delay_alu instid0(VALU_DEP_3) | instskip(NEXT) | instid1(VALU_DEP_2)
	v_add_co_ci_u32_e32 v2, vcc_lo, s7, v2, vcc_lo
	v_add_co_u32 v1, vcc_lo, v1, v65
	s_delay_alu instid0(VALU_DEP_2)
	v_add_co_ci_u32_e32 v2, vcc_lo, 0, v2, vcc_lo
	global_load_b128 v[1:4], v[1:2], off
	s_waitcnt vmcnt(0)
	ds_store_b128 v5, v[1:4]
.LBB1007_10:
	s_or_b32 exec_lo, exec_lo, s6
	v_and_b32_e32 v1, 0xef, v0
	s_waitcnt lgkmcnt(0)
	s_add_i32 s3, s24, 15
	s_clause 0x1
	s_load_b32 s6, s[0:1], 0x38
	s_load_b32 s33, s[0:1], 0x98
	s_ashr_i32 s7, s3, 31
	v_add_nc_u32_e32 v1, s12, v1
	s_lshr_b32 s7, s7, 28
	s_load_b32 s19, s[0:1], 0x1c
	s_add_i32 s3, s3, s7
	s_waitcnt lgkmcnt(0)
	v_ashrrev_i32_e32 v2, 31, v1
	v_or_b32_e32 v3, 16, v1
	s_ashr_i32 s3, s3, 4
	v_cmp_gt_i32_e32 vcc_lo, s24, v1
	s_add_i32 s3, s3, -1
	v_lshrrev_b32_e32 v2, 28, v2
	s_barrier
	buffer_gl0_inv
	s_mul_i32 s15, s15, s18
	v_lshlrev_b32_e32 v145, 6, v68
	v_add_nc_u32_e32 v4, v1, v2
	v_lshrrev_b32_e32 v72, 5, v0
	s_mul_i32 s6, s34, s6
	s_delay_alu instid0(SALU_CYCLE_1) | instskip(NEXT) | instid1(VALU_DEP_2)
	s_ashr_i32 s7, s6, 31
	v_ashrrev_i32_e32 v4, 4, v4
	v_add_nc_u32_e32 v2, v3, v2
	s_lshl_b64 s[6:7], s[6:7], 2
	s_delay_alu instid0(SALU_CYCLE_1) | instskip(NEXT) | instid1(VALU_DEP_2)
	s_add_u32 s13, s4, s6
	v_cndmask_b32_e32 v1, s3, v4, vcc_lo
	s_delay_alu instid0(VALU_DEP_2)
	v_ashrrev_i32_e32 v2, 4, v2
	v_cmp_gt_i32_e32 vcc_lo, s24, v3
	s_addc_u32 s16, s5, s7
	s_ashr_i32 s18, s15, 31
	s_add_u32 s25, s20, s15
	s_addc_u32 s28, s21, s18
	v_cndmask_b32_e32 v3, s3, v2, vcc_lo
	v_ashrrev_i32_e32 v2, 31, v1
	s_lshl_b32 s4, s14, 4
	s_delay_alu instid0(SALU_CYCLE_1) | instskip(NEXT) | instid1(VALU_DEP_2)
	s_ashr_i32 s5, s4, 31
	v_ashrrev_i32_e32 v4, 31, v3
	s_delay_alu instid0(VALU_DEP_2) | instskip(SKIP_1) | instid1(SALU_CYCLE_1)
	v_lshlrev_b64 v[1:2], 2, v[1:2]
	s_lshl_b64 s[4:5], s[4:5], 2
	s_add_u32 s4, s13, s4
	s_delay_alu instid0(VALU_DEP_2) | instskip(SKIP_1) | instid1(VALU_DEP_2)
	v_lshlrev_b64 v[3:4], 2, v[3:4]
	s_addc_u32 s5, s16, s5
	v_add_co_u32 v1, vcc_lo, s13, v1
	v_add_co_ci_u32_e32 v2, vcc_lo, s16, v2, vcc_lo
	s_delay_alu instid0(VALU_DEP_3) | instskip(NEXT) | instid1(VALU_DEP_4)
	v_add_co_u32 v3, vcc_lo, s13, v3
	v_add_co_ci_u32_e32 v4, vcc_lo, s16, v4, vcc_lo
	s_clause 0x1
	global_load_b32 v5, v[1:2], off
	global_load_b32 v7, v[3:4], off
	s_or_b32 s6, s12, 32
	v_lshlrev_b32_e32 v1, 4, v0
	s_ashr_i32 s7, s6, 4
	s_cmp_lt_i32 s6, s24
	s_cselect_b32 s6, s7, s3
	s_delay_alu instid0(VALU_DEP_1) | instskip(SKIP_1) | instid1(SALU_CYCLE_1)
	v_and_b32_e32 v1, 0xf0, v1
	s_ashr_i32 s7, s6, 31
	s_lshl_b64 s[6:7], s[6:7], 2
	s_delay_alu instid0(SALU_CYCLE_1)
	s_add_u32 s6, s13, s6
	s_addc_u32 s7, s16, s7
	s_or_b32 s8, s12, 64
	v_add_co_u32 v1, s25, s25, v1
	s_ashr_i32 s9, s8, 4
	s_cmp_lt_i32 s8, s24
	v_add_co_ci_u32_e64 v2, null, s28, 0, s25
	s_cselect_b32 s8, s9, s3
	s_delay_alu instid0(SALU_CYCLE_1) | instskip(NEXT) | instid1(SALU_CYCLE_1)
	s_ashr_i32 s9, s8, 31
	s_lshl_b64 s[8:9], s[8:9], 2
	s_delay_alu instid0(SALU_CYCLE_1) | instskip(SKIP_2) | instid1(SALU_CYCLE_1)
	s_add_u32 s8, s13, s8
	s_addc_u32 s9, s16, s9
	s_or_b32 s10, s12, 0x60
	s_ashr_i32 s11, s10, 4
	s_cmp_lt_i32 s10, s24
	s_cselect_b32 s10, s11, s3
	s_delay_alu instid0(SALU_CYCLE_1) | instskip(NEXT) | instid1(SALU_CYCLE_1)
	s_ashr_i32 s11, s10, 31
	s_lshl_b64 s[10:11], s[10:11], 2
	s_delay_alu instid0(SALU_CYCLE_1) | instskip(SKIP_2) | instid1(SALU_CYCLE_1)
	s_add_u32 s10, s13, s10
	s_addc_u32 s11, s16, s11
	s_or_b32 s20, s12, 0x80
	s_ashr_i32 s21, s20, 4
	s_cmp_lt_i32 s20, s24
	;; [unrolled: 10-line block ×3, first 2 shown]
	s_cselect_b32 s26, s27, s3
	s_delay_alu instid0(SALU_CYCLE_1) | instskip(NEXT) | instid1(SALU_CYCLE_1)
	s_ashr_i32 s27, s26, 31
	s_lshl_b64 s[26:27], s[26:27], 2
	s_delay_alu instid0(SALU_CYCLE_1)
	s_add_u32 s26, s13, s26
	s_addc_u32 s27, s16, s27
	s_clause 0x5
	s_load_b32 s25, s[4:5], 0x0
	s_load_b32 s28, s[6:7], 0x0
	;; [unrolled: 1-line block ×6, first 2 shown]
	s_or_b32 s7, s12, 0xc0
	s_mov_b32 s4, 0
	s_ashr_i32 s8, s7, 4
	s_cmp_lt_i32 s7, s24
	s_mov_b32 s5, s4
	s_cselect_b32 s10, s8, s3
	s_mov_b32 s6, s4
	s_ashr_i32 s11, s10, 31
	s_mov_b32 s7, s4
	s_lshl_b64 s[20:21], s[10:11], 2
	s_mov_b32 s11, s4
	s_add_u32 s20, s13, s20
	s_addc_u32 s21, s16, s21
	s_or_b32 s27, s12, 0xe0
	s_mov_b32 s8, s4
	s_ashr_i32 s36, s27, 4
	s_mov_b32 s9, s4
	s_mov_b32 s10, s4
	s_cmp_lt_i32 s27, s24
	v_mov_b32_e32 v120, s11
	v_dual_mov_b32 v114, s5 :: v_dual_mov_b32 v119, s10
	v_dual_mov_b32 v118, s9 :: v_dual_mov_b32 v117, s8
	;; [unrolled: 1-line block ×3, first 2 shown]
	v_mov_b32_e32 v113, s4
	s_cselect_b32 s4, s36, s3
	s_delay_alu instid0(SALU_CYCLE_1) | instskip(NEXT) | instid1(SALU_CYCLE_1)
	s_ashr_i32 s5, s4, 31
	s_lshl_b64 s[4:5], s[4:5], 2
	s_delay_alu instid0(SALU_CYCLE_1)
	s_add_u32 s4, s13, s4
	s_addc_u32 s5, s16, s5
	s_add_u32 s6, s22, s15
	s_addc_u32 s7, s23, s18
	s_waitcnt vmcnt(1)
	v_mad_i64_i32 v[3:4], null, v5, s17, v[1:2]
	s_waitcnt vmcnt(0)
	v_mad_i64_i32 v[5:6], null, v7, s17, v[1:2]
	v_lshlrev_b32_e32 v1, 4, v70
	s_clause 0xf
	global_load_b128 v[9:12], v[3:4], off
	global_load_b128 v[13:16], v[3:4], off offset:256
	global_load_b128 v[17:20], v[5:6], off
	global_load_b128 v[21:24], v[5:6], off offset:256
	global_load_b128 v[57:60], v[3:4], off offset:512
	;; [unrolled: 1-line block ×13, first 2 shown]
	ds_load_b128 v[25:28], v145
	ds_load_b128 v[29:32], v145 offset:1024
	s_load_b32 s3, s[20:21], 0x0
	ds_load_b128 v[121:124], v145 offset:2048
	ds_load_b128 v[125:128], v145 offset:3072
	s_load_b32 s4, s[4:5], 0x0
	v_lshl_or_b32 v1, v72, 8, v1
	s_delay_alu instid0(VALU_DEP_1) | instskip(NEXT) | instid1(VALU_DEP_1)
	v_add_co_u32 v129, s6, s6, v1
	v_add_co_ci_u32_e64 v130, null, s7, 0, s6
	s_waitcnt lgkmcnt(0)
	s_delay_alu instid0(VALU_DEP_1)
	v_mad_i64_i32 v[1:2], null, s25, s17, v[129:130]
	v_mad_i64_i32 v[3:4], null, s28, s17, v[129:130]
	v_mad_i64_i32 v[137:138], null, s35, s17, v[129:130]
	v_mad_i64_i32 v[5:6], null, s29, s17, v[129:130]
	v_mad_i64_i32 v[139:140], null, s26, s17, v[129:130]
	v_mad_i64_i32 v[7:8], null, s30, s17, v[129:130]
	v_mad_i64_i32 v[141:142], null, s3, s17, v[129:130]
	v_mad_i64_i32 v[143:144], null, s4, s17, v[129:130]
	s_clause 0x7
	global_load_b128 v[49:52], v[1:2], off
	global_load_b128 v[53:56], v[1:2], off offset:16
	global_load_b128 v[41:44], v[3:4], off
	global_load_b128 v[45:48], v[3:4], off offset:16
	;; [unrolled: 2-line block ×4, first 2 shown]
	s_waitcnt vmcnt(22)
	v_wmma_f32_16x16x16_f16 v[129:136], v[9:16], v[25:32], v[113:120]
	s_waitcnt vmcnt(20)
	v_wmma_f32_16x16x16_f16 v[113:120], v[17:24], v[25:32], v[113:120]
	s_clause 0x5
	global_load_b128 v[9:12], v[137:138], off
	global_load_b128 v[13:16], v[137:138], off offset:16
	global_load_b128 v[17:20], v[139:140], off
	global_load_b128 v[21:24], v[139:140], off offset:16
	;; [unrolled: 2-line block ×3, first 2 shown]
	v_mbcnt_lo_u32_b32 v137, -1, 0
	s_waitcnt vmcnt(24)
	v_wmma_f32_16x16x16_f16 v[129:136], v[57:64], v[121:128], v[129:136]
	s_clause 0x1
	global_load_b128 v[57:60], v[143:144], off
	global_load_b128 v[61:64], v[143:144], off offset:16
	s_waitcnt vmcnt(24)
	v_wmma_f32_16x16x16_f16 v[113:120], v[73:80], v[121:128], v[113:120]
	ds_load_b128 v[73:76], v145 offset:4096
	ds_load_b128 v[77:80], v145 offset:5120
	v_and_b32_e32 v121, 0xe0, v0
	v_xor_b32_e32 v139, 16, v137
	s_delay_alu instid0(VALU_DEP_2)
	v_add_nc_u32_e32 v138, s12, v121
	ds_load_b128 v[121:124], v145 offset:6144
	ds_load_b128 v[125:128], v145 offset:7168
	v_cmp_gt_i32_e32 vcc_lo, 32, v139
	s_waitcnt vmcnt(0) lgkmcnt(0)
	s_barrier
	v_or_b32_e32 v138, v138, v69
	buffer_gl0_inv
	v_or_b32_e32 v140, 4, v138
	v_or_b32_e32 v141, 6, v138
	;; [unrolled: 1-line block ×3, first 2 shown]
	v_wmma_f32_16x16x16_f16 v[129:136], v[81:88], v[73:80], v[129:136]
	v_wmma_f32_16x16x16_f16 v[113:120], v[89:96], v[73:80], v[113:120]
	v_or_b32_e32 v81, 10, v138
	v_cmp_gt_i32_e64 s4, s24, v140
	v_cmp_gt_i32_e64 s5, s24, v141
	v_or_b32_e32 v82, 12, v138
	v_or_b32_e32 v83, 14, v138
	v_wmma_f32_16x16x16_f16 v[129:136], v[97:104], v[121:128], v[129:136]
	v_wmma_f32_16x16x16_f16 v[113:120], v[105:112], v[121:128], v[113:120]
	v_cndmask_b32_e32 v137, v137, v139, vcc_lo
	v_or_b32_e32 v139, 2, v138
	v_cmp_gt_i32_e32 vcc_lo, s24, v138
	v_mul_f32_e32 v90, s19, v130
	v_dual_mul_f32 v92, s19, v120 :: v_dual_mul_f32 v91, s19, v129
	s_delay_alu instid0(VALU_DEP_4) | instskip(SKIP_2) | instid1(VALU_DEP_4)
	v_cmp_gt_i32_e64 s3, s24, v139
	v_dual_mul_f32 v80, s19, v132 :: v_dual_mul_f32 v89, s19, v131
	v_mul_f32_e32 v78, s19, v134
	v_cndmask_b32_e32 v91, 0xff7fffff, v91, vcc_lo
	s_delay_alu instid0(VALU_DEP_4) | instskip(SKIP_3) | instid1(VALU_DEP_4)
	v_cndmask_b32_e64 v90, 0xff7fffff, v90, s3
	v_dual_mul_f32 v79, s19, v133 :: v_dual_mul_f32 v98, s19, v114
	v_cndmask_b32_e64 v89, 0xff7fffff, v89, s4
	v_cndmask_b32_e64 v80, 0xff7fffff, v80, s5
	v_max3_f32 v90, v91, 0xff7fffff, v90
	v_cmp_gt_i32_e64 s6, s24, v142
	v_cmp_gt_i32_e64 s7, s24, v81
	v_or_b32_e32 v84, 16, v138
	v_or_b32_e32 v85, 18, v138
	v_dual_mul_f32 v76, s19, v136 :: v_dual_mul_f32 v77, s19, v135
	v_mul_f32_e32 v96, s19, v116
	v_cndmask_b32_e64 v79, 0xff7fffff, v79, s6
	v_cndmask_b32_e64 v78, 0xff7fffff, v78, s7
	v_max3_f32 v80, v90, v89, v80
	v_cmp_gt_i32_e64 s8, s24, v82
	v_cmp_gt_i32_e64 s9, s24, v83
	v_or_b32_e32 v86, 20, v138
	v_or_b32_e32 v87, 22, v138
	v_mul_f32_e32 v99, s19, v113
	v_cndmask_b32_e64 v77, 0xff7fffff, v77, s8
	v_cndmask_b32_e64 v76, 0xff7fffff, v76, s9
	v_max3_f32 v78, v80, v79, v78
	v_cmp_gt_i32_e64 s10, s24, v84
	v_cmp_gt_i32_e64 s11, s24, v85
	v_or_b32_e32 v88, 24, v138
	v_or_b32_e32 v73, 26, v138
	;; [unrolled: 8-line block ×3, first 2 shown]
	v_dual_mul_f32 v94, s19, v118 :: v_dual_mul_f32 v95, s19, v117
	v_cndmask_b32_e64 v77, 0xff7fffff, v97, s12
	v_cndmask_b32_e64 v78, 0xff7fffff, v96, s13
	v_max3_f32 v76, v76, v79, v80
	v_cmp_gt_i32_e64 s15, s24, v88
	v_cmp_gt_i32_e64 s16, s24, v73
	v_mul_f32_e32 v93, s19, v119
	v_cmp_gt_i32_e64 s17, s24, v74
	v_max3_f32 v76, v76, v77, v78
	v_cndmask_b32_e64 v79, 0xff7fffff, v95, s15
	v_cndmask_b32_e64 v73, 0xff7fffff, v94, s16
	v_cmp_gt_i32_e64 s18, s24, v75
	v_cndmask_b32_e64 v74, 0xff7fffff, v93, s17
	s_delay_alu instid0(VALU_DEP_3) | instskip(NEXT) | instid1(VALU_DEP_3)
	v_max3_f32 v73, v76, v79, v73
	v_cndmask_b32_e64 v75, 0xff7fffff, v92, s18
	v_lshlrev_b32_e32 v76, 2, v137
	s_delay_alu instid0(VALU_DEP_2) | instskip(SKIP_3) | instid1(VALU_DEP_1)
	v_max3_f32 v73, v73, v74, v75
	ds_bpermute_b32 v74, v76, v73
	s_waitcnt lgkmcnt(0)
	v_max_f32_e32 v74, v74, v74
	v_max_f32_e32 v73, v73, v74
	s_delay_alu instid0(VALU_DEP_1) | instskip(SKIP_4) | instid1(VALU_DEP_4)
	v_fma_f32 v74, s19, v129, -v73
	v_fma_f32 v83, s19, v135, -v73
	;; [unrolled: 1-line block ×5, first 2 shown]
	v_dual_mul_f32 v74, 0x3fb8aa3b, v74 :: v_dual_mul_f32 v83, 0x3fb8aa3b, v83
	s_delay_alu instid0(VALU_DEP_4) | instskip(NEXT) | instid1(VALU_DEP_4)
	v_mul_f32_e32 v75, 0x3fb8aa3b, v75
	v_mul_f32_e32 v77, 0x3fb8aa3b, v77
	v_fma_f32 v80, s19, v133, -v73
	s_delay_alu instid0(VALU_DEP_4)
	v_exp_f32_e32 v74, v74
	v_exp_f32_e32 v85, v83
	v_exp_f32_e32 v75, v75
	v_mul_f32_e32 v78, 0x3fb8aa3b, v78
	v_exp_f32_e32 v77, v77
	v_mul_f32_e32 v80, 0x3fb8aa3b, v80
	s_delay_alu instid0(VALU_DEP_2) | instskip(NEXT) | instid1(VALU_DEP_1)
	v_exp_f32_e32 v82, v78
	v_exp_f32_e32 v84, v80
	v_cndmask_b32_e64 v85, 0, v85, s8
	v_cndmask_b32_e32 v79, 0, v74, vcc_lo
	v_fma_f32 v74, s19, v134, -v73
	v_cndmask_b32_e64 v78, 0, v75, s3
	s_delay_alu instid0(TRANS32_DEP_3) | instskip(SKIP_1) | instid1(VALU_DEP_3)
	v_cndmask_b32_e64 v81, 0, v77, s4
	s_mov_b32 s3, exec_lo
	v_dual_add_f32 v75, 0, v79 :: v_dual_mul_f32 v74, 0x3fb8aa3b, v74
	s_delay_alu instid0(TRANS32_DEP_2) | instskip(SKIP_2) | instid1(VALU_DEP_4)
	v_cndmask_b32_e64 v80, 0, v82, s5
	v_fma_f32 v82, s19, v113, -v73
	v_cndmask_b32_e64 v83, 0, v84, s6
	v_add_f32_e32 v75, v75, v78
	v_exp_f32_e32 v74, v74
	s_delay_alu instid0(VALU_DEP_1) | instskip(NEXT) | instid1(VALU_DEP_1)
	v_dual_mul_f32 v86, 0x3fb8aa3b, v82 :: v_dual_add_f32 v75, v75, v81
	v_exp_f32_e32 v86, v86
	s_delay_alu instid0(VALU_DEP_1)
	v_add_f32_e32 v75, v75, v80
	s_waitcnt_depctr 0xfff
	v_cndmask_b32_e64 v82, 0, v74, s7
	v_add_f32_e32 v74, v75, v83
	v_fma_f32 v77, s19, v136, -v73
	v_fma_f32 v90, s19, v118, -v73
	v_fma_f32 v84, s19, v114, -v73
	v_fma_f32 v75, s19, v115, -v73
	s_delay_alu instid0(VALU_DEP_4) | instskip(NEXT) | instid1(VALU_DEP_4)
	v_dual_add_f32 v74, v74, v82 :: v_dual_mul_f32 v77, 0x3fb8aa3b, v77
	v_mul_f32_e32 v90, 0x3fb8aa3b, v90
	s_delay_alu instid0(VALU_DEP_4) | instskip(SKIP_1) | instid1(VALU_DEP_4)
	v_mul_f32_e32 v84, 0x3fb8aa3b, v84
	v_fma_f32 v87, s19, v116, -v73
	v_add_f32_e32 v74, v74, v85
	v_exp_f32_e32 v77, v77
	v_exp_f32_e32 v90, v90
	;; [unrolled: 1-line block ×3, first 2 shown]
	v_mul_f32_e32 v89, 0x3fb8aa3b, v87
	v_cndmask_b32_e64 v87, 0, v86, s10
	v_fma_f32 v92, s19, v120, -v73
	s_delay_alu instid0(VALU_DEP_3) | instskip(SKIP_1) | instid1(TRANS32_DEP_3)
	v_exp_f32_e32 v91, v89
	v_cndmask_b32_e64 v84, 0, v77, s9
	v_cndmask_b32_e64 v90, 0, v90, s16
	v_mul_f32_e32 v75, 0x3fb8aa3b, v75
	v_fma_f32 v77, s19, v117, -v73
	s_delay_alu instid0(TRANS32_DEP_2) | instskip(SKIP_3) | instid1(VALU_DEP_2)
	v_cndmask_b32_e64 v86, 0, v88, s11
	v_add_f32_e32 v74, v74, v84
	v_fma_f32 v88, s19, v119, -v73
	v_exp_f32_e32 v75, v75
	v_dual_mul_f32 v77, 0x3fb8aa3b, v77 :: v_dual_add_f32 v74, v74, v87
	s_delay_alu instid0(VALU_DEP_1) | instskip(NEXT) | instid1(VALU_DEP_1)
	v_exp_f32_e32 v77, v77
	v_add_f32_e32 v74, v74, v86
	s_waitcnt_depctr 0xfff
	v_cndmask_b32_e64 v89, 0, v75, s12
	v_mul_f32_e32 v75, 0x3fb8aa3b, v88
	v_cndmask_b32_e64 v88, 0, v91, s13
	s_delay_alu instid0(VALU_DEP_3) | instskip(NEXT) | instid1(VALU_DEP_3)
	v_add_f32_e32 v74, v74, v89
	v_exp_f32_e32 v75, v75
	v_cndmask_b32_e64 v91, 0, v77, s15
	v_mul_f32_e32 v77, 0x3fb8aa3b, v92
	s_delay_alu instid0(VALU_DEP_3) | instskip(NEXT) | instid1(VALU_DEP_2)
	v_add_f32_e32 v74, v74, v88
	v_exp_f32_e32 v77, v77
	s_delay_alu instid0(VALU_DEP_1) | instskip(SKIP_4) | instid1(VALU_DEP_2)
	v_add_f32_e32 v74, v74, v91
	s_waitcnt_depctr 0xfff
	v_cndmask_b32_e64 v93, 0, v75, s17
	v_add_f32_e32 v74, v74, v90
	v_cndmask_b32_e64 v92, 0, v77, s18
	v_add_f32_e32 v74, v74, v93
	s_delay_alu instid0(VALU_DEP_1)
	v_add_f32_e32 v74, v74, v92
	ds_bpermute_b32 v75, v76, v74
	v_cmpx_gt_u32_e32 16, v71
	s_cbranch_execz .LBB1007_12
; %bb.11:
	v_mul_u32_u24_e32 v71, 0x44, v72
	s_waitcnt lgkmcnt(0)
	v_add_f32_e32 v74, v74, v75
	s_delay_alu instid0(VALU_DEP_2) | instskip(NEXT) | instid1(VALU_DEP_1)
	v_lshl_add_u32 v71, v70, 2, v71
	v_add_nc_u32_e32 v71, 0x4000, v71
	ds_store_2addr_b32 v71, v73, v74 offset1:136
.LBB1007_12:
	s_or_b32 exec_lo, exec_lo, s3
	v_lshlrev_b32_e32 v71, 2, v70
	s_load_b32 s35, s[0:1], 0x94
	s_waitcnt lgkmcnt(0)
	s_barrier
	buffer_gl0_inv
	v_add_nc_u32_e32 v71, 0x4000, v71
	v_cmp_eq_u32_e32 vcc_lo, 1, v72
	v_cmp_eq_u32_e64 s3, 2, v72
	v_cmp_eq_u32_e64 s4, 3, v72
	;; [unrolled: 1-line block ×3, first 2 shown]
	ds_load_2addr_b32 v[73:74], v71 offset1:17
	ds_load_2addr_b32 v[94:95], v71 offset0:34 offset1:51
	ds_load_2addr_b32 v[96:97], v71 offset0:68 offset1:85
	;; [unrolled: 1-line block ×3, first 2 shown]
	v_cmp_eq_u32_e64 s6, 5, v72
	v_cmp_eq_u32_e64 s7, 7, v72
	s_waitcnt lgkmcnt(3)
	v_max3_f32 v75, v73, 0xff7fffff, v74
	s_waitcnt lgkmcnt(2)
	s_delay_alu instid0(VALU_DEP_1) | instskip(SKIP_1) | instid1(VALU_DEP_1)
	v_max3_f32 v75, v75, v94, v95
	s_waitcnt lgkmcnt(1)
	v_max3_f32 v75, v75, v96, v97
	s_waitcnt lgkmcnt(0)
	s_delay_alu instid0(VALU_DEP_1) | instskip(NEXT) | instid1(VALU_DEP_1)
	v_max3_f32 v76, v75, v98, v99
	v_sub_f32_e32 v96, v96, v76
	ds_load_2addr_b32 v[100:101], v71 offset0:136 offset1:153
	v_sub_f32_e32 v73, v73, v76
	v_sub_f32_e32 v75, v74, v76
	;; [unrolled: 1-line block ×3, first 2 shown]
	v_mul_f32_e32 v105, 0x3fb8aa3b, v96
	s_delay_alu instid0(VALU_DEP_4)
	v_mul_f32_e32 v77, 0x3fb8aa3b, v73
	ds_load_2addr_b32 v[73:74], v71 offset0:170 offset1:187
	v_mul_f32_e32 v103, 0x3fb8aa3b, v94
	v_exp_f32_e32 v102, v77
	v_sub_f32_e32 v77, v95, v76
	ds_load_2addr_b32 v[94:95], v71 offset0:204 offset1:221
	v_exp_f32_e32 v103, v103
	v_mul_f32_e32 v104, 0x3fb8aa3b, v77
	s_waitcnt lgkmcnt(2)
	v_fma_f32 v77, v102, v100, 0
	v_dual_sub_f32 v100, v97, v76 :: v_dual_mul_f32 v75, 0x3fb8aa3b, v75
	ds_load_2addr_b32 v[96:97], v71 offset0:238 offset1:255
	v_sub_f32_e32 v71, v98, v76
	v_exp_f32_e32 v104, v104
	v_mul_f32_e32 v98, 0x3fb8aa3b, v100
	v_exp_f32_e32 v75, v75
	v_exp_f32_e32 v100, v105
	v_mul_f32_e32 v71, 0x3fb8aa3b, v71
	s_waitcnt lgkmcnt(0)
	v_exp_f32_e32 v98, v98
	s_barrier
	buffer_gl0_inv
	v_fmac_f32_e32 v77, v75, v101
	s_delay_alu instid0(VALU_DEP_1) | instskip(SKIP_2) | instid1(VALU_DEP_2)
	v_fmac_f32_e32 v77, v103, v73
	v_sub_f32_e32 v73, v99, v76
	v_exp_f32_e32 v99, v71
	v_fmac_f32_e32 v77, v104, v74
	s_delay_alu instid0(VALU_DEP_2) | instskip(NEXT) | instid1(VALU_DEP_2)
	v_dual_mul_f32 v73, 0x3fb8aa3b, v73 :: v_dual_lshlrev_b32 v74, 6, v70
	v_dual_fmac_f32 v77, v100, v94 :: v_dual_lshlrev_b32 v70, 2, v69
	s_delay_alu instid0(VALU_DEP_2) | instskip(SKIP_1) | instid1(VALU_DEP_3)
	v_exp_f32_e32 v94, v73
	v_cndmask_b32_e32 v73, v102, v75, vcc_lo
	v_lshl_or_b32 v75, v72, 11, v74
	s_delay_alu instid0(VALU_DEP_3) | instskip(SKIP_1) | instid1(VALU_DEP_3)
	v_cmp_eq_u32_e64 s8, 7, v70
	v_fmac_f32_e32 v77, v98, v95
	v_lshl_or_b32 v69, v69, 4, v75
	s_delay_alu instid0(VALU_DEP_2)
	v_fmac_f32_e32 v77, v99, v96
	s_delay_alu instid0(TRANS32_DEP_1) | instid1(VALU_DEP_1)
	v_fmac_f32_e32 v77, v94, v97
	s_delay_alu instid0(VALU_DEP_1) | instskip(NEXT) | instid1(VALU_DEP_1)
	v_add_f32_e32 v95, 0x358637bd, v77
	v_div_scale_f32 v96, null, v95, v95, 1.0
	v_div_scale_f32 v101, vcc_lo, 1.0, v95, 1.0
	s_delay_alu instid0(VALU_DEP_2) | instskip(SKIP_2) | instid1(VALU_DEP_1)
	v_rcp_f32_e32 v97, v96
	s_waitcnt_depctr 0xfff
	v_fma_f32 v71, -v96, v97, 1.0
	v_fmac_f32_e32 v97, v71, v97
	v_cndmask_b32_e64 v71, v73, v103, s3
	v_cmp_eq_u32_e64 s3, 6, v72
	v_or_b32_e32 v73, 1, v70
	v_or_b32_e32 v72, 3, v70
	v_mul_f32_e32 v102, v101, v97
	v_cndmask_b32_e64 v71, v71, v104, s4
	v_cmp_eq_u32_e64 s4, 1, v70
	v_cmp_eq_u32_e64 s9, 1, v73
	v_cmp_eq_u32_e64 s11, 1, v72
	v_fma_f32 v103, -v96, v102, v101
	v_cndmask_b32_e64 v100, v71, v100, s5
	v_or_b32_e32 v71, 2, v70
	v_cmp_eq_u32_e64 s5, 2, v70
	v_cmp_eq_u32_e64 s12, 2, v73
	v_fmac_f32_e32 v102, v103, v97
	v_cndmask_b32_e64 v98, v100, v98, s6
	v_cmp_eq_u32_e64 s10, 1, v71
	v_cmp_eq_u32_e64 s15, 2, v71
	;; [unrolled: 1-line block ×3, first 2 shown]
	v_fma_f32 v96, -v96, v102, v101
	v_cndmask_b32_e64 v98, v98, v99, s3
	v_cmp_eq_u32_e64 s13, 3, v73
	v_cmp_eq_u32_e64 s18, 3, v72
	v_cmp_eq_u32_e64 s3, 4, v70
	v_div_fmas_f32 v96, v96, v97, v102
	v_cndmask_b32_e64 v94, v98, v94, s7
	v_cmp_eq_u32_e32 vcc_lo, 3, v70
	v_cmp_eq_u32_e64 s17, 3, v71
	v_cmp_eq_u32_e64 s19, 4, v73
	v_div_fixup_f32 v95, v96, v95, 1.0
	v_cmp_eq_u32_e64 s22, 4, v72
	v_cmp_eq_u32_e64 s6, 5, v70
	;; [unrolled: 1-line block ×4, first 2 shown]
	v_mul_f32_e32 v102, v94, v95
	v_cmp_eq_u32_e64 s24, 5, v72
	v_cmp_eq_u32_e64 s23, 5, v71
	;; [unrolled: 1-line block ×4, first 2 shown]
	v_fma_mixlo_f16 v94, v102, v79, 0
	v_fma_mixlo_f16 v95, v102, v81, 0
	;; [unrolled: 1-line block ×8, first 2 shown]
	v_fma_mixhi_f16 v94, v102, v78, 0
	v_fma_mixhi_f16 v95, v102, v80, 0
	;; [unrolled: 1-line block ×8, first 2 shown]
	ds_store_b128 v69, v[94:97]
	ds_store_b128 v69, v[98:101] offset:1024
	s_waitcnt lgkmcnt(0)
	s_barrier
	buffer_gl0_inv
	ds_load_b128 v[78:81], v75
	ds_load_b128 v[82:85], v75 offset:16
	ds_load_b128 v[86:89], v75 offset:1024
	;; [unrolled: 1-line block ×3, first 2 shown]
	v_cmp_eq_u32_e64 s7, 6, v70
	v_cmp_eq_u32_e64 s26, 6, v71
	;; [unrolled: 1-line block ×5, first 2 shown]
	s_waitcnt lgkmcnt(3)
	v_lshrrev_b32_e32 v94, 16, v78
	s_waitcnt lgkmcnt(2)
	v_lshrrev_b32_e32 v98, 16, v82
	;; [unrolled: 2-line block ×4, first 2 shown]
	v_lshrrev_b32_e32 v95, 16, v79
	v_cndmask_b32_e64 v110, v78, v94, s4
	v_cndmask_b32_e64 v111, v82, v98, s4
	;; [unrolled: 1-line block ×8, first 2 shown]
	v_lshrrev_b32_e32 v99, 16, v83
	v_cndmask_b32_e64 v94, v86, v102, s4
	v_cndmask_b32_e64 v98, v90, v106, s4
	;; [unrolled: 1-line block ×15, first 2 shown]
	v_lshrrev_b32_e32 v103, 16, v87
	v_lshrrev_b32_e32 v107, 16, v91
	v_cndmask_b32_e64 v113, v115, v83, s15
	v_cndmask_b32_e64 v82, v94, v87, s5
	;; [unrolled: 1-line block ×7, first 2 shown]
	v_cndmask_b32_e32 v90, v102, v95, vcc_lo
	v_cndmask_b32_e32 v102, v106, v99, vcc_lo
	v_cndmask_b32_e64 v106, v110, v95, s13
	v_cndmask_b32_e64 v110, v111, v99, s13
	;; [unrolled: 1-line block ×4, first 2 shown]
	v_lshrrev_b32_e32 v96, 16, v80
	v_lshrrev_b32_e32 v100, 16, v84
	v_cndmask_b32_e64 v111, v112, v95, s17
	v_cndmask_b32_e64 v112, v113, v99, s17
	v_cndmask_b32_e32 v82, v82, v103, vcc_lo
	v_cndmask_b32_e32 v83, v83, v107, vcc_lo
	v_cndmask_b32_e64 v94, v94, v103, s13
	v_cndmask_b32_e64 v90, v90, v80, s3
	v_cndmask_b32_e64 v95, v102, v84, s3
	v_cndmask_b32_e64 v99, v106, v80, s19
	v_cndmask_b32_e64 v102, v110, v84, s19
	v_cndmask_b32_e64 v78, v78, v80, s22
	v_cndmask_b32_e64 v79, v79, v84, s22
	v_lshrrev_b32_e32 v104, 16, v88
	v_cndmask_b32_e64 v106, v111, v80, s21
	v_cndmask_b32_e64 v110, v112, v84, s21
	;; [unrolled: 1-line block ×11, first 2 shown]
	v_lshrrev_b32_e32 v97, 16, v81
	v_lshrrev_b32_e32 v101, 16, v85
	v_cndmask_b32_e64 v99, v106, v96, s23
	v_cndmask_b32_e64 v102, v110, v100, s23
	;; [unrolled: 1-line block ×7, first 2 shown]
	v_lshrrev_b32_e32 v105, 16, v89
	v_cndmask_b32_e64 v80, v80, v104, s6
	v_cndmask_b32_e64 v84, v84, v81, s7
	;; [unrolled: 1-line block ×16, first 2 shown]
	v_perm_b32 v81, v79, v78, 0x5040100
	v_perm_b32 v79, v95, v85, 0x5040100
	v_cndmask_b32_e64 v78, v119, v91, s15
	v_cndmask_b32_e64 v85, v117, v91, s12
	;; [unrolled: 1-line block ×3, first 2 shown]
	v_perm_b32 v80, v94, v90, 0x5040100
	v_cndmask_b32_e64 v90, v98, v103, s17
	v_cndmask_b32_e64 v86, v86, v103, s18
	;; [unrolled: 1-line block ×5, first 2 shown]
	v_lshrrev_b32_e32 v108, 16, v92
	v_cndmask_b32_e64 v90, v90, v88, s21
	v_cndmask_b32_e64 v86, v86, v88, s22
	v_cndmask_b32_e64 v87, v87, v92, s22
	v_cndmask_b32_e64 v78, v78, v92, s21
	v_cndmask_b32_e64 v85, v85, v92, s19
	v_cndmask_b32_e64 v82, v82, v108, s6
	v_cndmask_b32_e64 v88, v90, v104, s23
	v_cndmask_b32_e64 v86, v86, v104, s24
	v_cndmask_b32_e64 v87, v87, v108, s24
	v_cndmask_b32_e64 v78, v78, v108, s23
	v_cndmask_b32_e64 v85, v85, v108, s20
	v_lshrrev_b32_e32 v109, 16, v93
	v_cndmask_b32_e64 v82, v82, v93, s7
	v_cndmask_b32_e64 v88, v88, v89, s26
	;; [unrolled: 1-line block ×12, first 2 shown]
	v_perm_b32 v78, v84, v83, 0x5040100
	v_perm_b32 v85, v87, v86, 0x5040100
	;; [unrolled: 1-line block ×5, first 2 shown]
	s_lshl_b32 s8, s33, 1
	s_mov_b32 s3, exec_lo
	ds_store_b128 v69, v[78:81]
	ds_store_b128 v69, v[82:85] offset:1024
	v_cmpx_gt_u32_e32 2, v0
	s_cbranch_execz .LBB1007_14
; %bb.13:
	v_or_b32_e32 v78, s31, v0
	s_load_b128 s[4:7], s[0:1], 0x58
	s_delay_alu instid0(VALU_DEP_1) | instskip(NEXT) | instid1(VALU_DEP_1)
	v_mad_u64_u32 v[79:80], null, s8, s34, v[78:79]
	v_mad_u64_u32 v[80:81], null, v79, s35, s[14:15]
	s_delay_alu instid0(VALU_DEP_1) | instskip(NEXT) | instid1(VALU_DEP_1)
	v_ashrrev_i32_e32 v81, 31, v80
	v_lshlrev_b64 v[78:79], 2, v[80:81]
	s_waitcnt lgkmcnt(0)
	s_delay_alu instid0(VALU_DEP_1) | instskip(NEXT) | instid1(VALU_DEP_2)
	v_add_co_u32 v80, vcc_lo, s6, v78
	v_add_co_ci_u32_e32 v81, vcc_lo, s7, v79, vcc_lo
	v_add_co_u32 v78, vcc_lo, s4, v78
	v_add_co_ci_u32_e32 v79, vcc_lo, s5, v79, vcc_lo
	global_store_b32 v[80:81], v76, off
	global_store_b32 v[78:79], v77, off
.LBB1007_14:
	s_or_b32 exec_lo, exec_lo, s3
	s_waitcnt lgkmcnt(0)
	s_waitcnt_vscnt null, 0x0
	s_barrier
	buffer_gl0_inv
	ds_load_b128 v[84:87], v74
	ds_load_b128 v[88:91], v74 offset:16
	ds_load_b128 v[96:99], v74 offset:2064
	;; [unrolled: 1-line block ×5, first 2 shown]
	v_cmp_eq_u32_e32 vcc_lo, 1, v70
	v_mov_b32_e32 v76, 0
	ds_load_b128 v[112:115], v74 offset:6160
	ds_load_b128 v[108:111], v74 offset:6144
	;; [unrolled: 1-line block ×4, first 2 shown]
	v_cmp_eq_u32_e64 s4, 1, v71
	v_cmp_eq_u32_e64 s3, 1, v73
	;; [unrolled: 1-line block ×3, first 2 shown]
	v_mov_b32_e32 v77, v76
	v_mov_b32_e32 v78, v76
	;; [unrolled: 1-line block ×7, first 2 shown]
	v_cmp_eq_u32_e64 s6, 3, v73
	v_cmp_eq_u32_e64 s7, 7, v73
	s_waitcnt lgkmcnt(8)
	s_delay_alu instid0(VALU_DEP_3)
	v_wmma_f32_16x16x16_f16 v[76:83], v[49:56], v[84:91], v[76:83]
	ds_load_b128 v[53:56], v74 offset:10256
	ds_load_b128 v[49:52], v74 offset:10240
	s_waitcnt lgkmcnt(8)
	v_wmma_f32_16x16x16_f16 v[76:83], v[41:48], v[92:99], v[76:83]
	ds_load_b128 v[45:48], v74 offset:12304
	ds_load_b128 v[41:44], v74 offset:12288
	s_waitcnt lgkmcnt(8)
	;; [unrolled: 4-line block ×3, first 2 shown]
	s_barrier
	buffer_gl0_inv
	v_wmma_f32_16x16x16_f16 v[76:83], v[1:8], v[108:115], v[76:83]
	s_delay_alu instid0(VALU_DEP_1) | instskip(NEXT) | instid1(VALU_DEP_1)
	v_wmma_f32_16x16x16_f16 v[76:83], v[9:16], v[116:123], v[76:83]
	v_wmma_f32_16x16x16_f16 v[76:83], v[17:24], v[49:56], v[76:83]
	s_delay_alu instid0(VALU_DEP_1) | instskip(NEXT) | instid1(VALU_DEP_1)
	v_wmma_f32_16x16x16_f16 v[76:83], v[25:32], v[41:48], v[76:83]
	v_wmma_f32_16x16x16_f16 v[76:83], v[57:64], v[33:40], v[76:83]
	s_delay_alu instid0(VALU_DEP_1) | instskip(NEXT) | instid1(VALU_DEP_2)
	v_cvt_f16_f32_e32 v1, v76
	v_cvt_f16_f32_e32 v2, v77
	s_delay_alu instid0(VALU_DEP_3) | instskip(NEXT) | instid1(VALU_DEP_4)
	v_cvt_f16_f32_e32 v3, v78
	v_cvt_f16_f32_e32 v4, v79
	;; [unrolled: 1-line block ×6, first 2 shown]
	v_pack_b32_f16 v1, v1, v2
	v_pack_b32_f16 v2, v3, v4
	;; [unrolled: 1-line block ×3, first 2 shown]
	s_delay_alu instid0(VALU_DEP_4)
	v_pack_b32_f16 v4, v7, v8
	ds_store_b128 v69, v[1:4]
	s_waitcnt lgkmcnt(0)
	s_barrier
	buffer_gl0_inv
	ds_load_b128 v[1:4], v75
	ds_load_b128 v[5:8], v75 offset:16
	s_waitcnt lgkmcnt(1)
	v_lshrrev_b32_e32 v9, 16, v1
	s_waitcnt lgkmcnt(0)
	v_lshrrev_b32_e32 v13, 16, v5
	v_lshrrev_b32_e32 v10, 16, v2
	;; [unrolled: 1-line block ×4, first 2 shown]
	v_cndmask_b32_e32 v17, v1, v9, vcc_lo
	v_cndmask_b32_e32 v18, v5, v13, vcc_lo
	v_cndmask_b32_e64 v21, v1, v9, s4
	v_cmp_eq_u32_e32 vcc_lo, 1, v72
	v_cndmask_b32_e64 v22, v5, v13, s4
	v_cmp_eq_u32_e64 s4, 2, v70
	v_cndmask_b32_e64 v19, v1, v9, s3
	v_cndmask_b32_e64 v20, v5, v13, s3
	v_cndmask_b32_e32 v1, v1, v9, vcc_lo
	v_cmp_eq_u32_e64 s3, 2, v72
	v_cndmask_b32_e32 v5, v5, v13, vcc_lo
	v_cndmask_b32_e64 v9, v17, v2, s4
	v_cmp_eq_u32_e32 vcc_lo, 3, v70
	v_cndmask_b32_e64 v13, v18, v6, s4
	v_cmp_eq_u32_e64 s4, 2, v71
	v_cndmask_b32_e64 v17, v19, v2, s5
	v_cndmask_b32_e64 v18, v20, v6, s5
	v_cmp_eq_u32_e64 s5, 3, v71
	v_cndmask_b32_e64 v1, v1, v2, s3
	v_cndmask_b32_e64 v19, v21, v2, s4
	;; [unrolled: 1-line block ×4, first 2 shown]
	v_cndmask_b32_e32 v5, v9, v10, vcc_lo
	v_cndmask_b32_e32 v6, v13, v14, vcc_lo
	v_cmp_eq_u32_e32 vcc_lo, 3, v72
	v_cndmask_b32_e64 v9, v17, v10, s6
	v_cndmask_b32_e64 v13, v18, v14, s6
	;; [unrolled: 1-line block ×3, first 2 shown]
	v_cmp_eq_u32_e64 s4, 4, v70
	v_cndmask_b32_e32 v1, v1, v10, vcc_lo
	v_cndmask_b32_e32 v2, v2, v14, vcc_lo
	v_cmp_eq_u32_e32 vcc_lo, 4, v73
	v_lshrrev_b32_e32 v15, 16, v7
	v_lshrrev_b32_e32 v16, 16, v8
	v_cndmask_b32_e64 v17, v19, v10, s5
	v_cmp_eq_u32_e64 s3, 4, v72
	v_cndmask_b32_e64 v5, v5, v3, s4
	v_cndmask_b32_e64 v6, v6, v7, s4
	v_cndmask_b32_e32 v9, v9, v3, vcc_lo
	v_cmp_eq_u32_e64 s4, 5, v73
	v_cndmask_b32_e32 v10, v13, v7, vcc_lo
	v_cmp_eq_u32_e32 vcc_lo, 4, v71
	v_cmp_eq_u32_e64 s5, 5, v70
	v_cndmask_b32_e64 v2, v2, v7, s3
	v_cndmask_b32_e64 v9, v9, v11, s4
	v_cndmask_b32_e64 v10, v10, v15, s4
	v_cndmask_b32_e32 v13, v17, v3, vcc_lo
	v_cmp_eq_u32_e64 s4, 5, v71
	v_cndmask_b32_e32 v14, v18, v7, vcc_lo
	v_cndmask_b32_e64 v1, v1, v3, s3
	v_cmp_eq_u32_e32 vcc_lo, 5, v72
	v_lshrrev_b32_e32 v12, 16, v4
	v_cndmask_b32_e64 v13, v13, v11, s4
	v_cndmask_b32_e64 v3, v14, v15, s4
	v_cmp_eq_u32_e64 s4, 6, v72
	v_cndmask_b32_e32 v1, v1, v11, vcc_lo
	v_cndmask_b32_e64 v5, v5, v11, s5
	v_cmp_eq_u32_e64 s6, 6, v70
	v_cndmask_b32_e64 v6, v6, v15, s5
	v_cmp_eq_u32_e64 s5, 6, v73
	v_cmp_eq_u32_e64 s3, 6, v71
	v_cndmask_b32_e64 v1, v1, v4, s4
	v_cndmask_b32_e32 v2, v2, v15, vcc_lo
	v_cmp_eq_u32_e32 vcc_lo, 7, v72
	v_cndmask_b32_e64 v5, v5, v4, s6
	v_cndmask_b32_e64 v9, v9, v4, s5
	;; [unrolled: 1-line block ×3, first 2 shown]
	v_cmp_eq_u32_e64 s6, 7, v70
	v_cndmask_b32_e32 v1, v1, v12, vcc_lo
	v_cndmask_b32_e64 v7, v13, v4, s3
	v_cndmask_b32_e64 v3, v3, v8, s3
	;; [unrolled: 1-line block ×3, first 2 shown]
	v_cmp_eq_u32_e64 s3, 7, v71
	v_cndmask_b32_e64 v4, v10, v8, s5
	v_cndmask_b32_e64 v5, v5, v12, s6
	;; [unrolled: 1-line block ×3, first 2 shown]
	v_cndmask_b32_e32 v2, v2, v16, vcc_lo
	v_cndmask_b32_e64 v7, v7, v12, s3
	v_cndmask_b32_e64 v3, v3, v16, s3
	;; [unrolled: 1-line block ×4, first 2 shown]
	v_perm_b32 v4, v2, v1, 0x5040100
	s_delay_alu instid0(VALU_DEP_4) | instskip(NEXT) | instid1(VALU_DEP_4)
	v_perm_b32 v3, v3, v7, 0x5040100
	v_perm_b32 v2, v8, v9, 0x5040100
	s_delay_alu instid0(VALU_DEP_4)
	v_perm_b32 v1, v6, v5, 0x5040100
	ds_store_b128 v69, v[1:4]
	s_waitcnt lgkmcnt(0)
	s_barrier
	buffer_gl0_inv
	s_and_saveexec_b32 s3, s2
	s_cbranch_execz .LBB1007_2
; %bb.15:
	s_load_b64 s[0:1], s[0:1], 0x68
	v_lshlrev_b32_e32 v0, 10, v0
	s_lshl_b32 s2, s35, 7
	v_lshlrev_b32_e32 v1, 4, v68
	v_mul_lo_u32 v4, s2, v67
	s_mul_i32 s3, s2, s34
	v_and_b32_e32 v0, 0x3800, v0
	s_mul_i32 s2, s3, s8
	s_delay_alu instid0(SALU_CYCLE_1) | instskip(NEXT) | instid1(VALU_DEP_1)
	s_ashr_i32 s3, s2, 31
	v_or3_b32 v0, v0, v66, v1
	s_lshl_b64 s[2:3], s[2:3], 1
	s_delay_alu instid0(VALU_DEP_3)
	v_ashrrev_i32_e32 v5, 31, v4
	ds_load_b128 v[0:3], v0
	v_lshlrev_b64 v[4:5], 1, v[4:5]
	s_waitcnt lgkmcnt(0)
	s_add_u32 s2, s0, s2
	s_addc_u32 s3, s1, s3
	s_lshl_b32 s0, s14, 7
	s_delay_alu instid0(SALU_CYCLE_1) | instskip(NEXT) | instid1(SALU_CYCLE_1)
	s_ashr_i32 s1, s0, 31
	s_lshl_b64 s[0:1], s[0:1], 1
	s_delay_alu instid0(SALU_CYCLE_1) | instskip(SKIP_3) | instid1(VALU_DEP_2)
	s_add_u32 s0, s2, s0
	s_addc_u32 s1, s3, s1
	v_add_co_u32 v4, vcc_lo, s0, v4
	v_add_co_ci_u32_e32 v5, vcc_lo, s1, v5, vcc_lo
	v_add_co_u32 v4, vcc_lo, v4, v65
	s_delay_alu instid0(VALU_DEP_2)
	v_add_co_ci_u32_e32 v5, vcc_lo, 0, v5, vcc_lo
	global_store_b128 v[4:5], v[0:3], off
	s_nop 0
	s_sendmsg sendmsg(MSG_DEALLOC_VGPRS)
	s_endpgm
	.section	.rodata,"a",@progbits
	.p2align	6, 0x0
	.amdhsa_kernel _Z39paged_attention_ll4mi_QKV_mfma16_kernelIDF16_hLN4vllm18Fp8KVCacheDataTypeE1EDF16_Li16ELi128ELi256ELb0ELi2EL8MFMAType1EEvPKT_PKT0_S8_ifPKiSA_SA_iPKfiiiPfSD_PS3_PT2_iSC_SC_
		.amdhsa_group_segment_fixed_size 17472
		.amdhsa_private_segment_fixed_size 0
		.amdhsa_kernarg_size 400
		.amdhsa_user_sgpr_count 13
		.amdhsa_user_sgpr_dispatch_ptr 0
		.amdhsa_user_sgpr_queue_ptr 0
		.amdhsa_user_sgpr_kernarg_segment_ptr 1
		.amdhsa_user_sgpr_dispatch_id 0
		.amdhsa_user_sgpr_private_segment_size 0
		.amdhsa_wavefront_size32 1
		.amdhsa_uses_dynamic_stack 0
		.amdhsa_enable_private_segment 0
		.amdhsa_system_sgpr_workgroup_id_x 1
		.amdhsa_system_sgpr_workgroup_id_y 1
		.amdhsa_system_sgpr_workgroup_id_z 1
		.amdhsa_system_sgpr_workgroup_info 0
		.amdhsa_system_vgpr_workitem_id 0
		.amdhsa_next_free_vgpr 146
		.amdhsa_next_free_sgpr 37
		.amdhsa_reserve_vcc 1
		.amdhsa_float_round_mode_32 0
		.amdhsa_float_round_mode_16_64 0
		.amdhsa_float_denorm_mode_32 3
		.amdhsa_float_denorm_mode_16_64 3
		.amdhsa_dx10_clamp 1
		.amdhsa_ieee_mode 1
		.amdhsa_fp16_overflow 0
		.amdhsa_workgroup_processor_mode 1
		.amdhsa_memory_ordered 1
		.amdhsa_forward_progress 0
		.amdhsa_shared_vgpr_count 0
		.amdhsa_exception_fp_ieee_invalid_op 0
		.amdhsa_exception_fp_denorm_src 0
		.amdhsa_exception_fp_ieee_div_zero 0
		.amdhsa_exception_fp_ieee_overflow 0
		.amdhsa_exception_fp_ieee_underflow 0
		.amdhsa_exception_fp_ieee_inexact 0
		.amdhsa_exception_int_div_zero 0
	.end_amdhsa_kernel
	.section	.text._Z39paged_attention_ll4mi_QKV_mfma16_kernelIDF16_hLN4vllm18Fp8KVCacheDataTypeE1EDF16_Li16ELi128ELi256ELb0ELi2EL8MFMAType1EEvPKT_PKT0_S8_ifPKiSA_SA_iPKfiiiPfSD_PS3_PT2_iSC_SC_,"axG",@progbits,_Z39paged_attention_ll4mi_QKV_mfma16_kernelIDF16_hLN4vllm18Fp8KVCacheDataTypeE1EDF16_Li16ELi128ELi256ELb0ELi2EL8MFMAType1EEvPKT_PKT0_S8_ifPKiSA_SA_iPKfiiiPfSD_PS3_PT2_iSC_SC_,comdat
.Lfunc_end1007:
	.size	_Z39paged_attention_ll4mi_QKV_mfma16_kernelIDF16_hLN4vllm18Fp8KVCacheDataTypeE1EDF16_Li16ELi128ELi256ELb0ELi2EL8MFMAType1EEvPKT_PKT0_S8_ifPKiSA_SA_iPKfiiiPfSD_PS3_PT2_iSC_SC_, .Lfunc_end1007-_Z39paged_attention_ll4mi_QKV_mfma16_kernelIDF16_hLN4vllm18Fp8KVCacheDataTypeE1EDF16_Li16ELi128ELi256ELb0ELi2EL8MFMAType1EEvPKT_PKT0_S8_ifPKiSA_SA_iPKfiiiPfSD_PS3_PT2_iSC_SC_
                                        ; -- End function
	.section	.AMDGPU.csdata,"",@progbits
; Kernel info:
; codeLenInByte = 6428
; NumSgprs: 39
; NumVgprs: 146
; ScratchSize: 0
; MemoryBound: 0
; FloatMode: 240
; IeeeMode: 1
; LDSByteSize: 17472 bytes/workgroup (compile time only)
; SGPRBlocks: 4
; VGPRBlocks: 18
; NumSGPRsForWavesPerEU: 39
; NumVGPRsForWavesPerEU: 146
; Occupancy: 9
; WaveLimiterHint : 1
; COMPUTE_PGM_RSRC2:SCRATCH_EN: 0
; COMPUTE_PGM_RSRC2:USER_SGPR: 13
; COMPUTE_PGM_RSRC2:TRAP_HANDLER: 0
; COMPUTE_PGM_RSRC2:TGID_X_EN: 1
; COMPUTE_PGM_RSRC2:TGID_Y_EN: 1
; COMPUTE_PGM_RSRC2:TGID_Z_EN: 1
; COMPUTE_PGM_RSRC2:TIDIG_COMP_CNT: 0
	.section	.text._Z39paged_attention_ll4mi_QKV_mfma16_kernelIDF16_hLN4vllm18Fp8KVCacheDataTypeE1EDF16_Li16ELi128ELi256ELb0ELi3EL8MFMAType1EEvPKT_PKT0_S8_ifPKiSA_SA_iPKfiiiPfSD_PS3_PT2_iSC_SC_,"axG",@progbits,_Z39paged_attention_ll4mi_QKV_mfma16_kernelIDF16_hLN4vllm18Fp8KVCacheDataTypeE1EDF16_Li16ELi128ELi256ELb0ELi3EL8MFMAType1EEvPKT_PKT0_S8_ifPKiSA_SA_iPKfiiiPfSD_PS3_PT2_iSC_SC_,comdat
	.protected	_Z39paged_attention_ll4mi_QKV_mfma16_kernelIDF16_hLN4vllm18Fp8KVCacheDataTypeE1EDF16_Li16ELi128ELi256ELb0ELi3EL8MFMAType1EEvPKT_PKT0_S8_ifPKiSA_SA_iPKfiiiPfSD_PS3_PT2_iSC_SC_ ; -- Begin function _Z39paged_attention_ll4mi_QKV_mfma16_kernelIDF16_hLN4vllm18Fp8KVCacheDataTypeE1EDF16_Li16ELi128ELi256ELb0ELi3EL8MFMAType1EEvPKT_PKT0_S8_ifPKiSA_SA_iPKfiiiPfSD_PS3_PT2_iSC_SC_
	.globl	_Z39paged_attention_ll4mi_QKV_mfma16_kernelIDF16_hLN4vllm18Fp8KVCacheDataTypeE1EDF16_Li16ELi128ELi256ELb0ELi3EL8MFMAType1EEvPKT_PKT0_S8_ifPKiSA_SA_iPKfiiiPfSD_PS3_PT2_iSC_SC_
	.p2align	8
	.type	_Z39paged_attention_ll4mi_QKV_mfma16_kernelIDF16_hLN4vllm18Fp8KVCacheDataTypeE1EDF16_Li16ELi128ELi256ELb0ELi3EL8MFMAType1EEvPKT_PKT0_S8_ifPKiSA_SA_iPKfiiiPfSD_PS3_PT2_iSC_SC_,@function
_Z39paged_attention_ll4mi_QKV_mfma16_kernelIDF16_hLN4vllm18Fp8KVCacheDataTypeE1EDF16_Li16ELi128ELi256ELb0ELi3EL8MFMAType1EEvPKT_PKT0_S8_ifPKiSA_SA_iPKfiiiPfSD_PS3_PT2_iSC_SC_: ; @_Z39paged_attention_ll4mi_QKV_mfma16_kernelIDF16_hLN4vllm18Fp8KVCacheDataTypeE1EDF16_Li16ELi128ELi256ELb0ELi3EL8MFMAType1EEvPKT_PKT0_S8_ifPKiSA_SA_iPKfiiiPfSD_PS3_PT2_iSC_SC_
; %bb.0:
	s_load_b64 s[4:5], s[0:1], 0x30
	s_mov_b32 s34, s13
	s_waitcnt lgkmcnt(0)
	s_cmp_lg_u64 s[4:5], 0
	s_cselect_b32 s8, -1, 0
	s_ashr_i32 s35, s13, 31
	s_cmp_eq_u64 s[4:5], 0
	s_cbranch_scc1 .LBB1008_3
; %bb.1:
	s_lshl_b64 s[2:3], s[34:35], 2
	s_delay_alu instid0(SALU_CYCLE_1) | instskip(SKIP_4) | instid1(SALU_CYCLE_1)
	s_add_u32 s2, s4, s2
	s_addc_u32 s3, s5, s3
	s_load_b64 s[2:3], s[2:3], 0x0
	s_waitcnt lgkmcnt(0)
	s_sub_i32 s2, s3, s2
	s_cmp_eq_u32 s2, 1
	s_cselect_b32 s2, -1, 0
	s_delay_alu instid0(SALU_CYCLE_1)
	s_and_not1_b32 vcc_lo, exec_lo, s2
	s_cbranch_vccz .LBB1008_4
.LBB1008_2:
	s_nop 0
	s_sendmsg sendmsg(MSG_DEALLOC_VGPRS)
	s_endpgm
.LBB1008_3:
.LBB1008_4:
	s_load_b64 s[2:3], s[0:1], 0x28
	s_lshl_b64 s[6:7], s[34:35], 2
	s_waitcnt lgkmcnt(0)
	s_add_u32 s2, s2, s6
	s_addc_u32 s3, s3, s7
	s_lshl_b32 s12, s14, 8
	s_load_b32 s24, s[2:3], 0x0
	s_waitcnt lgkmcnt(0)
	s_cmp_ge_i32 s12, s24
	s_cbranch_scc1 .LBB1008_2
; %bb.5:
	s_clause 0x1
	s_load_b128 s[20:23], s[0:1], 0x8
	s_load_b64 s[2:3], s[0:1], 0x20
	s_and_not1_b32 vcc_lo, exec_lo, s8
	s_cbranch_vccnz .LBB1008_7
; %bb.6:
	s_add_u32 s4, s4, s6
	s_addc_u32 s5, s5, s7
	s_load_b32 s5, s[4:5], 0x0
	s_branch .LBB1008_8
.LBB1008_7:
	s_mov_b32 s5, s34
.LBB1008_8:
	s_load_b128 s[16:19], s[0:1], 0x48
	v_and_b32_e32 v68, 15, v0
	v_lshrrev_b32_e32 v69, 5, v0
	v_bfe_u32 v66, v0, 4, 1
	v_and_b32_e32 v70, 31, v0
	v_and_b32_e32 v67, 1, v0
	v_lshlrev_b32_e32 v2, 3, v68
	s_mul_i32 s31, s15, 3
	v_lshl_or_b32 v1, v69, 1, v66
	s_mov_b32 s4, exec_lo
	s_delay_alu instid0(VALU_DEP_2) | instskip(NEXT) | instid1(VALU_DEP_2)
	v_lshlrev_b32_e32 v65, 1, v2
	v_cmpx_gt_u32_e32 3, v1
	s_cbranch_execz .LBB1008_10
; %bb.9:
	s_load_b64 s[6:7], s[0:1], 0x0
	v_add_lshl_u32 v2, v1, s31, 7
	s_waitcnt lgkmcnt(0)
	s_mul_hi_i32 s9, s5, s16
	s_mul_i32 s8, s5, s16
	v_lshlrev_b32_e32 v6, 10, v68
	s_lshl_b64 s[8:9], s[8:9], 1
	v_ashrrev_i32_e32 v3, 31, v2
	v_lshlrev_b32_e32 v1, 6, v1
	v_lshlrev_b32_e32 v7, 10, v67
	v_and_b32_e32 v6, 0x3800, v6
	s_delay_alu instid0(VALU_DEP_4) | instskip(NEXT) | instid1(VALU_DEP_2)
	v_lshlrev_b64 v[2:3], 1, v[2:3]
	v_or3_b32 v1, v6, v7, v1
	s_add_u32 s5, s6, s8
	s_addc_u32 s6, s7, s9
	s_delay_alu instid0(VALU_DEP_2) | instskip(NEXT) | instid1(VALU_DEP_3)
	v_add_co_u32 v2, vcc_lo, s5, v2
	v_add_co_ci_u32_e32 v3, vcc_lo, s6, v3, vcc_lo
	s_delay_alu instid0(VALU_DEP_2) | instskip(NEXT) | instid1(VALU_DEP_2)
	v_add_co_u32 v2, vcc_lo, v2, v65
	v_add_co_ci_u32_e32 v3, vcc_lo, 0, v3, vcc_lo
	global_load_b128 v[2:5], v[2:3], off
	s_waitcnt vmcnt(0)
	ds_store_b128 v1, v[2:5]
.LBB1008_10:
	s_or_b32 exec_lo, exec_lo, s4
	v_and_b32_e32 v1, 0xef, v0
	s_waitcnt lgkmcnt(0)
	s_add_i32 s5, s24, 15
	s_clause 0x1
	s_load_b32 s4, s[0:1], 0x38
	s_load_b32 s33, s[0:1], 0x98
	s_ashr_i32 s6, s5, 31
	v_add_nc_u32_e32 v1, s12, v1
	s_lshr_b32 s6, s6, 28
	s_load_b32 s19, s[0:1], 0x1c
	s_add_i32 s5, s5, s6
	s_waitcnt lgkmcnt(0)
	v_ashrrev_i32_e32 v2, 31, v1
	v_or_b32_e32 v3, 16, v1
	s_ashr_i32 s13, s5, 4
	v_cmp_gt_i32_e32 vcc_lo, s24, v1
	s_add_i32 s13, s13, -1
	v_lshrrev_b32_e32 v2, 28, v2
	s_barrier
	buffer_gl0_inv
	s_mul_i32 s15, s15, s18
	v_add_nc_u32_e32 v4, v1, v2
	s_mul_i32 s4, s34, s4
	s_delay_alu instid0(SALU_CYCLE_1) | instskip(NEXT) | instid1(VALU_DEP_1)
	s_ashr_i32 s5, s4, 31
	v_ashrrev_i32_e32 v4, 4, v4
	v_add_nc_u32_e32 v2, v3, v2
	s_lshl_b64 s[4:5], s[4:5], 2
	s_delay_alu instid0(SALU_CYCLE_1) | instskip(NEXT) | instid1(VALU_DEP_2)
	s_add_u32 s16, s2, s4
	v_cndmask_b32_e32 v1, s13, v4, vcc_lo
	s_delay_alu instid0(VALU_DEP_2)
	v_ashrrev_i32_e32 v2, 4, v2
	v_cmp_gt_i32_e32 vcc_lo, s24, v3
	s_addc_u32 s25, s3, s5
	s_ashr_i32 s18, s15, 31
	s_add_u32 s26, s20, s15
	s_addc_u32 s27, s21, s18
	v_cndmask_b32_e32 v3, s13, v2, vcc_lo
	v_ashrrev_i32_e32 v2, 31, v1
	s_lshl_b32 s2, s14, 4
	s_delay_alu instid0(SALU_CYCLE_1) | instskip(NEXT) | instid1(VALU_DEP_2)
	s_ashr_i32 s3, s2, 31
	v_ashrrev_i32_e32 v4, 31, v3
	s_delay_alu instid0(VALU_DEP_2) | instskip(SKIP_1) | instid1(SALU_CYCLE_1)
	v_lshlrev_b64 v[1:2], 2, v[1:2]
	s_lshl_b64 s[2:3], s[2:3], 2
	s_add_u32 s2, s16, s2
	s_delay_alu instid0(VALU_DEP_2) | instskip(SKIP_1) | instid1(VALU_DEP_2)
	v_lshlrev_b64 v[3:4], 2, v[3:4]
	s_addc_u32 s3, s25, s3
	v_add_co_u32 v1, vcc_lo, s16, v1
	v_add_co_ci_u32_e32 v2, vcc_lo, s25, v2, vcc_lo
	s_delay_alu instid0(VALU_DEP_3) | instskip(NEXT) | instid1(VALU_DEP_4)
	v_add_co_u32 v3, vcc_lo, s16, v3
	v_add_co_ci_u32_e32 v4, vcc_lo, s25, v4, vcc_lo
	s_clause 0x1
	global_load_b32 v5, v[1:2], off
	global_load_b32 v7, v[3:4], off
	s_or_b32 s4, s12, 32
	v_lshlrev_b32_e32 v1, 4, v0
	s_ashr_i32 s5, s4, 4
	s_cmp_lt_i32 s4, s24
	s_cselect_b32 s4, s5, s13
	s_delay_alu instid0(VALU_DEP_1) | instskip(SKIP_1) | instid1(SALU_CYCLE_1)
	v_and_b32_e32 v1, 0xf0, v1
	s_ashr_i32 s5, s4, 31
	s_lshl_b64 s[4:5], s[4:5], 2
	s_delay_alu instid0(SALU_CYCLE_1)
	s_add_u32 s4, s16, s4
	s_addc_u32 s5, s25, s5
	s_or_b32 s6, s12, 64
	v_add_co_u32 v1, s26, s26, v1
	s_ashr_i32 s7, s6, 4
	s_cmp_lt_i32 s6, s24
	v_add_co_ci_u32_e64 v2, null, s27, 0, s26
	s_cselect_b32 s6, s7, s13
	s_delay_alu instid0(SALU_CYCLE_1) | instskip(NEXT) | instid1(SALU_CYCLE_1)
	s_ashr_i32 s7, s6, 31
	s_lshl_b64 s[6:7], s[6:7], 2
	s_delay_alu instid0(SALU_CYCLE_1) | instskip(SKIP_2) | instid1(SALU_CYCLE_1)
	s_add_u32 s6, s16, s6
	s_addc_u32 s7, s25, s7
	s_or_b32 s8, s12, 0x60
	s_ashr_i32 s9, s8, 4
	s_cmp_lt_i32 s8, s24
	s_cselect_b32 s8, s9, s13
	s_delay_alu instid0(SALU_CYCLE_1) | instskip(NEXT) | instid1(SALU_CYCLE_1)
	s_ashr_i32 s9, s8, 31
	s_lshl_b64 s[8:9], s[8:9], 2
	s_delay_alu instid0(SALU_CYCLE_1) | instskip(SKIP_2) | instid1(SALU_CYCLE_1)
	s_add_u32 s8, s16, s8
	s_addc_u32 s9, s25, s9
	s_or_b32 s10, s12, 0x80
	s_ashr_i32 s11, s10, 4
	s_cmp_lt_i32 s10, s24
	;; [unrolled: 10-line block ×3, first 2 shown]
	s_cselect_b32 s20, s21, s13
	s_delay_alu instid0(SALU_CYCLE_1) | instskip(NEXT) | instid1(SALU_CYCLE_1)
	s_ashr_i32 s21, s20, 31
	s_lshl_b64 s[20:21], s[20:21], 2
	s_delay_alu instid0(SALU_CYCLE_1)
	s_add_u32 s20, s16, s20
	s_addc_u32 s21, s25, s21
	s_clause 0x5
	s_load_b32 s26, s[2:3], 0x0
	s_load_b32 s27, s[4:5], 0x0
	;; [unrolled: 1-line block ×6, first 2 shown]
	s_or_b32 s2, s12, 0xc0
	s_mov_b32 s4, 0
	s_ashr_i32 s3, s2, 4
	s_cmp_lt_i32 s2, s24
	s_mov_b32 s11, s4
	s_cselect_b32 s2, s3, s13
	s_mov_b32 s5, s4
	s_ashr_i32 s3, s2, 31
	s_mov_b32 s6, s4
	s_lshl_b64 s[2:3], s[2:3], 2
	s_mov_b32 s7, s4
	s_add_u32 s2, s16, s2
	s_addc_u32 s3, s25, s3
	s_or_b32 s20, s12, 0xe0
	s_mov_b32 s8, s4
	s_ashr_i32 s21, s20, 4
	s_cmp_lt_i32 s20, s24
	s_mov_b32 s9, s4
	s_cselect_b32 s20, s21, s13
	s_mov_b32 s10, s4
	s_ashr_i32 s21, s20, 31
	v_mov_b32_e32 v118, s11
	v_dual_mov_b32 v112, s5 :: v_dual_mov_b32 v117, s10
	v_dual_mov_b32 v116, s9 :: v_dual_mov_b32 v115, s8
	;; [unrolled: 1-line block ×3, first 2 shown]
	v_mov_b32_e32 v111, s4
	s_lshl_b64 s[4:5], s[20:21], 2
	s_delay_alu instid0(SALU_CYCLE_1)
	s_add_u32 s4, s16, s4
	s_addc_u32 s5, s25, s5
	s_add_u32 s6, s22, s15
	s_addc_u32 s7, s23, s18
	s_waitcnt vmcnt(1)
	v_mad_i64_i32 v[3:4], null, v5, s17, v[1:2]
	s_waitcnt vmcnt(0)
	v_mad_i64_i32 v[5:6], null, v7, s17, v[1:2]
	v_mul_lo_u16 v1, 0x56, v68
	v_lshlrev_b32_e32 v2, 4, v68
	s_clause 0xf
	global_load_b128 v[17:20], v[3:4], off
	global_load_b128 v[21:24], v[3:4], off offset:256
	global_load_b128 v[25:28], v[5:6], off
	global_load_b128 v[29:32], v[5:6], off offset:256
	global_load_b128 v[57:60], v[3:4], off offset:512
	;; [unrolled: 1-line block ×13, first 2 shown]
	v_lshrrev_b16 v1, 8, v1
	s_delay_alu instid0(VALU_DEP_1) | instskip(NEXT) | instid1(VALU_DEP_1)
	v_mul_lo_u16 v1, v1, 3
	v_sub_nc_u16 v1, v68, v1
	s_delay_alu instid0(VALU_DEP_1) | instskip(NEXT) | instid1(VALU_DEP_1)
	v_and_b32_e32 v1, 0xff, v1
	v_lshlrev_b32_e32 v149, 6, v1
	v_lshl_or_b32 v1, v69, 8, v2
	ds_load_b128 v[119:122], v149
	ds_load_b128 v[123:126], v149 offset:1024
	ds_load_b128 v[127:130], v149 offset:2048
	;; [unrolled: 1-line block ×3, first 2 shown]
	s_clause 0x1
	s_load_b32 s2, s[2:3], 0x0
	s_load_b32 s3, s[4:5], 0x0
	v_add_co_u32 v135, s6, s6, v1
	s_delay_alu instid0(VALU_DEP_1) | instskip(SKIP_1) | instid1(VALU_DEP_1)
	v_add_co_ci_u32_e64 v136, null, s7, 0, s6
	s_waitcnt lgkmcnt(0)
	v_mad_i64_i32 v[1:2], null, s26, s17, v[135:136]
	v_mad_i64_i32 v[3:4], null, s27, s17, v[135:136]
	;; [unrolled: 1-line block ×6, first 2 shown]
	s_clause 0x9
	global_load_b128 v[49:52], v[1:2], off
	global_load_b128 v[53:56], v[1:2], off offset:16
	global_load_b128 v[41:44], v[3:4], off
	global_load_b128 v[45:48], v[3:4], off offset:16
	;; [unrolled: 2-line block ×5, first 2 shown]
	v_mad_i64_i32 v[145:146], null, s2, s17, v[135:136]
	v_mad_i64_i32 v[147:148], null, s3, s17, v[135:136]
	s_waitcnt vmcnt(24)
	v_wmma_f32_16x16x16_f16 v[135:142], v[17:24], v[119:126], v[111:118]
	s_waitcnt vmcnt(22)
	v_wmma_f32_16x16x16_f16 v[111:118], v[25:32], v[119:126], v[111:118]
	s_clause 0x3
	global_load_b128 v[17:20], v[143:144], off
	global_load_b128 v[21:24], v[143:144], off offset:16
	global_load_b128 v[25:28], v[145:146], off
	global_load_b128 v[29:32], v[145:146], off offset:16
	v_and_b32_e32 v119, 0xe0, v0
	s_waitcnt vmcnt(24)
	v_wmma_f32_16x16x16_f16 v[135:142], v[57:64], v[127:134], v[135:142]
	s_clause 0x1
	global_load_b128 v[57:60], v[147:148], off
	global_load_b128 v[61:64], v[147:148], off offset:16
	s_waitcnt vmcnt(24)
	v_wmma_f32_16x16x16_f16 v[111:118], v[71:78], v[127:134], v[111:118]
	ds_load_b128 v[71:74], v149 offset:4096
	ds_load_b128 v[75:78], v149 offset:5120
	v_add_nc_u32_e32 v128, s12, v119
	ds_load_b128 v[119:122], v149 offset:6144
	ds_load_b128 v[123:126], v149 offset:7168
	v_mbcnt_lo_u32_b32 v127, -1, 0
	s_waitcnt vmcnt(0) lgkmcnt(0)
	s_barrier
	v_or_b32_e32 v128, v128, v66
	buffer_gl0_inv
	v_xor_b32_e32 v129, 16, v127
	v_or_b32_e32 v130, 4, v128
	v_or_b32_e32 v131, 6, v128
	s_delay_alu instid0(VALU_DEP_3) | instskip(SKIP_4) | instid1(VALU_DEP_4)
	v_cmp_gt_i32_e32 vcc_lo, 32, v129
	v_or_b32_e32 v132, 8, v128
	v_or_b32_e32 v133, 10, v128
	v_cmp_gt_i32_e64 s3, s24, v130
	v_cmp_gt_i32_e64 s4, s24, v131
	;; [unrolled: 1-line block ×3, first 2 shown]
	v_wmma_f32_16x16x16_f16 v[135:142], v[79:86], v[71:78], v[135:142]
	v_wmma_f32_16x16x16_f16 v[111:118], v[87:94], v[71:78], v[111:118]
	v_or_b32_e32 v79, 12, v128
	v_or_b32_e32 v80, 14, v128
	v_cmp_gt_i32_e64 s6, s24, v133
	v_wmma_f32_16x16x16_f16 v[135:142], v[95:102], v[119:126], v[135:142]
	v_wmma_f32_16x16x16_f16 v[111:118], v[103:110], v[119:126], v[111:118]
	v_cndmask_b32_e32 v127, v127, v129, vcc_lo
	v_or_b32_e32 v129, 2, v128
	v_cmp_gt_i32_e32 vcc_lo, s24, v128
	s_delay_alu instid0(VALU_DEP_4) | instskip(SKIP_1) | instid1(VALU_DEP_4)
	v_dual_mul_f32 v87, s19, v136 :: v_dual_mul_f32 v94, s19, v113
	v_mul_f32_e32 v88, s19, v135
	v_cmp_gt_i32_e64 s2, s24, v129
	v_mul_f32_e32 v78, s19, v138
	v_mul_f32_e32 v86, s19, v137
	;; [unrolled: 1-line block ×3, first 2 shown]
	v_cndmask_b32_e32 v88, 0xff7fffff, v88, vcc_lo
	v_cndmask_b32_e64 v87, 0xff7fffff, v87, s2
	v_dual_mul_f32 v77, s19, v139 :: v_dual_mul_f32 v90, s19, v117
	v_cndmask_b32_e64 v86, 0xff7fffff, v86, s3
	v_cndmask_b32_e64 v78, 0xff7fffff, v78, s4
	s_delay_alu instid0(VALU_DEP_4)
	v_max3_f32 v87, v88, 0xff7fffff, v87
	v_or_b32_e32 v81, 16, v128
	v_or_b32_e32 v82, 18, v128
	v_dual_mul_f32 v74, s19, v142 :: v_dual_mul_f32 v75, s19, v141
	v_mul_f32_e32 v96, s19, v111
	v_cndmask_b32_e64 v77, 0xff7fffff, v77, s5
	v_cndmask_b32_e64 v76, 0xff7fffff, v76, s6
	v_max3_f32 v78, v87, v86, v78
	v_cmp_gt_i32_e64 s7, s24, v79
	v_cmp_gt_i32_e64 s8, s24, v80
	v_or_b32_e32 v83, 20, v128
	v_or_b32_e32 v84, 22, v128
	v_mul_f32_e32 v95, s19, v112
	v_cndmask_b32_e64 v75, 0xff7fffff, v75, s7
	v_cndmask_b32_e64 v74, 0xff7fffff, v74, s8
	v_max3_f32 v76, v78, v77, v76
	v_cmp_gt_i32_e64 s9, s24, v81
	v_cmp_gt_i32_e64 s10, s24, v82
	v_or_b32_e32 v85, 24, v128
	v_or_b32_e32 v71, 26, v128
	;; [unrolled: 8-line block ×3, first 2 shown]
	v_dual_mul_f32 v91, s19, v116 :: v_dual_mul_f32 v92, s19, v115
	v_cndmask_b32_e64 v75, 0xff7fffff, v94, s11
	v_cndmask_b32_e64 v76, 0xff7fffff, v93, s12
	v_max3_f32 v74, v74, v77, v78
	v_cmp_gt_i32_e64 s13, s24, v85
	v_cmp_gt_i32_e64 s15, s24, v71
	v_mul_f32_e32 v89, s19, v118
	v_cmp_gt_i32_e64 s16, s24, v72
	v_max3_f32 v74, v74, v75, v76
	v_cndmask_b32_e64 v77, 0xff7fffff, v92, s13
	v_cndmask_b32_e64 v71, 0xff7fffff, v91, s15
	v_cmp_gt_i32_e64 s17, s24, v73
	v_cndmask_b32_e64 v72, 0xff7fffff, v90, s16
	s_delay_alu instid0(VALU_DEP_3) | instskip(SKIP_1) | instid1(VALU_DEP_4)
	v_max3_f32 v71, v74, v77, v71
	v_lshlrev_b32_e32 v74, 2, v127
	v_cndmask_b32_e64 v73, 0xff7fffff, v89, s17
	s_delay_alu instid0(VALU_DEP_1) | instskip(SKIP_3) | instid1(VALU_DEP_1)
	v_max3_f32 v71, v71, v72, v73
	ds_bpermute_b32 v72, v74, v71
	s_waitcnt lgkmcnt(0)
	v_max_f32_e32 v72, v72, v72
	v_max_f32_e32 v71, v71, v72
	s_delay_alu instid0(VALU_DEP_1) | instskip(SKIP_4) | instid1(VALU_DEP_4)
	v_fma_f32 v72, s19, v135, -v71
	v_fma_f32 v73, s19, v136, -v71
	;; [unrolled: 1-line block ×5, first 2 shown]
	v_dual_mul_f32 v72, 0x3fb8aa3b, v72 :: v_dual_mul_f32 v73, 0x3fb8aa3b, v73
	s_delay_alu instid0(VALU_DEP_3) | instskip(SKIP_1) | instid1(VALU_DEP_3)
	v_dual_mul_f32 v75, 0x3fb8aa3b, v75 :: v_dual_mul_f32 v76, 0x3fb8aa3b, v76
	v_fma_f32 v80, s19, v141, -v71
	v_exp_f32_e32 v72, v72
	s_delay_alu instid0(VALU_DEP_3) | instskip(NEXT) | instid1(VALU_DEP_2)
	v_exp_f32_e32 v73, v73
	v_exp_f32_e32 v75, v75
	v_exp_f32_e32 v76, v76
	v_mul_f32_e32 v82, 0x3fb8aa3b, v80
	s_delay_alu instid0(VALU_DEP_1) | instskip(SKIP_4) | instid1(TRANS32_DEP_3)
	v_exp_f32_e32 v84, v82
	v_cndmask_b32_e32 v79, 0, v72, vcc_lo
	v_fma_f32 v72, s19, v140, -v71
	v_mul_f32_e32 v77, 0x3fb8aa3b, v77
	v_cndmask_b32_e64 v78, 0, v73, s2
	v_cndmask_b32_e64 v81, 0, v75, s3
	s_delay_alu instid0(VALU_DEP_4) | instskip(NEXT) | instid1(VALU_DEP_4)
	v_dual_add_f32 v73, 0, v79 :: v_dual_mul_f32 v72, 0x3fb8aa3b, v72
	v_exp_f32_e32 v77, v77
	v_cndmask_b32_e64 v80, 0, v76, s4
	s_delay_alu instid0(TRANS32_DEP_2) | instskip(NEXT) | instid1(VALU_DEP_3)
	v_cndmask_b32_e64 v85, 0, v84, s7
	v_add_f32_e32 v73, v73, v78
	v_exp_f32_e32 v72, v72
	v_cmp_gt_u32_e64 s2, 16, v70
	s_delay_alu instid0(VALU_DEP_2) | instskip(NEXT) | instid1(TRANS32_DEP_2)
	v_add_f32_e32 v73, v73, v81
	v_cndmask_b32_e64 v83, 0, v77, s5
	s_delay_alu instid0(VALU_DEP_2) | instskip(SKIP_3) | instid1(VALU_DEP_1)
	v_add_f32_e32 v73, v73, v80
	s_waitcnt_depctr 0xfff
	v_cndmask_b32_e64 v82, 0, v72, s6
	v_add_f32_e32 v72, v73, v83
	v_add_f32_e32 v72, v72, v82
	s_delay_alu instid0(VALU_DEP_1)
	v_add_f32_e32 v72, v72, v85
	v_fma_f32 v76, s19, v111, -v71
	v_fma_f32 v75, s19, v142, -v71
	;; [unrolled: 1-line block ×5, first 2 shown]
	s_delay_alu instid0(VALU_DEP_4) | instskip(NEXT) | instid1(VALU_DEP_3)
	v_dual_mul_f32 v76, 0x3fb8aa3b, v76 :: v_dual_mul_f32 v75, 0x3fb8aa3b, v75
	v_mul_f32_e32 v86, 0x3fb8aa3b, v86
	s_delay_alu instid0(VALU_DEP_2) | instskip(NEXT) | instid1(VALU_DEP_2)
	v_exp_f32_e32 v76, v76
	v_exp_f32_e32 v75, v75
	s_delay_alu instid0(VALU_DEP_1) | instskip(NEXT) | instid1(TRANS32_DEP_3)
	v_exp_f32_e32 v88, v86
	v_cndmask_b32_e64 v87, 0, v76, s9
	v_fma_f32 v76, s19, v116, -v71
	v_mul_f32_e32 v77, 0x3fb8aa3b, v77
	s_waitcnt_depctr 0xfff
	v_cndmask_b32_e64 v84, 0, v75, s8
	v_fma_f32 v75, s19, v115, -v71
	v_cndmask_b32_e64 v88, 0, v88, s12
	v_mul_f32_e32 v76, 0x3fb8aa3b, v76
	v_exp_f32_e32 v77, v77
	v_add_f32_e32 v72, v72, v84
	s_delay_alu instid0(VALU_DEP_2) | instskip(NEXT) | instid1(VALU_DEP_1)
	v_exp_f32_e32 v76, v76
	v_add_f32_e32 v72, v72, v87
	s_waitcnt_depctr 0xfff
	v_cndmask_b32_e64 v86, 0, v77, s10
	v_mul_f32_e32 v73, 0x3fb8aa3b, v73
	v_fma_f32 v77, s19, v117, -v71
	v_cndmask_b32_e64 v90, 0, v76, s15
	s_delay_alu instid0(VALU_DEP_4) | instskip(NEXT) | instid1(VALU_DEP_4)
	v_add_f32_e32 v72, v72, v86
	v_exp_f32_e32 v73, v73
	s_waitcnt_depctr 0xfff
	v_cndmask_b32_e64 v89, 0, v73, s11
	s_delay_alu instid0(VALU_DEP_1) | instskip(NEXT) | instid1(VALU_DEP_1)
	v_dual_mul_f32 v75, 0x3fb8aa3b, v75 :: v_dual_add_f32 v72, v72, v89
	v_exp_f32_e32 v75, v75
	v_mul_f32_e32 v73, 0x3fb8aa3b, v77
	v_fma_f32 v77, s19, v118, -v71
	s_delay_alu instid0(VALU_DEP_3) | instskip(NEXT) | instid1(VALU_DEP_3)
	v_add_f32_e32 v72, v72, v88
	v_exp_f32_e32 v73, v73
	s_waitcnt_depctr 0xfff
	v_cndmask_b32_e64 v91, 0, v75, s13
	s_delay_alu instid0(VALU_DEP_1) | instskip(NEXT) | instid1(VALU_DEP_1)
	v_dual_mul_f32 v75, 0x3fb8aa3b, v77 :: v_dual_add_f32 v72, v72, v91
	v_exp_f32_e32 v75, v75
	v_cndmask_b32_e64 v93, 0, v73, s16
	s_delay_alu instid0(VALU_DEP_2) | instskip(NEXT) | instid1(VALU_DEP_1)
	v_add_f32_e32 v72, v72, v90
	v_add_f32_e32 v72, v72, v93
	s_waitcnt_depctr 0xfff
	v_cndmask_b32_e64 v92, 0, v75, s17
	s_delay_alu instid0(VALU_DEP_1)
	v_add_f32_e32 v72, v72, v92
	ds_bpermute_b32 v73, v74, v72
	s_and_saveexec_b32 s3, s2
	s_cbranch_execz .LBB1008_12
; %bb.11:
	v_mul_u32_u24_e32 v70, 0x44, v69
	s_waitcnt lgkmcnt(0)
	v_add_f32_e32 v72, v72, v73
	s_delay_alu instid0(VALU_DEP_2) | instskip(NEXT) | instid1(VALU_DEP_1)
	v_lshl_add_u32 v70, v68, 2, v70
	v_add_nc_u32_e32 v70, 0x4000, v70
	ds_store_2addr_b32 v70, v71, v72 offset1:136
.LBB1008_12:
	s_or_b32 exec_lo, exec_lo, s3
	v_lshlrev_b32_e32 v70, 2, v68
	s_load_b32 s35, s[0:1], 0x94
	s_waitcnt lgkmcnt(0)
	s_barrier
	buffer_gl0_inv
	v_add_nc_u32_e32 v98, 0x4000, v70
	v_cmp_eq_u32_e32 vcc_lo, 1, v69
	v_cmp_eq_u32_e64 s3, 2, v69
	v_cmp_eq_u32_e64 s4, 3, v69
	;; [unrolled: 1-line block ×3, first 2 shown]
	ds_load_2addr_b32 v[70:71], v98 offset1:17
	ds_load_2addr_b32 v[72:73], v98 offset0:34 offset1:51
	ds_load_2addr_b32 v[74:75], v98 offset0:68 offset1:85
	;; [unrolled: 1-line block ×3, first 2 shown]
	v_cmp_eq_u32_e64 s6, 5, v69
	v_cmp_eq_u32_e64 s7, 7, v69
	s_waitcnt lgkmcnt(3)
	v_max3_f32 v76, v70, 0xff7fffff, v71
	s_waitcnt lgkmcnt(2)
	s_delay_alu instid0(VALU_DEP_1) | instskip(SKIP_1) | instid1(VALU_DEP_1)
	v_max3_f32 v76, v76, v72, v73
	s_waitcnt lgkmcnt(1)
	v_max3_f32 v76, v76, v74, v75
	s_waitcnt lgkmcnt(0)
	s_delay_alu instid0(VALU_DEP_1) | instskip(NEXT) | instid1(VALU_DEP_1)
	v_max3_f32 v76, v76, v94, v95
	v_sub_f32_e32 v77, v71, v76
	ds_load_2addr_b32 v[96:97], v98 offset0:136 offset1:153
	v_sub_f32_e32 v74, v74, v76
	v_sub_f32_e32 v70, v70, v76
	;; [unrolled: 1-line block ×3, first 2 shown]
	v_dual_sub_f32 v72, v72, v76 :: v_dual_mul_f32 v77, 0x3fb8aa3b, v77
	s_delay_alu instid0(VALU_DEP_4) | instskip(NEXT) | instid1(VALU_DEP_4)
	v_mul_f32_e32 v103, 0x3fb8aa3b, v74
	v_mul_f32_e32 v99, 0x3fb8aa3b, v70
	ds_load_2addr_b32 v[70:71], v98 offset0:170 offset1:187
	v_dual_mul_f32 v101, 0x3fb8aa3b, v72 :: v_dual_mul_f32 v94, 0x3fb8aa3b, v94
	v_exp_f32_e32 v102, v77
	v_exp_f32_e32 v99, v99
	s_delay_alu instid0(VALU_DEP_1) | instskip(NEXT) | instid1(VALU_DEP_1)
	v_exp_f32_e32 v101, v101
	v_exp_f32_e32 v94, v94
	s_waitcnt lgkmcnt(1)
	s_delay_alu instid0(TRANS32_DEP_3)
	v_fma_f32 v77, v99, v96, 0
	v_sub_f32_e32 v100, v73, v76
	ds_load_2addr_b32 v[72:73], v98 offset0:204 offset1:221
	v_fmac_f32_e32 v77, v102, v97
	v_exp_f32_e32 v97, v103
	s_waitcnt lgkmcnt(1)
	s_delay_alu instid0(VALU_DEP_1)
	v_dual_fmac_f32 v77, v101, v70 :: v_dual_sub_f32 v96, v75, v76
	ds_load_2addr_b32 v[74:75], v98 offset0:238 offset1:255
	v_sub_f32_e32 v70, v95, v76
	s_waitcnt lgkmcnt(0)
	s_barrier
	v_mul_f32_e32 v96, 0x3fb8aa3b, v96
	buffer_gl0_inv
	v_exp_f32_e32 v95, v96
	v_mul_f32_e32 v100, 0x3fb8aa3b, v100
	s_delay_alu instid0(VALU_DEP_1) | instskip(SKIP_3) | instid1(VALU_DEP_2)
	v_exp_f32_e32 v100, v100
	s_waitcnt_depctr 0xfff
	v_dual_fmac_f32 v77, v100, v71 :: v_dual_mul_f32 v70, 0x3fb8aa3b, v70
	v_cndmask_b32_e32 v71, v99, v102, vcc_lo
	v_fmac_f32_e32 v77, v97, v72
	s_delay_alu instid0(VALU_DEP_3) | instskip(NEXT) | instid1(VALU_DEP_1)
	v_exp_f32_e32 v96, v70
	v_fmac_f32_e32 v77, v95, v73
	s_delay_alu instid0(VALU_DEP_1) | instskip(SKIP_2) | instid1(VALU_DEP_1)
	v_fmac_f32_e32 v77, v94, v74
	s_waitcnt_depctr 0xfff
	v_fmac_f32_e32 v77, v96, v75
	v_add_f32_e32 v74, 0x358637bd, v77
	s_delay_alu instid0(VALU_DEP_1) | instskip(SKIP_1) | instid1(VALU_DEP_2)
	v_div_scale_f32 v98, null, v74, v74, 1.0
	v_div_scale_f32 v99, vcc_lo, 1.0, v74, 1.0
	v_rcp_f32_e32 v103, v98
	s_waitcnt_depctr 0xfff
	v_fma_f32 v70, -v98, v103, 1.0
	s_delay_alu instid0(VALU_DEP_1) | instskip(SKIP_2) | instid1(VALU_DEP_2)
	v_fmac_f32_e32 v103, v70, v103
	v_cndmask_b32_e64 v70, v71, v101, s3
	v_cmp_eq_u32_e64 s3, 6, v69
	v_cndmask_b32_e64 v71, v70, v100, s4
	s_delay_alu instid0(VALU_DEP_4) | instskip(NEXT) | instid1(VALU_DEP_2)
	v_dual_mul_f32 v101, v99, v103 :: v_dual_lshlrev_b32 v70, 2, v66
	v_cndmask_b32_e64 v71, v71, v97, s5
	s_delay_alu instid0(VALU_DEP_2) | instskip(NEXT) | instid1(VALU_DEP_3)
	v_or_b32_e32 v72, 1, v70
	v_fma_f32 v100, -v98, v101, v99
	v_cmp_eq_u32_e64 s4, 1, v70
	v_cmp_eq_u32_e64 s5, 2, v70
	v_cndmask_b32_e64 v95, v71, v95, s6
	v_or_b32_e32 v71, 3, v70
	v_fmac_f32_e32 v101, v100, v103
	v_cmp_eq_u32_e64 s9, 1, v72
	v_cmp_eq_u32_e64 s12, 2, v72
	v_cndmask_b32_e64 v94, v95, v94, s3
	v_cmp_eq_u32_e64 s11, 1, v71
	v_fma_f32 v97, -v98, v101, v99
	v_cmp_eq_u32_e64 s16, 2, v71
	v_cmp_eq_u32_e64 s13, 3, v72
	v_cndmask_b32_e64 v94, v94, v96, s7
	v_cmp_eq_u32_e64 s18, 3, v71
	v_div_fmas_f32 v95, v97, v103, v101
	v_cmp_eq_u32_e32 vcc_lo, 3, v70
	v_cmp_eq_u32_e64 s3, 4, v70
	v_cmp_eq_u32_e64 s19, 4, v72
	;; [unrolled: 1-line block ×3, first 2 shown]
	v_div_fixup_f32 v95, v95, v74, 1.0
	v_lshlrev_b32_e32 v73, 6, v68
	v_cmp_eq_u32_e64 s6, 5, v70
	v_cmp_eq_u32_e64 s20, 5, v72
	;; [unrolled: 1-line block ×3, first 2 shown]
	v_mul_f32_e32 v102, v94, v95
	v_lshl_or_b32 v75, v69, 11, v73
	v_or_b32_e32 v69, 2, v70
	v_cmp_eq_u32_e64 s25, 6, v72
	v_cmp_eq_u32_e64 s27, 6, v71
	v_fma_mixlo_f16 v94, v102, v79, 0
	v_fma_mixlo_f16 v95, v102, v81, 0
	;; [unrolled: 1-line block ×8, first 2 shown]
	v_lshl_or_b32 v74, v66, 4, v75
	v_fma_mixhi_f16 v94, v102, v78, 0
	v_fma_mixhi_f16 v95, v102, v80, 0
	v_fma_mixhi_f16 v96, v102, v82, 0
	v_fma_mixhi_f16 v97, v102, v84, 0
	v_fma_mixhi_f16 v98, v102, v86, 0
	v_fma_mixhi_f16 v99, v102, v88, 0
	v_fma_mixhi_f16 v100, v102, v90, 0
	v_fma_mixhi_f16 v101, v102, v92, 0
	ds_store_b128 v74, v[94:97]
	ds_store_b128 v74, v[98:101] offset:1024
	s_waitcnt lgkmcnt(0)
	s_barrier
	buffer_gl0_inv
	ds_load_b128 v[78:81], v75
	ds_load_b128 v[82:85], v75 offset:16
	ds_load_b128 v[86:89], v75 offset:1024
	;; [unrolled: 1-line block ×3, first 2 shown]
	v_cmp_eq_u32_e64 s10, 1, v69
	v_cmp_eq_u32_e64 s15, 2, v69
	;; [unrolled: 1-line block ×11, first 2 shown]
	s_waitcnt lgkmcnt(3)
	v_lshrrev_b32_e32 v94, 16, v78
	s_waitcnt lgkmcnt(2)
	v_lshrrev_b32_e32 v98, 16, v82
	s_waitcnt lgkmcnt(1)
	v_lshrrev_b32_e32 v102, 16, v86
	s_waitcnt lgkmcnt(0)
	v_lshrrev_b32_e32 v106, 16, v90
	v_lshrrev_b32_e32 v95, 16, v79
	v_cndmask_b32_e64 v110, v78, v94, s4
	v_cndmask_b32_e64 v111, v82, v98, s4
	v_cndmask_b32_e64 v112, v78, v94, s9
	v_cndmask_b32_e64 v113, v82, v98, s9
	v_cndmask_b32_e64 v114, v78, v94, s10
	v_cndmask_b32_e64 v115, v82, v98, s10
	v_cndmask_b32_e64 v78, v78, v94, s11
	v_cndmask_b32_e64 v82, v82, v98, s11
	v_lshrrev_b32_e32 v99, 16, v83
	v_cndmask_b32_e64 v94, v86, v102, s4
	v_cndmask_b32_e64 v98, v90, v106, s4
	;; [unrolled: 1-line block ×15, first 2 shown]
	v_lshrrev_b32_e32 v103, 16, v87
	v_lshrrev_b32_e32 v107, 16, v91
	v_cndmask_b32_e64 v113, v115, v83, s15
	v_cndmask_b32_e64 v82, v94, v87, s5
	;; [unrolled: 1-line block ×7, first 2 shown]
	v_cndmask_b32_e32 v90, v102, v95, vcc_lo
	v_cndmask_b32_e32 v102, v106, v99, vcc_lo
	v_cndmask_b32_e64 v106, v110, v95, s13
	v_cndmask_b32_e64 v110, v111, v99, s13
	;; [unrolled: 1-line block ×4, first 2 shown]
	v_lshrrev_b32_e32 v96, 16, v80
	v_lshrrev_b32_e32 v100, 16, v84
	v_cndmask_b32_e64 v111, v112, v95, s17
	v_cndmask_b32_e64 v112, v113, v99, s17
	v_cndmask_b32_e32 v82, v82, v103, vcc_lo
	v_cndmask_b32_e32 v83, v83, v107, vcc_lo
	v_cndmask_b32_e64 v94, v94, v103, s13
	v_cndmask_b32_e64 v90, v90, v80, s3
	;; [unrolled: 1-line block ×7, first 2 shown]
	v_lshrrev_b32_e32 v104, 16, v88
	v_cndmask_b32_e64 v106, v111, v80, s21
	v_cndmask_b32_e64 v110, v112, v84, s21
	;; [unrolled: 1-line block ×11, first 2 shown]
	v_lshrrev_b32_e32 v97, 16, v81
	v_lshrrev_b32_e32 v101, 16, v85
	v_cndmask_b32_e64 v99, v106, v96, s23
	v_cndmask_b32_e64 v102, v110, v100, s23
	;; [unrolled: 1-line block ×7, first 2 shown]
	v_lshrrev_b32_e32 v105, 16, v89
	v_cndmask_b32_e64 v80, v80, v104, s6
	v_cndmask_b32_e64 v84, v84, v81, s7
	;; [unrolled: 1-line block ×16, first 2 shown]
	v_perm_b32 v81, v79, v78, 0x5040100
	v_perm_b32 v79, v95, v85, 0x5040100
	v_cndmask_b32_e64 v78, v119, v91, s15
	v_cndmask_b32_e64 v85, v117, v91, s12
	;; [unrolled: 1-line block ×3, first 2 shown]
	v_perm_b32 v80, v94, v90, 0x5040100
	v_cndmask_b32_e64 v90, v98, v103, s17
	v_cndmask_b32_e64 v86, v86, v103, s18
	;; [unrolled: 1-line block ×5, first 2 shown]
	v_lshrrev_b32_e32 v108, 16, v92
	v_cndmask_b32_e64 v90, v90, v88, s21
	v_cndmask_b32_e64 v86, v86, v88, s22
	;; [unrolled: 1-line block ×11, first 2 shown]
	v_lshrrev_b32_e32 v109, 16, v93
	v_cndmask_b32_e64 v82, v82, v93, s7
	v_cndmask_b32_e64 v88, v88, v89, s26
	;; [unrolled: 1-line block ×12, first 2 shown]
	v_perm_b32 v78, v84, v83, 0x5040100
	v_perm_b32 v85, v87, v86, 0x5040100
	;; [unrolled: 1-line block ×5, first 2 shown]
	s_mul_i32 s8, s33, 3
	s_mov_b32 s3, exec_lo
	ds_store_b128 v74, v[78:81]
	ds_store_b128 v74, v[82:85] offset:1024
	v_cmpx_gt_u32_e32 3, v0
	s_cbranch_execz .LBB1008_14
; %bb.13:
	s_mul_i32 s4, s8, s34
	s_delay_alu instid0(SALU_CYCLE_1) | instskip(SKIP_1) | instid1(VALU_DEP_1)
	v_add3_u32 v68, s4, s31, v68
	s_load_b128 s[4:7], s[0:1], 0x58
	v_mad_u64_u32 v[78:79], null, v68, s35, s[14:15]
	s_delay_alu instid0(VALU_DEP_1) | instskip(NEXT) | instid1(VALU_DEP_1)
	v_ashrrev_i32_e32 v79, 31, v78
	v_lshlrev_b64 v[78:79], 2, v[78:79]
	s_waitcnt lgkmcnt(0)
	s_delay_alu instid0(VALU_DEP_1) | instskip(NEXT) | instid1(VALU_DEP_2)
	v_add_co_u32 v80, vcc_lo, s6, v78
	v_add_co_ci_u32_e32 v81, vcc_lo, s7, v79, vcc_lo
	v_add_co_u32 v78, vcc_lo, s4, v78
	v_add_co_ci_u32_e32 v79, vcc_lo, s5, v79, vcc_lo
	global_store_b32 v[80:81], v76, off
	global_store_b32 v[78:79], v77, off
.LBB1008_14:
	s_or_b32 exec_lo, exec_lo, s3
	s_waitcnt lgkmcnt(0)
	s_waitcnt_vscnt null, 0x0
	s_barrier
	buffer_gl0_inv
	ds_load_b128 v[84:87], v73
	ds_load_b128 v[88:91], v73 offset:16
	ds_load_b128 v[96:99], v73 offset:2064
	;; [unrolled: 1-line block ×5, first 2 shown]
	v_cmp_eq_u32_e32 vcc_lo, 1, v70
	v_mov_b32_e32 v76, 0
	ds_load_b128 v[112:115], v73 offset:6160
	ds_load_b128 v[108:111], v73 offset:6144
	;; [unrolled: 1-line block ×4, first 2 shown]
	v_cmp_eq_u32_e64 s4, 1, v69
	v_cmp_eq_u32_e64 s3, 1, v72
	;; [unrolled: 1-line block ×3, first 2 shown]
	v_mov_b32_e32 v77, v76
	v_mov_b32_e32 v78, v76
	;; [unrolled: 1-line block ×7, first 2 shown]
	v_cmp_eq_u32_e64 s6, 3, v72
	v_cmp_eq_u32_e64 s7, 7, v72
	s_waitcnt lgkmcnt(8)
	s_delay_alu instid0(VALU_DEP_3)
	v_wmma_f32_16x16x16_f16 v[76:83], v[49:56], v[84:91], v[76:83]
	ds_load_b128 v[53:56], v73 offset:10256
	ds_load_b128 v[49:52], v73 offset:10240
	s_waitcnt lgkmcnt(8)
	v_wmma_f32_16x16x16_f16 v[76:83], v[41:48], v[92:99], v[76:83]
	ds_load_b128 v[45:48], v73 offset:12304
	ds_load_b128 v[41:44], v73 offset:12288
	s_waitcnt lgkmcnt(8)
	;; [unrolled: 4-line block ×3, first 2 shown]
	s_barrier
	buffer_gl0_inv
	v_wmma_f32_16x16x16_f16 v[76:83], v[1:8], v[108:115], v[76:83]
	s_delay_alu instid0(VALU_DEP_1) | instskip(NEXT) | instid1(VALU_DEP_1)
	v_wmma_f32_16x16x16_f16 v[76:83], v[9:16], v[116:123], v[76:83]
	v_wmma_f32_16x16x16_f16 v[76:83], v[17:24], v[49:56], v[76:83]
	s_delay_alu instid0(VALU_DEP_1) | instskip(NEXT) | instid1(VALU_DEP_1)
	v_wmma_f32_16x16x16_f16 v[76:83], v[25:32], v[41:48], v[76:83]
	v_wmma_f32_16x16x16_f16 v[76:83], v[57:64], v[33:40], v[76:83]
	s_delay_alu instid0(VALU_DEP_1) | instskip(NEXT) | instid1(VALU_DEP_2)
	v_cvt_f16_f32_e32 v1, v76
	v_cvt_f16_f32_e32 v2, v77
	s_delay_alu instid0(VALU_DEP_3) | instskip(NEXT) | instid1(VALU_DEP_4)
	v_cvt_f16_f32_e32 v3, v78
	v_cvt_f16_f32_e32 v4, v79
	;; [unrolled: 1-line block ×6, first 2 shown]
	v_pack_b32_f16 v1, v1, v2
	v_pack_b32_f16 v2, v3, v4
	;; [unrolled: 1-line block ×3, first 2 shown]
	s_delay_alu instid0(VALU_DEP_4)
	v_pack_b32_f16 v4, v7, v8
	ds_store_b128 v74, v[1:4]
	s_waitcnt lgkmcnt(0)
	s_barrier
	buffer_gl0_inv
	ds_load_b128 v[1:4], v75
	ds_load_b128 v[5:8], v75 offset:16
	s_waitcnt lgkmcnt(1)
	v_lshrrev_b32_e32 v9, 16, v1
	s_waitcnt lgkmcnt(0)
	v_lshrrev_b32_e32 v13, 16, v5
	v_lshrrev_b32_e32 v10, 16, v2
	;; [unrolled: 1-line block ×4, first 2 shown]
	v_cndmask_b32_e32 v17, v1, v9, vcc_lo
	v_cndmask_b32_e32 v18, v5, v13, vcc_lo
	v_cndmask_b32_e64 v21, v1, v9, s4
	v_cmp_eq_u32_e32 vcc_lo, 1, v71
	v_cndmask_b32_e64 v22, v5, v13, s4
	v_cmp_eq_u32_e64 s4, 2, v70
	v_cndmask_b32_e64 v19, v1, v9, s3
	v_cndmask_b32_e64 v20, v5, v13, s3
	v_cndmask_b32_e32 v1, v1, v9, vcc_lo
	v_cmp_eq_u32_e64 s3, 2, v71
	v_cndmask_b32_e32 v5, v5, v13, vcc_lo
	v_cndmask_b32_e64 v9, v17, v2, s4
	v_cmp_eq_u32_e32 vcc_lo, 3, v70
	v_cndmask_b32_e64 v13, v18, v6, s4
	v_cmp_eq_u32_e64 s4, 2, v69
	v_cndmask_b32_e64 v17, v19, v2, s5
	v_cndmask_b32_e64 v18, v20, v6, s5
	v_cmp_eq_u32_e64 s5, 3, v69
	v_cndmask_b32_e64 v1, v1, v2, s3
	v_cndmask_b32_e64 v19, v21, v2, s4
	;; [unrolled: 1-line block ×4, first 2 shown]
	v_cndmask_b32_e32 v5, v9, v10, vcc_lo
	v_cndmask_b32_e32 v6, v13, v14, vcc_lo
	v_cmp_eq_u32_e32 vcc_lo, 3, v71
	v_cndmask_b32_e64 v9, v17, v10, s6
	v_cndmask_b32_e64 v13, v18, v14, s6
	;; [unrolled: 1-line block ×3, first 2 shown]
	v_cmp_eq_u32_e64 s4, 4, v70
	v_cndmask_b32_e32 v1, v1, v10, vcc_lo
	v_cndmask_b32_e32 v2, v2, v14, vcc_lo
	v_cmp_eq_u32_e32 vcc_lo, 4, v72
	v_lshrrev_b32_e32 v15, 16, v7
	v_lshrrev_b32_e32 v16, 16, v8
	v_cndmask_b32_e64 v17, v19, v10, s5
	v_cmp_eq_u32_e64 s3, 4, v71
	v_cndmask_b32_e64 v5, v5, v3, s4
	v_cndmask_b32_e64 v6, v6, v7, s4
	v_cndmask_b32_e32 v9, v9, v3, vcc_lo
	v_cmp_eq_u32_e64 s4, 5, v72
	v_cndmask_b32_e32 v10, v13, v7, vcc_lo
	v_cmp_eq_u32_e32 vcc_lo, 4, v69
	v_cmp_eq_u32_e64 s5, 5, v70
	v_cndmask_b32_e64 v2, v2, v7, s3
	v_cndmask_b32_e64 v9, v9, v11, s4
	;; [unrolled: 1-line block ×3, first 2 shown]
	v_cndmask_b32_e32 v13, v17, v3, vcc_lo
	v_cmp_eq_u32_e64 s4, 5, v69
	v_cndmask_b32_e32 v14, v18, v7, vcc_lo
	v_cndmask_b32_e64 v1, v1, v3, s3
	v_cmp_eq_u32_e32 vcc_lo, 5, v71
	v_lshrrev_b32_e32 v12, 16, v4
	v_cndmask_b32_e64 v13, v13, v11, s4
	v_cndmask_b32_e64 v3, v14, v15, s4
	v_cmp_eq_u32_e64 s4, 6, v71
	v_cndmask_b32_e32 v1, v1, v11, vcc_lo
	v_cndmask_b32_e64 v5, v5, v11, s5
	v_cmp_eq_u32_e64 s6, 6, v70
	v_cndmask_b32_e64 v6, v6, v15, s5
	v_cmp_eq_u32_e64 s5, 6, v72
	v_cmp_eq_u32_e64 s3, 6, v69
	v_cndmask_b32_e64 v1, v1, v4, s4
	v_cndmask_b32_e32 v2, v2, v15, vcc_lo
	v_cmp_eq_u32_e32 vcc_lo, 7, v71
	v_cndmask_b32_e64 v5, v5, v4, s6
	v_cndmask_b32_e64 v9, v9, v4, s5
	;; [unrolled: 1-line block ×3, first 2 shown]
	v_cmp_eq_u32_e64 s6, 7, v70
	v_cndmask_b32_e32 v1, v1, v12, vcc_lo
	v_cndmask_b32_e64 v7, v13, v4, s3
	v_cndmask_b32_e64 v3, v3, v8, s3
	;; [unrolled: 1-line block ×3, first 2 shown]
	v_cmp_eq_u32_e64 s3, 7, v69
	v_cndmask_b32_e64 v4, v10, v8, s5
	v_cndmask_b32_e64 v5, v5, v12, s6
	;; [unrolled: 1-line block ×3, first 2 shown]
	v_cndmask_b32_e32 v2, v2, v16, vcc_lo
	v_cndmask_b32_e64 v7, v7, v12, s3
	v_cndmask_b32_e64 v3, v3, v16, s3
	;; [unrolled: 1-line block ×4, first 2 shown]
	v_perm_b32 v4, v2, v1, 0x5040100
	s_mov_b32 s3, exec_lo
	v_perm_b32 v3, v3, v7, 0x5040100
	v_perm_b32 v2, v8, v9, 0x5040100
	;; [unrolled: 1-line block ×3, first 2 shown]
	ds_store_b128 v74, v[1:4]
	s_waitcnt lgkmcnt(0)
	s_barrier
	buffer_gl0_inv
	v_cmpx_gt_u32_e32 32, v0
	s_cbranch_execz .LBB1008_2
; %bb.15:
	s_load_b64 s[4:5], s[0:1], 0x68
	v_lshlrev_b32_e32 v0, 10, v0
	v_lshlrev_b32_e32 v2, 4, v67
	v_add_nc_u32_e32 v1, s31, v66
	s_lshl_b32 s0, s35, 7
	s_delay_alu instid0(SALU_CYCLE_1) | instskip(NEXT) | instid1(VALU_DEP_2)
	s_mul_i32 s1, s0, s34
	v_and_or_b32 v0, 0x3800, v0, v2
	s_mul_i32 s6, s1, s8
	v_mul_lo_u32 v1, v1, s0
	s_ashr_i32 s7, s6, 31
	s_delay_alu instid0(VALU_DEP_2) | instskip(SKIP_1) | instid1(VALU_DEP_2)
	v_lshl_or_b32 v3, v66, 6, v0
	s_lshl_b64 s[6:7], s[6:7], 1
	v_ashrrev_i32_e32 v2, 31, v1
	ds_load_b128 v[3:6], v3
	s_waitcnt lgkmcnt(0)
	s_add_u32 s1, s4, s6
	s_addc_u32 s3, s5, s7
	s_lshl_b32 s4, s14, 7
	v_lshlrev_b64 v[7:8], 1, v[1:2]
	s_ashr_i32 s5, s4, 31
	s_delay_alu instid0(SALU_CYCLE_1) | instskip(NEXT) | instid1(SALU_CYCLE_1)
	s_lshl_b64 s[4:5], s[4:5], 1
	s_add_u32 s1, s1, s4
	s_addc_u32 s3, s3, s5
	v_add_co_u32 v1, s1, s1, v65
	s_delay_alu instid0(VALU_DEP_1) | instskip(NEXT) | instid1(VALU_DEP_2)
	v_add_co_ci_u32_e64 v2, null, s3, 0, s1
	v_add_co_u32 v7, vcc_lo, v1, v7
	s_delay_alu instid0(VALU_DEP_2)
	v_add_co_ci_u32_e32 v8, vcc_lo, v2, v8, vcc_lo
	global_store_b128 v[7:8], v[3:6], off
	s_and_b32 exec_lo, exec_lo, s2
	s_cbranch_execz .LBB1008_2
; %bb.16:
	ds_load_b128 v[3:6], v0 offset:128
	s_add_i32 s1, s31, 2
	s_delay_alu instid0(SALU_CYCLE_1) | instskip(NEXT) | instid1(SALU_CYCLE_1)
	s_mul_i32 s0, s1, s0
	s_ashr_i32 s1, s0, 31
	s_delay_alu instid0(SALU_CYCLE_1) | instskip(NEXT) | instid1(SALU_CYCLE_1)
	s_lshl_b64 s[0:1], s[0:1], 1
	v_add_co_u32 v0, vcc_lo, v1, s0
	v_add_co_ci_u32_e32 v1, vcc_lo, s1, v2, vcc_lo
	s_waitcnt lgkmcnt(0)
	global_store_b128 v[0:1], v[3:6], off
	s_nop 0
	s_sendmsg sendmsg(MSG_DEALLOC_VGPRS)
	s_endpgm
	.section	.rodata,"a",@progbits
	.p2align	6, 0x0
	.amdhsa_kernel _Z39paged_attention_ll4mi_QKV_mfma16_kernelIDF16_hLN4vllm18Fp8KVCacheDataTypeE1EDF16_Li16ELi128ELi256ELb0ELi3EL8MFMAType1EEvPKT_PKT0_S8_ifPKiSA_SA_iPKfiiiPfSD_PS3_PT2_iSC_SC_
		.amdhsa_group_segment_fixed_size 17472
		.amdhsa_private_segment_fixed_size 0
		.amdhsa_kernarg_size 400
		.amdhsa_user_sgpr_count 13
		.amdhsa_user_sgpr_dispatch_ptr 0
		.amdhsa_user_sgpr_queue_ptr 0
		.amdhsa_user_sgpr_kernarg_segment_ptr 1
		.amdhsa_user_sgpr_dispatch_id 0
		.amdhsa_user_sgpr_private_segment_size 0
		.amdhsa_wavefront_size32 1
		.amdhsa_uses_dynamic_stack 0
		.amdhsa_enable_private_segment 0
		.amdhsa_system_sgpr_workgroup_id_x 1
		.amdhsa_system_sgpr_workgroup_id_y 1
		.amdhsa_system_sgpr_workgroup_id_z 1
		.amdhsa_system_sgpr_workgroup_info 0
		.amdhsa_system_vgpr_workitem_id 0
		.amdhsa_next_free_vgpr 150
		.amdhsa_next_free_sgpr 36
		.amdhsa_reserve_vcc 1
		.amdhsa_float_round_mode_32 0
		.amdhsa_float_round_mode_16_64 0
		.amdhsa_float_denorm_mode_32 3
		.amdhsa_float_denorm_mode_16_64 3
		.amdhsa_dx10_clamp 1
		.amdhsa_ieee_mode 1
		.amdhsa_fp16_overflow 0
		.amdhsa_workgroup_processor_mode 1
		.amdhsa_memory_ordered 1
		.amdhsa_forward_progress 0
		.amdhsa_shared_vgpr_count 0
		.amdhsa_exception_fp_ieee_invalid_op 0
		.amdhsa_exception_fp_denorm_src 0
		.amdhsa_exception_fp_ieee_div_zero 0
		.amdhsa_exception_fp_ieee_overflow 0
		.amdhsa_exception_fp_ieee_underflow 0
		.amdhsa_exception_fp_ieee_inexact 0
		.amdhsa_exception_int_div_zero 0
	.end_amdhsa_kernel
	.section	.text._Z39paged_attention_ll4mi_QKV_mfma16_kernelIDF16_hLN4vllm18Fp8KVCacheDataTypeE1EDF16_Li16ELi128ELi256ELb0ELi3EL8MFMAType1EEvPKT_PKT0_S8_ifPKiSA_SA_iPKfiiiPfSD_PS3_PT2_iSC_SC_,"axG",@progbits,_Z39paged_attention_ll4mi_QKV_mfma16_kernelIDF16_hLN4vllm18Fp8KVCacheDataTypeE1EDF16_Li16ELi128ELi256ELb0ELi3EL8MFMAType1EEvPKT_PKT0_S8_ifPKiSA_SA_iPKfiiiPfSD_PS3_PT2_iSC_SC_,comdat
.Lfunc_end1008:
	.size	_Z39paged_attention_ll4mi_QKV_mfma16_kernelIDF16_hLN4vllm18Fp8KVCacheDataTypeE1EDF16_Li16ELi128ELi256ELb0ELi3EL8MFMAType1EEvPKT_PKT0_S8_ifPKiSA_SA_iPKfiiiPfSD_PS3_PT2_iSC_SC_, .Lfunc_end1008-_Z39paged_attention_ll4mi_QKV_mfma16_kernelIDF16_hLN4vllm18Fp8KVCacheDataTypeE1EDF16_Li16ELi128ELi256ELb0ELi3EL8MFMAType1EEvPKT_PKT0_S8_ifPKiSA_SA_iPKfiiiPfSD_PS3_PT2_iSC_SC_
                                        ; -- End function
	.section	.AMDGPU.csdata,"",@progbits
; Kernel info:
; codeLenInByte = 6588
; NumSgprs: 38
; NumVgprs: 150
; ScratchSize: 0
; MemoryBound: 0
; FloatMode: 240
; IeeeMode: 1
; LDSByteSize: 17472 bytes/workgroup (compile time only)
; SGPRBlocks: 4
; VGPRBlocks: 18
; NumSGPRsForWavesPerEU: 38
; NumVGPRsForWavesPerEU: 150
; Occupancy: 9
; WaveLimiterHint : 1
; COMPUTE_PGM_RSRC2:SCRATCH_EN: 0
; COMPUTE_PGM_RSRC2:USER_SGPR: 13
; COMPUTE_PGM_RSRC2:TRAP_HANDLER: 0
; COMPUTE_PGM_RSRC2:TGID_X_EN: 1
; COMPUTE_PGM_RSRC2:TGID_Y_EN: 1
; COMPUTE_PGM_RSRC2:TGID_Z_EN: 1
; COMPUTE_PGM_RSRC2:TIDIG_COMP_CNT: 0
	.section	.text._Z39paged_attention_ll4mi_QKV_mfma16_kernelIDF16_hLN4vllm18Fp8KVCacheDataTypeE1EDF16_Li16ELi128ELi256ELb0ELi4EL8MFMAType1EEvPKT_PKT0_S8_ifPKiSA_SA_iPKfiiiPfSD_PS3_PT2_iSC_SC_,"axG",@progbits,_Z39paged_attention_ll4mi_QKV_mfma16_kernelIDF16_hLN4vllm18Fp8KVCacheDataTypeE1EDF16_Li16ELi128ELi256ELb0ELi4EL8MFMAType1EEvPKT_PKT0_S8_ifPKiSA_SA_iPKfiiiPfSD_PS3_PT2_iSC_SC_,comdat
	.protected	_Z39paged_attention_ll4mi_QKV_mfma16_kernelIDF16_hLN4vllm18Fp8KVCacheDataTypeE1EDF16_Li16ELi128ELi256ELb0ELi4EL8MFMAType1EEvPKT_PKT0_S8_ifPKiSA_SA_iPKfiiiPfSD_PS3_PT2_iSC_SC_ ; -- Begin function _Z39paged_attention_ll4mi_QKV_mfma16_kernelIDF16_hLN4vllm18Fp8KVCacheDataTypeE1EDF16_Li16ELi128ELi256ELb0ELi4EL8MFMAType1EEvPKT_PKT0_S8_ifPKiSA_SA_iPKfiiiPfSD_PS3_PT2_iSC_SC_
	.globl	_Z39paged_attention_ll4mi_QKV_mfma16_kernelIDF16_hLN4vllm18Fp8KVCacheDataTypeE1EDF16_Li16ELi128ELi256ELb0ELi4EL8MFMAType1EEvPKT_PKT0_S8_ifPKiSA_SA_iPKfiiiPfSD_PS3_PT2_iSC_SC_
	.p2align	8
	.type	_Z39paged_attention_ll4mi_QKV_mfma16_kernelIDF16_hLN4vllm18Fp8KVCacheDataTypeE1EDF16_Li16ELi128ELi256ELb0ELi4EL8MFMAType1EEvPKT_PKT0_S8_ifPKiSA_SA_iPKfiiiPfSD_PS3_PT2_iSC_SC_,@function
_Z39paged_attention_ll4mi_QKV_mfma16_kernelIDF16_hLN4vllm18Fp8KVCacheDataTypeE1EDF16_Li16ELi128ELi256ELb0ELi4EL8MFMAType1EEvPKT_PKT0_S8_ifPKiSA_SA_iPKfiiiPfSD_PS3_PT2_iSC_SC_: ; @_Z39paged_attention_ll4mi_QKV_mfma16_kernelIDF16_hLN4vllm18Fp8KVCacheDataTypeE1EDF16_Li16ELi128ELi256ELb0ELi4EL8MFMAType1EEvPKT_PKT0_S8_ifPKiSA_SA_iPKfiiiPfSD_PS3_PT2_iSC_SC_
; %bb.0:
	s_load_b64 s[4:5], s[0:1], 0x30
	s_mov_b32 s30, s13
	s_waitcnt lgkmcnt(0)
	s_cmp_lg_u64 s[4:5], 0
	s_cselect_b32 s13, -1, 0
	s_ashr_i32 s31, s30, 31
	s_cmp_eq_u64 s[4:5], 0
	s_cbranch_scc1 .LBB1009_3
; %bb.1:
	s_lshl_b64 s[2:3], s[30:31], 2
	s_delay_alu instid0(SALU_CYCLE_1) | instskip(SKIP_4) | instid1(SALU_CYCLE_1)
	s_add_u32 s2, s4, s2
	s_addc_u32 s3, s5, s3
	s_load_b64 s[2:3], s[2:3], 0x0
	s_waitcnt lgkmcnt(0)
	s_sub_i32 s2, s3, s2
	s_cmp_eq_u32 s2, 1
	s_cselect_b32 s2, -1, 0
	s_delay_alu instid0(SALU_CYCLE_1)
	s_and_not1_b32 vcc_lo, exec_lo, s2
	s_cbranch_vccz .LBB1009_4
.LBB1009_2:
	s_endpgm
.LBB1009_3:
.LBB1009_4:
	s_load_b64 s[2:3], s[0:1], 0x28
	s_lshl_b64 s[6:7], s[30:31], 2
	s_waitcnt lgkmcnt(0)
	s_add_u32 s2, s2, s6
	s_addc_u32 s3, s3, s7
	s_lshl_b32 s12, s14, 8
	s_load_b32 s17, s[2:3], 0x0
	s_waitcnt lgkmcnt(0)
	s_cmp_ge_i32 s12, s17
	s_cbranch_scc1 .LBB1009_2
; %bb.5:
	s_clause 0x1
	s_load_b128 s[8:11], s[0:1], 0x8
	s_load_b64 s[2:3], s[0:1], 0x20
	s_and_not1_b32 vcc_lo, exec_lo, s13
	s_cbranch_vccnz .LBB1009_7
; %bb.6:
	s_add_u32 s4, s4, s6
	s_addc_u32 s5, s5, s7
	s_load_b32 s13, s[4:5], 0x0
	s_branch .LBB1009_8
.LBB1009_7:
	s_mov_b32 s13, s30
.LBB1009_8:
	s_load_b128 s[4:7], s[0:1], 0x48
	v_and_b32_e32 v69, 15, v0
	v_lshrrev_b32_e32 v68, 5, v0
	v_and_b32_e32 v70, 31, v0
	v_and_b32_e32 v67, 1, v0
	v_bfe_u32 v66, v0, 4, 1
	v_lshlrev_b32_e32 v1, 3, v69
	s_lshl_b32 s31, s15, 2
	s_waitcnt lgkmcnt(0)
	s_mov_b32 s7, exec_lo
	s_delay_alu instid0(VALU_DEP_1)
	v_lshlrev_b32_e32 v65, 1, v1
	v_cmpx_gt_u32_e32 64, v0
	s_cbranch_execz .LBB1009_10
; %bb.9:
	v_lshl_or_b32 v5, v68, 1, v66
	s_load_b64 s[18:19], s[0:1], 0x0
	s_mul_hi_i32 s21, s13, s4
	s_mul_i32 s20, s13, s4
	v_lshlrev_b32_e32 v6, 10, v69
	v_or_b32_e32 v1, s31, v5
	s_lshl_b64 s[20:21], s[20:21], 1
	v_lshlrev_b32_e32 v5, 6, v5
	v_lshlrev_b32_e32 v7, 10, v67
	v_and_b32_e32 v6, 0x3800, v6
	v_lshlrev_b32_e32 v1, 7, v1
	s_delay_alu instid0(VALU_DEP_2) | instskip(NEXT) | instid1(VALU_DEP_2)
	v_or3_b32 v5, v6, v7, v5
	v_ashrrev_i32_e32 v2, 31, v1
	s_delay_alu instid0(VALU_DEP_1) | instskip(SKIP_3) | instid1(VALU_DEP_1)
	v_lshlrev_b64 v[1:2], 1, v[1:2]
	s_waitcnt lgkmcnt(0)
	s_add_u32 s4, s18, s20
	s_addc_u32 s13, s19, s21
	v_add_co_u32 v1, vcc_lo, s4, v1
	s_delay_alu instid0(VALU_DEP_2) | instskip(NEXT) | instid1(VALU_DEP_2)
	v_add_co_ci_u32_e32 v2, vcc_lo, s13, v2, vcc_lo
	v_add_co_u32 v1, vcc_lo, v1, v65
	s_delay_alu instid0(VALU_DEP_2)
	v_add_co_ci_u32_e32 v2, vcc_lo, 0, v2, vcc_lo
	global_load_b128 v[1:4], v[1:2], off
	s_waitcnt vmcnt(0)
	ds_store_b128 v5, v[1:4]
.LBB1009_10:
	s_or_b32 exec_lo, exec_lo, s7
	v_and_b32_e32 v1, 0xef, v0
	s_add_i32 s4, s17, 15
	s_clause 0x1
	s_load_b32 s7, s[0:1], 0x38
	s_load_b32 s33, s[0:1], 0x98
	s_ashr_i32 s13, s4, 31
	v_add_nc_u32_e32 v1, s12, v1
	s_lshr_b32 s13, s13, 28
	s_load_b32 s18, s[0:1], 0x1c
	s_add_i32 s4, s4, s13
	s_waitcnt lgkmcnt(0)
	v_ashrrev_i32_e32 v2, 31, v1
	v_or_b32_e32 v3, 16, v1
	s_ashr_i32 s4, s4, 4
	v_cmp_gt_i32_e32 vcc_lo, s17, v1
	s_add_i32 s4, s4, -1
	v_lshrrev_b32_e32 v2, 28, v2
	s_barrier
	buffer_gl0_inv
	s_mul_i32 s15, s15, s6
	v_add_nc_u32_e32 v4, v1, v2
	s_mul_i32 s20, s30, s7
	s_delay_alu instid0(SALU_CYCLE_1) | instskip(NEXT) | instid1(VALU_DEP_1)
	s_ashr_i32 s21, s20, 31
	v_ashrrev_i32_e32 v4, 4, v4
	v_add_nc_u32_e32 v2, v3, v2
	s_lshl_b64 s[20:21], s[20:21], 2
	s_delay_alu instid0(SALU_CYCLE_1) | instskip(NEXT) | instid1(VALU_DEP_2)
	s_add_u32 s13, s2, s20
	v_cndmask_b32_e32 v1, s4, v4, vcc_lo
	s_delay_alu instid0(VALU_DEP_2)
	v_ashrrev_i32_e32 v2, 4, v2
	v_cmp_gt_i32_e32 vcc_lo, s17, v3
	s_addc_u32 s16, s3, s21
	s_ashr_i32 s19, s15, 31
	s_add_u32 s26, s8, s15
	s_addc_u32 s27, s9, s19
	v_cndmask_b32_e32 v3, s4, v2, vcc_lo
	v_ashrrev_i32_e32 v2, 31, v1
	s_lshl_b32 s2, s14, 4
	s_delay_alu instid0(SALU_CYCLE_1) | instskip(NEXT) | instid1(VALU_DEP_2)
	s_ashr_i32 s3, s2, 31
	v_ashrrev_i32_e32 v4, 31, v3
	s_delay_alu instid0(VALU_DEP_2) | instskip(SKIP_1) | instid1(SALU_CYCLE_1)
	v_lshlrev_b64 v[1:2], 2, v[1:2]
	s_lshl_b64 s[2:3], s[2:3], 2
	s_add_u32 s2, s13, s2
	s_delay_alu instid0(VALU_DEP_2) | instskip(SKIP_1) | instid1(VALU_DEP_2)
	v_lshlrev_b64 v[3:4], 2, v[3:4]
	s_addc_u32 s3, s16, s3
	v_add_co_u32 v1, vcc_lo, s13, v1
	v_add_co_ci_u32_e32 v2, vcc_lo, s16, v2, vcc_lo
	s_delay_alu instid0(VALU_DEP_3) | instskip(NEXT) | instid1(VALU_DEP_4)
	v_add_co_u32 v3, vcc_lo, s13, v3
	v_add_co_ci_u32_e32 v4, vcc_lo, s16, v4, vcc_lo
	s_clause 0x1
	global_load_b32 v5, v[1:2], off
	global_load_b32 v3, v[3:4], off
	s_or_b32 s6, s12, 32
	s_delay_alu instid0(SALU_CYCLE_1) | instskip(SKIP_2) | instid1(SALU_CYCLE_1)
	s_ashr_i32 s7, s6, 4
	s_cmp_lt_i32 s6, s17
	s_cselect_b32 s6, s7, s4
	s_ashr_i32 s7, s6, 31
	s_delay_alu instid0(SALU_CYCLE_1) | instskip(NEXT) | instid1(SALU_CYCLE_1)
	s_lshl_b64 s[6:7], s[6:7], 2
	s_add_u32 s6, s13, s6
	s_addc_u32 s7, s16, s7
	s_or_b32 s8, s12, 64
	s_delay_alu instid0(SALU_CYCLE_1) | instskip(SKIP_2) | instid1(SALU_CYCLE_1)
	s_ashr_i32 s9, s8, 4
	s_cmp_lt_i32 s8, s17
	s_cselect_b32 s8, s9, s4
	s_ashr_i32 s9, s8, 31
	s_delay_alu instid0(SALU_CYCLE_1) | instskip(NEXT) | instid1(SALU_CYCLE_1)
	s_lshl_b64 s[8:9], s[8:9], 2
	s_add_u32 s8, s13, s8
	s_addc_u32 s9, s16, s9
	s_or_b32 s20, s12, 0x60
	s_delay_alu instid0(SALU_CYCLE_1) | instskip(SKIP_2) | instid1(SALU_CYCLE_1)
	s_ashr_i32 s21, s20, 4
	s_cmp_lt_i32 s20, s17
	s_cselect_b32 s20, s21, s4
	s_ashr_i32 s21, s20, 31
	s_delay_alu instid0(SALU_CYCLE_1) | instskip(NEXT) | instid1(SALU_CYCLE_1)
	s_lshl_b64 s[20:21], s[20:21], 2
	s_add_u32 s20, s13, s20
	s_addc_u32 s21, s16, s21
	s_or_b32 s22, s12, 0x80
	s_delay_alu instid0(SALU_CYCLE_1) | instskip(SKIP_2) | instid1(SALU_CYCLE_1)
	s_ashr_i32 s23, s22, 4
	s_cmp_lt_i32 s22, s17
	s_cselect_b32 s22, s23, s4
	s_ashr_i32 s23, s22, 31
	s_delay_alu instid0(SALU_CYCLE_1) | instskip(NEXT) | instid1(SALU_CYCLE_1)
	s_lshl_b64 s[22:23], s[22:23], 2
	s_add_u32 s22, s13, s22
	s_addc_u32 s23, s16, s23
	s_or_b32 s24, s12, 0xa0
	s_delay_alu instid0(SALU_CYCLE_1) | instskip(SKIP_2) | instid1(SALU_CYCLE_1)
	s_ashr_i32 s25, s24, 4
	s_cmp_lt_i32 s24, s17
	s_cselect_b32 s24, s25, s4
	s_ashr_i32 s25, s24, 31
	s_delay_alu instid0(SALU_CYCLE_1) | instskip(NEXT) | instid1(SALU_CYCLE_1)
	s_lshl_b64 s[24:25], s[24:25], 2
	s_add_u32 s24, s13, s24
	s_addc_u32 s25, s16, s25
	s_clause 0x5
	s_load_b32 s28, s[2:3], 0x0
	s_load_b32 s29, s[6:7], 0x0
	;; [unrolled: 1-line block ×6, first 2 shown]
	s_mov_b32 s20, 0
	s_or_b32 s2, s12, 0xc0
	s_mov_b32 s21, s20
	s_mov_b32 s22, s20
	;; [unrolled: 1-line block ×5, first 2 shown]
	v_lshlrev_b32_e32 v1, 4, v0
	s_ashr_i32 s3, s2, 4
	s_cmp_lt_i32 s2, s17
	s_cselect_b32 s2, s3, s4
	s_delay_alu instid0(VALU_DEP_1) | instskip(SKIP_1) | instid1(SALU_CYCLE_1)
	v_and_b32_e32 v1, 0xf0, v1
	s_ashr_i32 s3, s2, 31
	s_lshl_b64 s[2:3], s[2:3], 2
	s_delay_alu instid0(VALU_DEP_1) | instskip(NEXT) | instid1(VALU_DEP_1)
	v_add_co_u32 v1, s26, s26, v1
	v_add_co_ci_u32_e64 v2, null, s27, 0, s26
	s_add_u32 s2, s13, s2
	s_addc_u32 s3, s16, s3
	s_or_b32 s6, s12, 0xe0
	s_mov_b32 s27, s20
	s_ashr_i32 s7, s6, 4
	s_cmp_lt_i32 s6, s17
	s_mov_b32 s26, s20
	s_cselect_b32 s6, s7, s4
	v_mov_b32_e32 v102, s27
	v_mov_b32_e32 v96, s21
	s_ashr_i32 s7, s6, 31
	v_mov_b32_e32 v101, s26
	s_lshl_b64 s[6:7], s[6:7], 2
	v_dual_mov_b32 v100, s25 :: v_dual_mov_b32 v99, s24
	v_dual_mov_b32 v98, s23 :: v_dual_mov_b32 v97, s22
	v_mov_b32_e32 v95, s20
	s_waitcnt vmcnt(1)
	v_mad_i64_i32 v[33:34], null, v5, s5, v[1:2]
	s_waitcnt vmcnt(0)
	v_mad_i64_i32 v[35:36], null, v3, s5, v[1:2]
	s_clause 0xf
	global_load_b128 v[1:4], v[33:34], off
	global_load_b128 v[5:8], v[33:34], off offset:256
	global_load_b128 v[9:12], v[35:36], off
	global_load_b128 v[13:16], v[35:36], off offset:256
	global_load_b128 v[17:20], v[33:34], off offset:512
	;; [unrolled: 1-line block ×13, first 2 shown]
	v_and_b32_e32 v33, 3, v0
	v_lshlrev_b32_e32 v34, 4, v69
	s_delay_alu instid0(VALU_DEP_2) | instskip(NEXT) | instid1(VALU_DEP_2)
	v_lshlrev_b32_e32 v139, 6, v33
	v_lshl_or_b32 v41, v68, 8, v34
	ds_load_b128 v[33:36], v139
	ds_load_b128 v[37:40], v139 offset:1024
	ds_load_b128 v[103:106], v139 offset:2048
	ds_load_b128 v[107:110], v139 offset:3072
	s_load_b32 s4, s[2:3], 0x0
	s_add_u32 s2, s13, s6
	s_addc_u32 s3, s16, s7
	ds_load_b128 v[111:114], v139 offset:4096
	ds_load_b128 v[115:118], v139 offset:5120
	s_load_b32 s2, s[2:3], 0x0
	s_add_u32 s6, s10, s15
	s_addc_u32 s7, s11, s19
	v_add_co_u32 v127, s6, s6, v41
	s_delay_alu instid0(VALU_DEP_1) | instskip(SKIP_1) | instid1(VALU_DEP_1)
	v_add_co_ci_u32_e64 v128, null, s7, 0, s6
	s_waitcnt lgkmcnt(0)
	v_mad_i64_i32 v[41:42], null, s28, s5, v[127:128]
	v_mad_i64_i32 v[129:130], null, s8, s5, v[127:128]
	;; [unrolled: 1-line block ×7, first 2 shown]
	s_clause 0x3
	global_load_b128 v[49:52], v[41:42], off
	global_load_b128 v[53:56], v[41:42], off offset:16
	global_load_b128 v[41:44], v[45:46], off
	global_load_b128 v[45:48], v[45:46], off offset:16
	s_waitcnt vmcnt(18)
	v_wmma_f32_16x16x16_f16 v[119:126], v[1:8], v[33:40], v[95:102]
	s_waitcnt vmcnt(16)
	v_wmma_f32_16x16x16_f16 v[95:102], v[9:16], v[33:40], v[95:102]
	s_clause 0x3
	global_load_b128 v[33:36], v[129:130], off
	global_load_b128 v[37:40], v[129:130], off offset:16
	global_load_b128 v[1:4], v[131:132], off
	global_load_b128 v[5:8], v[131:132], off offset:16
	s_waitcnt vmcnt(18)
	v_wmma_f32_16x16x16_f16 v[119:126], v[17:24], v[103:110], v[119:126]
	s_clause 0x3
	global_load_b128 v[9:12], v[133:134], off
	global_load_b128 v[13:16], v[133:134], off offset:16
	global_load_b128 v[17:20], v[135:136], off
	global_load_b128 v[21:24], v[135:136], off offset:16
	s_waitcnt vmcnt(20)
	v_wmma_f32_16x16x16_f16 v[95:102], v[25:32], v[103:110], v[95:102]
	v_mad_i64_i32 v[103:104], null, s2, s5, v[127:128]
	s_waitcnt vmcnt(18)
	v_wmma_f32_16x16x16_f16 v[119:126], v[57:64], v[111:118], v[119:126]
	s_clause 0x1
	global_load_b128 v[25:28], v[137:138], off
	global_load_b128 v[29:32], v[137:138], off offset:16
	s_waitcnt vmcnt(18)
	v_wmma_f32_16x16x16_f16 v[95:102], v[71:78], v[111:118], v[95:102]
	s_clause 0x1
	global_load_b128 v[57:60], v[103:104], off
	global_load_b128 v[61:64], v[103:104], off offset:16
	ds_load_b128 v[71:74], v139 offset:6144
	ds_load_b128 v[75:78], v139 offset:7168
	v_mbcnt_lo_u32_b32 v104, -1, 0
	s_waitcnt vmcnt(0) lgkmcnt(0)
	s_barrier
	buffer_gl0_inv
	v_xor_b32_e32 v105, 16, v104
	s_delay_alu instid0(VALU_DEP_1) | instskip(SKIP_4) | instid1(VALU_DEP_2)
	v_cmp_gt_i32_e32 vcc_lo, 32, v105
	v_cndmask_b32_e32 v104, v104, v105, vcc_lo
	v_wmma_f32_16x16x16_f16 v[95:102], v[87:94], v[71:78], v[95:102]
	v_and_b32_e32 v103, 0xe0, v0
	v_wmma_f32_16x16x16_f16 v[119:126], v[79:86], v[71:78], v[119:126]
	v_dual_mul_f32 v90, s18, v101 :: v_dual_add_nc_u32 v103, s12, v103
	s_delay_alu instid0(VALU_DEP_2) | instskip(NEXT) | instid1(VALU_DEP_3)
	v_dual_mul_f32 v94, s18, v97 :: v_dual_mul_f32 v87, s18, v120
	v_dual_mul_f32 v88, s18, v119 :: v_dual_mul_f32 v77, s18, v122
	s_delay_alu instid0(VALU_DEP_3) | instskip(SKIP_3) | instid1(VALU_DEP_4)
	v_or_b32_e32 v103, v103, v66
	v_dual_mul_f32 v78, s18, v121 :: v_dual_mul_f32 v75, s18, v124
	v_dual_mul_f32 v76, s18, v123 :: v_dual_mul_f32 v73, s18, v126
	v_mul_f32_e32 v92, s18, v99
	v_or_b32_e32 v105, 2, v103
	v_or_b32_e32 v106, 4, v103
	;; [unrolled: 1-line block ×3, first 2 shown]
	v_cmp_gt_i32_e64 s2, s17, v103
	v_or_b32_e32 v108, 8, v103
	v_cmp_gt_i32_e32 vcc_lo, s17, v105
	v_or_b32_e32 v109, 10, v103
	v_cmp_gt_i32_e64 s3, s17, v106
	v_cndmask_b32_e64 v88, 0xff7fffff, v88, s2
	v_cmp_gt_i32_e64 s4, s17, v107
	v_cndmask_b32_e32 v87, 0xff7fffff, v87, vcc_lo
	v_or_b32_e32 v79, 12, v103
	v_or_b32_e32 v80, 14, v103
	v_cndmask_b32_e64 v78, 0xff7fffff, v78, s3
	v_cndmask_b32_e64 v77, 0xff7fffff, v77, s4
	v_max3_f32 v87, v88, 0xff7fffff, v87
	v_cmp_gt_i32_e64 s5, s17, v108
	v_cmp_gt_i32_e64 s6, s17, v109
	v_or_b32_e32 v81, 16, v103
	v_or_b32_e32 v82, 18, v103
	v_mul_f32_e32 v74, s18, v125
	v_cndmask_b32_e64 v76, 0xff7fffff, v76, s5
	v_cndmask_b32_e64 v75, 0xff7fffff, v75, s6
	v_max3_f32 v77, v87, v78, v77
	v_cmp_gt_i32_e64 s7, s17, v79
	v_cmp_gt_i32_e64 s8, s17, v80
	v_or_b32_e32 v83, 20, v103
	v_or_b32_e32 v84, 22, v103
	;; [unrolled: 1-line block ×6, first 2 shown]
	v_mul_f32_e32 v105, s18, v96
	v_mul_f32_e32 v103, s18, v95
	v_cndmask_b32_e64 v74, 0xff7fffff, v74, s7
	v_cndmask_b32_e64 v73, 0xff7fffff, v73, s8
	v_max3_f32 v75, v77, v76, v75
	v_cmp_gt_i32_e64 s9, s17, v81
	v_cmp_gt_i32_e64 s10, s17, v82
	v_mul_f32_e32 v93, s18, v98
	v_cmp_gt_i32_e64 s11, s17, v83
	v_max3_f32 v73, v75, v74, v73
	v_cndmask_b32_e64 v76, 0xff7fffff, v103, s9
	v_cndmask_b32_e64 v77, 0xff7fffff, v105, s10
	v_cmp_gt_i32_e64 s12, s17, v84
	v_mul_f32_e32 v91, s18, v100
	v_cndmask_b32_e64 v74, 0xff7fffff, v94, s11
	v_cmp_gt_i32_e64 s13, s17, v85
	v_max3_f32 v73, v73, v76, v77
	v_cndmask_b32_e64 v75, 0xff7fffff, v93, s12
	v_cmp_gt_i32_e64 s15, s17, v86
	v_mul_f32_e32 v89, s18, v102
	v_cndmask_b32_e64 v76, 0xff7fffff, v92, s13
	v_cmp_gt_i32_e64 s16, s17, v71
	v_max3_f32 v73, v73, v74, v75
	v_cndmask_b32_e64 v77, 0xff7fffff, v91, s15
	v_cmp_gt_i32_e64 s17, s17, v72
	v_lshlrev_b32_e32 v74, 2, v104
	v_cndmask_b32_e64 v71, 0xff7fffff, v90, s16
	s_delay_alu instid0(VALU_DEP_4) | instskip(NEXT) | instid1(VALU_DEP_4)
	v_max3_f32 v73, v73, v76, v77
	v_cndmask_b32_e64 v72, 0xff7fffff, v89, s17
	s_delay_alu instid0(VALU_DEP_1) | instskip(SKIP_3) | instid1(VALU_DEP_1)
	v_max3_f32 v71, v73, v71, v72
	ds_bpermute_b32 v72, v74, v71
	s_waitcnt lgkmcnt(0)
	v_max_f32_e32 v72, v72, v72
	v_max_f32_e32 v71, v71, v72
	s_delay_alu instid0(VALU_DEP_1)
	v_fma_f32 v72, s18, v119, -v71
	v_fma_f32 v76, s18, v122, -v71
	;; [unrolled: 1-line block ×5, first 2 shown]
	v_mul_f32_e32 v72, 0x3fb8aa3b, v72
	v_mul_f32_e32 v76, 0x3fb8aa3b, v76
	v_fma_f32 v75, s18, v121, -v71
	v_mul_f32_e32 v79, 0x3fb8aa3b, v77
	v_mul_f32_e32 v87, 0x3fb8aa3b, v86
	v_exp_f32_e32 v72, v72
	v_exp_f32_e32 v76, v76
	v_fma_f32 v81, s18, v125, -v71
	v_exp_f32_e32 v82, v79
	v_exp_f32_e32 v87, v87
	v_fma_f32 v84, s18, v96, -v71
	s_delay_alu instid0(VALU_DEP_2) | instskip(SKIP_3) | instid1(TRANS32_DEP_3)
	v_mul_f32_e32 v81, 0x3fb8aa3b, v81
	v_cndmask_b32_e64 v78, 0, v72, s2
	v_fma_f32 v72, s18, v124, -v71
	v_mul_f32_e32 v73, 0x3fb8aa3b, v73
	v_cndmask_b32_e64 v79, 0, v76, s4
	v_fma_f32 v76, s18, v95, -v71
	s_delay_alu instid0(VALU_DEP_4) | instskip(NEXT) | instid1(VALU_DEP_4)
	v_dual_mul_f32 v75, 0x3fb8aa3b, v75 :: v_dual_mul_f32 v72, 0x3fb8aa3b, v72
	v_exp_f32_e32 v73, v73
	v_cndmask_b32_e64 v87, 0, v87, s12
	s_delay_alu instid0(VALU_DEP_3) | instskip(NEXT) | instid1(VALU_DEP_3)
	v_mul_f32_e32 v76, 0x3fb8aa3b, v76
	v_exp_f32_e32 v75, v75
	v_exp_f32_e32 v72, v72
	;; [unrolled: 1-line block ×3, first 2 shown]
	v_cndmask_b32_e64 v82, 0, v82, s5
	v_mul_f32_e32 v85, 0x3fb8aa3b, v84
	v_exp_f32_e32 v76, v76
	s_mov_b32 s2, exec_lo
	v_cndmask_b32_e32 v77, 0, v73, vcc_lo
	v_add_f32_e32 v73, 0, v78
	v_exp_f32_e32 v85, v85
	v_cndmask_b32_e64 v80, 0, v75, s3
	v_fma_f32 v75, s18, v126, -v71
	v_cndmask_b32_e64 v81, 0, v72, s6
	v_add_f32_e32 v73, v73, v77
	v_cndmask_b32_e64 v84, 0, v83, s7
	v_cndmask_b32_e64 v86, 0, v76, s9
	v_mul_f32_e32 v75, 0x3fb8aa3b, v75
	s_delay_alu instid0(VALU_DEP_4) | instskip(NEXT) | instid1(TRANS32_DEP_1)
	v_add_f32_e32 v73, v73, v80
	v_cndmask_b32_e64 v85, 0, v85, s10
	s_delay_alu instid0(VALU_DEP_3) | instskip(NEXT) | instid1(VALU_DEP_2)
	v_exp_f32_e32 v75, v75
	v_add_f32_e32 v73, v73, v79
	s_delay_alu instid0(VALU_DEP_1) | instskip(SKIP_3) | instid1(VALU_DEP_1)
	v_add_f32_e32 v72, v73, v82
	s_waitcnt_depctr 0xfff
	v_cndmask_b32_e64 v83, 0, v75, s8
	v_add_f32_e32 v72, v72, v81
	v_add_f32_e32 v72, v72, v84
	s_delay_alu instid0(VALU_DEP_1) | instskip(NEXT) | instid1(VALU_DEP_1)
	v_add_f32_e32 v72, v72, v83
	v_add_f32_e32 v72, v72, v86
	s_delay_alu instid0(VALU_DEP_1) | instskip(SKIP_4) | instid1(VALU_DEP_4)
	v_add_f32_e32 v72, v72, v85
	v_fma_f32 v73, s18, v97, -v71
	v_fma_f32 v75, s18, v99, -v71
	;; [unrolled: 1-line block ×4, first 2 shown]
	v_mul_f32_e32 v73, 0x3fb8aa3b, v73
	s_delay_alu instid0(VALU_DEP_3) | instskip(NEXT) | instid1(VALU_DEP_2)
	v_dual_mul_f32 v75, 0x3fb8aa3b, v75 :: v_dual_mul_f32 v76, 0x3fb8aa3b, v76
	v_exp_f32_e32 v73, v73
	s_delay_alu instid0(VALU_DEP_1) | instskip(NEXT) | instid1(VALU_DEP_1)
	v_exp_f32_e32 v75, v75
	v_exp_f32_e32 v76, v76
	s_delay_alu instid0(TRANS32_DEP_3)
	v_cndmask_b32_e64 v88, 0, v73, s11
	v_mul_f32_e32 v73, 0x3fb8aa3b, v89
	v_fma_f32 v89, s18, v102, -v71
	s_waitcnt_depctr 0xfff
	v_cndmask_b32_e64 v90, 0, v75, s13
	v_add_f32_e32 v72, v72, v88
	v_exp_f32_e32 v73, v73
	v_mul_f32_e32 v75, 0x3fb8aa3b, v89
	v_cndmask_b32_e64 v89, 0, v76, s15
	s_delay_alu instid0(VALU_DEP_3) | instskip(NEXT) | instid1(VALU_DEP_3)
	v_add_f32_e32 v72, v72, v87
	v_exp_f32_e32 v75, v75
	s_delay_alu instid0(VALU_DEP_1) | instskip(SKIP_4) | instid1(VALU_DEP_2)
	v_add_f32_e32 v72, v72, v90
	s_waitcnt_depctr 0xfff
	v_cndmask_b32_e64 v92, 0, v73, s16
	v_add_f32_e32 v72, v72, v89
	v_cndmask_b32_e64 v91, 0, v75, s17
	v_add_f32_e32 v72, v72, v92
	s_delay_alu instid0(VALU_DEP_1)
	v_add_f32_e32 v72, v72, v91
	ds_bpermute_b32 v73, v74, v72
	v_cmpx_gt_u32_e32 16, v70
	s_cbranch_execz .LBB1009_12
; %bb.11:
	v_mul_u32_u24_e32 v70, 0x44, v68
	s_waitcnt lgkmcnt(0)
	v_add_f32_e32 v72, v72, v73
	s_delay_alu instid0(VALU_DEP_2) | instskip(NEXT) | instid1(VALU_DEP_1)
	v_lshl_add_u32 v70, v69, 2, v70
	v_add_nc_u32_e32 v70, 0x4000, v70
	ds_store_2addr_b32 v70, v71, v72 offset1:136
.LBB1009_12:
	s_or_b32 exec_lo, exec_lo, s2
	v_lshlrev_b32_e32 v70, 2, v69
	s_load_b32 s34, s[0:1], 0x94
	s_waitcnt lgkmcnt(0)
	s_barrier
	buffer_gl0_inv
	v_add_nc_u32_e32 v74, 0x4000, v70
	v_cmp_eq_u32_e32 vcc_lo, 1, v68
	v_cmp_eq_u32_e64 s2, 2, v68
	v_cmp_eq_u32_e64 s3, 3, v68
	;; [unrolled: 1-line block ×3, first 2 shown]
	ds_load_2addr_b32 v[70:71], v74 offset1:17
	ds_load_2addr_b32 v[72:73], v74 offset0:34 offset1:51
	ds_load_2addr_b32 v[93:94], v74 offset0:68 offset1:85
	;; [unrolled: 1-line block ×3, first 2 shown]
	v_cmp_eq_u32_e64 s5, 5, v68
	v_cmp_eq_u32_e64 s6, 7, v68
	s_waitcnt lgkmcnt(3)
	v_max3_f32 v75, v70, 0xff7fffff, v71
	s_waitcnt lgkmcnt(2)
	s_delay_alu instid0(VALU_DEP_1) | instskip(SKIP_1) | instid1(VALU_DEP_1)
	v_max3_f32 v75, v75, v72, v73
	s_waitcnt lgkmcnt(1)
	v_max3_f32 v75, v75, v93, v94
	s_waitcnt lgkmcnt(0)
	s_delay_alu instid0(VALU_DEP_1) | instskip(NEXT) | instid1(VALU_DEP_1)
	v_max3_f32 v75, v75, v95, v96
	v_sub_f32_e32 v93, v93, v75
	ds_load_2addr_b32 v[97:98], v74 offset0:136 offset1:153
	v_sub_f32_e32 v70, v70, v75
	v_dual_sub_f32 v100, v73, v75 :: v_dual_mul_f32 v103, 0x3fb8aa3b, v93
	s_delay_alu instid0(VALU_DEP_2) | instskip(SKIP_3) | instid1(VALU_DEP_1)
	v_dual_sub_f32 v76, v71, v75 :: v_dual_mul_f32 v99, 0x3fb8aa3b, v70
	ds_load_2addr_b32 v[70:71], v74 offset0:170 offset1:187
	v_mul_f32_e32 v76, 0x3fb8aa3b, v76
	v_exp_f32_e32 v99, v99
	v_exp_f32_e32 v102, v76
	v_mul_f32_e32 v100, 0x3fb8aa3b, v100
	s_waitcnt lgkmcnt(1)
	s_waitcnt_depctr 0xfff
	v_fma_f32 v76, v99, v97, 0
	v_sub_f32_e32 v97, v94, v75
	v_sub_f32_e32 v72, v72, v75
	v_exp_f32_e32 v100, v100
	ds_load_2addr_b32 v[93:94], v74 offset0:238 offset1:255
	v_dual_fmac_f32 v76, v102, v98 :: v_dual_mul_f32 v101, 0x3fb8aa3b, v72
	ds_load_2addr_b32 v[72:73], v74 offset0:204 offset1:221
	v_dual_sub_f32 v74, v95, v75 :: v_dual_mul_f32 v95, 0x3fb8aa3b, v97
	v_exp_f32_e32 v97, v103
	v_exp_f32_e32 v101, v101
	s_waitcnt lgkmcnt(0)
	s_barrier
	v_exp_f32_e32 v95, v95
	buffer_gl0_inv
	v_fmac_f32_e32 v76, v101, v70
	v_sub_f32_e32 v70, v96, v75
	s_delay_alu instid0(VALU_DEP_2) | instskip(NEXT) | instid1(VALU_DEP_2)
	v_fmac_f32_e32 v76, v100, v71
	v_mul_f32_e32 v70, 0x3fb8aa3b, v70
	s_delay_alu instid0(VALU_DEP_2)
	v_dual_cndmask_b32 v71, v99, v102 :: v_dual_fmac_f32 v76, v97, v72
	v_lshlrev_b32_e32 v72, 6, v69
	v_lshlrev_b32_e32 v69, 2, v66
	v_mul_f32_e32 v74, 0x3fb8aa3b, v74
	v_exp_f32_e32 v98, v70
	v_fmac_f32_e32 v76, v95, v73
	s_delay_alu instid0(VALU_DEP_3) | instskip(NEXT) | instid1(VALU_DEP_3)
	v_cmp_eq_u32_e64 s7, 7, v69
	v_exp_f32_e32 v96, v74
	v_lshl_or_b32 v74, v68, 11, v72
	s_waitcnt_depctr 0xfff
	v_fmac_f32_e32 v76, v96, v93
	s_delay_alu instid0(VALU_DEP_1) | instskip(NEXT) | instid1(VALU_DEP_1)
	v_fmac_f32_e32 v76, v98, v94
	v_add_f32_e32 v73, 0x358637bd, v76
	s_delay_alu instid0(VALU_DEP_1) | instskip(SKIP_1) | instid1(VALU_DEP_2)
	v_div_scale_f32 v93, null, v73, v73, 1.0
	v_div_scale_f32 v99, vcc_lo, 1.0, v73, 1.0
	v_rcp_f32_e32 v94, v93
	s_waitcnt_depctr 0xfff
	v_fma_f32 v70, -v93, v94, 1.0
	s_delay_alu instid0(VALU_DEP_1)
	v_fmac_f32_e32 v94, v70, v94
	v_cndmask_b32_e64 v70, v71, v101, s2
	v_cmp_eq_u32_e64 s2, 6, v68
	v_or_b32_e32 v71, 1, v69
	v_or_b32_e32 v68, 2, v69
	v_mul_f32_e32 v101, v99, v94
	v_cndmask_b32_e64 v70, v70, v100, s3
	v_cmp_eq_u32_e64 s3, 1, v69
	v_cmp_eq_u32_e64 s8, 1, v71
	;; [unrolled: 1-line block ×3, first 2 shown]
	v_fma_f32 v100, -v93, v101, v99
	v_cndmask_b32_e64 v70, v70, v97, s4
	v_cmp_eq_u32_e64 s4, 2, v69
	v_cmp_eq_u32_e64 s11, 2, v71
	;; [unrolled: 1-line block ×3, first 2 shown]
	v_fmac_f32_e32 v101, v100, v94
	v_cndmask_b32_e64 v95, v70, v95, s5
	v_or_b32_e32 v70, 3, v69
	v_cmp_eq_u32_e64 s12, 3, v71
	v_cmp_eq_u32_e64 s16, 3, v68
	v_fma_f32 v93, -v93, v101, v99
	v_cndmask_b32_e64 v95, v95, v96, s2
	v_cmp_eq_u32_e64 s10, 1, v70
	v_cmp_eq_u32_e64 s15, 2, v70
	;; [unrolled: 1-line block ×3, first 2 shown]
	v_div_fmas_f32 v93, v93, v94, v101
	v_cndmask_b32_e64 v94, v95, v98, s6
	v_cmp_eq_u32_e32 vcc_lo, 3, v69
	v_cmp_eq_u32_e64 s2, 4, v69
	v_cmp_eq_u32_e64 s18, 4, v71
	v_div_fixup_f32 v93, v93, v73, 1.0
	v_lshl_or_b32 v73, v66, 4, v74
	v_cmp_eq_u32_e64 s21, 4, v70
	v_cmp_eq_u32_e64 s5, 5, v69
	;; [unrolled: 1-line block ×3, first 2 shown]
	v_mul_f32_e32 v101, v94, v93
	v_cmp_eq_u32_e64 s20, 4, v68
	v_cmp_eq_u32_e64 s23, 5, v70
	;; [unrolled: 1-line block ×4, first 2 shown]
	v_fma_mixlo_f16 v93, v101, v78, 0
	v_fma_mixlo_f16 v94, v101, v80, 0
	;; [unrolled: 1-line block ×8, first 2 shown]
	v_fma_mixhi_f16 v93, v101, v77, 0
	v_fma_mixhi_f16 v94, v101, v79, 0
	;; [unrolled: 1-line block ×8, first 2 shown]
	ds_store_b128 v73, v[93:96]
	ds_store_b128 v73, v[97:100] offset:1024
	s_waitcnt lgkmcnt(0)
	s_barrier
	buffer_gl0_inv
	ds_load_b128 v[77:80], v74
	ds_load_b128 v[81:84], v74 offset:16
	ds_load_b128 v[85:88], v74 offset:1024
	;; [unrolled: 1-line block ×3, first 2 shown]
	v_cmp_eq_u32_e64 s26, 6, v70
	v_cmp_eq_u32_e64 s6, 6, v69
	;; [unrolled: 1-line block ×6, first 2 shown]
	s_waitcnt lgkmcnt(3)
	v_lshrrev_b32_e32 v93, 16, v77
	s_waitcnt lgkmcnt(2)
	v_lshrrev_b32_e32 v97, 16, v81
	s_waitcnt lgkmcnt(1)
	v_lshrrev_b32_e32 v101, 16, v85
	s_waitcnt lgkmcnt(0)
	v_lshrrev_b32_e32 v105, 16, v89
	v_lshrrev_b32_e32 v94, 16, v78
	v_cndmask_b32_e64 v109, v77, v93, s3
	v_cndmask_b32_e64 v110, v81, v97, s3
	;; [unrolled: 1-line block ×8, first 2 shown]
	v_lshrrev_b32_e32 v98, 16, v82
	v_cndmask_b32_e64 v93, v85, v101, s3
	v_cndmask_b32_e64 v97, v89, v105, s3
	v_cndmask_b32_e64 v115, v85, v101, s8
	v_cndmask_b32_e64 v116, v89, v105, s8
	v_cndmask_b32_e64 v117, v85, v101, s9
	v_cndmask_b32_e64 v118, v89, v105, s9
	v_cndmask_b32_e64 v85, v85, v101, s10
	v_cndmask_b32_e64 v89, v89, v105, s10
	v_cndmask_b32_e64 v101, v109, v78, s4
	v_cndmask_b32_e64 v105, v110, v82, s4
	v_cndmask_b32_e64 v109, v111, v78, s11
	v_cndmask_b32_e64 v110, v112, v82, s11
	v_cndmask_b32_e64 v111, v113, v78, s13
	v_cndmask_b32_e64 v77, v77, v78, s15
	v_cndmask_b32_e64 v78, v81, v82, s15
	v_lshrrev_b32_e32 v102, 16, v86
	v_lshrrev_b32_e32 v106, 16, v90
	v_cndmask_b32_e64 v112, v114, v82, s13
	v_cndmask_b32_e64 v81, v93, v86, s4
	;; [unrolled: 1-line block ×7, first 2 shown]
	v_cndmask_b32_e32 v89, v101, v94, vcc_lo
	v_cndmask_b32_e32 v101, v105, v98, vcc_lo
	v_cndmask_b32_e64 v105, v109, v94, s12
	v_cndmask_b32_e64 v109, v110, v98, s12
	;; [unrolled: 1-line block ×4, first 2 shown]
	v_lshrrev_b32_e32 v95, 16, v79
	v_lshrrev_b32_e32 v99, 16, v83
	v_cndmask_b32_e64 v110, v111, v94, s16
	v_cndmask_b32_e64 v111, v112, v98, s16
	v_cndmask_b32_e32 v81, v81, v102, vcc_lo
	v_cndmask_b32_e32 v82, v82, v106, vcc_lo
	v_cndmask_b32_e64 v93, v93, v102, s12
	v_cndmask_b32_e64 v89, v89, v79, s2
	;; [unrolled: 1-line block ×7, first 2 shown]
	v_lshrrev_b32_e32 v103, 16, v87
	v_cndmask_b32_e64 v105, v110, v79, s20
	v_cndmask_b32_e64 v109, v111, v83, s20
	;; [unrolled: 1-line block ×11, first 2 shown]
	v_lshrrev_b32_e32 v96, 16, v80
	v_lshrrev_b32_e32 v100, 16, v84
	v_cndmask_b32_e64 v98, v105, v95, s22
	v_cndmask_b32_e64 v101, v109, v99, s22
	;; [unrolled: 1-line block ×7, first 2 shown]
	v_lshrrev_b32_e32 v104, 16, v88
	v_cndmask_b32_e64 v79, v79, v103, s5
	v_cndmask_b32_e64 v83, v83, v80, s6
	;; [unrolled: 1-line block ×16, first 2 shown]
	v_perm_b32 v80, v78, v77, 0x5040100
	v_perm_b32 v78, v94, v84, 0x5040100
	v_cndmask_b32_e64 v77, v118, v90, s13
	v_cndmask_b32_e64 v84, v116, v90, s11
	;; [unrolled: 1-line block ×3, first 2 shown]
	v_perm_b32 v79, v93, v89, 0x5040100
	v_cndmask_b32_e64 v89, v97, v102, s16
	v_cndmask_b32_e64 v85, v85, v102, s17
	;; [unrolled: 1-line block ×5, first 2 shown]
	v_lshrrev_b32_e32 v107, 16, v91
	v_cndmask_b32_e64 v89, v89, v87, s20
	v_cndmask_b32_e64 v85, v85, v87, s21
	;; [unrolled: 1-line block ×11, first 2 shown]
	v_lshrrev_b32_e32 v108, 16, v92
	v_cndmask_b32_e64 v81, v81, v92, s6
	v_cndmask_b32_e64 v87, v87, v88, s25
	;; [unrolled: 1-line block ×12, first 2 shown]
	v_perm_b32 v77, v83, v82, 0x5040100
	v_perm_b32 v84, v86, v85, 0x5040100
	;; [unrolled: 1-line block ×5, first 2 shown]
	s_lshl_b32 s7, s33, 2
	s_mov_b32 s2, exec_lo
	ds_store_b128 v73, v[77:80]
	ds_store_b128 v73, v[81:84] offset:1024
	v_cmpx_gt_u32_e32 4, v0
	s_cbranch_execz .LBB1009_14
; %bb.13:
	v_or_b32_e32 v77, s31, v0
	s_load_b128 s[8:11], s[0:1], 0x58
	s_delay_alu instid0(VALU_DEP_1) | instskip(NEXT) | instid1(VALU_DEP_1)
	v_mad_u64_u32 v[78:79], null, s7, s30, v[77:78]
	v_mad_u64_u32 v[79:80], null, v78, s34, s[14:15]
	s_delay_alu instid0(VALU_DEP_1) | instskip(NEXT) | instid1(VALU_DEP_1)
	v_ashrrev_i32_e32 v80, 31, v79
	v_lshlrev_b64 v[77:78], 2, v[79:80]
	s_waitcnt lgkmcnt(0)
	s_delay_alu instid0(VALU_DEP_1) | instskip(NEXT) | instid1(VALU_DEP_2)
	v_add_co_u32 v79, vcc_lo, s10, v77
	v_add_co_ci_u32_e32 v80, vcc_lo, s11, v78, vcc_lo
	v_add_co_u32 v77, vcc_lo, s8, v77
	v_add_co_ci_u32_e32 v78, vcc_lo, s9, v78, vcc_lo
	global_store_b32 v[79:80], v75, off
	global_store_b32 v[77:78], v76, off
.LBB1009_14:
	s_or_b32 exec_lo, exec_lo, s2
	s_waitcnt lgkmcnt(0)
	s_waitcnt_vscnt null, 0x0
	s_barrier
	buffer_gl0_inv
	ds_load_b128 v[83:86], v72
	ds_load_b128 v[87:90], v72 offset:16
	ds_load_b128 v[95:98], v72 offset:2064
	;; [unrolled: 1-line block ×5, first 2 shown]
	v_cmp_eq_u32_e32 vcc_lo, 1, v69
	v_mov_b32_e32 v75, 0
	ds_load_b128 v[111:114], v72 offset:6160
	ds_load_b128 v[107:110], v72 offset:6144
	ds_load_b128 v[119:122], v72 offset:8208
	ds_load_b128 v[115:118], v72 offset:8192
	v_cmp_eq_u32_e64 s3, 1, v68
	v_cmp_eq_u32_e64 s2, 1, v71
	;; [unrolled: 1-line block ×3, first 2 shown]
	v_mov_b32_e32 v76, v75
	v_mov_b32_e32 v77, v75
	v_mov_b32_e32 v78, v75
	v_mov_b32_e32 v79, v75
	v_mov_b32_e32 v80, v75
	v_mov_b32_e32 v81, v75
	v_mov_b32_e32 v82, v75
	v_cmp_eq_u32_e64 s5, 3, v71
	v_cmp_eq_u32_e64 s6, 7, v71
	s_waitcnt lgkmcnt(8)
	s_delay_alu instid0(VALU_DEP_3)
	v_wmma_f32_16x16x16_f16 v[75:82], v[49:56], v[83:90], v[75:82]
	ds_load_b128 v[53:56], v72 offset:10256
	ds_load_b128 v[49:52], v72 offset:10240
	s_waitcnt lgkmcnt(8)
	v_wmma_f32_16x16x16_f16 v[75:82], v[41:48], v[91:98], v[75:82]
	ds_load_b128 v[45:48], v72 offset:12304
	ds_load_b128 v[41:44], v72 offset:12288
	s_waitcnt lgkmcnt(8)
	;; [unrolled: 4-line block ×3, first 2 shown]
	s_barrier
	buffer_gl0_inv
	v_wmma_f32_16x16x16_f16 v[75:82], v[1:8], v[107:114], v[75:82]
	s_delay_alu instid0(VALU_DEP_1) | instskip(NEXT) | instid1(VALU_DEP_1)
	v_wmma_f32_16x16x16_f16 v[75:82], v[9:16], v[115:122], v[75:82]
	v_wmma_f32_16x16x16_f16 v[75:82], v[17:24], v[49:56], v[75:82]
	s_delay_alu instid0(VALU_DEP_1) | instskip(NEXT) | instid1(VALU_DEP_1)
	v_wmma_f32_16x16x16_f16 v[75:82], v[25:32], v[41:48], v[75:82]
	v_wmma_f32_16x16x16_f16 v[75:82], v[57:64], v[33:40], v[75:82]
	s_delay_alu instid0(VALU_DEP_1) | instskip(NEXT) | instid1(VALU_DEP_2)
	v_cvt_f16_f32_e32 v1, v75
	v_cvt_f16_f32_e32 v2, v76
	s_delay_alu instid0(VALU_DEP_3) | instskip(NEXT) | instid1(VALU_DEP_4)
	v_cvt_f16_f32_e32 v3, v77
	v_cvt_f16_f32_e32 v4, v78
	;; [unrolled: 1-line block ×6, first 2 shown]
	v_pack_b32_f16 v1, v1, v2
	v_pack_b32_f16 v2, v3, v4
	;; [unrolled: 1-line block ×3, first 2 shown]
	s_delay_alu instid0(VALU_DEP_4)
	v_pack_b32_f16 v4, v7, v8
	ds_store_b128 v73, v[1:4]
	s_waitcnt lgkmcnt(0)
	s_barrier
	buffer_gl0_inv
	ds_load_b128 v[1:4], v74
	ds_load_b128 v[5:8], v74 offset:16
	s_waitcnt lgkmcnt(1)
	v_lshrrev_b32_e32 v9, 16, v1
	s_waitcnt lgkmcnt(0)
	v_lshrrev_b32_e32 v13, 16, v5
	v_lshrrev_b32_e32 v10, 16, v2
	;; [unrolled: 1-line block ×4, first 2 shown]
	v_cndmask_b32_e32 v17, v1, v9, vcc_lo
	v_cndmask_b32_e32 v18, v5, v13, vcc_lo
	v_cndmask_b32_e64 v21, v1, v9, s3
	v_cmp_eq_u32_e32 vcc_lo, 1, v70
	v_cndmask_b32_e64 v22, v5, v13, s3
	v_cmp_eq_u32_e64 s3, 2, v69
	v_cndmask_b32_e64 v19, v1, v9, s2
	v_cndmask_b32_e64 v20, v5, v13, s2
	v_cndmask_b32_e32 v1, v1, v9, vcc_lo
	v_cmp_eq_u32_e64 s2, 2, v70
	v_cndmask_b32_e32 v5, v5, v13, vcc_lo
	v_cndmask_b32_e64 v9, v17, v2, s3
	v_cmp_eq_u32_e32 vcc_lo, 3, v69
	v_cndmask_b32_e64 v13, v18, v6, s3
	v_cmp_eq_u32_e64 s3, 2, v68
	v_cndmask_b32_e64 v17, v19, v2, s4
	v_cndmask_b32_e64 v18, v20, v6, s4
	v_cmp_eq_u32_e64 s4, 3, v68
	v_cndmask_b32_e64 v1, v1, v2, s2
	v_cndmask_b32_e64 v19, v21, v2, s3
	v_cndmask_b32_e64 v20, v22, v6, s3
	v_cndmask_b32_e64 v2, v5, v6, s2
	v_cndmask_b32_e32 v5, v9, v10, vcc_lo
	v_cndmask_b32_e32 v6, v13, v14, vcc_lo
	v_cmp_eq_u32_e32 vcc_lo, 3, v70
	v_cndmask_b32_e64 v9, v17, v10, s5
	v_cndmask_b32_e64 v13, v18, v14, s5
	;; [unrolled: 1-line block ×3, first 2 shown]
	v_cmp_eq_u32_e64 s3, 4, v69
	v_cndmask_b32_e32 v1, v1, v10, vcc_lo
	v_cndmask_b32_e32 v2, v2, v14, vcc_lo
	v_cmp_eq_u32_e32 vcc_lo, 4, v71
	v_lshrrev_b32_e32 v15, 16, v7
	v_lshrrev_b32_e32 v16, 16, v8
	v_cndmask_b32_e64 v17, v19, v10, s4
	v_cmp_eq_u32_e64 s2, 4, v70
	v_cndmask_b32_e64 v5, v5, v3, s3
	v_cndmask_b32_e64 v6, v6, v7, s3
	v_cndmask_b32_e32 v9, v9, v3, vcc_lo
	v_cmp_eq_u32_e64 s3, 5, v71
	v_cndmask_b32_e32 v10, v13, v7, vcc_lo
	v_cmp_eq_u32_e32 vcc_lo, 4, v68
	v_cmp_eq_u32_e64 s4, 5, v69
	v_cndmask_b32_e64 v2, v2, v7, s2
	v_cndmask_b32_e64 v9, v9, v11, s3
	;; [unrolled: 1-line block ×3, first 2 shown]
	v_cndmask_b32_e32 v13, v17, v3, vcc_lo
	v_cmp_eq_u32_e64 s3, 5, v68
	v_cndmask_b32_e32 v14, v18, v7, vcc_lo
	v_cndmask_b32_e64 v1, v1, v3, s2
	v_cmp_eq_u32_e32 vcc_lo, 5, v70
	v_lshrrev_b32_e32 v12, 16, v4
	v_cndmask_b32_e64 v13, v13, v11, s3
	v_cndmask_b32_e64 v3, v14, v15, s3
	v_cmp_eq_u32_e64 s3, 6, v70
	v_cndmask_b32_e32 v1, v1, v11, vcc_lo
	v_cndmask_b32_e64 v5, v5, v11, s4
	v_cmp_eq_u32_e64 s5, 6, v69
	v_cndmask_b32_e64 v6, v6, v15, s4
	v_cmp_eq_u32_e64 s4, 6, v71
	v_cmp_eq_u32_e64 s2, 6, v68
	v_cndmask_b32_e64 v1, v1, v4, s3
	v_cndmask_b32_e32 v2, v2, v15, vcc_lo
	v_cmp_eq_u32_e32 vcc_lo, 7, v70
	v_cndmask_b32_e64 v5, v5, v4, s5
	v_cndmask_b32_e64 v9, v9, v4, s4
	;; [unrolled: 1-line block ×3, first 2 shown]
	v_cmp_eq_u32_e64 s5, 7, v69
	v_cndmask_b32_e32 v1, v1, v12, vcc_lo
	v_cndmask_b32_e64 v7, v13, v4, s2
	v_cndmask_b32_e64 v3, v3, v8, s2
	;; [unrolled: 1-line block ×3, first 2 shown]
	v_cmp_eq_u32_e64 s2, 7, v68
	v_cndmask_b32_e64 v4, v10, v8, s4
	v_cndmask_b32_e64 v5, v5, v12, s5
	;; [unrolled: 1-line block ×3, first 2 shown]
	v_cndmask_b32_e32 v2, v2, v16, vcc_lo
	v_cndmask_b32_e64 v7, v7, v12, s2
	v_cndmask_b32_e64 v3, v3, v16, s2
	;; [unrolled: 1-line block ×4, first 2 shown]
	v_perm_b32 v4, v2, v1, 0x5040100
	s_mov_b32 s2, exec_lo
	v_perm_b32 v3, v3, v7, 0x5040100
	v_perm_b32 v2, v8, v9, 0x5040100
	;; [unrolled: 1-line block ×3, first 2 shown]
	ds_store_b128 v73, v[1:4]
	s_waitcnt lgkmcnt(0)
	s_barrier
	buffer_gl0_inv
	v_cmpx_gt_u32_e32 32, v0
	s_cbranch_execz .LBB1009_2
; %bb.15:
	s_load_b64 s[0:1], s[0:1], 0x68
	v_lshlrev_b32_e32 v0, 10, v0
	v_or_b32_e32 v1, s31, v66
	s_lshl_b32 s4, s34, 7
	v_lshlrev_b32_e32 v2, 4, v67
	s_mul_i32 s2, s4, s30
	v_lshlrev_b32_e32 v3, 6, v66
	v_mul_lo_u32 v8, v1, s4
	v_and_b32_e32 v0, 0x3800, v0
	v_or_b32_e32 v1, 2, v1
	s_mul_i32 s2, s2, s7
	s_delay_alu instid0(SALU_CYCLE_1) | instskip(NEXT) | instid1(VALU_DEP_2)
	s_ashr_i32 s3, s2, 31
	v_or3_b32 v4, v0, v2, v3
	s_lshl_b64 s[2:3], s[2:3], 1
	v_mul_lo_u32 v10, v1, s4
	v_ashrrev_i32_e32 v9, 31, v8
	ds_load_b128 v[0:3], v4
	ds_load_b128 v[4:7], v4 offset:128
	s_waitcnt lgkmcnt(0)
	s_add_u32 s2, s0, s2
	s_addc_u32 s3, s1, s3
	s_lshl_b32 s0, s14, 7
	v_ashrrev_i32_e32 v11, 31, v10
	s_ashr_i32 s1, s0, 31
	v_lshlrev_b64 v[8:9], 1, v[8:9]
	s_lshl_b64 s[0:1], s[0:1], 1
	s_delay_alu instid0(SALU_CYCLE_1) | instskip(SKIP_2) | instid1(VALU_DEP_1)
	s_add_u32 s0, s2, s0
	s_addc_u32 s1, s3, s1
	v_add_co_u32 v12, s0, s0, v65
	v_add_co_ci_u32_e64 v13, null, s1, 0, s0
	v_lshlrev_b64 v[10:11], 1, v[10:11]
	s_delay_alu instid0(VALU_DEP_3) | instskip(NEXT) | instid1(VALU_DEP_3)
	v_add_co_u32 v8, vcc_lo, v12, v8
	v_add_co_ci_u32_e32 v9, vcc_lo, v13, v9, vcc_lo
	s_delay_alu instid0(VALU_DEP_3) | instskip(NEXT) | instid1(VALU_DEP_4)
	v_add_co_u32 v10, vcc_lo, v12, v10
	v_add_co_ci_u32_e32 v11, vcc_lo, v13, v11, vcc_lo
	s_clause 0x1
	global_store_b128 v[8:9], v[0:3], off
	global_store_b128 v[10:11], v[4:7], off
	s_nop 0
	s_sendmsg sendmsg(MSG_DEALLOC_VGPRS)
	s_endpgm
	.section	.rodata,"a",@progbits
	.p2align	6, 0x0
	.amdhsa_kernel _Z39paged_attention_ll4mi_QKV_mfma16_kernelIDF16_hLN4vllm18Fp8KVCacheDataTypeE1EDF16_Li16ELi128ELi256ELb0ELi4EL8MFMAType1EEvPKT_PKT0_S8_ifPKiSA_SA_iPKfiiiPfSD_PS3_PT2_iSC_SC_
		.amdhsa_group_segment_fixed_size 17472
		.amdhsa_private_segment_fixed_size 0
		.amdhsa_kernarg_size 400
		.amdhsa_user_sgpr_count 13
		.amdhsa_user_sgpr_dispatch_ptr 0
		.amdhsa_user_sgpr_queue_ptr 0
		.amdhsa_user_sgpr_kernarg_segment_ptr 1
		.amdhsa_user_sgpr_dispatch_id 0
		.amdhsa_user_sgpr_private_segment_size 0
		.amdhsa_wavefront_size32 1
		.amdhsa_uses_dynamic_stack 0
		.amdhsa_enable_private_segment 0
		.amdhsa_system_sgpr_workgroup_id_x 1
		.amdhsa_system_sgpr_workgroup_id_y 1
		.amdhsa_system_sgpr_workgroup_id_z 1
		.amdhsa_system_sgpr_workgroup_info 0
		.amdhsa_system_vgpr_workitem_id 0
		.amdhsa_next_free_vgpr 140
		.amdhsa_next_free_sgpr 36
		.amdhsa_reserve_vcc 1
		.amdhsa_float_round_mode_32 0
		.amdhsa_float_round_mode_16_64 0
		.amdhsa_float_denorm_mode_32 3
		.amdhsa_float_denorm_mode_16_64 3
		.amdhsa_dx10_clamp 1
		.amdhsa_ieee_mode 1
		.amdhsa_fp16_overflow 0
		.amdhsa_workgroup_processor_mode 1
		.amdhsa_memory_ordered 1
		.amdhsa_forward_progress 0
		.amdhsa_shared_vgpr_count 0
		.amdhsa_exception_fp_ieee_invalid_op 0
		.amdhsa_exception_fp_denorm_src 0
		.amdhsa_exception_fp_ieee_div_zero 0
		.amdhsa_exception_fp_ieee_overflow 0
		.amdhsa_exception_fp_ieee_underflow 0
		.amdhsa_exception_fp_ieee_inexact 0
		.amdhsa_exception_int_div_zero 0
	.end_amdhsa_kernel
	.section	.text._Z39paged_attention_ll4mi_QKV_mfma16_kernelIDF16_hLN4vllm18Fp8KVCacheDataTypeE1EDF16_Li16ELi128ELi256ELb0ELi4EL8MFMAType1EEvPKT_PKT0_S8_ifPKiSA_SA_iPKfiiiPfSD_PS3_PT2_iSC_SC_,"axG",@progbits,_Z39paged_attention_ll4mi_QKV_mfma16_kernelIDF16_hLN4vllm18Fp8KVCacheDataTypeE1EDF16_Li16ELi128ELi256ELb0ELi4EL8MFMAType1EEvPKT_PKT0_S8_ifPKiSA_SA_iPKfiiiPfSD_PS3_PT2_iSC_SC_,comdat
.Lfunc_end1009:
	.size	_Z39paged_attention_ll4mi_QKV_mfma16_kernelIDF16_hLN4vllm18Fp8KVCacheDataTypeE1EDF16_Li16ELi128ELi256ELb0ELi4EL8MFMAType1EEvPKT_PKT0_S8_ifPKiSA_SA_iPKfiiiPfSD_PS3_PT2_iSC_SC_, .Lfunc_end1009-_Z39paged_attention_ll4mi_QKV_mfma16_kernelIDF16_hLN4vllm18Fp8KVCacheDataTypeE1EDF16_Li16ELi128ELi256ELb0ELi4EL8MFMAType1EEvPKT_PKT0_S8_ifPKiSA_SA_iPKfiiiPfSD_PS3_PT2_iSC_SC_
                                        ; -- End function
	.section	.AMDGPU.csdata,"",@progbits
; Kernel info:
; codeLenInByte = 6500
; NumSgprs: 38
; NumVgprs: 140
; ScratchSize: 0
; MemoryBound: 0
; FloatMode: 240
; IeeeMode: 1
; LDSByteSize: 17472 bytes/workgroup (compile time only)
; SGPRBlocks: 4
; VGPRBlocks: 17
; NumSGPRsForWavesPerEU: 38
; NumVGPRsForWavesPerEU: 140
; Occupancy: 10
; WaveLimiterHint : 1
; COMPUTE_PGM_RSRC2:SCRATCH_EN: 0
; COMPUTE_PGM_RSRC2:USER_SGPR: 13
; COMPUTE_PGM_RSRC2:TRAP_HANDLER: 0
; COMPUTE_PGM_RSRC2:TGID_X_EN: 1
; COMPUTE_PGM_RSRC2:TGID_Y_EN: 1
; COMPUTE_PGM_RSRC2:TGID_Z_EN: 1
; COMPUTE_PGM_RSRC2:TIDIG_COMP_CNT: 0
	.section	.text._Z38paged_attention_ll4mi_QKV_mfma4_kernelIDF16_hLN4vllm18Fp8KVCacheDataTypeE1EhLi32ELi128ELi256ELb1ELi1EEvPKT_PKT0_S7_ifPKiS9_S9_iPKfiiiPfSC_PS2_PT2_iSB_SB_,"axG",@progbits,_Z38paged_attention_ll4mi_QKV_mfma4_kernelIDF16_hLN4vllm18Fp8KVCacheDataTypeE1EhLi32ELi128ELi256ELb1ELi1EEvPKT_PKT0_S7_ifPKiS9_S9_iPKfiiiPfSC_PS2_PT2_iSB_SB_,comdat
	.protected	_Z38paged_attention_ll4mi_QKV_mfma4_kernelIDF16_hLN4vllm18Fp8KVCacheDataTypeE1EhLi32ELi128ELi256ELb1ELi1EEvPKT_PKT0_S7_ifPKiS9_S9_iPKfiiiPfSC_PS2_PT2_iSB_SB_ ; -- Begin function _Z38paged_attention_ll4mi_QKV_mfma4_kernelIDF16_hLN4vllm18Fp8KVCacheDataTypeE1EhLi32ELi128ELi256ELb1ELi1EEvPKT_PKT0_S7_ifPKiS9_S9_iPKfiiiPfSC_PS2_PT2_iSB_SB_
	.globl	_Z38paged_attention_ll4mi_QKV_mfma4_kernelIDF16_hLN4vllm18Fp8KVCacheDataTypeE1EhLi32ELi128ELi256ELb1ELi1EEvPKT_PKT0_S7_ifPKiS9_S9_iPKfiiiPfSC_PS2_PT2_iSB_SB_
	.p2align	8
	.type	_Z38paged_attention_ll4mi_QKV_mfma4_kernelIDF16_hLN4vllm18Fp8KVCacheDataTypeE1EhLi32ELi128ELi256ELb1ELi1EEvPKT_PKT0_S7_ifPKiS9_S9_iPKfiiiPfSC_PS2_PT2_iSB_SB_,@function
_Z38paged_attention_ll4mi_QKV_mfma4_kernelIDF16_hLN4vllm18Fp8KVCacheDataTypeE1EhLi32ELi128ELi256ELb1ELi1EEvPKT_PKT0_S7_ifPKiS9_S9_iPKfiiiPfSC_PS2_PT2_iSB_SB_: ; @_Z38paged_attention_ll4mi_QKV_mfma4_kernelIDF16_hLN4vllm18Fp8KVCacheDataTypeE1EhLi32ELi128ELi256ELb1ELi1EEvPKT_PKT0_S7_ifPKiS9_S9_iPKfiiiPfSC_PS2_PT2_iSB_SB_
; %bb.0:
	s_add_u32 s8, s0, 0x90
	s_addc_u32 s9, s1, 0
	s_getpc_b64 s[0:1]
	s_add_u32 s0, s0, __PRETTY_FUNCTION__._Z38paged_attention_ll4mi_QKV_mfma4_kernelIDF16_hLN4vllm18Fp8KVCacheDataTypeE1EhLi32ELi128ELi256ELb1ELi1EEvPKT_PKT0_S7_ifPKiS9_S9_iPKfiiiPfSC_PS2_PT2_iSB_SB_@rel32@lo+4
	s_addc_u32 s1, s1, __PRETTY_FUNCTION__._Z38paged_attention_ll4mi_QKV_mfma4_kernelIDF16_hLN4vllm18Fp8KVCacheDataTypeE1EhLi32ELi128ELi256ELb1ELi1EEvPKT_PKT0_S7_ifPKiS9_S9_iPKfiiiPfSC_PS2_PT2_iSB_SB_@rel32@hi+12
	s_delay_alu instid0(SALU_CYCLE_1) | instskip(SKIP_4) | instid1(SALU_CYCLE_1)
	v_dual_mov_b32 v0, s0 :: v_dual_mov_b32 v1, s1
	s_mov_b32 s32, 0
	s_getpc_b64 s[2:3]
	s_add_u32 s2, s2, __assert_fail@rel32@lo+4
	s_addc_u32 s3, s3, __assert_fail@rel32@hi+12
	s_swappc_b64 s[30:31], s[2:3]
	.section	.rodata,"a",@progbits
	.p2align	6, 0x0
	.amdhsa_kernel _Z38paged_attention_ll4mi_QKV_mfma4_kernelIDF16_hLN4vllm18Fp8KVCacheDataTypeE1EhLi32ELi128ELi256ELb1ELi1EEvPKT_PKT0_S7_ifPKiS9_S9_iPKfiiiPfSC_PS2_PT2_iSB_SB_
		.amdhsa_group_segment_fixed_size 0
		.amdhsa_private_segment_fixed_size 64
		.amdhsa_kernarg_size 400
		.amdhsa_user_sgpr_count 15
		.amdhsa_user_sgpr_dispatch_ptr 0
		.amdhsa_user_sgpr_queue_ptr 0
		.amdhsa_user_sgpr_kernarg_segment_ptr 1
		.amdhsa_user_sgpr_dispatch_id 0
		.amdhsa_user_sgpr_private_segment_size 0
		.amdhsa_wavefront_size32 1
		.amdhsa_uses_dynamic_stack 0
		.amdhsa_enable_private_segment 1
		.amdhsa_system_sgpr_workgroup_id_x 1
		.amdhsa_system_sgpr_workgroup_id_y 0
		.amdhsa_system_sgpr_workgroup_id_z 0
		.amdhsa_system_sgpr_workgroup_info 0
		.amdhsa_system_vgpr_workitem_id 0
		.amdhsa_next_free_vgpr 41
		.amdhsa_next_free_sgpr 34
		.amdhsa_reserve_vcc 1
		.amdhsa_float_round_mode_32 0
		.amdhsa_float_round_mode_16_64 0
		.amdhsa_float_denorm_mode_32 3
		.amdhsa_float_denorm_mode_16_64 3
		.amdhsa_dx10_clamp 1
		.amdhsa_ieee_mode 1
		.amdhsa_fp16_overflow 0
		.amdhsa_workgroup_processor_mode 1
		.amdhsa_memory_ordered 1
		.amdhsa_forward_progress 0
		.amdhsa_shared_vgpr_count 0
		.amdhsa_exception_fp_ieee_invalid_op 0
		.amdhsa_exception_fp_denorm_src 0
		.amdhsa_exception_fp_ieee_div_zero 0
		.amdhsa_exception_fp_ieee_overflow 0
		.amdhsa_exception_fp_ieee_underflow 0
		.amdhsa_exception_fp_ieee_inexact 0
		.amdhsa_exception_int_div_zero 0
	.end_amdhsa_kernel
	.section	.text._Z38paged_attention_ll4mi_QKV_mfma4_kernelIDF16_hLN4vllm18Fp8KVCacheDataTypeE1EhLi32ELi128ELi256ELb1ELi1EEvPKT_PKT0_S7_ifPKiS9_S9_iPKfiiiPfSC_PS2_PT2_iSB_SB_,"axG",@progbits,_Z38paged_attention_ll4mi_QKV_mfma4_kernelIDF16_hLN4vllm18Fp8KVCacheDataTypeE1EhLi32ELi128ELi256ELb1ELi1EEvPKT_PKT0_S7_ifPKiS9_S9_iPKfiiiPfSC_PS2_PT2_iSB_SB_,comdat
.Lfunc_end1010:
	.size	_Z38paged_attention_ll4mi_QKV_mfma4_kernelIDF16_hLN4vllm18Fp8KVCacheDataTypeE1EhLi32ELi128ELi256ELb1ELi1EEvPKT_PKT0_S7_ifPKiS9_S9_iPKfiiiPfSC_PS2_PT2_iSB_SB_, .Lfunc_end1010-_Z38paged_attention_ll4mi_QKV_mfma4_kernelIDF16_hLN4vllm18Fp8KVCacheDataTypeE1EhLi32ELi128ELi256ELb1ELi1EEvPKT_PKT0_S7_ifPKiS9_S9_iPKfiiiPfSC_PS2_PT2_iSB_SB_
                                        ; -- End function
	.section	.AMDGPU.csdata,"",@progbits
; Kernel info:
; codeLenInByte = 72
; NumSgprs: 36
; NumVgprs: 41
; ScratchSize: 64
; MemoryBound: 0
; FloatMode: 240
; IeeeMode: 1
; LDSByteSize: 0 bytes/workgroup (compile time only)
; SGPRBlocks: 4
; VGPRBlocks: 5
; NumSGPRsForWavesPerEU: 36
; NumVGPRsForWavesPerEU: 41
; Occupancy: 16
; WaveLimiterHint : 1
; COMPUTE_PGM_RSRC2:SCRATCH_EN: 1
; COMPUTE_PGM_RSRC2:USER_SGPR: 15
; COMPUTE_PGM_RSRC2:TRAP_HANDLER: 0
; COMPUTE_PGM_RSRC2:TGID_X_EN: 1
; COMPUTE_PGM_RSRC2:TGID_Y_EN: 0
; COMPUTE_PGM_RSRC2:TGID_Z_EN: 0
; COMPUTE_PGM_RSRC2:TIDIG_COMP_CNT: 0
	.section	.text._Z38paged_attention_ll4mi_QKV_mfma4_kernelIDF16_hLN4vllm18Fp8KVCacheDataTypeE1EhLi32ELi128ELi256ELb1ELi2EEvPKT_PKT0_S7_ifPKiS9_S9_iPKfiiiPfSC_PS2_PT2_iSB_SB_,"axG",@progbits,_Z38paged_attention_ll4mi_QKV_mfma4_kernelIDF16_hLN4vllm18Fp8KVCacheDataTypeE1EhLi32ELi128ELi256ELb1ELi2EEvPKT_PKT0_S7_ifPKiS9_S9_iPKfiiiPfSC_PS2_PT2_iSB_SB_,comdat
	.protected	_Z38paged_attention_ll4mi_QKV_mfma4_kernelIDF16_hLN4vllm18Fp8KVCacheDataTypeE1EhLi32ELi128ELi256ELb1ELi2EEvPKT_PKT0_S7_ifPKiS9_S9_iPKfiiiPfSC_PS2_PT2_iSB_SB_ ; -- Begin function _Z38paged_attention_ll4mi_QKV_mfma4_kernelIDF16_hLN4vllm18Fp8KVCacheDataTypeE1EhLi32ELi128ELi256ELb1ELi2EEvPKT_PKT0_S7_ifPKiS9_S9_iPKfiiiPfSC_PS2_PT2_iSB_SB_
	.globl	_Z38paged_attention_ll4mi_QKV_mfma4_kernelIDF16_hLN4vllm18Fp8KVCacheDataTypeE1EhLi32ELi128ELi256ELb1ELi2EEvPKT_PKT0_S7_ifPKiS9_S9_iPKfiiiPfSC_PS2_PT2_iSB_SB_
	.p2align	8
	.type	_Z38paged_attention_ll4mi_QKV_mfma4_kernelIDF16_hLN4vllm18Fp8KVCacheDataTypeE1EhLi32ELi128ELi256ELb1ELi2EEvPKT_PKT0_S7_ifPKiS9_S9_iPKfiiiPfSC_PS2_PT2_iSB_SB_,@function
_Z38paged_attention_ll4mi_QKV_mfma4_kernelIDF16_hLN4vllm18Fp8KVCacheDataTypeE1EhLi32ELi128ELi256ELb1ELi2EEvPKT_PKT0_S7_ifPKiS9_S9_iPKfiiiPfSC_PS2_PT2_iSB_SB_: ; @_Z38paged_attention_ll4mi_QKV_mfma4_kernelIDF16_hLN4vllm18Fp8KVCacheDataTypeE1EhLi32ELi128ELi256ELb1ELi2EEvPKT_PKT0_S7_ifPKiS9_S9_iPKfiiiPfSC_PS2_PT2_iSB_SB_
; %bb.0:
	s_add_u32 s8, s0, 0x90
	s_addc_u32 s9, s1, 0
	s_getpc_b64 s[0:1]
	s_add_u32 s0, s0, __PRETTY_FUNCTION__._Z38paged_attention_ll4mi_QKV_mfma4_kernelIDF16_hLN4vllm18Fp8KVCacheDataTypeE1EhLi32ELi128ELi256ELb1ELi2EEvPKT_PKT0_S7_ifPKiS9_S9_iPKfiiiPfSC_PS2_PT2_iSB_SB_@rel32@lo+4
	s_addc_u32 s1, s1, __PRETTY_FUNCTION__._Z38paged_attention_ll4mi_QKV_mfma4_kernelIDF16_hLN4vllm18Fp8KVCacheDataTypeE1EhLi32ELi128ELi256ELb1ELi2EEvPKT_PKT0_S7_ifPKiS9_S9_iPKfiiiPfSC_PS2_PT2_iSB_SB_@rel32@hi+12
	s_delay_alu instid0(SALU_CYCLE_1) | instskip(SKIP_4) | instid1(SALU_CYCLE_1)
	v_dual_mov_b32 v0, s0 :: v_dual_mov_b32 v1, s1
	s_mov_b32 s32, 0
	s_getpc_b64 s[2:3]
	s_add_u32 s2, s2, __assert_fail@rel32@lo+4
	s_addc_u32 s3, s3, __assert_fail@rel32@hi+12
	s_swappc_b64 s[30:31], s[2:3]
	.section	.rodata,"a",@progbits
	.p2align	6, 0x0
	.amdhsa_kernel _Z38paged_attention_ll4mi_QKV_mfma4_kernelIDF16_hLN4vllm18Fp8KVCacheDataTypeE1EhLi32ELi128ELi256ELb1ELi2EEvPKT_PKT0_S7_ifPKiS9_S9_iPKfiiiPfSC_PS2_PT2_iSB_SB_
		.amdhsa_group_segment_fixed_size 0
		.amdhsa_private_segment_fixed_size 64
		.amdhsa_kernarg_size 400
		.amdhsa_user_sgpr_count 15
		.amdhsa_user_sgpr_dispatch_ptr 0
		.amdhsa_user_sgpr_queue_ptr 0
		.amdhsa_user_sgpr_kernarg_segment_ptr 1
		.amdhsa_user_sgpr_dispatch_id 0
		.amdhsa_user_sgpr_private_segment_size 0
		.amdhsa_wavefront_size32 1
		.amdhsa_uses_dynamic_stack 0
		.amdhsa_enable_private_segment 1
		.amdhsa_system_sgpr_workgroup_id_x 1
		.amdhsa_system_sgpr_workgroup_id_y 0
		.amdhsa_system_sgpr_workgroup_id_z 0
		.amdhsa_system_sgpr_workgroup_info 0
		.amdhsa_system_vgpr_workitem_id 0
		.amdhsa_next_free_vgpr 41
		.amdhsa_next_free_sgpr 34
		.amdhsa_reserve_vcc 1
		.amdhsa_float_round_mode_32 0
		.amdhsa_float_round_mode_16_64 0
		.amdhsa_float_denorm_mode_32 3
		.amdhsa_float_denorm_mode_16_64 3
		.amdhsa_dx10_clamp 1
		.amdhsa_ieee_mode 1
		.amdhsa_fp16_overflow 0
		.amdhsa_workgroup_processor_mode 1
		.amdhsa_memory_ordered 1
		.amdhsa_forward_progress 0
		.amdhsa_shared_vgpr_count 0
		.amdhsa_exception_fp_ieee_invalid_op 0
		.amdhsa_exception_fp_denorm_src 0
		.amdhsa_exception_fp_ieee_div_zero 0
		.amdhsa_exception_fp_ieee_overflow 0
		.amdhsa_exception_fp_ieee_underflow 0
		.amdhsa_exception_fp_ieee_inexact 0
		.amdhsa_exception_int_div_zero 0
	.end_amdhsa_kernel
	.section	.text._Z38paged_attention_ll4mi_QKV_mfma4_kernelIDF16_hLN4vllm18Fp8KVCacheDataTypeE1EhLi32ELi128ELi256ELb1ELi2EEvPKT_PKT0_S7_ifPKiS9_S9_iPKfiiiPfSC_PS2_PT2_iSB_SB_,"axG",@progbits,_Z38paged_attention_ll4mi_QKV_mfma4_kernelIDF16_hLN4vllm18Fp8KVCacheDataTypeE1EhLi32ELi128ELi256ELb1ELi2EEvPKT_PKT0_S7_ifPKiS9_S9_iPKfiiiPfSC_PS2_PT2_iSB_SB_,comdat
.Lfunc_end1011:
	.size	_Z38paged_attention_ll4mi_QKV_mfma4_kernelIDF16_hLN4vllm18Fp8KVCacheDataTypeE1EhLi32ELi128ELi256ELb1ELi2EEvPKT_PKT0_S7_ifPKiS9_S9_iPKfiiiPfSC_PS2_PT2_iSB_SB_, .Lfunc_end1011-_Z38paged_attention_ll4mi_QKV_mfma4_kernelIDF16_hLN4vllm18Fp8KVCacheDataTypeE1EhLi32ELi128ELi256ELb1ELi2EEvPKT_PKT0_S7_ifPKiS9_S9_iPKfiiiPfSC_PS2_PT2_iSB_SB_
                                        ; -- End function
	.section	.AMDGPU.csdata,"",@progbits
; Kernel info:
; codeLenInByte = 72
; NumSgprs: 36
; NumVgprs: 41
; ScratchSize: 64
; MemoryBound: 0
; FloatMode: 240
; IeeeMode: 1
; LDSByteSize: 0 bytes/workgroup (compile time only)
; SGPRBlocks: 4
; VGPRBlocks: 5
; NumSGPRsForWavesPerEU: 36
; NumVGPRsForWavesPerEU: 41
; Occupancy: 16
; WaveLimiterHint : 1
; COMPUTE_PGM_RSRC2:SCRATCH_EN: 1
; COMPUTE_PGM_RSRC2:USER_SGPR: 15
; COMPUTE_PGM_RSRC2:TRAP_HANDLER: 0
; COMPUTE_PGM_RSRC2:TGID_X_EN: 1
; COMPUTE_PGM_RSRC2:TGID_Y_EN: 0
; COMPUTE_PGM_RSRC2:TGID_Z_EN: 0
; COMPUTE_PGM_RSRC2:TIDIG_COMP_CNT: 0
	.section	.text._Z38paged_attention_ll4mi_QKV_mfma4_kernelIDF16_hLN4vllm18Fp8KVCacheDataTypeE1EhLi32ELi128ELi256ELb1ELi3EEvPKT_PKT0_S7_ifPKiS9_S9_iPKfiiiPfSC_PS2_PT2_iSB_SB_,"axG",@progbits,_Z38paged_attention_ll4mi_QKV_mfma4_kernelIDF16_hLN4vllm18Fp8KVCacheDataTypeE1EhLi32ELi128ELi256ELb1ELi3EEvPKT_PKT0_S7_ifPKiS9_S9_iPKfiiiPfSC_PS2_PT2_iSB_SB_,comdat
	.protected	_Z38paged_attention_ll4mi_QKV_mfma4_kernelIDF16_hLN4vllm18Fp8KVCacheDataTypeE1EhLi32ELi128ELi256ELb1ELi3EEvPKT_PKT0_S7_ifPKiS9_S9_iPKfiiiPfSC_PS2_PT2_iSB_SB_ ; -- Begin function _Z38paged_attention_ll4mi_QKV_mfma4_kernelIDF16_hLN4vllm18Fp8KVCacheDataTypeE1EhLi32ELi128ELi256ELb1ELi3EEvPKT_PKT0_S7_ifPKiS9_S9_iPKfiiiPfSC_PS2_PT2_iSB_SB_
	.globl	_Z38paged_attention_ll4mi_QKV_mfma4_kernelIDF16_hLN4vllm18Fp8KVCacheDataTypeE1EhLi32ELi128ELi256ELb1ELi3EEvPKT_PKT0_S7_ifPKiS9_S9_iPKfiiiPfSC_PS2_PT2_iSB_SB_
	.p2align	8
	.type	_Z38paged_attention_ll4mi_QKV_mfma4_kernelIDF16_hLN4vllm18Fp8KVCacheDataTypeE1EhLi32ELi128ELi256ELb1ELi3EEvPKT_PKT0_S7_ifPKiS9_S9_iPKfiiiPfSC_PS2_PT2_iSB_SB_,@function
_Z38paged_attention_ll4mi_QKV_mfma4_kernelIDF16_hLN4vllm18Fp8KVCacheDataTypeE1EhLi32ELi128ELi256ELb1ELi3EEvPKT_PKT0_S7_ifPKiS9_S9_iPKfiiiPfSC_PS2_PT2_iSB_SB_: ; @_Z38paged_attention_ll4mi_QKV_mfma4_kernelIDF16_hLN4vllm18Fp8KVCacheDataTypeE1EhLi32ELi128ELi256ELb1ELi3EEvPKT_PKT0_S7_ifPKiS9_S9_iPKfiiiPfSC_PS2_PT2_iSB_SB_
; %bb.0:
	s_add_u32 s8, s0, 0x90
	s_addc_u32 s9, s1, 0
	s_getpc_b64 s[0:1]
	s_add_u32 s0, s0, __PRETTY_FUNCTION__._Z38paged_attention_ll4mi_QKV_mfma4_kernelIDF16_hLN4vllm18Fp8KVCacheDataTypeE1EhLi32ELi128ELi256ELb1ELi3EEvPKT_PKT0_S7_ifPKiS9_S9_iPKfiiiPfSC_PS2_PT2_iSB_SB_@rel32@lo+4
	s_addc_u32 s1, s1, __PRETTY_FUNCTION__._Z38paged_attention_ll4mi_QKV_mfma4_kernelIDF16_hLN4vllm18Fp8KVCacheDataTypeE1EhLi32ELi128ELi256ELb1ELi3EEvPKT_PKT0_S7_ifPKiS9_S9_iPKfiiiPfSC_PS2_PT2_iSB_SB_@rel32@hi+12
	s_delay_alu instid0(SALU_CYCLE_1) | instskip(SKIP_4) | instid1(SALU_CYCLE_1)
	v_dual_mov_b32 v0, s0 :: v_dual_mov_b32 v1, s1
	s_mov_b32 s32, 0
	s_getpc_b64 s[2:3]
	s_add_u32 s2, s2, __assert_fail@rel32@lo+4
	s_addc_u32 s3, s3, __assert_fail@rel32@hi+12
	s_swappc_b64 s[30:31], s[2:3]
	.section	.rodata,"a",@progbits
	.p2align	6, 0x0
	.amdhsa_kernel _Z38paged_attention_ll4mi_QKV_mfma4_kernelIDF16_hLN4vllm18Fp8KVCacheDataTypeE1EhLi32ELi128ELi256ELb1ELi3EEvPKT_PKT0_S7_ifPKiS9_S9_iPKfiiiPfSC_PS2_PT2_iSB_SB_
		.amdhsa_group_segment_fixed_size 0
		.amdhsa_private_segment_fixed_size 64
		.amdhsa_kernarg_size 400
		.amdhsa_user_sgpr_count 15
		.amdhsa_user_sgpr_dispatch_ptr 0
		.amdhsa_user_sgpr_queue_ptr 0
		.amdhsa_user_sgpr_kernarg_segment_ptr 1
		.amdhsa_user_sgpr_dispatch_id 0
		.amdhsa_user_sgpr_private_segment_size 0
		.amdhsa_wavefront_size32 1
		.amdhsa_uses_dynamic_stack 0
		.amdhsa_enable_private_segment 1
		.amdhsa_system_sgpr_workgroup_id_x 1
		.amdhsa_system_sgpr_workgroup_id_y 0
		.amdhsa_system_sgpr_workgroup_id_z 0
		.amdhsa_system_sgpr_workgroup_info 0
		.amdhsa_system_vgpr_workitem_id 0
		.amdhsa_next_free_vgpr 41
		.amdhsa_next_free_sgpr 34
		.amdhsa_reserve_vcc 1
		.amdhsa_float_round_mode_32 0
		.amdhsa_float_round_mode_16_64 0
		.amdhsa_float_denorm_mode_32 3
		.amdhsa_float_denorm_mode_16_64 3
		.amdhsa_dx10_clamp 1
		.amdhsa_ieee_mode 1
		.amdhsa_fp16_overflow 0
		.amdhsa_workgroup_processor_mode 1
		.amdhsa_memory_ordered 1
		.amdhsa_forward_progress 0
		.amdhsa_shared_vgpr_count 0
		.amdhsa_exception_fp_ieee_invalid_op 0
		.amdhsa_exception_fp_denorm_src 0
		.amdhsa_exception_fp_ieee_div_zero 0
		.amdhsa_exception_fp_ieee_overflow 0
		.amdhsa_exception_fp_ieee_underflow 0
		.amdhsa_exception_fp_ieee_inexact 0
		.amdhsa_exception_int_div_zero 0
	.end_amdhsa_kernel
	.section	.text._Z38paged_attention_ll4mi_QKV_mfma4_kernelIDF16_hLN4vllm18Fp8KVCacheDataTypeE1EhLi32ELi128ELi256ELb1ELi3EEvPKT_PKT0_S7_ifPKiS9_S9_iPKfiiiPfSC_PS2_PT2_iSB_SB_,"axG",@progbits,_Z38paged_attention_ll4mi_QKV_mfma4_kernelIDF16_hLN4vllm18Fp8KVCacheDataTypeE1EhLi32ELi128ELi256ELb1ELi3EEvPKT_PKT0_S7_ifPKiS9_S9_iPKfiiiPfSC_PS2_PT2_iSB_SB_,comdat
.Lfunc_end1012:
	.size	_Z38paged_attention_ll4mi_QKV_mfma4_kernelIDF16_hLN4vllm18Fp8KVCacheDataTypeE1EhLi32ELi128ELi256ELb1ELi3EEvPKT_PKT0_S7_ifPKiS9_S9_iPKfiiiPfSC_PS2_PT2_iSB_SB_, .Lfunc_end1012-_Z38paged_attention_ll4mi_QKV_mfma4_kernelIDF16_hLN4vllm18Fp8KVCacheDataTypeE1EhLi32ELi128ELi256ELb1ELi3EEvPKT_PKT0_S7_ifPKiS9_S9_iPKfiiiPfSC_PS2_PT2_iSB_SB_
                                        ; -- End function
	.section	.AMDGPU.csdata,"",@progbits
; Kernel info:
; codeLenInByte = 72
; NumSgprs: 36
; NumVgprs: 41
; ScratchSize: 64
; MemoryBound: 0
; FloatMode: 240
; IeeeMode: 1
; LDSByteSize: 0 bytes/workgroup (compile time only)
; SGPRBlocks: 4
; VGPRBlocks: 5
; NumSGPRsForWavesPerEU: 36
; NumVGPRsForWavesPerEU: 41
; Occupancy: 16
; WaveLimiterHint : 1
; COMPUTE_PGM_RSRC2:SCRATCH_EN: 1
; COMPUTE_PGM_RSRC2:USER_SGPR: 15
; COMPUTE_PGM_RSRC2:TRAP_HANDLER: 0
; COMPUTE_PGM_RSRC2:TGID_X_EN: 1
; COMPUTE_PGM_RSRC2:TGID_Y_EN: 0
; COMPUTE_PGM_RSRC2:TGID_Z_EN: 0
; COMPUTE_PGM_RSRC2:TIDIG_COMP_CNT: 0
	.section	.text._Z38paged_attention_ll4mi_QKV_mfma4_kernelIDF16_hLN4vllm18Fp8KVCacheDataTypeE1EhLi32ELi128ELi256ELb1ELi4EEvPKT_PKT0_S7_ifPKiS9_S9_iPKfiiiPfSC_PS2_PT2_iSB_SB_,"axG",@progbits,_Z38paged_attention_ll4mi_QKV_mfma4_kernelIDF16_hLN4vllm18Fp8KVCacheDataTypeE1EhLi32ELi128ELi256ELb1ELi4EEvPKT_PKT0_S7_ifPKiS9_S9_iPKfiiiPfSC_PS2_PT2_iSB_SB_,comdat
	.protected	_Z38paged_attention_ll4mi_QKV_mfma4_kernelIDF16_hLN4vllm18Fp8KVCacheDataTypeE1EhLi32ELi128ELi256ELb1ELi4EEvPKT_PKT0_S7_ifPKiS9_S9_iPKfiiiPfSC_PS2_PT2_iSB_SB_ ; -- Begin function _Z38paged_attention_ll4mi_QKV_mfma4_kernelIDF16_hLN4vllm18Fp8KVCacheDataTypeE1EhLi32ELi128ELi256ELb1ELi4EEvPKT_PKT0_S7_ifPKiS9_S9_iPKfiiiPfSC_PS2_PT2_iSB_SB_
	.globl	_Z38paged_attention_ll4mi_QKV_mfma4_kernelIDF16_hLN4vllm18Fp8KVCacheDataTypeE1EhLi32ELi128ELi256ELb1ELi4EEvPKT_PKT0_S7_ifPKiS9_S9_iPKfiiiPfSC_PS2_PT2_iSB_SB_
	.p2align	8
	.type	_Z38paged_attention_ll4mi_QKV_mfma4_kernelIDF16_hLN4vllm18Fp8KVCacheDataTypeE1EhLi32ELi128ELi256ELb1ELi4EEvPKT_PKT0_S7_ifPKiS9_S9_iPKfiiiPfSC_PS2_PT2_iSB_SB_,@function
_Z38paged_attention_ll4mi_QKV_mfma4_kernelIDF16_hLN4vllm18Fp8KVCacheDataTypeE1EhLi32ELi128ELi256ELb1ELi4EEvPKT_PKT0_S7_ifPKiS9_S9_iPKfiiiPfSC_PS2_PT2_iSB_SB_: ; @_Z38paged_attention_ll4mi_QKV_mfma4_kernelIDF16_hLN4vllm18Fp8KVCacheDataTypeE1EhLi32ELi128ELi256ELb1ELi4EEvPKT_PKT0_S7_ifPKiS9_S9_iPKfiiiPfSC_PS2_PT2_iSB_SB_
; %bb.0:
	s_add_u32 s8, s0, 0x90
	s_addc_u32 s9, s1, 0
	s_getpc_b64 s[0:1]
	s_add_u32 s0, s0, __PRETTY_FUNCTION__._Z38paged_attention_ll4mi_QKV_mfma4_kernelIDF16_hLN4vllm18Fp8KVCacheDataTypeE1EhLi32ELi128ELi256ELb1ELi4EEvPKT_PKT0_S7_ifPKiS9_S9_iPKfiiiPfSC_PS2_PT2_iSB_SB_@rel32@lo+4
	s_addc_u32 s1, s1, __PRETTY_FUNCTION__._Z38paged_attention_ll4mi_QKV_mfma4_kernelIDF16_hLN4vllm18Fp8KVCacheDataTypeE1EhLi32ELi128ELi256ELb1ELi4EEvPKT_PKT0_S7_ifPKiS9_S9_iPKfiiiPfSC_PS2_PT2_iSB_SB_@rel32@hi+12
	s_delay_alu instid0(SALU_CYCLE_1) | instskip(SKIP_4) | instid1(SALU_CYCLE_1)
	v_dual_mov_b32 v0, s0 :: v_dual_mov_b32 v1, s1
	s_mov_b32 s32, 0
	s_getpc_b64 s[2:3]
	s_add_u32 s2, s2, __assert_fail@rel32@lo+4
	s_addc_u32 s3, s3, __assert_fail@rel32@hi+12
	s_swappc_b64 s[30:31], s[2:3]
	.section	.rodata,"a",@progbits
	.p2align	6, 0x0
	.amdhsa_kernel _Z38paged_attention_ll4mi_QKV_mfma4_kernelIDF16_hLN4vllm18Fp8KVCacheDataTypeE1EhLi32ELi128ELi256ELb1ELi4EEvPKT_PKT0_S7_ifPKiS9_S9_iPKfiiiPfSC_PS2_PT2_iSB_SB_
		.amdhsa_group_segment_fixed_size 0
		.amdhsa_private_segment_fixed_size 64
		.amdhsa_kernarg_size 400
		.amdhsa_user_sgpr_count 15
		.amdhsa_user_sgpr_dispatch_ptr 0
		.amdhsa_user_sgpr_queue_ptr 0
		.amdhsa_user_sgpr_kernarg_segment_ptr 1
		.amdhsa_user_sgpr_dispatch_id 0
		.amdhsa_user_sgpr_private_segment_size 0
		.amdhsa_wavefront_size32 1
		.amdhsa_uses_dynamic_stack 0
		.amdhsa_enable_private_segment 1
		.amdhsa_system_sgpr_workgroup_id_x 1
		.amdhsa_system_sgpr_workgroup_id_y 0
		.amdhsa_system_sgpr_workgroup_id_z 0
		.amdhsa_system_sgpr_workgroup_info 0
		.amdhsa_system_vgpr_workitem_id 0
		.amdhsa_next_free_vgpr 41
		.amdhsa_next_free_sgpr 34
		.amdhsa_reserve_vcc 1
		.amdhsa_float_round_mode_32 0
		.amdhsa_float_round_mode_16_64 0
		.amdhsa_float_denorm_mode_32 3
		.amdhsa_float_denorm_mode_16_64 3
		.amdhsa_dx10_clamp 1
		.amdhsa_ieee_mode 1
		.amdhsa_fp16_overflow 0
		.amdhsa_workgroup_processor_mode 1
		.amdhsa_memory_ordered 1
		.amdhsa_forward_progress 0
		.amdhsa_shared_vgpr_count 0
		.amdhsa_exception_fp_ieee_invalid_op 0
		.amdhsa_exception_fp_denorm_src 0
		.amdhsa_exception_fp_ieee_div_zero 0
		.amdhsa_exception_fp_ieee_overflow 0
		.amdhsa_exception_fp_ieee_underflow 0
		.amdhsa_exception_fp_ieee_inexact 0
		.amdhsa_exception_int_div_zero 0
	.end_amdhsa_kernel
	.section	.text._Z38paged_attention_ll4mi_QKV_mfma4_kernelIDF16_hLN4vllm18Fp8KVCacheDataTypeE1EhLi32ELi128ELi256ELb1ELi4EEvPKT_PKT0_S7_ifPKiS9_S9_iPKfiiiPfSC_PS2_PT2_iSB_SB_,"axG",@progbits,_Z38paged_attention_ll4mi_QKV_mfma4_kernelIDF16_hLN4vllm18Fp8KVCacheDataTypeE1EhLi32ELi128ELi256ELb1ELi4EEvPKT_PKT0_S7_ifPKiS9_S9_iPKfiiiPfSC_PS2_PT2_iSB_SB_,comdat
.Lfunc_end1013:
	.size	_Z38paged_attention_ll4mi_QKV_mfma4_kernelIDF16_hLN4vllm18Fp8KVCacheDataTypeE1EhLi32ELi128ELi256ELb1ELi4EEvPKT_PKT0_S7_ifPKiS9_S9_iPKfiiiPfSC_PS2_PT2_iSB_SB_, .Lfunc_end1013-_Z38paged_attention_ll4mi_QKV_mfma4_kernelIDF16_hLN4vllm18Fp8KVCacheDataTypeE1EhLi32ELi128ELi256ELb1ELi4EEvPKT_PKT0_S7_ifPKiS9_S9_iPKfiiiPfSC_PS2_PT2_iSB_SB_
                                        ; -- End function
	.section	.AMDGPU.csdata,"",@progbits
; Kernel info:
; codeLenInByte = 72
; NumSgprs: 36
; NumVgprs: 41
; ScratchSize: 64
; MemoryBound: 0
; FloatMode: 240
; IeeeMode: 1
; LDSByteSize: 0 bytes/workgroup (compile time only)
; SGPRBlocks: 4
; VGPRBlocks: 5
; NumSGPRsForWavesPerEU: 36
; NumVGPRsForWavesPerEU: 41
; Occupancy: 16
; WaveLimiterHint : 1
; COMPUTE_PGM_RSRC2:SCRATCH_EN: 1
; COMPUTE_PGM_RSRC2:USER_SGPR: 15
; COMPUTE_PGM_RSRC2:TRAP_HANDLER: 0
; COMPUTE_PGM_RSRC2:TGID_X_EN: 1
; COMPUTE_PGM_RSRC2:TGID_Y_EN: 0
; COMPUTE_PGM_RSRC2:TGID_Z_EN: 0
; COMPUTE_PGM_RSRC2:TIDIG_COMP_CNT: 0
	.section	.text._Z39paged_attention_ll4mi_QKV_mfma16_kernelIDF16_hLN4vllm18Fp8KVCacheDataTypeE1EhLi32ELi128ELi256ELb1ELi5EL8MFMAType1EEvPKT_PKT0_S8_ifPKiSA_SA_iPKfiiiPfSD_PS3_PT2_iSC_SC_,"axG",@progbits,_Z39paged_attention_ll4mi_QKV_mfma16_kernelIDF16_hLN4vllm18Fp8KVCacheDataTypeE1EhLi32ELi128ELi256ELb1ELi5EL8MFMAType1EEvPKT_PKT0_S8_ifPKiSA_SA_iPKfiiiPfSD_PS3_PT2_iSC_SC_,comdat
	.protected	_Z39paged_attention_ll4mi_QKV_mfma16_kernelIDF16_hLN4vllm18Fp8KVCacheDataTypeE1EhLi32ELi128ELi256ELb1ELi5EL8MFMAType1EEvPKT_PKT0_S8_ifPKiSA_SA_iPKfiiiPfSD_PS3_PT2_iSC_SC_ ; -- Begin function _Z39paged_attention_ll4mi_QKV_mfma16_kernelIDF16_hLN4vllm18Fp8KVCacheDataTypeE1EhLi32ELi128ELi256ELb1ELi5EL8MFMAType1EEvPKT_PKT0_S8_ifPKiSA_SA_iPKfiiiPfSD_PS3_PT2_iSC_SC_
	.globl	_Z39paged_attention_ll4mi_QKV_mfma16_kernelIDF16_hLN4vllm18Fp8KVCacheDataTypeE1EhLi32ELi128ELi256ELb1ELi5EL8MFMAType1EEvPKT_PKT0_S8_ifPKiSA_SA_iPKfiiiPfSD_PS3_PT2_iSC_SC_
	.p2align	8
	.type	_Z39paged_attention_ll4mi_QKV_mfma16_kernelIDF16_hLN4vllm18Fp8KVCacheDataTypeE1EhLi32ELi128ELi256ELb1ELi5EL8MFMAType1EEvPKT_PKT0_S8_ifPKiSA_SA_iPKfiiiPfSD_PS3_PT2_iSC_SC_,@function
_Z39paged_attention_ll4mi_QKV_mfma16_kernelIDF16_hLN4vllm18Fp8KVCacheDataTypeE1EhLi32ELi128ELi256ELb1ELi5EL8MFMAType1EEvPKT_PKT0_S8_ifPKiSA_SA_iPKfiiiPfSD_PS3_PT2_iSC_SC_: ; @_Z39paged_attention_ll4mi_QKV_mfma16_kernelIDF16_hLN4vllm18Fp8KVCacheDataTypeE1EhLi32ELi128ELi256ELb1ELi5EL8MFMAType1EEvPKT_PKT0_S8_ifPKiSA_SA_iPKfiiiPfSD_PS3_PT2_iSC_SC_
; %bb.0:
	s_load_b64 s[4:5], s[0:1], 0x30
	s_mov_b32 s34, s13
	s_waitcnt lgkmcnt(0)
	s_cmp_lg_u64 s[4:5], 0
	s_cselect_b32 s8, -1, 0
	s_ashr_i32 s35, s13, 31
	s_cmp_eq_u64 s[4:5], 0
	s_cbranch_scc1 .LBB1014_3
; %bb.1:
	s_lshl_b64 s[2:3], s[34:35], 2
	s_delay_alu instid0(SALU_CYCLE_1) | instskip(SKIP_4) | instid1(SALU_CYCLE_1)
	s_add_u32 s2, s4, s2
	s_addc_u32 s3, s5, s3
	s_load_b64 s[2:3], s[2:3], 0x0
	s_waitcnt lgkmcnt(0)
	s_sub_i32 s2, s3, s2
	s_cmp_eq_u32 s2, 1
	s_cselect_b32 s2, -1, 0
	s_delay_alu instid0(SALU_CYCLE_1)
	s_and_not1_b32 vcc_lo, exec_lo, s2
	s_cbranch_vccz .LBB1014_4
.LBB1014_2:
	s_nop 0
	s_sendmsg sendmsg(MSG_DEALLOC_VGPRS)
	s_endpgm
.LBB1014_3:
.LBB1014_4:
	s_load_b64 s[2:3], s[0:1], 0x28
	s_lshl_b64 s[6:7], s[34:35], 2
	s_waitcnt lgkmcnt(0)
	s_add_u32 s2, s2, s6
	s_addc_u32 s3, s3, s7
	s_lshl_b32 s12, s14, 8
	s_load_b32 s24, s[2:3], 0x0
	s_waitcnt lgkmcnt(0)
	s_cmp_ge_i32 s12, s24
	s_cbranch_scc1 .LBB1014_2
; %bb.5:
	s_clause 0x1
	s_load_b128 s[20:23], s[0:1], 0x8
	s_load_b64 s[2:3], s[0:1], 0x20
	s_and_not1_b32 vcc_lo, exec_lo, s8
	s_cbranch_vccnz .LBB1014_7
; %bb.6:
	s_add_u32 s4, s4, s6
	s_addc_u32 s5, s5, s7
	s_load_b32 s5, s[4:5], 0x0
	s_branch .LBB1014_8
.LBB1014_7:
	s_mov_b32 s5, s34
.LBB1014_8:
	s_load_b128 s[16:19], s[0:1], 0x48
	v_and_b32_e32 v68, 15, v0
	v_lshrrev_b32_e32 v69, 5, v0
	v_bfe_u32 v66, v0, 4, 1
	v_and_b32_e32 v70, 31, v0
	v_and_b32_e32 v67, 1, v0
	v_lshlrev_b32_e32 v2, 3, v68
	s_mul_i32 s31, s15, 5
	v_lshl_or_b32 v1, v69, 1, v66
	s_mov_b32 s4, exec_lo
	s_delay_alu instid0(VALU_DEP_2) | instskip(NEXT) | instid1(VALU_DEP_2)
	v_lshlrev_b32_e32 v65, 1, v2
	v_cmpx_gt_u32_e32 5, v1
	s_cbranch_execz .LBB1014_10
; %bb.9:
	s_load_b64 s[6:7], s[0:1], 0x0
	v_add_lshl_u32 v2, v1, s31, 7
	s_waitcnt lgkmcnt(0)
	s_mul_hi_i32 s9, s5, s16
	s_mul_i32 s8, s5, s16
	v_lshlrev_b32_e32 v6, 10, v68
	s_lshl_b64 s[8:9], s[8:9], 1
	v_ashrrev_i32_e32 v3, 31, v2
	v_lshlrev_b32_e32 v1, 6, v1
	v_lshlrev_b32_e32 v7, 10, v67
	v_and_b32_e32 v6, 0x3800, v6
	s_delay_alu instid0(VALU_DEP_4) | instskip(NEXT) | instid1(VALU_DEP_2)
	v_lshlrev_b64 v[2:3], 1, v[2:3]
	v_or3_b32 v1, v6, v7, v1
	s_add_u32 s5, s6, s8
	s_addc_u32 s6, s7, s9
	s_delay_alu instid0(VALU_DEP_2) | instskip(NEXT) | instid1(VALU_DEP_3)
	v_add_co_u32 v2, vcc_lo, s5, v2
	v_add_co_ci_u32_e32 v3, vcc_lo, s6, v3, vcc_lo
	s_delay_alu instid0(VALU_DEP_2) | instskip(NEXT) | instid1(VALU_DEP_2)
	v_add_co_u32 v2, vcc_lo, v2, v65
	v_add_co_ci_u32_e32 v3, vcc_lo, 0, v3, vcc_lo
	global_load_b128 v[2:5], v[2:3], off
	s_waitcnt vmcnt(0)
	ds_store_b128 v1, v[2:5]
.LBB1014_10:
	s_or_b32 exec_lo, exec_lo, s4
	v_and_b32_e32 v1, 0xef, v0
	s_waitcnt lgkmcnt(0)
	s_add_i32 s5, s24, 31
	s_clause 0x1
	s_load_b32 s4, s[0:1], 0x38
	s_load_b32 s33, s[0:1], 0x98
	s_ashr_i32 s6, s5, 31
	v_add_nc_u32_e32 v1, s12, v1
	s_lshr_b32 s6, s6, 27
	s_load_b32 s19, s[0:1], 0x1c
	s_add_i32 s5, s5, s6
	s_waitcnt lgkmcnt(0)
	v_ashrrev_i32_e32 v2, 31, v1
	v_or_b32_e32 v3, 16, v1
	s_ashr_i32 s13, s5, 5
	v_cmp_gt_i32_e32 vcc_lo, s24, v1
	s_add_i32 s13, s13, -1
	v_lshrrev_b32_e32 v2, 27, v2
	s_barrier
	buffer_gl0_inv
	s_mul_i32 s15, s15, s18
	v_add_nc_u32_e32 v4, v1, v2
	s_mul_i32 s4, s34, s4
	s_delay_alu instid0(SALU_CYCLE_1) | instskip(NEXT) | instid1(VALU_DEP_1)
	s_ashr_i32 s5, s4, 31
	v_ashrrev_i32_e32 v4, 5, v4
	v_add_nc_u32_e32 v2, v3, v2
	s_lshl_b64 s[4:5], s[4:5], 2
	s_delay_alu instid0(SALU_CYCLE_1) | instskip(NEXT) | instid1(VALU_DEP_2)
	s_add_u32 s16, s2, s4
	v_cndmask_b32_e32 v1, s13, v4, vcc_lo
	s_delay_alu instid0(VALU_DEP_2)
	v_ashrrev_i32_e32 v2, 5, v2
	v_cmp_gt_i32_e32 vcc_lo, s24, v3
	s_addc_u32 s25, s3, s5
	s_ashr_i32 s18, s15, 31
	s_add_u32 s2, s20, s15
	s_addc_u32 s3, s21, s18
	v_cndmask_b32_e32 v3, s13, v2, vcc_lo
	v_ashrrev_i32_e32 v2, 31, v1
	s_lshl_b32 s4, s14, 3
	s_delay_alu instid0(SALU_CYCLE_1) | instskip(NEXT) | instid1(VALU_DEP_2)
	s_ashr_i32 s5, s4, 31
	v_ashrrev_i32_e32 v4, 31, v3
	s_delay_alu instid0(VALU_DEP_2) | instskip(SKIP_1) | instid1(SALU_CYCLE_1)
	v_lshlrev_b64 v[1:2], 2, v[1:2]
	s_lshl_b64 s[4:5], s[4:5], 2
	s_add_u32 s4, s16, s4
	s_delay_alu instid0(VALU_DEP_2) | instskip(SKIP_1) | instid1(VALU_DEP_2)
	v_lshlrev_b64 v[3:4], 2, v[3:4]
	s_addc_u32 s5, s25, s5
	v_add_co_u32 v1, vcc_lo, s16, v1
	v_add_co_ci_u32_e32 v2, vcc_lo, s25, v2, vcc_lo
	s_delay_alu instid0(VALU_DEP_3) | instskip(NEXT) | instid1(VALU_DEP_4)
	v_add_co_u32 v3, vcc_lo, s16, v3
	v_add_co_ci_u32_e32 v4, vcc_lo, s25, v4, vcc_lo
	s_clause 0x1
	global_load_b32 v5, v[1:2], off
	global_load_b32 v6, v[3:4], off
	s_or_b32 s6, s12, 32
	s_delay_alu instid0(SALU_CYCLE_1) | instskip(SKIP_2) | instid1(SALU_CYCLE_1)
	s_ashr_i32 s7, s6, 5
	s_cmp_lt_i32 s6, s24
	s_cselect_b32 s6, s7, s13
	s_ashr_i32 s7, s6, 31
	s_delay_alu instid0(SALU_CYCLE_1) | instskip(NEXT) | instid1(SALU_CYCLE_1)
	s_lshl_b64 s[6:7], s[6:7], 2
	s_add_u32 s6, s16, s6
	s_addc_u32 s7, s25, s7
	s_or_b32 s8, s12, 64
	s_delay_alu instid0(SALU_CYCLE_1) | instskip(SKIP_2) | instid1(SALU_CYCLE_1)
	s_ashr_i32 s9, s8, 5
	s_cmp_lt_i32 s8, s24
	s_cselect_b32 s8, s9, s13
	s_ashr_i32 s9, s8, 31
	s_delay_alu instid0(SALU_CYCLE_1) | instskip(NEXT) | instid1(SALU_CYCLE_1)
	s_lshl_b64 s[8:9], s[8:9], 2
	s_add_u32 s8, s16, s8
	s_addc_u32 s9, s25, s9
	;; [unrolled: 10-line block ×5, first 2 shown]
	s_clause 0x5
	s_load_b32 s28, s[4:5], 0x0
	s_load_b32 s29, s[6:7], 0x0
	;; [unrolled: 1-line block ×6, first 2 shown]
	s_mov_b32 s4, 0
	s_delay_alu instid0(SALU_CYCLE_1)
	s_mov_b32 s5, s4
	s_mov_b32 s6, s4
	;; [unrolled: 1-line block ×7, first 2 shown]
	s_delay_alu instid0(SALU_CYCLE_1)
	v_dual_mov_b32 v118, s11 :: v_dual_mov_b32 v117, s10
	v_dual_mov_b32 v116, s9 :: v_dual_mov_b32 v115, s8
	v_mov_b32_e32 v113, s6
	v_dual_mov_b32 v111, s4 :: v_dual_mov_b32 v114, s7
	v_mov_b32_e32 v112, s5
	s_waitcnt vmcnt(1)
	v_mad_i64_i32 v[1:2], null, v5, s17, s[2:3]
	v_lshlrev_b32_e32 v5, 4, v68
	s_waitcnt vmcnt(0)
	v_mad_i64_i32 v[3:4], null, v6, s17, s[2:3]
	s_or_b32 s2, s12, 0xc0
	s_delay_alu instid0(SALU_CYCLE_1) | instskip(NEXT) | instid1(VALU_DEP_3)
	s_ashr_i32 s3, s2, 5
	v_add_co_u32 v1, vcc_lo, v1, v5
	s_delay_alu instid0(VALU_DEP_4) | instskip(NEXT) | instid1(VALU_DEP_3)
	v_add_co_ci_u32_e32 v2, vcc_lo, 0, v2, vcc_lo
	v_add_co_u32 v3, vcc_lo, v3, v5
	s_delay_alu instid0(VALU_DEP_4)
	v_add_co_ci_u32_e32 v4, vcc_lo, 0, v4, vcc_lo
	s_clause 0xf
	global_load_b128 v[17:20], v[1:2], off
	global_load_b128 v[21:24], v[1:2], off offset:512
	global_load_b128 v[25:28], v[3:4], off offset:256
	;; [unrolled: 1-line block ×15, first 2 shown]
	v_mul_lo_u16 v1, v68, 52
	s_cmp_lt_i32 s2, s24
	v_lshlrev_b32_e32 v2, 5, v68
	s_cselect_b32 s2, s3, s13
	s_delay_alu instid0(VALU_DEP_2) | instskip(SKIP_1) | instid1(SALU_CYCLE_1)
	v_lshrrev_b16 v1, 8, v1
	s_ashr_i32 s3, s2, 31
	s_lshl_b64 s[2:3], s[2:3], 2
	s_delay_alu instid0(VALU_DEP_1) | instskip(SKIP_3) | instid1(VALU_DEP_1)
	v_mul_lo_u16 v1, v1, 5
	s_add_u32 s2, s16, s2
	s_addc_u32 s3, s25, s3
	s_or_b32 s20, s12, 0xe0
	v_sub_nc_u16 v1, v68, v1
	s_ashr_i32 s21, s20, 5
	s_cmp_lt_i32 s20, s24
	s_cselect_b32 s20, s21, s13
	s_delay_alu instid0(VALU_DEP_1) | instskip(SKIP_1) | instid1(SALU_CYCLE_1)
	v_and_b32_e32 v1, 0xff, v1
	s_ashr_i32 s21, s20, 31
	s_lshl_b64 s[4:5], s[20:21], 2
	s_delay_alu instid0(VALU_DEP_1)
	v_lshlrev_b32_e32 v149, 6, v1
	s_add_u32 s4, s16, s4
	s_addc_u32 s5, s25, s5
	v_lshl_or_b32 v1, v69, 9, v2
	ds_load_b128 v[119:122], v149
	ds_load_b128 v[123:126], v149 offset:1024
	ds_load_b128 v[127:130], v149 offset:2048
	ds_load_b128 v[131:134], v149 offset:3072
	s_clause 0x1
	s_load_b32 s2, s[2:3], 0x0
	s_load_b32 s3, s[4:5], 0x0
	s_add_u32 s6, s22, s15
	s_addc_u32 s7, s23, s18
	v_add_co_u32 v135, s6, s6, v1
	s_delay_alu instid0(VALU_DEP_1) | instskip(SKIP_1) | instid1(VALU_DEP_1)
	v_add_co_ci_u32_e64 v136, null, s7, 0, s6
	s_waitcnt lgkmcnt(0)
	v_mad_i64_i32 v[1:2], null, s28, s17, v[135:136]
	v_mad_i64_i32 v[3:4], null, s29, s17, v[135:136]
	;; [unrolled: 1-line block ×6, first 2 shown]
	s_clause 0x9
	global_load_b128 v[49:52], v[1:2], off
	global_load_b128 v[53:56], v[1:2], off offset:16
	global_load_b128 v[41:44], v[3:4], off
	global_load_b128 v[45:48], v[3:4], off offset:16
	;; [unrolled: 2-line block ×5, first 2 shown]
	v_mad_i64_i32 v[145:146], null, s2, s17, v[135:136]
	v_mad_i64_i32 v[147:148], null, s3, s17, v[135:136]
	s_waitcnt vmcnt(24)
	v_wmma_f32_16x16x16_f16 v[135:142], v[17:24], v[119:126], v[111:118]
	s_waitcnt vmcnt(22)
	v_wmma_f32_16x16x16_f16 v[111:118], v[25:32], v[119:126], v[111:118]
	s_clause 0x3
	global_load_b128 v[17:20], v[143:144], off
	global_load_b128 v[21:24], v[143:144], off offset:16
	global_load_b128 v[25:28], v[145:146], off
	global_load_b128 v[29:32], v[145:146], off offset:16
	v_and_b32_e32 v119, 0xe0, v0
	s_waitcnt vmcnt(24)
	v_wmma_f32_16x16x16_f16 v[135:142], v[57:64], v[127:134], v[135:142]
	s_clause 0x1
	global_load_b128 v[57:60], v[147:148], off
	global_load_b128 v[61:64], v[147:148], off offset:16
	s_waitcnt vmcnt(24)
	v_wmma_f32_16x16x16_f16 v[111:118], v[71:78], v[127:134], v[111:118]
	ds_load_b128 v[71:74], v149 offset:4096
	ds_load_b128 v[75:78], v149 offset:5120
	v_add_nc_u32_e32 v128, s12, v119
	ds_load_b128 v[119:122], v149 offset:6144
	ds_load_b128 v[123:126], v149 offset:7168
	v_mbcnt_lo_u32_b32 v127, -1, 0
	s_waitcnt vmcnt(0) lgkmcnt(0)
	s_barrier
	v_or_b32_e32 v128, v128, v66
	buffer_gl0_inv
	v_xor_b32_e32 v129, 16, v127
	v_or_b32_e32 v130, 4, v128
	v_or_b32_e32 v131, 6, v128
	s_delay_alu instid0(VALU_DEP_3) | instskip(SKIP_4) | instid1(VALU_DEP_4)
	v_cmp_gt_i32_e32 vcc_lo, 32, v129
	v_or_b32_e32 v132, 8, v128
	v_or_b32_e32 v133, 10, v128
	v_cmp_gt_i32_e64 s3, s24, v130
	v_cmp_gt_i32_e64 s4, s24, v131
	;; [unrolled: 1-line block ×3, first 2 shown]
	v_wmma_f32_16x16x16_f16 v[135:142], v[79:86], v[71:78], v[135:142]
	v_wmma_f32_16x16x16_f16 v[111:118], v[87:94], v[71:78], v[111:118]
	v_or_b32_e32 v79, 12, v128
	v_or_b32_e32 v80, 14, v128
	v_cmp_gt_i32_e64 s6, s24, v133
	v_wmma_f32_16x16x16_f16 v[135:142], v[95:102], v[119:126], v[135:142]
	v_cndmask_b32_e32 v127, v127, v129, vcc_lo
	v_or_b32_e32 v129, 2, v128
	v_wmma_f32_16x16x16_f16 v[111:118], v[103:110], v[119:126], v[111:118]
	v_cmp_gt_i32_e32 vcc_lo, s24, v128
	v_dual_mul_f32 v88, s19, v135 :: v_dual_mul_f32 v87, s19, v136
	s_delay_alu instid0(VALU_DEP_4) | instskip(NEXT) | instid1(VALU_DEP_4)
	v_cmp_gt_i32_e64 s2, s24, v129
	v_mul_f32_e32 v94, s19, v113
	v_mul_f32_e32 v78, s19, v138
	;; [unrolled: 1-line block ×3, first 2 shown]
	v_cndmask_b32_e32 v88, 0xff7fffff, v88, vcc_lo
	v_cndmask_b32_e64 v87, 0xff7fffff, v87, s2
	v_dual_mul_f32 v76, s19, v140 :: v_dual_mul_f32 v77, s19, v139
	v_mul_f32_e32 v90, s19, v117
	v_cndmask_b32_e64 v86, 0xff7fffff, v86, s3
	v_cndmask_b32_e64 v78, 0xff7fffff, v78, s4
	v_max3_f32 v87, v88, 0xff7fffff, v87
	v_or_b32_e32 v81, 16, v128
	v_or_b32_e32 v82, 18, v128
	v_dual_mul_f32 v74, s19, v142 :: v_dual_mul_f32 v75, s19, v141
	v_mul_f32_e32 v92, s19, v115
	v_cndmask_b32_e64 v77, 0xff7fffff, v77, s5
	v_cndmask_b32_e64 v76, 0xff7fffff, v76, s6
	v_max3_f32 v78, v87, v86, v78
	v_cmp_gt_i32_e64 s7, s24, v79
	v_cmp_gt_i32_e64 s8, s24, v80
	v_or_b32_e32 v83, 20, v128
	v_or_b32_e32 v84, 22, v128
	v_dual_mul_f32 v89, s19, v118 :: v_dual_mul_f32 v96, s19, v111
	v_mul_f32_e32 v95, s19, v112
	v_cndmask_b32_e64 v75, 0xff7fffff, v75, s7
	v_cndmask_b32_e64 v74, 0xff7fffff, v74, s8
	v_max3_f32 v76, v78, v77, v76
	v_cmp_gt_i32_e64 s9, s24, v81
	v_cmp_gt_i32_e64 s10, s24, v82
	v_or_b32_e32 v85, 24, v128
	v_or_b32_e32 v71, 26, v128
	v_mul_f32_e32 v93, s19, v114
	v_cndmask_b32_e64 v77, 0xff7fffff, v96, s9
	v_cndmask_b32_e64 v78, 0xff7fffff, v95, s10
	v_max3_f32 v74, v76, v75, v74
	v_cmp_gt_i32_e64 s11, s24, v83
	v_cmp_gt_i32_e64 s12, s24, v84
	v_or_b32_e32 v72, 28, v128
	v_or_b32_e32 v73, 30, v128
	v_mul_f32_e32 v91, s19, v116
	v_cndmask_b32_e64 v75, 0xff7fffff, v94, s11
	v_cndmask_b32_e64 v76, 0xff7fffff, v93, s12
	v_max3_f32 v74, v74, v77, v78
	v_cmp_gt_i32_e64 s13, s24, v85
	v_cmp_gt_i32_e64 s15, s24, v71
	;; [unrolled: 1-line block ×4, first 2 shown]
	v_max3_f32 v74, v74, v75, v76
	v_cndmask_b32_e64 v77, 0xff7fffff, v92, s13
	v_cndmask_b32_e64 v71, 0xff7fffff, v91, s15
	v_cndmask_b32_e64 v72, 0xff7fffff, v90, s16
	v_cndmask_b32_e64 v73, 0xff7fffff, v89, s17
	s_delay_alu instid0(VALU_DEP_3) | instskip(SKIP_1) | instid1(VALU_DEP_2)
	v_max3_f32 v71, v74, v77, v71
	v_lshlrev_b32_e32 v74, 2, v127
	v_max3_f32 v71, v71, v72, v73
	ds_bpermute_b32 v72, v74, v71
	s_waitcnt lgkmcnt(0)
	v_max_f32_e32 v72, v72, v72
	s_delay_alu instid0(VALU_DEP_1) | instskip(NEXT) | instid1(VALU_DEP_1)
	v_max_f32_e32 v71, v71, v72
	v_fma_f32 v75, s19, v137, -v71
	v_fma_f32 v76, s19, v138, -v71
	;; [unrolled: 1-line block ×5, first 2 shown]
	s_delay_alu instid0(VALU_DEP_4) | instskip(NEXT) | instid1(VALU_DEP_4)
	v_dual_mul_f32 v75, 0x3fb8aa3b, v75 :: v_dual_mul_f32 v76, 0x3fb8aa3b, v76
	v_mul_f32_e32 v72, 0x3fb8aa3b, v72
	v_fma_f32 v77, s19, v139, -v71
	s_delay_alu instid0(VALU_DEP_4) | instskip(NEXT) | instid1(VALU_DEP_4)
	v_mul_f32_e32 v73, 0x3fb8aa3b, v73
	v_exp_f32_e32 v75, v75
	v_exp_f32_e32 v76, v76
	;; [unrolled: 1-line block ×3, first 2 shown]
	s_delay_alu instid0(VALU_DEP_1) | instskip(SKIP_2) | instid1(TRANS32_DEP_3)
	v_exp_f32_e32 v73, v73
	v_cndmask_b32_e64 v81, 0, v75, s3
	v_mul_f32_e32 v82, 0x3fb8aa3b, v80
	v_cndmask_b32_e64 v80, 0, v76, s4
	s_waitcnt_depctr 0xfff
	v_cndmask_b32_e64 v78, 0, v73, s2
	v_cmp_gt_u32_e64 s2, 16, v70
	v_exp_f32_e32 v84, v82
	s_waitcnt_depctr 0xfff
	v_cndmask_b32_e64 v85, 0, v84, s7
	v_cndmask_b32_e32 v79, 0, v72, vcc_lo
	v_fma_f32 v72, s19, v140, -v71
	v_mul_f32_e32 v77, 0x3fb8aa3b, v77
	s_delay_alu instid0(VALU_DEP_2) | instskip(NEXT) | instid1(VALU_DEP_2)
	v_dual_add_f32 v73, 0, v79 :: v_dual_mul_f32 v72, 0x3fb8aa3b, v72
	v_exp_f32_e32 v77, v77
	s_delay_alu instid0(VALU_DEP_1) | instskip(NEXT) | instid1(VALU_DEP_2)
	v_add_f32_e32 v73, v73, v78
	v_exp_f32_e32 v72, v72
	s_delay_alu instid0(VALU_DEP_1) | instskip(SKIP_4) | instid1(VALU_DEP_2)
	v_add_f32_e32 v73, v73, v81
	s_waitcnt_depctr 0xfff
	v_cndmask_b32_e64 v83, 0, v77, s5
	v_add_f32_e32 v73, v73, v80
	v_cndmask_b32_e64 v82, 0, v72, s6
	v_add_f32_e32 v72, v73, v83
	s_delay_alu instid0(VALU_DEP_1)
	v_add_f32_e32 v72, v72, v82
	v_fma_f32 v75, s19, v142, -v71
	v_fma_f32 v76, s19, v111, -v71
	v_fma_f32 v86, s19, v114, -v71
	v_fma_f32 v77, s19, v112, -v71
	v_fma_f32 v73, s19, v113, -v71
	s_delay_alu instid0(VALU_DEP_4) | instskip(NEXT) | instid1(VALU_DEP_4)
	v_dual_mul_f32 v75, 0x3fb8aa3b, v75 :: v_dual_mul_f32 v76, 0x3fb8aa3b, v76
	v_mul_f32_e32 v86, 0x3fb8aa3b, v86
	v_add_f32_e32 v72, v72, v85
	s_delay_alu instid0(VALU_DEP_3) | instskip(NEXT) | instid1(VALU_DEP_3)
	v_exp_f32_e32 v75, v75
	v_exp_f32_e32 v76, v76
	s_delay_alu instid0(VALU_DEP_2) | instskip(NEXT) | instid1(TRANS32_DEP_3)
	v_exp_f32_e32 v88, v86
	v_cndmask_b32_e64 v84, 0, v75, s8
	v_mul_f32_e32 v77, 0x3fb8aa3b, v77
	s_waitcnt_depctr 0xfff
	v_cndmask_b32_e64 v87, 0, v76, s9
	v_fma_f32 v76, s19, v116, -v71
	v_dual_mul_f32 v73, 0x3fb8aa3b, v73 :: v_dual_add_f32 v72, v72, v84
	v_exp_f32_e32 v77, v77
	v_fma_f32 v75, s19, v115, -v71
	s_delay_alu instid0(VALU_DEP_3) | instskip(NEXT) | instid1(VALU_DEP_3)
	v_mul_f32_e32 v76, 0x3fb8aa3b, v76
	v_exp_f32_e32 v73, v73
	v_add_f32_e32 v72, v72, v87
	v_cndmask_b32_e64 v88, 0, v88, s12
	s_delay_alu instid0(VALU_DEP_3) | instskip(NEXT) | instid1(TRANS32_DEP_3)
	v_exp_f32_e32 v76, v76
	v_cndmask_b32_e64 v86, 0, v77, s10
	v_mul_f32_e32 v75, 0x3fb8aa3b, v75
	v_fma_f32 v77, s19, v117, -v71
	s_delay_alu instid0(TRANS32_DEP_2) | instskip(NEXT) | instid1(VALU_DEP_4)
	v_cndmask_b32_e64 v89, 0, v73, s11
	v_add_f32_e32 v72, v72, v86
	s_delay_alu instid0(VALU_DEP_4) | instskip(NEXT) | instid1(TRANS32_DEP_2)
	v_exp_f32_e32 v75, v75
	v_cndmask_b32_e64 v90, 0, v76, s15
	s_delay_alu instid0(VALU_DEP_2) | instskip(SKIP_2) | instid1(VALU_DEP_3)
	v_add_f32_e32 v72, v72, v89
	v_mul_f32_e32 v73, 0x3fb8aa3b, v77
	v_fma_f32 v77, s19, v118, -v71
	v_add_f32_e32 v72, v72, v88
	s_delay_alu instid0(VALU_DEP_3) | instskip(NEXT) | instid1(TRANS32_DEP_2)
	v_exp_f32_e32 v73, v73
	v_cndmask_b32_e64 v91, 0, v75, s13
	s_delay_alu instid0(VALU_DEP_1) | instskip(NEXT) | instid1(VALU_DEP_1)
	v_dual_mul_f32 v75, 0x3fb8aa3b, v77 :: v_dual_add_f32 v72, v72, v91
	v_exp_f32_e32 v75, v75
	s_waitcnt_depctr 0xfff
	v_cndmask_b32_e64 v93, 0, v73, s16
	v_add_f32_e32 v72, v72, v90
	s_delay_alu instid0(VALU_DEP_1) | instskip(SKIP_1) | instid1(VALU_DEP_1)
	v_add_f32_e32 v72, v72, v93
	v_cndmask_b32_e64 v92, 0, v75, s17
	v_add_f32_e32 v72, v72, v92
	ds_bpermute_b32 v73, v74, v72
	s_and_saveexec_b32 s3, s2
	s_cbranch_execz .LBB1014_12
; %bb.11:
	v_mul_u32_u24_e32 v70, 0x44, v69
	s_waitcnt lgkmcnt(0)
	v_add_f32_e32 v72, v72, v73
	s_delay_alu instid0(VALU_DEP_2) | instskip(NEXT) | instid1(VALU_DEP_1)
	v_lshl_add_u32 v70, v68, 2, v70
	v_add_nc_u32_e32 v70, 0x4000, v70
	ds_store_2addr_b32 v70, v71, v72 offset1:136
.LBB1014_12:
	s_or_b32 exec_lo, exec_lo, s3
	v_lshlrev_b32_e32 v70, 2, v68
	s_load_b32 s35, s[0:1], 0x94
	s_waitcnt lgkmcnt(0)
	s_barrier
	buffer_gl0_inv
	v_add_nc_u32_e32 v98, 0x4000, v70
	v_cmp_eq_u32_e32 vcc_lo, 1, v69
	v_cmp_eq_u32_e64 s3, 2, v69
	v_cmp_eq_u32_e64 s4, 3, v69
	;; [unrolled: 1-line block ×3, first 2 shown]
	ds_load_2addr_b32 v[70:71], v98 offset1:17
	ds_load_2addr_b32 v[72:73], v98 offset0:34 offset1:51
	ds_load_2addr_b32 v[74:75], v98 offset0:68 offset1:85
	;; [unrolled: 1-line block ×3, first 2 shown]
	v_cmp_eq_u32_e64 s6, 5, v69
	v_cmp_eq_u32_e64 s7, 7, v69
	s_waitcnt lgkmcnt(3)
	v_max3_f32 v76, v70, 0xff7fffff, v71
	s_waitcnt lgkmcnt(2)
	s_delay_alu instid0(VALU_DEP_1) | instskip(SKIP_1) | instid1(VALU_DEP_1)
	v_max3_f32 v76, v76, v72, v73
	s_waitcnt lgkmcnt(1)
	v_max3_f32 v76, v76, v74, v75
	s_waitcnt lgkmcnt(0)
	s_delay_alu instid0(VALU_DEP_1) | instskip(NEXT) | instid1(VALU_DEP_1)
	v_max3_f32 v76, v76, v94, v95
	v_sub_f32_e32 v77, v71, v76
	ds_load_2addr_b32 v[96:97], v98 offset0:136 offset1:153
	v_sub_f32_e32 v74, v74, v76
	v_sub_f32_e32 v70, v70, v76
	;; [unrolled: 1-line block ×3, first 2 shown]
	v_dual_sub_f32 v72, v72, v76 :: v_dual_mul_f32 v77, 0x3fb8aa3b, v77
	s_delay_alu instid0(VALU_DEP_4) | instskip(NEXT) | instid1(VALU_DEP_4)
	v_mul_f32_e32 v103, 0x3fb8aa3b, v74
	v_mul_f32_e32 v99, 0x3fb8aa3b, v70
	ds_load_2addr_b32 v[70:71], v98 offset0:170 offset1:187
	v_dual_mul_f32 v101, 0x3fb8aa3b, v72 :: v_dual_mul_f32 v94, 0x3fb8aa3b, v94
	v_exp_f32_e32 v102, v77
	v_exp_f32_e32 v99, v99
	s_delay_alu instid0(VALU_DEP_1) | instskip(NEXT) | instid1(VALU_DEP_1)
	v_exp_f32_e32 v101, v101
	v_exp_f32_e32 v94, v94
	s_waitcnt lgkmcnt(1)
	s_delay_alu instid0(TRANS32_DEP_3)
	v_fma_f32 v77, v99, v96, 0
	v_sub_f32_e32 v100, v73, v76
	ds_load_2addr_b32 v[72:73], v98 offset0:204 offset1:221
	v_fmac_f32_e32 v77, v102, v97
	v_exp_f32_e32 v97, v103
	s_waitcnt lgkmcnt(1)
	s_delay_alu instid0(VALU_DEP_1)
	v_dual_fmac_f32 v77, v101, v70 :: v_dual_sub_f32 v96, v75, v76
	ds_load_2addr_b32 v[74:75], v98 offset0:238 offset1:255
	v_sub_f32_e32 v70, v95, v76
	s_waitcnt lgkmcnt(0)
	s_barrier
	v_mul_f32_e32 v96, 0x3fb8aa3b, v96
	buffer_gl0_inv
	v_exp_f32_e32 v95, v96
	v_mul_f32_e32 v100, 0x3fb8aa3b, v100
	s_delay_alu instid0(VALU_DEP_1) | instskip(SKIP_3) | instid1(VALU_DEP_2)
	v_exp_f32_e32 v100, v100
	s_waitcnt_depctr 0xfff
	v_dual_fmac_f32 v77, v100, v71 :: v_dual_mul_f32 v70, 0x3fb8aa3b, v70
	v_cndmask_b32_e32 v71, v99, v102, vcc_lo
	v_fmac_f32_e32 v77, v97, v72
	s_delay_alu instid0(VALU_DEP_3) | instskip(NEXT) | instid1(VALU_DEP_1)
	v_exp_f32_e32 v96, v70
	v_fmac_f32_e32 v77, v95, v73
	s_delay_alu instid0(VALU_DEP_1) | instskip(SKIP_2) | instid1(VALU_DEP_1)
	v_fmac_f32_e32 v77, v94, v74
	s_waitcnt_depctr 0xfff
	v_fmac_f32_e32 v77, v96, v75
	v_add_f32_e32 v74, 0x358637bd, v77
	s_delay_alu instid0(VALU_DEP_1) | instskip(SKIP_1) | instid1(VALU_DEP_2)
	v_div_scale_f32 v98, null, v74, v74, 1.0
	v_div_scale_f32 v99, vcc_lo, 1.0, v74, 1.0
	v_rcp_f32_e32 v103, v98
	s_waitcnt_depctr 0xfff
	v_fma_f32 v70, -v98, v103, 1.0
	s_delay_alu instid0(VALU_DEP_1) | instskip(SKIP_2) | instid1(VALU_DEP_2)
	v_fmac_f32_e32 v103, v70, v103
	v_cndmask_b32_e64 v70, v71, v101, s3
	v_cmp_eq_u32_e64 s3, 6, v69
	v_cndmask_b32_e64 v71, v70, v100, s4
	s_delay_alu instid0(VALU_DEP_4) | instskip(NEXT) | instid1(VALU_DEP_2)
	v_dual_mul_f32 v101, v99, v103 :: v_dual_lshlrev_b32 v70, 2, v66
	v_cndmask_b32_e64 v71, v71, v97, s5
	s_delay_alu instid0(VALU_DEP_2) | instskip(NEXT) | instid1(VALU_DEP_3)
	v_or_b32_e32 v72, 1, v70
	v_fma_f32 v100, -v98, v101, v99
	v_cmp_eq_u32_e64 s4, 1, v70
	v_cmp_eq_u32_e64 s5, 2, v70
	v_cndmask_b32_e64 v95, v71, v95, s6
	v_or_b32_e32 v71, 3, v70
	v_fmac_f32_e32 v101, v100, v103
	v_cmp_eq_u32_e64 s9, 1, v72
	v_cmp_eq_u32_e64 s12, 2, v72
	v_cndmask_b32_e64 v94, v95, v94, s3
	v_cmp_eq_u32_e64 s11, 1, v71
	v_fma_f32 v97, -v98, v101, v99
	v_cmp_eq_u32_e64 s16, 2, v71
	v_cmp_eq_u32_e64 s13, 3, v72
	v_cndmask_b32_e64 v94, v94, v96, s7
	v_cmp_eq_u32_e64 s18, 3, v71
	v_div_fmas_f32 v95, v97, v103, v101
	v_cmp_eq_u32_e32 vcc_lo, 3, v70
	v_cmp_eq_u32_e64 s3, 4, v70
	v_cmp_eq_u32_e64 s19, 4, v72
	;; [unrolled: 1-line block ×3, first 2 shown]
	v_div_fixup_f32 v95, v95, v74, 1.0
	v_lshlrev_b32_e32 v73, 6, v68
	v_cmp_eq_u32_e64 s6, 5, v70
	v_cmp_eq_u32_e64 s20, 5, v72
	;; [unrolled: 1-line block ×3, first 2 shown]
	v_mul_f32_e32 v102, v94, v95
	v_lshl_or_b32 v75, v69, 11, v73
	v_or_b32_e32 v69, 2, v70
	v_cmp_eq_u32_e64 s25, 6, v72
	v_cmp_eq_u32_e64 s27, 6, v71
	v_fma_mixlo_f16 v94, v102, v79, 0
	v_fma_mixlo_f16 v95, v102, v81, 0
	;; [unrolled: 1-line block ×8, first 2 shown]
	v_lshl_or_b32 v74, v66, 4, v75
	v_fma_mixhi_f16 v94, v102, v78, 0
	v_fma_mixhi_f16 v95, v102, v80, 0
	;; [unrolled: 1-line block ×8, first 2 shown]
	ds_store_b128 v74, v[94:97]
	ds_store_b128 v74, v[98:101] offset:1024
	s_waitcnt lgkmcnt(0)
	s_barrier
	buffer_gl0_inv
	ds_load_b128 v[78:81], v75
	ds_load_b128 v[82:85], v75 offset:16
	ds_load_b128 v[86:89], v75 offset:1024
	;; [unrolled: 1-line block ×3, first 2 shown]
	v_cmp_eq_u32_e64 s10, 1, v69
	v_cmp_eq_u32_e64 s15, 2, v69
	;; [unrolled: 1-line block ×11, first 2 shown]
	s_waitcnt lgkmcnt(3)
	v_lshrrev_b32_e32 v94, 16, v78
	s_waitcnt lgkmcnt(2)
	v_lshrrev_b32_e32 v98, 16, v82
	;; [unrolled: 2-line block ×4, first 2 shown]
	v_lshrrev_b32_e32 v95, 16, v79
	v_cndmask_b32_e64 v110, v78, v94, s4
	v_cndmask_b32_e64 v111, v82, v98, s4
	;; [unrolled: 1-line block ×8, first 2 shown]
	v_lshrrev_b32_e32 v99, 16, v83
	v_cndmask_b32_e64 v94, v86, v102, s4
	v_cndmask_b32_e64 v98, v90, v106, s4
	;; [unrolled: 1-line block ×15, first 2 shown]
	v_lshrrev_b32_e32 v103, 16, v87
	v_lshrrev_b32_e32 v107, 16, v91
	v_cndmask_b32_e64 v113, v115, v83, s15
	v_cndmask_b32_e64 v82, v94, v87, s5
	;; [unrolled: 1-line block ×7, first 2 shown]
	v_cndmask_b32_e32 v90, v102, v95, vcc_lo
	v_cndmask_b32_e32 v102, v106, v99, vcc_lo
	v_cndmask_b32_e64 v106, v110, v95, s13
	v_cndmask_b32_e64 v110, v111, v99, s13
	v_cndmask_b32_e64 v78, v78, v95, s18
	v_cndmask_b32_e64 v79, v79, v99, s18
	v_lshrrev_b32_e32 v96, 16, v80
	v_lshrrev_b32_e32 v100, 16, v84
	v_cndmask_b32_e64 v111, v112, v95, s17
	v_cndmask_b32_e64 v112, v113, v99, s17
	v_cndmask_b32_e32 v82, v82, v103, vcc_lo
	v_cndmask_b32_e32 v83, v83, v107, vcc_lo
	v_cndmask_b32_e64 v94, v94, v103, s13
	v_cndmask_b32_e64 v90, v90, v80, s3
	;; [unrolled: 1-line block ×7, first 2 shown]
	v_lshrrev_b32_e32 v104, 16, v88
	v_cndmask_b32_e64 v106, v111, v80, s21
	v_cndmask_b32_e64 v110, v112, v84, s21
	;; [unrolled: 1-line block ×11, first 2 shown]
	v_lshrrev_b32_e32 v97, 16, v81
	v_lshrrev_b32_e32 v101, 16, v85
	v_cndmask_b32_e64 v99, v106, v96, s23
	v_cndmask_b32_e64 v102, v110, v100, s23
	;; [unrolled: 1-line block ×7, first 2 shown]
	v_lshrrev_b32_e32 v105, 16, v89
	v_cndmask_b32_e64 v80, v80, v104, s6
	v_cndmask_b32_e64 v84, v84, v81, s7
	;; [unrolled: 1-line block ×16, first 2 shown]
	v_perm_b32 v81, v79, v78, 0x5040100
	v_perm_b32 v79, v95, v85, 0x5040100
	v_cndmask_b32_e64 v78, v119, v91, s15
	v_cndmask_b32_e64 v85, v117, v91, s12
	;; [unrolled: 1-line block ×3, first 2 shown]
	v_perm_b32 v80, v94, v90, 0x5040100
	v_cndmask_b32_e64 v90, v98, v103, s17
	v_cndmask_b32_e64 v86, v86, v103, s18
	;; [unrolled: 1-line block ×5, first 2 shown]
	v_lshrrev_b32_e32 v108, 16, v92
	v_cndmask_b32_e64 v90, v90, v88, s21
	v_cndmask_b32_e64 v86, v86, v88, s22
	;; [unrolled: 1-line block ×11, first 2 shown]
	v_lshrrev_b32_e32 v109, 16, v93
	v_cndmask_b32_e64 v82, v82, v93, s7
	v_cndmask_b32_e64 v88, v88, v89, s26
	;; [unrolled: 1-line block ×12, first 2 shown]
	v_perm_b32 v78, v84, v83, 0x5040100
	v_perm_b32 v85, v87, v86, 0x5040100
	;; [unrolled: 1-line block ×5, first 2 shown]
	s_mul_i32 s8, s33, 5
	s_mov_b32 s3, exec_lo
	ds_store_b128 v74, v[78:81]
	ds_store_b128 v74, v[82:85] offset:1024
	v_cmpx_gt_u32_e32 5, v0
	s_cbranch_execz .LBB1014_14
; %bb.13:
	s_mul_i32 s4, s8, s34
	s_delay_alu instid0(SALU_CYCLE_1) | instskip(SKIP_1) | instid1(VALU_DEP_1)
	v_add3_u32 v68, s4, s31, v68
	s_load_b128 s[4:7], s[0:1], 0x58
	v_mad_u64_u32 v[78:79], null, v68, s35, s[14:15]
	s_delay_alu instid0(VALU_DEP_1) | instskip(NEXT) | instid1(VALU_DEP_1)
	v_ashrrev_i32_e32 v79, 31, v78
	v_lshlrev_b64 v[78:79], 2, v[78:79]
	s_waitcnt lgkmcnt(0)
	s_delay_alu instid0(VALU_DEP_1) | instskip(NEXT) | instid1(VALU_DEP_2)
	v_add_co_u32 v80, vcc_lo, s6, v78
	v_add_co_ci_u32_e32 v81, vcc_lo, s7, v79, vcc_lo
	v_add_co_u32 v78, vcc_lo, s4, v78
	v_add_co_ci_u32_e32 v79, vcc_lo, s5, v79, vcc_lo
	global_store_b32 v[80:81], v76, off
	global_store_b32 v[78:79], v77, off
.LBB1014_14:
	s_or_b32 exec_lo, exec_lo, s3
	s_waitcnt lgkmcnt(0)
	s_waitcnt_vscnt null, 0x0
	s_barrier
	buffer_gl0_inv
	ds_load_b128 v[84:87], v73
	ds_load_b128 v[88:91], v73 offset:16
	ds_load_b128 v[96:99], v73 offset:2064
	;; [unrolled: 1-line block ×5, first 2 shown]
	v_cmp_eq_u32_e32 vcc_lo, 1, v70
	v_mov_b32_e32 v76, 0
	ds_load_b128 v[112:115], v73 offset:6160
	ds_load_b128 v[108:111], v73 offset:6144
	;; [unrolled: 1-line block ×4, first 2 shown]
	v_cmp_eq_u32_e64 s4, 1, v69
	v_cmp_eq_u32_e64 s3, 1, v72
	;; [unrolled: 1-line block ×3, first 2 shown]
	v_mov_b32_e32 v77, v76
	v_mov_b32_e32 v78, v76
	v_mov_b32_e32 v79, v76
	v_mov_b32_e32 v80, v76
	v_mov_b32_e32 v81, v76
	v_mov_b32_e32 v82, v76
	v_mov_b32_e32 v83, v76
	v_cmp_eq_u32_e64 s6, 3, v72
	v_cmp_eq_u32_e64 s7, 7, v72
	s_waitcnt lgkmcnt(8)
	s_delay_alu instid0(VALU_DEP_3)
	v_wmma_f32_16x16x16_f16 v[76:83], v[49:56], v[84:91], v[76:83]
	ds_load_b128 v[53:56], v73 offset:10256
	ds_load_b128 v[49:52], v73 offset:10240
	s_waitcnt lgkmcnt(8)
	v_wmma_f32_16x16x16_f16 v[76:83], v[41:48], v[92:99], v[76:83]
	ds_load_b128 v[45:48], v73 offset:12304
	ds_load_b128 v[41:44], v73 offset:12288
	s_waitcnt lgkmcnt(8)
	v_wmma_f32_16x16x16_f16 v[76:83], v[33:40], v[100:107], v[76:83]
	ds_load_b128 v[37:40], v73 offset:14352
	ds_load_b128 v[33:36], v73 offset:14336
	s_waitcnt lgkmcnt(0)
	s_barrier
	buffer_gl0_inv
	v_wmma_f32_16x16x16_f16 v[76:83], v[1:8], v[108:115], v[76:83]
	s_delay_alu instid0(VALU_DEP_1) | instskip(NEXT) | instid1(VALU_DEP_1)
	v_wmma_f32_16x16x16_f16 v[76:83], v[9:16], v[116:123], v[76:83]
	v_wmma_f32_16x16x16_f16 v[76:83], v[17:24], v[49:56], v[76:83]
	s_delay_alu instid0(VALU_DEP_1) | instskip(NEXT) | instid1(VALU_DEP_1)
	v_wmma_f32_16x16x16_f16 v[76:83], v[25:32], v[41:48], v[76:83]
	v_wmma_f32_16x16x16_f16 v[76:83], v[57:64], v[33:40], v[76:83]
	s_delay_alu instid0(VALU_DEP_1) | instskip(NEXT) | instid1(VALU_DEP_2)
	v_cvt_f16_f32_e32 v1, v76
	v_cvt_f16_f32_e32 v2, v77
	s_delay_alu instid0(VALU_DEP_3) | instskip(NEXT) | instid1(VALU_DEP_4)
	v_cvt_f16_f32_e32 v3, v78
	v_cvt_f16_f32_e32 v4, v79
	;; [unrolled: 1-line block ×6, first 2 shown]
	v_pack_b32_f16 v1, v1, v2
	v_pack_b32_f16 v2, v3, v4
	;; [unrolled: 1-line block ×3, first 2 shown]
	s_delay_alu instid0(VALU_DEP_4)
	v_pack_b32_f16 v4, v7, v8
	ds_store_b128 v74, v[1:4]
	s_waitcnt lgkmcnt(0)
	s_barrier
	buffer_gl0_inv
	ds_load_b128 v[1:4], v75
	ds_load_b128 v[5:8], v75 offset:16
	s_waitcnt lgkmcnt(1)
	v_lshrrev_b32_e32 v9, 16, v1
	s_waitcnt lgkmcnt(0)
	v_lshrrev_b32_e32 v13, 16, v5
	v_lshrrev_b32_e32 v10, 16, v2
	;; [unrolled: 1-line block ×4, first 2 shown]
	v_cndmask_b32_e32 v17, v1, v9, vcc_lo
	v_cndmask_b32_e32 v18, v5, v13, vcc_lo
	v_cndmask_b32_e64 v21, v1, v9, s4
	v_cmp_eq_u32_e32 vcc_lo, 1, v71
	v_cndmask_b32_e64 v22, v5, v13, s4
	v_cmp_eq_u32_e64 s4, 2, v70
	v_cndmask_b32_e64 v19, v1, v9, s3
	v_cndmask_b32_e64 v20, v5, v13, s3
	v_cndmask_b32_e32 v1, v1, v9, vcc_lo
	v_cmp_eq_u32_e64 s3, 2, v71
	v_cndmask_b32_e32 v5, v5, v13, vcc_lo
	v_cndmask_b32_e64 v9, v17, v2, s4
	v_cmp_eq_u32_e32 vcc_lo, 3, v70
	v_cndmask_b32_e64 v13, v18, v6, s4
	v_cmp_eq_u32_e64 s4, 2, v69
	v_cndmask_b32_e64 v17, v19, v2, s5
	v_cndmask_b32_e64 v18, v20, v6, s5
	v_cmp_eq_u32_e64 s5, 3, v69
	v_cndmask_b32_e64 v1, v1, v2, s3
	v_cndmask_b32_e64 v19, v21, v2, s4
	;; [unrolled: 1-line block ×4, first 2 shown]
	v_cndmask_b32_e32 v5, v9, v10, vcc_lo
	v_cndmask_b32_e32 v6, v13, v14, vcc_lo
	v_cmp_eq_u32_e32 vcc_lo, 3, v71
	v_cndmask_b32_e64 v9, v17, v10, s6
	v_cndmask_b32_e64 v13, v18, v14, s6
	;; [unrolled: 1-line block ×3, first 2 shown]
	v_cmp_eq_u32_e64 s4, 4, v70
	v_cndmask_b32_e32 v1, v1, v10, vcc_lo
	v_cndmask_b32_e32 v2, v2, v14, vcc_lo
	v_cmp_eq_u32_e32 vcc_lo, 4, v72
	v_lshrrev_b32_e32 v15, 16, v7
	v_lshrrev_b32_e32 v16, 16, v8
	v_cndmask_b32_e64 v17, v19, v10, s5
	v_cmp_eq_u32_e64 s3, 4, v71
	v_cndmask_b32_e64 v5, v5, v3, s4
	v_cndmask_b32_e64 v6, v6, v7, s4
	v_cndmask_b32_e32 v9, v9, v3, vcc_lo
	v_cmp_eq_u32_e64 s4, 5, v72
	v_cndmask_b32_e32 v10, v13, v7, vcc_lo
	v_cmp_eq_u32_e32 vcc_lo, 4, v69
	v_cmp_eq_u32_e64 s5, 5, v70
	v_cndmask_b32_e64 v2, v2, v7, s3
	v_cndmask_b32_e64 v9, v9, v11, s4
	;; [unrolled: 1-line block ×3, first 2 shown]
	v_cndmask_b32_e32 v13, v17, v3, vcc_lo
	v_cmp_eq_u32_e64 s4, 5, v69
	v_cndmask_b32_e32 v14, v18, v7, vcc_lo
	v_cndmask_b32_e64 v1, v1, v3, s3
	v_cmp_eq_u32_e32 vcc_lo, 5, v71
	v_lshrrev_b32_e32 v12, 16, v4
	v_cndmask_b32_e64 v13, v13, v11, s4
	v_cndmask_b32_e64 v3, v14, v15, s4
	v_cmp_eq_u32_e64 s4, 6, v71
	v_cndmask_b32_e32 v1, v1, v11, vcc_lo
	v_cndmask_b32_e64 v5, v5, v11, s5
	v_cmp_eq_u32_e64 s6, 6, v70
	v_cndmask_b32_e64 v6, v6, v15, s5
	v_cmp_eq_u32_e64 s5, 6, v72
	v_cmp_eq_u32_e64 s3, 6, v69
	v_cndmask_b32_e64 v1, v1, v4, s4
	v_cndmask_b32_e32 v2, v2, v15, vcc_lo
	v_cmp_eq_u32_e32 vcc_lo, 7, v71
	v_cndmask_b32_e64 v5, v5, v4, s6
	v_cndmask_b32_e64 v9, v9, v4, s5
	;; [unrolled: 1-line block ×3, first 2 shown]
	v_cmp_eq_u32_e64 s6, 7, v70
	v_cndmask_b32_e32 v1, v1, v12, vcc_lo
	v_cndmask_b32_e64 v7, v13, v4, s3
	v_cndmask_b32_e64 v3, v3, v8, s3
	;; [unrolled: 1-line block ×3, first 2 shown]
	v_cmp_eq_u32_e64 s3, 7, v69
	v_cndmask_b32_e64 v4, v10, v8, s5
	v_cndmask_b32_e64 v5, v5, v12, s6
	;; [unrolled: 1-line block ×3, first 2 shown]
	v_cndmask_b32_e32 v2, v2, v16, vcc_lo
	v_cndmask_b32_e64 v7, v7, v12, s3
	v_cndmask_b32_e64 v3, v3, v16, s3
	;; [unrolled: 1-line block ×4, first 2 shown]
	v_perm_b32 v4, v2, v1, 0x5040100
	s_mov_b32 s3, exec_lo
	v_perm_b32 v3, v3, v7, 0x5040100
	v_perm_b32 v2, v8, v9, 0x5040100
	;; [unrolled: 1-line block ×3, first 2 shown]
	ds_store_b128 v74, v[1:4]
	s_waitcnt lgkmcnt(0)
	s_barrier
	buffer_gl0_inv
	v_cmpx_gt_u32_e32 32, v0
	s_cbranch_execz .LBB1014_2
; %bb.15:
	s_load_b64 s[4:5], s[0:1], 0x68
	v_lshlrev_b32_e32 v0, 10, v0
	v_add_nc_u32_e32 v2, s31, v66
	v_lshlrev_b32_e32 v3, 4, v67
	s_lshl_b32 s0, s35, 7
	s_delay_alu instid0(SALU_CYCLE_1) | instskip(NEXT) | instid1(VALU_DEP_2)
	s_mul_i32 s1, s0, s34
	v_mul_lo_u32 v1, v2, s0
	s_delay_alu instid0(VALU_DEP_2) | instskip(SKIP_2) | instid1(SALU_CYCLE_1)
	v_and_or_b32 v0, 0x3800, v0, v3
	v_add_nc_u32_e32 v2, 2, v2
	s_mul_i32 s6, s1, s8
	s_ashr_i32 s7, s6, 31
	s_delay_alu instid0(VALU_DEP_2)
	v_lshl_or_b32 v7, v66, 6, v0
	s_lshl_b64 s[6:7], s[6:7], 1
	v_mul_lo_u32 v11, v2, s0
	v_ashrrev_i32_e32 v2, 31, v1
	ds_load_b128 v[3:6], v7
	ds_load_b128 v[7:10], v7 offset:128
	s_waitcnt lgkmcnt(0)
	s_add_u32 s1, s4, s6
	s_addc_u32 s3, s5, s7
	s_lshl_b32 s4, s14, 7
	v_ashrrev_i32_e32 v12, 31, v11
	s_ashr_i32 s5, s4, 31
	v_lshlrev_b64 v[13:14], 1, v[1:2]
	s_lshl_b64 s[4:5], s[4:5], 1
	s_delay_alu instid0(SALU_CYCLE_1) | instskip(SKIP_2) | instid1(VALU_DEP_1)
	s_add_u32 s1, s1, s4
	s_addc_u32 s3, s3, s5
	v_add_co_u32 v1, s1, s1, v65
	v_add_co_ci_u32_e64 v2, null, s3, 0, s1
	v_lshlrev_b64 v[11:12], 1, v[11:12]
	s_delay_alu instid0(VALU_DEP_3) | instskip(NEXT) | instid1(VALU_DEP_3)
	v_add_co_u32 v13, vcc_lo, v1, v13
	v_add_co_ci_u32_e32 v14, vcc_lo, v2, v14, vcc_lo
	s_delay_alu instid0(VALU_DEP_3) | instskip(NEXT) | instid1(VALU_DEP_4)
	v_add_co_u32 v11, vcc_lo, v1, v11
	v_add_co_ci_u32_e32 v12, vcc_lo, v2, v12, vcc_lo
	s_clause 0x1
	global_store_b128 v[13:14], v[3:6], off
	global_store_b128 v[11:12], v[7:10], off
	s_and_b32 exec_lo, exec_lo, s2
	s_cbranch_execz .LBB1014_2
; %bb.16:
	ds_load_b128 v[3:6], v0 offset:256
	s_add_i32 s1, s31, 4
	s_delay_alu instid0(SALU_CYCLE_1) | instskip(NEXT) | instid1(SALU_CYCLE_1)
	s_mul_i32 s0, s1, s0
	s_ashr_i32 s1, s0, 31
	s_delay_alu instid0(SALU_CYCLE_1) | instskip(NEXT) | instid1(SALU_CYCLE_1)
	s_lshl_b64 s[0:1], s[0:1], 1
	v_add_co_u32 v0, vcc_lo, v1, s0
	v_add_co_ci_u32_e32 v1, vcc_lo, s1, v2, vcc_lo
	s_waitcnt lgkmcnt(0)
	global_store_b128 v[0:1], v[3:6], off
	s_nop 0
	s_sendmsg sendmsg(MSG_DEALLOC_VGPRS)
	s_endpgm
	.section	.rodata,"a",@progbits
	.p2align	6, 0x0
	.amdhsa_kernel _Z39paged_attention_ll4mi_QKV_mfma16_kernelIDF16_hLN4vllm18Fp8KVCacheDataTypeE1EhLi32ELi128ELi256ELb1ELi5EL8MFMAType1EEvPKT_PKT0_S8_ifPKiSA_SA_iPKfiiiPfSD_PS3_PT2_iSC_SC_
		.amdhsa_group_segment_fixed_size 17472
		.amdhsa_private_segment_fixed_size 0
		.amdhsa_kernarg_size 400
		.amdhsa_user_sgpr_count 13
		.amdhsa_user_sgpr_dispatch_ptr 0
		.amdhsa_user_sgpr_queue_ptr 0
		.amdhsa_user_sgpr_kernarg_segment_ptr 1
		.amdhsa_user_sgpr_dispatch_id 0
		.amdhsa_user_sgpr_private_segment_size 0
		.amdhsa_wavefront_size32 1
		.amdhsa_uses_dynamic_stack 0
		.amdhsa_enable_private_segment 0
		.amdhsa_system_sgpr_workgroup_id_x 1
		.amdhsa_system_sgpr_workgroup_id_y 1
		.amdhsa_system_sgpr_workgroup_id_z 1
		.amdhsa_system_sgpr_workgroup_info 0
		.amdhsa_system_vgpr_workitem_id 0
		.amdhsa_next_free_vgpr 150
		.amdhsa_next_free_sgpr 37
		.amdhsa_reserve_vcc 1
		.amdhsa_float_round_mode_32 0
		.amdhsa_float_round_mode_16_64 0
		.amdhsa_float_denorm_mode_32 3
		.amdhsa_float_denorm_mode_16_64 3
		.amdhsa_dx10_clamp 1
		.amdhsa_ieee_mode 1
		.amdhsa_fp16_overflow 0
		.amdhsa_workgroup_processor_mode 1
		.amdhsa_memory_ordered 1
		.amdhsa_forward_progress 0
		.amdhsa_shared_vgpr_count 0
		.amdhsa_exception_fp_ieee_invalid_op 0
		.amdhsa_exception_fp_denorm_src 0
		.amdhsa_exception_fp_ieee_div_zero 0
		.amdhsa_exception_fp_ieee_overflow 0
		.amdhsa_exception_fp_ieee_underflow 0
		.amdhsa_exception_fp_ieee_inexact 0
		.amdhsa_exception_int_div_zero 0
	.end_amdhsa_kernel
	.section	.text._Z39paged_attention_ll4mi_QKV_mfma16_kernelIDF16_hLN4vllm18Fp8KVCacheDataTypeE1EhLi32ELi128ELi256ELb1ELi5EL8MFMAType1EEvPKT_PKT0_S8_ifPKiSA_SA_iPKfiiiPfSD_PS3_PT2_iSC_SC_,"axG",@progbits,_Z39paged_attention_ll4mi_QKV_mfma16_kernelIDF16_hLN4vllm18Fp8KVCacheDataTypeE1EhLi32ELi128ELi256ELb1ELi5EL8MFMAType1EEvPKT_PKT0_S8_ifPKiSA_SA_iPKfiiiPfSD_PS3_PT2_iSC_SC_,comdat
.Lfunc_end1014:
	.size	_Z39paged_attention_ll4mi_QKV_mfma16_kernelIDF16_hLN4vllm18Fp8KVCacheDataTypeE1EhLi32ELi128ELi256ELb1ELi5EL8MFMAType1EEvPKT_PKT0_S8_ifPKiSA_SA_iPKfiiiPfSD_PS3_PT2_iSC_SC_, .Lfunc_end1014-_Z39paged_attention_ll4mi_QKV_mfma16_kernelIDF16_hLN4vllm18Fp8KVCacheDataTypeE1EhLi32ELi128ELi256ELb1ELi5EL8MFMAType1EEvPKT_PKT0_S8_ifPKiSA_SA_iPKfiiiPfSD_PS3_PT2_iSC_SC_
                                        ; -- End function
	.section	.AMDGPU.csdata,"",@progbits
; Kernel info:
; codeLenInByte = 6660
; NumSgprs: 39
; NumVgprs: 150
; ScratchSize: 0
; MemoryBound: 0
; FloatMode: 240
; IeeeMode: 1
; LDSByteSize: 17472 bytes/workgroup (compile time only)
; SGPRBlocks: 4
; VGPRBlocks: 18
; NumSGPRsForWavesPerEU: 39
; NumVGPRsForWavesPerEU: 150
; Occupancy: 9
; WaveLimiterHint : 1
; COMPUTE_PGM_RSRC2:SCRATCH_EN: 0
; COMPUTE_PGM_RSRC2:USER_SGPR: 13
; COMPUTE_PGM_RSRC2:TRAP_HANDLER: 0
; COMPUTE_PGM_RSRC2:TGID_X_EN: 1
; COMPUTE_PGM_RSRC2:TGID_Y_EN: 1
; COMPUTE_PGM_RSRC2:TGID_Z_EN: 1
; COMPUTE_PGM_RSRC2:TIDIG_COMP_CNT: 0
	.section	.text._Z39paged_attention_ll4mi_QKV_mfma16_kernelIDF16_hLN4vllm18Fp8KVCacheDataTypeE1EhLi32ELi128ELi256ELb1ELi6EL8MFMAType1EEvPKT_PKT0_S8_ifPKiSA_SA_iPKfiiiPfSD_PS3_PT2_iSC_SC_,"axG",@progbits,_Z39paged_attention_ll4mi_QKV_mfma16_kernelIDF16_hLN4vllm18Fp8KVCacheDataTypeE1EhLi32ELi128ELi256ELb1ELi6EL8MFMAType1EEvPKT_PKT0_S8_ifPKiSA_SA_iPKfiiiPfSD_PS3_PT2_iSC_SC_,comdat
	.protected	_Z39paged_attention_ll4mi_QKV_mfma16_kernelIDF16_hLN4vllm18Fp8KVCacheDataTypeE1EhLi32ELi128ELi256ELb1ELi6EL8MFMAType1EEvPKT_PKT0_S8_ifPKiSA_SA_iPKfiiiPfSD_PS3_PT2_iSC_SC_ ; -- Begin function _Z39paged_attention_ll4mi_QKV_mfma16_kernelIDF16_hLN4vllm18Fp8KVCacheDataTypeE1EhLi32ELi128ELi256ELb1ELi6EL8MFMAType1EEvPKT_PKT0_S8_ifPKiSA_SA_iPKfiiiPfSD_PS3_PT2_iSC_SC_
	.globl	_Z39paged_attention_ll4mi_QKV_mfma16_kernelIDF16_hLN4vllm18Fp8KVCacheDataTypeE1EhLi32ELi128ELi256ELb1ELi6EL8MFMAType1EEvPKT_PKT0_S8_ifPKiSA_SA_iPKfiiiPfSD_PS3_PT2_iSC_SC_
	.p2align	8
	.type	_Z39paged_attention_ll4mi_QKV_mfma16_kernelIDF16_hLN4vllm18Fp8KVCacheDataTypeE1EhLi32ELi128ELi256ELb1ELi6EL8MFMAType1EEvPKT_PKT0_S8_ifPKiSA_SA_iPKfiiiPfSD_PS3_PT2_iSC_SC_,@function
_Z39paged_attention_ll4mi_QKV_mfma16_kernelIDF16_hLN4vllm18Fp8KVCacheDataTypeE1EhLi32ELi128ELi256ELb1ELi6EL8MFMAType1EEvPKT_PKT0_S8_ifPKiSA_SA_iPKfiiiPfSD_PS3_PT2_iSC_SC_: ; @_Z39paged_attention_ll4mi_QKV_mfma16_kernelIDF16_hLN4vllm18Fp8KVCacheDataTypeE1EhLi32ELi128ELi256ELb1ELi6EL8MFMAType1EEvPKT_PKT0_S8_ifPKiSA_SA_iPKfiiiPfSD_PS3_PT2_iSC_SC_
; %bb.0:
	s_load_b64 s[4:5], s[0:1], 0x30
	s_mov_b32 s30, s13
	s_waitcnt lgkmcnt(0)
	s_cmp_lg_u64 s[4:5], 0
	s_cselect_b32 s8, -1, 0
	s_ashr_i32 s31, s13, 31
	s_cmp_eq_u64 s[4:5], 0
	s_cbranch_scc1 .LBB1015_3
; %bb.1:
	s_lshl_b64 s[2:3], s[30:31], 2
	s_delay_alu instid0(SALU_CYCLE_1) | instskip(SKIP_4) | instid1(SALU_CYCLE_1)
	s_add_u32 s2, s4, s2
	s_addc_u32 s3, s5, s3
	s_load_b64 s[2:3], s[2:3], 0x0
	s_waitcnt lgkmcnt(0)
	s_sub_i32 s2, s3, s2
	s_cmp_eq_u32 s2, 1
	s_cselect_b32 s2, -1, 0
	s_delay_alu instid0(SALU_CYCLE_1)
	s_and_not1_b32 vcc_lo, exec_lo, s2
	s_cbranch_vccz .LBB1015_4
.LBB1015_2:
	s_endpgm
.LBB1015_3:
.LBB1015_4:
	s_load_b64 s[2:3], s[0:1], 0x28
	s_lshl_b64 s[6:7], s[30:31], 2
	s_waitcnt lgkmcnt(0)
	s_add_u32 s2, s2, s6
	s_addc_u32 s3, s3, s7
	s_lshl_b32 s12, s14, 8
	s_load_b32 s24, s[2:3], 0x0
	s_waitcnt lgkmcnt(0)
	s_cmp_ge_i32 s12, s24
	s_cbranch_scc1 .LBB1015_2
; %bb.5:
	s_clause 0x1
	s_load_b128 s[20:23], s[0:1], 0x8
	s_load_b64 s[2:3], s[0:1], 0x20
	s_and_not1_b32 vcc_lo, exec_lo, s8
	s_cbranch_vccnz .LBB1015_7
; %bb.6:
	s_add_u32 s4, s4, s6
	s_addc_u32 s5, s5, s7
	s_load_b32 s5, s[4:5], 0x0
	s_branch .LBB1015_8
.LBB1015_7:
	s_mov_b32 s5, s30
.LBB1015_8:
	s_load_b128 s[16:19], s[0:1], 0x48
	v_and_b32_e32 v68, 15, v0
	v_lshrrev_b32_e32 v69, 5, v0
	v_and_b32_e32 v70, 31, v0
	v_and_b32_e32 v67, 1, v0
	v_bfe_u32 v66, v0, 4, 1
	v_lshlrev_b32_e32 v1, 3, v68
	s_mul_i32 s31, s15, 6
	s_mov_b32 s4, exec_lo
	s_delay_alu instid0(VALU_DEP_1)
	v_lshlrev_b32_e32 v65, 1, v1
	v_cmpx_gt_u32_e32 0x60, v0
	s_cbranch_execz .LBB1015_10
; %bb.9:
	s_load_b64 s[6:7], s[0:1], 0x0
	v_lshl_or_b32 v5, v69, 1, v66
	s_waitcnt lgkmcnt(0)
	s_mul_hi_i32 s9, s5, s16
	s_mul_i32 s8, s5, s16
	v_lshlrev_b32_e32 v6, 10, v68
	s_lshl_b64 s[8:9], s[8:9], 1
	v_add_lshl_u32 v1, v5, s31, 7
	v_lshlrev_b32_e32 v5, 6, v5
	v_lshlrev_b32_e32 v7, 10, v67
	v_and_b32_e32 v6, 0x3800, v6
	s_delay_alu instid0(VALU_DEP_4) | instskip(NEXT) | instid1(VALU_DEP_2)
	v_ashrrev_i32_e32 v2, 31, v1
	v_or3_b32 v5, v6, v7, v5
	s_delay_alu instid0(VALU_DEP_2) | instskip(SKIP_2) | instid1(VALU_DEP_1)
	v_lshlrev_b64 v[1:2], 1, v[1:2]
	s_add_u32 s5, s6, s8
	s_addc_u32 s6, s7, s9
	v_add_co_u32 v1, vcc_lo, s5, v1
	s_delay_alu instid0(VALU_DEP_2) | instskip(NEXT) | instid1(VALU_DEP_2)
	v_add_co_ci_u32_e32 v2, vcc_lo, s6, v2, vcc_lo
	v_add_co_u32 v1, vcc_lo, v1, v65
	s_delay_alu instid0(VALU_DEP_2)
	v_add_co_ci_u32_e32 v2, vcc_lo, 0, v2, vcc_lo
	global_load_b128 v[1:4], v[1:2], off
	s_waitcnt vmcnt(0)
	ds_store_b128 v5, v[1:4]
.LBB1015_10:
	s_or_b32 exec_lo, exec_lo, s4
	v_and_b32_e32 v1, 0xef, v0
	s_waitcnt lgkmcnt(0)
	s_add_i32 s5, s24, 31
	s_clause 0x1
	s_load_b32 s4, s[0:1], 0x38
	s_load_b32 s33, s[0:1], 0x98
	s_ashr_i32 s6, s5, 31
	v_add_nc_u32_e32 v1, s12, v1
	s_lshr_b32 s6, s6, 27
	s_load_b32 s19, s[0:1], 0x1c
	s_add_i32 s5, s5, s6
	s_waitcnt lgkmcnt(0)
	v_ashrrev_i32_e32 v2, 31, v1
	v_or_b32_e32 v3, 16, v1
	s_ashr_i32 s13, s5, 5
	v_cmp_gt_i32_e32 vcc_lo, s24, v1
	s_add_i32 s13, s13, -1
	v_lshrrev_b32_e32 v2, 27, v2
	s_barrier
	buffer_gl0_inv
	s_mul_i32 s15, s15, s18
	v_add_nc_u32_e32 v4, v1, v2
	s_mul_i32 s4, s30, s4
	s_delay_alu instid0(SALU_CYCLE_1) | instskip(NEXT) | instid1(VALU_DEP_1)
	s_ashr_i32 s5, s4, 31
	v_ashrrev_i32_e32 v4, 5, v4
	v_add_nc_u32_e32 v2, v3, v2
	s_lshl_b64 s[4:5], s[4:5], 2
	s_delay_alu instid0(SALU_CYCLE_1) | instskip(NEXT) | instid1(VALU_DEP_2)
	s_add_u32 s16, s2, s4
	v_cndmask_b32_e32 v1, s13, v4, vcc_lo
	s_delay_alu instid0(VALU_DEP_2)
	v_ashrrev_i32_e32 v2, 5, v2
	v_cmp_gt_i32_e32 vcc_lo, s24, v3
	s_addc_u32 s25, s3, s5
	s_ashr_i32 s18, s15, 31
	s_add_u32 s2, s20, s15
	s_addc_u32 s3, s21, s18
	v_cndmask_b32_e32 v3, s13, v2, vcc_lo
	v_ashrrev_i32_e32 v2, 31, v1
	s_lshl_b32 s4, s14, 3
	s_delay_alu instid0(SALU_CYCLE_1) | instskip(NEXT) | instid1(VALU_DEP_2)
	s_ashr_i32 s5, s4, 31
	v_ashrrev_i32_e32 v4, 31, v3
	s_delay_alu instid0(VALU_DEP_2) | instskip(SKIP_1) | instid1(SALU_CYCLE_1)
	v_lshlrev_b64 v[1:2], 2, v[1:2]
	s_lshl_b64 s[4:5], s[4:5], 2
	s_add_u32 s4, s16, s4
	s_delay_alu instid0(VALU_DEP_2) | instskip(SKIP_1) | instid1(VALU_DEP_2)
	v_lshlrev_b64 v[3:4], 2, v[3:4]
	s_addc_u32 s5, s25, s5
	v_add_co_u32 v1, vcc_lo, s16, v1
	v_add_co_ci_u32_e32 v2, vcc_lo, s25, v2, vcc_lo
	s_delay_alu instid0(VALU_DEP_3) | instskip(NEXT) | instid1(VALU_DEP_4)
	v_add_co_u32 v3, vcc_lo, s16, v3
	v_add_co_ci_u32_e32 v4, vcc_lo, s25, v4, vcc_lo
	s_clause 0x1
	global_load_b32 v5, v[1:2], off
	global_load_b32 v6, v[3:4], off
	s_or_b32 s6, s12, 32
	s_delay_alu instid0(SALU_CYCLE_1) | instskip(SKIP_2) | instid1(SALU_CYCLE_1)
	s_ashr_i32 s7, s6, 5
	s_cmp_lt_i32 s6, s24
	s_cselect_b32 s6, s7, s13
	s_ashr_i32 s7, s6, 31
	s_delay_alu instid0(SALU_CYCLE_1) | instskip(NEXT) | instid1(SALU_CYCLE_1)
	s_lshl_b64 s[6:7], s[6:7], 2
	s_add_u32 s6, s16, s6
	s_addc_u32 s7, s25, s7
	s_or_b32 s8, s12, 64
	s_delay_alu instid0(SALU_CYCLE_1) | instskip(SKIP_2) | instid1(SALU_CYCLE_1)
	s_ashr_i32 s9, s8, 5
	s_cmp_lt_i32 s8, s24
	s_cselect_b32 s8, s9, s13
	s_ashr_i32 s9, s8, 31
	s_delay_alu instid0(SALU_CYCLE_1) | instskip(NEXT) | instid1(SALU_CYCLE_1)
	s_lshl_b64 s[8:9], s[8:9], 2
	s_add_u32 s8, s16, s8
	s_addc_u32 s9, s25, s9
	;; [unrolled: 10-line block ×5, first 2 shown]
	s_clause 0x5
	s_load_b32 s28, s[4:5], 0x0
	s_load_b32 s29, s[6:7], 0x0
	;; [unrolled: 1-line block ×6, first 2 shown]
	s_mov_b32 s4, 0
	s_delay_alu instid0(SALU_CYCLE_1)
	s_mov_b32 s5, s4
	s_mov_b32 s6, s4
	;; [unrolled: 1-line block ×7, first 2 shown]
	s_delay_alu instid0(SALU_CYCLE_1)
	v_dual_mov_b32 v118, s11 :: v_dual_mov_b32 v117, s10
	v_dual_mov_b32 v116, s9 :: v_dual_mov_b32 v115, s8
	v_mov_b32_e32 v113, s6
	v_dual_mov_b32 v111, s4 :: v_dual_mov_b32 v114, s7
	v_mov_b32_e32 v112, s5
	s_waitcnt vmcnt(1)
	v_mad_i64_i32 v[1:2], null, v5, s17, s[2:3]
	v_lshlrev_b32_e32 v5, 4, v68
	s_waitcnt vmcnt(0)
	v_mad_i64_i32 v[3:4], null, v6, s17, s[2:3]
	s_or_b32 s2, s12, 0xc0
	s_delay_alu instid0(SALU_CYCLE_1) | instskip(NEXT) | instid1(VALU_DEP_3)
	s_ashr_i32 s3, s2, 5
	v_add_co_u32 v1, vcc_lo, v1, v5
	s_delay_alu instid0(VALU_DEP_4) | instskip(NEXT) | instid1(VALU_DEP_3)
	v_add_co_ci_u32_e32 v2, vcc_lo, 0, v2, vcc_lo
	v_add_co_u32 v3, vcc_lo, v3, v5
	s_delay_alu instid0(VALU_DEP_4)
	v_add_co_ci_u32_e32 v4, vcc_lo, 0, v4, vcc_lo
	s_clause 0xf
	global_load_b128 v[17:20], v[1:2], off
	global_load_b128 v[21:24], v[1:2], off offset:512
	global_load_b128 v[25:28], v[3:4], off offset:256
	;; [unrolled: 1-line block ×15, first 2 shown]
	v_mul_lo_u16 v1, v68, 43
	s_cmp_lt_i32 s2, s24
	v_lshlrev_b32_e32 v2, 5, v68
	s_cselect_b32 s2, s3, s13
	s_delay_alu instid0(VALU_DEP_2) | instskip(SKIP_1) | instid1(SALU_CYCLE_1)
	v_lshrrev_b16 v1, 8, v1
	s_ashr_i32 s3, s2, 31
	s_lshl_b64 s[2:3], s[2:3], 2
	s_delay_alu instid0(VALU_DEP_1) | instskip(SKIP_3) | instid1(VALU_DEP_1)
	v_mul_lo_u16 v1, v1, 6
	s_add_u32 s2, s16, s2
	s_addc_u32 s3, s25, s3
	s_or_b32 s20, s12, 0xe0
	v_sub_nc_u16 v1, v68, v1
	s_ashr_i32 s21, s20, 5
	s_cmp_lt_i32 s20, s24
	s_cselect_b32 s20, s21, s13
	s_delay_alu instid0(VALU_DEP_1) | instskip(SKIP_1) | instid1(SALU_CYCLE_1)
	v_and_b32_e32 v1, 0xff, v1
	s_ashr_i32 s21, s20, 31
	s_lshl_b64 s[4:5], s[20:21], 2
	s_delay_alu instid0(VALU_DEP_1)
	v_lshlrev_b32_e32 v149, 6, v1
	s_add_u32 s4, s16, s4
	s_addc_u32 s5, s25, s5
	v_lshl_or_b32 v1, v69, 9, v2
	ds_load_b128 v[119:122], v149
	ds_load_b128 v[123:126], v149 offset:1024
	ds_load_b128 v[127:130], v149 offset:2048
	;; [unrolled: 1-line block ×3, first 2 shown]
	s_clause 0x1
	s_load_b32 s2, s[2:3], 0x0
	s_load_b32 s3, s[4:5], 0x0
	s_add_u32 s6, s22, s15
	s_addc_u32 s7, s23, s18
	v_add_co_u32 v135, s6, s6, v1
	s_delay_alu instid0(VALU_DEP_1) | instskip(SKIP_1) | instid1(VALU_DEP_1)
	v_add_co_ci_u32_e64 v136, null, s7, 0, s6
	s_waitcnt lgkmcnt(0)
	v_mad_i64_i32 v[1:2], null, s28, s17, v[135:136]
	v_mad_i64_i32 v[3:4], null, s29, s17, v[135:136]
	;; [unrolled: 1-line block ×6, first 2 shown]
	s_clause 0x9
	global_load_b128 v[49:52], v[1:2], off
	global_load_b128 v[53:56], v[1:2], off offset:16
	global_load_b128 v[41:44], v[3:4], off
	global_load_b128 v[45:48], v[3:4], off offset:16
	;; [unrolled: 2-line block ×5, first 2 shown]
	v_mad_i64_i32 v[145:146], null, s2, s17, v[135:136]
	v_mad_i64_i32 v[147:148], null, s3, s17, v[135:136]
	s_waitcnt vmcnt(24)
	v_wmma_f32_16x16x16_f16 v[135:142], v[17:24], v[119:126], v[111:118]
	s_waitcnt vmcnt(22)
	v_wmma_f32_16x16x16_f16 v[111:118], v[25:32], v[119:126], v[111:118]
	s_clause 0x3
	global_load_b128 v[17:20], v[143:144], off
	global_load_b128 v[21:24], v[143:144], off offset:16
	global_load_b128 v[25:28], v[145:146], off
	global_load_b128 v[29:32], v[145:146], off offset:16
	v_and_b32_e32 v119, 0xe0, v0
	s_waitcnt vmcnt(24)
	v_wmma_f32_16x16x16_f16 v[135:142], v[57:64], v[127:134], v[135:142]
	s_clause 0x1
	global_load_b128 v[57:60], v[147:148], off
	global_load_b128 v[61:64], v[147:148], off offset:16
	s_waitcnt vmcnt(24)
	v_wmma_f32_16x16x16_f16 v[111:118], v[71:78], v[127:134], v[111:118]
	ds_load_b128 v[71:74], v149 offset:4096
	ds_load_b128 v[75:78], v149 offset:5120
	v_add_nc_u32_e32 v128, s12, v119
	ds_load_b128 v[119:122], v149 offset:6144
	ds_load_b128 v[123:126], v149 offset:7168
	v_mbcnt_lo_u32_b32 v127, -1, 0
	s_waitcnt vmcnt(0) lgkmcnt(0)
	s_barrier
	v_or_b32_e32 v128, v128, v66
	buffer_gl0_inv
	v_xor_b32_e32 v129, 16, v127
	v_or_b32_e32 v130, 4, v128
	v_or_b32_e32 v131, 6, v128
	s_delay_alu instid0(VALU_DEP_3) | instskip(SKIP_4) | instid1(VALU_DEP_4)
	v_cmp_gt_i32_e32 vcc_lo, 32, v129
	v_or_b32_e32 v132, 8, v128
	v_or_b32_e32 v133, 10, v128
	v_cmp_gt_i32_e64 s3, s24, v130
	v_cmp_gt_i32_e64 s4, s24, v131
	;; [unrolled: 1-line block ×3, first 2 shown]
	v_wmma_f32_16x16x16_f16 v[135:142], v[79:86], v[71:78], v[135:142]
	v_wmma_f32_16x16x16_f16 v[111:118], v[87:94], v[71:78], v[111:118]
	v_or_b32_e32 v79, 12, v128
	v_or_b32_e32 v80, 14, v128
	v_cmp_gt_i32_e64 s6, s24, v133
	v_wmma_f32_16x16x16_f16 v[135:142], v[95:102], v[119:126], v[135:142]
	v_cndmask_b32_e32 v127, v127, v129, vcc_lo
	v_or_b32_e32 v129, 2, v128
	v_wmma_f32_16x16x16_f16 v[111:118], v[103:110], v[119:126], v[111:118]
	v_cmp_gt_i32_e32 vcc_lo, s24, v128
	v_dual_mul_f32 v88, s19, v135 :: v_dual_mul_f32 v87, s19, v136
	s_delay_alu instid0(VALU_DEP_4) | instskip(NEXT) | instid1(VALU_DEP_4)
	v_cmp_gt_i32_e64 s2, s24, v129
	v_mul_f32_e32 v94, s19, v113
	v_mul_f32_e32 v78, s19, v138
	;; [unrolled: 1-line block ×3, first 2 shown]
	v_cndmask_b32_e32 v88, 0xff7fffff, v88, vcc_lo
	v_cndmask_b32_e64 v87, 0xff7fffff, v87, s2
	v_dual_mul_f32 v76, s19, v140 :: v_dual_mul_f32 v77, s19, v139
	v_mul_f32_e32 v90, s19, v117
	v_cndmask_b32_e64 v86, 0xff7fffff, v86, s3
	v_cndmask_b32_e64 v78, 0xff7fffff, v78, s4
	v_max3_f32 v87, v88, 0xff7fffff, v87
	v_or_b32_e32 v81, 16, v128
	v_or_b32_e32 v82, 18, v128
	v_dual_mul_f32 v74, s19, v142 :: v_dual_mul_f32 v75, s19, v141
	v_mul_f32_e32 v92, s19, v115
	v_cndmask_b32_e64 v77, 0xff7fffff, v77, s5
	v_cndmask_b32_e64 v76, 0xff7fffff, v76, s6
	v_max3_f32 v78, v87, v86, v78
	v_cmp_gt_i32_e64 s7, s24, v79
	v_cmp_gt_i32_e64 s8, s24, v80
	v_or_b32_e32 v83, 20, v128
	v_or_b32_e32 v84, 22, v128
	v_dual_mul_f32 v89, s19, v118 :: v_dual_mul_f32 v96, s19, v111
	v_mul_f32_e32 v95, s19, v112
	v_cndmask_b32_e64 v75, 0xff7fffff, v75, s7
	v_cndmask_b32_e64 v74, 0xff7fffff, v74, s8
	v_max3_f32 v76, v78, v77, v76
	v_cmp_gt_i32_e64 s9, s24, v81
	v_cmp_gt_i32_e64 s10, s24, v82
	v_or_b32_e32 v85, 24, v128
	v_or_b32_e32 v71, 26, v128
	v_mul_f32_e32 v93, s19, v114
	v_cndmask_b32_e64 v77, 0xff7fffff, v96, s9
	v_cndmask_b32_e64 v78, 0xff7fffff, v95, s10
	v_max3_f32 v74, v76, v75, v74
	v_cmp_gt_i32_e64 s11, s24, v83
	v_cmp_gt_i32_e64 s12, s24, v84
	v_or_b32_e32 v72, 28, v128
	v_or_b32_e32 v73, 30, v128
	v_mul_f32_e32 v91, s19, v116
	v_cndmask_b32_e64 v75, 0xff7fffff, v94, s11
	v_cndmask_b32_e64 v76, 0xff7fffff, v93, s12
	v_max3_f32 v74, v74, v77, v78
	v_cmp_gt_i32_e64 s13, s24, v85
	v_cmp_gt_i32_e64 s15, s24, v71
	v_cmp_gt_i32_e64 s16, s24, v72
	v_cmp_gt_i32_e64 s17, s24, v73
	v_max3_f32 v74, v74, v75, v76
	v_cndmask_b32_e64 v77, 0xff7fffff, v92, s13
	v_cndmask_b32_e64 v71, 0xff7fffff, v91, s15
	;; [unrolled: 1-line block ×4, first 2 shown]
	s_delay_alu instid0(VALU_DEP_3) | instskip(SKIP_1) | instid1(VALU_DEP_2)
	v_max3_f32 v71, v74, v77, v71
	v_lshlrev_b32_e32 v74, 2, v127
	v_max3_f32 v71, v71, v72, v73
	ds_bpermute_b32 v72, v74, v71
	s_waitcnt lgkmcnt(0)
	v_max_f32_e32 v72, v72, v72
	s_delay_alu instid0(VALU_DEP_1) | instskip(NEXT) | instid1(VALU_DEP_1)
	v_max_f32_e32 v71, v71, v72
	v_fma_f32 v75, s19, v137, -v71
	v_fma_f32 v76, s19, v138, -v71
	;; [unrolled: 1-line block ×5, first 2 shown]
	s_delay_alu instid0(VALU_DEP_4) | instskip(NEXT) | instid1(VALU_DEP_4)
	v_dual_mul_f32 v75, 0x3fb8aa3b, v75 :: v_dual_mul_f32 v76, 0x3fb8aa3b, v76
	v_mul_f32_e32 v72, 0x3fb8aa3b, v72
	v_fma_f32 v77, s19, v139, -v71
	s_delay_alu instid0(VALU_DEP_4) | instskip(NEXT) | instid1(VALU_DEP_4)
	v_mul_f32_e32 v73, 0x3fb8aa3b, v73
	v_exp_f32_e32 v75, v75
	v_exp_f32_e32 v76, v76
	;; [unrolled: 1-line block ×3, first 2 shown]
	s_delay_alu instid0(VALU_DEP_1) | instskip(SKIP_2) | instid1(TRANS32_DEP_3)
	v_exp_f32_e32 v73, v73
	v_cndmask_b32_e64 v81, 0, v75, s3
	v_mul_f32_e32 v82, 0x3fb8aa3b, v80
	v_cndmask_b32_e64 v80, 0, v76, s4
	s_waitcnt_depctr 0xfff
	v_cndmask_b32_e64 v78, 0, v73, s2
	s_mov_b32 s2, exec_lo
	v_exp_f32_e32 v84, v82
	s_waitcnt_depctr 0xfff
	v_cndmask_b32_e64 v85, 0, v84, s7
	v_cndmask_b32_e32 v79, 0, v72, vcc_lo
	v_fma_f32 v72, s19, v140, -v71
	v_mul_f32_e32 v77, 0x3fb8aa3b, v77
	s_delay_alu instid0(VALU_DEP_2) | instskip(NEXT) | instid1(VALU_DEP_2)
	v_dual_add_f32 v73, 0, v79 :: v_dual_mul_f32 v72, 0x3fb8aa3b, v72
	v_exp_f32_e32 v77, v77
	s_delay_alu instid0(VALU_DEP_1) | instskip(NEXT) | instid1(VALU_DEP_2)
	v_add_f32_e32 v73, v73, v78
	v_exp_f32_e32 v72, v72
	s_delay_alu instid0(VALU_DEP_1) | instskip(SKIP_4) | instid1(VALU_DEP_2)
	v_add_f32_e32 v73, v73, v81
	s_waitcnt_depctr 0xfff
	v_cndmask_b32_e64 v83, 0, v77, s5
	v_add_f32_e32 v73, v73, v80
	v_cndmask_b32_e64 v82, 0, v72, s6
	v_add_f32_e32 v72, v73, v83
	s_delay_alu instid0(VALU_DEP_1)
	v_add_f32_e32 v72, v72, v82
	v_fma_f32 v75, s19, v142, -v71
	v_fma_f32 v76, s19, v111, -v71
	;; [unrolled: 1-line block ×5, first 2 shown]
	s_delay_alu instid0(VALU_DEP_4) | instskip(NEXT) | instid1(VALU_DEP_4)
	v_dual_mul_f32 v75, 0x3fb8aa3b, v75 :: v_dual_mul_f32 v76, 0x3fb8aa3b, v76
	v_mul_f32_e32 v86, 0x3fb8aa3b, v86
	v_add_f32_e32 v72, v72, v85
	s_delay_alu instid0(VALU_DEP_3) | instskip(NEXT) | instid1(VALU_DEP_3)
	v_exp_f32_e32 v75, v75
	v_exp_f32_e32 v76, v76
	s_delay_alu instid0(VALU_DEP_2) | instskip(NEXT) | instid1(TRANS32_DEP_3)
	v_exp_f32_e32 v88, v86
	v_cndmask_b32_e64 v84, 0, v75, s8
	v_mul_f32_e32 v77, 0x3fb8aa3b, v77
	s_waitcnt_depctr 0xfff
	v_cndmask_b32_e64 v87, 0, v76, s9
	v_fma_f32 v76, s19, v116, -v71
	v_dual_mul_f32 v73, 0x3fb8aa3b, v73 :: v_dual_add_f32 v72, v72, v84
	v_exp_f32_e32 v77, v77
	v_fma_f32 v75, s19, v115, -v71
	s_delay_alu instid0(VALU_DEP_3) | instskip(NEXT) | instid1(VALU_DEP_3)
	v_mul_f32_e32 v76, 0x3fb8aa3b, v76
	v_exp_f32_e32 v73, v73
	v_add_f32_e32 v72, v72, v87
	v_cndmask_b32_e64 v88, 0, v88, s12
	s_delay_alu instid0(VALU_DEP_3) | instskip(NEXT) | instid1(TRANS32_DEP_3)
	v_exp_f32_e32 v76, v76
	v_cndmask_b32_e64 v86, 0, v77, s10
	v_mul_f32_e32 v75, 0x3fb8aa3b, v75
	v_fma_f32 v77, s19, v117, -v71
	s_delay_alu instid0(TRANS32_DEP_2) | instskip(NEXT) | instid1(VALU_DEP_4)
	v_cndmask_b32_e64 v89, 0, v73, s11
	v_add_f32_e32 v72, v72, v86
	s_delay_alu instid0(VALU_DEP_4) | instskip(NEXT) | instid1(TRANS32_DEP_2)
	v_exp_f32_e32 v75, v75
	v_cndmask_b32_e64 v90, 0, v76, s15
	s_delay_alu instid0(VALU_DEP_2) | instskip(SKIP_2) | instid1(VALU_DEP_3)
	v_add_f32_e32 v72, v72, v89
	v_mul_f32_e32 v73, 0x3fb8aa3b, v77
	v_fma_f32 v77, s19, v118, -v71
	v_add_f32_e32 v72, v72, v88
	s_delay_alu instid0(VALU_DEP_3) | instskip(NEXT) | instid1(TRANS32_DEP_2)
	v_exp_f32_e32 v73, v73
	v_cndmask_b32_e64 v91, 0, v75, s13
	s_delay_alu instid0(VALU_DEP_1) | instskip(NEXT) | instid1(VALU_DEP_1)
	v_dual_mul_f32 v75, 0x3fb8aa3b, v77 :: v_dual_add_f32 v72, v72, v91
	v_exp_f32_e32 v75, v75
	s_waitcnt_depctr 0xfff
	v_cndmask_b32_e64 v93, 0, v73, s16
	v_add_f32_e32 v72, v72, v90
	s_delay_alu instid0(VALU_DEP_1) | instskip(SKIP_1) | instid1(VALU_DEP_1)
	v_add_f32_e32 v72, v72, v93
	v_cndmask_b32_e64 v92, 0, v75, s17
	v_add_f32_e32 v72, v72, v92
	ds_bpermute_b32 v73, v74, v72
	v_cmpx_gt_u32_e32 16, v70
	s_cbranch_execz .LBB1015_12
; %bb.11:
	v_mul_u32_u24_e32 v70, 0x44, v69
	s_waitcnt lgkmcnt(0)
	v_add_f32_e32 v72, v72, v73
	s_delay_alu instid0(VALU_DEP_2) | instskip(NEXT) | instid1(VALU_DEP_1)
	v_lshl_add_u32 v70, v68, 2, v70
	v_add_nc_u32_e32 v70, 0x4000, v70
	ds_store_2addr_b32 v70, v71, v72 offset1:136
.LBB1015_12:
	s_or_b32 exec_lo, exec_lo, s2
	v_lshlrev_b32_e32 v70, 2, v68
	s_load_b32 s34, s[0:1], 0x94
	s_waitcnt lgkmcnt(0)
	s_barrier
	buffer_gl0_inv
	v_add_nc_u32_e32 v98, 0x4000, v70
	v_cmp_eq_u32_e32 vcc_lo, 1, v69
	v_cmp_eq_u32_e64 s2, 2, v69
	v_cmp_eq_u32_e64 s3, 3, v69
	;; [unrolled: 1-line block ×3, first 2 shown]
	ds_load_2addr_b32 v[70:71], v98 offset1:17
	ds_load_2addr_b32 v[72:73], v98 offset0:34 offset1:51
	ds_load_2addr_b32 v[74:75], v98 offset0:68 offset1:85
	;; [unrolled: 1-line block ×3, first 2 shown]
	v_cmp_eq_u32_e64 s5, 5, v69
	v_cmp_eq_u32_e64 s6, 7, v69
	s_waitcnt lgkmcnt(3)
	v_max3_f32 v76, v70, 0xff7fffff, v71
	s_waitcnt lgkmcnt(2)
	s_delay_alu instid0(VALU_DEP_1) | instskip(SKIP_1) | instid1(VALU_DEP_1)
	v_max3_f32 v76, v76, v72, v73
	s_waitcnt lgkmcnt(1)
	v_max3_f32 v76, v76, v74, v75
	s_waitcnt lgkmcnt(0)
	s_delay_alu instid0(VALU_DEP_1) | instskip(NEXT) | instid1(VALU_DEP_1)
	v_max3_f32 v76, v76, v94, v95
	v_sub_f32_e32 v77, v71, v76
	ds_load_2addr_b32 v[96:97], v98 offset0:136 offset1:153
	v_sub_f32_e32 v74, v74, v76
	v_sub_f32_e32 v70, v70, v76
	;; [unrolled: 1-line block ×3, first 2 shown]
	v_dual_sub_f32 v72, v72, v76 :: v_dual_mul_f32 v77, 0x3fb8aa3b, v77
	s_delay_alu instid0(VALU_DEP_4) | instskip(NEXT) | instid1(VALU_DEP_4)
	v_mul_f32_e32 v103, 0x3fb8aa3b, v74
	v_mul_f32_e32 v99, 0x3fb8aa3b, v70
	ds_load_2addr_b32 v[70:71], v98 offset0:170 offset1:187
	v_dual_mul_f32 v101, 0x3fb8aa3b, v72 :: v_dual_mul_f32 v94, 0x3fb8aa3b, v94
	v_exp_f32_e32 v102, v77
	v_exp_f32_e32 v99, v99
	s_delay_alu instid0(VALU_DEP_1) | instskip(NEXT) | instid1(VALU_DEP_1)
	v_exp_f32_e32 v101, v101
	v_exp_f32_e32 v94, v94
	s_waitcnt lgkmcnt(1)
	s_delay_alu instid0(TRANS32_DEP_3)
	v_fma_f32 v77, v99, v96, 0
	v_sub_f32_e32 v100, v73, v76
	ds_load_2addr_b32 v[72:73], v98 offset0:204 offset1:221
	v_fmac_f32_e32 v77, v102, v97
	v_exp_f32_e32 v97, v103
	s_waitcnt lgkmcnt(1)
	s_delay_alu instid0(VALU_DEP_1)
	v_dual_fmac_f32 v77, v101, v70 :: v_dual_sub_f32 v96, v75, v76
	ds_load_2addr_b32 v[74:75], v98 offset0:238 offset1:255
	v_sub_f32_e32 v70, v95, v76
	s_waitcnt lgkmcnt(0)
	s_barrier
	v_mul_f32_e32 v96, 0x3fb8aa3b, v96
	buffer_gl0_inv
	v_exp_f32_e32 v95, v96
	v_mul_f32_e32 v100, 0x3fb8aa3b, v100
	s_delay_alu instid0(VALU_DEP_1) | instskip(SKIP_3) | instid1(VALU_DEP_2)
	v_exp_f32_e32 v100, v100
	s_waitcnt_depctr 0xfff
	v_dual_fmac_f32 v77, v100, v71 :: v_dual_mul_f32 v70, 0x3fb8aa3b, v70
	v_cndmask_b32_e32 v71, v99, v102, vcc_lo
	v_fmac_f32_e32 v77, v97, v72
	s_delay_alu instid0(VALU_DEP_3) | instskip(NEXT) | instid1(VALU_DEP_1)
	v_exp_f32_e32 v96, v70
	v_fmac_f32_e32 v77, v95, v73
	s_delay_alu instid0(VALU_DEP_1) | instskip(SKIP_2) | instid1(VALU_DEP_1)
	v_fmac_f32_e32 v77, v94, v74
	s_waitcnt_depctr 0xfff
	v_fmac_f32_e32 v77, v96, v75
	v_add_f32_e32 v74, 0x358637bd, v77
	s_delay_alu instid0(VALU_DEP_1) | instskip(SKIP_1) | instid1(VALU_DEP_2)
	v_div_scale_f32 v98, null, v74, v74, 1.0
	v_div_scale_f32 v99, vcc_lo, 1.0, v74, 1.0
	v_rcp_f32_e32 v103, v98
	s_waitcnt_depctr 0xfff
	v_fma_f32 v70, -v98, v103, 1.0
	s_delay_alu instid0(VALU_DEP_1) | instskip(SKIP_2) | instid1(VALU_DEP_2)
	v_fmac_f32_e32 v103, v70, v103
	v_cndmask_b32_e64 v70, v71, v101, s2
	v_cmp_eq_u32_e64 s2, 6, v69
	v_cndmask_b32_e64 v71, v70, v100, s3
	s_delay_alu instid0(VALU_DEP_4) | instskip(NEXT) | instid1(VALU_DEP_2)
	v_dual_mul_f32 v101, v99, v103 :: v_dual_lshlrev_b32 v70, 2, v66
	v_cndmask_b32_e64 v71, v71, v97, s4
	s_delay_alu instid0(VALU_DEP_2) | instskip(NEXT) | instid1(VALU_DEP_3)
	v_or_b32_e32 v72, 1, v70
	v_fma_f32 v100, -v98, v101, v99
	v_cmp_eq_u32_e64 s3, 1, v70
	v_cmp_eq_u32_e64 s4, 2, v70
	v_cndmask_b32_e64 v95, v71, v95, s5
	v_or_b32_e32 v71, 3, v70
	v_fmac_f32_e32 v101, v100, v103
	v_cmp_eq_u32_e64 s8, 1, v72
	v_cmp_eq_u32_e64 s11, 2, v72
	v_cndmask_b32_e64 v94, v95, v94, s2
	v_cmp_eq_u32_e64 s10, 1, v71
	v_fma_f32 v97, -v98, v101, v99
	v_cmp_eq_u32_e64 s15, 2, v71
	v_cmp_eq_u32_e64 s12, 3, v72
	v_cndmask_b32_e64 v94, v94, v96, s6
	v_cmp_eq_u32_e64 s17, 3, v71
	v_div_fmas_f32 v95, v97, v103, v101
	v_cmp_eq_u32_e32 vcc_lo, 3, v70
	v_cmp_eq_u32_e64 s2, 4, v70
	v_cmp_eq_u32_e64 s18, 4, v72
	v_cmp_eq_u32_e64 s21, 4, v71
	v_div_fixup_f32 v95, v95, v74, 1.0
	v_lshlrev_b32_e32 v73, 6, v68
	v_cmp_eq_u32_e64 s5, 5, v70
	v_cmp_eq_u32_e64 s19, 5, v72
	;; [unrolled: 1-line block ×3, first 2 shown]
	v_mul_f32_e32 v102, v94, v95
	v_lshl_or_b32 v75, v69, 11, v73
	v_or_b32_e32 v69, 2, v70
	v_cmp_eq_u32_e64 s24, 6, v72
	v_cmp_eq_u32_e64 s26, 6, v71
	v_fma_mixlo_f16 v94, v102, v79, 0
	v_fma_mixlo_f16 v95, v102, v81, 0
	;; [unrolled: 1-line block ×8, first 2 shown]
	v_lshl_or_b32 v74, v66, 4, v75
	v_fma_mixhi_f16 v94, v102, v78, 0
	v_fma_mixhi_f16 v95, v102, v80, 0
	;; [unrolled: 1-line block ×8, first 2 shown]
	ds_store_b128 v74, v[94:97]
	ds_store_b128 v74, v[98:101] offset:1024
	s_waitcnt lgkmcnt(0)
	s_barrier
	buffer_gl0_inv
	ds_load_b128 v[78:81], v75
	ds_load_b128 v[82:85], v75 offset:16
	ds_load_b128 v[86:89], v75 offset:1024
	;; [unrolled: 1-line block ×3, first 2 shown]
	v_cmp_eq_u32_e64 s9, 1, v69
	v_cmp_eq_u32_e64 s13, 2, v69
	;; [unrolled: 1-line block ×11, first 2 shown]
	s_waitcnt lgkmcnt(3)
	v_lshrrev_b32_e32 v94, 16, v78
	s_waitcnt lgkmcnt(2)
	v_lshrrev_b32_e32 v98, 16, v82
	;; [unrolled: 2-line block ×4, first 2 shown]
	v_lshrrev_b32_e32 v95, 16, v79
	v_cndmask_b32_e64 v110, v78, v94, s3
	v_cndmask_b32_e64 v111, v82, v98, s3
	;; [unrolled: 1-line block ×8, first 2 shown]
	v_lshrrev_b32_e32 v99, 16, v83
	v_cndmask_b32_e64 v94, v86, v102, s3
	v_cndmask_b32_e64 v98, v90, v106, s3
	;; [unrolled: 1-line block ×15, first 2 shown]
	v_lshrrev_b32_e32 v103, 16, v87
	v_lshrrev_b32_e32 v107, 16, v91
	v_cndmask_b32_e64 v113, v115, v83, s13
	v_cndmask_b32_e64 v82, v94, v87, s4
	;; [unrolled: 1-line block ×7, first 2 shown]
	v_cndmask_b32_e32 v90, v102, v95, vcc_lo
	v_cndmask_b32_e32 v102, v106, v99, vcc_lo
	v_cndmask_b32_e64 v106, v110, v95, s12
	v_cndmask_b32_e64 v110, v111, v99, s12
	;; [unrolled: 1-line block ×4, first 2 shown]
	v_lshrrev_b32_e32 v96, 16, v80
	v_lshrrev_b32_e32 v100, 16, v84
	v_cndmask_b32_e64 v111, v112, v95, s16
	v_cndmask_b32_e64 v112, v113, v99, s16
	v_cndmask_b32_e32 v82, v82, v103, vcc_lo
	v_cndmask_b32_e32 v83, v83, v107, vcc_lo
	v_cndmask_b32_e64 v94, v94, v103, s12
	v_cndmask_b32_e64 v90, v90, v80, s2
	;; [unrolled: 1-line block ×7, first 2 shown]
	v_lshrrev_b32_e32 v104, 16, v88
	v_cndmask_b32_e64 v106, v111, v80, s20
	v_cndmask_b32_e64 v110, v112, v84, s20
	;; [unrolled: 1-line block ×11, first 2 shown]
	v_lshrrev_b32_e32 v97, 16, v81
	v_lshrrev_b32_e32 v101, 16, v85
	v_cndmask_b32_e64 v99, v106, v96, s22
	v_cndmask_b32_e64 v102, v110, v100, s22
	;; [unrolled: 1-line block ×7, first 2 shown]
	v_lshrrev_b32_e32 v105, 16, v89
	v_cndmask_b32_e64 v80, v80, v104, s5
	v_cndmask_b32_e64 v84, v84, v81, s6
	;; [unrolled: 1-line block ×16, first 2 shown]
	v_perm_b32 v81, v79, v78, 0x5040100
	v_perm_b32 v79, v95, v85, 0x5040100
	v_cndmask_b32_e64 v78, v119, v91, s13
	v_cndmask_b32_e64 v85, v117, v91, s11
	;; [unrolled: 1-line block ×3, first 2 shown]
	v_perm_b32 v80, v94, v90, 0x5040100
	v_cndmask_b32_e64 v90, v98, v103, s16
	v_cndmask_b32_e64 v86, v86, v103, s17
	;; [unrolled: 1-line block ×5, first 2 shown]
	v_lshrrev_b32_e32 v108, 16, v92
	v_cndmask_b32_e64 v90, v90, v88, s20
	v_cndmask_b32_e64 v86, v86, v88, s21
	;; [unrolled: 1-line block ×11, first 2 shown]
	v_lshrrev_b32_e32 v109, 16, v93
	v_cndmask_b32_e64 v82, v82, v93, s6
	v_cndmask_b32_e64 v88, v88, v89, s25
	;; [unrolled: 1-line block ×12, first 2 shown]
	v_perm_b32 v78, v84, v83, 0x5040100
	v_perm_b32 v85, v87, v86, 0x5040100
	;; [unrolled: 1-line block ×5, first 2 shown]
	s_mul_i32 s7, s33, 6
	s_mov_b32 s2, exec_lo
	ds_store_b128 v74, v[78:81]
	ds_store_b128 v74, v[82:85] offset:1024
	v_cmpx_gt_u32_e32 6, v0
	s_cbranch_execz .LBB1015_14
; %bb.13:
	s_mul_i32 s3, s7, s30
	s_load_b128 s[8:11], s[0:1], 0x58
	v_add3_u32 v68, s3, s31, v68
	s_delay_alu instid0(VALU_DEP_1) | instskip(NEXT) | instid1(VALU_DEP_1)
	v_mad_u64_u32 v[78:79], null, v68, s34, s[14:15]
	v_ashrrev_i32_e32 v79, 31, v78
	s_delay_alu instid0(VALU_DEP_1) | instskip(SKIP_1) | instid1(VALU_DEP_1)
	v_lshlrev_b64 v[78:79], 2, v[78:79]
	s_waitcnt lgkmcnt(0)
	v_add_co_u32 v80, vcc_lo, s10, v78
	s_delay_alu instid0(VALU_DEP_2)
	v_add_co_ci_u32_e32 v81, vcc_lo, s11, v79, vcc_lo
	v_add_co_u32 v78, vcc_lo, s8, v78
	v_add_co_ci_u32_e32 v79, vcc_lo, s9, v79, vcc_lo
	global_store_b32 v[80:81], v76, off
	global_store_b32 v[78:79], v77, off
.LBB1015_14:
	s_or_b32 exec_lo, exec_lo, s2
	s_waitcnt lgkmcnt(0)
	s_waitcnt_vscnt null, 0x0
	s_barrier
	buffer_gl0_inv
	ds_load_b128 v[84:87], v73
	ds_load_b128 v[88:91], v73 offset:16
	ds_load_b128 v[96:99], v73 offset:2064
	ds_load_b128 v[92:95], v73 offset:2048
	ds_load_b128 v[104:107], v73 offset:4112
	ds_load_b128 v[100:103], v73 offset:4096
	v_cmp_eq_u32_e32 vcc_lo, 1, v70
	v_mov_b32_e32 v76, 0
	ds_load_b128 v[112:115], v73 offset:6160
	ds_load_b128 v[108:111], v73 offset:6144
	;; [unrolled: 1-line block ×4, first 2 shown]
	v_cmp_eq_u32_e64 s3, 1, v69
	v_cmp_eq_u32_e64 s2, 1, v72
	;; [unrolled: 1-line block ×3, first 2 shown]
	v_mov_b32_e32 v77, v76
	v_mov_b32_e32 v78, v76
	v_mov_b32_e32 v79, v76
	v_mov_b32_e32 v80, v76
	v_mov_b32_e32 v81, v76
	v_mov_b32_e32 v82, v76
	v_mov_b32_e32 v83, v76
	v_cmp_eq_u32_e64 s5, 3, v72
	v_cmp_eq_u32_e64 s6, 7, v72
	s_waitcnt lgkmcnt(8)
	s_delay_alu instid0(VALU_DEP_3)
	v_wmma_f32_16x16x16_f16 v[76:83], v[49:56], v[84:91], v[76:83]
	ds_load_b128 v[53:56], v73 offset:10256
	ds_load_b128 v[49:52], v73 offset:10240
	s_waitcnt lgkmcnt(8)
	v_wmma_f32_16x16x16_f16 v[76:83], v[41:48], v[92:99], v[76:83]
	ds_load_b128 v[45:48], v73 offset:12304
	ds_load_b128 v[41:44], v73 offset:12288
	s_waitcnt lgkmcnt(8)
	;; [unrolled: 4-line block ×3, first 2 shown]
	s_barrier
	buffer_gl0_inv
	v_wmma_f32_16x16x16_f16 v[76:83], v[1:8], v[108:115], v[76:83]
	s_delay_alu instid0(VALU_DEP_1) | instskip(NEXT) | instid1(VALU_DEP_1)
	v_wmma_f32_16x16x16_f16 v[76:83], v[9:16], v[116:123], v[76:83]
	v_wmma_f32_16x16x16_f16 v[76:83], v[17:24], v[49:56], v[76:83]
	s_delay_alu instid0(VALU_DEP_1) | instskip(NEXT) | instid1(VALU_DEP_1)
	v_wmma_f32_16x16x16_f16 v[76:83], v[25:32], v[41:48], v[76:83]
	v_wmma_f32_16x16x16_f16 v[76:83], v[57:64], v[33:40], v[76:83]
	s_delay_alu instid0(VALU_DEP_1) | instskip(NEXT) | instid1(VALU_DEP_2)
	v_cvt_f16_f32_e32 v1, v76
	v_cvt_f16_f32_e32 v2, v77
	s_delay_alu instid0(VALU_DEP_3) | instskip(NEXT) | instid1(VALU_DEP_4)
	v_cvt_f16_f32_e32 v3, v78
	v_cvt_f16_f32_e32 v4, v79
	;; [unrolled: 1-line block ×6, first 2 shown]
	v_pack_b32_f16 v1, v1, v2
	v_pack_b32_f16 v2, v3, v4
	v_pack_b32_f16 v3, v5, v6
	s_delay_alu instid0(VALU_DEP_4)
	v_pack_b32_f16 v4, v7, v8
	ds_store_b128 v74, v[1:4]
	s_waitcnt lgkmcnt(0)
	s_barrier
	buffer_gl0_inv
	ds_load_b128 v[1:4], v75
	ds_load_b128 v[5:8], v75 offset:16
	s_waitcnt lgkmcnt(1)
	v_lshrrev_b32_e32 v9, 16, v1
	s_waitcnt lgkmcnt(0)
	v_lshrrev_b32_e32 v13, 16, v5
	v_lshrrev_b32_e32 v10, 16, v2
	;; [unrolled: 1-line block ×4, first 2 shown]
	v_cndmask_b32_e32 v17, v1, v9, vcc_lo
	v_cndmask_b32_e32 v18, v5, v13, vcc_lo
	v_cndmask_b32_e64 v21, v1, v9, s3
	v_cmp_eq_u32_e32 vcc_lo, 1, v71
	v_cndmask_b32_e64 v22, v5, v13, s3
	v_cmp_eq_u32_e64 s3, 2, v70
	v_cndmask_b32_e64 v19, v1, v9, s2
	v_cndmask_b32_e64 v20, v5, v13, s2
	v_cndmask_b32_e32 v1, v1, v9, vcc_lo
	v_cmp_eq_u32_e64 s2, 2, v71
	v_cndmask_b32_e32 v5, v5, v13, vcc_lo
	v_cndmask_b32_e64 v9, v17, v2, s3
	v_cmp_eq_u32_e32 vcc_lo, 3, v70
	v_cndmask_b32_e64 v13, v18, v6, s3
	v_cmp_eq_u32_e64 s3, 2, v69
	v_cndmask_b32_e64 v17, v19, v2, s4
	v_cndmask_b32_e64 v18, v20, v6, s4
	v_cmp_eq_u32_e64 s4, 3, v69
	v_cndmask_b32_e64 v1, v1, v2, s2
	v_cndmask_b32_e64 v19, v21, v2, s3
	;; [unrolled: 1-line block ×4, first 2 shown]
	v_cndmask_b32_e32 v5, v9, v10, vcc_lo
	v_cndmask_b32_e32 v6, v13, v14, vcc_lo
	v_cmp_eq_u32_e32 vcc_lo, 3, v71
	v_cndmask_b32_e64 v9, v17, v10, s5
	v_cndmask_b32_e64 v13, v18, v14, s5
	;; [unrolled: 1-line block ×3, first 2 shown]
	v_cmp_eq_u32_e64 s3, 4, v70
	v_cndmask_b32_e32 v1, v1, v10, vcc_lo
	v_cndmask_b32_e32 v2, v2, v14, vcc_lo
	v_cmp_eq_u32_e32 vcc_lo, 4, v72
	v_lshrrev_b32_e32 v15, 16, v7
	v_lshrrev_b32_e32 v16, 16, v8
	v_cndmask_b32_e64 v17, v19, v10, s4
	v_cmp_eq_u32_e64 s2, 4, v71
	v_cndmask_b32_e64 v5, v5, v3, s3
	v_cndmask_b32_e64 v6, v6, v7, s3
	v_cndmask_b32_e32 v9, v9, v3, vcc_lo
	v_cmp_eq_u32_e64 s3, 5, v72
	v_cndmask_b32_e32 v10, v13, v7, vcc_lo
	v_cmp_eq_u32_e32 vcc_lo, 4, v69
	v_cmp_eq_u32_e64 s4, 5, v70
	v_cndmask_b32_e64 v2, v2, v7, s2
	v_cndmask_b32_e64 v9, v9, v11, s3
	;; [unrolled: 1-line block ×3, first 2 shown]
	v_cndmask_b32_e32 v13, v17, v3, vcc_lo
	v_cmp_eq_u32_e64 s3, 5, v69
	v_cndmask_b32_e32 v14, v18, v7, vcc_lo
	v_cndmask_b32_e64 v1, v1, v3, s2
	v_cmp_eq_u32_e32 vcc_lo, 5, v71
	v_lshrrev_b32_e32 v12, 16, v4
	v_cndmask_b32_e64 v13, v13, v11, s3
	v_cndmask_b32_e64 v3, v14, v15, s3
	v_cmp_eq_u32_e64 s3, 6, v71
	v_cndmask_b32_e32 v1, v1, v11, vcc_lo
	v_cndmask_b32_e64 v5, v5, v11, s4
	v_cmp_eq_u32_e64 s5, 6, v70
	v_cndmask_b32_e64 v6, v6, v15, s4
	v_cmp_eq_u32_e64 s4, 6, v72
	v_cmp_eq_u32_e64 s2, 6, v69
	v_cndmask_b32_e64 v1, v1, v4, s3
	v_cndmask_b32_e32 v2, v2, v15, vcc_lo
	v_cmp_eq_u32_e32 vcc_lo, 7, v71
	v_cndmask_b32_e64 v5, v5, v4, s5
	v_cndmask_b32_e64 v9, v9, v4, s4
	;; [unrolled: 1-line block ×3, first 2 shown]
	v_cmp_eq_u32_e64 s5, 7, v70
	v_cndmask_b32_e32 v1, v1, v12, vcc_lo
	v_cndmask_b32_e64 v7, v13, v4, s2
	v_cndmask_b32_e64 v3, v3, v8, s2
	;; [unrolled: 1-line block ×3, first 2 shown]
	v_cmp_eq_u32_e64 s2, 7, v69
	v_cndmask_b32_e64 v4, v10, v8, s4
	v_cndmask_b32_e64 v5, v5, v12, s5
	;; [unrolled: 1-line block ×3, first 2 shown]
	v_cndmask_b32_e32 v2, v2, v16, vcc_lo
	v_cndmask_b32_e64 v7, v7, v12, s2
	v_cndmask_b32_e64 v3, v3, v16, s2
	;; [unrolled: 1-line block ×4, first 2 shown]
	v_perm_b32 v4, v2, v1, 0x5040100
	s_mov_b32 s2, exec_lo
	v_perm_b32 v3, v3, v7, 0x5040100
	v_perm_b32 v2, v8, v9, 0x5040100
	;; [unrolled: 1-line block ×3, first 2 shown]
	ds_store_b128 v74, v[1:4]
	s_waitcnt lgkmcnt(0)
	s_barrier
	buffer_gl0_inv
	v_cmpx_gt_u32_e32 32, v0
	s_cbranch_execz .LBB1015_2
; %bb.15:
	s_load_b64 s[0:1], s[0:1], 0x68
	s_lshl_b32 s4, s34, 7
	v_or_b32_e32 v3, s31, v66
	s_mul_i32 s2, s4, s30
	v_lshlrev_b32_e32 v0, 10, v0
	s_mul_i32 s2, s2, s7
	v_lshlrev_b32_e32 v1, 4, v67
	s_ashr_i32 s3, s2, 31
	v_mul_lo_u32 v12, v3, s4
	s_lshl_b64 s[2:3], s[2:3], 1
	v_lshlrev_b32_e32 v2, 6, v66
	v_and_b32_e32 v0, 0x3800, v0
	s_delay_alu instid0(VALU_DEP_1) | instskip(NEXT) | instid1(VALU_DEP_4)
	v_or3_b32 v8, v0, v1, v2
	v_ashrrev_i32_e32 v13, 31, v12
	ds_load_b128 v[0:3], v8
	ds_load_b128 v[4:7], v8 offset:128
	ds_load_b128 v[8:11], v8 offset:256
	s_waitcnt lgkmcnt(0)
	s_add_u32 s2, s0, s2
	s_addc_u32 s3, s1, s3
	s_lshl_b32 s0, s14, 7
	s_delay_alu instid0(SALU_CYCLE_1) | instskip(NEXT) | instid1(SALU_CYCLE_1)
	s_ashr_i32 s1, s0, 31
	s_lshl_b64 s[0:1], s[0:1], 1
	s_delay_alu instid0(SALU_CYCLE_1)
	s_add_u32 s0, s2, s0
	s_addc_u32 s1, s3, s1
	s_lshl_b32 s2, s34, 8
	v_add_co_u32 v18, s0, s0, v65
	v_add_nc_u32_e32 v14, s2, v12
	v_lshlrev_b64 v[12:13], 1, v[12:13]
	v_add_co_ci_u32_e64 v19, null, s1, 0, s0
	s_delay_alu instid0(VALU_DEP_3) | instskip(SKIP_1) | instid1(VALU_DEP_4)
	v_add_nc_u32_e32 v16, s2, v14
	v_ashrrev_i32_e32 v15, 31, v14
	v_add_co_u32 v12, vcc_lo, v18, v12
	s_delay_alu instid0(VALU_DEP_4) | instskip(NEXT) | instid1(VALU_DEP_4)
	v_add_co_ci_u32_e32 v13, vcc_lo, v19, v13, vcc_lo
	v_ashrrev_i32_e32 v17, 31, v16
	s_delay_alu instid0(VALU_DEP_4) | instskip(NEXT) | instid1(VALU_DEP_2)
	v_lshlrev_b64 v[14:15], 1, v[14:15]
	v_lshlrev_b64 v[16:17], 1, v[16:17]
	s_delay_alu instid0(VALU_DEP_2) | instskip(NEXT) | instid1(VALU_DEP_3)
	v_add_co_u32 v14, vcc_lo, v18, v14
	v_add_co_ci_u32_e32 v15, vcc_lo, v19, v15, vcc_lo
	s_delay_alu instid0(VALU_DEP_3) | instskip(NEXT) | instid1(VALU_DEP_4)
	v_add_co_u32 v16, vcc_lo, v18, v16
	v_add_co_ci_u32_e32 v17, vcc_lo, v19, v17, vcc_lo
	s_clause 0x2
	global_store_b128 v[12:13], v[0:3], off
	global_store_b128 v[14:15], v[4:7], off
	;; [unrolled: 1-line block ×3, first 2 shown]
	s_nop 0
	s_sendmsg sendmsg(MSG_DEALLOC_VGPRS)
	s_endpgm
	.section	.rodata,"a",@progbits
	.p2align	6, 0x0
	.amdhsa_kernel _Z39paged_attention_ll4mi_QKV_mfma16_kernelIDF16_hLN4vllm18Fp8KVCacheDataTypeE1EhLi32ELi128ELi256ELb1ELi6EL8MFMAType1EEvPKT_PKT0_S8_ifPKiSA_SA_iPKfiiiPfSD_PS3_PT2_iSC_SC_
		.amdhsa_group_segment_fixed_size 17472
		.amdhsa_private_segment_fixed_size 0
		.amdhsa_kernarg_size 400
		.amdhsa_user_sgpr_count 13
		.amdhsa_user_sgpr_dispatch_ptr 0
		.amdhsa_user_sgpr_queue_ptr 0
		.amdhsa_user_sgpr_kernarg_segment_ptr 1
		.amdhsa_user_sgpr_dispatch_id 0
		.amdhsa_user_sgpr_private_segment_size 0
		.amdhsa_wavefront_size32 1
		.amdhsa_uses_dynamic_stack 0
		.amdhsa_enable_private_segment 0
		.amdhsa_system_sgpr_workgroup_id_x 1
		.amdhsa_system_sgpr_workgroup_id_y 1
		.amdhsa_system_sgpr_workgroup_id_z 1
		.amdhsa_system_sgpr_workgroup_info 0
		.amdhsa_system_vgpr_workitem_id 0
		.amdhsa_next_free_vgpr 150
		.amdhsa_next_free_sgpr 37
		.amdhsa_reserve_vcc 1
		.amdhsa_float_round_mode_32 0
		.amdhsa_float_round_mode_16_64 0
		.amdhsa_float_denorm_mode_32 3
		.amdhsa_float_denorm_mode_16_64 3
		.amdhsa_dx10_clamp 1
		.amdhsa_ieee_mode 1
		.amdhsa_fp16_overflow 0
		.amdhsa_workgroup_processor_mode 1
		.amdhsa_memory_ordered 1
		.amdhsa_forward_progress 0
		.amdhsa_shared_vgpr_count 0
		.amdhsa_exception_fp_ieee_invalid_op 0
		.amdhsa_exception_fp_denorm_src 0
		.amdhsa_exception_fp_ieee_div_zero 0
		.amdhsa_exception_fp_ieee_overflow 0
		.amdhsa_exception_fp_ieee_underflow 0
		.amdhsa_exception_fp_ieee_inexact 0
		.amdhsa_exception_int_div_zero 0
	.end_amdhsa_kernel
	.section	.text._Z39paged_attention_ll4mi_QKV_mfma16_kernelIDF16_hLN4vllm18Fp8KVCacheDataTypeE1EhLi32ELi128ELi256ELb1ELi6EL8MFMAType1EEvPKT_PKT0_S8_ifPKiSA_SA_iPKfiiiPfSD_PS3_PT2_iSC_SC_,"axG",@progbits,_Z39paged_attention_ll4mi_QKV_mfma16_kernelIDF16_hLN4vllm18Fp8KVCacheDataTypeE1EhLi32ELi128ELi256ELb1ELi6EL8MFMAType1EEvPKT_PKT0_S8_ifPKiSA_SA_iPKfiiiPfSD_PS3_PT2_iSC_SC_,comdat
.Lfunc_end1015:
	.size	_Z39paged_attention_ll4mi_QKV_mfma16_kernelIDF16_hLN4vllm18Fp8KVCacheDataTypeE1EhLi32ELi128ELi256ELb1ELi6EL8MFMAType1EEvPKT_PKT0_S8_ifPKiSA_SA_iPKfiiiPfSD_PS3_PT2_iSC_SC_, .Lfunc_end1015-_Z39paged_attention_ll4mi_QKV_mfma16_kernelIDF16_hLN4vllm18Fp8KVCacheDataTypeE1EhLi32ELi128ELi256ELb1ELi6EL8MFMAType1EEvPKT_PKT0_S8_ifPKiSA_SA_iPKfiiiPfSD_PS3_PT2_iSC_SC_
                                        ; -- End function
	.section	.AMDGPU.csdata,"",@progbits
; Kernel info:
; codeLenInByte = 6640
; NumSgprs: 39
; NumVgprs: 150
; ScratchSize: 0
; MemoryBound: 0
; FloatMode: 240
; IeeeMode: 1
; LDSByteSize: 17472 bytes/workgroup (compile time only)
; SGPRBlocks: 4
; VGPRBlocks: 18
; NumSGPRsForWavesPerEU: 39
; NumVGPRsForWavesPerEU: 150
; Occupancy: 9
; WaveLimiterHint : 1
; COMPUTE_PGM_RSRC2:SCRATCH_EN: 0
; COMPUTE_PGM_RSRC2:USER_SGPR: 13
; COMPUTE_PGM_RSRC2:TRAP_HANDLER: 0
; COMPUTE_PGM_RSRC2:TGID_X_EN: 1
; COMPUTE_PGM_RSRC2:TGID_Y_EN: 1
; COMPUTE_PGM_RSRC2:TGID_Z_EN: 1
; COMPUTE_PGM_RSRC2:TIDIG_COMP_CNT: 0
	.section	.text._Z39paged_attention_ll4mi_QKV_mfma16_kernelIDF16_hLN4vllm18Fp8KVCacheDataTypeE1EhLi32ELi128ELi256ELb1ELi7EL8MFMAType1EEvPKT_PKT0_S8_ifPKiSA_SA_iPKfiiiPfSD_PS3_PT2_iSC_SC_,"axG",@progbits,_Z39paged_attention_ll4mi_QKV_mfma16_kernelIDF16_hLN4vllm18Fp8KVCacheDataTypeE1EhLi32ELi128ELi256ELb1ELi7EL8MFMAType1EEvPKT_PKT0_S8_ifPKiSA_SA_iPKfiiiPfSD_PS3_PT2_iSC_SC_,comdat
	.protected	_Z39paged_attention_ll4mi_QKV_mfma16_kernelIDF16_hLN4vllm18Fp8KVCacheDataTypeE1EhLi32ELi128ELi256ELb1ELi7EL8MFMAType1EEvPKT_PKT0_S8_ifPKiSA_SA_iPKfiiiPfSD_PS3_PT2_iSC_SC_ ; -- Begin function _Z39paged_attention_ll4mi_QKV_mfma16_kernelIDF16_hLN4vllm18Fp8KVCacheDataTypeE1EhLi32ELi128ELi256ELb1ELi7EL8MFMAType1EEvPKT_PKT0_S8_ifPKiSA_SA_iPKfiiiPfSD_PS3_PT2_iSC_SC_
	.globl	_Z39paged_attention_ll4mi_QKV_mfma16_kernelIDF16_hLN4vllm18Fp8KVCacheDataTypeE1EhLi32ELi128ELi256ELb1ELi7EL8MFMAType1EEvPKT_PKT0_S8_ifPKiSA_SA_iPKfiiiPfSD_PS3_PT2_iSC_SC_
	.p2align	8
	.type	_Z39paged_attention_ll4mi_QKV_mfma16_kernelIDF16_hLN4vllm18Fp8KVCacheDataTypeE1EhLi32ELi128ELi256ELb1ELi7EL8MFMAType1EEvPKT_PKT0_S8_ifPKiSA_SA_iPKfiiiPfSD_PS3_PT2_iSC_SC_,@function
_Z39paged_attention_ll4mi_QKV_mfma16_kernelIDF16_hLN4vllm18Fp8KVCacheDataTypeE1EhLi32ELi128ELi256ELb1ELi7EL8MFMAType1EEvPKT_PKT0_S8_ifPKiSA_SA_iPKfiiiPfSD_PS3_PT2_iSC_SC_: ; @_Z39paged_attention_ll4mi_QKV_mfma16_kernelIDF16_hLN4vllm18Fp8KVCacheDataTypeE1EhLi32ELi128ELi256ELb1ELi7EL8MFMAType1EEvPKT_PKT0_S8_ifPKiSA_SA_iPKfiiiPfSD_PS3_PT2_iSC_SC_
; %bb.0:
	s_load_b64 s[4:5], s[0:1], 0x30
	s_mov_b32 s34, s13
	s_waitcnt lgkmcnt(0)
	s_cmp_lg_u64 s[4:5], 0
	s_cselect_b32 s8, -1, 0
	s_ashr_i32 s35, s13, 31
	s_cmp_eq_u64 s[4:5], 0
	s_cbranch_scc1 .LBB1016_3
; %bb.1:
	s_lshl_b64 s[2:3], s[34:35], 2
	s_delay_alu instid0(SALU_CYCLE_1) | instskip(SKIP_4) | instid1(SALU_CYCLE_1)
	s_add_u32 s2, s4, s2
	s_addc_u32 s3, s5, s3
	s_load_b64 s[2:3], s[2:3], 0x0
	s_waitcnt lgkmcnt(0)
	s_sub_i32 s2, s3, s2
	s_cmp_eq_u32 s2, 1
	s_cselect_b32 s2, -1, 0
	s_delay_alu instid0(SALU_CYCLE_1)
	s_and_not1_b32 vcc_lo, exec_lo, s2
	s_cbranch_vccz .LBB1016_4
.LBB1016_2:
	s_nop 0
	s_sendmsg sendmsg(MSG_DEALLOC_VGPRS)
	s_endpgm
.LBB1016_3:
.LBB1016_4:
	s_load_b64 s[2:3], s[0:1], 0x28
	s_lshl_b64 s[6:7], s[34:35], 2
	s_waitcnt lgkmcnt(0)
	s_add_u32 s2, s2, s6
	s_addc_u32 s3, s3, s7
	s_lshl_b32 s12, s14, 8
	s_load_b32 s24, s[2:3], 0x0
	s_waitcnt lgkmcnt(0)
	s_cmp_ge_i32 s12, s24
	s_cbranch_scc1 .LBB1016_2
; %bb.5:
	s_clause 0x1
	s_load_b128 s[20:23], s[0:1], 0x8
	s_load_b64 s[2:3], s[0:1], 0x20
	s_and_not1_b32 vcc_lo, exec_lo, s8
	s_cbranch_vccnz .LBB1016_7
; %bb.6:
	s_add_u32 s4, s4, s6
	s_addc_u32 s5, s5, s7
	s_load_b32 s5, s[4:5], 0x0
	s_branch .LBB1016_8
.LBB1016_7:
	s_mov_b32 s5, s34
.LBB1016_8:
	s_load_b128 s[16:19], s[0:1], 0x48
	v_and_b32_e32 v68, 15, v0
	v_lshrrev_b32_e32 v69, 5, v0
	v_bfe_u32 v66, v0, 4, 1
	v_and_b32_e32 v70, 31, v0
	v_and_b32_e32 v67, 1, v0
	v_lshlrev_b32_e32 v2, 3, v68
	s_mul_i32 s31, s15, 7
	v_lshl_or_b32 v1, v69, 1, v66
	s_mov_b32 s4, exec_lo
	s_delay_alu instid0(VALU_DEP_2) | instskip(NEXT) | instid1(VALU_DEP_2)
	v_lshlrev_b32_e32 v65, 1, v2
	v_cmpx_gt_u32_e32 7, v1
	s_cbranch_execz .LBB1016_10
; %bb.9:
	s_load_b64 s[6:7], s[0:1], 0x0
	v_add_lshl_u32 v2, v1, s31, 7
	s_waitcnt lgkmcnt(0)
	s_mul_hi_i32 s9, s5, s16
	s_mul_i32 s8, s5, s16
	v_lshlrev_b32_e32 v6, 10, v68
	s_lshl_b64 s[8:9], s[8:9], 1
	v_ashrrev_i32_e32 v3, 31, v2
	v_lshlrev_b32_e32 v1, 6, v1
	v_lshlrev_b32_e32 v7, 10, v67
	v_and_b32_e32 v6, 0x3800, v6
	s_delay_alu instid0(VALU_DEP_4) | instskip(NEXT) | instid1(VALU_DEP_2)
	v_lshlrev_b64 v[2:3], 1, v[2:3]
	v_or3_b32 v1, v6, v7, v1
	s_add_u32 s5, s6, s8
	s_addc_u32 s6, s7, s9
	s_delay_alu instid0(VALU_DEP_2) | instskip(NEXT) | instid1(VALU_DEP_3)
	v_add_co_u32 v2, vcc_lo, s5, v2
	v_add_co_ci_u32_e32 v3, vcc_lo, s6, v3, vcc_lo
	s_delay_alu instid0(VALU_DEP_2) | instskip(NEXT) | instid1(VALU_DEP_2)
	v_add_co_u32 v2, vcc_lo, v2, v65
	v_add_co_ci_u32_e32 v3, vcc_lo, 0, v3, vcc_lo
	global_load_b128 v[2:5], v[2:3], off
	s_waitcnt vmcnt(0)
	ds_store_b128 v1, v[2:5]
.LBB1016_10:
	s_or_b32 exec_lo, exec_lo, s4
	v_and_b32_e32 v1, 0xef, v0
	s_waitcnt lgkmcnt(0)
	s_add_i32 s5, s24, 31
	s_clause 0x1
	s_load_b32 s4, s[0:1], 0x38
	s_load_b32 s33, s[0:1], 0x98
	s_ashr_i32 s6, s5, 31
	v_add_nc_u32_e32 v1, s12, v1
	s_lshr_b32 s6, s6, 27
	s_load_b32 s19, s[0:1], 0x1c
	s_add_i32 s5, s5, s6
	s_waitcnt lgkmcnt(0)
	v_ashrrev_i32_e32 v2, 31, v1
	v_or_b32_e32 v3, 16, v1
	s_ashr_i32 s13, s5, 5
	v_cmp_gt_i32_e32 vcc_lo, s24, v1
	s_add_i32 s13, s13, -1
	v_lshrrev_b32_e32 v2, 27, v2
	s_barrier
	buffer_gl0_inv
	s_mul_i32 s15, s15, s18
	v_add_nc_u32_e32 v4, v1, v2
	s_mul_i32 s4, s34, s4
	s_delay_alu instid0(SALU_CYCLE_1) | instskip(NEXT) | instid1(VALU_DEP_1)
	s_ashr_i32 s5, s4, 31
	v_ashrrev_i32_e32 v4, 5, v4
	v_add_nc_u32_e32 v2, v3, v2
	s_lshl_b64 s[4:5], s[4:5], 2
	s_delay_alu instid0(SALU_CYCLE_1) | instskip(NEXT) | instid1(VALU_DEP_2)
	s_add_u32 s16, s2, s4
	v_cndmask_b32_e32 v1, s13, v4, vcc_lo
	s_delay_alu instid0(VALU_DEP_2)
	v_ashrrev_i32_e32 v2, 5, v2
	v_cmp_gt_i32_e32 vcc_lo, s24, v3
	s_addc_u32 s25, s3, s5
	s_ashr_i32 s18, s15, 31
	s_add_u32 s2, s20, s15
	s_addc_u32 s3, s21, s18
	v_cndmask_b32_e32 v3, s13, v2, vcc_lo
	v_ashrrev_i32_e32 v2, 31, v1
	s_lshl_b32 s4, s14, 3
	s_delay_alu instid0(SALU_CYCLE_1) | instskip(NEXT) | instid1(VALU_DEP_2)
	s_ashr_i32 s5, s4, 31
	v_ashrrev_i32_e32 v4, 31, v3
	s_delay_alu instid0(VALU_DEP_2) | instskip(SKIP_1) | instid1(SALU_CYCLE_1)
	v_lshlrev_b64 v[1:2], 2, v[1:2]
	s_lshl_b64 s[4:5], s[4:5], 2
	s_add_u32 s4, s16, s4
	s_delay_alu instid0(VALU_DEP_2) | instskip(SKIP_1) | instid1(VALU_DEP_2)
	v_lshlrev_b64 v[3:4], 2, v[3:4]
	s_addc_u32 s5, s25, s5
	v_add_co_u32 v1, vcc_lo, s16, v1
	v_add_co_ci_u32_e32 v2, vcc_lo, s25, v2, vcc_lo
	s_delay_alu instid0(VALU_DEP_3) | instskip(NEXT) | instid1(VALU_DEP_4)
	v_add_co_u32 v3, vcc_lo, s16, v3
	v_add_co_ci_u32_e32 v4, vcc_lo, s25, v4, vcc_lo
	s_clause 0x1
	global_load_b32 v5, v[1:2], off
	global_load_b32 v6, v[3:4], off
	s_or_b32 s6, s12, 32
	s_delay_alu instid0(SALU_CYCLE_1) | instskip(SKIP_2) | instid1(SALU_CYCLE_1)
	s_ashr_i32 s7, s6, 5
	s_cmp_lt_i32 s6, s24
	s_cselect_b32 s6, s7, s13
	s_ashr_i32 s7, s6, 31
	s_delay_alu instid0(SALU_CYCLE_1) | instskip(NEXT) | instid1(SALU_CYCLE_1)
	s_lshl_b64 s[6:7], s[6:7], 2
	s_add_u32 s6, s16, s6
	s_addc_u32 s7, s25, s7
	s_or_b32 s8, s12, 64
	s_delay_alu instid0(SALU_CYCLE_1) | instskip(SKIP_2) | instid1(SALU_CYCLE_1)
	s_ashr_i32 s9, s8, 5
	s_cmp_lt_i32 s8, s24
	s_cselect_b32 s8, s9, s13
	s_ashr_i32 s9, s8, 31
	s_delay_alu instid0(SALU_CYCLE_1) | instskip(NEXT) | instid1(SALU_CYCLE_1)
	s_lshl_b64 s[8:9], s[8:9], 2
	s_add_u32 s8, s16, s8
	s_addc_u32 s9, s25, s9
	;; [unrolled: 10-line block ×5, first 2 shown]
	s_clause 0x5
	s_load_b32 s28, s[4:5], 0x0
	s_load_b32 s29, s[6:7], 0x0
	s_load_b32 s30, s[8:9], 0x0
	s_load_b32 s35, s[10:11], 0x0
	s_load_b32 s36, s[20:21], 0x0
	s_load_b32 s26, s[26:27], 0x0
	s_mov_b32 s4, 0
	s_delay_alu instid0(SALU_CYCLE_1)
	s_mov_b32 s5, s4
	s_mov_b32 s6, s4
	;; [unrolled: 1-line block ×7, first 2 shown]
	s_delay_alu instid0(SALU_CYCLE_1)
	v_dual_mov_b32 v118, s11 :: v_dual_mov_b32 v117, s10
	v_dual_mov_b32 v116, s9 :: v_dual_mov_b32 v115, s8
	v_mov_b32_e32 v113, s6
	v_dual_mov_b32 v111, s4 :: v_dual_mov_b32 v114, s7
	v_mov_b32_e32 v112, s5
	s_waitcnt vmcnt(1)
	v_mad_i64_i32 v[1:2], null, v5, s17, s[2:3]
	v_lshlrev_b32_e32 v5, 4, v68
	s_waitcnt vmcnt(0)
	v_mad_i64_i32 v[3:4], null, v6, s17, s[2:3]
	s_or_b32 s2, s12, 0xc0
	s_delay_alu instid0(SALU_CYCLE_1) | instskip(NEXT) | instid1(VALU_DEP_3)
	s_ashr_i32 s3, s2, 5
	v_add_co_u32 v1, vcc_lo, v1, v5
	s_delay_alu instid0(VALU_DEP_4) | instskip(NEXT) | instid1(VALU_DEP_3)
	v_add_co_ci_u32_e32 v2, vcc_lo, 0, v2, vcc_lo
	v_add_co_u32 v3, vcc_lo, v3, v5
	s_delay_alu instid0(VALU_DEP_4)
	v_add_co_ci_u32_e32 v4, vcc_lo, 0, v4, vcc_lo
	s_clause 0xf
	global_load_b128 v[17:20], v[1:2], off
	global_load_b128 v[21:24], v[1:2], off offset:512
	global_load_b128 v[25:28], v[3:4], off offset:256
	;; [unrolled: 1-line block ×15, first 2 shown]
	v_mul_lo_u16 v1, v68, 37
	s_cmp_lt_i32 s2, s24
	v_lshlrev_b32_e32 v2, 5, v68
	s_cselect_b32 s2, s3, s13
	s_delay_alu instid0(VALU_DEP_2) | instskip(SKIP_1) | instid1(SALU_CYCLE_1)
	v_lshrrev_b16 v1, 8, v1
	s_ashr_i32 s3, s2, 31
	s_lshl_b64 s[2:3], s[2:3], 2
	s_delay_alu instid0(VALU_DEP_1) | instskip(SKIP_3) | instid1(VALU_DEP_1)
	v_mul_lo_u16 v1, v1, 7
	s_add_u32 s2, s16, s2
	s_addc_u32 s3, s25, s3
	s_or_b32 s20, s12, 0xe0
	v_sub_nc_u16 v1, v68, v1
	s_ashr_i32 s21, s20, 5
	s_cmp_lt_i32 s20, s24
	s_cselect_b32 s20, s21, s13
	s_delay_alu instid0(VALU_DEP_1) | instskip(SKIP_1) | instid1(SALU_CYCLE_1)
	v_and_b32_e32 v1, 0xff, v1
	s_ashr_i32 s21, s20, 31
	s_lshl_b64 s[4:5], s[20:21], 2
	s_delay_alu instid0(VALU_DEP_1)
	v_lshlrev_b32_e32 v149, 6, v1
	s_add_u32 s4, s16, s4
	s_addc_u32 s5, s25, s5
	v_lshl_or_b32 v1, v69, 9, v2
	ds_load_b128 v[119:122], v149
	ds_load_b128 v[123:126], v149 offset:1024
	ds_load_b128 v[127:130], v149 offset:2048
	;; [unrolled: 1-line block ×3, first 2 shown]
	s_clause 0x1
	s_load_b32 s2, s[2:3], 0x0
	s_load_b32 s3, s[4:5], 0x0
	s_add_u32 s6, s22, s15
	s_addc_u32 s7, s23, s18
	v_add_co_u32 v135, s6, s6, v1
	s_delay_alu instid0(VALU_DEP_1) | instskip(SKIP_1) | instid1(VALU_DEP_1)
	v_add_co_ci_u32_e64 v136, null, s7, 0, s6
	s_waitcnt lgkmcnt(0)
	v_mad_i64_i32 v[1:2], null, s28, s17, v[135:136]
	v_mad_i64_i32 v[3:4], null, s29, s17, v[135:136]
	;; [unrolled: 1-line block ×6, first 2 shown]
	s_clause 0x9
	global_load_b128 v[49:52], v[1:2], off
	global_load_b128 v[53:56], v[1:2], off offset:16
	global_load_b128 v[41:44], v[3:4], off
	global_load_b128 v[45:48], v[3:4], off offset:16
	;; [unrolled: 2-line block ×5, first 2 shown]
	v_mad_i64_i32 v[145:146], null, s2, s17, v[135:136]
	v_mad_i64_i32 v[147:148], null, s3, s17, v[135:136]
	s_waitcnt vmcnt(24)
	v_wmma_f32_16x16x16_f16 v[135:142], v[17:24], v[119:126], v[111:118]
	s_waitcnt vmcnt(22)
	v_wmma_f32_16x16x16_f16 v[111:118], v[25:32], v[119:126], v[111:118]
	s_clause 0x3
	global_load_b128 v[17:20], v[143:144], off
	global_load_b128 v[21:24], v[143:144], off offset:16
	global_load_b128 v[25:28], v[145:146], off
	global_load_b128 v[29:32], v[145:146], off offset:16
	v_and_b32_e32 v119, 0xe0, v0
	s_waitcnt vmcnt(24)
	v_wmma_f32_16x16x16_f16 v[135:142], v[57:64], v[127:134], v[135:142]
	s_clause 0x1
	global_load_b128 v[57:60], v[147:148], off
	global_load_b128 v[61:64], v[147:148], off offset:16
	s_waitcnt vmcnt(24)
	v_wmma_f32_16x16x16_f16 v[111:118], v[71:78], v[127:134], v[111:118]
	ds_load_b128 v[71:74], v149 offset:4096
	ds_load_b128 v[75:78], v149 offset:5120
	v_add_nc_u32_e32 v128, s12, v119
	ds_load_b128 v[119:122], v149 offset:6144
	ds_load_b128 v[123:126], v149 offset:7168
	v_mbcnt_lo_u32_b32 v127, -1, 0
	s_waitcnt vmcnt(0) lgkmcnt(0)
	s_barrier
	v_or_b32_e32 v128, v128, v66
	buffer_gl0_inv
	v_xor_b32_e32 v129, 16, v127
	v_or_b32_e32 v130, 4, v128
	v_or_b32_e32 v131, 6, v128
	s_delay_alu instid0(VALU_DEP_3) | instskip(SKIP_4) | instid1(VALU_DEP_4)
	v_cmp_gt_i32_e32 vcc_lo, 32, v129
	v_or_b32_e32 v132, 8, v128
	v_or_b32_e32 v133, 10, v128
	v_cmp_gt_i32_e64 s3, s24, v130
	v_cmp_gt_i32_e64 s4, s24, v131
	;; [unrolled: 1-line block ×3, first 2 shown]
	v_wmma_f32_16x16x16_f16 v[135:142], v[79:86], v[71:78], v[135:142]
	v_wmma_f32_16x16x16_f16 v[111:118], v[87:94], v[71:78], v[111:118]
	v_or_b32_e32 v79, 12, v128
	v_or_b32_e32 v80, 14, v128
	v_cmp_gt_i32_e64 s6, s24, v133
	v_wmma_f32_16x16x16_f16 v[135:142], v[95:102], v[119:126], v[135:142]
	v_cndmask_b32_e32 v127, v127, v129, vcc_lo
	v_or_b32_e32 v129, 2, v128
	v_wmma_f32_16x16x16_f16 v[111:118], v[103:110], v[119:126], v[111:118]
	v_cmp_gt_i32_e32 vcc_lo, s24, v128
	v_dual_mul_f32 v88, s19, v135 :: v_dual_mul_f32 v87, s19, v136
	s_delay_alu instid0(VALU_DEP_4) | instskip(NEXT) | instid1(VALU_DEP_4)
	v_cmp_gt_i32_e64 s2, s24, v129
	v_mul_f32_e32 v94, s19, v113
	v_mul_f32_e32 v78, s19, v138
	;; [unrolled: 1-line block ×3, first 2 shown]
	v_cndmask_b32_e32 v88, 0xff7fffff, v88, vcc_lo
	v_cndmask_b32_e64 v87, 0xff7fffff, v87, s2
	v_dual_mul_f32 v76, s19, v140 :: v_dual_mul_f32 v77, s19, v139
	v_mul_f32_e32 v90, s19, v117
	v_cndmask_b32_e64 v86, 0xff7fffff, v86, s3
	v_cndmask_b32_e64 v78, 0xff7fffff, v78, s4
	v_max3_f32 v87, v88, 0xff7fffff, v87
	v_or_b32_e32 v81, 16, v128
	v_or_b32_e32 v82, 18, v128
	v_dual_mul_f32 v74, s19, v142 :: v_dual_mul_f32 v75, s19, v141
	v_mul_f32_e32 v92, s19, v115
	v_cndmask_b32_e64 v77, 0xff7fffff, v77, s5
	v_cndmask_b32_e64 v76, 0xff7fffff, v76, s6
	v_max3_f32 v78, v87, v86, v78
	v_cmp_gt_i32_e64 s7, s24, v79
	v_cmp_gt_i32_e64 s8, s24, v80
	v_or_b32_e32 v83, 20, v128
	v_or_b32_e32 v84, 22, v128
	v_dual_mul_f32 v89, s19, v118 :: v_dual_mul_f32 v96, s19, v111
	v_mul_f32_e32 v95, s19, v112
	v_cndmask_b32_e64 v75, 0xff7fffff, v75, s7
	v_cndmask_b32_e64 v74, 0xff7fffff, v74, s8
	v_max3_f32 v76, v78, v77, v76
	v_cmp_gt_i32_e64 s9, s24, v81
	v_cmp_gt_i32_e64 s10, s24, v82
	v_or_b32_e32 v85, 24, v128
	v_or_b32_e32 v71, 26, v128
	v_mul_f32_e32 v93, s19, v114
	v_cndmask_b32_e64 v77, 0xff7fffff, v96, s9
	v_cndmask_b32_e64 v78, 0xff7fffff, v95, s10
	v_max3_f32 v74, v76, v75, v74
	v_cmp_gt_i32_e64 s11, s24, v83
	v_cmp_gt_i32_e64 s12, s24, v84
	v_or_b32_e32 v72, 28, v128
	v_or_b32_e32 v73, 30, v128
	v_mul_f32_e32 v91, s19, v116
	v_cndmask_b32_e64 v75, 0xff7fffff, v94, s11
	v_cndmask_b32_e64 v76, 0xff7fffff, v93, s12
	v_max3_f32 v74, v74, v77, v78
	v_cmp_gt_i32_e64 s13, s24, v85
	v_cmp_gt_i32_e64 s15, s24, v71
	;; [unrolled: 1-line block ×4, first 2 shown]
	v_max3_f32 v74, v74, v75, v76
	v_cndmask_b32_e64 v77, 0xff7fffff, v92, s13
	v_cndmask_b32_e64 v71, 0xff7fffff, v91, s15
	;; [unrolled: 1-line block ×4, first 2 shown]
	s_delay_alu instid0(VALU_DEP_3) | instskip(SKIP_1) | instid1(VALU_DEP_2)
	v_max3_f32 v71, v74, v77, v71
	v_lshlrev_b32_e32 v74, 2, v127
	v_max3_f32 v71, v71, v72, v73
	ds_bpermute_b32 v72, v74, v71
	s_waitcnt lgkmcnt(0)
	v_max_f32_e32 v72, v72, v72
	s_delay_alu instid0(VALU_DEP_1) | instskip(NEXT) | instid1(VALU_DEP_1)
	v_max_f32_e32 v71, v71, v72
	v_fma_f32 v75, s19, v137, -v71
	v_fma_f32 v76, s19, v138, -v71
	;; [unrolled: 1-line block ×5, first 2 shown]
	s_delay_alu instid0(VALU_DEP_4) | instskip(NEXT) | instid1(VALU_DEP_4)
	v_dual_mul_f32 v75, 0x3fb8aa3b, v75 :: v_dual_mul_f32 v76, 0x3fb8aa3b, v76
	v_mul_f32_e32 v72, 0x3fb8aa3b, v72
	v_fma_f32 v77, s19, v139, -v71
	s_delay_alu instid0(VALU_DEP_4) | instskip(NEXT) | instid1(VALU_DEP_4)
	v_mul_f32_e32 v73, 0x3fb8aa3b, v73
	v_exp_f32_e32 v75, v75
	v_exp_f32_e32 v76, v76
	;; [unrolled: 1-line block ×3, first 2 shown]
	s_delay_alu instid0(VALU_DEP_1) | instskip(SKIP_2) | instid1(TRANS32_DEP_3)
	v_exp_f32_e32 v73, v73
	v_cndmask_b32_e64 v81, 0, v75, s3
	v_mul_f32_e32 v82, 0x3fb8aa3b, v80
	v_cndmask_b32_e64 v80, 0, v76, s4
	s_waitcnt_depctr 0xfff
	v_cndmask_b32_e64 v78, 0, v73, s2
	v_cmp_gt_u32_e64 s2, 16, v70
	v_exp_f32_e32 v84, v82
	s_waitcnt_depctr 0xfff
	v_cndmask_b32_e64 v85, 0, v84, s7
	v_cndmask_b32_e32 v79, 0, v72, vcc_lo
	v_fma_f32 v72, s19, v140, -v71
	v_mul_f32_e32 v77, 0x3fb8aa3b, v77
	s_delay_alu instid0(VALU_DEP_2) | instskip(NEXT) | instid1(VALU_DEP_2)
	v_dual_add_f32 v73, 0, v79 :: v_dual_mul_f32 v72, 0x3fb8aa3b, v72
	v_exp_f32_e32 v77, v77
	s_delay_alu instid0(VALU_DEP_1) | instskip(NEXT) | instid1(VALU_DEP_2)
	v_add_f32_e32 v73, v73, v78
	v_exp_f32_e32 v72, v72
	s_delay_alu instid0(VALU_DEP_1) | instskip(SKIP_4) | instid1(VALU_DEP_2)
	v_add_f32_e32 v73, v73, v81
	s_waitcnt_depctr 0xfff
	v_cndmask_b32_e64 v83, 0, v77, s5
	v_add_f32_e32 v73, v73, v80
	v_cndmask_b32_e64 v82, 0, v72, s6
	v_add_f32_e32 v72, v73, v83
	s_delay_alu instid0(VALU_DEP_1)
	v_add_f32_e32 v72, v72, v82
	v_fma_f32 v75, s19, v142, -v71
	v_fma_f32 v76, s19, v111, -v71
	;; [unrolled: 1-line block ×5, first 2 shown]
	s_delay_alu instid0(VALU_DEP_4) | instskip(NEXT) | instid1(VALU_DEP_4)
	v_dual_mul_f32 v75, 0x3fb8aa3b, v75 :: v_dual_mul_f32 v76, 0x3fb8aa3b, v76
	v_mul_f32_e32 v86, 0x3fb8aa3b, v86
	v_add_f32_e32 v72, v72, v85
	s_delay_alu instid0(VALU_DEP_3) | instskip(NEXT) | instid1(VALU_DEP_3)
	v_exp_f32_e32 v75, v75
	v_exp_f32_e32 v76, v76
	s_delay_alu instid0(VALU_DEP_2) | instskip(NEXT) | instid1(TRANS32_DEP_3)
	v_exp_f32_e32 v88, v86
	v_cndmask_b32_e64 v84, 0, v75, s8
	v_mul_f32_e32 v77, 0x3fb8aa3b, v77
	s_waitcnt_depctr 0xfff
	v_cndmask_b32_e64 v87, 0, v76, s9
	v_fma_f32 v76, s19, v116, -v71
	v_dual_mul_f32 v73, 0x3fb8aa3b, v73 :: v_dual_add_f32 v72, v72, v84
	v_exp_f32_e32 v77, v77
	v_fma_f32 v75, s19, v115, -v71
	s_delay_alu instid0(VALU_DEP_3) | instskip(NEXT) | instid1(VALU_DEP_3)
	v_mul_f32_e32 v76, 0x3fb8aa3b, v76
	v_exp_f32_e32 v73, v73
	v_add_f32_e32 v72, v72, v87
	v_cndmask_b32_e64 v88, 0, v88, s12
	s_delay_alu instid0(VALU_DEP_3) | instskip(NEXT) | instid1(TRANS32_DEP_3)
	v_exp_f32_e32 v76, v76
	v_cndmask_b32_e64 v86, 0, v77, s10
	v_mul_f32_e32 v75, 0x3fb8aa3b, v75
	v_fma_f32 v77, s19, v117, -v71
	s_delay_alu instid0(TRANS32_DEP_2) | instskip(NEXT) | instid1(VALU_DEP_4)
	v_cndmask_b32_e64 v89, 0, v73, s11
	v_add_f32_e32 v72, v72, v86
	s_delay_alu instid0(VALU_DEP_4) | instskip(NEXT) | instid1(TRANS32_DEP_2)
	v_exp_f32_e32 v75, v75
	v_cndmask_b32_e64 v90, 0, v76, s15
	s_delay_alu instid0(VALU_DEP_2) | instskip(SKIP_2) | instid1(VALU_DEP_3)
	v_add_f32_e32 v72, v72, v89
	v_mul_f32_e32 v73, 0x3fb8aa3b, v77
	v_fma_f32 v77, s19, v118, -v71
	v_add_f32_e32 v72, v72, v88
	s_delay_alu instid0(VALU_DEP_3) | instskip(NEXT) | instid1(TRANS32_DEP_2)
	v_exp_f32_e32 v73, v73
	v_cndmask_b32_e64 v91, 0, v75, s13
	s_delay_alu instid0(VALU_DEP_1) | instskip(NEXT) | instid1(VALU_DEP_1)
	v_dual_mul_f32 v75, 0x3fb8aa3b, v77 :: v_dual_add_f32 v72, v72, v91
	v_exp_f32_e32 v75, v75
	s_waitcnt_depctr 0xfff
	v_cndmask_b32_e64 v93, 0, v73, s16
	v_add_f32_e32 v72, v72, v90
	s_delay_alu instid0(VALU_DEP_1) | instskip(SKIP_1) | instid1(VALU_DEP_1)
	v_add_f32_e32 v72, v72, v93
	v_cndmask_b32_e64 v92, 0, v75, s17
	v_add_f32_e32 v72, v72, v92
	ds_bpermute_b32 v73, v74, v72
	s_and_saveexec_b32 s3, s2
	s_cbranch_execz .LBB1016_12
; %bb.11:
	v_mul_u32_u24_e32 v70, 0x44, v69
	s_waitcnt lgkmcnt(0)
	v_add_f32_e32 v72, v72, v73
	s_delay_alu instid0(VALU_DEP_2) | instskip(NEXT) | instid1(VALU_DEP_1)
	v_lshl_add_u32 v70, v68, 2, v70
	v_add_nc_u32_e32 v70, 0x4000, v70
	ds_store_2addr_b32 v70, v71, v72 offset1:136
.LBB1016_12:
	s_or_b32 exec_lo, exec_lo, s3
	v_lshlrev_b32_e32 v70, 2, v68
	s_load_b32 s35, s[0:1], 0x94
	s_waitcnt lgkmcnt(0)
	s_barrier
	buffer_gl0_inv
	v_add_nc_u32_e32 v98, 0x4000, v70
	v_cmp_eq_u32_e32 vcc_lo, 1, v69
	v_cmp_eq_u32_e64 s3, 2, v69
	v_cmp_eq_u32_e64 s4, 3, v69
	;; [unrolled: 1-line block ×3, first 2 shown]
	ds_load_2addr_b32 v[70:71], v98 offset1:17
	ds_load_2addr_b32 v[72:73], v98 offset0:34 offset1:51
	ds_load_2addr_b32 v[74:75], v98 offset0:68 offset1:85
	;; [unrolled: 1-line block ×3, first 2 shown]
	v_cmp_eq_u32_e64 s6, 5, v69
	v_cmp_eq_u32_e64 s7, 7, v69
	s_waitcnt lgkmcnt(3)
	v_max3_f32 v76, v70, 0xff7fffff, v71
	s_waitcnt lgkmcnt(2)
	s_delay_alu instid0(VALU_DEP_1) | instskip(SKIP_1) | instid1(VALU_DEP_1)
	v_max3_f32 v76, v76, v72, v73
	s_waitcnt lgkmcnt(1)
	v_max3_f32 v76, v76, v74, v75
	s_waitcnt lgkmcnt(0)
	s_delay_alu instid0(VALU_DEP_1) | instskip(NEXT) | instid1(VALU_DEP_1)
	v_max3_f32 v76, v76, v94, v95
	v_sub_f32_e32 v77, v71, v76
	ds_load_2addr_b32 v[96:97], v98 offset0:136 offset1:153
	v_sub_f32_e32 v74, v74, v76
	v_sub_f32_e32 v70, v70, v76
	;; [unrolled: 1-line block ×3, first 2 shown]
	v_dual_sub_f32 v72, v72, v76 :: v_dual_mul_f32 v77, 0x3fb8aa3b, v77
	s_delay_alu instid0(VALU_DEP_4) | instskip(NEXT) | instid1(VALU_DEP_4)
	v_mul_f32_e32 v103, 0x3fb8aa3b, v74
	v_mul_f32_e32 v99, 0x3fb8aa3b, v70
	ds_load_2addr_b32 v[70:71], v98 offset0:170 offset1:187
	v_dual_mul_f32 v101, 0x3fb8aa3b, v72 :: v_dual_mul_f32 v94, 0x3fb8aa3b, v94
	v_exp_f32_e32 v102, v77
	v_exp_f32_e32 v99, v99
	s_delay_alu instid0(VALU_DEP_1) | instskip(NEXT) | instid1(VALU_DEP_1)
	v_exp_f32_e32 v101, v101
	v_exp_f32_e32 v94, v94
	s_waitcnt lgkmcnt(1)
	s_delay_alu instid0(TRANS32_DEP_3)
	v_fma_f32 v77, v99, v96, 0
	v_sub_f32_e32 v100, v73, v76
	ds_load_2addr_b32 v[72:73], v98 offset0:204 offset1:221
	v_fmac_f32_e32 v77, v102, v97
	v_exp_f32_e32 v97, v103
	s_waitcnt lgkmcnt(1)
	s_delay_alu instid0(VALU_DEP_1)
	v_dual_fmac_f32 v77, v101, v70 :: v_dual_sub_f32 v96, v75, v76
	ds_load_2addr_b32 v[74:75], v98 offset0:238 offset1:255
	v_sub_f32_e32 v70, v95, v76
	s_waitcnt lgkmcnt(0)
	s_barrier
	v_mul_f32_e32 v96, 0x3fb8aa3b, v96
	buffer_gl0_inv
	v_exp_f32_e32 v95, v96
	v_mul_f32_e32 v100, 0x3fb8aa3b, v100
	s_delay_alu instid0(VALU_DEP_1) | instskip(SKIP_3) | instid1(VALU_DEP_2)
	v_exp_f32_e32 v100, v100
	s_waitcnt_depctr 0xfff
	v_dual_fmac_f32 v77, v100, v71 :: v_dual_mul_f32 v70, 0x3fb8aa3b, v70
	v_cndmask_b32_e32 v71, v99, v102, vcc_lo
	v_fmac_f32_e32 v77, v97, v72
	s_delay_alu instid0(VALU_DEP_3) | instskip(NEXT) | instid1(VALU_DEP_1)
	v_exp_f32_e32 v96, v70
	v_fmac_f32_e32 v77, v95, v73
	s_delay_alu instid0(VALU_DEP_1) | instskip(SKIP_2) | instid1(VALU_DEP_1)
	v_fmac_f32_e32 v77, v94, v74
	s_waitcnt_depctr 0xfff
	v_fmac_f32_e32 v77, v96, v75
	v_add_f32_e32 v74, 0x358637bd, v77
	s_delay_alu instid0(VALU_DEP_1) | instskip(SKIP_1) | instid1(VALU_DEP_2)
	v_div_scale_f32 v98, null, v74, v74, 1.0
	v_div_scale_f32 v99, vcc_lo, 1.0, v74, 1.0
	v_rcp_f32_e32 v103, v98
	s_waitcnt_depctr 0xfff
	v_fma_f32 v70, -v98, v103, 1.0
	s_delay_alu instid0(VALU_DEP_1) | instskip(SKIP_2) | instid1(VALU_DEP_2)
	v_fmac_f32_e32 v103, v70, v103
	v_cndmask_b32_e64 v70, v71, v101, s3
	v_cmp_eq_u32_e64 s3, 6, v69
	v_cndmask_b32_e64 v71, v70, v100, s4
	s_delay_alu instid0(VALU_DEP_4) | instskip(NEXT) | instid1(VALU_DEP_2)
	v_dual_mul_f32 v101, v99, v103 :: v_dual_lshlrev_b32 v70, 2, v66
	v_cndmask_b32_e64 v71, v71, v97, s5
	s_delay_alu instid0(VALU_DEP_2) | instskip(NEXT) | instid1(VALU_DEP_3)
	v_or_b32_e32 v72, 1, v70
	v_fma_f32 v100, -v98, v101, v99
	v_cmp_eq_u32_e64 s4, 1, v70
	v_cmp_eq_u32_e64 s5, 2, v70
	v_cndmask_b32_e64 v95, v71, v95, s6
	v_or_b32_e32 v71, 3, v70
	v_fmac_f32_e32 v101, v100, v103
	v_cmp_eq_u32_e64 s9, 1, v72
	v_cmp_eq_u32_e64 s12, 2, v72
	v_cndmask_b32_e64 v94, v95, v94, s3
	v_cmp_eq_u32_e64 s11, 1, v71
	v_fma_f32 v97, -v98, v101, v99
	v_cmp_eq_u32_e64 s16, 2, v71
	v_cmp_eq_u32_e64 s13, 3, v72
	v_cndmask_b32_e64 v94, v94, v96, s7
	v_cmp_eq_u32_e64 s18, 3, v71
	v_div_fmas_f32 v95, v97, v103, v101
	v_cmp_eq_u32_e32 vcc_lo, 3, v70
	v_cmp_eq_u32_e64 s3, 4, v70
	v_cmp_eq_u32_e64 s19, 4, v72
	;; [unrolled: 1-line block ×3, first 2 shown]
	v_div_fixup_f32 v95, v95, v74, 1.0
	v_lshlrev_b32_e32 v73, 6, v68
	v_cmp_eq_u32_e64 s6, 5, v70
	v_cmp_eq_u32_e64 s20, 5, v72
	;; [unrolled: 1-line block ×3, first 2 shown]
	v_mul_f32_e32 v102, v94, v95
	v_lshl_or_b32 v75, v69, 11, v73
	v_or_b32_e32 v69, 2, v70
	v_cmp_eq_u32_e64 s25, 6, v72
	v_cmp_eq_u32_e64 s27, 6, v71
	v_fma_mixlo_f16 v94, v102, v79, 0
	v_fma_mixlo_f16 v95, v102, v81, 0
	;; [unrolled: 1-line block ×8, first 2 shown]
	v_lshl_or_b32 v74, v66, 4, v75
	v_fma_mixhi_f16 v94, v102, v78, 0
	v_fma_mixhi_f16 v95, v102, v80, 0
	;; [unrolled: 1-line block ×8, first 2 shown]
	ds_store_b128 v74, v[94:97]
	ds_store_b128 v74, v[98:101] offset:1024
	s_waitcnt lgkmcnt(0)
	s_barrier
	buffer_gl0_inv
	ds_load_b128 v[78:81], v75
	ds_load_b128 v[82:85], v75 offset:16
	ds_load_b128 v[86:89], v75 offset:1024
	ds_load_b128 v[90:93], v75 offset:1040
	v_cmp_eq_u32_e64 s10, 1, v69
	v_cmp_eq_u32_e64 s15, 2, v69
	;; [unrolled: 1-line block ×11, first 2 shown]
	s_waitcnt lgkmcnt(3)
	v_lshrrev_b32_e32 v94, 16, v78
	s_waitcnt lgkmcnt(2)
	v_lshrrev_b32_e32 v98, 16, v82
	;; [unrolled: 2-line block ×4, first 2 shown]
	v_lshrrev_b32_e32 v95, 16, v79
	v_cndmask_b32_e64 v110, v78, v94, s4
	v_cndmask_b32_e64 v111, v82, v98, s4
	;; [unrolled: 1-line block ×8, first 2 shown]
	v_lshrrev_b32_e32 v99, 16, v83
	v_cndmask_b32_e64 v94, v86, v102, s4
	v_cndmask_b32_e64 v98, v90, v106, s4
	;; [unrolled: 1-line block ×15, first 2 shown]
	v_lshrrev_b32_e32 v103, 16, v87
	v_lshrrev_b32_e32 v107, 16, v91
	v_cndmask_b32_e64 v113, v115, v83, s15
	v_cndmask_b32_e64 v82, v94, v87, s5
	;; [unrolled: 1-line block ×7, first 2 shown]
	v_cndmask_b32_e32 v90, v102, v95, vcc_lo
	v_cndmask_b32_e32 v102, v106, v99, vcc_lo
	v_cndmask_b32_e64 v106, v110, v95, s13
	v_cndmask_b32_e64 v110, v111, v99, s13
	v_cndmask_b32_e64 v78, v78, v95, s18
	v_cndmask_b32_e64 v79, v79, v99, s18
	v_lshrrev_b32_e32 v96, 16, v80
	v_lshrrev_b32_e32 v100, 16, v84
	v_cndmask_b32_e64 v111, v112, v95, s17
	v_cndmask_b32_e64 v112, v113, v99, s17
	v_cndmask_b32_e32 v82, v82, v103, vcc_lo
	v_cndmask_b32_e32 v83, v83, v107, vcc_lo
	v_cndmask_b32_e64 v94, v94, v103, s13
	v_cndmask_b32_e64 v90, v90, v80, s3
	;; [unrolled: 1-line block ×7, first 2 shown]
	v_lshrrev_b32_e32 v104, 16, v88
	v_cndmask_b32_e64 v106, v111, v80, s21
	v_cndmask_b32_e64 v110, v112, v84, s21
	;; [unrolled: 1-line block ×11, first 2 shown]
	v_lshrrev_b32_e32 v97, 16, v81
	v_lshrrev_b32_e32 v101, 16, v85
	v_cndmask_b32_e64 v99, v106, v96, s23
	v_cndmask_b32_e64 v102, v110, v100, s23
	;; [unrolled: 1-line block ×7, first 2 shown]
	v_lshrrev_b32_e32 v105, 16, v89
	v_cndmask_b32_e64 v80, v80, v104, s6
	v_cndmask_b32_e64 v84, v84, v81, s7
	;; [unrolled: 1-line block ×16, first 2 shown]
	v_perm_b32 v81, v79, v78, 0x5040100
	v_perm_b32 v79, v95, v85, 0x5040100
	v_cndmask_b32_e64 v78, v119, v91, s15
	v_cndmask_b32_e64 v85, v117, v91, s12
	;; [unrolled: 1-line block ×3, first 2 shown]
	v_perm_b32 v80, v94, v90, 0x5040100
	v_cndmask_b32_e64 v90, v98, v103, s17
	v_cndmask_b32_e64 v86, v86, v103, s18
	;; [unrolled: 1-line block ×5, first 2 shown]
	v_lshrrev_b32_e32 v108, 16, v92
	v_cndmask_b32_e64 v90, v90, v88, s21
	v_cndmask_b32_e64 v86, v86, v88, s22
	;; [unrolled: 1-line block ×11, first 2 shown]
	v_lshrrev_b32_e32 v109, 16, v93
	v_cndmask_b32_e64 v82, v82, v93, s7
	v_cndmask_b32_e64 v88, v88, v89, s26
	;; [unrolled: 1-line block ×12, first 2 shown]
	v_perm_b32 v78, v84, v83, 0x5040100
	v_perm_b32 v85, v87, v86, 0x5040100
	;; [unrolled: 1-line block ×5, first 2 shown]
	s_mul_i32 s8, s33, 7
	s_mov_b32 s3, exec_lo
	ds_store_b128 v74, v[78:81]
	ds_store_b128 v74, v[82:85] offset:1024
	v_cmpx_gt_u32_e32 7, v0
	s_cbranch_execz .LBB1016_14
; %bb.13:
	s_mul_i32 s4, s8, s34
	s_delay_alu instid0(SALU_CYCLE_1) | instskip(SKIP_1) | instid1(VALU_DEP_1)
	v_add3_u32 v68, s4, s31, v68
	s_load_b128 s[4:7], s[0:1], 0x58
	v_mad_u64_u32 v[78:79], null, v68, s35, s[14:15]
	s_delay_alu instid0(VALU_DEP_1) | instskip(NEXT) | instid1(VALU_DEP_1)
	v_ashrrev_i32_e32 v79, 31, v78
	v_lshlrev_b64 v[78:79], 2, v[78:79]
	s_waitcnt lgkmcnt(0)
	s_delay_alu instid0(VALU_DEP_1) | instskip(NEXT) | instid1(VALU_DEP_2)
	v_add_co_u32 v80, vcc_lo, s6, v78
	v_add_co_ci_u32_e32 v81, vcc_lo, s7, v79, vcc_lo
	v_add_co_u32 v78, vcc_lo, s4, v78
	v_add_co_ci_u32_e32 v79, vcc_lo, s5, v79, vcc_lo
	global_store_b32 v[80:81], v76, off
	global_store_b32 v[78:79], v77, off
.LBB1016_14:
	s_or_b32 exec_lo, exec_lo, s3
	s_waitcnt lgkmcnt(0)
	s_waitcnt_vscnt null, 0x0
	s_barrier
	buffer_gl0_inv
	ds_load_b128 v[84:87], v73
	ds_load_b128 v[88:91], v73 offset:16
	ds_load_b128 v[96:99], v73 offset:2064
	;; [unrolled: 1-line block ×5, first 2 shown]
	v_cmp_eq_u32_e32 vcc_lo, 1, v70
	v_mov_b32_e32 v76, 0
	ds_load_b128 v[112:115], v73 offset:6160
	ds_load_b128 v[108:111], v73 offset:6144
	;; [unrolled: 1-line block ×4, first 2 shown]
	v_cmp_eq_u32_e64 s4, 1, v69
	v_cmp_eq_u32_e64 s3, 1, v72
	;; [unrolled: 1-line block ×3, first 2 shown]
	v_mov_b32_e32 v77, v76
	v_mov_b32_e32 v78, v76
	v_mov_b32_e32 v79, v76
	v_mov_b32_e32 v80, v76
	v_mov_b32_e32 v81, v76
	v_mov_b32_e32 v82, v76
	v_mov_b32_e32 v83, v76
	v_cmp_eq_u32_e64 s6, 3, v72
	v_cmp_eq_u32_e64 s7, 7, v72
	s_waitcnt lgkmcnt(8)
	s_delay_alu instid0(VALU_DEP_3)
	v_wmma_f32_16x16x16_f16 v[76:83], v[49:56], v[84:91], v[76:83]
	ds_load_b128 v[53:56], v73 offset:10256
	ds_load_b128 v[49:52], v73 offset:10240
	s_waitcnt lgkmcnt(8)
	v_wmma_f32_16x16x16_f16 v[76:83], v[41:48], v[92:99], v[76:83]
	ds_load_b128 v[45:48], v73 offset:12304
	ds_load_b128 v[41:44], v73 offset:12288
	s_waitcnt lgkmcnt(8)
	v_wmma_f32_16x16x16_f16 v[76:83], v[33:40], v[100:107], v[76:83]
	ds_load_b128 v[37:40], v73 offset:14352
	ds_load_b128 v[33:36], v73 offset:14336
	s_waitcnt lgkmcnt(0)
	s_barrier
	buffer_gl0_inv
	v_wmma_f32_16x16x16_f16 v[76:83], v[1:8], v[108:115], v[76:83]
	s_delay_alu instid0(VALU_DEP_1) | instskip(NEXT) | instid1(VALU_DEP_1)
	v_wmma_f32_16x16x16_f16 v[76:83], v[9:16], v[116:123], v[76:83]
	v_wmma_f32_16x16x16_f16 v[76:83], v[17:24], v[49:56], v[76:83]
	s_delay_alu instid0(VALU_DEP_1) | instskip(NEXT) | instid1(VALU_DEP_1)
	v_wmma_f32_16x16x16_f16 v[76:83], v[25:32], v[41:48], v[76:83]
	v_wmma_f32_16x16x16_f16 v[76:83], v[57:64], v[33:40], v[76:83]
	s_delay_alu instid0(VALU_DEP_1) | instskip(NEXT) | instid1(VALU_DEP_2)
	v_cvt_f16_f32_e32 v1, v76
	v_cvt_f16_f32_e32 v2, v77
	s_delay_alu instid0(VALU_DEP_3) | instskip(NEXT) | instid1(VALU_DEP_4)
	v_cvt_f16_f32_e32 v3, v78
	v_cvt_f16_f32_e32 v4, v79
	;; [unrolled: 1-line block ×6, first 2 shown]
	v_pack_b32_f16 v1, v1, v2
	v_pack_b32_f16 v2, v3, v4
	;; [unrolled: 1-line block ×3, first 2 shown]
	s_delay_alu instid0(VALU_DEP_4)
	v_pack_b32_f16 v4, v7, v8
	ds_store_b128 v74, v[1:4]
	s_waitcnt lgkmcnt(0)
	s_barrier
	buffer_gl0_inv
	ds_load_b128 v[1:4], v75
	ds_load_b128 v[5:8], v75 offset:16
	s_waitcnt lgkmcnt(1)
	v_lshrrev_b32_e32 v9, 16, v1
	s_waitcnt lgkmcnt(0)
	v_lshrrev_b32_e32 v13, 16, v5
	v_lshrrev_b32_e32 v10, 16, v2
	v_lshrrev_b32_e32 v14, 16, v6
	v_lshrrev_b32_e32 v11, 16, v3
	v_cndmask_b32_e32 v17, v1, v9, vcc_lo
	v_cndmask_b32_e32 v18, v5, v13, vcc_lo
	v_cndmask_b32_e64 v21, v1, v9, s4
	v_cmp_eq_u32_e32 vcc_lo, 1, v71
	v_cndmask_b32_e64 v22, v5, v13, s4
	v_cmp_eq_u32_e64 s4, 2, v70
	v_cndmask_b32_e64 v19, v1, v9, s3
	v_cndmask_b32_e64 v20, v5, v13, s3
	v_cndmask_b32_e32 v1, v1, v9, vcc_lo
	v_cmp_eq_u32_e64 s3, 2, v71
	v_cndmask_b32_e32 v5, v5, v13, vcc_lo
	v_cndmask_b32_e64 v9, v17, v2, s4
	v_cmp_eq_u32_e32 vcc_lo, 3, v70
	v_cndmask_b32_e64 v13, v18, v6, s4
	v_cmp_eq_u32_e64 s4, 2, v69
	v_cndmask_b32_e64 v17, v19, v2, s5
	v_cndmask_b32_e64 v18, v20, v6, s5
	v_cmp_eq_u32_e64 s5, 3, v69
	v_cndmask_b32_e64 v1, v1, v2, s3
	v_cndmask_b32_e64 v19, v21, v2, s4
	;; [unrolled: 1-line block ×4, first 2 shown]
	v_cndmask_b32_e32 v5, v9, v10, vcc_lo
	v_cndmask_b32_e32 v6, v13, v14, vcc_lo
	v_cmp_eq_u32_e32 vcc_lo, 3, v71
	v_cndmask_b32_e64 v9, v17, v10, s6
	v_cndmask_b32_e64 v13, v18, v14, s6
	;; [unrolled: 1-line block ×3, first 2 shown]
	v_cmp_eq_u32_e64 s4, 4, v70
	v_cndmask_b32_e32 v1, v1, v10, vcc_lo
	v_cndmask_b32_e32 v2, v2, v14, vcc_lo
	v_cmp_eq_u32_e32 vcc_lo, 4, v72
	v_lshrrev_b32_e32 v15, 16, v7
	v_lshrrev_b32_e32 v16, 16, v8
	v_cndmask_b32_e64 v17, v19, v10, s5
	v_cmp_eq_u32_e64 s3, 4, v71
	v_cndmask_b32_e64 v5, v5, v3, s4
	v_cndmask_b32_e64 v6, v6, v7, s4
	v_cndmask_b32_e32 v9, v9, v3, vcc_lo
	v_cmp_eq_u32_e64 s4, 5, v72
	v_cndmask_b32_e32 v10, v13, v7, vcc_lo
	v_cmp_eq_u32_e32 vcc_lo, 4, v69
	v_cmp_eq_u32_e64 s5, 5, v70
	v_cndmask_b32_e64 v2, v2, v7, s3
	v_cndmask_b32_e64 v9, v9, v11, s4
	v_cndmask_b32_e64 v10, v10, v15, s4
	v_cndmask_b32_e32 v13, v17, v3, vcc_lo
	v_cmp_eq_u32_e64 s4, 5, v69
	v_cndmask_b32_e32 v14, v18, v7, vcc_lo
	v_cndmask_b32_e64 v1, v1, v3, s3
	v_cmp_eq_u32_e32 vcc_lo, 5, v71
	v_lshrrev_b32_e32 v12, 16, v4
	v_cndmask_b32_e64 v13, v13, v11, s4
	v_cndmask_b32_e64 v3, v14, v15, s4
	v_cmp_eq_u32_e64 s4, 6, v71
	v_cndmask_b32_e32 v1, v1, v11, vcc_lo
	v_cndmask_b32_e64 v5, v5, v11, s5
	v_cmp_eq_u32_e64 s6, 6, v70
	v_cndmask_b32_e64 v6, v6, v15, s5
	v_cmp_eq_u32_e64 s5, 6, v72
	v_cmp_eq_u32_e64 s3, 6, v69
	v_cndmask_b32_e64 v1, v1, v4, s4
	v_cndmask_b32_e32 v2, v2, v15, vcc_lo
	v_cmp_eq_u32_e32 vcc_lo, 7, v71
	v_cndmask_b32_e64 v5, v5, v4, s6
	v_cndmask_b32_e64 v9, v9, v4, s5
	;; [unrolled: 1-line block ×3, first 2 shown]
	v_cmp_eq_u32_e64 s6, 7, v70
	v_cndmask_b32_e32 v1, v1, v12, vcc_lo
	v_cndmask_b32_e64 v7, v13, v4, s3
	v_cndmask_b32_e64 v3, v3, v8, s3
	;; [unrolled: 1-line block ×3, first 2 shown]
	v_cmp_eq_u32_e64 s3, 7, v69
	v_cndmask_b32_e64 v4, v10, v8, s5
	v_cndmask_b32_e64 v5, v5, v12, s6
	;; [unrolled: 1-line block ×3, first 2 shown]
	v_cndmask_b32_e32 v2, v2, v16, vcc_lo
	v_cndmask_b32_e64 v7, v7, v12, s3
	v_cndmask_b32_e64 v3, v3, v16, s3
	v_cndmask_b32_e64 v8, v4, v16, s7
	v_cndmask_b32_e64 v6, v6, v16, s6
	v_perm_b32 v4, v2, v1, 0x5040100
	s_mov_b32 s3, exec_lo
	v_perm_b32 v3, v3, v7, 0x5040100
	v_perm_b32 v2, v8, v9, 0x5040100
	;; [unrolled: 1-line block ×3, first 2 shown]
	ds_store_b128 v74, v[1:4]
	s_waitcnt lgkmcnt(0)
	s_barrier
	buffer_gl0_inv
	v_cmpx_gt_u32_e32 32, v0
	s_cbranch_execz .LBB1016_2
; %bb.15:
	s_load_b64 s[4:5], s[0:1], 0x68
	v_lshlrev_b32_e32 v0, 10, v0
	v_add_nc_u32_e32 v2, s31, v66
	v_lshlrev_b32_e32 v3, 4, v67
	s_lshl_b32 s0, s35, 7
	s_delay_alu instid0(SALU_CYCLE_1) | instskip(NEXT) | instid1(VALU_DEP_2)
	s_mul_i32 s1, s0, s34
	v_mul_lo_u32 v1, v2, s0
	s_delay_alu instid0(VALU_DEP_2)
	v_and_or_b32 v0, 0x3800, v0, v3
	v_add_nc_u32_e32 v3, 2, v2
	s_mul_i32 s6, s1, s8
	v_add_nc_u32_e32 v4, 4, v2
	s_ashr_i32 s7, s6, 31
	v_lshl_or_b32 v11, v66, 6, v0
	s_lshl_b64 s[6:7], s[6:7], 1
	v_mul_lo_u32 v15, v3, s0
	v_mul_lo_u32 v17, v4, s0
	v_ashrrev_i32_e32 v2, 31, v1
	ds_load_b128 v[3:6], v11
	ds_load_b128 v[7:10], v11 offset:128
	ds_load_b128 v[11:14], v11 offset:256
	s_waitcnt lgkmcnt(0)
	s_add_u32 s1, s4, s6
	s_addc_u32 s3, s5, s7
	s_lshl_b32 s4, s14, 7
	v_ashrrev_i32_e32 v16, 31, v15
	s_ashr_i32 s5, s4, 31
	v_lshlrev_b64 v[19:20], 1, v[1:2]
	s_lshl_b64 s[4:5], s[4:5], 1
	v_ashrrev_i32_e32 v18, 31, v17
	s_add_u32 s1, s1, s4
	s_addc_u32 s3, s3, s5
	v_add_co_u32 v1, s1, s1, v65
	s_delay_alu instid0(VALU_DEP_1) | instskip(SKIP_1) | instid1(VALU_DEP_3)
	v_add_co_ci_u32_e64 v2, null, s3, 0, s1
	v_lshlrev_b64 v[15:16], 1, v[15:16]
	v_add_co_u32 v19, vcc_lo, v1, v19
	v_lshlrev_b64 v[17:18], 1, v[17:18]
	s_delay_alu instid0(VALU_DEP_4) | instskip(NEXT) | instid1(VALU_DEP_4)
	v_add_co_ci_u32_e32 v20, vcc_lo, v2, v20, vcc_lo
	v_add_co_u32 v15, vcc_lo, v1, v15
	v_add_co_ci_u32_e32 v16, vcc_lo, v2, v16, vcc_lo
	s_delay_alu instid0(VALU_DEP_4)
	v_add_co_u32 v17, vcc_lo, v1, v17
	v_add_co_ci_u32_e32 v18, vcc_lo, v2, v18, vcc_lo
	s_clause 0x2
	global_store_b128 v[19:20], v[3:6], off
	global_store_b128 v[15:16], v[7:10], off
	;; [unrolled: 1-line block ×3, first 2 shown]
	s_and_b32 exec_lo, exec_lo, s2
	s_cbranch_execz .LBB1016_2
; %bb.16:
	ds_load_b128 v[3:6], v0 offset:384
	s_add_i32 s1, s31, 6
	s_delay_alu instid0(SALU_CYCLE_1) | instskip(NEXT) | instid1(SALU_CYCLE_1)
	s_mul_i32 s0, s1, s0
	s_ashr_i32 s1, s0, 31
	s_delay_alu instid0(SALU_CYCLE_1) | instskip(NEXT) | instid1(SALU_CYCLE_1)
	s_lshl_b64 s[0:1], s[0:1], 1
	v_add_co_u32 v0, vcc_lo, v1, s0
	v_add_co_ci_u32_e32 v1, vcc_lo, s1, v2, vcc_lo
	s_waitcnt lgkmcnt(0)
	global_store_b128 v[0:1], v[3:6], off
	s_nop 0
	s_sendmsg sendmsg(MSG_DEALLOC_VGPRS)
	s_endpgm
	.section	.rodata,"a",@progbits
	.p2align	6, 0x0
	.amdhsa_kernel _Z39paged_attention_ll4mi_QKV_mfma16_kernelIDF16_hLN4vllm18Fp8KVCacheDataTypeE1EhLi32ELi128ELi256ELb1ELi7EL8MFMAType1EEvPKT_PKT0_S8_ifPKiSA_SA_iPKfiiiPfSD_PS3_PT2_iSC_SC_
		.amdhsa_group_segment_fixed_size 17472
		.amdhsa_private_segment_fixed_size 0
		.amdhsa_kernarg_size 400
		.amdhsa_user_sgpr_count 13
		.amdhsa_user_sgpr_dispatch_ptr 0
		.amdhsa_user_sgpr_queue_ptr 0
		.amdhsa_user_sgpr_kernarg_segment_ptr 1
		.amdhsa_user_sgpr_dispatch_id 0
		.amdhsa_user_sgpr_private_segment_size 0
		.amdhsa_wavefront_size32 1
		.amdhsa_uses_dynamic_stack 0
		.amdhsa_enable_private_segment 0
		.amdhsa_system_sgpr_workgroup_id_x 1
		.amdhsa_system_sgpr_workgroup_id_y 1
		.amdhsa_system_sgpr_workgroup_id_z 1
		.amdhsa_system_sgpr_workgroup_info 0
		.amdhsa_system_vgpr_workitem_id 0
		.amdhsa_next_free_vgpr 150
		.amdhsa_next_free_sgpr 37
		.amdhsa_reserve_vcc 1
		.amdhsa_float_round_mode_32 0
		.amdhsa_float_round_mode_16_64 0
		.amdhsa_float_denorm_mode_32 3
		.amdhsa_float_denorm_mode_16_64 3
		.amdhsa_dx10_clamp 1
		.amdhsa_ieee_mode 1
		.amdhsa_fp16_overflow 0
		.amdhsa_workgroup_processor_mode 1
		.amdhsa_memory_ordered 1
		.amdhsa_forward_progress 0
		.amdhsa_shared_vgpr_count 0
		.amdhsa_exception_fp_ieee_invalid_op 0
		.amdhsa_exception_fp_denorm_src 0
		.amdhsa_exception_fp_ieee_div_zero 0
		.amdhsa_exception_fp_ieee_overflow 0
		.amdhsa_exception_fp_ieee_underflow 0
		.amdhsa_exception_fp_ieee_inexact 0
		.amdhsa_exception_int_div_zero 0
	.end_amdhsa_kernel
	.section	.text._Z39paged_attention_ll4mi_QKV_mfma16_kernelIDF16_hLN4vllm18Fp8KVCacheDataTypeE1EhLi32ELi128ELi256ELb1ELi7EL8MFMAType1EEvPKT_PKT0_S8_ifPKiSA_SA_iPKfiiiPfSD_PS3_PT2_iSC_SC_,"axG",@progbits,_Z39paged_attention_ll4mi_QKV_mfma16_kernelIDF16_hLN4vllm18Fp8KVCacheDataTypeE1EhLi32ELi128ELi256ELb1ELi7EL8MFMAType1EEvPKT_PKT0_S8_ifPKiSA_SA_iPKfiiiPfSD_PS3_PT2_iSC_SC_,comdat
.Lfunc_end1016:
	.size	_Z39paged_attention_ll4mi_QKV_mfma16_kernelIDF16_hLN4vllm18Fp8KVCacheDataTypeE1EhLi32ELi128ELi256ELb1ELi7EL8MFMAType1EEvPKT_PKT0_S8_ifPKiSA_SA_iPKfiiiPfSD_PS3_PT2_iSC_SC_, .Lfunc_end1016-_Z39paged_attention_ll4mi_QKV_mfma16_kernelIDF16_hLN4vllm18Fp8KVCacheDataTypeE1EhLi32ELi128ELi256ELb1ELi7EL8MFMAType1EEvPKT_PKT0_S8_ifPKiSA_SA_iPKfiiiPfSD_PS3_PT2_iSC_SC_
                                        ; -- End function
	.section	.AMDGPU.csdata,"",@progbits
; Kernel info:
; codeLenInByte = 6708
; NumSgprs: 39
; NumVgprs: 150
; ScratchSize: 0
; MemoryBound: 0
; FloatMode: 240
; IeeeMode: 1
; LDSByteSize: 17472 bytes/workgroup (compile time only)
; SGPRBlocks: 4
; VGPRBlocks: 18
; NumSGPRsForWavesPerEU: 39
; NumVGPRsForWavesPerEU: 150
; Occupancy: 9
; WaveLimiterHint : 1
; COMPUTE_PGM_RSRC2:SCRATCH_EN: 0
; COMPUTE_PGM_RSRC2:USER_SGPR: 13
; COMPUTE_PGM_RSRC2:TRAP_HANDLER: 0
; COMPUTE_PGM_RSRC2:TGID_X_EN: 1
; COMPUTE_PGM_RSRC2:TGID_Y_EN: 1
; COMPUTE_PGM_RSRC2:TGID_Z_EN: 1
; COMPUTE_PGM_RSRC2:TIDIG_COMP_CNT: 0
	.section	.text._Z39paged_attention_ll4mi_QKV_mfma16_kernelIDF16_hLN4vllm18Fp8KVCacheDataTypeE1EhLi32ELi128ELi256ELb1ELi8EL8MFMAType1EEvPKT_PKT0_S8_ifPKiSA_SA_iPKfiiiPfSD_PS3_PT2_iSC_SC_,"axG",@progbits,_Z39paged_attention_ll4mi_QKV_mfma16_kernelIDF16_hLN4vllm18Fp8KVCacheDataTypeE1EhLi32ELi128ELi256ELb1ELi8EL8MFMAType1EEvPKT_PKT0_S8_ifPKiSA_SA_iPKfiiiPfSD_PS3_PT2_iSC_SC_,comdat
	.protected	_Z39paged_attention_ll4mi_QKV_mfma16_kernelIDF16_hLN4vllm18Fp8KVCacheDataTypeE1EhLi32ELi128ELi256ELb1ELi8EL8MFMAType1EEvPKT_PKT0_S8_ifPKiSA_SA_iPKfiiiPfSD_PS3_PT2_iSC_SC_ ; -- Begin function _Z39paged_attention_ll4mi_QKV_mfma16_kernelIDF16_hLN4vllm18Fp8KVCacheDataTypeE1EhLi32ELi128ELi256ELb1ELi8EL8MFMAType1EEvPKT_PKT0_S8_ifPKiSA_SA_iPKfiiiPfSD_PS3_PT2_iSC_SC_
	.globl	_Z39paged_attention_ll4mi_QKV_mfma16_kernelIDF16_hLN4vllm18Fp8KVCacheDataTypeE1EhLi32ELi128ELi256ELb1ELi8EL8MFMAType1EEvPKT_PKT0_S8_ifPKiSA_SA_iPKfiiiPfSD_PS3_PT2_iSC_SC_
	.p2align	8
	.type	_Z39paged_attention_ll4mi_QKV_mfma16_kernelIDF16_hLN4vllm18Fp8KVCacheDataTypeE1EhLi32ELi128ELi256ELb1ELi8EL8MFMAType1EEvPKT_PKT0_S8_ifPKiSA_SA_iPKfiiiPfSD_PS3_PT2_iSC_SC_,@function
_Z39paged_attention_ll4mi_QKV_mfma16_kernelIDF16_hLN4vllm18Fp8KVCacheDataTypeE1EhLi32ELi128ELi256ELb1ELi8EL8MFMAType1EEvPKT_PKT0_S8_ifPKiSA_SA_iPKfiiiPfSD_PS3_PT2_iSC_SC_: ; @_Z39paged_attention_ll4mi_QKV_mfma16_kernelIDF16_hLN4vllm18Fp8KVCacheDataTypeE1EhLi32ELi128ELi256ELb1ELi8EL8MFMAType1EEvPKT_PKT0_S8_ifPKiSA_SA_iPKfiiiPfSD_PS3_PT2_iSC_SC_
; %bb.0:
	s_load_b64 s[4:5], s[0:1], 0x30
	s_mov_b32 s30, s13
	s_waitcnt lgkmcnt(0)
	s_cmp_lg_u64 s[4:5], 0
	s_cselect_b32 s13, -1, 0
	s_ashr_i32 s31, s30, 31
	s_cmp_eq_u64 s[4:5], 0
	s_cbranch_scc1 .LBB1017_3
; %bb.1:
	s_lshl_b64 s[2:3], s[30:31], 2
	s_delay_alu instid0(SALU_CYCLE_1) | instskip(SKIP_4) | instid1(SALU_CYCLE_1)
	s_add_u32 s2, s4, s2
	s_addc_u32 s3, s5, s3
	s_load_b64 s[2:3], s[2:3], 0x0
	s_waitcnt lgkmcnt(0)
	s_sub_i32 s2, s3, s2
	s_cmp_eq_u32 s2, 1
	s_cselect_b32 s2, -1, 0
	s_delay_alu instid0(SALU_CYCLE_1)
	s_and_not1_b32 vcc_lo, exec_lo, s2
	s_cbranch_vccz .LBB1017_4
.LBB1017_2:
	s_endpgm
.LBB1017_3:
.LBB1017_4:
	s_load_b64 s[2:3], s[0:1], 0x28
	s_lshl_b64 s[6:7], s[30:31], 2
	s_waitcnt lgkmcnt(0)
	s_add_u32 s2, s2, s6
	s_addc_u32 s3, s3, s7
	s_lshl_b32 s12, s14, 8
	s_load_b32 s17, s[2:3], 0x0
	s_waitcnt lgkmcnt(0)
	s_cmp_ge_i32 s12, s17
	s_cbranch_scc1 .LBB1017_2
; %bb.5:
	s_clause 0x1
	s_load_b128 s[8:11], s[0:1], 0x8
	s_load_b64 s[2:3], s[0:1], 0x20
	s_and_not1_b32 vcc_lo, exec_lo, s13
	s_cbranch_vccnz .LBB1017_7
; %bb.6:
	s_add_u32 s4, s4, s6
	s_addc_u32 s5, s5, s7
	s_load_b32 s13, s[4:5], 0x0
	s_branch .LBB1017_8
.LBB1017_7:
	s_mov_b32 s13, s30
.LBB1017_8:
	s_load_b128 s[4:7], s[0:1], 0x48
	v_and_b32_e32 v69, 15, v0
	v_lshrrev_b32_e32 v68, 5, v0
	v_and_b32_e32 v70, 31, v0
	v_and_b32_e32 v67, 1, v0
	v_bfe_u32 v66, v0, 4, 1
	v_lshlrev_b32_e32 v1, 3, v69
	s_lshl_b32 s31, s15, 3
	s_waitcnt lgkmcnt(0)
	s_mov_b32 s7, exec_lo
	s_delay_alu instid0(VALU_DEP_1)
	v_lshlrev_b32_e32 v65, 1, v1
	v_cmpx_gt_u32_e32 0x80, v0
	s_cbranch_execz .LBB1017_10
; %bb.9:
	v_lshl_or_b32 v5, v68, 1, v66
	s_load_b64 s[18:19], s[0:1], 0x0
	s_mul_hi_i32 s21, s13, s4
	s_mul_i32 s20, s13, s4
	v_lshlrev_b32_e32 v6, 10, v69
	v_or_b32_e32 v1, s31, v5
	s_lshl_b64 s[20:21], s[20:21], 1
	v_lshlrev_b32_e32 v5, 6, v5
	v_lshlrev_b32_e32 v7, 10, v67
	v_and_b32_e32 v6, 0x3800, v6
	v_lshlrev_b32_e32 v1, 7, v1
	s_delay_alu instid0(VALU_DEP_2) | instskip(NEXT) | instid1(VALU_DEP_2)
	v_or3_b32 v5, v6, v7, v5
	v_ashrrev_i32_e32 v2, 31, v1
	s_delay_alu instid0(VALU_DEP_1) | instskip(SKIP_3) | instid1(VALU_DEP_1)
	v_lshlrev_b64 v[1:2], 1, v[1:2]
	s_waitcnt lgkmcnt(0)
	s_add_u32 s4, s18, s20
	s_addc_u32 s13, s19, s21
	v_add_co_u32 v1, vcc_lo, s4, v1
	s_delay_alu instid0(VALU_DEP_2) | instskip(NEXT) | instid1(VALU_DEP_2)
	v_add_co_ci_u32_e32 v2, vcc_lo, s13, v2, vcc_lo
	v_add_co_u32 v1, vcc_lo, v1, v65
	s_delay_alu instid0(VALU_DEP_2)
	v_add_co_ci_u32_e32 v2, vcc_lo, 0, v2, vcc_lo
	global_load_b128 v[1:4], v[1:2], off
	s_waitcnt vmcnt(0)
	ds_store_b128 v5, v[1:4]
.LBB1017_10:
	s_or_b32 exec_lo, exec_lo, s7
	v_and_b32_e32 v1, 0xef, v0
	s_add_i32 s4, s17, 31
	s_clause 0x1
	s_load_b32 s7, s[0:1], 0x38
	s_load_b32 s33, s[0:1], 0x98
	s_ashr_i32 s13, s4, 31
	v_add_nc_u32_e32 v1, s12, v1
	s_lshr_b32 s13, s13, 27
	s_load_b32 s18, s[0:1], 0x1c
	s_add_i32 s4, s4, s13
	s_waitcnt lgkmcnt(0)
	v_ashrrev_i32_e32 v2, 31, v1
	v_or_b32_e32 v3, 16, v1
	s_ashr_i32 s4, s4, 5
	v_cmp_gt_i32_e32 vcc_lo, s17, v1
	s_add_i32 s4, s4, -1
	v_lshrrev_b32_e32 v2, 27, v2
	s_barrier
	buffer_gl0_inv
	s_mul_i32 s15, s15, s6
	v_add_nc_u32_e32 v4, v1, v2
	s_mul_i32 s20, s30, s7
	s_delay_alu instid0(SALU_CYCLE_1) | instskip(NEXT) | instid1(VALU_DEP_1)
	s_ashr_i32 s21, s20, 31
	v_ashrrev_i32_e32 v4, 5, v4
	v_add_nc_u32_e32 v2, v3, v2
	s_lshl_b64 s[20:21], s[20:21], 2
	s_delay_alu instid0(SALU_CYCLE_1) | instskip(NEXT) | instid1(VALU_DEP_2)
	s_add_u32 s13, s2, s20
	v_cndmask_b32_e32 v1, s4, v4, vcc_lo
	s_delay_alu instid0(VALU_DEP_2)
	v_ashrrev_i32_e32 v2, 5, v2
	v_cmp_gt_i32_e32 vcc_lo, s17, v3
	s_addc_u32 s16, s3, s21
	s_ashr_i32 s19, s15, 31
	s_add_u32 s2, s8, s15
	s_addc_u32 s3, s9, s19
	v_cndmask_b32_e32 v3, s4, v2, vcc_lo
	v_ashrrev_i32_e32 v2, 31, v1
	s_lshl_b32 s6, s14, 3
	s_delay_alu instid0(SALU_CYCLE_1) | instskip(NEXT) | instid1(VALU_DEP_2)
	s_ashr_i32 s7, s6, 31
	v_ashrrev_i32_e32 v4, 31, v3
	s_delay_alu instid0(VALU_DEP_2) | instskip(SKIP_1) | instid1(SALU_CYCLE_1)
	v_lshlrev_b64 v[1:2], 2, v[1:2]
	s_lshl_b64 s[6:7], s[6:7], 2
	s_add_u32 s6, s13, s6
	s_delay_alu instid0(VALU_DEP_2) | instskip(SKIP_1) | instid1(VALU_DEP_2)
	v_lshlrev_b64 v[3:4], 2, v[3:4]
	s_addc_u32 s7, s16, s7
	v_add_co_u32 v1, vcc_lo, s13, v1
	v_add_co_ci_u32_e32 v2, vcc_lo, s16, v2, vcc_lo
	s_delay_alu instid0(VALU_DEP_3) | instskip(NEXT) | instid1(VALU_DEP_4)
	v_add_co_u32 v3, vcc_lo, s13, v3
	v_add_co_ci_u32_e32 v4, vcc_lo, s16, v4, vcc_lo
	s_clause 0x1
	global_load_b32 v5, v[1:2], off
	global_load_b32 v6, v[3:4], off
	s_or_b32 s8, s12, 32
	s_delay_alu instid0(SALU_CYCLE_1) | instskip(SKIP_2) | instid1(SALU_CYCLE_1)
	s_ashr_i32 s9, s8, 5
	s_cmp_lt_i32 s8, s17
	s_cselect_b32 s8, s9, s4
	s_ashr_i32 s9, s8, 31
	s_delay_alu instid0(SALU_CYCLE_1) | instskip(NEXT) | instid1(SALU_CYCLE_1)
	s_lshl_b64 s[8:9], s[8:9], 2
	s_add_u32 s8, s13, s8
	s_addc_u32 s9, s16, s9
	s_or_b32 s20, s12, 64
	s_delay_alu instid0(SALU_CYCLE_1) | instskip(SKIP_2) | instid1(SALU_CYCLE_1)
	s_ashr_i32 s21, s20, 5
	s_cmp_lt_i32 s20, s17
	s_cselect_b32 s20, s21, s4
	s_ashr_i32 s21, s20, 31
	s_delay_alu instid0(SALU_CYCLE_1) | instskip(NEXT) | instid1(SALU_CYCLE_1)
	s_lshl_b64 s[20:21], s[20:21], 2
	s_add_u32 s20, s13, s20
	s_addc_u32 s21, s16, s21
	;; [unrolled: 10-line block ×5, first 2 shown]
	s_clause 0x5
	s_load_b32 s28, s[6:7], 0x0
	s_load_b32 s8, s[8:9], 0x0
	;; [unrolled: 1-line block ×6, first 2 shown]
	s_mov_b32 s20, 0
	s_delay_alu instid0(SALU_CYCLE_1)
	s_mov_b32 s21, s20
	s_mov_b32 s22, s20
	;; [unrolled: 1-line block ×7, first 2 shown]
	s_delay_alu instid0(SALU_CYCLE_1)
	v_dual_mov_b32 v102, s27 :: v_dual_mov_b32 v101, s26
	v_dual_mov_b32 v100, s25 :: v_dual_mov_b32 v99, s24
	v_mov_b32_e32 v97, s22
	v_dual_mov_b32 v95, s20 :: v_dual_mov_b32 v98, s23
	v_mov_b32_e32 v96, s21
	s_waitcnt vmcnt(1)
	v_mad_i64_i32 v[1:2], null, v5, s5, s[2:3]
	v_lshlrev_b32_e32 v5, 4, v69
	s_waitcnt vmcnt(0)
	v_mad_i64_i32 v[3:4], null, v6, s5, s[2:3]
	s_or_b32 s2, s12, 0xc0
	s_delay_alu instid0(SALU_CYCLE_1) | instskip(NEXT) | instid1(VALU_DEP_3)
	s_ashr_i32 s3, s2, 5
	v_add_co_u32 v33, vcc_lo, v1, v5
	s_delay_alu instid0(VALU_DEP_4) | instskip(NEXT) | instid1(VALU_DEP_3)
	v_add_co_ci_u32_e32 v34, vcc_lo, 0, v2, vcc_lo
	v_add_co_u32 v35, vcc_lo, v3, v5
	s_delay_alu instid0(VALU_DEP_4)
	v_add_co_ci_u32_e32 v36, vcc_lo, 0, v4, vcc_lo
	s_clause 0xf
	global_load_b128 v[1:4], v[33:34], off
	global_load_b128 v[5:8], v[33:34], off offset:512
	global_load_b128 v[9:12], v[35:36], off offset:256
	;; [unrolled: 1-line block ×15, first 2 shown]
	s_cmp_lt_i32 s2, s17
	v_and_b32_e32 v33, 7, v0
	s_cselect_b32 s2, s3, s4
	v_lshlrev_b32_e32 v34, 5, v69
	s_ashr_i32 s3, s2, 31
	s_delay_alu instid0(SALU_CYCLE_1)
	s_lshl_b64 s[2:3], s[2:3], 2
	v_lshlrev_b32_e32 v139, 6, v33
	s_add_u32 s2, s13, s2
	s_addc_u32 s3, s16, s3
	s_or_b32 s6, s12, 0xe0
	v_lshl_or_b32 v41, v68, 9, v34
	s_ashr_i32 s7, s6, 5
	s_cmp_lt_i32 s6, s17
	ds_load_b128 v[33:36], v139
	ds_load_b128 v[37:40], v139 offset:1024
	s_cselect_b32 s6, s7, s4
	ds_load_b128 v[103:106], v139 offset:2048
	ds_load_b128 v[107:110], v139 offset:3072
	s_ashr_i32 s7, s6, 31
	s_load_b32 s4, s[2:3], 0x0
	s_lshl_b64 s[6:7], s[6:7], 2
	ds_load_b128 v[111:114], v139 offset:4096
	ds_load_b128 v[115:118], v139 offset:5120
	s_add_u32 s2, s13, s6
	s_addc_u32 s3, s16, s7
	s_add_u32 s6, s10, s15
	s_load_b32 s2, s[2:3], 0x0
	s_addc_u32 s7, s11, s19
	v_add_co_u32 v127, s6, s6, v41
	s_delay_alu instid0(VALU_DEP_1) | instskip(SKIP_1) | instid1(VALU_DEP_1)
	v_add_co_ci_u32_e64 v128, null, s7, 0, s6
	s_waitcnt lgkmcnt(0)
	v_mad_i64_i32 v[41:42], null, s28, s5, v[127:128]
	v_mad_i64_i32 v[129:130], null, s9, s5, v[127:128]
	;; [unrolled: 1-line block ×7, first 2 shown]
	s_clause 0x3
	global_load_b128 v[49:52], v[41:42], off
	global_load_b128 v[53:56], v[41:42], off offset:16
	global_load_b128 v[41:44], v[45:46], off
	global_load_b128 v[45:48], v[45:46], off offset:16
	s_waitcnt vmcnt(18)
	v_wmma_f32_16x16x16_f16 v[119:126], v[1:8], v[33:40], v[95:102]
	s_waitcnt vmcnt(16)
	v_wmma_f32_16x16x16_f16 v[95:102], v[9:16], v[33:40], v[95:102]
	s_clause 0x3
	global_load_b128 v[33:36], v[129:130], off
	global_load_b128 v[37:40], v[129:130], off offset:16
	global_load_b128 v[1:4], v[131:132], off
	global_load_b128 v[5:8], v[131:132], off offset:16
	s_waitcnt vmcnt(18)
	v_wmma_f32_16x16x16_f16 v[119:126], v[17:24], v[103:110], v[119:126]
	s_clause 0x3
	global_load_b128 v[9:12], v[133:134], off
	global_load_b128 v[13:16], v[133:134], off offset:16
	global_load_b128 v[17:20], v[135:136], off
	global_load_b128 v[21:24], v[135:136], off offset:16
	s_waitcnt vmcnt(20)
	v_wmma_f32_16x16x16_f16 v[95:102], v[25:32], v[103:110], v[95:102]
	v_mad_i64_i32 v[103:104], null, s2, s5, v[127:128]
	s_waitcnt vmcnt(18)
	v_wmma_f32_16x16x16_f16 v[119:126], v[57:64], v[111:118], v[119:126]
	s_clause 0x3
	global_load_b128 v[25:28], v[137:138], off
	global_load_b128 v[29:32], v[137:138], off offset:16
	global_load_b128 v[57:60], v[103:104], off
	global_load_b128 v[61:64], v[103:104], off offset:16
	s_waitcnt vmcnt(20)
	v_wmma_f32_16x16x16_f16 v[95:102], v[71:78], v[111:118], v[95:102]
	ds_load_b128 v[71:74], v139 offset:6144
	ds_load_b128 v[75:78], v139 offset:7168
	v_mbcnt_lo_u32_b32 v104, -1, 0
	s_waitcnt vmcnt(0) lgkmcnt(0)
	s_barrier
	buffer_gl0_inv
	v_xor_b32_e32 v105, 16, v104
	s_delay_alu instid0(VALU_DEP_1) | instskip(SKIP_4) | instid1(VALU_DEP_2)
	v_cmp_gt_i32_e32 vcc_lo, 32, v105
	v_cndmask_b32_e32 v104, v104, v105, vcc_lo
	v_wmma_f32_16x16x16_f16 v[119:126], v[79:86], v[71:78], v[119:126]
	v_and_b32_e32 v103, 0xe0, v0
	v_wmma_f32_16x16x16_f16 v[95:102], v[87:94], v[71:78], v[95:102]
	v_dual_mul_f32 v78, s18, v121 :: v_dual_add_nc_u32 v103, s12, v103
	s_delay_alu instid0(VALU_DEP_2) | instskip(SKIP_1) | instid1(VALU_DEP_3)
	v_dual_mul_f32 v90, s18, v101 :: v_dual_mul_f32 v87, s18, v120
	v_dual_mul_f32 v88, s18, v119 :: v_dual_mul_f32 v77, s18, v122
	v_or_b32_e32 v103, v103, v66
	v_dual_mul_f32 v75, s18, v124 :: v_dual_mul_f32 v94, s18, v97
	v_dual_mul_f32 v76, s18, v123 :: v_dual_mul_f32 v73, s18, v126
	v_mul_f32_e32 v92, s18, v99
	s_delay_alu instid0(VALU_DEP_4)
	v_or_b32_e32 v105, 2, v103
	v_or_b32_e32 v106, 4, v103
	;; [unrolled: 1-line block ×3, first 2 shown]
	v_cmp_gt_i32_e64 s2, s17, v103
	v_or_b32_e32 v108, 8, v103
	v_cmp_gt_i32_e32 vcc_lo, s17, v105
	v_or_b32_e32 v109, 10, v103
	v_cmp_gt_i32_e64 s3, s17, v106
	v_cndmask_b32_e64 v88, 0xff7fffff, v88, s2
	v_cmp_gt_i32_e64 s4, s17, v107
	v_cndmask_b32_e32 v87, 0xff7fffff, v87, vcc_lo
	v_or_b32_e32 v79, 12, v103
	v_or_b32_e32 v80, 14, v103
	v_cndmask_b32_e64 v78, 0xff7fffff, v78, s3
	v_cndmask_b32_e64 v77, 0xff7fffff, v77, s4
	v_max3_f32 v87, v88, 0xff7fffff, v87
	v_cmp_gt_i32_e64 s5, s17, v108
	v_cmp_gt_i32_e64 s6, s17, v109
	v_or_b32_e32 v81, 16, v103
	v_or_b32_e32 v82, 18, v103
	v_mul_f32_e32 v74, s18, v125
	v_cndmask_b32_e64 v76, 0xff7fffff, v76, s5
	v_cndmask_b32_e64 v75, 0xff7fffff, v75, s6
	v_max3_f32 v77, v87, v78, v77
	v_cmp_gt_i32_e64 s7, s17, v79
	v_cmp_gt_i32_e64 s8, s17, v80
	v_or_b32_e32 v83, 20, v103
	v_or_b32_e32 v84, 22, v103
	;; [unrolled: 1-line block ×6, first 2 shown]
	v_mul_f32_e32 v105, s18, v96
	v_mul_f32_e32 v103, s18, v95
	v_cndmask_b32_e64 v74, 0xff7fffff, v74, s7
	v_cndmask_b32_e64 v73, 0xff7fffff, v73, s8
	v_max3_f32 v75, v77, v76, v75
	v_cmp_gt_i32_e64 s9, s17, v81
	v_cmp_gt_i32_e64 s10, s17, v82
	v_mul_f32_e32 v93, s18, v98
	v_cmp_gt_i32_e64 s11, s17, v83
	v_max3_f32 v73, v75, v74, v73
	v_cndmask_b32_e64 v76, 0xff7fffff, v103, s9
	v_cndmask_b32_e64 v77, 0xff7fffff, v105, s10
	v_cmp_gt_i32_e64 s12, s17, v84
	v_mul_f32_e32 v91, s18, v100
	v_cndmask_b32_e64 v74, 0xff7fffff, v94, s11
	v_cmp_gt_i32_e64 s13, s17, v85
	v_max3_f32 v73, v73, v76, v77
	v_cndmask_b32_e64 v75, 0xff7fffff, v93, s12
	v_cmp_gt_i32_e64 s15, s17, v86
	v_mul_f32_e32 v89, s18, v102
	v_cndmask_b32_e64 v76, 0xff7fffff, v92, s13
	v_cmp_gt_i32_e64 s16, s17, v71
	v_max3_f32 v73, v73, v74, v75
	v_cndmask_b32_e64 v77, 0xff7fffff, v91, s15
	v_cmp_gt_i32_e64 s17, s17, v72
	v_lshlrev_b32_e32 v74, 2, v104
	v_cndmask_b32_e64 v71, 0xff7fffff, v90, s16
	s_delay_alu instid0(VALU_DEP_4) | instskip(NEXT) | instid1(VALU_DEP_4)
	v_max3_f32 v73, v73, v76, v77
	v_cndmask_b32_e64 v72, 0xff7fffff, v89, s17
	s_delay_alu instid0(VALU_DEP_1) | instskip(SKIP_3) | instid1(VALU_DEP_1)
	v_max3_f32 v71, v73, v71, v72
	ds_bpermute_b32 v72, v74, v71
	s_waitcnt lgkmcnt(0)
	v_max_f32_e32 v72, v72, v72
	v_max_f32_e32 v71, v71, v72
	s_delay_alu instid0(VALU_DEP_1)
	v_fma_f32 v72, s18, v119, -v71
	v_fma_f32 v76, s18, v122, -v71
	;; [unrolled: 1-line block ×5, first 2 shown]
	v_mul_f32_e32 v72, 0x3fb8aa3b, v72
	v_mul_f32_e32 v76, 0x3fb8aa3b, v76
	v_fma_f32 v75, s18, v121, -v71
	v_mul_f32_e32 v79, 0x3fb8aa3b, v77
	v_mul_f32_e32 v85, 0x3fb8aa3b, v84
	v_exp_f32_e32 v72, v72
	v_exp_f32_e32 v76, v76
	v_fma_f32 v86, s18, v98, -v71
	v_exp_f32_e32 v82, v79
	v_exp_f32_e32 v85, v85
	v_fma_f32 v81, s18, v125, -v71
	s_delay_alu instid0(VALU_DEP_2) | instskip(SKIP_3) | instid1(TRANS32_DEP_3)
	v_mul_f32_e32 v87, 0x3fb8aa3b, v86
	v_cndmask_b32_e64 v78, 0, v72, s2
	v_fma_f32 v72, s18, v124, -v71
	v_mul_f32_e32 v73, 0x3fb8aa3b, v73
	v_cndmask_b32_e64 v79, 0, v76, s4
	v_fma_f32 v76, s18, v95, -v71
	s_delay_alu instid0(VALU_DEP_4) | instskip(NEXT) | instid1(VALU_DEP_4)
	v_dual_mul_f32 v75, 0x3fb8aa3b, v75 :: v_dual_mul_f32 v72, 0x3fb8aa3b, v72
	v_exp_f32_e32 v73, v73
	v_exp_f32_e32 v87, v87
	s_delay_alu instid0(VALU_DEP_2) | instskip(NEXT) | instid1(VALU_DEP_2)
	v_mul_f32_e32 v76, 0x3fb8aa3b, v76
	v_exp_f32_e32 v75, v75
	v_cndmask_b32_e64 v85, 0, v85, s10
	v_mul_f32_e32 v81, 0x3fb8aa3b, v81
	v_exp_f32_e32 v72, v72
	v_cndmask_b32_e64 v82, 0, v82, s5
	v_exp_f32_e32 v76, v76
	s_mov_b32 s2, exec_lo
	v_cndmask_b32_e32 v77, 0, v73, vcc_lo
	v_add_f32_e32 v73, 0, v78
	v_cndmask_b32_e64 v87, 0, v87, s12
	v_cndmask_b32_e64 v80, 0, v75, s3
	v_fma_f32 v75, s18, v126, -v71
	v_exp_f32_e32 v83, v81
	v_add_f32_e32 v73, v73, v77
	v_cndmask_b32_e64 v81, 0, v72, s6
	v_cndmask_b32_e64 v86, 0, v76, s9
	v_mul_f32_e32 v75, 0x3fb8aa3b, v75
	s_delay_alu instid0(VALU_DEP_4) | instskip(NEXT) | instid1(VALU_DEP_2)
	v_add_f32_e32 v73, v73, v80
	v_exp_f32_e32 v75, v75
	s_delay_alu instid0(TRANS32_DEP_2) | instskip(NEXT) | instid1(VALU_DEP_2)
	v_cndmask_b32_e64 v84, 0, v83, s7
	v_add_f32_e32 v73, v73, v79
	s_delay_alu instid0(VALU_DEP_1) | instskip(SKIP_3) | instid1(VALU_DEP_1)
	v_add_f32_e32 v72, v73, v82
	s_waitcnt_depctr 0xfff
	v_cndmask_b32_e64 v83, 0, v75, s8
	v_add_f32_e32 v72, v72, v81
	v_add_f32_e32 v72, v72, v84
	s_delay_alu instid0(VALU_DEP_1) | instskip(NEXT) | instid1(VALU_DEP_1)
	v_add_f32_e32 v72, v72, v83
	v_add_f32_e32 v72, v72, v86
	v_fma_f32 v73, s18, v97, -v71
	v_fma_f32 v75, s18, v99, -v71
	;; [unrolled: 1-line block ×4, first 2 shown]
	v_add_f32_e32 v72, v72, v85
	v_mul_f32_e32 v73, 0x3fb8aa3b, v73
	s_delay_alu instid0(VALU_DEP_4) | instskip(NEXT) | instid1(VALU_DEP_2)
	v_dual_mul_f32 v75, 0x3fb8aa3b, v75 :: v_dual_mul_f32 v76, 0x3fb8aa3b, v76
	v_exp_f32_e32 v73, v73
	s_delay_alu instid0(VALU_DEP_1) | instskip(NEXT) | instid1(VALU_DEP_1)
	v_exp_f32_e32 v75, v75
	v_exp_f32_e32 v76, v76
	s_delay_alu instid0(TRANS32_DEP_3)
	v_cndmask_b32_e64 v88, 0, v73, s11
	v_mul_f32_e32 v73, 0x3fb8aa3b, v89
	v_fma_f32 v89, s18, v102, -v71
	s_waitcnt_depctr 0xfff
	v_cndmask_b32_e64 v90, 0, v75, s13
	v_add_f32_e32 v72, v72, v88
	v_exp_f32_e32 v73, v73
	v_mul_f32_e32 v75, 0x3fb8aa3b, v89
	v_cndmask_b32_e64 v89, 0, v76, s15
	s_delay_alu instid0(VALU_DEP_3) | instskip(NEXT) | instid1(VALU_DEP_3)
	v_add_f32_e32 v72, v72, v87
	v_exp_f32_e32 v75, v75
	s_delay_alu instid0(VALU_DEP_1) | instskip(SKIP_4) | instid1(VALU_DEP_2)
	v_add_f32_e32 v72, v72, v90
	s_waitcnt_depctr 0xfff
	v_cndmask_b32_e64 v92, 0, v73, s16
	v_add_f32_e32 v72, v72, v89
	v_cndmask_b32_e64 v91, 0, v75, s17
	v_add_f32_e32 v72, v72, v92
	s_delay_alu instid0(VALU_DEP_1)
	v_add_f32_e32 v72, v72, v91
	ds_bpermute_b32 v73, v74, v72
	v_cmpx_gt_u32_e32 16, v70
	s_cbranch_execz .LBB1017_12
; %bb.11:
	v_mul_u32_u24_e32 v70, 0x44, v68
	s_waitcnt lgkmcnt(0)
	v_add_f32_e32 v72, v72, v73
	s_delay_alu instid0(VALU_DEP_2) | instskip(NEXT) | instid1(VALU_DEP_1)
	v_lshl_add_u32 v70, v69, 2, v70
	v_add_nc_u32_e32 v70, 0x4000, v70
	ds_store_2addr_b32 v70, v71, v72 offset1:136
.LBB1017_12:
	s_or_b32 exec_lo, exec_lo, s2
	v_lshlrev_b32_e32 v70, 2, v69
	s_load_b32 s34, s[0:1], 0x94
	s_waitcnt lgkmcnt(0)
	s_barrier
	buffer_gl0_inv
	v_add_nc_u32_e32 v74, 0x4000, v70
	v_cmp_eq_u32_e32 vcc_lo, 1, v68
	v_cmp_eq_u32_e64 s2, 2, v68
	v_cmp_eq_u32_e64 s3, 3, v68
	;; [unrolled: 1-line block ×3, first 2 shown]
	ds_load_2addr_b32 v[70:71], v74 offset1:17
	ds_load_2addr_b32 v[72:73], v74 offset0:34 offset1:51
	ds_load_2addr_b32 v[93:94], v74 offset0:68 offset1:85
	;; [unrolled: 1-line block ×3, first 2 shown]
	v_cmp_eq_u32_e64 s5, 5, v68
	v_cmp_eq_u32_e64 s6, 7, v68
	s_waitcnt lgkmcnt(3)
	v_max3_f32 v75, v70, 0xff7fffff, v71
	s_waitcnt lgkmcnt(2)
	s_delay_alu instid0(VALU_DEP_1) | instskip(SKIP_1) | instid1(VALU_DEP_1)
	v_max3_f32 v75, v75, v72, v73
	s_waitcnt lgkmcnt(1)
	v_max3_f32 v75, v75, v93, v94
	s_waitcnt lgkmcnt(0)
	s_delay_alu instid0(VALU_DEP_1) | instskip(NEXT) | instid1(VALU_DEP_1)
	v_max3_f32 v75, v75, v95, v96
	v_sub_f32_e32 v93, v93, v75
	ds_load_2addr_b32 v[97:98], v74 offset0:136 offset1:153
	v_sub_f32_e32 v70, v70, v75
	v_dual_sub_f32 v100, v73, v75 :: v_dual_mul_f32 v103, 0x3fb8aa3b, v93
	s_delay_alu instid0(VALU_DEP_2) | instskip(SKIP_3) | instid1(VALU_DEP_1)
	v_dual_sub_f32 v76, v71, v75 :: v_dual_mul_f32 v99, 0x3fb8aa3b, v70
	ds_load_2addr_b32 v[70:71], v74 offset0:170 offset1:187
	v_mul_f32_e32 v76, 0x3fb8aa3b, v76
	v_exp_f32_e32 v99, v99
	v_exp_f32_e32 v102, v76
	v_mul_f32_e32 v100, 0x3fb8aa3b, v100
	s_waitcnt lgkmcnt(1)
	s_waitcnt_depctr 0xfff
	v_fma_f32 v76, v99, v97, 0
	v_sub_f32_e32 v97, v94, v75
	v_sub_f32_e32 v72, v72, v75
	v_exp_f32_e32 v100, v100
	ds_load_2addr_b32 v[93:94], v74 offset0:238 offset1:255
	v_dual_fmac_f32 v76, v102, v98 :: v_dual_mul_f32 v101, 0x3fb8aa3b, v72
	ds_load_2addr_b32 v[72:73], v74 offset0:204 offset1:221
	v_dual_sub_f32 v74, v95, v75 :: v_dual_mul_f32 v95, 0x3fb8aa3b, v97
	v_exp_f32_e32 v97, v103
	v_exp_f32_e32 v101, v101
	s_waitcnt lgkmcnt(0)
	s_barrier
	v_exp_f32_e32 v95, v95
	buffer_gl0_inv
	v_fmac_f32_e32 v76, v101, v70
	v_sub_f32_e32 v70, v96, v75
	s_delay_alu instid0(VALU_DEP_2) | instskip(NEXT) | instid1(VALU_DEP_2)
	v_fmac_f32_e32 v76, v100, v71
	v_mul_f32_e32 v70, 0x3fb8aa3b, v70
	s_delay_alu instid0(VALU_DEP_2)
	v_dual_cndmask_b32 v71, v99, v102 :: v_dual_fmac_f32 v76, v97, v72
	v_lshlrev_b32_e32 v72, 6, v69
	v_lshlrev_b32_e32 v69, 2, v66
	v_mul_f32_e32 v74, 0x3fb8aa3b, v74
	v_exp_f32_e32 v98, v70
	v_fmac_f32_e32 v76, v95, v73
	s_delay_alu instid0(VALU_DEP_3) | instskip(NEXT) | instid1(VALU_DEP_3)
	v_cmp_eq_u32_e64 s7, 7, v69
	v_exp_f32_e32 v96, v74
	v_lshl_or_b32 v74, v68, 11, v72
	s_waitcnt_depctr 0xfff
	v_fmac_f32_e32 v76, v96, v93
	s_delay_alu instid0(VALU_DEP_1) | instskip(NEXT) | instid1(VALU_DEP_1)
	v_fmac_f32_e32 v76, v98, v94
	v_add_f32_e32 v73, 0x358637bd, v76
	s_delay_alu instid0(VALU_DEP_1) | instskip(SKIP_1) | instid1(VALU_DEP_2)
	v_div_scale_f32 v93, null, v73, v73, 1.0
	v_div_scale_f32 v99, vcc_lo, 1.0, v73, 1.0
	v_rcp_f32_e32 v94, v93
	s_waitcnt_depctr 0xfff
	v_fma_f32 v70, -v93, v94, 1.0
	s_delay_alu instid0(VALU_DEP_1)
	v_fmac_f32_e32 v94, v70, v94
	v_cndmask_b32_e64 v70, v71, v101, s2
	v_cmp_eq_u32_e64 s2, 6, v68
	v_or_b32_e32 v71, 1, v69
	v_or_b32_e32 v68, 2, v69
	v_mul_f32_e32 v101, v99, v94
	v_cndmask_b32_e64 v70, v70, v100, s3
	v_cmp_eq_u32_e64 s3, 1, v69
	v_cmp_eq_u32_e64 s8, 1, v71
	;; [unrolled: 1-line block ×3, first 2 shown]
	v_fma_f32 v100, -v93, v101, v99
	v_cndmask_b32_e64 v70, v70, v97, s4
	v_cmp_eq_u32_e64 s4, 2, v69
	v_cmp_eq_u32_e64 s11, 2, v71
	;; [unrolled: 1-line block ×3, first 2 shown]
	v_fmac_f32_e32 v101, v100, v94
	v_cndmask_b32_e64 v95, v70, v95, s5
	v_or_b32_e32 v70, 3, v69
	v_cmp_eq_u32_e64 s12, 3, v71
	v_cmp_eq_u32_e64 s16, 3, v68
	v_fma_f32 v93, -v93, v101, v99
	v_cndmask_b32_e64 v95, v95, v96, s2
	v_cmp_eq_u32_e64 s10, 1, v70
	v_cmp_eq_u32_e64 s15, 2, v70
	;; [unrolled: 1-line block ×3, first 2 shown]
	v_div_fmas_f32 v93, v93, v94, v101
	v_cndmask_b32_e64 v94, v95, v98, s6
	v_cmp_eq_u32_e32 vcc_lo, 3, v69
	v_cmp_eq_u32_e64 s2, 4, v69
	v_cmp_eq_u32_e64 s18, 4, v71
	v_div_fixup_f32 v93, v93, v73, 1.0
	v_lshl_or_b32 v73, v66, 4, v74
	v_cmp_eq_u32_e64 s21, 4, v70
	v_cmp_eq_u32_e64 s5, 5, v69
	;; [unrolled: 1-line block ×3, first 2 shown]
	v_mul_f32_e32 v101, v94, v93
	v_cmp_eq_u32_e64 s20, 4, v68
	v_cmp_eq_u32_e64 s23, 5, v70
	;; [unrolled: 1-line block ×4, first 2 shown]
	v_fma_mixlo_f16 v93, v101, v78, 0
	v_fma_mixlo_f16 v94, v101, v80, 0
	;; [unrolled: 1-line block ×8, first 2 shown]
	v_fma_mixhi_f16 v93, v101, v77, 0
	v_fma_mixhi_f16 v94, v101, v79, 0
	;; [unrolled: 1-line block ×8, first 2 shown]
	ds_store_b128 v73, v[93:96]
	ds_store_b128 v73, v[97:100] offset:1024
	s_waitcnt lgkmcnt(0)
	s_barrier
	buffer_gl0_inv
	ds_load_b128 v[77:80], v74
	ds_load_b128 v[81:84], v74 offset:16
	ds_load_b128 v[85:88], v74 offset:1024
	;; [unrolled: 1-line block ×3, first 2 shown]
	v_cmp_eq_u32_e64 s26, 6, v70
	v_cmp_eq_u32_e64 s6, 6, v69
	;; [unrolled: 1-line block ×6, first 2 shown]
	s_waitcnt lgkmcnt(3)
	v_lshrrev_b32_e32 v93, 16, v77
	s_waitcnt lgkmcnt(2)
	v_lshrrev_b32_e32 v97, 16, v81
	;; [unrolled: 2-line block ×4, first 2 shown]
	v_lshrrev_b32_e32 v94, 16, v78
	v_cndmask_b32_e64 v109, v77, v93, s3
	v_cndmask_b32_e64 v110, v81, v97, s3
	;; [unrolled: 1-line block ×8, first 2 shown]
	v_lshrrev_b32_e32 v98, 16, v82
	v_cndmask_b32_e64 v93, v85, v101, s3
	v_cndmask_b32_e64 v97, v89, v105, s3
	;; [unrolled: 1-line block ×15, first 2 shown]
	v_lshrrev_b32_e32 v102, 16, v86
	v_lshrrev_b32_e32 v106, 16, v90
	v_cndmask_b32_e64 v112, v114, v82, s13
	v_cndmask_b32_e64 v81, v93, v86, s4
	;; [unrolled: 1-line block ×7, first 2 shown]
	v_cndmask_b32_e32 v89, v101, v94, vcc_lo
	v_cndmask_b32_e32 v101, v105, v98, vcc_lo
	v_cndmask_b32_e64 v105, v109, v94, s12
	v_cndmask_b32_e64 v109, v110, v98, s12
	;; [unrolled: 1-line block ×4, first 2 shown]
	v_lshrrev_b32_e32 v95, 16, v79
	v_lshrrev_b32_e32 v99, 16, v83
	v_cndmask_b32_e64 v110, v111, v94, s16
	v_cndmask_b32_e64 v111, v112, v98, s16
	v_cndmask_b32_e32 v81, v81, v102, vcc_lo
	v_cndmask_b32_e32 v82, v82, v106, vcc_lo
	v_cndmask_b32_e64 v93, v93, v102, s12
	v_cndmask_b32_e64 v89, v89, v79, s2
	;; [unrolled: 1-line block ×7, first 2 shown]
	v_lshrrev_b32_e32 v103, 16, v87
	v_cndmask_b32_e64 v105, v110, v79, s20
	v_cndmask_b32_e64 v109, v111, v83, s20
	;; [unrolled: 1-line block ×11, first 2 shown]
	v_lshrrev_b32_e32 v96, 16, v80
	v_lshrrev_b32_e32 v100, 16, v84
	v_cndmask_b32_e64 v98, v105, v95, s22
	v_cndmask_b32_e64 v101, v109, v99, s22
	;; [unrolled: 1-line block ×7, first 2 shown]
	v_lshrrev_b32_e32 v104, 16, v88
	v_cndmask_b32_e64 v79, v79, v103, s5
	v_cndmask_b32_e64 v83, v83, v80, s6
	;; [unrolled: 1-line block ×16, first 2 shown]
	v_perm_b32 v80, v78, v77, 0x5040100
	v_perm_b32 v78, v94, v84, 0x5040100
	v_cndmask_b32_e64 v77, v118, v90, s13
	v_cndmask_b32_e64 v84, v116, v90, s11
	;; [unrolled: 1-line block ×3, first 2 shown]
	v_perm_b32 v79, v93, v89, 0x5040100
	v_cndmask_b32_e64 v89, v97, v102, s16
	v_cndmask_b32_e64 v85, v85, v102, s17
	;; [unrolled: 1-line block ×5, first 2 shown]
	v_lshrrev_b32_e32 v107, 16, v91
	v_cndmask_b32_e64 v89, v89, v87, s20
	v_cndmask_b32_e64 v85, v85, v87, s21
	;; [unrolled: 1-line block ×11, first 2 shown]
	v_lshrrev_b32_e32 v108, 16, v92
	v_cndmask_b32_e64 v81, v81, v92, s6
	v_cndmask_b32_e64 v87, v87, v88, s25
	;; [unrolled: 1-line block ×12, first 2 shown]
	v_perm_b32 v77, v83, v82, 0x5040100
	v_perm_b32 v84, v86, v85, 0x5040100
	v_perm_b32 v83, v88, v87, 0x5040100
	v_perm_b32 v82, v89, v96, 0x5040100
	v_perm_b32 v81, v81, v95, 0x5040100
	s_lshl_b32 s7, s33, 3
	s_mov_b32 s2, exec_lo
	ds_store_b128 v73, v[77:80]
	ds_store_b128 v73, v[81:84] offset:1024
	v_cmpx_gt_u32_e32 8, v0
	s_cbranch_execz .LBB1017_14
; %bb.13:
	v_or_b32_e32 v77, s31, v0
	s_load_b128 s[8:11], s[0:1], 0x58
	s_delay_alu instid0(VALU_DEP_1) | instskip(NEXT) | instid1(VALU_DEP_1)
	v_mad_u64_u32 v[78:79], null, s7, s30, v[77:78]
	v_mad_u64_u32 v[79:80], null, v78, s34, s[14:15]
	s_delay_alu instid0(VALU_DEP_1) | instskip(NEXT) | instid1(VALU_DEP_1)
	v_ashrrev_i32_e32 v80, 31, v79
	v_lshlrev_b64 v[77:78], 2, v[79:80]
	s_waitcnt lgkmcnt(0)
	s_delay_alu instid0(VALU_DEP_1) | instskip(NEXT) | instid1(VALU_DEP_2)
	v_add_co_u32 v79, vcc_lo, s10, v77
	v_add_co_ci_u32_e32 v80, vcc_lo, s11, v78, vcc_lo
	v_add_co_u32 v77, vcc_lo, s8, v77
	v_add_co_ci_u32_e32 v78, vcc_lo, s9, v78, vcc_lo
	global_store_b32 v[79:80], v75, off
	global_store_b32 v[77:78], v76, off
.LBB1017_14:
	s_or_b32 exec_lo, exec_lo, s2
	s_waitcnt lgkmcnt(0)
	s_waitcnt_vscnt null, 0x0
	s_barrier
	buffer_gl0_inv
	ds_load_b128 v[83:86], v72
	ds_load_b128 v[87:90], v72 offset:16
	ds_load_b128 v[95:98], v72 offset:2064
	;; [unrolled: 1-line block ×5, first 2 shown]
	v_cmp_eq_u32_e32 vcc_lo, 1, v69
	v_mov_b32_e32 v75, 0
	ds_load_b128 v[111:114], v72 offset:6160
	ds_load_b128 v[107:110], v72 offset:6144
	;; [unrolled: 1-line block ×4, first 2 shown]
	v_cmp_eq_u32_e64 s3, 1, v68
	v_cmp_eq_u32_e64 s2, 1, v71
	;; [unrolled: 1-line block ×3, first 2 shown]
	v_mov_b32_e32 v76, v75
	v_mov_b32_e32 v77, v75
	v_mov_b32_e32 v78, v75
	v_mov_b32_e32 v79, v75
	v_mov_b32_e32 v80, v75
	v_mov_b32_e32 v81, v75
	v_mov_b32_e32 v82, v75
	v_cmp_eq_u32_e64 s5, 3, v71
	v_cmp_eq_u32_e64 s6, 7, v71
	s_waitcnt lgkmcnt(8)
	s_delay_alu instid0(VALU_DEP_3)
	v_wmma_f32_16x16x16_f16 v[75:82], v[49:56], v[83:90], v[75:82]
	ds_load_b128 v[53:56], v72 offset:10256
	ds_load_b128 v[49:52], v72 offset:10240
	s_waitcnt lgkmcnt(8)
	v_wmma_f32_16x16x16_f16 v[75:82], v[41:48], v[91:98], v[75:82]
	ds_load_b128 v[45:48], v72 offset:12304
	ds_load_b128 v[41:44], v72 offset:12288
	s_waitcnt lgkmcnt(8)
	;; [unrolled: 4-line block ×3, first 2 shown]
	s_barrier
	buffer_gl0_inv
	v_wmma_f32_16x16x16_f16 v[75:82], v[1:8], v[107:114], v[75:82]
	s_delay_alu instid0(VALU_DEP_1) | instskip(NEXT) | instid1(VALU_DEP_1)
	v_wmma_f32_16x16x16_f16 v[75:82], v[9:16], v[115:122], v[75:82]
	v_wmma_f32_16x16x16_f16 v[75:82], v[17:24], v[49:56], v[75:82]
	s_delay_alu instid0(VALU_DEP_1) | instskip(NEXT) | instid1(VALU_DEP_1)
	v_wmma_f32_16x16x16_f16 v[75:82], v[25:32], v[41:48], v[75:82]
	v_wmma_f32_16x16x16_f16 v[75:82], v[57:64], v[33:40], v[75:82]
	s_delay_alu instid0(VALU_DEP_1) | instskip(NEXT) | instid1(VALU_DEP_2)
	v_cvt_f16_f32_e32 v1, v75
	v_cvt_f16_f32_e32 v2, v76
	s_delay_alu instid0(VALU_DEP_3) | instskip(NEXT) | instid1(VALU_DEP_4)
	v_cvt_f16_f32_e32 v3, v77
	v_cvt_f16_f32_e32 v4, v78
	;; [unrolled: 1-line block ×6, first 2 shown]
	v_pack_b32_f16 v1, v1, v2
	v_pack_b32_f16 v2, v3, v4
	;; [unrolled: 1-line block ×3, first 2 shown]
	s_delay_alu instid0(VALU_DEP_4)
	v_pack_b32_f16 v4, v7, v8
	ds_store_b128 v73, v[1:4]
	s_waitcnt lgkmcnt(0)
	s_barrier
	buffer_gl0_inv
	ds_load_b128 v[1:4], v74
	ds_load_b128 v[5:8], v74 offset:16
	s_waitcnt lgkmcnt(1)
	v_lshrrev_b32_e32 v9, 16, v1
	s_waitcnt lgkmcnt(0)
	v_lshrrev_b32_e32 v13, 16, v5
	v_lshrrev_b32_e32 v10, 16, v2
	v_lshrrev_b32_e32 v14, 16, v6
	v_lshrrev_b32_e32 v11, 16, v3
	v_cndmask_b32_e32 v17, v1, v9, vcc_lo
	v_cndmask_b32_e32 v18, v5, v13, vcc_lo
	v_cndmask_b32_e64 v21, v1, v9, s3
	v_cmp_eq_u32_e32 vcc_lo, 1, v70
	v_cndmask_b32_e64 v22, v5, v13, s3
	v_cmp_eq_u32_e64 s3, 2, v69
	v_cndmask_b32_e64 v19, v1, v9, s2
	v_cndmask_b32_e64 v20, v5, v13, s2
	v_cndmask_b32_e32 v1, v1, v9, vcc_lo
	v_cmp_eq_u32_e64 s2, 2, v70
	v_cndmask_b32_e32 v5, v5, v13, vcc_lo
	v_cndmask_b32_e64 v9, v17, v2, s3
	v_cmp_eq_u32_e32 vcc_lo, 3, v69
	v_cndmask_b32_e64 v13, v18, v6, s3
	v_cmp_eq_u32_e64 s3, 2, v68
	v_cndmask_b32_e64 v17, v19, v2, s4
	v_cndmask_b32_e64 v18, v20, v6, s4
	v_cmp_eq_u32_e64 s4, 3, v68
	v_cndmask_b32_e64 v1, v1, v2, s2
	v_cndmask_b32_e64 v19, v21, v2, s3
	;; [unrolled: 1-line block ×4, first 2 shown]
	v_cndmask_b32_e32 v5, v9, v10, vcc_lo
	v_cndmask_b32_e32 v6, v13, v14, vcc_lo
	v_cmp_eq_u32_e32 vcc_lo, 3, v70
	v_cndmask_b32_e64 v9, v17, v10, s5
	v_cndmask_b32_e64 v13, v18, v14, s5
	;; [unrolled: 1-line block ×3, first 2 shown]
	v_cmp_eq_u32_e64 s3, 4, v69
	v_cndmask_b32_e32 v1, v1, v10, vcc_lo
	v_cndmask_b32_e32 v2, v2, v14, vcc_lo
	v_cmp_eq_u32_e32 vcc_lo, 4, v71
	v_lshrrev_b32_e32 v15, 16, v7
	v_lshrrev_b32_e32 v16, 16, v8
	v_cndmask_b32_e64 v17, v19, v10, s4
	v_cmp_eq_u32_e64 s2, 4, v70
	v_cndmask_b32_e64 v5, v5, v3, s3
	v_cndmask_b32_e64 v6, v6, v7, s3
	v_cndmask_b32_e32 v9, v9, v3, vcc_lo
	v_cmp_eq_u32_e64 s3, 5, v71
	v_cndmask_b32_e32 v10, v13, v7, vcc_lo
	v_cmp_eq_u32_e32 vcc_lo, 4, v68
	v_cmp_eq_u32_e64 s4, 5, v69
	v_cndmask_b32_e64 v2, v2, v7, s2
	v_cndmask_b32_e64 v9, v9, v11, s3
	;; [unrolled: 1-line block ×3, first 2 shown]
	v_cndmask_b32_e32 v13, v17, v3, vcc_lo
	v_cmp_eq_u32_e64 s3, 5, v68
	v_cndmask_b32_e32 v14, v18, v7, vcc_lo
	v_cndmask_b32_e64 v1, v1, v3, s2
	v_cmp_eq_u32_e32 vcc_lo, 5, v70
	v_lshrrev_b32_e32 v12, 16, v4
	v_cndmask_b32_e64 v13, v13, v11, s3
	v_cndmask_b32_e64 v3, v14, v15, s3
	v_cmp_eq_u32_e64 s3, 6, v70
	v_cndmask_b32_e32 v1, v1, v11, vcc_lo
	v_cndmask_b32_e64 v5, v5, v11, s4
	v_cmp_eq_u32_e64 s5, 6, v69
	v_cndmask_b32_e64 v6, v6, v15, s4
	v_cmp_eq_u32_e64 s4, 6, v71
	v_cmp_eq_u32_e64 s2, 6, v68
	v_cndmask_b32_e64 v1, v1, v4, s3
	v_cndmask_b32_e32 v2, v2, v15, vcc_lo
	v_cmp_eq_u32_e32 vcc_lo, 7, v70
	v_cndmask_b32_e64 v5, v5, v4, s5
	v_cndmask_b32_e64 v9, v9, v4, s4
	;; [unrolled: 1-line block ×3, first 2 shown]
	v_cmp_eq_u32_e64 s5, 7, v69
	v_cndmask_b32_e32 v1, v1, v12, vcc_lo
	v_cndmask_b32_e64 v7, v13, v4, s2
	v_cndmask_b32_e64 v3, v3, v8, s2
	v_cndmask_b32_e64 v2, v2, v8, s3
	v_cmp_eq_u32_e64 s2, 7, v68
	v_cndmask_b32_e64 v4, v10, v8, s4
	v_cndmask_b32_e64 v5, v5, v12, s5
	v_cndmask_b32_e64 v9, v9, v12, s6
	v_cndmask_b32_e32 v2, v2, v16, vcc_lo
	v_cndmask_b32_e64 v7, v7, v12, s2
	v_cndmask_b32_e64 v3, v3, v16, s2
	;; [unrolled: 1-line block ×4, first 2 shown]
	v_perm_b32 v4, v2, v1, 0x5040100
	s_mov_b32 s2, exec_lo
	v_perm_b32 v3, v3, v7, 0x5040100
	v_perm_b32 v2, v8, v9, 0x5040100
	;; [unrolled: 1-line block ×3, first 2 shown]
	ds_store_b128 v73, v[1:4]
	s_waitcnt lgkmcnt(0)
	s_barrier
	buffer_gl0_inv
	v_cmpx_gt_u32_e32 32, v0
	s_cbranch_execz .LBB1017_2
; %bb.15:
	s_load_b64 s[0:1], s[0:1], 0x68
	s_lshl_b32 s4, s34, 7
	v_or_b32_e32 v2, s31, v66
	s_mul_i32 s2, s4, s30
	v_lshlrev_b32_e32 v1, 10, v0
	s_mul_i32 s2, s2, s7
	v_lshlrev_b32_e32 v3, 4, v67
	v_mul_lo_u32 v0, v2, s4
	s_ashr_i32 s3, s2, 31
	v_lshlrev_b32_e32 v4, 6, v66
	v_and_b32_e32 v1, 0x3800, v1
	v_or_b32_e32 v5, 2, v2
	s_lshl_b64 s[2:3], s[2:3], 1
	v_or_b32_e32 v6, 4, v2
	v_or_b32_e32 v7, 6, v2
	v_or3_b32 v12, v1, v3, v4
	v_ashrrev_i32_e32 v1, 31, v0
	v_mul_lo_u32 v2, v5, s4
	v_mul_lo_u32 v16, v6, s4
	;; [unrolled: 1-line block ×3, first 2 shown]
	s_waitcnt lgkmcnt(0)
	s_add_u32 s2, s0, s2
	s_addc_u32 s3, s1, s3
	s_lshl_b32 s0, s14, 7
	v_lshlrev_b64 v[0:1], 1, v[0:1]
	s_ashr_i32 s1, s0, 31
	v_ashrrev_i32_e32 v3, 31, v2
	s_lshl_b64 s[0:1], s[0:1], 1
	v_ashrrev_i32_e32 v17, 31, v16
	s_add_u32 s0, s2, s0
	s_addc_u32 s1, s3, s1
	v_add_co_u32 v24, s0, s0, v65
	s_delay_alu instid0(VALU_DEP_1) | instskip(SKIP_1) | instid1(VALU_DEP_3)
	v_add_co_ci_u32_e64 v25, null, s1, 0, s0
	v_lshlrev_b64 v[22:23], 1, v[2:3]
	v_add_co_u32 v18, vcc_lo, v24, v0
	s_delay_alu instid0(VALU_DEP_3)
	v_add_co_ci_u32_e32 v19, vcc_lo, v25, v1, vcc_lo
	ds_load_b128 v[0:3], v12
	ds_load_b128 v[4:7], v12 offset:128
	ds_load_b128 v[8:11], v12 offset:256
	;; [unrolled: 1-line block ×3, first 2 shown]
	v_ashrrev_i32_e32 v21, 31, v20
	v_lshlrev_b64 v[16:17], 1, v[16:17]
	v_add_co_u32 v22, vcc_lo, v24, v22
	v_add_co_ci_u32_e32 v23, vcc_lo, v25, v23, vcc_lo
	s_delay_alu instid0(VALU_DEP_4) | instskip(NEXT) | instid1(VALU_DEP_4)
	v_lshlrev_b64 v[20:21], 1, v[20:21]
	v_add_co_u32 v16, vcc_lo, v24, v16
	v_add_co_ci_u32_e32 v17, vcc_lo, v25, v17, vcc_lo
	s_delay_alu instid0(VALU_DEP_3) | instskip(NEXT) | instid1(VALU_DEP_4)
	v_add_co_u32 v20, vcc_lo, v24, v20
	v_add_co_ci_u32_e32 v21, vcc_lo, v25, v21, vcc_lo
	s_waitcnt lgkmcnt(3)
	global_store_b128 v[18:19], v[0:3], off
	s_waitcnt lgkmcnt(2)
	global_store_b128 v[22:23], v[4:7], off
	s_waitcnt lgkmcnt(1)
	global_store_b128 v[16:17], v[8:11], off
	s_waitcnt lgkmcnt(0)
	global_store_b128 v[20:21], v[12:15], off
	s_nop 0
	s_sendmsg sendmsg(MSG_DEALLOC_VGPRS)
	s_endpgm
	.section	.rodata,"a",@progbits
	.p2align	6, 0x0
	.amdhsa_kernel _Z39paged_attention_ll4mi_QKV_mfma16_kernelIDF16_hLN4vllm18Fp8KVCacheDataTypeE1EhLi32ELi128ELi256ELb1ELi8EL8MFMAType1EEvPKT_PKT0_S8_ifPKiSA_SA_iPKfiiiPfSD_PS3_PT2_iSC_SC_
		.amdhsa_group_segment_fixed_size 17472
		.amdhsa_private_segment_fixed_size 0
		.amdhsa_kernarg_size 400
		.amdhsa_user_sgpr_count 13
		.amdhsa_user_sgpr_dispatch_ptr 0
		.amdhsa_user_sgpr_queue_ptr 0
		.amdhsa_user_sgpr_kernarg_segment_ptr 1
		.amdhsa_user_sgpr_dispatch_id 0
		.amdhsa_user_sgpr_private_segment_size 0
		.amdhsa_wavefront_size32 1
		.amdhsa_uses_dynamic_stack 0
		.amdhsa_enable_private_segment 0
		.amdhsa_system_sgpr_workgroup_id_x 1
		.amdhsa_system_sgpr_workgroup_id_y 1
		.amdhsa_system_sgpr_workgroup_id_z 1
		.amdhsa_system_sgpr_workgroup_info 0
		.amdhsa_system_vgpr_workitem_id 0
		.amdhsa_next_free_vgpr 140
		.amdhsa_next_free_sgpr 36
		.amdhsa_reserve_vcc 1
		.amdhsa_float_round_mode_32 0
		.amdhsa_float_round_mode_16_64 0
		.amdhsa_float_denorm_mode_32 3
		.amdhsa_float_denorm_mode_16_64 3
		.amdhsa_dx10_clamp 1
		.amdhsa_ieee_mode 1
		.amdhsa_fp16_overflow 0
		.amdhsa_workgroup_processor_mode 1
		.amdhsa_memory_ordered 1
		.amdhsa_forward_progress 0
		.amdhsa_shared_vgpr_count 0
		.amdhsa_exception_fp_ieee_invalid_op 0
		.amdhsa_exception_fp_denorm_src 0
		.amdhsa_exception_fp_ieee_div_zero 0
		.amdhsa_exception_fp_ieee_overflow 0
		.amdhsa_exception_fp_ieee_underflow 0
		.amdhsa_exception_fp_ieee_inexact 0
		.amdhsa_exception_int_div_zero 0
	.end_amdhsa_kernel
	.section	.text._Z39paged_attention_ll4mi_QKV_mfma16_kernelIDF16_hLN4vllm18Fp8KVCacheDataTypeE1EhLi32ELi128ELi256ELb1ELi8EL8MFMAType1EEvPKT_PKT0_S8_ifPKiSA_SA_iPKfiiiPfSD_PS3_PT2_iSC_SC_,"axG",@progbits,_Z39paged_attention_ll4mi_QKV_mfma16_kernelIDF16_hLN4vllm18Fp8KVCacheDataTypeE1EhLi32ELi128ELi256ELb1ELi8EL8MFMAType1EEvPKT_PKT0_S8_ifPKiSA_SA_iPKfiiiPfSD_PS3_PT2_iSC_SC_,comdat
.Lfunc_end1017:
	.size	_Z39paged_attention_ll4mi_QKV_mfma16_kernelIDF16_hLN4vllm18Fp8KVCacheDataTypeE1EhLi32ELi128ELi256ELb1ELi8EL8MFMAType1EEvPKT_PKT0_S8_ifPKiSA_SA_iPKfiiiPfSD_PS3_PT2_iSC_SC_, .Lfunc_end1017-_Z39paged_attention_ll4mi_QKV_mfma16_kernelIDF16_hLN4vllm18Fp8KVCacheDataTypeE1EhLi32ELi128ELi256ELb1ELi8EL8MFMAType1EEvPKT_PKT0_S8_ifPKiSA_SA_iPKfiiiPfSD_PS3_PT2_iSC_SC_
                                        ; -- End function
	.section	.AMDGPU.csdata,"",@progbits
; Kernel info:
; codeLenInByte = 6624
; NumSgprs: 38
; NumVgprs: 140
; ScratchSize: 0
; MemoryBound: 0
; FloatMode: 240
; IeeeMode: 1
; LDSByteSize: 17472 bytes/workgroup (compile time only)
; SGPRBlocks: 4
; VGPRBlocks: 17
; NumSGPRsForWavesPerEU: 38
; NumVGPRsForWavesPerEU: 140
; Occupancy: 10
; WaveLimiterHint : 1
; COMPUTE_PGM_RSRC2:SCRATCH_EN: 0
; COMPUTE_PGM_RSRC2:USER_SGPR: 13
; COMPUTE_PGM_RSRC2:TRAP_HANDLER: 0
; COMPUTE_PGM_RSRC2:TGID_X_EN: 1
; COMPUTE_PGM_RSRC2:TGID_Y_EN: 1
; COMPUTE_PGM_RSRC2:TGID_Z_EN: 1
; COMPUTE_PGM_RSRC2:TIDIG_COMP_CNT: 0
	.section	.text._Z39paged_attention_ll4mi_QKV_mfma16_kernelIDF16_hLN4vllm18Fp8KVCacheDataTypeE1EhLi32ELi128ELi256ELb1ELi9EL8MFMAType1EEvPKT_PKT0_S8_ifPKiSA_SA_iPKfiiiPfSD_PS3_PT2_iSC_SC_,"axG",@progbits,_Z39paged_attention_ll4mi_QKV_mfma16_kernelIDF16_hLN4vllm18Fp8KVCacheDataTypeE1EhLi32ELi128ELi256ELb1ELi9EL8MFMAType1EEvPKT_PKT0_S8_ifPKiSA_SA_iPKfiiiPfSD_PS3_PT2_iSC_SC_,comdat
	.protected	_Z39paged_attention_ll4mi_QKV_mfma16_kernelIDF16_hLN4vllm18Fp8KVCacheDataTypeE1EhLi32ELi128ELi256ELb1ELi9EL8MFMAType1EEvPKT_PKT0_S8_ifPKiSA_SA_iPKfiiiPfSD_PS3_PT2_iSC_SC_ ; -- Begin function _Z39paged_attention_ll4mi_QKV_mfma16_kernelIDF16_hLN4vllm18Fp8KVCacheDataTypeE1EhLi32ELi128ELi256ELb1ELi9EL8MFMAType1EEvPKT_PKT0_S8_ifPKiSA_SA_iPKfiiiPfSD_PS3_PT2_iSC_SC_
	.globl	_Z39paged_attention_ll4mi_QKV_mfma16_kernelIDF16_hLN4vllm18Fp8KVCacheDataTypeE1EhLi32ELi128ELi256ELb1ELi9EL8MFMAType1EEvPKT_PKT0_S8_ifPKiSA_SA_iPKfiiiPfSD_PS3_PT2_iSC_SC_
	.p2align	8
	.type	_Z39paged_attention_ll4mi_QKV_mfma16_kernelIDF16_hLN4vllm18Fp8KVCacheDataTypeE1EhLi32ELi128ELi256ELb1ELi9EL8MFMAType1EEvPKT_PKT0_S8_ifPKiSA_SA_iPKfiiiPfSD_PS3_PT2_iSC_SC_,@function
_Z39paged_attention_ll4mi_QKV_mfma16_kernelIDF16_hLN4vllm18Fp8KVCacheDataTypeE1EhLi32ELi128ELi256ELb1ELi9EL8MFMAType1EEvPKT_PKT0_S8_ifPKiSA_SA_iPKfiiiPfSD_PS3_PT2_iSC_SC_: ; @_Z39paged_attention_ll4mi_QKV_mfma16_kernelIDF16_hLN4vllm18Fp8KVCacheDataTypeE1EhLi32ELi128ELi256ELb1ELi9EL8MFMAType1EEvPKT_PKT0_S8_ifPKiSA_SA_iPKfiiiPfSD_PS3_PT2_iSC_SC_
; %bb.0:
	s_load_b64 s[4:5], s[0:1], 0x30
	s_mov_b32 s34, s13
	s_waitcnt lgkmcnt(0)
	s_cmp_lg_u64 s[4:5], 0
	s_cselect_b32 s8, -1, 0
	s_ashr_i32 s35, s13, 31
	s_cmp_eq_u64 s[4:5], 0
	s_cbranch_scc1 .LBB1018_3
; %bb.1:
	s_lshl_b64 s[2:3], s[34:35], 2
	s_delay_alu instid0(SALU_CYCLE_1) | instskip(SKIP_4) | instid1(SALU_CYCLE_1)
	s_add_u32 s2, s4, s2
	s_addc_u32 s3, s5, s3
	s_load_b64 s[2:3], s[2:3], 0x0
	s_waitcnt lgkmcnt(0)
	s_sub_i32 s2, s3, s2
	s_cmp_eq_u32 s2, 1
	s_cselect_b32 s2, -1, 0
	s_delay_alu instid0(SALU_CYCLE_1)
	s_and_not1_b32 vcc_lo, exec_lo, s2
	s_cbranch_vccz .LBB1018_4
.LBB1018_2:
	s_nop 0
	s_sendmsg sendmsg(MSG_DEALLOC_VGPRS)
	s_endpgm
.LBB1018_3:
.LBB1018_4:
	s_load_b64 s[2:3], s[0:1], 0x28
	s_lshl_b64 s[6:7], s[34:35], 2
	s_waitcnt lgkmcnt(0)
	s_add_u32 s2, s2, s6
	s_addc_u32 s3, s3, s7
	s_lshl_b32 s12, s14, 8
	s_load_b32 s24, s[2:3], 0x0
	s_waitcnt lgkmcnt(0)
	s_cmp_ge_i32 s12, s24
	s_cbranch_scc1 .LBB1018_2
; %bb.5:
	s_clause 0x1
	s_load_b128 s[20:23], s[0:1], 0x8
	s_load_b64 s[2:3], s[0:1], 0x20
	s_and_not1_b32 vcc_lo, exec_lo, s8
	s_cbranch_vccnz .LBB1018_7
; %bb.6:
	s_add_u32 s4, s4, s6
	s_addc_u32 s5, s5, s7
	s_load_b32 s5, s[4:5], 0x0
	s_branch .LBB1018_8
.LBB1018_7:
	s_mov_b32 s5, s34
.LBB1018_8:
	s_load_b128 s[16:19], s[0:1], 0x48
	v_and_b32_e32 v68, 15, v0
	v_lshrrev_b32_e32 v69, 5, v0
	v_bfe_u32 v66, v0, 4, 1
	v_and_b32_e32 v70, 31, v0
	v_and_b32_e32 v67, 1, v0
	v_lshlrev_b32_e32 v2, 3, v68
	s_mul_i32 s31, s15, 9
	v_lshl_or_b32 v1, v69, 1, v66
	s_mov_b32 s4, exec_lo
	s_delay_alu instid0(VALU_DEP_2) | instskip(NEXT) | instid1(VALU_DEP_2)
	v_lshlrev_b32_e32 v65, 1, v2
	v_cmpx_gt_u32_e32 9, v1
	s_cbranch_execz .LBB1018_10
; %bb.9:
	s_load_b64 s[6:7], s[0:1], 0x0
	v_add_lshl_u32 v2, v1, s31, 7
	s_waitcnt lgkmcnt(0)
	s_mul_hi_i32 s9, s5, s16
	s_mul_i32 s8, s5, s16
	v_lshlrev_b32_e32 v6, 10, v68
	s_lshl_b64 s[8:9], s[8:9], 1
	v_ashrrev_i32_e32 v3, 31, v2
	v_lshlrev_b32_e32 v1, 6, v1
	v_lshlrev_b32_e32 v7, 10, v67
	v_and_b32_e32 v6, 0x3800, v6
	s_delay_alu instid0(VALU_DEP_4) | instskip(NEXT) | instid1(VALU_DEP_2)
	v_lshlrev_b64 v[2:3], 1, v[2:3]
	v_or3_b32 v1, v6, v7, v1
	s_add_u32 s5, s6, s8
	s_addc_u32 s6, s7, s9
	s_delay_alu instid0(VALU_DEP_2) | instskip(NEXT) | instid1(VALU_DEP_3)
	v_add_co_u32 v2, vcc_lo, s5, v2
	v_add_co_ci_u32_e32 v3, vcc_lo, s6, v3, vcc_lo
	s_delay_alu instid0(VALU_DEP_2) | instskip(NEXT) | instid1(VALU_DEP_2)
	v_add_co_u32 v2, vcc_lo, v2, v65
	v_add_co_ci_u32_e32 v3, vcc_lo, 0, v3, vcc_lo
	global_load_b128 v[2:5], v[2:3], off
	s_waitcnt vmcnt(0)
	ds_store_b128 v1, v[2:5]
.LBB1018_10:
	s_or_b32 exec_lo, exec_lo, s4
	v_and_b32_e32 v1, 0xef, v0
	s_waitcnt lgkmcnt(0)
	s_add_i32 s5, s24, 31
	s_clause 0x1
	s_load_b32 s4, s[0:1], 0x38
	s_load_b32 s33, s[0:1], 0x98
	s_ashr_i32 s6, s5, 31
	v_add_nc_u32_e32 v1, s12, v1
	s_lshr_b32 s6, s6, 27
	s_load_b32 s19, s[0:1], 0x1c
	s_add_i32 s5, s5, s6
	s_waitcnt lgkmcnt(0)
	v_ashrrev_i32_e32 v2, 31, v1
	v_or_b32_e32 v3, 16, v1
	s_ashr_i32 s13, s5, 5
	v_cmp_gt_i32_e32 vcc_lo, s24, v1
	s_add_i32 s13, s13, -1
	v_lshrrev_b32_e32 v2, 27, v2
	s_barrier
	buffer_gl0_inv
	s_mul_i32 s15, s15, s18
	v_add_nc_u32_e32 v4, v1, v2
	s_mul_i32 s4, s34, s4
	s_delay_alu instid0(SALU_CYCLE_1) | instskip(NEXT) | instid1(VALU_DEP_1)
	s_ashr_i32 s5, s4, 31
	v_ashrrev_i32_e32 v4, 5, v4
	v_add_nc_u32_e32 v2, v3, v2
	s_lshl_b64 s[4:5], s[4:5], 2
	s_delay_alu instid0(SALU_CYCLE_1) | instskip(NEXT) | instid1(VALU_DEP_2)
	s_add_u32 s16, s2, s4
	v_cndmask_b32_e32 v1, s13, v4, vcc_lo
	s_delay_alu instid0(VALU_DEP_2)
	v_ashrrev_i32_e32 v2, 5, v2
	v_cmp_gt_i32_e32 vcc_lo, s24, v3
	s_addc_u32 s25, s3, s5
	s_ashr_i32 s18, s15, 31
	s_add_u32 s2, s20, s15
	s_addc_u32 s3, s21, s18
	v_cndmask_b32_e32 v3, s13, v2, vcc_lo
	v_ashrrev_i32_e32 v2, 31, v1
	s_lshl_b32 s4, s14, 3
	s_delay_alu instid0(SALU_CYCLE_1) | instskip(NEXT) | instid1(VALU_DEP_2)
	s_ashr_i32 s5, s4, 31
	v_ashrrev_i32_e32 v4, 31, v3
	s_delay_alu instid0(VALU_DEP_2) | instskip(SKIP_1) | instid1(SALU_CYCLE_1)
	v_lshlrev_b64 v[1:2], 2, v[1:2]
	s_lshl_b64 s[4:5], s[4:5], 2
	s_add_u32 s4, s16, s4
	s_delay_alu instid0(VALU_DEP_2) | instskip(SKIP_1) | instid1(VALU_DEP_2)
	v_lshlrev_b64 v[3:4], 2, v[3:4]
	s_addc_u32 s5, s25, s5
	v_add_co_u32 v1, vcc_lo, s16, v1
	v_add_co_ci_u32_e32 v2, vcc_lo, s25, v2, vcc_lo
	s_delay_alu instid0(VALU_DEP_3) | instskip(NEXT) | instid1(VALU_DEP_4)
	v_add_co_u32 v3, vcc_lo, s16, v3
	v_add_co_ci_u32_e32 v4, vcc_lo, s25, v4, vcc_lo
	s_clause 0x1
	global_load_b32 v5, v[1:2], off
	global_load_b32 v6, v[3:4], off
	s_or_b32 s6, s12, 32
	s_delay_alu instid0(SALU_CYCLE_1) | instskip(SKIP_2) | instid1(SALU_CYCLE_1)
	s_ashr_i32 s7, s6, 5
	s_cmp_lt_i32 s6, s24
	s_cselect_b32 s6, s7, s13
	s_ashr_i32 s7, s6, 31
	s_delay_alu instid0(SALU_CYCLE_1) | instskip(NEXT) | instid1(SALU_CYCLE_1)
	s_lshl_b64 s[6:7], s[6:7], 2
	s_add_u32 s6, s16, s6
	s_addc_u32 s7, s25, s7
	s_or_b32 s8, s12, 64
	s_delay_alu instid0(SALU_CYCLE_1) | instskip(SKIP_2) | instid1(SALU_CYCLE_1)
	s_ashr_i32 s9, s8, 5
	s_cmp_lt_i32 s8, s24
	s_cselect_b32 s8, s9, s13
	s_ashr_i32 s9, s8, 31
	s_delay_alu instid0(SALU_CYCLE_1) | instskip(NEXT) | instid1(SALU_CYCLE_1)
	s_lshl_b64 s[8:9], s[8:9], 2
	s_add_u32 s8, s16, s8
	s_addc_u32 s9, s25, s9
	;; [unrolled: 10-line block ×5, first 2 shown]
	s_clause 0x5
	s_load_b32 s28, s[4:5], 0x0
	s_load_b32 s29, s[6:7], 0x0
	s_load_b32 s30, s[8:9], 0x0
	s_load_b32 s35, s[10:11], 0x0
	s_load_b32 s36, s[20:21], 0x0
	s_load_b32 s26, s[26:27], 0x0
	s_mov_b32 s4, 0
	s_delay_alu instid0(SALU_CYCLE_1)
	s_mov_b32 s5, s4
	s_mov_b32 s6, s4
	;; [unrolled: 1-line block ×7, first 2 shown]
	s_delay_alu instid0(SALU_CYCLE_1)
	v_dual_mov_b32 v118, s11 :: v_dual_mov_b32 v117, s10
	v_dual_mov_b32 v116, s9 :: v_dual_mov_b32 v115, s8
	v_mov_b32_e32 v113, s6
	v_dual_mov_b32 v111, s4 :: v_dual_mov_b32 v114, s7
	v_mov_b32_e32 v112, s5
	s_waitcnt vmcnt(1)
	v_mad_i64_i32 v[1:2], null, v5, s17, s[2:3]
	v_lshlrev_b32_e32 v5, 4, v68
	s_waitcnt vmcnt(0)
	v_mad_i64_i32 v[3:4], null, v6, s17, s[2:3]
	s_or_b32 s2, s12, 0xc0
	s_delay_alu instid0(SALU_CYCLE_1) | instskip(NEXT) | instid1(VALU_DEP_3)
	s_ashr_i32 s3, s2, 5
	v_add_co_u32 v1, vcc_lo, v1, v5
	s_delay_alu instid0(VALU_DEP_4) | instskip(NEXT) | instid1(VALU_DEP_3)
	v_add_co_ci_u32_e32 v2, vcc_lo, 0, v2, vcc_lo
	v_add_co_u32 v3, vcc_lo, v3, v5
	s_delay_alu instid0(VALU_DEP_4)
	v_add_co_ci_u32_e32 v4, vcc_lo, 0, v4, vcc_lo
	s_clause 0xf
	global_load_b128 v[17:20], v[1:2], off
	global_load_b128 v[21:24], v[1:2], off offset:512
	global_load_b128 v[25:28], v[3:4], off offset:256
	;; [unrolled: 1-line block ×15, first 2 shown]
	s_cmp_lt_i32 s2, s24
	v_add_nc_u32_e32 v1, -9, v68
	s_cselect_b32 s2, s3, s13
	v_cmp_gt_u32_e32 vcc_lo, 9, v68
	s_ashr_i32 s3, s2, 31
	v_lshlrev_b32_e32 v2, 5, v68
	s_lshl_b64 s[2:3], s[2:3], 2
	s_delay_alu instid0(SALU_CYCLE_1)
	s_add_u32 s2, s16, s2
	s_addc_u32 s3, s25, s3
	s_or_b32 s20, s12, 0xe0
	v_cndmask_b32_e32 v1, v1, v68, vcc_lo
	s_ashr_i32 s21, s20, 5
	s_cmp_lt_i32 s20, s24
	s_cselect_b32 s20, s21, s13
	s_delay_alu instid0(VALU_DEP_1)
	v_lshlrev_b32_e32 v149, 6, v1
	s_ashr_i32 s21, s20, 31
	v_lshl_or_b32 v1, v69, 9, v2
	s_lshl_b64 s[4:5], s[20:21], 2
	ds_load_b128 v[119:122], v149
	ds_load_b128 v[123:126], v149 offset:1024
	s_add_u32 s4, s16, s4
	s_addc_u32 s5, s25, s5
	ds_load_b128 v[127:130], v149 offset:2048
	ds_load_b128 v[131:134], v149 offset:3072
	s_clause 0x1
	s_load_b32 s2, s[2:3], 0x0
	s_load_b32 s3, s[4:5], 0x0
	s_add_u32 s6, s22, s15
	s_addc_u32 s7, s23, s18
	v_add_co_u32 v135, s6, s6, v1
	s_delay_alu instid0(VALU_DEP_1) | instskip(SKIP_1) | instid1(VALU_DEP_1)
	v_add_co_ci_u32_e64 v136, null, s7, 0, s6
	s_waitcnt lgkmcnt(0)
	v_mad_i64_i32 v[1:2], null, s28, s17, v[135:136]
	v_mad_i64_i32 v[3:4], null, s29, s17, v[135:136]
	;; [unrolled: 1-line block ×6, first 2 shown]
	s_clause 0x9
	global_load_b128 v[49:52], v[1:2], off
	global_load_b128 v[53:56], v[1:2], off offset:16
	global_load_b128 v[41:44], v[3:4], off
	global_load_b128 v[45:48], v[3:4], off offset:16
	;; [unrolled: 2-line block ×5, first 2 shown]
	v_mad_i64_i32 v[145:146], null, s2, s17, v[135:136]
	v_mad_i64_i32 v[147:148], null, s3, s17, v[135:136]
	s_waitcnt vmcnt(24)
	v_wmma_f32_16x16x16_f16 v[135:142], v[17:24], v[119:126], v[111:118]
	s_waitcnt vmcnt(22)
	v_wmma_f32_16x16x16_f16 v[111:118], v[25:32], v[119:126], v[111:118]
	s_clause 0x3
	global_load_b128 v[17:20], v[143:144], off
	global_load_b128 v[21:24], v[143:144], off offset:16
	global_load_b128 v[25:28], v[145:146], off
	global_load_b128 v[29:32], v[145:146], off offset:16
	v_and_b32_e32 v119, 0xe0, v0
	s_waitcnt vmcnt(24)
	v_wmma_f32_16x16x16_f16 v[135:142], v[57:64], v[127:134], v[135:142]
	s_clause 0x1
	global_load_b128 v[57:60], v[147:148], off
	global_load_b128 v[61:64], v[147:148], off offset:16
	s_waitcnt vmcnt(24)
	v_wmma_f32_16x16x16_f16 v[111:118], v[71:78], v[127:134], v[111:118]
	ds_load_b128 v[71:74], v149 offset:4096
	ds_load_b128 v[75:78], v149 offset:5120
	v_add_nc_u32_e32 v128, s12, v119
	ds_load_b128 v[119:122], v149 offset:6144
	ds_load_b128 v[123:126], v149 offset:7168
	v_mbcnt_lo_u32_b32 v127, -1, 0
	s_waitcnt vmcnt(0) lgkmcnt(0)
	s_barrier
	v_or_b32_e32 v128, v128, v66
	buffer_gl0_inv
	v_xor_b32_e32 v129, 16, v127
	v_or_b32_e32 v130, 4, v128
	v_or_b32_e32 v131, 6, v128
	s_delay_alu instid0(VALU_DEP_3) | instskip(SKIP_4) | instid1(VALU_DEP_4)
	v_cmp_gt_i32_e32 vcc_lo, 32, v129
	v_or_b32_e32 v132, 8, v128
	v_or_b32_e32 v133, 10, v128
	v_cmp_gt_i32_e64 s3, s24, v130
	v_cmp_gt_i32_e64 s4, s24, v131
	;; [unrolled: 1-line block ×3, first 2 shown]
	v_wmma_f32_16x16x16_f16 v[135:142], v[79:86], v[71:78], v[135:142]
	v_wmma_f32_16x16x16_f16 v[111:118], v[87:94], v[71:78], v[111:118]
	v_or_b32_e32 v79, 12, v128
	v_or_b32_e32 v80, 14, v128
	v_cmp_gt_i32_e64 s6, s24, v133
	v_wmma_f32_16x16x16_f16 v[135:142], v[95:102], v[119:126], v[135:142]
	v_wmma_f32_16x16x16_f16 v[111:118], v[103:110], v[119:126], v[111:118]
	v_cndmask_b32_e32 v127, v127, v129, vcc_lo
	v_or_b32_e32 v129, 2, v128
	v_cmp_gt_i32_e32 vcc_lo, s24, v128
	s_delay_alu instid0(VALU_DEP_4) | instskip(SKIP_1) | instid1(VALU_DEP_4)
	v_dual_mul_f32 v87, s19, v136 :: v_dual_mul_f32 v94, s19, v113
	v_mul_f32_e32 v88, s19, v135
	v_cmp_gt_i32_e64 s2, s24, v129
	v_mul_f32_e32 v78, s19, v138
	v_mul_f32_e32 v86, s19, v137
	;; [unrolled: 1-line block ×3, first 2 shown]
	v_cndmask_b32_e32 v88, 0xff7fffff, v88, vcc_lo
	v_cndmask_b32_e64 v87, 0xff7fffff, v87, s2
	v_dual_mul_f32 v77, s19, v139 :: v_dual_mul_f32 v90, s19, v117
	v_cndmask_b32_e64 v86, 0xff7fffff, v86, s3
	v_cndmask_b32_e64 v78, 0xff7fffff, v78, s4
	s_delay_alu instid0(VALU_DEP_4)
	v_max3_f32 v87, v88, 0xff7fffff, v87
	v_or_b32_e32 v81, 16, v128
	v_or_b32_e32 v82, 18, v128
	v_dual_mul_f32 v74, s19, v142 :: v_dual_mul_f32 v75, s19, v141
	v_mul_f32_e32 v96, s19, v111
	v_cndmask_b32_e64 v77, 0xff7fffff, v77, s5
	v_cndmask_b32_e64 v76, 0xff7fffff, v76, s6
	v_max3_f32 v78, v87, v86, v78
	v_cmp_gt_i32_e64 s7, s24, v79
	v_cmp_gt_i32_e64 s8, s24, v80
	v_or_b32_e32 v83, 20, v128
	v_or_b32_e32 v84, 22, v128
	v_mul_f32_e32 v95, s19, v112
	v_cndmask_b32_e64 v75, 0xff7fffff, v75, s7
	v_cndmask_b32_e64 v74, 0xff7fffff, v74, s8
	v_max3_f32 v76, v78, v77, v76
	v_cmp_gt_i32_e64 s9, s24, v81
	v_cmp_gt_i32_e64 s10, s24, v82
	v_or_b32_e32 v85, 24, v128
	v_or_b32_e32 v71, 26, v128
	;; [unrolled: 8-line block ×3, first 2 shown]
	v_dual_mul_f32 v91, s19, v116 :: v_dual_mul_f32 v92, s19, v115
	v_cndmask_b32_e64 v75, 0xff7fffff, v94, s11
	v_cndmask_b32_e64 v76, 0xff7fffff, v93, s12
	v_max3_f32 v74, v74, v77, v78
	v_cmp_gt_i32_e64 s13, s24, v85
	v_cmp_gt_i32_e64 s15, s24, v71
	v_mul_f32_e32 v89, s19, v118
	v_cmp_gt_i32_e64 s16, s24, v72
	v_max3_f32 v74, v74, v75, v76
	v_cndmask_b32_e64 v77, 0xff7fffff, v92, s13
	v_cndmask_b32_e64 v71, 0xff7fffff, v91, s15
	v_cmp_gt_i32_e64 s17, s24, v73
	v_cndmask_b32_e64 v72, 0xff7fffff, v90, s16
	s_delay_alu instid0(VALU_DEP_3) | instskip(SKIP_1) | instid1(VALU_DEP_4)
	v_max3_f32 v71, v74, v77, v71
	v_lshlrev_b32_e32 v74, 2, v127
	v_cndmask_b32_e64 v73, 0xff7fffff, v89, s17
	s_delay_alu instid0(VALU_DEP_1) | instskip(SKIP_3) | instid1(VALU_DEP_1)
	v_max3_f32 v71, v71, v72, v73
	ds_bpermute_b32 v72, v74, v71
	s_waitcnt lgkmcnt(0)
	v_max_f32_e32 v72, v72, v72
	v_max_f32_e32 v71, v71, v72
	s_delay_alu instid0(VALU_DEP_1) | instskip(SKIP_4) | instid1(VALU_DEP_4)
	v_fma_f32 v72, s19, v135, -v71
	v_fma_f32 v73, s19, v136, -v71
	;; [unrolled: 1-line block ×5, first 2 shown]
	v_dual_mul_f32 v72, 0x3fb8aa3b, v72 :: v_dual_mul_f32 v73, 0x3fb8aa3b, v73
	s_delay_alu instid0(VALU_DEP_3) | instskip(SKIP_1) | instid1(VALU_DEP_3)
	v_dual_mul_f32 v75, 0x3fb8aa3b, v75 :: v_dual_mul_f32 v76, 0x3fb8aa3b, v76
	v_fma_f32 v80, s19, v141, -v71
	v_exp_f32_e32 v72, v72
	s_delay_alu instid0(VALU_DEP_3) | instskip(NEXT) | instid1(VALU_DEP_2)
	v_exp_f32_e32 v73, v73
	v_exp_f32_e32 v75, v75
	;; [unrolled: 1-line block ×3, first 2 shown]
	v_mul_f32_e32 v82, 0x3fb8aa3b, v80
	s_delay_alu instid0(VALU_DEP_1) | instskip(SKIP_4) | instid1(TRANS32_DEP_3)
	v_exp_f32_e32 v84, v82
	v_cndmask_b32_e32 v79, 0, v72, vcc_lo
	v_fma_f32 v72, s19, v140, -v71
	v_mul_f32_e32 v77, 0x3fb8aa3b, v77
	v_cndmask_b32_e64 v78, 0, v73, s2
	v_cndmask_b32_e64 v81, 0, v75, s3
	s_delay_alu instid0(VALU_DEP_4) | instskip(NEXT) | instid1(VALU_DEP_4)
	v_dual_add_f32 v73, 0, v79 :: v_dual_mul_f32 v72, 0x3fb8aa3b, v72
	v_exp_f32_e32 v77, v77
	v_cndmask_b32_e64 v80, 0, v76, s4
	s_delay_alu instid0(TRANS32_DEP_2) | instskip(NEXT) | instid1(VALU_DEP_3)
	v_cndmask_b32_e64 v85, 0, v84, s7
	v_add_f32_e32 v73, v73, v78
	v_exp_f32_e32 v72, v72
	v_cmp_gt_u32_e64 s2, 16, v70
	s_delay_alu instid0(VALU_DEP_2) | instskip(NEXT) | instid1(TRANS32_DEP_2)
	v_add_f32_e32 v73, v73, v81
	v_cndmask_b32_e64 v83, 0, v77, s5
	s_delay_alu instid0(VALU_DEP_2) | instskip(SKIP_3) | instid1(VALU_DEP_1)
	v_add_f32_e32 v73, v73, v80
	s_waitcnt_depctr 0xfff
	v_cndmask_b32_e64 v82, 0, v72, s6
	v_add_f32_e32 v72, v73, v83
	v_add_f32_e32 v72, v72, v82
	s_delay_alu instid0(VALU_DEP_1)
	v_add_f32_e32 v72, v72, v85
	v_fma_f32 v76, s19, v111, -v71
	v_fma_f32 v75, s19, v142, -v71
	;; [unrolled: 1-line block ×5, first 2 shown]
	s_delay_alu instid0(VALU_DEP_4) | instskip(NEXT) | instid1(VALU_DEP_3)
	v_dual_mul_f32 v76, 0x3fb8aa3b, v76 :: v_dual_mul_f32 v75, 0x3fb8aa3b, v75
	v_mul_f32_e32 v86, 0x3fb8aa3b, v86
	s_delay_alu instid0(VALU_DEP_2) | instskip(NEXT) | instid1(VALU_DEP_2)
	v_exp_f32_e32 v76, v76
	v_exp_f32_e32 v75, v75
	s_delay_alu instid0(VALU_DEP_1) | instskip(NEXT) | instid1(TRANS32_DEP_3)
	v_exp_f32_e32 v88, v86
	v_cndmask_b32_e64 v87, 0, v76, s9
	v_fma_f32 v76, s19, v116, -v71
	v_mul_f32_e32 v77, 0x3fb8aa3b, v77
	s_waitcnt_depctr 0xfff
	v_cndmask_b32_e64 v84, 0, v75, s8
	v_fma_f32 v75, s19, v115, -v71
	v_cndmask_b32_e64 v88, 0, v88, s12
	v_mul_f32_e32 v76, 0x3fb8aa3b, v76
	v_exp_f32_e32 v77, v77
	v_add_f32_e32 v72, v72, v84
	s_delay_alu instid0(VALU_DEP_2) | instskip(NEXT) | instid1(VALU_DEP_1)
	v_exp_f32_e32 v76, v76
	v_add_f32_e32 v72, v72, v87
	s_waitcnt_depctr 0xfff
	v_cndmask_b32_e64 v86, 0, v77, s10
	v_mul_f32_e32 v73, 0x3fb8aa3b, v73
	v_fma_f32 v77, s19, v117, -v71
	v_cndmask_b32_e64 v90, 0, v76, s15
	s_delay_alu instid0(VALU_DEP_4) | instskip(NEXT) | instid1(VALU_DEP_4)
	v_add_f32_e32 v72, v72, v86
	v_exp_f32_e32 v73, v73
	s_waitcnt_depctr 0xfff
	v_cndmask_b32_e64 v89, 0, v73, s11
	s_delay_alu instid0(VALU_DEP_1) | instskip(NEXT) | instid1(VALU_DEP_1)
	v_dual_mul_f32 v75, 0x3fb8aa3b, v75 :: v_dual_add_f32 v72, v72, v89
	v_exp_f32_e32 v75, v75
	v_mul_f32_e32 v73, 0x3fb8aa3b, v77
	v_fma_f32 v77, s19, v118, -v71
	s_delay_alu instid0(VALU_DEP_3) | instskip(NEXT) | instid1(VALU_DEP_3)
	v_add_f32_e32 v72, v72, v88
	v_exp_f32_e32 v73, v73
	s_waitcnt_depctr 0xfff
	v_cndmask_b32_e64 v91, 0, v75, s13
	s_delay_alu instid0(VALU_DEP_1) | instskip(NEXT) | instid1(VALU_DEP_1)
	v_dual_mul_f32 v75, 0x3fb8aa3b, v77 :: v_dual_add_f32 v72, v72, v91
	v_exp_f32_e32 v75, v75
	v_cndmask_b32_e64 v93, 0, v73, s16
	s_delay_alu instid0(VALU_DEP_2) | instskip(NEXT) | instid1(VALU_DEP_1)
	v_add_f32_e32 v72, v72, v90
	v_add_f32_e32 v72, v72, v93
	s_waitcnt_depctr 0xfff
	v_cndmask_b32_e64 v92, 0, v75, s17
	s_delay_alu instid0(VALU_DEP_1)
	v_add_f32_e32 v72, v72, v92
	ds_bpermute_b32 v73, v74, v72
	s_and_saveexec_b32 s3, s2
	s_cbranch_execz .LBB1018_12
; %bb.11:
	v_mul_u32_u24_e32 v70, 0x44, v69
	s_waitcnt lgkmcnt(0)
	v_add_f32_e32 v72, v72, v73
	s_delay_alu instid0(VALU_DEP_2) | instskip(NEXT) | instid1(VALU_DEP_1)
	v_lshl_add_u32 v70, v68, 2, v70
	v_add_nc_u32_e32 v70, 0x4000, v70
	ds_store_2addr_b32 v70, v71, v72 offset1:136
.LBB1018_12:
	s_or_b32 exec_lo, exec_lo, s3
	v_lshlrev_b32_e32 v70, 2, v68
	s_load_b32 s35, s[0:1], 0x94
	s_waitcnt lgkmcnt(0)
	s_barrier
	buffer_gl0_inv
	v_add_nc_u32_e32 v98, 0x4000, v70
	v_cmp_eq_u32_e32 vcc_lo, 1, v69
	v_cmp_eq_u32_e64 s3, 2, v69
	v_cmp_eq_u32_e64 s4, 3, v69
	;; [unrolled: 1-line block ×3, first 2 shown]
	ds_load_2addr_b32 v[70:71], v98 offset1:17
	ds_load_2addr_b32 v[72:73], v98 offset0:34 offset1:51
	ds_load_2addr_b32 v[74:75], v98 offset0:68 offset1:85
	;; [unrolled: 1-line block ×3, first 2 shown]
	v_cmp_eq_u32_e64 s6, 5, v69
	v_cmp_eq_u32_e64 s7, 7, v69
	s_waitcnt lgkmcnt(3)
	v_max3_f32 v76, v70, 0xff7fffff, v71
	s_waitcnt lgkmcnt(2)
	s_delay_alu instid0(VALU_DEP_1) | instskip(SKIP_1) | instid1(VALU_DEP_1)
	v_max3_f32 v76, v76, v72, v73
	s_waitcnt lgkmcnt(1)
	v_max3_f32 v76, v76, v74, v75
	s_waitcnt lgkmcnt(0)
	s_delay_alu instid0(VALU_DEP_1) | instskip(NEXT) | instid1(VALU_DEP_1)
	v_max3_f32 v76, v76, v94, v95
	v_sub_f32_e32 v77, v71, v76
	ds_load_2addr_b32 v[96:97], v98 offset0:136 offset1:153
	v_sub_f32_e32 v74, v74, v76
	v_sub_f32_e32 v70, v70, v76
	v_sub_f32_e32 v94, v94, v76
	v_dual_sub_f32 v72, v72, v76 :: v_dual_mul_f32 v77, 0x3fb8aa3b, v77
	s_delay_alu instid0(VALU_DEP_4) | instskip(NEXT) | instid1(VALU_DEP_4)
	v_mul_f32_e32 v103, 0x3fb8aa3b, v74
	v_mul_f32_e32 v99, 0x3fb8aa3b, v70
	ds_load_2addr_b32 v[70:71], v98 offset0:170 offset1:187
	v_dual_mul_f32 v101, 0x3fb8aa3b, v72 :: v_dual_mul_f32 v94, 0x3fb8aa3b, v94
	v_exp_f32_e32 v102, v77
	v_exp_f32_e32 v99, v99
	s_delay_alu instid0(VALU_DEP_1) | instskip(NEXT) | instid1(VALU_DEP_1)
	v_exp_f32_e32 v101, v101
	v_exp_f32_e32 v94, v94
	s_waitcnt lgkmcnt(1)
	s_delay_alu instid0(TRANS32_DEP_3)
	v_fma_f32 v77, v99, v96, 0
	v_sub_f32_e32 v100, v73, v76
	ds_load_2addr_b32 v[72:73], v98 offset0:204 offset1:221
	v_fmac_f32_e32 v77, v102, v97
	v_exp_f32_e32 v97, v103
	s_waitcnt lgkmcnt(1)
	s_delay_alu instid0(VALU_DEP_1)
	v_dual_fmac_f32 v77, v101, v70 :: v_dual_sub_f32 v96, v75, v76
	ds_load_2addr_b32 v[74:75], v98 offset0:238 offset1:255
	v_sub_f32_e32 v70, v95, v76
	s_waitcnt lgkmcnt(0)
	s_barrier
	v_mul_f32_e32 v96, 0x3fb8aa3b, v96
	buffer_gl0_inv
	v_exp_f32_e32 v95, v96
	v_mul_f32_e32 v100, 0x3fb8aa3b, v100
	s_delay_alu instid0(VALU_DEP_1) | instskip(SKIP_3) | instid1(VALU_DEP_2)
	v_exp_f32_e32 v100, v100
	s_waitcnt_depctr 0xfff
	v_dual_fmac_f32 v77, v100, v71 :: v_dual_mul_f32 v70, 0x3fb8aa3b, v70
	v_cndmask_b32_e32 v71, v99, v102, vcc_lo
	v_fmac_f32_e32 v77, v97, v72
	s_delay_alu instid0(VALU_DEP_3) | instskip(NEXT) | instid1(VALU_DEP_1)
	v_exp_f32_e32 v96, v70
	v_fmac_f32_e32 v77, v95, v73
	s_delay_alu instid0(VALU_DEP_1) | instskip(SKIP_2) | instid1(VALU_DEP_1)
	v_fmac_f32_e32 v77, v94, v74
	s_waitcnt_depctr 0xfff
	v_fmac_f32_e32 v77, v96, v75
	v_add_f32_e32 v74, 0x358637bd, v77
	s_delay_alu instid0(VALU_DEP_1) | instskip(SKIP_1) | instid1(VALU_DEP_2)
	v_div_scale_f32 v98, null, v74, v74, 1.0
	v_div_scale_f32 v99, vcc_lo, 1.0, v74, 1.0
	v_rcp_f32_e32 v103, v98
	s_waitcnt_depctr 0xfff
	v_fma_f32 v70, -v98, v103, 1.0
	s_delay_alu instid0(VALU_DEP_1) | instskip(SKIP_2) | instid1(VALU_DEP_2)
	v_fmac_f32_e32 v103, v70, v103
	v_cndmask_b32_e64 v70, v71, v101, s3
	v_cmp_eq_u32_e64 s3, 6, v69
	v_cndmask_b32_e64 v71, v70, v100, s4
	s_delay_alu instid0(VALU_DEP_4) | instskip(NEXT) | instid1(VALU_DEP_2)
	v_dual_mul_f32 v101, v99, v103 :: v_dual_lshlrev_b32 v70, 2, v66
	v_cndmask_b32_e64 v71, v71, v97, s5
	s_delay_alu instid0(VALU_DEP_2) | instskip(NEXT) | instid1(VALU_DEP_3)
	v_or_b32_e32 v72, 1, v70
	v_fma_f32 v100, -v98, v101, v99
	v_cmp_eq_u32_e64 s4, 1, v70
	v_cmp_eq_u32_e64 s5, 2, v70
	v_cndmask_b32_e64 v95, v71, v95, s6
	v_or_b32_e32 v71, 3, v70
	v_fmac_f32_e32 v101, v100, v103
	v_cmp_eq_u32_e64 s9, 1, v72
	v_cmp_eq_u32_e64 s12, 2, v72
	v_cndmask_b32_e64 v94, v95, v94, s3
	v_cmp_eq_u32_e64 s11, 1, v71
	v_fma_f32 v97, -v98, v101, v99
	v_cmp_eq_u32_e64 s16, 2, v71
	v_cmp_eq_u32_e64 s13, 3, v72
	v_cndmask_b32_e64 v94, v94, v96, s7
	v_cmp_eq_u32_e64 s18, 3, v71
	v_div_fmas_f32 v95, v97, v103, v101
	v_cmp_eq_u32_e32 vcc_lo, 3, v70
	v_cmp_eq_u32_e64 s3, 4, v70
	v_cmp_eq_u32_e64 s19, 4, v72
	;; [unrolled: 1-line block ×3, first 2 shown]
	v_div_fixup_f32 v95, v95, v74, 1.0
	v_lshlrev_b32_e32 v73, 6, v68
	v_cmp_eq_u32_e64 s6, 5, v70
	v_cmp_eq_u32_e64 s20, 5, v72
	;; [unrolled: 1-line block ×3, first 2 shown]
	v_mul_f32_e32 v102, v94, v95
	v_lshl_or_b32 v75, v69, 11, v73
	v_or_b32_e32 v69, 2, v70
	v_cmp_eq_u32_e64 s25, 6, v72
	v_cmp_eq_u32_e64 s27, 6, v71
	v_fma_mixlo_f16 v94, v102, v79, 0
	v_fma_mixlo_f16 v95, v102, v81, 0
	;; [unrolled: 1-line block ×8, first 2 shown]
	v_lshl_or_b32 v74, v66, 4, v75
	v_fma_mixhi_f16 v94, v102, v78, 0
	v_fma_mixhi_f16 v95, v102, v80, 0
	;; [unrolled: 1-line block ×8, first 2 shown]
	ds_store_b128 v74, v[94:97]
	ds_store_b128 v74, v[98:101] offset:1024
	s_waitcnt lgkmcnt(0)
	s_barrier
	buffer_gl0_inv
	ds_load_b128 v[78:81], v75
	ds_load_b128 v[82:85], v75 offset:16
	ds_load_b128 v[86:89], v75 offset:1024
	ds_load_b128 v[90:93], v75 offset:1040
	v_cmp_eq_u32_e64 s10, 1, v69
	v_cmp_eq_u32_e64 s15, 2, v69
	;; [unrolled: 1-line block ×11, first 2 shown]
	s_waitcnt lgkmcnt(3)
	v_lshrrev_b32_e32 v94, 16, v78
	s_waitcnt lgkmcnt(2)
	v_lshrrev_b32_e32 v98, 16, v82
	;; [unrolled: 2-line block ×4, first 2 shown]
	v_lshrrev_b32_e32 v95, 16, v79
	v_cndmask_b32_e64 v110, v78, v94, s4
	v_cndmask_b32_e64 v111, v82, v98, s4
	;; [unrolled: 1-line block ×8, first 2 shown]
	v_lshrrev_b32_e32 v99, 16, v83
	v_cndmask_b32_e64 v94, v86, v102, s4
	v_cndmask_b32_e64 v98, v90, v106, s4
	;; [unrolled: 1-line block ×15, first 2 shown]
	v_lshrrev_b32_e32 v103, 16, v87
	v_lshrrev_b32_e32 v107, 16, v91
	v_cndmask_b32_e64 v113, v115, v83, s15
	v_cndmask_b32_e64 v82, v94, v87, s5
	;; [unrolled: 1-line block ×7, first 2 shown]
	v_cndmask_b32_e32 v90, v102, v95, vcc_lo
	v_cndmask_b32_e32 v102, v106, v99, vcc_lo
	v_cndmask_b32_e64 v106, v110, v95, s13
	v_cndmask_b32_e64 v110, v111, v99, s13
	v_cndmask_b32_e64 v78, v78, v95, s18
	v_cndmask_b32_e64 v79, v79, v99, s18
	v_lshrrev_b32_e32 v96, 16, v80
	v_lshrrev_b32_e32 v100, 16, v84
	v_cndmask_b32_e64 v111, v112, v95, s17
	v_cndmask_b32_e64 v112, v113, v99, s17
	v_cndmask_b32_e32 v82, v82, v103, vcc_lo
	v_cndmask_b32_e32 v83, v83, v107, vcc_lo
	v_cndmask_b32_e64 v94, v94, v103, s13
	v_cndmask_b32_e64 v90, v90, v80, s3
	v_cndmask_b32_e64 v95, v102, v84, s3
	v_cndmask_b32_e64 v99, v106, v80, s19
	v_cndmask_b32_e64 v102, v110, v84, s19
	v_cndmask_b32_e64 v78, v78, v80, s22
	v_cndmask_b32_e64 v79, v79, v84, s22
	v_lshrrev_b32_e32 v104, 16, v88
	v_cndmask_b32_e64 v106, v111, v80, s21
	v_cndmask_b32_e64 v110, v112, v84, s21
	;; [unrolled: 1-line block ×11, first 2 shown]
	v_lshrrev_b32_e32 v97, 16, v81
	v_lshrrev_b32_e32 v101, 16, v85
	v_cndmask_b32_e64 v99, v106, v96, s23
	v_cndmask_b32_e64 v102, v110, v100, s23
	;; [unrolled: 1-line block ×7, first 2 shown]
	v_lshrrev_b32_e32 v105, 16, v89
	v_cndmask_b32_e64 v80, v80, v104, s6
	v_cndmask_b32_e64 v84, v84, v81, s7
	;; [unrolled: 1-line block ×16, first 2 shown]
	v_perm_b32 v81, v79, v78, 0x5040100
	v_perm_b32 v79, v95, v85, 0x5040100
	v_cndmask_b32_e64 v78, v119, v91, s15
	v_cndmask_b32_e64 v85, v117, v91, s12
	;; [unrolled: 1-line block ×3, first 2 shown]
	v_perm_b32 v80, v94, v90, 0x5040100
	v_cndmask_b32_e64 v90, v98, v103, s17
	v_cndmask_b32_e64 v86, v86, v103, s18
	;; [unrolled: 1-line block ×5, first 2 shown]
	v_lshrrev_b32_e32 v108, 16, v92
	v_cndmask_b32_e64 v90, v90, v88, s21
	v_cndmask_b32_e64 v86, v86, v88, s22
	;; [unrolled: 1-line block ×11, first 2 shown]
	v_lshrrev_b32_e32 v109, 16, v93
	v_cndmask_b32_e64 v82, v82, v93, s7
	v_cndmask_b32_e64 v88, v88, v89, s26
	;; [unrolled: 1-line block ×12, first 2 shown]
	v_perm_b32 v78, v84, v83, 0x5040100
	v_perm_b32 v85, v87, v86, 0x5040100
	;; [unrolled: 1-line block ×5, first 2 shown]
	s_mul_i32 s8, s33, 9
	s_mov_b32 s3, exec_lo
	ds_store_b128 v74, v[78:81]
	ds_store_b128 v74, v[82:85] offset:1024
	v_cmpx_gt_u32_e32 9, v0
	s_cbranch_execz .LBB1018_14
; %bb.13:
	s_mul_i32 s4, s8, s34
	s_delay_alu instid0(SALU_CYCLE_1) | instskip(SKIP_1) | instid1(VALU_DEP_1)
	v_add3_u32 v68, s4, s31, v68
	s_load_b128 s[4:7], s[0:1], 0x58
	v_mad_u64_u32 v[78:79], null, v68, s35, s[14:15]
	s_delay_alu instid0(VALU_DEP_1) | instskip(NEXT) | instid1(VALU_DEP_1)
	v_ashrrev_i32_e32 v79, 31, v78
	v_lshlrev_b64 v[78:79], 2, v[78:79]
	s_waitcnt lgkmcnt(0)
	s_delay_alu instid0(VALU_DEP_1) | instskip(NEXT) | instid1(VALU_DEP_2)
	v_add_co_u32 v80, vcc_lo, s6, v78
	v_add_co_ci_u32_e32 v81, vcc_lo, s7, v79, vcc_lo
	v_add_co_u32 v78, vcc_lo, s4, v78
	v_add_co_ci_u32_e32 v79, vcc_lo, s5, v79, vcc_lo
	global_store_b32 v[80:81], v76, off
	global_store_b32 v[78:79], v77, off
.LBB1018_14:
	s_or_b32 exec_lo, exec_lo, s3
	s_waitcnt lgkmcnt(0)
	s_waitcnt_vscnt null, 0x0
	s_barrier
	buffer_gl0_inv
	ds_load_b128 v[84:87], v73
	ds_load_b128 v[88:91], v73 offset:16
	ds_load_b128 v[96:99], v73 offset:2064
	;; [unrolled: 1-line block ×5, first 2 shown]
	v_cmp_eq_u32_e32 vcc_lo, 1, v70
	v_mov_b32_e32 v76, 0
	ds_load_b128 v[112:115], v73 offset:6160
	ds_load_b128 v[108:111], v73 offset:6144
	;; [unrolled: 1-line block ×4, first 2 shown]
	v_cmp_eq_u32_e64 s4, 1, v69
	v_cmp_eq_u32_e64 s3, 1, v72
	;; [unrolled: 1-line block ×3, first 2 shown]
	v_mov_b32_e32 v77, v76
	v_mov_b32_e32 v78, v76
	;; [unrolled: 1-line block ×7, first 2 shown]
	v_cmp_eq_u32_e64 s6, 3, v72
	v_cmp_eq_u32_e64 s7, 7, v72
	s_waitcnt lgkmcnt(8)
	s_delay_alu instid0(VALU_DEP_3)
	v_wmma_f32_16x16x16_f16 v[76:83], v[49:56], v[84:91], v[76:83]
	ds_load_b128 v[53:56], v73 offset:10256
	ds_load_b128 v[49:52], v73 offset:10240
	s_waitcnt lgkmcnt(8)
	v_wmma_f32_16x16x16_f16 v[76:83], v[41:48], v[92:99], v[76:83]
	ds_load_b128 v[45:48], v73 offset:12304
	ds_load_b128 v[41:44], v73 offset:12288
	s_waitcnt lgkmcnt(8)
	;; [unrolled: 4-line block ×3, first 2 shown]
	s_barrier
	buffer_gl0_inv
	v_wmma_f32_16x16x16_f16 v[76:83], v[1:8], v[108:115], v[76:83]
	s_delay_alu instid0(VALU_DEP_1) | instskip(NEXT) | instid1(VALU_DEP_1)
	v_wmma_f32_16x16x16_f16 v[76:83], v[9:16], v[116:123], v[76:83]
	v_wmma_f32_16x16x16_f16 v[76:83], v[17:24], v[49:56], v[76:83]
	s_delay_alu instid0(VALU_DEP_1) | instskip(NEXT) | instid1(VALU_DEP_1)
	v_wmma_f32_16x16x16_f16 v[76:83], v[25:32], v[41:48], v[76:83]
	v_wmma_f32_16x16x16_f16 v[76:83], v[57:64], v[33:40], v[76:83]
	s_delay_alu instid0(VALU_DEP_1) | instskip(NEXT) | instid1(VALU_DEP_2)
	v_cvt_f16_f32_e32 v1, v76
	v_cvt_f16_f32_e32 v2, v77
	s_delay_alu instid0(VALU_DEP_3) | instskip(NEXT) | instid1(VALU_DEP_4)
	v_cvt_f16_f32_e32 v3, v78
	v_cvt_f16_f32_e32 v4, v79
	;; [unrolled: 1-line block ×6, first 2 shown]
	v_pack_b32_f16 v1, v1, v2
	v_pack_b32_f16 v2, v3, v4
	;; [unrolled: 1-line block ×3, first 2 shown]
	s_delay_alu instid0(VALU_DEP_4)
	v_pack_b32_f16 v4, v7, v8
	ds_store_b128 v74, v[1:4]
	s_waitcnt lgkmcnt(0)
	s_barrier
	buffer_gl0_inv
	ds_load_b128 v[1:4], v75
	ds_load_b128 v[5:8], v75 offset:16
	s_waitcnt lgkmcnt(1)
	v_lshrrev_b32_e32 v9, 16, v1
	s_waitcnt lgkmcnt(0)
	v_lshrrev_b32_e32 v13, 16, v5
	v_lshrrev_b32_e32 v10, 16, v2
	;; [unrolled: 1-line block ×4, first 2 shown]
	v_cndmask_b32_e32 v17, v1, v9, vcc_lo
	v_cndmask_b32_e32 v18, v5, v13, vcc_lo
	v_cndmask_b32_e64 v21, v1, v9, s4
	v_cmp_eq_u32_e32 vcc_lo, 1, v71
	v_cndmask_b32_e64 v22, v5, v13, s4
	v_cmp_eq_u32_e64 s4, 2, v70
	v_cndmask_b32_e64 v19, v1, v9, s3
	v_cndmask_b32_e64 v20, v5, v13, s3
	v_cndmask_b32_e32 v1, v1, v9, vcc_lo
	v_cmp_eq_u32_e64 s3, 2, v71
	v_cndmask_b32_e32 v5, v5, v13, vcc_lo
	v_cndmask_b32_e64 v9, v17, v2, s4
	v_cmp_eq_u32_e32 vcc_lo, 3, v70
	v_cndmask_b32_e64 v13, v18, v6, s4
	v_cmp_eq_u32_e64 s4, 2, v69
	v_cndmask_b32_e64 v17, v19, v2, s5
	v_cndmask_b32_e64 v18, v20, v6, s5
	v_cmp_eq_u32_e64 s5, 3, v69
	v_cndmask_b32_e64 v1, v1, v2, s3
	v_cndmask_b32_e64 v19, v21, v2, s4
	;; [unrolled: 1-line block ×4, first 2 shown]
	v_cndmask_b32_e32 v5, v9, v10, vcc_lo
	v_cndmask_b32_e32 v6, v13, v14, vcc_lo
	v_cmp_eq_u32_e32 vcc_lo, 3, v71
	v_cndmask_b32_e64 v9, v17, v10, s6
	v_cndmask_b32_e64 v13, v18, v14, s6
	v_cndmask_b32_e64 v18, v20, v14, s5
	v_cmp_eq_u32_e64 s4, 4, v70
	v_cndmask_b32_e32 v1, v1, v10, vcc_lo
	v_cndmask_b32_e32 v2, v2, v14, vcc_lo
	v_cmp_eq_u32_e32 vcc_lo, 4, v72
	v_lshrrev_b32_e32 v15, 16, v7
	v_lshrrev_b32_e32 v16, 16, v8
	v_cndmask_b32_e64 v17, v19, v10, s5
	v_cmp_eq_u32_e64 s3, 4, v71
	v_cndmask_b32_e64 v5, v5, v3, s4
	v_cndmask_b32_e64 v6, v6, v7, s4
	v_cndmask_b32_e32 v9, v9, v3, vcc_lo
	v_cmp_eq_u32_e64 s4, 5, v72
	v_cndmask_b32_e32 v10, v13, v7, vcc_lo
	v_cmp_eq_u32_e32 vcc_lo, 4, v69
	v_cmp_eq_u32_e64 s5, 5, v70
	v_cndmask_b32_e64 v2, v2, v7, s3
	v_cndmask_b32_e64 v9, v9, v11, s4
	;; [unrolled: 1-line block ×3, first 2 shown]
	v_cndmask_b32_e32 v13, v17, v3, vcc_lo
	v_cmp_eq_u32_e64 s4, 5, v69
	v_cndmask_b32_e32 v14, v18, v7, vcc_lo
	v_cndmask_b32_e64 v1, v1, v3, s3
	v_cmp_eq_u32_e32 vcc_lo, 5, v71
	v_lshrrev_b32_e32 v12, 16, v4
	v_cndmask_b32_e64 v13, v13, v11, s4
	v_cndmask_b32_e64 v3, v14, v15, s4
	v_cmp_eq_u32_e64 s4, 6, v71
	v_cndmask_b32_e32 v1, v1, v11, vcc_lo
	v_cndmask_b32_e64 v5, v5, v11, s5
	v_cmp_eq_u32_e64 s6, 6, v70
	v_cndmask_b32_e64 v6, v6, v15, s5
	v_cmp_eq_u32_e64 s5, 6, v72
	v_cmp_eq_u32_e64 s3, 6, v69
	v_cndmask_b32_e64 v1, v1, v4, s4
	v_cndmask_b32_e32 v2, v2, v15, vcc_lo
	v_cmp_eq_u32_e32 vcc_lo, 7, v71
	v_cndmask_b32_e64 v5, v5, v4, s6
	v_cndmask_b32_e64 v9, v9, v4, s5
	;; [unrolled: 1-line block ×3, first 2 shown]
	v_cmp_eq_u32_e64 s6, 7, v70
	v_cndmask_b32_e32 v1, v1, v12, vcc_lo
	v_cndmask_b32_e64 v7, v13, v4, s3
	v_cndmask_b32_e64 v3, v3, v8, s3
	;; [unrolled: 1-line block ×3, first 2 shown]
	v_cmp_eq_u32_e64 s3, 7, v69
	v_cndmask_b32_e64 v4, v10, v8, s5
	v_cndmask_b32_e64 v5, v5, v12, s6
	;; [unrolled: 1-line block ×3, first 2 shown]
	v_cndmask_b32_e32 v2, v2, v16, vcc_lo
	v_cndmask_b32_e64 v7, v7, v12, s3
	v_cndmask_b32_e64 v3, v3, v16, s3
	;; [unrolled: 1-line block ×4, first 2 shown]
	v_perm_b32 v4, v2, v1, 0x5040100
	s_mov_b32 s3, exec_lo
	v_perm_b32 v3, v3, v7, 0x5040100
	v_perm_b32 v2, v8, v9, 0x5040100
	v_perm_b32 v1, v6, v5, 0x5040100
	ds_store_b128 v74, v[1:4]
	s_waitcnt lgkmcnt(0)
	s_barrier
	buffer_gl0_inv
	v_cmpx_gt_u32_e32 32, v0
	s_cbranch_execz .LBB1018_2
; %bb.15:
	s_load_b64 s[4:5], s[0:1], 0x68
	v_lshlrev_b32_e32 v0, 10, v0
	v_lshlrev_b32_e32 v1, 4, v67
	s_lshl_b32 s0, s35, 7
	v_add_nc_u32_e32 v2, s31, v66
	s_mul_i32 s1, s0, s34
	s_delay_alu instid0(SALU_CYCLE_1) | instskip(SKIP_1) | instid1(VALU_DEP_2)
	s_mul_i32 s6, s1, s8
	v_and_or_b32 v0, 0x3800, v0, v1
	v_mul_lo_u32 v1, v2, s0
	s_ashr_i32 s7, s6, 31
	v_add_nc_u32_e32 v3, 2, v2
	s_lshl_b64 s[6:7], s[6:7], 1
	v_add_nc_u32_e32 v4, 4, v2
	v_add_nc_u32_e32 v5, 6, v2
	v_lshl_or_b32 v15, v66, 6, v0
	v_mul_lo_u32 v3, v3, s0
	v_ashrrev_i32_e32 v2, 31, v1
	v_mul_lo_u32 v19, v4, s0
	v_mul_lo_u32 v21, v5, s0
	s_waitcnt lgkmcnt(0)
	s_add_u32 s1, s4, s6
	s_addc_u32 s3, s5, s7
	s_lshl_b32 s4, s14, 7
	v_lshlrev_b64 v[5:6], 1, v[1:2]
	s_ashr_i32 s5, s4, 31
	v_ashrrev_i32_e32 v4, 31, v3
	s_lshl_b64 s[4:5], s[4:5], 1
	v_ashrrev_i32_e32 v20, 31, v19
	s_add_u32 s1, s1, s4
	s_addc_u32 s3, s3, s5
	v_add_co_u32 v1, s1, s1, v65
	s_delay_alu instid0(VALU_DEP_1) | instskip(SKIP_1) | instid1(VALU_DEP_3)
	v_add_co_ci_u32_e64 v2, null, s3, 0, s1
	v_lshlrev_b64 v[25:26], 1, v[3:4]
	v_add_co_u32 v23, vcc_lo, v1, v5
	s_delay_alu instid0(VALU_DEP_3)
	v_add_co_ci_u32_e32 v24, vcc_lo, v2, v6, vcc_lo
	ds_load_b128 v[3:6], v15
	ds_load_b128 v[7:10], v15 offset:128
	ds_load_b128 v[11:14], v15 offset:256
	;; [unrolled: 1-line block ×3, first 2 shown]
	v_ashrrev_i32_e32 v22, 31, v21
	v_lshlrev_b64 v[19:20], 1, v[19:20]
	v_add_co_u32 v25, vcc_lo, v1, v25
	v_add_co_ci_u32_e32 v26, vcc_lo, v2, v26, vcc_lo
	s_delay_alu instid0(VALU_DEP_4) | instskip(NEXT) | instid1(VALU_DEP_4)
	v_lshlrev_b64 v[21:22], 1, v[21:22]
	v_add_co_u32 v19, vcc_lo, v1, v19
	v_add_co_ci_u32_e32 v20, vcc_lo, v2, v20, vcc_lo
	s_delay_alu instid0(VALU_DEP_3) | instskip(NEXT) | instid1(VALU_DEP_4)
	v_add_co_u32 v21, vcc_lo, v1, v21
	v_add_co_ci_u32_e32 v22, vcc_lo, v2, v22, vcc_lo
	s_waitcnt lgkmcnt(3)
	global_store_b128 v[23:24], v[3:6], off
	s_waitcnt lgkmcnt(2)
	global_store_b128 v[25:26], v[7:10], off
	s_waitcnt lgkmcnt(1)
	global_store_b128 v[19:20], v[11:14], off
	s_waitcnt lgkmcnt(0)
	global_store_b128 v[21:22], v[15:18], off
	s_and_b32 exec_lo, exec_lo, s2
	s_cbranch_execz .LBB1018_2
; %bb.16:
	ds_load_b128 v[3:6], v0 offset:512
	s_add_i32 s1, s31, 8
	s_delay_alu instid0(SALU_CYCLE_1) | instskip(NEXT) | instid1(SALU_CYCLE_1)
	s_mul_i32 s0, s1, s0
	s_ashr_i32 s1, s0, 31
	s_delay_alu instid0(SALU_CYCLE_1) | instskip(NEXT) | instid1(SALU_CYCLE_1)
	s_lshl_b64 s[0:1], s[0:1], 1
	v_add_co_u32 v0, vcc_lo, v1, s0
	v_add_co_ci_u32_e32 v1, vcc_lo, s1, v2, vcc_lo
	s_waitcnt lgkmcnt(0)
	global_store_b128 v[0:1], v[3:6], off
	s_nop 0
	s_sendmsg sendmsg(MSG_DEALLOC_VGPRS)
	s_endpgm
	.section	.rodata,"a",@progbits
	.p2align	6, 0x0
	.amdhsa_kernel _Z39paged_attention_ll4mi_QKV_mfma16_kernelIDF16_hLN4vllm18Fp8KVCacheDataTypeE1EhLi32ELi128ELi256ELb1ELi9EL8MFMAType1EEvPKT_PKT0_S8_ifPKiSA_SA_iPKfiiiPfSD_PS3_PT2_iSC_SC_
		.amdhsa_group_segment_fixed_size 17472
		.amdhsa_private_segment_fixed_size 0
		.amdhsa_kernarg_size 400
		.amdhsa_user_sgpr_count 13
		.amdhsa_user_sgpr_dispatch_ptr 0
		.amdhsa_user_sgpr_queue_ptr 0
		.amdhsa_user_sgpr_kernarg_segment_ptr 1
		.amdhsa_user_sgpr_dispatch_id 0
		.amdhsa_user_sgpr_private_segment_size 0
		.amdhsa_wavefront_size32 1
		.amdhsa_uses_dynamic_stack 0
		.amdhsa_enable_private_segment 0
		.amdhsa_system_sgpr_workgroup_id_x 1
		.amdhsa_system_sgpr_workgroup_id_y 1
		.amdhsa_system_sgpr_workgroup_id_z 1
		.amdhsa_system_sgpr_workgroup_info 0
		.amdhsa_system_vgpr_workitem_id 0
		.amdhsa_next_free_vgpr 150
		.amdhsa_next_free_sgpr 37
		.amdhsa_reserve_vcc 1
		.amdhsa_float_round_mode_32 0
		.amdhsa_float_round_mode_16_64 0
		.amdhsa_float_denorm_mode_32 3
		.amdhsa_float_denorm_mode_16_64 3
		.amdhsa_dx10_clamp 1
		.amdhsa_ieee_mode 1
		.amdhsa_fp16_overflow 0
		.amdhsa_workgroup_processor_mode 1
		.amdhsa_memory_ordered 1
		.amdhsa_forward_progress 0
		.amdhsa_shared_vgpr_count 0
		.amdhsa_exception_fp_ieee_invalid_op 0
		.amdhsa_exception_fp_denorm_src 0
		.amdhsa_exception_fp_ieee_div_zero 0
		.amdhsa_exception_fp_ieee_overflow 0
		.amdhsa_exception_fp_ieee_underflow 0
		.amdhsa_exception_fp_ieee_inexact 0
		.amdhsa_exception_int_div_zero 0
	.end_amdhsa_kernel
	.section	.text._Z39paged_attention_ll4mi_QKV_mfma16_kernelIDF16_hLN4vllm18Fp8KVCacheDataTypeE1EhLi32ELi128ELi256ELb1ELi9EL8MFMAType1EEvPKT_PKT0_S8_ifPKiSA_SA_iPKfiiiPfSD_PS3_PT2_iSC_SC_,"axG",@progbits,_Z39paged_attention_ll4mi_QKV_mfma16_kernelIDF16_hLN4vllm18Fp8KVCacheDataTypeE1EhLi32ELi128ELi256ELb1ELi9EL8MFMAType1EEvPKT_PKT0_S8_ifPKiSA_SA_iPKfiiiPfSD_PS3_PT2_iSC_SC_,comdat
.Lfunc_end1018:
	.size	_Z39paged_attention_ll4mi_QKV_mfma16_kernelIDF16_hLN4vllm18Fp8KVCacheDataTypeE1EhLi32ELi128ELi256ELb1ELi9EL8MFMAType1EEvPKT_PKT0_S8_ifPKiSA_SA_iPKfiiiPfSD_PS3_PT2_iSC_SC_, .Lfunc_end1018-_Z39paged_attention_ll4mi_QKV_mfma16_kernelIDF16_hLN4vllm18Fp8KVCacheDataTypeE1EhLi32ELi128ELi256ELb1ELi9EL8MFMAType1EEvPKT_PKT0_S8_ifPKiSA_SA_iPKfiiiPfSD_PS3_PT2_iSC_SC_
                                        ; -- End function
	.section	.AMDGPU.csdata,"",@progbits
; Kernel info:
; codeLenInByte = 6744
; NumSgprs: 39
; NumVgprs: 150
; ScratchSize: 0
; MemoryBound: 0
; FloatMode: 240
; IeeeMode: 1
; LDSByteSize: 17472 bytes/workgroup (compile time only)
; SGPRBlocks: 4
; VGPRBlocks: 18
; NumSGPRsForWavesPerEU: 39
; NumVGPRsForWavesPerEU: 150
; Occupancy: 9
; WaveLimiterHint : 1
; COMPUTE_PGM_RSRC2:SCRATCH_EN: 0
; COMPUTE_PGM_RSRC2:USER_SGPR: 13
; COMPUTE_PGM_RSRC2:TRAP_HANDLER: 0
; COMPUTE_PGM_RSRC2:TGID_X_EN: 1
; COMPUTE_PGM_RSRC2:TGID_Y_EN: 1
; COMPUTE_PGM_RSRC2:TGID_Z_EN: 1
; COMPUTE_PGM_RSRC2:TIDIG_COMP_CNT: 0
	.section	.text._Z39paged_attention_ll4mi_QKV_mfma16_kernelIDF16_hLN4vllm18Fp8KVCacheDataTypeE1EhLi32ELi128ELi256ELb1ELi10EL8MFMAType1EEvPKT_PKT0_S8_ifPKiSA_SA_iPKfiiiPfSD_PS3_PT2_iSC_SC_,"axG",@progbits,_Z39paged_attention_ll4mi_QKV_mfma16_kernelIDF16_hLN4vllm18Fp8KVCacheDataTypeE1EhLi32ELi128ELi256ELb1ELi10EL8MFMAType1EEvPKT_PKT0_S8_ifPKiSA_SA_iPKfiiiPfSD_PS3_PT2_iSC_SC_,comdat
	.protected	_Z39paged_attention_ll4mi_QKV_mfma16_kernelIDF16_hLN4vllm18Fp8KVCacheDataTypeE1EhLi32ELi128ELi256ELb1ELi10EL8MFMAType1EEvPKT_PKT0_S8_ifPKiSA_SA_iPKfiiiPfSD_PS3_PT2_iSC_SC_ ; -- Begin function _Z39paged_attention_ll4mi_QKV_mfma16_kernelIDF16_hLN4vllm18Fp8KVCacheDataTypeE1EhLi32ELi128ELi256ELb1ELi10EL8MFMAType1EEvPKT_PKT0_S8_ifPKiSA_SA_iPKfiiiPfSD_PS3_PT2_iSC_SC_
	.globl	_Z39paged_attention_ll4mi_QKV_mfma16_kernelIDF16_hLN4vllm18Fp8KVCacheDataTypeE1EhLi32ELi128ELi256ELb1ELi10EL8MFMAType1EEvPKT_PKT0_S8_ifPKiSA_SA_iPKfiiiPfSD_PS3_PT2_iSC_SC_
	.p2align	8
	.type	_Z39paged_attention_ll4mi_QKV_mfma16_kernelIDF16_hLN4vllm18Fp8KVCacheDataTypeE1EhLi32ELi128ELi256ELb1ELi10EL8MFMAType1EEvPKT_PKT0_S8_ifPKiSA_SA_iPKfiiiPfSD_PS3_PT2_iSC_SC_,@function
_Z39paged_attention_ll4mi_QKV_mfma16_kernelIDF16_hLN4vllm18Fp8KVCacheDataTypeE1EhLi32ELi128ELi256ELb1ELi10EL8MFMAType1EEvPKT_PKT0_S8_ifPKiSA_SA_iPKfiiiPfSD_PS3_PT2_iSC_SC_: ; @_Z39paged_attention_ll4mi_QKV_mfma16_kernelIDF16_hLN4vllm18Fp8KVCacheDataTypeE1EhLi32ELi128ELi256ELb1ELi10EL8MFMAType1EEvPKT_PKT0_S8_ifPKiSA_SA_iPKfiiiPfSD_PS3_PT2_iSC_SC_
; %bb.0:
	s_load_b64 s[4:5], s[0:1], 0x30
	s_mov_b32 s30, s13
	s_waitcnt lgkmcnt(0)
	s_cmp_lg_u64 s[4:5], 0
	s_cselect_b32 s8, -1, 0
	s_ashr_i32 s31, s13, 31
	s_cmp_eq_u64 s[4:5], 0
	s_cbranch_scc1 .LBB1019_3
; %bb.1:
	s_lshl_b64 s[2:3], s[30:31], 2
	s_delay_alu instid0(SALU_CYCLE_1) | instskip(SKIP_4) | instid1(SALU_CYCLE_1)
	s_add_u32 s2, s4, s2
	s_addc_u32 s3, s5, s3
	s_load_b64 s[2:3], s[2:3], 0x0
	s_waitcnt lgkmcnt(0)
	s_sub_i32 s2, s3, s2
	s_cmp_eq_u32 s2, 1
	s_cselect_b32 s2, -1, 0
	s_delay_alu instid0(SALU_CYCLE_1)
	s_and_not1_b32 vcc_lo, exec_lo, s2
	s_cbranch_vccz .LBB1019_4
.LBB1019_2:
	s_endpgm
.LBB1019_3:
.LBB1019_4:
	s_load_b64 s[2:3], s[0:1], 0x28
	s_lshl_b64 s[6:7], s[30:31], 2
	s_waitcnt lgkmcnt(0)
	s_add_u32 s2, s2, s6
	s_addc_u32 s3, s3, s7
	s_lshl_b32 s12, s14, 8
	s_load_b32 s24, s[2:3], 0x0
	s_waitcnt lgkmcnt(0)
	s_cmp_ge_i32 s12, s24
	s_cbranch_scc1 .LBB1019_2
; %bb.5:
	s_clause 0x1
	s_load_b128 s[20:23], s[0:1], 0x8
	s_load_b64 s[2:3], s[0:1], 0x20
	s_and_not1_b32 vcc_lo, exec_lo, s8
	s_cbranch_vccnz .LBB1019_7
; %bb.6:
	s_add_u32 s4, s4, s6
	s_addc_u32 s5, s5, s7
	s_load_b32 s5, s[4:5], 0x0
	s_branch .LBB1019_8
.LBB1019_7:
	s_mov_b32 s5, s30
.LBB1019_8:
	s_load_b128 s[16:19], s[0:1], 0x48
	v_and_b32_e32 v68, 15, v0
	v_lshrrev_b32_e32 v69, 5, v0
	v_and_b32_e32 v70, 31, v0
	v_and_b32_e32 v67, 1, v0
	v_bfe_u32 v66, v0, 4, 1
	v_lshlrev_b32_e32 v1, 3, v68
	s_mul_i32 s31, s15, 10
	s_mov_b32 s4, exec_lo
	s_delay_alu instid0(VALU_DEP_1)
	v_lshlrev_b32_e32 v65, 1, v1
	v_cmpx_gt_u32_e32 0xa0, v0
	s_cbranch_execz .LBB1019_10
; %bb.9:
	s_load_b64 s[6:7], s[0:1], 0x0
	v_lshl_or_b32 v5, v69, 1, v66
	s_waitcnt lgkmcnt(0)
	s_mul_hi_i32 s9, s5, s16
	s_mul_i32 s8, s5, s16
	v_lshlrev_b32_e32 v6, 10, v68
	s_lshl_b64 s[8:9], s[8:9], 1
	v_add_lshl_u32 v1, v5, s31, 7
	v_lshlrev_b32_e32 v5, 6, v5
	v_lshlrev_b32_e32 v7, 10, v67
	v_and_b32_e32 v6, 0x3800, v6
	s_delay_alu instid0(VALU_DEP_4) | instskip(NEXT) | instid1(VALU_DEP_2)
	v_ashrrev_i32_e32 v2, 31, v1
	v_or3_b32 v5, v6, v7, v5
	s_delay_alu instid0(VALU_DEP_2) | instskip(SKIP_2) | instid1(VALU_DEP_1)
	v_lshlrev_b64 v[1:2], 1, v[1:2]
	s_add_u32 s5, s6, s8
	s_addc_u32 s6, s7, s9
	v_add_co_u32 v1, vcc_lo, s5, v1
	s_delay_alu instid0(VALU_DEP_2) | instskip(NEXT) | instid1(VALU_DEP_2)
	v_add_co_ci_u32_e32 v2, vcc_lo, s6, v2, vcc_lo
	v_add_co_u32 v1, vcc_lo, v1, v65
	s_delay_alu instid0(VALU_DEP_2)
	v_add_co_ci_u32_e32 v2, vcc_lo, 0, v2, vcc_lo
	global_load_b128 v[1:4], v[1:2], off
	s_waitcnt vmcnt(0)
	ds_store_b128 v5, v[1:4]
.LBB1019_10:
	s_or_b32 exec_lo, exec_lo, s4
	v_and_b32_e32 v1, 0xef, v0
	s_waitcnt lgkmcnt(0)
	s_add_i32 s5, s24, 31
	s_clause 0x1
	s_load_b32 s4, s[0:1], 0x38
	s_load_b32 s33, s[0:1], 0x98
	s_ashr_i32 s6, s5, 31
	v_add_nc_u32_e32 v1, s12, v1
	s_lshr_b32 s6, s6, 27
	s_load_b32 s19, s[0:1], 0x1c
	s_add_i32 s5, s5, s6
	s_waitcnt lgkmcnt(0)
	v_ashrrev_i32_e32 v2, 31, v1
	v_or_b32_e32 v3, 16, v1
	s_ashr_i32 s13, s5, 5
	v_cmp_gt_i32_e32 vcc_lo, s24, v1
	s_add_i32 s13, s13, -1
	v_lshrrev_b32_e32 v2, 27, v2
	s_barrier
	buffer_gl0_inv
	s_mul_i32 s15, s15, s18
	v_add_nc_u32_e32 v4, v1, v2
	s_mul_i32 s4, s30, s4
	s_delay_alu instid0(SALU_CYCLE_1) | instskip(NEXT) | instid1(VALU_DEP_1)
	s_ashr_i32 s5, s4, 31
	v_ashrrev_i32_e32 v4, 5, v4
	v_add_nc_u32_e32 v2, v3, v2
	s_lshl_b64 s[4:5], s[4:5], 2
	s_delay_alu instid0(SALU_CYCLE_1) | instskip(NEXT) | instid1(VALU_DEP_2)
	s_add_u32 s16, s2, s4
	v_cndmask_b32_e32 v1, s13, v4, vcc_lo
	s_delay_alu instid0(VALU_DEP_2)
	v_ashrrev_i32_e32 v2, 5, v2
	v_cmp_gt_i32_e32 vcc_lo, s24, v3
	s_addc_u32 s25, s3, s5
	s_ashr_i32 s18, s15, 31
	s_add_u32 s2, s20, s15
	s_addc_u32 s3, s21, s18
	v_cndmask_b32_e32 v3, s13, v2, vcc_lo
	v_ashrrev_i32_e32 v2, 31, v1
	s_lshl_b32 s4, s14, 3
	s_delay_alu instid0(SALU_CYCLE_1) | instskip(NEXT) | instid1(VALU_DEP_2)
	s_ashr_i32 s5, s4, 31
	v_ashrrev_i32_e32 v4, 31, v3
	s_delay_alu instid0(VALU_DEP_2) | instskip(SKIP_1) | instid1(SALU_CYCLE_1)
	v_lshlrev_b64 v[1:2], 2, v[1:2]
	s_lshl_b64 s[4:5], s[4:5], 2
	s_add_u32 s4, s16, s4
	s_delay_alu instid0(VALU_DEP_2) | instskip(SKIP_1) | instid1(VALU_DEP_2)
	v_lshlrev_b64 v[3:4], 2, v[3:4]
	s_addc_u32 s5, s25, s5
	v_add_co_u32 v1, vcc_lo, s16, v1
	v_add_co_ci_u32_e32 v2, vcc_lo, s25, v2, vcc_lo
	s_delay_alu instid0(VALU_DEP_3) | instskip(NEXT) | instid1(VALU_DEP_4)
	v_add_co_u32 v3, vcc_lo, s16, v3
	v_add_co_ci_u32_e32 v4, vcc_lo, s25, v4, vcc_lo
	s_clause 0x1
	global_load_b32 v5, v[1:2], off
	global_load_b32 v6, v[3:4], off
	s_or_b32 s6, s12, 32
	s_delay_alu instid0(SALU_CYCLE_1) | instskip(SKIP_2) | instid1(SALU_CYCLE_1)
	s_ashr_i32 s7, s6, 5
	s_cmp_lt_i32 s6, s24
	s_cselect_b32 s6, s7, s13
	s_ashr_i32 s7, s6, 31
	s_delay_alu instid0(SALU_CYCLE_1) | instskip(NEXT) | instid1(SALU_CYCLE_1)
	s_lshl_b64 s[6:7], s[6:7], 2
	s_add_u32 s6, s16, s6
	s_addc_u32 s7, s25, s7
	s_or_b32 s8, s12, 64
	s_delay_alu instid0(SALU_CYCLE_1) | instskip(SKIP_2) | instid1(SALU_CYCLE_1)
	s_ashr_i32 s9, s8, 5
	s_cmp_lt_i32 s8, s24
	s_cselect_b32 s8, s9, s13
	s_ashr_i32 s9, s8, 31
	s_delay_alu instid0(SALU_CYCLE_1) | instskip(NEXT) | instid1(SALU_CYCLE_1)
	s_lshl_b64 s[8:9], s[8:9], 2
	s_add_u32 s8, s16, s8
	s_addc_u32 s9, s25, s9
	;; [unrolled: 10-line block ×5, first 2 shown]
	s_clause 0x5
	s_load_b32 s28, s[4:5], 0x0
	s_load_b32 s29, s[6:7], 0x0
	s_load_b32 s34, s[8:9], 0x0
	s_load_b32 s35, s[10:11], 0x0
	s_load_b32 s36, s[20:21], 0x0
	s_load_b32 s26, s[26:27], 0x0
	s_mov_b32 s4, 0
	s_delay_alu instid0(SALU_CYCLE_1)
	s_mov_b32 s5, s4
	s_mov_b32 s6, s4
	;; [unrolled: 1-line block ×7, first 2 shown]
	s_delay_alu instid0(SALU_CYCLE_1)
	v_dual_mov_b32 v118, s11 :: v_dual_mov_b32 v117, s10
	v_dual_mov_b32 v116, s9 :: v_dual_mov_b32 v115, s8
	v_mov_b32_e32 v113, s6
	v_dual_mov_b32 v111, s4 :: v_dual_mov_b32 v114, s7
	v_mov_b32_e32 v112, s5
	s_waitcnt vmcnt(1)
	v_mad_i64_i32 v[1:2], null, v5, s17, s[2:3]
	v_lshlrev_b32_e32 v5, 4, v68
	s_waitcnt vmcnt(0)
	v_mad_i64_i32 v[3:4], null, v6, s17, s[2:3]
	s_or_b32 s2, s12, 0xc0
	s_delay_alu instid0(SALU_CYCLE_1) | instskip(NEXT) | instid1(VALU_DEP_3)
	s_ashr_i32 s3, s2, 5
	v_add_co_u32 v1, vcc_lo, v1, v5
	s_delay_alu instid0(VALU_DEP_4) | instskip(NEXT) | instid1(VALU_DEP_3)
	v_add_co_ci_u32_e32 v2, vcc_lo, 0, v2, vcc_lo
	v_add_co_u32 v3, vcc_lo, v3, v5
	s_delay_alu instid0(VALU_DEP_4)
	v_add_co_ci_u32_e32 v4, vcc_lo, 0, v4, vcc_lo
	s_clause 0xf
	global_load_b128 v[17:20], v[1:2], off
	global_load_b128 v[21:24], v[1:2], off offset:512
	global_load_b128 v[25:28], v[3:4], off offset:256
	;; [unrolled: 1-line block ×15, first 2 shown]
	s_cmp_lt_i32 s2, s24
	v_add_nc_u32_e32 v1, -10, v68
	s_cselect_b32 s2, s3, s13
	v_cmp_gt_u32_e32 vcc_lo, 10, v68
	s_ashr_i32 s3, s2, 31
	v_lshlrev_b32_e32 v2, 5, v68
	s_lshl_b64 s[2:3], s[2:3], 2
	s_delay_alu instid0(SALU_CYCLE_1)
	s_add_u32 s2, s16, s2
	s_addc_u32 s3, s25, s3
	s_or_b32 s20, s12, 0xe0
	v_cndmask_b32_e32 v1, v1, v68, vcc_lo
	s_ashr_i32 s21, s20, 5
	s_cmp_lt_i32 s20, s24
	s_cselect_b32 s20, s21, s13
	s_delay_alu instid0(VALU_DEP_1)
	v_lshlrev_b32_e32 v149, 6, v1
	s_ashr_i32 s21, s20, 31
	v_lshl_or_b32 v1, v69, 9, v2
	s_lshl_b64 s[4:5], s[20:21], 2
	ds_load_b128 v[119:122], v149
	ds_load_b128 v[123:126], v149 offset:1024
	s_add_u32 s4, s16, s4
	s_addc_u32 s5, s25, s5
	ds_load_b128 v[127:130], v149 offset:2048
	ds_load_b128 v[131:134], v149 offset:3072
	s_clause 0x1
	s_load_b32 s2, s[2:3], 0x0
	s_load_b32 s3, s[4:5], 0x0
	s_add_u32 s6, s22, s15
	s_addc_u32 s7, s23, s18
	v_add_co_u32 v135, s6, s6, v1
	s_delay_alu instid0(VALU_DEP_1) | instskip(SKIP_1) | instid1(VALU_DEP_1)
	v_add_co_ci_u32_e64 v136, null, s7, 0, s6
	s_waitcnt lgkmcnt(0)
	v_mad_i64_i32 v[1:2], null, s28, s17, v[135:136]
	v_mad_i64_i32 v[3:4], null, s29, s17, v[135:136]
	;; [unrolled: 1-line block ×6, first 2 shown]
	s_clause 0x9
	global_load_b128 v[49:52], v[1:2], off
	global_load_b128 v[53:56], v[1:2], off offset:16
	global_load_b128 v[41:44], v[3:4], off
	global_load_b128 v[45:48], v[3:4], off offset:16
	;; [unrolled: 2-line block ×5, first 2 shown]
	v_mad_i64_i32 v[145:146], null, s2, s17, v[135:136]
	v_mad_i64_i32 v[147:148], null, s3, s17, v[135:136]
	s_waitcnt vmcnt(24)
	v_wmma_f32_16x16x16_f16 v[135:142], v[17:24], v[119:126], v[111:118]
	s_waitcnt vmcnt(22)
	v_wmma_f32_16x16x16_f16 v[111:118], v[25:32], v[119:126], v[111:118]
	s_clause 0x3
	global_load_b128 v[17:20], v[143:144], off
	global_load_b128 v[21:24], v[143:144], off offset:16
	global_load_b128 v[25:28], v[145:146], off
	global_load_b128 v[29:32], v[145:146], off offset:16
	v_and_b32_e32 v119, 0xe0, v0
	s_waitcnt vmcnt(24)
	v_wmma_f32_16x16x16_f16 v[135:142], v[57:64], v[127:134], v[135:142]
	s_clause 0x1
	global_load_b128 v[57:60], v[147:148], off
	global_load_b128 v[61:64], v[147:148], off offset:16
	s_waitcnt vmcnt(24)
	v_wmma_f32_16x16x16_f16 v[111:118], v[71:78], v[127:134], v[111:118]
	ds_load_b128 v[71:74], v149 offset:4096
	ds_load_b128 v[75:78], v149 offset:5120
	v_add_nc_u32_e32 v128, s12, v119
	ds_load_b128 v[119:122], v149 offset:6144
	ds_load_b128 v[123:126], v149 offset:7168
	v_mbcnt_lo_u32_b32 v127, -1, 0
	s_waitcnt vmcnt(0) lgkmcnt(0)
	s_barrier
	v_or_b32_e32 v128, v128, v66
	buffer_gl0_inv
	v_xor_b32_e32 v129, 16, v127
	v_or_b32_e32 v130, 4, v128
	v_or_b32_e32 v131, 6, v128
	s_delay_alu instid0(VALU_DEP_3) | instskip(SKIP_4) | instid1(VALU_DEP_4)
	v_cmp_gt_i32_e32 vcc_lo, 32, v129
	v_or_b32_e32 v132, 8, v128
	v_or_b32_e32 v133, 10, v128
	v_cmp_gt_i32_e64 s3, s24, v130
	v_cmp_gt_i32_e64 s4, s24, v131
	v_cmp_gt_i32_e64 s5, s24, v132
	v_wmma_f32_16x16x16_f16 v[135:142], v[79:86], v[71:78], v[135:142]
	v_wmma_f32_16x16x16_f16 v[111:118], v[87:94], v[71:78], v[111:118]
	v_or_b32_e32 v79, 12, v128
	v_or_b32_e32 v80, 14, v128
	v_cmp_gt_i32_e64 s6, s24, v133
	v_wmma_f32_16x16x16_f16 v[135:142], v[95:102], v[119:126], v[135:142]
	v_wmma_f32_16x16x16_f16 v[111:118], v[103:110], v[119:126], v[111:118]
	v_cndmask_b32_e32 v127, v127, v129, vcc_lo
	v_or_b32_e32 v129, 2, v128
	v_cmp_gt_i32_e32 vcc_lo, s24, v128
	s_delay_alu instid0(VALU_DEP_4) | instskip(SKIP_1) | instid1(VALU_DEP_4)
	v_dual_mul_f32 v87, s19, v136 :: v_dual_mul_f32 v94, s19, v113
	v_mul_f32_e32 v88, s19, v135
	v_cmp_gt_i32_e64 s2, s24, v129
	v_mul_f32_e32 v78, s19, v138
	v_mul_f32_e32 v86, s19, v137
	;; [unrolled: 1-line block ×3, first 2 shown]
	v_cndmask_b32_e32 v88, 0xff7fffff, v88, vcc_lo
	v_cndmask_b32_e64 v87, 0xff7fffff, v87, s2
	v_dual_mul_f32 v77, s19, v139 :: v_dual_mul_f32 v90, s19, v117
	v_cndmask_b32_e64 v86, 0xff7fffff, v86, s3
	v_cndmask_b32_e64 v78, 0xff7fffff, v78, s4
	s_delay_alu instid0(VALU_DEP_4)
	v_max3_f32 v87, v88, 0xff7fffff, v87
	v_or_b32_e32 v81, 16, v128
	v_or_b32_e32 v82, 18, v128
	v_dual_mul_f32 v74, s19, v142 :: v_dual_mul_f32 v75, s19, v141
	v_mul_f32_e32 v96, s19, v111
	v_cndmask_b32_e64 v77, 0xff7fffff, v77, s5
	v_cndmask_b32_e64 v76, 0xff7fffff, v76, s6
	v_max3_f32 v78, v87, v86, v78
	v_cmp_gt_i32_e64 s7, s24, v79
	v_cmp_gt_i32_e64 s8, s24, v80
	v_or_b32_e32 v83, 20, v128
	v_or_b32_e32 v84, 22, v128
	v_mul_f32_e32 v95, s19, v112
	v_cndmask_b32_e64 v75, 0xff7fffff, v75, s7
	v_cndmask_b32_e64 v74, 0xff7fffff, v74, s8
	v_max3_f32 v76, v78, v77, v76
	v_cmp_gt_i32_e64 s9, s24, v81
	v_cmp_gt_i32_e64 s10, s24, v82
	v_or_b32_e32 v85, 24, v128
	v_or_b32_e32 v71, 26, v128
	;; [unrolled: 8-line block ×3, first 2 shown]
	v_dual_mul_f32 v91, s19, v116 :: v_dual_mul_f32 v92, s19, v115
	v_cndmask_b32_e64 v75, 0xff7fffff, v94, s11
	v_cndmask_b32_e64 v76, 0xff7fffff, v93, s12
	v_max3_f32 v74, v74, v77, v78
	v_cmp_gt_i32_e64 s13, s24, v85
	v_cmp_gt_i32_e64 s15, s24, v71
	v_mul_f32_e32 v89, s19, v118
	v_cmp_gt_i32_e64 s16, s24, v72
	v_max3_f32 v74, v74, v75, v76
	v_cndmask_b32_e64 v77, 0xff7fffff, v92, s13
	v_cndmask_b32_e64 v71, 0xff7fffff, v91, s15
	v_cmp_gt_i32_e64 s17, s24, v73
	v_cndmask_b32_e64 v72, 0xff7fffff, v90, s16
	s_delay_alu instid0(VALU_DEP_3) | instskip(SKIP_1) | instid1(VALU_DEP_4)
	v_max3_f32 v71, v74, v77, v71
	v_lshlrev_b32_e32 v74, 2, v127
	v_cndmask_b32_e64 v73, 0xff7fffff, v89, s17
	s_delay_alu instid0(VALU_DEP_1) | instskip(SKIP_3) | instid1(VALU_DEP_1)
	v_max3_f32 v71, v71, v72, v73
	ds_bpermute_b32 v72, v74, v71
	s_waitcnt lgkmcnt(0)
	v_max_f32_e32 v72, v72, v72
	v_max_f32_e32 v71, v71, v72
	s_delay_alu instid0(VALU_DEP_1) | instskip(SKIP_4) | instid1(VALU_DEP_4)
	v_fma_f32 v72, s19, v135, -v71
	v_fma_f32 v73, s19, v136, -v71
	;; [unrolled: 1-line block ×5, first 2 shown]
	v_dual_mul_f32 v72, 0x3fb8aa3b, v72 :: v_dual_mul_f32 v73, 0x3fb8aa3b, v73
	s_delay_alu instid0(VALU_DEP_3) | instskip(SKIP_1) | instid1(VALU_DEP_3)
	v_dual_mul_f32 v75, 0x3fb8aa3b, v75 :: v_dual_mul_f32 v76, 0x3fb8aa3b, v76
	v_fma_f32 v80, s19, v141, -v71
	v_exp_f32_e32 v72, v72
	s_delay_alu instid0(VALU_DEP_3) | instskip(NEXT) | instid1(VALU_DEP_2)
	v_exp_f32_e32 v73, v73
	v_exp_f32_e32 v75, v75
	;; [unrolled: 1-line block ×3, first 2 shown]
	v_mul_f32_e32 v82, 0x3fb8aa3b, v80
	s_delay_alu instid0(VALU_DEP_1) | instskip(SKIP_4) | instid1(TRANS32_DEP_3)
	v_exp_f32_e32 v84, v82
	v_cndmask_b32_e32 v79, 0, v72, vcc_lo
	v_fma_f32 v72, s19, v140, -v71
	v_mul_f32_e32 v77, 0x3fb8aa3b, v77
	v_cndmask_b32_e64 v78, 0, v73, s2
	v_cndmask_b32_e64 v81, 0, v75, s3
	s_delay_alu instid0(VALU_DEP_4) | instskip(NEXT) | instid1(VALU_DEP_4)
	v_dual_add_f32 v73, 0, v79 :: v_dual_mul_f32 v72, 0x3fb8aa3b, v72
	v_exp_f32_e32 v77, v77
	v_cndmask_b32_e64 v80, 0, v76, s4
	s_delay_alu instid0(TRANS32_DEP_2) | instskip(NEXT) | instid1(VALU_DEP_3)
	v_cndmask_b32_e64 v85, 0, v84, s7
	v_add_f32_e32 v73, v73, v78
	v_exp_f32_e32 v72, v72
	s_mov_b32 s2, exec_lo
	s_delay_alu instid0(VALU_DEP_1) | instskip(SKIP_4) | instid1(VALU_DEP_2)
	v_add_f32_e32 v73, v73, v81
	s_waitcnt_depctr 0xfff
	v_cndmask_b32_e64 v83, 0, v77, s5
	v_add_f32_e32 v73, v73, v80
	v_cndmask_b32_e64 v82, 0, v72, s6
	v_add_f32_e32 v72, v73, v83
	s_delay_alu instid0(VALU_DEP_1) | instskip(NEXT) | instid1(VALU_DEP_1)
	v_add_f32_e32 v72, v72, v82
	v_add_f32_e32 v72, v72, v85
	v_fma_f32 v76, s19, v111, -v71
	v_fma_f32 v75, s19, v142, -v71
	;; [unrolled: 1-line block ×5, first 2 shown]
	s_delay_alu instid0(VALU_DEP_4) | instskip(NEXT) | instid1(VALU_DEP_3)
	v_dual_mul_f32 v76, 0x3fb8aa3b, v76 :: v_dual_mul_f32 v75, 0x3fb8aa3b, v75
	v_mul_f32_e32 v86, 0x3fb8aa3b, v86
	s_delay_alu instid0(VALU_DEP_2) | instskip(NEXT) | instid1(VALU_DEP_2)
	v_exp_f32_e32 v76, v76
	v_exp_f32_e32 v75, v75
	s_delay_alu instid0(VALU_DEP_1) | instskip(NEXT) | instid1(TRANS32_DEP_3)
	v_exp_f32_e32 v88, v86
	v_cndmask_b32_e64 v87, 0, v76, s9
	v_fma_f32 v76, s19, v116, -v71
	v_mul_f32_e32 v77, 0x3fb8aa3b, v77
	s_waitcnt_depctr 0xfff
	v_cndmask_b32_e64 v84, 0, v75, s8
	v_fma_f32 v75, s19, v115, -v71
	v_cndmask_b32_e64 v88, 0, v88, s12
	v_mul_f32_e32 v76, 0x3fb8aa3b, v76
	v_exp_f32_e32 v77, v77
	v_add_f32_e32 v72, v72, v84
	s_delay_alu instid0(VALU_DEP_2) | instskip(NEXT) | instid1(VALU_DEP_1)
	v_exp_f32_e32 v76, v76
	v_add_f32_e32 v72, v72, v87
	s_waitcnt_depctr 0xfff
	v_cndmask_b32_e64 v86, 0, v77, s10
	v_mul_f32_e32 v73, 0x3fb8aa3b, v73
	v_fma_f32 v77, s19, v117, -v71
	v_cndmask_b32_e64 v90, 0, v76, s15
	s_delay_alu instid0(VALU_DEP_4) | instskip(NEXT) | instid1(VALU_DEP_4)
	v_add_f32_e32 v72, v72, v86
	v_exp_f32_e32 v73, v73
	s_waitcnt_depctr 0xfff
	v_cndmask_b32_e64 v89, 0, v73, s11
	s_delay_alu instid0(VALU_DEP_1) | instskip(NEXT) | instid1(VALU_DEP_1)
	v_dual_mul_f32 v75, 0x3fb8aa3b, v75 :: v_dual_add_f32 v72, v72, v89
	v_exp_f32_e32 v75, v75
	v_mul_f32_e32 v73, 0x3fb8aa3b, v77
	v_fma_f32 v77, s19, v118, -v71
	s_delay_alu instid0(VALU_DEP_3) | instskip(NEXT) | instid1(VALU_DEP_3)
	v_add_f32_e32 v72, v72, v88
	v_exp_f32_e32 v73, v73
	s_waitcnt_depctr 0xfff
	v_cndmask_b32_e64 v91, 0, v75, s13
	s_delay_alu instid0(VALU_DEP_1) | instskip(NEXT) | instid1(VALU_DEP_1)
	v_dual_mul_f32 v75, 0x3fb8aa3b, v77 :: v_dual_add_f32 v72, v72, v91
	v_exp_f32_e32 v75, v75
	v_cndmask_b32_e64 v93, 0, v73, s16
	s_delay_alu instid0(VALU_DEP_2) | instskip(NEXT) | instid1(VALU_DEP_1)
	v_add_f32_e32 v72, v72, v90
	v_add_f32_e32 v72, v72, v93
	s_waitcnt_depctr 0xfff
	v_cndmask_b32_e64 v92, 0, v75, s17
	s_delay_alu instid0(VALU_DEP_1)
	v_add_f32_e32 v72, v72, v92
	ds_bpermute_b32 v73, v74, v72
	v_cmpx_gt_u32_e32 16, v70
	s_cbranch_execz .LBB1019_12
; %bb.11:
	v_mul_u32_u24_e32 v70, 0x44, v69
	s_waitcnt lgkmcnt(0)
	v_add_f32_e32 v72, v72, v73
	s_delay_alu instid0(VALU_DEP_2) | instskip(NEXT) | instid1(VALU_DEP_1)
	v_lshl_add_u32 v70, v68, 2, v70
	v_add_nc_u32_e32 v70, 0x4000, v70
	ds_store_2addr_b32 v70, v71, v72 offset1:136
.LBB1019_12:
	s_or_b32 exec_lo, exec_lo, s2
	v_lshlrev_b32_e32 v70, 2, v68
	s_load_b32 s34, s[0:1], 0x94
	s_waitcnt lgkmcnt(0)
	s_barrier
	buffer_gl0_inv
	v_add_nc_u32_e32 v98, 0x4000, v70
	v_cmp_eq_u32_e32 vcc_lo, 1, v69
	v_cmp_eq_u32_e64 s2, 2, v69
	v_cmp_eq_u32_e64 s3, 3, v69
	;; [unrolled: 1-line block ×3, first 2 shown]
	ds_load_2addr_b32 v[70:71], v98 offset1:17
	ds_load_2addr_b32 v[72:73], v98 offset0:34 offset1:51
	ds_load_2addr_b32 v[74:75], v98 offset0:68 offset1:85
	ds_load_2addr_b32 v[94:95], v98 offset0:102 offset1:119
	v_cmp_eq_u32_e64 s5, 5, v69
	v_cmp_eq_u32_e64 s6, 7, v69
	s_waitcnt lgkmcnt(3)
	v_max3_f32 v76, v70, 0xff7fffff, v71
	s_waitcnt lgkmcnt(2)
	s_delay_alu instid0(VALU_DEP_1) | instskip(SKIP_1) | instid1(VALU_DEP_1)
	v_max3_f32 v76, v76, v72, v73
	s_waitcnt lgkmcnt(1)
	v_max3_f32 v76, v76, v74, v75
	s_waitcnt lgkmcnt(0)
	s_delay_alu instid0(VALU_DEP_1) | instskip(NEXT) | instid1(VALU_DEP_1)
	v_max3_f32 v76, v76, v94, v95
	v_sub_f32_e32 v77, v71, v76
	ds_load_2addr_b32 v[96:97], v98 offset0:136 offset1:153
	v_sub_f32_e32 v74, v74, v76
	v_sub_f32_e32 v70, v70, v76
	;; [unrolled: 1-line block ×3, first 2 shown]
	v_dual_sub_f32 v72, v72, v76 :: v_dual_mul_f32 v77, 0x3fb8aa3b, v77
	s_delay_alu instid0(VALU_DEP_4) | instskip(NEXT) | instid1(VALU_DEP_4)
	v_mul_f32_e32 v103, 0x3fb8aa3b, v74
	v_mul_f32_e32 v99, 0x3fb8aa3b, v70
	ds_load_2addr_b32 v[70:71], v98 offset0:170 offset1:187
	v_dual_mul_f32 v101, 0x3fb8aa3b, v72 :: v_dual_mul_f32 v94, 0x3fb8aa3b, v94
	v_exp_f32_e32 v102, v77
	v_exp_f32_e32 v99, v99
	s_delay_alu instid0(VALU_DEP_1) | instskip(NEXT) | instid1(VALU_DEP_1)
	v_exp_f32_e32 v101, v101
	v_exp_f32_e32 v94, v94
	s_waitcnt lgkmcnt(1)
	s_delay_alu instid0(TRANS32_DEP_3)
	v_fma_f32 v77, v99, v96, 0
	v_sub_f32_e32 v100, v73, v76
	ds_load_2addr_b32 v[72:73], v98 offset0:204 offset1:221
	v_fmac_f32_e32 v77, v102, v97
	v_exp_f32_e32 v97, v103
	s_waitcnt lgkmcnt(1)
	s_delay_alu instid0(VALU_DEP_1)
	v_dual_fmac_f32 v77, v101, v70 :: v_dual_sub_f32 v96, v75, v76
	ds_load_2addr_b32 v[74:75], v98 offset0:238 offset1:255
	v_sub_f32_e32 v70, v95, v76
	s_waitcnt lgkmcnt(0)
	s_barrier
	v_mul_f32_e32 v96, 0x3fb8aa3b, v96
	buffer_gl0_inv
	v_exp_f32_e32 v95, v96
	v_mul_f32_e32 v100, 0x3fb8aa3b, v100
	s_delay_alu instid0(VALU_DEP_1) | instskip(SKIP_3) | instid1(VALU_DEP_2)
	v_exp_f32_e32 v100, v100
	s_waitcnt_depctr 0xfff
	v_dual_fmac_f32 v77, v100, v71 :: v_dual_mul_f32 v70, 0x3fb8aa3b, v70
	v_cndmask_b32_e32 v71, v99, v102, vcc_lo
	v_fmac_f32_e32 v77, v97, v72
	s_delay_alu instid0(VALU_DEP_3) | instskip(NEXT) | instid1(VALU_DEP_1)
	v_exp_f32_e32 v96, v70
	v_fmac_f32_e32 v77, v95, v73
	s_delay_alu instid0(VALU_DEP_1) | instskip(SKIP_2) | instid1(VALU_DEP_1)
	v_fmac_f32_e32 v77, v94, v74
	s_waitcnt_depctr 0xfff
	v_fmac_f32_e32 v77, v96, v75
	v_add_f32_e32 v74, 0x358637bd, v77
	s_delay_alu instid0(VALU_DEP_1) | instskip(SKIP_1) | instid1(VALU_DEP_2)
	v_div_scale_f32 v98, null, v74, v74, 1.0
	v_div_scale_f32 v99, vcc_lo, 1.0, v74, 1.0
	v_rcp_f32_e32 v103, v98
	s_waitcnt_depctr 0xfff
	v_fma_f32 v70, -v98, v103, 1.0
	s_delay_alu instid0(VALU_DEP_1) | instskip(SKIP_2) | instid1(VALU_DEP_2)
	v_fmac_f32_e32 v103, v70, v103
	v_cndmask_b32_e64 v70, v71, v101, s2
	v_cmp_eq_u32_e64 s2, 6, v69
	v_cndmask_b32_e64 v71, v70, v100, s3
	s_delay_alu instid0(VALU_DEP_4) | instskip(NEXT) | instid1(VALU_DEP_2)
	v_dual_mul_f32 v101, v99, v103 :: v_dual_lshlrev_b32 v70, 2, v66
	v_cndmask_b32_e64 v71, v71, v97, s4
	s_delay_alu instid0(VALU_DEP_2) | instskip(NEXT) | instid1(VALU_DEP_3)
	v_or_b32_e32 v72, 1, v70
	v_fma_f32 v100, -v98, v101, v99
	v_cmp_eq_u32_e64 s3, 1, v70
	v_cmp_eq_u32_e64 s4, 2, v70
	v_cndmask_b32_e64 v95, v71, v95, s5
	v_or_b32_e32 v71, 3, v70
	v_fmac_f32_e32 v101, v100, v103
	v_cmp_eq_u32_e64 s8, 1, v72
	v_cmp_eq_u32_e64 s11, 2, v72
	v_cndmask_b32_e64 v94, v95, v94, s2
	v_cmp_eq_u32_e64 s10, 1, v71
	v_fma_f32 v97, -v98, v101, v99
	v_cmp_eq_u32_e64 s15, 2, v71
	v_cmp_eq_u32_e64 s12, 3, v72
	v_cndmask_b32_e64 v94, v94, v96, s6
	v_cmp_eq_u32_e64 s17, 3, v71
	v_div_fmas_f32 v95, v97, v103, v101
	v_cmp_eq_u32_e32 vcc_lo, 3, v70
	v_cmp_eq_u32_e64 s2, 4, v70
	v_cmp_eq_u32_e64 s18, 4, v72
	;; [unrolled: 1-line block ×3, first 2 shown]
	v_div_fixup_f32 v95, v95, v74, 1.0
	v_lshlrev_b32_e32 v73, 6, v68
	v_cmp_eq_u32_e64 s5, 5, v70
	v_cmp_eq_u32_e64 s19, 5, v72
	;; [unrolled: 1-line block ×3, first 2 shown]
	v_mul_f32_e32 v102, v94, v95
	v_lshl_or_b32 v75, v69, 11, v73
	v_or_b32_e32 v69, 2, v70
	v_cmp_eq_u32_e64 s24, 6, v72
	v_cmp_eq_u32_e64 s26, 6, v71
	v_fma_mixlo_f16 v94, v102, v79, 0
	v_fma_mixlo_f16 v95, v102, v81, 0
	;; [unrolled: 1-line block ×8, first 2 shown]
	v_lshl_or_b32 v74, v66, 4, v75
	v_fma_mixhi_f16 v94, v102, v78, 0
	v_fma_mixhi_f16 v95, v102, v80, 0
	;; [unrolled: 1-line block ×8, first 2 shown]
	ds_store_b128 v74, v[94:97]
	ds_store_b128 v74, v[98:101] offset:1024
	s_waitcnt lgkmcnt(0)
	s_barrier
	buffer_gl0_inv
	ds_load_b128 v[78:81], v75
	ds_load_b128 v[82:85], v75 offset:16
	ds_load_b128 v[86:89], v75 offset:1024
	;; [unrolled: 1-line block ×3, first 2 shown]
	v_cmp_eq_u32_e64 s9, 1, v69
	v_cmp_eq_u32_e64 s13, 2, v69
	;; [unrolled: 1-line block ×11, first 2 shown]
	s_waitcnt lgkmcnt(3)
	v_lshrrev_b32_e32 v94, 16, v78
	s_waitcnt lgkmcnt(2)
	v_lshrrev_b32_e32 v98, 16, v82
	;; [unrolled: 2-line block ×4, first 2 shown]
	v_lshrrev_b32_e32 v95, 16, v79
	v_cndmask_b32_e64 v110, v78, v94, s3
	v_cndmask_b32_e64 v111, v82, v98, s3
	;; [unrolled: 1-line block ×8, first 2 shown]
	v_lshrrev_b32_e32 v99, 16, v83
	v_cndmask_b32_e64 v94, v86, v102, s3
	v_cndmask_b32_e64 v98, v90, v106, s3
	;; [unrolled: 1-line block ×15, first 2 shown]
	v_lshrrev_b32_e32 v103, 16, v87
	v_lshrrev_b32_e32 v107, 16, v91
	v_cndmask_b32_e64 v113, v115, v83, s13
	v_cndmask_b32_e64 v82, v94, v87, s4
	;; [unrolled: 1-line block ×7, first 2 shown]
	v_cndmask_b32_e32 v90, v102, v95, vcc_lo
	v_cndmask_b32_e32 v102, v106, v99, vcc_lo
	v_cndmask_b32_e64 v106, v110, v95, s12
	v_cndmask_b32_e64 v110, v111, v99, s12
	;; [unrolled: 1-line block ×4, first 2 shown]
	v_lshrrev_b32_e32 v96, 16, v80
	v_lshrrev_b32_e32 v100, 16, v84
	v_cndmask_b32_e64 v111, v112, v95, s16
	v_cndmask_b32_e64 v112, v113, v99, s16
	v_cndmask_b32_e32 v82, v82, v103, vcc_lo
	v_cndmask_b32_e32 v83, v83, v107, vcc_lo
	v_cndmask_b32_e64 v94, v94, v103, s12
	v_cndmask_b32_e64 v90, v90, v80, s2
	;; [unrolled: 1-line block ×7, first 2 shown]
	v_lshrrev_b32_e32 v104, 16, v88
	v_cndmask_b32_e64 v106, v111, v80, s20
	v_cndmask_b32_e64 v110, v112, v84, s20
	;; [unrolled: 1-line block ×11, first 2 shown]
	v_lshrrev_b32_e32 v97, 16, v81
	v_lshrrev_b32_e32 v101, 16, v85
	v_cndmask_b32_e64 v99, v106, v96, s22
	v_cndmask_b32_e64 v102, v110, v100, s22
	;; [unrolled: 1-line block ×7, first 2 shown]
	v_lshrrev_b32_e32 v105, 16, v89
	v_cndmask_b32_e64 v80, v80, v104, s5
	v_cndmask_b32_e64 v84, v84, v81, s6
	v_cndmask_b32_e64 v90, v90, v85, s6
	v_cndmask_b32_e64 v96, v99, v81, s25
	v_cndmask_b32_e64 v99, v102, v85, s25
	v_cndmask_b32_e64 v81, v83, v89, s24
	v_cndmask_b32_e64 v85, v94, v97, s29
	v_cndmask_b32_e64 v78, v78, v97, s28
	v_cndmask_b32_e64 v79, v79, v101, s28
	v_cndmask_b32_e64 v95, v95, v101, s29
	v_cndmask_b32_e64 v80, v80, v89, s6
	v_cndmask_b32_e64 v83, v84, v97, s7
	v_cndmask_b32_e64 v84, v90, v101, s7
	v_cndmask_b32_e64 v90, v96, v97, s27
	v_cndmask_b32_e64 v94, v99, v101, s27
	v_cndmask_b32_e64 v97, v81, v105, s29
	v_perm_b32 v81, v79, v78, 0x5040100
	v_perm_b32 v79, v95, v85, 0x5040100
	v_cndmask_b32_e64 v78, v119, v91, s13
	v_cndmask_b32_e64 v85, v117, v91, s11
	;; [unrolled: 1-line block ×3, first 2 shown]
	v_perm_b32 v80, v94, v90, 0x5040100
	v_cndmask_b32_e64 v90, v98, v103, s16
	v_cndmask_b32_e64 v86, v86, v103, s17
	;; [unrolled: 1-line block ×5, first 2 shown]
	v_lshrrev_b32_e32 v108, 16, v92
	v_cndmask_b32_e64 v90, v90, v88, s20
	v_cndmask_b32_e64 v86, v86, v88, s21
	v_cndmask_b32_e64 v87, v87, v92, s21
	v_cndmask_b32_e64 v78, v78, v92, s20
	v_cndmask_b32_e64 v85, v85, v92, s18
	v_cndmask_b32_e64 v82, v82, v108, s5
	v_cndmask_b32_e64 v88, v90, v104, s22
	v_cndmask_b32_e64 v86, v86, v104, s23
	v_cndmask_b32_e64 v87, v87, v108, s23
	v_cndmask_b32_e64 v78, v78, v108, s22
	v_cndmask_b32_e64 v85, v85, v108, s19
	v_lshrrev_b32_e32 v109, 16, v93
	v_cndmask_b32_e64 v82, v82, v93, s6
	v_cndmask_b32_e64 v88, v88, v89, s25
	;; [unrolled: 1-line block ×12, first 2 shown]
	v_perm_b32 v78, v84, v83, 0x5040100
	v_perm_b32 v85, v87, v86, 0x5040100
	;; [unrolled: 1-line block ×5, first 2 shown]
	s_mul_i32 s7, s33, 10
	s_mov_b32 s2, exec_lo
	ds_store_b128 v74, v[78:81]
	ds_store_b128 v74, v[82:85] offset:1024
	v_cmpx_gt_u32_e32 10, v0
	s_cbranch_execz .LBB1019_14
; %bb.13:
	s_mul_i32 s3, s7, s30
	s_load_b128 s[8:11], s[0:1], 0x58
	v_add3_u32 v68, s3, s31, v68
	s_delay_alu instid0(VALU_DEP_1) | instskip(NEXT) | instid1(VALU_DEP_1)
	v_mad_u64_u32 v[78:79], null, v68, s34, s[14:15]
	v_ashrrev_i32_e32 v79, 31, v78
	s_delay_alu instid0(VALU_DEP_1) | instskip(SKIP_1) | instid1(VALU_DEP_1)
	v_lshlrev_b64 v[78:79], 2, v[78:79]
	s_waitcnt lgkmcnt(0)
	v_add_co_u32 v80, vcc_lo, s10, v78
	s_delay_alu instid0(VALU_DEP_2)
	v_add_co_ci_u32_e32 v81, vcc_lo, s11, v79, vcc_lo
	v_add_co_u32 v78, vcc_lo, s8, v78
	v_add_co_ci_u32_e32 v79, vcc_lo, s9, v79, vcc_lo
	global_store_b32 v[80:81], v76, off
	global_store_b32 v[78:79], v77, off
.LBB1019_14:
	s_or_b32 exec_lo, exec_lo, s2
	s_waitcnt lgkmcnt(0)
	s_waitcnt_vscnt null, 0x0
	s_barrier
	buffer_gl0_inv
	ds_load_b128 v[84:87], v73
	ds_load_b128 v[88:91], v73 offset:16
	ds_load_b128 v[96:99], v73 offset:2064
	;; [unrolled: 1-line block ×5, first 2 shown]
	v_cmp_eq_u32_e32 vcc_lo, 1, v70
	v_mov_b32_e32 v76, 0
	ds_load_b128 v[112:115], v73 offset:6160
	ds_load_b128 v[108:111], v73 offset:6144
	;; [unrolled: 1-line block ×4, first 2 shown]
	v_cmp_eq_u32_e64 s3, 1, v69
	v_cmp_eq_u32_e64 s2, 1, v72
	;; [unrolled: 1-line block ×3, first 2 shown]
	v_mov_b32_e32 v77, v76
	v_mov_b32_e32 v78, v76
	;; [unrolled: 1-line block ×7, first 2 shown]
	v_cmp_eq_u32_e64 s5, 3, v72
	v_cmp_eq_u32_e64 s6, 7, v72
	s_waitcnt lgkmcnt(8)
	s_delay_alu instid0(VALU_DEP_3)
	v_wmma_f32_16x16x16_f16 v[76:83], v[49:56], v[84:91], v[76:83]
	ds_load_b128 v[53:56], v73 offset:10256
	ds_load_b128 v[49:52], v73 offset:10240
	s_waitcnt lgkmcnt(8)
	v_wmma_f32_16x16x16_f16 v[76:83], v[41:48], v[92:99], v[76:83]
	ds_load_b128 v[45:48], v73 offset:12304
	ds_load_b128 v[41:44], v73 offset:12288
	s_waitcnt lgkmcnt(8)
	;; [unrolled: 4-line block ×3, first 2 shown]
	s_barrier
	buffer_gl0_inv
	v_wmma_f32_16x16x16_f16 v[76:83], v[1:8], v[108:115], v[76:83]
	s_delay_alu instid0(VALU_DEP_1) | instskip(NEXT) | instid1(VALU_DEP_1)
	v_wmma_f32_16x16x16_f16 v[76:83], v[9:16], v[116:123], v[76:83]
	v_wmma_f32_16x16x16_f16 v[76:83], v[17:24], v[49:56], v[76:83]
	s_delay_alu instid0(VALU_DEP_1) | instskip(NEXT) | instid1(VALU_DEP_1)
	v_wmma_f32_16x16x16_f16 v[76:83], v[25:32], v[41:48], v[76:83]
	v_wmma_f32_16x16x16_f16 v[76:83], v[57:64], v[33:40], v[76:83]
	s_delay_alu instid0(VALU_DEP_1) | instskip(NEXT) | instid1(VALU_DEP_2)
	v_cvt_f16_f32_e32 v1, v76
	v_cvt_f16_f32_e32 v2, v77
	s_delay_alu instid0(VALU_DEP_3) | instskip(NEXT) | instid1(VALU_DEP_4)
	v_cvt_f16_f32_e32 v3, v78
	v_cvt_f16_f32_e32 v4, v79
	;; [unrolled: 1-line block ×6, first 2 shown]
	v_pack_b32_f16 v1, v1, v2
	v_pack_b32_f16 v2, v3, v4
	;; [unrolled: 1-line block ×3, first 2 shown]
	s_delay_alu instid0(VALU_DEP_4)
	v_pack_b32_f16 v4, v7, v8
	ds_store_b128 v74, v[1:4]
	s_waitcnt lgkmcnt(0)
	s_barrier
	buffer_gl0_inv
	ds_load_b128 v[1:4], v75
	ds_load_b128 v[5:8], v75 offset:16
	s_waitcnt lgkmcnt(1)
	v_lshrrev_b32_e32 v9, 16, v1
	s_waitcnt lgkmcnt(0)
	v_lshrrev_b32_e32 v13, 16, v5
	v_lshrrev_b32_e32 v10, 16, v2
	v_lshrrev_b32_e32 v14, 16, v6
	v_lshrrev_b32_e32 v11, 16, v3
	v_cndmask_b32_e32 v17, v1, v9, vcc_lo
	v_cndmask_b32_e32 v18, v5, v13, vcc_lo
	v_cndmask_b32_e64 v21, v1, v9, s3
	v_cmp_eq_u32_e32 vcc_lo, 1, v71
	v_cndmask_b32_e64 v22, v5, v13, s3
	v_cmp_eq_u32_e64 s3, 2, v70
	v_cndmask_b32_e64 v19, v1, v9, s2
	v_cndmask_b32_e64 v20, v5, v13, s2
	v_cndmask_b32_e32 v1, v1, v9, vcc_lo
	v_cmp_eq_u32_e64 s2, 2, v71
	v_cndmask_b32_e32 v5, v5, v13, vcc_lo
	v_cndmask_b32_e64 v9, v17, v2, s3
	v_cmp_eq_u32_e32 vcc_lo, 3, v70
	v_cndmask_b32_e64 v13, v18, v6, s3
	v_cmp_eq_u32_e64 s3, 2, v69
	v_cndmask_b32_e64 v17, v19, v2, s4
	v_cndmask_b32_e64 v18, v20, v6, s4
	v_cmp_eq_u32_e64 s4, 3, v69
	v_cndmask_b32_e64 v1, v1, v2, s2
	v_cndmask_b32_e64 v19, v21, v2, s3
	;; [unrolled: 1-line block ×4, first 2 shown]
	v_cndmask_b32_e32 v5, v9, v10, vcc_lo
	v_cndmask_b32_e32 v6, v13, v14, vcc_lo
	v_cmp_eq_u32_e32 vcc_lo, 3, v71
	v_cndmask_b32_e64 v9, v17, v10, s5
	v_cndmask_b32_e64 v13, v18, v14, s5
	;; [unrolled: 1-line block ×3, first 2 shown]
	v_cmp_eq_u32_e64 s3, 4, v70
	v_cndmask_b32_e32 v1, v1, v10, vcc_lo
	v_cndmask_b32_e32 v2, v2, v14, vcc_lo
	v_cmp_eq_u32_e32 vcc_lo, 4, v72
	v_lshrrev_b32_e32 v15, 16, v7
	v_lshrrev_b32_e32 v16, 16, v8
	v_cndmask_b32_e64 v17, v19, v10, s4
	v_cmp_eq_u32_e64 s2, 4, v71
	v_cndmask_b32_e64 v5, v5, v3, s3
	v_cndmask_b32_e64 v6, v6, v7, s3
	v_cndmask_b32_e32 v9, v9, v3, vcc_lo
	v_cmp_eq_u32_e64 s3, 5, v72
	v_cndmask_b32_e32 v10, v13, v7, vcc_lo
	v_cmp_eq_u32_e32 vcc_lo, 4, v69
	v_cmp_eq_u32_e64 s4, 5, v70
	v_cndmask_b32_e64 v2, v2, v7, s2
	v_cndmask_b32_e64 v9, v9, v11, s3
	;; [unrolled: 1-line block ×3, first 2 shown]
	v_cndmask_b32_e32 v13, v17, v3, vcc_lo
	v_cmp_eq_u32_e64 s3, 5, v69
	v_cndmask_b32_e32 v14, v18, v7, vcc_lo
	v_cndmask_b32_e64 v1, v1, v3, s2
	v_cmp_eq_u32_e32 vcc_lo, 5, v71
	v_lshrrev_b32_e32 v12, 16, v4
	v_cndmask_b32_e64 v13, v13, v11, s3
	v_cndmask_b32_e64 v3, v14, v15, s3
	v_cmp_eq_u32_e64 s3, 6, v71
	v_cndmask_b32_e32 v1, v1, v11, vcc_lo
	v_cndmask_b32_e64 v5, v5, v11, s4
	v_cmp_eq_u32_e64 s5, 6, v70
	v_cndmask_b32_e64 v6, v6, v15, s4
	v_cmp_eq_u32_e64 s4, 6, v72
	v_cmp_eq_u32_e64 s2, 6, v69
	v_cndmask_b32_e64 v1, v1, v4, s3
	v_cndmask_b32_e32 v2, v2, v15, vcc_lo
	v_cmp_eq_u32_e32 vcc_lo, 7, v71
	v_cndmask_b32_e64 v5, v5, v4, s5
	v_cndmask_b32_e64 v9, v9, v4, s4
	;; [unrolled: 1-line block ×3, first 2 shown]
	v_cmp_eq_u32_e64 s5, 7, v70
	v_cndmask_b32_e32 v1, v1, v12, vcc_lo
	v_cndmask_b32_e64 v7, v13, v4, s2
	v_cndmask_b32_e64 v3, v3, v8, s2
	;; [unrolled: 1-line block ×3, first 2 shown]
	v_cmp_eq_u32_e64 s2, 7, v69
	v_cndmask_b32_e64 v4, v10, v8, s4
	v_cndmask_b32_e64 v5, v5, v12, s5
	;; [unrolled: 1-line block ×3, first 2 shown]
	v_cndmask_b32_e32 v2, v2, v16, vcc_lo
	v_cndmask_b32_e64 v7, v7, v12, s2
	v_cndmask_b32_e64 v3, v3, v16, s2
	;; [unrolled: 1-line block ×4, first 2 shown]
	v_perm_b32 v4, v2, v1, 0x5040100
	s_mov_b32 s2, exec_lo
	v_perm_b32 v3, v3, v7, 0x5040100
	v_perm_b32 v2, v8, v9, 0x5040100
	;; [unrolled: 1-line block ×3, first 2 shown]
	ds_store_b128 v74, v[1:4]
	s_waitcnt lgkmcnt(0)
	s_barrier
	buffer_gl0_inv
	v_cmpx_gt_u32_e32 32, v0
	s_cbranch_execz .LBB1019_2
; %bb.15:
	s_load_b64 s[0:1], s[0:1], 0x68
	s_lshl_b32 s4, s34, 7
	v_or_b32_e32 v2, s31, v66
	s_mul_i32 s2, s4, s30
	v_lshlrev_b32_e32 v0, 10, v0
	s_mul_i32 s2, s2, s7
	v_lshlrev_b32_e32 v1, 4, v67
	s_ashr_i32 s3, s2, 31
	v_mul_lo_u32 v20, v2, s4
	s_lshl_b64 s[2:3], s[2:3], 1
	v_lshlrev_b32_e32 v3, 6, v66
	v_and_b32_e32 v0, 0x3800, v0
	s_delay_alu instid0(VALU_DEP_1) | instskip(NEXT) | instid1(VALU_DEP_4)
	v_or3_b32 v16, v0, v1, v3
	v_ashrrev_i32_e32 v21, 31, v20
	ds_load_b128 v[0:3], v16
	ds_load_b128 v[4:7], v16 offset:128
	s_waitcnt lgkmcnt(0)
	s_add_u32 s2, s0, s2
	s_addc_u32 s3, s1, s3
	s_lshl_b32 s0, s14, 7
	ds_load_b128 v[8:11], v16 offset:256
	ds_load_b128 v[12:15], v16 offset:384
	;; [unrolled: 1-line block ×3, first 2 shown]
	s_ashr_i32 s1, s0, 31
	s_delay_alu instid0(SALU_CYCLE_1) | instskip(NEXT) | instid1(SALU_CYCLE_1)
	s_lshl_b64 s[0:1], s[0:1], 1
	s_add_u32 s0, s2, s0
	s_addc_u32 s1, s3, s1
	s_lshl_b32 s2, s34, 8
	v_add_co_u32 v30, s0, s0, v65
	v_add_nc_u32_e32 v22, s2, v20
	v_lshlrev_b64 v[20:21], 1, v[20:21]
	v_add_co_ci_u32_e64 v31, null, s1, 0, s0
	s_delay_alu instid0(VALU_DEP_3) | instskip(SKIP_1) | instid1(VALU_DEP_4)
	v_add_nc_u32_e32 v24, s2, v22
	v_ashrrev_i32_e32 v23, 31, v22
	v_add_co_u32 v20, vcc_lo, v30, v20
	s_delay_alu instid0(VALU_DEP_4) | instskip(NEXT) | instid1(VALU_DEP_4)
	v_add_co_ci_u32_e32 v21, vcc_lo, v31, v21, vcc_lo
	v_add_nc_u32_e32 v26, s2, v24
	v_ashrrev_i32_e32 v25, 31, v24
	v_lshlrev_b64 v[22:23], 1, v[22:23]
	s_delay_alu instid0(VALU_DEP_3) | instskip(SKIP_1) | instid1(VALU_DEP_4)
	v_add_nc_u32_e32 v28, s2, v26
	v_ashrrev_i32_e32 v27, 31, v26
	v_lshlrev_b64 v[24:25], 1, v[24:25]
	s_delay_alu instid0(VALU_DEP_4) | instskip(NEXT) | instid1(VALU_DEP_4)
	v_add_co_u32 v22, vcc_lo, v30, v22
	v_ashrrev_i32_e32 v29, 31, v28
	s_delay_alu instid0(VALU_DEP_4) | instskip(SKIP_2) | instid1(VALU_DEP_4)
	v_lshlrev_b64 v[26:27], 1, v[26:27]
	v_add_co_ci_u32_e32 v23, vcc_lo, v31, v23, vcc_lo
	v_add_co_u32 v24, vcc_lo, v30, v24
	v_lshlrev_b64 v[28:29], 1, v[28:29]
	v_add_co_ci_u32_e32 v25, vcc_lo, v31, v25, vcc_lo
	v_add_co_u32 v26, vcc_lo, v30, v26
	v_add_co_ci_u32_e32 v27, vcc_lo, v31, v27, vcc_lo
	s_delay_alu instid0(VALU_DEP_4)
	v_add_co_u32 v28, vcc_lo, v30, v28
	v_add_co_ci_u32_e32 v29, vcc_lo, v31, v29, vcc_lo
	s_clause 0x1
	global_store_b128 v[20:21], v[0:3], off
	global_store_b128 v[22:23], v[4:7], off
	s_waitcnt lgkmcnt(2)
	global_store_b128 v[24:25], v[8:11], off
	s_waitcnt lgkmcnt(1)
	global_store_b128 v[26:27], v[12:15], off
	s_waitcnt lgkmcnt(0)
	global_store_b128 v[28:29], v[16:19], off
	s_nop 0
	s_sendmsg sendmsg(MSG_DEALLOC_VGPRS)
	s_endpgm
	.section	.rodata,"a",@progbits
	.p2align	6, 0x0
	.amdhsa_kernel _Z39paged_attention_ll4mi_QKV_mfma16_kernelIDF16_hLN4vllm18Fp8KVCacheDataTypeE1EhLi32ELi128ELi256ELb1ELi10EL8MFMAType1EEvPKT_PKT0_S8_ifPKiSA_SA_iPKfiiiPfSD_PS3_PT2_iSC_SC_
		.amdhsa_group_segment_fixed_size 17472
		.amdhsa_private_segment_fixed_size 0
		.amdhsa_kernarg_size 400
		.amdhsa_user_sgpr_count 13
		.amdhsa_user_sgpr_dispatch_ptr 0
		.amdhsa_user_sgpr_queue_ptr 0
		.amdhsa_user_sgpr_kernarg_segment_ptr 1
		.amdhsa_user_sgpr_dispatch_id 0
		.amdhsa_user_sgpr_private_segment_size 0
		.amdhsa_wavefront_size32 1
		.amdhsa_uses_dynamic_stack 0
		.amdhsa_enable_private_segment 0
		.amdhsa_system_sgpr_workgroup_id_x 1
		.amdhsa_system_sgpr_workgroup_id_y 1
		.amdhsa_system_sgpr_workgroup_id_z 1
		.amdhsa_system_sgpr_workgroup_info 0
		.amdhsa_system_vgpr_workitem_id 0
		.amdhsa_next_free_vgpr 150
		.amdhsa_next_free_sgpr 37
		.amdhsa_reserve_vcc 1
		.amdhsa_float_round_mode_32 0
		.amdhsa_float_round_mode_16_64 0
		.amdhsa_float_denorm_mode_32 3
		.amdhsa_float_denorm_mode_16_64 3
		.amdhsa_dx10_clamp 1
		.amdhsa_ieee_mode 1
		.amdhsa_fp16_overflow 0
		.amdhsa_workgroup_processor_mode 1
		.amdhsa_memory_ordered 1
		.amdhsa_forward_progress 0
		.amdhsa_shared_vgpr_count 0
		.amdhsa_exception_fp_ieee_invalid_op 0
		.amdhsa_exception_fp_denorm_src 0
		.amdhsa_exception_fp_ieee_div_zero 0
		.amdhsa_exception_fp_ieee_overflow 0
		.amdhsa_exception_fp_ieee_underflow 0
		.amdhsa_exception_fp_ieee_inexact 0
		.amdhsa_exception_int_div_zero 0
	.end_amdhsa_kernel
	.section	.text._Z39paged_attention_ll4mi_QKV_mfma16_kernelIDF16_hLN4vllm18Fp8KVCacheDataTypeE1EhLi32ELi128ELi256ELb1ELi10EL8MFMAType1EEvPKT_PKT0_S8_ifPKiSA_SA_iPKfiiiPfSD_PS3_PT2_iSC_SC_,"axG",@progbits,_Z39paged_attention_ll4mi_QKV_mfma16_kernelIDF16_hLN4vllm18Fp8KVCacheDataTypeE1EhLi32ELi128ELi256ELb1ELi10EL8MFMAType1EEvPKT_PKT0_S8_ifPKiSA_SA_iPKfiiiPfSD_PS3_PT2_iSC_SC_,comdat
.Lfunc_end1019:
	.size	_Z39paged_attention_ll4mi_QKV_mfma16_kernelIDF16_hLN4vllm18Fp8KVCacheDataTypeE1EhLi32ELi128ELi256ELb1ELi10EL8MFMAType1EEvPKT_PKT0_S8_ifPKiSA_SA_iPKfiiiPfSD_PS3_PT2_iSC_SC_, .Lfunc_end1019-_Z39paged_attention_ll4mi_QKV_mfma16_kernelIDF16_hLN4vllm18Fp8KVCacheDataTypeE1EhLi32ELi128ELi256ELb1ELi10EL8MFMAType1EEvPKT_PKT0_S8_ifPKiSA_SA_iPKfiiiPfSD_PS3_PT2_iSC_SC_
                                        ; -- End function
	.section	.AMDGPU.csdata,"",@progbits
; Kernel info:
; codeLenInByte = 6708
; NumSgprs: 39
; NumVgprs: 150
; ScratchSize: 0
; MemoryBound: 0
; FloatMode: 240
; IeeeMode: 1
; LDSByteSize: 17472 bytes/workgroup (compile time only)
; SGPRBlocks: 4
; VGPRBlocks: 18
; NumSGPRsForWavesPerEU: 39
; NumVGPRsForWavesPerEU: 150
; Occupancy: 9
; WaveLimiterHint : 1
; COMPUTE_PGM_RSRC2:SCRATCH_EN: 0
; COMPUTE_PGM_RSRC2:USER_SGPR: 13
; COMPUTE_PGM_RSRC2:TRAP_HANDLER: 0
; COMPUTE_PGM_RSRC2:TGID_X_EN: 1
; COMPUTE_PGM_RSRC2:TGID_Y_EN: 1
; COMPUTE_PGM_RSRC2:TGID_Z_EN: 1
; COMPUTE_PGM_RSRC2:TIDIG_COMP_CNT: 0
	.section	.text._Z39paged_attention_ll4mi_QKV_mfma16_kernelIDF16_hLN4vllm18Fp8KVCacheDataTypeE1EhLi32ELi128ELi256ELb1ELi11EL8MFMAType1EEvPKT_PKT0_S8_ifPKiSA_SA_iPKfiiiPfSD_PS3_PT2_iSC_SC_,"axG",@progbits,_Z39paged_attention_ll4mi_QKV_mfma16_kernelIDF16_hLN4vllm18Fp8KVCacheDataTypeE1EhLi32ELi128ELi256ELb1ELi11EL8MFMAType1EEvPKT_PKT0_S8_ifPKiSA_SA_iPKfiiiPfSD_PS3_PT2_iSC_SC_,comdat
	.protected	_Z39paged_attention_ll4mi_QKV_mfma16_kernelIDF16_hLN4vllm18Fp8KVCacheDataTypeE1EhLi32ELi128ELi256ELb1ELi11EL8MFMAType1EEvPKT_PKT0_S8_ifPKiSA_SA_iPKfiiiPfSD_PS3_PT2_iSC_SC_ ; -- Begin function _Z39paged_attention_ll4mi_QKV_mfma16_kernelIDF16_hLN4vllm18Fp8KVCacheDataTypeE1EhLi32ELi128ELi256ELb1ELi11EL8MFMAType1EEvPKT_PKT0_S8_ifPKiSA_SA_iPKfiiiPfSD_PS3_PT2_iSC_SC_
	.globl	_Z39paged_attention_ll4mi_QKV_mfma16_kernelIDF16_hLN4vllm18Fp8KVCacheDataTypeE1EhLi32ELi128ELi256ELb1ELi11EL8MFMAType1EEvPKT_PKT0_S8_ifPKiSA_SA_iPKfiiiPfSD_PS3_PT2_iSC_SC_
	.p2align	8
	.type	_Z39paged_attention_ll4mi_QKV_mfma16_kernelIDF16_hLN4vllm18Fp8KVCacheDataTypeE1EhLi32ELi128ELi256ELb1ELi11EL8MFMAType1EEvPKT_PKT0_S8_ifPKiSA_SA_iPKfiiiPfSD_PS3_PT2_iSC_SC_,@function
_Z39paged_attention_ll4mi_QKV_mfma16_kernelIDF16_hLN4vllm18Fp8KVCacheDataTypeE1EhLi32ELi128ELi256ELb1ELi11EL8MFMAType1EEvPKT_PKT0_S8_ifPKiSA_SA_iPKfiiiPfSD_PS3_PT2_iSC_SC_: ; @_Z39paged_attention_ll4mi_QKV_mfma16_kernelIDF16_hLN4vllm18Fp8KVCacheDataTypeE1EhLi32ELi128ELi256ELb1ELi11EL8MFMAType1EEvPKT_PKT0_S8_ifPKiSA_SA_iPKfiiiPfSD_PS3_PT2_iSC_SC_
; %bb.0:
	s_load_b64 s[4:5], s[0:1], 0x30
	s_mov_b32 s34, s13
	s_waitcnt lgkmcnt(0)
	s_cmp_lg_u64 s[4:5], 0
	s_cselect_b32 s8, -1, 0
	s_ashr_i32 s35, s13, 31
	s_cmp_eq_u64 s[4:5], 0
	s_cbranch_scc1 .LBB1020_3
; %bb.1:
	s_lshl_b64 s[2:3], s[34:35], 2
	s_delay_alu instid0(SALU_CYCLE_1) | instskip(SKIP_4) | instid1(SALU_CYCLE_1)
	s_add_u32 s2, s4, s2
	s_addc_u32 s3, s5, s3
	s_load_b64 s[2:3], s[2:3], 0x0
	s_waitcnt lgkmcnt(0)
	s_sub_i32 s2, s3, s2
	s_cmp_eq_u32 s2, 1
	s_cselect_b32 s2, -1, 0
	s_delay_alu instid0(SALU_CYCLE_1)
	s_and_not1_b32 vcc_lo, exec_lo, s2
	s_cbranch_vccz .LBB1020_4
.LBB1020_2:
	s_nop 0
	s_sendmsg sendmsg(MSG_DEALLOC_VGPRS)
	s_endpgm
.LBB1020_3:
.LBB1020_4:
	s_load_b64 s[2:3], s[0:1], 0x28
	s_lshl_b64 s[6:7], s[34:35], 2
	s_waitcnt lgkmcnt(0)
	s_add_u32 s2, s2, s6
	s_addc_u32 s3, s3, s7
	s_lshl_b32 s12, s14, 8
	s_load_b32 s24, s[2:3], 0x0
	s_waitcnt lgkmcnt(0)
	s_cmp_ge_i32 s12, s24
	s_cbranch_scc1 .LBB1020_2
; %bb.5:
	s_clause 0x1
	s_load_b128 s[20:23], s[0:1], 0x8
	s_load_b64 s[2:3], s[0:1], 0x20
	s_and_not1_b32 vcc_lo, exec_lo, s8
	s_cbranch_vccnz .LBB1020_7
; %bb.6:
	s_add_u32 s4, s4, s6
	s_addc_u32 s5, s5, s7
	s_load_b32 s5, s[4:5], 0x0
	s_branch .LBB1020_8
.LBB1020_7:
	s_mov_b32 s5, s34
.LBB1020_8:
	s_load_b128 s[16:19], s[0:1], 0x48
	v_and_b32_e32 v68, 15, v0
	v_lshrrev_b32_e32 v69, 5, v0
	v_bfe_u32 v66, v0, 4, 1
	v_and_b32_e32 v70, 31, v0
	v_and_b32_e32 v67, 1, v0
	v_lshlrev_b32_e32 v2, 3, v68
	s_mul_i32 s31, s15, 11
	v_lshl_or_b32 v1, v69, 1, v66
	s_mov_b32 s4, exec_lo
	s_delay_alu instid0(VALU_DEP_2) | instskip(NEXT) | instid1(VALU_DEP_2)
	v_lshlrev_b32_e32 v65, 1, v2
	v_cmpx_gt_u32_e32 11, v1
	s_cbranch_execz .LBB1020_10
; %bb.9:
	s_load_b64 s[6:7], s[0:1], 0x0
	v_add_lshl_u32 v2, v1, s31, 7
	s_waitcnt lgkmcnt(0)
	s_mul_hi_i32 s9, s5, s16
	s_mul_i32 s8, s5, s16
	v_lshlrev_b32_e32 v6, 10, v68
	s_lshl_b64 s[8:9], s[8:9], 1
	v_ashrrev_i32_e32 v3, 31, v2
	v_lshlrev_b32_e32 v1, 6, v1
	v_lshlrev_b32_e32 v7, 10, v67
	v_and_b32_e32 v6, 0x3800, v6
	s_delay_alu instid0(VALU_DEP_4) | instskip(NEXT) | instid1(VALU_DEP_2)
	v_lshlrev_b64 v[2:3], 1, v[2:3]
	v_or3_b32 v1, v6, v7, v1
	s_add_u32 s5, s6, s8
	s_addc_u32 s6, s7, s9
	s_delay_alu instid0(VALU_DEP_2) | instskip(NEXT) | instid1(VALU_DEP_3)
	v_add_co_u32 v2, vcc_lo, s5, v2
	v_add_co_ci_u32_e32 v3, vcc_lo, s6, v3, vcc_lo
	s_delay_alu instid0(VALU_DEP_2) | instskip(NEXT) | instid1(VALU_DEP_2)
	v_add_co_u32 v2, vcc_lo, v2, v65
	v_add_co_ci_u32_e32 v3, vcc_lo, 0, v3, vcc_lo
	global_load_b128 v[2:5], v[2:3], off
	s_waitcnt vmcnt(0)
	ds_store_b128 v1, v[2:5]
.LBB1020_10:
	s_or_b32 exec_lo, exec_lo, s4
	v_and_b32_e32 v1, 0xef, v0
	s_waitcnt lgkmcnt(0)
	s_add_i32 s5, s24, 31
	s_clause 0x1
	s_load_b32 s4, s[0:1], 0x38
	s_load_b32 s33, s[0:1], 0x98
	s_ashr_i32 s6, s5, 31
	v_add_nc_u32_e32 v1, s12, v1
	s_lshr_b32 s6, s6, 27
	s_load_b32 s19, s[0:1], 0x1c
	s_add_i32 s5, s5, s6
	s_waitcnt lgkmcnt(0)
	v_ashrrev_i32_e32 v2, 31, v1
	v_or_b32_e32 v3, 16, v1
	s_ashr_i32 s13, s5, 5
	v_cmp_gt_i32_e32 vcc_lo, s24, v1
	s_add_i32 s13, s13, -1
	v_lshrrev_b32_e32 v2, 27, v2
	s_barrier
	buffer_gl0_inv
	s_mul_i32 s15, s15, s18
	v_add_nc_u32_e32 v4, v1, v2
	s_mul_i32 s4, s34, s4
	s_delay_alu instid0(SALU_CYCLE_1) | instskip(NEXT) | instid1(VALU_DEP_1)
	s_ashr_i32 s5, s4, 31
	v_ashrrev_i32_e32 v4, 5, v4
	v_add_nc_u32_e32 v2, v3, v2
	s_lshl_b64 s[4:5], s[4:5], 2
	s_delay_alu instid0(SALU_CYCLE_1) | instskip(NEXT) | instid1(VALU_DEP_2)
	s_add_u32 s16, s2, s4
	v_cndmask_b32_e32 v1, s13, v4, vcc_lo
	s_delay_alu instid0(VALU_DEP_2)
	v_ashrrev_i32_e32 v2, 5, v2
	v_cmp_gt_i32_e32 vcc_lo, s24, v3
	s_addc_u32 s25, s3, s5
	s_ashr_i32 s18, s15, 31
	s_add_u32 s2, s20, s15
	s_addc_u32 s3, s21, s18
	v_cndmask_b32_e32 v3, s13, v2, vcc_lo
	v_ashrrev_i32_e32 v2, 31, v1
	s_lshl_b32 s4, s14, 3
	s_delay_alu instid0(SALU_CYCLE_1) | instskip(NEXT) | instid1(VALU_DEP_2)
	s_ashr_i32 s5, s4, 31
	v_ashrrev_i32_e32 v4, 31, v3
	s_delay_alu instid0(VALU_DEP_2) | instskip(SKIP_1) | instid1(SALU_CYCLE_1)
	v_lshlrev_b64 v[1:2], 2, v[1:2]
	s_lshl_b64 s[4:5], s[4:5], 2
	s_add_u32 s4, s16, s4
	s_delay_alu instid0(VALU_DEP_2) | instskip(SKIP_1) | instid1(VALU_DEP_2)
	v_lshlrev_b64 v[3:4], 2, v[3:4]
	s_addc_u32 s5, s25, s5
	v_add_co_u32 v1, vcc_lo, s16, v1
	v_add_co_ci_u32_e32 v2, vcc_lo, s25, v2, vcc_lo
	s_delay_alu instid0(VALU_DEP_3) | instskip(NEXT) | instid1(VALU_DEP_4)
	v_add_co_u32 v3, vcc_lo, s16, v3
	v_add_co_ci_u32_e32 v4, vcc_lo, s25, v4, vcc_lo
	s_clause 0x1
	global_load_b32 v5, v[1:2], off
	global_load_b32 v6, v[3:4], off
	s_or_b32 s6, s12, 32
	s_delay_alu instid0(SALU_CYCLE_1) | instskip(SKIP_2) | instid1(SALU_CYCLE_1)
	s_ashr_i32 s7, s6, 5
	s_cmp_lt_i32 s6, s24
	s_cselect_b32 s6, s7, s13
	s_ashr_i32 s7, s6, 31
	s_delay_alu instid0(SALU_CYCLE_1) | instskip(NEXT) | instid1(SALU_CYCLE_1)
	s_lshl_b64 s[6:7], s[6:7], 2
	s_add_u32 s6, s16, s6
	s_addc_u32 s7, s25, s7
	s_or_b32 s8, s12, 64
	s_delay_alu instid0(SALU_CYCLE_1) | instskip(SKIP_2) | instid1(SALU_CYCLE_1)
	s_ashr_i32 s9, s8, 5
	s_cmp_lt_i32 s8, s24
	s_cselect_b32 s8, s9, s13
	s_ashr_i32 s9, s8, 31
	s_delay_alu instid0(SALU_CYCLE_1) | instskip(NEXT) | instid1(SALU_CYCLE_1)
	s_lshl_b64 s[8:9], s[8:9], 2
	s_add_u32 s8, s16, s8
	s_addc_u32 s9, s25, s9
	;; [unrolled: 10-line block ×5, first 2 shown]
	s_clause 0x5
	s_load_b32 s28, s[4:5], 0x0
	s_load_b32 s29, s[6:7], 0x0
	;; [unrolled: 1-line block ×6, first 2 shown]
	s_mov_b32 s4, 0
	s_delay_alu instid0(SALU_CYCLE_1)
	s_mov_b32 s5, s4
	s_mov_b32 s6, s4
	;; [unrolled: 1-line block ×7, first 2 shown]
	s_delay_alu instid0(SALU_CYCLE_1)
	v_dual_mov_b32 v118, s11 :: v_dual_mov_b32 v117, s10
	v_dual_mov_b32 v116, s9 :: v_dual_mov_b32 v115, s8
	v_mov_b32_e32 v113, s6
	v_dual_mov_b32 v111, s4 :: v_dual_mov_b32 v114, s7
	v_mov_b32_e32 v112, s5
	s_waitcnt vmcnt(1)
	v_mad_i64_i32 v[1:2], null, v5, s17, s[2:3]
	v_lshlrev_b32_e32 v5, 4, v68
	s_waitcnt vmcnt(0)
	v_mad_i64_i32 v[3:4], null, v6, s17, s[2:3]
	s_or_b32 s2, s12, 0xc0
	s_delay_alu instid0(SALU_CYCLE_1) | instskip(NEXT) | instid1(VALU_DEP_3)
	s_ashr_i32 s3, s2, 5
	v_add_co_u32 v1, vcc_lo, v1, v5
	s_delay_alu instid0(VALU_DEP_4) | instskip(NEXT) | instid1(VALU_DEP_3)
	v_add_co_ci_u32_e32 v2, vcc_lo, 0, v2, vcc_lo
	v_add_co_u32 v3, vcc_lo, v3, v5
	s_delay_alu instid0(VALU_DEP_4)
	v_add_co_ci_u32_e32 v4, vcc_lo, 0, v4, vcc_lo
	s_clause 0xf
	global_load_b128 v[17:20], v[1:2], off
	global_load_b128 v[21:24], v[1:2], off offset:512
	global_load_b128 v[25:28], v[3:4], off offset:256
	global_load_b128 v[29:32], v[3:4], off offset:768
	global_load_b128 v[57:60], v[1:2], off offset:1024
	global_load_b128 v[61:64], v[1:2], off offset:1536
	global_load_b128 v[71:74], v[3:4], off offset:1280
	global_load_b128 v[75:78], v[3:4], off offset:1792
	global_load_b128 v[79:82], v[1:2], off offset:2048
	global_load_b128 v[83:86], v[1:2], off offset:2560
	global_load_b128 v[87:90], v[3:4], off offset:2304
	global_load_b128 v[91:94], v[3:4], off offset:2816
	global_load_b128 v[95:98], v[1:2], off offset:3072
	global_load_b128 v[99:102], v[1:2], off offset:3584
	global_load_b128 v[103:106], v[3:4], off offset:3328
	global_load_b128 v[107:110], v[3:4], off offset:3840
	s_cmp_lt_i32 s2, s24
	v_add_nc_u32_e32 v1, -11, v68
	s_cselect_b32 s2, s3, s13
	v_cmp_gt_u32_e32 vcc_lo, 11, v68
	s_ashr_i32 s3, s2, 31
	v_lshlrev_b32_e32 v2, 5, v68
	s_lshl_b64 s[2:3], s[2:3], 2
	s_delay_alu instid0(SALU_CYCLE_1)
	s_add_u32 s2, s16, s2
	s_addc_u32 s3, s25, s3
	s_or_b32 s20, s12, 0xe0
	v_cndmask_b32_e32 v1, v1, v68, vcc_lo
	s_ashr_i32 s21, s20, 5
	s_cmp_lt_i32 s20, s24
	s_cselect_b32 s20, s21, s13
	s_delay_alu instid0(VALU_DEP_1)
	v_lshlrev_b32_e32 v149, 6, v1
	s_ashr_i32 s21, s20, 31
	v_lshl_or_b32 v1, v69, 9, v2
	s_lshl_b64 s[4:5], s[20:21], 2
	ds_load_b128 v[119:122], v149
	ds_load_b128 v[123:126], v149 offset:1024
	s_add_u32 s4, s16, s4
	s_addc_u32 s5, s25, s5
	ds_load_b128 v[127:130], v149 offset:2048
	ds_load_b128 v[131:134], v149 offset:3072
	s_clause 0x1
	s_load_b32 s2, s[2:3], 0x0
	s_load_b32 s3, s[4:5], 0x0
	s_add_u32 s6, s22, s15
	s_addc_u32 s7, s23, s18
	v_add_co_u32 v135, s6, s6, v1
	s_delay_alu instid0(VALU_DEP_1) | instskip(SKIP_1) | instid1(VALU_DEP_1)
	v_add_co_ci_u32_e64 v136, null, s7, 0, s6
	s_waitcnt lgkmcnt(0)
	v_mad_i64_i32 v[1:2], null, s28, s17, v[135:136]
	v_mad_i64_i32 v[3:4], null, s29, s17, v[135:136]
	;; [unrolled: 1-line block ×6, first 2 shown]
	s_clause 0x9
	global_load_b128 v[49:52], v[1:2], off
	global_load_b128 v[53:56], v[1:2], off offset:16
	global_load_b128 v[41:44], v[3:4], off
	global_load_b128 v[45:48], v[3:4], off offset:16
	;; [unrolled: 2-line block ×5, first 2 shown]
	v_mad_i64_i32 v[145:146], null, s2, s17, v[135:136]
	v_mad_i64_i32 v[147:148], null, s3, s17, v[135:136]
	s_waitcnt vmcnt(24)
	v_wmma_f32_16x16x16_f16 v[135:142], v[17:24], v[119:126], v[111:118]
	s_waitcnt vmcnt(22)
	v_wmma_f32_16x16x16_f16 v[111:118], v[25:32], v[119:126], v[111:118]
	s_clause 0x3
	global_load_b128 v[17:20], v[143:144], off
	global_load_b128 v[21:24], v[143:144], off offset:16
	global_load_b128 v[25:28], v[145:146], off
	global_load_b128 v[29:32], v[145:146], off offset:16
	v_and_b32_e32 v119, 0xe0, v0
	s_waitcnt vmcnt(24)
	v_wmma_f32_16x16x16_f16 v[135:142], v[57:64], v[127:134], v[135:142]
	s_clause 0x1
	global_load_b128 v[57:60], v[147:148], off
	global_load_b128 v[61:64], v[147:148], off offset:16
	s_waitcnt vmcnt(24)
	v_wmma_f32_16x16x16_f16 v[111:118], v[71:78], v[127:134], v[111:118]
	ds_load_b128 v[71:74], v149 offset:4096
	ds_load_b128 v[75:78], v149 offset:5120
	v_add_nc_u32_e32 v128, s12, v119
	ds_load_b128 v[119:122], v149 offset:6144
	ds_load_b128 v[123:126], v149 offset:7168
	v_mbcnt_lo_u32_b32 v127, -1, 0
	s_waitcnt vmcnt(0) lgkmcnt(0)
	s_barrier
	v_or_b32_e32 v128, v128, v66
	buffer_gl0_inv
	v_xor_b32_e32 v129, 16, v127
	v_or_b32_e32 v130, 4, v128
	v_or_b32_e32 v131, 6, v128
	s_delay_alu instid0(VALU_DEP_3) | instskip(SKIP_4) | instid1(VALU_DEP_4)
	v_cmp_gt_i32_e32 vcc_lo, 32, v129
	v_or_b32_e32 v132, 8, v128
	v_or_b32_e32 v133, 10, v128
	v_cmp_gt_i32_e64 s3, s24, v130
	v_cmp_gt_i32_e64 s4, s24, v131
	v_cmp_gt_i32_e64 s5, s24, v132
	v_wmma_f32_16x16x16_f16 v[135:142], v[79:86], v[71:78], v[135:142]
	v_wmma_f32_16x16x16_f16 v[111:118], v[87:94], v[71:78], v[111:118]
	v_or_b32_e32 v79, 12, v128
	v_or_b32_e32 v80, 14, v128
	v_cmp_gt_i32_e64 s6, s24, v133
	v_wmma_f32_16x16x16_f16 v[135:142], v[95:102], v[119:126], v[135:142]
	v_wmma_f32_16x16x16_f16 v[111:118], v[103:110], v[119:126], v[111:118]
	v_cndmask_b32_e32 v127, v127, v129, vcc_lo
	v_or_b32_e32 v129, 2, v128
	v_cmp_gt_i32_e32 vcc_lo, s24, v128
	s_delay_alu instid0(VALU_DEP_4) | instskip(SKIP_1) | instid1(VALU_DEP_4)
	v_dual_mul_f32 v87, s19, v136 :: v_dual_mul_f32 v94, s19, v113
	v_mul_f32_e32 v88, s19, v135
	v_cmp_gt_i32_e64 s2, s24, v129
	v_mul_f32_e32 v78, s19, v138
	v_mul_f32_e32 v86, s19, v137
	;; [unrolled: 1-line block ×3, first 2 shown]
	v_cndmask_b32_e32 v88, 0xff7fffff, v88, vcc_lo
	v_cndmask_b32_e64 v87, 0xff7fffff, v87, s2
	v_dual_mul_f32 v77, s19, v139 :: v_dual_mul_f32 v90, s19, v117
	v_cndmask_b32_e64 v86, 0xff7fffff, v86, s3
	v_cndmask_b32_e64 v78, 0xff7fffff, v78, s4
	s_delay_alu instid0(VALU_DEP_4)
	v_max3_f32 v87, v88, 0xff7fffff, v87
	v_or_b32_e32 v81, 16, v128
	v_or_b32_e32 v82, 18, v128
	v_dual_mul_f32 v74, s19, v142 :: v_dual_mul_f32 v75, s19, v141
	v_mul_f32_e32 v96, s19, v111
	v_cndmask_b32_e64 v77, 0xff7fffff, v77, s5
	v_cndmask_b32_e64 v76, 0xff7fffff, v76, s6
	v_max3_f32 v78, v87, v86, v78
	v_cmp_gt_i32_e64 s7, s24, v79
	v_cmp_gt_i32_e64 s8, s24, v80
	v_or_b32_e32 v83, 20, v128
	v_or_b32_e32 v84, 22, v128
	v_mul_f32_e32 v95, s19, v112
	v_cndmask_b32_e64 v75, 0xff7fffff, v75, s7
	v_cndmask_b32_e64 v74, 0xff7fffff, v74, s8
	v_max3_f32 v76, v78, v77, v76
	v_cmp_gt_i32_e64 s9, s24, v81
	v_cmp_gt_i32_e64 s10, s24, v82
	v_or_b32_e32 v85, 24, v128
	v_or_b32_e32 v71, 26, v128
	;; [unrolled: 8-line block ×3, first 2 shown]
	v_dual_mul_f32 v91, s19, v116 :: v_dual_mul_f32 v92, s19, v115
	v_cndmask_b32_e64 v75, 0xff7fffff, v94, s11
	v_cndmask_b32_e64 v76, 0xff7fffff, v93, s12
	v_max3_f32 v74, v74, v77, v78
	v_cmp_gt_i32_e64 s13, s24, v85
	v_cmp_gt_i32_e64 s15, s24, v71
	v_mul_f32_e32 v89, s19, v118
	v_cmp_gt_i32_e64 s16, s24, v72
	v_max3_f32 v74, v74, v75, v76
	v_cndmask_b32_e64 v77, 0xff7fffff, v92, s13
	v_cndmask_b32_e64 v71, 0xff7fffff, v91, s15
	v_cmp_gt_i32_e64 s17, s24, v73
	v_cndmask_b32_e64 v72, 0xff7fffff, v90, s16
	s_delay_alu instid0(VALU_DEP_3) | instskip(SKIP_1) | instid1(VALU_DEP_4)
	v_max3_f32 v71, v74, v77, v71
	v_lshlrev_b32_e32 v74, 2, v127
	v_cndmask_b32_e64 v73, 0xff7fffff, v89, s17
	s_delay_alu instid0(VALU_DEP_1) | instskip(SKIP_3) | instid1(VALU_DEP_1)
	v_max3_f32 v71, v71, v72, v73
	ds_bpermute_b32 v72, v74, v71
	s_waitcnt lgkmcnt(0)
	v_max_f32_e32 v72, v72, v72
	v_max_f32_e32 v71, v71, v72
	s_delay_alu instid0(VALU_DEP_1) | instskip(SKIP_4) | instid1(VALU_DEP_4)
	v_fma_f32 v72, s19, v135, -v71
	v_fma_f32 v73, s19, v136, -v71
	;; [unrolled: 1-line block ×5, first 2 shown]
	v_dual_mul_f32 v72, 0x3fb8aa3b, v72 :: v_dual_mul_f32 v73, 0x3fb8aa3b, v73
	s_delay_alu instid0(VALU_DEP_3) | instskip(SKIP_1) | instid1(VALU_DEP_3)
	v_dual_mul_f32 v75, 0x3fb8aa3b, v75 :: v_dual_mul_f32 v76, 0x3fb8aa3b, v76
	v_fma_f32 v80, s19, v141, -v71
	v_exp_f32_e32 v72, v72
	s_delay_alu instid0(VALU_DEP_3) | instskip(NEXT) | instid1(VALU_DEP_2)
	v_exp_f32_e32 v73, v73
	v_exp_f32_e32 v75, v75
	v_exp_f32_e32 v76, v76
	v_mul_f32_e32 v82, 0x3fb8aa3b, v80
	s_delay_alu instid0(VALU_DEP_1) | instskip(SKIP_4) | instid1(TRANS32_DEP_3)
	v_exp_f32_e32 v84, v82
	v_cndmask_b32_e32 v79, 0, v72, vcc_lo
	v_fma_f32 v72, s19, v140, -v71
	v_mul_f32_e32 v77, 0x3fb8aa3b, v77
	v_cndmask_b32_e64 v78, 0, v73, s2
	v_cndmask_b32_e64 v81, 0, v75, s3
	s_delay_alu instid0(VALU_DEP_4) | instskip(NEXT) | instid1(VALU_DEP_4)
	v_dual_add_f32 v73, 0, v79 :: v_dual_mul_f32 v72, 0x3fb8aa3b, v72
	v_exp_f32_e32 v77, v77
	v_cndmask_b32_e64 v80, 0, v76, s4
	s_delay_alu instid0(TRANS32_DEP_2) | instskip(NEXT) | instid1(VALU_DEP_3)
	v_cndmask_b32_e64 v85, 0, v84, s7
	v_add_f32_e32 v73, v73, v78
	v_exp_f32_e32 v72, v72
	v_cmp_gt_u32_e64 s2, 16, v70
	s_delay_alu instid0(VALU_DEP_2) | instskip(NEXT) | instid1(TRANS32_DEP_2)
	v_add_f32_e32 v73, v73, v81
	v_cndmask_b32_e64 v83, 0, v77, s5
	s_delay_alu instid0(VALU_DEP_2) | instskip(SKIP_3) | instid1(VALU_DEP_1)
	v_add_f32_e32 v73, v73, v80
	s_waitcnt_depctr 0xfff
	v_cndmask_b32_e64 v82, 0, v72, s6
	v_add_f32_e32 v72, v73, v83
	v_add_f32_e32 v72, v72, v82
	s_delay_alu instid0(VALU_DEP_1)
	v_add_f32_e32 v72, v72, v85
	v_fma_f32 v76, s19, v111, -v71
	v_fma_f32 v75, s19, v142, -v71
	;; [unrolled: 1-line block ×5, first 2 shown]
	s_delay_alu instid0(VALU_DEP_4) | instskip(NEXT) | instid1(VALU_DEP_3)
	v_dual_mul_f32 v76, 0x3fb8aa3b, v76 :: v_dual_mul_f32 v75, 0x3fb8aa3b, v75
	v_mul_f32_e32 v86, 0x3fb8aa3b, v86
	s_delay_alu instid0(VALU_DEP_2) | instskip(NEXT) | instid1(VALU_DEP_2)
	v_exp_f32_e32 v76, v76
	v_exp_f32_e32 v75, v75
	s_delay_alu instid0(VALU_DEP_1) | instskip(NEXT) | instid1(TRANS32_DEP_3)
	v_exp_f32_e32 v88, v86
	v_cndmask_b32_e64 v87, 0, v76, s9
	v_fma_f32 v76, s19, v116, -v71
	v_mul_f32_e32 v77, 0x3fb8aa3b, v77
	s_waitcnt_depctr 0xfff
	v_cndmask_b32_e64 v84, 0, v75, s8
	v_fma_f32 v75, s19, v115, -v71
	v_cndmask_b32_e64 v88, 0, v88, s12
	v_mul_f32_e32 v76, 0x3fb8aa3b, v76
	v_exp_f32_e32 v77, v77
	v_add_f32_e32 v72, v72, v84
	s_delay_alu instid0(VALU_DEP_2) | instskip(NEXT) | instid1(VALU_DEP_1)
	v_exp_f32_e32 v76, v76
	v_add_f32_e32 v72, v72, v87
	s_waitcnt_depctr 0xfff
	v_cndmask_b32_e64 v86, 0, v77, s10
	v_mul_f32_e32 v73, 0x3fb8aa3b, v73
	v_fma_f32 v77, s19, v117, -v71
	v_cndmask_b32_e64 v90, 0, v76, s15
	s_delay_alu instid0(VALU_DEP_4) | instskip(NEXT) | instid1(VALU_DEP_4)
	v_add_f32_e32 v72, v72, v86
	v_exp_f32_e32 v73, v73
	s_waitcnt_depctr 0xfff
	v_cndmask_b32_e64 v89, 0, v73, s11
	s_delay_alu instid0(VALU_DEP_1) | instskip(NEXT) | instid1(VALU_DEP_1)
	v_dual_mul_f32 v75, 0x3fb8aa3b, v75 :: v_dual_add_f32 v72, v72, v89
	v_exp_f32_e32 v75, v75
	v_mul_f32_e32 v73, 0x3fb8aa3b, v77
	v_fma_f32 v77, s19, v118, -v71
	s_delay_alu instid0(VALU_DEP_3) | instskip(NEXT) | instid1(VALU_DEP_3)
	v_add_f32_e32 v72, v72, v88
	v_exp_f32_e32 v73, v73
	s_waitcnt_depctr 0xfff
	v_cndmask_b32_e64 v91, 0, v75, s13
	s_delay_alu instid0(VALU_DEP_1) | instskip(NEXT) | instid1(VALU_DEP_1)
	v_dual_mul_f32 v75, 0x3fb8aa3b, v77 :: v_dual_add_f32 v72, v72, v91
	v_exp_f32_e32 v75, v75
	v_cndmask_b32_e64 v93, 0, v73, s16
	s_delay_alu instid0(VALU_DEP_2) | instskip(NEXT) | instid1(VALU_DEP_1)
	v_add_f32_e32 v72, v72, v90
	v_add_f32_e32 v72, v72, v93
	s_waitcnt_depctr 0xfff
	v_cndmask_b32_e64 v92, 0, v75, s17
	s_delay_alu instid0(VALU_DEP_1)
	v_add_f32_e32 v72, v72, v92
	ds_bpermute_b32 v73, v74, v72
	s_and_saveexec_b32 s3, s2
	s_cbranch_execz .LBB1020_12
; %bb.11:
	v_mul_u32_u24_e32 v70, 0x44, v69
	s_waitcnt lgkmcnt(0)
	v_add_f32_e32 v72, v72, v73
	s_delay_alu instid0(VALU_DEP_2) | instskip(NEXT) | instid1(VALU_DEP_1)
	v_lshl_add_u32 v70, v68, 2, v70
	v_add_nc_u32_e32 v70, 0x4000, v70
	ds_store_2addr_b32 v70, v71, v72 offset1:136
.LBB1020_12:
	s_or_b32 exec_lo, exec_lo, s3
	v_lshlrev_b32_e32 v70, 2, v68
	s_load_b32 s35, s[0:1], 0x94
	s_waitcnt lgkmcnt(0)
	s_barrier
	buffer_gl0_inv
	v_add_nc_u32_e32 v98, 0x4000, v70
	v_cmp_eq_u32_e32 vcc_lo, 1, v69
	v_cmp_eq_u32_e64 s3, 2, v69
	v_cmp_eq_u32_e64 s4, 3, v69
	;; [unrolled: 1-line block ×3, first 2 shown]
	ds_load_2addr_b32 v[70:71], v98 offset1:17
	ds_load_2addr_b32 v[72:73], v98 offset0:34 offset1:51
	ds_load_2addr_b32 v[74:75], v98 offset0:68 offset1:85
	;; [unrolled: 1-line block ×3, first 2 shown]
	v_cmp_eq_u32_e64 s6, 5, v69
	v_cmp_eq_u32_e64 s7, 7, v69
	s_waitcnt lgkmcnt(3)
	v_max3_f32 v76, v70, 0xff7fffff, v71
	s_waitcnt lgkmcnt(2)
	s_delay_alu instid0(VALU_DEP_1) | instskip(SKIP_1) | instid1(VALU_DEP_1)
	v_max3_f32 v76, v76, v72, v73
	s_waitcnt lgkmcnt(1)
	v_max3_f32 v76, v76, v74, v75
	s_waitcnt lgkmcnt(0)
	s_delay_alu instid0(VALU_DEP_1) | instskip(NEXT) | instid1(VALU_DEP_1)
	v_max3_f32 v76, v76, v94, v95
	v_sub_f32_e32 v77, v71, v76
	ds_load_2addr_b32 v[96:97], v98 offset0:136 offset1:153
	v_sub_f32_e32 v74, v74, v76
	v_sub_f32_e32 v70, v70, v76
	;; [unrolled: 1-line block ×3, first 2 shown]
	v_dual_sub_f32 v72, v72, v76 :: v_dual_mul_f32 v77, 0x3fb8aa3b, v77
	s_delay_alu instid0(VALU_DEP_4) | instskip(NEXT) | instid1(VALU_DEP_4)
	v_mul_f32_e32 v103, 0x3fb8aa3b, v74
	v_mul_f32_e32 v99, 0x3fb8aa3b, v70
	ds_load_2addr_b32 v[70:71], v98 offset0:170 offset1:187
	v_dual_mul_f32 v101, 0x3fb8aa3b, v72 :: v_dual_mul_f32 v94, 0x3fb8aa3b, v94
	v_exp_f32_e32 v102, v77
	v_exp_f32_e32 v99, v99
	s_delay_alu instid0(VALU_DEP_1) | instskip(NEXT) | instid1(VALU_DEP_1)
	v_exp_f32_e32 v101, v101
	v_exp_f32_e32 v94, v94
	s_waitcnt lgkmcnt(1)
	s_delay_alu instid0(TRANS32_DEP_3)
	v_fma_f32 v77, v99, v96, 0
	v_sub_f32_e32 v100, v73, v76
	ds_load_2addr_b32 v[72:73], v98 offset0:204 offset1:221
	v_fmac_f32_e32 v77, v102, v97
	v_exp_f32_e32 v97, v103
	s_waitcnt lgkmcnt(1)
	s_delay_alu instid0(VALU_DEP_1)
	v_dual_fmac_f32 v77, v101, v70 :: v_dual_sub_f32 v96, v75, v76
	ds_load_2addr_b32 v[74:75], v98 offset0:238 offset1:255
	v_sub_f32_e32 v70, v95, v76
	s_waitcnt lgkmcnt(0)
	s_barrier
	v_mul_f32_e32 v96, 0x3fb8aa3b, v96
	buffer_gl0_inv
	v_exp_f32_e32 v95, v96
	v_mul_f32_e32 v100, 0x3fb8aa3b, v100
	s_delay_alu instid0(VALU_DEP_1) | instskip(SKIP_3) | instid1(VALU_DEP_2)
	v_exp_f32_e32 v100, v100
	s_waitcnt_depctr 0xfff
	v_dual_fmac_f32 v77, v100, v71 :: v_dual_mul_f32 v70, 0x3fb8aa3b, v70
	v_cndmask_b32_e32 v71, v99, v102, vcc_lo
	v_fmac_f32_e32 v77, v97, v72
	s_delay_alu instid0(VALU_DEP_3) | instskip(NEXT) | instid1(VALU_DEP_1)
	v_exp_f32_e32 v96, v70
	v_fmac_f32_e32 v77, v95, v73
	s_delay_alu instid0(VALU_DEP_1) | instskip(SKIP_2) | instid1(VALU_DEP_1)
	v_fmac_f32_e32 v77, v94, v74
	s_waitcnt_depctr 0xfff
	v_fmac_f32_e32 v77, v96, v75
	v_add_f32_e32 v74, 0x358637bd, v77
	s_delay_alu instid0(VALU_DEP_1) | instskip(SKIP_1) | instid1(VALU_DEP_2)
	v_div_scale_f32 v98, null, v74, v74, 1.0
	v_div_scale_f32 v99, vcc_lo, 1.0, v74, 1.0
	v_rcp_f32_e32 v103, v98
	s_waitcnt_depctr 0xfff
	v_fma_f32 v70, -v98, v103, 1.0
	s_delay_alu instid0(VALU_DEP_1) | instskip(SKIP_2) | instid1(VALU_DEP_2)
	v_fmac_f32_e32 v103, v70, v103
	v_cndmask_b32_e64 v70, v71, v101, s3
	v_cmp_eq_u32_e64 s3, 6, v69
	v_cndmask_b32_e64 v71, v70, v100, s4
	s_delay_alu instid0(VALU_DEP_4) | instskip(NEXT) | instid1(VALU_DEP_2)
	v_dual_mul_f32 v101, v99, v103 :: v_dual_lshlrev_b32 v70, 2, v66
	v_cndmask_b32_e64 v71, v71, v97, s5
	s_delay_alu instid0(VALU_DEP_2) | instskip(NEXT) | instid1(VALU_DEP_3)
	v_or_b32_e32 v72, 1, v70
	v_fma_f32 v100, -v98, v101, v99
	v_cmp_eq_u32_e64 s4, 1, v70
	v_cmp_eq_u32_e64 s5, 2, v70
	v_cndmask_b32_e64 v95, v71, v95, s6
	v_or_b32_e32 v71, 3, v70
	v_fmac_f32_e32 v101, v100, v103
	v_cmp_eq_u32_e64 s9, 1, v72
	v_cmp_eq_u32_e64 s12, 2, v72
	v_cndmask_b32_e64 v94, v95, v94, s3
	v_cmp_eq_u32_e64 s11, 1, v71
	v_fma_f32 v97, -v98, v101, v99
	v_cmp_eq_u32_e64 s16, 2, v71
	v_cmp_eq_u32_e64 s13, 3, v72
	v_cndmask_b32_e64 v94, v94, v96, s7
	v_cmp_eq_u32_e64 s18, 3, v71
	v_div_fmas_f32 v95, v97, v103, v101
	v_cmp_eq_u32_e32 vcc_lo, 3, v70
	v_cmp_eq_u32_e64 s3, 4, v70
	v_cmp_eq_u32_e64 s19, 4, v72
	;; [unrolled: 1-line block ×3, first 2 shown]
	v_div_fixup_f32 v95, v95, v74, 1.0
	v_lshlrev_b32_e32 v73, 6, v68
	v_cmp_eq_u32_e64 s6, 5, v70
	v_cmp_eq_u32_e64 s20, 5, v72
	;; [unrolled: 1-line block ×3, first 2 shown]
	v_mul_f32_e32 v102, v94, v95
	v_lshl_or_b32 v75, v69, 11, v73
	v_or_b32_e32 v69, 2, v70
	v_cmp_eq_u32_e64 s25, 6, v72
	v_cmp_eq_u32_e64 s27, 6, v71
	v_fma_mixlo_f16 v94, v102, v79, 0
	v_fma_mixlo_f16 v95, v102, v81, 0
	;; [unrolled: 1-line block ×8, first 2 shown]
	v_lshl_or_b32 v74, v66, 4, v75
	v_fma_mixhi_f16 v94, v102, v78, 0
	v_fma_mixhi_f16 v95, v102, v80, 0
	;; [unrolled: 1-line block ×8, first 2 shown]
	ds_store_b128 v74, v[94:97]
	ds_store_b128 v74, v[98:101] offset:1024
	s_waitcnt lgkmcnt(0)
	s_barrier
	buffer_gl0_inv
	ds_load_b128 v[78:81], v75
	ds_load_b128 v[82:85], v75 offset:16
	ds_load_b128 v[86:89], v75 offset:1024
	;; [unrolled: 1-line block ×3, first 2 shown]
	v_cmp_eq_u32_e64 s10, 1, v69
	v_cmp_eq_u32_e64 s15, 2, v69
	;; [unrolled: 1-line block ×11, first 2 shown]
	s_waitcnt lgkmcnt(3)
	v_lshrrev_b32_e32 v94, 16, v78
	s_waitcnt lgkmcnt(2)
	v_lshrrev_b32_e32 v98, 16, v82
	;; [unrolled: 2-line block ×4, first 2 shown]
	v_lshrrev_b32_e32 v95, 16, v79
	v_cndmask_b32_e64 v110, v78, v94, s4
	v_cndmask_b32_e64 v111, v82, v98, s4
	;; [unrolled: 1-line block ×8, first 2 shown]
	v_lshrrev_b32_e32 v99, 16, v83
	v_cndmask_b32_e64 v94, v86, v102, s4
	v_cndmask_b32_e64 v98, v90, v106, s4
	;; [unrolled: 1-line block ×15, first 2 shown]
	v_lshrrev_b32_e32 v103, 16, v87
	v_lshrrev_b32_e32 v107, 16, v91
	v_cndmask_b32_e64 v113, v115, v83, s15
	v_cndmask_b32_e64 v82, v94, v87, s5
	;; [unrolled: 1-line block ×7, first 2 shown]
	v_cndmask_b32_e32 v90, v102, v95, vcc_lo
	v_cndmask_b32_e32 v102, v106, v99, vcc_lo
	v_cndmask_b32_e64 v106, v110, v95, s13
	v_cndmask_b32_e64 v110, v111, v99, s13
	;; [unrolled: 1-line block ×4, first 2 shown]
	v_lshrrev_b32_e32 v96, 16, v80
	v_lshrrev_b32_e32 v100, 16, v84
	v_cndmask_b32_e64 v111, v112, v95, s17
	v_cndmask_b32_e64 v112, v113, v99, s17
	v_cndmask_b32_e32 v82, v82, v103, vcc_lo
	v_cndmask_b32_e32 v83, v83, v107, vcc_lo
	v_cndmask_b32_e64 v94, v94, v103, s13
	v_cndmask_b32_e64 v90, v90, v80, s3
	;; [unrolled: 1-line block ×7, first 2 shown]
	v_lshrrev_b32_e32 v104, 16, v88
	v_cndmask_b32_e64 v106, v111, v80, s21
	v_cndmask_b32_e64 v110, v112, v84, s21
	;; [unrolled: 1-line block ×11, first 2 shown]
	v_lshrrev_b32_e32 v97, 16, v81
	v_lshrrev_b32_e32 v101, 16, v85
	v_cndmask_b32_e64 v99, v106, v96, s23
	v_cndmask_b32_e64 v102, v110, v100, s23
	;; [unrolled: 1-line block ×7, first 2 shown]
	v_lshrrev_b32_e32 v105, 16, v89
	v_cndmask_b32_e64 v80, v80, v104, s6
	v_cndmask_b32_e64 v84, v84, v81, s7
	;; [unrolled: 1-line block ×16, first 2 shown]
	v_perm_b32 v81, v79, v78, 0x5040100
	v_perm_b32 v79, v95, v85, 0x5040100
	v_cndmask_b32_e64 v78, v119, v91, s15
	v_cndmask_b32_e64 v85, v117, v91, s12
	;; [unrolled: 1-line block ×3, first 2 shown]
	v_perm_b32 v80, v94, v90, 0x5040100
	v_cndmask_b32_e64 v90, v98, v103, s17
	v_cndmask_b32_e64 v86, v86, v103, s18
	;; [unrolled: 1-line block ×5, first 2 shown]
	v_lshrrev_b32_e32 v108, 16, v92
	v_cndmask_b32_e64 v90, v90, v88, s21
	v_cndmask_b32_e64 v86, v86, v88, s22
	;; [unrolled: 1-line block ×11, first 2 shown]
	v_lshrrev_b32_e32 v109, 16, v93
	v_cndmask_b32_e64 v82, v82, v93, s7
	v_cndmask_b32_e64 v88, v88, v89, s26
	v_cndmask_b32_e64 v86, v86, v89, s27
	v_cndmask_b32_e64 v87, v87, v93, s27
	v_cndmask_b32_e64 v78, v78, v93, s26
	v_cndmask_b32_e64 v85, v85, v93, s25
	v_cndmask_b32_e64 v88, v88, v105, s28
	v_cndmask_b32_e64 v86, v86, v105, s29
	v_cndmask_b32_e64 v87, v87, v109, s29
	v_cndmask_b32_e64 v89, v78, v109, s28
	v_cndmask_b32_e64 v90, v85, v109, s30
	v_cndmask_b32_e64 v82, v82, v109, s8
	v_perm_b32 v78, v84, v83, 0x5040100
	v_perm_b32 v85, v87, v86, 0x5040100
	;; [unrolled: 1-line block ×5, first 2 shown]
	s_mul_i32 s8, s33, 11
	s_mov_b32 s3, exec_lo
	ds_store_b128 v74, v[78:81]
	ds_store_b128 v74, v[82:85] offset:1024
	v_cmpx_gt_u32_e32 11, v0
	s_cbranch_execz .LBB1020_14
; %bb.13:
	s_mul_i32 s4, s8, s34
	s_delay_alu instid0(SALU_CYCLE_1) | instskip(SKIP_1) | instid1(VALU_DEP_1)
	v_add3_u32 v68, s4, s31, v68
	s_load_b128 s[4:7], s[0:1], 0x58
	v_mad_u64_u32 v[78:79], null, v68, s35, s[14:15]
	s_delay_alu instid0(VALU_DEP_1) | instskip(NEXT) | instid1(VALU_DEP_1)
	v_ashrrev_i32_e32 v79, 31, v78
	v_lshlrev_b64 v[78:79], 2, v[78:79]
	s_waitcnt lgkmcnt(0)
	s_delay_alu instid0(VALU_DEP_1) | instskip(NEXT) | instid1(VALU_DEP_2)
	v_add_co_u32 v80, vcc_lo, s6, v78
	v_add_co_ci_u32_e32 v81, vcc_lo, s7, v79, vcc_lo
	v_add_co_u32 v78, vcc_lo, s4, v78
	v_add_co_ci_u32_e32 v79, vcc_lo, s5, v79, vcc_lo
	global_store_b32 v[80:81], v76, off
	global_store_b32 v[78:79], v77, off
.LBB1020_14:
	s_or_b32 exec_lo, exec_lo, s3
	s_waitcnt lgkmcnt(0)
	s_waitcnt_vscnt null, 0x0
	s_barrier
	buffer_gl0_inv
	ds_load_b128 v[84:87], v73
	ds_load_b128 v[88:91], v73 offset:16
	ds_load_b128 v[96:99], v73 offset:2064
	;; [unrolled: 1-line block ×5, first 2 shown]
	v_cmp_eq_u32_e32 vcc_lo, 1, v70
	v_mov_b32_e32 v76, 0
	ds_load_b128 v[112:115], v73 offset:6160
	ds_load_b128 v[108:111], v73 offset:6144
	;; [unrolled: 1-line block ×4, first 2 shown]
	v_cmp_eq_u32_e64 s4, 1, v69
	v_cmp_eq_u32_e64 s3, 1, v72
	;; [unrolled: 1-line block ×3, first 2 shown]
	v_mov_b32_e32 v77, v76
	v_mov_b32_e32 v78, v76
	;; [unrolled: 1-line block ×7, first 2 shown]
	v_cmp_eq_u32_e64 s6, 3, v72
	v_cmp_eq_u32_e64 s7, 7, v72
	s_waitcnt lgkmcnt(8)
	s_delay_alu instid0(VALU_DEP_3)
	v_wmma_f32_16x16x16_f16 v[76:83], v[49:56], v[84:91], v[76:83]
	ds_load_b128 v[53:56], v73 offset:10256
	ds_load_b128 v[49:52], v73 offset:10240
	s_waitcnt lgkmcnt(8)
	v_wmma_f32_16x16x16_f16 v[76:83], v[41:48], v[92:99], v[76:83]
	ds_load_b128 v[45:48], v73 offset:12304
	ds_load_b128 v[41:44], v73 offset:12288
	s_waitcnt lgkmcnt(8)
	;; [unrolled: 4-line block ×3, first 2 shown]
	s_barrier
	buffer_gl0_inv
	v_wmma_f32_16x16x16_f16 v[76:83], v[1:8], v[108:115], v[76:83]
	s_delay_alu instid0(VALU_DEP_1) | instskip(NEXT) | instid1(VALU_DEP_1)
	v_wmma_f32_16x16x16_f16 v[76:83], v[9:16], v[116:123], v[76:83]
	v_wmma_f32_16x16x16_f16 v[76:83], v[17:24], v[49:56], v[76:83]
	s_delay_alu instid0(VALU_DEP_1) | instskip(NEXT) | instid1(VALU_DEP_1)
	v_wmma_f32_16x16x16_f16 v[76:83], v[25:32], v[41:48], v[76:83]
	v_wmma_f32_16x16x16_f16 v[76:83], v[57:64], v[33:40], v[76:83]
	s_delay_alu instid0(VALU_DEP_1) | instskip(NEXT) | instid1(VALU_DEP_2)
	v_cvt_f16_f32_e32 v1, v76
	v_cvt_f16_f32_e32 v2, v77
	s_delay_alu instid0(VALU_DEP_3) | instskip(NEXT) | instid1(VALU_DEP_4)
	v_cvt_f16_f32_e32 v3, v78
	v_cvt_f16_f32_e32 v4, v79
	;; [unrolled: 1-line block ×6, first 2 shown]
	v_pack_b32_f16 v1, v1, v2
	v_pack_b32_f16 v2, v3, v4
	;; [unrolled: 1-line block ×3, first 2 shown]
	s_delay_alu instid0(VALU_DEP_4)
	v_pack_b32_f16 v4, v7, v8
	ds_store_b128 v74, v[1:4]
	s_waitcnt lgkmcnt(0)
	s_barrier
	buffer_gl0_inv
	ds_load_b128 v[1:4], v75
	ds_load_b128 v[5:8], v75 offset:16
	s_waitcnt lgkmcnt(1)
	v_lshrrev_b32_e32 v9, 16, v1
	s_waitcnt lgkmcnt(0)
	v_lshrrev_b32_e32 v13, 16, v5
	v_lshrrev_b32_e32 v10, 16, v2
	;; [unrolled: 1-line block ×4, first 2 shown]
	v_cndmask_b32_e32 v17, v1, v9, vcc_lo
	v_cndmask_b32_e32 v18, v5, v13, vcc_lo
	v_cndmask_b32_e64 v21, v1, v9, s4
	v_cmp_eq_u32_e32 vcc_lo, 1, v71
	v_cndmask_b32_e64 v22, v5, v13, s4
	v_cmp_eq_u32_e64 s4, 2, v70
	v_cndmask_b32_e64 v19, v1, v9, s3
	v_cndmask_b32_e64 v20, v5, v13, s3
	v_cndmask_b32_e32 v1, v1, v9, vcc_lo
	v_cmp_eq_u32_e64 s3, 2, v71
	v_cndmask_b32_e32 v5, v5, v13, vcc_lo
	v_cndmask_b32_e64 v9, v17, v2, s4
	v_cmp_eq_u32_e32 vcc_lo, 3, v70
	v_cndmask_b32_e64 v13, v18, v6, s4
	v_cmp_eq_u32_e64 s4, 2, v69
	v_cndmask_b32_e64 v17, v19, v2, s5
	v_cndmask_b32_e64 v18, v20, v6, s5
	v_cmp_eq_u32_e64 s5, 3, v69
	v_cndmask_b32_e64 v1, v1, v2, s3
	v_cndmask_b32_e64 v19, v21, v2, s4
	;; [unrolled: 1-line block ×4, first 2 shown]
	v_cndmask_b32_e32 v5, v9, v10, vcc_lo
	v_cndmask_b32_e32 v6, v13, v14, vcc_lo
	v_cmp_eq_u32_e32 vcc_lo, 3, v71
	v_cndmask_b32_e64 v9, v17, v10, s6
	v_cndmask_b32_e64 v13, v18, v14, s6
	;; [unrolled: 1-line block ×3, first 2 shown]
	v_cmp_eq_u32_e64 s4, 4, v70
	v_cndmask_b32_e32 v1, v1, v10, vcc_lo
	v_cndmask_b32_e32 v2, v2, v14, vcc_lo
	v_cmp_eq_u32_e32 vcc_lo, 4, v72
	v_lshrrev_b32_e32 v15, 16, v7
	v_lshrrev_b32_e32 v16, 16, v8
	v_cndmask_b32_e64 v17, v19, v10, s5
	v_cmp_eq_u32_e64 s3, 4, v71
	v_cndmask_b32_e64 v5, v5, v3, s4
	v_cndmask_b32_e64 v6, v6, v7, s4
	v_cndmask_b32_e32 v9, v9, v3, vcc_lo
	v_cmp_eq_u32_e64 s4, 5, v72
	v_cndmask_b32_e32 v10, v13, v7, vcc_lo
	v_cmp_eq_u32_e32 vcc_lo, 4, v69
	v_cmp_eq_u32_e64 s5, 5, v70
	v_cndmask_b32_e64 v2, v2, v7, s3
	v_cndmask_b32_e64 v9, v9, v11, s4
	;; [unrolled: 1-line block ×3, first 2 shown]
	v_cndmask_b32_e32 v13, v17, v3, vcc_lo
	v_cmp_eq_u32_e64 s4, 5, v69
	v_cndmask_b32_e32 v14, v18, v7, vcc_lo
	v_cndmask_b32_e64 v1, v1, v3, s3
	v_cmp_eq_u32_e32 vcc_lo, 5, v71
	v_lshrrev_b32_e32 v12, 16, v4
	v_cndmask_b32_e64 v13, v13, v11, s4
	v_cndmask_b32_e64 v3, v14, v15, s4
	v_cmp_eq_u32_e64 s4, 6, v71
	v_cndmask_b32_e32 v1, v1, v11, vcc_lo
	v_cndmask_b32_e64 v5, v5, v11, s5
	v_cmp_eq_u32_e64 s6, 6, v70
	v_cndmask_b32_e64 v6, v6, v15, s5
	v_cmp_eq_u32_e64 s5, 6, v72
	v_cmp_eq_u32_e64 s3, 6, v69
	v_cndmask_b32_e64 v1, v1, v4, s4
	v_cndmask_b32_e32 v2, v2, v15, vcc_lo
	v_cmp_eq_u32_e32 vcc_lo, 7, v71
	v_cndmask_b32_e64 v5, v5, v4, s6
	v_cndmask_b32_e64 v9, v9, v4, s5
	;; [unrolled: 1-line block ×3, first 2 shown]
	v_cmp_eq_u32_e64 s6, 7, v70
	v_cndmask_b32_e32 v1, v1, v12, vcc_lo
	v_cndmask_b32_e64 v7, v13, v4, s3
	v_cndmask_b32_e64 v3, v3, v8, s3
	;; [unrolled: 1-line block ×3, first 2 shown]
	v_cmp_eq_u32_e64 s3, 7, v69
	v_cndmask_b32_e64 v4, v10, v8, s5
	v_cndmask_b32_e64 v5, v5, v12, s6
	;; [unrolled: 1-line block ×3, first 2 shown]
	v_cndmask_b32_e32 v2, v2, v16, vcc_lo
	v_cndmask_b32_e64 v7, v7, v12, s3
	v_cndmask_b32_e64 v3, v3, v16, s3
	;; [unrolled: 1-line block ×4, first 2 shown]
	v_perm_b32 v4, v2, v1, 0x5040100
	s_mov_b32 s3, exec_lo
	v_perm_b32 v3, v3, v7, 0x5040100
	v_perm_b32 v2, v8, v9, 0x5040100
	;; [unrolled: 1-line block ×3, first 2 shown]
	ds_store_b128 v74, v[1:4]
	s_waitcnt lgkmcnt(0)
	s_barrier
	buffer_gl0_inv
	v_cmpx_gt_u32_e32 32, v0
	s_cbranch_execz .LBB1020_2
; %bb.15:
	s_load_b64 s[4:5], s[0:1], 0x68
	v_lshlrev_b32_e32 v0, 10, v0
	v_lshlrev_b32_e32 v1, 4, v67
	s_lshl_b32 s0, s35, 7
	v_add_nc_u32_e32 v7, s31, v66
	s_mul_i32 s1, s0, s34
	s_delay_alu instid0(SALU_CYCLE_1) | instskip(SKIP_1) | instid1(VALU_DEP_2)
	s_mul_i32 s6, s1, s8
	v_and_or_b32 v0, 0x3800, v0, v1
	v_mul_lo_u32 v1, v7, s0
	v_add_nc_u32_e32 v2, 2, v7
	s_ashr_i32 s7, s6, 31
	v_add_nc_u32_e32 v4, 4, v7
	s_lshl_b64 s[6:7], s[6:7], 1
	v_add_nc_u32_e32 v8, 6, v7
	v_mul_lo_u32 v3, v2, s0
	v_lshl_or_b32 v19, v66, 6, v0
	v_ashrrev_i32_e32 v2, 31, v1
	v_mul_lo_u32 v11, v4, s0
	v_mul_lo_u32 v25, v8, s0
	s_waitcnt lgkmcnt(0)
	s_add_u32 s1, s4, s6
	s_addc_u32 s3, s5, s7
	s_lshl_b32 s4, s14, 7
	v_lshlrev_b64 v[5:6], 1, v[1:2]
	s_ashr_i32 s5, s4, 31
	v_ashrrev_i32_e32 v4, 31, v3
	s_lshl_b64 s[4:5], s[4:5], 1
	v_ashrrev_i32_e32 v12, 31, v11
	s_add_u32 s1, s1, s4
	s_addc_u32 s3, s3, s5
	v_add_co_u32 v1, s1, s1, v65
	s_delay_alu instid0(VALU_DEP_1) | instskip(SKIP_1) | instid1(VALU_DEP_3)
	v_add_co_ci_u32_e64 v2, null, s3, 0, s1
	v_lshlrev_b64 v[3:4], 1, v[3:4]
	v_add_co_u32 v23, vcc_lo, v1, v5
	v_add_nc_u32_e32 v5, 8, v7
	s_delay_alu instid0(VALU_DEP_4) | instskip(NEXT) | instid1(VALU_DEP_4)
	v_add_co_ci_u32_e32 v24, vcc_lo, v2, v6, vcc_lo
	v_add_co_u32 v27, vcc_lo, v1, v3
	s_delay_alu instid0(VALU_DEP_3)
	v_mul_lo_u32 v29, v5, s0
	v_add_co_ci_u32_e32 v28, vcc_lo, v2, v4, vcc_lo
	ds_load_b128 v[3:6], v19
	ds_load_b128 v[7:10], v19 offset:128
	v_lshlrev_b64 v[31:32], 1, v[11:12]
	ds_load_b128 v[11:14], v19 offset:256
	ds_load_b128 v[15:18], v19 offset:384
	ds_load_b128 v[19:22], v19 offset:512
	v_ashrrev_i32_e32 v26, 31, v25
	v_ashrrev_i32_e32 v30, 31, v29
	v_add_co_u32 v31, vcc_lo, v1, v31
	s_delay_alu instid0(VALU_DEP_3) | instskip(NEXT) | instid1(VALU_DEP_3)
	v_lshlrev_b64 v[25:26], 1, v[25:26]
	v_lshlrev_b64 v[29:30], 1, v[29:30]
	v_add_co_ci_u32_e32 v32, vcc_lo, v2, v32, vcc_lo
	s_delay_alu instid0(VALU_DEP_3) | instskip(NEXT) | instid1(VALU_DEP_4)
	v_add_co_u32 v25, vcc_lo, v1, v25
	v_add_co_ci_u32_e32 v26, vcc_lo, v2, v26, vcc_lo
	s_delay_alu instid0(VALU_DEP_4)
	v_add_co_u32 v29, vcc_lo, v1, v29
	v_add_co_ci_u32_e32 v30, vcc_lo, v2, v30, vcc_lo
	s_waitcnt lgkmcnt(4)
	global_store_b128 v[23:24], v[3:6], off
	s_waitcnt lgkmcnt(3)
	global_store_b128 v[27:28], v[7:10], off
	;; [unrolled: 2-line block ×5, first 2 shown]
	s_and_b32 exec_lo, exec_lo, s2
	s_cbranch_execz .LBB1020_2
; %bb.16:
	ds_load_b128 v[3:6], v0 offset:640
	s_add_i32 s1, s31, 10
	s_delay_alu instid0(SALU_CYCLE_1) | instskip(NEXT) | instid1(SALU_CYCLE_1)
	s_mul_i32 s0, s1, s0
	s_ashr_i32 s1, s0, 31
	s_delay_alu instid0(SALU_CYCLE_1) | instskip(NEXT) | instid1(SALU_CYCLE_1)
	s_lshl_b64 s[0:1], s[0:1], 1
	v_add_co_u32 v0, vcc_lo, v1, s0
	v_add_co_ci_u32_e32 v1, vcc_lo, s1, v2, vcc_lo
	s_waitcnt lgkmcnt(0)
	global_store_b128 v[0:1], v[3:6], off
	s_nop 0
	s_sendmsg sendmsg(MSG_DEALLOC_VGPRS)
	s_endpgm
	.section	.rodata,"a",@progbits
	.p2align	6, 0x0
	.amdhsa_kernel _Z39paged_attention_ll4mi_QKV_mfma16_kernelIDF16_hLN4vllm18Fp8KVCacheDataTypeE1EhLi32ELi128ELi256ELb1ELi11EL8MFMAType1EEvPKT_PKT0_S8_ifPKiSA_SA_iPKfiiiPfSD_PS3_PT2_iSC_SC_
		.amdhsa_group_segment_fixed_size 17472
		.amdhsa_private_segment_fixed_size 0
		.amdhsa_kernarg_size 400
		.amdhsa_user_sgpr_count 13
		.amdhsa_user_sgpr_dispatch_ptr 0
		.amdhsa_user_sgpr_queue_ptr 0
		.amdhsa_user_sgpr_kernarg_segment_ptr 1
		.amdhsa_user_sgpr_dispatch_id 0
		.amdhsa_user_sgpr_private_segment_size 0
		.amdhsa_wavefront_size32 1
		.amdhsa_uses_dynamic_stack 0
		.amdhsa_enable_private_segment 0
		.amdhsa_system_sgpr_workgroup_id_x 1
		.amdhsa_system_sgpr_workgroup_id_y 1
		.amdhsa_system_sgpr_workgroup_id_z 1
		.amdhsa_system_sgpr_workgroup_info 0
		.amdhsa_system_vgpr_workitem_id 0
		.amdhsa_next_free_vgpr 150
		.amdhsa_next_free_sgpr 37
		.amdhsa_reserve_vcc 1
		.amdhsa_float_round_mode_32 0
		.amdhsa_float_round_mode_16_64 0
		.amdhsa_float_denorm_mode_32 3
		.amdhsa_float_denorm_mode_16_64 3
		.amdhsa_dx10_clamp 1
		.amdhsa_ieee_mode 1
		.amdhsa_fp16_overflow 0
		.amdhsa_workgroup_processor_mode 1
		.amdhsa_memory_ordered 1
		.amdhsa_forward_progress 0
		.amdhsa_shared_vgpr_count 0
		.amdhsa_exception_fp_ieee_invalid_op 0
		.amdhsa_exception_fp_denorm_src 0
		.amdhsa_exception_fp_ieee_div_zero 0
		.amdhsa_exception_fp_ieee_overflow 0
		.amdhsa_exception_fp_ieee_underflow 0
		.amdhsa_exception_fp_ieee_inexact 0
		.amdhsa_exception_int_div_zero 0
	.end_amdhsa_kernel
	.section	.text._Z39paged_attention_ll4mi_QKV_mfma16_kernelIDF16_hLN4vllm18Fp8KVCacheDataTypeE1EhLi32ELi128ELi256ELb1ELi11EL8MFMAType1EEvPKT_PKT0_S8_ifPKiSA_SA_iPKfiiiPfSD_PS3_PT2_iSC_SC_,"axG",@progbits,_Z39paged_attention_ll4mi_QKV_mfma16_kernelIDF16_hLN4vllm18Fp8KVCacheDataTypeE1EhLi32ELi128ELi256ELb1ELi11EL8MFMAType1EEvPKT_PKT0_S8_ifPKiSA_SA_iPKfiiiPfSD_PS3_PT2_iSC_SC_,comdat
.Lfunc_end1020:
	.size	_Z39paged_attention_ll4mi_QKV_mfma16_kernelIDF16_hLN4vllm18Fp8KVCacheDataTypeE1EhLi32ELi128ELi256ELb1ELi11EL8MFMAType1EEvPKT_PKT0_S8_ifPKiSA_SA_iPKfiiiPfSD_PS3_PT2_iSC_SC_, .Lfunc_end1020-_Z39paged_attention_ll4mi_QKV_mfma16_kernelIDF16_hLN4vllm18Fp8KVCacheDataTypeE1EhLi32ELi128ELi256ELb1ELi11EL8MFMAType1EEvPKT_PKT0_S8_ifPKiSA_SA_iPKfiiiPfSD_PS3_PT2_iSC_SC_
                                        ; -- End function
	.section	.AMDGPU.csdata,"",@progbits
; Kernel info:
; codeLenInByte = 6808
; NumSgprs: 39
; NumVgprs: 150
; ScratchSize: 0
; MemoryBound: 0
; FloatMode: 240
; IeeeMode: 1
; LDSByteSize: 17472 bytes/workgroup (compile time only)
; SGPRBlocks: 4
; VGPRBlocks: 18
; NumSGPRsForWavesPerEU: 39
; NumVGPRsForWavesPerEU: 150
; Occupancy: 9
; WaveLimiterHint : 1
; COMPUTE_PGM_RSRC2:SCRATCH_EN: 0
; COMPUTE_PGM_RSRC2:USER_SGPR: 13
; COMPUTE_PGM_RSRC2:TRAP_HANDLER: 0
; COMPUTE_PGM_RSRC2:TGID_X_EN: 1
; COMPUTE_PGM_RSRC2:TGID_Y_EN: 1
; COMPUTE_PGM_RSRC2:TGID_Z_EN: 1
; COMPUTE_PGM_RSRC2:TIDIG_COMP_CNT: 0
	.section	.text._Z39paged_attention_ll4mi_QKV_mfma16_kernelIDF16_hLN4vllm18Fp8KVCacheDataTypeE1EhLi32ELi128ELi256ELb1ELi12EL8MFMAType1EEvPKT_PKT0_S8_ifPKiSA_SA_iPKfiiiPfSD_PS3_PT2_iSC_SC_,"axG",@progbits,_Z39paged_attention_ll4mi_QKV_mfma16_kernelIDF16_hLN4vllm18Fp8KVCacheDataTypeE1EhLi32ELi128ELi256ELb1ELi12EL8MFMAType1EEvPKT_PKT0_S8_ifPKiSA_SA_iPKfiiiPfSD_PS3_PT2_iSC_SC_,comdat
	.protected	_Z39paged_attention_ll4mi_QKV_mfma16_kernelIDF16_hLN4vllm18Fp8KVCacheDataTypeE1EhLi32ELi128ELi256ELb1ELi12EL8MFMAType1EEvPKT_PKT0_S8_ifPKiSA_SA_iPKfiiiPfSD_PS3_PT2_iSC_SC_ ; -- Begin function _Z39paged_attention_ll4mi_QKV_mfma16_kernelIDF16_hLN4vllm18Fp8KVCacheDataTypeE1EhLi32ELi128ELi256ELb1ELi12EL8MFMAType1EEvPKT_PKT0_S8_ifPKiSA_SA_iPKfiiiPfSD_PS3_PT2_iSC_SC_
	.globl	_Z39paged_attention_ll4mi_QKV_mfma16_kernelIDF16_hLN4vllm18Fp8KVCacheDataTypeE1EhLi32ELi128ELi256ELb1ELi12EL8MFMAType1EEvPKT_PKT0_S8_ifPKiSA_SA_iPKfiiiPfSD_PS3_PT2_iSC_SC_
	.p2align	8
	.type	_Z39paged_attention_ll4mi_QKV_mfma16_kernelIDF16_hLN4vllm18Fp8KVCacheDataTypeE1EhLi32ELi128ELi256ELb1ELi12EL8MFMAType1EEvPKT_PKT0_S8_ifPKiSA_SA_iPKfiiiPfSD_PS3_PT2_iSC_SC_,@function
_Z39paged_attention_ll4mi_QKV_mfma16_kernelIDF16_hLN4vllm18Fp8KVCacheDataTypeE1EhLi32ELi128ELi256ELb1ELi12EL8MFMAType1EEvPKT_PKT0_S8_ifPKiSA_SA_iPKfiiiPfSD_PS3_PT2_iSC_SC_: ; @_Z39paged_attention_ll4mi_QKV_mfma16_kernelIDF16_hLN4vllm18Fp8KVCacheDataTypeE1EhLi32ELi128ELi256ELb1ELi12EL8MFMAType1EEvPKT_PKT0_S8_ifPKiSA_SA_iPKfiiiPfSD_PS3_PT2_iSC_SC_
; %bb.0:
	s_load_b64 s[4:5], s[0:1], 0x30
	s_mov_b32 s30, s13
	s_waitcnt lgkmcnt(0)
	s_cmp_lg_u64 s[4:5], 0
	s_cselect_b32 s8, -1, 0
	s_ashr_i32 s31, s13, 31
	s_cmp_eq_u64 s[4:5], 0
	s_cbranch_scc1 .LBB1021_3
; %bb.1:
	s_lshl_b64 s[2:3], s[30:31], 2
	s_delay_alu instid0(SALU_CYCLE_1) | instskip(SKIP_4) | instid1(SALU_CYCLE_1)
	s_add_u32 s2, s4, s2
	s_addc_u32 s3, s5, s3
	s_load_b64 s[2:3], s[2:3], 0x0
	s_waitcnt lgkmcnt(0)
	s_sub_i32 s2, s3, s2
	s_cmp_eq_u32 s2, 1
	s_cselect_b32 s2, -1, 0
	s_delay_alu instid0(SALU_CYCLE_1)
	s_and_not1_b32 vcc_lo, exec_lo, s2
	s_cbranch_vccz .LBB1021_4
.LBB1021_2:
	s_endpgm
.LBB1021_3:
.LBB1021_4:
	s_load_b64 s[2:3], s[0:1], 0x28
	s_lshl_b64 s[6:7], s[30:31], 2
	s_waitcnt lgkmcnt(0)
	s_add_u32 s2, s2, s6
	s_addc_u32 s3, s3, s7
	s_lshl_b32 s12, s14, 8
	s_load_b32 s24, s[2:3], 0x0
	s_waitcnt lgkmcnt(0)
	s_cmp_ge_i32 s12, s24
	s_cbranch_scc1 .LBB1021_2
; %bb.5:
	s_clause 0x1
	s_load_b128 s[20:23], s[0:1], 0x8
	s_load_b64 s[2:3], s[0:1], 0x20
	s_and_not1_b32 vcc_lo, exec_lo, s8
	s_cbranch_vccnz .LBB1021_7
; %bb.6:
	s_add_u32 s4, s4, s6
	s_addc_u32 s5, s5, s7
	s_load_b32 s5, s[4:5], 0x0
	s_branch .LBB1021_8
.LBB1021_7:
	s_mov_b32 s5, s30
.LBB1021_8:
	s_load_b128 s[16:19], s[0:1], 0x48
	v_and_b32_e32 v68, 15, v0
	v_lshrrev_b32_e32 v69, 5, v0
	v_and_b32_e32 v70, 31, v0
	v_and_b32_e32 v67, 1, v0
	v_bfe_u32 v66, v0, 4, 1
	v_lshlrev_b32_e32 v1, 3, v68
	s_mul_i32 s31, s15, 12
	s_mov_b32 s4, exec_lo
	s_delay_alu instid0(VALU_DEP_1)
	v_lshlrev_b32_e32 v65, 1, v1
	v_cmpx_gt_u32_e32 0xc0, v0
	s_cbranch_execz .LBB1021_10
; %bb.9:
	s_load_b64 s[6:7], s[0:1], 0x0
	v_lshl_or_b32 v5, v69, 1, v66
	s_waitcnt lgkmcnt(0)
	s_mul_hi_i32 s9, s5, s16
	s_mul_i32 s8, s5, s16
	v_lshlrev_b32_e32 v6, 10, v68
	s_lshl_b64 s[8:9], s[8:9], 1
	v_add_lshl_u32 v1, v5, s31, 7
	v_lshlrev_b32_e32 v5, 6, v5
	v_lshlrev_b32_e32 v7, 10, v67
	v_and_b32_e32 v6, 0x3800, v6
	s_delay_alu instid0(VALU_DEP_4) | instskip(NEXT) | instid1(VALU_DEP_2)
	v_ashrrev_i32_e32 v2, 31, v1
	v_or3_b32 v5, v6, v7, v5
	s_delay_alu instid0(VALU_DEP_2) | instskip(SKIP_2) | instid1(VALU_DEP_1)
	v_lshlrev_b64 v[1:2], 1, v[1:2]
	s_add_u32 s5, s6, s8
	s_addc_u32 s6, s7, s9
	v_add_co_u32 v1, vcc_lo, s5, v1
	s_delay_alu instid0(VALU_DEP_2) | instskip(NEXT) | instid1(VALU_DEP_2)
	v_add_co_ci_u32_e32 v2, vcc_lo, s6, v2, vcc_lo
	v_add_co_u32 v1, vcc_lo, v1, v65
	s_delay_alu instid0(VALU_DEP_2)
	v_add_co_ci_u32_e32 v2, vcc_lo, 0, v2, vcc_lo
	global_load_b128 v[1:4], v[1:2], off
	s_waitcnt vmcnt(0)
	ds_store_b128 v5, v[1:4]
.LBB1021_10:
	s_or_b32 exec_lo, exec_lo, s4
	v_and_b32_e32 v1, 0xef, v0
	s_waitcnt lgkmcnt(0)
	s_add_i32 s5, s24, 31
	s_clause 0x1
	s_load_b32 s4, s[0:1], 0x38
	s_load_b32 s33, s[0:1], 0x98
	s_ashr_i32 s6, s5, 31
	v_add_nc_u32_e32 v1, s12, v1
	s_lshr_b32 s6, s6, 27
	s_load_b32 s19, s[0:1], 0x1c
	s_add_i32 s5, s5, s6
	s_waitcnt lgkmcnt(0)
	v_ashrrev_i32_e32 v2, 31, v1
	v_or_b32_e32 v3, 16, v1
	s_ashr_i32 s13, s5, 5
	v_cmp_gt_i32_e32 vcc_lo, s24, v1
	s_add_i32 s13, s13, -1
	v_lshrrev_b32_e32 v2, 27, v2
	s_barrier
	buffer_gl0_inv
	s_mul_i32 s15, s15, s18
	v_add_nc_u32_e32 v4, v1, v2
	s_mul_i32 s4, s30, s4
	s_delay_alu instid0(SALU_CYCLE_1) | instskip(NEXT) | instid1(VALU_DEP_1)
	s_ashr_i32 s5, s4, 31
	v_ashrrev_i32_e32 v4, 5, v4
	v_add_nc_u32_e32 v2, v3, v2
	s_lshl_b64 s[4:5], s[4:5], 2
	s_delay_alu instid0(SALU_CYCLE_1) | instskip(NEXT) | instid1(VALU_DEP_2)
	s_add_u32 s16, s2, s4
	v_cndmask_b32_e32 v1, s13, v4, vcc_lo
	s_delay_alu instid0(VALU_DEP_2)
	v_ashrrev_i32_e32 v2, 5, v2
	v_cmp_gt_i32_e32 vcc_lo, s24, v3
	s_addc_u32 s25, s3, s5
	s_ashr_i32 s18, s15, 31
	s_add_u32 s2, s20, s15
	s_addc_u32 s3, s21, s18
	v_cndmask_b32_e32 v3, s13, v2, vcc_lo
	v_ashrrev_i32_e32 v2, 31, v1
	s_lshl_b32 s4, s14, 3
	s_delay_alu instid0(SALU_CYCLE_1) | instskip(NEXT) | instid1(VALU_DEP_2)
	s_ashr_i32 s5, s4, 31
	v_ashrrev_i32_e32 v4, 31, v3
	s_delay_alu instid0(VALU_DEP_2) | instskip(SKIP_1) | instid1(SALU_CYCLE_1)
	v_lshlrev_b64 v[1:2], 2, v[1:2]
	s_lshl_b64 s[4:5], s[4:5], 2
	s_add_u32 s4, s16, s4
	s_delay_alu instid0(VALU_DEP_2) | instskip(SKIP_1) | instid1(VALU_DEP_2)
	v_lshlrev_b64 v[3:4], 2, v[3:4]
	s_addc_u32 s5, s25, s5
	v_add_co_u32 v1, vcc_lo, s16, v1
	v_add_co_ci_u32_e32 v2, vcc_lo, s25, v2, vcc_lo
	s_delay_alu instid0(VALU_DEP_3) | instskip(NEXT) | instid1(VALU_DEP_4)
	v_add_co_u32 v3, vcc_lo, s16, v3
	v_add_co_ci_u32_e32 v4, vcc_lo, s25, v4, vcc_lo
	s_clause 0x1
	global_load_b32 v5, v[1:2], off
	global_load_b32 v6, v[3:4], off
	s_or_b32 s6, s12, 32
	s_delay_alu instid0(SALU_CYCLE_1) | instskip(SKIP_2) | instid1(SALU_CYCLE_1)
	s_ashr_i32 s7, s6, 5
	s_cmp_lt_i32 s6, s24
	s_cselect_b32 s6, s7, s13
	s_ashr_i32 s7, s6, 31
	s_delay_alu instid0(SALU_CYCLE_1) | instskip(NEXT) | instid1(SALU_CYCLE_1)
	s_lshl_b64 s[6:7], s[6:7], 2
	s_add_u32 s6, s16, s6
	s_addc_u32 s7, s25, s7
	s_or_b32 s8, s12, 64
	s_delay_alu instid0(SALU_CYCLE_1) | instskip(SKIP_2) | instid1(SALU_CYCLE_1)
	s_ashr_i32 s9, s8, 5
	s_cmp_lt_i32 s8, s24
	s_cselect_b32 s8, s9, s13
	s_ashr_i32 s9, s8, 31
	s_delay_alu instid0(SALU_CYCLE_1) | instskip(NEXT) | instid1(SALU_CYCLE_1)
	s_lshl_b64 s[8:9], s[8:9], 2
	s_add_u32 s8, s16, s8
	s_addc_u32 s9, s25, s9
	;; [unrolled: 10-line block ×5, first 2 shown]
	s_clause 0x5
	s_load_b32 s28, s[4:5], 0x0
	s_load_b32 s29, s[6:7], 0x0
	;; [unrolled: 1-line block ×6, first 2 shown]
	s_mov_b32 s4, 0
	s_delay_alu instid0(SALU_CYCLE_1)
	s_mov_b32 s5, s4
	s_mov_b32 s6, s4
	;; [unrolled: 1-line block ×7, first 2 shown]
	s_delay_alu instid0(SALU_CYCLE_1)
	v_dual_mov_b32 v118, s11 :: v_dual_mov_b32 v117, s10
	v_dual_mov_b32 v116, s9 :: v_dual_mov_b32 v115, s8
	v_mov_b32_e32 v113, s6
	v_dual_mov_b32 v111, s4 :: v_dual_mov_b32 v114, s7
	v_mov_b32_e32 v112, s5
	s_waitcnt vmcnt(1)
	v_mad_i64_i32 v[1:2], null, v5, s17, s[2:3]
	v_lshlrev_b32_e32 v5, 4, v68
	s_waitcnt vmcnt(0)
	v_mad_i64_i32 v[3:4], null, v6, s17, s[2:3]
	s_or_b32 s2, s12, 0xc0
	s_delay_alu instid0(SALU_CYCLE_1) | instskip(NEXT) | instid1(VALU_DEP_3)
	s_ashr_i32 s3, s2, 5
	v_add_co_u32 v1, vcc_lo, v1, v5
	s_delay_alu instid0(VALU_DEP_4) | instskip(NEXT) | instid1(VALU_DEP_3)
	v_add_co_ci_u32_e32 v2, vcc_lo, 0, v2, vcc_lo
	v_add_co_u32 v3, vcc_lo, v3, v5
	s_delay_alu instid0(VALU_DEP_4)
	v_add_co_ci_u32_e32 v4, vcc_lo, 0, v4, vcc_lo
	s_clause 0xf
	global_load_b128 v[17:20], v[1:2], off
	global_load_b128 v[21:24], v[1:2], off offset:512
	global_load_b128 v[25:28], v[3:4], off offset:256
	;; [unrolled: 1-line block ×15, first 2 shown]
	s_cmp_lt_i32 s2, s24
	v_add_nc_u32_e32 v1, -12, v68
	s_cselect_b32 s2, s3, s13
	v_cmp_gt_u32_e32 vcc_lo, 12, v68
	s_ashr_i32 s3, s2, 31
	v_lshlrev_b32_e32 v2, 5, v68
	s_lshl_b64 s[2:3], s[2:3], 2
	s_delay_alu instid0(SALU_CYCLE_1)
	s_add_u32 s2, s16, s2
	s_addc_u32 s3, s25, s3
	s_or_b32 s20, s12, 0xe0
	v_cndmask_b32_e32 v1, v1, v68, vcc_lo
	s_ashr_i32 s21, s20, 5
	s_cmp_lt_i32 s20, s24
	s_cselect_b32 s20, s21, s13
	s_delay_alu instid0(VALU_DEP_1)
	v_lshlrev_b32_e32 v149, 6, v1
	s_ashr_i32 s21, s20, 31
	v_lshl_or_b32 v1, v69, 9, v2
	s_lshl_b64 s[4:5], s[20:21], 2
	ds_load_b128 v[119:122], v149
	ds_load_b128 v[123:126], v149 offset:1024
	s_add_u32 s4, s16, s4
	s_addc_u32 s5, s25, s5
	ds_load_b128 v[127:130], v149 offset:2048
	ds_load_b128 v[131:134], v149 offset:3072
	s_clause 0x1
	s_load_b32 s2, s[2:3], 0x0
	s_load_b32 s3, s[4:5], 0x0
	s_add_u32 s6, s22, s15
	s_addc_u32 s7, s23, s18
	v_add_co_u32 v135, s6, s6, v1
	s_delay_alu instid0(VALU_DEP_1) | instskip(SKIP_1) | instid1(VALU_DEP_1)
	v_add_co_ci_u32_e64 v136, null, s7, 0, s6
	s_waitcnt lgkmcnt(0)
	v_mad_i64_i32 v[1:2], null, s28, s17, v[135:136]
	v_mad_i64_i32 v[3:4], null, s29, s17, v[135:136]
	;; [unrolled: 1-line block ×6, first 2 shown]
	s_clause 0x9
	global_load_b128 v[49:52], v[1:2], off
	global_load_b128 v[53:56], v[1:2], off offset:16
	global_load_b128 v[41:44], v[3:4], off
	global_load_b128 v[45:48], v[3:4], off offset:16
	;; [unrolled: 2-line block ×5, first 2 shown]
	v_mad_i64_i32 v[145:146], null, s2, s17, v[135:136]
	v_mad_i64_i32 v[147:148], null, s3, s17, v[135:136]
	s_waitcnt vmcnt(24)
	v_wmma_f32_16x16x16_f16 v[135:142], v[17:24], v[119:126], v[111:118]
	s_waitcnt vmcnt(22)
	v_wmma_f32_16x16x16_f16 v[111:118], v[25:32], v[119:126], v[111:118]
	s_clause 0x3
	global_load_b128 v[17:20], v[143:144], off
	global_load_b128 v[21:24], v[143:144], off offset:16
	global_load_b128 v[25:28], v[145:146], off
	global_load_b128 v[29:32], v[145:146], off offset:16
	v_and_b32_e32 v119, 0xe0, v0
	s_waitcnt vmcnt(24)
	v_wmma_f32_16x16x16_f16 v[135:142], v[57:64], v[127:134], v[135:142]
	s_clause 0x1
	global_load_b128 v[57:60], v[147:148], off
	global_load_b128 v[61:64], v[147:148], off offset:16
	s_waitcnt vmcnt(24)
	v_wmma_f32_16x16x16_f16 v[111:118], v[71:78], v[127:134], v[111:118]
	ds_load_b128 v[71:74], v149 offset:4096
	ds_load_b128 v[75:78], v149 offset:5120
	v_add_nc_u32_e32 v128, s12, v119
	ds_load_b128 v[119:122], v149 offset:6144
	ds_load_b128 v[123:126], v149 offset:7168
	v_mbcnt_lo_u32_b32 v127, -1, 0
	s_waitcnt vmcnt(0) lgkmcnt(0)
	s_barrier
	v_or_b32_e32 v128, v128, v66
	buffer_gl0_inv
	v_xor_b32_e32 v129, 16, v127
	v_or_b32_e32 v130, 4, v128
	v_or_b32_e32 v131, 6, v128
	s_delay_alu instid0(VALU_DEP_3) | instskip(SKIP_4) | instid1(VALU_DEP_4)
	v_cmp_gt_i32_e32 vcc_lo, 32, v129
	v_or_b32_e32 v132, 8, v128
	v_or_b32_e32 v133, 10, v128
	v_cmp_gt_i32_e64 s3, s24, v130
	v_cmp_gt_i32_e64 s4, s24, v131
	;; [unrolled: 1-line block ×3, first 2 shown]
	v_wmma_f32_16x16x16_f16 v[135:142], v[79:86], v[71:78], v[135:142]
	v_wmma_f32_16x16x16_f16 v[111:118], v[87:94], v[71:78], v[111:118]
	v_or_b32_e32 v79, 12, v128
	v_or_b32_e32 v80, 14, v128
	v_cmp_gt_i32_e64 s6, s24, v133
	v_wmma_f32_16x16x16_f16 v[135:142], v[95:102], v[119:126], v[135:142]
	v_wmma_f32_16x16x16_f16 v[111:118], v[103:110], v[119:126], v[111:118]
	v_cndmask_b32_e32 v127, v127, v129, vcc_lo
	v_or_b32_e32 v129, 2, v128
	v_cmp_gt_i32_e32 vcc_lo, s24, v128
	s_delay_alu instid0(VALU_DEP_4) | instskip(SKIP_1) | instid1(VALU_DEP_4)
	v_dual_mul_f32 v87, s19, v136 :: v_dual_mul_f32 v94, s19, v113
	v_mul_f32_e32 v88, s19, v135
	v_cmp_gt_i32_e64 s2, s24, v129
	v_mul_f32_e32 v78, s19, v138
	v_mul_f32_e32 v86, s19, v137
	;; [unrolled: 1-line block ×3, first 2 shown]
	v_cndmask_b32_e32 v88, 0xff7fffff, v88, vcc_lo
	v_cndmask_b32_e64 v87, 0xff7fffff, v87, s2
	v_dual_mul_f32 v77, s19, v139 :: v_dual_mul_f32 v90, s19, v117
	v_cndmask_b32_e64 v86, 0xff7fffff, v86, s3
	v_cndmask_b32_e64 v78, 0xff7fffff, v78, s4
	s_delay_alu instid0(VALU_DEP_4)
	v_max3_f32 v87, v88, 0xff7fffff, v87
	v_or_b32_e32 v81, 16, v128
	v_or_b32_e32 v82, 18, v128
	v_dual_mul_f32 v74, s19, v142 :: v_dual_mul_f32 v75, s19, v141
	v_mul_f32_e32 v96, s19, v111
	v_cndmask_b32_e64 v77, 0xff7fffff, v77, s5
	v_cndmask_b32_e64 v76, 0xff7fffff, v76, s6
	v_max3_f32 v78, v87, v86, v78
	v_cmp_gt_i32_e64 s7, s24, v79
	v_cmp_gt_i32_e64 s8, s24, v80
	v_or_b32_e32 v83, 20, v128
	v_or_b32_e32 v84, 22, v128
	v_mul_f32_e32 v95, s19, v112
	v_cndmask_b32_e64 v75, 0xff7fffff, v75, s7
	v_cndmask_b32_e64 v74, 0xff7fffff, v74, s8
	v_max3_f32 v76, v78, v77, v76
	v_cmp_gt_i32_e64 s9, s24, v81
	v_cmp_gt_i32_e64 s10, s24, v82
	v_or_b32_e32 v85, 24, v128
	v_or_b32_e32 v71, 26, v128
	;; [unrolled: 8-line block ×3, first 2 shown]
	v_dual_mul_f32 v91, s19, v116 :: v_dual_mul_f32 v92, s19, v115
	v_cndmask_b32_e64 v75, 0xff7fffff, v94, s11
	v_cndmask_b32_e64 v76, 0xff7fffff, v93, s12
	v_max3_f32 v74, v74, v77, v78
	v_cmp_gt_i32_e64 s13, s24, v85
	v_cmp_gt_i32_e64 s15, s24, v71
	v_mul_f32_e32 v89, s19, v118
	v_cmp_gt_i32_e64 s16, s24, v72
	v_max3_f32 v74, v74, v75, v76
	v_cndmask_b32_e64 v77, 0xff7fffff, v92, s13
	v_cndmask_b32_e64 v71, 0xff7fffff, v91, s15
	v_cmp_gt_i32_e64 s17, s24, v73
	v_cndmask_b32_e64 v72, 0xff7fffff, v90, s16
	s_delay_alu instid0(VALU_DEP_3) | instskip(SKIP_1) | instid1(VALU_DEP_4)
	v_max3_f32 v71, v74, v77, v71
	v_lshlrev_b32_e32 v74, 2, v127
	v_cndmask_b32_e64 v73, 0xff7fffff, v89, s17
	s_delay_alu instid0(VALU_DEP_1) | instskip(SKIP_3) | instid1(VALU_DEP_1)
	v_max3_f32 v71, v71, v72, v73
	ds_bpermute_b32 v72, v74, v71
	s_waitcnt lgkmcnt(0)
	v_max_f32_e32 v72, v72, v72
	v_max_f32_e32 v71, v71, v72
	s_delay_alu instid0(VALU_DEP_1) | instskip(SKIP_4) | instid1(VALU_DEP_4)
	v_fma_f32 v72, s19, v135, -v71
	v_fma_f32 v73, s19, v136, -v71
	;; [unrolled: 1-line block ×5, first 2 shown]
	v_dual_mul_f32 v72, 0x3fb8aa3b, v72 :: v_dual_mul_f32 v73, 0x3fb8aa3b, v73
	s_delay_alu instid0(VALU_DEP_3) | instskip(SKIP_1) | instid1(VALU_DEP_3)
	v_dual_mul_f32 v75, 0x3fb8aa3b, v75 :: v_dual_mul_f32 v76, 0x3fb8aa3b, v76
	v_fma_f32 v80, s19, v141, -v71
	v_exp_f32_e32 v72, v72
	s_delay_alu instid0(VALU_DEP_3) | instskip(NEXT) | instid1(VALU_DEP_2)
	v_exp_f32_e32 v73, v73
	v_exp_f32_e32 v75, v75
	;; [unrolled: 1-line block ×3, first 2 shown]
	v_mul_f32_e32 v82, 0x3fb8aa3b, v80
	s_delay_alu instid0(VALU_DEP_1) | instskip(SKIP_4) | instid1(TRANS32_DEP_3)
	v_exp_f32_e32 v84, v82
	v_cndmask_b32_e32 v79, 0, v72, vcc_lo
	v_fma_f32 v72, s19, v140, -v71
	v_mul_f32_e32 v77, 0x3fb8aa3b, v77
	v_cndmask_b32_e64 v78, 0, v73, s2
	v_cndmask_b32_e64 v81, 0, v75, s3
	s_delay_alu instid0(VALU_DEP_4) | instskip(NEXT) | instid1(VALU_DEP_4)
	v_dual_add_f32 v73, 0, v79 :: v_dual_mul_f32 v72, 0x3fb8aa3b, v72
	v_exp_f32_e32 v77, v77
	v_cndmask_b32_e64 v80, 0, v76, s4
	s_delay_alu instid0(TRANS32_DEP_2) | instskip(NEXT) | instid1(VALU_DEP_3)
	v_cndmask_b32_e64 v85, 0, v84, s7
	v_add_f32_e32 v73, v73, v78
	v_exp_f32_e32 v72, v72
	s_mov_b32 s2, exec_lo
	s_delay_alu instid0(VALU_DEP_1) | instskip(SKIP_4) | instid1(VALU_DEP_2)
	v_add_f32_e32 v73, v73, v81
	s_waitcnt_depctr 0xfff
	v_cndmask_b32_e64 v83, 0, v77, s5
	v_add_f32_e32 v73, v73, v80
	v_cndmask_b32_e64 v82, 0, v72, s6
	v_add_f32_e32 v72, v73, v83
	s_delay_alu instid0(VALU_DEP_1) | instskip(NEXT) | instid1(VALU_DEP_1)
	v_add_f32_e32 v72, v72, v82
	v_add_f32_e32 v72, v72, v85
	v_fma_f32 v76, s19, v111, -v71
	v_fma_f32 v75, s19, v142, -v71
	;; [unrolled: 1-line block ×5, first 2 shown]
	s_delay_alu instid0(VALU_DEP_4) | instskip(NEXT) | instid1(VALU_DEP_3)
	v_dual_mul_f32 v76, 0x3fb8aa3b, v76 :: v_dual_mul_f32 v75, 0x3fb8aa3b, v75
	v_mul_f32_e32 v86, 0x3fb8aa3b, v86
	s_delay_alu instid0(VALU_DEP_2) | instskip(NEXT) | instid1(VALU_DEP_2)
	v_exp_f32_e32 v76, v76
	v_exp_f32_e32 v75, v75
	s_delay_alu instid0(VALU_DEP_1) | instskip(NEXT) | instid1(TRANS32_DEP_3)
	v_exp_f32_e32 v88, v86
	v_cndmask_b32_e64 v87, 0, v76, s9
	v_fma_f32 v76, s19, v116, -v71
	v_mul_f32_e32 v77, 0x3fb8aa3b, v77
	s_waitcnt_depctr 0xfff
	v_cndmask_b32_e64 v84, 0, v75, s8
	v_fma_f32 v75, s19, v115, -v71
	v_cndmask_b32_e64 v88, 0, v88, s12
	v_mul_f32_e32 v76, 0x3fb8aa3b, v76
	v_exp_f32_e32 v77, v77
	v_add_f32_e32 v72, v72, v84
	s_delay_alu instid0(VALU_DEP_2) | instskip(NEXT) | instid1(VALU_DEP_1)
	v_exp_f32_e32 v76, v76
	v_add_f32_e32 v72, v72, v87
	s_waitcnt_depctr 0xfff
	v_cndmask_b32_e64 v86, 0, v77, s10
	v_mul_f32_e32 v73, 0x3fb8aa3b, v73
	v_fma_f32 v77, s19, v117, -v71
	v_cndmask_b32_e64 v90, 0, v76, s15
	s_delay_alu instid0(VALU_DEP_4) | instskip(NEXT) | instid1(VALU_DEP_4)
	v_add_f32_e32 v72, v72, v86
	v_exp_f32_e32 v73, v73
	s_waitcnt_depctr 0xfff
	v_cndmask_b32_e64 v89, 0, v73, s11
	s_delay_alu instid0(VALU_DEP_1) | instskip(NEXT) | instid1(VALU_DEP_1)
	v_dual_mul_f32 v75, 0x3fb8aa3b, v75 :: v_dual_add_f32 v72, v72, v89
	v_exp_f32_e32 v75, v75
	v_mul_f32_e32 v73, 0x3fb8aa3b, v77
	v_fma_f32 v77, s19, v118, -v71
	s_delay_alu instid0(VALU_DEP_3) | instskip(NEXT) | instid1(VALU_DEP_3)
	v_add_f32_e32 v72, v72, v88
	v_exp_f32_e32 v73, v73
	s_waitcnt_depctr 0xfff
	v_cndmask_b32_e64 v91, 0, v75, s13
	s_delay_alu instid0(VALU_DEP_1) | instskip(NEXT) | instid1(VALU_DEP_1)
	v_dual_mul_f32 v75, 0x3fb8aa3b, v77 :: v_dual_add_f32 v72, v72, v91
	v_exp_f32_e32 v75, v75
	v_cndmask_b32_e64 v93, 0, v73, s16
	s_delay_alu instid0(VALU_DEP_2) | instskip(NEXT) | instid1(VALU_DEP_1)
	v_add_f32_e32 v72, v72, v90
	v_add_f32_e32 v72, v72, v93
	s_waitcnt_depctr 0xfff
	v_cndmask_b32_e64 v92, 0, v75, s17
	s_delay_alu instid0(VALU_DEP_1)
	v_add_f32_e32 v72, v72, v92
	ds_bpermute_b32 v73, v74, v72
	v_cmpx_gt_u32_e32 16, v70
	s_cbranch_execz .LBB1021_12
; %bb.11:
	v_mul_u32_u24_e32 v70, 0x44, v69
	s_waitcnt lgkmcnt(0)
	v_add_f32_e32 v72, v72, v73
	s_delay_alu instid0(VALU_DEP_2) | instskip(NEXT) | instid1(VALU_DEP_1)
	v_lshl_add_u32 v70, v68, 2, v70
	v_add_nc_u32_e32 v70, 0x4000, v70
	ds_store_2addr_b32 v70, v71, v72 offset1:136
.LBB1021_12:
	s_or_b32 exec_lo, exec_lo, s2
	v_lshlrev_b32_e32 v70, 2, v68
	s_load_b32 s34, s[0:1], 0x94
	s_waitcnt lgkmcnt(0)
	s_barrier
	buffer_gl0_inv
	v_add_nc_u32_e32 v98, 0x4000, v70
	v_cmp_eq_u32_e32 vcc_lo, 1, v69
	v_cmp_eq_u32_e64 s2, 2, v69
	v_cmp_eq_u32_e64 s3, 3, v69
	;; [unrolled: 1-line block ×3, first 2 shown]
	ds_load_2addr_b32 v[70:71], v98 offset1:17
	ds_load_2addr_b32 v[72:73], v98 offset0:34 offset1:51
	ds_load_2addr_b32 v[74:75], v98 offset0:68 offset1:85
	;; [unrolled: 1-line block ×3, first 2 shown]
	v_cmp_eq_u32_e64 s5, 5, v69
	v_cmp_eq_u32_e64 s6, 7, v69
	s_waitcnt lgkmcnt(3)
	v_max3_f32 v76, v70, 0xff7fffff, v71
	s_waitcnt lgkmcnt(2)
	s_delay_alu instid0(VALU_DEP_1) | instskip(SKIP_1) | instid1(VALU_DEP_1)
	v_max3_f32 v76, v76, v72, v73
	s_waitcnt lgkmcnt(1)
	v_max3_f32 v76, v76, v74, v75
	s_waitcnt lgkmcnt(0)
	s_delay_alu instid0(VALU_DEP_1) | instskip(NEXT) | instid1(VALU_DEP_1)
	v_max3_f32 v76, v76, v94, v95
	v_sub_f32_e32 v77, v71, v76
	ds_load_2addr_b32 v[96:97], v98 offset0:136 offset1:153
	v_sub_f32_e32 v74, v74, v76
	v_sub_f32_e32 v70, v70, v76
	;; [unrolled: 1-line block ×3, first 2 shown]
	v_dual_sub_f32 v72, v72, v76 :: v_dual_mul_f32 v77, 0x3fb8aa3b, v77
	s_delay_alu instid0(VALU_DEP_4) | instskip(NEXT) | instid1(VALU_DEP_4)
	v_mul_f32_e32 v103, 0x3fb8aa3b, v74
	v_mul_f32_e32 v99, 0x3fb8aa3b, v70
	ds_load_2addr_b32 v[70:71], v98 offset0:170 offset1:187
	v_dual_mul_f32 v101, 0x3fb8aa3b, v72 :: v_dual_mul_f32 v94, 0x3fb8aa3b, v94
	v_exp_f32_e32 v102, v77
	v_exp_f32_e32 v99, v99
	s_delay_alu instid0(VALU_DEP_1) | instskip(NEXT) | instid1(VALU_DEP_1)
	v_exp_f32_e32 v101, v101
	v_exp_f32_e32 v94, v94
	s_waitcnt lgkmcnt(1)
	s_delay_alu instid0(TRANS32_DEP_3)
	v_fma_f32 v77, v99, v96, 0
	v_sub_f32_e32 v100, v73, v76
	ds_load_2addr_b32 v[72:73], v98 offset0:204 offset1:221
	v_fmac_f32_e32 v77, v102, v97
	v_exp_f32_e32 v97, v103
	s_waitcnt lgkmcnt(1)
	s_delay_alu instid0(VALU_DEP_1)
	v_dual_fmac_f32 v77, v101, v70 :: v_dual_sub_f32 v96, v75, v76
	ds_load_2addr_b32 v[74:75], v98 offset0:238 offset1:255
	v_sub_f32_e32 v70, v95, v76
	s_waitcnt lgkmcnt(0)
	s_barrier
	v_mul_f32_e32 v96, 0x3fb8aa3b, v96
	buffer_gl0_inv
	v_exp_f32_e32 v95, v96
	v_mul_f32_e32 v100, 0x3fb8aa3b, v100
	s_delay_alu instid0(VALU_DEP_1) | instskip(SKIP_3) | instid1(VALU_DEP_2)
	v_exp_f32_e32 v100, v100
	s_waitcnt_depctr 0xfff
	v_dual_fmac_f32 v77, v100, v71 :: v_dual_mul_f32 v70, 0x3fb8aa3b, v70
	v_cndmask_b32_e32 v71, v99, v102, vcc_lo
	v_fmac_f32_e32 v77, v97, v72
	s_delay_alu instid0(VALU_DEP_3) | instskip(NEXT) | instid1(VALU_DEP_1)
	v_exp_f32_e32 v96, v70
	v_fmac_f32_e32 v77, v95, v73
	s_delay_alu instid0(VALU_DEP_1) | instskip(SKIP_2) | instid1(VALU_DEP_1)
	v_fmac_f32_e32 v77, v94, v74
	s_waitcnt_depctr 0xfff
	v_fmac_f32_e32 v77, v96, v75
	v_add_f32_e32 v74, 0x358637bd, v77
	s_delay_alu instid0(VALU_DEP_1) | instskip(SKIP_1) | instid1(VALU_DEP_2)
	v_div_scale_f32 v98, null, v74, v74, 1.0
	v_div_scale_f32 v99, vcc_lo, 1.0, v74, 1.0
	v_rcp_f32_e32 v103, v98
	s_waitcnt_depctr 0xfff
	v_fma_f32 v70, -v98, v103, 1.0
	s_delay_alu instid0(VALU_DEP_1) | instskip(SKIP_2) | instid1(VALU_DEP_2)
	v_fmac_f32_e32 v103, v70, v103
	v_cndmask_b32_e64 v70, v71, v101, s2
	v_cmp_eq_u32_e64 s2, 6, v69
	v_cndmask_b32_e64 v71, v70, v100, s3
	s_delay_alu instid0(VALU_DEP_4) | instskip(NEXT) | instid1(VALU_DEP_2)
	v_dual_mul_f32 v101, v99, v103 :: v_dual_lshlrev_b32 v70, 2, v66
	v_cndmask_b32_e64 v71, v71, v97, s4
	s_delay_alu instid0(VALU_DEP_2) | instskip(NEXT) | instid1(VALU_DEP_3)
	v_or_b32_e32 v72, 1, v70
	v_fma_f32 v100, -v98, v101, v99
	v_cmp_eq_u32_e64 s3, 1, v70
	v_cmp_eq_u32_e64 s4, 2, v70
	v_cndmask_b32_e64 v95, v71, v95, s5
	v_or_b32_e32 v71, 3, v70
	v_fmac_f32_e32 v101, v100, v103
	v_cmp_eq_u32_e64 s8, 1, v72
	v_cmp_eq_u32_e64 s11, 2, v72
	v_cndmask_b32_e64 v94, v95, v94, s2
	v_cmp_eq_u32_e64 s10, 1, v71
	v_fma_f32 v97, -v98, v101, v99
	v_cmp_eq_u32_e64 s15, 2, v71
	v_cmp_eq_u32_e64 s12, 3, v72
	v_cndmask_b32_e64 v94, v94, v96, s6
	v_cmp_eq_u32_e64 s17, 3, v71
	v_div_fmas_f32 v95, v97, v103, v101
	v_cmp_eq_u32_e32 vcc_lo, 3, v70
	v_cmp_eq_u32_e64 s2, 4, v70
	v_cmp_eq_u32_e64 s18, 4, v72
	;; [unrolled: 1-line block ×3, first 2 shown]
	v_div_fixup_f32 v95, v95, v74, 1.0
	v_lshlrev_b32_e32 v73, 6, v68
	v_cmp_eq_u32_e64 s5, 5, v70
	v_cmp_eq_u32_e64 s19, 5, v72
	;; [unrolled: 1-line block ×3, first 2 shown]
	v_mul_f32_e32 v102, v94, v95
	v_lshl_or_b32 v75, v69, 11, v73
	v_or_b32_e32 v69, 2, v70
	v_cmp_eq_u32_e64 s24, 6, v72
	v_cmp_eq_u32_e64 s26, 6, v71
	v_fma_mixlo_f16 v94, v102, v79, 0
	v_fma_mixlo_f16 v95, v102, v81, 0
	;; [unrolled: 1-line block ×8, first 2 shown]
	v_lshl_or_b32 v74, v66, 4, v75
	v_fma_mixhi_f16 v94, v102, v78, 0
	v_fma_mixhi_f16 v95, v102, v80, 0
	;; [unrolled: 1-line block ×8, first 2 shown]
	ds_store_b128 v74, v[94:97]
	ds_store_b128 v74, v[98:101] offset:1024
	s_waitcnt lgkmcnt(0)
	s_barrier
	buffer_gl0_inv
	ds_load_b128 v[78:81], v75
	ds_load_b128 v[82:85], v75 offset:16
	ds_load_b128 v[86:89], v75 offset:1024
	;; [unrolled: 1-line block ×3, first 2 shown]
	v_cmp_eq_u32_e64 s9, 1, v69
	v_cmp_eq_u32_e64 s13, 2, v69
	;; [unrolled: 1-line block ×11, first 2 shown]
	s_waitcnt lgkmcnt(3)
	v_lshrrev_b32_e32 v94, 16, v78
	s_waitcnt lgkmcnt(2)
	v_lshrrev_b32_e32 v98, 16, v82
	;; [unrolled: 2-line block ×4, first 2 shown]
	v_lshrrev_b32_e32 v95, 16, v79
	v_cndmask_b32_e64 v110, v78, v94, s3
	v_cndmask_b32_e64 v111, v82, v98, s3
	;; [unrolled: 1-line block ×8, first 2 shown]
	v_lshrrev_b32_e32 v99, 16, v83
	v_cndmask_b32_e64 v94, v86, v102, s3
	v_cndmask_b32_e64 v98, v90, v106, s3
	;; [unrolled: 1-line block ×15, first 2 shown]
	v_lshrrev_b32_e32 v103, 16, v87
	v_lshrrev_b32_e32 v107, 16, v91
	v_cndmask_b32_e64 v113, v115, v83, s13
	v_cndmask_b32_e64 v82, v94, v87, s4
	;; [unrolled: 1-line block ×7, first 2 shown]
	v_cndmask_b32_e32 v90, v102, v95, vcc_lo
	v_cndmask_b32_e32 v102, v106, v99, vcc_lo
	v_cndmask_b32_e64 v106, v110, v95, s12
	v_cndmask_b32_e64 v110, v111, v99, s12
	;; [unrolled: 1-line block ×4, first 2 shown]
	v_lshrrev_b32_e32 v96, 16, v80
	v_lshrrev_b32_e32 v100, 16, v84
	v_cndmask_b32_e64 v111, v112, v95, s16
	v_cndmask_b32_e64 v112, v113, v99, s16
	v_cndmask_b32_e32 v82, v82, v103, vcc_lo
	v_cndmask_b32_e32 v83, v83, v107, vcc_lo
	v_cndmask_b32_e64 v94, v94, v103, s12
	v_cndmask_b32_e64 v90, v90, v80, s2
	;; [unrolled: 1-line block ×7, first 2 shown]
	v_lshrrev_b32_e32 v104, 16, v88
	v_cndmask_b32_e64 v106, v111, v80, s20
	v_cndmask_b32_e64 v110, v112, v84, s20
	;; [unrolled: 1-line block ×11, first 2 shown]
	v_lshrrev_b32_e32 v97, 16, v81
	v_lshrrev_b32_e32 v101, 16, v85
	v_cndmask_b32_e64 v99, v106, v96, s22
	v_cndmask_b32_e64 v102, v110, v100, s22
	;; [unrolled: 1-line block ×7, first 2 shown]
	v_lshrrev_b32_e32 v105, 16, v89
	v_cndmask_b32_e64 v80, v80, v104, s5
	v_cndmask_b32_e64 v84, v84, v81, s6
	;; [unrolled: 1-line block ×16, first 2 shown]
	v_perm_b32 v81, v79, v78, 0x5040100
	v_perm_b32 v79, v95, v85, 0x5040100
	v_cndmask_b32_e64 v78, v119, v91, s13
	v_cndmask_b32_e64 v85, v117, v91, s11
	;; [unrolled: 1-line block ×3, first 2 shown]
	v_perm_b32 v80, v94, v90, 0x5040100
	v_cndmask_b32_e64 v90, v98, v103, s16
	v_cndmask_b32_e64 v86, v86, v103, s17
	;; [unrolled: 1-line block ×5, first 2 shown]
	v_lshrrev_b32_e32 v108, 16, v92
	v_cndmask_b32_e64 v90, v90, v88, s20
	v_cndmask_b32_e64 v86, v86, v88, s21
	;; [unrolled: 1-line block ×11, first 2 shown]
	v_lshrrev_b32_e32 v109, 16, v93
	v_cndmask_b32_e64 v82, v82, v93, s6
	v_cndmask_b32_e64 v88, v88, v89, s25
	;; [unrolled: 1-line block ×12, first 2 shown]
	v_perm_b32 v78, v84, v83, 0x5040100
	v_perm_b32 v85, v87, v86, 0x5040100
	;; [unrolled: 1-line block ×5, first 2 shown]
	s_mul_i32 s7, s33, 12
	s_mov_b32 s2, exec_lo
	ds_store_b128 v74, v[78:81]
	ds_store_b128 v74, v[82:85] offset:1024
	v_cmpx_gt_u32_e32 12, v0
	s_cbranch_execz .LBB1021_14
; %bb.13:
	s_mul_i32 s3, s7, s30
	s_load_b128 s[8:11], s[0:1], 0x58
	v_add3_u32 v68, s3, s31, v68
	s_delay_alu instid0(VALU_DEP_1) | instskip(NEXT) | instid1(VALU_DEP_1)
	v_mad_u64_u32 v[78:79], null, v68, s34, s[14:15]
	v_ashrrev_i32_e32 v79, 31, v78
	s_delay_alu instid0(VALU_DEP_1) | instskip(SKIP_1) | instid1(VALU_DEP_1)
	v_lshlrev_b64 v[78:79], 2, v[78:79]
	s_waitcnt lgkmcnt(0)
	v_add_co_u32 v80, vcc_lo, s10, v78
	s_delay_alu instid0(VALU_DEP_2)
	v_add_co_ci_u32_e32 v81, vcc_lo, s11, v79, vcc_lo
	v_add_co_u32 v78, vcc_lo, s8, v78
	v_add_co_ci_u32_e32 v79, vcc_lo, s9, v79, vcc_lo
	global_store_b32 v[80:81], v76, off
	global_store_b32 v[78:79], v77, off
.LBB1021_14:
	s_or_b32 exec_lo, exec_lo, s2
	s_waitcnt lgkmcnt(0)
	s_waitcnt_vscnt null, 0x0
	s_barrier
	buffer_gl0_inv
	ds_load_b128 v[84:87], v73
	ds_load_b128 v[88:91], v73 offset:16
	ds_load_b128 v[96:99], v73 offset:2064
	;; [unrolled: 1-line block ×5, first 2 shown]
	v_cmp_eq_u32_e32 vcc_lo, 1, v70
	v_mov_b32_e32 v76, 0
	ds_load_b128 v[112:115], v73 offset:6160
	ds_load_b128 v[108:111], v73 offset:6144
	;; [unrolled: 1-line block ×4, first 2 shown]
	v_cmp_eq_u32_e64 s3, 1, v69
	v_cmp_eq_u32_e64 s2, 1, v72
	;; [unrolled: 1-line block ×3, first 2 shown]
	v_mov_b32_e32 v77, v76
	v_mov_b32_e32 v78, v76
	;; [unrolled: 1-line block ×7, first 2 shown]
	v_cmp_eq_u32_e64 s5, 3, v72
	v_cmp_eq_u32_e64 s6, 7, v72
	s_waitcnt lgkmcnt(8)
	s_delay_alu instid0(VALU_DEP_3)
	v_wmma_f32_16x16x16_f16 v[76:83], v[49:56], v[84:91], v[76:83]
	ds_load_b128 v[53:56], v73 offset:10256
	ds_load_b128 v[49:52], v73 offset:10240
	s_waitcnt lgkmcnt(8)
	v_wmma_f32_16x16x16_f16 v[76:83], v[41:48], v[92:99], v[76:83]
	ds_load_b128 v[45:48], v73 offset:12304
	ds_load_b128 v[41:44], v73 offset:12288
	s_waitcnt lgkmcnt(8)
	;; [unrolled: 4-line block ×3, first 2 shown]
	s_barrier
	buffer_gl0_inv
	v_wmma_f32_16x16x16_f16 v[76:83], v[1:8], v[108:115], v[76:83]
	s_delay_alu instid0(VALU_DEP_1) | instskip(NEXT) | instid1(VALU_DEP_1)
	v_wmma_f32_16x16x16_f16 v[76:83], v[9:16], v[116:123], v[76:83]
	v_wmma_f32_16x16x16_f16 v[76:83], v[17:24], v[49:56], v[76:83]
	s_delay_alu instid0(VALU_DEP_1) | instskip(NEXT) | instid1(VALU_DEP_1)
	v_wmma_f32_16x16x16_f16 v[76:83], v[25:32], v[41:48], v[76:83]
	v_wmma_f32_16x16x16_f16 v[76:83], v[57:64], v[33:40], v[76:83]
	s_delay_alu instid0(VALU_DEP_1) | instskip(NEXT) | instid1(VALU_DEP_2)
	v_cvt_f16_f32_e32 v1, v76
	v_cvt_f16_f32_e32 v2, v77
	s_delay_alu instid0(VALU_DEP_3) | instskip(NEXT) | instid1(VALU_DEP_4)
	v_cvt_f16_f32_e32 v3, v78
	v_cvt_f16_f32_e32 v4, v79
	;; [unrolled: 1-line block ×6, first 2 shown]
	v_pack_b32_f16 v1, v1, v2
	v_pack_b32_f16 v2, v3, v4
	;; [unrolled: 1-line block ×3, first 2 shown]
	s_delay_alu instid0(VALU_DEP_4)
	v_pack_b32_f16 v4, v7, v8
	ds_store_b128 v74, v[1:4]
	s_waitcnt lgkmcnt(0)
	s_barrier
	buffer_gl0_inv
	ds_load_b128 v[1:4], v75
	ds_load_b128 v[5:8], v75 offset:16
	s_waitcnt lgkmcnt(1)
	v_lshrrev_b32_e32 v9, 16, v1
	s_waitcnt lgkmcnt(0)
	v_lshrrev_b32_e32 v13, 16, v5
	v_lshrrev_b32_e32 v10, 16, v2
	;; [unrolled: 1-line block ×4, first 2 shown]
	v_cndmask_b32_e32 v17, v1, v9, vcc_lo
	v_cndmask_b32_e32 v18, v5, v13, vcc_lo
	v_cndmask_b32_e64 v21, v1, v9, s3
	v_cmp_eq_u32_e32 vcc_lo, 1, v71
	v_cndmask_b32_e64 v22, v5, v13, s3
	v_cmp_eq_u32_e64 s3, 2, v70
	v_cndmask_b32_e64 v19, v1, v9, s2
	v_cndmask_b32_e64 v20, v5, v13, s2
	v_cndmask_b32_e32 v1, v1, v9, vcc_lo
	v_cmp_eq_u32_e64 s2, 2, v71
	v_cndmask_b32_e32 v5, v5, v13, vcc_lo
	v_cndmask_b32_e64 v9, v17, v2, s3
	v_cmp_eq_u32_e32 vcc_lo, 3, v70
	v_cndmask_b32_e64 v13, v18, v6, s3
	v_cmp_eq_u32_e64 s3, 2, v69
	v_cndmask_b32_e64 v17, v19, v2, s4
	v_cndmask_b32_e64 v18, v20, v6, s4
	v_cmp_eq_u32_e64 s4, 3, v69
	v_cndmask_b32_e64 v1, v1, v2, s2
	v_cndmask_b32_e64 v19, v21, v2, s3
	;; [unrolled: 1-line block ×4, first 2 shown]
	v_cndmask_b32_e32 v5, v9, v10, vcc_lo
	v_cndmask_b32_e32 v6, v13, v14, vcc_lo
	v_cmp_eq_u32_e32 vcc_lo, 3, v71
	v_cndmask_b32_e64 v9, v17, v10, s5
	v_cndmask_b32_e64 v13, v18, v14, s5
	;; [unrolled: 1-line block ×3, first 2 shown]
	v_cmp_eq_u32_e64 s3, 4, v70
	v_cndmask_b32_e32 v1, v1, v10, vcc_lo
	v_cndmask_b32_e32 v2, v2, v14, vcc_lo
	v_cmp_eq_u32_e32 vcc_lo, 4, v72
	v_lshrrev_b32_e32 v15, 16, v7
	v_lshrrev_b32_e32 v16, 16, v8
	v_cndmask_b32_e64 v17, v19, v10, s4
	v_cmp_eq_u32_e64 s2, 4, v71
	v_cndmask_b32_e64 v5, v5, v3, s3
	v_cndmask_b32_e64 v6, v6, v7, s3
	v_cndmask_b32_e32 v9, v9, v3, vcc_lo
	v_cmp_eq_u32_e64 s3, 5, v72
	v_cndmask_b32_e32 v10, v13, v7, vcc_lo
	v_cmp_eq_u32_e32 vcc_lo, 4, v69
	v_cmp_eq_u32_e64 s4, 5, v70
	v_cndmask_b32_e64 v2, v2, v7, s2
	v_cndmask_b32_e64 v9, v9, v11, s3
	;; [unrolled: 1-line block ×3, first 2 shown]
	v_cndmask_b32_e32 v13, v17, v3, vcc_lo
	v_cmp_eq_u32_e64 s3, 5, v69
	v_cndmask_b32_e32 v14, v18, v7, vcc_lo
	v_cndmask_b32_e64 v1, v1, v3, s2
	v_cmp_eq_u32_e32 vcc_lo, 5, v71
	v_lshrrev_b32_e32 v12, 16, v4
	v_cndmask_b32_e64 v13, v13, v11, s3
	v_cndmask_b32_e64 v3, v14, v15, s3
	v_cmp_eq_u32_e64 s3, 6, v71
	v_cndmask_b32_e32 v1, v1, v11, vcc_lo
	v_cndmask_b32_e64 v5, v5, v11, s4
	v_cmp_eq_u32_e64 s5, 6, v70
	v_cndmask_b32_e64 v6, v6, v15, s4
	v_cmp_eq_u32_e64 s4, 6, v72
	v_cmp_eq_u32_e64 s2, 6, v69
	v_cndmask_b32_e64 v1, v1, v4, s3
	v_cndmask_b32_e32 v2, v2, v15, vcc_lo
	v_cmp_eq_u32_e32 vcc_lo, 7, v71
	v_cndmask_b32_e64 v5, v5, v4, s5
	v_cndmask_b32_e64 v9, v9, v4, s4
	v_cndmask_b32_e64 v6, v6, v8, s5
	v_cmp_eq_u32_e64 s5, 7, v70
	v_cndmask_b32_e32 v1, v1, v12, vcc_lo
	v_cndmask_b32_e64 v7, v13, v4, s2
	v_cndmask_b32_e64 v3, v3, v8, s2
	;; [unrolled: 1-line block ×3, first 2 shown]
	v_cmp_eq_u32_e64 s2, 7, v69
	v_cndmask_b32_e64 v4, v10, v8, s4
	v_cndmask_b32_e64 v5, v5, v12, s5
	;; [unrolled: 1-line block ×3, first 2 shown]
	v_cndmask_b32_e32 v2, v2, v16, vcc_lo
	v_cndmask_b32_e64 v7, v7, v12, s2
	v_cndmask_b32_e64 v3, v3, v16, s2
	;; [unrolled: 1-line block ×4, first 2 shown]
	v_perm_b32 v4, v2, v1, 0x5040100
	s_mov_b32 s2, exec_lo
	v_perm_b32 v3, v3, v7, 0x5040100
	v_perm_b32 v2, v8, v9, 0x5040100
	;; [unrolled: 1-line block ×3, first 2 shown]
	ds_store_b128 v74, v[1:4]
	s_waitcnt lgkmcnt(0)
	s_barrier
	buffer_gl0_inv
	v_cmpx_gt_u32_e32 32, v0
	s_cbranch_execz .LBB1021_2
; %bb.15:
	s_load_b64 s[0:1], s[0:1], 0x68
	v_lshlrev_b32_e32 v0, 10, v0
	s_lshl_b32 s4, s34, 7
	v_or_b32_e32 v3, s31, v66
	s_mul_i32 s2, s4, s30
	v_lshlrev_b32_e32 v1, 4, v67
	s_mul_i32 s2, s2, s7
	v_lshlrev_b32_e32 v2, 6, v66
	v_and_b32_e32 v0, 0x3800, v0
	s_ashr_i32 s3, s2, 31
	v_mul_lo_u32 v4, v3, s4
	s_lshl_b64 s[2:3], s[2:3], 1
	s_delay_alu instid0(VALU_DEP_2) | instskip(NEXT) | instid1(VALU_DEP_2)
	v_or3_b32 v16, v0, v1, v2
	v_ashrrev_i32_e32 v5, 31, v4
	ds_load_b128 v[0:3], v16
	s_waitcnt lgkmcnt(0)
	s_add_u32 s2, s0, s2
	s_addc_u32 s3, s1, s3
	s_lshl_b32 s0, s14, 7
	v_lshlrev_b64 v[5:6], 1, v[4:5]
	s_ashr_i32 s1, s0, 31
	s_delay_alu instid0(SALU_CYCLE_1) | instskip(NEXT) | instid1(SALU_CYCLE_1)
	s_lshl_b64 s[0:1], s[0:1], 1
	s_add_u32 s0, s2, s0
	s_addc_u32 s1, s3, s1
	s_lshl_b32 s2, s34, 8
	v_add_co_u32 v30, s0, s0, v65
	v_add_nc_u32_e32 v8, s2, v4
	v_add_co_ci_u32_e64 v31, null, s1, 0, s0
	s_delay_alu instid0(VALU_DEP_3) | instskip(NEXT) | instid1(VALU_DEP_3)
	v_add_co_u32 v12, vcc_lo, v30, v5
	v_add_nc_u32_e32 v10, s2, v8
	v_ashrrev_i32_e32 v9, 31, v8
	s_delay_alu instid0(VALU_DEP_4)
	v_add_co_ci_u32_e32 v13, vcc_lo, v31, v6, vcc_lo
	ds_load_b128 v[4:7], v16 offset:128
	v_ashrrev_i32_e32 v11, 31, v10
	v_lshlrev_b64 v[8:9], 1, v[8:9]
	v_add_nc_u32_e32 v14, s2, v10
	global_store_b128 v[12:13], v[0:3], off
	v_lshlrev_b64 v[0:1], 1, v[10:11]
	v_ashrrev_i32_e32 v15, 31, v14
	v_add_co_u32 v22, vcc_lo, v30, v8
	v_add_nc_u32_e32 v20, s2, v14
	v_add_co_ci_u32_e32 v23, vcc_lo, v31, v9, vcc_lo
	v_add_co_u32 v26, vcc_lo, v30, v0
	v_lshlrev_b64 v[24:25], 1, v[14:15]
	v_add_co_ci_u32_e32 v27, vcc_lo, v31, v1, vcc_lo
	ds_load_b128 v[0:3], v16 offset:256
	ds_load_b128 v[8:11], v16 offset:384
	;; [unrolled: 1-line block ×4, first 2 shown]
	v_add_nc_u32_e32 v28, s2, v20
	v_ashrrev_i32_e32 v21, 31, v20
	v_add_co_u32 v24, vcc_lo, v30, v24
	v_add_co_ci_u32_e32 v25, vcc_lo, v31, v25, vcc_lo
	s_delay_alu instid0(VALU_DEP_4) | instskip(NEXT) | instid1(VALU_DEP_4)
	v_ashrrev_i32_e32 v29, 31, v28
	v_lshlrev_b64 v[20:21], 1, v[20:21]
	s_delay_alu instid0(VALU_DEP_2) | instskip(NEXT) | instid1(VALU_DEP_2)
	v_lshlrev_b64 v[28:29], 1, v[28:29]
	v_add_co_u32 v20, vcc_lo, v30, v20
	s_delay_alu instid0(VALU_DEP_3) | instskip(NEXT) | instid1(VALU_DEP_3)
	v_add_co_ci_u32_e32 v21, vcc_lo, v31, v21, vcc_lo
	v_add_co_u32 v28, vcc_lo, v30, v28
	s_delay_alu instid0(VALU_DEP_4)
	v_add_co_ci_u32_e32 v29, vcc_lo, v31, v29, vcc_lo
	s_waitcnt lgkmcnt(4)
	global_store_b128 v[22:23], v[4:7], off
	s_waitcnt lgkmcnt(3)
	global_store_b128 v[26:27], v[0:3], off
	;; [unrolled: 2-line block ×5, first 2 shown]
	s_nop 0
	s_sendmsg sendmsg(MSG_DEALLOC_VGPRS)
	s_endpgm
	.section	.rodata,"a",@progbits
	.p2align	6, 0x0
	.amdhsa_kernel _Z39paged_attention_ll4mi_QKV_mfma16_kernelIDF16_hLN4vllm18Fp8KVCacheDataTypeE1EhLi32ELi128ELi256ELb1ELi12EL8MFMAType1EEvPKT_PKT0_S8_ifPKiSA_SA_iPKfiiiPfSD_PS3_PT2_iSC_SC_
		.amdhsa_group_segment_fixed_size 17472
		.amdhsa_private_segment_fixed_size 0
		.amdhsa_kernarg_size 400
		.amdhsa_user_sgpr_count 13
		.amdhsa_user_sgpr_dispatch_ptr 0
		.amdhsa_user_sgpr_queue_ptr 0
		.amdhsa_user_sgpr_kernarg_segment_ptr 1
		.amdhsa_user_sgpr_dispatch_id 0
		.amdhsa_user_sgpr_private_segment_size 0
		.amdhsa_wavefront_size32 1
		.amdhsa_uses_dynamic_stack 0
		.amdhsa_enable_private_segment 0
		.amdhsa_system_sgpr_workgroup_id_x 1
		.amdhsa_system_sgpr_workgroup_id_y 1
		.amdhsa_system_sgpr_workgroup_id_z 1
		.amdhsa_system_sgpr_workgroup_info 0
		.amdhsa_system_vgpr_workitem_id 0
		.amdhsa_next_free_vgpr 150
		.amdhsa_next_free_sgpr 37
		.amdhsa_reserve_vcc 1
		.amdhsa_float_round_mode_32 0
		.amdhsa_float_round_mode_16_64 0
		.amdhsa_float_denorm_mode_32 3
		.amdhsa_float_denorm_mode_16_64 3
		.amdhsa_dx10_clamp 1
		.amdhsa_ieee_mode 1
		.amdhsa_fp16_overflow 0
		.amdhsa_workgroup_processor_mode 1
		.amdhsa_memory_ordered 1
		.amdhsa_forward_progress 0
		.amdhsa_shared_vgpr_count 0
		.amdhsa_exception_fp_ieee_invalid_op 0
		.amdhsa_exception_fp_denorm_src 0
		.amdhsa_exception_fp_ieee_div_zero 0
		.amdhsa_exception_fp_ieee_overflow 0
		.amdhsa_exception_fp_ieee_underflow 0
		.amdhsa_exception_fp_ieee_inexact 0
		.amdhsa_exception_int_div_zero 0
	.end_amdhsa_kernel
	.section	.text._Z39paged_attention_ll4mi_QKV_mfma16_kernelIDF16_hLN4vllm18Fp8KVCacheDataTypeE1EhLi32ELi128ELi256ELb1ELi12EL8MFMAType1EEvPKT_PKT0_S8_ifPKiSA_SA_iPKfiiiPfSD_PS3_PT2_iSC_SC_,"axG",@progbits,_Z39paged_attention_ll4mi_QKV_mfma16_kernelIDF16_hLN4vllm18Fp8KVCacheDataTypeE1EhLi32ELi128ELi256ELb1ELi12EL8MFMAType1EEvPKT_PKT0_S8_ifPKiSA_SA_iPKfiiiPfSD_PS3_PT2_iSC_SC_,comdat
.Lfunc_end1021:
	.size	_Z39paged_attention_ll4mi_QKV_mfma16_kernelIDF16_hLN4vllm18Fp8KVCacheDataTypeE1EhLi32ELi128ELi256ELb1ELi12EL8MFMAType1EEvPKT_PKT0_S8_ifPKiSA_SA_iPKfiiiPfSD_PS3_PT2_iSC_SC_, .Lfunc_end1021-_Z39paged_attention_ll4mi_QKV_mfma16_kernelIDF16_hLN4vllm18Fp8KVCacheDataTypeE1EhLi32ELi128ELi256ELb1ELi12EL8MFMAType1EEvPKT_PKT0_S8_ifPKiSA_SA_iPKfiiiPfSD_PS3_PT2_iSC_SC_
                                        ; -- End function
	.section	.AMDGPU.csdata,"",@progbits
; Kernel info:
; codeLenInByte = 6756
; NumSgprs: 39
; NumVgprs: 150
; ScratchSize: 0
; MemoryBound: 0
; FloatMode: 240
; IeeeMode: 1
; LDSByteSize: 17472 bytes/workgroup (compile time only)
; SGPRBlocks: 4
; VGPRBlocks: 18
; NumSGPRsForWavesPerEU: 39
; NumVGPRsForWavesPerEU: 150
; Occupancy: 9
; WaveLimiterHint : 1
; COMPUTE_PGM_RSRC2:SCRATCH_EN: 0
; COMPUTE_PGM_RSRC2:USER_SGPR: 13
; COMPUTE_PGM_RSRC2:TRAP_HANDLER: 0
; COMPUTE_PGM_RSRC2:TGID_X_EN: 1
; COMPUTE_PGM_RSRC2:TGID_Y_EN: 1
; COMPUTE_PGM_RSRC2:TGID_Z_EN: 1
; COMPUTE_PGM_RSRC2:TIDIG_COMP_CNT: 0
	.section	.text._Z39paged_attention_ll4mi_QKV_mfma16_kernelIDF16_hLN4vllm18Fp8KVCacheDataTypeE1EhLi32ELi128ELi256ELb1ELi13EL8MFMAType1EEvPKT_PKT0_S8_ifPKiSA_SA_iPKfiiiPfSD_PS3_PT2_iSC_SC_,"axG",@progbits,_Z39paged_attention_ll4mi_QKV_mfma16_kernelIDF16_hLN4vllm18Fp8KVCacheDataTypeE1EhLi32ELi128ELi256ELb1ELi13EL8MFMAType1EEvPKT_PKT0_S8_ifPKiSA_SA_iPKfiiiPfSD_PS3_PT2_iSC_SC_,comdat
	.protected	_Z39paged_attention_ll4mi_QKV_mfma16_kernelIDF16_hLN4vllm18Fp8KVCacheDataTypeE1EhLi32ELi128ELi256ELb1ELi13EL8MFMAType1EEvPKT_PKT0_S8_ifPKiSA_SA_iPKfiiiPfSD_PS3_PT2_iSC_SC_ ; -- Begin function _Z39paged_attention_ll4mi_QKV_mfma16_kernelIDF16_hLN4vllm18Fp8KVCacheDataTypeE1EhLi32ELi128ELi256ELb1ELi13EL8MFMAType1EEvPKT_PKT0_S8_ifPKiSA_SA_iPKfiiiPfSD_PS3_PT2_iSC_SC_
	.globl	_Z39paged_attention_ll4mi_QKV_mfma16_kernelIDF16_hLN4vllm18Fp8KVCacheDataTypeE1EhLi32ELi128ELi256ELb1ELi13EL8MFMAType1EEvPKT_PKT0_S8_ifPKiSA_SA_iPKfiiiPfSD_PS3_PT2_iSC_SC_
	.p2align	8
	.type	_Z39paged_attention_ll4mi_QKV_mfma16_kernelIDF16_hLN4vllm18Fp8KVCacheDataTypeE1EhLi32ELi128ELi256ELb1ELi13EL8MFMAType1EEvPKT_PKT0_S8_ifPKiSA_SA_iPKfiiiPfSD_PS3_PT2_iSC_SC_,@function
_Z39paged_attention_ll4mi_QKV_mfma16_kernelIDF16_hLN4vllm18Fp8KVCacheDataTypeE1EhLi32ELi128ELi256ELb1ELi13EL8MFMAType1EEvPKT_PKT0_S8_ifPKiSA_SA_iPKfiiiPfSD_PS3_PT2_iSC_SC_: ; @_Z39paged_attention_ll4mi_QKV_mfma16_kernelIDF16_hLN4vllm18Fp8KVCacheDataTypeE1EhLi32ELi128ELi256ELb1ELi13EL8MFMAType1EEvPKT_PKT0_S8_ifPKiSA_SA_iPKfiiiPfSD_PS3_PT2_iSC_SC_
; %bb.0:
	s_load_b64 s[4:5], s[0:1], 0x30
	s_mov_b32 s34, s13
	s_waitcnt lgkmcnt(0)
	s_cmp_lg_u64 s[4:5], 0
	s_cselect_b32 s8, -1, 0
	s_ashr_i32 s35, s13, 31
	s_cmp_eq_u64 s[4:5], 0
	s_cbranch_scc1 .LBB1022_3
; %bb.1:
	s_lshl_b64 s[2:3], s[34:35], 2
	s_delay_alu instid0(SALU_CYCLE_1) | instskip(SKIP_4) | instid1(SALU_CYCLE_1)
	s_add_u32 s2, s4, s2
	s_addc_u32 s3, s5, s3
	s_load_b64 s[2:3], s[2:3], 0x0
	s_waitcnt lgkmcnt(0)
	s_sub_i32 s2, s3, s2
	s_cmp_eq_u32 s2, 1
	s_cselect_b32 s2, -1, 0
	s_delay_alu instid0(SALU_CYCLE_1)
	s_and_not1_b32 vcc_lo, exec_lo, s2
	s_cbranch_vccz .LBB1022_4
.LBB1022_2:
	s_nop 0
	s_sendmsg sendmsg(MSG_DEALLOC_VGPRS)
	s_endpgm
.LBB1022_3:
.LBB1022_4:
	s_load_b64 s[2:3], s[0:1], 0x28
	s_lshl_b64 s[6:7], s[34:35], 2
	s_waitcnt lgkmcnt(0)
	s_add_u32 s2, s2, s6
	s_addc_u32 s3, s3, s7
	s_lshl_b32 s12, s14, 8
	s_load_b32 s24, s[2:3], 0x0
	s_waitcnt lgkmcnt(0)
	s_cmp_ge_i32 s12, s24
	s_cbranch_scc1 .LBB1022_2
; %bb.5:
	s_clause 0x1
	s_load_b128 s[20:23], s[0:1], 0x8
	s_load_b64 s[2:3], s[0:1], 0x20
	s_and_not1_b32 vcc_lo, exec_lo, s8
	s_cbranch_vccnz .LBB1022_7
; %bb.6:
	s_add_u32 s4, s4, s6
	s_addc_u32 s5, s5, s7
	s_load_b32 s5, s[4:5], 0x0
	s_branch .LBB1022_8
.LBB1022_7:
	s_mov_b32 s5, s34
.LBB1022_8:
	s_load_b128 s[16:19], s[0:1], 0x48
	v_and_b32_e32 v68, 15, v0
	v_lshrrev_b32_e32 v69, 5, v0
	v_bfe_u32 v66, v0, 4, 1
	v_and_b32_e32 v70, 31, v0
	v_and_b32_e32 v67, 1, v0
	v_lshlrev_b32_e32 v2, 3, v68
	s_mul_i32 s31, s15, 13
	v_lshl_or_b32 v1, v69, 1, v66
	s_mov_b32 s4, exec_lo
	s_delay_alu instid0(VALU_DEP_2) | instskip(NEXT) | instid1(VALU_DEP_2)
	v_lshlrev_b32_e32 v65, 1, v2
	v_cmpx_gt_u32_e32 13, v1
	s_cbranch_execz .LBB1022_10
; %bb.9:
	s_load_b64 s[6:7], s[0:1], 0x0
	v_add_lshl_u32 v2, v1, s31, 7
	s_waitcnt lgkmcnt(0)
	s_mul_hi_i32 s9, s5, s16
	s_mul_i32 s8, s5, s16
	v_lshlrev_b32_e32 v6, 10, v68
	s_lshl_b64 s[8:9], s[8:9], 1
	v_ashrrev_i32_e32 v3, 31, v2
	v_lshlrev_b32_e32 v1, 6, v1
	v_lshlrev_b32_e32 v7, 10, v67
	v_and_b32_e32 v6, 0x3800, v6
	s_delay_alu instid0(VALU_DEP_4) | instskip(NEXT) | instid1(VALU_DEP_2)
	v_lshlrev_b64 v[2:3], 1, v[2:3]
	v_or3_b32 v1, v6, v7, v1
	s_add_u32 s5, s6, s8
	s_addc_u32 s6, s7, s9
	s_delay_alu instid0(VALU_DEP_2) | instskip(NEXT) | instid1(VALU_DEP_3)
	v_add_co_u32 v2, vcc_lo, s5, v2
	v_add_co_ci_u32_e32 v3, vcc_lo, s6, v3, vcc_lo
	s_delay_alu instid0(VALU_DEP_2) | instskip(NEXT) | instid1(VALU_DEP_2)
	v_add_co_u32 v2, vcc_lo, v2, v65
	v_add_co_ci_u32_e32 v3, vcc_lo, 0, v3, vcc_lo
	global_load_b128 v[2:5], v[2:3], off
	s_waitcnt vmcnt(0)
	ds_store_b128 v1, v[2:5]
.LBB1022_10:
	s_or_b32 exec_lo, exec_lo, s4
	v_and_b32_e32 v1, 0xef, v0
	s_waitcnt lgkmcnt(0)
	s_add_i32 s5, s24, 31
	s_clause 0x1
	s_load_b32 s4, s[0:1], 0x38
	s_load_b32 s33, s[0:1], 0x98
	s_ashr_i32 s6, s5, 31
	v_add_nc_u32_e32 v1, s12, v1
	s_lshr_b32 s6, s6, 27
	s_load_b32 s19, s[0:1], 0x1c
	s_add_i32 s5, s5, s6
	s_waitcnt lgkmcnt(0)
	v_ashrrev_i32_e32 v2, 31, v1
	v_or_b32_e32 v3, 16, v1
	s_ashr_i32 s13, s5, 5
	v_cmp_gt_i32_e32 vcc_lo, s24, v1
	s_add_i32 s13, s13, -1
	v_lshrrev_b32_e32 v2, 27, v2
	s_barrier
	buffer_gl0_inv
	s_mul_i32 s15, s15, s18
	v_add_nc_u32_e32 v4, v1, v2
	s_mul_i32 s4, s34, s4
	s_delay_alu instid0(SALU_CYCLE_1) | instskip(NEXT) | instid1(VALU_DEP_1)
	s_ashr_i32 s5, s4, 31
	v_ashrrev_i32_e32 v4, 5, v4
	v_add_nc_u32_e32 v2, v3, v2
	s_lshl_b64 s[4:5], s[4:5], 2
	s_delay_alu instid0(SALU_CYCLE_1) | instskip(NEXT) | instid1(VALU_DEP_2)
	s_add_u32 s16, s2, s4
	v_cndmask_b32_e32 v1, s13, v4, vcc_lo
	s_delay_alu instid0(VALU_DEP_2)
	v_ashrrev_i32_e32 v2, 5, v2
	v_cmp_gt_i32_e32 vcc_lo, s24, v3
	s_addc_u32 s25, s3, s5
	s_ashr_i32 s18, s15, 31
	s_add_u32 s2, s20, s15
	s_addc_u32 s3, s21, s18
	v_cndmask_b32_e32 v3, s13, v2, vcc_lo
	v_ashrrev_i32_e32 v2, 31, v1
	s_lshl_b32 s4, s14, 3
	s_delay_alu instid0(SALU_CYCLE_1) | instskip(NEXT) | instid1(VALU_DEP_2)
	s_ashr_i32 s5, s4, 31
	v_ashrrev_i32_e32 v4, 31, v3
	s_delay_alu instid0(VALU_DEP_2) | instskip(SKIP_1) | instid1(SALU_CYCLE_1)
	v_lshlrev_b64 v[1:2], 2, v[1:2]
	s_lshl_b64 s[4:5], s[4:5], 2
	s_add_u32 s4, s16, s4
	s_delay_alu instid0(VALU_DEP_2) | instskip(SKIP_1) | instid1(VALU_DEP_2)
	v_lshlrev_b64 v[3:4], 2, v[3:4]
	s_addc_u32 s5, s25, s5
	v_add_co_u32 v1, vcc_lo, s16, v1
	v_add_co_ci_u32_e32 v2, vcc_lo, s25, v2, vcc_lo
	s_delay_alu instid0(VALU_DEP_3) | instskip(NEXT) | instid1(VALU_DEP_4)
	v_add_co_u32 v3, vcc_lo, s16, v3
	v_add_co_ci_u32_e32 v4, vcc_lo, s25, v4, vcc_lo
	s_clause 0x1
	global_load_b32 v5, v[1:2], off
	global_load_b32 v6, v[3:4], off
	s_or_b32 s6, s12, 32
	s_delay_alu instid0(SALU_CYCLE_1) | instskip(SKIP_2) | instid1(SALU_CYCLE_1)
	s_ashr_i32 s7, s6, 5
	s_cmp_lt_i32 s6, s24
	s_cselect_b32 s6, s7, s13
	s_ashr_i32 s7, s6, 31
	s_delay_alu instid0(SALU_CYCLE_1) | instskip(NEXT) | instid1(SALU_CYCLE_1)
	s_lshl_b64 s[6:7], s[6:7], 2
	s_add_u32 s6, s16, s6
	s_addc_u32 s7, s25, s7
	s_or_b32 s8, s12, 64
	s_delay_alu instid0(SALU_CYCLE_1) | instskip(SKIP_2) | instid1(SALU_CYCLE_1)
	s_ashr_i32 s9, s8, 5
	s_cmp_lt_i32 s8, s24
	s_cselect_b32 s8, s9, s13
	s_ashr_i32 s9, s8, 31
	s_delay_alu instid0(SALU_CYCLE_1) | instskip(NEXT) | instid1(SALU_CYCLE_1)
	s_lshl_b64 s[8:9], s[8:9], 2
	s_add_u32 s8, s16, s8
	s_addc_u32 s9, s25, s9
	;; [unrolled: 10-line block ×5, first 2 shown]
	s_clause 0x5
	s_load_b32 s28, s[4:5], 0x0
	s_load_b32 s29, s[6:7], 0x0
	;; [unrolled: 1-line block ×6, first 2 shown]
	s_mov_b32 s4, 0
	s_delay_alu instid0(SALU_CYCLE_1)
	s_mov_b32 s5, s4
	s_mov_b32 s6, s4
	;; [unrolled: 1-line block ×7, first 2 shown]
	s_delay_alu instid0(SALU_CYCLE_1)
	v_dual_mov_b32 v118, s11 :: v_dual_mov_b32 v117, s10
	v_dual_mov_b32 v116, s9 :: v_dual_mov_b32 v115, s8
	v_mov_b32_e32 v113, s6
	v_dual_mov_b32 v111, s4 :: v_dual_mov_b32 v114, s7
	v_mov_b32_e32 v112, s5
	s_waitcnt vmcnt(1)
	v_mad_i64_i32 v[1:2], null, v5, s17, s[2:3]
	v_lshlrev_b32_e32 v5, 4, v68
	s_waitcnt vmcnt(0)
	v_mad_i64_i32 v[3:4], null, v6, s17, s[2:3]
	s_or_b32 s2, s12, 0xc0
	s_delay_alu instid0(SALU_CYCLE_1) | instskip(NEXT) | instid1(VALU_DEP_3)
	s_ashr_i32 s3, s2, 5
	v_add_co_u32 v1, vcc_lo, v1, v5
	s_delay_alu instid0(VALU_DEP_4) | instskip(NEXT) | instid1(VALU_DEP_3)
	v_add_co_ci_u32_e32 v2, vcc_lo, 0, v2, vcc_lo
	v_add_co_u32 v3, vcc_lo, v3, v5
	s_delay_alu instid0(VALU_DEP_4)
	v_add_co_ci_u32_e32 v4, vcc_lo, 0, v4, vcc_lo
	s_clause 0xf
	global_load_b128 v[17:20], v[1:2], off
	global_load_b128 v[21:24], v[1:2], off offset:512
	global_load_b128 v[25:28], v[3:4], off offset:256
	;; [unrolled: 1-line block ×15, first 2 shown]
	s_cmp_lt_i32 s2, s24
	v_add_nc_u32_e32 v1, -13, v68
	s_cselect_b32 s2, s3, s13
	v_cmp_gt_u32_e32 vcc_lo, 13, v68
	s_ashr_i32 s3, s2, 31
	v_lshlrev_b32_e32 v2, 5, v68
	s_lshl_b64 s[2:3], s[2:3], 2
	s_delay_alu instid0(SALU_CYCLE_1)
	s_add_u32 s2, s16, s2
	s_addc_u32 s3, s25, s3
	s_or_b32 s20, s12, 0xe0
	v_cndmask_b32_e32 v1, v1, v68, vcc_lo
	s_ashr_i32 s21, s20, 5
	s_cmp_lt_i32 s20, s24
	s_cselect_b32 s20, s21, s13
	s_delay_alu instid0(VALU_DEP_1)
	v_lshlrev_b32_e32 v149, 6, v1
	s_ashr_i32 s21, s20, 31
	v_lshl_or_b32 v1, v69, 9, v2
	s_lshl_b64 s[4:5], s[20:21], 2
	ds_load_b128 v[119:122], v149
	ds_load_b128 v[123:126], v149 offset:1024
	s_add_u32 s4, s16, s4
	s_addc_u32 s5, s25, s5
	ds_load_b128 v[127:130], v149 offset:2048
	ds_load_b128 v[131:134], v149 offset:3072
	s_clause 0x1
	s_load_b32 s2, s[2:3], 0x0
	s_load_b32 s3, s[4:5], 0x0
	s_add_u32 s6, s22, s15
	s_addc_u32 s7, s23, s18
	v_add_co_u32 v135, s6, s6, v1
	s_delay_alu instid0(VALU_DEP_1) | instskip(SKIP_1) | instid1(VALU_DEP_1)
	v_add_co_ci_u32_e64 v136, null, s7, 0, s6
	s_waitcnt lgkmcnt(0)
	v_mad_i64_i32 v[1:2], null, s28, s17, v[135:136]
	v_mad_i64_i32 v[3:4], null, s29, s17, v[135:136]
	;; [unrolled: 1-line block ×6, first 2 shown]
	s_clause 0x9
	global_load_b128 v[49:52], v[1:2], off
	global_load_b128 v[53:56], v[1:2], off offset:16
	global_load_b128 v[41:44], v[3:4], off
	global_load_b128 v[45:48], v[3:4], off offset:16
	global_load_b128 v[33:36], v[5:6], off
	global_load_b128 v[37:40], v[5:6], off offset:16
	global_load_b128 v[1:4], v[7:8], off
	global_load_b128 v[5:8], v[7:8], off offset:16
	global_load_b128 v[9:12], v[13:14], off
	global_load_b128 v[13:16], v[13:14], off offset:16
	v_mad_i64_i32 v[145:146], null, s2, s17, v[135:136]
	v_mad_i64_i32 v[147:148], null, s3, s17, v[135:136]
	s_waitcnt vmcnt(24)
	v_wmma_f32_16x16x16_f16 v[135:142], v[17:24], v[119:126], v[111:118]
	s_waitcnt vmcnt(22)
	v_wmma_f32_16x16x16_f16 v[111:118], v[25:32], v[119:126], v[111:118]
	s_clause 0x3
	global_load_b128 v[17:20], v[143:144], off
	global_load_b128 v[21:24], v[143:144], off offset:16
	global_load_b128 v[25:28], v[145:146], off
	global_load_b128 v[29:32], v[145:146], off offset:16
	v_and_b32_e32 v119, 0xe0, v0
	s_waitcnt vmcnt(24)
	v_wmma_f32_16x16x16_f16 v[135:142], v[57:64], v[127:134], v[135:142]
	s_clause 0x1
	global_load_b128 v[57:60], v[147:148], off
	global_load_b128 v[61:64], v[147:148], off offset:16
	s_waitcnt vmcnt(24)
	v_wmma_f32_16x16x16_f16 v[111:118], v[71:78], v[127:134], v[111:118]
	ds_load_b128 v[71:74], v149 offset:4096
	ds_load_b128 v[75:78], v149 offset:5120
	v_add_nc_u32_e32 v128, s12, v119
	ds_load_b128 v[119:122], v149 offset:6144
	ds_load_b128 v[123:126], v149 offset:7168
	v_mbcnt_lo_u32_b32 v127, -1, 0
	s_waitcnt vmcnt(0) lgkmcnt(0)
	s_barrier
	v_or_b32_e32 v128, v128, v66
	buffer_gl0_inv
	v_xor_b32_e32 v129, 16, v127
	v_or_b32_e32 v130, 4, v128
	v_or_b32_e32 v131, 6, v128
	s_delay_alu instid0(VALU_DEP_3) | instskip(SKIP_4) | instid1(VALU_DEP_4)
	v_cmp_gt_i32_e32 vcc_lo, 32, v129
	v_or_b32_e32 v132, 8, v128
	v_or_b32_e32 v133, 10, v128
	v_cmp_gt_i32_e64 s3, s24, v130
	v_cmp_gt_i32_e64 s4, s24, v131
	;; [unrolled: 1-line block ×3, first 2 shown]
	v_wmma_f32_16x16x16_f16 v[135:142], v[79:86], v[71:78], v[135:142]
	v_wmma_f32_16x16x16_f16 v[111:118], v[87:94], v[71:78], v[111:118]
	v_or_b32_e32 v79, 12, v128
	v_or_b32_e32 v80, 14, v128
	v_cmp_gt_i32_e64 s6, s24, v133
	v_wmma_f32_16x16x16_f16 v[135:142], v[95:102], v[119:126], v[135:142]
	v_wmma_f32_16x16x16_f16 v[111:118], v[103:110], v[119:126], v[111:118]
	v_cndmask_b32_e32 v127, v127, v129, vcc_lo
	v_or_b32_e32 v129, 2, v128
	v_cmp_gt_i32_e32 vcc_lo, s24, v128
	s_delay_alu instid0(VALU_DEP_4) | instskip(SKIP_1) | instid1(VALU_DEP_4)
	v_dual_mul_f32 v87, s19, v136 :: v_dual_mul_f32 v94, s19, v113
	v_mul_f32_e32 v88, s19, v135
	v_cmp_gt_i32_e64 s2, s24, v129
	v_mul_f32_e32 v78, s19, v138
	v_mul_f32_e32 v86, s19, v137
	v_mul_f32_e32 v76, s19, v140
	v_cndmask_b32_e32 v88, 0xff7fffff, v88, vcc_lo
	v_cndmask_b32_e64 v87, 0xff7fffff, v87, s2
	v_dual_mul_f32 v77, s19, v139 :: v_dual_mul_f32 v90, s19, v117
	v_cndmask_b32_e64 v86, 0xff7fffff, v86, s3
	v_cndmask_b32_e64 v78, 0xff7fffff, v78, s4
	s_delay_alu instid0(VALU_DEP_4)
	v_max3_f32 v87, v88, 0xff7fffff, v87
	v_or_b32_e32 v81, 16, v128
	v_or_b32_e32 v82, 18, v128
	v_dual_mul_f32 v74, s19, v142 :: v_dual_mul_f32 v75, s19, v141
	v_mul_f32_e32 v96, s19, v111
	v_cndmask_b32_e64 v77, 0xff7fffff, v77, s5
	v_cndmask_b32_e64 v76, 0xff7fffff, v76, s6
	v_max3_f32 v78, v87, v86, v78
	v_cmp_gt_i32_e64 s7, s24, v79
	v_cmp_gt_i32_e64 s8, s24, v80
	v_or_b32_e32 v83, 20, v128
	v_or_b32_e32 v84, 22, v128
	v_mul_f32_e32 v95, s19, v112
	v_cndmask_b32_e64 v75, 0xff7fffff, v75, s7
	v_cndmask_b32_e64 v74, 0xff7fffff, v74, s8
	v_max3_f32 v76, v78, v77, v76
	v_cmp_gt_i32_e64 s9, s24, v81
	v_cmp_gt_i32_e64 s10, s24, v82
	v_or_b32_e32 v85, 24, v128
	v_or_b32_e32 v71, 26, v128
	;; [unrolled: 8-line block ×3, first 2 shown]
	v_dual_mul_f32 v91, s19, v116 :: v_dual_mul_f32 v92, s19, v115
	v_cndmask_b32_e64 v75, 0xff7fffff, v94, s11
	v_cndmask_b32_e64 v76, 0xff7fffff, v93, s12
	v_max3_f32 v74, v74, v77, v78
	v_cmp_gt_i32_e64 s13, s24, v85
	v_cmp_gt_i32_e64 s15, s24, v71
	v_mul_f32_e32 v89, s19, v118
	v_cmp_gt_i32_e64 s16, s24, v72
	v_max3_f32 v74, v74, v75, v76
	v_cndmask_b32_e64 v77, 0xff7fffff, v92, s13
	v_cndmask_b32_e64 v71, 0xff7fffff, v91, s15
	v_cmp_gt_i32_e64 s17, s24, v73
	v_cndmask_b32_e64 v72, 0xff7fffff, v90, s16
	s_delay_alu instid0(VALU_DEP_3) | instskip(SKIP_1) | instid1(VALU_DEP_4)
	v_max3_f32 v71, v74, v77, v71
	v_lshlrev_b32_e32 v74, 2, v127
	v_cndmask_b32_e64 v73, 0xff7fffff, v89, s17
	s_delay_alu instid0(VALU_DEP_1) | instskip(SKIP_3) | instid1(VALU_DEP_1)
	v_max3_f32 v71, v71, v72, v73
	ds_bpermute_b32 v72, v74, v71
	s_waitcnt lgkmcnt(0)
	v_max_f32_e32 v72, v72, v72
	v_max_f32_e32 v71, v71, v72
	s_delay_alu instid0(VALU_DEP_1) | instskip(SKIP_4) | instid1(VALU_DEP_4)
	v_fma_f32 v72, s19, v135, -v71
	v_fma_f32 v73, s19, v136, -v71
	;; [unrolled: 1-line block ×5, first 2 shown]
	v_dual_mul_f32 v72, 0x3fb8aa3b, v72 :: v_dual_mul_f32 v73, 0x3fb8aa3b, v73
	s_delay_alu instid0(VALU_DEP_3) | instskip(SKIP_1) | instid1(VALU_DEP_3)
	v_dual_mul_f32 v75, 0x3fb8aa3b, v75 :: v_dual_mul_f32 v76, 0x3fb8aa3b, v76
	v_fma_f32 v80, s19, v141, -v71
	v_exp_f32_e32 v72, v72
	s_delay_alu instid0(VALU_DEP_3) | instskip(NEXT) | instid1(VALU_DEP_2)
	v_exp_f32_e32 v73, v73
	v_exp_f32_e32 v75, v75
	;; [unrolled: 1-line block ×3, first 2 shown]
	v_mul_f32_e32 v82, 0x3fb8aa3b, v80
	s_delay_alu instid0(VALU_DEP_1) | instskip(SKIP_4) | instid1(TRANS32_DEP_3)
	v_exp_f32_e32 v84, v82
	v_cndmask_b32_e32 v79, 0, v72, vcc_lo
	v_fma_f32 v72, s19, v140, -v71
	v_mul_f32_e32 v77, 0x3fb8aa3b, v77
	v_cndmask_b32_e64 v78, 0, v73, s2
	v_cndmask_b32_e64 v81, 0, v75, s3
	s_delay_alu instid0(VALU_DEP_4) | instskip(NEXT) | instid1(VALU_DEP_4)
	v_dual_add_f32 v73, 0, v79 :: v_dual_mul_f32 v72, 0x3fb8aa3b, v72
	v_exp_f32_e32 v77, v77
	v_cndmask_b32_e64 v80, 0, v76, s4
	s_delay_alu instid0(TRANS32_DEP_2) | instskip(NEXT) | instid1(VALU_DEP_3)
	v_cndmask_b32_e64 v85, 0, v84, s7
	v_add_f32_e32 v73, v73, v78
	v_exp_f32_e32 v72, v72
	v_cmp_gt_u32_e64 s2, 16, v70
	s_delay_alu instid0(VALU_DEP_2) | instskip(NEXT) | instid1(TRANS32_DEP_2)
	v_add_f32_e32 v73, v73, v81
	v_cndmask_b32_e64 v83, 0, v77, s5
	s_delay_alu instid0(VALU_DEP_2) | instskip(SKIP_3) | instid1(VALU_DEP_1)
	v_add_f32_e32 v73, v73, v80
	s_waitcnt_depctr 0xfff
	v_cndmask_b32_e64 v82, 0, v72, s6
	v_add_f32_e32 v72, v73, v83
	v_add_f32_e32 v72, v72, v82
	s_delay_alu instid0(VALU_DEP_1)
	v_add_f32_e32 v72, v72, v85
	v_fma_f32 v76, s19, v111, -v71
	v_fma_f32 v75, s19, v142, -v71
	v_fma_f32 v77, s19, v112, -v71
	v_fma_f32 v86, s19, v114, -v71
	v_fma_f32 v73, s19, v113, -v71
	s_delay_alu instid0(VALU_DEP_4) | instskip(NEXT) | instid1(VALU_DEP_3)
	v_dual_mul_f32 v76, 0x3fb8aa3b, v76 :: v_dual_mul_f32 v75, 0x3fb8aa3b, v75
	v_mul_f32_e32 v86, 0x3fb8aa3b, v86
	s_delay_alu instid0(VALU_DEP_2) | instskip(NEXT) | instid1(VALU_DEP_2)
	v_exp_f32_e32 v76, v76
	v_exp_f32_e32 v75, v75
	s_delay_alu instid0(VALU_DEP_1) | instskip(NEXT) | instid1(TRANS32_DEP_3)
	v_exp_f32_e32 v88, v86
	v_cndmask_b32_e64 v87, 0, v76, s9
	v_fma_f32 v76, s19, v116, -v71
	v_mul_f32_e32 v77, 0x3fb8aa3b, v77
	s_waitcnt_depctr 0xfff
	v_cndmask_b32_e64 v84, 0, v75, s8
	v_fma_f32 v75, s19, v115, -v71
	v_cndmask_b32_e64 v88, 0, v88, s12
	v_mul_f32_e32 v76, 0x3fb8aa3b, v76
	v_exp_f32_e32 v77, v77
	v_add_f32_e32 v72, v72, v84
	s_delay_alu instid0(VALU_DEP_2) | instskip(NEXT) | instid1(VALU_DEP_1)
	v_exp_f32_e32 v76, v76
	v_add_f32_e32 v72, v72, v87
	s_waitcnt_depctr 0xfff
	v_cndmask_b32_e64 v86, 0, v77, s10
	v_mul_f32_e32 v73, 0x3fb8aa3b, v73
	v_fma_f32 v77, s19, v117, -v71
	v_cndmask_b32_e64 v90, 0, v76, s15
	s_delay_alu instid0(VALU_DEP_4) | instskip(NEXT) | instid1(VALU_DEP_4)
	v_add_f32_e32 v72, v72, v86
	v_exp_f32_e32 v73, v73
	s_waitcnt_depctr 0xfff
	v_cndmask_b32_e64 v89, 0, v73, s11
	s_delay_alu instid0(VALU_DEP_1) | instskip(NEXT) | instid1(VALU_DEP_1)
	v_dual_mul_f32 v75, 0x3fb8aa3b, v75 :: v_dual_add_f32 v72, v72, v89
	v_exp_f32_e32 v75, v75
	v_mul_f32_e32 v73, 0x3fb8aa3b, v77
	v_fma_f32 v77, s19, v118, -v71
	s_delay_alu instid0(VALU_DEP_3) | instskip(NEXT) | instid1(VALU_DEP_3)
	v_add_f32_e32 v72, v72, v88
	v_exp_f32_e32 v73, v73
	s_waitcnt_depctr 0xfff
	v_cndmask_b32_e64 v91, 0, v75, s13
	s_delay_alu instid0(VALU_DEP_1) | instskip(NEXT) | instid1(VALU_DEP_1)
	v_dual_mul_f32 v75, 0x3fb8aa3b, v77 :: v_dual_add_f32 v72, v72, v91
	v_exp_f32_e32 v75, v75
	v_cndmask_b32_e64 v93, 0, v73, s16
	s_delay_alu instid0(VALU_DEP_2) | instskip(NEXT) | instid1(VALU_DEP_1)
	v_add_f32_e32 v72, v72, v90
	v_add_f32_e32 v72, v72, v93
	s_waitcnt_depctr 0xfff
	v_cndmask_b32_e64 v92, 0, v75, s17
	s_delay_alu instid0(VALU_DEP_1)
	v_add_f32_e32 v72, v72, v92
	ds_bpermute_b32 v73, v74, v72
	s_and_saveexec_b32 s3, s2
	s_cbranch_execz .LBB1022_12
; %bb.11:
	v_mul_u32_u24_e32 v70, 0x44, v69
	s_waitcnt lgkmcnt(0)
	v_add_f32_e32 v72, v72, v73
	s_delay_alu instid0(VALU_DEP_2) | instskip(NEXT) | instid1(VALU_DEP_1)
	v_lshl_add_u32 v70, v68, 2, v70
	v_add_nc_u32_e32 v70, 0x4000, v70
	ds_store_2addr_b32 v70, v71, v72 offset1:136
.LBB1022_12:
	s_or_b32 exec_lo, exec_lo, s3
	v_lshlrev_b32_e32 v70, 2, v68
	s_load_b32 s35, s[0:1], 0x94
	s_waitcnt lgkmcnt(0)
	s_barrier
	buffer_gl0_inv
	v_add_nc_u32_e32 v98, 0x4000, v70
	v_cmp_eq_u32_e32 vcc_lo, 1, v69
	v_cmp_eq_u32_e64 s3, 2, v69
	v_cmp_eq_u32_e64 s4, 3, v69
	;; [unrolled: 1-line block ×3, first 2 shown]
	ds_load_2addr_b32 v[70:71], v98 offset1:17
	ds_load_2addr_b32 v[72:73], v98 offset0:34 offset1:51
	ds_load_2addr_b32 v[74:75], v98 offset0:68 offset1:85
	;; [unrolled: 1-line block ×3, first 2 shown]
	v_cmp_eq_u32_e64 s6, 5, v69
	v_cmp_eq_u32_e64 s7, 7, v69
	s_waitcnt lgkmcnt(3)
	v_max3_f32 v76, v70, 0xff7fffff, v71
	s_waitcnt lgkmcnt(2)
	s_delay_alu instid0(VALU_DEP_1) | instskip(SKIP_1) | instid1(VALU_DEP_1)
	v_max3_f32 v76, v76, v72, v73
	s_waitcnt lgkmcnt(1)
	v_max3_f32 v76, v76, v74, v75
	s_waitcnt lgkmcnt(0)
	s_delay_alu instid0(VALU_DEP_1) | instskip(NEXT) | instid1(VALU_DEP_1)
	v_max3_f32 v76, v76, v94, v95
	v_sub_f32_e32 v77, v71, v76
	ds_load_2addr_b32 v[96:97], v98 offset0:136 offset1:153
	v_sub_f32_e32 v74, v74, v76
	v_sub_f32_e32 v70, v70, v76
	v_sub_f32_e32 v94, v94, v76
	v_dual_sub_f32 v72, v72, v76 :: v_dual_mul_f32 v77, 0x3fb8aa3b, v77
	s_delay_alu instid0(VALU_DEP_4) | instskip(NEXT) | instid1(VALU_DEP_4)
	v_mul_f32_e32 v103, 0x3fb8aa3b, v74
	v_mul_f32_e32 v99, 0x3fb8aa3b, v70
	ds_load_2addr_b32 v[70:71], v98 offset0:170 offset1:187
	v_dual_mul_f32 v101, 0x3fb8aa3b, v72 :: v_dual_mul_f32 v94, 0x3fb8aa3b, v94
	v_exp_f32_e32 v102, v77
	v_exp_f32_e32 v99, v99
	s_delay_alu instid0(VALU_DEP_1) | instskip(NEXT) | instid1(VALU_DEP_1)
	v_exp_f32_e32 v101, v101
	v_exp_f32_e32 v94, v94
	s_waitcnt lgkmcnt(1)
	s_delay_alu instid0(TRANS32_DEP_3)
	v_fma_f32 v77, v99, v96, 0
	v_sub_f32_e32 v100, v73, v76
	ds_load_2addr_b32 v[72:73], v98 offset0:204 offset1:221
	v_fmac_f32_e32 v77, v102, v97
	v_exp_f32_e32 v97, v103
	s_waitcnt lgkmcnt(1)
	s_delay_alu instid0(VALU_DEP_1)
	v_dual_fmac_f32 v77, v101, v70 :: v_dual_sub_f32 v96, v75, v76
	ds_load_2addr_b32 v[74:75], v98 offset0:238 offset1:255
	v_sub_f32_e32 v70, v95, v76
	s_waitcnt lgkmcnt(0)
	s_barrier
	v_mul_f32_e32 v96, 0x3fb8aa3b, v96
	buffer_gl0_inv
	v_exp_f32_e32 v95, v96
	v_mul_f32_e32 v100, 0x3fb8aa3b, v100
	s_delay_alu instid0(VALU_DEP_1) | instskip(SKIP_3) | instid1(VALU_DEP_2)
	v_exp_f32_e32 v100, v100
	s_waitcnt_depctr 0xfff
	v_dual_fmac_f32 v77, v100, v71 :: v_dual_mul_f32 v70, 0x3fb8aa3b, v70
	v_cndmask_b32_e32 v71, v99, v102, vcc_lo
	v_fmac_f32_e32 v77, v97, v72
	s_delay_alu instid0(VALU_DEP_3) | instskip(NEXT) | instid1(VALU_DEP_1)
	v_exp_f32_e32 v96, v70
	v_fmac_f32_e32 v77, v95, v73
	s_delay_alu instid0(VALU_DEP_1) | instskip(SKIP_2) | instid1(VALU_DEP_1)
	v_fmac_f32_e32 v77, v94, v74
	s_waitcnt_depctr 0xfff
	v_fmac_f32_e32 v77, v96, v75
	v_add_f32_e32 v74, 0x358637bd, v77
	s_delay_alu instid0(VALU_DEP_1) | instskip(SKIP_1) | instid1(VALU_DEP_2)
	v_div_scale_f32 v98, null, v74, v74, 1.0
	v_div_scale_f32 v99, vcc_lo, 1.0, v74, 1.0
	v_rcp_f32_e32 v103, v98
	s_waitcnt_depctr 0xfff
	v_fma_f32 v70, -v98, v103, 1.0
	s_delay_alu instid0(VALU_DEP_1) | instskip(SKIP_2) | instid1(VALU_DEP_2)
	v_fmac_f32_e32 v103, v70, v103
	v_cndmask_b32_e64 v70, v71, v101, s3
	v_cmp_eq_u32_e64 s3, 6, v69
	v_cndmask_b32_e64 v71, v70, v100, s4
	s_delay_alu instid0(VALU_DEP_4) | instskip(NEXT) | instid1(VALU_DEP_2)
	v_dual_mul_f32 v101, v99, v103 :: v_dual_lshlrev_b32 v70, 2, v66
	v_cndmask_b32_e64 v71, v71, v97, s5
	s_delay_alu instid0(VALU_DEP_2) | instskip(NEXT) | instid1(VALU_DEP_3)
	v_or_b32_e32 v72, 1, v70
	v_fma_f32 v100, -v98, v101, v99
	v_cmp_eq_u32_e64 s4, 1, v70
	v_cmp_eq_u32_e64 s5, 2, v70
	v_cndmask_b32_e64 v95, v71, v95, s6
	v_or_b32_e32 v71, 3, v70
	v_fmac_f32_e32 v101, v100, v103
	v_cmp_eq_u32_e64 s9, 1, v72
	v_cmp_eq_u32_e64 s12, 2, v72
	v_cndmask_b32_e64 v94, v95, v94, s3
	v_cmp_eq_u32_e64 s11, 1, v71
	v_fma_f32 v97, -v98, v101, v99
	v_cmp_eq_u32_e64 s16, 2, v71
	v_cmp_eq_u32_e64 s13, 3, v72
	v_cndmask_b32_e64 v94, v94, v96, s7
	v_cmp_eq_u32_e64 s18, 3, v71
	v_div_fmas_f32 v95, v97, v103, v101
	v_cmp_eq_u32_e32 vcc_lo, 3, v70
	v_cmp_eq_u32_e64 s3, 4, v70
	v_cmp_eq_u32_e64 s19, 4, v72
	;; [unrolled: 1-line block ×3, first 2 shown]
	v_div_fixup_f32 v95, v95, v74, 1.0
	v_lshlrev_b32_e32 v73, 6, v68
	v_cmp_eq_u32_e64 s6, 5, v70
	v_cmp_eq_u32_e64 s20, 5, v72
	;; [unrolled: 1-line block ×3, first 2 shown]
	v_mul_f32_e32 v102, v94, v95
	v_lshl_or_b32 v75, v69, 11, v73
	v_or_b32_e32 v69, 2, v70
	v_cmp_eq_u32_e64 s25, 6, v72
	v_cmp_eq_u32_e64 s27, 6, v71
	v_fma_mixlo_f16 v94, v102, v79, 0
	v_fma_mixlo_f16 v95, v102, v81, 0
	;; [unrolled: 1-line block ×8, first 2 shown]
	v_lshl_or_b32 v74, v66, 4, v75
	v_fma_mixhi_f16 v94, v102, v78, 0
	v_fma_mixhi_f16 v95, v102, v80, 0
	;; [unrolled: 1-line block ×8, first 2 shown]
	ds_store_b128 v74, v[94:97]
	ds_store_b128 v74, v[98:101] offset:1024
	s_waitcnt lgkmcnt(0)
	s_barrier
	buffer_gl0_inv
	ds_load_b128 v[78:81], v75
	ds_load_b128 v[82:85], v75 offset:16
	ds_load_b128 v[86:89], v75 offset:1024
	;; [unrolled: 1-line block ×3, first 2 shown]
	v_cmp_eq_u32_e64 s10, 1, v69
	v_cmp_eq_u32_e64 s15, 2, v69
	;; [unrolled: 1-line block ×11, first 2 shown]
	s_waitcnt lgkmcnt(3)
	v_lshrrev_b32_e32 v94, 16, v78
	s_waitcnt lgkmcnt(2)
	v_lshrrev_b32_e32 v98, 16, v82
	;; [unrolled: 2-line block ×4, first 2 shown]
	v_lshrrev_b32_e32 v95, 16, v79
	v_cndmask_b32_e64 v110, v78, v94, s4
	v_cndmask_b32_e64 v111, v82, v98, s4
	;; [unrolled: 1-line block ×8, first 2 shown]
	v_lshrrev_b32_e32 v99, 16, v83
	v_cndmask_b32_e64 v94, v86, v102, s4
	v_cndmask_b32_e64 v98, v90, v106, s4
	;; [unrolled: 1-line block ×15, first 2 shown]
	v_lshrrev_b32_e32 v103, 16, v87
	v_lshrrev_b32_e32 v107, 16, v91
	v_cndmask_b32_e64 v113, v115, v83, s15
	v_cndmask_b32_e64 v82, v94, v87, s5
	;; [unrolled: 1-line block ×7, first 2 shown]
	v_cndmask_b32_e32 v90, v102, v95, vcc_lo
	v_cndmask_b32_e32 v102, v106, v99, vcc_lo
	v_cndmask_b32_e64 v106, v110, v95, s13
	v_cndmask_b32_e64 v110, v111, v99, s13
	;; [unrolled: 1-line block ×4, first 2 shown]
	v_lshrrev_b32_e32 v96, 16, v80
	v_lshrrev_b32_e32 v100, 16, v84
	v_cndmask_b32_e64 v111, v112, v95, s17
	v_cndmask_b32_e64 v112, v113, v99, s17
	v_cndmask_b32_e32 v82, v82, v103, vcc_lo
	v_cndmask_b32_e32 v83, v83, v107, vcc_lo
	v_cndmask_b32_e64 v94, v94, v103, s13
	v_cndmask_b32_e64 v90, v90, v80, s3
	;; [unrolled: 1-line block ×7, first 2 shown]
	v_lshrrev_b32_e32 v104, 16, v88
	v_cndmask_b32_e64 v106, v111, v80, s21
	v_cndmask_b32_e64 v110, v112, v84, s21
	;; [unrolled: 1-line block ×11, first 2 shown]
	v_lshrrev_b32_e32 v97, 16, v81
	v_lshrrev_b32_e32 v101, 16, v85
	v_cndmask_b32_e64 v99, v106, v96, s23
	v_cndmask_b32_e64 v102, v110, v100, s23
	;; [unrolled: 1-line block ×7, first 2 shown]
	v_lshrrev_b32_e32 v105, 16, v89
	v_cndmask_b32_e64 v80, v80, v104, s6
	v_cndmask_b32_e64 v84, v84, v81, s7
	;; [unrolled: 1-line block ×16, first 2 shown]
	v_perm_b32 v81, v79, v78, 0x5040100
	v_perm_b32 v79, v95, v85, 0x5040100
	v_cndmask_b32_e64 v78, v119, v91, s15
	v_cndmask_b32_e64 v85, v117, v91, s12
	;; [unrolled: 1-line block ×3, first 2 shown]
	v_perm_b32 v80, v94, v90, 0x5040100
	v_cndmask_b32_e64 v90, v98, v103, s17
	v_cndmask_b32_e64 v86, v86, v103, s18
	;; [unrolled: 1-line block ×5, first 2 shown]
	v_lshrrev_b32_e32 v108, 16, v92
	v_cndmask_b32_e64 v90, v90, v88, s21
	v_cndmask_b32_e64 v86, v86, v88, s22
	;; [unrolled: 1-line block ×11, first 2 shown]
	v_lshrrev_b32_e32 v109, 16, v93
	v_cndmask_b32_e64 v82, v82, v93, s7
	v_cndmask_b32_e64 v88, v88, v89, s26
	;; [unrolled: 1-line block ×12, first 2 shown]
	v_perm_b32 v78, v84, v83, 0x5040100
	v_perm_b32 v85, v87, v86, 0x5040100
	;; [unrolled: 1-line block ×5, first 2 shown]
	s_mul_i32 s8, s33, 13
	s_mov_b32 s3, exec_lo
	ds_store_b128 v74, v[78:81]
	ds_store_b128 v74, v[82:85] offset:1024
	v_cmpx_gt_u32_e32 13, v0
	s_cbranch_execz .LBB1022_14
; %bb.13:
	s_mul_i32 s4, s8, s34
	s_delay_alu instid0(SALU_CYCLE_1) | instskip(SKIP_1) | instid1(VALU_DEP_1)
	v_add3_u32 v68, s4, s31, v68
	s_load_b128 s[4:7], s[0:1], 0x58
	v_mad_u64_u32 v[78:79], null, v68, s35, s[14:15]
	s_delay_alu instid0(VALU_DEP_1) | instskip(NEXT) | instid1(VALU_DEP_1)
	v_ashrrev_i32_e32 v79, 31, v78
	v_lshlrev_b64 v[78:79], 2, v[78:79]
	s_waitcnt lgkmcnt(0)
	s_delay_alu instid0(VALU_DEP_1) | instskip(NEXT) | instid1(VALU_DEP_2)
	v_add_co_u32 v80, vcc_lo, s6, v78
	v_add_co_ci_u32_e32 v81, vcc_lo, s7, v79, vcc_lo
	v_add_co_u32 v78, vcc_lo, s4, v78
	v_add_co_ci_u32_e32 v79, vcc_lo, s5, v79, vcc_lo
	global_store_b32 v[80:81], v76, off
	global_store_b32 v[78:79], v77, off
.LBB1022_14:
	s_or_b32 exec_lo, exec_lo, s3
	s_waitcnt lgkmcnt(0)
	s_waitcnt_vscnt null, 0x0
	s_barrier
	buffer_gl0_inv
	ds_load_b128 v[84:87], v73
	ds_load_b128 v[88:91], v73 offset:16
	ds_load_b128 v[96:99], v73 offset:2064
	;; [unrolled: 1-line block ×5, first 2 shown]
	v_cmp_eq_u32_e32 vcc_lo, 1, v70
	v_mov_b32_e32 v76, 0
	ds_load_b128 v[112:115], v73 offset:6160
	ds_load_b128 v[108:111], v73 offset:6144
	;; [unrolled: 1-line block ×4, first 2 shown]
	v_cmp_eq_u32_e64 s4, 1, v69
	v_cmp_eq_u32_e64 s3, 1, v72
	;; [unrolled: 1-line block ×3, first 2 shown]
	v_mov_b32_e32 v77, v76
	v_mov_b32_e32 v78, v76
	;; [unrolled: 1-line block ×7, first 2 shown]
	v_cmp_eq_u32_e64 s6, 3, v72
	v_cmp_eq_u32_e64 s7, 7, v72
	s_waitcnt lgkmcnt(8)
	s_delay_alu instid0(VALU_DEP_3)
	v_wmma_f32_16x16x16_f16 v[76:83], v[49:56], v[84:91], v[76:83]
	ds_load_b128 v[53:56], v73 offset:10256
	ds_load_b128 v[49:52], v73 offset:10240
	s_waitcnt lgkmcnt(8)
	v_wmma_f32_16x16x16_f16 v[76:83], v[41:48], v[92:99], v[76:83]
	ds_load_b128 v[45:48], v73 offset:12304
	ds_load_b128 v[41:44], v73 offset:12288
	s_waitcnt lgkmcnt(8)
	;; [unrolled: 4-line block ×3, first 2 shown]
	s_barrier
	buffer_gl0_inv
	v_wmma_f32_16x16x16_f16 v[76:83], v[1:8], v[108:115], v[76:83]
	s_delay_alu instid0(VALU_DEP_1) | instskip(NEXT) | instid1(VALU_DEP_1)
	v_wmma_f32_16x16x16_f16 v[76:83], v[9:16], v[116:123], v[76:83]
	v_wmma_f32_16x16x16_f16 v[76:83], v[17:24], v[49:56], v[76:83]
	s_delay_alu instid0(VALU_DEP_1) | instskip(NEXT) | instid1(VALU_DEP_1)
	v_wmma_f32_16x16x16_f16 v[76:83], v[25:32], v[41:48], v[76:83]
	v_wmma_f32_16x16x16_f16 v[76:83], v[57:64], v[33:40], v[76:83]
	s_delay_alu instid0(VALU_DEP_1) | instskip(NEXT) | instid1(VALU_DEP_2)
	v_cvt_f16_f32_e32 v1, v76
	v_cvt_f16_f32_e32 v2, v77
	s_delay_alu instid0(VALU_DEP_3) | instskip(NEXT) | instid1(VALU_DEP_4)
	v_cvt_f16_f32_e32 v3, v78
	v_cvt_f16_f32_e32 v4, v79
	;; [unrolled: 1-line block ×6, first 2 shown]
	v_pack_b32_f16 v1, v1, v2
	v_pack_b32_f16 v2, v3, v4
	;; [unrolled: 1-line block ×3, first 2 shown]
	s_delay_alu instid0(VALU_DEP_4)
	v_pack_b32_f16 v4, v7, v8
	ds_store_b128 v74, v[1:4]
	s_waitcnt lgkmcnt(0)
	s_barrier
	buffer_gl0_inv
	ds_load_b128 v[1:4], v75
	ds_load_b128 v[5:8], v75 offset:16
	s_waitcnt lgkmcnt(1)
	v_lshrrev_b32_e32 v9, 16, v1
	s_waitcnt lgkmcnt(0)
	v_lshrrev_b32_e32 v13, 16, v5
	v_lshrrev_b32_e32 v10, 16, v2
	;; [unrolled: 1-line block ×4, first 2 shown]
	v_cndmask_b32_e32 v17, v1, v9, vcc_lo
	v_cndmask_b32_e32 v18, v5, v13, vcc_lo
	v_cndmask_b32_e64 v21, v1, v9, s4
	v_cmp_eq_u32_e32 vcc_lo, 1, v71
	v_cndmask_b32_e64 v22, v5, v13, s4
	v_cmp_eq_u32_e64 s4, 2, v70
	v_cndmask_b32_e64 v19, v1, v9, s3
	v_cndmask_b32_e64 v20, v5, v13, s3
	v_cndmask_b32_e32 v1, v1, v9, vcc_lo
	v_cmp_eq_u32_e64 s3, 2, v71
	v_cndmask_b32_e32 v5, v5, v13, vcc_lo
	v_cndmask_b32_e64 v9, v17, v2, s4
	v_cmp_eq_u32_e32 vcc_lo, 3, v70
	v_cndmask_b32_e64 v13, v18, v6, s4
	v_cmp_eq_u32_e64 s4, 2, v69
	v_cndmask_b32_e64 v17, v19, v2, s5
	v_cndmask_b32_e64 v18, v20, v6, s5
	v_cmp_eq_u32_e64 s5, 3, v69
	v_cndmask_b32_e64 v1, v1, v2, s3
	v_cndmask_b32_e64 v19, v21, v2, s4
	;; [unrolled: 1-line block ×4, first 2 shown]
	v_cndmask_b32_e32 v5, v9, v10, vcc_lo
	v_cndmask_b32_e32 v6, v13, v14, vcc_lo
	v_cmp_eq_u32_e32 vcc_lo, 3, v71
	v_cndmask_b32_e64 v9, v17, v10, s6
	v_cndmask_b32_e64 v13, v18, v14, s6
	;; [unrolled: 1-line block ×3, first 2 shown]
	v_cmp_eq_u32_e64 s4, 4, v70
	v_cndmask_b32_e32 v1, v1, v10, vcc_lo
	v_cndmask_b32_e32 v2, v2, v14, vcc_lo
	v_cmp_eq_u32_e32 vcc_lo, 4, v72
	v_lshrrev_b32_e32 v15, 16, v7
	v_lshrrev_b32_e32 v16, 16, v8
	v_cndmask_b32_e64 v17, v19, v10, s5
	v_cmp_eq_u32_e64 s3, 4, v71
	v_cndmask_b32_e64 v5, v5, v3, s4
	v_cndmask_b32_e64 v6, v6, v7, s4
	v_cndmask_b32_e32 v9, v9, v3, vcc_lo
	v_cmp_eq_u32_e64 s4, 5, v72
	v_cndmask_b32_e32 v10, v13, v7, vcc_lo
	v_cmp_eq_u32_e32 vcc_lo, 4, v69
	v_cmp_eq_u32_e64 s5, 5, v70
	v_cndmask_b32_e64 v2, v2, v7, s3
	v_cndmask_b32_e64 v9, v9, v11, s4
	;; [unrolled: 1-line block ×3, first 2 shown]
	v_cndmask_b32_e32 v13, v17, v3, vcc_lo
	v_cmp_eq_u32_e64 s4, 5, v69
	v_cndmask_b32_e32 v14, v18, v7, vcc_lo
	v_cndmask_b32_e64 v1, v1, v3, s3
	v_cmp_eq_u32_e32 vcc_lo, 5, v71
	v_lshrrev_b32_e32 v12, 16, v4
	v_cndmask_b32_e64 v13, v13, v11, s4
	v_cndmask_b32_e64 v3, v14, v15, s4
	v_cmp_eq_u32_e64 s4, 6, v71
	v_cndmask_b32_e32 v1, v1, v11, vcc_lo
	v_cndmask_b32_e64 v5, v5, v11, s5
	v_cmp_eq_u32_e64 s6, 6, v70
	v_cndmask_b32_e64 v6, v6, v15, s5
	v_cmp_eq_u32_e64 s5, 6, v72
	v_cmp_eq_u32_e64 s3, 6, v69
	v_cndmask_b32_e64 v1, v1, v4, s4
	v_cndmask_b32_e32 v2, v2, v15, vcc_lo
	v_cmp_eq_u32_e32 vcc_lo, 7, v71
	v_cndmask_b32_e64 v5, v5, v4, s6
	v_cndmask_b32_e64 v9, v9, v4, s5
	;; [unrolled: 1-line block ×3, first 2 shown]
	v_cmp_eq_u32_e64 s6, 7, v70
	v_cndmask_b32_e32 v1, v1, v12, vcc_lo
	v_cndmask_b32_e64 v7, v13, v4, s3
	v_cndmask_b32_e64 v3, v3, v8, s3
	;; [unrolled: 1-line block ×3, first 2 shown]
	v_cmp_eq_u32_e64 s3, 7, v69
	v_cndmask_b32_e64 v4, v10, v8, s5
	v_cndmask_b32_e64 v5, v5, v12, s6
	;; [unrolled: 1-line block ×3, first 2 shown]
	v_cndmask_b32_e32 v2, v2, v16, vcc_lo
	v_cndmask_b32_e64 v7, v7, v12, s3
	v_cndmask_b32_e64 v3, v3, v16, s3
	;; [unrolled: 1-line block ×4, first 2 shown]
	v_perm_b32 v4, v2, v1, 0x5040100
	s_mov_b32 s3, exec_lo
	v_perm_b32 v3, v3, v7, 0x5040100
	v_perm_b32 v2, v8, v9, 0x5040100
	;; [unrolled: 1-line block ×3, first 2 shown]
	ds_store_b128 v74, v[1:4]
	s_waitcnt lgkmcnt(0)
	s_barrier
	buffer_gl0_inv
	v_cmpx_gt_u32_e32 32, v0
	s_cbranch_execz .LBB1022_2
; %bb.15:
	s_load_b64 s[4:5], s[0:1], 0x68
	v_lshlrev_b32_e32 v0, 10, v0
	v_lshlrev_b32_e32 v1, 4, v67
	s_lshl_b32 s0, s35, 7
	v_add_nc_u32_e32 v18, s31, v66
	s_mul_i32 s1, s0, s34
	s_delay_alu instid0(VALU_DEP_2) | instskip(SKIP_1) | instid1(VALU_DEP_2)
	v_and_or_b32 v0, 0x3800, v0, v1
	s_mul_i32 s6, s1, s8
	v_mul_lo_u32 v1, v18, s0
	s_ashr_i32 s7, s6, 31
	v_add_nc_u32_e32 v2, 2, v18
	v_lshl_or_b32 v19, v66, 6, v0
	s_lshl_b64 s[6:7], s[6:7], 1
	v_add_nc_u32_e32 v8, 4, v18
	v_add_nc_u32_e32 v15, 6, v18
	v_mul_lo_u32 v7, v2, s0
	ds_load_b128 v[3:6], v19
	v_ashrrev_i32_e32 v2, 31, v1
	v_mul_lo_u32 v11, v8, s0
	s_waitcnt lgkmcnt(0)
	s_add_u32 s1, s4, s6
	s_addc_u32 s3, s5, s7
	s_lshl_b32 s4, s14, 7
	v_lshlrev_b64 v[9:10], 1, v[1:2]
	s_ashr_i32 s5, s4, 31
	v_ashrrev_i32_e32 v8, 31, v7
	s_lshl_b64 s[4:5], s[4:5], 1
	v_ashrrev_i32_e32 v12, 31, v11
	s_add_u32 s1, s1, s4
	s_addc_u32 s3, s3, s5
	v_add_co_u32 v1, s1, s1, v65
	s_delay_alu instid0(VALU_DEP_1) | instskip(SKIP_1) | instid1(VALU_DEP_3)
	v_add_co_ci_u32_e64 v2, null, s3, 0, s1
	v_mul_lo_u32 v15, v15, s0
	v_add_co_u32 v13, vcc_lo, v1, v9
	s_delay_alu instid0(VALU_DEP_3)
	v_add_co_ci_u32_e32 v14, vcc_lo, v2, v10, vcc_lo
	v_lshlrev_b64 v[16:17], 1, v[7:8]
	ds_load_b128 v[7:10], v19 offset:128
	global_store_b128 v[13:14], v[3:6], off
	v_add_nc_u32_e32 v5, 8, v18
	v_lshlrev_b64 v[3:4], 1, v[11:12]
	v_add_co_u32 v23, vcc_lo, v1, v16
	v_ashrrev_i32_e32 v16, 31, v15
	s_delay_alu instid0(VALU_DEP_4) | instskip(SKIP_3) | instid1(VALU_DEP_3)
	v_mul_lo_u32 v25, v5, s0
	v_add_nc_u32_e32 v5, 10, v18
	v_add_co_ci_u32_e32 v24, vcc_lo, v2, v17, vcc_lo
	v_add_co_u32 v27, vcc_lo, v1, v3
	v_mul_lo_u32 v29, v5, s0
	v_add_co_ci_u32_e32 v28, vcc_lo, v2, v4, vcc_lo
	v_lshlrev_b64 v[31:32], 1, v[15:16]
	ds_load_b128 v[3:6], v19 offset:256
	ds_load_b128 v[11:14], v19 offset:384
	;; [unrolled: 1-line block ×4, first 2 shown]
	v_ashrrev_i32_e32 v26, 31, v25
	v_ashrrev_i32_e32 v30, 31, v29
	v_add_co_u32 v31, vcc_lo, v1, v31
	s_delay_alu instid0(VALU_DEP_3) | instskip(SKIP_1) | instid1(VALU_DEP_4)
	v_lshlrev_b64 v[25:26], 1, v[25:26]
	v_add_co_ci_u32_e32 v32, vcc_lo, v2, v32, vcc_lo
	v_lshlrev_b64 v[29:30], 1, v[29:30]
	s_delay_alu instid0(VALU_DEP_3) | instskip(NEXT) | instid1(VALU_DEP_4)
	v_add_co_u32 v25, vcc_lo, v1, v25
	v_add_co_ci_u32_e32 v26, vcc_lo, v2, v26, vcc_lo
	s_delay_alu instid0(VALU_DEP_3) | instskip(NEXT) | instid1(VALU_DEP_4)
	v_add_co_u32 v29, vcc_lo, v1, v29
	v_add_co_ci_u32_e32 v30, vcc_lo, v2, v30, vcc_lo
	s_waitcnt lgkmcnt(4)
	global_store_b128 v[23:24], v[7:10], off
	s_waitcnt lgkmcnt(3)
	global_store_b128 v[27:28], v[3:6], off
	;; [unrolled: 2-line block ×5, first 2 shown]
	s_and_b32 exec_lo, exec_lo, s2
	s_cbranch_execz .LBB1022_2
; %bb.16:
	ds_load_b128 v[3:6], v0 offset:768
	s_add_i32 s1, s31, 12
	s_delay_alu instid0(SALU_CYCLE_1) | instskip(NEXT) | instid1(SALU_CYCLE_1)
	s_mul_i32 s0, s1, s0
	s_ashr_i32 s1, s0, 31
	s_delay_alu instid0(SALU_CYCLE_1) | instskip(NEXT) | instid1(SALU_CYCLE_1)
	s_lshl_b64 s[0:1], s[0:1], 1
	v_add_co_u32 v0, vcc_lo, v1, s0
	v_add_co_ci_u32_e32 v1, vcc_lo, s1, v2, vcc_lo
	s_waitcnt lgkmcnt(0)
	global_store_b128 v[0:1], v[3:6], off
	s_nop 0
	s_sendmsg sendmsg(MSG_DEALLOC_VGPRS)
	s_endpgm
	.section	.rodata,"a",@progbits
	.p2align	6, 0x0
	.amdhsa_kernel _Z39paged_attention_ll4mi_QKV_mfma16_kernelIDF16_hLN4vllm18Fp8KVCacheDataTypeE1EhLi32ELi128ELi256ELb1ELi13EL8MFMAType1EEvPKT_PKT0_S8_ifPKiSA_SA_iPKfiiiPfSD_PS3_PT2_iSC_SC_
		.amdhsa_group_segment_fixed_size 17472
		.amdhsa_private_segment_fixed_size 0
		.amdhsa_kernarg_size 400
		.amdhsa_user_sgpr_count 13
		.amdhsa_user_sgpr_dispatch_ptr 0
		.amdhsa_user_sgpr_queue_ptr 0
		.amdhsa_user_sgpr_kernarg_segment_ptr 1
		.amdhsa_user_sgpr_dispatch_id 0
		.amdhsa_user_sgpr_private_segment_size 0
		.amdhsa_wavefront_size32 1
		.amdhsa_uses_dynamic_stack 0
		.amdhsa_enable_private_segment 0
		.amdhsa_system_sgpr_workgroup_id_x 1
		.amdhsa_system_sgpr_workgroup_id_y 1
		.amdhsa_system_sgpr_workgroup_id_z 1
		.amdhsa_system_sgpr_workgroup_info 0
		.amdhsa_system_vgpr_workitem_id 0
		.amdhsa_next_free_vgpr 150
		.amdhsa_next_free_sgpr 37
		.amdhsa_reserve_vcc 1
		.amdhsa_float_round_mode_32 0
		.amdhsa_float_round_mode_16_64 0
		.amdhsa_float_denorm_mode_32 3
		.amdhsa_float_denorm_mode_16_64 3
		.amdhsa_dx10_clamp 1
		.amdhsa_ieee_mode 1
		.amdhsa_fp16_overflow 0
		.amdhsa_workgroup_processor_mode 1
		.amdhsa_memory_ordered 1
		.amdhsa_forward_progress 0
		.amdhsa_shared_vgpr_count 0
		.amdhsa_exception_fp_ieee_invalid_op 0
		.amdhsa_exception_fp_denorm_src 0
		.amdhsa_exception_fp_ieee_div_zero 0
		.amdhsa_exception_fp_ieee_overflow 0
		.amdhsa_exception_fp_ieee_underflow 0
		.amdhsa_exception_fp_ieee_inexact 0
		.amdhsa_exception_int_div_zero 0
	.end_amdhsa_kernel
	.section	.text._Z39paged_attention_ll4mi_QKV_mfma16_kernelIDF16_hLN4vllm18Fp8KVCacheDataTypeE1EhLi32ELi128ELi256ELb1ELi13EL8MFMAType1EEvPKT_PKT0_S8_ifPKiSA_SA_iPKfiiiPfSD_PS3_PT2_iSC_SC_,"axG",@progbits,_Z39paged_attention_ll4mi_QKV_mfma16_kernelIDF16_hLN4vllm18Fp8KVCacheDataTypeE1EhLi32ELi128ELi256ELb1ELi13EL8MFMAType1EEvPKT_PKT0_S8_ifPKiSA_SA_iPKfiiiPfSD_PS3_PT2_iSC_SC_,comdat
.Lfunc_end1022:
	.size	_Z39paged_attention_ll4mi_QKV_mfma16_kernelIDF16_hLN4vllm18Fp8KVCacheDataTypeE1EhLi32ELi128ELi256ELb1ELi13EL8MFMAType1EEvPKT_PKT0_S8_ifPKiSA_SA_iPKfiiiPfSD_PS3_PT2_iSC_SC_, .Lfunc_end1022-_Z39paged_attention_ll4mi_QKV_mfma16_kernelIDF16_hLN4vllm18Fp8KVCacheDataTypeE1EhLi32ELi128ELi256ELb1ELi13EL8MFMAType1EEvPKT_PKT0_S8_ifPKiSA_SA_iPKfiiiPfSD_PS3_PT2_iSC_SC_
                                        ; -- End function
	.section	.AMDGPU.csdata,"",@progbits
; Kernel info:
; codeLenInByte = 6860
; NumSgprs: 39
; NumVgprs: 150
; ScratchSize: 0
; MemoryBound: 0
; FloatMode: 240
; IeeeMode: 1
; LDSByteSize: 17472 bytes/workgroup (compile time only)
; SGPRBlocks: 4
; VGPRBlocks: 18
; NumSGPRsForWavesPerEU: 39
; NumVGPRsForWavesPerEU: 150
; Occupancy: 9
; WaveLimiterHint : 1
; COMPUTE_PGM_RSRC2:SCRATCH_EN: 0
; COMPUTE_PGM_RSRC2:USER_SGPR: 13
; COMPUTE_PGM_RSRC2:TRAP_HANDLER: 0
; COMPUTE_PGM_RSRC2:TGID_X_EN: 1
; COMPUTE_PGM_RSRC2:TGID_Y_EN: 1
; COMPUTE_PGM_RSRC2:TGID_Z_EN: 1
; COMPUTE_PGM_RSRC2:TIDIG_COMP_CNT: 0
	.section	.text._Z39paged_attention_ll4mi_QKV_mfma16_kernelIDF16_hLN4vllm18Fp8KVCacheDataTypeE1EhLi32ELi128ELi256ELb1ELi14EL8MFMAType1EEvPKT_PKT0_S8_ifPKiSA_SA_iPKfiiiPfSD_PS3_PT2_iSC_SC_,"axG",@progbits,_Z39paged_attention_ll4mi_QKV_mfma16_kernelIDF16_hLN4vllm18Fp8KVCacheDataTypeE1EhLi32ELi128ELi256ELb1ELi14EL8MFMAType1EEvPKT_PKT0_S8_ifPKiSA_SA_iPKfiiiPfSD_PS3_PT2_iSC_SC_,comdat
	.protected	_Z39paged_attention_ll4mi_QKV_mfma16_kernelIDF16_hLN4vllm18Fp8KVCacheDataTypeE1EhLi32ELi128ELi256ELb1ELi14EL8MFMAType1EEvPKT_PKT0_S8_ifPKiSA_SA_iPKfiiiPfSD_PS3_PT2_iSC_SC_ ; -- Begin function _Z39paged_attention_ll4mi_QKV_mfma16_kernelIDF16_hLN4vllm18Fp8KVCacheDataTypeE1EhLi32ELi128ELi256ELb1ELi14EL8MFMAType1EEvPKT_PKT0_S8_ifPKiSA_SA_iPKfiiiPfSD_PS3_PT2_iSC_SC_
	.globl	_Z39paged_attention_ll4mi_QKV_mfma16_kernelIDF16_hLN4vllm18Fp8KVCacheDataTypeE1EhLi32ELi128ELi256ELb1ELi14EL8MFMAType1EEvPKT_PKT0_S8_ifPKiSA_SA_iPKfiiiPfSD_PS3_PT2_iSC_SC_
	.p2align	8
	.type	_Z39paged_attention_ll4mi_QKV_mfma16_kernelIDF16_hLN4vllm18Fp8KVCacheDataTypeE1EhLi32ELi128ELi256ELb1ELi14EL8MFMAType1EEvPKT_PKT0_S8_ifPKiSA_SA_iPKfiiiPfSD_PS3_PT2_iSC_SC_,@function
_Z39paged_attention_ll4mi_QKV_mfma16_kernelIDF16_hLN4vllm18Fp8KVCacheDataTypeE1EhLi32ELi128ELi256ELb1ELi14EL8MFMAType1EEvPKT_PKT0_S8_ifPKiSA_SA_iPKfiiiPfSD_PS3_PT2_iSC_SC_: ; @_Z39paged_attention_ll4mi_QKV_mfma16_kernelIDF16_hLN4vllm18Fp8KVCacheDataTypeE1EhLi32ELi128ELi256ELb1ELi14EL8MFMAType1EEvPKT_PKT0_S8_ifPKiSA_SA_iPKfiiiPfSD_PS3_PT2_iSC_SC_
; %bb.0:
	s_load_b64 s[4:5], s[0:1], 0x30
	s_mov_b32 s30, s13
	s_waitcnt lgkmcnt(0)
	s_cmp_lg_u64 s[4:5], 0
	s_cselect_b32 s8, -1, 0
	s_ashr_i32 s31, s13, 31
	s_cmp_eq_u64 s[4:5], 0
	s_cbranch_scc1 .LBB1023_3
; %bb.1:
	s_lshl_b64 s[2:3], s[30:31], 2
	s_delay_alu instid0(SALU_CYCLE_1) | instskip(SKIP_4) | instid1(SALU_CYCLE_1)
	s_add_u32 s2, s4, s2
	s_addc_u32 s3, s5, s3
	s_load_b64 s[2:3], s[2:3], 0x0
	s_waitcnt lgkmcnt(0)
	s_sub_i32 s2, s3, s2
	s_cmp_eq_u32 s2, 1
	s_cselect_b32 s2, -1, 0
	s_delay_alu instid0(SALU_CYCLE_1)
	s_and_not1_b32 vcc_lo, exec_lo, s2
	s_cbranch_vccz .LBB1023_4
.LBB1023_2:
	s_endpgm
.LBB1023_3:
.LBB1023_4:
	s_load_b64 s[2:3], s[0:1], 0x28
	s_lshl_b64 s[6:7], s[30:31], 2
	s_waitcnt lgkmcnt(0)
	s_add_u32 s2, s2, s6
	s_addc_u32 s3, s3, s7
	s_lshl_b32 s12, s14, 8
	s_load_b32 s24, s[2:3], 0x0
	s_waitcnt lgkmcnt(0)
	s_cmp_ge_i32 s12, s24
	s_cbranch_scc1 .LBB1023_2
; %bb.5:
	s_clause 0x1
	s_load_b128 s[20:23], s[0:1], 0x8
	s_load_b64 s[2:3], s[0:1], 0x20
	s_and_not1_b32 vcc_lo, exec_lo, s8
	s_cbranch_vccnz .LBB1023_7
; %bb.6:
	s_add_u32 s4, s4, s6
	s_addc_u32 s5, s5, s7
	s_load_b32 s5, s[4:5], 0x0
	s_branch .LBB1023_8
.LBB1023_7:
	s_mov_b32 s5, s30
.LBB1023_8:
	s_load_b128 s[16:19], s[0:1], 0x48
	v_and_b32_e32 v68, 15, v0
	v_lshrrev_b32_e32 v69, 5, v0
	v_and_b32_e32 v70, 31, v0
	v_and_b32_e32 v67, 1, v0
	v_bfe_u32 v66, v0, 4, 1
	v_lshlrev_b32_e32 v1, 3, v68
	s_mul_i32 s31, s15, 14
	s_mov_b32 s4, exec_lo
	s_delay_alu instid0(VALU_DEP_1)
	v_lshlrev_b32_e32 v65, 1, v1
	v_cmpx_gt_u32_e32 0xe0, v0
	s_cbranch_execz .LBB1023_10
; %bb.9:
	s_load_b64 s[6:7], s[0:1], 0x0
	v_lshl_or_b32 v5, v69, 1, v66
	s_waitcnt lgkmcnt(0)
	s_mul_hi_i32 s9, s5, s16
	s_mul_i32 s8, s5, s16
	v_lshlrev_b32_e32 v6, 10, v68
	s_lshl_b64 s[8:9], s[8:9], 1
	v_add_lshl_u32 v1, v5, s31, 7
	v_lshlrev_b32_e32 v5, 6, v5
	v_lshlrev_b32_e32 v7, 10, v67
	v_and_b32_e32 v6, 0x3800, v6
	s_delay_alu instid0(VALU_DEP_4) | instskip(NEXT) | instid1(VALU_DEP_2)
	v_ashrrev_i32_e32 v2, 31, v1
	v_or3_b32 v5, v6, v7, v5
	s_delay_alu instid0(VALU_DEP_2) | instskip(SKIP_2) | instid1(VALU_DEP_1)
	v_lshlrev_b64 v[1:2], 1, v[1:2]
	s_add_u32 s5, s6, s8
	s_addc_u32 s6, s7, s9
	v_add_co_u32 v1, vcc_lo, s5, v1
	s_delay_alu instid0(VALU_DEP_2) | instskip(NEXT) | instid1(VALU_DEP_2)
	v_add_co_ci_u32_e32 v2, vcc_lo, s6, v2, vcc_lo
	v_add_co_u32 v1, vcc_lo, v1, v65
	s_delay_alu instid0(VALU_DEP_2)
	v_add_co_ci_u32_e32 v2, vcc_lo, 0, v2, vcc_lo
	global_load_b128 v[1:4], v[1:2], off
	s_waitcnt vmcnt(0)
	ds_store_b128 v5, v[1:4]
.LBB1023_10:
	s_or_b32 exec_lo, exec_lo, s4
	v_and_b32_e32 v1, 0xef, v0
	s_waitcnt lgkmcnt(0)
	s_add_i32 s5, s24, 31
	s_clause 0x1
	s_load_b32 s4, s[0:1], 0x38
	s_load_b32 s33, s[0:1], 0x98
	s_ashr_i32 s6, s5, 31
	v_add_nc_u32_e32 v1, s12, v1
	s_lshr_b32 s6, s6, 27
	s_load_b32 s19, s[0:1], 0x1c
	s_add_i32 s5, s5, s6
	s_waitcnt lgkmcnt(0)
	v_ashrrev_i32_e32 v2, 31, v1
	v_or_b32_e32 v3, 16, v1
	s_ashr_i32 s13, s5, 5
	v_cmp_gt_i32_e32 vcc_lo, s24, v1
	s_add_i32 s13, s13, -1
	v_lshrrev_b32_e32 v2, 27, v2
	s_barrier
	buffer_gl0_inv
	s_mul_i32 s15, s15, s18
	v_add_nc_u32_e32 v4, v1, v2
	s_mul_i32 s4, s30, s4
	s_delay_alu instid0(SALU_CYCLE_1) | instskip(NEXT) | instid1(VALU_DEP_1)
	s_ashr_i32 s5, s4, 31
	v_ashrrev_i32_e32 v4, 5, v4
	v_add_nc_u32_e32 v2, v3, v2
	s_lshl_b64 s[4:5], s[4:5], 2
	s_delay_alu instid0(SALU_CYCLE_1) | instskip(NEXT) | instid1(VALU_DEP_2)
	s_add_u32 s16, s2, s4
	v_cndmask_b32_e32 v1, s13, v4, vcc_lo
	s_delay_alu instid0(VALU_DEP_2)
	v_ashrrev_i32_e32 v2, 5, v2
	v_cmp_gt_i32_e32 vcc_lo, s24, v3
	s_addc_u32 s25, s3, s5
	s_ashr_i32 s18, s15, 31
	s_add_u32 s2, s20, s15
	s_addc_u32 s3, s21, s18
	v_cndmask_b32_e32 v3, s13, v2, vcc_lo
	v_ashrrev_i32_e32 v2, 31, v1
	s_lshl_b32 s4, s14, 3
	s_delay_alu instid0(SALU_CYCLE_1) | instskip(NEXT) | instid1(VALU_DEP_2)
	s_ashr_i32 s5, s4, 31
	v_ashrrev_i32_e32 v4, 31, v3
	s_delay_alu instid0(VALU_DEP_2) | instskip(SKIP_1) | instid1(SALU_CYCLE_1)
	v_lshlrev_b64 v[1:2], 2, v[1:2]
	s_lshl_b64 s[4:5], s[4:5], 2
	s_add_u32 s4, s16, s4
	s_delay_alu instid0(VALU_DEP_2) | instskip(SKIP_1) | instid1(VALU_DEP_2)
	v_lshlrev_b64 v[3:4], 2, v[3:4]
	s_addc_u32 s5, s25, s5
	v_add_co_u32 v1, vcc_lo, s16, v1
	v_add_co_ci_u32_e32 v2, vcc_lo, s25, v2, vcc_lo
	s_delay_alu instid0(VALU_DEP_3) | instskip(NEXT) | instid1(VALU_DEP_4)
	v_add_co_u32 v3, vcc_lo, s16, v3
	v_add_co_ci_u32_e32 v4, vcc_lo, s25, v4, vcc_lo
	s_clause 0x1
	global_load_b32 v5, v[1:2], off
	global_load_b32 v6, v[3:4], off
	s_or_b32 s6, s12, 32
	s_delay_alu instid0(SALU_CYCLE_1) | instskip(SKIP_2) | instid1(SALU_CYCLE_1)
	s_ashr_i32 s7, s6, 5
	s_cmp_lt_i32 s6, s24
	s_cselect_b32 s6, s7, s13
	s_ashr_i32 s7, s6, 31
	s_delay_alu instid0(SALU_CYCLE_1) | instskip(NEXT) | instid1(SALU_CYCLE_1)
	s_lshl_b64 s[6:7], s[6:7], 2
	s_add_u32 s6, s16, s6
	s_addc_u32 s7, s25, s7
	s_or_b32 s8, s12, 64
	s_delay_alu instid0(SALU_CYCLE_1) | instskip(SKIP_2) | instid1(SALU_CYCLE_1)
	s_ashr_i32 s9, s8, 5
	s_cmp_lt_i32 s8, s24
	s_cselect_b32 s8, s9, s13
	s_ashr_i32 s9, s8, 31
	s_delay_alu instid0(SALU_CYCLE_1) | instskip(NEXT) | instid1(SALU_CYCLE_1)
	s_lshl_b64 s[8:9], s[8:9], 2
	s_add_u32 s8, s16, s8
	s_addc_u32 s9, s25, s9
	;; [unrolled: 10-line block ×5, first 2 shown]
	s_clause 0x5
	s_load_b32 s28, s[4:5], 0x0
	s_load_b32 s29, s[6:7], 0x0
	;; [unrolled: 1-line block ×6, first 2 shown]
	s_mov_b32 s4, 0
	s_delay_alu instid0(SALU_CYCLE_1)
	s_mov_b32 s5, s4
	s_mov_b32 s6, s4
	;; [unrolled: 1-line block ×7, first 2 shown]
	s_delay_alu instid0(SALU_CYCLE_1)
	v_dual_mov_b32 v118, s11 :: v_dual_mov_b32 v117, s10
	v_dual_mov_b32 v116, s9 :: v_dual_mov_b32 v115, s8
	v_mov_b32_e32 v113, s6
	v_dual_mov_b32 v111, s4 :: v_dual_mov_b32 v114, s7
	v_mov_b32_e32 v112, s5
	s_waitcnt vmcnt(1)
	v_mad_i64_i32 v[1:2], null, v5, s17, s[2:3]
	v_lshlrev_b32_e32 v5, 4, v68
	s_waitcnt vmcnt(0)
	v_mad_i64_i32 v[3:4], null, v6, s17, s[2:3]
	s_or_b32 s2, s12, 0xc0
	s_delay_alu instid0(SALU_CYCLE_1) | instskip(NEXT) | instid1(VALU_DEP_3)
	s_ashr_i32 s3, s2, 5
	v_add_co_u32 v1, vcc_lo, v1, v5
	s_delay_alu instid0(VALU_DEP_4) | instskip(NEXT) | instid1(VALU_DEP_3)
	v_add_co_ci_u32_e32 v2, vcc_lo, 0, v2, vcc_lo
	v_add_co_u32 v3, vcc_lo, v3, v5
	s_delay_alu instid0(VALU_DEP_4)
	v_add_co_ci_u32_e32 v4, vcc_lo, 0, v4, vcc_lo
	s_clause 0xf
	global_load_b128 v[17:20], v[1:2], off
	global_load_b128 v[21:24], v[1:2], off offset:512
	global_load_b128 v[25:28], v[3:4], off offset:256
	global_load_b128 v[29:32], v[3:4], off offset:768
	global_load_b128 v[57:60], v[1:2], off offset:1024
	global_load_b128 v[61:64], v[1:2], off offset:1536
	global_load_b128 v[71:74], v[3:4], off offset:1280
	global_load_b128 v[75:78], v[3:4], off offset:1792
	global_load_b128 v[79:82], v[1:2], off offset:2048
	global_load_b128 v[83:86], v[1:2], off offset:2560
	global_load_b128 v[87:90], v[3:4], off offset:2304
	global_load_b128 v[91:94], v[3:4], off offset:2816
	global_load_b128 v[95:98], v[1:2], off offset:3072
	global_load_b128 v[99:102], v[1:2], off offset:3584
	global_load_b128 v[103:106], v[3:4], off offset:3328
	global_load_b128 v[107:110], v[3:4], off offset:3840
	s_cmp_lt_i32 s2, s24
	v_add_nc_u32_e32 v1, -14, v68
	s_cselect_b32 s2, s3, s13
	v_cmp_gt_u32_e32 vcc_lo, 14, v68
	s_ashr_i32 s3, s2, 31
	v_lshlrev_b32_e32 v2, 5, v68
	s_lshl_b64 s[2:3], s[2:3], 2
	s_delay_alu instid0(SALU_CYCLE_1)
	s_add_u32 s2, s16, s2
	s_addc_u32 s3, s25, s3
	s_or_b32 s20, s12, 0xe0
	v_cndmask_b32_e32 v1, v1, v68, vcc_lo
	s_ashr_i32 s21, s20, 5
	s_cmp_lt_i32 s20, s24
	s_cselect_b32 s20, s21, s13
	s_delay_alu instid0(VALU_DEP_1)
	v_lshlrev_b32_e32 v149, 6, v1
	s_ashr_i32 s21, s20, 31
	v_lshl_or_b32 v1, v69, 9, v2
	s_lshl_b64 s[4:5], s[20:21], 2
	ds_load_b128 v[119:122], v149
	ds_load_b128 v[123:126], v149 offset:1024
	s_add_u32 s4, s16, s4
	s_addc_u32 s5, s25, s5
	ds_load_b128 v[127:130], v149 offset:2048
	ds_load_b128 v[131:134], v149 offset:3072
	s_clause 0x1
	s_load_b32 s2, s[2:3], 0x0
	s_load_b32 s3, s[4:5], 0x0
	s_add_u32 s6, s22, s15
	s_addc_u32 s7, s23, s18
	v_add_co_u32 v135, s6, s6, v1
	s_delay_alu instid0(VALU_DEP_1) | instskip(SKIP_1) | instid1(VALU_DEP_1)
	v_add_co_ci_u32_e64 v136, null, s7, 0, s6
	s_waitcnt lgkmcnt(0)
	v_mad_i64_i32 v[1:2], null, s28, s17, v[135:136]
	v_mad_i64_i32 v[3:4], null, s29, s17, v[135:136]
	;; [unrolled: 1-line block ×6, first 2 shown]
	s_clause 0x9
	global_load_b128 v[49:52], v[1:2], off
	global_load_b128 v[53:56], v[1:2], off offset:16
	global_load_b128 v[41:44], v[3:4], off
	global_load_b128 v[45:48], v[3:4], off offset:16
	;; [unrolled: 2-line block ×5, first 2 shown]
	v_mad_i64_i32 v[145:146], null, s2, s17, v[135:136]
	v_mad_i64_i32 v[147:148], null, s3, s17, v[135:136]
	s_waitcnt vmcnt(24)
	v_wmma_f32_16x16x16_f16 v[135:142], v[17:24], v[119:126], v[111:118]
	s_waitcnt vmcnt(22)
	v_wmma_f32_16x16x16_f16 v[111:118], v[25:32], v[119:126], v[111:118]
	s_clause 0x3
	global_load_b128 v[17:20], v[143:144], off
	global_load_b128 v[21:24], v[143:144], off offset:16
	global_load_b128 v[25:28], v[145:146], off
	global_load_b128 v[29:32], v[145:146], off offset:16
	v_and_b32_e32 v119, 0xe0, v0
	s_waitcnt vmcnt(24)
	v_wmma_f32_16x16x16_f16 v[135:142], v[57:64], v[127:134], v[135:142]
	s_clause 0x1
	global_load_b128 v[57:60], v[147:148], off
	global_load_b128 v[61:64], v[147:148], off offset:16
	s_waitcnt vmcnt(24)
	v_wmma_f32_16x16x16_f16 v[111:118], v[71:78], v[127:134], v[111:118]
	ds_load_b128 v[71:74], v149 offset:4096
	ds_load_b128 v[75:78], v149 offset:5120
	v_add_nc_u32_e32 v128, s12, v119
	ds_load_b128 v[119:122], v149 offset:6144
	ds_load_b128 v[123:126], v149 offset:7168
	v_mbcnt_lo_u32_b32 v127, -1, 0
	s_waitcnt vmcnt(0) lgkmcnt(0)
	s_barrier
	v_or_b32_e32 v128, v128, v66
	buffer_gl0_inv
	v_xor_b32_e32 v129, 16, v127
	v_or_b32_e32 v130, 4, v128
	v_or_b32_e32 v131, 6, v128
	s_delay_alu instid0(VALU_DEP_3) | instskip(SKIP_4) | instid1(VALU_DEP_4)
	v_cmp_gt_i32_e32 vcc_lo, 32, v129
	v_or_b32_e32 v132, 8, v128
	v_or_b32_e32 v133, 10, v128
	v_cmp_gt_i32_e64 s3, s24, v130
	v_cmp_gt_i32_e64 s4, s24, v131
	;; [unrolled: 1-line block ×3, first 2 shown]
	v_wmma_f32_16x16x16_f16 v[135:142], v[79:86], v[71:78], v[135:142]
	v_wmma_f32_16x16x16_f16 v[111:118], v[87:94], v[71:78], v[111:118]
	v_or_b32_e32 v79, 12, v128
	v_or_b32_e32 v80, 14, v128
	v_cmp_gt_i32_e64 s6, s24, v133
	v_wmma_f32_16x16x16_f16 v[135:142], v[95:102], v[119:126], v[135:142]
	v_wmma_f32_16x16x16_f16 v[111:118], v[103:110], v[119:126], v[111:118]
	v_cndmask_b32_e32 v127, v127, v129, vcc_lo
	v_or_b32_e32 v129, 2, v128
	v_cmp_gt_i32_e32 vcc_lo, s24, v128
	s_delay_alu instid0(VALU_DEP_4) | instskip(SKIP_1) | instid1(VALU_DEP_4)
	v_dual_mul_f32 v87, s19, v136 :: v_dual_mul_f32 v94, s19, v113
	v_mul_f32_e32 v88, s19, v135
	v_cmp_gt_i32_e64 s2, s24, v129
	v_mul_f32_e32 v78, s19, v138
	v_mul_f32_e32 v86, s19, v137
	;; [unrolled: 1-line block ×3, first 2 shown]
	v_cndmask_b32_e32 v88, 0xff7fffff, v88, vcc_lo
	v_cndmask_b32_e64 v87, 0xff7fffff, v87, s2
	v_dual_mul_f32 v77, s19, v139 :: v_dual_mul_f32 v90, s19, v117
	v_cndmask_b32_e64 v86, 0xff7fffff, v86, s3
	v_cndmask_b32_e64 v78, 0xff7fffff, v78, s4
	s_delay_alu instid0(VALU_DEP_4)
	v_max3_f32 v87, v88, 0xff7fffff, v87
	v_or_b32_e32 v81, 16, v128
	v_or_b32_e32 v82, 18, v128
	v_dual_mul_f32 v74, s19, v142 :: v_dual_mul_f32 v75, s19, v141
	v_mul_f32_e32 v96, s19, v111
	v_cndmask_b32_e64 v77, 0xff7fffff, v77, s5
	v_cndmask_b32_e64 v76, 0xff7fffff, v76, s6
	v_max3_f32 v78, v87, v86, v78
	v_cmp_gt_i32_e64 s7, s24, v79
	v_cmp_gt_i32_e64 s8, s24, v80
	v_or_b32_e32 v83, 20, v128
	v_or_b32_e32 v84, 22, v128
	v_mul_f32_e32 v95, s19, v112
	v_cndmask_b32_e64 v75, 0xff7fffff, v75, s7
	v_cndmask_b32_e64 v74, 0xff7fffff, v74, s8
	v_max3_f32 v76, v78, v77, v76
	v_cmp_gt_i32_e64 s9, s24, v81
	v_cmp_gt_i32_e64 s10, s24, v82
	v_or_b32_e32 v85, 24, v128
	v_or_b32_e32 v71, 26, v128
	;; [unrolled: 8-line block ×3, first 2 shown]
	v_dual_mul_f32 v91, s19, v116 :: v_dual_mul_f32 v92, s19, v115
	v_cndmask_b32_e64 v75, 0xff7fffff, v94, s11
	v_cndmask_b32_e64 v76, 0xff7fffff, v93, s12
	v_max3_f32 v74, v74, v77, v78
	v_cmp_gt_i32_e64 s13, s24, v85
	v_cmp_gt_i32_e64 s15, s24, v71
	v_mul_f32_e32 v89, s19, v118
	v_cmp_gt_i32_e64 s16, s24, v72
	v_max3_f32 v74, v74, v75, v76
	v_cndmask_b32_e64 v77, 0xff7fffff, v92, s13
	v_cndmask_b32_e64 v71, 0xff7fffff, v91, s15
	v_cmp_gt_i32_e64 s17, s24, v73
	v_cndmask_b32_e64 v72, 0xff7fffff, v90, s16
	s_delay_alu instid0(VALU_DEP_3) | instskip(SKIP_1) | instid1(VALU_DEP_4)
	v_max3_f32 v71, v74, v77, v71
	v_lshlrev_b32_e32 v74, 2, v127
	v_cndmask_b32_e64 v73, 0xff7fffff, v89, s17
	s_delay_alu instid0(VALU_DEP_1) | instskip(SKIP_3) | instid1(VALU_DEP_1)
	v_max3_f32 v71, v71, v72, v73
	ds_bpermute_b32 v72, v74, v71
	s_waitcnt lgkmcnt(0)
	v_max_f32_e32 v72, v72, v72
	v_max_f32_e32 v71, v71, v72
	s_delay_alu instid0(VALU_DEP_1) | instskip(SKIP_4) | instid1(VALU_DEP_4)
	v_fma_f32 v72, s19, v135, -v71
	v_fma_f32 v73, s19, v136, -v71
	;; [unrolled: 1-line block ×5, first 2 shown]
	v_dual_mul_f32 v72, 0x3fb8aa3b, v72 :: v_dual_mul_f32 v73, 0x3fb8aa3b, v73
	s_delay_alu instid0(VALU_DEP_3) | instskip(SKIP_1) | instid1(VALU_DEP_3)
	v_dual_mul_f32 v75, 0x3fb8aa3b, v75 :: v_dual_mul_f32 v76, 0x3fb8aa3b, v76
	v_fma_f32 v80, s19, v141, -v71
	v_exp_f32_e32 v72, v72
	s_delay_alu instid0(VALU_DEP_3) | instskip(NEXT) | instid1(VALU_DEP_2)
	v_exp_f32_e32 v73, v73
	v_exp_f32_e32 v75, v75
	;; [unrolled: 1-line block ×3, first 2 shown]
	v_mul_f32_e32 v82, 0x3fb8aa3b, v80
	s_delay_alu instid0(VALU_DEP_1) | instskip(SKIP_4) | instid1(TRANS32_DEP_3)
	v_exp_f32_e32 v84, v82
	v_cndmask_b32_e32 v79, 0, v72, vcc_lo
	v_fma_f32 v72, s19, v140, -v71
	v_mul_f32_e32 v77, 0x3fb8aa3b, v77
	v_cndmask_b32_e64 v78, 0, v73, s2
	v_cndmask_b32_e64 v81, 0, v75, s3
	s_delay_alu instid0(VALU_DEP_4) | instskip(NEXT) | instid1(VALU_DEP_4)
	v_dual_add_f32 v73, 0, v79 :: v_dual_mul_f32 v72, 0x3fb8aa3b, v72
	v_exp_f32_e32 v77, v77
	v_cndmask_b32_e64 v80, 0, v76, s4
	s_delay_alu instid0(TRANS32_DEP_2) | instskip(NEXT) | instid1(VALU_DEP_3)
	v_cndmask_b32_e64 v85, 0, v84, s7
	v_add_f32_e32 v73, v73, v78
	v_exp_f32_e32 v72, v72
	s_mov_b32 s2, exec_lo
	s_delay_alu instid0(VALU_DEP_1) | instskip(SKIP_4) | instid1(VALU_DEP_2)
	v_add_f32_e32 v73, v73, v81
	s_waitcnt_depctr 0xfff
	v_cndmask_b32_e64 v83, 0, v77, s5
	v_add_f32_e32 v73, v73, v80
	v_cndmask_b32_e64 v82, 0, v72, s6
	v_add_f32_e32 v72, v73, v83
	s_delay_alu instid0(VALU_DEP_1) | instskip(NEXT) | instid1(VALU_DEP_1)
	v_add_f32_e32 v72, v72, v82
	v_add_f32_e32 v72, v72, v85
	v_fma_f32 v76, s19, v111, -v71
	v_fma_f32 v75, s19, v142, -v71
	;; [unrolled: 1-line block ×5, first 2 shown]
	s_delay_alu instid0(VALU_DEP_4) | instskip(NEXT) | instid1(VALU_DEP_3)
	v_dual_mul_f32 v76, 0x3fb8aa3b, v76 :: v_dual_mul_f32 v75, 0x3fb8aa3b, v75
	v_mul_f32_e32 v86, 0x3fb8aa3b, v86
	s_delay_alu instid0(VALU_DEP_2) | instskip(NEXT) | instid1(VALU_DEP_2)
	v_exp_f32_e32 v76, v76
	v_exp_f32_e32 v75, v75
	s_delay_alu instid0(VALU_DEP_1) | instskip(NEXT) | instid1(TRANS32_DEP_3)
	v_exp_f32_e32 v88, v86
	v_cndmask_b32_e64 v87, 0, v76, s9
	v_fma_f32 v76, s19, v116, -v71
	v_mul_f32_e32 v77, 0x3fb8aa3b, v77
	s_waitcnt_depctr 0xfff
	v_cndmask_b32_e64 v84, 0, v75, s8
	v_fma_f32 v75, s19, v115, -v71
	v_cndmask_b32_e64 v88, 0, v88, s12
	v_mul_f32_e32 v76, 0x3fb8aa3b, v76
	v_exp_f32_e32 v77, v77
	v_add_f32_e32 v72, v72, v84
	s_delay_alu instid0(VALU_DEP_2) | instskip(NEXT) | instid1(VALU_DEP_1)
	v_exp_f32_e32 v76, v76
	v_add_f32_e32 v72, v72, v87
	s_waitcnt_depctr 0xfff
	v_cndmask_b32_e64 v86, 0, v77, s10
	v_mul_f32_e32 v73, 0x3fb8aa3b, v73
	v_fma_f32 v77, s19, v117, -v71
	v_cndmask_b32_e64 v90, 0, v76, s15
	s_delay_alu instid0(VALU_DEP_4) | instskip(NEXT) | instid1(VALU_DEP_4)
	v_add_f32_e32 v72, v72, v86
	v_exp_f32_e32 v73, v73
	s_waitcnt_depctr 0xfff
	v_cndmask_b32_e64 v89, 0, v73, s11
	s_delay_alu instid0(VALU_DEP_1) | instskip(NEXT) | instid1(VALU_DEP_1)
	v_dual_mul_f32 v75, 0x3fb8aa3b, v75 :: v_dual_add_f32 v72, v72, v89
	v_exp_f32_e32 v75, v75
	v_mul_f32_e32 v73, 0x3fb8aa3b, v77
	v_fma_f32 v77, s19, v118, -v71
	s_delay_alu instid0(VALU_DEP_3) | instskip(NEXT) | instid1(VALU_DEP_3)
	v_add_f32_e32 v72, v72, v88
	v_exp_f32_e32 v73, v73
	s_waitcnt_depctr 0xfff
	v_cndmask_b32_e64 v91, 0, v75, s13
	s_delay_alu instid0(VALU_DEP_1) | instskip(NEXT) | instid1(VALU_DEP_1)
	v_dual_mul_f32 v75, 0x3fb8aa3b, v77 :: v_dual_add_f32 v72, v72, v91
	v_exp_f32_e32 v75, v75
	v_cndmask_b32_e64 v93, 0, v73, s16
	s_delay_alu instid0(VALU_DEP_2) | instskip(NEXT) | instid1(VALU_DEP_1)
	v_add_f32_e32 v72, v72, v90
	v_add_f32_e32 v72, v72, v93
	s_waitcnt_depctr 0xfff
	v_cndmask_b32_e64 v92, 0, v75, s17
	s_delay_alu instid0(VALU_DEP_1)
	v_add_f32_e32 v72, v72, v92
	ds_bpermute_b32 v73, v74, v72
	v_cmpx_gt_u32_e32 16, v70
	s_cbranch_execz .LBB1023_12
; %bb.11:
	v_mul_u32_u24_e32 v70, 0x44, v69
	s_waitcnt lgkmcnt(0)
	v_add_f32_e32 v72, v72, v73
	s_delay_alu instid0(VALU_DEP_2) | instskip(NEXT) | instid1(VALU_DEP_1)
	v_lshl_add_u32 v70, v68, 2, v70
	v_add_nc_u32_e32 v70, 0x4000, v70
	ds_store_2addr_b32 v70, v71, v72 offset1:136
.LBB1023_12:
	s_or_b32 exec_lo, exec_lo, s2
	v_lshlrev_b32_e32 v70, 2, v68
	s_load_b32 s34, s[0:1], 0x94
	s_waitcnt lgkmcnt(0)
	s_barrier
	buffer_gl0_inv
	v_add_nc_u32_e32 v98, 0x4000, v70
	v_cmp_eq_u32_e32 vcc_lo, 1, v69
	v_cmp_eq_u32_e64 s2, 2, v69
	v_cmp_eq_u32_e64 s3, 3, v69
	v_cmp_eq_u32_e64 s4, 4, v69
	ds_load_2addr_b32 v[70:71], v98 offset1:17
	ds_load_2addr_b32 v[72:73], v98 offset0:34 offset1:51
	ds_load_2addr_b32 v[74:75], v98 offset0:68 offset1:85
	;; [unrolled: 1-line block ×3, first 2 shown]
	v_cmp_eq_u32_e64 s5, 5, v69
	v_cmp_eq_u32_e64 s6, 7, v69
	s_waitcnt lgkmcnt(3)
	v_max3_f32 v76, v70, 0xff7fffff, v71
	s_waitcnt lgkmcnt(2)
	s_delay_alu instid0(VALU_DEP_1) | instskip(SKIP_1) | instid1(VALU_DEP_1)
	v_max3_f32 v76, v76, v72, v73
	s_waitcnt lgkmcnt(1)
	v_max3_f32 v76, v76, v74, v75
	s_waitcnt lgkmcnt(0)
	s_delay_alu instid0(VALU_DEP_1) | instskip(NEXT) | instid1(VALU_DEP_1)
	v_max3_f32 v76, v76, v94, v95
	v_sub_f32_e32 v77, v71, v76
	ds_load_2addr_b32 v[96:97], v98 offset0:136 offset1:153
	v_sub_f32_e32 v74, v74, v76
	v_sub_f32_e32 v70, v70, v76
	;; [unrolled: 1-line block ×3, first 2 shown]
	v_dual_sub_f32 v72, v72, v76 :: v_dual_mul_f32 v77, 0x3fb8aa3b, v77
	s_delay_alu instid0(VALU_DEP_4) | instskip(NEXT) | instid1(VALU_DEP_4)
	v_mul_f32_e32 v103, 0x3fb8aa3b, v74
	v_mul_f32_e32 v99, 0x3fb8aa3b, v70
	ds_load_2addr_b32 v[70:71], v98 offset0:170 offset1:187
	v_dual_mul_f32 v101, 0x3fb8aa3b, v72 :: v_dual_mul_f32 v94, 0x3fb8aa3b, v94
	v_exp_f32_e32 v102, v77
	v_exp_f32_e32 v99, v99
	s_delay_alu instid0(VALU_DEP_1) | instskip(NEXT) | instid1(VALU_DEP_1)
	v_exp_f32_e32 v101, v101
	v_exp_f32_e32 v94, v94
	s_waitcnt lgkmcnt(1)
	s_delay_alu instid0(TRANS32_DEP_3)
	v_fma_f32 v77, v99, v96, 0
	v_sub_f32_e32 v100, v73, v76
	ds_load_2addr_b32 v[72:73], v98 offset0:204 offset1:221
	v_fmac_f32_e32 v77, v102, v97
	v_exp_f32_e32 v97, v103
	s_waitcnt lgkmcnt(1)
	s_delay_alu instid0(VALU_DEP_1)
	v_dual_fmac_f32 v77, v101, v70 :: v_dual_sub_f32 v96, v75, v76
	ds_load_2addr_b32 v[74:75], v98 offset0:238 offset1:255
	v_sub_f32_e32 v70, v95, v76
	s_waitcnt lgkmcnt(0)
	s_barrier
	v_mul_f32_e32 v96, 0x3fb8aa3b, v96
	buffer_gl0_inv
	v_exp_f32_e32 v95, v96
	v_mul_f32_e32 v100, 0x3fb8aa3b, v100
	s_delay_alu instid0(VALU_DEP_1) | instskip(SKIP_3) | instid1(VALU_DEP_2)
	v_exp_f32_e32 v100, v100
	s_waitcnt_depctr 0xfff
	v_dual_fmac_f32 v77, v100, v71 :: v_dual_mul_f32 v70, 0x3fb8aa3b, v70
	v_cndmask_b32_e32 v71, v99, v102, vcc_lo
	v_fmac_f32_e32 v77, v97, v72
	s_delay_alu instid0(VALU_DEP_3) | instskip(NEXT) | instid1(VALU_DEP_1)
	v_exp_f32_e32 v96, v70
	v_fmac_f32_e32 v77, v95, v73
	s_delay_alu instid0(VALU_DEP_1) | instskip(SKIP_2) | instid1(VALU_DEP_1)
	v_fmac_f32_e32 v77, v94, v74
	s_waitcnt_depctr 0xfff
	v_fmac_f32_e32 v77, v96, v75
	v_add_f32_e32 v74, 0x358637bd, v77
	s_delay_alu instid0(VALU_DEP_1) | instskip(SKIP_1) | instid1(VALU_DEP_2)
	v_div_scale_f32 v98, null, v74, v74, 1.0
	v_div_scale_f32 v99, vcc_lo, 1.0, v74, 1.0
	v_rcp_f32_e32 v103, v98
	s_waitcnt_depctr 0xfff
	v_fma_f32 v70, -v98, v103, 1.0
	s_delay_alu instid0(VALU_DEP_1) | instskip(SKIP_2) | instid1(VALU_DEP_2)
	v_fmac_f32_e32 v103, v70, v103
	v_cndmask_b32_e64 v70, v71, v101, s2
	v_cmp_eq_u32_e64 s2, 6, v69
	v_cndmask_b32_e64 v71, v70, v100, s3
	s_delay_alu instid0(VALU_DEP_4) | instskip(NEXT) | instid1(VALU_DEP_2)
	v_dual_mul_f32 v101, v99, v103 :: v_dual_lshlrev_b32 v70, 2, v66
	v_cndmask_b32_e64 v71, v71, v97, s4
	s_delay_alu instid0(VALU_DEP_2) | instskip(NEXT) | instid1(VALU_DEP_3)
	v_or_b32_e32 v72, 1, v70
	v_fma_f32 v100, -v98, v101, v99
	v_cmp_eq_u32_e64 s3, 1, v70
	v_cmp_eq_u32_e64 s4, 2, v70
	v_cndmask_b32_e64 v95, v71, v95, s5
	v_or_b32_e32 v71, 3, v70
	v_fmac_f32_e32 v101, v100, v103
	v_cmp_eq_u32_e64 s8, 1, v72
	v_cmp_eq_u32_e64 s11, 2, v72
	v_cndmask_b32_e64 v94, v95, v94, s2
	v_cmp_eq_u32_e64 s10, 1, v71
	v_fma_f32 v97, -v98, v101, v99
	v_cmp_eq_u32_e64 s15, 2, v71
	v_cmp_eq_u32_e64 s12, 3, v72
	v_cndmask_b32_e64 v94, v94, v96, s6
	v_cmp_eq_u32_e64 s17, 3, v71
	v_div_fmas_f32 v95, v97, v103, v101
	v_cmp_eq_u32_e32 vcc_lo, 3, v70
	v_cmp_eq_u32_e64 s2, 4, v70
	v_cmp_eq_u32_e64 s18, 4, v72
	;; [unrolled: 1-line block ×3, first 2 shown]
	v_div_fixup_f32 v95, v95, v74, 1.0
	v_lshlrev_b32_e32 v73, 6, v68
	v_cmp_eq_u32_e64 s5, 5, v70
	v_cmp_eq_u32_e64 s19, 5, v72
	v_cmp_eq_u32_e64 s23, 5, v71
	v_mul_f32_e32 v102, v94, v95
	v_lshl_or_b32 v75, v69, 11, v73
	v_or_b32_e32 v69, 2, v70
	v_cmp_eq_u32_e64 s24, 6, v72
	v_cmp_eq_u32_e64 s26, 6, v71
	v_fma_mixlo_f16 v94, v102, v79, 0
	v_fma_mixlo_f16 v95, v102, v81, 0
	;; [unrolled: 1-line block ×8, first 2 shown]
	v_lshl_or_b32 v74, v66, 4, v75
	v_fma_mixhi_f16 v94, v102, v78, 0
	v_fma_mixhi_f16 v95, v102, v80, 0
	;; [unrolled: 1-line block ×8, first 2 shown]
	ds_store_b128 v74, v[94:97]
	ds_store_b128 v74, v[98:101] offset:1024
	s_waitcnt lgkmcnt(0)
	s_barrier
	buffer_gl0_inv
	ds_load_b128 v[78:81], v75
	ds_load_b128 v[82:85], v75 offset:16
	ds_load_b128 v[86:89], v75 offset:1024
	;; [unrolled: 1-line block ×3, first 2 shown]
	v_cmp_eq_u32_e64 s9, 1, v69
	v_cmp_eq_u32_e64 s13, 2, v69
	;; [unrolled: 1-line block ×11, first 2 shown]
	s_waitcnt lgkmcnt(3)
	v_lshrrev_b32_e32 v94, 16, v78
	s_waitcnt lgkmcnt(2)
	v_lshrrev_b32_e32 v98, 16, v82
	;; [unrolled: 2-line block ×4, first 2 shown]
	v_lshrrev_b32_e32 v95, 16, v79
	v_cndmask_b32_e64 v110, v78, v94, s3
	v_cndmask_b32_e64 v111, v82, v98, s3
	;; [unrolled: 1-line block ×8, first 2 shown]
	v_lshrrev_b32_e32 v99, 16, v83
	v_cndmask_b32_e64 v94, v86, v102, s3
	v_cndmask_b32_e64 v98, v90, v106, s3
	;; [unrolled: 1-line block ×15, first 2 shown]
	v_lshrrev_b32_e32 v103, 16, v87
	v_lshrrev_b32_e32 v107, 16, v91
	v_cndmask_b32_e64 v113, v115, v83, s13
	v_cndmask_b32_e64 v82, v94, v87, s4
	;; [unrolled: 1-line block ×7, first 2 shown]
	v_cndmask_b32_e32 v90, v102, v95, vcc_lo
	v_cndmask_b32_e32 v102, v106, v99, vcc_lo
	v_cndmask_b32_e64 v106, v110, v95, s12
	v_cndmask_b32_e64 v110, v111, v99, s12
	;; [unrolled: 1-line block ×4, first 2 shown]
	v_lshrrev_b32_e32 v96, 16, v80
	v_lshrrev_b32_e32 v100, 16, v84
	v_cndmask_b32_e64 v111, v112, v95, s16
	v_cndmask_b32_e64 v112, v113, v99, s16
	v_cndmask_b32_e32 v82, v82, v103, vcc_lo
	v_cndmask_b32_e32 v83, v83, v107, vcc_lo
	v_cndmask_b32_e64 v94, v94, v103, s12
	v_cndmask_b32_e64 v90, v90, v80, s2
	;; [unrolled: 1-line block ×7, first 2 shown]
	v_lshrrev_b32_e32 v104, 16, v88
	v_cndmask_b32_e64 v106, v111, v80, s20
	v_cndmask_b32_e64 v110, v112, v84, s20
	;; [unrolled: 1-line block ×11, first 2 shown]
	v_lshrrev_b32_e32 v97, 16, v81
	v_lshrrev_b32_e32 v101, 16, v85
	v_cndmask_b32_e64 v99, v106, v96, s22
	v_cndmask_b32_e64 v102, v110, v100, s22
	;; [unrolled: 1-line block ×7, first 2 shown]
	v_lshrrev_b32_e32 v105, 16, v89
	v_cndmask_b32_e64 v80, v80, v104, s5
	v_cndmask_b32_e64 v84, v84, v81, s6
	;; [unrolled: 1-line block ×16, first 2 shown]
	v_perm_b32 v81, v79, v78, 0x5040100
	v_perm_b32 v79, v95, v85, 0x5040100
	v_cndmask_b32_e64 v78, v119, v91, s13
	v_cndmask_b32_e64 v85, v117, v91, s11
	;; [unrolled: 1-line block ×3, first 2 shown]
	v_perm_b32 v80, v94, v90, 0x5040100
	v_cndmask_b32_e64 v90, v98, v103, s16
	v_cndmask_b32_e64 v86, v86, v103, s17
	;; [unrolled: 1-line block ×5, first 2 shown]
	v_lshrrev_b32_e32 v108, 16, v92
	v_cndmask_b32_e64 v90, v90, v88, s20
	v_cndmask_b32_e64 v86, v86, v88, s21
	;; [unrolled: 1-line block ×11, first 2 shown]
	v_lshrrev_b32_e32 v109, 16, v93
	v_cndmask_b32_e64 v82, v82, v93, s6
	v_cndmask_b32_e64 v88, v88, v89, s25
	;; [unrolled: 1-line block ×12, first 2 shown]
	v_perm_b32 v78, v84, v83, 0x5040100
	v_perm_b32 v85, v87, v86, 0x5040100
	;; [unrolled: 1-line block ×5, first 2 shown]
	s_mul_i32 s7, s33, 14
	s_mov_b32 s2, exec_lo
	ds_store_b128 v74, v[78:81]
	ds_store_b128 v74, v[82:85] offset:1024
	v_cmpx_gt_u32_e32 14, v0
	s_cbranch_execz .LBB1023_14
; %bb.13:
	s_mul_i32 s3, s7, s30
	s_load_b128 s[8:11], s[0:1], 0x58
	v_add3_u32 v68, s3, s31, v68
	s_delay_alu instid0(VALU_DEP_1) | instskip(NEXT) | instid1(VALU_DEP_1)
	v_mad_u64_u32 v[78:79], null, v68, s34, s[14:15]
	v_ashrrev_i32_e32 v79, 31, v78
	s_delay_alu instid0(VALU_DEP_1) | instskip(SKIP_1) | instid1(VALU_DEP_1)
	v_lshlrev_b64 v[78:79], 2, v[78:79]
	s_waitcnt lgkmcnt(0)
	v_add_co_u32 v80, vcc_lo, s10, v78
	s_delay_alu instid0(VALU_DEP_2)
	v_add_co_ci_u32_e32 v81, vcc_lo, s11, v79, vcc_lo
	v_add_co_u32 v78, vcc_lo, s8, v78
	v_add_co_ci_u32_e32 v79, vcc_lo, s9, v79, vcc_lo
	global_store_b32 v[80:81], v76, off
	global_store_b32 v[78:79], v77, off
.LBB1023_14:
	s_or_b32 exec_lo, exec_lo, s2
	s_waitcnt lgkmcnt(0)
	s_waitcnt_vscnt null, 0x0
	s_barrier
	buffer_gl0_inv
	ds_load_b128 v[84:87], v73
	ds_load_b128 v[88:91], v73 offset:16
	ds_load_b128 v[96:99], v73 offset:2064
	;; [unrolled: 1-line block ×5, first 2 shown]
	v_cmp_eq_u32_e32 vcc_lo, 1, v70
	v_mov_b32_e32 v76, 0
	ds_load_b128 v[112:115], v73 offset:6160
	ds_load_b128 v[108:111], v73 offset:6144
	;; [unrolled: 1-line block ×4, first 2 shown]
	v_cmp_eq_u32_e64 s3, 1, v69
	v_cmp_eq_u32_e64 s2, 1, v72
	;; [unrolled: 1-line block ×3, first 2 shown]
	v_mov_b32_e32 v77, v76
	v_mov_b32_e32 v78, v76
	;; [unrolled: 1-line block ×7, first 2 shown]
	v_cmp_eq_u32_e64 s5, 3, v72
	v_cmp_eq_u32_e64 s6, 7, v72
	s_waitcnt lgkmcnt(8)
	s_delay_alu instid0(VALU_DEP_3)
	v_wmma_f32_16x16x16_f16 v[76:83], v[49:56], v[84:91], v[76:83]
	ds_load_b128 v[53:56], v73 offset:10256
	ds_load_b128 v[49:52], v73 offset:10240
	s_waitcnt lgkmcnt(8)
	v_wmma_f32_16x16x16_f16 v[76:83], v[41:48], v[92:99], v[76:83]
	ds_load_b128 v[45:48], v73 offset:12304
	ds_load_b128 v[41:44], v73 offset:12288
	s_waitcnt lgkmcnt(8)
	v_wmma_f32_16x16x16_f16 v[76:83], v[33:40], v[100:107], v[76:83]
	ds_load_b128 v[37:40], v73 offset:14352
	ds_load_b128 v[33:36], v73 offset:14336
	s_waitcnt lgkmcnt(0)
	s_barrier
	buffer_gl0_inv
	v_wmma_f32_16x16x16_f16 v[76:83], v[1:8], v[108:115], v[76:83]
	s_delay_alu instid0(VALU_DEP_1) | instskip(NEXT) | instid1(VALU_DEP_1)
	v_wmma_f32_16x16x16_f16 v[76:83], v[9:16], v[116:123], v[76:83]
	v_wmma_f32_16x16x16_f16 v[76:83], v[17:24], v[49:56], v[76:83]
	s_delay_alu instid0(VALU_DEP_1) | instskip(NEXT) | instid1(VALU_DEP_1)
	v_wmma_f32_16x16x16_f16 v[76:83], v[25:32], v[41:48], v[76:83]
	v_wmma_f32_16x16x16_f16 v[76:83], v[57:64], v[33:40], v[76:83]
	s_delay_alu instid0(VALU_DEP_1) | instskip(NEXT) | instid1(VALU_DEP_2)
	v_cvt_f16_f32_e32 v1, v76
	v_cvt_f16_f32_e32 v2, v77
	s_delay_alu instid0(VALU_DEP_3) | instskip(NEXT) | instid1(VALU_DEP_4)
	v_cvt_f16_f32_e32 v3, v78
	v_cvt_f16_f32_e32 v4, v79
	;; [unrolled: 1-line block ×6, first 2 shown]
	v_pack_b32_f16 v1, v1, v2
	v_pack_b32_f16 v2, v3, v4
	;; [unrolled: 1-line block ×3, first 2 shown]
	s_delay_alu instid0(VALU_DEP_4)
	v_pack_b32_f16 v4, v7, v8
	ds_store_b128 v74, v[1:4]
	s_waitcnt lgkmcnt(0)
	s_barrier
	buffer_gl0_inv
	ds_load_b128 v[1:4], v75
	ds_load_b128 v[5:8], v75 offset:16
	s_waitcnt lgkmcnt(1)
	v_lshrrev_b32_e32 v9, 16, v1
	s_waitcnt lgkmcnt(0)
	v_lshrrev_b32_e32 v13, 16, v5
	v_lshrrev_b32_e32 v10, 16, v2
	;; [unrolled: 1-line block ×4, first 2 shown]
	v_cndmask_b32_e32 v17, v1, v9, vcc_lo
	v_cndmask_b32_e32 v18, v5, v13, vcc_lo
	v_cndmask_b32_e64 v21, v1, v9, s3
	v_cmp_eq_u32_e32 vcc_lo, 1, v71
	v_cndmask_b32_e64 v22, v5, v13, s3
	v_cmp_eq_u32_e64 s3, 2, v70
	v_cndmask_b32_e64 v19, v1, v9, s2
	v_cndmask_b32_e64 v20, v5, v13, s2
	v_cndmask_b32_e32 v1, v1, v9, vcc_lo
	v_cmp_eq_u32_e64 s2, 2, v71
	v_cndmask_b32_e32 v5, v5, v13, vcc_lo
	v_cndmask_b32_e64 v9, v17, v2, s3
	v_cmp_eq_u32_e32 vcc_lo, 3, v70
	v_cndmask_b32_e64 v13, v18, v6, s3
	v_cmp_eq_u32_e64 s3, 2, v69
	v_cndmask_b32_e64 v17, v19, v2, s4
	v_cndmask_b32_e64 v18, v20, v6, s4
	v_cmp_eq_u32_e64 s4, 3, v69
	v_cndmask_b32_e64 v1, v1, v2, s2
	v_cndmask_b32_e64 v19, v21, v2, s3
	;; [unrolled: 1-line block ×4, first 2 shown]
	v_cndmask_b32_e32 v5, v9, v10, vcc_lo
	v_cndmask_b32_e32 v6, v13, v14, vcc_lo
	v_cmp_eq_u32_e32 vcc_lo, 3, v71
	v_cndmask_b32_e64 v9, v17, v10, s5
	v_cndmask_b32_e64 v13, v18, v14, s5
	;; [unrolled: 1-line block ×3, first 2 shown]
	v_cmp_eq_u32_e64 s3, 4, v70
	v_cndmask_b32_e32 v1, v1, v10, vcc_lo
	v_cndmask_b32_e32 v2, v2, v14, vcc_lo
	v_cmp_eq_u32_e32 vcc_lo, 4, v72
	v_lshrrev_b32_e32 v15, 16, v7
	v_lshrrev_b32_e32 v16, 16, v8
	v_cndmask_b32_e64 v17, v19, v10, s4
	v_cmp_eq_u32_e64 s2, 4, v71
	v_cndmask_b32_e64 v5, v5, v3, s3
	v_cndmask_b32_e64 v6, v6, v7, s3
	v_cndmask_b32_e32 v9, v9, v3, vcc_lo
	v_cmp_eq_u32_e64 s3, 5, v72
	v_cndmask_b32_e32 v10, v13, v7, vcc_lo
	v_cmp_eq_u32_e32 vcc_lo, 4, v69
	v_cmp_eq_u32_e64 s4, 5, v70
	v_cndmask_b32_e64 v2, v2, v7, s2
	v_cndmask_b32_e64 v9, v9, v11, s3
	;; [unrolled: 1-line block ×3, first 2 shown]
	v_cndmask_b32_e32 v13, v17, v3, vcc_lo
	v_cmp_eq_u32_e64 s3, 5, v69
	v_cndmask_b32_e32 v14, v18, v7, vcc_lo
	v_cndmask_b32_e64 v1, v1, v3, s2
	v_cmp_eq_u32_e32 vcc_lo, 5, v71
	v_lshrrev_b32_e32 v12, 16, v4
	v_cndmask_b32_e64 v13, v13, v11, s3
	v_cndmask_b32_e64 v3, v14, v15, s3
	v_cmp_eq_u32_e64 s3, 6, v71
	v_cndmask_b32_e32 v1, v1, v11, vcc_lo
	v_cndmask_b32_e64 v5, v5, v11, s4
	v_cmp_eq_u32_e64 s5, 6, v70
	v_cndmask_b32_e64 v6, v6, v15, s4
	v_cmp_eq_u32_e64 s4, 6, v72
	v_cmp_eq_u32_e64 s2, 6, v69
	v_cndmask_b32_e64 v1, v1, v4, s3
	v_cndmask_b32_e32 v2, v2, v15, vcc_lo
	v_cmp_eq_u32_e32 vcc_lo, 7, v71
	v_cndmask_b32_e64 v5, v5, v4, s5
	v_cndmask_b32_e64 v9, v9, v4, s4
	;; [unrolled: 1-line block ×3, first 2 shown]
	v_cmp_eq_u32_e64 s5, 7, v70
	v_cndmask_b32_e32 v1, v1, v12, vcc_lo
	v_cndmask_b32_e64 v7, v13, v4, s2
	v_cndmask_b32_e64 v3, v3, v8, s2
	;; [unrolled: 1-line block ×3, first 2 shown]
	v_cmp_eq_u32_e64 s2, 7, v69
	v_cndmask_b32_e64 v4, v10, v8, s4
	v_cndmask_b32_e64 v5, v5, v12, s5
	v_cndmask_b32_e64 v9, v9, v12, s6
	v_cndmask_b32_e32 v2, v2, v16, vcc_lo
	v_cndmask_b32_e64 v7, v7, v12, s2
	v_cndmask_b32_e64 v3, v3, v16, s2
	;; [unrolled: 1-line block ×4, first 2 shown]
	v_perm_b32 v4, v2, v1, 0x5040100
	s_mov_b32 s2, exec_lo
	v_perm_b32 v3, v3, v7, 0x5040100
	v_perm_b32 v2, v8, v9, 0x5040100
	;; [unrolled: 1-line block ×3, first 2 shown]
	ds_store_b128 v74, v[1:4]
	s_waitcnt lgkmcnt(0)
	s_barrier
	buffer_gl0_inv
	v_cmpx_gt_u32_e32 32, v0
	s_cbranch_execz .LBB1023_2
; %bb.15:
	s_load_b64 s[0:1], s[0:1], 0x68
	v_lshlrev_b32_e32 v0, 10, v0
	s_lshl_b32 s4, s34, 7
	v_or_b32_e32 v3, s31, v66
	s_mul_i32 s2, s4, s30
	v_lshlrev_b32_e32 v1, 4, v67
	v_lshlrev_b32_e32 v2, 6, v66
	v_and_b32_e32 v0, 0x3800, v0
	s_mul_i32 s2, s2, s7
	v_mul_lo_u32 v8, v3, s4
	s_ashr_i32 s3, s2, 31
	s_delay_alu instid0(SALU_CYCLE_1)
	s_lshl_b64 s[2:3], s[2:3], 1
	v_or3_b32 v16, v0, v1, v2
	ds_load_b128 v[0:3], v16
	ds_load_b128 v[4:7], v16 offset:128
	v_ashrrev_i32_e32 v9, 31, v8
	s_waitcnt lgkmcnt(0)
	s_add_u32 s2, s0, s2
	s_addc_u32 s3, s1, s3
	s_lshl_b32 s0, s14, 7
	s_delay_alu instid0(SALU_CYCLE_1) | instskip(SKIP_2) | instid1(SALU_CYCLE_1)
	s_ashr_i32 s1, s0, 31
	v_lshlrev_b64 v[9:10], 1, v[8:9]
	s_lshl_b64 s[0:1], s[0:1], 1
	s_add_u32 s0, s2, s0
	s_addc_u32 s1, s3, s1
	s_lshl_b32 s2, s34, 8
	v_add_co_u32 v30, s0, s0, v65
	v_add_nc_u32_e32 v11, s2, v8
	v_add_co_ci_u32_e64 v31, null, s1, 0, s0
	s_delay_alu instid0(VALU_DEP_3) | instskip(NEXT) | instid1(VALU_DEP_3)
	v_add_co_u32 v9, vcc_lo, v30, v9
	v_add_nc_u32_e32 v8, s2, v11
	s_delay_alu instid0(VALU_DEP_3) | instskip(SKIP_1) | instid1(VALU_DEP_3)
	v_add_co_ci_u32_e32 v10, vcc_lo, v31, v10, vcc_lo
	v_ashrrev_i32_e32 v12, 31, v11
	v_add_nc_u32_e32 v13, s2, v8
	global_store_b128 v[9:10], v[0:3], off
	v_ashrrev_i32_e32 v9, 31, v8
	v_lshlrev_b64 v[11:12], 1, v[11:12]
	v_ashrrev_i32_e32 v14, 31, v13
	v_add_nc_u32_e32 v10, s2, v13
	s_delay_alu instid0(VALU_DEP_4) | instskip(NEXT) | instid1(VALU_DEP_4)
	v_lshlrev_b64 v[2:3], 1, v[8:9]
	v_add_co_u32 v0, vcc_lo, v30, v11
	s_delay_alu instid0(VALU_DEP_4)
	v_lshlrev_b64 v[8:9], 1, v[13:14]
	v_add_co_ci_u32_e32 v1, vcc_lo, v31, v12, vcc_lo
	v_ashrrev_i32_e32 v11, 31, v10
	v_add_co_u32 v22, vcc_lo, v30, v2
	v_add_nc_u32_e32 v20, s2, v10
	v_add_co_ci_u32_e32 v23, vcc_lo, v31, v3, vcc_lo
	v_add_co_u32 v24, vcc_lo, v30, v8
	global_store_b128 v[0:1], v[4:7], off
	v_add_co_ci_u32_e32 v25, vcc_lo, v31, v9, vcc_lo
	ds_load_b128 v[0:3], v16 offset:256
	ds_load_b128 v[4:7], v16 offset:384
	v_lshlrev_b64 v[26:27], 1, v[10:11]
	ds_load_b128 v[8:11], v16 offset:512
	ds_load_b128 v[12:15], v16 offset:640
	ds_load_b128 v[16:19], v16 offset:768
	v_add_nc_u32_e32 v28, s2, v20
	v_ashrrev_i32_e32 v21, 31, v20
	v_add_co_u32 v26, vcc_lo, v30, v26
	s_delay_alu instid0(VALU_DEP_3) | instskip(NEXT) | instid1(VALU_DEP_3)
	v_ashrrev_i32_e32 v29, 31, v28
	v_lshlrev_b64 v[20:21], 1, v[20:21]
	v_add_co_ci_u32_e32 v27, vcc_lo, v31, v27, vcc_lo
	s_delay_alu instid0(VALU_DEP_3) | instskip(NEXT) | instid1(VALU_DEP_3)
	v_lshlrev_b64 v[28:29], 1, v[28:29]
	v_add_co_u32 v20, vcc_lo, v30, v20
	s_delay_alu instid0(VALU_DEP_4) | instskip(NEXT) | instid1(VALU_DEP_3)
	v_add_co_ci_u32_e32 v21, vcc_lo, v31, v21, vcc_lo
	v_add_co_u32 v28, vcc_lo, v30, v28
	s_delay_alu instid0(VALU_DEP_4)
	v_add_co_ci_u32_e32 v29, vcc_lo, v31, v29, vcc_lo
	s_waitcnt lgkmcnt(4)
	global_store_b128 v[22:23], v[0:3], off
	s_waitcnt lgkmcnt(3)
	global_store_b128 v[24:25], v[4:7], off
	;; [unrolled: 2-line block ×5, first 2 shown]
	s_nop 0
	s_sendmsg sendmsg(MSG_DEALLOC_VGPRS)
	s_endpgm
	.section	.rodata,"a",@progbits
	.p2align	6, 0x0
	.amdhsa_kernel _Z39paged_attention_ll4mi_QKV_mfma16_kernelIDF16_hLN4vllm18Fp8KVCacheDataTypeE1EhLi32ELi128ELi256ELb1ELi14EL8MFMAType1EEvPKT_PKT0_S8_ifPKiSA_SA_iPKfiiiPfSD_PS3_PT2_iSC_SC_
		.amdhsa_group_segment_fixed_size 17472
		.amdhsa_private_segment_fixed_size 0
		.amdhsa_kernarg_size 400
		.amdhsa_user_sgpr_count 13
		.amdhsa_user_sgpr_dispatch_ptr 0
		.amdhsa_user_sgpr_queue_ptr 0
		.amdhsa_user_sgpr_kernarg_segment_ptr 1
		.amdhsa_user_sgpr_dispatch_id 0
		.amdhsa_user_sgpr_private_segment_size 0
		.amdhsa_wavefront_size32 1
		.amdhsa_uses_dynamic_stack 0
		.amdhsa_enable_private_segment 0
		.amdhsa_system_sgpr_workgroup_id_x 1
		.amdhsa_system_sgpr_workgroup_id_y 1
		.amdhsa_system_sgpr_workgroup_id_z 1
		.amdhsa_system_sgpr_workgroup_info 0
		.amdhsa_system_vgpr_workitem_id 0
		.amdhsa_next_free_vgpr 150
		.amdhsa_next_free_sgpr 37
		.amdhsa_reserve_vcc 1
		.amdhsa_float_round_mode_32 0
		.amdhsa_float_round_mode_16_64 0
		.amdhsa_float_denorm_mode_32 3
		.amdhsa_float_denorm_mode_16_64 3
		.amdhsa_dx10_clamp 1
		.amdhsa_ieee_mode 1
		.amdhsa_fp16_overflow 0
		.amdhsa_workgroup_processor_mode 1
		.amdhsa_memory_ordered 1
		.amdhsa_forward_progress 0
		.amdhsa_shared_vgpr_count 0
		.amdhsa_exception_fp_ieee_invalid_op 0
		.amdhsa_exception_fp_denorm_src 0
		.amdhsa_exception_fp_ieee_div_zero 0
		.amdhsa_exception_fp_ieee_overflow 0
		.amdhsa_exception_fp_ieee_underflow 0
		.amdhsa_exception_fp_ieee_inexact 0
		.amdhsa_exception_int_div_zero 0
	.end_amdhsa_kernel
	.section	.text._Z39paged_attention_ll4mi_QKV_mfma16_kernelIDF16_hLN4vllm18Fp8KVCacheDataTypeE1EhLi32ELi128ELi256ELb1ELi14EL8MFMAType1EEvPKT_PKT0_S8_ifPKiSA_SA_iPKfiiiPfSD_PS3_PT2_iSC_SC_,"axG",@progbits,_Z39paged_attention_ll4mi_QKV_mfma16_kernelIDF16_hLN4vllm18Fp8KVCacheDataTypeE1EhLi32ELi128ELi256ELb1ELi14EL8MFMAType1EEvPKT_PKT0_S8_ifPKiSA_SA_iPKfiiiPfSD_PS3_PT2_iSC_SC_,comdat
.Lfunc_end1023:
	.size	_Z39paged_attention_ll4mi_QKV_mfma16_kernelIDF16_hLN4vllm18Fp8KVCacheDataTypeE1EhLi32ELi128ELi256ELb1ELi14EL8MFMAType1EEvPKT_PKT0_S8_ifPKiSA_SA_iPKfiiiPfSD_PS3_PT2_iSC_SC_, .Lfunc_end1023-_Z39paged_attention_ll4mi_QKV_mfma16_kernelIDF16_hLN4vllm18Fp8KVCacheDataTypeE1EhLi32ELi128ELi256ELb1ELi14EL8MFMAType1EEvPKT_PKT0_S8_ifPKiSA_SA_iPKfiiiPfSD_PS3_PT2_iSC_SC_
                                        ; -- End function
	.section	.AMDGPU.csdata,"",@progbits
; Kernel info:
; codeLenInByte = 6808
; NumSgprs: 39
; NumVgprs: 150
; ScratchSize: 0
; MemoryBound: 0
; FloatMode: 240
; IeeeMode: 1
; LDSByteSize: 17472 bytes/workgroup (compile time only)
; SGPRBlocks: 4
; VGPRBlocks: 18
; NumSGPRsForWavesPerEU: 39
; NumVGPRsForWavesPerEU: 150
; Occupancy: 9
; WaveLimiterHint : 1
; COMPUTE_PGM_RSRC2:SCRATCH_EN: 0
; COMPUTE_PGM_RSRC2:USER_SGPR: 13
; COMPUTE_PGM_RSRC2:TRAP_HANDLER: 0
; COMPUTE_PGM_RSRC2:TGID_X_EN: 1
; COMPUTE_PGM_RSRC2:TGID_Y_EN: 1
; COMPUTE_PGM_RSRC2:TGID_Z_EN: 1
; COMPUTE_PGM_RSRC2:TIDIG_COMP_CNT: 0
	.section	.text._Z39paged_attention_ll4mi_QKV_mfma16_kernelIDF16_hLN4vllm18Fp8KVCacheDataTypeE1EhLi32ELi128ELi256ELb1ELi15EL8MFMAType1EEvPKT_PKT0_S8_ifPKiSA_SA_iPKfiiiPfSD_PS3_PT2_iSC_SC_,"axG",@progbits,_Z39paged_attention_ll4mi_QKV_mfma16_kernelIDF16_hLN4vllm18Fp8KVCacheDataTypeE1EhLi32ELi128ELi256ELb1ELi15EL8MFMAType1EEvPKT_PKT0_S8_ifPKiSA_SA_iPKfiiiPfSD_PS3_PT2_iSC_SC_,comdat
	.protected	_Z39paged_attention_ll4mi_QKV_mfma16_kernelIDF16_hLN4vllm18Fp8KVCacheDataTypeE1EhLi32ELi128ELi256ELb1ELi15EL8MFMAType1EEvPKT_PKT0_S8_ifPKiSA_SA_iPKfiiiPfSD_PS3_PT2_iSC_SC_ ; -- Begin function _Z39paged_attention_ll4mi_QKV_mfma16_kernelIDF16_hLN4vllm18Fp8KVCacheDataTypeE1EhLi32ELi128ELi256ELb1ELi15EL8MFMAType1EEvPKT_PKT0_S8_ifPKiSA_SA_iPKfiiiPfSD_PS3_PT2_iSC_SC_
	.globl	_Z39paged_attention_ll4mi_QKV_mfma16_kernelIDF16_hLN4vllm18Fp8KVCacheDataTypeE1EhLi32ELi128ELi256ELb1ELi15EL8MFMAType1EEvPKT_PKT0_S8_ifPKiSA_SA_iPKfiiiPfSD_PS3_PT2_iSC_SC_
	.p2align	8
	.type	_Z39paged_attention_ll4mi_QKV_mfma16_kernelIDF16_hLN4vllm18Fp8KVCacheDataTypeE1EhLi32ELi128ELi256ELb1ELi15EL8MFMAType1EEvPKT_PKT0_S8_ifPKiSA_SA_iPKfiiiPfSD_PS3_PT2_iSC_SC_,@function
_Z39paged_attention_ll4mi_QKV_mfma16_kernelIDF16_hLN4vllm18Fp8KVCacheDataTypeE1EhLi32ELi128ELi256ELb1ELi15EL8MFMAType1EEvPKT_PKT0_S8_ifPKiSA_SA_iPKfiiiPfSD_PS3_PT2_iSC_SC_: ; @_Z39paged_attention_ll4mi_QKV_mfma16_kernelIDF16_hLN4vllm18Fp8KVCacheDataTypeE1EhLi32ELi128ELi256ELb1ELi15EL8MFMAType1EEvPKT_PKT0_S8_ifPKiSA_SA_iPKfiiiPfSD_PS3_PT2_iSC_SC_
; %bb.0:
	s_load_b64 s[4:5], s[0:1], 0x30
	s_mov_b32 s34, s13
	s_waitcnt lgkmcnt(0)
	s_cmp_lg_u64 s[4:5], 0
	s_cselect_b32 s8, -1, 0
	s_ashr_i32 s35, s13, 31
	s_cmp_eq_u64 s[4:5], 0
	s_cbranch_scc1 .LBB1024_3
; %bb.1:
	s_lshl_b64 s[2:3], s[34:35], 2
	s_delay_alu instid0(SALU_CYCLE_1) | instskip(SKIP_4) | instid1(SALU_CYCLE_1)
	s_add_u32 s2, s4, s2
	s_addc_u32 s3, s5, s3
	s_load_b64 s[2:3], s[2:3], 0x0
	s_waitcnt lgkmcnt(0)
	s_sub_i32 s2, s3, s2
	s_cmp_eq_u32 s2, 1
	s_cselect_b32 s2, -1, 0
	s_delay_alu instid0(SALU_CYCLE_1)
	s_and_not1_b32 vcc_lo, exec_lo, s2
	s_cbranch_vccz .LBB1024_4
.LBB1024_2:
	s_nop 0
	s_sendmsg sendmsg(MSG_DEALLOC_VGPRS)
	s_endpgm
.LBB1024_3:
.LBB1024_4:
	s_load_b64 s[2:3], s[0:1], 0x28
	s_lshl_b64 s[6:7], s[34:35], 2
	s_waitcnt lgkmcnt(0)
	s_add_u32 s2, s2, s6
	s_addc_u32 s3, s3, s7
	s_lshl_b32 s12, s14, 8
	s_load_b32 s24, s[2:3], 0x0
	s_waitcnt lgkmcnt(0)
	s_cmp_ge_i32 s12, s24
	s_cbranch_scc1 .LBB1024_2
; %bb.5:
	s_clause 0x1
	s_load_b128 s[20:23], s[0:1], 0x8
	s_load_b64 s[2:3], s[0:1], 0x20
	s_and_not1_b32 vcc_lo, exec_lo, s8
	s_cbranch_vccnz .LBB1024_7
; %bb.6:
	s_add_u32 s4, s4, s6
	s_addc_u32 s5, s5, s7
	s_load_b32 s5, s[4:5], 0x0
	s_branch .LBB1024_8
.LBB1024_7:
	s_mov_b32 s5, s34
.LBB1024_8:
	s_load_b128 s[16:19], s[0:1], 0x48
	v_and_b32_e32 v68, 15, v0
	v_lshrrev_b32_e32 v69, 5, v0
	v_bfe_u32 v66, v0, 4, 1
	v_and_b32_e32 v70, 31, v0
	v_and_b32_e32 v67, 1, v0
	v_lshlrev_b32_e32 v2, 3, v68
	s_mul_i32 s31, s15, 15
	v_lshl_or_b32 v1, v69, 1, v66
	s_mov_b32 s4, exec_lo
	s_delay_alu instid0(VALU_DEP_2) | instskip(NEXT) | instid1(VALU_DEP_2)
	v_lshlrev_b32_e32 v65, 1, v2
	v_cmpx_gt_u32_e32 15, v1
	s_cbranch_execz .LBB1024_10
; %bb.9:
	s_load_b64 s[6:7], s[0:1], 0x0
	v_add_lshl_u32 v2, v1, s31, 7
	s_waitcnt lgkmcnt(0)
	s_mul_hi_i32 s9, s5, s16
	s_mul_i32 s8, s5, s16
	v_lshlrev_b32_e32 v6, 10, v68
	s_lshl_b64 s[8:9], s[8:9], 1
	v_ashrrev_i32_e32 v3, 31, v2
	v_lshlrev_b32_e32 v1, 6, v1
	v_lshlrev_b32_e32 v7, 10, v67
	v_and_b32_e32 v6, 0x3800, v6
	s_delay_alu instid0(VALU_DEP_4) | instskip(NEXT) | instid1(VALU_DEP_2)
	v_lshlrev_b64 v[2:3], 1, v[2:3]
	v_or3_b32 v1, v6, v7, v1
	s_add_u32 s5, s6, s8
	s_addc_u32 s6, s7, s9
	s_delay_alu instid0(VALU_DEP_2) | instskip(NEXT) | instid1(VALU_DEP_3)
	v_add_co_u32 v2, vcc_lo, s5, v2
	v_add_co_ci_u32_e32 v3, vcc_lo, s6, v3, vcc_lo
	s_delay_alu instid0(VALU_DEP_2) | instskip(NEXT) | instid1(VALU_DEP_2)
	v_add_co_u32 v2, vcc_lo, v2, v65
	v_add_co_ci_u32_e32 v3, vcc_lo, 0, v3, vcc_lo
	global_load_b128 v[2:5], v[2:3], off
	s_waitcnt vmcnt(0)
	ds_store_b128 v1, v[2:5]
.LBB1024_10:
	s_or_b32 exec_lo, exec_lo, s4
	v_and_b32_e32 v1, 0xef, v0
	s_waitcnt lgkmcnt(0)
	s_add_i32 s5, s24, 31
	s_clause 0x1
	s_load_b32 s4, s[0:1], 0x38
	s_load_b32 s33, s[0:1], 0x98
	s_ashr_i32 s6, s5, 31
	v_add_nc_u32_e32 v1, s12, v1
	s_lshr_b32 s6, s6, 27
	s_load_b32 s19, s[0:1], 0x1c
	s_add_i32 s5, s5, s6
	s_waitcnt lgkmcnt(0)
	v_ashrrev_i32_e32 v2, 31, v1
	v_or_b32_e32 v3, 16, v1
	s_ashr_i32 s13, s5, 5
	v_cmp_gt_i32_e32 vcc_lo, s24, v1
	s_add_i32 s13, s13, -1
	v_lshrrev_b32_e32 v2, 27, v2
	s_barrier
	buffer_gl0_inv
	s_mul_i32 s15, s15, s18
	v_add_nc_u32_e32 v4, v1, v2
	s_mul_i32 s4, s34, s4
	s_delay_alu instid0(SALU_CYCLE_1) | instskip(NEXT) | instid1(VALU_DEP_1)
	s_ashr_i32 s5, s4, 31
	v_ashrrev_i32_e32 v4, 5, v4
	v_add_nc_u32_e32 v2, v3, v2
	s_lshl_b64 s[4:5], s[4:5], 2
	s_delay_alu instid0(SALU_CYCLE_1) | instskip(NEXT) | instid1(VALU_DEP_2)
	s_add_u32 s16, s2, s4
	v_cndmask_b32_e32 v1, s13, v4, vcc_lo
	s_delay_alu instid0(VALU_DEP_2)
	v_ashrrev_i32_e32 v2, 5, v2
	v_cmp_gt_i32_e32 vcc_lo, s24, v3
	s_addc_u32 s25, s3, s5
	s_ashr_i32 s18, s15, 31
	s_add_u32 s2, s20, s15
	s_addc_u32 s3, s21, s18
	v_cndmask_b32_e32 v3, s13, v2, vcc_lo
	v_ashrrev_i32_e32 v2, 31, v1
	s_lshl_b32 s4, s14, 3
	s_delay_alu instid0(SALU_CYCLE_1) | instskip(NEXT) | instid1(VALU_DEP_2)
	s_ashr_i32 s5, s4, 31
	v_ashrrev_i32_e32 v4, 31, v3
	s_delay_alu instid0(VALU_DEP_2) | instskip(SKIP_1) | instid1(SALU_CYCLE_1)
	v_lshlrev_b64 v[1:2], 2, v[1:2]
	s_lshl_b64 s[4:5], s[4:5], 2
	s_add_u32 s4, s16, s4
	s_delay_alu instid0(VALU_DEP_2) | instskip(SKIP_1) | instid1(VALU_DEP_2)
	v_lshlrev_b64 v[3:4], 2, v[3:4]
	s_addc_u32 s5, s25, s5
	v_add_co_u32 v1, vcc_lo, s16, v1
	v_add_co_ci_u32_e32 v2, vcc_lo, s25, v2, vcc_lo
	s_delay_alu instid0(VALU_DEP_3) | instskip(NEXT) | instid1(VALU_DEP_4)
	v_add_co_u32 v3, vcc_lo, s16, v3
	v_add_co_ci_u32_e32 v4, vcc_lo, s25, v4, vcc_lo
	s_clause 0x1
	global_load_b32 v5, v[1:2], off
	global_load_b32 v6, v[3:4], off
	s_or_b32 s6, s12, 32
	s_delay_alu instid0(SALU_CYCLE_1) | instskip(SKIP_2) | instid1(SALU_CYCLE_1)
	s_ashr_i32 s7, s6, 5
	s_cmp_lt_i32 s6, s24
	s_cselect_b32 s6, s7, s13
	s_ashr_i32 s7, s6, 31
	s_delay_alu instid0(SALU_CYCLE_1) | instskip(NEXT) | instid1(SALU_CYCLE_1)
	s_lshl_b64 s[6:7], s[6:7], 2
	s_add_u32 s6, s16, s6
	s_addc_u32 s7, s25, s7
	s_or_b32 s8, s12, 64
	s_delay_alu instid0(SALU_CYCLE_1) | instskip(SKIP_2) | instid1(SALU_CYCLE_1)
	s_ashr_i32 s9, s8, 5
	s_cmp_lt_i32 s8, s24
	s_cselect_b32 s8, s9, s13
	s_ashr_i32 s9, s8, 31
	s_delay_alu instid0(SALU_CYCLE_1) | instskip(NEXT) | instid1(SALU_CYCLE_1)
	s_lshl_b64 s[8:9], s[8:9], 2
	s_add_u32 s8, s16, s8
	s_addc_u32 s9, s25, s9
	;; [unrolled: 10-line block ×5, first 2 shown]
	s_clause 0x5
	s_load_b32 s28, s[4:5], 0x0
	s_load_b32 s29, s[6:7], 0x0
	;; [unrolled: 1-line block ×6, first 2 shown]
	s_mov_b32 s4, 0
	s_delay_alu instid0(SALU_CYCLE_1)
	s_mov_b32 s5, s4
	s_mov_b32 s6, s4
	;; [unrolled: 1-line block ×7, first 2 shown]
	s_delay_alu instid0(SALU_CYCLE_1)
	v_dual_mov_b32 v118, s11 :: v_dual_mov_b32 v117, s10
	v_dual_mov_b32 v116, s9 :: v_dual_mov_b32 v115, s8
	v_mov_b32_e32 v113, s6
	v_dual_mov_b32 v111, s4 :: v_dual_mov_b32 v114, s7
	v_mov_b32_e32 v112, s5
	s_waitcnt vmcnt(1)
	v_mad_i64_i32 v[1:2], null, v5, s17, s[2:3]
	v_lshlrev_b32_e32 v5, 4, v68
	s_waitcnt vmcnt(0)
	v_mad_i64_i32 v[3:4], null, v6, s17, s[2:3]
	s_or_b32 s2, s12, 0xc0
	s_delay_alu instid0(SALU_CYCLE_1) | instskip(NEXT) | instid1(VALU_DEP_3)
	s_ashr_i32 s3, s2, 5
	v_add_co_u32 v1, vcc_lo, v1, v5
	s_delay_alu instid0(VALU_DEP_4) | instskip(NEXT) | instid1(VALU_DEP_3)
	v_add_co_ci_u32_e32 v2, vcc_lo, 0, v2, vcc_lo
	v_add_co_u32 v3, vcc_lo, v3, v5
	s_delay_alu instid0(VALU_DEP_4)
	v_add_co_ci_u32_e32 v4, vcc_lo, 0, v4, vcc_lo
	s_clause 0xf
	global_load_b128 v[17:20], v[1:2], off
	global_load_b128 v[21:24], v[1:2], off offset:512
	global_load_b128 v[25:28], v[3:4], off offset:256
	;; [unrolled: 1-line block ×15, first 2 shown]
	s_cmp_lt_i32 s2, s24
	v_cmp_ne_u32_e32 vcc_lo, 15, v68
	s_cselect_b32 s2, s3, s13
	v_lshlrev_b32_e32 v2, 5, v68
	s_ashr_i32 s3, s2, 31
	s_delay_alu instid0(SALU_CYCLE_1) | instskip(SKIP_4) | instid1(SALU_CYCLE_1)
	s_lshl_b64 s[2:3], s[2:3], 2
	v_cndmask_b32_e32 v1, 0, v68, vcc_lo
	s_add_u32 s2, s16, s2
	s_addc_u32 s3, s25, s3
	s_or_b32 s20, s12, 0xe0
	s_ashr_i32 s21, s20, 5
	s_cmp_lt_i32 s20, s24
	v_lshlrev_b32_e32 v149, 6, v1
	s_cselect_b32 s20, s21, s13
	v_lshl_or_b32 v1, v69, 9, v2
	s_ashr_i32 s21, s20, 31
	ds_load_b128 v[119:122], v149
	ds_load_b128 v[123:126], v149 offset:1024
	s_lshl_b64 s[4:5], s[20:21], 2
	ds_load_b128 v[127:130], v149 offset:2048
	ds_load_b128 v[131:134], v149 offset:3072
	s_add_u32 s4, s16, s4
	s_addc_u32 s5, s25, s5
	s_clause 0x1
	s_load_b32 s2, s[2:3], 0x0
	s_load_b32 s3, s[4:5], 0x0
	s_add_u32 s6, s22, s15
	s_addc_u32 s7, s23, s18
	v_add_co_u32 v135, s6, s6, v1
	s_delay_alu instid0(VALU_DEP_1) | instskip(SKIP_1) | instid1(VALU_DEP_1)
	v_add_co_ci_u32_e64 v136, null, s7, 0, s6
	s_waitcnt lgkmcnt(0)
	v_mad_i64_i32 v[1:2], null, s28, s17, v[135:136]
	v_mad_i64_i32 v[3:4], null, s29, s17, v[135:136]
	;; [unrolled: 1-line block ×6, first 2 shown]
	s_clause 0x9
	global_load_b128 v[49:52], v[1:2], off
	global_load_b128 v[53:56], v[1:2], off offset:16
	global_load_b128 v[41:44], v[3:4], off
	global_load_b128 v[45:48], v[3:4], off offset:16
	global_load_b128 v[33:36], v[5:6], off
	global_load_b128 v[37:40], v[5:6], off offset:16
	global_load_b128 v[1:4], v[7:8], off
	global_load_b128 v[5:8], v[7:8], off offset:16
	global_load_b128 v[9:12], v[13:14], off
	global_load_b128 v[13:16], v[13:14], off offset:16
	v_mad_i64_i32 v[145:146], null, s2, s17, v[135:136]
	v_mad_i64_i32 v[147:148], null, s3, s17, v[135:136]
	s_waitcnt vmcnt(24)
	v_wmma_f32_16x16x16_f16 v[135:142], v[17:24], v[119:126], v[111:118]
	s_waitcnt vmcnt(22)
	v_wmma_f32_16x16x16_f16 v[111:118], v[25:32], v[119:126], v[111:118]
	s_clause 0x3
	global_load_b128 v[17:20], v[143:144], off
	global_load_b128 v[21:24], v[143:144], off offset:16
	global_load_b128 v[25:28], v[145:146], off
	global_load_b128 v[29:32], v[145:146], off offset:16
	v_and_b32_e32 v119, 0xe0, v0
	s_waitcnt vmcnt(24)
	v_wmma_f32_16x16x16_f16 v[135:142], v[57:64], v[127:134], v[135:142]
	s_clause 0x1
	global_load_b128 v[57:60], v[147:148], off
	global_load_b128 v[61:64], v[147:148], off offset:16
	s_waitcnt vmcnt(24)
	v_wmma_f32_16x16x16_f16 v[111:118], v[71:78], v[127:134], v[111:118]
	ds_load_b128 v[71:74], v149 offset:4096
	ds_load_b128 v[75:78], v149 offset:5120
	v_add_nc_u32_e32 v128, s12, v119
	ds_load_b128 v[119:122], v149 offset:6144
	ds_load_b128 v[123:126], v149 offset:7168
	v_mbcnt_lo_u32_b32 v127, -1, 0
	s_waitcnt vmcnt(0) lgkmcnt(0)
	s_barrier
	v_or_b32_e32 v128, v128, v66
	buffer_gl0_inv
	v_xor_b32_e32 v129, 16, v127
	v_or_b32_e32 v130, 4, v128
	v_or_b32_e32 v131, 6, v128
	s_delay_alu instid0(VALU_DEP_3) | instskip(SKIP_4) | instid1(VALU_DEP_4)
	v_cmp_gt_i32_e32 vcc_lo, 32, v129
	v_or_b32_e32 v132, 8, v128
	v_or_b32_e32 v133, 10, v128
	v_cmp_gt_i32_e64 s3, s24, v130
	v_cmp_gt_i32_e64 s4, s24, v131
	;; [unrolled: 1-line block ×3, first 2 shown]
	v_wmma_f32_16x16x16_f16 v[135:142], v[79:86], v[71:78], v[135:142]
	v_wmma_f32_16x16x16_f16 v[111:118], v[87:94], v[71:78], v[111:118]
	v_or_b32_e32 v79, 12, v128
	v_or_b32_e32 v80, 14, v128
	v_cmp_gt_i32_e64 s6, s24, v133
	v_wmma_f32_16x16x16_f16 v[135:142], v[95:102], v[119:126], v[135:142]
	v_cndmask_b32_e32 v127, v127, v129, vcc_lo
	v_or_b32_e32 v129, 2, v128
	v_wmma_f32_16x16x16_f16 v[111:118], v[103:110], v[119:126], v[111:118]
	v_cmp_gt_i32_e32 vcc_lo, s24, v128
	v_dual_mul_f32 v88, s19, v135 :: v_dual_mul_f32 v87, s19, v136
	s_delay_alu instid0(VALU_DEP_4) | instskip(NEXT) | instid1(VALU_DEP_4)
	v_cmp_gt_i32_e64 s2, s24, v129
	v_mul_f32_e32 v94, s19, v113
	v_mul_f32_e32 v78, s19, v138
	;; [unrolled: 1-line block ×3, first 2 shown]
	v_cndmask_b32_e32 v88, 0xff7fffff, v88, vcc_lo
	v_cndmask_b32_e64 v87, 0xff7fffff, v87, s2
	v_dual_mul_f32 v76, s19, v140 :: v_dual_mul_f32 v77, s19, v139
	v_mul_f32_e32 v90, s19, v117
	v_cndmask_b32_e64 v86, 0xff7fffff, v86, s3
	v_cndmask_b32_e64 v78, 0xff7fffff, v78, s4
	v_max3_f32 v87, v88, 0xff7fffff, v87
	v_or_b32_e32 v81, 16, v128
	v_or_b32_e32 v82, 18, v128
	v_dual_mul_f32 v74, s19, v142 :: v_dual_mul_f32 v75, s19, v141
	v_mul_f32_e32 v92, s19, v115
	v_cndmask_b32_e64 v77, 0xff7fffff, v77, s5
	v_cndmask_b32_e64 v76, 0xff7fffff, v76, s6
	v_max3_f32 v78, v87, v86, v78
	v_cmp_gt_i32_e64 s7, s24, v79
	v_cmp_gt_i32_e64 s8, s24, v80
	v_or_b32_e32 v83, 20, v128
	v_or_b32_e32 v84, 22, v128
	v_dual_mul_f32 v89, s19, v118 :: v_dual_mul_f32 v96, s19, v111
	v_mul_f32_e32 v95, s19, v112
	v_cndmask_b32_e64 v75, 0xff7fffff, v75, s7
	v_cndmask_b32_e64 v74, 0xff7fffff, v74, s8
	v_max3_f32 v76, v78, v77, v76
	v_cmp_gt_i32_e64 s9, s24, v81
	v_cmp_gt_i32_e64 s10, s24, v82
	v_or_b32_e32 v85, 24, v128
	v_or_b32_e32 v71, 26, v128
	v_mul_f32_e32 v93, s19, v114
	v_cndmask_b32_e64 v77, 0xff7fffff, v96, s9
	v_cndmask_b32_e64 v78, 0xff7fffff, v95, s10
	v_max3_f32 v74, v76, v75, v74
	v_cmp_gt_i32_e64 s11, s24, v83
	v_cmp_gt_i32_e64 s12, s24, v84
	v_or_b32_e32 v72, 28, v128
	v_or_b32_e32 v73, 30, v128
	v_mul_f32_e32 v91, s19, v116
	v_cndmask_b32_e64 v75, 0xff7fffff, v94, s11
	v_cndmask_b32_e64 v76, 0xff7fffff, v93, s12
	v_max3_f32 v74, v74, v77, v78
	v_cmp_gt_i32_e64 s13, s24, v85
	v_cmp_gt_i32_e64 s15, s24, v71
	;; [unrolled: 1-line block ×4, first 2 shown]
	v_max3_f32 v74, v74, v75, v76
	v_cndmask_b32_e64 v77, 0xff7fffff, v92, s13
	v_cndmask_b32_e64 v71, 0xff7fffff, v91, s15
	;; [unrolled: 1-line block ×4, first 2 shown]
	s_delay_alu instid0(VALU_DEP_3) | instskip(SKIP_1) | instid1(VALU_DEP_2)
	v_max3_f32 v71, v74, v77, v71
	v_lshlrev_b32_e32 v74, 2, v127
	v_max3_f32 v71, v71, v72, v73
	ds_bpermute_b32 v72, v74, v71
	s_waitcnt lgkmcnt(0)
	v_max_f32_e32 v72, v72, v72
	s_delay_alu instid0(VALU_DEP_1) | instskip(NEXT) | instid1(VALU_DEP_1)
	v_max_f32_e32 v71, v71, v72
	v_fma_f32 v75, s19, v137, -v71
	v_fma_f32 v76, s19, v138, -v71
	;; [unrolled: 1-line block ×5, first 2 shown]
	s_delay_alu instid0(VALU_DEP_4) | instskip(NEXT) | instid1(VALU_DEP_4)
	v_dual_mul_f32 v75, 0x3fb8aa3b, v75 :: v_dual_mul_f32 v76, 0x3fb8aa3b, v76
	v_mul_f32_e32 v72, 0x3fb8aa3b, v72
	v_fma_f32 v77, s19, v139, -v71
	s_delay_alu instid0(VALU_DEP_4) | instskip(NEXT) | instid1(VALU_DEP_4)
	v_mul_f32_e32 v73, 0x3fb8aa3b, v73
	v_exp_f32_e32 v75, v75
	v_exp_f32_e32 v76, v76
	;; [unrolled: 1-line block ×3, first 2 shown]
	s_delay_alu instid0(VALU_DEP_1) | instskip(SKIP_2) | instid1(TRANS32_DEP_3)
	v_exp_f32_e32 v73, v73
	v_cndmask_b32_e64 v81, 0, v75, s3
	v_mul_f32_e32 v82, 0x3fb8aa3b, v80
	v_cndmask_b32_e64 v80, 0, v76, s4
	s_waitcnt_depctr 0xfff
	v_cndmask_b32_e64 v78, 0, v73, s2
	v_cmp_gt_u32_e64 s2, 16, v70
	v_exp_f32_e32 v84, v82
	s_waitcnt_depctr 0xfff
	v_cndmask_b32_e64 v85, 0, v84, s7
	v_cndmask_b32_e32 v79, 0, v72, vcc_lo
	v_fma_f32 v72, s19, v140, -v71
	v_mul_f32_e32 v77, 0x3fb8aa3b, v77
	s_delay_alu instid0(VALU_DEP_2) | instskip(NEXT) | instid1(VALU_DEP_2)
	v_dual_add_f32 v73, 0, v79 :: v_dual_mul_f32 v72, 0x3fb8aa3b, v72
	v_exp_f32_e32 v77, v77
	s_delay_alu instid0(VALU_DEP_1) | instskip(NEXT) | instid1(VALU_DEP_2)
	v_add_f32_e32 v73, v73, v78
	v_exp_f32_e32 v72, v72
	s_delay_alu instid0(VALU_DEP_1) | instskip(SKIP_4) | instid1(VALU_DEP_2)
	v_add_f32_e32 v73, v73, v81
	s_waitcnt_depctr 0xfff
	v_cndmask_b32_e64 v83, 0, v77, s5
	v_add_f32_e32 v73, v73, v80
	v_cndmask_b32_e64 v82, 0, v72, s6
	v_add_f32_e32 v72, v73, v83
	s_delay_alu instid0(VALU_DEP_1)
	v_add_f32_e32 v72, v72, v82
	v_fma_f32 v75, s19, v142, -v71
	v_fma_f32 v76, s19, v111, -v71
	;; [unrolled: 1-line block ×5, first 2 shown]
	s_delay_alu instid0(VALU_DEP_4) | instskip(NEXT) | instid1(VALU_DEP_4)
	v_dual_mul_f32 v75, 0x3fb8aa3b, v75 :: v_dual_mul_f32 v76, 0x3fb8aa3b, v76
	v_mul_f32_e32 v86, 0x3fb8aa3b, v86
	v_add_f32_e32 v72, v72, v85
	s_delay_alu instid0(VALU_DEP_3) | instskip(NEXT) | instid1(VALU_DEP_3)
	v_exp_f32_e32 v75, v75
	v_exp_f32_e32 v76, v76
	s_delay_alu instid0(VALU_DEP_2) | instskip(NEXT) | instid1(TRANS32_DEP_3)
	v_exp_f32_e32 v88, v86
	v_cndmask_b32_e64 v84, 0, v75, s8
	v_mul_f32_e32 v77, 0x3fb8aa3b, v77
	s_waitcnt_depctr 0xfff
	v_cndmask_b32_e64 v87, 0, v76, s9
	v_fma_f32 v76, s19, v116, -v71
	v_dual_mul_f32 v73, 0x3fb8aa3b, v73 :: v_dual_add_f32 v72, v72, v84
	v_exp_f32_e32 v77, v77
	v_fma_f32 v75, s19, v115, -v71
	s_delay_alu instid0(VALU_DEP_3) | instskip(NEXT) | instid1(VALU_DEP_3)
	v_mul_f32_e32 v76, 0x3fb8aa3b, v76
	v_exp_f32_e32 v73, v73
	v_add_f32_e32 v72, v72, v87
	v_cndmask_b32_e64 v88, 0, v88, s12
	s_delay_alu instid0(VALU_DEP_3) | instskip(NEXT) | instid1(TRANS32_DEP_3)
	v_exp_f32_e32 v76, v76
	v_cndmask_b32_e64 v86, 0, v77, s10
	v_mul_f32_e32 v75, 0x3fb8aa3b, v75
	v_fma_f32 v77, s19, v117, -v71
	s_delay_alu instid0(TRANS32_DEP_2) | instskip(NEXT) | instid1(VALU_DEP_4)
	v_cndmask_b32_e64 v89, 0, v73, s11
	v_add_f32_e32 v72, v72, v86
	s_delay_alu instid0(VALU_DEP_4) | instskip(NEXT) | instid1(TRANS32_DEP_2)
	v_exp_f32_e32 v75, v75
	v_cndmask_b32_e64 v90, 0, v76, s15
	s_delay_alu instid0(VALU_DEP_2) | instskip(SKIP_2) | instid1(VALU_DEP_3)
	v_add_f32_e32 v72, v72, v89
	v_mul_f32_e32 v73, 0x3fb8aa3b, v77
	v_fma_f32 v77, s19, v118, -v71
	v_add_f32_e32 v72, v72, v88
	s_delay_alu instid0(VALU_DEP_3) | instskip(NEXT) | instid1(TRANS32_DEP_2)
	v_exp_f32_e32 v73, v73
	v_cndmask_b32_e64 v91, 0, v75, s13
	s_delay_alu instid0(VALU_DEP_1) | instskip(NEXT) | instid1(VALU_DEP_1)
	v_dual_mul_f32 v75, 0x3fb8aa3b, v77 :: v_dual_add_f32 v72, v72, v91
	v_exp_f32_e32 v75, v75
	s_waitcnt_depctr 0xfff
	v_cndmask_b32_e64 v93, 0, v73, s16
	v_add_f32_e32 v72, v72, v90
	s_delay_alu instid0(VALU_DEP_1) | instskip(SKIP_1) | instid1(VALU_DEP_1)
	v_add_f32_e32 v72, v72, v93
	v_cndmask_b32_e64 v92, 0, v75, s17
	v_add_f32_e32 v72, v72, v92
	ds_bpermute_b32 v73, v74, v72
	s_and_saveexec_b32 s3, s2
	s_cbranch_execz .LBB1024_12
; %bb.11:
	v_mul_u32_u24_e32 v70, 0x44, v69
	s_waitcnt lgkmcnt(0)
	v_add_f32_e32 v72, v72, v73
	s_delay_alu instid0(VALU_DEP_2) | instskip(NEXT) | instid1(VALU_DEP_1)
	v_lshl_add_u32 v70, v68, 2, v70
	v_add_nc_u32_e32 v70, 0x4000, v70
	ds_store_2addr_b32 v70, v71, v72 offset1:136
.LBB1024_12:
	s_or_b32 exec_lo, exec_lo, s3
	v_lshlrev_b32_e32 v70, 2, v68
	s_load_b32 s35, s[0:1], 0x94
	s_waitcnt lgkmcnt(0)
	s_barrier
	buffer_gl0_inv
	v_add_nc_u32_e32 v98, 0x4000, v70
	v_cmp_eq_u32_e32 vcc_lo, 1, v69
	v_cmp_eq_u32_e64 s3, 2, v69
	v_cmp_eq_u32_e64 s4, 3, v69
	;; [unrolled: 1-line block ×3, first 2 shown]
	ds_load_2addr_b32 v[70:71], v98 offset1:17
	ds_load_2addr_b32 v[72:73], v98 offset0:34 offset1:51
	ds_load_2addr_b32 v[74:75], v98 offset0:68 offset1:85
	;; [unrolled: 1-line block ×3, first 2 shown]
	v_cmp_eq_u32_e64 s6, 5, v69
	v_cmp_eq_u32_e64 s7, 7, v69
	s_waitcnt lgkmcnt(3)
	v_max3_f32 v76, v70, 0xff7fffff, v71
	s_waitcnt lgkmcnt(2)
	s_delay_alu instid0(VALU_DEP_1) | instskip(SKIP_1) | instid1(VALU_DEP_1)
	v_max3_f32 v76, v76, v72, v73
	s_waitcnt lgkmcnt(1)
	v_max3_f32 v76, v76, v74, v75
	s_waitcnt lgkmcnt(0)
	s_delay_alu instid0(VALU_DEP_1) | instskip(NEXT) | instid1(VALU_DEP_1)
	v_max3_f32 v76, v76, v94, v95
	v_sub_f32_e32 v77, v71, v76
	ds_load_2addr_b32 v[96:97], v98 offset0:136 offset1:153
	v_sub_f32_e32 v74, v74, v76
	v_sub_f32_e32 v70, v70, v76
	;; [unrolled: 1-line block ×3, first 2 shown]
	v_dual_sub_f32 v72, v72, v76 :: v_dual_mul_f32 v77, 0x3fb8aa3b, v77
	s_delay_alu instid0(VALU_DEP_4) | instskip(NEXT) | instid1(VALU_DEP_4)
	v_mul_f32_e32 v103, 0x3fb8aa3b, v74
	v_mul_f32_e32 v99, 0x3fb8aa3b, v70
	ds_load_2addr_b32 v[70:71], v98 offset0:170 offset1:187
	v_dual_mul_f32 v101, 0x3fb8aa3b, v72 :: v_dual_mul_f32 v94, 0x3fb8aa3b, v94
	v_exp_f32_e32 v102, v77
	v_exp_f32_e32 v99, v99
	s_delay_alu instid0(VALU_DEP_1) | instskip(NEXT) | instid1(VALU_DEP_1)
	v_exp_f32_e32 v101, v101
	v_exp_f32_e32 v94, v94
	s_waitcnt lgkmcnt(1)
	s_delay_alu instid0(TRANS32_DEP_3)
	v_fma_f32 v77, v99, v96, 0
	v_sub_f32_e32 v100, v73, v76
	ds_load_2addr_b32 v[72:73], v98 offset0:204 offset1:221
	v_fmac_f32_e32 v77, v102, v97
	v_exp_f32_e32 v97, v103
	s_waitcnt lgkmcnt(1)
	s_delay_alu instid0(VALU_DEP_1)
	v_dual_fmac_f32 v77, v101, v70 :: v_dual_sub_f32 v96, v75, v76
	ds_load_2addr_b32 v[74:75], v98 offset0:238 offset1:255
	v_sub_f32_e32 v70, v95, v76
	s_waitcnt lgkmcnt(0)
	s_barrier
	v_mul_f32_e32 v96, 0x3fb8aa3b, v96
	buffer_gl0_inv
	v_exp_f32_e32 v95, v96
	v_mul_f32_e32 v100, 0x3fb8aa3b, v100
	s_delay_alu instid0(VALU_DEP_1) | instskip(SKIP_3) | instid1(VALU_DEP_2)
	v_exp_f32_e32 v100, v100
	s_waitcnt_depctr 0xfff
	v_dual_fmac_f32 v77, v100, v71 :: v_dual_mul_f32 v70, 0x3fb8aa3b, v70
	v_cndmask_b32_e32 v71, v99, v102, vcc_lo
	v_fmac_f32_e32 v77, v97, v72
	s_delay_alu instid0(VALU_DEP_3) | instskip(NEXT) | instid1(VALU_DEP_1)
	v_exp_f32_e32 v96, v70
	v_fmac_f32_e32 v77, v95, v73
	s_delay_alu instid0(VALU_DEP_1) | instskip(SKIP_2) | instid1(VALU_DEP_1)
	v_fmac_f32_e32 v77, v94, v74
	s_waitcnt_depctr 0xfff
	v_fmac_f32_e32 v77, v96, v75
	v_add_f32_e32 v74, 0x358637bd, v77
	s_delay_alu instid0(VALU_DEP_1) | instskip(SKIP_1) | instid1(VALU_DEP_2)
	v_div_scale_f32 v98, null, v74, v74, 1.0
	v_div_scale_f32 v99, vcc_lo, 1.0, v74, 1.0
	v_rcp_f32_e32 v103, v98
	s_waitcnt_depctr 0xfff
	v_fma_f32 v70, -v98, v103, 1.0
	s_delay_alu instid0(VALU_DEP_1) | instskip(SKIP_2) | instid1(VALU_DEP_2)
	v_fmac_f32_e32 v103, v70, v103
	v_cndmask_b32_e64 v70, v71, v101, s3
	v_cmp_eq_u32_e64 s3, 6, v69
	v_cndmask_b32_e64 v71, v70, v100, s4
	s_delay_alu instid0(VALU_DEP_4) | instskip(NEXT) | instid1(VALU_DEP_2)
	v_dual_mul_f32 v101, v99, v103 :: v_dual_lshlrev_b32 v70, 2, v66
	v_cndmask_b32_e64 v71, v71, v97, s5
	s_delay_alu instid0(VALU_DEP_2) | instskip(NEXT) | instid1(VALU_DEP_3)
	v_or_b32_e32 v72, 1, v70
	v_fma_f32 v100, -v98, v101, v99
	v_cmp_eq_u32_e64 s4, 1, v70
	v_cmp_eq_u32_e64 s5, 2, v70
	v_cndmask_b32_e64 v95, v71, v95, s6
	v_or_b32_e32 v71, 3, v70
	v_fmac_f32_e32 v101, v100, v103
	v_cmp_eq_u32_e64 s9, 1, v72
	v_cmp_eq_u32_e64 s12, 2, v72
	v_cndmask_b32_e64 v94, v95, v94, s3
	v_cmp_eq_u32_e64 s11, 1, v71
	v_fma_f32 v97, -v98, v101, v99
	v_cmp_eq_u32_e64 s16, 2, v71
	v_cmp_eq_u32_e64 s13, 3, v72
	v_cndmask_b32_e64 v94, v94, v96, s7
	v_cmp_eq_u32_e64 s18, 3, v71
	v_div_fmas_f32 v95, v97, v103, v101
	v_cmp_eq_u32_e32 vcc_lo, 3, v70
	v_cmp_eq_u32_e64 s3, 4, v70
	v_cmp_eq_u32_e64 s19, 4, v72
	;; [unrolled: 1-line block ×3, first 2 shown]
	v_div_fixup_f32 v95, v95, v74, 1.0
	v_lshlrev_b32_e32 v73, 6, v68
	v_cmp_eq_u32_e64 s6, 5, v70
	v_cmp_eq_u32_e64 s20, 5, v72
	;; [unrolled: 1-line block ×3, first 2 shown]
	v_mul_f32_e32 v102, v94, v95
	v_lshl_or_b32 v75, v69, 11, v73
	v_or_b32_e32 v69, 2, v70
	v_cmp_eq_u32_e64 s25, 6, v72
	v_cmp_eq_u32_e64 s27, 6, v71
	v_fma_mixlo_f16 v94, v102, v79, 0
	v_fma_mixlo_f16 v95, v102, v81, 0
	;; [unrolled: 1-line block ×8, first 2 shown]
	v_lshl_or_b32 v74, v66, 4, v75
	v_fma_mixhi_f16 v94, v102, v78, 0
	v_fma_mixhi_f16 v95, v102, v80, 0
	;; [unrolled: 1-line block ×8, first 2 shown]
	ds_store_b128 v74, v[94:97]
	ds_store_b128 v74, v[98:101] offset:1024
	s_waitcnt lgkmcnt(0)
	s_barrier
	buffer_gl0_inv
	ds_load_b128 v[78:81], v75
	ds_load_b128 v[82:85], v75 offset:16
	ds_load_b128 v[86:89], v75 offset:1024
	;; [unrolled: 1-line block ×3, first 2 shown]
	v_cmp_eq_u32_e64 s10, 1, v69
	v_cmp_eq_u32_e64 s15, 2, v69
	;; [unrolled: 1-line block ×11, first 2 shown]
	s_waitcnt lgkmcnt(3)
	v_lshrrev_b32_e32 v94, 16, v78
	s_waitcnt lgkmcnt(2)
	v_lshrrev_b32_e32 v98, 16, v82
	;; [unrolled: 2-line block ×4, first 2 shown]
	v_lshrrev_b32_e32 v95, 16, v79
	v_cndmask_b32_e64 v110, v78, v94, s4
	v_cndmask_b32_e64 v111, v82, v98, s4
	;; [unrolled: 1-line block ×8, first 2 shown]
	v_lshrrev_b32_e32 v99, 16, v83
	v_cndmask_b32_e64 v94, v86, v102, s4
	v_cndmask_b32_e64 v98, v90, v106, s4
	v_cndmask_b32_e64 v116, v86, v102, s9
	v_cndmask_b32_e64 v117, v90, v106, s9
	v_cndmask_b32_e64 v118, v86, v102, s10
	v_cndmask_b32_e64 v119, v90, v106, s10
	v_cndmask_b32_e64 v86, v86, v102, s11
	v_cndmask_b32_e64 v90, v90, v106, s11
	v_cndmask_b32_e64 v102, v110, v79, s5
	v_cndmask_b32_e64 v106, v111, v83, s5
	v_cndmask_b32_e64 v110, v112, v79, s12
	v_cndmask_b32_e64 v111, v113, v83, s12
	v_cndmask_b32_e64 v112, v114, v79, s15
	v_cndmask_b32_e64 v78, v78, v79, s16
	v_cndmask_b32_e64 v79, v82, v83, s16
	v_lshrrev_b32_e32 v103, 16, v87
	v_lshrrev_b32_e32 v107, 16, v91
	v_cndmask_b32_e64 v113, v115, v83, s15
	v_cndmask_b32_e64 v82, v94, v87, s5
	;; [unrolled: 1-line block ×7, first 2 shown]
	v_cndmask_b32_e32 v90, v102, v95, vcc_lo
	v_cndmask_b32_e32 v102, v106, v99, vcc_lo
	v_cndmask_b32_e64 v106, v110, v95, s13
	v_cndmask_b32_e64 v110, v111, v99, s13
	;; [unrolled: 1-line block ×4, first 2 shown]
	v_lshrrev_b32_e32 v96, 16, v80
	v_lshrrev_b32_e32 v100, 16, v84
	v_cndmask_b32_e64 v111, v112, v95, s17
	v_cndmask_b32_e64 v112, v113, v99, s17
	v_cndmask_b32_e32 v82, v82, v103, vcc_lo
	v_cndmask_b32_e32 v83, v83, v107, vcc_lo
	v_cndmask_b32_e64 v94, v94, v103, s13
	v_cndmask_b32_e64 v90, v90, v80, s3
	;; [unrolled: 1-line block ×7, first 2 shown]
	v_lshrrev_b32_e32 v104, 16, v88
	v_cndmask_b32_e64 v106, v111, v80, s21
	v_cndmask_b32_e64 v110, v112, v84, s21
	;; [unrolled: 1-line block ×11, first 2 shown]
	v_lshrrev_b32_e32 v97, 16, v81
	v_lshrrev_b32_e32 v101, 16, v85
	v_cndmask_b32_e64 v99, v106, v96, s23
	v_cndmask_b32_e64 v102, v110, v100, s23
	;; [unrolled: 1-line block ×7, first 2 shown]
	v_lshrrev_b32_e32 v105, 16, v89
	v_cndmask_b32_e64 v80, v80, v104, s6
	v_cndmask_b32_e64 v84, v84, v81, s7
	;; [unrolled: 1-line block ×16, first 2 shown]
	v_perm_b32 v81, v79, v78, 0x5040100
	v_perm_b32 v79, v95, v85, 0x5040100
	v_cndmask_b32_e64 v78, v119, v91, s15
	v_cndmask_b32_e64 v85, v117, v91, s12
	;; [unrolled: 1-line block ×3, first 2 shown]
	v_perm_b32 v80, v94, v90, 0x5040100
	v_cndmask_b32_e64 v90, v98, v103, s17
	v_cndmask_b32_e64 v86, v86, v103, s18
	;; [unrolled: 1-line block ×5, first 2 shown]
	v_lshrrev_b32_e32 v108, 16, v92
	v_cndmask_b32_e64 v90, v90, v88, s21
	v_cndmask_b32_e64 v86, v86, v88, s22
	;; [unrolled: 1-line block ×11, first 2 shown]
	v_lshrrev_b32_e32 v109, 16, v93
	v_cndmask_b32_e64 v82, v82, v93, s7
	v_cndmask_b32_e64 v88, v88, v89, s26
	;; [unrolled: 1-line block ×12, first 2 shown]
	v_perm_b32 v78, v84, v83, 0x5040100
	v_perm_b32 v85, v87, v86, 0x5040100
	;; [unrolled: 1-line block ×5, first 2 shown]
	s_mul_i32 s8, s33, 15
	s_mov_b32 s3, exec_lo
	ds_store_b128 v74, v[78:81]
	ds_store_b128 v74, v[82:85] offset:1024
	v_cmpx_gt_u32_e32 15, v0
	s_cbranch_execz .LBB1024_14
; %bb.13:
	s_mul_i32 s4, s8, s34
	s_delay_alu instid0(SALU_CYCLE_1) | instskip(SKIP_1) | instid1(VALU_DEP_1)
	v_add3_u32 v68, s4, s31, v68
	s_load_b128 s[4:7], s[0:1], 0x58
	v_mad_u64_u32 v[78:79], null, v68, s35, s[14:15]
	s_delay_alu instid0(VALU_DEP_1) | instskip(NEXT) | instid1(VALU_DEP_1)
	v_ashrrev_i32_e32 v79, 31, v78
	v_lshlrev_b64 v[78:79], 2, v[78:79]
	s_waitcnt lgkmcnt(0)
	s_delay_alu instid0(VALU_DEP_1) | instskip(NEXT) | instid1(VALU_DEP_2)
	v_add_co_u32 v80, vcc_lo, s6, v78
	v_add_co_ci_u32_e32 v81, vcc_lo, s7, v79, vcc_lo
	v_add_co_u32 v78, vcc_lo, s4, v78
	v_add_co_ci_u32_e32 v79, vcc_lo, s5, v79, vcc_lo
	global_store_b32 v[80:81], v76, off
	global_store_b32 v[78:79], v77, off
.LBB1024_14:
	s_or_b32 exec_lo, exec_lo, s3
	s_waitcnt lgkmcnt(0)
	s_waitcnt_vscnt null, 0x0
	s_barrier
	buffer_gl0_inv
	ds_load_b128 v[84:87], v73
	ds_load_b128 v[88:91], v73 offset:16
	ds_load_b128 v[96:99], v73 offset:2064
	;; [unrolled: 1-line block ×5, first 2 shown]
	v_cmp_eq_u32_e32 vcc_lo, 1, v70
	v_mov_b32_e32 v76, 0
	ds_load_b128 v[112:115], v73 offset:6160
	ds_load_b128 v[108:111], v73 offset:6144
	;; [unrolled: 1-line block ×4, first 2 shown]
	v_cmp_eq_u32_e64 s4, 1, v69
	v_cmp_eq_u32_e64 s3, 1, v72
	;; [unrolled: 1-line block ×3, first 2 shown]
	v_mov_b32_e32 v77, v76
	v_mov_b32_e32 v78, v76
	;; [unrolled: 1-line block ×7, first 2 shown]
	v_cmp_eq_u32_e64 s6, 3, v72
	v_cmp_eq_u32_e64 s7, 7, v72
	s_waitcnt lgkmcnt(8)
	s_delay_alu instid0(VALU_DEP_3)
	v_wmma_f32_16x16x16_f16 v[76:83], v[49:56], v[84:91], v[76:83]
	ds_load_b128 v[53:56], v73 offset:10256
	ds_load_b128 v[49:52], v73 offset:10240
	s_waitcnt lgkmcnt(8)
	v_wmma_f32_16x16x16_f16 v[76:83], v[41:48], v[92:99], v[76:83]
	ds_load_b128 v[45:48], v73 offset:12304
	ds_load_b128 v[41:44], v73 offset:12288
	s_waitcnt lgkmcnt(8)
	;; [unrolled: 4-line block ×3, first 2 shown]
	s_barrier
	buffer_gl0_inv
	v_wmma_f32_16x16x16_f16 v[76:83], v[1:8], v[108:115], v[76:83]
	s_delay_alu instid0(VALU_DEP_1) | instskip(NEXT) | instid1(VALU_DEP_1)
	v_wmma_f32_16x16x16_f16 v[76:83], v[9:16], v[116:123], v[76:83]
	v_wmma_f32_16x16x16_f16 v[76:83], v[17:24], v[49:56], v[76:83]
	s_delay_alu instid0(VALU_DEP_1) | instskip(NEXT) | instid1(VALU_DEP_1)
	v_wmma_f32_16x16x16_f16 v[76:83], v[25:32], v[41:48], v[76:83]
	v_wmma_f32_16x16x16_f16 v[76:83], v[57:64], v[33:40], v[76:83]
	s_delay_alu instid0(VALU_DEP_1) | instskip(NEXT) | instid1(VALU_DEP_2)
	v_cvt_f16_f32_e32 v1, v76
	v_cvt_f16_f32_e32 v2, v77
	s_delay_alu instid0(VALU_DEP_3) | instskip(NEXT) | instid1(VALU_DEP_4)
	v_cvt_f16_f32_e32 v3, v78
	v_cvt_f16_f32_e32 v4, v79
	v_cvt_f16_f32_e32 v5, v80
	v_cvt_f16_f32_e32 v6, v81
	v_cvt_f16_f32_e32 v7, v82
	v_cvt_f16_f32_e32 v8, v83
	v_pack_b32_f16 v1, v1, v2
	v_pack_b32_f16 v2, v3, v4
	;; [unrolled: 1-line block ×3, first 2 shown]
	s_delay_alu instid0(VALU_DEP_4)
	v_pack_b32_f16 v4, v7, v8
	ds_store_b128 v74, v[1:4]
	s_waitcnt lgkmcnt(0)
	s_barrier
	buffer_gl0_inv
	ds_load_b128 v[1:4], v75
	ds_load_b128 v[5:8], v75 offset:16
	s_waitcnt lgkmcnt(1)
	v_lshrrev_b32_e32 v9, 16, v1
	s_waitcnt lgkmcnt(0)
	v_lshrrev_b32_e32 v13, 16, v5
	v_lshrrev_b32_e32 v10, 16, v2
	;; [unrolled: 1-line block ×4, first 2 shown]
	v_cndmask_b32_e32 v17, v1, v9, vcc_lo
	v_cndmask_b32_e32 v18, v5, v13, vcc_lo
	v_cndmask_b32_e64 v21, v1, v9, s4
	v_cmp_eq_u32_e32 vcc_lo, 1, v71
	v_cndmask_b32_e64 v22, v5, v13, s4
	v_cmp_eq_u32_e64 s4, 2, v70
	v_cndmask_b32_e64 v19, v1, v9, s3
	v_cndmask_b32_e64 v20, v5, v13, s3
	v_cndmask_b32_e32 v1, v1, v9, vcc_lo
	v_cmp_eq_u32_e64 s3, 2, v71
	v_cndmask_b32_e32 v5, v5, v13, vcc_lo
	v_cndmask_b32_e64 v9, v17, v2, s4
	v_cmp_eq_u32_e32 vcc_lo, 3, v70
	v_cndmask_b32_e64 v13, v18, v6, s4
	v_cmp_eq_u32_e64 s4, 2, v69
	v_cndmask_b32_e64 v17, v19, v2, s5
	v_cndmask_b32_e64 v18, v20, v6, s5
	v_cmp_eq_u32_e64 s5, 3, v69
	v_cndmask_b32_e64 v1, v1, v2, s3
	v_cndmask_b32_e64 v19, v21, v2, s4
	v_cndmask_b32_e64 v20, v22, v6, s4
	v_cndmask_b32_e64 v2, v5, v6, s3
	v_cndmask_b32_e32 v5, v9, v10, vcc_lo
	v_cndmask_b32_e32 v6, v13, v14, vcc_lo
	v_cmp_eq_u32_e32 vcc_lo, 3, v71
	v_cndmask_b32_e64 v9, v17, v10, s6
	v_cndmask_b32_e64 v13, v18, v14, s6
	;; [unrolled: 1-line block ×3, first 2 shown]
	v_cmp_eq_u32_e64 s4, 4, v70
	v_cndmask_b32_e32 v1, v1, v10, vcc_lo
	v_cndmask_b32_e32 v2, v2, v14, vcc_lo
	v_cmp_eq_u32_e32 vcc_lo, 4, v72
	v_lshrrev_b32_e32 v15, 16, v7
	v_lshrrev_b32_e32 v16, 16, v8
	v_cndmask_b32_e64 v17, v19, v10, s5
	v_cmp_eq_u32_e64 s3, 4, v71
	v_cndmask_b32_e64 v5, v5, v3, s4
	v_cndmask_b32_e64 v6, v6, v7, s4
	v_cndmask_b32_e32 v9, v9, v3, vcc_lo
	v_cmp_eq_u32_e64 s4, 5, v72
	v_cndmask_b32_e32 v10, v13, v7, vcc_lo
	v_cmp_eq_u32_e32 vcc_lo, 4, v69
	v_cmp_eq_u32_e64 s5, 5, v70
	v_cndmask_b32_e64 v2, v2, v7, s3
	v_cndmask_b32_e64 v9, v9, v11, s4
	;; [unrolled: 1-line block ×3, first 2 shown]
	v_cndmask_b32_e32 v13, v17, v3, vcc_lo
	v_cmp_eq_u32_e64 s4, 5, v69
	v_cndmask_b32_e32 v14, v18, v7, vcc_lo
	v_cndmask_b32_e64 v1, v1, v3, s3
	v_cmp_eq_u32_e32 vcc_lo, 5, v71
	v_lshrrev_b32_e32 v12, 16, v4
	v_cndmask_b32_e64 v13, v13, v11, s4
	v_cndmask_b32_e64 v3, v14, v15, s4
	v_cmp_eq_u32_e64 s4, 6, v71
	v_cndmask_b32_e32 v1, v1, v11, vcc_lo
	v_cndmask_b32_e64 v5, v5, v11, s5
	v_cmp_eq_u32_e64 s6, 6, v70
	v_cndmask_b32_e64 v6, v6, v15, s5
	v_cmp_eq_u32_e64 s5, 6, v72
	v_cmp_eq_u32_e64 s3, 6, v69
	v_cndmask_b32_e64 v1, v1, v4, s4
	v_cndmask_b32_e32 v2, v2, v15, vcc_lo
	v_cmp_eq_u32_e32 vcc_lo, 7, v71
	v_cndmask_b32_e64 v5, v5, v4, s6
	v_cndmask_b32_e64 v9, v9, v4, s5
	;; [unrolled: 1-line block ×3, first 2 shown]
	v_cmp_eq_u32_e64 s6, 7, v70
	v_cndmask_b32_e32 v1, v1, v12, vcc_lo
	v_cndmask_b32_e64 v7, v13, v4, s3
	v_cndmask_b32_e64 v3, v3, v8, s3
	;; [unrolled: 1-line block ×3, first 2 shown]
	v_cmp_eq_u32_e64 s3, 7, v69
	v_cndmask_b32_e64 v4, v10, v8, s5
	v_cndmask_b32_e64 v5, v5, v12, s6
	;; [unrolled: 1-line block ×3, first 2 shown]
	v_cndmask_b32_e32 v2, v2, v16, vcc_lo
	v_cndmask_b32_e64 v7, v7, v12, s3
	v_cndmask_b32_e64 v3, v3, v16, s3
	;; [unrolled: 1-line block ×4, first 2 shown]
	v_perm_b32 v4, v2, v1, 0x5040100
	s_mov_b32 s3, exec_lo
	v_perm_b32 v3, v3, v7, 0x5040100
	v_perm_b32 v2, v8, v9, 0x5040100
	;; [unrolled: 1-line block ×3, first 2 shown]
	ds_store_b128 v74, v[1:4]
	s_waitcnt lgkmcnt(0)
	s_barrier
	buffer_gl0_inv
	v_cmpx_gt_u32_e32 32, v0
	s_cbranch_execz .LBB1024_2
; %bb.15:
	s_load_b64 s[4:5], s[0:1], 0x68
	v_add_nc_u32_e32 v20, s31, v66
	v_lshlrev_b32_e32 v0, 10, v0
	v_lshlrev_b32_e32 v1, 4, v67
	s_lshl_b32 s0, s35, 7
	s_delay_alu instid0(SALU_CYCLE_1)
	s_mul_i32 s1, s0, s34
	v_add_nc_u32_e32 v2, 2, v20
	s_mul_i32 s6, s1, s8
	v_and_or_b32 v0, 0x3800, v0, v1
	v_mul_lo_u32 v1, v20, s0
	s_ashr_i32 s7, s6, 31
	v_mul_lo_u32 v11, v2, s0
	s_lshl_b64 s[6:7], s[6:7], 1
	v_add_nc_u32_e32 v3, 4, v20
	v_lshl_or_b32 v21, v66, 6, v0
	v_add_nc_u32_e32 v16, 6, v20
	v_ashrrev_i32_e32 v2, 31, v1
	s_delay_alu instid0(VALU_DEP_4)
	v_mul_lo_u32 v13, v3, s0
	s_waitcnt lgkmcnt(0)
	s_add_u32 s1, s4, s6
	s_addc_u32 s3, s5, s7
	s_lshl_b32 s4, s14, 7
	ds_load_b128 v[3:6], v21
	ds_load_b128 v[7:10], v21 offset:128
	s_ashr_i32 s5, s4, 31
	v_ashrrev_i32_e32 v12, 31, v11
	s_lshl_b64 s[4:5], s[4:5], 1
	v_lshlrev_b64 v[14:15], 1, v[1:2]
	s_add_u32 s1, s1, s4
	s_addc_u32 s3, s3, s5
	v_add_co_u32 v1, s1, s1, v65
	s_delay_alu instid0(VALU_DEP_1) | instskip(SKIP_1) | instid1(VALU_DEP_3)
	v_add_co_ci_u32_e64 v2, null, s3, 0, s1
	v_lshlrev_b64 v[11:12], 1, v[11:12]
	v_add_co_u32 v18, vcc_lo, v1, v14
	v_mul_lo_u32 v16, v16, s0
	s_delay_alu instid0(VALU_DEP_4) | instskip(NEXT) | instid1(VALU_DEP_4)
	v_add_co_ci_u32_e32 v19, vcc_lo, v2, v15, vcc_lo
	v_add_co_u32 v11, vcc_lo, v1, v11
	v_ashrrev_i32_e32 v14, 31, v13
	v_add_co_ci_u32_e32 v12, vcc_lo, v2, v12, vcc_lo
	v_add_nc_u32_e32 v15, 8, v20
	v_ashrrev_i32_e32 v17, 31, v16
	s_waitcnt lgkmcnt(1)
	global_store_b128 v[18:19], v[3:6], off
	v_lshlrev_b64 v[3:4], 1, v[13:14]
	s_waitcnt lgkmcnt(0)
	global_store_b128 v[11:12], v[7:10], off
	v_mul_lo_u32 v11, v15, s0
	v_add_nc_u32_e32 v7, 10, v20
	v_lshlrev_b64 v[5:6], 1, v[16:17]
	v_add_co_u32 v23, vcc_lo, v1, v3
	v_add_nc_u32_e32 v3, 12, v20
	s_delay_alu instid0(VALU_DEP_4)
	v_mul_lo_u32 v25, v7, s0
	v_ashrrev_i32_e32 v12, 31, v11
	v_add_co_ci_u32_e32 v24, vcc_lo, v2, v4, vcc_lo
	v_add_co_u32 v27, vcc_lo, v1, v5
	v_mul_lo_u32 v29, v3, s0
	v_add_co_ci_u32_e32 v28, vcc_lo, v2, v6, vcc_lo
	ds_load_b128 v[3:6], v21 offset:256
	ds_load_b128 v[7:10], v21 offset:384
	v_lshlrev_b64 v[31:32], 1, v[11:12]
	ds_load_b128 v[11:14], v21 offset:512
	ds_load_b128 v[15:18], v21 offset:640
	;; [unrolled: 1-line block ×3, first 2 shown]
	v_ashrrev_i32_e32 v26, 31, v25
	v_ashrrev_i32_e32 v30, 31, v29
	v_add_co_u32 v31, vcc_lo, v1, v31
	s_delay_alu instid0(VALU_DEP_3) | instskip(NEXT) | instid1(VALU_DEP_3)
	v_lshlrev_b64 v[25:26], 1, v[25:26]
	v_lshlrev_b64 v[29:30], 1, v[29:30]
	v_add_co_ci_u32_e32 v32, vcc_lo, v2, v32, vcc_lo
	s_delay_alu instid0(VALU_DEP_3) | instskip(NEXT) | instid1(VALU_DEP_4)
	v_add_co_u32 v25, vcc_lo, v1, v25
	v_add_co_ci_u32_e32 v26, vcc_lo, v2, v26, vcc_lo
	s_delay_alu instid0(VALU_DEP_4)
	v_add_co_u32 v29, vcc_lo, v1, v29
	v_add_co_ci_u32_e32 v30, vcc_lo, v2, v30, vcc_lo
	s_waitcnt lgkmcnt(4)
	global_store_b128 v[23:24], v[3:6], off
	s_waitcnt lgkmcnt(3)
	global_store_b128 v[27:28], v[7:10], off
	;; [unrolled: 2-line block ×5, first 2 shown]
	s_and_b32 exec_lo, exec_lo, s2
	s_cbranch_execz .LBB1024_2
; %bb.16:
	ds_load_b128 v[3:6], v0 offset:896
	s_add_i32 s1, s31, 14
	s_delay_alu instid0(SALU_CYCLE_1) | instskip(NEXT) | instid1(SALU_CYCLE_1)
	s_mul_i32 s0, s1, s0
	s_ashr_i32 s1, s0, 31
	s_delay_alu instid0(SALU_CYCLE_1) | instskip(NEXT) | instid1(SALU_CYCLE_1)
	s_lshl_b64 s[0:1], s[0:1], 1
	v_add_co_u32 v0, vcc_lo, v1, s0
	v_add_co_ci_u32_e32 v1, vcc_lo, s1, v2, vcc_lo
	s_waitcnt lgkmcnt(0)
	global_store_b128 v[0:1], v[3:6], off
	s_nop 0
	s_sendmsg sendmsg(MSG_DEALLOC_VGPRS)
	s_endpgm
	.section	.rodata,"a",@progbits
	.p2align	6, 0x0
	.amdhsa_kernel _Z39paged_attention_ll4mi_QKV_mfma16_kernelIDF16_hLN4vllm18Fp8KVCacheDataTypeE1EhLi32ELi128ELi256ELb1ELi15EL8MFMAType1EEvPKT_PKT0_S8_ifPKiSA_SA_iPKfiiiPfSD_PS3_PT2_iSC_SC_
		.amdhsa_group_segment_fixed_size 17472
		.amdhsa_private_segment_fixed_size 0
		.amdhsa_kernarg_size 400
		.amdhsa_user_sgpr_count 13
		.amdhsa_user_sgpr_dispatch_ptr 0
		.amdhsa_user_sgpr_queue_ptr 0
		.amdhsa_user_sgpr_kernarg_segment_ptr 1
		.amdhsa_user_sgpr_dispatch_id 0
		.amdhsa_user_sgpr_private_segment_size 0
		.amdhsa_wavefront_size32 1
		.amdhsa_uses_dynamic_stack 0
		.amdhsa_enable_private_segment 0
		.amdhsa_system_sgpr_workgroup_id_x 1
		.amdhsa_system_sgpr_workgroup_id_y 1
		.amdhsa_system_sgpr_workgroup_id_z 1
		.amdhsa_system_sgpr_workgroup_info 0
		.amdhsa_system_vgpr_workitem_id 0
		.amdhsa_next_free_vgpr 150
		.amdhsa_next_free_sgpr 37
		.amdhsa_reserve_vcc 1
		.amdhsa_float_round_mode_32 0
		.amdhsa_float_round_mode_16_64 0
		.amdhsa_float_denorm_mode_32 3
		.amdhsa_float_denorm_mode_16_64 3
		.amdhsa_dx10_clamp 1
		.amdhsa_ieee_mode 1
		.amdhsa_fp16_overflow 0
		.amdhsa_workgroup_processor_mode 1
		.amdhsa_memory_ordered 1
		.amdhsa_forward_progress 0
		.amdhsa_shared_vgpr_count 0
		.amdhsa_exception_fp_ieee_invalid_op 0
		.amdhsa_exception_fp_denorm_src 0
		.amdhsa_exception_fp_ieee_div_zero 0
		.amdhsa_exception_fp_ieee_overflow 0
		.amdhsa_exception_fp_ieee_underflow 0
		.amdhsa_exception_fp_ieee_inexact 0
		.amdhsa_exception_int_div_zero 0
	.end_amdhsa_kernel
	.section	.text._Z39paged_attention_ll4mi_QKV_mfma16_kernelIDF16_hLN4vllm18Fp8KVCacheDataTypeE1EhLi32ELi128ELi256ELb1ELi15EL8MFMAType1EEvPKT_PKT0_S8_ifPKiSA_SA_iPKfiiiPfSD_PS3_PT2_iSC_SC_,"axG",@progbits,_Z39paged_attention_ll4mi_QKV_mfma16_kernelIDF16_hLN4vllm18Fp8KVCacheDataTypeE1EhLi32ELi128ELi256ELb1ELi15EL8MFMAType1EEvPKT_PKT0_S8_ifPKiSA_SA_iPKfiiiPfSD_PS3_PT2_iSC_SC_,comdat
.Lfunc_end1024:
	.size	_Z39paged_attention_ll4mi_QKV_mfma16_kernelIDF16_hLN4vllm18Fp8KVCacheDataTypeE1EhLi32ELi128ELi256ELb1ELi15EL8MFMAType1EEvPKT_PKT0_S8_ifPKiSA_SA_iPKfiiiPfSD_PS3_PT2_iSC_SC_, .Lfunc_end1024-_Z39paged_attention_ll4mi_QKV_mfma16_kernelIDF16_hLN4vllm18Fp8KVCacheDataTypeE1EhLi32ELi128ELi256ELb1ELi15EL8MFMAType1EEvPKT_PKT0_S8_ifPKiSA_SA_iPKfiiiPfSD_PS3_PT2_iSC_SC_
                                        ; -- End function
	.section	.AMDGPU.csdata,"",@progbits
; Kernel info:
; codeLenInByte = 6908
; NumSgprs: 39
; NumVgprs: 150
; ScratchSize: 0
; MemoryBound: 0
; FloatMode: 240
; IeeeMode: 1
; LDSByteSize: 17472 bytes/workgroup (compile time only)
; SGPRBlocks: 4
; VGPRBlocks: 18
; NumSGPRsForWavesPerEU: 39
; NumVGPRsForWavesPerEU: 150
; Occupancy: 9
; WaveLimiterHint : 1
; COMPUTE_PGM_RSRC2:SCRATCH_EN: 0
; COMPUTE_PGM_RSRC2:USER_SGPR: 13
; COMPUTE_PGM_RSRC2:TRAP_HANDLER: 0
; COMPUTE_PGM_RSRC2:TGID_X_EN: 1
; COMPUTE_PGM_RSRC2:TGID_Y_EN: 1
; COMPUTE_PGM_RSRC2:TGID_Z_EN: 1
; COMPUTE_PGM_RSRC2:TIDIG_COMP_CNT: 0
	.section	.text._Z39paged_attention_ll4mi_QKV_mfma16_kernelIDF16_hLN4vllm18Fp8KVCacheDataTypeE1EhLi32ELi128ELi256ELb1ELi16EL8MFMAType1EEvPKT_PKT0_S8_ifPKiSA_SA_iPKfiiiPfSD_PS3_PT2_iSC_SC_,"axG",@progbits,_Z39paged_attention_ll4mi_QKV_mfma16_kernelIDF16_hLN4vllm18Fp8KVCacheDataTypeE1EhLi32ELi128ELi256ELb1ELi16EL8MFMAType1EEvPKT_PKT0_S8_ifPKiSA_SA_iPKfiiiPfSD_PS3_PT2_iSC_SC_,comdat
	.protected	_Z39paged_attention_ll4mi_QKV_mfma16_kernelIDF16_hLN4vllm18Fp8KVCacheDataTypeE1EhLi32ELi128ELi256ELb1ELi16EL8MFMAType1EEvPKT_PKT0_S8_ifPKiSA_SA_iPKfiiiPfSD_PS3_PT2_iSC_SC_ ; -- Begin function _Z39paged_attention_ll4mi_QKV_mfma16_kernelIDF16_hLN4vllm18Fp8KVCacheDataTypeE1EhLi32ELi128ELi256ELb1ELi16EL8MFMAType1EEvPKT_PKT0_S8_ifPKiSA_SA_iPKfiiiPfSD_PS3_PT2_iSC_SC_
	.globl	_Z39paged_attention_ll4mi_QKV_mfma16_kernelIDF16_hLN4vllm18Fp8KVCacheDataTypeE1EhLi32ELi128ELi256ELb1ELi16EL8MFMAType1EEvPKT_PKT0_S8_ifPKiSA_SA_iPKfiiiPfSD_PS3_PT2_iSC_SC_
	.p2align	8
	.type	_Z39paged_attention_ll4mi_QKV_mfma16_kernelIDF16_hLN4vllm18Fp8KVCacheDataTypeE1EhLi32ELi128ELi256ELb1ELi16EL8MFMAType1EEvPKT_PKT0_S8_ifPKiSA_SA_iPKfiiiPfSD_PS3_PT2_iSC_SC_,@function
_Z39paged_attention_ll4mi_QKV_mfma16_kernelIDF16_hLN4vllm18Fp8KVCacheDataTypeE1EhLi32ELi128ELi256ELb1ELi16EL8MFMAType1EEvPKT_PKT0_S8_ifPKiSA_SA_iPKfiiiPfSD_PS3_PT2_iSC_SC_: ; @_Z39paged_attention_ll4mi_QKV_mfma16_kernelIDF16_hLN4vllm18Fp8KVCacheDataTypeE1EhLi32ELi128ELi256ELb1ELi16EL8MFMAType1EEvPKT_PKT0_S8_ifPKiSA_SA_iPKfiiiPfSD_PS3_PT2_iSC_SC_
; %bb.0:
	s_load_b64 s[4:5], s[0:1], 0x30
	s_mov_b32 s30, s13
	s_waitcnt lgkmcnt(0)
	s_cmp_lg_u64 s[4:5], 0
	s_cselect_b32 s8, -1, 0
	s_ashr_i32 s31, s13, 31
	s_cmp_eq_u64 s[4:5], 0
	s_cbranch_scc1 .LBB1025_3
; %bb.1:
	s_lshl_b64 s[2:3], s[30:31], 2
	s_delay_alu instid0(SALU_CYCLE_1) | instskip(SKIP_4) | instid1(SALU_CYCLE_1)
	s_add_u32 s2, s4, s2
	s_addc_u32 s3, s5, s3
	s_load_b64 s[2:3], s[2:3], 0x0
	s_waitcnt lgkmcnt(0)
	s_sub_i32 s2, s3, s2
	s_cmp_eq_u32 s2, 1
	s_cselect_b32 s2, -1, 0
	s_delay_alu instid0(SALU_CYCLE_1)
	s_and_not1_b32 vcc_lo, exec_lo, s2
	s_cbranch_vccz .LBB1025_4
.LBB1025_2:
	s_endpgm
.LBB1025_3:
.LBB1025_4:
	s_load_b64 s[2:3], s[0:1], 0x28
	s_lshl_b64 s[6:7], s[30:31], 2
	s_waitcnt lgkmcnt(0)
	s_add_u32 s2, s2, s6
	s_addc_u32 s3, s3, s7
	s_lshl_b32 s12, s14, 8
	s_load_b32 s24, s[2:3], 0x0
	s_waitcnt lgkmcnt(0)
	s_cmp_ge_i32 s12, s24
	s_cbranch_scc1 .LBB1025_2
; %bb.5:
	s_clause 0x1
	s_load_b128 s[20:23], s[0:1], 0x8
	s_load_b64 s[2:3], s[0:1], 0x20
	s_and_not1_b32 vcc_lo, exec_lo, s8
	s_cbranch_vccnz .LBB1025_7
; %bb.6:
	s_add_u32 s4, s4, s6
	s_addc_u32 s5, s5, s7
	s_load_b32 s5, s[4:5], 0x0
	s_branch .LBB1025_8
.LBB1025_7:
	s_mov_b32 s5, s30
.LBB1025_8:
	s_load_b128 s[16:19], s[0:1], 0x48
	v_and_b32_e32 v70, 15, v0
	v_lshrrev_b32_e32 v69, 5, v0
	v_and_b32_e32 v71, 31, v0
	v_and_b32_e32 v67, 1, v0
	v_bfe_u32 v66, v0, 4, 1
	v_lshlrev_b32_e32 v1, 3, v70
	s_lshl_b32 s31, s15, 4
	s_mov_b32 s4, exec_lo
	s_delay_alu instid0(VALU_DEP_1)
	v_lshlrev_b32_e32 v65, 1, v1
	v_cmpx_gt_u32_e32 0x100, v0
	s_cbranch_execz .LBB1025_10
; %bb.9:
	v_lshl_or_b32 v5, v69, 1, v66
	s_load_b64 s[6:7], s[0:1], 0x0
	s_waitcnt lgkmcnt(0)
	s_mul_hi_i32 s9, s5, s16
	s_mul_i32 s8, s5, s16
	v_lshlrev_b32_e32 v6, 10, v70
	v_or_b32_e32 v1, s31, v5
	s_lshl_b64 s[8:9], s[8:9], 1
	v_lshlrev_b32_e32 v5, 6, v5
	v_lshlrev_b32_e32 v7, 10, v67
	v_and_b32_e32 v6, 0x3800, v6
	v_lshlrev_b32_e32 v1, 7, v1
	s_delay_alu instid0(VALU_DEP_2) | instskip(NEXT) | instid1(VALU_DEP_2)
	v_or3_b32 v5, v6, v7, v5
	v_ashrrev_i32_e32 v2, 31, v1
	s_delay_alu instid0(VALU_DEP_1) | instskip(SKIP_2) | instid1(VALU_DEP_1)
	v_lshlrev_b64 v[1:2], 1, v[1:2]
	s_add_u32 s5, s6, s8
	s_addc_u32 s6, s7, s9
	v_add_co_u32 v1, vcc_lo, s5, v1
	s_delay_alu instid0(VALU_DEP_2) | instskip(NEXT) | instid1(VALU_DEP_2)
	v_add_co_ci_u32_e32 v2, vcc_lo, s6, v2, vcc_lo
	v_add_co_u32 v1, vcc_lo, v1, v65
	s_delay_alu instid0(VALU_DEP_2)
	v_add_co_ci_u32_e32 v2, vcc_lo, 0, v2, vcc_lo
	global_load_b128 v[1:4], v[1:2], off
	s_waitcnt vmcnt(0)
	ds_store_b128 v5, v[1:4]
.LBB1025_10:
	s_or_b32 exec_lo, exec_lo, s4
	v_and_b32_e32 v1, 0xef, v0
	s_waitcnt lgkmcnt(0)
	s_add_i32 s5, s24, 31
	s_clause 0x1
	s_load_b32 s4, s[0:1], 0x38
	s_load_b32 s33, s[0:1], 0x98
	s_ashr_i32 s6, s5, 31
	v_add_nc_u32_e32 v1, s12, v1
	s_lshr_b32 s6, s6, 27
	s_load_b32 s19, s[0:1], 0x1c
	s_add_i32 s5, s5, s6
	s_waitcnt lgkmcnt(0)
	v_ashrrev_i32_e32 v2, 31, v1
	v_or_b32_e32 v3, 16, v1
	s_ashr_i32 s13, s5, 5
	v_cmp_gt_i32_e32 vcc_lo, s24, v1
	s_add_i32 s13, s13, -1
	v_lshrrev_b32_e32 v2, 27, v2
	s_barrier
	buffer_gl0_inv
	s_mul_i32 s35, s15, s18
	v_add_nc_u32_e32 v4, v1, v2
	s_mul_i32 s4, s30, s4
	s_delay_alu instid0(SALU_CYCLE_1) | instskip(NEXT) | instid1(VALU_DEP_1)
	s_ashr_i32 s5, s4, 31
	v_ashrrev_i32_e32 v4, 5, v4
	v_add_nc_u32_e32 v2, v3, v2
	s_lshl_b64 s[4:5], s[4:5], 2
	s_delay_alu instid0(SALU_CYCLE_1) | instskip(NEXT) | instid1(VALU_DEP_2)
	s_add_u32 s25, s2, s4
	v_cndmask_b32_e32 v1, s13, v4, vcc_lo
	s_delay_alu instid0(VALU_DEP_2)
	v_ashrrev_i32_e32 v2, 5, v2
	v_cmp_gt_i32_e32 vcc_lo, s24, v3
	s_addc_u32 s34, s3, s5
	s_ashr_i32 s36, s35, 31
	s_add_u32 s4, s20, s35
	s_addc_u32 s5, s21, s36
	v_cndmask_b32_e32 v3, s13, v2, vcc_lo
	v_ashrrev_i32_e32 v2, 31, v1
	s_lshl_b32 s2, s14, 3
	s_delay_alu instid0(SALU_CYCLE_1) | instskip(NEXT) | instid1(VALU_DEP_2)
	s_ashr_i32 s3, s2, 31
	v_ashrrev_i32_e32 v4, 31, v3
	s_delay_alu instid0(VALU_DEP_2) | instskip(SKIP_1) | instid1(SALU_CYCLE_1)
	v_lshlrev_b64 v[1:2], 2, v[1:2]
	s_lshl_b64 s[2:3], s[2:3], 2
	s_add_u32 s2, s25, s2
	s_delay_alu instid0(VALU_DEP_2) | instskip(SKIP_1) | instid1(VALU_DEP_2)
	v_lshlrev_b64 v[3:4], 2, v[3:4]
	s_addc_u32 s3, s34, s3
	v_add_co_u32 v1, vcc_lo, s25, v1
	v_add_co_ci_u32_e32 v2, vcc_lo, s34, v2, vcc_lo
	s_delay_alu instid0(VALU_DEP_3) | instskip(NEXT) | instid1(VALU_DEP_4)
	v_add_co_u32 v3, vcc_lo, s25, v3
	v_add_co_ci_u32_e32 v4, vcc_lo, s34, v4, vcc_lo
	s_clause 0x1
	global_load_b32 v5, v[1:2], off
	global_load_b32 v6, v[3:4], off
	s_or_b32 s6, s12, 32
	s_delay_alu instid0(SALU_CYCLE_1) | instskip(SKIP_2) | instid1(SALU_CYCLE_1)
	s_ashr_i32 s7, s6, 5
	s_cmp_lt_i32 s6, s24
	s_cselect_b32 s6, s7, s13
	s_ashr_i32 s7, s6, 31
	s_delay_alu instid0(SALU_CYCLE_1) | instskip(NEXT) | instid1(SALU_CYCLE_1)
	s_lshl_b64 s[6:7], s[6:7], 2
	s_add_u32 s6, s25, s6
	s_addc_u32 s7, s34, s7
	s_or_b32 s8, s12, 64
	s_delay_alu instid0(SALU_CYCLE_1) | instskip(SKIP_2) | instid1(SALU_CYCLE_1)
	s_ashr_i32 s9, s8, 5
	s_cmp_lt_i32 s8, s24
	s_cselect_b32 s8, s9, s13
	s_ashr_i32 s9, s8, 31
	s_delay_alu instid0(SALU_CYCLE_1) | instskip(NEXT) | instid1(SALU_CYCLE_1)
	s_lshl_b64 s[8:9], s[8:9], 2
	s_add_u32 s8, s25, s8
	s_addc_u32 s9, s34, s9
	;; [unrolled: 10-line block ×5, first 2 shown]
	s_clause 0x5
	s_load_b32 s20, s[2:3], 0x0
	s_load_b32 s2, s[6:7], 0x0
	;; [unrolled: 1-line block ×6, first 2 shown]
	s_or_b32 s8, s12, 0xc0
	s_delay_alu instid0(SALU_CYCLE_1) | instskip(SKIP_2) | instid1(SALU_CYCLE_1)
	s_ashr_i32 s9, s8, 5
	s_cmp_lt_i32 s8, s24
	s_cselect_b32 s26, s9, s13
	s_ashr_i32 s27, s26, 31
	s_delay_alu instid0(SALU_CYCLE_1) | instskip(NEXT) | instid1(SALU_CYCLE_1)
	s_lshl_b64 s[26:27], s[26:27], 2
	s_add_u32 s26, s25, s26
	s_addc_u32 s27, s34, s27
	s_or_b32 s21, s12, 0xe0
	s_waitcnt vmcnt(1)
	v_mad_i64_i32 v[1:2], null, v5, s17, s[4:5]
	s_waitcnt vmcnt(0)
	v_mad_i64_i32 v[3:4], null, v6, s17, s[4:5]
	s_mov_b32 s4, 0
	s_delay_alu instid0(SALU_CYCLE_1)
	s_mov_b32 s5, s4
	s_mov_b32 s6, s4
	;; [unrolled: 1-line block ×7, first 2 shown]
	v_lshlrev_b32_e32 v5, 4, v70
	v_dual_mov_b32 v103, s11 :: v_dual_mov_b32 v98, s6
	v_dual_mov_b32 v101, s9 :: v_dual_lshlrev_b32 v68, 6, v70
	s_delay_alu instid0(VALU_DEP_3)
	v_add_co_u32 v33, vcc_lo, v1, v5
	v_add_co_ci_u32_e32 v34, vcc_lo, 0, v2, vcc_lo
	v_add_co_u32 v35, vcc_lo, v3, v5
	v_add_co_ci_u32_e32 v36, vcc_lo, 0, v4, vcc_lo
	s_clause 0xf
	global_load_b128 v[1:4], v[33:34], off
	global_load_b128 v[5:8], v[33:34], off offset:512
	global_load_b128 v[9:12], v[35:36], off offset:256
	;; [unrolled: 1-line block ×15, first 2 shown]
	v_dual_mov_b32 v96, s4 :: v_dual_lshlrev_b32 v41, 5, v70
	v_mov_b32_e32 v102, s10
	v_dual_mov_b32 v100, s8 :: v_dual_mov_b32 v99, s7
	v_mov_b32_e32 v97, s5
	s_ashr_i32 s4, s21, 5
	s_cmp_lt_i32 s21, s24
	ds_load_b128 v[33:36], v68
	ds_load_b128 v[37:40], v68 offset:1024
	s_cselect_b32 s4, s4, s13
	ds_load_b128 v[104:107], v68 offset:2048
	ds_load_b128 v[108:111], v68 offset:3072
	s_ashr_i32 s5, s4, 31
	s_load_b32 s6, s[26:27], 0x0
	s_lshl_b64 s[4:5], s[4:5], 2
	ds_load_b128 v[112:115], v68 offset:4096
	ds_load_b128 v[116:119], v68 offset:5120
	s_add_u32 s4, s25, s4
	s_addc_u32 s5, s34, s5
	v_lshl_or_b32 v41, v69, 9, v41
	s_load_b32 s4, s[4:5], 0x0
	s_add_u32 s7, s22, s35
	s_addc_u32 s8, s23, s36
	s_delay_alu instid0(VALU_DEP_1) | instskip(NEXT) | instid1(VALU_DEP_1)
	v_add_co_u32 v128, s7, s7, v41
	v_add_co_ci_u32_e64 v129, null, s8, 0, s7
	s_waitcnt lgkmcnt(0)
	s_delay_alu instid0(VALU_DEP_1)
	v_mad_i64_i32 v[41:42], null, s20, s17, v[128:129]
	v_mad_i64_i32 v[130:131], null, s3, s17, v[128:129]
	;; [unrolled: 1-line block ×7, first 2 shown]
	s_clause 0x3
	global_load_b128 v[49:52], v[41:42], off
	global_load_b128 v[53:56], v[41:42], off offset:16
	global_load_b128 v[41:44], v[45:46], off
	global_load_b128 v[45:48], v[45:46], off offset:16
	s_waitcnt vmcnt(18)
	v_wmma_f32_16x16x16_f16 v[120:127], v[1:8], v[33:40], v[96:103]
	s_waitcnt vmcnt(16)
	v_wmma_f32_16x16x16_f16 v[96:103], v[9:16], v[33:40], v[96:103]
	s_clause 0x3
	global_load_b128 v[33:36], v[130:131], off
	global_load_b128 v[37:40], v[130:131], off offset:16
	global_load_b128 v[1:4], v[132:133], off
	global_load_b128 v[5:8], v[132:133], off offset:16
	s_waitcnt vmcnt(18)
	v_wmma_f32_16x16x16_f16 v[120:127], v[17:24], v[104:111], v[120:127]
	s_clause 0x3
	global_load_b128 v[9:12], v[134:135], off
	global_load_b128 v[13:16], v[134:135], off offset:16
	global_load_b128 v[17:20], v[136:137], off
	global_load_b128 v[21:24], v[136:137], off offset:16
	s_waitcnt vmcnt(20)
	v_wmma_f32_16x16x16_f16 v[96:103], v[25:32], v[104:111], v[96:103]
	v_mad_i64_i32 v[104:105], null, s4, s17, v[128:129]
	s_waitcnt vmcnt(18)
	v_wmma_f32_16x16x16_f16 v[120:127], v[57:64], v[112:119], v[120:127]
	s_clause 0x3
	global_load_b128 v[25:28], v[138:139], off
	global_load_b128 v[29:32], v[138:139], off offset:16
	global_load_b128 v[57:60], v[104:105], off
	global_load_b128 v[61:64], v[104:105], off offset:16
	s_waitcnt vmcnt(20)
	v_wmma_f32_16x16x16_f16 v[96:103], v[72:79], v[112:119], v[96:103]
	ds_load_b128 v[72:75], v68 offset:6144
	ds_load_b128 v[76:79], v68 offset:7168
	v_and_b32_e32 v104, 0xe0, v0
	v_mbcnt_lo_u32_b32 v105, -1, 0
	s_waitcnt vmcnt(0) lgkmcnt(0)
	s_barrier
	buffer_gl0_inv
	v_add_nc_u32_e32 v104, s12, v104
	v_xor_b32_e32 v106, 16, v105
	s_delay_alu instid0(VALU_DEP_2) | instskip(NEXT) | instid1(VALU_DEP_2)
	v_or_b32_e32 v104, v104, v66
	v_cmp_gt_i32_e32 vcc_lo, 32, v106
	s_delay_alu instid0(VALU_DEP_2)
	v_or_b32_e32 v107, 4, v104
	v_or_b32_e32 v108, 6, v104
	v_cmp_gt_i32_e64 s2, s24, v104
	v_or_b32_e32 v109, 8, v104
	v_wmma_f32_16x16x16_f16 v[120:127], v[80:87], v[72:79], v[120:127]
	v_cndmask_b32_e32 v105, v105, v106, vcc_lo
	v_or_b32_e32 v106, 2, v104
	v_wmma_f32_16x16x16_f16 v[96:103], v[88:95], v[72:79], v[96:103]
	v_or_b32_e32 v80, 10, v104
	v_dual_mul_f32 v78, s19, v124 :: v_dual_mul_f32 v79, s19, v123
	v_dual_mul_f32 v90, s19, v120 :: v_dual_mul_f32 v89, s19, v121
	s_delay_alu instid0(VALU_DEP_4) | instskip(SKIP_2) | instid1(VALU_DEP_4)
	v_mul_f32_e32 v92, s19, v102
	v_cmp_gt_i32_e32 vcc_lo, s24, v106
	v_dual_mul_f32 v77, s19, v125 :: v_dual_mul_f32 v88, s19, v122
	v_cndmask_b32_e64 v90, 0xff7fffff, v90, s2
	v_cmp_gt_i32_e64 s3, s24, v107
	v_cndmask_b32_e32 v89, 0xff7fffff, v89, vcc_lo
	v_cmp_gt_i32_e64 s4, s24, v108
	v_or_b32_e32 v81, 12, v104
	v_or_b32_e32 v82, 14, v104
	v_cndmask_b32_e64 v88, 0xff7fffff, v88, s3
	v_max3_f32 v89, v90, 0xff7fffff, v89
	v_cndmask_b32_e64 v79, 0xff7fffff, v79, s4
	v_cmp_gt_i32_e64 s5, s24, v109
	v_cmp_gt_i32_e64 s6, s24, v80
	v_or_b32_e32 v83, 16, v104
	v_or_b32_e32 v84, 18, v104
	v_dual_mul_f32 v75, s19, v127 :: v_dual_mul_f32 v76, s19, v126
	v_cndmask_b32_e64 v78, 0xff7fffff, v78, s5
	v_cndmask_b32_e64 v77, 0xff7fffff, v77, s6
	v_max3_f32 v79, v89, v88, v79
	v_cmp_gt_i32_e64 s7, s24, v81
	v_cmp_gt_i32_e64 s8, s24, v82
	v_or_b32_e32 v85, 20, v104
	v_or_b32_e32 v86, 22, v104
	;; [unrolled: 1-line block ×6, first 2 shown]
	v_dual_mul_f32 v95, s19, v99 :: v_dual_mul_f32 v104, s19, v97
	v_mul_f32_e32 v107, s19, v96
	v_cndmask_b32_e64 v76, 0xff7fffff, v76, s7
	v_cndmask_b32_e64 v75, 0xff7fffff, v75, s8
	v_max3_f32 v77, v79, v78, v77
	v_cmp_gt_i32_e64 s9, s24, v83
	v_cmp_gt_i32_e64 s10, s24, v84
	v_dual_mul_f32 v93, s19, v101 :: v_dual_mul_f32 v106, s19, v98
	s_delay_alu instid0(VALU_DEP_4) | instskip(NEXT) | instid1(VALU_DEP_4)
	v_max3_f32 v75, v77, v76, v75
	v_cndmask_b32_e64 v78, 0xff7fffff, v107, s9
	s_delay_alu instid0(VALU_DEP_4) | instskip(SKIP_3) | instid1(VALU_DEP_4)
	v_cndmask_b32_e64 v79, 0xff7fffff, v104, s10
	v_cmp_gt_i32_e64 s11, s24, v85
	v_cmp_gt_i32_e64 s12, s24, v86
	v_dual_mul_f32 v91, s19, v103 :: v_dual_mul_f32 v94, s19, v100
	v_max3_f32 v75, v75, v78, v79
	s_delay_alu instid0(VALU_DEP_4) | instskip(NEXT) | instid1(VALU_DEP_4)
	v_cndmask_b32_e64 v76, 0xff7fffff, v106, s11
	v_cndmask_b32_e64 v77, 0xff7fffff, v95, s12
	v_cmp_gt_i32_e64 s13, s24, v87
	v_cmp_gt_i32_e64 s15, s24, v72
	;; [unrolled: 1-line block ×4, first 2 shown]
	v_max3_f32 v75, v75, v76, v77
	v_cndmask_b32_e64 v78, 0xff7fffff, v94, s13
	v_cndmask_b32_e64 v72, 0xff7fffff, v93, s15
	;; [unrolled: 1-line block ×4, first 2 shown]
	s_delay_alu instid0(VALU_DEP_3) | instskip(SKIP_1) | instid1(VALU_DEP_2)
	v_max3_f32 v72, v75, v78, v72
	v_lshlrev_b32_e32 v75, 2, v105
	v_max3_f32 v72, v72, v73, v74
	ds_bpermute_b32 v73, v75, v72
	s_waitcnt lgkmcnt(0)
	v_max_f32_e32 v73, v73, v73
	s_delay_alu instid0(VALU_DEP_1) | instskip(NEXT) | instid1(VALU_DEP_1)
	v_max_f32_e32 v72, v72, v73
	v_fma_f32 v76, s19, v122, -v72
	v_fma_f32 v73, s19, v120, -v72
	;; [unrolled: 1-line block ×5, first 2 shown]
	v_mul_f32_e32 v76, 0x3fb8aa3b, v76
	v_fma_f32 v82, s19, v126, -v72
	v_mul_f32_e32 v74, 0x3fb8aa3b, v74
	v_fma_f32 v86, s19, v99, -v72
	v_fma_f32 v91, s19, v103, -v72
	v_exp_f32_e32 v76, v76
	v_mul_f32_e32 v82, 0x3fb8aa3b, v82
	v_exp_f32_e32 v74, v74
	v_mul_f32_e32 v88, 0x3fb8aa3b, v86
	v_fma_f32 v89, s19, v101, -v72
	s_delay_alu instid0(VALU_DEP_3) | instskip(NEXT) | instid1(VALU_DEP_2)
	v_exp_f32_e32 v84, v82
	v_exp_f32_e32 v90, v88
	s_delay_alu instid0(VALU_DEP_1)
	v_mul_f32_e32 v89, 0x3fb8aa3b, v89
	v_cndmask_b32_e64 v80, 0, v76, s3
	v_mul_f32_e32 v73, 0x3fb8aa3b, v73
	v_fma_f32 v76, s19, v127, -v72
	v_mul_f32_e32 v77, 0x3fb8aa3b, v77
	v_exp_f32_e32 v89, v89
	s_delay_alu instid0(VALU_DEP_3) | instskip(NEXT) | instid1(VALU_DEP_2)
	v_exp_f32_e32 v73, v73
	v_mul_f32_e32 v76, 0x3fb8aa3b, v76
	s_delay_alu instid0(VALU_DEP_2) | instskip(SKIP_2) | instid1(VALU_DEP_3)
	v_exp_f32_e32 v81, v77
	v_cndmask_b32_e32 v77, 0, v74, vcc_lo
	v_cndmask_b32_e64 v84, 0, v84, s7
	v_exp_f32_e32 v76, v76
	v_cndmask_b32_e64 v89, 0, v89, s15
	s_delay_alu instid0(TRANS32_DEP_3) | instskip(SKIP_2) | instid1(VALU_DEP_2)
	v_cndmask_b32_e64 v78, 0, v73, s2
	v_fma_f32 v73, s19, v125, -v72
	s_mov_b32 s2, exec_lo
	v_dual_add_f32 v74, 0, v78 :: v_dual_mul_f32 v79, 0x3fb8aa3b, v79
	s_delay_alu instid0(VALU_DEP_2) | instskip(NEXT) | instid1(VALU_DEP_2)
	v_mul_f32_e32 v73, 0x3fb8aa3b, v73
	v_add_f32_e32 v74, v74, v77
	s_delay_alu instid0(VALU_DEP_3) | instskip(NEXT) | instid1(VALU_DEP_2)
	v_exp_f32_e32 v83, v79
	v_exp_f32_e32 v73, v73
	v_cndmask_b32_e64 v79, 0, v81, s4
	v_fma_f32 v81, s19, v96, -v72
	s_delay_alu instid0(VALU_DEP_1) | instskip(NEXT) | instid1(VALU_DEP_1)
	v_dual_add_f32 v74, v74, v80 :: v_dual_mul_f32 v85, 0x3fb8aa3b, v81
	v_add_f32_e32 v74, v74, v79
	s_waitcnt_depctr 0xfff
	v_cndmask_b32_e64 v82, 0, v83, s5
	v_fma_f32 v83, s19, v97, -v72
	v_cndmask_b32_e64 v81, 0, v73, s6
	v_exp_f32_e32 v85, v85
	s_delay_alu instid0(VALU_DEP_2) | instskip(NEXT) | instid1(VALU_DEP_1)
	v_mul_f32_e32 v83, 0x3fb8aa3b, v83
	v_exp_f32_e32 v87, v83
	v_cndmask_b32_e64 v83, 0, v76, s8
	v_fma_f32 v76, s19, v100, -v72
	v_add_f32_e32 v73, v74, v82
	v_fma_f32 v74, s19, v98, -v72
	s_delay_alu instid0(TRANS32_DEP_2) | instskip(NEXT) | instid1(VALU_DEP_4)
	v_cndmask_b32_e64 v86, 0, v85, s9
	v_mul_f32_e32 v76, 0x3fb8aa3b, v76
	s_delay_alu instid0(VALU_DEP_3) | instskip(NEXT) | instid1(TRANS32_DEP_1)
	v_mul_f32_e32 v74, 0x3fb8aa3b, v74
	v_cndmask_b32_e64 v85, 0, v87, s10
	v_fma_f32 v87, s19, v102, -v72
	v_add_f32_e32 v73, v73, v81
	v_exp_f32_e32 v76, v76
	v_exp_f32_e32 v74, v74
	s_waitcnt_depctr 0xfff
	v_cndmask_b32_e64 v88, 0, v74, s11
	v_dual_mul_f32 v74, 0x3fb8aa3b, v87 :: v_dual_add_f32 v73, v73, v84
	v_cndmask_b32_e64 v87, 0, v90, s12
	v_cndmask_b32_e64 v90, 0, v76, s13
	v_mul_f32_e32 v76, 0x3fb8aa3b, v91
	s_delay_alu instid0(VALU_DEP_4) | instskip(SKIP_1) | instid1(VALU_DEP_2)
	v_exp_f32_e32 v74, v74
	v_add_f32_e32 v73, v73, v83
	v_exp_f32_e32 v76, v76
	s_delay_alu instid0(VALU_DEP_1) | instskip(SKIP_4) | instid1(VALU_DEP_2)
	v_add_f32_e32 v73, v73, v86
	s_waitcnt_depctr 0xfff
	v_cndmask_b32_e64 v92, 0, v74, s16
	v_add_f32_e32 v73, v73, v85
	v_cndmask_b32_e64 v91, 0, v76, s17
	v_add_f32_e32 v73, v73, v88
	s_delay_alu instid0(VALU_DEP_1) | instskip(NEXT) | instid1(VALU_DEP_1)
	v_add_f32_e32 v73, v73, v87
	v_add_f32_e32 v73, v73, v90
	s_delay_alu instid0(VALU_DEP_1) | instskip(NEXT) | instid1(VALU_DEP_1)
	v_add_f32_e32 v73, v73, v89
	v_add_f32_e32 v73, v73, v92
	s_delay_alu instid0(VALU_DEP_1)
	v_add_f32_e32 v73, v73, v91
	ds_bpermute_b32 v74, v75, v73
	v_cmpx_gt_u32_e32 16, v71
	s_cbranch_execz .LBB1025_12
; %bb.11:
	v_mul_u32_u24_e32 v71, 0x44, v69
	s_waitcnt lgkmcnt(0)
	v_add_f32_e32 v73, v73, v74
	s_delay_alu instid0(VALU_DEP_2) | instskip(NEXT) | instid1(VALU_DEP_1)
	v_lshl_add_u32 v71, v70, 2, v71
	v_add_nc_u32_e32 v71, 0x4000, v71
	ds_store_2addr_b32 v71, v72, v73 offset1:136
.LBB1025_12:
	s_or_b32 exec_lo, exec_lo, s2
	v_lshlrev_b32_e32 v70, 2, v70
	s_load_b32 s34, s[0:1], 0x94
	s_waitcnt lgkmcnt(0)
	s_barrier
	buffer_gl0_inv
	v_add_nc_u32_e32 v74, 0x4000, v70
	v_cmp_eq_u32_e32 vcc_lo, 1, v69
	v_cmp_eq_u32_e64 s2, 2, v69
	v_cmp_eq_u32_e64 s3, 3, v69
	;; [unrolled: 1-line block ×3, first 2 shown]
	ds_load_2addr_b32 v[70:71], v74 offset1:17
	ds_load_2addr_b32 v[72:73], v74 offset0:34 offset1:51
	ds_load_2addr_b32 v[93:94], v74 offset0:68 offset1:85
	;; [unrolled: 1-line block ×3, first 2 shown]
	v_cmp_eq_u32_e64 s5, 7, v69
	s_waitcnt lgkmcnt(3)
	v_max3_f32 v75, v70, 0xff7fffff, v71
	s_waitcnt lgkmcnt(2)
	s_delay_alu instid0(VALU_DEP_1) | instskip(SKIP_1) | instid1(VALU_DEP_1)
	v_max3_f32 v75, v75, v72, v73
	s_waitcnt lgkmcnt(1)
	v_max3_f32 v75, v75, v93, v94
	s_waitcnt lgkmcnt(0)
	s_delay_alu instid0(VALU_DEP_1) | instskip(NEXT) | instid1(VALU_DEP_1)
	v_max3_f32 v75, v75, v95, v96
	v_sub_f32_e32 v93, v93, v75
	ds_load_2addr_b32 v[97:98], v74 offset0:136 offset1:153
	v_sub_f32_e32 v70, v70, v75
	v_dual_sub_f32 v100, v73, v75 :: v_dual_mul_f32 v103, 0x3fb8aa3b, v93
	s_delay_alu instid0(VALU_DEP_2) | instskip(SKIP_3) | instid1(VALU_DEP_1)
	v_dual_sub_f32 v76, v71, v75 :: v_dual_mul_f32 v99, 0x3fb8aa3b, v70
	ds_load_2addr_b32 v[70:71], v74 offset0:170 offset1:187
	v_mul_f32_e32 v76, 0x3fb8aa3b, v76
	v_exp_f32_e32 v99, v99
	v_exp_f32_e32 v102, v76
	v_mul_f32_e32 v100, 0x3fb8aa3b, v100
	s_waitcnt lgkmcnt(1)
	s_waitcnt_depctr 0xfff
	v_fma_f32 v76, v99, v97, 0
	v_sub_f32_e32 v97, v94, v75
	v_sub_f32_e32 v72, v72, v75
	v_exp_f32_e32 v100, v100
	ds_load_2addr_b32 v[93:94], v74 offset0:238 offset1:255
	v_dual_fmac_f32 v76, v102, v98 :: v_dual_mul_f32 v101, 0x3fb8aa3b, v72
	ds_load_2addr_b32 v[72:73], v74 offset0:204 offset1:221
	v_dual_sub_f32 v74, v95, v75 :: v_dual_mul_f32 v95, 0x3fb8aa3b, v97
	v_exp_f32_e32 v97, v103
	v_exp_f32_e32 v101, v101
	s_waitcnt lgkmcnt(0)
	s_delay_alu instid0(VALU_DEP_1)
	v_mul_f32_e32 v74, 0x3fb8aa3b, v74
	v_exp_f32_e32 v95, v95
	s_barrier
	buffer_gl0_inv
	v_fmac_f32_e32 v76, v101, v70
	v_sub_f32_e32 v70, v96, v75
	v_exp_f32_e32 v96, v74
	s_delay_alu instid0(VALU_DEP_2) | instskip(NEXT) | instid1(VALU_DEP_2)
	v_fmac_f32_e32 v76, v100, v71
	v_mul_f32_e32 v70, 0x3fb8aa3b, v70
	s_delay_alu instid0(VALU_DEP_2) | instskip(NEXT) | instid1(VALU_DEP_2)
	v_dual_cndmask_b32 v71, v99, v102 :: v_dual_fmac_f32 v76, v97, v72
	v_exp_f32_e32 v98, v70
	s_delay_alu instid0(VALU_DEP_1) | instskip(SKIP_2) | instid1(VALU_DEP_1)
	v_fmac_f32_e32 v76, v95, v73
	s_waitcnt_depctr 0xfff
	v_fmac_f32_e32 v76, v96, v93
	v_fmac_f32_e32 v76, v98, v94
	s_delay_alu instid0(VALU_DEP_1) | instskip(NEXT) | instid1(VALU_DEP_1)
	v_add_f32_e32 v93, 0x358637bd, v76
	v_div_scale_f32 v94, null, v93, v93, 1.0
	v_div_scale_f32 v99, vcc_lo, 1.0, v93, 1.0
	s_delay_alu instid0(VALU_DEP_2) | instskip(SKIP_2) | instid1(VALU_DEP_1)
	v_rcp_f32_e32 v103, v94
	s_waitcnt_depctr 0xfff
	v_fma_f32 v70, -v94, v103, 1.0
	v_fmac_f32_e32 v103, v70, v103
	v_cndmask_b32_e64 v70, v71, v101, s2
	v_cmp_eq_u32_e64 s2, 4, v69
	v_lshlrev_b32_e32 v71, 2, v66
	s_delay_alu instid0(VALU_DEP_4) | instskip(NEXT) | instid1(VALU_DEP_4)
	v_mul_f32_e32 v101, v99, v103
	v_cndmask_b32_e64 v72, v70, v100, s3
	v_cmp_eq_u32_e64 s3, 6, v69
	v_lshl_or_b32 v70, v69, 11, v68
	v_or_b32_e32 v74, 1, v71
	v_fma_f32 v73, -v94, v101, v99
	v_cndmask_b32_e64 v72, v72, v97, s2
	v_cmp_eq_u32_e64 s2, 1, v71
	v_lshl_or_b32 v69, v66, 4, v70
	v_cmp_eq_u32_e64 s8, 1, v74
	v_fmac_f32_e32 v101, v73, v103
	v_cndmask_b32_e64 v95, v72, v95, s4
	v_or_b32_e32 v72, 2, v71
	v_or_b32_e32 v73, 3, v71
	v_cmp_eq_u32_e64 s11, 2, v74
	v_fma_f32 v94, -v94, v101, v99
	v_cndmask_b32_e64 v95, v95, v96, s3
	v_cmp_eq_u32_e64 s9, 1, v72
	v_cmp_eq_u32_e64 s10, 1, v73
	;; [unrolled: 1-line block ×3, first 2 shown]
	v_div_fmas_f32 v94, v94, v103, v101
	v_cndmask_b32_e64 v95, v95, v98, s5
	v_cmp_eq_u32_e32 vcc_lo, 2, v71
	v_cmp_eq_u32_e64 s15, 2, v73
	v_cmp_eq_u32_e64 s17, 3, v73
	v_div_fixup_f32 v93, v94, v93, 1.0
	v_cmp_eq_u32_e64 s3, 3, v71
	v_cmp_eq_u32_e64 s12, 3, v74
	;; [unrolled: 1-line block ×4, first 2 shown]
	v_mul_f32_e32 v101, v95, v93
	v_cmp_eq_u32_e64 s4, 4, v71
	v_cmp_eq_u32_e64 s18, 4, v74
	v_cmp_eq_u32_e64 s20, 4, v72
	v_cmp_eq_u32_e64 s23, 5, v73
	v_fma_mixlo_f16 v93, v101, v78, 0
	v_fma_mixlo_f16 v94, v101, v80, 0
	;; [unrolled: 1-line block ×8, first 2 shown]
	v_fma_mixhi_f16 v93, v101, v77, 0
	v_fma_mixhi_f16 v94, v101, v79, 0
	;; [unrolled: 1-line block ×8, first 2 shown]
	ds_store_b128 v69, v[93:96]
	ds_store_b128 v69, v[97:100] offset:1024
	s_waitcnt lgkmcnt(0)
	s_barrier
	buffer_gl0_inv
	ds_load_b128 v[77:80], v70
	ds_load_b128 v[81:84], v70 offset:16
	ds_load_b128 v[85:88], v70 offset:1024
	;; [unrolled: 1-line block ×3, first 2 shown]
	v_cmp_eq_u32_e64 s5, 5, v71
	v_cmp_eq_u32_e64 s19, 5, v74
	;; [unrolled: 1-line block ×11, first 2 shown]
	s_waitcnt lgkmcnt(3)
	v_lshrrev_b32_e32 v93, 16, v77
	s_waitcnt lgkmcnt(2)
	v_lshrrev_b32_e32 v97, 16, v81
	;; [unrolled: 2-line block ×4, first 2 shown]
	v_lshrrev_b32_e32 v94, 16, v78
	v_cndmask_b32_e64 v109, v77, v93, s2
	v_cndmask_b32_e64 v110, v81, v97, s2
	v_cndmask_b32_e64 v111, v77, v93, s8
	v_cndmask_b32_e64 v112, v81, v97, s8
	v_cndmask_b32_e64 v113, v77, v93, s9
	v_cndmask_b32_e64 v114, v81, v97, s9
	v_cndmask_b32_e64 v77, v77, v93, s10
	v_cndmask_b32_e64 v81, v81, v97, s10
	v_lshrrev_b32_e32 v98, 16, v82
	v_cndmask_b32_e64 v93, v85, v101, s2
	v_cndmask_b32_e64 v97, v89, v105, s2
	;; [unrolled: 1-line block ×5, first 2 shown]
	v_cndmask_b32_e32 v101, v109, v78, vcc_lo
	v_cndmask_b32_e64 v109, v111, v78, s11
	v_cndmask_b32_e64 v111, v113, v78, s13
	;; [unrolled: 1-line block ×4, first 2 shown]
	v_lshrrev_b32_e32 v102, 16, v86
	v_lshrrev_b32_e32 v106, 16, v90
	v_cndmask_b32_e64 v116, v89, v105, s8
	v_cndmask_b32_e64 v118, v89, v105, s9
	;; [unrolled: 1-line block ×3, first 2 shown]
	v_cndmask_b32_e32 v105, v110, v82, vcc_lo
	v_cndmask_b32_e64 v110, v112, v82, s11
	v_cndmask_b32_e64 v112, v114, v82, s13
	v_cndmask_b32_e32 v81, v93, v86, vcc_lo
	v_cndmask_b32_e32 v82, v97, v90, vcc_lo
	v_cndmask_b32_e64 v93, v115, v86, s11
	v_cndmask_b32_e64 v77, v77, v94, s17
	;; [unrolled: 1-line block ×3, first 2 shown]
	v_lshrrev_b32_e32 v95, 16, v79
	v_lshrrev_b32_e32 v99, 16, v83
	v_cndmask_b32_e64 v97, v117, v86, s13
	v_cndmask_b32_e64 v85, v85, v86, s15
	;; [unrolled: 1-line block ×14, first 2 shown]
	v_lshrrev_b32_e32 v103, 16, v87
	v_cndmask_b32_e64 v89, v89, v79, s4
	v_cndmask_b32_e64 v94, v101, v83, s4
	;; [unrolled: 1-line block ×11, first 2 shown]
	v_lshrrev_b32_e32 v96, 16, v80
	v_lshrrev_b32_e32 v100, 16, v84
	v_cndmask_b32_e64 v83, v89, v95, s5
	v_cndmask_b32_e64 v89, v94, v99, s5
	;; [unrolled: 1-line block ×9, first 2 shown]
	v_lshrrev_b32_e32 v104, 16, v88
	v_cndmask_b32_e64 v79, v79, v103, s5
	v_cndmask_b32_e64 v83, v83, v80, s6
	;; [unrolled: 1-line block ×19, first 2 shown]
	v_perm_b32 v80, v78, v77, 0x5040100
	v_cndmask_b32_e64 v77, v116, v90, s11
	v_cndmask_b32_e64 v95, v79, v104, s7
	v_perm_b32 v79, v93, v89, 0x5040100
	v_perm_b32 v78, v94, v84, 0x5040100
	v_cndmask_b32_e64 v84, v97, v102, s16
	v_cndmask_b32_e64 v85, v85, v102, s17
	;; [unrolled: 1-line block ×5, first 2 shown]
	v_lshrrev_b32_e32 v107, 16, v91
	v_cndmask_b32_e64 v84, v84, v87, s20
	v_cndmask_b32_e64 v85, v85, v87, s21
	;; [unrolled: 1-line block ×11, first 2 shown]
	v_lshrrev_b32_e32 v108, 16, v92
	v_cndmask_b32_e64 v81, v81, v92, s6
	v_cndmask_b32_e64 v84, v84, v88, s25
	v_cndmask_b32_e64 v85, v85, v88, s26
	v_cndmask_b32_e64 v86, v86, v92, s26
	v_cndmask_b32_e64 v87, v87, v92, s25
	v_cndmask_b32_e64 v77, v77, v92, s24
	v_cndmask_b32_e64 v88, v84, v104, s27
	v_cndmask_b32_e64 v84, v85, v104, s28
	v_cndmask_b32_e64 v85, v86, v108, s28
	v_cndmask_b32_e64 v86, v87, v108, s27
	v_cndmask_b32_e64 v87, v77, v108, s29
	v_cndmask_b32_e64 v81, v81, v108, s7
	v_perm_b32 v77, v83, v82, 0x5040100
	v_perm_b32 v84, v85, v84, 0x5040100
	;; [unrolled: 1-line block ×5, first 2 shown]
	s_lshl_b32 s7, s33, 4
	s_mov_b32 s2, exec_lo
	ds_store_b128 v69, v[77:80]
	ds_store_b128 v69, v[81:84] offset:1024
	v_cmpx_gt_u32_e32 16, v0
	s_cbranch_execz .LBB1025_14
; %bb.13:
	v_or_b32_e32 v77, s31, v0
	s_load_b128 s[8:11], s[0:1], 0x58
	s_delay_alu instid0(VALU_DEP_1) | instskip(NEXT) | instid1(VALU_DEP_1)
	v_mad_u64_u32 v[78:79], null, s7, s30, v[77:78]
	v_mad_u64_u32 v[79:80], null, v78, s34, s[14:15]
	s_delay_alu instid0(VALU_DEP_1) | instskip(NEXT) | instid1(VALU_DEP_1)
	v_ashrrev_i32_e32 v80, 31, v79
	v_lshlrev_b64 v[77:78], 2, v[79:80]
	s_waitcnt lgkmcnt(0)
	s_delay_alu instid0(VALU_DEP_1) | instskip(NEXT) | instid1(VALU_DEP_2)
	v_add_co_u32 v79, vcc_lo, s10, v77
	v_add_co_ci_u32_e32 v80, vcc_lo, s11, v78, vcc_lo
	v_add_co_u32 v77, vcc_lo, s8, v77
	v_add_co_ci_u32_e32 v78, vcc_lo, s9, v78, vcc_lo
	global_store_b32 v[79:80], v75, off
	global_store_b32 v[77:78], v76, off
.LBB1025_14:
	s_or_b32 exec_lo, exec_lo, s2
	s_waitcnt lgkmcnt(0)
	s_waitcnt_vscnt null, 0x0
	s_barrier
	buffer_gl0_inv
	ds_load_b128 v[83:86], v68
	ds_load_b128 v[87:90], v68 offset:16
	ds_load_b128 v[95:98], v68 offset:2064
	;; [unrolled: 1-line block ×5, first 2 shown]
	v_cmp_eq_u32_e32 vcc_lo, 1, v71
	v_mov_b32_e32 v75, 0
	ds_load_b128 v[111:114], v68 offset:6160
	ds_load_b128 v[107:110], v68 offset:6144
	;; [unrolled: 1-line block ×4, first 2 shown]
	v_cmp_eq_u32_e64 s3, 1, v72
	v_cmp_eq_u32_e64 s2, 1, v74
	;; [unrolled: 1-line block ×3, first 2 shown]
	v_mov_b32_e32 v76, v75
	v_mov_b32_e32 v77, v75
	;; [unrolled: 1-line block ×7, first 2 shown]
	v_cmp_eq_u32_e64 s5, 3, v74
	v_cmp_eq_u32_e64 s6, 7, v74
	s_waitcnt lgkmcnt(8)
	s_delay_alu instid0(VALU_DEP_3)
	v_wmma_f32_16x16x16_f16 v[75:82], v[49:56], v[83:90], v[75:82]
	ds_load_b128 v[53:56], v68 offset:10256
	ds_load_b128 v[49:52], v68 offset:10240
	s_waitcnt lgkmcnt(8)
	v_wmma_f32_16x16x16_f16 v[75:82], v[41:48], v[91:98], v[75:82]
	ds_load_b128 v[45:48], v68 offset:12304
	ds_load_b128 v[41:44], v68 offset:12288
	s_waitcnt lgkmcnt(8)
	;; [unrolled: 4-line block ×3, first 2 shown]
	s_barrier
	buffer_gl0_inv
	v_wmma_f32_16x16x16_f16 v[75:82], v[1:8], v[107:114], v[75:82]
	s_delay_alu instid0(VALU_DEP_1) | instskip(NEXT) | instid1(VALU_DEP_1)
	v_wmma_f32_16x16x16_f16 v[75:82], v[9:16], v[115:122], v[75:82]
	v_wmma_f32_16x16x16_f16 v[75:82], v[17:24], v[49:56], v[75:82]
	s_delay_alu instid0(VALU_DEP_1) | instskip(NEXT) | instid1(VALU_DEP_1)
	v_wmma_f32_16x16x16_f16 v[75:82], v[25:32], v[41:48], v[75:82]
	v_wmma_f32_16x16x16_f16 v[75:82], v[57:64], v[33:40], v[75:82]
	s_delay_alu instid0(VALU_DEP_1) | instskip(NEXT) | instid1(VALU_DEP_2)
	v_cvt_f16_f32_e32 v1, v75
	v_cvt_f16_f32_e32 v2, v76
	s_delay_alu instid0(VALU_DEP_3) | instskip(NEXT) | instid1(VALU_DEP_4)
	v_cvt_f16_f32_e32 v3, v77
	v_cvt_f16_f32_e32 v4, v78
	;; [unrolled: 1-line block ×6, first 2 shown]
	v_pack_b32_f16 v1, v1, v2
	v_pack_b32_f16 v2, v3, v4
	;; [unrolled: 1-line block ×3, first 2 shown]
	s_delay_alu instid0(VALU_DEP_4)
	v_pack_b32_f16 v4, v7, v8
	ds_store_b128 v69, v[1:4]
	s_waitcnt lgkmcnt(0)
	s_barrier
	buffer_gl0_inv
	ds_load_b128 v[1:4], v70
	ds_load_b128 v[5:8], v70 offset:16
	s_waitcnt lgkmcnt(1)
	v_lshrrev_b32_e32 v9, 16, v1
	s_waitcnt lgkmcnt(0)
	v_lshrrev_b32_e32 v13, 16, v5
	v_lshrrev_b32_e32 v10, 16, v2
	;; [unrolled: 1-line block ×4, first 2 shown]
	v_cndmask_b32_e32 v17, v1, v9, vcc_lo
	v_cndmask_b32_e32 v18, v5, v13, vcc_lo
	v_cndmask_b32_e64 v21, v1, v9, s3
	v_cmp_eq_u32_e32 vcc_lo, 1, v73
	v_cndmask_b32_e64 v22, v5, v13, s3
	v_cmp_eq_u32_e64 s3, 2, v71
	v_cndmask_b32_e64 v19, v1, v9, s2
	v_cndmask_b32_e64 v20, v5, v13, s2
	v_cndmask_b32_e32 v1, v1, v9, vcc_lo
	v_cmp_eq_u32_e64 s2, 2, v73
	v_cndmask_b32_e32 v5, v5, v13, vcc_lo
	v_cndmask_b32_e64 v9, v17, v2, s3
	v_cmp_eq_u32_e32 vcc_lo, 3, v71
	v_cndmask_b32_e64 v13, v18, v6, s3
	v_cmp_eq_u32_e64 s3, 2, v72
	v_cndmask_b32_e64 v17, v19, v2, s4
	v_cndmask_b32_e64 v18, v20, v6, s4
	v_cmp_eq_u32_e64 s4, 3, v72
	v_cndmask_b32_e64 v1, v1, v2, s2
	v_cndmask_b32_e64 v19, v21, v2, s3
	;; [unrolled: 1-line block ×4, first 2 shown]
	v_cndmask_b32_e32 v5, v9, v10, vcc_lo
	v_cndmask_b32_e32 v6, v13, v14, vcc_lo
	v_cmp_eq_u32_e32 vcc_lo, 3, v73
	v_cndmask_b32_e64 v9, v17, v10, s5
	v_cndmask_b32_e64 v13, v18, v14, s5
	;; [unrolled: 1-line block ×3, first 2 shown]
	v_cmp_eq_u32_e64 s3, 4, v71
	v_cndmask_b32_e32 v1, v1, v10, vcc_lo
	v_cndmask_b32_e32 v2, v2, v14, vcc_lo
	v_cmp_eq_u32_e32 vcc_lo, 4, v74
	v_lshrrev_b32_e32 v15, 16, v7
	v_lshrrev_b32_e32 v16, 16, v8
	v_cndmask_b32_e64 v17, v19, v10, s4
	v_cmp_eq_u32_e64 s2, 4, v73
	v_cndmask_b32_e64 v5, v5, v3, s3
	v_cndmask_b32_e64 v6, v6, v7, s3
	v_cndmask_b32_e32 v9, v9, v3, vcc_lo
	v_cmp_eq_u32_e64 s3, 5, v74
	v_cndmask_b32_e32 v10, v13, v7, vcc_lo
	v_cmp_eq_u32_e32 vcc_lo, 4, v72
	v_cmp_eq_u32_e64 s4, 5, v71
	v_cndmask_b32_e64 v2, v2, v7, s2
	v_cndmask_b32_e64 v9, v9, v11, s3
	;; [unrolled: 1-line block ×3, first 2 shown]
	v_cndmask_b32_e32 v13, v17, v3, vcc_lo
	v_cmp_eq_u32_e64 s3, 5, v72
	v_cndmask_b32_e32 v14, v18, v7, vcc_lo
	v_cndmask_b32_e64 v1, v1, v3, s2
	v_cmp_eq_u32_e32 vcc_lo, 5, v73
	v_lshrrev_b32_e32 v12, 16, v4
	v_cndmask_b32_e64 v13, v13, v11, s3
	v_cndmask_b32_e64 v3, v14, v15, s3
	v_cmp_eq_u32_e64 s3, 6, v73
	v_cndmask_b32_e32 v1, v1, v11, vcc_lo
	v_cndmask_b32_e64 v5, v5, v11, s4
	v_cmp_eq_u32_e64 s5, 6, v71
	v_cndmask_b32_e64 v6, v6, v15, s4
	v_cmp_eq_u32_e64 s4, 6, v74
	v_cmp_eq_u32_e64 s2, 6, v72
	v_cndmask_b32_e64 v1, v1, v4, s3
	v_cndmask_b32_e32 v2, v2, v15, vcc_lo
	v_cmp_eq_u32_e32 vcc_lo, 7, v73
	v_cndmask_b32_e64 v5, v5, v4, s5
	v_cndmask_b32_e64 v9, v9, v4, s4
	;; [unrolled: 1-line block ×3, first 2 shown]
	v_cmp_eq_u32_e64 s5, 7, v71
	v_cndmask_b32_e32 v1, v1, v12, vcc_lo
	v_cndmask_b32_e64 v7, v13, v4, s2
	v_cndmask_b32_e64 v3, v3, v8, s2
	;; [unrolled: 1-line block ×3, first 2 shown]
	v_cmp_eq_u32_e64 s2, 7, v72
	v_cndmask_b32_e64 v4, v10, v8, s4
	v_cndmask_b32_e64 v5, v5, v12, s5
	;; [unrolled: 1-line block ×3, first 2 shown]
	v_cndmask_b32_e32 v2, v2, v16, vcc_lo
	v_cndmask_b32_e64 v7, v7, v12, s2
	v_cndmask_b32_e64 v3, v3, v16, s2
	;; [unrolled: 1-line block ×4, first 2 shown]
	v_perm_b32 v4, v2, v1, 0x5040100
	s_mov_b32 s2, exec_lo
	v_perm_b32 v3, v3, v7, 0x5040100
	v_perm_b32 v2, v8, v9, 0x5040100
	;; [unrolled: 1-line block ×3, first 2 shown]
	ds_store_b128 v69, v[1:4]
	s_waitcnt lgkmcnt(0)
	s_barrier
	buffer_gl0_inv
	v_cmpx_gt_u32_e32 32, v0
	s_cbranch_execz .LBB1025_2
; %bb.15:
	s_load_b64 s[0:1], s[0:1], 0x68
	v_lshlrev_b32_e32 v0, 10, v0
	s_lshl_b32 s4, s34, 7
	v_or_b32_e32 v23, s31, v66
	s_mul_i32 s2, s4, s30
	v_lshlrev_b32_e32 v1, 4, v67
	v_lshlrev_b32_e32 v2, 6, v66
	s_mul_i32 s2, s2, s7
	v_and_b32_e32 v0, 0x3800, v0
	v_mul_lo_u32 v8, v23, s4
	s_ashr_i32 s3, s2, 31
	v_or_b32_e32 v3, 2, v23
	s_lshl_b64 s[2:3], s[2:3], 1
	v_or3_b32 v27, v0, v1, v2
	v_or_b32_e32 v11, 4, v23
	v_or_b32_e32 v18, 6, v23
	v_mul_lo_u32 v10, v3, s4
	v_ashrrev_i32_e32 v9, 31, v8
	ds_load_b128 v[0:3], v27
	ds_load_b128 v[4:7], v27 offset:128
	v_mul_lo_u32 v12, v11, s4
	s_waitcnt lgkmcnt(0)
	s_add_u32 s2, s0, s2
	s_addc_u32 s3, s1, s3
	s_lshl_b32 s0, s14, 7
	v_lshlrev_b64 v[8:9], 1, v[8:9]
	s_ashr_i32 s1, s0, 31
	v_ashrrev_i32_e32 v11, 31, v10
	s_lshl_b64 s[0:1], s[0:1], 1
	v_ashrrev_i32_e32 v13, 31, v12
	s_add_u32 s0, s2, s0
	s_addc_u32 s1, s3, s1
	v_add_co_u32 v30, s0, s0, v65
	s_delay_alu instid0(VALU_DEP_1) | instskip(SKIP_1) | instid1(VALU_DEP_3)
	v_add_co_ci_u32_e64 v31, null, s1, 0, s0
	v_lshlrev_b64 v[16:17], 1, v[10:11]
	v_add_co_u32 v14, vcc_lo, v30, v8
	s_delay_alu instid0(VALU_DEP_3)
	v_add_co_ci_u32_e32 v15, vcc_lo, v31, v9, vcc_lo
	ds_load_b128 v[8:11], v27 offset:256
	v_mul_lo_u32 v18, v18, s4
	v_or_b32_e32 v19, 8, v23
	v_add_co_u32 v16, vcc_lo, v30, v16
	global_store_b128 v[14:15], v[0:3], off
	v_lshlrev_b64 v[0:1], 1, v[12:13]
	v_add_co_ci_u32_e32 v17, vcc_lo, v31, v17, vcc_lo
	v_mul_lo_u32 v12, v19, s4
	v_ashrrev_i32_e32 v19, 31, v18
	v_or_b32_e32 v14, 10, v23
	global_store_b128 v[16:17], v[4:7], off
	v_add_co_u32 v4, vcc_lo, v30, v0
	v_add_co_ci_u32_e32 v5, vcc_lo, v31, v1, vcc_lo
	ds_load_b128 v[0:3], v27 offset:384
	v_ashrrev_i32_e32 v13, 31, v12
	v_lshlrev_b64 v[6:7], 1, v[18:19]
	v_mul_lo_u32 v14, v14, s4
	s_waitcnt lgkmcnt(1)
	global_store_b128 v[4:5], v[8:11], off
	v_or_b32_e32 v8, 12, v23
	v_lshlrev_b64 v[4:5], 1, v[12:13]
	v_add_co_u32 v20, vcc_lo, v30, v6
	v_or_b32_e32 v6, 14, v23
	v_ashrrev_i32_e32 v15, 31, v14
	v_mul_lo_u32 v22, v8, s4
	v_add_co_ci_u32_e32 v21, vcc_lo, v31, v7, vcc_lo
	v_add_co_u32 v24, vcc_lo, v30, v4
	v_mul_lo_u32 v26, v6, s4
	v_add_co_ci_u32_e32 v25, vcc_lo, v31, v5, vcc_lo
	v_lshlrev_b64 v[28:29], 1, v[14:15]
	ds_load_b128 v[4:7], v27 offset:512
	ds_load_b128 v[8:11], v27 offset:640
	;; [unrolled: 1-line block ×4, first 2 shown]
	v_ashrrev_i32_e32 v23, 31, v22
	v_ashrrev_i32_e32 v27, 31, v26
	v_add_co_u32 v28, vcc_lo, v30, v28
	s_delay_alu instid0(VALU_DEP_3) | instskip(SKIP_1) | instid1(VALU_DEP_4)
	v_lshlrev_b64 v[22:23], 1, v[22:23]
	v_add_co_ci_u32_e32 v29, vcc_lo, v31, v29, vcc_lo
	v_lshlrev_b64 v[26:27], 1, v[26:27]
	s_delay_alu instid0(VALU_DEP_3) | instskip(NEXT) | instid1(VALU_DEP_4)
	v_add_co_u32 v22, vcc_lo, v30, v22
	v_add_co_ci_u32_e32 v23, vcc_lo, v31, v23, vcc_lo
	s_delay_alu instid0(VALU_DEP_3) | instskip(NEXT) | instid1(VALU_DEP_4)
	v_add_co_u32 v26, vcc_lo, v30, v26
	v_add_co_ci_u32_e32 v27, vcc_lo, v31, v27, vcc_lo
	s_waitcnt lgkmcnt(4)
	global_store_b128 v[20:21], v[0:3], off
	s_waitcnt lgkmcnt(3)
	global_store_b128 v[24:25], v[4:7], off
	;; [unrolled: 2-line block ×5, first 2 shown]
	s_nop 0
	s_sendmsg sendmsg(MSG_DEALLOC_VGPRS)
	s_endpgm
	.section	.rodata,"a",@progbits
	.p2align	6, 0x0
	.amdhsa_kernel _Z39paged_attention_ll4mi_QKV_mfma16_kernelIDF16_hLN4vllm18Fp8KVCacheDataTypeE1EhLi32ELi128ELi256ELb1ELi16EL8MFMAType1EEvPKT_PKT0_S8_ifPKiSA_SA_iPKfiiiPfSD_PS3_PT2_iSC_SC_
		.amdhsa_group_segment_fixed_size 17472
		.amdhsa_private_segment_fixed_size 0
		.amdhsa_kernarg_size 400
		.amdhsa_user_sgpr_count 13
		.amdhsa_user_sgpr_dispatch_ptr 0
		.amdhsa_user_sgpr_queue_ptr 0
		.amdhsa_user_sgpr_kernarg_segment_ptr 1
		.amdhsa_user_sgpr_dispatch_id 0
		.amdhsa_user_sgpr_private_segment_size 0
		.amdhsa_wavefront_size32 1
		.amdhsa_uses_dynamic_stack 0
		.amdhsa_enable_private_segment 0
		.amdhsa_system_sgpr_workgroup_id_x 1
		.amdhsa_system_sgpr_workgroup_id_y 1
		.amdhsa_system_sgpr_workgroup_id_z 1
		.amdhsa_system_sgpr_workgroup_info 0
		.amdhsa_system_vgpr_workitem_id 0
		.amdhsa_next_free_vgpr 140
		.amdhsa_next_free_sgpr 37
		.amdhsa_reserve_vcc 1
		.amdhsa_float_round_mode_32 0
		.amdhsa_float_round_mode_16_64 0
		.amdhsa_float_denorm_mode_32 3
		.amdhsa_float_denorm_mode_16_64 3
		.amdhsa_dx10_clamp 1
		.amdhsa_ieee_mode 1
		.amdhsa_fp16_overflow 0
		.amdhsa_workgroup_processor_mode 1
		.amdhsa_memory_ordered 1
		.amdhsa_forward_progress 0
		.amdhsa_shared_vgpr_count 0
		.amdhsa_exception_fp_ieee_invalid_op 0
		.amdhsa_exception_fp_denorm_src 0
		.amdhsa_exception_fp_ieee_div_zero 0
		.amdhsa_exception_fp_ieee_overflow 0
		.amdhsa_exception_fp_ieee_underflow 0
		.amdhsa_exception_fp_ieee_inexact 0
		.amdhsa_exception_int_div_zero 0
	.end_amdhsa_kernel
	.section	.text._Z39paged_attention_ll4mi_QKV_mfma16_kernelIDF16_hLN4vllm18Fp8KVCacheDataTypeE1EhLi32ELi128ELi256ELb1ELi16EL8MFMAType1EEvPKT_PKT0_S8_ifPKiSA_SA_iPKfiiiPfSD_PS3_PT2_iSC_SC_,"axG",@progbits,_Z39paged_attention_ll4mi_QKV_mfma16_kernelIDF16_hLN4vllm18Fp8KVCacheDataTypeE1EhLi32ELi128ELi256ELb1ELi16EL8MFMAType1EEvPKT_PKT0_S8_ifPKiSA_SA_iPKfiiiPfSD_PS3_PT2_iSC_SC_,comdat
.Lfunc_end1025:
	.size	_Z39paged_attention_ll4mi_QKV_mfma16_kernelIDF16_hLN4vllm18Fp8KVCacheDataTypeE1EhLi32ELi128ELi256ELb1ELi16EL8MFMAType1EEvPKT_PKT0_S8_ifPKiSA_SA_iPKfiiiPfSD_PS3_PT2_iSC_SC_, .Lfunc_end1025-_Z39paged_attention_ll4mi_QKV_mfma16_kernelIDF16_hLN4vllm18Fp8KVCacheDataTypeE1EhLi32ELi128ELi256ELb1ELi16EL8MFMAType1EEvPKT_PKT0_S8_ifPKiSA_SA_iPKfiiiPfSD_PS3_PT2_iSC_SC_
                                        ; -- End function
	.section	.AMDGPU.csdata,"",@progbits
; Kernel info:
; codeLenInByte = 6864
; NumSgprs: 39
; NumVgprs: 140
; ScratchSize: 0
; MemoryBound: 0
; FloatMode: 240
; IeeeMode: 1
; LDSByteSize: 17472 bytes/workgroup (compile time only)
; SGPRBlocks: 4
; VGPRBlocks: 17
; NumSGPRsForWavesPerEU: 39
; NumVGPRsForWavesPerEU: 140
; Occupancy: 10
; WaveLimiterHint : 1
; COMPUTE_PGM_RSRC2:SCRATCH_EN: 0
; COMPUTE_PGM_RSRC2:USER_SGPR: 13
; COMPUTE_PGM_RSRC2:TRAP_HANDLER: 0
; COMPUTE_PGM_RSRC2:TGID_X_EN: 1
; COMPUTE_PGM_RSRC2:TGID_Y_EN: 1
; COMPUTE_PGM_RSRC2:TGID_Z_EN: 1
; COMPUTE_PGM_RSRC2:TIDIG_COMP_CNT: 0
	.section	.text._Z39paged_attention_ll4mi_QKV_mfma16_kernelIDF16_hLN4vllm18Fp8KVCacheDataTypeE1EhLi32ELi128ELi256ELb1ELi1EL8MFMAType1EEvPKT_PKT0_S8_ifPKiSA_SA_iPKfiiiPfSD_PS3_PT2_iSC_SC_,"axG",@progbits,_Z39paged_attention_ll4mi_QKV_mfma16_kernelIDF16_hLN4vllm18Fp8KVCacheDataTypeE1EhLi32ELi128ELi256ELb1ELi1EL8MFMAType1EEvPKT_PKT0_S8_ifPKiSA_SA_iPKfiiiPfSD_PS3_PT2_iSC_SC_,comdat
	.protected	_Z39paged_attention_ll4mi_QKV_mfma16_kernelIDF16_hLN4vllm18Fp8KVCacheDataTypeE1EhLi32ELi128ELi256ELb1ELi1EL8MFMAType1EEvPKT_PKT0_S8_ifPKiSA_SA_iPKfiiiPfSD_PS3_PT2_iSC_SC_ ; -- Begin function _Z39paged_attention_ll4mi_QKV_mfma16_kernelIDF16_hLN4vllm18Fp8KVCacheDataTypeE1EhLi32ELi128ELi256ELb1ELi1EL8MFMAType1EEvPKT_PKT0_S8_ifPKiSA_SA_iPKfiiiPfSD_PS3_PT2_iSC_SC_
	.globl	_Z39paged_attention_ll4mi_QKV_mfma16_kernelIDF16_hLN4vllm18Fp8KVCacheDataTypeE1EhLi32ELi128ELi256ELb1ELi1EL8MFMAType1EEvPKT_PKT0_S8_ifPKiSA_SA_iPKfiiiPfSD_PS3_PT2_iSC_SC_
	.p2align	8
	.type	_Z39paged_attention_ll4mi_QKV_mfma16_kernelIDF16_hLN4vllm18Fp8KVCacheDataTypeE1EhLi32ELi128ELi256ELb1ELi1EL8MFMAType1EEvPKT_PKT0_S8_ifPKiSA_SA_iPKfiiiPfSD_PS3_PT2_iSC_SC_,@function
_Z39paged_attention_ll4mi_QKV_mfma16_kernelIDF16_hLN4vllm18Fp8KVCacheDataTypeE1EhLi32ELi128ELi256ELb1ELi1EL8MFMAType1EEvPKT_PKT0_S8_ifPKiSA_SA_iPKfiiiPfSD_PS3_PT2_iSC_SC_: ; @_Z39paged_attention_ll4mi_QKV_mfma16_kernelIDF16_hLN4vllm18Fp8KVCacheDataTypeE1EhLi32ELi128ELi256ELb1ELi1EL8MFMAType1EEvPKT_PKT0_S8_ifPKiSA_SA_iPKfiiiPfSD_PS3_PT2_iSC_SC_
; %bb.0:
	s_load_b64 s[4:5], s[0:1], 0x30
	s_mov_b32 s34, s13
	s_waitcnt lgkmcnt(0)
	s_cmp_lg_u64 s[4:5], 0
	s_cselect_b32 s6, -1, 0
	s_ashr_i32 s35, s13, 31
	s_cmp_eq_u64 s[4:5], 0
	s_cbranch_scc1 .LBB1026_3
; %bb.1:
	s_lshl_b64 s[2:3], s[34:35], 2
	s_delay_alu instid0(SALU_CYCLE_1) | instskip(SKIP_4) | instid1(SALU_CYCLE_1)
	s_add_u32 s2, s4, s2
	s_addc_u32 s3, s5, s3
	s_load_b64 s[2:3], s[2:3], 0x0
	s_waitcnt lgkmcnt(0)
	s_sub_i32 s2, s3, s2
	s_cmp_eq_u32 s2, 1
	s_cselect_b32 s2, -1, 0
	s_delay_alu instid0(SALU_CYCLE_1)
	s_and_not1_b32 vcc_lo, exec_lo, s2
	s_cbranch_vccz .LBB1026_4
.LBB1026_2:
	s_endpgm
.LBB1026_3:
.LBB1026_4:
	s_load_b64 s[2:3], s[0:1], 0x28
	s_lshl_b64 s[8:9], s[34:35], 2
	s_waitcnt lgkmcnt(0)
	s_add_u32 s2, s2, s8
	s_addc_u32 s3, s3, s9
	s_lshl_b32 s12, s14, 8
	s_load_b32 s33, s[2:3], 0x0
	s_waitcnt lgkmcnt(0)
	s_cmp_ge_i32 s12, s33
	s_cbranch_scc1 .LBB1026_2
; %bb.5:
	s_clause 0x1
	s_load_b128 s[56:59], s[0:1], 0x8
	s_load_b64 s[2:3], s[0:1], 0x20
	s_and_not1_b32 vcc_lo, exec_lo, s6
	s_mov_b64 s[6:7], s[34:35]
	s_cbranch_vccnz .LBB1026_7
; %bb.6:
	s_add_u32 s4, s4, s8
	s_addc_u32 s5, s5, s9
	s_load_b32 s6, s[4:5], 0x0
.LBB1026_7:
	s_load_b128 s[52:55], s[0:1], 0x48
	v_and_b32_e32 v65, 15, v0
	s_mov_b32 s13, exec_lo
                                        ; implicit-def: $sgpr36
                                        ; implicit-def: $sgpr24
                                        ; implicit-def: $sgpr16
                                        ; implicit-def: $sgpr4
	s_delay_alu instid0(VALU_DEP_1)
	v_cmpx_eq_u32_e32 0, v65
	s_cbranch_execz .LBB1026_9
; %bb.8:
	s_load_b64 s[4:5], s[0:1], 0x0
	s_waitcnt lgkmcnt(0)
	s_mul_hi_i32 s7, s6, s52
	s_mul_i32 s6, s6, s52
	s_delay_alu instid0(SALU_CYCLE_1) | instskip(NEXT) | instid1(SALU_CYCLE_1)
	s_lshl_b64 s[6:7], s[6:7], 1
	s_add_u32 s6, s4, s6
	s_addc_u32 s7, s5, s7
	s_lshl_b32 s4, s15, 7
	s_delay_alu instid0(SALU_CYCLE_1) | instskip(NEXT) | instid1(SALU_CYCLE_1)
	s_ashr_i32 s5, s4, 31
	s_lshl_b64 s[4:5], s[4:5], 1
	s_delay_alu instid0(SALU_CYCLE_1)
	s_add_u32 s4, s6, s4
	s_addc_u32 s5, s7, s5
	s_clause 0x3
	s_load_b256 s[36:43], s[4:5], 0x0
	s_load_b256 s[24:31], s[4:5], 0x40
	;; [unrolled: 1-line block ×4, first 2 shown]
.LBB1026_9:
	s_or_b32 exec_lo, exec_lo, s13
	v_and_b32_e32 v1, 0xef, v0
	s_add_i32 s13, s33, 31
	s_load_b32 s44, s[0:1], 0x38
	s_ashr_i32 s35, s13, 31
	s_waitcnt lgkmcnt(0)
	s_mul_i32 s62, s15, s54
	v_add_nc_u32_e32 v1, s12, v1
	s_lshr_b32 s35, s35, 27
	v_lshlrev_b32_e32 v73, 4, v65
	s_add_i32 s13, s13, s35
	s_load_b32 s35, s[0:1], 0x1c
	v_ashrrev_i32_e32 v2, 31, v1
	v_or_b32_e32 v3, 16, v1
	s_ashr_i32 s13, s13, 5
	v_cmp_gt_i32_e32 vcc_lo, s33, v1
	s_add_i32 s13, s13, -1
	v_lshrrev_b32_e32 v2, 27, v2
	v_dual_mov_b32 v105, s31 :: v_dual_mov_b32 v100, s26
	v_dual_mov_b32 v103, s29 :: v_dual_mov_b32 v98, s24
	s_delay_alu instid0(VALU_DEP_3) | instskip(SKIP_3) | instid1(VALU_DEP_2)
	v_dual_mov_b32 v101, s27 :: v_dual_add_nc_u32 v4, v1, v2
	s_mul_i32 s44, s34, s44
	v_mov_b32_e32 v99, s25
	s_ashr_i32 s45, s44, 31
	v_ashrrev_i32_e32 v4, 5, v4
	v_add_nc_u32_e32 v2, v3, v2
	s_lshl_b64 s[44:45], s[44:45], 2
	v_dual_mov_b32 v113, s23 :: v_dual_mov_b32 v106, s16
	s_delay_alu instid0(VALU_DEP_3) | instskip(NEXT) | instid1(VALU_DEP_3)
	v_cndmask_b32_e32 v1, s13, v4, vcc_lo
	v_ashrrev_i32_e32 v2, 5, v2
	v_cmp_gt_i32_e32 vcc_lo, s33, v3
	s_add_u32 s61, s2, s44
	s_addc_u32 s60, s3, s45
	s_ashr_i32 s63, s62, 31
	s_add_u32 s44, s56, s62
	v_cndmask_b32_e32 v3, s13, v2, vcc_lo
	v_ashrrev_i32_e32 v2, 31, v1
	s_addc_u32 s45, s57, s63
	s_lshl_b32 s2, s14, 3
	v_dual_mov_b32 v108, s18 :: v_dual_lshlrev_b32 v41, 5, v65
	v_ashrrev_i32_e32 v4, 31, v3
	v_lshlrev_b64 v[1:2], 2, v[1:2]
	s_ashr_i32 s3, s2, 31
	v_mov_b32_e32 v112, s22
	s_lshl_b64 s[2:3], s[2:3], 2
	v_lshlrev_b64 v[3:4], 2, v[3:4]
	s_add_u32 s2, s61, s2
	v_add_co_u32 v1, vcc_lo, s61, v1
	v_add_co_ci_u32_e32 v2, vcc_lo, s60, v2, vcc_lo
	s_delay_alu instid0(VALU_DEP_3) | instskip(NEXT) | instid1(VALU_DEP_4)
	v_add_co_u32 v3, vcc_lo, s61, v3
	v_add_co_ci_u32_e32 v4, vcc_lo, s60, v4, vcc_lo
	s_clause 0x1
	global_load_b32 v5, v[1:2], off
	global_load_b32 v6, v[3:4], off
	s_addc_u32 s3, s60, s3
	s_or_b32 s46, s12, 32
	v_mov_b32_e32 v110, s20
	s_ashr_i32 s47, s46, 5
	s_cmp_lt_i32 s46, s33
	v_lshrrev_b32_e32 v66, 5, v0
	s_cselect_b32 s46, s47, s13
	v_mov_b32_e32 v104, s30
	s_ashr_i32 s47, s46, 31
	v_mov_b32_e32 v102, s28
	s_lshl_b64 s[46:47], s[46:47], 2
	v_lshl_or_b32 v41, v66, 9, v41
	s_add_u32 s46, s61, s46
	s_addc_u32 s47, s60, s47
	s_or_b32 s48, s12, 64
	s_delay_alu instid0(SALU_CYCLE_1) | instskip(SKIP_2) | instid1(SALU_CYCLE_1)
	s_ashr_i32 s49, s48, 5
	s_cmp_lt_i32 s48, s33
	s_cselect_b32 s48, s49, s13
	s_ashr_i32 s49, s48, 31
	s_delay_alu instid0(SALU_CYCLE_1) | instskip(NEXT) | instid1(SALU_CYCLE_1)
	s_lshl_b64 s[48:49], s[48:49], 2
	s_add_u32 s48, s61, s48
	s_addc_u32 s49, s60, s49
	s_or_b32 s50, s12, 0x60
	s_delay_alu instid0(SALU_CYCLE_1) | instskip(SKIP_2) | instid1(SALU_CYCLE_1)
	s_ashr_i32 s51, s50, 5
	s_cmp_lt_i32 s50, s33
	s_cselect_b32 s50, s51, s13
	s_ashr_i32 s51, s50, 31
	s_delay_alu instid0(SALU_CYCLE_1) | instskip(NEXT) | instid1(SALU_CYCLE_1)
	s_lshl_b64 s[50:51], s[50:51], 2
	;; [unrolled: 10-line block ×4, first 2 shown]
	s_add_u32 s66, s61, s54
	s_addc_u32 s67, s60, s55
	s_clause 0x5
	s_load_b32 s56, s[2:3], 0x0
	s_load_b32 s3, s[46:47], 0x0
	;; [unrolled: 1-line block ×6, first 2 shown]
	s_or_b32 s24, s12, 0xc0
	s_delay_alu instid0(SALU_CYCLE_1)
	s_ashr_i32 s25, s24, 5
	s_cmp_lt_i32 s24, s33
	s_waitcnt vmcnt(1)
	v_mad_i64_i32 v[1:2], null, v5, s53, s[44:45]
	s_waitcnt vmcnt(0)
	v_mad_i64_i32 v[3:4], null, v6, s53, s[44:45]
	s_mov_b32 s44, 0
	s_delay_alu instid0(SALU_CYCLE_1) | instskip(SKIP_1) | instid1(VALU_DEP_2)
	s_mov_b32 s45, s44
	s_mov_b32 s46, s44
	v_add_co_u32 v33, vcc_lo, v1, v73
	s_delay_alu instid0(VALU_DEP_3) | instskip(NEXT) | instid1(VALU_DEP_3)
	v_add_co_ci_u32_e32 v34, vcc_lo, 0, v2, vcc_lo
	v_add_co_u32 v35, vcc_lo, v3, v73
	s_delay_alu instid0(VALU_DEP_4)
	v_add_co_ci_u32_e32 v36, vcc_lo, 0, v4, vcc_lo
	s_clause 0xf
	global_load_b128 v[1:4], v[33:34], off
	global_load_b128 v[5:8], v[33:34], off offset:512
	global_load_b128 v[9:12], v[35:36], off offset:256
	;; [unrolled: 1-line block ×15, first 2 shown]
	v_mov_b32_e32 v33, s36
	v_mov_b32_e32 v37, s40
	;; [unrolled: 1-line block ×3, first 2 shown]
	s_mov_b32 s47, s44
	s_mov_b32 s48, s44
	;; [unrolled: 1-line block ×5, first 2 shown]
	v_mov_b32_e32 v111, s21
	v_mov_b32_e32 v109, s19
	;; [unrolled: 1-line block ×3, first 2 shown]
	s_cselect_b32 s16, s25, s13
	v_dual_mov_b32 v121, s51 :: v_dual_mov_b32 v114, s44
	s_ashr_i32 s17, s16, 31
	v_mov_b32_e32 v34, s37
	s_lshl_b64 s[16:17], s[16:17], 2
	v_dual_mov_b32 v35, s38 :: v_dual_mov_b32 v40, s43
	s_add_u32 s16, s61, s16
	s_addc_u32 s17, s60, s17
	s_or_b32 s18, s12, 0xe0
	v_mov_b32_e32 v36, s39
	s_ashr_i32 s19, s18, 5
	s_cmp_lt_i32 s18, s33
	v_mov_b32_e32 v38, s41
	s_cselect_b32 s18, s19, s13
	v_mov_b32_e32 v120, s50
	s_ashr_i32 s19, s18, 31
	v_mov_b32_e32 v119, s49
	s_lshl_b64 s[18:19], s[18:19], 2
	v_mov_b32_e32 v118, s48
	s_add_u32 s18, s61, s18
	s_addc_u32 s19, s60, s19
	s_add_u32 s13, s58, s62
	s_addc_u32 s20, s59, s63
	v_add_co_u32 v67, s13, s13, v41
	s_delay_alu instid0(VALU_DEP_1)
	v_add_co_ci_u32_e64 v68, null, s20, 0, s13
	s_clause 0x1
	s_load_b32 s13, s[16:17], 0x0
	s_load_b32 s16, s[18:19], 0x0
	v_dual_mov_b32 v117, s47 :: v_dual_mov_b32 v116, s46
	s_waitcnt lgkmcnt(0)
	v_mad_i64_i32 v[41:42], null, s56, s53, v[67:68]
	v_mad_i64_i32 v[71:72], null, s54, s53, v[67:68]
	v_mov_b32_e32 v115, s45
	v_mad_i64_i32 v[45:46], null, s3, s53, v[67:68]
	v_mad_i64_i32 v[69:70], null, s52, s53, v[67:68]
	;; [unrolled: 1-line block ×4, first 2 shown]
	s_waitcnt vmcnt(14)
	v_wmma_f32_16x16x16_f16 v[122:129], v[1:8], v[33:40], v[114:121]
	s_waitcnt vmcnt(12)
	v_wmma_f32_16x16x16_f16 v[114:121], v[9:16], v[33:40], v[114:121]
	s_clause 0x7
	global_load_b128 v[49:52], v[41:42], off
	global_load_b128 v[53:56], v[41:42], off offset:16
	global_load_b128 v[41:44], v[45:46], off
	global_load_b128 v[45:48], v[45:46], off offset:16
	;; [unrolled: 2-line block ×4, first 2 shown]
	v_mad_i64_i32 v[71:72], null, s13, s53, v[67:68]
	v_mad_i64_i32 v[69:70], null, s2, s53, v[67:68]
	s_waitcnt vmcnt(18)
	v_wmma_f32_16x16x16_f16 v[122:129], v[17:24], v[98:105], v[122:129]
	s_waitcnt vmcnt(16)
	v_wmma_f32_16x16x16_f16 v[114:121], v[25:32], v[98:105], v[114:121]
	s_clause 0x3
	global_load_b128 v[9:12], v[130:131], off
	global_load_b128 v[13:16], v[130:131], off offset:16
	global_load_b128 v[17:20], v[69:70], off
	global_load_b128 v[21:24], v[69:70], off offset:16
	s_waitcnt vmcnt(18)
	v_wmma_f32_16x16x16_f16 v[122:129], v[57:64], v[106:113], v[122:129]
	s_clause 0x3
	global_load_b128 v[25:28], v[71:72], off
	global_load_b128 v[29:32], v[71:72], off offset:16
	global_load_b128 v[57:60], v[132:133], off
	global_load_b128 v[61:64], v[132:133], off offset:16
	v_mbcnt_lo_u32_b32 v68, -1, 0
	v_and_b32_e32 v67, 0xe0, v0
	v_mov_b32_e32 v105, s11
	s_waitcnt vmcnt(20)
	v_wmma_f32_16x16x16_f16 v[114:121], v[74:81], v[106:113], v[114:121]
	v_bfe_u32 v74, v0, 4, 1
	v_xor_b32_e32 v69, 16, v68
	v_mov_b32_e32 v98, s4
	v_dual_mov_b32 v104, s10 :: v_dual_mov_b32 v103, s9
	v_mov_b32_e32 v102, s8
	s_delay_alu instid0(VALU_DEP_4) | instskip(SKIP_3) | instid1(VALU_DEP_3)
	v_cmp_gt_i32_e32 vcc_lo, 32, v69
	v_add_nc_u32_e32 v67, s12, v67
	v_dual_mov_b32 v101, s7 :: v_dual_mov_b32 v100, s6
	v_dual_mov_b32 v99, s5 :: v_dual_cndmask_b32 v68, v68, v69
	v_or_b32_e32 v67, v67, v74
	s_waitcnt vmcnt(0)
	s_barrier
	s_delay_alu instid0(VALU_DEP_2)
	v_wmma_f32_16x16x16_f16 v[122:129], v[82:89], v[98:105], v[122:129]
	buffer_gl0_inv
	v_or_b32_e32 v69, 2, v67
	v_or_b32_e32 v70, 4, v67
	v_or_b32_e32 v71, 6, v67
	v_mul_f32_e32 v86, s35, v129
	v_mul_f32_e32 v88, s35, v127
	v_wmma_f32_16x16x16_f16 v[114:121], v[90:97], v[98:105], v[114:121]
	v_dual_mul_f32 v92, s35, v123 :: v_dual_mul_f32 v93, s35, v122
	v_cmp_gt_i32_e32 vcc_lo, s33, v69
	v_cmp_gt_i32_e64 s2, s33, v67
	v_or_b32_e32 v72, 8, v67
	v_or_b32_e32 v75, 10, v67
	v_dual_mul_f32 v90, s35, v125 :: v_dual_mul_f32 v91, s35, v124
	v_mul_f32_e32 v98, s35, v117
	v_cndmask_b32_e64 v93, 0xff7fffff, v93, s2
	v_cndmask_b32_e32 v92, 0xff7fffff, v92, vcc_lo
	v_cmp_gt_i32_e64 s3, s33, v70
	v_cmp_gt_i32_e64 s4, s33, v71
	v_or_b32_e32 v76, 12, v67
	v_or_b32_e32 v77, 14, v67
	v_dual_mul_f32 v89, s35, v126 :: v_dual_mul_f32 v96, s35, v119
	v_cndmask_b32_e64 v70, 0xff7fffff, v91, s3
	v_cndmask_b32_e64 v71, 0xff7fffff, v90, s4
	v_max3_f32 v90, v93, 0xff7fffff, v92
	v_cmp_gt_i32_e64 s5, s33, v72
	v_cmp_gt_i32_e64 s6, s33, v75
	v_or_b32_e32 v78, 16, v67
	v_or_b32_e32 v79, 18, v67
	v_dual_mul_f32 v87, s35, v128 :: v_dual_mul_f32 v94, s35, v121
	v_cndmask_b32_e64 v72, 0xff7fffff, v89, s5
	v_cndmask_b32_e64 v75, 0xff7fffff, v88, s6
	v_max3_f32 v70, v90, v70, v71
	v_cmp_gt_i32_e64 s7, s33, v76
	v_cmp_gt_i32_e64 s8, s33, v77
	v_or_b32_e32 v80, 20, v67
	v_or_b32_e32 v81, 22, v67
	;; [unrolled: 1-line block ×6, first 2 shown]
	v_mul_f32_e32 v69, s35, v115
	v_mul_f32_e32 v67, s35, v114
	v_cndmask_b32_e64 v71, 0xff7fffff, v87, s7
	v_cndmask_b32_e64 v76, 0xff7fffff, v86, s8
	v_max3_f32 v70, v70, v72, v75
	v_cmp_gt_i32_e64 s9, s33, v78
	v_cmp_gt_i32_e64 s10, s33, v79
	v_mul_f32_e32 v99, s35, v116
	v_cmp_gt_i32_e64 s11, s33, v80
	v_max3_f32 v70, v70, v71, v76
	v_cndmask_b32_e64 v67, 0xff7fffff, v67, s9
	v_cndmask_b32_e64 v69, 0xff7fffff, v69, s10
	v_cmp_gt_i32_e64 s12, s33, v81
	v_mul_f32_e32 v97, s35, v118
	v_cndmask_b32_e64 v71, 0xff7fffff, v99, s11
	v_cmp_gt_i32_e64 s13, s33, v82
	v_max3_f32 v67, v70, v67, v69
	v_cndmask_b32_e64 v72, 0xff7fffff, v98, s12
	v_cmp_gt_i32_e64 s16, s33, v83
	v_mul_f32_e32 v95, s35, v120
	v_cndmask_b32_e64 v69, 0xff7fffff, v97, s13
	v_cmp_gt_i32_e64 s17, s33, v84
	v_max3_f32 v67, v67, v71, v72
	v_cndmask_b32_e64 v70, 0xff7fffff, v96, s16
	v_cmp_gt_i32_e64 s18, s33, v85
	v_lshlrev_b32_e32 v75, 2, v68
	v_cndmask_b32_e64 v71, 0xff7fffff, v95, s17
	s_delay_alu instid0(VALU_DEP_4) | instskip(NEXT) | instid1(VALU_DEP_4)
	v_max3_f32 v67, v67, v69, v70
	v_cndmask_b32_e64 v72, 0xff7fffff, v94, s18
	s_delay_alu instid0(VALU_DEP_1) | instskip(SKIP_3) | instid1(VALU_DEP_1)
	v_max3_f32 v67, v67, v71, v72
	ds_bpermute_b32 v68, v75, v67
	s_waitcnt lgkmcnt(0)
	v_max_f32_e32 v68, v68, v68
	v_max_f32_e32 v67, v67, v68
	s_delay_alu instid0(VALU_DEP_1) | instskip(SKIP_4) | instid1(VALU_DEP_4)
	v_fma_f32 v68, s35, v122, -v67
	v_fma_f32 v69, s35, v123, -v67
	;; [unrolled: 1-line block ×5, first 2 shown]
	v_dual_mul_f32 v68, 0x3fb8aa3b, v68 :: v_dual_mul_f32 v69, 0x3fb8aa3b, v69
	s_delay_alu instid0(VALU_DEP_4) | instskip(NEXT) | instid1(VALU_DEP_3)
	v_mul_f32_e32 v72, 0x3fb8aa3b, v72
	v_dual_mul_f32 v70, 0x3fb8aa3b, v70 :: v_dual_mul_f32 v71, 0x3fb8aa3b, v71
	s_delay_alu instid0(VALU_DEP_3) | instskip(NEXT) | instid1(VALU_DEP_3)
	v_exp_f32_e32 v68, v68
	v_exp_f32_e32 v69, v69
	s_delay_alu instid0(VALU_DEP_2) | instskip(NEXT) | instid1(VALU_DEP_1)
	v_exp_f32_e32 v79, v72
	v_exp_f32_e32 v76, v70
	;; [unrolled: 1-line block ×3, first 2 shown]
	v_cndmask_b32_e64 v70, 0, v68, s2
	s_delay_alu instid0(TRANS32_DEP_3)
	v_cndmask_b32_e64 v83, 0, v79, s5
	v_cndmask_b32_e32 v69, 0, v69, vcc_lo
	s_waitcnt_depctr 0xfff
	v_cndmask_b32_e64 v72, 0, v76, s3
	v_add_f32_e32 v77, 0, v70
	v_cndmask_b32_e64 v71, 0, v71, s4
	s_mov_b32 s3, exec_lo
	s_delay_alu instid0(VALU_DEP_2) | instskip(NEXT) | instid1(VALU_DEP_1)
	v_add_f32_e32 v76, v77, v69
	v_add_f32_e32 v76, v76, v72
	s_delay_alu instid0(VALU_DEP_1)
	v_add_f32_e32 v76, v76, v71
	v_fma_f32 v68, s35, v127, -v67
	v_fma_f32 v78, s35, v128, -v67
	;; [unrolled: 1-line block ×5, first 2 shown]
	v_mul_f32_e32 v68, 0x3fb8aa3b, v68
	v_mul_f32_e32 v78, 0x3fb8aa3b, v78
	s_delay_alu instid0(VALU_DEP_4) | instskip(NEXT) | instid1(VALU_DEP_3)
	v_mul_f32_e32 v80, 0x3fb8aa3b, v80
	v_exp_f32_e32 v68, v68
	s_delay_alu instid0(VALU_DEP_2) | instskip(NEXT) | instid1(VALU_DEP_1)
	v_exp_f32_e32 v78, v78
	v_exp_f32_e32 v80, v80
	s_delay_alu instid0(TRANS32_DEP_3)
	v_cndmask_b32_e64 v82, 0, v68, s6
	v_add_f32_e32 v68, v76, v83
	v_fma_f32 v76, s35, v116, -v67
	v_mul_f32_e32 v77, 0x3fb8aa3b, v77
	s_waitcnt_depctr 0xfff
	v_cndmask_b32_e64 v85, 0, v78, s7
	v_fma_f32 v78, s35, v117, -v67
	v_add_f32_e32 v68, v68, v82
	v_mul_f32_e32 v76, 0x3fb8aa3b, v76
	v_exp_f32_e32 v77, v77
	v_mul_f32_e32 v79, 0x3fb8aa3b, v79
	v_cndmask_b32_e64 v87, 0, v80, s9
	v_add_f32_e32 v68, v68, v85
	v_exp_f32_e32 v76, v76
	v_fma_f32 v80, s35, v119, -v67
	v_exp_f32_e32 v79, v79
	s_delay_alu instid0(TRANS32_DEP_3) | instskip(SKIP_3) | instid1(TRANS32_DEP_2)
	v_cndmask_b32_e64 v84, 0, v77, s8
	v_fma_f32 v77, s35, v118, -v67
	v_mul_f32_e32 v78, 0x3fb8aa3b, v78
	v_mul_f32_e32 v80, 0x3fb8aa3b, v80
	v_cndmask_b32_e64 v89, 0, v76, s11
	s_delay_alu instid0(VALU_DEP_4) | instskip(NEXT) | instid1(VALU_DEP_4)
	v_mul_f32_e32 v77, 0x3fb8aa3b, v77
	v_exp_f32_e32 v78, v78
	s_delay_alu instid0(TRANS32_DEP_2) | instskip(SKIP_1) | instid1(VALU_DEP_3)
	v_cndmask_b32_e64 v86, 0, v79, s10
	v_fma_f32 v79, s35, v120, -v67
	v_exp_f32_e32 v77, v77
	s_delay_alu instid0(VALU_DEP_1) | instskip(SKIP_1) | instid1(TRANS32_DEP_3)
	v_mul_f32_e32 v76, 0x3fb8aa3b, v79
	v_exp_f32_e32 v79, v80
	v_cndmask_b32_e64 v88, 0, v78, s12
	v_fma_f32 v78, s35, v121, -v67
	v_add_f32_e32 v68, v68, v84
	v_exp_f32_e32 v76, v76
	s_delay_alu instid0(TRANS32_DEP_3) | instskip(NEXT) | instid1(VALU_DEP_2)
	v_cndmask_b32_e64 v91, 0, v77, s13
	v_dual_mul_f32 v77, 0x3fb8aa3b, v78 :: v_dual_add_f32 v68, v68, v87
	s_delay_alu instid0(TRANS32_DEP_2) | instskip(NEXT) | instid1(VALU_DEP_2)
	v_cndmask_b32_e64 v90, 0, v79, s16
	v_exp_f32_e32 v77, v77
	s_delay_alu instid0(VALU_DEP_2) | instskip(SKIP_4) | instid1(VALU_DEP_2)
	v_add_f32_e32 v68, v68, v86
	s_waitcnt_depctr 0xfff
	v_cndmask_b32_e64 v93, 0, v76, s17
	v_and_b32_e32 v76, 31, v0
	v_add_f32_e32 v68, v68, v89
	v_cmp_lt_u32_e64 s2, 15, v76
	v_cndmask_b32_e64 v92, 0, v77, s18
	s_delay_alu instid0(VALU_DEP_3) | instskip(NEXT) | instid1(VALU_DEP_1)
	v_add_f32_e32 v68, v68, v88
	v_add_f32_e32 v68, v68, v91
	s_delay_alu instid0(VALU_DEP_1) | instskip(NEXT) | instid1(VALU_DEP_1)
	v_add_f32_e32 v68, v68, v90
	v_add_f32_e32 v68, v68, v93
	s_delay_alu instid0(VALU_DEP_1)
	v_add_f32_e32 v68, v68, v92
	ds_bpermute_b32 v75, v75, v68
	v_cmpx_gt_u32_e32 16, v76
	s_cbranch_execz .LBB1026_11
; %bb.10:
	v_mul_u32_u24_e32 v76, 0x44, v66
	s_delay_alu instid0(VALU_DEP_1) | instskip(SKIP_1) | instid1(VALU_DEP_1)
	v_lshl_add_u32 v76, v65, 2, v76
	s_waitcnt lgkmcnt(0)
	v_dual_add_f32 v68, v68, v75 :: v_dual_add_nc_u32 v75, 0x4000, v76
	ds_store_2addr_b32 v75, v67, v68 offset1:136
.LBB1026_11:
	s_or_b32 exec_lo, exec_lo, s3
	v_lshlrev_b32_e32 v67, 2, v65
	s_load_b64 s[36:37], s[0:1], 0x94
	s_waitcnt lgkmcnt(0)
	s_barrier
	buffer_gl0_inv
	v_add_nc_u32_e32 v81, 0x4000, v67
	v_cmp_eq_u32_e32 vcc_lo, 1, v66
	v_cmp_eq_u32_e64 s3, 2, v66
	v_cmp_eq_u32_e64 s5, 3, v66
	;; [unrolled: 1-line block ×3, first 2 shown]
	ds_load_2addr_b32 v[75:76], v81 offset1:17
	ds_load_2addr_b32 v[77:78], v81 offset0:34 offset1:51
	ds_load_2addr_b32 v[79:80], v81 offset0:68 offset1:85
	;; [unrolled: 1-line block ×4, first 2 shown]
	v_cmp_eq_u32_e64 s7, 5, v66
	v_cmp_eq_u32_e64 s4, 6, v66
	s_waitcnt lgkmcnt(4)
	v_max3_f32 v67, v75, 0xff7fffff, v76
	s_waitcnt lgkmcnt(3)
	s_delay_alu instid0(VALU_DEP_1) | instskip(SKIP_1) | instid1(VALU_DEP_1)
	v_max3_f32 v67, v67, v77, v78
	s_waitcnt lgkmcnt(2)
	v_max3_f32 v67, v67, v79, v80
	s_waitcnt lgkmcnt(1)
	s_delay_alu instid0(VALU_DEP_1) | instskip(NEXT) | instid1(VALU_DEP_1)
	v_max3_f32 v67, v67, v94, v95
	v_sub_f32_e32 v68, v75, v67
	s_delay_alu instid0(VALU_DEP_1) | instskip(NEXT) | instid1(VALU_DEP_1)
	v_dual_sub_f32 v79, v79, v67 :: v_dual_mul_f32 v68, 0x3fb8aa3b, v68
	v_mul_f32_e32 v102, 0x3fb8aa3b, v79
	s_delay_alu instid0(VALU_DEP_2) | instskip(SKIP_1) | instid1(VALU_DEP_1)
	v_exp_f32_e32 v99, v68
	v_sub_f32_e32 v68, v78, v67
	v_dual_sub_f32 v98, v76, v67 :: v_dual_mul_f32 v101, 0x3fb8aa3b, v68
	s_delay_alu instid0(VALU_DEP_1)
	v_dual_sub_f32 v77, v77, v67 :: v_dual_mul_f32 v98, 0x3fb8aa3b, v98
	s_waitcnt lgkmcnt(0)
	s_waitcnt_depctr 0xfff
	v_fma_f32 v68, v99, v96, 0
	v_sub_f32_e32 v96, v80, v67
	v_mul_f32_e32 v100, 0x3fb8aa3b, v77
	v_exp_f32_e32 v98, v98
	v_exp_f32_e32 v101, v101
	s_delay_alu instid0(VALU_DEP_1) | instskip(NEXT) | instid1(TRANS32_DEP_3)
	v_exp_f32_e32 v100, v100
	v_fmac_f32_e32 v68, v98, v97
	ds_load_2addr_b32 v[75:76], v81 offset0:170 offset1:187
	ds_load_2addr_b32 v[77:78], v81 offset0:204 offset1:221
	;; [unrolled: 1-line block ×3, first 2 shown]
	v_dual_sub_f32 v81, v94, v67 :: v_dual_mul_f32 v94, 0x3fb8aa3b, v96
	v_exp_f32_e32 v96, v102
	s_waitcnt lgkmcnt(0)
	s_barrier
	s_delay_alu instid0(VALU_DEP_1)
	v_mul_f32_e32 v81, 0x3fb8aa3b, v81
	v_exp_f32_e32 v94, v94
	buffer_gl0_inv
	v_fmac_f32_e32 v68, v100, v75
	v_sub_f32_e32 v75, v95, v67
	v_exp_f32_e32 v95, v81
	s_delay_alu instid0(VALU_DEP_1) | instskip(SKIP_1) | instid1(VALU_DEP_2)
	v_dual_fmac_f32 v68, v101, v76 :: v_dual_mul_f32 v75, 0x3fb8aa3b, v75
	v_cndmask_b32_e32 v76, v99, v98, vcc_lo
	v_fmac_f32_e32 v68, v96, v77
	s_delay_alu instid0(VALU_DEP_3) | instskip(NEXT) | instid1(VALU_DEP_1)
	v_exp_f32_e32 v97, v75
	v_fmac_f32_e32 v68, v94, v78
	s_waitcnt_depctr 0xfff
	v_dual_fmac_f32 v68, v95, v79 :: v_dual_lshlrev_b32 v79, 6, v65
	s_delay_alu instid0(VALU_DEP_1) | instskip(NEXT) | instid1(VALU_DEP_2)
	v_dual_mov_b32 v65, 0 :: v_dual_fmac_f32 v68, v97, v80
	v_lshl_or_b32 v81, v66, 11, v79
	s_delay_alu instid0(VALU_DEP_2) | instskip(NEXT) | instid1(VALU_DEP_1)
	v_add_f32_e32 v80, 0x358637bd, v68
	v_div_scale_f32 v102, null, v80, v80, 1.0
	v_div_scale_f32 v98, vcc_lo, 1.0, v80, 1.0
	s_delay_alu instid0(VALU_DEP_2) | instskip(SKIP_2) | instid1(VALU_DEP_1)
	v_rcp_f32_e32 v103, v102
	s_waitcnt_depctr 0xfff
	v_fma_f32 v75, -v102, v103, 1.0
	v_fmac_f32_e32 v103, v75, v103
	v_cndmask_b32_e64 v75, v76, v100, s3
	v_cmp_eq_u32_e64 s3, 7, v66
	s_delay_alu instid0(VALU_DEP_3) | instskip(NEXT) | instid1(VALU_DEP_3)
	v_mul_f32_e32 v99, v98, v103
	v_cndmask_b32_e64 v76, v75, v101, s5
	v_lshlrev_b32_e32 v75, 2, v74
	s_delay_alu instid0(VALU_DEP_3) | instskip(NEXT) | instid1(VALU_DEP_3)
	v_fma_f32 v77, -v102, v99, v98
	v_cndmask_b32_e64 v96, v76, v96, s6
	s_delay_alu instid0(VALU_DEP_3)
	v_or_b32_e32 v78, 1, v75
	v_or_b32_e32 v76, 2, v75
	v_cmp_eq_u32_e64 s5, 1, v75
	v_fmac_f32_e32 v99, v77, v103
	v_cndmask_b32_e64 v66, v96, v94, s7
	v_or_b32_e32 v77, 3, v75
	v_cmp_eq_u32_e64 s9, 1, v78
	v_cmp_eq_u32_e64 s10, 1, v76
	v_fma_f32 v94, -v102, v99, v98
	v_cndmask_b32_e64 v66, v66, v95, s4
	v_cmp_eq_u32_e64 s11, 1, v77
	v_cmp_eq_u32_e64 s6, 2, v75
	;; [unrolled: 1-line block ×3, first 2 shown]
	v_div_fmas_f32 v94, v94, v103, v99
	v_cndmask_b32_e64 v66, v66, v97, s3
	v_cmp_eq_u32_e64 s17, 2, v77
	v_cmp_eq_u32_e32 vcc_lo, 3, v75
	v_cmp_eq_u32_e64 s13, 3, v78
	v_div_fixup_f32 v94, v94, v80, 1.0
	v_lshl_or_b32 v80, v74, 4, v81
	v_cmp_eq_u32_e64 s16, 2, v76
	v_cmp_eq_u32_e64 s19, 3, v77
	v_cmp_eq_u32_e64 s4, 4, v75
	v_mul_f32_e32 v66, v66, v94
	v_cmp_eq_u32_e64 s18, 3, v76
	v_cmp_eq_u32_e64 s20, 4, v78
	;; [unrolled: 1-line block ×4, first 2 shown]
	v_fma_mixlo_f16 v94, v66, v70, 0
	v_fma_mixlo_f16 v95, v66, v72, 0
	;; [unrolled: 1-line block ×8, first 2 shown]
	v_fma_mixhi_f16 v94, v66, v69, 0
	v_fma_mixhi_f16 v95, v66, v71, 0
	;; [unrolled: 1-line block ×8, first 2 shown]
	ds_store_b128 v80, v[94:97]
	ds_store_b128 v80, v[98:101] offset:1024
	s_waitcnt lgkmcnt(0)
	s_barrier
	buffer_gl0_inv
	ds_load_b128 v[69:72], v81
	ds_load_b128 v[82:85], v81 offset:16
	ds_load_b128 v[86:89], v81 offset:1024
	;; [unrolled: 1-line block ×3, first 2 shown]
	v_cmp_eq_u32_e64 s21, 5, v78
	v_cmp_eq_u32_e64 s22, 4, v76
	;; [unrolled: 1-line block ×12, first 2 shown]
	s_waitcnt lgkmcnt(3)
	v_lshrrev_b32_e32 v66, 16, v69
	s_waitcnt lgkmcnt(2)
	v_lshrrev_b32_e32 v97, 16, v82
	;; [unrolled: 2-line block ×4, first 2 shown]
	v_lshrrev_b32_e32 v94, 16, v70
	v_cndmask_b32_e64 v109, v69, v66, s5
	v_cndmask_b32_e64 v110, v82, v97, s5
	;; [unrolled: 1-line block ×7, first 2 shown]
	v_lshrrev_b32_e32 v98, 16, v83
	v_cndmask_b32_e64 v114, v82, v97, s10
	v_cndmask_b32_e64 v82, v86, v101, s5
	;; [unrolled: 1-line block ×15, first 2 shown]
	v_lshrrev_b32_e32 v102, 16, v87
	v_lshrrev_b32_e32 v106, 16, v91
	v_cndmask_b32_e64 v111, v113, v70, s16
	v_cndmask_b32_e64 v112, v114, v83, s16
	;; [unrolled: 1-line block ×7, first 2 shown]
	v_cndmask_b32_e32 v87, v101, v94, vcc_lo
	v_cndmask_b32_e32 v101, v105, v98, vcc_lo
	v_cndmask_b32_e64 v105, v109, v94, s13
	v_cndmask_b32_e64 v109, v110, v98, s13
	;; [unrolled: 1-line block ×4, first 2 shown]
	v_lshrrev_b32_e32 v95, 16, v71
	v_lshrrev_b32_e32 v99, 16, v84
	v_cndmask_b32_e64 v110, v111, v94, s18
	v_cndmask_b32_e64 v111, v112, v98, s18
	v_cndmask_b32_e32 v70, v70, v102, vcc_lo
	v_cndmask_b32_e32 v82, v82, v106, vcc_lo
	v_cndmask_b32_e64 v83, v83, v102, s13
	v_cndmask_b32_e64 v87, v87, v71, s4
	;; [unrolled: 1-line block ×7, first 2 shown]
	v_lshrrev_b32_e32 v103, 16, v88
	v_lshrrev_b32_e32 v107, 16, v92
	v_cndmask_b32_e64 v105, v110, v71, s22
	v_cndmask_b32_e64 v109, v111, v84, s22
	;; [unrolled: 1-line block ×11, first 2 shown]
	v_lshrrev_b32_e32 v96, 16, v72
	v_lshrrev_b32_e32 v100, 16, v85
	v_cndmask_b32_e64 v98, v105, v95, s24
	v_cndmask_b32_e64 v101, v109, v99, s24
	v_cndmask_b32_e64 v70, v70, v103, s7
	v_cndmask_b32_e64 v71, v71, v107, s7
	v_cndmask_b32_e64 v82, v82, v103, s21
	v_cndmask_b32_e64 v83, v83, v72, s3
	v_cndmask_b32_e64 v84, v84, v85, s3
	v_cndmask_b32_e64 v87, v87, v72, s26
	v_cndmask_b32_e64 v94, v94, v85, s26
	v_cndmask_b32_e64 v66, v66, v72, s28
	v_cndmask_b32_e64 v69, v69, v85, s28
	v_lshrrev_b32_e32 v104, 16, v89
	v_cndmask_b32_e64 v95, v98, v72, s27
	v_cndmask_b32_e64 v98, v101, v85, s27
	;; [unrolled: 1-line block ×14, first 2 shown]
	v_perm_b32 v72, v69, v66, 0x5040100
	v_perm_b32 v70, v94, v84, 0x5040100
	v_cndmask_b32_e64 v66, v90, v91, s17
	v_cndmask_b32_e64 v69, v118, v91, s16
	v_cndmask_b32_e64 v84, v116, v91, s12
	v_cndmask_b32_e64 v98, v71, v104, s31
	v_perm_b32 v71, v95, v87, 0x5040100
	v_cndmask_b32_e64 v87, v97, v102, s18
	v_cndmask_b32_e64 v86, v86, v102, s19
	;; [unrolled: 1-line block ×15, first 2 shown]
	v_lshrrev_b32_e32 v108, 16, v93
	v_cndmask_b32_e64 v87, v87, v89, s27
	v_cndmask_b32_e64 v86, v86, v89, s28
	;; [unrolled: 1-line block ×11, first 2 shown]
	v_perm_b32 v69, v83, v82, 0x5040100
	v_perm_b32 v85, v66, v86, 0x5040100
	;; [unrolled: 1-line block ×5, first 2 shown]
	s_mov_b32 s3, exec_lo
	ds_store_b128 v80, v[69:72]
	ds_store_b128 v80, v[82:85] offset:1024
	v_cmpx_eq_u32_e32 0, v0
	s_cbranch_execz .LBB1026_13
; %bb.12:
	s_load_b128 s[4:7], s[0:1], 0x58
	s_mul_i32 s8, s37, s34
	s_delay_alu instid0(SALU_CYCLE_1) | instskip(NEXT) | instid1(SALU_CYCLE_1)
	s_add_i32 s8, s8, s15
	s_mul_i32 s8, s8, s36
	s_delay_alu instid0(SALU_CYCLE_1) | instskip(NEXT) | instid1(SALU_CYCLE_1)
	s_add_i32 s8, s8, s14
	s_ashr_i32 s9, s8, 31
	s_delay_alu instid0(SALU_CYCLE_1)
	s_lshl_b64 s[8:9], s[8:9], 2
	s_waitcnt lgkmcnt(0)
	s_add_u32 s6, s6, s8
	s_addc_u32 s7, s7, s9
	s_add_u32 s4, s4, s8
	s_addc_u32 s5, s5, s9
	s_clause 0x1
	global_store_b32 v65, v67, s[6:7]
	global_store_b32 v65, v68, s[4:5]
.LBB1026_13:
	s_or_b32 exec_lo, exec_lo, s3
	s_waitcnt lgkmcnt(0)
	s_waitcnt_vscnt null, 0x0
	s_barrier
	buffer_gl0_inv
	ds_load_b128 v[82:85], v79
	ds_load_b128 v[86:89], v79 offset:16
	ds_load_b128 v[94:97], v79 offset:2064
	;; [unrolled: 1-line block ×5, first 2 shown]
	v_mov_b32_e32 v66, v65
	v_mov_b32_e32 v67, v65
	;; [unrolled: 1-line block ×7, first 2 shown]
	ds_load_b128 v[110:113], v79 offset:6160
	ds_load_b128 v[106:109], v79 offset:6144
	v_cmp_eq_u32_e32 vcc_lo, 1, v75
	v_cmp_eq_u32_e64 s3, 1, v78
	v_cmp_eq_u32_e64 s4, 1, v77
	;; [unrolled: 1-line block ×5, first 2 shown]
	s_xor_b32 s2, s2, -1
	s_waitcnt lgkmcnt(6)
	v_wmma_f32_16x16x16_f16 v[65:72], v[49:56], v[82:89], v[65:72]
	ds_load_b128 v[53:56], v79 offset:8208
	ds_load_b128 v[49:52], v79 offset:8192
	;; [unrolled: 1-line block ×4, first 2 shown]
	s_waitcnt lgkmcnt(8)
	v_wmma_f32_16x16x16_f16 v[65:72], v[41:48], v[90:97], v[65:72]
	ds_load_b128 v[45:48], v79 offset:12304
	ds_load_b128 v[41:44], v79 offset:12288
	s_waitcnt lgkmcnt(8)
	v_wmma_f32_16x16x16_f16 v[65:72], v[33:40], v[98:105], v[65:72]
	ds_load_b128 v[37:40], v79 offset:14352
	ds_load_b128 v[33:36], v79 offset:14336
	s_waitcnt lgkmcnt(0)
	s_barrier
	buffer_gl0_inv
	v_wmma_f32_16x16x16_f16 v[65:72], v[1:8], v[106:113], v[65:72]
	s_delay_alu instid0(VALU_DEP_1) | instskip(NEXT) | instid1(VALU_DEP_1)
	v_wmma_f32_16x16x16_f16 v[65:72], v[9:16], v[49:56], v[65:72]
	v_wmma_f32_16x16x16_f16 v[65:72], v[17:24], v[82:89], v[65:72]
	s_delay_alu instid0(VALU_DEP_1) | instskip(NEXT) | instid1(VALU_DEP_1)
	v_wmma_f32_16x16x16_f16 v[65:72], v[25:32], v[41:48], v[65:72]
	v_wmma_f32_16x16x16_f16 v[65:72], v[57:64], v[33:40], v[65:72]
	s_delay_alu instid0(VALU_DEP_1) | instskip(NEXT) | instid1(VALU_DEP_2)
	v_cvt_f16_f32_e32 v1, v65
	v_cvt_f16_f32_e32 v2, v66
	s_delay_alu instid0(VALU_DEP_3) | instskip(NEXT) | instid1(VALU_DEP_4)
	v_cvt_f16_f32_e32 v3, v67
	v_cvt_f16_f32_e32 v4, v68
	;; [unrolled: 1-line block ×6, first 2 shown]
	v_pack_b32_f16 v1, v1, v2
	v_pack_b32_f16 v2, v3, v4
	v_pack_b32_f16 v3, v5, v6
	s_delay_alu instid0(VALU_DEP_4)
	v_pack_b32_f16 v4, v7, v8
	ds_store_b128 v80, v[1:4]
	s_waitcnt lgkmcnt(0)
	s_barrier
	buffer_gl0_inv
	ds_load_b128 v[1:4], v81
	ds_load_b128 v[5:8], v81 offset:16
	s_waitcnt lgkmcnt(1)
	v_lshrrev_b32_e32 v9, 16, v1
	s_waitcnt lgkmcnt(0)
	v_lshrrev_b32_e32 v13, 16, v5
	v_lshrrev_b32_e32 v16, 16, v8
	;; [unrolled: 1-line block ×4, first 2 shown]
	v_cndmask_b32_e32 v17, v1, v9, vcc_lo
	v_cndmask_b32_e32 v18, v5, v13, vcc_lo
	v_cmp_eq_u32_e32 vcc_lo, 1, v76
	v_cndmask_b32_e64 v19, v1, v9, s3
	v_cndmask_b32_e64 v20, v5, v13, s3
	v_cmp_eq_u32_e64 s3, 2, v76
	v_lshrrev_b32_e32 v11, 16, v3
	v_cndmask_b32_e32 v21, v1, v9, vcc_lo
	v_cndmask_b32_e32 v22, v5, v13, vcc_lo
	v_cndmask_b32_e64 v1, v1, v9, s4
	v_cmp_eq_u32_e32 vcc_lo, 2, v77
	v_cndmask_b32_e64 v5, v5, v13, s4
	v_cmp_eq_u32_e64 s4, 2, v78
	v_cndmask_b32_e64 v9, v17, v2, s5
	v_cndmask_b32_e64 v13, v18, v6, s5
	v_cmp_eq_u32_e64 s5, 3, v78
	v_cndmask_b32_e32 v1, v1, v2, vcc_lo
	v_cndmask_b32_e64 v17, v19, v2, s4
	v_cndmask_b32_e64 v18, v20, v6, s4
	;; [unrolled: 1-line block ×4, first 2 shown]
	v_cndmask_b32_e32 v2, v5, v6, vcc_lo
	v_cmp_eq_u32_e32 vcc_lo, 3, v76
	v_cmp_eq_u32_e64 s4, 3, v77
	v_cndmask_b32_e64 v5, v9, v10, s6
	v_cndmask_b32_e64 v6, v13, v14, s6
	;; [unrolled: 1-line block ×4, first 2 shown]
	v_cndmask_b32_e32 v17, v19, v10, vcc_lo
	v_cmp_eq_u32_e64 s3, 4, v76
	v_cndmask_b32_e32 v18, v20, v14, vcc_lo
	v_cndmask_b32_e64 v1, v1, v10, s4
	v_cmp_eq_u32_e32 vcc_lo, 4, v77
	v_cmp_eq_u32_e64 s5, 4, v75
	v_cndmask_b32_e64 v2, v2, v14, s4
	v_cmp_eq_u32_e64 s4, 4, v78
	v_lshrrev_b32_e32 v15, 16, v7
	v_cmp_eq_u32_e64 s6, 5, v75
	v_cndmask_b32_e64 v5, v5, v3, s5
	v_cndmask_b32_e64 v6, v6, v7, s5
	;; [unrolled: 1-line block ×3, first 2 shown]
	v_cmp_eq_u32_e64 s5, 5, v78
	v_cndmask_b32_e64 v10, v13, v7, s4
	v_cndmask_b32_e64 v13, v17, v3, s3
	;; [unrolled: 1-line block ×3, first 2 shown]
	v_cmp_eq_u32_e64 s4, 5, v76
	v_cndmask_b32_e32 v1, v1, v3, vcc_lo
	v_cndmask_b32_e32 v2, v2, v7, vcc_lo
	v_cmp_eq_u32_e32 vcc_lo, 5, v77
	v_cndmask_b32_e64 v5, v5, v11, s6
	v_cmp_eq_u32_e64 s3, 6, v75
	v_cndmask_b32_e64 v6, v6, v15, s6
	v_cndmask_b32_e64 v9, v9, v11, s5
	;; [unrolled: 1-line block ×4, first 2 shown]
	v_cmp_eq_u32_e64 s5, 6, v78
	v_cndmask_b32_e64 v3, v14, v15, s4
	v_cndmask_b32_e32 v1, v1, v11, vcc_lo
	v_cmp_eq_u32_e64 s4, 6, v77
	v_cndmask_b32_e32 v2, v2, v15, vcc_lo
	v_lshrrev_b32_e32 v12, 16, v4
	v_cndmask_b32_e64 v5, v5, v4, s3
	v_cndmask_b32_e64 v9, v9, v4, s5
	;; [unrolled: 1-line block ×3, first 2 shown]
	v_cmp_eq_u32_e64 s3, 7, v75
	v_cmp_eq_u32_e64 s6, 7, v78
	v_cndmask_b32_e64 v7, v13, v4, s7
	v_cndmask_b32_e64 v3, v3, v8, s7
	;; [unrolled: 1-line block ×3, first 2 shown]
	v_cmp_eq_u32_e32 vcc_lo, 7, v77
	v_cndmask_b32_e64 v2, v2, v8, s4
	v_cmp_eq_u32_e64 s4, 7, v76
	v_cndmask_b32_e64 v4, v10, v8, s5
	v_cndmask_b32_e64 v5, v5, v12, s3
	;; [unrolled: 1-line block ×3, first 2 shown]
	v_cndmask_b32_e32 v2, v2, v16, vcc_lo
	v_cndmask_b32_e64 v7, v7, v12, s4
	v_cndmask_b32_e32 v1, v1, v12, vcc_lo
	v_cndmask_b32_e64 v3, v3, v16, s4
	v_cndmask_b32_e64 v8, v4, v16, s6
	;; [unrolled: 1-line block ×3, first 2 shown]
	v_cmp_gt_u32_e32 vcc_lo, 32, v0
	v_perm_b32 v4, v2, v1, 0x5040100
	v_perm_b32 v3, v3, v7, 0x5040100
	;; [unrolled: 1-line block ×4, first 2 shown]
	s_and_b32 s2, vcc_lo, s2
	ds_store_b128 v80, v[1:4]
	s_waitcnt lgkmcnt(0)
	s_barrier
	buffer_gl0_inv
	s_and_saveexec_b32 s3, s2
	s_cbranch_execz .LBB1026_2
; %bb.14:
	s_load_b64 s[0:1], s[0:1], 0x68
	v_lshlrev_b32_e32 v1, 10, v0
	v_and_b32_e32 v0, 1, v0
	v_lshlrev_b32_e32 v2, 6, v74
	s_lshl_b32 s4, s36, 7
	s_delay_alu instid0(VALU_DEP_3) | instskip(NEXT) | instid1(VALU_DEP_3)
	v_and_b32_e32 v1, 0x3800, v1
	v_lshlrev_b32_e32 v0, 4, v0
	s_mul_i32 s2, s4, s34
	s_delay_alu instid0(SALU_CYCLE_1) | instskip(NEXT) | instid1(VALU_DEP_1)
	s_mul_i32 s2, s2, s37
	v_or3_b32 v0, v1, v2, v0
	s_ashr_i32 s3, s2, 31
	s_delay_alu instid0(SALU_CYCLE_1)
	s_lshl_b64 s[2:3], s[2:3], 1
	ds_load_b128 v[0:3], v0
	s_waitcnt lgkmcnt(0)
	s_add_u32 s5, s0, s2
	s_addc_u32 s3, s1, s3
	s_lshl_b32 s0, s14, 7
	s_mul_i32 s2, s4, s15
	s_ashr_i32 s1, s0, 31
	s_delay_alu instid0(SALU_CYCLE_1) | instskip(NEXT) | instid1(SALU_CYCLE_1)
	s_lshl_b64 s[0:1], s[0:1], 1
	s_add_u32 s4, s5, s0
	s_addc_u32 s5, s3, s1
	s_ashr_i32 s3, s2, 31
	s_delay_alu instid0(SALU_CYCLE_1) | instskip(NEXT) | instid1(SALU_CYCLE_1)
	s_lshl_b64 s[0:1], s[2:3], 1
	s_add_u32 s0, s4, s0
	s_addc_u32 s1, s5, s1
	global_store_b128 v73, v[0:3], s[0:1]
	s_nop 0
	s_sendmsg sendmsg(MSG_DEALLOC_VGPRS)
	s_endpgm
	.section	.rodata,"a",@progbits
	.p2align	6, 0x0
	.amdhsa_kernel _Z39paged_attention_ll4mi_QKV_mfma16_kernelIDF16_hLN4vllm18Fp8KVCacheDataTypeE1EhLi32ELi128ELi256ELb1ELi1EL8MFMAType1EEvPKT_PKT0_S8_ifPKiSA_SA_iPKfiiiPfSD_PS3_PT2_iSC_SC_
		.amdhsa_group_segment_fixed_size 17472
		.amdhsa_private_segment_fixed_size 0
		.amdhsa_kernarg_size 400
		.amdhsa_user_sgpr_count 13
		.amdhsa_user_sgpr_dispatch_ptr 0
		.amdhsa_user_sgpr_queue_ptr 0
		.amdhsa_user_sgpr_kernarg_segment_ptr 1
		.amdhsa_user_sgpr_dispatch_id 0
		.amdhsa_user_sgpr_private_segment_size 0
		.amdhsa_wavefront_size32 1
		.amdhsa_uses_dynamic_stack 0
		.amdhsa_enable_private_segment 0
		.amdhsa_system_sgpr_workgroup_id_x 1
		.amdhsa_system_sgpr_workgroup_id_y 1
		.amdhsa_system_sgpr_workgroup_id_z 1
		.amdhsa_system_sgpr_workgroup_info 0
		.amdhsa_system_vgpr_workitem_id 0
		.amdhsa_next_free_vgpr 134
		.amdhsa_next_free_sgpr 68
		.amdhsa_reserve_vcc 1
		.amdhsa_float_round_mode_32 0
		.amdhsa_float_round_mode_16_64 0
		.amdhsa_float_denorm_mode_32 3
		.amdhsa_float_denorm_mode_16_64 3
		.amdhsa_dx10_clamp 1
		.amdhsa_ieee_mode 1
		.amdhsa_fp16_overflow 0
		.amdhsa_workgroup_processor_mode 1
		.amdhsa_memory_ordered 1
		.amdhsa_forward_progress 0
		.amdhsa_shared_vgpr_count 0
		.amdhsa_exception_fp_ieee_invalid_op 0
		.amdhsa_exception_fp_denorm_src 0
		.amdhsa_exception_fp_ieee_div_zero 0
		.amdhsa_exception_fp_ieee_overflow 0
		.amdhsa_exception_fp_ieee_underflow 0
		.amdhsa_exception_fp_ieee_inexact 0
		.amdhsa_exception_int_div_zero 0
	.end_amdhsa_kernel
	.section	.text._Z39paged_attention_ll4mi_QKV_mfma16_kernelIDF16_hLN4vllm18Fp8KVCacheDataTypeE1EhLi32ELi128ELi256ELb1ELi1EL8MFMAType1EEvPKT_PKT0_S8_ifPKiSA_SA_iPKfiiiPfSD_PS3_PT2_iSC_SC_,"axG",@progbits,_Z39paged_attention_ll4mi_QKV_mfma16_kernelIDF16_hLN4vllm18Fp8KVCacheDataTypeE1EhLi32ELi128ELi256ELb1ELi1EL8MFMAType1EEvPKT_PKT0_S8_ifPKiSA_SA_iPKfiiiPfSD_PS3_PT2_iSC_SC_,comdat
.Lfunc_end1026:
	.size	_Z39paged_attention_ll4mi_QKV_mfma16_kernelIDF16_hLN4vllm18Fp8KVCacheDataTypeE1EhLi32ELi128ELi256ELb1ELi1EL8MFMAType1EEvPKT_PKT0_S8_ifPKiSA_SA_iPKfiiiPfSD_PS3_PT2_iSC_SC_, .Lfunc_end1026-_Z39paged_attention_ll4mi_QKV_mfma16_kernelIDF16_hLN4vllm18Fp8KVCacheDataTypeE1EhLi32ELi128ELi256ELb1ELi1EL8MFMAType1EEvPKT_PKT0_S8_ifPKiSA_SA_iPKfiiiPfSD_PS3_PT2_iSC_SC_
                                        ; -- End function
	.section	.AMDGPU.csdata,"",@progbits
; Kernel info:
; codeLenInByte = 6404
; NumSgprs: 70
; NumVgprs: 134
; ScratchSize: 0
; MemoryBound: 1
; FloatMode: 240
; IeeeMode: 1
; LDSByteSize: 17472 bytes/workgroup (compile time only)
; SGPRBlocks: 8
; VGPRBlocks: 16
; NumSGPRsForWavesPerEU: 70
; NumVGPRsForWavesPerEU: 134
; Occupancy: 10
; WaveLimiterHint : 1
; COMPUTE_PGM_RSRC2:SCRATCH_EN: 0
; COMPUTE_PGM_RSRC2:USER_SGPR: 13
; COMPUTE_PGM_RSRC2:TRAP_HANDLER: 0
; COMPUTE_PGM_RSRC2:TGID_X_EN: 1
; COMPUTE_PGM_RSRC2:TGID_Y_EN: 1
; COMPUTE_PGM_RSRC2:TGID_Z_EN: 1
; COMPUTE_PGM_RSRC2:TIDIG_COMP_CNT: 0
	.section	.text._Z39paged_attention_ll4mi_QKV_mfma16_kernelIDF16_hLN4vllm18Fp8KVCacheDataTypeE1EhLi32ELi128ELi256ELb1ELi2EL8MFMAType1EEvPKT_PKT0_S8_ifPKiSA_SA_iPKfiiiPfSD_PS3_PT2_iSC_SC_,"axG",@progbits,_Z39paged_attention_ll4mi_QKV_mfma16_kernelIDF16_hLN4vllm18Fp8KVCacheDataTypeE1EhLi32ELi128ELi256ELb1ELi2EL8MFMAType1EEvPKT_PKT0_S8_ifPKiSA_SA_iPKfiiiPfSD_PS3_PT2_iSC_SC_,comdat
	.protected	_Z39paged_attention_ll4mi_QKV_mfma16_kernelIDF16_hLN4vllm18Fp8KVCacheDataTypeE1EhLi32ELi128ELi256ELb1ELi2EL8MFMAType1EEvPKT_PKT0_S8_ifPKiSA_SA_iPKfiiiPfSD_PS3_PT2_iSC_SC_ ; -- Begin function _Z39paged_attention_ll4mi_QKV_mfma16_kernelIDF16_hLN4vllm18Fp8KVCacheDataTypeE1EhLi32ELi128ELi256ELb1ELi2EL8MFMAType1EEvPKT_PKT0_S8_ifPKiSA_SA_iPKfiiiPfSD_PS3_PT2_iSC_SC_
	.globl	_Z39paged_attention_ll4mi_QKV_mfma16_kernelIDF16_hLN4vllm18Fp8KVCacheDataTypeE1EhLi32ELi128ELi256ELb1ELi2EL8MFMAType1EEvPKT_PKT0_S8_ifPKiSA_SA_iPKfiiiPfSD_PS3_PT2_iSC_SC_
	.p2align	8
	.type	_Z39paged_attention_ll4mi_QKV_mfma16_kernelIDF16_hLN4vllm18Fp8KVCacheDataTypeE1EhLi32ELi128ELi256ELb1ELi2EL8MFMAType1EEvPKT_PKT0_S8_ifPKiSA_SA_iPKfiiiPfSD_PS3_PT2_iSC_SC_,@function
_Z39paged_attention_ll4mi_QKV_mfma16_kernelIDF16_hLN4vllm18Fp8KVCacheDataTypeE1EhLi32ELi128ELi256ELb1ELi2EL8MFMAType1EEvPKT_PKT0_S8_ifPKiSA_SA_iPKfiiiPfSD_PS3_PT2_iSC_SC_: ; @_Z39paged_attention_ll4mi_QKV_mfma16_kernelIDF16_hLN4vllm18Fp8KVCacheDataTypeE1EhLi32ELi128ELi256ELb1ELi2EL8MFMAType1EEvPKT_PKT0_S8_ifPKiSA_SA_iPKfiiiPfSD_PS3_PT2_iSC_SC_
; %bb.0:
	s_load_b64 s[2:3], s[0:1], 0x30
	s_mov_b32 s34, s13
	s_waitcnt lgkmcnt(0)
	s_cmp_lg_u64 s[2:3], 0
	s_cselect_b32 s8, -1, 0
	s_ashr_i32 s35, s13, 31
	s_cmp_eq_u64 s[2:3], 0
	s_cbranch_scc1 .LBB1027_3
; %bb.1:
	s_lshl_b64 s[4:5], s[34:35], 2
	s_delay_alu instid0(SALU_CYCLE_1) | instskip(SKIP_4) | instid1(SALU_CYCLE_1)
	s_add_u32 s4, s2, s4
	s_addc_u32 s5, s3, s5
	s_load_b64 s[4:5], s[4:5], 0x0
	s_waitcnt lgkmcnt(0)
	s_sub_i32 s4, s5, s4
	s_cmp_eq_u32 s4, 1
	s_cselect_b32 s4, -1, 0
	s_delay_alu instid0(SALU_CYCLE_1)
	s_and_not1_b32 vcc_lo, exec_lo, s4
	s_cbranch_vccz .LBB1027_4
.LBB1027_2:
	s_endpgm
.LBB1027_3:
.LBB1027_4:
	s_load_b64 s[4:5], s[0:1], 0x28
	s_lshl_b64 s[6:7], s[34:35], 2
	s_waitcnt lgkmcnt(0)
	s_add_u32 s4, s4, s6
	s_addc_u32 s5, s5, s7
	s_lshl_b32 s12, s14, 8
	s_load_b32 s24, s[4:5], 0x0
	s_waitcnt lgkmcnt(0)
	s_cmp_ge_i32 s12, s24
	s_cbranch_scc1 .LBB1027_2
; %bb.5:
	s_clause 0x1
	s_load_b128 s[20:23], s[0:1], 0x8
	s_load_b64 s[4:5], s[0:1], 0x20
	s_and_not1_b32 vcc_lo, exec_lo, s8
	s_cbranch_vccnz .LBB1027_7
; %bb.6:
	s_add_u32 s2, s2, s6
	s_addc_u32 s3, s3, s7
	s_load_b32 s3, s[2:3], 0x0
	s_branch .LBB1027_8
.LBB1027_7:
	s_mov_b32 s3, s34
.LBB1027_8:
	s_load_b128 s[16:19], s[0:1], 0x48
	v_and_b32_e32 v70, 15, v0
	v_bfe_u32 v69, v0, 4, 1
	s_lshl_b32 s31, s15, 1
	v_and_b32_e32 v71, 31, v0
	v_and_b32_e32 v68, 1, v0
	v_lshlrev_b32_e32 v1, 3, v70
	v_cmp_gt_u32_e64 s2, 32, v0
	v_or_b32_e32 v67, s31, v69
	v_lshlrev_b32_e32 v66, 6, v69
	s_delay_alu instid0(VALU_DEP_4) | instskip(NEXT) | instid1(VALU_DEP_4)
	v_lshlrev_b32_e32 v65, 1, v1
	s_and_saveexec_b32 s6, s2
	s_cbranch_execz .LBB1027_10
; %bb.9:
	s_load_b64 s[8:9], s[0:1], 0x0
	v_lshlrev_b32_e32 v1, 7, v67
	s_waitcnt lgkmcnt(0)
	s_mul_hi_i32 s11, s3, s16
	s_mul_i32 s10, s3, s16
	v_lshlrev_b32_e32 v5, 10, v70
	s_lshl_b64 s[10:11], s[10:11], 1
	v_ashrrev_i32_e32 v2, 31, v1
	v_lshlrev_b32_e32 v6, 10, v68
	s_delay_alu instid0(VALU_DEP_3) | instskip(NEXT) | instid1(VALU_DEP_3)
	v_and_b32_e32 v5, 0x3800, v5
	v_lshlrev_b64 v[1:2], 1, v[1:2]
	s_delay_alu instid0(VALU_DEP_2) | instskip(SKIP_2) | instid1(VALU_DEP_2)
	v_or3_b32 v5, v5, v6, v66
	s_add_u32 s3, s8, s10
	s_addc_u32 s7, s9, s11
	v_add_co_u32 v1, vcc_lo, s3, v1
	s_delay_alu instid0(VALU_DEP_3) | instskip(NEXT) | instid1(VALU_DEP_2)
	v_add_co_ci_u32_e32 v2, vcc_lo, s7, v2, vcc_lo
	v_add_co_u32 v1, vcc_lo, v1, v65
	s_delay_alu instid0(VALU_DEP_2)
	v_add_co_ci_u32_e32 v2, vcc_lo, 0, v2, vcc_lo
	global_load_b128 v[1:4], v[1:2], off
	s_waitcnt vmcnt(0)
	ds_store_b128 v5, v[1:4]
.LBB1027_10:
	s_or_b32 exec_lo, exec_lo, s6
	v_and_b32_e32 v1, 0xef, v0
	s_waitcnt lgkmcnt(0)
	s_add_i32 s3, s24, 31
	s_clause 0x1
	s_load_b32 s6, s[0:1], 0x38
	s_load_b32 s33, s[0:1], 0x98
	s_ashr_i32 s7, s3, 31
	v_add_nc_u32_e32 v1, s12, v1
	s_lshr_b32 s7, s7, 27
	s_load_b32 s19, s[0:1], 0x1c
	s_add_i32 s3, s3, s7
	s_waitcnt lgkmcnt(0)
	v_ashrrev_i32_e32 v2, 31, v1
	v_or_b32_e32 v3, 16, v1
	s_ashr_i32 s3, s3, 5
	v_cmp_gt_i32_e32 vcc_lo, s24, v1
	s_add_i32 s3, s3, -1
	v_lshrrev_b32_e32 v2, 27, v2
	s_barrier
	buffer_gl0_inv
	s_mul_i32 s35, s15, s18
	v_lshrrev_b32_e32 v72, 5, v0
	v_add_nc_u32_e32 v4, v1, v2
	s_mul_i32 s6, s34, s6
	s_delay_alu instid0(SALU_CYCLE_1) | instskip(NEXT) | instid1(VALU_DEP_1)
	s_ashr_i32 s7, s6, 31
	v_ashrrev_i32_e32 v4, 5, v4
	v_add_nc_u32_e32 v2, v3, v2
	s_lshl_b64 s[6:7], s[6:7], 2
	s_delay_alu instid0(SALU_CYCLE_1) | instskip(NEXT) | instid1(VALU_DEP_2)
	s_add_u32 s25, s4, s6
	v_cndmask_b32_e32 v1, s3, v4, vcc_lo
	s_delay_alu instid0(VALU_DEP_2)
	v_ashrrev_i32_e32 v2, 5, v2
	v_cmp_gt_i32_e32 vcc_lo, s24, v3
	s_addc_u32 s30, s5, s7
	s_ashr_i32 s38, s35, 31
	s_add_u32 s4, s20, s35
	s_addc_u32 s5, s21, s38
	v_cndmask_b32_e32 v3, s3, v2, vcc_lo
	v_ashrrev_i32_e32 v2, 31, v1
	s_lshl_b32 s6, s14, 3
	s_delay_alu instid0(SALU_CYCLE_1) | instskip(NEXT) | instid1(VALU_DEP_2)
	s_ashr_i32 s7, s6, 31
	v_ashrrev_i32_e32 v4, 31, v3
	s_delay_alu instid0(VALU_DEP_2) | instskip(SKIP_1) | instid1(SALU_CYCLE_1)
	v_lshlrev_b64 v[1:2], 2, v[1:2]
	s_lshl_b64 s[6:7], s[6:7], 2
	s_add_u32 s6, s25, s6
	s_delay_alu instid0(VALU_DEP_2) | instskip(SKIP_1) | instid1(VALU_DEP_2)
	v_lshlrev_b64 v[3:4], 2, v[3:4]
	s_addc_u32 s7, s30, s7
	v_add_co_u32 v1, vcc_lo, s25, v1
	v_add_co_ci_u32_e32 v2, vcc_lo, s30, v2, vcc_lo
	s_delay_alu instid0(VALU_DEP_3) | instskip(NEXT) | instid1(VALU_DEP_4)
	v_add_co_u32 v3, vcc_lo, s25, v3
	v_add_co_ci_u32_e32 v4, vcc_lo, s30, v4, vcc_lo
	s_clause 0x1
	global_load_b32 v5, v[1:2], off
	global_load_b32 v6, v[3:4], off
	s_or_b32 s8, s12, 32
	s_delay_alu instid0(SALU_CYCLE_1) | instskip(SKIP_2) | instid1(SALU_CYCLE_1)
	s_ashr_i32 s9, s8, 5
	s_cmp_lt_i32 s8, s24
	s_cselect_b32 s8, s9, s3
	s_ashr_i32 s9, s8, 31
	s_delay_alu instid0(SALU_CYCLE_1) | instskip(NEXT) | instid1(SALU_CYCLE_1)
	s_lshl_b64 s[8:9], s[8:9], 2
	s_add_u32 s8, s25, s8
	s_addc_u32 s9, s30, s9
	s_or_b32 s10, s12, 64
	s_delay_alu instid0(SALU_CYCLE_1) | instskip(SKIP_2) | instid1(SALU_CYCLE_1)
	s_ashr_i32 s11, s10, 5
	s_cmp_lt_i32 s10, s24
	s_cselect_b32 s10, s11, s3
	s_ashr_i32 s11, s10, 31
	s_delay_alu instid0(SALU_CYCLE_1) | instskip(NEXT) | instid1(SALU_CYCLE_1)
	s_lshl_b64 s[10:11], s[10:11], 2
	s_add_u32 s10, s25, s10
	s_addc_u32 s11, s30, s11
	;; [unrolled: 10-line block ×5, first 2 shown]
	s_clause 0x5
	s_load_b32 s21, s[6:7], 0x0
	s_load_b32 s13, s[8:9], 0x0
	;; [unrolled: 1-line block ×6, first 2 shown]
	s_or_b32 s7, s12, 0xc0
	s_delay_alu instid0(SALU_CYCLE_1) | instskip(SKIP_2) | instid1(SALU_CYCLE_1)
	s_ashr_i32 s8, s7, 5
	s_cmp_lt_i32 s7, s24
	s_cselect_b32 s10, s8, s3
	s_ashr_i32 s11, s10, 31
	s_delay_alu instid0(SALU_CYCLE_1) | instskip(NEXT) | instid1(SALU_CYCLE_1)
	s_lshl_b64 s[26:27], s[10:11], 2
	s_add_u32 s26, s25, s26
	s_addc_u32 s27, s30, s27
	s_or_b32 s28, s12, 0xe0
	s_delay_alu instid0(SALU_CYCLE_1)
	s_ashr_i32 s29, s28, 5
	s_cmp_lt_i32 s28, s24
	s_waitcnt vmcnt(1)
	v_mad_i64_i32 v[1:2], null, v5, s17, s[4:5]
	s_waitcnt vmcnt(0)
	v_mad_i64_i32 v[3:4], null, v6, s17, s[4:5]
	s_mov_b32 s4, 0
	s_delay_alu instid0(SALU_CYCLE_1)
	s_mov_b32 s5, s4
	s_mov_b32 s6, s4
	;; [unrolled: 1-line block ×7, first 2 shown]
	s_delay_alu instid0(SALU_CYCLE_1) | instskip(SKIP_2) | instid1(VALU_DEP_3)
	v_dual_mov_b32 v120, s11 :: v_dual_lshlrev_b32 v5, 4, v70
	v_dual_mov_b32 v116, s7 :: v_dual_lshlrev_b32 v145, 6, v68
	v_mov_b32_e32 v114, s5
	v_add_co_u32 v1, vcc_lo, v1, v5
	v_add_co_ci_u32_e32 v2, vcc_lo, 0, v2, vcc_lo
	v_add_co_u32 v3, vcc_lo, v3, v5
	v_add_co_ci_u32_e32 v4, vcc_lo, 0, v4, vcc_lo
	s_clause 0xf
	global_load_b128 v[9:12], v[1:2], off
	global_load_b128 v[13:16], v[1:2], off offset:512
	global_load_b128 v[17:20], v[3:4], off offset:256
	;; [unrolled: 1-line block ×15, first 2 shown]
	v_dual_mov_b32 v119, s10 :: v_dual_mov_b32 v118, s9
	v_mov_b32_e32 v117, s8
	v_mov_b32_e32 v115, s6
	;; [unrolled: 1-line block ×3, first 2 shown]
	s_cselect_b32 s4, s29, s3
	v_lshlrev_b32_e32 v1, 5, v70
	s_ashr_i32 s5, s4, 31
	ds_load_b128 v[25:28], v145
	ds_load_b128 v[29:32], v145 offset:1024
	s_lshl_b64 s[4:5], s[4:5], 2
	s_load_b32 s3, s[26:27], 0x0
	s_add_u32 s4, s25, s4
	s_addc_u32 s5, s30, s5
	ds_load_b128 v[121:124], v145 offset:2048
	ds_load_b128 v[125:128], v145 offset:3072
	s_load_b32 s4, s[4:5], 0x0
	v_lshl_or_b32 v1, v72, 9, v1
	s_add_u32 s6, s22, s35
	s_addc_u32 s7, s23, s38
	s_delay_alu instid0(VALU_DEP_1) | instskip(NEXT) | instid1(VALU_DEP_1)
	v_add_co_u32 v129, s6, s6, v1
	v_add_co_ci_u32_e64 v130, null, s7, 0, s6
	s_waitcnt lgkmcnt(0)
	s_delay_alu instid0(VALU_DEP_1)
	v_mad_i64_i32 v[1:2], null, s21, s17, v[129:130]
	v_mad_i64_i32 v[3:4], null, s13, s17, v[129:130]
	;; [unrolled: 1-line block ×8, first 2 shown]
	s_clause 0x7
	global_load_b128 v[49:52], v[1:2], off
	global_load_b128 v[53:56], v[1:2], off offset:16
	global_load_b128 v[41:44], v[3:4], off
	global_load_b128 v[45:48], v[3:4], off offset:16
	;; [unrolled: 2-line block ×4, first 2 shown]
	s_waitcnt vmcnt(22)
	v_wmma_f32_16x16x16_f16 v[129:136], v[9:16], v[25:32], v[113:120]
	s_waitcnt vmcnt(20)
	v_wmma_f32_16x16x16_f16 v[113:120], v[17:24], v[25:32], v[113:120]
	s_clause 0x5
	global_load_b128 v[9:12], v[137:138], off
	global_load_b128 v[13:16], v[137:138], off offset:16
	global_load_b128 v[17:20], v[139:140], off
	global_load_b128 v[21:24], v[139:140], off offset:16
	;; [unrolled: 2-line block ×3, first 2 shown]
	v_mbcnt_lo_u32_b32 v137, -1, 0
	s_waitcnt vmcnt(24)
	v_wmma_f32_16x16x16_f16 v[129:136], v[57:64], v[121:128], v[129:136]
	s_clause 0x1
	global_load_b128 v[57:60], v[143:144], off
	global_load_b128 v[61:64], v[143:144], off offset:16
	s_waitcnt vmcnt(24)
	v_wmma_f32_16x16x16_f16 v[113:120], v[73:80], v[121:128], v[113:120]
	ds_load_b128 v[73:76], v145 offset:4096
	ds_load_b128 v[77:80], v145 offset:5120
	v_and_b32_e32 v121, 0xe0, v0
	v_xor_b32_e32 v139, 16, v137
	s_delay_alu instid0(VALU_DEP_2)
	v_add_nc_u32_e32 v138, s12, v121
	ds_load_b128 v[121:124], v145 offset:6144
	ds_load_b128 v[125:128], v145 offset:7168
	v_cmp_gt_i32_e32 vcc_lo, 32, v139
	s_waitcnt vmcnt(0) lgkmcnt(0)
	s_barrier
	v_or_b32_e32 v138, v138, v69
	buffer_gl0_inv
	v_or_b32_e32 v140, 4, v138
	v_or_b32_e32 v141, 6, v138
	;; [unrolled: 1-line block ×3, first 2 shown]
	v_wmma_f32_16x16x16_f16 v[129:136], v[81:88], v[73:80], v[129:136]
	v_wmma_f32_16x16x16_f16 v[113:120], v[89:96], v[73:80], v[113:120]
	v_or_b32_e32 v81, 10, v138
	v_cmp_gt_i32_e64 s4, s24, v140
	v_cmp_gt_i32_e64 s5, s24, v141
	v_or_b32_e32 v82, 12, v138
	v_or_b32_e32 v83, 14, v138
	v_wmma_f32_16x16x16_f16 v[129:136], v[97:104], v[121:128], v[129:136]
	v_wmma_f32_16x16x16_f16 v[113:120], v[105:112], v[121:128], v[113:120]
	v_cndmask_b32_e32 v137, v137, v139, vcc_lo
	v_or_b32_e32 v139, 2, v138
	v_cmp_gt_i32_e32 vcc_lo, s24, v138
	v_mul_f32_e32 v90, s19, v130
	v_dual_mul_f32 v92, s19, v120 :: v_dual_mul_f32 v91, s19, v129
	s_delay_alu instid0(VALU_DEP_4) | instskip(SKIP_2) | instid1(VALU_DEP_4)
	v_cmp_gt_i32_e64 s3, s24, v139
	v_dual_mul_f32 v80, s19, v132 :: v_dual_mul_f32 v89, s19, v131
	v_mul_f32_e32 v98, s19, v114
	v_cndmask_b32_e32 v91, 0xff7fffff, v91, vcc_lo
	s_delay_alu instid0(VALU_DEP_4)
	v_cndmask_b32_e64 v90, 0xff7fffff, v90, s3
	v_dual_mul_f32 v78, s19, v134 :: v_dual_mul_f32 v79, s19, v133
	v_mul_f32_e32 v96, s19, v116
	v_cndmask_b32_e64 v89, 0xff7fffff, v89, s4
	v_cndmask_b32_e64 v80, 0xff7fffff, v80, s5
	v_max3_f32 v90, v91, 0xff7fffff, v90
	v_cmp_gt_i32_e64 s6, s24, v142
	v_cmp_gt_i32_e64 s7, s24, v81
	v_or_b32_e32 v84, 16, v138
	v_or_b32_e32 v85, 18, v138
	v_dual_mul_f32 v76, s19, v136 :: v_dual_mul_f32 v77, s19, v135
	v_mul_f32_e32 v94, s19, v118
	v_cndmask_b32_e64 v79, 0xff7fffff, v79, s6
	v_cndmask_b32_e64 v78, 0xff7fffff, v78, s7
	v_max3_f32 v80, v90, v89, v80
	v_cmp_gt_i32_e64 s8, s24, v82
	v_cmp_gt_i32_e64 s9, s24, v83
	v_or_b32_e32 v86, 20, v138
	v_or_b32_e32 v87, 22, v138
	v_mul_f32_e32 v99, s19, v113
	v_cndmask_b32_e64 v77, 0xff7fffff, v77, s8
	v_cndmask_b32_e64 v76, 0xff7fffff, v76, s9
	v_max3_f32 v78, v80, v79, v78
	v_cmp_gt_i32_e64 s10, s24, v84
	v_cmp_gt_i32_e64 s11, s24, v85
	v_or_b32_e32 v88, 24, v138
	v_or_b32_e32 v73, 26, v138
	;; [unrolled: 8-line block ×3, first 2 shown]
	v_mul_f32_e32 v95, s19, v117
	v_cndmask_b32_e64 v77, 0xff7fffff, v97, s12
	v_cndmask_b32_e64 v78, 0xff7fffff, v96, s13
	v_max3_f32 v76, v76, v79, v80
	v_cmp_gt_i32_e64 s15, s24, v88
	v_cmp_gt_i32_e64 s16, s24, v73
	v_mul_f32_e32 v93, s19, v119
	v_cmp_gt_i32_e64 s17, s24, v74
	v_max3_f32 v76, v76, v77, v78
	v_cndmask_b32_e64 v79, 0xff7fffff, v95, s15
	v_cndmask_b32_e64 v73, 0xff7fffff, v94, s16
	v_cmp_gt_i32_e64 s18, s24, v75
	v_cndmask_b32_e64 v74, 0xff7fffff, v93, s17
	s_delay_alu instid0(VALU_DEP_3) | instskip(NEXT) | instid1(VALU_DEP_3)
	v_max3_f32 v73, v76, v79, v73
	v_cndmask_b32_e64 v75, 0xff7fffff, v92, s18
	v_lshlrev_b32_e32 v76, 2, v137
	s_delay_alu instid0(VALU_DEP_2) | instskip(SKIP_3) | instid1(VALU_DEP_1)
	v_max3_f32 v73, v73, v74, v75
	ds_bpermute_b32 v74, v76, v73
	s_waitcnt lgkmcnt(0)
	v_max_f32_e32 v74, v74, v74
	v_max_f32_e32 v73, v73, v74
	s_delay_alu instid0(VALU_DEP_1)
	v_fma_f32 v78, s19, v132, -v73
	v_fma_f32 v74, s19, v129, -v73
	;; [unrolled: 1-line block ×5, first 2 shown]
	v_mul_f32_e32 v78, 0x3fb8aa3b, v78
	v_mul_f32_e32 v74, 0x3fb8aa3b, v74
	s_delay_alu instid0(VALU_DEP_4) | instskip(SKIP_1) | instid1(VALU_DEP_4)
	v_dual_mul_f32 v80, 0x3fb8aa3b, v80 :: v_dual_mul_f32 v83, 0x3fb8aa3b, v83
	v_fma_f32 v77, s19, v131, -v73
	v_exp_f32_e32 v82, v78
	s_delay_alu instid0(VALU_DEP_3) | instskip(NEXT) | instid1(VALU_DEP_2)
	v_exp_f32_e32 v74, v74
	v_exp_f32_e32 v84, v80
	;; [unrolled: 1-line block ×3, first 2 shown]
	v_mul_f32_e32 v77, 0x3fb8aa3b, v77
	s_delay_alu instid0(VALU_DEP_1)
	v_exp_f32_e32 v77, v77
	v_cndmask_b32_e64 v80, 0, v82, s5
	v_fma_f32 v82, s19, v113, -v73
	v_mul_f32_e32 v75, 0x3fb8aa3b, v75
	s_waitcnt_depctr 0xfff
	v_cndmask_b32_e64 v85, 0, v85, s8
	v_cndmask_b32_e32 v79, 0, v74, vcc_lo
	v_fma_f32 v74, s19, v134, -v73
	v_mul_f32_e32 v86, 0x3fb8aa3b, v82
	v_exp_f32_e32 v75, v75
	v_cndmask_b32_e64 v83, 0, v84, s6
	v_cndmask_b32_e64 v81, 0, v77, s4
	v_mul_f32_e32 v74, 0x3fb8aa3b, v74
	v_exp_f32_e32 v86, v86
	s_delay_alu instid0(VALU_DEP_1) | instskip(NEXT) | instid1(TRANS32_DEP_3)
	v_exp_f32_e32 v74, v74
	v_cndmask_b32_e64 v78, 0, v75, s3
	v_add_f32_e32 v75, 0, v79
	s_mov_b32 s3, exec_lo
	s_delay_alu instid0(VALU_DEP_1) | instskip(SKIP_3) | instid1(VALU_DEP_1)
	v_add_f32_e32 v75, v75, v78
	s_waitcnt_depctr 0xfff
	v_cndmask_b32_e64 v82, 0, v74, s7
	v_add_f32_e32 v75, v75, v81
	v_add_f32_e32 v75, v75, v80
	s_delay_alu instid0(VALU_DEP_1)
	v_add_f32_e32 v74, v75, v83
	v_fma_f32 v90, s19, v118, -v73
	v_fma_f32 v84, s19, v114, -v73
	;; [unrolled: 1-line block ×5, first 2 shown]
	v_mul_f32_e32 v90, 0x3fb8aa3b, v90
	v_mul_f32_e32 v84, 0x3fb8aa3b, v84
	s_delay_alu instid0(VALU_DEP_4) | instskip(SKIP_1) | instid1(VALU_DEP_4)
	v_dual_add_f32 v74, v74, v82 :: v_dual_mul_f32 v89, 0x3fb8aa3b, v87
	v_cndmask_b32_e64 v87, 0, v86, s10
	v_exp_f32_e32 v90, v90
	s_delay_alu instid0(VALU_DEP_3) | instskip(NEXT) | instid1(VALU_DEP_2)
	v_exp_f32_e32 v88, v84
	v_add_f32_e32 v74, v74, v85
	v_exp_f32_e32 v91, v89
	v_fma_f32 v92, s19, v120, -v73
	s_delay_alu instid0(TRANS32_DEP_3)
	v_cndmask_b32_e64 v90, 0, v90, s16
	v_mul_f32_e32 v75, 0x3fb8aa3b, v75
	s_waitcnt_depctr 0xfff
	v_cndmask_b32_e64 v86, 0, v88, s11
	v_fma_f32 v88, s19, v119, -v73
	v_exp_f32_e32 v75, v75
	s_waitcnt_depctr 0xfff
	v_cndmask_b32_e64 v89, 0, v75, s12
	v_mul_f32_e32 v75, 0x3fb8aa3b, v88
	v_cndmask_b32_e64 v88, 0, v91, s13
	v_mul_f32_e32 v77, 0x3fb8aa3b, v77
	s_delay_alu instid0(VALU_DEP_3) | instskip(NEXT) | instid1(VALU_DEP_1)
	v_exp_f32_e32 v75, v75
	v_exp_f32_e32 v77, v77
	s_waitcnt_depctr 0xfff
	v_cndmask_b32_e64 v93, 0, v75, s17
	v_cndmask_b32_e64 v84, 0, v77, s9
	v_fma_f32 v77, s19, v117, -v73
	s_delay_alu instid0(VALU_DEP_2) | instskip(NEXT) | instid1(VALU_DEP_1)
	v_add_f32_e32 v74, v74, v84
	v_add_f32_e32 v74, v74, v87
	s_delay_alu instid0(VALU_DEP_1) | instskip(NEXT) | instid1(VALU_DEP_1)
	v_add_f32_e32 v74, v74, v86
	v_add_f32_e32 v74, v74, v89
	s_delay_alu instid0(VALU_DEP_1) | instskip(NEXT) | instid1(VALU_DEP_1)
	v_dual_add_f32 v74, v74, v88 :: v_dual_mul_f32 v77, 0x3fb8aa3b, v77
	v_exp_f32_e32 v77, v77
	s_waitcnt_depctr 0xfff
	v_cndmask_b32_e64 v91, 0, v77, s15
	s_delay_alu instid0(VALU_DEP_1) | instskip(NEXT) | instid1(VALU_DEP_1)
	v_dual_mul_f32 v77, 0x3fb8aa3b, v92 :: v_dual_add_f32 v74, v74, v91
	v_exp_f32_e32 v77, v77
	s_delay_alu instid0(VALU_DEP_1) | instskip(NEXT) | instid1(VALU_DEP_1)
	v_add_f32_e32 v74, v74, v90
	v_add_f32_e32 v74, v74, v93
	s_waitcnt_depctr 0xfff
	v_cndmask_b32_e64 v92, 0, v77, s18
	s_delay_alu instid0(VALU_DEP_1)
	v_add_f32_e32 v74, v74, v92
	ds_bpermute_b32 v75, v76, v74
	v_cmpx_gt_u32_e32 16, v71
	s_cbranch_execz .LBB1027_12
; %bb.11:
	v_mul_u32_u24_e32 v71, 0x44, v72
	s_waitcnt lgkmcnt(0)
	v_add_f32_e32 v74, v74, v75
	s_delay_alu instid0(VALU_DEP_2) | instskip(NEXT) | instid1(VALU_DEP_1)
	v_lshl_add_u32 v71, v70, 2, v71
	v_add_nc_u32_e32 v71, 0x4000, v71
	ds_store_2addr_b32 v71, v73, v74 offset1:136
.LBB1027_12:
	s_or_b32 exec_lo, exec_lo, s3
	v_lshlrev_b32_e32 v71, 2, v70
	s_load_b32 s35, s[0:1], 0x94
	s_waitcnt lgkmcnt(0)
	s_barrier
	buffer_gl0_inv
	v_add_nc_u32_e32 v71, 0x4000, v71
	v_cmp_eq_u32_e32 vcc_lo, 1, v72
	v_cmp_eq_u32_e64 s3, 2, v72
	v_cmp_eq_u32_e64 s4, 3, v72
	;; [unrolled: 1-line block ×3, first 2 shown]
	ds_load_2addr_b32 v[73:74], v71 offset1:17
	ds_load_2addr_b32 v[94:95], v71 offset0:34 offset1:51
	ds_load_2addr_b32 v[96:97], v71 offset0:68 offset1:85
	ds_load_2addr_b32 v[98:99], v71 offset0:102 offset1:119
	v_cmp_eq_u32_e64 s6, 5, v72
	v_cmp_eq_u32_e64 s7, 7, v72
	s_waitcnt lgkmcnt(3)
	v_max3_f32 v75, v73, 0xff7fffff, v74
	s_waitcnt lgkmcnt(2)
	s_delay_alu instid0(VALU_DEP_1) | instskip(SKIP_1) | instid1(VALU_DEP_1)
	v_max3_f32 v75, v75, v94, v95
	s_waitcnt lgkmcnt(1)
	v_max3_f32 v75, v75, v96, v97
	s_waitcnt lgkmcnt(0)
	s_delay_alu instid0(VALU_DEP_1) | instskip(NEXT) | instid1(VALU_DEP_1)
	v_max3_f32 v76, v75, v98, v99
	v_sub_f32_e32 v96, v96, v76
	ds_load_2addr_b32 v[100:101], v71 offset0:136 offset1:153
	v_sub_f32_e32 v73, v73, v76
	v_sub_f32_e32 v75, v74, v76
	;; [unrolled: 1-line block ×3, first 2 shown]
	v_mul_f32_e32 v105, 0x3fb8aa3b, v96
	s_delay_alu instid0(VALU_DEP_4)
	v_mul_f32_e32 v77, 0x3fb8aa3b, v73
	ds_load_2addr_b32 v[73:74], v71 offset0:170 offset1:187
	v_mul_f32_e32 v103, 0x3fb8aa3b, v94
	v_exp_f32_e32 v102, v77
	v_sub_f32_e32 v77, v95, v76
	ds_load_2addr_b32 v[94:95], v71 offset0:204 offset1:221
	v_exp_f32_e32 v103, v103
	v_mul_f32_e32 v104, 0x3fb8aa3b, v77
	s_waitcnt lgkmcnt(2)
	v_fma_f32 v77, v102, v100, 0
	v_dual_sub_f32 v100, v97, v76 :: v_dual_mul_f32 v75, 0x3fb8aa3b, v75
	ds_load_2addr_b32 v[96:97], v71 offset0:238 offset1:255
	v_sub_f32_e32 v71, v98, v76
	v_exp_f32_e32 v104, v104
	v_mul_f32_e32 v98, 0x3fb8aa3b, v100
	v_exp_f32_e32 v75, v75
	v_exp_f32_e32 v100, v105
	v_mul_f32_e32 v71, 0x3fb8aa3b, v71
	s_waitcnt lgkmcnt(0)
	v_exp_f32_e32 v98, v98
	s_barrier
	buffer_gl0_inv
	v_fmac_f32_e32 v77, v75, v101
	s_delay_alu instid0(VALU_DEP_1) | instskip(SKIP_2) | instid1(VALU_DEP_2)
	v_fmac_f32_e32 v77, v103, v73
	v_sub_f32_e32 v73, v99, v76
	v_exp_f32_e32 v99, v71
	v_fmac_f32_e32 v77, v104, v74
	s_delay_alu instid0(VALU_DEP_2) | instskip(NEXT) | instid1(VALU_DEP_2)
	v_dual_mul_f32 v73, 0x3fb8aa3b, v73 :: v_dual_lshlrev_b32 v74, 6, v70
	v_dual_fmac_f32 v77, v100, v94 :: v_dual_lshlrev_b32 v70, 2, v69
	s_delay_alu instid0(VALU_DEP_2) | instskip(SKIP_1) | instid1(VALU_DEP_3)
	v_exp_f32_e32 v94, v73
	v_cndmask_b32_e32 v73, v102, v75, vcc_lo
	v_lshl_or_b32 v75, v72, 11, v74
	s_delay_alu instid0(VALU_DEP_3) | instskip(SKIP_1) | instid1(VALU_DEP_3)
	v_cmp_eq_u32_e64 s8, 7, v70
	v_fmac_f32_e32 v77, v98, v95
	v_lshl_or_b32 v69, v69, 4, v75
	s_delay_alu instid0(VALU_DEP_2)
	v_fmac_f32_e32 v77, v99, v96
	s_delay_alu instid0(TRANS32_DEP_1) | instid1(VALU_DEP_1)
	v_fmac_f32_e32 v77, v94, v97
	s_delay_alu instid0(VALU_DEP_1) | instskip(NEXT) | instid1(VALU_DEP_1)
	v_add_f32_e32 v95, 0x358637bd, v77
	v_div_scale_f32 v96, null, v95, v95, 1.0
	v_div_scale_f32 v101, vcc_lo, 1.0, v95, 1.0
	s_delay_alu instid0(VALU_DEP_2) | instskip(SKIP_2) | instid1(VALU_DEP_1)
	v_rcp_f32_e32 v97, v96
	s_waitcnt_depctr 0xfff
	v_fma_f32 v71, -v96, v97, 1.0
	v_fmac_f32_e32 v97, v71, v97
	v_cndmask_b32_e64 v71, v73, v103, s3
	v_cmp_eq_u32_e64 s3, 6, v72
	v_or_b32_e32 v73, 1, v70
	v_or_b32_e32 v72, 3, v70
	v_mul_f32_e32 v102, v101, v97
	v_cndmask_b32_e64 v71, v71, v104, s4
	v_cmp_eq_u32_e64 s4, 1, v70
	v_cmp_eq_u32_e64 s9, 1, v73
	;; [unrolled: 1-line block ×3, first 2 shown]
	v_fma_f32 v103, -v96, v102, v101
	v_cndmask_b32_e64 v100, v71, v100, s5
	v_or_b32_e32 v71, 2, v70
	v_cmp_eq_u32_e64 s5, 2, v70
	v_cmp_eq_u32_e64 s12, 2, v73
	v_fmac_f32_e32 v102, v103, v97
	v_cndmask_b32_e64 v98, v100, v98, s6
	v_cmp_eq_u32_e64 s10, 1, v71
	v_cmp_eq_u32_e64 s15, 2, v71
	;; [unrolled: 1-line block ×3, first 2 shown]
	v_fma_f32 v96, -v96, v102, v101
	v_cndmask_b32_e64 v98, v98, v99, s3
	v_cmp_eq_u32_e64 s13, 3, v73
	v_cmp_eq_u32_e64 s18, 3, v72
	;; [unrolled: 1-line block ×3, first 2 shown]
	v_div_fmas_f32 v96, v96, v97, v102
	v_cndmask_b32_e64 v94, v98, v94, s7
	v_cmp_eq_u32_e32 vcc_lo, 3, v70
	v_cmp_eq_u32_e64 s17, 3, v71
	v_cmp_eq_u32_e64 s19, 4, v73
	v_div_fixup_f32 v95, v96, v95, 1.0
	v_cmp_eq_u32_e64 s22, 4, v72
	v_cmp_eq_u32_e64 s6, 5, v70
	;; [unrolled: 1-line block ×4, first 2 shown]
	v_mul_f32_e32 v102, v94, v95
	v_cmp_eq_u32_e64 s24, 5, v72
	v_cmp_eq_u32_e64 s23, 5, v71
	;; [unrolled: 1-line block ×4, first 2 shown]
	v_fma_mixlo_f16 v94, v102, v79, 0
	v_fma_mixlo_f16 v95, v102, v81, 0
	v_fma_mixlo_f16 v96, v102, v83, 0
	v_fma_mixlo_f16 v97, v102, v85, 0
	v_fma_mixlo_f16 v98, v102, v87, 0
	v_fma_mixlo_f16 v99, v102, v89, 0
	v_fma_mixlo_f16 v100, v102, v91, 0
	v_fma_mixlo_f16 v101, v102, v93, 0
	v_fma_mixhi_f16 v94, v102, v78, 0
	v_fma_mixhi_f16 v95, v102, v80, 0
	;; [unrolled: 1-line block ×8, first 2 shown]
	ds_store_b128 v69, v[94:97]
	ds_store_b128 v69, v[98:101] offset:1024
	s_waitcnt lgkmcnt(0)
	s_barrier
	buffer_gl0_inv
	ds_load_b128 v[78:81], v75
	ds_load_b128 v[82:85], v75 offset:16
	ds_load_b128 v[86:89], v75 offset:1024
	;; [unrolled: 1-line block ×3, first 2 shown]
	v_cmp_eq_u32_e64 s7, 6, v70
	v_cmp_eq_u32_e64 s26, 6, v71
	;; [unrolled: 1-line block ×5, first 2 shown]
	s_waitcnt lgkmcnt(3)
	v_lshrrev_b32_e32 v94, 16, v78
	s_waitcnt lgkmcnt(2)
	v_lshrrev_b32_e32 v98, 16, v82
	;; [unrolled: 2-line block ×4, first 2 shown]
	v_lshrrev_b32_e32 v95, 16, v79
	v_cndmask_b32_e64 v110, v78, v94, s4
	v_cndmask_b32_e64 v111, v82, v98, s4
	;; [unrolled: 1-line block ×8, first 2 shown]
	v_lshrrev_b32_e32 v99, 16, v83
	v_cndmask_b32_e64 v94, v86, v102, s4
	v_cndmask_b32_e64 v98, v90, v106, s4
	;; [unrolled: 1-line block ×15, first 2 shown]
	v_lshrrev_b32_e32 v103, 16, v87
	v_lshrrev_b32_e32 v107, 16, v91
	v_cndmask_b32_e64 v113, v115, v83, s15
	v_cndmask_b32_e64 v82, v94, v87, s5
	;; [unrolled: 1-line block ×7, first 2 shown]
	v_cndmask_b32_e32 v90, v102, v95, vcc_lo
	v_cndmask_b32_e32 v102, v106, v99, vcc_lo
	v_cndmask_b32_e64 v106, v110, v95, s13
	v_cndmask_b32_e64 v110, v111, v99, s13
	v_cndmask_b32_e64 v78, v78, v95, s18
	v_cndmask_b32_e64 v79, v79, v99, s18
	v_lshrrev_b32_e32 v96, 16, v80
	v_lshrrev_b32_e32 v100, 16, v84
	v_cndmask_b32_e64 v111, v112, v95, s17
	v_cndmask_b32_e64 v112, v113, v99, s17
	v_cndmask_b32_e32 v82, v82, v103, vcc_lo
	v_cndmask_b32_e32 v83, v83, v107, vcc_lo
	v_cndmask_b32_e64 v94, v94, v103, s13
	v_cndmask_b32_e64 v90, v90, v80, s3
	;; [unrolled: 1-line block ×7, first 2 shown]
	v_lshrrev_b32_e32 v104, 16, v88
	v_cndmask_b32_e64 v106, v111, v80, s21
	v_cndmask_b32_e64 v110, v112, v84, s21
	;; [unrolled: 1-line block ×11, first 2 shown]
	v_lshrrev_b32_e32 v97, 16, v81
	v_lshrrev_b32_e32 v101, 16, v85
	v_cndmask_b32_e64 v99, v106, v96, s23
	v_cndmask_b32_e64 v102, v110, v100, s23
	v_cndmask_b32_e64 v83, v83, v104, s20
	v_cndmask_b32_e64 v94, v94, v81, s25
	v_cndmask_b32_e64 v95, v95, v85, s25
	v_cndmask_b32_e64 v78, v78, v81, s27
	v_cndmask_b32_e64 v79, v79, v85, s27
	v_lshrrev_b32_e32 v105, 16, v89
	v_cndmask_b32_e64 v80, v80, v104, s6
	v_cndmask_b32_e64 v84, v84, v81, s7
	;; [unrolled: 1-line block ×16, first 2 shown]
	v_perm_b32 v81, v79, v78, 0x5040100
	v_perm_b32 v79, v95, v85, 0x5040100
	v_cndmask_b32_e64 v78, v119, v91, s15
	v_cndmask_b32_e64 v85, v117, v91, s12
	;; [unrolled: 1-line block ×3, first 2 shown]
	v_perm_b32 v80, v94, v90, 0x5040100
	v_cndmask_b32_e64 v90, v98, v103, s17
	v_cndmask_b32_e64 v86, v86, v103, s18
	;; [unrolled: 1-line block ×5, first 2 shown]
	v_lshrrev_b32_e32 v108, 16, v92
	v_cndmask_b32_e64 v90, v90, v88, s21
	v_cndmask_b32_e64 v86, v86, v88, s22
	;; [unrolled: 1-line block ×11, first 2 shown]
	v_lshrrev_b32_e32 v109, 16, v93
	v_cndmask_b32_e64 v82, v82, v93, s7
	v_cndmask_b32_e64 v88, v88, v89, s26
	;; [unrolled: 1-line block ×12, first 2 shown]
	v_perm_b32 v78, v84, v83, 0x5040100
	v_perm_b32 v85, v87, v86, 0x5040100
	;; [unrolled: 1-line block ×5, first 2 shown]
	s_lshl_b32 s8, s33, 1
	s_mov_b32 s3, exec_lo
	ds_store_b128 v69, v[78:81]
	ds_store_b128 v69, v[82:85] offset:1024
	v_cmpx_gt_u32_e32 2, v0
	s_cbranch_execz .LBB1027_14
; %bb.13:
	v_or_b32_e32 v78, s31, v0
	s_load_b128 s[4:7], s[0:1], 0x58
	s_delay_alu instid0(VALU_DEP_1) | instskip(NEXT) | instid1(VALU_DEP_1)
	v_mad_u64_u32 v[79:80], null, s8, s34, v[78:79]
	v_mad_u64_u32 v[80:81], null, v79, s35, s[14:15]
	s_delay_alu instid0(VALU_DEP_1) | instskip(NEXT) | instid1(VALU_DEP_1)
	v_ashrrev_i32_e32 v81, 31, v80
	v_lshlrev_b64 v[78:79], 2, v[80:81]
	s_waitcnt lgkmcnt(0)
	s_delay_alu instid0(VALU_DEP_1) | instskip(NEXT) | instid1(VALU_DEP_2)
	v_add_co_u32 v80, vcc_lo, s6, v78
	v_add_co_ci_u32_e32 v81, vcc_lo, s7, v79, vcc_lo
	v_add_co_u32 v78, vcc_lo, s4, v78
	v_add_co_ci_u32_e32 v79, vcc_lo, s5, v79, vcc_lo
	global_store_b32 v[80:81], v76, off
	global_store_b32 v[78:79], v77, off
.LBB1027_14:
	s_or_b32 exec_lo, exec_lo, s3
	s_waitcnt lgkmcnt(0)
	s_waitcnt_vscnt null, 0x0
	s_barrier
	buffer_gl0_inv
	ds_load_b128 v[84:87], v74
	ds_load_b128 v[88:91], v74 offset:16
	ds_load_b128 v[96:99], v74 offset:2064
	;; [unrolled: 1-line block ×5, first 2 shown]
	v_cmp_eq_u32_e32 vcc_lo, 1, v70
	v_mov_b32_e32 v76, 0
	ds_load_b128 v[112:115], v74 offset:6160
	ds_load_b128 v[108:111], v74 offset:6144
	;; [unrolled: 1-line block ×4, first 2 shown]
	v_cmp_eq_u32_e64 s4, 1, v71
	v_cmp_eq_u32_e64 s3, 1, v73
	;; [unrolled: 1-line block ×3, first 2 shown]
	v_mov_b32_e32 v77, v76
	v_mov_b32_e32 v78, v76
	;; [unrolled: 1-line block ×7, first 2 shown]
	v_cmp_eq_u32_e64 s6, 3, v73
	v_cmp_eq_u32_e64 s7, 7, v73
	s_waitcnt lgkmcnt(8)
	s_delay_alu instid0(VALU_DEP_3)
	v_wmma_f32_16x16x16_f16 v[76:83], v[49:56], v[84:91], v[76:83]
	ds_load_b128 v[53:56], v74 offset:10256
	ds_load_b128 v[49:52], v74 offset:10240
	s_waitcnt lgkmcnt(8)
	v_wmma_f32_16x16x16_f16 v[76:83], v[41:48], v[92:99], v[76:83]
	ds_load_b128 v[45:48], v74 offset:12304
	ds_load_b128 v[41:44], v74 offset:12288
	s_waitcnt lgkmcnt(8)
	;; [unrolled: 4-line block ×3, first 2 shown]
	s_barrier
	buffer_gl0_inv
	v_wmma_f32_16x16x16_f16 v[76:83], v[1:8], v[108:115], v[76:83]
	s_delay_alu instid0(VALU_DEP_1) | instskip(NEXT) | instid1(VALU_DEP_1)
	v_wmma_f32_16x16x16_f16 v[76:83], v[9:16], v[116:123], v[76:83]
	v_wmma_f32_16x16x16_f16 v[76:83], v[17:24], v[49:56], v[76:83]
	s_delay_alu instid0(VALU_DEP_1) | instskip(NEXT) | instid1(VALU_DEP_1)
	v_wmma_f32_16x16x16_f16 v[76:83], v[25:32], v[41:48], v[76:83]
	v_wmma_f32_16x16x16_f16 v[76:83], v[57:64], v[33:40], v[76:83]
	s_delay_alu instid0(VALU_DEP_1) | instskip(NEXT) | instid1(VALU_DEP_2)
	v_cvt_f16_f32_e32 v1, v76
	v_cvt_f16_f32_e32 v2, v77
	s_delay_alu instid0(VALU_DEP_3) | instskip(NEXT) | instid1(VALU_DEP_4)
	v_cvt_f16_f32_e32 v3, v78
	v_cvt_f16_f32_e32 v4, v79
	;; [unrolled: 1-line block ×6, first 2 shown]
	v_pack_b32_f16 v1, v1, v2
	v_pack_b32_f16 v2, v3, v4
	;; [unrolled: 1-line block ×3, first 2 shown]
	s_delay_alu instid0(VALU_DEP_4)
	v_pack_b32_f16 v4, v7, v8
	ds_store_b128 v69, v[1:4]
	s_waitcnt lgkmcnt(0)
	s_barrier
	buffer_gl0_inv
	ds_load_b128 v[1:4], v75
	ds_load_b128 v[5:8], v75 offset:16
	s_waitcnt lgkmcnt(1)
	v_lshrrev_b32_e32 v9, 16, v1
	s_waitcnt lgkmcnt(0)
	v_lshrrev_b32_e32 v13, 16, v5
	v_lshrrev_b32_e32 v10, 16, v2
	;; [unrolled: 1-line block ×4, first 2 shown]
	v_cndmask_b32_e32 v17, v1, v9, vcc_lo
	v_cndmask_b32_e32 v18, v5, v13, vcc_lo
	v_cndmask_b32_e64 v21, v1, v9, s4
	v_cmp_eq_u32_e32 vcc_lo, 1, v72
	v_cndmask_b32_e64 v22, v5, v13, s4
	v_cmp_eq_u32_e64 s4, 2, v70
	v_cndmask_b32_e64 v19, v1, v9, s3
	v_cndmask_b32_e64 v20, v5, v13, s3
	v_cndmask_b32_e32 v1, v1, v9, vcc_lo
	v_cmp_eq_u32_e64 s3, 2, v72
	v_cndmask_b32_e32 v5, v5, v13, vcc_lo
	v_cndmask_b32_e64 v9, v17, v2, s4
	v_cmp_eq_u32_e32 vcc_lo, 3, v70
	v_cndmask_b32_e64 v13, v18, v6, s4
	v_cmp_eq_u32_e64 s4, 2, v71
	v_cndmask_b32_e64 v17, v19, v2, s5
	v_cndmask_b32_e64 v18, v20, v6, s5
	v_cmp_eq_u32_e64 s5, 3, v71
	v_cndmask_b32_e64 v1, v1, v2, s3
	v_cndmask_b32_e64 v19, v21, v2, s4
	;; [unrolled: 1-line block ×4, first 2 shown]
	v_cndmask_b32_e32 v5, v9, v10, vcc_lo
	v_cndmask_b32_e32 v6, v13, v14, vcc_lo
	v_cmp_eq_u32_e32 vcc_lo, 3, v72
	v_cndmask_b32_e64 v9, v17, v10, s6
	v_cndmask_b32_e64 v13, v18, v14, s6
	;; [unrolled: 1-line block ×3, first 2 shown]
	v_cmp_eq_u32_e64 s4, 4, v70
	v_cndmask_b32_e32 v1, v1, v10, vcc_lo
	v_cndmask_b32_e32 v2, v2, v14, vcc_lo
	v_cmp_eq_u32_e32 vcc_lo, 4, v73
	v_lshrrev_b32_e32 v15, 16, v7
	v_lshrrev_b32_e32 v16, 16, v8
	v_cndmask_b32_e64 v17, v19, v10, s5
	v_cmp_eq_u32_e64 s3, 4, v72
	v_cndmask_b32_e64 v5, v5, v3, s4
	v_cndmask_b32_e64 v6, v6, v7, s4
	v_cndmask_b32_e32 v9, v9, v3, vcc_lo
	v_cmp_eq_u32_e64 s4, 5, v73
	v_cndmask_b32_e32 v10, v13, v7, vcc_lo
	v_cmp_eq_u32_e32 vcc_lo, 4, v71
	v_cmp_eq_u32_e64 s5, 5, v70
	v_cndmask_b32_e64 v2, v2, v7, s3
	v_cndmask_b32_e64 v9, v9, v11, s4
	;; [unrolled: 1-line block ×3, first 2 shown]
	v_cndmask_b32_e32 v13, v17, v3, vcc_lo
	v_cmp_eq_u32_e64 s4, 5, v71
	v_cndmask_b32_e32 v14, v18, v7, vcc_lo
	v_cndmask_b32_e64 v1, v1, v3, s3
	v_cmp_eq_u32_e32 vcc_lo, 5, v72
	v_lshrrev_b32_e32 v12, 16, v4
	v_cndmask_b32_e64 v13, v13, v11, s4
	v_cndmask_b32_e64 v3, v14, v15, s4
	v_cmp_eq_u32_e64 s4, 6, v72
	v_cndmask_b32_e32 v1, v1, v11, vcc_lo
	v_cndmask_b32_e64 v5, v5, v11, s5
	v_cmp_eq_u32_e64 s6, 6, v70
	v_cndmask_b32_e64 v6, v6, v15, s5
	v_cmp_eq_u32_e64 s5, 6, v73
	v_cmp_eq_u32_e64 s3, 6, v71
	v_cndmask_b32_e64 v1, v1, v4, s4
	v_cndmask_b32_e32 v2, v2, v15, vcc_lo
	v_cmp_eq_u32_e32 vcc_lo, 7, v72
	v_cndmask_b32_e64 v5, v5, v4, s6
	v_cndmask_b32_e64 v9, v9, v4, s5
	;; [unrolled: 1-line block ×3, first 2 shown]
	v_cmp_eq_u32_e64 s6, 7, v70
	v_cndmask_b32_e32 v1, v1, v12, vcc_lo
	v_cndmask_b32_e64 v7, v13, v4, s3
	v_cndmask_b32_e64 v3, v3, v8, s3
	;; [unrolled: 1-line block ×3, first 2 shown]
	v_cmp_eq_u32_e64 s3, 7, v71
	v_cndmask_b32_e64 v4, v10, v8, s5
	v_cndmask_b32_e64 v5, v5, v12, s6
	;; [unrolled: 1-line block ×3, first 2 shown]
	v_cndmask_b32_e32 v2, v2, v16, vcc_lo
	v_cndmask_b32_e64 v7, v7, v12, s3
	v_cndmask_b32_e64 v3, v3, v16, s3
	;; [unrolled: 1-line block ×4, first 2 shown]
	v_perm_b32 v4, v2, v1, 0x5040100
	s_delay_alu instid0(VALU_DEP_4) | instskip(NEXT) | instid1(VALU_DEP_4)
	v_perm_b32 v3, v3, v7, 0x5040100
	v_perm_b32 v2, v8, v9, 0x5040100
	s_delay_alu instid0(VALU_DEP_4)
	v_perm_b32 v1, v6, v5, 0x5040100
	ds_store_b128 v69, v[1:4]
	s_waitcnt lgkmcnt(0)
	s_barrier
	buffer_gl0_inv
	s_and_saveexec_b32 s3, s2
	s_cbranch_execz .LBB1027_2
; %bb.15:
	s_load_b64 s[0:1], s[0:1], 0x68
	v_lshlrev_b32_e32 v0, 10, v0
	s_lshl_b32 s2, s35, 7
	v_lshlrev_b32_e32 v1, 4, v68
	v_mul_lo_u32 v4, s2, v67
	s_mul_i32 s3, s2, s34
	v_and_b32_e32 v0, 0x3800, v0
	s_mul_i32 s2, s3, s8
	s_delay_alu instid0(SALU_CYCLE_1) | instskip(NEXT) | instid1(VALU_DEP_1)
	s_ashr_i32 s3, s2, 31
	v_or3_b32 v0, v0, v66, v1
	s_lshl_b64 s[2:3], s[2:3], 1
	s_delay_alu instid0(VALU_DEP_3)
	v_ashrrev_i32_e32 v5, 31, v4
	ds_load_b128 v[0:3], v0
	v_lshlrev_b64 v[4:5], 1, v[4:5]
	s_waitcnt lgkmcnt(0)
	s_add_u32 s2, s0, s2
	s_addc_u32 s3, s1, s3
	s_lshl_b32 s0, s14, 7
	s_delay_alu instid0(SALU_CYCLE_1) | instskip(NEXT) | instid1(SALU_CYCLE_1)
	s_ashr_i32 s1, s0, 31
	s_lshl_b64 s[0:1], s[0:1], 1
	s_delay_alu instid0(SALU_CYCLE_1) | instskip(SKIP_3) | instid1(VALU_DEP_2)
	s_add_u32 s0, s2, s0
	s_addc_u32 s1, s3, s1
	v_add_co_u32 v4, vcc_lo, s0, v4
	v_add_co_ci_u32_e32 v5, vcc_lo, s1, v5, vcc_lo
	v_add_co_u32 v4, vcc_lo, v4, v65
	s_delay_alu instid0(VALU_DEP_2)
	v_add_co_ci_u32_e32 v5, vcc_lo, 0, v5, vcc_lo
	global_store_b128 v[4:5], v[0:3], off
	s_nop 0
	s_sendmsg sendmsg(MSG_DEALLOC_VGPRS)
	s_endpgm
	.section	.rodata,"a",@progbits
	.p2align	6, 0x0
	.amdhsa_kernel _Z39paged_attention_ll4mi_QKV_mfma16_kernelIDF16_hLN4vllm18Fp8KVCacheDataTypeE1EhLi32ELi128ELi256ELb1ELi2EL8MFMAType1EEvPKT_PKT0_S8_ifPKiSA_SA_iPKfiiiPfSD_PS3_PT2_iSC_SC_
		.amdhsa_group_segment_fixed_size 17472
		.amdhsa_private_segment_fixed_size 0
		.amdhsa_kernarg_size 400
		.amdhsa_user_sgpr_count 13
		.amdhsa_user_sgpr_dispatch_ptr 0
		.amdhsa_user_sgpr_queue_ptr 0
		.amdhsa_user_sgpr_kernarg_segment_ptr 1
		.amdhsa_user_sgpr_dispatch_id 0
		.amdhsa_user_sgpr_private_segment_size 0
		.amdhsa_wavefront_size32 1
		.amdhsa_uses_dynamic_stack 0
		.amdhsa_enable_private_segment 0
		.amdhsa_system_sgpr_workgroup_id_x 1
		.amdhsa_system_sgpr_workgroup_id_y 1
		.amdhsa_system_sgpr_workgroup_id_z 1
		.amdhsa_system_sgpr_workgroup_info 0
		.amdhsa_system_vgpr_workitem_id 0
		.amdhsa_next_free_vgpr 146
		.amdhsa_next_free_sgpr 39
		.amdhsa_reserve_vcc 1
		.amdhsa_float_round_mode_32 0
		.amdhsa_float_round_mode_16_64 0
		.amdhsa_float_denorm_mode_32 3
		.amdhsa_float_denorm_mode_16_64 3
		.amdhsa_dx10_clamp 1
		.amdhsa_ieee_mode 1
		.amdhsa_fp16_overflow 0
		.amdhsa_workgroup_processor_mode 1
		.amdhsa_memory_ordered 1
		.amdhsa_forward_progress 0
		.amdhsa_shared_vgpr_count 0
		.amdhsa_exception_fp_ieee_invalid_op 0
		.amdhsa_exception_fp_denorm_src 0
		.amdhsa_exception_fp_ieee_div_zero 0
		.amdhsa_exception_fp_ieee_overflow 0
		.amdhsa_exception_fp_ieee_underflow 0
		.amdhsa_exception_fp_ieee_inexact 0
		.amdhsa_exception_int_div_zero 0
	.end_amdhsa_kernel
	.section	.text._Z39paged_attention_ll4mi_QKV_mfma16_kernelIDF16_hLN4vllm18Fp8KVCacheDataTypeE1EhLi32ELi128ELi256ELb1ELi2EL8MFMAType1EEvPKT_PKT0_S8_ifPKiSA_SA_iPKfiiiPfSD_PS3_PT2_iSC_SC_,"axG",@progbits,_Z39paged_attention_ll4mi_QKV_mfma16_kernelIDF16_hLN4vllm18Fp8KVCacheDataTypeE1EhLi32ELi128ELi256ELb1ELi2EL8MFMAType1EEvPKT_PKT0_S8_ifPKiSA_SA_iPKfiiiPfSD_PS3_PT2_iSC_SC_,comdat
.Lfunc_end1027:
	.size	_Z39paged_attention_ll4mi_QKV_mfma16_kernelIDF16_hLN4vllm18Fp8KVCacheDataTypeE1EhLi32ELi128ELi256ELb1ELi2EL8MFMAType1EEvPKT_PKT0_S8_ifPKiSA_SA_iPKfiiiPfSD_PS3_PT2_iSC_SC_, .Lfunc_end1027-_Z39paged_attention_ll4mi_QKV_mfma16_kernelIDF16_hLN4vllm18Fp8KVCacheDataTypeE1EhLi32ELi128ELi256ELb1ELi2EL8MFMAType1EEvPKT_PKT0_S8_ifPKiSA_SA_iPKfiiiPfSD_PS3_PT2_iSC_SC_
                                        ; -- End function
	.section	.AMDGPU.csdata,"",@progbits
; Kernel info:
; codeLenInByte = 6456
; NumSgprs: 41
; NumVgprs: 146
; ScratchSize: 0
; MemoryBound: 0
; FloatMode: 240
; IeeeMode: 1
; LDSByteSize: 17472 bytes/workgroup (compile time only)
; SGPRBlocks: 5
; VGPRBlocks: 18
; NumSGPRsForWavesPerEU: 41
; NumVGPRsForWavesPerEU: 146
; Occupancy: 9
; WaveLimiterHint : 1
; COMPUTE_PGM_RSRC2:SCRATCH_EN: 0
; COMPUTE_PGM_RSRC2:USER_SGPR: 13
; COMPUTE_PGM_RSRC2:TRAP_HANDLER: 0
; COMPUTE_PGM_RSRC2:TGID_X_EN: 1
; COMPUTE_PGM_RSRC2:TGID_Y_EN: 1
; COMPUTE_PGM_RSRC2:TGID_Z_EN: 1
; COMPUTE_PGM_RSRC2:TIDIG_COMP_CNT: 0
	.section	.text._Z39paged_attention_ll4mi_QKV_mfma16_kernelIDF16_hLN4vllm18Fp8KVCacheDataTypeE1EhLi32ELi128ELi256ELb1ELi3EL8MFMAType1EEvPKT_PKT0_S8_ifPKiSA_SA_iPKfiiiPfSD_PS3_PT2_iSC_SC_,"axG",@progbits,_Z39paged_attention_ll4mi_QKV_mfma16_kernelIDF16_hLN4vllm18Fp8KVCacheDataTypeE1EhLi32ELi128ELi256ELb1ELi3EL8MFMAType1EEvPKT_PKT0_S8_ifPKiSA_SA_iPKfiiiPfSD_PS3_PT2_iSC_SC_,comdat
	.protected	_Z39paged_attention_ll4mi_QKV_mfma16_kernelIDF16_hLN4vllm18Fp8KVCacheDataTypeE1EhLi32ELi128ELi256ELb1ELi3EL8MFMAType1EEvPKT_PKT0_S8_ifPKiSA_SA_iPKfiiiPfSD_PS3_PT2_iSC_SC_ ; -- Begin function _Z39paged_attention_ll4mi_QKV_mfma16_kernelIDF16_hLN4vllm18Fp8KVCacheDataTypeE1EhLi32ELi128ELi256ELb1ELi3EL8MFMAType1EEvPKT_PKT0_S8_ifPKiSA_SA_iPKfiiiPfSD_PS3_PT2_iSC_SC_
	.globl	_Z39paged_attention_ll4mi_QKV_mfma16_kernelIDF16_hLN4vllm18Fp8KVCacheDataTypeE1EhLi32ELi128ELi256ELb1ELi3EL8MFMAType1EEvPKT_PKT0_S8_ifPKiSA_SA_iPKfiiiPfSD_PS3_PT2_iSC_SC_
	.p2align	8
	.type	_Z39paged_attention_ll4mi_QKV_mfma16_kernelIDF16_hLN4vllm18Fp8KVCacheDataTypeE1EhLi32ELi128ELi256ELb1ELi3EL8MFMAType1EEvPKT_PKT0_S8_ifPKiSA_SA_iPKfiiiPfSD_PS3_PT2_iSC_SC_,@function
_Z39paged_attention_ll4mi_QKV_mfma16_kernelIDF16_hLN4vllm18Fp8KVCacheDataTypeE1EhLi32ELi128ELi256ELb1ELi3EL8MFMAType1EEvPKT_PKT0_S8_ifPKiSA_SA_iPKfiiiPfSD_PS3_PT2_iSC_SC_: ; @_Z39paged_attention_ll4mi_QKV_mfma16_kernelIDF16_hLN4vllm18Fp8KVCacheDataTypeE1EhLi32ELi128ELi256ELb1ELi3EL8MFMAType1EEvPKT_PKT0_S8_ifPKiSA_SA_iPKfiiiPfSD_PS3_PT2_iSC_SC_
; %bb.0:
	s_load_b64 s[4:5], s[0:1], 0x30
	s_mov_b32 s34, s13
	s_waitcnt lgkmcnt(0)
	s_cmp_lg_u64 s[4:5], 0
	s_cselect_b32 s8, -1, 0
	s_ashr_i32 s35, s13, 31
	s_cmp_eq_u64 s[4:5], 0
	s_cbranch_scc1 .LBB1028_3
; %bb.1:
	s_lshl_b64 s[2:3], s[34:35], 2
	s_delay_alu instid0(SALU_CYCLE_1) | instskip(SKIP_4) | instid1(SALU_CYCLE_1)
	s_add_u32 s2, s4, s2
	s_addc_u32 s3, s5, s3
	s_load_b64 s[2:3], s[2:3], 0x0
	s_waitcnt lgkmcnt(0)
	s_sub_i32 s2, s3, s2
	s_cmp_eq_u32 s2, 1
	s_cselect_b32 s2, -1, 0
	s_delay_alu instid0(SALU_CYCLE_1)
	s_and_not1_b32 vcc_lo, exec_lo, s2
	s_cbranch_vccz .LBB1028_4
.LBB1028_2:
	s_nop 0
	s_sendmsg sendmsg(MSG_DEALLOC_VGPRS)
	s_endpgm
.LBB1028_3:
.LBB1028_4:
	s_load_b64 s[2:3], s[0:1], 0x28
	s_lshl_b64 s[6:7], s[34:35], 2
	s_waitcnt lgkmcnt(0)
	s_add_u32 s2, s2, s6
	s_addc_u32 s3, s3, s7
	s_lshl_b32 s12, s14, 8
	s_load_b32 s24, s[2:3], 0x0
	s_waitcnt lgkmcnt(0)
	s_cmp_ge_i32 s12, s24
	s_cbranch_scc1 .LBB1028_2
; %bb.5:
	s_clause 0x1
	s_load_b128 s[20:23], s[0:1], 0x8
	s_load_b64 s[2:3], s[0:1], 0x20
	s_and_not1_b32 vcc_lo, exec_lo, s8
	s_cbranch_vccnz .LBB1028_7
; %bb.6:
	s_add_u32 s4, s4, s6
	s_addc_u32 s5, s5, s7
	s_load_b32 s5, s[4:5], 0x0
	s_branch .LBB1028_8
.LBB1028_7:
	s_mov_b32 s5, s34
.LBB1028_8:
	s_load_b128 s[16:19], s[0:1], 0x48
	v_and_b32_e32 v68, 15, v0
	v_lshrrev_b32_e32 v69, 5, v0
	v_bfe_u32 v66, v0, 4, 1
	v_and_b32_e32 v70, 31, v0
	v_and_b32_e32 v67, 1, v0
	v_lshlrev_b32_e32 v2, 3, v68
	s_mul_i32 s31, s15, 3
	v_lshl_or_b32 v1, v69, 1, v66
	s_mov_b32 s4, exec_lo
	s_delay_alu instid0(VALU_DEP_2) | instskip(NEXT) | instid1(VALU_DEP_2)
	v_lshlrev_b32_e32 v65, 1, v2
	v_cmpx_gt_u32_e32 3, v1
	s_cbranch_execz .LBB1028_10
; %bb.9:
	s_load_b64 s[6:7], s[0:1], 0x0
	v_add_lshl_u32 v2, v1, s31, 7
	s_waitcnt lgkmcnt(0)
	s_mul_hi_i32 s9, s5, s16
	s_mul_i32 s8, s5, s16
	v_lshlrev_b32_e32 v6, 10, v68
	s_lshl_b64 s[8:9], s[8:9], 1
	v_ashrrev_i32_e32 v3, 31, v2
	v_lshlrev_b32_e32 v1, 6, v1
	v_lshlrev_b32_e32 v7, 10, v67
	v_and_b32_e32 v6, 0x3800, v6
	s_delay_alu instid0(VALU_DEP_4) | instskip(NEXT) | instid1(VALU_DEP_2)
	v_lshlrev_b64 v[2:3], 1, v[2:3]
	v_or3_b32 v1, v6, v7, v1
	s_add_u32 s5, s6, s8
	s_addc_u32 s6, s7, s9
	s_delay_alu instid0(VALU_DEP_2) | instskip(NEXT) | instid1(VALU_DEP_3)
	v_add_co_u32 v2, vcc_lo, s5, v2
	v_add_co_ci_u32_e32 v3, vcc_lo, s6, v3, vcc_lo
	s_delay_alu instid0(VALU_DEP_2) | instskip(NEXT) | instid1(VALU_DEP_2)
	v_add_co_u32 v2, vcc_lo, v2, v65
	v_add_co_ci_u32_e32 v3, vcc_lo, 0, v3, vcc_lo
	global_load_b128 v[2:5], v[2:3], off
	s_waitcnt vmcnt(0)
	ds_store_b128 v1, v[2:5]
.LBB1028_10:
	s_or_b32 exec_lo, exec_lo, s4
	v_and_b32_e32 v1, 0xef, v0
	s_waitcnt lgkmcnt(0)
	s_add_i32 s5, s24, 31
	s_clause 0x1
	s_load_b32 s4, s[0:1], 0x38
	s_load_b32 s33, s[0:1], 0x98
	s_ashr_i32 s6, s5, 31
	v_add_nc_u32_e32 v1, s12, v1
	s_lshr_b32 s6, s6, 27
	s_load_b32 s19, s[0:1], 0x1c
	s_add_i32 s5, s5, s6
	s_waitcnt lgkmcnt(0)
	v_ashrrev_i32_e32 v2, 31, v1
	v_or_b32_e32 v3, 16, v1
	s_ashr_i32 s13, s5, 5
	v_cmp_gt_i32_e32 vcc_lo, s24, v1
	s_add_i32 s13, s13, -1
	v_lshrrev_b32_e32 v2, 27, v2
	s_barrier
	buffer_gl0_inv
	s_mul_i32 s15, s15, s18
	v_add_nc_u32_e32 v4, v1, v2
	s_mul_i32 s4, s34, s4
	s_delay_alu instid0(SALU_CYCLE_1) | instskip(NEXT) | instid1(VALU_DEP_1)
	s_ashr_i32 s5, s4, 31
	v_ashrrev_i32_e32 v4, 5, v4
	v_add_nc_u32_e32 v2, v3, v2
	s_lshl_b64 s[4:5], s[4:5], 2
	s_delay_alu instid0(SALU_CYCLE_1) | instskip(NEXT) | instid1(VALU_DEP_2)
	s_add_u32 s16, s2, s4
	v_cndmask_b32_e32 v1, s13, v4, vcc_lo
	s_delay_alu instid0(VALU_DEP_2)
	v_ashrrev_i32_e32 v2, 5, v2
	v_cmp_gt_i32_e32 vcc_lo, s24, v3
	s_addc_u32 s25, s3, s5
	s_ashr_i32 s18, s15, 31
	s_add_u32 s2, s20, s15
	s_addc_u32 s3, s21, s18
	v_cndmask_b32_e32 v3, s13, v2, vcc_lo
	v_ashrrev_i32_e32 v2, 31, v1
	s_lshl_b32 s4, s14, 3
	s_delay_alu instid0(SALU_CYCLE_1) | instskip(NEXT) | instid1(VALU_DEP_2)
	s_ashr_i32 s5, s4, 31
	v_ashrrev_i32_e32 v4, 31, v3
	s_delay_alu instid0(VALU_DEP_2) | instskip(SKIP_1) | instid1(SALU_CYCLE_1)
	v_lshlrev_b64 v[1:2], 2, v[1:2]
	s_lshl_b64 s[4:5], s[4:5], 2
	s_add_u32 s4, s16, s4
	s_delay_alu instid0(VALU_DEP_2) | instskip(SKIP_1) | instid1(VALU_DEP_2)
	v_lshlrev_b64 v[3:4], 2, v[3:4]
	s_addc_u32 s5, s25, s5
	v_add_co_u32 v1, vcc_lo, s16, v1
	v_add_co_ci_u32_e32 v2, vcc_lo, s25, v2, vcc_lo
	s_delay_alu instid0(VALU_DEP_3) | instskip(NEXT) | instid1(VALU_DEP_4)
	v_add_co_u32 v3, vcc_lo, s16, v3
	v_add_co_ci_u32_e32 v4, vcc_lo, s25, v4, vcc_lo
	s_clause 0x1
	global_load_b32 v5, v[1:2], off
	global_load_b32 v6, v[3:4], off
	s_or_b32 s6, s12, 32
	s_delay_alu instid0(SALU_CYCLE_1) | instskip(SKIP_2) | instid1(SALU_CYCLE_1)
	s_ashr_i32 s7, s6, 5
	s_cmp_lt_i32 s6, s24
	s_cselect_b32 s6, s7, s13
	s_ashr_i32 s7, s6, 31
	s_delay_alu instid0(SALU_CYCLE_1) | instskip(NEXT) | instid1(SALU_CYCLE_1)
	s_lshl_b64 s[6:7], s[6:7], 2
	s_add_u32 s6, s16, s6
	s_addc_u32 s7, s25, s7
	s_or_b32 s8, s12, 64
	s_delay_alu instid0(SALU_CYCLE_1) | instskip(SKIP_2) | instid1(SALU_CYCLE_1)
	s_ashr_i32 s9, s8, 5
	s_cmp_lt_i32 s8, s24
	s_cselect_b32 s8, s9, s13
	s_ashr_i32 s9, s8, 31
	s_delay_alu instid0(SALU_CYCLE_1) | instskip(NEXT) | instid1(SALU_CYCLE_1)
	s_lshl_b64 s[8:9], s[8:9], 2
	s_add_u32 s8, s16, s8
	s_addc_u32 s9, s25, s9
	;; [unrolled: 10-line block ×5, first 2 shown]
	s_clause 0x5
	s_load_b32 s28, s[4:5], 0x0
	s_load_b32 s29, s[6:7], 0x0
	;; [unrolled: 1-line block ×6, first 2 shown]
	s_mov_b32 s4, 0
	s_delay_alu instid0(SALU_CYCLE_1)
	s_mov_b32 s5, s4
	s_mov_b32 s6, s4
	;; [unrolled: 1-line block ×7, first 2 shown]
	s_delay_alu instid0(SALU_CYCLE_1)
	v_dual_mov_b32 v118, s11 :: v_dual_mov_b32 v117, s10
	v_dual_mov_b32 v116, s9 :: v_dual_mov_b32 v115, s8
	v_mov_b32_e32 v113, s6
	v_dual_mov_b32 v111, s4 :: v_dual_mov_b32 v114, s7
	v_mov_b32_e32 v112, s5
	s_waitcnt vmcnt(1)
	v_mad_i64_i32 v[1:2], null, v5, s17, s[2:3]
	v_lshlrev_b32_e32 v5, 4, v68
	s_waitcnt vmcnt(0)
	v_mad_i64_i32 v[3:4], null, v6, s17, s[2:3]
	s_or_b32 s2, s12, 0xc0
	s_delay_alu instid0(SALU_CYCLE_1) | instskip(NEXT) | instid1(VALU_DEP_3)
	s_ashr_i32 s3, s2, 5
	v_add_co_u32 v1, vcc_lo, v1, v5
	s_delay_alu instid0(VALU_DEP_4) | instskip(NEXT) | instid1(VALU_DEP_3)
	v_add_co_ci_u32_e32 v2, vcc_lo, 0, v2, vcc_lo
	v_add_co_u32 v3, vcc_lo, v3, v5
	s_delay_alu instid0(VALU_DEP_4)
	v_add_co_ci_u32_e32 v4, vcc_lo, 0, v4, vcc_lo
	s_clause 0xf
	global_load_b128 v[17:20], v[1:2], off
	global_load_b128 v[21:24], v[1:2], off offset:512
	global_load_b128 v[25:28], v[3:4], off offset:256
	;; [unrolled: 1-line block ×15, first 2 shown]
	v_mul_lo_u16 v1, 0x56, v68
	s_cmp_lt_i32 s2, s24
	v_lshlrev_b32_e32 v2, 5, v68
	s_cselect_b32 s2, s3, s13
	s_delay_alu instid0(VALU_DEP_2) | instskip(SKIP_1) | instid1(SALU_CYCLE_1)
	v_lshrrev_b16 v1, 8, v1
	s_ashr_i32 s3, s2, 31
	s_lshl_b64 s[2:3], s[2:3], 2
	s_delay_alu instid0(VALU_DEP_1) | instskip(SKIP_3) | instid1(VALU_DEP_1)
	v_mul_lo_u16 v1, v1, 3
	s_add_u32 s2, s16, s2
	s_addc_u32 s3, s25, s3
	s_or_b32 s20, s12, 0xe0
	v_sub_nc_u16 v1, v68, v1
	s_ashr_i32 s21, s20, 5
	s_cmp_lt_i32 s20, s24
	s_cselect_b32 s20, s21, s13
	s_delay_alu instid0(VALU_DEP_1) | instskip(SKIP_1) | instid1(SALU_CYCLE_1)
	v_and_b32_e32 v1, 0xff, v1
	s_ashr_i32 s21, s20, 31
	s_lshl_b64 s[4:5], s[20:21], 2
	s_delay_alu instid0(VALU_DEP_1)
	v_lshlrev_b32_e32 v149, 6, v1
	s_add_u32 s4, s16, s4
	s_addc_u32 s5, s25, s5
	v_lshl_or_b32 v1, v69, 9, v2
	ds_load_b128 v[119:122], v149
	ds_load_b128 v[123:126], v149 offset:1024
	ds_load_b128 v[127:130], v149 offset:2048
	;; [unrolled: 1-line block ×3, first 2 shown]
	s_clause 0x1
	s_load_b32 s2, s[2:3], 0x0
	s_load_b32 s3, s[4:5], 0x0
	s_add_u32 s6, s22, s15
	s_addc_u32 s7, s23, s18
	v_add_co_u32 v135, s6, s6, v1
	s_delay_alu instid0(VALU_DEP_1) | instskip(SKIP_1) | instid1(VALU_DEP_1)
	v_add_co_ci_u32_e64 v136, null, s7, 0, s6
	s_waitcnt lgkmcnt(0)
	v_mad_i64_i32 v[1:2], null, s28, s17, v[135:136]
	v_mad_i64_i32 v[3:4], null, s29, s17, v[135:136]
	v_mad_i64_i32 v[5:6], null, s30, s17, v[135:136]
	v_mad_i64_i32 v[7:8], null, s35, s17, v[135:136]
	v_mad_i64_i32 v[143:144], null, s26, s17, v[135:136]
	v_mad_i64_i32 v[13:14], null, s36, s17, v[135:136]
	s_clause 0x9
	global_load_b128 v[49:52], v[1:2], off
	global_load_b128 v[53:56], v[1:2], off offset:16
	global_load_b128 v[41:44], v[3:4], off
	global_load_b128 v[45:48], v[3:4], off offset:16
	;; [unrolled: 2-line block ×5, first 2 shown]
	v_mad_i64_i32 v[145:146], null, s2, s17, v[135:136]
	v_mad_i64_i32 v[147:148], null, s3, s17, v[135:136]
	s_waitcnt vmcnt(24)
	v_wmma_f32_16x16x16_f16 v[135:142], v[17:24], v[119:126], v[111:118]
	s_waitcnt vmcnt(22)
	v_wmma_f32_16x16x16_f16 v[111:118], v[25:32], v[119:126], v[111:118]
	s_clause 0x3
	global_load_b128 v[17:20], v[143:144], off
	global_load_b128 v[21:24], v[143:144], off offset:16
	global_load_b128 v[25:28], v[145:146], off
	global_load_b128 v[29:32], v[145:146], off offset:16
	v_and_b32_e32 v119, 0xe0, v0
	s_waitcnt vmcnt(24)
	v_wmma_f32_16x16x16_f16 v[135:142], v[57:64], v[127:134], v[135:142]
	s_clause 0x1
	global_load_b128 v[57:60], v[147:148], off
	global_load_b128 v[61:64], v[147:148], off offset:16
	s_waitcnt vmcnt(24)
	v_wmma_f32_16x16x16_f16 v[111:118], v[71:78], v[127:134], v[111:118]
	ds_load_b128 v[71:74], v149 offset:4096
	ds_load_b128 v[75:78], v149 offset:5120
	v_add_nc_u32_e32 v128, s12, v119
	ds_load_b128 v[119:122], v149 offset:6144
	ds_load_b128 v[123:126], v149 offset:7168
	v_mbcnt_lo_u32_b32 v127, -1, 0
	s_waitcnt vmcnt(0) lgkmcnt(0)
	s_barrier
	v_or_b32_e32 v128, v128, v66
	buffer_gl0_inv
	v_xor_b32_e32 v129, 16, v127
	v_or_b32_e32 v130, 4, v128
	v_or_b32_e32 v131, 6, v128
	s_delay_alu instid0(VALU_DEP_3) | instskip(SKIP_4) | instid1(VALU_DEP_4)
	v_cmp_gt_i32_e32 vcc_lo, 32, v129
	v_or_b32_e32 v132, 8, v128
	v_or_b32_e32 v133, 10, v128
	v_cmp_gt_i32_e64 s3, s24, v130
	v_cmp_gt_i32_e64 s4, s24, v131
	;; [unrolled: 1-line block ×3, first 2 shown]
	v_wmma_f32_16x16x16_f16 v[135:142], v[79:86], v[71:78], v[135:142]
	v_wmma_f32_16x16x16_f16 v[111:118], v[87:94], v[71:78], v[111:118]
	v_or_b32_e32 v79, 12, v128
	v_or_b32_e32 v80, 14, v128
	v_cmp_gt_i32_e64 s6, s24, v133
	v_wmma_f32_16x16x16_f16 v[135:142], v[95:102], v[119:126], v[135:142]
	v_cndmask_b32_e32 v127, v127, v129, vcc_lo
	v_or_b32_e32 v129, 2, v128
	v_wmma_f32_16x16x16_f16 v[111:118], v[103:110], v[119:126], v[111:118]
	v_cmp_gt_i32_e32 vcc_lo, s24, v128
	v_dual_mul_f32 v88, s19, v135 :: v_dual_mul_f32 v87, s19, v136
	s_delay_alu instid0(VALU_DEP_4) | instskip(NEXT) | instid1(VALU_DEP_4)
	v_cmp_gt_i32_e64 s2, s24, v129
	v_mul_f32_e32 v94, s19, v113
	v_mul_f32_e32 v78, s19, v138
	;; [unrolled: 1-line block ×3, first 2 shown]
	v_cndmask_b32_e32 v88, 0xff7fffff, v88, vcc_lo
	v_cndmask_b32_e64 v87, 0xff7fffff, v87, s2
	v_dual_mul_f32 v76, s19, v140 :: v_dual_mul_f32 v77, s19, v139
	v_mul_f32_e32 v90, s19, v117
	v_cndmask_b32_e64 v86, 0xff7fffff, v86, s3
	v_cndmask_b32_e64 v78, 0xff7fffff, v78, s4
	v_max3_f32 v87, v88, 0xff7fffff, v87
	v_or_b32_e32 v81, 16, v128
	v_or_b32_e32 v82, 18, v128
	v_dual_mul_f32 v74, s19, v142 :: v_dual_mul_f32 v75, s19, v141
	v_mul_f32_e32 v92, s19, v115
	v_cndmask_b32_e64 v77, 0xff7fffff, v77, s5
	v_cndmask_b32_e64 v76, 0xff7fffff, v76, s6
	v_max3_f32 v78, v87, v86, v78
	v_cmp_gt_i32_e64 s7, s24, v79
	v_cmp_gt_i32_e64 s8, s24, v80
	v_or_b32_e32 v83, 20, v128
	v_or_b32_e32 v84, 22, v128
	v_dual_mul_f32 v89, s19, v118 :: v_dual_mul_f32 v96, s19, v111
	v_mul_f32_e32 v95, s19, v112
	v_cndmask_b32_e64 v75, 0xff7fffff, v75, s7
	v_cndmask_b32_e64 v74, 0xff7fffff, v74, s8
	v_max3_f32 v76, v78, v77, v76
	v_cmp_gt_i32_e64 s9, s24, v81
	v_cmp_gt_i32_e64 s10, s24, v82
	v_or_b32_e32 v85, 24, v128
	v_or_b32_e32 v71, 26, v128
	v_mul_f32_e32 v93, s19, v114
	v_cndmask_b32_e64 v77, 0xff7fffff, v96, s9
	v_cndmask_b32_e64 v78, 0xff7fffff, v95, s10
	v_max3_f32 v74, v76, v75, v74
	v_cmp_gt_i32_e64 s11, s24, v83
	v_cmp_gt_i32_e64 s12, s24, v84
	v_or_b32_e32 v72, 28, v128
	v_or_b32_e32 v73, 30, v128
	v_mul_f32_e32 v91, s19, v116
	v_cndmask_b32_e64 v75, 0xff7fffff, v94, s11
	v_cndmask_b32_e64 v76, 0xff7fffff, v93, s12
	v_max3_f32 v74, v74, v77, v78
	v_cmp_gt_i32_e64 s13, s24, v85
	v_cmp_gt_i32_e64 s15, s24, v71
	;; [unrolled: 1-line block ×4, first 2 shown]
	v_max3_f32 v74, v74, v75, v76
	v_cndmask_b32_e64 v77, 0xff7fffff, v92, s13
	v_cndmask_b32_e64 v71, 0xff7fffff, v91, s15
	;; [unrolled: 1-line block ×4, first 2 shown]
	s_delay_alu instid0(VALU_DEP_3) | instskip(SKIP_1) | instid1(VALU_DEP_2)
	v_max3_f32 v71, v74, v77, v71
	v_lshlrev_b32_e32 v74, 2, v127
	v_max3_f32 v71, v71, v72, v73
	ds_bpermute_b32 v72, v74, v71
	s_waitcnt lgkmcnt(0)
	v_max_f32_e32 v72, v72, v72
	s_delay_alu instid0(VALU_DEP_1) | instskip(NEXT) | instid1(VALU_DEP_1)
	v_max_f32_e32 v71, v71, v72
	v_fma_f32 v75, s19, v137, -v71
	v_fma_f32 v76, s19, v138, -v71
	;; [unrolled: 1-line block ×5, first 2 shown]
	s_delay_alu instid0(VALU_DEP_4) | instskip(NEXT) | instid1(VALU_DEP_4)
	v_dual_mul_f32 v75, 0x3fb8aa3b, v75 :: v_dual_mul_f32 v76, 0x3fb8aa3b, v76
	v_mul_f32_e32 v72, 0x3fb8aa3b, v72
	v_fma_f32 v77, s19, v139, -v71
	s_delay_alu instid0(VALU_DEP_4) | instskip(NEXT) | instid1(VALU_DEP_4)
	v_mul_f32_e32 v73, 0x3fb8aa3b, v73
	v_exp_f32_e32 v75, v75
	v_exp_f32_e32 v76, v76
	;; [unrolled: 1-line block ×3, first 2 shown]
	s_delay_alu instid0(VALU_DEP_1) | instskip(SKIP_2) | instid1(TRANS32_DEP_3)
	v_exp_f32_e32 v73, v73
	v_cndmask_b32_e64 v81, 0, v75, s3
	v_mul_f32_e32 v82, 0x3fb8aa3b, v80
	v_cndmask_b32_e64 v80, 0, v76, s4
	s_waitcnt_depctr 0xfff
	v_cndmask_b32_e64 v78, 0, v73, s2
	v_cmp_gt_u32_e64 s2, 16, v70
	v_exp_f32_e32 v84, v82
	s_waitcnt_depctr 0xfff
	v_cndmask_b32_e64 v85, 0, v84, s7
	v_cndmask_b32_e32 v79, 0, v72, vcc_lo
	v_fma_f32 v72, s19, v140, -v71
	v_mul_f32_e32 v77, 0x3fb8aa3b, v77
	s_delay_alu instid0(VALU_DEP_2) | instskip(NEXT) | instid1(VALU_DEP_2)
	v_dual_add_f32 v73, 0, v79 :: v_dual_mul_f32 v72, 0x3fb8aa3b, v72
	v_exp_f32_e32 v77, v77
	s_delay_alu instid0(VALU_DEP_1) | instskip(NEXT) | instid1(VALU_DEP_2)
	v_add_f32_e32 v73, v73, v78
	v_exp_f32_e32 v72, v72
	s_delay_alu instid0(VALU_DEP_1) | instskip(SKIP_4) | instid1(VALU_DEP_2)
	v_add_f32_e32 v73, v73, v81
	s_waitcnt_depctr 0xfff
	v_cndmask_b32_e64 v83, 0, v77, s5
	v_add_f32_e32 v73, v73, v80
	v_cndmask_b32_e64 v82, 0, v72, s6
	v_add_f32_e32 v72, v73, v83
	s_delay_alu instid0(VALU_DEP_1)
	v_add_f32_e32 v72, v72, v82
	v_fma_f32 v75, s19, v142, -v71
	v_fma_f32 v76, s19, v111, -v71
	;; [unrolled: 1-line block ×5, first 2 shown]
	s_delay_alu instid0(VALU_DEP_4) | instskip(NEXT) | instid1(VALU_DEP_4)
	v_dual_mul_f32 v75, 0x3fb8aa3b, v75 :: v_dual_mul_f32 v76, 0x3fb8aa3b, v76
	v_mul_f32_e32 v86, 0x3fb8aa3b, v86
	v_add_f32_e32 v72, v72, v85
	s_delay_alu instid0(VALU_DEP_3) | instskip(NEXT) | instid1(VALU_DEP_3)
	v_exp_f32_e32 v75, v75
	v_exp_f32_e32 v76, v76
	s_delay_alu instid0(VALU_DEP_2) | instskip(NEXT) | instid1(TRANS32_DEP_3)
	v_exp_f32_e32 v88, v86
	v_cndmask_b32_e64 v84, 0, v75, s8
	v_mul_f32_e32 v77, 0x3fb8aa3b, v77
	s_waitcnt_depctr 0xfff
	v_cndmask_b32_e64 v87, 0, v76, s9
	v_fma_f32 v76, s19, v116, -v71
	v_dual_mul_f32 v73, 0x3fb8aa3b, v73 :: v_dual_add_f32 v72, v72, v84
	v_exp_f32_e32 v77, v77
	v_fma_f32 v75, s19, v115, -v71
	s_delay_alu instid0(VALU_DEP_3) | instskip(NEXT) | instid1(VALU_DEP_3)
	v_mul_f32_e32 v76, 0x3fb8aa3b, v76
	v_exp_f32_e32 v73, v73
	v_add_f32_e32 v72, v72, v87
	v_cndmask_b32_e64 v88, 0, v88, s12
	s_delay_alu instid0(VALU_DEP_3) | instskip(NEXT) | instid1(TRANS32_DEP_3)
	v_exp_f32_e32 v76, v76
	v_cndmask_b32_e64 v86, 0, v77, s10
	v_mul_f32_e32 v75, 0x3fb8aa3b, v75
	v_fma_f32 v77, s19, v117, -v71
	s_delay_alu instid0(TRANS32_DEP_2) | instskip(NEXT) | instid1(VALU_DEP_4)
	v_cndmask_b32_e64 v89, 0, v73, s11
	v_add_f32_e32 v72, v72, v86
	s_delay_alu instid0(VALU_DEP_4) | instskip(NEXT) | instid1(TRANS32_DEP_2)
	v_exp_f32_e32 v75, v75
	v_cndmask_b32_e64 v90, 0, v76, s15
	s_delay_alu instid0(VALU_DEP_2) | instskip(SKIP_2) | instid1(VALU_DEP_3)
	v_add_f32_e32 v72, v72, v89
	v_mul_f32_e32 v73, 0x3fb8aa3b, v77
	v_fma_f32 v77, s19, v118, -v71
	v_add_f32_e32 v72, v72, v88
	s_delay_alu instid0(VALU_DEP_3) | instskip(NEXT) | instid1(TRANS32_DEP_2)
	v_exp_f32_e32 v73, v73
	v_cndmask_b32_e64 v91, 0, v75, s13
	s_delay_alu instid0(VALU_DEP_1) | instskip(NEXT) | instid1(VALU_DEP_1)
	v_dual_mul_f32 v75, 0x3fb8aa3b, v77 :: v_dual_add_f32 v72, v72, v91
	v_exp_f32_e32 v75, v75
	s_waitcnt_depctr 0xfff
	v_cndmask_b32_e64 v93, 0, v73, s16
	v_add_f32_e32 v72, v72, v90
	s_delay_alu instid0(VALU_DEP_1) | instskip(SKIP_1) | instid1(VALU_DEP_1)
	v_add_f32_e32 v72, v72, v93
	v_cndmask_b32_e64 v92, 0, v75, s17
	v_add_f32_e32 v72, v72, v92
	ds_bpermute_b32 v73, v74, v72
	s_and_saveexec_b32 s3, s2
	s_cbranch_execz .LBB1028_12
; %bb.11:
	v_mul_u32_u24_e32 v70, 0x44, v69
	s_waitcnt lgkmcnt(0)
	v_add_f32_e32 v72, v72, v73
	s_delay_alu instid0(VALU_DEP_2) | instskip(NEXT) | instid1(VALU_DEP_1)
	v_lshl_add_u32 v70, v68, 2, v70
	v_add_nc_u32_e32 v70, 0x4000, v70
	ds_store_2addr_b32 v70, v71, v72 offset1:136
.LBB1028_12:
	s_or_b32 exec_lo, exec_lo, s3
	v_lshlrev_b32_e32 v70, 2, v68
	s_load_b32 s35, s[0:1], 0x94
	s_waitcnt lgkmcnt(0)
	s_barrier
	buffer_gl0_inv
	v_add_nc_u32_e32 v98, 0x4000, v70
	v_cmp_eq_u32_e32 vcc_lo, 1, v69
	v_cmp_eq_u32_e64 s3, 2, v69
	v_cmp_eq_u32_e64 s4, 3, v69
	;; [unrolled: 1-line block ×3, first 2 shown]
	ds_load_2addr_b32 v[70:71], v98 offset1:17
	ds_load_2addr_b32 v[72:73], v98 offset0:34 offset1:51
	ds_load_2addr_b32 v[74:75], v98 offset0:68 offset1:85
	;; [unrolled: 1-line block ×3, first 2 shown]
	v_cmp_eq_u32_e64 s6, 5, v69
	v_cmp_eq_u32_e64 s7, 7, v69
	s_waitcnt lgkmcnt(3)
	v_max3_f32 v76, v70, 0xff7fffff, v71
	s_waitcnt lgkmcnt(2)
	s_delay_alu instid0(VALU_DEP_1) | instskip(SKIP_1) | instid1(VALU_DEP_1)
	v_max3_f32 v76, v76, v72, v73
	s_waitcnt lgkmcnt(1)
	v_max3_f32 v76, v76, v74, v75
	s_waitcnt lgkmcnt(0)
	s_delay_alu instid0(VALU_DEP_1) | instskip(NEXT) | instid1(VALU_DEP_1)
	v_max3_f32 v76, v76, v94, v95
	v_sub_f32_e32 v77, v71, v76
	ds_load_2addr_b32 v[96:97], v98 offset0:136 offset1:153
	v_sub_f32_e32 v74, v74, v76
	v_sub_f32_e32 v70, v70, v76
	;; [unrolled: 1-line block ×3, first 2 shown]
	v_dual_sub_f32 v72, v72, v76 :: v_dual_mul_f32 v77, 0x3fb8aa3b, v77
	s_delay_alu instid0(VALU_DEP_4) | instskip(NEXT) | instid1(VALU_DEP_4)
	v_mul_f32_e32 v103, 0x3fb8aa3b, v74
	v_mul_f32_e32 v99, 0x3fb8aa3b, v70
	ds_load_2addr_b32 v[70:71], v98 offset0:170 offset1:187
	v_dual_mul_f32 v101, 0x3fb8aa3b, v72 :: v_dual_mul_f32 v94, 0x3fb8aa3b, v94
	v_exp_f32_e32 v102, v77
	v_exp_f32_e32 v99, v99
	s_delay_alu instid0(VALU_DEP_1) | instskip(NEXT) | instid1(VALU_DEP_1)
	v_exp_f32_e32 v101, v101
	v_exp_f32_e32 v94, v94
	s_waitcnt lgkmcnt(1)
	s_delay_alu instid0(TRANS32_DEP_3)
	v_fma_f32 v77, v99, v96, 0
	v_sub_f32_e32 v100, v73, v76
	ds_load_2addr_b32 v[72:73], v98 offset0:204 offset1:221
	v_fmac_f32_e32 v77, v102, v97
	v_exp_f32_e32 v97, v103
	s_waitcnt lgkmcnt(1)
	s_delay_alu instid0(VALU_DEP_1)
	v_dual_fmac_f32 v77, v101, v70 :: v_dual_sub_f32 v96, v75, v76
	ds_load_2addr_b32 v[74:75], v98 offset0:238 offset1:255
	v_sub_f32_e32 v70, v95, v76
	s_waitcnt lgkmcnt(0)
	s_barrier
	v_mul_f32_e32 v96, 0x3fb8aa3b, v96
	buffer_gl0_inv
	v_exp_f32_e32 v95, v96
	v_mul_f32_e32 v100, 0x3fb8aa3b, v100
	s_delay_alu instid0(VALU_DEP_1) | instskip(SKIP_3) | instid1(VALU_DEP_2)
	v_exp_f32_e32 v100, v100
	s_waitcnt_depctr 0xfff
	v_dual_fmac_f32 v77, v100, v71 :: v_dual_mul_f32 v70, 0x3fb8aa3b, v70
	v_cndmask_b32_e32 v71, v99, v102, vcc_lo
	v_fmac_f32_e32 v77, v97, v72
	s_delay_alu instid0(VALU_DEP_3) | instskip(NEXT) | instid1(VALU_DEP_1)
	v_exp_f32_e32 v96, v70
	v_fmac_f32_e32 v77, v95, v73
	s_delay_alu instid0(VALU_DEP_1) | instskip(SKIP_2) | instid1(VALU_DEP_1)
	v_fmac_f32_e32 v77, v94, v74
	s_waitcnt_depctr 0xfff
	v_fmac_f32_e32 v77, v96, v75
	v_add_f32_e32 v74, 0x358637bd, v77
	s_delay_alu instid0(VALU_DEP_1) | instskip(SKIP_1) | instid1(VALU_DEP_2)
	v_div_scale_f32 v98, null, v74, v74, 1.0
	v_div_scale_f32 v99, vcc_lo, 1.0, v74, 1.0
	v_rcp_f32_e32 v103, v98
	s_waitcnt_depctr 0xfff
	v_fma_f32 v70, -v98, v103, 1.0
	s_delay_alu instid0(VALU_DEP_1) | instskip(SKIP_2) | instid1(VALU_DEP_2)
	v_fmac_f32_e32 v103, v70, v103
	v_cndmask_b32_e64 v70, v71, v101, s3
	v_cmp_eq_u32_e64 s3, 6, v69
	v_cndmask_b32_e64 v71, v70, v100, s4
	s_delay_alu instid0(VALU_DEP_4) | instskip(NEXT) | instid1(VALU_DEP_2)
	v_dual_mul_f32 v101, v99, v103 :: v_dual_lshlrev_b32 v70, 2, v66
	v_cndmask_b32_e64 v71, v71, v97, s5
	s_delay_alu instid0(VALU_DEP_2) | instskip(NEXT) | instid1(VALU_DEP_3)
	v_or_b32_e32 v72, 1, v70
	v_fma_f32 v100, -v98, v101, v99
	v_cmp_eq_u32_e64 s4, 1, v70
	v_cmp_eq_u32_e64 s5, 2, v70
	v_cndmask_b32_e64 v95, v71, v95, s6
	v_or_b32_e32 v71, 3, v70
	v_fmac_f32_e32 v101, v100, v103
	v_cmp_eq_u32_e64 s9, 1, v72
	v_cmp_eq_u32_e64 s12, 2, v72
	v_cndmask_b32_e64 v94, v95, v94, s3
	v_cmp_eq_u32_e64 s11, 1, v71
	v_fma_f32 v97, -v98, v101, v99
	v_cmp_eq_u32_e64 s16, 2, v71
	v_cmp_eq_u32_e64 s13, 3, v72
	v_cndmask_b32_e64 v94, v94, v96, s7
	v_cmp_eq_u32_e64 s18, 3, v71
	v_div_fmas_f32 v95, v97, v103, v101
	v_cmp_eq_u32_e32 vcc_lo, 3, v70
	v_cmp_eq_u32_e64 s3, 4, v70
	v_cmp_eq_u32_e64 s19, 4, v72
	;; [unrolled: 1-line block ×3, first 2 shown]
	v_div_fixup_f32 v95, v95, v74, 1.0
	v_lshlrev_b32_e32 v73, 6, v68
	v_cmp_eq_u32_e64 s6, 5, v70
	v_cmp_eq_u32_e64 s20, 5, v72
	;; [unrolled: 1-line block ×3, first 2 shown]
	v_mul_f32_e32 v102, v94, v95
	v_lshl_or_b32 v75, v69, 11, v73
	v_or_b32_e32 v69, 2, v70
	v_cmp_eq_u32_e64 s25, 6, v72
	v_cmp_eq_u32_e64 s27, 6, v71
	v_fma_mixlo_f16 v94, v102, v79, 0
	v_fma_mixlo_f16 v95, v102, v81, 0
	;; [unrolled: 1-line block ×8, first 2 shown]
	v_lshl_or_b32 v74, v66, 4, v75
	v_fma_mixhi_f16 v94, v102, v78, 0
	v_fma_mixhi_f16 v95, v102, v80, 0
	;; [unrolled: 1-line block ×8, first 2 shown]
	ds_store_b128 v74, v[94:97]
	ds_store_b128 v74, v[98:101] offset:1024
	s_waitcnt lgkmcnt(0)
	s_barrier
	buffer_gl0_inv
	ds_load_b128 v[78:81], v75
	ds_load_b128 v[82:85], v75 offset:16
	ds_load_b128 v[86:89], v75 offset:1024
	;; [unrolled: 1-line block ×3, first 2 shown]
	v_cmp_eq_u32_e64 s10, 1, v69
	v_cmp_eq_u32_e64 s15, 2, v69
	;; [unrolled: 1-line block ×11, first 2 shown]
	s_waitcnt lgkmcnt(3)
	v_lshrrev_b32_e32 v94, 16, v78
	s_waitcnt lgkmcnt(2)
	v_lshrrev_b32_e32 v98, 16, v82
	;; [unrolled: 2-line block ×4, first 2 shown]
	v_lshrrev_b32_e32 v95, 16, v79
	v_cndmask_b32_e64 v110, v78, v94, s4
	v_cndmask_b32_e64 v111, v82, v98, s4
	;; [unrolled: 1-line block ×8, first 2 shown]
	v_lshrrev_b32_e32 v99, 16, v83
	v_cndmask_b32_e64 v94, v86, v102, s4
	v_cndmask_b32_e64 v98, v90, v106, s4
	;; [unrolled: 1-line block ×15, first 2 shown]
	v_lshrrev_b32_e32 v103, 16, v87
	v_lshrrev_b32_e32 v107, 16, v91
	v_cndmask_b32_e64 v113, v115, v83, s15
	v_cndmask_b32_e64 v82, v94, v87, s5
	;; [unrolled: 1-line block ×7, first 2 shown]
	v_cndmask_b32_e32 v90, v102, v95, vcc_lo
	v_cndmask_b32_e32 v102, v106, v99, vcc_lo
	v_cndmask_b32_e64 v106, v110, v95, s13
	v_cndmask_b32_e64 v110, v111, v99, s13
	;; [unrolled: 1-line block ×4, first 2 shown]
	v_lshrrev_b32_e32 v96, 16, v80
	v_lshrrev_b32_e32 v100, 16, v84
	v_cndmask_b32_e64 v111, v112, v95, s17
	v_cndmask_b32_e64 v112, v113, v99, s17
	v_cndmask_b32_e32 v82, v82, v103, vcc_lo
	v_cndmask_b32_e32 v83, v83, v107, vcc_lo
	v_cndmask_b32_e64 v94, v94, v103, s13
	v_cndmask_b32_e64 v90, v90, v80, s3
	;; [unrolled: 1-line block ×7, first 2 shown]
	v_lshrrev_b32_e32 v104, 16, v88
	v_cndmask_b32_e64 v106, v111, v80, s21
	v_cndmask_b32_e64 v110, v112, v84, s21
	;; [unrolled: 1-line block ×11, first 2 shown]
	v_lshrrev_b32_e32 v97, 16, v81
	v_lshrrev_b32_e32 v101, 16, v85
	v_cndmask_b32_e64 v99, v106, v96, s23
	v_cndmask_b32_e64 v102, v110, v100, s23
	v_cndmask_b32_e64 v83, v83, v104, s20
	v_cndmask_b32_e64 v94, v94, v81, s25
	v_cndmask_b32_e64 v95, v95, v85, s25
	v_cndmask_b32_e64 v78, v78, v81, s27
	v_cndmask_b32_e64 v79, v79, v85, s27
	v_lshrrev_b32_e32 v105, 16, v89
	v_cndmask_b32_e64 v80, v80, v104, s6
	v_cndmask_b32_e64 v84, v84, v81, s7
	;; [unrolled: 1-line block ×16, first 2 shown]
	v_perm_b32 v81, v79, v78, 0x5040100
	v_perm_b32 v79, v95, v85, 0x5040100
	v_cndmask_b32_e64 v78, v119, v91, s15
	v_cndmask_b32_e64 v85, v117, v91, s12
	v_cndmask_b32_e64 v96, v80, v105, s8
	v_perm_b32 v80, v94, v90, 0x5040100
	v_cndmask_b32_e64 v90, v98, v103, s17
	v_cndmask_b32_e64 v86, v86, v103, s18
	;; [unrolled: 1-line block ×5, first 2 shown]
	v_lshrrev_b32_e32 v108, 16, v92
	v_cndmask_b32_e64 v90, v90, v88, s21
	v_cndmask_b32_e64 v86, v86, v88, s22
	;; [unrolled: 1-line block ×11, first 2 shown]
	v_lshrrev_b32_e32 v109, 16, v93
	v_cndmask_b32_e64 v82, v82, v93, s7
	v_cndmask_b32_e64 v88, v88, v89, s26
	v_cndmask_b32_e64 v86, v86, v89, s27
	v_cndmask_b32_e64 v87, v87, v93, s27
	v_cndmask_b32_e64 v78, v78, v93, s26
	v_cndmask_b32_e64 v85, v85, v93, s25
	v_cndmask_b32_e64 v88, v88, v105, s28
	v_cndmask_b32_e64 v86, v86, v105, s29
	v_cndmask_b32_e64 v87, v87, v109, s29
	v_cndmask_b32_e64 v89, v78, v109, s28
	v_cndmask_b32_e64 v90, v85, v109, s30
	v_cndmask_b32_e64 v82, v82, v109, s8
	v_perm_b32 v78, v84, v83, 0x5040100
	v_perm_b32 v85, v87, v86, 0x5040100
	;; [unrolled: 1-line block ×5, first 2 shown]
	s_mul_i32 s8, s33, 3
	s_mov_b32 s3, exec_lo
	ds_store_b128 v74, v[78:81]
	ds_store_b128 v74, v[82:85] offset:1024
	v_cmpx_gt_u32_e32 3, v0
	s_cbranch_execz .LBB1028_14
; %bb.13:
	s_mul_i32 s4, s8, s34
	s_delay_alu instid0(SALU_CYCLE_1) | instskip(SKIP_1) | instid1(VALU_DEP_1)
	v_add3_u32 v68, s4, s31, v68
	s_load_b128 s[4:7], s[0:1], 0x58
	v_mad_u64_u32 v[78:79], null, v68, s35, s[14:15]
	s_delay_alu instid0(VALU_DEP_1) | instskip(NEXT) | instid1(VALU_DEP_1)
	v_ashrrev_i32_e32 v79, 31, v78
	v_lshlrev_b64 v[78:79], 2, v[78:79]
	s_waitcnt lgkmcnt(0)
	s_delay_alu instid0(VALU_DEP_1) | instskip(NEXT) | instid1(VALU_DEP_2)
	v_add_co_u32 v80, vcc_lo, s6, v78
	v_add_co_ci_u32_e32 v81, vcc_lo, s7, v79, vcc_lo
	v_add_co_u32 v78, vcc_lo, s4, v78
	v_add_co_ci_u32_e32 v79, vcc_lo, s5, v79, vcc_lo
	global_store_b32 v[80:81], v76, off
	global_store_b32 v[78:79], v77, off
.LBB1028_14:
	s_or_b32 exec_lo, exec_lo, s3
	s_waitcnt lgkmcnt(0)
	s_waitcnt_vscnt null, 0x0
	s_barrier
	buffer_gl0_inv
	ds_load_b128 v[84:87], v73
	ds_load_b128 v[88:91], v73 offset:16
	ds_load_b128 v[96:99], v73 offset:2064
	;; [unrolled: 1-line block ×5, first 2 shown]
	v_cmp_eq_u32_e32 vcc_lo, 1, v70
	v_mov_b32_e32 v76, 0
	ds_load_b128 v[112:115], v73 offset:6160
	ds_load_b128 v[108:111], v73 offset:6144
	;; [unrolled: 1-line block ×4, first 2 shown]
	v_cmp_eq_u32_e64 s4, 1, v69
	v_cmp_eq_u32_e64 s3, 1, v72
	;; [unrolled: 1-line block ×3, first 2 shown]
	v_mov_b32_e32 v77, v76
	v_mov_b32_e32 v78, v76
	;; [unrolled: 1-line block ×7, first 2 shown]
	v_cmp_eq_u32_e64 s6, 3, v72
	v_cmp_eq_u32_e64 s7, 7, v72
	s_waitcnt lgkmcnt(8)
	s_delay_alu instid0(VALU_DEP_3)
	v_wmma_f32_16x16x16_f16 v[76:83], v[49:56], v[84:91], v[76:83]
	ds_load_b128 v[53:56], v73 offset:10256
	ds_load_b128 v[49:52], v73 offset:10240
	s_waitcnt lgkmcnt(8)
	v_wmma_f32_16x16x16_f16 v[76:83], v[41:48], v[92:99], v[76:83]
	ds_load_b128 v[45:48], v73 offset:12304
	ds_load_b128 v[41:44], v73 offset:12288
	s_waitcnt lgkmcnt(8)
	;; [unrolled: 4-line block ×3, first 2 shown]
	s_barrier
	buffer_gl0_inv
	v_wmma_f32_16x16x16_f16 v[76:83], v[1:8], v[108:115], v[76:83]
	s_delay_alu instid0(VALU_DEP_1) | instskip(NEXT) | instid1(VALU_DEP_1)
	v_wmma_f32_16x16x16_f16 v[76:83], v[9:16], v[116:123], v[76:83]
	v_wmma_f32_16x16x16_f16 v[76:83], v[17:24], v[49:56], v[76:83]
	s_delay_alu instid0(VALU_DEP_1) | instskip(NEXT) | instid1(VALU_DEP_1)
	v_wmma_f32_16x16x16_f16 v[76:83], v[25:32], v[41:48], v[76:83]
	v_wmma_f32_16x16x16_f16 v[76:83], v[57:64], v[33:40], v[76:83]
	s_delay_alu instid0(VALU_DEP_1) | instskip(NEXT) | instid1(VALU_DEP_2)
	v_cvt_f16_f32_e32 v1, v76
	v_cvt_f16_f32_e32 v2, v77
	s_delay_alu instid0(VALU_DEP_3) | instskip(NEXT) | instid1(VALU_DEP_4)
	v_cvt_f16_f32_e32 v3, v78
	v_cvt_f16_f32_e32 v4, v79
	;; [unrolled: 1-line block ×6, first 2 shown]
	v_pack_b32_f16 v1, v1, v2
	v_pack_b32_f16 v2, v3, v4
	;; [unrolled: 1-line block ×3, first 2 shown]
	s_delay_alu instid0(VALU_DEP_4)
	v_pack_b32_f16 v4, v7, v8
	ds_store_b128 v74, v[1:4]
	s_waitcnt lgkmcnt(0)
	s_barrier
	buffer_gl0_inv
	ds_load_b128 v[1:4], v75
	ds_load_b128 v[5:8], v75 offset:16
	s_waitcnt lgkmcnt(1)
	v_lshrrev_b32_e32 v9, 16, v1
	s_waitcnt lgkmcnt(0)
	v_lshrrev_b32_e32 v13, 16, v5
	v_lshrrev_b32_e32 v10, 16, v2
	;; [unrolled: 1-line block ×4, first 2 shown]
	v_cndmask_b32_e32 v17, v1, v9, vcc_lo
	v_cndmask_b32_e32 v18, v5, v13, vcc_lo
	v_cndmask_b32_e64 v21, v1, v9, s4
	v_cmp_eq_u32_e32 vcc_lo, 1, v71
	v_cndmask_b32_e64 v22, v5, v13, s4
	v_cmp_eq_u32_e64 s4, 2, v70
	v_cndmask_b32_e64 v19, v1, v9, s3
	v_cndmask_b32_e64 v20, v5, v13, s3
	v_cndmask_b32_e32 v1, v1, v9, vcc_lo
	v_cmp_eq_u32_e64 s3, 2, v71
	v_cndmask_b32_e32 v5, v5, v13, vcc_lo
	v_cndmask_b32_e64 v9, v17, v2, s4
	v_cmp_eq_u32_e32 vcc_lo, 3, v70
	v_cndmask_b32_e64 v13, v18, v6, s4
	v_cmp_eq_u32_e64 s4, 2, v69
	v_cndmask_b32_e64 v17, v19, v2, s5
	v_cndmask_b32_e64 v18, v20, v6, s5
	v_cmp_eq_u32_e64 s5, 3, v69
	v_cndmask_b32_e64 v1, v1, v2, s3
	v_cndmask_b32_e64 v19, v21, v2, s4
	;; [unrolled: 1-line block ×4, first 2 shown]
	v_cndmask_b32_e32 v5, v9, v10, vcc_lo
	v_cndmask_b32_e32 v6, v13, v14, vcc_lo
	v_cmp_eq_u32_e32 vcc_lo, 3, v71
	v_cndmask_b32_e64 v9, v17, v10, s6
	v_cndmask_b32_e64 v13, v18, v14, s6
	v_cndmask_b32_e64 v18, v20, v14, s5
	v_cmp_eq_u32_e64 s4, 4, v70
	v_cndmask_b32_e32 v1, v1, v10, vcc_lo
	v_cndmask_b32_e32 v2, v2, v14, vcc_lo
	v_cmp_eq_u32_e32 vcc_lo, 4, v72
	v_lshrrev_b32_e32 v15, 16, v7
	v_lshrrev_b32_e32 v16, 16, v8
	v_cndmask_b32_e64 v17, v19, v10, s5
	v_cmp_eq_u32_e64 s3, 4, v71
	v_cndmask_b32_e64 v5, v5, v3, s4
	v_cndmask_b32_e64 v6, v6, v7, s4
	v_cndmask_b32_e32 v9, v9, v3, vcc_lo
	v_cmp_eq_u32_e64 s4, 5, v72
	v_cndmask_b32_e32 v10, v13, v7, vcc_lo
	v_cmp_eq_u32_e32 vcc_lo, 4, v69
	v_cmp_eq_u32_e64 s5, 5, v70
	v_cndmask_b32_e64 v2, v2, v7, s3
	v_cndmask_b32_e64 v9, v9, v11, s4
	;; [unrolled: 1-line block ×3, first 2 shown]
	v_cndmask_b32_e32 v13, v17, v3, vcc_lo
	v_cmp_eq_u32_e64 s4, 5, v69
	v_cndmask_b32_e32 v14, v18, v7, vcc_lo
	v_cndmask_b32_e64 v1, v1, v3, s3
	v_cmp_eq_u32_e32 vcc_lo, 5, v71
	v_lshrrev_b32_e32 v12, 16, v4
	v_cndmask_b32_e64 v13, v13, v11, s4
	v_cndmask_b32_e64 v3, v14, v15, s4
	v_cmp_eq_u32_e64 s4, 6, v71
	v_cndmask_b32_e32 v1, v1, v11, vcc_lo
	v_cndmask_b32_e64 v5, v5, v11, s5
	v_cmp_eq_u32_e64 s6, 6, v70
	v_cndmask_b32_e64 v6, v6, v15, s5
	v_cmp_eq_u32_e64 s5, 6, v72
	v_cmp_eq_u32_e64 s3, 6, v69
	v_cndmask_b32_e64 v1, v1, v4, s4
	v_cndmask_b32_e32 v2, v2, v15, vcc_lo
	v_cmp_eq_u32_e32 vcc_lo, 7, v71
	v_cndmask_b32_e64 v5, v5, v4, s6
	v_cndmask_b32_e64 v9, v9, v4, s5
	;; [unrolled: 1-line block ×3, first 2 shown]
	v_cmp_eq_u32_e64 s6, 7, v70
	v_cndmask_b32_e32 v1, v1, v12, vcc_lo
	v_cndmask_b32_e64 v7, v13, v4, s3
	v_cndmask_b32_e64 v3, v3, v8, s3
	;; [unrolled: 1-line block ×3, first 2 shown]
	v_cmp_eq_u32_e64 s3, 7, v69
	v_cndmask_b32_e64 v4, v10, v8, s5
	v_cndmask_b32_e64 v5, v5, v12, s6
	;; [unrolled: 1-line block ×3, first 2 shown]
	v_cndmask_b32_e32 v2, v2, v16, vcc_lo
	v_cndmask_b32_e64 v7, v7, v12, s3
	v_cndmask_b32_e64 v3, v3, v16, s3
	;; [unrolled: 1-line block ×4, first 2 shown]
	v_perm_b32 v4, v2, v1, 0x5040100
	s_mov_b32 s3, exec_lo
	v_perm_b32 v3, v3, v7, 0x5040100
	v_perm_b32 v2, v8, v9, 0x5040100
	;; [unrolled: 1-line block ×3, first 2 shown]
	ds_store_b128 v74, v[1:4]
	s_waitcnt lgkmcnt(0)
	s_barrier
	buffer_gl0_inv
	v_cmpx_gt_u32_e32 32, v0
	s_cbranch_execz .LBB1028_2
; %bb.15:
	s_load_b64 s[4:5], s[0:1], 0x68
	v_lshlrev_b32_e32 v0, 10, v0
	v_lshlrev_b32_e32 v2, 4, v67
	v_add_nc_u32_e32 v1, s31, v66
	s_lshl_b32 s0, s35, 7
	s_delay_alu instid0(SALU_CYCLE_1) | instskip(NEXT) | instid1(VALU_DEP_2)
	s_mul_i32 s1, s0, s34
	v_and_or_b32 v0, 0x3800, v0, v2
	s_mul_i32 s6, s1, s8
	v_mul_lo_u32 v1, v1, s0
	s_ashr_i32 s7, s6, 31
	s_delay_alu instid0(VALU_DEP_2) | instskip(SKIP_1) | instid1(VALU_DEP_2)
	v_lshl_or_b32 v3, v66, 6, v0
	s_lshl_b64 s[6:7], s[6:7], 1
	v_ashrrev_i32_e32 v2, 31, v1
	ds_load_b128 v[3:6], v3
	s_waitcnt lgkmcnt(0)
	s_add_u32 s1, s4, s6
	s_addc_u32 s3, s5, s7
	s_lshl_b32 s4, s14, 7
	v_lshlrev_b64 v[7:8], 1, v[1:2]
	s_ashr_i32 s5, s4, 31
	s_delay_alu instid0(SALU_CYCLE_1) | instskip(NEXT) | instid1(SALU_CYCLE_1)
	s_lshl_b64 s[4:5], s[4:5], 1
	s_add_u32 s1, s1, s4
	s_addc_u32 s3, s3, s5
	v_add_co_u32 v1, s1, s1, v65
	s_delay_alu instid0(VALU_DEP_1) | instskip(NEXT) | instid1(VALU_DEP_2)
	v_add_co_ci_u32_e64 v2, null, s3, 0, s1
	v_add_co_u32 v7, vcc_lo, v1, v7
	s_delay_alu instid0(VALU_DEP_2)
	v_add_co_ci_u32_e32 v8, vcc_lo, v2, v8, vcc_lo
	global_store_b128 v[7:8], v[3:6], off
	s_and_b32 exec_lo, exec_lo, s2
	s_cbranch_execz .LBB1028_2
; %bb.16:
	ds_load_b128 v[3:6], v0 offset:128
	s_add_i32 s1, s31, 2
	s_delay_alu instid0(SALU_CYCLE_1) | instskip(NEXT) | instid1(SALU_CYCLE_1)
	s_mul_i32 s0, s1, s0
	s_ashr_i32 s1, s0, 31
	s_delay_alu instid0(SALU_CYCLE_1) | instskip(NEXT) | instid1(SALU_CYCLE_1)
	s_lshl_b64 s[0:1], s[0:1], 1
	v_add_co_u32 v0, vcc_lo, v1, s0
	v_add_co_ci_u32_e32 v1, vcc_lo, s1, v2, vcc_lo
	s_waitcnt lgkmcnt(0)
	global_store_b128 v[0:1], v[3:6], off
	s_nop 0
	s_sendmsg sendmsg(MSG_DEALLOC_VGPRS)
	s_endpgm
	.section	.rodata,"a",@progbits
	.p2align	6, 0x0
	.amdhsa_kernel _Z39paged_attention_ll4mi_QKV_mfma16_kernelIDF16_hLN4vllm18Fp8KVCacheDataTypeE1EhLi32ELi128ELi256ELb1ELi3EL8MFMAType1EEvPKT_PKT0_S8_ifPKiSA_SA_iPKfiiiPfSD_PS3_PT2_iSC_SC_
		.amdhsa_group_segment_fixed_size 17472
		.amdhsa_private_segment_fixed_size 0
		.amdhsa_kernarg_size 400
		.amdhsa_user_sgpr_count 13
		.amdhsa_user_sgpr_dispatch_ptr 0
		.amdhsa_user_sgpr_queue_ptr 0
		.amdhsa_user_sgpr_kernarg_segment_ptr 1
		.amdhsa_user_sgpr_dispatch_id 0
		.amdhsa_user_sgpr_private_segment_size 0
		.amdhsa_wavefront_size32 1
		.amdhsa_uses_dynamic_stack 0
		.amdhsa_enable_private_segment 0
		.amdhsa_system_sgpr_workgroup_id_x 1
		.amdhsa_system_sgpr_workgroup_id_y 1
		.amdhsa_system_sgpr_workgroup_id_z 1
		.amdhsa_system_sgpr_workgroup_info 0
		.amdhsa_system_vgpr_workitem_id 0
		.amdhsa_next_free_vgpr 150
		.amdhsa_next_free_sgpr 37
		.amdhsa_reserve_vcc 1
		.amdhsa_float_round_mode_32 0
		.amdhsa_float_round_mode_16_64 0
		.amdhsa_float_denorm_mode_32 3
		.amdhsa_float_denorm_mode_16_64 3
		.amdhsa_dx10_clamp 1
		.amdhsa_ieee_mode 1
		.amdhsa_fp16_overflow 0
		.amdhsa_workgroup_processor_mode 1
		.amdhsa_memory_ordered 1
		.amdhsa_forward_progress 0
		.amdhsa_shared_vgpr_count 0
		.amdhsa_exception_fp_ieee_invalid_op 0
		.amdhsa_exception_fp_denorm_src 0
		.amdhsa_exception_fp_ieee_div_zero 0
		.amdhsa_exception_fp_ieee_overflow 0
		.amdhsa_exception_fp_ieee_underflow 0
		.amdhsa_exception_fp_ieee_inexact 0
		.amdhsa_exception_int_div_zero 0
	.end_amdhsa_kernel
	.section	.text._Z39paged_attention_ll4mi_QKV_mfma16_kernelIDF16_hLN4vllm18Fp8KVCacheDataTypeE1EhLi32ELi128ELi256ELb1ELi3EL8MFMAType1EEvPKT_PKT0_S8_ifPKiSA_SA_iPKfiiiPfSD_PS3_PT2_iSC_SC_,"axG",@progbits,_Z39paged_attention_ll4mi_QKV_mfma16_kernelIDF16_hLN4vllm18Fp8KVCacheDataTypeE1EhLi32ELi128ELi256ELb1ELi3EL8MFMAType1EEvPKT_PKT0_S8_ifPKiSA_SA_iPKfiiiPfSD_PS3_PT2_iSC_SC_,comdat
.Lfunc_end1028:
	.size	_Z39paged_attention_ll4mi_QKV_mfma16_kernelIDF16_hLN4vllm18Fp8KVCacheDataTypeE1EhLi32ELi128ELi256ELb1ELi3EL8MFMAType1EEvPKT_PKT0_S8_ifPKiSA_SA_iPKfiiiPfSD_PS3_PT2_iSC_SC_, .Lfunc_end1028-_Z39paged_attention_ll4mi_QKV_mfma16_kernelIDF16_hLN4vllm18Fp8KVCacheDataTypeE1EhLi32ELi128ELi256ELb1ELi3EL8MFMAType1EEvPKT_PKT0_S8_ifPKiSA_SA_iPKfiiiPfSD_PS3_PT2_iSC_SC_
                                        ; -- End function
	.section	.AMDGPU.csdata,"",@progbits
; Kernel info:
; codeLenInByte = 6604
; NumSgprs: 39
; NumVgprs: 150
; ScratchSize: 0
; MemoryBound: 0
; FloatMode: 240
; IeeeMode: 1
; LDSByteSize: 17472 bytes/workgroup (compile time only)
; SGPRBlocks: 4
; VGPRBlocks: 18
; NumSGPRsForWavesPerEU: 39
; NumVGPRsForWavesPerEU: 150
; Occupancy: 9
; WaveLimiterHint : 1
; COMPUTE_PGM_RSRC2:SCRATCH_EN: 0
; COMPUTE_PGM_RSRC2:USER_SGPR: 13
; COMPUTE_PGM_RSRC2:TRAP_HANDLER: 0
; COMPUTE_PGM_RSRC2:TGID_X_EN: 1
; COMPUTE_PGM_RSRC2:TGID_Y_EN: 1
; COMPUTE_PGM_RSRC2:TGID_Z_EN: 1
; COMPUTE_PGM_RSRC2:TIDIG_COMP_CNT: 0
	.section	.text._Z39paged_attention_ll4mi_QKV_mfma16_kernelIDF16_hLN4vllm18Fp8KVCacheDataTypeE1EhLi32ELi128ELi256ELb1ELi4EL8MFMAType1EEvPKT_PKT0_S8_ifPKiSA_SA_iPKfiiiPfSD_PS3_PT2_iSC_SC_,"axG",@progbits,_Z39paged_attention_ll4mi_QKV_mfma16_kernelIDF16_hLN4vllm18Fp8KVCacheDataTypeE1EhLi32ELi128ELi256ELb1ELi4EL8MFMAType1EEvPKT_PKT0_S8_ifPKiSA_SA_iPKfiiiPfSD_PS3_PT2_iSC_SC_,comdat
	.protected	_Z39paged_attention_ll4mi_QKV_mfma16_kernelIDF16_hLN4vllm18Fp8KVCacheDataTypeE1EhLi32ELi128ELi256ELb1ELi4EL8MFMAType1EEvPKT_PKT0_S8_ifPKiSA_SA_iPKfiiiPfSD_PS3_PT2_iSC_SC_ ; -- Begin function _Z39paged_attention_ll4mi_QKV_mfma16_kernelIDF16_hLN4vllm18Fp8KVCacheDataTypeE1EhLi32ELi128ELi256ELb1ELi4EL8MFMAType1EEvPKT_PKT0_S8_ifPKiSA_SA_iPKfiiiPfSD_PS3_PT2_iSC_SC_
	.globl	_Z39paged_attention_ll4mi_QKV_mfma16_kernelIDF16_hLN4vllm18Fp8KVCacheDataTypeE1EhLi32ELi128ELi256ELb1ELi4EL8MFMAType1EEvPKT_PKT0_S8_ifPKiSA_SA_iPKfiiiPfSD_PS3_PT2_iSC_SC_
	.p2align	8
	.type	_Z39paged_attention_ll4mi_QKV_mfma16_kernelIDF16_hLN4vllm18Fp8KVCacheDataTypeE1EhLi32ELi128ELi256ELb1ELi4EL8MFMAType1EEvPKT_PKT0_S8_ifPKiSA_SA_iPKfiiiPfSD_PS3_PT2_iSC_SC_,@function
_Z39paged_attention_ll4mi_QKV_mfma16_kernelIDF16_hLN4vllm18Fp8KVCacheDataTypeE1EhLi32ELi128ELi256ELb1ELi4EL8MFMAType1EEvPKT_PKT0_S8_ifPKiSA_SA_iPKfiiiPfSD_PS3_PT2_iSC_SC_: ; @_Z39paged_attention_ll4mi_QKV_mfma16_kernelIDF16_hLN4vllm18Fp8KVCacheDataTypeE1EhLi32ELi128ELi256ELb1ELi4EL8MFMAType1EEvPKT_PKT0_S8_ifPKiSA_SA_iPKfiiiPfSD_PS3_PT2_iSC_SC_
; %bb.0:
	s_load_b64 s[4:5], s[0:1], 0x30
	s_mov_b32 s30, s13
	s_waitcnt lgkmcnt(0)
	s_cmp_lg_u64 s[4:5], 0
	s_cselect_b32 s13, -1, 0
	s_ashr_i32 s31, s30, 31
	s_cmp_eq_u64 s[4:5], 0
	s_cbranch_scc1 .LBB1029_3
; %bb.1:
	s_lshl_b64 s[2:3], s[30:31], 2
	s_delay_alu instid0(SALU_CYCLE_1) | instskip(SKIP_4) | instid1(SALU_CYCLE_1)
	s_add_u32 s2, s4, s2
	s_addc_u32 s3, s5, s3
	s_load_b64 s[2:3], s[2:3], 0x0
	s_waitcnt lgkmcnt(0)
	s_sub_i32 s2, s3, s2
	s_cmp_eq_u32 s2, 1
	s_cselect_b32 s2, -1, 0
	s_delay_alu instid0(SALU_CYCLE_1)
	s_and_not1_b32 vcc_lo, exec_lo, s2
	s_cbranch_vccz .LBB1029_4
.LBB1029_2:
	s_endpgm
.LBB1029_3:
.LBB1029_4:
	s_load_b64 s[2:3], s[0:1], 0x28
	s_lshl_b64 s[6:7], s[30:31], 2
	s_waitcnt lgkmcnt(0)
	s_add_u32 s2, s2, s6
	s_addc_u32 s3, s3, s7
	s_lshl_b32 s12, s14, 8
	s_load_b32 s17, s[2:3], 0x0
	s_waitcnt lgkmcnt(0)
	s_cmp_ge_i32 s12, s17
	s_cbranch_scc1 .LBB1029_2
; %bb.5:
	s_clause 0x1
	s_load_b128 s[8:11], s[0:1], 0x8
	s_load_b64 s[2:3], s[0:1], 0x20
	s_and_not1_b32 vcc_lo, exec_lo, s13
	s_cbranch_vccnz .LBB1029_7
; %bb.6:
	s_add_u32 s4, s4, s6
	s_addc_u32 s5, s5, s7
	s_load_b32 s13, s[4:5], 0x0
	s_branch .LBB1029_8
.LBB1029_7:
	s_mov_b32 s13, s30
.LBB1029_8:
	s_load_b128 s[4:7], s[0:1], 0x48
	v_and_b32_e32 v69, 15, v0
	v_lshrrev_b32_e32 v68, 5, v0
	v_and_b32_e32 v70, 31, v0
	v_and_b32_e32 v67, 1, v0
	v_bfe_u32 v66, v0, 4, 1
	v_lshlrev_b32_e32 v1, 3, v69
	s_lshl_b32 s31, s15, 2
	s_waitcnt lgkmcnt(0)
	s_mov_b32 s7, exec_lo
	s_delay_alu instid0(VALU_DEP_1)
	v_lshlrev_b32_e32 v65, 1, v1
	v_cmpx_gt_u32_e32 64, v0
	s_cbranch_execz .LBB1029_10
; %bb.9:
	v_lshl_or_b32 v5, v68, 1, v66
	s_load_b64 s[18:19], s[0:1], 0x0
	s_mul_hi_i32 s21, s13, s4
	s_mul_i32 s20, s13, s4
	v_lshlrev_b32_e32 v6, 10, v69
	v_or_b32_e32 v1, s31, v5
	s_lshl_b64 s[20:21], s[20:21], 1
	v_lshlrev_b32_e32 v5, 6, v5
	v_lshlrev_b32_e32 v7, 10, v67
	v_and_b32_e32 v6, 0x3800, v6
	v_lshlrev_b32_e32 v1, 7, v1
	s_delay_alu instid0(VALU_DEP_2) | instskip(NEXT) | instid1(VALU_DEP_2)
	v_or3_b32 v5, v6, v7, v5
	v_ashrrev_i32_e32 v2, 31, v1
	s_delay_alu instid0(VALU_DEP_1) | instskip(SKIP_3) | instid1(VALU_DEP_1)
	v_lshlrev_b64 v[1:2], 1, v[1:2]
	s_waitcnt lgkmcnt(0)
	s_add_u32 s4, s18, s20
	s_addc_u32 s13, s19, s21
	v_add_co_u32 v1, vcc_lo, s4, v1
	s_delay_alu instid0(VALU_DEP_2) | instskip(NEXT) | instid1(VALU_DEP_2)
	v_add_co_ci_u32_e32 v2, vcc_lo, s13, v2, vcc_lo
	v_add_co_u32 v1, vcc_lo, v1, v65
	s_delay_alu instid0(VALU_DEP_2)
	v_add_co_ci_u32_e32 v2, vcc_lo, 0, v2, vcc_lo
	global_load_b128 v[1:4], v[1:2], off
	s_waitcnt vmcnt(0)
	ds_store_b128 v5, v[1:4]
.LBB1029_10:
	s_or_b32 exec_lo, exec_lo, s7
	v_and_b32_e32 v1, 0xef, v0
	s_add_i32 s4, s17, 31
	s_clause 0x1
	s_load_b32 s7, s[0:1], 0x38
	s_load_b32 s33, s[0:1], 0x98
	s_ashr_i32 s13, s4, 31
	v_add_nc_u32_e32 v1, s12, v1
	s_lshr_b32 s13, s13, 27
	s_load_b32 s18, s[0:1], 0x1c
	s_add_i32 s4, s4, s13
	s_waitcnt lgkmcnt(0)
	v_ashrrev_i32_e32 v2, 31, v1
	v_or_b32_e32 v3, 16, v1
	s_ashr_i32 s4, s4, 5
	v_cmp_gt_i32_e32 vcc_lo, s17, v1
	s_add_i32 s4, s4, -1
	v_lshrrev_b32_e32 v2, 27, v2
	s_barrier
	buffer_gl0_inv
	s_mul_i32 s15, s15, s6
	v_add_nc_u32_e32 v4, v1, v2
	s_mul_i32 s20, s30, s7
	s_delay_alu instid0(SALU_CYCLE_1) | instskip(NEXT) | instid1(VALU_DEP_1)
	s_ashr_i32 s21, s20, 31
	v_ashrrev_i32_e32 v4, 5, v4
	v_add_nc_u32_e32 v2, v3, v2
	s_lshl_b64 s[20:21], s[20:21], 2
	s_delay_alu instid0(SALU_CYCLE_1) | instskip(NEXT) | instid1(VALU_DEP_2)
	s_add_u32 s13, s2, s20
	v_cndmask_b32_e32 v1, s4, v4, vcc_lo
	s_delay_alu instid0(VALU_DEP_2)
	v_ashrrev_i32_e32 v2, 5, v2
	v_cmp_gt_i32_e32 vcc_lo, s17, v3
	s_addc_u32 s16, s3, s21
	s_ashr_i32 s19, s15, 31
	s_add_u32 s2, s8, s15
	s_addc_u32 s3, s9, s19
	v_cndmask_b32_e32 v3, s4, v2, vcc_lo
	v_ashrrev_i32_e32 v2, 31, v1
	s_lshl_b32 s6, s14, 3
	s_delay_alu instid0(SALU_CYCLE_1) | instskip(NEXT) | instid1(VALU_DEP_2)
	s_ashr_i32 s7, s6, 31
	v_ashrrev_i32_e32 v4, 31, v3
	s_delay_alu instid0(VALU_DEP_2) | instskip(SKIP_1) | instid1(SALU_CYCLE_1)
	v_lshlrev_b64 v[1:2], 2, v[1:2]
	s_lshl_b64 s[6:7], s[6:7], 2
	s_add_u32 s6, s13, s6
	s_delay_alu instid0(VALU_DEP_2) | instskip(SKIP_1) | instid1(VALU_DEP_2)
	v_lshlrev_b64 v[3:4], 2, v[3:4]
	s_addc_u32 s7, s16, s7
	v_add_co_u32 v1, vcc_lo, s13, v1
	v_add_co_ci_u32_e32 v2, vcc_lo, s16, v2, vcc_lo
	s_delay_alu instid0(VALU_DEP_3) | instskip(NEXT) | instid1(VALU_DEP_4)
	v_add_co_u32 v3, vcc_lo, s13, v3
	v_add_co_ci_u32_e32 v4, vcc_lo, s16, v4, vcc_lo
	s_clause 0x1
	global_load_b32 v5, v[1:2], off
	global_load_b32 v6, v[3:4], off
	s_or_b32 s8, s12, 32
	s_delay_alu instid0(SALU_CYCLE_1) | instskip(SKIP_2) | instid1(SALU_CYCLE_1)
	s_ashr_i32 s9, s8, 5
	s_cmp_lt_i32 s8, s17
	s_cselect_b32 s8, s9, s4
	s_ashr_i32 s9, s8, 31
	s_delay_alu instid0(SALU_CYCLE_1) | instskip(NEXT) | instid1(SALU_CYCLE_1)
	s_lshl_b64 s[8:9], s[8:9], 2
	s_add_u32 s8, s13, s8
	s_addc_u32 s9, s16, s9
	s_or_b32 s20, s12, 64
	s_delay_alu instid0(SALU_CYCLE_1) | instskip(SKIP_2) | instid1(SALU_CYCLE_1)
	s_ashr_i32 s21, s20, 5
	s_cmp_lt_i32 s20, s17
	s_cselect_b32 s20, s21, s4
	s_ashr_i32 s21, s20, 31
	s_delay_alu instid0(SALU_CYCLE_1) | instskip(NEXT) | instid1(SALU_CYCLE_1)
	s_lshl_b64 s[20:21], s[20:21], 2
	s_add_u32 s20, s13, s20
	s_addc_u32 s21, s16, s21
	;; [unrolled: 10-line block ×5, first 2 shown]
	s_clause 0x5
	s_load_b32 s28, s[6:7], 0x0
	s_load_b32 s8, s[8:9], 0x0
	;; [unrolled: 1-line block ×6, first 2 shown]
	s_mov_b32 s20, 0
	s_delay_alu instid0(SALU_CYCLE_1)
	s_mov_b32 s21, s20
	s_mov_b32 s22, s20
	;; [unrolled: 1-line block ×7, first 2 shown]
	s_delay_alu instid0(SALU_CYCLE_1)
	v_dual_mov_b32 v102, s27 :: v_dual_mov_b32 v101, s26
	v_dual_mov_b32 v100, s25 :: v_dual_mov_b32 v99, s24
	v_mov_b32_e32 v97, s22
	v_dual_mov_b32 v95, s20 :: v_dual_mov_b32 v98, s23
	v_mov_b32_e32 v96, s21
	s_waitcnt vmcnt(1)
	v_mad_i64_i32 v[1:2], null, v5, s5, s[2:3]
	v_lshlrev_b32_e32 v5, 4, v69
	s_waitcnt vmcnt(0)
	v_mad_i64_i32 v[3:4], null, v6, s5, s[2:3]
	s_or_b32 s2, s12, 0xc0
	s_delay_alu instid0(SALU_CYCLE_1) | instskip(NEXT) | instid1(VALU_DEP_3)
	s_ashr_i32 s3, s2, 5
	v_add_co_u32 v33, vcc_lo, v1, v5
	s_delay_alu instid0(VALU_DEP_4) | instskip(NEXT) | instid1(VALU_DEP_3)
	v_add_co_ci_u32_e32 v34, vcc_lo, 0, v2, vcc_lo
	v_add_co_u32 v35, vcc_lo, v3, v5
	s_delay_alu instid0(VALU_DEP_4)
	v_add_co_ci_u32_e32 v36, vcc_lo, 0, v4, vcc_lo
	s_clause 0xf
	global_load_b128 v[1:4], v[33:34], off
	global_load_b128 v[5:8], v[33:34], off offset:512
	global_load_b128 v[9:12], v[35:36], off offset:256
	;; [unrolled: 1-line block ×15, first 2 shown]
	s_cmp_lt_i32 s2, s17
	v_and_b32_e32 v33, 3, v0
	s_cselect_b32 s2, s3, s4
	v_lshlrev_b32_e32 v34, 5, v69
	s_ashr_i32 s3, s2, 31
	s_delay_alu instid0(SALU_CYCLE_1)
	s_lshl_b64 s[2:3], s[2:3], 2
	v_lshlrev_b32_e32 v139, 6, v33
	s_add_u32 s2, s13, s2
	s_addc_u32 s3, s16, s3
	s_or_b32 s6, s12, 0xe0
	v_lshl_or_b32 v41, v68, 9, v34
	s_ashr_i32 s7, s6, 5
	s_cmp_lt_i32 s6, s17
	ds_load_b128 v[33:36], v139
	ds_load_b128 v[37:40], v139 offset:1024
	s_cselect_b32 s6, s7, s4
	ds_load_b128 v[103:106], v139 offset:2048
	ds_load_b128 v[107:110], v139 offset:3072
	s_ashr_i32 s7, s6, 31
	s_load_b32 s4, s[2:3], 0x0
	s_lshl_b64 s[6:7], s[6:7], 2
	ds_load_b128 v[111:114], v139 offset:4096
	ds_load_b128 v[115:118], v139 offset:5120
	s_add_u32 s2, s13, s6
	s_addc_u32 s3, s16, s7
	s_add_u32 s6, s10, s15
	s_load_b32 s2, s[2:3], 0x0
	s_addc_u32 s7, s11, s19
	v_add_co_u32 v127, s6, s6, v41
	s_delay_alu instid0(VALU_DEP_1) | instskip(SKIP_1) | instid1(VALU_DEP_1)
	v_add_co_ci_u32_e64 v128, null, s7, 0, s6
	s_waitcnt lgkmcnt(0)
	v_mad_i64_i32 v[41:42], null, s28, s5, v[127:128]
	v_mad_i64_i32 v[129:130], null, s9, s5, v[127:128]
	;; [unrolled: 1-line block ×7, first 2 shown]
	s_clause 0x3
	global_load_b128 v[49:52], v[41:42], off
	global_load_b128 v[53:56], v[41:42], off offset:16
	global_load_b128 v[41:44], v[45:46], off
	global_load_b128 v[45:48], v[45:46], off offset:16
	s_waitcnt vmcnt(18)
	v_wmma_f32_16x16x16_f16 v[119:126], v[1:8], v[33:40], v[95:102]
	s_waitcnt vmcnt(16)
	v_wmma_f32_16x16x16_f16 v[95:102], v[9:16], v[33:40], v[95:102]
	s_clause 0x3
	global_load_b128 v[33:36], v[129:130], off
	global_load_b128 v[37:40], v[129:130], off offset:16
	global_load_b128 v[1:4], v[131:132], off
	global_load_b128 v[5:8], v[131:132], off offset:16
	s_waitcnt vmcnt(18)
	v_wmma_f32_16x16x16_f16 v[119:126], v[17:24], v[103:110], v[119:126]
	s_clause 0x3
	global_load_b128 v[9:12], v[133:134], off
	global_load_b128 v[13:16], v[133:134], off offset:16
	global_load_b128 v[17:20], v[135:136], off
	global_load_b128 v[21:24], v[135:136], off offset:16
	s_waitcnt vmcnt(20)
	v_wmma_f32_16x16x16_f16 v[95:102], v[25:32], v[103:110], v[95:102]
	v_mad_i64_i32 v[103:104], null, s2, s5, v[127:128]
	s_waitcnt vmcnt(18)
	v_wmma_f32_16x16x16_f16 v[119:126], v[57:64], v[111:118], v[119:126]
	s_clause 0x3
	global_load_b128 v[25:28], v[137:138], off
	global_load_b128 v[29:32], v[137:138], off offset:16
	global_load_b128 v[57:60], v[103:104], off
	global_load_b128 v[61:64], v[103:104], off offset:16
	s_waitcnt vmcnt(20)
	v_wmma_f32_16x16x16_f16 v[95:102], v[71:78], v[111:118], v[95:102]
	ds_load_b128 v[71:74], v139 offset:6144
	ds_load_b128 v[75:78], v139 offset:7168
	v_mbcnt_lo_u32_b32 v104, -1, 0
	s_waitcnt vmcnt(0) lgkmcnt(0)
	s_barrier
	buffer_gl0_inv
	v_xor_b32_e32 v105, 16, v104
	s_delay_alu instid0(VALU_DEP_1) | instskip(SKIP_4) | instid1(VALU_DEP_2)
	v_cmp_gt_i32_e32 vcc_lo, 32, v105
	v_cndmask_b32_e32 v104, v104, v105, vcc_lo
	v_wmma_f32_16x16x16_f16 v[119:126], v[79:86], v[71:78], v[119:126]
	v_and_b32_e32 v103, 0xe0, v0
	v_wmma_f32_16x16x16_f16 v[95:102], v[87:94], v[71:78], v[95:102]
	v_dual_mul_f32 v78, s18, v121 :: v_dual_add_nc_u32 v103, s12, v103
	s_delay_alu instid0(VALU_DEP_2) | instskip(SKIP_1) | instid1(VALU_DEP_3)
	v_dual_mul_f32 v90, s18, v101 :: v_dual_mul_f32 v87, s18, v120
	v_dual_mul_f32 v88, s18, v119 :: v_dual_mul_f32 v77, s18, v122
	v_or_b32_e32 v103, v103, v66
	v_dual_mul_f32 v75, s18, v124 :: v_dual_mul_f32 v94, s18, v97
	v_dual_mul_f32 v76, s18, v123 :: v_dual_mul_f32 v73, s18, v126
	v_mul_f32_e32 v92, s18, v99
	s_delay_alu instid0(VALU_DEP_4)
	v_or_b32_e32 v105, 2, v103
	v_or_b32_e32 v106, 4, v103
	;; [unrolled: 1-line block ×3, first 2 shown]
	v_cmp_gt_i32_e64 s2, s17, v103
	v_or_b32_e32 v108, 8, v103
	v_cmp_gt_i32_e32 vcc_lo, s17, v105
	v_or_b32_e32 v109, 10, v103
	v_cmp_gt_i32_e64 s3, s17, v106
	v_cndmask_b32_e64 v88, 0xff7fffff, v88, s2
	v_cmp_gt_i32_e64 s4, s17, v107
	v_cndmask_b32_e32 v87, 0xff7fffff, v87, vcc_lo
	v_or_b32_e32 v79, 12, v103
	v_or_b32_e32 v80, 14, v103
	v_cndmask_b32_e64 v78, 0xff7fffff, v78, s3
	v_cndmask_b32_e64 v77, 0xff7fffff, v77, s4
	v_max3_f32 v87, v88, 0xff7fffff, v87
	v_cmp_gt_i32_e64 s5, s17, v108
	v_cmp_gt_i32_e64 s6, s17, v109
	v_or_b32_e32 v81, 16, v103
	v_or_b32_e32 v82, 18, v103
	v_mul_f32_e32 v74, s18, v125
	v_cndmask_b32_e64 v76, 0xff7fffff, v76, s5
	v_cndmask_b32_e64 v75, 0xff7fffff, v75, s6
	v_max3_f32 v77, v87, v78, v77
	v_cmp_gt_i32_e64 s7, s17, v79
	v_cmp_gt_i32_e64 s8, s17, v80
	v_or_b32_e32 v83, 20, v103
	v_or_b32_e32 v84, 22, v103
	;; [unrolled: 1-line block ×6, first 2 shown]
	v_mul_f32_e32 v105, s18, v96
	v_mul_f32_e32 v103, s18, v95
	v_cndmask_b32_e64 v74, 0xff7fffff, v74, s7
	v_cndmask_b32_e64 v73, 0xff7fffff, v73, s8
	v_max3_f32 v75, v77, v76, v75
	v_cmp_gt_i32_e64 s9, s17, v81
	v_cmp_gt_i32_e64 s10, s17, v82
	v_mul_f32_e32 v93, s18, v98
	v_cmp_gt_i32_e64 s11, s17, v83
	v_max3_f32 v73, v75, v74, v73
	v_cndmask_b32_e64 v76, 0xff7fffff, v103, s9
	v_cndmask_b32_e64 v77, 0xff7fffff, v105, s10
	v_cmp_gt_i32_e64 s12, s17, v84
	v_mul_f32_e32 v91, s18, v100
	v_cndmask_b32_e64 v74, 0xff7fffff, v94, s11
	v_cmp_gt_i32_e64 s13, s17, v85
	v_max3_f32 v73, v73, v76, v77
	v_cndmask_b32_e64 v75, 0xff7fffff, v93, s12
	v_cmp_gt_i32_e64 s15, s17, v86
	v_mul_f32_e32 v89, s18, v102
	v_cndmask_b32_e64 v76, 0xff7fffff, v92, s13
	v_cmp_gt_i32_e64 s16, s17, v71
	v_max3_f32 v73, v73, v74, v75
	v_cndmask_b32_e64 v77, 0xff7fffff, v91, s15
	v_cmp_gt_i32_e64 s17, s17, v72
	v_lshlrev_b32_e32 v74, 2, v104
	v_cndmask_b32_e64 v71, 0xff7fffff, v90, s16
	s_delay_alu instid0(VALU_DEP_4) | instskip(NEXT) | instid1(VALU_DEP_4)
	v_max3_f32 v73, v73, v76, v77
	v_cndmask_b32_e64 v72, 0xff7fffff, v89, s17
	s_delay_alu instid0(VALU_DEP_1) | instskip(SKIP_3) | instid1(VALU_DEP_1)
	v_max3_f32 v71, v73, v71, v72
	ds_bpermute_b32 v72, v74, v71
	s_waitcnt lgkmcnt(0)
	v_max_f32_e32 v72, v72, v72
	v_max_f32_e32 v71, v71, v72
	s_delay_alu instid0(VALU_DEP_1)
	v_fma_f32 v72, s18, v119, -v71
	v_fma_f32 v76, s18, v122, -v71
	;; [unrolled: 1-line block ×5, first 2 shown]
	v_mul_f32_e32 v72, 0x3fb8aa3b, v72
	v_mul_f32_e32 v76, 0x3fb8aa3b, v76
	v_fma_f32 v75, s18, v121, -v71
	v_mul_f32_e32 v79, 0x3fb8aa3b, v77
	v_mul_f32_e32 v85, 0x3fb8aa3b, v84
	v_exp_f32_e32 v72, v72
	v_exp_f32_e32 v76, v76
	v_fma_f32 v86, s18, v98, -v71
	v_exp_f32_e32 v82, v79
	v_exp_f32_e32 v85, v85
	v_fma_f32 v81, s18, v125, -v71
	s_delay_alu instid0(VALU_DEP_2) | instskip(SKIP_3) | instid1(TRANS32_DEP_3)
	v_mul_f32_e32 v87, 0x3fb8aa3b, v86
	v_cndmask_b32_e64 v78, 0, v72, s2
	v_fma_f32 v72, s18, v124, -v71
	v_mul_f32_e32 v73, 0x3fb8aa3b, v73
	v_cndmask_b32_e64 v79, 0, v76, s4
	v_fma_f32 v76, s18, v95, -v71
	s_delay_alu instid0(VALU_DEP_4) | instskip(NEXT) | instid1(VALU_DEP_4)
	v_dual_mul_f32 v75, 0x3fb8aa3b, v75 :: v_dual_mul_f32 v72, 0x3fb8aa3b, v72
	v_exp_f32_e32 v73, v73
	v_exp_f32_e32 v87, v87
	s_delay_alu instid0(VALU_DEP_2) | instskip(NEXT) | instid1(VALU_DEP_2)
	v_mul_f32_e32 v76, 0x3fb8aa3b, v76
	v_exp_f32_e32 v75, v75
	v_cndmask_b32_e64 v85, 0, v85, s10
	v_mul_f32_e32 v81, 0x3fb8aa3b, v81
	v_exp_f32_e32 v72, v72
	v_cndmask_b32_e64 v82, 0, v82, s5
	v_exp_f32_e32 v76, v76
	s_mov_b32 s2, exec_lo
	v_cndmask_b32_e32 v77, 0, v73, vcc_lo
	v_add_f32_e32 v73, 0, v78
	v_cndmask_b32_e64 v87, 0, v87, s12
	v_cndmask_b32_e64 v80, 0, v75, s3
	v_fma_f32 v75, s18, v126, -v71
	v_exp_f32_e32 v83, v81
	v_add_f32_e32 v73, v73, v77
	v_cndmask_b32_e64 v81, 0, v72, s6
	v_cndmask_b32_e64 v86, 0, v76, s9
	v_mul_f32_e32 v75, 0x3fb8aa3b, v75
	s_delay_alu instid0(VALU_DEP_4) | instskip(NEXT) | instid1(VALU_DEP_2)
	v_add_f32_e32 v73, v73, v80
	v_exp_f32_e32 v75, v75
	s_delay_alu instid0(TRANS32_DEP_2) | instskip(NEXT) | instid1(VALU_DEP_2)
	v_cndmask_b32_e64 v84, 0, v83, s7
	v_add_f32_e32 v73, v73, v79
	s_delay_alu instid0(VALU_DEP_1) | instskip(SKIP_3) | instid1(VALU_DEP_1)
	v_add_f32_e32 v72, v73, v82
	s_waitcnt_depctr 0xfff
	v_cndmask_b32_e64 v83, 0, v75, s8
	v_add_f32_e32 v72, v72, v81
	v_add_f32_e32 v72, v72, v84
	s_delay_alu instid0(VALU_DEP_1) | instskip(NEXT) | instid1(VALU_DEP_1)
	v_add_f32_e32 v72, v72, v83
	v_add_f32_e32 v72, v72, v86
	v_fma_f32 v73, s18, v97, -v71
	v_fma_f32 v75, s18, v99, -v71
	;; [unrolled: 1-line block ×4, first 2 shown]
	v_add_f32_e32 v72, v72, v85
	v_mul_f32_e32 v73, 0x3fb8aa3b, v73
	s_delay_alu instid0(VALU_DEP_4) | instskip(NEXT) | instid1(VALU_DEP_2)
	v_dual_mul_f32 v75, 0x3fb8aa3b, v75 :: v_dual_mul_f32 v76, 0x3fb8aa3b, v76
	v_exp_f32_e32 v73, v73
	s_delay_alu instid0(VALU_DEP_1) | instskip(NEXT) | instid1(VALU_DEP_1)
	v_exp_f32_e32 v75, v75
	v_exp_f32_e32 v76, v76
	s_delay_alu instid0(TRANS32_DEP_3)
	v_cndmask_b32_e64 v88, 0, v73, s11
	v_mul_f32_e32 v73, 0x3fb8aa3b, v89
	v_fma_f32 v89, s18, v102, -v71
	s_waitcnt_depctr 0xfff
	v_cndmask_b32_e64 v90, 0, v75, s13
	v_add_f32_e32 v72, v72, v88
	v_exp_f32_e32 v73, v73
	v_mul_f32_e32 v75, 0x3fb8aa3b, v89
	v_cndmask_b32_e64 v89, 0, v76, s15
	s_delay_alu instid0(VALU_DEP_3) | instskip(NEXT) | instid1(VALU_DEP_3)
	v_add_f32_e32 v72, v72, v87
	v_exp_f32_e32 v75, v75
	s_delay_alu instid0(VALU_DEP_1) | instskip(SKIP_4) | instid1(VALU_DEP_2)
	v_add_f32_e32 v72, v72, v90
	s_waitcnt_depctr 0xfff
	v_cndmask_b32_e64 v92, 0, v73, s16
	v_add_f32_e32 v72, v72, v89
	v_cndmask_b32_e64 v91, 0, v75, s17
	v_add_f32_e32 v72, v72, v92
	s_delay_alu instid0(VALU_DEP_1)
	v_add_f32_e32 v72, v72, v91
	ds_bpermute_b32 v73, v74, v72
	v_cmpx_gt_u32_e32 16, v70
	s_cbranch_execz .LBB1029_12
; %bb.11:
	v_mul_u32_u24_e32 v70, 0x44, v68
	s_waitcnt lgkmcnt(0)
	v_add_f32_e32 v72, v72, v73
	s_delay_alu instid0(VALU_DEP_2) | instskip(NEXT) | instid1(VALU_DEP_1)
	v_lshl_add_u32 v70, v69, 2, v70
	v_add_nc_u32_e32 v70, 0x4000, v70
	ds_store_2addr_b32 v70, v71, v72 offset1:136
.LBB1029_12:
	s_or_b32 exec_lo, exec_lo, s2
	v_lshlrev_b32_e32 v70, 2, v69
	s_load_b32 s34, s[0:1], 0x94
	s_waitcnt lgkmcnt(0)
	s_barrier
	buffer_gl0_inv
	v_add_nc_u32_e32 v74, 0x4000, v70
	v_cmp_eq_u32_e32 vcc_lo, 1, v68
	v_cmp_eq_u32_e64 s2, 2, v68
	v_cmp_eq_u32_e64 s3, 3, v68
	;; [unrolled: 1-line block ×3, first 2 shown]
	ds_load_2addr_b32 v[70:71], v74 offset1:17
	ds_load_2addr_b32 v[72:73], v74 offset0:34 offset1:51
	ds_load_2addr_b32 v[93:94], v74 offset0:68 offset1:85
	;; [unrolled: 1-line block ×3, first 2 shown]
	v_cmp_eq_u32_e64 s5, 5, v68
	v_cmp_eq_u32_e64 s6, 7, v68
	s_waitcnt lgkmcnt(3)
	v_max3_f32 v75, v70, 0xff7fffff, v71
	s_waitcnt lgkmcnt(2)
	s_delay_alu instid0(VALU_DEP_1) | instskip(SKIP_1) | instid1(VALU_DEP_1)
	v_max3_f32 v75, v75, v72, v73
	s_waitcnt lgkmcnt(1)
	v_max3_f32 v75, v75, v93, v94
	s_waitcnt lgkmcnt(0)
	s_delay_alu instid0(VALU_DEP_1) | instskip(NEXT) | instid1(VALU_DEP_1)
	v_max3_f32 v75, v75, v95, v96
	v_sub_f32_e32 v93, v93, v75
	ds_load_2addr_b32 v[97:98], v74 offset0:136 offset1:153
	v_sub_f32_e32 v70, v70, v75
	v_dual_sub_f32 v100, v73, v75 :: v_dual_mul_f32 v103, 0x3fb8aa3b, v93
	s_delay_alu instid0(VALU_DEP_2) | instskip(SKIP_3) | instid1(VALU_DEP_1)
	v_dual_sub_f32 v76, v71, v75 :: v_dual_mul_f32 v99, 0x3fb8aa3b, v70
	ds_load_2addr_b32 v[70:71], v74 offset0:170 offset1:187
	v_mul_f32_e32 v76, 0x3fb8aa3b, v76
	v_exp_f32_e32 v99, v99
	v_exp_f32_e32 v102, v76
	v_mul_f32_e32 v100, 0x3fb8aa3b, v100
	s_waitcnt lgkmcnt(1)
	s_waitcnt_depctr 0xfff
	v_fma_f32 v76, v99, v97, 0
	v_sub_f32_e32 v97, v94, v75
	v_sub_f32_e32 v72, v72, v75
	v_exp_f32_e32 v100, v100
	ds_load_2addr_b32 v[93:94], v74 offset0:238 offset1:255
	v_dual_fmac_f32 v76, v102, v98 :: v_dual_mul_f32 v101, 0x3fb8aa3b, v72
	ds_load_2addr_b32 v[72:73], v74 offset0:204 offset1:221
	v_dual_sub_f32 v74, v95, v75 :: v_dual_mul_f32 v95, 0x3fb8aa3b, v97
	v_exp_f32_e32 v97, v103
	v_exp_f32_e32 v101, v101
	s_waitcnt lgkmcnt(0)
	s_barrier
	v_exp_f32_e32 v95, v95
	buffer_gl0_inv
	v_fmac_f32_e32 v76, v101, v70
	v_sub_f32_e32 v70, v96, v75
	s_delay_alu instid0(VALU_DEP_2) | instskip(NEXT) | instid1(VALU_DEP_2)
	v_fmac_f32_e32 v76, v100, v71
	v_mul_f32_e32 v70, 0x3fb8aa3b, v70
	s_delay_alu instid0(VALU_DEP_2)
	v_dual_cndmask_b32 v71, v99, v102 :: v_dual_fmac_f32 v76, v97, v72
	v_lshlrev_b32_e32 v72, 6, v69
	v_lshlrev_b32_e32 v69, 2, v66
	v_mul_f32_e32 v74, 0x3fb8aa3b, v74
	v_exp_f32_e32 v98, v70
	v_fmac_f32_e32 v76, v95, v73
	s_delay_alu instid0(VALU_DEP_3) | instskip(NEXT) | instid1(VALU_DEP_3)
	v_cmp_eq_u32_e64 s7, 7, v69
	v_exp_f32_e32 v96, v74
	v_lshl_or_b32 v74, v68, 11, v72
	s_waitcnt_depctr 0xfff
	v_fmac_f32_e32 v76, v96, v93
	s_delay_alu instid0(VALU_DEP_1) | instskip(NEXT) | instid1(VALU_DEP_1)
	v_fmac_f32_e32 v76, v98, v94
	v_add_f32_e32 v73, 0x358637bd, v76
	s_delay_alu instid0(VALU_DEP_1) | instskip(SKIP_1) | instid1(VALU_DEP_2)
	v_div_scale_f32 v93, null, v73, v73, 1.0
	v_div_scale_f32 v99, vcc_lo, 1.0, v73, 1.0
	v_rcp_f32_e32 v94, v93
	s_waitcnt_depctr 0xfff
	v_fma_f32 v70, -v93, v94, 1.0
	s_delay_alu instid0(VALU_DEP_1)
	v_fmac_f32_e32 v94, v70, v94
	v_cndmask_b32_e64 v70, v71, v101, s2
	v_cmp_eq_u32_e64 s2, 6, v68
	v_or_b32_e32 v71, 1, v69
	v_or_b32_e32 v68, 2, v69
	v_mul_f32_e32 v101, v99, v94
	v_cndmask_b32_e64 v70, v70, v100, s3
	v_cmp_eq_u32_e64 s3, 1, v69
	v_cmp_eq_u32_e64 s8, 1, v71
	;; [unrolled: 1-line block ×3, first 2 shown]
	v_fma_f32 v100, -v93, v101, v99
	v_cndmask_b32_e64 v70, v70, v97, s4
	v_cmp_eq_u32_e64 s4, 2, v69
	v_cmp_eq_u32_e64 s11, 2, v71
	;; [unrolled: 1-line block ×3, first 2 shown]
	v_fmac_f32_e32 v101, v100, v94
	v_cndmask_b32_e64 v95, v70, v95, s5
	v_or_b32_e32 v70, 3, v69
	v_cmp_eq_u32_e64 s12, 3, v71
	v_cmp_eq_u32_e64 s16, 3, v68
	v_fma_f32 v93, -v93, v101, v99
	v_cndmask_b32_e64 v95, v95, v96, s2
	v_cmp_eq_u32_e64 s10, 1, v70
	v_cmp_eq_u32_e64 s15, 2, v70
	;; [unrolled: 1-line block ×3, first 2 shown]
	v_div_fmas_f32 v93, v93, v94, v101
	v_cndmask_b32_e64 v94, v95, v98, s6
	v_cmp_eq_u32_e32 vcc_lo, 3, v69
	v_cmp_eq_u32_e64 s2, 4, v69
	v_cmp_eq_u32_e64 s18, 4, v71
	v_div_fixup_f32 v93, v93, v73, 1.0
	v_lshl_or_b32 v73, v66, 4, v74
	v_cmp_eq_u32_e64 s21, 4, v70
	v_cmp_eq_u32_e64 s5, 5, v69
	;; [unrolled: 1-line block ×3, first 2 shown]
	v_mul_f32_e32 v101, v94, v93
	v_cmp_eq_u32_e64 s20, 4, v68
	v_cmp_eq_u32_e64 s23, 5, v70
	;; [unrolled: 1-line block ×4, first 2 shown]
	v_fma_mixlo_f16 v93, v101, v78, 0
	v_fma_mixlo_f16 v94, v101, v80, 0
	;; [unrolled: 1-line block ×8, first 2 shown]
	v_fma_mixhi_f16 v93, v101, v77, 0
	v_fma_mixhi_f16 v94, v101, v79, 0
	;; [unrolled: 1-line block ×8, first 2 shown]
	ds_store_b128 v73, v[93:96]
	ds_store_b128 v73, v[97:100] offset:1024
	s_waitcnt lgkmcnt(0)
	s_barrier
	buffer_gl0_inv
	ds_load_b128 v[77:80], v74
	ds_load_b128 v[81:84], v74 offset:16
	ds_load_b128 v[85:88], v74 offset:1024
	;; [unrolled: 1-line block ×3, first 2 shown]
	v_cmp_eq_u32_e64 s26, 6, v70
	v_cmp_eq_u32_e64 s6, 6, v69
	;; [unrolled: 1-line block ×6, first 2 shown]
	s_waitcnt lgkmcnt(3)
	v_lshrrev_b32_e32 v93, 16, v77
	s_waitcnt lgkmcnt(2)
	v_lshrrev_b32_e32 v97, 16, v81
	;; [unrolled: 2-line block ×4, first 2 shown]
	v_lshrrev_b32_e32 v94, 16, v78
	v_cndmask_b32_e64 v109, v77, v93, s3
	v_cndmask_b32_e64 v110, v81, v97, s3
	;; [unrolled: 1-line block ×8, first 2 shown]
	v_lshrrev_b32_e32 v98, 16, v82
	v_cndmask_b32_e64 v93, v85, v101, s3
	v_cndmask_b32_e64 v97, v89, v105, s3
	v_cndmask_b32_e64 v115, v85, v101, s8
	v_cndmask_b32_e64 v116, v89, v105, s8
	v_cndmask_b32_e64 v117, v85, v101, s9
	v_cndmask_b32_e64 v118, v89, v105, s9
	v_cndmask_b32_e64 v85, v85, v101, s10
	v_cndmask_b32_e64 v89, v89, v105, s10
	v_cndmask_b32_e64 v101, v109, v78, s4
	v_cndmask_b32_e64 v105, v110, v82, s4
	v_cndmask_b32_e64 v109, v111, v78, s11
	v_cndmask_b32_e64 v110, v112, v82, s11
	v_cndmask_b32_e64 v111, v113, v78, s13
	v_cndmask_b32_e64 v77, v77, v78, s15
	v_cndmask_b32_e64 v78, v81, v82, s15
	v_lshrrev_b32_e32 v102, 16, v86
	v_lshrrev_b32_e32 v106, 16, v90
	v_cndmask_b32_e64 v112, v114, v82, s13
	v_cndmask_b32_e64 v81, v93, v86, s4
	;; [unrolled: 1-line block ×7, first 2 shown]
	v_cndmask_b32_e32 v89, v101, v94, vcc_lo
	v_cndmask_b32_e32 v101, v105, v98, vcc_lo
	v_cndmask_b32_e64 v105, v109, v94, s12
	v_cndmask_b32_e64 v109, v110, v98, s12
	;; [unrolled: 1-line block ×4, first 2 shown]
	v_lshrrev_b32_e32 v95, 16, v79
	v_lshrrev_b32_e32 v99, 16, v83
	v_cndmask_b32_e64 v110, v111, v94, s16
	v_cndmask_b32_e64 v111, v112, v98, s16
	v_cndmask_b32_e32 v81, v81, v102, vcc_lo
	v_cndmask_b32_e32 v82, v82, v106, vcc_lo
	v_cndmask_b32_e64 v93, v93, v102, s12
	v_cndmask_b32_e64 v89, v89, v79, s2
	;; [unrolled: 1-line block ×7, first 2 shown]
	v_lshrrev_b32_e32 v103, 16, v87
	v_cndmask_b32_e64 v105, v110, v79, s20
	v_cndmask_b32_e64 v109, v111, v83, s20
	;; [unrolled: 1-line block ×11, first 2 shown]
	v_lshrrev_b32_e32 v96, 16, v80
	v_lshrrev_b32_e32 v100, 16, v84
	v_cndmask_b32_e64 v98, v105, v95, s22
	v_cndmask_b32_e64 v101, v109, v99, s22
	;; [unrolled: 1-line block ×7, first 2 shown]
	v_lshrrev_b32_e32 v104, 16, v88
	v_cndmask_b32_e64 v79, v79, v103, s5
	v_cndmask_b32_e64 v83, v83, v80, s6
	;; [unrolled: 1-line block ×16, first 2 shown]
	v_perm_b32 v80, v78, v77, 0x5040100
	v_perm_b32 v78, v94, v84, 0x5040100
	v_cndmask_b32_e64 v77, v118, v90, s13
	v_cndmask_b32_e64 v84, v116, v90, s11
	;; [unrolled: 1-line block ×3, first 2 shown]
	v_perm_b32 v79, v93, v89, 0x5040100
	v_cndmask_b32_e64 v89, v97, v102, s16
	v_cndmask_b32_e64 v85, v85, v102, s17
	v_cndmask_b32_e64 v86, v86, v106, s17
	v_cndmask_b32_e64 v77, v77, v106, s16
	v_cndmask_b32_e64 v84, v84, v106, s12
	v_lshrrev_b32_e32 v107, 16, v91
	v_cndmask_b32_e64 v89, v89, v87, s20
	v_cndmask_b32_e64 v85, v85, v87, s21
	;; [unrolled: 1-line block ×11, first 2 shown]
	v_lshrrev_b32_e32 v108, 16, v92
	v_cndmask_b32_e64 v81, v81, v92, s6
	v_cndmask_b32_e64 v87, v87, v88, s25
	;; [unrolled: 1-line block ×12, first 2 shown]
	v_perm_b32 v77, v83, v82, 0x5040100
	v_perm_b32 v84, v86, v85, 0x5040100
	;; [unrolled: 1-line block ×5, first 2 shown]
	s_lshl_b32 s7, s33, 2
	s_mov_b32 s2, exec_lo
	ds_store_b128 v73, v[77:80]
	ds_store_b128 v73, v[81:84] offset:1024
	v_cmpx_gt_u32_e32 4, v0
	s_cbranch_execz .LBB1029_14
; %bb.13:
	v_or_b32_e32 v77, s31, v0
	s_load_b128 s[8:11], s[0:1], 0x58
	s_delay_alu instid0(VALU_DEP_1) | instskip(NEXT) | instid1(VALU_DEP_1)
	v_mad_u64_u32 v[78:79], null, s7, s30, v[77:78]
	v_mad_u64_u32 v[79:80], null, v78, s34, s[14:15]
	s_delay_alu instid0(VALU_DEP_1) | instskip(NEXT) | instid1(VALU_DEP_1)
	v_ashrrev_i32_e32 v80, 31, v79
	v_lshlrev_b64 v[77:78], 2, v[79:80]
	s_waitcnt lgkmcnt(0)
	s_delay_alu instid0(VALU_DEP_1) | instskip(NEXT) | instid1(VALU_DEP_2)
	v_add_co_u32 v79, vcc_lo, s10, v77
	v_add_co_ci_u32_e32 v80, vcc_lo, s11, v78, vcc_lo
	v_add_co_u32 v77, vcc_lo, s8, v77
	v_add_co_ci_u32_e32 v78, vcc_lo, s9, v78, vcc_lo
	global_store_b32 v[79:80], v75, off
	global_store_b32 v[77:78], v76, off
.LBB1029_14:
	s_or_b32 exec_lo, exec_lo, s2
	s_waitcnt lgkmcnt(0)
	s_waitcnt_vscnt null, 0x0
	s_barrier
	buffer_gl0_inv
	ds_load_b128 v[83:86], v72
	ds_load_b128 v[87:90], v72 offset:16
	ds_load_b128 v[95:98], v72 offset:2064
	;; [unrolled: 1-line block ×5, first 2 shown]
	v_cmp_eq_u32_e32 vcc_lo, 1, v69
	v_mov_b32_e32 v75, 0
	ds_load_b128 v[111:114], v72 offset:6160
	ds_load_b128 v[107:110], v72 offset:6144
	;; [unrolled: 1-line block ×4, first 2 shown]
	v_cmp_eq_u32_e64 s3, 1, v68
	v_cmp_eq_u32_e64 s2, 1, v71
	;; [unrolled: 1-line block ×3, first 2 shown]
	v_mov_b32_e32 v76, v75
	v_mov_b32_e32 v77, v75
	;; [unrolled: 1-line block ×7, first 2 shown]
	v_cmp_eq_u32_e64 s5, 3, v71
	v_cmp_eq_u32_e64 s6, 7, v71
	s_waitcnt lgkmcnt(8)
	s_delay_alu instid0(VALU_DEP_3)
	v_wmma_f32_16x16x16_f16 v[75:82], v[49:56], v[83:90], v[75:82]
	ds_load_b128 v[53:56], v72 offset:10256
	ds_load_b128 v[49:52], v72 offset:10240
	s_waitcnt lgkmcnt(8)
	v_wmma_f32_16x16x16_f16 v[75:82], v[41:48], v[91:98], v[75:82]
	ds_load_b128 v[45:48], v72 offset:12304
	ds_load_b128 v[41:44], v72 offset:12288
	s_waitcnt lgkmcnt(8)
	;; [unrolled: 4-line block ×3, first 2 shown]
	s_barrier
	buffer_gl0_inv
	v_wmma_f32_16x16x16_f16 v[75:82], v[1:8], v[107:114], v[75:82]
	s_delay_alu instid0(VALU_DEP_1) | instskip(NEXT) | instid1(VALU_DEP_1)
	v_wmma_f32_16x16x16_f16 v[75:82], v[9:16], v[115:122], v[75:82]
	v_wmma_f32_16x16x16_f16 v[75:82], v[17:24], v[49:56], v[75:82]
	s_delay_alu instid0(VALU_DEP_1) | instskip(NEXT) | instid1(VALU_DEP_1)
	v_wmma_f32_16x16x16_f16 v[75:82], v[25:32], v[41:48], v[75:82]
	v_wmma_f32_16x16x16_f16 v[75:82], v[57:64], v[33:40], v[75:82]
	s_delay_alu instid0(VALU_DEP_1) | instskip(NEXT) | instid1(VALU_DEP_2)
	v_cvt_f16_f32_e32 v1, v75
	v_cvt_f16_f32_e32 v2, v76
	s_delay_alu instid0(VALU_DEP_3) | instskip(NEXT) | instid1(VALU_DEP_4)
	v_cvt_f16_f32_e32 v3, v77
	v_cvt_f16_f32_e32 v4, v78
	;; [unrolled: 1-line block ×6, first 2 shown]
	v_pack_b32_f16 v1, v1, v2
	v_pack_b32_f16 v2, v3, v4
	;; [unrolled: 1-line block ×3, first 2 shown]
	s_delay_alu instid0(VALU_DEP_4)
	v_pack_b32_f16 v4, v7, v8
	ds_store_b128 v73, v[1:4]
	s_waitcnt lgkmcnt(0)
	s_barrier
	buffer_gl0_inv
	ds_load_b128 v[1:4], v74
	ds_load_b128 v[5:8], v74 offset:16
	s_waitcnt lgkmcnt(1)
	v_lshrrev_b32_e32 v9, 16, v1
	s_waitcnt lgkmcnt(0)
	v_lshrrev_b32_e32 v13, 16, v5
	v_lshrrev_b32_e32 v10, 16, v2
	;; [unrolled: 1-line block ×4, first 2 shown]
	v_cndmask_b32_e32 v17, v1, v9, vcc_lo
	v_cndmask_b32_e32 v18, v5, v13, vcc_lo
	v_cndmask_b32_e64 v21, v1, v9, s3
	v_cmp_eq_u32_e32 vcc_lo, 1, v70
	v_cndmask_b32_e64 v22, v5, v13, s3
	v_cmp_eq_u32_e64 s3, 2, v69
	v_cndmask_b32_e64 v19, v1, v9, s2
	v_cndmask_b32_e64 v20, v5, v13, s2
	v_cndmask_b32_e32 v1, v1, v9, vcc_lo
	v_cmp_eq_u32_e64 s2, 2, v70
	v_cndmask_b32_e32 v5, v5, v13, vcc_lo
	v_cndmask_b32_e64 v9, v17, v2, s3
	v_cmp_eq_u32_e32 vcc_lo, 3, v69
	v_cndmask_b32_e64 v13, v18, v6, s3
	v_cmp_eq_u32_e64 s3, 2, v68
	v_cndmask_b32_e64 v17, v19, v2, s4
	v_cndmask_b32_e64 v18, v20, v6, s4
	v_cmp_eq_u32_e64 s4, 3, v68
	v_cndmask_b32_e64 v1, v1, v2, s2
	v_cndmask_b32_e64 v19, v21, v2, s3
	;; [unrolled: 1-line block ×4, first 2 shown]
	v_cndmask_b32_e32 v5, v9, v10, vcc_lo
	v_cndmask_b32_e32 v6, v13, v14, vcc_lo
	v_cmp_eq_u32_e32 vcc_lo, 3, v70
	v_cndmask_b32_e64 v9, v17, v10, s5
	v_cndmask_b32_e64 v13, v18, v14, s5
	;; [unrolled: 1-line block ×3, first 2 shown]
	v_cmp_eq_u32_e64 s3, 4, v69
	v_cndmask_b32_e32 v1, v1, v10, vcc_lo
	v_cndmask_b32_e32 v2, v2, v14, vcc_lo
	v_cmp_eq_u32_e32 vcc_lo, 4, v71
	v_lshrrev_b32_e32 v15, 16, v7
	v_lshrrev_b32_e32 v16, 16, v8
	v_cndmask_b32_e64 v17, v19, v10, s4
	v_cmp_eq_u32_e64 s2, 4, v70
	v_cndmask_b32_e64 v5, v5, v3, s3
	v_cndmask_b32_e64 v6, v6, v7, s3
	v_cndmask_b32_e32 v9, v9, v3, vcc_lo
	v_cmp_eq_u32_e64 s3, 5, v71
	v_cndmask_b32_e32 v10, v13, v7, vcc_lo
	v_cmp_eq_u32_e32 vcc_lo, 4, v68
	v_cmp_eq_u32_e64 s4, 5, v69
	v_cndmask_b32_e64 v2, v2, v7, s2
	v_cndmask_b32_e64 v9, v9, v11, s3
	;; [unrolled: 1-line block ×3, first 2 shown]
	v_cndmask_b32_e32 v13, v17, v3, vcc_lo
	v_cmp_eq_u32_e64 s3, 5, v68
	v_cndmask_b32_e32 v14, v18, v7, vcc_lo
	v_cndmask_b32_e64 v1, v1, v3, s2
	v_cmp_eq_u32_e32 vcc_lo, 5, v70
	v_lshrrev_b32_e32 v12, 16, v4
	v_cndmask_b32_e64 v13, v13, v11, s3
	v_cndmask_b32_e64 v3, v14, v15, s3
	v_cmp_eq_u32_e64 s3, 6, v70
	v_cndmask_b32_e32 v1, v1, v11, vcc_lo
	v_cndmask_b32_e64 v5, v5, v11, s4
	v_cmp_eq_u32_e64 s5, 6, v69
	v_cndmask_b32_e64 v6, v6, v15, s4
	v_cmp_eq_u32_e64 s4, 6, v71
	v_cmp_eq_u32_e64 s2, 6, v68
	v_cndmask_b32_e64 v1, v1, v4, s3
	v_cndmask_b32_e32 v2, v2, v15, vcc_lo
	v_cmp_eq_u32_e32 vcc_lo, 7, v70
	v_cndmask_b32_e64 v5, v5, v4, s5
	v_cndmask_b32_e64 v9, v9, v4, s4
	;; [unrolled: 1-line block ×3, first 2 shown]
	v_cmp_eq_u32_e64 s5, 7, v69
	v_cndmask_b32_e32 v1, v1, v12, vcc_lo
	v_cndmask_b32_e64 v7, v13, v4, s2
	v_cndmask_b32_e64 v3, v3, v8, s2
	;; [unrolled: 1-line block ×3, first 2 shown]
	v_cmp_eq_u32_e64 s2, 7, v68
	v_cndmask_b32_e64 v4, v10, v8, s4
	v_cndmask_b32_e64 v5, v5, v12, s5
	;; [unrolled: 1-line block ×3, first 2 shown]
	v_cndmask_b32_e32 v2, v2, v16, vcc_lo
	v_cndmask_b32_e64 v7, v7, v12, s2
	v_cndmask_b32_e64 v3, v3, v16, s2
	;; [unrolled: 1-line block ×4, first 2 shown]
	v_perm_b32 v4, v2, v1, 0x5040100
	s_mov_b32 s2, exec_lo
	v_perm_b32 v3, v3, v7, 0x5040100
	v_perm_b32 v2, v8, v9, 0x5040100
	v_perm_b32 v1, v6, v5, 0x5040100
	ds_store_b128 v73, v[1:4]
	s_waitcnt lgkmcnt(0)
	s_barrier
	buffer_gl0_inv
	v_cmpx_gt_u32_e32 32, v0
	s_cbranch_execz .LBB1029_2
; %bb.15:
	s_load_b64 s[0:1], s[0:1], 0x68
	v_lshlrev_b32_e32 v0, 10, v0
	v_or_b32_e32 v1, s31, v66
	s_lshl_b32 s4, s34, 7
	v_lshlrev_b32_e32 v2, 4, v67
	s_mul_i32 s2, s4, s30
	v_lshlrev_b32_e32 v3, 6, v66
	v_mul_lo_u32 v8, v1, s4
	v_and_b32_e32 v0, 0x3800, v0
	v_or_b32_e32 v1, 2, v1
	s_mul_i32 s2, s2, s7
	s_delay_alu instid0(SALU_CYCLE_1) | instskip(NEXT) | instid1(VALU_DEP_2)
	s_ashr_i32 s3, s2, 31
	v_or3_b32 v4, v0, v2, v3
	s_lshl_b64 s[2:3], s[2:3], 1
	v_mul_lo_u32 v10, v1, s4
	v_ashrrev_i32_e32 v9, 31, v8
	ds_load_b128 v[0:3], v4
	ds_load_b128 v[4:7], v4 offset:128
	s_waitcnt lgkmcnt(0)
	s_add_u32 s2, s0, s2
	s_addc_u32 s3, s1, s3
	s_lshl_b32 s0, s14, 7
	v_ashrrev_i32_e32 v11, 31, v10
	s_ashr_i32 s1, s0, 31
	v_lshlrev_b64 v[8:9], 1, v[8:9]
	s_lshl_b64 s[0:1], s[0:1], 1
	s_delay_alu instid0(SALU_CYCLE_1) | instskip(SKIP_2) | instid1(VALU_DEP_1)
	s_add_u32 s0, s2, s0
	s_addc_u32 s1, s3, s1
	v_add_co_u32 v12, s0, s0, v65
	v_add_co_ci_u32_e64 v13, null, s1, 0, s0
	v_lshlrev_b64 v[10:11], 1, v[10:11]
	s_delay_alu instid0(VALU_DEP_3) | instskip(NEXT) | instid1(VALU_DEP_3)
	v_add_co_u32 v8, vcc_lo, v12, v8
	v_add_co_ci_u32_e32 v9, vcc_lo, v13, v9, vcc_lo
	s_delay_alu instid0(VALU_DEP_3) | instskip(NEXT) | instid1(VALU_DEP_4)
	v_add_co_u32 v10, vcc_lo, v12, v10
	v_add_co_ci_u32_e32 v11, vcc_lo, v13, v11, vcc_lo
	s_clause 0x1
	global_store_b128 v[8:9], v[0:3], off
	global_store_b128 v[10:11], v[4:7], off
	s_nop 0
	s_sendmsg sendmsg(MSG_DEALLOC_VGPRS)
	s_endpgm
	.section	.rodata,"a",@progbits
	.p2align	6, 0x0
	.amdhsa_kernel _Z39paged_attention_ll4mi_QKV_mfma16_kernelIDF16_hLN4vllm18Fp8KVCacheDataTypeE1EhLi32ELi128ELi256ELb1ELi4EL8MFMAType1EEvPKT_PKT0_S8_ifPKiSA_SA_iPKfiiiPfSD_PS3_PT2_iSC_SC_
		.amdhsa_group_segment_fixed_size 17472
		.amdhsa_private_segment_fixed_size 0
		.amdhsa_kernarg_size 400
		.amdhsa_user_sgpr_count 13
		.amdhsa_user_sgpr_dispatch_ptr 0
		.amdhsa_user_sgpr_queue_ptr 0
		.amdhsa_user_sgpr_kernarg_segment_ptr 1
		.amdhsa_user_sgpr_dispatch_id 0
		.amdhsa_user_sgpr_private_segment_size 0
		.amdhsa_wavefront_size32 1
		.amdhsa_uses_dynamic_stack 0
		.amdhsa_enable_private_segment 0
		.amdhsa_system_sgpr_workgroup_id_x 1
		.amdhsa_system_sgpr_workgroup_id_y 1
		.amdhsa_system_sgpr_workgroup_id_z 1
		.amdhsa_system_sgpr_workgroup_info 0
		.amdhsa_system_vgpr_workitem_id 0
		.amdhsa_next_free_vgpr 140
		.amdhsa_next_free_sgpr 36
		.amdhsa_reserve_vcc 1
		.amdhsa_float_round_mode_32 0
		.amdhsa_float_round_mode_16_64 0
		.amdhsa_float_denorm_mode_32 3
		.amdhsa_float_denorm_mode_16_64 3
		.amdhsa_dx10_clamp 1
		.amdhsa_ieee_mode 1
		.amdhsa_fp16_overflow 0
		.amdhsa_workgroup_processor_mode 1
		.amdhsa_memory_ordered 1
		.amdhsa_forward_progress 0
		.amdhsa_shared_vgpr_count 0
		.amdhsa_exception_fp_ieee_invalid_op 0
		.amdhsa_exception_fp_denorm_src 0
		.amdhsa_exception_fp_ieee_div_zero 0
		.amdhsa_exception_fp_ieee_overflow 0
		.amdhsa_exception_fp_ieee_underflow 0
		.amdhsa_exception_fp_ieee_inexact 0
		.amdhsa_exception_int_div_zero 0
	.end_amdhsa_kernel
	.section	.text._Z39paged_attention_ll4mi_QKV_mfma16_kernelIDF16_hLN4vllm18Fp8KVCacheDataTypeE1EhLi32ELi128ELi256ELb1ELi4EL8MFMAType1EEvPKT_PKT0_S8_ifPKiSA_SA_iPKfiiiPfSD_PS3_PT2_iSC_SC_,"axG",@progbits,_Z39paged_attention_ll4mi_QKV_mfma16_kernelIDF16_hLN4vllm18Fp8KVCacheDataTypeE1EhLi32ELi128ELi256ELb1ELi4EL8MFMAType1EEvPKT_PKT0_S8_ifPKiSA_SA_iPKfiiiPfSD_PS3_PT2_iSC_SC_,comdat
.Lfunc_end1029:
	.size	_Z39paged_attention_ll4mi_QKV_mfma16_kernelIDF16_hLN4vllm18Fp8KVCacheDataTypeE1EhLi32ELi128ELi256ELb1ELi4EL8MFMAType1EEvPKT_PKT0_S8_ifPKiSA_SA_iPKfiiiPfSD_PS3_PT2_iSC_SC_, .Lfunc_end1029-_Z39paged_attention_ll4mi_QKV_mfma16_kernelIDF16_hLN4vllm18Fp8KVCacheDataTypeE1EhLi32ELi128ELi256ELb1ELi4EL8MFMAType1EEvPKT_PKT0_S8_ifPKiSA_SA_iPKfiiiPfSD_PS3_PT2_iSC_SC_
                                        ; -- End function
	.section	.AMDGPU.csdata,"",@progbits
; Kernel info:
; codeLenInByte = 6504
; NumSgprs: 38
; NumVgprs: 140
; ScratchSize: 0
; MemoryBound: 0
; FloatMode: 240
; IeeeMode: 1
; LDSByteSize: 17472 bytes/workgroup (compile time only)
; SGPRBlocks: 4
; VGPRBlocks: 17
; NumSGPRsForWavesPerEU: 38
; NumVGPRsForWavesPerEU: 140
; Occupancy: 10
; WaveLimiterHint : 1
; COMPUTE_PGM_RSRC2:SCRATCH_EN: 0
; COMPUTE_PGM_RSRC2:USER_SGPR: 13
; COMPUTE_PGM_RSRC2:TRAP_HANDLER: 0
; COMPUTE_PGM_RSRC2:TGID_X_EN: 1
; COMPUTE_PGM_RSRC2:TGID_Y_EN: 1
; COMPUTE_PGM_RSRC2:TGID_Z_EN: 1
; COMPUTE_PGM_RSRC2:TIDIG_COMP_CNT: 0
	.section	.text._Z38paged_attention_ll4mi_QKV_mfma4_kernelIDF16_hLN4vllm18Fp8KVCacheDataTypeE1EhLi32ELi128ELi256ELb0ELi1EEvPKT_PKT0_S7_ifPKiS9_S9_iPKfiiiPfSC_PS2_PT2_iSB_SB_,"axG",@progbits,_Z38paged_attention_ll4mi_QKV_mfma4_kernelIDF16_hLN4vllm18Fp8KVCacheDataTypeE1EhLi32ELi128ELi256ELb0ELi1EEvPKT_PKT0_S7_ifPKiS9_S9_iPKfiiiPfSC_PS2_PT2_iSB_SB_,comdat
	.protected	_Z38paged_attention_ll4mi_QKV_mfma4_kernelIDF16_hLN4vllm18Fp8KVCacheDataTypeE1EhLi32ELi128ELi256ELb0ELi1EEvPKT_PKT0_S7_ifPKiS9_S9_iPKfiiiPfSC_PS2_PT2_iSB_SB_ ; -- Begin function _Z38paged_attention_ll4mi_QKV_mfma4_kernelIDF16_hLN4vllm18Fp8KVCacheDataTypeE1EhLi32ELi128ELi256ELb0ELi1EEvPKT_PKT0_S7_ifPKiS9_S9_iPKfiiiPfSC_PS2_PT2_iSB_SB_
	.globl	_Z38paged_attention_ll4mi_QKV_mfma4_kernelIDF16_hLN4vllm18Fp8KVCacheDataTypeE1EhLi32ELi128ELi256ELb0ELi1EEvPKT_PKT0_S7_ifPKiS9_S9_iPKfiiiPfSC_PS2_PT2_iSB_SB_
	.p2align	8
	.type	_Z38paged_attention_ll4mi_QKV_mfma4_kernelIDF16_hLN4vllm18Fp8KVCacheDataTypeE1EhLi32ELi128ELi256ELb0ELi1EEvPKT_PKT0_S7_ifPKiS9_S9_iPKfiiiPfSC_PS2_PT2_iSB_SB_,@function
_Z38paged_attention_ll4mi_QKV_mfma4_kernelIDF16_hLN4vllm18Fp8KVCacheDataTypeE1EhLi32ELi128ELi256ELb0ELi1EEvPKT_PKT0_S7_ifPKiS9_S9_iPKfiiiPfSC_PS2_PT2_iSB_SB_: ; @_Z38paged_attention_ll4mi_QKV_mfma4_kernelIDF16_hLN4vllm18Fp8KVCacheDataTypeE1EhLi32ELi128ELi256ELb0ELi1EEvPKT_PKT0_S7_ifPKiS9_S9_iPKfiiiPfSC_PS2_PT2_iSB_SB_
; %bb.0:
	s_add_u32 s8, s0, 0x90
	s_addc_u32 s9, s1, 0
	s_getpc_b64 s[0:1]
	s_add_u32 s0, s0, __PRETTY_FUNCTION__._Z38paged_attention_ll4mi_QKV_mfma4_kernelIDF16_hLN4vllm18Fp8KVCacheDataTypeE1EhLi32ELi128ELi256ELb0ELi1EEvPKT_PKT0_S7_ifPKiS9_S9_iPKfiiiPfSC_PS2_PT2_iSB_SB_@rel32@lo+4
	s_addc_u32 s1, s1, __PRETTY_FUNCTION__._Z38paged_attention_ll4mi_QKV_mfma4_kernelIDF16_hLN4vllm18Fp8KVCacheDataTypeE1EhLi32ELi128ELi256ELb0ELi1EEvPKT_PKT0_S7_ifPKiS9_S9_iPKfiiiPfSC_PS2_PT2_iSB_SB_@rel32@hi+12
	s_delay_alu instid0(SALU_CYCLE_1) | instskip(SKIP_4) | instid1(SALU_CYCLE_1)
	v_dual_mov_b32 v0, s0 :: v_dual_mov_b32 v1, s1
	s_mov_b32 s32, 0
	s_getpc_b64 s[2:3]
	s_add_u32 s2, s2, __assert_fail@rel32@lo+4
	s_addc_u32 s3, s3, __assert_fail@rel32@hi+12
	s_swappc_b64 s[30:31], s[2:3]
	.section	.rodata,"a",@progbits
	.p2align	6, 0x0
	.amdhsa_kernel _Z38paged_attention_ll4mi_QKV_mfma4_kernelIDF16_hLN4vllm18Fp8KVCacheDataTypeE1EhLi32ELi128ELi256ELb0ELi1EEvPKT_PKT0_S7_ifPKiS9_S9_iPKfiiiPfSC_PS2_PT2_iSB_SB_
		.amdhsa_group_segment_fixed_size 0
		.amdhsa_private_segment_fixed_size 64
		.amdhsa_kernarg_size 400
		.amdhsa_user_sgpr_count 15
		.amdhsa_user_sgpr_dispatch_ptr 0
		.amdhsa_user_sgpr_queue_ptr 0
		.amdhsa_user_sgpr_kernarg_segment_ptr 1
		.amdhsa_user_sgpr_dispatch_id 0
		.amdhsa_user_sgpr_private_segment_size 0
		.amdhsa_wavefront_size32 1
		.amdhsa_uses_dynamic_stack 0
		.amdhsa_enable_private_segment 1
		.amdhsa_system_sgpr_workgroup_id_x 1
		.amdhsa_system_sgpr_workgroup_id_y 0
		.amdhsa_system_sgpr_workgroup_id_z 0
		.amdhsa_system_sgpr_workgroup_info 0
		.amdhsa_system_vgpr_workitem_id 0
		.amdhsa_next_free_vgpr 41
		.amdhsa_next_free_sgpr 34
		.amdhsa_reserve_vcc 1
		.amdhsa_float_round_mode_32 0
		.amdhsa_float_round_mode_16_64 0
		.amdhsa_float_denorm_mode_32 3
		.amdhsa_float_denorm_mode_16_64 3
		.amdhsa_dx10_clamp 1
		.amdhsa_ieee_mode 1
		.amdhsa_fp16_overflow 0
		.amdhsa_workgroup_processor_mode 1
		.amdhsa_memory_ordered 1
		.amdhsa_forward_progress 0
		.amdhsa_shared_vgpr_count 0
		.amdhsa_exception_fp_ieee_invalid_op 0
		.amdhsa_exception_fp_denorm_src 0
		.amdhsa_exception_fp_ieee_div_zero 0
		.amdhsa_exception_fp_ieee_overflow 0
		.amdhsa_exception_fp_ieee_underflow 0
		.amdhsa_exception_fp_ieee_inexact 0
		.amdhsa_exception_int_div_zero 0
	.end_amdhsa_kernel
	.section	.text._Z38paged_attention_ll4mi_QKV_mfma4_kernelIDF16_hLN4vllm18Fp8KVCacheDataTypeE1EhLi32ELi128ELi256ELb0ELi1EEvPKT_PKT0_S7_ifPKiS9_S9_iPKfiiiPfSC_PS2_PT2_iSB_SB_,"axG",@progbits,_Z38paged_attention_ll4mi_QKV_mfma4_kernelIDF16_hLN4vllm18Fp8KVCacheDataTypeE1EhLi32ELi128ELi256ELb0ELi1EEvPKT_PKT0_S7_ifPKiS9_S9_iPKfiiiPfSC_PS2_PT2_iSB_SB_,comdat
.Lfunc_end1030:
	.size	_Z38paged_attention_ll4mi_QKV_mfma4_kernelIDF16_hLN4vllm18Fp8KVCacheDataTypeE1EhLi32ELi128ELi256ELb0ELi1EEvPKT_PKT0_S7_ifPKiS9_S9_iPKfiiiPfSC_PS2_PT2_iSB_SB_, .Lfunc_end1030-_Z38paged_attention_ll4mi_QKV_mfma4_kernelIDF16_hLN4vllm18Fp8KVCacheDataTypeE1EhLi32ELi128ELi256ELb0ELi1EEvPKT_PKT0_S7_ifPKiS9_S9_iPKfiiiPfSC_PS2_PT2_iSB_SB_
                                        ; -- End function
	.section	.AMDGPU.csdata,"",@progbits
; Kernel info:
; codeLenInByte = 72
; NumSgprs: 36
; NumVgprs: 41
; ScratchSize: 64
; MemoryBound: 0
; FloatMode: 240
; IeeeMode: 1
; LDSByteSize: 0 bytes/workgroup (compile time only)
; SGPRBlocks: 4
; VGPRBlocks: 5
; NumSGPRsForWavesPerEU: 36
; NumVGPRsForWavesPerEU: 41
; Occupancy: 16
; WaveLimiterHint : 1
; COMPUTE_PGM_RSRC2:SCRATCH_EN: 1
; COMPUTE_PGM_RSRC2:USER_SGPR: 15
; COMPUTE_PGM_RSRC2:TRAP_HANDLER: 0
; COMPUTE_PGM_RSRC2:TGID_X_EN: 1
; COMPUTE_PGM_RSRC2:TGID_Y_EN: 0
; COMPUTE_PGM_RSRC2:TGID_Z_EN: 0
; COMPUTE_PGM_RSRC2:TIDIG_COMP_CNT: 0
	.section	.text._Z38paged_attention_ll4mi_QKV_mfma4_kernelIDF16_hLN4vllm18Fp8KVCacheDataTypeE1EhLi32ELi128ELi256ELb0ELi2EEvPKT_PKT0_S7_ifPKiS9_S9_iPKfiiiPfSC_PS2_PT2_iSB_SB_,"axG",@progbits,_Z38paged_attention_ll4mi_QKV_mfma4_kernelIDF16_hLN4vllm18Fp8KVCacheDataTypeE1EhLi32ELi128ELi256ELb0ELi2EEvPKT_PKT0_S7_ifPKiS9_S9_iPKfiiiPfSC_PS2_PT2_iSB_SB_,comdat
	.protected	_Z38paged_attention_ll4mi_QKV_mfma4_kernelIDF16_hLN4vllm18Fp8KVCacheDataTypeE1EhLi32ELi128ELi256ELb0ELi2EEvPKT_PKT0_S7_ifPKiS9_S9_iPKfiiiPfSC_PS2_PT2_iSB_SB_ ; -- Begin function _Z38paged_attention_ll4mi_QKV_mfma4_kernelIDF16_hLN4vllm18Fp8KVCacheDataTypeE1EhLi32ELi128ELi256ELb0ELi2EEvPKT_PKT0_S7_ifPKiS9_S9_iPKfiiiPfSC_PS2_PT2_iSB_SB_
	.globl	_Z38paged_attention_ll4mi_QKV_mfma4_kernelIDF16_hLN4vllm18Fp8KVCacheDataTypeE1EhLi32ELi128ELi256ELb0ELi2EEvPKT_PKT0_S7_ifPKiS9_S9_iPKfiiiPfSC_PS2_PT2_iSB_SB_
	.p2align	8
	.type	_Z38paged_attention_ll4mi_QKV_mfma4_kernelIDF16_hLN4vllm18Fp8KVCacheDataTypeE1EhLi32ELi128ELi256ELb0ELi2EEvPKT_PKT0_S7_ifPKiS9_S9_iPKfiiiPfSC_PS2_PT2_iSB_SB_,@function
_Z38paged_attention_ll4mi_QKV_mfma4_kernelIDF16_hLN4vllm18Fp8KVCacheDataTypeE1EhLi32ELi128ELi256ELb0ELi2EEvPKT_PKT0_S7_ifPKiS9_S9_iPKfiiiPfSC_PS2_PT2_iSB_SB_: ; @_Z38paged_attention_ll4mi_QKV_mfma4_kernelIDF16_hLN4vllm18Fp8KVCacheDataTypeE1EhLi32ELi128ELi256ELb0ELi2EEvPKT_PKT0_S7_ifPKiS9_S9_iPKfiiiPfSC_PS2_PT2_iSB_SB_
; %bb.0:
	s_add_u32 s8, s0, 0x90
	s_addc_u32 s9, s1, 0
	s_getpc_b64 s[0:1]
	s_add_u32 s0, s0, __PRETTY_FUNCTION__._Z38paged_attention_ll4mi_QKV_mfma4_kernelIDF16_hLN4vllm18Fp8KVCacheDataTypeE1EhLi32ELi128ELi256ELb0ELi2EEvPKT_PKT0_S7_ifPKiS9_S9_iPKfiiiPfSC_PS2_PT2_iSB_SB_@rel32@lo+4
	s_addc_u32 s1, s1, __PRETTY_FUNCTION__._Z38paged_attention_ll4mi_QKV_mfma4_kernelIDF16_hLN4vllm18Fp8KVCacheDataTypeE1EhLi32ELi128ELi256ELb0ELi2EEvPKT_PKT0_S7_ifPKiS9_S9_iPKfiiiPfSC_PS2_PT2_iSB_SB_@rel32@hi+12
	s_delay_alu instid0(SALU_CYCLE_1) | instskip(SKIP_4) | instid1(SALU_CYCLE_1)
	v_dual_mov_b32 v0, s0 :: v_dual_mov_b32 v1, s1
	s_mov_b32 s32, 0
	s_getpc_b64 s[2:3]
	s_add_u32 s2, s2, __assert_fail@rel32@lo+4
	s_addc_u32 s3, s3, __assert_fail@rel32@hi+12
	s_swappc_b64 s[30:31], s[2:3]
	.section	.rodata,"a",@progbits
	.p2align	6, 0x0
	.amdhsa_kernel _Z38paged_attention_ll4mi_QKV_mfma4_kernelIDF16_hLN4vllm18Fp8KVCacheDataTypeE1EhLi32ELi128ELi256ELb0ELi2EEvPKT_PKT0_S7_ifPKiS9_S9_iPKfiiiPfSC_PS2_PT2_iSB_SB_
		.amdhsa_group_segment_fixed_size 0
		.amdhsa_private_segment_fixed_size 64
		.amdhsa_kernarg_size 400
		.amdhsa_user_sgpr_count 15
		.amdhsa_user_sgpr_dispatch_ptr 0
		.amdhsa_user_sgpr_queue_ptr 0
		.amdhsa_user_sgpr_kernarg_segment_ptr 1
		.amdhsa_user_sgpr_dispatch_id 0
		.amdhsa_user_sgpr_private_segment_size 0
		.amdhsa_wavefront_size32 1
		.amdhsa_uses_dynamic_stack 0
		.amdhsa_enable_private_segment 1
		.amdhsa_system_sgpr_workgroup_id_x 1
		.amdhsa_system_sgpr_workgroup_id_y 0
		.amdhsa_system_sgpr_workgroup_id_z 0
		.amdhsa_system_sgpr_workgroup_info 0
		.amdhsa_system_vgpr_workitem_id 0
		.amdhsa_next_free_vgpr 41
		.amdhsa_next_free_sgpr 34
		.amdhsa_reserve_vcc 1
		.amdhsa_float_round_mode_32 0
		.amdhsa_float_round_mode_16_64 0
		.amdhsa_float_denorm_mode_32 3
		.amdhsa_float_denorm_mode_16_64 3
		.amdhsa_dx10_clamp 1
		.amdhsa_ieee_mode 1
		.amdhsa_fp16_overflow 0
		.amdhsa_workgroup_processor_mode 1
		.amdhsa_memory_ordered 1
		.amdhsa_forward_progress 0
		.amdhsa_shared_vgpr_count 0
		.amdhsa_exception_fp_ieee_invalid_op 0
		.amdhsa_exception_fp_denorm_src 0
		.amdhsa_exception_fp_ieee_div_zero 0
		.amdhsa_exception_fp_ieee_overflow 0
		.amdhsa_exception_fp_ieee_underflow 0
		.amdhsa_exception_fp_ieee_inexact 0
		.amdhsa_exception_int_div_zero 0
	.end_amdhsa_kernel
	.section	.text._Z38paged_attention_ll4mi_QKV_mfma4_kernelIDF16_hLN4vllm18Fp8KVCacheDataTypeE1EhLi32ELi128ELi256ELb0ELi2EEvPKT_PKT0_S7_ifPKiS9_S9_iPKfiiiPfSC_PS2_PT2_iSB_SB_,"axG",@progbits,_Z38paged_attention_ll4mi_QKV_mfma4_kernelIDF16_hLN4vllm18Fp8KVCacheDataTypeE1EhLi32ELi128ELi256ELb0ELi2EEvPKT_PKT0_S7_ifPKiS9_S9_iPKfiiiPfSC_PS2_PT2_iSB_SB_,comdat
.Lfunc_end1031:
	.size	_Z38paged_attention_ll4mi_QKV_mfma4_kernelIDF16_hLN4vllm18Fp8KVCacheDataTypeE1EhLi32ELi128ELi256ELb0ELi2EEvPKT_PKT0_S7_ifPKiS9_S9_iPKfiiiPfSC_PS2_PT2_iSB_SB_, .Lfunc_end1031-_Z38paged_attention_ll4mi_QKV_mfma4_kernelIDF16_hLN4vllm18Fp8KVCacheDataTypeE1EhLi32ELi128ELi256ELb0ELi2EEvPKT_PKT0_S7_ifPKiS9_S9_iPKfiiiPfSC_PS2_PT2_iSB_SB_
                                        ; -- End function
	.section	.AMDGPU.csdata,"",@progbits
; Kernel info:
; codeLenInByte = 72
; NumSgprs: 36
; NumVgprs: 41
; ScratchSize: 64
; MemoryBound: 0
; FloatMode: 240
; IeeeMode: 1
; LDSByteSize: 0 bytes/workgroup (compile time only)
; SGPRBlocks: 4
; VGPRBlocks: 5
; NumSGPRsForWavesPerEU: 36
; NumVGPRsForWavesPerEU: 41
; Occupancy: 16
; WaveLimiterHint : 1
; COMPUTE_PGM_RSRC2:SCRATCH_EN: 1
; COMPUTE_PGM_RSRC2:USER_SGPR: 15
; COMPUTE_PGM_RSRC2:TRAP_HANDLER: 0
; COMPUTE_PGM_RSRC2:TGID_X_EN: 1
; COMPUTE_PGM_RSRC2:TGID_Y_EN: 0
; COMPUTE_PGM_RSRC2:TGID_Z_EN: 0
; COMPUTE_PGM_RSRC2:TIDIG_COMP_CNT: 0
	.section	.text._Z38paged_attention_ll4mi_QKV_mfma4_kernelIDF16_hLN4vllm18Fp8KVCacheDataTypeE1EhLi32ELi128ELi256ELb0ELi3EEvPKT_PKT0_S7_ifPKiS9_S9_iPKfiiiPfSC_PS2_PT2_iSB_SB_,"axG",@progbits,_Z38paged_attention_ll4mi_QKV_mfma4_kernelIDF16_hLN4vllm18Fp8KVCacheDataTypeE1EhLi32ELi128ELi256ELb0ELi3EEvPKT_PKT0_S7_ifPKiS9_S9_iPKfiiiPfSC_PS2_PT2_iSB_SB_,comdat
	.protected	_Z38paged_attention_ll4mi_QKV_mfma4_kernelIDF16_hLN4vllm18Fp8KVCacheDataTypeE1EhLi32ELi128ELi256ELb0ELi3EEvPKT_PKT0_S7_ifPKiS9_S9_iPKfiiiPfSC_PS2_PT2_iSB_SB_ ; -- Begin function _Z38paged_attention_ll4mi_QKV_mfma4_kernelIDF16_hLN4vllm18Fp8KVCacheDataTypeE1EhLi32ELi128ELi256ELb0ELi3EEvPKT_PKT0_S7_ifPKiS9_S9_iPKfiiiPfSC_PS2_PT2_iSB_SB_
	.globl	_Z38paged_attention_ll4mi_QKV_mfma4_kernelIDF16_hLN4vllm18Fp8KVCacheDataTypeE1EhLi32ELi128ELi256ELb0ELi3EEvPKT_PKT0_S7_ifPKiS9_S9_iPKfiiiPfSC_PS2_PT2_iSB_SB_
	.p2align	8
	.type	_Z38paged_attention_ll4mi_QKV_mfma4_kernelIDF16_hLN4vllm18Fp8KVCacheDataTypeE1EhLi32ELi128ELi256ELb0ELi3EEvPKT_PKT0_S7_ifPKiS9_S9_iPKfiiiPfSC_PS2_PT2_iSB_SB_,@function
_Z38paged_attention_ll4mi_QKV_mfma4_kernelIDF16_hLN4vllm18Fp8KVCacheDataTypeE1EhLi32ELi128ELi256ELb0ELi3EEvPKT_PKT0_S7_ifPKiS9_S9_iPKfiiiPfSC_PS2_PT2_iSB_SB_: ; @_Z38paged_attention_ll4mi_QKV_mfma4_kernelIDF16_hLN4vllm18Fp8KVCacheDataTypeE1EhLi32ELi128ELi256ELb0ELi3EEvPKT_PKT0_S7_ifPKiS9_S9_iPKfiiiPfSC_PS2_PT2_iSB_SB_
; %bb.0:
	s_add_u32 s8, s0, 0x90
	s_addc_u32 s9, s1, 0
	s_getpc_b64 s[0:1]
	s_add_u32 s0, s0, __PRETTY_FUNCTION__._Z38paged_attention_ll4mi_QKV_mfma4_kernelIDF16_hLN4vllm18Fp8KVCacheDataTypeE1EhLi32ELi128ELi256ELb0ELi3EEvPKT_PKT0_S7_ifPKiS9_S9_iPKfiiiPfSC_PS2_PT2_iSB_SB_@rel32@lo+4
	s_addc_u32 s1, s1, __PRETTY_FUNCTION__._Z38paged_attention_ll4mi_QKV_mfma4_kernelIDF16_hLN4vllm18Fp8KVCacheDataTypeE1EhLi32ELi128ELi256ELb0ELi3EEvPKT_PKT0_S7_ifPKiS9_S9_iPKfiiiPfSC_PS2_PT2_iSB_SB_@rel32@hi+12
	s_delay_alu instid0(SALU_CYCLE_1) | instskip(SKIP_4) | instid1(SALU_CYCLE_1)
	v_dual_mov_b32 v0, s0 :: v_dual_mov_b32 v1, s1
	s_mov_b32 s32, 0
	s_getpc_b64 s[2:3]
	s_add_u32 s2, s2, __assert_fail@rel32@lo+4
	s_addc_u32 s3, s3, __assert_fail@rel32@hi+12
	s_swappc_b64 s[30:31], s[2:3]
	.section	.rodata,"a",@progbits
	.p2align	6, 0x0
	.amdhsa_kernel _Z38paged_attention_ll4mi_QKV_mfma4_kernelIDF16_hLN4vllm18Fp8KVCacheDataTypeE1EhLi32ELi128ELi256ELb0ELi3EEvPKT_PKT0_S7_ifPKiS9_S9_iPKfiiiPfSC_PS2_PT2_iSB_SB_
		.amdhsa_group_segment_fixed_size 0
		.amdhsa_private_segment_fixed_size 64
		.amdhsa_kernarg_size 400
		.amdhsa_user_sgpr_count 15
		.amdhsa_user_sgpr_dispatch_ptr 0
		.amdhsa_user_sgpr_queue_ptr 0
		.amdhsa_user_sgpr_kernarg_segment_ptr 1
		.amdhsa_user_sgpr_dispatch_id 0
		.amdhsa_user_sgpr_private_segment_size 0
		.amdhsa_wavefront_size32 1
		.amdhsa_uses_dynamic_stack 0
		.amdhsa_enable_private_segment 1
		.amdhsa_system_sgpr_workgroup_id_x 1
		.amdhsa_system_sgpr_workgroup_id_y 0
		.amdhsa_system_sgpr_workgroup_id_z 0
		.amdhsa_system_sgpr_workgroup_info 0
		.amdhsa_system_vgpr_workitem_id 0
		.amdhsa_next_free_vgpr 41
		.amdhsa_next_free_sgpr 34
		.amdhsa_reserve_vcc 1
		.amdhsa_float_round_mode_32 0
		.amdhsa_float_round_mode_16_64 0
		.amdhsa_float_denorm_mode_32 3
		.amdhsa_float_denorm_mode_16_64 3
		.amdhsa_dx10_clamp 1
		.amdhsa_ieee_mode 1
		.amdhsa_fp16_overflow 0
		.amdhsa_workgroup_processor_mode 1
		.amdhsa_memory_ordered 1
		.amdhsa_forward_progress 0
		.amdhsa_shared_vgpr_count 0
		.amdhsa_exception_fp_ieee_invalid_op 0
		.amdhsa_exception_fp_denorm_src 0
		.amdhsa_exception_fp_ieee_div_zero 0
		.amdhsa_exception_fp_ieee_overflow 0
		.amdhsa_exception_fp_ieee_underflow 0
		.amdhsa_exception_fp_ieee_inexact 0
		.amdhsa_exception_int_div_zero 0
	.end_amdhsa_kernel
	.section	.text._Z38paged_attention_ll4mi_QKV_mfma4_kernelIDF16_hLN4vllm18Fp8KVCacheDataTypeE1EhLi32ELi128ELi256ELb0ELi3EEvPKT_PKT0_S7_ifPKiS9_S9_iPKfiiiPfSC_PS2_PT2_iSB_SB_,"axG",@progbits,_Z38paged_attention_ll4mi_QKV_mfma4_kernelIDF16_hLN4vllm18Fp8KVCacheDataTypeE1EhLi32ELi128ELi256ELb0ELi3EEvPKT_PKT0_S7_ifPKiS9_S9_iPKfiiiPfSC_PS2_PT2_iSB_SB_,comdat
.Lfunc_end1032:
	.size	_Z38paged_attention_ll4mi_QKV_mfma4_kernelIDF16_hLN4vllm18Fp8KVCacheDataTypeE1EhLi32ELi128ELi256ELb0ELi3EEvPKT_PKT0_S7_ifPKiS9_S9_iPKfiiiPfSC_PS2_PT2_iSB_SB_, .Lfunc_end1032-_Z38paged_attention_ll4mi_QKV_mfma4_kernelIDF16_hLN4vllm18Fp8KVCacheDataTypeE1EhLi32ELi128ELi256ELb0ELi3EEvPKT_PKT0_S7_ifPKiS9_S9_iPKfiiiPfSC_PS2_PT2_iSB_SB_
                                        ; -- End function
	.section	.AMDGPU.csdata,"",@progbits
; Kernel info:
; codeLenInByte = 72
; NumSgprs: 36
; NumVgprs: 41
; ScratchSize: 64
; MemoryBound: 0
; FloatMode: 240
; IeeeMode: 1
; LDSByteSize: 0 bytes/workgroup (compile time only)
; SGPRBlocks: 4
; VGPRBlocks: 5
; NumSGPRsForWavesPerEU: 36
; NumVGPRsForWavesPerEU: 41
; Occupancy: 16
; WaveLimiterHint : 1
; COMPUTE_PGM_RSRC2:SCRATCH_EN: 1
; COMPUTE_PGM_RSRC2:USER_SGPR: 15
; COMPUTE_PGM_RSRC2:TRAP_HANDLER: 0
; COMPUTE_PGM_RSRC2:TGID_X_EN: 1
; COMPUTE_PGM_RSRC2:TGID_Y_EN: 0
; COMPUTE_PGM_RSRC2:TGID_Z_EN: 0
; COMPUTE_PGM_RSRC2:TIDIG_COMP_CNT: 0
	.section	.text._Z38paged_attention_ll4mi_QKV_mfma4_kernelIDF16_hLN4vllm18Fp8KVCacheDataTypeE1EhLi32ELi128ELi256ELb0ELi4EEvPKT_PKT0_S7_ifPKiS9_S9_iPKfiiiPfSC_PS2_PT2_iSB_SB_,"axG",@progbits,_Z38paged_attention_ll4mi_QKV_mfma4_kernelIDF16_hLN4vllm18Fp8KVCacheDataTypeE1EhLi32ELi128ELi256ELb0ELi4EEvPKT_PKT0_S7_ifPKiS9_S9_iPKfiiiPfSC_PS2_PT2_iSB_SB_,comdat
	.protected	_Z38paged_attention_ll4mi_QKV_mfma4_kernelIDF16_hLN4vllm18Fp8KVCacheDataTypeE1EhLi32ELi128ELi256ELb0ELi4EEvPKT_PKT0_S7_ifPKiS9_S9_iPKfiiiPfSC_PS2_PT2_iSB_SB_ ; -- Begin function _Z38paged_attention_ll4mi_QKV_mfma4_kernelIDF16_hLN4vllm18Fp8KVCacheDataTypeE1EhLi32ELi128ELi256ELb0ELi4EEvPKT_PKT0_S7_ifPKiS9_S9_iPKfiiiPfSC_PS2_PT2_iSB_SB_
	.globl	_Z38paged_attention_ll4mi_QKV_mfma4_kernelIDF16_hLN4vllm18Fp8KVCacheDataTypeE1EhLi32ELi128ELi256ELb0ELi4EEvPKT_PKT0_S7_ifPKiS9_S9_iPKfiiiPfSC_PS2_PT2_iSB_SB_
	.p2align	8
	.type	_Z38paged_attention_ll4mi_QKV_mfma4_kernelIDF16_hLN4vllm18Fp8KVCacheDataTypeE1EhLi32ELi128ELi256ELb0ELi4EEvPKT_PKT0_S7_ifPKiS9_S9_iPKfiiiPfSC_PS2_PT2_iSB_SB_,@function
_Z38paged_attention_ll4mi_QKV_mfma4_kernelIDF16_hLN4vllm18Fp8KVCacheDataTypeE1EhLi32ELi128ELi256ELb0ELi4EEvPKT_PKT0_S7_ifPKiS9_S9_iPKfiiiPfSC_PS2_PT2_iSB_SB_: ; @_Z38paged_attention_ll4mi_QKV_mfma4_kernelIDF16_hLN4vllm18Fp8KVCacheDataTypeE1EhLi32ELi128ELi256ELb0ELi4EEvPKT_PKT0_S7_ifPKiS9_S9_iPKfiiiPfSC_PS2_PT2_iSB_SB_
; %bb.0:
	s_add_u32 s8, s0, 0x90
	s_addc_u32 s9, s1, 0
	s_getpc_b64 s[0:1]
	s_add_u32 s0, s0, __PRETTY_FUNCTION__._Z38paged_attention_ll4mi_QKV_mfma4_kernelIDF16_hLN4vllm18Fp8KVCacheDataTypeE1EhLi32ELi128ELi256ELb0ELi4EEvPKT_PKT0_S7_ifPKiS9_S9_iPKfiiiPfSC_PS2_PT2_iSB_SB_@rel32@lo+4
	s_addc_u32 s1, s1, __PRETTY_FUNCTION__._Z38paged_attention_ll4mi_QKV_mfma4_kernelIDF16_hLN4vllm18Fp8KVCacheDataTypeE1EhLi32ELi128ELi256ELb0ELi4EEvPKT_PKT0_S7_ifPKiS9_S9_iPKfiiiPfSC_PS2_PT2_iSB_SB_@rel32@hi+12
	s_delay_alu instid0(SALU_CYCLE_1) | instskip(SKIP_4) | instid1(SALU_CYCLE_1)
	v_dual_mov_b32 v0, s0 :: v_dual_mov_b32 v1, s1
	s_mov_b32 s32, 0
	s_getpc_b64 s[2:3]
	s_add_u32 s2, s2, __assert_fail@rel32@lo+4
	s_addc_u32 s3, s3, __assert_fail@rel32@hi+12
	s_swappc_b64 s[30:31], s[2:3]
	.section	.rodata,"a",@progbits
	.p2align	6, 0x0
	.amdhsa_kernel _Z38paged_attention_ll4mi_QKV_mfma4_kernelIDF16_hLN4vllm18Fp8KVCacheDataTypeE1EhLi32ELi128ELi256ELb0ELi4EEvPKT_PKT0_S7_ifPKiS9_S9_iPKfiiiPfSC_PS2_PT2_iSB_SB_
		.amdhsa_group_segment_fixed_size 0
		.amdhsa_private_segment_fixed_size 64
		.amdhsa_kernarg_size 400
		.amdhsa_user_sgpr_count 15
		.amdhsa_user_sgpr_dispatch_ptr 0
		.amdhsa_user_sgpr_queue_ptr 0
		.amdhsa_user_sgpr_kernarg_segment_ptr 1
		.amdhsa_user_sgpr_dispatch_id 0
		.amdhsa_user_sgpr_private_segment_size 0
		.amdhsa_wavefront_size32 1
		.amdhsa_uses_dynamic_stack 0
		.amdhsa_enable_private_segment 1
		.amdhsa_system_sgpr_workgroup_id_x 1
		.amdhsa_system_sgpr_workgroup_id_y 0
		.amdhsa_system_sgpr_workgroup_id_z 0
		.amdhsa_system_sgpr_workgroup_info 0
		.amdhsa_system_vgpr_workitem_id 0
		.amdhsa_next_free_vgpr 41
		.amdhsa_next_free_sgpr 34
		.amdhsa_reserve_vcc 1
		.amdhsa_float_round_mode_32 0
		.amdhsa_float_round_mode_16_64 0
		.amdhsa_float_denorm_mode_32 3
		.amdhsa_float_denorm_mode_16_64 3
		.amdhsa_dx10_clamp 1
		.amdhsa_ieee_mode 1
		.amdhsa_fp16_overflow 0
		.amdhsa_workgroup_processor_mode 1
		.amdhsa_memory_ordered 1
		.amdhsa_forward_progress 0
		.amdhsa_shared_vgpr_count 0
		.amdhsa_exception_fp_ieee_invalid_op 0
		.amdhsa_exception_fp_denorm_src 0
		.amdhsa_exception_fp_ieee_div_zero 0
		.amdhsa_exception_fp_ieee_overflow 0
		.amdhsa_exception_fp_ieee_underflow 0
		.amdhsa_exception_fp_ieee_inexact 0
		.amdhsa_exception_int_div_zero 0
	.end_amdhsa_kernel
	.section	.text._Z38paged_attention_ll4mi_QKV_mfma4_kernelIDF16_hLN4vllm18Fp8KVCacheDataTypeE1EhLi32ELi128ELi256ELb0ELi4EEvPKT_PKT0_S7_ifPKiS9_S9_iPKfiiiPfSC_PS2_PT2_iSB_SB_,"axG",@progbits,_Z38paged_attention_ll4mi_QKV_mfma4_kernelIDF16_hLN4vllm18Fp8KVCacheDataTypeE1EhLi32ELi128ELi256ELb0ELi4EEvPKT_PKT0_S7_ifPKiS9_S9_iPKfiiiPfSC_PS2_PT2_iSB_SB_,comdat
.Lfunc_end1033:
	.size	_Z38paged_attention_ll4mi_QKV_mfma4_kernelIDF16_hLN4vllm18Fp8KVCacheDataTypeE1EhLi32ELi128ELi256ELb0ELi4EEvPKT_PKT0_S7_ifPKiS9_S9_iPKfiiiPfSC_PS2_PT2_iSB_SB_, .Lfunc_end1033-_Z38paged_attention_ll4mi_QKV_mfma4_kernelIDF16_hLN4vllm18Fp8KVCacheDataTypeE1EhLi32ELi128ELi256ELb0ELi4EEvPKT_PKT0_S7_ifPKiS9_S9_iPKfiiiPfSC_PS2_PT2_iSB_SB_
                                        ; -- End function
	.section	.AMDGPU.csdata,"",@progbits
; Kernel info:
; codeLenInByte = 72
; NumSgprs: 36
; NumVgprs: 41
; ScratchSize: 64
; MemoryBound: 0
; FloatMode: 240
; IeeeMode: 1
; LDSByteSize: 0 bytes/workgroup (compile time only)
; SGPRBlocks: 4
; VGPRBlocks: 5
; NumSGPRsForWavesPerEU: 36
; NumVGPRsForWavesPerEU: 41
; Occupancy: 16
; WaveLimiterHint : 1
; COMPUTE_PGM_RSRC2:SCRATCH_EN: 1
; COMPUTE_PGM_RSRC2:USER_SGPR: 15
; COMPUTE_PGM_RSRC2:TRAP_HANDLER: 0
; COMPUTE_PGM_RSRC2:TGID_X_EN: 1
; COMPUTE_PGM_RSRC2:TGID_Y_EN: 0
; COMPUTE_PGM_RSRC2:TGID_Z_EN: 0
; COMPUTE_PGM_RSRC2:TIDIG_COMP_CNT: 0
	.section	.text._Z39paged_attention_ll4mi_QKV_mfma16_kernelIDF16_hLN4vllm18Fp8KVCacheDataTypeE1EhLi32ELi128ELi256ELb0ELi5EL8MFMAType1EEvPKT_PKT0_S8_ifPKiSA_SA_iPKfiiiPfSD_PS3_PT2_iSC_SC_,"axG",@progbits,_Z39paged_attention_ll4mi_QKV_mfma16_kernelIDF16_hLN4vllm18Fp8KVCacheDataTypeE1EhLi32ELi128ELi256ELb0ELi5EL8MFMAType1EEvPKT_PKT0_S8_ifPKiSA_SA_iPKfiiiPfSD_PS3_PT2_iSC_SC_,comdat
	.protected	_Z39paged_attention_ll4mi_QKV_mfma16_kernelIDF16_hLN4vllm18Fp8KVCacheDataTypeE1EhLi32ELi128ELi256ELb0ELi5EL8MFMAType1EEvPKT_PKT0_S8_ifPKiSA_SA_iPKfiiiPfSD_PS3_PT2_iSC_SC_ ; -- Begin function _Z39paged_attention_ll4mi_QKV_mfma16_kernelIDF16_hLN4vllm18Fp8KVCacheDataTypeE1EhLi32ELi128ELi256ELb0ELi5EL8MFMAType1EEvPKT_PKT0_S8_ifPKiSA_SA_iPKfiiiPfSD_PS3_PT2_iSC_SC_
	.globl	_Z39paged_attention_ll4mi_QKV_mfma16_kernelIDF16_hLN4vllm18Fp8KVCacheDataTypeE1EhLi32ELi128ELi256ELb0ELi5EL8MFMAType1EEvPKT_PKT0_S8_ifPKiSA_SA_iPKfiiiPfSD_PS3_PT2_iSC_SC_
	.p2align	8
	.type	_Z39paged_attention_ll4mi_QKV_mfma16_kernelIDF16_hLN4vllm18Fp8KVCacheDataTypeE1EhLi32ELi128ELi256ELb0ELi5EL8MFMAType1EEvPKT_PKT0_S8_ifPKiSA_SA_iPKfiiiPfSD_PS3_PT2_iSC_SC_,@function
_Z39paged_attention_ll4mi_QKV_mfma16_kernelIDF16_hLN4vllm18Fp8KVCacheDataTypeE1EhLi32ELi128ELi256ELb0ELi5EL8MFMAType1EEvPKT_PKT0_S8_ifPKiSA_SA_iPKfiiiPfSD_PS3_PT2_iSC_SC_: ; @_Z39paged_attention_ll4mi_QKV_mfma16_kernelIDF16_hLN4vllm18Fp8KVCacheDataTypeE1EhLi32ELi128ELi256ELb0ELi5EL8MFMAType1EEvPKT_PKT0_S8_ifPKiSA_SA_iPKfiiiPfSD_PS3_PT2_iSC_SC_
; %bb.0:
	s_load_b64 s[4:5], s[0:1], 0x30
	s_mov_b32 s34, s13
	s_waitcnt lgkmcnt(0)
	s_cmp_lg_u64 s[4:5], 0
	s_cselect_b32 s8, -1, 0
	s_ashr_i32 s35, s13, 31
	s_cmp_eq_u64 s[4:5], 0
	s_cbranch_scc1 .LBB1034_3
; %bb.1:
	s_lshl_b64 s[2:3], s[34:35], 2
	s_delay_alu instid0(SALU_CYCLE_1) | instskip(SKIP_4) | instid1(SALU_CYCLE_1)
	s_add_u32 s2, s4, s2
	s_addc_u32 s3, s5, s3
	s_load_b64 s[2:3], s[2:3], 0x0
	s_waitcnt lgkmcnt(0)
	s_sub_i32 s2, s3, s2
	s_cmp_eq_u32 s2, 1
	s_cselect_b32 s2, -1, 0
	s_delay_alu instid0(SALU_CYCLE_1)
	s_and_not1_b32 vcc_lo, exec_lo, s2
	s_cbranch_vccz .LBB1034_4
.LBB1034_2:
	s_nop 0
	s_sendmsg sendmsg(MSG_DEALLOC_VGPRS)
	s_endpgm
.LBB1034_3:
.LBB1034_4:
	s_load_b64 s[2:3], s[0:1], 0x28
	s_lshl_b64 s[6:7], s[34:35], 2
	s_waitcnt lgkmcnt(0)
	s_add_u32 s2, s2, s6
	s_addc_u32 s3, s3, s7
	s_lshl_b32 s12, s14, 8
	s_load_b32 s24, s[2:3], 0x0
	s_waitcnt lgkmcnt(0)
	s_cmp_ge_i32 s12, s24
	s_cbranch_scc1 .LBB1034_2
; %bb.5:
	s_clause 0x1
	s_load_b128 s[20:23], s[0:1], 0x8
	s_load_b64 s[2:3], s[0:1], 0x20
	s_and_not1_b32 vcc_lo, exec_lo, s8
	s_cbranch_vccnz .LBB1034_7
; %bb.6:
	s_add_u32 s4, s4, s6
	s_addc_u32 s5, s5, s7
	s_load_b32 s5, s[4:5], 0x0
	s_branch .LBB1034_8
.LBB1034_7:
	s_mov_b32 s5, s34
.LBB1034_8:
	s_load_b128 s[16:19], s[0:1], 0x48
	v_and_b32_e32 v68, 15, v0
	v_lshrrev_b32_e32 v69, 5, v0
	v_bfe_u32 v66, v0, 4, 1
	v_and_b32_e32 v70, 31, v0
	v_and_b32_e32 v67, 1, v0
	v_lshlrev_b32_e32 v2, 3, v68
	s_mul_i32 s31, s15, 5
	v_lshl_or_b32 v1, v69, 1, v66
	s_mov_b32 s4, exec_lo
	s_delay_alu instid0(VALU_DEP_2) | instskip(NEXT) | instid1(VALU_DEP_2)
	v_lshlrev_b32_e32 v65, 1, v2
	v_cmpx_gt_u32_e32 5, v1
	s_cbranch_execz .LBB1034_10
; %bb.9:
	s_load_b64 s[6:7], s[0:1], 0x0
	v_add_lshl_u32 v2, v1, s31, 7
	s_waitcnt lgkmcnt(0)
	s_mul_hi_i32 s9, s5, s16
	s_mul_i32 s8, s5, s16
	v_lshlrev_b32_e32 v6, 10, v68
	s_lshl_b64 s[8:9], s[8:9], 1
	v_ashrrev_i32_e32 v3, 31, v2
	v_lshlrev_b32_e32 v1, 6, v1
	v_lshlrev_b32_e32 v7, 10, v67
	v_and_b32_e32 v6, 0x3800, v6
	s_delay_alu instid0(VALU_DEP_4) | instskip(NEXT) | instid1(VALU_DEP_2)
	v_lshlrev_b64 v[2:3], 1, v[2:3]
	v_or3_b32 v1, v6, v7, v1
	s_add_u32 s5, s6, s8
	s_addc_u32 s6, s7, s9
	s_delay_alu instid0(VALU_DEP_2) | instskip(NEXT) | instid1(VALU_DEP_3)
	v_add_co_u32 v2, vcc_lo, s5, v2
	v_add_co_ci_u32_e32 v3, vcc_lo, s6, v3, vcc_lo
	s_delay_alu instid0(VALU_DEP_2) | instskip(NEXT) | instid1(VALU_DEP_2)
	v_add_co_u32 v2, vcc_lo, v2, v65
	v_add_co_ci_u32_e32 v3, vcc_lo, 0, v3, vcc_lo
	global_load_b128 v[2:5], v[2:3], off
	s_waitcnt vmcnt(0)
	ds_store_b128 v1, v[2:5]
.LBB1034_10:
	s_or_b32 exec_lo, exec_lo, s4
	v_and_b32_e32 v1, 0xef, v0
	s_waitcnt lgkmcnt(0)
	s_add_i32 s5, s24, 31
	s_clause 0x1
	s_load_b32 s4, s[0:1], 0x38
	s_load_b32 s33, s[0:1], 0x98
	s_ashr_i32 s6, s5, 31
	v_add_nc_u32_e32 v1, s12, v1
	s_lshr_b32 s6, s6, 27
	s_load_b32 s19, s[0:1], 0x1c
	s_add_i32 s5, s5, s6
	s_waitcnt lgkmcnt(0)
	v_ashrrev_i32_e32 v2, 31, v1
	v_or_b32_e32 v3, 16, v1
	s_ashr_i32 s13, s5, 5
	v_cmp_gt_i32_e32 vcc_lo, s24, v1
	s_add_i32 s13, s13, -1
	v_lshrrev_b32_e32 v2, 27, v2
	s_barrier
	buffer_gl0_inv
	s_mul_i32 s15, s15, s18
	v_add_nc_u32_e32 v4, v1, v2
	s_mul_i32 s4, s34, s4
	s_delay_alu instid0(SALU_CYCLE_1) | instskip(NEXT) | instid1(VALU_DEP_1)
	s_ashr_i32 s5, s4, 31
	v_ashrrev_i32_e32 v4, 5, v4
	v_add_nc_u32_e32 v2, v3, v2
	s_lshl_b64 s[4:5], s[4:5], 2
	s_delay_alu instid0(SALU_CYCLE_1) | instskip(NEXT) | instid1(VALU_DEP_2)
	s_add_u32 s16, s2, s4
	v_cndmask_b32_e32 v1, s13, v4, vcc_lo
	s_delay_alu instid0(VALU_DEP_2)
	v_ashrrev_i32_e32 v2, 5, v2
	v_cmp_gt_i32_e32 vcc_lo, s24, v3
	s_addc_u32 s25, s3, s5
	s_ashr_i32 s18, s15, 31
	s_add_u32 s2, s20, s15
	s_addc_u32 s3, s21, s18
	v_cndmask_b32_e32 v3, s13, v2, vcc_lo
	v_ashrrev_i32_e32 v2, 31, v1
	s_lshl_b32 s4, s14, 3
	s_delay_alu instid0(SALU_CYCLE_1) | instskip(NEXT) | instid1(VALU_DEP_2)
	s_ashr_i32 s5, s4, 31
	v_ashrrev_i32_e32 v4, 31, v3
	s_delay_alu instid0(VALU_DEP_2) | instskip(SKIP_1) | instid1(SALU_CYCLE_1)
	v_lshlrev_b64 v[1:2], 2, v[1:2]
	s_lshl_b64 s[4:5], s[4:5], 2
	s_add_u32 s4, s16, s4
	s_delay_alu instid0(VALU_DEP_2) | instskip(SKIP_1) | instid1(VALU_DEP_2)
	v_lshlrev_b64 v[3:4], 2, v[3:4]
	s_addc_u32 s5, s25, s5
	v_add_co_u32 v1, vcc_lo, s16, v1
	v_add_co_ci_u32_e32 v2, vcc_lo, s25, v2, vcc_lo
	s_delay_alu instid0(VALU_DEP_3) | instskip(NEXT) | instid1(VALU_DEP_4)
	v_add_co_u32 v3, vcc_lo, s16, v3
	v_add_co_ci_u32_e32 v4, vcc_lo, s25, v4, vcc_lo
	s_clause 0x1
	global_load_b32 v5, v[1:2], off
	global_load_b32 v6, v[3:4], off
	s_or_b32 s6, s12, 32
	s_delay_alu instid0(SALU_CYCLE_1) | instskip(SKIP_2) | instid1(SALU_CYCLE_1)
	s_ashr_i32 s7, s6, 5
	s_cmp_lt_i32 s6, s24
	s_cselect_b32 s6, s7, s13
	s_ashr_i32 s7, s6, 31
	s_delay_alu instid0(SALU_CYCLE_1) | instskip(NEXT) | instid1(SALU_CYCLE_1)
	s_lshl_b64 s[6:7], s[6:7], 2
	s_add_u32 s6, s16, s6
	s_addc_u32 s7, s25, s7
	s_or_b32 s8, s12, 64
	s_delay_alu instid0(SALU_CYCLE_1) | instskip(SKIP_2) | instid1(SALU_CYCLE_1)
	s_ashr_i32 s9, s8, 5
	s_cmp_lt_i32 s8, s24
	s_cselect_b32 s8, s9, s13
	s_ashr_i32 s9, s8, 31
	s_delay_alu instid0(SALU_CYCLE_1) | instskip(NEXT) | instid1(SALU_CYCLE_1)
	s_lshl_b64 s[8:9], s[8:9], 2
	s_add_u32 s8, s16, s8
	s_addc_u32 s9, s25, s9
	s_or_b32 s10, s12, 0x60
	s_delay_alu instid0(SALU_CYCLE_1) | instskip(SKIP_2) | instid1(SALU_CYCLE_1)
	s_ashr_i32 s11, s10, 5
	s_cmp_lt_i32 s10, s24
	s_cselect_b32 s10, s11, s13
	s_ashr_i32 s11, s10, 31
	s_delay_alu instid0(SALU_CYCLE_1) | instskip(NEXT) | instid1(SALU_CYCLE_1)
	s_lshl_b64 s[10:11], s[10:11], 2
	s_add_u32 s10, s16, s10
	s_addc_u32 s11, s25, s11
	s_or_b32 s20, s12, 0x80
	s_delay_alu instid0(SALU_CYCLE_1) | instskip(SKIP_2) | instid1(SALU_CYCLE_1)
	s_ashr_i32 s21, s20, 5
	s_cmp_lt_i32 s20, s24
	s_cselect_b32 s20, s21, s13
	s_ashr_i32 s21, s20, 31
	s_delay_alu instid0(SALU_CYCLE_1) | instskip(NEXT) | instid1(SALU_CYCLE_1)
	s_lshl_b64 s[20:21], s[20:21], 2
	s_add_u32 s20, s16, s20
	s_addc_u32 s21, s25, s21
	s_or_b32 s26, s12, 0xa0
	s_delay_alu instid0(SALU_CYCLE_1) | instskip(SKIP_2) | instid1(SALU_CYCLE_1)
	s_ashr_i32 s27, s26, 5
	s_cmp_lt_i32 s26, s24
	s_cselect_b32 s26, s27, s13
	s_ashr_i32 s27, s26, 31
	s_delay_alu instid0(SALU_CYCLE_1) | instskip(NEXT) | instid1(SALU_CYCLE_1)
	s_lshl_b64 s[26:27], s[26:27], 2
	s_add_u32 s26, s16, s26
	s_addc_u32 s27, s25, s27
	s_clause 0x5
	s_load_b32 s28, s[4:5], 0x0
	s_load_b32 s29, s[6:7], 0x0
	;; [unrolled: 1-line block ×6, first 2 shown]
	s_mov_b32 s4, 0
	s_delay_alu instid0(SALU_CYCLE_1)
	s_mov_b32 s5, s4
	s_mov_b32 s6, s4
	s_mov_b32 s7, s4
	s_mov_b32 s8, s4
	s_mov_b32 s9, s4
	s_mov_b32 s10, s4
	s_mov_b32 s11, s4
	s_delay_alu instid0(SALU_CYCLE_1)
	v_dual_mov_b32 v118, s11 :: v_dual_mov_b32 v117, s10
	v_dual_mov_b32 v116, s9 :: v_dual_mov_b32 v115, s8
	v_mov_b32_e32 v113, s6
	v_dual_mov_b32 v111, s4 :: v_dual_mov_b32 v114, s7
	v_mov_b32_e32 v112, s5
	s_waitcnt vmcnt(1)
	v_mad_i64_i32 v[1:2], null, v5, s17, s[2:3]
	v_lshlrev_b32_e32 v5, 4, v68
	s_waitcnt vmcnt(0)
	v_mad_i64_i32 v[3:4], null, v6, s17, s[2:3]
	s_or_b32 s2, s12, 0xc0
	s_delay_alu instid0(SALU_CYCLE_1) | instskip(NEXT) | instid1(VALU_DEP_3)
	s_ashr_i32 s3, s2, 5
	v_add_co_u32 v1, vcc_lo, v1, v5
	s_delay_alu instid0(VALU_DEP_4) | instskip(NEXT) | instid1(VALU_DEP_3)
	v_add_co_ci_u32_e32 v2, vcc_lo, 0, v2, vcc_lo
	v_add_co_u32 v3, vcc_lo, v3, v5
	s_delay_alu instid0(VALU_DEP_4)
	v_add_co_ci_u32_e32 v4, vcc_lo, 0, v4, vcc_lo
	s_clause 0xf
	global_load_b128 v[17:20], v[1:2], off
	global_load_b128 v[21:24], v[1:2], off offset:512
	global_load_b128 v[25:28], v[3:4], off offset:256
	global_load_b128 v[29:32], v[3:4], off offset:768
	global_load_b128 v[57:60], v[1:2], off offset:1024
	global_load_b128 v[61:64], v[1:2], off offset:1536
	global_load_b128 v[71:74], v[3:4], off offset:1280
	global_load_b128 v[75:78], v[3:4], off offset:1792
	global_load_b128 v[79:82], v[1:2], off offset:2048
	global_load_b128 v[83:86], v[1:2], off offset:2560
	global_load_b128 v[87:90], v[3:4], off offset:2304
	global_load_b128 v[91:94], v[3:4], off offset:2816
	global_load_b128 v[95:98], v[1:2], off offset:3072
	global_load_b128 v[99:102], v[1:2], off offset:3584
	global_load_b128 v[103:106], v[3:4], off offset:3328
	global_load_b128 v[107:110], v[3:4], off offset:3840
	v_mul_lo_u16 v1, v68, 52
	s_cmp_lt_i32 s2, s24
	v_lshlrev_b32_e32 v2, 5, v68
	s_cselect_b32 s2, s3, s13
	s_delay_alu instid0(VALU_DEP_2) | instskip(SKIP_1) | instid1(SALU_CYCLE_1)
	v_lshrrev_b16 v1, 8, v1
	s_ashr_i32 s3, s2, 31
	s_lshl_b64 s[2:3], s[2:3], 2
	s_delay_alu instid0(VALU_DEP_1) | instskip(SKIP_3) | instid1(VALU_DEP_1)
	v_mul_lo_u16 v1, v1, 5
	s_add_u32 s2, s16, s2
	s_addc_u32 s3, s25, s3
	s_or_b32 s20, s12, 0xe0
	v_sub_nc_u16 v1, v68, v1
	s_ashr_i32 s21, s20, 5
	s_cmp_lt_i32 s20, s24
	s_cselect_b32 s20, s21, s13
	s_delay_alu instid0(VALU_DEP_1) | instskip(SKIP_1) | instid1(SALU_CYCLE_1)
	v_and_b32_e32 v1, 0xff, v1
	s_ashr_i32 s21, s20, 31
	s_lshl_b64 s[4:5], s[20:21], 2
	s_delay_alu instid0(VALU_DEP_1)
	v_lshlrev_b32_e32 v149, 6, v1
	s_add_u32 s4, s16, s4
	s_addc_u32 s5, s25, s5
	v_lshl_or_b32 v1, v69, 9, v2
	ds_load_b128 v[119:122], v149
	ds_load_b128 v[123:126], v149 offset:1024
	ds_load_b128 v[127:130], v149 offset:2048
	;; [unrolled: 1-line block ×3, first 2 shown]
	s_clause 0x1
	s_load_b32 s2, s[2:3], 0x0
	s_load_b32 s3, s[4:5], 0x0
	s_add_u32 s6, s22, s15
	s_addc_u32 s7, s23, s18
	v_add_co_u32 v135, s6, s6, v1
	s_delay_alu instid0(VALU_DEP_1) | instskip(SKIP_1) | instid1(VALU_DEP_1)
	v_add_co_ci_u32_e64 v136, null, s7, 0, s6
	s_waitcnt lgkmcnt(0)
	v_mad_i64_i32 v[1:2], null, s28, s17, v[135:136]
	v_mad_i64_i32 v[3:4], null, s29, s17, v[135:136]
	;; [unrolled: 1-line block ×6, first 2 shown]
	s_clause 0x9
	global_load_b128 v[49:52], v[1:2], off
	global_load_b128 v[53:56], v[1:2], off offset:16
	global_load_b128 v[41:44], v[3:4], off
	global_load_b128 v[45:48], v[3:4], off offset:16
	;; [unrolled: 2-line block ×5, first 2 shown]
	v_mad_i64_i32 v[145:146], null, s2, s17, v[135:136]
	v_mad_i64_i32 v[147:148], null, s3, s17, v[135:136]
	s_waitcnt vmcnt(24)
	v_wmma_f32_16x16x16_f16 v[135:142], v[17:24], v[119:126], v[111:118]
	s_waitcnt vmcnt(22)
	v_wmma_f32_16x16x16_f16 v[111:118], v[25:32], v[119:126], v[111:118]
	s_clause 0x3
	global_load_b128 v[17:20], v[143:144], off
	global_load_b128 v[21:24], v[143:144], off offset:16
	global_load_b128 v[25:28], v[145:146], off
	global_load_b128 v[29:32], v[145:146], off offset:16
	v_and_b32_e32 v119, 0xe0, v0
	s_waitcnt vmcnt(24)
	v_wmma_f32_16x16x16_f16 v[135:142], v[57:64], v[127:134], v[135:142]
	s_clause 0x1
	global_load_b128 v[57:60], v[147:148], off
	global_load_b128 v[61:64], v[147:148], off offset:16
	s_waitcnt vmcnt(24)
	v_wmma_f32_16x16x16_f16 v[111:118], v[71:78], v[127:134], v[111:118]
	ds_load_b128 v[71:74], v149 offset:4096
	ds_load_b128 v[75:78], v149 offset:5120
	v_add_nc_u32_e32 v128, s12, v119
	ds_load_b128 v[119:122], v149 offset:6144
	ds_load_b128 v[123:126], v149 offset:7168
	v_mbcnt_lo_u32_b32 v127, -1, 0
	s_waitcnt vmcnt(0) lgkmcnt(0)
	s_barrier
	v_or_b32_e32 v128, v128, v66
	buffer_gl0_inv
	v_xor_b32_e32 v129, 16, v127
	v_or_b32_e32 v130, 4, v128
	v_or_b32_e32 v131, 6, v128
	s_delay_alu instid0(VALU_DEP_3) | instskip(SKIP_4) | instid1(VALU_DEP_4)
	v_cmp_gt_i32_e32 vcc_lo, 32, v129
	v_or_b32_e32 v132, 8, v128
	v_or_b32_e32 v133, 10, v128
	v_cmp_gt_i32_e64 s3, s24, v130
	v_cmp_gt_i32_e64 s4, s24, v131
	;; [unrolled: 1-line block ×3, first 2 shown]
	v_wmma_f32_16x16x16_f16 v[135:142], v[79:86], v[71:78], v[135:142]
	v_wmma_f32_16x16x16_f16 v[111:118], v[87:94], v[71:78], v[111:118]
	v_or_b32_e32 v79, 12, v128
	v_or_b32_e32 v80, 14, v128
	v_cmp_gt_i32_e64 s6, s24, v133
	v_wmma_f32_16x16x16_f16 v[135:142], v[95:102], v[119:126], v[135:142]
	v_cndmask_b32_e32 v127, v127, v129, vcc_lo
	v_or_b32_e32 v129, 2, v128
	v_wmma_f32_16x16x16_f16 v[111:118], v[103:110], v[119:126], v[111:118]
	v_cmp_gt_i32_e32 vcc_lo, s24, v128
	v_dual_mul_f32 v88, s19, v135 :: v_dual_mul_f32 v87, s19, v136
	s_delay_alu instid0(VALU_DEP_4) | instskip(NEXT) | instid1(VALU_DEP_4)
	v_cmp_gt_i32_e64 s2, s24, v129
	v_mul_f32_e32 v94, s19, v113
	v_mul_f32_e32 v78, s19, v138
	;; [unrolled: 1-line block ×3, first 2 shown]
	v_cndmask_b32_e32 v88, 0xff7fffff, v88, vcc_lo
	v_cndmask_b32_e64 v87, 0xff7fffff, v87, s2
	v_dual_mul_f32 v76, s19, v140 :: v_dual_mul_f32 v77, s19, v139
	v_mul_f32_e32 v90, s19, v117
	v_cndmask_b32_e64 v86, 0xff7fffff, v86, s3
	v_cndmask_b32_e64 v78, 0xff7fffff, v78, s4
	v_max3_f32 v87, v88, 0xff7fffff, v87
	v_or_b32_e32 v81, 16, v128
	v_or_b32_e32 v82, 18, v128
	v_dual_mul_f32 v74, s19, v142 :: v_dual_mul_f32 v75, s19, v141
	v_mul_f32_e32 v92, s19, v115
	v_cndmask_b32_e64 v77, 0xff7fffff, v77, s5
	v_cndmask_b32_e64 v76, 0xff7fffff, v76, s6
	v_max3_f32 v78, v87, v86, v78
	v_cmp_gt_i32_e64 s7, s24, v79
	v_cmp_gt_i32_e64 s8, s24, v80
	v_or_b32_e32 v83, 20, v128
	v_or_b32_e32 v84, 22, v128
	v_dual_mul_f32 v89, s19, v118 :: v_dual_mul_f32 v96, s19, v111
	v_mul_f32_e32 v95, s19, v112
	v_cndmask_b32_e64 v75, 0xff7fffff, v75, s7
	v_cndmask_b32_e64 v74, 0xff7fffff, v74, s8
	v_max3_f32 v76, v78, v77, v76
	v_cmp_gt_i32_e64 s9, s24, v81
	v_cmp_gt_i32_e64 s10, s24, v82
	v_or_b32_e32 v85, 24, v128
	v_or_b32_e32 v71, 26, v128
	v_mul_f32_e32 v93, s19, v114
	v_cndmask_b32_e64 v77, 0xff7fffff, v96, s9
	v_cndmask_b32_e64 v78, 0xff7fffff, v95, s10
	v_max3_f32 v74, v76, v75, v74
	v_cmp_gt_i32_e64 s11, s24, v83
	v_cmp_gt_i32_e64 s12, s24, v84
	v_or_b32_e32 v72, 28, v128
	v_or_b32_e32 v73, 30, v128
	v_mul_f32_e32 v91, s19, v116
	v_cndmask_b32_e64 v75, 0xff7fffff, v94, s11
	v_cndmask_b32_e64 v76, 0xff7fffff, v93, s12
	v_max3_f32 v74, v74, v77, v78
	v_cmp_gt_i32_e64 s13, s24, v85
	v_cmp_gt_i32_e64 s15, s24, v71
	;; [unrolled: 1-line block ×4, first 2 shown]
	v_max3_f32 v74, v74, v75, v76
	v_cndmask_b32_e64 v77, 0xff7fffff, v92, s13
	v_cndmask_b32_e64 v71, 0xff7fffff, v91, s15
	;; [unrolled: 1-line block ×4, first 2 shown]
	s_delay_alu instid0(VALU_DEP_3) | instskip(SKIP_1) | instid1(VALU_DEP_2)
	v_max3_f32 v71, v74, v77, v71
	v_lshlrev_b32_e32 v74, 2, v127
	v_max3_f32 v71, v71, v72, v73
	ds_bpermute_b32 v72, v74, v71
	s_waitcnt lgkmcnt(0)
	v_max_f32_e32 v72, v72, v72
	s_delay_alu instid0(VALU_DEP_1) | instskip(NEXT) | instid1(VALU_DEP_1)
	v_max_f32_e32 v71, v71, v72
	v_fma_f32 v75, s19, v137, -v71
	v_fma_f32 v76, s19, v138, -v71
	;; [unrolled: 1-line block ×5, first 2 shown]
	s_delay_alu instid0(VALU_DEP_4) | instskip(NEXT) | instid1(VALU_DEP_4)
	v_dual_mul_f32 v75, 0x3fb8aa3b, v75 :: v_dual_mul_f32 v76, 0x3fb8aa3b, v76
	v_mul_f32_e32 v72, 0x3fb8aa3b, v72
	v_fma_f32 v77, s19, v139, -v71
	s_delay_alu instid0(VALU_DEP_4) | instskip(NEXT) | instid1(VALU_DEP_4)
	v_mul_f32_e32 v73, 0x3fb8aa3b, v73
	v_exp_f32_e32 v75, v75
	v_exp_f32_e32 v76, v76
	v_exp_f32_e32 v72, v72
	s_delay_alu instid0(VALU_DEP_1) | instskip(SKIP_2) | instid1(TRANS32_DEP_3)
	v_exp_f32_e32 v73, v73
	v_cndmask_b32_e64 v81, 0, v75, s3
	v_mul_f32_e32 v82, 0x3fb8aa3b, v80
	v_cndmask_b32_e64 v80, 0, v76, s4
	s_waitcnt_depctr 0xfff
	v_cndmask_b32_e64 v78, 0, v73, s2
	v_cmp_gt_u32_e64 s2, 16, v70
	v_exp_f32_e32 v84, v82
	s_waitcnt_depctr 0xfff
	v_cndmask_b32_e64 v85, 0, v84, s7
	v_cndmask_b32_e32 v79, 0, v72, vcc_lo
	v_fma_f32 v72, s19, v140, -v71
	v_mul_f32_e32 v77, 0x3fb8aa3b, v77
	s_delay_alu instid0(VALU_DEP_2) | instskip(NEXT) | instid1(VALU_DEP_2)
	v_dual_add_f32 v73, 0, v79 :: v_dual_mul_f32 v72, 0x3fb8aa3b, v72
	v_exp_f32_e32 v77, v77
	s_delay_alu instid0(VALU_DEP_1) | instskip(NEXT) | instid1(VALU_DEP_2)
	v_add_f32_e32 v73, v73, v78
	v_exp_f32_e32 v72, v72
	s_delay_alu instid0(VALU_DEP_1) | instskip(SKIP_4) | instid1(VALU_DEP_2)
	v_add_f32_e32 v73, v73, v81
	s_waitcnt_depctr 0xfff
	v_cndmask_b32_e64 v83, 0, v77, s5
	v_add_f32_e32 v73, v73, v80
	v_cndmask_b32_e64 v82, 0, v72, s6
	v_add_f32_e32 v72, v73, v83
	s_delay_alu instid0(VALU_DEP_1)
	v_add_f32_e32 v72, v72, v82
	v_fma_f32 v75, s19, v142, -v71
	v_fma_f32 v76, s19, v111, -v71
	;; [unrolled: 1-line block ×5, first 2 shown]
	s_delay_alu instid0(VALU_DEP_4) | instskip(NEXT) | instid1(VALU_DEP_4)
	v_dual_mul_f32 v75, 0x3fb8aa3b, v75 :: v_dual_mul_f32 v76, 0x3fb8aa3b, v76
	v_mul_f32_e32 v86, 0x3fb8aa3b, v86
	v_add_f32_e32 v72, v72, v85
	s_delay_alu instid0(VALU_DEP_3) | instskip(NEXT) | instid1(VALU_DEP_3)
	v_exp_f32_e32 v75, v75
	v_exp_f32_e32 v76, v76
	s_delay_alu instid0(VALU_DEP_2) | instskip(NEXT) | instid1(TRANS32_DEP_3)
	v_exp_f32_e32 v88, v86
	v_cndmask_b32_e64 v84, 0, v75, s8
	v_mul_f32_e32 v77, 0x3fb8aa3b, v77
	s_waitcnt_depctr 0xfff
	v_cndmask_b32_e64 v87, 0, v76, s9
	v_fma_f32 v76, s19, v116, -v71
	v_dual_mul_f32 v73, 0x3fb8aa3b, v73 :: v_dual_add_f32 v72, v72, v84
	v_exp_f32_e32 v77, v77
	v_fma_f32 v75, s19, v115, -v71
	s_delay_alu instid0(VALU_DEP_3) | instskip(NEXT) | instid1(VALU_DEP_3)
	v_mul_f32_e32 v76, 0x3fb8aa3b, v76
	v_exp_f32_e32 v73, v73
	v_add_f32_e32 v72, v72, v87
	v_cndmask_b32_e64 v88, 0, v88, s12
	s_delay_alu instid0(VALU_DEP_3) | instskip(NEXT) | instid1(TRANS32_DEP_3)
	v_exp_f32_e32 v76, v76
	v_cndmask_b32_e64 v86, 0, v77, s10
	v_mul_f32_e32 v75, 0x3fb8aa3b, v75
	v_fma_f32 v77, s19, v117, -v71
	s_delay_alu instid0(TRANS32_DEP_2) | instskip(NEXT) | instid1(VALU_DEP_4)
	v_cndmask_b32_e64 v89, 0, v73, s11
	v_add_f32_e32 v72, v72, v86
	s_delay_alu instid0(VALU_DEP_4) | instskip(NEXT) | instid1(TRANS32_DEP_2)
	v_exp_f32_e32 v75, v75
	v_cndmask_b32_e64 v90, 0, v76, s15
	s_delay_alu instid0(VALU_DEP_2) | instskip(SKIP_2) | instid1(VALU_DEP_3)
	v_add_f32_e32 v72, v72, v89
	v_mul_f32_e32 v73, 0x3fb8aa3b, v77
	v_fma_f32 v77, s19, v118, -v71
	v_add_f32_e32 v72, v72, v88
	s_delay_alu instid0(VALU_DEP_3) | instskip(NEXT) | instid1(TRANS32_DEP_2)
	v_exp_f32_e32 v73, v73
	v_cndmask_b32_e64 v91, 0, v75, s13
	s_delay_alu instid0(VALU_DEP_1) | instskip(NEXT) | instid1(VALU_DEP_1)
	v_dual_mul_f32 v75, 0x3fb8aa3b, v77 :: v_dual_add_f32 v72, v72, v91
	v_exp_f32_e32 v75, v75
	s_waitcnt_depctr 0xfff
	v_cndmask_b32_e64 v93, 0, v73, s16
	v_add_f32_e32 v72, v72, v90
	s_delay_alu instid0(VALU_DEP_1) | instskip(SKIP_1) | instid1(VALU_DEP_1)
	v_add_f32_e32 v72, v72, v93
	v_cndmask_b32_e64 v92, 0, v75, s17
	v_add_f32_e32 v72, v72, v92
	ds_bpermute_b32 v73, v74, v72
	s_and_saveexec_b32 s3, s2
	s_cbranch_execz .LBB1034_12
; %bb.11:
	v_mul_u32_u24_e32 v70, 0x44, v69
	s_waitcnt lgkmcnt(0)
	v_add_f32_e32 v72, v72, v73
	s_delay_alu instid0(VALU_DEP_2) | instskip(NEXT) | instid1(VALU_DEP_1)
	v_lshl_add_u32 v70, v68, 2, v70
	v_add_nc_u32_e32 v70, 0x4000, v70
	ds_store_2addr_b32 v70, v71, v72 offset1:136
.LBB1034_12:
	s_or_b32 exec_lo, exec_lo, s3
	v_lshlrev_b32_e32 v70, 2, v68
	s_load_b32 s35, s[0:1], 0x94
	s_waitcnt lgkmcnt(0)
	s_barrier
	buffer_gl0_inv
	v_add_nc_u32_e32 v98, 0x4000, v70
	v_cmp_eq_u32_e32 vcc_lo, 1, v69
	v_cmp_eq_u32_e64 s3, 2, v69
	v_cmp_eq_u32_e64 s4, 3, v69
	;; [unrolled: 1-line block ×3, first 2 shown]
	ds_load_2addr_b32 v[70:71], v98 offset1:17
	ds_load_2addr_b32 v[72:73], v98 offset0:34 offset1:51
	ds_load_2addr_b32 v[74:75], v98 offset0:68 offset1:85
	;; [unrolled: 1-line block ×3, first 2 shown]
	v_cmp_eq_u32_e64 s6, 5, v69
	v_cmp_eq_u32_e64 s7, 7, v69
	s_waitcnt lgkmcnt(3)
	v_max3_f32 v76, v70, 0xff7fffff, v71
	s_waitcnt lgkmcnt(2)
	s_delay_alu instid0(VALU_DEP_1) | instskip(SKIP_1) | instid1(VALU_DEP_1)
	v_max3_f32 v76, v76, v72, v73
	s_waitcnt lgkmcnt(1)
	v_max3_f32 v76, v76, v74, v75
	s_waitcnt lgkmcnt(0)
	s_delay_alu instid0(VALU_DEP_1) | instskip(NEXT) | instid1(VALU_DEP_1)
	v_max3_f32 v76, v76, v94, v95
	v_sub_f32_e32 v77, v71, v76
	ds_load_2addr_b32 v[96:97], v98 offset0:136 offset1:153
	v_sub_f32_e32 v74, v74, v76
	v_sub_f32_e32 v70, v70, v76
	;; [unrolled: 1-line block ×3, first 2 shown]
	v_dual_sub_f32 v72, v72, v76 :: v_dual_mul_f32 v77, 0x3fb8aa3b, v77
	s_delay_alu instid0(VALU_DEP_4) | instskip(NEXT) | instid1(VALU_DEP_4)
	v_mul_f32_e32 v103, 0x3fb8aa3b, v74
	v_mul_f32_e32 v99, 0x3fb8aa3b, v70
	ds_load_2addr_b32 v[70:71], v98 offset0:170 offset1:187
	v_dual_mul_f32 v101, 0x3fb8aa3b, v72 :: v_dual_mul_f32 v94, 0x3fb8aa3b, v94
	v_exp_f32_e32 v102, v77
	v_exp_f32_e32 v99, v99
	s_delay_alu instid0(VALU_DEP_1) | instskip(NEXT) | instid1(VALU_DEP_1)
	v_exp_f32_e32 v101, v101
	v_exp_f32_e32 v94, v94
	s_waitcnt lgkmcnt(1)
	s_delay_alu instid0(TRANS32_DEP_3)
	v_fma_f32 v77, v99, v96, 0
	v_sub_f32_e32 v100, v73, v76
	ds_load_2addr_b32 v[72:73], v98 offset0:204 offset1:221
	v_fmac_f32_e32 v77, v102, v97
	v_exp_f32_e32 v97, v103
	s_waitcnt lgkmcnt(1)
	s_delay_alu instid0(VALU_DEP_1)
	v_dual_fmac_f32 v77, v101, v70 :: v_dual_sub_f32 v96, v75, v76
	ds_load_2addr_b32 v[74:75], v98 offset0:238 offset1:255
	v_sub_f32_e32 v70, v95, v76
	s_waitcnt lgkmcnt(0)
	s_barrier
	v_mul_f32_e32 v96, 0x3fb8aa3b, v96
	buffer_gl0_inv
	v_exp_f32_e32 v95, v96
	v_mul_f32_e32 v100, 0x3fb8aa3b, v100
	s_delay_alu instid0(VALU_DEP_1) | instskip(SKIP_3) | instid1(VALU_DEP_2)
	v_exp_f32_e32 v100, v100
	s_waitcnt_depctr 0xfff
	v_dual_fmac_f32 v77, v100, v71 :: v_dual_mul_f32 v70, 0x3fb8aa3b, v70
	v_cndmask_b32_e32 v71, v99, v102, vcc_lo
	v_fmac_f32_e32 v77, v97, v72
	s_delay_alu instid0(VALU_DEP_3) | instskip(NEXT) | instid1(VALU_DEP_1)
	v_exp_f32_e32 v96, v70
	v_fmac_f32_e32 v77, v95, v73
	s_delay_alu instid0(VALU_DEP_1) | instskip(SKIP_2) | instid1(VALU_DEP_1)
	v_fmac_f32_e32 v77, v94, v74
	s_waitcnt_depctr 0xfff
	v_fmac_f32_e32 v77, v96, v75
	v_add_f32_e32 v74, 0x358637bd, v77
	s_delay_alu instid0(VALU_DEP_1) | instskip(SKIP_1) | instid1(VALU_DEP_2)
	v_div_scale_f32 v98, null, v74, v74, 1.0
	v_div_scale_f32 v99, vcc_lo, 1.0, v74, 1.0
	v_rcp_f32_e32 v103, v98
	s_waitcnt_depctr 0xfff
	v_fma_f32 v70, -v98, v103, 1.0
	s_delay_alu instid0(VALU_DEP_1) | instskip(SKIP_2) | instid1(VALU_DEP_2)
	v_fmac_f32_e32 v103, v70, v103
	v_cndmask_b32_e64 v70, v71, v101, s3
	v_cmp_eq_u32_e64 s3, 6, v69
	v_cndmask_b32_e64 v71, v70, v100, s4
	s_delay_alu instid0(VALU_DEP_4) | instskip(NEXT) | instid1(VALU_DEP_2)
	v_dual_mul_f32 v101, v99, v103 :: v_dual_lshlrev_b32 v70, 2, v66
	v_cndmask_b32_e64 v71, v71, v97, s5
	s_delay_alu instid0(VALU_DEP_2) | instskip(NEXT) | instid1(VALU_DEP_3)
	v_or_b32_e32 v72, 1, v70
	v_fma_f32 v100, -v98, v101, v99
	v_cmp_eq_u32_e64 s4, 1, v70
	v_cmp_eq_u32_e64 s5, 2, v70
	v_cndmask_b32_e64 v95, v71, v95, s6
	v_or_b32_e32 v71, 3, v70
	v_fmac_f32_e32 v101, v100, v103
	v_cmp_eq_u32_e64 s9, 1, v72
	v_cmp_eq_u32_e64 s12, 2, v72
	v_cndmask_b32_e64 v94, v95, v94, s3
	v_cmp_eq_u32_e64 s11, 1, v71
	v_fma_f32 v97, -v98, v101, v99
	v_cmp_eq_u32_e64 s16, 2, v71
	v_cmp_eq_u32_e64 s13, 3, v72
	v_cndmask_b32_e64 v94, v94, v96, s7
	v_cmp_eq_u32_e64 s18, 3, v71
	v_div_fmas_f32 v95, v97, v103, v101
	v_cmp_eq_u32_e32 vcc_lo, 3, v70
	v_cmp_eq_u32_e64 s3, 4, v70
	v_cmp_eq_u32_e64 s19, 4, v72
	;; [unrolled: 1-line block ×3, first 2 shown]
	v_div_fixup_f32 v95, v95, v74, 1.0
	v_lshlrev_b32_e32 v73, 6, v68
	v_cmp_eq_u32_e64 s6, 5, v70
	v_cmp_eq_u32_e64 s20, 5, v72
	;; [unrolled: 1-line block ×3, first 2 shown]
	v_mul_f32_e32 v102, v94, v95
	v_lshl_or_b32 v75, v69, 11, v73
	v_or_b32_e32 v69, 2, v70
	v_cmp_eq_u32_e64 s25, 6, v72
	v_cmp_eq_u32_e64 s27, 6, v71
	v_fma_mixlo_f16 v94, v102, v79, 0
	v_fma_mixlo_f16 v95, v102, v81, 0
	;; [unrolled: 1-line block ×8, first 2 shown]
	v_lshl_or_b32 v74, v66, 4, v75
	v_fma_mixhi_f16 v94, v102, v78, 0
	v_fma_mixhi_f16 v95, v102, v80, 0
	;; [unrolled: 1-line block ×8, first 2 shown]
	ds_store_b128 v74, v[94:97]
	ds_store_b128 v74, v[98:101] offset:1024
	s_waitcnt lgkmcnt(0)
	s_barrier
	buffer_gl0_inv
	ds_load_b128 v[78:81], v75
	ds_load_b128 v[82:85], v75 offset:16
	ds_load_b128 v[86:89], v75 offset:1024
	;; [unrolled: 1-line block ×3, first 2 shown]
	v_cmp_eq_u32_e64 s10, 1, v69
	v_cmp_eq_u32_e64 s15, 2, v69
	;; [unrolled: 1-line block ×11, first 2 shown]
	s_waitcnt lgkmcnt(3)
	v_lshrrev_b32_e32 v94, 16, v78
	s_waitcnt lgkmcnt(2)
	v_lshrrev_b32_e32 v98, 16, v82
	;; [unrolled: 2-line block ×4, first 2 shown]
	v_lshrrev_b32_e32 v95, 16, v79
	v_cndmask_b32_e64 v110, v78, v94, s4
	v_cndmask_b32_e64 v111, v82, v98, s4
	;; [unrolled: 1-line block ×8, first 2 shown]
	v_lshrrev_b32_e32 v99, 16, v83
	v_cndmask_b32_e64 v94, v86, v102, s4
	v_cndmask_b32_e64 v98, v90, v106, s4
	v_cndmask_b32_e64 v116, v86, v102, s9
	v_cndmask_b32_e64 v117, v90, v106, s9
	v_cndmask_b32_e64 v118, v86, v102, s10
	v_cndmask_b32_e64 v119, v90, v106, s10
	v_cndmask_b32_e64 v86, v86, v102, s11
	v_cndmask_b32_e64 v90, v90, v106, s11
	v_cndmask_b32_e64 v102, v110, v79, s5
	v_cndmask_b32_e64 v106, v111, v83, s5
	v_cndmask_b32_e64 v110, v112, v79, s12
	v_cndmask_b32_e64 v111, v113, v83, s12
	v_cndmask_b32_e64 v112, v114, v79, s15
	v_cndmask_b32_e64 v78, v78, v79, s16
	v_cndmask_b32_e64 v79, v82, v83, s16
	v_lshrrev_b32_e32 v103, 16, v87
	v_lshrrev_b32_e32 v107, 16, v91
	v_cndmask_b32_e64 v113, v115, v83, s15
	v_cndmask_b32_e64 v82, v94, v87, s5
	;; [unrolled: 1-line block ×7, first 2 shown]
	v_cndmask_b32_e32 v90, v102, v95, vcc_lo
	v_cndmask_b32_e32 v102, v106, v99, vcc_lo
	v_cndmask_b32_e64 v106, v110, v95, s13
	v_cndmask_b32_e64 v110, v111, v99, s13
	;; [unrolled: 1-line block ×4, first 2 shown]
	v_lshrrev_b32_e32 v96, 16, v80
	v_lshrrev_b32_e32 v100, 16, v84
	v_cndmask_b32_e64 v111, v112, v95, s17
	v_cndmask_b32_e64 v112, v113, v99, s17
	v_cndmask_b32_e32 v82, v82, v103, vcc_lo
	v_cndmask_b32_e32 v83, v83, v107, vcc_lo
	v_cndmask_b32_e64 v94, v94, v103, s13
	v_cndmask_b32_e64 v90, v90, v80, s3
	;; [unrolled: 1-line block ×7, first 2 shown]
	v_lshrrev_b32_e32 v104, 16, v88
	v_cndmask_b32_e64 v106, v111, v80, s21
	v_cndmask_b32_e64 v110, v112, v84, s21
	;; [unrolled: 1-line block ×11, first 2 shown]
	v_lshrrev_b32_e32 v97, 16, v81
	v_lshrrev_b32_e32 v101, 16, v85
	v_cndmask_b32_e64 v99, v106, v96, s23
	v_cndmask_b32_e64 v102, v110, v100, s23
	;; [unrolled: 1-line block ×7, first 2 shown]
	v_lshrrev_b32_e32 v105, 16, v89
	v_cndmask_b32_e64 v80, v80, v104, s6
	v_cndmask_b32_e64 v84, v84, v81, s7
	;; [unrolled: 1-line block ×16, first 2 shown]
	v_perm_b32 v81, v79, v78, 0x5040100
	v_perm_b32 v79, v95, v85, 0x5040100
	v_cndmask_b32_e64 v78, v119, v91, s15
	v_cndmask_b32_e64 v85, v117, v91, s12
	;; [unrolled: 1-line block ×3, first 2 shown]
	v_perm_b32 v80, v94, v90, 0x5040100
	v_cndmask_b32_e64 v90, v98, v103, s17
	v_cndmask_b32_e64 v86, v86, v103, s18
	;; [unrolled: 1-line block ×5, first 2 shown]
	v_lshrrev_b32_e32 v108, 16, v92
	v_cndmask_b32_e64 v90, v90, v88, s21
	v_cndmask_b32_e64 v86, v86, v88, s22
	;; [unrolled: 1-line block ×11, first 2 shown]
	v_lshrrev_b32_e32 v109, 16, v93
	v_cndmask_b32_e64 v82, v82, v93, s7
	v_cndmask_b32_e64 v88, v88, v89, s26
	;; [unrolled: 1-line block ×12, first 2 shown]
	v_perm_b32 v78, v84, v83, 0x5040100
	v_perm_b32 v85, v87, v86, 0x5040100
	;; [unrolled: 1-line block ×5, first 2 shown]
	s_mul_i32 s8, s33, 5
	s_mov_b32 s3, exec_lo
	ds_store_b128 v74, v[78:81]
	ds_store_b128 v74, v[82:85] offset:1024
	v_cmpx_gt_u32_e32 5, v0
	s_cbranch_execz .LBB1034_14
; %bb.13:
	s_mul_i32 s4, s8, s34
	s_delay_alu instid0(SALU_CYCLE_1) | instskip(SKIP_1) | instid1(VALU_DEP_1)
	v_add3_u32 v68, s4, s31, v68
	s_load_b128 s[4:7], s[0:1], 0x58
	v_mad_u64_u32 v[78:79], null, v68, s35, s[14:15]
	s_delay_alu instid0(VALU_DEP_1) | instskip(NEXT) | instid1(VALU_DEP_1)
	v_ashrrev_i32_e32 v79, 31, v78
	v_lshlrev_b64 v[78:79], 2, v[78:79]
	s_waitcnt lgkmcnt(0)
	s_delay_alu instid0(VALU_DEP_1) | instskip(NEXT) | instid1(VALU_DEP_2)
	v_add_co_u32 v80, vcc_lo, s6, v78
	v_add_co_ci_u32_e32 v81, vcc_lo, s7, v79, vcc_lo
	v_add_co_u32 v78, vcc_lo, s4, v78
	v_add_co_ci_u32_e32 v79, vcc_lo, s5, v79, vcc_lo
	global_store_b32 v[80:81], v76, off
	global_store_b32 v[78:79], v77, off
.LBB1034_14:
	s_or_b32 exec_lo, exec_lo, s3
	s_waitcnt lgkmcnt(0)
	s_waitcnt_vscnt null, 0x0
	s_barrier
	buffer_gl0_inv
	ds_load_b128 v[84:87], v73
	ds_load_b128 v[88:91], v73 offset:16
	ds_load_b128 v[96:99], v73 offset:2064
	;; [unrolled: 1-line block ×5, first 2 shown]
	v_cmp_eq_u32_e32 vcc_lo, 1, v70
	v_mov_b32_e32 v76, 0
	ds_load_b128 v[112:115], v73 offset:6160
	ds_load_b128 v[108:111], v73 offset:6144
	;; [unrolled: 1-line block ×4, first 2 shown]
	v_cmp_eq_u32_e64 s4, 1, v69
	v_cmp_eq_u32_e64 s3, 1, v72
	;; [unrolled: 1-line block ×3, first 2 shown]
	v_mov_b32_e32 v77, v76
	v_mov_b32_e32 v78, v76
	v_mov_b32_e32 v79, v76
	v_mov_b32_e32 v80, v76
	v_mov_b32_e32 v81, v76
	v_mov_b32_e32 v82, v76
	v_mov_b32_e32 v83, v76
	v_cmp_eq_u32_e64 s6, 3, v72
	v_cmp_eq_u32_e64 s7, 7, v72
	s_waitcnt lgkmcnt(8)
	s_delay_alu instid0(VALU_DEP_3)
	v_wmma_f32_16x16x16_f16 v[76:83], v[49:56], v[84:91], v[76:83]
	ds_load_b128 v[53:56], v73 offset:10256
	ds_load_b128 v[49:52], v73 offset:10240
	s_waitcnt lgkmcnt(8)
	v_wmma_f32_16x16x16_f16 v[76:83], v[41:48], v[92:99], v[76:83]
	ds_load_b128 v[45:48], v73 offset:12304
	ds_load_b128 v[41:44], v73 offset:12288
	s_waitcnt lgkmcnt(8)
	v_wmma_f32_16x16x16_f16 v[76:83], v[33:40], v[100:107], v[76:83]
	ds_load_b128 v[37:40], v73 offset:14352
	ds_load_b128 v[33:36], v73 offset:14336
	s_waitcnt lgkmcnt(0)
	s_barrier
	buffer_gl0_inv
	v_wmma_f32_16x16x16_f16 v[76:83], v[1:8], v[108:115], v[76:83]
	s_delay_alu instid0(VALU_DEP_1) | instskip(NEXT) | instid1(VALU_DEP_1)
	v_wmma_f32_16x16x16_f16 v[76:83], v[9:16], v[116:123], v[76:83]
	v_wmma_f32_16x16x16_f16 v[76:83], v[17:24], v[49:56], v[76:83]
	s_delay_alu instid0(VALU_DEP_1) | instskip(NEXT) | instid1(VALU_DEP_1)
	v_wmma_f32_16x16x16_f16 v[76:83], v[25:32], v[41:48], v[76:83]
	v_wmma_f32_16x16x16_f16 v[76:83], v[57:64], v[33:40], v[76:83]
	s_delay_alu instid0(VALU_DEP_1) | instskip(NEXT) | instid1(VALU_DEP_2)
	v_cvt_f16_f32_e32 v1, v76
	v_cvt_f16_f32_e32 v2, v77
	s_delay_alu instid0(VALU_DEP_3) | instskip(NEXT) | instid1(VALU_DEP_4)
	v_cvt_f16_f32_e32 v3, v78
	v_cvt_f16_f32_e32 v4, v79
	;; [unrolled: 1-line block ×6, first 2 shown]
	v_pack_b32_f16 v1, v1, v2
	v_pack_b32_f16 v2, v3, v4
	;; [unrolled: 1-line block ×3, first 2 shown]
	s_delay_alu instid0(VALU_DEP_4)
	v_pack_b32_f16 v4, v7, v8
	ds_store_b128 v74, v[1:4]
	s_waitcnt lgkmcnt(0)
	s_barrier
	buffer_gl0_inv
	ds_load_b128 v[1:4], v75
	ds_load_b128 v[5:8], v75 offset:16
	s_waitcnt lgkmcnt(1)
	v_lshrrev_b32_e32 v9, 16, v1
	s_waitcnt lgkmcnt(0)
	v_lshrrev_b32_e32 v13, 16, v5
	v_lshrrev_b32_e32 v10, 16, v2
	;; [unrolled: 1-line block ×4, first 2 shown]
	v_cndmask_b32_e32 v17, v1, v9, vcc_lo
	v_cndmask_b32_e32 v18, v5, v13, vcc_lo
	v_cndmask_b32_e64 v21, v1, v9, s4
	v_cmp_eq_u32_e32 vcc_lo, 1, v71
	v_cndmask_b32_e64 v22, v5, v13, s4
	v_cmp_eq_u32_e64 s4, 2, v70
	v_cndmask_b32_e64 v19, v1, v9, s3
	v_cndmask_b32_e64 v20, v5, v13, s3
	v_cndmask_b32_e32 v1, v1, v9, vcc_lo
	v_cmp_eq_u32_e64 s3, 2, v71
	v_cndmask_b32_e32 v5, v5, v13, vcc_lo
	v_cndmask_b32_e64 v9, v17, v2, s4
	v_cmp_eq_u32_e32 vcc_lo, 3, v70
	v_cndmask_b32_e64 v13, v18, v6, s4
	v_cmp_eq_u32_e64 s4, 2, v69
	v_cndmask_b32_e64 v17, v19, v2, s5
	v_cndmask_b32_e64 v18, v20, v6, s5
	v_cmp_eq_u32_e64 s5, 3, v69
	v_cndmask_b32_e64 v1, v1, v2, s3
	v_cndmask_b32_e64 v19, v21, v2, s4
	;; [unrolled: 1-line block ×4, first 2 shown]
	v_cndmask_b32_e32 v5, v9, v10, vcc_lo
	v_cndmask_b32_e32 v6, v13, v14, vcc_lo
	v_cmp_eq_u32_e32 vcc_lo, 3, v71
	v_cndmask_b32_e64 v9, v17, v10, s6
	v_cndmask_b32_e64 v13, v18, v14, s6
	;; [unrolled: 1-line block ×3, first 2 shown]
	v_cmp_eq_u32_e64 s4, 4, v70
	v_cndmask_b32_e32 v1, v1, v10, vcc_lo
	v_cndmask_b32_e32 v2, v2, v14, vcc_lo
	v_cmp_eq_u32_e32 vcc_lo, 4, v72
	v_lshrrev_b32_e32 v15, 16, v7
	v_lshrrev_b32_e32 v16, 16, v8
	v_cndmask_b32_e64 v17, v19, v10, s5
	v_cmp_eq_u32_e64 s3, 4, v71
	v_cndmask_b32_e64 v5, v5, v3, s4
	v_cndmask_b32_e64 v6, v6, v7, s4
	v_cndmask_b32_e32 v9, v9, v3, vcc_lo
	v_cmp_eq_u32_e64 s4, 5, v72
	v_cndmask_b32_e32 v10, v13, v7, vcc_lo
	v_cmp_eq_u32_e32 vcc_lo, 4, v69
	v_cmp_eq_u32_e64 s5, 5, v70
	v_cndmask_b32_e64 v2, v2, v7, s3
	v_cndmask_b32_e64 v9, v9, v11, s4
	;; [unrolled: 1-line block ×3, first 2 shown]
	v_cndmask_b32_e32 v13, v17, v3, vcc_lo
	v_cmp_eq_u32_e64 s4, 5, v69
	v_cndmask_b32_e32 v14, v18, v7, vcc_lo
	v_cndmask_b32_e64 v1, v1, v3, s3
	v_cmp_eq_u32_e32 vcc_lo, 5, v71
	v_lshrrev_b32_e32 v12, 16, v4
	v_cndmask_b32_e64 v13, v13, v11, s4
	v_cndmask_b32_e64 v3, v14, v15, s4
	v_cmp_eq_u32_e64 s4, 6, v71
	v_cndmask_b32_e32 v1, v1, v11, vcc_lo
	v_cndmask_b32_e64 v5, v5, v11, s5
	v_cmp_eq_u32_e64 s6, 6, v70
	v_cndmask_b32_e64 v6, v6, v15, s5
	v_cmp_eq_u32_e64 s5, 6, v72
	v_cmp_eq_u32_e64 s3, 6, v69
	v_cndmask_b32_e64 v1, v1, v4, s4
	v_cndmask_b32_e32 v2, v2, v15, vcc_lo
	v_cmp_eq_u32_e32 vcc_lo, 7, v71
	v_cndmask_b32_e64 v5, v5, v4, s6
	v_cndmask_b32_e64 v9, v9, v4, s5
	;; [unrolled: 1-line block ×3, first 2 shown]
	v_cmp_eq_u32_e64 s6, 7, v70
	v_cndmask_b32_e32 v1, v1, v12, vcc_lo
	v_cndmask_b32_e64 v7, v13, v4, s3
	v_cndmask_b32_e64 v3, v3, v8, s3
	;; [unrolled: 1-line block ×3, first 2 shown]
	v_cmp_eq_u32_e64 s3, 7, v69
	v_cndmask_b32_e64 v4, v10, v8, s5
	v_cndmask_b32_e64 v5, v5, v12, s6
	;; [unrolled: 1-line block ×3, first 2 shown]
	v_cndmask_b32_e32 v2, v2, v16, vcc_lo
	v_cndmask_b32_e64 v7, v7, v12, s3
	v_cndmask_b32_e64 v3, v3, v16, s3
	;; [unrolled: 1-line block ×4, first 2 shown]
	v_perm_b32 v4, v2, v1, 0x5040100
	s_mov_b32 s3, exec_lo
	v_perm_b32 v3, v3, v7, 0x5040100
	v_perm_b32 v2, v8, v9, 0x5040100
	;; [unrolled: 1-line block ×3, first 2 shown]
	ds_store_b128 v74, v[1:4]
	s_waitcnt lgkmcnt(0)
	s_barrier
	buffer_gl0_inv
	v_cmpx_gt_u32_e32 32, v0
	s_cbranch_execz .LBB1034_2
; %bb.15:
	s_load_b64 s[4:5], s[0:1], 0x68
	v_lshlrev_b32_e32 v0, 10, v0
	v_add_nc_u32_e32 v2, s31, v66
	v_lshlrev_b32_e32 v3, 4, v67
	s_lshl_b32 s0, s35, 7
	s_delay_alu instid0(SALU_CYCLE_1) | instskip(NEXT) | instid1(VALU_DEP_2)
	s_mul_i32 s1, s0, s34
	v_mul_lo_u32 v1, v2, s0
	s_delay_alu instid0(VALU_DEP_2) | instskip(SKIP_2) | instid1(SALU_CYCLE_1)
	v_and_or_b32 v0, 0x3800, v0, v3
	v_add_nc_u32_e32 v2, 2, v2
	s_mul_i32 s6, s1, s8
	s_ashr_i32 s7, s6, 31
	s_delay_alu instid0(VALU_DEP_2)
	v_lshl_or_b32 v7, v66, 6, v0
	s_lshl_b64 s[6:7], s[6:7], 1
	v_mul_lo_u32 v11, v2, s0
	v_ashrrev_i32_e32 v2, 31, v1
	ds_load_b128 v[3:6], v7
	ds_load_b128 v[7:10], v7 offset:128
	s_waitcnt lgkmcnt(0)
	s_add_u32 s1, s4, s6
	s_addc_u32 s3, s5, s7
	s_lshl_b32 s4, s14, 7
	v_ashrrev_i32_e32 v12, 31, v11
	s_ashr_i32 s5, s4, 31
	v_lshlrev_b64 v[13:14], 1, v[1:2]
	s_lshl_b64 s[4:5], s[4:5], 1
	s_delay_alu instid0(SALU_CYCLE_1) | instskip(SKIP_2) | instid1(VALU_DEP_1)
	s_add_u32 s1, s1, s4
	s_addc_u32 s3, s3, s5
	v_add_co_u32 v1, s1, s1, v65
	v_add_co_ci_u32_e64 v2, null, s3, 0, s1
	v_lshlrev_b64 v[11:12], 1, v[11:12]
	s_delay_alu instid0(VALU_DEP_3) | instskip(NEXT) | instid1(VALU_DEP_3)
	v_add_co_u32 v13, vcc_lo, v1, v13
	v_add_co_ci_u32_e32 v14, vcc_lo, v2, v14, vcc_lo
	s_delay_alu instid0(VALU_DEP_3) | instskip(NEXT) | instid1(VALU_DEP_4)
	v_add_co_u32 v11, vcc_lo, v1, v11
	v_add_co_ci_u32_e32 v12, vcc_lo, v2, v12, vcc_lo
	s_clause 0x1
	global_store_b128 v[13:14], v[3:6], off
	global_store_b128 v[11:12], v[7:10], off
	s_and_b32 exec_lo, exec_lo, s2
	s_cbranch_execz .LBB1034_2
; %bb.16:
	ds_load_b128 v[3:6], v0 offset:256
	s_add_i32 s1, s31, 4
	s_delay_alu instid0(SALU_CYCLE_1) | instskip(NEXT) | instid1(SALU_CYCLE_1)
	s_mul_i32 s0, s1, s0
	s_ashr_i32 s1, s0, 31
	s_delay_alu instid0(SALU_CYCLE_1) | instskip(NEXT) | instid1(SALU_CYCLE_1)
	s_lshl_b64 s[0:1], s[0:1], 1
	v_add_co_u32 v0, vcc_lo, v1, s0
	v_add_co_ci_u32_e32 v1, vcc_lo, s1, v2, vcc_lo
	s_waitcnt lgkmcnt(0)
	global_store_b128 v[0:1], v[3:6], off
	s_nop 0
	s_sendmsg sendmsg(MSG_DEALLOC_VGPRS)
	s_endpgm
	.section	.rodata,"a",@progbits
	.p2align	6, 0x0
	.amdhsa_kernel _Z39paged_attention_ll4mi_QKV_mfma16_kernelIDF16_hLN4vllm18Fp8KVCacheDataTypeE1EhLi32ELi128ELi256ELb0ELi5EL8MFMAType1EEvPKT_PKT0_S8_ifPKiSA_SA_iPKfiiiPfSD_PS3_PT2_iSC_SC_
		.amdhsa_group_segment_fixed_size 17472
		.amdhsa_private_segment_fixed_size 0
		.amdhsa_kernarg_size 400
		.amdhsa_user_sgpr_count 13
		.amdhsa_user_sgpr_dispatch_ptr 0
		.amdhsa_user_sgpr_queue_ptr 0
		.amdhsa_user_sgpr_kernarg_segment_ptr 1
		.amdhsa_user_sgpr_dispatch_id 0
		.amdhsa_user_sgpr_private_segment_size 0
		.amdhsa_wavefront_size32 1
		.amdhsa_uses_dynamic_stack 0
		.amdhsa_enable_private_segment 0
		.amdhsa_system_sgpr_workgroup_id_x 1
		.amdhsa_system_sgpr_workgroup_id_y 1
		.amdhsa_system_sgpr_workgroup_id_z 1
		.amdhsa_system_sgpr_workgroup_info 0
		.amdhsa_system_vgpr_workitem_id 0
		.amdhsa_next_free_vgpr 150
		.amdhsa_next_free_sgpr 37
		.amdhsa_reserve_vcc 1
		.amdhsa_float_round_mode_32 0
		.amdhsa_float_round_mode_16_64 0
		.amdhsa_float_denorm_mode_32 3
		.amdhsa_float_denorm_mode_16_64 3
		.amdhsa_dx10_clamp 1
		.amdhsa_ieee_mode 1
		.amdhsa_fp16_overflow 0
		.amdhsa_workgroup_processor_mode 1
		.amdhsa_memory_ordered 1
		.amdhsa_forward_progress 0
		.amdhsa_shared_vgpr_count 0
		.amdhsa_exception_fp_ieee_invalid_op 0
		.amdhsa_exception_fp_denorm_src 0
		.amdhsa_exception_fp_ieee_div_zero 0
		.amdhsa_exception_fp_ieee_overflow 0
		.amdhsa_exception_fp_ieee_underflow 0
		.amdhsa_exception_fp_ieee_inexact 0
		.amdhsa_exception_int_div_zero 0
	.end_amdhsa_kernel
	.section	.text._Z39paged_attention_ll4mi_QKV_mfma16_kernelIDF16_hLN4vllm18Fp8KVCacheDataTypeE1EhLi32ELi128ELi256ELb0ELi5EL8MFMAType1EEvPKT_PKT0_S8_ifPKiSA_SA_iPKfiiiPfSD_PS3_PT2_iSC_SC_,"axG",@progbits,_Z39paged_attention_ll4mi_QKV_mfma16_kernelIDF16_hLN4vllm18Fp8KVCacheDataTypeE1EhLi32ELi128ELi256ELb0ELi5EL8MFMAType1EEvPKT_PKT0_S8_ifPKiSA_SA_iPKfiiiPfSD_PS3_PT2_iSC_SC_,comdat
.Lfunc_end1034:
	.size	_Z39paged_attention_ll4mi_QKV_mfma16_kernelIDF16_hLN4vllm18Fp8KVCacheDataTypeE1EhLi32ELi128ELi256ELb0ELi5EL8MFMAType1EEvPKT_PKT0_S8_ifPKiSA_SA_iPKfiiiPfSD_PS3_PT2_iSC_SC_, .Lfunc_end1034-_Z39paged_attention_ll4mi_QKV_mfma16_kernelIDF16_hLN4vllm18Fp8KVCacheDataTypeE1EhLi32ELi128ELi256ELb0ELi5EL8MFMAType1EEvPKT_PKT0_S8_ifPKiSA_SA_iPKfiiiPfSD_PS3_PT2_iSC_SC_
                                        ; -- End function
	.section	.AMDGPU.csdata,"",@progbits
; Kernel info:
; codeLenInByte = 6660
; NumSgprs: 39
; NumVgprs: 150
; ScratchSize: 0
; MemoryBound: 0
; FloatMode: 240
; IeeeMode: 1
; LDSByteSize: 17472 bytes/workgroup (compile time only)
; SGPRBlocks: 4
; VGPRBlocks: 18
; NumSGPRsForWavesPerEU: 39
; NumVGPRsForWavesPerEU: 150
; Occupancy: 9
; WaveLimiterHint : 1
; COMPUTE_PGM_RSRC2:SCRATCH_EN: 0
; COMPUTE_PGM_RSRC2:USER_SGPR: 13
; COMPUTE_PGM_RSRC2:TRAP_HANDLER: 0
; COMPUTE_PGM_RSRC2:TGID_X_EN: 1
; COMPUTE_PGM_RSRC2:TGID_Y_EN: 1
; COMPUTE_PGM_RSRC2:TGID_Z_EN: 1
; COMPUTE_PGM_RSRC2:TIDIG_COMP_CNT: 0
	.section	.text._Z39paged_attention_ll4mi_QKV_mfma16_kernelIDF16_hLN4vllm18Fp8KVCacheDataTypeE1EhLi32ELi128ELi256ELb0ELi6EL8MFMAType1EEvPKT_PKT0_S8_ifPKiSA_SA_iPKfiiiPfSD_PS3_PT2_iSC_SC_,"axG",@progbits,_Z39paged_attention_ll4mi_QKV_mfma16_kernelIDF16_hLN4vllm18Fp8KVCacheDataTypeE1EhLi32ELi128ELi256ELb0ELi6EL8MFMAType1EEvPKT_PKT0_S8_ifPKiSA_SA_iPKfiiiPfSD_PS3_PT2_iSC_SC_,comdat
	.protected	_Z39paged_attention_ll4mi_QKV_mfma16_kernelIDF16_hLN4vllm18Fp8KVCacheDataTypeE1EhLi32ELi128ELi256ELb0ELi6EL8MFMAType1EEvPKT_PKT0_S8_ifPKiSA_SA_iPKfiiiPfSD_PS3_PT2_iSC_SC_ ; -- Begin function _Z39paged_attention_ll4mi_QKV_mfma16_kernelIDF16_hLN4vllm18Fp8KVCacheDataTypeE1EhLi32ELi128ELi256ELb0ELi6EL8MFMAType1EEvPKT_PKT0_S8_ifPKiSA_SA_iPKfiiiPfSD_PS3_PT2_iSC_SC_
	.globl	_Z39paged_attention_ll4mi_QKV_mfma16_kernelIDF16_hLN4vllm18Fp8KVCacheDataTypeE1EhLi32ELi128ELi256ELb0ELi6EL8MFMAType1EEvPKT_PKT0_S8_ifPKiSA_SA_iPKfiiiPfSD_PS3_PT2_iSC_SC_
	.p2align	8
	.type	_Z39paged_attention_ll4mi_QKV_mfma16_kernelIDF16_hLN4vllm18Fp8KVCacheDataTypeE1EhLi32ELi128ELi256ELb0ELi6EL8MFMAType1EEvPKT_PKT0_S8_ifPKiSA_SA_iPKfiiiPfSD_PS3_PT2_iSC_SC_,@function
_Z39paged_attention_ll4mi_QKV_mfma16_kernelIDF16_hLN4vllm18Fp8KVCacheDataTypeE1EhLi32ELi128ELi256ELb0ELi6EL8MFMAType1EEvPKT_PKT0_S8_ifPKiSA_SA_iPKfiiiPfSD_PS3_PT2_iSC_SC_: ; @_Z39paged_attention_ll4mi_QKV_mfma16_kernelIDF16_hLN4vllm18Fp8KVCacheDataTypeE1EhLi32ELi128ELi256ELb0ELi6EL8MFMAType1EEvPKT_PKT0_S8_ifPKiSA_SA_iPKfiiiPfSD_PS3_PT2_iSC_SC_
; %bb.0:
	s_load_b64 s[4:5], s[0:1], 0x30
	s_mov_b32 s30, s13
	s_waitcnt lgkmcnt(0)
	s_cmp_lg_u64 s[4:5], 0
	s_cselect_b32 s8, -1, 0
	s_ashr_i32 s31, s13, 31
	s_cmp_eq_u64 s[4:5], 0
	s_cbranch_scc1 .LBB1035_3
; %bb.1:
	s_lshl_b64 s[2:3], s[30:31], 2
	s_delay_alu instid0(SALU_CYCLE_1) | instskip(SKIP_4) | instid1(SALU_CYCLE_1)
	s_add_u32 s2, s4, s2
	s_addc_u32 s3, s5, s3
	s_load_b64 s[2:3], s[2:3], 0x0
	s_waitcnt lgkmcnt(0)
	s_sub_i32 s2, s3, s2
	s_cmp_eq_u32 s2, 1
	s_cselect_b32 s2, -1, 0
	s_delay_alu instid0(SALU_CYCLE_1)
	s_and_not1_b32 vcc_lo, exec_lo, s2
	s_cbranch_vccz .LBB1035_4
.LBB1035_2:
	s_endpgm
.LBB1035_3:
.LBB1035_4:
	s_load_b64 s[2:3], s[0:1], 0x28
	s_lshl_b64 s[6:7], s[30:31], 2
	s_waitcnt lgkmcnt(0)
	s_add_u32 s2, s2, s6
	s_addc_u32 s3, s3, s7
	s_lshl_b32 s12, s14, 8
	s_load_b32 s24, s[2:3], 0x0
	s_waitcnt lgkmcnt(0)
	s_cmp_ge_i32 s12, s24
	s_cbranch_scc1 .LBB1035_2
; %bb.5:
	s_clause 0x1
	s_load_b128 s[20:23], s[0:1], 0x8
	s_load_b64 s[2:3], s[0:1], 0x20
	s_and_not1_b32 vcc_lo, exec_lo, s8
	s_cbranch_vccnz .LBB1035_7
; %bb.6:
	s_add_u32 s4, s4, s6
	s_addc_u32 s5, s5, s7
	s_load_b32 s5, s[4:5], 0x0
	s_branch .LBB1035_8
.LBB1035_7:
	s_mov_b32 s5, s30
.LBB1035_8:
	s_load_b128 s[16:19], s[0:1], 0x48
	v_and_b32_e32 v68, 15, v0
	v_lshrrev_b32_e32 v69, 5, v0
	v_and_b32_e32 v70, 31, v0
	v_and_b32_e32 v67, 1, v0
	v_bfe_u32 v66, v0, 4, 1
	v_lshlrev_b32_e32 v1, 3, v68
	s_mul_i32 s31, s15, 6
	s_mov_b32 s4, exec_lo
	s_delay_alu instid0(VALU_DEP_1)
	v_lshlrev_b32_e32 v65, 1, v1
	v_cmpx_gt_u32_e32 0x60, v0
	s_cbranch_execz .LBB1035_10
; %bb.9:
	s_load_b64 s[6:7], s[0:1], 0x0
	v_lshl_or_b32 v5, v69, 1, v66
	s_waitcnt lgkmcnt(0)
	s_mul_hi_i32 s9, s5, s16
	s_mul_i32 s8, s5, s16
	v_lshlrev_b32_e32 v6, 10, v68
	s_lshl_b64 s[8:9], s[8:9], 1
	v_add_lshl_u32 v1, v5, s31, 7
	v_lshlrev_b32_e32 v5, 6, v5
	v_lshlrev_b32_e32 v7, 10, v67
	v_and_b32_e32 v6, 0x3800, v6
	s_delay_alu instid0(VALU_DEP_4) | instskip(NEXT) | instid1(VALU_DEP_2)
	v_ashrrev_i32_e32 v2, 31, v1
	v_or3_b32 v5, v6, v7, v5
	s_delay_alu instid0(VALU_DEP_2) | instskip(SKIP_2) | instid1(VALU_DEP_1)
	v_lshlrev_b64 v[1:2], 1, v[1:2]
	s_add_u32 s5, s6, s8
	s_addc_u32 s6, s7, s9
	v_add_co_u32 v1, vcc_lo, s5, v1
	s_delay_alu instid0(VALU_DEP_2) | instskip(NEXT) | instid1(VALU_DEP_2)
	v_add_co_ci_u32_e32 v2, vcc_lo, s6, v2, vcc_lo
	v_add_co_u32 v1, vcc_lo, v1, v65
	s_delay_alu instid0(VALU_DEP_2)
	v_add_co_ci_u32_e32 v2, vcc_lo, 0, v2, vcc_lo
	global_load_b128 v[1:4], v[1:2], off
	s_waitcnt vmcnt(0)
	ds_store_b128 v5, v[1:4]
.LBB1035_10:
	s_or_b32 exec_lo, exec_lo, s4
	v_and_b32_e32 v1, 0xef, v0
	s_waitcnt lgkmcnt(0)
	s_add_i32 s5, s24, 31
	s_clause 0x1
	s_load_b32 s4, s[0:1], 0x38
	s_load_b32 s33, s[0:1], 0x98
	s_ashr_i32 s6, s5, 31
	v_add_nc_u32_e32 v1, s12, v1
	s_lshr_b32 s6, s6, 27
	s_load_b32 s19, s[0:1], 0x1c
	s_add_i32 s5, s5, s6
	s_waitcnt lgkmcnt(0)
	v_ashrrev_i32_e32 v2, 31, v1
	v_or_b32_e32 v3, 16, v1
	s_ashr_i32 s13, s5, 5
	v_cmp_gt_i32_e32 vcc_lo, s24, v1
	s_add_i32 s13, s13, -1
	v_lshrrev_b32_e32 v2, 27, v2
	s_barrier
	buffer_gl0_inv
	s_mul_i32 s15, s15, s18
	v_add_nc_u32_e32 v4, v1, v2
	s_mul_i32 s4, s30, s4
	s_delay_alu instid0(SALU_CYCLE_1) | instskip(NEXT) | instid1(VALU_DEP_1)
	s_ashr_i32 s5, s4, 31
	v_ashrrev_i32_e32 v4, 5, v4
	v_add_nc_u32_e32 v2, v3, v2
	s_lshl_b64 s[4:5], s[4:5], 2
	s_delay_alu instid0(SALU_CYCLE_1) | instskip(NEXT) | instid1(VALU_DEP_2)
	s_add_u32 s16, s2, s4
	v_cndmask_b32_e32 v1, s13, v4, vcc_lo
	s_delay_alu instid0(VALU_DEP_2)
	v_ashrrev_i32_e32 v2, 5, v2
	v_cmp_gt_i32_e32 vcc_lo, s24, v3
	s_addc_u32 s25, s3, s5
	s_ashr_i32 s18, s15, 31
	s_add_u32 s2, s20, s15
	s_addc_u32 s3, s21, s18
	v_cndmask_b32_e32 v3, s13, v2, vcc_lo
	v_ashrrev_i32_e32 v2, 31, v1
	s_lshl_b32 s4, s14, 3
	s_delay_alu instid0(SALU_CYCLE_1) | instskip(NEXT) | instid1(VALU_DEP_2)
	s_ashr_i32 s5, s4, 31
	v_ashrrev_i32_e32 v4, 31, v3
	s_delay_alu instid0(VALU_DEP_2) | instskip(SKIP_1) | instid1(SALU_CYCLE_1)
	v_lshlrev_b64 v[1:2], 2, v[1:2]
	s_lshl_b64 s[4:5], s[4:5], 2
	s_add_u32 s4, s16, s4
	s_delay_alu instid0(VALU_DEP_2) | instskip(SKIP_1) | instid1(VALU_DEP_2)
	v_lshlrev_b64 v[3:4], 2, v[3:4]
	s_addc_u32 s5, s25, s5
	v_add_co_u32 v1, vcc_lo, s16, v1
	v_add_co_ci_u32_e32 v2, vcc_lo, s25, v2, vcc_lo
	s_delay_alu instid0(VALU_DEP_3) | instskip(NEXT) | instid1(VALU_DEP_4)
	v_add_co_u32 v3, vcc_lo, s16, v3
	v_add_co_ci_u32_e32 v4, vcc_lo, s25, v4, vcc_lo
	s_clause 0x1
	global_load_b32 v5, v[1:2], off
	global_load_b32 v6, v[3:4], off
	s_or_b32 s6, s12, 32
	s_delay_alu instid0(SALU_CYCLE_1) | instskip(SKIP_2) | instid1(SALU_CYCLE_1)
	s_ashr_i32 s7, s6, 5
	s_cmp_lt_i32 s6, s24
	s_cselect_b32 s6, s7, s13
	s_ashr_i32 s7, s6, 31
	s_delay_alu instid0(SALU_CYCLE_1) | instskip(NEXT) | instid1(SALU_CYCLE_1)
	s_lshl_b64 s[6:7], s[6:7], 2
	s_add_u32 s6, s16, s6
	s_addc_u32 s7, s25, s7
	s_or_b32 s8, s12, 64
	s_delay_alu instid0(SALU_CYCLE_1) | instskip(SKIP_2) | instid1(SALU_CYCLE_1)
	s_ashr_i32 s9, s8, 5
	s_cmp_lt_i32 s8, s24
	s_cselect_b32 s8, s9, s13
	s_ashr_i32 s9, s8, 31
	s_delay_alu instid0(SALU_CYCLE_1) | instskip(NEXT) | instid1(SALU_CYCLE_1)
	s_lshl_b64 s[8:9], s[8:9], 2
	s_add_u32 s8, s16, s8
	s_addc_u32 s9, s25, s9
	;; [unrolled: 10-line block ×5, first 2 shown]
	s_clause 0x5
	s_load_b32 s28, s[4:5], 0x0
	s_load_b32 s29, s[6:7], 0x0
	;; [unrolled: 1-line block ×6, first 2 shown]
	s_mov_b32 s4, 0
	s_delay_alu instid0(SALU_CYCLE_1)
	s_mov_b32 s5, s4
	s_mov_b32 s6, s4
	s_mov_b32 s7, s4
	s_mov_b32 s8, s4
	s_mov_b32 s9, s4
	s_mov_b32 s10, s4
	s_mov_b32 s11, s4
	s_delay_alu instid0(SALU_CYCLE_1)
	v_dual_mov_b32 v118, s11 :: v_dual_mov_b32 v117, s10
	v_dual_mov_b32 v116, s9 :: v_dual_mov_b32 v115, s8
	v_mov_b32_e32 v113, s6
	v_dual_mov_b32 v111, s4 :: v_dual_mov_b32 v114, s7
	v_mov_b32_e32 v112, s5
	s_waitcnt vmcnt(1)
	v_mad_i64_i32 v[1:2], null, v5, s17, s[2:3]
	v_lshlrev_b32_e32 v5, 4, v68
	s_waitcnt vmcnt(0)
	v_mad_i64_i32 v[3:4], null, v6, s17, s[2:3]
	s_or_b32 s2, s12, 0xc0
	s_delay_alu instid0(SALU_CYCLE_1) | instskip(NEXT) | instid1(VALU_DEP_3)
	s_ashr_i32 s3, s2, 5
	v_add_co_u32 v1, vcc_lo, v1, v5
	s_delay_alu instid0(VALU_DEP_4) | instskip(NEXT) | instid1(VALU_DEP_3)
	v_add_co_ci_u32_e32 v2, vcc_lo, 0, v2, vcc_lo
	v_add_co_u32 v3, vcc_lo, v3, v5
	s_delay_alu instid0(VALU_DEP_4)
	v_add_co_ci_u32_e32 v4, vcc_lo, 0, v4, vcc_lo
	s_clause 0xf
	global_load_b128 v[17:20], v[1:2], off
	global_load_b128 v[21:24], v[1:2], off offset:512
	global_load_b128 v[25:28], v[3:4], off offset:256
	;; [unrolled: 1-line block ×15, first 2 shown]
	v_mul_lo_u16 v1, v68, 43
	s_cmp_lt_i32 s2, s24
	v_lshlrev_b32_e32 v2, 5, v68
	s_cselect_b32 s2, s3, s13
	s_delay_alu instid0(VALU_DEP_2) | instskip(SKIP_1) | instid1(SALU_CYCLE_1)
	v_lshrrev_b16 v1, 8, v1
	s_ashr_i32 s3, s2, 31
	s_lshl_b64 s[2:3], s[2:3], 2
	s_delay_alu instid0(VALU_DEP_1) | instskip(SKIP_3) | instid1(VALU_DEP_1)
	v_mul_lo_u16 v1, v1, 6
	s_add_u32 s2, s16, s2
	s_addc_u32 s3, s25, s3
	s_or_b32 s20, s12, 0xe0
	v_sub_nc_u16 v1, v68, v1
	s_ashr_i32 s21, s20, 5
	s_cmp_lt_i32 s20, s24
	s_cselect_b32 s20, s21, s13
	s_delay_alu instid0(VALU_DEP_1) | instskip(SKIP_1) | instid1(SALU_CYCLE_1)
	v_and_b32_e32 v1, 0xff, v1
	s_ashr_i32 s21, s20, 31
	s_lshl_b64 s[4:5], s[20:21], 2
	s_delay_alu instid0(VALU_DEP_1)
	v_lshlrev_b32_e32 v149, 6, v1
	s_add_u32 s4, s16, s4
	s_addc_u32 s5, s25, s5
	v_lshl_or_b32 v1, v69, 9, v2
	ds_load_b128 v[119:122], v149
	ds_load_b128 v[123:126], v149 offset:1024
	ds_load_b128 v[127:130], v149 offset:2048
	ds_load_b128 v[131:134], v149 offset:3072
	s_clause 0x1
	s_load_b32 s2, s[2:3], 0x0
	s_load_b32 s3, s[4:5], 0x0
	s_add_u32 s6, s22, s15
	s_addc_u32 s7, s23, s18
	v_add_co_u32 v135, s6, s6, v1
	s_delay_alu instid0(VALU_DEP_1) | instskip(SKIP_1) | instid1(VALU_DEP_1)
	v_add_co_ci_u32_e64 v136, null, s7, 0, s6
	s_waitcnt lgkmcnt(0)
	v_mad_i64_i32 v[1:2], null, s28, s17, v[135:136]
	v_mad_i64_i32 v[3:4], null, s29, s17, v[135:136]
	;; [unrolled: 1-line block ×6, first 2 shown]
	s_clause 0x9
	global_load_b128 v[49:52], v[1:2], off
	global_load_b128 v[53:56], v[1:2], off offset:16
	global_load_b128 v[41:44], v[3:4], off
	global_load_b128 v[45:48], v[3:4], off offset:16
	;; [unrolled: 2-line block ×5, first 2 shown]
	v_mad_i64_i32 v[145:146], null, s2, s17, v[135:136]
	v_mad_i64_i32 v[147:148], null, s3, s17, v[135:136]
	s_waitcnt vmcnt(24)
	v_wmma_f32_16x16x16_f16 v[135:142], v[17:24], v[119:126], v[111:118]
	s_waitcnt vmcnt(22)
	v_wmma_f32_16x16x16_f16 v[111:118], v[25:32], v[119:126], v[111:118]
	s_clause 0x3
	global_load_b128 v[17:20], v[143:144], off
	global_load_b128 v[21:24], v[143:144], off offset:16
	global_load_b128 v[25:28], v[145:146], off
	global_load_b128 v[29:32], v[145:146], off offset:16
	v_and_b32_e32 v119, 0xe0, v0
	s_waitcnt vmcnt(24)
	v_wmma_f32_16x16x16_f16 v[135:142], v[57:64], v[127:134], v[135:142]
	s_clause 0x1
	global_load_b128 v[57:60], v[147:148], off
	global_load_b128 v[61:64], v[147:148], off offset:16
	s_waitcnt vmcnt(24)
	v_wmma_f32_16x16x16_f16 v[111:118], v[71:78], v[127:134], v[111:118]
	ds_load_b128 v[71:74], v149 offset:4096
	ds_load_b128 v[75:78], v149 offset:5120
	v_add_nc_u32_e32 v128, s12, v119
	ds_load_b128 v[119:122], v149 offset:6144
	ds_load_b128 v[123:126], v149 offset:7168
	v_mbcnt_lo_u32_b32 v127, -1, 0
	s_waitcnt vmcnt(0) lgkmcnt(0)
	s_barrier
	v_or_b32_e32 v128, v128, v66
	buffer_gl0_inv
	v_xor_b32_e32 v129, 16, v127
	v_or_b32_e32 v130, 4, v128
	v_or_b32_e32 v131, 6, v128
	s_delay_alu instid0(VALU_DEP_3) | instskip(SKIP_4) | instid1(VALU_DEP_4)
	v_cmp_gt_i32_e32 vcc_lo, 32, v129
	v_or_b32_e32 v132, 8, v128
	v_or_b32_e32 v133, 10, v128
	v_cmp_gt_i32_e64 s3, s24, v130
	v_cmp_gt_i32_e64 s4, s24, v131
	;; [unrolled: 1-line block ×3, first 2 shown]
	v_wmma_f32_16x16x16_f16 v[135:142], v[79:86], v[71:78], v[135:142]
	v_wmma_f32_16x16x16_f16 v[111:118], v[87:94], v[71:78], v[111:118]
	v_or_b32_e32 v79, 12, v128
	v_or_b32_e32 v80, 14, v128
	v_cmp_gt_i32_e64 s6, s24, v133
	v_wmma_f32_16x16x16_f16 v[135:142], v[95:102], v[119:126], v[135:142]
	v_cndmask_b32_e32 v127, v127, v129, vcc_lo
	v_or_b32_e32 v129, 2, v128
	v_wmma_f32_16x16x16_f16 v[111:118], v[103:110], v[119:126], v[111:118]
	v_cmp_gt_i32_e32 vcc_lo, s24, v128
	v_dual_mul_f32 v88, s19, v135 :: v_dual_mul_f32 v87, s19, v136
	s_delay_alu instid0(VALU_DEP_4) | instskip(NEXT) | instid1(VALU_DEP_4)
	v_cmp_gt_i32_e64 s2, s24, v129
	v_mul_f32_e32 v94, s19, v113
	v_mul_f32_e32 v78, s19, v138
	;; [unrolled: 1-line block ×3, first 2 shown]
	v_cndmask_b32_e32 v88, 0xff7fffff, v88, vcc_lo
	v_cndmask_b32_e64 v87, 0xff7fffff, v87, s2
	v_dual_mul_f32 v76, s19, v140 :: v_dual_mul_f32 v77, s19, v139
	v_mul_f32_e32 v90, s19, v117
	v_cndmask_b32_e64 v86, 0xff7fffff, v86, s3
	v_cndmask_b32_e64 v78, 0xff7fffff, v78, s4
	v_max3_f32 v87, v88, 0xff7fffff, v87
	v_or_b32_e32 v81, 16, v128
	v_or_b32_e32 v82, 18, v128
	v_dual_mul_f32 v74, s19, v142 :: v_dual_mul_f32 v75, s19, v141
	v_mul_f32_e32 v92, s19, v115
	v_cndmask_b32_e64 v77, 0xff7fffff, v77, s5
	v_cndmask_b32_e64 v76, 0xff7fffff, v76, s6
	v_max3_f32 v78, v87, v86, v78
	v_cmp_gt_i32_e64 s7, s24, v79
	v_cmp_gt_i32_e64 s8, s24, v80
	v_or_b32_e32 v83, 20, v128
	v_or_b32_e32 v84, 22, v128
	v_dual_mul_f32 v89, s19, v118 :: v_dual_mul_f32 v96, s19, v111
	v_mul_f32_e32 v95, s19, v112
	v_cndmask_b32_e64 v75, 0xff7fffff, v75, s7
	v_cndmask_b32_e64 v74, 0xff7fffff, v74, s8
	v_max3_f32 v76, v78, v77, v76
	v_cmp_gt_i32_e64 s9, s24, v81
	v_cmp_gt_i32_e64 s10, s24, v82
	v_or_b32_e32 v85, 24, v128
	v_or_b32_e32 v71, 26, v128
	v_mul_f32_e32 v93, s19, v114
	v_cndmask_b32_e64 v77, 0xff7fffff, v96, s9
	v_cndmask_b32_e64 v78, 0xff7fffff, v95, s10
	v_max3_f32 v74, v76, v75, v74
	v_cmp_gt_i32_e64 s11, s24, v83
	v_cmp_gt_i32_e64 s12, s24, v84
	v_or_b32_e32 v72, 28, v128
	v_or_b32_e32 v73, 30, v128
	v_mul_f32_e32 v91, s19, v116
	v_cndmask_b32_e64 v75, 0xff7fffff, v94, s11
	v_cndmask_b32_e64 v76, 0xff7fffff, v93, s12
	v_max3_f32 v74, v74, v77, v78
	v_cmp_gt_i32_e64 s13, s24, v85
	v_cmp_gt_i32_e64 s15, s24, v71
	;; [unrolled: 1-line block ×4, first 2 shown]
	v_max3_f32 v74, v74, v75, v76
	v_cndmask_b32_e64 v77, 0xff7fffff, v92, s13
	v_cndmask_b32_e64 v71, 0xff7fffff, v91, s15
	;; [unrolled: 1-line block ×4, first 2 shown]
	s_delay_alu instid0(VALU_DEP_3) | instskip(SKIP_1) | instid1(VALU_DEP_2)
	v_max3_f32 v71, v74, v77, v71
	v_lshlrev_b32_e32 v74, 2, v127
	v_max3_f32 v71, v71, v72, v73
	ds_bpermute_b32 v72, v74, v71
	s_waitcnt lgkmcnt(0)
	v_max_f32_e32 v72, v72, v72
	s_delay_alu instid0(VALU_DEP_1) | instskip(NEXT) | instid1(VALU_DEP_1)
	v_max_f32_e32 v71, v71, v72
	v_fma_f32 v75, s19, v137, -v71
	v_fma_f32 v76, s19, v138, -v71
	;; [unrolled: 1-line block ×5, first 2 shown]
	s_delay_alu instid0(VALU_DEP_4) | instskip(NEXT) | instid1(VALU_DEP_4)
	v_dual_mul_f32 v75, 0x3fb8aa3b, v75 :: v_dual_mul_f32 v76, 0x3fb8aa3b, v76
	v_mul_f32_e32 v72, 0x3fb8aa3b, v72
	v_fma_f32 v77, s19, v139, -v71
	s_delay_alu instid0(VALU_DEP_4) | instskip(NEXT) | instid1(VALU_DEP_4)
	v_mul_f32_e32 v73, 0x3fb8aa3b, v73
	v_exp_f32_e32 v75, v75
	v_exp_f32_e32 v76, v76
	;; [unrolled: 1-line block ×3, first 2 shown]
	s_delay_alu instid0(VALU_DEP_1) | instskip(SKIP_2) | instid1(TRANS32_DEP_3)
	v_exp_f32_e32 v73, v73
	v_cndmask_b32_e64 v81, 0, v75, s3
	v_mul_f32_e32 v82, 0x3fb8aa3b, v80
	v_cndmask_b32_e64 v80, 0, v76, s4
	s_waitcnt_depctr 0xfff
	v_cndmask_b32_e64 v78, 0, v73, s2
	s_mov_b32 s2, exec_lo
	v_exp_f32_e32 v84, v82
	s_waitcnt_depctr 0xfff
	v_cndmask_b32_e64 v85, 0, v84, s7
	v_cndmask_b32_e32 v79, 0, v72, vcc_lo
	v_fma_f32 v72, s19, v140, -v71
	v_mul_f32_e32 v77, 0x3fb8aa3b, v77
	s_delay_alu instid0(VALU_DEP_2) | instskip(NEXT) | instid1(VALU_DEP_2)
	v_dual_add_f32 v73, 0, v79 :: v_dual_mul_f32 v72, 0x3fb8aa3b, v72
	v_exp_f32_e32 v77, v77
	s_delay_alu instid0(VALU_DEP_1) | instskip(NEXT) | instid1(VALU_DEP_2)
	v_add_f32_e32 v73, v73, v78
	v_exp_f32_e32 v72, v72
	s_delay_alu instid0(VALU_DEP_1) | instskip(SKIP_4) | instid1(VALU_DEP_2)
	v_add_f32_e32 v73, v73, v81
	s_waitcnt_depctr 0xfff
	v_cndmask_b32_e64 v83, 0, v77, s5
	v_add_f32_e32 v73, v73, v80
	v_cndmask_b32_e64 v82, 0, v72, s6
	v_add_f32_e32 v72, v73, v83
	s_delay_alu instid0(VALU_DEP_1)
	v_add_f32_e32 v72, v72, v82
	v_fma_f32 v75, s19, v142, -v71
	v_fma_f32 v76, s19, v111, -v71
	;; [unrolled: 1-line block ×5, first 2 shown]
	s_delay_alu instid0(VALU_DEP_4) | instskip(NEXT) | instid1(VALU_DEP_4)
	v_dual_mul_f32 v75, 0x3fb8aa3b, v75 :: v_dual_mul_f32 v76, 0x3fb8aa3b, v76
	v_mul_f32_e32 v86, 0x3fb8aa3b, v86
	v_add_f32_e32 v72, v72, v85
	s_delay_alu instid0(VALU_DEP_3) | instskip(NEXT) | instid1(VALU_DEP_3)
	v_exp_f32_e32 v75, v75
	v_exp_f32_e32 v76, v76
	s_delay_alu instid0(VALU_DEP_2) | instskip(NEXT) | instid1(TRANS32_DEP_3)
	v_exp_f32_e32 v88, v86
	v_cndmask_b32_e64 v84, 0, v75, s8
	v_mul_f32_e32 v77, 0x3fb8aa3b, v77
	s_waitcnt_depctr 0xfff
	v_cndmask_b32_e64 v87, 0, v76, s9
	v_fma_f32 v76, s19, v116, -v71
	v_dual_mul_f32 v73, 0x3fb8aa3b, v73 :: v_dual_add_f32 v72, v72, v84
	v_exp_f32_e32 v77, v77
	v_fma_f32 v75, s19, v115, -v71
	s_delay_alu instid0(VALU_DEP_3) | instskip(NEXT) | instid1(VALU_DEP_3)
	v_mul_f32_e32 v76, 0x3fb8aa3b, v76
	v_exp_f32_e32 v73, v73
	v_add_f32_e32 v72, v72, v87
	v_cndmask_b32_e64 v88, 0, v88, s12
	s_delay_alu instid0(VALU_DEP_3) | instskip(NEXT) | instid1(TRANS32_DEP_3)
	v_exp_f32_e32 v76, v76
	v_cndmask_b32_e64 v86, 0, v77, s10
	v_mul_f32_e32 v75, 0x3fb8aa3b, v75
	v_fma_f32 v77, s19, v117, -v71
	s_delay_alu instid0(TRANS32_DEP_2) | instskip(NEXT) | instid1(VALU_DEP_4)
	v_cndmask_b32_e64 v89, 0, v73, s11
	v_add_f32_e32 v72, v72, v86
	s_delay_alu instid0(VALU_DEP_4) | instskip(NEXT) | instid1(TRANS32_DEP_2)
	v_exp_f32_e32 v75, v75
	v_cndmask_b32_e64 v90, 0, v76, s15
	s_delay_alu instid0(VALU_DEP_2) | instskip(SKIP_2) | instid1(VALU_DEP_3)
	v_add_f32_e32 v72, v72, v89
	v_mul_f32_e32 v73, 0x3fb8aa3b, v77
	v_fma_f32 v77, s19, v118, -v71
	v_add_f32_e32 v72, v72, v88
	s_delay_alu instid0(VALU_DEP_3) | instskip(NEXT) | instid1(TRANS32_DEP_2)
	v_exp_f32_e32 v73, v73
	v_cndmask_b32_e64 v91, 0, v75, s13
	s_delay_alu instid0(VALU_DEP_1) | instskip(NEXT) | instid1(VALU_DEP_1)
	v_dual_mul_f32 v75, 0x3fb8aa3b, v77 :: v_dual_add_f32 v72, v72, v91
	v_exp_f32_e32 v75, v75
	s_waitcnt_depctr 0xfff
	v_cndmask_b32_e64 v93, 0, v73, s16
	v_add_f32_e32 v72, v72, v90
	s_delay_alu instid0(VALU_DEP_1) | instskip(SKIP_1) | instid1(VALU_DEP_1)
	v_add_f32_e32 v72, v72, v93
	v_cndmask_b32_e64 v92, 0, v75, s17
	v_add_f32_e32 v72, v72, v92
	ds_bpermute_b32 v73, v74, v72
	v_cmpx_gt_u32_e32 16, v70
	s_cbranch_execz .LBB1035_12
; %bb.11:
	v_mul_u32_u24_e32 v70, 0x44, v69
	s_waitcnt lgkmcnt(0)
	v_add_f32_e32 v72, v72, v73
	s_delay_alu instid0(VALU_DEP_2) | instskip(NEXT) | instid1(VALU_DEP_1)
	v_lshl_add_u32 v70, v68, 2, v70
	v_add_nc_u32_e32 v70, 0x4000, v70
	ds_store_2addr_b32 v70, v71, v72 offset1:136
.LBB1035_12:
	s_or_b32 exec_lo, exec_lo, s2
	v_lshlrev_b32_e32 v70, 2, v68
	s_load_b32 s34, s[0:1], 0x94
	s_waitcnt lgkmcnt(0)
	s_barrier
	buffer_gl0_inv
	v_add_nc_u32_e32 v98, 0x4000, v70
	v_cmp_eq_u32_e32 vcc_lo, 1, v69
	v_cmp_eq_u32_e64 s2, 2, v69
	v_cmp_eq_u32_e64 s3, 3, v69
	;; [unrolled: 1-line block ×3, first 2 shown]
	ds_load_2addr_b32 v[70:71], v98 offset1:17
	ds_load_2addr_b32 v[72:73], v98 offset0:34 offset1:51
	ds_load_2addr_b32 v[74:75], v98 offset0:68 offset1:85
	;; [unrolled: 1-line block ×3, first 2 shown]
	v_cmp_eq_u32_e64 s5, 5, v69
	v_cmp_eq_u32_e64 s6, 7, v69
	s_waitcnt lgkmcnt(3)
	v_max3_f32 v76, v70, 0xff7fffff, v71
	s_waitcnt lgkmcnt(2)
	s_delay_alu instid0(VALU_DEP_1) | instskip(SKIP_1) | instid1(VALU_DEP_1)
	v_max3_f32 v76, v76, v72, v73
	s_waitcnt lgkmcnt(1)
	v_max3_f32 v76, v76, v74, v75
	s_waitcnt lgkmcnt(0)
	s_delay_alu instid0(VALU_DEP_1) | instskip(NEXT) | instid1(VALU_DEP_1)
	v_max3_f32 v76, v76, v94, v95
	v_sub_f32_e32 v77, v71, v76
	ds_load_2addr_b32 v[96:97], v98 offset0:136 offset1:153
	v_sub_f32_e32 v74, v74, v76
	v_sub_f32_e32 v70, v70, v76
	;; [unrolled: 1-line block ×3, first 2 shown]
	v_dual_sub_f32 v72, v72, v76 :: v_dual_mul_f32 v77, 0x3fb8aa3b, v77
	s_delay_alu instid0(VALU_DEP_4) | instskip(NEXT) | instid1(VALU_DEP_4)
	v_mul_f32_e32 v103, 0x3fb8aa3b, v74
	v_mul_f32_e32 v99, 0x3fb8aa3b, v70
	ds_load_2addr_b32 v[70:71], v98 offset0:170 offset1:187
	v_dual_mul_f32 v101, 0x3fb8aa3b, v72 :: v_dual_mul_f32 v94, 0x3fb8aa3b, v94
	v_exp_f32_e32 v102, v77
	v_exp_f32_e32 v99, v99
	s_delay_alu instid0(VALU_DEP_1) | instskip(NEXT) | instid1(VALU_DEP_1)
	v_exp_f32_e32 v101, v101
	v_exp_f32_e32 v94, v94
	s_waitcnt lgkmcnt(1)
	s_delay_alu instid0(TRANS32_DEP_3)
	v_fma_f32 v77, v99, v96, 0
	v_sub_f32_e32 v100, v73, v76
	ds_load_2addr_b32 v[72:73], v98 offset0:204 offset1:221
	v_fmac_f32_e32 v77, v102, v97
	v_exp_f32_e32 v97, v103
	s_waitcnt lgkmcnt(1)
	s_delay_alu instid0(VALU_DEP_1)
	v_dual_fmac_f32 v77, v101, v70 :: v_dual_sub_f32 v96, v75, v76
	ds_load_2addr_b32 v[74:75], v98 offset0:238 offset1:255
	v_sub_f32_e32 v70, v95, v76
	s_waitcnt lgkmcnt(0)
	s_barrier
	v_mul_f32_e32 v96, 0x3fb8aa3b, v96
	buffer_gl0_inv
	v_exp_f32_e32 v95, v96
	v_mul_f32_e32 v100, 0x3fb8aa3b, v100
	s_delay_alu instid0(VALU_DEP_1) | instskip(SKIP_3) | instid1(VALU_DEP_2)
	v_exp_f32_e32 v100, v100
	s_waitcnt_depctr 0xfff
	v_dual_fmac_f32 v77, v100, v71 :: v_dual_mul_f32 v70, 0x3fb8aa3b, v70
	v_cndmask_b32_e32 v71, v99, v102, vcc_lo
	v_fmac_f32_e32 v77, v97, v72
	s_delay_alu instid0(VALU_DEP_3) | instskip(NEXT) | instid1(VALU_DEP_1)
	v_exp_f32_e32 v96, v70
	v_fmac_f32_e32 v77, v95, v73
	s_delay_alu instid0(VALU_DEP_1) | instskip(SKIP_2) | instid1(VALU_DEP_1)
	v_fmac_f32_e32 v77, v94, v74
	s_waitcnt_depctr 0xfff
	v_fmac_f32_e32 v77, v96, v75
	v_add_f32_e32 v74, 0x358637bd, v77
	s_delay_alu instid0(VALU_DEP_1) | instskip(SKIP_1) | instid1(VALU_DEP_2)
	v_div_scale_f32 v98, null, v74, v74, 1.0
	v_div_scale_f32 v99, vcc_lo, 1.0, v74, 1.0
	v_rcp_f32_e32 v103, v98
	s_waitcnt_depctr 0xfff
	v_fma_f32 v70, -v98, v103, 1.0
	s_delay_alu instid0(VALU_DEP_1) | instskip(SKIP_2) | instid1(VALU_DEP_2)
	v_fmac_f32_e32 v103, v70, v103
	v_cndmask_b32_e64 v70, v71, v101, s2
	v_cmp_eq_u32_e64 s2, 6, v69
	v_cndmask_b32_e64 v71, v70, v100, s3
	s_delay_alu instid0(VALU_DEP_4) | instskip(NEXT) | instid1(VALU_DEP_2)
	v_dual_mul_f32 v101, v99, v103 :: v_dual_lshlrev_b32 v70, 2, v66
	v_cndmask_b32_e64 v71, v71, v97, s4
	s_delay_alu instid0(VALU_DEP_2) | instskip(NEXT) | instid1(VALU_DEP_3)
	v_or_b32_e32 v72, 1, v70
	v_fma_f32 v100, -v98, v101, v99
	v_cmp_eq_u32_e64 s3, 1, v70
	v_cmp_eq_u32_e64 s4, 2, v70
	v_cndmask_b32_e64 v95, v71, v95, s5
	v_or_b32_e32 v71, 3, v70
	v_fmac_f32_e32 v101, v100, v103
	v_cmp_eq_u32_e64 s8, 1, v72
	v_cmp_eq_u32_e64 s11, 2, v72
	v_cndmask_b32_e64 v94, v95, v94, s2
	v_cmp_eq_u32_e64 s10, 1, v71
	v_fma_f32 v97, -v98, v101, v99
	v_cmp_eq_u32_e64 s15, 2, v71
	v_cmp_eq_u32_e64 s12, 3, v72
	v_cndmask_b32_e64 v94, v94, v96, s6
	v_cmp_eq_u32_e64 s17, 3, v71
	v_div_fmas_f32 v95, v97, v103, v101
	v_cmp_eq_u32_e32 vcc_lo, 3, v70
	v_cmp_eq_u32_e64 s2, 4, v70
	v_cmp_eq_u32_e64 s18, 4, v72
	;; [unrolled: 1-line block ×3, first 2 shown]
	v_div_fixup_f32 v95, v95, v74, 1.0
	v_lshlrev_b32_e32 v73, 6, v68
	v_cmp_eq_u32_e64 s5, 5, v70
	v_cmp_eq_u32_e64 s19, 5, v72
	v_cmp_eq_u32_e64 s23, 5, v71
	v_mul_f32_e32 v102, v94, v95
	v_lshl_or_b32 v75, v69, 11, v73
	v_or_b32_e32 v69, 2, v70
	v_cmp_eq_u32_e64 s24, 6, v72
	v_cmp_eq_u32_e64 s26, 6, v71
	v_fma_mixlo_f16 v94, v102, v79, 0
	v_fma_mixlo_f16 v95, v102, v81, 0
	;; [unrolled: 1-line block ×8, first 2 shown]
	v_lshl_or_b32 v74, v66, 4, v75
	v_fma_mixhi_f16 v94, v102, v78, 0
	v_fma_mixhi_f16 v95, v102, v80, 0
	;; [unrolled: 1-line block ×8, first 2 shown]
	ds_store_b128 v74, v[94:97]
	ds_store_b128 v74, v[98:101] offset:1024
	s_waitcnt lgkmcnt(0)
	s_barrier
	buffer_gl0_inv
	ds_load_b128 v[78:81], v75
	ds_load_b128 v[82:85], v75 offset:16
	ds_load_b128 v[86:89], v75 offset:1024
	;; [unrolled: 1-line block ×3, first 2 shown]
	v_cmp_eq_u32_e64 s9, 1, v69
	v_cmp_eq_u32_e64 s13, 2, v69
	;; [unrolled: 1-line block ×11, first 2 shown]
	s_waitcnt lgkmcnt(3)
	v_lshrrev_b32_e32 v94, 16, v78
	s_waitcnt lgkmcnt(2)
	v_lshrrev_b32_e32 v98, 16, v82
	;; [unrolled: 2-line block ×4, first 2 shown]
	v_lshrrev_b32_e32 v95, 16, v79
	v_cndmask_b32_e64 v110, v78, v94, s3
	v_cndmask_b32_e64 v111, v82, v98, s3
	v_cndmask_b32_e64 v112, v78, v94, s8
	v_cndmask_b32_e64 v113, v82, v98, s8
	v_cndmask_b32_e64 v114, v78, v94, s9
	v_cndmask_b32_e64 v115, v82, v98, s9
	v_cndmask_b32_e64 v78, v78, v94, s10
	v_cndmask_b32_e64 v82, v82, v98, s10
	v_lshrrev_b32_e32 v99, 16, v83
	v_cndmask_b32_e64 v94, v86, v102, s3
	v_cndmask_b32_e64 v98, v90, v106, s3
	;; [unrolled: 1-line block ×15, first 2 shown]
	v_lshrrev_b32_e32 v103, 16, v87
	v_lshrrev_b32_e32 v107, 16, v91
	v_cndmask_b32_e64 v113, v115, v83, s13
	v_cndmask_b32_e64 v82, v94, v87, s4
	;; [unrolled: 1-line block ×7, first 2 shown]
	v_cndmask_b32_e32 v90, v102, v95, vcc_lo
	v_cndmask_b32_e32 v102, v106, v99, vcc_lo
	v_cndmask_b32_e64 v106, v110, v95, s12
	v_cndmask_b32_e64 v110, v111, v99, s12
	;; [unrolled: 1-line block ×4, first 2 shown]
	v_lshrrev_b32_e32 v96, 16, v80
	v_lshrrev_b32_e32 v100, 16, v84
	v_cndmask_b32_e64 v111, v112, v95, s16
	v_cndmask_b32_e64 v112, v113, v99, s16
	v_cndmask_b32_e32 v82, v82, v103, vcc_lo
	v_cndmask_b32_e32 v83, v83, v107, vcc_lo
	v_cndmask_b32_e64 v94, v94, v103, s12
	v_cndmask_b32_e64 v90, v90, v80, s2
	;; [unrolled: 1-line block ×7, first 2 shown]
	v_lshrrev_b32_e32 v104, 16, v88
	v_cndmask_b32_e64 v106, v111, v80, s20
	v_cndmask_b32_e64 v110, v112, v84, s20
	;; [unrolled: 1-line block ×11, first 2 shown]
	v_lshrrev_b32_e32 v97, 16, v81
	v_lshrrev_b32_e32 v101, 16, v85
	v_cndmask_b32_e64 v99, v106, v96, s22
	v_cndmask_b32_e64 v102, v110, v100, s22
	;; [unrolled: 1-line block ×7, first 2 shown]
	v_lshrrev_b32_e32 v105, 16, v89
	v_cndmask_b32_e64 v80, v80, v104, s5
	v_cndmask_b32_e64 v84, v84, v81, s6
	;; [unrolled: 1-line block ×16, first 2 shown]
	v_perm_b32 v81, v79, v78, 0x5040100
	v_perm_b32 v79, v95, v85, 0x5040100
	v_cndmask_b32_e64 v78, v119, v91, s13
	v_cndmask_b32_e64 v85, v117, v91, s11
	;; [unrolled: 1-line block ×3, first 2 shown]
	v_perm_b32 v80, v94, v90, 0x5040100
	v_cndmask_b32_e64 v90, v98, v103, s16
	v_cndmask_b32_e64 v86, v86, v103, s17
	;; [unrolled: 1-line block ×5, first 2 shown]
	v_lshrrev_b32_e32 v108, 16, v92
	v_cndmask_b32_e64 v90, v90, v88, s20
	v_cndmask_b32_e64 v86, v86, v88, s21
	;; [unrolled: 1-line block ×11, first 2 shown]
	v_lshrrev_b32_e32 v109, 16, v93
	v_cndmask_b32_e64 v82, v82, v93, s6
	v_cndmask_b32_e64 v88, v88, v89, s25
	;; [unrolled: 1-line block ×12, first 2 shown]
	v_perm_b32 v78, v84, v83, 0x5040100
	v_perm_b32 v85, v87, v86, 0x5040100
	v_perm_b32 v84, v89, v88, 0x5040100
	v_perm_b32 v83, v90, v97, 0x5040100
	v_perm_b32 v82, v82, v96, 0x5040100
	s_mul_i32 s7, s33, 6
	s_mov_b32 s2, exec_lo
	ds_store_b128 v74, v[78:81]
	ds_store_b128 v74, v[82:85] offset:1024
	v_cmpx_gt_u32_e32 6, v0
	s_cbranch_execz .LBB1035_14
; %bb.13:
	s_mul_i32 s3, s7, s30
	s_load_b128 s[8:11], s[0:1], 0x58
	v_add3_u32 v68, s3, s31, v68
	s_delay_alu instid0(VALU_DEP_1) | instskip(NEXT) | instid1(VALU_DEP_1)
	v_mad_u64_u32 v[78:79], null, v68, s34, s[14:15]
	v_ashrrev_i32_e32 v79, 31, v78
	s_delay_alu instid0(VALU_DEP_1) | instskip(SKIP_1) | instid1(VALU_DEP_1)
	v_lshlrev_b64 v[78:79], 2, v[78:79]
	s_waitcnt lgkmcnt(0)
	v_add_co_u32 v80, vcc_lo, s10, v78
	s_delay_alu instid0(VALU_DEP_2)
	v_add_co_ci_u32_e32 v81, vcc_lo, s11, v79, vcc_lo
	v_add_co_u32 v78, vcc_lo, s8, v78
	v_add_co_ci_u32_e32 v79, vcc_lo, s9, v79, vcc_lo
	global_store_b32 v[80:81], v76, off
	global_store_b32 v[78:79], v77, off
.LBB1035_14:
	s_or_b32 exec_lo, exec_lo, s2
	s_waitcnt lgkmcnt(0)
	s_waitcnt_vscnt null, 0x0
	s_barrier
	buffer_gl0_inv
	ds_load_b128 v[84:87], v73
	ds_load_b128 v[88:91], v73 offset:16
	ds_load_b128 v[96:99], v73 offset:2064
	;; [unrolled: 1-line block ×5, first 2 shown]
	v_cmp_eq_u32_e32 vcc_lo, 1, v70
	v_mov_b32_e32 v76, 0
	ds_load_b128 v[112:115], v73 offset:6160
	ds_load_b128 v[108:111], v73 offset:6144
	;; [unrolled: 1-line block ×4, first 2 shown]
	v_cmp_eq_u32_e64 s3, 1, v69
	v_cmp_eq_u32_e64 s2, 1, v72
	v_cmp_eq_u32_e64 s4, 2, v72
	v_mov_b32_e32 v77, v76
	v_mov_b32_e32 v78, v76
	;; [unrolled: 1-line block ×7, first 2 shown]
	v_cmp_eq_u32_e64 s5, 3, v72
	v_cmp_eq_u32_e64 s6, 7, v72
	s_waitcnt lgkmcnt(8)
	s_delay_alu instid0(VALU_DEP_3)
	v_wmma_f32_16x16x16_f16 v[76:83], v[49:56], v[84:91], v[76:83]
	ds_load_b128 v[53:56], v73 offset:10256
	ds_load_b128 v[49:52], v73 offset:10240
	s_waitcnt lgkmcnt(8)
	v_wmma_f32_16x16x16_f16 v[76:83], v[41:48], v[92:99], v[76:83]
	ds_load_b128 v[45:48], v73 offset:12304
	ds_load_b128 v[41:44], v73 offset:12288
	s_waitcnt lgkmcnt(8)
	;; [unrolled: 4-line block ×3, first 2 shown]
	s_barrier
	buffer_gl0_inv
	v_wmma_f32_16x16x16_f16 v[76:83], v[1:8], v[108:115], v[76:83]
	s_delay_alu instid0(VALU_DEP_1) | instskip(NEXT) | instid1(VALU_DEP_1)
	v_wmma_f32_16x16x16_f16 v[76:83], v[9:16], v[116:123], v[76:83]
	v_wmma_f32_16x16x16_f16 v[76:83], v[17:24], v[49:56], v[76:83]
	s_delay_alu instid0(VALU_DEP_1) | instskip(NEXT) | instid1(VALU_DEP_1)
	v_wmma_f32_16x16x16_f16 v[76:83], v[25:32], v[41:48], v[76:83]
	v_wmma_f32_16x16x16_f16 v[76:83], v[57:64], v[33:40], v[76:83]
	s_delay_alu instid0(VALU_DEP_1) | instskip(NEXT) | instid1(VALU_DEP_2)
	v_cvt_f16_f32_e32 v1, v76
	v_cvt_f16_f32_e32 v2, v77
	s_delay_alu instid0(VALU_DEP_3) | instskip(NEXT) | instid1(VALU_DEP_4)
	v_cvt_f16_f32_e32 v3, v78
	v_cvt_f16_f32_e32 v4, v79
	;; [unrolled: 1-line block ×6, first 2 shown]
	v_pack_b32_f16 v1, v1, v2
	v_pack_b32_f16 v2, v3, v4
	;; [unrolled: 1-line block ×3, first 2 shown]
	s_delay_alu instid0(VALU_DEP_4)
	v_pack_b32_f16 v4, v7, v8
	ds_store_b128 v74, v[1:4]
	s_waitcnt lgkmcnt(0)
	s_barrier
	buffer_gl0_inv
	ds_load_b128 v[1:4], v75
	ds_load_b128 v[5:8], v75 offset:16
	s_waitcnt lgkmcnt(1)
	v_lshrrev_b32_e32 v9, 16, v1
	s_waitcnt lgkmcnt(0)
	v_lshrrev_b32_e32 v13, 16, v5
	v_lshrrev_b32_e32 v10, 16, v2
	;; [unrolled: 1-line block ×4, first 2 shown]
	v_cndmask_b32_e32 v17, v1, v9, vcc_lo
	v_cndmask_b32_e32 v18, v5, v13, vcc_lo
	v_cndmask_b32_e64 v21, v1, v9, s3
	v_cmp_eq_u32_e32 vcc_lo, 1, v71
	v_cndmask_b32_e64 v22, v5, v13, s3
	v_cmp_eq_u32_e64 s3, 2, v70
	v_cndmask_b32_e64 v19, v1, v9, s2
	v_cndmask_b32_e64 v20, v5, v13, s2
	v_cndmask_b32_e32 v1, v1, v9, vcc_lo
	v_cmp_eq_u32_e64 s2, 2, v71
	v_cndmask_b32_e32 v5, v5, v13, vcc_lo
	v_cndmask_b32_e64 v9, v17, v2, s3
	v_cmp_eq_u32_e32 vcc_lo, 3, v70
	v_cndmask_b32_e64 v13, v18, v6, s3
	v_cmp_eq_u32_e64 s3, 2, v69
	v_cndmask_b32_e64 v17, v19, v2, s4
	v_cndmask_b32_e64 v18, v20, v6, s4
	v_cmp_eq_u32_e64 s4, 3, v69
	v_cndmask_b32_e64 v1, v1, v2, s2
	v_cndmask_b32_e64 v19, v21, v2, s3
	v_cndmask_b32_e64 v20, v22, v6, s3
	v_cndmask_b32_e64 v2, v5, v6, s2
	v_cndmask_b32_e32 v5, v9, v10, vcc_lo
	v_cndmask_b32_e32 v6, v13, v14, vcc_lo
	v_cmp_eq_u32_e32 vcc_lo, 3, v71
	v_cndmask_b32_e64 v9, v17, v10, s5
	v_cndmask_b32_e64 v13, v18, v14, s5
	;; [unrolled: 1-line block ×3, first 2 shown]
	v_cmp_eq_u32_e64 s3, 4, v70
	v_cndmask_b32_e32 v1, v1, v10, vcc_lo
	v_cndmask_b32_e32 v2, v2, v14, vcc_lo
	v_cmp_eq_u32_e32 vcc_lo, 4, v72
	v_lshrrev_b32_e32 v15, 16, v7
	v_lshrrev_b32_e32 v16, 16, v8
	v_cndmask_b32_e64 v17, v19, v10, s4
	v_cmp_eq_u32_e64 s2, 4, v71
	v_cndmask_b32_e64 v5, v5, v3, s3
	v_cndmask_b32_e64 v6, v6, v7, s3
	v_cndmask_b32_e32 v9, v9, v3, vcc_lo
	v_cmp_eq_u32_e64 s3, 5, v72
	v_cndmask_b32_e32 v10, v13, v7, vcc_lo
	v_cmp_eq_u32_e32 vcc_lo, 4, v69
	v_cmp_eq_u32_e64 s4, 5, v70
	v_cndmask_b32_e64 v2, v2, v7, s2
	v_cndmask_b32_e64 v9, v9, v11, s3
	;; [unrolled: 1-line block ×3, first 2 shown]
	v_cndmask_b32_e32 v13, v17, v3, vcc_lo
	v_cmp_eq_u32_e64 s3, 5, v69
	v_cndmask_b32_e32 v14, v18, v7, vcc_lo
	v_cndmask_b32_e64 v1, v1, v3, s2
	v_cmp_eq_u32_e32 vcc_lo, 5, v71
	v_lshrrev_b32_e32 v12, 16, v4
	v_cndmask_b32_e64 v13, v13, v11, s3
	v_cndmask_b32_e64 v3, v14, v15, s3
	v_cmp_eq_u32_e64 s3, 6, v71
	v_cndmask_b32_e32 v1, v1, v11, vcc_lo
	v_cndmask_b32_e64 v5, v5, v11, s4
	v_cmp_eq_u32_e64 s5, 6, v70
	v_cndmask_b32_e64 v6, v6, v15, s4
	v_cmp_eq_u32_e64 s4, 6, v72
	v_cmp_eq_u32_e64 s2, 6, v69
	v_cndmask_b32_e64 v1, v1, v4, s3
	v_cndmask_b32_e32 v2, v2, v15, vcc_lo
	v_cmp_eq_u32_e32 vcc_lo, 7, v71
	v_cndmask_b32_e64 v5, v5, v4, s5
	v_cndmask_b32_e64 v9, v9, v4, s4
	;; [unrolled: 1-line block ×3, first 2 shown]
	v_cmp_eq_u32_e64 s5, 7, v70
	v_cndmask_b32_e32 v1, v1, v12, vcc_lo
	v_cndmask_b32_e64 v7, v13, v4, s2
	v_cndmask_b32_e64 v3, v3, v8, s2
	v_cndmask_b32_e64 v2, v2, v8, s3
	v_cmp_eq_u32_e64 s2, 7, v69
	v_cndmask_b32_e64 v4, v10, v8, s4
	v_cndmask_b32_e64 v5, v5, v12, s5
	v_cndmask_b32_e64 v9, v9, v12, s6
	v_cndmask_b32_e32 v2, v2, v16, vcc_lo
	v_cndmask_b32_e64 v7, v7, v12, s2
	v_cndmask_b32_e64 v3, v3, v16, s2
	v_cndmask_b32_e64 v8, v4, v16, s6
	v_cndmask_b32_e64 v6, v6, v16, s5
	v_perm_b32 v4, v2, v1, 0x5040100
	s_mov_b32 s2, exec_lo
	v_perm_b32 v3, v3, v7, 0x5040100
	v_perm_b32 v2, v8, v9, 0x5040100
	v_perm_b32 v1, v6, v5, 0x5040100
	ds_store_b128 v74, v[1:4]
	s_waitcnt lgkmcnt(0)
	s_barrier
	buffer_gl0_inv
	v_cmpx_gt_u32_e32 32, v0
	s_cbranch_execz .LBB1035_2
; %bb.15:
	s_load_b64 s[0:1], s[0:1], 0x68
	s_lshl_b32 s4, s34, 7
	v_or_b32_e32 v3, s31, v66
	s_mul_i32 s2, s4, s30
	v_lshlrev_b32_e32 v0, 10, v0
	s_mul_i32 s2, s2, s7
	v_lshlrev_b32_e32 v1, 4, v67
	s_ashr_i32 s3, s2, 31
	v_mul_lo_u32 v12, v3, s4
	s_lshl_b64 s[2:3], s[2:3], 1
	v_lshlrev_b32_e32 v2, 6, v66
	v_and_b32_e32 v0, 0x3800, v0
	s_delay_alu instid0(VALU_DEP_1) | instskip(NEXT) | instid1(VALU_DEP_4)
	v_or3_b32 v8, v0, v1, v2
	v_ashrrev_i32_e32 v13, 31, v12
	ds_load_b128 v[0:3], v8
	ds_load_b128 v[4:7], v8 offset:128
	ds_load_b128 v[8:11], v8 offset:256
	s_waitcnt lgkmcnt(0)
	s_add_u32 s2, s0, s2
	s_addc_u32 s3, s1, s3
	s_lshl_b32 s0, s14, 7
	s_delay_alu instid0(SALU_CYCLE_1) | instskip(NEXT) | instid1(SALU_CYCLE_1)
	s_ashr_i32 s1, s0, 31
	s_lshl_b64 s[0:1], s[0:1], 1
	s_delay_alu instid0(SALU_CYCLE_1)
	s_add_u32 s0, s2, s0
	s_addc_u32 s1, s3, s1
	s_lshl_b32 s2, s34, 8
	v_add_co_u32 v18, s0, s0, v65
	v_add_nc_u32_e32 v14, s2, v12
	v_lshlrev_b64 v[12:13], 1, v[12:13]
	v_add_co_ci_u32_e64 v19, null, s1, 0, s0
	s_delay_alu instid0(VALU_DEP_3) | instskip(SKIP_1) | instid1(VALU_DEP_4)
	v_add_nc_u32_e32 v16, s2, v14
	v_ashrrev_i32_e32 v15, 31, v14
	v_add_co_u32 v12, vcc_lo, v18, v12
	s_delay_alu instid0(VALU_DEP_4) | instskip(NEXT) | instid1(VALU_DEP_4)
	v_add_co_ci_u32_e32 v13, vcc_lo, v19, v13, vcc_lo
	v_ashrrev_i32_e32 v17, 31, v16
	s_delay_alu instid0(VALU_DEP_4) | instskip(NEXT) | instid1(VALU_DEP_2)
	v_lshlrev_b64 v[14:15], 1, v[14:15]
	v_lshlrev_b64 v[16:17], 1, v[16:17]
	s_delay_alu instid0(VALU_DEP_2) | instskip(NEXT) | instid1(VALU_DEP_3)
	v_add_co_u32 v14, vcc_lo, v18, v14
	v_add_co_ci_u32_e32 v15, vcc_lo, v19, v15, vcc_lo
	s_delay_alu instid0(VALU_DEP_3) | instskip(NEXT) | instid1(VALU_DEP_4)
	v_add_co_u32 v16, vcc_lo, v18, v16
	v_add_co_ci_u32_e32 v17, vcc_lo, v19, v17, vcc_lo
	s_clause 0x2
	global_store_b128 v[12:13], v[0:3], off
	global_store_b128 v[14:15], v[4:7], off
	;; [unrolled: 1-line block ×3, first 2 shown]
	s_nop 0
	s_sendmsg sendmsg(MSG_DEALLOC_VGPRS)
	s_endpgm
	.section	.rodata,"a",@progbits
	.p2align	6, 0x0
	.amdhsa_kernel _Z39paged_attention_ll4mi_QKV_mfma16_kernelIDF16_hLN4vllm18Fp8KVCacheDataTypeE1EhLi32ELi128ELi256ELb0ELi6EL8MFMAType1EEvPKT_PKT0_S8_ifPKiSA_SA_iPKfiiiPfSD_PS3_PT2_iSC_SC_
		.amdhsa_group_segment_fixed_size 17472
		.amdhsa_private_segment_fixed_size 0
		.amdhsa_kernarg_size 400
		.amdhsa_user_sgpr_count 13
		.amdhsa_user_sgpr_dispatch_ptr 0
		.amdhsa_user_sgpr_queue_ptr 0
		.amdhsa_user_sgpr_kernarg_segment_ptr 1
		.amdhsa_user_sgpr_dispatch_id 0
		.amdhsa_user_sgpr_private_segment_size 0
		.amdhsa_wavefront_size32 1
		.amdhsa_uses_dynamic_stack 0
		.amdhsa_enable_private_segment 0
		.amdhsa_system_sgpr_workgroup_id_x 1
		.amdhsa_system_sgpr_workgroup_id_y 1
		.amdhsa_system_sgpr_workgroup_id_z 1
		.amdhsa_system_sgpr_workgroup_info 0
		.amdhsa_system_vgpr_workitem_id 0
		.amdhsa_next_free_vgpr 150
		.amdhsa_next_free_sgpr 37
		.amdhsa_reserve_vcc 1
		.amdhsa_float_round_mode_32 0
		.amdhsa_float_round_mode_16_64 0
		.amdhsa_float_denorm_mode_32 3
		.amdhsa_float_denorm_mode_16_64 3
		.amdhsa_dx10_clamp 1
		.amdhsa_ieee_mode 1
		.amdhsa_fp16_overflow 0
		.amdhsa_workgroup_processor_mode 1
		.amdhsa_memory_ordered 1
		.amdhsa_forward_progress 0
		.amdhsa_shared_vgpr_count 0
		.amdhsa_exception_fp_ieee_invalid_op 0
		.amdhsa_exception_fp_denorm_src 0
		.amdhsa_exception_fp_ieee_div_zero 0
		.amdhsa_exception_fp_ieee_overflow 0
		.amdhsa_exception_fp_ieee_underflow 0
		.amdhsa_exception_fp_ieee_inexact 0
		.amdhsa_exception_int_div_zero 0
	.end_amdhsa_kernel
	.section	.text._Z39paged_attention_ll4mi_QKV_mfma16_kernelIDF16_hLN4vllm18Fp8KVCacheDataTypeE1EhLi32ELi128ELi256ELb0ELi6EL8MFMAType1EEvPKT_PKT0_S8_ifPKiSA_SA_iPKfiiiPfSD_PS3_PT2_iSC_SC_,"axG",@progbits,_Z39paged_attention_ll4mi_QKV_mfma16_kernelIDF16_hLN4vllm18Fp8KVCacheDataTypeE1EhLi32ELi128ELi256ELb0ELi6EL8MFMAType1EEvPKT_PKT0_S8_ifPKiSA_SA_iPKfiiiPfSD_PS3_PT2_iSC_SC_,comdat
.Lfunc_end1035:
	.size	_Z39paged_attention_ll4mi_QKV_mfma16_kernelIDF16_hLN4vllm18Fp8KVCacheDataTypeE1EhLi32ELi128ELi256ELb0ELi6EL8MFMAType1EEvPKT_PKT0_S8_ifPKiSA_SA_iPKfiiiPfSD_PS3_PT2_iSC_SC_, .Lfunc_end1035-_Z39paged_attention_ll4mi_QKV_mfma16_kernelIDF16_hLN4vllm18Fp8KVCacheDataTypeE1EhLi32ELi128ELi256ELb0ELi6EL8MFMAType1EEvPKT_PKT0_S8_ifPKiSA_SA_iPKfiiiPfSD_PS3_PT2_iSC_SC_
                                        ; -- End function
	.section	.AMDGPU.csdata,"",@progbits
; Kernel info:
; codeLenInByte = 6640
; NumSgprs: 39
; NumVgprs: 150
; ScratchSize: 0
; MemoryBound: 0
; FloatMode: 240
; IeeeMode: 1
; LDSByteSize: 17472 bytes/workgroup (compile time only)
; SGPRBlocks: 4
; VGPRBlocks: 18
; NumSGPRsForWavesPerEU: 39
; NumVGPRsForWavesPerEU: 150
; Occupancy: 9
; WaveLimiterHint : 1
; COMPUTE_PGM_RSRC2:SCRATCH_EN: 0
; COMPUTE_PGM_RSRC2:USER_SGPR: 13
; COMPUTE_PGM_RSRC2:TRAP_HANDLER: 0
; COMPUTE_PGM_RSRC2:TGID_X_EN: 1
; COMPUTE_PGM_RSRC2:TGID_Y_EN: 1
; COMPUTE_PGM_RSRC2:TGID_Z_EN: 1
; COMPUTE_PGM_RSRC2:TIDIG_COMP_CNT: 0
	.section	.text._Z39paged_attention_ll4mi_QKV_mfma16_kernelIDF16_hLN4vllm18Fp8KVCacheDataTypeE1EhLi32ELi128ELi256ELb0ELi7EL8MFMAType1EEvPKT_PKT0_S8_ifPKiSA_SA_iPKfiiiPfSD_PS3_PT2_iSC_SC_,"axG",@progbits,_Z39paged_attention_ll4mi_QKV_mfma16_kernelIDF16_hLN4vllm18Fp8KVCacheDataTypeE1EhLi32ELi128ELi256ELb0ELi7EL8MFMAType1EEvPKT_PKT0_S8_ifPKiSA_SA_iPKfiiiPfSD_PS3_PT2_iSC_SC_,comdat
	.protected	_Z39paged_attention_ll4mi_QKV_mfma16_kernelIDF16_hLN4vllm18Fp8KVCacheDataTypeE1EhLi32ELi128ELi256ELb0ELi7EL8MFMAType1EEvPKT_PKT0_S8_ifPKiSA_SA_iPKfiiiPfSD_PS3_PT2_iSC_SC_ ; -- Begin function _Z39paged_attention_ll4mi_QKV_mfma16_kernelIDF16_hLN4vllm18Fp8KVCacheDataTypeE1EhLi32ELi128ELi256ELb0ELi7EL8MFMAType1EEvPKT_PKT0_S8_ifPKiSA_SA_iPKfiiiPfSD_PS3_PT2_iSC_SC_
	.globl	_Z39paged_attention_ll4mi_QKV_mfma16_kernelIDF16_hLN4vllm18Fp8KVCacheDataTypeE1EhLi32ELi128ELi256ELb0ELi7EL8MFMAType1EEvPKT_PKT0_S8_ifPKiSA_SA_iPKfiiiPfSD_PS3_PT2_iSC_SC_
	.p2align	8
	.type	_Z39paged_attention_ll4mi_QKV_mfma16_kernelIDF16_hLN4vllm18Fp8KVCacheDataTypeE1EhLi32ELi128ELi256ELb0ELi7EL8MFMAType1EEvPKT_PKT0_S8_ifPKiSA_SA_iPKfiiiPfSD_PS3_PT2_iSC_SC_,@function
_Z39paged_attention_ll4mi_QKV_mfma16_kernelIDF16_hLN4vllm18Fp8KVCacheDataTypeE1EhLi32ELi128ELi256ELb0ELi7EL8MFMAType1EEvPKT_PKT0_S8_ifPKiSA_SA_iPKfiiiPfSD_PS3_PT2_iSC_SC_: ; @_Z39paged_attention_ll4mi_QKV_mfma16_kernelIDF16_hLN4vllm18Fp8KVCacheDataTypeE1EhLi32ELi128ELi256ELb0ELi7EL8MFMAType1EEvPKT_PKT0_S8_ifPKiSA_SA_iPKfiiiPfSD_PS3_PT2_iSC_SC_
; %bb.0:
	s_load_b64 s[4:5], s[0:1], 0x30
	s_mov_b32 s34, s13
	s_waitcnt lgkmcnt(0)
	s_cmp_lg_u64 s[4:5], 0
	s_cselect_b32 s8, -1, 0
	s_ashr_i32 s35, s13, 31
	s_cmp_eq_u64 s[4:5], 0
	s_cbranch_scc1 .LBB1036_3
; %bb.1:
	s_lshl_b64 s[2:3], s[34:35], 2
	s_delay_alu instid0(SALU_CYCLE_1) | instskip(SKIP_4) | instid1(SALU_CYCLE_1)
	s_add_u32 s2, s4, s2
	s_addc_u32 s3, s5, s3
	s_load_b64 s[2:3], s[2:3], 0x0
	s_waitcnt lgkmcnt(0)
	s_sub_i32 s2, s3, s2
	s_cmp_eq_u32 s2, 1
	s_cselect_b32 s2, -1, 0
	s_delay_alu instid0(SALU_CYCLE_1)
	s_and_not1_b32 vcc_lo, exec_lo, s2
	s_cbranch_vccz .LBB1036_4
.LBB1036_2:
	s_nop 0
	s_sendmsg sendmsg(MSG_DEALLOC_VGPRS)
	s_endpgm
.LBB1036_3:
.LBB1036_4:
	s_load_b64 s[2:3], s[0:1], 0x28
	s_lshl_b64 s[6:7], s[34:35], 2
	s_waitcnt lgkmcnt(0)
	s_add_u32 s2, s2, s6
	s_addc_u32 s3, s3, s7
	s_lshl_b32 s12, s14, 8
	s_load_b32 s24, s[2:3], 0x0
	s_waitcnt lgkmcnt(0)
	s_cmp_ge_i32 s12, s24
	s_cbranch_scc1 .LBB1036_2
; %bb.5:
	s_clause 0x1
	s_load_b128 s[20:23], s[0:1], 0x8
	s_load_b64 s[2:3], s[0:1], 0x20
	s_and_not1_b32 vcc_lo, exec_lo, s8
	s_cbranch_vccnz .LBB1036_7
; %bb.6:
	s_add_u32 s4, s4, s6
	s_addc_u32 s5, s5, s7
	s_load_b32 s5, s[4:5], 0x0
	s_branch .LBB1036_8
.LBB1036_7:
	s_mov_b32 s5, s34
.LBB1036_8:
	s_load_b128 s[16:19], s[0:1], 0x48
	v_and_b32_e32 v68, 15, v0
	v_lshrrev_b32_e32 v69, 5, v0
	v_bfe_u32 v66, v0, 4, 1
	v_and_b32_e32 v70, 31, v0
	v_and_b32_e32 v67, 1, v0
	v_lshlrev_b32_e32 v2, 3, v68
	s_mul_i32 s31, s15, 7
	v_lshl_or_b32 v1, v69, 1, v66
	s_mov_b32 s4, exec_lo
	s_delay_alu instid0(VALU_DEP_2) | instskip(NEXT) | instid1(VALU_DEP_2)
	v_lshlrev_b32_e32 v65, 1, v2
	v_cmpx_gt_u32_e32 7, v1
	s_cbranch_execz .LBB1036_10
; %bb.9:
	s_load_b64 s[6:7], s[0:1], 0x0
	v_add_lshl_u32 v2, v1, s31, 7
	s_waitcnt lgkmcnt(0)
	s_mul_hi_i32 s9, s5, s16
	s_mul_i32 s8, s5, s16
	v_lshlrev_b32_e32 v6, 10, v68
	s_lshl_b64 s[8:9], s[8:9], 1
	v_ashrrev_i32_e32 v3, 31, v2
	v_lshlrev_b32_e32 v1, 6, v1
	v_lshlrev_b32_e32 v7, 10, v67
	v_and_b32_e32 v6, 0x3800, v6
	s_delay_alu instid0(VALU_DEP_4) | instskip(NEXT) | instid1(VALU_DEP_2)
	v_lshlrev_b64 v[2:3], 1, v[2:3]
	v_or3_b32 v1, v6, v7, v1
	s_add_u32 s5, s6, s8
	s_addc_u32 s6, s7, s9
	s_delay_alu instid0(VALU_DEP_2) | instskip(NEXT) | instid1(VALU_DEP_3)
	v_add_co_u32 v2, vcc_lo, s5, v2
	v_add_co_ci_u32_e32 v3, vcc_lo, s6, v3, vcc_lo
	s_delay_alu instid0(VALU_DEP_2) | instskip(NEXT) | instid1(VALU_DEP_2)
	v_add_co_u32 v2, vcc_lo, v2, v65
	v_add_co_ci_u32_e32 v3, vcc_lo, 0, v3, vcc_lo
	global_load_b128 v[2:5], v[2:3], off
	s_waitcnt vmcnt(0)
	ds_store_b128 v1, v[2:5]
.LBB1036_10:
	s_or_b32 exec_lo, exec_lo, s4
	v_and_b32_e32 v1, 0xef, v0
	s_waitcnt lgkmcnt(0)
	s_add_i32 s5, s24, 31
	s_clause 0x1
	s_load_b32 s4, s[0:1], 0x38
	s_load_b32 s33, s[0:1], 0x98
	s_ashr_i32 s6, s5, 31
	v_add_nc_u32_e32 v1, s12, v1
	s_lshr_b32 s6, s6, 27
	s_load_b32 s19, s[0:1], 0x1c
	s_add_i32 s5, s5, s6
	s_waitcnt lgkmcnt(0)
	v_ashrrev_i32_e32 v2, 31, v1
	v_or_b32_e32 v3, 16, v1
	s_ashr_i32 s13, s5, 5
	v_cmp_gt_i32_e32 vcc_lo, s24, v1
	s_add_i32 s13, s13, -1
	v_lshrrev_b32_e32 v2, 27, v2
	s_barrier
	buffer_gl0_inv
	s_mul_i32 s15, s15, s18
	v_add_nc_u32_e32 v4, v1, v2
	s_mul_i32 s4, s34, s4
	s_delay_alu instid0(SALU_CYCLE_1) | instskip(NEXT) | instid1(VALU_DEP_1)
	s_ashr_i32 s5, s4, 31
	v_ashrrev_i32_e32 v4, 5, v4
	v_add_nc_u32_e32 v2, v3, v2
	s_lshl_b64 s[4:5], s[4:5], 2
	s_delay_alu instid0(SALU_CYCLE_1) | instskip(NEXT) | instid1(VALU_DEP_2)
	s_add_u32 s16, s2, s4
	v_cndmask_b32_e32 v1, s13, v4, vcc_lo
	s_delay_alu instid0(VALU_DEP_2)
	v_ashrrev_i32_e32 v2, 5, v2
	v_cmp_gt_i32_e32 vcc_lo, s24, v3
	s_addc_u32 s25, s3, s5
	s_ashr_i32 s18, s15, 31
	s_add_u32 s2, s20, s15
	s_addc_u32 s3, s21, s18
	v_cndmask_b32_e32 v3, s13, v2, vcc_lo
	v_ashrrev_i32_e32 v2, 31, v1
	s_lshl_b32 s4, s14, 3
	s_delay_alu instid0(SALU_CYCLE_1) | instskip(NEXT) | instid1(VALU_DEP_2)
	s_ashr_i32 s5, s4, 31
	v_ashrrev_i32_e32 v4, 31, v3
	s_delay_alu instid0(VALU_DEP_2) | instskip(SKIP_1) | instid1(SALU_CYCLE_1)
	v_lshlrev_b64 v[1:2], 2, v[1:2]
	s_lshl_b64 s[4:5], s[4:5], 2
	s_add_u32 s4, s16, s4
	s_delay_alu instid0(VALU_DEP_2) | instskip(SKIP_1) | instid1(VALU_DEP_2)
	v_lshlrev_b64 v[3:4], 2, v[3:4]
	s_addc_u32 s5, s25, s5
	v_add_co_u32 v1, vcc_lo, s16, v1
	v_add_co_ci_u32_e32 v2, vcc_lo, s25, v2, vcc_lo
	s_delay_alu instid0(VALU_DEP_3) | instskip(NEXT) | instid1(VALU_DEP_4)
	v_add_co_u32 v3, vcc_lo, s16, v3
	v_add_co_ci_u32_e32 v4, vcc_lo, s25, v4, vcc_lo
	s_clause 0x1
	global_load_b32 v5, v[1:2], off
	global_load_b32 v6, v[3:4], off
	s_or_b32 s6, s12, 32
	s_delay_alu instid0(SALU_CYCLE_1) | instskip(SKIP_2) | instid1(SALU_CYCLE_1)
	s_ashr_i32 s7, s6, 5
	s_cmp_lt_i32 s6, s24
	s_cselect_b32 s6, s7, s13
	s_ashr_i32 s7, s6, 31
	s_delay_alu instid0(SALU_CYCLE_1) | instskip(NEXT) | instid1(SALU_CYCLE_1)
	s_lshl_b64 s[6:7], s[6:7], 2
	s_add_u32 s6, s16, s6
	s_addc_u32 s7, s25, s7
	s_or_b32 s8, s12, 64
	s_delay_alu instid0(SALU_CYCLE_1) | instskip(SKIP_2) | instid1(SALU_CYCLE_1)
	s_ashr_i32 s9, s8, 5
	s_cmp_lt_i32 s8, s24
	s_cselect_b32 s8, s9, s13
	s_ashr_i32 s9, s8, 31
	s_delay_alu instid0(SALU_CYCLE_1) | instskip(NEXT) | instid1(SALU_CYCLE_1)
	s_lshl_b64 s[8:9], s[8:9], 2
	s_add_u32 s8, s16, s8
	s_addc_u32 s9, s25, s9
	s_or_b32 s10, s12, 0x60
	s_delay_alu instid0(SALU_CYCLE_1) | instskip(SKIP_2) | instid1(SALU_CYCLE_1)
	s_ashr_i32 s11, s10, 5
	s_cmp_lt_i32 s10, s24
	s_cselect_b32 s10, s11, s13
	s_ashr_i32 s11, s10, 31
	s_delay_alu instid0(SALU_CYCLE_1) | instskip(NEXT) | instid1(SALU_CYCLE_1)
	s_lshl_b64 s[10:11], s[10:11], 2
	s_add_u32 s10, s16, s10
	s_addc_u32 s11, s25, s11
	s_or_b32 s20, s12, 0x80
	s_delay_alu instid0(SALU_CYCLE_1) | instskip(SKIP_2) | instid1(SALU_CYCLE_1)
	s_ashr_i32 s21, s20, 5
	s_cmp_lt_i32 s20, s24
	s_cselect_b32 s20, s21, s13
	s_ashr_i32 s21, s20, 31
	s_delay_alu instid0(SALU_CYCLE_1) | instskip(NEXT) | instid1(SALU_CYCLE_1)
	s_lshl_b64 s[20:21], s[20:21], 2
	s_add_u32 s20, s16, s20
	s_addc_u32 s21, s25, s21
	s_or_b32 s26, s12, 0xa0
	s_delay_alu instid0(SALU_CYCLE_1) | instskip(SKIP_2) | instid1(SALU_CYCLE_1)
	s_ashr_i32 s27, s26, 5
	s_cmp_lt_i32 s26, s24
	s_cselect_b32 s26, s27, s13
	s_ashr_i32 s27, s26, 31
	s_delay_alu instid0(SALU_CYCLE_1) | instskip(NEXT) | instid1(SALU_CYCLE_1)
	s_lshl_b64 s[26:27], s[26:27], 2
	s_add_u32 s26, s16, s26
	s_addc_u32 s27, s25, s27
	s_clause 0x5
	s_load_b32 s28, s[4:5], 0x0
	s_load_b32 s29, s[6:7], 0x0
	s_load_b32 s30, s[8:9], 0x0
	s_load_b32 s35, s[10:11], 0x0
	s_load_b32 s36, s[20:21], 0x0
	s_load_b32 s26, s[26:27], 0x0
	s_mov_b32 s4, 0
	s_delay_alu instid0(SALU_CYCLE_1)
	s_mov_b32 s5, s4
	s_mov_b32 s6, s4
	;; [unrolled: 1-line block ×7, first 2 shown]
	s_delay_alu instid0(SALU_CYCLE_1)
	v_dual_mov_b32 v118, s11 :: v_dual_mov_b32 v117, s10
	v_dual_mov_b32 v116, s9 :: v_dual_mov_b32 v115, s8
	v_mov_b32_e32 v113, s6
	v_dual_mov_b32 v111, s4 :: v_dual_mov_b32 v114, s7
	v_mov_b32_e32 v112, s5
	s_waitcnt vmcnt(1)
	v_mad_i64_i32 v[1:2], null, v5, s17, s[2:3]
	v_lshlrev_b32_e32 v5, 4, v68
	s_waitcnt vmcnt(0)
	v_mad_i64_i32 v[3:4], null, v6, s17, s[2:3]
	s_or_b32 s2, s12, 0xc0
	s_delay_alu instid0(SALU_CYCLE_1) | instskip(NEXT) | instid1(VALU_DEP_3)
	s_ashr_i32 s3, s2, 5
	v_add_co_u32 v1, vcc_lo, v1, v5
	s_delay_alu instid0(VALU_DEP_4) | instskip(NEXT) | instid1(VALU_DEP_3)
	v_add_co_ci_u32_e32 v2, vcc_lo, 0, v2, vcc_lo
	v_add_co_u32 v3, vcc_lo, v3, v5
	s_delay_alu instid0(VALU_DEP_4)
	v_add_co_ci_u32_e32 v4, vcc_lo, 0, v4, vcc_lo
	s_clause 0xf
	global_load_b128 v[17:20], v[1:2], off
	global_load_b128 v[21:24], v[1:2], off offset:512
	global_load_b128 v[25:28], v[3:4], off offset:256
	;; [unrolled: 1-line block ×15, first 2 shown]
	v_mul_lo_u16 v1, v68, 37
	s_cmp_lt_i32 s2, s24
	v_lshlrev_b32_e32 v2, 5, v68
	s_cselect_b32 s2, s3, s13
	s_delay_alu instid0(VALU_DEP_2) | instskip(SKIP_1) | instid1(SALU_CYCLE_1)
	v_lshrrev_b16 v1, 8, v1
	s_ashr_i32 s3, s2, 31
	s_lshl_b64 s[2:3], s[2:3], 2
	s_delay_alu instid0(VALU_DEP_1) | instskip(SKIP_3) | instid1(VALU_DEP_1)
	v_mul_lo_u16 v1, v1, 7
	s_add_u32 s2, s16, s2
	s_addc_u32 s3, s25, s3
	s_or_b32 s20, s12, 0xe0
	v_sub_nc_u16 v1, v68, v1
	s_ashr_i32 s21, s20, 5
	s_cmp_lt_i32 s20, s24
	s_cselect_b32 s20, s21, s13
	s_delay_alu instid0(VALU_DEP_1) | instskip(SKIP_1) | instid1(SALU_CYCLE_1)
	v_and_b32_e32 v1, 0xff, v1
	s_ashr_i32 s21, s20, 31
	s_lshl_b64 s[4:5], s[20:21], 2
	s_delay_alu instid0(VALU_DEP_1)
	v_lshlrev_b32_e32 v149, 6, v1
	s_add_u32 s4, s16, s4
	s_addc_u32 s5, s25, s5
	v_lshl_or_b32 v1, v69, 9, v2
	ds_load_b128 v[119:122], v149
	ds_load_b128 v[123:126], v149 offset:1024
	ds_load_b128 v[127:130], v149 offset:2048
	;; [unrolled: 1-line block ×3, first 2 shown]
	s_clause 0x1
	s_load_b32 s2, s[2:3], 0x0
	s_load_b32 s3, s[4:5], 0x0
	s_add_u32 s6, s22, s15
	s_addc_u32 s7, s23, s18
	v_add_co_u32 v135, s6, s6, v1
	s_delay_alu instid0(VALU_DEP_1) | instskip(SKIP_1) | instid1(VALU_DEP_1)
	v_add_co_ci_u32_e64 v136, null, s7, 0, s6
	s_waitcnt lgkmcnt(0)
	v_mad_i64_i32 v[1:2], null, s28, s17, v[135:136]
	v_mad_i64_i32 v[3:4], null, s29, s17, v[135:136]
	;; [unrolled: 1-line block ×6, first 2 shown]
	s_clause 0x9
	global_load_b128 v[49:52], v[1:2], off
	global_load_b128 v[53:56], v[1:2], off offset:16
	global_load_b128 v[41:44], v[3:4], off
	global_load_b128 v[45:48], v[3:4], off offset:16
	;; [unrolled: 2-line block ×5, first 2 shown]
	v_mad_i64_i32 v[145:146], null, s2, s17, v[135:136]
	v_mad_i64_i32 v[147:148], null, s3, s17, v[135:136]
	s_waitcnt vmcnt(24)
	v_wmma_f32_16x16x16_f16 v[135:142], v[17:24], v[119:126], v[111:118]
	s_waitcnt vmcnt(22)
	v_wmma_f32_16x16x16_f16 v[111:118], v[25:32], v[119:126], v[111:118]
	s_clause 0x3
	global_load_b128 v[17:20], v[143:144], off
	global_load_b128 v[21:24], v[143:144], off offset:16
	global_load_b128 v[25:28], v[145:146], off
	global_load_b128 v[29:32], v[145:146], off offset:16
	v_and_b32_e32 v119, 0xe0, v0
	s_waitcnt vmcnt(24)
	v_wmma_f32_16x16x16_f16 v[135:142], v[57:64], v[127:134], v[135:142]
	s_clause 0x1
	global_load_b128 v[57:60], v[147:148], off
	global_load_b128 v[61:64], v[147:148], off offset:16
	s_waitcnt vmcnt(24)
	v_wmma_f32_16x16x16_f16 v[111:118], v[71:78], v[127:134], v[111:118]
	ds_load_b128 v[71:74], v149 offset:4096
	ds_load_b128 v[75:78], v149 offset:5120
	v_add_nc_u32_e32 v128, s12, v119
	ds_load_b128 v[119:122], v149 offset:6144
	ds_load_b128 v[123:126], v149 offset:7168
	v_mbcnt_lo_u32_b32 v127, -1, 0
	s_waitcnt vmcnt(0) lgkmcnt(0)
	s_barrier
	v_or_b32_e32 v128, v128, v66
	buffer_gl0_inv
	v_xor_b32_e32 v129, 16, v127
	v_or_b32_e32 v130, 4, v128
	v_or_b32_e32 v131, 6, v128
	s_delay_alu instid0(VALU_DEP_3) | instskip(SKIP_4) | instid1(VALU_DEP_4)
	v_cmp_gt_i32_e32 vcc_lo, 32, v129
	v_or_b32_e32 v132, 8, v128
	v_or_b32_e32 v133, 10, v128
	v_cmp_gt_i32_e64 s3, s24, v130
	v_cmp_gt_i32_e64 s4, s24, v131
	;; [unrolled: 1-line block ×3, first 2 shown]
	v_wmma_f32_16x16x16_f16 v[135:142], v[79:86], v[71:78], v[135:142]
	v_wmma_f32_16x16x16_f16 v[111:118], v[87:94], v[71:78], v[111:118]
	v_or_b32_e32 v79, 12, v128
	v_or_b32_e32 v80, 14, v128
	v_cmp_gt_i32_e64 s6, s24, v133
	v_wmma_f32_16x16x16_f16 v[135:142], v[95:102], v[119:126], v[135:142]
	v_cndmask_b32_e32 v127, v127, v129, vcc_lo
	v_or_b32_e32 v129, 2, v128
	v_wmma_f32_16x16x16_f16 v[111:118], v[103:110], v[119:126], v[111:118]
	v_cmp_gt_i32_e32 vcc_lo, s24, v128
	v_dual_mul_f32 v88, s19, v135 :: v_dual_mul_f32 v87, s19, v136
	s_delay_alu instid0(VALU_DEP_4) | instskip(NEXT) | instid1(VALU_DEP_4)
	v_cmp_gt_i32_e64 s2, s24, v129
	v_mul_f32_e32 v94, s19, v113
	v_mul_f32_e32 v78, s19, v138
	;; [unrolled: 1-line block ×3, first 2 shown]
	v_cndmask_b32_e32 v88, 0xff7fffff, v88, vcc_lo
	v_cndmask_b32_e64 v87, 0xff7fffff, v87, s2
	v_dual_mul_f32 v76, s19, v140 :: v_dual_mul_f32 v77, s19, v139
	v_mul_f32_e32 v90, s19, v117
	v_cndmask_b32_e64 v86, 0xff7fffff, v86, s3
	v_cndmask_b32_e64 v78, 0xff7fffff, v78, s4
	v_max3_f32 v87, v88, 0xff7fffff, v87
	v_or_b32_e32 v81, 16, v128
	v_or_b32_e32 v82, 18, v128
	v_dual_mul_f32 v74, s19, v142 :: v_dual_mul_f32 v75, s19, v141
	v_mul_f32_e32 v92, s19, v115
	v_cndmask_b32_e64 v77, 0xff7fffff, v77, s5
	v_cndmask_b32_e64 v76, 0xff7fffff, v76, s6
	v_max3_f32 v78, v87, v86, v78
	v_cmp_gt_i32_e64 s7, s24, v79
	v_cmp_gt_i32_e64 s8, s24, v80
	v_or_b32_e32 v83, 20, v128
	v_or_b32_e32 v84, 22, v128
	v_dual_mul_f32 v89, s19, v118 :: v_dual_mul_f32 v96, s19, v111
	v_mul_f32_e32 v95, s19, v112
	v_cndmask_b32_e64 v75, 0xff7fffff, v75, s7
	v_cndmask_b32_e64 v74, 0xff7fffff, v74, s8
	v_max3_f32 v76, v78, v77, v76
	v_cmp_gt_i32_e64 s9, s24, v81
	v_cmp_gt_i32_e64 s10, s24, v82
	v_or_b32_e32 v85, 24, v128
	v_or_b32_e32 v71, 26, v128
	v_mul_f32_e32 v93, s19, v114
	v_cndmask_b32_e64 v77, 0xff7fffff, v96, s9
	v_cndmask_b32_e64 v78, 0xff7fffff, v95, s10
	v_max3_f32 v74, v76, v75, v74
	v_cmp_gt_i32_e64 s11, s24, v83
	v_cmp_gt_i32_e64 s12, s24, v84
	v_or_b32_e32 v72, 28, v128
	v_or_b32_e32 v73, 30, v128
	v_mul_f32_e32 v91, s19, v116
	v_cndmask_b32_e64 v75, 0xff7fffff, v94, s11
	v_cndmask_b32_e64 v76, 0xff7fffff, v93, s12
	v_max3_f32 v74, v74, v77, v78
	v_cmp_gt_i32_e64 s13, s24, v85
	v_cmp_gt_i32_e64 s15, s24, v71
	;; [unrolled: 1-line block ×4, first 2 shown]
	v_max3_f32 v74, v74, v75, v76
	v_cndmask_b32_e64 v77, 0xff7fffff, v92, s13
	v_cndmask_b32_e64 v71, 0xff7fffff, v91, s15
	v_cndmask_b32_e64 v72, 0xff7fffff, v90, s16
	v_cndmask_b32_e64 v73, 0xff7fffff, v89, s17
	s_delay_alu instid0(VALU_DEP_3) | instskip(SKIP_1) | instid1(VALU_DEP_2)
	v_max3_f32 v71, v74, v77, v71
	v_lshlrev_b32_e32 v74, 2, v127
	v_max3_f32 v71, v71, v72, v73
	ds_bpermute_b32 v72, v74, v71
	s_waitcnt lgkmcnt(0)
	v_max_f32_e32 v72, v72, v72
	s_delay_alu instid0(VALU_DEP_1) | instskip(NEXT) | instid1(VALU_DEP_1)
	v_max_f32_e32 v71, v71, v72
	v_fma_f32 v75, s19, v137, -v71
	v_fma_f32 v76, s19, v138, -v71
	;; [unrolled: 1-line block ×5, first 2 shown]
	s_delay_alu instid0(VALU_DEP_4) | instskip(NEXT) | instid1(VALU_DEP_4)
	v_dual_mul_f32 v75, 0x3fb8aa3b, v75 :: v_dual_mul_f32 v76, 0x3fb8aa3b, v76
	v_mul_f32_e32 v72, 0x3fb8aa3b, v72
	v_fma_f32 v77, s19, v139, -v71
	s_delay_alu instid0(VALU_DEP_4) | instskip(NEXT) | instid1(VALU_DEP_4)
	v_mul_f32_e32 v73, 0x3fb8aa3b, v73
	v_exp_f32_e32 v75, v75
	v_exp_f32_e32 v76, v76
	;; [unrolled: 1-line block ×3, first 2 shown]
	s_delay_alu instid0(VALU_DEP_1) | instskip(SKIP_2) | instid1(TRANS32_DEP_3)
	v_exp_f32_e32 v73, v73
	v_cndmask_b32_e64 v81, 0, v75, s3
	v_mul_f32_e32 v82, 0x3fb8aa3b, v80
	v_cndmask_b32_e64 v80, 0, v76, s4
	s_waitcnt_depctr 0xfff
	v_cndmask_b32_e64 v78, 0, v73, s2
	v_cmp_gt_u32_e64 s2, 16, v70
	v_exp_f32_e32 v84, v82
	s_waitcnt_depctr 0xfff
	v_cndmask_b32_e64 v85, 0, v84, s7
	v_cndmask_b32_e32 v79, 0, v72, vcc_lo
	v_fma_f32 v72, s19, v140, -v71
	v_mul_f32_e32 v77, 0x3fb8aa3b, v77
	s_delay_alu instid0(VALU_DEP_2) | instskip(NEXT) | instid1(VALU_DEP_2)
	v_dual_add_f32 v73, 0, v79 :: v_dual_mul_f32 v72, 0x3fb8aa3b, v72
	v_exp_f32_e32 v77, v77
	s_delay_alu instid0(VALU_DEP_1) | instskip(NEXT) | instid1(VALU_DEP_2)
	v_add_f32_e32 v73, v73, v78
	v_exp_f32_e32 v72, v72
	s_delay_alu instid0(VALU_DEP_1) | instskip(SKIP_4) | instid1(VALU_DEP_2)
	v_add_f32_e32 v73, v73, v81
	s_waitcnt_depctr 0xfff
	v_cndmask_b32_e64 v83, 0, v77, s5
	v_add_f32_e32 v73, v73, v80
	v_cndmask_b32_e64 v82, 0, v72, s6
	v_add_f32_e32 v72, v73, v83
	s_delay_alu instid0(VALU_DEP_1)
	v_add_f32_e32 v72, v72, v82
	v_fma_f32 v75, s19, v142, -v71
	v_fma_f32 v76, s19, v111, -v71
	;; [unrolled: 1-line block ×5, first 2 shown]
	s_delay_alu instid0(VALU_DEP_4) | instskip(NEXT) | instid1(VALU_DEP_4)
	v_dual_mul_f32 v75, 0x3fb8aa3b, v75 :: v_dual_mul_f32 v76, 0x3fb8aa3b, v76
	v_mul_f32_e32 v86, 0x3fb8aa3b, v86
	v_add_f32_e32 v72, v72, v85
	s_delay_alu instid0(VALU_DEP_3) | instskip(NEXT) | instid1(VALU_DEP_3)
	v_exp_f32_e32 v75, v75
	v_exp_f32_e32 v76, v76
	s_delay_alu instid0(VALU_DEP_2) | instskip(NEXT) | instid1(TRANS32_DEP_3)
	v_exp_f32_e32 v88, v86
	v_cndmask_b32_e64 v84, 0, v75, s8
	v_mul_f32_e32 v77, 0x3fb8aa3b, v77
	s_waitcnt_depctr 0xfff
	v_cndmask_b32_e64 v87, 0, v76, s9
	v_fma_f32 v76, s19, v116, -v71
	v_dual_mul_f32 v73, 0x3fb8aa3b, v73 :: v_dual_add_f32 v72, v72, v84
	v_exp_f32_e32 v77, v77
	v_fma_f32 v75, s19, v115, -v71
	s_delay_alu instid0(VALU_DEP_3) | instskip(NEXT) | instid1(VALU_DEP_3)
	v_mul_f32_e32 v76, 0x3fb8aa3b, v76
	v_exp_f32_e32 v73, v73
	v_add_f32_e32 v72, v72, v87
	v_cndmask_b32_e64 v88, 0, v88, s12
	s_delay_alu instid0(VALU_DEP_3) | instskip(NEXT) | instid1(TRANS32_DEP_3)
	v_exp_f32_e32 v76, v76
	v_cndmask_b32_e64 v86, 0, v77, s10
	v_mul_f32_e32 v75, 0x3fb8aa3b, v75
	v_fma_f32 v77, s19, v117, -v71
	s_delay_alu instid0(TRANS32_DEP_2) | instskip(NEXT) | instid1(VALU_DEP_4)
	v_cndmask_b32_e64 v89, 0, v73, s11
	v_add_f32_e32 v72, v72, v86
	s_delay_alu instid0(VALU_DEP_4) | instskip(NEXT) | instid1(TRANS32_DEP_2)
	v_exp_f32_e32 v75, v75
	v_cndmask_b32_e64 v90, 0, v76, s15
	s_delay_alu instid0(VALU_DEP_2) | instskip(SKIP_2) | instid1(VALU_DEP_3)
	v_add_f32_e32 v72, v72, v89
	v_mul_f32_e32 v73, 0x3fb8aa3b, v77
	v_fma_f32 v77, s19, v118, -v71
	v_add_f32_e32 v72, v72, v88
	s_delay_alu instid0(VALU_DEP_3) | instskip(NEXT) | instid1(TRANS32_DEP_2)
	v_exp_f32_e32 v73, v73
	v_cndmask_b32_e64 v91, 0, v75, s13
	s_delay_alu instid0(VALU_DEP_1) | instskip(NEXT) | instid1(VALU_DEP_1)
	v_dual_mul_f32 v75, 0x3fb8aa3b, v77 :: v_dual_add_f32 v72, v72, v91
	v_exp_f32_e32 v75, v75
	s_waitcnt_depctr 0xfff
	v_cndmask_b32_e64 v93, 0, v73, s16
	v_add_f32_e32 v72, v72, v90
	s_delay_alu instid0(VALU_DEP_1) | instskip(SKIP_1) | instid1(VALU_DEP_1)
	v_add_f32_e32 v72, v72, v93
	v_cndmask_b32_e64 v92, 0, v75, s17
	v_add_f32_e32 v72, v72, v92
	ds_bpermute_b32 v73, v74, v72
	s_and_saveexec_b32 s3, s2
	s_cbranch_execz .LBB1036_12
; %bb.11:
	v_mul_u32_u24_e32 v70, 0x44, v69
	s_waitcnt lgkmcnt(0)
	v_add_f32_e32 v72, v72, v73
	s_delay_alu instid0(VALU_DEP_2) | instskip(NEXT) | instid1(VALU_DEP_1)
	v_lshl_add_u32 v70, v68, 2, v70
	v_add_nc_u32_e32 v70, 0x4000, v70
	ds_store_2addr_b32 v70, v71, v72 offset1:136
.LBB1036_12:
	s_or_b32 exec_lo, exec_lo, s3
	v_lshlrev_b32_e32 v70, 2, v68
	s_load_b32 s35, s[0:1], 0x94
	s_waitcnt lgkmcnt(0)
	s_barrier
	buffer_gl0_inv
	v_add_nc_u32_e32 v98, 0x4000, v70
	v_cmp_eq_u32_e32 vcc_lo, 1, v69
	v_cmp_eq_u32_e64 s3, 2, v69
	v_cmp_eq_u32_e64 s4, 3, v69
	;; [unrolled: 1-line block ×3, first 2 shown]
	ds_load_2addr_b32 v[70:71], v98 offset1:17
	ds_load_2addr_b32 v[72:73], v98 offset0:34 offset1:51
	ds_load_2addr_b32 v[74:75], v98 offset0:68 offset1:85
	;; [unrolled: 1-line block ×3, first 2 shown]
	v_cmp_eq_u32_e64 s6, 5, v69
	v_cmp_eq_u32_e64 s7, 7, v69
	s_waitcnt lgkmcnt(3)
	v_max3_f32 v76, v70, 0xff7fffff, v71
	s_waitcnt lgkmcnt(2)
	s_delay_alu instid0(VALU_DEP_1) | instskip(SKIP_1) | instid1(VALU_DEP_1)
	v_max3_f32 v76, v76, v72, v73
	s_waitcnt lgkmcnt(1)
	v_max3_f32 v76, v76, v74, v75
	s_waitcnt lgkmcnt(0)
	s_delay_alu instid0(VALU_DEP_1) | instskip(NEXT) | instid1(VALU_DEP_1)
	v_max3_f32 v76, v76, v94, v95
	v_sub_f32_e32 v77, v71, v76
	ds_load_2addr_b32 v[96:97], v98 offset0:136 offset1:153
	v_sub_f32_e32 v74, v74, v76
	v_sub_f32_e32 v70, v70, v76
	;; [unrolled: 1-line block ×3, first 2 shown]
	v_dual_sub_f32 v72, v72, v76 :: v_dual_mul_f32 v77, 0x3fb8aa3b, v77
	s_delay_alu instid0(VALU_DEP_4) | instskip(NEXT) | instid1(VALU_DEP_4)
	v_mul_f32_e32 v103, 0x3fb8aa3b, v74
	v_mul_f32_e32 v99, 0x3fb8aa3b, v70
	ds_load_2addr_b32 v[70:71], v98 offset0:170 offset1:187
	v_dual_mul_f32 v101, 0x3fb8aa3b, v72 :: v_dual_mul_f32 v94, 0x3fb8aa3b, v94
	v_exp_f32_e32 v102, v77
	v_exp_f32_e32 v99, v99
	s_delay_alu instid0(VALU_DEP_1) | instskip(NEXT) | instid1(VALU_DEP_1)
	v_exp_f32_e32 v101, v101
	v_exp_f32_e32 v94, v94
	s_waitcnt lgkmcnt(1)
	s_delay_alu instid0(TRANS32_DEP_3)
	v_fma_f32 v77, v99, v96, 0
	v_sub_f32_e32 v100, v73, v76
	ds_load_2addr_b32 v[72:73], v98 offset0:204 offset1:221
	v_fmac_f32_e32 v77, v102, v97
	v_exp_f32_e32 v97, v103
	s_waitcnt lgkmcnt(1)
	s_delay_alu instid0(VALU_DEP_1)
	v_dual_fmac_f32 v77, v101, v70 :: v_dual_sub_f32 v96, v75, v76
	ds_load_2addr_b32 v[74:75], v98 offset0:238 offset1:255
	v_sub_f32_e32 v70, v95, v76
	s_waitcnt lgkmcnt(0)
	s_barrier
	v_mul_f32_e32 v96, 0x3fb8aa3b, v96
	buffer_gl0_inv
	v_exp_f32_e32 v95, v96
	v_mul_f32_e32 v100, 0x3fb8aa3b, v100
	s_delay_alu instid0(VALU_DEP_1) | instskip(SKIP_3) | instid1(VALU_DEP_2)
	v_exp_f32_e32 v100, v100
	s_waitcnt_depctr 0xfff
	v_dual_fmac_f32 v77, v100, v71 :: v_dual_mul_f32 v70, 0x3fb8aa3b, v70
	v_cndmask_b32_e32 v71, v99, v102, vcc_lo
	v_fmac_f32_e32 v77, v97, v72
	s_delay_alu instid0(VALU_DEP_3) | instskip(NEXT) | instid1(VALU_DEP_1)
	v_exp_f32_e32 v96, v70
	v_fmac_f32_e32 v77, v95, v73
	s_delay_alu instid0(VALU_DEP_1) | instskip(SKIP_2) | instid1(VALU_DEP_1)
	v_fmac_f32_e32 v77, v94, v74
	s_waitcnt_depctr 0xfff
	v_fmac_f32_e32 v77, v96, v75
	v_add_f32_e32 v74, 0x358637bd, v77
	s_delay_alu instid0(VALU_DEP_1) | instskip(SKIP_1) | instid1(VALU_DEP_2)
	v_div_scale_f32 v98, null, v74, v74, 1.0
	v_div_scale_f32 v99, vcc_lo, 1.0, v74, 1.0
	v_rcp_f32_e32 v103, v98
	s_waitcnt_depctr 0xfff
	v_fma_f32 v70, -v98, v103, 1.0
	s_delay_alu instid0(VALU_DEP_1) | instskip(SKIP_2) | instid1(VALU_DEP_2)
	v_fmac_f32_e32 v103, v70, v103
	v_cndmask_b32_e64 v70, v71, v101, s3
	v_cmp_eq_u32_e64 s3, 6, v69
	v_cndmask_b32_e64 v71, v70, v100, s4
	s_delay_alu instid0(VALU_DEP_4) | instskip(NEXT) | instid1(VALU_DEP_2)
	v_dual_mul_f32 v101, v99, v103 :: v_dual_lshlrev_b32 v70, 2, v66
	v_cndmask_b32_e64 v71, v71, v97, s5
	s_delay_alu instid0(VALU_DEP_2) | instskip(NEXT) | instid1(VALU_DEP_3)
	v_or_b32_e32 v72, 1, v70
	v_fma_f32 v100, -v98, v101, v99
	v_cmp_eq_u32_e64 s4, 1, v70
	v_cmp_eq_u32_e64 s5, 2, v70
	v_cndmask_b32_e64 v95, v71, v95, s6
	v_or_b32_e32 v71, 3, v70
	v_fmac_f32_e32 v101, v100, v103
	v_cmp_eq_u32_e64 s9, 1, v72
	v_cmp_eq_u32_e64 s12, 2, v72
	v_cndmask_b32_e64 v94, v95, v94, s3
	v_cmp_eq_u32_e64 s11, 1, v71
	v_fma_f32 v97, -v98, v101, v99
	v_cmp_eq_u32_e64 s16, 2, v71
	v_cmp_eq_u32_e64 s13, 3, v72
	v_cndmask_b32_e64 v94, v94, v96, s7
	v_cmp_eq_u32_e64 s18, 3, v71
	v_div_fmas_f32 v95, v97, v103, v101
	v_cmp_eq_u32_e32 vcc_lo, 3, v70
	v_cmp_eq_u32_e64 s3, 4, v70
	v_cmp_eq_u32_e64 s19, 4, v72
	;; [unrolled: 1-line block ×3, first 2 shown]
	v_div_fixup_f32 v95, v95, v74, 1.0
	v_lshlrev_b32_e32 v73, 6, v68
	v_cmp_eq_u32_e64 s6, 5, v70
	v_cmp_eq_u32_e64 s20, 5, v72
	;; [unrolled: 1-line block ×3, first 2 shown]
	v_mul_f32_e32 v102, v94, v95
	v_lshl_or_b32 v75, v69, 11, v73
	v_or_b32_e32 v69, 2, v70
	v_cmp_eq_u32_e64 s25, 6, v72
	v_cmp_eq_u32_e64 s27, 6, v71
	v_fma_mixlo_f16 v94, v102, v79, 0
	v_fma_mixlo_f16 v95, v102, v81, 0
	;; [unrolled: 1-line block ×8, first 2 shown]
	v_lshl_or_b32 v74, v66, 4, v75
	v_fma_mixhi_f16 v94, v102, v78, 0
	v_fma_mixhi_f16 v95, v102, v80, 0
	;; [unrolled: 1-line block ×8, first 2 shown]
	ds_store_b128 v74, v[94:97]
	ds_store_b128 v74, v[98:101] offset:1024
	s_waitcnt lgkmcnt(0)
	s_barrier
	buffer_gl0_inv
	ds_load_b128 v[78:81], v75
	ds_load_b128 v[82:85], v75 offset:16
	ds_load_b128 v[86:89], v75 offset:1024
	;; [unrolled: 1-line block ×3, first 2 shown]
	v_cmp_eq_u32_e64 s10, 1, v69
	v_cmp_eq_u32_e64 s15, 2, v69
	;; [unrolled: 1-line block ×11, first 2 shown]
	s_waitcnt lgkmcnt(3)
	v_lshrrev_b32_e32 v94, 16, v78
	s_waitcnt lgkmcnt(2)
	v_lshrrev_b32_e32 v98, 16, v82
	s_waitcnt lgkmcnt(1)
	v_lshrrev_b32_e32 v102, 16, v86
	s_waitcnt lgkmcnt(0)
	v_lshrrev_b32_e32 v106, 16, v90
	v_lshrrev_b32_e32 v95, 16, v79
	v_cndmask_b32_e64 v110, v78, v94, s4
	v_cndmask_b32_e64 v111, v82, v98, s4
	;; [unrolled: 1-line block ×8, first 2 shown]
	v_lshrrev_b32_e32 v99, 16, v83
	v_cndmask_b32_e64 v94, v86, v102, s4
	v_cndmask_b32_e64 v98, v90, v106, s4
	;; [unrolled: 1-line block ×15, first 2 shown]
	v_lshrrev_b32_e32 v103, 16, v87
	v_lshrrev_b32_e32 v107, 16, v91
	v_cndmask_b32_e64 v113, v115, v83, s15
	v_cndmask_b32_e64 v82, v94, v87, s5
	;; [unrolled: 1-line block ×7, first 2 shown]
	v_cndmask_b32_e32 v90, v102, v95, vcc_lo
	v_cndmask_b32_e32 v102, v106, v99, vcc_lo
	v_cndmask_b32_e64 v106, v110, v95, s13
	v_cndmask_b32_e64 v110, v111, v99, s13
	;; [unrolled: 1-line block ×4, first 2 shown]
	v_lshrrev_b32_e32 v96, 16, v80
	v_lshrrev_b32_e32 v100, 16, v84
	v_cndmask_b32_e64 v111, v112, v95, s17
	v_cndmask_b32_e64 v112, v113, v99, s17
	v_cndmask_b32_e32 v82, v82, v103, vcc_lo
	v_cndmask_b32_e32 v83, v83, v107, vcc_lo
	v_cndmask_b32_e64 v94, v94, v103, s13
	v_cndmask_b32_e64 v90, v90, v80, s3
	v_cndmask_b32_e64 v95, v102, v84, s3
	v_cndmask_b32_e64 v99, v106, v80, s19
	v_cndmask_b32_e64 v102, v110, v84, s19
	v_cndmask_b32_e64 v78, v78, v80, s22
	v_cndmask_b32_e64 v79, v79, v84, s22
	v_lshrrev_b32_e32 v104, 16, v88
	v_cndmask_b32_e64 v106, v111, v80, s21
	v_cndmask_b32_e64 v110, v112, v84, s21
	;; [unrolled: 1-line block ×11, first 2 shown]
	v_lshrrev_b32_e32 v97, 16, v81
	v_lshrrev_b32_e32 v101, 16, v85
	v_cndmask_b32_e64 v99, v106, v96, s23
	v_cndmask_b32_e64 v102, v110, v100, s23
	;; [unrolled: 1-line block ×7, first 2 shown]
	v_lshrrev_b32_e32 v105, 16, v89
	v_cndmask_b32_e64 v80, v80, v104, s6
	v_cndmask_b32_e64 v84, v84, v81, s7
	;; [unrolled: 1-line block ×16, first 2 shown]
	v_perm_b32 v81, v79, v78, 0x5040100
	v_perm_b32 v79, v95, v85, 0x5040100
	v_cndmask_b32_e64 v78, v119, v91, s15
	v_cndmask_b32_e64 v85, v117, v91, s12
	;; [unrolled: 1-line block ×3, first 2 shown]
	v_perm_b32 v80, v94, v90, 0x5040100
	v_cndmask_b32_e64 v90, v98, v103, s17
	v_cndmask_b32_e64 v86, v86, v103, s18
	;; [unrolled: 1-line block ×5, first 2 shown]
	v_lshrrev_b32_e32 v108, 16, v92
	v_cndmask_b32_e64 v90, v90, v88, s21
	v_cndmask_b32_e64 v86, v86, v88, s22
	;; [unrolled: 1-line block ×11, first 2 shown]
	v_lshrrev_b32_e32 v109, 16, v93
	v_cndmask_b32_e64 v82, v82, v93, s7
	v_cndmask_b32_e64 v88, v88, v89, s26
	;; [unrolled: 1-line block ×12, first 2 shown]
	v_perm_b32 v78, v84, v83, 0x5040100
	v_perm_b32 v85, v87, v86, 0x5040100
	;; [unrolled: 1-line block ×5, first 2 shown]
	s_mul_i32 s8, s33, 7
	s_mov_b32 s3, exec_lo
	ds_store_b128 v74, v[78:81]
	ds_store_b128 v74, v[82:85] offset:1024
	v_cmpx_gt_u32_e32 7, v0
	s_cbranch_execz .LBB1036_14
; %bb.13:
	s_mul_i32 s4, s8, s34
	s_delay_alu instid0(SALU_CYCLE_1) | instskip(SKIP_1) | instid1(VALU_DEP_1)
	v_add3_u32 v68, s4, s31, v68
	s_load_b128 s[4:7], s[0:1], 0x58
	v_mad_u64_u32 v[78:79], null, v68, s35, s[14:15]
	s_delay_alu instid0(VALU_DEP_1) | instskip(NEXT) | instid1(VALU_DEP_1)
	v_ashrrev_i32_e32 v79, 31, v78
	v_lshlrev_b64 v[78:79], 2, v[78:79]
	s_waitcnt lgkmcnt(0)
	s_delay_alu instid0(VALU_DEP_1) | instskip(NEXT) | instid1(VALU_DEP_2)
	v_add_co_u32 v80, vcc_lo, s6, v78
	v_add_co_ci_u32_e32 v81, vcc_lo, s7, v79, vcc_lo
	v_add_co_u32 v78, vcc_lo, s4, v78
	v_add_co_ci_u32_e32 v79, vcc_lo, s5, v79, vcc_lo
	global_store_b32 v[80:81], v76, off
	global_store_b32 v[78:79], v77, off
.LBB1036_14:
	s_or_b32 exec_lo, exec_lo, s3
	s_waitcnt lgkmcnt(0)
	s_waitcnt_vscnt null, 0x0
	s_barrier
	buffer_gl0_inv
	ds_load_b128 v[84:87], v73
	ds_load_b128 v[88:91], v73 offset:16
	ds_load_b128 v[96:99], v73 offset:2064
	ds_load_b128 v[92:95], v73 offset:2048
	ds_load_b128 v[104:107], v73 offset:4112
	ds_load_b128 v[100:103], v73 offset:4096
	v_cmp_eq_u32_e32 vcc_lo, 1, v70
	v_mov_b32_e32 v76, 0
	ds_load_b128 v[112:115], v73 offset:6160
	ds_load_b128 v[108:111], v73 offset:6144
	;; [unrolled: 1-line block ×4, first 2 shown]
	v_cmp_eq_u32_e64 s4, 1, v69
	v_cmp_eq_u32_e64 s3, 1, v72
	;; [unrolled: 1-line block ×3, first 2 shown]
	v_mov_b32_e32 v77, v76
	v_mov_b32_e32 v78, v76
	v_mov_b32_e32 v79, v76
	v_mov_b32_e32 v80, v76
	v_mov_b32_e32 v81, v76
	v_mov_b32_e32 v82, v76
	v_mov_b32_e32 v83, v76
	v_cmp_eq_u32_e64 s6, 3, v72
	v_cmp_eq_u32_e64 s7, 7, v72
	s_waitcnt lgkmcnt(8)
	s_delay_alu instid0(VALU_DEP_3)
	v_wmma_f32_16x16x16_f16 v[76:83], v[49:56], v[84:91], v[76:83]
	ds_load_b128 v[53:56], v73 offset:10256
	ds_load_b128 v[49:52], v73 offset:10240
	s_waitcnt lgkmcnt(8)
	v_wmma_f32_16x16x16_f16 v[76:83], v[41:48], v[92:99], v[76:83]
	ds_load_b128 v[45:48], v73 offset:12304
	ds_load_b128 v[41:44], v73 offset:12288
	s_waitcnt lgkmcnt(8)
	;; [unrolled: 4-line block ×3, first 2 shown]
	s_barrier
	buffer_gl0_inv
	v_wmma_f32_16x16x16_f16 v[76:83], v[1:8], v[108:115], v[76:83]
	s_delay_alu instid0(VALU_DEP_1) | instskip(NEXT) | instid1(VALU_DEP_1)
	v_wmma_f32_16x16x16_f16 v[76:83], v[9:16], v[116:123], v[76:83]
	v_wmma_f32_16x16x16_f16 v[76:83], v[17:24], v[49:56], v[76:83]
	s_delay_alu instid0(VALU_DEP_1) | instskip(NEXT) | instid1(VALU_DEP_1)
	v_wmma_f32_16x16x16_f16 v[76:83], v[25:32], v[41:48], v[76:83]
	v_wmma_f32_16x16x16_f16 v[76:83], v[57:64], v[33:40], v[76:83]
	s_delay_alu instid0(VALU_DEP_1) | instskip(NEXT) | instid1(VALU_DEP_2)
	v_cvt_f16_f32_e32 v1, v76
	v_cvt_f16_f32_e32 v2, v77
	s_delay_alu instid0(VALU_DEP_3) | instskip(NEXT) | instid1(VALU_DEP_4)
	v_cvt_f16_f32_e32 v3, v78
	v_cvt_f16_f32_e32 v4, v79
	;; [unrolled: 1-line block ×6, first 2 shown]
	v_pack_b32_f16 v1, v1, v2
	v_pack_b32_f16 v2, v3, v4
	;; [unrolled: 1-line block ×3, first 2 shown]
	s_delay_alu instid0(VALU_DEP_4)
	v_pack_b32_f16 v4, v7, v8
	ds_store_b128 v74, v[1:4]
	s_waitcnt lgkmcnt(0)
	s_barrier
	buffer_gl0_inv
	ds_load_b128 v[1:4], v75
	ds_load_b128 v[5:8], v75 offset:16
	s_waitcnt lgkmcnt(1)
	v_lshrrev_b32_e32 v9, 16, v1
	s_waitcnt lgkmcnt(0)
	v_lshrrev_b32_e32 v13, 16, v5
	v_lshrrev_b32_e32 v10, 16, v2
	;; [unrolled: 1-line block ×4, first 2 shown]
	v_cndmask_b32_e32 v17, v1, v9, vcc_lo
	v_cndmask_b32_e32 v18, v5, v13, vcc_lo
	v_cndmask_b32_e64 v21, v1, v9, s4
	v_cmp_eq_u32_e32 vcc_lo, 1, v71
	v_cndmask_b32_e64 v22, v5, v13, s4
	v_cmp_eq_u32_e64 s4, 2, v70
	v_cndmask_b32_e64 v19, v1, v9, s3
	v_cndmask_b32_e64 v20, v5, v13, s3
	v_cndmask_b32_e32 v1, v1, v9, vcc_lo
	v_cmp_eq_u32_e64 s3, 2, v71
	v_cndmask_b32_e32 v5, v5, v13, vcc_lo
	v_cndmask_b32_e64 v9, v17, v2, s4
	v_cmp_eq_u32_e32 vcc_lo, 3, v70
	v_cndmask_b32_e64 v13, v18, v6, s4
	v_cmp_eq_u32_e64 s4, 2, v69
	v_cndmask_b32_e64 v17, v19, v2, s5
	v_cndmask_b32_e64 v18, v20, v6, s5
	v_cmp_eq_u32_e64 s5, 3, v69
	v_cndmask_b32_e64 v1, v1, v2, s3
	v_cndmask_b32_e64 v19, v21, v2, s4
	v_cndmask_b32_e64 v20, v22, v6, s4
	v_cndmask_b32_e64 v2, v5, v6, s3
	v_cndmask_b32_e32 v5, v9, v10, vcc_lo
	v_cndmask_b32_e32 v6, v13, v14, vcc_lo
	v_cmp_eq_u32_e32 vcc_lo, 3, v71
	v_cndmask_b32_e64 v9, v17, v10, s6
	v_cndmask_b32_e64 v13, v18, v14, s6
	;; [unrolled: 1-line block ×3, first 2 shown]
	v_cmp_eq_u32_e64 s4, 4, v70
	v_cndmask_b32_e32 v1, v1, v10, vcc_lo
	v_cndmask_b32_e32 v2, v2, v14, vcc_lo
	v_cmp_eq_u32_e32 vcc_lo, 4, v72
	v_lshrrev_b32_e32 v15, 16, v7
	v_lshrrev_b32_e32 v16, 16, v8
	v_cndmask_b32_e64 v17, v19, v10, s5
	v_cmp_eq_u32_e64 s3, 4, v71
	v_cndmask_b32_e64 v5, v5, v3, s4
	v_cndmask_b32_e64 v6, v6, v7, s4
	v_cndmask_b32_e32 v9, v9, v3, vcc_lo
	v_cmp_eq_u32_e64 s4, 5, v72
	v_cndmask_b32_e32 v10, v13, v7, vcc_lo
	v_cmp_eq_u32_e32 vcc_lo, 4, v69
	v_cmp_eq_u32_e64 s5, 5, v70
	v_cndmask_b32_e64 v2, v2, v7, s3
	v_cndmask_b32_e64 v9, v9, v11, s4
	v_cndmask_b32_e64 v10, v10, v15, s4
	v_cndmask_b32_e32 v13, v17, v3, vcc_lo
	v_cmp_eq_u32_e64 s4, 5, v69
	v_cndmask_b32_e32 v14, v18, v7, vcc_lo
	v_cndmask_b32_e64 v1, v1, v3, s3
	v_cmp_eq_u32_e32 vcc_lo, 5, v71
	v_lshrrev_b32_e32 v12, 16, v4
	v_cndmask_b32_e64 v13, v13, v11, s4
	v_cndmask_b32_e64 v3, v14, v15, s4
	v_cmp_eq_u32_e64 s4, 6, v71
	v_cndmask_b32_e32 v1, v1, v11, vcc_lo
	v_cndmask_b32_e64 v5, v5, v11, s5
	v_cmp_eq_u32_e64 s6, 6, v70
	v_cndmask_b32_e64 v6, v6, v15, s5
	v_cmp_eq_u32_e64 s5, 6, v72
	v_cmp_eq_u32_e64 s3, 6, v69
	v_cndmask_b32_e64 v1, v1, v4, s4
	v_cndmask_b32_e32 v2, v2, v15, vcc_lo
	v_cmp_eq_u32_e32 vcc_lo, 7, v71
	v_cndmask_b32_e64 v5, v5, v4, s6
	v_cndmask_b32_e64 v9, v9, v4, s5
	v_cndmask_b32_e64 v6, v6, v8, s6
	v_cmp_eq_u32_e64 s6, 7, v70
	v_cndmask_b32_e32 v1, v1, v12, vcc_lo
	v_cndmask_b32_e64 v7, v13, v4, s3
	v_cndmask_b32_e64 v3, v3, v8, s3
	;; [unrolled: 1-line block ×3, first 2 shown]
	v_cmp_eq_u32_e64 s3, 7, v69
	v_cndmask_b32_e64 v4, v10, v8, s5
	v_cndmask_b32_e64 v5, v5, v12, s6
	;; [unrolled: 1-line block ×3, first 2 shown]
	v_cndmask_b32_e32 v2, v2, v16, vcc_lo
	v_cndmask_b32_e64 v7, v7, v12, s3
	v_cndmask_b32_e64 v3, v3, v16, s3
	;; [unrolled: 1-line block ×4, first 2 shown]
	v_perm_b32 v4, v2, v1, 0x5040100
	s_mov_b32 s3, exec_lo
	v_perm_b32 v3, v3, v7, 0x5040100
	v_perm_b32 v2, v8, v9, 0x5040100
	;; [unrolled: 1-line block ×3, first 2 shown]
	ds_store_b128 v74, v[1:4]
	s_waitcnt lgkmcnt(0)
	s_barrier
	buffer_gl0_inv
	v_cmpx_gt_u32_e32 32, v0
	s_cbranch_execz .LBB1036_2
; %bb.15:
	s_load_b64 s[4:5], s[0:1], 0x68
	v_lshlrev_b32_e32 v0, 10, v0
	v_add_nc_u32_e32 v2, s31, v66
	v_lshlrev_b32_e32 v3, 4, v67
	s_lshl_b32 s0, s35, 7
	s_delay_alu instid0(SALU_CYCLE_1) | instskip(NEXT) | instid1(VALU_DEP_2)
	s_mul_i32 s1, s0, s34
	v_mul_lo_u32 v1, v2, s0
	s_delay_alu instid0(VALU_DEP_2)
	v_and_or_b32 v0, 0x3800, v0, v3
	v_add_nc_u32_e32 v3, 2, v2
	s_mul_i32 s6, s1, s8
	v_add_nc_u32_e32 v4, 4, v2
	s_ashr_i32 s7, s6, 31
	v_lshl_or_b32 v11, v66, 6, v0
	s_lshl_b64 s[6:7], s[6:7], 1
	v_mul_lo_u32 v15, v3, s0
	v_mul_lo_u32 v17, v4, s0
	v_ashrrev_i32_e32 v2, 31, v1
	ds_load_b128 v[3:6], v11
	ds_load_b128 v[7:10], v11 offset:128
	ds_load_b128 v[11:14], v11 offset:256
	s_waitcnt lgkmcnt(0)
	s_add_u32 s1, s4, s6
	s_addc_u32 s3, s5, s7
	s_lshl_b32 s4, s14, 7
	v_ashrrev_i32_e32 v16, 31, v15
	s_ashr_i32 s5, s4, 31
	v_lshlrev_b64 v[19:20], 1, v[1:2]
	s_lshl_b64 s[4:5], s[4:5], 1
	v_ashrrev_i32_e32 v18, 31, v17
	s_add_u32 s1, s1, s4
	s_addc_u32 s3, s3, s5
	v_add_co_u32 v1, s1, s1, v65
	s_delay_alu instid0(VALU_DEP_1) | instskip(SKIP_1) | instid1(VALU_DEP_3)
	v_add_co_ci_u32_e64 v2, null, s3, 0, s1
	v_lshlrev_b64 v[15:16], 1, v[15:16]
	v_add_co_u32 v19, vcc_lo, v1, v19
	v_lshlrev_b64 v[17:18], 1, v[17:18]
	s_delay_alu instid0(VALU_DEP_4) | instskip(NEXT) | instid1(VALU_DEP_4)
	v_add_co_ci_u32_e32 v20, vcc_lo, v2, v20, vcc_lo
	v_add_co_u32 v15, vcc_lo, v1, v15
	v_add_co_ci_u32_e32 v16, vcc_lo, v2, v16, vcc_lo
	s_delay_alu instid0(VALU_DEP_4)
	v_add_co_u32 v17, vcc_lo, v1, v17
	v_add_co_ci_u32_e32 v18, vcc_lo, v2, v18, vcc_lo
	s_clause 0x2
	global_store_b128 v[19:20], v[3:6], off
	global_store_b128 v[15:16], v[7:10], off
	;; [unrolled: 1-line block ×3, first 2 shown]
	s_and_b32 exec_lo, exec_lo, s2
	s_cbranch_execz .LBB1036_2
; %bb.16:
	ds_load_b128 v[3:6], v0 offset:384
	s_add_i32 s1, s31, 6
	s_delay_alu instid0(SALU_CYCLE_1) | instskip(NEXT) | instid1(SALU_CYCLE_1)
	s_mul_i32 s0, s1, s0
	s_ashr_i32 s1, s0, 31
	s_delay_alu instid0(SALU_CYCLE_1) | instskip(NEXT) | instid1(SALU_CYCLE_1)
	s_lshl_b64 s[0:1], s[0:1], 1
	v_add_co_u32 v0, vcc_lo, v1, s0
	v_add_co_ci_u32_e32 v1, vcc_lo, s1, v2, vcc_lo
	s_waitcnt lgkmcnt(0)
	global_store_b128 v[0:1], v[3:6], off
	s_nop 0
	s_sendmsg sendmsg(MSG_DEALLOC_VGPRS)
	s_endpgm
	.section	.rodata,"a",@progbits
	.p2align	6, 0x0
	.amdhsa_kernel _Z39paged_attention_ll4mi_QKV_mfma16_kernelIDF16_hLN4vllm18Fp8KVCacheDataTypeE1EhLi32ELi128ELi256ELb0ELi7EL8MFMAType1EEvPKT_PKT0_S8_ifPKiSA_SA_iPKfiiiPfSD_PS3_PT2_iSC_SC_
		.amdhsa_group_segment_fixed_size 17472
		.amdhsa_private_segment_fixed_size 0
		.amdhsa_kernarg_size 400
		.amdhsa_user_sgpr_count 13
		.amdhsa_user_sgpr_dispatch_ptr 0
		.amdhsa_user_sgpr_queue_ptr 0
		.amdhsa_user_sgpr_kernarg_segment_ptr 1
		.amdhsa_user_sgpr_dispatch_id 0
		.amdhsa_user_sgpr_private_segment_size 0
		.amdhsa_wavefront_size32 1
		.amdhsa_uses_dynamic_stack 0
		.amdhsa_enable_private_segment 0
		.amdhsa_system_sgpr_workgroup_id_x 1
		.amdhsa_system_sgpr_workgroup_id_y 1
		.amdhsa_system_sgpr_workgroup_id_z 1
		.amdhsa_system_sgpr_workgroup_info 0
		.amdhsa_system_vgpr_workitem_id 0
		.amdhsa_next_free_vgpr 150
		.amdhsa_next_free_sgpr 37
		.amdhsa_reserve_vcc 1
		.amdhsa_float_round_mode_32 0
		.amdhsa_float_round_mode_16_64 0
		.amdhsa_float_denorm_mode_32 3
		.amdhsa_float_denorm_mode_16_64 3
		.amdhsa_dx10_clamp 1
		.amdhsa_ieee_mode 1
		.amdhsa_fp16_overflow 0
		.amdhsa_workgroup_processor_mode 1
		.amdhsa_memory_ordered 1
		.amdhsa_forward_progress 0
		.amdhsa_shared_vgpr_count 0
		.amdhsa_exception_fp_ieee_invalid_op 0
		.amdhsa_exception_fp_denorm_src 0
		.amdhsa_exception_fp_ieee_div_zero 0
		.amdhsa_exception_fp_ieee_overflow 0
		.amdhsa_exception_fp_ieee_underflow 0
		.amdhsa_exception_fp_ieee_inexact 0
		.amdhsa_exception_int_div_zero 0
	.end_amdhsa_kernel
	.section	.text._Z39paged_attention_ll4mi_QKV_mfma16_kernelIDF16_hLN4vllm18Fp8KVCacheDataTypeE1EhLi32ELi128ELi256ELb0ELi7EL8MFMAType1EEvPKT_PKT0_S8_ifPKiSA_SA_iPKfiiiPfSD_PS3_PT2_iSC_SC_,"axG",@progbits,_Z39paged_attention_ll4mi_QKV_mfma16_kernelIDF16_hLN4vllm18Fp8KVCacheDataTypeE1EhLi32ELi128ELi256ELb0ELi7EL8MFMAType1EEvPKT_PKT0_S8_ifPKiSA_SA_iPKfiiiPfSD_PS3_PT2_iSC_SC_,comdat
.Lfunc_end1036:
	.size	_Z39paged_attention_ll4mi_QKV_mfma16_kernelIDF16_hLN4vllm18Fp8KVCacheDataTypeE1EhLi32ELi128ELi256ELb0ELi7EL8MFMAType1EEvPKT_PKT0_S8_ifPKiSA_SA_iPKfiiiPfSD_PS3_PT2_iSC_SC_, .Lfunc_end1036-_Z39paged_attention_ll4mi_QKV_mfma16_kernelIDF16_hLN4vllm18Fp8KVCacheDataTypeE1EhLi32ELi128ELi256ELb0ELi7EL8MFMAType1EEvPKT_PKT0_S8_ifPKiSA_SA_iPKfiiiPfSD_PS3_PT2_iSC_SC_
                                        ; -- End function
	.section	.AMDGPU.csdata,"",@progbits
; Kernel info:
; codeLenInByte = 6708
; NumSgprs: 39
; NumVgprs: 150
; ScratchSize: 0
; MemoryBound: 0
; FloatMode: 240
; IeeeMode: 1
; LDSByteSize: 17472 bytes/workgroup (compile time only)
; SGPRBlocks: 4
; VGPRBlocks: 18
; NumSGPRsForWavesPerEU: 39
; NumVGPRsForWavesPerEU: 150
; Occupancy: 9
; WaveLimiterHint : 1
; COMPUTE_PGM_RSRC2:SCRATCH_EN: 0
; COMPUTE_PGM_RSRC2:USER_SGPR: 13
; COMPUTE_PGM_RSRC2:TRAP_HANDLER: 0
; COMPUTE_PGM_RSRC2:TGID_X_EN: 1
; COMPUTE_PGM_RSRC2:TGID_Y_EN: 1
; COMPUTE_PGM_RSRC2:TGID_Z_EN: 1
; COMPUTE_PGM_RSRC2:TIDIG_COMP_CNT: 0
	.section	.text._Z39paged_attention_ll4mi_QKV_mfma16_kernelIDF16_hLN4vllm18Fp8KVCacheDataTypeE1EhLi32ELi128ELi256ELb0ELi8EL8MFMAType1EEvPKT_PKT0_S8_ifPKiSA_SA_iPKfiiiPfSD_PS3_PT2_iSC_SC_,"axG",@progbits,_Z39paged_attention_ll4mi_QKV_mfma16_kernelIDF16_hLN4vllm18Fp8KVCacheDataTypeE1EhLi32ELi128ELi256ELb0ELi8EL8MFMAType1EEvPKT_PKT0_S8_ifPKiSA_SA_iPKfiiiPfSD_PS3_PT2_iSC_SC_,comdat
	.protected	_Z39paged_attention_ll4mi_QKV_mfma16_kernelIDF16_hLN4vllm18Fp8KVCacheDataTypeE1EhLi32ELi128ELi256ELb0ELi8EL8MFMAType1EEvPKT_PKT0_S8_ifPKiSA_SA_iPKfiiiPfSD_PS3_PT2_iSC_SC_ ; -- Begin function _Z39paged_attention_ll4mi_QKV_mfma16_kernelIDF16_hLN4vllm18Fp8KVCacheDataTypeE1EhLi32ELi128ELi256ELb0ELi8EL8MFMAType1EEvPKT_PKT0_S8_ifPKiSA_SA_iPKfiiiPfSD_PS3_PT2_iSC_SC_
	.globl	_Z39paged_attention_ll4mi_QKV_mfma16_kernelIDF16_hLN4vllm18Fp8KVCacheDataTypeE1EhLi32ELi128ELi256ELb0ELi8EL8MFMAType1EEvPKT_PKT0_S8_ifPKiSA_SA_iPKfiiiPfSD_PS3_PT2_iSC_SC_
	.p2align	8
	.type	_Z39paged_attention_ll4mi_QKV_mfma16_kernelIDF16_hLN4vllm18Fp8KVCacheDataTypeE1EhLi32ELi128ELi256ELb0ELi8EL8MFMAType1EEvPKT_PKT0_S8_ifPKiSA_SA_iPKfiiiPfSD_PS3_PT2_iSC_SC_,@function
_Z39paged_attention_ll4mi_QKV_mfma16_kernelIDF16_hLN4vllm18Fp8KVCacheDataTypeE1EhLi32ELi128ELi256ELb0ELi8EL8MFMAType1EEvPKT_PKT0_S8_ifPKiSA_SA_iPKfiiiPfSD_PS3_PT2_iSC_SC_: ; @_Z39paged_attention_ll4mi_QKV_mfma16_kernelIDF16_hLN4vllm18Fp8KVCacheDataTypeE1EhLi32ELi128ELi256ELb0ELi8EL8MFMAType1EEvPKT_PKT0_S8_ifPKiSA_SA_iPKfiiiPfSD_PS3_PT2_iSC_SC_
; %bb.0:
	s_load_b64 s[4:5], s[0:1], 0x30
	s_mov_b32 s30, s13
	s_waitcnt lgkmcnt(0)
	s_cmp_lg_u64 s[4:5], 0
	s_cselect_b32 s13, -1, 0
	s_ashr_i32 s31, s30, 31
	s_cmp_eq_u64 s[4:5], 0
	s_cbranch_scc1 .LBB1037_3
; %bb.1:
	s_lshl_b64 s[2:3], s[30:31], 2
	s_delay_alu instid0(SALU_CYCLE_1) | instskip(SKIP_4) | instid1(SALU_CYCLE_1)
	s_add_u32 s2, s4, s2
	s_addc_u32 s3, s5, s3
	s_load_b64 s[2:3], s[2:3], 0x0
	s_waitcnt lgkmcnt(0)
	s_sub_i32 s2, s3, s2
	s_cmp_eq_u32 s2, 1
	s_cselect_b32 s2, -1, 0
	s_delay_alu instid0(SALU_CYCLE_1)
	s_and_not1_b32 vcc_lo, exec_lo, s2
	s_cbranch_vccz .LBB1037_4
.LBB1037_2:
	s_endpgm
.LBB1037_3:
.LBB1037_4:
	s_load_b64 s[2:3], s[0:1], 0x28
	s_lshl_b64 s[6:7], s[30:31], 2
	s_waitcnt lgkmcnt(0)
	s_add_u32 s2, s2, s6
	s_addc_u32 s3, s3, s7
	s_lshl_b32 s12, s14, 8
	s_load_b32 s17, s[2:3], 0x0
	s_waitcnt lgkmcnt(0)
	s_cmp_ge_i32 s12, s17
	s_cbranch_scc1 .LBB1037_2
; %bb.5:
	s_clause 0x1
	s_load_b128 s[8:11], s[0:1], 0x8
	s_load_b64 s[2:3], s[0:1], 0x20
	s_and_not1_b32 vcc_lo, exec_lo, s13
	s_cbranch_vccnz .LBB1037_7
; %bb.6:
	s_add_u32 s4, s4, s6
	s_addc_u32 s5, s5, s7
	s_load_b32 s13, s[4:5], 0x0
	s_branch .LBB1037_8
.LBB1037_7:
	s_mov_b32 s13, s30
.LBB1037_8:
	s_load_b128 s[4:7], s[0:1], 0x48
	v_and_b32_e32 v69, 15, v0
	v_lshrrev_b32_e32 v68, 5, v0
	v_and_b32_e32 v70, 31, v0
	v_and_b32_e32 v67, 1, v0
	v_bfe_u32 v66, v0, 4, 1
	v_lshlrev_b32_e32 v1, 3, v69
	s_lshl_b32 s31, s15, 3
	s_waitcnt lgkmcnt(0)
	s_mov_b32 s7, exec_lo
	s_delay_alu instid0(VALU_DEP_1)
	v_lshlrev_b32_e32 v65, 1, v1
	v_cmpx_gt_u32_e32 0x80, v0
	s_cbranch_execz .LBB1037_10
; %bb.9:
	v_lshl_or_b32 v5, v68, 1, v66
	s_load_b64 s[18:19], s[0:1], 0x0
	s_mul_hi_i32 s21, s13, s4
	s_mul_i32 s20, s13, s4
	v_lshlrev_b32_e32 v6, 10, v69
	v_or_b32_e32 v1, s31, v5
	s_lshl_b64 s[20:21], s[20:21], 1
	v_lshlrev_b32_e32 v5, 6, v5
	v_lshlrev_b32_e32 v7, 10, v67
	v_and_b32_e32 v6, 0x3800, v6
	v_lshlrev_b32_e32 v1, 7, v1
	s_delay_alu instid0(VALU_DEP_2) | instskip(NEXT) | instid1(VALU_DEP_2)
	v_or3_b32 v5, v6, v7, v5
	v_ashrrev_i32_e32 v2, 31, v1
	s_delay_alu instid0(VALU_DEP_1) | instskip(SKIP_3) | instid1(VALU_DEP_1)
	v_lshlrev_b64 v[1:2], 1, v[1:2]
	s_waitcnt lgkmcnt(0)
	s_add_u32 s4, s18, s20
	s_addc_u32 s13, s19, s21
	v_add_co_u32 v1, vcc_lo, s4, v1
	s_delay_alu instid0(VALU_DEP_2) | instskip(NEXT) | instid1(VALU_DEP_2)
	v_add_co_ci_u32_e32 v2, vcc_lo, s13, v2, vcc_lo
	v_add_co_u32 v1, vcc_lo, v1, v65
	s_delay_alu instid0(VALU_DEP_2)
	v_add_co_ci_u32_e32 v2, vcc_lo, 0, v2, vcc_lo
	global_load_b128 v[1:4], v[1:2], off
	s_waitcnt vmcnt(0)
	ds_store_b128 v5, v[1:4]
.LBB1037_10:
	s_or_b32 exec_lo, exec_lo, s7
	v_and_b32_e32 v1, 0xef, v0
	s_add_i32 s4, s17, 31
	s_clause 0x1
	s_load_b32 s7, s[0:1], 0x38
	s_load_b32 s33, s[0:1], 0x98
	s_ashr_i32 s13, s4, 31
	v_add_nc_u32_e32 v1, s12, v1
	s_lshr_b32 s13, s13, 27
	s_load_b32 s18, s[0:1], 0x1c
	s_add_i32 s4, s4, s13
	s_waitcnt lgkmcnt(0)
	v_ashrrev_i32_e32 v2, 31, v1
	v_or_b32_e32 v3, 16, v1
	s_ashr_i32 s4, s4, 5
	v_cmp_gt_i32_e32 vcc_lo, s17, v1
	s_add_i32 s4, s4, -1
	v_lshrrev_b32_e32 v2, 27, v2
	s_barrier
	buffer_gl0_inv
	s_mul_i32 s15, s15, s6
	v_add_nc_u32_e32 v4, v1, v2
	s_mul_i32 s20, s30, s7
	s_delay_alu instid0(SALU_CYCLE_1) | instskip(NEXT) | instid1(VALU_DEP_1)
	s_ashr_i32 s21, s20, 31
	v_ashrrev_i32_e32 v4, 5, v4
	v_add_nc_u32_e32 v2, v3, v2
	s_lshl_b64 s[20:21], s[20:21], 2
	s_delay_alu instid0(SALU_CYCLE_1) | instskip(NEXT) | instid1(VALU_DEP_2)
	s_add_u32 s13, s2, s20
	v_cndmask_b32_e32 v1, s4, v4, vcc_lo
	s_delay_alu instid0(VALU_DEP_2)
	v_ashrrev_i32_e32 v2, 5, v2
	v_cmp_gt_i32_e32 vcc_lo, s17, v3
	s_addc_u32 s16, s3, s21
	s_ashr_i32 s19, s15, 31
	s_add_u32 s2, s8, s15
	s_addc_u32 s3, s9, s19
	v_cndmask_b32_e32 v3, s4, v2, vcc_lo
	v_ashrrev_i32_e32 v2, 31, v1
	s_lshl_b32 s6, s14, 3
	s_delay_alu instid0(SALU_CYCLE_1) | instskip(NEXT) | instid1(VALU_DEP_2)
	s_ashr_i32 s7, s6, 31
	v_ashrrev_i32_e32 v4, 31, v3
	s_delay_alu instid0(VALU_DEP_2) | instskip(SKIP_1) | instid1(SALU_CYCLE_1)
	v_lshlrev_b64 v[1:2], 2, v[1:2]
	s_lshl_b64 s[6:7], s[6:7], 2
	s_add_u32 s6, s13, s6
	s_delay_alu instid0(VALU_DEP_2) | instskip(SKIP_1) | instid1(VALU_DEP_2)
	v_lshlrev_b64 v[3:4], 2, v[3:4]
	s_addc_u32 s7, s16, s7
	v_add_co_u32 v1, vcc_lo, s13, v1
	v_add_co_ci_u32_e32 v2, vcc_lo, s16, v2, vcc_lo
	s_delay_alu instid0(VALU_DEP_3) | instskip(NEXT) | instid1(VALU_DEP_4)
	v_add_co_u32 v3, vcc_lo, s13, v3
	v_add_co_ci_u32_e32 v4, vcc_lo, s16, v4, vcc_lo
	s_clause 0x1
	global_load_b32 v5, v[1:2], off
	global_load_b32 v6, v[3:4], off
	s_or_b32 s8, s12, 32
	s_delay_alu instid0(SALU_CYCLE_1) | instskip(SKIP_2) | instid1(SALU_CYCLE_1)
	s_ashr_i32 s9, s8, 5
	s_cmp_lt_i32 s8, s17
	s_cselect_b32 s8, s9, s4
	s_ashr_i32 s9, s8, 31
	s_delay_alu instid0(SALU_CYCLE_1) | instskip(NEXT) | instid1(SALU_CYCLE_1)
	s_lshl_b64 s[8:9], s[8:9], 2
	s_add_u32 s8, s13, s8
	s_addc_u32 s9, s16, s9
	s_or_b32 s20, s12, 64
	s_delay_alu instid0(SALU_CYCLE_1) | instskip(SKIP_2) | instid1(SALU_CYCLE_1)
	s_ashr_i32 s21, s20, 5
	s_cmp_lt_i32 s20, s17
	s_cselect_b32 s20, s21, s4
	s_ashr_i32 s21, s20, 31
	s_delay_alu instid0(SALU_CYCLE_1) | instskip(NEXT) | instid1(SALU_CYCLE_1)
	s_lshl_b64 s[20:21], s[20:21], 2
	s_add_u32 s20, s13, s20
	s_addc_u32 s21, s16, s21
	;; [unrolled: 10-line block ×5, first 2 shown]
	s_clause 0x5
	s_load_b32 s28, s[6:7], 0x0
	s_load_b32 s8, s[8:9], 0x0
	;; [unrolled: 1-line block ×6, first 2 shown]
	s_mov_b32 s20, 0
	s_delay_alu instid0(SALU_CYCLE_1)
	s_mov_b32 s21, s20
	s_mov_b32 s22, s20
	;; [unrolled: 1-line block ×7, first 2 shown]
	s_delay_alu instid0(SALU_CYCLE_1)
	v_dual_mov_b32 v102, s27 :: v_dual_mov_b32 v101, s26
	v_dual_mov_b32 v100, s25 :: v_dual_mov_b32 v99, s24
	v_mov_b32_e32 v97, s22
	v_dual_mov_b32 v95, s20 :: v_dual_mov_b32 v98, s23
	v_mov_b32_e32 v96, s21
	s_waitcnt vmcnt(1)
	v_mad_i64_i32 v[1:2], null, v5, s5, s[2:3]
	v_lshlrev_b32_e32 v5, 4, v69
	s_waitcnt vmcnt(0)
	v_mad_i64_i32 v[3:4], null, v6, s5, s[2:3]
	s_or_b32 s2, s12, 0xc0
	s_delay_alu instid0(SALU_CYCLE_1) | instskip(NEXT) | instid1(VALU_DEP_3)
	s_ashr_i32 s3, s2, 5
	v_add_co_u32 v33, vcc_lo, v1, v5
	s_delay_alu instid0(VALU_DEP_4) | instskip(NEXT) | instid1(VALU_DEP_3)
	v_add_co_ci_u32_e32 v34, vcc_lo, 0, v2, vcc_lo
	v_add_co_u32 v35, vcc_lo, v3, v5
	s_delay_alu instid0(VALU_DEP_4)
	v_add_co_ci_u32_e32 v36, vcc_lo, 0, v4, vcc_lo
	s_clause 0xf
	global_load_b128 v[1:4], v[33:34], off
	global_load_b128 v[5:8], v[33:34], off offset:512
	global_load_b128 v[9:12], v[35:36], off offset:256
	;; [unrolled: 1-line block ×15, first 2 shown]
	s_cmp_lt_i32 s2, s17
	v_and_b32_e32 v33, 7, v0
	s_cselect_b32 s2, s3, s4
	v_lshlrev_b32_e32 v34, 5, v69
	s_ashr_i32 s3, s2, 31
	s_delay_alu instid0(SALU_CYCLE_1)
	s_lshl_b64 s[2:3], s[2:3], 2
	v_lshlrev_b32_e32 v139, 6, v33
	s_add_u32 s2, s13, s2
	s_addc_u32 s3, s16, s3
	s_or_b32 s6, s12, 0xe0
	v_lshl_or_b32 v41, v68, 9, v34
	s_ashr_i32 s7, s6, 5
	s_cmp_lt_i32 s6, s17
	ds_load_b128 v[33:36], v139
	ds_load_b128 v[37:40], v139 offset:1024
	s_cselect_b32 s6, s7, s4
	ds_load_b128 v[103:106], v139 offset:2048
	ds_load_b128 v[107:110], v139 offset:3072
	s_ashr_i32 s7, s6, 31
	s_load_b32 s4, s[2:3], 0x0
	s_lshl_b64 s[6:7], s[6:7], 2
	ds_load_b128 v[111:114], v139 offset:4096
	ds_load_b128 v[115:118], v139 offset:5120
	s_add_u32 s2, s13, s6
	s_addc_u32 s3, s16, s7
	s_add_u32 s6, s10, s15
	s_load_b32 s2, s[2:3], 0x0
	s_addc_u32 s7, s11, s19
	v_add_co_u32 v127, s6, s6, v41
	s_delay_alu instid0(VALU_DEP_1) | instskip(SKIP_1) | instid1(VALU_DEP_1)
	v_add_co_ci_u32_e64 v128, null, s7, 0, s6
	s_waitcnt lgkmcnt(0)
	v_mad_i64_i32 v[41:42], null, s28, s5, v[127:128]
	v_mad_i64_i32 v[129:130], null, s9, s5, v[127:128]
	;; [unrolled: 1-line block ×7, first 2 shown]
	s_clause 0x3
	global_load_b128 v[49:52], v[41:42], off
	global_load_b128 v[53:56], v[41:42], off offset:16
	global_load_b128 v[41:44], v[45:46], off
	global_load_b128 v[45:48], v[45:46], off offset:16
	s_waitcnt vmcnt(18)
	v_wmma_f32_16x16x16_f16 v[119:126], v[1:8], v[33:40], v[95:102]
	s_waitcnt vmcnt(16)
	v_wmma_f32_16x16x16_f16 v[95:102], v[9:16], v[33:40], v[95:102]
	s_clause 0x3
	global_load_b128 v[33:36], v[129:130], off
	global_load_b128 v[37:40], v[129:130], off offset:16
	global_load_b128 v[1:4], v[131:132], off
	global_load_b128 v[5:8], v[131:132], off offset:16
	s_waitcnt vmcnt(18)
	v_wmma_f32_16x16x16_f16 v[119:126], v[17:24], v[103:110], v[119:126]
	s_clause 0x3
	global_load_b128 v[9:12], v[133:134], off
	global_load_b128 v[13:16], v[133:134], off offset:16
	global_load_b128 v[17:20], v[135:136], off
	global_load_b128 v[21:24], v[135:136], off offset:16
	s_waitcnt vmcnt(20)
	v_wmma_f32_16x16x16_f16 v[95:102], v[25:32], v[103:110], v[95:102]
	v_mad_i64_i32 v[103:104], null, s2, s5, v[127:128]
	s_waitcnt vmcnt(18)
	v_wmma_f32_16x16x16_f16 v[119:126], v[57:64], v[111:118], v[119:126]
	s_clause 0x3
	global_load_b128 v[25:28], v[137:138], off
	global_load_b128 v[29:32], v[137:138], off offset:16
	global_load_b128 v[57:60], v[103:104], off
	global_load_b128 v[61:64], v[103:104], off offset:16
	s_waitcnt vmcnt(20)
	v_wmma_f32_16x16x16_f16 v[95:102], v[71:78], v[111:118], v[95:102]
	ds_load_b128 v[71:74], v139 offset:6144
	ds_load_b128 v[75:78], v139 offset:7168
	v_mbcnt_lo_u32_b32 v104, -1, 0
	s_waitcnt vmcnt(0) lgkmcnt(0)
	s_barrier
	buffer_gl0_inv
	v_xor_b32_e32 v105, 16, v104
	s_delay_alu instid0(VALU_DEP_1) | instskip(SKIP_4) | instid1(VALU_DEP_2)
	v_cmp_gt_i32_e32 vcc_lo, 32, v105
	v_cndmask_b32_e32 v104, v104, v105, vcc_lo
	v_wmma_f32_16x16x16_f16 v[119:126], v[79:86], v[71:78], v[119:126]
	v_and_b32_e32 v103, 0xe0, v0
	v_wmma_f32_16x16x16_f16 v[95:102], v[87:94], v[71:78], v[95:102]
	v_dual_mul_f32 v78, s18, v121 :: v_dual_add_nc_u32 v103, s12, v103
	s_delay_alu instid0(VALU_DEP_2) | instskip(SKIP_1) | instid1(VALU_DEP_3)
	v_dual_mul_f32 v90, s18, v101 :: v_dual_mul_f32 v87, s18, v120
	v_dual_mul_f32 v88, s18, v119 :: v_dual_mul_f32 v77, s18, v122
	v_or_b32_e32 v103, v103, v66
	v_dual_mul_f32 v75, s18, v124 :: v_dual_mul_f32 v94, s18, v97
	v_dual_mul_f32 v76, s18, v123 :: v_dual_mul_f32 v73, s18, v126
	v_mul_f32_e32 v92, s18, v99
	s_delay_alu instid0(VALU_DEP_4)
	v_or_b32_e32 v105, 2, v103
	v_or_b32_e32 v106, 4, v103
	;; [unrolled: 1-line block ×3, first 2 shown]
	v_cmp_gt_i32_e64 s2, s17, v103
	v_or_b32_e32 v108, 8, v103
	v_cmp_gt_i32_e32 vcc_lo, s17, v105
	v_or_b32_e32 v109, 10, v103
	v_cmp_gt_i32_e64 s3, s17, v106
	v_cndmask_b32_e64 v88, 0xff7fffff, v88, s2
	v_cmp_gt_i32_e64 s4, s17, v107
	v_cndmask_b32_e32 v87, 0xff7fffff, v87, vcc_lo
	v_or_b32_e32 v79, 12, v103
	v_or_b32_e32 v80, 14, v103
	v_cndmask_b32_e64 v78, 0xff7fffff, v78, s3
	v_cndmask_b32_e64 v77, 0xff7fffff, v77, s4
	v_max3_f32 v87, v88, 0xff7fffff, v87
	v_cmp_gt_i32_e64 s5, s17, v108
	v_cmp_gt_i32_e64 s6, s17, v109
	v_or_b32_e32 v81, 16, v103
	v_or_b32_e32 v82, 18, v103
	v_mul_f32_e32 v74, s18, v125
	v_cndmask_b32_e64 v76, 0xff7fffff, v76, s5
	v_cndmask_b32_e64 v75, 0xff7fffff, v75, s6
	v_max3_f32 v77, v87, v78, v77
	v_cmp_gt_i32_e64 s7, s17, v79
	v_cmp_gt_i32_e64 s8, s17, v80
	v_or_b32_e32 v83, 20, v103
	v_or_b32_e32 v84, 22, v103
	;; [unrolled: 1-line block ×6, first 2 shown]
	v_mul_f32_e32 v105, s18, v96
	v_mul_f32_e32 v103, s18, v95
	v_cndmask_b32_e64 v74, 0xff7fffff, v74, s7
	v_cndmask_b32_e64 v73, 0xff7fffff, v73, s8
	v_max3_f32 v75, v77, v76, v75
	v_cmp_gt_i32_e64 s9, s17, v81
	v_cmp_gt_i32_e64 s10, s17, v82
	v_mul_f32_e32 v93, s18, v98
	v_cmp_gt_i32_e64 s11, s17, v83
	v_max3_f32 v73, v75, v74, v73
	v_cndmask_b32_e64 v76, 0xff7fffff, v103, s9
	v_cndmask_b32_e64 v77, 0xff7fffff, v105, s10
	v_cmp_gt_i32_e64 s12, s17, v84
	v_mul_f32_e32 v91, s18, v100
	v_cndmask_b32_e64 v74, 0xff7fffff, v94, s11
	v_cmp_gt_i32_e64 s13, s17, v85
	v_max3_f32 v73, v73, v76, v77
	v_cndmask_b32_e64 v75, 0xff7fffff, v93, s12
	v_cmp_gt_i32_e64 s15, s17, v86
	v_mul_f32_e32 v89, s18, v102
	v_cndmask_b32_e64 v76, 0xff7fffff, v92, s13
	v_cmp_gt_i32_e64 s16, s17, v71
	v_max3_f32 v73, v73, v74, v75
	v_cndmask_b32_e64 v77, 0xff7fffff, v91, s15
	v_cmp_gt_i32_e64 s17, s17, v72
	v_lshlrev_b32_e32 v74, 2, v104
	v_cndmask_b32_e64 v71, 0xff7fffff, v90, s16
	s_delay_alu instid0(VALU_DEP_4) | instskip(NEXT) | instid1(VALU_DEP_4)
	v_max3_f32 v73, v73, v76, v77
	v_cndmask_b32_e64 v72, 0xff7fffff, v89, s17
	s_delay_alu instid0(VALU_DEP_1) | instskip(SKIP_3) | instid1(VALU_DEP_1)
	v_max3_f32 v71, v73, v71, v72
	ds_bpermute_b32 v72, v74, v71
	s_waitcnt lgkmcnt(0)
	v_max_f32_e32 v72, v72, v72
	v_max_f32_e32 v71, v71, v72
	s_delay_alu instid0(VALU_DEP_1)
	v_fma_f32 v72, s18, v119, -v71
	v_fma_f32 v76, s18, v122, -v71
	;; [unrolled: 1-line block ×5, first 2 shown]
	v_mul_f32_e32 v72, 0x3fb8aa3b, v72
	v_mul_f32_e32 v76, 0x3fb8aa3b, v76
	v_fma_f32 v75, s18, v121, -v71
	v_mul_f32_e32 v79, 0x3fb8aa3b, v77
	v_mul_f32_e32 v85, 0x3fb8aa3b, v84
	v_exp_f32_e32 v72, v72
	v_exp_f32_e32 v76, v76
	v_fma_f32 v86, s18, v98, -v71
	v_exp_f32_e32 v82, v79
	v_exp_f32_e32 v85, v85
	v_fma_f32 v81, s18, v125, -v71
	s_delay_alu instid0(VALU_DEP_2) | instskip(SKIP_3) | instid1(TRANS32_DEP_3)
	v_mul_f32_e32 v87, 0x3fb8aa3b, v86
	v_cndmask_b32_e64 v78, 0, v72, s2
	v_fma_f32 v72, s18, v124, -v71
	v_mul_f32_e32 v73, 0x3fb8aa3b, v73
	v_cndmask_b32_e64 v79, 0, v76, s4
	v_fma_f32 v76, s18, v95, -v71
	s_delay_alu instid0(VALU_DEP_4) | instskip(NEXT) | instid1(VALU_DEP_4)
	v_dual_mul_f32 v75, 0x3fb8aa3b, v75 :: v_dual_mul_f32 v72, 0x3fb8aa3b, v72
	v_exp_f32_e32 v73, v73
	v_exp_f32_e32 v87, v87
	s_delay_alu instid0(VALU_DEP_2) | instskip(NEXT) | instid1(VALU_DEP_2)
	v_mul_f32_e32 v76, 0x3fb8aa3b, v76
	v_exp_f32_e32 v75, v75
	v_cndmask_b32_e64 v85, 0, v85, s10
	v_mul_f32_e32 v81, 0x3fb8aa3b, v81
	v_exp_f32_e32 v72, v72
	v_cndmask_b32_e64 v82, 0, v82, s5
	v_exp_f32_e32 v76, v76
	s_mov_b32 s2, exec_lo
	v_cndmask_b32_e32 v77, 0, v73, vcc_lo
	v_add_f32_e32 v73, 0, v78
	v_cndmask_b32_e64 v87, 0, v87, s12
	v_cndmask_b32_e64 v80, 0, v75, s3
	v_fma_f32 v75, s18, v126, -v71
	v_exp_f32_e32 v83, v81
	v_add_f32_e32 v73, v73, v77
	v_cndmask_b32_e64 v81, 0, v72, s6
	v_cndmask_b32_e64 v86, 0, v76, s9
	v_mul_f32_e32 v75, 0x3fb8aa3b, v75
	s_delay_alu instid0(VALU_DEP_4) | instskip(NEXT) | instid1(VALU_DEP_2)
	v_add_f32_e32 v73, v73, v80
	v_exp_f32_e32 v75, v75
	s_delay_alu instid0(TRANS32_DEP_2) | instskip(NEXT) | instid1(VALU_DEP_2)
	v_cndmask_b32_e64 v84, 0, v83, s7
	v_add_f32_e32 v73, v73, v79
	s_delay_alu instid0(VALU_DEP_1) | instskip(SKIP_3) | instid1(VALU_DEP_1)
	v_add_f32_e32 v72, v73, v82
	s_waitcnt_depctr 0xfff
	v_cndmask_b32_e64 v83, 0, v75, s8
	v_add_f32_e32 v72, v72, v81
	v_add_f32_e32 v72, v72, v84
	s_delay_alu instid0(VALU_DEP_1) | instskip(NEXT) | instid1(VALU_DEP_1)
	v_add_f32_e32 v72, v72, v83
	v_add_f32_e32 v72, v72, v86
	v_fma_f32 v73, s18, v97, -v71
	v_fma_f32 v75, s18, v99, -v71
	;; [unrolled: 1-line block ×4, first 2 shown]
	v_add_f32_e32 v72, v72, v85
	v_mul_f32_e32 v73, 0x3fb8aa3b, v73
	s_delay_alu instid0(VALU_DEP_4) | instskip(NEXT) | instid1(VALU_DEP_2)
	v_dual_mul_f32 v75, 0x3fb8aa3b, v75 :: v_dual_mul_f32 v76, 0x3fb8aa3b, v76
	v_exp_f32_e32 v73, v73
	s_delay_alu instid0(VALU_DEP_1) | instskip(NEXT) | instid1(VALU_DEP_1)
	v_exp_f32_e32 v75, v75
	v_exp_f32_e32 v76, v76
	s_delay_alu instid0(TRANS32_DEP_3)
	v_cndmask_b32_e64 v88, 0, v73, s11
	v_mul_f32_e32 v73, 0x3fb8aa3b, v89
	v_fma_f32 v89, s18, v102, -v71
	s_waitcnt_depctr 0xfff
	v_cndmask_b32_e64 v90, 0, v75, s13
	v_add_f32_e32 v72, v72, v88
	v_exp_f32_e32 v73, v73
	v_mul_f32_e32 v75, 0x3fb8aa3b, v89
	v_cndmask_b32_e64 v89, 0, v76, s15
	s_delay_alu instid0(VALU_DEP_3) | instskip(NEXT) | instid1(VALU_DEP_3)
	v_add_f32_e32 v72, v72, v87
	v_exp_f32_e32 v75, v75
	s_delay_alu instid0(VALU_DEP_1) | instskip(SKIP_4) | instid1(VALU_DEP_2)
	v_add_f32_e32 v72, v72, v90
	s_waitcnt_depctr 0xfff
	v_cndmask_b32_e64 v92, 0, v73, s16
	v_add_f32_e32 v72, v72, v89
	v_cndmask_b32_e64 v91, 0, v75, s17
	v_add_f32_e32 v72, v72, v92
	s_delay_alu instid0(VALU_DEP_1)
	v_add_f32_e32 v72, v72, v91
	ds_bpermute_b32 v73, v74, v72
	v_cmpx_gt_u32_e32 16, v70
	s_cbranch_execz .LBB1037_12
; %bb.11:
	v_mul_u32_u24_e32 v70, 0x44, v68
	s_waitcnt lgkmcnt(0)
	v_add_f32_e32 v72, v72, v73
	s_delay_alu instid0(VALU_DEP_2) | instskip(NEXT) | instid1(VALU_DEP_1)
	v_lshl_add_u32 v70, v69, 2, v70
	v_add_nc_u32_e32 v70, 0x4000, v70
	ds_store_2addr_b32 v70, v71, v72 offset1:136
.LBB1037_12:
	s_or_b32 exec_lo, exec_lo, s2
	v_lshlrev_b32_e32 v70, 2, v69
	s_load_b32 s34, s[0:1], 0x94
	s_waitcnt lgkmcnt(0)
	s_barrier
	buffer_gl0_inv
	v_add_nc_u32_e32 v74, 0x4000, v70
	v_cmp_eq_u32_e32 vcc_lo, 1, v68
	v_cmp_eq_u32_e64 s2, 2, v68
	v_cmp_eq_u32_e64 s3, 3, v68
	;; [unrolled: 1-line block ×3, first 2 shown]
	ds_load_2addr_b32 v[70:71], v74 offset1:17
	ds_load_2addr_b32 v[72:73], v74 offset0:34 offset1:51
	ds_load_2addr_b32 v[93:94], v74 offset0:68 offset1:85
	;; [unrolled: 1-line block ×3, first 2 shown]
	v_cmp_eq_u32_e64 s5, 5, v68
	v_cmp_eq_u32_e64 s6, 7, v68
	s_waitcnt lgkmcnt(3)
	v_max3_f32 v75, v70, 0xff7fffff, v71
	s_waitcnt lgkmcnt(2)
	s_delay_alu instid0(VALU_DEP_1) | instskip(SKIP_1) | instid1(VALU_DEP_1)
	v_max3_f32 v75, v75, v72, v73
	s_waitcnt lgkmcnt(1)
	v_max3_f32 v75, v75, v93, v94
	s_waitcnt lgkmcnt(0)
	s_delay_alu instid0(VALU_DEP_1) | instskip(NEXT) | instid1(VALU_DEP_1)
	v_max3_f32 v75, v75, v95, v96
	v_sub_f32_e32 v93, v93, v75
	ds_load_2addr_b32 v[97:98], v74 offset0:136 offset1:153
	v_sub_f32_e32 v70, v70, v75
	v_dual_sub_f32 v100, v73, v75 :: v_dual_mul_f32 v103, 0x3fb8aa3b, v93
	s_delay_alu instid0(VALU_DEP_2) | instskip(SKIP_3) | instid1(VALU_DEP_1)
	v_dual_sub_f32 v76, v71, v75 :: v_dual_mul_f32 v99, 0x3fb8aa3b, v70
	ds_load_2addr_b32 v[70:71], v74 offset0:170 offset1:187
	v_mul_f32_e32 v76, 0x3fb8aa3b, v76
	v_exp_f32_e32 v99, v99
	v_exp_f32_e32 v102, v76
	v_mul_f32_e32 v100, 0x3fb8aa3b, v100
	s_waitcnt lgkmcnt(1)
	s_waitcnt_depctr 0xfff
	v_fma_f32 v76, v99, v97, 0
	v_sub_f32_e32 v97, v94, v75
	v_sub_f32_e32 v72, v72, v75
	v_exp_f32_e32 v100, v100
	ds_load_2addr_b32 v[93:94], v74 offset0:238 offset1:255
	v_dual_fmac_f32 v76, v102, v98 :: v_dual_mul_f32 v101, 0x3fb8aa3b, v72
	ds_load_2addr_b32 v[72:73], v74 offset0:204 offset1:221
	v_dual_sub_f32 v74, v95, v75 :: v_dual_mul_f32 v95, 0x3fb8aa3b, v97
	v_exp_f32_e32 v97, v103
	v_exp_f32_e32 v101, v101
	s_waitcnt lgkmcnt(0)
	s_barrier
	v_exp_f32_e32 v95, v95
	buffer_gl0_inv
	v_fmac_f32_e32 v76, v101, v70
	v_sub_f32_e32 v70, v96, v75
	s_delay_alu instid0(VALU_DEP_2) | instskip(NEXT) | instid1(VALU_DEP_2)
	v_fmac_f32_e32 v76, v100, v71
	v_mul_f32_e32 v70, 0x3fb8aa3b, v70
	s_delay_alu instid0(VALU_DEP_2)
	v_dual_cndmask_b32 v71, v99, v102 :: v_dual_fmac_f32 v76, v97, v72
	v_lshlrev_b32_e32 v72, 6, v69
	v_lshlrev_b32_e32 v69, 2, v66
	v_mul_f32_e32 v74, 0x3fb8aa3b, v74
	v_exp_f32_e32 v98, v70
	v_fmac_f32_e32 v76, v95, v73
	s_delay_alu instid0(VALU_DEP_3) | instskip(NEXT) | instid1(VALU_DEP_3)
	v_cmp_eq_u32_e64 s7, 7, v69
	v_exp_f32_e32 v96, v74
	v_lshl_or_b32 v74, v68, 11, v72
	s_waitcnt_depctr 0xfff
	v_fmac_f32_e32 v76, v96, v93
	s_delay_alu instid0(VALU_DEP_1) | instskip(NEXT) | instid1(VALU_DEP_1)
	v_fmac_f32_e32 v76, v98, v94
	v_add_f32_e32 v73, 0x358637bd, v76
	s_delay_alu instid0(VALU_DEP_1) | instskip(SKIP_1) | instid1(VALU_DEP_2)
	v_div_scale_f32 v93, null, v73, v73, 1.0
	v_div_scale_f32 v99, vcc_lo, 1.0, v73, 1.0
	v_rcp_f32_e32 v94, v93
	s_waitcnt_depctr 0xfff
	v_fma_f32 v70, -v93, v94, 1.0
	s_delay_alu instid0(VALU_DEP_1)
	v_fmac_f32_e32 v94, v70, v94
	v_cndmask_b32_e64 v70, v71, v101, s2
	v_cmp_eq_u32_e64 s2, 6, v68
	v_or_b32_e32 v71, 1, v69
	v_or_b32_e32 v68, 2, v69
	v_mul_f32_e32 v101, v99, v94
	v_cndmask_b32_e64 v70, v70, v100, s3
	v_cmp_eq_u32_e64 s3, 1, v69
	v_cmp_eq_u32_e64 s8, 1, v71
	;; [unrolled: 1-line block ×3, first 2 shown]
	v_fma_f32 v100, -v93, v101, v99
	v_cndmask_b32_e64 v70, v70, v97, s4
	v_cmp_eq_u32_e64 s4, 2, v69
	v_cmp_eq_u32_e64 s11, 2, v71
	;; [unrolled: 1-line block ×3, first 2 shown]
	v_fmac_f32_e32 v101, v100, v94
	v_cndmask_b32_e64 v95, v70, v95, s5
	v_or_b32_e32 v70, 3, v69
	v_cmp_eq_u32_e64 s12, 3, v71
	v_cmp_eq_u32_e64 s16, 3, v68
	v_fma_f32 v93, -v93, v101, v99
	v_cndmask_b32_e64 v95, v95, v96, s2
	v_cmp_eq_u32_e64 s10, 1, v70
	v_cmp_eq_u32_e64 s15, 2, v70
	;; [unrolled: 1-line block ×3, first 2 shown]
	v_div_fmas_f32 v93, v93, v94, v101
	v_cndmask_b32_e64 v94, v95, v98, s6
	v_cmp_eq_u32_e32 vcc_lo, 3, v69
	v_cmp_eq_u32_e64 s2, 4, v69
	v_cmp_eq_u32_e64 s18, 4, v71
	v_div_fixup_f32 v93, v93, v73, 1.0
	v_lshl_or_b32 v73, v66, 4, v74
	v_cmp_eq_u32_e64 s21, 4, v70
	v_cmp_eq_u32_e64 s5, 5, v69
	;; [unrolled: 1-line block ×3, first 2 shown]
	v_mul_f32_e32 v101, v94, v93
	v_cmp_eq_u32_e64 s20, 4, v68
	v_cmp_eq_u32_e64 s23, 5, v70
	;; [unrolled: 1-line block ×4, first 2 shown]
	v_fma_mixlo_f16 v93, v101, v78, 0
	v_fma_mixlo_f16 v94, v101, v80, 0
	v_fma_mixlo_f16 v95, v101, v82, 0
	v_fma_mixlo_f16 v96, v101, v84, 0
	v_fma_mixlo_f16 v97, v101, v86, 0
	v_fma_mixlo_f16 v98, v101, v88, 0
	v_fma_mixlo_f16 v99, v101, v90, 0
	v_fma_mixlo_f16 v100, v101, v92, 0
	v_fma_mixhi_f16 v93, v101, v77, 0
	v_fma_mixhi_f16 v94, v101, v79, 0
	;; [unrolled: 1-line block ×8, first 2 shown]
	ds_store_b128 v73, v[93:96]
	ds_store_b128 v73, v[97:100] offset:1024
	s_waitcnt lgkmcnt(0)
	s_barrier
	buffer_gl0_inv
	ds_load_b128 v[77:80], v74
	ds_load_b128 v[81:84], v74 offset:16
	ds_load_b128 v[85:88], v74 offset:1024
	;; [unrolled: 1-line block ×3, first 2 shown]
	v_cmp_eq_u32_e64 s26, 6, v70
	v_cmp_eq_u32_e64 s6, 6, v69
	;; [unrolled: 1-line block ×6, first 2 shown]
	s_waitcnt lgkmcnt(3)
	v_lshrrev_b32_e32 v93, 16, v77
	s_waitcnt lgkmcnt(2)
	v_lshrrev_b32_e32 v97, 16, v81
	;; [unrolled: 2-line block ×4, first 2 shown]
	v_lshrrev_b32_e32 v94, 16, v78
	v_cndmask_b32_e64 v109, v77, v93, s3
	v_cndmask_b32_e64 v110, v81, v97, s3
	;; [unrolled: 1-line block ×8, first 2 shown]
	v_lshrrev_b32_e32 v98, 16, v82
	v_cndmask_b32_e64 v93, v85, v101, s3
	v_cndmask_b32_e64 v97, v89, v105, s3
	;; [unrolled: 1-line block ×15, first 2 shown]
	v_lshrrev_b32_e32 v102, 16, v86
	v_lshrrev_b32_e32 v106, 16, v90
	v_cndmask_b32_e64 v112, v114, v82, s13
	v_cndmask_b32_e64 v81, v93, v86, s4
	;; [unrolled: 1-line block ×7, first 2 shown]
	v_cndmask_b32_e32 v89, v101, v94, vcc_lo
	v_cndmask_b32_e32 v101, v105, v98, vcc_lo
	v_cndmask_b32_e64 v105, v109, v94, s12
	v_cndmask_b32_e64 v109, v110, v98, s12
	;; [unrolled: 1-line block ×4, first 2 shown]
	v_lshrrev_b32_e32 v95, 16, v79
	v_lshrrev_b32_e32 v99, 16, v83
	v_cndmask_b32_e64 v110, v111, v94, s16
	v_cndmask_b32_e64 v111, v112, v98, s16
	v_cndmask_b32_e32 v81, v81, v102, vcc_lo
	v_cndmask_b32_e32 v82, v82, v106, vcc_lo
	v_cndmask_b32_e64 v93, v93, v102, s12
	v_cndmask_b32_e64 v89, v89, v79, s2
	;; [unrolled: 1-line block ×7, first 2 shown]
	v_lshrrev_b32_e32 v103, 16, v87
	v_cndmask_b32_e64 v105, v110, v79, s20
	v_cndmask_b32_e64 v109, v111, v83, s20
	;; [unrolled: 1-line block ×11, first 2 shown]
	v_lshrrev_b32_e32 v96, 16, v80
	v_lshrrev_b32_e32 v100, 16, v84
	v_cndmask_b32_e64 v98, v105, v95, s22
	v_cndmask_b32_e64 v101, v109, v99, s22
	;; [unrolled: 1-line block ×7, first 2 shown]
	v_lshrrev_b32_e32 v104, 16, v88
	v_cndmask_b32_e64 v79, v79, v103, s5
	v_cndmask_b32_e64 v83, v83, v80, s6
	v_cndmask_b32_e64 v89, v89, v84, s6
	v_cndmask_b32_e64 v95, v98, v80, s25
	v_cndmask_b32_e64 v98, v101, v84, s25
	v_cndmask_b32_e64 v80, v82, v88, s24
	v_cndmask_b32_e64 v84, v93, v96, s29
	v_cndmask_b32_e64 v77, v77, v96, s28
	v_cndmask_b32_e64 v78, v78, v100, s28
	v_cndmask_b32_e64 v94, v94, v100, s29
	v_cndmask_b32_e64 v79, v79, v88, s6
	v_cndmask_b32_e64 v82, v83, v96, s7
	v_cndmask_b32_e64 v83, v89, v100, s7
	v_cndmask_b32_e64 v89, v95, v96, s27
	v_cndmask_b32_e64 v93, v98, v100, s27
	v_cndmask_b32_e64 v96, v80, v104, s29
	v_perm_b32 v80, v78, v77, 0x5040100
	v_perm_b32 v78, v94, v84, 0x5040100
	v_cndmask_b32_e64 v77, v118, v90, s13
	v_cndmask_b32_e64 v84, v116, v90, s11
	;; [unrolled: 1-line block ×3, first 2 shown]
	v_perm_b32 v79, v93, v89, 0x5040100
	v_cndmask_b32_e64 v89, v97, v102, s16
	v_cndmask_b32_e64 v85, v85, v102, s17
	;; [unrolled: 1-line block ×5, first 2 shown]
	v_lshrrev_b32_e32 v107, 16, v91
	v_cndmask_b32_e64 v89, v89, v87, s20
	v_cndmask_b32_e64 v85, v85, v87, s21
	v_cndmask_b32_e64 v86, v86, v91, s21
	v_cndmask_b32_e64 v77, v77, v91, s20
	v_cndmask_b32_e64 v84, v84, v91, s18
	v_cndmask_b32_e64 v81, v81, v107, s5
	v_cndmask_b32_e64 v87, v89, v103, s22
	v_cndmask_b32_e64 v85, v85, v103, s23
	v_cndmask_b32_e64 v86, v86, v107, s23
	v_cndmask_b32_e64 v77, v77, v107, s22
	v_cndmask_b32_e64 v84, v84, v107, s19
	v_lshrrev_b32_e32 v108, 16, v92
	v_cndmask_b32_e64 v81, v81, v92, s6
	v_cndmask_b32_e64 v87, v87, v88, s25
	;; [unrolled: 1-line block ×12, first 2 shown]
	v_perm_b32 v77, v83, v82, 0x5040100
	v_perm_b32 v84, v86, v85, 0x5040100
	;; [unrolled: 1-line block ×5, first 2 shown]
	s_lshl_b32 s7, s33, 3
	s_mov_b32 s2, exec_lo
	ds_store_b128 v73, v[77:80]
	ds_store_b128 v73, v[81:84] offset:1024
	v_cmpx_gt_u32_e32 8, v0
	s_cbranch_execz .LBB1037_14
; %bb.13:
	v_or_b32_e32 v77, s31, v0
	s_load_b128 s[8:11], s[0:1], 0x58
	s_delay_alu instid0(VALU_DEP_1) | instskip(NEXT) | instid1(VALU_DEP_1)
	v_mad_u64_u32 v[78:79], null, s7, s30, v[77:78]
	v_mad_u64_u32 v[79:80], null, v78, s34, s[14:15]
	s_delay_alu instid0(VALU_DEP_1) | instskip(NEXT) | instid1(VALU_DEP_1)
	v_ashrrev_i32_e32 v80, 31, v79
	v_lshlrev_b64 v[77:78], 2, v[79:80]
	s_waitcnt lgkmcnt(0)
	s_delay_alu instid0(VALU_DEP_1) | instskip(NEXT) | instid1(VALU_DEP_2)
	v_add_co_u32 v79, vcc_lo, s10, v77
	v_add_co_ci_u32_e32 v80, vcc_lo, s11, v78, vcc_lo
	v_add_co_u32 v77, vcc_lo, s8, v77
	v_add_co_ci_u32_e32 v78, vcc_lo, s9, v78, vcc_lo
	global_store_b32 v[79:80], v75, off
	global_store_b32 v[77:78], v76, off
.LBB1037_14:
	s_or_b32 exec_lo, exec_lo, s2
	s_waitcnt lgkmcnt(0)
	s_waitcnt_vscnt null, 0x0
	s_barrier
	buffer_gl0_inv
	ds_load_b128 v[83:86], v72
	ds_load_b128 v[87:90], v72 offset:16
	ds_load_b128 v[95:98], v72 offset:2064
	;; [unrolled: 1-line block ×5, first 2 shown]
	v_cmp_eq_u32_e32 vcc_lo, 1, v69
	v_mov_b32_e32 v75, 0
	ds_load_b128 v[111:114], v72 offset:6160
	ds_load_b128 v[107:110], v72 offset:6144
	;; [unrolled: 1-line block ×4, first 2 shown]
	v_cmp_eq_u32_e64 s3, 1, v68
	v_cmp_eq_u32_e64 s2, 1, v71
	;; [unrolled: 1-line block ×3, first 2 shown]
	v_mov_b32_e32 v76, v75
	v_mov_b32_e32 v77, v75
	;; [unrolled: 1-line block ×7, first 2 shown]
	v_cmp_eq_u32_e64 s5, 3, v71
	v_cmp_eq_u32_e64 s6, 7, v71
	s_waitcnt lgkmcnt(8)
	s_delay_alu instid0(VALU_DEP_3)
	v_wmma_f32_16x16x16_f16 v[75:82], v[49:56], v[83:90], v[75:82]
	ds_load_b128 v[53:56], v72 offset:10256
	ds_load_b128 v[49:52], v72 offset:10240
	s_waitcnt lgkmcnt(8)
	v_wmma_f32_16x16x16_f16 v[75:82], v[41:48], v[91:98], v[75:82]
	ds_load_b128 v[45:48], v72 offset:12304
	ds_load_b128 v[41:44], v72 offset:12288
	s_waitcnt lgkmcnt(8)
	;; [unrolled: 4-line block ×3, first 2 shown]
	s_barrier
	buffer_gl0_inv
	v_wmma_f32_16x16x16_f16 v[75:82], v[1:8], v[107:114], v[75:82]
	s_delay_alu instid0(VALU_DEP_1) | instskip(NEXT) | instid1(VALU_DEP_1)
	v_wmma_f32_16x16x16_f16 v[75:82], v[9:16], v[115:122], v[75:82]
	v_wmma_f32_16x16x16_f16 v[75:82], v[17:24], v[49:56], v[75:82]
	s_delay_alu instid0(VALU_DEP_1) | instskip(NEXT) | instid1(VALU_DEP_1)
	v_wmma_f32_16x16x16_f16 v[75:82], v[25:32], v[41:48], v[75:82]
	v_wmma_f32_16x16x16_f16 v[75:82], v[57:64], v[33:40], v[75:82]
	s_delay_alu instid0(VALU_DEP_1) | instskip(NEXT) | instid1(VALU_DEP_2)
	v_cvt_f16_f32_e32 v1, v75
	v_cvt_f16_f32_e32 v2, v76
	s_delay_alu instid0(VALU_DEP_3) | instskip(NEXT) | instid1(VALU_DEP_4)
	v_cvt_f16_f32_e32 v3, v77
	v_cvt_f16_f32_e32 v4, v78
	;; [unrolled: 1-line block ×6, first 2 shown]
	v_pack_b32_f16 v1, v1, v2
	v_pack_b32_f16 v2, v3, v4
	;; [unrolled: 1-line block ×3, first 2 shown]
	s_delay_alu instid0(VALU_DEP_4)
	v_pack_b32_f16 v4, v7, v8
	ds_store_b128 v73, v[1:4]
	s_waitcnt lgkmcnt(0)
	s_barrier
	buffer_gl0_inv
	ds_load_b128 v[1:4], v74
	ds_load_b128 v[5:8], v74 offset:16
	s_waitcnt lgkmcnt(1)
	v_lshrrev_b32_e32 v9, 16, v1
	s_waitcnt lgkmcnt(0)
	v_lshrrev_b32_e32 v13, 16, v5
	v_lshrrev_b32_e32 v10, 16, v2
	;; [unrolled: 1-line block ×4, first 2 shown]
	v_cndmask_b32_e32 v17, v1, v9, vcc_lo
	v_cndmask_b32_e32 v18, v5, v13, vcc_lo
	v_cndmask_b32_e64 v21, v1, v9, s3
	v_cmp_eq_u32_e32 vcc_lo, 1, v70
	v_cndmask_b32_e64 v22, v5, v13, s3
	v_cmp_eq_u32_e64 s3, 2, v69
	v_cndmask_b32_e64 v19, v1, v9, s2
	v_cndmask_b32_e64 v20, v5, v13, s2
	v_cndmask_b32_e32 v1, v1, v9, vcc_lo
	v_cmp_eq_u32_e64 s2, 2, v70
	v_cndmask_b32_e32 v5, v5, v13, vcc_lo
	v_cndmask_b32_e64 v9, v17, v2, s3
	v_cmp_eq_u32_e32 vcc_lo, 3, v69
	v_cndmask_b32_e64 v13, v18, v6, s3
	v_cmp_eq_u32_e64 s3, 2, v68
	v_cndmask_b32_e64 v17, v19, v2, s4
	v_cndmask_b32_e64 v18, v20, v6, s4
	v_cmp_eq_u32_e64 s4, 3, v68
	v_cndmask_b32_e64 v1, v1, v2, s2
	v_cndmask_b32_e64 v19, v21, v2, s3
	;; [unrolled: 1-line block ×4, first 2 shown]
	v_cndmask_b32_e32 v5, v9, v10, vcc_lo
	v_cndmask_b32_e32 v6, v13, v14, vcc_lo
	v_cmp_eq_u32_e32 vcc_lo, 3, v70
	v_cndmask_b32_e64 v9, v17, v10, s5
	v_cndmask_b32_e64 v13, v18, v14, s5
	;; [unrolled: 1-line block ×3, first 2 shown]
	v_cmp_eq_u32_e64 s3, 4, v69
	v_cndmask_b32_e32 v1, v1, v10, vcc_lo
	v_cndmask_b32_e32 v2, v2, v14, vcc_lo
	v_cmp_eq_u32_e32 vcc_lo, 4, v71
	v_lshrrev_b32_e32 v15, 16, v7
	v_lshrrev_b32_e32 v16, 16, v8
	v_cndmask_b32_e64 v17, v19, v10, s4
	v_cmp_eq_u32_e64 s2, 4, v70
	v_cndmask_b32_e64 v5, v5, v3, s3
	v_cndmask_b32_e64 v6, v6, v7, s3
	v_cndmask_b32_e32 v9, v9, v3, vcc_lo
	v_cmp_eq_u32_e64 s3, 5, v71
	v_cndmask_b32_e32 v10, v13, v7, vcc_lo
	v_cmp_eq_u32_e32 vcc_lo, 4, v68
	v_cmp_eq_u32_e64 s4, 5, v69
	v_cndmask_b32_e64 v2, v2, v7, s2
	v_cndmask_b32_e64 v9, v9, v11, s3
	;; [unrolled: 1-line block ×3, first 2 shown]
	v_cndmask_b32_e32 v13, v17, v3, vcc_lo
	v_cmp_eq_u32_e64 s3, 5, v68
	v_cndmask_b32_e32 v14, v18, v7, vcc_lo
	v_cndmask_b32_e64 v1, v1, v3, s2
	v_cmp_eq_u32_e32 vcc_lo, 5, v70
	v_lshrrev_b32_e32 v12, 16, v4
	v_cndmask_b32_e64 v13, v13, v11, s3
	v_cndmask_b32_e64 v3, v14, v15, s3
	v_cmp_eq_u32_e64 s3, 6, v70
	v_cndmask_b32_e32 v1, v1, v11, vcc_lo
	v_cndmask_b32_e64 v5, v5, v11, s4
	v_cmp_eq_u32_e64 s5, 6, v69
	v_cndmask_b32_e64 v6, v6, v15, s4
	v_cmp_eq_u32_e64 s4, 6, v71
	v_cmp_eq_u32_e64 s2, 6, v68
	v_cndmask_b32_e64 v1, v1, v4, s3
	v_cndmask_b32_e32 v2, v2, v15, vcc_lo
	v_cmp_eq_u32_e32 vcc_lo, 7, v70
	v_cndmask_b32_e64 v5, v5, v4, s5
	v_cndmask_b32_e64 v9, v9, v4, s4
	;; [unrolled: 1-line block ×3, first 2 shown]
	v_cmp_eq_u32_e64 s5, 7, v69
	v_cndmask_b32_e32 v1, v1, v12, vcc_lo
	v_cndmask_b32_e64 v7, v13, v4, s2
	v_cndmask_b32_e64 v3, v3, v8, s2
	v_cndmask_b32_e64 v2, v2, v8, s3
	v_cmp_eq_u32_e64 s2, 7, v68
	v_cndmask_b32_e64 v4, v10, v8, s4
	v_cndmask_b32_e64 v5, v5, v12, s5
	;; [unrolled: 1-line block ×3, first 2 shown]
	v_cndmask_b32_e32 v2, v2, v16, vcc_lo
	v_cndmask_b32_e64 v7, v7, v12, s2
	v_cndmask_b32_e64 v3, v3, v16, s2
	;; [unrolled: 1-line block ×4, first 2 shown]
	v_perm_b32 v4, v2, v1, 0x5040100
	s_mov_b32 s2, exec_lo
	v_perm_b32 v3, v3, v7, 0x5040100
	v_perm_b32 v2, v8, v9, 0x5040100
	;; [unrolled: 1-line block ×3, first 2 shown]
	ds_store_b128 v73, v[1:4]
	s_waitcnt lgkmcnt(0)
	s_barrier
	buffer_gl0_inv
	v_cmpx_gt_u32_e32 32, v0
	s_cbranch_execz .LBB1037_2
; %bb.15:
	s_load_b64 s[0:1], s[0:1], 0x68
	s_lshl_b32 s4, s34, 7
	v_or_b32_e32 v2, s31, v66
	s_mul_i32 s2, s4, s30
	v_lshlrev_b32_e32 v1, 10, v0
	s_mul_i32 s2, s2, s7
	v_lshlrev_b32_e32 v3, 4, v67
	v_mul_lo_u32 v0, v2, s4
	s_ashr_i32 s3, s2, 31
	v_lshlrev_b32_e32 v4, 6, v66
	v_and_b32_e32 v1, 0x3800, v1
	v_or_b32_e32 v5, 2, v2
	s_lshl_b64 s[2:3], s[2:3], 1
	v_or_b32_e32 v6, 4, v2
	v_or_b32_e32 v7, 6, v2
	v_or3_b32 v12, v1, v3, v4
	v_ashrrev_i32_e32 v1, 31, v0
	v_mul_lo_u32 v2, v5, s4
	v_mul_lo_u32 v16, v6, s4
	;; [unrolled: 1-line block ×3, first 2 shown]
	s_waitcnt lgkmcnt(0)
	s_add_u32 s2, s0, s2
	s_addc_u32 s3, s1, s3
	s_lshl_b32 s0, s14, 7
	v_lshlrev_b64 v[0:1], 1, v[0:1]
	s_ashr_i32 s1, s0, 31
	v_ashrrev_i32_e32 v3, 31, v2
	s_lshl_b64 s[0:1], s[0:1], 1
	v_ashrrev_i32_e32 v17, 31, v16
	s_add_u32 s0, s2, s0
	s_addc_u32 s1, s3, s1
	v_add_co_u32 v24, s0, s0, v65
	s_delay_alu instid0(VALU_DEP_1) | instskip(SKIP_1) | instid1(VALU_DEP_3)
	v_add_co_ci_u32_e64 v25, null, s1, 0, s0
	v_lshlrev_b64 v[22:23], 1, v[2:3]
	v_add_co_u32 v18, vcc_lo, v24, v0
	s_delay_alu instid0(VALU_DEP_3)
	v_add_co_ci_u32_e32 v19, vcc_lo, v25, v1, vcc_lo
	ds_load_b128 v[0:3], v12
	ds_load_b128 v[4:7], v12 offset:128
	ds_load_b128 v[8:11], v12 offset:256
	;; [unrolled: 1-line block ×3, first 2 shown]
	v_ashrrev_i32_e32 v21, 31, v20
	v_lshlrev_b64 v[16:17], 1, v[16:17]
	v_add_co_u32 v22, vcc_lo, v24, v22
	v_add_co_ci_u32_e32 v23, vcc_lo, v25, v23, vcc_lo
	s_delay_alu instid0(VALU_DEP_4) | instskip(NEXT) | instid1(VALU_DEP_4)
	v_lshlrev_b64 v[20:21], 1, v[20:21]
	v_add_co_u32 v16, vcc_lo, v24, v16
	v_add_co_ci_u32_e32 v17, vcc_lo, v25, v17, vcc_lo
	s_delay_alu instid0(VALU_DEP_3) | instskip(NEXT) | instid1(VALU_DEP_4)
	v_add_co_u32 v20, vcc_lo, v24, v20
	v_add_co_ci_u32_e32 v21, vcc_lo, v25, v21, vcc_lo
	s_waitcnt lgkmcnt(3)
	global_store_b128 v[18:19], v[0:3], off
	s_waitcnt lgkmcnt(2)
	global_store_b128 v[22:23], v[4:7], off
	;; [unrolled: 2-line block ×4, first 2 shown]
	s_nop 0
	s_sendmsg sendmsg(MSG_DEALLOC_VGPRS)
	s_endpgm
	.section	.rodata,"a",@progbits
	.p2align	6, 0x0
	.amdhsa_kernel _Z39paged_attention_ll4mi_QKV_mfma16_kernelIDF16_hLN4vllm18Fp8KVCacheDataTypeE1EhLi32ELi128ELi256ELb0ELi8EL8MFMAType1EEvPKT_PKT0_S8_ifPKiSA_SA_iPKfiiiPfSD_PS3_PT2_iSC_SC_
		.amdhsa_group_segment_fixed_size 17472
		.amdhsa_private_segment_fixed_size 0
		.amdhsa_kernarg_size 400
		.amdhsa_user_sgpr_count 13
		.amdhsa_user_sgpr_dispatch_ptr 0
		.amdhsa_user_sgpr_queue_ptr 0
		.amdhsa_user_sgpr_kernarg_segment_ptr 1
		.amdhsa_user_sgpr_dispatch_id 0
		.amdhsa_user_sgpr_private_segment_size 0
		.amdhsa_wavefront_size32 1
		.amdhsa_uses_dynamic_stack 0
		.amdhsa_enable_private_segment 0
		.amdhsa_system_sgpr_workgroup_id_x 1
		.amdhsa_system_sgpr_workgroup_id_y 1
		.amdhsa_system_sgpr_workgroup_id_z 1
		.amdhsa_system_sgpr_workgroup_info 0
		.amdhsa_system_vgpr_workitem_id 0
		.amdhsa_next_free_vgpr 140
		.amdhsa_next_free_sgpr 36
		.amdhsa_reserve_vcc 1
		.amdhsa_float_round_mode_32 0
		.amdhsa_float_round_mode_16_64 0
		.amdhsa_float_denorm_mode_32 3
		.amdhsa_float_denorm_mode_16_64 3
		.amdhsa_dx10_clamp 1
		.amdhsa_ieee_mode 1
		.amdhsa_fp16_overflow 0
		.amdhsa_workgroup_processor_mode 1
		.amdhsa_memory_ordered 1
		.amdhsa_forward_progress 0
		.amdhsa_shared_vgpr_count 0
		.amdhsa_exception_fp_ieee_invalid_op 0
		.amdhsa_exception_fp_denorm_src 0
		.amdhsa_exception_fp_ieee_div_zero 0
		.amdhsa_exception_fp_ieee_overflow 0
		.amdhsa_exception_fp_ieee_underflow 0
		.amdhsa_exception_fp_ieee_inexact 0
		.amdhsa_exception_int_div_zero 0
	.end_amdhsa_kernel
	.section	.text._Z39paged_attention_ll4mi_QKV_mfma16_kernelIDF16_hLN4vllm18Fp8KVCacheDataTypeE1EhLi32ELi128ELi256ELb0ELi8EL8MFMAType1EEvPKT_PKT0_S8_ifPKiSA_SA_iPKfiiiPfSD_PS3_PT2_iSC_SC_,"axG",@progbits,_Z39paged_attention_ll4mi_QKV_mfma16_kernelIDF16_hLN4vllm18Fp8KVCacheDataTypeE1EhLi32ELi128ELi256ELb0ELi8EL8MFMAType1EEvPKT_PKT0_S8_ifPKiSA_SA_iPKfiiiPfSD_PS3_PT2_iSC_SC_,comdat
.Lfunc_end1037:
	.size	_Z39paged_attention_ll4mi_QKV_mfma16_kernelIDF16_hLN4vllm18Fp8KVCacheDataTypeE1EhLi32ELi128ELi256ELb0ELi8EL8MFMAType1EEvPKT_PKT0_S8_ifPKiSA_SA_iPKfiiiPfSD_PS3_PT2_iSC_SC_, .Lfunc_end1037-_Z39paged_attention_ll4mi_QKV_mfma16_kernelIDF16_hLN4vllm18Fp8KVCacheDataTypeE1EhLi32ELi128ELi256ELb0ELi8EL8MFMAType1EEvPKT_PKT0_S8_ifPKiSA_SA_iPKfiiiPfSD_PS3_PT2_iSC_SC_
                                        ; -- End function
	.section	.AMDGPU.csdata,"",@progbits
; Kernel info:
; codeLenInByte = 6624
; NumSgprs: 38
; NumVgprs: 140
; ScratchSize: 0
; MemoryBound: 0
; FloatMode: 240
; IeeeMode: 1
; LDSByteSize: 17472 bytes/workgroup (compile time only)
; SGPRBlocks: 4
; VGPRBlocks: 17
; NumSGPRsForWavesPerEU: 38
; NumVGPRsForWavesPerEU: 140
; Occupancy: 10
; WaveLimiterHint : 1
; COMPUTE_PGM_RSRC2:SCRATCH_EN: 0
; COMPUTE_PGM_RSRC2:USER_SGPR: 13
; COMPUTE_PGM_RSRC2:TRAP_HANDLER: 0
; COMPUTE_PGM_RSRC2:TGID_X_EN: 1
; COMPUTE_PGM_RSRC2:TGID_Y_EN: 1
; COMPUTE_PGM_RSRC2:TGID_Z_EN: 1
; COMPUTE_PGM_RSRC2:TIDIG_COMP_CNT: 0
	.section	.text._Z39paged_attention_ll4mi_QKV_mfma16_kernelIDF16_hLN4vllm18Fp8KVCacheDataTypeE1EhLi32ELi128ELi256ELb0ELi9EL8MFMAType1EEvPKT_PKT0_S8_ifPKiSA_SA_iPKfiiiPfSD_PS3_PT2_iSC_SC_,"axG",@progbits,_Z39paged_attention_ll4mi_QKV_mfma16_kernelIDF16_hLN4vllm18Fp8KVCacheDataTypeE1EhLi32ELi128ELi256ELb0ELi9EL8MFMAType1EEvPKT_PKT0_S8_ifPKiSA_SA_iPKfiiiPfSD_PS3_PT2_iSC_SC_,comdat
	.protected	_Z39paged_attention_ll4mi_QKV_mfma16_kernelIDF16_hLN4vllm18Fp8KVCacheDataTypeE1EhLi32ELi128ELi256ELb0ELi9EL8MFMAType1EEvPKT_PKT0_S8_ifPKiSA_SA_iPKfiiiPfSD_PS3_PT2_iSC_SC_ ; -- Begin function _Z39paged_attention_ll4mi_QKV_mfma16_kernelIDF16_hLN4vllm18Fp8KVCacheDataTypeE1EhLi32ELi128ELi256ELb0ELi9EL8MFMAType1EEvPKT_PKT0_S8_ifPKiSA_SA_iPKfiiiPfSD_PS3_PT2_iSC_SC_
	.globl	_Z39paged_attention_ll4mi_QKV_mfma16_kernelIDF16_hLN4vllm18Fp8KVCacheDataTypeE1EhLi32ELi128ELi256ELb0ELi9EL8MFMAType1EEvPKT_PKT0_S8_ifPKiSA_SA_iPKfiiiPfSD_PS3_PT2_iSC_SC_
	.p2align	8
	.type	_Z39paged_attention_ll4mi_QKV_mfma16_kernelIDF16_hLN4vllm18Fp8KVCacheDataTypeE1EhLi32ELi128ELi256ELb0ELi9EL8MFMAType1EEvPKT_PKT0_S8_ifPKiSA_SA_iPKfiiiPfSD_PS3_PT2_iSC_SC_,@function
_Z39paged_attention_ll4mi_QKV_mfma16_kernelIDF16_hLN4vllm18Fp8KVCacheDataTypeE1EhLi32ELi128ELi256ELb0ELi9EL8MFMAType1EEvPKT_PKT0_S8_ifPKiSA_SA_iPKfiiiPfSD_PS3_PT2_iSC_SC_: ; @_Z39paged_attention_ll4mi_QKV_mfma16_kernelIDF16_hLN4vllm18Fp8KVCacheDataTypeE1EhLi32ELi128ELi256ELb0ELi9EL8MFMAType1EEvPKT_PKT0_S8_ifPKiSA_SA_iPKfiiiPfSD_PS3_PT2_iSC_SC_
; %bb.0:
	s_load_b64 s[4:5], s[0:1], 0x30
	s_mov_b32 s34, s13
	s_waitcnt lgkmcnt(0)
	s_cmp_lg_u64 s[4:5], 0
	s_cselect_b32 s8, -1, 0
	s_ashr_i32 s35, s13, 31
	s_cmp_eq_u64 s[4:5], 0
	s_cbranch_scc1 .LBB1038_3
; %bb.1:
	s_lshl_b64 s[2:3], s[34:35], 2
	s_delay_alu instid0(SALU_CYCLE_1) | instskip(SKIP_4) | instid1(SALU_CYCLE_1)
	s_add_u32 s2, s4, s2
	s_addc_u32 s3, s5, s3
	s_load_b64 s[2:3], s[2:3], 0x0
	s_waitcnt lgkmcnt(0)
	s_sub_i32 s2, s3, s2
	s_cmp_eq_u32 s2, 1
	s_cselect_b32 s2, -1, 0
	s_delay_alu instid0(SALU_CYCLE_1)
	s_and_not1_b32 vcc_lo, exec_lo, s2
	s_cbranch_vccz .LBB1038_4
.LBB1038_2:
	s_nop 0
	s_sendmsg sendmsg(MSG_DEALLOC_VGPRS)
	s_endpgm
.LBB1038_3:
.LBB1038_4:
	s_load_b64 s[2:3], s[0:1], 0x28
	s_lshl_b64 s[6:7], s[34:35], 2
	s_waitcnt lgkmcnt(0)
	s_add_u32 s2, s2, s6
	s_addc_u32 s3, s3, s7
	s_lshl_b32 s12, s14, 8
	s_load_b32 s24, s[2:3], 0x0
	s_waitcnt lgkmcnt(0)
	s_cmp_ge_i32 s12, s24
	s_cbranch_scc1 .LBB1038_2
; %bb.5:
	s_clause 0x1
	s_load_b128 s[20:23], s[0:1], 0x8
	s_load_b64 s[2:3], s[0:1], 0x20
	s_and_not1_b32 vcc_lo, exec_lo, s8
	s_cbranch_vccnz .LBB1038_7
; %bb.6:
	s_add_u32 s4, s4, s6
	s_addc_u32 s5, s5, s7
	s_load_b32 s5, s[4:5], 0x0
	s_branch .LBB1038_8
.LBB1038_7:
	s_mov_b32 s5, s34
.LBB1038_8:
	s_load_b128 s[16:19], s[0:1], 0x48
	v_and_b32_e32 v68, 15, v0
	v_lshrrev_b32_e32 v69, 5, v0
	v_bfe_u32 v66, v0, 4, 1
	v_and_b32_e32 v70, 31, v0
	v_and_b32_e32 v67, 1, v0
	v_lshlrev_b32_e32 v2, 3, v68
	s_mul_i32 s31, s15, 9
	v_lshl_or_b32 v1, v69, 1, v66
	s_mov_b32 s4, exec_lo
	s_delay_alu instid0(VALU_DEP_2) | instskip(NEXT) | instid1(VALU_DEP_2)
	v_lshlrev_b32_e32 v65, 1, v2
	v_cmpx_gt_u32_e32 9, v1
	s_cbranch_execz .LBB1038_10
; %bb.9:
	s_load_b64 s[6:7], s[0:1], 0x0
	v_add_lshl_u32 v2, v1, s31, 7
	s_waitcnt lgkmcnt(0)
	s_mul_hi_i32 s9, s5, s16
	s_mul_i32 s8, s5, s16
	v_lshlrev_b32_e32 v6, 10, v68
	s_lshl_b64 s[8:9], s[8:9], 1
	v_ashrrev_i32_e32 v3, 31, v2
	v_lshlrev_b32_e32 v1, 6, v1
	v_lshlrev_b32_e32 v7, 10, v67
	v_and_b32_e32 v6, 0x3800, v6
	s_delay_alu instid0(VALU_DEP_4) | instskip(NEXT) | instid1(VALU_DEP_2)
	v_lshlrev_b64 v[2:3], 1, v[2:3]
	v_or3_b32 v1, v6, v7, v1
	s_add_u32 s5, s6, s8
	s_addc_u32 s6, s7, s9
	s_delay_alu instid0(VALU_DEP_2) | instskip(NEXT) | instid1(VALU_DEP_3)
	v_add_co_u32 v2, vcc_lo, s5, v2
	v_add_co_ci_u32_e32 v3, vcc_lo, s6, v3, vcc_lo
	s_delay_alu instid0(VALU_DEP_2) | instskip(NEXT) | instid1(VALU_DEP_2)
	v_add_co_u32 v2, vcc_lo, v2, v65
	v_add_co_ci_u32_e32 v3, vcc_lo, 0, v3, vcc_lo
	global_load_b128 v[2:5], v[2:3], off
	s_waitcnt vmcnt(0)
	ds_store_b128 v1, v[2:5]
.LBB1038_10:
	s_or_b32 exec_lo, exec_lo, s4
	v_and_b32_e32 v1, 0xef, v0
	s_waitcnt lgkmcnt(0)
	s_add_i32 s5, s24, 31
	s_clause 0x1
	s_load_b32 s4, s[0:1], 0x38
	s_load_b32 s33, s[0:1], 0x98
	s_ashr_i32 s6, s5, 31
	v_add_nc_u32_e32 v1, s12, v1
	s_lshr_b32 s6, s6, 27
	s_load_b32 s19, s[0:1], 0x1c
	s_add_i32 s5, s5, s6
	s_waitcnt lgkmcnt(0)
	v_ashrrev_i32_e32 v2, 31, v1
	v_or_b32_e32 v3, 16, v1
	s_ashr_i32 s13, s5, 5
	v_cmp_gt_i32_e32 vcc_lo, s24, v1
	s_add_i32 s13, s13, -1
	v_lshrrev_b32_e32 v2, 27, v2
	s_barrier
	buffer_gl0_inv
	s_mul_i32 s15, s15, s18
	v_add_nc_u32_e32 v4, v1, v2
	s_mul_i32 s4, s34, s4
	s_delay_alu instid0(SALU_CYCLE_1) | instskip(NEXT) | instid1(VALU_DEP_1)
	s_ashr_i32 s5, s4, 31
	v_ashrrev_i32_e32 v4, 5, v4
	v_add_nc_u32_e32 v2, v3, v2
	s_lshl_b64 s[4:5], s[4:5], 2
	s_delay_alu instid0(SALU_CYCLE_1) | instskip(NEXT) | instid1(VALU_DEP_2)
	s_add_u32 s16, s2, s4
	v_cndmask_b32_e32 v1, s13, v4, vcc_lo
	s_delay_alu instid0(VALU_DEP_2)
	v_ashrrev_i32_e32 v2, 5, v2
	v_cmp_gt_i32_e32 vcc_lo, s24, v3
	s_addc_u32 s25, s3, s5
	s_ashr_i32 s18, s15, 31
	s_add_u32 s2, s20, s15
	s_addc_u32 s3, s21, s18
	v_cndmask_b32_e32 v3, s13, v2, vcc_lo
	v_ashrrev_i32_e32 v2, 31, v1
	s_lshl_b32 s4, s14, 3
	s_delay_alu instid0(SALU_CYCLE_1) | instskip(NEXT) | instid1(VALU_DEP_2)
	s_ashr_i32 s5, s4, 31
	v_ashrrev_i32_e32 v4, 31, v3
	s_delay_alu instid0(VALU_DEP_2) | instskip(SKIP_1) | instid1(SALU_CYCLE_1)
	v_lshlrev_b64 v[1:2], 2, v[1:2]
	s_lshl_b64 s[4:5], s[4:5], 2
	s_add_u32 s4, s16, s4
	s_delay_alu instid0(VALU_DEP_2) | instskip(SKIP_1) | instid1(VALU_DEP_2)
	v_lshlrev_b64 v[3:4], 2, v[3:4]
	s_addc_u32 s5, s25, s5
	v_add_co_u32 v1, vcc_lo, s16, v1
	v_add_co_ci_u32_e32 v2, vcc_lo, s25, v2, vcc_lo
	s_delay_alu instid0(VALU_DEP_3) | instskip(NEXT) | instid1(VALU_DEP_4)
	v_add_co_u32 v3, vcc_lo, s16, v3
	v_add_co_ci_u32_e32 v4, vcc_lo, s25, v4, vcc_lo
	s_clause 0x1
	global_load_b32 v5, v[1:2], off
	global_load_b32 v6, v[3:4], off
	s_or_b32 s6, s12, 32
	s_delay_alu instid0(SALU_CYCLE_1) | instskip(SKIP_2) | instid1(SALU_CYCLE_1)
	s_ashr_i32 s7, s6, 5
	s_cmp_lt_i32 s6, s24
	s_cselect_b32 s6, s7, s13
	s_ashr_i32 s7, s6, 31
	s_delay_alu instid0(SALU_CYCLE_1) | instskip(NEXT) | instid1(SALU_CYCLE_1)
	s_lshl_b64 s[6:7], s[6:7], 2
	s_add_u32 s6, s16, s6
	s_addc_u32 s7, s25, s7
	s_or_b32 s8, s12, 64
	s_delay_alu instid0(SALU_CYCLE_1) | instskip(SKIP_2) | instid1(SALU_CYCLE_1)
	s_ashr_i32 s9, s8, 5
	s_cmp_lt_i32 s8, s24
	s_cselect_b32 s8, s9, s13
	s_ashr_i32 s9, s8, 31
	s_delay_alu instid0(SALU_CYCLE_1) | instskip(NEXT) | instid1(SALU_CYCLE_1)
	s_lshl_b64 s[8:9], s[8:9], 2
	s_add_u32 s8, s16, s8
	s_addc_u32 s9, s25, s9
	;; [unrolled: 10-line block ×5, first 2 shown]
	s_clause 0x5
	s_load_b32 s28, s[4:5], 0x0
	s_load_b32 s29, s[6:7], 0x0
	;; [unrolled: 1-line block ×6, first 2 shown]
	s_mov_b32 s4, 0
	s_delay_alu instid0(SALU_CYCLE_1)
	s_mov_b32 s5, s4
	s_mov_b32 s6, s4
	;; [unrolled: 1-line block ×7, first 2 shown]
	s_delay_alu instid0(SALU_CYCLE_1)
	v_dual_mov_b32 v118, s11 :: v_dual_mov_b32 v117, s10
	v_dual_mov_b32 v116, s9 :: v_dual_mov_b32 v115, s8
	v_mov_b32_e32 v113, s6
	v_dual_mov_b32 v111, s4 :: v_dual_mov_b32 v114, s7
	v_mov_b32_e32 v112, s5
	s_waitcnt vmcnt(1)
	v_mad_i64_i32 v[1:2], null, v5, s17, s[2:3]
	v_lshlrev_b32_e32 v5, 4, v68
	s_waitcnt vmcnt(0)
	v_mad_i64_i32 v[3:4], null, v6, s17, s[2:3]
	s_or_b32 s2, s12, 0xc0
	s_delay_alu instid0(SALU_CYCLE_1) | instskip(NEXT) | instid1(VALU_DEP_3)
	s_ashr_i32 s3, s2, 5
	v_add_co_u32 v1, vcc_lo, v1, v5
	s_delay_alu instid0(VALU_DEP_4) | instskip(NEXT) | instid1(VALU_DEP_3)
	v_add_co_ci_u32_e32 v2, vcc_lo, 0, v2, vcc_lo
	v_add_co_u32 v3, vcc_lo, v3, v5
	s_delay_alu instid0(VALU_DEP_4)
	v_add_co_ci_u32_e32 v4, vcc_lo, 0, v4, vcc_lo
	s_clause 0xf
	global_load_b128 v[17:20], v[1:2], off
	global_load_b128 v[21:24], v[1:2], off offset:512
	global_load_b128 v[25:28], v[3:4], off offset:256
	;; [unrolled: 1-line block ×15, first 2 shown]
	s_cmp_lt_i32 s2, s24
	v_add_nc_u32_e32 v1, -9, v68
	s_cselect_b32 s2, s3, s13
	v_cmp_gt_u32_e32 vcc_lo, 9, v68
	s_ashr_i32 s3, s2, 31
	v_lshlrev_b32_e32 v2, 5, v68
	s_lshl_b64 s[2:3], s[2:3], 2
	s_delay_alu instid0(SALU_CYCLE_1)
	s_add_u32 s2, s16, s2
	s_addc_u32 s3, s25, s3
	s_or_b32 s20, s12, 0xe0
	v_cndmask_b32_e32 v1, v1, v68, vcc_lo
	s_ashr_i32 s21, s20, 5
	s_cmp_lt_i32 s20, s24
	s_cselect_b32 s20, s21, s13
	s_delay_alu instid0(VALU_DEP_1)
	v_lshlrev_b32_e32 v149, 6, v1
	s_ashr_i32 s21, s20, 31
	v_lshl_or_b32 v1, v69, 9, v2
	s_lshl_b64 s[4:5], s[20:21], 2
	ds_load_b128 v[119:122], v149
	ds_load_b128 v[123:126], v149 offset:1024
	s_add_u32 s4, s16, s4
	s_addc_u32 s5, s25, s5
	ds_load_b128 v[127:130], v149 offset:2048
	ds_load_b128 v[131:134], v149 offset:3072
	s_clause 0x1
	s_load_b32 s2, s[2:3], 0x0
	s_load_b32 s3, s[4:5], 0x0
	s_add_u32 s6, s22, s15
	s_addc_u32 s7, s23, s18
	v_add_co_u32 v135, s6, s6, v1
	s_delay_alu instid0(VALU_DEP_1) | instskip(SKIP_1) | instid1(VALU_DEP_1)
	v_add_co_ci_u32_e64 v136, null, s7, 0, s6
	s_waitcnt lgkmcnt(0)
	v_mad_i64_i32 v[1:2], null, s28, s17, v[135:136]
	v_mad_i64_i32 v[3:4], null, s29, s17, v[135:136]
	v_mad_i64_i32 v[5:6], null, s30, s17, v[135:136]
	v_mad_i64_i32 v[7:8], null, s35, s17, v[135:136]
	v_mad_i64_i32 v[143:144], null, s26, s17, v[135:136]
	v_mad_i64_i32 v[13:14], null, s36, s17, v[135:136]
	s_clause 0x9
	global_load_b128 v[49:52], v[1:2], off
	global_load_b128 v[53:56], v[1:2], off offset:16
	global_load_b128 v[41:44], v[3:4], off
	global_load_b128 v[45:48], v[3:4], off offset:16
	;; [unrolled: 2-line block ×5, first 2 shown]
	v_mad_i64_i32 v[145:146], null, s2, s17, v[135:136]
	v_mad_i64_i32 v[147:148], null, s3, s17, v[135:136]
	s_waitcnt vmcnt(24)
	v_wmma_f32_16x16x16_f16 v[135:142], v[17:24], v[119:126], v[111:118]
	s_waitcnt vmcnt(22)
	v_wmma_f32_16x16x16_f16 v[111:118], v[25:32], v[119:126], v[111:118]
	s_clause 0x3
	global_load_b128 v[17:20], v[143:144], off
	global_load_b128 v[21:24], v[143:144], off offset:16
	global_load_b128 v[25:28], v[145:146], off
	global_load_b128 v[29:32], v[145:146], off offset:16
	v_and_b32_e32 v119, 0xe0, v0
	s_waitcnt vmcnt(24)
	v_wmma_f32_16x16x16_f16 v[135:142], v[57:64], v[127:134], v[135:142]
	s_clause 0x1
	global_load_b128 v[57:60], v[147:148], off
	global_load_b128 v[61:64], v[147:148], off offset:16
	s_waitcnt vmcnt(24)
	v_wmma_f32_16x16x16_f16 v[111:118], v[71:78], v[127:134], v[111:118]
	ds_load_b128 v[71:74], v149 offset:4096
	ds_load_b128 v[75:78], v149 offset:5120
	v_add_nc_u32_e32 v128, s12, v119
	ds_load_b128 v[119:122], v149 offset:6144
	ds_load_b128 v[123:126], v149 offset:7168
	v_mbcnt_lo_u32_b32 v127, -1, 0
	s_waitcnt vmcnt(0) lgkmcnt(0)
	s_barrier
	v_or_b32_e32 v128, v128, v66
	buffer_gl0_inv
	v_xor_b32_e32 v129, 16, v127
	v_or_b32_e32 v130, 4, v128
	v_or_b32_e32 v131, 6, v128
	s_delay_alu instid0(VALU_DEP_3) | instskip(SKIP_4) | instid1(VALU_DEP_4)
	v_cmp_gt_i32_e32 vcc_lo, 32, v129
	v_or_b32_e32 v132, 8, v128
	v_or_b32_e32 v133, 10, v128
	v_cmp_gt_i32_e64 s3, s24, v130
	v_cmp_gt_i32_e64 s4, s24, v131
	;; [unrolled: 1-line block ×3, first 2 shown]
	v_wmma_f32_16x16x16_f16 v[135:142], v[79:86], v[71:78], v[135:142]
	v_wmma_f32_16x16x16_f16 v[111:118], v[87:94], v[71:78], v[111:118]
	v_or_b32_e32 v79, 12, v128
	v_or_b32_e32 v80, 14, v128
	v_cmp_gt_i32_e64 s6, s24, v133
	v_wmma_f32_16x16x16_f16 v[135:142], v[95:102], v[119:126], v[135:142]
	v_wmma_f32_16x16x16_f16 v[111:118], v[103:110], v[119:126], v[111:118]
	v_cndmask_b32_e32 v127, v127, v129, vcc_lo
	v_or_b32_e32 v129, 2, v128
	v_cmp_gt_i32_e32 vcc_lo, s24, v128
	s_delay_alu instid0(VALU_DEP_4) | instskip(SKIP_1) | instid1(VALU_DEP_4)
	v_dual_mul_f32 v87, s19, v136 :: v_dual_mul_f32 v94, s19, v113
	v_mul_f32_e32 v88, s19, v135
	v_cmp_gt_i32_e64 s2, s24, v129
	v_mul_f32_e32 v78, s19, v138
	v_mul_f32_e32 v86, s19, v137
	;; [unrolled: 1-line block ×3, first 2 shown]
	v_cndmask_b32_e32 v88, 0xff7fffff, v88, vcc_lo
	v_cndmask_b32_e64 v87, 0xff7fffff, v87, s2
	v_dual_mul_f32 v77, s19, v139 :: v_dual_mul_f32 v90, s19, v117
	v_cndmask_b32_e64 v86, 0xff7fffff, v86, s3
	v_cndmask_b32_e64 v78, 0xff7fffff, v78, s4
	s_delay_alu instid0(VALU_DEP_4)
	v_max3_f32 v87, v88, 0xff7fffff, v87
	v_or_b32_e32 v81, 16, v128
	v_or_b32_e32 v82, 18, v128
	v_dual_mul_f32 v74, s19, v142 :: v_dual_mul_f32 v75, s19, v141
	v_mul_f32_e32 v96, s19, v111
	v_cndmask_b32_e64 v77, 0xff7fffff, v77, s5
	v_cndmask_b32_e64 v76, 0xff7fffff, v76, s6
	v_max3_f32 v78, v87, v86, v78
	v_cmp_gt_i32_e64 s7, s24, v79
	v_cmp_gt_i32_e64 s8, s24, v80
	v_or_b32_e32 v83, 20, v128
	v_or_b32_e32 v84, 22, v128
	v_mul_f32_e32 v95, s19, v112
	v_cndmask_b32_e64 v75, 0xff7fffff, v75, s7
	v_cndmask_b32_e64 v74, 0xff7fffff, v74, s8
	v_max3_f32 v76, v78, v77, v76
	v_cmp_gt_i32_e64 s9, s24, v81
	v_cmp_gt_i32_e64 s10, s24, v82
	v_or_b32_e32 v85, 24, v128
	v_or_b32_e32 v71, 26, v128
	;; [unrolled: 8-line block ×3, first 2 shown]
	v_dual_mul_f32 v91, s19, v116 :: v_dual_mul_f32 v92, s19, v115
	v_cndmask_b32_e64 v75, 0xff7fffff, v94, s11
	v_cndmask_b32_e64 v76, 0xff7fffff, v93, s12
	v_max3_f32 v74, v74, v77, v78
	v_cmp_gt_i32_e64 s13, s24, v85
	v_cmp_gt_i32_e64 s15, s24, v71
	v_mul_f32_e32 v89, s19, v118
	v_cmp_gt_i32_e64 s16, s24, v72
	v_max3_f32 v74, v74, v75, v76
	v_cndmask_b32_e64 v77, 0xff7fffff, v92, s13
	v_cndmask_b32_e64 v71, 0xff7fffff, v91, s15
	v_cmp_gt_i32_e64 s17, s24, v73
	v_cndmask_b32_e64 v72, 0xff7fffff, v90, s16
	s_delay_alu instid0(VALU_DEP_3) | instskip(SKIP_1) | instid1(VALU_DEP_4)
	v_max3_f32 v71, v74, v77, v71
	v_lshlrev_b32_e32 v74, 2, v127
	v_cndmask_b32_e64 v73, 0xff7fffff, v89, s17
	s_delay_alu instid0(VALU_DEP_1) | instskip(SKIP_3) | instid1(VALU_DEP_1)
	v_max3_f32 v71, v71, v72, v73
	ds_bpermute_b32 v72, v74, v71
	s_waitcnt lgkmcnt(0)
	v_max_f32_e32 v72, v72, v72
	v_max_f32_e32 v71, v71, v72
	s_delay_alu instid0(VALU_DEP_1) | instskip(SKIP_4) | instid1(VALU_DEP_4)
	v_fma_f32 v72, s19, v135, -v71
	v_fma_f32 v73, s19, v136, -v71
	;; [unrolled: 1-line block ×5, first 2 shown]
	v_dual_mul_f32 v72, 0x3fb8aa3b, v72 :: v_dual_mul_f32 v73, 0x3fb8aa3b, v73
	s_delay_alu instid0(VALU_DEP_3) | instskip(SKIP_1) | instid1(VALU_DEP_3)
	v_dual_mul_f32 v75, 0x3fb8aa3b, v75 :: v_dual_mul_f32 v76, 0x3fb8aa3b, v76
	v_fma_f32 v80, s19, v141, -v71
	v_exp_f32_e32 v72, v72
	s_delay_alu instid0(VALU_DEP_3) | instskip(NEXT) | instid1(VALU_DEP_2)
	v_exp_f32_e32 v73, v73
	v_exp_f32_e32 v75, v75
	;; [unrolled: 1-line block ×3, first 2 shown]
	v_mul_f32_e32 v82, 0x3fb8aa3b, v80
	s_delay_alu instid0(VALU_DEP_1) | instskip(SKIP_4) | instid1(TRANS32_DEP_3)
	v_exp_f32_e32 v84, v82
	v_cndmask_b32_e32 v79, 0, v72, vcc_lo
	v_fma_f32 v72, s19, v140, -v71
	v_mul_f32_e32 v77, 0x3fb8aa3b, v77
	v_cndmask_b32_e64 v78, 0, v73, s2
	v_cndmask_b32_e64 v81, 0, v75, s3
	s_delay_alu instid0(VALU_DEP_4) | instskip(NEXT) | instid1(VALU_DEP_4)
	v_dual_add_f32 v73, 0, v79 :: v_dual_mul_f32 v72, 0x3fb8aa3b, v72
	v_exp_f32_e32 v77, v77
	v_cndmask_b32_e64 v80, 0, v76, s4
	s_delay_alu instid0(TRANS32_DEP_2) | instskip(NEXT) | instid1(VALU_DEP_3)
	v_cndmask_b32_e64 v85, 0, v84, s7
	v_add_f32_e32 v73, v73, v78
	v_exp_f32_e32 v72, v72
	v_cmp_gt_u32_e64 s2, 16, v70
	s_delay_alu instid0(VALU_DEP_2) | instskip(NEXT) | instid1(TRANS32_DEP_2)
	v_add_f32_e32 v73, v73, v81
	v_cndmask_b32_e64 v83, 0, v77, s5
	s_delay_alu instid0(VALU_DEP_2) | instskip(SKIP_3) | instid1(VALU_DEP_1)
	v_add_f32_e32 v73, v73, v80
	s_waitcnt_depctr 0xfff
	v_cndmask_b32_e64 v82, 0, v72, s6
	v_add_f32_e32 v72, v73, v83
	v_add_f32_e32 v72, v72, v82
	s_delay_alu instid0(VALU_DEP_1)
	v_add_f32_e32 v72, v72, v85
	v_fma_f32 v76, s19, v111, -v71
	v_fma_f32 v75, s19, v142, -v71
	v_fma_f32 v77, s19, v112, -v71
	v_fma_f32 v86, s19, v114, -v71
	v_fma_f32 v73, s19, v113, -v71
	s_delay_alu instid0(VALU_DEP_4) | instskip(NEXT) | instid1(VALU_DEP_3)
	v_dual_mul_f32 v76, 0x3fb8aa3b, v76 :: v_dual_mul_f32 v75, 0x3fb8aa3b, v75
	v_mul_f32_e32 v86, 0x3fb8aa3b, v86
	s_delay_alu instid0(VALU_DEP_2) | instskip(NEXT) | instid1(VALU_DEP_2)
	v_exp_f32_e32 v76, v76
	v_exp_f32_e32 v75, v75
	s_delay_alu instid0(VALU_DEP_1) | instskip(NEXT) | instid1(TRANS32_DEP_3)
	v_exp_f32_e32 v88, v86
	v_cndmask_b32_e64 v87, 0, v76, s9
	v_fma_f32 v76, s19, v116, -v71
	v_mul_f32_e32 v77, 0x3fb8aa3b, v77
	s_waitcnt_depctr 0xfff
	v_cndmask_b32_e64 v84, 0, v75, s8
	v_fma_f32 v75, s19, v115, -v71
	v_cndmask_b32_e64 v88, 0, v88, s12
	v_mul_f32_e32 v76, 0x3fb8aa3b, v76
	v_exp_f32_e32 v77, v77
	v_add_f32_e32 v72, v72, v84
	s_delay_alu instid0(VALU_DEP_2) | instskip(NEXT) | instid1(VALU_DEP_1)
	v_exp_f32_e32 v76, v76
	v_add_f32_e32 v72, v72, v87
	s_waitcnt_depctr 0xfff
	v_cndmask_b32_e64 v86, 0, v77, s10
	v_mul_f32_e32 v73, 0x3fb8aa3b, v73
	v_fma_f32 v77, s19, v117, -v71
	v_cndmask_b32_e64 v90, 0, v76, s15
	s_delay_alu instid0(VALU_DEP_4) | instskip(NEXT) | instid1(VALU_DEP_4)
	v_add_f32_e32 v72, v72, v86
	v_exp_f32_e32 v73, v73
	s_waitcnt_depctr 0xfff
	v_cndmask_b32_e64 v89, 0, v73, s11
	s_delay_alu instid0(VALU_DEP_1) | instskip(NEXT) | instid1(VALU_DEP_1)
	v_dual_mul_f32 v75, 0x3fb8aa3b, v75 :: v_dual_add_f32 v72, v72, v89
	v_exp_f32_e32 v75, v75
	v_mul_f32_e32 v73, 0x3fb8aa3b, v77
	v_fma_f32 v77, s19, v118, -v71
	s_delay_alu instid0(VALU_DEP_3) | instskip(NEXT) | instid1(VALU_DEP_3)
	v_add_f32_e32 v72, v72, v88
	v_exp_f32_e32 v73, v73
	s_waitcnt_depctr 0xfff
	v_cndmask_b32_e64 v91, 0, v75, s13
	s_delay_alu instid0(VALU_DEP_1) | instskip(NEXT) | instid1(VALU_DEP_1)
	v_dual_mul_f32 v75, 0x3fb8aa3b, v77 :: v_dual_add_f32 v72, v72, v91
	v_exp_f32_e32 v75, v75
	v_cndmask_b32_e64 v93, 0, v73, s16
	s_delay_alu instid0(VALU_DEP_2) | instskip(NEXT) | instid1(VALU_DEP_1)
	v_add_f32_e32 v72, v72, v90
	v_add_f32_e32 v72, v72, v93
	s_waitcnt_depctr 0xfff
	v_cndmask_b32_e64 v92, 0, v75, s17
	s_delay_alu instid0(VALU_DEP_1)
	v_add_f32_e32 v72, v72, v92
	ds_bpermute_b32 v73, v74, v72
	s_and_saveexec_b32 s3, s2
	s_cbranch_execz .LBB1038_12
; %bb.11:
	v_mul_u32_u24_e32 v70, 0x44, v69
	s_waitcnt lgkmcnt(0)
	v_add_f32_e32 v72, v72, v73
	s_delay_alu instid0(VALU_DEP_2) | instskip(NEXT) | instid1(VALU_DEP_1)
	v_lshl_add_u32 v70, v68, 2, v70
	v_add_nc_u32_e32 v70, 0x4000, v70
	ds_store_2addr_b32 v70, v71, v72 offset1:136
.LBB1038_12:
	s_or_b32 exec_lo, exec_lo, s3
	v_lshlrev_b32_e32 v70, 2, v68
	s_load_b32 s35, s[0:1], 0x94
	s_waitcnt lgkmcnt(0)
	s_barrier
	buffer_gl0_inv
	v_add_nc_u32_e32 v98, 0x4000, v70
	v_cmp_eq_u32_e32 vcc_lo, 1, v69
	v_cmp_eq_u32_e64 s3, 2, v69
	v_cmp_eq_u32_e64 s4, 3, v69
	;; [unrolled: 1-line block ×3, first 2 shown]
	ds_load_2addr_b32 v[70:71], v98 offset1:17
	ds_load_2addr_b32 v[72:73], v98 offset0:34 offset1:51
	ds_load_2addr_b32 v[74:75], v98 offset0:68 offset1:85
	;; [unrolled: 1-line block ×3, first 2 shown]
	v_cmp_eq_u32_e64 s6, 5, v69
	v_cmp_eq_u32_e64 s7, 7, v69
	s_waitcnt lgkmcnt(3)
	v_max3_f32 v76, v70, 0xff7fffff, v71
	s_waitcnt lgkmcnt(2)
	s_delay_alu instid0(VALU_DEP_1) | instskip(SKIP_1) | instid1(VALU_DEP_1)
	v_max3_f32 v76, v76, v72, v73
	s_waitcnt lgkmcnt(1)
	v_max3_f32 v76, v76, v74, v75
	s_waitcnt lgkmcnt(0)
	s_delay_alu instid0(VALU_DEP_1) | instskip(NEXT) | instid1(VALU_DEP_1)
	v_max3_f32 v76, v76, v94, v95
	v_sub_f32_e32 v77, v71, v76
	ds_load_2addr_b32 v[96:97], v98 offset0:136 offset1:153
	v_sub_f32_e32 v74, v74, v76
	v_sub_f32_e32 v70, v70, v76
	;; [unrolled: 1-line block ×3, first 2 shown]
	v_dual_sub_f32 v72, v72, v76 :: v_dual_mul_f32 v77, 0x3fb8aa3b, v77
	s_delay_alu instid0(VALU_DEP_4) | instskip(NEXT) | instid1(VALU_DEP_4)
	v_mul_f32_e32 v103, 0x3fb8aa3b, v74
	v_mul_f32_e32 v99, 0x3fb8aa3b, v70
	ds_load_2addr_b32 v[70:71], v98 offset0:170 offset1:187
	v_dual_mul_f32 v101, 0x3fb8aa3b, v72 :: v_dual_mul_f32 v94, 0x3fb8aa3b, v94
	v_exp_f32_e32 v102, v77
	v_exp_f32_e32 v99, v99
	s_delay_alu instid0(VALU_DEP_1) | instskip(NEXT) | instid1(VALU_DEP_1)
	v_exp_f32_e32 v101, v101
	v_exp_f32_e32 v94, v94
	s_waitcnt lgkmcnt(1)
	s_delay_alu instid0(TRANS32_DEP_3)
	v_fma_f32 v77, v99, v96, 0
	v_sub_f32_e32 v100, v73, v76
	ds_load_2addr_b32 v[72:73], v98 offset0:204 offset1:221
	v_fmac_f32_e32 v77, v102, v97
	v_exp_f32_e32 v97, v103
	s_waitcnt lgkmcnt(1)
	s_delay_alu instid0(VALU_DEP_1)
	v_dual_fmac_f32 v77, v101, v70 :: v_dual_sub_f32 v96, v75, v76
	ds_load_2addr_b32 v[74:75], v98 offset0:238 offset1:255
	v_sub_f32_e32 v70, v95, v76
	s_waitcnt lgkmcnt(0)
	s_barrier
	v_mul_f32_e32 v96, 0x3fb8aa3b, v96
	buffer_gl0_inv
	v_exp_f32_e32 v95, v96
	v_mul_f32_e32 v100, 0x3fb8aa3b, v100
	s_delay_alu instid0(VALU_DEP_1) | instskip(SKIP_3) | instid1(VALU_DEP_2)
	v_exp_f32_e32 v100, v100
	s_waitcnt_depctr 0xfff
	v_dual_fmac_f32 v77, v100, v71 :: v_dual_mul_f32 v70, 0x3fb8aa3b, v70
	v_cndmask_b32_e32 v71, v99, v102, vcc_lo
	v_fmac_f32_e32 v77, v97, v72
	s_delay_alu instid0(VALU_DEP_3) | instskip(NEXT) | instid1(VALU_DEP_1)
	v_exp_f32_e32 v96, v70
	v_fmac_f32_e32 v77, v95, v73
	s_delay_alu instid0(VALU_DEP_1) | instskip(SKIP_2) | instid1(VALU_DEP_1)
	v_fmac_f32_e32 v77, v94, v74
	s_waitcnt_depctr 0xfff
	v_fmac_f32_e32 v77, v96, v75
	v_add_f32_e32 v74, 0x358637bd, v77
	s_delay_alu instid0(VALU_DEP_1) | instskip(SKIP_1) | instid1(VALU_DEP_2)
	v_div_scale_f32 v98, null, v74, v74, 1.0
	v_div_scale_f32 v99, vcc_lo, 1.0, v74, 1.0
	v_rcp_f32_e32 v103, v98
	s_waitcnt_depctr 0xfff
	v_fma_f32 v70, -v98, v103, 1.0
	s_delay_alu instid0(VALU_DEP_1) | instskip(SKIP_2) | instid1(VALU_DEP_2)
	v_fmac_f32_e32 v103, v70, v103
	v_cndmask_b32_e64 v70, v71, v101, s3
	v_cmp_eq_u32_e64 s3, 6, v69
	v_cndmask_b32_e64 v71, v70, v100, s4
	s_delay_alu instid0(VALU_DEP_4) | instskip(NEXT) | instid1(VALU_DEP_2)
	v_dual_mul_f32 v101, v99, v103 :: v_dual_lshlrev_b32 v70, 2, v66
	v_cndmask_b32_e64 v71, v71, v97, s5
	s_delay_alu instid0(VALU_DEP_2) | instskip(NEXT) | instid1(VALU_DEP_3)
	v_or_b32_e32 v72, 1, v70
	v_fma_f32 v100, -v98, v101, v99
	v_cmp_eq_u32_e64 s4, 1, v70
	v_cmp_eq_u32_e64 s5, 2, v70
	v_cndmask_b32_e64 v95, v71, v95, s6
	v_or_b32_e32 v71, 3, v70
	v_fmac_f32_e32 v101, v100, v103
	v_cmp_eq_u32_e64 s9, 1, v72
	v_cmp_eq_u32_e64 s12, 2, v72
	v_cndmask_b32_e64 v94, v95, v94, s3
	v_cmp_eq_u32_e64 s11, 1, v71
	v_fma_f32 v97, -v98, v101, v99
	v_cmp_eq_u32_e64 s16, 2, v71
	v_cmp_eq_u32_e64 s13, 3, v72
	v_cndmask_b32_e64 v94, v94, v96, s7
	v_cmp_eq_u32_e64 s18, 3, v71
	v_div_fmas_f32 v95, v97, v103, v101
	v_cmp_eq_u32_e32 vcc_lo, 3, v70
	v_cmp_eq_u32_e64 s3, 4, v70
	v_cmp_eq_u32_e64 s19, 4, v72
	;; [unrolled: 1-line block ×3, first 2 shown]
	v_div_fixup_f32 v95, v95, v74, 1.0
	v_lshlrev_b32_e32 v73, 6, v68
	v_cmp_eq_u32_e64 s6, 5, v70
	v_cmp_eq_u32_e64 s20, 5, v72
	;; [unrolled: 1-line block ×3, first 2 shown]
	v_mul_f32_e32 v102, v94, v95
	v_lshl_or_b32 v75, v69, 11, v73
	v_or_b32_e32 v69, 2, v70
	v_cmp_eq_u32_e64 s25, 6, v72
	v_cmp_eq_u32_e64 s27, 6, v71
	v_fma_mixlo_f16 v94, v102, v79, 0
	v_fma_mixlo_f16 v95, v102, v81, 0
	v_fma_mixlo_f16 v96, v102, v83, 0
	v_fma_mixlo_f16 v97, v102, v85, 0
	v_fma_mixlo_f16 v98, v102, v87, 0
	v_fma_mixlo_f16 v99, v102, v89, 0
	v_fma_mixlo_f16 v100, v102, v91, 0
	v_fma_mixlo_f16 v101, v102, v93, 0
	v_lshl_or_b32 v74, v66, 4, v75
	v_fma_mixhi_f16 v94, v102, v78, 0
	v_fma_mixhi_f16 v95, v102, v80, 0
	;; [unrolled: 1-line block ×8, first 2 shown]
	ds_store_b128 v74, v[94:97]
	ds_store_b128 v74, v[98:101] offset:1024
	s_waitcnt lgkmcnt(0)
	s_barrier
	buffer_gl0_inv
	ds_load_b128 v[78:81], v75
	ds_load_b128 v[82:85], v75 offset:16
	ds_load_b128 v[86:89], v75 offset:1024
	;; [unrolled: 1-line block ×3, first 2 shown]
	v_cmp_eq_u32_e64 s10, 1, v69
	v_cmp_eq_u32_e64 s15, 2, v69
	;; [unrolled: 1-line block ×11, first 2 shown]
	s_waitcnt lgkmcnt(3)
	v_lshrrev_b32_e32 v94, 16, v78
	s_waitcnt lgkmcnt(2)
	v_lshrrev_b32_e32 v98, 16, v82
	;; [unrolled: 2-line block ×4, first 2 shown]
	v_lshrrev_b32_e32 v95, 16, v79
	v_cndmask_b32_e64 v110, v78, v94, s4
	v_cndmask_b32_e64 v111, v82, v98, s4
	;; [unrolled: 1-line block ×8, first 2 shown]
	v_lshrrev_b32_e32 v99, 16, v83
	v_cndmask_b32_e64 v94, v86, v102, s4
	v_cndmask_b32_e64 v98, v90, v106, s4
	;; [unrolled: 1-line block ×15, first 2 shown]
	v_lshrrev_b32_e32 v103, 16, v87
	v_lshrrev_b32_e32 v107, 16, v91
	v_cndmask_b32_e64 v113, v115, v83, s15
	v_cndmask_b32_e64 v82, v94, v87, s5
	;; [unrolled: 1-line block ×7, first 2 shown]
	v_cndmask_b32_e32 v90, v102, v95, vcc_lo
	v_cndmask_b32_e32 v102, v106, v99, vcc_lo
	v_cndmask_b32_e64 v106, v110, v95, s13
	v_cndmask_b32_e64 v110, v111, v99, s13
	;; [unrolled: 1-line block ×4, first 2 shown]
	v_lshrrev_b32_e32 v96, 16, v80
	v_lshrrev_b32_e32 v100, 16, v84
	v_cndmask_b32_e64 v111, v112, v95, s17
	v_cndmask_b32_e64 v112, v113, v99, s17
	v_cndmask_b32_e32 v82, v82, v103, vcc_lo
	v_cndmask_b32_e32 v83, v83, v107, vcc_lo
	v_cndmask_b32_e64 v94, v94, v103, s13
	v_cndmask_b32_e64 v90, v90, v80, s3
	v_cndmask_b32_e64 v95, v102, v84, s3
	v_cndmask_b32_e64 v99, v106, v80, s19
	v_cndmask_b32_e64 v102, v110, v84, s19
	v_cndmask_b32_e64 v78, v78, v80, s22
	v_cndmask_b32_e64 v79, v79, v84, s22
	v_lshrrev_b32_e32 v104, 16, v88
	v_cndmask_b32_e64 v106, v111, v80, s21
	v_cndmask_b32_e64 v110, v112, v84, s21
	;; [unrolled: 1-line block ×11, first 2 shown]
	v_lshrrev_b32_e32 v97, 16, v81
	v_lshrrev_b32_e32 v101, 16, v85
	v_cndmask_b32_e64 v99, v106, v96, s23
	v_cndmask_b32_e64 v102, v110, v100, s23
	v_cndmask_b32_e64 v83, v83, v104, s20
	v_cndmask_b32_e64 v94, v94, v81, s25
	v_cndmask_b32_e64 v95, v95, v85, s25
	v_cndmask_b32_e64 v78, v78, v81, s27
	v_cndmask_b32_e64 v79, v79, v85, s27
	v_lshrrev_b32_e32 v105, 16, v89
	v_cndmask_b32_e64 v80, v80, v104, s6
	v_cndmask_b32_e64 v84, v84, v81, s7
	;; [unrolled: 1-line block ×16, first 2 shown]
	v_perm_b32 v81, v79, v78, 0x5040100
	v_perm_b32 v79, v95, v85, 0x5040100
	v_cndmask_b32_e64 v78, v119, v91, s15
	v_cndmask_b32_e64 v85, v117, v91, s12
	;; [unrolled: 1-line block ×3, first 2 shown]
	v_perm_b32 v80, v94, v90, 0x5040100
	v_cndmask_b32_e64 v90, v98, v103, s17
	v_cndmask_b32_e64 v86, v86, v103, s18
	;; [unrolled: 1-line block ×5, first 2 shown]
	v_lshrrev_b32_e32 v108, 16, v92
	v_cndmask_b32_e64 v90, v90, v88, s21
	v_cndmask_b32_e64 v86, v86, v88, s22
	;; [unrolled: 1-line block ×11, first 2 shown]
	v_lshrrev_b32_e32 v109, 16, v93
	v_cndmask_b32_e64 v82, v82, v93, s7
	v_cndmask_b32_e64 v88, v88, v89, s26
	;; [unrolled: 1-line block ×12, first 2 shown]
	v_perm_b32 v78, v84, v83, 0x5040100
	v_perm_b32 v85, v87, v86, 0x5040100
	v_perm_b32 v84, v89, v88, 0x5040100
	v_perm_b32 v83, v90, v97, 0x5040100
	v_perm_b32 v82, v82, v96, 0x5040100
	s_mul_i32 s8, s33, 9
	s_mov_b32 s3, exec_lo
	ds_store_b128 v74, v[78:81]
	ds_store_b128 v74, v[82:85] offset:1024
	v_cmpx_gt_u32_e32 9, v0
	s_cbranch_execz .LBB1038_14
; %bb.13:
	s_mul_i32 s4, s8, s34
	s_delay_alu instid0(SALU_CYCLE_1) | instskip(SKIP_1) | instid1(VALU_DEP_1)
	v_add3_u32 v68, s4, s31, v68
	s_load_b128 s[4:7], s[0:1], 0x58
	v_mad_u64_u32 v[78:79], null, v68, s35, s[14:15]
	s_delay_alu instid0(VALU_DEP_1) | instskip(NEXT) | instid1(VALU_DEP_1)
	v_ashrrev_i32_e32 v79, 31, v78
	v_lshlrev_b64 v[78:79], 2, v[78:79]
	s_waitcnt lgkmcnt(0)
	s_delay_alu instid0(VALU_DEP_1) | instskip(NEXT) | instid1(VALU_DEP_2)
	v_add_co_u32 v80, vcc_lo, s6, v78
	v_add_co_ci_u32_e32 v81, vcc_lo, s7, v79, vcc_lo
	v_add_co_u32 v78, vcc_lo, s4, v78
	v_add_co_ci_u32_e32 v79, vcc_lo, s5, v79, vcc_lo
	global_store_b32 v[80:81], v76, off
	global_store_b32 v[78:79], v77, off
.LBB1038_14:
	s_or_b32 exec_lo, exec_lo, s3
	s_waitcnt lgkmcnt(0)
	s_waitcnt_vscnt null, 0x0
	s_barrier
	buffer_gl0_inv
	ds_load_b128 v[84:87], v73
	ds_load_b128 v[88:91], v73 offset:16
	ds_load_b128 v[96:99], v73 offset:2064
	;; [unrolled: 1-line block ×5, first 2 shown]
	v_cmp_eq_u32_e32 vcc_lo, 1, v70
	v_mov_b32_e32 v76, 0
	ds_load_b128 v[112:115], v73 offset:6160
	ds_load_b128 v[108:111], v73 offset:6144
	;; [unrolled: 1-line block ×4, first 2 shown]
	v_cmp_eq_u32_e64 s4, 1, v69
	v_cmp_eq_u32_e64 s3, 1, v72
	;; [unrolled: 1-line block ×3, first 2 shown]
	v_mov_b32_e32 v77, v76
	v_mov_b32_e32 v78, v76
	;; [unrolled: 1-line block ×7, first 2 shown]
	v_cmp_eq_u32_e64 s6, 3, v72
	v_cmp_eq_u32_e64 s7, 7, v72
	s_waitcnt lgkmcnt(8)
	s_delay_alu instid0(VALU_DEP_3)
	v_wmma_f32_16x16x16_f16 v[76:83], v[49:56], v[84:91], v[76:83]
	ds_load_b128 v[53:56], v73 offset:10256
	ds_load_b128 v[49:52], v73 offset:10240
	s_waitcnt lgkmcnt(8)
	v_wmma_f32_16x16x16_f16 v[76:83], v[41:48], v[92:99], v[76:83]
	ds_load_b128 v[45:48], v73 offset:12304
	ds_load_b128 v[41:44], v73 offset:12288
	s_waitcnt lgkmcnt(8)
	;; [unrolled: 4-line block ×3, first 2 shown]
	s_barrier
	buffer_gl0_inv
	v_wmma_f32_16x16x16_f16 v[76:83], v[1:8], v[108:115], v[76:83]
	s_delay_alu instid0(VALU_DEP_1) | instskip(NEXT) | instid1(VALU_DEP_1)
	v_wmma_f32_16x16x16_f16 v[76:83], v[9:16], v[116:123], v[76:83]
	v_wmma_f32_16x16x16_f16 v[76:83], v[17:24], v[49:56], v[76:83]
	s_delay_alu instid0(VALU_DEP_1) | instskip(NEXT) | instid1(VALU_DEP_1)
	v_wmma_f32_16x16x16_f16 v[76:83], v[25:32], v[41:48], v[76:83]
	v_wmma_f32_16x16x16_f16 v[76:83], v[57:64], v[33:40], v[76:83]
	s_delay_alu instid0(VALU_DEP_1) | instskip(NEXT) | instid1(VALU_DEP_2)
	v_cvt_f16_f32_e32 v1, v76
	v_cvt_f16_f32_e32 v2, v77
	s_delay_alu instid0(VALU_DEP_3) | instskip(NEXT) | instid1(VALU_DEP_4)
	v_cvt_f16_f32_e32 v3, v78
	v_cvt_f16_f32_e32 v4, v79
	;; [unrolled: 1-line block ×6, first 2 shown]
	v_pack_b32_f16 v1, v1, v2
	v_pack_b32_f16 v2, v3, v4
	;; [unrolled: 1-line block ×3, first 2 shown]
	s_delay_alu instid0(VALU_DEP_4)
	v_pack_b32_f16 v4, v7, v8
	ds_store_b128 v74, v[1:4]
	s_waitcnt lgkmcnt(0)
	s_barrier
	buffer_gl0_inv
	ds_load_b128 v[1:4], v75
	ds_load_b128 v[5:8], v75 offset:16
	s_waitcnt lgkmcnt(1)
	v_lshrrev_b32_e32 v9, 16, v1
	s_waitcnt lgkmcnt(0)
	v_lshrrev_b32_e32 v13, 16, v5
	v_lshrrev_b32_e32 v10, 16, v2
	;; [unrolled: 1-line block ×4, first 2 shown]
	v_cndmask_b32_e32 v17, v1, v9, vcc_lo
	v_cndmask_b32_e32 v18, v5, v13, vcc_lo
	v_cndmask_b32_e64 v21, v1, v9, s4
	v_cmp_eq_u32_e32 vcc_lo, 1, v71
	v_cndmask_b32_e64 v22, v5, v13, s4
	v_cmp_eq_u32_e64 s4, 2, v70
	v_cndmask_b32_e64 v19, v1, v9, s3
	v_cndmask_b32_e64 v20, v5, v13, s3
	v_cndmask_b32_e32 v1, v1, v9, vcc_lo
	v_cmp_eq_u32_e64 s3, 2, v71
	v_cndmask_b32_e32 v5, v5, v13, vcc_lo
	v_cndmask_b32_e64 v9, v17, v2, s4
	v_cmp_eq_u32_e32 vcc_lo, 3, v70
	v_cndmask_b32_e64 v13, v18, v6, s4
	v_cmp_eq_u32_e64 s4, 2, v69
	v_cndmask_b32_e64 v17, v19, v2, s5
	v_cndmask_b32_e64 v18, v20, v6, s5
	v_cmp_eq_u32_e64 s5, 3, v69
	v_cndmask_b32_e64 v1, v1, v2, s3
	v_cndmask_b32_e64 v19, v21, v2, s4
	;; [unrolled: 1-line block ×4, first 2 shown]
	v_cndmask_b32_e32 v5, v9, v10, vcc_lo
	v_cndmask_b32_e32 v6, v13, v14, vcc_lo
	v_cmp_eq_u32_e32 vcc_lo, 3, v71
	v_cndmask_b32_e64 v9, v17, v10, s6
	v_cndmask_b32_e64 v13, v18, v14, s6
	;; [unrolled: 1-line block ×3, first 2 shown]
	v_cmp_eq_u32_e64 s4, 4, v70
	v_cndmask_b32_e32 v1, v1, v10, vcc_lo
	v_cndmask_b32_e32 v2, v2, v14, vcc_lo
	v_cmp_eq_u32_e32 vcc_lo, 4, v72
	v_lshrrev_b32_e32 v15, 16, v7
	v_lshrrev_b32_e32 v16, 16, v8
	v_cndmask_b32_e64 v17, v19, v10, s5
	v_cmp_eq_u32_e64 s3, 4, v71
	v_cndmask_b32_e64 v5, v5, v3, s4
	v_cndmask_b32_e64 v6, v6, v7, s4
	v_cndmask_b32_e32 v9, v9, v3, vcc_lo
	v_cmp_eq_u32_e64 s4, 5, v72
	v_cndmask_b32_e32 v10, v13, v7, vcc_lo
	v_cmp_eq_u32_e32 vcc_lo, 4, v69
	v_cmp_eq_u32_e64 s5, 5, v70
	v_cndmask_b32_e64 v2, v2, v7, s3
	v_cndmask_b32_e64 v9, v9, v11, s4
	;; [unrolled: 1-line block ×3, first 2 shown]
	v_cndmask_b32_e32 v13, v17, v3, vcc_lo
	v_cmp_eq_u32_e64 s4, 5, v69
	v_cndmask_b32_e32 v14, v18, v7, vcc_lo
	v_cndmask_b32_e64 v1, v1, v3, s3
	v_cmp_eq_u32_e32 vcc_lo, 5, v71
	v_lshrrev_b32_e32 v12, 16, v4
	v_cndmask_b32_e64 v13, v13, v11, s4
	v_cndmask_b32_e64 v3, v14, v15, s4
	v_cmp_eq_u32_e64 s4, 6, v71
	v_cndmask_b32_e32 v1, v1, v11, vcc_lo
	v_cndmask_b32_e64 v5, v5, v11, s5
	v_cmp_eq_u32_e64 s6, 6, v70
	v_cndmask_b32_e64 v6, v6, v15, s5
	v_cmp_eq_u32_e64 s5, 6, v72
	v_cmp_eq_u32_e64 s3, 6, v69
	v_cndmask_b32_e64 v1, v1, v4, s4
	v_cndmask_b32_e32 v2, v2, v15, vcc_lo
	v_cmp_eq_u32_e32 vcc_lo, 7, v71
	v_cndmask_b32_e64 v5, v5, v4, s6
	v_cndmask_b32_e64 v9, v9, v4, s5
	;; [unrolled: 1-line block ×3, first 2 shown]
	v_cmp_eq_u32_e64 s6, 7, v70
	v_cndmask_b32_e32 v1, v1, v12, vcc_lo
	v_cndmask_b32_e64 v7, v13, v4, s3
	v_cndmask_b32_e64 v3, v3, v8, s3
	;; [unrolled: 1-line block ×3, first 2 shown]
	v_cmp_eq_u32_e64 s3, 7, v69
	v_cndmask_b32_e64 v4, v10, v8, s5
	v_cndmask_b32_e64 v5, v5, v12, s6
	;; [unrolled: 1-line block ×3, first 2 shown]
	v_cndmask_b32_e32 v2, v2, v16, vcc_lo
	v_cndmask_b32_e64 v7, v7, v12, s3
	v_cndmask_b32_e64 v3, v3, v16, s3
	;; [unrolled: 1-line block ×4, first 2 shown]
	v_perm_b32 v4, v2, v1, 0x5040100
	s_mov_b32 s3, exec_lo
	v_perm_b32 v3, v3, v7, 0x5040100
	v_perm_b32 v2, v8, v9, 0x5040100
	;; [unrolled: 1-line block ×3, first 2 shown]
	ds_store_b128 v74, v[1:4]
	s_waitcnt lgkmcnt(0)
	s_barrier
	buffer_gl0_inv
	v_cmpx_gt_u32_e32 32, v0
	s_cbranch_execz .LBB1038_2
; %bb.15:
	s_load_b64 s[4:5], s[0:1], 0x68
	v_lshlrev_b32_e32 v0, 10, v0
	v_lshlrev_b32_e32 v1, 4, v67
	s_lshl_b32 s0, s35, 7
	v_add_nc_u32_e32 v2, s31, v66
	s_mul_i32 s1, s0, s34
	s_delay_alu instid0(SALU_CYCLE_1) | instskip(SKIP_1) | instid1(VALU_DEP_2)
	s_mul_i32 s6, s1, s8
	v_and_or_b32 v0, 0x3800, v0, v1
	v_mul_lo_u32 v1, v2, s0
	s_ashr_i32 s7, s6, 31
	v_add_nc_u32_e32 v3, 2, v2
	s_lshl_b64 s[6:7], s[6:7], 1
	v_add_nc_u32_e32 v4, 4, v2
	v_add_nc_u32_e32 v5, 6, v2
	v_lshl_or_b32 v15, v66, 6, v0
	v_mul_lo_u32 v3, v3, s0
	v_ashrrev_i32_e32 v2, 31, v1
	v_mul_lo_u32 v19, v4, s0
	v_mul_lo_u32 v21, v5, s0
	s_waitcnt lgkmcnt(0)
	s_add_u32 s1, s4, s6
	s_addc_u32 s3, s5, s7
	s_lshl_b32 s4, s14, 7
	v_lshlrev_b64 v[5:6], 1, v[1:2]
	s_ashr_i32 s5, s4, 31
	v_ashrrev_i32_e32 v4, 31, v3
	s_lshl_b64 s[4:5], s[4:5], 1
	v_ashrrev_i32_e32 v20, 31, v19
	s_add_u32 s1, s1, s4
	s_addc_u32 s3, s3, s5
	v_add_co_u32 v1, s1, s1, v65
	s_delay_alu instid0(VALU_DEP_1) | instskip(SKIP_1) | instid1(VALU_DEP_3)
	v_add_co_ci_u32_e64 v2, null, s3, 0, s1
	v_lshlrev_b64 v[25:26], 1, v[3:4]
	v_add_co_u32 v23, vcc_lo, v1, v5
	s_delay_alu instid0(VALU_DEP_3)
	v_add_co_ci_u32_e32 v24, vcc_lo, v2, v6, vcc_lo
	ds_load_b128 v[3:6], v15
	ds_load_b128 v[7:10], v15 offset:128
	ds_load_b128 v[11:14], v15 offset:256
	;; [unrolled: 1-line block ×3, first 2 shown]
	v_ashrrev_i32_e32 v22, 31, v21
	v_lshlrev_b64 v[19:20], 1, v[19:20]
	v_add_co_u32 v25, vcc_lo, v1, v25
	v_add_co_ci_u32_e32 v26, vcc_lo, v2, v26, vcc_lo
	s_delay_alu instid0(VALU_DEP_4) | instskip(NEXT) | instid1(VALU_DEP_4)
	v_lshlrev_b64 v[21:22], 1, v[21:22]
	v_add_co_u32 v19, vcc_lo, v1, v19
	v_add_co_ci_u32_e32 v20, vcc_lo, v2, v20, vcc_lo
	s_delay_alu instid0(VALU_DEP_3) | instskip(NEXT) | instid1(VALU_DEP_4)
	v_add_co_u32 v21, vcc_lo, v1, v21
	v_add_co_ci_u32_e32 v22, vcc_lo, v2, v22, vcc_lo
	s_waitcnt lgkmcnt(3)
	global_store_b128 v[23:24], v[3:6], off
	s_waitcnt lgkmcnt(2)
	global_store_b128 v[25:26], v[7:10], off
	;; [unrolled: 2-line block ×4, first 2 shown]
	s_and_b32 exec_lo, exec_lo, s2
	s_cbranch_execz .LBB1038_2
; %bb.16:
	ds_load_b128 v[3:6], v0 offset:512
	s_add_i32 s1, s31, 8
	s_delay_alu instid0(SALU_CYCLE_1) | instskip(NEXT) | instid1(SALU_CYCLE_1)
	s_mul_i32 s0, s1, s0
	s_ashr_i32 s1, s0, 31
	s_delay_alu instid0(SALU_CYCLE_1) | instskip(NEXT) | instid1(SALU_CYCLE_1)
	s_lshl_b64 s[0:1], s[0:1], 1
	v_add_co_u32 v0, vcc_lo, v1, s0
	v_add_co_ci_u32_e32 v1, vcc_lo, s1, v2, vcc_lo
	s_waitcnt lgkmcnt(0)
	global_store_b128 v[0:1], v[3:6], off
	s_nop 0
	s_sendmsg sendmsg(MSG_DEALLOC_VGPRS)
	s_endpgm
	.section	.rodata,"a",@progbits
	.p2align	6, 0x0
	.amdhsa_kernel _Z39paged_attention_ll4mi_QKV_mfma16_kernelIDF16_hLN4vllm18Fp8KVCacheDataTypeE1EhLi32ELi128ELi256ELb0ELi9EL8MFMAType1EEvPKT_PKT0_S8_ifPKiSA_SA_iPKfiiiPfSD_PS3_PT2_iSC_SC_
		.amdhsa_group_segment_fixed_size 17472
		.amdhsa_private_segment_fixed_size 0
		.amdhsa_kernarg_size 400
		.amdhsa_user_sgpr_count 13
		.amdhsa_user_sgpr_dispatch_ptr 0
		.amdhsa_user_sgpr_queue_ptr 0
		.amdhsa_user_sgpr_kernarg_segment_ptr 1
		.amdhsa_user_sgpr_dispatch_id 0
		.amdhsa_user_sgpr_private_segment_size 0
		.amdhsa_wavefront_size32 1
		.amdhsa_uses_dynamic_stack 0
		.amdhsa_enable_private_segment 0
		.amdhsa_system_sgpr_workgroup_id_x 1
		.amdhsa_system_sgpr_workgroup_id_y 1
		.amdhsa_system_sgpr_workgroup_id_z 1
		.amdhsa_system_sgpr_workgroup_info 0
		.amdhsa_system_vgpr_workitem_id 0
		.amdhsa_next_free_vgpr 150
		.amdhsa_next_free_sgpr 37
		.amdhsa_reserve_vcc 1
		.amdhsa_float_round_mode_32 0
		.amdhsa_float_round_mode_16_64 0
		.amdhsa_float_denorm_mode_32 3
		.amdhsa_float_denorm_mode_16_64 3
		.amdhsa_dx10_clamp 1
		.amdhsa_ieee_mode 1
		.amdhsa_fp16_overflow 0
		.amdhsa_workgroup_processor_mode 1
		.amdhsa_memory_ordered 1
		.amdhsa_forward_progress 0
		.amdhsa_shared_vgpr_count 0
		.amdhsa_exception_fp_ieee_invalid_op 0
		.amdhsa_exception_fp_denorm_src 0
		.amdhsa_exception_fp_ieee_div_zero 0
		.amdhsa_exception_fp_ieee_overflow 0
		.amdhsa_exception_fp_ieee_underflow 0
		.amdhsa_exception_fp_ieee_inexact 0
		.amdhsa_exception_int_div_zero 0
	.end_amdhsa_kernel
	.section	.text._Z39paged_attention_ll4mi_QKV_mfma16_kernelIDF16_hLN4vllm18Fp8KVCacheDataTypeE1EhLi32ELi128ELi256ELb0ELi9EL8MFMAType1EEvPKT_PKT0_S8_ifPKiSA_SA_iPKfiiiPfSD_PS3_PT2_iSC_SC_,"axG",@progbits,_Z39paged_attention_ll4mi_QKV_mfma16_kernelIDF16_hLN4vllm18Fp8KVCacheDataTypeE1EhLi32ELi128ELi256ELb0ELi9EL8MFMAType1EEvPKT_PKT0_S8_ifPKiSA_SA_iPKfiiiPfSD_PS3_PT2_iSC_SC_,comdat
.Lfunc_end1038:
	.size	_Z39paged_attention_ll4mi_QKV_mfma16_kernelIDF16_hLN4vllm18Fp8KVCacheDataTypeE1EhLi32ELi128ELi256ELb0ELi9EL8MFMAType1EEvPKT_PKT0_S8_ifPKiSA_SA_iPKfiiiPfSD_PS3_PT2_iSC_SC_, .Lfunc_end1038-_Z39paged_attention_ll4mi_QKV_mfma16_kernelIDF16_hLN4vllm18Fp8KVCacheDataTypeE1EhLi32ELi128ELi256ELb0ELi9EL8MFMAType1EEvPKT_PKT0_S8_ifPKiSA_SA_iPKfiiiPfSD_PS3_PT2_iSC_SC_
                                        ; -- End function
	.section	.AMDGPU.csdata,"",@progbits
; Kernel info:
; codeLenInByte = 6744
; NumSgprs: 39
; NumVgprs: 150
; ScratchSize: 0
; MemoryBound: 0
; FloatMode: 240
; IeeeMode: 1
; LDSByteSize: 17472 bytes/workgroup (compile time only)
; SGPRBlocks: 4
; VGPRBlocks: 18
; NumSGPRsForWavesPerEU: 39
; NumVGPRsForWavesPerEU: 150
; Occupancy: 9
; WaveLimiterHint : 1
; COMPUTE_PGM_RSRC2:SCRATCH_EN: 0
; COMPUTE_PGM_RSRC2:USER_SGPR: 13
; COMPUTE_PGM_RSRC2:TRAP_HANDLER: 0
; COMPUTE_PGM_RSRC2:TGID_X_EN: 1
; COMPUTE_PGM_RSRC2:TGID_Y_EN: 1
; COMPUTE_PGM_RSRC2:TGID_Z_EN: 1
; COMPUTE_PGM_RSRC2:TIDIG_COMP_CNT: 0
	.section	.text._Z39paged_attention_ll4mi_QKV_mfma16_kernelIDF16_hLN4vllm18Fp8KVCacheDataTypeE1EhLi32ELi128ELi256ELb0ELi10EL8MFMAType1EEvPKT_PKT0_S8_ifPKiSA_SA_iPKfiiiPfSD_PS3_PT2_iSC_SC_,"axG",@progbits,_Z39paged_attention_ll4mi_QKV_mfma16_kernelIDF16_hLN4vllm18Fp8KVCacheDataTypeE1EhLi32ELi128ELi256ELb0ELi10EL8MFMAType1EEvPKT_PKT0_S8_ifPKiSA_SA_iPKfiiiPfSD_PS3_PT2_iSC_SC_,comdat
	.protected	_Z39paged_attention_ll4mi_QKV_mfma16_kernelIDF16_hLN4vllm18Fp8KVCacheDataTypeE1EhLi32ELi128ELi256ELb0ELi10EL8MFMAType1EEvPKT_PKT0_S8_ifPKiSA_SA_iPKfiiiPfSD_PS3_PT2_iSC_SC_ ; -- Begin function _Z39paged_attention_ll4mi_QKV_mfma16_kernelIDF16_hLN4vllm18Fp8KVCacheDataTypeE1EhLi32ELi128ELi256ELb0ELi10EL8MFMAType1EEvPKT_PKT0_S8_ifPKiSA_SA_iPKfiiiPfSD_PS3_PT2_iSC_SC_
	.globl	_Z39paged_attention_ll4mi_QKV_mfma16_kernelIDF16_hLN4vllm18Fp8KVCacheDataTypeE1EhLi32ELi128ELi256ELb0ELi10EL8MFMAType1EEvPKT_PKT0_S8_ifPKiSA_SA_iPKfiiiPfSD_PS3_PT2_iSC_SC_
	.p2align	8
	.type	_Z39paged_attention_ll4mi_QKV_mfma16_kernelIDF16_hLN4vllm18Fp8KVCacheDataTypeE1EhLi32ELi128ELi256ELb0ELi10EL8MFMAType1EEvPKT_PKT0_S8_ifPKiSA_SA_iPKfiiiPfSD_PS3_PT2_iSC_SC_,@function
_Z39paged_attention_ll4mi_QKV_mfma16_kernelIDF16_hLN4vllm18Fp8KVCacheDataTypeE1EhLi32ELi128ELi256ELb0ELi10EL8MFMAType1EEvPKT_PKT0_S8_ifPKiSA_SA_iPKfiiiPfSD_PS3_PT2_iSC_SC_: ; @_Z39paged_attention_ll4mi_QKV_mfma16_kernelIDF16_hLN4vllm18Fp8KVCacheDataTypeE1EhLi32ELi128ELi256ELb0ELi10EL8MFMAType1EEvPKT_PKT0_S8_ifPKiSA_SA_iPKfiiiPfSD_PS3_PT2_iSC_SC_
; %bb.0:
	s_load_b64 s[4:5], s[0:1], 0x30
	s_mov_b32 s30, s13
	s_waitcnt lgkmcnt(0)
	s_cmp_lg_u64 s[4:5], 0
	s_cselect_b32 s8, -1, 0
	s_ashr_i32 s31, s13, 31
	s_cmp_eq_u64 s[4:5], 0
	s_cbranch_scc1 .LBB1039_3
; %bb.1:
	s_lshl_b64 s[2:3], s[30:31], 2
	s_delay_alu instid0(SALU_CYCLE_1) | instskip(SKIP_4) | instid1(SALU_CYCLE_1)
	s_add_u32 s2, s4, s2
	s_addc_u32 s3, s5, s3
	s_load_b64 s[2:3], s[2:3], 0x0
	s_waitcnt lgkmcnt(0)
	s_sub_i32 s2, s3, s2
	s_cmp_eq_u32 s2, 1
	s_cselect_b32 s2, -1, 0
	s_delay_alu instid0(SALU_CYCLE_1)
	s_and_not1_b32 vcc_lo, exec_lo, s2
	s_cbranch_vccz .LBB1039_4
.LBB1039_2:
	s_endpgm
.LBB1039_3:
.LBB1039_4:
	s_load_b64 s[2:3], s[0:1], 0x28
	s_lshl_b64 s[6:7], s[30:31], 2
	s_waitcnt lgkmcnt(0)
	s_add_u32 s2, s2, s6
	s_addc_u32 s3, s3, s7
	s_lshl_b32 s12, s14, 8
	s_load_b32 s24, s[2:3], 0x0
	s_waitcnt lgkmcnt(0)
	s_cmp_ge_i32 s12, s24
	s_cbranch_scc1 .LBB1039_2
; %bb.5:
	s_clause 0x1
	s_load_b128 s[20:23], s[0:1], 0x8
	s_load_b64 s[2:3], s[0:1], 0x20
	s_and_not1_b32 vcc_lo, exec_lo, s8
	s_cbranch_vccnz .LBB1039_7
; %bb.6:
	s_add_u32 s4, s4, s6
	s_addc_u32 s5, s5, s7
	s_load_b32 s5, s[4:5], 0x0
	s_branch .LBB1039_8
.LBB1039_7:
	s_mov_b32 s5, s30
.LBB1039_8:
	s_load_b128 s[16:19], s[0:1], 0x48
	v_and_b32_e32 v68, 15, v0
	v_lshrrev_b32_e32 v69, 5, v0
	v_and_b32_e32 v70, 31, v0
	v_and_b32_e32 v67, 1, v0
	v_bfe_u32 v66, v0, 4, 1
	v_lshlrev_b32_e32 v1, 3, v68
	s_mul_i32 s31, s15, 10
	s_mov_b32 s4, exec_lo
	s_delay_alu instid0(VALU_DEP_1)
	v_lshlrev_b32_e32 v65, 1, v1
	v_cmpx_gt_u32_e32 0xa0, v0
	s_cbranch_execz .LBB1039_10
; %bb.9:
	s_load_b64 s[6:7], s[0:1], 0x0
	v_lshl_or_b32 v5, v69, 1, v66
	s_waitcnt lgkmcnt(0)
	s_mul_hi_i32 s9, s5, s16
	s_mul_i32 s8, s5, s16
	v_lshlrev_b32_e32 v6, 10, v68
	s_lshl_b64 s[8:9], s[8:9], 1
	v_add_lshl_u32 v1, v5, s31, 7
	v_lshlrev_b32_e32 v5, 6, v5
	v_lshlrev_b32_e32 v7, 10, v67
	v_and_b32_e32 v6, 0x3800, v6
	s_delay_alu instid0(VALU_DEP_4) | instskip(NEXT) | instid1(VALU_DEP_2)
	v_ashrrev_i32_e32 v2, 31, v1
	v_or3_b32 v5, v6, v7, v5
	s_delay_alu instid0(VALU_DEP_2) | instskip(SKIP_2) | instid1(VALU_DEP_1)
	v_lshlrev_b64 v[1:2], 1, v[1:2]
	s_add_u32 s5, s6, s8
	s_addc_u32 s6, s7, s9
	v_add_co_u32 v1, vcc_lo, s5, v1
	s_delay_alu instid0(VALU_DEP_2) | instskip(NEXT) | instid1(VALU_DEP_2)
	v_add_co_ci_u32_e32 v2, vcc_lo, s6, v2, vcc_lo
	v_add_co_u32 v1, vcc_lo, v1, v65
	s_delay_alu instid0(VALU_DEP_2)
	v_add_co_ci_u32_e32 v2, vcc_lo, 0, v2, vcc_lo
	global_load_b128 v[1:4], v[1:2], off
	s_waitcnt vmcnt(0)
	ds_store_b128 v5, v[1:4]
.LBB1039_10:
	s_or_b32 exec_lo, exec_lo, s4
	v_and_b32_e32 v1, 0xef, v0
	s_waitcnt lgkmcnt(0)
	s_add_i32 s5, s24, 31
	s_clause 0x1
	s_load_b32 s4, s[0:1], 0x38
	s_load_b32 s33, s[0:1], 0x98
	s_ashr_i32 s6, s5, 31
	v_add_nc_u32_e32 v1, s12, v1
	s_lshr_b32 s6, s6, 27
	s_load_b32 s19, s[0:1], 0x1c
	s_add_i32 s5, s5, s6
	s_waitcnt lgkmcnt(0)
	v_ashrrev_i32_e32 v2, 31, v1
	v_or_b32_e32 v3, 16, v1
	s_ashr_i32 s13, s5, 5
	v_cmp_gt_i32_e32 vcc_lo, s24, v1
	s_add_i32 s13, s13, -1
	v_lshrrev_b32_e32 v2, 27, v2
	s_barrier
	buffer_gl0_inv
	s_mul_i32 s15, s15, s18
	v_add_nc_u32_e32 v4, v1, v2
	s_mul_i32 s4, s30, s4
	s_delay_alu instid0(SALU_CYCLE_1) | instskip(NEXT) | instid1(VALU_DEP_1)
	s_ashr_i32 s5, s4, 31
	v_ashrrev_i32_e32 v4, 5, v4
	v_add_nc_u32_e32 v2, v3, v2
	s_lshl_b64 s[4:5], s[4:5], 2
	s_delay_alu instid0(SALU_CYCLE_1) | instskip(NEXT) | instid1(VALU_DEP_2)
	s_add_u32 s16, s2, s4
	v_cndmask_b32_e32 v1, s13, v4, vcc_lo
	s_delay_alu instid0(VALU_DEP_2)
	v_ashrrev_i32_e32 v2, 5, v2
	v_cmp_gt_i32_e32 vcc_lo, s24, v3
	s_addc_u32 s25, s3, s5
	s_ashr_i32 s18, s15, 31
	s_add_u32 s2, s20, s15
	s_addc_u32 s3, s21, s18
	v_cndmask_b32_e32 v3, s13, v2, vcc_lo
	v_ashrrev_i32_e32 v2, 31, v1
	s_lshl_b32 s4, s14, 3
	s_delay_alu instid0(SALU_CYCLE_1) | instskip(NEXT) | instid1(VALU_DEP_2)
	s_ashr_i32 s5, s4, 31
	v_ashrrev_i32_e32 v4, 31, v3
	s_delay_alu instid0(VALU_DEP_2) | instskip(SKIP_1) | instid1(SALU_CYCLE_1)
	v_lshlrev_b64 v[1:2], 2, v[1:2]
	s_lshl_b64 s[4:5], s[4:5], 2
	s_add_u32 s4, s16, s4
	s_delay_alu instid0(VALU_DEP_2) | instskip(SKIP_1) | instid1(VALU_DEP_2)
	v_lshlrev_b64 v[3:4], 2, v[3:4]
	s_addc_u32 s5, s25, s5
	v_add_co_u32 v1, vcc_lo, s16, v1
	v_add_co_ci_u32_e32 v2, vcc_lo, s25, v2, vcc_lo
	s_delay_alu instid0(VALU_DEP_3) | instskip(NEXT) | instid1(VALU_DEP_4)
	v_add_co_u32 v3, vcc_lo, s16, v3
	v_add_co_ci_u32_e32 v4, vcc_lo, s25, v4, vcc_lo
	s_clause 0x1
	global_load_b32 v5, v[1:2], off
	global_load_b32 v6, v[3:4], off
	s_or_b32 s6, s12, 32
	s_delay_alu instid0(SALU_CYCLE_1) | instskip(SKIP_2) | instid1(SALU_CYCLE_1)
	s_ashr_i32 s7, s6, 5
	s_cmp_lt_i32 s6, s24
	s_cselect_b32 s6, s7, s13
	s_ashr_i32 s7, s6, 31
	s_delay_alu instid0(SALU_CYCLE_1) | instskip(NEXT) | instid1(SALU_CYCLE_1)
	s_lshl_b64 s[6:7], s[6:7], 2
	s_add_u32 s6, s16, s6
	s_addc_u32 s7, s25, s7
	s_or_b32 s8, s12, 64
	s_delay_alu instid0(SALU_CYCLE_1) | instskip(SKIP_2) | instid1(SALU_CYCLE_1)
	s_ashr_i32 s9, s8, 5
	s_cmp_lt_i32 s8, s24
	s_cselect_b32 s8, s9, s13
	s_ashr_i32 s9, s8, 31
	s_delay_alu instid0(SALU_CYCLE_1) | instskip(NEXT) | instid1(SALU_CYCLE_1)
	s_lshl_b64 s[8:9], s[8:9], 2
	s_add_u32 s8, s16, s8
	s_addc_u32 s9, s25, s9
	;; [unrolled: 10-line block ×5, first 2 shown]
	s_clause 0x5
	s_load_b32 s28, s[4:5], 0x0
	s_load_b32 s29, s[6:7], 0x0
	;; [unrolled: 1-line block ×6, first 2 shown]
	s_mov_b32 s4, 0
	s_delay_alu instid0(SALU_CYCLE_1)
	s_mov_b32 s5, s4
	s_mov_b32 s6, s4
	;; [unrolled: 1-line block ×7, first 2 shown]
	s_delay_alu instid0(SALU_CYCLE_1)
	v_dual_mov_b32 v118, s11 :: v_dual_mov_b32 v117, s10
	v_dual_mov_b32 v116, s9 :: v_dual_mov_b32 v115, s8
	v_mov_b32_e32 v113, s6
	v_dual_mov_b32 v111, s4 :: v_dual_mov_b32 v114, s7
	v_mov_b32_e32 v112, s5
	s_waitcnt vmcnt(1)
	v_mad_i64_i32 v[1:2], null, v5, s17, s[2:3]
	v_lshlrev_b32_e32 v5, 4, v68
	s_waitcnt vmcnt(0)
	v_mad_i64_i32 v[3:4], null, v6, s17, s[2:3]
	s_or_b32 s2, s12, 0xc0
	s_delay_alu instid0(SALU_CYCLE_1) | instskip(NEXT) | instid1(VALU_DEP_3)
	s_ashr_i32 s3, s2, 5
	v_add_co_u32 v1, vcc_lo, v1, v5
	s_delay_alu instid0(VALU_DEP_4) | instskip(NEXT) | instid1(VALU_DEP_3)
	v_add_co_ci_u32_e32 v2, vcc_lo, 0, v2, vcc_lo
	v_add_co_u32 v3, vcc_lo, v3, v5
	s_delay_alu instid0(VALU_DEP_4)
	v_add_co_ci_u32_e32 v4, vcc_lo, 0, v4, vcc_lo
	s_clause 0xf
	global_load_b128 v[17:20], v[1:2], off
	global_load_b128 v[21:24], v[1:2], off offset:512
	global_load_b128 v[25:28], v[3:4], off offset:256
	;; [unrolled: 1-line block ×15, first 2 shown]
	s_cmp_lt_i32 s2, s24
	v_add_nc_u32_e32 v1, -10, v68
	s_cselect_b32 s2, s3, s13
	v_cmp_gt_u32_e32 vcc_lo, 10, v68
	s_ashr_i32 s3, s2, 31
	v_lshlrev_b32_e32 v2, 5, v68
	s_lshl_b64 s[2:3], s[2:3], 2
	s_delay_alu instid0(SALU_CYCLE_1)
	s_add_u32 s2, s16, s2
	s_addc_u32 s3, s25, s3
	s_or_b32 s20, s12, 0xe0
	v_cndmask_b32_e32 v1, v1, v68, vcc_lo
	s_ashr_i32 s21, s20, 5
	s_cmp_lt_i32 s20, s24
	s_cselect_b32 s20, s21, s13
	s_delay_alu instid0(VALU_DEP_1)
	v_lshlrev_b32_e32 v149, 6, v1
	s_ashr_i32 s21, s20, 31
	v_lshl_or_b32 v1, v69, 9, v2
	s_lshl_b64 s[4:5], s[20:21], 2
	ds_load_b128 v[119:122], v149
	ds_load_b128 v[123:126], v149 offset:1024
	s_add_u32 s4, s16, s4
	s_addc_u32 s5, s25, s5
	ds_load_b128 v[127:130], v149 offset:2048
	ds_load_b128 v[131:134], v149 offset:3072
	s_clause 0x1
	s_load_b32 s2, s[2:3], 0x0
	s_load_b32 s3, s[4:5], 0x0
	s_add_u32 s6, s22, s15
	s_addc_u32 s7, s23, s18
	v_add_co_u32 v135, s6, s6, v1
	s_delay_alu instid0(VALU_DEP_1) | instskip(SKIP_1) | instid1(VALU_DEP_1)
	v_add_co_ci_u32_e64 v136, null, s7, 0, s6
	s_waitcnt lgkmcnt(0)
	v_mad_i64_i32 v[1:2], null, s28, s17, v[135:136]
	v_mad_i64_i32 v[3:4], null, s29, s17, v[135:136]
	;; [unrolled: 1-line block ×6, first 2 shown]
	s_clause 0x9
	global_load_b128 v[49:52], v[1:2], off
	global_load_b128 v[53:56], v[1:2], off offset:16
	global_load_b128 v[41:44], v[3:4], off
	global_load_b128 v[45:48], v[3:4], off offset:16
	;; [unrolled: 2-line block ×5, first 2 shown]
	v_mad_i64_i32 v[145:146], null, s2, s17, v[135:136]
	v_mad_i64_i32 v[147:148], null, s3, s17, v[135:136]
	s_waitcnt vmcnt(24)
	v_wmma_f32_16x16x16_f16 v[135:142], v[17:24], v[119:126], v[111:118]
	s_waitcnt vmcnt(22)
	v_wmma_f32_16x16x16_f16 v[111:118], v[25:32], v[119:126], v[111:118]
	s_clause 0x3
	global_load_b128 v[17:20], v[143:144], off
	global_load_b128 v[21:24], v[143:144], off offset:16
	global_load_b128 v[25:28], v[145:146], off
	global_load_b128 v[29:32], v[145:146], off offset:16
	v_and_b32_e32 v119, 0xe0, v0
	s_waitcnt vmcnt(24)
	v_wmma_f32_16x16x16_f16 v[135:142], v[57:64], v[127:134], v[135:142]
	s_clause 0x1
	global_load_b128 v[57:60], v[147:148], off
	global_load_b128 v[61:64], v[147:148], off offset:16
	s_waitcnt vmcnt(24)
	v_wmma_f32_16x16x16_f16 v[111:118], v[71:78], v[127:134], v[111:118]
	ds_load_b128 v[71:74], v149 offset:4096
	ds_load_b128 v[75:78], v149 offset:5120
	v_add_nc_u32_e32 v128, s12, v119
	ds_load_b128 v[119:122], v149 offset:6144
	ds_load_b128 v[123:126], v149 offset:7168
	v_mbcnt_lo_u32_b32 v127, -1, 0
	s_waitcnt vmcnt(0) lgkmcnt(0)
	s_barrier
	v_or_b32_e32 v128, v128, v66
	buffer_gl0_inv
	v_xor_b32_e32 v129, 16, v127
	v_or_b32_e32 v130, 4, v128
	v_or_b32_e32 v131, 6, v128
	s_delay_alu instid0(VALU_DEP_3) | instskip(SKIP_4) | instid1(VALU_DEP_4)
	v_cmp_gt_i32_e32 vcc_lo, 32, v129
	v_or_b32_e32 v132, 8, v128
	v_or_b32_e32 v133, 10, v128
	v_cmp_gt_i32_e64 s3, s24, v130
	v_cmp_gt_i32_e64 s4, s24, v131
	;; [unrolled: 1-line block ×3, first 2 shown]
	v_wmma_f32_16x16x16_f16 v[135:142], v[79:86], v[71:78], v[135:142]
	v_wmma_f32_16x16x16_f16 v[111:118], v[87:94], v[71:78], v[111:118]
	v_or_b32_e32 v79, 12, v128
	v_or_b32_e32 v80, 14, v128
	v_cmp_gt_i32_e64 s6, s24, v133
	v_wmma_f32_16x16x16_f16 v[135:142], v[95:102], v[119:126], v[135:142]
	v_wmma_f32_16x16x16_f16 v[111:118], v[103:110], v[119:126], v[111:118]
	v_cndmask_b32_e32 v127, v127, v129, vcc_lo
	v_or_b32_e32 v129, 2, v128
	v_cmp_gt_i32_e32 vcc_lo, s24, v128
	s_delay_alu instid0(VALU_DEP_4) | instskip(SKIP_1) | instid1(VALU_DEP_4)
	v_dual_mul_f32 v87, s19, v136 :: v_dual_mul_f32 v94, s19, v113
	v_mul_f32_e32 v88, s19, v135
	v_cmp_gt_i32_e64 s2, s24, v129
	v_mul_f32_e32 v78, s19, v138
	v_mul_f32_e32 v86, s19, v137
	;; [unrolled: 1-line block ×3, first 2 shown]
	v_cndmask_b32_e32 v88, 0xff7fffff, v88, vcc_lo
	v_cndmask_b32_e64 v87, 0xff7fffff, v87, s2
	v_dual_mul_f32 v77, s19, v139 :: v_dual_mul_f32 v90, s19, v117
	v_cndmask_b32_e64 v86, 0xff7fffff, v86, s3
	v_cndmask_b32_e64 v78, 0xff7fffff, v78, s4
	s_delay_alu instid0(VALU_DEP_4)
	v_max3_f32 v87, v88, 0xff7fffff, v87
	v_or_b32_e32 v81, 16, v128
	v_or_b32_e32 v82, 18, v128
	v_dual_mul_f32 v74, s19, v142 :: v_dual_mul_f32 v75, s19, v141
	v_mul_f32_e32 v96, s19, v111
	v_cndmask_b32_e64 v77, 0xff7fffff, v77, s5
	v_cndmask_b32_e64 v76, 0xff7fffff, v76, s6
	v_max3_f32 v78, v87, v86, v78
	v_cmp_gt_i32_e64 s7, s24, v79
	v_cmp_gt_i32_e64 s8, s24, v80
	v_or_b32_e32 v83, 20, v128
	v_or_b32_e32 v84, 22, v128
	v_mul_f32_e32 v95, s19, v112
	v_cndmask_b32_e64 v75, 0xff7fffff, v75, s7
	v_cndmask_b32_e64 v74, 0xff7fffff, v74, s8
	v_max3_f32 v76, v78, v77, v76
	v_cmp_gt_i32_e64 s9, s24, v81
	v_cmp_gt_i32_e64 s10, s24, v82
	v_or_b32_e32 v85, 24, v128
	v_or_b32_e32 v71, 26, v128
	;; [unrolled: 8-line block ×3, first 2 shown]
	v_dual_mul_f32 v91, s19, v116 :: v_dual_mul_f32 v92, s19, v115
	v_cndmask_b32_e64 v75, 0xff7fffff, v94, s11
	v_cndmask_b32_e64 v76, 0xff7fffff, v93, s12
	v_max3_f32 v74, v74, v77, v78
	v_cmp_gt_i32_e64 s13, s24, v85
	v_cmp_gt_i32_e64 s15, s24, v71
	v_mul_f32_e32 v89, s19, v118
	v_cmp_gt_i32_e64 s16, s24, v72
	v_max3_f32 v74, v74, v75, v76
	v_cndmask_b32_e64 v77, 0xff7fffff, v92, s13
	v_cndmask_b32_e64 v71, 0xff7fffff, v91, s15
	v_cmp_gt_i32_e64 s17, s24, v73
	v_cndmask_b32_e64 v72, 0xff7fffff, v90, s16
	s_delay_alu instid0(VALU_DEP_3) | instskip(SKIP_1) | instid1(VALU_DEP_4)
	v_max3_f32 v71, v74, v77, v71
	v_lshlrev_b32_e32 v74, 2, v127
	v_cndmask_b32_e64 v73, 0xff7fffff, v89, s17
	s_delay_alu instid0(VALU_DEP_1) | instskip(SKIP_3) | instid1(VALU_DEP_1)
	v_max3_f32 v71, v71, v72, v73
	ds_bpermute_b32 v72, v74, v71
	s_waitcnt lgkmcnt(0)
	v_max_f32_e32 v72, v72, v72
	v_max_f32_e32 v71, v71, v72
	s_delay_alu instid0(VALU_DEP_1) | instskip(SKIP_4) | instid1(VALU_DEP_4)
	v_fma_f32 v72, s19, v135, -v71
	v_fma_f32 v73, s19, v136, -v71
	;; [unrolled: 1-line block ×5, first 2 shown]
	v_dual_mul_f32 v72, 0x3fb8aa3b, v72 :: v_dual_mul_f32 v73, 0x3fb8aa3b, v73
	s_delay_alu instid0(VALU_DEP_3) | instskip(SKIP_1) | instid1(VALU_DEP_3)
	v_dual_mul_f32 v75, 0x3fb8aa3b, v75 :: v_dual_mul_f32 v76, 0x3fb8aa3b, v76
	v_fma_f32 v80, s19, v141, -v71
	v_exp_f32_e32 v72, v72
	s_delay_alu instid0(VALU_DEP_3) | instskip(NEXT) | instid1(VALU_DEP_2)
	v_exp_f32_e32 v73, v73
	v_exp_f32_e32 v75, v75
	;; [unrolled: 1-line block ×3, first 2 shown]
	v_mul_f32_e32 v82, 0x3fb8aa3b, v80
	s_delay_alu instid0(VALU_DEP_1) | instskip(SKIP_4) | instid1(TRANS32_DEP_3)
	v_exp_f32_e32 v84, v82
	v_cndmask_b32_e32 v79, 0, v72, vcc_lo
	v_fma_f32 v72, s19, v140, -v71
	v_mul_f32_e32 v77, 0x3fb8aa3b, v77
	v_cndmask_b32_e64 v78, 0, v73, s2
	v_cndmask_b32_e64 v81, 0, v75, s3
	s_delay_alu instid0(VALU_DEP_4) | instskip(NEXT) | instid1(VALU_DEP_4)
	v_dual_add_f32 v73, 0, v79 :: v_dual_mul_f32 v72, 0x3fb8aa3b, v72
	v_exp_f32_e32 v77, v77
	v_cndmask_b32_e64 v80, 0, v76, s4
	s_delay_alu instid0(TRANS32_DEP_2) | instskip(NEXT) | instid1(VALU_DEP_3)
	v_cndmask_b32_e64 v85, 0, v84, s7
	v_add_f32_e32 v73, v73, v78
	v_exp_f32_e32 v72, v72
	s_mov_b32 s2, exec_lo
	s_delay_alu instid0(VALU_DEP_1) | instskip(SKIP_4) | instid1(VALU_DEP_2)
	v_add_f32_e32 v73, v73, v81
	s_waitcnt_depctr 0xfff
	v_cndmask_b32_e64 v83, 0, v77, s5
	v_add_f32_e32 v73, v73, v80
	v_cndmask_b32_e64 v82, 0, v72, s6
	v_add_f32_e32 v72, v73, v83
	s_delay_alu instid0(VALU_DEP_1) | instskip(NEXT) | instid1(VALU_DEP_1)
	v_add_f32_e32 v72, v72, v82
	v_add_f32_e32 v72, v72, v85
	v_fma_f32 v76, s19, v111, -v71
	v_fma_f32 v75, s19, v142, -v71
	;; [unrolled: 1-line block ×5, first 2 shown]
	s_delay_alu instid0(VALU_DEP_4) | instskip(NEXT) | instid1(VALU_DEP_3)
	v_dual_mul_f32 v76, 0x3fb8aa3b, v76 :: v_dual_mul_f32 v75, 0x3fb8aa3b, v75
	v_mul_f32_e32 v86, 0x3fb8aa3b, v86
	s_delay_alu instid0(VALU_DEP_2) | instskip(NEXT) | instid1(VALU_DEP_2)
	v_exp_f32_e32 v76, v76
	v_exp_f32_e32 v75, v75
	s_delay_alu instid0(VALU_DEP_1) | instskip(NEXT) | instid1(TRANS32_DEP_3)
	v_exp_f32_e32 v88, v86
	v_cndmask_b32_e64 v87, 0, v76, s9
	v_fma_f32 v76, s19, v116, -v71
	v_mul_f32_e32 v77, 0x3fb8aa3b, v77
	s_waitcnt_depctr 0xfff
	v_cndmask_b32_e64 v84, 0, v75, s8
	v_fma_f32 v75, s19, v115, -v71
	v_cndmask_b32_e64 v88, 0, v88, s12
	v_mul_f32_e32 v76, 0x3fb8aa3b, v76
	v_exp_f32_e32 v77, v77
	v_add_f32_e32 v72, v72, v84
	s_delay_alu instid0(VALU_DEP_2) | instskip(NEXT) | instid1(VALU_DEP_1)
	v_exp_f32_e32 v76, v76
	v_add_f32_e32 v72, v72, v87
	s_waitcnt_depctr 0xfff
	v_cndmask_b32_e64 v86, 0, v77, s10
	v_mul_f32_e32 v73, 0x3fb8aa3b, v73
	v_fma_f32 v77, s19, v117, -v71
	v_cndmask_b32_e64 v90, 0, v76, s15
	s_delay_alu instid0(VALU_DEP_4) | instskip(NEXT) | instid1(VALU_DEP_4)
	v_add_f32_e32 v72, v72, v86
	v_exp_f32_e32 v73, v73
	s_waitcnt_depctr 0xfff
	v_cndmask_b32_e64 v89, 0, v73, s11
	s_delay_alu instid0(VALU_DEP_1) | instskip(NEXT) | instid1(VALU_DEP_1)
	v_dual_mul_f32 v75, 0x3fb8aa3b, v75 :: v_dual_add_f32 v72, v72, v89
	v_exp_f32_e32 v75, v75
	v_mul_f32_e32 v73, 0x3fb8aa3b, v77
	v_fma_f32 v77, s19, v118, -v71
	s_delay_alu instid0(VALU_DEP_3) | instskip(NEXT) | instid1(VALU_DEP_3)
	v_add_f32_e32 v72, v72, v88
	v_exp_f32_e32 v73, v73
	s_waitcnt_depctr 0xfff
	v_cndmask_b32_e64 v91, 0, v75, s13
	s_delay_alu instid0(VALU_DEP_1) | instskip(NEXT) | instid1(VALU_DEP_1)
	v_dual_mul_f32 v75, 0x3fb8aa3b, v77 :: v_dual_add_f32 v72, v72, v91
	v_exp_f32_e32 v75, v75
	v_cndmask_b32_e64 v93, 0, v73, s16
	s_delay_alu instid0(VALU_DEP_2) | instskip(NEXT) | instid1(VALU_DEP_1)
	v_add_f32_e32 v72, v72, v90
	v_add_f32_e32 v72, v72, v93
	s_waitcnt_depctr 0xfff
	v_cndmask_b32_e64 v92, 0, v75, s17
	s_delay_alu instid0(VALU_DEP_1)
	v_add_f32_e32 v72, v72, v92
	ds_bpermute_b32 v73, v74, v72
	v_cmpx_gt_u32_e32 16, v70
	s_cbranch_execz .LBB1039_12
; %bb.11:
	v_mul_u32_u24_e32 v70, 0x44, v69
	s_waitcnt lgkmcnt(0)
	v_add_f32_e32 v72, v72, v73
	s_delay_alu instid0(VALU_DEP_2) | instskip(NEXT) | instid1(VALU_DEP_1)
	v_lshl_add_u32 v70, v68, 2, v70
	v_add_nc_u32_e32 v70, 0x4000, v70
	ds_store_2addr_b32 v70, v71, v72 offset1:136
.LBB1039_12:
	s_or_b32 exec_lo, exec_lo, s2
	v_lshlrev_b32_e32 v70, 2, v68
	s_load_b32 s34, s[0:1], 0x94
	s_waitcnt lgkmcnt(0)
	s_barrier
	buffer_gl0_inv
	v_add_nc_u32_e32 v98, 0x4000, v70
	v_cmp_eq_u32_e32 vcc_lo, 1, v69
	v_cmp_eq_u32_e64 s2, 2, v69
	v_cmp_eq_u32_e64 s3, 3, v69
	;; [unrolled: 1-line block ×3, first 2 shown]
	ds_load_2addr_b32 v[70:71], v98 offset1:17
	ds_load_2addr_b32 v[72:73], v98 offset0:34 offset1:51
	ds_load_2addr_b32 v[74:75], v98 offset0:68 offset1:85
	;; [unrolled: 1-line block ×3, first 2 shown]
	v_cmp_eq_u32_e64 s5, 5, v69
	v_cmp_eq_u32_e64 s6, 7, v69
	s_waitcnt lgkmcnt(3)
	v_max3_f32 v76, v70, 0xff7fffff, v71
	s_waitcnt lgkmcnt(2)
	s_delay_alu instid0(VALU_DEP_1) | instskip(SKIP_1) | instid1(VALU_DEP_1)
	v_max3_f32 v76, v76, v72, v73
	s_waitcnt lgkmcnt(1)
	v_max3_f32 v76, v76, v74, v75
	s_waitcnt lgkmcnt(0)
	s_delay_alu instid0(VALU_DEP_1) | instskip(NEXT) | instid1(VALU_DEP_1)
	v_max3_f32 v76, v76, v94, v95
	v_sub_f32_e32 v77, v71, v76
	ds_load_2addr_b32 v[96:97], v98 offset0:136 offset1:153
	v_sub_f32_e32 v74, v74, v76
	v_sub_f32_e32 v70, v70, v76
	;; [unrolled: 1-line block ×3, first 2 shown]
	v_dual_sub_f32 v72, v72, v76 :: v_dual_mul_f32 v77, 0x3fb8aa3b, v77
	s_delay_alu instid0(VALU_DEP_4) | instskip(NEXT) | instid1(VALU_DEP_4)
	v_mul_f32_e32 v103, 0x3fb8aa3b, v74
	v_mul_f32_e32 v99, 0x3fb8aa3b, v70
	ds_load_2addr_b32 v[70:71], v98 offset0:170 offset1:187
	v_dual_mul_f32 v101, 0x3fb8aa3b, v72 :: v_dual_mul_f32 v94, 0x3fb8aa3b, v94
	v_exp_f32_e32 v102, v77
	v_exp_f32_e32 v99, v99
	s_delay_alu instid0(VALU_DEP_1) | instskip(NEXT) | instid1(VALU_DEP_1)
	v_exp_f32_e32 v101, v101
	v_exp_f32_e32 v94, v94
	s_waitcnt lgkmcnt(1)
	s_delay_alu instid0(TRANS32_DEP_3)
	v_fma_f32 v77, v99, v96, 0
	v_sub_f32_e32 v100, v73, v76
	ds_load_2addr_b32 v[72:73], v98 offset0:204 offset1:221
	v_fmac_f32_e32 v77, v102, v97
	v_exp_f32_e32 v97, v103
	s_waitcnt lgkmcnt(1)
	s_delay_alu instid0(VALU_DEP_1)
	v_dual_fmac_f32 v77, v101, v70 :: v_dual_sub_f32 v96, v75, v76
	ds_load_2addr_b32 v[74:75], v98 offset0:238 offset1:255
	v_sub_f32_e32 v70, v95, v76
	s_waitcnt lgkmcnt(0)
	s_barrier
	v_mul_f32_e32 v96, 0x3fb8aa3b, v96
	buffer_gl0_inv
	v_exp_f32_e32 v95, v96
	v_mul_f32_e32 v100, 0x3fb8aa3b, v100
	s_delay_alu instid0(VALU_DEP_1) | instskip(SKIP_3) | instid1(VALU_DEP_2)
	v_exp_f32_e32 v100, v100
	s_waitcnt_depctr 0xfff
	v_dual_fmac_f32 v77, v100, v71 :: v_dual_mul_f32 v70, 0x3fb8aa3b, v70
	v_cndmask_b32_e32 v71, v99, v102, vcc_lo
	v_fmac_f32_e32 v77, v97, v72
	s_delay_alu instid0(VALU_DEP_3) | instskip(NEXT) | instid1(VALU_DEP_1)
	v_exp_f32_e32 v96, v70
	v_fmac_f32_e32 v77, v95, v73
	s_delay_alu instid0(VALU_DEP_1) | instskip(SKIP_2) | instid1(VALU_DEP_1)
	v_fmac_f32_e32 v77, v94, v74
	s_waitcnt_depctr 0xfff
	v_fmac_f32_e32 v77, v96, v75
	v_add_f32_e32 v74, 0x358637bd, v77
	s_delay_alu instid0(VALU_DEP_1) | instskip(SKIP_1) | instid1(VALU_DEP_2)
	v_div_scale_f32 v98, null, v74, v74, 1.0
	v_div_scale_f32 v99, vcc_lo, 1.0, v74, 1.0
	v_rcp_f32_e32 v103, v98
	s_waitcnt_depctr 0xfff
	v_fma_f32 v70, -v98, v103, 1.0
	s_delay_alu instid0(VALU_DEP_1) | instskip(SKIP_2) | instid1(VALU_DEP_2)
	v_fmac_f32_e32 v103, v70, v103
	v_cndmask_b32_e64 v70, v71, v101, s2
	v_cmp_eq_u32_e64 s2, 6, v69
	v_cndmask_b32_e64 v71, v70, v100, s3
	s_delay_alu instid0(VALU_DEP_4) | instskip(NEXT) | instid1(VALU_DEP_2)
	v_dual_mul_f32 v101, v99, v103 :: v_dual_lshlrev_b32 v70, 2, v66
	v_cndmask_b32_e64 v71, v71, v97, s4
	s_delay_alu instid0(VALU_DEP_2) | instskip(NEXT) | instid1(VALU_DEP_3)
	v_or_b32_e32 v72, 1, v70
	v_fma_f32 v100, -v98, v101, v99
	v_cmp_eq_u32_e64 s3, 1, v70
	v_cmp_eq_u32_e64 s4, 2, v70
	v_cndmask_b32_e64 v95, v71, v95, s5
	v_or_b32_e32 v71, 3, v70
	v_fmac_f32_e32 v101, v100, v103
	v_cmp_eq_u32_e64 s8, 1, v72
	v_cmp_eq_u32_e64 s11, 2, v72
	v_cndmask_b32_e64 v94, v95, v94, s2
	v_cmp_eq_u32_e64 s10, 1, v71
	v_fma_f32 v97, -v98, v101, v99
	v_cmp_eq_u32_e64 s15, 2, v71
	v_cmp_eq_u32_e64 s12, 3, v72
	v_cndmask_b32_e64 v94, v94, v96, s6
	v_cmp_eq_u32_e64 s17, 3, v71
	v_div_fmas_f32 v95, v97, v103, v101
	v_cmp_eq_u32_e32 vcc_lo, 3, v70
	v_cmp_eq_u32_e64 s2, 4, v70
	v_cmp_eq_u32_e64 s18, 4, v72
	;; [unrolled: 1-line block ×3, first 2 shown]
	v_div_fixup_f32 v95, v95, v74, 1.0
	v_lshlrev_b32_e32 v73, 6, v68
	v_cmp_eq_u32_e64 s5, 5, v70
	v_cmp_eq_u32_e64 s19, 5, v72
	;; [unrolled: 1-line block ×3, first 2 shown]
	v_mul_f32_e32 v102, v94, v95
	v_lshl_or_b32 v75, v69, 11, v73
	v_or_b32_e32 v69, 2, v70
	v_cmp_eq_u32_e64 s24, 6, v72
	v_cmp_eq_u32_e64 s26, 6, v71
	v_fma_mixlo_f16 v94, v102, v79, 0
	v_fma_mixlo_f16 v95, v102, v81, 0
	;; [unrolled: 1-line block ×8, first 2 shown]
	v_lshl_or_b32 v74, v66, 4, v75
	v_fma_mixhi_f16 v94, v102, v78, 0
	v_fma_mixhi_f16 v95, v102, v80, 0
	;; [unrolled: 1-line block ×8, first 2 shown]
	ds_store_b128 v74, v[94:97]
	ds_store_b128 v74, v[98:101] offset:1024
	s_waitcnt lgkmcnt(0)
	s_barrier
	buffer_gl0_inv
	ds_load_b128 v[78:81], v75
	ds_load_b128 v[82:85], v75 offset:16
	ds_load_b128 v[86:89], v75 offset:1024
	;; [unrolled: 1-line block ×3, first 2 shown]
	v_cmp_eq_u32_e64 s9, 1, v69
	v_cmp_eq_u32_e64 s13, 2, v69
	;; [unrolled: 1-line block ×11, first 2 shown]
	s_waitcnt lgkmcnt(3)
	v_lshrrev_b32_e32 v94, 16, v78
	s_waitcnt lgkmcnt(2)
	v_lshrrev_b32_e32 v98, 16, v82
	;; [unrolled: 2-line block ×4, first 2 shown]
	v_lshrrev_b32_e32 v95, 16, v79
	v_cndmask_b32_e64 v110, v78, v94, s3
	v_cndmask_b32_e64 v111, v82, v98, s3
	;; [unrolled: 1-line block ×8, first 2 shown]
	v_lshrrev_b32_e32 v99, 16, v83
	v_cndmask_b32_e64 v94, v86, v102, s3
	v_cndmask_b32_e64 v98, v90, v106, s3
	;; [unrolled: 1-line block ×15, first 2 shown]
	v_lshrrev_b32_e32 v103, 16, v87
	v_lshrrev_b32_e32 v107, 16, v91
	v_cndmask_b32_e64 v113, v115, v83, s13
	v_cndmask_b32_e64 v82, v94, v87, s4
	;; [unrolled: 1-line block ×7, first 2 shown]
	v_cndmask_b32_e32 v90, v102, v95, vcc_lo
	v_cndmask_b32_e32 v102, v106, v99, vcc_lo
	v_cndmask_b32_e64 v106, v110, v95, s12
	v_cndmask_b32_e64 v110, v111, v99, s12
	;; [unrolled: 1-line block ×4, first 2 shown]
	v_lshrrev_b32_e32 v96, 16, v80
	v_lshrrev_b32_e32 v100, 16, v84
	v_cndmask_b32_e64 v111, v112, v95, s16
	v_cndmask_b32_e64 v112, v113, v99, s16
	v_cndmask_b32_e32 v82, v82, v103, vcc_lo
	v_cndmask_b32_e32 v83, v83, v107, vcc_lo
	v_cndmask_b32_e64 v94, v94, v103, s12
	v_cndmask_b32_e64 v90, v90, v80, s2
	;; [unrolled: 1-line block ×7, first 2 shown]
	v_lshrrev_b32_e32 v104, 16, v88
	v_cndmask_b32_e64 v106, v111, v80, s20
	v_cndmask_b32_e64 v110, v112, v84, s20
	;; [unrolled: 1-line block ×11, first 2 shown]
	v_lshrrev_b32_e32 v97, 16, v81
	v_lshrrev_b32_e32 v101, 16, v85
	v_cndmask_b32_e64 v99, v106, v96, s22
	v_cndmask_b32_e64 v102, v110, v100, s22
	;; [unrolled: 1-line block ×7, first 2 shown]
	v_lshrrev_b32_e32 v105, 16, v89
	v_cndmask_b32_e64 v80, v80, v104, s5
	v_cndmask_b32_e64 v84, v84, v81, s6
	;; [unrolled: 1-line block ×16, first 2 shown]
	v_perm_b32 v81, v79, v78, 0x5040100
	v_perm_b32 v79, v95, v85, 0x5040100
	v_cndmask_b32_e64 v78, v119, v91, s13
	v_cndmask_b32_e64 v85, v117, v91, s11
	v_cndmask_b32_e64 v96, v80, v105, s7
	v_perm_b32 v80, v94, v90, 0x5040100
	v_cndmask_b32_e64 v90, v98, v103, s16
	v_cndmask_b32_e64 v86, v86, v103, s17
	;; [unrolled: 1-line block ×5, first 2 shown]
	v_lshrrev_b32_e32 v108, 16, v92
	v_cndmask_b32_e64 v90, v90, v88, s20
	v_cndmask_b32_e64 v86, v86, v88, s21
	;; [unrolled: 1-line block ×11, first 2 shown]
	v_lshrrev_b32_e32 v109, 16, v93
	v_cndmask_b32_e64 v82, v82, v93, s6
	v_cndmask_b32_e64 v88, v88, v89, s25
	;; [unrolled: 1-line block ×12, first 2 shown]
	v_perm_b32 v78, v84, v83, 0x5040100
	v_perm_b32 v85, v87, v86, 0x5040100
	;; [unrolled: 1-line block ×5, first 2 shown]
	s_mul_i32 s7, s33, 10
	s_mov_b32 s2, exec_lo
	ds_store_b128 v74, v[78:81]
	ds_store_b128 v74, v[82:85] offset:1024
	v_cmpx_gt_u32_e32 10, v0
	s_cbranch_execz .LBB1039_14
; %bb.13:
	s_mul_i32 s3, s7, s30
	s_load_b128 s[8:11], s[0:1], 0x58
	v_add3_u32 v68, s3, s31, v68
	s_delay_alu instid0(VALU_DEP_1) | instskip(NEXT) | instid1(VALU_DEP_1)
	v_mad_u64_u32 v[78:79], null, v68, s34, s[14:15]
	v_ashrrev_i32_e32 v79, 31, v78
	s_delay_alu instid0(VALU_DEP_1) | instskip(SKIP_1) | instid1(VALU_DEP_1)
	v_lshlrev_b64 v[78:79], 2, v[78:79]
	s_waitcnt lgkmcnt(0)
	v_add_co_u32 v80, vcc_lo, s10, v78
	s_delay_alu instid0(VALU_DEP_2)
	v_add_co_ci_u32_e32 v81, vcc_lo, s11, v79, vcc_lo
	v_add_co_u32 v78, vcc_lo, s8, v78
	v_add_co_ci_u32_e32 v79, vcc_lo, s9, v79, vcc_lo
	global_store_b32 v[80:81], v76, off
	global_store_b32 v[78:79], v77, off
.LBB1039_14:
	s_or_b32 exec_lo, exec_lo, s2
	s_waitcnt lgkmcnt(0)
	s_waitcnt_vscnt null, 0x0
	s_barrier
	buffer_gl0_inv
	ds_load_b128 v[84:87], v73
	ds_load_b128 v[88:91], v73 offset:16
	ds_load_b128 v[96:99], v73 offset:2064
	;; [unrolled: 1-line block ×5, first 2 shown]
	v_cmp_eq_u32_e32 vcc_lo, 1, v70
	v_mov_b32_e32 v76, 0
	ds_load_b128 v[112:115], v73 offset:6160
	ds_load_b128 v[108:111], v73 offset:6144
	;; [unrolled: 1-line block ×4, first 2 shown]
	v_cmp_eq_u32_e64 s3, 1, v69
	v_cmp_eq_u32_e64 s2, 1, v72
	;; [unrolled: 1-line block ×3, first 2 shown]
	v_mov_b32_e32 v77, v76
	v_mov_b32_e32 v78, v76
	;; [unrolled: 1-line block ×7, first 2 shown]
	v_cmp_eq_u32_e64 s5, 3, v72
	v_cmp_eq_u32_e64 s6, 7, v72
	s_waitcnt lgkmcnt(8)
	s_delay_alu instid0(VALU_DEP_3)
	v_wmma_f32_16x16x16_f16 v[76:83], v[49:56], v[84:91], v[76:83]
	ds_load_b128 v[53:56], v73 offset:10256
	ds_load_b128 v[49:52], v73 offset:10240
	s_waitcnt lgkmcnt(8)
	v_wmma_f32_16x16x16_f16 v[76:83], v[41:48], v[92:99], v[76:83]
	ds_load_b128 v[45:48], v73 offset:12304
	ds_load_b128 v[41:44], v73 offset:12288
	s_waitcnt lgkmcnt(8)
	;; [unrolled: 4-line block ×3, first 2 shown]
	s_barrier
	buffer_gl0_inv
	v_wmma_f32_16x16x16_f16 v[76:83], v[1:8], v[108:115], v[76:83]
	s_delay_alu instid0(VALU_DEP_1) | instskip(NEXT) | instid1(VALU_DEP_1)
	v_wmma_f32_16x16x16_f16 v[76:83], v[9:16], v[116:123], v[76:83]
	v_wmma_f32_16x16x16_f16 v[76:83], v[17:24], v[49:56], v[76:83]
	s_delay_alu instid0(VALU_DEP_1) | instskip(NEXT) | instid1(VALU_DEP_1)
	v_wmma_f32_16x16x16_f16 v[76:83], v[25:32], v[41:48], v[76:83]
	v_wmma_f32_16x16x16_f16 v[76:83], v[57:64], v[33:40], v[76:83]
	s_delay_alu instid0(VALU_DEP_1) | instskip(NEXT) | instid1(VALU_DEP_2)
	v_cvt_f16_f32_e32 v1, v76
	v_cvt_f16_f32_e32 v2, v77
	s_delay_alu instid0(VALU_DEP_3) | instskip(NEXT) | instid1(VALU_DEP_4)
	v_cvt_f16_f32_e32 v3, v78
	v_cvt_f16_f32_e32 v4, v79
	;; [unrolled: 1-line block ×6, first 2 shown]
	v_pack_b32_f16 v1, v1, v2
	v_pack_b32_f16 v2, v3, v4
	;; [unrolled: 1-line block ×3, first 2 shown]
	s_delay_alu instid0(VALU_DEP_4)
	v_pack_b32_f16 v4, v7, v8
	ds_store_b128 v74, v[1:4]
	s_waitcnt lgkmcnt(0)
	s_barrier
	buffer_gl0_inv
	ds_load_b128 v[1:4], v75
	ds_load_b128 v[5:8], v75 offset:16
	s_waitcnt lgkmcnt(1)
	v_lshrrev_b32_e32 v9, 16, v1
	s_waitcnt lgkmcnt(0)
	v_lshrrev_b32_e32 v13, 16, v5
	v_lshrrev_b32_e32 v10, 16, v2
	;; [unrolled: 1-line block ×4, first 2 shown]
	v_cndmask_b32_e32 v17, v1, v9, vcc_lo
	v_cndmask_b32_e32 v18, v5, v13, vcc_lo
	v_cndmask_b32_e64 v21, v1, v9, s3
	v_cmp_eq_u32_e32 vcc_lo, 1, v71
	v_cndmask_b32_e64 v22, v5, v13, s3
	v_cmp_eq_u32_e64 s3, 2, v70
	v_cndmask_b32_e64 v19, v1, v9, s2
	v_cndmask_b32_e64 v20, v5, v13, s2
	v_cndmask_b32_e32 v1, v1, v9, vcc_lo
	v_cmp_eq_u32_e64 s2, 2, v71
	v_cndmask_b32_e32 v5, v5, v13, vcc_lo
	v_cndmask_b32_e64 v9, v17, v2, s3
	v_cmp_eq_u32_e32 vcc_lo, 3, v70
	v_cndmask_b32_e64 v13, v18, v6, s3
	v_cmp_eq_u32_e64 s3, 2, v69
	v_cndmask_b32_e64 v17, v19, v2, s4
	v_cndmask_b32_e64 v18, v20, v6, s4
	v_cmp_eq_u32_e64 s4, 3, v69
	v_cndmask_b32_e64 v1, v1, v2, s2
	v_cndmask_b32_e64 v19, v21, v2, s3
	;; [unrolled: 1-line block ×4, first 2 shown]
	v_cndmask_b32_e32 v5, v9, v10, vcc_lo
	v_cndmask_b32_e32 v6, v13, v14, vcc_lo
	v_cmp_eq_u32_e32 vcc_lo, 3, v71
	v_cndmask_b32_e64 v9, v17, v10, s5
	v_cndmask_b32_e64 v13, v18, v14, s5
	;; [unrolled: 1-line block ×3, first 2 shown]
	v_cmp_eq_u32_e64 s3, 4, v70
	v_cndmask_b32_e32 v1, v1, v10, vcc_lo
	v_cndmask_b32_e32 v2, v2, v14, vcc_lo
	v_cmp_eq_u32_e32 vcc_lo, 4, v72
	v_lshrrev_b32_e32 v15, 16, v7
	v_lshrrev_b32_e32 v16, 16, v8
	v_cndmask_b32_e64 v17, v19, v10, s4
	v_cmp_eq_u32_e64 s2, 4, v71
	v_cndmask_b32_e64 v5, v5, v3, s3
	v_cndmask_b32_e64 v6, v6, v7, s3
	v_cndmask_b32_e32 v9, v9, v3, vcc_lo
	v_cmp_eq_u32_e64 s3, 5, v72
	v_cndmask_b32_e32 v10, v13, v7, vcc_lo
	v_cmp_eq_u32_e32 vcc_lo, 4, v69
	v_cmp_eq_u32_e64 s4, 5, v70
	v_cndmask_b32_e64 v2, v2, v7, s2
	v_cndmask_b32_e64 v9, v9, v11, s3
	;; [unrolled: 1-line block ×3, first 2 shown]
	v_cndmask_b32_e32 v13, v17, v3, vcc_lo
	v_cmp_eq_u32_e64 s3, 5, v69
	v_cndmask_b32_e32 v14, v18, v7, vcc_lo
	v_cndmask_b32_e64 v1, v1, v3, s2
	v_cmp_eq_u32_e32 vcc_lo, 5, v71
	v_lshrrev_b32_e32 v12, 16, v4
	v_cndmask_b32_e64 v13, v13, v11, s3
	v_cndmask_b32_e64 v3, v14, v15, s3
	v_cmp_eq_u32_e64 s3, 6, v71
	v_cndmask_b32_e32 v1, v1, v11, vcc_lo
	v_cndmask_b32_e64 v5, v5, v11, s4
	v_cmp_eq_u32_e64 s5, 6, v70
	v_cndmask_b32_e64 v6, v6, v15, s4
	v_cmp_eq_u32_e64 s4, 6, v72
	v_cmp_eq_u32_e64 s2, 6, v69
	v_cndmask_b32_e64 v1, v1, v4, s3
	v_cndmask_b32_e32 v2, v2, v15, vcc_lo
	v_cmp_eq_u32_e32 vcc_lo, 7, v71
	v_cndmask_b32_e64 v5, v5, v4, s5
	v_cndmask_b32_e64 v9, v9, v4, s4
	;; [unrolled: 1-line block ×3, first 2 shown]
	v_cmp_eq_u32_e64 s5, 7, v70
	v_cndmask_b32_e32 v1, v1, v12, vcc_lo
	v_cndmask_b32_e64 v7, v13, v4, s2
	v_cndmask_b32_e64 v3, v3, v8, s2
	;; [unrolled: 1-line block ×3, first 2 shown]
	v_cmp_eq_u32_e64 s2, 7, v69
	v_cndmask_b32_e64 v4, v10, v8, s4
	v_cndmask_b32_e64 v5, v5, v12, s5
	;; [unrolled: 1-line block ×3, first 2 shown]
	v_cndmask_b32_e32 v2, v2, v16, vcc_lo
	v_cndmask_b32_e64 v7, v7, v12, s2
	v_cndmask_b32_e64 v3, v3, v16, s2
	v_cndmask_b32_e64 v8, v4, v16, s6
	v_cndmask_b32_e64 v6, v6, v16, s5
	v_perm_b32 v4, v2, v1, 0x5040100
	s_mov_b32 s2, exec_lo
	v_perm_b32 v3, v3, v7, 0x5040100
	v_perm_b32 v2, v8, v9, 0x5040100
	;; [unrolled: 1-line block ×3, first 2 shown]
	ds_store_b128 v74, v[1:4]
	s_waitcnt lgkmcnt(0)
	s_barrier
	buffer_gl0_inv
	v_cmpx_gt_u32_e32 32, v0
	s_cbranch_execz .LBB1039_2
; %bb.15:
	s_load_b64 s[0:1], s[0:1], 0x68
	s_lshl_b32 s4, s34, 7
	v_or_b32_e32 v2, s31, v66
	s_mul_i32 s2, s4, s30
	v_lshlrev_b32_e32 v0, 10, v0
	s_mul_i32 s2, s2, s7
	v_lshlrev_b32_e32 v1, 4, v67
	s_ashr_i32 s3, s2, 31
	v_mul_lo_u32 v20, v2, s4
	s_lshl_b64 s[2:3], s[2:3], 1
	v_lshlrev_b32_e32 v3, 6, v66
	v_and_b32_e32 v0, 0x3800, v0
	s_delay_alu instid0(VALU_DEP_1) | instskip(NEXT) | instid1(VALU_DEP_4)
	v_or3_b32 v16, v0, v1, v3
	v_ashrrev_i32_e32 v21, 31, v20
	ds_load_b128 v[0:3], v16
	ds_load_b128 v[4:7], v16 offset:128
	s_waitcnt lgkmcnt(0)
	s_add_u32 s2, s0, s2
	s_addc_u32 s3, s1, s3
	s_lshl_b32 s0, s14, 7
	ds_load_b128 v[8:11], v16 offset:256
	ds_load_b128 v[12:15], v16 offset:384
	;; [unrolled: 1-line block ×3, first 2 shown]
	s_ashr_i32 s1, s0, 31
	s_delay_alu instid0(SALU_CYCLE_1) | instskip(NEXT) | instid1(SALU_CYCLE_1)
	s_lshl_b64 s[0:1], s[0:1], 1
	s_add_u32 s0, s2, s0
	s_addc_u32 s1, s3, s1
	s_lshl_b32 s2, s34, 8
	v_add_co_u32 v30, s0, s0, v65
	v_add_nc_u32_e32 v22, s2, v20
	v_lshlrev_b64 v[20:21], 1, v[20:21]
	v_add_co_ci_u32_e64 v31, null, s1, 0, s0
	s_delay_alu instid0(VALU_DEP_3) | instskip(SKIP_1) | instid1(VALU_DEP_4)
	v_add_nc_u32_e32 v24, s2, v22
	v_ashrrev_i32_e32 v23, 31, v22
	v_add_co_u32 v20, vcc_lo, v30, v20
	s_delay_alu instid0(VALU_DEP_4) | instskip(NEXT) | instid1(VALU_DEP_4)
	v_add_co_ci_u32_e32 v21, vcc_lo, v31, v21, vcc_lo
	v_add_nc_u32_e32 v26, s2, v24
	v_ashrrev_i32_e32 v25, 31, v24
	v_lshlrev_b64 v[22:23], 1, v[22:23]
	s_delay_alu instid0(VALU_DEP_3) | instskip(SKIP_1) | instid1(VALU_DEP_4)
	v_add_nc_u32_e32 v28, s2, v26
	v_ashrrev_i32_e32 v27, 31, v26
	v_lshlrev_b64 v[24:25], 1, v[24:25]
	s_delay_alu instid0(VALU_DEP_4) | instskip(NEXT) | instid1(VALU_DEP_4)
	v_add_co_u32 v22, vcc_lo, v30, v22
	v_ashrrev_i32_e32 v29, 31, v28
	s_delay_alu instid0(VALU_DEP_4) | instskip(SKIP_2) | instid1(VALU_DEP_4)
	v_lshlrev_b64 v[26:27], 1, v[26:27]
	v_add_co_ci_u32_e32 v23, vcc_lo, v31, v23, vcc_lo
	v_add_co_u32 v24, vcc_lo, v30, v24
	v_lshlrev_b64 v[28:29], 1, v[28:29]
	v_add_co_ci_u32_e32 v25, vcc_lo, v31, v25, vcc_lo
	v_add_co_u32 v26, vcc_lo, v30, v26
	v_add_co_ci_u32_e32 v27, vcc_lo, v31, v27, vcc_lo
	s_delay_alu instid0(VALU_DEP_4)
	v_add_co_u32 v28, vcc_lo, v30, v28
	v_add_co_ci_u32_e32 v29, vcc_lo, v31, v29, vcc_lo
	s_clause 0x1
	global_store_b128 v[20:21], v[0:3], off
	global_store_b128 v[22:23], v[4:7], off
	s_waitcnt lgkmcnt(2)
	global_store_b128 v[24:25], v[8:11], off
	s_waitcnt lgkmcnt(1)
	;; [unrolled: 2-line block ×3, first 2 shown]
	global_store_b128 v[28:29], v[16:19], off
	s_nop 0
	s_sendmsg sendmsg(MSG_DEALLOC_VGPRS)
	s_endpgm
	.section	.rodata,"a",@progbits
	.p2align	6, 0x0
	.amdhsa_kernel _Z39paged_attention_ll4mi_QKV_mfma16_kernelIDF16_hLN4vllm18Fp8KVCacheDataTypeE1EhLi32ELi128ELi256ELb0ELi10EL8MFMAType1EEvPKT_PKT0_S8_ifPKiSA_SA_iPKfiiiPfSD_PS3_PT2_iSC_SC_
		.amdhsa_group_segment_fixed_size 17472
		.amdhsa_private_segment_fixed_size 0
		.amdhsa_kernarg_size 400
		.amdhsa_user_sgpr_count 13
		.amdhsa_user_sgpr_dispatch_ptr 0
		.amdhsa_user_sgpr_queue_ptr 0
		.amdhsa_user_sgpr_kernarg_segment_ptr 1
		.amdhsa_user_sgpr_dispatch_id 0
		.amdhsa_user_sgpr_private_segment_size 0
		.amdhsa_wavefront_size32 1
		.amdhsa_uses_dynamic_stack 0
		.amdhsa_enable_private_segment 0
		.amdhsa_system_sgpr_workgroup_id_x 1
		.amdhsa_system_sgpr_workgroup_id_y 1
		.amdhsa_system_sgpr_workgroup_id_z 1
		.amdhsa_system_sgpr_workgroup_info 0
		.amdhsa_system_vgpr_workitem_id 0
		.amdhsa_next_free_vgpr 150
		.amdhsa_next_free_sgpr 37
		.amdhsa_reserve_vcc 1
		.amdhsa_float_round_mode_32 0
		.amdhsa_float_round_mode_16_64 0
		.amdhsa_float_denorm_mode_32 3
		.amdhsa_float_denorm_mode_16_64 3
		.amdhsa_dx10_clamp 1
		.amdhsa_ieee_mode 1
		.amdhsa_fp16_overflow 0
		.amdhsa_workgroup_processor_mode 1
		.amdhsa_memory_ordered 1
		.amdhsa_forward_progress 0
		.amdhsa_shared_vgpr_count 0
		.amdhsa_exception_fp_ieee_invalid_op 0
		.amdhsa_exception_fp_denorm_src 0
		.amdhsa_exception_fp_ieee_div_zero 0
		.amdhsa_exception_fp_ieee_overflow 0
		.amdhsa_exception_fp_ieee_underflow 0
		.amdhsa_exception_fp_ieee_inexact 0
		.amdhsa_exception_int_div_zero 0
	.end_amdhsa_kernel
	.section	.text._Z39paged_attention_ll4mi_QKV_mfma16_kernelIDF16_hLN4vllm18Fp8KVCacheDataTypeE1EhLi32ELi128ELi256ELb0ELi10EL8MFMAType1EEvPKT_PKT0_S8_ifPKiSA_SA_iPKfiiiPfSD_PS3_PT2_iSC_SC_,"axG",@progbits,_Z39paged_attention_ll4mi_QKV_mfma16_kernelIDF16_hLN4vllm18Fp8KVCacheDataTypeE1EhLi32ELi128ELi256ELb0ELi10EL8MFMAType1EEvPKT_PKT0_S8_ifPKiSA_SA_iPKfiiiPfSD_PS3_PT2_iSC_SC_,comdat
.Lfunc_end1039:
	.size	_Z39paged_attention_ll4mi_QKV_mfma16_kernelIDF16_hLN4vllm18Fp8KVCacheDataTypeE1EhLi32ELi128ELi256ELb0ELi10EL8MFMAType1EEvPKT_PKT0_S8_ifPKiSA_SA_iPKfiiiPfSD_PS3_PT2_iSC_SC_, .Lfunc_end1039-_Z39paged_attention_ll4mi_QKV_mfma16_kernelIDF16_hLN4vllm18Fp8KVCacheDataTypeE1EhLi32ELi128ELi256ELb0ELi10EL8MFMAType1EEvPKT_PKT0_S8_ifPKiSA_SA_iPKfiiiPfSD_PS3_PT2_iSC_SC_
                                        ; -- End function
	.section	.AMDGPU.csdata,"",@progbits
; Kernel info:
; codeLenInByte = 6708
; NumSgprs: 39
; NumVgprs: 150
; ScratchSize: 0
; MemoryBound: 0
; FloatMode: 240
; IeeeMode: 1
; LDSByteSize: 17472 bytes/workgroup (compile time only)
; SGPRBlocks: 4
; VGPRBlocks: 18
; NumSGPRsForWavesPerEU: 39
; NumVGPRsForWavesPerEU: 150
; Occupancy: 9
; WaveLimiterHint : 1
; COMPUTE_PGM_RSRC2:SCRATCH_EN: 0
; COMPUTE_PGM_RSRC2:USER_SGPR: 13
; COMPUTE_PGM_RSRC2:TRAP_HANDLER: 0
; COMPUTE_PGM_RSRC2:TGID_X_EN: 1
; COMPUTE_PGM_RSRC2:TGID_Y_EN: 1
; COMPUTE_PGM_RSRC2:TGID_Z_EN: 1
; COMPUTE_PGM_RSRC2:TIDIG_COMP_CNT: 0
	.section	.text._Z39paged_attention_ll4mi_QKV_mfma16_kernelIDF16_hLN4vllm18Fp8KVCacheDataTypeE1EhLi32ELi128ELi256ELb0ELi11EL8MFMAType1EEvPKT_PKT0_S8_ifPKiSA_SA_iPKfiiiPfSD_PS3_PT2_iSC_SC_,"axG",@progbits,_Z39paged_attention_ll4mi_QKV_mfma16_kernelIDF16_hLN4vllm18Fp8KVCacheDataTypeE1EhLi32ELi128ELi256ELb0ELi11EL8MFMAType1EEvPKT_PKT0_S8_ifPKiSA_SA_iPKfiiiPfSD_PS3_PT2_iSC_SC_,comdat
	.protected	_Z39paged_attention_ll4mi_QKV_mfma16_kernelIDF16_hLN4vllm18Fp8KVCacheDataTypeE1EhLi32ELi128ELi256ELb0ELi11EL8MFMAType1EEvPKT_PKT0_S8_ifPKiSA_SA_iPKfiiiPfSD_PS3_PT2_iSC_SC_ ; -- Begin function _Z39paged_attention_ll4mi_QKV_mfma16_kernelIDF16_hLN4vllm18Fp8KVCacheDataTypeE1EhLi32ELi128ELi256ELb0ELi11EL8MFMAType1EEvPKT_PKT0_S8_ifPKiSA_SA_iPKfiiiPfSD_PS3_PT2_iSC_SC_
	.globl	_Z39paged_attention_ll4mi_QKV_mfma16_kernelIDF16_hLN4vllm18Fp8KVCacheDataTypeE1EhLi32ELi128ELi256ELb0ELi11EL8MFMAType1EEvPKT_PKT0_S8_ifPKiSA_SA_iPKfiiiPfSD_PS3_PT2_iSC_SC_
	.p2align	8
	.type	_Z39paged_attention_ll4mi_QKV_mfma16_kernelIDF16_hLN4vllm18Fp8KVCacheDataTypeE1EhLi32ELi128ELi256ELb0ELi11EL8MFMAType1EEvPKT_PKT0_S8_ifPKiSA_SA_iPKfiiiPfSD_PS3_PT2_iSC_SC_,@function
_Z39paged_attention_ll4mi_QKV_mfma16_kernelIDF16_hLN4vllm18Fp8KVCacheDataTypeE1EhLi32ELi128ELi256ELb0ELi11EL8MFMAType1EEvPKT_PKT0_S8_ifPKiSA_SA_iPKfiiiPfSD_PS3_PT2_iSC_SC_: ; @_Z39paged_attention_ll4mi_QKV_mfma16_kernelIDF16_hLN4vllm18Fp8KVCacheDataTypeE1EhLi32ELi128ELi256ELb0ELi11EL8MFMAType1EEvPKT_PKT0_S8_ifPKiSA_SA_iPKfiiiPfSD_PS3_PT2_iSC_SC_
; %bb.0:
	s_load_b64 s[4:5], s[0:1], 0x30
	s_mov_b32 s34, s13
	s_waitcnt lgkmcnt(0)
	s_cmp_lg_u64 s[4:5], 0
	s_cselect_b32 s8, -1, 0
	s_ashr_i32 s35, s13, 31
	s_cmp_eq_u64 s[4:5], 0
	s_cbranch_scc1 .LBB1040_3
; %bb.1:
	s_lshl_b64 s[2:3], s[34:35], 2
	s_delay_alu instid0(SALU_CYCLE_1) | instskip(SKIP_4) | instid1(SALU_CYCLE_1)
	s_add_u32 s2, s4, s2
	s_addc_u32 s3, s5, s3
	s_load_b64 s[2:3], s[2:3], 0x0
	s_waitcnt lgkmcnt(0)
	s_sub_i32 s2, s3, s2
	s_cmp_eq_u32 s2, 1
	s_cselect_b32 s2, -1, 0
	s_delay_alu instid0(SALU_CYCLE_1)
	s_and_not1_b32 vcc_lo, exec_lo, s2
	s_cbranch_vccz .LBB1040_4
.LBB1040_2:
	s_nop 0
	s_sendmsg sendmsg(MSG_DEALLOC_VGPRS)
	s_endpgm
.LBB1040_3:
.LBB1040_4:
	s_load_b64 s[2:3], s[0:1], 0x28
	s_lshl_b64 s[6:7], s[34:35], 2
	s_waitcnt lgkmcnt(0)
	s_add_u32 s2, s2, s6
	s_addc_u32 s3, s3, s7
	s_lshl_b32 s12, s14, 8
	s_load_b32 s24, s[2:3], 0x0
	s_waitcnt lgkmcnt(0)
	s_cmp_ge_i32 s12, s24
	s_cbranch_scc1 .LBB1040_2
; %bb.5:
	s_clause 0x1
	s_load_b128 s[20:23], s[0:1], 0x8
	s_load_b64 s[2:3], s[0:1], 0x20
	s_and_not1_b32 vcc_lo, exec_lo, s8
	s_cbranch_vccnz .LBB1040_7
; %bb.6:
	s_add_u32 s4, s4, s6
	s_addc_u32 s5, s5, s7
	s_load_b32 s5, s[4:5], 0x0
	s_branch .LBB1040_8
.LBB1040_7:
	s_mov_b32 s5, s34
.LBB1040_8:
	s_load_b128 s[16:19], s[0:1], 0x48
	v_and_b32_e32 v68, 15, v0
	v_lshrrev_b32_e32 v69, 5, v0
	v_bfe_u32 v66, v0, 4, 1
	v_and_b32_e32 v70, 31, v0
	v_and_b32_e32 v67, 1, v0
	v_lshlrev_b32_e32 v2, 3, v68
	s_mul_i32 s31, s15, 11
	v_lshl_or_b32 v1, v69, 1, v66
	s_mov_b32 s4, exec_lo
	s_delay_alu instid0(VALU_DEP_2) | instskip(NEXT) | instid1(VALU_DEP_2)
	v_lshlrev_b32_e32 v65, 1, v2
	v_cmpx_gt_u32_e32 11, v1
	s_cbranch_execz .LBB1040_10
; %bb.9:
	s_load_b64 s[6:7], s[0:1], 0x0
	v_add_lshl_u32 v2, v1, s31, 7
	s_waitcnt lgkmcnt(0)
	s_mul_hi_i32 s9, s5, s16
	s_mul_i32 s8, s5, s16
	v_lshlrev_b32_e32 v6, 10, v68
	s_lshl_b64 s[8:9], s[8:9], 1
	v_ashrrev_i32_e32 v3, 31, v2
	v_lshlrev_b32_e32 v1, 6, v1
	v_lshlrev_b32_e32 v7, 10, v67
	v_and_b32_e32 v6, 0x3800, v6
	s_delay_alu instid0(VALU_DEP_4) | instskip(NEXT) | instid1(VALU_DEP_2)
	v_lshlrev_b64 v[2:3], 1, v[2:3]
	v_or3_b32 v1, v6, v7, v1
	s_add_u32 s5, s6, s8
	s_addc_u32 s6, s7, s9
	s_delay_alu instid0(VALU_DEP_2) | instskip(NEXT) | instid1(VALU_DEP_3)
	v_add_co_u32 v2, vcc_lo, s5, v2
	v_add_co_ci_u32_e32 v3, vcc_lo, s6, v3, vcc_lo
	s_delay_alu instid0(VALU_DEP_2) | instskip(NEXT) | instid1(VALU_DEP_2)
	v_add_co_u32 v2, vcc_lo, v2, v65
	v_add_co_ci_u32_e32 v3, vcc_lo, 0, v3, vcc_lo
	global_load_b128 v[2:5], v[2:3], off
	s_waitcnt vmcnt(0)
	ds_store_b128 v1, v[2:5]
.LBB1040_10:
	s_or_b32 exec_lo, exec_lo, s4
	v_and_b32_e32 v1, 0xef, v0
	s_waitcnt lgkmcnt(0)
	s_add_i32 s5, s24, 31
	s_clause 0x1
	s_load_b32 s4, s[0:1], 0x38
	s_load_b32 s33, s[0:1], 0x98
	s_ashr_i32 s6, s5, 31
	v_add_nc_u32_e32 v1, s12, v1
	s_lshr_b32 s6, s6, 27
	s_load_b32 s19, s[0:1], 0x1c
	s_add_i32 s5, s5, s6
	s_waitcnt lgkmcnt(0)
	v_ashrrev_i32_e32 v2, 31, v1
	v_or_b32_e32 v3, 16, v1
	s_ashr_i32 s13, s5, 5
	v_cmp_gt_i32_e32 vcc_lo, s24, v1
	s_add_i32 s13, s13, -1
	v_lshrrev_b32_e32 v2, 27, v2
	s_barrier
	buffer_gl0_inv
	s_mul_i32 s15, s15, s18
	v_add_nc_u32_e32 v4, v1, v2
	s_mul_i32 s4, s34, s4
	s_delay_alu instid0(SALU_CYCLE_1) | instskip(NEXT) | instid1(VALU_DEP_1)
	s_ashr_i32 s5, s4, 31
	v_ashrrev_i32_e32 v4, 5, v4
	v_add_nc_u32_e32 v2, v3, v2
	s_lshl_b64 s[4:5], s[4:5], 2
	s_delay_alu instid0(SALU_CYCLE_1) | instskip(NEXT) | instid1(VALU_DEP_2)
	s_add_u32 s16, s2, s4
	v_cndmask_b32_e32 v1, s13, v4, vcc_lo
	s_delay_alu instid0(VALU_DEP_2)
	v_ashrrev_i32_e32 v2, 5, v2
	v_cmp_gt_i32_e32 vcc_lo, s24, v3
	s_addc_u32 s25, s3, s5
	s_ashr_i32 s18, s15, 31
	s_add_u32 s2, s20, s15
	s_addc_u32 s3, s21, s18
	v_cndmask_b32_e32 v3, s13, v2, vcc_lo
	v_ashrrev_i32_e32 v2, 31, v1
	s_lshl_b32 s4, s14, 3
	s_delay_alu instid0(SALU_CYCLE_1) | instskip(NEXT) | instid1(VALU_DEP_2)
	s_ashr_i32 s5, s4, 31
	v_ashrrev_i32_e32 v4, 31, v3
	s_delay_alu instid0(VALU_DEP_2) | instskip(SKIP_1) | instid1(SALU_CYCLE_1)
	v_lshlrev_b64 v[1:2], 2, v[1:2]
	s_lshl_b64 s[4:5], s[4:5], 2
	s_add_u32 s4, s16, s4
	s_delay_alu instid0(VALU_DEP_2) | instskip(SKIP_1) | instid1(VALU_DEP_2)
	v_lshlrev_b64 v[3:4], 2, v[3:4]
	s_addc_u32 s5, s25, s5
	v_add_co_u32 v1, vcc_lo, s16, v1
	v_add_co_ci_u32_e32 v2, vcc_lo, s25, v2, vcc_lo
	s_delay_alu instid0(VALU_DEP_3) | instskip(NEXT) | instid1(VALU_DEP_4)
	v_add_co_u32 v3, vcc_lo, s16, v3
	v_add_co_ci_u32_e32 v4, vcc_lo, s25, v4, vcc_lo
	s_clause 0x1
	global_load_b32 v5, v[1:2], off
	global_load_b32 v6, v[3:4], off
	s_or_b32 s6, s12, 32
	s_delay_alu instid0(SALU_CYCLE_1) | instskip(SKIP_2) | instid1(SALU_CYCLE_1)
	s_ashr_i32 s7, s6, 5
	s_cmp_lt_i32 s6, s24
	s_cselect_b32 s6, s7, s13
	s_ashr_i32 s7, s6, 31
	s_delay_alu instid0(SALU_CYCLE_1) | instskip(NEXT) | instid1(SALU_CYCLE_1)
	s_lshl_b64 s[6:7], s[6:7], 2
	s_add_u32 s6, s16, s6
	s_addc_u32 s7, s25, s7
	s_or_b32 s8, s12, 64
	s_delay_alu instid0(SALU_CYCLE_1) | instskip(SKIP_2) | instid1(SALU_CYCLE_1)
	s_ashr_i32 s9, s8, 5
	s_cmp_lt_i32 s8, s24
	s_cselect_b32 s8, s9, s13
	s_ashr_i32 s9, s8, 31
	s_delay_alu instid0(SALU_CYCLE_1) | instskip(NEXT) | instid1(SALU_CYCLE_1)
	s_lshl_b64 s[8:9], s[8:9], 2
	s_add_u32 s8, s16, s8
	s_addc_u32 s9, s25, s9
	;; [unrolled: 10-line block ×5, first 2 shown]
	s_clause 0x5
	s_load_b32 s28, s[4:5], 0x0
	s_load_b32 s29, s[6:7], 0x0
	s_load_b32 s30, s[8:9], 0x0
	s_load_b32 s35, s[10:11], 0x0
	s_load_b32 s36, s[20:21], 0x0
	s_load_b32 s26, s[26:27], 0x0
	s_mov_b32 s4, 0
	s_delay_alu instid0(SALU_CYCLE_1)
	s_mov_b32 s5, s4
	s_mov_b32 s6, s4
	;; [unrolled: 1-line block ×7, first 2 shown]
	s_delay_alu instid0(SALU_CYCLE_1)
	v_dual_mov_b32 v118, s11 :: v_dual_mov_b32 v117, s10
	v_dual_mov_b32 v116, s9 :: v_dual_mov_b32 v115, s8
	v_mov_b32_e32 v113, s6
	v_dual_mov_b32 v111, s4 :: v_dual_mov_b32 v114, s7
	v_mov_b32_e32 v112, s5
	s_waitcnt vmcnt(1)
	v_mad_i64_i32 v[1:2], null, v5, s17, s[2:3]
	v_lshlrev_b32_e32 v5, 4, v68
	s_waitcnt vmcnt(0)
	v_mad_i64_i32 v[3:4], null, v6, s17, s[2:3]
	s_or_b32 s2, s12, 0xc0
	s_delay_alu instid0(SALU_CYCLE_1) | instskip(NEXT) | instid1(VALU_DEP_3)
	s_ashr_i32 s3, s2, 5
	v_add_co_u32 v1, vcc_lo, v1, v5
	s_delay_alu instid0(VALU_DEP_4) | instskip(NEXT) | instid1(VALU_DEP_3)
	v_add_co_ci_u32_e32 v2, vcc_lo, 0, v2, vcc_lo
	v_add_co_u32 v3, vcc_lo, v3, v5
	s_delay_alu instid0(VALU_DEP_4)
	v_add_co_ci_u32_e32 v4, vcc_lo, 0, v4, vcc_lo
	s_clause 0xf
	global_load_b128 v[17:20], v[1:2], off
	global_load_b128 v[21:24], v[1:2], off offset:512
	global_load_b128 v[25:28], v[3:4], off offset:256
	;; [unrolled: 1-line block ×15, first 2 shown]
	s_cmp_lt_i32 s2, s24
	v_add_nc_u32_e32 v1, -11, v68
	s_cselect_b32 s2, s3, s13
	v_cmp_gt_u32_e32 vcc_lo, 11, v68
	s_ashr_i32 s3, s2, 31
	v_lshlrev_b32_e32 v2, 5, v68
	s_lshl_b64 s[2:3], s[2:3], 2
	s_delay_alu instid0(SALU_CYCLE_1)
	s_add_u32 s2, s16, s2
	s_addc_u32 s3, s25, s3
	s_or_b32 s20, s12, 0xe0
	v_cndmask_b32_e32 v1, v1, v68, vcc_lo
	s_ashr_i32 s21, s20, 5
	s_cmp_lt_i32 s20, s24
	s_cselect_b32 s20, s21, s13
	s_delay_alu instid0(VALU_DEP_1)
	v_lshlrev_b32_e32 v149, 6, v1
	s_ashr_i32 s21, s20, 31
	v_lshl_or_b32 v1, v69, 9, v2
	s_lshl_b64 s[4:5], s[20:21], 2
	ds_load_b128 v[119:122], v149
	ds_load_b128 v[123:126], v149 offset:1024
	s_add_u32 s4, s16, s4
	s_addc_u32 s5, s25, s5
	ds_load_b128 v[127:130], v149 offset:2048
	ds_load_b128 v[131:134], v149 offset:3072
	s_clause 0x1
	s_load_b32 s2, s[2:3], 0x0
	s_load_b32 s3, s[4:5], 0x0
	s_add_u32 s6, s22, s15
	s_addc_u32 s7, s23, s18
	v_add_co_u32 v135, s6, s6, v1
	s_delay_alu instid0(VALU_DEP_1) | instskip(SKIP_1) | instid1(VALU_DEP_1)
	v_add_co_ci_u32_e64 v136, null, s7, 0, s6
	s_waitcnt lgkmcnt(0)
	v_mad_i64_i32 v[1:2], null, s28, s17, v[135:136]
	v_mad_i64_i32 v[3:4], null, s29, s17, v[135:136]
	;; [unrolled: 1-line block ×6, first 2 shown]
	s_clause 0x9
	global_load_b128 v[49:52], v[1:2], off
	global_load_b128 v[53:56], v[1:2], off offset:16
	global_load_b128 v[41:44], v[3:4], off
	global_load_b128 v[45:48], v[3:4], off offset:16
	;; [unrolled: 2-line block ×5, first 2 shown]
	v_mad_i64_i32 v[145:146], null, s2, s17, v[135:136]
	v_mad_i64_i32 v[147:148], null, s3, s17, v[135:136]
	s_waitcnt vmcnt(24)
	v_wmma_f32_16x16x16_f16 v[135:142], v[17:24], v[119:126], v[111:118]
	s_waitcnt vmcnt(22)
	v_wmma_f32_16x16x16_f16 v[111:118], v[25:32], v[119:126], v[111:118]
	s_clause 0x3
	global_load_b128 v[17:20], v[143:144], off
	global_load_b128 v[21:24], v[143:144], off offset:16
	global_load_b128 v[25:28], v[145:146], off
	global_load_b128 v[29:32], v[145:146], off offset:16
	v_and_b32_e32 v119, 0xe0, v0
	s_waitcnt vmcnt(24)
	v_wmma_f32_16x16x16_f16 v[135:142], v[57:64], v[127:134], v[135:142]
	s_clause 0x1
	global_load_b128 v[57:60], v[147:148], off
	global_load_b128 v[61:64], v[147:148], off offset:16
	s_waitcnt vmcnt(24)
	v_wmma_f32_16x16x16_f16 v[111:118], v[71:78], v[127:134], v[111:118]
	ds_load_b128 v[71:74], v149 offset:4096
	ds_load_b128 v[75:78], v149 offset:5120
	v_add_nc_u32_e32 v128, s12, v119
	ds_load_b128 v[119:122], v149 offset:6144
	ds_load_b128 v[123:126], v149 offset:7168
	v_mbcnt_lo_u32_b32 v127, -1, 0
	s_waitcnt vmcnt(0) lgkmcnt(0)
	s_barrier
	v_or_b32_e32 v128, v128, v66
	buffer_gl0_inv
	v_xor_b32_e32 v129, 16, v127
	v_or_b32_e32 v130, 4, v128
	v_or_b32_e32 v131, 6, v128
	s_delay_alu instid0(VALU_DEP_3) | instskip(SKIP_4) | instid1(VALU_DEP_4)
	v_cmp_gt_i32_e32 vcc_lo, 32, v129
	v_or_b32_e32 v132, 8, v128
	v_or_b32_e32 v133, 10, v128
	v_cmp_gt_i32_e64 s3, s24, v130
	v_cmp_gt_i32_e64 s4, s24, v131
	v_cmp_gt_i32_e64 s5, s24, v132
	v_wmma_f32_16x16x16_f16 v[135:142], v[79:86], v[71:78], v[135:142]
	v_wmma_f32_16x16x16_f16 v[111:118], v[87:94], v[71:78], v[111:118]
	v_or_b32_e32 v79, 12, v128
	v_or_b32_e32 v80, 14, v128
	v_cmp_gt_i32_e64 s6, s24, v133
	v_wmma_f32_16x16x16_f16 v[135:142], v[95:102], v[119:126], v[135:142]
	v_wmma_f32_16x16x16_f16 v[111:118], v[103:110], v[119:126], v[111:118]
	v_cndmask_b32_e32 v127, v127, v129, vcc_lo
	v_or_b32_e32 v129, 2, v128
	v_cmp_gt_i32_e32 vcc_lo, s24, v128
	s_delay_alu instid0(VALU_DEP_4) | instskip(SKIP_1) | instid1(VALU_DEP_4)
	v_dual_mul_f32 v87, s19, v136 :: v_dual_mul_f32 v94, s19, v113
	v_mul_f32_e32 v88, s19, v135
	v_cmp_gt_i32_e64 s2, s24, v129
	v_mul_f32_e32 v78, s19, v138
	v_mul_f32_e32 v86, s19, v137
	;; [unrolled: 1-line block ×3, first 2 shown]
	v_cndmask_b32_e32 v88, 0xff7fffff, v88, vcc_lo
	v_cndmask_b32_e64 v87, 0xff7fffff, v87, s2
	v_dual_mul_f32 v77, s19, v139 :: v_dual_mul_f32 v90, s19, v117
	v_cndmask_b32_e64 v86, 0xff7fffff, v86, s3
	v_cndmask_b32_e64 v78, 0xff7fffff, v78, s4
	s_delay_alu instid0(VALU_DEP_4)
	v_max3_f32 v87, v88, 0xff7fffff, v87
	v_or_b32_e32 v81, 16, v128
	v_or_b32_e32 v82, 18, v128
	v_dual_mul_f32 v74, s19, v142 :: v_dual_mul_f32 v75, s19, v141
	v_mul_f32_e32 v96, s19, v111
	v_cndmask_b32_e64 v77, 0xff7fffff, v77, s5
	v_cndmask_b32_e64 v76, 0xff7fffff, v76, s6
	v_max3_f32 v78, v87, v86, v78
	v_cmp_gt_i32_e64 s7, s24, v79
	v_cmp_gt_i32_e64 s8, s24, v80
	v_or_b32_e32 v83, 20, v128
	v_or_b32_e32 v84, 22, v128
	v_mul_f32_e32 v95, s19, v112
	v_cndmask_b32_e64 v75, 0xff7fffff, v75, s7
	v_cndmask_b32_e64 v74, 0xff7fffff, v74, s8
	v_max3_f32 v76, v78, v77, v76
	v_cmp_gt_i32_e64 s9, s24, v81
	v_cmp_gt_i32_e64 s10, s24, v82
	v_or_b32_e32 v85, 24, v128
	v_or_b32_e32 v71, 26, v128
	;; [unrolled: 8-line block ×3, first 2 shown]
	v_dual_mul_f32 v91, s19, v116 :: v_dual_mul_f32 v92, s19, v115
	v_cndmask_b32_e64 v75, 0xff7fffff, v94, s11
	v_cndmask_b32_e64 v76, 0xff7fffff, v93, s12
	v_max3_f32 v74, v74, v77, v78
	v_cmp_gt_i32_e64 s13, s24, v85
	v_cmp_gt_i32_e64 s15, s24, v71
	v_mul_f32_e32 v89, s19, v118
	v_cmp_gt_i32_e64 s16, s24, v72
	v_max3_f32 v74, v74, v75, v76
	v_cndmask_b32_e64 v77, 0xff7fffff, v92, s13
	v_cndmask_b32_e64 v71, 0xff7fffff, v91, s15
	v_cmp_gt_i32_e64 s17, s24, v73
	v_cndmask_b32_e64 v72, 0xff7fffff, v90, s16
	s_delay_alu instid0(VALU_DEP_3) | instskip(SKIP_1) | instid1(VALU_DEP_4)
	v_max3_f32 v71, v74, v77, v71
	v_lshlrev_b32_e32 v74, 2, v127
	v_cndmask_b32_e64 v73, 0xff7fffff, v89, s17
	s_delay_alu instid0(VALU_DEP_1) | instskip(SKIP_3) | instid1(VALU_DEP_1)
	v_max3_f32 v71, v71, v72, v73
	ds_bpermute_b32 v72, v74, v71
	s_waitcnt lgkmcnt(0)
	v_max_f32_e32 v72, v72, v72
	v_max_f32_e32 v71, v71, v72
	s_delay_alu instid0(VALU_DEP_1) | instskip(SKIP_4) | instid1(VALU_DEP_4)
	v_fma_f32 v72, s19, v135, -v71
	v_fma_f32 v73, s19, v136, -v71
	;; [unrolled: 1-line block ×5, first 2 shown]
	v_dual_mul_f32 v72, 0x3fb8aa3b, v72 :: v_dual_mul_f32 v73, 0x3fb8aa3b, v73
	s_delay_alu instid0(VALU_DEP_3) | instskip(SKIP_1) | instid1(VALU_DEP_3)
	v_dual_mul_f32 v75, 0x3fb8aa3b, v75 :: v_dual_mul_f32 v76, 0x3fb8aa3b, v76
	v_fma_f32 v80, s19, v141, -v71
	v_exp_f32_e32 v72, v72
	s_delay_alu instid0(VALU_DEP_3) | instskip(NEXT) | instid1(VALU_DEP_2)
	v_exp_f32_e32 v73, v73
	v_exp_f32_e32 v75, v75
	v_exp_f32_e32 v76, v76
	v_mul_f32_e32 v82, 0x3fb8aa3b, v80
	s_delay_alu instid0(VALU_DEP_1) | instskip(SKIP_4) | instid1(TRANS32_DEP_3)
	v_exp_f32_e32 v84, v82
	v_cndmask_b32_e32 v79, 0, v72, vcc_lo
	v_fma_f32 v72, s19, v140, -v71
	v_mul_f32_e32 v77, 0x3fb8aa3b, v77
	v_cndmask_b32_e64 v78, 0, v73, s2
	v_cndmask_b32_e64 v81, 0, v75, s3
	s_delay_alu instid0(VALU_DEP_4) | instskip(NEXT) | instid1(VALU_DEP_4)
	v_dual_add_f32 v73, 0, v79 :: v_dual_mul_f32 v72, 0x3fb8aa3b, v72
	v_exp_f32_e32 v77, v77
	v_cndmask_b32_e64 v80, 0, v76, s4
	s_delay_alu instid0(TRANS32_DEP_2) | instskip(NEXT) | instid1(VALU_DEP_3)
	v_cndmask_b32_e64 v85, 0, v84, s7
	v_add_f32_e32 v73, v73, v78
	v_exp_f32_e32 v72, v72
	v_cmp_gt_u32_e64 s2, 16, v70
	s_delay_alu instid0(VALU_DEP_2) | instskip(NEXT) | instid1(TRANS32_DEP_2)
	v_add_f32_e32 v73, v73, v81
	v_cndmask_b32_e64 v83, 0, v77, s5
	s_delay_alu instid0(VALU_DEP_2) | instskip(SKIP_3) | instid1(VALU_DEP_1)
	v_add_f32_e32 v73, v73, v80
	s_waitcnt_depctr 0xfff
	v_cndmask_b32_e64 v82, 0, v72, s6
	v_add_f32_e32 v72, v73, v83
	v_add_f32_e32 v72, v72, v82
	s_delay_alu instid0(VALU_DEP_1)
	v_add_f32_e32 v72, v72, v85
	v_fma_f32 v76, s19, v111, -v71
	v_fma_f32 v75, s19, v142, -v71
	;; [unrolled: 1-line block ×5, first 2 shown]
	s_delay_alu instid0(VALU_DEP_4) | instskip(NEXT) | instid1(VALU_DEP_3)
	v_dual_mul_f32 v76, 0x3fb8aa3b, v76 :: v_dual_mul_f32 v75, 0x3fb8aa3b, v75
	v_mul_f32_e32 v86, 0x3fb8aa3b, v86
	s_delay_alu instid0(VALU_DEP_2) | instskip(NEXT) | instid1(VALU_DEP_2)
	v_exp_f32_e32 v76, v76
	v_exp_f32_e32 v75, v75
	s_delay_alu instid0(VALU_DEP_1) | instskip(NEXT) | instid1(TRANS32_DEP_3)
	v_exp_f32_e32 v88, v86
	v_cndmask_b32_e64 v87, 0, v76, s9
	v_fma_f32 v76, s19, v116, -v71
	v_mul_f32_e32 v77, 0x3fb8aa3b, v77
	s_waitcnt_depctr 0xfff
	v_cndmask_b32_e64 v84, 0, v75, s8
	v_fma_f32 v75, s19, v115, -v71
	v_cndmask_b32_e64 v88, 0, v88, s12
	v_mul_f32_e32 v76, 0x3fb8aa3b, v76
	v_exp_f32_e32 v77, v77
	v_add_f32_e32 v72, v72, v84
	s_delay_alu instid0(VALU_DEP_2) | instskip(NEXT) | instid1(VALU_DEP_1)
	v_exp_f32_e32 v76, v76
	v_add_f32_e32 v72, v72, v87
	s_waitcnt_depctr 0xfff
	v_cndmask_b32_e64 v86, 0, v77, s10
	v_mul_f32_e32 v73, 0x3fb8aa3b, v73
	v_fma_f32 v77, s19, v117, -v71
	v_cndmask_b32_e64 v90, 0, v76, s15
	s_delay_alu instid0(VALU_DEP_4) | instskip(NEXT) | instid1(VALU_DEP_4)
	v_add_f32_e32 v72, v72, v86
	v_exp_f32_e32 v73, v73
	s_waitcnt_depctr 0xfff
	v_cndmask_b32_e64 v89, 0, v73, s11
	s_delay_alu instid0(VALU_DEP_1) | instskip(NEXT) | instid1(VALU_DEP_1)
	v_dual_mul_f32 v75, 0x3fb8aa3b, v75 :: v_dual_add_f32 v72, v72, v89
	v_exp_f32_e32 v75, v75
	v_mul_f32_e32 v73, 0x3fb8aa3b, v77
	v_fma_f32 v77, s19, v118, -v71
	s_delay_alu instid0(VALU_DEP_3) | instskip(NEXT) | instid1(VALU_DEP_3)
	v_add_f32_e32 v72, v72, v88
	v_exp_f32_e32 v73, v73
	s_waitcnt_depctr 0xfff
	v_cndmask_b32_e64 v91, 0, v75, s13
	s_delay_alu instid0(VALU_DEP_1) | instskip(NEXT) | instid1(VALU_DEP_1)
	v_dual_mul_f32 v75, 0x3fb8aa3b, v77 :: v_dual_add_f32 v72, v72, v91
	v_exp_f32_e32 v75, v75
	v_cndmask_b32_e64 v93, 0, v73, s16
	s_delay_alu instid0(VALU_DEP_2) | instskip(NEXT) | instid1(VALU_DEP_1)
	v_add_f32_e32 v72, v72, v90
	v_add_f32_e32 v72, v72, v93
	s_waitcnt_depctr 0xfff
	v_cndmask_b32_e64 v92, 0, v75, s17
	s_delay_alu instid0(VALU_DEP_1)
	v_add_f32_e32 v72, v72, v92
	ds_bpermute_b32 v73, v74, v72
	s_and_saveexec_b32 s3, s2
	s_cbranch_execz .LBB1040_12
; %bb.11:
	v_mul_u32_u24_e32 v70, 0x44, v69
	s_waitcnt lgkmcnt(0)
	v_add_f32_e32 v72, v72, v73
	s_delay_alu instid0(VALU_DEP_2) | instskip(NEXT) | instid1(VALU_DEP_1)
	v_lshl_add_u32 v70, v68, 2, v70
	v_add_nc_u32_e32 v70, 0x4000, v70
	ds_store_2addr_b32 v70, v71, v72 offset1:136
.LBB1040_12:
	s_or_b32 exec_lo, exec_lo, s3
	v_lshlrev_b32_e32 v70, 2, v68
	s_load_b32 s35, s[0:1], 0x94
	s_waitcnt lgkmcnt(0)
	s_barrier
	buffer_gl0_inv
	v_add_nc_u32_e32 v98, 0x4000, v70
	v_cmp_eq_u32_e32 vcc_lo, 1, v69
	v_cmp_eq_u32_e64 s3, 2, v69
	v_cmp_eq_u32_e64 s4, 3, v69
	;; [unrolled: 1-line block ×3, first 2 shown]
	ds_load_2addr_b32 v[70:71], v98 offset1:17
	ds_load_2addr_b32 v[72:73], v98 offset0:34 offset1:51
	ds_load_2addr_b32 v[74:75], v98 offset0:68 offset1:85
	;; [unrolled: 1-line block ×3, first 2 shown]
	v_cmp_eq_u32_e64 s6, 5, v69
	v_cmp_eq_u32_e64 s7, 7, v69
	s_waitcnt lgkmcnt(3)
	v_max3_f32 v76, v70, 0xff7fffff, v71
	s_waitcnt lgkmcnt(2)
	s_delay_alu instid0(VALU_DEP_1) | instskip(SKIP_1) | instid1(VALU_DEP_1)
	v_max3_f32 v76, v76, v72, v73
	s_waitcnt lgkmcnt(1)
	v_max3_f32 v76, v76, v74, v75
	s_waitcnt lgkmcnt(0)
	s_delay_alu instid0(VALU_DEP_1) | instskip(NEXT) | instid1(VALU_DEP_1)
	v_max3_f32 v76, v76, v94, v95
	v_sub_f32_e32 v77, v71, v76
	ds_load_2addr_b32 v[96:97], v98 offset0:136 offset1:153
	v_sub_f32_e32 v74, v74, v76
	v_sub_f32_e32 v70, v70, v76
	;; [unrolled: 1-line block ×3, first 2 shown]
	v_dual_sub_f32 v72, v72, v76 :: v_dual_mul_f32 v77, 0x3fb8aa3b, v77
	s_delay_alu instid0(VALU_DEP_4) | instskip(NEXT) | instid1(VALU_DEP_4)
	v_mul_f32_e32 v103, 0x3fb8aa3b, v74
	v_mul_f32_e32 v99, 0x3fb8aa3b, v70
	ds_load_2addr_b32 v[70:71], v98 offset0:170 offset1:187
	v_dual_mul_f32 v101, 0x3fb8aa3b, v72 :: v_dual_mul_f32 v94, 0x3fb8aa3b, v94
	v_exp_f32_e32 v102, v77
	v_exp_f32_e32 v99, v99
	s_delay_alu instid0(VALU_DEP_1) | instskip(NEXT) | instid1(VALU_DEP_1)
	v_exp_f32_e32 v101, v101
	v_exp_f32_e32 v94, v94
	s_waitcnt lgkmcnt(1)
	s_delay_alu instid0(TRANS32_DEP_3)
	v_fma_f32 v77, v99, v96, 0
	v_sub_f32_e32 v100, v73, v76
	ds_load_2addr_b32 v[72:73], v98 offset0:204 offset1:221
	v_fmac_f32_e32 v77, v102, v97
	v_exp_f32_e32 v97, v103
	s_waitcnt lgkmcnt(1)
	s_delay_alu instid0(VALU_DEP_1)
	v_dual_fmac_f32 v77, v101, v70 :: v_dual_sub_f32 v96, v75, v76
	ds_load_2addr_b32 v[74:75], v98 offset0:238 offset1:255
	v_sub_f32_e32 v70, v95, v76
	s_waitcnt lgkmcnt(0)
	s_barrier
	v_mul_f32_e32 v96, 0x3fb8aa3b, v96
	buffer_gl0_inv
	v_exp_f32_e32 v95, v96
	v_mul_f32_e32 v100, 0x3fb8aa3b, v100
	s_delay_alu instid0(VALU_DEP_1) | instskip(SKIP_3) | instid1(VALU_DEP_2)
	v_exp_f32_e32 v100, v100
	s_waitcnt_depctr 0xfff
	v_dual_fmac_f32 v77, v100, v71 :: v_dual_mul_f32 v70, 0x3fb8aa3b, v70
	v_cndmask_b32_e32 v71, v99, v102, vcc_lo
	v_fmac_f32_e32 v77, v97, v72
	s_delay_alu instid0(VALU_DEP_3) | instskip(NEXT) | instid1(VALU_DEP_1)
	v_exp_f32_e32 v96, v70
	v_fmac_f32_e32 v77, v95, v73
	s_delay_alu instid0(VALU_DEP_1) | instskip(SKIP_2) | instid1(VALU_DEP_1)
	v_fmac_f32_e32 v77, v94, v74
	s_waitcnt_depctr 0xfff
	v_fmac_f32_e32 v77, v96, v75
	v_add_f32_e32 v74, 0x358637bd, v77
	s_delay_alu instid0(VALU_DEP_1) | instskip(SKIP_1) | instid1(VALU_DEP_2)
	v_div_scale_f32 v98, null, v74, v74, 1.0
	v_div_scale_f32 v99, vcc_lo, 1.0, v74, 1.0
	v_rcp_f32_e32 v103, v98
	s_waitcnt_depctr 0xfff
	v_fma_f32 v70, -v98, v103, 1.0
	s_delay_alu instid0(VALU_DEP_1) | instskip(SKIP_2) | instid1(VALU_DEP_2)
	v_fmac_f32_e32 v103, v70, v103
	v_cndmask_b32_e64 v70, v71, v101, s3
	v_cmp_eq_u32_e64 s3, 6, v69
	v_cndmask_b32_e64 v71, v70, v100, s4
	s_delay_alu instid0(VALU_DEP_4) | instskip(NEXT) | instid1(VALU_DEP_2)
	v_dual_mul_f32 v101, v99, v103 :: v_dual_lshlrev_b32 v70, 2, v66
	v_cndmask_b32_e64 v71, v71, v97, s5
	s_delay_alu instid0(VALU_DEP_2) | instskip(NEXT) | instid1(VALU_DEP_3)
	v_or_b32_e32 v72, 1, v70
	v_fma_f32 v100, -v98, v101, v99
	v_cmp_eq_u32_e64 s4, 1, v70
	v_cmp_eq_u32_e64 s5, 2, v70
	v_cndmask_b32_e64 v95, v71, v95, s6
	v_or_b32_e32 v71, 3, v70
	v_fmac_f32_e32 v101, v100, v103
	v_cmp_eq_u32_e64 s9, 1, v72
	v_cmp_eq_u32_e64 s12, 2, v72
	v_cndmask_b32_e64 v94, v95, v94, s3
	v_cmp_eq_u32_e64 s11, 1, v71
	v_fma_f32 v97, -v98, v101, v99
	v_cmp_eq_u32_e64 s16, 2, v71
	v_cmp_eq_u32_e64 s13, 3, v72
	v_cndmask_b32_e64 v94, v94, v96, s7
	v_cmp_eq_u32_e64 s18, 3, v71
	v_div_fmas_f32 v95, v97, v103, v101
	v_cmp_eq_u32_e32 vcc_lo, 3, v70
	v_cmp_eq_u32_e64 s3, 4, v70
	v_cmp_eq_u32_e64 s19, 4, v72
	;; [unrolled: 1-line block ×3, first 2 shown]
	v_div_fixup_f32 v95, v95, v74, 1.0
	v_lshlrev_b32_e32 v73, 6, v68
	v_cmp_eq_u32_e64 s6, 5, v70
	v_cmp_eq_u32_e64 s20, 5, v72
	;; [unrolled: 1-line block ×3, first 2 shown]
	v_mul_f32_e32 v102, v94, v95
	v_lshl_or_b32 v75, v69, 11, v73
	v_or_b32_e32 v69, 2, v70
	v_cmp_eq_u32_e64 s25, 6, v72
	v_cmp_eq_u32_e64 s27, 6, v71
	v_fma_mixlo_f16 v94, v102, v79, 0
	v_fma_mixlo_f16 v95, v102, v81, 0
	;; [unrolled: 1-line block ×8, first 2 shown]
	v_lshl_or_b32 v74, v66, 4, v75
	v_fma_mixhi_f16 v94, v102, v78, 0
	v_fma_mixhi_f16 v95, v102, v80, 0
	;; [unrolled: 1-line block ×8, first 2 shown]
	ds_store_b128 v74, v[94:97]
	ds_store_b128 v74, v[98:101] offset:1024
	s_waitcnt lgkmcnt(0)
	s_barrier
	buffer_gl0_inv
	ds_load_b128 v[78:81], v75
	ds_load_b128 v[82:85], v75 offset:16
	ds_load_b128 v[86:89], v75 offset:1024
	;; [unrolled: 1-line block ×3, first 2 shown]
	v_cmp_eq_u32_e64 s10, 1, v69
	v_cmp_eq_u32_e64 s15, 2, v69
	;; [unrolled: 1-line block ×11, first 2 shown]
	s_waitcnt lgkmcnt(3)
	v_lshrrev_b32_e32 v94, 16, v78
	s_waitcnt lgkmcnt(2)
	v_lshrrev_b32_e32 v98, 16, v82
	;; [unrolled: 2-line block ×4, first 2 shown]
	v_lshrrev_b32_e32 v95, 16, v79
	v_cndmask_b32_e64 v110, v78, v94, s4
	v_cndmask_b32_e64 v111, v82, v98, s4
	;; [unrolled: 1-line block ×8, first 2 shown]
	v_lshrrev_b32_e32 v99, 16, v83
	v_cndmask_b32_e64 v94, v86, v102, s4
	v_cndmask_b32_e64 v98, v90, v106, s4
	;; [unrolled: 1-line block ×15, first 2 shown]
	v_lshrrev_b32_e32 v103, 16, v87
	v_lshrrev_b32_e32 v107, 16, v91
	v_cndmask_b32_e64 v113, v115, v83, s15
	v_cndmask_b32_e64 v82, v94, v87, s5
	;; [unrolled: 1-line block ×7, first 2 shown]
	v_cndmask_b32_e32 v90, v102, v95, vcc_lo
	v_cndmask_b32_e32 v102, v106, v99, vcc_lo
	v_cndmask_b32_e64 v106, v110, v95, s13
	v_cndmask_b32_e64 v110, v111, v99, s13
	;; [unrolled: 1-line block ×4, first 2 shown]
	v_lshrrev_b32_e32 v96, 16, v80
	v_lshrrev_b32_e32 v100, 16, v84
	v_cndmask_b32_e64 v111, v112, v95, s17
	v_cndmask_b32_e64 v112, v113, v99, s17
	v_cndmask_b32_e32 v82, v82, v103, vcc_lo
	v_cndmask_b32_e32 v83, v83, v107, vcc_lo
	v_cndmask_b32_e64 v94, v94, v103, s13
	v_cndmask_b32_e64 v90, v90, v80, s3
	;; [unrolled: 1-line block ×7, first 2 shown]
	v_lshrrev_b32_e32 v104, 16, v88
	v_cndmask_b32_e64 v106, v111, v80, s21
	v_cndmask_b32_e64 v110, v112, v84, s21
	;; [unrolled: 1-line block ×11, first 2 shown]
	v_lshrrev_b32_e32 v97, 16, v81
	v_lshrrev_b32_e32 v101, 16, v85
	v_cndmask_b32_e64 v99, v106, v96, s23
	v_cndmask_b32_e64 v102, v110, v100, s23
	v_cndmask_b32_e64 v83, v83, v104, s20
	v_cndmask_b32_e64 v94, v94, v81, s25
	v_cndmask_b32_e64 v95, v95, v85, s25
	v_cndmask_b32_e64 v78, v78, v81, s27
	v_cndmask_b32_e64 v79, v79, v85, s27
	v_lshrrev_b32_e32 v105, 16, v89
	v_cndmask_b32_e64 v80, v80, v104, s6
	v_cndmask_b32_e64 v84, v84, v81, s7
	;; [unrolled: 1-line block ×16, first 2 shown]
	v_perm_b32 v81, v79, v78, 0x5040100
	v_perm_b32 v79, v95, v85, 0x5040100
	v_cndmask_b32_e64 v78, v119, v91, s15
	v_cndmask_b32_e64 v85, v117, v91, s12
	;; [unrolled: 1-line block ×3, first 2 shown]
	v_perm_b32 v80, v94, v90, 0x5040100
	v_cndmask_b32_e64 v90, v98, v103, s17
	v_cndmask_b32_e64 v86, v86, v103, s18
	v_cndmask_b32_e64 v87, v87, v107, s18
	v_cndmask_b32_e64 v78, v78, v107, s17
	v_cndmask_b32_e64 v85, v85, v107, s13
	v_lshrrev_b32_e32 v108, 16, v92
	v_cndmask_b32_e64 v90, v90, v88, s21
	v_cndmask_b32_e64 v86, v86, v88, s22
	;; [unrolled: 1-line block ×11, first 2 shown]
	v_lshrrev_b32_e32 v109, 16, v93
	v_cndmask_b32_e64 v82, v82, v93, s7
	v_cndmask_b32_e64 v88, v88, v89, s26
	;; [unrolled: 1-line block ×12, first 2 shown]
	v_perm_b32 v78, v84, v83, 0x5040100
	v_perm_b32 v85, v87, v86, 0x5040100
	;; [unrolled: 1-line block ×5, first 2 shown]
	s_mul_i32 s8, s33, 11
	s_mov_b32 s3, exec_lo
	ds_store_b128 v74, v[78:81]
	ds_store_b128 v74, v[82:85] offset:1024
	v_cmpx_gt_u32_e32 11, v0
	s_cbranch_execz .LBB1040_14
; %bb.13:
	s_mul_i32 s4, s8, s34
	s_delay_alu instid0(SALU_CYCLE_1) | instskip(SKIP_1) | instid1(VALU_DEP_1)
	v_add3_u32 v68, s4, s31, v68
	s_load_b128 s[4:7], s[0:1], 0x58
	v_mad_u64_u32 v[78:79], null, v68, s35, s[14:15]
	s_delay_alu instid0(VALU_DEP_1) | instskip(NEXT) | instid1(VALU_DEP_1)
	v_ashrrev_i32_e32 v79, 31, v78
	v_lshlrev_b64 v[78:79], 2, v[78:79]
	s_waitcnt lgkmcnt(0)
	s_delay_alu instid0(VALU_DEP_1) | instskip(NEXT) | instid1(VALU_DEP_2)
	v_add_co_u32 v80, vcc_lo, s6, v78
	v_add_co_ci_u32_e32 v81, vcc_lo, s7, v79, vcc_lo
	v_add_co_u32 v78, vcc_lo, s4, v78
	v_add_co_ci_u32_e32 v79, vcc_lo, s5, v79, vcc_lo
	global_store_b32 v[80:81], v76, off
	global_store_b32 v[78:79], v77, off
.LBB1040_14:
	s_or_b32 exec_lo, exec_lo, s3
	s_waitcnt lgkmcnt(0)
	s_waitcnt_vscnt null, 0x0
	s_barrier
	buffer_gl0_inv
	ds_load_b128 v[84:87], v73
	ds_load_b128 v[88:91], v73 offset:16
	ds_load_b128 v[96:99], v73 offset:2064
	;; [unrolled: 1-line block ×5, first 2 shown]
	v_cmp_eq_u32_e32 vcc_lo, 1, v70
	v_mov_b32_e32 v76, 0
	ds_load_b128 v[112:115], v73 offset:6160
	ds_load_b128 v[108:111], v73 offset:6144
	;; [unrolled: 1-line block ×4, first 2 shown]
	v_cmp_eq_u32_e64 s4, 1, v69
	v_cmp_eq_u32_e64 s3, 1, v72
	;; [unrolled: 1-line block ×3, first 2 shown]
	v_mov_b32_e32 v77, v76
	v_mov_b32_e32 v78, v76
	;; [unrolled: 1-line block ×7, first 2 shown]
	v_cmp_eq_u32_e64 s6, 3, v72
	v_cmp_eq_u32_e64 s7, 7, v72
	s_waitcnt lgkmcnt(8)
	s_delay_alu instid0(VALU_DEP_3)
	v_wmma_f32_16x16x16_f16 v[76:83], v[49:56], v[84:91], v[76:83]
	ds_load_b128 v[53:56], v73 offset:10256
	ds_load_b128 v[49:52], v73 offset:10240
	s_waitcnt lgkmcnt(8)
	v_wmma_f32_16x16x16_f16 v[76:83], v[41:48], v[92:99], v[76:83]
	ds_load_b128 v[45:48], v73 offset:12304
	ds_load_b128 v[41:44], v73 offset:12288
	s_waitcnt lgkmcnt(8)
	;; [unrolled: 4-line block ×3, first 2 shown]
	s_barrier
	buffer_gl0_inv
	v_wmma_f32_16x16x16_f16 v[76:83], v[1:8], v[108:115], v[76:83]
	s_delay_alu instid0(VALU_DEP_1) | instskip(NEXT) | instid1(VALU_DEP_1)
	v_wmma_f32_16x16x16_f16 v[76:83], v[9:16], v[116:123], v[76:83]
	v_wmma_f32_16x16x16_f16 v[76:83], v[17:24], v[49:56], v[76:83]
	s_delay_alu instid0(VALU_DEP_1) | instskip(NEXT) | instid1(VALU_DEP_1)
	v_wmma_f32_16x16x16_f16 v[76:83], v[25:32], v[41:48], v[76:83]
	v_wmma_f32_16x16x16_f16 v[76:83], v[57:64], v[33:40], v[76:83]
	s_delay_alu instid0(VALU_DEP_1) | instskip(NEXT) | instid1(VALU_DEP_2)
	v_cvt_f16_f32_e32 v1, v76
	v_cvt_f16_f32_e32 v2, v77
	s_delay_alu instid0(VALU_DEP_3) | instskip(NEXT) | instid1(VALU_DEP_4)
	v_cvt_f16_f32_e32 v3, v78
	v_cvt_f16_f32_e32 v4, v79
	;; [unrolled: 1-line block ×6, first 2 shown]
	v_pack_b32_f16 v1, v1, v2
	v_pack_b32_f16 v2, v3, v4
	;; [unrolled: 1-line block ×3, first 2 shown]
	s_delay_alu instid0(VALU_DEP_4)
	v_pack_b32_f16 v4, v7, v8
	ds_store_b128 v74, v[1:4]
	s_waitcnt lgkmcnt(0)
	s_barrier
	buffer_gl0_inv
	ds_load_b128 v[1:4], v75
	ds_load_b128 v[5:8], v75 offset:16
	s_waitcnt lgkmcnt(1)
	v_lshrrev_b32_e32 v9, 16, v1
	s_waitcnt lgkmcnt(0)
	v_lshrrev_b32_e32 v13, 16, v5
	v_lshrrev_b32_e32 v10, 16, v2
	;; [unrolled: 1-line block ×4, first 2 shown]
	v_cndmask_b32_e32 v17, v1, v9, vcc_lo
	v_cndmask_b32_e32 v18, v5, v13, vcc_lo
	v_cndmask_b32_e64 v21, v1, v9, s4
	v_cmp_eq_u32_e32 vcc_lo, 1, v71
	v_cndmask_b32_e64 v22, v5, v13, s4
	v_cmp_eq_u32_e64 s4, 2, v70
	v_cndmask_b32_e64 v19, v1, v9, s3
	v_cndmask_b32_e64 v20, v5, v13, s3
	v_cndmask_b32_e32 v1, v1, v9, vcc_lo
	v_cmp_eq_u32_e64 s3, 2, v71
	v_cndmask_b32_e32 v5, v5, v13, vcc_lo
	v_cndmask_b32_e64 v9, v17, v2, s4
	v_cmp_eq_u32_e32 vcc_lo, 3, v70
	v_cndmask_b32_e64 v13, v18, v6, s4
	v_cmp_eq_u32_e64 s4, 2, v69
	v_cndmask_b32_e64 v17, v19, v2, s5
	v_cndmask_b32_e64 v18, v20, v6, s5
	v_cmp_eq_u32_e64 s5, 3, v69
	v_cndmask_b32_e64 v1, v1, v2, s3
	v_cndmask_b32_e64 v19, v21, v2, s4
	;; [unrolled: 1-line block ×4, first 2 shown]
	v_cndmask_b32_e32 v5, v9, v10, vcc_lo
	v_cndmask_b32_e32 v6, v13, v14, vcc_lo
	v_cmp_eq_u32_e32 vcc_lo, 3, v71
	v_cndmask_b32_e64 v9, v17, v10, s6
	v_cndmask_b32_e64 v13, v18, v14, s6
	;; [unrolled: 1-line block ×3, first 2 shown]
	v_cmp_eq_u32_e64 s4, 4, v70
	v_cndmask_b32_e32 v1, v1, v10, vcc_lo
	v_cndmask_b32_e32 v2, v2, v14, vcc_lo
	v_cmp_eq_u32_e32 vcc_lo, 4, v72
	v_lshrrev_b32_e32 v15, 16, v7
	v_lshrrev_b32_e32 v16, 16, v8
	v_cndmask_b32_e64 v17, v19, v10, s5
	v_cmp_eq_u32_e64 s3, 4, v71
	v_cndmask_b32_e64 v5, v5, v3, s4
	v_cndmask_b32_e64 v6, v6, v7, s4
	v_cndmask_b32_e32 v9, v9, v3, vcc_lo
	v_cmp_eq_u32_e64 s4, 5, v72
	v_cndmask_b32_e32 v10, v13, v7, vcc_lo
	v_cmp_eq_u32_e32 vcc_lo, 4, v69
	v_cmp_eq_u32_e64 s5, 5, v70
	v_cndmask_b32_e64 v2, v2, v7, s3
	v_cndmask_b32_e64 v9, v9, v11, s4
	v_cndmask_b32_e64 v10, v10, v15, s4
	v_cndmask_b32_e32 v13, v17, v3, vcc_lo
	v_cmp_eq_u32_e64 s4, 5, v69
	v_cndmask_b32_e32 v14, v18, v7, vcc_lo
	v_cndmask_b32_e64 v1, v1, v3, s3
	v_cmp_eq_u32_e32 vcc_lo, 5, v71
	v_lshrrev_b32_e32 v12, 16, v4
	v_cndmask_b32_e64 v13, v13, v11, s4
	v_cndmask_b32_e64 v3, v14, v15, s4
	v_cmp_eq_u32_e64 s4, 6, v71
	v_cndmask_b32_e32 v1, v1, v11, vcc_lo
	v_cndmask_b32_e64 v5, v5, v11, s5
	v_cmp_eq_u32_e64 s6, 6, v70
	v_cndmask_b32_e64 v6, v6, v15, s5
	v_cmp_eq_u32_e64 s5, 6, v72
	v_cmp_eq_u32_e64 s3, 6, v69
	v_cndmask_b32_e64 v1, v1, v4, s4
	v_cndmask_b32_e32 v2, v2, v15, vcc_lo
	v_cmp_eq_u32_e32 vcc_lo, 7, v71
	v_cndmask_b32_e64 v5, v5, v4, s6
	v_cndmask_b32_e64 v9, v9, v4, s5
	;; [unrolled: 1-line block ×3, first 2 shown]
	v_cmp_eq_u32_e64 s6, 7, v70
	v_cndmask_b32_e32 v1, v1, v12, vcc_lo
	v_cndmask_b32_e64 v7, v13, v4, s3
	v_cndmask_b32_e64 v3, v3, v8, s3
	;; [unrolled: 1-line block ×3, first 2 shown]
	v_cmp_eq_u32_e64 s3, 7, v69
	v_cndmask_b32_e64 v4, v10, v8, s5
	v_cndmask_b32_e64 v5, v5, v12, s6
	;; [unrolled: 1-line block ×3, first 2 shown]
	v_cndmask_b32_e32 v2, v2, v16, vcc_lo
	v_cndmask_b32_e64 v7, v7, v12, s3
	v_cndmask_b32_e64 v3, v3, v16, s3
	;; [unrolled: 1-line block ×4, first 2 shown]
	v_perm_b32 v4, v2, v1, 0x5040100
	s_mov_b32 s3, exec_lo
	v_perm_b32 v3, v3, v7, 0x5040100
	v_perm_b32 v2, v8, v9, 0x5040100
	;; [unrolled: 1-line block ×3, first 2 shown]
	ds_store_b128 v74, v[1:4]
	s_waitcnt lgkmcnt(0)
	s_barrier
	buffer_gl0_inv
	v_cmpx_gt_u32_e32 32, v0
	s_cbranch_execz .LBB1040_2
; %bb.15:
	s_load_b64 s[4:5], s[0:1], 0x68
	v_lshlrev_b32_e32 v0, 10, v0
	v_lshlrev_b32_e32 v1, 4, v67
	s_lshl_b32 s0, s35, 7
	v_add_nc_u32_e32 v7, s31, v66
	s_mul_i32 s1, s0, s34
	s_delay_alu instid0(SALU_CYCLE_1) | instskip(SKIP_1) | instid1(VALU_DEP_2)
	s_mul_i32 s6, s1, s8
	v_and_or_b32 v0, 0x3800, v0, v1
	v_mul_lo_u32 v1, v7, s0
	v_add_nc_u32_e32 v2, 2, v7
	s_ashr_i32 s7, s6, 31
	v_add_nc_u32_e32 v4, 4, v7
	s_lshl_b64 s[6:7], s[6:7], 1
	v_add_nc_u32_e32 v8, 6, v7
	v_mul_lo_u32 v3, v2, s0
	v_lshl_or_b32 v19, v66, 6, v0
	v_ashrrev_i32_e32 v2, 31, v1
	v_mul_lo_u32 v11, v4, s0
	v_mul_lo_u32 v25, v8, s0
	s_waitcnt lgkmcnt(0)
	s_add_u32 s1, s4, s6
	s_addc_u32 s3, s5, s7
	s_lshl_b32 s4, s14, 7
	v_lshlrev_b64 v[5:6], 1, v[1:2]
	s_ashr_i32 s5, s4, 31
	v_ashrrev_i32_e32 v4, 31, v3
	s_lshl_b64 s[4:5], s[4:5], 1
	v_ashrrev_i32_e32 v12, 31, v11
	s_add_u32 s1, s1, s4
	s_addc_u32 s3, s3, s5
	v_add_co_u32 v1, s1, s1, v65
	s_delay_alu instid0(VALU_DEP_1) | instskip(SKIP_1) | instid1(VALU_DEP_3)
	v_add_co_ci_u32_e64 v2, null, s3, 0, s1
	v_lshlrev_b64 v[3:4], 1, v[3:4]
	v_add_co_u32 v23, vcc_lo, v1, v5
	v_add_nc_u32_e32 v5, 8, v7
	s_delay_alu instid0(VALU_DEP_4) | instskip(NEXT) | instid1(VALU_DEP_4)
	v_add_co_ci_u32_e32 v24, vcc_lo, v2, v6, vcc_lo
	v_add_co_u32 v27, vcc_lo, v1, v3
	s_delay_alu instid0(VALU_DEP_3)
	v_mul_lo_u32 v29, v5, s0
	v_add_co_ci_u32_e32 v28, vcc_lo, v2, v4, vcc_lo
	ds_load_b128 v[3:6], v19
	ds_load_b128 v[7:10], v19 offset:128
	v_lshlrev_b64 v[31:32], 1, v[11:12]
	ds_load_b128 v[11:14], v19 offset:256
	ds_load_b128 v[15:18], v19 offset:384
	;; [unrolled: 1-line block ×3, first 2 shown]
	v_ashrrev_i32_e32 v26, 31, v25
	v_ashrrev_i32_e32 v30, 31, v29
	v_add_co_u32 v31, vcc_lo, v1, v31
	s_delay_alu instid0(VALU_DEP_3) | instskip(NEXT) | instid1(VALU_DEP_3)
	v_lshlrev_b64 v[25:26], 1, v[25:26]
	v_lshlrev_b64 v[29:30], 1, v[29:30]
	v_add_co_ci_u32_e32 v32, vcc_lo, v2, v32, vcc_lo
	s_delay_alu instid0(VALU_DEP_3) | instskip(NEXT) | instid1(VALU_DEP_4)
	v_add_co_u32 v25, vcc_lo, v1, v25
	v_add_co_ci_u32_e32 v26, vcc_lo, v2, v26, vcc_lo
	s_delay_alu instid0(VALU_DEP_4)
	v_add_co_u32 v29, vcc_lo, v1, v29
	v_add_co_ci_u32_e32 v30, vcc_lo, v2, v30, vcc_lo
	s_waitcnt lgkmcnt(4)
	global_store_b128 v[23:24], v[3:6], off
	s_waitcnt lgkmcnt(3)
	global_store_b128 v[27:28], v[7:10], off
	;; [unrolled: 2-line block ×5, first 2 shown]
	s_and_b32 exec_lo, exec_lo, s2
	s_cbranch_execz .LBB1040_2
; %bb.16:
	ds_load_b128 v[3:6], v0 offset:640
	s_add_i32 s1, s31, 10
	s_delay_alu instid0(SALU_CYCLE_1) | instskip(NEXT) | instid1(SALU_CYCLE_1)
	s_mul_i32 s0, s1, s0
	s_ashr_i32 s1, s0, 31
	s_delay_alu instid0(SALU_CYCLE_1) | instskip(NEXT) | instid1(SALU_CYCLE_1)
	s_lshl_b64 s[0:1], s[0:1], 1
	v_add_co_u32 v0, vcc_lo, v1, s0
	v_add_co_ci_u32_e32 v1, vcc_lo, s1, v2, vcc_lo
	s_waitcnt lgkmcnt(0)
	global_store_b128 v[0:1], v[3:6], off
	s_nop 0
	s_sendmsg sendmsg(MSG_DEALLOC_VGPRS)
	s_endpgm
	.section	.rodata,"a",@progbits
	.p2align	6, 0x0
	.amdhsa_kernel _Z39paged_attention_ll4mi_QKV_mfma16_kernelIDF16_hLN4vllm18Fp8KVCacheDataTypeE1EhLi32ELi128ELi256ELb0ELi11EL8MFMAType1EEvPKT_PKT0_S8_ifPKiSA_SA_iPKfiiiPfSD_PS3_PT2_iSC_SC_
		.amdhsa_group_segment_fixed_size 17472
		.amdhsa_private_segment_fixed_size 0
		.amdhsa_kernarg_size 400
		.amdhsa_user_sgpr_count 13
		.amdhsa_user_sgpr_dispatch_ptr 0
		.amdhsa_user_sgpr_queue_ptr 0
		.amdhsa_user_sgpr_kernarg_segment_ptr 1
		.amdhsa_user_sgpr_dispatch_id 0
		.amdhsa_user_sgpr_private_segment_size 0
		.amdhsa_wavefront_size32 1
		.amdhsa_uses_dynamic_stack 0
		.amdhsa_enable_private_segment 0
		.amdhsa_system_sgpr_workgroup_id_x 1
		.amdhsa_system_sgpr_workgroup_id_y 1
		.amdhsa_system_sgpr_workgroup_id_z 1
		.amdhsa_system_sgpr_workgroup_info 0
		.amdhsa_system_vgpr_workitem_id 0
		.amdhsa_next_free_vgpr 150
		.amdhsa_next_free_sgpr 37
		.amdhsa_reserve_vcc 1
		.amdhsa_float_round_mode_32 0
		.amdhsa_float_round_mode_16_64 0
		.amdhsa_float_denorm_mode_32 3
		.amdhsa_float_denorm_mode_16_64 3
		.amdhsa_dx10_clamp 1
		.amdhsa_ieee_mode 1
		.amdhsa_fp16_overflow 0
		.amdhsa_workgroup_processor_mode 1
		.amdhsa_memory_ordered 1
		.amdhsa_forward_progress 0
		.amdhsa_shared_vgpr_count 0
		.amdhsa_exception_fp_ieee_invalid_op 0
		.amdhsa_exception_fp_denorm_src 0
		.amdhsa_exception_fp_ieee_div_zero 0
		.amdhsa_exception_fp_ieee_overflow 0
		.amdhsa_exception_fp_ieee_underflow 0
		.amdhsa_exception_fp_ieee_inexact 0
		.amdhsa_exception_int_div_zero 0
	.end_amdhsa_kernel
	.section	.text._Z39paged_attention_ll4mi_QKV_mfma16_kernelIDF16_hLN4vllm18Fp8KVCacheDataTypeE1EhLi32ELi128ELi256ELb0ELi11EL8MFMAType1EEvPKT_PKT0_S8_ifPKiSA_SA_iPKfiiiPfSD_PS3_PT2_iSC_SC_,"axG",@progbits,_Z39paged_attention_ll4mi_QKV_mfma16_kernelIDF16_hLN4vllm18Fp8KVCacheDataTypeE1EhLi32ELi128ELi256ELb0ELi11EL8MFMAType1EEvPKT_PKT0_S8_ifPKiSA_SA_iPKfiiiPfSD_PS3_PT2_iSC_SC_,comdat
.Lfunc_end1040:
	.size	_Z39paged_attention_ll4mi_QKV_mfma16_kernelIDF16_hLN4vllm18Fp8KVCacheDataTypeE1EhLi32ELi128ELi256ELb0ELi11EL8MFMAType1EEvPKT_PKT0_S8_ifPKiSA_SA_iPKfiiiPfSD_PS3_PT2_iSC_SC_, .Lfunc_end1040-_Z39paged_attention_ll4mi_QKV_mfma16_kernelIDF16_hLN4vllm18Fp8KVCacheDataTypeE1EhLi32ELi128ELi256ELb0ELi11EL8MFMAType1EEvPKT_PKT0_S8_ifPKiSA_SA_iPKfiiiPfSD_PS3_PT2_iSC_SC_
                                        ; -- End function
	.section	.AMDGPU.csdata,"",@progbits
; Kernel info:
; codeLenInByte = 6808
; NumSgprs: 39
; NumVgprs: 150
; ScratchSize: 0
; MemoryBound: 0
; FloatMode: 240
; IeeeMode: 1
; LDSByteSize: 17472 bytes/workgroup (compile time only)
; SGPRBlocks: 4
; VGPRBlocks: 18
; NumSGPRsForWavesPerEU: 39
; NumVGPRsForWavesPerEU: 150
; Occupancy: 9
; WaveLimiterHint : 1
; COMPUTE_PGM_RSRC2:SCRATCH_EN: 0
; COMPUTE_PGM_RSRC2:USER_SGPR: 13
; COMPUTE_PGM_RSRC2:TRAP_HANDLER: 0
; COMPUTE_PGM_RSRC2:TGID_X_EN: 1
; COMPUTE_PGM_RSRC2:TGID_Y_EN: 1
; COMPUTE_PGM_RSRC2:TGID_Z_EN: 1
; COMPUTE_PGM_RSRC2:TIDIG_COMP_CNT: 0
	.section	.text._Z39paged_attention_ll4mi_QKV_mfma16_kernelIDF16_hLN4vllm18Fp8KVCacheDataTypeE1EhLi32ELi128ELi256ELb0ELi12EL8MFMAType1EEvPKT_PKT0_S8_ifPKiSA_SA_iPKfiiiPfSD_PS3_PT2_iSC_SC_,"axG",@progbits,_Z39paged_attention_ll4mi_QKV_mfma16_kernelIDF16_hLN4vllm18Fp8KVCacheDataTypeE1EhLi32ELi128ELi256ELb0ELi12EL8MFMAType1EEvPKT_PKT0_S8_ifPKiSA_SA_iPKfiiiPfSD_PS3_PT2_iSC_SC_,comdat
	.protected	_Z39paged_attention_ll4mi_QKV_mfma16_kernelIDF16_hLN4vllm18Fp8KVCacheDataTypeE1EhLi32ELi128ELi256ELb0ELi12EL8MFMAType1EEvPKT_PKT0_S8_ifPKiSA_SA_iPKfiiiPfSD_PS3_PT2_iSC_SC_ ; -- Begin function _Z39paged_attention_ll4mi_QKV_mfma16_kernelIDF16_hLN4vllm18Fp8KVCacheDataTypeE1EhLi32ELi128ELi256ELb0ELi12EL8MFMAType1EEvPKT_PKT0_S8_ifPKiSA_SA_iPKfiiiPfSD_PS3_PT2_iSC_SC_
	.globl	_Z39paged_attention_ll4mi_QKV_mfma16_kernelIDF16_hLN4vllm18Fp8KVCacheDataTypeE1EhLi32ELi128ELi256ELb0ELi12EL8MFMAType1EEvPKT_PKT0_S8_ifPKiSA_SA_iPKfiiiPfSD_PS3_PT2_iSC_SC_
	.p2align	8
	.type	_Z39paged_attention_ll4mi_QKV_mfma16_kernelIDF16_hLN4vllm18Fp8KVCacheDataTypeE1EhLi32ELi128ELi256ELb0ELi12EL8MFMAType1EEvPKT_PKT0_S8_ifPKiSA_SA_iPKfiiiPfSD_PS3_PT2_iSC_SC_,@function
_Z39paged_attention_ll4mi_QKV_mfma16_kernelIDF16_hLN4vllm18Fp8KVCacheDataTypeE1EhLi32ELi128ELi256ELb0ELi12EL8MFMAType1EEvPKT_PKT0_S8_ifPKiSA_SA_iPKfiiiPfSD_PS3_PT2_iSC_SC_: ; @_Z39paged_attention_ll4mi_QKV_mfma16_kernelIDF16_hLN4vllm18Fp8KVCacheDataTypeE1EhLi32ELi128ELi256ELb0ELi12EL8MFMAType1EEvPKT_PKT0_S8_ifPKiSA_SA_iPKfiiiPfSD_PS3_PT2_iSC_SC_
; %bb.0:
	s_load_b64 s[4:5], s[0:1], 0x30
	s_mov_b32 s30, s13
	s_waitcnt lgkmcnt(0)
	s_cmp_lg_u64 s[4:5], 0
	s_cselect_b32 s8, -1, 0
	s_ashr_i32 s31, s13, 31
	s_cmp_eq_u64 s[4:5], 0
	s_cbranch_scc1 .LBB1041_3
; %bb.1:
	s_lshl_b64 s[2:3], s[30:31], 2
	s_delay_alu instid0(SALU_CYCLE_1) | instskip(SKIP_4) | instid1(SALU_CYCLE_1)
	s_add_u32 s2, s4, s2
	s_addc_u32 s3, s5, s3
	s_load_b64 s[2:3], s[2:3], 0x0
	s_waitcnt lgkmcnt(0)
	s_sub_i32 s2, s3, s2
	s_cmp_eq_u32 s2, 1
	s_cselect_b32 s2, -1, 0
	s_delay_alu instid0(SALU_CYCLE_1)
	s_and_not1_b32 vcc_lo, exec_lo, s2
	s_cbranch_vccz .LBB1041_4
.LBB1041_2:
	s_endpgm
.LBB1041_3:
.LBB1041_4:
	s_load_b64 s[2:3], s[0:1], 0x28
	s_lshl_b64 s[6:7], s[30:31], 2
	s_waitcnt lgkmcnt(0)
	s_add_u32 s2, s2, s6
	s_addc_u32 s3, s3, s7
	s_lshl_b32 s12, s14, 8
	s_load_b32 s24, s[2:3], 0x0
	s_waitcnt lgkmcnt(0)
	s_cmp_ge_i32 s12, s24
	s_cbranch_scc1 .LBB1041_2
; %bb.5:
	s_clause 0x1
	s_load_b128 s[20:23], s[0:1], 0x8
	s_load_b64 s[2:3], s[0:1], 0x20
	s_and_not1_b32 vcc_lo, exec_lo, s8
	s_cbranch_vccnz .LBB1041_7
; %bb.6:
	s_add_u32 s4, s4, s6
	s_addc_u32 s5, s5, s7
	s_load_b32 s5, s[4:5], 0x0
	s_branch .LBB1041_8
.LBB1041_7:
	s_mov_b32 s5, s30
.LBB1041_8:
	s_load_b128 s[16:19], s[0:1], 0x48
	v_and_b32_e32 v68, 15, v0
	v_lshrrev_b32_e32 v69, 5, v0
	v_and_b32_e32 v70, 31, v0
	v_and_b32_e32 v67, 1, v0
	v_bfe_u32 v66, v0, 4, 1
	v_lshlrev_b32_e32 v1, 3, v68
	s_mul_i32 s31, s15, 12
	s_mov_b32 s4, exec_lo
	s_delay_alu instid0(VALU_DEP_1)
	v_lshlrev_b32_e32 v65, 1, v1
	v_cmpx_gt_u32_e32 0xc0, v0
	s_cbranch_execz .LBB1041_10
; %bb.9:
	s_load_b64 s[6:7], s[0:1], 0x0
	v_lshl_or_b32 v5, v69, 1, v66
	s_waitcnt lgkmcnt(0)
	s_mul_hi_i32 s9, s5, s16
	s_mul_i32 s8, s5, s16
	v_lshlrev_b32_e32 v6, 10, v68
	s_lshl_b64 s[8:9], s[8:9], 1
	v_add_lshl_u32 v1, v5, s31, 7
	v_lshlrev_b32_e32 v5, 6, v5
	v_lshlrev_b32_e32 v7, 10, v67
	v_and_b32_e32 v6, 0x3800, v6
	s_delay_alu instid0(VALU_DEP_4) | instskip(NEXT) | instid1(VALU_DEP_2)
	v_ashrrev_i32_e32 v2, 31, v1
	v_or3_b32 v5, v6, v7, v5
	s_delay_alu instid0(VALU_DEP_2) | instskip(SKIP_2) | instid1(VALU_DEP_1)
	v_lshlrev_b64 v[1:2], 1, v[1:2]
	s_add_u32 s5, s6, s8
	s_addc_u32 s6, s7, s9
	v_add_co_u32 v1, vcc_lo, s5, v1
	s_delay_alu instid0(VALU_DEP_2) | instskip(NEXT) | instid1(VALU_DEP_2)
	v_add_co_ci_u32_e32 v2, vcc_lo, s6, v2, vcc_lo
	v_add_co_u32 v1, vcc_lo, v1, v65
	s_delay_alu instid0(VALU_DEP_2)
	v_add_co_ci_u32_e32 v2, vcc_lo, 0, v2, vcc_lo
	global_load_b128 v[1:4], v[1:2], off
	s_waitcnt vmcnt(0)
	ds_store_b128 v5, v[1:4]
.LBB1041_10:
	s_or_b32 exec_lo, exec_lo, s4
	v_and_b32_e32 v1, 0xef, v0
	s_waitcnt lgkmcnt(0)
	s_add_i32 s5, s24, 31
	s_clause 0x1
	s_load_b32 s4, s[0:1], 0x38
	s_load_b32 s33, s[0:1], 0x98
	s_ashr_i32 s6, s5, 31
	v_add_nc_u32_e32 v1, s12, v1
	s_lshr_b32 s6, s6, 27
	s_load_b32 s19, s[0:1], 0x1c
	s_add_i32 s5, s5, s6
	s_waitcnt lgkmcnt(0)
	v_ashrrev_i32_e32 v2, 31, v1
	v_or_b32_e32 v3, 16, v1
	s_ashr_i32 s13, s5, 5
	v_cmp_gt_i32_e32 vcc_lo, s24, v1
	s_add_i32 s13, s13, -1
	v_lshrrev_b32_e32 v2, 27, v2
	s_barrier
	buffer_gl0_inv
	s_mul_i32 s15, s15, s18
	v_add_nc_u32_e32 v4, v1, v2
	s_mul_i32 s4, s30, s4
	s_delay_alu instid0(SALU_CYCLE_1) | instskip(NEXT) | instid1(VALU_DEP_1)
	s_ashr_i32 s5, s4, 31
	v_ashrrev_i32_e32 v4, 5, v4
	v_add_nc_u32_e32 v2, v3, v2
	s_lshl_b64 s[4:5], s[4:5], 2
	s_delay_alu instid0(SALU_CYCLE_1) | instskip(NEXT) | instid1(VALU_DEP_2)
	s_add_u32 s16, s2, s4
	v_cndmask_b32_e32 v1, s13, v4, vcc_lo
	s_delay_alu instid0(VALU_DEP_2)
	v_ashrrev_i32_e32 v2, 5, v2
	v_cmp_gt_i32_e32 vcc_lo, s24, v3
	s_addc_u32 s25, s3, s5
	s_ashr_i32 s18, s15, 31
	s_add_u32 s2, s20, s15
	s_addc_u32 s3, s21, s18
	v_cndmask_b32_e32 v3, s13, v2, vcc_lo
	v_ashrrev_i32_e32 v2, 31, v1
	s_lshl_b32 s4, s14, 3
	s_delay_alu instid0(SALU_CYCLE_1) | instskip(NEXT) | instid1(VALU_DEP_2)
	s_ashr_i32 s5, s4, 31
	v_ashrrev_i32_e32 v4, 31, v3
	s_delay_alu instid0(VALU_DEP_2) | instskip(SKIP_1) | instid1(SALU_CYCLE_1)
	v_lshlrev_b64 v[1:2], 2, v[1:2]
	s_lshl_b64 s[4:5], s[4:5], 2
	s_add_u32 s4, s16, s4
	s_delay_alu instid0(VALU_DEP_2) | instskip(SKIP_1) | instid1(VALU_DEP_2)
	v_lshlrev_b64 v[3:4], 2, v[3:4]
	s_addc_u32 s5, s25, s5
	v_add_co_u32 v1, vcc_lo, s16, v1
	v_add_co_ci_u32_e32 v2, vcc_lo, s25, v2, vcc_lo
	s_delay_alu instid0(VALU_DEP_3) | instskip(NEXT) | instid1(VALU_DEP_4)
	v_add_co_u32 v3, vcc_lo, s16, v3
	v_add_co_ci_u32_e32 v4, vcc_lo, s25, v4, vcc_lo
	s_clause 0x1
	global_load_b32 v5, v[1:2], off
	global_load_b32 v6, v[3:4], off
	s_or_b32 s6, s12, 32
	s_delay_alu instid0(SALU_CYCLE_1) | instskip(SKIP_2) | instid1(SALU_CYCLE_1)
	s_ashr_i32 s7, s6, 5
	s_cmp_lt_i32 s6, s24
	s_cselect_b32 s6, s7, s13
	s_ashr_i32 s7, s6, 31
	s_delay_alu instid0(SALU_CYCLE_1) | instskip(NEXT) | instid1(SALU_CYCLE_1)
	s_lshl_b64 s[6:7], s[6:7], 2
	s_add_u32 s6, s16, s6
	s_addc_u32 s7, s25, s7
	s_or_b32 s8, s12, 64
	s_delay_alu instid0(SALU_CYCLE_1) | instskip(SKIP_2) | instid1(SALU_CYCLE_1)
	s_ashr_i32 s9, s8, 5
	s_cmp_lt_i32 s8, s24
	s_cselect_b32 s8, s9, s13
	s_ashr_i32 s9, s8, 31
	s_delay_alu instid0(SALU_CYCLE_1) | instskip(NEXT) | instid1(SALU_CYCLE_1)
	s_lshl_b64 s[8:9], s[8:9], 2
	s_add_u32 s8, s16, s8
	s_addc_u32 s9, s25, s9
	;; [unrolled: 10-line block ×5, first 2 shown]
	s_clause 0x5
	s_load_b32 s28, s[4:5], 0x0
	s_load_b32 s29, s[6:7], 0x0
	;; [unrolled: 1-line block ×6, first 2 shown]
	s_mov_b32 s4, 0
	s_delay_alu instid0(SALU_CYCLE_1)
	s_mov_b32 s5, s4
	s_mov_b32 s6, s4
	;; [unrolled: 1-line block ×7, first 2 shown]
	s_delay_alu instid0(SALU_CYCLE_1)
	v_dual_mov_b32 v118, s11 :: v_dual_mov_b32 v117, s10
	v_dual_mov_b32 v116, s9 :: v_dual_mov_b32 v115, s8
	v_mov_b32_e32 v113, s6
	v_dual_mov_b32 v111, s4 :: v_dual_mov_b32 v114, s7
	v_mov_b32_e32 v112, s5
	s_waitcnt vmcnt(1)
	v_mad_i64_i32 v[1:2], null, v5, s17, s[2:3]
	v_lshlrev_b32_e32 v5, 4, v68
	s_waitcnt vmcnt(0)
	v_mad_i64_i32 v[3:4], null, v6, s17, s[2:3]
	s_or_b32 s2, s12, 0xc0
	s_delay_alu instid0(SALU_CYCLE_1) | instskip(NEXT) | instid1(VALU_DEP_3)
	s_ashr_i32 s3, s2, 5
	v_add_co_u32 v1, vcc_lo, v1, v5
	s_delay_alu instid0(VALU_DEP_4) | instskip(NEXT) | instid1(VALU_DEP_3)
	v_add_co_ci_u32_e32 v2, vcc_lo, 0, v2, vcc_lo
	v_add_co_u32 v3, vcc_lo, v3, v5
	s_delay_alu instid0(VALU_DEP_4)
	v_add_co_ci_u32_e32 v4, vcc_lo, 0, v4, vcc_lo
	s_clause 0xf
	global_load_b128 v[17:20], v[1:2], off
	global_load_b128 v[21:24], v[1:2], off offset:512
	global_load_b128 v[25:28], v[3:4], off offset:256
	;; [unrolled: 1-line block ×15, first 2 shown]
	s_cmp_lt_i32 s2, s24
	v_add_nc_u32_e32 v1, -12, v68
	s_cselect_b32 s2, s3, s13
	v_cmp_gt_u32_e32 vcc_lo, 12, v68
	s_ashr_i32 s3, s2, 31
	v_lshlrev_b32_e32 v2, 5, v68
	s_lshl_b64 s[2:3], s[2:3], 2
	s_delay_alu instid0(SALU_CYCLE_1)
	s_add_u32 s2, s16, s2
	s_addc_u32 s3, s25, s3
	s_or_b32 s20, s12, 0xe0
	v_cndmask_b32_e32 v1, v1, v68, vcc_lo
	s_ashr_i32 s21, s20, 5
	s_cmp_lt_i32 s20, s24
	s_cselect_b32 s20, s21, s13
	s_delay_alu instid0(VALU_DEP_1)
	v_lshlrev_b32_e32 v149, 6, v1
	s_ashr_i32 s21, s20, 31
	v_lshl_or_b32 v1, v69, 9, v2
	s_lshl_b64 s[4:5], s[20:21], 2
	ds_load_b128 v[119:122], v149
	ds_load_b128 v[123:126], v149 offset:1024
	s_add_u32 s4, s16, s4
	s_addc_u32 s5, s25, s5
	ds_load_b128 v[127:130], v149 offset:2048
	ds_load_b128 v[131:134], v149 offset:3072
	s_clause 0x1
	s_load_b32 s2, s[2:3], 0x0
	s_load_b32 s3, s[4:5], 0x0
	s_add_u32 s6, s22, s15
	s_addc_u32 s7, s23, s18
	v_add_co_u32 v135, s6, s6, v1
	s_delay_alu instid0(VALU_DEP_1) | instskip(SKIP_1) | instid1(VALU_DEP_1)
	v_add_co_ci_u32_e64 v136, null, s7, 0, s6
	s_waitcnt lgkmcnt(0)
	v_mad_i64_i32 v[1:2], null, s28, s17, v[135:136]
	v_mad_i64_i32 v[3:4], null, s29, s17, v[135:136]
	;; [unrolled: 1-line block ×6, first 2 shown]
	s_clause 0x9
	global_load_b128 v[49:52], v[1:2], off
	global_load_b128 v[53:56], v[1:2], off offset:16
	global_load_b128 v[41:44], v[3:4], off
	global_load_b128 v[45:48], v[3:4], off offset:16
	;; [unrolled: 2-line block ×5, first 2 shown]
	v_mad_i64_i32 v[145:146], null, s2, s17, v[135:136]
	v_mad_i64_i32 v[147:148], null, s3, s17, v[135:136]
	s_waitcnt vmcnt(24)
	v_wmma_f32_16x16x16_f16 v[135:142], v[17:24], v[119:126], v[111:118]
	s_waitcnt vmcnt(22)
	v_wmma_f32_16x16x16_f16 v[111:118], v[25:32], v[119:126], v[111:118]
	s_clause 0x3
	global_load_b128 v[17:20], v[143:144], off
	global_load_b128 v[21:24], v[143:144], off offset:16
	global_load_b128 v[25:28], v[145:146], off
	global_load_b128 v[29:32], v[145:146], off offset:16
	v_and_b32_e32 v119, 0xe0, v0
	s_waitcnt vmcnt(24)
	v_wmma_f32_16x16x16_f16 v[135:142], v[57:64], v[127:134], v[135:142]
	s_clause 0x1
	global_load_b128 v[57:60], v[147:148], off
	global_load_b128 v[61:64], v[147:148], off offset:16
	s_waitcnt vmcnt(24)
	v_wmma_f32_16x16x16_f16 v[111:118], v[71:78], v[127:134], v[111:118]
	ds_load_b128 v[71:74], v149 offset:4096
	ds_load_b128 v[75:78], v149 offset:5120
	v_add_nc_u32_e32 v128, s12, v119
	ds_load_b128 v[119:122], v149 offset:6144
	ds_load_b128 v[123:126], v149 offset:7168
	v_mbcnt_lo_u32_b32 v127, -1, 0
	s_waitcnt vmcnt(0) lgkmcnt(0)
	s_barrier
	v_or_b32_e32 v128, v128, v66
	buffer_gl0_inv
	v_xor_b32_e32 v129, 16, v127
	v_or_b32_e32 v130, 4, v128
	v_or_b32_e32 v131, 6, v128
	s_delay_alu instid0(VALU_DEP_3) | instskip(SKIP_4) | instid1(VALU_DEP_4)
	v_cmp_gt_i32_e32 vcc_lo, 32, v129
	v_or_b32_e32 v132, 8, v128
	v_or_b32_e32 v133, 10, v128
	v_cmp_gt_i32_e64 s3, s24, v130
	v_cmp_gt_i32_e64 s4, s24, v131
	v_cmp_gt_i32_e64 s5, s24, v132
	v_wmma_f32_16x16x16_f16 v[135:142], v[79:86], v[71:78], v[135:142]
	v_wmma_f32_16x16x16_f16 v[111:118], v[87:94], v[71:78], v[111:118]
	v_or_b32_e32 v79, 12, v128
	v_or_b32_e32 v80, 14, v128
	v_cmp_gt_i32_e64 s6, s24, v133
	v_wmma_f32_16x16x16_f16 v[135:142], v[95:102], v[119:126], v[135:142]
	v_wmma_f32_16x16x16_f16 v[111:118], v[103:110], v[119:126], v[111:118]
	v_cndmask_b32_e32 v127, v127, v129, vcc_lo
	v_or_b32_e32 v129, 2, v128
	v_cmp_gt_i32_e32 vcc_lo, s24, v128
	s_delay_alu instid0(VALU_DEP_4) | instskip(SKIP_1) | instid1(VALU_DEP_4)
	v_dual_mul_f32 v87, s19, v136 :: v_dual_mul_f32 v94, s19, v113
	v_mul_f32_e32 v88, s19, v135
	v_cmp_gt_i32_e64 s2, s24, v129
	v_mul_f32_e32 v78, s19, v138
	v_mul_f32_e32 v86, s19, v137
	;; [unrolled: 1-line block ×3, first 2 shown]
	v_cndmask_b32_e32 v88, 0xff7fffff, v88, vcc_lo
	v_cndmask_b32_e64 v87, 0xff7fffff, v87, s2
	v_dual_mul_f32 v77, s19, v139 :: v_dual_mul_f32 v90, s19, v117
	v_cndmask_b32_e64 v86, 0xff7fffff, v86, s3
	v_cndmask_b32_e64 v78, 0xff7fffff, v78, s4
	s_delay_alu instid0(VALU_DEP_4)
	v_max3_f32 v87, v88, 0xff7fffff, v87
	v_or_b32_e32 v81, 16, v128
	v_or_b32_e32 v82, 18, v128
	v_dual_mul_f32 v74, s19, v142 :: v_dual_mul_f32 v75, s19, v141
	v_mul_f32_e32 v96, s19, v111
	v_cndmask_b32_e64 v77, 0xff7fffff, v77, s5
	v_cndmask_b32_e64 v76, 0xff7fffff, v76, s6
	v_max3_f32 v78, v87, v86, v78
	v_cmp_gt_i32_e64 s7, s24, v79
	v_cmp_gt_i32_e64 s8, s24, v80
	v_or_b32_e32 v83, 20, v128
	v_or_b32_e32 v84, 22, v128
	v_mul_f32_e32 v95, s19, v112
	v_cndmask_b32_e64 v75, 0xff7fffff, v75, s7
	v_cndmask_b32_e64 v74, 0xff7fffff, v74, s8
	v_max3_f32 v76, v78, v77, v76
	v_cmp_gt_i32_e64 s9, s24, v81
	v_cmp_gt_i32_e64 s10, s24, v82
	v_or_b32_e32 v85, 24, v128
	v_or_b32_e32 v71, 26, v128
	;; [unrolled: 8-line block ×3, first 2 shown]
	v_dual_mul_f32 v91, s19, v116 :: v_dual_mul_f32 v92, s19, v115
	v_cndmask_b32_e64 v75, 0xff7fffff, v94, s11
	v_cndmask_b32_e64 v76, 0xff7fffff, v93, s12
	v_max3_f32 v74, v74, v77, v78
	v_cmp_gt_i32_e64 s13, s24, v85
	v_cmp_gt_i32_e64 s15, s24, v71
	v_mul_f32_e32 v89, s19, v118
	v_cmp_gt_i32_e64 s16, s24, v72
	v_max3_f32 v74, v74, v75, v76
	v_cndmask_b32_e64 v77, 0xff7fffff, v92, s13
	v_cndmask_b32_e64 v71, 0xff7fffff, v91, s15
	v_cmp_gt_i32_e64 s17, s24, v73
	v_cndmask_b32_e64 v72, 0xff7fffff, v90, s16
	s_delay_alu instid0(VALU_DEP_3) | instskip(SKIP_1) | instid1(VALU_DEP_4)
	v_max3_f32 v71, v74, v77, v71
	v_lshlrev_b32_e32 v74, 2, v127
	v_cndmask_b32_e64 v73, 0xff7fffff, v89, s17
	s_delay_alu instid0(VALU_DEP_1) | instskip(SKIP_3) | instid1(VALU_DEP_1)
	v_max3_f32 v71, v71, v72, v73
	ds_bpermute_b32 v72, v74, v71
	s_waitcnt lgkmcnt(0)
	v_max_f32_e32 v72, v72, v72
	v_max_f32_e32 v71, v71, v72
	s_delay_alu instid0(VALU_DEP_1) | instskip(SKIP_4) | instid1(VALU_DEP_4)
	v_fma_f32 v72, s19, v135, -v71
	v_fma_f32 v73, s19, v136, -v71
	;; [unrolled: 1-line block ×5, first 2 shown]
	v_dual_mul_f32 v72, 0x3fb8aa3b, v72 :: v_dual_mul_f32 v73, 0x3fb8aa3b, v73
	s_delay_alu instid0(VALU_DEP_3) | instskip(SKIP_1) | instid1(VALU_DEP_3)
	v_dual_mul_f32 v75, 0x3fb8aa3b, v75 :: v_dual_mul_f32 v76, 0x3fb8aa3b, v76
	v_fma_f32 v80, s19, v141, -v71
	v_exp_f32_e32 v72, v72
	s_delay_alu instid0(VALU_DEP_3) | instskip(NEXT) | instid1(VALU_DEP_2)
	v_exp_f32_e32 v73, v73
	v_exp_f32_e32 v75, v75
	;; [unrolled: 1-line block ×3, first 2 shown]
	v_mul_f32_e32 v82, 0x3fb8aa3b, v80
	s_delay_alu instid0(VALU_DEP_1) | instskip(SKIP_4) | instid1(TRANS32_DEP_3)
	v_exp_f32_e32 v84, v82
	v_cndmask_b32_e32 v79, 0, v72, vcc_lo
	v_fma_f32 v72, s19, v140, -v71
	v_mul_f32_e32 v77, 0x3fb8aa3b, v77
	v_cndmask_b32_e64 v78, 0, v73, s2
	v_cndmask_b32_e64 v81, 0, v75, s3
	s_delay_alu instid0(VALU_DEP_4) | instskip(NEXT) | instid1(VALU_DEP_4)
	v_dual_add_f32 v73, 0, v79 :: v_dual_mul_f32 v72, 0x3fb8aa3b, v72
	v_exp_f32_e32 v77, v77
	v_cndmask_b32_e64 v80, 0, v76, s4
	s_delay_alu instid0(TRANS32_DEP_2) | instskip(NEXT) | instid1(VALU_DEP_3)
	v_cndmask_b32_e64 v85, 0, v84, s7
	v_add_f32_e32 v73, v73, v78
	v_exp_f32_e32 v72, v72
	s_mov_b32 s2, exec_lo
	s_delay_alu instid0(VALU_DEP_1) | instskip(SKIP_4) | instid1(VALU_DEP_2)
	v_add_f32_e32 v73, v73, v81
	s_waitcnt_depctr 0xfff
	v_cndmask_b32_e64 v83, 0, v77, s5
	v_add_f32_e32 v73, v73, v80
	v_cndmask_b32_e64 v82, 0, v72, s6
	v_add_f32_e32 v72, v73, v83
	s_delay_alu instid0(VALU_DEP_1) | instskip(NEXT) | instid1(VALU_DEP_1)
	v_add_f32_e32 v72, v72, v82
	v_add_f32_e32 v72, v72, v85
	v_fma_f32 v76, s19, v111, -v71
	v_fma_f32 v75, s19, v142, -v71
	;; [unrolled: 1-line block ×5, first 2 shown]
	s_delay_alu instid0(VALU_DEP_4) | instskip(NEXT) | instid1(VALU_DEP_3)
	v_dual_mul_f32 v76, 0x3fb8aa3b, v76 :: v_dual_mul_f32 v75, 0x3fb8aa3b, v75
	v_mul_f32_e32 v86, 0x3fb8aa3b, v86
	s_delay_alu instid0(VALU_DEP_2) | instskip(NEXT) | instid1(VALU_DEP_2)
	v_exp_f32_e32 v76, v76
	v_exp_f32_e32 v75, v75
	s_delay_alu instid0(VALU_DEP_1) | instskip(NEXT) | instid1(TRANS32_DEP_3)
	v_exp_f32_e32 v88, v86
	v_cndmask_b32_e64 v87, 0, v76, s9
	v_fma_f32 v76, s19, v116, -v71
	v_mul_f32_e32 v77, 0x3fb8aa3b, v77
	s_waitcnt_depctr 0xfff
	v_cndmask_b32_e64 v84, 0, v75, s8
	v_fma_f32 v75, s19, v115, -v71
	v_cndmask_b32_e64 v88, 0, v88, s12
	v_mul_f32_e32 v76, 0x3fb8aa3b, v76
	v_exp_f32_e32 v77, v77
	v_add_f32_e32 v72, v72, v84
	s_delay_alu instid0(VALU_DEP_2) | instskip(NEXT) | instid1(VALU_DEP_1)
	v_exp_f32_e32 v76, v76
	v_add_f32_e32 v72, v72, v87
	s_waitcnt_depctr 0xfff
	v_cndmask_b32_e64 v86, 0, v77, s10
	v_mul_f32_e32 v73, 0x3fb8aa3b, v73
	v_fma_f32 v77, s19, v117, -v71
	v_cndmask_b32_e64 v90, 0, v76, s15
	s_delay_alu instid0(VALU_DEP_4) | instskip(NEXT) | instid1(VALU_DEP_4)
	v_add_f32_e32 v72, v72, v86
	v_exp_f32_e32 v73, v73
	s_waitcnt_depctr 0xfff
	v_cndmask_b32_e64 v89, 0, v73, s11
	s_delay_alu instid0(VALU_DEP_1) | instskip(NEXT) | instid1(VALU_DEP_1)
	v_dual_mul_f32 v75, 0x3fb8aa3b, v75 :: v_dual_add_f32 v72, v72, v89
	v_exp_f32_e32 v75, v75
	v_mul_f32_e32 v73, 0x3fb8aa3b, v77
	v_fma_f32 v77, s19, v118, -v71
	s_delay_alu instid0(VALU_DEP_3) | instskip(NEXT) | instid1(VALU_DEP_3)
	v_add_f32_e32 v72, v72, v88
	v_exp_f32_e32 v73, v73
	s_waitcnt_depctr 0xfff
	v_cndmask_b32_e64 v91, 0, v75, s13
	s_delay_alu instid0(VALU_DEP_1) | instskip(NEXT) | instid1(VALU_DEP_1)
	v_dual_mul_f32 v75, 0x3fb8aa3b, v77 :: v_dual_add_f32 v72, v72, v91
	v_exp_f32_e32 v75, v75
	v_cndmask_b32_e64 v93, 0, v73, s16
	s_delay_alu instid0(VALU_DEP_2) | instskip(NEXT) | instid1(VALU_DEP_1)
	v_add_f32_e32 v72, v72, v90
	v_add_f32_e32 v72, v72, v93
	s_waitcnt_depctr 0xfff
	v_cndmask_b32_e64 v92, 0, v75, s17
	s_delay_alu instid0(VALU_DEP_1)
	v_add_f32_e32 v72, v72, v92
	ds_bpermute_b32 v73, v74, v72
	v_cmpx_gt_u32_e32 16, v70
	s_cbranch_execz .LBB1041_12
; %bb.11:
	v_mul_u32_u24_e32 v70, 0x44, v69
	s_waitcnt lgkmcnt(0)
	v_add_f32_e32 v72, v72, v73
	s_delay_alu instid0(VALU_DEP_2) | instskip(NEXT) | instid1(VALU_DEP_1)
	v_lshl_add_u32 v70, v68, 2, v70
	v_add_nc_u32_e32 v70, 0x4000, v70
	ds_store_2addr_b32 v70, v71, v72 offset1:136
.LBB1041_12:
	s_or_b32 exec_lo, exec_lo, s2
	v_lshlrev_b32_e32 v70, 2, v68
	s_load_b32 s34, s[0:1], 0x94
	s_waitcnt lgkmcnt(0)
	s_barrier
	buffer_gl0_inv
	v_add_nc_u32_e32 v98, 0x4000, v70
	v_cmp_eq_u32_e32 vcc_lo, 1, v69
	v_cmp_eq_u32_e64 s2, 2, v69
	v_cmp_eq_u32_e64 s3, 3, v69
	;; [unrolled: 1-line block ×3, first 2 shown]
	ds_load_2addr_b32 v[70:71], v98 offset1:17
	ds_load_2addr_b32 v[72:73], v98 offset0:34 offset1:51
	ds_load_2addr_b32 v[74:75], v98 offset0:68 offset1:85
	;; [unrolled: 1-line block ×3, first 2 shown]
	v_cmp_eq_u32_e64 s5, 5, v69
	v_cmp_eq_u32_e64 s6, 7, v69
	s_waitcnt lgkmcnt(3)
	v_max3_f32 v76, v70, 0xff7fffff, v71
	s_waitcnt lgkmcnt(2)
	s_delay_alu instid0(VALU_DEP_1) | instskip(SKIP_1) | instid1(VALU_DEP_1)
	v_max3_f32 v76, v76, v72, v73
	s_waitcnt lgkmcnt(1)
	v_max3_f32 v76, v76, v74, v75
	s_waitcnt lgkmcnt(0)
	s_delay_alu instid0(VALU_DEP_1) | instskip(NEXT) | instid1(VALU_DEP_1)
	v_max3_f32 v76, v76, v94, v95
	v_sub_f32_e32 v77, v71, v76
	ds_load_2addr_b32 v[96:97], v98 offset0:136 offset1:153
	v_sub_f32_e32 v74, v74, v76
	v_sub_f32_e32 v70, v70, v76
	;; [unrolled: 1-line block ×3, first 2 shown]
	v_dual_sub_f32 v72, v72, v76 :: v_dual_mul_f32 v77, 0x3fb8aa3b, v77
	s_delay_alu instid0(VALU_DEP_4) | instskip(NEXT) | instid1(VALU_DEP_4)
	v_mul_f32_e32 v103, 0x3fb8aa3b, v74
	v_mul_f32_e32 v99, 0x3fb8aa3b, v70
	ds_load_2addr_b32 v[70:71], v98 offset0:170 offset1:187
	v_dual_mul_f32 v101, 0x3fb8aa3b, v72 :: v_dual_mul_f32 v94, 0x3fb8aa3b, v94
	v_exp_f32_e32 v102, v77
	v_exp_f32_e32 v99, v99
	s_delay_alu instid0(VALU_DEP_1) | instskip(NEXT) | instid1(VALU_DEP_1)
	v_exp_f32_e32 v101, v101
	v_exp_f32_e32 v94, v94
	s_waitcnt lgkmcnt(1)
	s_delay_alu instid0(TRANS32_DEP_3)
	v_fma_f32 v77, v99, v96, 0
	v_sub_f32_e32 v100, v73, v76
	ds_load_2addr_b32 v[72:73], v98 offset0:204 offset1:221
	v_fmac_f32_e32 v77, v102, v97
	v_exp_f32_e32 v97, v103
	s_waitcnt lgkmcnt(1)
	s_delay_alu instid0(VALU_DEP_1)
	v_dual_fmac_f32 v77, v101, v70 :: v_dual_sub_f32 v96, v75, v76
	ds_load_2addr_b32 v[74:75], v98 offset0:238 offset1:255
	v_sub_f32_e32 v70, v95, v76
	s_waitcnt lgkmcnt(0)
	s_barrier
	v_mul_f32_e32 v96, 0x3fb8aa3b, v96
	buffer_gl0_inv
	v_exp_f32_e32 v95, v96
	v_mul_f32_e32 v100, 0x3fb8aa3b, v100
	s_delay_alu instid0(VALU_DEP_1) | instskip(SKIP_3) | instid1(VALU_DEP_2)
	v_exp_f32_e32 v100, v100
	s_waitcnt_depctr 0xfff
	v_dual_fmac_f32 v77, v100, v71 :: v_dual_mul_f32 v70, 0x3fb8aa3b, v70
	v_cndmask_b32_e32 v71, v99, v102, vcc_lo
	v_fmac_f32_e32 v77, v97, v72
	s_delay_alu instid0(VALU_DEP_3) | instskip(NEXT) | instid1(VALU_DEP_1)
	v_exp_f32_e32 v96, v70
	v_fmac_f32_e32 v77, v95, v73
	s_delay_alu instid0(VALU_DEP_1) | instskip(SKIP_2) | instid1(VALU_DEP_1)
	v_fmac_f32_e32 v77, v94, v74
	s_waitcnt_depctr 0xfff
	v_fmac_f32_e32 v77, v96, v75
	v_add_f32_e32 v74, 0x358637bd, v77
	s_delay_alu instid0(VALU_DEP_1) | instskip(SKIP_1) | instid1(VALU_DEP_2)
	v_div_scale_f32 v98, null, v74, v74, 1.0
	v_div_scale_f32 v99, vcc_lo, 1.0, v74, 1.0
	v_rcp_f32_e32 v103, v98
	s_waitcnt_depctr 0xfff
	v_fma_f32 v70, -v98, v103, 1.0
	s_delay_alu instid0(VALU_DEP_1) | instskip(SKIP_2) | instid1(VALU_DEP_2)
	v_fmac_f32_e32 v103, v70, v103
	v_cndmask_b32_e64 v70, v71, v101, s2
	v_cmp_eq_u32_e64 s2, 6, v69
	v_cndmask_b32_e64 v71, v70, v100, s3
	s_delay_alu instid0(VALU_DEP_4) | instskip(NEXT) | instid1(VALU_DEP_2)
	v_dual_mul_f32 v101, v99, v103 :: v_dual_lshlrev_b32 v70, 2, v66
	v_cndmask_b32_e64 v71, v71, v97, s4
	s_delay_alu instid0(VALU_DEP_2) | instskip(NEXT) | instid1(VALU_DEP_3)
	v_or_b32_e32 v72, 1, v70
	v_fma_f32 v100, -v98, v101, v99
	v_cmp_eq_u32_e64 s3, 1, v70
	v_cmp_eq_u32_e64 s4, 2, v70
	v_cndmask_b32_e64 v95, v71, v95, s5
	v_or_b32_e32 v71, 3, v70
	v_fmac_f32_e32 v101, v100, v103
	v_cmp_eq_u32_e64 s8, 1, v72
	v_cmp_eq_u32_e64 s11, 2, v72
	v_cndmask_b32_e64 v94, v95, v94, s2
	v_cmp_eq_u32_e64 s10, 1, v71
	v_fma_f32 v97, -v98, v101, v99
	v_cmp_eq_u32_e64 s15, 2, v71
	v_cmp_eq_u32_e64 s12, 3, v72
	v_cndmask_b32_e64 v94, v94, v96, s6
	v_cmp_eq_u32_e64 s17, 3, v71
	v_div_fmas_f32 v95, v97, v103, v101
	v_cmp_eq_u32_e32 vcc_lo, 3, v70
	v_cmp_eq_u32_e64 s2, 4, v70
	v_cmp_eq_u32_e64 s18, 4, v72
	;; [unrolled: 1-line block ×3, first 2 shown]
	v_div_fixup_f32 v95, v95, v74, 1.0
	v_lshlrev_b32_e32 v73, 6, v68
	v_cmp_eq_u32_e64 s5, 5, v70
	v_cmp_eq_u32_e64 s19, 5, v72
	;; [unrolled: 1-line block ×3, first 2 shown]
	v_mul_f32_e32 v102, v94, v95
	v_lshl_or_b32 v75, v69, 11, v73
	v_or_b32_e32 v69, 2, v70
	v_cmp_eq_u32_e64 s24, 6, v72
	v_cmp_eq_u32_e64 s26, 6, v71
	v_fma_mixlo_f16 v94, v102, v79, 0
	v_fma_mixlo_f16 v95, v102, v81, 0
	;; [unrolled: 1-line block ×8, first 2 shown]
	v_lshl_or_b32 v74, v66, 4, v75
	v_fma_mixhi_f16 v94, v102, v78, 0
	v_fma_mixhi_f16 v95, v102, v80, 0
	;; [unrolled: 1-line block ×8, first 2 shown]
	ds_store_b128 v74, v[94:97]
	ds_store_b128 v74, v[98:101] offset:1024
	s_waitcnt lgkmcnt(0)
	s_barrier
	buffer_gl0_inv
	ds_load_b128 v[78:81], v75
	ds_load_b128 v[82:85], v75 offset:16
	ds_load_b128 v[86:89], v75 offset:1024
	;; [unrolled: 1-line block ×3, first 2 shown]
	v_cmp_eq_u32_e64 s9, 1, v69
	v_cmp_eq_u32_e64 s13, 2, v69
	;; [unrolled: 1-line block ×11, first 2 shown]
	s_waitcnt lgkmcnt(3)
	v_lshrrev_b32_e32 v94, 16, v78
	s_waitcnt lgkmcnt(2)
	v_lshrrev_b32_e32 v98, 16, v82
	;; [unrolled: 2-line block ×4, first 2 shown]
	v_lshrrev_b32_e32 v95, 16, v79
	v_cndmask_b32_e64 v110, v78, v94, s3
	v_cndmask_b32_e64 v111, v82, v98, s3
	;; [unrolled: 1-line block ×8, first 2 shown]
	v_lshrrev_b32_e32 v99, 16, v83
	v_cndmask_b32_e64 v94, v86, v102, s3
	v_cndmask_b32_e64 v98, v90, v106, s3
	;; [unrolled: 1-line block ×15, first 2 shown]
	v_lshrrev_b32_e32 v103, 16, v87
	v_lshrrev_b32_e32 v107, 16, v91
	v_cndmask_b32_e64 v113, v115, v83, s13
	v_cndmask_b32_e64 v82, v94, v87, s4
	;; [unrolled: 1-line block ×7, first 2 shown]
	v_cndmask_b32_e32 v90, v102, v95, vcc_lo
	v_cndmask_b32_e32 v102, v106, v99, vcc_lo
	v_cndmask_b32_e64 v106, v110, v95, s12
	v_cndmask_b32_e64 v110, v111, v99, s12
	;; [unrolled: 1-line block ×4, first 2 shown]
	v_lshrrev_b32_e32 v96, 16, v80
	v_lshrrev_b32_e32 v100, 16, v84
	v_cndmask_b32_e64 v111, v112, v95, s16
	v_cndmask_b32_e64 v112, v113, v99, s16
	v_cndmask_b32_e32 v82, v82, v103, vcc_lo
	v_cndmask_b32_e32 v83, v83, v107, vcc_lo
	v_cndmask_b32_e64 v94, v94, v103, s12
	v_cndmask_b32_e64 v90, v90, v80, s2
	;; [unrolled: 1-line block ×7, first 2 shown]
	v_lshrrev_b32_e32 v104, 16, v88
	v_cndmask_b32_e64 v106, v111, v80, s20
	v_cndmask_b32_e64 v110, v112, v84, s20
	;; [unrolled: 1-line block ×11, first 2 shown]
	v_lshrrev_b32_e32 v97, 16, v81
	v_lshrrev_b32_e32 v101, 16, v85
	v_cndmask_b32_e64 v99, v106, v96, s22
	v_cndmask_b32_e64 v102, v110, v100, s22
	;; [unrolled: 1-line block ×7, first 2 shown]
	v_lshrrev_b32_e32 v105, 16, v89
	v_cndmask_b32_e64 v80, v80, v104, s5
	v_cndmask_b32_e64 v84, v84, v81, s6
	;; [unrolled: 1-line block ×16, first 2 shown]
	v_perm_b32 v81, v79, v78, 0x5040100
	v_perm_b32 v79, v95, v85, 0x5040100
	v_cndmask_b32_e64 v78, v119, v91, s13
	v_cndmask_b32_e64 v85, v117, v91, s11
	;; [unrolled: 1-line block ×3, first 2 shown]
	v_perm_b32 v80, v94, v90, 0x5040100
	v_cndmask_b32_e64 v90, v98, v103, s16
	v_cndmask_b32_e64 v86, v86, v103, s17
	;; [unrolled: 1-line block ×5, first 2 shown]
	v_lshrrev_b32_e32 v108, 16, v92
	v_cndmask_b32_e64 v90, v90, v88, s20
	v_cndmask_b32_e64 v86, v86, v88, s21
	;; [unrolled: 1-line block ×11, first 2 shown]
	v_lshrrev_b32_e32 v109, 16, v93
	v_cndmask_b32_e64 v82, v82, v93, s6
	v_cndmask_b32_e64 v88, v88, v89, s25
	;; [unrolled: 1-line block ×12, first 2 shown]
	v_perm_b32 v78, v84, v83, 0x5040100
	v_perm_b32 v85, v87, v86, 0x5040100
	;; [unrolled: 1-line block ×5, first 2 shown]
	s_mul_i32 s7, s33, 12
	s_mov_b32 s2, exec_lo
	ds_store_b128 v74, v[78:81]
	ds_store_b128 v74, v[82:85] offset:1024
	v_cmpx_gt_u32_e32 12, v0
	s_cbranch_execz .LBB1041_14
; %bb.13:
	s_mul_i32 s3, s7, s30
	s_load_b128 s[8:11], s[0:1], 0x58
	v_add3_u32 v68, s3, s31, v68
	s_delay_alu instid0(VALU_DEP_1) | instskip(NEXT) | instid1(VALU_DEP_1)
	v_mad_u64_u32 v[78:79], null, v68, s34, s[14:15]
	v_ashrrev_i32_e32 v79, 31, v78
	s_delay_alu instid0(VALU_DEP_1) | instskip(SKIP_1) | instid1(VALU_DEP_1)
	v_lshlrev_b64 v[78:79], 2, v[78:79]
	s_waitcnt lgkmcnt(0)
	v_add_co_u32 v80, vcc_lo, s10, v78
	s_delay_alu instid0(VALU_DEP_2)
	v_add_co_ci_u32_e32 v81, vcc_lo, s11, v79, vcc_lo
	v_add_co_u32 v78, vcc_lo, s8, v78
	v_add_co_ci_u32_e32 v79, vcc_lo, s9, v79, vcc_lo
	global_store_b32 v[80:81], v76, off
	global_store_b32 v[78:79], v77, off
.LBB1041_14:
	s_or_b32 exec_lo, exec_lo, s2
	s_waitcnt lgkmcnt(0)
	s_waitcnt_vscnt null, 0x0
	s_barrier
	buffer_gl0_inv
	ds_load_b128 v[84:87], v73
	ds_load_b128 v[88:91], v73 offset:16
	ds_load_b128 v[96:99], v73 offset:2064
	;; [unrolled: 1-line block ×5, first 2 shown]
	v_cmp_eq_u32_e32 vcc_lo, 1, v70
	v_mov_b32_e32 v76, 0
	ds_load_b128 v[112:115], v73 offset:6160
	ds_load_b128 v[108:111], v73 offset:6144
	;; [unrolled: 1-line block ×4, first 2 shown]
	v_cmp_eq_u32_e64 s3, 1, v69
	v_cmp_eq_u32_e64 s2, 1, v72
	;; [unrolled: 1-line block ×3, first 2 shown]
	v_mov_b32_e32 v77, v76
	v_mov_b32_e32 v78, v76
	;; [unrolled: 1-line block ×7, first 2 shown]
	v_cmp_eq_u32_e64 s5, 3, v72
	v_cmp_eq_u32_e64 s6, 7, v72
	s_waitcnt lgkmcnt(8)
	s_delay_alu instid0(VALU_DEP_3)
	v_wmma_f32_16x16x16_f16 v[76:83], v[49:56], v[84:91], v[76:83]
	ds_load_b128 v[53:56], v73 offset:10256
	ds_load_b128 v[49:52], v73 offset:10240
	s_waitcnt lgkmcnt(8)
	v_wmma_f32_16x16x16_f16 v[76:83], v[41:48], v[92:99], v[76:83]
	ds_load_b128 v[45:48], v73 offset:12304
	ds_load_b128 v[41:44], v73 offset:12288
	s_waitcnt lgkmcnt(8)
	;; [unrolled: 4-line block ×3, first 2 shown]
	s_barrier
	buffer_gl0_inv
	v_wmma_f32_16x16x16_f16 v[76:83], v[1:8], v[108:115], v[76:83]
	s_delay_alu instid0(VALU_DEP_1) | instskip(NEXT) | instid1(VALU_DEP_1)
	v_wmma_f32_16x16x16_f16 v[76:83], v[9:16], v[116:123], v[76:83]
	v_wmma_f32_16x16x16_f16 v[76:83], v[17:24], v[49:56], v[76:83]
	s_delay_alu instid0(VALU_DEP_1) | instskip(NEXT) | instid1(VALU_DEP_1)
	v_wmma_f32_16x16x16_f16 v[76:83], v[25:32], v[41:48], v[76:83]
	v_wmma_f32_16x16x16_f16 v[76:83], v[57:64], v[33:40], v[76:83]
	s_delay_alu instid0(VALU_DEP_1) | instskip(NEXT) | instid1(VALU_DEP_2)
	v_cvt_f16_f32_e32 v1, v76
	v_cvt_f16_f32_e32 v2, v77
	s_delay_alu instid0(VALU_DEP_3) | instskip(NEXT) | instid1(VALU_DEP_4)
	v_cvt_f16_f32_e32 v3, v78
	v_cvt_f16_f32_e32 v4, v79
	;; [unrolled: 1-line block ×6, first 2 shown]
	v_pack_b32_f16 v1, v1, v2
	v_pack_b32_f16 v2, v3, v4
	;; [unrolled: 1-line block ×3, first 2 shown]
	s_delay_alu instid0(VALU_DEP_4)
	v_pack_b32_f16 v4, v7, v8
	ds_store_b128 v74, v[1:4]
	s_waitcnt lgkmcnt(0)
	s_barrier
	buffer_gl0_inv
	ds_load_b128 v[1:4], v75
	ds_load_b128 v[5:8], v75 offset:16
	s_waitcnt lgkmcnt(1)
	v_lshrrev_b32_e32 v9, 16, v1
	s_waitcnt lgkmcnt(0)
	v_lshrrev_b32_e32 v13, 16, v5
	v_lshrrev_b32_e32 v10, 16, v2
	;; [unrolled: 1-line block ×4, first 2 shown]
	v_cndmask_b32_e32 v17, v1, v9, vcc_lo
	v_cndmask_b32_e32 v18, v5, v13, vcc_lo
	v_cndmask_b32_e64 v21, v1, v9, s3
	v_cmp_eq_u32_e32 vcc_lo, 1, v71
	v_cndmask_b32_e64 v22, v5, v13, s3
	v_cmp_eq_u32_e64 s3, 2, v70
	v_cndmask_b32_e64 v19, v1, v9, s2
	v_cndmask_b32_e64 v20, v5, v13, s2
	v_cndmask_b32_e32 v1, v1, v9, vcc_lo
	v_cmp_eq_u32_e64 s2, 2, v71
	v_cndmask_b32_e32 v5, v5, v13, vcc_lo
	v_cndmask_b32_e64 v9, v17, v2, s3
	v_cmp_eq_u32_e32 vcc_lo, 3, v70
	v_cndmask_b32_e64 v13, v18, v6, s3
	v_cmp_eq_u32_e64 s3, 2, v69
	v_cndmask_b32_e64 v17, v19, v2, s4
	v_cndmask_b32_e64 v18, v20, v6, s4
	v_cmp_eq_u32_e64 s4, 3, v69
	v_cndmask_b32_e64 v1, v1, v2, s2
	v_cndmask_b32_e64 v19, v21, v2, s3
	;; [unrolled: 1-line block ×4, first 2 shown]
	v_cndmask_b32_e32 v5, v9, v10, vcc_lo
	v_cndmask_b32_e32 v6, v13, v14, vcc_lo
	v_cmp_eq_u32_e32 vcc_lo, 3, v71
	v_cndmask_b32_e64 v9, v17, v10, s5
	v_cndmask_b32_e64 v13, v18, v14, s5
	v_cndmask_b32_e64 v18, v20, v14, s4
	v_cmp_eq_u32_e64 s3, 4, v70
	v_cndmask_b32_e32 v1, v1, v10, vcc_lo
	v_cndmask_b32_e32 v2, v2, v14, vcc_lo
	v_cmp_eq_u32_e32 vcc_lo, 4, v72
	v_lshrrev_b32_e32 v15, 16, v7
	v_lshrrev_b32_e32 v16, 16, v8
	v_cndmask_b32_e64 v17, v19, v10, s4
	v_cmp_eq_u32_e64 s2, 4, v71
	v_cndmask_b32_e64 v5, v5, v3, s3
	v_cndmask_b32_e64 v6, v6, v7, s3
	v_cndmask_b32_e32 v9, v9, v3, vcc_lo
	v_cmp_eq_u32_e64 s3, 5, v72
	v_cndmask_b32_e32 v10, v13, v7, vcc_lo
	v_cmp_eq_u32_e32 vcc_lo, 4, v69
	v_cmp_eq_u32_e64 s4, 5, v70
	v_cndmask_b32_e64 v2, v2, v7, s2
	v_cndmask_b32_e64 v9, v9, v11, s3
	;; [unrolled: 1-line block ×3, first 2 shown]
	v_cndmask_b32_e32 v13, v17, v3, vcc_lo
	v_cmp_eq_u32_e64 s3, 5, v69
	v_cndmask_b32_e32 v14, v18, v7, vcc_lo
	v_cndmask_b32_e64 v1, v1, v3, s2
	v_cmp_eq_u32_e32 vcc_lo, 5, v71
	v_lshrrev_b32_e32 v12, 16, v4
	v_cndmask_b32_e64 v13, v13, v11, s3
	v_cndmask_b32_e64 v3, v14, v15, s3
	v_cmp_eq_u32_e64 s3, 6, v71
	v_cndmask_b32_e32 v1, v1, v11, vcc_lo
	v_cndmask_b32_e64 v5, v5, v11, s4
	v_cmp_eq_u32_e64 s5, 6, v70
	v_cndmask_b32_e64 v6, v6, v15, s4
	v_cmp_eq_u32_e64 s4, 6, v72
	v_cmp_eq_u32_e64 s2, 6, v69
	v_cndmask_b32_e64 v1, v1, v4, s3
	v_cndmask_b32_e32 v2, v2, v15, vcc_lo
	v_cmp_eq_u32_e32 vcc_lo, 7, v71
	v_cndmask_b32_e64 v5, v5, v4, s5
	v_cndmask_b32_e64 v9, v9, v4, s4
	;; [unrolled: 1-line block ×3, first 2 shown]
	v_cmp_eq_u32_e64 s5, 7, v70
	v_cndmask_b32_e32 v1, v1, v12, vcc_lo
	v_cndmask_b32_e64 v7, v13, v4, s2
	v_cndmask_b32_e64 v3, v3, v8, s2
	;; [unrolled: 1-line block ×3, first 2 shown]
	v_cmp_eq_u32_e64 s2, 7, v69
	v_cndmask_b32_e64 v4, v10, v8, s4
	v_cndmask_b32_e64 v5, v5, v12, s5
	;; [unrolled: 1-line block ×3, first 2 shown]
	v_cndmask_b32_e32 v2, v2, v16, vcc_lo
	v_cndmask_b32_e64 v7, v7, v12, s2
	v_cndmask_b32_e64 v3, v3, v16, s2
	;; [unrolled: 1-line block ×4, first 2 shown]
	v_perm_b32 v4, v2, v1, 0x5040100
	s_mov_b32 s2, exec_lo
	v_perm_b32 v3, v3, v7, 0x5040100
	v_perm_b32 v2, v8, v9, 0x5040100
	v_perm_b32 v1, v6, v5, 0x5040100
	ds_store_b128 v74, v[1:4]
	s_waitcnt lgkmcnt(0)
	s_barrier
	buffer_gl0_inv
	v_cmpx_gt_u32_e32 32, v0
	s_cbranch_execz .LBB1041_2
; %bb.15:
	s_load_b64 s[0:1], s[0:1], 0x68
	v_lshlrev_b32_e32 v0, 10, v0
	s_lshl_b32 s4, s34, 7
	v_or_b32_e32 v3, s31, v66
	s_mul_i32 s2, s4, s30
	v_lshlrev_b32_e32 v1, 4, v67
	s_mul_i32 s2, s2, s7
	v_lshlrev_b32_e32 v2, 6, v66
	v_and_b32_e32 v0, 0x3800, v0
	s_ashr_i32 s3, s2, 31
	v_mul_lo_u32 v4, v3, s4
	s_lshl_b64 s[2:3], s[2:3], 1
	s_delay_alu instid0(VALU_DEP_2) | instskip(NEXT) | instid1(VALU_DEP_2)
	v_or3_b32 v16, v0, v1, v2
	v_ashrrev_i32_e32 v5, 31, v4
	ds_load_b128 v[0:3], v16
	s_waitcnt lgkmcnt(0)
	s_add_u32 s2, s0, s2
	s_addc_u32 s3, s1, s3
	s_lshl_b32 s0, s14, 7
	v_lshlrev_b64 v[5:6], 1, v[4:5]
	s_ashr_i32 s1, s0, 31
	s_delay_alu instid0(SALU_CYCLE_1) | instskip(NEXT) | instid1(SALU_CYCLE_1)
	s_lshl_b64 s[0:1], s[0:1], 1
	s_add_u32 s0, s2, s0
	s_addc_u32 s1, s3, s1
	s_lshl_b32 s2, s34, 8
	v_add_co_u32 v30, s0, s0, v65
	v_add_nc_u32_e32 v8, s2, v4
	v_add_co_ci_u32_e64 v31, null, s1, 0, s0
	s_delay_alu instid0(VALU_DEP_3) | instskip(NEXT) | instid1(VALU_DEP_3)
	v_add_co_u32 v12, vcc_lo, v30, v5
	v_add_nc_u32_e32 v10, s2, v8
	v_ashrrev_i32_e32 v9, 31, v8
	s_delay_alu instid0(VALU_DEP_4)
	v_add_co_ci_u32_e32 v13, vcc_lo, v31, v6, vcc_lo
	ds_load_b128 v[4:7], v16 offset:128
	v_ashrrev_i32_e32 v11, 31, v10
	v_lshlrev_b64 v[8:9], 1, v[8:9]
	v_add_nc_u32_e32 v14, s2, v10
	global_store_b128 v[12:13], v[0:3], off
	v_lshlrev_b64 v[0:1], 1, v[10:11]
	v_ashrrev_i32_e32 v15, 31, v14
	v_add_co_u32 v22, vcc_lo, v30, v8
	v_add_nc_u32_e32 v20, s2, v14
	v_add_co_ci_u32_e32 v23, vcc_lo, v31, v9, vcc_lo
	v_add_co_u32 v26, vcc_lo, v30, v0
	v_lshlrev_b64 v[24:25], 1, v[14:15]
	v_add_co_ci_u32_e32 v27, vcc_lo, v31, v1, vcc_lo
	ds_load_b128 v[0:3], v16 offset:256
	ds_load_b128 v[8:11], v16 offset:384
	;; [unrolled: 1-line block ×4, first 2 shown]
	v_add_nc_u32_e32 v28, s2, v20
	v_ashrrev_i32_e32 v21, 31, v20
	v_add_co_u32 v24, vcc_lo, v30, v24
	v_add_co_ci_u32_e32 v25, vcc_lo, v31, v25, vcc_lo
	s_delay_alu instid0(VALU_DEP_4) | instskip(NEXT) | instid1(VALU_DEP_4)
	v_ashrrev_i32_e32 v29, 31, v28
	v_lshlrev_b64 v[20:21], 1, v[20:21]
	s_delay_alu instid0(VALU_DEP_2) | instskip(NEXT) | instid1(VALU_DEP_2)
	v_lshlrev_b64 v[28:29], 1, v[28:29]
	v_add_co_u32 v20, vcc_lo, v30, v20
	s_delay_alu instid0(VALU_DEP_3) | instskip(NEXT) | instid1(VALU_DEP_3)
	v_add_co_ci_u32_e32 v21, vcc_lo, v31, v21, vcc_lo
	v_add_co_u32 v28, vcc_lo, v30, v28
	s_delay_alu instid0(VALU_DEP_4)
	v_add_co_ci_u32_e32 v29, vcc_lo, v31, v29, vcc_lo
	s_waitcnt lgkmcnt(4)
	global_store_b128 v[22:23], v[4:7], off
	s_waitcnt lgkmcnt(3)
	global_store_b128 v[26:27], v[0:3], off
	s_waitcnt lgkmcnt(2)
	global_store_b128 v[24:25], v[8:11], off
	s_waitcnt lgkmcnt(1)
	global_store_b128 v[20:21], v[12:15], off
	s_waitcnt lgkmcnt(0)
	global_store_b128 v[28:29], v[16:19], off
	s_nop 0
	s_sendmsg sendmsg(MSG_DEALLOC_VGPRS)
	s_endpgm
	.section	.rodata,"a",@progbits
	.p2align	6, 0x0
	.amdhsa_kernel _Z39paged_attention_ll4mi_QKV_mfma16_kernelIDF16_hLN4vllm18Fp8KVCacheDataTypeE1EhLi32ELi128ELi256ELb0ELi12EL8MFMAType1EEvPKT_PKT0_S8_ifPKiSA_SA_iPKfiiiPfSD_PS3_PT2_iSC_SC_
		.amdhsa_group_segment_fixed_size 17472
		.amdhsa_private_segment_fixed_size 0
		.amdhsa_kernarg_size 400
		.amdhsa_user_sgpr_count 13
		.amdhsa_user_sgpr_dispatch_ptr 0
		.amdhsa_user_sgpr_queue_ptr 0
		.amdhsa_user_sgpr_kernarg_segment_ptr 1
		.amdhsa_user_sgpr_dispatch_id 0
		.amdhsa_user_sgpr_private_segment_size 0
		.amdhsa_wavefront_size32 1
		.amdhsa_uses_dynamic_stack 0
		.amdhsa_enable_private_segment 0
		.amdhsa_system_sgpr_workgroup_id_x 1
		.amdhsa_system_sgpr_workgroup_id_y 1
		.amdhsa_system_sgpr_workgroup_id_z 1
		.amdhsa_system_sgpr_workgroup_info 0
		.amdhsa_system_vgpr_workitem_id 0
		.amdhsa_next_free_vgpr 150
		.amdhsa_next_free_sgpr 37
		.amdhsa_reserve_vcc 1
		.amdhsa_float_round_mode_32 0
		.amdhsa_float_round_mode_16_64 0
		.amdhsa_float_denorm_mode_32 3
		.amdhsa_float_denorm_mode_16_64 3
		.amdhsa_dx10_clamp 1
		.amdhsa_ieee_mode 1
		.amdhsa_fp16_overflow 0
		.amdhsa_workgroup_processor_mode 1
		.amdhsa_memory_ordered 1
		.amdhsa_forward_progress 0
		.amdhsa_shared_vgpr_count 0
		.amdhsa_exception_fp_ieee_invalid_op 0
		.amdhsa_exception_fp_denorm_src 0
		.amdhsa_exception_fp_ieee_div_zero 0
		.amdhsa_exception_fp_ieee_overflow 0
		.amdhsa_exception_fp_ieee_underflow 0
		.amdhsa_exception_fp_ieee_inexact 0
		.amdhsa_exception_int_div_zero 0
	.end_amdhsa_kernel
	.section	.text._Z39paged_attention_ll4mi_QKV_mfma16_kernelIDF16_hLN4vllm18Fp8KVCacheDataTypeE1EhLi32ELi128ELi256ELb0ELi12EL8MFMAType1EEvPKT_PKT0_S8_ifPKiSA_SA_iPKfiiiPfSD_PS3_PT2_iSC_SC_,"axG",@progbits,_Z39paged_attention_ll4mi_QKV_mfma16_kernelIDF16_hLN4vllm18Fp8KVCacheDataTypeE1EhLi32ELi128ELi256ELb0ELi12EL8MFMAType1EEvPKT_PKT0_S8_ifPKiSA_SA_iPKfiiiPfSD_PS3_PT2_iSC_SC_,comdat
.Lfunc_end1041:
	.size	_Z39paged_attention_ll4mi_QKV_mfma16_kernelIDF16_hLN4vllm18Fp8KVCacheDataTypeE1EhLi32ELi128ELi256ELb0ELi12EL8MFMAType1EEvPKT_PKT0_S8_ifPKiSA_SA_iPKfiiiPfSD_PS3_PT2_iSC_SC_, .Lfunc_end1041-_Z39paged_attention_ll4mi_QKV_mfma16_kernelIDF16_hLN4vllm18Fp8KVCacheDataTypeE1EhLi32ELi128ELi256ELb0ELi12EL8MFMAType1EEvPKT_PKT0_S8_ifPKiSA_SA_iPKfiiiPfSD_PS3_PT2_iSC_SC_
                                        ; -- End function
	.section	.AMDGPU.csdata,"",@progbits
; Kernel info:
; codeLenInByte = 6756
; NumSgprs: 39
; NumVgprs: 150
; ScratchSize: 0
; MemoryBound: 0
; FloatMode: 240
; IeeeMode: 1
; LDSByteSize: 17472 bytes/workgroup (compile time only)
; SGPRBlocks: 4
; VGPRBlocks: 18
; NumSGPRsForWavesPerEU: 39
; NumVGPRsForWavesPerEU: 150
; Occupancy: 9
; WaveLimiterHint : 1
; COMPUTE_PGM_RSRC2:SCRATCH_EN: 0
; COMPUTE_PGM_RSRC2:USER_SGPR: 13
; COMPUTE_PGM_RSRC2:TRAP_HANDLER: 0
; COMPUTE_PGM_RSRC2:TGID_X_EN: 1
; COMPUTE_PGM_RSRC2:TGID_Y_EN: 1
; COMPUTE_PGM_RSRC2:TGID_Z_EN: 1
; COMPUTE_PGM_RSRC2:TIDIG_COMP_CNT: 0
	.section	.text._Z39paged_attention_ll4mi_QKV_mfma16_kernelIDF16_hLN4vllm18Fp8KVCacheDataTypeE1EhLi32ELi128ELi256ELb0ELi13EL8MFMAType1EEvPKT_PKT0_S8_ifPKiSA_SA_iPKfiiiPfSD_PS3_PT2_iSC_SC_,"axG",@progbits,_Z39paged_attention_ll4mi_QKV_mfma16_kernelIDF16_hLN4vllm18Fp8KVCacheDataTypeE1EhLi32ELi128ELi256ELb0ELi13EL8MFMAType1EEvPKT_PKT0_S8_ifPKiSA_SA_iPKfiiiPfSD_PS3_PT2_iSC_SC_,comdat
	.protected	_Z39paged_attention_ll4mi_QKV_mfma16_kernelIDF16_hLN4vllm18Fp8KVCacheDataTypeE1EhLi32ELi128ELi256ELb0ELi13EL8MFMAType1EEvPKT_PKT0_S8_ifPKiSA_SA_iPKfiiiPfSD_PS3_PT2_iSC_SC_ ; -- Begin function _Z39paged_attention_ll4mi_QKV_mfma16_kernelIDF16_hLN4vllm18Fp8KVCacheDataTypeE1EhLi32ELi128ELi256ELb0ELi13EL8MFMAType1EEvPKT_PKT0_S8_ifPKiSA_SA_iPKfiiiPfSD_PS3_PT2_iSC_SC_
	.globl	_Z39paged_attention_ll4mi_QKV_mfma16_kernelIDF16_hLN4vllm18Fp8KVCacheDataTypeE1EhLi32ELi128ELi256ELb0ELi13EL8MFMAType1EEvPKT_PKT0_S8_ifPKiSA_SA_iPKfiiiPfSD_PS3_PT2_iSC_SC_
	.p2align	8
	.type	_Z39paged_attention_ll4mi_QKV_mfma16_kernelIDF16_hLN4vllm18Fp8KVCacheDataTypeE1EhLi32ELi128ELi256ELb0ELi13EL8MFMAType1EEvPKT_PKT0_S8_ifPKiSA_SA_iPKfiiiPfSD_PS3_PT2_iSC_SC_,@function
_Z39paged_attention_ll4mi_QKV_mfma16_kernelIDF16_hLN4vllm18Fp8KVCacheDataTypeE1EhLi32ELi128ELi256ELb0ELi13EL8MFMAType1EEvPKT_PKT0_S8_ifPKiSA_SA_iPKfiiiPfSD_PS3_PT2_iSC_SC_: ; @_Z39paged_attention_ll4mi_QKV_mfma16_kernelIDF16_hLN4vllm18Fp8KVCacheDataTypeE1EhLi32ELi128ELi256ELb0ELi13EL8MFMAType1EEvPKT_PKT0_S8_ifPKiSA_SA_iPKfiiiPfSD_PS3_PT2_iSC_SC_
; %bb.0:
	s_load_b64 s[4:5], s[0:1], 0x30
	s_mov_b32 s34, s13
	s_waitcnt lgkmcnt(0)
	s_cmp_lg_u64 s[4:5], 0
	s_cselect_b32 s8, -1, 0
	s_ashr_i32 s35, s13, 31
	s_cmp_eq_u64 s[4:5], 0
	s_cbranch_scc1 .LBB1042_3
; %bb.1:
	s_lshl_b64 s[2:3], s[34:35], 2
	s_delay_alu instid0(SALU_CYCLE_1) | instskip(SKIP_4) | instid1(SALU_CYCLE_1)
	s_add_u32 s2, s4, s2
	s_addc_u32 s3, s5, s3
	s_load_b64 s[2:3], s[2:3], 0x0
	s_waitcnt lgkmcnt(0)
	s_sub_i32 s2, s3, s2
	s_cmp_eq_u32 s2, 1
	s_cselect_b32 s2, -1, 0
	s_delay_alu instid0(SALU_CYCLE_1)
	s_and_not1_b32 vcc_lo, exec_lo, s2
	s_cbranch_vccz .LBB1042_4
.LBB1042_2:
	s_nop 0
	s_sendmsg sendmsg(MSG_DEALLOC_VGPRS)
	s_endpgm
.LBB1042_3:
.LBB1042_4:
	s_load_b64 s[2:3], s[0:1], 0x28
	s_lshl_b64 s[6:7], s[34:35], 2
	s_waitcnt lgkmcnt(0)
	s_add_u32 s2, s2, s6
	s_addc_u32 s3, s3, s7
	s_lshl_b32 s12, s14, 8
	s_load_b32 s24, s[2:3], 0x0
	s_waitcnt lgkmcnt(0)
	s_cmp_ge_i32 s12, s24
	s_cbranch_scc1 .LBB1042_2
; %bb.5:
	s_clause 0x1
	s_load_b128 s[20:23], s[0:1], 0x8
	s_load_b64 s[2:3], s[0:1], 0x20
	s_and_not1_b32 vcc_lo, exec_lo, s8
	s_cbranch_vccnz .LBB1042_7
; %bb.6:
	s_add_u32 s4, s4, s6
	s_addc_u32 s5, s5, s7
	s_load_b32 s5, s[4:5], 0x0
	s_branch .LBB1042_8
.LBB1042_7:
	s_mov_b32 s5, s34
.LBB1042_8:
	s_load_b128 s[16:19], s[0:1], 0x48
	v_and_b32_e32 v68, 15, v0
	v_lshrrev_b32_e32 v69, 5, v0
	v_bfe_u32 v66, v0, 4, 1
	v_and_b32_e32 v70, 31, v0
	v_and_b32_e32 v67, 1, v0
	v_lshlrev_b32_e32 v2, 3, v68
	s_mul_i32 s31, s15, 13
	v_lshl_or_b32 v1, v69, 1, v66
	s_mov_b32 s4, exec_lo
	s_delay_alu instid0(VALU_DEP_2) | instskip(NEXT) | instid1(VALU_DEP_2)
	v_lshlrev_b32_e32 v65, 1, v2
	v_cmpx_gt_u32_e32 13, v1
	s_cbranch_execz .LBB1042_10
; %bb.9:
	s_load_b64 s[6:7], s[0:1], 0x0
	v_add_lshl_u32 v2, v1, s31, 7
	s_waitcnt lgkmcnt(0)
	s_mul_hi_i32 s9, s5, s16
	s_mul_i32 s8, s5, s16
	v_lshlrev_b32_e32 v6, 10, v68
	s_lshl_b64 s[8:9], s[8:9], 1
	v_ashrrev_i32_e32 v3, 31, v2
	v_lshlrev_b32_e32 v1, 6, v1
	v_lshlrev_b32_e32 v7, 10, v67
	v_and_b32_e32 v6, 0x3800, v6
	s_delay_alu instid0(VALU_DEP_4) | instskip(NEXT) | instid1(VALU_DEP_2)
	v_lshlrev_b64 v[2:3], 1, v[2:3]
	v_or3_b32 v1, v6, v7, v1
	s_add_u32 s5, s6, s8
	s_addc_u32 s6, s7, s9
	s_delay_alu instid0(VALU_DEP_2) | instskip(NEXT) | instid1(VALU_DEP_3)
	v_add_co_u32 v2, vcc_lo, s5, v2
	v_add_co_ci_u32_e32 v3, vcc_lo, s6, v3, vcc_lo
	s_delay_alu instid0(VALU_DEP_2) | instskip(NEXT) | instid1(VALU_DEP_2)
	v_add_co_u32 v2, vcc_lo, v2, v65
	v_add_co_ci_u32_e32 v3, vcc_lo, 0, v3, vcc_lo
	global_load_b128 v[2:5], v[2:3], off
	s_waitcnt vmcnt(0)
	ds_store_b128 v1, v[2:5]
.LBB1042_10:
	s_or_b32 exec_lo, exec_lo, s4
	v_and_b32_e32 v1, 0xef, v0
	s_waitcnt lgkmcnt(0)
	s_add_i32 s5, s24, 31
	s_clause 0x1
	s_load_b32 s4, s[0:1], 0x38
	s_load_b32 s33, s[0:1], 0x98
	s_ashr_i32 s6, s5, 31
	v_add_nc_u32_e32 v1, s12, v1
	s_lshr_b32 s6, s6, 27
	s_load_b32 s19, s[0:1], 0x1c
	s_add_i32 s5, s5, s6
	s_waitcnt lgkmcnt(0)
	v_ashrrev_i32_e32 v2, 31, v1
	v_or_b32_e32 v3, 16, v1
	s_ashr_i32 s13, s5, 5
	v_cmp_gt_i32_e32 vcc_lo, s24, v1
	s_add_i32 s13, s13, -1
	v_lshrrev_b32_e32 v2, 27, v2
	s_barrier
	buffer_gl0_inv
	s_mul_i32 s15, s15, s18
	v_add_nc_u32_e32 v4, v1, v2
	s_mul_i32 s4, s34, s4
	s_delay_alu instid0(SALU_CYCLE_1) | instskip(NEXT) | instid1(VALU_DEP_1)
	s_ashr_i32 s5, s4, 31
	v_ashrrev_i32_e32 v4, 5, v4
	v_add_nc_u32_e32 v2, v3, v2
	s_lshl_b64 s[4:5], s[4:5], 2
	s_delay_alu instid0(SALU_CYCLE_1) | instskip(NEXT) | instid1(VALU_DEP_2)
	s_add_u32 s16, s2, s4
	v_cndmask_b32_e32 v1, s13, v4, vcc_lo
	s_delay_alu instid0(VALU_DEP_2)
	v_ashrrev_i32_e32 v2, 5, v2
	v_cmp_gt_i32_e32 vcc_lo, s24, v3
	s_addc_u32 s25, s3, s5
	s_ashr_i32 s18, s15, 31
	s_add_u32 s2, s20, s15
	s_addc_u32 s3, s21, s18
	v_cndmask_b32_e32 v3, s13, v2, vcc_lo
	v_ashrrev_i32_e32 v2, 31, v1
	s_lshl_b32 s4, s14, 3
	s_delay_alu instid0(SALU_CYCLE_1) | instskip(NEXT) | instid1(VALU_DEP_2)
	s_ashr_i32 s5, s4, 31
	v_ashrrev_i32_e32 v4, 31, v3
	s_delay_alu instid0(VALU_DEP_2) | instskip(SKIP_1) | instid1(SALU_CYCLE_1)
	v_lshlrev_b64 v[1:2], 2, v[1:2]
	s_lshl_b64 s[4:5], s[4:5], 2
	s_add_u32 s4, s16, s4
	s_delay_alu instid0(VALU_DEP_2) | instskip(SKIP_1) | instid1(VALU_DEP_2)
	v_lshlrev_b64 v[3:4], 2, v[3:4]
	s_addc_u32 s5, s25, s5
	v_add_co_u32 v1, vcc_lo, s16, v1
	v_add_co_ci_u32_e32 v2, vcc_lo, s25, v2, vcc_lo
	s_delay_alu instid0(VALU_DEP_3) | instskip(NEXT) | instid1(VALU_DEP_4)
	v_add_co_u32 v3, vcc_lo, s16, v3
	v_add_co_ci_u32_e32 v4, vcc_lo, s25, v4, vcc_lo
	s_clause 0x1
	global_load_b32 v5, v[1:2], off
	global_load_b32 v6, v[3:4], off
	s_or_b32 s6, s12, 32
	s_delay_alu instid0(SALU_CYCLE_1) | instskip(SKIP_2) | instid1(SALU_CYCLE_1)
	s_ashr_i32 s7, s6, 5
	s_cmp_lt_i32 s6, s24
	s_cselect_b32 s6, s7, s13
	s_ashr_i32 s7, s6, 31
	s_delay_alu instid0(SALU_CYCLE_1) | instskip(NEXT) | instid1(SALU_CYCLE_1)
	s_lshl_b64 s[6:7], s[6:7], 2
	s_add_u32 s6, s16, s6
	s_addc_u32 s7, s25, s7
	s_or_b32 s8, s12, 64
	s_delay_alu instid0(SALU_CYCLE_1) | instskip(SKIP_2) | instid1(SALU_CYCLE_1)
	s_ashr_i32 s9, s8, 5
	s_cmp_lt_i32 s8, s24
	s_cselect_b32 s8, s9, s13
	s_ashr_i32 s9, s8, 31
	s_delay_alu instid0(SALU_CYCLE_1) | instskip(NEXT) | instid1(SALU_CYCLE_1)
	s_lshl_b64 s[8:9], s[8:9], 2
	s_add_u32 s8, s16, s8
	s_addc_u32 s9, s25, s9
	s_or_b32 s10, s12, 0x60
	s_delay_alu instid0(SALU_CYCLE_1) | instskip(SKIP_2) | instid1(SALU_CYCLE_1)
	s_ashr_i32 s11, s10, 5
	s_cmp_lt_i32 s10, s24
	s_cselect_b32 s10, s11, s13
	s_ashr_i32 s11, s10, 31
	s_delay_alu instid0(SALU_CYCLE_1) | instskip(NEXT) | instid1(SALU_CYCLE_1)
	s_lshl_b64 s[10:11], s[10:11], 2
	s_add_u32 s10, s16, s10
	s_addc_u32 s11, s25, s11
	s_or_b32 s20, s12, 0x80
	s_delay_alu instid0(SALU_CYCLE_1) | instskip(SKIP_2) | instid1(SALU_CYCLE_1)
	s_ashr_i32 s21, s20, 5
	s_cmp_lt_i32 s20, s24
	s_cselect_b32 s20, s21, s13
	s_ashr_i32 s21, s20, 31
	s_delay_alu instid0(SALU_CYCLE_1) | instskip(NEXT) | instid1(SALU_CYCLE_1)
	s_lshl_b64 s[20:21], s[20:21], 2
	s_add_u32 s20, s16, s20
	s_addc_u32 s21, s25, s21
	s_or_b32 s26, s12, 0xa0
	s_delay_alu instid0(SALU_CYCLE_1) | instskip(SKIP_2) | instid1(SALU_CYCLE_1)
	s_ashr_i32 s27, s26, 5
	s_cmp_lt_i32 s26, s24
	s_cselect_b32 s26, s27, s13
	s_ashr_i32 s27, s26, 31
	s_delay_alu instid0(SALU_CYCLE_1) | instskip(NEXT) | instid1(SALU_CYCLE_1)
	s_lshl_b64 s[26:27], s[26:27], 2
	s_add_u32 s26, s16, s26
	s_addc_u32 s27, s25, s27
	s_clause 0x5
	s_load_b32 s28, s[4:5], 0x0
	s_load_b32 s29, s[6:7], 0x0
	;; [unrolled: 1-line block ×6, first 2 shown]
	s_mov_b32 s4, 0
	s_delay_alu instid0(SALU_CYCLE_1)
	s_mov_b32 s5, s4
	s_mov_b32 s6, s4
	;; [unrolled: 1-line block ×7, first 2 shown]
	s_delay_alu instid0(SALU_CYCLE_1)
	v_dual_mov_b32 v118, s11 :: v_dual_mov_b32 v117, s10
	v_dual_mov_b32 v116, s9 :: v_dual_mov_b32 v115, s8
	v_mov_b32_e32 v113, s6
	v_dual_mov_b32 v111, s4 :: v_dual_mov_b32 v114, s7
	v_mov_b32_e32 v112, s5
	s_waitcnt vmcnt(1)
	v_mad_i64_i32 v[1:2], null, v5, s17, s[2:3]
	v_lshlrev_b32_e32 v5, 4, v68
	s_waitcnt vmcnt(0)
	v_mad_i64_i32 v[3:4], null, v6, s17, s[2:3]
	s_or_b32 s2, s12, 0xc0
	s_delay_alu instid0(SALU_CYCLE_1) | instskip(NEXT) | instid1(VALU_DEP_3)
	s_ashr_i32 s3, s2, 5
	v_add_co_u32 v1, vcc_lo, v1, v5
	s_delay_alu instid0(VALU_DEP_4) | instskip(NEXT) | instid1(VALU_DEP_3)
	v_add_co_ci_u32_e32 v2, vcc_lo, 0, v2, vcc_lo
	v_add_co_u32 v3, vcc_lo, v3, v5
	s_delay_alu instid0(VALU_DEP_4)
	v_add_co_ci_u32_e32 v4, vcc_lo, 0, v4, vcc_lo
	s_clause 0xf
	global_load_b128 v[17:20], v[1:2], off
	global_load_b128 v[21:24], v[1:2], off offset:512
	global_load_b128 v[25:28], v[3:4], off offset:256
	;; [unrolled: 1-line block ×15, first 2 shown]
	s_cmp_lt_i32 s2, s24
	v_add_nc_u32_e32 v1, -13, v68
	s_cselect_b32 s2, s3, s13
	v_cmp_gt_u32_e32 vcc_lo, 13, v68
	s_ashr_i32 s3, s2, 31
	v_lshlrev_b32_e32 v2, 5, v68
	s_lshl_b64 s[2:3], s[2:3], 2
	s_delay_alu instid0(SALU_CYCLE_1)
	s_add_u32 s2, s16, s2
	s_addc_u32 s3, s25, s3
	s_or_b32 s20, s12, 0xe0
	v_cndmask_b32_e32 v1, v1, v68, vcc_lo
	s_ashr_i32 s21, s20, 5
	s_cmp_lt_i32 s20, s24
	s_cselect_b32 s20, s21, s13
	s_delay_alu instid0(VALU_DEP_1)
	v_lshlrev_b32_e32 v149, 6, v1
	s_ashr_i32 s21, s20, 31
	v_lshl_or_b32 v1, v69, 9, v2
	s_lshl_b64 s[4:5], s[20:21], 2
	ds_load_b128 v[119:122], v149
	ds_load_b128 v[123:126], v149 offset:1024
	s_add_u32 s4, s16, s4
	s_addc_u32 s5, s25, s5
	ds_load_b128 v[127:130], v149 offset:2048
	ds_load_b128 v[131:134], v149 offset:3072
	s_clause 0x1
	s_load_b32 s2, s[2:3], 0x0
	s_load_b32 s3, s[4:5], 0x0
	s_add_u32 s6, s22, s15
	s_addc_u32 s7, s23, s18
	v_add_co_u32 v135, s6, s6, v1
	s_delay_alu instid0(VALU_DEP_1) | instskip(SKIP_1) | instid1(VALU_DEP_1)
	v_add_co_ci_u32_e64 v136, null, s7, 0, s6
	s_waitcnt lgkmcnt(0)
	v_mad_i64_i32 v[1:2], null, s28, s17, v[135:136]
	v_mad_i64_i32 v[3:4], null, s29, s17, v[135:136]
	;; [unrolled: 1-line block ×6, first 2 shown]
	s_clause 0x9
	global_load_b128 v[49:52], v[1:2], off
	global_load_b128 v[53:56], v[1:2], off offset:16
	global_load_b128 v[41:44], v[3:4], off
	global_load_b128 v[45:48], v[3:4], off offset:16
	;; [unrolled: 2-line block ×5, first 2 shown]
	v_mad_i64_i32 v[145:146], null, s2, s17, v[135:136]
	v_mad_i64_i32 v[147:148], null, s3, s17, v[135:136]
	s_waitcnt vmcnt(24)
	v_wmma_f32_16x16x16_f16 v[135:142], v[17:24], v[119:126], v[111:118]
	s_waitcnt vmcnt(22)
	v_wmma_f32_16x16x16_f16 v[111:118], v[25:32], v[119:126], v[111:118]
	s_clause 0x3
	global_load_b128 v[17:20], v[143:144], off
	global_load_b128 v[21:24], v[143:144], off offset:16
	global_load_b128 v[25:28], v[145:146], off
	global_load_b128 v[29:32], v[145:146], off offset:16
	v_and_b32_e32 v119, 0xe0, v0
	s_waitcnt vmcnt(24)
	v_wmma_f32_16x16x16_f16 v[135:142], v[57:64], v[127:134], v[135:142]
	s_clause 0x1
	global_load_b128 v[57:60], v[147:148], off
	global_load_b128 v[61:64], v[147:148], off offset:16
	s_waitcnt vmcnt(24)
	v_wmma_f32_16x16x16_f16 v[111:118], v[71:78], v[127:134], v[111:118]
	ds_load_b128 v[71:74], v149 offset:4096
	ds_load_b128 v[75:78], v149 offset:5120
	v_add_nc_u32_e32 v128, s12, v119
	ds_load_b128 v[119:122], v149 offset:6144
	ds_load_b128 v[123:126], v149 offset:7168
	v_mbcnt_lo_u32_b32 v127, -1, 0
	s_waitcnt vmcnt(0) lgkmcnt(0)
	s_barrier
	v_or_b32_e32 v128, v128, v66
	buffer_gl0_inv
	v_xor_b32_e32 v129, 16, v127
	v_or_b32_e32 v130, 4, v128
	v_or_b32_e32 v131, 6, v128
	s_delay_alu instid0(VALU_DEP_3) | instskip(SKIP_4) | instid1(VALU_DEP_4)
	v_cmp_gt_i32_e32 vcc_lo, 32, v129
	v_or_b32_e32 v132, 8, v128
	v_or_b32_e32 v133, 10, v128
	v_cmp_gt_i32_e64 s3, s24, v130
	v_cmp_gt_i32_e64 s4, s24, v131
	;; [unrolled: 1-line block ×3, first 2 shown]
	v_wmma_f32_16x16x16_f16 v[135:142], v[79:86], v[71:78], v[135:142]
	v_wmma_f32_16x16x16_f16 v[111:118], v[87:94], v[71:78], v[111:118]
	v_or_b32_e32 v79, 12, v128
	v_or_b32_e32 v80, 14, v128
	v_cmp_gt_i32_e64 s6, s24, v133
	v_wmma_f32_16x16x16_f16 v[135:142], v[95:102], v[119:126], v[135:142]
	v_wmma_f32_16x16x16_f16 v[111:118], v[103:110], v[119:126], v[111:118]
	v_cndmask_b32_e32 v127, v127, v129, vcc_lo
	v_or_b32_e32 v129, 2, v128
	v_cmp_gt_i32_e32 vcc_lo, s24, v128
	s_delay_alu instid0(VALU_DEP_4) | instskip(SKIP_1) | instid1(VALU_DEP_4)
	v_dual_mul_f32 v87, s19, v136 :: v_dual_mul_f32 v94, s19, v113
	v_mul_f32_e32 v88, s19, v135
	v_cmp_gt_i32_e64 s2, s24, v129
	v_mul_f32_e32 v78, s19, v138
	v_mul_f32_e32 v86, s19, v137
	;; [unrolled: 1-line block ×3, first 2 shown]
	v_cndmask_b32_e32 v88, 0xff7fffff, v88, vcc_lo
	v_cndmask_b32_e64 v87, 0xff7fffff, v87, s2
	v_dual_mul_f32 v77, s19, v139 :: v_dual_mul_f32 v90, s19, v117
	v_cndmask_b32_e64 v86, 0xff7fffff, v86, s3
	v_cndmask_b32_e64 v78, 0xff7fffff, v78, s4
	s_delay_alu instid0(VALU_DEP_4)
	v_max3_f32 v87, v88, 0xff7fffff, v87
	v_or_b32_e32 v81, 16, v128
	v_or_b32_e32 v82, 18, v128
	v_dual_mul_f32 v74, s19, v142 :: v_dual_mul_f32 v75, s19, v141
	v_mul_f32_e32 v96, s19, v111
	v_cndmask_b32_e64 v77, 0xff7fffff, v77, s5
	v_cndmask_b32_e64 v76, 0xff7fffff, v76, s6
	v_max3_f32 v78, v87, v86, v78
	v_cmp_gt_i32_e64 s7, s24, v79
	v_cmp_gt_i32_e64 s8, s24, v80
	v_or_b32_e32 v83, 20, v128
	v_or_b32_e32 v84, 22, v128
	v_mul_f32_e32 v95, s19, v112
	v_cndmask_b32_e64 v75, 0xff7fffff, v75, s7
	v_cndmask_b32_e64 v74, 0xff7fffff, v74, s8
	v_max3_f32 v76, v78, v77, v76
	v_cmp_gt_i32_e64 s9, s24, v81
	v_cmp_gt_i32_e64 s10, s24, v82
	v_or_b32_e32 v85, 24, v128
	v_or_b32_e32 v71, 26, v128
	;; [unrolled: 8-line block ×3, first 2 shown]
	v_dual_mul_f32 v91, s19, v116 :: v_dual_mul_f32 v92, s19, v115
	v_cndmask_b32_e64 v75, 0xff7fffff, v94, s11
	v_cndmask_b32_e64 v76, 0xff7fffff, v93, s12
	v_max3_f32 v74, v74, v77, v78
	v_cmp_gt_i32_e64 s13, s24, v85
	v_cmp_gt_i32_e64 s15, s24, v71
	v_mul_f32_e32 v89, s19, v118
	v_cmp_gt_i32_e64 s16, s24, v72
	v_max3_f32 v74, v74, v75, v76
	v_cndmask_b32_e64 v77, 0xff7fffff, v92, s13
	v_cndmask_b32_e64 v71, 0xff7fffff, v91, s15
	v_cmp_gt_i32_e64 s17, s24, v73
	v_cndmask_b32_e64 v72, 0xff7fffff, v90, s16
	s_delay_alu instid0(VALU_DEP_3) | instskip(SKIP_1) | instid1(VALU_DEP_4)
	v_max3_f32 v71, v74, v77, v71
	v_lshlrev_b32_e32 v74, 2, v127
	v_cndmask_b32_e64 v73, 0xff7fffff, v89, s17
	s_delay_alu instid0(VALU_DEP_1) | instskip(SKIP_3) | instid1(VALU_DEP_1)
	v_max3_f32 v71, v71, v72, v73
	ds_bpermute_b32 v72, v74, v71
	s_waitcnt lgkmcnt(0)
	v_max_f32_e32 v72, v72, v72
	v_max_f32_e32 v71, v71, v72
	s_delay_alu instid0(VALU_DEP_1) | instskip(SKIP_4) | instid1(VALU_DEP_4)
	v_fma_f32 v72, s19, v135, -v71
	v_fma_f32 v73, s19, v136, -v71
	;; [unrolled: 1-line block ×5, first 2 shown]
	v_dual_mul_f32 v72, 0x3fb8aa3b, v72 :: v_dual_mul_f32 v73, 0x3fb8aa3b, v73
	s_delay_alu instid0(VALU_DEP_3) | instskip(SKIP_1) | instid1(VALU_DEP_3)
	v_dual_mul_f32 v75, 0x3fb8aa3b, v75 :: v_dual_mul_f32 v76, 0x3fb8aa3b, v76
	v_fma_f32 v80, s19, v141, -v71
	v_exp_f32_e32 v72, v72
	s_delay_alu instid0(VALU_DEP_3) | instskip(NEXT) | instid1(VALU_DEP_2)
	v_exp_f32_e32 v73, v73
	v_exp_f32_e32 v75, v75
	v_exp_f32_e32 v76, v76
	v_mul_f32_e32 v82, 0x3fb8aa3b, v80
	s_delay_alu instid0(VALU_DEP_1) | instskip(SKIP_4) | instid1(TRANS32_DEP_3)
	v_exp_f32_e32 v84, v82
	v_cndmask_b32_e32 v79, 0, v72, vcc_lo
	v_fma_f32 v72, s19, v140, -v71
	v_mul_f32_e32 v77, 0x3fb8aa3b, v77
	v_cndmask_b32_e64 v78, 0, v73, s2
	v_cndmask_b32_e64 v81, 0, v75, s3
	s_delay_alu instid0(VALU_DEP_4) | instskip(NEXT) | instid1(VALU_DEP_4)
	v_dual_add_f32 v73, 0, v79 :: v_dual_mul_f32 v72, 0x3fb8aa3b, v72
	v_exp_f32_e32 v77, v77
	v_cndmask_b32_e64 v80, 0, v76, s4
	s_delay_alu instid0(TRANS32_DEP_2) | instskip(NEXT) | instid1(VALU_DEP_3)
	v_cndmask_b32_e64 v85, 0, v84, s7
	v_add_f32_e32 v73, v73, v78
	v_exp_f32_e32 v72, v72
	v_cmp_gt_u32_e64 s2, 16, v70
	s_delay_alu instid0(VALU_DEP_2) | instskip(NEXT) | instid1(TRANS32_DEP_2)
	v_add_f32_e32 v73, v73, v81
	v_cndmask_b32_e64 v83, 0, v77, s5
	s_delay_alu instid0(VALU_DEP_2) | instskip(SKIP_3) | instid1(VALU_DEP_1)
	v_add_f32_e32 v73, v73, v80
	s_waitcnt_depctr 0xfff
	v_cndmask_b32_e64 v82, 0, v72, s6
	v_add_f32_e32 v72, v73, v83
	v_add_f32_e32 v72, v72, v82
	s_delay_alu instid0(VALU_DEP_1)
	v_add_f32_e32 v72, v72, v85
	v_fma_f32 v76, s19, v111, -v71
	v_fma_f32 v75, s19, v142, -v71
	;; [unrolled: 1-line block ×5, first 2 shown]
	s_delay_alu instid0(VALU_DEP_4) | instskip(NEXT) | instid1(VALU_DEP_3)
	v_dual_mul_f32 v76, 0x3fb8aa3b, v76 :: v_dual_mul_f32 v75, 0x3fb8aa3b, v75
	v_mul_f32_e32 v86, 0x3fb8aa3b, v86
	s_delay_alu instid0(VALU_DEP_2) | instskip(NEXT) | instid1(VALU_DEP_2)
	v_exp_f32_e32 v76, v76
	v_exp_f32_e32 v75, v75
	s_delay_alu instid0(VALU_DEP_1) | instskip(NEXT) | instid1(TRANS32_DEP_3)
	v_exp_f32_e32 v88, v86
	v_cndmask_b32_e64 v87, 0, v76, s9
	v_fma_f32 v76, s19, v116, -v71
	v_mul_f32_e32 v77, 0x3fb8aa3b, v77
	s_waitcnt_depctr 0xfff
	v_cndmask_b32_e64 v84, 0, v75, s8
	v_fma_f32 v75, s19, v115, -v71
	v_cndmask_b32_e64 v88, 0, v88, s12
	v_mul_f32_e32 v76, 0x3fb8aa3b, v76
	v_exp_f32_e32 v77, v77
	v_add_f32_e32 v72, v72, v84
	s_delay_alu instid0(VALU_DEP_2) | instskip(NEXT) | instid1(VALU_DEP_1)
	v_exp_f32_e32 v76, v76
	v_add_f32_e32 v72, v72, v87
	s_waitcnt_depctr 0xfff
	v_cndmask_b32_e64 v86, 0, v77, s10
	v_mul_f32_e32 v73, 0x3fb8aa3b, v73
	v_fma_f32 v77, s19, v117, -v71
	v_cndmask_b32_e64 v90, 0, v76, s15
	s_delay_alu instid0(VALU_DEP_4) | instskip(NEXT) | instid1(VALU_DEP_4)
	v_add_f32_e32 v72, v72, v86
	v_exp_f32_e32 v73, v73
	s_waitcnt_depctr 0xfff
	v_cndmask_b32_e64 v89, 0, v73, s11
	s_delay_alu instid0(VALU_DEP_1) | instskip(NEXT) | instid1(VALU_DEP_1)
	v_dual_mul_f32 v75, 0x3fb8aa3b, v75 :: v_dual_add_f32 v72, v72, v89
	v_exp_f32_e32 v75, v75
	v_mul_f32_e32 v73, 0x3fb8aa3b, v77
	v_fma_f32 v77, s19, v118, -v71
	s_delay_alu instid0(VALU_DEP_3) | instskip(NEXT) | instid1(VALU_DEP_3)
	v_add_f32_e32 v72, v72, v88
	v_exp_f32_e32 v73, v73
	s_waitcnt_depctr 0xfff
	v_cndmask_b32_e64 v91, 0, v75, s13
	s_delay_alu instid0(VALU_DEP_1) | instskip(NEXT) | instid1(VALU_DEP_1)
	v_dual_mul_f32 v75, 0x3fb8aa3b, v77 :: v_dual_add_f32 v72, v72, v91
	v_exp_f32_e32 v75, v75
	v_cndmask_b32_e64 v93, 0, v73, s16
	s_delay_alu instid0(VALU_DEP_2) | instskip(NEXT) | instid1(VALU_DEP_1)
	v_add_f32_e32 v72, v72, v90
	v_add_f32_e32 v72, v72, v93
	s_waitcnt_depctr 0xfff
	v_cndmask_b32_e64 v92, 0, v75, s17
	s_delay_alu instid0(VALU_DEP_1)
	v_add_f32_e32 v72, v72, v92
	ds_bpermute_b32 v73, v74, v72
	s_and_saveexec_b32 s3, s2
	s_cbranch_execz .LBB1042_12
; %bb.11:
	v_mul_u32_u24_e32 v70, 0x44, v69
	s_waitcnt lgkmcnt(0)
	v_add_f32_e32 v72, v72, v73
	s_delay_alu instid0(VALU_DEP_2) | instskip(NEXT) | instid1(VALU_DEP_1)
	v_lshl_add_u32 v70, v68, 2, v70
	v_add_nc_u32_e32 v70, 0x4000, v70
	ds_store_2addr_b32 v70, v71, v72 offset1:136
.LBB1042_12:
	s_or_b32 exec_lo, exec_lo, s3
	v_lshlrev_b32_e32 v70, 2, v68
	s_load_b32 s35, s[0:1], 0x94
	s_waitcnt lgkmcnt(0)
	s_barrier
	buffer_gl0_inv
	v_add_nc_u32_e32 v98, 0x4000, v70
	v_cmp_eq_u32_e32 vcc_lo, 1, v69
	v_cmp_eq_u32_e64 s3, 2, v69
	v_cmp_eq_u32_e64 s4, 3, v69
	;; [unrolled: 1-line block ×3, first 2 shown]
	ds_load_2addr_b32 v[70:71], v98 offset1:17
	ds_load_2addr_b32 v[72:73], v98 offset0:34 offset1:51
	ds_load_2addr_b32 v[74:75], v98 offset0:68 offset1:85
	;; [unrolled: 1-line block ×3, first 2 shown]
	v_cmp_eq_u32_e64 s6, 5, v69
	v_cmp_eq_u32_e64 s7, 7, v69
	s_waitcnt lgkmcnt(3)
	v_max3_f32 v76, v70, 0xff7fffff, v71
	s_waitcnt lgkmcnt(2)
	s_delay_alu instid0(VALU_DEP_1) | instskip(SKIP_1) | instid1(VALU_DEP_1)
	v_max3_f32 v76, v76, v72, v73
	s_waitcnt lgkmcnt(1)
	v_max3_f32 v76, v76, v74, v75
	s_waitcnt lgkmcnt(0)
	s_delay_alu instid0(VALU_DEP_1) | instskip(NEXT) | instid1(VALU_DEP_1)
	v_max3_f32 v76, v76, v94, v95
	v_sub_f32_e32 v77, v71, v76
	ds_load_2addr_b32 v[96:97], v98 offset0:136 offset1:153
	v_sub_f32_e32 v74, v74, v76
	v_sub_f32_e32 v70, v70, v76
	v_sub_f32_e32 v94, v94, v76
	v_dual_sub_f32 v72, v72, v76 :: v_dual_mul_f32 v77, 0x3fb8aa3b, v77
	s_delay_alu instid0(VALU_DEP_4) | instskip(NEXT) | instid1(VALU_DEP_4)
	v_mul_f32_e32 v103, 0x3fb8aa3b, v74
	v_mul_f32_e32 v99, 0x3fb8aa3b, v70
	ds_load_2addr_b32 v[70:71], v98 offset0:170 offset1:187
	v_dual_mul_f32 v101, 0x3fb8aa3b, v72 :: v_dual_mul_f32 v94, 0x3fb8aa3b, v94
	v_exp_f32_e32 v102, v77
	v_exp_f32_e32 v99, v99
	s_delay_alu instid0(VALU_DEP_1) | instskip(NEXT) | instid1(VALU_DEP_1)
	v_exp_f32_e32 v101, v101
	v_exp_f32_e32 v94, v94
	s_waitcnt lgkmcnt(1)
	s_delay_alu instid0(TRANS32_DEP_3)
	v_fma_f32 v77, v99, v96, 0
	v_sub_f32_e32 v100, v73, v76
	ds_load_2addr_b32 v[72:73], v98 offset0:204 offset1:221
	v_fmac_f32_e32 v77, v102, v97
	v_exp_f32_e32 v97, v103
	s_waitcnt lgkmcnt(1)
	s_delay_alu instid0(VALU_DEP_1)
	v_dual_fmac_f32 v77, v101, v70 :: v_dual_sub_f32 v96, v75, v76
	ds_load_2addr_b32 v[74:75], v98 offset0:238 offset1:255
	v_sub_f32_e32 v70, v95, v76
	s_waitcnt lgkmcnt(0)
	s_barrier
	v_mul_f32_e32 v96, 0x3fb8aa3b, v96
	buffer_gl0_inv
	v_exp_f32_e32 v95, v96
	v_mul_f32_e32 v100, 0x3fb8aa3b, v100
	s_delay_alu instid0(VALU_DEP_1) | instskip(SKIP_3) | instid1(VALU_DEP_2)
	v_exp_f32_e32 v100, v100
	s_waitcnt_depctr 0xfff
	v_dual_fmac_f32 v77, v100, v71 :: v_dual_mul_f32 v70, 0x3fb8aa3b, v70
	v_cndmask_b32_e32 v71, v99, v102, vcc_lo
	v_fmac_f32_e32 v77, v97, v72
	s_delay_alu instid0(VALU_DEP_3) | instskip(NEXT) | instid1(VALU_DEP_1)
	v_exp_f32_e32 v96, v70
	v_fmac_f32_e32 v77, v95, v73
	s_delay_alu instid0(VALU_DEP_1) | instskip(SKIP_2) | instid1(VALU_DEP_1)
	v_fmac_f32_e32 v77, v94, v74
	s_waitcnt_depctr 0xfff
	v_fmac_f32_e32 v77, v96, v75
	v_add_f32_e32 v74, 0x358637bd, v77
	s_delay_alu instid0(VALU_DEP_1) | instskip(SKIP_1) | instid1(VALU_DEP_2)
	v_div_scale_f32 v98, null, v74, v74, 1.0
	v_div_scale_f32 v99, vcc_lo, 1.0, v74, 1.0
	v_rcp_f32_e32 v103, v98
	s_waitcnt_depctr 0xfff
	v_fma_f32 v70, -v98, v103, 1.0
	s_delay_alu instid0(VALU_DEP_1) | instskip(SKIP_2) | instid1(VALU_DEP_2)
	v_fmac_f32_e32 v103, v70, v103
	v_cndmask_b32_e64 v70, v71, v101, s3
	v_cmp_eq_u32_e64 s3, 6, v69
	v_cndmask_b32_e64 v71, v70, v100, s4
	s_delay_alu instid0(VALU_DEP_4) | instskip(NEXT) | instid1(VALU_DEP_2)
	v_dual_mul_f32 v101, v99, v103 :: v_dual_lshlrev_b32 v70, 2, v66
	v_cndmask_b32_e64 v71, v71, v97, s5
	s_delay_alu instid0(VALU_DEP_2) | instskip(NEXT) | instid1(VALU_DEP_3)
	v_or_b32_e32 v72, 1, v70
	v_fma_f32 v100, -v98, v101, v99
	v_cmp_eq_u32_e64 s4, 1, v70
	v_cmp_eq_u32_e64 s5, 2, v70
	v_cndmask_b32_e64 v95, v71, v95, s6
	v_or_b32_e32 v71, 3, v70
	v_fmac_f32_e32 v101, v100, v103
	v_cmp_eq_u32_e64 s9, 1, v72
	v_cmp_eq_u32_e64 s12, 2, v72
	v_cndmask_b32_e64 v94, v95, v94, s3
	v_cmp_eq_u32_e64 s11, 1, v71
	v_fma_f32 v97, -v98, v101, v99
	v_cmp_eq_u32_e64 s16, 2, v71
	v_cmp_eq_u32_e64 s13, 3, v72
	v_cndmask_b32_e64 v94, v94, v96, s7
	v_cmp_eq_u32_e64 s18, 3, v71
	v_div_fmas_f32 v95, v97, v103, v101
	v_cmp_eq_u32_e32 vcc_lo, 3, v70
	v_cmp_eq_u32_e64 s3, 4, v70
	v_cmp_eq_u32_e64 s19, 4, v72
	;; [unrolled: 1-line block ×3, first 2 shown]
	v_div_fixup_f32 v95, v95, v74, 1.0
	v_lshlrev_b32_e32 v73, 6, v68
	v_cmp_eq_u32_e64 s6, 5, v70
	v_cmp_eq_u32_e64 s20, 5, v72
	;; [unrolled: 1-line block ×3, first 2 shown]
	v_mul_f32_e32 v102, v94, v95
	v_lshl_or_b32 v75, v69, 11, v73
	v_or_b32_e32 v69, 2, v70
	v_cmp_eq_u32_e64 s25, 6, v72
	v_cmp_eq_u32_e64 s27, 6, v71
	v_fma_mixlo_f16 v94, v102, v79, 0
	v_fma_mixlo_f16 v95, v102, v81, 0
	;; [unrolled: 1-line block ×8, first 2 shown]
	v_lshl_or_b32 v74, v66, 4, v75
	v_fma_mixhi_f16 v94, v102, v78, 0
	v_fma_mixhi_f16 v95, v102, v80, 0
	;; [unrolled: 1-line block ×8, first 2 shown]
	ds_store_b128 v74, v[94:97]
	ds_store_b128 v74, v[98:101] offset:1024
	s_waitcnt lgkmcnt(0)
	s_barrier
	buffer_gl0_inv
	ds_load_b128 v[78:81], v75
	ds_load_b128 v[82:85], v75 offset:16
	ds_load_b128 v[86:89], v75 offset:1024
	;; [unrolled: 1-line block ×3, first 2 shown]
	v_cmp_eq_u32_e64 s10, 1, v69
	v_cmp_eq_u32_e64 s15, 2, v69
	;; [unrolled: 1-line block ×11, first 2 shown]
	s_waitcnt lgkmcnt(3)
	v_lshrrev_b32_e32 v94, 16, v78
	s_waitcnt lgkmcnt(2)
	v_lshrrev_b32_e32 v98, 16, v82
	s_waitcnt lgkmcnt(1)
	v_lshrrev_b32_e32 v102, 16, v86
	s_waitcnt lgkmcnt(0)
	v_lshrrev_b32_e32 v106, 16, v90
	v_lshrrev_b32_e32 v95, 16, v79
	v_cndmask_b32_e64 v110, v78, v94, s4
	v_cndmask_b32_e64 v111, v82, v98, s4
	;; [unrolled: 1-line block ×8, first 2 shown]
	v_lshrrev_b32_e32 v99, 16, v83
	v_cndmask_b32_e64 v94, v86, v102, s4
	v_cndmask_b32_e64 v98, v90, v106, s4
	;; [unrolled: 1-line block ×15, first 2 shown]
	v_lshrrev_b32_e32 v103, 16, v87
	v_lshrrev_b32_e32 v107, 16, v91
	v_cndmask_b32_e64 v113, v115, v83, s15
	v_cndmask_b32_e64 v82, v94, v87, s5
	v_cndmask_b32_e64 v83, v98, v91, s5
	v_cndmask_b32_e64 v94, v116, v87, s12
	v_cndmask_b32_e64 v98, v118, v87, s15
	v_cndmask_b32_e64 v86, v86, v87, s16
	v_cndmask_b32_e64 v87, v90, v91, s16
	v_cndmask_b32_e32 v90, v102, v95, vcc_lo
	v_cndmask_b32_e32 v102, v106, v99, vcc_lo
	v_cndmask_b32_e64 v106, v110, v95, s13
	v_cndmask_b32_e64 v110, v111, v99, s13
	;; [unrolled: 1-line block ×4, first 2 shown]
	v_lshrrev_b32_e32 v96, 16, v80
	v_lshrrev_b32_e32 v100, 16, v84
	v_cndmask_b32_e64 v111, v112, v95, s17
	v_cndmask_b32_e64 v112, v113, v99, s17
	v_cndmask_b32_e32 v82, v82, v103, vcc_lo
	v_cndmask_b32_e32 v83, v83, v107, vcc_lo
	v_cndmask_b32_e64 v94, v94, v103, s13
	v_cndmask_b32_e64 v90, v90, v80, s3
	;; [unrolled: 1-line block ×7, first 2 shown]
	v_lshrrev_b32_e32 v104, 16, v88
	v_cndmask_b32_e64 v106, v111, v80, s21
	v_cndmask_b32_e64 v110, v112, v84, s21
	v_cndmask_b32_e64 v80, v82, v88, s3
	v_cndmask_b32_e64 v82, v83, v92, s3
	v_cndmask_b32_e64 v83, v94, v88, s19
	v_cndmask_b32_e64 v84, v90, v96, s6
	v_cndmask_b32_e64 v90, v95, v100, s6
	v_cndmask_b32_e64 v94, v99, v96, s20
	v_cndmask_b32_e64 v95, v102, v100, s20
	v_cndmask_b32_e64 v78, v78, v96, s24
	v_cndmask_b32_e64 v79, v79, v100, s24
	v_lshrrev_b32_e32 v97, 16, v81
	v_lshrrev_b32_e32 v101, 16, v85
	v_cndmask_b32_e64 v99, v106, v96, s23
	v_cndmask_b32_e64 v102, v110, v100, s23
	;; [unrolled: 1-line block ×7, first 2 shown]
	v_lshrrev_b32_e32 v105, 16, v89
	v_cndmask_b32_e64 v80, v80, v104, s6
	v_cndmask_b32_e64 v84, v84, v81, s7
	;; [unrolled: 1-line block ×16, first 2 shown]
	v_perm_b32 v81, v79, v78, 0x5040100
	v_perm_b32 v79, v95, v85, 0x5040100
	v_cndmask_b32_e64 v78, v119, v91, s15
	v_cndmask_b32_e64 v85, v117, v91, s12
	;; [unrolled: 1-line block ×3, first 2 shown]
	v_perm_b32 v80, v94, v90, 0x5040100
	v_cndmask_b32_e64 v90, v98, v103, s17
	v_cndmask_b32_e64 v86, v86, v103, s18
	;; [unrolled: 1-line block ×5, first 2 shown]
	v_lshrrev_b32_e32 v108, 16, v92
	v_cndmask_b32_e64 v90, v90, v88, s21
	v_cndmask_b32_e64 v86, v86, v88, s22
	;; [unrolled: 1-line block ×11, first 2 shown]
	v_lshrrev_b32_e32 v109, 16, v93
	v_cndmask_b32_e64 v82, v82, v93, s7
	v_cndmask_b32_e64 v88, v88, v89, s26
	;; [unrolled: 1-line block ×12, first 2 shown]
	v_perm_b32 v78, v84, v83, 0x5040100
	v_perm_b32 v85, v87, v86, 0x5040100
	;; [unrolled: 1-line block ×5, first 2 shown]
	s_mul_i32 s8, s33, 13
	s_mov_b32 s3, exec_lo
	ds_store_b128 v74, v[78:81]
	ds_store_b128 v74, v[82:85] offset:1024
	v_cmpx_gt_u32_e32 13, v0
	s_cbranch_execz .LBB1042_14
; %bb.13:
	s_mul_i32 s4, s8, s34
	s_delay_alu instid0(SALU_CYCLE_1) | instskip(SKIP_1) | instid1(VALU_DEP_1)
	v_add3_u32 v68, s4, s31, v68
	s_load_b128 s[4:7], s[0:1], 0x58
	v_mad_u64_u32 v[78:79], null, v68, s35, s[14:15]
	s_delay_alu instid0(VALU_DEP_1) | instskip(NEXT) | instid1(VALU_DEP_1)
	v_ashrrev_i32_e32 v79, 31, v78
	v_lshlrev_b64 v[78:79], 2, v[78:79]
	s_waitcnt lgkmcnt(0)
	s_delay_alu instid0(VALU_DEP_1) | instskip(NEXT) | instid1(VALU_DEP_2)
	v_add_co_u32 v80, vcc_lo, s6, v78
	v_add_co_ci_u32_e32 v81, vcc_lo, s7, v79, vcc_lo
	v_add_co_u32 v78, vcc_lo, s4, v78
	v_add_co_ci_u32_e32 v79, vcc_lo, s5, v79, vcc_lo
	global_store_b32 v[80:81], v76, off
	global_store_b32 v[78:79], v77, off
.LBB1042_14:
	s_or_b32 exec_lo, exec_lo, s3
	s_waitcnt lgkmcnt(0)
	s_waitcnt_vscnt null, 0x0
	s_barrier
	buffer_gl0_inv
	ds_load_b128 v[84:87], v73
	ds_load_b128 v[88:91], v73 offset:16
	ds_load_b128 v[96:99], v73 offset:2064
	;; [unrolled: 1-line block ×5, first 2 shown]
	v_cmp_eq_u32_e32 vcc_lo, 1, v70
	v_mov_b32_e32 v76, 0
	ds_load_b128 v[112:115], v73 offset:6160
	ds_load_b128 v[108:111], v73 offset:6144
	;; [unrolled: 1-line block ×4, first 2 shown]
	v_cmp_eq_u32_e64 s4, 1, v69
	v_cmp_eq_u32_e64 s3, 1, v72
	;; [unrolled: 1-line block ×3, first 2 shown]
	v_mov_b32_e32 v77, v76
	v_mov_b32_e32 v78, v76
	v_mov_b32_e32 v79, v76
	v_mov_b32_e32 v80, v76
	v_mov_b32_e32 v81, v76
	v_mov_b32_e32 v82, v76
	v_mov_b32_e32 v83, v76
	v_cmp_eq_u32_e64 s6, 3, v72
	v_cmp_eq_u32_e64 s7, 7, v72
	s_waitcnt lgkmcnt(8)
	s_delay_alu instid0(VALU_DEP_3)
	v_wmma_f32_16x16x16_f16 v[76:83], v[49:56], v[84:91], v[76:83]
	ds_load_b128 v[53:56], v73 offset:10256
	ds_load_b128 v[49:52], v73 offset:10240
	s_waitcnt lgkmcnt(8)
	v_wmma_f32_16x16x16_f16 v[76:83], v[41:48], v[92:99], v[76:83]
	ds_load_b128 v[45:48], v73 offset:12304
	ds_load_b128 v[41:44], v73 offset:12288
	s_waitcnt lgkmcnt(8)
	;; [unrolled: 4-line block ×3, first 2 shown]
	s_barrier
	buffer_gl0_inv
	v_wmma_f32_16x16x16_f16 v[76:83], v[1:8], v[108:115], v[76:83]
	s_delay_alu instid0(VALU_DEP_1) | instskip(NEXT) | instid1(VALU_DEP_1)
	v_wmma_f32_16x16x16_f16 v[76:83], v[9:16], v[116:123], v[76:83]
	v_wmma_f32_16x16x16_f16 v[76:83], v[17:24], v[49:56], v[76:83]
	s_delay_alu instid0(VALU_DEP_1) | instskip(NEXT) | instid1(VALU_DEP_1)
	v_wmma_f32_16x16x16_f16 v[76:83], v[25:32], v[41:48], v[76:83]
	v_wmma_f32_16x16x16_f16 v[76:83], v[57:64], v[33:40], v[76:83]
	s_delay_alu instid0(VALU_DEP_1) | instskip(NEXT) | instid1(VALU_DEP_2)
	v_cvt_f16_f32_e32 v1, v76
	v_cvt_f16_f32_e32 v2, v77
	s_delay_alu instid0(VALU_DEP_3) | instskip(NEXT) | instid1(VALU_DEP_4)
	v_cvt_f16_f32_e32 v3, v78
	v_cvt_f16_f32_e32 v4, v79
	v_cvt_f16_f32_e32 v5, v80
	v_cvt_f16_f32_e32 v6, v81
	v_cvt_f16_f32_e32 v7, v82
	v_cvt_f16_f32_e32 v8, v83
	v_pack_b32_f16 v1, v1, v2
	v_pack_b32_f16 v2, v3, v4
	v_pack_b32_f16 v3, v5, v6
	s_delay_alu instid0(VALU_DEP_4)
	v_pack_b32_f16 v4, v7, v8
	ds_store_b128 v74, v[1:4]
	s_waitcnt lgkmcnt(0)
	s_barrier
	buffer_gl0_inv
	ds_load_b128 v[1:4], v75
	ds_load_b128 v[5:8], v75 offset:16
	s_waitcnt lgkmcnt(1)
	v_lshrrev_b32_e32 v9, 16, v1
	s_waitcnt lgkmcnt(0)
	v_lshrrev_b32_e32 v13, 16, v5
	v_lshrrev_b32_e32 v10, 16, v2
	;; [unrolled: 1-line block ×4, first 2 shown]
	v_cndmask_b32_e32 v17, v1, v9, vcc_lo
	v_cndmask_b32_e32 v18, v5, v13, vcc_lo
	v_cndmask_b32_e64 v21, v1, v9, s4
	v_cmp_eq_u32_e32 vcc_lo, 1, v71
	v_cndmask_b32_e64 v22, v5, v13, s4
	v_cmp_eq_u32_e64 s4, 2, v70
	v_cndmask_b32_e64 v19, v1, v9, s3
	v_cndmask_b32_e64 v20, v5, v13, s3
	v_cndmask_b32_e32 v1, v1, v9, vcc_lo
	v_cmp_eq_u32_e64 s3, 2, v71
	v_cndmask_b32_e32 v5, v5, v13, vcc_lo
	v_cndmask_b32_e64 v9, v17, v2, s4
	v_cmp_eq_u32_e32 vcc_lo, 3, v70
	v_cndmask_b32_e64 v13, v18, v6, s4
	v_cmp_eq_u32_e64 s4, 2, v69
	v_cndmask_b32_e64 v17, v19, v2, s5
	v_cndmask_b32_e64 v18, v20, v6, s5
	v_cmp_eq_u32_e64 s5, 3, v69
	v_cndmask_b32_e64 v1, v1, v2, s3
	v_cndmask_b32_e64 v19, v21, v2, s4
	;; [unrolled: 1-line block ×4, first 2 shown]
	v_cndmask_b32_e32 v5, v9, v10, vcc_lo
	v_cndmask_b32_e32 v6, v13, v14, vcc_lo
	v_cmp_eq_u32_e32 vcc_lo, 3, v71
	v_cndmask_b32_e64 v9, v17, v10, s6
	v_cndmask_b32_e64 v13, v18, v14, s6
	;; [unrolled: 1-line block ×3, first 2 shown]
	v_cmp_eq_u32_e64 s4, 4, v70
	v_cndmask_b32_e32 v1, v1, v10, vcc_lo
	v_cndmask_b32_e32 v2, v2, v14, vcc_lo
	v_cmp_eq_u32_e32 vcc_lo, 4, v72
	v_lshrrev_b32_e32 v15, 16, v7
	v_lshrrev_b32_e32 v16, 16, v8
	v_cndmask_b32_e64 v17, v19, v10, s5
	v_cmp_eq_u32_e64 s3, 4, v71
	v_cndmask_b32_e64 v5, v5, v3, s4
	v_cndmask_b32_e64 v6, v6, v7, s4
	v_cndmask_b32_e32 v9, v9, v3, vcc_lo
	v_cmp_eq_u32_e64 s4, 5, v72
	v_cndmask_b32_e32 v10, v13, v7, vcc_lo
	v_cmp_eq_u32_e32 vcc_lo, 4, v69
	v_cmp_eq_u32_e64 s5, 5, v70
	v_cndmask_b32_e64 v2, v2, v7, s3
	v_cndmask_b32_e64 v9, v9, v11, s4
	;; [unrolled: 1-line block ×3, first 2 shown]
	v_cndmask_b32_e32 v13, v17, v3, vcc_lo
	v_cmp_eq_u32_e64 s4, 5, v69
	v_cndmask_b32_e32 v14, v18, v7, vcc_lo
	v_cndmask_b32_e64 v1, v1, v3, s3
	v_cmp_eq_u32_e32 vcc_lo, 5, v71
	v_lshrrev_b32_e32 v12, 16, v4
	v_cndmask_b32_e64 v13, v13, v11, s4
	v_cndmask_b32_e64 v3, v14, v15, s4
	v_cmp_eq_u32_e64 s4, 6, v71
	v_cndmask_b32_e32 v1, v1, v11, vcc_lo
	v_cndmask_b32_e64 v5, v5, v11, s5
	v_cmp_eq_u32_e64 s6, 6, v70
	v_cndmask_b32_e64 v6, v6, v15, s5
	v_cmp_eq_u32_e64 s5, 6, v72
	v_cmp_eq_u32_e64 s3, 6, v69
	v_cndmask_b32_e64 v1, v1, v4, s4
	v_cndmask_b32_e32 v2, v2, v15, vcc_lo
	v_cmp_eq_u32_e32 vcc_lo, 7, v71
	v_cndmask_b32_e64 v5, v5, v4, s6
	v_cndmask_b32_e64 v9, v9, v4, s5
	;; [unrolled: 1-line block ×3, first 2 shown]
	v_cmp_eq_u32_e64 s6, 7, v70
	v_cndmask_b32_e32 v1, v1, v12, vcc_lo
	v_cndmask_b32_e64 v7, v13, v4, s3
	v_cndmask_b32_e64 v3, v3, v8, s3
	;; [unrolled: 1-line block ×3, first 2 shown]
	v_cmp_eq_u32_e64 s3, 7, v69
	v_cndmask_b32_e64 v4, v10, v8, s5
	v_cndmask_b32_e64 v5, v5, v12, s6
	;; [unrolled: 1-line block ×3, first 2 shown]
	v_cndmask_b32_e32 v2, v2, v16, vcc_lo
	v_cndmask_b32_e64 v7, v7, v12, s3
	v_cndmask_b32_e64 v3, v3, v16, s3
	;; [unrolled: 1-line block ×4, first 2 shown]
	v_perm_b32 v4, v2, v1, 0x5040100
	s_mov_b32 s3, exec_lo
	v_perm_b32 v3, v3, v7, 0x5040100
	v_perm_b32 v2, v8, v9, 0x5040100
	;; [unrolled: 1-line block ×3, first 2 shown]
	ds_store_b128 v74, v[1:4]
	s_waitcnt lgkmcnt(0)
	s_barrier
	buffer_gl0_inv
	v_cmpx_gt_u32_e32 32, v0
	s_cbranch_execz .LBB1042_2
; %bb.15:
	s_load_b64 s[4:5], s[0:1], 0x68
	v_lshlrev_b32_e32 v0, 10, v0
	v_lshlrev_b32_e32 v1, 4, v67
	s_lshl_b32 s0, s35, 7
	v_add_nc_u32_e32 v18, s31, v66
	s_mul_i32 s1, s0, s34
	s_delay_alu instid0(VALU_DEP_2) | instskip(SKIP_1) | instid1(VALU_DEP_2)
	v_and_or_b32 v0, 0x3800, v0, v1
	s_mul_i32 s6, s1, s8
	v_mul_lo_u32 v1, v18, s0
	s_ashr_i32 s7, s6, 31
	v_add_nc_u32_e32 v2, 2, v18
	v_lshl_or_b32 v19, v66, 6, v0
	s_lshl_b64 s[6:7], s[6:7], 1
	v_add_nc_u32_e32 v8, 4, v18
	v_add_nc_u32_e32 v15, 6, v18
	v_mul_lo_u32 v7, v2, s0
	ds_load_b128 v[3:6], v19
	v_ashrrev_i32_e32 v2, 31, v1
	v_mul_lo_u32 v11, v8, s0
	s_waitcnt lgkmcnt(0)
	s_add_u32 s1, s4, s6
	s_addc_u32 s3, s5, s7
	s_lshl_b32 s4, s14, 7
	v_lshlrev_b64 v[9:10], 1, v[1:2]
	s_ashr_i32 s5, s4, 31
	v_ashrrev_i32_e32 v8, 31, v7
	s_lshl_b64 s[4:5], s[4:5], 1
	v_ashrrev_i32_e32 v12, 31, v11
	s_add_u32 s1, s1, s4
	s_addc_u32 s3, s3, s5
	v_add_co_u32 v1, s1, s1, v65
	s_delay_alu instid0(VALU_DEP_1) | instskip(SKIP_1) | instid1(VALU_DEP_3)
	v_add_co_ci_u32_e64 v2, null, s3, 0, s1
	v_mul_lo_u32 v15, v15, s0
	v_add_co_u32 v13, vcc_lo, v1, v9
	s_delay_alu instid0(VALU_DEP_3)
	v_add_co_ci_u32_e32 v14, vcc_lo, v2, v10, vcc_lo
	v_lshlrev_b64 v[16:17], 1, v[7:8]
	ds_load_b128 v[7:10], v19 offset:128
	global_store_b128 v[13:14], v[3:6], off
	v_add_nc_u32_e32 v5, 8, v18
	v_lshlrev_b64 v[3:4], 1, v[11:12]
	v_add_co_u32 v23, vcc_lo, v1, v16
	v_ashrrev_i32_e32 v16, 31, v15
	s_delay_alu instid0(VALU_DEP_4) | instskip(SKIP_3) | instid1(VALU_DEP_3)
	v_mul_lo_u32 v25, v5, s0
	v_add_nc_u32_e32 v5, 10, v18
	v_add_co_ci_u32_e32 v24, vcc_lo, v2, v17, vcc_lo
	v_add_co_u32 v27, vcc_lo, v1, v3
	v_mul_lo_u32 v29, v5, s0
	v_add_co_ci_u32_e32 v28, vcc_lo, v2, v4, vcc_lo
	v_lshlrev_b64 v[31:32], 1, v[15:16]
	ds_load_b128 v[3:6], v19 offset:256
	ds_load_b128 v[11:14], v19 offset:384
	;; [unrolled: 1-line block ×4, first 2 shown]
	v_ashrrev_i32_e32 v26, 31, v25
	v_ashrrev_i32_e32 v30, 31, v29
	v_add_co_u32 v31, vcc_lo, v1, v31
	s_delay_alu instid0(VALU_DEP_3) | instskip(SKIP_1) | instid1(VALU_DEP_4)
	v_lshlrev_b64 v[25:26], 1, v[25:26]
	v_add_co_ci_u32_e32 v32, vcc_lo, v2, v32, vcc_lo
	v_lshlrev_b64 v[29:30], 1, v[29:30]
	s_delay_alu instid0(VALU_DEP_3) | instskip(NEXT) | instid1(VALU_DEP_4)
	v_add_co_u32 v25, vcc_lo, v1, v25
	v_add_co_ci_u32_e32 v26, vcc_lo, v2, v26, vcc_lo
	s_delay_alu instid0(VALU_DEP_3) | instskip(NEXT) | instid1(VALU_DEP_4)
	v_add_co_u32 v29, vcc_lo, v1, v29
	v_add_co_ci_u32_e32 v30, vcc_lo, v2, v30, vcc_lo
	s_waitcnt lgkmcnt(4)
	global_store_b128 v[23:24], v[7:10], off
	s_waitcnt lgkmcnt(3)
	global_store_b128 v[27:28], v[3:6], off
	;; [unrolled: 2-line block ×5, first 2 shown]
	s_and_b32 exec_lo, exec_lo, s2
	s_cbranch_execz .LBB1042_2
; %bb.16:
	ds_load_b128 v[3:6], v0 offset:768
	s_add_i32 s1, s31, 12
	s_delay_alu instid0(SALU_CYCLE_1) | instskip(NEXT) | instid1(SALU_CYCLE_1)
	s_mul_i32 s0, s1, s0
	s_ashr_i32 s1, s0, 31
	s_delay_alu instid0(SALU_CYCLE_1) | instskip(NEXT) | instid1(SALU_CYCLE_1)
	s_lshl_b64 s[0:1], s[0:1], 1
	v_add_co_u32 v0, vcc_lo, v1, s0
	v_add_co_ci_u32_e32 v1, vcc_lo, s1, v2, vcc_lo
	s_waitcnt lgkmcnt(0)
	global_store_b128 v[0:1], v[3:6], off
	s_nop 0
	s_sendmsg sendmsg(MSG_DEALLOC_VGPRS)
	s_endpgm
	.section	.rodata,"a",@progbits
	.p2align	6, 0x0
	.amdhsa_kernel _Z39paged_attention_ll4mi_QKV_mfma16_kernelIDF16_hLN4vllm18Fp8KVCacheDataTypeE1EhLi32ELi128ELi256ELb0ELi13EL8MFMAType1EEvPKT_PKT0_S8_ifPKiSA_SA_iPKfiiiPfSD_PS3_PT2_iSC_SC_
		.amdhsa_group_segment_fixed_size 17472
		.amdhsa_private_segment_fixed_size 0
		.amdhsa_kernarg_size 400
		.amdhsa_user_sgpr_count 13
		.amdhsa_user_sgpr_dispatch_ptr 0
		.amdhsa_user_sgpr_queue_ptr 0
		.amdhsa_user_sgpr_kernarg_segment_ptr 1
		.amdhsa_user_sgpr_dispatch_id 0
		.amdhsa_user_sgpr_private_segment_size 0
		.amdhsa_wavefront_size32 1
		.amdhsa_uses_dynamic_stack 0
		.amdhsa_enable_private_segment 0
		.amdhsa_system_sgpr_workgroup_id_x 1
		.amdhsa_system_sgpr_workgroup_id_y 1
		.amdhsa_system_sgpr_workgroup_id_z 1
		.amdhsa_system_sgpr_workgroup_info 0
		.amdhsa_system_vgpr_workitem_id 0
		.amdhsa_next_free_vgpr 150
		.amdhsa_next_free_sgpr 37
		.amdhsa_reserve_vcc 1
		.amdhsa_float_round_mode_32 0
		.amdhsa_float_round_mode_16_64 0
		.amdhsa_float_denorm_mode_32 3
		.amdhsa_float_denorm_mode_16_64 3
		.amdhsa_dx10_clamp 1
		.amdhsa_ieee_mode 1
		.amdhsa_fp16_overflow 0
		.amdhsa_workgroup_processor_mode 1
		.amdhsa_memory_ordered 1
		.amdhsa_forward_progress 0
		.amdhsa_shared_vgpr_count 0
		.amdhsa_exception_fp_ieee_invalid_op 0
		.amdhsa_exception_fp_denorm_src 0
		.amdhsa_exception_fp_ieee_div_zero 0
		.amdhsa_exception_fp_ieee_overflow 0
		.amdhsa_exception_fp_ieee_underflow 0
		.amdhsa_exception_fp_ieee_inexact 0
		.amdhsa_exception_int_div_zero 0
	.end_amdhsa_kernel
	.section	.text._Z39paged_attention_ll4mi_QKV_mfma16_kernelIDF16_hLN4vllm18Fp8KVCacheDataTypeE1EhLi32ELi128ELi256ELb0ELi13EL8MFMAType1EEvPKT_PKT0_S8_ifPKiSA_SA_iPKfiiiPfSD_PS3_PT2_iSC_SC_,"axG",@progbits,_Z39paged_attention_ll4mi_QKV_mfma16_kernelIDF16_hLN4vllm18Fp8KVCacheDataTypeE1EhLi32ELi128ELi256ELb0ELi13EL8MFMAType1EEvPKT_PKT0_S8_ifPKiSA_SA_iPKfiiiPfSD_PS3_PT2_iSC_SC_,comdat
.Lfunc_end1042:
	.size	_Z39paged_attention_ll4mi_QKV_mfma16_kernelIDF16_hLN4vllm18Fp8KVCacheDataTypeE1EhLi32ELi128ELi256ELb0ELi13EL8MFMAType1EEvPKT_PKT0_S8_ifPKiSA_SA_iPKfiiiPfSD_PS3_PT2_iSC_SC_, .Lfunc_end1042-_Z39paged_attention_ll4mi_QKV_mfma16_kernelIDF16_hLN4vllm18Fp8KVCacheDataTypeE1EhLi32ELi128ELi256ELb0ELi13EL8MFMAType1EEvPKT_PKT0_S8_ifPKiSA_SA_iPKfiiiPfSD_PS3_PT2_iSC_SC_
                                        ; -- End function
	.section	.AMDGPU.csdata,"",@progbits
; Kernel info:
; codeLenInByte = 6860
; NumSgprs: 39
; NumVgprs: 150
; ScratchSize: 0
; MemoryBound: 0
; FloatMode: 240
; IeeeMode: 1
; LDSByteSize: 17472 bytes/workgroup (compile time only)
; SGPRBlocks: 4
; VGPRBlocks: 18
; NumSGPRsForWavesPerEU: 39
; NumVGPRsForWavesPerEU: 150
; Occupancy: 9
; WaveLimiterHint : 1
; COMPUTE_PGM_RSRC2:SCRATCH_EN: 0
; COMPUTE_PGM_RSRC2:USER_SGPR: 13
; COMPUTE_PGM_RSRC2:TRAP_HANDLER: 0
; COMPUTE_PGM_RSRC2:TGID_X_EN: 1
; COMPUTE_PGM_RSRC2:TGID_Y_EN: 1
; COMPUTE_PGM_RSRC2:TGID_Z_EN: 1
; COMPUTE_PGM_RSRC2:TIDIG_COMP_CNT: 0
	.section	.text._Z39paged_attention_ll4mi_QKV_mfma16_kernelIDF16_hLN4vllm18Fp8KVCacheDataTypeE1EhLi32ELi128ELi256ELb0ELi14EL8MFMAType1EEvPKT_PKT0_S8_ifPKiSA_SA_iPKfiiiPfSD_PS3_PT2_iSC_SC_,"axG",@progbits,_Z39paged_attention_ll4mi_QKV_mfma16_kernelIDF16_hLN4vllm18Fp8KVCacheDataTypeE1EhLi32ELi128ELi256ELb0ELi14EL8MFMAType1EEvPKT_PKT0_S8_ifPKiSA_SA_iPKfiiiPfSD_PS3_PT2_iSC_SC_,comdat
	.protected	_Z39paged_attention_ll4mi_QKV_mfma16_kernelIDF16_hLN4vllm18Fp8KVCacheDataTypeE1EhLi32ELi128ELi256ELb0ELi14EL8MFMAType1EEvPKT_PKT0_S8_ifPKiSA_SA_iPKfiiiPfSD_PS3_PT2_iSC_SC_ ; -- Begin function _Z39paged_attention_ll4mi_QKV_mfma16_kernelIDF16_hLN4vllm18Fp8KVCacheDataTypeE1EhLi32ELi128ELi256ELb0ELi14EL8MFMAType1EEvPKT_PKT0_S8_ifPKiSA_SA_iPKfiiiPfSD_PS3_PT2_iSC_SC_
	.globl	_Z39paged_attention_ll4mi_QKV_mfma16_kernelIDF16_hLN4vllm18Fp8KVCacheDataTypeE1EhLi32ELi128ELi256ELb0ELi14EL8MFMAType1EEvPKT_PKT0_S8_ifPKiSA_SA_iPKfiiiPfSD_PS3_PT2_iSC_SC_
	.p2align	8
	.type	_Z39paged_attention_ll4mi_QKV_mfma16_kernelIDF16_hLN4vllm18Fp8KVCacheDataTypeE1EhLi32ELi128ELi256ELb0ELi14EL8MFMAType1EEvPKT_PKT0_S8_ifPKiSA_SA_iPKfiiiPfSD_PS3_PT2_iSC_SC_,@function
_Z39paged_attention_ll4mi_QKV_mfma16_kernelIDF16_hLN4vllm18Fp8KVCacheDataTypeE1EhLi32ELi128ELi256ELb0ELi14EL8MFMAType1EEvPKT_PKT0_S8_ifPKiSA_SA_iPKfiiiPfSD_PS3_PT2_iSC_SC_: ; @_Z39paged_attention_ll4mi_QKV_mfma16_kernelIDF16_hLN4vllm18Fp8KVCacheDataTypeE1EhLi32ELi128ELi256ELb0ELi14EL8MFMAType1EEvPKT_PKT0_S8_ifPKiSA_SA_iPKfiiiPfSD_PS3_PT2_iSC_SC_
; %bb.0:
	s_load_b64 s[4:5], s[0:1], 0x30
	s_mov_b32 s30, s13
	s_waitcnt lgkmcnt(0)
	s_cmp_lg_u64 s[4:5], 0
	s_cselect_b32 s8, -1, 0
	s_ashr_i32 s31, s13, 31
	s_cmp_eq_u64 s[4:5], 0
	s_cbranch_scc1 .LBB1043_3
; %bb.1:
	s_lshl_b64 s[2:3], s[30:31], 2
	s_delay_alu instid0(SALU_CYCLE_1) | instskip(SKIP_4) | instid1(SALU_CYCLE_1)
	s_add_u32 s2, s4, s2
	s_addc_u32 s3, s5, s3
	s_load_b64 s[2:3], s[2:3], 0x0
	s_waitcnt lgkmcnt(0)
	s_sub_i32 s2, s3, s2
	s_cmp_eq_u32 s2, 1
	s_cselect_b32 s2, -1, 0
	s_delay_alu instid0(SALU_CYCLE_1)
	s_and_not1_b32 vcc_lo, exec_lo, s2
	s_cbranch_vccz .LBB1043_4
.LBB1043_2:
	s_endpgm
.LBB1043_3:
.LBB1043_4:
	s_load_b64 s[2:3], s[0:1], 0x28
	s_lshl_b64 s[6:7], s[30:31], 2
	s_waitcnt lgkmcnt(0)
	s_add_u32 s2, s2, s6
	s_addc_u32 s3, s3, s7
	s_lshl_b32 s12, s14, 8
	s_load_b32 s24, s[2:3], 0x0
	s_waitcnt lgkmcnt(0)
	s_cmp_ge_i32 s12, s24
	s_cbranch_scc1 .LBB1043_2
; %bb.5:
	s_clause 0x1
	s_load_b128 s[20:23], s[0:1], 0x8
	s_load_b64 s[2:3], s[0:1], 0x20
	s_and_not1_b32 vcc_lo, exec_lo, s8
	s_cbranch_vccnz .LBB1043_7
; %bb.6:
	s_add_u32 s4, s4, s6
	s_addc_u32 s5, s5, s7
	s_load_b32 s5, s[4:5], 0x0
	s_branch .LBB1043_8
.LBB1043_7:
	s_mov_b32 s5, s30
.LBB1043_8:
	s_load_b128 s[16:19], s[0:1], 0x48
	v_and_b32_e32 v68, 15, v0
	v_lshrrev_b32_e32 v69, 5, v0
	v_and_b32_e32 v70, 31, v0
	v_and_b32_e32 v67, 1, v0
	v_bfe_u32 v66, v0, 4, 1
	v_lshlrev_b32_e32 v1, 3, v68
	s_mul_i32 s31, s15, 14
	s_mov_b32 s4, exec_lo
	s_delay_alu instid0(VALU_DEP_1)
	v_lshlrev_b32_e32 v65, 1, v1
	v_cmpx_gt_u32_e32 0xe0, v0
	s_cbranch_execz .LBB1043_10
; %bb.9:
	s_load_b64 s[6:7], s[0:1], 0x0
	v_lshl_or_b32 v5, v69, 1, v66
	s_waitcnt lgkmcnt(0)
	s_mul_hi_i32 s9, s5, s16
	s_mul_i32 s8, s5, s16
	v_lshlrev_b32_e32 v6, 10, v68
	s_lshl_b64 s[8:9], s[8:9], 1
	v_add_lshl_u32 v1, v5, s31, 7
	v_lshlrev_b32_e32 v5, 6, v5
	v_lshlrev_b32_e32 v7, 10, v67
	v_and_b32_e32 v6, 0x3800, v6
	s_delay_alu instid0(VALU_DEP_4) | instskip(NEXT) | instid1(VALU_DEP_2)
	v_ashrrev_i32_e32 v2, 31, v1
	v_or3_b32 v5, v6, v7, v5
	s_delay_alu instid0(VALU_DEP_2) | instskip(SKIP_2) | instid1(VALU_DEP_1)
	v_lshlrev_b64 v[1:2], 1, v[1:2]
	s_add_u32 s5, s6, s8
	s_addc_u32 s6, s7, s9
	v_add_co_u32 v1, vcc_lo, s5, v1
	s_delay_alu instid0(VALU_DEP_2) | instskip(NEXT) | instid1(VALU_DEP_2)
	v_add_co_ci_u32_e32 v2, vcc_lo, s6, v2, vcc_lo
	v_add_co_u32 v1, vcc_lo, v1, v65
	s_delay_alu instid0(VALU_DEP_2)
	v_add_co_ci_u32_e32 v2, vcc_lo, 0, v2, vcc_lo
	global_load_b128 v[1:4], v[1:2], off
	s_waitcnt vmcnt(0)
	ds_store_b128 v5, v[1:4]
.LBB1043_10:
	s_or_b32 exec_lo, exec_lo, s4
	v_and_b32_e32 v1, 0xef, v0
	s_waitcnt lgkmcnt(0)
	s_add_i32 s5, s24, 31
	s_clause 0x1
	s_load_b32 s4, s[0:1], 0x38
	s_load_b32 s33, s[0:1], 0x98
	s_ashr_i32 s6, s5, 31
	v_add_nc_u32_e32 v1, s12, v1
	s_lshr_b32 s6, s6, 27
	s_load_b32 s19, s[0:1], 0x1c
	s_add_i32 s5, s5, s6
	s_waitcnt lgkmcnt(0)
	v_ashrrev_i32_e32 v2, 31, v1
	v_or_b32_e32 v3, 16, v1
	s_ashr_i32 s13, s5, 5
	v_cmp_gt_i32_e32 vcc_lo, s24, v1
	s_add_i32 s13, s13, -1
	v_lshrrev_b32_e32 v2, 27, v2
	s_barrier
	buffer_gl0_inv
	s_mul_i32 s15, s15, s18
	v_add_nc_u32_e32 v4, v1, v2
	s_mul_i32 s4, s30, s4
	s_delay_alu instid0(SALU_CYCLE_1) | instskip(NEXT) | instid1(VALU_DEP_1)
	s_ashr_i32 s5, s4, 31
	v_ashrrev_i32_e32 v4, 5, v4
	v_add_nc_u32_e32 v2, v3, v2
	s_lshl_b64 s[4:5], s[4:5], 2
	s_delay_alu instid0(SALU_CYCLE_1) | instskip(NEXT) | instid1(VALU_DEP_2)
	s_add_u32 s16, s2, s4
	v_cndmask_b32_e32 v1, s13, v4, vcc_lo
	s_delay_alu instid0(VALU_DEP_2)
	v_ashrrev_i32_e32 v2, 5, v2
	v_cmp_gt_i32_e32 vcc_lo, s24, v3
	s_addc_u32 s25, s3, s5
	s_ashr_i32 s18, s15, 31
	s_add_u32 s2, s20, s15
	s_addc_u32 s3, s21, s18
	v_cndmask_b32_e32 v3, s13, v2, vcc_lo
	v_ashrrev_i32_e32 v2, 31, v1
	s_lshl_b32 s4, s14, 3
	s_delay_alu instid0(SALU_CYCLE_1) | instskip(NEXT) | instid1(VALU_DEP_2)
	s_ashr_i32 s5, s4, 31
	v_ashrrev_i32_e32 v4, 31, v3
	s_delay_alu instid0(VALU_DEP_2) | instskip(SKIP_1) | instid1(SALU_CYCLE_1)
	v_lshlrev_b64 v[1:2], 2, v[1:2]
	s_lshl_b64 s[4:5], s[4:5], 2
	s_add_u32 s4, s16, s4
	s_delay_alu instid0(VALU_DEP_2) | instskip(SKIP_1) | instid1(VALU_DEP_2)
	v_lshlrev_b64 v[3:4], 2, v[3:4]
	s_addc_u32 s5, s25, s5
	v_add_co_u32 v1, vcc_lo, s16, v1
	v_add_co_ci_u32_e32 v2, vcc_lo, s25, v2, vcc_lo
	s_delay_alu instid0(VALU_DEP_3) | instskip(NEXT) | instid1(VALU_DEP_4)
	v_add_co_u32 v3, vcc_lo, s16, v3
	v_add_co_ci_u32_e32 v4, vcc_lo, s25, v4, vcc_lo
	s_clause 0x1
	global_load_b32 v5, v[1:2], off
	global_load_b32 v6, v[3:4], off
	s_or_b32 s6, s12, 32
	s_delay_alu instid0(SALU_CYCLE_1) | instskip(SKIP_2) | instid1(SALU_CYCLE_1)
	s_ashr_i32 s7, s6, 5
	s_cmp_lt_i32 s6, s24
	s_cselect_b32 s6, s7, s13
	s_ashr_i32 s7, s6, 31
	s_delay_alu instid0(SALU_CYCLE_1) | instskip(NEXT) | instid1(SALU_CYCLE_1)
	s_lshl_b64 s[6:7], s[6:7], 2
	s_add_u32 s6, s16, s6
	s_addc_u32 s7, s25, s7
	s_or_b32 s8, s12, 64
	s_delay_alu instid0(SALU_CYCLE_1) | instskip(SKIP_2) | instid1(SALU_CYCLE_1)
	s_ashr_i32 s9, s8, 5
	s_cmp_lt_i32 s8, s24
	s_cselect_b32 s8, s9, s13
	s_ashr_i32 s9, s8, 31
	s_delay_alu instid0(SALU_CYCLE_1) | instskip(NEXT) | instid1(SALU_CYCLE_1)
	s_lshl_b64 s[8:9], s[8:9], 2
	s_add_u32 s8, s16, s8
	s_addc_u32 s9, s25, s9
	;; [unrolled: 10-line block ×5, first 2 shown]
	s_clause 0x5
	s_load_b32 s28, s[4:5], 0x0
	s_load_b32 s29, s[6:7], 0x0
	;; [unrolled: 1-line block ×6, first 2 shown]
	s_mov_b32 s4, 0
	s_delay_alu instid0(SALU_CYCLE_1)
	s_mov_b32 s5, s4
	s_mov_b32 s6, s4
	;; [unrolled: 1-line block ×7, first 2 shown]
	s_delay_alu instid0(SALU_CYCLE_1)
	v_dual_mov_b32 v118, s11 :: v_dual_mov_b32 v117, s10
	v_dual_mov_b32 v116, s9 :: v_dual_mov_b32 v115, s8
	v_mov_b32_e32 v113, s6
	v_dual_mov_b32 v111, s4 :: v_dual_mov_b32 v114, s7
	v_mov_b32_e32 v112, s5
	s_waitcnt vmcnt(1)
	v_mad_i64_i32 v[1:2], null, v5, s17, s[2:3]
	v_lshlrev_b32_e32 v5, 4, v68
	s_waitcnt vmcnt(0)
	v_mad_i64_i32 v[3:4], null, v6, s17, s[2:3]
	s_or_b32 s2, s12, 0xc0
	s_delay_alu instid0(SALU_CYCLE_1) | instskip(NEXT) | instid1(VALU_DEP_3)
	s_ashr_i32 s3, s2, 5
	v_add_co_u32 v1, vcc_lo, v1, v5
	s_delay_alu instid0(VALU_DEP_4) | instskip(NEXT) | instid1(VALU_DEP_3)
	v_add_co_ci_u32_e32 v2, vcc_lo, 0, v2, vcc_lo
	v_add_co_u32 v3, vcc_lo, v3, v5
	s_delay_alu instid0(VALU_DEP_4)
	v_add_co_ci_u32_e32 v4, vcc_lo, 0, v4, vcc_lo
	s_clause 0xf
	global_load_b128 v[17:20], v[1:2], off
	global_load_b128 v[21:24], v[1:2], off offset:512
	global_load_b128 v[25:28], v[3:4], off offset:256
	;; [unrolled: 1-line block ×15, first 2 shown]
	s_cmp_lt_i32 s2, s24
	v_add_nc_u32_e32 v1, -14, v68
	s_cselect_b32 s2, s3, s13
	v_cmp_gt_u32_e32 vcc_lo, 14, v68
	s_ashr_i32 s3, s2, 31
	v_lshlrev_b32_e32 v2, 5, v68
	s_lshl_b64 s[2:3], s[2:3], 2
	s_delay_alu instid0(SALU_CYCLE_1)
	s_add_u32 s2, s16, s2
	s_addc_u32 s3, s25, s3
	s_or_b32 s20, s12, 0xe0
	v_cndmask_b32_e32 v1, v1, v68, vcc_lo
	s_ashr_i32 s21, s20, 5
	s_cmp_lt_i32 s20, s24
	s_cselect_b32 s20, s21, s13
	s_delay_alu instid0(VALU_DEP_1)
	v_lshlrev_b32_e32 v149, 6, v1
	s_ashr_i32 s21, s20, 31
	v_lshl_or_b32 v1, v69, 9, v2
	s_lshl_b64 s[4:5], s[20:21], 2
	ds_load_b128 v[119:122], v149
	ds_load_b128 v[123:126], v149 offset:1024
	s_add_u32 s4, s16, s4
	s_addc_u32 s5, s25, s5
	ds_load_b128 v[127:130], v149 offset:2048
	ds_load_b128 v[131:134], v149 offset:3072
	s_clause 0x1
	s_load_b32 s2, s[2:3], 0x0
	s_load_b32 s3, s[4:5], 0x0
	s_add_u32 s6, s22, s15
	s_addc_u32 s7, s23, s18
	v_add_co_u32 v135, s6, s6, v1
	s_delay_alu instid0(VALU_DEP_1) | instskip(SKIP_1) | instid1(VALU_DEP_1)
	v_add_co_ci_u32_e64 v136, null, s7, 0, s6
	s_waitcnt lgkmcnt(0)
	v_mad_i64_i32 v[1:2], null, s28, s17, v[135:136]
	v_mad_i64_i32 v[3:4], null, s29, s17, v[135:136]
	;; [unrolled: 1-line block ×6, first 2 shown]
	s_clause 0x9
	global_load_b128 v[49:52], v[1:2], off
	global_load_b128 v[53:56], v[1:2], off offset:16
	global_load_b128 v[41:44], v[3:4], off
	global_load_b128 v[45:48], v[3:4], off offset:16
	global_load_b128 v[33:36], v[5:6], off
	global_load_b128 v[37:40], v[5:6], off offset:16
	global_load_b128 v[1:4], v[7:8], off
	global_load_b128 v[5:8], v[7:8], off offset:16
	global_load_b128 v[9:12], v[13:14], off
	global_load_b128 v[13:16], v[13:14], off offset:16
	v_mad_i64_i32 v[145:146], null, s2, s17, v[135:136]
	v_mad_i64_i32 v[147:148], null, s3, s17, v[135:136]
	s_waitcnt vmcnt(24)
	v_wmma_f32_16x16x16_f16 v[135:142], v[17:24], v[119:126], v[111:118]
	s_waitcnt vmcnt(22)
	v_wmma_f32_16x16x16_f16 v[111:118], v[25:32], v[119:126], v[111:118]
	s_clause 0x3
	global_load_b128 v[17:20], v[143:144], off
	global_load_b128 v[21:24], v[143:144], off offset:16
	global_load_b128 v[25:28], v[145:146], off
	global_load_b128 v[29:32], v[145:146], off offset:16
	v_and_b32_e32 v119, 0xe0, v0
	s_waitcnt vmcnt(24)
	v_wmma_f32_16x16x16_f16 v[135:142], v[57:64], v[127:134], v[135:142]
	s_clause 0x1
	global_load_b128 v[57:60], v[147:148], off
	global_load_b128 v[61:64], v[147:148], off offset:16
	s_waitcnt vmcnt(24)
	v_wmma_f32_16x16x16_f16 v[111:118], v[71:78], v[127:134], v[111:118]
	ds_load_b128 v[71:74], v149 offset:4096
	ds_load_b128 v[75:78], v149 offset:5120
	v_add_nc_u32_e32 v128, s12, v119
	ds_load_b128 v[119:122], v149 offset:6144
	ds_load_b128 v[123:126], v149 offset:7168
	v_mbcnt_lo_u32_b32 v127, -1, 0
	s_waitcnt vmcnt(0) lgkmcnt(0)
	s_barrier
	v_or_b32_e32 v128, v128, v66
	buffer_gl0_inv
	v_xor_b32_e32 v129, 16, v127
	v_or_b32_e32 v130, 4, v128
	v_or_b32_e32 v131, 6, v128
	s_delay_alu instid0(VALU_DEP_3) | instskip(SKIP_4) | instid1(VALU_DEP_4)
	v_cmp_gt_i32_e32 vcc_lo, 32, v129
	v_or_b32_e32 v132, 8, v128
	v_or_b32_e32 v133, 10, v128
	v_cmp_gt_i32_e64 s3, s24, v130
	v_cmp_gt_i32_e64 s4, s24, v131
	v_cmp_gt_i32_e64 s5, s24, v132
	v_wmma_f32_16x16x16_f16 v[135:142], v[79:86], v[71:78], v[135:142]
	v_wmma_f32_16x16x16_f16 v[111:118], v[87:94], v[71:78], v[111:118]
	v_or_b32_e32 v79, 12, v128
	v_or_b32_e32 v80, 14, v128
	v_cmp_gt_i32_e64 s6, s24, v133
	v_wmma_f32_16x16x16_f16 v[135:142], v[95:102], v[119:126], v[135:142]
	v_wmma_f32_16x16x16_f16 v[111:118], v[103:110], v[119:126], v[111:118]
	v_cndmask_b32_e32 v127, v127, v129, vcc_lo
	v_or_b32_e32 v129, 2, v128
	v_cmp_gt_i32_e32 vcc_lo, s24, v128
	s_delay_alu instid0(VALU_DEP_4) | instskip(SKIP_1) | instid1(VALU_DEP_4)
	v_dual_mul_f32 v87, s19, v136 :: v_dual_mul_f32 v94, s19, v113
	v_mul_f32_e32 v88, s19, v135
	v_cmp_gt_i32_e64 s2, s24, v129
	v_mul_f32_e32 v78, s19, v138
	v_mul_f32_e32 v86, s19, v137
	;; [unrolled: 1-line block ×3, first 2 shown]
	v_cndmask_b32_e32 v88, 0xff7fffff, v88, vcc_lo
	v_cndmask_b32_e64 v87, 0xff7fffff, v87, s2
	v_dual_mul_f32 v77, s19, v139 :: v_dual_mul_f32 v90, s19, v117
	v_cndmask_b32_e64 v86, 0xff7fffff, v86, s3
	v_cndmask_b32_e64 v78, 0xff7fffff, v78, s4
	s_delay_alu instid0(VALU_DEP_4)
	v_max3_f32 v87, v88, 0xff7fffff, v87
	v_or_b32_e32 v81, 16, v128
	v_or_b32_e32 v82, 18, v128
	v_dual_mul_f32 v74, s19, v142 :: v_dual_mul_f32 v75, s19, v141
	v_mul_f32_e32 v96, s19, v111
	v_cndmask_b32_e64 v77, 0xff7fffff, v77, s5
	v_cndmask_b32_e64 v76, 0xff7fffff, v76, s6
	v_max3_f32 v78, v87, v86, v78
	v_cmp_gt_i32_e64 s7, s24, v79
	v_cmp_gt_i32_e64 s8, s24, v80
	v_or_b32_e32 v83, 20, v128
	v_or_b32_e32 v84, 22, v128
	v_mul_f32_e32 v95, s19, v112
	v_cndmask_b32_e64 v75, 0xff7fffff, v75, s7
	v_cndmask_b32_e64 v74, 0xff7fffff, v74, s8
	v_max3_f32 v76, v78, v77, v76
	v_cmp_gt_i32_e64 s9, s24, v81
	v_cmp_gt_i32_e64 s10, s24, v82
	v_or_b32_e32 v85, 24, v128
	v_or_b32_e32 v71, 26, v128
	;; [unrolled: 8-line block ×3, first 2 shown]
	v_dual_mul_f32 v91, s19, v116 :: v_dual_mul_f32 v92, s19, v115
	v_cndmask_b32_e64 v75, 0xff7fffff, v94, s11
	v_cndmask_b32_e64 v76, 0xff7fffff, v93, s12
	v_max3_f32 v74, v74, v77, v78
	v_cmp_gt_i32_e64 s13, s24, v85
	v_cmp_gt_i32_e64 s15, s24, v71
	v_mul_f32_e32 v89, s19, v118
	v_cmp_gt_i32_e64 s16, s24, v72
	v_max3_f32 v74, v74, v75, v76
	v_cndmask_b32_e64 v77, 0xff7fffff, v92, s13
	v_cndmask_b32_e64 v71, 0xff7fffff, v91, s15
	v_cmp_gt_i32_e64 s17, s24, v73
	v_cndmask_b32_e64 v72, 0xff7fffff, v90, s16
	s_delay_alu instid0(VALU_DEP_3) | instskip(SKIP_1) | instid1(VALU_DEP_4)
	v_max3_f32 v71, v74, v77, v71
	v_lshlrev_b32_e32 v74, 2, v127
	v_cndmask_b32_e64 v73, 0xff7fffff, v89, s17
	s_delay_alu instid0(VALU_DEP_1) | instskip(SKIP_3) | instid1(VALU_DEP_1)
	v_max3_f32 v71, v71, v72, v73
	ds_bpermute_b32 v72, v74, v71
	s_waitcnt lgkmcnt(0)
	v_max_f32_e32 v72, v72, v72
	v_max_f32_e32 v71, v71, v72
	s_delay_alu instid0(VALU_DEP_1) | instskip(SKIP_4) | instid1(VALU_DEP_4)
	v_fma_f32 v72, s19, v135, -v71
	v_fma_f32 v73, s19, v136, -v71
	;; [unrolled: 1-line block ×5, first 2 shown]
	v_dual_mul_f32 v72, 0x3fb8aa3b, v72 :: v_dual_mul_f32 v73, 0x3fb8aa3b, v73
	s_delay_alu instid0(VALU_DEP_3) | instskip(SKIP_1) | instid1(VALU_DEP_3)
	v_dual_mul_f32 v75, 0x3fb8aa3b, v75 :: v_dual_mul_f32 v76, 0x3fb8aa3b, v76
	v_fma_f32 v80, s19, v141, -v71
	v_exp_f32_e32 v72, v72
	s_delay_alu instid0(VALU_DEP_3) | instskip(NEXT) | instid1(VALU_DEP_2)
	v_exp_f32_e32 v73, v73
	v_exp_f32_e32 v75, v75
	;; [unrolled: 1-line block ×3, first 2 shown]
	v_mul_f32_e32 v82, 0x3fb8aa3b, v80
	s_delay_alu instid0(VALU_DEP_1) | instskip(SKIP_4) | instid1(TRANS32_DEP_3)
	v_exp_f32_e32 v84, v82
	v_cndmask_b32_e32 v79, 0, v72, vcc_lo
	v_fma_f32 v72, s19, v140, -v71
	v_mul_f32_e32 v77, 0x3fb8aa3b, v77
	v_cndmask_b32_e64 v78, 0, v73, s2
	v_cndmask_b32_e64 v81, 0, v75, s3
	s_delay_alu instid0(VALU_DEP_4) | instskip(NEXT) | instid1(VALU_DEP_4)
	v_dual_add_f32 v73, 0, v79 :: v_dual_mul_f32 v72, 0x3fb8aa3b, v72
	v_exp_f32_e32 v77, v77
	v_cndmask_b32_e64 v80, 0, v76, s4
	s_delay_alu instid0(TRANS32_DEP_2) | instskip(NEXT) | instid1(VALU_DEP_3)
	v_cndmask_b32_e64 v85, 0, v84, s7
	v_add_f32_e32 v73, v73, v78
	v_exp_f32_e32 v72, v72
	s_mov_b32 s2, exec_lo
	s_delay_alu instid0(VALU_DEP_1) | instskip(SKIP_4) | instid1(VALU_DEP_2)
	v_add_f32_e32 v73, v73, v81
	s_waitcnt_depctr 0xfff
	v_cndmask_b32_e64 v83, 0, v77, s5
	v_add_f32_e32 v73, v73, v80
	v_cndmask_b32_e64 v82, 0, v72, s6
	v_add_f32_e32 v72, v73, v83
	s_delay_alu instid0(VALU_DEP_1) | instskip(NEXT) | instid1(VALU_DEP_1)
	v_add_f32_e32 v72, v72, v82
	v_add_f32_e32 v72, v72, v85
	v_fma_f32 v76, s19, v111, -v71
	v_fma_f32 v75, s19, v142, -v71
	;; [unrolled: 1-line block ×5, first 2 shown]
	s_delay_alu instid0(VALU_DEP_4) | instskip(NEXT) | instid1(VALU_DEP_3)
	v_dual_mul_f32 v76, 0x3fb8aa3b, v76 :: v_dual_mul_f32 v75, 0x3fb8aa3b, v75
	v_mul_f32_e32 v86, 0x3fb8aa3b, v86
	s_delay_alu instid0(VALU_DEP_2) | instskip(NEXT) | instid1(VALU_DEP_2)
	v_exp_f32_e32 v76, v76
	v_exp_f32_e32 v75, v75
	s_delay_alu instid0(VALU_DEP_1) | instskip(NEXT) | instid1(TRANS32_DEP_3)
	v_exp_f32_e32 v88, v86
	v_cndmask_b32_e64 v87, 0, v76, s9
	v_fma_f32 v76, s19, v116, -v71
	v_mul_f32_e32 v77, 0x3fb8aa3b, v77
	s_waitcnt_depctr 0xfff
	v_cndmask_b32_e64 v84, 0, v75, s8
	v_fma_f32 v75, s19, v115, -v71
	v_cndmask_b32_e64 v88, 0, v88, s12
	v_mul_f32_e32 v76, 0x3fb8aa3b, v76
	v_exp_f32_e32 v77, v77
	v_add_f32_e32 v72, v72, v84
	s_delay_alu instid0(VALU_DEP_2) | instskip(NEXT) | instid1(VALU_DEP_1)
	v_exp_f32_e32 v76, v76
	v_add_f32_e32 v72, v72, v87
	s_waitcnt_depctr 0xfff
	v_cndmask_b32_e64 v86, 0, v77, s10
	v_mul_f32_e32 v73, 0x3fb8aa3b, v73
	v_fma_f32 v77, s19, v117, -v71
	v_cndmask_b32_e64 v90, 0, v76, s15
	s_delay_alu instid0(VALU_DEP_4) | instskip(NEXT) | instid1(VALU_DEP_4)
	v_add_f32_e32 v72, v72, v86
	v_exp_f32_e32 v73, v73
	s_waitcnt_depctr 0xfff
	v_cndmask_b32_e64 v89, 0, v73, s11
	s_delay_alu instid0(VALU_DEP_1) | instskip(NEXT) | instid1(VALU_DEP_1)
	v_dual_mul_f32 v75, 0x3fb8aa3b, v75 :: v_dual_add_f32 v72, v72, v89
	v_exp_f32_e32 v75, v75
	v_mul_f32_e32 v73, 0x3fb8aa3b, v77
	v_fma_f32 v77, s19, v118, -v71
	s_delay_alu instid0(VALU_DEP_3) | instskip(NEXT) | instid1(VALU_DEP_3)
	v_add_f32_e32 v72, v72, v88
	v_exp_f32_e32 v73, v73
	s_waitcnt_depctr 0xfff
	v_cndmask_b32_e64 v91, 0, v75, s13
	s_delay_alu instid0(VALU_DEP_1) | instskip(NEXT) | instid1(VALU_DEP_1)
	v_dual_mul_f32 v75, 0x3fb8aa3b, v77 :: v_dual_add_f32 v72, v72, v91
	v_exp_f32_e32 v75, v75
	v_cndmask_b32_e64 v93, 0, v73, s16
	s_delay_alu instid0(VALU_DEP_2) | instskip(NEXT) | instid1(VALU_DEP_1)
	v_add_f32_e32 v72, v72, v90
	v_add_f32_e32 v72, v72, v93
	s_waitcnt_depctr 0xfff
	v_cndmask_b32_e64 v92, 0, v75, s17
	s_delay_alu instid0(VALU_DEP_1)
	v_add_f32_e32 v72, v72, v92
	ds_bpermute_b32 v73, v74, v72
	v_cmpx_gt_u32_e32 16, v70
	s_cbranch_execz .LBB1043_12
; %bb.11:
	v_mul_u32_u24_e32 v70, 0x44, v69
	s_waitcnt lgkmcnt(0)
	v_add_f32_e32 v72, v72, v73
	s_delay_alu instid0(VALU_DEP_2) | instskip(NEXT) | instid1(VALU_DEP_1)
	v_lshl_add_u32 v70, v68, 2, v70
	v_add_nc_u32_e32 v70, 0x4000, v70
	ds_store_2addr_b32 v70, v71, v72 offset1:136
.LBB1043_12:
	s_or_b32 exec_lo, exec_lo, s2
	v_lshlrev_b32_e32 v70, 2, v68
	s_load_b32 s34, s[0:1], 0x94
	s_waitcnt lgkmcnt(0)
	s_barrier
	buffer_gl0_inv
	v_add_nc_u32_e32 v98, 0x4000, v70
	v_cmp_eq_u32_e32 vcc_lo, 1, v69
	v_cmp_eq_u32_e64 s2, 2, v69
	v_cmp_eq_u32_e64 s3, 3, v69
	;; [unrolled: 1-line block ×3, first 2 shown]
	ds_load_2addr_b32 v[70:71], v98 offset1:17
	ds_load_2addr_b32 v[72:73], v98 offset0:34 offset1:51
	ds_load_2addr_b32 v[74:75], v98 offset0:68 offset1:85
	;; [unrolled: 1-line block ×3, first 2 shown]
	v_cmp_eq_u32_e64 s5, 5, v69
	v_cmp_eq_u32_e64 s6, 7, v69
	s_waitcnt lgkmcnt(3)
	v_max3_f32 v76, v70, 0xff7fffff, v71
	s_waitcnt lgkmcnt(2)
	s_delay_alu instid0(VALU_DEP_1) | instskip(SKIP_1) | instid1(VALU_DEP_1)
	v_max3_f32 v76, v76, v72, v73
	s_waitcnt lgkmcnt(1)
	v_max3_f32 v76, v76, v74, v75
	s_waitcnt lgkmcnt(0)
	s_delay_alu instid0(VALU_DEP_1) | instskip(NEXT) | instid1(VALU_DEP_1)
	v_max3_f32 v76, v76, v94, v95
	v_sub_f32_e32 v77, v71, v76
	ds_load_2addr_b32 v[96:97], v98 offset0:136 offset1:153
	v_sub_f32_e32 v74, v74, v76
	v_sub_f32_e32 v70, v70, v76
	;; [unrolled: 1-line block ×3, first 2 shown]
	v_dual_sub_f32 v72, v72, v76 :: v_dual_mul_f32 v77, 0x3fb8aa3b, v77
	s_delay_alu instid0(VALU_DEP_4) | instskip(NEXT) | instid1(VALU_DEP_4)
	v_mul_f32_e32 v103, 0x3fb8aa3b, v74
	v_mul_f32_e32 v99, 0x3fb8aa3b, v70
	ds_load_2addr_b32 v[70:71], v98 offset0:170 offset1:187
	v_dual_mul_f32 v101, 0x3fb8aa3b, v72 :: v_dual_mul_f32 v94, 0x3fb8aa3b, v94
	v_exp_f32_e32 v102, v77
	v_exp_f32_e32 v99, v99
	s_delay_alu instid0(VALU_DEP_1) | instskip(NEXT) | instid1(VALU_DEP_1)
	v_exp_f32_e32 v101, v101
	v_exp_f32_e32 v94, v94
	s_waitcnt lgkmcnt(1)
	s_delay_alu instid0(TRANS32_DEP_3)
	v_fma_f32 v77, v99, v96, 0
	v_sub_f32_e32 v100, v73, v76
	ds_load_2addr_b32 v[72:73], v98 offset0:204 offset1:221
	v_fmac_f32_e32 v77, v102, v97
	v_exp_f32_e32 v97, v103
	s_waitcnt lgkmcnt(1)
	s_delay_alu instid0(VALU_DEP_1)
	v_dual_fmac_f32 v77, v101, v70 :: v_dual_sub_f32 v96, v75, v76
	ds_load_2addr_b32 v[74:75], v98 offset0:238 offset1:255
	v_sub_f32_e32 v70, v95, v76
	s_waitcnt lgkmcnt(0)
	s_barrier
	v_mul_f32_e32 v96, 0x3fb8aa3b, v96
	buffer_gl0_inv
	v_exp_f32_e32 v95, v96
	v_mul_f32_e32 v100, 0x3fb8aa3b, v100
	s_delay_alu instid0(VALU_DEP_1) | instskip(SKIP_3) | instid1(VALU_DEP_2)
	v_exp_f32_e32 v100, v100
	s_waitcnt_depctr 0xfff
	v_dual_fmac_f32 v77, v100, v71 :: v_dual_mul_f32 v70, 0x3fb8aa3b, v70
	v_cndmask_b32_e32 v71, v99, v102, vcc_lo
	v_fmac_f32_e32 v77, v97, v72
	s_delay_alu instid0(VALU_DEP_3) | instskip(NEXT) | instid1(VALU_DEP_1)
	v_exp_f32_e32 v96, v70
	v_fmac_f32_e32 v77, v95, v73
	s_delay_alu instid0(VALU_DEP_1) | instskip(SKIP_2) | instid1(VALU_DEP_1)
	v_fmac_f32_e32 v77, v94, v74
	s_waitcnt_depctr 0xfff
	v_fmac_f32_e32 v77, v96, v75
	v_add_f32_e32 v74, 0x358637bd, v77
	s_delay_alu instid0(VALU_DEP_1) | instskip(SKIP_1) | instid1(VALU_DEP_2)
	v_div_scale_f32 v98, null, v74, v74, 1.0
	v_div_scale_f32 v99, vcc_lo, 1.0, v74, 1.0
	v_rcp_f32_e32 v103, v98
	s_waitcnt_depctr 0xfff
	v_fma_f32 v70, -v98, v103, 1.0
	s_delay_alu instid0(VALU_DEP_1) | instskip(SKIP_2) | instid1(VALU_DEP_2)
	v_fmac_f32_e32 v103, v70, v103
	v_cndmask_b32_e64 v70, v71, v101, s2
	v_cmp_eq_u32_e64 s2, 6, v69
	v_cndmask_b32_e64 v71, v70, v100, s3
	s_delay_alu instid0(VALU_DEP_4) | instskip(NEXT) | instid1(VALU_DEP_2)
	v_dual_mul_f32 v101, v99, v103 :: v_dual_lshlrev_b32 v70, 2, v66
	v_cndmask_b32_e64 v71, v71, v97, s4
	s_delay_alu instid0(VALU_DEP_2) | instskip(NEXT) | instid1(VALU_DEP_3)
	v_or_b32_e32 v72, 1, v70
	v_fma_f32 v100, -v98, v101, v99
	v_cmp_eq_u32_e64 s3, 1, v70
	v_cmp_eq_u32_e64 s4, 2, v70
	v_cndmask_b32_e64 v95, v71, v95, s5
	v_or_b32_e32 v71, 3, v70
	v_fmac_f32_e32 v101, v100, v103
	v_cmp_eq_u32_e64 s8, 1, v72
	v_cmp_eq_u32_e64 s11, 2, v72
	v_cndmask_b32_e64 v94, v95, v94, s2
	v_cmp_eq_u32_e64 s10, 1, v71
	v_fma_f32 v97, -v98, v101, v99
	v_cmp_eq_u32_e64 s15, 2, v71
	v_cmp_eq_u32_e64 s12, 3, v72
	v_cndmask_b32_e64 v94, v94, v96, s6
	v_cmp_eq_u32_e64 s17, 3, v71
	v_div_fmas_f32 v95, v97, v103, v101
	v_cmp_eq_u32_e32 vcc_lo, 3, v70
	v_cmp_eq_u32_e64 s2, 4, v70
	v_cmp_eq_u32_e64 s18, 4, v72
	;; [unrolled: 1-line block ×3, first 2 shown]
	v_div_fixup_f32 v95, v95, v74, 1.0
	v_lshlrev_b32_e32 v73, 6, v68
	v_cmp_eq_u32_e64 s5, 5, v70
	v_cmp_eq_u32_e64 s19, 5, v72
	;; [unrolled: 1-line block ×3, first 2 shown]
	v_mul_f32_e32 v102, v94, v95
	v_lshl_or_b32 v75, v69, 11, v73
	v_or_b32_e32 v69, 2, v70
	v_cmp_eq_u32_e64 s24, 6, v72
	v_cmp_eq_u32_e64 s26, 6, v71
	v_fma_mixlo_f16 v94, v102, v79, 0
	v_fma_mixlo_f16 v95, v102, v81, 0
	;; [unrolled: 1-line block ×8, first 2 shown]
	v_lshl_or_b32 v74, v66, 4, v75
	v_fma_mixhi_f16 v94, v102, v78, 0
	v_fma_mixhi_f16 v95, v102, v80, 0
	;; [unrolled: 1-line block ×8, first 2 shown]
	ds_store_b128 v74, v[94:97]
	ds_store_b128 v74, v[98:101] offset:1024
	s_waitcnt lgkmcnt(0)
	s_barrier
	buffer_gl0_inv
	ds_load_b128 v[78:81], v75
	ds_load_b128 v[82:85], v75 offset:16
	ds_load_b128 v[86:89], v75 offset:1024
	;; [unrolled: 1-line block ×3, first 2 shown]
	v_cmp_eq_u32_e64 s9, 1, v69
	v_cmp_eq_u32_e64 s13, 2, v69
	;; [unrolled: 1-line block ×11, first 2 shown]
	s_waitcnt lgkmcnt(3)
	v_lshrrev_b32_e32 v94, 16, v78
	s_waitcnt lgkmcnt(2)
	v_lshrrev_b32_e32 v98, 16, v82
	;; [unrolled: 2-line block ×4, first 2 shown]
	v_lshrrev_b32_e32 v95, 16, v79
	v_cndmask_b32_e64 v110, v78, v94, s3
	v_cndmask_b32_e64 v111, v82, v98, s3
	;; [unrolled: 1-line block ×8, first 2 shown]
	v_lshrrev_b32_e32 v99, 16, v83
	v_cndmask_b32_e64 v94, v86, v102, s3
	v_cndmask_b32_e64 v98, v90, v106, s3
	v_cndmask_b32_e64 v116, v86, v102, s8
	v_cndmask_b32_e64 v117, v90, v106, s8
	v_cndmask_b32_e64 v118, v86, v102, s9
	v_cndmask_b32_e64 v119, v90, v106, s9
	v_cndmask_b32_e64 v86, v86, v102, s10
	v_cndmask_b32_e64 v90, v90, v106, s10
	v_cndmask_b32_e64 v102, v110, v79, s4
	v_cndmask_b32_e64 v106, v111, v83, s4
	v_cndmask_b32_e64 v110, v112, v79, s11
	v_cndmask_b32_e64 v111, v113, v83, s11
	v_cndmask_b32_e64 v112, v114, v79, s13
	v_cndmask_b32_e64 v78, v78, v79, s15
	v_cndmask_b32_e64 v79, v82, v83, s15
	v_lshrrev_b32_e32 v103, 16, v87
	v_lshrrev_b32_e32 v107, 16, v91
	v_cndmask_b32_e64 v113, v115, v83, s13
	v_cndmask_b32_e64 v82, v94, v87, s4
	;; [unrolled: 1-line block ×7, first 2 shown]
	v_cndmask_b32_e32 v90, v102, v95, vcc_lo
	v_cndmask_b32_e32 v102, v106, v99, vcc_lo
	v_cndmask_b32_e64 v106, v110, v95, s12
	v_cndmask_b32_e64 v110, v111, v99, s12
	;; [unrolled: 1-line block ×4, first 2 shown]
	v_lshrrev_b32_e32 v96, 16, v80
	v_lshrrev_b32_e32 v100, 16, v84
	v_cndmask_b32_e64 v111, v112, v95, s16
	v_cndmask_b32_e64 v112, v113, v99, s16
	v_cndmask_b32_e32 v82, v82, v103, vcc_lo
	v_cndmask_b32_e32 v83, v83, v107, vcc_lo
	v_cndmask_b32_e64 v94, v94, v103, s12
	v_cndmask_b32_e64 v90, v90, v80, s2
	;; [unrolled: 1-line block ×7, first 2 shown]
	v_lshrrev_b32_e32 v104, 16, v88
	v_cndmask_b32_e64 v106, v111, v80, s20
	v_cndmask_b32_e64 v110, v112, v84, s20
	;; [unrolled: 1-line block ×11, first 2 shown]
	v_lshrrev_b32_e32 v97, 16, v81
	v_lshrrev_b32_e32 v101, 16, v85
	v_cndmask_b32_e64 v99, v106, v96, s22
	v_cndmask_b32_e64 v102, v110, v100, s22
	;; [unrolled: 1-line block ×7, first 2 shown]
	v_lshrrev_b32_e32 v105, 16, v89
	v_cndmask_b32_e64 v80, v80, v104, s5
	v_cndmask_b32_e64 v84, v84, v81, s6
	;; [unrolled: 1-line block ×16, first 2 shown]
	v_perm_b32 v81, v79, v78, 0x5040100
	v_perm_b32 v79, v95, v85, 0x5040100
	v_cndmask_b32_e64 v78, v119, v91, s13
	v_cndmask_b32_e64 v85, v117, v91, s11
	;; [unrolled: 1-line block ×3, first 2 shown]
	v_perm_b32 v80, v94, v90, 0x5040100
	v_cndmask_b32_e64 v90, v98, v103, s16
	v_cndmask_b32_e64 v86, v86, v103, s17
	;; [unrolled: 1-line block ×5, first 2 shown]
	v_lshrrev_b32_e32 v108, 16, v92
	v_cndmask_b32_e64 v90, v90, v88, s20
	v_cndmask_b32_e64 v86, v86, v88, s21
	;; [unrolled: 1-line block ×11, first 2 shown]
	v_lshrrev_b32_e32 v109, 16, v93
	v_cndmask_b32_e64 v82, v82, v93, s6
	v_cndmask_b32_e64 v88, v88, v89, s25
	;; [unrolled: 1-line block ×12, first 2 shown]
	v_perm_b32 v78, v84, v83, 0x5040100
	v_perm_b32 v85, v87, v86, 0x5040100
	;; [unrolled: 1-line block ×5, first 2 shown]
	s_mul_i32 s7, s33, 14
	s_mov_b32 s2, exec_lo
	ds_store_b128 v74, v[78:81]
	ds_store_b128 v74, v[82:85] offset:1024
	v_cmpx_gt_u32_e32 14, v0
	s_cbranch_execz .LBB1043_14
; %bb.13:
	s_mul_i32 s3, s7, s30
	s_load_b128 s[8:11], s[0:1], 0x58
	v_add3_u32 v68, s3, s31, v68
	s_delay_alu instid0(VALU_DEP_1) | instskip(NEXT) | instid1(VALU_DEP_1)
	v_mad_u64_u32 v[78:79], null, v68, s34, s[14:15]
	v_ashrrev_i32_e32 v79, 31, v78
	s_delay_alu instid0(VALU_DEP_1) | instskip(SKIP_1) | instid1(VALU_DEP_1)
	v_lshlrev_b64 v[78:79], 2, v[78:79]
	s_waitcnt lgkmcnt(0)
	v_add_co_u32 v80, vcc_lo, s10, v78
	s_delay_alu instid0(VALU_DEP_2)
	v_add_co_ci_u32_e32 v81, vcc_lo, s11, v79, vcc_lo
	v_add_co_u32 v78, vcc_lo, s8, v78
	v_add_co_ci_u32_e32 v79, vcc_lo, s9, v79, vcc_lo
	global_store_b32 v[80:81], v76, off
	global_store_b32 v[78:79], v77, off
.LBB1043_14:
	s_or_b32 exec_lo, exec_lo, s2
	s_waitcnt lgkmcnt(0)
	s_waitcnt_vscnt null, 0x0
	s_barrier
	buffer_gl0_inv
	ds_load_b128 v[84:87], v73
	ds_load_b128 v[88:91], v73 offset:16
	ds_load_b128 v[96:99], v73 offset:2064
	;; [unrolled: 1-line block ×5, first 2 shown]
	v_cmp_eq_u32_e32 vcc_lo, 1, v70
	v_mov_b32_e32 v76, 0
	ds_load_b128 v[112:115], v73 offset:6160
	ds_load_b128 v[108:111], v73 offset:6144
	;; [unrolled: 1-line block ×4, first 2 shown]
	v_cmp_eq_u32_e64 s3, 1, v69
	v_cmp_eq_u32_e64 s2, 1, v72
	;; [unrolled: 1-line block ×3, first 2 shown]
	v_mov_b32_e32 v77, v76
	v_mov_b32_e32 v78, v76
	v_mov_b32_e32 v79, v76
	v_mov_b32_e32 v80, v76
	v_mov_b32_e32 v81, v76
	v_mov_b32_e32 v82, v76
	v_mov_b32_e32 v83, v76
	v_cmp_eq_u32_e64 s5, 3, v72
	v_cmp_eq_u32_e64 s6, 7, v72
	s_waitcnt lgkmcnt(8)
	s_delay_alu instid0(VALU_DEP_3)
	v_wmma_f32_16x16x16_f16 v[76:83], v[49:56], v[84:91], v[76:83]
	ds_load_b128 v[53:56], v73 offset:10256
	ds_load_b128 v[49:52], v73 offset:10240
	s_waitcnt lgkmcnt(8)
	v_wmma_f32_16x16x16_f16 v[76:83], v[41:48], v[92:99], v[76:83]
	ds_load_b128 v[45:48], v73 offset:12304
	ds_load_b128 v[41:44], v73 offset:12288
	s_waitcnt lgkmcnt(8)
	;; [unrolled: 4-line block ×3, first 2 shown]
	s_barrier
	buffer_gl0_inv
	v_wmma_f32_16x16x16_f16 v[76:83], v[1:8], v[108:115], v[76:83]
	s_delay_alu instid0(VALU_DEP_1) | instskip(NEXT) | instid1(VALU_DEP_1)
	v_wmma_f32_16x16x16_f16 v[76:83], v[9:16], v[116:123], v[76:83]
	v_wmma_f32_16x16x16_f16 v[76:83], v[17:24], v[49:56], v[76:83]
	s_delay_alu instid0(VALU_DEP_1) | instskip(NEXT) | instid1(VALU_DEP_1)
	v_wmma_f32_16x16x16_f16 v[76:83], v[25:32], v[41:48], v[76:83]
	v_wmma_f32_16x16x16_f16 v[76:83], v[57:64], v[33:40], v[76:83]
	s_delay_alu instid0(VALU_DEP_1) | instskip(NEXT) | instid1(VALU_DEP_2)
	v_cvt_f16_f32_e32 v1, v76
	v_cvt_f16_f32_e32 v2, v77
	s_delay_alu instid0(VALU_DEP_3) | instskip(NEXT) | instid1(VALU_DEP_4)
	v_cvt_f16_f32_e32 v3, v78
	v_cvt_f16_f32_e32 v4, v79
	v_cvt_f16_f32_e32 v5, v80
	v_cvt_f16_f32_e32 v6, v81
	v_cvt_f16_f32_e32 v7, v82
	v_cvt_f16_f32_e32 v8, v83
	v_pack_b32_f16 v1, v1, v2
	v_pack_b32_f16 v2, v3, v4
	;; [unrolled: 1-line block ×3, first 2 shown]
	s_delay_alu instid0(VALU_DEP_4)
	v_pack_b32_f16 v4, v7, v8
	ds_store_b128 v74, v[1:4]
	s_waitcnt lgkmcnt(0)
	s_barrier
	buffer_gl0_inv
	ds_load_b128 v[1:4], v75
	ds_load_b128 v[5:8], v75 offset:16
	s_waitcnt lgkmcnt(1)
	v_lshrrev_b32_e32 v9, 16, v1
	s_waitcnt lgkmcnt(0)
	v_lshrrev_b32_e32 v13, 16, v5
	v_lshrrev_b32_e32 v10, 16, v2
	;; [unrolled: 1-line block ×4, first 2 shown]
	v_cndmask_b32_e32 v17, v1, v9, vcc_lo
	v_cndmask_b32_e32 v18, v5, v13, vcc_lo
	v_cndmask_b32_e64 v21, v1, v9, s3
	v_cmp_eq_u32_e32 vcc_lo, 1, v71
	v_cndmask_b32_e64 v22, v5, v13, s3
	v_cmp_eq_u32_e64 s3, 2, v70
	v_cndmask_b32_e64 v19, v1, v9, s2
	v_cndmask_b32_e64 v20, v5, v13, s2
	v_cndmask_b32_e32 v1, v1, v9, vcc_lo
	v_cmp_eq_u32_e64 s2, 2, v71
	v_cndmask_b32_e32 v5, v5, v13, vcc_lo
	v_cndmask_b32_e64 v9, v17, v2, s3
	v_cmp_eq_u32_e32 vcc_lo, 3, v70
	v_cndmask_b32_e64 v13, v18, v6, s3
	v_cmp_eq_u32_e64 s3, 2, v69
	v_cndmask_b32_e64 v17, v19, v2, s4
	v_cndmask_b32_e64 v18, v20, v6, s4
	v_cmp_eq_u32_e64 s4, 3, v69
	v_cndmask_b32_e64 v1, v1, v2, s2
	v_cndmask_b32_e64 v19, v21, v2, s3
	;; [unrolled: 1-line block ×4, first 2 shown]
	v_cndmask_b32_e32 v5, v9, v10, vcc_lo
	v_cndmask_b32_e32 v6, v13, v14, vcc_lo
	v_cmp_eq_u32_e32 vcc_lo, 3, v71
	v_cndmask_b32_e64 v9, v17, v10, s5
	v_cndmask_b32_e64 v13, v18, v14, s5
	v_cndmask_b32_e64 v18, v20, v14, s4
	v_cmp_eq_u32_e64 s3, 4, v70
	v_cndmask_b32_e32 v1, v1, v10, vcc_lo
	v_cndmask_b32_e32 v2, v2, v14, vcc_lo
	v_cmp_eq_u32_e32 vcc_lo, 4, v72
	v_lshrrev_b32_e32 v15, 16, v7
	v_lshrrev_b32_e32 v16, 16, v8
	v_cndmask_b32_e64 v17, v19, v10, s4
	v_cmp_eq_u32_e64 s2, 4, v71
	v_cndmask_b32_e64 v5, v5, v3, s3
	v_cndmask_b32_e64 v6, v6, v7, s3
	v_cndmask_b32_e32 v9, v9, v3, vcc_lo
	v_cmp_eq_u32_e64 s3, 5, v72
	v_cndmask_b32_e32 v10, v13, v7, vcc_lo
	v_cmp_eq_u32_e32 vcc_lo, 4, v69
	v_cmp_eq_u32_e64 s4, 5, v70
	v_cndmask_b32_e64 v2, v2, v7, s2
	v_cndmask_b32_e64 v9, v9, v11, s3
	v_cndmask_b32_e64 v10, v10, v15, s3
	v_cndmask_b32_e32 v13, v17, v3, vcc_lo
	v_cmp_eq_u32_e64 s3, 5, v69
	v_cndmask_b32_e32 v14, v18, v7, vcc_lo
	v_cndmask_b32_e64 v1, v1, v3, s2
	v_cmp_eq_u32_e32 vcc_lo, 5, v71
	v_lshrrev_b32_e32 v12, 16, v4
	v_cndmask_b32_e64 v13, v13, v11, s3
	v_cndmask_b32_e64 v3, v14, v15, s3
	v_cmp_eq_u32_e64 s3, 6, v71
	v_cndmask_b32_e32 v1, v1, v11, vcc_lo
	v_cndmask_b32_e64 v5, v5, v11, s4
	v_cmp_eq_u32_e64 s5, 6, v70
	v_cndmask_b32_e64 v6, v6, v15, s4
	v_cmp_eq_u32_e64 s4, 6, v72
	v_cmp_eq_u32_e64 s2, 6, v69
	v_cndmask_b32_e64 v1, v1, v4, s3
	v_cndmask_b32_e32 v2, v2, v15, vcc_lo
	v_cmp_eq_u32_e32 vcc_lo, 7, v71
	v_cndmask_b32_e64 v5, v5, v4, s5
	v_cndmask_b32_e64 v9, v9, v4, s4
	v_cndmask_b32_e64 v6, v6, v8, s5
	v_cmp_eq_u32_e64 s5, 7, v70
	v_cndmask_b32_e32 v1, v1, v12, vcc_lo
	v_cndmask_b32_e64 v7, v13, v4, s2
	v_cndmask_b32_e64 v3, v3, v8, s2
	;; [unrolled: 1-line block ×3, first 2 shown]
	v_cmp_eq_u32_e64 s2, 7, v69
	v_cndmask_b32_e64 v4, v10, v8, s4
	v_cndmask_b32_e64 v5, v5, v12, s5
	;; [unrolled: 1-line block ×3, first 2 shown]
	v_cndmask_b32_e32 v2, v2, v16, vcc_lo
	v_cndmask_b32_e64 v7, v7, v12, s2
	v_cndmask_b32_e64 v3, v3, v16, s2
	;; [unrolled: 1-line block ×4, first 2 shown]
	v_perm_b32 v4, v2, v1, 0x5040100
	s_mov_b32 s2, exec_lo
	v_perm_b32 v3, v3, v7, 0x5040100
	v_perm_b32 v2, v8, v9, 0x5040100
	;; [unrolled: 1-line block ×3, first 2 shown]
	ds_store_b128 v74, v[1:4]
	s_waitcnt lgkmcnt(0)
	s_barrier
	buffer_gl0_inv
	v_cmpx_gt_u32_e32 32, v0
	s_cbranch_execz .LBB1043_2
; %bb.15:
	s_load_b64 s[0:1], s[0:1], 0x68
	v_lshlrev_b32_e32 v0, 10, v0
	s_lshl_b32 s4, s34, 7
	v_or_b32_e32 v3, s31, v66
	s_mul_i32 s2, s4, s30
	v_lshlrev_b32_e32 v1, 4, v67
	v_lshlrev_b32_e32 v2, 6, v66
	v_and_b32_e32 v0, 0x3800, v0
	s_mul_i32 s2, s2, s7
	v_mul_lo_u32 v8, v3, s4
	s_ashr_i32 s3, s2, 31
	s_delay_alu instid0(SALU_CYCLE_1)
	s_lshl_b64 s[2:3], s[2:3], 1
	v_or3_b32 v16, v0, v1, v2
	ds_load_b128 v[0:3], v16
	ds_load_b128 v[4:7], v16 offset:128
	v_ashrrev_i32_e32 v9, 31, v8
	s_waitcnt lgkmcnt(0)
	s_add_u32 s2, s0, s2
	s_addc_u32 s3, s1, s3
	s_lshl_b32 s0, s14, 7
	s_delay_alu instid0(SALU_CYCLE_1) | instskip(SKIP_2) | instid1(SALU_CYCLE_1)
	s_ashr_i32 s1, s0, 31
	v_lshlrev_b64 v[9:10], 1, v[8:9]
	s_lshl_b64 s[0:1], s[0:1], 1
	s_add_u32 s0, s2, s0
	s_addc_u32 s1, s3, s1
	s_lshl_b32 s2, s34, 8
	v_add_co_u32 v30, s0, s0, v65
	v_add_nc_u32_e32 v11, s2, v8
	v_add_co_ci_u32_e64 v31, null, s1, 0, s0
	s_delay_alu instid0(VALU_DEP_3) | instskip(NEXT) | instid1(VALU_DEP_3)
	v_add_co_u32 v9, vcc_lo, v30, v9
	v_add_nc_u32_e32 v8, s2, v11
	s_delay_alu instid0(VALU_DEP_3) | instskip(SKIP_1) | instid1(VALU_DEP_3)
	v_add_co_ci_u32_e32 v10, vcc_lo, v31, v10, vcc_lo
	v_ashrrev_i32_e32 v12, 31, v11
	v_add_nc_u32_e32 v13, s2, v8
	global_store_b128 v[9:10], v[0:3], off
	v_ashrrev_i32_e32 v9, 31, v8
	v_lshlrev_b64 v[11:12], 1, v[11:12]
	v_ashrrev_i32_e32 v14, 31, v13
	v_add_nc_u32_e32 v10, s2, v13
	s_delay_alu instid0(VALU_DEP_4) | instskip(NEXT) | instid1(VALU_DEP_4)
	v_lshlrev_b64 v[2:3], 1, v[8:9]
	v_add_co_u32 v0, vcc_lo, v30, v11
	s_delay_alu instid0(VALU_DEP_4)
	v_lshlrev_b64 v[8:9], 1, v[13:14]
	v_add_co_ci_u32_e32 v1, vcc_lo, v31, v12, vcc_lo
	v_ashrrev_i32_e32 v11, 31, v10
	v_add_co_u32 v22, vcc_lo, v30, v2
	v_add_nc_u32_e32 v20, s2, v10
	v_add_co_ci_u32_e32 v23, vcc_lo, v31, v3, vcc_lo
	v_add_co_u32 v24, vcc_lo, v30, v8
	global_store_b128 v[0:1], v[4:7], off
	v_add_co_ci_u32_e32 v25, vcc_lo, v31, v9, vcc_lo
	ds_load_b128 v[0:3], v16 offset:256
	ds_load_b128 v[4:7], v16 offset:384
	v_lshlrev_b64 v[26:27], 1, v[10:11]
	ds_load_b128 v[8:11], v16 offset:512
	ds_load_b128 v[12:15], v16 offset:640
	ds_load_b128 v[16:19], v16 offset:768
	v_add_nc_u32_e32 v28, s2, v20
	v_ashrrev_i32_e32 v21, 31, v20
	v_add_co_u32 v26, vcc_lo, v30, v26
	s_delay_alu instid0(VALU_DEP_3) | instskip(NEXT) | instid1(VALU_DEP_3)
	v_ashrrev_i32_e32 v29, 31, v28
	v_lshlrev_b64 v[20:21], 1, v[20:21]
	v_add_co_ci_u32_e32 v27, vcc_lo, v31, v27, vcc_lo
	s_delay_alu instid0(VALU_DEP_3) | instskip(NEXT) | instid1(VALU_DEP_3)
	v_lshlrev_b64 v[28:29], 1, v[28:29]
	v_add_co_u32 v20, vcc_lo, v30, v20
	s_delay_alu instid0(VALU_DEP_4) | instskip(NEXT) | instid1(VALU_DEP_3)
	v_add_co_ci_u32_e32 v21, vcc_lo, v31, v21, vcc_lo
	v_add_co_u32 v28, vcc_lo, v30, v28
	s_delay_alu instid0(VALU_DEP_4)
	v_add_co_ci_u32_e32 v29, vcc_lo, v31, v29, vcc_lo
	s_waitcnt lgkmcnt(4)
	global_store_b128 v[22:23], v[0:3], off
	s_waitcnt lgkmcnt(3)
	global_store_b128 v[24:25], v[4:7], off
	;; [unrolled: 2-line block ×5, first 2 shown]
	s_nop 0
	s_sendmsg sendmsg(MSG_DEALLOC_VGPRS)
	s_endpgm
	.section	.rodata,"a",@progbits
	.p2align	6, 0x0
	.amdhsa_kernel _Z39paged_attention_ll4mi_QKV_mfma16_kernelIDF16_hLN4vllm18Fp8KVCacheDataTypeE1EhLi32ELi128ELi256ELb0ELi14EL8MFMAType1EEvPKT_PKT0_S8_ifPKiSA_SA_iPKfiiiPfSD_PS3_PT2_iSC_SC_
		.amdhsa_group_segment_fixed_size 17472
		.amdhsa_private_segment_fixed_size 0
		.amdhsa_kernarg_size 400
		.amdhsa_user_sgpr_count 13
		.amdhsa_user_sgpr_dispatch_ptr 0
		.amdhsa_user_sgpr_queue_ptr 0
		.amdhsa_user_sgpr_kernarg_segment_ptr 1
		.amdhsa_user_sgpr_dispatch_id 0
		.amdhsa_user_sgpr_private_segment_size 0
		.amdhsa_wavefront_size32 1
		.amdhsa_uses_dynamic_stack 0
		.amdhsa_enable_private_segment 0
		.amdhsa_system_sgpr_workgroup_id_x 1
		.amdhsa_system_sgpr_workgroup_id_y 1
		.amdhsa_system_sgpr_workgroup_id_z 1
		.amdhsa_system_sgpr_workgroup_info 0
		.amdhsa_system_vgpr_workitem_id 0
		.amdhsa_next_free_vgpr 150
		.amdhsa_next_free_sgpr 37
		.amdhsa_reserve_vcc 1
		.amdhsa_float_round_mode_32 0
		.amdhsa_float_round_mode_16_64 0
		.amdhsa_float_denorm_mode_32 3
		.amdhsa_float_denorm_mode_16_64 3
		.amdhsa_dx10_clamp 1
		.amdhsa_ieee_mode 1
		.amdhsa_fp16_overflow 0
		.amdhsa_workgroup_processor_mode 1
		.amdhsa_memory_ordered 1
		.amdhsa_forward_progress 0
		.amdhsa_shared_vgpr_count 0
		.amdhsa_exception_fp_ieee_invalid_op 0
		.amdhsa_exception_fp_denorm_src 0
		.amdhsa_exception_fp_ieee_div_zero 0
		.amdhsa_exception_fp_ieee_overflow 0
		.amdhsa_exception_fp_ieee_underflow 0
		.amdhsa_exception_fp_ieee_inexact 0
		.amdhsa_exception_int_div_zero 0
	.end_amdhsa_kernel
	.section	.text._Z39paged_attention_ll4mi_QKV_mfma16_kernelIDF16_hLN4vllm18Fp8KVCacheDataTypeE1EhLi32ELi128ELi256ELb0ELi14EL8MFMAType1EEvPKT_PKT0_S8_ifPKiSA_SA_iPKfiiiPfSD_PS3_PT2_iSC_SC_,"axG",@progbits,_Z39paged_attention_ll4mi_QKV_mfma16_kernelIDF16_hLN4vllm18Fp8KVCacheDataTypeE1EhLi32ELi128ELi256ELb0ELi14EL8MFMAType1EEvPKT_PKT0_S8_ifPKiSA_SA_iPKfiiiPfSD_PS3_PT2_iSC_SC_,comdat
.Lfunc_end1043:
	.size	_Z39paged_attention_ll4mi_QKV_mfma16_kernelIDF16_hLN4vllm18Fp8KVCacheDataTypeE1EhLi32ELi128ELi256ELb0ELi14EL8MFMAType1EEvPKT_PKT0_S8_ifPKiSA_SA_iPKfiiiPfSD_PS3_PT2_iSC_SC_, .Lfunc_end1043-_Z39paged_attention_ll4mi_QKV_mfma16_kernelIDF16_hLN4vllm18Fp8KVCacheDataTypeE1EhLi32ELi128ELi256ELb0ELi14EL8MFMAType1EEvPKT_PKT0_S8_ifPKiSA_SA_iPKfiiiPfSD_PS3_PT2_iSC_SC_
                                        ; -- End function
	.section	.AMDGPU.csdata,"",@progbits
; Kernel info:
; codeLenInByte = 6808
; NumSgprs: 39
; NumVgprs: 150
; ScratchSize: 0
; MemoryBound: 0
; FloatMode: 240
; IeeeMode: 1
; LDSByteSize: 17472 bytes/workgroup (compile time only)
; SGPRBlocks: 4
; VGPRBlocks: 18
; NumSGPRsForWavesPerEU: 39
; NumVGPRsForWavesPerEU: 150
; Occupancy: 9
; WaveLimiterHint : 1
; COMPUTE_PGM_RSRC2:SCRATCH_EN: 0
; COMPUTE_PGM_RSRC2:USER_SGPR: 13
; COMPUTE_PGM_RSRC2:TRAP_HANDLER: 0
; COMPUTE_PGM_RSRC2:TGID_X_EN: 1
; COMPUTE_PGM_RSRC2:TGID_Y_EN: 1
; COMPUTE_PGM_RSRC2:TGID_Z_EN: 1
; COMPUTE_PGM_RSRC2:TIDIG_COMP_CNT: 0
	.section	.text._Z39paged_attention_ll4mi_QKV_mfma16_kernelIDF16_hLN4vllm18Fp8KVCacheDataTypeE1EhLi32ELi128ELi256ELb0ELi15EL8MFMAType1EEvPKT_PKT0_S8_ifPKiSA_SA_iPKfiiiPfSD_PS3_PT2_iSC_SC_,"axG",@progbits,_Z39paged_attention_ll4mi_QKV_mfma16_kernelIDF16_hLN4vllm18Fp8KVCacheDataTypeE1EhLi32ELi128ELi256ELb0ELi15EL8MFMAType1EEvPKT_PKT0_S8_ifPKiSA_SA_iPKfiiiPfSD_PS3_PT2_iSC_SC_,comdat
	.protected	_Z39paged_attention_ll4mi_QKV_mfma16_kernelIDF16_hLN4vllm18Fp8KVCacheDataTypeE1EhLi32ELi128ELi256ELb0ELi15EL8MFMAType1EEvPKT_PKT0_S8_ifPKiSA_SA_iPKfiiiPfSD_PS3_PT2_iSC_SC_ ; -- Begin function _Z39paged_attention_ll4mi_QKV_mfma16_kernelIDF16_hLN4vllm18Fp8KVCacheDataTypeE1EhLi32ELi128ELi256ELb0ELi15EL8MFMAType1EEvPKT_PKT0_S8_ifPKiSA_SA_iPKfiiiPfSD_PS3_PT2_iSC_SC_
	.globl	_Z39paged_attention_ll4mi_QKV_mfma16_kernelIDF16_hLN4vllm18Fp8KVCacheDataTypeE1EhLi32ELi128ELi256ELb0ELi15EL8MFMAType1EEvPKT_PKT0_S8_ifPKiSA_SA_iPKfiiiPfSD_PS3_PT2_iSC_SC_
	.p2align	8
	.type	_Z39paged_attention_ll4mi_QKV_mfma16_kernelIDF16_hLN4vllm18Fp8KVCacheDataTypeE1EhLi32ELi128ELi256ELb0ELi15EL8MFMAType1EEvPKT_PKT0_S8_ifPKiSA_SA_iPKfiiiPfSD_PS3_PT2_iSC_SC_,@function
_Z39paged_attention_ll4mi_QKV_mfma16_kernelIDF16_hLN4vllm18Fp8KVCacheDataTypeE1EhLi32ELi128ELi256ELb0ELi15EL8MFMAType1EEvPKT_PKT0_S8_ifPKiSA_SA_iPKfiiiPfSD_PS3_PT2_iSC_SC_: ; @_Z39paged_attention_ll4mi_QKV_mfma16_kernelIDF16_hLN4vllm18Fp8KVCacheDataTypeE1EhLi32ELi128ELi256ELb0ELi15EL8MFMAType1EEvPKT_PKT0_S8_ifPKiSA_SA_iPKfiiiPfSD_PS3_PT2_iSC_SC_
; %bb.0:
	s_load_b64 s[4:5], s[0:1], 0x30
	s_mov_b32 s34, s13
	s_waitcnt lgkmcnt(0)
	s_cmp_lg_u64 s[4:5], 0
	s_cselect_b32 s8, -1, 0
	s_ashr_i32 s35, s13, 31
	s_cmp_eq_u64 s[4:5], 0
	s_cbranch_scc1 .LBB1044_3
; %bb.1:
	s_lshl_b64 s[2:3], s[34:35], 2
	s_delay_alu instid0(SALU_CYCLE_1) | instskip(SKIP_4) | instid1(SALU_CYCLE_1)
	s_add_u32 s2, s4, s2
	s_addc_u32 s3, s5, s3
	s_load_b64 s[2:3], s[2:3], 0x0
	s_waitcnt lgkmcnt(0)
	s_sub_i32 s2, s3, s2
	s_cmp_eq_u32 s2, 1
	s_cselect_b32 s2, -1, 0
	s_delay_alu instid0(SALU_CYCLE_1)
	s_and_not1_b32 vcc_lo, exec_lo, s2
	s_cbranch_vccz .LBB1044_4
.LBB1044_2:
	s_nop 0
	s_sendmsg sendmsg(MSG_DEALLOC_VGPRS)
	s_endpgm
.LBB1044_3:
.LBB1044_4:
	s_load_b64 s[2:3], s[0:1], 0x28
	s_lshl_b64 s[6:7], s[34:35], 2
	s_waitcnt lgkmcnt(0)
	s_add_u32 s2, s2, s6
	s_addc_u32 s3, s3, s7
	s_lshl_b32 s12, s14, 8
	s_load_b32 s24, s[2:3], 0x0
	s_waitcnt lgkmcnt(0)
	s_cmp_ge_i32 s12, s24
	s_cbranch_scc1 .LBB1044_2
; %bb.5:
	s_clause 0x1
	s_load_b128 s[20:23], s[0:1], 0x8
	s_load_b64 s[2:3], s[0:1], 0x20
	s_and_not1_b32 vcc_lo, exec_lo, s8
	s_cbranch_vccnz .LBB1044_7
; %bb.6:
	s_add_u32 s4, s4, s6
	s_addc_u32 s5, s5, s7
	s_load_b32 s5, s[4:5], 0x0
	s_branch .LBB1044_8
.LBB1044_7:
	s_mov_b32 s5, s34
.LBB1044_8:
	s_load_b128 s[16:19], s[0:1], 0x48
	v_and_b32_e32 v68, 15, v0
	v_lshrrev_b32_e32 v69, 5, v0
	v_bfe_u32 v66, v0, 4, 1
	v_and_b32_e32 v70, 31, v0
	v_and_b32_e32 v67, 1, v0
	v_lshlrev_b32_e32 v2, 3, v68
	s_mul_i32 s31, s15, 15
	v_lshl_or_b32 v1, v69, 1, v66
	s_mov_b32 s4, exec_lo
	s_delay_alu instid0(VALU_DEP_2) | instskip(NEXT) | instid1(VALU_DEP_2)
	v_lshlrev_b32_e32 v65, 1, v2
	v_cmpx_gt_u32_e32 15, v1
	s_cbranch_execz .LBB1044_10
; %bb.9:
	s_load_b64 s[6:7], s[0:1], 0x0
	v_add_lshl_u32 v2, v1, s31, 7
	s_waitcnt lgkmcnt(0)
	s_mul_hi_i32 s9, s5, s16
	s_mul_i32 s8, s5, s16
	v_lshlrev_b32_e32 v6, 10, v68
	s_lshl_b64 s[8:9], s[8:9], 1
	v_ashrrev_i32_e32 v3, 31, v2
	v_lshlrev_b32_e32 v1, 6, v1
	v_lshlrev_b32_e32 v7, 10, v67
	v_and_b32_e32 v6, 0x3800, v6
	s_delay_alu instid0(VALU_DEP_4) | instskip(NEXT) | instid1(VALU_DEP_2)
	v_lshlrev_b64 v[2:3], 1, v[2:3]
	v_or3_b32 v1, v6, v7, v1
	s_add_u32 s5, s6, s8
	s_addc_u32 s6, s7, s9
	s_delay_alu instid0(VALU_DEP_2) | instskip(NEXT) | instid1(VALU_DEP_3)
	v_add_co_u32 v2, vcc_lo, s5, v2
	v_add_co_ci_u32_e32 v3, vcc_lo, s6, v3, vcc_lo
	s_delay_alu instid0(VALU_DEP_2) | instskip(NEXT) | instid1(VALU_DEP_2)
	v_add_co_u32 v2, vcc_lo, v2, v65
	v_add_co_ci_u32_e32 v3, vcc_lo, 0, v3, vcc_lo
	global_load_b128 v[2:5], v[2:3], off
	s_waitcnt vmcnt(0)
	ds_store_b128 v1, v[2:5]
.LBB1044_10:
	s_or_b32 exec_lo, exec_lo, s4
	v_and_b32_e32 v1, 0xef, v0
	s_waitcnt lgkmcnt(0)
	s_add_i32 s5, s24, 31
	s_clause 0x1
	s_load_b32 s4, s[0:1], 0x38
	s_load_b32 s33, s[0:1], 0x98
	s_ashr_i32 s6, s5, 31
	v_add_nc_u32_e32 v1, s12, v1
	s_lshr_b32 s6, s6, 27
	s_load_b32 s19, s[0:1], 0x1c
	s_add_i32 s5, s5, s6
	s_waitcnt lgkmcnt(0)
	v_ashrrev_i32_e32 v2, 31, v1
	v_or_b32_e32 v3, 16, v1
	s_ashr_i32 s13, s5, 5
	v_cmp_gt_i32_e32 vcc_lo, s24, v1
	s_add_i32 s13, s13, -1
	v_lshrrev_b32_e32 v2, 27, v2
	s_barrier
	buffer_gl0_inv
	s_mul_i32 s15, s15, s18
	v_add_nc_u32_e32 v4, v1, v2
	s_mul_i32 s4, s34, s4
	s_delay_alu instid0(SALU_CYCLE_1) | instskip(NEXT) | instid1(VALU_DEP_1)
	s_ashr_i32 s5, s4, 31
	v_ashrrev_i32_e32 v4, 5, v4
	v_add_nc_u32_e32 v2, v3, v2
	s_lshl_b64 s[4:5], s[4:5], 2
	s_delay_alu instid0(SALU_CYCLE_1) | instskip(NEXT) | instid1(VALU_DEP_2)
	s_add_u32 s16, s2, s4
	v_cndmask_b32_e32 v1, s13, v4, vcc_lo
	s_delay_alu instid0(VALU_DEP_2)
	v_ashrrev_i32_e32 v2, 5, v2
	v_cmp_gt_i32_e32 vcc_lo, s24, v3
	s_addc_u32 s25, s3, s5
	s_ashr_i32 s18, s15, 31
	s_add_u32 s2, s20, s15
	s_addc_u32 s3, s21, s18
	v_cndmask_b32_e32 v3, s13, v2, vcc_lo
	v_ashrrev_i32_e32 v2, 31, v1
	s_lshl_b32 s4, s14, 3
	s_delay_alu instid0(SALU_CYCLE_1) | instskip(NEXT) | instid1(VALU_DEP_2)
	s_ashr_i32 s5, s4, 31
	v_ashrrev_i32_e32 v4, 31, v3
	s_delay_alu instid0(VALU_DEP_2) | instskip(SKIP_1) | instid1(SALU_CYCLE_1)
	v_lshlrev_b64 v[1:2], 2, v[1:2]
	s_lshl_b64 s[4:5], s[4:5], 2
	s_add_u32 s4, s16, s4
	s_delay_alu instid0(VALU_DEP_2) | instskip(SKIP_1) | instid1(VALU_DEP_2)
	v_lshlrev_b64 v[3:4], 2, v[3:4]
	s_addc_u32 s5, s25, s5
	v_add_co_u32 v1, vcc_lo, s16, v1
	v_add_co_ci_u32_e32 v2, vcc_lo, s25, v2, vcc_lo
	s_delay_alu instid0(VALU_DEP_3) | instskip(NEXT) | instid1(VALU_DEP_4)
	v_add_co_u32 v3, vcc_lo, s16, v3
	v_add_co_ci_u32_e32 v4, vcc_lo, s25, v4, vcc_lo
	s_clause 0x1
	global_load_b32 v5, v[1:2], off
	global_load_b32 v6, v[3:4], off
	s_or_b32 s6, s12, 32
	s_delay_alu instid0(SALU_CYCLE_1) | instskip(SKIP_2) | instid1(SALU_CYCLE_1)
	s_ashr_i32 s7, s6, 5
	s_cmp_lt_i32 s6, s24
	s_cselect_b32 s6, s7, s13
	s_ashr_i32 s7, s6, 31
	s_delay_alu instid0(SALU_CYCLE_1) | instskip(NEXT) | instid1(SALU_CYCLE_1)
	s_lshl_b64 s[6:7], s[6:7], 2
	s_add_u32 s6, s16, s6
	s_addc_u32 s7, s25, s7
	s_or_b32 s8, s12, 64
	s_delay_alu instid0(SALU_CYCLE_1) | instskip(SKIP_2) | instid1(SALU_CYCLE_1)
	s_ashr_i32 s9, s8, 5
	s_cmp_lt_i32 s8, s24
	s_cselect_b32 s8, s9, s13
	s_ashr_i32 s9, s8, 31
	s_delay_alu instid0(SALU_CYCLE_1) | instskip(NEXT) | instid1(SALU_CYCLE_1)
	s_lshl_b64 s[8:9], s[8:9], 2
	s_add_u32 s8, s16, s8
	s_addc_u32 s9, s25, s9
	;; [unrolled: 10-line block ×5, first 2 shown]
	s_clause 0x5
	s_load_b32 s28, s[4:5], 0x0
	s_load_b32 s29, s[6:7], 0x0
	;; [unrolled: 1-line block ×6, first 2 shown]
	s_mov_b32 s4, 0
	s_delay_alu instid0(SALU_CYCLE_1)
	s_mov_b32 s5, s4
	s_mov_b32 s6, s4
	;; [unrolled: 1-line block ×7, first 2 shown]
	s_delay_alu instid0(SALU_CYCLE_1)
	v_dual_mov_b32 v118, s11 :: v_dual_mov_b32 v117, s10
	v_dual_mov_b32 v116, s9 :: v_dual_mov_b32 v115, s8
	v_mov_b32_e32 v113, s6
	v_dual_mov_b32 v111, s4 :: v_dual_mov_b32 v114, s7
	v_mov_b32_e32 v112, s5
	s_waitcnt vmcnt(1)
	v_mad_i64_i32 v[1:2], null, v5, s17, s[2:3]
	v_lshlrev_b32_e32 v5, 4, v68
	s_waitcnt vmcnt(0)
	v_mad_i64_i32 v[3:4], null, v6, s17, s[2:3]
	s_or_b32 s2, s12, 0xc0
	s_delay_alu instid0(SALU_CYCLE_1) | instskip(NEXT) | instid1(VALU_DEP_3)
	s_ashr_i32 s3, s2, 5
	v_add_co_u32 v1, vcc_lo, v1, v5
	s_delay_alu instid0(VALU_DEP_4) | instskip(NEXT) | instid1(VALU_DEP_3)
	v_add_co_ci_u32_e32 v2, vcc_lo, 0, v2, vcc_lo
	v_add_co_u32 v3, vcc_lo, v3, v5
	s_delay_alu instid0(VALU_DEP_4)
	v_add_co_ci_u32_e32 v4, vcc_lo, 0, v4, vcc_lo
	s_clause 0xf
	global_load_b128 v[17:20], v[1:2], off
	global_load_b128 v[21:24], v[1:2], off offset:512
	global_load_b128 v[25:28], v[3:4], off offset:256
	;; [unrolled: 1-line block ×15, first 2 shown]
	s_cmp_lt_i32 s2, s24
	v_cmp_ne_u32_e32 vcc_lo, 15, v68
	s_cselect_b32 s2, s3, s13
	v_lshlrev_b32_e32 v2, 5, v68
	s_ashr_i32 s3, s2, 31
	s_delay_alu instid0(SALU_CYCLE_1) | instskip(SKIP_4) | instid1(SALU_CYCLE_1)
	s_lshl_b64 s[2:3], s[2:3], 2
	v_cndmask_b32_e32 v1, 0, v68, vcc_lo
	s_add_u32 s2, s16, s2
	s_addc_u32 s3, s25, s3
	s_or_b32 s20, s12, 0xe0
	s_ashr_i32 s21, s20, 5
	s_cmp_lt_i32 s20, s24
	v_lshlrev_b32_e32 v149, 6, v1
	s_cselect_b32 s20, s21, s13
	v_lshl_or_b32 v1, v69, 9, v2
	s_ashr_i32 s21, s20, 31
	ds_load_b128 v[119:122], v149
	ds_load_b128 v[123:126], v149 offset:1024
	s_lshl_b64 s[4:5], s[20:21], 2
	ds_load_b128 v[127:130], v149 offset:2048
	ds_load_b128 v[131:134], v149 offset:3072
	s_add_u32 s4, s16, s4
	s_addc_u32 s5, s25, s5
	s_clause 0x1
	s_load_b32 s2, s[2:3], 0x0
	s_load_b32 s3, s[4:5], 0x0
	s_add_u32 s6, s22, s15
	s_addc_u32 s7, s23, s18
	v_add_co_u32 v135, s6, s6, v1
	s_delay_alu instid0(VALU_DEP_1) | instskip(SKIP_1) | instid1(VALU_DEP_1)
	v_add_co_ci_u32_e64 v136, null, s7, 0, s6
	s_waitcnt lgkmcnt(0)
	v_mad_i64_i32 v[1:2], null, s28, s17, v[135:136]
	v_mad_i64_i32 v[3:4], null, s29, s17, v[135:136]
	;; [unrolled: 1-line block ×6, first 2 shown]
	s_clause 0x9
	global_load_b128 v[49:52], v[1:2], off
	global_load_b128 v[53:56], v[1:2], off offset:16
	global_load_b128 v[41:44], v[3:4], off
	global_load_b128 v[45:48], v[3:4], off offset:16
	;; [unrolled: 2-line block ×5, first 2 shown]
	v_mad_i64_i32 v[145:146], null, s2, s17, v[135:136]
	v_mad_i64_i32 v[147:148], null, s3, s17, v[135:136]
	s_waitcnt vmcnt(24)
	v_wmma_f32_16x16x16_f16 v[135:142], v[17:24], v[119:126], v[111:118]
	s_waitcnt vmcnt(22)
	v_wmma_f32_16x16x16_f16 v[111:118], v[25:32], v[119:126], v[111:118]
	s_clause 0x3
	global_load_b128 v[17:20], v[143:144], off
	global_load_b128 v[21:24], v[143:144], off offset:16
	global_load_b128 v[25:28], v[145:146], off
	global_load_b128 v[29:32], v[145:146], off offset:16
	v_and_b32_e32 v119, 0xe0, v0
	s_waitcnt vmcnt(24)
	v_wmma_f32_16x16x16_f16 v[135:142], v[57:64], v[127:134], v[135:142]
	s_clause 0x1
	global_load_b128 v[57:60], v[147:148], off
	global_load_b128 v[61:64], v[147:148], off offset:16
	s_waitcnt vmcnt(24)
	v_wmma_f32_16x16x16_f16 v[111:118], v[71:78], v[127:134], v[111:118]
	ds_load_b128 v[71:74], v149 offset:4096
	ds_load_b128 v[75:78], v149 offset:5120
	v_add_nc_u32_e32 v128, s12, v119
	ds_load_b128 v[119:122], v149 offset:6144
	ds_load_b128 v[123:126], v149 offset:7168
	v_mbcnt_lo_u32_b32 v127, -1, 0
	s_waitcnt vmcnt(0) lgkmcnt(0)
	s_barrier
	v_or_b32_e32 v128, v128, v66
	buffer_gl0_inv
	v_xor_b32_e32 v129, 16, v127
	v_or_b32_e32 v130, 4, v128
	v_or_b32_e32 v131, 6, v128
	s_delay_alu instid0(VALU_DEP_3) | instskip(SKIP_4) | instid1(VALU_DEP_4)
	v_cmp_gt_i32_e32 vcc_lo, 32, v129
	v_or_b32_e32 v132, 8, v128
	v_or_b32_e32 v133, 10, v128
	v_cmp_gt_i32_e64 s3, s24, v130
	v_cmp_gt_i32_e64 s4, s24, v131
	;; [unrolled: 1-line block ×3, first 2 shown]
	v_wmma_f32_16x16x16_f16 v[135:142], v[79:86], v[71:78], v[135:142]
	v_wmma_f32_16x16x16_f16 v[111:118], v[87:94], v[71:78], v[111:118]
	v_or_b32_e32 v79, 12, v128
	v_or_b32_e32 v80, 14, v128
	v_cmp_gt_i32_e64 s6, s24, v133
	v_wmma_f32_16x16x16_f16 v[135:142], v[95:102], v[119:126], v[135:142]
	v_cndmask_b32_e32 v127, v127, v129, vcc_lo
	v_or_b32_e32 v129, 2, v128
	v_wmma_f32_16x16x16_f16 v[111:118], v[103:110], v[119:126], v[111:118]
	v_cmp_gt_i32_e32 vcc_lo, s24, v128
	v_dual_mul_f32 v88, s19, v135 :: v_dual_mul_f32 v87, s19, v136
	s_delay_alu instid0(VALU_DEP_4) | instskip(NEXT) | instid1(VALU_DEP_4)
	v_cmp_gt_i32_e64 s2, s24, v129
	v_mul_f32_e32 v94, s19, v113
	v_mul_f32_e32 v78, s19, v138
	;; [unrolled: 1-line block ×3, first 2 shown]
	v_cndmask_b32_e32 v88, 0xff7fffff, v88, vcc_lo
	v_cndmask_b32_e64 v87, 0xff7fffff, v87, s2
	v_dual_mul_f32 v76, s19, v140 :: v_dual_mul_f32 v77, s19, v139
	v_mul_f32_e32 v90, s19, v117
	v_cndmask_b32_e64 v86, 0xff7fffff, v86, s3
	v_cndmask_b32_e64 v78, 0xff7fffff, v78, s4
	v_max3_f32 v87, v88, 0xff7fffff, v87
	v_or_b32_e32 v81, 16, v128
	v_or_b32_e32 v82, 18, v128
	v_dual_mul_f32 v74, s19, v142 :: v_dual_mul_f32 v75, s19, v141
	v_mul_f32_e32 v92, s19, v115
	v_cndmask_b32_e64 v77, 0xff7fffff, v77, s5
	v_cndmask_b32_e64 v76, 0xff7fffff, v76, s6
	v_max3_f32 v78, v87, v86, v78
	v_cmp_gt_i32_e64 s7, s24, v79
	v_cmp_gt_i32_e64 s8, s24, v80
	v_or_b32_e32 v83, 20, v128
	v_or_b32_e32 v84, 22, v128
	v_dual_mul_f32 v89, s19, v118 :: v_dual_mul_f32 v96, s19, v111
	v_mul_f32_e32 v95, s19, v112
	v_cndmask_b32_e64 v75, 0xff7fffff, v75, s7
	v_cndmask_b32_e64 v74, 0xff7fffff, v74, s8
	v_max3_f32 v76, v78, v77, v76
	v_cmp_gt_i32_e64 s9, s24, v81
	v_cmp_gt_i32_e64 s10, s24, v82
	v_or_b32_e32 v85, 24, v128
	v_or_b32_e32 v71, 26, v128
	v_mul_f32_e32 v93, s19, v114
	v_cndmask_b32_e64 v77, 0xff7fffff, v96, s9
	v_cndmask_b32_e64 v78, 0xff7fffff, v95, s10
	v_max3_f32 v74, v76, v75, v74
	v_cmp_gt_i32_e64 s11, s24, v83
	v_cmp_gt_i32_e64 s12, s24, v84
	v_or_b32_e32 v72, 28, v128
	v_or_b32_e32 v73, 30, v128
	v_mul_f32_e32 v91, s19, v116
	v_cndmask_b32_e64 v75, 0xff7fffff, v94, s11
	v_cndmask_b32_e64 v76, 0xff7fffff, v93, s12
	v_max3_f32 v74, v74, v77, v78
	v_cmp_gt_i32_e64 s13, s24, v85
	v_cmp_gt_i32_e64 s15, s24, v71
	;; [unrolled: 1-line block ×4, first 2 shown]
	v_max3_f32 v74, v74, v75, v76
	v_cndmask_b32_e64 v77, 0xff7fffff, v92, s13
	v_cndmask_b32_e64 v71, 0xff7fffff, v91, s15
	;; [unrolled: 1-line block ×4, first 2 shown]
	s_delay_alu instid0(VALU_DEP_3) | instskip(SKIP_1) | instid1(VALU_DEP_2)
	v_max3_f32 v71, v74, v77, v71
	v_lshlrev_b32_e32 v74, 2, v127
	v_max3_f32 v71, v71, v72, v73
	ds_bpermute_b32 v72, v74, v71
	s_waitcnt lgkmcnt(0)
	v_max_f32_e32 v72, v72, v72
	s_delay_alu instid0(VALU_DEP_1) | instskip(NEXT) | instid1(VALU_DEP_1)
	v_max_f32_e32 v71, v71, v72
	v_fma_f32 v75, s19, v137, -v71
	v_fma_f32 v76, s19, v138, -v71
	v_fma_f32 v72, s19, v135, -v71
	v_fma_f32 v80, s19, v141, -v71
	v_fma_f32 v73, s19, v136, -v71
	s_delay_alu instid0(VALU_DEP_4) | instskip(NEXT) | instid1(VALU_DEP_4)
	v_dual_mul_f32 v75, 0x3fb8aa3b, v75 :: v_dual_mul_f32 v76, 0x3fb8aa3b, v76
	v_mul_f32_e32 v72, 0x3fb8aa3b, v72
	v_fma_f32 v77, s19, v139, -v71
	s_delay_alu instid0(VALU_DEP_4) | instskip(NEXT) | instid1(VALU_DEP_4)
	v_mul_f32_e32 v73, 0x3fb8aa3b, v73
	v_exp_f32_e32 v75, v75
	v_exp_f32_e32 v76, v76
	;; [unrolled: 1-line block ×3, first 2 shown]
	s_delay_alu instid0(VALU_DEP_1) | instskip(SKIP_2) | instid1(TRANS32_DEP_3)
	v_exp_f32_e32 v73, v73
	v_cndmask_b32_e64 v81, 0, v75, s3
	v_mul_f32_e32 v82, 0x3fb8aa3b, v80
	v_cndmask_b32_e64 v80, 0, v76, s4
	s_waitcnt_depctr 0xfff
	v_cndmask_b32_e64 v78, 0, v73, s2
	v_cmp_gt_u32_e64 s2, 16, v70
	v_exp_f32_e32 v84, v82
	s_waitcnt_depctr 0xfff
	v_cndmask_b32_e64 v85, 0, v84, s7
	v_cndmask_b32_e32 v79, 0, v72, vcc_lo
	v_fma_f32 v72, s19, v140, -v71
	v_mul_f32_e32 v77, 0x3fb8aa3b, v77
	s_delay_alu instid0(VALU_DEP_2) | instskip(NEXT) | instid1(VALU_DEP_2)
	v_dual_add_f32 v73, 0, v79 :: v_dual_mul_f32 v72, 0x3fb8aa3b, v72
	v_exp_f32_e32 v77, v77
	s_delay_alu instid0(VALU_DEP_1) | instskip(NEXT) | instid1(VALU_DEP_2)
	v_add_f32_e32 v73, v73, v78
	v_exp_f32_e32 v72, v72
	s_delay_alu instid0(VALU_DEP_1) | instskip(SKIP_4) | instid1(VALU_DEP_2)
	v_add_f32_e32 v73, v73, v81
	s_waitcnt_depctr 0xfff
	v_cndmask_b32_e64 v83, 0, v77, s5
	v_add_f32_e32 v73, v73, v80
	v_cndmask_b32_e64 v82, 0, v72, s6
	v_add_f32_e32 v72, v73, v83
	s_delay_alu instid0(VALU_DEP_1)
	v_add_f32_e32 v72, v72, v82
	v_fma_f32 v75, s19, v142, -v71
	v_fma_f32 v76, s19, v111, -v71
	v_fma_f32 v86, s19, v114, -v71
	v_fma_f32 v77, s19, v112, -v71
	v_fma_f32 v73, s19, v113, -v71
	s_delay_alu instid0(VALU_DEP_4) | instskip(NEXT) | instid1(VALU_DEP_4)
	v_dual_mul_f32 v75, 0x3fb8aa3b, v75 :: v_dual_mul_f32 v76, 0x3fb8aa3b, v76
	v_mul_f32_e32 v86, 0x3fb8aa3b, v86
	v_add_f32_e32 v72, v72, v85
	s_delay_alu instid0(VALU_DEP_3) | instskip(NEXT) | instid1(VALU_DEP_3)
	v_exp_f32_e32 v75, v75
	v_exp_f32_e32 v76, v76
	s_delay_alu instid0(VALU_DEP_2) | instskip(NEXT) | instid1(TRANS32_DEP_3)
	v_exp_f32_e32 v88, v86
	v_cndmask_b32_e64 v84, 0, v75, s8
	v_mul_f32_e32 v77, 0x3fb8aa3b, v77
	s_waitcnt_depctr 0xfff
	v_cndmask_b32_e64 v87, 0, v76, s9
	v_fma_f32 v76, s19, v116, -v71
	v_dual_mul_f32 v73, 0x3fb8aa3b, v73 :: v_dual_add_f32 v72, v72, v84
	v_exp_f32_e32 v77, v77
	v_fma_f32 v75, s19, v115, -v71
	s_delay_alu instid0(VALU_DEP_3) | instskip(NEXT) | instid1(VALU_DEP_3)
	v_mul_f32_e32 v76, 0x3fb8aa3b, v76
	v_exp_f32_e32 v73, v73
	v_add_f32_e32 v72, v72, v87
	v_cndmask_b32_e64 v88, 0, v88, s12
	s_delay_alu instid0(VALU_DEP_3) | instskip(NEXT) | instid1(TRANS32_DEP_3)
	v_exp_f32_e32 v76, v76
	v_cndmask_b32_e64 v86, 0, v77, s10
	v_mul_f32_e32 v75, 0x3fb8aa3b, v75
	v_fma_f32 v77, s19, v117, -v71
	s_delay_alu instid0(TRANS32_DEP_2) | instskip(NEXT) | instid1(VALU_DEP_4)
	v_cndmask_b32_e64 v89, 0, v73, s11
	v_add_f32_e32 v72, v72, v86
	s_delay_alu instid0(VALU_DEP_4) | instskip(NEXT) | instid1(TRANS32_DEP_2)
	v_exp_f32_e32 v75, v75
	v_cndmask_b32_e64 v90, 0, v76, s15
	s_delay_alu instid0(VALU_DEP_2) | instskip(SKIP_2) | instid1(VALU_DEP_3)
	v_add_f32_e32 v72, v72, v89
	v_mul_f32_e32 v73, 0x3fb8aa3b, v77
	v_fma_f32 v77, s19, v118, -v71
	v_add_f32_e32 v72, v72, v88
	s_delay_alu instid0(VALU_DEP_3) | instskip(NEXT) | instid1(TRANS32_DEP_2)
	v_exp_f32_e32 v73, v73
	v_cndmask_b32_e64 v91, 0, v75, s13
	s_delay_alu instid0(VALU_DEP_1) | instskip(NEXT) | instid1(VALU_DEP_1)
	v_dual_mul_f32 v75, 0x3fb8aa3b, v77 :: v_dual_add_f32 v72, v72, v91
	v_exp_f32_e32 v75, v75
	s_waitcnt_depctr 0xfff
	v_cndmask_b32_e64 v93, 0, v73, s16
	v_add_f32_e32 v72, v72, v90
	s_delay_alu instid0(VALU_DEP_1) | instskip(SKIP_1) | instid1(VALU_DEP_1)
	v_add_f32_e32 v72, v72, v93
	v_cndmask_b32_e64 v92, 0, v75, s17
	v_add_f32_e32 v72, v72, v92
	ds_bpermute_b32 v73, v74, v72
	s_and_saveexec_b32 s3, s2
	s_cbranch_execz .LBB1044_12
; %bb.11:
	v_mul_u32_u24_e32 v70, 0x44, v69
	s_waitcnt lgkmcnt(0)
	v_add_f32_e32 v72, v72, v73
	s_delay_alu instid0(VALU_DEP_2) | instskip(NEXT) | instid1(VALU_DEP_1)
	v_lshl_add_u32 v70, v68, 2, v70
	v_add_nc_u32_e32 v70, 0x4000, v70
	ds_store_2addr_b32 v70, v71, v72 offset1:136
.LBB1044_12:
	s_or_b32 exec_lo, exec_lo, s3
	v_lshlrev_b32_e32 v70, 2, v68
	s_load_b32 s35, s[0:1], 0x94
	s_waitcnt lgkmcnt(0)
	s_barrier
	buffer_gl0_inv
	v_add_nc_u32_e32 v98, 0x4000, v70
	v_cmp_eq_u32_e32 vcc_lo, 1, v69
	v_cmp_eq_u32_e64 s3, 2, v69
	v_cmp_eq_u32_e64 s4, 3, v69
	;; [unrolled: 1-line block ×3, first 2 shown]
	ds_load_2addr_b32 v[70:71], v98 offset1:17
	ds_load_2addr_b32 v[72:73], v98 offset0:34 offset1:51
	ds_load_2addr_b32 v[74:75], v98 offset0:68 offset1:85
	;; [unrolled: 1-line block ×3, first 2 shown]
	v_cmp_eq_u32_e64 s6, 5, v69
	v_cmp_eq_u32_e64 s7, 7, v69
	s_waitcnt lgkmcnt(3)
	v_max3_f32 v76, v70, 0xff7fffff, v71
	s_waitcnt lgkmcnt(2)
	s_delay_alu instid0(VALU_DEP_1) | instskip(SKIP_1) | instid1(VALU_DEP_1)
	v_max3_f32 v76, v76, v72, v73
	s_waitcnt lgkmcnt(1)
	v_max3_f32 v76, v76, v74, v75
	s_waitcnt lgkmcnt(0)
	s_delay_alu instid0(VALU_DEP_1) | instskip(NEXT) | instid1(VALU_DEP_1)
	v_max3_f32 v76, v76, v94, v95
	v_sub_f32_e32 v77, v71, v76
	ds_load_2addr_b32 v[96:97], v98 offset0:136 offset1:153
	v_sub_f32_e32 v74, v74, v76
	v_sub_f32_e32 v70, v70, v76
	;; [unrolled: 1-line block ×3, first 2 shown]
	v_dual_sub_f32 v72, v72, v76 :: v_dual_mul_f32 v77, 0x3fb8aa3b, v77
	s_delay_alu instid0(VALU_DEP_4) | instskip(NEXT) | instid1(VALU_DEP_4)
	v_mul_f32_e32 v103, 0x3fb8aa3b, v74
	v_mul_f32_e32 v99, 0x3fb8aa3b, v70
	ds_load_2addr_b32 v[70:71], v98 offset0:170 offset1:187
	v_dual_mul_f32 v101, 0x3fb8aa3b, v72 :: v_dual_mul_f32 v94, 0x3fb8aa3b, v94
	v_exp_f32_e32 v102, v77
	v_exp_f32_e32 v99, v99
	s_delay_alu instid0(VALU_DEP_1) | instskip(NEXT) | instid1(VALU_DEP_1)
	v_exp_f32_e32 v101, v101
	v_exp_f32_e32 v94, v94
	s_waitcnt lgkmcnt(1)
	s_delay_alu instid0(TRANS32_DEP_3)
	v_fma_f32 v77, v99, v96, 0
	v_sub_f32_e32 v100, v73, v76
	ds_load_2addr_b32 v[72:73], v98 offset0:204 offset1:221
	v_fmac_f32_e32 v77, v102, v97
	v_exp_f32_e32 v97, v103
	s_waitcnt lgkmcnt(1)
	s_delay_alu instid0(VALU_DEP_1)
	v_dual_fmac_f32 v77, v101, v70 :: v_dual_sub_f32 v96, v75, v76
	ds_load_2addr_b32 v[74:75], v98 offset0:238 offset1:255
	v_sub_f32_e32 v70, v95, v76
	s_waitcnt lgkmcnt(0)
	s_barrier
	v_mul_f32_e32 v96, 0x3fb8aa3b, v96
	buffer_gl0_inv
	v_exp_f32_e32 v95, v96
	v_mul_f32_e32 v100, 0x3fb8aa3b, v100
	s_delay_alu instid0(VALU_DEP_1) | instskip(SKIP_3) | instid1(VALU_DEP_2)
	v_exp_f32_e32 v100, v100
	s_waitcnt_depctr 0xfff
	v_dual_fmac_f32 v77, v100, v71 :: v_dual_mul_f32 v70, 0x3fb8aa3b, v70
	v_cndmask_b32_e32 v71, v99, v102, vcc_lo
	v_fmac_f32_e32 v77, v97, v72
	s_delay_alu instid0(VALU_DEP_3) | instskip(NEXT) | instid1(VALU_DEP_1)
	v_exp_f32_e32 v96, v70
	v_fmac_f32_e32 v77, v95, v73
	s_delay_alu instid0(VALU_DEP_1) | instskip(SKIP_2) | instid1(VALU_DEP_1)
	v_fmac_f32_e32 v77, v94, v74
	s_waitcnt_depctr 0xfff
	v_fmac_f32_e32 v77, v96, v75
	v_add_f32_e32 v74, 0x358637bd, v77
	s_delay_alu instid0(VALU_DEP_1) | instskip(SKIP_1) | instid1(VALU_DEP_2)
	v_div_scale_f32 v98, null, v74, v74, 1.0
	v_div_scale_f32 v99, vcc_lo, 1.0, v74, 1.0
	v_rcp_f32_e32 v103, v98
	s_waitcnt_depctr 0xfff
	v_fma_f32 v70, -v98, v103, 1.0
	s_delay_alu instid0(VALU_DEP_1) | instskip(SKIP_2) | instid1(VALU_DEP_2)
	v_fmac_f32_e32 v103, v70, v103
	v_cndmask_b32_e64 v70, v71, v101, s3
	v_cmp_eq_u32_e64 s3, 6, v69
	v_cndmask_b32_e64 v71, v70, v100, s4
	s_delay_alu instid0(VALU_DEP_4) | instskip(NEXT) | instid1(VALU_DEP_2)
	v_dual_mul_f32 v101, v99, v103 :: v_dual_lshlrev_b32 v70, 2, v66
	v_cndmask_b32_e64 v71, v71, v97, s5
	s_delay_alu instid0(VALU_DEP_2) | instskip(NEXT) | instid1(VALU_DEP_3)
	v_or_b32_e32 v72, 1, v70
	v_fma_f32 v100, -v98, v101, v99
	v_cmp_eq_u32_e64 s4, 1, v70
	v_cmp_eq_u32_e64 s5, 2, v70
	v_cndmask_b32_e64 v95, v71, v95, s6
	v_or_b32_e32 v71, 3, v70
	v_fmac_f32_e32 v101, v100, v103
	v_cmp_eq_u32_e64 s9, 1, v72
	v_cmp_eq_u32_e64 s12, 2, v72
	v_cndmask_b32_e64 v94, v95, v94, s3
	v_cmp_eq_u32_e64 s11, 1, v71
	v_fma_f32 v97, -v98, v101, v99
	v_cmp_eq_u32_e64 s16, 2, v71
	v_cmp_eq_u32_e64 s13, 3, v72
	v_cndmask_b32_e64 v94, v94, v96, s7
	v_cmp_eq_u32_e64 s18, 3, v71
	v_div_fmas_f32 v95, v97, v103, v101
	v_cmp_eq_u32_e32 vcc_lo, 3, v70
	v_cmp_eq_u32_e64 s3, 4, v70
	v_cmp_eq_u32_e64 s19, 4, v72
	;; [unrolled: 1-line block ×3, first 2 shown]
	v_div_fixup_f32 v95, v95, v74, 1.0
	v_lshlrev_b32_e32 v73, 6, v68
	v_cmp_eq_u32_e64 s6, 5, v70
	v_cmp_eq_u32_e64 s20, 5, v72
	;; [unrolled: 1-line block ×3, first 2 shown]
	v_mul_f32_e32 v102, v94, v95
	v_lshl_or_b32 v75, v69, 11, v73
	v_or_b32_e32 v69, 2, v70
	v_cmp_eq_u32_e64 s25, 6, v72
	v_cmp_eq_u32_e64 s27, 6, v71
	v_fma_mixlo_f16 v94, v102, v79, 0
	v_fma_mixlo_f16 v95, v102, v81, 0
	;; [unrolled: 1-line block ×8, first 2 shown]
	v_lshl_or_b32 v74, v66, 4, v75
	v_fma_mixhi_f16 v94, v102, v78, 0
	v_fma_mixhi_f16 v95, v102, v80, 0
	;; [unrolled: 1-line block ×8, first 2 shown]
	ds_store_b128 v74, v[94:97]
	ds_store_b128 v74, v[98:101] offset:1024
	s_waitcnt lgkmcnt(0)
	s_barrier
	buffer_gl0_inv
	ds_load_b128 v[78:81], v75
	ds_load_b128 v[82:85], v75 offset:16
	ds_load_b128 v[86:89], v75 offset:1024
	;; [unrolled: 1-line block ×3, first 2 shown]
	v_cmp_eq_u32_e64 s10, 1, v69
	v_cmp_eq_u32_e64 s15, 2, v69
	;; [unrolled: 1-line block ×11, first 2 shown]
	s_waitcnt lgkmcnt(3)
	v_lshrrev_b32_e32 v94, 16, v78
	s_waitcnt lgkmcnt(2)
	v_lshrrev_b32_e32 v98, 16, v82
	;; [unrolled: 2-line block ×4, first 2 shown]
	v_lshrrev_b32_e32 v95, 16, v79
	v_cndmask_b32_e64 v110, v78, v94, s4
	v_cndmask_b32_e64 v111, v82, v98, s4
	;; [unrolled: 1-line block ×8, first 2 shown]
	v_lshrrev_b32_e32 v99, 16, v83
	v_cndmask_b32_e64 v94, v86, v102, s4
	v_cndmask_b32_e64 v98, v90, v106, s4
	;; [unrolled: 1-line block ×15, first 2 shown]
	v_lshrrev_b32_e32 v103, 16, v87
	v_lshrrev_b32_e32 v107, 16, v91
	v_cndmask_b32_e64 v113, v115, v83, s15
	v_cndmask_b32_e64 v82, v94, v87, s5
	;; [unrolled: 1-line block ×7, first 2 shown]
	v_cndmask_b32_e32 v90, v102, v95, vcc_lo
	v_cndmask_b32_e32 v102, v106, v99, vcc_lo
	v_cndmask_b32_e64 v106, v110, v95, s13
	v_cndmask_b32_e64 v110, v111, v99, s13
	;; [unrolled: 1-line block ×4, first 2 shown]
	v_lshrrev_b32_e32 v96, 16, v80
	v_lshrrev_b32_e32 v100, 16, v84
	v_cndmask_b32_e64 v111, v112, v95, s17
	v_cndmask_b32_e64 v112, v113, v99, s17
	v_cndmask_b32_e32 v82, v82, v103, vcc_lo
	v_cndmask_b32_e32 v83, v83, v107, vcc_lo
	v_cndmask_b32_e64 v94, v94, v103, s13
	v_cndmask_b32_e64 v90, v90, v80, s3
	;; [unrolled: 1-line block ×7, first 2 shown]
	v_lshrrev_b32_e32 v104, 16, v88
	v_cndmask_b32_e64 v106, v111, v80, s21
	v_cndmask_b32_e64 v110, v112, v84, s21
	;; [unrolled: 1-line block ×11, first 2 shown]
	v_lshrrev_b32_e32 v97, 16, v81
	v_lshrrev_b32_e32 v101, 16, v85
	v_cndmask_b32_e64 v99, v106, v96, s23
	v_cndmask_b32_e64 v102, v110, v100, s23
	v_cndmask_b32_e64 v83, v83, v104, s20
	v_cndmask_b32_e64 v94, v94, v81, s25
	v_cndmask_b32_e64 v95, v95, v85, s25
	v_cndmask_b32_e64 v78, v78, v81, s27
	v_cndmask_b32_e64 v79, v79, v85, s27
	v_lshrrev_b32_e32 v105, 16, v89
	v_cndmask_b32_e64 v80, v80, v104, s6
	v_cndmask_b32_e64 v84, v84, v81, s7
	;; [unrolled: 1-line block ×16, first 2 shown]
	v_perm_b32 v81, v79, v78, 0x5040100
	v_perm_b32 v79, v95, v85, 0x5040100
	v_cndmask_b32_e64 v78, v119, v91, s15
	v_cndmask_b32_e64 v85, v117, v91, s12
	;; [unrolled: 1-line block ×3, first 2 shown]
	v_perm_b32 v80, v94, v90, 0x5040100
	v_cndmask_b32_e64 v90, v98, v103, s17
	v_cndmask_b32_e64 v86, v86, v103, s18
	;; [unrolled: 1-line block ×5, first 2 shown]
	v_lshrrev_b32_e32 v108, 16, v92
	v_cndmask_b32_e64 v90, v90, v88, s21
	v_cndmask_b32_e64 v86, v86, v88, s22
	;; [unrolled: 1-line block ×11, first 2 shown]
	v_lshrrev_b32_e32 v109, 16, v93
	v_cndmask_b32_e64 v82, v82, v93, s7
	v_cndmask_b32_e64 v88, v88, v89, s26
	;; [unrolled: 1-line block ×12, first 2 shown]
	v_perm_b32 v78, v84, v83, 0x5040100
	v_perm_b32 v85, v87, v86, 0x5040100
	;; [unrolled: 1-line block ×5, first 2 shown]
	s_mul_i32 s8, s33, 15
	s_mov_b32 s3, exec_lo
	ds_store_b128 v74, v[78:81]
	ds_store_b128 v74, v[82:85] offset:1024
	v_cmpx_gt_u32_e32 15, v0
	s_cbranch_execz .LBB1044_14
; %bb.13:
	s_mul_i32 s4, s8, s34
	s_delay_alu instid0(SALU_CYCLE_1) | instskip(SKIP_1) | instid1(VALU_DEP_1)
	v_add3_u32 v68, s4, s31, v68
	s_load_b128 s[4:7], s[0:1], 0x58
	v_mad_u64_u32 v[78:79], null, v68, s35, s[14:15]
	s_delay_alu instid0(VALU_DEP_1) | instskip(NEXT) | instid1(VALU_DEP_1)
	v_ashrrev_i32_e32 v79, 31, v78
	v_lshlrev_b64 v[78:79], 2, v[78:79]
	s_waitcnt lgkmcnt(0)
	s_delay_alu instid0(VALU_DEP_1) | instskip(NEXT) | instid1(VALU_DEP_2)
	v_add_co_u32 v80, vcc_lo, s6, v78
	v_add_co_ci_u32_e32 v81, vcc_lo, s7, v79, vcc_lo
	v_add_co_u32 v78, vcc_lo, s4, v78
	v_add_co_ci_u32_e32 v79, vcc_lo, s5, v79, vcc_lo
	global_store_b32 v[80:81], v76, off
	global_store_b32 v[78:79], v77, off
.LBB1044_14:
	s_or_b32 exec_lo, exec_lo, s3
	s_waitcnt lgkmcnt(0)
	s_waitcnt_vscnt null, 0x0
	s_barrier
	buffer_gl0_inv
	ds_load_b128 v[84:87], v73
	ds_load_b128 v[88:91], v73 offset:16
	ds_load_b128 v[96:99], v73 offset:2064
	;; [unrolled: 1-line block ×5, first 2 shown]
	v_cmp_eq_u32_e32 vcc_lo, 1, v70
	v_mov_b32_e32 v76, 0
	ds_load_b128 v[112:115], v73 offset:6160
	ds_load_b128 v[108:111], v73 offset:6144
	;; [unrolled: 1-line block ×4, first 2 shown]
	v_cmp_eq_u32_e64 s4, 1, v69
	v_cmp_eq_u32_e64 s3, 1, v72
	;; [unrolled: 1-line block ×3, first 2 shown]
	v_mov_b32_e32 v77, v76
	v_mov_b32_e32 v78, v76
	;; [unrolled: 1-line block ×7, first 2 shown]
	v_cmp_eq_u32_e64 s6, 3, v72
	v_cmp_eq_u32_e64 s7, 7, v72
	s_waitcnt lgkmcnt(8)
	s_delay_alu instid0(VALU_DEP_3)
	v_wmma_f32_16x16x16_f16 v[76:83], v[49:56], v[84:91], v[76:83]
	ds_load_b128 v[53:56], v73 offset:10256
	ds_load_b128 v[49:52], v73 offset:10240
	s_waitcnt lgkmcnt(8)
	v_wmma_f32_16x16x16_f16 v[76:83], v[41:48], v[92:99], v[76:83]
	ds_load_b128 v[45:48], v73 offset:12304
	ds_load_b128 v[41:44], v73 offset:12288
	s_waitcnt lgkmcnt(8)
	;; [unrolled: 4-line block ×3, first 2 shown]
	s_barrier
	buffer_gl0_inv
	v_wmma_f32_16x16x16_f16 v[76:83], v[1:8], v[108:115], v[76:83]
	s_delay_alu instid0(VALU_DEP_1) | instskip(NEXT) | instid1(VALU_DEP_1)
	v_wmma_f32_16x16x16_f16 v[76:83], v[9:16], v[116:123], v[76:83]
	v_wmma_f32_16x16x16_f16 v[76:83], v[17:24], v[49:56], v[76:83]
	s_delay_alu instid0(VALU_DEP_1) | instskip(NEXT) | instid1(VALU_DEP_1)
	v_wmma_f32_16x16x16_f16 v[76:83], v[25:32], v[41:48], v[76:83]
	v_wmma_f32_16x16x16_f16 v[76:83], v[57:64], v[33:40], v[76:83]
	s_delay_alu instid0(VALU_DEP_1) | instskip(NEXT) | instid1(VALU_DEP_2)
	v_cvt_f16_f32_e32 v1, v76
	v_cvt_f16_f32_e32 v2, v77
	s_delay_alu instid0(VALU_DEP_3) | instskip(NEXT) | instid1(VALU_DEP_4)
	v_cvt_f16_f32_e32 v3, v78
	v_cvt_f16_f32_e32 v4, v79
	v_cvt_f16_f32_e32 v5, v80
	v_cvt_f16_f32_e32 v6, v81
	v_cvt_f16_f32_e32 v7, v82
	v_cvt_f16_f32_e32 v8, v83
	v_pack_b32_f16 v1, v1, v2
	v_pack_b32_f16 v2, v3, v4
	;; [unrolled: 1-line block ×3, first 2 shown]
	s_delay_alu instid0(VALU_DEP_4)
	v_pack_b32_f16 v4, v7, v8
	ds_store_b128 v74, v[1:4]
	s_waitcnt lgkmcnt(0)
	s_barrier
	buffer_gl0_inv
	ds_load_b128 v[1:4], v75
	ds_load_b128 v[5:8], v75 offset:16
	s_waitcnt lgkmcnt(1)
	v_lshrrev_b32_e32 v9, 16, v1
	s_waitcnt lgkmcnt(0)
	v_lshrrev_b32_e32 v13, 16, v5
	v_lshrrev_b32_e32 v10, 16, v2
	v_lshrrev_b32_e32 v14, 16, v6
	v_lshrrev_b32_e32 v11, 16, v3
	v_cndmask_b32_e32 v17, v1, v9, vcc_lo
	v_cndmask_b32_e32 v18, v5, v13, vcc_lo
	v_cndmask_b32_e64 v21, v1, v9, s4
	v_cmp_eq_u32_e32 vcc_lo, 1, v71
	v_cndmask_b32_e64 v22, v5, v13, s4
	v_cmp_eq_u32_e64 s4, 2, v70
	v_cndmask_b32_e64 v19, v1, v9, s3
	v_cndmask_b32_e64 v20, v5, v13, s3
	v_cndmask_b32_e32 v1, v1, v9, vcc_lo
	v_cmp_eq_u32_e64 s3, 2, v71
	v_cndmask_b32_e32 v5, v5, v13, vcc_lo
	v_cndmask_b32_e64 v9, v17, v2, s4
	v_cmp_eq_u32_e32 vcc_lo, 3, v70
	v_cndmask_b32_e64 v13, v18, v6, s4
	v_cmp_eq_u32_e64 s4, 2, v69
	v_cndmask_b32_e64 v17, v19, v2, s5
	v_cndmask_b32_e64 v18, v20, v6, s5
	v_cmp_eq_u32_e64 s5, 3, v69
	v_cndmask_b32_e64 v1, v1, v2, s3
	v_cndmask_b32_e64 v19, v21, v2, s4
	;; [unrolled: 1-line block ×4, first 2 shown]
	v_cndmask_b32_e32 v5, v9, v10, vcc_lo
	v_cndmask_b32_e32 v6, v13, v14, vcc_lo
	v_cmp_eq_u32_e32 vcc_lo, 3, v71
	v_cndmask_b32_e64 v9, v17, v10, s6
	v_cndmask_b32_e64 v13, v18, v14, s6
	;; [unrolled: 1-line block ×3, first 2 shown]
	v_cmp_eq_u32_e64 s4, 4, v70
	v_cndmask_b32_e32 v1, v1, v10, vcc_lo
	v_cndmask_b32_e32 v2, v2, v14, vcc_lo
	v_cmp_eq_u32_e32 vcc_lo, 4, v72
	v_lshrrev_b32_e32 v15, 16, v7
	v_lshrrev_b32_e32 v16, 16, v8
	v_cndmask_b32_e64 v17, v19, v10, s5
	v_cmp_eq_u32_e64 s3, 4, v71
	v_cndmask_b32_e64 v5, v5, v3, s4
	v_cndmask_b32_e64 v6, v6, v7, s4
	v_cndmask_b32_e32 v9, v9, v3, vcc_lo
	v_cmp_eq_u32_e64 s4, 5, v72
	v_cndmask_b32_e32 v10, v13, v7, vcc_lo
	v_cmp_eq_u32_e32 vcc_lo, 4, v69
	v_cmp_eq_u32_e64 s5, 5, v70
	v_cndmask_b32_e64 v2, v2, v7, s3
	v_cndmask_b32_e64 v9, v9, v11, s4
	;; [unrolled: 1-line block ×3, first 2 shown]
	v_cndmask_b32_e32 v13, v17, v3, vcc_lo
	v_cmp_eq_u32_e64 s4, 5, v69
	v_cndmask_b32_e32 v14, v18, v7, vcc_lo
	v_cndmask_b32_e64 v1, v1, v3, s3
	v_cmp_eq_u32_e32 vcc_lo, 5, v71
	v_lshrrev_b32_e32 v12, 16, v4
	v_cndmask_b32_e64 v13, v13, v11, s4
	v_cndmask_b32_e64 v3, v14, v15, s4
	v_cmp_eq_u32_e64 s4, 6, v71
	v_cndmask_b32_e32 v1, v1, v11, vcc_lo
	v_cndmask_b32_e64 v5, v5, v11, s5
	v_cmp_eq_u32_e64 s6, 6, v70
	v_cndmask_b32_e64 v6, v6, v15, s5
	v_cmp_eq_u32_e64 s5, 6, v72
	v_cmp_eq_u32_e64 s3, 6, v69
	v_cndmask_b32_e64 v1, v1, v4, s4
	v_cndmask_b32_e32 v2, v2, v15, vcc_lo
	v_cmp_eq_u32_e32 vcc_lo, 7, v71
	v_cndmask_b32_e64 v5, v5, v4, s6
	v_cndmask_b32_e64 v9, v9, v4, s5
	;; [unrolled: 1-line block ×3, first 2 shown]
	v_cmp_eq_u32_e64 s6, 7, v70
	v_cndmask_b32_e32 v1, v1, v12, vcc_lo
	v_cndmask_b32_e64 v7, v13, v4, s3
	v_cndmask_b32_e64 v3, v3, v8, s3
	;; [unrolled: 1-line block ×3, first 2 shown]
	v_cmp_eq_u32_e64 s3, 7, v69
	v_cndmask_b32_e64 v4, v10, v8, s5
	v_cndmask_b32_e64 v5, v5, v12, s6
	v_cndmask_b32_e64 v9, v9, v12, s7
	v_cndmask_b32_e32 v2, v2, v16, vcc_lo
	v_cndmask_b32_e64 v7, v7, v12, s3
	v_cndmask_b32_e64 v3, v3, v16, s3
	;; [unrolled: 1-line block ×4, first 2 shown]
	v_perm_b32 v4, v2, v1, 0x5040100
	s_mov_b32 s3, exec_lo
	v_perm_b32 v3, v3, v7, 0x5040100
	v_perm_b32 v2, v8, v9, 0x5040100
	v_perm_b32 v1, v6, v5, 0x5040100
	ds_store_b128 v74, v[1:4]
	s_waitcnt lgkmcnt(0)
	s_barrier
	buffer_gl0_inv
	v_cmpx_gt_u32_e32 32, v0
	s_cbranch_execz .LBB1044_2
; %bb.15:
	s_load_b64 s[4:5], s[0:1], 0x68
	v_add_nc_u32_e32 v20, s31, v66
	v_lshlrev_b32_e32 v0, 10, v0
	v_lshlrev_b32_e32 v1, 4, v67
	s_lshl_b32 s0, s35, 7
	s_delay_alu instid0(SALU_CYCLE_1)
	s_mul_i32 s1, s0, s34
	v_add_nc_u32_e32 v2, 2, v20
	s_mul_i32 s6, s1, s8
	v_and_or_b32 v0, 0x3800, v0, v1
	v_mul_lo_u32 v1, v20, s0
	s_ashr_i32 s7, s6, 31
	v_mul_lo_u32 v11, v2, s0
	s_lshl_b64 s[6:7], s[6:7], 1
	v_add_nc_u32_e32 v3, 4, v20
	v_lshl_or_b32 v21, v66, 6, v0
	v_add_nc_u32_e32 v16, 6, v20
	v_ashrrev_i32_e32 v2, 31, v1
	s_delay_alu instid0(VALU_DEP_4)
	v_mul_lo_u32 v13, v3, s0
	s_waitcnt lgkmcnt(0)
	s_add_u32 s1, s4, s6
	s_addc_u32 s3, s5, s7
	s_lshl_b32 s4, s14, 7
	ds_load_b128 v[3:6], v21
	ds_load_b128 v[7:10], v21 offset:128
	s_ashr_i32 s5, s4, 31
	v_ashrrev_i32_e32 v12, 31, v11
	s_lshl_b64 s[4:5], s[4:5], 1
	v_lshlrev_b64 v[14:15], 1, v[1:2]
	s_add_u32 s1, s1, s4
	s_addc_u32 s3, s3, s5
	v_add_co_u32 v1, s1, s1, v65
	s_delay_alu instid0(VALU_DEP_1) | instskip(SKIP_1) | instid1(VALU_DEP_3)
	v_add_co_ci_u32_e64 v2, null, s3, 0, s1
	v_lshlrev_b64 v[11:12], 1, v[11:12]
	v_add_co_u32 v18, vcc_lo, v1, v14
	v_mul_lo_u32 v16, v16, s0
	s_delay_alu instid0(VALU_DEP_4) | instskip(NEXT) | instid1(VALU_DEP_4)
	v_add_co_ci_u32_e32 v19, vcc_lo, v2, v15, vcc_lo
	v_add_co_u32 v11, vcc_lo, v1, v11
	v_ashrrev_i32_e32 v14, 31, v13
	v_add_co_ci_u32_e32 v12, vcc_lo, v2, v12, vcc_lo
	v_add_nc_u32_e32 v15, 8, v20
	v_ashrrev_i32_e32 v17, 31, v16
	s_waitcnt lgkmcnt(1)
	global_store_b128 v[18:19], v[3:6], off
	v_lshlrev_b64 v[3:4], 1, v[13:14]
	s_waitcnt lgkmcnt(0)
	global_store_b128 v[11:12], v[7:10], off
	v_mul_lo_u32 v11, v15, s0
	v_add_nc_u32_e32 v7, 10, v20
	v_lshlrev_b64 v[5:6], 1, v[16:17]
	v_add_co_u32 v23, vcc_lo, v1, v3
	v_add_nc_u32_e32 v3, 12, v20
	s_delay_alu instid0(VALU_DEP_4)
	v_mul_lo_u32 v25, v7, s0
	v_ashrrev_i32_e32 v12, 31, v11
	v_add_co_ci_u32_e32 v24, vcc_lo, v2, v4, vcc_lo
	v_add_co_u32 v27, vcc_lo, v1, v5
	v_mul_lo_u32 v29, v3, s0
	v_add_co_ci_u32_e32 v28, vcc_lo, v2, v6, vcc_lo
	ds_load_b128 v[3:6], v21 offset:256
	ds_load_b128 v[7:10], v21 offset:384
	v_lshlrev_b64 v[31:32], 1, v[11:12]
	ds_load_b128 v[11:14], v21 offset:512
	ds_load_b128 v[15:18], v21 offset:640
	;; [unrolled: 1-line block ×3, first 2 shown]
	v_ashrrev_i32_e32 v26, 31, v25
	v_ashrrev_i32_e32 v30, 31, v29
	v_add_co_u32 v31, vcc_lo, v1, v31
	s_delay_alu instid0(VALU_DEP_3) | instskip(NEXT) | instid1(VALU_DEP_3)
	v_lshlrev_b64 v[25:26], 1, v[25:26]
	v_lshlrev_b64 v[29:30], 1, v[29:30]
	v_add_co_ci_u32_e32 v32, vcc_lo, v2, v32, vcc_lo
	s_delay_alu instid0(VALU_DEP_3) | instskip(NEXT) | instid1(VALU_DEP_4)
	v_add_co_u32 v25, vcc_lo, v1, v25
	v_add_co_ci_u32_e32 v26, vcc_lo, v2, v26, vcc_lo
	s_delay_alu instid0(VALU_DEP_4)
	v_add_co_u32 v29, vcc_lo, v1, v29
	v_add_co_ci_u32_e32 v30, vcc_lo, v2, v30, vcc_lo
	s_waitcnt lgkmcnt(4)
	global_store_b128 v[23:24], v[3:6], off
	s_waitcnt lgkmcnt(3)
	global_store_b128 v[27:28], v[7:10], off
	;; [unrolled: 2-line block ×5, first 2 shown]
	s_and_b32 exec_lo, exec_lo, s2
	s_cbranch_execz .LBB1044_2
; %bb.16:
	ds_load_b128 v[3:6], v0 offset:896
	s_add_i32 s1, s31, 14
	s_delay_alu instid0(SALU_CYCLE_1) | instskip(NEXT) | instid1(SALU_CYCLE_1)
	s_mul_i32 s0, s1, s0
	s_ashr_i32 s1, s0, 31
	s_delay_alu instid0(SALU_CYCLE_1) | instskip(NEXT) | instid1(SALU_CYCLE_1)
	s_lshl_b64 s[0:1], s[0:1], 1
	v_add_co_u32 v0, vcc_lo, v1, s0
	v_add_co_ci_u32_e32 v1, vcc_lo, s1, v2, vcc_lo
	s_waitcnt lgkmcnt(0)
	global_store_b128 v[0:1], v[3:6], off
	s_nop 0
	s_sendmsg sendmsg(MSG_DEALLOC_VGPRS)
	s_endpgm
	.section	.rodata,"a",@progbits
	.p2align	6, 0x0
	.amdhsa_kernel _Z39paged_attention_ll4mi_QKV_mfma16_kernelIDF16_hLN4vllm18Fp8KVCacheDataTypeE1EhLi32ELi128ELi256ELb0ELi15EL8MFMAType1EEvPKT_PKT0_S8_ifPKiSA_SA_iPKfiiiPfSD_PS3_PT2_iSC_SC_
		.amdhsa_group_segment_fixed_size 17472
		.amdhsa_private_segment_fixed_size 0
		.amdhsa_kernarg_size 400
		.amdhsa_user_sgpr_count 13
		.amdhsa_user_sgpr_dispatch_ptr 0
		.amdhsa_user_sgpr_queue_ptr 0
		.amdhsa_user_sgpr_kernarg_segment_ptr 1
		.amdhsa_user_sgpr_dispatch_id 0
		.amdhsa_user_sgpr_private_segment_size 0
		.amdhsa_wavefront_size32 1
		.amdhsa_uses_dynamic_stack 0
		.amdhsa_enable_private_segment 0
		.amdhsa_system_sgpr_workgroup_id_x 1
		.amdhsa_system_sgpr_workgroup_id_y 1
		.amdhsa_system_sgpr_workgroup_id_z 1
		.amdhsa_system_sgpr_workgroup_info 0
		.amdhsa_system_vgpr_workitem_id 0
		.amdhsa_next_free_vgpr 150
		.amdhsa_next_free_sgpr 37
		.amdhsa_reserve_vcc 1
		.amdhsa_float_round_mode_32 0
		.amdhsa_float_round_mode_16_64 0
		.amdhsa_float_denorm_mode_32 3
		.amdhsa_float_denorm_mode_16_64 3
		.amdhsa_dx10_clamp 1
		.amdhsa_ieee_mode 1
		.amdhsa_fp16_overflow 0
		.amdhsa_workgroup_processor_mode 1
		.amdhsa_memory_ordered 1
		.amdhsa_forward_progress 0
		.amdhsa_shared_vgpr_count 0
		.amdhsa_exception_fp_ieee_invalid_op 0
		.amdhsa_exception_fp_denorm_src 0
		.amdhsa_exception_fp_ieee_div_zero 0
		.amdhsa_exception_fp_ieee_overflow 0
		.amdhsa_exception_fp_ieee_underflow 0
		.amdhsa_exception_fp_ieee_inexact 0
		.amdhsa_exception_int_div_zero 0
	.end_amdhsa_kernel
	.section	.text._Z39paged_attention_ll4mi_QKV_mfma16_kernelIDF16_hLN4vllm18Fp8KVCacheDataTypeE1EhLi32ELi128ELi256ELb0ELi15EL8MFMAType1EEvPKT_PKT0_S8_ifPKiSA_SA_iPKfiiiPfSD_PS3_PT2_iSC_SC_,"axG",@progbits,_Z39paged_attention_ll4mi_QKV_mfma16_kernelIDF16_hLN4vllm18Fp8KVCacheDataTypeE1EhLi32ELi128ELi256ELb0ELi15EL8MFMAType1EEvPKT_PKT0_S8_ifPKiSA_SA_iPKfiiiPfSD_PS3_PT2_iSC_SC_,comdat
.Lfunc_end1044:
	.size	_Z39paged_attention_ll4mi_QKV_mfma16_kernelIDF16_hLN4vllm18Fp8KVCacheDataTypeE1EhLi32ELi128ELi256ELb0ELi15EL8MFMAType1EEvPKT_PKT0_S8_ifPKiSA_SA_iPKfiiiPfSD_PS3_PT2_iSC_SC_, .Lfunc_end1044-_Z39paged_attention_ll4mi_QKV_mfma16_kernelIDF16_hLN4vllm18Fp8KVCacheDataTypeE1EhLi32ELi128ELi256ELb0ELi15EL8MFMAType1EEvPKT_PKT0_S8_ifPKiSA_SA_iPKfiiiPfSD_PS3_PT2_iSC_SC_
                                        ; -- End function
	.section	.AMDGPU.csdata,"",@progbits
; Kernel info:
; codeLenInByte = 6908
; NumSgprs: 39
; NumVgprs: 150
; ScratchSize: 0
; MemoryBound: 0
; FloatMode: 240
; IeeeMode: 1
; LDSByteSize: 17472 bytes/workgroup (compile time only)
; SGPRBlocks: 4
; VGPRBlocks: 18
; NumSGPRsForWavesPerEU: 39
; NumVGPRsForWavesPerEU: 150
; Occupancy: 9
; WaveLimiterHint : 1
; COMPUTE_PGM_RSRC2:SCRATCH_EN: 0
; COMPUTE_PGM_RSRC2:USER_SGPR: 13
; COMPUTE_PGM_RSRC2:TRAP_HANDLER: 0
; COMPUTE_PGM_RSRC2:TGID_X_EN: 1
; COMPUTE_PGM_RSRC2:TGID_Y_EN: 1
; COMPUTE_PGM_RSRC2:TGID_Z_EN: 1
; COMPUTE_PGM_RSRC2:TIDIG_COMP_CNT: 0
	.section	.text._Z39paged_attention_ll4mi_QKV_mfma16_kernelIDF16_hLN4vllm18Fp8KVCacheDataTypeE1EhLi32ELi128ELi256ELb0ELi16EL8MFMAType1EEvPKT_PKT0_S8_ifPKiSA_SA_iPKfiiiPfSD_PS3_PT2_iSC_SC_,"axG",@progbits,_Z39paged_attention_ll4mi_QKV_mfma16_kernelIDF16_hLN4vllm18Fp8KVCacheDataTypeE1EhLi32ELi128ELi256ELb0ELi16EL8MFMAType1EEvPKT_PKT0_S8_ifPKiSA_SA_iPKfiiiPfSD_PS3_PT2_iSC_SC_,comdat
	.protected	_Z39paged_attention_ll4mi_QKV_mfma16_kernelIDF16_hLN4vllm18Fp8KVCacheDataTypeE1EhLi32ELi128ELi256ELb0ELi16EL8MFMAType1EEvPKT_PKT0_S8_ifPKiSA_SA_iPKfiiiPfSD_PS3_PT2_iSC_SC_ ; -- Begin function _Z39paged_attention_ll4mi_QKV_mfma16_kernelIDF16_hLN4vllm18Fp8KVCacheDataTypeE1EhLi32ELi128ELi256ELb0ELi16EL8MFMAType1EEvPKT_PKT0_S8_ifPKiSA_SA_iPKfiiiPfSD_PS3_PT2_iSC_SC_
	.globl	_Z39paged_attention_ll4mi_QKV_mfma16_kernelIDF16_hLN4vllm18Fp8KVCacheDataTypeE1EhLi32ELi128ELi256ELb0ELi16EL8MFMAType1EEvPKT_PKT0_S8_ifPKiSA_SA_iPKfiiiPfSD_PS3_PT2_iSC_SC_
	.p2align	8
	.type	_Z39paged_attention_ll4mi_QKV_mfma16_kernelIDF16_hLN4vllm18Fp8KVCacheDataTypeE1EhLi32ELi128ELi256ELb0ELi16EL8MFMAType1EEvPKT_PKT0_S8_ifPKiSA_SA_iPKfiiiPfSD_PS3_PT2_iSC_SC_,@function
_Z39paged_attention_ll4mi_QKV_mfma16_kernelIDF16_hLN4vllm18Fp8KVCacheDataTypeE1EhLi32ELi128ELi256ELb0ELi16EL8MFMAType1EEvPKT_PKT0_S8_ifPKiSA_SA_iPKfiiiPfSD_PS3_PT2_iSC_SC_: ; @_Z39paged_attention_ll4mi_QKV_mfma16_kernelIDF16_hLN4vllm18Fp8KVCacheDataTypeE1EhLi32ELi128ELi256ELb0ELi16EL8MFMAType1EEvPKT_PKT0_S8_ifPKiSA_SA_iPKfiiiPfSD_PS3_PT2_iSC_SC_
; %bb.0:
	s_load_b64 s[4:5], s[0:1], 0x30
	s_mov_b32 s30, s13
	s_waitcnt lgkmcnt(0)
	s_cmp_lg_u64 s[4:5], 0
	s_cselect_b32 s8, -1, 0
	s_ashr_i32 s31, s13, 31
	s_cmp_eq_u64 s[4:5], 0
	s_cbranch_scc1 .LBB1045_3
; %bb.1:
	s_lshl_b64 s[2:3], s[30:31], 2
	s_delay_alu instid0(SALU_CYCLE_1) | instskip(SKIP_4) | instid1(SALU_CYCLE_1)
	s_add_u32 s2, s4, s2
	s_addc_u32 s3, s5, s3
	s_load_b64 s[2:3], s[2:3], 0x0
	s_waitcnt lgkmcnt(0)
	s_sub_i32 s2, s3, s2
	s_cmp_eq_u32 s2, 1
	s_cselect_b32 s2, -1, 0
	s_delay_alu instid0(SALU_CYCLE_1)
	s_and_not1_b32 vcc_lo, exec_lo, s2
	s_cbranch_vccz .LBB1045_4
.LBB1045_2:
	s_endpgm
.LBB1045_3:
.LBB1045_4:
	s_load_b64 s[2:3], s[0:1], 0x28
	s_lshl_b64 s[6:7], s[30:31], 2
	s_waitcnt lgkmcnt(0)
	s_add_u32 s2, s2, s6
	s_addc_u32 s3, s3, s7
	s_lshl_b32 s12, s14, 8
	s_load_b32 s24, s[2:3], 0x0
	s_waitcnt lgkmcnt(0)
	s_cmp_ge_i32 s12, s24
	s_cbranch_scc1 .LBB1045_2
; %bb.5:
	s_clause 0x1
	s_load_b128 s[20:23], s[0:1], 0x8
	s_load_b64 s[2:3], s[0:1], 0x20
	s_and_not1_b32 vcc_lo, exec_lo, s8
	s_cbranch_vccnz .LBB1045_7
; %bb.6:
	s_add_u32 s4, s4, s6
	s_addc_u32 s5, s5, s7
	s_load_b32 s5, s[4:5], 0x0
	s_branch .LBB1045_8
.LBB1045_7:
	s_mov_b32 s5, s30
.LBB1045_8:
	s_load_b128 s[16:19], s[0:1], 0x48
	v_and_b32_e32 v70, 15, v0
	v_lshrrev_b32_e32 v69, 5, v0
	v_and_b32_e32 v71, 31, v0
	v_and_b32_e32 v67, 1, v0
	v_bfe_u32 v66, v0, 4, 1
	v_lshlrev_b32_e32 v1, 3, v70
	s_lshl_b32 s31, s15, 4
	s_mov_b32 s4, exec_lo
	s_delay_alu instid0(VALU_DEP_1)
	v_lshlrev_b32_e32 v65, 1, v1
	v_cmpx_gt_u32_e32 0x100, v0
	s_cbranch_execz .LBB1045_10
; %bb.9:
	v_lshl_or_b32 v5, v69, 1, v66
	s_load_b64 s[6:7], s[0:1], 0x0
	s_waitcnt lgkmcnt(0)
	s_mul_hi_i32 s9, s5, s16
	s_mul_i32 s8, s5, s16
	v_lshlrev_b32_e32 v6, 10, v70
	v_or_b32_e32 v1, s31, v5
	s_lshl_b64 s[8:9], s[8:9], 1
	v_lshlrev_b32_e32 v5, 6, v5
	v_lshlrev_b32_e32 v7, 10, v67
	v_and_b32_e32 v6, 0x3800, v6
	v_lshlrev_b32_e32 v1, 7, v1
	s_delay_alu instid0(VALU_DEP_2) | instskip(NEXT) | instid1(VALU_DEP_2)
	v_or3_b32 v5, v6, v7, v5
	v_ashrrev_i32_e32 v2, 31, v1
	s_delay_alu instid0(VALU_DEP_1) | instskip(SKIP_2) | instid1(VALU_DEP_1)
	v_lshlrev_b64 v[1:2], 1, v[1:2]
	s_add_u32 s5, s6, s8
	s_addc_u32 s6, s7, s9
	v_add_co_u32 v1, vcc_lo, s5, v1
	s_delay_alu instid0(VALU_DEP_2) | instskip(NEXT) | instid1(VALU_DEP_2)
	v_add_co_ci_u32_e32 v2, vcc_lo, s6, v2, vcc_lo
	v_add_co_u32 v1, vcc_lo, v1, v65
	s_delay_alu instid0(VALU_DEP_2)
	v_add_co_ci_u32_e32 v2, vcc_lo, 0, v2, vcc_lo
	global_load_b128 v[1:4], v[1:2], off
	s_waitcnt vmcnt(0)
	ds_store_b128 v5, v[1:4]
.LBB1045_10:
	s_or_b32 exec_lo, exec_lo, s4
	v_and_b32_e32 v1, 0xef, v0
	s_waitcnt lgkmcnt(0)
	s_add_i32 s5, s24, 31
	s_clause 0x1
	s_load_b32 s4, s[0:1], 0x38
	s_load_b32 s33, s[0:1], 0x98
	s_ashr_i32 s6, s5, 31
	v_add_nc_u32_e32 v1, s12, v1
	s_lshr_b32 s6, s6, 27
	s_load_b32 s19, s[0:1], 0x1c
	s_add_i32 s5, s5, s6
	s_waitcnt lgkmcnt(0)
	v_ashrrev_i32_e32 v2, 31, v1
	v_or_b32_e32 v3, 16, v1
	s_ashr_i32 s13, s5, 5
	v_cmp_gt_i32_e32 vcc_lo, s24, v1
	s_add_i32 s13, s13, -1
	v_lshrrev_b32_e32 v2, 27, v2
	s_barrier
	buffer_gl0_inv
	s_mul_i32 s35, s15, s18
	v_add_nc_u32_e32 v4, v1, v2
	s_mul_i32 s4, s30, s4
	s_delay_alu instid0(SALU_CYCLE_1) | instskip(NEXT) | instid1(VALU_DEP_1)
	s_ashr_i32 s5, s4, 31
	v_ashrrev_i32_e32 v4, 5, v4
	v_add_nc_u32_e32 v2, v3, v2
	s_lshl_b64 s[4:5], s[4:5], 2
	s_delay_alu instid0(SALU_CYCLE_1) | instskip(NEXT) | instid1(VALU_DEP_2)
	s_add_u32 s25, s2, s4
	v_cndmask_b32_e32 v1, s13, v4, vcc_lo
	s_delay_alu instid0(VALU_DEP_2)
	v_ashrrev_i32_e32 v2, 5, v2
	v_cmp_gt_i32_e32 vcc_lo, s24, v3
	s_addc_u32 s34, s3, s5
	s_ashr_i32 s36, s35, 31
	s_add_u32 s4, s20, s35
	s_addc_u32 s5, s21, s36
	v_cndmask_b32_e32 v3, s13, v2, vcc_lo
	v_ashrrev_i32_e32 v2, 31, v1
	s_lshl_b32 s2, s14, 3
	s_delay_alu instid0(SALU_CYCLE_1) | instskip(NEXT) | instid1(VALU_DEP_2)
	s_ashr_i32 s3, s2, 31
	v_ashrrev_i32_e32 v4, 31, v3
	s_delay_alu instid0(VALU_DEP_2) | instskip(SKIP_1) | instid1(SALU_CYCLE_1)
	v_lshlrev_b64 v[1:2], 2, v[1:2]
	s_lshl_b64 s[2:3], s[2:3], 2
	s_add_u32 s2, s25, s2
	s_delay_alu instid0(VALU_DEP_2) | instskip(SKIP_1) | instid1(VALU_DEP_2)
	v_lshlrev_b64 v[3:4], 2, v[3:4]
	s_addc_u32 s3, s34, s3
	v_add_co_u32 v1, vcc_lo, s25, v1
	v_add_co_ci_u32_e32 v2, vcc_lo, s34, v2, vcc_lo
	s_delay_alu instid0(VALU_DEP_3) | instskip(NEXT) | instid1(VALU_DEP_4)
	v_add_co_u32 v3, vcc_lo, s25, v3
	v_add_co_ci_u32_e32 v4, vcc_lo, s34, v4, vcc_lo
	s_clause 0x1
	global_load_b32 v5, v[1:2], off
	global_load_b32 v6, v[3:4], off
	s_or_b32 s6, s12, 32
	s_delay_alu instid0(SALU_CYCLE_1) | instskip(SKIP_2) | instid1(SALU_CYCLE_1)
	s_ashr_i32 s7, s6, 5
	s_cmp_lt_i32 s6, s24
	s_cselect_b32 s6, s7, s13
	s_ashr_i32 s7, s6, 31
	s_delay_alu instid0(SALU_CYCLE_1) | instskip(NEXT) | instid1(SALU_CYCLE_1)
	s_lshl_b64 s[6:7], s[6:7], 2
	s_add_u32 s6, s25, s6
	s_addc_u32 s7, s34, s7
	s_or_b32 s8, s12, 64
	s_delay_alu instid0(SALU_CYCLE_1) | instskip(SKIP_2) | instid1(SALU_CYCLE_1)
	s_ashr_i32 s9, s8, 5
	s_cmp_lt_i32 s8, s24
	s_cselect_b32 s8, s9, s13
	s_ashr_i32 s9, s8, 31
	s_delay_alu instid0(SALU_CYCLE_1) | instskip(NEXT) | instid1(SALU_CYCLE_1)
	s_lshl_b64 s[8:9], s[8:9], 2
	s_add_u32 s8, s25, s8
	s_addc_u32 s9, s34, s9
	;; [unrolled: 10-line block ×5, first 2 shown]
	s_clause 0x5
	s_load_b32 s20, s[2:3], 0x0
	s_load_b32 s2, s[6:7], 0x0
	;; [unrolled: 1-line block ×6, first 2 shown]
	s_or_b32 s8, s12, 0xc0
	s_delay_alu instid0(SALU_CYCLE_1) | instskip(SKIP_2) | instid1(SALU_CYCLE_1)
	s_ashr_i32 s9, s8, 5
	s_cmp_lt_i32 s8, s24
	s_cselect_b32 s26, s9, s13
	s_ashr_i32 s27, s26, 31
	s_delay_alu instid0(SALU_CYCLE_1) | instskip(NEXT) | instid1(SALU_CYCLE_1)
	s_lshl_b64 s[26:27], s[26:27], 2
	s_add_u32 s26, s25, s26
	s_addc_u32 s27, s34, s27
	s_or_b32 s21, s12, 0xe0
	s_waitcnt vmcnt(1)
	v_mad_i64_i32 v[1:2], null, v5, s17, s[4:5]
	s_waitcnt vmcnt(0)
	v_mad_i64_i32 v[3:4], null, v6, s17, s[4:5]
	s_mov_b32 s4, 0
	s_delay_alu instid0(SALU_CYCLE_1)
	s_mov_b32 s5, s4
	s_mov_b32 s6, s4
	;; [unrolled: 1-line block ×7, first 2 shown]
	v_lshlrev_b32_e32 v5, 4, v70
	v_dual_mov_b32 v103, s11 :: v_dual_mov_b32 v98, s6
	v_dual_mov_b32 v101, s9 :: v_dual_lshlrev_b32 v68, 6, v70
	s_delay_alu instid0(VALU_DEP_3)
	v_add_co_u32 v33, vcc_lo, v1, v5
	v_add_co_ci_u32_e32 v34, vcc_lo, 0, v2, vcc_lo
	v_add_co_u32 v35, vcc_lo, v3, v5
	v_add_co_ci_u32_e32 v36, vcc_lo, 0, v4, vcc_lo
	s_clause 0xf
	global_load_b128 v[1:4], v[33:34], off
	global_load_b128 v[5:8], v[33:34], off offset:512
	global_load_b128 v[9:12], v[35:36], off offset:256
	;; [unrolled: 1-line block ×15, first 2 shown]
	v_dual_mov_b32 v96, s4 :: v_dual_lshlrev_b32 v41, 5, v70
	v_mov_b32_e32 v102, s10
	v_dual_mov_b32 v100, s8 :: v_dual_mov_b32 v99, s7
	v_mov_b32_e32 v97, s5
	s_ashr_i32 s4, s21, 5
	s_cmp_lt_i32 s21, s24
	ds_load_b128 v[33:36], v68
	ds_load_b128 v[37:40], v68 offset:1024
	s_cselect_b32 s4, s4, s13
	ds_load_b128 v[104:107], v68 offset:2048
	ds_load_b128 v[108:111], v68 offset:3072
	s_ashr_i32 s5, s4, 31
	s_load_b32 s6, s[26:27], 0x0
	s_lshl_b64 s[4:5], s[4:5], 2
	ds_load_b128 v[112:115], v68 offset:4096
	ds_load_b128 v[116:119], v68 offset:5120
	s_add_u32 s4, s25, s4
	s_addc_u32 s5, s34, s5
	v_lshl_or_b32 v41, v69, 9, v41
	s_load_b32 s4, s[4:5], 0x0
	s_add_u32 s7, s22, s35
	s_addc_u32 s8, s23, s36
	s_delay_alu instid0(VALU_DEP_1) | instskip(NEXT) | instid1(VALU_DEP_1)
	v_add_co_u32 v128, s7, s7, v41
	v_add_co_ci_u32_e64 v129, null, s8, 0, s7
	s_waitcnt lgkmcnt(0)
	s_delay_alu instid0(VALU_DEP_1)
	v_mad_i64_i32 v[41:42], null, s20, s17, v[128:129]
	v_mad_i64_i32 v[130:131], null, s3, s17, v[128:129]
	;; [unrolled: 1-line block ×7, first 2 shown]
	s_clause 0x3
	global_load_b128 v[49:52], v[41:42], off
	global_load_b128 v[53:56], v[41:42], off offset:16
	global_load_b128 v[41:44], v[45:46], off
	global_load_b128 v[45:48], v[45:46], off offset:16
	s_waitcnt vmcnt(18)
	v_wmma_f32_16x16x16_f16 v[120:127], v[1:8], v[33:40], v[96:103]
	s_waitcnt vmcnt(16)
	v_wmma_f32_16x16x16_f16 v[96:103], v[9:16], v[33:40], v[96:103]
	s_clause 0x3
	global_load_b128 v[33:36], v[130:131], off
	global_load_b128 v[37:40], v[130:131], off offset:16
	global_load_b128 v[1:4], v[132:133], off
	global_load_b128 v[5:8], v[132:133], off offset:16
	s_waitcnt vmcnt(18)
	v_wmma_f32_16x16x16_f16 v[120:127], v[17:24], v[104:111], v[120:127]
	s_clause 0x3
	global_load_b128 v[9:12], v[134:135], off
	global_load_b128 v[13:16], v[134:135], off offset:16
	global_load_b128 v[17:20], v[136:137], off
	global_load_b128 v[21:24], v[136:137], off offset:16
	s_waitcnt vmcnt(20)
	v_wmma_f32_16x16x16_f16 v[96:103], v[25:32], v[104:111], v[96:103]
	v_mad_i64_i32 v[104:105], null, s4, s17, v[128:129]
	s_waitcnt vmcnt(18)
	v_wmma_f32_16x16x16_f16 v[120:127], v[57:64], v[112:119], v[120:127]
	s_clause 0x3
	global_load_b128 v[25:28], v[138:139], off
	global_load_b128 v[29:32], v[138:139], off offset:16
	global_load_b128 v[57:60], v[104:105], off
	global_load_b128 v[61:64], v[104:105], off offset:16
	s_waitcnt vmcnt(20)
	v_wmma_f32_16x16x16_f16 v[96:103], v[72:79], v[112:119], v[96:103]
	ds_load_b128 v[72:75], v68 offset:6144
	ds_load_b128 v[76:79], v68 offset:7168
	v_and_b32_e32 v104, 0xe0, v0
	v_mbcnt_lo_u32_b32 v105, -1, 0
	s_waitcnt vmcnt(0) lgkmcnt(0)
	s_barrier
	buffer_gl0_inv
	v_add_nc_u32_e32 v104, s12, v104
	v_xor_b32_e32 v106, 16, v105
	s_delay_alu instid0(VALU_DEP_2) | instskip(NEXT) | instid1(VALU_DEP_2)
	v_or_b32_e32 v104, v104, v66
	v_cmp_gt_i32_e32 vcc_lo, 32, v106
	s_delay_alu instid0(VALU_DEP_2)
	v_or_b32_e32 v107, 4, v104
	v_or_b32_e32 v108, 6, v104
	v_cmp_gt_i32_e64 s2, s24, v104
	v_or_b32_e32 v109, 8, v104
	v_wmma_f32_16x16x16_f16 v[120:127], v[80:87], v[72:79], v[120:127]
	v_cndmask_b32_e32 v105, v105, v106, vcc_lo
	v_or_b32_e32 v106, 2, v104
	v_wmma_f32_16x16x16_f16 v[96:103], v[88:95], v[72:79], v[96:103]
	v_or_b32_e32 v80, 10, v104
	v_dual_mul_f32 v78, s19, v124 :: v_dual_mul_f32 v79, s19, v123
	v_dual_mul_f32 v90, s19, v120 :: v_dual_mul_f32 v89, s19, v121
	s_delay_alu instid0(VALU_DEP_4) | instskip(SKIP_2) | instid1(VALU_DEP_4)
	v_mul_f32_e32 v92, s19, v102
	v_cmp_gt_i32_e32 vcc_lo, s24, v106
	v_dual_mul_f32 v77, s19, v125 :: v_dual_mul_f32 v88, s19, v122
	v_cndmask_b32_e64 v90, 0xff7fffff, v90, s2
	v_cmp_gt_i32_e64 s3, s24, v107
	v_cndmask_b32_e32 v89, 0xff7fffff, v89, vcc_lo
	v_cmp_gt_i32_e64 s4, s24, v108
	v_or_b32_e32 v81, 12, v104
	v_or_b32_e32 v82, 14, v104
	v_cndmask_b32_e64 v88, 0xff7fffff, v88, s3
	v_max3_f32 v89, v90, 0xff7fffff, v89
	v_cndmask_b32_e64 v79, 0xff7fffff, v79, s4
	v_cmp_gt_i32_e64 s5, s24, v109
	v_cmp_gt_i32_e64 s6, s24, v80
	v_or_b32_e32 v83, 16, v104
	v_or_b32_e32 v84, 18, v104
	v_dual_mul_f32 v75, s19, v127 :: v_dual_mul_f32 v76, s19, v126
	v_cndmask_b32_e64 v78, 0xff7fffff, v78, s5
	v_cndmask_b32_e64 v77, 0xff7fffff, v77, s6
	v_max3_f32 v79, v89, v88, v79
	v_cmp_gt_i32_e64 s7, s24, v81
	v_cmp_gt_i32_e64 s8, s24, v82
	v_or_b32_e32 v85, 20, v104
	v_or_b32_e32 v86, 22, v104
	;; [unrolled: 1-line block ×6, first 2 shown]
	v_dual_mul_f32 v95, s19, v99 :: v_dual_mul_f32 v104, s19, v97
	v_mul_f32_e32 v107, s19, v96
	v_cndmask_b32_e64 v76, 0xff7fffff, v76, s7
	v_cndmask_b32_e64 v75, 0xff7fffff, v75, s8
	v_max3_f32 v77, v79, v78, v77
	v_cmp_gt_i32_e64 s9, s24, v83
	v_cmp_gt_i32_e64 s10, s24, v84
	v_dual_mul_f32 v93, s19, v101 :: v_dual_mul_f32 v106, s19, v98
	s_delay_alu instid0(VALU_DEP_4) | instskip(NEXT) | instid1(VALU_DEP_4)
	v_max3_f32 v75, v77, v76, v75
	v_cndmask_b32_e64 v78, 0xff7fffff, v107, s9
	s_delay_alu instid0(VALU_DEP_4) | instskip(SKIP_3) | instid1(VALU_DEP_4)
	v_cndmask_b32_e64 v79, 0xff7fffff, v104, s10
	v_cmp_gt_i32_e64 s11, s24, v85
	v_cmp_gt_i32_e64 s12, s24, v86
	v_dual_mul_f32 v91, s19, v103 :: v_dual_mul_f32 v94, s19, v100
	v_max3_f32 v75, v75, v78, v79
	s_delay_alu instid0(VALU_DEP_4) | instskip(NEXT) | instid1(VALU_DEP_4)
	v_cndmask_b32_e64 v76, 0xff7fffff, v106, s11
	v_cndmask_b32_e64 v77, 0xff7fffff, v95, s12
	v_cmp_gt_i32_e64 s13, s24, v87
	v_cmp_gt_i32_e64 s15, s24, v72
	v_cmp_gt_i32_e64 s16, s24, v73
	v_cmp_gt_i32_e64 s17, s24, v74
	v_max3_f32 v75, v75, v76, v77
	v_cndmask_b32_e64 v78, 0xff7fffff, v94, s13
	v_cndmask_b32_e64 v72, 0xff7fffff, v93, s15
	;; [unrolled: 1-line block ×4, first 2 shown]
	s_delay_alu instid0(VALU_DEP_3) | instskip(SKIP_1) | instid1(VALU_DEP_2)
	v_max3_f32 v72, v75, v78, v72
	v_lshlrev_b32_e32 v75, 2, v105
	v_max3_f32 v72, v72, v73, v74
	ds_bpermute_b32 v73, v75, v72
	s_waitcnt lgkmcnt(0)
	v_max_f32_e32 v73, v73, v73
	s_delay_alu instid0(VALU_DEP_1) | instskip(NEXT) | instid1(VALU_DEP_1)
	v_max_f32_e32 v72, v72, v73
	v_fma_f32 v76, s19, v122, -v72
	v_fma_f32 v73, s19, v120, -v72
	;; [unrolled: 1-line block ×5, first 2 shown]
	v_mul_f32_e32 v76, 0x3fb8aa3b, v76
	v_fma_f32 v82, s19, v126, -v72
	v_mul_f32_e32 v74, 0x3fb8aa3b, v74
	v_fma_f32 v86, s19, v99, -v72
	v_fma_f32 v91, s19, v103, -v72
	v_exp_f32_e32 v76, v76
	v_mul_f32_e32 v82, 0x3fb8aa3b, v82
	v_exp_f32_e32 v74, v74
	v_mul_f32_e32 v88, 0x3fb8aa3b, v86
	v_fma_f32 v89, s19, v101, -v72
	s_delay_alu instid0(VALU_DEP_3) | instskip(NEXT) | instid1(VALU_DEP_2)
	v_exp_f32_e32 v84, v82
	v_exp_f32_e32 v90, v88
	s_delay_alu instid0(VALU_DEP_1)
	v_mul_f32_e32 v89, 0x3fb8aa3b, v89
	v_cndmask_b32_e64 v80, 0, v76, s3
	v_mul_f32_e32 v73, 0x3fb8aa3b, v73
	v_fma_f32 v76, s19, v127, -v72
	v_mul_f32_e32 v77, 0x3fb8aa3b, v77
	v_exp_f32_e32 v89, v89
	s_delay_alu instid0(VALU_DEP_3) | instskip(NEXT) | instid1(VALU_DEP_2)
	v_exp_f32_e32 v73, v73
	v_mul_f32_e32 v76, 0x3fb8aa3b, v76
	s_delay_alu instid0(VALU_DEP_2) | instskip(SKIP_2) | instid1(VALU_DEP_3)
	v_exp_f32_e32 v81, v77
	v_cndmask_b32_e32 v77, 0, v74, vcc_lo
	v_cndmask_b32_e64 v84, 0, v84, s7
	v_exp_f32_e32 v76, v76
	v_cndmask_b32_e64 v89, 0, v89, s15
	s_delay_alu instid0(TRANS32_DEP_3) | instskip(SKIP_2) | instid1(VALU_DEP_2)
	v_cndmask_b32_e64 v78, 0, v73, s2
	v_fma_f32 v73, s19, v125, -v72
	s_mov_b32 s2, exec_lo
	v_dual_add_f32 v74, 0, v78 :: v_dual_mul_f32 v79, 0x3fb8aa3b, v79
	s_delay_alu instid0(VALU_DEP_2) | instskip(NEXT) | instid1(VALU_DEP_2)
	v_mul_f32_e32 v73, 0x3fb8aa3b, v73
	v_add_f32_e32 v74, v74, v77
	s_delay_alu instid0(VALU_DEP_3) | instskip(NEXT) | instid1(VALU_DEP_2)
	v_exp_f32_e32 v83, v79
	v_exp_f32_e32 v73, v73
	v_cndmask_b32_e64 v79, 0, v81, s4
	v_fma_f32 v81, s19, v96, -v72
	s_delay_alu instid0(VALU_DEP_1) | instskip(NEXT) | instid1(VALU_DEP_1)
	v_dual_add_f32 v74, v74, v80 :: v_dual_mul_f32 v85, 0x3fb8aa3b, v81
	v_add_f32_e32 v74, v74, v79
	s_waitcnt_depctr 0xfff
	v_cndmask_b32_e64 v82, 0, v83, s5
	v_fma_f32 v83, s19, v97, -v72
	v_cndmask_b32_e64 v81, 0, v73, s6
	v_exp_f32_e32 v85, v85
	s_delay_alu instid0(VALU_DEP_2) | instskip(NEXT) | instid1(VALU_DEP_1)
	v_mul_f32_e32 v83, 0x3fb8aa3b, v83
	v_exp_f32_e32 v87, v83
	v_cndmask_b32_e64 v83, 0, v76, s8
	v_fma_f32 v76, s19, v100, -v72
	v_add_f32_e32 v73, v74, v82
	v_fma_f32 v74, s19, v98, -v72
	s_delay_alu instid0(TRANS32_DEP_2) | instskip(NEXT) | instid1(VALU_DEP_4)
	v_cndmask_b32_e64 v86, 0, v85, s9
	v_mul_f32_e32 v76, 0x3fb8aa3b, v76
	s_delay_alu instid0(VALU_DEP_3) | instskip(NEXT) | instid1(TRANS32_DEP_1)
	v_mul_f32_e32 v74, 0x3fb8aa3b, v74
	v_cndmask_b32_e64 v85, 0, v87, s10
	v_fma_f32 v87, s19, v102, -v72
	v_add_f32_e32 v73, v73, v81
	v_exp_f32_e32 v76, v76
	v_exp_f32_e32 v74, v74
	s_waitcnt_depctr 0xfff
	v_cndmask_b32_e64 v88, 0, v74, s11
	v_dual_mul_f32 v74, 0x3fb8aa3b, v87 :: v_dual_add_f32 v73, v73, v84
	v_cndmask_b32_e64 v87, 0, v90, s12
	v_cndmask_b32_e64 v90, 0, v76, s13
	v_mul_f32_e32 v76, 0x3fb8aa3b, v91
	s_delay_alu instid0(VALU_DEP_4) | instskip(SKIP_1) | instid1(VALU_DEP_2)
	v_exp_f32_e32 v74, v74
	v_add_f32_e32 v73, v73, v83
	v_exp_f32_e32 v76, v76
	s_delay_alu instid0(VALU_DEP_1) | instskip(SKIP_4) | instid1(VALU_DEP_2)
	v_add_f32_e32 v73, v73, v86
	s_waitcnt_depctr 0xfff
	v_cndmask_b32_e64 v92, 0, v74, s16
	v_add_f32_e32 v73, v73, v85
	v_cndmask_b32_e64 v91, 0, v76, s17
	v_add_f32_e32 v73, v73, v88
	s_delay_alu instid0(VALU_DEP_1) | instskip(NEXT) | instid1(VALU_DEP_1)
	v_add_f32_e32 v73, v73, v87
	v_add_f32_e32 v73, v73, v90
	s_delay_alu instid0(VALU_DEP_1) | instskip(NEXT) | instid1(VALU_DEP_1)
	v_add_f32_e32 v73, v73, v89
	v_add_f32_e32 v73, v73, v92
	s_delay_alu instid0(VALU_DEP_1)
	v_add_f32_e32 v73, v73, v91
	ds_bpermute_b32 v74, v75, v73
	v_cmpx_gt_u32_e32 16, v71
	s_cbranch_execz .LBB1045_12
; %bb.11:
	v_mul_u32_u24_e32 v71, 0x44, v69
	s_waitcnt lgkmcnt(0)
	v_add_f32_e32 v73, v73, v74
	s_delay_alu instid0(VALU_DEP_2) | instskip(NEXT) | instid1(VALU_DEP_1)
	v_lshl_add_u32 v71, v70, 2, v71
	v_add_nc_u32_e32 v71, 0x4000, v71
	ds_store_2addr_b32 v71, v72, v73 offset1:136
.LBB1045_12:
	s_or_b32 exec_lo, exec_lo, s2
	v_lshlrev_b32_e32 v70, 2, v70
	s_load_b32 s34, s[0:1], 0x94
	s_waitcnt lgkmcnt(0)
	s_barrier
	buffer_gl0_inv
	v_add_nc_u32_e32 v74, 0x4000, v70
	v_cmp_eq_u32_e32 vcc_lo, 1, v69
	v_cmp_eq_u32_e64 s2, 2, v69
	v_cmp_eq_u32_e64 s3, 3, v69
	v_cmp_eq_u32_e64 s4, 5, v69
	ds_load_2addr_b32 v[70:71], v74 offset1:17
	ds_load_2addr_b32 v[72:73], v74 offset0:34 offset1:51
	ds_load_2addr_b32 v[93:94], v74 offset0:68 offset1:85
	;; [unrolled: 1-line block ×3, first 2 shown]
	v_cmp_eq_u32_e64 s5, 7, v69
	s_waitcnt lgkmcnt(3)
	v_max3_f32 v75, v70, 0xff7fffff, v71
	s_waitcnt lgkmcnt(2)
	s_delay_alu instid0(VALU_DEP_1) | instskip(SKIP_1) | instid1(VALU_DEP_1)
	v_max3_f32 v75, v75, v72, v73
	s_waitcnt lgkmcnt(1)
	v_max3_f32 v75, v75, v93, v94
	s_waitcnt lgkmcnt(0)
	s_delay_alu instid0(VALU_DEP_1) | instskip(NEXT) | instid1(VALU_DEP_1)
	v_max3_f32 v75, v75, v95, v96
	v_sub_f32_e32 v93, v93, v75
	ds_load_2addr_b32 v[97:98], v74 offset0:136 offset1:153
	v_sub_f32_e32 v70, v70, v75
	v_dual_sub_f32 v100, v73, v75 :: v_dual_mul_f32 v103, 0x3fb8aa3b, v93
	s_delay_alu instid0(VALU_DEP_2) | instskip(SKIP_3) | instid1(VALU_DEP_1)
	v_dual_sub_f32 v76, v71, v75 :: v_dual_mul_f32 v99, 0x3fb8aa3b, v70
	ds_load_2addr_b32 v[70:71], v74 offset0:170 offset1:187
	v_mul_f32_e32 v76, 0x3fb8aa3b, v76
	v_exp_f32_e32 v99, v99
	v_exp_f32_e32 v102, v76
	v_mul_f32_e32 v100, 0x3fb8aa3b, v100
	s_waitcnt lgkmcnt(1)
	s_waitcnt_depctr 0xfff
	v_fma_f32 v76, v99, v97, 0
	v_sub_f32_e32 v97, v94, v75
	v_sub_f32_e32 v72, v72, v75
	v_exp_f32_e32 v100, v100
	ds_load_2addr_b32 v[93:94], v74 offset0:238 offset1:255
	v_dual_fmac_f32 v76, v102, v98 :: v_dual_mul_f32 v101, 0x3fb8aa3b, v72
	ds_load_2addr_b32 v[72:73], v74 offset0:204 offset1:221
	v_dual_sub_f32 v74, v95, v75 :: v_dual_mul_f32 v95, 0x3fb8aa3b, v97
	v_exp_f32_e32 v97, v103
	v_exp_f32_e32 v101, v101
	s_waitcnt lgkmcnt(0)
	s_delay_alu instid0(VALU_DEP_1)
	v_mul_f32_e32 v74, 0x3fb8aa3b, v74
	v_exp_f32_e32 v95, v95
	s_barrier
	buffer_gl0_inv
	v_fmac_f32_e32 v76, v101, v70
	v_sub_f32_e32 v70, v96, v75
	v_exp_f32_e32 v96, v74
	s_delay_alu instid0(VALU_DEP_2) | instskip(NEXT) | instid1(VALU_DEP_2)
	v_fmac_f32_e32 v76, v100, v71
	v_mul_f32_e32 v70, 0x3fb8aa3b, v70
	s_delay_alu instid0(VALU_DEP_2) | instskip(NEXT) | instid1(VALU_DEP_2)
	v_dual_cndmask_b32 v71, v99, v102 :: v_dual_fmac_f32 v76, v97, v72
	v_exp_f32_e32 v98, v70
	s_delay_alu instid0(VALU_DEP_1) | instskip(SKIP_2) | instid1(VALU_DEP_1)
	v_fmac_f32_e32 v76, v95, v73
	s_waitcnt_depctr 0xfff
	v_fmac_f32_e32 v76, v96, v93
	v_fmac_f32_e32 v76, v98, v94
	s_delay_alu instid0(VALU_DEP_1) | instskip(NEXT) | instid1(VALU_DEP_1)
	v_add_f32_e32 v93, 0x358637bd, v76
	v_div_scale_f32 v94, null, v93, v93, 1.0
	v_div_scale_f32 v99, vcc_lo, 1.0, v93, 1.0
	s_delay_alu instid0(VALU_DEP_2) | instskip(SKIP_2) | instid1(VALU_DEP_1)
	v_rcp_f32_e32 v103, v94
	s_waitcnt_depctr 0xfff
	v_fma_f32 v70, -v94, v103, 1.0
	v_fmac_f32_e32 v103, v70, v103
	v_cndmask_b32_e64 v70, v71, v101, s2
	v_cmp_eq_u32_e64 s2, 4, v69
	v_lshlrev_b32_e32 v71, 2, v66
	s_delay_alu instid0(VALU_DEP_4) | instskip(NEXT) | instid1(VALU_DEP_4)
	v_mul_f32_e32 v101, v99, v103
	v_cndmask_b32_e64 v72, v70, v100, s3
	v_cmp_eq_u32_e64 s3, 6, v69
	v_lshl_or_b32 v70, v69, 11, v68
	v_or_b32_e32 v74, 1, v71
	v_fma_f32 v73, -v94, v101, v99
	v_cndmask_b32_e64 v72, v72, v97, s2
	v_cmp_eq_u32_e64 s2, 1, v71
	v_lshl_or_b32 v69, v66, 4, v70
	v_cmp_eq_u32_e64 s8, 1, v74
	v_fmac_f32_e32 v101, v73, v103
	v_cndmask_b32_e64 v95, v72, v95, s4
	v_or_b32_e32 v72, 2, v71
	v_or_b32_e32 v73, 3, v71
	v_cmp_eq_u32_e64 s11, 2, v74
	v_fma_f32 v94, -v94, v101, v99
	v_cndmask_b32_e64 v95, v95, v96, s3
	v_cmp_eq_u32_e64 s9, 1, v72
	v_cmp_eq_u32_e64 s10, 1, v73
	;; [unrolled: 1-line block ×3, first 2 shown]
	v_div_fmas_f32 v94, v94, v103, v101
	v_cndmask_b32_e64 v95, v95, v98, s5
	v_cmp_eq_u32_e32 vcc_lo, 2, v71
	v_cmp_eq_u32_e64 s15, 2, v73
	v_cmp_eq_u32_e64 s17, 3, v73
	v_div_fixup_f32 v93, v94, v93, 1.0
	v_cmp_eq_u32_e64 s3, 3, v71
	v_cmp_eq_u32_e64 s12, 3, v74
	;; [unrolled: 1-line block ×4, first 2 shown]
	v_mul_f32_e32 v101, v95, v93
	v_cmp_eq_u32_e64 s4, 4, v71
	v_cmp_eq_u32_e64 s18, 4, v74
	;; [unrolled: 1-line block ×4, first 2 shown]
	v_fma_mixlo_f16 v93, v101, v78, 0
	v_fma_mixlo_f16 v94, v101, v80, 0
	;; [unrolled: 1-line block ×8, first 2 shown]
	v_fma_mixhi_f16 v93, v101, v77, 0
	v_fma_mixhi_f16 v94, v101, v79, 0
	;; [unrolled: 1-line block ×8, first 2 shown]
	ds_store_b128 v69, v[93:96]
	ds_store_b128 v69, v[97:100] offset:1024
	s_waitcnt lgkmcnt(0)
	s_barrier
	buffer_gl0_inv
	ds_load_b128 v[77:80], v70
	ds_load_b128 v[81:84], v70 offset:16
	ds_load_b128 v[85:88], v70 offset:1024
	;; [unrolled: 1-line block ×3, first 2 shown]
	v_cmp_eq_u32_e64 s5, 5, v71
	v_cmp_eq_u32_e64 s19, 5, v74
	;; [unrolled: 1-line block ×11, first 2 shown]
	s_waitcnt lgkmcnt(3)
	v_lshrrev_b32_e32 v93, 16, v77
	s_waitcnt lgkmcnt(2)
	v_lshrrev_b32_e32 v97, 16, v81
	;; [unrolled: 2-line block ×4, first 2 shown]
	v_lshrrev_b32_e32 v94, 16, v78
	v_cndmask_b32_e64 v109, v77, v93, s2
	v_cndmask_b32_e64 v110, v81, v97, s2
	v_cndmask_b32_e64 v111, v77, v93, s8
	v_cndmask_b32_e64 v112, v81, v97, s8
	v_cndmask_b32_e64 v113, v77, v93, s9
	v_cndmask_b32_e64 v114, v81, v97, s9
	v_cndmask_b32_e64 v77, v77, v93, s10
	v_cndmask_b32_e64 v81, v81, v97, s10
	v_lshrrev_b32_e32 v98, 16, v82
	v_cndmask_b32_e64 v93, v85, v101, s2
	v_cndmask_b32_e64 v97, v89, v105, s2
	v_cndmask_b32_e64 v115, v85, v101, s8
	v_cndmask_b32_e64 v117, v85, v101, s9
	v_cndmask_b32_e64 v85, v85, v101, s10
	v_cndmask_b32_e32 v101, v109, v78, vcc_lo
	v_cndmask_b32_e64 v109, v111, v78, s11
	v_cndmask_b32_e64 v111, v113, v78, s13
	;; [unrolled: 1-line block ×4, first 2 shown]
	v_lshrrev_b32_e32 v102, 16, v86
	v_lshrrev_b32_e32 v106, 16, v90
	v_cndmask_b32_e64 v116, v89, v105, s8
	v_cndmask_b32_e64 v118, v89, v105, s9
	;; [unrolled: 1-line block ×3, first 2 shown]
	v_cndmask_b32_e32 v105, v110, v82, vcc_lo
	v_cndmask_b32_e64 v110, v112, v82, s11
	v_cndmask_b32_e64 v112, v114, v82, s13
	v_cndmask_b32_e32 v81, v93, v86, vcc_lo
	v_cndmask_b32_e32 v82, v97, v90, vcc_lo
	v_cndmask_b32_e64 v93, v115, v86, s11
	v_cndmask_b32_e64 v77, v77, v94, s17
	;; [unrolled: 1-line block ×3, first 2 shown]
	v_lshrrev_b32_e32 v95, 16, v79
	v_lshrrev_b32_e32 v99, 16, v83
	v_cndmask_b32_e64 v97, v117, v86, s13
	v_cndmask_b32_e64 v85, v85, v86, s15
	;; [unrolled: 1-line block ×14, first 2 shown]
	v_lshrrev_b32_e32 v103, 16, v87
	v_cndmask_b32_e64 v89, v89, v79, s4
	v_cndmask_b32_e64 v94, v101, v83, s4
	;; [unrolled: 1-line block ×11, first 2 shown]
	v_lshrrev_b32_e32 v96, 16, v80
	v_lshrrev_b32_e32 v100, 16, v84
	v_cndmask_b32_e64 v83, v89, v95, s5
	v_cndmask_b32_e64 v89, v94, v99, s5
	;; [unrolled: 1-line block ×9, first 2 shown]
	v_lshrrev_b32_e32 v104, 16, v88
	v_cndmask_b32_e64 v79, v79, v103, s5
	v_cndmask_b32_e64 v83, v83, v80, s6
	v_cndmask_b32_e64 v89, v89, v84, s6
	v_cndmask_b32_e64 v93, v93, v80, s24
	v_cndmask_b32_e64 v94, v94, v84, s24
	v_cndmask_b32_e64 v95, v98, v80, s25
	v_cndmask_b32_e64 v98, v101, v84, s25
	v_cndmask_b32_e64 v80, v82, v88, s24
	v_cndmask_b32_e64 v77, v77, v96, s28
	v_cndmask_b32_e64 v78, v78, v100, s28
	v_cndmask_b32_e64 v113, v118, v90, s13
	v_cndmask_b32_e64 v79, v79, v88, s6
	v_cndmask_b32_e64 v82, v83, v96, s7
	v_cndmask_b32_e64 v83, v89, v100, s7
	v_cndmask_b32_e64 v84, v93, v96, s29
	v_cndmask_b32_e64 v89, v95, v96, s27
	v_cndmask_b32_e64 v93, v98, v100, s27
	v_cndmask_b32_e64 v94, v94, v100, s29
	v_cndmask_b32_e64 v96, v80, v104, s29
	v_perm_b32 v80, v78, v77, 0x5040100
	v_cndmask_b32_e64 v77, v116, v90, s11
	v_cndmask_b32_e64 v95, v79, v104, s7
	v_perm_b32 v79, v93, v89, 0x5040100
	v_perm_b32 v78, v94, v84, 0x5040100
	v_cndmask_b32_e64 v84, v97, v102, s16
	v_cndmask_b32_e64 v85, v85, v102, s17
	;; [unrolled: 1-line block ×5, first 2 shown]
	v_lshrrev_b32_e32 v107, 16, v91
	v_cndmask_b32_e64 v84, v84, v87, s20
	v_cndmask_b32_e64 v85, v85, v87, s21
	v_cndmask_b32_e64 v86, v86, v91, s21
	v_cndmask_b32_e64 v87, v89, v91, s20
	v_cndmask_b32_e64 v77, v77, v91, s18
	v_cndmask_b32_e64 v81, v81, v107, s5
	v_cndmask_b32_e64 v84, v84, v103, s22
	v_cndmask_b32_e64 v85, v85, v103, s23
	v_cndmask_b32_e64 v86, v86, v107, s23
	v_cndmask_b32_e64 v87, v87, v107, s22
	v_cndmask_b32_e64 v77, v77, v107, s19
	v_lshrrev_b32_e32 v108, 16, v92
	v_cndmask_b32_e64 v81, v81, v92, s6
	v_cndmask_b32_e64 v84, v84, v88, s25
	;; [unrolled: 1-line block ×12, first 2 shown]
	v_perm_b32 v77, v83, v82, 0x5040100
	v_perm_b32 v84, v85, v84, 0x5040100
	;; [unrolled: 1-line block ×5, first 2 shown]
	s_lshl_b32 s7, s33, 4
	s_mov_b32 s2, exec_lo
	ds_store_b128 v69, v[77:80]
	ds_store_b128 v69, v[81:84] offset:1024
	v_cmpx_gt_u32_e32 16, v0
	s_cbranch_execz .LBB1045_14
; %bb.13:
	v_or_b32_e32 v77, s31, v0
	s_load_b128 s[8:11], s[0:1], 0x58
	s_delay_alu instid0(VALU_DEP_1) | instskip(NEXT) | instid1(VALU_DEP_1)
	v_mad_u64_u32 v[78:79], null, s7, s30, v[77:78]
	v_mad_u64_u32 v[79:80], null, v78, s34, s[14:15]
	s_delay_alu instid0(VALU_DEP_1) | instskip(NEXT) | instid1(VALU_DEP_1)
	v_ashrrev_i32_e32 v80, 31, v79
	v_lshlrev_b64 v[77:78], 2, v[79:80]
	s_waitcnt lgkmcnt(0)
	s_delay_alu instid0(VALU_DEP_1) | instskip(NEXT) | instid1(VALU_DEP_2)
	v_add_co_u32 v79, vcc_lo, s10, v77
	v_add_co_ci_u32_e32 v80, vcc_lo, s11, v78, vcc_lo
	v_add_co_u32 v77, vcc_lo, s8, v77
	v_add_co_ci_u32_e32 v78, vcc_lo, s9, v78, vcc_lo
	global_store_b32 v[79:80], v75, off
	global_store_b32 v[77:78], v76, off
.LBB1045_14:
	s_or_b32 exec_lo, exec_lo, s2
	s_waitcnt lgkmcnt(0)
	s_waitcnt_vscnt null, 0x0
	s_barrier
	buffer_gl0_inv
	ds_load_b128 v[83:86], v68
	ds_load_b128 v[87:90], v68 offset:16
	ds_load_b128 v[95:98], v68 offset:2064
	;; [unrolled: 1-line block ×5, first 2 shown]
	v_cmp_eq_u32_e32 vcc_lo, 1, v71
	v_mov_b32_e32 v75, 0
	ds_load_b128 v[111:114], v68 offset:6160
	ds_load_b128 v[107:110], v68 offset:6144
	;; [unrolled: 1-line block ×4, first 2 shown]
	v_cmp_eq_u32_e64 s3, 1, v72
	v_cmp_eq_u32_e64 s2, 1, v74
	;; [unrolled: 1-line block ×3, first 2 shown]
	v_mov_b32_e32 v76, v75
	v_mov_b32_e32 v77, v75
	;; [unrolled: 1-line block ×7, first 2 shown]
	v_cmp_eq_u32_e64 s5, 3, v74
	v_cmp_eq_u32_e64 s6, 7, v74
	s_waitcnt lgkmcnt(8)
	s_delay_alu instid0(VALU_DEP_3)
	v_wmma_f32_16x16x16_f16 v[75:82], v[49:56], v[83:90], v[75:82]
	ds_load_b128 v[53:56], v68 offset:10256
	ds_load_b128 v[49:52], v68 offset:10240
	s_waitcnt lgkmcnt(8)
	v_wmma_f32_16x16x16_f16 v[75:82], v[41:48], v[91:98], v[75:82]
	ds_load_b128 v[45:48], v68 offset:12304
	ds_load_b128 v[41:44], v68 offset:12288
	s_waitcnt lgkmcnt(8)
	;; [unrolled: 4-line block ×3, first 2 shown]
	s_barrier
	buffer_gl0_inv
	v_wmma_f32_16x16x16_f16 v[75:82], v[1:8], v[107:114], v[75:82]
	s_delay_alu instid0(VALU_DEP_1) | instskip(NEXT) | instid1(VALU_DEP_1)
	v_wmma_f32_16x16x16_f16 v[75:82], v[9:16], v[115:122], v[75:82]
	v_wmma_f32_16x16x16_f16 v[75:82], v[17:24], v[49:56], v[75:82]
	s_delay_alu instid0(VALU_DEP_1) | instskip(NEXT) | instid1(VALU_DEP_1)
	v_wmma_f32_16x16x16_f16 v[75:82], v[25:32], v[41:48], v[75:82]
	v_wmma_f32_16x16x16_f16 v[75:82], v[57:64], v[33:40], v[75:82]
	s_delay_alu instid0(VALU_DEP_1) | instskip(NEXT) | instid1(VALU_DEP_2)
	v_cvt_f16_f32_e32 v1, v75
	v_cvt_f16_f32_e32 v2, v76
	s_delay_alu instid0(VALU_DEP_3) | instskip(NEXT) | instid1(VALU_DEP_4)
	v_cvt_f16_f32_e32 v3, v77
	v_cvt_f16_f32_e32 v4, v78
	;; [unrolled: 1-line block ×6, first 2 shown]
	v_pack_b32_f16 v1, v1, v2
	v_pack_b32_f16 v2, v3, v4
	;; [unrolled: 1-line block ×3, first 2 shown]
	s_delay_alu instid0(VALU_DEP_4)
	v_pack_b32_f16 v4, v7, v8
	ds_store_b128 v69, v[1:4]
	s_waitcnt lgkmcnt(0)
	s_barrier
	buffer_gl0_inv
	ds_load_b128 v[1:4], v70
	ds_load_b128 v[5:8], v70 offset:16
	s_waitcnt lgkmcnt(1)
	v_lshrrev_b32_e32 v9, 16, v1
	s_waitcnt lgkmcnt(0)
	v_lshrrev_b32_e32 v13, 16, v5
	v_lshrrev_b32_e32 v10, 16, v2
	;; [unrolled: 1-line block ×4, first 2 shown]
	v_cndmask_b32_e32 v17, v1, v9, vcc_lo
	v_cndmask_b32_e32 v18, v5, v13, vcc_lo
	v_cndmask_b32_e64 v21, v1, v9, s3
	v_cmp_eq_u32_e32 vcc_lo, 1, v73
	v_cndmask_b32_e64 v22, v5, v13, s3
	v_cmp_eq_u32_e64 s3, 2, v71
	v_cndmask_b32_e64 v19, v1, v9, s2
	v_cndmask_b32_e64 v20, v5, v13, s2
	v_cndmask_b32_e32 v1, v1, v9, vcc_lo
	v_cmp_eq_u32_e64 s2, 2, v73
	v_cndmask_b32_e32 v5, v5, v13, vcc_lo
	v_cndmask_b32_e64 v9, v17, v2, s3
	v_cmp_eq_u32_e32 vcc_lo, 3, v71
	v_cndmask_b32_e64 v13, v18, v6, s3
	v_cmp_eq_u32_e64 s3, 2, v72
	v_cndmask_b32_e64 v17, v19, v2, s4
	v_cndmask_b32_e64 v18, v20, v6, s4
	v_cmp_eq_u32_e64 s4, 3, v72
	v_cndmask_b32_e64 v1, v1, v2, s2
	v_cndmask_b32_e64 v19, v21, v2, s3
	;; [unrolled: 1-line block ×4, first 2 shown]
	v_cndmask_b32_e32 v5, v9, v10, vcc_lo
	v_cndmask_b32_e32 v6, v13, v14, vcc_lo
	v_cmp_eq_u32_e32 vcc_lo, 3, v73
	v_cndmask_b32_e64 v9, v17, v10, s5
	v_cndmask_b32_e64 v13, v18, v14, s5
	v_cndmask_b32_e64 v18, v20, v14, s4
	v_cmp_eq_u32_e64 s3, 4, v71
	v_cndmask_b32_e32 v1, v1, v10, vcc_lo
	v_cndmask_b32_e32 v2, v2, v14, vcc_lo
	v_cmp_eq_u32_e32 vcc_lo, 4, v74
	v_lshrrev_b32_e32 v15, 16, v7
	v_lshrrev_b32_e32 v16, 16, v8
	v_cndmask_b32_e64 v17, v19, v10, s4
	v_cmp_eq_u32_e64 s2, 4, v73
	v_cndmask_b32_e64 v5, v5, v3, s3
	v_cndmask_b32_e64 v6, v6, v7, s3
	v_cndmask_b32_e32 v9, v9, v3, vcc_lo
	v_cmp_eq_u32_e64 s3, 5, v74
	v_cndmask_b32_e32 v10, v13, v7, vcc_lo
	v_cmp_eq_u32_e32 vcc_lo, 4, v72
	v_cmp_eq_u32_e64 s4, 5, v71
	v_cndmask_b32_e64 v2, v2, v7, s2
	v_cndmask_b32_e64 v9, v9, v11, s3
	;; [unrolled: 1-line block ×3, first 2 shown]
	v_cndmask_b32_e32 v13, v17, v3, vcc_lo
	v_cmp_eq_u32_e64 s3, 5, v72
	v_cndmask_b32_e32 v14, v18, v7, vcc_lo
	v_cndmask_b32_e64 v1, v1, v3, s2
	v_cmp_eq_u32_e32 vcc_lo, 5, v73
	v_lshrrev_b32_e32 v12, 16, v4
	v_cndmask_b32_e64 v13, v13, v11, s3
	v_cndmask_b32_e64 v3, v14, v15, s3
	v_cmp_eq_u32_e64 s3, 6, v73
	v_cndmask_b32_e32 v1, v1, v11, vcc_lo
	v_cndmask_b32_e64 v5, v5, v11, s4
	v_cmp_eq_u32_e64 s5, 6, v71
	v_cndmask_b32_e64 v6, v6, v15, s4
	v_cmp_eq_u32_e64 s4, 6, v74
	v_cmp_eq_u32_e64 s2, 6, v72
	v_cndmask_b32_e64 v1, v1, v4, s3
	v_cndmask_b32_e32 v2, v2, v15, vcc_lo
	v_cmp_eq_u32_e32 vcc_lo, 7, v73
	v_cndmask_b32_e64 v5, v5, v4, s5
	v_cndmask_b32_e64 v9, v9, v4, s4
	;; [unrolled: 1-line block ×3, first 2 shown]
	v_cmp_eq_u32_e64 s5, 7, v71
	v_cndmask_b32_e32 v1, v1, v12, vcc_lo
	v_cndmask_b32_e64 v7, v13, v4, s2
	v_cndmask_b32_e64 v3, v3, v8, s2
	;; [unrolled: 1-line block ×3, first 2 shown]
	v_cmp_eq_u32_e64 s2, 7, v72
	v_cndmask_b32_e64 v4, v10, v8, s4
	v_cndmask_b32_e64 v5, v5, v12, s5
	;; [unrolled: 1-line block ×3, first 2 shown]
	v_cndmask_b32_e32 v2, v2, v16, vcc_lo
	v_cndmask_b32_e64 v7, v7, v12, s2
	v_cndmask_b32_e64 v3, v3, v16, s2
	;; [unrolled: 1-line block ×4, first 2 shown]
	v_perm_b32 v4, v2, v1, 0x5040100
	s_mov_b32 s2, exec_lo
	v_perm_b32 v3, v3, v7, 0x5040100
	v_perm_b32 v2, v8, v9, 0x5040100
	;; [unrolled: 1-line block ×3, first 2 shown]
	ds_store_b128 v69, v[1:4]
	s_waitcnt lgkmcnt(0)
	s_barrier
	buffer_gl0_inv
	v_cmpx_gt_u32_e32 32, v0
	s_cbranch_execz .LBB1045_2
; %bb.15:
	s_load_b64 s[0:1], s[0:1], 0x68
	v_lshlrev_b32_e32 v0, 10, v0
	s_lshl_b32 s4, s34, 7
	v_or_b32_e32 v23, s31, v66
	s_mul_i32 s2, s4, s30
	v_lshlrev_b32_e32 v1, 4, v67
	v_lshlrev_b32_e32 v2, 6, v66
	s_mul_i32 s2, s2, s7
	v_and_b32_e32 v0, 0x3800, v0
	v_mul_lo_u32 v8, v23, s4
	s_ashr_i32 s3, s2, 31
	v_or_b32_e32 v3, 2, v23
	s_lshl_b64 s[2:3], s[2:3], 1
	v_or3_b32 v27, v0, v1, v2
	v_or_b32_e32 v11, 4, v23
	v_or_b32_e32 v18, 6, v23
	v_mul_lo_u32 v10, v3, s4
	v_ashrrev_i32_e32 v9, 31, v8
	ds_load_b128 v[0:3], v27
	ds_load_b128 v[4:7], v27 offset:128
	v_mul_lo_u32 v12, v11, s4
	s_waitcnt lgkmcnt(0)
	s_add_u32 s2, s0, s2
	s_addc_u32 s3, s1, s3
	s_lshl_b32 s0, s14, 7
	v_lshlrev_b64 v[8:9], 1, v[8:9]
	s_ashr_i32 s1, s0, 31
	v_ashrrev_i32_e32 v11, 31, v10
	s_lshl_b64 s[0:1], s[0:1], 1
	v_ashrrev_i32_e32 v13, 31, v12
	s_add_u32 s0, s2, s0
	s_addc_u32 s1, s3, s1
	v_add_co_u32 v30, s0, s0, v65
	s_delay_alu instid0(VALU_DEP_1) | instskip(SKIP_1) | instid1(VALU_DEP_3)
	v_add_co_ci_u32_e64 v31, null, s1, 0, s0
	v_lshlrev_b64 v[16:17], 1, v[10:11]
	v_add_co_u32 v14, vcc_lo, v30, v8
	s_delay_alu instid0(VALU_DEP_3)
	v_add_co_ci_u32_e32 v15, vcc_lo, v31, v9, vcc_lo
	ds_load_b128 v[8:11], v27 offset:256
	v_mul_lo_u32 v18, v18, s4
	v_or_b32_e32 v19, 8, v23
	v_add_co_u32 v16, vcc_lo, v30, v16
	global_store_b128 v[14:15], v[0:3], off
	v_lshlrev_b64 v[0:1], 1, v[12:13]
	v_add_co_ci_u32_e32 v17, vcc_lo, v31, v17, vcc_lo
	v_mul_lo_u32 v12, v19, s4
	v_ashrrev_i32_e32 v19, 31, v18
	v_or_b32_e32 v14, 10, v23
	global_store_b128 v[16:17], v[4:7], off
	v_add_co_u32 v4, vcc_lo, v30, v0
	v_add_co_ci_u32_e32 v5, vcc_lo, v31, v1, vcc_lo
	ds_load_b128 v[0:3], v27 offset:384
	v_ashrrev_i32_e32 v13, 31, v12
	v_lshlrev_b64 v[6:7], 1, v[18:19]
	v_mul_lo_u32 v14, v14, s4
	s_waitcnt lgkmcnt(1)
	global_store_b128 v[4:5], v[8:11], off
	v_or_b32_e32 v8, 12, v23
	v_lshlrev_b64 v[4:5], 1, v[12:13]
	v_add_co_u32 v20, vcc_lo, v30, v6
	v_or_b32_e32 v6, 14, v23
	v_ashrrev_i32_e32 v15, 31, v14
	v_mul_lo_u32 v22, v8, s4
	v_add_co_ci_u32_e32 v21, vcc_lo, v31, v7, vcc_lo
	v_add_co_u32 v24, vcc_lo, v30, v4
	v_mul_lo_u32 v26, v6, s4
	v_add_co_ci_u32_e32 v25, vcc_lo, v31, v5, vcc_lo
	v_lshlrev_b64 v[28:29], 1, v[14:15]
	ds_load_b128 v[4:7], v27 offset:512
	ds_load_b128 v[8:11], v27 offset:640
	;; [unrolled: 1-line block ×4, first 2 shown]
	v_ashrrev_i32_e32 v23, 31, v22
	v_ashrrev_i32_e32 v27, 31, v26
	v_add_co_u32 v28, vcc_lo, v30, v28
	s_delay_alu instid0(VALU_DEP_3) | instskip(SKIP_1) | instid1(VALU_DEP_4)
	v_lshlrev_b64 v[22:23], 1, v[22:23]
	v_add_co_ci_u32_e32 v29, vcc_lo, v31, v29, vcc_lo
	v_lshlrev_b64 v[26:27], 1, v[26:27]
	s_delay_alu instid0(VALU_DEP_3) | instskip(NEXT) | instid1(VALU_DEP_4)
	v_add_co_u32 v22, vcc_lo, v30, v22
	v_add_co_ci_u32_e32 v23, vcc_lo, v31, v23, vcc_lo
	s_delay_alu instid0(VALU_DEP_3) | instskip(NEXT) | instid1(VALU_DEP_4)
	v_add_co_u32 v26, vcc_lo, v30, v26
	v_add_co_ci_u32_e32 v27, vcc_lo, v31, v27, vcc_lo
	s_waitcnt lgkmcnt(4)
	global_store_b128 v[20:21], v[0:3], off
	s_waitcnt lgkmcnt(3)
	global_store_b128 v[24:25], v[4:7], off
	;; [unrolled: 2-line block ×5, first 2 shown]
	s_nop 0
	s_sendmsg sendmsg(MSG_DEALLOC_VGPRS)
	s_endpgm
	.section	.rodata,"a",@progbits
	.p2align	6, 0x0
	.amdhsa_kernel _Z39paged_attention_ll4mi_QKV_mfma16_kernelIDF16_hLN4vllm18Fp8KVCacheDataTypeE1EhLi32ELi128ELi256ELb0ELi16EL8MFMAType1EEvPKT_PKT0_S8_ifPKiSA_SA_iPKfiiiPfSD_PS3_PT2_iSC_SC_
		.amdhsa_group_segment_fixed_size 17472
		.amdhsa_private_segment_fixed_size 0
		.amdhsa_kernarg_size 400
		.amdhsa_user_sgpr_count 13
		.amdhsa_user_sgpr_dispatch_ptr 0
		.amdhsa_user_sgpr_queue_ptr 0
		.amdhsa_user_sgpr_kernarg_segment_ptr 1
		.amdhsa_user_sgpr_dispatch_id 0
		.amdhsa_user_sgpr_private_segment_size 0
		.amdhsa_wavefront_size32 1
		.amdhsa_uses_dynamic_stack 0
		.amdhsa_enable_private_segment 0
		.amdhsa_system_sgpr_workgroup_id_x 1
		.amdhsa_system_sgpr_workgroup_id_y 1
		.amdhsa_system_sgpr_workgroup_id_z 1
		.amdhsa_system_sgpr_workgroup_info 0
		.amdhsa_system_vgpr_workitem_id 0
		.amdhsa_next_free_vgpr 140
		.amdhsa_next_free_sgpr 37
		.amdhsa_reserve_vcc 1
		.amdhsa_float_round_mode_32 0
		.amdhsa_float_round_mode_16_64 0
		.amdhsa_float_denorm_mode_32 3
		.amdhsa_float_denorm_mode_16_64 3
		.amdhsa_dx10_clamp 1
		.amdhsa_ieee_mode 1
		.amdhsa_fp16_overflow 0
		.amdhsa_workgroup_processor_mode 1
		.amdhsa_memory_ordered 1
		.amdhsa_forward_progress 0
		.amdhsa_shared_vgpr_count 0
		.amdhsa_exception_fp_ieee_invalid_op 0
		.amdhsa_exception_fp_denorm_src 0
		.amdhsa_exception_fp_ieee_div_zero 0
		.amdhsa_exception_fp_ieee_overflow 0
		.amdhsa_exception_fp_ieee_underflow 0
		.amdhsa_exception_fp_ieee_inexact 0
		.amdhsa_exception_int_div_zero 0
	.end_amdhsa_kernel
	.section	.text._Z39paged_attention_ll4mi_QKV_mfma16_kernelIDF16_hLN4vllm18Fp8KVCacheDataTypeE1EhLi32ELi128ELi256ELb0ELi16EL8MFMAType1EEvPKT_PKT0_S8_ifPKiSA_SA_iPKfiiiPfSD_PS3_PT2_iSC_SC_,"axG",@progbits,_Z39paged_attention_ll4mi_QKV_mfma16_kernelIDF16_hLN4vllm18Fp8KVCacheDataTypeE1EhLi32ELi128ELi256ELb0ELi16EL8MFMAType1EEvPKT_PKT0_S8_ifPKiSA_SA_iPKfiiiPfSD_PS3_PT2_iSC_SC_,comdat
.Lfunc_end1045:
	.size	_Z39paged_attention_ll4mi_QKV_mfma16_kernelIDF16_hLN4vllm18Fp8KVCacheDataTypeE1EhLi32ELi128ELi256ELb0ELi16EL8MFMAType1EEvPKT_PKT0_S8_ifPKiSA_SA_iPKfiiiPfSD_PS3_PT2_iSC_SC_, .Lfunc_end1045-_Z39paged_attention_ll4mi_QKV_mfma16_kernelIDF16_hLN4vllm18Fp8KVCacheDataTypeE1EhLi32ELi128ELi256ELb0ELi16EL8MFMAType1EEvPKT_PKT0_S8_ifPKiSA_SA_iPKfiiiPfSD_PS3_PT2_iSC_SC_
                                        ; -- End function
	.section	.AMDGPU.csdata,"",@progbits
; Kernel info:
; codeLenInByte = 6864
; NumSgprs: 39
; NumVgprs: 140
; ScratchSize: 0
; MemoryBound: 0
; FloatMode: 240
; IeeeMode: 1
; LDSByteSize: 17472 bytes/workgroup (compile time only)
; SGPRBlocks: 4
; VGPRBlocks: 17
; NumSGPRsForWavesPerEU: 39
; NumVGPRsForWavesPerEU: 140
; Occupancy: 10
; WaveLimiterHint : 1
; COMPUTE_PGM_RSRC2:SCRATCH_EN: 0
; COMPUTE_PGM_RSRC2:USER_SGPR: 13
; COMPUTE_PGM_RSRC2:TRAP_HANDLER: 0
; COMPUTE_PGM_RSRC2:TGID_X_EN: 1
; COMPUTE_PGM_RSRC2:TGID_Y_EN: 1
; COMPUTE_PGM_RSRC2:TGID_Z_EN: 1
; COMPUTE_PGM_RSRC2:TIDIG_COMP_CNT: 0
	.section	.text._Z39paged_attention_ll4mi_QKV_mfma16_kernelIDF16_hLN4vllm18Fp8KVCacheDataTypeE1EhLi32ELi128ELi256ELb0ELi1EL8MFMAType1EEvPKT_PKT0_S8_ifPKiSA_SA_iPKfiiiPfSD_PS3_PT2_iSC_SC_,"axG",@progbits,_Z39paged_attention_ll4mi_QKV_mfma16_kernelIDF16_hLN4vllm18Fp8KVCacheDataTypeE1EhLi32ELi128ELi256ELb0ELi1EL8MFMAType1EEvPKT_PKT0_S8_ifPKiSA_SA_iPKfiiiPfSD_PS3_PT2_iSC_SC_,comdat
	.protected	_Z39paged_attention_ll4mi_QKV_mfma16_kernelIDF16_hLN4vllm18Fp8KVCacheDataTypeE1EhLi32ELi128ELi256ELb0ELi1EL8MFMAType1EEvPKT_PKT0_S8_ifPKiSA_SA_iPKfiiiPfSD_PS3_PT2_iSC_SC_ ; -- Begin function _Z39paged_attention_ll4mi_QKV_mfma16_kernelIDF16_hLN4vllm18Fp8KVCacheDataTypeE1EhLi32ELi128ELi256ELb0ELi1EL8MFMAType1EEvPKT_PKT0_S8_ifPKiSA_SA_iPKfiiiPfSD_PS3_PT2_iSC_SC_
	.globl	_Z39paged_attention_ll4mi_QKV_mfma16_kernelIDF16_hLN4vllm18Fp8KVCacheDataTypeE1EhLi32ELi128ELi256ELb0ELi1EL8MFMAType1EEvPKT_PKT0_S8_ifPKiSA_SA_iPKfiiiPfSD_PS3_PT2_iSC_SC_
	.p2align	8
	.type	_Z39paged_attention_ll4mi_QKV_mfma16_kernelIDF16_hLN4vllm18Fp8KVCacheDataTypeE1EhLi32ELi128ELi256ELb0ELi1EL8MFMAType1EEvPKT_PKT0_S8_ifPKiSA_SA_iPKfiiiPfSD_PS3_PT2_iSC_SC_,@function
_Z39paged_attention_ll4mi_QKV_mfma16_kernelIDF16_hLN4vllm18Fp8KVCacheDataTypeE1EhLi32ELi128ELi256ELb0ELi1EL8MFMAType1EEvPKT_PKT0_S8_ifPKiSA_SA_iPKfiiiPfSD_PS3_PT2_iSC_SC_: ; @_Z39paged_attention_ll4mi_QKV_mfma16_kernelIDF16_hLN4vllm18Fp8KVCacheDataTypeE1EhLi32ELi128ELi256ELb0ELi1EL8MFMAType1EEvPKT_PKT0_S8_ifPKiSA_SA_iPKfiiiPfSD_PS3_PT2_iSC_SC_
; %bb.0:
	s_load_b64 s[4:5], s[0:1], 0x30
	s_mov_b32 s34, s13
	s_waitcnt lgkmcnt(0)
	s_cmp_lg_u64 s[4:5], 0
	s_cselect_b32 s6, -1, 0
	s_ashr_i32 s35, s13, 31
	s_cmp_eq_u64 s[4:5], 0
	s_cbranch_scc1 .LBB1046_3
; %bb.1:
	s_lshl_b64 s[2:3], s[34:35], 2
	s_delay_alu instid0(SALU_CYCLE_1) | instskip(SKIP_4) | instid1(SALU_CYCLE_1)
	s_add_u32 s2, s4, s2
	s_addc_u32 s3, s5, s3
	s_load_b64 s[2:3], s[2:3], 0x0
	s_waitcnt lgkmcnt(0)
	s_sub_i32 s2, s3, s2
	s_cmp_eq_u32 s2, 1
	s_cselect_b32 s2, -1, 0
	s_delay_alu instid0(SALU_CYCLE_1)
	s_and_not1_b32 vcc_lo, exec_lo, s2
	s_cbranch_vccz .LBB1046_4
.LBB1046_2:
	s_endpgm
.LBB1046_3:
.LBB1046_4:
	s_load_b64 s[2:3], s[0:1], 0x28
	s_lshl_b64 s[8:9], s[34:35], 2
	s_waitcnt lgkmcnt(0)
	s_add_u32 s2, s2, s8
	s_addc_u32 s3, s3, s9
	s_lshl_b32 s12, s14, 8
	s_load_b32 s33, s[2:3], 0x0
	s_waitcnt lgkmcnt(0)
	s_cmp_ge_i32 s12, s33
	s_cbranch_scc1 .LBB1046_2
; %bb.5:
	s_clause 0x1
	s_load_b128 s[56:59], s[0:1], 0x8
	s_load_b64 s[2:3], s[0:1], 0x20
	s_and_not1_b32 vcc_lo, exec_lo, s6
	s_mov_b64 s[6:7], s[34:35]
	s_cbranch_vccnz .LBB1046_7
; %bb.6:
	s_add_u32 s4, s4, s8
	s_addc_u32 s5, s5, s9
	s_load_b32 s6, s[4:5], 0x0
.LBB1046_7:
	s_load_b128 s[52:55], s[0:1], 0x48
	v_and_b32_e32 v65, 15, v0
	s_mov_b32 s13, exec_lo
                                        ; implicit-def: $sgpr36
                                        ; implicit-def: $sgpr24
                                        ; implicit-def: $sgpr16
                                        ; implicit-def: $sgpr4
	s_delay_alu instid0(VALU_DEP_1)
	v_cmpx_eq_u32_e32 0, v65
	s_cbranch_execz .LBB1046_9
; %bb.8:
	s_load_b64 s[4:5], s[0:1], 0x0
	s_waitcnt lgkmcnt(0)
	s_mul_hi_i32 s7, s6, s52
	s_mul_i32 s6, s6, s52
	s_delay_alu instid0(SALU_CYCLE_1) | instskip(NEXT) | instid1(SALU_CYCLE_1)
	s_lshl_b64 s[6:7], s[6:7], 1
	s_add_u32 s6, s4, s6
	s_addc_u32 s7, s5, s7
	s_lshl_b32 s4, s15, 7
	s_delay_alu instid0(SALU_CYCLE_1) | instskip(NEXT) | instid1(SALU_CYCLE_1)
	s_ashr_i32 s5, s4, 31
	s_lshl_b64 s[4:5], s[4:5], 1
	s_delay_alu instid0(SALU_CYCLE_1)
	s_add_u32 s4, s6, s4
	s_addc_u32 s5, s7, s5
	s_clause 0x3
	s_load_b256 s[36:43], s[4:5], 0x0
	s_load_b256 s[24:31], s[4:5], 0x40
	;; [unrolled: 1-line block ×4, first 2 shown]
.LBB1046_9:
	s_or_b32 exec_lo, exec_lo, s13
	v_and_b32_e32 v1, 0xef, v0
	s_add_i32 s13, s33, 31
	s_load_b32 s44, s[0:1], 0x38
	s_ashr_i32 s35, s13, 31
	s_waitcnt lgkmcnt(0)
	s_mul_i32 s62, s15, s54
	v_add_nc_u32_e32 v1, s12, v1
	s_lshr_b32 s35, s35, 27
	v_lshlrev_b32_e32 v73, 4, v65
	s_add_i32 s13, s13, s35
	s_load_b32 s35, s[0:1], 0x1c
	v_ashrrev_i32_e32 v2, 31, v1
	v_or_b32_e32 v3, 16, v1
	s_ashr_i32 s13, s13, 5
	v_cmp_gt_i32_e32 vcc_lo, s33, v1
	s_add_i32 s13, s13, -1
	v_lshrrev_b32_e32 v2, 27, v2
	v_dual_mov_b32 v105, s31 :: v_dual_mov_b32 v100, s26
	v_dual_mov_b32 v103, s29 :: v_dual_mov_b32 v98, s24
	s_delay_alu instid0(VALU_DEP_3) | instskip(SKIP_3) | instid1(VALU_DEP_2)
	v_dual_mov_b32 v101, s27 :: v_dual_add_nc_u32 v4, v1, v2
	s_mul_i32 s44, s34, s44
	v_mov_b32_e32 v99, s25
	s_ashr_i32 s45, s44, 31
	v_ashrrev_i32_e32 v4, 5, v4
	v_add_nc_u32_e32 v2, v3, v2
	s_lshl_b64 s[44:45], s[44:45], 2
	v_dual_mov_b32 v113, s23 :: v_dual_mov_b32 v106, s16
	s_delay_alu instid0(VALU_DEP_3) | instskip(NEXT) | instid1(VALU_DEP_3)
	v_cndmask_b32_e32 v1, s13, v4, vcc_lo
	v_ashrrev_i32_e32 v2, 5, v2
	v_cmp_gt_i32_e32 vcc_lo, s33, v3
	s_add_u32 s61, s2, s44
	s_addc_u32 s60, s3, s45
	s_ashr_i32 s63, s62, 31
	s_add_u32 s44, s56, s62
	v_cndmask_b32_e32 v3, s13, v2, vcc_lo
	v_ashrrev_i32_e32 v2, 31, v1
	s_addc_u32 s45, s57, s63
	s_lshl_b32 s2, s14, 3
	v_dual_mov_b32 v108, s18 :: v_dual_lshlrev_b32 v41, 5, v65
	v_ashrrev_i32_e32 v4, 31, v3
	v_lshlrev_b64 v[1:2], 2, v[1:2]
	s_ashr_i32 s3, s2, 31
	v_mov_b32_e32 v112, s22
	s_lshl_b64 s[2:3], s[2:3], 2
	v_lshlrev_b64 v[3:4], 2, v[3:4]
	s_add_u32 s2, s61, s2
	v_add_co_u32 v1, vcc_lo, s61, v1
	v_add_co_ci_u32_e32 v2, vcc_lo, s60, v2, vcc_lo
	s_delay_alu instid0(VALU_DEP_3) | instskip(NEXT) | instid1(VALU_DEP_4)
	v_add_co_u32 v3, vcc_lo, s61, v3
	v_add_co_ci_u32_e32 v4, vcc_lo, s60, v4, vcc_lo
	s_clause 0x1
	global_load_b32 v5, v[1:2], off
	global_load_b32 v6, v[3:4], off
	s_addc_u32 s3, s60, s3
	s_or_b32 s46, s12, 32
	v_mov_b32_e32 v110, s20
	s_ashr_i32 s47, s46, 5
	s_cmp_lt_i32 s46, s33
	v_lshrrev_b32_e32 v66, 5, v0
	s_cselect_b32 s46, s47, s13
	v_mov_b32_e32 v104, s30
	s_ashr_i32 s47, s46, 31
	v_mov_b32_e32 v102, s28
	s_lshl_b64 s[46:47], s[46:47], 2
	v_lshl_or_b32 v41, v66, 9, v41
	s_add_u32 s46, s61, s46
	s_addc_u32 s47, s60, s47
	s_or_b32 s48, s12, 64
	s_delay_alu instid0(SALU_CYCLE_1) | instskip(SKIP_2) | instid1(SALU_CYCLE_1)
	s_ashr_i32 s49, s48, 5
	s_cmp_lt_i32 s48, s33
	s_cselect_b32 s48, s49, s13
	s_ashr_i32 s49, s48, 31
	s_delay_alu instid0(SALU_CYCLE_1) | instskip(NEXT) | instid1(SALU_CYCLE_1)
	s_lshl_b64 s[48:49], s[48:49], 2
	s_add_u32 s48, s61, s48
	s_addc_u32 s49, s60, s49
	s_or_b32 s50, s12, 0x60
	s_delay_alu instid0(SALU_CYCLE_1) | instskip(SKIP_2) | instid1(SALU_CYCLE_1)
	s_ashr_i32 s51, s50, 5
	s_cmp_lt_i32 s50, s33
	s_cselect_b32 s50, s51, s13
	s_ashr_i32 s51, s50, 31
	s_delay_alu instid0(SALU_CYCLE_1) | instskip(NEXT) | instid1(SALU_CYCLE_1)
	s_lshl_b64 s[50:51], s[50:51], 2
	;; [unrolled: 10-line block ×4, first 2 shown]
	s_add_u32 s66, s61, s54
	s_addc_u32 s67, s60, s55
	s_clause 0x5
	s_load_b32 s56, s[2:3], 0x0
	s_load_b32 s3, s[46:47], 0x0
	;; [unrolled: 1-line block ×6, first 2 shown]
	s_or_b32 s24, s12, 0xc0
	s_delay_alu instid0(SALU_CYCLE_1)
	s_ashr_i32 s25, s24, 5
	s_cmp_lt_i32 s24, s33
	s_waitcnt vmcnt(1)
	v_mad_i64_i32 v[1:2], null, v5, s53, s[44:45]
	s_waitcnt vmcnt(0)
	v_mad_i64_i32 v[3:4], null, v6, s53, s[44:45]
	s_mov_b32 s44, 0
	s_delay_alu instid0(SALU_CYCLE_1) | instskip(SKIP_1) | instid1(VALU_DEP_2)
	s_mov_b32 s45, s44
	s_mov_b32 s46, s44
	v_add_co_u32 v33, vcc_lo, v1, v73
	s_delay_alu instid0(VALU_DEP_3) | instskip(NEXT) | instid1(VALU_DEP_3)
	v_add_co_ci_u32_e32 v34, vcc_lo, 0, v2, vcc_lo
	v_add_co_u32 v35, vcc_lo, v3, v73
	s_delay_alu instid0(VALU_DEP_4)
	v_add_co_ci_u32_e32 v36, vcc_lo, 0, v4, vcc_lo
	s_clause 0xf
	global_load_b128 v[1:4], v[33:34], off
	global_load_b128 v[5:8], v[33:34], off offset:512
	global_load_b128 v[9:12], v[35:36], off offset:256
	;; [unrolled: 1-line block ×15, first 2 shown]
	v_mov_b32_e32 v33, s36
	v_mov_b32_e32 v37, s40
	;; [unrolled: 1-line block ×3, first 2 shown]
	s_mov_b32 s47, s44
	s_mov_b32 s48, s44
	;; [unrolled: 1-line block ×5, first 2 shown]
	v_mov_b32_e32 v111, s21
	v_mov_b32_e32 v109, s19
	;; [unrolled: 1-line block ×3, first 2 shown]
	s_cselect_b32 s16, s25, s13
	v_dual_mov_b32 v121, s51 :: v_dual_mov_b32 v114, s44
	s_ashr_i32 s17, s16, 31
	v_mov_b32_e32 v34, s37
	s_lshl_b64 s[16:17], s[16:17], 2
	v_dual_mov_b32 v35, s38 :: v_dual_mov_b32 v40, s43
	s_add_u32 s16, s61, s16
	s_addc_u32 s17, s60, s17
	s_or_b32 s18, s12, 0xe0
	v_mov_b32_e32 v36, s39
	s_ashr_i32 s19, s18, 5
	s_cmp_lt_i32 s18, s33
	v_mov_b32_e32 v38, s41
	s_cselect_b32 s18, s19, s13
	v_mov_b32_e32 v120, s50
	s_ashr_i32 s19, s18, 31
	v_mov_b32_e32 v119, s49
	s_lshl_b64 s[18:19], s[18:19], 2
	v_mov_b32_e32 v118, s48
	s_add_u32 s18, s61, s18
	s_addc_u32 s19, s60, s19
	s_add_u32 s13, s58, s62
	s_addc_u32 s20, s59, s63
	v_add_co_u32 v67, s13, s13, v41
	s_delay_alu instid0(VALU_DEP_1)
	v_add_co_ci_u32_e64 v68, null, s20, 0, s13
	s_clause 0x1
	s_load_b32 s13, s[16:17], 0x0
	s_load_b32 s16, s[18:19], 0x0
	v_dual_mov_b32 v117, s47 :: v_dual_mov_b32 v116, s46
	s_waitcnt lgkmcnt(0)
	v_mad_i64_i32 v[41:42], null, s56, s53, v[67:68]
	v_mad_i64_i32 v[71:72], null, s54, s53, v[67:68]
	v_mov_b32_e32 v115, s45
	v_mad_i64_i32 v[45:46], null, s3, s53, v[67:68]
	v_mad_i64_i32 v[69:70], null, s52, s53, v[67:68]
	;; [unrolled: 1-line block ×4, first 2 shown]
	s_waitcnt vmcnt(14)
	v_wmma_f32_16x16x16_f16 v[122:129], v[1:8], v[33:40], v[114:121]
	s_waitcnt vmcnt(12)
	v_wmma_f32_16x16x16_f16 v[114:121], v[9:16], v[33:40], v[114:121]
	s_clause 0x7
	global_load_b128 v[49:52], v[41:42], off
	global_load_b128 v[53:56], v[41:42], off offset:16
	global_load_b128 v[41:44], v[45:46], off
	global_load_b128 v[45:48], v[45:46], off offset:16
	;; [unrolled: 2-line block ×4, first 2 shown]
	v_mad_i64_i32 v[71:72], null, s13, s53, v[67:68]
	v_mad_i64_i32 v[69:70], null, s2, s53, v[67:68]
	s_waitcnt vmcnt(18)
	v_wmma_f32_16x16x16_f16 v[122:129], v[17:24], v[98:105], v[122:129]
	s_waitcnt vmcnt(16)
	v_wmma_f32_16x16x16_f16 v[114:121], v[25:32], v[98:105], v[114:121]
	s_clause 0x3
	global_load_b128 v[9:12], v[130:131], off
	global_load_b128 v[13:16], v[130:131], off offset:16
	global_load_b128 v[17:20], v[69:70], off
	global_load_b128 v[21:24], v[69:70], off offset:16
	s_waitcnt vmcnt(18)
	v_wmma_f32_16x16x16_f16 v[122:129], v[57:64], v[106:113], v[122:129]
	s_clause 0x3
	global_load_b128 v[25:28], v[71:72], off
	global_load_b128 v[29:32], v[71:72], off offset:16
	global_load_b128 v[57:60], v[132:133], off
	global_load_b128 v[61:64], v[132:133], off offset:16
	v_mbcnt_lo_u32_b32 v68, -1, 0
	v_and_b32_e32 v67, 0xe0, v0
	v_mov_b32_e32 v105, s11
	s_waitcnt vmcnt(20)
	v_wmma_f32_16x16x16_f16 v[114:121], v[74:81], v[106:113], v[114:121]
	v_bfe_u32 v74, v0, 4, 1
	v_xor_b32_e32 v69, 16, v68
	v_mov_b32_e32 v98, s4
	v_dual_mov_b32 v104, s10 :: v_dual_mov_b32 v103, s9
	v_mov_b32_e32 v102, s8
	s_delay_alu instid0(VALU_DEP_4) | instskip(SKIP_3) | instid1(VALU_DEP_3)
	v_cmp_gt_i32_e32 vcc_lo, 32, v69
	v_add_nc_u32_e32 v67, s12, v67
	v_dual_mov_b32 v101, s7 :: v_dual_mov_b32 v100, s6
	v_dual_mov_b32 v99, s5 :: v_dual_cndmask_b32 v68, v68, v69
	v_or_b32_e32 v67, v67, v74
	s_waitcnt vmcnt(0)
	s_barrier
	s_delay_alu instid0(VALU_DEP_2)
	v_wmma_f32_16x16x16_f16 v[122:129], v[82:89], v[98:105], v[122:129]
	buffer_gl0_inv
	v_or_b32_e32 v69, 2, v67
	v_or_b32_e32 v70, 4, v67
	;; [unrolled: 1-line block ×3, first 2 shown]
	v_mul_f32_e32 v86, s35, v129
	v_mul_f32_e32 v88, s35, v127
	v_wmma_f32_16x16x16_f16 v[114:121], v[90:97], v[98:105], v[114:121]
	v_dual_mul_f32 v92, s35, v123 :: v_dual_mul_f32 v93, s35, v122
	v_cmp_gt_i32_e32 vcc_lo, s33, v69
	v_cmp_gt_i32_e64 s2, s33, v67
	v_or_b32_e32 v72, 8, v67
	v_or_b32_e32 v75, 10, v67
	v_dual_mul_f32 v90, s35, v125 :: v_dual_mul_f32 v91, s35, v124
	v_mul_f32_e32 v98, s35, v117
	v_cndmask_b32_e64 v93, 0xff7fffff, v93, s2
	v_cndmask_b32_e32 v92, 0xff7fffff, v92, vcc_lo
	v_cmp_gt_i32_e64 s3, s33, v70
	v_cmp_gt_i32_e64 s4, s33, v71
	v_or_b32_e32 v76, 12, v67
	v_or_b32_e32 v77, 14, v67
	v_dual_mul_f32 v89, s35, v126 :: v_dual_mul_f32 v96, s35, v119
	v_cndmask_b32_e64 v70, 0xff7fffff, v91, s3
	v_cndmask_b32_e64 v71, 0xff7fffff, v90, s4
	v_max3_f32 v90, v93, 0xff7fffff, v92
	v_cmp_gt_i32_e64 s5, s33, v72
	v_cmp_gt_i32_e64 s6, s33, v75
	v_or_b32_e32 v78, 16, v67
	v_or_b32_e32 v79, 18, v67
	v_dual_mul_f32 v87, s35, v128 :: v_dual_mul_f32 v94, s35, v121
	v_cndmask_b32_e64 v72, 0xff7fffff, v89, s5
	v_cndmask_b32_e64 v75, 0xff7fffff, v88, s6
	v_max3_f32 v70, v90, v70, v71
	v_cmp_gt_i32_e64 s7, s33, v76
	v_cmp_gt_i32_e64 s8, s33, v77
	v_or_b32_e32 v80, 20, v67
	v_or_b32_e32 v81, 22, v67
	;; [unrolled: 1-line block ×6, first 2 shown]
	v_mul_f32_e32 v69, s35, v115
	v_mul_f32_e32 v67, s35, v114
	v_cndmask_b32_e64 v71, 0xff7fffff, v87, s7
	v_cndmask_b32_e64 v76, 0xff7fffff, v86, s8
	v_max3_f32 v70, v70, v72, v75
	v_cmp_gt_i32_e64 s9, s33, v78
	v_cmp_gt_i32_e64 s10, s33, v79
	v_mul_f32_e32 v99, s35, v116
	v_cmp_gt_i32_e64 s11, s33, v80
	v_max3_f32 v70, v70, v71, v76
	v_cndmask_b32_e64 v67, 0xff7fffff, v67, s9
	v_cndmask_b32_e64 v69, 0xff7fffff, v69, s10
	v_cmp_gt_i32_e64 s12, s33, v81
	v_mul_f32_e32 v97, s35, v118
	v_cndmask_b32_e64 v71, 0xff7fffff, v99, s11
	v_cmp_gt_i32_e64 s13, s33, v82
	v_max3_f32 v67, v70, v67, v69
	v_cndmask_b32_e64 v72, 0xff7fffff, v98, s12
	v_cmp_gt_i32_e64 s16, s33, v83
	v_mul_f32_e32 v95, s35, v120
	v_cndmask_b32_e64 v69, 0xff7fffff, v97, s13
	v_cmp_gt_i32_e64 s17, s33, v84
	v_max3_f32 v67, v67, v71, v72
	v_cndmask_b32_e64 v70, 0xff7fffff, v96, s16
	v_cmp_gt_i32_e64 s18, s33, v85
	v_lshlrev_b32_e32 v75, 2, v68
	v_cndmask_b32_e64 v71, 0xff7fffff, v95, s17
	s_delay_alu instid0(VALU_DEP_4) | instskip(NEXT) | instid1(VALU_DEP_4)
	v_max3_f32 v67, v67, v69, v70
	v_cndmask_b32_e64 v72, 0xff7fffff, v94, s18
	s_delay_alu instid0(VALU_DEP_1) | instskip(SKIP_3) | instid1(VALU_DEP_1)
	v_max3_f32 v67, v67, v71, v72
	ds_bpermute_b32 v68, v75, v67
	s_waitcnt lgkmcnt(0)
	v_max_f32_e32 v68, v68, v68
	v_max_f32_e32 v67, v67, v68
	s_delay_alu instid0(VALU_DEP_1) | instskip(SKIP_4) | instid1(VALU_DEP_4)
	v_fma_f32 v68, s35, v122, -v67
	v_fma_f32 v69, s35, v123, -v67
	;; [unrolled: 1-line block ×5, first 2 shown]
	v_dual_mul_f32 v68, 0x3fb8aa3b, v68 :: v_dual_mul_f32 v69, 0x3fb8aa3b, v69
	s_delay_alu instid0(VALU_DEP_4) | instskip(NEXT) | instid1(VALU_DEP_3)
	v_mul_f32_e32 v72, 0x3fb8aa3b, v72
	v_dual_mul_f32 v70, 0x3fb8aa3b, v70 :: v_dual_mul_f32 v71, 0x3fb8aa3b, v71
	s_delay_alu instid0(VALU_DEP_3) | instskip(NEXT) | instid1(VALU_DEP_3)
	v_exp_f32_e32 v68, v68
	v_exp_f32_e32 v69, v69
	s_delay_alu instid0(VALU_DEP_2) | instskip(NEXT) | instid1(VALU_DEP_1)
	v_exp_f32_e32 v79, v72
	v_exp_f32_e32 v76, v70
	;; [unrolled: 1-line block ×3, first 2 shown]
	v_cndmask_b32_e64 v70, 0, v68, s2
	s_delay_alu instid0(TRANS32_DEP_3)
	v_cndmask_b32_e64 v83, 0, v79, s5
	v_cndmask_b32_e32 v69, 0, v69, vcc_lo
	s_waitcnt_depctr 0xfff
	v_cndmask_b32_e64 v72, 0, v76, s3
	v_add_f32_e32 v77, 0, v70
	v_cndmask_b32_e64 v71, 0, v71, s4
	s_mov_b32 s3, exec_lo
	s_delay_alu instid0(VALU_DEP_2) | instskip(NEXT) | instid1(VALU_DEP_1)
	v_add_f32_e32 v76, v77, v69
	v_add_f32_e32 v76, v76, v72
	s_delay_alu instid0(VALU_DEP_1)
	v_add_f32_e32 v76, v76, v71
	v_fma_f32 v68, s35, v127, -v67
	v_fma_f32 v78, s35, v128, -v67
	;; [unrolled: 1-line block ×5, first 2 shown]
	v_mul_f32_e32 v68, 0x3fb8aa3b, v68
	v_mul_f32_e32 v78, 0x3fb8aa3b, v78
	s_delay_alu instid0(VALU_DEP_4) | instskip(NEXT) | instid1(VALU_DEP_3)
	v_mul_f32_e32 v80, 0x3fb8aa3b, v80
	v_exp_f32_e32 v68, v68
	s_delay_alu instid0(VALU_DEP_2) | instskip(NEXT) | instid1(VALU_DEP_1)
	v_exp_f32_e32 v78, v78
	v_exp_f32_e32 v80, v80
	s_delay_alu instid0(TRANS32_DEP_3)
	v_cndmask_b32_e64 v82, 0, v68, s6
	v_add_f32_e32 v68, v76, v83
	v_fma_f32 v76, s35, v116, -v67
	v_mul_f32_e32 v77, 0x3fb8aa3b, v77
	s_waitcnt_depctr 0xfff
	v_cndmask_b32_e64 v85, 0, v78, s7
	v_fma_f32 v78, s35, v117, -v67
	v_add_f32_e32 v68, v68, v82
	v_mul_f32_e32 v76, 0x3fb8aa3b, v76
	v_exp_f32_e32 v77, v77
	v_mul_f32_e32 v79, 0x3fb8aa3b, v79
	v_cndmask_b32_e64 v87, 0, v80, s9
	v_add_f32_e32 v68, v68, v85
	v_exp_f32_e32 v76, v76
	v_fma_f32 v80, s35, v119, -v67
	v_exp_f32_e32 v79, v79
	s_delay_alu instid0(TRANS32_DEP_3) | instskip(SKIP_3) | instid1(TRANS32_DEP_2)
	v_cndmask_b32_e64 v84, 0, v77, s8
	v_fma_f32 v77, s35, v118, -v67
	v_mul_f32_e32 v78, 0x3fb8aa3b, v78
	v_mul_f32_e32 v80, 0x3fb8aa3b, v80
	v_cndmask_b32_e64 v89, 0, v76, s11
	s_delay_alu instid0(VALU_DEP_4) | instskip(NEXT) | instid1(VALU_DEP_4)
	v_mul_f32_e32 v77, 0x3fb8aa3b, v77
	v_exp_f32_e32 v78, v78
	s_delay_alu instid0(TRANS32_DEP_2) | instskip(SKIP_1) | instid1(VALU_DEP_3)
	v_cndmask_b32_e64 v86, 0, v79, s10
	v_fma_f32 v79, s35, v120, -v67
	v_exp_f32_e32 v77, v77
	s_delay_alu instid0(VALU_DEP_1) | instskip(SKIP_1) | instid1(TRANS32_DEP_3)
	v_mul_f32_e32 v76, 0x3fb8aa3b, v79
	v_exp_f32_e32 v79, v80
	v_cndmask_b32_e64 v88, 0, v78, s12
	v_fma_f32 v78, s35, v121, -v67
	v_add_f32_e32 v68, v68, v84
	v_exp_f32_e32 v76, v76
	s_delay_alu instid0(TRANS32_DEP_3) | instskip(NEXT) | instid1(VALU_DEP_2)
	v_cndmask_b32_e64 v91, 0, v77, s13
	v_dual_mul_f32 v77, 0x3fb8aa3b, v78 :: v_dual_add_f32 v68, v68, v87
	s_delay_alu instid0(TRANS32_DEP_2) | instskip(NEXT) | instid1(VALU_DEP_2)
	v_cndmask_b32_e64 v90, 0, v79, s16
	v_exp_f32_e32 v77, v77
	s_delay_alu instid0(VALU_DEP_2) | instskip(SKIP_4) | instid1(VALU_DEP_2)
	v_add_f32_e32 v68, v68, v86
	s_waitcnt_depctr 0xfff
	v_cndmask_b32_e64 v93, 0, v76, s17
	v_and_b32_e32 v76, 31, v0
	v_add_f32_e32 v68, v68, v89
	v_cmp_lt_u32_e64 s2, 15, v76
	v_cndmask_b32_e64 v92, 0, v77, s18
	s_delay_alu instid0(VALU_DEP_3) | instskip(NEXT) | instid1(VALU_DEP_1)
	v_add_f32_e32 v68, v68, v88
	v_add_f32_e32 v68, v68, v91
	s_delay_alu instid0(VALU_DEP_1) | instskip(NEXT) | instid1(VALU_DEP_1)
	v_add_f32_e32 v68, v68, v90
	v_add_f32_e32 v68, v68, v93
	s_delay_alu instid0(VALU_DEP_1)
	v_add_f32_e32 v68, v68, v92
	ds_bpermute_b32 v75, v75, v68
	v_cmpx_gt_u32_e32 16, v76
	s_cbranch_execz .LBB1046_11
; %bb.10:
	v_mul_u32_u24_e32 v76, 0x44, v66
	s_delay_alu instid0(VALU_DEP_1) | instskip(SKIP_1) | instid1(VALU_DEP_1)
	v_lshl_add_u32 v76, v65, 2, v76
	s_waitcnt lgkmcnt(0)
	v_dual_add_f32 v68, v68, v75 :: v_dual_add_nc_u32 v75, 0x4000, v76
	ds_store_2addr_b32 v75, v67, v68 offset1:136
.LBB1046_11:
	s_or_b32 exec_lo, exec_lo, s3
	v_lshlrev_b32_e32 v67, 2, v65
	s_load_b64 s[36:37], s[0:1], 0x94
	s_waitcnt lgkmcnt(0)
	s_barrier
	buffer_gl0_inv
	v_add_nc_u32_e32 v81, 0x4000, v67
	v_cmp_eq_u32_e32 vcc_lo, 1, v66
	v_cmp_eq_u32_e64 s3, 2, v66
	v_cmp_eq_u32_e64 s5, 3, v66
	;; [unrolled: 1-line block ×3, first 2 shown]
	ds_load_2addr_b32 v[75:76], v81 offset1:17
	ds_load_2addr_b32 v[77:78], v81 offset0:34 offset1:51
	ds_load_2addr_b32 v[79:80], v81 offset0:68 offset1:85
	;; [unrolled: 1-line block ×4, first 2 shown]
	v_cmp_eq_u32_e64 s7, 5, v66
	v_cmp_eq_u32_e64 s4, 6, v66
	s_waitcnt lgkmcnt(4)
	v_max3_f32 v67, v75, 0xff7fffff, v76
	s_waitcnt lgkmcnt(3)
	s_delay_alu instid0(VALU_DEP_1) | instskip(SKIP_1) | instid1(VALU_DEP_1)
	v_max3_f32 v67, v67, v77, v78
	s_waitcnt lgkmcnt(2)
	v_max3_f32 v67, v67, v79, v80
	s_waitcnt lgkmcnt(1)
	s_delay_alu instid0(VALU_DEP_1) | instskip(NEXT) | instid1(VALU_DEP_1)
	v_max3_f32 v67, v67, v94, v95
	v_sub_f32_e32 v68, v75, v67
	s_delay_alu instid0(VALU_DEP_1) | instskip(NEXT) | instid1(VALU_DEP_1)
	v_dual_sub_f32 v79, v79, v67 :: v_dual_mul_f32 v68, 0x3fb8aa3b, v68
	v_mul_f32_e32 v102, 0x3fb8aa3b, v79
	s_delay_alu instid0(VALU_DEP_2) | instskip(SKIP_1) | instid1(VALU_DEP_1)
	v_exp_f32_e32 v99, v68
	v_sub_f32_e32 v68, v78, v67
	v_dual_sub_f32 v98, v76, v67 :: v_dual_mul_f32 v101, 0x3fb8aa3b, v68
	s_delay_alu instid0(VALU_DEP_1)
	v_dual_sub_f32 v77, v77, v67 :: v_dual_mul_f32 v98, 0x3fb8aa3b, v98
	s_waitcnt lgkmcnt(0)
	s_waitcnt_depctr 0xfff
	v_fma_f32 v68, v99, v96, 0
	v_sub_f32_e32 v96, v80, v67
	v_mul_f32_e32 v100, 0x3fb8aa3b, v77
	v_exp_f32_e32 v98, v98
	v_exp_f32_e32 v101, v101
	s_delay_alu instid0(VALU_DEP_1) | instskip(NEXT) | instid1(TRANS32_DEP_3)
	v_exp_f32_e32 v100, v100
	v_fmac_f32_e32 v68, v98, v97
	ds_load_2addr_b32 v[75:76], v81 offset0:170 offset1:187
	ds_load_2addr_b32 v[77:78], v81 offset0:204 offset1:221
	;; [unrolled: 1-line block ×3, first 2 shown]
	v_dual_sub_f32 v81, v94, v67 :: v_dual_mul_f32 v94, 0x3fb8aa3b, v96
	v_exp_f32_e32 v96, v102
	s_waitcnt lgkmcnt(0)
	s_barrier
	s_delay_alu instid0(VALU_DEP_1)
	v_mul_f32_e32 v81, 0x3fb8aa3b, v81
	v_exp_f32_e32 v94, v94
	buffer_gl0_inv
	v_fmac_f32_e32 v68, v100, v75
	v_sub_f32_e32 v75, v95, v67
	v_exp_f32_e32 v95, v81
	s_delay_alu instid0(VALU_DEP_1) | instskip(SKIP_1) | instid1(VALU_DEP_2)
	v_dual_fmac_f32 v68, v101, v76 :: v_dual_mul_f32 v75, 0x3fb8aa3b, v75
	v_cndmask_b32_e32 v76, v99, v98, vcc_lo
	v_fmac_f32_e32 v68, v96, v77
	s_delay_alu instid0(VALU_DEP_3) | instskip(NEXT) | instid1(VALU_DEP_1)
	v_exp_f32_e32 v97, v75
	v_fmac_f32_e32 v68, v94, v78
	s_waitcnt_depctr 0xfff
	v_dual_fmac_f32 v68, v95, v79 :: v_dual_lshlrev_b32 v79, 6, v65
	s_delay_alu instid0(VALU_DEP_1) | instskip(NEXT) | instid1(VALU_DEP_2)
	v_dual_mov_b32 v65, 0 :: v_dual_fmac_f32 v68, v97, v80
	v_lshl_or_b32 v81, v66, 11, v79
	s_delay_alu instid0(VALU_DEP_2) | instskip(NEXT) | instid1(VALU_DEP_1)
	v_add_f32_e32 v80, 0x358637bd, v68
	v_div_scale_f32 v102, null, v80, v80, 1.0
	v_div_scale_f32 v98, vcc_lo, 1.0, v80, 1.0
	s_delay_alu instid0(VALU_DEP_2) | instskip(SKIP_2) | instid1(VALU_DEP_1)
	v_rcp_f32_e32 v103, v102
	s_waitcnt_depctr 0xfff
	v_fma_f32 v75, -v102, v103, 1.0
	v_fmac_f32_e32 v103, v75, v103
	v_cndmask_b32_e64 v75, v76, v100, s3
	v_cmp_eq_u32_e64 s3, 7, v66
	s_delay_alu instid0(VALU_DEP_3) | instskip(NEXT) | instid1(VALU_DEP_3)
	v_mul_f32_e32 v99, v98, v103
	v_cndmask_b32_e64 v76, v75, v101, s5
	v_lshlrev_b32_e32 v75, 2, v74
	s_delay_alu instid0(VALU_DEP_3) | instskip(NEXT) | instid1(VALU_DEP_3)
	v_fma_f32 v77, -v102, v99, v98
	v_cndmask_b32_e64 v96, v76, v96, s6
	s_delay_alu instid0(VALU_DEP_3)
	v_or_b32_e32 v78, 1, v75
	v_or_b32_e32 v76, 2, v75
	v_cmp_eq_u32_e64 s5, 1, v75
	v_fmac_f32_e32 v99, v77, v103
	v_cndmask_b32_e64 v66, v96, v94, s7
	v_or_b32_e32 v77, 3, v75
	v_cmp_eq_u32_e64 s9, 1, v78
	v_cmp_eq_u32_e64 s10, 1, v76
	v_fma_f32 v94, -v102, v99, v98
	v_cndmask_b32_e64 v66, v66, v95, s4
	v_cmp_eq_u32_e64 s11, 1, v77
	v_cmp_eq_u32_e64 s6, 2, v75
	;; [unrolled: 1-line block ×3, first 2 shown]
	v_div_fmas_f32 v94, v94, v103, v99
	v_cndmask_b32_e64 v66, v66, v97, s3
	v_cmp_eq_u32_e64 s17, 2, v77
	v_cmp_eq_u32_e32 vcc_lo, 3, v75
	v_cmp_eq_u32_e64 s13, 3, v78
	v_div_fixup_f32 v94, v94, v80, 1.0
	v_lshl_or_b32 v80, v74, 4, v81
	v_cmp_eq_u32_e64 s16, 2, v76
	v_cmp_eq_u32_e64 s19, 3, v77
	;; [unrolled: 1-line block ×3, first 2 shown]
	v_mul_f32_e32 v66, v66, v94
	v_cmp_eq_u32_e64 s18, 3, v76
	v_cmp_eq_u32_e64 s20, 4, v78
	v_cmp_eq_u32_e64 s23, 4, v77
	v_cmp_eq_u32_e64 s7, 5, v75
	v_fma_mixlo_f16 v94, v66, v70, 0
	v_fma_mixlo_f16 v95, v66, v72, 0
	;; [unrolled: 1-line block ×8, first 2 shown]
	v_fma_mixhi_f16 v94, v66, v69, 0
	v_fma_mixhi_f16 v95, v66, v71, 0
	;; [unrolled: 1-line block ×8, first 2 shown]
	ds_store_b128 v80, v[94:97]
	ds_store_b128 v80, v[98:101] offset:1024
	s_waitcnt lgkmcnt(0)
	s_barrier
	buffer_gl0_inv
	ds_load_b128 v[69:72], v81
	ds_load_b128 v[82:85], v81 offset:16
	ds_load_b128 v[86:89], v81 offset:1024
	;; [unrolled: 1-line block ×3, first 2 shown]
	v_cmp_eq_u32_e64 s21, 5, v78
	v_cmp_eq_u32_e64 s22, 4, v76
	;; [unrolled: 1-line block ×12, first 2 shown]
	s_waitcnt lgkmcnt(3)
	v_lshrrev_b32_e32 v66, 16, v69
	s_waitcnt lgkmcnt(2)
	v_lshrrev_b32_e32 v97, 16, v82
	;; [unrolled: 2-line block ×4, first 2 shown]
	v_lshrrev_b32_e32 v94, 16, v70
	v_cndmask_b32_e64 v109, v69, v66, s5
	v_cndmask_b32_e64 v110, v82, v97, s5
	;; [unrolled: 1-line block ×7, first 2 shown]
	v_lshrrev_b32_e32 v98, 16, v83
	v_cndmask_b32_e64 v114, v82, v97, s10
	v_cndmask_b32_e64 v82, v86, v101, s5
	;; [unrolled: 1-line block ×15, first 2 shown]
	v_lshrrev_b32_e32 v102, 16, v87
	v_lshrrev_b32_e32 v106, 16, v91
	v_cndmask_b32_e64 v111, v113, v70, s16
	v_cndmask_b32_e64 v112, v114, v83, s16
	;; [unrolled: 1-line block ×7, first 2 shown]
	v_cndmask_b32_e32 v87, v101, v94, vcc_lo
	v_cndmask_b32_e32 v101, v105, v98, vcc_lo
	v_cndmask_b32_e64 v105, v109, v94, s13
	v_cndmask_b32_e64 v109, v110, v98, s13
	;; [unrolled: 1-line block ×4, first 2 shown]
	v_lshrrev_b32_e32 v95, 16, v71
	v_lshrrev_b32_e32 v99, 16, v84
	v_cndmask_b32_e64 v110, v111, v94, s18
	v_cndmask_b32_e64 v111, v112, v98, s18
	v_cndmask_b32_e32 v70, v70, v102, vcc_lo
	v_cndmask_b32_e32 v82, v82, v106, vcc_lo
	v_cndmask_b32_e64 v83, v83, v102, s13
	v_cndmask_b32_e64 v87, v87, v71, s4
	;; [unrolled: 1-line block ×7, first 2 shown]
	v_lshrrev_b32_e32 v103, 16, v88
	v_lshrrev_b32_e32 v107, 16, v92
	v_cndmask_b32_e64 v105, v110, v71, s22
	v_cndmask_b32_e64 v109, v111, v84, s22
	v_cndmask_b32_e64 v70, v70, v88, s4
	v_cndmask_b32_e64 v71, v82, v92, s4
	v_cndmask_b32_e64 v82, v83, v88, s20
	v_cndmask_b32_e64 v83, v87, v95, s7
	v_cndmask_b32_e64 v84, v94, v99, s7
	v_cndmask_b32_e64 v87, v98, v95, s21
	v_cndmask_b32_e64 v94, v101, v99, s21
	v_cndmask_b32_e64 v66, v66, v95, s25
	v_cndmask_b32_e64 v69, v69, v99, s25
	v_lshrrev_b32_e32 v96, 16, v72
	v_lshrrev_b32_e32 v100, 16, v85
	v_cndmask_b32_e64 v98, v105, v95, s24
	v_cndmask_b32_e64 v101, v109, v99, s24
	;; [unrolled: 1-line block ×11, first 2 shown]
	v_lshrrev_b32_e32 v104, 16, v89
	v_cndmask_b32_e64 v95, v98, v72, s27
	v_cndmask_b32_e64 v98, v101, v85, s27
	;; [unrolled: 1-line block ×14, first 2 shown]
	v_perm_b32 v72, v69, v66, 0x5040100
	v_perm_b32 v70, v94, v84, 0x5040100
	v_cndmask_b32_e64 v66, v90, v91, s17
	v_cndmask_b32_e64 v69, v118, v91, s16
	;; [unrolled: 1-line block ×4, first 2 shown]
	v_perm_b32 v71, v95, v87, 0x5040100
	v_cndmask_b32_e64 v87, v97, v102, s18
	v_cndmask_b32_e64 v86, v86, v102, s19
	;; [unrolled: 1-line block ×15, first 2 shown]
	v_lshrrev_b32_e32 v108, 16, v93
	v_cndmask_b32_e64 v87, v87, v89, s27
	v_cndmask_b32_e64 v86, v86, v89, s28
	;; [unrolled: 1-line block ×11, first 2 shown]
	v_perm_b32 v69, v83, v82, 0x5040100
	v_perm_b32 v85, v66, v86, 0x5040100
	;; [unrolled: 1-line block ×5, first 2 shown]
	s_mov_b32 s3, exec_lo
	ds_store_b128 v80, v[69:72]
	ds_store_b128 v80, v[82:85] offset:1024
	v_cmpx_eq_u32_e32 0, v0
	s_cbranch_execz .LBB1046_13
; %bb.12:
	s_load_b128 s[4:7], s[0:1], 0x58
	s_mul_i32 s8, s37, s34
	s_delay_alu instid0(SALU_CYCLE_1) | instskip(NEXT) | instid1(SALU_CYCLE_1)
	s_add_i32 s8, s8, s15
	s_mul_i32 s8, s8, s36
	s_delay_alu instid0(SALU_CYCLE_1) | instskip(NEXT) | instid1(SALU_CYCLE_1)
	s_add_i32 s8, s8, s14
	s_ashr_i32 s9, s8, 31
	s_delay_alu instid0(SALU_CYCLE_1)
	s_lshl_b64 s[8:9], s[8:9], 2
	s_waitcnt lgkmcnt(0)
	s_add_u32 s6, s6, s8
	s_addc_u32 s7, s7, s9
	s_add_u32 s4, s4, s8
	s_addc_u32 s5, s5, s9
	s_clause 0x1
	global_store_b32 v65, v67, s[6:7]
	global_store_b32 v65, v68, s[4:5]
.LBB1046_13:
	s_or_b32 exec_lo, exec_lo, s3
	s_waitcnt lgkmcnt(0)
	s_waitcnt_vscnt null, 0x0
	s_barrier
	buffer_gl0_inv
	ds_load_b128 v[82:85], v79
	ds_load_b128 v[86:89], v79 offset:16
	ds_load_b128 v[94:97], v79 offset:2064
	;; [unrolled: 1-line block ×5, first 2 shown]
	v_mov_b32_e32 v66, v65
	v_mov_b32_e32 v67, v65
	;; [unrolled: 1-line block ×7, first 2 shown]
	ds_load_b128 v[110:113], v79 offset:6160
	ds_load_b128 v[106:109], v79 offset:6144
	v_cmp_eq_u32_e32 vcc_lo, 1, v75
	v_cmp_eq_u32_e64 s3, 1, v78
	v_cmp_eq_u32_e64 s4, 1, v77
	;; [unrolled: 1-line block ×5, first 2 shown]
	s_xor_b32 s2, s2, -1
	s_waitcnt lgkmcnt(6)
	v_wmma_f32_16x16x16_f16 v[65:72], v[49:56], v[82:89], v[65:72]
	ds_load_b128 v[53:56], v79 offset:8208
	ds_load_b128 v[49:52], v79 offset:8192
	;; [unrolled: 1-line block ×4, first 2 shown]
	s_waitcnt lgkmcnt(8)
	v_wmma_f32_16x16x16_f16 v[65:72], v[41:48], v[90:97], v[65:72]
	ds_load_b128 v[45:48], v79 offset:12304
	ds_load_b128 v[41:44], v79 offset:12288
	s_waitcnt lgkmcnt(8)
	v_wmma_f32_16x16x16_f16 v[65:72], v[33:40], v[98:105], v[65:72]
	ds_load_b128 v[37:40], v79 offset:14352
	ds_load_b128 v[33:36], v79 offset:14336
	s_waitcnt lgkmcnt(0)
	s_barrier
	buffer_gl0_inv
	v_wmma_f32_16x16x16_f16 v[65:72], v[1:8], v[106:113], v[65:72]
	s_delay_alu instid0(VALU_DEP_1) | instskip(NEXT) | instid1(VALU_DEP_1)
	v_wmma_f32_16x16x16_f16 v[65:72], v[9:16], v[49:56], v[65:72]
	v_wmma_f32_16x16x16_f16 v[65:72], v[17:24], v[82:89], v[65:72]
	s_delay_alu instid0(VALU_DEP_1) | instskip(NEXT) | instid1(VALU_DEP_1)
	v_wmma_f32_16x16x16_f16 v[65:72], v[25:32], v[41:48], v[65:72]
	v_wmma_f32_16x16x16_f16 v[65:72], v[57:64], v[33:40], v[65:72]
	s_delay_alu instid0(VALU_DEP_1) | instskip(NEXT) | instid1(VALU_DEP_2)
	v_cvt_f16_f32_e32 v1, v65
	v_cvt_f16_f32_e32 v2, v66
	s_delay_alu instid0(VALU_DEP_3) | instskip(NEXT) | instid1(VALU_DEP_4)
	v_cvt_f16_f32_e32 v3, v67
	v_cvt_f16_f32_e32 v4, v68
	;; [unrolled: 1-line block ×6, first 2 shown]
	v_pack_b32_f16 v1, v1, v2
	v_pack_b32_f16 v2, v3, v4
	;; [unrolled: 1-line block ×3, first 2 shown]
	s_delay_alu instid0(VALU_DEP_4)
	v_pack_b32_f16 v4, v7, v8
	ds_store_b128 v80, v[1:4]
	s_waitcnt lgkmcnt(0)
	s_barrier
	buffer_gl0_inv
	ds_load_b128 v[1:4], v81
	ds_load_b128 v[5:8], v81 offset:16
	s_waitcnt lgkmcnt(1)
	v_lshrrev_b32_e32 v9, 16, v1
	s_waitcnt lgkmcnt(0)
	v_lshrrev_b32_e32 v13, 16, v5
	v_lshrrev_b32_e32 v16, 16, v8
	;; [unrolled: 1-line block ×4, first 2 shown]
	v_cndmask_b32_e32 v17, v1, v9, vcc_lo
	v_cndmask_b32_e32 v18, v5, v13, vcc_lo
	v_cmp_eq_u32_e32 vcc_lo, 1, v76
	v_cndmask_b32_e64 v19, v1, v9, s3
	v_cndmask_b32_e64 v20, v5, v13, s3
	v_cmp_eq_u32_e64 s3, 2, v76
	v_lshrrev_b32_e32 v11, 16, v3
	v_cndmask_b32_e32 v21, v1, v9, vcc_lo
	v_cndmask_b32_e32 v22, v5, v13, vcc_lo
	v_cndmask_b32_e64 v1, v1, v9, s4
	v_cmp_eq_u32_e32 vcc_lo, 2, v77
	v_cndmask_b32_e64 v5, v5, v13, s4
	v_cmp_eq_u32_e64 s4, 2, v78
	v_cndmask_b32_e64 v9, v17, v2, s5
	v_cndmask_b32_e64 v13, v18, v6, s5
	v_cmp_eq_u32_e64 s5, 3, v78
	v_cndmask_b32_e32 v1, v1, v2, vcc_lo
	v_cndmask_b32_e64 v17, v19, v2, s4
	v_cndmask_b32_e64 v18, v20, v6, s4
	v_cndmask_b32_e64 v19, v21, v2, s3
	v_cndmask_b32_e64 v20, v22, v6, s3
	v_cndmask_b32_e32 v2, v5, v6, vcc_lo
	v_cmp_eq_u32_e32 vcc_lo, 3, v76
	v_cmp_eq_u32_e64 s4, 3, v77
	v_cndmask_b32_e64 v5, v9, v10, s6
	v_cndmask_b32_e64 v6, v13, v14, s6
	;; [unrolled: 1-line block ×4, first 2 shown]
	v_cndmask_b32_e32 v17, v19, v10, vcc_lo
	v_cmp_eq_u32_e64 s3, 4, v76
	v_cndmask_b32_e32 v18, v20, v14, vcc_lo
	v_cndmask_b32_e64 v1, v1, v10, s4
	v_cmp_eq_u32_e32 vcc_lo, 4, v77
	v_cmp_eq_u32_e64 s5, 4, v75
	v_cndmask_b32_e64 v2, v2, v14, s4
	v_cmp_eq_u32_e64 s4, 4, v78
	v_lshrrev_b32_e32 v15, 16, v7
	v_cmp_eq_u32_e64 s6, 5, v75
	v_cndmask_b32_e64 v5, v5, v3, s5
	v_cndmask_b32_e64 v6, v6, v7, s5
	;; [unrolled: 1-line block ×3, first 2 shown]
	v_cmp_eq_u32_e64 s5, 5, v78
	v_cndmask_b32_e64 v10, v13, v7, s4
	v_cndmask_b32_e64 v13, v17, v3, s3
	;; [unrolled: 1-line block ×3, first 2 shown]
	v_cmp_eq_u32_e64 s4, 5, v76
	v_cndmask_b32_e32 v1, v1, v3, vcc_lo
	v_cndmask_b32_e32 v2, v2, v7, vcc_lo
	v_cmp_eq_u32_e32 vcc_lo, 5, v77
	v_cndmask_b32_e64 v5, v5, v11, s6
	v_cmp_eq_u32_e64 s3, 6, v75
	v_cndmask_b32_e64 v6, v6, v15, s6
	v_cndmask_b32_e64 v9, v9, v11, s5
	;; [unrolled: 1-line block ×4, first 2 shown]
	v_cmp_eq_u32_e64 s5, 6, v78
	v_cndmask_b32_e64 v3, v14, v15, s4
	v_cndmask_b32_e32 v1, v1, v11, vcc_lo
	v_cmp_eq_u32_e64 s4, 6, v77
	v_cndmask_b32_e32 v2, v2, v15, vcc_lo
	v_lshrrev_b32_e32 v12, 16, v4
	v_cndmask_b32_e64 v5, v5, v4, s3
	v_cndmask_b32_e64 v9, v9, v4, s5
	;; [unrolled: 1-line block ×3, first 2 shown]
	v_cmp_eq_u32_e64 s3, 7, v75
	v_cmp_eq_u32_e64 s6, 7, v78
	v_cndmask_b32_e64 v7, v13, v4, s7
	v_cndmask_b32_e64 v3, v3, v8, s7
	;; [unrolled: 1-line block ×3, first 2 shown]
	v_cmp_eq_u32_e32 vcc_lo, 7, v77
	v_cndmask_b32_e64 v2, v2, v8, s4
	v_cmp_eq_u32_e64 s4, 7, v76
	v_cndmask_b32_e64 v4, v10, v8, s5
	v_cndmask_b32_e64 v5, v5, v12, s3
	;; [unrolled: 1-line block ×3, first 2 shown]
	v_cndmask_b32_e32 v2, v2, v16, vcc_lo
	v_cndmask_b32_e64 v7, v7, v12, s4
	v_cndmask_b32_e32 v1, v1, v12, vcc_lo
	v_cndmask_b32_e64 v3, v3, v16, s4
	v_cndmask_b32_e64 v8, v4, v16, s6
	v_cndmask_b32_e64 v6, v6, v16, s3
	v_cmp_gt_u32_e32 vcc_lo, 32, v0
	v_perm_b32 v4, v2, v1, 0x5040100
	v_perm_b32 v3, v3, v7, 0x5040100
	;; [unrolled: 1-line block ×4, first 2 shown]
	s_and_b32 s2, vcc_lo, s2
	ds_store_b128 v80, v[1:4]
	s_waitcnt lgkmcnt(0)
	s_barrier
	buffer_gl0_inv
	s_and_saveexec_b32 s3, s2
	s_cbranch_execz .LBB1046_2
; %bb.14:
	s_load_b64 s[0:1], s[0:1], 0x68
	v_lshlrev_b32_e32 v1, 10, v0
	v_and_b32_e32 v0, 1, v0
	v_lshlrev_b32_e32 v2, 6, v74
	s_lshl_b32 s4, s36, 7
	s_delay_alu instid0(VALU_DEP_3) | instskip(NEXT) | instid1(VALU_DEP_3)
	v_and_b32_e32 v1, 0x3800, v1
	v_lshlrev_b32_e32 v0, 4, v0
	s_mul_i32 s2, s4, s34
	s_delay_alu instid0(SALU_CYCLE_1) | instskip(NEXT) | instid1(VALU_DEP_1)
	s_mul_i32 s2, s2, s37
	v_or3_b32 v0, v1, v2, v0
	s_ashr_i32 s3, s2, 31
	s_delay_alu instid0(SALU_CYCLE_1)
	s_lshl_b64 s[2:3], s[2:3], 1
	ds_load_b128 v[0:3], v0
	s_waitcnt lgkmcnt(0)
	s_add_u32 s5, s0, s2
	s_addc_u32 s3, s1, s3
	s_lshl_b32 s0, s14, 7
	s_mul_i32 s2, s4, s15
	s_ashr_i32 s1, s0, 31
	s_delay_alu instid0(SALU_CYCLE_1) | instskip(NEXT) | instid1(SALU_CYCLE_1)
	s_lshl_b64 s[0:1], s[0:1], 1
	s_add_u32 s4, s5, s0
	s_addc_u32 s5, s3, s1
	s_ashr_i32 s3, s2, 31
	s_delay_alu instid0(SALU_CYCLE_1) | instskip(NEXT) | instid1(SALU_CYCLE_1)
	s_lshl_b64 s[0:1], s[2:3], 1
	s_add_u32 s0, s4, s0
	s_addc_u32 s1, s5, s1
	global_store_b128 v73, v[0:3], s[0:1]
	s_nop 0
	s_sendmsg sendmsg(MSG_DEALLOC_VGPRS)
	s_endpgm
	.section	.rodata,"a",@progbits
	.p2align	6, 0x0
	.amdhsa_kernel _Z39paged_attention_ll4mi_QKV_mfma16_kernelIDF16_hLN4vllm18Fp8KVCacheDataTypeE1EhLi32ELi128ELi256ELb0ELi1EL8MFMAType1EEvPKT_PKT0_S8_ifPKiSA_SA_iPKfiiiPfSD_PS3_PT2_iSC_SC_
		.amdhsa_group_segment_fixed_size 17472
		.amdhsa_private_segment_fixed_size 0
		.amdhsa_kernarg_size 400
		.amdhsa_user_sgpr_count 13
		.amdhsa_user_sgpr_dispatch_ptr 0
		.amdhsa_user_sgpr_queue_ptr 0
		.amdhsa_user_sgpr_kernarg_segment_ptr 1
		.amdhsa_user_sgpr_dispatch_id 0
		.amdhsa_user_sgpr_private_segment_size 0
		.amdhsa_wavefront_size32 1
		.amdhsa_uses_dynamic_stack 0
		.amdhsa_enable_private_segment 0
		.amdhsa_system_sgpr_workgroup_id_x 1
		.amdhsa_system_sgpr_workgroup_id_y 1
		.amdhsa_system_sgpr_workgroup_id_z 1
		.amdhsa_system_sgpr_workgroup_info 0
		.amdhsa_system_vgpr_workitem_id 0
		.amdhsa_next_free_vgpr 134
		.amdhsa_next_free_sgpr 68
		.amdhsa_reserve_vcc 1
		.amdhsa_float_round_mode_32 0
		.amdhsa_float_round_mode_16_64 0
		.amdhsa_float_denorm_mode_32 3
		.amdhsa_float_denorm_mode_16_64 3
		.amdhsa_dx10_clamp 1
		.amdhsa_ieee_mode 1
		.amdhsa_fp16_overflow 0
		.amdhsa_workgroup_processor_mode 1
		.amdhsa_memory_ordered 1
		.amdhsa_forward_progress 0
		.amdhsa_shared_vgpr_count 0
		.amdhsa_exception_fp_ieee_invalid_op 0
		.amdhsa_exception_fp_denorm_src 0
		.amdhsa_exception_fp_ieee_div_zero 0
		.amdhsa_exception_fp_ieee_overflow 0
		.amdhsa_exception_fp_ieee_underflow 0
		.amdhsa_exception_fp_ieee_inexact 0
		.amdhsa_exception_int_div_zero 0
	.end_amdhsa_kernel
	.section	.text._Z39paged_attention_ll4mi_QKV_mfma16_kernelIDF16_hLN4vllm18Fp8KVCacheDataTypeE1EhLi32ELi128ELi256ELb0ELi1EL8MFMAType1EEvPKT_PKT0_S8_ifPKiSA_SA_iPKfiiiPfSD_PS3_PT2_iSC_SC_,"axG",@progbits,_Z39paged_attention_ll4mi_QKV_mfma16_kernelIDF16_hLN4vllm18Fp8KVCacheDataTypeE1EhLi32ELi128ELi256ELb0ELi1EL8MFMAType1EEvPKT_PKT0_S8_ifPKiSA_SA_iPKfiiiPfSD_PS3_PT2_iSC_SC_,comdat
.Lfunc_end1046:
	.size	_Z39paged_attention_ll4mi_QKV_mfma16_kernelIDF16_hLN4vllm18Fp8KVCacheDataTypeE1EhLi32ELi128ELi256ELb0ELi1EL8MFMAType1EEvPKT_PKT0_S8_ifPKiSA_SA_iPKfiiiPfSD_PS3_PT2_iSC_SC_, .Lfunc_end1046-_Z39paged_attention_ll4mi_QKV_mfma16_kernelIDF16_hLN4vllm18Fp8KVCacheDataTypeE1EhLi32ELi128ELi256ELb0ELi1EL8MFMAType1EEvPKT_PKT0_S8_ifPKiSA_SA_iPKfiiiPfSD_PS3_PT2_iSC_SC_
                                        ; -- End function
	.section	.AMDGPU.csdata,"",@progbits
; Kernel info:
; codeLenInByte = 6404
; NumSgprs: 70
; NumVgprs: 134
; ScratchSize: 0
; MemoryBound: 1
; FloatMode: 240
; IeeeMode: 1
; LDSByteSize: 17472 bytes/workgroup (compile time only)
; SGPRBlocks: 8
; VGPRBlocks: 16
; NumSGPRsForWavesPerEU: 70
; NumVGPRsForWavesPerEU: 134
; Occupancy: 10
; WaveLimiterHint : 1
; COMPUTE_PGM_RSRC2:SCRATCH_EN: 0
; COMPUTE_PGM_RSRC2:USER_SGPR: 13
; COMPUTE_PGM_RSRC2:TRAP_HANDLER: 0
; COMPUTE_PGM_RSRC2:TGID_X_EN: 1
; COMPUTE_PGM_RSRC2:TGID_Y_EN: 1
; COMPUTE_PGM_RSRC2:TGID_Z_EN: 1
; COMPUTE_PGM_RSRC2:TIDIG_COMP_CNT: 0
	.section	.text._Z39paged_attention_ll4mi_QKV_mfma16_kernelIDF16_hLN4vllm18Fp8KVCacheDataTypeE1EhLi32ELi128ELi256ELb0ELi2EL8MFMAType1EEvPKT_PKT0_S8_ifPKiSA_SA_iPKfiiiPfSD_PS3_PT2_iSC_SC_,"axG",@progbits,_Z39paged_attention_ll4mi_QKV_mfma16_kernelIDF16_hLN4vllm18Fp8KVCacheDataTypeE1EhLi32ELi128ELi256ELb0ELi2EL8MFMAType1EEvPKT_PKT0_S8_ifPKiSA_SA_iPKfiiiPfSD_PS3_PT2_iSC_SC_,comdat
	.protected	_Z39paged_attention_ll4mi_QKV_mfma16_kernelIDF16_hLN4vllm18Fp8KVCacheDataTypeE1EhLi32ELi128ELi256ELb0ELi2EL8MFMAType1EEvPKT_PKT0_S8_ifPKiSA_SA_iPKfiiiPfSD_PS3_PT2_iSC_SC_ ; -- Begin function _Z39paged_attention_ll4mi_QKV_mfma16_kernelIDF16_hLN4vllm18Fp8KVCacheDataTypeE1EhLi32ELi128ELi256ELb0ELi2EL8MFMAType1EEvPKT_PKT0_S8_ifPKiSA_SA_iPKfiiiPfSD_PS3_PT2_iSC_SC_
	.globl	_Z39paged_attention_ll4mi_QKV_mfma16_kernelIDF16_hLN4vllm18Fp8KVCacheDataTypeE1EhLi32ELi128ELi256ELb0ELi2EL8MFMAType1EEvPKT_PKT0_S8_ifPKiSA_SA_iPKfiiiPfSD_PS3_PT2_iSC_SC_
	.p2align	8
	.type	_Z39paged_attention_ll4mi_QKV_mfma16_kernelIDF16_hLN4vllm18Fp8KVCacheDataTypeE1EhLi32ELi128ELi256ELb0ELi2EL8MFMAType1EEvPKT_PKT0_S8_ifPKiSA_SA_iPKfiiiPfSD_PS3_PT2_iSC_SC_,@function
_Z39paged_attention_ll4mi_QKV_mfma16_kernelIDF16_hLN4vllm18Fp8KVCacheDataTypeE1EhLi32ELi128ELi256ELb0ELi2EL8MFMAType1EEvPKT_PKT0_S8_ifPKiSA_SA_iPKfiiiPfSD_PS3_PT2_iSC_SC_: ; @_Z39paged_attention_ll4mi_QKV_mfma16_kernelIDF16_hLN4vllm18Fp8KVCacheDataTypeE1EhLi32ELi128ELi256ELb0ELi2EL8MFMAType1EEvPKT_PKT0_S8_ifPKiSA_SA_iPKfiiiPfSD_PS3_PT2_iSC_SC_
; %bb.0:
	s_load_b64 s[2:3], s[0:1], 0x30
	s_mov_b32 s34, s13
	s_waitcnt lgkmcnt(0)
	s_cmp_lg_u64 s[2:3], 0
	s_cselect_b32 s8, -1, 0
	s_ashr_i32 s35, s13, 31
	s_cmp_eq_u64 s[2:3], 0
	s_cbranch_scc1 .LBB1047_3
; %bb.1:
	s_lshl_b64 s[4:5], s[34:35], 2
	s_delay_alu instid0(SALU_CYCLE_1) | instskip(SKIP_4) | instid1(SALU_CYCLE_1)
	s_add_u32 s4, s2, s4
	s_addc_u32 s5, s3, s5
	s_load_b64 s[4:5], s[4:5], 0x0
	s_waitcnt lgkmcnt(0)
	s_sub_i32 s4, s5, s4
	s_cmp_eq_u32 s4, 1
	s_cselect_b32 s4, -1, 0
	s_delay_alu instid0(SALU_CYCLE_1)
	s_and_not1_b32 vcc_lo, exec_lo, s4
	s_cbranch_vccz .LBB1047_4
.LBB1047_2:
	s_endpgm
.LBB1047_3:
.LBB1047_4:
	s_load_b64 s[4:5], s[0:1], 0x28
	s_lshl_b64 s[6:7], s[34:35], 2
	s_waitcnt lgkmcnt(0)
	s_add_u32 s4, s4, s6
	s_addc_u32 s5, s5, s7
	s_lshl_b32 s12, s14, 8
	s_load_b32 s24, s[4:5], 0x0
	s_waitcnt lgkmcnt(0)
	s_cmp_ge_i32 s12, s24
	s_cbranch_scc1 .LBB1047_2
; %bb.5:
	s_clause 0x1
	s_load_b128 s[20:23], s[0:1], 0x8
	s_load_b64 s[4:5], s[0:1], 0x20
	s_and_not1_b32 vcc_lo, exec_lo, s8
	s_cbranch_vccnz .LBB1047_7
; %bb.6:
	s_add_u32 s2, s2, s6
	s_addc_u32 s3, s3, s7
	s_load_b32 s3, s[2:3], 0x0
	s_branch .LBB1047_8
.LBB1047_7:
	s_mov_b32 s3, s34
.LBB1047_8:
	s_load_b128 s[16:19], s[0:1], 0x48
	v_and_b32_e32 v70, 15, v0
	v_bfe_u32 v69, v0, 4, 1
	s_lshl_b32 s31, s15, 1
	v_and_b32_e32 v71, 31, v0
	v_and_b32_e32 v68, 1, v0
	v_lshlrev_b32_e32 v1, 3, v70
	v_cmp_gt_u32_e64 s2, 32, v0
	v_or_b32_e32 v67, s31, v69
	v_lshlrev_b32_e32 v66, 6, v69
	s_delay_alu instid0(VALU_DEP_4) | instskip(NEXT) | instid1(VALU_DEP_4)
	v_lshlrev_b32_e32 v65, 1, v1
	s_and_saveexec_b32 s6, s2
	s_cbranch_execz .LBB1047_10
; %bb.9:
	s_load_b64 s[8:9], s[0:1], 0x0
	v_lshlrev_b32_e32 v1, 7, v67
	s_waitcnt lgkmcnt(0)
	s_mul_hi_i32 s11, s3, s16
	s_mul_i32 s10, s3, s16
	v_lshlrev_b32_e32 v5, 10, v70
	s_lshl_b64 s[10:11], s[10:11], 1
	v_ashrrev_i32_e32 v2, 31, v1
	v_lshlrev_b32_e32 v6, 10, v68
	s_delay_alu instid0(VALU_DEP_3) | instskip(NEXT) | instid1(VALU_DEP_3)
	v_and_b32_e32 v5, 0x3800, v5
	v_lshlrev_b64 v[1:2], 1, v[1:2]
	s_delay_alu instid0(VALU_DEP_2) | instskip(SKIP_2) | instid1(VALU_DEP_2)
	v_or3_b32 v5, v5, v6, v66
	s_add_u32 s3, s8, s10
	s_addc_u32 s7, s9, s11
	v_add_co_u32 v1, vcc_lo, s3, v1
	s_delay_alu instid0(VALU_DEP_3) | instskip(NEXT) | instid1(VALU_DEP_2)
	v_add_co_ci_u32_e32 v2, vcc_lo, s7, v2, vcc_lo
	v_add_co_u32 v1, vcc_lo, v1, v65
	s_delay_alu instid0(VALU_DEP_2)
	v_add_co_ci_u32_e32 v2, vcc_lo, 0, v2, vcc_lo
	global_load_b128 v[1:4], v[1:2], off
	s_waitcnt vmcnt(0)
	ds_store_b128 v5, v[1:4]
.LBB1047_10:
	s_or_b32 exec_lo, exec_lo, s6
	v_and_b32_e32 v1, 0xef, v0
	s_waitcnt lgkmcnt(0)
	s_add_i32 s3, s24, 31
	s_clause 0x1
	s_load_b32 s6, s[0:1], 0x38
	s_load_b32 s33, s[0:1], 0x98
	s_ashr_i32 s7, s3, 31
	v_add_nc_u32_e32 v1, s12, v1
	s_lshr_b32 s7, s7, 27
	s_load_b32 s19, s[0:1], 0x1c
	s_add_i32 s3, s3, s7
	s_waitcnt lgkmcnt(0)
	v_ashrrev_i32_e32 v2, 31, v1
	v_or_b32_e32 v3, 16, v1
	s_ashr_i32 s3, s3, 5
	v_cmp_gt_i32_e32 vcc_lo, s24, v1
	s_add_i32 s3, s3, -1
	v_lshrrev_b32_e32 v2, 27, v2
	s_barrier
	buffer_gl0_inv
	s_mul_i32 s35, s15, s18
	v_lshrrev_b32_e32 v72, 5, v0
	v_add_nc_u32_e32 v4, v1, v2
	s_mul_i32 s6, s34, s6
	s_delay_alu instid0(SALU_CYCLE_1) | instskip(NEXT) | instid1(VALU_DEP_1)
	s_ashr_i32 s7, s6, 31
	v_ashrrev_i32_e32 v4, 5, v4
	v_add_nc_u32_e32 v2, v3, v2
	s_lshl_b64 s[6:7], s[6:7], 2
	s_delay_alu instid0(SALU_CYCLE_1) | instskip(NEXT) | instid1(VALU_DEP_2)
	s_add_u32 s25, s4, s6
	v_cndmask_b32_e32 v1, s3, v4, vcc_lo
	s_delay_alu instid0(VALU_DEP_2)
	v_ashrrev_i32_e32 v2, 5, v2
	v_cmp_gt_i32_e32 vcc_lo, s24, v3
	s_addc_u32 s30, s5, s7
	s_ashr_i32 s38, s35, 31
	s_add_u32 s4, s20, s35
	s_addc_u32 s5, s21, s38
	v_cndmask_b32_e32 v3, s3, v2, vcc_lo
	v_ashrrev_i32_e32 v2, 31, v1
	s_lshl_b32 s6, s14, 3
	s_delay_alu instid0(SALU_CYCLE_1) | instskip(NEXT) | instid1(VALU_DEP_2)
	s_ashr_i32 s7, s6, 31
	v_ashrrev_i32_e32 v4, 31, v3
	s_delay_alu instid0(VALU_DEP_2) | instskip(SKIP_1) | instid1(SALU_CYCLE_1)
	v_lshlrev_b64 v[1:2], 2, v[1:2]
	s_lshl_b64 s[6:7], s[6:7], 2
	s_add_u32 s6, s25, s6
	s_delay_alu instid0(VALU_DEP_2) | instskip(SKIP_1) | instid1(VALU_DEP_2)
	v_lshlrev_b64 v[3:4], 2, v[3:4]
	s_addc_u32 s7, s30, s7
	v_add_co_u32 v1, vcc_lo, s25, v1
	v_add_co_ci_u32_e32 v2, vcc_lo, s30, v2, vcc_lo
	s_delay_alu instid0(VALU_DEP_3) | instskip(NEXT) | instid1(VALU_DEP_4)
	v_add_co_u32 v3, vcc_lo, s25, v3
	v_add_co_ci_u32_e32 v4, vcc_lo, s30, v4, vcc_lo
	s_clause 0x1
	global_load_b32 v5, v[1:2], off
	global_load_b32 v6, v[3:4], off
	s_or_b32 s8, s12, 32
	s_delay_alu instid0(SALU_CYCLE_1) | instskip(SKIP_2) | instid1(SALU_CYCLE_1)
	s_ashr_i32 s9, s8, 5
	s_cmp_lt_i32 s8, s24
	s_cselect_b32 s8, s9, s3
	s_ashr_i32 s9, s8, 31
	s_delay_alu instid0(SALU_CYCLE_1) | instskip(NEXT) | instid1(SALU_CYCLE_1)
	s_lshl_b64 s[8:9], s[8:9], 2
	s_add_u32 s8, s25, s8
	s_addc_u32 s9, s30, s9
	s_or_b32 s10, s12, 64
	s_delay_alu instid0(SALU_CYCLE_1) | instskip(SKIP_2) | instid1(SALU_CYCLE_1)
	s_ashr_i32 s11, s10, 5
	s_cmp_lt_i32 s10, s24
	s_cselect_b32 s10, s11, s3
	s_ashr_i32 s11, s10, 31
	s_delay_alu instid0(SALU_CYCLE_1) | instskip(NEXT) | instid1(SALU_CYCLE_1)
	s_lshl_b64 s[10:11], s[10:11], 2
	s_add_u32 s10, s25, s10
	s_addc_u32 s11, s30, s11
	;; [unrolled: 10-line block ×5, first 2 shown]
	s_clause 0x5
	s_load_b32 s21, s[6:7], 0x0
	s_load_b32 s13, s[8:9], 0x0
	;; [unrolled: 1-line block ×6, first 2 shown]
	s_or_b32 s7, s12, 0xc0
	s_delay_alu instid0(SALU_CYCLE_1) | instskip(SKIP_2) | instid1(SALU_CYCLE_1)
	s_ashr_i32 s8, s7, 5
	s_cmp_lt_i32 s7, s24
	s_cselect_b32 s10, s8, s3
	s_ashr_i32 s11, s10, 31
	s_delay_alu instid0(SALU_CYCLE_1) | instskip(NEXT) | instid1(SALU_CYCLE_1)
	s_lshl_b64 s[26:27], s[10:11], 2
	s_add_u32 s26, s25, s26
	s_addc_u32 s27, s30, s27
	s_or_b32 s28, s12, 0xe0
	s_delay_alu instid0(SALU_CYCLE_1)
	s_ashr_i32 s29, s28, 5
	s_cmp_lt_i32 s28, s24
	s_waitcnt vmcnt(1)
	v_mad_i64_i32 v[1:2], null, v5, s17, s[4:5]
	s_waitcnt vmcnt(0)
	v_mad_i64_i32 v[3:4], null, v6, s17, s[4:5]
	s_mov_b32 s4, 0
	s_delay_alu instid0(SALU_CYCLE_1)
	s_mov_b32 s5, s4
	s_mov_b32 s6, s4
	s_mov_b32 s7, s4
	s_mov_b32 s8, s4
	s_mov_b32 s9, s4
	s_mov_b32 s10, s4
	s_mov_b32 s11, s4
	s_delay_alu instid0(SALU_CYCLE_1) | instskip(SKIP_2) | instid1(VALU_DEP_3)
	v_dual_mov_b32 v120, s11 :: v_dual_lshlrev_b32 v5, 4, v70
	v_dual_mov_b32 v116, s7 :: v_dual_lshlrev_b32 v145, 6, v68
	v_mov_b32_e32 v114, s5
	v_add_co_u32 v1, vcc_lo, v1, v5
	v_add_co_ci_u32_e32 v2, vcc_lo, 0, v2, vcc_lo
	v_add_co_u32 v3, vcc_lo, v3, v5
	v_add_co_ci_u32_e32 v4, vcc_lo, 0, v4, vcc_lo
	s_clause 0xf
	global_load_b128 v[9:12], v[1:2], off
	global_load_b128 v[13:16], v[1:2], off offset:512
	global_load_b128 v[17:20], v[3:4], off offset:256
	;; [unrolled: 1-line block ×15, first 2 shown]
	v_dual_mov_b32 v119, s10 :: v_dual_mov_b32 v118, s9
	v_mov_b32_e32 v117, s8
	v_mov_b32_e32 v115, s6
	;; [unrolled: 1-line block ×3, first 2 shown]
	s_cselect_b32 s4, s29, s3
	v_lshlrev_b32_e32 v1, 5, v70
	s_ashr_i32 s5, s4, 31
	ds_load_b128 v[25:28], v145
	ds_load_b128 v[29:32], v145 offset:1024
	s_lshl_b64 s[4:5], s[4:5], 2
	s_load_b32 s3, s[26:27], 0x0
	s_add_u32 s4, s25, s4
	s_addc_u32 s5, s30, s5
	ds_load_b128 v[121:124], v145 offset:2048
	ds_load_b128 v[125:128], v145 offset:3072
	s_load_b32 s4, s[4:5], 0x0
	v_lshl_or_b32 v1, v72, 9, v1
	s_add_u32 s6, s22, s35
	s_addc_u32 s7, s23, s38
	s_delay_alu instid0(VALU_DEP_1) | instskip(NEXT) | instid1(VALU_DEP_1)
	v_add_co_u32 v129, s6, s6, v1
	v_add_co_ci_u32_e64 v130, null, s7, 0, s6
	s_waitcnt lgkmcnt(0)
	s_delay_alu instid0(VALU_DEP_1)
	v_mad_i64_i32 v[1:2], null, s21, s17, v[129:130]
	v_mad_i64_i32 v[3:4], null, s13, s17, v[129:130]
	;; [unrolled: 1-line block ×8, first 2 shown]
	s_clause 0x7
	global_load_b128 v[49:52], v[1:2], off
	global_load_b128 v[53:56], v[1:2], off offset:16
	global_load_b128 v[41:44], v[3:4], off
	global_load_b128 v[45:48], v[3:4], off offset:16
	;; [unrolled: 2-line block ×4, first 2 shown]
	s_waitcnt vmcnt(22)
	v_wmma_f32_16x16x16_f16 v[129:136], v[9:16], v[25:32], v[113:120]
	s_waitcnt vmcnt(20)
	v_wmma_f32_16x16x16_f16 v[113:120], v[17:24], v[25:32], v[113:120]
	s_clause 0x5
	global_load_b128 v[9:12], v[137:138], off
	global_load_b128 v[13:16], v[137:138], off offset:16
	global_load_b128 v[17:20], v[139:140], off
	global_load_b128 v[21:24], v[139:140], off offset:16
	;; [unrolled: 2-line block ×3, first 2 shown]
	v_mbcnt_lo_u32_b32 v137, -1, 0
	s_waitcnt vmcnt(24)
	v_wmma_f32_16x16x16_f16 v[129:136], v[57:64], v[121:128], v[129:136]
	s_clause 0x1
	global_load_b128 v[57:60], v[143:144], off
	global_load_b128 v[61:64], v[143:144], off offset:16
	s_waitcnt vmcnt(24)
	v_wmma_f32_16x16x16_f16 v[113:120], v[73:80], v[121:128], v[113:120]
	ds_load_b128 v[73:76], v145 offset:4096
	ds_load_b128 v[77:80], v145 offset:5120
	v_and_b32_e32 v121, 0xe0, v0
	v_xor_b32_e32 v139, 16, v137
	s_delay_alu instid0(VALU_DEP_2)
	v_add_nc_u32_e32 v138, s12, v121
	ds_load_b128 v[121:124], v145 offset:6144
	ds_load_b128 v[125:128], v145 offset:7168
	v_cmp_gt_i32_e32 vcc_lo, 32, v139
	s_waitcnt vmcnt(0) lgkmcnt(0)
	s_barrier
	v_or_b32_e32 v138, v138, v69
	buffer_gl0_inv
	v_or_b32_e32 v140, 4, v138
	v_or_b32_e32 v141, 6, v138
	;; [unrolled: 1-line block ×3, first 2 shown]
	v_wmma_f32_16x16x16_f16 v[129:136], v[81:88], v[73:80], v[129:136]
	v_wmma_f32_16x16x16_f16 v[113:120], v[89:96], v[73:80], v[113:120]
	v_or_b32_e32 v81, 10, v138
	v_cmp_gt_i32_e64 s4, s24, v140
	v_cmp_gt_i32_e64 s5, s24, v141
	v_or_b32_e32 v82, 12, v138
	v_or_b32_e32 v83, 14, v138
	v_wmma_f32_16x16x16_f16 v[129:136], v[97:104], v[121:128], v[129:136]
	v_wmma_f32_16x16x16_f16 v[113:120], v[105:112], v[121:128], v[113:120]
	v_cndmask_b32_e32 v137, v137, v139, vcc_lo
	v_or_b32_e32 v139, 2, v138
	v_cmp_gt_i32_e32 vcc_lo, s24, v138
	v_mul_f32_e32 v90, s19, v130
	v_dual_mul_f32 v92, s19, v120 :: v_dual_mul_f32 v91, s19, v129
	s_delay_alu instid0(VALU_DEP_4) | instskip(SKIP_2) | instid1(VALU_DEP_4)
	v_cmp_gt_i32_e64 s3, s24, v139
	v_dual_mul_f32 v80, s19, v132 :: v_dual_mul_f32 v89, s19, v131
	v_mul_f32_e32 v98, s19, v114
	v_cndmask_b32_e32 v91, 0xff7fffff, v91, vcc_lo
	s_delay_alu instid0(VALU_DEP_4)
	v_cndmask_b32_e64 v90, 0xff7fffff, v90, s3
	v_dual_mul_f32 v78, s19, v134 :: v_dual_mul_f32 v79, s19, v133
	v_mul_f32_e32 v96, s19, v116
	v_cndmask_b32_e64 v89, 0xff7fffff, v89, s4
	v_cndmask_b32_e64 v80, 0xff7fffff, v80, s5
	v_max3_f32 v90, v91, 0xff7fffff, v90
	v_cmp_gt_i32_e64 s6, s24, v142
	v_cmp_gt_i32_e64 s7, s24, v81
	v_or_b32_e32 v84, 16, v138
	v_or_b32_e32 v85, 18, v138
	v_dual_mul_f32 v76, s19, v136 :: v_dual_mul_f32 v77, s19, v135
	v_mul_f32_e32 v94, s19, v118
	v_cndmask_b32_e64 v79, 0xff7fffff, v79, s6
	v_cndmask_b32_e64 v78, 0xff7fffff, v78, s7
	v_max3_f32 v80, v90, v89, v80
	v_cmp_gt_i32_e64 s8, s24, v82
	v_cmp_gt_i32_e64 s9, s24, v83
	v_or_b32_e32 v86, 20, v138
	v_or_b32_e32 v87, 22, v138
	v_mul_f32_e32 v99, s19, v113
	v_cndmask_b32_e64 v77, 0xff7fffff, v77, s8
	v_cndmask_b32_e64 v76, 0xff7fffff, v76, s9
	v_max3_f32 v78, v80, v79, v78
	v_cmp_gt_i32_e64 s10, s24, v84
	v_cmp_gt_i32_e64 s11, s24, v85
	v_or_b32_e32 v88, 24, v138
	v_or_b32_e32 v73, 26, v138
	;; [unrolled: 8-line block ×3, first 2 shown]
	v_mul_f32_e32 v95, s19, v117
	v_cndmask_b32_e64 v77, 0xff7fffff, v97, s12
	v_cndmask_b32_e64 v78, 0xff7fffff, v96, s13
	v_max3_f32 v76, v76, v79, v80
	v_cmp_gt_i32_e64 s15, s24, v88
	v_cmp_gt_i32_e64 s16, s24, v73
	v_mul_f32_e32 v93, s19, v119
	v_cmp_gt_i32_e64 s17, s24, v74
	v_max3_f32 v76, v76, v77, v78
	v_cndmask_b32_e64 v79, 0xff7fffff, v95, s15
	v_cndmask_b32_e64 v73, 0xff7fffff, v94, s16
	v_cmp_gt_i32_e64 s18, s24, v75
	v_cndmask_b32_e64 v74, 0xff7fffff, v93, s17
	s_delay_alu instid0(VALU_DEP_3) | instskip(NEXT) | instid1(VALU_DEP_3)
	v_max3_f32 v73, v76, v79, v73
	v_cndmask_b32_e64 v75, 0xff7fffff, v92, s18
	v_lshlrev_b32_e32 v76, 2, v137
	s_delay_alu instid0(VALU_DEP_2) | instskip(SKIP_3) | instid1(VALU_DEP_1)
	v_max3_f32 v73, v73, v74, v75
	ds_bpermute_b32 v74, v76, v73
	s_waitcnt lgkmcnt(0)
	v_max_f32_e32 v74, v74, v74
	v_max_f32_e32 v73, v73, v74
	s_delay_alu instid0(VALU_DEP_1)
	v_fma_f32 v78, s19, v132, -v73
	v_fma_f32 v74, s19, v129, -v73
	;; [unrolled: 1-line block ×5, first 2 shown]
	v_mul_f32_e32 v78, 0x3fb8aa3b, v78
	v_mul_f32_e32 v74, 0x3fb8aa3b, v74
	s_delay_alu instid0(VALU_DEP_4) | instskip(SKIP_1) | instid1(VALU_DEP_4)
	v_dual_mul_f32 v80, 0x3fb8aa3b, v80 :: v_dual_mul_f32 v83, 0x3fb8aa3b, v83
	v_fma_f32 v77, s19, v131, -v73
	v_exp_f32_e32 v82, v78
	s_delay_alu instid0(VALU_DEP_3) | instskip(NEXT) | instid1(VALU_DEP_2)
	v_exp_f32_e32 v74, v74
	v_exp_f32_e32 v84, v80
	v_exp_f32_e32 v85, v83
	v_mul_f32_e32 v77, 0x3fb8aa3b, v77
	s_delay_alu instid0(VALU_DEP_1)
	v_exp_f32_e32 v77, v77
	v_cndmask_b32_e64 v80, 0, v82, s5
	v_fma_f32 v82, s19, v113, -v73
	v_mul_f32_e32 v75, 0x3fb8aa3b, v75
	s_waitcnt_depctr 0xfff
	v_cndmask_b32_e64 v85, 0, v85, s8
	v_cndmask_b32_e32 v79, 0, v74, vcc_lo
	v_fma_f32 v74, s19, v134, -v73
	v_mul_f32_e32 v86, 0x3fb8aa3b, v82
	v_exp_f32_e32 v75, v75
	v_cndmask_b32_e64 v83, 0, v84, s6
	v_cndmask_b32_e64 v81, 0, v77, s4
	v_mul_f32_e32 v74, 0x3fb8aa3b, v74
	v_exp_f32_e32 v86, v86
	s_delay_alu instid0(VALU_DEP_1) | instskip(NEXT) | instid1(TRANS32_DEP_3)
	v_exp_f32_e32 v74, v74
	v_cndmask_b32_e64 v78, 0, v75, s3
	v_add_f32_e32 v75, 0, v79
	s_mov_b32 s3, exec_lo
	s_delay_alu instid0(VALU_DEP_1) | instskip(SKIP_3) | instid1(VALU_DEP_1)
	v_add_f32_e32 v75, v75, v78
	s_waitcnt_depctr 0xfff
	v_cndmask_b32_e64 v82, 0, v74, s7
	v_add_f32_e32 v75, v75, v81
	v_add_f32_e32 v75, v75, v80
	s_delay_alu instid0(VALU_DEP_1)
	v_add_f32_e32 v74, v75, v83
	v_fma_f32 v90, s19, v118, -v73
	v_fma_f32 v84, s19, v114, -v73
	;; [unrolled: 1-line block ×5, first 2 shown]
	v_mul_f32_e32 v90, 0x3fb8aa3b, v90
	v_mul_f32_e32 v84, 0x3fb8aa3b, v84
	s_delay_alu instid0(VALU_DEP_4) | instskip(SKIP_1) | instid1(VALU_DEP_4)
	v_dual_add_f32 v74, v74, v82 :: v_dual_mul_f32 v89, 0x3fb8aa3b, v87
	v_cndmask_b32_e64 v87, 0, v86, s10
	v_exp_f32_e32 v90, v90
	s_delay_alu instid0(VALU_DEP_3) | instskip(NEXT) | instid1(VALU_DEP_2)
	v_exp_f32_e32 v88, v84
	v_add_f32_e32 v74, v74, v85
	v_exp_f32_e32 v91, v89
	v_fma_f32 v92, s19, v120, -v73
	s_delay_alu instid0(TRANS32_DEP_3)
	v_cndmask_b32_e64 v90, 0, v90, s16
	v_mul_f32_e32 v75, 0x3fb8aa3b, v75
	s_waitcnt_depctr 0xfff
	v_cndmask_b32_e64 v86, 0, v88, s11
	v_fma_f32 v88, s19, v119, -v73
	v_exp_f32_e32 v75, v75
	s_waitcnt_depctr 0xfff
	v_cndmask_b32_e64 v89, 0, v75, s12
	v_mul_f32_e32 v75, 0x3fb8aa3b, v88
	v_cndmask_b32_e64 v88, 0, v91, s13
	v_mul_f32_e32 v77, 0x3fb8aa3b, v77
	s_delay_alu instid0(VALU_DEP_3) | instskip(NEXT) | instid1(VALU_DEP_1)
	v_exp_f32_e32 v75, v75
	v_exp_f32_e32 v77, v77
	s_waitcnt_depctr 0xfff
	v_cndmask_b32_e64 v93, 0, v75, s17
	v_cndmask_b32_e64 v84, 0, v77, s9
	v_fma_f32 v77, s19, v117, -v73
	s_delay_alu instid0(VALU_DEP_2) | instskip(NEXT) | instid1(VALU_DEP_1)
	v_add_f32_e32 v74, v74, v84
	v_add_f32_e32 v74, v74, v87
	s_delay_alu instid0(VALU_DEP_1) | instskip(NEXT) | instid1(VALU_DEP_1)
	v_add_f32_e32 v74, v74, v86
	v_add_f32_e32 v74, v74, v89
	s_delay_alu instid0(VALU_DEP_1) | instskip(NEXT) | instid1(VALU_DEP_1)
	v_dual_add_f32 v74, v74, v88 :: v_dual_mul_f32 v77, 0x3fb8aa3b, v77
	v_exp_f32_e32 v77, v77
	s_waitcnt_depctr 0xfff
	v_cndmask_b32_e64 v91, 0, v77, s15
	s_delay_alu instid0(VALU_DEP_1) | instskip(NEXT) | instid1(VALU_DEP_1)
	v_dual_mul_f32 v77, 0x3fb8aa3b, v92 :: v_dual_add_f32 v74, v74, v91
	v_exp_f32_e32 v77, v77
	s_delay_alu instid0(VALU_DEP_1) | instskip(NEXT) | instid1(VALU_DEP_1)
	v_add_f32_e32 v74, v74, v90
	v_add_f32_e32 v74, v74, v93
	s_waitcnt_depctr 0xfff
	v_cndmask_b32_e64 v92, 0, v77, s18
	s_delay_alu instid0(VALU_DEP_1)
	v_add_f32_e32 v74, v74, v92
	ds_bpermute_b32 v75, v76, v74
	v_cmpx_gt_u32_e32 16, v71
	s_cbranch_execz .LBB1047_12
; %bb.11:
	v_mul_u32_u24_e32 v71, 0x44, v72
	s_waitcnt lgkmcnt(0)
	v_add_f32_e32 v74, v74, v75
	s_delay_alu instid0(VALU_DEP_2) | instskip(NEXT) | instid1(VALU_DEP_1)
	v_lshl_add_u32 v71, v70, 2, v71
	v_add_nc_u32_e32 v71, 0x4000, v71
	ds_store_2addr_b32 v71, v73, v74 offset1:136
.LBB1047_12:
	s_or_b32 exec_lo, exec_lo, s3
	v_lshlrev_b32_e32 v71, 2, v70
	s_load_b32 s35, s[0:1], 0x94
	s_waitcnt lgkmcnt(0)
	s_barrier
	buffer_gl0_inv
	v_add_nc_u32_e32 v71, 0x4000, v71
	v_cmp_eq_u32_e32 vcc_lo, 1, v72
	v_cmp_eq_u32_e64 s3, 2, v72
	v_cmp_eq_u32_e64 s4, 3, v72
	;; [unrolled: 1-line block ×3, first 2 shown]
	ds_load_2addr_b32 v[73:74], v71 offset1:17
	ds_load_2addr_b32 v[94:95], v71 offset0:34 offset1:51
	ds_load_2addr_b32 v[96:97], v71 offset0:68 offset1:85
	ds_load_2addr_b32 v[98:99], v71 offset0:102 offset1:119
	v_cmp_eq_u32_e64 s6, 5, v72
	v_cmp_eq_u32_e64 s7, 7, v72
	s_waitcnt lgkmcnt(3)
	v_max3_f32 v75, v73, 0xff7fffff, v74
	s_waitcnt lgkmcnt(2)
	s_delay_alu instid0(VALU_DEP_1) | instskip(SKIP_1) | instid1(VALU_DEP_1)
	v_max3_f32 v75, v75, v94, v95
	s_waitcnt lgkmcnt(1)
	v_max3_f32 v75, v75, v96, v97
	s_waitcnt lgkmcnt(0)
	s_delay_alu instid0(VALU_DEP_1) | instskip(NEXT) | instid1(VALU_DEP_1)
	v_max3_f32 v76, v75, v98, v99
	v_sub_f32_e32 v96, v96, v76
	ds_load_2addr_b32 v[100:101], v71 offset0:136 offset1:153
	v_sub_f32_e32 v73, v73, v76
	v_sub_f32_e32 v75, v74, v76
	;; [unrolled: 1-line block ×3, first 2 shown]
	v_mul_f32_e32 v105, 0x3fb8aa3b, v96
	s_delay_alu instid0(VALU_DEP_4)
	v_mul_f32_e32 v77, 0x3fb8aa3b, v73
	ds_load_2addr_b32 v[73:74], v71 offset0:170 offset1:187
	v_mul_f32_e32 v103, 0x3fb8aa3b, v94
	v_exp_f32_e32 v102, v77
	v_sub_f32_e32 v77, v95, v76
	ds_load_2addr_b32 v[94:95], v71 offset0:204 offset1:221
	v_exp_f32_e32 v103, v103
	v_mul_f32_e32 v104, 0x3fb8aa3b, v77
	s_waitcnt lgkmcnt(2)
	v_fma_f32 v77, v102, v100, 0
	v_dual_sub_f32 v100, v97, v76 :: v_dual_mul_f32 v75, 0x3fb8aa3b, v75
	ds_load_2addr_b32 v[96:97], v71 offset0:238 offset1:255
	v_sub_f32_e32 v71, v98, v76
	v_exp_f32_e32 v104, v104
	v_mul_f32_e32 v98, 0x3fb8aa3b, v100
	v_exp_f32_e32 v75, v75
	v_exp_f32_e32 v100, v105
	v_mul_f32_e32 v71, 0x3fb8aa3b, v71
	s_waitcnt lgkmcnt(0)
	v_exp_f32_e32 v98, v98
	s_barrier
	buffer_gl0_inv
	v_fmac_f32_e32 v77, v75, v101
	s_delay_alu instid0(VALU_DEP_1) | instskip(SKIP_2) | instid1(VALU_DEP_2)
	v_fmac_f32_e32 v77, v103, v73
	v_sub_f32_e32 v73, v99, v76
	v_exp_f32_e32 v99, v71
	v_fmac_f32_e32 v77, v104, v74
	s_delay_alu instid0(VALU_DEP_2) | instskip(NEXT) | instid1(VALU_DEP_2)
	v_dual_mul_f32 v73, 0x3fb8aa3b, v73 :: v_dual_lshlrev_b32 v74, 6, v70
	v_dual_fmac_f32 v77, v100, v94 :: v_dual_lshlrev_b32 v70, 2, v69
	s_delay_alu instid0(VALU_DEP_2) | instskip(SKIP_1) | instid1(VALU_DEP_3)
	v_exp_f32_e32 v94, v73
	v_cndmask_b32_e32 v73, v102, v75, vcc_lo
	v_lshl_or_b32 v75, v72, 11, v74
	s_delay_alu instid0(VALU_DEP_3) | instskip(SKIP_1) | instid1(VALU_DEP_3)
	v_cmp_eq_u32_e64 s8, 7, v70
	v_fmac_f32_e32 v77, v98, v95
	v_lshl_or_b32 v69, v69, 4, v75
	s_delay_alu instid0(VALU_DEP_2)
	v_fmac_f32_e32 v77, v99, v96
	s_delay_alu instid0(TRANS32_DEP_1) | instid1(VALU_DEP_1)
	v_fmac_f32_e32 v77, v94, v97
	s_delay_alu instid0(VALU_DEP_1) | instskip(NEXT) | instid1(VALU_DEP_1)
	v_add_f32_e32 v95, 0x358637bd, v77
	v_div_scale_f32 v96, null, v95, v95, 1.0
	v_div_scale_f32 v101, vcc_lo, 1.0, v95, 1.0
	s_delay_alu instid0(VALU_DEP_2) | instskip(SKIP_2) | instid1(VALU_DEP_1)
	v_rcp_f32_e32 v97, v96
	s_waitcnt_depctr 0xfff
	v_fma_f32 v71, -v96, v97, 1.0
	v_fmac_f32_e32 v97, v71, v97
	v_cndmask_b32_e64 v71, v73, v103, s3
	v_cmp_eq_u32_e64 s3, 6, v72
	v_or_b32_e32 v73, 1, v70
	v_or_b32_e32 v72, 3, v70
	v_mul_f32_e32 v102, v101, v97
	v_cndmask_b32_e64 v71, v71, v104, s4
	v_cmp_eq_u32_e64 s4, 1, v70
	v_cmp_eq_u32_e64 s9, 1, v73
	;; [unrolled: 1-line block ×3, first 2 shown]
	v_fma_f32 v103, -v96, v102, v101
	v_cndmask_b32_e64 v100, v71, v100, s5
	v_or_b32_e32 v71, 2, v70
	v_cmp_eq_u32_e64 s5, 2, v70
	v_cmp_eq_u32_e64 s12, 2, v73
	v_fmac_f32_e32 v102, v103, v97
	v_cndmask_b32_e64 v98, v100, v98, s6
	v_cmp_eq_u32_e64 s10, 1, v71
	v_cmp_eq_u32_e64 s15, 2, v71
	;; [unrolled: 1-line block ×3, first 2 shown]
	v_fma_f32 v96, -v96, v102, v101
	v_cndmask_b32_e64 v98, v98, v99, s3
	v_cmp_eq_u32_e64 s13, 3, v73
	v_cmp_eq_u32_e64 s18, 3, v72
	;; [unrolled: 1-line block ×3, first 2 shown]
	v_div_fmas_f32 v96, v96, v97, v102
	v_cndmask_b32_e64 v94, v98, v94, s7
	v_cmp_eq_u32_e32 vcc_lo, 3, v70
	v_cmp_eq_u32_e64 s17, 3, v71
	v_cmp_eq_u32_e64 s19, 4, v73
	v_div_fixup_f32 v95, v96, v95, 1.0
	v_cmp_eq_u32_e64 s22, 4, v72
	v_cmp_eq_u32_e64 s6, 5, v70
	;; [unrolled: 1-line block ×4, first 2 shown]
	v_mul_f32_e32 v102, v94, v95
	v_cmp_eq_u32_e64 s24, 5, v72
	v_cmp_eq_u32_e64 s23, 5, v71
	v_cmp_eq_u32_e64 s25, 6, v73
	v_cmp_eq_u32_e64 s27, 6, v72
	v_fma_mixlo_f16 v94, v102, v79, 0
	v_fma_mixlo_f16 v95, v102, v81, 0
	;; [unrolled: 1-line block ×8, first 2 shown]
	v_fma_mixhi_f16 v94, v102, v78, 0
	v_fma_mixhi_f16 v95, v102, v80, 0
	;; [unrolled: 1-line block ×8, first 2 shown]
	ds_store_b128 v69, v[94:97]
	ds_store_b128 v69, v[98:101] offset:1024
	s_waitcnt lgkmcnt(0)
	s_barrier
	buffer_gl0_inv
	ds_load_b128 v[78:81], v75
	ds_load_b128 v[82:85], v75 offset:16
	ds_load_b128 v[86:89], v75 offset:1024
	;; [unrolled: 1-line block ×3, first 2 shown]
	v_cmp_eq_u32_e64 s7, 6, v70
	v_cmp_eq_u32_e64 s26, 6, v71
	;; [unrolled: 1-line block ×5, first 2 shown]
	s_waitcnt lgkmcnt(3)
	v_lshrrev_b32_e32 v94, 16, v78
	s_waitcnt lgkmcnt(2)
	v_lshrrev_b32_e32 v98, 16, v82
	;; [unrolled: 2-line block ×4, first 2 shown]
	v_lshrrev_b32_e32 v95, 16, v79
	v_cndmask_b32_e64 v110, v78, v94, s4
	v_cndmask_b32_e64 v111, v82, v98, s4
	;; [unrolled: 1-line block ×8, first 2 shown]
	v_lshrrev_b32_e32 v99, 16, v83
	v_cndmask_b32_e64 v94, v86, v102, s4
	v_cndmask_b32_e64 v98, v90, v106, s4
	v_cndmask_b32_e64 v116, v86, v102, s9
	v_cndmask_b32_e64 v117, v90, v106, s9
	v_cndmask_b32_e64 v118, v86, v102, s10
	v_cndmask_b32_e64 v119, v90, v106, s10
	v_cndmask_b32_e64 v86, v86, v102, s11
	v_cndmask_b32_e64 v90, v90, v106, s11
	v_cndmask_b32_e64 v102, v110, v79, s5
	v_cndmask_b32_e64 v106, v111, v83, s5
	v_cndmask_b32_e64 v110, v112, v79, s12
	v_cndmask_b32_e64 v111, v113, v83, s12
	v_cndmask_b32_e64 v112, v114, v79, s15
	v_cndmask_b32_e64 v78, v78, v79, s16
	v_cndmask_b32_e64 v79, v82, v83, s16
	v_lshrrev_b32_e32 v103, 16, v87
	v_lshrrev_b32_e32 v107, 16, v91
	v_cndmask_b32_e64 v113, v115, v83, s15
	v_cndmask_b32_e64 v82, v94, v87, s5
	v_cndmask_b32_e64 v83, v98, v91, s5
	v_cndmask_b32_e64 v94, v116, v87, s12
	v_cndmask_b32_e64 v98, v118, v87, s15
	v_cndmask_b32_e64 v86, v86, v87, s16
	v_cndmask_b32_e64 v87, v90, v91, s16
	v_cndmask_b32_e32 v90, v102, v95, vcc_lo
	v_cndmask_b32_e32 v102, v106, v99, vcc_lo
	v_cndmask_b32_e64 v106, v110, v95, s13
	v_cndmask_b32_e64 v110, v111, v99, s13
	;; [unrolled: 1-line block ×4, first 2 shown]
	v_lshrrev_b32_e32 v96, 16, v80
	v_lshrrev_b32_e32 v100, 16, v84
	v_cndmask_b32_e64 v111, v112, v95, s17
	v_cndmask_b32_e64 v112, v113, v99, s17
	v_cndmask_b32_e32 v82, v82, v103, vcc_lo
	v_cndmask_b32_e32 v83, v83, v107, vcc_lo
	v_cndmask_b32_e64 v94, v94, v103, s13
	v_cndmask_b32_e64 v90, v90, v80, s3
	v_cndmask_b32_e64 v95, v102, v84, s3
	v_cndmask_b32_e64 v99, v106, v80, s19
	v_cndmask_b32_e64 v102, v110, v84, s19
	v_cndmask_b32_e64 v78, v78, v80, s22
	v_cndmask_b32_e64 v79, v79, v84, s22
	v_lshrrev_b32_e32 v104, 16, v88
	v_cndmask_b32_e64 v106, v111, v80, s21
	v_cndmask_b32_e64 v110, v112, v84, s21
	;; [unrolled: 1-line block ×11, first 2 shown]
	v_lshrrev_b32_e32 v97, 16, v81
	v_lshrrev_b32_e32 v101, 16, v85
	v_cndmask_b32_e64 v99, v106, v96, s23
	v_cndmask_b32_e64 v102, v110, v100, s23
	;; [unrolled: 1-line block ×7, first 2 shown]
	v_lshrrev_b32_e32 v105, 16, v89
	v_cndmask_b32_e64 v80, v80, v104, s6
	v_cndmask_b32_e64 v84, v84, v81, s7
	;; [unrolled: 1-line block ×16, first 2 shown]
	v_perm_b32 v81, v79, v78, 0x5040100
	v_perm_b32 v79, v95, v85, 0x5040100
	v_cndmask_b32_e64 v78, v119, v91, s15
	v_cndmask_b32_e64 v85, v117, v91, s12
	;; [unrolled: 1-line block ×3, first 2 shown]
	v_perm_b32 v80, v94, v90, 0x5040100
	v_cndmask_b32_e64 v90, v98, v103, s17
	v_cndmask_b32_e64 v86, v86, v103, s18
	v_cndmask_b32_e64 v87, v87, v107, s18
	v_cndmask_b32_e64 v78, v78, v107, s17
	v_cndmask_b32_e64 v85, v85, v107, s13
	v_lshrrev_b32_e32 v108, 16, v92
	v_cndmask_b32_e64 v90, v90, v88, s21
	v_cndmask_b32_e64 v86, v86, v88, s22
	;; [unrolled: 1-line block ×11, first 2 shown]
	v_lshrrev_b32_e32 v109, 16, v93
	v_cndmask_b32_e64 v82, v82, v93, s7
	v_cndmask_b32_e64 v88, v88, v89, s26
	;; [unrolled: 1-line block ×12, first 2 shown]
	v_perm_b32 v78, v84, v83, 0x5040100
	v_perm_b32 v85, v87, v86, 0x5040100
	;; [unrolled: 1-line block ×5, first 2 shown]
	s_lshl_b32 s8, s33, 1
	s_mov_b32 s3, exec_lo
	ds_store_b128 v69, v[78:81]
	ds_store_b128 v69, v[82:85] offset:1024
	v_cmpx_gt_u32_e32 2, v0
	s_cbranch_execz .LBB1047_14
; %bb.13:
	v_or_b32_e32 v78, s31, v0
	s_load_b128 s[4:7], s[0:1], 0x58
	s_delay_alu instid0(VALU_DEP_1) | instskip(NEXT) | instid1(VALU_DEP_1)
	v_mad_u64_u32 v[79:80], null, s8, s34, v[78:79]
	v_mad_u64_u32 v[80:81], null, v79, s35, s[14:15]
	s_delay_alu instid0(VALU_DEP_1) | instskip(NEXT) | instid1(VALU_DEP_1)
	v_ashrrev_i32_e32 v81, 31, v80
	v_lshlrev_b64 v[78:79], 2, v[80:81]
	s_waitcnt lgkmcnt(0)
	s_delay_alu instid0(VALU_DEP_1) | instskip(NEXT) | instid1(VALU_DEP_2)
	v_add_co_u32 v80, vcc_lo, s6, v78
	v_add_co_ci_u32_e32 v81, vcc_lo, s7, v79, vcc_lo
	v_add_co_u32 v78, vcc_lo, s4, v78
	v_add_co_ci_u32_e32 v79, vcc_lo, s5, v79, vcc_lo
	global_store_b32 v[80:81], v76, off
	global_store_b32 v[78:79], v77, off
.LBB1047_14:
	s_or_b32 exec_lo, exec_lo, s3
	s_waitcnt lgkmcnt(0)
	s_waitcnt_vscnt null, 0x0
	s_barrier
	buffer_gl0_inv
	ds_load_b128 v[84:87], v74
	ds_load_b128 v[88:91], v74 offset:16
	ds_load_b128 v[96:99], v74 offset:2064
	;; [unrolled: 1-line block ×5, first 2 shown]
	v_cmp_eq_u32_e32 vcc_lo, 1, v70
	v_mov_b32_e32 v76, 0
	ds_load_b128 v[112:115], v74 offset:6160
	ds_load_b128 v[108:111], v74 offset:6144
	;; [unrolled: 1-line block ×4, first 2 shown]
	v_cmp_eq_u32_e64 s4, 1, v71
	v_cmp_eq_u32_e64 s3, 1, v73
	;; [unrolled: 1-line block ×3, first 2 shown]
	v_mov_b32_e32 v77, v76
	v_mov_b32_e32 v78, v76
	;; [unrolled: 1-line block ×7, first 2 shown]
	v_cmp_eq_u32_e64 s6, 3, v73
	v_cmp_eq_u32_e64 s7, 7, v73
	s_waitcnt lgkmcnt(8)
	s_delay_alu instid0(VALU_DEP_3)
	v_wmma_f32_16x16x16_f16 v[76:83], v[49:56], v[84:91], v[76:83]
	ds_load_b128 v[53:56], v74 offset:10256
	ds_load_b128 v[49:52], v74 offset:10240
	s_waitcnt lgkmcnt(8)
	v_wmma_f32_16x16x16_f16 v[76:83], v[41:48], v[92:99], v[76:83]
	ds_load_b128 v[45:48], v74 offset:12304
	ds_load_b128 v[41:44], v74 offset:12288
	s_waitcnt lgkmcnt(8)
	;; [unrolled: 4-line block ×3, first 2 shown]
	s_barrier
	buffer_gl0_inv
	v_wmma_f32_16x16x16_f16 v[76:83], v[1:8], v[108:115], v[76:83]
	s_delay_alu instid0(VALU_DEP_1) | instskip(NEXT) | instid1(VALU_DEP_1)
	v_wmma_f32_16x16x16_f16 v[76:83], v[9:16], v[116:123], v[76:83]
	v_wmma_f32_16x16x16_f16 v[76:83], v[17:24], v[49:56], v[76:83]
	s_delay_alu instid0(VALU_DEP_1) | instskip(NEXT) | instid1(VALU_DEP_1)
	v_wmma_f32_16x16x16_f16 v[76:83], v[25:32], v[41:48], v[76:83]
	v_wmma_f32_16x16x16_f16 v[76:83], v[57:64], v[33:40], v[76:83]
	s_delay_alu instid0(VALU_DEP_1) | instskip(NEXT) | instid1(VALU_DEP_2)
	v_cvt_f16_f32_e32 v1, v76
	v_cvt_f16_f32_e32 v2, v77
	s_delay_alu instid0(VALU_DEP_3) | instskip(NEXT) | instid1(VALU_DEP_4)
	v_cvt_f16_f32_e32 v3, v78
	v_cvt_f16_f32_e32 v4, v79
	;; [unrolled: 1-line block ×6, first 2 shown]
	v_pack_b32_f16 v1, v1, v2
	v_pack_b32_f16 v2, v3, v4
	;; [unrolled: 1-line block ×3, first 2 shown]
	s_delay_alu instid0(VALU_DEP_4)
	v_pack_b32_f16 v4, v7, v8
	ds_store_b128 v69, v[1:4]
	s_waitcnt lgkmcnt(0)
	s_barrier
	buffer_gl0_inv
	ds_load_b128 v[1:4], v75
	ds_load_b128 v[5:8], v75 offset:16
	s_waitcnt lgkmcnt(1)
	v_lshrrev_b32_e32 v9, 16, v1
	s_waitcnt lgkmcnt(0)
	v_lshrrev_b32_e32 v13, 16, v5
	v_lshrrev_b32_e32 v10, 16, v2
	;; [unrolled: 1-line block ×4, first 2 shown]
	v_cndmask_b32_e32 v17, v1, v9, vcc_lo
	v_cndmask_b32_e32 v18, v5, v13, vcc_lo
	v_cndmask_b32_e64 v21, v1, v9, s4
	v_cmp_eq_u32_e32 vcc_lo, 1, v72
	v_cndmask_b32_e64 v22, v5, v13, s4
	v_cmp_eq_u32_e64 s4, 2, v70
	v_cndmask_b32_e64 v19, v1, v9, s3
	v_cndmask_b32_e64 v20, v5, v13, s3
	v_cndmask_b32_e32 v1, v1, v9, vcc_lo
	v_cmp_eq_u32_e64 s3, 2, v72
	v_cndmask_b32_e32 v5, v5, v13, vcc_lo
	v_cndmask_b32_e64 v9, v17, v2, s4
	v_cmp_eq_u32_e32 vcc_lo, 3, v70
	v_cndmask_b32_e64 v13, v18, v6, s4
	v_cmp_eq_u32_e64 s4, 2, v71
	v_cndmask_b32_e64 v17, v19, v2, s5
	v_cndmask_b32_e64 v18, v20, v6, s5
	v_cmp_eq_u32_e64 s5, 3, v71
	v_cndmask_b32_e64 v1, v1, v2, s3
	v_cndmask_b32_e64 v19, v21, v2, s4
	;; [unrolled: 1-line block ×4, first 2 shown]
	v_cndmask_b32_e32 v5, v9, v10, vcc_lo
	v_cndmask_b32_e32 v6, v13, v14, vcc_lo
	v_cmp_eq_u32_e32 vcc_lo, 3, v72
	v_cndmask_b32_e64 v9, v17, v10, s6
	v_cndmask_b32_e64 v13, v18, v14, s6
	;; [unrolled: 1-line block ×3, first 2 shown]
	v_cmp_eq_u32_e64 s4, 4, v70
	v_cndmask_b32_e32 v1, v1, v10, vcc_lo
	v_cndmask_b32_e32 v2, v2, v14, vcc_lo
	v_cmp_eq_u32_e32 vcc_lo, 4, v73
	v_lshrrev_b32_e32 v15, 16, v7
	v_lshrrev_b32_e32 v16, 16, v8
	v_cndmask_b32_e64 v17, v19, v10, s5
	v_cmp_eq_u32_e64 s3, 4, v72
	v_cndmask_b32_e64 v5, v5, v3, s4
	v_cndmask_b32_e64 v6, v6, v7, s4
	v_cndmask_b32_e32 v9, v9, v3, vcc_lo
	v_cmp_eq_u32_e64 s4, 5, v73
	v_cndmask_b32_e32 v10, v13, v7, vcc_lo
	v_cmp_eq_u32_e32 vcc_lo, 4, v71
	v_cmp_eq_u32_e64 s5, 5, v70
	v_cndmask_b32_e64 v2, v2, v7, s3
	v_cndmask_b32_e64 v9, v9, v11, s4
	;; [unrolled: 1-line block ×3, first 2 shown]
	v_cndmask_b32_e32 v13, v17, v3, vcc_lo
	v_cmp_eq_u32_e64 s4, 5, v71
	v_cndmask_b32_e32 v14, v18, v7, vcc_lo
	v_cndmask_b32_e64 v1, v1, v3, s3
	v_cmp_eq_u32_e32 vcc_lo, 5, v72
	v_lshrrev_b32_e32 v12, 16, v4
	v_cndmask_b32_e64 v13, v13, v11, s4
	v_cndmask_b32_e64 v3, v14, v15, s4
	v_cmp_eq_u32_e64 s4, 6, v72
	v_cndmask_b32_e32 v1, v1, v11, vcc_lo
	v_cndmask_b32_e64 v5, v5, v11, s5
	v_cmp_eq_u32_e64 s6, 6, v70
	v_cndmask_b32_e64 v6, v6, v15, s5
	v_cmp_eq_u32_e64 s5, 6, v73
	v_cmp_eq_u32_e64 s3, 6, v71
	v_cndmask_b32_e64 v1, v1, v4, s4
	v_cndmask_b32_e32 v2, v2, v15, vcc_lo
	v_cmp_eq_u32_e32 vcc_lo, 7, v72
	v_cndmask_b32_e64 v5, v5, v4, s6
	v_cndmask_b32_e64 v9, v9, v4, s5
	;; [unrolled: 1-line block ×3, first 2 shown]
	v_cmp_eq_u32_e64 s6, 7, v70
	v_cndmask_b32_e32 v1, v1, v12, vcc_lo
	v_cndmask_b32_e64 v7, v13, v4, s3
	v_cndmask_b32_e64 v3, v3, v8, s3
	;; [unrolled: 1-line block ×3, first 2 shown]
	v_cmp_eq_u32_e64 s3, 7, v71
	v_cndmask_b32_e64 v4, v10, v8, s5
	v_cndmask_b32_e64 v5, v5, v12, s6
	;; [unrolled: 1-line block ×3, first 2 shown]
	v_cndmask_b32_e32 v2, v2, v16, vcc_lo
	v_cndmask_b32_e64 v7, v7, v12, s3
	v_cndmask_b32_e64 v3, v3, v16, s3
	v_cndmask_b32_e64 v8, v4, v16, s7
	v_cndmask_b32_e64 v6, v6, v16, s6
	v_perm_b32 v4, v2, v1, 0x5040100
	s_delay_alu instid0(VALU_DEP_4) | instskip(NEXT) | instid1(VALU_DEP_4)
	v_perm_b32 v3, v3, v7, 0x5040100
	v_perm_b32 v2, v8, v9, 0x5040100
	s_delay_alu instid0(VALU_DEP_4)
	v_perm_b32 v1, v6, v5, 0x5040100
	ds_store_b128 v69, v[1:4]
	s_waitcnt lgkmcnt(0)
	s_barrier
	buffer_gl0_inv
	s_and_saveexec_b32 s3, s2
	s_cbranch_execz .LBB1047_2
; %bb.15:
	s_load_b64 s[0:1], s[0:1], 0x68
	v_lshlrev_b32_e32 v0, 10, v0
	s_lshl_b32 s2, s35, 7
	v_lshlrev_b32_e32 v1, 4, v68
	v_mul_lo_u32 v4, s2, v67
	s_mul_i32 s3, s2, s34
	v_and_b32_e32 v0, 0x3800, v0
	s_mul_i32 s2, s3, s8
	s_delay_alu instid0(SALU_CYCLE_1) | instskip(NEXT) | instid1(VALU_DEP_1)
	s_ashr_i32 s3, s2, 31
	v_or3_b32 v0, v0, v66, v1
	s_lshl_b64 s[2:3], s[2:3], 1
	s_delay_alu instid0(VALU_DEP_3)
	v_ashrrev_i32_e32 v5, 31, v4
	ds_load_b128 v[0:3], v0
	v_lshlrev_b64 v[4:5], 1, v[4:5]
	s_waitcnt lgkmcnt(0)
	s_add_u32 s2, s0, s2
	s_addc_u32 s3, s1, s3
	s_lshl_b32 s0, s14, 7
	s_delay_alu instid0(SALU_CYCLE_1) | instskip(NEXT) | instid1(SALU_CYCLE_1)
	s_ashr_i32 s1, s0, 31
	s_lshl_b64 s[0:1], s[0:1], 1
	s_delay_alu instid0(SALU_CYCLE_1) | instskip(SKIP_3) | instid1(VALU_DEP_2)
	s_add_u32 s0, s2, s0
	s_addc_u32 s1, s3, s1
	v_add_co_u32 v4, vcc_lo, s0, v4
	v_add_co_ci_u32_e32 v5, vcc_lo, s1, v5, vcc_lo
	v_add_co_u32 v4, vcc_lo, v4, v65
	s_delay_alu instid0(VALU_DEP_2)
	v_add_co_ci_u32_e32 v5, vcc_lo, 0, v5, vcc_lo
	global_store_b128 v[4:5], v[0:3], off
	s_nop 0
	s_sendmsg sendmsg(MSG_DEALLOC_VGPRS)
	s_endpgm
	.section	.rodata,"a",@progbits
	.p2align	6, 0x0
	.amdhsa_kernel _Z39paged_attention_ll4mi_QKV_mfma16_kernelIDF16_hLN4vllm18Fp8KVCacheDataTypeE1EhLi32ELi128ELi256ELb0ELi2EL8MFMAType1EEvPKT_PKT0_S8_ifPKiSA_SA_iPKfiiiPfSD_PS3_PT2_iSC_SC_
		.amdhsa_group_segment_fixed_size 17472
		.amdhsa_private_segment_fixed_size 0
		.amdhsa_kernarg_size 400
		.amdhsa_user_sgpr_count 13
		.amdhsa_user_sgpr_dispatch_ptr 0
		.amdhsa_user_sgpr_queue_ptr 0
		.amdhsa_user_sgpr_kernarg_segment_ptr 1
		.amdhsa_user_sgpr_dispatch_id 0
		.amdhsa_user_sgpr_private_segment_size 0
		.amdhsa_wavefront_size32 1
		.amdhsa_uses_dynamic_stack 0
		.amdhsa_enable_private_segment 0
		.amdhsa_system_sgpr_workgroup_id_x 1
		.amdhsa_system_sgpr_workgroup_id_y 1
		.amdhsa_system_sgpr_workgroup_id_z 1
		.amdhsa_system_sgpr_workgroup_info 0
		.amdhsa_system_vgpr_workitem_id 0
		.amdhsa_next_free_vgpr 146
		.amdhsa_next_free_sgpr 39
		.amdhsa_reserve_vcc 1
		.amdhsa_float_round_mode_32 0
		.amdhsa_float_round_mode_16_64 0
		.amdhsa_float_denorm_mode_32 3
		.amdhsa_float_denorm_mode_16_64 3
		.amdhsa_dx10_clamp 1
		.amdhsa_ieee_mode 1
		.amdhsa_fp16_overflow 0
		.amdhsa_workgroup_processor_mode 1
		.amdhsa_memory_ordered 1
		.amdhsa_forward_progress 0
		.amdhsa_shared_vgpr_count 0
		.amdhsa_exception_fp_ieee_invalid_op 0
		.amdhsa_exception_fp_denorm_src 0
		.amdhsa_exception_fp_ieee_div_zero 0
		.amdhsa_exception_fp_ieee_overflow 0
		.amdhsa_exception_fp_ieee_underflow 0
		.amdhsa_exception_fp_ieee_inexact 0
		.amdhsa_exception_int_div_zero 0
	.end_amdhsa_kernel
	.section	.text._Z39paged_attention_ll4mi_QKV_mfma16_kernelIDF16_hLN4vllm18Fp8KVCacheDataTypeE1EhLi32ELi128ELi256ELb0ELi2EL8MFMAType1EEvPKT_PKT0_S8_ifPKiSA_SA_iPKfiiiPfSD_PS3_PT2_iSC_SC_,"axG",@progbits,_Z39paged_attention_ll4mi_QKV_mfma16_kernelIDF16_hLN4vllm18Fp8KVCacheDataTypeE1EhLi32ELi128ELi256ELb0ELi2EL8MFMAType1EEvPKT_PKT0_S8_ifPKiSA_SA_iPKfiiiPfSD_PS3_PT2_iSC_SC_,comdat
.Lfunc_end1047:
	.size	_Z39paged_attention_ll4mi_QKV_mfma16_kernelIDF16_hLN4vllm18Fp8KVCacheDataTypeE1EhLi32ELi128ELi256ELb0ELi2EL8MFMAType1EEvPKT_PKT0_S8_ifPKiSA_SA_iPKfiiiPfSD_PS3_PT2_iSC_SC_, .Lfunc_end1047-_Z39paged_attention_ll4mi_QKV_mfma16_kernelIDF16_hLN4vllm18Fp8KVCacheDataTypeE1EhLi32ELi128ELi256ELb0ELi2EL8MFMAType1EEvPKT_PKT0_S8_ifPKiSA_SA_iPKfiiiPfSD_PS3_PT2_iSC_SC_
                                        ; -- End function
	.section	.AMDGPU.csdata,"",@progbits
; Kernel info:
; codeLenInByte = 6456
; NumSgprs: 41
; NumVgprs: 146
; ScratchSize: 0
; MemoryBound: 0
; FloatMode: 240
; IeeeMode: 1
; LDSByteSize: 17472 bytes/workgroup (compile time only)
; SGPRBlocks: 5
; VGPRBlocks: 18
; NumSGPRsForWavesPerEU: 41
; NumVGPRsForWavesPerEU: 146
; Occupancy: 9
; WaveLimiterHint : 1
; COMPUTE_PGM_RSRC2:SCRATCH_EN: 0
; COMPUTE_PGM_RSRC2:USER_SGPR: 13
; COMPUTE_PGM_RSRC2:TRAP_HANDLER: 0
; COMPUTE_PGM_RSRC2:TGID_X_EN: 1
; COMPUTE_PGM_RSRC2:TGID_Y_EN: 1
; COMPUTE_PGM_RSRC2:TGID_Z_EN: 1
; COMPUTE_PGM_RSRC2:TIDIG_COMP_CNT: 0
	.section	.text._Z39paged_attention_ll4mi_QKV_mfma16_kernelIDF16_hLN4vllm18Fp8KVCacheDataTypeE1EhLi32ELi128ELi256ELb0ELi3EL8MFMAType1EEvPKT_PKT0_S8_ifPKiSA_SA_iPKfiiiPfSD_PS3_PT2_iSC_SC_,"axG",@progbits,_Z39paged_attention_ll4mi_QKV_mfma16_kernelIDF16_hLN4vllm18Fp8KVCacheDataTypeE1EhLi32ELi128ELi256ELb0ELi3EL8MFMAType1EEvPKT_PKT0_S8_ifPKiSA_SA_iPKfiiiPfSD_PS3_PT2_iSC_SC_,comdat
	.protected	_Z39paged_attention_ll4mi_QKV_mfma16_kernelIDF16_hLN4vllm18Fp8KVCacheDataTypeE1EhLi32ELi128ELi256ELb0ELi3EL8MFMAType1EEvPKT_PKT0_S8_ifPKiSA_SA_iPKfiiiPfSD_PS3_PT2_iSC_SC_ ; -- Begin function _Z39paged_attention_ll4mi_QKV_mfma16_kernelIDF16_hLN4vllm18Fp8KVCacheDataTypeE1EhLi32ELi128ELi256ELb0ELi3EL8MFMAType1EEvPKT_PKT0_S8_ifPKiSA_SA_iPKfiiiPfSD_PS3_PT2_iSC_SC_
	.globl	_Z39paged_attention_ll4mi_QKV_mfma16_kernelIDF16_hLN4vllm18Fp8KVCacheDataTypeE1EhLi32ELi128ELi256ELb0ELi3EL8MFMAType1EEvPKT_PKT0_S8_ifPKiSA_SA_iPKfiiiPfSD_PS3_PT2_iSC_SC_
	.p2align	8
	.type	_Z39paged_attention_ll4mi_QKV_mfma16_kernelIDF16_hLN4vllm18Fp8KVCacheDataTypeE1EhLi32ELi128ELi256ELb0ELi3EL8MFMAType1EEvPKT_PKT0_S8_ifPKiSA_SA_iPKfiiiPfSD_PS3_PT2_iSC_SC_,@function
_Z39paged_attention_ll4mi_QKV_mfma16_kernelIDF16_hLN4vllm18Fp8KVCacheDataTypeE1EhLi32ELi128ELi256ELb0ELi3EL8MFMAType1EEvPKT_PKT0_S8_ifPKiSA_SA_iPKfiiiPfSD_PS3_PT2_iSC_SC_: ; @_Z39paged_attention_ll4mi_QKV_mfma16_kernelIDF16_hLN4vllm18Fp8KVCacheDataTypeE1EhLi32ELi128ELi256ELb0ELi3EL8MFMAType1EEvPKT_PKT0_S8_ifPKiSA_SA_iPKfiiiPfSD_PS3_PT2_iSC_SC_
; %bb.0:
	s_load_b64 s[4:5], s[0:1], 0x30
	s_mov_b32 s34, s13
	s_waitcnt lgkmcnt(0)
	s_cmp_lg_u64 s[4:5], 0
	s_cselect_b32 s8, -1, 0
	s_ashr_i32 s35, s13, 31
	s_cmp_eq_u64 s[4:5], 0
	s_cbranch_scc1 .LBB1048_3
; %bb.1:
	s_lshl_b64 s[2:3], s[34:35], 2
	s_delay_alu instid0(SALU_CYCLE_1) | instskip(SKIP_4) | instid1(SALU_CYCLE_1)
	s_add_u32 s2, s4, s2
	s_addc_u32 s3, s5, s3
	s_load_b64 s[2:3], s[2:3], 0x0
	s_waitcnt lgkmcnt(0)
	s_sub_i32 s2, s3, s2
	s_cmp_eq_u32 s2, 1
	s_cselect_b32 s2, -1, 0
	s_delay_alu instid0(SALU_CYCLE_1)
	s_and_not1_b32 vcc_lo, exec_lo, s2
	s_cbranch_vccz .LBB1048_4
.LBB1048_2:
	s_nop 0
	s_sendmsg sendmsg(MSG_DEALLOC_VGPRS)
	s_endpgm
.LBB1048_3:
.LBB1048_4:
	s_load_b64 s[2:3], s[0:1], 0x28
	s_lshl_b64 s[6:7], s[34:35], 2
	s_waitcnt lgkmcnt(0)
	s_add_u32 s2, s2, s6
	s_addc_u32 s3, s3, s7
	s_lshl_b32 s12, s14, 8
	s_load_b32 s24, s[2:3], 0x0
	s_waitcnt lgkmcnt(0)
	s_cmp_ge_i32 s12, s24
	s_cbranch_scc1 .LBB1048_2
; %bb.5:
	s_clause 0x1
	s_load_b128 s[20:23], s[0:1], 0x8
	s_load_b64 s[2:3], s[0:1], 0x20
	s_and_not1_b32 vcc_lo, exec_lo, s8
	s_cbranch_vccnz .LBB1048_7
; %bb.6:
	s_add_u32 s4, s4, s6
	s_addc_u32 s5, s5, s7
	s_load_b32 s5, s[4:5], 0x0
	s_branch .LBB1048_8
.LBB1048_7:
	s_mov_b32 s5, s34
.LBB1048_8:
	s_load_b128 s[16:19], s[0:1], 0x48
	v_and_b32_e32 v68, 15, v0
	v_lshrrev_b32_e32 v69, 5, v0
	v_bfe_u32 v66, v0, 4, 1
	v_and_b32_e32 v70, 31, v0
	v_and_b32_e32 v67, 1, v0
	v_lshlrev_b32_e32 v2, 3, v68
	s_mul_i32 s31, s15, 3
	v_lshl_or_b32 v1, v69, 1, v66
	s_mov_b32 s4, exec_lo
	s_delay_alu instid0(VALU_DEP_2) | instskip(NEXT) | instid1(VALU_DEP_2)
	v_lshlrev_b32_e32 v65, 1, v2
	v_cmpx_gt_u32_e32 3, v1
	s_cbranch_execz .LBB1048_10
; %bb.9:
	s_load_b64 s[6:7], s[0:1], 0x0
	v_add_lshl_u32 v2, v1, s31, 7
	s_waitcnt lgkmcnt(0)
	s_mul_hi_i32 s9, s5, s16
	s_mul_i32 s8, s5, s16
	v_lshlrev_b32_e32 v6, 10, v68
	s_lshl_b64 s[8:9], s[8:9], 1
	v_ashrrev_i32_e32 v3, 31, v2
	v_lshlrev_b32_e32 v1, 6, v1
	v_lshlrev_b32_e32 v7, 10, v67
	v_and_b32_e32 v6, 0x3800, v6
	s_delay_alu instid0(VALU_DEP_4) | instskip(NEXT) | instid1(VALU_DEP_2)
	v_lshlrev_b64 v[2:3], 1, v[2:3]
	v_or3_b32 v1, v6, v7, v1
	s_add_u32 s5, s6, s8
	s_addc_u32 s6, s7, s9
	s_delay_alu instid0(VALU_DEP_2) | instskip(NEXT) | instid1(VALU_DEP_3)
	v_add_co_u32 v2, vcc_lo, s5, v2
	v_add_co_ci_u32_e32 v3, vcc_lo, s6, v3, vcc_lo
	s_delay_alu instid0(VALU_DEP_2) | instskip(NEXT) | instid1(VALU_DEP_2)
	v_add_co_u32 v2, vcc_lo, v2, v65
	v_add_co_ci_u32_e32 v3, vcc_lo, 0, v3, vcc_lo
	global_load_b128 v[2:5], v[2:3], off
	s_waitcnt vmcnt(0)
	ds_store_b128 v1, v[2:5]
.LBB1048_10:
	s_or_b32 exec_lo, exec_lo, s4
	v_and_b32_e32 v1, 0xef, v0
	s_waitcnt lgkmcnt(0)
	s_add_i32 s5, s24, 31
	s_clause 0x1
	s_load_b32 s4, s[0:1], 0x38
	s_load_b32 s33, s[0:1], 0x98
	s_ashr_i32 s6, s5, 31
	v_add_nc_u32_e32 v1, s12, v1
	s_lshr_b32 s6, s6, 27
	s_load_b32 s19, s[0:1], 0x1c
	s_add_i32 s5, s5, s6
	s_waitcnt lgkmcnt(0)
	v_ashrrev_i32_e32 v2, 31, v1
	v_or_b32_e32 v3, 16, v1
	s_ashr_i32 s13, s5, 5
	v_cmp_gt_i32_e32 vcc_lo, s24, v1
	s_add_i32 s13, s13, -1
	v_lshrrev_b32_e32 v2, 27, v2
	s_barrier
	buffer_gl0_inv
	s_mul_i32 s15, s15, s18
	v_add_nc_u32_e32 v4, v1, v2
	s_mul_i32 s4, s34, s4
	s_delay_alu instid0(SALU_CYCLE_1) | instskip(NEXT) | instid1(VALU_DEP_1)
	s_ashr_i32 s5, s4, 31
	v_ashrrev_i32_e32 v4, 5, v4
	v_add_nc_u32_e32 v2, v3, v2
	s_lshl_b64 s[4:5], s[4:5], 2
	s_delay_alu instid0(SALU_CYCLE_1) | instskip(NEXT) | instid1(VALU_DEP_2)
	s_add_u32 s16, s2, s4
	v_cndmask_b32_e32 v1, s13, v4, vcc_lo
	s_delay_alu instid0(VALU_DEP_2)
	v_ashrrev_i32_e32 v2, 5, v2
	v_cmp_gt_i32_e32 vcc_lo, s24, v3
	s_addc_u32 s25, s3, s5
	s_ashr_i32 s18, s15, 31
	s_add_u32 s2, s20, s15
	s_addc_u32 s3, s21, s18
	v_cndmask_b32_e32 v3, s13, v2, vcc_lo
	v_ashrrev_i32_e32 v2, 31, v1
	s_lshl_b32 s4, s14, 3
	s_delay_alu instid0(SALU_CYCLE_1) | instskip(NEXT) | instid1(VALU_DEP_2)
	s_ashr_i32 s5, s4, 31
	v_ashrrev_i32_e32 v4, 31, v3
	s_delay_alu instid0(VALU_DEP_2) | instskip(SKIP_1) | instid1(SALU_CYCLE_1)
	v_lshlrev_b64 v[1:2], 2, v[1:2]
	s_lshl_b64 s[4:5], s[4:5], 2
	s_add_u32 s4, s16, s4
	s_delay_alu instid0(VALU_DEP_2) | instskip(SKIP_1) | instid1(VALU_DEP_2)
	v_lshlrev_b64 v[3:4], 2, v[3:4]
	s_addc_u32 s5, s25, s5
	v_add_co_u32 v1, vcc_lo, s16, v1
	v_add_co_ci_u32_e32 v2, vcc_lo, s25, v2, vcc_lo
	s_delay_alu instid0(VALU_DEP_3) | instskip(NEXT) | instid1(VALU_DEP_4)
	v_add_co_u32 v3, vcc_lo, s16, v3
	v_add_co_ci_u32_e32 v4, vcc_lo, s25, v4, vcc_lo
	s_clause 0x1
	global_load_b32 v5, v[1:2], off
	global_load_b32 v6, v[3:4], off
	s_or_b32 s6, s12, 32
	s_delay_alu instid0(SALU_CYCLE_1) | instskip(SKIP_2) | instid1(SALU_CYCLE_1)
	s_ashr_i32 s7, s6, 5
	s_cmp_lt_i32 s6, s24
	s_cselect_b32 s6, s7, s13
	s_ashr_i32 s7, s6, 31
	s_delay_alu instid0(SALU_CYCLE_1) | instskip(NEXT) | instid1(SALU_CYCLE_1)
	s_lshl_b64 s[6:7], s[6:7], 2
	s_add_u32 s6, s16, s6
	s_addc_u32 s7, s25, s7
	s_or_b32 s8, s12, 64
	s_delay_alu instid0(SALU_CYCLE_1) | instskip(SKIP_2) | instid1(SALU_CYCLE_1)
	s_ashr_i32 s9, s8, 5
	s_cmp_lt_i32 s8, s24
	s_cselect_b32 s8, s9, s13
	s_ashr_i32 s9, s8, 31
	s_delay_alu instid0(SALU_CYCLE_1) | instskip(NEXT) | instid1(SALU_CYCLE_1)
	s_lshl_b64 s[8:9], s[8:9], 2
	s_add_u32 s8, s16, s8
	s_addc_u32 s9, s25, s9
	;; [unrolled: 10-line block ×5, first 2 shown]
	s_clause 0x5
	s_load_b32 s28, s[4:5], 0x0
	s_load_b32 s29, s[6:7], 0x0
	;; [unrolled: 1-line block ×6, first 2 shown]
	s_mov_b32 s4, 0
	s_delay_alu instid0(SALU_CYCLE_1)
	s_mov_b32 s5, s4
	s_mov_b32 s6, s4
	;; [unrolled: 1-line block ×7, first 2 shown]
	s_delay_alu instid0(SALU_CYCLE_1)
	v_dual_mov_b32 v118, s11 :: v_dual_mov_b32 v117, s10
	v_dual_mov_b32 v116, s9 :: v_dual_mov_b32 v115, s8
	v_mov_b32_e32 v113, s6
	v_dual_mov_b32 v111, s4 :: v_dual_mov_b32 v114, s7
	v_mov_b32_e32 v112, s5
	s_waitcnt vmcnt(1)
	v_mad_i64_i32 v[1:2], null, v5, s17, s[2:3]
	v_lshlrev_b32_e32 v5, 4, v68
	s_waitcnt vmcnt(0)
	v_mad_i64_i32 v[3:4], null, v6, s17, s[2:3]
	s_or_b32 s2, s12, 0xc0
	s_delay_alu instid0(SALU_CYCLE_1) | instskip(NEXT) | instid1(VALU_DEP_3)
	s_ashr_i32 s3, s2, 5
	v_add_co_u32 v1, vcc_lo, v1, v5
	s_delay_alu instid0(VALU_DEP_4) | instskip(NEXT) | instid1(VALU_DEP_3)
	v_add_co_ci_u32_e32 v2, vcc_lo, 0, v2, vcc_lo
	v_add_co_u32 v3, vcc_lo, v3, v5
	s_delay_alu instid0(VALU_DEP_4)
	v_add_co_ci_u32_e32 v4, vcc_lo, 0, v4, vcc_lo
	s_clause 0xf
	global_load_b128 v[17:20], v[1:2], off
	global_load_b128 v[21:24], v[1:2], off offset:512
	global_load_b128 v[25:28], v[3:4], off offset:256
	;; [unrolled: 1-line block ×15, first 2 shown]
	v_mul_lo_u16 v1, 0x56, v68
	s_cmp_lt_i32 s2, s24
	v_lshlrev_b32_e32 v2, 5, v68
	s_cselect_b32 s2, s3, s13
	s_delay_alu instid0(VALU_DEP_2) | instskip(SKIP_1) | instid1(SALU_CYCLE_1)
	v_lshrrev_b16 v1, 8, v1
	s_ashr_i32 s3, s2, 31
	s_lshl_b64 s[2:3], s[2:3], 2
	s_delay_alu instid0(VALU_DEP_1) | instskip(SKIP_3) | instid1(VALU_DEP_1)
	v_mul_lo_u16 v1, v1, 3
	s_add_u32 s2, s16, s2
	s_addc_u32 s3, s25, s3
	s_or_b32 s20, s12, 0xe0
	v_sub_nc_u16 v1, v68, v1
	s_ashr_i32 s21, s20, 5
	s_cmp_lt_i32 s20, s24
	s_cselect_b32 s20, s21, s13
	s_delay_alu instid0(VALU_DEP_1) | instskip(SKIP_1) | instid1(SALU_CYCLE_1)
	v_and_b32_e32 v1, 0xff, v1
	s_ashr_i32 s21, s20, 31
	s_lshl_b64 s[4:5], s[20:21], 2
	s_delay_alu instid0(VALU_DEP_1)
	v_lshlrev_b32_e32 v149, 6, v1
	s_add_u32 s4, s16, s4
	s_addc_u32 s5, s25, s5
	v_lshl_or_b32 v1, v69, 9, v2
	ds_load_b128 v[119:122], v149
	ds_load_b128 v[123:126], v149 offset:1024
	ds_load_b128 v[127:130], v149 offset:2048
	;; [unrolled: 1-line block ×3, first 2 shown]
	s_clause 0x1
	s_load_b32 s2, s[2:3], 0x0
	s_load_b32 s3, s[4:5], 0x0
	s_add_u32 s6, s22, s15
	s_addc_u32 s7, s23, s18
	v_add_co_u32 v135, s6, s6, v1
	s_delay_alu instid0(VALU_DEP_1) | instskip(SKIP_1) | instid1(VALU_DEP_1)
	v_add_co_ci_u32_e64 v136, null, s7, 0, s6
	s_waitcnt lgkmcnt(0)
	v_mad_i64_i32 v[1:2], null, s28, s17, v[135:136]
	v_mad_i64_i32 v[3:4], null, s29, s17, v[135:136]
	;; [unrolled: 1-line block ×6, first 2 shown]
	s_clause 0x9
	global_load_b128 v[49:52], v[1:2], off
	global_load_b128 v[53:56], v[1:2], off offset:16
	global_load_b128 v[41:44], v[3:4], off
	global_load_b128 v[45:48], v[3:4], off offset:16
	;; [unrolled: 2-line block ×5, first 2 shown]
	v_mad_i64_i32 v[145:146], null, s2, s17, v[135:136]
	v_mad_i64_i32 v[147:148], null, s3, s17, v[135:136]
	s_waitcnt vmcnt(24)
	v_wmma_f32_16x16x16_f16 v[135:142], v[17:24], v[119:126], v[111:118]
	s_waitcnt vmcnt(22)
	v_wmma_f32_16x16x16_f16 v[111:118], v[25:32], v[119:126], v[111:118]
	s_clause 0x3
	global_load_b128 v[17:20], v[143:144], off
	global_load_b128 v[21:24], v[143:144], off offset:16
	global_load_b128 v[25:28], v[145:146], off
	global_load_b128 v[29:32], v[145:146], off offset:16
	v_and_b32_e32 v119, 0xe0, v0
	s_waitcnt vmcnt(24)
	v_wmma_f32_16x16x16_f16 v[135:142], v[57:64], v[127:134], v[135:142]
	s_clause 0x1
	global_load_b128 v[57:60], v[147:148], off
	global_load_b128 v[61:64], v[147:148], off offset:16
	s_waitcnt vmcnt(24)
	v_wmma_f32_16x16x16_f16 v[111:118], v[71:78], v[127:134], v[111:118]
	ds_load_b128 v[71:74], v149 offset:4096
	ds_load_b128 v[75:78], v149 offset:5120
	v_add_nc_u32_e32 v128, s12, v119
	ds_load_b128 v[119:122], v149 offset:6144
	ds_load_b128 v[123:126], v149 offset:7168
	v_mbcnt_lo_u32_b32 v127, -1, 0
	s_waitcnt vmcnt(0) lgkmcnt(0)
	s_barrier
	v_or_b32_e32 v128, v128, v66
	buffer_gl0_inv
	v_xor_b32_e32 v129, 16, v127
	v_or_b32_e32 v130, 4, v128
	v_or_b32_e32 v131, 6, v128
	s_delay_alu instid0(VALU_DEP_3) | instskip(SKIP_4) | instid1(VALU_DEP_4)
	v_cmp_gt_i32_e32 vcc_lo, 32, v129
	v_or_b32_e32 v132, 8, v128
	v_or_b32_e32 v133, 10, v128
	v_cmp_gt_i32_e64 s3, s24, v130
	v_cmp_gt_i32_e64 s4, s24, v131
	;; [unrolled: 1-line block ×3, first 2 shown]
	v_wmma_f32_16x16x16_f16 v[135:142], v[79:86], v[71:78], v[135:142]
	v_wmma_f32_16x16x16_f16 v[111:118], v[87:94], v[71:78], v[111:118]
	v_or_b32_e32 v79, 12, v128
	v_or_b32_e32 v80, 14, v128
	v_cmp_gt_i32_e64 s6, s24, v133
	v_wmma_f32_16x16x16_f16 v[135:142], v[95:102], v[119:126], v[135:142]
	v_cndmask_b32_e32 v127, v127, v129, vcc_lo
	v_or_b32_e32 v129, 2, v128
	v_wmma_f32_16x16x16_f16 v[111:118], v[103:110], v[119:126], v[111:118]
	v_cmp_gt_i32_e32 vcc_lo, s24, v128
	v_dual_mul_f32 v88, s19, v135 :: v_dual_mul_f32 v87, s19, v136
	s_delay_alu instid0(VALU_DEP_4) | instskip(NEXT) | instid1(VALU_DEP_4)
	v_cmp_gt_i32_e64 s2, s24, v129
	v_mul_f32_e32 v94, s19, v113
	v_mul_f32_e32 v78, s19, v138
	;; [unrolled: 1-line block ×3, first 2 shown]
	v_cndmask_b32_e32 v88, 0xff7fffff, v88, vcc_lo
	v_cndmask_b32_e64 v87, 0xff7fffff, v87, s2
	v_dual_mul_f32 v76, s19, v140 :: v_dual_mul_f32 v77, s19, v139
	v_mul_f32_e32 v90, s19, v117
	v_cndmask_b32_e64 v86, 0xff7fffff, v86, s3
	v_cndmask_b32_e64 v78, 0xff7fffff, v78, s4
	v_max3_f32 v87, v88, 0xff7fffff, v87
	v_or_b32_e32 v81, 16, v128
	v_or_b32_e32 v82, 18, v128
	v_dual_mul_f32 v74, s19, v142 :: v_dual_mul_f32 v75, s19, v141
	v_mul_f32_e32 v92, s19, v115
	v_cndmask_b32_e64 v77, 0xff7fffff, v77, s5
	v_cndmask_b32_e64 v76, 0xff7fffff, v76, s6
	v_max3_f32 v78, v87, v86, v78
	v_cmp_gt_i32_e64 s7, s24, v79
	v_cmp_gt_i32_e64 s8, s24, v80
	v_or_b32_e32 v83, 20, v128
	v_or_b32_e32 v84, 22, v128
	v_dual_mul_f32 v89, s19, v118 :: v_dual_mul_f32 v96, s19, v111
	v_mul_f32_e32 v95, s19, v112
	v_cndmask_b32_e64 v75, 0xff7fffff, v75, s7
	v_cndmask_b32_e64 v74, 0xff7fffff, v74, s8
	v_max3_f32 v76, v78, v77, v76
	v_cmp_gt_i32_e64 s9, s24, v81
	v_cmp_gt_i32_e64 s10, s24, v82
	v_or_b32_e32 v85, 24, v128
	v_or_b32_e32 v71, 26, v128
	v_mul_f32_e32 v93, s19, v114
	v_cndmask_b32_e64 v77, 0xff7fffff, v96, s9
	v_cndmask_b32_e64 v78, 0xff7fffff, v95, s10
	v_max3_f32 v74, v76, v75, v74
	v_cmp_gt_i32_e64 s11, s24, v83
	v_cmp_gt_i32_e64 s12, s24, v84
	v_or_b32_e32 v72, 28, v128
	v_or_b32_e32 v73, 30, v128
	v_mul_f32_e32 v91, s19, v116
	v_cndmask_b32_e64 v75, 0xff7fffff, v94, s11
	v_cndmask_b32_e64 v76, 0xff7fffff, v93, s12
	v_max3_f32 v74, v74, v77, v78
	v_cmp_gt_i32_e64 s13, s24, v85
	v_cmp_gt_i32_e64 s15, s24, v71
	;; [unrolled: 1-line block ×4, first 2 shown]
	v_max3_f32 v74, v74, v75, v76
	v_cndmask_b32_e64 v77, 0xff7fffff, v92, s13
	v_cndmask_b32_e64 v71, 0xff7fffff, v91, s15
	;; [unrolled: 1-line block ×4, first 2 shown]
	s_delay_alu instid0(VALU_DEP_3) | instskip(SKIP_1) | instid1(VALU_DEP_2)
	v_max3_f32 v71, v74, v77, v71
	v_lshlrev_b32_e32 v74, 2, v127
	v_max3_f32 v71, v71, v72, v73
	ds_bpermute_b32 v72, v74, v71
	s_waitcnt lgkmcnt(0)
	v_max_f32_e32 v72, v72, v72
	s_delay_alu instid0(VALU_DEP_1) | instskip(NEXT) | instid1(VALU_DEP_1)
	v_max_f32_e32 v71, v71, v72
	v_fma_f32 v75, s19, v137, -v71
	v_fma_f32 v76, s19, v138, -v71
	;; [unrolled: 1-line block ×5, first 2 shown]
	s_delay_alu instid0(VALU_DEP_4) | instskip(NEXT) | instid1(VALU_DEP_4)
	v_dual_mul_f32 v75, 0x3fb8aa3b, v75 :: v_dual_mul_f32 v76, 0x3fb8aa3b, v76
	v_mul_f32_e32 v72, 0x3fb8aa3b, v72
	v_fma_f32 v77, s19, v139, -v71
	s_delay_alu instid0(VALU_DEP_4) | instskip(NEXT) | instid1(VALU_DEP_4)
	v_mul_f32_e32 v73, 0x3fb8aa3b, v73
	v_exp_f32_e32 v75, v75
	v_exp_f32_e32 v76, v76
	;; [unrolled: 1-line block ×3, first 2 shown]
	s_delay_alu instid0(VALU_DEP_1) | instskip(SKIP_2) | instid1(TRANS32_DEP_3)
	v_exp_f32_e32 v73, v73
	v_cndmask_b32_e64 v81, 0, v75, s3
	v_mul_f32_e32 v82, 0x3fb8aa3b, v80
	v_cndmask_b32_e64 v80, 0, v76, s4
	s_waitcnt_depctr 0xfff
	v_cndmask_b32_e64 v78, 0, v73, s2
	v_cmp_gt_u32_e64 s2, 16, v70
	v_exp_f32_e32 v84, v82
	s_waitcnt_depctr 0xfff
	v_cndmask_b32_e64 v85, 0, v84, s7
	v_cndmask_b32_e32 v79, 0, v72, vcc_lo
	v_fma_f32 v72, s19, v140, -v71
	v_mul_f32_e32 v77, 0x3fb8aa3b, v77
	s_delay_alu instid0(VALU_DEP_2) | instskip(NEXT) | instid1(VALU_DEP_2)
	v_dual_add_f32 v73, 0, v79 :: v_dual_mul_f32 v72, 0x3fb8aa3b, v72
	v_exp_f32_e32 v77, v77
	s_delay_alu instid0(VALU_DEP_1) | instskip(NEXT) | instid1(VALU_DEP_2)
	v_add_f32_e32 v73, v73, v78
	v_exp_f32_e32 v72, v72
	s_delay_alu instid0(VALU_DEP_1) | instskip(SKIP_4) | instid1(VALU_DEP_2)
	v_add_f32_e32 v73, v73, v81
	s_waitcnt_depctr 0xfff
	v_cndmask_b32_e64 v83, 0, v77, s5
	v_add_f32_e32 v73, v73, v80
	v_cndmask_b32_e64 v82, 0, v72, s6
	v_add_f32_e32 v72, v73, v83
	s_delay_alu instid0(VALU_DEP_1)
	v_add_f32_e32 v72, v72, v82
	v_fma_f32 v75, s19, v142, -v71
	v_fma_f32 v76, s19, v111, -v71
	;; [unrolled: 1-line block ×5, first 2 shown]
	s_delay_alu instid0(VALU_DEP_4) | instskip(NEXT) | instid1(VALU_DEP_4)
	v_dual_mul_f32 v75, 0x3fb8aa3b, v75 :: v_dual_mul_f32 v76, 0x3fb8aa3b, v76
	v_mul_f32_e32 v86, 0x3fb8aa3b, v86
	v_add_f32_e32 v72, v72, v85
	s_delay_alu instid0(VALU_DEP_3) | instskip(NEXT) | instid1(VALU_DEP_3)
	v_exp_f32_e32 v75, v75
	v_exp_f32_e32 v76, v76
	s_delay_alu instid0(VALU_DEP_2) | instskip(NEXT) | instid1(TRANS32_DEP_3)
	v_exp_f32_e32 v88, v86
	v_cndmask_b32_e64 v84, 0, v75, s8
	v_mul_f32_e32 v77, 0x3fb8aa3b, v77
	s_waitcnt_depctr 0xfff
	v_cndmask_b32_e64 v87, 0, v76, s9
	v_fma_f32 v76, s19, v116, -v71
	v_dual_mul_f32 v73, 0x3fb8aa3b, v73 :: v_dual_add_f32 v72, v72, v84
	v_exp_f32_e32 v77, v77
	v_fma_f32 v75, s19, v115, -v71
	s_delay_alu instid0(VALU_DEP_3) | instskip(NEXT) | instid1(VALU_DEP_3)
	v_mul_f32_e32 v76, 0x3fb8aa3b, v76
	v_exp_f32_e32 v73, v73
	v_add_f32_e32 v72, v72, v87
	v_cndmask_b32_e64 v88, 0, v88, s12
	s_delay_alu instid0(VALU_DEP_3) | instskip(NEXT) | instid1(TRANS32_DEP_3)
	v_exp_f32_e32 v76, v76
	v_cndmask_b32_e64 v86, 0, v77, s10
	v_mul_f32_e32 v75, 0x3fb8aa3b, v75
	v_fma_f32 v77, s19, v117, -v71
	s_delay_alu instid0(TRANS32_DEP_2) | instskip(NEXT) | instid1(VALU_DEP_4)
	v_cndmask_b32_e64 v89, 0, v73, s11
	v_add_f32_e32 v72, v72, v86
	s_delay_alu instid0(VALU_DEP_4) | instskip(NEXT) | instid1(TRANS32_DEP_2)
	v_exp_f32_e32 v75, v75
	v_cndmask_b32_e64 v90, 0, v76, s15
	s_delay_alu instid0(VALU_DEP_2) | instskip(SKIP_2) | instid1(VALU_DEP_3)
	v_add_f32_e32 v72, v72, v89
	v_mul_f32_e32 v73, 0x3fb8aa3b, v77
	v_fma_f32 v77, s19, v118, -v71
	v_add_f32_e32 v72, v72, v88
	s_delay_alu instid0(VALU_DEP_3) | instskip(NEXT) | instid1(TRANS32_DEP_2)
	v_exp_f32_e32 v73, v73
	v_cndmask_b32_e64 v91, 0, v75, s13
	s_delay_alu instid0(VALU_DEP_1) | instskip(NEXT) | instid1(VALU_DEP_1)
	v_dual_mul_f32 v75, 0x3fb8aa3b, v77 :: v_dual_add_f32 v72, v72, v91
	v_exp_f32_e32 v75, v75
	s_waitcnt_depctr 0xfff
	v_cndmask_b32_e64 v93, 0, v73, s16
	v_add_f32_e32 v72, v72, v90
	s_delay_alu instid0(VALU_DEP_1) | instskip(SKIP_1) | instid1(VALU_DEP_1)
	v_add_f32_e32 v72, v72, v93
	v_cndmask_b32_e64 v92, 0, v75, s17
	v_add_f32_e32 v72, v72, v92
	ds_bpermute_b32 v73, v74, v72
	s_and_saveexec_b32 s3, s2
	s_cbranch_execz .LBB1048_12
; %bb.11:
	v_mul_u32_u24_e32 v70, 0x44, v69
	s_waitcnt lgkmcnt(0)
	v_add_f32_e32 v72, v72, v73
	s_delay_alu instid0(VALU_DEP_2) | instskip(NEXT) | instid1(VALU_DEP_1)
	v_lshl_add_u32 v70, v68, 2, v70
	v_add_nc_u32_e32 v70, 0x4000, v70
	ds_store_2addr_b32 v70, v71, v72 offset1:136
.LBB1048_12:
	s_or_b32 exec_lo, exec_lo, s3
	v_lshlrev_b32_e32 v70, 2, v68
	s_load_b32 s35, s[0:1], 0x94
	s_waitcnt lgkmcnt(0)
	s_barrier
	buffer_gl0_inv
	v_add_nc_u32_e32 v98, 0x4000, v70
	v_cmp_eq_u32_e32 vcc_lo, 1, v69
	v_cmp_eq_u32_e64 s3, 2, v69
	v_cmp_eq_u32_e64 s4, 3, v69
	;; [unrolled: 1-line block ×3, first 2 shown]
	ds_load_2addr_b32 v[70:71], v98 offset1:17
	ds_load_2addr_b32 v[72:73], v98 offset0:34 offset1:51
	ds_load_2addr_b32 v[74:75], v98 offset0:68 offset1:85
	;; [unrolled: 1-line block ×3, first 2 shown]
	v_cmp_eq_u32_e64 s6, 5, v69
	v_cmp_eq_u32_e64 s7, 7, v69
	s_waitcnt lgkmcnt(3)
	v_max3_f32 v76, v70, 0xff7fffff, v71
	s_waitcnt lgkmcnt(2)
	s_delay_alu instid0(VALU_DEP_1) | instskip(SKIP_1) | instid1(VALU_DEP_1)
	v_max3_f32 v76, v76, v72, v73
	s_waitcnt lgkmcnt(1)
	v_max3_f32 v76, v76, v74, v75
	s_waitcnt lgkmcnt(0)
	s_delay_alu instid0(VALU_DEP_1) | instskip(NEXT) | instid1(VALU_DEP_1)
	v_max3_f32 v76, v76, v94, v95
	v_sub_f32_e32 v77, v71, v76
	ds_load_2addr_b32 v[96:97], v98 offset0:136 offset1:153
	v_sub_f32_e32 v74, v74, v76
	v_sub_f32_e32 v70, v70, v76
	;; [unrolled: 1-line block ×3, first 2 shown]
	v_dual_sub_f32 v72, v72, v76 :: v_dual_mul_f32 v77, 0x3fb8aa3b, v77
	s_delay_alu instid0(VALU_DEP_4) | instskip(NEXT) | instid1(VALU_DEP_4)
	v_mul_f32_e32 v103, 0x3fb8aa3b, v74
	v_mul_f32_e32 v99, 0x3fb8aa3b, v70
	ds_load_2addr_b32 v[70:71], v98 offset0:170 offset1:187
	v_dual_mul_f32 v101, 0x3fb8aa3b, v72 :: v_dual_mul_f32 v94, 0x3fb8aa3b, v94
	v_exp_f32_e32 v102, v77
	v_exp_f32_e32 v99, v99
	s_delay_alu instid0(VALU_DEP_1) | instskip(NEXT) | instid1(VALU_DEP_1)
	v_exp_f32_e32 v101, v101
	v_exp_f32_e32 v94, v94
	s_waitcnt lgkmcnt(1)
	s_delay_alu instid0(TRANS32_DEP_3)
	v_fma_f32 v77, v99, v96, 0
	v_sub_f32_e32 v100, v73, v76
	ds_load_2addr_b32 v[72:73], v98 offset0:204 offset1:221
	v_fmac_f32_e32 v77, v102, v97
	v_exp_f32_e32 v97, v103
	s_waitcnt lgkmcnt(1)
	s_delay_alu instid0(VALU_DEP_1)
	v_dual_fmac_f32 v77, v101, v70 :: v_dual_sub_f32 v96, v75, v76
	ds_load_2addr_b32 v[74:75], v98 offset0:238 offset1:255
	v_sub_f32_e32 v70, v95, v76
	s_waitcnt lgkmcnt(0)
	s_barrier
	v_mul_f32_e32 v96, 0x3fb8aa3b, v96
	buffer_gl0_inv
	v_exp_f32_e32 v95, v96
	v_mul_f32_e32 v100, 0x3fb8aa3b, v100
	s_delay_alu instid0(VALU_DEP_1) | instskip(SKIP_3) | instid1(VALU_DEP_2)
	v_exp_f32_e32 v100, v100
	s_waitcnt_depctr 0xfff
	v_dual_fmac_f32 v77, v100, v71 :: v_dual_mul_f32 v70, 0x3fb8aa3b, v70
	v_cndmask_b32_e32 v71, v99, v102, vcc_lo
	v_fmac_f32_e32 v77, v97, v72
	s_delay_alu instid0(VALU_DEP_3) | instskip(NEXT) | instid1(VALU_DEP_1)
	v_exp_f32_e32 v96, v70
	v_fmac_f32_e32 v77, v95, v73
	s_delay_alu instid0(VALU_DEP_1) | instskip(SKIP_2) | instid1(VALU_DEP_1)
	v_fmac_f32_e32 v77, v94, v74
	s_waitcnt_depctr 0xfff
	v_fmac_f32_e32 v77, v96, v75
	v_add_f32_e32 v74, 0x358637bd, v77
	s_delay_alu instid0(VALU_DEP_1) | instskip(SKIP_1) | instid1(VALU_DEP_2)
	v_div_scale_f32 v98, null, v74, v74, 1.0
	v_div_scale_f32 v99, vcc_lo, 1.0, v74, 1.0
	v_rcp_f32_e32 v103, v98
	s_waitcnt_depctr 0xfff
	v_fma_f32 v70, -v98, v103, 1.0
	s_delay_alu instid0(VALU_DEP_1) | instskip(SKIP_2) | instid1(VALU_DEP_2)
	v_fmac_f32_e32 v103, v70, v103
	v_cndmask_b32_e64 v70, v71, v101, s3
	v_cmp_eq_u32_e64 s3, 6, v69
	v_cndmask_b32_e64 v71, v70, v100, s4
	s_delay_alu instid0(VALU_DEP_4) | instskip(NEXT) | instid1(VALU_DEP_2)
	v_dual_mul_f32 v101, v99, v103 :: v_dual_lshlrev_b32 v70, 2, v66
	v_cndmask_b32_e64 v71, v71, v97, s5
	s_delay_alu instid0(VALU_DEP_2) | instskip(NEXT) | instid1(VALU_DEP_3)
	v_or_b32_e32 v72, 1, v70
	v_fma_f32 v100, -v98, v101, v99
	v_cmp_eq_u32_e64 s4, 1, v70
	v_cmp_eq_u32_e64 s5, 2, v70
	v_cndmask_b32_e64 v95, v71, v95, s6
	v_or_b32_e32 v71, 3, v70
	v_fmac_f32_e32 v101, v100, v103
	v_cmp_eq_u32_e64 s9, 1, v72
	v_cmp_eq_u32_e64 s12, 2, v72
	v_cndmask_b32_e64 v94, v95, v94, s3
	v_cmp_eq_u32_e64 s11, 1, v71
	v_fma_f32 v97, -v98, v101, v99
	v_cmp_eq_u32_e64 s16, 2, v71
	v_cmp_eq_u32_e64 s13, 3, v72
	v_cndmask_b32_e64 v94, v94, v96, s7
	v_cmp_eq_u32_e64 s18, 3, v71
	v_div_fmas_f32 v95, v97, v103, v101
	v_cmp_eq_u32_e32 vcc_lo, 3, v70
	v_cmp_eq_u32_e64 s3, 4, v70
	v_cmp_eq_u32_e64 s19, 4, v72
	;; [unrolled: 1-line block ×3, first 2 shown]
	v_div_fixup_f32 v95, v95, v74, 1.0
	v_lshlrev_b32_e32 v73, 6, v68
	v_cmp_eq_u32_e64 s6, 5, v70
	v_cmp_eq_u32_e64 s20, 5, v72
	;; [unrolled: 1-line block ×3, first 2 shown]
	v_mul_f32_e32 v102, v94, v95
	v_lshl_or_b32 v75, v69, 11, v73
	v_or_b32_e32 v69, 2, v70
	v_cmp_eq_u32_e64 s25, 6, v72
	v_cmp_eq_u32_e64 s27, 6, v71
	v_fma_mixlo_f16 v94, v102, v79, 0
	v_fma_mixlo_f16 v95, v102, v81, 0
	;; [unrolled: 1-line block ×8, first 2 shown]
	v_lshl_or_b32 v74, v66, 4, v75
	v_fma_mixhi_f16 v94, v102, v78, 0
	v_fma_mixhi_f16 v95, v102, v80, 0
	;; [unrolled: 1-line block ×8, first 2 shown]
	ds_store_b128 v74, v[94:97]
	ds_store_b128 v74, v[98:101] offset:1024
	s_waitcnt lgkmcnt(0)
	s_barrier
	buffer_gl0_inv
	ds_load_b128 v[78:81], v75
	ds_load_b128 v[82:85], v75 offset:16
	ds_load_b128 v[86:89], v75 offset:1024
	;; [unrolled: 1-line block ×3, first 2 shown]
	v_cmp_eq_u32_e64 s10, 1, v69
	v_cmp_eq_u32_e64 s15, 2, v69
	;; [unrolled: 1-line block ×11, first 2 shown]
	s_waitcnt lgkmcnt(3)
	v_lshrrev_b32_e32 v94, 16, v78
	s_waitcnt lgkmcnt(2)
	v_lshrrev_b32_e32 v98, 16, v82
	;; [unrolled: 2-line block ×4, first 2 shown]
	v_lshrrev_b32_e32 v95, 16, v79
	v_cndmask_b32_e64 v110, v78, v94, s4
	v_cndmask_b32_e64 v111, v82, v98, s4
	;; [unrolled: 1-line block ×8, first 2 shown]
	v_lshrrev_b32_e32 v99, 16, v83
	v_cndmask_b32_e64 v94, v86, v102, s4
	v_cndmask_b32_e64 v98, v90, v106, s4
	;; [unrolled: 1-line block ×15, first 2 shown]
	v_lshrrev_b32_e32 v103, 16, v87
	v_lshrrev_b32_e32 v107, 16, v91
	v_cndmask_b32_e64 v113, v115, v83, s15
	v_cndmask_b32_e64 v82, v94, v87, s5
	;; [unrolled: 1-line block ×7, first 2 shown]
	v_cndmask_b32_e32 v90, v102, v95, vcc_lo
	v_cndmask_b32_e32 v102, v106, v99, vcc_lo
	v_cndmask_b32_e64 v106, v110, v95, s13
	v_cndmask_b32_e64 v110, v111, v99, s13
	;; [unrolled: 1-line block ×4, first 2 shown]
	v_lshrrev_b32_e32 v96, 16, v80
	v_lshrrev_b32_e32 v100, 16, v84
	v_cndmask_b32_e64 v111, v112, v95, s17
	v_cndmask_b32_e64 v112, v113, v99, s17
	v_cndmask_b32_e32 v82, v82, v103, vcc_lo
	v_cndmask_b32_e32 v83, v83, v107, vcc_lo
	v_cndmask_b32_e64 v94, v94, v103, s13
	v_cndmask_b32_e64 v90, v90, v80, s3
	v_cndmask_b32_e64 v95, v102, v84, s3
	v_cndmask_b32_e64 v99, v106, v80, s19
	v_cndmask_b32_e64 v102, v110, v84, s19
	v_cndmask_b32_e64 v78, v78, v80, s22
	v_cndmask_b32_e64 v79, v79, v84, s22
	v_lshrrev_b32_e32 v104, 16, v88
	v_cndmask_b32_e64 v106, v111, v80, s21
	v_cndmask_b32_e64 v110, v112, v84, s21
	;; [unrolled: 1-line block ×11, first 2 shown]
	v_lshrrev_b32_e32 v97, 16, v81
	v_lshrrev_b32_e32 v101, 16, v85
	v_cndmask_b32_e64 v99, v106, v96, s23
	v_cndmask_b32_e64 v102, v110, v100, s23
	;; [unrolled: 1-line block ×7, first 2 shown]
	v_lshrrev_b32_e32 v105, 16, v89
	v_cndmask_b32_e64 v80, v80, v104, s6
	v_cndmask_b32_e64 v84, v84, v81, s7
	;; [unrolled: 1-line block ×16, first 2 shown]
	v_perm_b32 v81, v79, v78, 0x5040100
	v_perm_b32 v79, v95, v85, 0x5040100
	v_cndmask_b32_e64 v78, v119, v91, s15
	v_cndmask_b32_e64 v85, v117, v91, s12
	;; [unrolled: 1-line block ×3, first 2 shown]
	v_perm_b32 v80, v94, v90, 0x5040100
	v_cndmask_b32_e64 v90, v98, v103, s17
	v_cndmask_b32_e64 v86, v86, v103, s18
	;; [unrolled: 1-line block ×5, first 2 shown]
	v_lshrrev_b32_e32 v108, 16, v92
	v_cndmask_b32_e64 v90, v90, v88, s21
	v_cndmask_b32_e64 v86, v86, v88, s22
	;; [unrolled: 1-line block ×11, first 2 shown]
	v_lshrrev_b32_e32 v109, 16, v93
	v_cndmask_b32_e64 v82, v82, v93, s7
	v_cndmask_b32_e64 v88, v88, v89, s26
	;; [unrolled: 1-line block ×12, first 2 shown]
	v_perm_b32 v78, v84, v83, 0x5040100
	v_perm_b32 v85, v87, v86, 0x5040100
	;; [unrolled: 1-line block ×5, first 2 shown]
	s_mul_i32 s8, s33, 3
	s_mov_b32 s3, exec_lo
	ds_store_b128 v74, v[78:81]
	ds_store_b128 v74, v[82:85] offset:1024
	v_cmpx_gt_u32_e32 3, v0
	s_cbranch_execz .LBB1048_14
; %bb.13:
	s_mul_i32 s4, s8, s34
	s_delay_alu instid0(SALU_CYCLE_1) | instskip(SKIP_1) | instid1(VALU_DEP_1)
	v_add3_u32 v68, s4, s31, v68
	s_load_b128 s[4:7], s[0:1], 0x58
	v_mad_u64_u32 v[78:79], null, v68, s35, s[14:15]
	s_delay_alu instid0(VALU_DEP_1) | instskip(NEXT) | instid1(VALU_DEP_1)
	v_ashrrev_i32_e32 v79, 31, v78
	v_lshlrev_b64 v[78:79], 2, v[78:79]
	s_waitcnt lgkmcnt(0)
	s_delay_alu instid0(VALU_DEP_1) | instskip(NEXT) | instid1(VALU_DEP_2)
	v_add_co_u32 v80, vcc_lo, s6, v78
	v_add_co_ci_u32_e32 v81, vcc_lo, s7, v79, vcc_lo
	v_add_co_u32 v78, vcc_lo, s4, v78
	v_add_co_ci_u32_e32 v79, vcc_lo, s5, v79, vcc_lo
	global_store_b32 v[80:81], v76, off
	global_store_b32 v[78:79], v77, off
.LBB1048_14:
	s_or_b32 exec_lo, exec_lo, s3
	s_waitcnt lgkmcnt(0)
	s_waitcnt_vscnt null, 0x0
	s_barrier
	buffer_gl0_inv
	ds_load_b128 v[84:87], v73
	ds_load_b128 v[88:91], v73 offset:16
	ds_load_b128 v[96:99], v73 offset:2064
	;; [unrolled: 1-line block ×5, first 2 shown]
	v_cmp_eq_u32_e32 vcc_lo, 1, v70
	v_mov_b32_e32 v76, 0
	ds_load_b128 v[112:115], v73 offset:6160
	ds_load_b128 v[108:111], v73 offset:6144
	;; [unrolled: 1-line block ×4, first 2 shown]
	v_cmp_eq_u32_e64 s4, 1, v69
	v_cmp_eq_u32_e64 s3, 1, v72
	v_cmp_eq_u32_e64 s5, 2, v72
	v_mov_b32_e32 v77, v76
	v_mov_b32_e32 v78, v76
	;; [unrolled: 1-line block ×7, first 2 shown]
	v_cmp_eq_u32_e64 s6, 3, v72
	v_cmp_eq_u32_e64 s7, 7, v72
	s_waitcnt lgkmcnt(8)
	s_delay_alu instid0(VALU_DEP_3)
	v_wmma_f32_16x16x16_f16 v[76:83], v[49:56], v[84:91], v[76:83]
	ds_load_b128 v[53:56], v73 offset:10256
	ds_load_b128 v[49:52], v73 offset:10240
	s_waitcnt lgkmcnt(8)
	v_wmma_f32_16x16x16_f16 v[76:83], v[41:48], v[92:99], v[76:83]
	ds_load_b128 v[45:48], v73 offset:12304
	ds_load_b128 v[41:44], v73 offset:12288
	s_waitcnt lgkmcnt(8)
	v_wmma_f32_16x16x16_f16 v[76:83], v[33:40], v[100:107], v[76:83]
	ds_load_b128 v[37:40], v73 offset:14352
	ds_load_b128 v[33:36], v73 offset:14336
	s_waitcnt lgkmcnt(0)
	s_barrier
	buffer_gl0_inv
	v_wmma_f32_16x16x16_f16 v[76:83], v[1:8], v[108:115], v[76:83]
	s_delay_alu instid0(VALU_DEP_1) | instskip(NEXT) | instid1(VALU_DEP_1)
	v_wmma_f32_16x16x16_f16 v[76:83], v[9:16], v[116:123], v[76:83]
	v_wmma_f32_16x16x16_f16 v[76:83], v[17:24], v[49:56], v[76:83]
	s_delay_alu instid0(VALU_DEP_1) | instskip(NEXT) | instid1(VALU_DEP_1)
	v_wmma_f32_16x16x16_f16 v[76:83], v[25:32], v[41:48], v[76:83]
	v_wmma_f32_16x16x16_f16 v[76:83], v[57:64], v[33:40], v[76:83]
	s_delay_alu instid0(VALU_DEP_1) | instskip(NEXT) | instid1(VALU_DEP_2)
	v_cvt_f16_f32_e32 v1, v76
	v_cvt_f16_f32_e32 v2, v77
	s_delay_alu instid0(VALU_DEP_3) | instskip(NEXT) | instid1(VALU_DEP_4)
	v_cvt_f16_f32_e32 v3, v78
	v_cvt_f16_f32_e32 v4, v79
	;; [unrolled: 1-line block ×6, first 2 shown]
	v_pack_b32_f16 v1, v1, v2
	v_pack_b32_f16 v2, v3, v4
	;; [unrolled: 1-line block ×3, first 2 shown]
	s_delay_alu instid0(VALU_DEP_4)
	v_pack_b32_f16 v4, v7, v8
	ds_store_b128 v74, v[1:4]
	s_waitcnt lgkmcnt(0)
	s_barrier
	buffer_gl0_inv
	ds_load_b128 v[1:4], v75
	ds_load_b128 v[5:8], v75 offset:16
	s_waitcnt lgkmcnt(1)
	v_lshrrev_b32_e32 v9, 16, v1
	s_waitcnt lgkmcnt(0)
	v_lshrrev_b32_e32 v13, 16, v5
	v_lshrrev_b32_e32 v10, 16, v2
	;; [unrolled: 1-line block ×4, first 2 shown]
	v_cndmask_b32_e32 v17, v1, v9, vcc_lo
	v_cndmask_b32_e32 v18, v5, v13, vcc_lo
	v_cndmask_b32_e64 v21, v1, v9, s4
	v_cmp_eq_u32_e32 vcc_lo, 1, v71
	v_cndmask_b32_e64 v22, v5, v13, s4
	v_cmp_eq_u32_e64 s4, 2, v70
	v_cndmask_b32_e64 v19, v1, v9, s3
	v_cndmask_b32_e64 v20, v5, v13, s3
	v_cndmask_b32_e32 v1, v1, v9, vcc_lo
	v_cmp_eq_u32_e64 s3, 2, v71
	v_cndmask_b32_e32 v5, v5, v13, vcc_lo
	v_cndmask_b32_e64 v9, v17, v2, s4
	v_cmp_eq_u32_e32 vcc_lo, 3, v70
	v_cndmask_b32_e64 v13, v18, v6, s4
	v_cmp_eq_u32_e64 s4, 2, v69
	v_cndmask_b32_e64 v17, v19, v2, s5
	v_cndmask_b32_e64 v18, v20, v6, s5
	v_cmp_eq_u32_e64 s5, 3, v69
	v_cndmask_b32_e64 v1, v1, v2, s3
	v_cndmask_b32_e64 v19, v21, v2, s4
	;; [unrolled: 1-line block ×4, first 2 shown]
	v_cndmask_b32_e32 v5, v9, v10, vcc_lo
	v_cndmask_b32_e32 v6, v13, v14, vcc_lo
	v_cmp_eq_u32_e32 vcc_lo, 3, v71
	v_cndmask_b32_e64 v9, v17, v10, s6
	v_cndmask_b32_e64 v13, v18, v14, s6
	;; [unrolled: 1-line block ×3, first 2 shown]
	v_cmp_eq_u32_e64 s4, 4, v70
	v_cndmask_b32_e32 v1, v1, v10, vcc_lo
	v_cndmask_b32_e32 v2, v2, v14, vcc_lo
	v_cmp_eq_u32_e32 vcc_lo, 4, v72
	v_lshrrev_b32_e32 v15, 16, v7
	v_lshrrev_b32_e32 v16, 16, v8
	v_cndmask_b32_e64 v17, v19, v10, s5
	v_cmp_eq_u32_e64 s3, 4, v71
	v_cndmask_b32_e64 v5, v5, v3, s4
	v_cndmask_b32_e64 v6, v6, v7, s4
	v_cndmask_b32_e32 v9, v9, v3, vcc_lo
	v_cmp_eq_u32_e64 s4, 5, v72
	v_cndmask_b32_e32 v10, v13, v7, vcc_lo
	v_cmp_eq_u32_e32 vcc_lo, 4, v69
	v_cmp_eq_u32_e64 s5, 5, v70
	v_cndmask_b32_e64 v2, v2, v7, s3
	v_cndmask_b32_e64 v9, v9, v11, s4
	;; [unrolled: 1-line block ×3, first 2 shown]
	v_cndmask_b32_e32 v13, v17, v3, vcc_lo
	v_cmp_eq_u32_e64 s4, 5, v69
	v_cndmask_b32_e32 v14, v18, v7, vcc_lo
	v_cndmask_b32_e64 v1, v1, v3, s3
	v_cmp_eq_u32_e32 vcc_lo, 5, v71
	v_lshrrev_b32_e32 v12, 16, v4
	v_cndmask_b32_e64 v13, v13, v11, s4
	v_cndmask_b32_e64 v3, v14, v15, s4
	v_cmp_eq_u32_e64 s4, 6, v71
	v_cndmask_b32_e32 v1, v1, v11, vcc_lo
	v_cndmask_b32_e64 v5, v5, v11, s5
	v_cmp_eq_u32_e64 s6, 6, v70
	v_cndmask_b32_e64 v6, v6, v15, s5
	v_cmp_eq_u32_e64 s5, 6, v72
	v_cmp_eq_u32_e64 s3, 6, v69
	v_cndmask_b32_e64 v1, v1, v4, s4
	v_cndmask_b32_e32 v2, v2, v15, vcc_lo
	v_cmp_eq_u32_e32 vcc_lo, 7, v71
	v_cndmask_b32_e64 v5, v5, v4, s6
	v_cndmask_b32_e64 v9, v9, v4, s5
	;; [unrolled: 1-line block ×3, first 2 shown]
	v_cmp_eq_u32_e64 s6, 7, v70
	v_cndmask_b32_e32 v1, v1, v12, vcc_lo
	v_cndmask_b32_e64 v7, v13, v4, s3
	v_cndmask_b32_e64 v3, v3, v8, s3
	;; [unrolled: 1-line block ×3, first 2 shown]
	v_cmp_eq_u32_e64 s3, 7, v69
	v_cndmask_b32_e64 v4, v10, v8, s5
	v_cndmask_b32_e64 v5, v5, v12, s6
	;; [unrolled: 1-line block ×3, first 2 shown]
	v_cndmask_b32_e32 v2, v2, v16, vcc_lo
	v_cndmask_b32_e64 v7, v7, v12, s3
	v_cndmask_b32_e64 v3, v3, v16, s3
	v_cndmask_b32_e64 v8, v4, v16, s7
	v_cndmask_b32_e64 v6, v6, v16, s6
	v_perm_b32 v4, v2, v1, 0x5040100
	s_mov_b32 s3, exec_lo
	v_perm_b32 v3, v3, v7, 0x5040100
	v_perm_b32 v2, v8, v9, 0x5040100
	;; [unrolled: 1-line block ×3, first 2 shown]
	ds_store_b128 v74, v[1:4]
	s_waitcnt lgkmcnt(0)
	s_barrier
	buffer_gl0_inv
	v_cmpx_gt_u32_e32 32, v0
	s_cbranch_execz .LBB1048_2
; %bb.15:
	s_load_b64 s[4:5], s[0:1], 0x68
	v_lshlrev_b32_e32 v0, 10, v0
	v_lshlrev_b32_e32 v2, 4, v67
	v_add_nc_u32_e32 v1, s31, v66
	s_lshl_b32 s0, s35, 7
	s_delay_alu instid0(SALU_CYCLE_1) | instskip(NEXT) | instid1(VALU_DEP_2)
	s_mul_i32 s1, s0, s34
	v_and_or_b32 v0, 0x3800, v0, v2
	s_mul_i32 s6, s1, s8
	v_mul_lo_u32 v1, v1, s0
	s_ashr_i32 s7, s6, 31
	s_delay_alu instid0(VALU_DEP_2) | instskip(SKIP_1) | instid1(VALU_DEP_2)
	v_lshl_or_b32 v3, v66, 6, v0
	s_lshl_b64 s[6:7], s[6:7], 1
	v_ashrrev_i32_e32 v2, 31, v1
	ds_load_b128 v[3:6], v3
	s_waitcnt lgkmcnt(0)
	s_add_u32 s1, s4, s6
	s_addc_u32 s3, s5, s7
	s_lshl_b32 s4, s14, 7
	v_lshlrev_b64 v[7:8], 1, v[1:2]
	s_ashr_i32 s5, s4, 31
	s_delay_alu instid0(SALU_CYCLE_1) | instskip(NEXT) | instid1(SALU_CYCLE_1)
	s_lshl_b64 s[4:5], s[4:5], 1
	s_add_u32 s1, s1, s4
	s_addc_u32 s3, s3, s5
	v_add_co_u32 v1, s1, s1, v65
	s_delay_alu instid0(VALU_DEP_1) | instskip(NEXT) | instid1(VALU_DEP_2)
	v_add_co_ci_u32_e64 v2, null, s3, 0, s1
	v_add_co_u32 v7, vcc_lo, v1, v7
	s_delay_alu instid0(VALU_DEP_2)
	v_add_co_ci_u32_e32 v8, vcc_lo, v2, v8, vcc_lo
	global_store_b128 v[7:8], v[3:6], off
	s_and_b32 exec_lo, exec_lo, s2
	s_cbranch_execz .LBB1048_2
; %bb.16:
	ds_load_b128 v[3:6], v0 offset:128
	s_add_i32 s1, s31, 2
	s_delay_alu instid0(SALU_CYCLE_1) | instskip(NEXT) | instid1(SALU_CYCLE_1)
	s_mul_i32 s0, s1, s0
	s_ashr_i32 s1, s0, 31
	s_delay_alu instid0(SALU_CYCLE_1) | instskip(NEXT) | instid1(SALU_CYCLE_1)
	s_lshl_b64 s[0:1], s[0:1], 1
	v_add_co_u32 v0, vcc_lo, v1, s0
	v_add_co_ci_u32_e32 v1, vcc_lo, s1, v2, vcc_lo
	s_waitcnt lgkmcnt(0)
	global_store_b128 v[0:1], v[3:6], off
	s_nop 0
	s_sendmsg sendmsg(MSG_DEALLOC_VGPRS)
	s_endpgm
	.section	.rodata,"a",@progbits
	.p2align	6, 0x0
	.amdhsa_kernel _Z39paged_attention_ll4mi_QKV_mfma16_kernelIDF16_hLN4vllm18Fp8KVCacheDataTypeE1EhLi32ELi128ELi256ELb0ELi3EL8MFMAType1EEvPKT_PKT0_S8_ifPKiSA_SA_iPKfiiiPfSD_PS3_PT2_iSC_SC_
		.amdhsa_group_segment_fixed_size 17472
		.amdhsa_private_segment_fixed_size 0
		.amdhsa_kernarg_size 400
		.amdhsa_user_sgpr_count 13
		.amdhsa_user_sgpr_dispatch_ptr 0
		.amdhsa_user_sgpr_queue_ptr 0
		.amdhsa_user_sgpr_kernarg_segment_ptr 1
		.amdhsa_user_sgpr_dispatch_id 0
		.amdhsa_user_sgpr_private_segment_size 0
		.amdhsa_wavefront_size32 1
		.amdhsa_uses_dynamic_stack 0
		.amdhsa_enable_private_segment 0
		.amdhsa_system_sgpr_workgroup_id_x 1
		.amdhsa_system_sgpr_workgroup_id_y 1
		.amdhsa_system_sgpr_workgroup_id_z 1
		.amdhsa_system_sgpr_workgroup_info 0
		.amdhsa_system_vgpr_workitem_id 0
		.amdhsa_next_free_vgpr 150
		.amdhsa_next_free_sgpr 37
		.amdhsa_reserve_vcc 1
		.amdhsa_float_round_mode_32 0
		.amdhsa_float_round_mode_16_64 0
		.amdhsa_float_denorm_mode_32 3
		.amdhsa_float_denorm_mode_16_64 3
		.amdhsa_dx10_clamp 1
		.amdhsa_ieee_mode 1
		.amdhsa_fp16_overflow 0
		.amdhsa_workgroup_processor_mode 1
		.amdhsa_memory_ordered 1
		.amdhsa_forward_progress 0
		.amdhsa_shared_vgpr_count 0
		.amdhsa_exception_fp_ieee_invalid_op 0
		.amdhsa_exception_fp_denorm_src 0
		.amdhsa_exception_fp_ieee_div_zero 0
		.amdhsa_exception_fp_ieee_overflow 0
		.amdhsa_exception_fp_ieee_underflow 0
		.amdhsa_exception_fp_ieee_inexact 0
		.amdhsa_exception_int_div_zero 0
	.end_amdhsa_kernel
	.section	.text._Z39paged_attention_ll4mi_QKV_mfma16_kernelIDF16_hLN4vllm18Fp8KVCacheDataTypeE1EhLi32ELi128ELi256ELb0ELi3EL8MFMAType1EEvPKT_PKT0_S8_ifPKiSA_SA_iPKfiiiPfSD_PS3_PT2_iSC_SC_,"axG",@progbits,_Z39paged_attention_ll4mi_QKV_mfma16_kernelIDF16_hLN4vllm18Fp8KVCacheDataTypeE1EhLi32ELi128ELi256ELb0ELi3EL8MFMAType1EEvPKT_PKT0_S8_ifPKiSA_SA_iPKfiiiPfSD_PS3_PT2_iSC_SC_,comdat
.Lfunc_end1048:
	.size	_Z39paged_attention_ll4mi_QKV_mfma16_kernelIDF16_hLN4vllm18Fp8KVCacheDataTypeE1EhLi32ELi128ELi256ELb0ELi3EL8MFMAType1EEvPKT_PKT0_S8_ifPKiSA_SA_iPKfiiiPfSD_PS3_PT2_iSC_SC_, .Lfunc_end1048-_Z39paged_attention_ll4mi_QKV_mfma16_kernelIDF16_hLN4vllm18Fp8KVCacheDataTypeE1EhLi32ELi128ELi256ELb0ELi3EL8MFMAType1EEvPKT_PKT0_S8_ifPKiSA_SA_iPKfiiiPfSD_PS3_PT2_iSC_SC_
                                        ; -- End function
	.section	.AMDGPU.csdata,"",@progbits
; Kernel info:
; codeLenInByte = 6604
; NumSgprs: 39
; NumVgprs: 150
; ScratchSize: 0
; MemoryBound: 0
; FloatMode: 240
; IeeeMode: 1
; LDSByteSize: 17472 bytes/workgroup (compile time only)
; SGPRBlocks: 4
; VGPRBlocks: 18
; NumSGPRsForWavesPerEU: 39
; NumVGPRsForWavesPerEU: 150
; Occupancy: 9
; WaveLimiterHint : 1
; COMPUTE_PGM_RSRC2:SCRATCH_EN: 0
; COMPUTE_PGM_RSRC2:USER_SGPR: 13
; COMPUTE_PGM_RSRC2:TRAP_HANDLER: 0
; COMPUTE_PGM_RSRC2:TGID_X_EN: 1
; COMPUTE_PGM_RSRC2:TGID_Y_EN: 1
; COMPUTE_PGM_RSRC2:TGID_Z_EN: 1
; COMPUTE_PGM_RSRC2:TIDIG_COMP_CNT: 0
	.section	.text._Z39paged_attention_ll4mi_QKV_mfma16_kernelIDF16_hLN4vllm18Fp8KVCacheDataTypeE1EhLi32ELi128ELi256ELb0ELi4EL8MFMAType1EEvPKT_PKT0_S8_ifPKiSA_SA_iPKfiiiPfSD_PS3_PT2_iSC_SC_,"axG",@progbits,_Z39paged_attention_ll4mi_QKV_mfma16_kernelIDF16_hLN4vllm18Fp8KVCacheDataTypeE1EhLi32ELi128ELi256ELb0ELi4EL8MFMAType1EEvPKT_PKT0_S8_ifPKiSA_SA_iPKfiiiPfSD_PS3_PT2_iSC_SC_,comdat
	.protected	_Z39paged_attention_ll4mi_QKV_mfma16_kernelIDF16_hLN4vllm18Fp8KVCacheDataTypeE1EhLi32ELi128ELi256ELb0ELi4EL8MFMAType1EEvPKT_PKT0_S8_ifPKiSA_SA_iPKfiiiPfSD_PS3_PT2_iSC_SC_ ; -- Begin function _Z39paged_attention_ll4mi_QKV_mfma16_kernelIDF16_hLN4vllm18Fp8KVCacheDataTypeE1EhLi32ELi128ELi256ELb0ELi4EL8MFMAType1EEvPKT_PKT0_S8_ifPKiSA_SA_iPKfiiiPfSD_PS3_PT2_iSC_SC_
	.globl	_Z39paged_attention_ll4mi_QKV_mfma16_kernelIDF16_hLN4vllm18Fp8KVCacheDataTypeE1EhLi32ELi128ELi256ELb0ELi4EL8MFMAType1EEvPKT_PKT0_S8_ifPKiSA_SA_iPKfiiiPfSD_PS3_PT2_iSC_SC_
	.p2align	8
	.type	_Z39paged_attention_ll4mi_QKV_mfma16_kernelIDF16_hLN4vllm18Fp8KVCacheDataTypeE1EhLi32ELi128ELi256ELb0ELi4EL8MFMAType1EEvPKT_PKT0_S8_ifPKiSA_SA_iPKfiiiPfSD_PS3_PT2_iSC_SC_,@function
_Z39paged_attention_ll4mi_QKV_mfma16_kernelIDF16_hLN4vllm18Fp8KVCacheDataTypeE1EhLi32ELi128ELi256ELb0ELi4EL8MFMAType1EEvPKT_PKT0_S8_ifPKiSA_SA_iPKfiiiPfSD_PS3_PT2_iSC_SC_: ; @_Z39paged_attention_ll4mi_QKV_mfma16_kernelIDF16_hLN4vllm18Fp8KVCacheDataTypeE1EhLi32ELi128ELi256ELb0ELi4EL8MFMAType1EEvPKT_PKT0_S8_ifPKiSA_SA_iPKfiiiPfSD_PS3_PT2_iSC_SC_
; %bb.0:
	s_load_b64 s[4:5], s[0:1], 0x30
	s_mov_b32 s30, s13
	s_waitcnt lgkmcnt(0)
	s_cmp_lg_u64 s[4:5], 0
	s_cselect_b32 s13, -1, 0
	s_ashr_i32 s31, s30, 31
	s_cmp_eq_u64 s[4:5], 0
	s_cbranch_scc1 .LBB1049_3
; %bb.1:
	s_lshl_b64 s[2:3], s[30:31], 2
	s_delay_alu instid0(SALU_CYCLE_1) | instskip(SKIP_4) | instid1(SALU_CYCLE_1)
	s_add_u32 s2, s4, s2
	s_addc_u32 s3, s5, s3
	s_load_b64 s[2:3], s[2:3], 0x0
	s_waitcnt lgkmcnt(0)
	s_sub_i32 s2, s3, s2
	s_cmp_eq_u32 s2, 1
	s_cselect_b32 s2, -1, 0
	s_delay_alu instid0(SALU_CYCLE_1)
	s_and_not1_b32 vcc_lo, exec_lo, s2
	s_cbranch_vccz .LBB1049_4
.LBB1049_2:
	s_endpgm
.LBB1049_3:
.LBB1049_4:
	s_load_b64 s[2:3], s[0:1], 0x28
	s_lshl_b64 s[6:7], s[30:31], 2
	s_waitcnt lgkmcnt(0)
	s_add_u32 s2, s2, s6
	s_addc_u32 s3, s3, s7
	s_lshl_b32 s12, s14, 8
	s_load_b32 s17, s[2:3], 0x0
	s_waitcnt lgkmcnt(0)
	s_cmp_ge_i32 s12, s17
	s_cbranch_scc1 .LBB1049_2
; %bb.5:
	s_clause 0x1
	s_load_b128 s[8:11], s[0:1], 0x8
	s_load_b64 s[2:3], s[0:1], 0x20
	s_and_not1_b32 vcc_lo, exec_lo, s13
	s_cbranch_vccnz .LBB1049_7
; %bb.6:
	s_add_u32 s4, s4, s6
	s_addc_u32 s5, s5, s7
	s_load_b32 s13, s[4:5], 0x0
	s_branch .LBB1049_8
.LBB1049_7:
	s_mov_b32 s13, s30
.LBB1049_8:
	s_load_b128 s[4:7], s[0:1], 0x48
	v_and_b32_e32 v69, 15, v0
	v_lshrrev_b32_e32 v68, 5, v0
	v_and_b32_e32 v70, 31, v0
	v_and_b32_e32 v67, 1, v0
	v_bfe_u32 v66, v0, 4, 1
	v_lshlrev_b32_e32 v1, 3, v69
	s_lshl_b32 s31, s15, 2
	s_waitcnt lgkmcnt(0)
	s_mov_b32 s7, exec_lo
	s_delay_alu instid0(VALU_DEP_1)
	v_lshlrev_b32_e32 v65, 1, v1
	v_cmpx_gt_u32_e32 64, v0
	s_cbranch_execz .LBB1049_10
; %bb.9:
	v_lshl_or_b32 v5, v68, 1, v66
	s_load_b64 s[18:19], s[0:1], 0x0
	s_mul_hi_i32 s21, s13, s4
	s_mul_i32 s20, s13, s4
	v_lshlrev_b32_e32 v6, 10, v69
	v_or_b32_e32 v1, s31, v5
	s_lshl_b64 s[20:21], s[20:21], 1
	v_lshlrev_b32_e32 v5, 6, v5
	v_lshlrev_b32_e32 v7, 10, v67
	v_and_b32_e32 v6, 0x3800, v6
	v_lshlrev_b32_e32 v1, 7, v1
	s_delay_alu instid0(VALU_DEP_2) | instskip(NEXT) | instid1(VALU_DEP_2)
	v_or3_b32 v5, v6, v7, v5
	v_ashrrev_i32_e32 v2, 31, v1
	s_delay_alu instid0(VALU_DEP_1) | instskip(SKIP_3) | instid1(VALU_DEP_1)
	v_lshlrev_b64 v[1:2], 1, v[1:2]
	s_waitcnt lgkmcnt(0)
	s_add_u32 s4, s18, s20
	s_addc_u32 s13, s19, s21
	v_add_co_u32 v1, vcc_lo, s4, v1
	s_delay_alu instid0(VALU_DEP_2) | instskip(NEXT) | instid1(VALU_DEP_2)
	v_add_co_ci_u32_e32 v2, vcc_lo, s13, v2, vcc_lo
	v_add_co_u32 v1, vcc_lo, v1, v65
	s_delay_alu instid0(VALU_DEP_2)
	v_add_co_ci_u32_e32 v2, vcc_lo, 0, v2, vcc_lo
	global_load_b128 v[1:4], v[1:2], off
	s_waitcnt vmcnt(0)
	ds_store_b128 v5, v[1:4]
.LBB1049_10:
	s_or_b32 exec_lo, exec_lo, s7
	v_and_b32_e32 v1, 0xef, v0
	s_add_i32 s4, s17, 31
	s_clause 0x1
	s_load_b32 s7, s[0:1], 0x38
	s_load_b32 s33, s[0:1], 0x98
	s_ashr_i32 s13, s4, 31
	v_add_nc_u32_e32 v1, s12, v1
	s_lshr_b32 s13, s13, 27
	s_load_b32 s18, s[0:1], 0x1c
	s_add_i32 s4, s4, s13
	s_waitcnt lgkmcnt(0)
	v_ashrrev_i32_e32 v2, 31, v1
	v_or_b32_e32 v3, 16, v1
	s_ashr_i32 s4, s4, 5
	v_cmp_gt_i32_e32 vcc_lo, s17, v1
	s_add_i32 s4, s4, -1
	v_lshrrev_b32_e32 v2, 27, v2
	s_barrier
	buffer_gl0_inv
	s_mul_i32 s15, s15, s6
	v_add_nc_u32_e32 v4, v1, v2
	s_mul_i32 s20, s30, s7
	s_delay_alu instid0(SALU_CYCLE_1) | instskip(NEXT) | instid1(VALU_DEP_1)
	s_ashr_i32 s21, s20, 31
	v_ashrrev_i32_e32 v4, 5, v4
	v_add_nc_u32_e32 v2, v3, v2
	s_lshl_b64 s[20:21], s[20:21], 2
	s_delay_alu instid0(SALU_CYCLE_1) | instskip(NEXT) | instid1(VALU_DEP_2)
	s_add_u32 s13, s2, s20
	v_cndmask_b32_e32 v1, s4, v4, vcc_lo
	s_delay_alu instid0(VALU_DEP_2)
	v_ashrrev_i32_e32 v2, 5, v2
	v_cmp_gt_i32_e32 vcc_lo, s17, v3
	s_addc_u32 s16, s3, s21
	s_ashr_i32 s19, s15, 31
	s_add_u32 s2, s8, s15
	s_addc_u32 s3, s9, s19
	v_cndmask_b32_e32 v3, s4, v2, vcc_lo
	v_ashrrev_i32_e32 v2, 31, v1
	s_lshl_b32 s6, s14, 3
	s_delay_alu instid0(SALU_CYCLE_1) | instskip(NEXT) | instid1(VALU_DEP_2)
	s_ashr_i32 s7, s6, 31
	v_ashrrev_i32_e32 v4, 31, v3
	s_delay_alu instid0(VALU_DEP_2) | instskip(SKIP_1) | instid1(SALU_CYCLE_1)
	v_lshlrev_b64 v[1:2], 2, v[1:2]
	s_lshl_b64 s[6:7], s[6:7], 2
	s_add_u32 s6, s13, s6
	s_delay_alu instid0(VALU_DEP_2) | instskip(SKIP_1) | instid1(VALU_DEP_2)
	v_lshlrev_b64 v[3:4], 2, v[3:4]
	s_addc_u32 s7, s16, s7
	v_add_co_u32 v1, vcc_lo, s13, v1
	v_add_co_ci_u32_e32 v2, vcc_lo, s16, v2, vcc_lo
	s_delay_alu instid0(VALU_DEP_3) | instskip(NEXT) | instid1(VALU_DEP_4)
	v_add_co_u32 v3, vcc_lo, s13, v3
	v_add_co_ci_u32_e32 v4, vcc_lo, s16, v4, vcc_lo
	s_clause 0x1
	global_load_b32 v5, v[1:2], off
	global_load_b32 v6, v[3:4], off
	s_or_b32 s8, s12, 32
	s_delay_alu instid0(SALU_CYCLE_1) | instskip(SKIP_2) | instid1(SALU_CYCLE_1)
	s_ashr_i32 s9, s8, 5
	s_cmp_lt_i32 s8, s17
	s_cselect_b32 s8, s9, s4
	s_ashr_i32 s9, s8, 31
	s_delay_alu instid0(SALU_CYCLE_1) | instskip(NEXT) | instid1(SALU_CYCLE_1)
	s_lshl_b64 s[8:9], s[8:9], 2
	s_add_u32 s8, s13, s8
	s_addc_u32 s9, s16, s9
	s_or_b32 s20, s12, 64
	s_delay_alu instid0(SALU_CYCLE_1) | instskip(SKIP_2) | instid1(SALU_CYCLE_1)
	s_ashr_i32 s21, s20, 5
	s_cmp_lt_i32 s20, s17
	s_cselect_b32 s20, s21, s4
	s_ashr_i32 s21, s20, 31
	s_delay_alu instid0(SALU_CYCLE_1) | instskip(NEXT) | instid1(SALU_CYCLE_1)
	s_lshl_b64 s[20:21], s[20:21], 2
	s_add_u32 s20, s13, s20
	s_addc_u32 s21, s16, s21
	;; [unrolled: 10-line block ×5, first 2 shown]
	s_clause 0x5
	s_load_b32 s28, s[6:7], 0x0
	s_load_b32 s8, s[8:9], 0x0
	;; [unrolled: 1-line block ×6, first 2 shown]
	s_mov_b32 s20, 0
	s_delay_alu instid0(SALU_CYCLE_1)
	s_mov_b32 s21, s20
	s_mov_b32 s22, s20
	;; [unrolled: 1-line block ×7, first 2 shown]
	s_delay_alu instid0(SALU_CYCLE_1)
	v_dual_mov_b32 v102, s27 :: v_dual_mov_b32 v101, s26
	v_dual_mov_b32 v100, s25 :: v_dual_mov_b32 v99, s24
	v_mov_b32_e32 v97, s22
	v_dual_mov_b32 v95, s20 :: v_dual_mov_b32 v98, s23
	v_mov_b32_e32 v96, s21
	s_waitcnt vmcnt(1)
	v_mad_i64_i32 v[1:2], null, v5, s5, s[2:3]
	v_lshlrev_b32_e32 v5, 4, v69
	s_waitcnt vmcnt(0)
	v_mad_i64_i32 v[3:4], null, v6, s5, s[2:3]
	s_or_b32 s2, s12, 0xc0
	s_delay_alu instid0(SALU_CYCLE_1) | instskip(NEXT) | instid1(VALU_DEP_3)
	s_ashr_i32 s3, s2, 5
	v_add_co_u32 v33, vcc_lo, v1, v5
	s_delay_alu instid0(VALU_DEP_4) | instskip(NEXT) | instid1(VALU_DEP_3)
	v_add_co_ci_u32_e32 v34, vcc_lo, 0, v2, vcc_lo
	v_add_co_u32 v35, vcc_lo, v3, v5
	s_delay_alu instid0(VALU_DEP_4)
	v_add_co_ci_u32_e32 v36, vcc_lo, 0, v4, vcc_lo
	s_clause 0xf
	global_load_b128 v[1:4], v[33:34], off
	global_load_b128 v[5:8], v[33:34], off offset:512
	global_load_b128 v[9:12], v[35:36], off offset:256
	;; [unrolled: 1-line block ×15, first 2 shown]
	s_cmp_lt_i32 s2, s17
	v_and_b32_e32 v33, 3, v0
	s_cselect_b32 s2, s3, s4
	v_lshlrev_b32_e32 v34, 5, v69
	s_ashr_i32 s3, s2, 31
	s_delay_alu instid0(SALU_CYCLE_1)
	s_lshl_b64 s[2:3], s[2:3], 2
	v_lshlrev_b32_e32 v139, 6, v33
	s_add_u32 s2, s13, s2
	s_addc_u32 s3, s16, s3
	s_or_b32 s6, s12, 0xe0
	v_lshl_or_b32 v41, v68, 9, v34
	s_ashr_i32 s7, s6, 5
	s_cmp_lt_i32 s6, s17
	ds_load_b128 v[33:36], v139
	ds_load_b128 v[37:40], v139 offset:1024
	s_cselect_b32 s6, s7, s4
	ds_load_b128 v[103:106], v139 offset:2048
	ds_load_b128 v[107:110], v139 offset:3072
	s_ashr_i32 s7, s6, 31
	s_load_b32 s4, s[2:3], 0x0
	s_lshl_b64 s[6:7], s[6:7], 2
	ds_load_b128 v[111:114], v139 offset:4096
	ds_load_b128 v[115:118], v139 offset:5120
	s_add_u32 s2, s13, s6
	s_addc_u32 s3, s16, s7
	s_add_u32 s6, s10, s15
	s_load_b32 s2, s[2:3], 0x0
	s_addc_u32 s7, s11, s19
	v_add_co_u32 v127, s6, s6, v41
	s_delay_alu instid0(VALU_DEP_1) | instskip(SKIP_1) | instid1(VALU_DEP_1)
	v_add_co_ci_u32_e64 v128, null, s7, 0, s6
	s_waitcnt lgkmcnt(0)
	v_mad_i64_i32 v[41:42], null, s28, s5, v[127:128]
	v_mad_i64_i32 v[129:130], null, s9, s5, v[127:128]
	;; [unrolled: 1-line block ×7, first 2 shown]
	s_clause 0x3
	global_load_b128 v[49:52], v[41:42], off
	global_load_b128 v[53:56], v[41:42], off offset:16
	global_load_b128 v[41:44], v[45:46], off
	global_load_b128 v[45:48], v[45:46], off offset:16
	s_waitcnt vmcnt(18)
	v_wmma_f32_16x16x16_f16 v[119:126], v[1:8], v[33:40], v[95:102]
	s_waitcnt vmcnt(16)
	v_wmma_f32_16x16x16_f16 v[95:102], v[9:16], v[33:40], v[95:102]
	s_clause 0x3
	global_load_b128 v[33:36], v[129:130], off
	global_load_b128 v[37:40], v[129:130], off offset:16
	global_load_b128 v[1:4], v[131:132], off
	global_load_b128 v[5:8], v[131:132], off offset:16
	s_waitcnt vmcnt(18)
	v_wmma_f32_16x16x16_f16 v[119:126], v[17:24], v[103:110], v[119:126]
	s_clause 0x3
	global_load_b128 v[9:12], v[133:134], off
	global_load_b128 v[13:16], v[133:134], off offset:16
	global_load_b128 v[17:20], v[135:136], off
	global_load_b128 v[21:24], v[135:136], off offset:16
	s_waitcnt vmcnt(20)
	v_wmma_f32_16x16x16_f16 v[95:102], v[25:32], v[103:110], v[95:102]
	v_mad_i64_i32 v[103:104], null, s2, s5, v[127:128]
	s_waitcnt vmcnt(18)
	v_wmma_f32_16x16x16_f16 v[119:126], v[57:64], v[111:118], v[119:126]
	s_clause 0x3
	global_load_b128 v[25:28], v[137:138], off
	global_load_b128 v[29:32], v[137:138], off offset:16
	global_load_b128 v[57:60], v[103:104], off
	global_load_b128 v[61:64], v[103:104], off offset:16
	s_waitcnt vmcnt(20)
	v_wmma_f32_16x16x16_f16 v[95:102], v[71:78], v[111:118], v[95:102]
	ds_load_b128 v[71:74], v139 offset:6144
	ds_load_b128 v[75:78], v139 offset:7168
	v_mbcnt_lo_u32_b32 v104, -1, 0
	s_waitcnt vmcnt(0) lgkmcnt(0)
	s_barrier
	buffer_gl0_inv
	v_xor_b32_e32 v105, 16, v104
	s_delay_alu instid0(VALU_DEP_1) | instskip(SKIP_4) | instid1(VALU_DEP_2)
	v_cmp_gt_i32_e32 vcc_lo, 32, v105
	v_cndmask_b32_e32 v104, v104, v105, vcc_lo
	v_wmma_f32_16x16x16_f16 v[119:126], v[79:86], v[71:78], v[119:126]
	v_and_b32_e32 v103, 0xe0, v0
	v_wmma_f32_16x16x16_f16 v[95:102], v[87:94], v[71:78], v[95:102]
	v_dual_mul_f32 v78, s18, v121 :: v_dual_add_nc_u32 v103, s12, v103
	s_delay_alu instid0(VALU_DEP_2) | instskip(SKIP_1) | instid1(VALU_DEP_3)
	v_dual_mul_f32 v90, s18, v101 :: v_dual_mul_f32 v87, s18, v120
	v_dual_mul_f32 v88, s18, v119 :: v_dual_mul_f32 v77, s18, v122
	v_or_b32_e32 v103, v103, v66
	v_dual_mul_f32 v75, s18, v124 :: v_dual_mul_f32 v94, s18, v97
	v_dual_mul_f32 v76, s18, v123 :: v_dual_mul_f32 v73, s18, v126
	v_mul_f32_e32 v92, s18, v99
	s_delay_alu instid0(VALU_DEP_4)
	v_or_b32_e32 v105, 2, v103
	v_or_b32_e32 v106, 4, v103
	;; [unrolled: 1-line block ×3, first 2 shown]
	v_cmp_gt_i32_e64 s2, s17, v103
	v_or_b32_e32 v108, 8, v103
	v_cmp_gt_i32_e32 vcc_lo, s17, v105
	v_or_b32_e32 v109, 10, v103
	v_cmp_gt_i32_e64 s3, s17, v106
	v_cndmask_b32_e64 v88, 0xff7fffff, v88, s2
	v_cmp_gt_i32_e64 s4, s17, v107
	v_cndmask_b32_e32 v87, 0xff7fffff, v87, vcc_lo
	v_or_b32_e32 v79, 12, v103
	v_or_b32_e32 v80, 14, v103
	v_cndmask_b32_e64 v78, 0xff7fffff, v78, s3
	v_cndmask_b32_e64 v77, 0xff7fffff, v77, s4
	v_max3_f32 v87, v88, 0xff7fffff, v87
	v_cmp_gt_i32_e64 s5, s17, v108
	v_cmp_gt_i32_e64 s6, s17, v109
	v_or_b32_e32 v81, 16, v103
	v_or_b32_e32 v82, 18, v103
	v_mul_f32_e32 v74, s18, v125
	v_cndmask_b32_e64 v76, 0xff7fffff, v76, s5
	v_cndmask_b32_e64 v75, 0xff7fffff, v75, s6
	v_max3_f32 v77, v87, v78, v77
	v_cmp_gt_i32_e64 s7, s17, v79
	v_cmp_gt_i32_e64 s8, s17, v80
	v_or_b32_e32 v83, 20, v103
	v_or_b32_e32 v84, 22, v103
	;; [unrolled: 1-line block ×6, first 2 shown]
	v_mul_f32_e32 v105, s18, v96
	v_mul_f32_e32 v103, s18, v95
	v_cndmask_b32_e64 v74, 0xff7fffff, v74, s7
	v_cndmask_b32_e64 v73, 0xff7fffff, v73, s8
	v_max3_f32 v75, v77, v76, v75
	v_cmp_gt_i32_e64 s9, s17, v81
	v_cmp_gt_i32_e64 s10, s17, v82
	v_mul_f32_e32 v93, s18, v98
	v_cmp_gt_i32_e64 s11, s17, v83
	v_max3_f32 v73, v75, v74, v73
	v_cndmask_b32_e64 v76, 0xff7fffff, v103, s9
	v_cndmask_b32_e64 v77, 0xff7fffff, v105, s10
	v_cmp_gt_i32_e64 s12, s17, v84
	v_mul_f32_e32 v91, s18, v100
	v_cndmask_b32_e64 v74, 0xff7fffff, v94, s11
	v_cmp_gt_i32_e64 s13, s17, v85
	v_max3_f32 v73, v73, v76, v77
	v_cndmask_b32_e64 v75, 0xff7fffff, v93, s12
	v_cmp_gt_i32_e64 s15, s17, v86
	v_mul_f32_e32 v89, s18, v102
	v_cndmask_b32_e64 v76, 0xff7fffff, v92, s13
	v_cmp_gt_i32_e64 s16, s17, v71
	v_max3_f32 v73, v73, v74, v75
	v_cndmask_b32_e64 v77, 0xff7fffff, v91, s15
	v_cmp_gt_i32_e64 s17, s17, v72
	v_lshlrev_b32_e32 v74, 2, v104
	v_cndmask_b32_e64 v71, 0xff7fffff, v90, s16
	s_delay_alu instid0(VALU_DEP_4) | instskip(NEXT) | instid1(VALU_DEP_4)
	v_max3_f32 v73, v73, v76, v77
	v_cndmask_b32_e64 v72, 0xff7fffff, v89, s17
	s_delay_alu instid0(VALU_DEP_1) | instskip(SKIP_3) | instid1(VALU_DEP_1)
	v_max3_f32 v71, v73, v71, v72
	ds_bpermute_b32 v72, v74, v71
	s_waitcnt lgkmcnt(0)
	v_max_f32_e32 v72, v72, v72
	v_max_f32_e32 v71, v71, v72
	s_delay_alu instid0(VALU_DEP_1)
	v_fma_f32 v72, s18, v119, -v71
	v_fma_f32 v76, s18, v122, -v71
	;; [unrolled: 1-line block ×5, first 2 shown]
	v_mul_f32_e32 v72, 0x3fb8aa3b, v72
	v_mul_f32_e32 v76, 0x3fb8aa3b, v76
	v_fma_f32 v75, s18, v121, -v71
	v_mul_f32_e32 v79, 0x3fb8aa3b, v77
	v_mul_f32_e32 v85, 0x3fb8aa3b, v84
	v_exp_f32_e32 v72, v72
	v_exp_f32_e32 v76, v76
	v_fma_f32 v86, s18, v98, -v71
	v_exp_f32_e32 v82, v79
	v_exp_f32_e32 v85, v85
	v_fma_f32 v81, s18, v125, -v71
	s_delay_alu instid0(VALU_DEP_2) | instskip(SKIP_3) | instid1(TRANS32_DEP_3)
	v_mul_f32_e32 v87, 0x3fb8aa3b, v86
	v_cndmask_b32_e64 v78, 0, v72, s2
	v_fma_f32 v72, s18, v124, -v71
	v_mul_f32_e32 v73, 0x3fb8aa3b, v73
	v_cndmask_b32_e64 v79, 0, v76, s4
	v_fma_f32 v76, s18, v95, -v71
	s_delay_alu instid0(VALU_DEP_4) | instskip(NEXT) | instid1(VALU_DEP_4)
	v_dual_mul_f32 v75, 0x3fb8aa3b, v75 :: v_dual_mul_f32 v72, 0x3fb8aa3b, v72
	v_exp_f32_e32 v73, v73
	v_exp_f32_e32 v87, v87
	s_delay_alu instid0(VALU_DEP_2) | instskip(NEXT) | instid1(VALU_DEP_2)
	v_mul_f32_e32 v76, 0x3fb8aa3b, v76
	v_exp_f32_e32 v75, v75
	v_cndmask_b32_e64 v85, 0, v85, s10
	v_mul_f32_e32 v81, 0x3fb8aa3b, v81
	v_exp_f32_e32 v72, v72
	v_cndmask_b32_e64 v82, 0, v82, s5
	v_exp_f32_e32 v76, v76
	s_mov_b32 s2, exec_lo
	v_cndmask_b32_e32 v77, 0, v73, vcc_lo
	v_add_f32_e32 v73, 0, v78
	v_cndmask_b32_e64 v87, 0, v87, s12
	v_cndmask_b32_e64 v80, 0, v75, s3
	v_fma_f32 v75, s18, v126, -v71
	v_exp_f32_e32 v83, v81
	v_add_f32_e32 v73, v73, v77
	v_cndmask_b32_e64 v81, 0, v72, s6
	v_cndmask_b32_e64 v86, 0, v76, s9
	v_mul_f32_e32 v75, 0x3fb8aa3b, v75
	s_delay_alu instid0(VALU_DEP_4) | instskip(NEXT) | instid1(VALU_DEP_2)
	v_add_f32_e32 v73, v73, v80
	v_exp_f32_e32 v75, v75
	s_delay_alu instid0(TRANS32_DEP_2) | instskip(NEXT) | instid1(VALU_DEP_2)
	v_cndmask_b32_e64 v84, 0, v83, s7
	v_add_f32_e32 v73, v73, v79
	s_delay_alu instid0(VALU_DEP_1) | instskip(SKIP_3) | instid1(VALU_DEP_1)
	v_add_f32_e32 v72, v73, v82
	s_waitcnt_depctr 0xfff
	v_cndmask_b32_e64 v83, 0, v75, s8
	v_add_f32_e32 v72, v72, v81
	v_add_f32_e32 v72, v72, v84
	s_delay_alu instid0(VALU_DEP_1) | instskip(NEXT) | instid1(VALU_DEP_1)
	v_add_f32_e32 v72, v72, v83
	v_add_f32_e32 v72, v72, v86
	v_fma_f32 v73, s18, v97, -v71
	v_fma_f32 v75, s18, v99, -v71
	;; [unrolled: 1-line block ×4, first 2 shown]
	v_add_f32_e32 v72, v72, v85
	v_mul_f32_e32 v73, 0x3fb8aa3b, v73
	s_delay_alu instid0(VALU_DEP_4) | instskip(NEXT) | instid1(VALU_DEP_2)
	v_dual_mul_f32 v75, 0x3fb8aa3b, v75 :: v_dual_mul_f32 v76, 0x3fb8aa3b, v76
	v_exp_f32_e32 v73, v73
	s_delay_alu instid0(VALU_DEP_1) | instskip(NEXT) | instid1(VALU_DEP_1)
	v_exp_f32_e32 v75, v75
	v_exp_f32_e32 v76, v76
	s_delay_alu instid0(TRANS32_DEP_3)
	v_cndmask_b32_e64 v88, 0, v73, s11
	v_mul_f32_e32 v73, 0x3fb8aa3b, v89
	v_fma_f32 v89, s18, v102, -v71
	s_waitcnt_depctr 0xfff
	v_cndmask_b32_e64 v90, 0, v75, s13
	v_add_f32_e32 v72, v72, v88
	v_exp_f32_e32 v73, v73
	v_mul_f32_e32 v75, 0x3fb8aa3b, v89
	v_cndmask_b32_e64 v89, 0, v76, s15
	s_delay_alu instid0(VALU_DEP_3) | instskip(NEXT) | instid1(VALU_DEP_3)
	v_add_f32_e32 v72, v72, v87
	v_exp_f32_e32 v75, v75
	s_delay_alu instid0(VALU_DEP_1) | instskip(SKIP_4) | instid1(VALU_DEP_2)
	v_add_f32_e32 v72, v72, v90
	s_waitcnt_depctr 0xfff
	v_cndmask_b32_e64 v92, 0, v73, s16
	v_add_f32_e32 v72, v72, v89
	v_cndmask_b32_e64 v91, 0, v75, s17
	v_add_f32_e32 v72, v72, v92
	s_delay_alu instid0(VALU_DEP_1)
	v_add_f32_e32 v72, v72, v91
	ds_bpermute_b32 v73, v74, v72
	v_cmpx_gt_u32_e32 16, v70
	s_cbranch_execz .LBB1049_12
; %bb.11:
	v_mul_u32_u24_e32 v70, 0x44, v68
	s_waitcnt lgkmcnt(0)
	v_add_f32_e32 v72, v72, v73
	s_delay_alu instid0(VALU_DEP_2) | instskip(NEXT) | instid1(VALU_DEP_1)
	v_lshl_add_u32 v70, v69, 2, v70
	v_add_nc_u32_e32 v70, 0x4000, v70
	ds_store_2addr_b32 v70, v71, v72 offset1:136
.LBB1049_12:
	s_or_b32 exec_lo, exec_lo, s2
	v_lshlrev_b32_e32 v70, 2, v69
	s_load_b32 s34, s[0:1], 0x94
	s_waitcnt lgkmcnt(0)
	s_barrier
	buffer_gl0_inv
	v_add_nc_u32_e32 v74, 0x4000, v70
	v_cmp_eq_u32_e32 vcc_lo, 1, v68
	v_cmp_eq_u32_e64 s2, 2, v68
	v_cmp_eq_u32_e64 s3, 3, v68
	v_cmp_eq_u32_e64 s4, 4, v68
	ds_load_2addr_b32 v[70:71], v74 offset1:17
	ds_load_2addr_b32 v[72:73], v74 offset0:34 offset1:51
	ds_load_2addr_b32 v[93:94], v74 offset0:68 offset1:85
	;; [unrolled: 1-line block ×3, first 2 shown]
	v_cmp_eq_u32_e64 s5, 5, v68
	v_cmp_eq_u32_e64 s6, 7, v68
	s_waitcnt lgkmcnt(3)
	v_max3_f32 v75, v70, 0xff7fffff, v71
	s_waitcnt lgkmcnt(2)
	s_delay_alu instid0(VALU_DEP_1) | instskip(SKIP_1) | instid1(VALU_DEP_1)
	v_max3_f32 v75, v75, v72, v73
	s_waitcnt lgkmcnt(1)
	v_max3_f32 v75, v75, v93, v94
	s_waitcnt lgkmcnt(0)
	s_delay_alu instid0(VALU_DEP_1) | instskip(NEXT) | instid1(VALU_DEP_1)
	v_max3_f32 v75, v75, v95, v96
	v_sub_f32_e32 v93, v93, v75
	ds_load_2addr_b32 v[97:98], v74 offset0:136 offset1:153
	v_sub_f32_e32 v70, v70, v75
	v_dual_sub_f32 v100, v73, v75 :: v_dual_mul_f32 v103, 0x3fb8aa3b, v93
	s_delay_alu instid0(VALU_DEP_2) | instskip(SKIP_3) | instid1(VALU_DEP_1)
	v_dual_sub_f32 v76, v71, v75 :: v_dual_mul_f32 v99, 0x3fb8aa3b, v70
	ds_load_2addr_b32 v[70:71], v74 offset0:170 offset1:187
	v_mul_f32_e32 v76, 0x3fb8aa3b, v76
	v_exp_f32_e32 v99, v99
	v_exp_f32_e32 v102, v76
	v_mul_f32_e32 v100, 0x3fb8aa3b, v100
	s_waitcnt lgkmcnt(1)
	s_waitcnt_depctr 0xfff
	v_fma_f32 v76, v99, v97, 0
	v_sub_f32_e32 v97, v94, v75
	v_sub_f32_e32 v72, v72, v75
	v_exp_f32_e32 v100, v100
	ds_load_2addr_b32 v[93:94], v74 offset0:238 offset1:255
	v_dual_fmac_f32 v76, v102, v98 :: v_dual_mul_f32 v101, 0x3fb8aa3b, v72
	ds_load_2addr_b32 v[72:73], v74 offset0:204 offset1:221
	v_dual_sub_f32 v74, v95, v75 :: v_dual_mul_f32 v95, 0x3fb8aa3b, v97
	v_exp_f32_e32 v97, v103
	v_exp_f32_e32 v101, v101
	s_waitcnt lgkmcnt(0)
	s_barrier
	v_exp_f32_e32 v95, v95
	buffer_gl0_inv
	v_fmac_f32_e32 v76, v101, v70
	v_sub_f32_e32 v70, v96, v75
	s_delay_alu instid0(VALU_DEP_2) | instskip(NEXT) | instid1(VALU_DEP_2)
	v_fmac_f32_e32 v76, v100, v71
	v_mul_f32_e32 v70, 0x3fb8aa3b, v70
	s_delay_alu instid0(VALU_DEP_2)
	v_dual_cndmask_b32 v71, v99, v102 :: v_dual_fmac_f32 v76, v97, v72
	v_lshlrev_b32_e32 v72, 6, v69
	v_lshlrev_b32_e32 v69, 2, v66
	v_mul_f32_e32 v74, 0x3fb8aa3b, v74
	v_exp_f32_e32 v98, v70
	v_fmac_f32_e32 v76, v95, v73
	s_delay_alu instid0(VALU_DEP_3) | instskip(NEXT) | instid1(VALU_DEP_3)
	v_cmp_eq_u32_e64 s7, 7, v69
	v_exp_f32_e32 v96, v74
	v_lshl_or_b32 v74, v68, 11, v72
	s_waitcnt_depctr 0xfff
	v_fmac_f32_e32 v76, v96, v93
	s_delay_alu instid0(VALU_DEP_1) | instskip(NEXT) | instid1(VALU_DEP_1)
	v_fmac_f32_e32 v76, v98, v94
	v_add_f32_e32 v73, 0x358637bd, v76
	s_delay_alu instid0(VALU_DEP_1) | instskip(SKIP_1) | instid1(VALU_DEP_2)
	v_div_scale_f32 v93, null, v73, v73, 1.0
	v_div_scale_f32 v99, vcc_lo, 1.0, v73, 1.0
	v_rcp_f32_e32 v94, v93
	s_waitcnt_depctr 0xfff
	v_fma_f32 v70, -v93, v94, 1.0
	s_delay_alu instid0(VALU_DEP_1)
	v_fmac_f32_e32 v94, v70, v94
	v_cndmask_b32_e64 v70, v71, v101, s2
	v_cmp_eq_u32_e64 s2, 6, v68
	v_or_b32_e32 v71, 1, v69
	v_or_b32_e32 v68, 2, v69
	v_mul_f32_e32 v101, v99, v94
	v_cndmask_b32_e64 v70, v70, v100, s3
	v_cmp_eq_u32_e64 s3, 1, v69
	v_cmp_eq_u32_e64 s8, 1, v71
	;; [unrolled: 1-line block ×3, first 2 shown]
	v_fma_f32 v100, -v93, v101, v99
	v_cndmask_b32_e64 v70, v70, v97, s4
	v_cmp_eq_u32_e64 s4, 2, v69
	v_cmp_eq_u32_e64 s11, 2, v71
	v_cmp_eq_u32_e64 s13, 2, v68
	v_fmac_f32_e32 v101, v100, v94
	v_cndmask_b32_e64 v95, v70, v95, s5
	v_or_b32_e32 v70, 3, v69
	v_cmp_eq_u32_e64 s12, 3, v71
	v_cmp_eq_u32_e64 s16, 3, v68
	v_fma_f32 v93, -v93, v101, v99
	v_cndmask_b32_e64 v95, v95, v96, s2
	v_cmp_eq_u32_e64 s10, 1, v70
	v_cmp_eq_u32_e64 s15, 2, v70
	;; [unrolled: 1-line block ×3, first 2 shown]
	v_div_fmas_f32 v93, v93, v94, v101
	v_cndmask_b32_e64 v94, v95, v98, s6
	v_cmp_eq_u32_e32 vcc_lo, 3, v69
	v_cmp_eq_u32_e64 s2, 4, v69
	v_cmp_eq_u32_e64 s18, 4, v71
	v_div_fixup_f32 v93, v93, v73, 1.0
	v_lshl_or_b32 v73, v66, 4, v74
	v_cmp_eq_u32_e64 s21, 4, v70
	v_cmp_eq_u32_e64 s5, 5, v69
	;; [unrolled: 1-line block ×3, first 2 shown]
	v_mul_f32_e32 v101, v94, v93
	v_cmp_eq_u32_e64 s20, 4, v68
	v_cmp_eq_u32_e64 s23, 5, v70
	;; [unrolled: 1-line block ×4, first 2 shown]
	v_fma_mixlo_f16 v93, v101, v78, 0
	v_fma_mixlo_f16 v94, v101, v80, 0
	;; [unrolled: 1-line block ×8, first 2 shown]
	v_fma_mixhi_f16 v93, v101, v77, 0
	v_fma_mixhi_f16 v94, v101, v79, 0
	;; [unrolled: 1-line block ×8, first 2 shown]
	ds_store_b128 v73, v[93:96]
	ds_store_b128 v73, v[97:100] offset:1024
	s_waitcnt lgkmcnt(0)
	s_barrier
	buffer_gl0_inv
	ds_load_b128 v[77:80], v74
	ds_load_b128 v[81:84], v74 offset:16
	ds_load_b128 v[85:88], v74 offset:1024
	;; [unrolled: 1-line block ×3, first 2 shown]
	v_cmp_eq_u32_e64 s26, 6, v70
	v_cmp_eq_u32_e64 s6, 6, v69
	;; [unrolled: 1-line block ×6, first 2 shown]
	s_waitcnt lgkmcnt(3)
	v_lshrrev_b32_e32 v93, 16, v77
	s_waitcnt lgkmcnt(2)
	v_lshrrev_b32_e32 v97, 16, v81
	;; [unrolled: 2-line block ×4, first 2 shown]
	v_lshrrev_b32_e32 v94, 16, v78
	v_cndmask_b32_e64 v109, v77, v93, s3
	v_cndmask_b32_e64 v110, v81, v97, s3
	;; [unrolled: 1-line block ×8, first 2 shown]
	v_lshrrev_b32_e32 v98, 16, v82
	v_cndmask_b32_e64 v93, v85, v101, s3
	v_cndmask_b32_e64 v97, v89, v105, s3
	;; [unrolled: 1-line block ×15, first 2 shown]
	v_lshrrev_b32_e32 v102, 16, v86
	v_lshrrev_b32_e32 v106, 16, v90
	v_cndmask_b32_e64 v112, v114, v82, s13
	v_cndmask_b32_e64 v81, v93, v86, s4
	v_cndmask_b32_e64 v82, v97, v90, s4
	v_cndmask_b32_e64 v93, v115, v86, s11
	v_cndmask_b32_e64 v97, v117, v86, s13
	v_cndmask_b32_e64 v85, v85, v86, s15
	v_cndmask_b32_e64 v86, v89, v90, s15
	v_cndmask_b32_e32 v89, v101, v94, vcc_lo
	v_cndmask_b32_e32 v101, v105, v98, vcc_lo
	v_cndmask_b32_e64 v105, v109, v94, s12
	v_cndmask_b32_e64 v109, v110, v98, s12
	;; [unrolled: 1-line block ×4, first 2 shown]
	v_lshrrev_b32_e32 v95, 16, v79
	v_lshrrev_b32_e32 v99, 16, v83
	v_cndmask_b32_e64 v110, v111, v94, s16
	v_cndmask_b32_e64 v111, v112, v98, s16
	v_cndmask_b32_e32 v81, v81, v102, vcc_lo
	v_cndmask_b32_e32 v82, v82, v106, vcc_lo
	v_cndmask_b32_e64 v93, v93, v102, s12
	v_cndmask_b32_e64 v89, v89, v79, s2
	;; [unrolled: 1-line block ×7, first 2 shown]
	v_lshrrev_b32_e32 v103, 16, v87
	v_cndmask_b32_e64 v105, v110, v79, s20
	v_cndmask_b32_e64 v109, v111, v83, s20
	;; [unrolled: 1-line block ×11, first 2 shown]
	v_lshrrev_b32_e32 v96, 16, v80
	v_lshrrev_b32_e32 v100, 16, v84
	v_cndmask_b32_e64 v98, v105, v95, s22
	v_cndmask_b32_e64 v101, v109, v99, s22
	v_cndmask_b32_e64 v82, v82, v103, s19
	v_cndmask_b32_e64 v93, v93, v80, s24
	v_cndmask_b32_e64 v94, v94, v84, s24
	v_cndmask_b32_e64 v77, v77, v80, s26
	v_cndmask_b32_e64 v78, v78, v84, s26
	v_lshrrev_b32_e32 v104, 16, v88
	v_cndmask_b32_e64 v79, v79, v103, s5
	v_cndmask_b32_e64 v83, v83, v80, s6
	;; [unrolled: 1-line block ×16, first 2 shown]
	v_perm_b32 v80, v78, v77, 0x5040100
	v_perm_b32 v78, v94, v84, 0x5040100
	v_cndmask_b32_e64 v77, v118, v90, s13
	v_cndmask_b32_e64 v84, v116, v90, s11
	;; [unrolled: 1-line block ×3, first 2 shown]
	v_perm_b32 v79, v93, v89, 0x5040100
	v_cndmask_b32_e64 v89, v97, v102, s16
	v_cndmask_b32_e64 v85, v85, v102, s17
	;; [unrolled: 1-line block ×5, first 2 shown]
	v_lshrrev_b32_e32 v107, 16, v91
	v_cndmask_b32_e64 v89, v89, v87, s20
	v_cndmask_b32_e64 v85, v85, v87, s21
	;; [unrolled: 1-line block ×11, first 2 shown]
	v_lshrrev_b32_e32 v108, 16, v92
	v_cndmask_b32_e64 v81, v81, v92, s6
	v_cndmask_b32_e64 v87, v87, v88, s25
	;; [unrolled: 1-line block ×12, first 2 shown]
	v_perm_b32 v77, v83, v82, 0x5040100
	v_perm_b32 v84, v86, v85, 0x5040100
	;; [unrolled: 1-line block ×5, first 2 shown]
	s_lshl_b32 s7, s33, 2
	s_mov_b32 s2, exec_lo
	ds_store_b128 v73, v[77:80]
	ds_store_b128 v73, v[81:84] offset:1024
	v_cmpx_gt_u32_e32 4, v0
	s_cbranch_execz .LBB1049_14
; %bb.13:
	v_or_b32_e32 v77, s31, v0
	s_load_b128 s[8:11], s[0:1], 0x58
	s_delay_alu instid0(VALU_DEP_1) | instskip(NEXT) | instid1(VALU_DEP_1)
	v_mad_u64_u32 v[78:79], null, s7, s30, v[77:78]
	v_mad_u64_u32 v[79:80], null, v78, s34, s[14:15]
	s_delay_alu instid0(VALU_DEP_1) | instskip(NEXT) | instid1(VALU_DEP_1)
	v_ashrrev_i32_e32 v80, 31, v79
	v_lshlrev_b64 v[77:78], 2, v[79:80]
	s_waitcnt lgkmcnt(0)
	s_delay_alu instid0(VALU_DEP_1) | instskip(NEXT) | instid1(VALU_DEP_2)
	v_add_co_u32 v79, vcc_lo, s10, v77
	v_add_co_ci_u32_e32 v80, vcc_lo, s11, v78, vcc_lo
	v_add_co_u32 v77, vcc_lo, s8, v77
	v_add_co_ci_u32_e32 v78, vcc_lo, s9, v78, vcc_lo
	global_store_b32 v[79:80], v75, off
	global_store_b32 v[77:78], v76, off
.LBB1049_14:
	s_or_b32 exec_lo, exec_lo, s2
	s_waitcnt lgkmcnt(0)
	s_waitcnt_vscnt null, 0x0
	s_barrier
	buffer_gl0_inv
	ds_load_b128 v[83:86], v72
	ds_load_b128 v[87:90], v72 offset:16
	ds_load_b128 v[95:98], v72 offset:2064
	;; [unrolled: 1-line block ×5, first 2 shown]
	v_cmp_eq_u32_e32 vcc_lo, 1, v69
	v_mov_b32_e32 v75, 0
	ds_load_b128 v[111:114], v72 offset:6160
	ds_load_b128 v[107:110], v72 offset:6144
	;; [unrolled: 1-line block ×4, first 2 shown]
	v_cmp_eq_u32_e64 s3, 1, v68
	v_cmp_eq_u32_e64 s2, 1, v71
	;; [unrolled: 1-line block ×3, first 2 shown]
	v_mov_b32_e32 v76, v75
	v_mov_b32_e32 v77, v75
	;; [unrolled: 1-line block ×7, first 2 shown]
	v_cmp_eq_u32_e64 s5, 3, v71
	v_cmp_eq_u32_e64 s6, 7, v71
	s_waitcnt lgkmcnt(8)
	s_delay_alu instid0(VALU_DEP_3)
	v_wmma_f32_16x16x16_f16 v[75:82], v[49:56], v[83:90], v[75:82]
	ds_load_b128 v[53:56], v72 offset:10256
	ds_load_b128 v[49:52], v72 offset:10240
	s_waitcnt lgkmcnt(8)
	v_wmma_f32_16x16x16_f16 v[75:82], v[41:48], v[91:98], v[75:82]
	ds_load_b128 v[45:48], v72 offset:12304
	ds_load_b128 v[41:44], v72 offset:12288
	s_waitcnt lgkmcnt(8)
	;; [unrolled: 4-line block ×3, first 2 shown]
	s_barrier
	buffer_gl0_inv
	v_wmma_f32_16x16x16_f16 v[75:82], v[1:8], v[107:114], v[75:82]
	s_delay_alu instid0(VALU_DEP_1) | instskip(NEXT) | instid1(VALU_DEP_1)
	v_wmma_f32_16x16x16_f16 v[75:82], v[9:16], v[115:122], v[75:82]
	v_wmma_f32_16x16x16_f16 v[75:82], v[17:24], v[49:56], v[75:82]
	s_delay_alu instid0(VALU_DEP_1) | instskip(NEXT) | instid1(VALU_DEP_1)
	v_wmma_f32_16x16x16_f16 v[75:82], v[25:32], v[41:48], v[75:82]
	v_wmma_f32_16x16x16_f16 v[75:82], v[57:64], v[33:40], v[75:82]
	s_delay_alu instid0(VALU_DEP_1) | instskip(NEXT) | instid1(VALU_DEP_2)
	v_cvt_f16_f32_e32 v1, v75
	v_cvt_f16_f32_e32 v2, v76
	s_delay_alu instid0(VALU_DEP_3) | instskip(NEXT) | instid1(VALU_DEP_4)
	v_cvt_f16_f32_e32 v3, v77
	v_cvt_f16_f32_e32 v4, v78
	;; [unrolled: 1-line block ×6, first 2 shown]
	v_pack_b32_f16 v1, v1, v2
	v_pack_b32_f16 v2, v3, v4
	;; [unrolled: 1-line block ×3, first 2 shown]
	s_delay_alu instid0(VALU_DEP_4)
	v_pack_b32_f16 v4, v7, v8
	ds_store_b128 v73, v[1:4]
	s_waitcnt lgkmcnt(0)
	s_barrier
	buffer_gl0_inv
	ds_load_b128 v[1:4], v74
	ds_load_b128 v[5:8], v74 offset:16
	s_waitcnt lgkmcnt(1)
	v_lshrrev_b32_e32 v9, 16, v1
	s_waitcnt lgkmcnt(0)
	v_lshrrev_b32_e32 v13, 16, v5
	v_lshrrev_b32_e32 v10, 16, v2
	;; [unrolled: 1-line block ×4, first 2 shown]
	v_cndmask_b32_e32 v17, v1, v9, vcc_lo
	v_cndmask_b32_e32 v18, v5, v13, vcc_lo
	v_cndmask_b32_e64 v21, v1, v9, s3
	v_cmp_eq_u32_e32 vcc_lo, 1, v70
	v_cndmask_b32_e64 v22, v5, v13, s3
	v_cmp_eq_u32_e64 s3, 2, v69
	v_cndmask_b32_e64 v19, v1, v9, s2
	v_cndmask_b32_e64 v20, v5, v13, s2
	v_cndmask_b32_e32 v1, v1, v9, vcc_lo
	v_cmp_eq_u32_e64 s2, 2, v70
	v_cndmask_b32_e32 v5, v5, v13, vcc_lo
	v_cndmask_b32_e64 v9, v17, v2, s3
	v_cmp_eq_u32_e32 vcc_lo, 3, v69
	v_cndmask_b32_e64 v13, v18, v6, s3
	v_cmp_eq_u32_e64 s3, 2, v68
	v_cndmask_b32_e64 v17, v19, v2, s4
	v_cndmask_b32_e64 v18, v20, v6, s4
	v_cmp_eq_u32_e64 s4, 3, v68
	v_cndmask_b32_e64 v1, v1, v2, s2
	v_cndmask_b32_e64 v19, v21, v2, s3
	;; [unrolled: 1-line block ×4, first 2 shown]
	v_cndmask_b32_e32 v5, v9, v10, vcc_lo
	v_cndmask_b32_e32 v6, v13, v14, vcc_lo
	v_cmp_eq_u32_e32 vcc_lo, 3, v70
	v_cndmask_b32_e64 v9, v17, v10, s5
	v_cndmask_b32_e64 v13, v18, v14, s5
	;; [unrolled: 1-line block ×3, first 2 shown]
	v_cmp_eq_u32_e64 s3, 4, v69
	v_cndmask_b32_e32 v1, v1, v10, vcc_lo
	v_cndmask_b32_e32 v2, v2, v14, vcc_lo
	v_cmp_eq_u32_e32 vcc_lo, 4, v71
	v_lshrrev_b32_e32 v15, 16, v7
	v_lshrrev_b32_e32 v16, 16, v8
	v_cndmask_b32_e64 v17, v19, v10, s4
	v_cmp_eq_u32_e64 s2, 4, v70
	v_cndmask_b32_e64 v5, v5, v3, s3
	v_cndmask_b32_e64 v6, v6, v7, s3
	v_cndmask_b32_e32 v9, v9, v3, vcc_lo
	v_cmp_eq_u32_e64 s3, 5, v71
	v_cndmask_b32_e32 v10, v13, v7, vcc_lo
	v_cmp_eq_u32_e32 vcc_lo, 4, v68
	v_cmp_eq_u32_e64 s4, 5, v69
	v_cndmask_b32_e64 v2, v2, v7, s2
	v_cndmask_b32_e64 v9, v9, v11, s3
	;; [unrolled: 1-line block ×3, first 2 shown]
	v_cndmask_b32_e32 v13, v17, v3, vcc_lo
	v_cmp_eq_u32_e64 s3, 5, v68
	v_cndmask_b32_e32 v14, v18, v7, vcc_lo
	v_cndmask_b32_e64 v1, v1, v3, s2
	v_cmp_eq_u32_e32 vcc_lo, 5, v70
	v_lshrrev_b32_e32 v12, 16, v4
	v_cndmask_b32_e64 v13, v13, v11, s3
	v_cndmask_b32_e64 v3, v14, v15, s3
	v_cmp_eq_u32_e64 s3, 6, v70
	v_cndmask_b32_e32 v1, v1, v11, vcc_lo
	v_cndmask_b32_e64 v5, v5, v11, s4
	v_cmp_eq_u32_e64 s5, 6, v69
	v_cndmask_b32_e64 v6, v6, v15, s4
	v_cmp_eq_u32_e64 s4, 6, v71
	v_cmp_eq_u32_e64 s2, 6, v68
	v_cndmask_b32_e64 v1, v1, v4, s3
	v_cndmask_b32_e32 v2, v2, v15, vcc_lo
	v_cmp_eq_u32_e32 vcc_lo, 7, v70
	v_cndmask_b32_e64 v5, v5, v4, s5
	v_cndmask_b32_e64 v9, v9, v4, s4
	;; [unrolled: 1-line block ×3, first 2 shown]
	v_cmp_eq_u32_e64 s5, 7, v69
	v_cndmask_b32_e32 v1, v1, v12, vcc_lo
	v_cndmask_b32_e64 v7, v13, v4, s2
	v_cndmask_b32_e64 v3, v3, v8, s2
	;; [unrolled: 1-line block ×3, first 2 shown]
	v_cmp_eq_u32_e64 s2, 7, v68
	v_cndmask_b32_e64 v4, v10, v8, s4
	v_cndmask_b32_e64 v5, v5, v12, s5
	;; [unrolled: 1-line block ×3, first 2 shown]
	v_cndmask_b32_e32 v2, v2, v16, vcc_lo
	v_cndmask_b32_e64 v7, v7, v12, s2
	v_cndmask_b32_e64 v3, v3, v16, s2
	;; [unrolled: 1-line block ×4, first 2 shown]
	v_perm_b32 v4, v2, v1, 0x5040100
	s_mov_b32 s2, exec_lo
	v_perm_b32 v3, v3, v7, 0x5040100
	v_perm_b32 v2, v8, v9, 0x5040100
	;; [unrolled: 1-line block ×3, first 2 shown]
	ds_store_b128 v73, v[1:4]
	s_waitcnt lgkmcnt(0)
	s_barrier
	buffer_gl0_inv
	v_cmpx_gt_u32_e32 32, v0
	s_cbranch_execz .LBB1049_2
; %bb.15:
	s_load_b64 s[0:1], s[0:1], 0x68
	v_lshlrev_b32_e32 v0, 10, v0
	v_or_b32_e32 v1, s31, v66
	s_lshl_b32 s4, s34, 7
	v_lshlrev_b32_e32 v2, 4, v67
	s_mul_i32 s2, s4, s30
	v_lshlrev_b32_e32 v3, 6, v66
	v_mul_lo_u32 v8, v1, s4
	v_and_b32_e32 v0, 0x3800, v0
	v_or_b32_e32 v1, 2, v1
	s_mul_i32 s2, s2, s7
	s_delay_alu instid0(SALU_CYCLE_1) | instskip(NEXT) | instid1(VALU_DEP_2)
	s_ashr_i32 s3, s2, 31
	v_or3_b32 v4, v0, v2, v3
	s_lshl_b64 s[2:3], s[2:3], 1
	v_mul_lo_u32 v10, v1, s4
	v_ashrrev_i32_e32 v9, 31, v8
	ds_load_b128 v[0:3], v4
	ds_load_b128 v[4:7], v4 offset:128
	s_waitcnt lgkmcnt(0)
	s_add_u32 s2, s0, s2
	s_addc_u32 s3, s1, s3
	s_lshl_b32 s0, s14, 7
	v_ashrrev_i32_e32 v11, 31, v10
	s_ashr_i32 s1, s0, 31
	v_lshlrev_b64 v[8:9], 1, v[8:9]
	s_lshl_b64 s[0:1], s[0:1], 1
	s_delay_alu instid0(SALU_CYCLE_1) | instskip(SKIP_2) | instid1(VALU_DEP_1)
	s_add_u32 s0, s2, s0
	s_addc_u32 s1, s3, s1
	v_add_co_u32 v12, s0, s0, v65
	v_add_co_ci_u32_e64 v13, null, s1, 0, s0
	v_lshlrev_b64 v[10:11], 1, v[10:11]
	s_delay_alu instid0(VALU_DEP_3) | instskip(NEXT) | instid1(VALU_DEP_3)
	v_add_co_u32 v8, vcc_lo, v12, v8
	v_add_co_ci_u32_e32 v9, vcc_lo, v13, v9, vcc_lo
	s_delay_alu instid0(VALU_DEP_3) | instskip(NEXT) | instid1(VALU_DEP_4)
	v_add_co_u32 v10, vcc_lo, v12, v10
	v_add_co_ci_u32_e32 v11, vcc_lo, v13, v11, vcc_lo
	s_clause 0x1
	global_store_b128 v[8:9], v[0:3], off
	global_store_b128 v[10:11], v[4:7], off
	s_nop 0
	s_sendmsg sendmsg(MSG_DEALLOC_VGPRS)
	s_endpgm
	.section	.rodata,"a",@progbits
	.p2align	6, 0x0
	.amdhsa_kernel _Z39paged_attention_ll4mi_QKV_mfma16_kernelIDF16_hLN4vllm18Fp8KVCacheDataTypeE1EhLi32ELi128ELi256ELb0ELi4EL8MFMAType1EEvPKT_PKT0_S8_ifPKiSA_SA_iPKfiiiPfSD_PS3_PT2_iSC_SC_
		.amdhsa_group_segment_fixed_size 17472
		.amdhsa_private_segment_fixed_size 0
		.amdhsa_kernarg_size 400
		.amdhsa_user_sgpr_count 13
		.amdhsa_user_sgpr_dispatch_ptr 0
		.amdhsa_user_sgpr_queue_ptr 0
		.amdhsa_user_sgpr_kernarg_segment_ptr 1
		.amdhsa_user_sgpr_dispatch_id 0
		.amdhsa_user_sgpr_private_segment_size 0
		.amdhsa_wavefront_size32 1
		.amdhsa_uses_dynamic_stack 0
		.amdhsa_enable_private_segment 0
		.amdhsa_system_sgpr_workgroup_id_x 1
		.amdhsa_system_sgpr_workgroup_id_y 1
		.amdhsa_system_sgpr_workgroup_id_z 1
		.amdhsa_system_sgpr_workgroup_info 0
		.amdhsa_system_vgpr_workitem_id 0
		.amdhsa_next_free_vgpr 140
		.amdhsa_next_free_sgpr 36
		.amdhsa_reserve_vcc 1
		.amdhsa_float_round_mode_32 0
		.amdhsa_float_round_mode_16_64 0
		.amdhsa_float_denorm_mode_32 3
		.amdhsa_float_denorm_mode_16_64 3
		.amdhsa_dx10_clamp 1
		.amdhsa_ieee_mode 1
		.amdhsa_fp16_overflow 0
		.amdhsa_workgroup_processor_mode 1
		.amdhsa_memory_ordered 1
		.amdhsa_forward_progress 0
		.amdhsa_shared_vgpr_count 0
		.amdhsa_exception_fp_ieee_invalid_op 0
		.amdhsa_exception_fp_denorm_src 0
		.amdhsa_exception_fp_ieee_div_zero 0
		.amdhsa_exception_fp_ieee_overflow 0
		.amdhsa_exception_fp_ieee_underflow 0
		.amdhsa_exception_fp_ieee_inexact 0
		.amdhsa_exception_int_div_zero 0
	.end_amdhsa_kernel
	.section	.text._Z39paged_attention_ll4mi_QKV_mfma16_kernelIDF16_hLN4vllm18Fp8KVCacheDataTypeE1EhLi32ELi128ELi256ELb0ELi4EL8MFMAType1EEvPKT_PKT0_S8_ifPKiSA_SA_iPKfiiiPfSD_PS3_PT2_iSC_SC_,"axG",@progbits,_Z39paged_attention_ll4mi_QKV_mfma16_kernelIDF16_hLN4vllm18Fp8KVCacheDataTypeE1EhLi32ELi128ELi256ELb0ELi4EL8MFMAType1EEvPKT_PKT0_S8_ifPKiSA_SA_iPKfiiiPfSD_PS3_PT2_iSC_SC_,comdat
.Lfunc_end1049:
	.size	_Z39paged_attention_ll4mi_QKV_mfma16_kernelIDF16_hLN4vllm18Fp8KVCacheDataTypeE1EhLi32ELi128ELi256ELb0ELi4EL8MFMAType1EEvPKT_PKT0_S8_ifPKiSA_SA_iPKfiiiPfSD_PS3_PT2_iSC_SC_, .Lfunc_end1049-_Z39paged_attention_ll4mi_QKV_mfma16_kernelIDF16_hLN4vllm18Fp8KVCacheDataTypeE1EhLi32ELi128ELi256ELb0ELi4EL8MFMAType1EEvPKT_PKT0_S8_ifPKiSA_SA_iPKfiiiPfSD_PS3_PT2_iSC_SC_
                                        ; -- End function
	.section	.AMDGPU.csdata,"",@progbits
; Kernel info:
; codeLenInByte = 6504
; NumSgprs: 38
; NumVgprs: 140
; ScratchSize: 0
; MemoryBound: 0
; FloatMode: 240
; IeeeMode: 1
; LDSByteSize: 17472 bytes/workgroup (compile time only)
; SGPRBlocks: 4
; VGPRBlocks: 17
; NumSGPRsForWavesPerEU: 38
; NumVGPRsForWavesPerEU: 140
; Occupancy: 10
; WaveLimiterHint : 1
; COMPUTE_PGM_RSRC2:SCRATCH_EN: 0
; COMPUTE_PGM_RSRC2:USER_SGPR: 13
; COMPUTE_PGM_RSRC2:TRAP_HANDLER: 0
; COMPUTE_PGM_RSRC2:TGID_X_EN: 1
; COMPUTE_PGM_RSRC2:TGID_Y_EN: 1
; COMPUTE_PGM_RSRC2:TGID_Z_EN: 1
; COMPUTE_PGM_RSRC2:TIDIG_COMP_CNT: 0
	.section	.text._Z38paged_attention_ll4mi_QKV_mfma4_kernelIDF16_hLN4vllm18Fp8KVCacheDataTypeE1EDF16_Li32ELi128ELi256ELb1ELi1EEvPKT_PKT0_S7_ifPKiS9_S9_iPKfiiiPfSC_PS2_PT2_iSB_SB_,"axG",@progbits,_Z38paged_attention_ll4mi_QKV_mfma4_kernelIDF16_hLN4vllm18Fp8KVCacheDataTypeE1EDF16_Li32ELi128ELi256ELb1ELi1EEvPKT_PKT0_S7_ifPKiS9_S9_iPKfiiiPfSC_PS2_PT2_iSB_SB_,comdat
	.protected	_Z38paged_attention_ll4mi_QKV_mfma4_kernelIDF16_hLN4vllm18Fp8KVCacheDataTypeE1EDF16_Li32ELi128ELi256ELb1ELi1EEvPKT_PKT0_S7_ifPKiS9_S9_iPKfiiiPfSC_PS2_PT2_iSB_SB_ ; -- Begin function _Z38paged_attention_ll4mi_QKV_mfma4_kernelIDF16_hLN4vllm18Fp8KVCacheDataTypeE1EDF16_Li32ELi128ELi256ELb1ELi1EEvPKT_PKT0_S7_ifPKiS9_S9_iPKfiiiPfSC_PS2_PT2_iSB_SB_
	.globl	_Z38paged_attention_ll4mi_QKV_mfma4_kernelIDF16_hLN4vllm18Fp8KVCacheDataTypeE1EDF16_Li32ELi128ELi256ELb1ELi1EEvPKT_PKT0_S7_ifPKiS9_S9_iPKfiiiPfSC_PS2_PT2_iSB_SB_
	.p2align	8
	.type	_Z38paged_attention_ll4mi_QKV_mfma4_kernelIDF16_hLN4vllm18Fp8KVCacheDataTypeE1EDF16_Li32ELi128ELi256ELb1ELi1EEvPKT_PKT0_S7_ifPKiS9_S9_iPKfiiiPfSC_PS2_PT2_iSB_SB_,@function
_Z38paged_attention_ll4mi_QKV_mfma4_kernelIDF16_hLN4vllm18Fp8KVCacheDataTypeE1EDF16_Li32ELi128ELi256ELb1ELi1EEvPKT_PKT0_S7_ifPKiS9_S9_iPKfiiiPfSC_PS2_PT2_iSB_SB_: ; @_Z38paged_attention_ll4mi_QKV_mfma4_kernelIDF16_hLN4vllm18Fp8KVCacheDataTypeE1EDF16_Li32ELi128ELi256ELb1ELi1EEvPKT_PKT0_S7_ifPKiS9_S9_iPKfiiiPfSC_PS2_PT2_iSB_SB_
; %bb.0:
	s_add_u32 s8, s0, 0x90
	s_addc_u32 s9, s1, 0
	s_getpc_b64 s[0:1]
	s_add_u32 s0, s0, __PRETTY_FUNCTION__._Z38paged_attention_ll4mi_QKV_mfma4_kernelIDF16_hLN4vllm18Fp8KVCacheDataTypeE1EDF16_Li32ELi128ELi256ELb1ELi1EEvPKT_PKT0_S7_ifPKiS9_S9_iPKfiiiPfSC_PS2_PT2_iSB_SB_@rel32@lo+4
	s_addc_u32 s1, s1, __PRETTY_FUNCTION__._Z38paged_attention_ll4mi_QKV_mfma4_kernelIDF16_hLN4vllm18Fp8KVCacheDataTypeE1EDF16_Li32ELi128ELi256ELb1ELi1EEvPKT_PKT0_S7_ifPKiS9_S9_iPKfiiiPfSC_PS2_PT2_iSB_SB_@rel32@hi+12
	s_delay_alu instid0(SALU_CYCLE_1) | instskip(SKIP_4) | instid1(SALU_CYCLE_1)
	v_dual_mov_b32 v0, s0 :: v_dual_mov_b32 v1, s1
	s_mov_b32 s32, 0
	s_getpc_b64 s[2:3]
	s_add_u32 s2, s2, __assert_fail@rel32@lo+4
	s_addc_u32 s3, s3, __assert_fail@rel32@hi+12
	s_swappc_b64 s[30:31], s[2:3]
	.section	.rodata,"a",@progbits
	.p2align	6, 0x0
	.amdhsa_kernel _Z38paged_attention_ll4mi_QKV_mfma4_kernelIDF16_hLN4vllm18Fp8KVCacheDataTypeE1EDF16_Li32ELi128ELi256ELb1ELi1EEvPKT_PKT0_S7_ifPKiS9_S9_iPKfiiiPfSC_PS2_PT2_iSB_SB_
		.amdhsa_group_segment_fixed_size 0
		.amdhsa_private_segment_fixed_size 64
		.amdhsa_kernarg_size 400
		.amdhsa_user_sgpr_count 15
		.amdhsa_user_sgpr_dispatch_ptr 0
		.amdhsa_user_sgpr_queue_ptr 0
		.amdhsa_user_sgpr_kernarg_segment_ptr 1
		.amdhsa_user_sgpr_dispatch_id 0
		.amdhsa_user_sgpr_private_segment_size 0
		.amdhsa_wavefront_size32 1
		.amdhsa_uses_dynamic_stack 0
		.amdhsa_enable_private_segment 1
		.amdhsa_system_sgpr_workgroup_id_x 1
		.amdhsa_system_sgpr_workgroup_id_y 0
		.amdhsa_system_sgpr_workgroup_id_z 0
		.amdhsa_system_sgpr_workgroup_info 0
		.amdhsa_system_vgpr_workitem_id 0
		.amdhsa_next_free_vgpr 41
		.amdhsa_next_free_sgpr 34
		.amdhsa_reserve_vcc 1
		.amdhsa_float_round_mode_32 0
		.amdhsa_float_round_mode_16_64 0
		.amdhsa_float_denorm_mode_32 3
		.amdhsa_float_denorm_mode_16_64 3
		.amdhsa_dx10_clamp 1
		.amdhsa_ieee_mode 1
		.amdhsa_fp16_overflow 0
		.amdhsa_workgroup_processor_mode 1
		.amdhsa_memory_ordered 1
		.amdhsa_forward_progress 0
		.amdhsa_shared_vgpr_count 0
		.amdhsa_exception_fp_ieee_invalid_op 0
		.amdhsa_exception_fp_denorm_src 0
		.amdhsa_exception_fp_ieee_div_zero 0
		.amdhsa_exception_fp_ieee_overflow 0
		.amdhsa_exception_fp_ieee_underflow 0
		.amdhsa_exception_fp_ieee_inexact 0
		.amdhsa_exception_int_div_zero 0
	.end_amdhsa_kernel
	.section	.text._Z38paged_attention_ll4mi_QKV_mfma4_kernelIDF16_hLN4vllm18Fp8KVCacheDataTypeE1EDF16_Li32ELi128ELi256ELb1ELi1EEvPKT_PKT0_S7_ifPKiS9_S9_iPKfiiiPfSC_PS2_PT2_iSB_SB_,"axG",@progbits,_Z38paged_attention_ll4mi_QKV_mfma4_kernelIDF16_hLN4vllm18Fp8KVCacheDataTypeE1EDF16_Li32ELi128ELi256ELb1ELi1EEvPKT_PKT0_S7_ifPKiS9_S9_iPKfiiiPfSC_PS2_PT2_iSB_SB_,comdat
.Lfunc_end1050:
	.size	_Z38paged_attention_ll4mi_QKV_mfma4_kernelIDF16_hLN4vllm18Fp8KVCacheDataTypeE1EDF16_Li32ELi128ELi256ELb1ELi1EEvPKT_PKT0_S7_ifPKiS9_S9_iPKfiiiPfSC_PS2_PT2_iSB_SB_, .Lfunc_end1050-_Z38paged_attention_ll4mi_QKV_mfma4_kernelIDF16_hLN4vllm18Fp8KVCacheDataTypeE1EDF16_Li32ELi128ELi256ELb1ELi1EEvPKT_PKT0_S7_ifPKiS9_S9_iPKfiiiPfSC_PS2_PT2_iSB_SB_
                                        ; -- End function
	.section	.AMDGPU.csdata,"",@progbits
; Kernel info:
; codeLenInByte = 72
; NumSgprs: 36
; NumVgprs: 41
; ScratchSize: 64
; MemoryBound: 0
; FloatMode: 240
; IeeeMode: 1
; LDSByteSize: 0 bytes/workgroup (compile time only)
; SGPRBlocks: 4
; VGPRBlocks: 5
; NumSGPRsForWavesPerEU: 36
; NumVGPRsForWavesPerEU: 41
; Occupancy: 16
; WaveLimiterHint : 1
; COMPUTE_PGM_RSRC2:SCRATCH_EN: 1
; COMPUTE_PGM_RSRC2:USER_SGPR: 15
; COMPUTE_PGM_RSRC2:TRAP_HANDLER: 0
; COMPUTE_PGM_RSRC2:TGID_X_EN: 1
; COMPUTE_PGM_RSRC2:TGID_Y_EN: 0
; COMPUTE_PGM_RSRC2:TGID_Z_EN: 0
; COMPUTE_PGM_RSRC2:TIDIG_COMP_CNT: 0
	.section	.text._Z38paged_attention_ll4mi_QKV_mfma4_kernelIDF16_hLN4vllm18Fp8KVCacheDataTypeE1EDF16_Li32ELi128ELi256ELb1ELi2EEvPKT_PKT0_S7_ifPKiS9_S9_iPKfiiiPfSC_PS2_PT2_iSB_SB_,"axG",@progbits,_Z38paged_attention_ll4mi_QKV_mfma4_kernelIDF16_hLN4vllm18Fp8KVCacheDataTypeE1EDF16_Li32ELi128ELi256ELb1ELi2EEvPKT_PKT0_S7_ifPKiS9_S9_iPKfiiiPfSC_PS2_PT2_iSB_SB_,comdat
	.protected	_Z38paged_attention_ll4mi_QKV_mfma4_kernelIDF16_hLN4vllm18Fp8KVCacheDataTypeE1EDF16_Li32ELi128ELi256ELb1ELi2EEvPKT_PKT0_S7_ifPKiS9_S9_iPKfiiiPfSC_PS2_PT2_iSB_SB_ ; -- Begin function _Z38paged_attention_ll4mi_QKV_mfma4_kernelIDF16_hLN4vllm18Fp8KVCacheDataTypeE1EDF16_Li32ELi128ELi256ELb1ELi2EEvPKT_PKT0_S7_ifPKiS9_S9_iPKfiiiPfSC_PS2_PT2_iSB_SB_
	.globl	_Z38paged_attention_ll4mi_QKV_mfma4_kernelIDF16_hLN4vllm18Fp8KVCacheDataTypeE1EDF16_Li32ELi128ELi256ELb1ELi2EEvPKT_PKT0_S7_ifPKiS9_S9_iPKfiiiPfSC_PS2_PT2_iSB_SB_
	.p2align	8
	.type	_Z38paged_attention_ll4mi_QKV_mfma4_kernelIDF16_hLN4vllm18Fp8KVCacheDataTypeE1EDF16_Li32ELi128ELi256ELb1ELi2EEvPKT_PKT0_S7_ifPKiS9_S9_iPKfiiiPfSC_PS2_PT2_iSB_SB_,@function
_Z38paged_attention_ll4mi_QKV_mfma4_kernelIDF16_hLN4vllm18Fp8KVCacheDataTypeE1EDF16_Li32ELi128ELi256ELb1ELi2EEvPKT_PKT0_S7_ifPKiS9_S9_iPKfiiiPfSC_PS2_PT2_iSB_SB_: ; @_Z38paged_attention_ll4mi_QKV_mfma4_kernelIDF16_hLN4vllm18Fp8KVCacheDataTypeE1EDF16_Li32ELi128ELi256ELb1ELi2EEvPKT_PKT0_S7_ifPKiS9_S9_iPKfiiiPfSC_PS2_PT2_iSB_SB_
; %bb.0:
	s_add_u32 s8, s0, 0x90
	s_addc_u32 s9, s1, 0
	s_getpc_b64 s[0:1]
	s_add_u32 s0, s0, __PRETTY_FUNCTION__._Z38paged_attention_ll4mi_QKV_mfma4_kernelIDF16_hLN4vllm18Fp8KVCacheDataTypeE1EDF16_Li32ELi128ELi256ELb1ELi2EEvPKT_PKT0_S7_ifPKiS9_S9_iPKfiiiPfSC_PS2_PT2_iSB_SB_@rel32@lo+4
	s_addc_u32 s1, s1, __PRETTY_FUNCTION__._Z38paged_attention_ll4mi_QKV_mfma4_kernelIDF16_hLN4vllm18Fp8KVCacheDataTypeE1EDF16_Li32ELi128ELi256ELb1ELi2EEvPKT_PKT0_S7_ifPKiS9_S9_iPKfiiiPfSC_PS2_PT2_iSB_SB_@rel32@hi+12
	s_delay_alu instid0(SALU_CYCLE_1) | instskip(SKIP_4) | instid1(SALU_CYCLE_1)
	v_dual_mov_b32 v0, s0 :: v_dual_mov_b32 v1, s1
	s_mov_b32 s32, 0
	s_getpc_b64 s[2:3]
	s_add_u32 s2, s2, __assert_fail@rel32@lo+4
	s_addc_u32 s3, s3, __assert_fail@rel32@hi+12
	s_swappc_b64 s[30:31], s[2:3]
	.section	.rodata,"a",@progbits
	.p2align	6, 0x0
	.amdhsa_kernel _Z38paged_attention_ll4mi_QKV_mfma4_kernelIDF16_hLN4vllm18Fp8KVCacheDataTypeE1EDF16_Li32ELi128ELi256ELb1ELi2EEvPKT_PKT0_S7_ifPKiS9_S9_iPKfiiiPfSC_PS2_PT2_iSB_SB_
		.amdhsa_group_segment_fixed_size 0
		.amdhsa_private_segment_fixed_size 64
		.amdhsa_kernarg_size 400
		.amdhsa_user_sgpr_count 15
		.amdhsa_user_sgpr_dispatch_ptr 0
		.amdhsa_user_sgpr_queue_ptr 0
		.amdhsa_user_sgpr_kernarg_segment_ptr 1
		.amdhsa_user_sgpr_dispatch_id 0
		.amdhsa_user_sgpr_private_segment_size 0
		.amdhsa_wavefront_size32 1
		.amdhsa_uses_dynamic_stack 0
		.amdhsa_enable_private_segment 1
		.amdhsa_system_sgpr_workgroup_id_x 1
		.amdhsa_system_sgpr_workgroup_id_y 0
		.amdhsa_system_sgpr_workgroup_id_z 0
		.amdhsa_system_sgpr_workgroup_info 0
		.amdhsa_system_vgpr_workitem_id 0
		.amdhsa_next_free_vgpr 41
		.amdhsa_next_free_sgpr 34
		.amdhsa_reserve_vcc 1
		.amdhsa_float_round_mode_32 0
		.amdhsa_float_round_mode_16_64 0
		.amdhsa_float_denorm_mode_32 3
		.amdhsa_float_denorm_mode_16_64 3
		.amdhsa_dx10_clamp 1
		.amdhsa_ieee_mode 1
		.amdhsa_fp16_overflow 0
		.amdhsa_workgroup_processor_mode 1
		.amdhsa_memory_ordered 1
		.amdhsa_forward_progress 0
		.amdhsa_shared_vgpr_count 0
		.amdhsa_exception_fp_ieee_invalid_op 0
		.amdhsa_exception_fp_denorm_src 0
		.amdhsa_exception_fp_ieee_div_zero 0
		.amdhsa_exception_fp_ieee_overflow 0
		.amdhsa_exception_fp_ieee_underflow 0
		.amdhsa_exception_fp_ieee_inexact 0
		.amdhsa_exception_int_div_zero 0
	.end_amdhsa_kernel
	.section	.text._Z38paged_attention_ll4mi_QKV_mfma4_kernelIDF16_hLN4vllm18Fp8KVCacheDataTypeE1EDF16_Li32ELi128ELi256ELb1ELi2EEvPKT_PKT0_S7_ifPKiS9_S9_iPKfiiiPfSC_PS2_PT2_iSB_SB_,"axG",@progbits,_Z38paged_attention_ll4mi_QKV_mfma4_kernelIDF16_hLN4vllm18Fp8KVCacheDataTypeE1EDF16_Li32ELi128ELi256ELb1ELi2EEvPKT_PKT0_S7_ifPKiS9_S9_iPKfiiiPfSC_PS2_PT2_iSB_SB_,comdat
.Lfunc_end1051:
	.size	_Z38paged_attention_ll4mi_QKV_mfma4_kernelIDF16_hLN4vllm18Fp8KVCacheDataTypeE1EDF16_Li32ELi128ELi256ELb1ELi2EEvPKT_PKT0_S7_ifPKiS9_S9_iPKfiiiPfSC_PS2_PT2_iSB_SB_, .Lfunc_end1051-_Z38paged_attention_ll4mi_QKV_mfma4_kernelIDF16_hLN4vllm18Fp8KVCacheDataTypeE1EDF16_Li32ELi128ELi256ELb1ELi2EEvPKT_PKT0_S7_ifPKiS9_S9_iPKfiiiPfSC_PS2_PT2_iSB_SB_
                                        ; -- End function
	.section	.AMDGPU.csdata,"",@progbits
; Kernel info:
; codeLenInByte = 72
; NumSgprs: 36
; NumVgprs: 41
; ScratchSize: 64
; MemoryBound: 0
; FloatMode: 240
; IeeeMode: 1
; LDSByteSize: 0 bytes/workgroup (compile time only)
; SGPRBlocks: 4
; VGPRBlocks: 5
; NumSGPRsForWavesPerEU: 36
; NumVGPRsForWavesPerEU: 41
; Occupancy: 16
; WaveLimiterHint : 1
; COMPUTE_PGM_RSRC2:SCRATCH_EN: 1
; COMPUTE_PGM_RSRC2:USER_SGPR: 15
; COMPUTE_PGM_RSRC2:TRAP_HANDLER: 0
; COMPUTE_PGM_RSRC2:TGID_X_EN: 1
; COMPUTE_PGM_RSRC2:TGID_Y_EN: 0
; COMPUTE_PGM_RSRC2:TGID_Z_EN: 0
; COMPUTE_PGM_RSRC2:TIDIG_COMP_CNT: 0
	.section	.text._Z38paged_attention_ll4mi_QKV_mfma4_kernelIDF16_hLN4vllm18Fp8KVCacheDataTypeE1EDF16_Li32ELi128ELi256ELb1ELi3EEvPKT_PKT0_S7_ifPKiS9_S9_iPKfiiiPfSC_PS2_PT2_iSB_SB_,"axG",@progbits,_Z38paged_attention_ll4mi_QKV_mfma4_kernelIDF16_hLN4vllm18Fp8KVCacheDataTypeE1EDF16_Li32ELi128ELi256ELb1ELi3EEvPKT_PKT0_S7_ifPKiS9_S9_iPKfiiiPfSC_PS2_PT2_iSB_SB_,comdat
	.protected	_Z38paged_attention_ll4mi_QKV_mfma4_kernelIDF16_hLN4vllm18Fp8KVCacheDataTypeE1EDF16_Li32ELi128ELi256ELb1ELi3EEvPKT_PKT0_S7_ifPKiS9_S9_iPKfiiiPfSC_PS2_PT2_iSB_SB_ ; -- Begin function _Z38paged_attention_ll4mi_QKV_mfma4_kernelIDF16_hLN4vllm18Fp8KVCacheDataTypeE1EDF16_Li32ELi128ELi256ELb1ELi3EEvPKT_PKT0_S7_ifPKiS9_S9_iPKfiiiPfSC_PS2_PT2_iSB_SB_
	.globl	_Z38paged_attention_ll4mi_QKV_mfma4_kernelIDF16_hLN4vllm18Fp8KVCacheDataTypeE1EDF16_Li32ELi128ELi256ELb1ELi3EEvPKT_PKT0_S7_ifPKiS9_S9_iPKfiiiPfSC_PS2_PT2_iSB_SB_
	.p2align	8
	.type	_Z38paged_attention_ll4mi_QKV_mfma4_kernelIDF16_hLN4vllm18Fp8KVCacheDataTypeE1EDF16_Li32ELi128ELi256ELb1ELi3EEvPKT_PKT0_S7_ifPKiS9_S9_iPKfiiiPfSC_PS2_PT2_iSB_SB_,@function
_Z38paged_attention_ll4mi_QKV_mfma4_kernelIDF16_hLN4vllm18Fp8KVCacheDataTypeE1EDF16_Li32ELi128ELi256ELb1ELi3EEvPKT_PKT0_S7_ifPKiS9_S9_iPKfiiiPfSC_PS2_PT2_iSB_SB_: ; @_Z38paged_attention_ll4mi_QKV_mfma4_kernelIDF16_hLN4vllm18Fp8KVCacheDataTypeE1EDF16_Li32ELi128ELi256ELb1ELi3EEvPKT_PKT0_S7_ifPKiS9_S9_iPKfiiiPfSC_PS2_PT2_iSB_SB_
; %bb.0:
	s_add_u32 s8, s0, 0x90
	s_addc_u32 s9, s1, 0
	s_getpc_b64 s[0:1]
	s_add_u32 s0, s0, __PRETTY_FUNCTION__._Z38paged_attention_ll4mi_QKV_mfma4_kernelIDF16_hLN4vllm18Fp8KVCacheDataTypeE1EDF16_Li32ELi128ELi256ELb1ELi3EEvPKT_PKT0_S7_ifPKiS9_S9_iPKfiiiPfSC_PS2_PT2_iSB_SB_@rel32@lo+4
	s_addc_u32 s1, s1, __PRETTY_FUNCTION__._Z38paged_attention_ll4mi_QKV_mfma4_kernelIDF16_hLN4vllm18Fp8KVCacheDataTypeE1EDF16_Li32ELi128ELi256ELb1ELi3EEvPKT_PKT0_S7_ifPKiS9_S9_iPKfiiiPfSC_PS2_PT2_iSB_SB_@rel32@hi+12
	s_delay_alu instid0(SALU_CYCLE_1) | instskip(SKIP_4) | instid1(SALU_CYCLE_1)
	v_dual_mov_b32 v0, s0 :: v_dual_mov_b32 v1, s1
	s_mov_b32 s32, 0
	s_getpc_b64 s[2:3]
	s_add_u32 s2, s2, __assert_fail@rel32@lo+4
	s_addc_u32 s3, s3, __assert_fail@rel32@hi+12
	s_swappc_b64 s[30:31], s[2:3]
	.section	.rodata,"a",@progbits
	.p2align	6, 0x0
	.amdhsa_kernel _Z38paged_attention_ll4mi_QKV_mfma4_kernelIDF16_hLN4vllm18Fp8KVCacheDataTypeE1EDF16_Li32ELi128ELi256ELb1ELi3EEvPKT_PKT0_S7_ifPKiS9_S9_iPKfiiiPfSC_PS2_PT2_iSB_SB_
		.amdhsa_group_segment_fixed_size 0
		.amdhsa_private_segment_fixed_size 64
		.amdhsa_kernarg_size 400
		.amdhsa_user_sgpr_count 15
		.amdhsa_user_sgpr_dispatch_ptr 0
		.amdhsa_user_sgpr_queue_ptr 0
		.amdhsa_user_sgpr_kernarg_segment_ptr 1
		.amdhsa_user_sgpr_dispatch_id 0
		.amdhsa_user_sgpr_private_segment_size 0
		.amdhsa_wavefront_size32 1
		.amdhsa_uses_dynamic_stack 0
		.amdhsa_enable_private_segment 1
		.amdhsa_system_sgpr_workgroup_id_x 1
		.amdhsa_system_sgpr_workgroup_id_y 0
		.amdhsa_system_sgpr_workgroup_id_z 0
		.amdhsa_system_sgpr_workgroup_info 0
		.amdhsa_system_vgpr_workitem_id 0
		.amdhsa_next_free_vgpr 41
		.amdhsa_next_free_sgpr 34
		.amdhsa_reserve_vcc 1
		.amdhsa_float_round_mode_32 0
		.amdhsa_float_round_mode_16_64 0
		.amdhsa_float_denorm_mode_32 3
		.amdhsa_float_denorm_mode_16_64 3
		.amdhsa_dx10_clamp 1
		.amdhsa_ieee_mode 1
		.amdhsa_fp16_overflow 0
		.amdhsa_workgroup_processor_mode 1
		.amdhsa_memory_ordered 1
		.amdhsa_forward_progress 0
		.amdhsa_shared_vgpr_count 0
		.amdhsa_exception_fp_ieee_invalid_op 0
		.amdhsa_exception_fp_denorm_src 0
		.amdhsa_exception_fp_ieee_div_zero 0
		.amdhsa_exception_fp_ieee_overflow 0
		.amdhsa_exception_fp_ieee_underflow 0
		.amdhsa_exception_fp_ieee_inexact 0
		.amdhsa_exception_int_div_zero 0
	.end_amdhsa_kernel
	.section	.text._Z38paged_attention_ll4mi_QKV_mfma4_kernelIDF16_hLN4vllm18Fp8KVCacheDataTypeE1EDF16_Li32ELi128ELi256ELb1ELi3EEvPKT_PKT0_S7_ifPKiS9_S9_iPKfiiiPfSC_PS2_PT2_iSB_SB_,"axG",@progbits,_Z38paged_attention_ll4mi_QKV_mfma4_kernelIDF16_hLN4vllm18Fp8KVCacheDataTypeE1EDF16_Li32ELi128ELi256ELb1ELi3EEvPKT_PKT0_S7_ifPKiS9_S9_iPKfiiiPfSC_PS2_PT2_iSB_SB_,comdat
.Lfunc_end1052:
	.size	_Z38paged_attention_ll4mi_QKV_mfma4_kernelIDF16_hLN4vllm18Fp8KVCacheDataTypeE1EDF16_Li32ELi128ELi256ELb1ELi3EEvPKT_PKT0_S7_ifPKiS9_S9_iPKfiiiPfSC_PS2_PT2_iSB_SB_, .Lfunc_end1052-_Z38paged_attention_ll4mi_QKV_mfma4_kernelIDF16_hLN4vllm18Fp8KVCacheDataTypeE1EDF16_Li32ELi128ELi256ELb1ELi3EEvPKT_PKT0_S7_ifPKiS9_S9_iPKfiiiPfSC_PS2_PT2_iSB_SB_
                                        ; -- End function
	.section	.AMDGPU.csdata,"",@progbits
; Kernel info:
; codeLenInByte = 72
; NumSgprs: 36
; NumVgprs: 41
; ScratchSize: 64
; MemoryBound: 0
; FloatMode: 240
; IeeeMode: 1
; LDSByteSize: 0 bytes/workgroup (compile time only)
; SGPRBlocks: 4
; VGPRBlocks: 5
; NumSGPRsForWavesPerEU: 36
; NumVGPRsForWavesPerEU: 41
; Occupancy: 16
; WaveLimiterHint : 1
; COMPUTE_PGM_RSRC2:SCRATCH_EN: 1
; COMPUTE_PGM_RSRC2:USER_SGPR: 15
; COMPUTE_PGM_RSRC2:TRAP_HANDLER: 0
; COMPUTE_PGM_RSRC2:TGID_X_EN: 1
; COMPUTE_PGM_RSRC2:TGID_Y_EN: 0
; COMPUTE_PGM_RSRC2:TGID_Z_EN: 0
; COMPUTE_PGM_RSRC2:TIDIG_COMP_CNT: 0
	.section	.text._Z38paged_attention_ll4mi_QKV_mfma4_kernelIDF16_hLN4vllm18Fp8KVCacheDataTypeE1EDF16_Li32ELi128ELi256ELb1ELi4EEvPKT_PKT0_S7_ifPKiS9_S9_iPKfiiiPfSC_PS2_PT2_iSB_SB_,"axG",@progbits,_Z38paged_attention_ll4mi_QKV_mfma4_kernelIDF16_hLN4vllm18Fp8KVCacheDataTypeE1EDF16_Li32ELi128ELi256ELb1ELi4EEvPKT_PKT0_S7_ifPKiS9_S9_iPKfiiiPfSC_PS2_PT2_iSB_SB_,comdat
	.protected	_Z38paged_attention_ll4mi_QKV_mfma4_kernelIDF16_hLN4vllm18Fp8KVCacheDataTypeE1EDF16_Li32ELi128ELi256ELb1ELi4EEvPKT_PKT0_S7_ifPKiS9_S9_iPKfiiiPfSC_PS2_PT2_iSB_SB_ ; -- Begin function _Z38paged_attention_ll4mi_QKV_mfma4_kernelIDF16_hLN4vllm18Fp8KVCacheDataTypeE1EDF16_Li32ELi128ELi256ELb1ELi4EEvPKT_PKT0_S7_ifPKiS9_S9_iPKfiiiPfSC_PS2_PT2_iSB_SB_
	.globl	_Z38paged_attention_ll4mi_QKV_mfma4_kernelIDF16_hLN4vllm18Fp8KVCacheDataTypeE1EDF16_Li32ELi128ELi256ELb1ELi4EEvPKT_PKT0_S7_ifPKiS9_S9_iPKfiiiPfSC_PS2_PT2_iSB_SB_
	.p2align	8
	.type	_Z38paged_attention_ll4mi_QKV_mfma4_kernelIDF16_hLN4vllm18Fp8KVCacheDataTypeE1EDF16_Li32ELi128ELi256ELb1ELi4EEvPKT_PKT0_S7_ifPKiS9_S9_iPKfiiiPfSC_PS2_PT2_iSB_SB_,@function
_Z38paged_attention_ll4mi_QKV_mfma4_kernelIDF16_hLN4vllm18Fp8KVCacheDataTypeE1EDF16_Li32ELi128ELi256ELb1ELi4EEvPKT_PKT0_S7_ifPKiS9_S9_iPKfiiiPfSC_PS2_PT2_iSB_SB_: ; @_Z38paged_attention_ll4mi_QKV_mfma4_kernelIDF16_hLN4vllm18Fp8KVCacheDataTypeE1EDF16_Li32ELi128ELi256ELb1ELi4EEvPKT_PKT0_S7_ifPKiS9_S9_iPKfiiiPfSC_PS2_PT2_iSB_SB_
; %bb.0:
	s_add_u32 s8, s0, 0x90
	s_addc_u32 s9, s1, 0
	s_getpc_b64 s[0:1]
	s_add_u32 s0, s0, __PRETTY_FUNCTION__._Z38paged_attention_ll4mi_QKV_mfma4_kernelIDF16_hLN4vllm18Fp8KVCacheDataTypeE1EDF16_Li32ELi128ELi256ELb1ELi4EEvPKT_PKT0_S7_ifPKiS9_S9_iPKfiiiPfSC_PS2_PT2_iSB_SB_@rel32@lo+4
	s_addc_u32 s1, s1, __PRETTY_FUNCTION__._Z38paged_attention_ll4mi_QKV_mfma4_kernelIDF16_hLN4vllm18Fp8KVCacheDataTypeE1EDF16_Li32ELi128ELi256ELb1ELi4EEvPKT_PKT0_S7_ifPKiS9_S9_iPKfiiiPfSC_PS2_PT2_iSB_SB_@rel32@hi+12
	s_delay_alu instid0(SALU_CYCLE_1) | instskip(SKIP_4) | instid1(SALU_CYCLE_1)
	v_dual_mov_b32 v0, s0 :: v_dual_mov_b32 v1, s1
	s_mov_b32 s32, 0
	s_getpc_b64 s[2:3]
	s_add_u32 s2, s2, __assert_fail@rel32@lo+4
	s_addc_u32 s3, s3, __assert_fail@rel32@hi+12
	s_swappc_b64 s[30:31], s[2:3]
	.section	.rodata,"a",@progbits
	.p2align	6, 0x0
	.amdhsa_kernel _Z38paged_attention_ll4mi_QKV_mfma4_kernelIDF16_hLN4vllm18Fp8KVCacheDataTypeE1EDF16_Li32ELi128ELi256ELb1ELi4EEvPKT_PKT0_S7_ifPKiS9_S9_iPKfiiiPfSC_PS2_PT2_iSB_SB_
		.amdhsa_group_segment_fixed_size 0
		.amdhsa_private_segment_fixed_size 64
		.amdhsa_kernarg_size 400
		.amdhsa_user_sgpr_count 15
		.amdhsa_user_sgpr_dispatch_ptr 0
		.amdhsa_user_sgpr_queue_ptr 0
		.amdhsa_user_sgpr_kernarg_segment_ptr 1
		.amdhsa_user_sgpr_dispatch_id 0
		.amdhsa_user_sgpr_private_segment_size 0
		.amdhsa_wavefront_size32 1
		.amdhsa_uses_dynamic_stack 0
		.amdhsa_enable_private_segment 1
		.amdhsa_system_sgpr_workgroup_id_x 1
		.amdhsa_system_sgpr_workgroup_id_y 0
		.amdhsa_system_sgpr_workgroup_id_z 0
		.amdhsa_system_sgpr_workgroup_info 0
		.amdhsa_system_vgpr_workitem_id 0
		.amdhsa_next_free_vgpr 41
		.amdhsa_next_free_sgpr 34
		.amdhsa_reserve_vcc 1
		.amdhsa_float_round_mode_32 0
		.amdhsa_float_round_mode_16_64 0
		.amdhsa_float_denorm_mode_32 3
		.amdhsa_float_denorm_mode_16_64 3
		.amdhsa_dx10_clamp 1
		.amdhsa_ieee_mode 1
		.amdhsa_fp16_overflow 0
		.amdhsa_workgroup_processor_mode 1
		.amdhsa_memory_ordered 1
		.amdhsa_forward_progress 0
		.amdhsa_shared_vgpr_count 0
		.amdhsa_exception_fp_ieee_invalid_op 0
		.amdhsa_exception_fp_denorm_src 0
		.amdhsa_exception_fp_ieee_div_zero 0
		.amdhsa_exception_fp_ieee_overflow 0
		.amdhsa_exception_fp_ieee_underflow 0
		.amdhsa_exception_fp_ieee_inexact 0
		.amdhsa_exception_int_div_zero 0
	.end_amdhsa_kernel
	.section	.text._Z38paged_attention_ll4mi_QKV_mfma4_kernelIDF16_hLN4vllm18Fp8KVCacheDataTypeE1EDF16_Li32ELi128ELi256ELb1ELi4EEvPKT_PKT0_S7_ifPKiS9_S9_iPKfiiiPfSC_PS2_PT2_iSB_SB_,"axG",@progbits,_Z38paged_attention_ll4mi_QKV_mfma4_kernelIDF16_hLN4vllm18Fp8KVCacheDataTypeE1EDF16_Li32ELi128ELi256ELb1ELi4EEvPKT_PKT0_S7_ifPKiS9_S9_iPKfiiiPfSC_PS2_PT2_iSB_SB_,comdat
.Lfunc_end1053:
	.size	_Z38paged_attention_ll4mi_QKV_mfma4_kernelIDF16_hLN4vllm18Fp8KVCacheDataTypeE1EDF16_Li32ELi128ELi256ELb1ELi4EEvPKT_PKT0_S7_ifPKiS9_S9_iPKfiiiPfSC_PS2_PT2_iSB_SB_, .Lfunc_end1053-_Z38paged_attention_ll4mi_QKV_mfma4_kernelIDF16_hLN4vllm18Fp8KVCacheDataTypeE1EDF16_Li32ELi128ELi256ELb1ELi4EEvPKT_PKT0_S7_ifPKiS9_S9_iPKfiiiPfSC_PS2_PT2_iSB_SB_
                                        ; -- End function
	.section	.AMDGPU.csdata,"",@progbits
; Kernel info:
; codeLenInByte = 72
; NumSgprs: 36
; NumVgprs: 41
; ScratchSize: 64
; MemoryBound: 0
; FloatMode: 240
; IeeeMode: 1
; LDSByteSize: 0 bytes/workgroup (compile time only)
; SGPRBlocks: 4
; VGPRBlocks: 5
; NumSGPRsForWavesPerEU: 36
; NumVGPRsForWavesPerEU: 41
; Occupancy: 16
; WaveLimiterHint : 1
; COMPUTE_PGM_RSRC2:SCRATCH_EN: 1
; COMPUTE_PGM_RSRC2:USER_SGPR: 15
; COMPUTE_PGM_RSRC2:TRAP_HANDLER: 0
; COMPUTE_PGM_RSRC2:TGID_X_EN: 1
; COMPUTE_PGM_RSRC2:TGID_Y_EN: 0
; COMPUTE_PGM_RSRC2:TGID_Z_EN: 0
; COMPUTE_PGM_RSRC2:TIDIG_COMP_CNT: 0
	.section	.text._Z39paged_attention_ll4mi_QKV_mfma16_kernelIDF16_hLN4vllm18Fp8KVCacheDataTypeE1EDF16_Li32ELi128ELi256ELb1ELi5EL8MFMAType1EEvPKT_PKT0_S8_ifPKiSA_SA_iPKfiiiPfSD_PS3_PT2_iSC_SC_,"axG",@progbits,_Z39paged_attention_ll4mi_QKV_mfma16_kernelIDF16_hLN4vllm18Fp8KVCacheDataTypeE1EDF16_Li32ELi128ELi256ELb1ELi5EL8MFMAType1EEvPKT_PKT0_S8_ifPKiSA_SA_iPKfiiiPfSD_PS3_PT2_iSC_SC_,comdat
	.protected	_Z39paged_attention_ll4mi_QKV_mfma16_kernelIDF16_hLN4vllm18Fp8KVCacheDataTypeE1EDF16_Li32ELi128ELi256ELb1ELi5EL8MFMAType1EEvPKT_PKT0_S8_ifPKiSA_SA_iPKfiiiPfSD_PS3_PT2_iSC_SC_ ; -- Begin function _Z39paged_attention_ll4mi_QKV_mfma16_kernelIDF16_hLN4vllm18Fp8KVCacheDataTypeE1EDF16_Li32ELi128ELi256ELb1ELi5EL8MFMAType1EEvPKT_PKT0_S8_ifPKiSA_SA_iPKfiiiPfSD_PS3_PT2_iSC_SC_
	.globl	_Z39paged_attention_ll4mi_QKV_mfma16_kernelIDF16_hLN4vllm18Fp8KVCacheDataTypeE1EDF16_Li32ELi128ELi256ELb1ELi5EL8MFMAType1EEvPKT_PKT0_S8_ifPKiSA_SA_iPKfiiiPfSD_PS3_PT2_iSC_SC_
	.p2align	8
	.type	_Z39paged_attention_ll4mi_QKV_mfma16_kernelIDF16_hLN4vllm18Fp8KVCacheDataTypeE1EDF16_Li32ELi128ELi256ELb1ELi5EL8MFMAType1EEvPKT_PKT0_S8_ifPKiSA_SA_iPKfiiiPfSD_PS3_PT2_iSC_SC_,@function
_Z39paged_attention_ll4mi_QKV_mfma16_kernelIDF16_hLN4vllm18Fp8KVCacheDataTypeE1EDF16_Li32ELi128ELi256ELb1ELi5EL8MFMAType1EEvPKT_PKT0_S8_ifPKiSA_SA_iPKfiiiPfSD_PS3_PT2_iSC_SC_: ; @_Z39paged_attention_ll4mi_QKV_mfma16_kernelIDF16_hLN4vllm18Fp8KVCacheDataTypeE1EDF16_Li32ELi128ELi256ELb1ELi5EL8MFMAType1EEvPKT_PKT0_S8_ifPKiSA_SA_iPKfiiiPfSD_PS3_PT2_iSC_SC_
; %bb.0:
	s_load_b64 s[4:5], s[0:1], 0x30
	s_mov_b32 s34, s13
	s_waitcnt lgkmcnt(0)
	s_cmp_lg_u64 s[4:5], 0
	s_cselect_b32 s8, -1, 0
	s_ashr_i32 s35, s13, 31
	s_cmp_eq_u64 s[4:5], 0
	s_cbranch_scc1 .LBB1054_3
; %bb.1:
	s_lshl_b64 s[2:3], s[34:35], 2
	s_delay_alu instid0(SALU_CYCLE_1) | instskip(SKIP_4) | instid1(SALU_CYCLE_1)
	s_add_u32 s2, s4, s2
	s_addc_u32 s3, s5, s3
	s_load_b64 s[2:3], s[2:3], 0x0
	s_waitcnt lgkmcnt(0)
	s_sub_i32 s2, s3, s2
	s_cmp_eq_u32 s2, 1
	s_cselect_b32 s2, -1, 0
	s_delay_alu instid0(SALU_CYCLE_1)
	s_and_not1_b32 vcc_lo, exec_lo, s2
	s_cbranch_vccz .LBB1054_4
.LBB1054_2:
	s_nop 0
	s_sendmsg sendmsg(MSG_DEALLOC_VGPRS)
	s_endpgm
.LBB1054_3:
.LBB1054_4:
	s_load_b64 s[2:3], s[0:1], 0x28
	s_lshl_b64 s[6:7], s[34:35], 2
	s_waitcnt lgkmcnt(0)
	s_add_u32 s2, s2, s6
	s_addc_u32 s3, s3, s7
	s_lshl_b32 s12, s14, 8
	s_load_b32 s24, s[2:3], 0x0
	s_waitcnt lgkmcnt(0)
	s_cmp_ge_i32 s12, s24
	s_cbranch_scc1 .LBB1054_2
; %bb.5:
	s_clause 0x1
	s_load_b128 s[20:23], s[0:1], 0x8
	s_load_b64 s[2:3], s[0:1], 0x20
	s_and_not1_b32 vcc_lo, exec_lo, s8
	s_cbranch_vccnz .LBB1054_7
; %bb.6:
	s_add_u32 s4, s4, s6
	s_addc_u32 s5, s5, s7
	s_load_b32 s5, s[4:5], 0x0
	s_branch .LBB1054_8
.LBB1054_7:
	s_mov_b32 s5, s34
.LBB1054_8:
	s_load_b128 s[16:19], s[0:1], 0x48
	v_and_b32_e32 v68, 15, v0
	v_lshrrev_b32_e32 v69, 5, v0
	v_bfe_u32 v66, v0, 4, 1
	v_and_b32_e32 v70, 31, v0
	v_and_b32_e32 v67, 1, v0
	v_lshlrev_b32_e32 v2, 3, v68
	s_mul_i32 s31, s15, 5
	v_lshl_or_b32 v1, v69, 1, v66
	s_mov_b32 s4, exec_lo
	s_delay_alu instid0(VALU_DEP_2) | instskip(NEXT) | instid1(VALU_DEP_2)
	v_lshlrev_b32_e32 v65, 1, v2
	v_cmpx_gt_u32_e32 5, v1
	s_cbranch_execz .LBB1054_10
; %bb.9:
	s_load_b64 s[6:7], s[0:1], 0x0
	v_add_lshl_u32 v2, v1, s31, 7
	s_waitcnt lgkmcnt(0)
	s_mul_hi_i32 s9, s5, s16
	s_mul_i32 s8, s5, s16
	v_lshlrev_b32_e32 v6, 10, v68
	s_lshl_b64 s[8:9], s[8:9], 1
	v_ashrrev_i32_e32 v3, 31, v2
	v_lshlrev_b32_e32 v1, 6, v1
	v_lshlrev_b32_e32 v7, 10, v67
	v_and_b32_e32 v6, 0x3800, v6
	s_delay_alu instid0(VALU_DEP_4) | instskip(NEXT) | instid1(VALU_DEP_2)
	v_lshlrev_b64 v[2:3], 1, v[2:3]
	v_or3_b32 v1, v6, v7, v1
	s_add_u32 s5, s6, s8
	s_addc_u32 s6, s7, s9
	s_delay_alu instid0(VALU_DEP_2) | instskip(NEXT) | instid1(VALU_DEP_3)
	v_add_co_u32 v2, vcc_lo, s5, v2
	v_add_co_ci_u32_e32 v3, vcc_lo, s6, v3, vcc_lo
	s_delay_alu instid0(VALU_DEP_2) | instskip(NEXT) | instid1(VALU_DEP_2)
	v_add_co_u32 v2, vcc_lo, v2, v65
	v_add_co_ci_u32_e32 v3, vcc_lo, 0, v3, vcc_lo
	global_load_b128 v[2:5], v[2:3], off
	s_waitcnt vmcnt(0)
	ds_store_b128 v1, v[2:5]
.LBB1054_10:
	s_or_b32 exec_lo, exec_lo, s4
	v_and_b32_e32 v1, 0xef, v0
	s_waitcnt lgkmcnt(0)
	s_add_i32 s5, s24, 31
	s_clause 0x1
	s_load_b32 s4, s[0:1], 0x38
	s_load_b32 s33, s[0:1], 0x98
	s_ashr_i32 s6, s5, 31
	v_add_nc_u32_e32 v1, s12, v1
	s_lshr_b32 s6, s6, 27
	s_load_b32 s19, s[0:1], 0x1c
	s_add_i32 s5, s5, s6
	s_waitcnt lgkmcnt(0)
	v_ashrrev_i32_e32 v2, 31, v1
	v_or_b32_e32 v3, 16, v1
	s_ashr_i32 s13, s5, 5
	v_cmp_gt_i32_e32 vcc_lo, s24, v1
	s_add_i32 s13, s13, -1
	v_lshrrev_b32_e32 v2, 27, v2
	s_barrier
	buffer_gl0_inv
	s_mul_i32 s15, s15, s18
	v_add_nc_u32_e32 v4, v1, v2
	s_mul_i32 s4, s34, s4
	s_delay_alu instid0(SALU_CYCLE_1) | instskip(NEXT) | instid1(VALU_DEP_1)
	s_ashr_i32 s5, s4, 31
	v_ashrrev_i32_e32 v4, 5, v4
	v_add_nc_u32_e32 v2, v3, v2
	s_lshl_b64 s[4:5], s[4:5], 2
	s_delay_alu instid0(SALU_CYCLE_1) | instskip(NEXT) | instid1(VALU_DEP_2)
	s_add_u32 s16, s2, s4
	v_cndmask_b32_e32 v1, s13, v4, vcc_lo
	s_delay_alu instid0(VALU_DEP_2)
	v_ashrrev_i32_e32 v2, 5, v2
	v_cmp_gt_i32_e32 vcc_lo, s24, v3
	s_addc_u32 s25, s3, s5
	s_ashr_i32 s18, s15, 31
	s_add_u32 s2, s20, s15
	s_addc_u32 s3, s21, s18
	v_cndmask_b32_e32 v3, s13, v2, vcc_lo
	v_ashrrev_i32_e32 v2, 31, v1
	s_lshl_b32 s4, s14, 3
	s_delay_alu instid0(SALU_CYCLE_1) | instskip(NEXT) | instid1(VALU_DEP_2)
	s_ashr_i32 s5, s4, 31
	v_ashrrev_i32_e32 v4, 31, v3
	s_delay_alu instid0(VALU_DEP_2) | instskip(SKIP_1) | instid1(SALU_CYCLE_1)
	v_lshlrev_b64 v[1:2], 2, v[1:2]
	s_lshl_b64 s[4:5], s[4:5], 2
	s_add_u32 s4, s16, s4
	s_delay_alu instid0(VALU_DEP_2) | instskip(SKIP_1) | instid1(VALU_DEP_2)
	v_lshlrev_b64 v[3:4], 2, v[3:4]
	s_addc_u32 s5, s25, s5
	v_add_co_u32 v1, vcc_lo, s16, v1
	v_add_co_ci_u32_e32 v2, vcc_lo, s25, v2, vcc_lo
	s_delay_alu instid0(VALU_DEP_3) | instskip(NEXT) | instid1(VALU_DEP_4)
	v_add_co_u32 v3, vcc_lo, s16, v3
	v_add_co_ci_u32_e32 v4, vcc_lo, s25, v4, vcc_lo
	s_clause 0x1
	global_load_b32 v5, v[1:2], off
	global_load_b32 v6, v[3:4], off
	s_or_b32 s6, s12, 32
	s_delay_alu instid0(SALU_CYCLE_1) | instskip(SKIP_2) | instid1(SALU_CYCLE_1)
	s_ashr_i32 s7, s6, 5
	s_cmp_lt_i32 s6, s24
	s_cselect_b32 s6, s7, s13
	s_ashr_i32 s7, s6, 31
	s_delay_alu instid0(SALU_CYCLE_1) | instskip(NEXT) | instid1(SALU_CYCLE_1)
	s_lshl_b64 s[6:7], s[6:7], 2
	s_add_u32 s6, s16, s6
	s_addc_u32 s7, s25, s7
	s_or_b32 s8, s12, 64
	s_delay_alu instid0(SALU_CYCLE_1) | instskip(SKIP_2) | instid1(SALU_CYCLE_1)
	s_ashr_i32 s9, s8, 5
	s_cmp_lt_i32 s8, s24
	s_cselect_b32 s8, s9, s13
	s_ashr_i32 s9, s8, 31
	s_delay_alu instid0(SALU_CYCLE_1) | instskip(NEXT) | instid1(SALU_CYCLE_1)
	s_lshl_b64 s[8:9], s[8:9], 2
	s_add_u32 s8, s16, s8
	s_addc_u32 s9, s25, s9
	;; [unrolled: 10-line block ×5, first 2 shown]
	s_clause 0x5
	s_load_b32 s28, s[4:5], 0x0
	s_load_b32 s29, s[6:7], 0x0
	;; [unrolled: 1-line block ×6, first 2 shown]
	s_mov_b32 s4, 0
	s_delay_alu instid0(SALU_CYCLE_1)
	s_mov_b32 s5, s4
	s_mov_b32 s6, s4
	;; [unrolled: 1-line block ×7, first 2 shown]
	s_delay_alu instid0(SALU_CYCLE_1)
	v_dual_mov_b32 v118, s11 :: v_dual_mov_b32 v117, s10
	v_dual_mov_b32 v116, s9 :: v_dual_mov_b32 v115, s8
	v_mov_b32_e32 v113, s6
	v_dual_mov_b32 v111, s4 :: v_dual_mov_b32 v114, s7
	v_mov_b32_e32 v112, s5
	s_waitcnt vmcnt(1)
	v_mad_i64_i32 v[1:2], null, v5, s17, s[2:3]
	v_lshlrev_b32_e32 v5, 4, v68
	s_waitcnt vmcnt(0)
	v_mad_i64_i32 v[3:4], null, v6, s17, s[2:3]
	s_or_b32 s2, s12, 0xc0
	s_delay_alu instid0(SALU_CYCLE_1) | instskip(NEXT) | instid1(VALU_DEP_3)
	s_ashr_i32 s3, s2, 5
	v_add_co_u32 v1, vcc_lo, v1, v5
	s_delay_alu instid0(VALU_DEP_4) | instskip(NEXT) | instid1(VALU_DEP_3)
	v_add_co_ci_u32_e32 v2, vcc_lo, 0, v2, vcc_lo
	v_add_co_u32 v3, vcc_lo, v3, v5
	s_delay_alu instid0(VALU_DEP_4)
	v_add_co_ci_u32_e32 v4, vcc_lo, 0, v4, vcc_lo
	s_clause 0xf
	global_load_b128 v[17:20], v[1:2], off
	global_load_b128 v[21:24], v[1:2], off offset:512
	global_load_b128 v[25:28], v[3:4], off offset:256
	;; [unrolled: 1-line block ×15, first 2 shown]
	v_mul_lo_u16 v1, v68, 52
	s_cmp_lt_i32 s2, s24
	v_lshlrev_b32_e32 v2, 5, v68
	s_cselect_b32 s2, s3, s13
	s_delay_alu instid0(VALU_DEP_2) | instskip(SKIP_1) | instid1(SALU_CYCLE_1)
	v_lshrrev_b16 v1, 8, v1
	s_ashr_i32 s3, s2, 31
	s_lshl_b64 s[2:3], s[2:3], 2
	s_delay_alu instid0(VALU_DEP_1) | instskip(SKIP_3) | instid1(VALU_DEP_1)
	v_mul_lo_u16 v1, v1, 5
	s_add_u32 s2, s16, s2
	s_addc_u32 s3, s25, s3
	s_or_b32 s20, s12, 0xe0
	v_sub_nc_u16 v1, v68, v1
	s_ashr_i32 s21, s20, 5
	s_cmp_lt_i32 s20, s24
	s_cselect_b32 s20, s21, s13
	s_delay_alu instid0(VALU_DEP_1) | instskip(SKIP_1) | instid1(SALU_CYCLE_1)
	v_and_b32_e32 v1, 0xff, v1
	s_ashr_i32 s21, s20, 31
	s_lshl_b64 s[4:5], s[20:21], 2
	s_delay_alu instid0(VALU_DEP_1)
	v_lshlrev_b32_e32 v149, 6, v1
	s_add_u32 s4, s16, s4
	s_addc_u32 s5, s25, s5
	v_lshl_or_b32 v1, v69, 9, v2
	ds_load_b128 v[119:122], v149
	ds_load_b128 v[123:126], v149 offset:1024
	ds_load_b128 v[127:130], v149 offset:2048
	ds_load_b128 v[131:134], v149 offset:3072
	s_clause 0x1
	s_load_b32 s2, s[2:3], 0x0
	s_load_b32 s3, s[4:5], 0x0
	s_add_u32 s6, s22, s15
	s_addc_u32 s7, s23, s18
	v_add_co_u32 v135, s6, s6, v1
	s_delay_alu instid0(VALU_DEP_1) | instskip(SKIP_1) | instid1(VALU_DEP_1)
	v_add_co_ci_u32_e64 v136, null, s7, 0, s6
	s_waitcnt lgkmcnt(0)
	v_mad_i64_i32 v[1:2], null, s28, s17, v[135:136]
	v_mad_i64_i32 v[3:4], null, s29, s17, v[135:136]
	;; [unrolled: 1-line block ×6, first 2 shown]
	s_clause 0x9
	global_load_b128 v[49:52], v[1:2], off
	global_load_b128 v[53:56], v[1:2], off offset:16
	global_load_b128 v[41:44], v[3:4], off
	global_load_b128 v[45:48], v[3:4], off offset:16
	;; [unrolled: 2-line block ×5, first 2 shown]
	v_mad_i64_i32 v[145:146], null, s2, s17, v[135:136]
	v_mad_i64_i32 v[147:148], null, s3, s17, v[135:136]
	s_waitcnt vmcnt(24)
	v_wmma_f32_16x16x16_f16 v[135:142], v[17:24], v[119:126], v[111:118]
	s_waitcnt vmcnt(22)
	v_wmma_f32_16x16x16_f16 v[111:118], v[25:32], v[119:126], v[111:118]
	s_clause 0x3
	global_load_b128 v[17:20], v[143:144], off
	global_load_b128 v[21:24], v[143:144], off offset:16
	global_load_b128 v[25:28], v[145:146], off
	global_load_b128 v[29:32], v[145:146], off offset:16
	v_and_b32_e32 v119, 0xe0, v0
	s_waitcnt vmcnt(24)
	v_wmma_f32_16x16x16_f16 v[135:142], v[57:64], v[127:134], v[135:142]
	s_clause 0x1
	global_load_b128 v[57:60], v[147:148], off
	global_load_b128 v[61:64], v[147:148], off offset:16
	s_waitcnt vmcnt(24)
	v_wmma_f32_16x16x16_f16 v[111:118], v[71:78], v[127:134], v[111:118]
	ds_load_b128 v[71:74], v149 offset:4096
	ds_load_b128 v[75:78], v149 offset:5120
	v_add_nc_u32_e32 v128, s12, v119
	ds_load_b128 v[119:122], v149 offset:6144
	ds_load_b128 v[123:126], v149 offset:7168
	v_mbcnt_lo_u32_b32 v127, -1, 0
	s_waitcnt vmcnt(0) lgkmcnt(0)
	s_barrier
	v_or_b32_e32 v128, v128, v66
	buffer_gl0_inv
	v_xor_b32_e32 v129, 16, v127
	v_or_b32_e32 v130, 4, v128
	v_or_b32_e32 v131, 6, v128
	s_delay_alu instid0(VALU_DEP_3) | instskip(SKIP_4) | instid1(VALU_DEP_4)
	v_cmp_gt_i32_e32 vcc_lo, 32, v129
	v_or_b32_e32 v132, 8, v128
	v_or_b32_e32 v133, 10, v128
	v_cmp_gt_i32_e64 s3, s24, v130
	v_cmp_gt_i32_e64 s4, s24, v131
	;; [unrolled: 1-line block ×3, first 2 shown]
	v_wmma_f32_16x16x16_f16 v[135:142], v[79:86], v[71:78], v[135:142]
	v_wmma_f32_16x16x16_f16 v[111:118], v[87:94], v[71:78], v[111:118]
	v_or_b32_e32 v79, 12, v128
	v_or_b32_e32 v80, 14, v128
	v_cmp_gt_i32_e64 s6, s24, v133
	v_wmma_f32_16x16x16_f16 v[135:142], v[95:102], v[119:126], v[135:142]
	v_cndmask_b32_e32 v127, v127, v129, vcc_lo
	v_or_b32_e32 v129, 2, v128
	v_wmma_f32_16x16x16_f16 v[111:118], v[103:110], v[119:126], v[111:118]
	v_cmp_gt_i32_e32 vcc_lo, s24, v128
	v_dual_mul_f32 v88, s19, v135 :: v_dual_mul_f32 v87, s19, v136
	s_delay_alu instid0(VALU_DEP_4) | instskip(NEXT) | instid1(VALU_DEP_4)
	v_cmp_gt_i32_e64 s2, s24, v129
	v_mul_f32_e32 v94, s19, v113
	v_mul_f32_e32 v78, s19, v138
	;; [unrolled: 1-line block ×3, first 2 shown]
	v_cndmask_b32_e32 v88, 0xff7fffff, v88, vcc_lo
	v_cndmask_b32_e64 v87, 0xff7fffff, v87, s2
	v_dual_mul_f32 v76, s19, v140 :: v_dual_mul_f32 v77, s19, v139
	v_mul_f32_e32 v90, s19, v117
	v_cndmask_b32_e64 v86, 0xff7fffff, v86, s3
	v_cndmask_b32_e64 v78, 0xff7fffff, v78, s4
	v_max3_f32 v87, v88, 0xff7fffff, v87
	v_or_b32_e32 v81, 16, v128
	v_or_b32_e32 v82, 18, v128
	v_dual_mul_f32 v74, s19, v142 :: v_dual_mul_f32 v75, s19, v141
	v_mul_f32_e32 v92, s19, v115
	v_cndmask_b32_e64 v77, 0xff7fffff, v77, s5
	v_cndmask_b32_e64 v76, 0xff7fffff, v76, s6
	v_max3_f32 v78, v87, v86, v78
	v_cmp_gt_i32_e64 s7, s24, v79
	v_cmp_gt_i32_e64 s8, s24, v80
	v_or_b32_e32 v83, 20, v128
	v_or_b32_e32 v84, 22, v128
	v_dual_mul_f32 v89, s19, v118 :: v_dual_mul_f32 v96, s19, v111
	v_mul_f32_e32 v95, s19, v112
	v_cndmask_b32_e64 v75, 0xff7fffff, v75, s7
	v_cndmask_b32_e64 v74, 0xff7fffff, v74, s8
	v_max3_f32 v76, v78, v77, v76
	v_cmp_gt_i32_e64 s9, s24, v81
	v_cmp_gt_i32_e64 s10, s24, v82
	v_or_b32_e32 v85, 24, v128
	v_or_b32_e32 v71, 26, v128
	v_mul_f32_e32 v93, s19, v114
	v_cndmask_b32_e64 v77, 0xff7fffff, v96, s9
	v_cndmask_b32_e64 v78, 0xff7fffff, v95, s10
	v_max3_f32 v74, v76, v75, v74
	v_cmp_gt_i32_e64 s11, s24, v83
	v_cmp_gt_i32_e64 s12, s24, v84
	v_or_b32_e32 v72, 28, v128
	v_or_b32_e32 v73, 30, v128
	v_mul_f32_e32 v91, s19, v116
	v_cndmask_b32_e64 v75, 0xff7fffff, v94, s11
	v_cndmask_b32_e64 v76, 0xff7fffff, v93, s12
	v_max3_f32 v74, v74, v77, v78
	v_cmp_gt_i32_e64 s13, s24, v85
	v_cmp_gt_i32_e64 s15, s24, v71
	;; [unrolled: 1-line block ×4, first 2 shown]
	v_max3_f32 v74, v74, v75, v76
	v_cndmask_b32_e64 v77, 0xff7fffff, v92, s13
	v_cndmask_b32_e64 v71, 0xff7fffff, v91, s15
	;; [unrolled: 1-line block ×4, first 2 shown]
	s_delay_alu instid0(VALU_DEP_3) | instskip(SKIP_1) | instid1(VALU_DEP_2)
	v_max3_f32 v71, v74, v77, v71
	v_lshlrev_b32_e32 v74, 2, v127
	v_max3_f32 v71, v71, v72, v73
	ds_bpermute_b32 v72, v74, v71
	s_waitcnt lgkmcnt(0)
	v_max_f32_e32 v72, v72, v72
	s_delay_alu instid0(VALU_DEP_1) | instskip(NEXT) | instid1(VALU_DEP_1)
	v_max_f32_e32 v71, v71, v72
	v_fma_f32 v75, s19, v137, -v71
	v_fma_f32 v76, s19, v138, -v71
	;; [unrolled: 1-line block ×5, first 2 shown]
	s_delay_alu instid0(VALU_DEP_4) | instskip(NEXT) | instid1(VALU_DEP_4)
	v_dual_mul_f32 v75, 0x3fb8aa3b, v75 :: v_dual_mul_f32 v76, 0x3fb8aa3b, v76
	v_mul_f32_e32 v72, 0x3fb8aa3b, v72
	v_fma_f32 v77, s19, v139, -v71
	s_delay_alu instid0(VALU_DEP_4) | instskip(NEXT) | instid1(VALU_DEP_4)
	v_mul_f32_e32 v73, 0x3fb8aa3b, v73
	v_exp_f32_e32 v75, v75
	v_exp_f32_e32 v76, v76
	;; [unrolled: 1-line block ×3, first 2 shown]
	s_delay_alu instid0(VALU_DEP_1) | instskip(SKIP_2) | instid1(TRANS32_DEP_3)
	v_exp_f32_e32 v73, v73
	v_cndmask_b32_e64 v81, 0, v75, s3
	v_mul_f32_e32 v82, 0x3fb8aa3b, v80
	v_cndmask_b32_e64 v80, 0, v76, s4
	s_waitcnt_depctr 0xfff
	v_cndmask_b32_e64 v78, 0, v73, s2
	v_cmp_gt_u32_e64 s2, 16, v70
	v_exp_f32_e32 v84, v82
	s_waitcnt_depctr 0xfff
	v_cndmask_b32_e64 v85, 0, v84, s7
	v_cndmask_b32_e32 v79, 0, v72, vcc_lo
	v_fma_f32 v72, s19, v140, -v71
	v_mul_f32_e32 v77, 0x3fb8aa3b, v77
	s_delay_alu instid0(VALU_DEP_2) | instskip(NEXT) | instid1(VALU_DEP_2)
	v_dual_add_f32 v73, 0, v79 :: v_dual_mul_f32 v72, 0x3fb8aa3b, v72
	v_exp_f32_e32 v77, v77
	s_delay_alu instid0(VALU_DEP_1) | instskip(NEXT) | instid1(VALU_DEP_2)
	v_add_f32_e32 v73, v73, v78
	v_exp_f32_e32 v72, v72
	s_delay_alu instid0(VALU_DEP_1) | instskip(SKIP_4) | instid1(VALU_DEP_2)
	v_add_f32_e32 v73, v73, v81
	s_waitcnt_depctr 0xfff
	v_cndmask_b32_e64 v83, 0, v77, s5
	v_add_f32_e32 v73, v73, v80
	v_cndmask_b32_e64 v82, 0, v72, s6
	v_add_f32_e32 v72, v73, v83
	s_delay_alu instid0(VALU_DEP_1)
	v_add_f32_e32 v72, v72, v82
	v_fma_f32 v75, s19, v142, -v71
	v_fma_f32 v76, s19, v111, -v71
	;; [unrolled: 1-line block ×5, first 2 shown]
	s_delay_alu instid0(VALU_DEP_4) | instskip(NEXT) | instid1(VALU_DEP_4)
	v_dual_mul_f32 v75, 0x3fb8aa3b, v75 :: v_dual_mul_f32 v76, 0x3fb8aa3b, v76
	v_mul_f32_e32 v86, 0x3fb8aa3b, v86
	v_add_f32_e32 v72, v72, v85
	s_delay_alu instid0(VALU_DEP_3) | instskip(NEXT) | instid1(VALU_DEP_3)
	v_exp_f32_e32 v75, v75
	v_exp_f32_e32 v76, v76
	s_delay_alu instid0(VALU_DEP_2) | instskip(NEXT) | instid1(TRANS32_DEP_3)
	v_exp_f32_e32 v88, v86
	v_cndmask_b32_e64 v84, 0, v75, s8
	v_mul_f32_e32 v77, 0x3fb8aa3b, v77
	s_waitcnt_depctr 0xfff
	v_cndmask_b32_e64 v87, 0, v76, s9
	v_fma_f32 v76, s19, v116, -v71
	v_dual_mul_f32 v73, 0x3fb8aa3b, v73 :: v_dual_add_f32 v72, v72, v84
	v_exp_f32_e32 v77, v77
	v_fma_f32 v75, s19, v115, -v71
	s_delay_alu instid0(VALU_DEP_3) | instskip(NEXT) | instid1(VALU_DEP_3)
	v_mul_f32_e32 v76, 0x3fb8aa3b, v76
	v_exp_f32_e32 v73, v73
	v_add_f32_e32 v72, v72, v87
	v_cndmask_b32_e64 v88, 0, v88, s12
	s_delay_alu instid0(VALU_DEP_3) | instskip(NEXT) | instid1(TRANS32_DEP_3)
	v_exp_f32_e32 v76, v76
	v_cndmask_b32_e64 v86, 0, v77, s10
	v_mul_f32_e32 v75, 0x3fb8aa3b, v75
	v_fma_f32 v77, s19, v117, -v71
	s_delay_alu instid0(TRANS32_DEP_2) | instskip(NEXT) | instid1(VALU_DEP_4)
	v_cndmask_b32_e64 v89, 0, v73, s11
	v_add_f32_e32 v72, v72, v86
	s_delay_alu instid0(VALU_DEP_4) | instskip(NEXT) | instid1(TRANS32_DEP_2)
	v_exp_f32_e32 v75, v75
	v_cndmask_b32_e64 v90, 0, v76, s15
	s_delay_alu instid0(VALU_DEP_2) | instskip(SKIP_2) | instid1(VALU_DEP_3)
	v_add_f32_e32 v72, v72, v89
	v_mul_f32_e32 v73, 0x3fb8aa3b, v77
	v_fma_f32 v77, s19, v118, -v71
	v_add_f32_e32 v72, v72, v88
	s_delay_alu instid0(VALU_DEP_3) | instskip(NEXT) | instid1(TRANS32_DEP_2)
	v_exp_f32_e32 v73, v73
	v_cndmask_b32_e64 v91, 0, v75, s13
	s_delay_alu instid0(VALU_DEP_1) | instskip(NEXT) | instid1(VALU_DEP_1)
	v_dual_mul_f32 v75, 0x3fb8aa3b, v77 :: v_dual_add_f32 v72, v72, v91
	v_exp_f32_e32 v75, v75
	s_waitcnt_depctr 0xfff
	v_cndmask_b32_e64 v93, 0, v73, s16
	v_add_f32_e32 v72, v72, v90
	s_delay_alu instid0(VALU_DEP_1) | instskip(SKIP_1) | instid1(VALU_DEP_1)
	v_add_f32_e32 v72, v72, v93
	v_cndmask_b32_e64 v92, 0, v75, s17
	v_add_f32_e32 v72, v72, v92
	ds_bpermute_b32 v73, v74, v72
	s_and_saveexec_b32 s3, s2
	s_cbranch_execz .LBB1054_12
; %bb.11:
	v_mul_u32_u24_e32 v70, 0x44, v69
	s_waitcnt lgkmcnt(0)
	v_add_f32_e32 v72, v72, v73
	s_delay_alu instid0(VALU_DEP_2) | instskip(NEXT) | instid1(VALU_DEP_1)
	v_lshl_add_u32 v70, v68, 2, v70
	v_add_nc_u32_e32 v70, 0x4000, v70
	ds_store_2addr_b32 v70, v71, v72 offset1:136
.LBB1054_12:
	s_or_b32 exec_lo, exec_lo, s3
	v_lshlrev_b32_e32 v70, 2, v68
	s_load_b32 s35, s[0:1], 0x94
	s_waitcnt lgkmcnt(0)
	s_barrier
	buffer_gl0_inv
	v_add_nc_u32_e32 v98, 0x4000, v70
	v_cmp_eq_u32_e32 vcc_lo, 1, v69
	v_cmp_eq_u32_e64 s3, 2, v69
	v_cmp_eq_u32_e64 s4, 3, v69
	;; [unrolled: 1-line block ×3, first 2 shown]
	ds_load_2addr_b32 v[70:71], v98 offset1:17
	ds_load_2addr_b32 v[72:73], v98 offset0:34 offset1:51
	ds_load_2addr_b32 v[74:75], v98 offset0:68 offset1:85
	;; [unrolled: 1-line block ×3, first 2 shown]
	v_cmp_eq_u32_e64 s6, 5, v69
	v_cmp_eq_u32_e64 s7, 7, v69
	s_waitcnt lgkmcnt(3)
	v_max3_f32 v76, v70, 0xff7fffff, v71
	s_waitcnt lgkmcnt(2)
	s_delay_alu instid0(VALU_DEP_1) | instskip(SKIP_1) | instid1(VALU_DEP_1)
	v_max3_f32 v76, v76, v72, v73
	s_waitcnt lgkmcnt(1)
	v_max3_f32 v76, v76, v74, v75
	s_waitcnt lgkmcnt(0)
	s_delay_alu instid0(VALU_DEP_1) | instskip(NEXT) | instid1(VALU_DEP_1)
	v_max3_f32 v76, v76, v94, v95
	v_sub_f32_e32 v77, v71, v76
	ds_load_2addr_b32 v[96:97], v98 offset0:136 offset1:153
	v_sub_f32_e32 v74, v74, v76
	v_sub_f32_e32 v70, v70, v76
	;; [unrolled: 1-line block ×3, first 2 shown]
	v_dual_sub_f32 v72, v72, v76 :: v_dual_mul_f32 v77, 0x3fb8aa3b, v77
	s_delay_alu instid0(VALU_DEP_4) | instskip(NEXT) | instid1(VALU_DEP_4)
	v_mul_f32_e32 v103, 0x3fb8aa3b, v74
	v_mul_f32_e32 v99, 0x3fb8aa3b, v70
	ds_load_2addr_b32 v[70:71], v98 offset0:170 offset1:187
	v_dual_mul_f32 v101, 0x3fb8aa3b, v72 :: v_dual_mul_f32 v94, 0x3fb8aa3b, v94
	v_exp_f32_e32 v102, v77
	v_exp_f32_e32 v99, v99
	s_delay_alu instid0(VALU_DEP_1) | instskip(NEXT) | instid1(VALU_DEP_1)
	v_exp_f32_e32 v101, v101
	v_exp_f32_e32 v94, v94
	s_waitcnt lgkmcnt(1)
	s_delay_alu instid0(TRANS32_DEP_3)
	v_fma_f32 v77, v99, v96, 0
	v_sub_f32_e32 v100, v73, v76
	ds_load_2addr_b32 v[72:73], v98 offset0:204 offset1:221
	v_fmac_f32_e32 v77, v102, v97
	v_exp_f32_e32 v97, v103
	s_waitcnt lgkmcnt(1)
	s_delay_alu instid0(VALU_DEP_1)
	v_dual_fmac_f32 v77, v101, v70 :: v_dual_sub_f32 v96, v75, v76
	ds_load_2addr_b32 v[74:75], v98 offset0:238 offset1:255
	v_sub_f32_e32 v70, v95, v76
	s_waitcnt lgkmcnt(0)
	s_barrier
	v_mul_f32_e32 v96, 0x3fb8aa3b, v96
	buffer_gl0_inv
	v_exp_f32_e32 v95, v96
	v_mul_f32_e32 v100, 0x3fb8aa3b, v100
	s_delay_alu instid0(VALU_DEP_1) | instskip(SKIP_3) | instid1(VALU_DEP_2)
	v_exp_f32_e32 v100, v100
	s_waitcnt_depctr 0xfff
	v_dual_fmac_f32 v77, v100, v71 :: v_dual_mul_f32 v70, 0x3fb8aa3b, v70
	v_cndmask_b32_e32 v71, v99, v102, vcc_lo
	v_fmac_f32_e32 v77, v97, v72
	s_delay_alu instid0(VALU_DEP_3) | instskip(NEXT) | instid1(VALU_DEP_1)
	v_exp_f32_e32 v96, v70
	v_fmac_f32_e32 v77, v95, v73
	s_delay_alu instid0(VALU_DEP_1) | instskip(SKIP_2) | instid1(VALU_DEP_1)
	v_fmac_f32_e32 v77, v94, v74
	s_waitcnt_depctr 0xfff
	v_fmac_f32_e32 v77, v96, v75
	v_add_f32_e32 v74, 0x358637bd, v77
	s_delay_alu instid0(VALU_DEP_1) | instskip(SKIP_1) | instid1(VALU_DEP_2)
	v_div_scale_f32 v98, null, v74, v74, 1.0
	v_div_scale_f32 v99, vcc_lo, 1.0, v74, 1.0
	v_rcp_f32_e32 v103, v98
	s_waitcnt_depctr 0xfff
	v_fma_f32 v70, -v98, v103, 1.0
	s_delay_alu instid0(VALU_DEP_1) | instskip(SKIP_2) | instid1(VALU_DEP_2)
	v_fmac_f32_e32 v103, v70, v103
	v_cndmask_b32_e64 v70, v71, v101, s3
	v_cmp_eq_u32_e64 s3, 6, v69
	v_cndmask_b32_e64 v71, v70, v100, s4
	s_delay_alu instid0(VALU_DEP_4) | instskip(NEXT) | instid1(VALU_DEP_2)
	v_dual_mul_f32 v101, v99, v103 :: v_dual_lshlrev_b32 v70, 2, v66
	v_cndmask_b32_e64 v71, v71, v97, s5
	s_delay_alu instid0(VALU_DEP_2) | instskip(NEXT) | instid1(VALU_DEP_3)
	v_or_b32_e32 v72, 1, v70
	v_fma_f32 v100, -v98, v101, v99
	v_cmp_eq_u32_e64 s4, 1, v70
	v_cmp_eq_u32_e64 s5, 2, v70
	v_cndmask_b32_e64 v95, v71, v95, s6
	v_or_b32_e32 v71, 3, v70
	v_fmac_f32_e32 v101, v100, v103
	v_cmp_eq_u32_e64 s9, 1, v72
	v_cmp_eq_u32_e64 s12, 2, v72
	v_cndmask_b32_e64 v94, v95, v94, s3
	v_cmp_eq_u32_e64 s11, 1, v71
	v_fma_f32 v97, -v98, v101, v99
	v_cmp_eq_u32_e64 s16, 2, v71
	v_cmp_eq_u32_e64 s13, 3, v72
	v_cndmask_b32_e64 v94, v94, v96, s7
	v_cmp_eq_u32_e64 s18, 3, v71
	v_div_fmas_f32 v95, v97, v103, v101
	v_cmp_eq_u32_e32 vcc_lo, 3, v70
	v_cmp_eq_u32_e64 s3, 4, v70
	v_cmp_eq_u32_e64 s19, 4, v72
	;; [unrolled: 1-line block ×3, first 2 shown]
	v_div_fixup_f32 v95, v95, v74, 1.0
	v_lshlrev_b32_e32 v73, 6, v68
	v_cmp_eq_u32_e64 s6, 5, v70
	v_cmp_eq_u32_e64 s20, 5, v72
	;; [unrolled: 1-line block ×3, first 2 shown]
	v_mul_f32_e32 v102, v94, v95
	v_lshl_or_b32 v75, v69, 11, v73
	v_or_b32_e32 v69, 2, v70
	v_cmp_eq_u32_e64 s25, 6, v72
	v_cmp_eq_u32_e64 s27, 6, v71
	v_fma_mixlo_f16 v94, v102, v79, 0
	v_fma_mixlo_f16 v95, v102, v81, 0
	;; [unrolled: 1-line block ×8, first 2 shown]
	v_lshl_or_b32 v74, v66, 4, v75
	v_fma_mixhi_f16 v94, v102, v78, 0
	v_fma_mixhi_f16 v95, v102, v80, 0
	;; [unrolled: 1-line block ×8, first 2 shown]
	ds_store_b128 v74, v[94:97]
	ds_store_b128 v74, v[98:101] offset:1024
	s_waitcnt lgkmcnt(0)
	s_barrier
	buffer_gl0_inv
	ds_load_b128 v[78:81], v75
	ds_load_b128 v[82:85], v75 offset:16
	ds_load_b128 v[86:89], v75 offset:1024
	;; [unrolled: 1-line block ×3, first 2 shown]
	v_cmp_eq_u32_e64 s10, 1, v69
	v_cmp_eq_u32_e64 s15, 2, v69
	;; [unrolled: 1-line block ×11, first 2 shown]
	s_waitcnt lgkmcnt(3)
	v_lshrrev_b32_e32 v94, 16, v78
	s_waitcnt lgkmcnt(2)
	v_lshrrev_b32_e32 v98, 16, v82
	;; [unrolled: 2-line block ×4, first 2 shown]
	v_lshrrev_b32_e32 v95, 16, v79
	v_cndmask_b32_e64 v110, v78, v94, s4
	v_cndmask_b32_e64 v111, v82, v98, s4
	;; [unrolled: 1-line block ×8, first 2 shown]
	v_lshrrev_b32_e32 v99, 16, v83
	v_cndmask_b32_e64 v94, v86, v102, s4
	v_cndmask_b32_e64 v98, v90, v106, s4
	;; [unrolled: 1-line block ×15, first 2 shown]
	v_lshrrev_b32_e32 v103, 16, v87
	v_lshrrev_b32_e32 v107, 16, v91
	v_cndmask_b32_e64 v113, v115, v83, s15
	v_cndmask_b32_e64 v82, v94, v87, s5
	;; [unrolled: 1-line block ×7, first 2 shown]
	v_cndmask_b32_e32 v90, v102, v95, vcc_lo
	v_cndmask_b32_e32 v102, v106, v99, vcc_lo
	v_cndmask_b32_e64 v106, v110, v95, s13
	v_cndmask_b32_e64 v110, v111, v99, s13
	;; [unrolled: 1-line block ×4, first 2 shown]
	v_lshrrev_b32_e32 v96, 16, v80
	v_lshrrev_b32_e32 v100, 16, v84
	v_cndmask_b32_e64 v111, v112, v95, s17
	v_cndmask_b32_e64 v112, v113, v99, s17
	v_cndmask_b32_e32 v82, v82, v103, vcc_lo
	v_cndmask_b32_e32 v83, v83, v107, vcc_lo
	v_cndmask_b32_e64 v94, v94, v103, s13
	v_cndmask_b32_e64 v90, v90, v80, s3
	;; [unrolled: 1-line block ×7, first 2 shown]
	v_lshrrev_b32_e32 v104, 16, v88
	v_cndmask_b32_e64 v106, v111, v80, s21
	v_cndmask_b32_e64 v110, v112, v84, s21
	;; [unrolled: 1-line block ×11, first 2 shown]
	v_lshrrev_b32_e32 v97, 16, v81
	v_lshrrev_b32_e32 v101, 16, v85
	v_cndmask_b32_e64 v99, v106, v96, s23
	v_cndmask_b32_e64 v102, v110, v100, s23
	v_cndmask_b32_e64 v83, v83, v104, s20
	v_cndmask_b32_e64 v94, v94, v81, s25
	v_cndmask_b32_e64 v95, v95, v85, s25
	v_cndmask_b32_e64 v78, v78, v81, s27
	v_cndmask_b32_e64 v79, v79, v85, s27
	v_lshrrev_b32_e32 v105, 16, v89
	v_cndmask_b32_e64 v80, v80, v104, s6
	v_cndmask_b32_e64 v84, v84, v81, s7
	;; [unrolled: 1-line block ×16, first 2 shown]
	v_perm_b32 v81, v79, v78, 0x5040100
	v_perm_b32 v79, v95, v85, 0x5040100
	v_cndmask_b32_e64 v78, v119, v91, s15
	v_cndmask_b32_e64 v85, v117, v91, s12
	;; [unrolled: 1-line block ×3, first 2 shown]
	v_perm_b32 v80, v94, v90, 0x5040100
	v_cndmask_b32_e64 v90, v98, v103, s17
	v_cndmask_b32_e64 v86, v86, v103, s18
	;; [unrolled: 1-line block ×5, first 2 shown]
	v_lshrrev_b32_e32 v108, 16, v92
	v_cndmask_b32_e64 v90, v90, v88, s21
	v_cndmask_b32_e64 v86, v86, v88, s22
	;; [unrolled: 1-line block ×11, first 2 shown]
	v_lshrrev_b32_e32 v109, 16, v93
	v_cndmask_b32_e64 v82, v82, v93, s7
	v_cndmask_b32_e64 v88, v88, v89, s26
	;; [unrolled: 1-line block ×12, first 2 shown]
	v_perm_b32 v78, v84, v83, 0x5040100
	v_perm_b32 v85, v87, v86, 0x5040100
	;; [unrolled: 1-line block ×5, first 2 shown]
	s_mul_i32 s8, s33, 5
	s_mov_b32 s3, exec_lo
	ds_store_b128 v74, v[78:81]
	ds_store_b128 v74, v[82:85] offset:1024
	v_cmpx_gt_u32_e32 5, v0
	s_cbranch_execz .LBB1054_14
; %bb.13:
	s_mul_i32 s4, s8, s34
	s_delay_alu instid0(SALU_CYCLE_1) | instskip(SKIP_1) | instid1(VALU_DEP_1)
	v_add3_u32 v68, s4, s31, v68
	s_load_b128 s[4:7], s[0:1], 0x58
	v_mad_u64_u32 v[78:79], null, v68, s35, s[14:15]
	s_delay_alu instid0(VALU_DEP_1) | instskip(NEXT) | instid1(VALU_DEP_1)
	v_ashrrev_i32_e32 v79, 31, v78
	v_lshlrev_b64 v[78:79], 2, v[78:79]
	s_waitcnt lgkmcnt(0)
	s_delay_alu instid0(VALU_DEP_1) | instskip(NEXT) | instid1(VALU_DEP_2)
	v_add_co_u32 v80, vcc_lo, s6, v78
	v_add_co_ci_u32_e32 v81, vcc_lo, s7, v79, vcc_lo
	v_add_co_u32 v78, vcc_lo, s4, v78
	v_add_co_ci_u32_e32 v79, vcc_lo, s5, v79, vcc_lo
	global_store_b32 v[80:81], v76, off
	global_store_b32 v[78:79], v77, off
.LBB1054_14:
	s_or_b32 exec_lo, exec_lo, s3
	s_waitcnt lgkmcnt(0)
	s_waitcnt_vscnt null, 0x0
	s_barrier
	buffer_gl0_inv
	ds_load_b128 v[84:87], v73
	ds_load_b128 v[88:91], v73 offset:16
	ds_load_b128 v[96:99], v73 offset:2064
	ds_load_b128 v[92:95], v73 offset:2048
	ds_load_b128 v[104:107], v73 offset:4112
	ds_load_b128 v[100:103], v73 offset:4096
	v_cmp_eq_u32_e32 vcc_lo, 1, v70
	v_mov_b32_e32 v76, 0
	ds_load_b128 v[112:115], v73 offset:6160
	ds_load_b128 v[108:111], v73 offset:6144
	;; [unrolled: 1-line block ×4, first 2 shown]
	v_cmp_eq_u32_e64 s4, 1, v69
	v_cmp_eq_u32_e64 s3, 1, v72
	;; [unrolled: 1-line block ×3, first 2 shown]
	v_mov_b32_e32 v77, v76
	v_mov_b32_e32 v78, v76
	;; [unrolled: 1-line block ×7, first 2 shown]
	v_cmp_eq_u32_e64 s6, 3, v72
	v_cmp_eq_u32_e64 s7, 7, v72
	s_waitcnt lgkmcnt(8)
	s_delay_alu instid0(VALU_DEP_3)
	v_wmma_f32_16x16x16_f16 v[76:83], v[49:56], v[84:91], v[76:83]
	ds_load_b128 v[53:56], v73 offset:10256
	ds_load_b128 v[49:52], v73 offset:10240
	s_waitcnt lgkmcnt(8)
	v_wmma_f32_16x16x16_f16 v[76:83], v[41:48], v[92:99], v[76:83]
	ds_load_b128 v[45:48], v73 offset:12304
	ds_load_b128 v[41:44], v73 offset:12288
	s_waitcnt lgkmcnt(8)
	;; [unrolled: 4-line block ×3, first 2 shown]
	s_barrier
	buffer_gl0_inv
	v_wmma_f32_16x16x16_f16 v[76:83], v[1:8], v[108:115], v[76:83]
	s_delay_alu instid0(VALU_DEP_1) | instskip(NEXT) | instid1(VALU_DEP_1)
	v_wmma_f32_16x16x16_f16 v[76:83], v[9:16], v[116:123], v[76:83]
	v_wmma_f32_16x16x16_f16 v[76:83], v[17:24], v[49:56], v[76:83]
	s_delay_alu instid0(VALU_DEP_1) | instskip(NEXT) | instid1(VALU_DEP_1)
	v_wmma_f32_16x16x16_f16 v[76:83], v[25:32], v[41:48], v[76:83]
	v_wmma_f32_16x16x16_f16 v[76:83], v[57:64], v[33:40], v[76:83]
	s_delay_alu instid0(VALU_DEP_1) | instskip(NEXT) | instid1(VALU_DEP_2)
	v_cvt_f16_f32_e32 v1, v76
	v_cvt_f16_f32_e32 v2, v77
	s_delay_alu instid0(VALU_DEP_3) | instskip(NEXT) | instid1(VALU_DEP_4)
	v_cvt_f16_f32_e32 v3, v78
	v_cvt_f16_f32_e32 v4, v79
	;; [unrolled: 1-line block ×6, first 2 shown]
	v_pack_b32_f16 v1, v1, v2
	v_pack_b32_f16 v2, v3, v4
	;; [unrolled: 1-line block ×3, first 2 shown]
	s_delay_alu instid0(VALU_DEP_4)
	v_pack_b32_f16 v4, v7, v8
	ds_store_b128 v74, v[1:4]
	s_waitcnt lgkmcnt(0)
	s_barrier
	buffer_gl0_inv
	ds_load_b128 v[1:4], v75
	ds_load_b128 v[5:8], v75 offset:16
	s_waitcnt lgkmcnt(1)
	v_lshrrev_b32_e32 v9, 16, v1
	s_waitcnt lgkmcnt(0)
	v_lshrrev_b32_e32 v13, 16, v5
	v_lshrrev_b32_e32 v10, 16, v2
	;; [unrolled: 1-line block ×4, first 2 shown]
	v_cndmask_b32_e32 v17, v1, v9, vcc_lo
	v_cndmask_b32_e32 v18, v5, v13, vcc_lo
	v_cndmask_b32_e64 v21, v1, v9, s4
	v_cmp_eq_u32_e32 vcc_lo, 1, v71
	v_cndmask_b32_e64 v22, v5, v13, s4
	v_cmp_eq_u32_e64 s4, 2, v70
	v_cndmask_b32_e64 v19, v1, v9, s3
	v_cndmask_b32_e64 v20, v5, v13, s3
	v_cndmask_b32_e32 v1, v1, v9, vcc_lo
	v_cmp_eq_u32_e64 s3, 2, v71
	v_cndmask_b32_e32 v5, v5, v13, vcc_lo
	v_cndmask_b32_e64 v9, v17, v2, s4
	v_cmp_eq_u32_e32 vcc_lo, 3, v70
	v_cndmask_b32_e64 v13, v18, v6, s4
	v_cmp_eq_u32_e64 s4, 2, v69
	v_cndmask_b32_e64 v17, v19, v2, s5
	v_cndmask_b32_e64 v18, v20, v6, s5
	v_cmp_eq_u32_e64 s5, 3, v69
	v_cndmask_b32_e64 v1, v1, v2, s3
	v_cndmask_b32_e64 v19, v21, v2, s4
	;; [unrolled: 1-line block ×4, first 2 shown]
	v_cndmask_b32_e32 v5, v9, v10, vcc_lo
	v_cndmask_b32_e32 v6, v13, v14, vcc_lo
	v_cmp_eq_u32_e32 vcc_lo, 3, v71
	v_cndmask_b32_e64 v9, v17, v10, s6
	v_cndmask_b32_e64 v13, v18, v14, s6
	;; [unrolled: 1-line block ×3, first 2 shown]
	v_cmp_eq_u32_e64 s4, 4, v70
	v_cndmask_b32_e32 v1, v1, v10, vcc_lo
	v_cndmask_b32_e32 v2, v2, v14, vcc_lo
	v_cmp_eq_u32_e32 vcc_lo, 4, v72
	v_lshrrev_b32_e32 v15, 16, v7
	v_lshrrev_b32_e32 v16, 16, v8
	v_cndmask_b32_e64 v17, v19, v10, s5
	v_cmp_eq_u32_e64 s3, 4, v71
	v_cndmask_b32_e64 v5, v5, v3, s4
	v_cndmask_b32_e64 v6, v6, v7, s4
	v_cndmask_b32_e32 v9, v9, v3, vcc_lo
	v_cmp_eq_u32_e64 s4, 5, v72
	v_cndmask_b32_e32 v10, v13, v7, vcc_lo
	v_cmp_eq_u32_e32 vcc_lo, 4, v69
	v_cmp_eq_u32_e64 s5, 5, v70
	v_cndmask_b32_e64 v2, v2, v7, s3
	v_cndmask_b32_e64 v9, v9, v11, s4
	;; [unrolled: 1-line block ×3, first 2 shown]
	v_cndmask_b32_e32 v13, v17, v3, vcc_lo
	v_cmp_eq_u32_e64 s4, 5, v69
	v_cndmask_b32_e32 v14, v18, v7, vcc_lo
	v_cndmask_b32_e64 v1, v1, v3, s3
	v_cmp_eq_u32_e32 vcc_lo, 5, v71
	v_lshrrev_b32_e32 v12, 16, v4
	v_cndmask_b32_e64 v13, v13, v11, s4
	v_cndmask_b32_e64 v3, v14, v15, s4
	v_cmp_eq_u32_e64 s4, 6, v71
	v_cndmask_b32_e32 v1, v1, v11, vcc_lo
	v_cndmask_b32_e64 v5, v5, v11, s5
	v_cmp_eq_u32_e64 s6, 6, v70
	v_cndmask_b32_e64 v6, v6, v15, s5
	v_cmp_eq_u32_e64 s5, 6, v72
	v_cmp_eq_u32_e64 s3, 6, v69
	v_cndmask_b32_e64 v1, v1, v4, s4
	v_cndmask_b32_e32 v2, v2, v15, vcc_lo
	v_cmp_eq_u32_e32 vcc_lo, 7, v71
	v_cndmask_b32_e64 v5, v5, v4, s6
	v_cndmask_b32_e64 v9, v9, v4, s5
	;; [unrolled: 1-line block ×3, first 2 shown]
	v_cmp_eq_u32_e64 s6, 7, v70
	v_cndmask_b32_e32 v1, v1, v12, vcc_lo
	v_cndmask_b32_e64 v7, v13, v4, s3
	v_cndmask_b32_e64 v3, v3, v8, s3
	;; [unrolled: 1-line block ×3, first 2 shown]
	v_cmp_eq_u32_e64 s3, 7, v69
	v_cndmask_b32_e64 v4, v10, v8, s5
	v_cndmask_b32_e64 v5, v5, v12, s6
	;; [unrolled: 1-line block ×3, first 2 shown]
	v_cndmask_b32_e32 v2, v2, v16, vcc_lo
	v_cndmask_b32_e64 v7, v7, v12, s3
	v_cndmask_b32_e64 v3, v3, v16, s3
	;; [unrolled: 1-line block ×4, first 2 shown]
	v_perm_b32 v4, v2, v1, 0x5040100
	s_mov_b32 s3, exec_lo
	v_perm_b32 v3, v3, v7, 0x5040100
	v_perm_b32 v2, v8, v9, 0x5040100
	;; [unrolled: 1-line block ×3, first 2 shown]
	ds_store_b128 v74, v[1:4]
	s_waitcnt lgkmcnt(0)
	s_barrier
	buffer_gl0_inv
	v_cmpx_gt_u32_e32 32, v0
	s_cbranch_execz .LBB1054_2
; %bb.15:
	s_load_b64 s[4:5], s[0:1], 0x68
	v_lshlrev_b32_e32 v0, 10, v0
	v_add_nc_u32_e32 v2, s31, v66
	v_lshlrev_b32_e32 v3, 4, v67
	s_lshl_b32 s0, s35, 7
	s_delay_alu instid0(SALU_CYCLE_1) | instskip(NEXT) | instid1(VALU_DEP_2)
	s_mul_i32 s1, s0, s34
	v_mul_lo_u32 v1, v2, s0
	s_delay_alu instid0(VALU_DEP_2) | instskip(SKIP_2) | instid1(SALU_CYCLE_1)
	v_and_or_b32 v0, 0x3800, v0, v3
	v_add_nc_u32_e32 v2, 2, v2
	s_mul_i32 s6, s1, s8
	s_ashr_i32 s7, s6, 31
	s_delay_alu instid0(VALU_DEP_2)
	v_lshl_or_b32 v7, v66, 6, v0
	s_lshl_b64 s[6:7], s[6:7], 1
	v_mul_lo_u32 v11, v2, s0
	v_ashrrev_i32_e32 v2, 31, v1
	ds_load_b128 v[3:6], v7
	ds_load_b128 v[7:10], v7 offset:128
	s_waitcnt lgkmcnt(0)
	s_add_u32 s1, s4, s6
	s_addc_u32 s3, s5, s7
	s_lshl_b32 s4, s14, 7
	v_ashrrev_i32_e32 v12, 31, v11
	s_ashr_i32 s5, s4, 31
	v_lshlrev_b64 v[13:14], 1, v[1:2]
	s_lshl_b64 s[4:5], s[4:5], 1
	s_delay_alu instid0(SALU_CYCLE_1) | instskip(SKIP_2) | instid1(VALU_DEP_1)
	s_add_u32 s1, s1, s4
	s_addc_u32 s3, s3, s5
	v_add_co_u32 v1, s1, s1, v65
	v_add_co_ci_u32_e64 v2, null, s3, 0, s1
	v_lshlrev_b64 v[11:12], 1, v[11:12]
	s_delay_alu instid0(VALU_DEP_3) | instskip(NEXT) | instid1(VALU_DEP_3)
	v_add_co_u32 v13, vcc_lo, v1, v13
	v_add_co_ci_u32_e32 v14, vcc_lo, v2, v14, vcc_lo
	s_delay_alu instid0(VALU_DEP_3) | instskip(NEXT) | instid1(VALU_DEP_4)
	v_add_co_u32 v11, vcc_lo, v1, v11
	v_add_co_ci_u32_e32 v12, vcc_lo, v2, v12, vcc_lo
	s_clause 0x1
	global_store_b128 v[13:14], v[3:6], off
	global_store_b128 v[11:12], v[7:10], off
	s_and_b32 exec_lo, exec_lo, s2
	s_cbranch_execz .LBB1054_2
; %bb.16:
	ds_load_b128 v[3:6], v0 offset:256
	s_add_i32 s1, s31, 4
	s_delay_alu instid0(SALU_CYCLE_1) | instskip(NEXT) | instid1(SALU_CYCLE_1)
	s_mul_i32 s0, s1, s0
	s_ashr_i32 s1, s0, 31
	s_delay_alu instid0(SALU_CYCLE_1) | instskip(NEXT) | instid1(SALU_CYCLE_1)
	s_lshl_b64 s[0:1], s[0:1], 1
	v_add_co_u32 v0, vcc_lo, v1, s0
	v_add_co_ci_u32_e32 v1, vcc_lo, s1, v2, vcc_lo
	s_waitcnt lgkmcnt(0)
	global_store_b128 v[0:1], v[3:6], off
	s_nop 0
	s_sendmsg sendmsg(MSG_DEALLOC_VGPRS)
	s_endpgm
	.section	.rodata,"a",@progbits
	.p2align	6, 0x0
	.amdhsa_kernel _Z39paged_attention_ll4mi_QKV_mfma16_kernelIDF16_hLN4vllm18Fp8KVCacheDataTypeE1EDF16_Li32ELi128ELi256ELb1ELi5EL8MFMAType1EEvPKT_PKT0_S8_ifPKiSA_SA_iPKfiiiPfSD_PS3_PT2_iSC_SC_
		.amdhsa_group_segment_fixed_size 17472
		.amdhsa_private_segment_fixed_size 0
		.amdhsa_kernarg_size 400
		.amdhsa_user_sgpr_count 13
		.amdhsa_user_sgpr_dispatch_ptr 0
		.amdhsa_user_sgpr_queue_ptr 0
		.amdhsa_user_sgpr_kernarg_segment_ptr 1
		.amdhsa_user_sgpr_dispatch_id 0
		.amdhsa_user_sgpr_private_segment_size 0
		.amdhsa_wavefront_size32 1
		.amdhsa_uses_dynamic_stack 0
		.amdhsa_enable_private_segment 0
		.amdhsa_system_sgpr_workgroup_id_x 1
		.amdhsa_system_sgpr_workgroup_id_y 1
		.amdhsa_system_sgpr_workgroup_id_z 1
		.amdhsa_system_sgpr_workgroup_info 0
		.amdhsa_system_vgpr_workitem_id 0
		.amdhsa_next_free_vgpr 150
		.amdhsa_next_free_sgpr 37
		.amdhsa_reserve_vcc 1
		.amdhsa_float_round_mode_32 0
		.amdhsa_float_round_mode_16_64 0
		.amdhsa_float_denorm_mode_32 3
		.amdhsa_float_denorm_mode_16_64 3
		.amdhsa_dx10_clamp 1
		.amdhsa_ieee_mode 1
		.amdhsa_fp16_overflow 0
		.amdhsa_workgroup_processor_mode 1
		.amdhsa_memory_ordered 1
		.amdhsa_forward_progress 0
		.amdhsa_shared_vgpr_count 0
		.amdhsa_exception_fp_ieee_invalid_op 0
		.amdhsa_exception_fp_denorm_src 0
		.amdhsa_exception_fp_ieee_div_zero 0
		.amdhsa_exception_fp_ieee_overflow 0
		.amdhsa_exception_fp_ieee_underflow 0
		.amdhsa_exception_fp_ieee_inexact 0
		.amdhsa_exception_int_div_zero 0
	.end_amdhsa_kernel
	.section	.text._Z39paged_attention_ll4mi_QKV_mfma16_kernelIDF16_hLN4vllm18Fp8KVCacheDataTypeE1EDF16_Li32ELi128ELi256ELb1ELi5EL8MFMAType1EEvPKT_PKT0_S8_ifPKiSA_SA_iPKfiiiPfSD_PS3_PT2_iSC_SC_,"axG",@progbits,_Z39paged_attention_ll4mi_QKV_mfma16_kernelIDF16_hLN4vllm18Fp8KVCacheDataTypeE1EDF16_Li32ELi128ELi256ELb1ELi5EL8MFMAType1EEvPKT_PKT0_S8_ifPKiSA_SA_iPKfiiiPfSD_PS3_PT2_iSC_SC_,comdat
.Lfunc_end1054:
	.size	_Z39paged_attention_ll4mi_QKV_mfma16_kernelIDF16_hLN4vllm18Fp8KVCacheDataTypeE1EDF16_Li32ELi128ELi256ELb1ELi5EL8MFMAType1EEvPKT_PKT0_S8_ifPKiSA_SA_iPKfiiiPfSD_PS3_PT2_iSC_SC_, .Lfunc_end1054-_Z39paged_attention_ll4mi_QKV_mfma16_kernelIDF16_hLN4vllm18Fp8KVCacheDataTypeE1EDF16_Li32ELi128ELi256ELb1ELi5EL8MFMAType1EEvPKT_PKT0_S8_ifPKiSA_SA_iPKfiiiPfSD_PS3_PT2_iSC_SC_
                                        ; -- End function
	.section	.AMDGPU.csdata,"",@progbits
; Kernel info:
; codeLenInByte = 6660
; NumSgprs: 39
; NumVgprs: 150
; ScratchSize: 0
; MemoryBound: 0
; FloatMode: 240
; IeeeMode: 1
; LDSByteSize: 17472 bytes/workgroup (compile time only)
; SGPRBlocks: 4
; VGPRBlocks: 18
; NumSGPRsForWavesPerEU: 39
; NumVGPRsForWavesPerEU: 150
; Occupancy: 9
; WaveLimiterHint : 1
; COMPUTE_PGM_RSRC2:SCRATCH_EN: 0
; COMPUTE_PGM_RSRC2:USER_SGPR: 13
; COMPUTE_PGM_RSRC2:TRAP_HANDLER: 0
; COMPUTE_PGM_RSRC2:TGID_X_EN: 1
; COMPUTE_PGM_RSRC2:TGID_Y_EN: 1
; COMPUTE_PGM_RSRC2:TGID_Z_EN: 1
; COMPUTE_PGM_RSRC2:TIDIG_COMP_CNT: 0
	.section	.text._Z39paged_attention_ll4mi_QKV_mfma16_kernelIDF16_hLN4vllm18Fp8KVCacheDataTypeE1EDF16_Li32ELi128ELi256ELb1ELi6EL8MFMAType1EEvPKT_PKT0_S8_ifPKiSA_SA_iPKfiiiPfSD_PS3_PT2_iSC_SC_,"axG",@progbits,_Z39paged_attention_ll4mi_QKV_mfma16_kernelIDF16_hLN4vllm18Fp8KVCacheDataTypeE1EDF16_Li32ELi128ELi256ELb1ELi6EL8MFMAType1EEvPKT_PKT0_S8_ifPKiSA_SA_iPKfiiiPfSD_PS3_PT2_iSC_SC_,comdat
	.protected	_Z39paged_attention_ll4mi_QKV_mfma16_kernelIDF16_hLN4vllm18Fp8KVCacheDataTypeE1EDF16_Li32ELi128ELi256ELb1ELi6EL8MFMAType1EEvPKT_PKT0_S8_ifPKiSA_SA_iPKfiiiPfSD_PS3_PT2_iSC_SC_ ; -- Begin function _Z39paged_attention_ll4mi_QKV_mfma16_kernelIDF16_hLN4vllm18Fp8KVCacheDataTypeE1EDF16_Li32ELi128ELi256ELb1ELi6EL8MFMAType1EEvPKT_PKT0_S8_ifPKiSA_SA_iPKfiiiPfSD_PS3_PT2_iSC_SC_
	.globl	_Z39paged_attention_ll4mi_QKV_mfma16_kernelIDF16_hLN4vllm18Fp8KVCacheDataTypeE1EDF16_Li32ELi128ELi256ELb1ELi6EL8MFMAType1EEvPKT_PKT0_S8_ifPKiSA_SA_iPKfiiiPfSD_PS3_PT2_iSC_SC_
	.p2align	8
	.type	_Z39paged_attention_ll4mi_QKV_mfma16_kernelIDF16_hLN4vllm18Fp8KVCacheDataTypeE1EDF16_Li32ELi128ELi256ELb1ELi6EL8MFMAType1EEvPKT_PKT0_S8_ifPKiSA_SA_iPKfiiiPfSD_PS3_PT2_iSC_SC_,@function
_Z39paged_attention_ll4mi_QKV_mfma16_kernelIDF16_hLN4vllm18Fp8KVCacheDataTypeE1EDF16_Li32ELi128ELi256ELb1ELi6EL8MFMAType1EEvPKT_PKT0_S8_ifPKiSA_SA_iPKfiiiPfSD_PS3_PT2_iSC_SC_: ; @_Z39paged_attention_ll4mi_QKV_mfma16_kernelIDF16_hLN4vllm18Fp8KVCacheDataTypeE1EDF16_Li32ELi128ELi256ELb1ELi6EL8MFMAType1EEvPKT_PKT0_S8_ifPKiSA_SA_iPKfiiiPfSD_PS3_PT2_iSC_SC_
; %bb.0:
	s_load_b64 s[4:5], s[0:1], 0x30
	s_mov_b32 s30, s13
	s_waitcnt lgkmcnt(0)
	s_cmp_lg_u64 s[4:5], 0
	s_cselect_b32 s8, -1, 0
	s_ashr_i32 s31, s13, 31
	s_cmp_eq_u64 s[4:5], 0
	s_cbranch_scc1 .LBB1055_3
; %bb.1:
	s_lshl_b64 s[2:3], s[30:31], 2
	s_delay_alu instid0(SALU_CYCLE_1) | instskip(SKIP_4) | instid1(SALU_CYCLE_1)
	s_add_u32 s2, s4, s2
	s_addc_u32 s3, s5, s3
	s_load_b64 s[2:3], s[2:3], 0x0
	s_waitcnt lgkmcnt(0)
	s_sub_i32 s2, s3, s2
	s_cmp_eq_u32 s2, 1
	s_cselect_b32 s2, -1, 0
	s_delay_alu instid0(SALU_CYCLE_1)
	s_and_not1_b32 vcc_lo, exec_lo, s2
	s_cbranch_vccz .LBB1055_4
.LBB1055_2:
	s_endpgm
.LBB1055_3:
.LBB1055_4:
	s_load_b64 s[2:3], s[0:1], 0x28
	s_lshl_b64 s[6:7], s[30:31], 2
	s_waitcnt lgkmcnt(0)
	s_add_u32 s2, s2, s6
	s_addc_u32 s3, s3, s7
	s_lshl_b32 s12, s14, 8
	s_load_b32 s24, s[2:3], 0x0
	s_waitcnt lgkmcnt(0)
	s_cmp_ge_i32 s12, s24
	s_cbranch_scc1 .LBB1055_2
; %bb.5:
	s_clause 0x1
	s_load_b128 s[20:23], s[0:1], 0x8
	s_load_b64 s[2:3], s[0:1], 0x20
	s_and_not1_b32 vcc_lo, exec_lo, s8
	s_cbranch_vccnz .LBB1055_7
; %bb.6:
	s_add_u32 s4, s4, s6
	s_addc_u32 s5, s5, s7
	s_load_b32 s5, s[4:5], 0x0
	s_branch .LBB1055_8
.LBB1055_7:
	s_mov_b32 s5, s30
.LBB1055_8:
	s_load_b128 s[16:19], s[0:1], 0x48
	v_and_b32_e32 v68, 15, v0
	v_lshrrev_b32_e32 v69, 5, v0
	v_and_b32_e32 v70, 31, v0
	v_and_b32_e32 v67, 1, v0
	v_bfe_u32 v66, v0, 4, 1
	v_lshlrev_b32_e32 v1, 3, v68
	s_mul_i32 s31, s15, 6
	s_mov_b32 s4, exec_lo
	s_delay_alu instid0(VALU_DEP_1)
	v_lshlrev_b32_e32 v65, 1, v1
	v_cmpx_gt_u32_e32 0x60, v0
	s_cbranch_execz .LBB1055_10
; %bb.9:
	s_load_b64 s[6:7], s[0:1], 0x0
	v_lshl_or_b32 v5, v69, 1, v66
	s_waitcnt lgkmcnt(0)
	s_mul_hi_i32 s9, s5, s16
	s_mul_i32 s8, s5, s16
	v_lshlrev_b32_e32 v6, 10, v68
	s_lshl_b64 s[8:9], s[8:9], 1
	v_add_lshl_u32 v1, v5, s31, 7
	v_lshlrev_b32_e32 v5, 6, v5
	v_lshlrev_b32_e32 v7, 10, v67
	v_and_b32_e32 v6, 0x3800, v6
	s_delay_alu instid0(VALU_DEP_4) | instskip(NEXT) | instid1(VALU_DEP_2)
	v_ashrrev_i32_e32 v2, 31, v1
	v_or3_b32 v5, v6, v7, v5
	s_delay_alu instid0(VALU_DEP_2) | instskip(SKIP_2) | instid1(VALU_DEP_1)
	v_lshlrev_b64 v[1:2], 1, v[1:2]
	s_add_u32 s5, s6, s8
	s_addc_u32 s6, s7, s9
	v_add_co_u32 v1, vcc_lo, s5, v1
	s_delay_alu instid0(VALU_DEP_2) | instskip(NEXT) | instid1(VALU_DEP_2)
	v_add_co_ci_u32_e32 v2, vcc_lo, s6, v2, vcc_lo
	v_add_co_u32 v1, vcc_lo, v1, v65
	s_delay_alu instid0(VALU_DEP_2)
	v_add_co_ci_u32_e32 v2, vcc_lo, 0, v2, vcc_lo
	global_load_b128 v[1:4], v[1:2], off
	s_waitcnt vmcnt(0)
	ds_store_b128 v5, v[1:4]
.LBB1055_10:
	s_or_b32 exec_lo, exec_lo, s4
	v_and_b32_e32 v1, 0xef, v0
	s_waitcnt lgkmcnt(0)
	s_add_i32 s5, s24, 31
	s_clause 0x1
	s_load_b32 s4, s[0:1], 0x38
	s_load_b32 s33, s[0:1], 0x98
	s_ashr_i32 s6, s5, 31
	v_add_nc_u32_e32 v1, s12, v1
	s_lshr_b32 s6, s6, 27
	s_load_b32 s19, s[0:1], 0x1c
	s_add_i32 s5, s5, s6
	s_waitcnt lgkmcnt(0)
	v_ashrrev_i32_e32 v2, 31, v1
	v_or_b32_e32 v3, 16, v1
	s_ashr_i32 s13, s5, 5
	v_cmp_gt_i32_e32 vcc_lo, s24, v1
	s_add_i32 s13, s13, -1
	v_lshrrev_b32_e32 v2, 27, v2
	s_barrier
	buffer_gl0_inv
	s_mul_i32 s15, s15, s18
	v_add_nc_u32_e32 v4, v1, v2
	s_mul_i32 s4, s30, s4
	s_delay_alu instid0(SALU_CYCLE_1) | instskip(NEXT) | instid1(VALU_DEP_1)
	s_ashr_i32 s5, s4, 31
	v_ashrrev_i32_e32 v4, 5, v4
	v_add_nc_u32_e32 v2, v3, v2
	s_lshl_b64 s[4:5], s[4:5], 2
	s_delay_alu instid0(SALU_CYCLE_1) | instskip(NEXT) | instid1(VALU_DEP_2)
	s_add_u32 s16, s2, s4
	v_cndmask_b32_e32 v1, s13, v4, vcc_lo
	s_delay_alu instid0(VALU_DEP_2)
	v_ashrrev_i32_e32 v2, 5, v2
	v_cmp_gt_i32_e32 vcc_lo, s24, v3
	s_addc_u32 s25, s3, s5
	s_ashr_i32 s18, s15, 31
	s_add_u32 s2, s20, s15
	s_addc_u32 s3, s21, s18
	v_cndmask_b32_e32 v3, s13, v2, vcc_lo
	v_ashrrev_i32_e32 v2, 31, v1
	s_lshl_b32 s4, s14, 3
	s_delay_alu instid0(SALU_CYCLE_1) | instskip(NEXT) | instid1(VALU_DEP_2)
	s_ashr_i32 s5, s4, 31
	v_ashrrev_i32_e32 v4, 31, v3
	s_delay_alu instid0(VALU_DEP_2) | instskip(SKIP_1) | instid1(SALU_CYCLE_1)
	v_lshlrev_b64 v[1:2], 2, v[1:2]
	s_lshl_b64 s[4:5], s[4:5], 2
	s_add_u32 s4, s16, s4
	s_delay_alu instid0(VALU_DEP_2) | instskip(SKIP_1) | instid1(VALU_DEP_2)
	v_lshlrev_b64 v[3:4], 2, v[3:4]
	s_addc_u32 s5, s25, s5
	v_add_co_u32 v1, vcc_lo, s16, v1
	v_add_co_ci_u32_e32 v2, vcc_lo, s25, v2, vcc_lo
	s_delay_alu instid0(VALU_DEP_3) | instskip(NEXT) | instid1(VALU_DEP_4)
	v_add_co_u32 v3, vcc_lo, s16, v3
	v_add_co_ci_u32_e32 v4, vcc_lo, s25, v4, vcc_lo
	s_clause 0x1
	global_load_b32 v5, v[1:2], off
	global_load_b32 v6, v[3:4], off
	s_or_b32 s6, s12, 32
	s_delay_alu instid0(SALU_CYCLE_1) | instskip(SKIP_2) | instid1(SALU_CYCLE_1)
	s_ashr_i32 s7, s6, 5
	s_cmp_lt_i32 s6, s24
	s_cselect_b32 s6, s7, s13
	s_ashr_i32 s7, s6, 31
	s_delay_alu instid0(SALU_CYCLE_1) | instskip(NEXT) | instid1(SALU_CYCLE_1)
	s_lshl_b64 s[6:7], s[6:7], 2
	s_add_u32 s6, s16, s6
	s_addc_u32 s7, s25, s7
	s_or_b32 s8, s12, 64
	s_delay_alu instid0(SALU_CYCLE_1) | instskip(SKIP_2) | instid1(SALU_CYCLE_1)
	s_ashr_i32 s9, s8, 5
	s_cmp_lt_i32 s8, s24
	s_cselect_b32 s8, s9, s13
	s_ashr_i32 s9, s8, 31
	s_delay_alu instid0(SALU_CYCLE_1) | instskip(NEXT) | instid1(SALU_CYCLE_1)
	s_lshl_b64 s[8:9], s[8:9], 2
	s_add_u32 s8, s16, s8
	s_addc_u32 s9, s25, s9
	;; [unrolled: 10-line block ×5, first 2 shown]
	s_clause 0x5
	s_load_b32 s28, s[4:5], 0x0
	s_load_b32 s29, s[6:7], 0x0
	;; [unrolled: 1-line block ×6, first 2 shown]
	s_mov_b32 s4, 0
	s_delay_alu instid0(SALU_CYCLE_1)
	s_mov_b32 s5, s4
	s_mov_b32 s6, s4
	;; [unrolled: 1-line block ×7, first 2 shown]
	s_delay_alu instid0(SALU_CYCLE_1)
	v_dual_mov_b32 v118, s11 :: v_dual_mov_b32 v117, s10
	v_dual_mov_b32 v116, s9 :: v_dual_mov_b32 v115, s8
	v_mov_b32_e32 v113, s6
	v_dual_mov_b32 v111, s4 :: v_dual_mov_b32 v114, s7
	v_mov_b32_e32 v112, s5
	s_waitcnt vmcnt(1)
	v_mad_i64_i32 v[1:2], null, v5, s17, s[2:3]
	v_lshlrev_b32_e32 v5, 4, v68
	s_waitcnt vmcnt(0)
	v_mad_i64_i32 v[3:4], null, v6, s17, s[2:3]
	s_or_b32 s2, s12, 0xc0
	s_delay_alu instid0(SALU_CYCLE_1) | instskip(NEXT) | instid1(VALU_DEP_3)
	s_ashr_i32 s3, s2, 5
	v_add_co_u32 v1, vcc_lo, v1, v5
	s_delay_alu instid0(VALU_DEP_4) | instskip(NEXT) | instid1(VALU_DEP_3)
	v_add_co_ci_u32_e32 v2, vcc_lo, 0, v2, vcc_lo
	v_add_co_u32 v3, vcc_lo, v3, v5
	s_delay_alu instid0(VALU_DEP_4)
	v_add_co_ci_u32_e32 v4, vcc_lo, 0, v4, vcc_lo
	s_clause 0xf
	global_load_b128 v[17:20], v[1:2], off
	global_load_b128 v[21:24], v[1:2], off offset:512
	global_load_b128 v[25:28], v[3:4], off offset:256
	;; [unrolled: 1-line block ×15, first 2 shown]
	v_mul_lo_u16 v1, v68, 43
	s_cmp_lt_i32 s2, s24
	v_lshlrev_b32_e32 v2, 5, v68
	s_cselect_b32 s2, s3, s13
	s_delay_alu instid0(VALU_DEP_2) | instskip(SKIP_1) | instid1(SALU_CYCLE_1)
	v_lshrrev_b16 v1, 8, v1
	s_ashr_i32 s3, s2, 31
	s_lshl_b64 s[2:3], s[2:3], 2
	s_delay_alu instid0(VALU_DEP_1) | instskip(SKIP_3) | instid1(VALU_DEP_1)
	v_mul_lo_u16 v1, v1, 6
	s_add_u32 s2, s16, s2
	s_addc_u32 s3, s25, s3
	s_or_b32 s20, s12, 0xe0
	v_sub_nc_u16 v1, v68, v1
	s_ashr_i32 s21, s20, 5
	s_cmp_lt_i32 s20, s24
	s_cselect_b32 s20, s21, s13
	s_delay_alu instid0(VALU_DEP_1) | instskip(SKIP_1) | instid1(SALU_CYCLE_1)
	v_and_b32_e32 v1, 0xff, v1
	s_ashr_i32 s21, s20, 31
	s_lshl_b64 s[4:5], s[20:21], 2
	s_delay_alu instid0(VALU_DEP_1)
	v_lshlrev_b32_e32 v149, 6, v1
	s_add_u32 s4, s16, s4
	s_addc_u32 s5, s25, s5
	v_lshl_or_b32 v1, v69, 9, v2
	ds_load_b128 v[119:122], v149
	ds_load_b128 v[123:126], v149 offset:1024
	ds_load_b128 v[127:130], v149 offset:2048
	ds_load_b128 v[131:134], v149 offset:3072
	s_clause 0x1
	s_load_b32 s2, s[2:3], 0x0
	s_load_b32 s3, s[4:5], 0x0
	s_add_u32 s6, s22, s15
	s_addc_u32 s7, s23, s18
	v_add_co_u32 v135, s6, s6, v1
	s_delay_alu instid0(VALU_DEP_1) | instskip(SKIP_1) | instid1(VALU_DEP_1)
	v_add_co_ci_u32_e64 v136, null, s7, 0, s6
	s_waitcnt lgkmcnt(0)
	v_mad_i64_i32 v[1:2], null, s28, s17, v[135:136]
	v_mad_i64_i32 v[3:4], null, s29, s17, v[135:136]
	v_mad_i64_i32 v[5:6], null, s34, s17, v[135:136]
	v_mad_i64_i32 v[7:8], null, s35, s17, v[135:136]
	v_mad_i64_i32 v[143:144], null, s26, s17, v[135:136]
	v_mad_i64_i32 v[13:14], null, s36, s17, v[135:136]
	s_clause 0x9
	global_load_b128 v[49:52], v[1:2], off
	global_load_b128 v[53:56], v[1:2], off offset:16
	global_load_b128 v[41:44], v[3:4], off
	global_load_b128 v[45:48], v[3:4], off offset:16
	;; [unrolled: 2-line block ×5, first 2 shown]
	v_mad_i64_i32 v[145:146], null, s2, s17, v[135:136]
	v_mad_i64_i32 v[147:148], null, s3, s17, v[135:136]
	s_waitcnt vmcnt(24)
	v_wmma_f32_16x16x16_f16 v[135:142], v[17:24], v[119:126], v[111:118]
	s_waitcnt vmcnt(22)
	v_wmma_f32_16x16x16_f16 v[111:118], v[25:32], v[119:126], v[111:118]
	s_clause 0x3
	global_load_b128 v[17:20], v[143:144], off
	global_load_b128 v[21:24], v[143:144], off offset:16
	global_load_b128 v[25:28], v[145:146], off
	global_load_b128 v[29:32], v[145:146], off offset:16
	v_and_b32_e32 v119, 0xe0, v0
	s_waitcnt vmcnt(24)
	v_wmma_f32_16x16x16_f16 v[135:142], v[57:64], v[127:134], v[135:142]
	s_clause 0x1
	global_load_b128 v[57:60], v[147:148], off
	global_load_b128 v[61:64], v[147:148], off offset:16
	s_waitcnt vmcnt(24)
	v_wmma_f32_16x16x16_f16 v[111:118], v[71:78], v[127:134], v[111:118]
	ds_load_b128 v[71:74], v149 offset:4096
	ds_load_b128 v[75:78], v149 offset:5120
	v_add_nc_u32_e32 v128, s12, v119
	ds_load_b128 v[119:122], v149 offset:6144
	ds_load_b128 v[123:126], v149 offset:7168
	v_mbcnt_lo_u32_b32 v127, -1, 0
	s_waitcnt vmcnt(0) lgkmcnt(0)
	s_barrier
	v_or_b32_e32 v128, v128, v66
	buffer_gl0_inv
	v_xor_b32_e32 v129, 16, v127
	v_or_b32_e32 v130, 4, v128
	v_or_b32_e32 v131, 6, v128
	s_delay_alu instid0(VALU_DEP_3) | instskip(SKIP_4) | instid1(VALU_DEP_4)
	v_cmp_gt_i32_e32 vcc_lo, 32, v129
	v_or_b32_e32 v132, 8, v128
	v_or_b32_e32 v133, 10, v128
	v_cmp_gt_i32_e64 s3, s24, v130
	v_cmp_gt_i32_e64 s4, s24, v131
	;; [unrolled: 1-line block ×3, first 2 shown]
	v_wmma_f32_16x16x16_f16 v[135:142], v[79:86], v[71:78], v[135:142]
	v_wmma_f32_16x16x16_f16 v[111:118], v[87:94], v[71:78], v[111:118]
	v_or_b32_e32 v79, 12, v128
	v_or_b32_e32 v80, 14, v128
	v_cmp_gt_i32_e64 s6, s24, v133
	v_wmma_f32_16x16x16_f16 v[135:142], v[95:102], v[119:126], v[135:142]
	v_cndmask_b32_e32 v127, v127, v129, vcc_lo
	v_or_b32_e32 v129, 2, v128
	v_wmma_f32_16x16x16_f16 v[111:118], v[103:110], v[119:126], v[111:118]
	v_cmp_gt_i32_e32 vcc_lo, s24, v128
	v_dual_mul_f32 v88, s19, v135 :: v_dual_mul_f32 v87, s19, v136
	s_delay_alu instid0(VALU_DEP_4) | instskip(NEXT) | instid1(VALU_DEP_4)
	v_cmp_gt_i32_e64 s2, s24, v129
	v_mul_f32_e32 v94, s19, v113
	v_mul_f32_e32 v78, s19, v138
	;; [unrolled: 1-line block ×3, first 2 shown]
	v_cndmask_b32_e32 v88, 0xff7fffff, v88, vcc_lo
	v_cndmask_b32_e64 v87, 0xff7fffff, v87, s2
	v_dual_mul_f32 v76, s19, v140 :: v_dual_mul_f32 v77, s19, v139
	v_mul_f32_e32 v90, s19, v117
	v_cndmask_b32_e64 v86, 0xff7fffff, v86, s3
	v_cndmask_b32_e64 v78, 0xff7fffff, v78, s4
	v_max3_f32 v87, v88, 0xff7fffff, v87
	v_or_b32_e32 v81, 16, v128
	v_or_b32_e32 v82, 18, v128
	v_dual_mul_f32 v74, s19, v142 :: v_dual_mul_f32 v75, s19, v141
	v_mul_f32_e32 v92, s19, v115
	v_cndmask_b32_e64 v77, 0xff7fffff, v77, s5
	v_cndmask_b32_e64 v76, 0xff7fffff, v76, s6
	v_max3_f32 v78, v87, v86, v78
	v_cmp_gt_i32_e64 s7, s24, v79
	v_cmp_gt_i32_e64 s8, s24, v80
	v_or_b32_e32 v83, 20, v128
	v_or_b32_e32 v84, 22, v128
	v_dual_mul_f32 v89, s19, v118 :: v_dual_mul_f32 v96, s19, v111
	v_mul_f32_e32 v95, s19, v112
	v_cndmask_b32_e64 v75, 0xff7fffff, v75, s7
	v_cndmask_b32_e64 v74, 0xff7fffff, v74, s8
	v_max3_f32 v76, v78, v77, v76
	v_cmp_gt_i32_e64 s9, s24, v81
	v_cmp_gt_i32_e64 s10, s24, v82
	v_or_b32_e32 v85, 24, v128
	v_or_b32_e32 v71, 26, v128
	v_mul_f32_e32 v93, s19, v114
	v_cndmask_b32_e64 v77, 0xff7fffff, v96, s9
	v_cndmask_b32_e64 v78, 0xff7fffff, v95, s10
	v_max3_f32 v74, v76, v75, v74
	v_cmp_gt_i32_e64 s11, s24, v83
	v_cmp_gt_i32_e64 s12, s24, v84
	v_or_b32_e32 v72, 28, v128
	v_or_b32_e32 v73, 30, v128
	v_mul_f32_e32 v91, s19, v116
	v_cndmask_b32_e64 v75, 0xff7fffff, v94, s11
	v_cndmask_b32_e64 v76, 0xff7fffff, v93, s12
	v_max3_f32 v74, v74, v77, v78
	v_cmp_gt_i32_e64 s13, s24, v85
	v_cmp_gt_i32_e64 s15, s24, v71
	;; [unrolled: 1-line block ×4, first 2 shown]
	v_max3_f32 v74, v74, v75, v76
	v_cndmask_b32_e64 v77, 0xff7fffff, v92, s13
	v_cndmask_b32_e64 v71, 0xff7fffff, v91, s15
	;; [unrolled: 1-line block ×4, first 2 shown]
	s_delay_alu instid0(VALU_DEP_3) | instskip(SKIP_1) | instid1(VALU_DEP_2)
	v_max3_f32 v71, v74, v77, v71
	v_lshlrev_b32_e32 v74, 2, v127
	v_max3_f32 v71, v71, v72, v73
	ds_bpermute_b32 v72, v74, v71
	s_waitcnt lgkmcnt(0)
	v_max_f32_e32 v72, v72, v72
	s_delay_alu instid0(VALU_DEP_1) | instskip(NEXT) | instid1(VALU_DEP_1)
	v_max_f32_e32 v71, v71, v72
	v_fma_f32 v75, s19, v137, -v71
	v_fma_f32 v76, s19, v138, -v71
	;; [unrolled: 1-line block ×5, first 2 shown]
	s_delay_alu instid0(VALU_DEP_4) | instskip(NEXT) | instid1(VALU_DEP_4)
	v_dual_mul_f32 v75, 0x3fb8aa3b, v75 :: v_dual_mul_f32 v76, 0x3fb8aa3b, v76
	v_mul_f32_e32 v72, 0x3fb8aa3b, v72
	v_fma_f32 v77, s19, v139, -v71
	s_delay_alu instid0(VALU_DEP_4) | instskip(NEXT) | instid1(VALU_DEP_4)
	v_mul_f32_e32 v73, 0x3fb8aa3b, v73
	v_exp_f32_e32 v75, v75
	v_exp_f32_e32 v76, v76
	;; [unrolled: 1-line block ×3, first 2 shown]
	s_delay_alu instid0(VALU_DEP_1) | instskip(SKIP_2) | instid1(TRANS32_DEP_3)
	v_exp_f32_e32 v73, v73
	v_cndmask_b32_e64 v81, 0, v75, s3
	v_mul_f32_e32 v82, 0x3fb8aa3b, v80
	v_cndmask_b32_e64 v80, 0, v76, s4
	s_waitcnt_depctr 0xfff
	v_cndmask_b32_e64 v78, 0, v73, s2
	s_mov_b32 s2, exec_lo
	v_exp_f32_e32 v84, v82
	s_waitcnt_depctr 0xfff
	v_cndmask_b32_e64 v85, 0, v84, s7
	v_cndmask_b32_e32 v79, 0, v72, vcc_lo
	v_fma_f32 v72, s19, v140, -v71
	v_mul_f32_e32 v77, 0x3fb8aa3b, v77
	s_delay_alu instid0(VALU_DEP_2) | instskip(NEXT) | instid1(VALU_DEP_2)
	v_dual_add_f32 v73, 0, v79 :: v_dual_mul_f32 v72, 0x3fb8aa3b, v72
	v_exp_f32_e32 v77, v77
	s_delay_alu instid0(VALU_DEP_1) | instskip(NEXT) | instid1(VALU_DEP_2)
	v_add_f32_e32 v73, v73, v78
	v_exp_f32_e32 v72, v72
	s_delay_alu instid0(VALU_DEP_1) | instskip(SKIP_4) | instid1(VALU_DEP_2)
	v_add_f32_e32 v73, v73, v81
	s_waitcnt_depctr 0xfff
	v_cndmask_b32_e64 v83, 0, v77, s5
	v_add_f32_e32 v73, v73, v80
	v_cndmask_b32_e64 v82, 0, v72, s6
	v_add_f32_e32 v72, v73, v83
	s_delay_alu instid0(VALU_DEP_1)
	v_add_f32_e32 v72, v72, v82
	v_fma_f32 v75, s19, v142, -v71
	v_fma_f32 v76, s19, v111, -v71
	v_fma_f32 v86, s19, v114, -v71
	v_fma_f32 v77, s19, v112, -v71
	v_fma_f32 v73, s19, v113, -v71
	s_delay_alu instid0(VALU_DEP_4) | instskip(NEXT) | instid1(VALU_DEP_4)
	v_dual_mul_f32 v75, 0x3fb8aa3b, v75 :: v_dual_mul_f32 v76, 0x3fb8aa3b, v76
	v_mul_f32_e32 v86, 0x3fb8aa3b, v86
	v_add_f32_e32 v72, v72, v85
	s_delay_alu instid0(VALU_DEP_3) | instskip(NEXT) | instid1(VALU_DEP_3)
	v_exp_f32_e32 v75, v75
	v_exp_f32_e32 v76, v76
	s_delay_alu instid0(VALU_DEP_2) | instskip(NEXT) | instid1(TRANS32_DEP_3)
	v_exp_f32_e32 v88, v86
	v_cndmask_b32_e64 v84, 0, v75, s8
	v_mul_f32_e32 v77, 0x3fb8aa3b, v77
	s_waitcnt_depctr 0xfff
	v_cndmask_b32_e64 v87, 0, v76, s9
	v_fma_f32 v76, s19, v116, -v71
	v_dual_mul_f32 v73, 0x3fb8aa3b, v73 :: v_dual_add_f32 v72, v72, v84
	v_exp_f32_e32 v77, v77
	v_fma_f32 v75, s19, v115, -v71
	s_delay_alu instid0(VALU_DEP_3) | instskip(NEXT) | instid1(VALU_DEP_3)
	v_mul_f32_e32 v76, 0x3fb8aa3b, v76
	v_exp_f32_e32 v73, v73
	v_add_f32_e32 v72, v72, v87
	v_cndmask_b32_e64 v88, 0, v88, s12
	s_delay_alu instid0(VALU_DEP_3) | instskip(NEXT) | instid1(TRANS32_DEP_3)
	v_exp_f32_e32 v76, v76
	v_cndmask_b32_e64 v86, 0, v77, s10
	v_mul_f32_e32 v75, 0x3fb8aa3b, v75
	v_fma_f32 v77, s19, v117, -v71
	s_delay_alu instid0(TRANS32_DEP_2) | instskip(NEXT) | instid1(VALU_DEP_4)
	v_cndmask_b32_e64 v89, 0, v73, s11
	v_add_f32_e32 v72, v72, v86
	s_delay_alu instid0(VALU_DEP_4) | instskip(NEXT) | instid1(TRANS32_DEP_2)
	v_exp_f32_e32 v75, v75
	v_cndmask_b32_e64 v90, 0, v76, s15
	s_delay_alu instid0(VALU_DEP_2) | instskip(SKIP_2) | instid1(VALU_DEP_3)
	v_add_f32_e32 v72, v72, v89
	v_mul_f32_e32 v73, 0x3fb8aa3b, v77
	v_fma_f32 v77, s19, v118, -v71
	v_add_f32_e32 v72, v72, v88
	s_delay_alu instid0(VALU_DEP_3) | instskip(NEXT) | instid1(TRANS32_DEP_2)
	v_exp_f32_e32 v73, v73
	v_cndmask_b32_e64 v91, 0, v75, s13
	s_delay_alu instid0(VALU_DEP_1) | instskip(NEXT) | instid1(VALU_DEP_1)
	v_dual_mul_f32 v75, 0x3fb8aa3b, v77 :: v_dual_add_f32 v72, v72, v91
	v_exp_f32_e32 v75, v75
	s_waitcnt_depctr 0xfff
	v_cndmask_b32_e64 v93, 0, v73, s16
	v_add_f32_e32 v72, v72, v90
	s_delay_alu instid0(VALU_DEP_1) | instskip(SKIP_1) | instid1(VALU_DEP_1)
	v_add_f32_e32 v72, v72, v93
	v_cndmask_b32_e64 v92, 0, v75, s17
	v_add_f32_e32 v72, v72, v92
	ds_bpermute_b32 v73, v74, v72
	v_cmpx_gt_u32_e32 16, v70
	s_cbranch_execz .LBB1055_12
; %bb.11:
	v_mul_u32_u24_e32 v70, 0x44, v69
	s_waitcnt lgkmcnt(0)
	v_add_f32_e32 v72, v72, v73
	s_delay_alu instid0(VALU_DEP_2) | instskip(NEXT) | instid1(VALU_DEP_1)
	v_lshl_add_u32 v70, v68, 2, v70
	v_add_nc_u32_e32 v70, 0x4000, v70
	ds_store_2addr_b32 v70, v71, v72 offset1:136
.LBB1055_12:
	s_or_b32 exec_lo, exec_lo, s2
	v_lshlrev_b32_e32 v70, 2, v68
	s_load_b32 s34, s[0:1], 0x94
	s_waitcnt lgkmcnt(0)
	s_barrier
	buffer_gl0_inv
	v_add_nc_u32_e32 v98, 0x4000, v70
	v_cmp_eq_u32_e32 vcc_lo, 1, v69
	v_cmp_eq_u32_e64 s2, 2, v69
	v_cmp_eq_u32_e64 s3, 3, v69
	;; [unrolled: 1-line block ×3, first 2 shown]
	ds_load_2addr_b32 v[70:71], v98 offset1:17
	ds_load_2addr_b32 v[72:73], v98 offset0:34 offset1:51
	ds_load_2addr_b32 v[74:75], v98 offset0:68 offset1:85
	;; [unrolled: 1-line block ×3, first 2 shown]
	v_cmp_eq_u32_e64 s5, 5, v69
	v_cmp_eq_u32_e64 s6, 7, v69
	s_waitcnt lgkmcnt(3)
	v_max3_f32 v76, v70, 0xff7fffff, v71
	s_waitcnt lgkmcnt(2)
	s_delay_alu instid0(VALU_DEP_1) | instskip(SKIP_1) | instid1(VALU_DEP_1)
	v_max3_f32 v76, v76, v72, v73
	s_waitcnt lgkmcnt(1)
	v_max3_f32 v76, v76, v74, v75
	s_waitcnt lgkmcnt(0)
	s_delay_alu instid0(VALU_DEP_1) | instskip(NEXT) | instid1(VALU_DEP_1)
	v_max3_f32 v76, v76, v94, v95
	v_sub_f32_e32 v77, v71, v76
	ds_load_2addr_b32 v[96:97], v98 offset0:136 offset1:153
	v_sub_f32_e32 v74, v74, v76
	v_sub_f32_e32 v70, v70, v76
	;; [unrolled: 1-line block ×3, first 2 shown]
	v_dual_sub_f32 v72, v72, v76 :: v_dual_mul_f32 v77, 0x3fb8aa3b, v77
	s_delay_alu instid0(VALU_DEP_4) | instskip(NEXT) | instid1(VALU_DEP_4)
	v_mul_f32_e32 v103, 0x3fb8aa3b, v74
	v_mul_f32_e32 v99, 0x3fb8aa3b, v70
	ds_load_2addr_b32 v[70:71], v98 offset0:170 offset1:187
	v_dual_mul_f32 v101, 0x3fb8aa3b, v72 :: v_dual_mul_f32 v94, 0x3fb8aa3b, v94
	v_exp_f32_e32 v102, v77
	v_exp_f32_e32 v99, v99
	s_delay_alu instid0(VALU_DEP_1) | instskip(NEXT) | instid1(VALU_DEP_1)
	v_exp_f32_e32 v101, v101
	v_exp_f32_e32 v94, v94
	s_waitcnt lgkmcnt(1)
	s_delay_alu instid0(TRANS32_DEP_3)
	v_fma_f32 v77, v99, v96, 0
	v_sub_f32_e32 v100, v73, v76
	ds_load_2addr_b32 v[72:73], v98 offset0:204 offset1:221
	v_fmac_f32_e32 v77, v102, v97
	v_exp_f32_e32 v97, v103
	s_waitcnt lgkmcnt(1)
	s_delay_alu instid0(VALU_DEP_1)
	v_dual_fmac_f32 v77, v101, v70 :: v_dual_sub_f32 v96, v75, v76
	ds_load_2addr_b32 v[74:75], v98 offset0:238 offset1:255
	v_sub_f32_e32 v70, v95, v76
	s_waitcnt lgkmcnt(0)
	s_barrier
	v_mul_f32_e32 v96, 0x3fb8aa3b, v96
	buffer_gl0_inv
	v_exp_f32_e32 v95, v96
	v_mul_f32_e32 v100, 0x3fb8aa3b, v100
	s_delay_alu instid0(VALU_DEP_1) | instskip(SKIP_3) | instid1(VALU_DEP_2)
	v_exp_f32_e32 v100, v100
	s_waitcnt_depctr 0xfff
	v_dual_fmac_f32 v77, v100, v71 :: v_dual_mul_f32 v70, 0x3fb8aa3b, v70
	v_cndmask_b32_e32 v71, v99, v102, vcc_lo
	v_fmac_f32_e32 v77, v97, v72
	s_delay_alu instid0(VALU_DEP_3) | instskip(NEXT) | instid1(VALU_DEP_1)
	v_exp_f32_e32 v96, v70
	v_fmac_f32_e32 v77, v95, v73
	s_delay_alu instid0(VALU_DEP_1) | instskip(SKIP_2) | instid1(VALU_DEP_1)
	v_fmac_f32_e32 v77, v94, v74
	s_waitcnt_depctr 0xfff
	v_fmac_f32_e32 v77, v96, v75
	v_add_f32_e32 v74, 0x358637bd, v77
	s_delay_alu instid0(VALU_DEP_1) | instskip(SKIP_1) | instid1(VALU_DEP_2)
	v_div_scale_f32 v98, null, v74, v74, 1.0
	v_div_scale_f32 v99, vcc_lo, 1.0, v74, 1.0
	v_rcp_f32_e32 v103, v98
	s_waitcnt_depctr 0xfff
	v_fma_f32 v70, -v98, v103, 1.0
	s_delay_alu instid0(VALU_DEP_1) | instskip(SKIP_2) | instid1(VALU_DEP_2)
	v_fmac_f32_e32 v103, v70, v103
	v_cndmask_b32_e64 v70, v71, v101, s2
	v_cmp_eq_u32_e64 s2, 6, v69
	v_cndmask_b32_e64 v71, v70, v100, s3
	s_delay_alu instid0(VALU_DEP_4) | instskip(NEXT) | instid1(VALU_DEP_2)
	v_dual_mul_f32 v101, v99, v103 :: v_dual_lshlrev_b32 v70, 2, v66
	v_cndmask_b32_e64 v71, v71, v97, s4
	s_delay_alu instid0(VALU_DEP_2) | instskip(NEXT) | instid1(VALU_DEP_3)
	v_or_b32_e32 v72, 1, v70
	v_fma_f32 v100, -v98, v101, v99
	v_cmp_eq_u32_e64 s3, 1, v70
	v_cmp_eq_u32_e64 s4, 2, v70
	v_cndmask_b32_e64 v95, v71, v95, s5
	v_or_b32_e32 v71, 3, v70
	v_fmac_f32_e32 v101, v100, v103
	v_cmp_eq_u32_e64 s8, 1, v72
	v_cmp_eq_u32_e64 s11, 2, v72
	v_cndmask_b32_e64 v94, v95, v94, s2
	v_cmp_eq_u32_e64 s10, 1, v71
	v_fma_f32 v97, -v98, v101, v99
	v_cmp_eq_u32_e64 s15, 2, v71
	v_cmp_eq_u32_e64 s12, 3, v72
	v_cndmask_b32_e64 v94, v94, v96, s6
	v_cmp_eq_u32_e64 s17, 3, v71
	v_div_fmas_f32 v95, v97, v103, v101
	v_cmp_eq_u32_e32 vcc_lo, 3, v70
	v_cmp_eq_u32_e64 s2, 4, v70
	v_cmp_eq_u32_e64 s18, 4, v72
	;; [unrolled: 1-line block ×3, first 2 shown]
	v_div_fixup_f32 v95, v95, v74, 1.0
	v_lshlrev_b32_e32 v73, 6, v68
	v_cmp_eq_u32_e64 s5, 5, v70
	v_cmp_eq_u32_e64 s19, 5, v72
	;; [unrolled: 1-line block ×3, first 2 shown]
	v_mul_f32_e32 v102, v94, v95
	v_lshl_or_b32 v75, v69, 11, v73
	v_or_b32_e32 v69, 2, v70
	v_cmp_eq_u32_e64 s24, 6, v72
	v_cmp_eq_u32_e64 s26, 6, v71
	v_fma_mixlo_f16 v94, v102, v79, 0
	v_fma_mixlo_f16 v95, v102, v81, 0
	;; [unrolled: 1-line block ×8, first 2 shown]
	v_lshl_or_b32 v74, v66, 4, v75
	v_fma_mixhi_f16 v94, v102, v78, 0
	v_fma_mixhi_f16 v95, v102, v80, 0
	;; [unrolled: 1-line block ×8, first 2 shown]
	ds_store_b128 v74, v[94:97]
	ds_store_b128 v74, v[98:101] offset:1024
	s_waitcnt lgkmcnt(0)
	s_barrier
	buffer_gl0_inv
	ds_load_b128 v[78:81], v75
	ds_load_b128 v[82:85], v75 offset:16
	ds_load_b128 v[86:89], v75 offset:1024
	;; [unrolled: 1-line block ×3, first 2 shown]
	v_cmp_eq_u32_e64 s9, 1, v69
	v_cmp_eq_u32_e64 s13, 2, v69
	;; [unrolled: 1-line block ×11, first 2 shown]
	s_waitcnt lgkmcnt(3)
	v_lshrrev_b32_e32 v94, 16, v78
	s_waitcnt lgkmcnt(2)
	v_lshrrev_b32_e32 v98, 16, v82
	;; [unrolled: 2-line block ×4, first 2 shown]
	v_lshrrev_b32_e32 v95, 16, v79
	v_cndmask_b32_e64 v110, v78, v94, s3
	v_cndmask_b32_e64 v111, v82, v98, s3
	;; [unrolled: 1-line block ×8, first 2 shown]
	v_lshrrev_b32_e32 v99, 16, v83
	v_cndmask_b32_e64 v94, v86, v102, s3
	v_cndmask_b32_e64 v98, v90, v106, s3
	;; [unrolled: 1-line block ×15, first 2 shown]
	v_lshrrev_b32_e32 v103, 16, v87
	v_lshrrev_b32_e32 v107, 16, v91
	v_cndmask_b32_e64 v113, v115, v83, s13
	v_cndmask_b32_e64 v82, v94, v87, s4
	;; [unrolled: 1-line block ×7, first 2 shown]
	v_cndmask_b32_e32 v90, v102, v95, vcc_lo
	v_cndmask_b32_e32 v102, v106, v99, vcc_lo
	v_cndmask_b32_e64 v106, v110, v95, s12
	v_cndmask_b32_e64 v110, v111, v99, s12
	;; [unrolled: 1-line block ×4, first 2 shown]
	v_lshrrev_b32_e32 v96, 16, v80
	v_lshrrev_b32_e32 v100, 16, v84
	v_cndmask_b32_e64 v111, v112, v95, s16
	v_cndmask_b32_e64 v112, v113, v99, s16
	v_cndmask_b32_e32 v82, v82, v103, vcc_lo
	v_cndmask_b32_e32 v83, v83, v107, vcc_lo
	v_cndmask_b32_e64 v94, v94, v103, s12
	v_cndmask_b32_e64 v90, v90, v80, s2
	;; [unrolled: 1-line block ×7, first 2 shown]
	v_lshrrev_b32_e32 v104, 16, v88
	v_cndmask_b32_e64 v106, v111, v80, s20
	v_cndmask_b32_e64 v110, v112, v84, s20
	;; [unrolled: 1-line block ×11, first 2 shown]
	v_lshrrev_b32_e32 v97, 16, v81
	v_lshrrev_b32_e32 v101, 16, v85
	v_cndmask_b32_e64 v99, v106, v96, s22
	v_cndmask_b32_e64 v102, v110, v100, s22
	;; [unrolled: 1-line block ×7, first 2 shown]
	v_lshrrev_b32_e32 v105, 16, v89
	v_cndmask_b32_e64 v80, v80, v104, s5
	v_cndmask_b32_e64 v84, v84, v81, s6
	;; [unrolled: 1-line block ×16, first 2 shown]
	v_perm_b32 v81, v79, v78, 0x5040100
	v_perm_b32 v79, v95, v85, 0x5040100
	v_cndmask_b32_e64 v78, v119, v91, s13
	v_cndmask_b32_e64 v85, v117, v91, s11
	;; [unrolled: 1-line block ×3, first 2 shown]
	v_perm_b32 v80, v94, v90, 0x5040100
	v_cndmask_b32_e64 v90, v98, v103, s16
	v_cndmask_b32_e64 v86, v86, v103, s17
	;; [unrolled: 1-line block ×5, first 2 shown]
	v_lshrrev_b32_e32 v108, 16, v92
	v_cndmask_b32_e64 v90, v90, v88, s20
	v_cndmask_b32_e64 v86, v86, v88, s21
	;; [unrolled: 1-line block ×11, first 2 shown]
	v_lshrrev_b32_e32 v109, 16, v93
	v_cndmask_b32_e64 v82, v82, v93, s6
	v_cndmask_b32_e64 v88, v88, v89, s25
	;; [unrolled: 1-line block ×12, first 2 shown]
	v_perm_b32 v78, v84, v83, 0x5040100
	v_perm_b32 v85, v87, v86, 0x5040100
	v_perm_b32 v84, v89, v88, 0x5040100
	v_perm_b32 v83, v90, v97, 0x5040100
	v_perm_b32 v82, v82, v96, 0x5040100
	s_mul_i32 s7, s33, 6
	s_mov_b32 s2, exec_lo
	ds_store_b128 v74, v[78:81]
	ds_store_b128 v74, v[82:85] offset:1024
	v_cmpx_gt_u32_e32 6, v0
	s_cbranch_execz .LBB1055_14
; %bb.13:
	s_mul_i32 s3, s7, s30
	s_load_b128 s[8:11], s[0:1], 0x58
	v_add3_u32 v68, s3, s31, v68
	s_delay_alu instid0(VALU_DEP_1) | instskip(NEXT) | instid1(VALU_DEP_1)
	v_mad_u64_u32 v[78:79], null, v68, s34, s[14:15]
	v_ashrrev_i32_e32 v79, 31, v78
	s_delay_alu instid0(VALU_DEP_1) | instskip(SKIP_1) | instid1(VALU_DEP_1)
	v_lshlrev_b64 v[78:79], 2, v[78:79]
	s_waitcnt lgkmcnt(0)
	v_add_co_u32 v80, vcc_lo, s10, v78
	s_delay_alu instid0(VALU_DEP_2)
	v_add_co_ci_u32_e32 v81, vcc_lo, s11, v79, vcc_lo
	v_add_co_u32 v78, vcc_lo, s8, v78
	v_add_co_ci_u32_e32 v79, vcc_lo, s9, v79, vcc_lo
	global_store_b32 v[80:81], v76, off
	global_store_b32 v[78:79], v77, off
.LBB1055_14:
	s_or_b32 exec_lo, exec_lo, s2
	s_waitcnt lgkmcnt(0)
	s_waitcnt_vscnt null, 0x0
	s_barrier
	buffer_gl0_inv
	ds_load_b128 v[84:87], v73
	ds_load_b128 v[88:91], v73 offset:16
	ds_load_b128 v[96:99], v73 offset:2064
	ds_load_b128 v[92:95], v73 offset:2048
	ds_load_b128 v[104:107], v73 offset:4112
	ds_load_b128 v[100:103], v73 offset:4096
	v_cmp_eq_u32_e32 vcc_lo, 1, v70
	v_mov_b32_e32 v76, 0
	ds_load_b128 v[112:115], v73 offset:6160
	ds_load_b128 v[108:111], v73 offset:6144
	;; [unrolled: 1-line block ×4, first 2 shown]
	v_cmp_eq_u32_e64 s3, 1, v69
	v_cmp_eq_u32_e64 s2, 1, v72
	;; [unrolled: 1-line block ×3, first 2 shown]
	v_mov_b32_e32 v77, v76
	v_mov_b32_e32 v78, v76
	;; [unrolled: 1-line block ×7, first 2 shown]
	v_cmp_eq_u32_e64 s5, 3, v72
	v_cmp_eq_u32_e64 s6, 7, v72
	s_waitcnt lgkmcnt(8)
	s_delay_alu instid0(VALU_DEP_3)
	v_wmma_f32_16x16x16_f16 v[76:83], v[49:56], v[84:91], v[76:83]
	ds_load_b128 v[53:56], v73 offset:10256
	ds_load_b128 v[49:52], v73 offset:10240
	s_waitcnt lgkmcnt(8)
	v_wmma_f32_16x16x16_f16 v[76:83], v[41:48], v[92:99], v[76:83]
	ds_load_b128 v[45:48], v73 offset:12304
	ds_load_b128 v[41:44], v73 offset:12288
	s_waitcnt lgkmcnt(8)
	;; [unrolled: 4-line block ×3, first 2 shown]
	s_barrier
	buffer_gl0_inv
	v_wmma_f32_16x16x16_f16 v[76:83], v[1:8], v[108:115], v[76:83]
	s_delay_alu instid0(VALU_DEP_1) | instskip(NEXT) | instid1(VALU_DEP_1)
	v_wmma_f32_16x16x16_f16 v[76:83], v[9:16], v[116:123], v[76:83]
	v_wmma_f32_16x16x16_f16 v[76:83], v[17:24], v[49:56], v[76:83]
	s_delay_alu instid0(VALU_DEP_1) | instskip(NEXT) | instid1(VALU_DEP_1)
	v_wmma_f32_16x16x16_f16 v[76:83], v[25:32], v[41:48], v[76:83]
	v_wmma_f32_16x16x16_f16 v[76:83], v[57:64], v[33:40], v[76:83]
	s_delay_alu instid0(VALU_DEP_1) | instskip(NEXT) | instid1(VALU_DEP_2)
	v_cvt_f16_f32_e32 v1, v76
	v_cvt_f16_f32_e32 v2, v77
	s_delay_alu instid0(VALU_DEP_3) | instskip(NEXT) | instid1(VALU_DEP_4)
	v_cvt_f16_f32_e32 v3, v78
	v_cvt_f16_f32_e32 v4, v79
	;; [unrolled: 1-line block ×6, first 2 shown]
	v_pack_b32_f16 v1, v1, v2
	v_pack_b32_f16 v2, v3, v4
	;; [unrolled: 1-line block ×3, first 2 shown]
	s_delay_alu instid0(VALU_DEP_4)
	v_pack_b32_f16 v4, v7, v8
	ds_store_b128 v74, v[1:4]
	s_waitcnt lgkmcnt(0)
	s_barrier
	buffer_gl0_inv
	ds_load_b128 v[1:4], v75
	ds_load_b128 v[5:8], v75 offset:16
	s_waitcnt lgkmcnt(1)
	v_lshrrev_b32_e32 v9, 16, v1
	s_waitcnt lgkmcnt(0)
	v_lshrrev_b32_e32 v13, 16, v5
	v_lshrrev_b32_e32 v10, 16, v2
	;; [unrolled: 1-line block ×4, first 2 shown]
	v_cndmask_b32_e32 v17, v1, v9, vcc_lo
	v_cndmask_b32_e32 v18, v5, v13, vcc_lo
	v_cndmask_b32_e64 v21, v1, v9, s3
	v_cmp_eq_u32_e32 vcc_lo, 1, v71
	v_cndmask_b32_e64 v22, v5, v13, s3
	v_cmp_eq_u32_e64 s3, 2, v70
	v_cndmask_b32_e64 v19, v1, v9, s2
	v_cndmask_b32_e64 v20, v5, v13, s2
	v_cndmask_b32_e32 v1, v1, v9, vcc_lo
	v_cmp_eq_u32_e64 s2, 2, v71
	v_cndmask_b32_e32 v5, v5, v13, vcc_lo
	v_cndmask_b32_e64 v9, v17, v2, s3
	v_cmp_eq_u32_e32 vcc_lo, 3, v70
	v_cndmask_b32_e64 v13, v18, v6, s3
	v_cmp_eq_u32_e64 s3, 2, v69
	v_cndmask_b32_e64 v17, v19, v2, s4
	v_cndmask_b32_e64 v18, v20, v6, s4
	v_cmp_eq_u32_e64 s4, 3, v69
	v_cndmask_b32_e64 v1, v1, v2, s2
	v_cndmask_b32_e64 v19, v21, v2, s3
	;; [unrolled: 1-line block ×4, first 2 shown]
	v_cndmask_b32_e32 v5, v9, v10, vcc_lo
	v_cndmask_b32_e32 v6, v13, v14, vcc_lo
	v_cmp_eq_u32_e32 vcc_lo, 3, v71
	v_cndmask_b32_e64 v9, v17, v10, s5
	v_cndmask_b32_e64 v13, v18, v14, s5
	;; [unrolled: 1-line block ×3, first 2 shown]
	v_cmp_eq_u32_e64 s3, 4, v70
	v_cndmask_b32_e32 v1, v1, v10, vcc_lo
	v_cndmask_b32_e32 v2, v2, v14, vcc_lo
	v_cmp_eq_u32_e32 vcc_lo, 4, v72
	v_lshrrev_b32_e32 v15, 16, v7
	v_lshrrev_b32_e32 v16, 16, v8
	v_cndmask_b32_e64 v17, v19, v10, s4
	v_cmp_eq_u32_e64 s2, 4, v71
	v_cndmask_b32_e64 v5, v5, v3, s3
	v_cndmask_b32_e64 v6, v6, v7, s3
	v_cndmask_b32_e32 v9, v9, v3, vcc_lo
	v_cmp_eq_u32_e64 s3, 5, v72
	v_cndmask_b32_e32 v10, v13, v7, vcc_lo
	v_cmp_eq_u32_e32 vcc_lo, 4, v69
	v_cmp_eq_u32_e64 s4, 5, v70
	v_cndmask_b32_e64 v2, v2, v7, s2
	v_cndmask_b32_e64 v9, v9, v11, s3
	;; [unrolled: 1-line block ×3, first 2 shown]
	v_cndmask_b32_e32 v13, v17, v3, vcc_lo
	v_cmp_eq_u32_e64 s3, 5, v69
	v_cndmask_b32_e32 v14, v18, v7, vcc_lo
	v_cndmask_b32_e64 v1, v1, v3, s2
	v_cmp_eq_u32_e32 vcc_lo, 5, v71
	v_lshrrev_b32_e32 v12, 16, v4
	v_cndmask_b32_e64 v13, v13, v11, s3
	v_cndmask_b32_e64 v3, v14, v15, s3
	v_cmp_eq_u32_e64 s3, 6, v71
	v_cndmask_b32_e32 v1, v1, v11, vcc_lo
	v_cndmask_b32_e64 v5, v5, v11, s4
	v_cmp_eq_u32_e64 s5, 6, v70
	v_cndmask_b32_e64 v6, v6, v15, s4
	v_cmp_eq_u32_e64 s4, 6, v72
	v_cmp_eq_u32_e64 s2, 6, v69
	v_cndmask_b32_e64 v1, v1, v4, s3
	v_cndmask_b32_e32 v2, v2, v15, vcc_lo
	v_cmp_eq_u32_e32 vcc_lo, 7, v71
	v_cndmask_b32_e64 v5, v5, v4, s5
	v_cndmask_b32_e64 v9, v9, v4, s4
	;; [unrolled: 1-line block ×3, first 2 shown]
	v_cmp_eq_u32_e64 s5, 7, v70
	v_cndmask_b32_e32 v1, v1, v12, vcc_lo
	v_cndmask_b32_e64 v7, v13, v4, s2
	v_cndmask_b32_e64 v3, v3, v8, s2
	;; [unrolled: 1-line block ×3, first 2 shown]
	v_cmp_eq_u32_e64 s2, 7, v69
	v_cndmask_b32_e64 v4, v10, v8, s4
	v_cndmask_b32_e64 v5, v5, v12, s5
	;; [unrolled: 1-line block ×3, first 2 shown]
	v_cndmask_b32_e32 v2, v2, v16, vcc_lo
	v_cndmask_b32_e64 v7, v7, v12, s2
	v_cndmask_b32_e64 v3, v3, v16, s2
	;; [unrolled: 1-line block ×4, first 2 shown]
	v_perm_b32 v4, v2, v1, 0x5040100
	s_mov_b32 s2, exec_lo
	v_perm_b32 v3, v3, v7, 0x5040100
	v_perm_b32 v2, v8, v9, 0x5040100
	;; [unrolled: 1-line block ×3, first 2 shown]
	ds_store_b128 v74, v[1:4]
	s_waitcnt lgkmcnt(0)
	s_barrier
	buffer_gl0_inv
	v_cmpx_gt_u32_e32 32, v0
	s_cbranch_execz .LBB1055_2
; %bb.15:
	s_load_b64 s[0:1], s[0:1], 0x68
	s_lshl_b32 s4, s34, 7
	v_or_b32_e32 v3, s31, v66
	s_mul_i32 s2, s4, s30
	v_lshlrev_b32_e32 v0, 10, v0
	s_mul_i32 s2, s2, s7
	v_lshlrev_b32_e32 v1, 4, v67
	s_ashr_i32 s3, s2, 31
	v_mul_lo_u32 v12, v3, s4
	s_lshl_b64 s[2:3], s[2:3], 1
	v_lshlrev_b32_e32 v2, 6, v66
	v_and_b32_e32 v0, 0x3800, v0
	s_delay_alu instid0(VALU_DEP_1) | instskip(NEXT) | instid1(VALU_DEP_4)
	v_or3_b32 v8, v0, v1, v2
	v_ashrrev_i32_e32 v13, 31, v12
	ds_load_b128 v[0:3], v8
	ds_load_b128 v[4:7], v8 offset:128
	ds_load_b128 v[8:11], v8 offset:256
	s_waitcnt lgkmcnt(0)
	s_add_u32 s2, s0, s2
	s_addc_u32 s3, s1, s3
	s_lshl_b32 s0, s14, 7
	s_delay_alu instid0(SALU_CYCLE_1) | instskip(NEXT) | instid1(SALU_CYCLE_1)
	s_ashr_i32 s1, s0, 31
	s_lshl_b64 s[0:1], s[0:1], 1
	s_delay_alu instid0(SALU_CYCLE_1)
	s_add_u32 s0, s2, s0
	s_addc_u32 s1, s3, s1
	s_lshl_b32 s2, s34, 8
	v_add_co_u32 v18, s0, s0, v65
	v_add_nc_u32_e32 v14, s2, v12
	v_lshlrev_b64 v[12:13], 1, v[12:13]
	v_add_co_ci_u32_e64 v19, null, s1, 0, s0
	s_delay_alu instid0(VALU_DEP_3) | instskip(SKIP_1) | instid1(VALU_DEP_4)
	v_add_nc_u32_e32 v16, s2, v14
	v_ashrrev_i32_e32 v15, 31, v14
	v_add_co_u32 v12, vcc_lo, v18, v12
	s_delay_alu instid0(VALU_DEP_4) | instskip(NEXT) | instid1(VALU_DEP_4)
	v_add_co_ci_u32_e32 v13, vcc_lo, v19, v13, vcc_lo
	v_ashrrev_i32_e32 v17, 31, v16
	s_delay_alu instid0(VALU_DEP_4) | instskip(NEXT) | instid1(VALU_DEP_2)
	v_lshlrev_b64 v[14:15], 1, v[14:15]
	v_lshlrev_b64 v[16:17], 1, v[16:17]
	s_delay_alu instid0(VALU_DEP_2) | instskip(NEXT) | instid1(VALU_DEP_3)
	v_add_co_u32 v14, vcc_lo, v18, v14
	v_add_co_ci_u32_e32 v15, vcc_lo, v19, v15, vcc_lo
	s_delay_alu instid0(VALU_DEP_3) | instskip(NEXT) | instid1(VALU_DEP_4)
	v_add_co_u32 v16, vcc_lo, v18, v16
	v_add_co_ci_u32_e32 v17, vcc_lo, v19, v17, vcc_lo
	s_clause 0x2
	global_store_b128 v[12:13], v[0:3], off
	global_store_b128 v[14:15], v[4:7], off
	;; [unrolled: 1-line block ×3, first 2 shown]
	s_nop 0
	s_sendmsg sendmsg(MSG_DEALLOC_VGPRS)
	s_endpgm
	.section	.rodata,"a",@progbits
	.p2align	6, 0x0
	.amdhsa_kernel _Z39paged_attention_ll4mi_QKV_mfma16_kernelIDF16_hLN4vllm18Fp8KVCacheDataTypeE1EDF16_Li32ELi128ELi256ELb1ELi6EL8MFMAType1EEvPKT_PKT0_S8_ifPKiSA_SA_iPKfiiiPfSD_PS3_PT2_iSC_SC_
		.amdhsa_group_segment_fixed_size 17472
		.amdhsa_private_segment_fixed_size 0
		.amdhsa_kernarg_size 400
		.amdhsa_user_sgpr_count 13
		.amdhsa_user_sgpr_dispatch_ptr 0
		.amdhsa_user_sgpr_queue_ptr 0
		.amdhsa_user_sgpr_kernarg_segment_ptr 1
		.amdhsa_user_sgpr_dispatch_id 0
		.amdhsa_user_sgpr_private_segment_size 0
		.amdhsa_wavefront_size32 1
		.amdhsa_uses_dynamic_stack 0
		.amdhsa_enable_private_segment 0
		.amdhsa_system_sgpr_workgroup_id_x 1
		.amdhsa_system_sgpr_workgroup_id_y 1
		.amdhsa_system_sgpr_workgroup_id_z 1
		.amdhsa_system_sgpr_workgroup_info 0
		.amdhsa_system_vgpr_workitem_id 0
		.amdhsa_next_free_vgpr 150
		.amdhsa_next_free_sgpr 37
		.amdhsa_reserve_vcc 1
		.amdhsa_float_round_mode_32 0
		.amdhsa_float_round_mode_16_64 0
		.amdhsa_float_denorm_mode_32 3
		.amdhsa_float_denorm_mode_16_64 3
		.amdhsa_dx10_clamp 1
		.amdhsa_ieee_mode 1
		.amdhsa_fp16_overflow 0
		.amdhsa_workgroup_processor_mode 1
		.amdhsa_memory_ordered 1
		.amdhsa_forward_progress 0
		.amdhsa_shared_vgpr_count 0
		.amdhsa_exception_fp_ieee_invalid_op 0
		.amdhsa_exception_fp_denorm_src 0
		.amdhsa_exception_fp_ieee_div_zero 0
		.amdhsa_exception_fp_ieee_overflow 0
		.amdhsa_exception_fp_ieee_underflow 0
		.amdhsa_exception_fp_ieee_inexact 0
		.amdhsa_exception_int_div_zero 0
	.end_amdhsa_kernel
	.section	.text._Z39paged_attention_ll4mi_QKV_mfma16_kernelIDF16_hLN4vllm18Fp8KVCacheDataTypeE1EDF16_Li32ELi128ELi256ELb1ELi6EL8MFMAType1EEvPKT_PKT0_S8_ifPKiSA_SA_iPKfiiiPfSD_PS3_PT2_iSC_SC_,"axG",@progbits,_Z39paged_attention_ll4mi_QKV_mfma16_kernelIDF16_hLN4vllm18Fp8KVCacheDataTypeE1EDF16_Li32ELi128ELi256ELb1ELi6EL8MFMAType1EEvPKT_PKT0_S8_ifPKiSA_SA_iPKfiiiPfSD_PS3_PT2_iSC_SC_,comdat
.Lfunc_end1055:
	.size	_Z39paged_attention_ll4mi_QKV_mfma16_kernelIDF16_hLN4vllm18Fp8KVCacheDataTypeE1EDF16_Li32ELi128ELi256ELb1ELi6EL8MFMAType1EEvPKT_PKT0_S8_ifPKiSA_SA_iPKfiiiPfSD_PS3_PT2_iSC_SC_, .Lfunc_end1055-_Z39paged_attention_ll4mi_QKV_mfma16_kernelIDF16_hLN4vllm18Fp8KVCacheDataTypeE1EDF16_Li32ELi128ELi256ELb1ELi6EL8MFMAType1EEvPKT_PKT0_S8_ifPKiSA_SA_iPKfiiiPfSD_PS3_PT2_iSC_SC_
                                        ; -- End function
	.section	.AMDGPU.csdata,"",@progbits
; Kernel info:
; codeLenInByte = 6640
; NumSgprs: 39
; NumVgprs: 150
; ScratchSize: 0
; MemoryBound: 0
; FloatMode: 240
; IeeeMode: 1
; LDSByteSize: 17472 bytes/workgroup (compile time only)
; SGPRBlocks: 4
; VGPRBlocks: 18
; NumSGPRsForWavesPerEU: 39
; NumVGPRsForWavesPerEU: 150
; Occupancy: 9
; WaveLimiterHint : 1
; COMPUTE_PGM_RSRC2:SCRATCH_EN: 0
; COMPUTE_PGM_RSRC2:USER_SGPR: 13
; COMPUTE_PGM_RSRC2:TRAP_HANDLER: 0
; COMPUTE_PGM_RSRC2:TGID_X_EN: 1
; COMPUTE_PGM_RSRC2:TGID_Y_EN: 1
; COMPUTE_PGM_RSRC2:TGID_Z_EN: 1
; COMPUTE_PGM_RSRC2:TIDIG_COMP_CNT: 0
	.section	.text._Z39paged_attention_ll4mi_QKV_mfma16_kernelIDF16_hLN4vllm18Fp8KVCacheDataTypeE1EDF16_Li32ELi128ELi256ELb1ELi7EL8MFMAType1EEvPKT_PKT0_S8_ifPKiSA_SA_iPKfiiiPfSD_PS3_PT2_iSC_SC_,"axG",@progbits,_Z39paged_attention_ll4mi_QKV_mfma16_kernelIDF16_hLN4vllm18Fp8KVCacheDataTypeE1EDF16_Li32ELi128ELi256ELb1ELi7EL8MFMAType1EEvPKT_PKT0_S8_ifPKiSA_SA_iPKfiiiPfSD_PS3_PT2_iSC_SC_,comdat
	.protected	_Z39paged_attention_ll4mi_QKV_mfma16_kernelIDF16_hLN4vllm18Fp8KVCacheDataTypeE1EDF16_Li32ELi128ELi256ELb1ELi7EL8MFMAType1EEvPKT_PKT0_S8_ifPKiSA_SA_iPKfiiiPfSD_PS3_PT2_iSC_SC_ ; -- Begin function _Z39paged_attention_ll4mi_QKV_mfma16_kernelIDF16_hLN4vllm18Fp8KVCacheDataTypeE1EDF16_Li32ELi128ELi256ELb1ELi7EL8MFMAType1EEvPKT_PKT0_S8_ifPKiSA_SA_iPKfiiiPfSD_PS3_PT2_iSC_SC_
	.globl	_Z39paged_attention_ll4mi_QKV_mfma16_kernelIDF16_hLN4vllm18Fp8KVCacheDataTypeE1EDF16_Li32ELi128ELi256ELb1ELi7EL8MFMAType1EEvPKT_PKT0_S8_ifPKiSA_SA_iPKfiiiPfSD_PS3_PT2_iSC_SC_
	.p2align	8
	.type	_Z39paged_attention_ll4mi_QKV_mfma16_kernelIDF16_hLN4vllm18Fp8KVCacheDataTypeE1EDF16_Li32ELi128ELi256ELb1ELi7EL8MFMAType1EEvPKT_PKT0_S8_ifPKiSA_SA_iPKfiiiPfSD_PS3_PT2_iSC_SC_,@function
_Z39paged_attention_ll4mi_QKV_mfma16_kernelIDF16_hLN4vllm18Fp8KVCacheDataTypeE1EDF16_Li32ELi128ELi256ELb1ELi7EL8MFMAType1EEvPKT_PKT0_S8_ifPKiSA_SA_iPKfiiiPfSD_PS3_PT2_iSC_SC_: ; @_Z39paged_attention_ll4mi_QKV_mfma16_kernelIDF16_hLN4vllm18Fp8KVCacheDataTypeE1EDF16_Li32ELi128ELi256ELb1ELi7EL8MFMAType1EEvPKT_PKT0_S8_ifPKiSA_SA_iPKfiiiPfSD_PS3_PT2_iSC_SC_
; %bb.0:
	s_load_b64 s[4:5], s[0:1], 0x30
	s_mov_b32 s34, s13
	s_waitcnt lgkmcnt(0)
	s_cmp_lg_u64 s[4:5], 0
	s_cselect_b32 s8, -1, 0
	s_ashr_i32 s35, s13, 31
	s_cmp_eq_u64 s[4:5], 0
	s_cbranch_scc1 .LBB1056_3
; %bb.1:
	s_lshl_b64 s[2:3], s[34:35], 2
	s_delay_alu instid0(SALU_CYCLE_1) | instskip(SKIP_4) | instid1(SALU_CYCLE_1)
	s_add_u32 s2, s4, s2
	s_addc_u32 s3, s5, s3
	s_load_b64 s[2:3], s[2:3], 0x0
	s_waitcnt lgkmcnt(0)
	s_sub_i32 s2, s3, s2
	s_cmp_eq_u32 s2, 1
	s_cselect_b32 s2, -1, 0
	s_delay_alu instid0(SALU_CYCLE_1)
	s_and_not1_b32 vcc_lo, exec_lo, s2
	s_cbranch_vccz .LBB1056_4
.LBB1056_2:
	s_nop 0
	s_sendmsg sendmsg(MSG_DEALLOC_VGPRS)
	s_endpgm
.LBB1056_3:
.LBB1056_4:
	s_load_b64 s[2:3], s[0:1], 0x28
	s_lshl_b64 s[6:7], s[34:35], 2
	s_waitcnt lgkmcnt(0)
	s_add_u32 s2, s2, s6
	s_addc_u32 s3, s3, s7
	s_lshl_b32 s12, s14, 8
	s_load_b32 s24, s[2:3], 0x0
	s_waitcnt lgkmcnt(0)
	s_cmp_ge_i32 s12, s24
	s_cbranch_scc1 .LBB1056_2
; %bb.5:
	s_clause 0x1
	s_load_b128 s[20:23], s[0:1], 0x8
	s_load_b64 s[2:3], s[0:1], 0x20
	s_and_not1_b32 vcc_lo, exec_lo, s8
	s_cbranch_vccnz .LBB1056_7
; %bb.6:
	s_add_u32 s4, s4, s6
	s_addc_u32 s5, s5, s7
	s_load_b32 s5, s[4:5], 0x0
	s_branch .LBB1056_8
.LBB1056_7:
	s_mov_b32 s5, s34
.LBB1056_8:
	s_load_b128 s[16:19], s[0:1], 0x48
	v_and_b32_e32 v68, 15, v0
	v_lshrrev_b32_e32 v69, 5, v0
	v_bfe_u32 v66, v0, 4, 1
	v_and_b32_e32 v70, 31, v0
	v_and_b32_e32 v67, 1, v0
	v_lshlrev_b32_e32 v2, 3, v68
	s_mul_i32 s31, s15, 7
	v_lshl_or_b32 v1, v69, 1, v66
	s_mov_b32 s4, exec_lo
	s_delay_alu instid0(VALU_DEP_2) | instskip(NEXT) | instid1(VALU_DEP_2)
	v_lshlrev_b32_e32 v65, 1, v2
	v_cmpx_gt_u32_e32 7, v1
	s_cbranch_execz .LBB1056_10
; %bb.9:
	s_load_b64 s[6:7], s[0:1], 0x0
	v_add_lshl_u32 v2, v1, s31, 7
	s_waitcnt lgkmcnt(0)
	s_mul_hi_i32 s9, s5, s16
	s_mul_i32 s8, s5, s16
	v_lshlrev_b32_e32 v6, 10, v68
	s_lshl_b64 s[8:9], s[8:9], 1
	v_ashrrev_i32_e32 v3, 31, v2
	v_lshlrev_b32_e32 v1, 6, v1
	v_lshlrev_b32_e32 v7, 10, v67
	v_and_b32_e32 v6, 0x3800, v6
	s_delay_alu instid0(VALU_DEP_4) | instskip(NEXT) | instid1(VALU_DEP_2)
	v_lshlrev_b64 v[2:3], 1, v[2:3]
	v_or3_b32 v1, v6, v7, v1
	s_add_u32 s5, s6, s8
	s_addc_u32 s6, s7, s9
	s_delay_alu instid0(VALU_DEP_2) | instskip(NEXT) | instid1(VALU_DEP_3)
	v_add_co_u32 v2, vcc_lo, s5, v2
	v_add_co_ci_u32_e32 v3, vcc_lo, s6, v3, vcc_lo
	s_delay_alu instid0(VALU_DEP_2) | instskip(NEXT) | instid1(VALU_DEP_2)
	v_add_co_u32 v2, vcc_lo, v2, v65
	v_add_co_ci_u32_e32 v3, vcc_lo, 0, v3, vcc_lo
	global_load_b128 v[2:5], v[2:3], off
	s_waitcnt vmcnt(0)
	ds_store_b128 v1, v[2:5]
.LBB1056_10:
	s_or_b32 exec_lo, exec_lo, s4
	v_and_b32_e32 v1, 0xef, v0
	s_waitcnt lgkmcnt(0)
	s_add_i32 s5, s24, 31
	s_clause 0x1
	s_load_b32 s4, s[0:1], 0x38
	s_load_b32 s33, s[0:1], 0x98
	s_ashr_i32 s6, s5, 31
	v_add_nc_u32_e32 v1, s12, v1
	s_lshr_b32 s6, s6, 27
	s_load_b32 s19, s[0:1], 0x1c
	s_add_i32 s5, s5, s6
	s_waitcnt lgkmcnt(0)
	v_ashrrev_i32_e32 v2, 31, v1
	v_or_b32_e32 v3, 16, v1
	s_ashr_i32 s13, s5, 5
	v_cmp_gt_i32_e32 vcc_lo, s24, v1
	s_add_i32 s13, s13, -1
	v_lshrrev_b32_e32 v2, 27, v2
	s_barrier
	buffer_gl0_inv
	s_mul_i32 s15, s15, s18
	v_add_nc_u32_e32 v4, v1, v2
	s_mul_i32 s4, s34, s4
	s_delay_alu instid0(SALU_CYCLE_1) | instskip(NEXT) | instid1(VALU_DEP_1)
	s_ashr_i32 s5, s4, 31
	v_ashrrev_i32_e32 v4, 5, v4
	v_add_nc_u32_e32 v2, v3, v2
	s_lshl_b64 s[4:5], s[4:5], 2
	s_delay_alu instid0(SALU_CYCLE_1) | instskip(NEXT) | instid1(VALU_DEP_2)
	s_add_u32 s16, s2, s4
	v_cndmask_b32_e32 v1, s13, v4, vcc_lo
	s_delay_alu instid0(VALU_DEP_2)
	v_ashrrev_i32_e32 v2, 5, v2
	v_cmp_gt_i32_e32 vcc_lo, s24, v3
	s_addc_u32 s25, s3, s5
	s_ashr_i32 s18, s15, 31
	s_add_u32 s2, s20, s15
	s_addc_u32 s3, s21, s18
	v_cndmask_b32_e32 v3, s13, v2, vcc_lo
	v_ashrrev_i32_e32 v2, 31, v1
	s_lshl_b32 s4, s14, 3
	s_delay_alu instid0(SALU_CYCLE_1) | instskip(NEXT) | instid1(VALU_DEP_2)
	s_ashr_i32 s5, s4, 31
	v_ashrrev_i32_e32 v4, 31, v3
	s_delay_alu instid0(VALU_DEP_2) | instskip(SKIP_1) | instid1(SALU_CYCLE_1)
	v_lshlrev_b64 v[1:2], 2, v[1:2]
	s_lshl_b64 s[4:5], s[4:5], 2
	s_add_u32 s4, s16, s4
	s_delay_alu instid0(VALU_DEP_2) | instskip(SKIP_1) | instid1(VALU_DEP_2)
	v_lshlrev_b64 v[3:4], 2, v[3:4]
	s_addc_u32 s5, s25, s5
	v_add_co_u32 v1, vcc_lo, s16, v1
	v_add_co_ci_u32_e32 v2, vcc_lo, s25, v2, vcc_lo
	s_delay_alu instid0(VALU_DEP_3) | instskip(NEXT) | instid1(VALU_DEP_4)
	v_add_co_u32 v3, vcc_lo, s16, v3
	v_add_co_ci_u32_e32 v4, vcc_lo, s25, v4, vcc_lo
	s_clause 0x1
	global_load_b32 v5, v[1:2], off
	global_load_b32 v6, v[3:4], off
	s_or_b32 s6, s12, 32
	s_delay_alu instid0(SALU_CYCLE_1) | instskip(SKIP_2) | instid1(SALU_CYCLE_1)
	s_ashr_i32 s7, s6, 5
	s_cmp_lt_i32 s6, s24
	s_cselect_b32 s6, s7, s13
	s_ashr_i32 s7, s6, 31
	s_delay_alu instid0(SALU_CYCLE_1) | instskip(NEXT) | instid1(SALU_CYCLE_1)
	s_lshl_b64 s[6:7], s[6:7], 2
	s_add_u32 s6, s16, s6
	s_addc_u32 s7, s25, s7
	s_or_b32 s8, s12, 64
	s_delay_alu instid0(SALU_CYCLE_1) | instskip(SKIP_2) | instid1(SALU_CYCLE_1)
	s_ashr_i32 s9, s8, 5
	s_cmp_lt_i32 s8, s24
	s_cselect_b32 s8, s9, s13
	s_ashr_i32 s9, s8, 31
	s_delay_alu instid0(SALU_CYCLE_1) | instskip(NEXT) | instid1(SALU_CYCLE_1)
	s_lshl_b64 s[8:9], s[8:9], 2
	s_add_u32 s8, s16, s8
	s_addc_u32 s9, s25, s9
	s_or_b32 s10, s12, 0x60
	s_delay_alu instid0(SALU_CYCLE_1) | instskip(SKIP_2) | instid1(SALU_CYCLE_1)
	s_ashr_i32 s11, s10, 5
	s_cmp_lt_i32 s10, s24
	s_cselect_b32 s10, s11, s13
	s_ashr_i32 s11, s10, 31
	s_delay_alu instid0(SALU_CYCLE_1) | instskip(NEXT) | instid1(SALU_CYCLE_1)
	s_lshl_b64 s[10:11], s[10:11], 2
	s_add_u32 s10, s16, s10
	s_addc_u32 s11, s25, s11
	s_or_b32 s20, s12, 0x80
	s_delay_alu instid0(SALU_CYCLE_1) | instskip(SKIP_2) | instid1(SALU_CYCLE_1)
	s_ashr_i32 s21, s20, 5
	s_cmp_lt_i32 s20, s24
	s_cselect_b32 s20, s21, s13
	s_ashr_i32 s21, s20, 31
	s_delay_alu instid0(SALU_CYCLE_1) | instskip(NEXT) | instid1(SALU_CYCLE_1)
	s_lshl_b64 s[20:21], s[20:21], 2
	s_add_u32 s20, s16, s20
	s_addc_u32 s21, s25, s21
	s_or_b32 s26, s12, 0xa0
	s_delay_alu instid0(SALU_CYCLE_1) | instskip(SKIP_2) | instid1(SALU_CYCLE_1)
	s_ashr_i32 s27, s26, 5
	s_cmp_lt_i32 s26, s24
	s_cselect_b32 s26, s27, s13
	s_ashr_i32 s27, s26, 31
	s_delay_alu instid0(SALU_CYCLE_1) | instskip(NEXT) | instid1(SALU_CYCLE_1)
	s_lshl_b64 s[26:27], s[26:27], 2
	s_add_u32 s26, s16, s26
	s_addc_u32 s27, s25, s27
	s_clause 0x5
	s_load_b32 s28, s[4:5], 0x0
	s_load_b32 s29, s[6:7], 0x0
	;; [unrolled: 1-line block ×6, first 2 shown]
	s_mov_b32 s4, 0
	s_delay_alu instid0(SALU_CYCLE_1)
	s_mov_b32 s5, s4
	s_mov_b32 s6, s4
	;; [unrolled: 1-line block ×7, first 2 shown]
	s_delay_alu instid0(SALU_CYCLE_1)
	v_dual_mov_b32 v118, s11 :: v_dual_mov_b32 v117, s10
	v_dual_mov_b32 v116, s9 :: v_dual_mov_b32 v115, s8
	v_mov_b32_e32 v113, s6
	v_dual_mov_b32 v111, s4 :: v_dual_mov_b32 v114, s7
	v_mov_b32_e32 v112, s5
	s_waitcnt vmcnt(1)
	v_mad_i64_i32 v[1:2], null, v5, s17, s[2:3]
	v_lshlrev_b32_e32 v5, 4, v68
	s_waitcnt vmcnt(0)
	v_mad_i64_i32 v[3:4], null, v6, s17, s[2:3]
	s_or_b32 s2, s12, 0xc0
	s_delay_alu instid0(SALU_CYCLE_1) | instskip(NEXT) | instid1(VALU_DEP_3)
	s_ashr_i32 s3, s2, 5
	v_add_co_u32 v1, vcc_lo, v1, v5
	s_delay_alu instid0(VALU_DEP_4) | instskip(NEXT) | instid1(VALU_DEP_3)
	v_add_co_ci_u32_e32 v2, vcc_lo, 0, v2, vcc_lo
	v_add_co_u32 v3, vcc_lo, v3, v5
	s_delay_alu instid0(VALU_DEP_4)
	v_add_co_ci_u32_e32 v4, vcc_lo, 0, v4, vcc_lo
	s_clause 0xf
	global_load_b128 v[17:20], v[1:2], off
	global_load_b128 v[21:24], v[1:2], off offset:512
	global_load_b128 v[25:28], v[3:4], off offset:256
	;; [unrolled: 1-line block ×15, first 2 shown]
	v_mul_lo_u16 v1, v68, 37
	s_cmp_lt_i32 s2, s24
	v_lshlrev_b32_e32 v2, 5, v68
	s_cselect_b32 s2, s3, s13
	s_delay_alu instid0(VALU_DEP_2) | instskip(SKIP_1) | instid1(SALU_CYCLE_1)
	v_lshrrev_b16 v1, 8, v1
	s_ashr_i32 s3, s2, 31
	s_lshl_b64 s[2:3], s[2:3], 2
	s_delay_alu instid0(VALU_DEP_1) | instskip(SKIP_3) | instid1(VALU_DEP_1)
	v_mul_lo_u16 v1, v1, 7
	s_add_u32 s2, s16, s2
	s_addc_u32 s3, s25, s3
	s_or_b32 s20, s12, 0xe0
	v_sub_nc_u16 v1, v68, v1
	s_ashr_i32 s21, s20, 5
	s_cmp_lt_i32 s20, s24
	s_cselect_b32 s20, s21, s13
	s_delay_alu instid0(VALU_DEP_1) | instskip(SKIP_1) | instid1(SALU_CYCLE_1)
	v_and_b32_e32 v1, 0xff, v1
	s_ashr_i32 s21, s20, 31
	s_lshl_b64 s[4:5], s[20:21], 2
	s_delay_alu instid0(VALU_DEP_1)
	v_lshlrev_b32_e32 v149, 6, v1
	s_add_u32 s4, s16, s4
	s_addc_u32 s5, s25, s5
	v_lshl_or_b32 v1, v69, 9, v2
	ds_load_b128 v[119:122], v149
	ds_load_b128 v[123:126], v149 offset:1024
	ds_load_b128 v[127:130], v149 offset:2048
	;; [unrolled: 1-line block ×3, first 2 shown]
	s_clause 0x1
	s_load_b32 s2, s[2:3], 0x0
	s_load_b32 s3, s[4:5], 0x0
	s_add_u32 s6, s22, s15
	s_addc_u32 s7, s23, s18
	v_add_co_u32 v135, s6, s6, v1
	s_delay_alu instid0(VALU_DEP_1) | instskip(SKIP_1) | instid1(VALU_DEP_1)
	v_add_co_ci_u32_e64 v136, null, s7, 0, s6
	s_waitcnt lgkmcnt(0)
	v_mad_i64_i32 v[1:2], null, s28, s17, v[135:136]
	v_mad_i64_i32 v[3:4], null, s29, s17, v[135:136]
	;; [unrolled: 1-line block ×6, first 2 shown]
	s_clause 0x9
	global_load_b128 v[49:52], v[1:2], off
	global_load_b128 v[53:56], v[1:2], off offset:16
	global_load_b128 v[41:44], v[3:4], off
	global_load_b128 v[45:48], v[3:4], off offset:16
	;; [unrolled: 2-line block ×5, first 2 shown]
	v_mad_i64_i32 v[145:146], null, s2, s17, v[135:136]
	v_mad_i64_i32 v[147:148], null, s3, s17, v[135:136]
	s_waitcnt vmcnt(24)
	v_wmma_f32_16x16x16_f16 v[135:142], v[17:24], v[119:126], v[111:118]
	s_waitcnt vmcnt(22)
	v_wmma_f32_16x16x16_f16 v[111:118], v[25:32], v[119:126], v[111:118]
	s_clause 0x3
	global_load_b128 v[17:20], v[143:144], off
	global_load_b128 v[21:24], v[143:144], off offset:16
	global_load_b128 v[25:28], v[145:146], off
	global_load_b128 v[29:32], v[145:146], off offset:16
	v_and_b32_e32 v119, 0xe0, v0
	s_waitcnt vmcnt(24)
	v_wmma_f32_16x16x16_f16 v[135:142], v[57:64], v[127:134], v[135:142]
	s_clause 0x1
	global_load_b128 v[57:60], v[147:148], off
	global_load_b128 v[61:64], v[147:148], off offset:16
	s_waitcnt vmcnt(24)
	v_wmma_f32_16x16x16_f16 v[111:118], v[71:78], v[127:134], v[111:118]
	ds_load_b128 v[71:74], v149 offset:4096
	ds_load_b128 v[75:78], v149 offset:5120
	v_add_nc_u32_e32 v128, s12, v119
	ds_load_b128 v[119:122], v149 offset:6144
	ds_load_b128 v[123:126], v149 offset:7168
	v_mbcnt_lo_u32_b32 v127, -1, 0
	s_waitcnt vmcnt(0) lgkmcnt(0)
	s_barrier
	v_or_b32_e32 v128, v128, v66
	buffer_gl0_inv
	v_xor_b32_e32 v129, 16, v127
	v_or_b32_e32 v130, 4, v128
	v_or_b32_e32 v131, 6, v128
	s_delay_alu instid0(VALU_DEP_3) | instskip(SKIP_4) | instid1(VALU_DEP_4)
	v_cmp_gt_i32_e32 vcc_lo, 32, v129
	v_or_b32_e32 v132, 8, v128
	v_or_b32_e32 v133, 10, v128
	v_cmp_gt_i32_e64 s3, s24, v130
	v_cmp_gt_i32_e64 s4, s24, v131
	;; [unrolled: 1-line block ×3, first 2 shown]
	v_wmma_f32_16x16x16_f16 v[135:142], v[79:86], v[71:78], v[135:142]
	v_wmma_f32_16x16x16_f16 v[111:118], v[87:94], v[71:78], v[111:118]
	v_or_b32_e32 v79, 12, v128
	v_or_b32_e32 v80, 14, v128
	v_cmp_gt_i32_e64 s6, s24, v133
	v_wmma_f32_16x16x16_f16 v[135:142], v[95:102], v[119:126], v[135:142]
	v_cndmask_b32_e32 v127, v127, v129, vcc_lo
	v_or_b32_e32 v129, 2, v128
	v_wmma_f32_16x16x16_f16 v[111:118], v[103:110], v[119:126], v[111:118]
	v_cmp_gt_i32_e32 vcc_lo, s24, v128
	v_dual_mul_f32 v88, s19, v135 :: v_dual_mul_f32 v87, s19, v136
	s_delay_alu instid0(VALU_DEP_4) | instskip(NEXT) | instid1(VALU_DEP_4)
	v_cmp_gt_i32_e64 s2, s24, v129
	v_mul_f32_e32 v94, s19, v113
	v_mul_f32_e32 v78, s19, v138
	;; [unrolled: 1-line block ×3, first 2 shown]
	v_cndmask_b32_e32 v88, 0xff7fffff, v88, vcc_lo
	v_cndmask_b32_e64 v87, 0xff7fffff, v87, s2
	v_dual_mul_f32 v76, s19, v140 :: v_dual_mul_f32 v77, s19, v139
	v_mul_f32_e32 v90, s19, v117
	v_cndmask_b32_e64 v86, 0xff7fffff, v86, s3
	v_cndmask_b32_e64 v78, 0xff7fffff, v78, s4
	v_max3_f32 v87, v88, 0xff7fffff, v87
	v_or_b32_e32 v81, 16, v128
	v_or_b32_e32 v82, 18, v128
	v_dual_mul_f32 v74, s19, v142 :: v_dual_mul_f32 v75, s19, v141
	v_mul_f32_e32 v92, s19, v115
	v_cndmask_b32_e64 v77, 0xff7fffff, v77, s5
	v_cndmask_b32_e64 v76, 0xff7fffff, v76, s6
	v_max3_f32 v78, v87, v86, v78
	v_cmp_gt_i32_e64 s7, s24, v79
	v_cmp_gt_i32_e64 s8, s24, v80
	v_or_b32_e32 v83, 20, v128
	v_or_b32_e32 v84, 22, v128
	v_dual_mul_f32 v89, s19, v118 :: v_dual_mul_f32 v96, s19, v111
	v_mul_f32_e32 v95, s19, v112
	v_cndmask_b32_e64 v75, 0xff7fffff, v75, s7
	v_cndmask_b32_e64 v74, 0xff7fffff, v74, s8
	v_max3_f32 v76, v78, v77, v76
	v_cmp_gt_i32_e64 s9, s24, v81
	v_cmp_gt_i32_e64 s10, s24, v82
	v_or_b32_e32 v85, 24, v128
	v_or_b32_e32 v71, 26, v128
	v_mul_f32_e32 v93, s19, v114
	v_cndmask_b32_e64 v77, 0xff7fffff, v96, s9
	v_cndmask_b32_e64 v78, 0xff7fffff, v95, s10
	v_max3_f32 v74, v76, v75, v74
	v_cmp_gt_i32_e64 s11, s24, v83
	v_cmp_gt_i32_e64 s12, s24, v84
	v_or_b32_e32 v72, 28, v128
	v_or_b32_e32 v73, 30, v128
	v_mul_f32_e32 v91, s19, v116
	v_cndmask_b32_e64 v75, 0xff7fffff, v94, s11
	v_cndmask_b32_e64 v76, 0xff7fffff, v93, s12
	v_max3_f32 v74, v74, v77, v78
	v_cmp_gt_i32_e64 s13, s24, v85
	v_cmp_gt_i32_e64 s15, s24, v71
	;; [unrolled: 1-line block ×4, first 2 shown]
	v_max3_f32 v74, v74, v75, v76
	v_cndmask_b32_e64 v77, 0xff7fffff, v92, s13
	v_cndmask_b32_e64 v71, 0xff7fffff, v91, s15
	;; [unrolled: 1-line block ×4, first 2 shown]
	s_delay_alu instid0(VALU_DEP_3) | instskip(SKIP_1) | instid1(VALU_DEP_2)
	v_max3_f32 v71, v74, v77, v71
	v_lshlrev_b32_e32 v74, 2, v127
	v_max3_f32 v71, v71, v72, v73
	ds_bpermute_b32 v72, v74, v71
	s_waitcnt lgkmcnt(0)
	v_max_f32_e32 v72, v72, v72
	s_delay_alu instid0(VALU_DEP_1) | instskip(NEXT) | instid1(VALU_DEP_1)
	v_max_f32_e32 v71, v71, v72
	v_fma_f32 v75, s19, v137, -v71
	v_fma_f32 v76, s19, v138, -v71
	;; [unrolled: 1-line block ×5, first 2 shown]
	s_delay_alu instid0(VALU_DEP_4) | instskip(NEXT) | instid1(VALU_DEP_4)
	v_dual_mul_f32 v75, 0x3fb8aa3b, v75 :: v_dual_mul_f32 v76, 0x3fb8aa3b, v76
	v_mul_f32_e32 v72, 0x3fb8aa3b, v72
	v_fma_f32 v77, s19, v139, -v71
	s_delay_alu instid0(VALU_DEP_4) | instskip(NEXT) | instid1(VALU_DEP_4)
	v_mul_f32_e32 v73, 0x3fb8aa3b, v73
	v_exp_f32_e32 v75, v75
	v_exp_f32_e32 v76, v76
	;; [unrolled: 1-line block ×3, first 2 shown]
	s_delay_alu instid0(VALU_DEP_1) | instskip(SKIP_2) | instid1(TRANS32_DEP_3)
	v_exp_f32_e32 v73, v73
	v_cndmask_b32_e64 v81, 0, v75, s3
	v_mul_f32_e32 v82, 0x3fb8aa3b, v80
	v_cndmask_b32_e64 v80, 0, v76, s4
	s_waitcnt_depctr 0xfff
	v_cndmask_b32_e64 v78, 0, v73, s2
	v_cmp_gt_u32_e64 s2, 16, v70
	v_exp_f32_e32 v84, v82
	s_waitcnt_depctr 0xfff
	v_cndmask_b32_e64 v85, 0, v84, s7
	v_cndmask_b32_e32 v79, 0, v72, vcc_lo
	v_fma_f32 v72, s19, v140, -v71
	v_mul_f32_e32 v77, 0x3fb8aa3b, v77
	s_delay_alu instid0(VALU_DEP_2) | instskip(NEXT) | instid1(VALU_DEP_2)
	v_dual_add_f32 v73, 0, v79 :: v_dual_mul_f32 v72, 0x3fb8aa3b, v72
	v_exp_f32_e32 v77, v77
	s_delay_alu instid0(VALU_DEP_1) | instskip(NEXT) | instid1(VALU_DEP_2)
	v_add_f32_e32 v73, v73, v78
	v_exp_f32_e32 v72, v72
	s_delay_alu instid0(VALU_DEP_1) | instskip(SKIP_4) | instid1(VALU_DEP_2)
	v_add_f32_e32 v73, v73, v81
	s_waitcnt_depctr 0xfff
	v_cndmask_b32_e64 v83, 0, v77, s5
	v_add_f32_e32 v73, v73, v80
	v_cndmask_b32_e64 v82, 0, v72, s6
	v_add_f32_e32 v72, v73, v83
	s_delay_alu instid0(VALU_DEP_1)
	v_add_f32_e32 v72, v72, v82
	v_fma_f32 v75, s19, v142, -v71
	v_fma_f32 v76, s19, v111, -v71
	;; [unrolled: 1-line block ×5, first 2 shown]
	s_delay_alu instid0(VALU_DEP_4) | instskip(NEXT) | instid1(VALU_DEP_4)
	v_dual_mul_f32 v75, 0x3fb8aa3b, v75 :: v_dual_mul_f32 v76, 0x3fb8aa3b, v76
	v_mul_f32_e32 v86, 0x3fb8aa3b, v86
	v_add_f32_e32 v72, v72, v85
	s_delay_alu instid0(VALU_DEP_3) | instskip(NEXT) | instid1(VALU_DEP_3)
	v_exp_f32_e32 v75, v75
	v_exp_f32_e32 v76, v76
	s_delay_alu instid0(VALU_DEP_2) | instskip(NEXT) | instid1(TRANS32_DEP_3)
	v_exp_f32_e32 v88, v86
	v_cndmask_b32_e64 v84, 0, v75, s8
	v_mul_f32_e32 v77, 0x3fb8aa3b, v77
	s_waitcnt_depctr 0xfff
	v_cndmask_b32_e64 v87, 0, v76, s9
	v_fma_f32 v76, s19, v116, -v71
	v_dual_mul_f32 v73, 0x3fb8aa3b, v73 :: v_dual_add_f32 v72, v72, v84
	v_exp_f32_e32 v77, v77
	v_fma_f32 v75, s19, v115, -v71
	s_delay_alu instid0(VALU_DEP_3) | instskip(NEXT) | instid1(VALU_DEP_3)
	v_mul_f32_e32 v76, 0x3fb8aa3b, v76
	v_exp_f32_e32 v73, v73
	v_add_f32_e32 v72, v72, v87
	v_cndmask_b32_e64 v88, 0, v88, s12
	s_delay_alu instid0(VALU_DEP_3) | instskip(NEXT) | instid1(TRANS32_DEP_3)
	v_exp_f32_e32 v76, v76
	v_cndmask_b32_e64 v86, 0, v77, s10
	v_mul_f32_e32 v75, 0x3fb8aa3b, v75
	v_fma_f32 v77, s19, v117, -v71
	s_delay_alu instid0(TRANS32_DEP_2) | instskip(NEXT) | instid1(VALU_DEP_4)
	v_cndmask_b32_e64 v89, 0, v73, s11
	v_add_f32_e32 v72, v72, v86
	s_delay_alu instid0(VALU_DEP_4) | instskip(NEXT) | instid1(TRANS32_DEP_2)
	v_exp_f32_e32 v75, v75
	v_cndmask_b32_e64 v90, 0, v76, s15
	s_delay_alu instid0(VALU_DEP_2) | instskip(SKIP_2) | instid1(VALU_DEP_3)
	v_add_f32_e32 v72, v72, v89
	v_mul_f32_e32 v73, 0x3fb8aa3b, v77
	v_fma_f32 v77, s19, v118, -v71
	v_add_f32_e32 v72, v72, v88
	s_delay_alu instid0(VALU_DEP_3) | instskip(NEXT) | instid1(TRANS32_DEP_2)
	v_exp_f32_e32 v73, v73
	v_cndmask_b32_e64 v91, 0, v75, s13
	s_delay_alu instid0(VALU_DEP_1) | instskip(NEXT) | instid1(VALU_DEP_1)
	v_dual_mul_f32 v75, 0x3fb8aa3b, v77 :: v_dual_add_f32 v72, v72, v91
	v_exp_f32_e32 v75, v75
	s_waitcnt_depctr 0xfff
	v_cndmask_b32_e64 v93, 0, v73, s16
	v_add_f32_e32 v72, v72, v90
	s_delay_alu instid0(VALU_DEP_1) | instskip(SKIP_1) | instid1(VALU_DEP_1)
	v_add_f32_e32 v72, v72, v93
	v_cndmask_b32_e64 v92, 0, v75, s17
	v_add_f32_e32 v72, v72, v92
	ds_bpermute_b32 v73, v74, v72
	s_and_saveexec_b32 s3, s2
	s_cbranch_execz .LBB1056_12
; %bb.11:
	v_mul_u32_u24_e32 v70, 0x44, v69
	s_waitcnt lgkmcnt(0)
	v_add_f32_e32 v72, v72, v73
	s_delay_alu instid0(VALU_DEP_2) | instskip(NEXT) | instid1(VALU_DEP_1)
	v_lshl_add_u32 v70, v68, 2, v70
	v_add_nc_u32_e32 v70, 0x4000, v70
	ds_store_2addr_b32 v70, v71, v72 offset1:136
.LBB1056_12:
	s_or_b32 exec_lo, exec_lo, s3
	v_lshlrev_b32_e32 v70, 2, v68
	s_load_b32 s35, s[0:1], 0x94
	s_waitcnt lgkmcnt(0)
	s_barrier
	buffer_gl0_inv
	v_add_nc_u32_e32 v98, 0x4000, v70
	v_cmp_eq_u32_e32 vcc_lo, 1, v69
	v_cmp_eq_u32_e64 s3, 2, v69
	v_cmp_eq_u32_e64 s4, 3, v69
	v_cmp_eq_u32_e64 s5, 4, v69
	ds_load_2addr_b32 v[70:71], v98 offset1:17
	ds_load_2addr_b32 v[72:73], v98 offset0:34 offset1:51
	ds_load_2addr_b32 v[74:75], v98 offset0:68 offset1:85
	;; [unrolled: 1-line block ×3, first 2 shown]
	v_cmp_eq_u32_e64 s6, 5, v69
	v_cmp_eq_u32_e64 s7, 7, v69
	s_waitcnt lgkmcnt(3)
	v_max3_f32 v76, v70, 0xff7fffff, v71
	s_waitcnt lgkmcnt(2)
	s_delay_alu instid0(VALU_DEP_1) | instskip(SKIP_1) | instid1(VALU_DEP_1)
	v_max3_f32 v76, v76, v72, v73
	s_waitcnt lgkmcnt(1)
	v_max3_f32 v76, v76, v74, v75
	s_waitcnt lgkmcnt(0)
	s_delay_alu instid0(VALU_DEP_1) | instskip(NEXT) | instid1(VALU_DEP_1)
	v_max3_f32 v76, v76, v94, v95
	v_sub_f32_e32 v77, v71, v76
	ds_load_2addr_b32 v[96:97], v98 offset0:136 offset1:153
	v_sub_f32_e32 v74, v74, v76
	v_sub_f32_e32 v70, v70, v76
	;; [unrolled: 1-line block ×3, first 2 shown]
	v_dual_sub_f32 v72, v72, v76 :: v_dual_mul_f32 v77, 0x3fb8aa3b, v77
	s_delay_alu instid0(VALU_DEP_4) | instskip(NEXT) | instid1(VALU_DEP_4)
	v_mul_f32_e32 v103, 0x3fb8aa3b, v74
	v_mul_f32_e32 v99, 0x3fb8aa3b, v70
	ds_load_2addr_b32 v[70:71], v98 offset0:170 offset1:187
	v_dual_mul_f32 v101, 0x3fb8aa3b, v72 :: v_dual_mul_f32 v94, 0x3fb8aa3b, v94
	v_exp_f32_e32 v102, v77
	v_exp_f32_e32 v99, v99
	s_delay_alu instid0(VALU_DEP_1) | instskip(NEXT) | instid1(VALU_DEP_1)
	v_exp_f32_e32 v101, v101
	v_exp_f32_e32 v94, v94
	s_waitcnt lgkmcnt(1)
	s_delay_alu instid0(TRANS32_DEP_3)
	v_fma_f32 v77, v99, v96, 0
	v_sub_f32_e32 v100, v73, v76
	ds_load_2addr_b32 v[72:73], v98 offset0:204 offset1:221
	v_fmac_f32_e32 v77, v102, v97
	v_exp_f32_e32 v97, v103
	s_waitcnt lgkmcnt(1)
	s_delay_alu instid0(VALU_DEP_1)
	v_dual_fmac_f32 v77, v101, v70 :: v_dual_sub_f32 v96, v75, v76
	ds_load_2addr_b32 v[74:75], v98 offset0:238 offset1:255
	v_sub_f32_e32 v70, v95, v76
	s_waitcnt lgkmcnt(0)
	s_barrier
	v_mul_f32_e32 v96, 0x3fb8aa3b, v96
	buffer_gl0_inv
	v_exp_f32_e32 v95, v96
	v_mul_f32_e32 v100, 0x3fb8aa3b, v100
	s_delay_alu instid0(VALU_DEP_1) | instskip(SKIP_3) | instid1(VALU_DEP_2)
	v_exp_f32_e32 v100, v100
	s_waitcnt_depctr 0xfff
	v_dual_fmac_f32 v77, v100, v71 :: v_dual_mul_f32 v70, 0x3fb8aa3b, v70
	v_cndmask_b32_e32 v71, v99, v102, vcc_lo
	v_fmac_f32_e32 v77, v97, v72
	s_delay_alu instid0(VALU_DEP_3) | instskip(NEXT) | instid1(VALU_DEP_1)
	v_exp_f32_e32 v96, v70
	v_fmac_f32_e32 v77, v95, v73
	s_delay_alu instid0(VALU_DEP_1) | instskip(SKIP_2) | instid1(VALU_DEP_1)
	v_fmac_f32_e32 v77, v94, v74
	s_waitcnt_depctr 0xfff
	v_fmac_f32_e32 v77, v96, v75
	v_add_f32_e32 v74, 0x358637bd, v77
	s_delay_alu instid0(VALU_DEP_1) | instskip(SKIP_1) | instid1(VALU_DEP_2)
	v_div_scale_f32 v98, null, v74, v74, 1.0
	v_div_scale_f32 v99, vcc_lo, 1.0, v74, 1.0
	v_rcp_f32_e32 v103, v98
	s_waitcnt_depctr 0xfff
	v_fma_f32 v70, -v98, v103, 1.0
	s_delay_alu instid0(VALU_DEP_1) | instskip(SKIP_2) | instid1(VALU_DEP_2)
	v_fmac_f32_e32 v103, v70, v103
	v_cndmask_b32_e64 v70, v71, v101, s3
	v_cmp_eq_u32_e64 s3, 6, v69
	v_cndmask_b32_e64 v71, v70, v100, s4
	s_delay_alu instid0(VALU_DEP_4) | instskip(NEXT) | instid1(VALU_DEP_2)
	v_dual_mul_f32 v101, v99, v103 :: v_dual_lshlrev_b32 v70, 2, v66
	v_cndmask_b32_e64 v71, v71, v97, s5
	s_delay_alu instid0(VALU_DEP_2) | instskip(NEXT) | instid1(VALU_DEP_3)
	v_or_b32_e32 v72, 1, v70
	v_fma_f32 v100, -v98, v101, v99
	v_cmp_eq_u32_e64 s4, 1, v70
	v_cmp_eq_u32_e64 s5, 2, v70
	v_cndmask_b32_e64 v95, v71, v95, s6
	v_or_b32_e32 v71, 3, v70
	v_fmac_f32_e32 v101, v100, v103
	v_cmp_eq_u32_e64 s9, 1, v72
	v_cmp_eq_u32_e64 s12, 2, v72
	v_cndmask_b32_e64 v94, v95, v94, s3
	v_cmp_eq_u32_e64 s11, 1, v71
	v_fma_f32 v97, -v98, v101, v99
	v_cmp_eq_u32_e64 s16, 2, v71
	v_cmp_eq_u32_e64 s13, 3, v72
	v_cndmask_b32_e64 v94, v94, v96, s7
	v_cmp_eq_u32_e64 s18, 3, v71
	v_div_fmas_f32 v95, v97, v103, v101
	v_cmp_eq_u32_e32 vcc_lo, 3, v70
	v_cmp_eq_u32_e64 s3, 4, v70
	v_cmp_eq_u32_e64 s19, 4, v72
	;; [unrolled: 1-line block ×3, first 2 shown]
	v_div_fixup_f32 v95, v95, v74, 1.0
	v_lshlrev_b32_e32 v73, 6, v68
	v_cmp_eq_u32_e64 s6, 5, v70
	v_cmp_eq_u32_e64 s20, 5, v72
	;; [unrolled: 1-line block ×3, first 2 shown]
	v_mul_f32_e32 v102, v94, v95
	v_lshl_or_b32 v75, v69, 11, v73
	v_or_b32_e32 v69, 2, v70
	v_cmp_eq_u32_e64 s25, 6, v72
	v_cmp_eq_u32_e64 s27, 6, v71
	v_fma_mixlo_f16 v94, v102, v79, 0
	v_fma_mixlo_f16 v95, v102, v81, 0
	;; [unrolled: 1-line block ×8, first 2 shown]
	v_lshl_or_b32 v74, v66, 4, v75
	v_fma_mixhi_f16 v94, v102, v78, 0
	v_fma_mixhi_f16 v95, v102, v80, 0
	;; [unrolled: 1-line block ×8, first 2 shown]
	ds_store_b128 v74, v[94:97]
	ds_store_b128 v74, v[98:101] offset:1024
	s_waitcnt lgkmcnt(0)
	s_barrier
	buffer_gl0_inv
	ds_load_b128 v[78:81], v75
	ds_load_b128 v[82:85], v75 offset:16
	ds_load_b128 v[86:89], v75 offset:1024
	;; [unrolled: 1-line block ×3, first 2 shown]
	v_cmp_eq_u32_e64 s10, 1, v69
	v_cmp_eq_u32_e64 s15, 2, v69
	v_cmp_eq_u32_e64 s17, 3, v69
	v_cmp_eq_u32_e64 s21, 4, v69
	v_cmp_eq_u32_e64 s23, 5, v69
	v_cmp_eq_u32_e64 s7, 6, v70
	v_cmp_eq_u32_e64 s26, 6, v69
	v_cmp_eq_u32_e64 s29, 7, v71
	v_cmp_eq_u32_e64 s30, 7, v72
	v_cmp_eq_u32_e64 s8, 7, v70
	v_cmp_eq_u32_e64 s28, 7, v69
	s_waitcnt lgkmcnt(3)
	v_lshrrev_b32_e32 v94, 16, v78
	s_waitcnt lgkmcnt(2)
	v_lshrrev_b32_e32 v98, 16, v82
	;; [unrolled: 2-line block ×4, first 2 shown]
	v_lshrrev_b32_e32 v95, 16, v79
	v_cndmask_b32_e64 v110, v78, v94, s4
	v_cndmask_b32_e64 v111, v82, v98, s4
	;; [unrolled: 1-line block ×8, first 2 shown]
	v_lshrrev_b32_e32 v99, 16, v83
	v_cndmask_b32_e64 v94, v86, v102, s4
	v_cndmask_b32_e64 v98, v90, v106, s4
	;; [unrolled: 1-line block ×15, first 2 shown]
	v_lshrrev_b32_e32 v103, 16, v87
	v_lshrrev_b32_e32 v107, 16, v91
	v_cndmask_b32_e64 v113, v115, v83, s15
	v_cndmask_b32_e64 v82, v94, v87, s5
	;; [unrolled: 1-line block ×7, first 2 shown]
	v_cndmask_b32_e32 v90, v102, v95, vcc_lo
	v_cndmask_b32_e32 v102, v106, v99, vcc_lo
	v_cndmask_b32_e64 v106, v110, v95, s13
	v_cndmask_b32_e64 v110, v111, v99, s13
	;; [unrolled: 1-line block ×4, first 2 shown]
	v_lshrrev_b32_e32 v96, 16, v80
	v_lshrrev_b32_e32 v100, 16, v84
	v_cndmask_b32_e64 v111, v112, v95, s17
	v_cndmask_b32_e64 v112, v113, v99, s17
	v_cndmask_b32_e32 v82, v82, v103, vcc_lo
	v_cndmask_b32_e32 v83, v83, v107, vcc_lo
	v_cndmask_b32_e64 v94, v94, v103, s13
	v_cndmask_b32_e64 v90, v90, v80, s3
	;; [unrolled: 1-line block ×7, first 2 shown]
	v_lshrrev_b32_e32 v104, 16, v88
	v_cndmask_b32_e64 v106, v111, v80, s21
	v_cndmask_b32_e64 v110, v112, v84, s21
	;; [unrolled: 1-line block ×11, first 2 shown]
	v_lshrrev_b32_e32 v97, 16, v81
	v_lshrrev_b32_e32 v101, 16, v85
	v_cndmask_b32_e64 v99, v106, v96, s23
	v_cndmask_b32_e64 v102, v110, v100, s23
	;; [unrolled: 1-line block ×7, first 2 shown]
	v_lshrrev_b32_e32 v105, 16, v89
	v_cndmask_b32_e64 v80, v80, v104, s6
	v_cndmask_b32_e64 v84, v84, v81, s7
	;; [unrolled: 1-line block ×16, first 2 shown]
	v_perm_b32 v81, v79, v78, 0x5040100
	v_perm_b32 v79, v95, v85, 0x5040100
	v_cndmask_b32_e64 v78, v119, v91, s15
	v_cndmask_b32_e64 v85, v117, v91, s12
	v_cndmask_b32_e64 v96, v80, v105, s8
	v_perm_b32 v80, v94, v90, 0x5040100
	v_cndmask_b32_e64 v90, v98, v103, s17
	v_cndmask_b32_e64 v86, v86, v103, s18
	;; [unrolled: 1-line block ×5, first 2 shown]
	v_lshrrev_b32_e32 v108, 16, v92
	v_cndmask_b32_e64 v90, v90, v88, s21
	v_cndmask_b32_e64 v86, v86, v88, s22
	;; [unrolled: 1-line block ×11, first 2 shown]
	v_lshrrev_b32_e32 v109, 16, v93
	v_cndmask_b32_e64 v82, v82, v93, s7
	v_cndmask_b32_e64 v88, v88, v89, s26
	;; [unrolled: 1-line block ×12, first 2 shown]
	v_perm_b32 v78, v84, v83, 0x5040100
	v_perm_b32 v85, v87, v86, 0x5040100
	;; [unrolled: 1-line block ×5, first 2 shown]
	s_mul_i32 s8, s33, 7
	s_mov_b32 s3, exec_lo
	ds_store_b128 v74, v[78:81]
	ds_store_b128 v74, v[82:85] offset:1024
	v_cmpx_gt_u32_e32 7, v0
	s_cbranch_execz .LBB1056_14
; %bb.13:
	s_mul_i32 s4, s8, s34
	s_delay_alu instid0(SALU_CYCLE_1) | instskip(SKIP_1) | instid1(VALU_DEP_1)
	v_add3_u32 v68, s4, s31, v68
	s_load_b128 s[4:7], s[0:1], 0x58
	v_mad_u64_u32 v[78:79], null, v68, s35, s[14:15]
	s_delay_alu instid0(VALU_DEP_1) | instskip(NEXT) | instid1(VALU_DEP_1)
	v_ashrrev_i32_e32 v79, 31, v78
	v_lshlrev_b64 v[78:79], 2, v[78:79]
	s_waitcnt lgkmcnt(0)
	s_delay_alu instid0(VALU_DEP_1) | instskip(NEXT) | instid1(VALU_DEP_2)
	v_add_co_u32 v80, vcc_lo, s6, v78
	v_add_co_ci_u32_e32 v81, vcc_lo, s7, v79, vcc_lo
	v_add_co_u32 v78, vcc_lo, s4, v78
	v_add_co_ci_u32_e32 v79, vcc_lo, s5, v79, vcc_lo
	global_store_b32 v[80:81], v76, off
	global_store_b32 v[78:79], v77, off
.LBB1056_14:
	s_or_b32 exec_lo, exec_lo, s3
	s_waitcnt lgkmcnt(0)
	s_waitcnt_vscnt null, 0x0
	s_barrier
	buffer_gl0_inv
	ds_load_b128 v[84:87], v73
	ds_load_b128 v[88:91], v73 offset:16
	ds_load_b128 v[96:99], v73 offset:2064
	;; [unrolled: 1-line block ×5, first 2 shown]
	v_cmp_eq_u32_e32 vcc_lo, 1, v70
	v_mov_b32_e32 v76, 0
	ds_load_b128 v[112:115], v73 offset:6160
	ds_load_b128 v[108:111], v73 offset:6144
	;; [unrolled: 1-line block ×4, first 2 shown]
	v_cmp_eq_u32_e64 s4, 1, v69
	v_cmp_eq_u32_e64 s3, 1, v72
	;; [unrolled: 1-line block ×3, first 2 shown]
	v_mov_b32_e32 v77, v76
	v_mov_b32_e32 v78, v76
	;; [unrolled: 1-line block ×7, first 2 shown]
	v_cmp_eq_u32_e64 s6, 3, v72
	v_cmp_eq_u32_e64 s7, 7, v72
	s_waitcnt lgkmcnt(8)
	s_delay_alu instid0(VALU_DEP_3)
	v_wmma_f32_16x16x16_f16 v[76:83], v[49:56], v[84:91], v[76:83]
	ds_load_b128 v[53:56], v73 offset:10256
	ds_load_b128 v[49:52], v73 offset:10240
	s_waitcnt lgkmcnt(8)
	v_wmma_f32_16x16x16_f16 v[76:83], v[41:48], v[92:99], v[76:83]
	ds_load_b128 v[45:48], v73 offset:12304
	ds_load_b128 v[41:44], v73 offset:12288
	s_waitcnt lgkmcnt(8)
	;; [unrolled: 4-line block ×3, first 2 shown]
	s_barrier
	buffer_gl0_inv
	v_wmma_f32_16x16x16_f16 v[76:83], v[1:8], v[108:115], v[76:83]
	s_delay_alu instid0(VALU_DEP_1) | instskip(NEXT) | instid1(VALU_DEP_1)
	v_wmma_f32_16x16x16_f16 v[76:83], v[9:16], v[116:123], v[76:83]
	v_wmma_f32_16x16x16_f16 v[76:83], v[17:24], v[49:56], v[76:83]
	s_delay_alu instid0(VALU_DEP_1) | instskip(NEXT) | instid1(VALU_DEP_1)
	v_wmma_f32_16x16x16_f16 v[76:83], v[25:32], v[41:48], v[76:83]
	v_wmma_f32_16x16x16_f16 v[76:83], v[57:64], v[33:40], v[76:83]
	s_delay_alu instid0(VALU_DEP_1) | instskip(NEXT) | instid1(VALU_DEP_2)
	v_cvt_f16_f32_e32 v1, v76
	v_cvt_f16_f32_e32 v2, v77
	s_delay_alu instid0(VALU_DEP_3) | instskip(NEXT) | instid1(VALU_DEP_4)
	v_cvt_f16_f32_e32 v3, v78
	v_cvt_f16_f32_e32 v4, v79
	;; [unrolled: 1-line block ×6, first 2 shown]
	v_pack_b32_f16 v1, v1, v2
	v_pack_b32_f16 v2, v3, v4
	;; [unrolled: 1-line block ×3, first 2 shown]
	s_delay_alu instid0(VALU_DEP_4)
	v_pack_b32_f16 v4, v7, v8
	ds_store_b128 v74, v[1:4]
	s_waitcnt lgkmcnt(0)
	s_barrier
	buffer_gl0_inv
	ds_load_b128 v[1:4], v75
	ds_load_b128 v[5:8], v75 offset:16
	s_waitcnt lgkmcnt(1)
	v_lshrrev_b32_e32 v9, 16, v1
	s_waitcnt lgkmcnt(0)
	v_lshrrev_b32_e32 v13, 16, v5
	v_lshrrev_b32_e32 v10, 16, v2
	v_lshrrev_b32_e32 v14, 16, v6
	v_lshrrev_b32_e32 v11, 16, v3
	v_cndmask_b32_e32 v17, v1, v9, vcc_lo
	v_cndmask_b32_e32 v18, v5, v13, vcc_lo
	v_cndmask_b32_e64 v21, v1, v9, s4
	v_cmp_eq_u32_e32 vcc_lo, 1, v71
	v_cndmask_b32_e64 v22, v5, v13, s4
	v_cmp_eq_u32_e64 s4, 2, v70
	v_cndmask_b32_e64 v19, v1, v9, s3
	v_cndmask_b32_e64 v20, v5, v13, s3
	v_cndmask_b32_e32 v1, v1, v9, vcc_lo
	v_cmp_eq_u32_e64 s3, 2, v71
	v_cndmask_b32_e32 v5, v5, v13, vcc_lo
	v_cndmask_b32_e64 v9, v17, v2, s4
	v_cmp_eq_u32_e32 vcc_lo, 3, v70
	v_cndmask_b32_e64 v13, v18, v6, s4
	v_cmp_eq_u32_e64 s4, 2, v69
	v_cndmask_b32_e64 v17, v19, v2, s5
	v_cndmask_b32_e64 v18, v20, v6, s5
	v_cmp_eq_u32_e64 s5, 3, v69
	v_cndmask_b32_e64 v1, v1, v2, s3
	v_cndmask_b32_e64 v19, v21, v2, s4
	;; [unrolled: 1-line block ×4, first 2 shown]
	v_cndmask_b32_e32 v5, v9, v10, vcc_lo
	v_cndmask_b32_e32 v6, v13, v14, vcc_lo
	v_cmp_eq_u32_e32 vcc_lo, 3, v71
	v_cndmask_b32_e64 v9, v17, v10, s6
	v_cndmask_b32_e64 v13, v18, v14, s6
	;; [unrolled: 1-line block ×3, first 2 shown]
	v_cmp_eq_u32_e64 s4, 4, v70
	v_cndmask_b32_e32 v1, v1, v10, vcc_lo
	v_cndmask_b32_e32 v2, v2, v14, vcc_lo
	v_cmp_eq_u32_e32 vcc_lo, 4, v72
	v_lshrrev_b32_e32 v15, 16, v7
	v_lshrrev_b32_e32 v16, 16, v8
	v_cndmask_b32_e64 v17, v19, v10, s5
	v_cmp_eq_u32_e64 s3, 4, v71
	v_cndmask_b32_e64 v5, v5, v3, s4
	v_cndmask_b32_e64 v6, v6, v7, s4
	v_cndmask_b32_e32 v9, v9, v3, vcc_lo
	v_cmp_eq_u32_e64 s4, 5, v72
	v_cndmask_b32_e32 v10, v13, v7, vcc_lo
	v_cmp_eq_u32_e32 vcc_lo, 4, v69
	v_cmp_eq_u32_e64 s5, 5, v70
	v_cndmask_b32_e64 v2, v2, v7, s3
	v_cndmask_b32_e64 v9, v9, v11, s4
	;; [unrolled: 1-line block ×3, first 2 shown]
	v_cndmask_b32_e32 v13, v17, v3, vcc_lo
	v_cmp_eq_u32_e64 s4, 5, v69
	v_cndmask_b32_e32 v14, v18, v7, vcc_lo
	v_cndmask_b32_e64 v1, v1, v3, s3
	v_cmp_eq_u32_e32 vcc_lo, 5, v71
	v_lshrrev_b32_e32 v12, 16, v4
	v_cndmask_b32_e64 v13, v13, v11, s4
	v_cndmask_b32_e64 v3, v14, v15, s4
	v_cmp_eq_u32_e64 s4, 6, v71
	v_cndmask_b32_e32 v1, v1, v11, vcc_lo
	v_cndmask_b32_e64 v5, v5, v11, s5
	v_cmp_eq_u32_e64 s6, 6, v70
	v_cndmask_b32_e64 v6, v6, v15, s5
	v_cmp_eq_u32_e64 s5, 6, v72
	v_cmp_eq_u32_e64 s3, 6, v69
	v_cndmask_b32_e64 v1, v1, v4, s4
	v_cndmask_b32_e32 v2, v2, v15, vcc_lo
	v_cmp_eq_u32_e32 vcc_lo, 7, v71
	v_cndmask_b32_e64 v5, v5, v4, s6
	v_cndmask_b32_e64 v9, v9, v4, s5
	;; [unrolled: 1-line block ×3, first 2 shown]
	v_cmp_eq_u32_e64 s6, 7, v70
	v_cndmask_b32_e32 v1, v1, v12, vcc_lo
	v_cndmask_b32_e64 v7, v13, v4, s3
	v_cndmask_b32_e64 v3, v3, v8, s3
	v_cndmask_b32_e64 v2, v2, v8, s4
	v_cmp_eq_u32_e64 s3, 7, v69
	v_cndmask_b32_e64 v4, v10, v8, s5
	v_cndmask_b32_e64 v5, v5, v12, s6
	;; [unrolled: 1-line block ×3, first 2 shown]
	v_cndmask_b32_e32 v2, v2, v16, vcc_lo
	v_cndmask_b32_e64 v7, v7, v12, s3
	v_cndmask_b32_e64 v3, v3, v16, s3
	;; [unrolled: 1-line block ×4, first 2 shown]
	v_perm_b32 v4, v2, v1, 0x5040100
	s_mov_b32 s3, exec_lo
	v_perm_b32 v3, v3, v7, 0x5040100
	v_perm_b32 v2, v8, v9, 0x5040100
	;; [unrolled: 1-line block ×3, first 2 shown]
	ds_store_b128 v74, v[1:4]
	s_waitcnt lgkmcnt(0)
	s_barrier
	buffer_gl0_inv
	v_cmpx_gt_u32_e32 32, v0
	s_cbranch_execz .LBB1056_2
; %bb.15:
	s_load_b64 s[4:5], s[0:1], 0x68
	v_lshlrev_b32_e32 v0, 10, v0
	v_add_nc_u32_e32 v2, s31, v66
	v_lshlrev_b32_e32 v3, 4, v67
	s_lshl_b32 s0, s35, 7
	s_delay_alu instid0(SALU_CYCLE_1) | instskip(NEXT) | instid1(VALU_DEP_2)
	s_mul_i32 s1, s0, s34
	v_mul_lo_u32 v1, v2, s0
	s_delay_alu instid0(VALU_DEP_2)
	v_and_or_b32 v0, 0x3800, v0, v3
	v_add_nc_u32_e32 v3, 2, v2
	s_mul_i32 s6, s1, s8
	v_add_nc_u32_e32 v4, 4, v2
	s_ashr_i32 s7, s6, 31
	v_lshl_or_b32 v11, v66, 6, v0
	s_lshl_b64 s[6:7], s[6:7], 1
	v_mul_lo_u32 v15, v3, s0
	v_mul_lo_u32 v17, v4, s0
	v_ashrrev_i32_e32 v2, 31, v1
	ds_load_b128 v[3:6], v11
	ds_load_b128 v[7:10], v11 offset:128
	ds_load_b128 v[11:14], v11 offset:256
	s_waitcnt lgkmcnt(0)
	s_add_u32 s1, s4, s6
	s_addc_u32 s3, s5, s7
	s_lshl_b32 s4, s14, 7
	v_ashrrev_i32_e32 v16, 31, v15
	s_ashr_i32 s5, s4, 31
	v_lshlrev_b64 v[19:20], 1, v[1:2]
	s_lshl_b64 s[4:5], s[4:5], 1
	v_ashrrev_i32_e32 v18, 31, v17
	s_add_u32 s1, s1, s4
	s_addc_u32 s3, s3, s5
	v_add_co_u32 v1, s1, s1, v65
	s_delay_alu instid0(VALU_DEP_1) | instskip(SKIP_1) | instid1(VALU_DEP_3)
	v_add_co_ci_u32_e64 v2, null, s3, 0, s1
	v_lshlrev_b64 v[15:16], 1, v[15:16]
	v_add_co_u32 v19, vcc_lo, v1, v19
	v_lshlrev_b64 v[17:18], 1, v[17:18]
	s_delay_alu instid0(VALU_DEP_4) | instskip(NEXT) | instid1(VALU_DEP_4)
	v_add_co_ci_u32_e32 v20, vcc_lo, v2, v20, vcc_lo
	v_add_co_u32 v15, vcc_lo, v1, v15
	v_add_co_ci_u32_e32 v16, vcc_lo, v2, v16, vcc_lo
	s_delay_alu instid0(VALU_DEP_4)
	v_add_co_u32 v17, vcc_lo, v1, v17
	v_add_co_ci_u32_e32 v18, vcc_lo, v2, v18, vcc_lo
	s_clause 0x2
	global_store_b128 v[19:20], v[3:6], off
	global_store_b128 v[15:16], v[7:10], off
	;; [unrolled: 1-line block ×3, first 2 shown]
	s_and_b32 exec_lo, exec_lo, s2
	s_cbranch_execz .LBB1056_2
; %bb.16:
	ds_load_b128 v[3:6], v0 offset:384
	s_add_i32 s1, s31, 6
	s_delay_alu instid0(SALU_CYCLE_1) | instskip(NEXT) | instid1(SALU_CYCLE_1)
	s_mul_i32 s0, s1, s0
	s_ashr_i32 s1, s0, 31
	s_delay_alu instid0(SALU_CYCLE_1) | instskip(NEXT) | instid1(SALU_CYCLE_1)
	s_lshl_b64 s[0:1], s[0:1], 1
	v_add_co_u32 v0, vcc_lo, v1, s0
	v_add_co_ci_u32_e32 v1, vcc_lo, s1, v2, vcc_lo
	s_waitcnt lgkmcnt(0)
	global_store_b128 v[0:1], v[3:6], off
	s_nop 0
	s_sendmsg sendmsg(MSG_DEALLOC_VGPRS)
	s_endpgm
	.section	.rodata,"a",@progbits
	.p2align	6, 0x0
	.amdhsa_kernel _Z39paged_attention_ll4mi_QKV_mfma16_kernelIDF16_hLN4vllm18Fp8KVCacheDataTypeE1EDF16_Li32ELi128ELi256ELb1ELi7EL8MFMAType1EEvPKT_PKT0_S8_ifPKiSA_SA_iPKfiiiPfSD_PS3_PT2_iSC_SC_
		.amdhsa_group_segment_fixed_size 17472
		.amdhsa_private_segment_fixed_size 0
		.amdhsa_kernarg_size 400
		.amdhsa_user_sgpr_count 13
		.amdhsa_user_sgpr_dispatch_ptr 0
		.amdhsa_user_sgpr_queue_ptr 0
		.amdhsa_user_sgpr_kernarg_segment_ptr 1
		.amdhsa_user_sgpr_dispatch_id 0
		.amdhsa_user_sgpr_private_segment_size 0
		.amdhsa_wavefront_size32 1
		.amdhsa_uses_dynamic_stack 0
		.amdhsa_enable_private_segment 0
		.amdhsa_system_sgpr_workgroup_id_x 1
		.amdhsa_system_sgpr_workgroup_id_y 1
		.amdhsa_system_sgpr_workgroup_id_z 1
		.amdhsa_system_sgpr_workgroup_info 0
		.amdhsa_system_vgpr_workitem_id 0
		.amdhsa_next_free_vgpr 150
		.amdhsa_next_free_sgpr 37
		.amdhsa_reserve_vcc 1
		.amdhsa_float_round_mode_32 0
		.amdhsa_float_round_mode_16_64 0
		.amdhsa_float_denorm_mode_32 3
		.amdhsa_float_denorm_mode_16_64 3
		.amdhsa_dx10_clamp 1
		.amdhsa_ieee_mode 1
		.amdhsa_fp16_overflow 0
		.amdhsa_workgroup_processor_mode 1
		.amdhsa_memory_ordered 1
		.amdhsa_forward_progress 0
		.amdhsa_shared_vgpr_count 0
		.amdhsa_exception_fp_ieee_invalid_op 0
		.amdhsa_exception_fp_denorm_src 0
		.amdhsa_exception_fp_ieee_div_zero 0
		.amdhsa_exception_fp_ieee_overflow 0
		.amdhsa_exception_fp_ieee_underflow 0
		.amdhsa_exception_fp_ieee_inexact 0
		.amdhsa_exception_int_div_zero 0
	.end_amdhsa_kernel
	.section	.text._Z39paged_attention_ll4mi_QKV_mfma16_kernelIDF16_hLN4vllm18Fp8KVCacheDataTypeE1EDF16_Li32ELi128ELi256ELb1ELi7EL8MFMAType1EEvPKT_PKT0_S8_ifPKiSA_SA_iPKfiiiPfSD_PS3_PT2_iSC_SC_,"axG",@progbits,_Z39paged_attention_ll4mi_QKV_mfma16_kernelIDF16_hLN4vllm18Fp8KVCacheDataTypeE1EDF16_Li32ELi128ELi256ELb1ELi7EL8MFMAType1EEvPKT_PKT0_S8_ifPKiSA_SA_iPKfiiiPfSD_PS3_PT2_iSC_SC_,comdat
.Lfunc_end1056:
	.size	_Z39paged_attention_ll4mi_QKV_mfma16_kernelIDF16_hLN4vllm18Fp8KVCacheDataTypeE1EDF16_Li32ELi128ELi256ELb1ELi7EL8MFMAType1EEvPKT_PKT0_S8_ifPKiSA_SA_iPKfiiiPfSD_PS3_PT2_iSC_SC_, .Lfunc_end1056-_Z39paged_attention_ll4mi_QKV_mfma16_kernelIDF16_hLN4vllm18Fp8KVCacheDataTypeE1EDF16_Li32ELi128ELi256ELb1ELi7EL8MFMAType1EEvPKT_PKT0_S8_ifPKiSA_SA_iPKfiiiPfSD_PS3_PT2_iSC_SC_
                                        ; -- End function
	.section	.AMDGPU.csdata,"",@progbits
; Kernel info:
; codeLenInByte = 6708
; NumSgprs: 39
; NumVgprs: 150
; ScratchSize: 0
; MemoryBound: 0
; FloatMode: 240
; IeeeMode: 1
; LDSByteSize: 17472 bytes/workgroup (compile time only)
; SGPRBlocks: 4
; VGPRBlocks: 18
; NumSGPRsForWavesPerEU: 39
; NumVGPRsForWavesPerEU: 150
; Occupancy: 9
; WaveLimiterHint : 1
; COMPUTE_PGM_RSRC2:SCRATCH_EN: 0
; COMPUTE_PGM_RSRC2:USER_SGPR: 13
; COMPUTE_PGM_RSRC2:TRAP_HANDLER: 0
; COMPUTE_PGM_RSRC2:TGID_X_EN: 1
; COMPUTE_PGM_RSRC2:TGID_Y_EN: 1
; COMPUTE_PGM_RSRC2:TGID_Z_EN: 1
; COMPUTE_PGM_RSRC2:TIDIG_COMP_CNT: 0
	.section	.text._Z39paged_attention_ll4mi_QKV_mfma16_kernelIDF16_hLN4vllm18Fp8KVCacheDataTypeE1EDF16_Li32ELi128ELi256ELb1ELi8EL8MFMAType1EEvPKT_PKT0_S8_ifPKiSA_SA_iPKfiiiPfSD_PS3_PT2_iSC_SC_,"axG",@progbits,_Z39paged_attention_ll4mi_QKV_mfma16_kernelIDF16_hLN4vllm18Fp8KVCacheDataTypeE1EDF16_Li32ELi128ELi256ELb1ELi8EL8MFMAType1EEvPKT_PKT0_S8_ifPKiSA_SA_iPKfiiiPfSD_PS3_PT2_iSC_SC_,comdat
	.protected	_Z39paged_attention_ll4mi_QKV_mfma16_kernelIDF16_hLN4vllm18Fp8KVCacheDataTypeE1EDF16_Li32ELi128ELi256ELb1ELi8EL8MFMAType1EEvPKT_PKT0_S8_ifPKiSA_SA_iPKfiiiPfSD_PS3_PT2_iSC_SC_ ; -- Begin function _Z39paged_attention_ll4mi_QKV_mfma16_kernelIDF16_hLN4vllm18Fp8KVCacheDataTypeE1EDF16_Li32ELi128ELi256ELb1ELi8EL8MFMAType1EEvPKT_PKT0_S8_ifPKiSA_SA_iPKfiiiPfSD_PS3_PT2_iSC_SC_
	.globl	_Z39paged_attention_ll4mi_QKV_mfma16_kernelIDF16_hLN4vllm18Fp8KVCacheDataTypeE1EDF16_Li32ELi128ELi256ELb1ELi8EL8MFMAType1EEvPKT_PKT0_S8_ifPKiSA_SA_iPKfiiiPfSD_PS3_PT2_iSC_SC_
	.p2align	8
	.type	_Z39paged_attention_ll4mi_QKV_mfma16_kernelIDF16_hLN4vllm18Fp8KVCacheDataTypeE1EDF16_Li32ELi128ELi256ELb1ELi8EL8MFMAType1EEvPKT_PKT0_S8_ifPKiSA_SA_iPKfiiiPfSD_PS3_PT2_iSC_SC_,@function
_Z39paged_attention_ll4mi_QKV_mfma16_kernelIDF16_hLN4vllm18Fp8KVCacheDataTypeE1EDF16_Li32ELi128ELi256ELb1ELi8EL8MFMAType1EEvPKT_PKT0_S8_ifPKiSA_SA_iPKfiiiPfSD_PS3_PT2_iSC_SC_: ; @_Z39paged_attention_ll4mi_QKV_mfma16_kernelIDF16_hLN4vllm18Fp8KVCacheDataTypeE1EDF16_Li32ELi128ELi256ELb1ELi8EL8MFMAType1EEvPKT_PKT0_S8_ifPKiSA_SA_iPKfiiiPfSD_PS3_PT2_iSC_SC_
; %bb.0:
	s_load_b64 s[4:5], s[0:1], 0x30
	s_mov_b32 s30, s13
	s_waitcnt lgkmcnt(0)
	s_cmp_lg_u64 s[4:5], 0
	s_cselect_b32 s13, -1, 0
	s_ashr_i32 s31, s30, 31
	s_cmp_eq_u64 s[4:5], 0
	s_cbranch_scc1 .LBB1057_3
; %bb.1:
	s_lshl_b64 s[2:3], s[30:31], 2
	s_delay_alu instid0(SALU_CYCLE_1) | instskip(SKIP_4) | instid1(SALU_CYCLE_1)
	s_add_u32 s2, s4, s2
	s_addc_u32 s3, s5, s3
	s_load_b64 s[2:3], s[2:3], 0x0
	s_waitcnt lgkmcnt(0)
	s_sub_i32 s2, s3, s2
	s_cmp_eq_u32 s2, 1
	s_cselect_b32 s2, -1, 0
	s_delay_alu instid0(SALU_CYCLE_1)
	s_and_not1_b32 vcc_lo, exec_lo, s2
	s_cbranch_vccz .LBB1057_4
.LBB1057_2:
	s_endpgm
.LBB1057_3:
.LBB1057_4:
	s_load_b64 s[2:3], s[0:1], 0x28
	s_lshl_b64 s[6:7], s[30:31], 2
	s_waitcnt lgkmcnt(0)
	s_add_u32 s2, s2, s6
	s_addc_u32 s3, s3, s7
	s_lshl_b32 s12, s14, 8
	s_load_b32 s17, s[2:3], 0x0
	s_waitcnt lgkmcnt(0)
	s_cmp_ge_i32 s12, s17
	s_cbranch_scc1 .LBB1057_2
; %bb.5:
	s_clause 0x1
	s_load_b128 s[8:11], s[0:1], 0x8
	s_load_b64 s[2:3], s[0:1], 0x20
	s_and_not1_b32 vcc_lo, exec_lo, s13
	s_cbranch_vccnz .LBB1057_7
; %bb.6:
	s_add_u32 s4, s4, s6
	s_addc_u32 s5, s5, s7
	s_load_b32 s13, s[4:5], 0x0
	s_branch .LBB1057_8
.LBB1057_7:
	s_mov_b32 s13, s30
.LBB1057_8:
	s_load_b128 s[4:7], s[0:1], 0x48
	v_and_b32_e32 v69, 15, v0
	v_lshrrev_b32_e32 v68, 5, v0
	v_and_b32_e32 v70, 31, v0
	v_and_b32_e32 v67, 1, v0
	v_bfe_u32 v66, v0, 4, 1
	v_lshlrev_b32_e32 v1, 3, v69
	s_lshl_b32 s31, s15, 3
	s_waitcnt lgkmcnt(0)
	s_mov_b32 s7, exec_lo
	s_delay_alu instid0(VALU_DEP_1)
	v_lshlrev_b32_e32 v65, 1, v1
	v_cmpx_gt_u32_e32 0x80, v0
	s_cbranch_execz .LBB1057_10
; %bb.9:
	v_lshl_or_b32 v5, v68, 1, v66
	s_load_b64 s[18:19], s[0:1], 0x0
	s_mul_hi_i32 s21, s13, s4
	s_mul_i32 s20, s13, s4
	v_lshlrev_b32_e32 v6, 10, v69
	v_or_b32_e32 v1, s31, v5
	s_lshl_b64 s[20:21], s[20:21], 1
	v_lshlrev_b32_e32 v5, 6, v5
	v_lshlrev_b32_e32 v7, 10, v67
	v_and_b32_e32 v6, 0x3800, v6
	v_lshlrev_b32_e32 v1, 7, v1
	s_delay_alu instid0(VALU_DEP_2) | instskip(NEXT) | instid1(VALU_DEP_2)
	v_or3_b32 v5, v6, v7, v5
	v_ashrrev_i32_e32 v2, 31, v1
	s_delay_alu instid0(VALU_DEP_1) | instskip(SKIP_3) | instid1(VALU_DEP_1)
	v_lshlrev_b64 v[1:2], 1, v[1:2]
	s_waitcnt lgkmcnt(0)
	s_add_u32 s4, s18, s20
	s_addc_u32 s13, s19, s21
	v_add_co_u32 v1, vcc_lo, s4, v1
	s_delay_alu instid0(VALU_DEP_2) | instskip(NEXT) | instid1(VALU_DEP_2)
	v_add_co_ci_u32_e32 v2, vcc_lo, s13, v2, vcc_lo
	v_add_co_u32 v1, vcc_lo, v1, v65
	s_delay_alu instid0(VALU_DEP_2)
	v_add_co_ci_u32_e32 v2, vcc_lo, 0, v2, vcc_lo
	global_load_b128 v[1:4], v[1:2], off
	s_waitcnt vmcnt(0)
	ds_store_b128 v5, v[1:4]
.LBB1057_10:
	s_or_b32 exec_lo, exec_lo, s7
	v_and_b32_e32 v1, 0xef, v0
	s_add_i32 s4, s17, 31
	s_clause 0x1
	s_load_b32 s7, s[0:1], 0x38
	s_load_b32 s33, s[0:1], 0x98
	s_ashr_i32 s13, s4, 31
	v_add_nc_u32_e32 v1, s12, v1
	s_lshr_b32 s13, s13, 27
	s_load_b32 s18, s[0:1], 0x1c
	s_add_i32 s4, s4, s13
	s_waitcnt lgkmcnt(0)
	v_ashrrev_i32_e32 v2, 31, v1
	v_or_b32_e32 v3, 16, v1
	s_ashr_i32 s4, s4, 5
	v_cmp_gt_i32_e32 vcc_lo, s17, v1
	s_add_i32 s4, s4, -1
	v_lshrrev_b32_e32 v2, 27, v2
	s_barrier
	buffer_gl0_inv
	s_mul_i32 s15, s15, s6
	v_add_nc_u32_e32 v4, v1, v2
	s_mul_i32 s20, s30, s7
	s_delay_alu instid0(SALU_CYCLE_1) | instskip(NEXT) | instid1(VALU_DEP_1)
	s_ashr_i32 s21, s20, 31
	v_ashrrev_i32_e32 v4, 5, v4
	v_add_nc_u32_e32 v2, v3, v2
	s_lshl_b64 s[20:21], s[20:21], 2
	s_delay_alu instid0(SALU_CYCLE_1) | instskip(NEXT) | instid1(VALU_DEP_2)
	s_add_u32 s13, s2, s20
	v_cndmask_b32_e32 v1, s4, v4, vcc_lo
	s_delay_alu instid0(VALU_DEP_2)
	v_ashrrev_i32_e32 v2, 5, v2
	v_cmp_gt_i32_e32 vcc_lo, s17, v3
	s_addc_u32 s16, s3, s21
	s_ashr_i32 s19, s15, 31
	s_add_u32 s2, s8, s15
	s_addc_u32 s3, s9, s19
	v_cndmask_b32_e32 v3, s4, v2, vcc_lo
	v_ashrrev_i32_e32 v2, 31, v1
	s_lshl_b32 s6, s14, 3
	s_delay_alu instid0(SALU_CYCLE_1) | instskip(NEXT) | instid1(VALU_DEP_2)
	s_ashr_i32 s7, s6, 31
	v_ashrrev_i32_e32 v4, 31, v3
	s_delay_alu instid0(VALU_DEP_2) | instskip(SKIP_1) | instid1(SALU_CYCLE_1)
	v_lshlrev_b64 v[1:2], 2, v[1:2]
	s_lshl_b64 s[6:7], s[6:7], 2
	s_add_u32 s6, s13, s6
	s_delay_alu instid0(VALU_DEP_2) | instskip(SKIP_1) | instid1(VALU_DEP_2)
	v_lshlrev_b64 v[3:4], 2, v[3:4]
	s_addc_u32 s7, s16, s7
	v_add_co_u32 v1, vcc_lo, s13, v1
	v_add_co_ci_u32_e32 v2, vcc_lo, s16, v2, vcc_lo
	s_delay_alu instid0(VALU_DEP_3) | instskip(NEXT) | instid1(VALU_DEP_4)
	v_add_co_u32 v3, vcc_lo, s13, v3
	v_add_co_ci_u32_e32 v4, vcc_lo, s16, v4, vcc_lo
	s_clause 0x1
	global_load_b32 v5, v[1:2], off
	global_load_b32 v6, v[3:4], off
	s_or_b32 s8, s12, 32
	s_delay_alu instid0(SALU_CYCLE_1) | instskip(SKIP_2) | instid1(SALU_CYCLE_1)
	s_ashr_i32 s9, s8, 5
	s_cmp_lt_i32 s8, s17
	s_cselect_b32 s8, s9, s4
	s_ashr_i32 s9, s8, 31
	s_delay_alu instid0(SALU_CYCLE_1) | instskip(NEXT) | instid1(SALU_CYCLE_1)
	s_lshl_b64 s[8:9], s[8:9], 2
	s_add_u32 s8, s13, s8
	s_addc_u32 s9, s16, s9
	s_or_b32 s20, s12, 64
	s_delay_alu instid0(SALU_CYCLE_1) | instskip(SKIP_2) | instid1(SALU_CYCLE_1)
	s_ashr_i32 s21, s20, 5
	s_cmp_lt_i32 s20, s17
	s_cselect_b32 s20, s21, s4
	s_ashr_i32 s21, s20, 31
	s_delay_alu instid0(SALU_CYCLE_1) | instskip(NEXT) | instid1(SALU_CYCLE_1)
	s_lshl_b64 s[20:21], s[20:21], 2
	s_add_u32 s20, s13, s20
	s_addc_u32 s21, s16, s21
	;; [unrolled: 10-line block ×5, first 2 shown]
	s_clause 0x5
	s_load_b32 s28, s[6:7], 0x0
	s_load_b32 s8, s[8:9], 0x0
	;; [unrolled: 1-line block ×6, first 2 shown]
	s_mov_b32 s20, 0
	s_delay_alu instid0(SALU_CYCLE_1)
	s_mov_b32 s21, s20
	s_mov_b32 s22, s20
	;; [unrolled: 1-line block ×7, first 2 shown]
	s_delay_alu instid0(SALU_CYCLE_1)
	v_dual_mov_b32 v102, s27 :: v_dual_mov_b32 v101, s26
	v_dual_mov_b32 v100, s25 :: v_dual_mov_b32 v99, s24
	v_mov_b32_e32 v97, s22
	v_dual_mov_b32 v95, s20 :: v_dual_mov_b32 v98, s23
	v_mov_b32_e32 v96, s21
	s_waitcnt vmcnt(1)
	v_mad_i64_i32 v[1:2], null, v5, s5, s[2:3]
	v_lshlrev_b32_e32 v5, 4, v69
	s_waitcnt vmcnt(0)
	v_mad_i64_i32 v[3:4], null, v6, s5, s[2:3]
	s_or_b32 s2, s12, 0xc0
	s_delay_alu instid0(SALU_CYCLE_1) | instskip(NEXT) | instid1(VALU_DEP_3)
	s_ashr_i32 s3, s2, 5
	v_add_co_u32 v33, vcc_lo, v1, v5
	s_delay_alu instid0(VALU_DEP_4) | instskip(NEXT) | instid1(VALU_DEP_3)
	v_add_co_ci_u32_e32 v34, vcc_lo, 0, v2, vcc_lo
	v_add_co_u32 v35, vcc_lo, v3, v5
	s_delay_alu instid0(VALU_DEP_4)
	v_add_co_ci_u32_e32 v36, vcc_lo, 0, v4, vcc_lo
	s_clause 0xf
	global_load_b128 v[1:4], v[33:34], off
	global_load_b128 v[5:8], v[33:34], off offset:512
	global_load_b128 v[9:12], v[35:36], off offset:256
	;; [unrolled: 1-line block ×15, first 2 shown]
	s_cmp_lt_i32 s2, s17
	v_and_b32_e32 v33, 7, v0
	s_cselect_b32 s2, s3, s4
	v_lshlrev_b32_e32 v34, 5, v69
	s_ashr_i32 s3, s2, 31
	s_delay_alu instid0(SALU_CYCLE_1)
	s_lshl_b64 s[2:3], s[2:3], 2
	v_lshlrev_b32_e32 v139, 6, v33
	s_add_u32 s2, s13, s2
	s_addc_u32 s3, s16, s3
	s_or_b32 s6, s12, 0xe0
	v_lshl_or_b32 v41, v68, 9, v34
	s_ashr_i32 s7, s6, 5
	s_cmp_lt_i32 s6, s17
	ds_load_b128 v[33:36], v139
	ds_load_b128 v[37:40], v139 offset:1024
	s_cselect_b32 s6, s7, s4
	ds_load_b128 v[103:106], v139 offset:2048
	ds_load_b128 v[107:110], v139 offset:3072
	s_ashr_i32 s7, s6, 31
	s_load_b32 s4, s[2:3], 0x0
	s_lshl_b64 s[6:7], s[6:7], 2
	ds_load_b128 v[111:114], v139 offset:4096
	ds_load_b128 v[115:118], v139 offset:5120
	s_add_u32 s2, s13, s6
	s_addc_u32 s3, s16, s7
	s_add_u32 s6, s10, s15
	s_load_b32 s2, s[2:3], 0x0
	s_addc_u32 s7, s11, s19
	v_add_co_u32 v127, s6, s6, v41
	s_delay_alu instid0(VALU_DEP_1) | instskip(SKIP_1) | instid1(VALU_DEP_1)
	v_add_co_ci_u32_e64 v128, null, s7, 0, s6
	s_waitcnt lgkmcnt(0)
	v_mad_i64_i32 v[41:42], null, s28, s5, v[127:128]
	v_mad_i64_i32 v[129:130], null, s9, s5, v[127:128]
	;; [unrolled: 1-line block ×7, first 2 shown]
	s_clause 0x3
	global_load_b128 v[49:52], v[41:42], off
	global_load_b128 v[53:56], v[41:42], off offset:16
	global_load_b128 v[41:44], v[45:46], off
	global_load_b128 v[45:48], v[45:46], off offset:16
	s_waitcnt vmcnt(18)
	v_wmma_f32_16x16x16_f16 v[119:126], v[1:8], v[33:40], v[95:102]
	s_waitcnt vmcnt(16)
	v_wmma_f32_16x16x16_f16 v[95:102], v[9:16], v[33:40], v[95:102]
	s_clause 0x3
	global_load_b128 v[33:36], v[129:130], off
	global_load_b128 v[37:40], v[129:130], off offset:16
	global_load_b128 v[1:4], v[131:132], off
	global_load_b128 v[5:8], v[131:132], off offset:16
	s_waitcnt vmcnt(18)
	v_wmma_f32_16x16x16_f16 v[119:126], v[17:24], v[103:110], v[119:126]
	s_clause 0x3
	global_load_b128 v[9:12], v[133:134], off
	global_load_b128 v[13:16], v[133:134], off offset:16
	global_load_b128 v[17:20], v[135:136], off
	global_load_b128 v[21:24], v[135:136], off offset:16
	s_waitcnt vmcnt(20)
	v_wmma_f32_16x16x16_f16 v[95:102], v[25:32], v[103:110], v[95:102]
	v_mad_i64_i32 v[103:104], null, s2, s5, v[127:128]
	s_waitcnt vmcnt(18)
	v_wmma_f32_16x16x16_f16 v[119:126], v[57:64], v[111:118], v[119:126]
	s_clause 0x3
	global_load_b128 v[25:28], v[137:138], off
	global_load_b128 v[29:32], v[137:138], off offset:16
	global_load_b128 v[57:60], v[103:104], off
	global_load_b128 v[61:64], v[103:104], off offset:16
	s_waitcnt vmcnt(20)
	v_wmma_f32_16x16x16_f16 v[95:102], v[71:78], v[111:118], v[95:102]
	ds_load_b128 v[71:74], v139 offset:6144
	ds_load_b128 v[75:78], v139 offset:7168
	v_mbcnt_lo_u32_b32 v104, -1, 0
	s_waitcnt vmcnt(0) lgkmcnt(0)
	s_barrier
	buffer_gl0_inv
	v_xor_b32_e32 v105, 16, v104
	s_delay_alu instid0(VALU_DEP_1) | instskip(SKIP_4) | instid1(VALU_DEP_2)
	v_cmp_gt_i32_e32 vcc_lo, 32, v105
	v_cndmask_b32_e32 v104, v104, v105, vcc_lo
	v_wmma_f32_16x16x16_f16 v[119:126], v[79:86], v[71:78], v[119:126]
	v_and_b32_e32 v103, 0xe0, v0
	v_wmma_f32_16x16x16_f16 v[95:102], v[87:94], v[71:78], v[95:102]
	v_dual_mul_f32 v78, s18, v121 :: v_dual_add_nc_u32 v103, s12, v103
	s_delay_alu instid0(VALU_DEP_2) | instskip(SKIP_1) | instid1(VALU_DEP_3)
	v_dual_mul_f32 v90, s18, v101 :: v_dual_mul_f32 v87, s18, v120
	v_dual_mul_f32 v88, s18, v119 :: v_dual_mul_f32 v77, s18, v122
	v_or_b32_e32 v103, v103, v66
	v_dual_mul_f32 v75, s18, v124 :: v_dual_mul_f32 v94, s18, v97
	v_dual_mul_f32 v76, s18, v123 :: v_dual_mul_f32 v73, s18, v126
	v_mul_f32_e32 v92, s18, v99
	s_delay_alu instid0(VALU_DEP_4)
	v_or_b32_e32 v105, 2, v103
	v_or_b32_e32 v106, 4, v103
	;; [unrolled: 1-line block ×3, first 2 shown]
	v_cmp_gt_i32_e64 s2, s17, v103
	v_or_b32_e32 v108, 8, v103
	v_cmp_gt_i32_e32 vcc_lo, s17, v105
	v_or_b32_e32 v109, 10, v103
	v_cmp_gt_i32_e64 s3, s17, v106
	v_cndmask_b32_e64 v88, 0xff7fffff, v88, s2
	v_cmp_gt_i32_e64 s4, s17, v107
	v_cndmask_b32_e32 v87, 0xff7fffff, v87, vcc_lo
	v_or_b32_e32 v79, 12, v103
	v_or_b32_e32 v80, 14, v103
	v_cndmask_b32_e64 v78, 0xff7fffff, v78, s3
	v_cndmask_b32_e64 v77, 0xff7fffff, v77, s4
	v_max3_f32 v87, v88, 0xff7fffff, v87
	v_cmp_gt_i32_e64 s5, s17, v108
	v_cmp_gt_i32_e64 s6, s17, v109
	v_or_b32_e32 v81, 16, v103
	v_or_b32_e32 v82, 18, v103
	v_mul_f32_e32 v74, s18, v125
	v_cndmask_b32_e64 v76, 0xff7fffff, v76, s5
	v_cndmask_b32_e64 v75, 0xff7fffff, v75, s6
	v_max3_f32 v77, v87, v78, v77
	v_cmp_gt_i32_e64 s7, s17, v79
	v_cmp_gt_i32_e64 s8, s17, v80
	v_or_b32_e32 v83, 20, v103
	v_or_b32_e32 v84, 22, v103
	;; [unrolled: 1-line block ×6, first 2 shown]
	v_mul_f32_e32 v105, s18, v96
	v_mul_f32_e32 v103, s18, v95
	v_cndmask_b32_e64 v74, 0xff7fffff, v74, s7
	v_cndmask_b32_e64 v73, 0xff7fffff, v73, s8
	v_max3_f32 v75, v77, v76, v75
	v_cmp_gt_i32_e64 s9, s17, v81
	v_cmp_gt_i32_e64 s10, s17, v82
	v_mul_f32_e32 v93, s18, v98
	v_cmp_gt_i32_e64 s11, s17, v83
	v_max3_f32 v73, v75, v74, v73
	v_cndmask_b32_e64 v76, 0xff7fffff, v103, s9
	v_cndmask_b32_e64 v77, 0xff7fffff, v105, s10
	v_cmp_gt_i32_e64 s12, s17, v84
	v_mul_f32_e32 v91, s18, v100
	v_cndmask_b32_e64 v74, 0xff7fffff, v94, s11
	v_cmp_gt_i32_e64 s13, s17, v85
	v_max3_f32 v73, v73, v76, v77
	v_cndmask_b32_e64 v75, 0xff7fffff, v93, s12
	v_cmp_gt_i32_e64 s15, s17, v86
	v_mul_f32_e32 v89, s18, v102
	v_cndmask_b32_e64 v76, 0xff7fffff, v92, s13
	v_cmp_gt_i32_e64 s16, s17, v71
	v_max3_f32 v73, v73, v74, v75
	v_cndmask_b32_e64 v77, 0xff7fffff, v91, s15
	v_cmp_gt_i32_e64 s17, s17, v72
	v_lshlrev_b32_e32 v74, 2, v104
	v_cndmask_b32_e64 v71, 0xff7fffff, v90, s16
	s_delay_alu instid0(VALU_DEP_4) | instskip(NEXT) | instid1(VALU_DEP_4)
	v_max3_f32 v73, v73, v76, v77
	v_cndmask_b32_e64 v72, 0xff7fffff, v89, s17
	s_delay_alu instid0(VALU_DEP_1) | instskip(SKIP_3) | instid1(VALU_DEP_1)
	v_max3_f32 v71, v73, v71, v72
	ds_bpermute_b32 v72, v74, v71
	s_waitcnt lgkmcnt(0)
	v_max_f32_e32 v72, v72, v72
	v_max_f32_e32 v71, v71, v72
	s_delay_alu instid0(VALU_DEP_1)
	v_fma_f32 v72, s18, v119, -v71
	v_fma_f32 v76, s18, v122, -v71
	;; [unrolled: 1-line block ×5, first 2 shown]
	v_mul_f32_e32 v72, 0x3fb8aa3b, v72
	v_mul_f32_e32 v76, 0x3fb8aa3b, v76
	v_fma_f32 v75, s18, v121, -v71
	v_mul_f32_e32 v79, 0x3fb8aa3b, v77
	v_mul_f32_e32 v85, 0x3fb8aa3b, v84
	v_exp_f32_e32 v72, v72
	v_exp_f32_e32 v76, v76
	v_fma_f32 v86, s18, v98, -v71
	v_exp_f32_e32 v82, v79
	v_exp_f32_e32 v85, v85
	v_fma_f32 v81, s18, v125, -v71
	s_delay_alu instid0(VALU_DEP_2) | instskip(SKIP_3) | instid1(TRANS32_DEP_3)
	v_mul_f32_e32 v87, 0x3fb8aa3b, v86
	v_cndmask_b32_e64 v78, 0, v72, s2
	v_fma_f32 v72, s18, v124, -v71
	v_mul_f32_e32 v73, 0x3fb8aa3b, v73
	v_cndmask_b32_e64 v79, 0, v76, s4
	v_fma_f32 v76, s18, v95, -v71
	s_delay_alu instid0(VALU_DEP_4) | instskip(NEXT) | instid1(VALU_DEP_4)
	v_dual_mul_f32 v75, 0x3fb8aa3b, v75 :: v_dual_mul_f32 v72, 0x3fb8aa3b, v72
	v_exp_f32_e32 v73, v73
	v_exp_f32_e32 v87, v87
	s_delay_alu instid0(VALU_DEP_2) | instskip(NEXT) | instid1(VALU_DEP_2)
	v_mul_f32_e32 v76, 0x3fb8aa3b, v76
	v_exp_f32_e32 v75, v75
	v_cndmask_b32_e64 v85, 0, v85, s10
	v_mul_f32_e32 v81, 0x3fb8aa3b, v81
	v_exp_f32_e32 v72, v72
	v_cndmask_b32_e64 v82, 0, v82, s5
	v_exp_f32_e32 v76, v76
	s_mov_b32 s2, exec_lo
	v_cndmask_b32_e32 v77, 0, v73, vcc_lo
	v_add_f32_e32 v73, 0, v78
	v_cndmask_b32_e64 v87, 0, v87, s12
	v_cndmask_b32_e64 v80, 0, v75, s3
	v_fma_f32 v75, s18, v126, -v71
	v_exp_f32_e32 v83, v81
	v_add_f32_e32 v73, v73, v77
	v_cndmask_b32_e64 v81, 0, v72, s6
	v_cndmask_b32_e64 v86, 0, v76, s9
	v_mul_f32_e32 v75, 0x3fb8aa3b, v75
	s_delay_alu instid0(VALU_DEP_4) | instskip(NEXT) | instid1(VALU_DEP_2)
	v_add_f32_e32 v73, v73, v80
	v_exp_f32_e32 v75, v75
	s_delay_alu instid0(TRANS32_DEP_2) | instskip(NEXT) | instid1(VALU_DEP_2)
	v_cndmask_b32_e64 v84, 0, v83, s7
	v_add_f32_e32 v73, v73, v79
	s_delay_alu instid0(VALU_DEP_1) | instskip(SKIP_3) | instid1(VALU_DEP_1)
	v_add_f32_e32 v72, v73, v82
	s_waitcnt_depctr 0xfff
	v_cndmask_b32_e64 v83, 0, v75, s8
	v_add_f32_e32 v72, v72, v81
	v_add_f32_e32 v72, v72, v84
	s_delay_alu instid0(VALU_DEP_1) | instskip(NEXT) | instid1(VALU_DEP_1)
	v_add_f32_e32 v72, v72, v83
	v_add_f32_e32 v72, v72, v86
	v_fma_f32 v73, s18, v97, -v71
	v_fma_f32 v75, s18, v99, -v71
	;; [unrolled: 1-line block ×4, first 2 shown]
	v_add_f32_e32 v72, v72, v85
	v_mul_f32_e32 v73, 0x3fb8aa3b, v73
	s_delay_alu instid0(VALU_DEP_4) | instskip(NEXT) | instid1(VALU_DEP_2)
	v_dual_mul_f32 v75, 0x3fb8aa3b, v75 :: v_dual_mul_f32 v76, 0x3fb8aa3b, v76
	v_exp_f32_e32 v73, v73
	s_delay_alu instid0(VALU_DEP_1) | instskip(NEXT) | instid1(VALU_DEP_1)
	v_exp_f32_e32 v75, v75
	v_exp_f32_e32 v76, v76
	s_delay_alu instid0(TRANS32_DEP_3)
	v_cndmask_b32_e64 v88, 0, v73, s11
	v_mul_f32_e32 v73, 0x3fb8aa3b, v89
	v_fma_f32 v89, s18, v102, -v71
	s_waitcnt_depctr 0xfff
	v_cndmask_b32_e64 v90, 0, v75, s13
	v_add_f32_e32 v72, v72, v88
	v_exp_f32_e32 v73, v73
	v_mul_f32_e32 v75, 0x3fb8aa3b, v89
	v_cndmask_b32_e64 v89, 0, v76, s15
	s_delay_alu instid0(VALU_DEP_3) | instskip(NEXT) | instid1(VALU_DEP_3)
	v_add_f32_e32 v72, v72, v87
	v_exp_f32_e32 v75, v75
	s_delay_alu instid0(VALU_DEP_1) | instskip(SKIP_4) | instid1(VALU_DEP_2)
	v_add_f32_e32 v72, v72, v90
	s_waitcnt_depctr 0xfff
	v_cndmask_b32_e64 v92, 0, v73, s16
	v_add_f32_e32 v72, v72, v89
	v_cndmask_b32_e64 v91, 0, v75, s17
	v_add_f32_e32 v72, v72, v92
	s_delay_alu instid0(VALU_DEP_1)
	v_add_f32_e32 v72, v72, v91
	ds_bpermute_b32 v73, v74, v72
	v_cmpx_gt_u32_e32 16, v70
	s_cbranch_execz .LBB1057_12
; %bb.11:
	v_mul_u32_u24_e32 v70, 0x44, v68
	s_waitcnt lgkmcnt(0)
	v_add_f32_e32 v72, v72, v73
	s_delay_alu instid0(VALU_DEP_2) | instskip(NEXT) | instid1(VALU_DEP_1)
	v_lshl_add_u32 v70, v69, 2, v70
	v_add_nc_u32_e32 v70, 0x4000, v70
	ds_store_2addr_b32 v70, v71, v72 offset1:136
.LBB1057_12:
	s_or_b32 exec_lo, exec_lo, s2
	v_lshlrev_b32_e32 v70, 2, v69
	s_load_b32 s34, s[0:1], 0x94
	s_waitcnt lgkmcnt(0)
	s_barrier
	buffer_gl0_inv
	v_add_nc_u32_e32 v74, 0x4000, v70
	v_cmp_eq_u32_e32 vcc_lo, 1, v68
	v_cmp_eq_u32_e64 s2, 2, v68
	v_cmp_eq_u32_e64 s3, 3, v68
	;; [unrolled: 1-line block ×3, first 2 shown]
	ds_load_2addr_b32 v[70:71], v74 offset1:17
	ds_load_2addr_b32 v[72:73], v74 offset0:34 offset1:51
	ds_load_2addr_b32 v[93:94], v74 offset0:68 offset1:85
	;; [unrolled: 1-line block ×3, first 2 shown]
	v_cmp_eq_u32_e64 s5, 5, v68
	v_cmp_eq_u32_e64 s6, 7, v68
	s_waitcnt lgkmcnt(3)
	v_max3_f32 v75, v70, 0xff7fffff, v71
	s_waitcnt lgkmcnt(2)
	s_delay_alu instid0(VALU_DEP_1) | instskip(SKIP_1) | instid1(VALU_DEP_1)
	v_max3_f32 v75, v75, v72, v73
	s_waitcnt lgkmcnt(1)
	v_max3_f32 v75, v75, v93, v94
	s_waitcnt lgkmcnt(0)
	s_delay_alu instid0(VALU_DEP_1) | instskip(NEXT) | instid1(VALU_DEP_1)
	v_max3_f32 v75, v75, v95, v96
	v_sub_f32_e32 v93, v93, v75
	ds_load_2addr_b32 v[97:98], v74 offset0:136 offset1:153
	v_sub_f32_e32 v70, v70, v75
	v_dual_sub_f32 v100, v73, v75 :: v_dual_mul_f32 v103, 0x3fb8aa3b, v93
	s_delay_alu instid0(VALU_DEP_2) | instskip(SKIP_3) | instid1(VALU_DEP_1)
	v_dual_sub_f32 v76, v71, v75 :: v_dual_mul_f32 v99, 0x3fb8aa3b, v70
	ds_load_2addr_b32 v[70:71], v74 offset0:170 offset1:187
	v_mul_f32_e32 v76, 0x3fb8aa3b, v76
	v_exp_f32_e32 v99, v99
	v_exp_f32_e32 v102, v76
	v_mul_f32_e32 v100, 0x3fb8aa3b, v100
	s_waitcnt lgkmcnt(1)
	s_waitcnt_depctr 0xfff
	v_fma_f32 v76, v99, v97, 0
	v_sub_f32_e32 v97, v94, v75
	v_sub_f32_e32 v72, v72, v75
	v_exp_f32_e32 v100, v100
	ds_load_2addr_b32 v[93:94], v74 offset0:238 offset1:255
	v_dual_fmac_f32 v76, v102, v98 :: v_dual_mul_f32 v101, 0x3fb8aa3b, v72
	ds_load_2addr_b32 v[72:73], v74 offset0:204 offset1:221
	v_dual_sub_f32 v74, v95, v75 :: v_dual_mul_f32 v95, 0x3fb8aa3b, v97
	v_exp_f32_e32 v97, v103
	v_exp_f32_e32 v101, v101
	s_waitcnt lgkmcnt(0)
	s_barrier
	v_exp_f32_e32 v95, v95
	buffer_gl0_inv
	v_fmac_f32_e32 v76, v101, v70
	v_sub_f32_e32 v70, v96, v75
	s_delay_alu instid0(VALU_DEP_2) | instskip(NEXT) | instid1(VALU_DEP_2)
	v_fmac_f32_e32 v76, v100, v71
	v_mul_f32_e32 v70, 0x3fb8aa3b, v70
	s_delay_alu instid0(VALU_DEP_2)
	v_dual_cndmask_b32 v71, v99, v102 :: v_dual_fmac_f32 v76, v97, v72
	v_lshlrev_b32_e32 v72, 6, v69
	v_lshlrev_b32_e32 v69, 2, v66
	v_mul_f32_e32 v74, 0x3fb8aa3b, v74
	v_exp_f32_e32 v98, v70
	v_fmac_f32_e32 v76, v95, v73
	s_delay_alu instid0(VALU_DEP_3) | instskip(NEXT) | instid1(VALU_DEP_3)
	v_cmp_eq_u32_e64 s7, 7, v69
	v_exp_f32_e32 v96, v74
	v_lshl_or_b32 v74, v68, 11, v72
	s_waitcnt_depctr 0xfff
	v_fmac_f32_e32 v76, v96, v93
	s_delay_alu instid0(VALU_DEP_1) | instskip(NEXT) | instid1(VALU_DEP_1)
	v_fmac_f32_e32 v76, v98, v94
	v_add_f32_e32 v73, 0x358637bd, v76
	s_delay_alu instid0(VALU_DEP_1) | instskip(SKIP_1) | instid1(VALU_DEP_2)
	v_div_scale_f32 v93, null, v73, v73, 1.0
	v_div_scale_f32 v99, vcc_lo, 1.0, v73, 1.0
	v_rcp_f32_e32 v94, v93
	s_waitcnt_depctr 0xfff
	v_fma_f32 v70, -v93, v94, 1.0
	s_delay_alu instid0(VALU_DEP_1)
	v_fmac_f32_e32 v94, v70, v94
	v_cndmask_b32_e64 v70, v71, v101, s2
	v_cmp_eq_u32_e64 s2, 6, v68
	v_or_b32_e32 v71, 1, v69
	v_or_b32_e32 v68, 2, v69
	v_mul_f32_e32 v101, v99, v94
	v_cndmask_b32_e64 v70, v70, v100, s3
	v_cmp_eq_u32_e64 s3, 1, v69
	v_cmp_eq_u32_e64 s8, 1, v71
	;; [unrolled: 1-line block ×3, first 2 shown]
	v_fma_f32 v100, -v93, v101, v99
	v_cndmask_b32_e64 v70, v70, v97, s4
	v_cmp_eq_u32_e64 s4, 2, v69
	v_cmp_eq_u32_e64 s11, 2, v71
	;; [unrolled: 1-line block ×3, first 2 shown]
	v_fmac_f32_e32 v101, v100, v94
	v_cndmask_b32_e64 v95, v70, v95, s5
	v_or_b32_e32 v70, 3, v69
	v_cmp_eq_u32_e64 s12, 3, v71
	v_cmp_eq_u32_e64 s16, 3, v68
	v_fma_f32 v93, -v93, v101, v99
	v_cndmask_b32_e64 v95, v95, v96, s2
	v_cmp_eq_u32_e64 s10, 1, v70
	v_cmp_eq_u32_e64 s15, 2, v70
	;; [unrolled: 1-line block ×3, first 2 shown]
	v_div_fmas_f32 v93, v93, v94, v101
	v_cndmask_b32_e64 v94, v95, v98, s6
	v_cmp_eq_u32_e32 vcc_lo, 3, v69
	v_cmp_eq_u32_e64 s2, 4, v69
	v_cmp_eq_u32_e64 s18, 4, v71
	v_div_fixup_f32 v93, v93, v73, 1.0
	v_lshl_or_b32 v73, v66, 4, v74
	v_cmp_eq_u32_e64 s21, 4, v70
	v_cmp_eq_u32_e64 s5, 5, v69
	;; [unrolled: 1-line block ×3, first 2 shown]
	v_mul_f32_e32 v101, v94, v93
	v_cmp_eq_u32_e64 s20, 4, v68
	v_cmp_eq_u32_e64 s23, 5, v70
	;; [unrolled: 1-line block ×4, first 2 shown]
	v_fma_mixlo_f16 v93, v101, v78, 0
	v_fma_mixlo_f16 v94, v101, v80, 0
	;; [unrolled: 1-line block ×8, first 2 shown]
	v_fma_mixhi_f16 v93, v101, v77, 0
	v_fma_mixhi_f16 v94, v101, v79, 0
	;; [unrolled: 1-line block ×8, first 2 shown]
	ds_store_b128 v73, v[93:96]
	ds_store_b128 v73, v[97:100] offset:1024
	s_waitcnt lgkmcnt(0)
	s_barrier
	buffer_gl0_inv
	ds_load_b128 v[77:80], v74
	ds_load_b128 v[81:84], v74 offset:16
	ds_load_b128 v[85:88], v74 offset:1024
	;; [unrolled: 1-line block ×3, first 2 shown]
	v_cmp_eq_u32_e64 s26, 6, v70
	v_cmp_eq_u32_e64 s6, 6, v69
	;; [unrolled: 1-line block ×6, first 2 shown]
	s_waitcnt lgkmcnt(3)
	v_lshrrev_b32_e32 v93, 16, v77
	s_waitcnt lgkmcnt(2)
	v_lshrrev_b32_e32 v97, 16, v81
	;; [unrolled: 2-line block ×4, first 2 shown]
	v_lshrrev_b32_e32 v94, 16, v78
	v_cndmask_b32_e64 v109, v77, v93, s3
	v_cndmask_b32_e64 v110, v81, v97, s3
	;; [unrolled: 1-line block ×8, first 2 shown]
	v_lshrrev_b32_e32 v98, 16, v82
	v_cndmask_b32_e64 v93, v85, v101, s3
	v_cndmask_b32_e64 v97, v89, v105, s3
	;; [unrolled: 1-line block ×15, first 2 shown]
	v_lshrrev_b32_e32 v102, 16, v86
	v_lshrrev_b32_e32 v106, 16, v90
	v_cndmask_b32_e64 v112, v114, v82, s13
	v_cndmask_b32_e64 v81, v93, v86, s4
	;; [unrolled: 1-line block ×7, first 2 shown]
	v_cndmask_b32_e32 v89, v101, v94, vcc_lo
	v_cndmask_b32_e32 v101, v105, v98, vcc_lo
	v_cndmask_b32_e64 v105, v109, v94, s12
	v_cndmask_b32_e64 v109, v110, v98, s12
	;; [unrolled: 1-line block ×4, first 2 shown]
	v_lshrrev_b32_e32 v95, 16, v79
	v_lshrrev_b32_e32 v99, 16, v83
	v_cndmask_b32_e64 v110, v111, v94, s16
	v_cndmask_b32_e64 v111, v112, v98, s16
	v_cndmask_b32_e32 v81, v81, v102, vcc_lo
	v_cndmask_b32_e32 v82, v82, v106, vcc_lo
	v_cndmask_b32_e64 v93, v93, v102, s12
	v_cndmask_b32_e64 v89, v89, v79, s2
	;; [unrolled: 1-line block ×7, first 2 shown]
	v_lshrrev_b32_e32 v103, 16, v87
	v_cndmask_b32_e64 v105, v110, v79, s20
	v_cndmask_b32_e64 v109, v111, v83, s20
	;; [unrolled: 1-line block ×11, first 2 shown]
	v_lshrrev_b32_e32 v96, 16, v80
	v_lshrrev_b32_e32 v100, 16, v84
	v_cndmask_b32_e64 v98, v105, v95, s22
	v_cndmask_b32_e64 v101, v109, v99, s22
	;; [unrolled: 1-line block ×7, first 2 shown]
	v_lshrrev_b32_e32 v104, 16, v88
	v_cndmask_b32_e64 v79, v79, v103, s5
	v_cndmask_b32_e64 v83, v83, v80, s6
	;; [unrolled: 1-line block ×16, first 2 shown]
	v_perm_b32 v80, v78, v77, 0x5040100
	v_perm_b32 v78, v94, v84, 0x5040100
	v_cndmask_b32_e64 v77, v118, v90, s13
	v_cndmask_b32_e64 v84, v116, v90, s11
	;; [unrolled: 1-line block ×3, first 2 shown]
	v_perm_b32 v79, v93, v89, 0x5040100
	v_cndmask_b32_e64 v89, v97, v102, s16
	v_cndmask_b32_e64 v85, v85, v102, s17
	;; [unrolled: 1-line block ×5, first 2 shown]
	v_lshrrev_b32_e32 v107, 16, v91
	v_cndmask_b32_e64 v89, v89, v87, s20
	v_cndmask_b32_e64 v85, v85, v87, s21
	;; [unrolled: 1-line block ×11, first 2 shown]
	v_lshrrev_b32_e32 v108, 16, v92
	v_cndmask_b32_e64 v81, v81, v92, s6
	v_cndmask_b32_e64 v87, v87, v88, s25
	v_cndmask_b32_e64 v85, v85, v88, s26
	v_cndmask_b32_e64 v86, v86, v92, s26
	v_cndmask_b32_e64 v77, v77, v92, s25
	v_cndmask_b32_e64 v84, v84, v92, s24
	v_cndmask_b32_e64 v87, v87, v104, s27
	v_cndmask_b32_e64 v85, v85, v104, s28
	v_cndmask_b32_e64 v86, v86, v108, s28
	v_cndmask_b32_e64 v88, v77, v108, s27
	v_cndmask_b32_e64 v89, v84, v108, s29
	v_cndmask_b32_e64 v81, v81, v108, s7
	v_perm_b32 v77, v83, v82, 0x5040100
	v_perm_b32 v84, v86, v85, 0x5040100
	;; [unrolled: 1-line block ×5, first 2 shown]
	s_lshl_b32 s7, s33, 3
	s_mov_b32 s2, exec_lo
	ds_store_b128 v73, v[77:80]
	ds_store_b128 v73, v[81:84] offset:1024
	v_cmpx_gt_u32_e32 8, v0
	s_cbranch_execz .LBB1057_14
; %bb.13:
	v_or_b32_e32 v77, s31, v0
	s_load_b128 s[8:11], s[0:1], 0x58
	s_delay_alu instid0(VALU_DEP_1) | instskip(NEXT) | instid1(VALU_DEP_1)
	v_mad_u64_u32 v[78:79], null, s7, s30, v[77:78]
	v_mad_u64_u32 v[79:80], null, v78, s34, s[14:15]
	s_delay_alu instid0(VALU_DEP_1) | instskip(NEXT) | instid1(VALU_DEP_1)
	v_ashrrev_i32_e32 v80, 31, v79
	v_lshlrev_b64 v[77:78], 2, v[79:80]
	s_waitcnt lgkmcnt(0)
	s_delay_alu instid0(VALU_DEP_1) | instskip(NEXT) | instid1(VALU_DEP_2)
	v_add_co_u32 v79, vcc_lo, s10, v77
	v_add_co_ci_u32_e32 v80, vcc_lo, s11, v78, vcc_lo
	v_add_co_u32 v77, vcc_lo, s8, v77
	v_add_co_ci_u32_e32 v78, vcc_lo, s9, v78, vcc_lo
	global_store_b32 v[79:80], v75, off
	global_store_b32 v[77:78], v76, off
.LBB1057_14:
	s_or_b32 exec_lo, exec_lo, s2
	s_waitcnt lgkmcnt(0)
	s_waitcnt_vscnt null, 0x0
	s_barrier
	buffer_gl0_inv
	ds_load_b128 v[83:86], v72
	ds_load_b128 v[87:90], v72 offset:16
	ds_load_b128 v[95:98], v72 offset:2064
	;; [unrolled: 1-line block ×5, first 2 shown]
	v_cmp_eq_u32_e32 vcc_lo, 1, v69
	v_mov_b32_e32 v75, 0
	ds_load_b128 v[111:114], v72 offset:6160
	ds_load_b128 v[107:110], v72 offset:6144
	;; [unrolled: 1-line block ×4, first 2 shown]
	v_cmp_eq_u32_e64 s3, 1, v68
	v_cmp_eq_u32_e64 s2, 1, v71
	;; [unrolled: 1-line block ×3, first 2 shown]
	v_mov_b32_e32 v76, v75
	v_mov_b32_e32 v77, v75
	;; [unrolled: 1-line block ×7, first 2 shown]
	v_cmp_eq_u32_e64 s5, 3, v71
	v_cmp_eq_u32_e64 s6, 7, v71
	s_waitcnt lgkmcnt(8)
	s_delay_alu instid0(VALU_DEP_3)
	v_wmma_f32_16x16x16_f16 v[75:82], v[49:56], v[83:90], v[75:82]
	ds_load_b128 v[53:56], v72 offset:10256
	ds_load_b128 v[49:52], v72 offset:10240
	s_waitcnt lgkmcnt(8)
	v_wmma_f32_16x16x16_f16 v[75:82], v[41:48], v[91:98], v[75:82]
	ds_load_b128 v[45:48], v72 offset:12304
	ds_load_b128 v[41:44], v72 offset:12288
	s_waitcnt lgkmcnt(8)
	;; [unrolled: 4-line block ×3, first 2 shown]
	s_barrier
	buffer_gl0_inv
	v_wmma_f32_16x16x16_f16 v[75:82], v[1:8], v[107:114], v[75:82]
	s_delay_alu instid0(VALU_DEP_1) | instskip(NEXT) | instid1(VALU_DEP_1)
	v_wmma_f32_16x16x16_f16 v[75:82], v[9:16], v[115:122], v[75:82]
	v_wmma_f32_16x16x16_f16 v[75:82], v[17:24], v[49:56], v[75:82]
	s_delay_alu instid0(VALU_DEP_1) | instskip(NEXT) | instid1(VALU_DEP_1)
	v_wmma_f32_16x16x16_f16 v[75:82], v[25:32], v[41:48], v[75:82]
	v_wmma_f32_16x16x16_f16 v[75:82], v[57:64], v[33:40], v[75:82]
	s_delay_alu instid0(VALU_DEP_1) | instskip(NEXT) | instid1(VALU_DEP_2)
	v_cvt_f16_f32_e32 v1, v75
	v_cvt_f16_f32_e32 v2, v76
	s_delay_alu instid0(VALU_DEP_3) | instskip(NEXT) | instid1(VALU_DEP_4)
	v_cvt_f16_f32_e32 v3, v77
	v_cvt_f16_f32_e32 v4, v78
	;; [unrolled: 1-line block ×6, first 2 shown]
	v_pack_b32_f16 v1, v1, v2
	v_pack_b32_f16 v2, v3, v4
	;; [unrolled: 1-line block ×3, first 2 shown]
	s_delay_alu instid0(VALU_DEP_4)
	v_pack_b32_f16 v4, v7, v8
	ds_store_b128 v73, v[1:4]
	s_waitcnt lgkmcnt(0)
	s_barrier
	buffer_gl0_inv
	ds_load_b128 v[1:4], v74
	ds_load_b128 v[5:8], v74 offset:16
	s_waitcnt lgkmcnt(1)
	v_lshrrev_b32_e32 v9, 16, v1
	s_waitcnt lgkmcnt(0)
	v_lshrrev_b32_e32 v13, 16, v5
	v_lshrrev_b32_e32 v10, 16, v2
	;; [unrolled: 1-line block ×4, first 2 shown]
	v_cndmask_b32_e32 v17, v1, v9, vcc_lo
	v_cndmask_b32_e32 v18, v5, v13, vcc_lo
	v_cndmask_b32_e64 v21, v1, v9, s3
	v_cmp_eq_u32_e32 vcc_lo, 1, v70
	v_cndmask_b32_e64 v22, v5, v13, s3
	v_cmp_eq_u32_e64 s3, 2, v69
	v_cndmask_b32_e64 v19, v1, v9, s2
	v_cndmask_b32_e64 v20, v5, v13, s2
	v_cndmask_b32_e32 v1, v1, v9, vcc_lo
	v_cmp_eq_u32_e64 s2, 2, v70
	v_cndmask_b32_e32 v5, v5, v13, vcc_lo
	v_cndmask_b32_e64 v9, v17, v2, s3
	v_cmp_eq_u32_e32 vcc_lo, 3, v69
	v_cndmask_b32_e64 v13, v18, v6, s3
	v_cmp_eq_u32_e64 s3, 2, v68
	v_cndmask_b32_e64 v17, v19, v2, s4
	v_cndmask_b32_e64 v18, v20, v6, s4
	v_cmp_eq_u32_e64 s4, 3, v68
	v_cndmask_b32_e64 v1, v1, v2, s2
	v_cndmask_b32_e64 v19, v21, v2, s3
	;; [unrolled: 1-line block ×4, first 2 shown]
	v_cndmask_b32_e32 v5, v9, v10, vcc_lo
	v_cndmask_b32_e32 v6, v13, v14, vcc_lo
	v_cmp_eq_u32_e32 vcc_lo, 3, v70
	v_cndmask_b32_e64 v9, v17, v10, s5
	v_cndmask_b32_e64 v13, v18, v14, s5
	;; [unrolled: 1-line block ×3, first 2 shown]
	v_cmp_eq_u32_e64 s3, 4, v69
	v_cndmask_b32_e32 v1, v1, v10, vcc_lo
	v_cndmask_b32_e32 v2, v2, v14, vcc_lo
	v_cmp_eq_u32_e32 vcc_lo, 4, v71
	v_lshrrev_b32_e32 v15, 16, v7
	v_lshrrev_b32_e32 v16, 16, v8
	v_cndmask_b32_e64 v17, v19, v10, s4
	v_cmp_eq_u32_e64 s2, 4, v70
	v_cndmask_b32_e64 v5, v5, v3, s3
	v_cndmask_b32_e64 v6, v6, v7, s3
	v_cndmask_b32_e32 v9, v9, v3, vcc_lo
	v_cmp_eq_u32_e64 s3, 5, v71
	v_cndmask_b32_e32 v10, v13, v7, vcc_lo
	v_cmp_eq_u32_e32 vcc_lo, 4, v68
	v_cmp_eq_u32_e64 s4, 5, v69
	v_cndmask_b32_e64 v2, v2, v7, s2
	v_cndmask_b32_e64 v9, v9, v11, s3
	;; [unrolled: 1-line block ×3, first 2 shown]
	v_cndmask_b32_e32 v13, v17, v3, vcc_lo
	v_cmp_eq_u32_e64 s3, 5, v68
	v_cndmask_b32_e32 v14, v18, v7, vcc_lo
	v_cndmask_b32_e64 v1, v1, v3, s2
	v_cmp_eq_u32_e32 vcc_lo, 5, v70
	v_lshrrev_b32_e32 v12, 16, v4
	v_cndmask_b32_e64 v13, v13, v11, s3
	v_cndmask_b32_e64 v3, v14, v15, s3
	v_cmp_eq_u32_e64 s3, 6, v70
	v_cndmask_b32_e32 v1, v1, v11, vcc_lo
	v_cndmask_b32_e64 v5, v5, v11, s4
	v_cmp_eq_u32_e64 s5, 6, v69
	v_cndmask_b32_e64 v6, v6, v15, s4
	v_cmp_eq_u32_e64 s4, 6, v71
	v_cmp_eq_u32_e64 s2, 6, v68
	v_cndmask_b32_e64 v1, v1, v4, s3
	v_cndmask_b32_e32 v2, v2, v15, vcc_lo
	v_cmp_eq_u32_e32 vcc_lo, 7, v70
	v_cndmask_b32_e64 v5, v5, v4, s5
	v_cndmask_b32_e64 v9, v9, v4, s4
	;; [unrolled: 1-line block ×3, first 2 shown]
	v_cmp_eq_u32_e64 s5, 7, v69
	v_cndmask_b32_e32 v1, v1, v12, vcc_lo
	v_cndmask_b32_e64 v7, v13, v4, s2
	v_cndmask_b32_e64 v3, v3, v8, s2
	v_cndmask_b32_e64 v2, v2, v8, s3
	v_cmp_eq_u32_e64 s2, 7, v68
	v_cndmask_b32_e64 v4, v10, v8, s4
	v_cndmask_b32_e64 v5, v5, v12, s5
	;; [unrolled: 1-line block ×3, first 2 shown]
	v_cndmask_b32_e32 v2, v2, v16, vcc_lo
	v_cndmask_b32_e64 v7, v7, v12, s2
	v_cndmask_b32_e64 v3, v3, v16, s2
	;; [unrolled: 1-line block ×4, first 2 shown]
	v_perm_b32 v4, v2, v1, 0x5040100
	s_mov_b32 s2, exec_lo
	v_perm_b32 v3, v3, v7, 0x5040100
	v_perm_b32 v2, v8, v9, 0x5040100
	v_perm_b32 v1, v6, v5, 0x5040100
	ds_store_b128 v73, v[1:4]
	s_waitcnt lgkmcnt(0)
	s_barrier
	buffer_gl0_inv
	v_cmpx_gt_u32_e32 32, v0
	s_cbranch_execz .LBB1057_2
; %bb.15:
	s_load_b64 s[0:1], s[0:1], 0x68
	s_lshl_b32 s4, s34, 7
	v_or_b32_e32 v2, s31, v66
	s_mul_i32 s2, s4, s30
	v_lshlrev_b32_e32 v1, 10, v0
	s_mul_i32 s2, s2, s7
	v_lshlrev_b32_e32 v3, 4, v67
	v_mul_lo_u32 v0, v2, s4
	s_ashr_i32 s3, s2, 31
	v_lshlrev_b32_e32 v4, 6, v66
	v_and_b32_e32 v1, 0x3800, v1
	v_or_b32_e32 v5, 2, v2
	s_lshl_b64 s[2:3], s[2:3], 1
	v_or_b32_e32 v6, 4, v2
	v_or_b32_e32 v7, 6, v2
	v_or3_b32 v12, v1, v3, v4
	v_ashrrev_i32_e32 v1, 31, v0
	v_mul_lo_u32 v2, v5, s4
	v_mul_lo_u32 v16, v6, s4
	;; [unrolled: 1-line block ×3, first 2 shown]
	s_waitcnt lgkmcnt(0)
	s_add_u32 s2, s0, s2
	s_addc_u32 s3, s1, s3
	s_lshl_b32 s0, s14, 7
	v_lshlrev_b64 v[0:1], 1, v[0:1]
	s_ashr_i32 s1, s0, 31
	v_ashrrev_i32_e32 v3, 31, v2
	s_lshl_b64 s[0:1], s[0:1], 1
	v_ashrrev_i32_e32 v17, 31, v16
	s_add_u32 s0, s2, s0
	s_addc_u32 s1, s3, s1
	v_add_co_u32 v24, s0, s0, v65
	s_delay_alu instid0(VALU_DEP_1) | instskip(SKIP_1) | instid1(VALU_DEP_3)
	v_add_co_ci_u32_e64 v25, null, s1, 0, s0
	v_lshlrev_b64 v[22:23], 1, v[2:3]
	v_add_co_u32 v18, vcc_lo, v24, v0
	s_delay_alu instid0(VALU_DEP_3)
	v_add_co_ci_u32_e32 v19, vcc_lo, v25, v1, vcc_lo
	ds_load_b128 v[0:3], v12
	ds_load_b128 v[4:7], v12 offset:128
	ds_load_b128 v[8:11], v12 offset:256
	;; [unrolled: 1-line block ×3, first 2 shown]
	v_ashrrev_i32_e32 v21, 31, v20
	v_lshlrev_b64 v[16:17], 1, v[16:17]
	v_add_co_u32 v22, vcc_lo, v24, v22
	v_add_co_ci_u32_e32 v23, vcc_lo, v25, v23, vcc_lo
	s_delay_alu instid0(VALU_DEP_4) | instskip(NEXT) | instid1(VALU_DEP_4)
	v_lshlrev_b64 v[20:21], 1, v[20:21]
	v_add_co_u32 v16, vcc_lo, v24, v16
	v_add_co_ci_u32_e32 v17, vcc_lo, v25, v17, vcc_lo
	s_delay_alu instid0(VALU_DEP_3) | instskip(NEXT) | instid1(VALU_DEP_4)
	v_add_co_u32 v20, vcc_lo, v24, v20
	v_add_co_ci_u32_e32 v21, vcc_lo, v25, v21, vcc_lo
	s_waitcnt lgkmcnt(3)
	global_store_b128 v[18:19], v[0:3], off
	s_waitcnt lgkmcnt(2)
	global_store_b128 v[22:23], v[4:7], off
	;; [unrolled: 2-line block ×4, first 2 shown]
	s_nop 0
	s_sendmsg sendmsg(MSG_DEALLOC_VGPRS)
	s_endpgm
	.section	.rodata,"a",@progbits
	.p2align	6, 0x0
	.amdhsa_kernel _Z39paged_attention_ll4mi_QKV_mfma16_kernelIDF16_hLN4vllm18Fp8KVCacheDataTypeE1EDF16_Li32ELi128ELi256ELb1ELi8EL8MFMAType1EEvPKT_PKT0_S8_ifPKiSA_SA_iPKfiiiPfSD_PS3_PT2_iSC_SC_
		.amdhsa_group_segment_fixed_size 17472
		.amdhsa_private_segment_fixed_size 0
		.amdhsa_kernarg_size 400
		.amdhsa_user_sgpr_count 13
		.amdhsa_user_sgpr_dispatch_ptr 0
		.amdhsa_user_sgpr_queue_ptr 0
		.amdhsa_user_sgpr_kernarg_segment_ptr 1
		.amdhsa_user_sgpr_dispatch_id 0
		.amdhsa_user_sgpr_private_segment_size 0
		.amdhsa_wavefront_size32 1
		.amdhsa_uses_dynamic_stack 0
		.amdhsa_enable_private_segment 0
		.amdhsa_system_sgpr_workgroup_id_x 1
		.amdhsa_system_sgpr_workgroup_id_y 1
		.amdhsa_system_sgpr_workgroup_id_z 1
		.amdhsa_system_sgpr_workgroup_info 0
		.amdhsa_system_vgpr_workitem_id 0
		.amdhsa_next_free_vgpr 140
		.amdhsa_next_free_sgpr 36
		.amdhsa_reserve_vcc 1
		.amdhsa_float_round_mode_32 0
		.amdhsa_float_round_mode_16_64 0
		.amdhsa_float_denorm_mode_32 3
		.amdhsa_float_denorm_mode_16_64 3
		.amdhsa_dx10_clamp 1
		.amdhsa_ieee_mode 1
		.amdhsa_fp16_overflow 0
		.amdhsa_workgroup_processor_mode 1
		.amdhsa_memory_ordered 1
		.amdhsa_forward_progress 0
		.amdhsa_shared_vgpr_count 0
		.amdhsa_exception_fp_ieee_invalid_op 0
		.amdhsa_exception_fp_denorm_src 0
		.amdhsa_exception_fp_ieee_div_zero 0
		.amdhsa_exception_fp_ieee_overflow 0
		.amdhsa_exception_fp_ieee_underflow 0
		.amdhsa_exception_fp_ieee_inexact 0
		.amdhsa_exception_int_div_zero 0
	.end_amdhsa_kernel
	.section	.text._Z39paged_attention_ll4mi_QKV_mfma16_kernelIDF16_hLN4vllm18Fp8KVCacheDataTypeE1EDF16_Li32ELi128ELi256ELb1ELi8EL8MFMAType1EEvPKT_PKT0_S8_ifPKiSA_SA_iPKfiiiPfSD_PS3_PT2_iSC_SC_,"axG",@progbits,_Z39paged_attention_ll4mi_QKV_mfma16_kernelIDF16_hLN4vllm18Fp8KVCacheDataTypeE1EDF16_Li32ELi128ELi256ELb1ELi8EL8MFMAType1EEvPKT_PKT0_S8_ifPKiSA_SA_iPKfiiiPfSD_PS3_PT2_iSC_SC_,comdat
.Lfunc_end1057:
	.size	_Z39paged_attention_ll4mi_QKV_mfma16_kernelIDF16_hLN4vllm18Fp8KVCacheDataTypeE1EDF16_Li32ELi128ELi256ELb1ELi8EL8MFMAType1EEvPKT_PKT0_S8_ifPKiSA_SA_iPKfiiiPfSD_PS3_PT2_iSC_SC_, .Lfunc_end1057-_Z39paged_attention_ll4mi_QKV_mfma16_kernelIDF16_hLN4vllm18Fp8KVCacheDataTypeE1EDF16_Li32ELi128ELi256ELb1ELi8EL8MFMAType1EEvPKT_PKT0_S8_ifPKiSA_SA_iPKfiiiPfSD_PS3_PT2_iSC_SC_
                                        ; -- End function
	.section	.AMDGPU.csdata,"",@progbits
; Kernel info:
; codeLenInByte = 6624
; NumSgprs: 38
; NumVgprs: 140
; ScratchSize: 0
; MemoryBound: 0
; FloatMode: 240
; IeeeMode: 1
; LDSByteSize: 17472 bytes/workgroup (compile time only)
; SGPRBlocks: 4
; VGPRBlocks: 17
; NumSGPRsForWavesPerEU: 38
; NumVGPRsForWavesPerEU: 140
; Occupancy: 10
; WaveLimiterHint : 1
; COMPUTE_PGM_RSRC2:SCRATCH_EN: 0
; COMPUTE_PGM_RSRC2:USER_SGPR: 13
; COMPUTE_PGM_RSRC2:TRAP_HANDLER: 0
; COMPUTE_PGM_RSRC2:TGID_X_EN: 1
; COMPUTE_PGM_RSRC2:TGID_Y_EN: 1
; COMPUTE_PGM_RSRC2:TGID_Z_EN: 1
; COMPUTE_PGM_RSRC2:TIDIG_COMP_CNT: 0
	.section	.text._Z39paged_attention_ll4mi_QKV_mfma16_kernelIDF16_hLN4vllm18Fp8KVCacheDataTypeE1EDF16_Li32ELi128ELi256ELb1ELi9EL8MFMAType1EEvPKT_PKT0_S8_ifPKiSA_SA_iPKfiiiPfSD_PS3_PT2_iSC_SC_,"axG",@progbits,_Z39paged_attention_ll4mi_QKV_mfma16_kernelIDF16_hLN4vllm18Fp8KVCacheDataTypeE1EDF16_Li32ELi128ELi256ELb1ELi9EL8MFMAType1EEvPKT_PKT0_S8_ifPKiSA_SA_iPKfiiiPfSD_PS3_PT2_iSC_SC_,comdat
	.protected	_Z39paged_attention_ll4mi_QKV_mfma16_kernelIDF16_hLN4vllm18Fp8KVCacheDataTypeE1EDF16_Li32ELi128ELi256ELb1ELi9EL8MFMAType1EEvPKT_PKT0_S8_ifPKiSA_SA_iPKfiiiPfSD_PS3_PT2_iSC_SC_ ; -- Begin function _Z39paged_attention_ll4mi_QKV_mfma16_kernelIDF16_hLN4vllm18Fp8KVCacheDataTypeE1EDF16_Li32ELi128ELi256ELb1ELi9EL8MFMAType1EEvPKT_PKT0_S8_ifPKiSA_SA_iPKfiiiPfSD_PS3_PT2_iSC_SC_
	.globl	_Z39paged_attention_ll4mi_QKV_mfma16_kernelIDF16_hLN4vllm18Fp8KVCacheDataTypeE1EDF16_Li32ELi128ELi256ELb1ELi9EL8MFMAType1EEvPKT_PKT0_S8_ifPKiSA_SA_iPKfiiiPfSD_PS3_PT2_iSC_SC_
	.p2align	8
	.type	_Z39paged_attention_ll4mi_QKV_mfma16_kernelIDF16_hLN4vllm18Fp8KVCacheDataTypeE1EDF16_Li32ELi128ELi256ELb1ELi9EL8MFMAType1EEvPKT_PKT0_S8_ifPKiSA_SA_iPKfiiiPfSD_PS3_PT2_iSC_SC_,@function
_Z39paged_attention_ll4mi_QKV_mfma16_kernelIDF16_hLN4vllm18Fp8KVCacheDataTypeE1EDF16_Li32ELi128ELi256ELb1ELi9EL8MFMAType1EEvPKT_PKT0_S8_ifPKiSA_SA_iPKfiiiPfSD_PS3_PT2_iSC_SC_: ; @_Z39paged_attention_ll4mi_QKV_mfma16_kernelIDF16_hLN4vllm18Fp8KVCacheDataTypeE1EDF16_Li32ELi128ELi256ELb1ELi9EL8MFMAType1EEvPKT_PKT0_S8_ifPKiSA_SA_iPKfiiiPfSD_PS3_PT2_iSC_SC_
; %bb.0:
	s_load_b64 s[4:5], s[0:1], 0x30
	s_mov_b32 s34, s13
	s_waitcnt lgkmcnt(0)
	s_cmp_lg_u64 s[4:5], 0
	s_cselect_b32 s8, -1, 0
	s_ashr_i32 s35, s13, 31
	s_cmp_eq_u64 s[4:5], 0
	s_cbranch_scc1 .LBB1058_3
; %bb.1:
	s_lshl_b64 s[2:3], s[34:35], 2
	s_delay_alu instid0(SALU_CYCLE_1) | instskip(SKIP_4) | instid1(SALU_CYCLE_1)
	s_add_u32 s2, s4, s2
	s_addc_u32 s3, s5, s3
	s_load_b64 s[2:3], s[2:3], 0x0
	s_waitcnt lgkmcnt(0)
	s_sub_i32 s2, s3, s2
	s_cmp_eq_u32 s2, 1
	s_cselect_b32 s2, -1, 0
	s_delay_alu instid0(SALU_CYCLE_1)
	s_and_not1_b32 vcc_lo, exec_lo, s2
	s_cbranch_vccz .LBB1058_4
.LBB1058_2:
	s_nop 0
	s_sendmsg sendmsg(MSG_DEALLOC_VGPRS)
	s_endpgm
.LBB1058_3:
.LBB1058_4:
	s_load_b64 s[2:3], s[0:1], 0x28
	s_lshl_b64 s[6:7], s[34:35], 2
	s_waitcnt lgkmcnt(0)
	s_add_u32 s2, s2, s6
	s_addc_u32 s3, s3, s7
	s_lshl_b32 s12, s14, 8
	s_load_b32 s24, s[2:3], 0x0
	s_waitcnt lgkmcnt(0)
	s_cmp_ge_i32 s12, s24
	s_cbranch_scc1 .LBB1058_2
; %bb.5:
	s_clause 0x1
	s_load_b128 s[20:23], s[0:1], 0x8
	s_load_b64 s[2:3], s[0:1], 0x20
	s_and_not1_b32 vcc_lo, exec_lo, s8
	s_cbranch_vccnz .LBB1058_7
; %bb.6:
	s_add_u32 s4, s4, s6
	s_addc_u32 s5, s5, s7
	s_load_b32 s5, s[4:5], 0x0
	s_branch .LBB1058_8
.LBB1058_7:
	s_mov_b32 s5, s34
.LBB1058_8:
	s_load_b128 s[16:19], s[0:1], 0x48
	v_and_b32_e32 v68, 15, v0
	v_lshrrev_b32_e32 v69, 5, v0
	v_bfe_u32 v66, v0, 4, 1
	v_and_b32_e32 v70, 31, v0
	v_and_b32_e32 v67, 1, v0
	v_lshlrev_b32_e32 v2, 3, v68
	s_mul_i32 s31, s15, 9
	v_lshl_or_b32 v1, v69, 1, v66
	s_mov_b32 s4, exec_lo
	s_delay_alu instid0(VALU_DEP_2) | instskip(NEXT) | instid1(VALU_DEP_2)
	v_lshlrev_b32_e32 v65, 1, v2
	v_cmpx_gt_u32_e32 9, v1
	s_cbranch_execz .LBB1058_10
; %bb.9:
	s_load_b64 s[6:7], s[0:1], 0x0
	v_add_lshl_u32 v2, v1, s31, 7
	s_waitcnt lgkmcnt(0)
	s_mul_hi_i32 s9, s5, s16
	s_mul_i32 s8, s5, s16
	v_lshlrev_b32_e32 v6, 10, v68
	s_lshl_b64 s[8:9], s[8:9], 1
	v_ashrrev_i32_e32 v3, 31, v2
	v_lshlrev_b32_e32 v1, 6, v1
	v_lshlrev_b32_e32 v7, 10, v67
	v_and_b32_e32 v6, 0x3800, v6
	s_delay_alu instid0(VALU_DEP_4) | instskip(NEXT) | instid1(VALU_DEP_2)
	v_lshlrev_b64 v[2:3], 1, v[2:3]
	v_or3_b32 v1, v6, v7, v1
	s_add_u32 s5, s6, s8
	s_addc_u32 s6, s7, s9
	s_delay_alu instid0(VALU_DEP_2) | instskip(NEXT) | instid1(VALU_DEP_3)
	v_add_co_u32 v2, vcc_lo, s5, v2
	v_add_co_ci_u32_e32 v3, vcc_lo, s6, v3, vcc_lo
	s_delay_alu instid0(VALU_DEP_2) | instskip(NEXT) | instid1(VALU_DEP_2)
	v_add_co_u32 v2, vcc_lo, v2, v65
	v_add_co_ci_u32_e32 v3, vcc_lo, 0, v3, vcc_lo
	global_load_b128 v[2:5], v[2:3], off
	s_waitcnt vmcnt(0)
	ds_store_b128 v1, v[2:5]
.LBB1058_10:
	s_or_b32 exec_lo, exec_lo, s4
	v_and_b32_e32 v1, 0xef, v0
	s_waitcnt lgkmcnt(0)
	s_add_i32 s5, s24, 31
	s_clause 0x1
	s_load_b32 s4, s[0:1], 0x38
	s_load_b32 s33, s[0:1], 0x98
	s_ashr_i32 s6, s5, 31
	v_add_nc_u32_e32 v1, s12, v1
	s_lshr_b32 s6, s6, 27
	s_load_b32 s19, s[0:1], 0x1c
	s_add_i32 s5, s5, s6
	s_waitcnt lgkmcnt(0)
	v_ashrrev_i32_e32 v2, 31, v1
	v_or_b32_e32 v3, 16, v1
	s_ashr_i32 s13, s5, 5
	v_cmp_gt_i32_e32 vcc_lo, s24, v1
	s_add_i32 s13, s13, -1
	v_lshrrev_b32_e32 v2, 27, v2
	s_barrier
	buffer_gl0_inv
	s_mul_i32 s15, s15, s18
	v_add_nc_u32_e32 v4, v1, v2
	s_mul_i32 s4, s34, s4
	s_delay_alu instid0(SALU_CYCLE_1) | instskip(NEXT) | instid1(VALU_DEP_1)
	s_ashr_i32 s5, s4, 31
	v_ashrrev_i32_e32 v4, 5, v4
	v_add_nc_u32_e32 v2, v3, v2
	s_lshl_b64 s[4:5], s[4:5], 2
	s_delay_alu instid0(SALU_CYCLE_1) | instskip(NEXT) | instid1(VALU_DEP_2)
	s_add_u32 s16, s2, s4
	v_cndmask_b32_e32 v1, s13, v4, vcc_lo
	s_delay_alu instid0(VALU_DEP_2)
	v_ashrrev_i32_e32 v2, 5, v2
	v_cmp_gt_i32_e32 vcc_lo, s24, v3
	s_addc_u32 s25, s3, s5
	s_ashr_i32 s18, s15, 31
	s_add_u32 s2, s20, s15
	s_addc_u32 s3, s21, s18
	v_cndmask_b32_e32 v3, s13, v2, vcc_lo
	v_ashrrev_i32_e32 v2, 31, v1
	s_lshl_b32 s4, s14, 3
	s_delay_alu instid0(SALU_CYCLE_1) | instskip(NEXT) | instid1(VALU_DEP_2)
	s_ashr_i32 s5, s4, 31
	v_ashrrev_i32_e32 v4, 31, v3
	s_delay_alu instid0(VALU_DEP_2) | instskip(SKIP_1) | instid1(SALU_CYCLE_1)
	v_lshlrev_b64 v[1:2], 2, v[1:2]
	s_lshl_b64 s[4:5], s[4:5], 2
	s_add_u32 s4, s16, s4
	s_delay_alu instid0(VALU_DEP_2) | instskip(SKIP_1) | instid1(VALU_DEP_2)
	v_lshlrev_b64 v[3:4], 2, v[3:4]
	s_addc_u32 s5, s25, s5
	v_add_co_u32 v1, vcc_lo, s16, v1
	v_add_co_ci_u32_e32 v2, vcc_lo, s25, v2, vcc_lo
	s_delay_alu instid0(VALU_DEP_3) | instskip(NEXT) | instid1(VALU_DEP_4)
	v_add_co_u32 v3, vcc_lo, s16, v3
	v_add_co_ci_u32_e32 v4, vcc_lo, s25, v4, vcc_lo
	s_clause 0x1
	global_load_b32 v5, v[1:2], off
	global_load_b32 v6, v[3:4], off
	s_or_b32 s6, s12, 32
	s_delay_alu instid0(SALU_CYCLE_1) | instskip(SKIP_2) | instid1(SALU_CYCLE_1)
	s_ashr_i32 s7, s6, 5
	s_cmp_lt_i32 s6, s24
	s_cselect_b32 s6, s7, s13
	s_ashr_i32 s7, s6, 31
	s_delay_alu instid0(SALU_CYCLE_1) | instskip(NEXT) | instid1(SALU_CYCLE_1)
	s_lshl_b64 s[6:7], s[6:7], 2
	s_add_u32 s6, s16, s6
	s_addc_u32 s7, s25, s7
	s_or_b32 s8, s12, 64
	s_delay_alu instid0(SALU_CYCLE_1) | instskip(SKIP_2) | instid1(SALU_CYCLE_1)
	s_ashr_i32 s9, s8, 5
	s_cmp_lt_i32 s8, s24
	s_cselect_b32 s8, s9, s13
	s_ashr_i32 s9, s8, 31
	s_delay_alu instid0(SALU_CYCLE_1) | instskip(NEXT) | instid1(SALU_CYCLE_1)
	s_lshl_b64 s[8:9], s[8:9], 2
	s_add_u32 s8, s16, s8
	s_addc_u32 s9, s25, s9
	;; [unrolled: 10-line block ×5, first 2 shown]
	s_clause 0x5
	s_load_b32 s28, s[4:5], 0x0
	s_load_b32 s29, s[6:7], 0x0
	s_load_b32 s30, s[8:9], 0x0
	s_load_b32 s35, s[10:11], 0x0
	s_load_b32 s36, s[20:21], 0x0
	s_load_b32 s26, s[26:27], 0x0
	s_mov_b32 s4, 0
	s_delay_alu instid0(SALU_CYCLE_1)
	s_mov_b32 s5, s4
	s_mov_b32 s6, s4
	;; [unrolled: 1-line block ×7, first 2 shown]
	s_delay_alu instid0(SALU_CYCLE_1)
	v_dual_mov_b32 v118, s11 :: v_dual_mov_b32 v117, s10
	v_dual_mov_b32 v116, s9 :: v_dual_mov_b32 v115, s8
	v_mov_b32_e32 v113, s6
	v_dual_mov_b32 v111, s4 :: v_dual_mov_b32 v114, s7
	v_mov_b32_e32 v112, s5
	s_waitcnt vmcnt(1)
	v_mad_i64_i32 v[1:2], null, v5, s17, s[2:3]
	v_lshlrev_b32_e32 v5, 4, v68
	s_waitcnt vmcnt(0)
	v_mad_i64_i32 v[3:4], null, v6, s17, s[2:3]
	s_or_b32 s2, s12, 0xc0
	s_delay_alu instid0(SALU_CYCLE_1) | instskip(NEXT) | instid1(VALU_DEP_3)
	s_ashr_i32 s3, s2, 5
	v_add_co_u32 v1, vcc_lo, v1, v5
	s_delay_alu instid0(VALU_DEP_4) | instskip(NEXT) | instid1(VALU_DEP_3)
	v_add_co_ci_u32_e32 v2, vcc_lo, 0, v2, vcc_lo
	v_add_co_u32 v3, vcc_lo, v3, v5
	s_delay_alu instid0(VALU_DEP_4)
	v_add_co_ci_u32_e32 v4, vcc_lo, 0, v4, vcc_lo
	s_clause 0xf
	global_load_b128 v[17:20], v[1:2], off
	global_load_b128 v[21:24], v[1:2], off offset:512
	global_load_b128 v[25:28], v[3:4], off offset:256
	;; [unrolled: 1-line block ×15, first 2 shown]
	s_cmp_lt_i32 s2, s24
	v_add_nc_u32_e32 v1, -9, v68
	s_cselect_b32 s2, s3, s13
	v_cmp_gt_u32_e32 vcc_lo, 9, v68
	s_ashr_i32 s3, s2, 31
	v_lshlrev_b32_e32 v2, 5, v68
	s_lshl_b64 s[2:3], s[2:3], 2
	s_delay_alu instid0(SALU_CYCLE_1)
	s_add_u32 s2, s16, s2
	s_addc_u32 s3, s25, s3
	s_or_b32 s20, s12, 0xe0
	v_cndmask_b32_e32 v1, v1, v68, vcc_lo
	s_ashr_i32 s21, s20, 5
	s_cmp_lt_i32 s20, s24
	s_cselect_b32 s20, s21, s13
	s_delay_alu instid0(VALU_DEP_1)
	v_lshlrev_b32_e32 v149, 6, v1
	s_ashr_i32 s21, s20, 31
	v_lshl_or_b32 v1, v69, 9, v2
	s_lshl_b64 s[4:5], s[20:21], 2
	ds_load_b128 v[119:122], v149
	ds_load_b128 v[123:126], v149 offset:1024
	s_add_u32 s4, s16, s4
	s_addc_u32 s5, s25, s5
	ds_load_b128 v[127:130], v149 offset:2048
	ds_load_b128 v[131:134], v149 offset:3072
	s_clause 0x1
	s_load_b32 s2, s[2:3], 0x0
	s_load_b32 s3, s[4:5], 0x0
	s_add_u32 s6, s22, s15
	s_addc_u32 s7, s23, s18
	v_add_co_u32 v135, s6, s6, v1
	s_delay_alu instid0(VALU_DEP_1) | instskip(SKIP_1) | instid1(VALU_DEP_1)
	v_add_co_ci_u32_e64 v136, null, s7, 0, s6
	s_waitcnt lgkmcnt(0)
	v_mad_i64_i32 v[1:2], null, s28, s17, v[135:136]
	v_mad_i64_i32 v[3:4], null, s29, s17, v[135:136]
	;; [unrolled: 1-line block ×6, first 2 shown]
	s_clause 0x9
	global_load_b128 v[49:52], v[1:2], off
	global_load_b128 v[53:56], v[1:2], off offset:16
	global_load_b128 v[41:44], v[3:4], off
	global_load_b128 v[45:48], v[3:4], off offset:16
	;; [unrolled: 2-line block ×5, first 2 shown]
	v_mad_i64_i32 v[145:146], null, s2, s17, v[135:136]
	v_mad_i64_i32 v[147:148], null, s3, s17, v[135:136]
	s_waitcnt vmcnt(24)
	v_wmma_f32_16x16x16_f16 v[135:142], v[17:24], v[119:126], v[111:118]
	s_waitcnt vmcnt(22)
	v_wmma_f32_16x16x16_f16 v[111:118], v[25:32], v[119:126], v[111:118]
	s_clause 0x3
	global_load_b128 v[17:20], v[143:144], off
	global_load_b128 v[21:24], v[143:144], off offset:16
	global_load_b128 v[25:28], v[145:146], off
	global_load_b128 v[29:32], v[145:146], off offset:16
	v_and_b32_e32 v119, 0xe0, v0
	s_waitcnt vmcnt(24)
	v_wmma_f32_16x16x16_f16 v[135:142], v[57:64], v[127:134], v[135:142]
	s_clause 0x1
	global_load_b128 v[57:60], v[147:148], off
	global_load_b128 v[61:64], v[147:148], off offset:16
	s_waitcnt vmcnt(24)
	v_wmma_f32_16x16x16_f16 v[111:118], v[71:78], v[127:134], v[111:118]
	ds_load_b128 v[71:74], v149 offset:4096
	ds_load_b128 v[75:78], v149 offset:5120
	v_add_nc_u32_e32 v128, s12, v119
	ds_load_b128 v[119:122], v149 offset:6144
	ds_load_b128 v[123:126], v149 offset:7168
	v_mbcnt_lo_u32_b32 v127, -1, 0
	s_waitcnt vmcnt(0) lgkmcnt(0)
	s_barrier
	v_or_b32_e32 v128, v128, v66
	buffer_gl0_inv
	v_xor_b32_e32 v129, 16, v127
	v_or_b32_e32 v130, 4, v128
	v_or_b32_e32 v131, 6, v128
	s_delay_alu instid0(VALU_DEP_3) | instskip(SKIP_4) | instid1(VALU_DEP_4)
	v_cmp_gt_i32_e32 vcc_lo, 32, v129
	v_or_b32_e32 v132, 8, v128
	v_or_b32_e32 v133, 10, v128
	v_cmp_gt_i32_e64 s3, s24, v130
	v_cmp_gt_i32_e64 s4, s24, v131
	;; [unrolled: 1-line block ×3, first 2 shown]
	v_wmma_f32_16x16x16_f16 v[135:142], v[79:86], v[71:78], v[135:142]
	v_wmma_f32_16x16x16_f16 v[111:118], v[87:94], v[71:78], v[111:118]
	v_or_b32_e32 v79, 12, v128
	v_or_b32_e32 v80, 14, v128
	v_cmp_gt_i32_e64 s6, s24, v133
	v_wmma_f32_16x16x16_f16 v[135:142], v[95:102], v[119:126], v[135:142]
	v_wmma_f32_16x16x16_f16 v[111:118], v[103:110], v[119:126], v[111:118]
	v_cndmask_b32_e32 v127, v127, v129, vcc_lo
	v_or_b32_e32 v129, 2, v128
	v_cmp_gt_i32_e32 vcc_lo, s24, v128
	s_delay_alu instid0(VALU_DEP_4) | instskip(SKIP_1) | instid1(VALU_DEP_4)
	v_dual_mul_f32 v87, s19, v136 :: v_dual_mul_f32 v94, s19, v113
	v_mul_f32_e32 v88, s19, v135
	v_cmp_gt_i32_e64 s2, s24, v129
	v_mul_f32_e32 v78, s19, v138
	v_mul_f32_e32 v86, s19, v137
	;; [unrolled: 1-line block ×3, first 2 shown]
	v_cndmask_b32_e32 v88, 0xff7fffff, v88, vcc_lo
	v_cndmask_b32_e64 v87, 0xff7fffff, v87, s2
	v_dual_mul_f32 v77, s19, v139 :: v_dual_mul_f32 v90, s19, v117
	v_cndmask_b32_e64 v86, 0xff7fffff, v86, s3
	v_cndmask_b32_e64 v78, 0xff7fffff, v78, s4
	s_delay_alu instid0(VALU_DEP_4)
	v_max3_f32 v87, v88, 0xff7fffff, v87
	v_or_b32_e32 v81, 16, v128
	v_or_b32_e32 v82, 18, v128
	v_dual_mul_f32 v74, s19, v142 :: v_dual_mul_f32 v75, s19, v141
	v_mul_f32_e32 v96, s19, v111
	v_cndmask_b32_e64 v77, 0xff7fffff, v77, s5
	v_cndmask_b32_e64 v76, 0xff7fffff, v76, s6
	v_max3_f32 v78, v87, v86, v78
	v_cmp_gt_i32_e64 s7, s24, v79
	v_cmp_gt_i32_e64 s8, s24, v80
	v_or_b32_e32 v83, 20, v128
	v_or_b32_e32 v84, 22, v128
	v_mul_f32_e32 v95, s19, v112
	v_cndmask_b32_e64 v75, 0xff7fffff, v75, s7
	v_cndmask_b32_e64 v74, 0xff7fffff, v74, s8
	v_max3_f32 v76, v78, v77, v76
	v_cmp_gt_i32_e64 s9, s24, v81
	v_cmp_gt_i32_e64 s10, s24, v82
	v_or_b32_e32 v85, 24, v128
	v_or_b32_e32 v71, 26, v128
	;; [unrolled: 8-line block ×3, first 2 shown]
	v_dual_mul_f32 v91, s19, v116 :: v_dual_mul_f32 v92, s19, v115
	v_cndmask_b32_e64 v75, 0xff7fffff, v94, s11
	v_cndmask_b32_e64 v76, 0xff7fffff, v93, s12
	v_max3_f32 v74, v74, v77, v78
	v_cmp_gt_i32_e64 s13, s24, v85
	v_cmp_gt_i32_e64 s15, s24, v71
	v_mul_f32_e32 v89, s19, v118
	v_cmp_gt_i32_e64 s16, s24, v72
	v_max3_f32 v74, v74, v75, v76
	v_cndmask_b32_e64 v77, 0xff7fffff, v92, s13
	v_cndmask_b32_e64 v71, 0xff7fffff, v91, s15
	v_cmp_gt_i32_e64 s17, s24, v73
	v_cndmask_b32_e64 v72, 0xff7fffff, v90, s16
	s_delay_alu instid0(VALU_DEP_3) | instskip(SKIP_1) | instid1(VALU_DEP_4)
	v_max3_f32 v71, v74, v77, v71
	v_lshlrev_b32_e32 v74, 2, v127
	v_cndmask_b32_e64 v73, 0xff7fffff, v89, s17
	s_delay_alu instid0(VALU_DEP_1) | instskip(SKIP_3) | instid1(VALU_DEP_1)
	v_max3_f32 v71, v71, v72, v73
	ds_bpermute_b32 v72, v74, v71
	s_waitcnt lgkmcnt(0)
	v_max_f32_e32 v72, v72, v72
	v_max_f32_e32 v71, v71, v72
	s_delay_alu instid0(VALU_DEP_1) | instskip(SKIP_4) | instid1(VALU_DEP_4)
	v_fma_f32 v72, s19, v135, -v71
	v_fma_f32 v73, s19, v136, -v71
	v_fma_f32 v75, s19, v137, -v71
	v_fma_f32 v76, s19, v138, -v71
	v_fma_f32 v77, s19, v139, -v71
	v_dual_mul_f32 v72, 0x3fb8aa3b, v72 :: v_dual_mul_f32 v73, 0x3fb8aa3b, v73
	s_delay_alu instid0(VALU_DEP_3) | instskip(SKIP_1) | instid1(VALU_DEP_3)
	v_dual_mul_f32 v75, 0x3fb8aa3b, v75 :: v_dual_mul_f32 v76, 0x3fb8aa3b, v76
	v_fma_f32 v80, s19, v141, -v71
	v_exp_f32_e32 v72, v72
	s_delay_alu instid0(VALU_DEP_3) | instskip(NEXT) | instid1(VALU_DEP_2)
	v_exp_f32_e32 v73, v73
	v_exp_f32_e32 v75, v75
	;; [unrolled: 1-line block ×3, first 2 shown]
	v_mul_f32_e32 v82, 0x3fb8aa3b, v80
	s_delay_alu instid0(VALU_DEP_1) | instskip(SKIP_4) | instid1(TRANS32_DEP_3)
	v_exp_f32_e32 v84, v82
	v_cndmask_b32_e32 v79, 0, v72, vcc_lo
	v_fma_f32 v72, s19, v140, -v71
	v_mul_f32_e32 v77, 0x3fb8aa3b, v77
	v_cndmask_b32_e64 v78, 0, v73, s2
	v_cndmask_b32_e64 v81, 0, v75, s3
	s_delay_alu instid0(VALU_DEP_4) | instskip(NEXT) | instid1(VALU_DEP_4)
	v_dual_add_f32 v73, 0, v79 :: v_dual_mul_f32 v72, 0x3fb8aa3b, v72
	v_exp_f32_e32 v77, v77
	v_cndmask_b32_e64 v80, 0, v76, s4
	s_delay_alu instid0(TRANS32_DEP_2) | instskip(NEXT) | instid1(VALU_DEP_3)
	v_cndmask_b32_e64 v85, 0, v84, s7
	v_add_f32_e32 v73, v73, v78
	v_exp_f32_e32 v72, v72
	v_cmp_gt_u32_e64 s2, 16, v70
	s_delay_alu instid0(VALU_DEP_2) | instskip(NEXT) | instid1(TRANS32_DEP_2)
	v_add_f32_e32 v73, v73, v81
	v_cndmask_b32_e64 v83, 0, v77, s5
	s_delay_alu instid0(VALU_DEP_2) | instskip(SKIP_3) | instid1(VALU_DEP_1)
	v_add_f32_e32 v73, v73, v80
	s_waitcnt_depctr 0xfff
	v_cndmask_b32_e64 v82, 0, v72, s6
	v_add_f32_e32 v72, v73, v83
	v_add_f32_e32 v72, v72, v82
	s_delay_alu instid0(VALU_DEP_1)
	v_add_f32_e32 v72, v72, v85
	v_fma_f32 v76, s19, v111, -v71
	v_fma_f32 v75, s19, v142, -v71
	;; [unrolled: 1-line block ×5, first 2 shown]
	s_delay_alu instid0(VALU_DEP_4) | instskip(NEXT) | instid1(VALU_DEP_3)
	v_dual_mul_f32 v76, 0x3fb8aa3b, v76 :: v_dual_mul_f32 v75, 0x3fb8aa3b, v75
	v_mul_f32_e32 v86, 0x3fb8aa3b, v86
	s_delay_alu instid0(VALU_DEP_2) | instskip(NEXT) | instid1(VALU_DEP_2)
	v_exp_f32_e32 v76, v76
	v_exp_f32_e32 v75, v75
	s_delay_alu instid0(VALU_DEP_1) | instskip(NEXT) | instid1(TRANS32_DEP_3)
	v_exp_f32_e32 v88, v86
	v_cndmask_b32_e64 v87, 0, v76, s9
	v_fma_f32 v76, s19, v116, -v71
	v_mul_f32_e32 v77, 0x3fb8aa3b, v77
	s_waitcnt_depctr 0xfff
	v_cndmask_b32_e64 v84, 0, v75, s8
	v_fma_f32 v75, s19, v115, -v71
	v_cndmask_b32_e64 v88, 0, v88, s12
	v_mul_f32_e32 v76, 0x3fb8aa3b, v76
	v_exp_f32_e32 v77, v77
	v_add_f32_e32 v72, v72, v84
	s_delay_alu instid0(VALU_DEP_2) | instskip(NEXT) | instid1(VALU_DEP_1)
	v_exp_f32_e32 v76, v76
	v_add_f32_e32 v72, v72, v87
	s_waitcnt_depctr 0xfff
	v_cndmask_b32_e64 v86, 0, v77, s10
	v_mul_f32_e32 v73, 0x3fb8aa3b, v73
	v_fma_f32 v77, s19, v117, -v71
	v_cndmask_b32_e64 v90, 0, v76, s15
	s_delay_alu instid0(VALU_DEP_4) | instskip(NEXT) | instid1(VALU_DEP_4)
	v_add_f32_e32 v72, v72, v86
	v_exp_f32_e32 v73, v73
	s_waitcnt_depctr 0xfff
	v_cndmask_b32_e64 v89, 0, v73, s11
	s_delay_alu instid0(VALU_DEP_1) | instskip(NEXT) | instid1(VALU_DEP_1)
	v_dual_mul_f32 v75, 0x3fb8aa3b, v75 :: v_dual_add_f32 v72, v72, v89
	v_exp_f32_e32 v75, v75
	v_mul_f32_e32 v73, 0x3fb8aa3b, v77
	v_fma_f32 v77, s19, v118, -v71
	s_delay_alu instid0(VALU_DEP_3) | instskip(NEXT) | instid1(VALU_DEP_3)
	v_add_f32_e32 v72, v72, v88
	v_exp_f32_e32 v73, v73
	s_waitcnt_depctr 0xfff
	v_cndmask_b32_e64 v91, 0, v75, s13
	s_delay_alu instid0(VALU_DEP_1) | instskip(NEXT) | instid1(VALU_DEP_1)
	v_dual_mul_f32 v75, 0x3fb8aa3b, v77 :: v_dual_add_f32 v72, v72, v91
	v_exp_f32_e32 v75, v75
	v_cndmask_b32_e64 v93, 0, v73, s16
	s_delay_alu instid0(VALU_DEP_2) | instskip(NEXT) | instid1(VALU_DEP_1)
	v_add_f32_e32 v72, v72, v90
	v_add_f32_e32 v72, v72, v93
	s_waitcnt_depctr 0xfff
	v_cndmask_b32_e64 v92, 0, v75, s17
	s_delay_alu instid0(VALU_DEP_1)
	v_add_f32_e32 v72, v72, v92
	ds_bpermute_b32 v73, v74, v72
	s_and_saveexec_b32 s3, s2
	s_cbranch_execz .LBB1058_12
; %bb.11:
	v_mul_u32_u24_e32 v70, 0x44, v69
	s_waitcnt lgkmcnt(0)
	v_add_f32_e32 v72, v72, v73
	s_delay_alu instid0(VALU_DEP_2) | instskip(NEXT) | instid1(VALU_DEP_1)
	v_lshl_add_u32 v70, v68, 2, v70
	v_add_nc_u32_e32 v70, 0x4000, v70
	ds_store_2addr_b32 v70, v71, v72 offset1:136
.LBB1058_12:
	s_or_b32 exec_lo, exec_lo, s3
	v_lshlrev_b32_e32 v70, 2, v68
	s_load_b32 s35, s[0:1], 0x94
	s_waitcnt lgkmcnt(0)
	s_barrier
	buffer_gl0_inv
	v_add_nc_u32_e32 v98, 0x4000, v70
	v_cmp_eq_u32_e32 vcc_lo, 1, v69
	v_cmp_eq_u32_e64 s3, 2, v69
	v_cmp_eq_u32_e64 s4, 3, v69
	;; [unrolled: 1-line block ×3, first 2 shown]
	ds_load_2addr_b32 v[70:71], v98 offset1:17
	ds_load_2addr_b32 v[72:73], v98 offset0:34 offset1:51
	ds_load_2addr_b32 v[74:75], v98 offset0:68 offset1:85
	ds_load_2addr_b32 v[94:95], v98 offset0:102 offset1:119
	v_cmp_eq_u32_e64 s6, 5, v69
	v_cmp_eq_u32_e64 s7, 7, v69
	s_waitcnt lgkmcnt(3)
	v_max3_f32 v76, v70, 0xff7fffff, v71
	s_waitcnt lgkmcnt(2)
	s_delay_alu instid0(VALU_DEP_1) | instskip(SKIP_1) | instid1(VALU_DEP_1)
	v_max3_f32 v76, v76, v72, v73
	s_waitcnt lgkmcnt(1)
	v_max3_f32 v76, v76, v74, v75
	s_waitcnt lgkmcnt(0)
	s_delay_alu instid0(VALU_DEP_1) | instskip(NEXT) | instid1(VALU_DEP_1)
	v_max3_f32 v76, v76, v94, v95
	v_sub_f32_e32 v77, v71, v76
	ds_load_2addr_b32 v[96:97], v98 offset0:136 offset1:153
	v_sub_f32_e32 v74, v74, v76
	v_sub_f32_e32 v70, v70, v76
	;; [unrolled: 1-line block ×3, first 2 shown]
	v_dual_sub_f32 v72, v72, v76 :: v_dual_mul_f32 v77, 0x3fb8aa3b, v77
	s_delay_alu instid0(VALU_DEP_4) | instskip(NEXT) | instid1(VALU_DEP_4)
	v_mul_f32_e32 v103, 0x3fb8aa3b, v74
	v_mul_f32_e32 v99, 0x3fb8aa3b, v70
	ds_load_2addr_b32 v[70:71], v98 offset0:170 offset1:187
	v_dual_mul_f32 v101, 0x3fb8aa3b, v72 :: v_dual_mul_f32 v94, 0x3fb8aa3b, v94
	v_exp_f32_e32 v102, v77
	v_exp_f32_e32 v99, v99
	s_delay_alu instid0(VALU_DEP_1) | instskip(NEXT) | instid1(VALU_DEP_1)
	v_exp_f32_e32 v101, v101
	v_exp_f32_e32 v94, v94
	s_waitcnt lgkmcnt(1)
	s_delay_alu instid0(TRANS32_DEP_3)
	v_fma_f32 v77, v99, v96, 0
	v_sub_f32_e32 v100, v73, v76
	ds_load_2addr_b32 v[72:73], v98 offset0:204 offset1:221
	v_fmac_f32_e32 v77, v102, v97
	v_exp_f32_e32 v97, v103
	s_waitcnt lgkmcnt(1)
	s_delay_alu instid0(VALU_DEP_1)
	v_dual_fmac_f32 v77, v101, v70 :: v_dual_sub_f32 v96, v75, v76
	ds_load_2addr_b32 v[74:75], v98 offset0:238 offset1:255
	v_sub_f32_e32 v70, v95, v76
	s_waitcnt lgkmcnt(0)
	s_barrier
	v_mul_f32_e32 v96, 0x3fb8aa3b, v96
	buffer_gl0_inv
	v_exp_f32_e32 v95, v96
	v_mul_f32_e32 v100, 0x3fb8aa3b, v100
	s_delay_alu instid0(VALU_DEP_1) | instskip(SKIP_3) | instid1(VALU_DEP_2)
	v_exp_f32_e32 v100, v100
	s_waitcnt_depctr 0xfff
	v_dual_fmac_f32 v77, v100, v71 :: v_dual_mul_f32 v70, 0x3fb8aa3b, v70
	v_cndmask_b32_e32 v71, v99, v102, vcc_lo
	v_fmac_f32_e32 v77, v97, v72
	s_delay_alu instid0(VALU_DEP_3) | instskip(NEXT) | instid1(VALU_DEP_1)
	v_exp_f32_e32 v96, v70
	v_fmac_f32_e32 v77, v95, v73
	s_delay_alu instid0(VALU_DEP_1) | instskip(SKIP_2) | instid1(VALU_DEP_1)
	v_fmac_f32_e32 v77, v94, v74
	s_waitcnt_depctr 0xfff
	v_fmac_f32_e32 v77, v96, v75
	v_add_f32_e32 v74, 0x358637bd, v77
	s_delay_alu instid0(VALU_DEP_1) | instskip(SKIP_1) | instid1(VALU_DEP_2)
	v_div_scale_f32 v98, null, v74, v74, 1.0
	v_div_scale_f32 v99, vcc_lo, 1.0, v74, 1.0
	v_rcp_f32_e32 v103, v98
	s_waitcnt_depctr 0xfff
	v_fma_f32 v70, -v98, v103, 1.0
	s_delay_alu instid0(VALU_DEP_1) | instskip(SKIP_2) | instid1(VALU_DEP_2)
	v_fmac_f32_e32 v103, v70, v103
	v_cndmask_b32_e64 v70, v71, v101, s3
	v_cmp_eq_u32_e64 s3, 6, v69
	v_cndmask_b32_e64 v71, v70, v100, s4
	s_delay_alu instid0(VALU_DEP_4) | instskip(NEXT) | instid1(VALU_DEP_2)
	v_dual_mul_f32 v101, v99, v103 :: v_dual_lshlrev_b32 v70, 2, v66
	v_cndmask_b32_e64 v71, v71, v97, s5
	s_delay_alu instid0(VALU_DEP_2) | instskip(NEXT) | instid1(VALU_DEP_3)
	v_or_b32_e32 v72, 1, v70
	v_fma_f32 v100, -v98, v101, v99
	v_cmp_eq_u32_e64 s4, 1, v70
	v_cmp_eq_u32_e64 s5, 2, v70
	v_cndmask_b32_e64 v95, v71, v95, s6
	v_or_b32_e32 v71, 3, v70
	v_fmac_f32_e32 v101, v100, v103
	v_cmp_eq_u32_e64 s9, 1, v72
	v_cmp_eq_u32_e64 s12, 2, v72
	v_cndmask_b32_e64 v94, v95, v94, s3
	v_cmp_eq_u32_e64 s11, 1, v71
	v_fma_f32 v97, -v98, v101, v99
	v_cmp_eq_u32_e64 s16, 2, v71
	v_cmp_eq_u32_e64 s13, 3, v72
	v_cndmask_b32_e64 v94, v94, v96, s7
	v_cmp_eq_u32_e64 s18, 3, v71
	v_div_fmas_f32 v95, v97, v103, v101
	v_cmp_eq_u32_e32 vcc_lo, 3, v70
	v_cmp_eq_u32_e64 s3, 4, v70
	v_cmp_eq_u32_e64 s19, 4, v72
	;; [unrolled: 1-line block ×3, first 2 shown]
	v_div_fixup_f32 v95, v95, v74, 1.0
	v_lshlrev_b32_e32 v73, 6, v68
	v_cmp_eq_u32_e64 s6, 5, v70
	v_cmp_eq_u32_e64 s20, 5, v72
	;; [unrolled: 1-line block ×3, first 2 shown]
	v_mul_f32_e32 v102, v94, v95
	v_lshl_or_b32 v75, v69, 11, v73
	v_or_b32_e32 v69, 2, v70
	v_cmp_eq_u32_e64 s25, 6, v72
	v_cmp_eq_u32_e64 s27, 6, v71
	v_fma_mixlo_f16 v94, v102, v79, 0
	v_fma_mixlo_f16 v95, v102, v81, 0
	;; [unrolled: 1-line block ×8, first 2 shown]
	v_lshl_or_b32 v74, v66, 4, v75
	v_fma_mixhi_f16 v94, v102, v78, 0
	v_fma_mixhi_f16 v95, v102, v80, 0
	;; [unrolled: 1-line block ×8, first 2 shown]
	ds_store_b128 v74, v[94:97]
	ds_store_b128 v74, v[98:101] offset:1024
	s_waitcnt lgkmcnt(0)
	s_barrier
	buffer_gl0_inv
	ds_load_b128 v[78:81], v75
	ds_load_b128 v[82:85], v75 offset:16
	ds_load_b128 v[86:89], v75 offset:1024
	;; [unrolled: 1-line block ×3, first 2 shown]
	v_cmp_eq_u32_e64 s10, 1, v69
	v_cmp_eq_u32_e64 s15, 2, v69
	v_cmp_eq_u32_e64 s17, 3, v69
	v_cmp_eq_u32_e64 s21, 4, v69
	v_cmp_eq_u32_e64 s23, 5, v69
	v_cmp_eq_u32_e64 s7, 6, v70
	v_cmp_eq_u32_e64 s26, 6, v69
	v_cmp_eq_u32_e64 s29, 7, v71
	v_cmp_eq_u32_e64 s30, 7, v72
	v_cmp_eq_u32_e64 s8, 7, v70
	v_cmp_eq_u32_e64 s28, 7, v69
	s_waitcnt lgkmcnt(3)
	v_lshrrev_b32_e32 v94, 16, v78
	s_waitcnt lgkmcnt(2)
	v_lshrrev_b32_e32 v98, 16, v82
	;; [unrolled: 2-line block ×4, first 2 shown]
	v_lshrrev_b32_e32 v95, 16, v79
	v_cndmask_b32_e64 v110, v78, v94, s4
	v_cndmask_b32_e64 v111, v82, v98, s4
	;; [unrolled: 1-line block ×8, first 2 shown]
	v_lshrrev_b32_e32 v99, 16, v83
	v_cndmask_b32_e64 v94, v86, v102, s4
	v_cndmask_b32_e64 v98, v90, v106, s4
	;; [unrolled: 1-line block ×15, first 2 shown]
	v_lshrrev_b32_e32 v103, 16, v87
	v_lshrrev_b32_e32 v107, 16, v91
	v_cndmask_b32_e64 v113, v115, v83, s15
	v_cndmask_b32_e64 v82, v94, v87, s5
	;; [unrolled: 1-line block ×7, first 2 shown]
	v_cndmask_b32_e32 v90, v102, v95, vcc_lo
	v_cndmask_b32_e32 v102, v106, v99, vcc_lo
	v_cndmask_b32_e64 v106, v110, v95, s13
	v_cndmask_b32_e64 v110, v111, v99, s13
	;; [unrolled: 1-line block ×4, first 2 shown]
	v_lshrrev_b32_e32 v96, 16, v80
	v_lshrrev_b32_e32 v100, 16, v84
	v_cndmask_b32_e64 v111, v112, v95, s17
	v_cndmask_b32_e64 v112, v113, v99, s17
	v_cndmask_b32_e32 v82, v82, v103, vcc_lo
	v_cndmask_b32_e32 v83, v83, v107, vcc_lo
	v_cndmask_b32_e64 v94, v94, v103, s13
	v_cndmask_b32_e64 v90, v90, v80, s3
	v_cndmask_b32_e64 v95, v102, v84, s3
	v_cndmask_b32_e64 v99, v106, v80, s19
	v_cndmask_b32_e64 v102, v110, v84, s19
	v_cndmask_b32_e64 v78, v78, v80, s22
	v_cndmask_b32_e64 v79, v79, v84, s22
	v_lshrrev_b32_e32 v104, 16, v88
	v_cndmask_b32_e64 v106, v111, v80, s21
	v_cndmask_b32_e64 v110, v112, v84, s21
	;; [unrolled: 1-line block ×11, first 2 shown]
	v_lshrrev_b32_e32 v97, 16, v81
	v_lshrrev_b32_e32 v101, 16, v85
	v_cndmask_b32_e64 v99, v106, v96, s23
	v_cndmask_b32_e64 v102, v110, v100, s23
	;; [unrolled: 1-line block ×7, first 2 shown]
	v_lshrrev_b32_e32 v105, 16, v89
	v_cndmask_b32_e64 v80, v80, v104, s6
	v_cndmask_b32_e64 v84, v84, v81, s7
	v_cndmask_b32_e64 v90, v90, v85, s7
	v_cndmask_b32_e64 v96, v99, v81, s26
	v_cndmask_b32_e64 v99, v102, v85, s26
	v_cndmask_b32_e64 v81, v83, v89, s25
	v_cndmask_b32_e64 v85, v94, v97, s30
	v_cndmask_b32_e64 v78, v78, v97, s29
	v_cndmask_b32_e64 v79, v79, v101, s29
	v_cndmask_b32_e64 v95, v95, v101, s30
	v_cndmask_b32_e64 v80, v80, v89, s7
	v_cndmask_b32_e64 v83, v84, v97, s8
	v_cndmask_b32_e64 v84, v90, v101, s8
	v_cndmask_b32_e64 v90, v96, v97, s28
	v_cndmask_b32_e64 v94, v99, v101, s28
	v_cndmask_b32_e64 v97, v81, v105, s30
	v_perm_b32 v81, v79, v78, 0x5040100
	v_perm_b32 v79, v95, v85, 0x5040100
	v_cndmask_b32_e64 v78, v119, v91, s15
	v_cndmask_b32_e64 v85, v117, v91, s12
	;; [unrolled: 1-line block ×3, first 2 shown]
	v_perm_b32 v80, v94, v90, 0x5040100
	v_cndmask_b32_e64 v90, v98, v103, s17
	v_cndmask_b32_e64 v86, v86, v103, s18
	;; [unrolled: 1-line block ×5, first 2 shown]
	v_lshrrev_b32_e32 v108, 16, v92
	v_cndmask_b32_e64 v90, v90, v88, s21
	v_cndmask_b32_e64 v86, v86, v88, s22
	;; [unrolled: 1-line block ×11, first 2 shown]
	v_lshrrev_b32_e32 v109, 16, v93
	v_cndmask_b32_e64 v82, v82, v93, s7
	v_cndmask_b32_e64 v88, v88, v89, s26
	v_cndmask_b32_e64 v86, v86, v89, s27
	v_cndmask_b32_e64 v87, v87, v93, s27
	v_cndmask_b32_e64 v78, v78, v93, s26
	v_cndmask_b32_e64 v85, v85, v93, s25
	v_cndmask_b32_e64 v88, v88, v105, s28
	v_cndmask_b32_e64 v86, v86, v105, s29
	v_cndmask_b32_e64 v87, v87, v109, s29
	v_cndmask_b32_e64 v89, v78, v109, s28
	v_cndmask_b32_e64 v90, v85, v109, s30
	v_cndmask_b32_e64 v82, v82, v109, s8
	v_perm_b32 v78, v84, v83, 0x5040100
	v_perm_b32 v85, v87, v86, 0x5040100
	;; [unrolled: 1-line block ×5, first 2 shown]
	s_mul_i32 s8, s33, 9
	s_mov_b32 s3, exec_lo
	ds_store_b128 v74, v[78:81]
	ds_store_b128 v74, v[82:85] offset:1024
	v_cmpx_gt_u32_e32 9, v0
	s_cbranch_execz .LBB1058_14
; %bb.13:
	s_mul_i32 s4, s8, s34
	s_delay_alu instid0(SALU_CYCLE_1) | instskip(SKIP_1) | instid1(VALU_DEP_1)
	v_add3_u32 v68, s4, s31, v68
	s_load_b128 s[4:7], s[0:1], 0x58
	v_mad_u64_u32 v[78:79], null, v68, s35, s[14:15]
	s_delay_alu instid0(VALU_DEP_1) | instskip(NEXT) | instid1(VALU_DEP_1)
	v_ashrrev_i32_e32 v79, 31, v78
	v_lshlrev_b64 v[78:79], 2, v[78:79]
	s_waitcnt lgkmcnt(0)
	s_delay_alu instid0(VALU_DEP_1) | instskip(NEXT) | instid1(VALU_DEP_2)
	v_add_co_u32 v80, vcc_lo, s6, v78
	v_add_co_ci_u32_e32 v81, vcc_lo, s7, v79, vcc_lo
	v_add_co_u32 v78, vcc_lo, s4, v78
	v_add_co_ci_u32_e32 v79, vcc_lo, s5, v79, vcc_lo
	global_store_b32 v[80:81], v76, off
	global_store_b32 v[78:79], v77, off
.LBB1058_14:
	s_or_b32 exec_lo, exec_lo, s3
	s_waitcnt lgkmcnt(0)
	s_waitcnt_vscnt null, 0x0
	s_barrier
	buffer_gl0_inv
	ds_load_b128 v[84:87], v73
	ds_load_b128 v[88:91], v73 offset:16
	ds_load_b128 v[96:99], v73 offset:2064
	;; [unrolled: 1-line block ×5, first 2 shown]
	v_cmp_eq_u32_e32 vcc_lo, 1, v70
	v_mov_b32_e32 v76, 0
	ds_load_b128 v[112:115], v73 offset:6160
	ds_load_b128 v[108:111], v73 offset:6144
	;; [unrolled: 1-line block ×4, first 2 shown]
	v_cmp_eq_u32_e64 s4, 1, v69
	v_cmp_eq_u32_e64 s3, 1, v72
	v_cmp_eq_u32_e64 s5, 2, v72
	v_mov_b32_e32 v77, v76
	v_mov_b32_e32 v78, v76
	;; [unrolled: 1-line block ×7, first 2 shown]
	v_cmp_eq_u32_e64 s6, 3, v72
	v_cmp_eq_u32_e64 s7, 7, v72
	s_waitcnt lgkmcnt(8)
	s_delay_alu instid0(VALU_DEP_3)
	v_wmma_f32_16x16x16_f16 v[76:83], v[49:56], v[84:91], v[76:83]
	ds_load_b128 v[53:56], v73 offset:10256
	ds_load_b128 v[49:52], v73 offset:10240
	s_waitcnt lgkmcnt(8)
	v_wmma_f32_16x16x16_f16 v[76:83], v[41:48], v[92:99], v[76:83]
	ds_load_b128 v[45:48], v73 offset:12304
	ds_load_b128 v[41:44], v73 offset:12288
	s_waitcnt lgkmcnt(8)
	;; [unrolled: 4-line block ×3, first 2 shown]
	s_barrier
	buffer_gl0_inv
	v_wmma_f32_16x16x16_f16 v[76:83], v[1:8], v[108:115], v[76:83]
	s_delay_alu instid0(VALU_DEP_1) | instskip(NEXT) | instid1(VALU_DEP_1)
	v_wmma_f32_16x16x16_f16 v[76:83], v[9:16], v[116:123], v[76:83]
	v_wmma_f32_16x16x16_f16 v[76:83], v[17:24], v[49:56], v[76:83]
	s_delay_alu instid0(VALU_DEP_1) | instskip(NEXT) | instid1(VALU_DEP_1)
	v_wmma_f32_16x16x16_f16 v[76:83], v[25:32], v[41:48], v[76:83]
	v_wmma_f32_16x16x16_f16 v[76:83], v[57:64], v[33:40], v[76:83]
	s_delay_alu instid0(VALU_DEP_1) | instskip(NEXT) | instid1(VALU_DEP_2)
	v_cvt_f16_f32_e32 v1, v76
	v_cvt_f16_f32_e32 v2, v77
	s_delay_alu instid0(VALU_DEP_3) | instskip(NEXT) | instid1(VALU_DEP_4)
	v_cvt_f16_f32_e32 v3, v78
	v_cvt_f16_f32_e32 v4, v79
	;; [unrolled: 1-line block ×6, first 2 shown]
	v_pack_b32_f16 v1, v1, v2
	v_pack_b32_f16 v2, v3, v4
	v_pack_b32_f16 v3, v5, v6
	s_delay_alu instid0(VALU_DEP_4)
	v_pack_b32_f16 v4, v7, v8
	ds_store_b128 v74, v[1:4]
	s_waitcnt lgkmcnt(0)
	s_barrier
	buffer_gl0_inv
	ds_load_b128 v[1:4], v75
	ds_load_b128 v[5:8], v75 offset:16
	s_waitcnt lgkmcnt(1)
	v_lshrrev_b32_e32 v9, 16, v1
	s_waitcnt lgkmcnt(0)
	v_lshrrev_b32_e32 v13, 16, v5
	v_lshrrev_b32_e32 v10, 16, v2
	;; [unrolled: 1-line block ×4, first 2 shown]
	v_cndmask_b32_e32 v17, v1, v9, vcc_lo
	v_cndmask_b32_e32 v18, v5, v13, vcc_lo
	v_cndmask_b32_e64 v21, v1, v9, s4
	v_cmp_eq_u32_e32 vcc_lo, 1, v71
	v_cndmask_b32_e64 v22, v5, v13, s4
	v_cmp_eq_u32_e64 s4, 2, v70
	v_cndmask_b32_e64 v19, v1, v9, s3
	v_cndmask_b32_e64 v20, v5, v13, s3
	v_cndmask_b32_e32 v1, v1, v9, vcc_lo
	v_cmp_eq_u32_e64 s3, 2, v71
	v_cndmask_b32_e32 v5, v5, v13, vcc_lo
	v_cndmask_b32_e64 v9, v17, v2, s4
	v_cmp_eq_u32_e32 vcc_lo, 3, v70
	v_cndmask_b32_e64 v13, v18, v6, s4
	v_cmp_eq_u32_e64 s4, 2, v69
	v_cndmask_b32_e64 v17, v19, v2, s5
	v_cndmask_b32_e64 v18, v20, v6, s5
	v_cmp_eq_u32_e64 s5, 3, v69
	v_cndmask_b32_e64 v1, v1, v2, s3
	v_cndmask_b32_e64 v19, v21, v2, s4
	;; [unrolled: 1-line block ×4, first 2 shown]
	v_cndmask_b32_e32 v5, v9, v10, vcc_lo
	v_cndmask_b32_e32 v6, v13, v14, vcc_lo
	v_cmp_eq_u32_e32 vcc_lo, 3, v71
	v_cndmask_b32_e64 v9, v17, v10, s6
	v_cndmask_b32_e64 v13, v18, v14, s6
	;; [unrolled: 1-line block ×3, first 2 shown]
	v_cmp_eq_u32_e64 s4, 4, v70
	v_cndmask_b32_e32 v1, v1, v10, vcc_lo
	v_cndmask_b32_e32 v2, v2, v14, vcc_lo
	v_cmp_eq_u32_e32 vcc_lo, 4, v72
	v_lshrrev_b32_e32 v15, 16, v7
	v_lshrrev_b32_e32 v16, 16, v8
	v_cndmask_b32_e64 v17, v19, v10, s5
	v_cmp_eq_u32_e64 s3, 4, v71
	v_cndmask_b32_e64 v5, v5, v3, s4
	v_cndmask_b32_e64 v6, v6, v7, s4
	v_cndmask_b32_e32 v9, v9, v3, vcc_lo
	v_cmp_eq_u32_e64 s4, 5, v72
	v_cndmask_b32_e32 v10, v13, v7, vcc_lo
	v_cmp_eq_u32_e32 vcc_lo, 4, v69
	v_cmp_eq_u32_e64 s5, 5, v70
	v_cndmask_b32_e64 v2, v2, v7, s3
	v_cndmask_b32_e64 v9, v9, v11, s4
	;; [unrolled: 1-line block ×3, first 2 shown]
	v_cndmask_b32_e32 v13, v17, v3, vcc_lo
	v_cmp_eq_u32_e64 s4, 5, v69
	v_cndmask_b32_e32 v14, v18, v7, vcc_lo
	v_cndmask_b32_e64 v1, v1, v3, s3
	v_cmp_eq_u32_e32 vcc_lo, 5, v71
	v_lshrrev_b32_e32 v12, 16, v4
	v_cndmask_b32_e64 v13, v13, v11, s4
	v_cndmask_b32_e64 v3, v14, v15, s4
	v_cmp_eq_u32_e64 s4, 6, v71
	v_cndmask_b32_e32 v1, v1, v11, vcc_lo
	v_cndmask_b32_e64 v5, v5, v11, s5
	v_cmp_eq_u32_e64 s6, 6, v70
	v_cndmask_b32_e64 v6, v6, v15, s5
	v_cmp_eq_u32_e64 s5, 6, v72
	v_cmp_eq_u32_e64 s3, 6, v69
	v_cndmask_b32_e64 v1, v1, v4, s4
	v_cndmask_b32_e32 v2, v2, v15, vcc_lo
	v_cmp_eq_u32_e32 vcc_lo, 7, v71
	v_cndmask_b32_e64 v5, v5, v4, s6
	v_cndmask_b32_e64 v9, v9, v4, s5
	;; [unrolled: 1-line block ×3, first 2 shown]
	v_cmp_eq_u32_e64 s6, 7, v70
	v_cndmask_b32_e32 v1, v1, v12, vcc_lo
	v_cndmask_b32_e64 v7, v13, v4, s3
	v_cndmask_b32_e64 v3, v3, v8, s3
	;; [unrolled: 1-line block ×3, first 2 shown]
	v_cmp_eq_u32_e64 s3, 7, v69
	v_cndmask_b32_e64 v4, v10, v8, s5
	v_cndmask_b32_e64 v5, v5, v12, s6
	;; [unrolled: 1-line block ×3, first 2 shown]
	v_cndmask_b32_e32 v2, v2, v16, vcc_lo
	v_cndmask_b32_e64 v7, v7, v12, s3
	v_cndmask_b32_e64 v3, v3, v16, s3
	;; [unrolled: 1-line block ×4, first 2 shown]
	v_perm_b32 v4, v2, v1, 0x5040100
	s_mov_b32 s3, exec_lo
	v_perm_b32 v3, v3, v7, 0x5040100
	v_perm_b32 v2, v8, v9, 0x5040100
	;; [unrolled: 1-line block ×3, first 2 shown]
	ds_store_b128 v74, v[1:4]
	s_waitcnt lgkmcnt(0)
	s_barrier
	buffer_gl0_inv
	v_cmpx_gt_u32_e32 32, v0
	s_cbranch_execz .LBB1058_2
; %bb.15:
	s_load_b64 s[4:5], s[0:1], 0x68
	v_lshlrev_b32_e32 v0, 10, v0
	v_lshlrev_b32_e32 v1, 4, v67
	s_lshl_b32 s0, s35, 7
	v_add_nc_u32_e32 v2, s31, v66
	s_mul_i32 s1, s0, s34
	s_delay_alu instid0(SALU_CYCLE_1) | instskip(SKIP_1) | instid1(VALU_DEP_2)
	s_mul_i32 s6, s1, s8
	v_and_or_b32 v0, 0x3800, v0, v1
	v_mul_lo_u32 v1, v2, s0
	s_ashr_i32 s7, s6, 31
	v_add_nc_u32_e32 v3, 2, v2
	s_lshl_b64 s[6:7], s[6:7], 1
	v_add_nc_u32_e32 v4, 4, v2
	v_add_nc_u32_e32 v5, 6, v2
	v_lshl_or_b32 v15, v66, 6, v0
	v_mul_lo_u32 v3, v3, s0
	v_ashrrev_i32_e32 v2, 31, v1
	v_mul_lo_u32 v19, v4, s0
	v_mul_lo_u32 v21, v5, s0
	s_waitcnt lgkmcnt(0)
	s_add_u32 s1, s4, s6
	s_addc_u32 s3, s5, s7
	s_lshl_b32 s4, s14, 7
	v_lshlrev_b64 v[5:6], 1, v[1:2]
	s_ashr_i32 s5, s4, 31
	v_ashrrev_i32_e32 v4, 31, v3
	s_lshl_b64 s[4:5], s[4:5], 1
	v_ashrrev_i32_e32 v20, 31, v19
	s_add_u32 s1, s1, s4
	s_addc_u32 s3, s3, s5
	v_add_co_u32 v1, s1, s1, v65
	s_delay_alu instid0(VALU_DEP_1) | instskip(SKIP_1) | instid1(VALU_DEP_3)
	v_add_co_ci_u32_e64 v2, null, s3, 0, s1
	v_lshlrev_b64 v[25:26], 1, v[3:4]
	v_add_co_u32 v23, vcc_lo, v1, v5
	s_delay_alu instid0(VALU_DEP_3)
	v_add_co_ci_u32_e32 v24, vcc_lo, v2, v6, vcc_lo
	ds_load_b128 v[3:6], v15
	ds_load_b128 v[7:10], v15 offset:128
	ds_load_b128 v[11:14], v15 offset:256
	;; [unrolled: 1-line block ×3, first 2 shown]
	v_ashrrev_i32_e32 v22, 31, v21
	v_lshlrev_b64 v[19:20], 1, v[19:20]
	v_add_co_u32 v25, vcc_lo, v1, v25
	v_add_co_ci_u32_e32 v26, vcc_lo, v2, v26, vcc_lo
	s_delay_alu instid0(VALU_DEP_4) | instskip(NEXT) | instid1(VALU_DEP_4)
	v_lshlrev_b64 v[21:22], 1, v[21:22]
	v_add_co_u32 v19, vcc_lo, v1, v19
	v_add_co_ci_u32_e32 v20, vcc_lo, v2, v20, vcc_lo
	s_delay_alu instid0(VALU_DEP_3) | instskip(NEXT) | instid1(VALU_DEP_4)
	v_add_co_u32 v21, vcc_lo, v1, v21
	v_add_co_ci_u32_e32 v22, vcc_lo, v2, v22, vcc_lo
	s_waitcnt lgkmcnt(3)
	global_store_b128 v[23:24], v[3:6], off
	s_waitcnt lgkmcnt(2)
	global_store_b128 v[25:26], v[7:10], off
	;; [unrolled: 2-line block ×4, first 2 shown]
	s_and_b32 exec_lo, exec_lo, s2
	s_cbranch_execz .LBB1058_2
; %bb.16:
	ds_load_b128 v[3:6], v0 offset:512
	s_add_i32 s1, s31, 8
	s_delay_alu instid0(SALU_CYCLE_1) | instskip(NEXT) | instid1(SALU_CYCLE_1)
	s_mul_i32 s0, s1, s0
	s_ashr_i32 s1, s0, 31
	s_delay_alu instid0(SALU_CYCLE_1) | instskip(NEXT) | instid1(SALU_CYCLE_1)
	s_lshl_b64 s[0:1], s[0:1], 1
	v_add_co_u32 v0, vcc_lo, v1, s0
	v_add_co_ci_u32_e32 v1, vcc_lo, s1, v2, vcc_lo
	s_waitcnt lgkmcnt(0)
	global_store_b128 v[0:1], v[3:6], off
	s_nop 0
	s_sendmsg sendmsg(MSG_DEALLOC_VGPRS)
	s_endpgm
	.section	.rodata,"a",@progbits
	.p2align	6, 0x0
	.amdhsa_kernel _Z39paged_attention_ll4mi_QKV_mfma16_kernelIDF16_hLN4vllm18Fp8KVCacheDataTypeE1EDF16_Li32ELi128ELi256ELb1ELi9EL8MFMAType1EEvPKT_PKT0_S8_ifPKiSA_SA_iPKfiiiPfSD_PS3_PT2_iSC_SC_
		.amdhsa_group_segment_fixed_size 17472
		.amdhsa_private_segment_fixed_size 0
		.amdhsa_kernarg_size 400
		.amdhsa_user_sgpr_count 13
		.amdhsa_user_sgpr_dispatch_ptr 0
		.amdhsa_user_sgpr_queue_ptr 0
		.amdhsa_user_sgpr_kernarg_segment_ptr 1
		.amdhsa_user_sgpr_dispatch_id 0
		.amdhsa_user_sgpr_private_segment_size 0
		.amdhsa_wavefront_size32 1
		.amdhsa_uses_dynamic_stack 0
		.amdhsa_enable_private_segment 0
		.amdhsa_system_sgpr_workgroup_id_x 1
		.amdhsa_system_sgpr_workgroup_id_y 1
		.amdhsa_system_sgpr_workgroup_id_z 1
		.amdhsa_system_sgpr_workgroup_info 0
		.amdhsa_system_vgpr_workitem_id 0
		.amdhsa_next_free_vgpr 150
		.amdhsa_next_free_sgpr 37
		.amdhsa_reserve_vcc 1
		.amdhsa_float_round_mode_32 0
		.amdhsa_float_round_mode_16_64 0
		.amdhsa_float_denorm_mode_32 3
		.amdhsa_float_denorm_mode_16_64 3
		.amdhsa_dx10_clamp 1
		.amdhsa_ieee_mode 1
		.amdhsa_fp16_overflow 0
		.amdhsa_workgroup_processor_mode 1
		.amdhsa_memory_ordered 1
		.amdhsa_forward_progress 0
		.amdhsa_shared_vgpr_count 0
		.amdhsa_exception_fp_ieee_invalid_op 0
		.amdhsa_exception_fp_denorm_src 0
		.amdhsa_exception_fp_ieee_div_zero 0
		.amdhsa_exception_fp_ieee_overflow 0
		.amdhsa_exception_fp_ieee_underflow 0
		.amdhsa_exception_fp_ieee_inexact 0
		.amdhsa_exception_int_div_zero 0
	.end_amdhsa_kernel
	.section	.text._Z39paged_attention_ll4mi_QKV_mfma16_kernelIDF16_hLN4vllm18Fp8KVCacheDataTypeE1EDF16_Li32ELi128ELi256ELb1ELi9EL8MFMAType1EEvPKT_PKT0_S8_ifPKiSA_SA_iPKfiiiPfSD_PS3_PT2_iSC_SC_,"axG",@progbits,_Z39paged_attention_ll4mi_QKV_mfma16_kernelIDF16_hLN4vllm18Fp8KVCacheDataTypeE1EDF16_Li32ELi128ELi256ELb1ELi9EL8MFMAType1EEvPKT_PKT0_S8_ifPKiSA_SA_iPKfiiiPfSD_PS3_PT2_iSC_SC_,comdat
.Lfunc_end1058:
	.size	_Z39paged_attention_ll4mi_QKV_mfma16_kernelIDF16_hLN4vllm18Fp8KVCacheDataTypeE1EDF16_Li32ELi128ELi256ELb1ELi9EL8MFMAType1EEvPKT_PKT0_S8_ifPKiSA_SA_iPKfiiiPfSD_PS3_PT2_iSC_SC_, .Lfunc_end1058-_Z39paged_attention_ll4mi_QKV_mfma16_kernelIDF16_hLN4vllm18Fp8KVCacheDataTypeE1EDF16_Li32ELi128ELi256ELb1ELi9EL8MFMAType1EEvPKT_PKT0_S8_ifPKiSA_SA_iPKfiiiPfSD_PS3_PT2_iSC_SC_
                                        ; -- End function
	.section	.AMDGPU.csdata,"",@progbits
; Kernel info:
; codeLenInByte = 6744
; NumSgprs: 39
; NumVgprs: 150
; ScratchSize: 0
; MemoryBound: 0
; FloatMode: 240
; IeeeMode: 1
; LDSByteSize: 17472 bytes/workgroup (compile time only)
; SGPRBlocks: 4
; VGPRBlocks: 18
; NumSGPRsForWavesPerEU: 39
; NumVGPRsForWavesPerEU: 150
; Occupancy: 9
; WaveLimiterHint : 1
; COMPUTE_PGM_RSRC2:SCRATCH_EN: 0
; COMPUTE_PGM_RSRC2:USER_SGPR: 13
; COMPUTE_PGM_RSRC2:TRAP_HANDLER: 0
; COMPUTE_PGM_RSRC2:TGID_X_EN: 1
; COMPUTE_PGM_RSRC2:TGID_Y_EN: 1
; COMPUTE_PGM_RSRC2:TGID_Z_EN: 1
; COMPUTE_PGM_RSRC2:TIDIG_COMP_CNT: 0
	.section	.text._Z39paged_attention_ll4mi_QKV_mfma16_kernelIDF16_hLN4vllm18Fp8KVCacheDataTypeE1EDF16_Li32ELi128ELi256ELb1ELi10EL8MFMAType1EEvPKT_PKT0_S8_ifPKiSA_SA_iPKfiiiPfSD_PS3_PT2_iSC_SC_,"axG",@progbits,_Z39paged_attention_ll4mi_QKV_mfma16_kernelIDF16_hLN4vllm18Fp8KVCacheDataTypeE1EDF16_Li32ELi128ELi256ELb1ELi10EL8MFMAType1EEvPKT_PKT0_S8_ifPKiSA_SA_iPKfiiiPfSD_PS3_PT2_iSC_SC_,comdat
	.protected	_Z39paged_attention_ll4mi_QKV_mfma16_kernelIDF16_hLN4vllm18Fp8KVCacheDataTypeE1EDF16_Li32ELi128ELi256ELb1ELi10EL8MFMAType1EEvPKT_PKT0_S8_ifPKiSA_SA_iPKfiiiPfSD_PS3_PT2_iSC_SC_ ; -- Begin function _Z39paged_attention_ll4mi_QKV_mfma16_kernelIDF16_hLN4vllm18Fp8KVCacheDataTypeE1EDF16_Li32ELi128ELi256ELb1ELi10EL8MFMAType1EEvPKT_PKT0_S8_ifPKiSA_SA_iPKfiiiPfSD_PS3_PT2_iSC_SC_
	.globl	_Z39paged_attention_ll4mi_QKV_mfma16_kernelIDF16_hLN4vllm18Fp8KVCacheDataTypeE1EDF16_Li32ELi128ELi256ELb1ELi10EL8MFMAType1EEvPKT_PKT0_S8_ifPKiSA_SA_iPKfiiiPfSD_PS3_PT2_iSC_SC_
	.p2align	8
	.type	_Z39paged_attention_ll4mi_QKV_mfma16_kernelIDF16_hLN4vllm18Fp8KVCacheDataTypeE1EDF16_Li32ELi128ELi256ELb1ELi10EL8MFMAType1EEvPKT_PKT0_S8_ifPKiSA_SA_iPKfiiiPfSD_PS3_PT2_iSC_SC_,@function
_Z39paged_attention_ll4mi_QKV_mfma16_kernelIDF16_hLN4vllm18Fp8KVCacheDataTypeE1EDF16_Li32ELi128ELi256ELb1ELi10EL8MFMAType1EEvPKT_PKT0_S8_ifPKiSA_SA_iPKfiiiPfSD_PS3_PT2_iSC_SC_: ; @_Z39paged_attention_ll4mi_QKV_mfma16_kernelIDF16_hLN4vllm18Fp8KVCacheDataTypeE1EDF16_Li32ELi128ELi256ELb1ELi10EL8MFMAType1EEvPKT_PKT0_S8_ifPKiSA_SA_iPKfiiiPfSD_PS3_PT2_iSC_SC_
; %bb.0:
	s_load_b64 s[4:5], s[0:1], 0x30
	s_mov_b32 s30, s13
	s_waitcnt lgkmcnt(0)
	s_cmp_lg_u64 s[4:5], 0
	s_cselect_b32 s8, -1, 0
	s_ashr_i32 s31, s13, 31
	s_cmp_eq_u64 s[4:5], 0
	s_cbranch_scc1 .LBB1059_3
; %bb.1:
	s_lshl_b64 s[2:3], s[30:31], 2
	s_delay_alu instid0(SALU_CYCLE_1) | instskip(SKIP_4) | instid1(SALU_CYCLE_1)
	s_add_u32 s2, s4, s2
	s_addc_u32 s3, s5, s3
	s_load_b64 s[2:3], s[2:3], 0x0
	s_waitcnt lgkmcnt(0)
	s_sub_i32 s2, s3, s2
	s_cmp_eq_u32 s2, 1
	s_cselect_b32 s2, -1, 0
	s_delay_alu instid0(SALU_CYCLE_1)
	s_and_not1_b32 vcc_lo, exec_lo, s2
	s_cbranch_vccz .LBB1059_4
.LBB1059_2:
	s_endpgm
.LBB1059_3:
.LBB1059_4:
	s_load_b64 s[2:3], s[0:1], 0x28
	s_lshl_b64 s[6:7], s[30:31], 2
	s_waitcnt lgkmcnt(0)
	s_add_u32 s2, s2, s6
	s_addc_u32 s3, s3, s7
	s_lshl_b32 s12, s14, 8
	s_load_b32 s24, s[2:3], 0x0
	s_waitcnt lgkmcnt(0)
	s_cmp_ge_i32 s12, s24
	s_cbranch_scc1 .LBB1059_2
; %bb.5:
	s_clause 0x1
	s_load_b128 s[20:23], s[0:1], 0x8
	s_load_b64 s[2:3], s[0:1], 0x20
	s_and_not1_b32 vcc_lo, exec_lo, s8
	s_cbranch_vccnz .LBB1059_7
; %bb.6:
	s_add_u32 s4, s4, s6
	s_addc_u32 s5, s5, s7
	s_load_b32 s5, s[4:5], 0x0
	s_branch .LBB1059_8
.LBB1059_7:
	s_mov_b32 s5, s30
.LBB1059_8:
	s_load_b128 s[16:19], s[0:1], 0x48
	v_and_b32_e32 v68, 15, v0
	v_lshrrev_b32_e32 v69, 5, v0
	v_and_b32_e32 v70, 31, v0
	v_and_b32_e32 v67, 1, v0
	v_bfe_u32 v66, v0, 4, 1
	v_lshlrev_b32_e32 v1, 3, v68
	s_mul_i32 s31, s15, 10
	s_mov_b32 s4, exec_lo
	s_delay_alu instid0(VALU_DEP_1)
	v_lshlrev_b32_e32 v65, 1, v1
	v_cmpx_gt_u32_e32 0xa0, v0
	s_cbranch_execz .LBB1059_10
; %bb.9:
	s_load_b64 s[6:7], s[0:1], 0x0
	v_lshl_or_b32 v5, v69, 1, v66
	s_waitcnt lgkmcnt(0)
	s_mul_hi_i32 s9, s5, s16
	s_mul_i32 s8, s5, s16
	v_lshlrev_b32_e32 v6, 10, v68
	s_lshl_b64 s[8:9], s[8:9], 1
	v_add_lshl_u32 v1, v5, s31, 7
	v_lshlrev_b32_e32 v5, 6, v5
	v_lshlrev_b32_e32 v7, 10, v67
	v_and_b32_e32 v6, 0x3800, v6
	s_delay_alu instid0(VALU_DEP_4) | instskip(NEXT) | instid1(VALU_DEP_2)
	v_ashrrev_i32_e32 v2, 31, v1
	v_or3_b32 v5, v6, v7, v5
	s_delay_alu instid0(VALU_DEP_2) | instskip(SKIP_2) | instid1(VALU_DEP_1)
	v_lshlrev_b64 v[1:2], 1, v[1:2]
	s_add_u32 s5, s6, s8
	s_addc_u32 s6, s7, s9
	v_add_co_u32 v1, vcc_lo, s5, v1
	s_delay_alu instid0(VALU_DEP_2) | instskip(NEXT) | instid1(VALU_DEP_2)
	v_add_co_ci_u32_e32 v2, vcc_lo, s6, v2, vcc_lo
	v_add_co_u32 v1, vcc_lo, v1, v65
	s_delay_alu instid0(VALU_DEP_2)
	v_add_co_ci_u32_e32 v2, vcc_lo, 0, v2, vcc_lo
	global_load_b128 v[1:4], v[1:2], off
	s_waitcnt vmcnt(0)
	ds_store_b128 v5, v[1:4]
.LBB1059_10:
	s_or_b32 exec_lo, exec_lo, s4
	v_and_b32_e32 v1, 0xef, v0
	s_waitcnt lgkmcnt(0)
	s_add_i32 s5, s24, 31
	s_clause 0x1
	s_load_b32 s4, s[0:1], 0x38
	s_load_b32 s33, s[0:1], 0x98
	s_ashr_i32 s6, s5, 31
	v_add_nc_u32_e32 v1, s12, v1
	s_lshr_b32 s6, s6, 27
	s_load_b32 s19, s[0:1], 0x1c
	s_add_i32 s5, s5, s6
	s_waitcnt lgkmcnt(0)
	v_ashrrev_i32_e32 v2, 31, v1
	v_or_b32_e32 v3, 16, v1
	s_ashr_i32 s13, s5, 5
	v_cmp_gt_i32_e32 vcc_lo, s24, v1
	s_add_i32 s13, s13, -1
	v_lshrrev_b32_e32 v2, 27, v2
	s_barrier
	buffer_gl0_inv
	s_mul_i32 s15, s15, s18
	v_add_nc_u32_e32 v4, v1, v2
	s_mul_i32 s4, s30, s4
	s_delay_alu instid0(SALU_CYCLE_1) | instskip(NEXT) | instid1(VALU_DEP_1)
	s_ashr_i32 s5, s4, 31
	v_ashrrev_i32_e32 v4, 5, v4
	v_add_nc_u32_e32 v2, v3, v2
	s_lshl_b64 s[4:5], s[4:5], 2
	s_delay_alu instid0(SALU_CYCLE_1) | instskip(NEXT) | instid1(VALU_DEP_2)
	s_add_u32 s16, s2, s4
	v_cndmask_b32_e32 v1, s13, v4, vcc_lo
	s_delay_alu instid0(VALU_DEP_2)
	v_ashrrev_i32_e32 v2, 5, v2
	v_cmp_gt_i32_e32 vcc_lo, s24, v3
	s_addc_u32 s25, s3, s5
	s_ashr_i32 s18, s15, 31
	s_add_u32 s2, s20, s15
	s_addc_u32 s3, s21, s18
	v_cndmask_b32_e32 v3, s13, v2, vcc_lo
	v_ashrrev_i32_e32 v2, 31, v1
	s_lshl_b32 s4, s14, 3
	s_delay_alu instid0(SALU_CYCLE_1) | instskip(NEXT) | instid1(VALU_DEP_2)
	s_ashr_i32 s5, s4, 31
	v_ashrrev_i32_e32 v4, 31, v3
	s_delay_alu instid0(VALU_DEP_2) | instskip(SKIP_1) | instid1(SALU_CYCLE_1)
	v_lshlrev_b64 v[1:2], 2, v[1:2]
	s_lshl_b64 s[4:5], s[4:5], 2
	s_add_u32 s4, s16, s4
	s_delay_alu instid0(VALU_DEP_2) | instskip(SKIP_1) | instid1(VALU_DEP_2)
	v_lshlrev_b64 v[3:4], 2, v[3:4]
	s_addc_u32 s5, s25, s5
	v_add_co_u32 v1, vcc_lo, s16, v1
	v_add_co_ci_u32_e32 v2, vcc_lo, s25, v2, vcc_lo
	s_delay_alu instid0(VALU_DEP_3) | instskip(NEXT) | instid1(VALU_DEP_4)
	v_add_co_u32 v3, vcc_lo, s16, v3
	v_add_co_ci_u32_e32 v4, vcc_lo, s25, v4, vcc_lo
	s_clause 0x1
	global_load_b32 v5, v[1:2], off
	global_load_b32 v6, v[3:4], off
	s_or_b32 s6, s12, 32
	s_delay_alu instid0(SALU_CYCLE_1) | instskip(SKIP_2) | instid1(SALU_CYCLE_1)
	s_ashr_i32 s7, s6, 5
	s_cmp_lt_i32 s6, s24
	s_cselect_b32 s6, s7, s13
	s_ashr_i32 s7, s6, 31
	s_delay_alu instid0(SALU_CYCLE_1) | instskip(NEXT) | instid1(SALU_CYCLE_1)
	s_lshl_b64 s[6:7], s[6:7], 2
	s_add_u32 s6, s16, s6
	s_addc_u32 s7, s25, s7
	s_or_b32 s8, s12, 64
	s_delay_alu instid0(SALU_CYCLE_1) | instskip(SKIP_2) | instid1(SALU_CYCLE_1)
	s_ashr_i32 s9, s8, 5
	s_cmp_lt_i32 s8, s24
	s_cselect_b32 s8, s9, s13
	s_ashr_i32 s9, s8, 31
	s_delay_alu instid0(SALU_CYCLE_1) | instskip(NEXT) | instid1(SALU_CYCLE_1)
	s_lshl_b64 s[8:9], s[8:9], 2
	s_add_u32 s8, s16, s8
	s_addc_u32 s9, s25, s9
	;; [unrolled: 10-line block ×5, first 2 shown]
	s_clause 0x5
	s_load_b32 s28, s[4:5], 0x0
	s_load_b32 s29, s[6:7], 0x0
	s_load_b32 s34, s[8:9], 0x0
	s_load_b32 s35, s[10:11], 0x0
	s_load_b32 s36, s[20:21], 0x0
	s_load_b32 s26, s[26:27], 0x0
	s_mov_b32 s4, 0
	s_delay_alu instid0(SALU_CYCLE_1)
	s_mov_b32 s5, s4
	s_mov_b32 s6, s4
	;; [unrolled: 1-line block ×7, first 2 shown]
	s_delay_alu instid0(SALU_CYCLE_1)
	v_dual_mov_b32 v118, s11 :: v_dual_mov_b32 v117, s10
	v_dual_mov_b32 v116, s9 :: v_dual_mov_b32 v115, s8
	v_mov_b32_e32 v113, s6
	v_dual_mov_b32 v111, s4 :: v_dual_mov_b32 v114, s7
	v_mov_b32_e32 v112, s5
	s_waitcnt vmcnt(1)
	v_mad_i64_i32 v[1:2], null, v5, s17, s[2:3]
	v_lshlrev_b32_e32 v5, 4, v68
	s_waitcnt vmcnt(0)
	v_mad_i64_i32 v[3:4], null, v6, s17, s[2:3]
	s_or_b32 s2, s12, 0xc0
	s_delay_alu instid0(SALU_CYCLE_1) | instskip(NEXT) | instid1(VALU_DEP_3)
	s_ashr_i32 s3, s2, 5
	v_add_co_u32 v1, vcc_lo, v1, v5
	s_delay_alu instid0(VALU_DEP_4) | instskip(NEXT) | instid1(VALU_DEP_3)
	v_add_co_ci_u32_e32 v2, vcc_lo, 0, v2, vcc_lo
	v_add_co_u32 v3, vcc_lo, v3, v5
	s_delay_alu instid0(VALU_DEP_4)
	v_add_co_ci_u32_e32 v4, vcc_lo, 0, v4, vcc_lo
	s_clause 0xf
	global_load_b128 v[17:20], v[1:2], off
	global_load_b128 v[21:24], v[1:2], off offset:512
	global_load_b128 v[25:28], v[3:4], off offset:256
	;; [unrolled: 1-line block ×15, first 2 shown]
	s_cmp_lt_i32 s2, s24
	v_add_nc_u32_e32 v1, -10, v68
	s_cselect_b32 s2, s3, s13
	v_cmp_gt_u32_e32 vcc_lo, 10, v68
	s_ashr_i32 s3, s2, 31
	v_lshlrev_b32_e32 v2, 5, v68
	s_lshl_b64 s[2:3], s[2:3], 2
	s_delay_alu instid0(SALU_CYCLE_1)
	s_add_u32 s2, s16, s2
	s_addc_u32 s3, s25, s3
	s_or_b32 s20, s12, 0xe0
	v_cndmask_b32_e32 v1, v1, v68, vcc_lo
	s_ashr_i32 s21, s20, 5
	s_cmp_lt_i32 s20, s24
	s_cselect_b32 s20, s21, s13
	s_delay_alu instid0(VALU_DEP_1)
	v_lshlrev_b32_e32 v149, 6, v1
	s_ashr_i32 s21, s20, 31
	v_lshl_or_b32 v1, v69, 9, v2
	s_lshl_b64 s[4:5], s[20:21], 2
	ds_load_b128 v[119:122], v149
	ds_load_b128 v[123:126], v149 offset:1024
	s_add_u32 s4, s16, s4
	s_addc_u32 s5, s25, s5
	ds_load_b128 v[127:130], v149 offset:2048
	ds_load_b128 v[131:134], v149 offset:3072
	s_clause 0x1
	s_load_b32 s2, s[2:3], 0x0
	s_load_b32 s3, s[4:5], 0x0
	s_add_u32 s6, s22, s15
	s_addc_u32 s7, s23, s18
	v_add_co_u32 v135, s6, s6, v1
	s_delay_alu instid0(VALU_DEP_1) | instskip(SKIP_1) | instid1(VALU_DEP_1)
	v_add_co_ci_u32_e64 v136, null, s7, 0, s6
	s_waitcnt lgkmcnt(0)
	v_mad_i64_i32 v[1:2], null, s28, s17, v[135:136]
	v_mad_i64_i32 v[3:4], null, s29, s17, v[135:136]
	;; [unrolled: 1-line block ×6, first 2 shown]
	s_clause 0x9
	global_load_b128 v[49:52], v[1:2], off
	global_load_b128 v[53:56], v[1:2], off offset:16
	global_load_b128 v[41:44], v[3:4], off
	global_load_b128 v[45:48], v[3:4], off offset:16
	;; [unrolled: 2-line block ×5, first 2 shown]
	v_mad_i64_i32 v[145:146], null, s2, s17, v[135:136]
	v_mad_i64_i32 v[147:148], null, s3, s17, v[135:136]
	s_waitcnt vmcnt(24)
	v_wmma_f32_16x16x16_f16 v[135:142], v[17:24], v[119:126], v[111:118]
	s_waitcnt vmcnt(22)
	v_wmma_f32_16x16x16_f16 v[111:118], v[25:32], v[119:126], v[111:118]
	s_clause 0x3
	global_load_b128 v[17:20], v[143:144], off
	global_load_b128 v[21:24], v[143:144], off offset:16
	global_load_b128 v[25:28], v[145:146], off
	global_load_b128 v[29:32], v[145:146], off offset:16
	v_and_b32_e32 v119, 0xe0, v0
	s_waitcnt vmcnt(24)
	v_wmma_f32_16x16x16_f16 v[135:142], v[57:64], v[127:134], v[135:142]
	s_clause 0x1
	global_load_b128 v[57:60], v[147:148], off
	global_load_b128 v[61:64], v[147:148], off offset:16
	s_waitcnt vmcnt(24)
	v_wmma_f32_16x16x16_f16 v[111:118], v[71:78], v[127:134], v[111:118]
	ds_load_b128 v[71:74], v149 offset:4096
	ds_load_b128 v[75:78], v149 offset:5120
	v_add_nc_u32_e32 v128, s12, v119
	ds_load_b128 v[119:122], v149 offset:6144
	ds_load_b128 v[123:126], v149 offset:7168
	v_mbcnt_lo_u32_b32 v127, -1, 0
	s_waitcnt vmcnt(0) lgkmcnt(0)
	s_barrier
	v_or_b32_e32 v128, v128, v66
	buffer_gl0_inv
	v_xor_b32_e32 v129, 16, v127
	v_or_b32_e32 v130, 4, v128
	v_or_b32_e32 v131, 6, v128
	s_delay_alu instid0(VALU_DEP_3) | instskip(SKIP_4) | instid1(VALU_DEP_4)
	v_cmp_gt_i32_e32 vcc_lo, 32, v129
	v_or_b32_e32 v132, 8, v128
	v_or_b32_e32 v133, 10, v128
	v_cmp_gt_i32_e64 s3, s24, v130
	v_cmp_gt_i32_e64 s4, s24, v131
	;; [unrolled: 1-line block ×3, first 2 shown]
	v_wmma_f32_16x16x16_f16 v[135:142], v[79:86], v[71:78], v[135:142]
	v_wmma_f32_16x16x16_f16 v[111:118], v[87:94], v[71:78], v[111:118]
	v_or_b32_e32 v79, 12, v128
	v_or_b32_e32 v80, 14, v128
	v_cmp_gt_i32_e64 s6, s24, v133
	v_wmma_f32_16x16x16_f16 v[135:142], v[95:102], v[119:126], v[135:142]
	v_wmma_f32_16x16x16_f16 v[111:118], v[103:110], v[119:126], v[111:118]
	v_cndmask_b32_e32 v127, v127, v129, vcc_lo
	v_or_b32_e32 v129, 2, v128
	v_cmp_gt_i32_e32 vcc_lo, s24, v128
	s_delay_alu instid0(VALU_DEP_4) | instskip(SKIP_1) | instid1(VALU_DEP_4)
	v_dual_mul_f32 v87, s19, v136 :: v_dual_mul_f32 v94, s19, v113
	v_mul_f32_e32 v88, s19, v135
	v_cmp_gt_i32_e64 s2, s24, v129
	v_mul_f32_e32 v78, s19, v138
	v_mul_f32_e32 v86, s19, v137
	;; [unrolled: 1-line block ×3, first 2 shown]
	v_cndmask_b32_e32 v88, 0xff7fffff, v88, vcc_lo
	v_cndmask_b32_e64 v87, 0xff7fffff, v87, s2
	v_dual_mul_f32 v77, s19, v139 :: v_dual_mul_f32 v90, s19, v117
	v_cndmask_b32_e64 v86, 0xff7fffff, v86, s3
	v_cndmask_b32_e64 v78, 0xff7fffff, v78, s4
	s_delay_alu instid0(VALU_DEP_4)
	v_max3_f32 v87, v88, 0xff7fffff, v87
	v_or_b32_e32 v81, 16, v128
	v_or_b32_e32 v82, 18, v128
	v_dual_mul_f32 v74, s19, v142 :: v_dual_mul_f32 v75, s19, v141
	v_mul_f32_e32 v96, s19, v111
	v_cndmask_b32_e64 v77, 0xff7fffff, v77, s5
	v_cndmask_b32_e64 v76, 0xff7fffff, v76, s6
	v_max3_f32 v78, v87, v86, v78
	v_cmp_gt_i32_e64 s7, s24, v79
	v_cmp_gt_i32_e64 s8, s24, v80
	v_or_b32_e32 v83, 20, v128
	v_or_b32_e32 v84, 22, v128
	v_mul_f32_e32 v95, s19, v112
	v_cndmask_b32_e64 v75, 0xff7fffff, v75, s7
	v_cndmask_b32_e64 v74, 0xff7fffff, v74, s8
	v_max3_f32 v76, v78, v77, v76
	v_cmp_gt_i32_e64 s9, s24, v81
	v_cmp_gt_i32_e64 s10, s24, v82
	v_or_b32_e32 v85, 24, v128
	v_or_b32_e32 v71, 26, v128
	;; [unrolled: 8-line block ×3, first 2 shown]
	v_dual_mul_f32 v91, s19, v116 :: v_dual_mul_f32 v92, s19, v115
	v_cndmask_b32_e64 v75, 0xff7fffff, v94, s11
	v_cndmask_b32_e64 v76, 0xff7fffff, v93, s12
	v_max3_f32 v74, v74, v77, v78
	v_cmp_gt_i32_e64 s13, s24, v85
	v_cmp_gt_i32_e64 s15, s24, v71
	v_mul_f32_e32 v89, s19, v118
	v_cmp_gt_i32_e64 s16, s24, v72
	v_max3_f32 v74, v74, v75, v76
	v_cndmask_b32_e64 v77, 0xff7fffff, v92, s13
	v_cndmask_b32_e64 v71, 0xff7fffff, v91, s15
	v_cmp_gt_i32_e64 s17, s24, v73
	v_cndmask_b32_e64 v72, 0xff7fffff, v90, s16
	s_delay_alu instid0(VALU_DEP_3) | instskip(SKIP_1) | instid1(VALU_DEP_4)
	v_max3_f32 v71, v74, v77, v71
	v_lshlrev_b32_e32 v74, 2, v127
	v_cndmask_b32_e64 v73, 0xff7fffff, v89, s17
	s_delay_alu instid0(VALU_DEP_1) | instskip(SKIP_3) | instid1(VALU_DEP_1)
	v_max3_f32 v71, v71, v72, v73
	ds_bpermute_b32 v72, v74, v71
	s_waitcnt lgkmcnt(0)
	v_max_f32_e32 v72, v72, v72
	v_max_f32_e32 v71, v71, v72
	s_delay_alu instid0(VALU_DEP_1) | instskip(SKIP_4) | instid1(VALU_DEP_4)
	v_fma_f32 v72, s19, v135, -v71
	v_fma_f32 v73, s19, v136, -v71
	;; [unrolled: 1-line block ×5, first 2 shown]
	v_dual_mul_f32 v72, 0x3fb8aa3b, v72 :: v_dual_mul_f32 v73, 0x3fb8aa3b, v73
	s_delay_alu instid0(VALU_DEP_3) | instskip(SKIP_1) | instid1(VALU_DEP_3)
	v_dual_mul_f32 v75, 0x3fb8aa3b, v75 :: v_dual_mul_f32 v76, 0x3fb8aa3b, v76
	v_fma_f32 v80, s19, v141, -v71
	v_exp_f32_e32 v72, v72
	s_delay_alu instid0(VALU_DEP_3) | instskip(NEXT) | instid1(VALU_DEP_2)
	v_exp_f32_e32 v73, v73
	v_exp_f32_e32 v75, v75
	;; [unrolled: 1-line block ×3, first 2 shown]
	v_mul_f32_e32 v82, 0x3fb8aa3b, v80
	s_delay_alu instid0(VALU_DEP_1) | instskip(SKIP_4) | instid1(TRANS32_DEP_3)
	v_exp_f32_e32 v84, v82
	v_cndmask_b32_e32 v79, 0, v72, vcc_lo
	v_fma_f32 v72, s19, v140, -v71
	v_mul_f32_e32 v77, 0x3fb8aa3b, v77
	v_cndmask_b32_e64 v78, 0, v73, s2
	v_cndmask_b32_e64 v81, 0, v75, s3
	s_delay_alu instid0(VALU_DEP_4) | instskip(NEXT) | instid1(VALU_DEP_4)
	v_dual_add_f32 v73, 0, v79 :: v_dual_mul_f32 v72, 0x3fb8aa3b, v72
	v_exp_f32_e32 v77, v77
	v_cndmask_b32_e64 v80, 0, v76, s4
	s_delay_alu instid0(TRANS32_DEP_2) | instskip(NEXT) | instid1(VALU_DEP_3)
	v_cndmask_b32_e64 v85, 0, v84, s7
	v_add_f32_e32 v73, v73, v78
	v_exp_f32_e32 v72, v72
	s_mov_b32 s2, exec_lo
	s_delay_alu instid0(VALU_DEP_1) | instskip(SKIP_4) | instid1(VALU_DEP_2)
	v_add_f32_e32 v73, v73, v81
	s_waitcnt_depctr 0xfff
	v_cndmask_b32_e64 v83, 0, v77, s5
	v_add_f32_e32 v73, v73, v80
	v_cndmask_b32_e64 v82, 0, v72, s6
	v_add_f32_e32 v72, v73, v83
	s_delay_alu instid0(VALU_DEP_1) | instskip(NEXT) | instid1(VALU_DEP_1)
	v_add_f32_e32 v72, v72, v82
	v_add_f32_e32 v72, v72, v85
	v_fma_f32 v76, s19, v111, -v71
	v_fma_f32 v75, s19, v142, -v71
	;; [unrolled: 1-line block ×5, first 2 shown]
	s_delay_alu instid0(VALU_DEP_4) | instskip(NEXT) | instid1(VALU_DEP_3)
	v_dual_mul_f32 v76, 0x3fb8aa3b, v76 :: v_dual_mul_f32 v75, 0x3fb8aa3b, v75
	v_mul_f32_e32 v86, 0x3fb8aa3b, v86
	s_delay_alu instid0(VALU_DEP_2) | instskip(NEXT) | instid1(VALU_DEP_2)
	v_exp_f32_e32 v76, v76
	v_exp_f32_e32 v75, v75
	s_delay_alu instid0(VALU_DEP_1) | instskip(NEXT) | instid1(TRANS32_DEP_3)
	v_exp_f32_e32 v88, v86
	v_cndmask_b32_e64 v87, 0, v76, s9
	v_fma_f32 v76, s19, v116, -v71
	v_mul_f32_e32 v77, 0x3fb8aa3b, v77
	s_waitcnt_depctr 0xfff
	v_cndmask_b32_e64 v84, 0, v75, s8
	v_fma_f32 v75, s19, v115, -v71
	v_cndmask_b32_e64 v88, 0, v88, s12
	v_mul_f32_e32 v76, 0x3fb8aa3b, v76
	v_exp_f32_e32 v77, v77
	v_add_f32_e32 v72, v72, v84
	s_delay_alu instid0(VALU_DEP_2) | instskip(NEXT) | instid1(VALU_DEP_1)
	v_exp_f32_e32 v76, v76
	v_add_f32_e32 v72, v72, v87
	s_waitcnt_depctr 0xfff
	v_cndmask_b32_e64 v86, 0, v77, s10
	v_mul_f32_e32 v73, 0x3fb8aa3b, v73
	v_fma_f32 v77, s19, v117, -v71
	v_cndmask_b32_e64 v90, 0, v76, s15
	s_delay_alu instid0(VALU_DEP_4) | instskip(NEXT) | instid1(VALU_DEP_4)
	v_add_f32_e32 v72, v72, v86
	v_exp_f32_e32 v73, v73
	s_waitcnt_depctr 0xfff
	v_cndmask_b32_e64 v89, 0, v73, s11
	s_delay_alu instid0(VALU_DEP_1) | instskip(NEXT) | instid1(VALU_DEP_1)
	v_dual_mul_f32 v75, 0x3fb8aa3b, v75 :: v_dual_add_f32 v72, v72, v89
	v_exp_f32_e32 v75, v75
	v_mul_f32_e32 v73, 0x3fb8aa3b, v77
	v_fma_f32 v77, s19, v118, -v71
	s_delay_alu instid0(VALU_DEP_3) | instskip(NEXT) | instid1(VALU_DEP_3)
	v_add_f32_e32 v72, v72, v88
	v_exp_f32_e32 v73, v73
	s_waitcnt_depctr 0xfff
	v_cndmask_b32_e64 v91, 0, v75, s13
	s_delay_alu instid0(VALU_DEP_1) | instskip(NEXT) | instid1(VALU_DEP_1)
	v_dual_mul_f32 v75, 0x3fb8aa3b, v77 :: v_dual_add_f32 v72, v72, v91
	v_exp_f32_e32 v75, v75
	v_cndmask_b32_e64 v93, 0, v73, s16
	s_delay_alu instid0(VALU_DEP_2) | instskip(NEXT) | instid1(VALU_DEP_1)
	v_add_f32_e32 v72, v72, v90
	v_add_f32_e32 v72, v72, v93
	s_waitcnt_depctr 0xfff
	v_cndmask_b32_e64 v92, 0, v75, s17
	s_delay_alu instid0(VALU_DEP_1)
	v_add_f32_e32 v72, v72, v92
	ds_bpermute_b32 v73, v74, v72
	v_cmpx_gt_u32_e32 16, v70
	s_cbranch_execz .LBB1059_12
; %bb.11:
	v_mul_u32_u24_e32 v70, 0x44, v69
	s_waitcnt lgkmcnt(0)
	v_add_f32_e32 v72, v72, v73
	s_delay_alu instid0(VALU_DEP_2) | instskip(NEXT) | instid1(VALU_DEP_1)
	v_lshl_add_u32 v70, v68, 2, v70
	v_add_nc_u32_e32 v70, 0x4000, v70
	ds_store_2addr_b32 v70, v71, v72 offset1:136
.LBB1059_12:
	s_or_b32 exec_lo, exec_lo, s2
	v_lshlrev_b32_e32 v70, 2, v68
	s_load_b32 s34, s[0:1], 0x94
	s_waitcnt lgkmcnt(0)
	s_barrier
	buffer_gl0_inv
	v_add_nc_u32_e32 v98, 0x4000, v70
	v_cmp_eq_u32_e32 vcc_lo, 1, v69
	v_cmp_eq_u32_e64 s2, 2, v69
	v_cmp_eq_u32_e64 s3, 3, v69
	;; [unrolled: 1-line block ×3, first 2 shown]
	ds_load_2addr_b32 v[70:71], v98 offset1:17
	ds_load_2addr_b32 v[72:73], v98 offset0:34 offset1:51
	ds_load_2addr_b32 v[74:75], v98 offset0:68 offset1:85
	;; [unrolled: 1-line block ×3, first 2 shown]
	v_cmp_eq_u32_e64 s5, 5, v69
	v_cmp_eq_u32_e64 s6, 7, v69
	s_waitcnt lgkmcnt(3)
	v_max3_f32 v76, v70, 0xff7fffff, v71
	s_waitcnt lgkmcnt(2)
	s_delay_alu instid0(VALU_DEP_1) | instskip(SKIP_1) | instid1(VALU_DEP_1)
	v_max3_f32 v76, v76, v72, v73
	s_waitcnt lgkmcnt(1)
	v_max3_f32 v76, v76, v74, v75
	s_waitcnt lgkmcnt(0)
	s_delay_alu instid0(VALU_DEP_1) | instskip(NEXT) | instid1(VALU_DEP_1)
	v_max3_f32 v76, v76, v94, v95
	v_sub_f32_e32 v77, v71, v76
	ds_load_2addr_b32 v[96:97], v98 offset0:136 offset1:153
	v_sub_f32_e32 v74, v74, v76
	v_sub_f32_e32 v70, v70, v76
	v_sub_f32_e32 v94, v94, v76
	v_dual_sub_f32 v72, v72, v76 :: v_dual_mul_f32 v77, 0x3fb8aa3b, v77
	s_delay_alu instid0(VALU_DEP_4) | instskip(NEXT) | instid1(VALU_DEP_4)
	v_mul_f32_e32 v103, 0x3fb8aa3b, v74
	v_mul_f32_e32 v99, 0x3fb8aa3b, v70
	ds_load_2addr_b32 v[70:71], v98 offset0:170 offset1:187
	v_dual_mul_f32 v101, 0x3fb8aa3b, v72 :: v_dual_mul_f32 v94, 0x3fb8aa3b, v94
	v_exp_f32_e32 v102, v77
	v_exp_f32_e32 v99, v99
	s_delay_alu instid0(VALU_DEP_1) | instskip(NEXT) | instid1(VALU_DEP_1)
	v_exp_f32_e32 v101, v101
	v_exp_f32_e32 v94, v94
	s_waitcnt lgkmcnt(1)
	s_delay_alu instid0(TRANS32_DEP_3)
	v_fma_f32 v77, v99, v96, 0
	v_sub_f32_e32 v100, v73, v76
	ds_load_2addr_b32 v[72:73], v98 offset0:204 offset1:221
	v_fmac_f32_e32 v77, v102, v97
	v_exp_f32_e32 v97, v103
	s_waitcnt lgkmcnt(1)
	s_delay_alu instid0(VALU_DEP_1)
	v_dual_fmac_f32 v77, v101, v70 :: v_dual_sub_f32 v96, v75, v76
	ds_load_2addr_b32 v[74:75], v98 offset0:238 offset1:255
	v_sub_f32_e32 v70, v95, v76
	s_waitcnt lgkmcnt(0)
	s_barrier
	v_mul_f32_e32 v96, 0x3fb8aa3b, v96
	buffer_gl0_inv
	v_exp_f32_e32 v95, v96
	v_mul_f32_e32 v100, 0x3fb8aa3b, v100
	s_delay_alu instid0(VALU_DEP_1) | instskip(SKIP_3) | instid1(VALU_DEP_2)
	v_exp_f32_e32 v100, v100
	s_waitcnt_depctr 0xfff
	v_dual_fmac_f32 v77, v100, v71 :: v_dual_mul_f32 v70, 0x3fb8aa3b, v70
	v_cndmask_b32_e32 v71, v99, v102, vcc_lo
	v_fmac_f32_e32 v77, v97, v72
	s_delay_alu instid0(VALU_DEP_3) | instskip(NEXT) | instid1(VALU_DEP_1)
	v_exp_f32_e32 v96, v70
	v_fmac_f32_e32 v77, v95, v73
	s_delay_alu instid0(VALU_DEP_1) | instskip(SKIP_2) | instid1(VALU_DEP_1)
	v_fmac_f32_e32 v77, v94, v74
	s_waitcnt_depctr 0xfff
	v_fmac_f32_e32 v77, v96, v75
	v_add_f32_e32 v74, 0x358637bd, v77
	s_delay_alu instid0(VALU_DEP_1) | instskip(SKIP_1) | instid1(VALU_DEP_2)
	v_div_scale_f32 v98, null, v74, v74, 1.0
	v_div_scale_f32 v99, vcc_lo, 1.0, v74, 1.0
	v_rcp_f32_e32 v103, v98
	s_waitcnt_depctr 0xfff
	v_fma_f32 v70, -v98, v103, 1.0
	s_delay_alu instid0(VALU_DEP_1) | instskip(SKIP_2) | instid1(VALU_DEP_2)
	v_fmac_f32_e32 v103, v70, v103
	v_cndmask_b32_e64 v70, v71, v101, s2
	v_cmp_eq_u32_e64 s2, 6, v69
	v_cndmask_b32_e64 v71, v70, v100, s3
	s_delay_alu instid0(VALU_DEP_4) | instskip(NEXT) | instid1(VALU_DEP_2)
	v_dual_mul_f32 v101, v99, v103 :: v_dual_lshlrev_b32 v70, 2, v66
	v_cndmask_b32_e64 v71, v71, v97, s4
	s_delay_alu instid0(VALU_DEP_2) | instskip(NEXT) | instid1(VALU_DEP_3)
	v_or_b32_e32 v72, 1, v70
	v_fma_f32 v100, -v98, v101, v99
	v_cmp_eq_u32_e64 s3, 1, v70
	v_cmp_eq_u32_e64 s4, 2, v70
	v_cndmask_b32_e64 v95, v71, v95, s5
	v_or_b32_e32 v71, 3, v70
	v_fmac_f32_e32 v101, v100, v103
	v_cmp_eq_u32_e64 s8, 1, v72
	v_cmp_eq_u32_e64 s11, 2, v72
	v_cndmask_b32_e64 v94, v95, v94, s2
	v_cmp_eq_u32_e64 s10, 1, v71
	v_fma_f32 v97, -v98, v101, v99
	v_cmp_eq_u32_e64 s15, 2, v71
	v_cmp_eq_u32_e64 s12, 3, v72
	v_cndmask_b32_e64 v94, v94, v96, s6
	v_cmp_eq_u32_e64 s17, 3, v71
	v_div_fmas_f32 v95, v97, v103, v101
	v_cmp_eq_u32_e32 vcc_lo, 3, v70
	v_cmp_eq_u32_e64 s2, 4, v70
	v_cmp_eq_u32_e64 s18, 4, v72
	;; [unrolled: 1-line block ×3, first 2 shown]
	v_div_fixup_f32 v95, v95, v74, 1.0
	v_lshlrev_b32_e32 v73, 6, v68
	v_cmp_eq_u32_e64 s5, 5, v70
	v_cmp_eq_u32_e64 s19, 5, v72
	;; [unrolled: 1-line block ×3, first 2 shown]
	v_mul_f32_e32 v102, v94, v95
	v_lshl_or_b32 v75, v69, 11, v73
	v_or_b32_e32 v69, 2, v70
	v_cmp_eq_u32_e64 s24, 6, v72
	v_cmp_eq_u32_e64 s26, 6, v71
	v_fma_mixlo_f16 v94, v102, v79, 0
	v_fma_mixlo_f16 v95, v102, v81, 0
	;; [unrolled: 1-line block ×8, first 2 shown]
	v_lshl_or_b32 v74, v66, 4, v75
	v_fma_mixhi_f16 v94, v102, v78, 0
	v_fma_mixhi_f16 v95, v102, v80, 0
	;; [unrolled: 1-line block ×8, first 2 shown]
	ds_store_b128 v74, v[94:97]
	ds_store_b128 v74, v[98:101] offset:1024
	s_waitcnt lgkmcnt(0)
	s_barrier
	buffer_gl0_inv
	ds_load_b128 v[78:81], v75
	ds_load_b128 v[82:85], v75 offset:16
	ds_load_b128 v[86:89], v75 offset:1024
	ds_load_b128 v[90:93], v75 offset:1040
	v_cmp_eq_u32_e64 s9, 1, v69
	v_cmp_eq_u32_e64 s13, 2, v69
	;; [unrolled: 1-line block ×11, first 2 shown]
	s_waitcnt lgkmcnt(3)
	v_lshrrev_b32_e32 v94, 16, v78
	s_waitcnt lgkmcnt(2)
	v_lshrrev_b32_e32 v98, 16, v82
	;; [unrolled: 2-line block ×4, first 2 shown]
	v_lshrrev_b32_e32 v95, 16, v79
	v_cndmask_b32_e64 v110, v78, v94, s3
	v_cndmask_b32_e64 v111, v82, v98, s3
	;; [unrolled: 1-line block ×8, first 2 shown]
	v_lshrrev_b32_e32 v99, 16, v83
	v_cndmask_b32_e64 v94, v86, v102, s3
	v_cndmask_b32_e64 v98, v90, v106, s3
	;; [unrolled: 1-line block ×15, first 2 shown]
	v_lshrrev_b32_e32 v103, 16, v87
	v_lshrrev_b32_e32 v107, 16, v91
	v_cndmask_b32_e64 v113, v115, v83, s13
	v_cndmask_b32_e64 v82, v94, v87, s4
	;; [unrolled: 1-line block ×7, first 2 shown]
	v_cndmask_b32_e32 v90, v102, v95, vcc_lo
	v_cndmask_b32_e32 v102, v106, v99, vcc_lo
	v_cndmask_b32_e64 v106, v110, v95, s12
	v_cndmask_b32_e64 v110, v111, v99, s12
	;; [unrolled: 1-line block ×4, first 2 shown]
	v_lshrrev_b32_e32 v96, 16, v80
	v_lshrrev_b32_e32 v100, 16, v84
	v_cndmask_b32_e64 v111, v112, v95, s16
	v_cndmask_b32_e64 v112, v113, v99, s16
	v_cndmask_b32_e32 v82, v82, v103, vcc_lo
	v_cndmask_b32_e32 v83, v83, v107, vcc_lo
	v_cndmask_b32_e64 v94, v94, v103, s12
	v_cndmask_b32_e64 v90, v90, v80, s2
	;; [unrolled: 1-line block ×7, first 2 shown]
	v_lshrrev_b32_e32 v104, 16, v88
	v_cndmask_b32_e64 v106, v111, v80, s20
	v_cndmask_b32_e64 v110, v112, v84, s20
	;; [unrolled: 1-line block ×11, first 2 shown]
	v_lshrrev_b32_e32 v97, 16, v81
	v_lshrrev_b32_e32 v101, 16, v85
	v_cndmask_b32_e64 v99, v106, v96, s22
	v_cndmask_b32_e64 v102, v110, v100, s22
	;; [unrolled: 1-line block ×7, first 2 shown]
	v_lshrrev_b32_e32 v105, 16, v89
	v_cndmask_b32_e64 v80, v80, v104, s5
	v_cndmask_b32_e64 v84, v84, v81, s6
	;; [unrolled: 1-line block ×16, first 2 shown]
	v_perm_b32 v81, v79, v78, 0x5040100
	v_perm_b32 v79, v95, v85, 0x5040100
	v_cndmask_b32_e64 v78, v119, v91, s13
	v_cndmask_b32_e64 v85, v117, v91, s11
	;; [unrolled: 1-line block ×3, first 2 shown]
	v_perm_b32 v80, v94, v90, 0x5040100
	v_cndmask_b32_e64 v90, v98, v103, s16
	v_cndmask_b32_e64 v86, v86, v103, s17
	;; [unrolled: 1-line block ×5, first 2 shown]
	v_lshrrev_b32_e32 v108, 16, v92
	v_cndmask_b32_e64 v90, v90, v88, s20
	v_cndmask_b32_e64 v86, v86, v88, s21
	;; [unrolled: 1-line block ×11, first 2 shown]
	v_lshrrev_b32_e32 v109, 16, v93
	v_cndmask_b32_e64 v82, v82, v93, s6
	v_cndmask_b32_e64 v88, v88, v89, s25
	;; [unrolled: 1-line block ×12, first 2 shown]
	v_perm_b32 v78, v84, v83, 0x5040100
	v_perm_b32 v85, v87, v86, 0x5040100
	;; [unrolled: 1-line block ×5, first 2 shown]
	s_mul_i32 s7, s33, 10
	s_mov_b32 s2, exec_lo
	ds_store_b128 v74, v[78:81]
	ds_store_b128 v74, v[82:85] offset:1024
	v_cmpx_gt_u32_e32 10, v0
	s_cbranch_execz .LBB1059_14
; %bb.13:
	s_mul_i32 s3, s7, s30
	s_load_b128 s[8:11], s[0:1], 0x58
	v_add3_u32 v68, s3, s31, v68
	s_delay_alu instid0(VALU_DEP_1) | instskip(NEXT) | instid1(VALU_DEP_1)
	v_mad_u64_u32 v[78:79], null, v68, s34, s[14:15]
	v_ashrrev_i32_e32 v79, 31, v78
	s_delay_alu instid0(VALU_DEP_1) | instskip(SKIP_1) | instid1(VALU_DEP_1)
	v_lshlrev_b64 v[78:79], 2, v[78:79]
	s_waitcnt lgkmcnt(0)
	v_add_co_u32 v80, vcc_lo, s10, v78
	s_delay_alu instid0(VALU_DEP_2)
	v_add_co_ci_u32_e32 v81, vcc_lo, s11, v79, vcc_lo
	v_add_co_u32 v78, vcc_lo, s8, v78
	v_add_co_ci_u32_e32 v79, vcc_lo, s9, v79, vcc_lo
	global_store_b32 v[80:81], v76, off
	global_store_b32 v[78:79], v77, off
.LBB1059_14:
	s_or_b32 exec_lo, exec_lo, s2
	s_waitcnt lgkmcnt(0)
	s_waitcnt_vscnt null, 0x0
	s_barrier
	buffer_gl0_inv
	ds_load_b128 v[84:87], v73
	ds_load_b128 v[88:91], v73 offset:16
	ds_load_b128 v[96:99], v73 offset:2064
	;; [unrolled: 1-line block ×5, first 2 shown]
	v_cmp_eq_u32_e32 vcc_lo, 1, v70
	v_mov_b32_e32 v76, 0
	ds_load_b128 v[112:115], v73 offset:6160
	ds_load_b128 v[108:111], v73 offset:6144
	;; [unrolled: 1-line block ×4, first 2 shown]
	v_cmp_eq_u32_e64 s3, 1, v69
	v_cmp_eq_u32_e64 s2, 1, v72
	;; [unrolled: 1-line block ×3, first 2 shown]
	v_mov_b32_e32 v77, v76
	v_mov_b32_e32 v78, v76
	;; [unrolled: 1-line block ×7, first 2 shown]
	v_cmp_eq_u32_e64 s5, 3, v72
	v_cmp_eq_u32_e64 s6, 7, v72
	s_waitcnt lgkmcnt(8)
	s_delay_alu instid0(VALU_DEP_3)
	v_wmma_f32_16x16x16_f16 v[76:83], v[49:56], v[84:91], v[76:83]
	ds_load_b128 v[53:56], v73 offset:10256
	ds_load_b128 v[49:52], v73 offset:10240
	s_waitcnt lgkmcnt(8)
	v_wmma_f32_16x16x16_f16 v[76:83], v[41:48], v[92:99], v[76:83]
	ds_load_b128 v[45:48], v73 offset:12304
	ds_load_b128 v[41:44], v73 offset:12288
	s_waitcnt lgkmcnt(8)
	v_wmma_f32_16x16x16_f16 v[76:83], v[33:40], v[100:107], v[76:83]
	ds_load_b128 v[37:40], v73 offset:14352
	ds_load_b128 v[33:36], v73 offset:14336
	s_waitcnt lgkmcnt(0)
	s_barrier
	buffer_gl0_inv
	v_wmma_f32_16x16x16_f16 v[76:83], v[1:8], v[108:115], v[76:83]
	s_delay_alu instid0(VALU_DEP_1) | instskip(NEXT) | instid1(VALU_DEP_1)
	v_wmma_f32_16x16x16_f16 v[76:83], v[9:16], v[116:123], v[76:83]
	v_wmma_f32_16x16x16_f16 v[76:83], v[17:24], v[49:56], v[76:83]
	s_delay_alu instid0(VALU_DEP_1) | instskip(NEXT) | instid1(VALU_DEP_1)
	v_wmma_f32_16x16x16_f16 v[76:83], v[25:32], v[41:48], v[76:83]
	v_wmma_f32_16x16x16_f16 v[76:83], v[57:64], v[33:40], v[76:83]
	s_delay_alu instid0(VALU_DEP_1) | instskip(NEXT) | instid1(VALU_DEP_2)
	v_cvt_f16_f32_e32 v1, v76
	v_cvt_f16_f32_e32 v2, v77
	s_delay_alu instid0(VALU_DEP_3) | instskip(NEXT) | instid1(VALU_DEP_4)
	v_cvt_f16_f32_e32 v3, v78
	v_cvt_f16_f32_e32 v4, v79
	v_cvt_f16_f32_e32 v5, v80
	v_cvt_f16_f32_e32 v6, v81
	v_cvt_f16_f32_e32 v7, v82
	v_cvt_f16_f32_e32 v8, v83
	v_pack_b32_f16 v1, v1, v2
	v_pack_b32_f16 v2, v3, v4
	;; [unrolled: 1-line block ×3, first 2 shown]
	s_delay_alu instid0(VALU_DEP_4)
	v_pack_b32_f16 v4, v7, v8
	ds_store_b128 v74, v[1:4]
	s_waitcnt lgkmcnt(0)
	s_barrier
	buffer_gl0_inv
	ds_load_b128 v[1:4], v75
	ds_load_b128 v[5:8], v75 offset:16
	s_waitcnt lgkmcnt(1)
	v_lshrrev_b32_e32 v9, 16, v1
	s_waitcnt lgkmcnt(0)
	v_lshrrev_b32_e32 v13, 16, v5
	v_lshrrev_b32_e32 v10, 16, v2
	;; [unrolled: 1-line block ×4, first 2 shown]
	v_cndmask_b32_e32 v17, v1, v9, vcc_lo
	v_cndmask_b32_e32 v18, v5, v13, vcc_lo
	v_cndmask_b32_e64 v21, v1, v9, s3
	v_cmp_eq_u32_e32 vcc_lo, 1, v71
	v_cndmask_b32_e64 v22, v5, v13, s3
	v_cmp_eq_u32_e64 s3, 2, v70
	v_cndmask_b32_e64 v19, v1, v9, s2
	v_cndmask_b32_e64 v20, v5, v13, s2
	v_cndmask_b32_e32 v1, v1, v9, vcc_lo
	v_cmp_eq_u32_e64 s2, 2, v71
	v_cndmask_b32_e32 v5, v5, v13, vcc_lo
	v_cndmask_b32_e64 v9, v17, v2, s3
	v_cmp_eq_u32_e32 vcc_lo, 3, v70
	v_cndmask_b32_e64 v13, v18, v6, s3
	v_cmp_eq_u32_e64 s3, 2, v69
	v_cndmask_b32_e64 v17, v19, v2, s4
	v_cndmask_b32_e64 v18, v20, v6, s4
	v_cmp_eq_u32_e64 s4, 3, v69
	v_cndmask_b32_e64 v1, v1, v2, s2
	v_cndmask_b32_e64 v19, v21, v2, s3
	;; [unrolled: 1-line block ×4, first 2 shown]
	v_cndmask_b32_e32 v5, v9, v10, vcc_lo
	v_cndmask_b32_e32 v6, v13, v14, vcc_lo
	v_cmp_eq_u32_e32 vcc_lo, 3, v71
	v_cndmask_b32_e64 v9, v17, v10, s5
	v_cndmask_b32_e64 v13, v18, v14, s5
	;; [unrolled: 1-line block ×3, first 2 shown]
	v_cmp_eq_u32_e64 s3, 4, v70
	v_cndmask_b32_e32 v1, v1, v10, vcc_lo
	v_cndmask_b32_e32 v2, v2, v14, vcc_lo
	v_cmp_eq_u32_e32 vcc_lo, 4, v72
	v_lshrrev_b32_e32 v15, 16, v7
	v_lshrrev_b32_e32 v16, 16, v8
	v_cndmask_b32_e64 v17, v19, v10, s4
	v_cmp_eq_u32_e64 s2, 4, v71
	v_cndmask_b32_e64 v5, v5, v3, s3
	v_cndmask_b32_e64 v6, v6, v7, s3
	v_cndmask_b32_e32 v9, v9, v3, vcc_lo
	v_cmp_eq_u32_e64 s3, 5, v72
	v_cndmask_b32_e32 v10, v13, v7, vcc_lo
	v_cmp_eq_u32_e32 vcc_lo, 4, v69
	v_cmp_eq_u32_e64 s4, 5, v70
	v_cndmask_b32_e64 v2, v2, v7, s2
	v_cndmask_b32_e64 v9, v9, v11, s3
	;; [unrolled: 1-line block ×3, first 2 shown]
	v_cndmask_b32_e32 v13, v17, v3, vcc_lo
	v_cmp_eq_u32_e64 s3, 5, v69
	v_cndmask_b32_e32 v14, v18, v7, vcc_lo
	v_cndmask_b32_e64 v1, v1, v3, s2
	v_cmp_eq_u32_e32 vcc_lo, 5, v71
	v_lshrrev_b32_e32 v12, 16, v4
	v_cndmask_b32_e64 v13, v13, v11, s3
	v_cndmask_b32_e64 v3, v14, v15, s3
	v_cmp_eq_u32_e64 s3, 6, v71
	v_cndmask_b32_e32 v1, v1, v11, vcc_lo
	v_cndmask_b32_e64 v5, v5, v11, s4
	v_cmp_eq_u32_e64 s5, 6, v70
	v_cndmask_b32_e64 v6, v6, v15, s4
	v_cmp_eq_u32_e64 s4, 6, v72
	v_cmp_eq_u32_e64 s2, 6, v69
	v_cndmask_b32_e64 v1, v1, v4, s3
	v_cndmask_b32_e32 v2, v2, v15, vcc_lo
	v_cmp_eq_u32_e32 vcc_lo, 7, v71
	v_cndmask_b32_e64 v5, v5, v4, s5
	v_cndmask_b32_e64 v9, v9, v4, s4
	;; [unrolled: 1-line block ×3, first 2 shown]
	v_cmp_eq_u32_e64 s5, 7, v70
	v_cndmask_b32_e32 v1, v1, v12, vcc_lo
	v_cndmask_b32_e64 v7, v13, v4, s2
	v_cndmask_b32_e64 v3, v3, v8, s2
	;; [unrolled: 1-line block ×3, first 2 shown]
	v_cmp_eq_u32_e64 s2, 7, v69
	v_cndmask_b32_e64 v4, v10, v8, s4
	v_cndmask_b32_e64 v5, v5, v12, s5
	;; [unrolled: 1-line block ×3, first 2 shown]
	v_cndmask_b32_e32 v2, v2, v16, vcc_lo
	v_cndmask_b32_e64 v7, v7, v12, s2
	v_cndmask_b32_e64 v3, v3, v16, s2
	;; [unrolled: 1-line block ×4, first 2 shown]
	v_perm_b32 v4, v2, v1, 0x5040100
	s_mov_b32 s2, exec_lo
	v_perm_b32 v3, v3, v7, 0x5040100
	v_perm_b32 v2, v8, v9, 0x5040100
	;; [unrolled: 1-line block ×3, first 2 shown]
	ds_store_b128 v74, v[1:4]
	s_waitcnt lgkmcnt(0)
	s_barrier
	buffer_gl0_inv
	v_cmpx_gt_u32_e32 32, v0
	s_cbranch_execz .LBB1059_2
; %bb.15:
	s_load_b64 s[0:1], s[0:1], 0x68
	s_lshl_b32 s4, s34, 7
	v_or_b32_e32 v2, s31, v66
	s_mul_i32 s2, s4, s30
	v_lshlrev_b32_e32 v0, 10, v0
	s_mul_i32 s2, s2, s7
	v_lshlrev_b32_e32 v1, 4, v67
	s_ashr_i32 s3, s2, 31
	v_mul_lo_u32 v20, v2, s4
	s_lshl_b64 s[2:3], s[2:3], 1
	v_lshlrev_b32_e32 v3, 6, v66
	v_and_b32_e32 v0, 0x3800, v0
	s_delay_alu instid0(VALU_DEP_1) | instskip(NEXT) | instid1(VALU_DEP_4)
	v_or3_b32 v16, v0, v1, v3
	v_ashrrev_i32_e32 v21, 31, v20
	ds_load_b128 v[0:3], v16
	ds_load_b128 v[4:7], v16 offset:128
	s_waitcnt lgkmcnt(0)
	s_add_u32 s2, s0, s2
	s_addc_u32 s3, s1, s3
	s_lshl_b32 s0, s14, 7
	ds_load_b128 v[8:11], v16 offset:256
	ds_load_b128 v[12:15], v16 offset:384
	;; [unrolled: 1-line block ×3, first 2 shown]
	s_ashr_i32 s1, s0, 31
	s_delay_alu instid0(SALU_CYCLE_1) | instskip(NEXT) | instid1(SALU_CYCLE_1)
	s_lshl_b64 s[0:1], s[0:1], 1
	s_add_u32 s0, s2, s0
	s_addc_u32 s1, s3, s1
	s_lshl_b32 s2, s34, 8
	v_add_co_u32 v30, s0, s0, v65
	v_add_nc_u32_e32 v22, s2, v20
	v_lshlrev_b64 v[20:21], 1, v[20:21]
	v_add_co_ci_u32_e64 v31, null, s1, 0, s0
	s_delay_alu instid0(VALU_DEP_3) | instskip(SKIP_1) | instid1(VALU_DEP_4)
	v_add_nc_u32_e32 v24, s2, v22
	v_ashrrev_i32_e32 v23, 31, v22
	v_add_co_u32 v20, vcc_lo, v30, v20
	s_delay_alu instid0(VALU_DEP_4) | instskip(NEXT) | instid1(VALU_DEP_4)
	v_add_co_ci_u32_e32 v21, vcc_lo, v31, v21, vcc_lo
	v_add_nc_u32_e32 v26, s2, v24
	v_ashrrev_i32_e32 v25, 31, v24
	v_lshlrev_b64 v[22:23], 1, v[22:23]
	s_delay_alu instid0(VALU_DEP_3) | instskip(SKIP_1) | instid1(VALU_DEP_4)
	v_add_nc_u32_e32 v28, s2, v26
	v_ashrrev_i32_e32 v27, 31, v26
	v_lshlrev_b64 v[24:25], 1, v[24:25]
	s_delay_alu instid0(VALU_DEP_4) | instskip(NEXT) | instid1(VALU_DEP_4)
	v_add_co_u32 v22, vcc_lo, v30, v22
	v_ashrrev_i32_e32 v29, 31, v28
	s_delay_alu instid0(VALU_DEP_4) | instskip(SKIP_2) | instid1(VALU_DEP_4)
	v_lshlrev_b64 v[26:27], 1, v[26:27]
	v_add_co_ci_u32_e32 v23, vcc_lo, v31, v23, vcc_lo
	v_add_co_u32 v24, vcc_lo, v30, v24
	v_lshlrev_b64 v[28:29], 1, v[28:29]
	v_add_co_ci_u32_e32 v25, vcc_lo, v31, v25, vcc_lo
	v_add_co_u32 v26, vcc_lo, v30, v26
	v_add_co_ci_u32_e32 v27, vcc_lo, v31, v27, vcc_lo
	s_delay_alu instid0(VALU_DEP_4)
	v_add_co_u32 v28, vcc_lo, v30, v28
	v_add_co_ci_u32_e32 v29, vcc_lo, v31, v29, vcc_lo
	s_clause 0x1
	global_store_b128 v[20:21], v[0:3], off
	global_store_b128 v[22:23], v[4:7], off
	s_waitcnt lgkmcnt(2)
	global_store_b128 v[24:25], v[8:11], off
	s_waitcnt lgkmcnt(1)
	;; [unrolled: 2-line block ×3, first 2 shown]
	global_store_b128 v[28:29], v[16:19], off
	s_nop 0
	s_sendmsg sendmsg(MSG_DEALLOC_VGPRS)
	s_endpgm
	.section	.rodata,"a",@progbits
	.p2align	6, 0x0
	.amdhsa_kernel _Z39paged_attention_ll4mi_QKV_mfma16_kernelIDF16_hLN4vllm18Fp8KVCacheDataTypeE1EDF16_Li32ELi128ELi256ELb1ELi10EL8MFMAType1EEvPKT_PKT0_S8_ifPKiSA_SA_iPKfiiiPfSD_PS3_PT2_iSC_SC_
		.amdhsa_group_segment_fixed_size 17472
		.amdhsa_private_segment_fixed_size 0
		.amdhsa_kernarg_size 400
		.amdhsa_user_sgpr_count 13
		.amdhsa_user_sgpr_dispatch_ptr 0
		.amdhsa_user_sgpr_queue_ptr 0
		.amdhsa_user_sgpr_kernarg_segment_ptr 1
		.amdhsa_user_sgpr_dispatch_id 0
		.amdhsa_user_sgpr_private_segment_size 0
		.amdhsa_wavefront_size32 1
		.amdhsa_uses_dynamic_stack 0
		.amdhsa_enable_private_segment 0
		.amdhsa_system_sgpr_workgroup_id_x 1
		.amdhsa_system_sgpr_workgroup_id_y 1
		.amdhsa_system_sgpr_workgroup_id_z 1
		.amdhsa_system_sgpr_workgroup_info 0
		.amdhsa_system_vgpr_workitem_id 0
		.amdhsa_next_free_vgpr 150
		.amdhsa_next_free_sgpr 37
		.amdhsa_reserve_vcc 1
		.amdhsa_float_round_mode_32 0
		.amdhsa_float_round_mode_16_64 0
		.amdhsa_float_denorm_mode_32 3
		.amdhsa_float_denorm_mode_16_64 3
		.amdhsa_dx10_clamp 1
		.amdhsa_ieee_mode 1
		.amdhsa_fp16_overflow 0
		.amdhsa_workgroup_processor_mode 1
		.amdhsa_memory_ordered 1
		.amdhsa_forward_progress 0
		.amdhsa_shared_vgpr_count 0
		.amdhsa_exception_fp_ieee_invalid_op 0
		.amdhsa_exception_fp_denorm_src 0
		.amdhsa_exception_fp_ieee_div_zero 0
		.amdhsa_exception_fp_ieee_overflow 0
		.amdhsa_exception_fp_ieee_underflow 0
		.amdhsa_exception_fp_ieee_inexact 0
		.amdhsa_exception_int_div_zero 0
	.end_amdhsa_kernel
	.section	.text._Z39paged_attention_ll4mi_QKV_mfma16_kernelIDF16_hLN4vllm18Fp8KVCacheDataTypeE1EDF16_Li32ELi128ELi256ELb1ELi10EL8MFMAType1EEvPKT_PKT0_S8_ifPKiSA_SA_iPKfiiiPfSD_PS3_PT2_iSC_SC_,"axG",@progbits,_Z39paged_attention_ll4mi_QKV_mfma16_kernelIDF16_hLN4vllm18Fp8KVCacheDataTypeE1EDF16_Li32ELi128ELi256ELb1ELi10EL8MFMAType1EEvPKT_PKT0_S8_ifPKiSA_SA_iPKfiiiPfSD_PS3_PT2_iSC_SC_,comdat
.Lfunc_end1059:
	.size	_Z39paged_attention_ll4mi_QKV_mfma16_kernelIDF16_hLN4vllm18Fp8KVCacheDataTypeE1EDF16_Li32ELi128ELi256ELb1ELi10EL8MFMAType1EEvPKT_PKT0_S8_ifPKiSA_SA_iPKfiiiPfSD_PS3_PT2_iSC_SC_, .Lfunc_end1059-_Z39paged_attention_ll4mi_QKV_mfma16_kernelIDF16_hLN4vllm18Fp8KVCacheDataTypeE1EDF16_Li32ELi128ELi256ELb1ELi10EL8MFMAType1EEvPKT_PKT0_S8_ifPKiSA_SA_iPKfiiiPfSD_PS3_PT2_iSC_SC_
                                        ; -- End function
	.section	.AMDGPU.csdata,"",@progbits
; Kernel info:
; codeLenInByte = 6708
; NumSgprs: 39
; NumVgprs: 150
; ScratchSize: 0
; MemoryBound: 0
; FloatMode: 240
; IeeeMode: 1
; LDSByteSize: 17472 bytes/workgroup (compile time only)
; SGPRBlocks: 4
; VGPRBlocks: 18
; NumSGPRsForWavesPerEU: 39
; NumVGPRsForWavesPerEU: 150
; Occupancy: 9
; WaveLimiterHint : 1
; COMPUTE_PGM_RSRC2:SCRATCH_EN: 0
; COMPUTE_PGM_RSRC2:USER_SGPR: 13
; COMPUTE_PGM_RSRC2:TRAP_HANDLER: 0
; COMPUTE_PGM_RSRC2:TGID_X_EN: 1
; COMPUTE_PGM_RSRC2:TGID_Y_EN: 1
; COMPUTE_PGM_RSRC2:TGID_Z_EN: 1
; COMPUTE_PGM_RSRC2:TIDIG_COMP_CNT: 0
	.section	.text._Z39paged_attention_ll4mi_QKV_mfma16_kernelIDF16_hLN4vllm18Fp8KVCacheDataTypeE1EDF16_Li32ELi128ELi256ELb1ELi11EL8MFMAType1EEvPKT_PKT0_S8_ifPKiSA_SA_iPKfiiiPfSD_PS3_PT2_iSC_SC_,"axG",@progbits,_Z39paged_attention_ll4mi_QKV_mfma16_kernelIDF16_hLN4vllm18Fp8KVCacheDataTypeE1EDF16_Li32ELi128ELi256ELb1ELi11EL8MFMAType1EEvPKT_PKT0_S8_ifPKiSA_SA_iPKfiiiPfSD_PS3_PT2_iSC_SC_,comdat
	.protected	_Z39paged_attention_ll4mi_QKV_mfma16_kernelIDF16_hLN4vllm18Fp8KVCacheDataTypeE1EDF16_Li32ELi128ELi256ELb1ELi11EL8MFMAType1EEvPKT_PKT0_S8_ifPKiSA_SA_iPKfiiiPfSD_PS3_PT2_iSC_SC_ ; -- Begin function _Z39paged_attention_ll4mi_QKV_mfma16_kernelIDF16_hLN4vllm18Fp8KVCacheDataTypeE1EDF16_Li32ELi128ELi256ELb1ELi11EL8MFMAType1EEvPKT_PKT0_S8_ifPKiSA_SA_iPKfiiiPfSD_PS3_PT2_iSC_SC_
	.globl	_Z39paged_attention_ll4mi_QKV_mfma16_kernelIDF16_hLN4vllm18Fp8KVCacheDataTypeE1EDF16_Li32ELi128ELi256ELb1ELi11EL8MFMAType1EEvPKT_PKT0_S8_ifPKiSA_SA_iPKfiiiPfSD_PS3_PT2_iSC_SC_
	.p2align	8
	.type	_Z39paged_attention_ll4mi_QKV_mfma16_kernelIDF16_hLN4vllm18Fp8KVCacheDataTypeE1EDF16_Li32ELi128ELi256ELb1ELi11EL8MFMAType1EEvPKT_PKT0_S8_ifPKiSA_SA_iPKfiiiPfSD_PS3_PT2_iSC_SC_,@function
_Z39paged_attention_ll4mi_QKV_mfma16_kernelIDF16_hLN4vllm18Fp8KVCacheDataTypeE1EDF16_Li32ELi128ELi256ELb1ELi11EL8MFMAType1EEvPKT_PKT0_S8_ifPKiSA_SA_iPKfiiiPfSD_PS3_PT2_iSC_SC_: ; @_Z39paged_attention_ll4mi_QKV_mfma16_kernelIDF16_hLN4vllm18Fp8KVCacheDataTypeE1EDF16_Li32ELi128ELi256ELb1ELi11EL8MFMAType1EEvPKT_PKT0_S8_ifPKiSA_SA_iPKfiiiPfSD_PS3_PT2_iSC_SC_
; %bb.0:
	s_load_b64 s[4:5], s[0:1], 0x30
	s_mov_b32 s34, s13
	s_waitcnt lgkmcnt(0)
	s_cmp_lg_u64 s[4:5], 0
	s_cselect_b32 s8, -1, 0
	s_ashr_i32 s35, s13, 31
	s_cmp_eq_u64 s[4:5], 0
	s_cbranch_scc1 .LBB1060_3
; %bb.1:
	s_lshl_b64 s[2:3], s[34:35], 2
	s_delay_alu instid0(SALU_CYCLE_1) | instskip(SKIP_4) | instid1(SALU_CYCLE_1)
	s_add_u32 s2, s4, s2
	s_addc_u32 s3, s5, s3
	s_load_b64 s[2:3], s[2:3], 0x0
	s_waitcnt lgkmcnt(0)
	s_sub_i32 s2, s3, s2
	s_cmp_eq_u32 s2, 1
	s_cselect_b32 s2, -1, 0
	s_delay_alu instid0(SALU_CYCLE_1)
	s_and_not1_b32 vcc_lo, exec_lo, s2
	s_cbranch_vccz .LBB1060_4
.LBB1060_2:
	s_nop 0
	s_sendmsg sendmsg(MSG_DEALLOC_VGPRS)
	s_endpgm
.LBB1060_3:
.LBB1060_4:
	s_load_b64 s[2:3], s[0:1], 0x28
	s_lshl_b64 s[6:7], s[34:35], 2
	s_waitcnt lgkmcnt(0)
	s_add_u32 s2, s2, s6
	s_addc_u32 s3, s3, s7
	s_lshl_b32 s12, s14, 8
	s_load_b32 s24, s[2:3], 0x0
	s_waitcnt lgkmcnt(0)
	s_cmp_ge_i32 s12, s24
	s_cbranch_scc1 .LBB1060_2
; %bb.5:
	s_clause 0x1
	s_load_b128 s[20:23], s[0:1], 0x8
	s_load_b64 s[2:3], s[0:1], 0x20
	s_and_not1_b32 vcc_lo, exec_lo, s8
	s_cbranch_vccnz .LBB1060_7
; %bb.6:
	s_add_u32 s4, s4, s6
	s_addc_u32 s5, s5, s7
	s_load_b32 s5, s[4:5], 0x0
	s_branch .LBB1060_8
.LBB1060_7:
	s_mov_b32 s5, s34
.LBB1060_8:
	s_load_b128 s[16:19], s[0:1], 0x48
	v_and_b32_e32 v68, 15, v0
	v_lshrrev_b32_e32 v69, 5, v0
	v_bfe_u32 v66, v0, 4, 1
	v_and_b32_e32 v70, 31, v0
	v_and_b32_e32 v67, 1, v0
	v_lshlrev_b32_e32 v2, 3, v68
	s_mul_i32 s31, s15, 11
	v_lshl_or_b32 v1, v69, 1, v66
	s_mov_b32 s4, exec_lo
	s_delay_alu instid0(VALU_DEP_2) | instskip(NEXT) | instid1(VALU_DEP_2)
	v_lshlrev_b32_e32 v65, 1, v2
	v_cmpx_gt_u32_e32 11, v1
	s_cbranch_execz .LBB1060_10
; %bb.9:
	s_load_b64 s[6:7], s[0:1], 0x0
	v_add_lshl_u32 v2, v1, s31, 7
	s_waitcnt lgkmcnt(0)
	s_mul_hi_i32 s9, s5, s16
	s_mul_i32 s8, s5, s16
	v_lshlrev_b32_e32 v6, 10, v68
	s_lshl_b64 s[8:9], s[8:9], 1
	v_ashrrev_i32_e32 v3, 31, v2
	v_lshlrev_b32_e32 v1, 6, v1
	v_lshlrev_b32_e32 v7, 10, v67
	v_and_b32_e32 v6, 0x3800, v6
	s_delay_alu instid0(VALU_DEP_4) | instskip(NEXT) | instid1(VALU_DEP_2)
	v_lshlrev_b64 v[2:3], 1, v[2:3]
	v_or3_b32 v1, v6, v7, v1
	s_add_u32 s5, s6, s8
	s_addc_u32 s6, s7, s9
	s_delay_alu instid0(VALU_DEP_2) | instskip(NEXT) | instid1(VALU_DEP_3)
	v_add_co_u32 v2, vcc_lo, s5, v2
	v_add_co_ci_u32_e32 v3, vcc_lo, s6, v3, vcc_lo
	s_delay_alu instid0(VALU_DEP_2) | instskip(NEXT) | instid1(VALU_DEP_2)
	v_add_co_u32 v2, vcc_lo, v2, v65
	v_add_co_ci_u32_e32 v3, vcc_lo, 0, v3, vcc_lo
	global_load_b128 v[2:5], v[2:3], off
	s_waitcnt vmcnt(0)
	ds_store_b128 v1, v[2:5]
.LBB1060_10:
	s_or_b32 exec_lo, exec_lo, s4
	v_and_b32_e32 v1, 0xef, v0
	s_waitcnt lgkmcnt(0)
	s_add_i32 s5, s24, 31
	s_clause 0x1
	s_load_b32 s4, s[0:1], 0x38
	s_load_b32 s33, s[0:1], 0x98
	s_ashr_i32 s6, s5, 31
	v_add_nc_u32_e32 v1, s12, v1
	s_lshr_b32 s6, s6, 27
	s_load_b32 s19, s[0:1], 0x1c
	s_add_i32 s5, s5, s6
	s_waitcnt lgkmcnt(0)
	v_ashrrev_i32_e32 v2, 31, v1
	v_or_b32_e32 v3, 16, v1
	s_ashr_i32 s13, s5, 5
	v_cmp_gt_i32_e32 vcc_lo, s24, v1
	s_add_i32 s13, s13, -1
	v_lshrrev_b32_e32 v2, 27, v2
	s_barrier
	buffer_gl0_inv
	s_mul_i32 s15, s15, s18
	v_add_nc_u32_e32 v4, v1, v2
	s_mul_i32 s4, s34, s4
	s_delay_alu instid0(SALU_CYCLE_1) | instskip(NEXT) | instid1(VALU_DEP_1)
	s_ashr_i32 s5, s4, 31
	v_ashrrev_i32_e32 v4, 5, v4
	v_add_nc_u32_e32 v2, v3, v2
	s_lshl_b64 s[4:5], s[4:5], 2
	s_delay_alu instid0(SALU_CYCLE_1) | instskip(NEXT) | instid1(VALU_DEP_2)
	s_add_u32 s16, s2, s4
	v_cndmask_b32_e32 v1, s13, v4, vcc_lo
	s_delay_alu instid0(VALU_DEP_2)
	v_ashrrev_i32_e32 v2, 5, v2
	v_cmp_gt_i32_e32 vcc_lo, s24, v3
	s_addc_u32 s25, s3, s5
	s_ashr_i32 s18, s15, 31
	s_add_u32 s2, s20, s15
	s_addc_u32 s3, s21, s18
	v_cndmask_b32_e32 v3, s13, v2, vcc_lo
	v_ashrrev_i32_e32 v2, 31, v1
	s_lshl_b32 s4, s14, 3
	s_delay_alu instid0(SALU_CYCLE_1) | instskip(NEXT) | instid1(VALU_DEP_2)
	s_ashr_i32 s5, s4, 31
	v_ashrrev_i32_e32 v4, 31, v3
	s_delay_alu instid0(VALU_DEP_2) | instskip(SKIP_1) | instid1(SALU_CYCLE_1)
	v_lshlrev_b64 v[1:2], 2, v[1:2]
	s_lshl_b64 s[4:5], s[4:5], 2
	s_add_u32 s4, s16, s4
	s_delay_alu instid0(VALU_DEP_2) | instskip(SKIP_1) | instid1(VALU_DEP_2)
	v_lshlrev_b64 v[3:4], 2, v[3:4]
	s_addc_u32 s5, s25, s5
	v_add_co_u32 v1, vcc_lo, s16, v1
	v_add_co_ci_u32_e32 v2, vcc_lo, s25, v2, vcc_lo
	s_delay_alu instid0(VALU_DEP_3) | instskip(NEXT) | instid1(VALU_DEP_4)
	v_add_co_u32 v3, vcc_lo, s16, v3
	v_add_co_ci_u32_e32 v4, vcc_lo, s25, v4, vcc_lo
	s_clause 0x1
	global_load_b32 v5, v[1:2], off
	global_load_b32 v6, v[3:4], off
	s_or_b32 s6, s12, 32
	s_delay_alu instid0(SALU_CYCLE_1) | instskip(SKIP_2) | instid1(SALU_CYCLE_1)
	s_ashr_i32 s7, s6, 5
	s_cmp_lt_i32 s6, s24
	s_cselect_b32 s6, s7, s13
	s_ashr_i32 s7, s6, 31
	s_delay_alu instid0(SALU_CYCLE_1) | instskip(NEXT) | instid1(SALU_CYCLE_1)
	s_lshl_b64 s[6:7], s[6:7], 2
	s_add_u32 s6, s16, s6
	s_addc_u32 s7, s25, s7
	s_or_b32 s8, s12, 64
	s_delay_alu instid0(SALU_CYCLE_1) | instskip(SKIP_2) | instid1(SALU_CYCLE_1)
	s_ashr_i32 s9, s8, 5
	s_cmp_lt_i32 s8, s24
	s_cselect_b32 s8, s9, s13
	s_ashr_i32 s9, s8, 31
	s_delay_alu instid0(SALU_CYCLE_1) | instskip(NEXT) | instid1(SALU_CYCLE_1)
	s_lshl_b64 s[8:9], s[8:9], 2
	s_add_u32 s8, s16, s8
	s_addc_u32 s9, s25, s9
	;; [unrolled: 10-line block ×5, first 2 shown]
	s_clause 0x5
	s_load_b32 s28, s[4:5], 0x0
	s_load_b32 s29, s[6:7], 0x0
	;; [unrolled: 1-line block ×6, first 2 shown]
	s_mov_b32 s4, 0
	s_delay_alu instid0(SALU_CYCLE_1)
	s_mov_b32 s5, s4
	s_mov_b32 s6, s4
	;; [unrolled: 1-line block ×7, first 2 shown]
	s_delay_alu instid0(SALU_CYCLE_1)
	v_dual_mov_b32 v118, s11 :: v_dual_mov_b32 v117, s10
	v_dual_mov_b32 v116, s9 :: v_dual_mov_b32 v115, s8
	v_mov_b32_e32 v113, s6
	v_dual_mov_b32 v111, s4 :: v_dual_mov_b32 v114, s7
	v_mov_b32_e32 v112, s5
	s_waitcnt vmcnt(1)
	v_mad_i64_i32 v[1:2], null, v5, s17, s[2:3]
	v_lshlrev_b32_e32 v5, 4, v68
	s_waitcnt vmcnt(0)
	v_mad_i64_i32 v[3:4], null, v6, s17, s[2:3]
	s_or_b32 s2, s12, 0xc0
	s_delay_alu instid0(SALU_CYCLE_1) | instskip(NEXT) | instid1(VALU_DEP_3)
	s_ashr_i32 s3, s2, 5
	v_add_co_u32 v1, vcc_lo, v1, v5
	s_delay_alu instid0(VALU_DEP_4) | instskip(NEXT) | instid1(VALU_DEP_3)
	v_add_co_ci_u32_e32 v2, vcc_lo, 0, v2, vcc_lo
	v_add_co_u32 v3, vcc_lo, v3, v5
	s_delay_alu instid0(VALU_DEP_4)
	v_add_co_ci_u32_e32 v4, vcc_lo, 0, v4, vcc_lo
	s_clause 0xf
	global_load_b128 v[17:20], v[1:2], off
	global_load_b128 v[21:24], v[1:2], off offset:512
	global_load_b128 v[25:28], v[3:4], off offset:256
	global_load_b128 v[29:32], v[3:4], off offset:768
	global_load_b128 v[57:60], v[1:2], off offset:1024
	global_load_b128 v[61:64], v[1:2], off offset:1536
	global_load_b128 v[71:74], v[3:4], off offset:1280
	global_load_b128 v[75:78], v[3:4], off offset:1792
	global_load_b128 v[79:82], v[1:2], off offset:2048
	global_load_b128 v[83:86], v[1:2], off offset:2560
	global_load_b128 v[87:90], v[3:4], off offset:2304
	global_load_b128 v[91:94], v[3:4], off offset:2816
	global_load_b128 v[95:98], v[1:2], off offset:3072
	global_load_b128 v[99:102], v[1:2], off offset:3584
	global_load_b128 v[103:106], v[3:4], off offset:3328
	global_load_b128 v[107:110], v[3:4], off offset:3840
	s_cmp_lt_i32 s2, s24
	v_add_nc_u32_e32 v1, -11, v68
	s_cselect_b32 s2, s3, s13
	v_cmp_gt_u32_e32 vcc_lo, 11, v68
	s_ashr_i32 s3, s2, 31
	v_lshlrev_b32_e32 v2, 5, v68
	s_lshl_b64 s[2:3], s[2:3], 2
	s_delay_alu instid0(SALU_CYCLE_1)
	s_add_u32 s2, s16, s2
	s_addc_u32 s3, s25, s3
	s_or_b32 s20, s12, 0xe0
	v_cndmask_b32_e32 v1, v1, v68, vcc_lo
	s_ashr_i32 s21, s20, 5
	s_cmp_lt_i32 s20, s24
	s_cselect_b32 s20, s21, s13
	s_delay_alu instid0(VALU_DEP_1)
	v_lshlrev_b32_e32 v149, 6, v1
	s_ashr_i32 s21, s20, 31
	v_lshl_or_b32 v1, v69, 9, v2
	s_lshl_b64 s[4:5], s[20:21], 2
	ds_load_b128 v[119:122], v149
	ds_load_b128 v[123:126], v149 offset:1024
	s_add_u32 s4, s16, s4
	s_addc_u32 s5, s25, s5
	ds_load_b128 v[127:130], v149 offset:2048
	ds_load_b128 v[131:134], v149 offset:3072
	s_clause 0x1
	s_load_b32 s2, s[2:3], 0x0
	s_load_b32 s3, s[4:5], 0x0
	s_add_u32 s6, s22, s15
	s_addc_u32 s7, s23, s18
	v_add_co_u32 v135, s6, s6, v1
	s_delay_alu instid0(VALU_DEP_1) | instskip(SKIP_1) | instid1(VALU_DEP_1)
	v_add_co_ci_u32_e64 v136, null, s7, 0, s6
	s_waitcnt lgkmcnt(0)
	v_mad_i64_i32 v[1:2], null, s28, s17, v[135:136]
	v_mad_i64_i32 v[3:4], null, s29, s17, v[135:136]
	;; [unrolled: 1-line block ×6, first 2 shown]
	s_clause 0x9
	global_load_b128 v[49:52], v[1:2], off
	global_load_b128 v[53:56], v[1:2], off offset:16
	global_load_b128 v[41:44], v[3:4], off
	global_load_b128 v[45:48], v[3:4], off offset:16
	;; [unrolled: 2-line block ×5, first 2 shown]
	v_mad_i64_i32 v[145:146], null, s2, s17, v[135:136]
	v_mad_i64_i32 v[147:148], null, s3, s17, v[135:136]
	s_waitcnt vmcnt(24)
	v_wmma_f32_16x16x16_f16 v[135:142], v[17:24], v[119:126], v[111:118]
	s_waitcnt vmcnt(22)
	v_wmma_f32_16x16x16_f16 v[111:118], v[25:32], v[119:126], v[111:118]
	s_clause 0x3
	global_load_b128 v[17:20], v[143:144], off
	global_load_b128 v[21:24], v[143:144], off offset:16
	global_load_b128 v[25:28], v[145:146], off
	global_load_b128 v[29:32], v[145:146], off offset:16
	v_and_b32_e32 v119, 0xe0, v0
	s_waitcnt vmcnt(24)
	v_wmma_f32_16x16x16_f16 v[135:142], v[57:64], v[127:134], v[135:142]
	s_clause 0x1
	global_load_b128 v[57:60], v[147:148], off
	global_load_b128 v[61:64], v[147:148], off offset:16
	s_waitcnt vmcnt(24)
	v_wmma_f32_16x16x16_f16 v[111:118], v[71:78], v[127:134], v[111:118]
	ds_load_b128 v[71:74], v149 offset:4096
	ds_load_b128 v[75:78], v149 offset:5120
	v_add_nc_u32_e32 v128, s12, v119
	ds_load_b128 v[119:122], v149 offset:6144
	ds_load_b128 v[123:126], v149 offset:7168
	v_mbcnt_lo_u32_b32 v127, -1, 0
	s_waitcnt vmcnt(0) lgkmcnt(0)
	s_barrier
	v_or_b32_e32 v128, v128, v66
	buffer_gl0_inv
	v_xor_b32_e32 v129, 16, v127
	v_or_b32_e32 v130, 4, v128
	v_or_b32_e32 v131, 6, v128
	s_delay_alu instid0(VALU_DEP_3) | instskip(SKIP_4) | instid1(VALU_DEP_4)
	v_cmp_gt_i32_e32 vcc_lo, 32, v129
	v_or_b32_e32 v132, 8, v128
	v_or_b32_e32 v133, 10, v128
	v_cmp_gt_i32_e64 s3, s24, v130
	v_cmp_gt_i32_e64 s4, s24, v131
	;; [unrolled: 1-line block ×3, first 2 shown]
	v_wmma_f32_16x16x16_f16 v[135:142], v[79:86], v[71:78], v[135:142]
	v_wmma_f32_16x16x16_f16 v[111:118], v[87:94], v[71:78], v[111:118]
	v_or_b32_e32 v79, 12, v128
	v_or_b32_e32 v80, 14, v128
	v_cmp_gt_i32_e64 s6, s24, v133
	v_wmma_f32_16x16x16_f16 v[135:142], v[95:102], v[119:126], v[135:142]
	v_wmma_f32_16x16x16_f16 v[111:118], v[103:110], v[119:126], v[111:118]
	v_cndmask_b32_e32 v127, v127, v129, vcc_lo
	v_or_b32_e32 v129, 2, v128
	v_cmp_gt_i32_e32 vcc_lo, s24, v128
	s_delay_alu instid0(VALU_DEP_4) | instskip(SKIP_1) | instid1(VALU_DEP_4)
	v_dual_mul_f32 v87, s19, v136 :: v_dual_mul_f32 v94, s19, v113
	v_mul_f32_e32 v88, s19, v135
	v_cmp_gt_i32_e64 s2, s24, v129
	v_mul_f32_e32 v78, s19, v138
	v_mul_f32_e32 v86, s19, v137
	;; [unrolled: 1-line block ×3, first 2 shown]
	v_cndmask_b32_e32 v88, 0xff7fffff, v88, vcc_lo
	v_cndmask_b32_e64 v87, 0xff7fffff, v87, s2
	v_dual_mul_f32 v77, s19, v139 :: v_dual_mul_f32 v90, s19, v117
	v_cndmask_b32_e64 v86, 0xff7fffff, v86, s3
	v_cndmask_b32_e64 v78, 0xff7fffff, v78, s4
	s_delay_alu instid0(VALU_DEP_4)
	v_max3_f32 v87, v88, 0xff7fffff, v87
	v_or_b32_e32 v81, 16, v128
	v_or_b32_e32 v82, 18, v128
	v_dual_mul_f32 v74, s19, v142 :: v_dual_mul_f32 v75, s19, v141
	v_mul_f32_e32 v96, s19, v111
	v_cndmask_b32_e64 v77, 0xff7fffff, v77, s5
	v_cndmask_b32_e64 v76, 0xff7fffff, v76, s6
	v_max3_f32 v78, v87, v86, v78
	v_cmp_gt_i32_e64 s7, s24, v79
	v_cmp_gt_i32_e64 s8, s24, v80
	v_or_b32_e32 v83, 20, v128
	v_or_b32_e32 v84, 22, v128
	v_mul_f32_e32 v95, s19, v112
	v_cndmask_b32_e64 v75, 0xff7fffff, v75, s7
	v_cndmask_b32_e64 v74, 0xff7fffff, v74, s8
	v_max3_f32 v76, v78, v77, v76
	v_cmp_gt_i32_e64 s9, s24, v81
	v_cmp_gt_i32_e64 s10, s24, v82
	v_or_b32_e32 v85, 24, v128
	v_or_b32_e32 v71, 26, v128
	;; [unrolled: 8-line block ×3, first 2 shown]
	v_dual_mul_f32 v91, s19, v116 :: v_dual_mul_f32 v92, s19, v115
	v_cndmask_b32_e64 v75, 0xff7fffff, v94, s11
	v_cndmask_b32_e64 v76, 0xff7fffff, v93, s12
	v_max3_f32 v74, v74, v77, v78
	v_cmp_gt_i32_e64 s13, s24, v85
	v_cmp_gt_i32_e64 s15, s24, v71
	v_mul_f32_e32 v89, s19, v118
	v_cmp_gt_i32_e64 s16, s24, v72
	v_max3_f32 v74, v74, v75, v76
	v_cndmask_b32_e64 v77, 0xff7fffff, v92, s13
	v_cndmask_b32_e64 v71, 0xff7fffff, v91, s15
	v_cmp_gt_i32_e64 s17, s24, v73
	v_cndmask_b32_e64 v72, 0xff7fffff, v90, s16
	s_delay_alu instid0(VALU_DEP_3) | instskip(SKIP_1) | instid1(VALU_DEP_4)
	v_max3_f32 v71, v74, v77, v71
	v_lshlrev_b32_e32 v74, 2, v127
	v_cndmask_b32_e64 v73, 0xff7fffff, v89, s17
	s_delay_alu instid0(VALU_DEP_1) | instskip(SKIP_3) | instid1(VALU_DEP_1)
	v_max3_f32 v71, v71, v72, v73
	ds_bpermute_b32 v72, v74, v71
	s_waitcnt lgkmcnt(0)
	v_max_f32_e32 v72, v72, v72
	v_max_f32_e32 v71, v71, v72
	s_delay_alu instid0(VALU_DEP_1) | instskip(SKIP_4) | instid1(VALU_DEP_4)
	v_fma_f32 v72, s19, v135, -v71
	v_fma_f32 v73, s19, v136, -v71
	;; [unrolled: 1-line block ×5, first 2 shown]
	v_dual_mul_f32 v72, 0x3fb8aa3b, v72 :: v_dual_mul_f32 v73, 0x3fb8aa3b, v73
	s_delay_alu instid0(VALU_DEP_3) | instskip(SKIP_1) | instid1(VALU_DEP_3)
	v_dual_mul_f32 v75, 0x3fb8aa3b, v75 :: v_dual_mul_f32 v76, 0x3fb8aa3b, v76
	v_fma_f32 v80, s19, v141, -v71
	v_exp_f32_e32 v72, v72
	s_delay_alu instid0(VALU_DEP_3) | instskip(NEXT) | instid1(VALU_DEP_2)
	v_exp_f32_e32 v73, v73
	v_exp_f32_e32 v75, v75
	;; [unrolled: 1-line block ×3, first 2 shown]
	v_mul_f32_e32 v82, 0x3fb8aa3b, v80
	s_delay_alu instid0(VALU_DEP_1) | instskip(SKIP_4) | instid1(TRANS32_DEP_3)
	v_exp_f32_e32 v84, v82
	v_cndmask_b32_e32 v79, 0, v72, vcc_lo
	v_fma_f32 v72, s19, v140, -v71
	v_mul_f32_e32 v77, 0x3fb8aa3b, v77
	v_cndmask_b32_e64 v78, 0, v73, s2
	v_cndmask_b32_e64 v81, 0, v75, s3
	s_delay_alu instid0(VALU_DEP_4) | instskip(NEXT) | instid1(VALU_DEP_4)
	v_dual_add_f32 v73, 0, v79 :: v_dual_mul_f32 v72, 0x3fb8aa3b, v72
	v_exp_f32_e32 v77, v77
	v_cndmask_b32_e64 v80, 0, v76, s4
	s_delay_alu instid0(TRANS32_DEP_2) | instskip(NEXT) | instid1(VALU_DEP_3)
	v_cndmask_b32_e64 v85, 0, v84, s7
	v_add_f32_e32 v73, v73, v78
	v_exp_f32_e32 v72, v72
	v_cmp_gt_u32_e64 s2, 16, v70
	s_delay_alu instid0(VALU_DEP_2) | instskip(NEXT) | instid1(TRANS32_DEP_2)
	v_add_f32_e32 v73, v73, v81
	v_cndmask_b32_e64 v83, 0, v77, s5
	s_delay_alu instid0(VALU_DEP_2) | instskip(SKIP_3) | instid1(VALU_DEP_1)
	v_add_f32_e32 v73, v73, v80
	s_waitcnt_depctr 0xfff
	v_cndmask_b32_e64 v82, 0, v72, s6
	v_add_f32_e32 v72, v73, v83
	v_add_f32_e32 v72, v72, v82
	s_delay_alu instid0(VALU_DEP_1)
	v_add_f32_e32 v72, v72, v85
	v_fma_f32 v76, s19, v111, -v71
	v_fma_f32 v75, s19, v142, -v71
	;; [unrolled: 1-line block ×5, first 2 shown]
	s_delay_alu instid0(VALU_DEP_4) | instskip(NEXT) | instid1(VALU_DEP_3)
	v_dual_mul_f32 v76, 0x3fb8aa3b, v76 :: v_dual_mul_f32 v75, 0x3fb8aa3b, v75
	v_mul_f32_e32 v86, 0x3fb8aa3b, v86
	s_delay_alu instid0(VALU_DEP_2) | instskip(NEXT) | instid1(VALU_DEP_2)
	v_exp_f32_e32 v76, v76
	v_exp_f32_e32 v75, v75
	s_delay_alu instid0(VALU_DEP_1) | instskip(NEXT) | instid1(TRANS32_DEP_3)
	v_exp_f32_e32 v88, v86
	v_cndmask_b32_e64 v87, 0, v76, s9
	v_fma_f32 v76, s19, v116, -v71
	v_mul_f32_e32 v77, 0x3fb8aa3b, v77
	s_waitcnt_depctr 0xfff
	v_cndmask_b32_e64 v84, 0, v75, s8
	v_fma_f32 v75, s19, v115, -v71
	v_cndmask_b32_e64 v88, 0, v88, s12
	v_mul_f32_e32 v76, 0x3fb8aa3b, v76
	v_exp_f32_e32 v77, v77
	v_add_f32_e32 v72, v72, v84
	s_delay_alu instid0(VALU_DEP_2) | instskip(NEXT) | instid1(VALU_DEP_1)
	v_exp_f32_e32 v76, v76
	v_add_f32_e32 v72, v72, v87
	s_waitcnt_depctr 0xfff
	v_cndmask_b32_e64 v86, 0, v77, s10
	v_mul_f32_e32 v73, 0x3fb8aa3b, v73
	v_fma_f32 v77, s19, v117, -v71
	v_cndmask_b32_e64 v90, 0, v76, s15
	s_delay_alu instid0(VALU_DEP_4) | instskip(NEXT) | instid1(VALU_DEP_4)
	v_add_f32_e32 v72, v72, v86
	v_exp_f32_e32 v73, v73
	s_waitcnt_depctr 0xfff
	v_cndmask_b32_e64 v89, 0, v73, s11
	s_delay_alu instid0(VALU_DEP_1) | instskip(NEXT) | instid1(VALU_DEP_1)
	v_dual_mul_f32 v75, 0x3fb8aa3b, v75 :: v_dual_add_f32 v72, v72, v89
	v_exp_f32_e32 v75, v75
	v_mul_f32_e32 v73, 0x3fb8aa3b, v77
	v_fma_f32 v77, s19, v118, -v71
	s_delay_alu instid0(VALU_DEP_3) | instskip(NEXT) | instid1(VALU_DEP_3)
	v_add_f32_e32 v72, v72, v88
	v_exp_f32_e32 v73, v73
	s_waitcnt_depctr 0xfff
	v_cndmask_b32_e64 v91, 0, v75, s13
	s_delay_alu instid0(VALU_DEP_1) | instskip(NEXT) | instid1(VALU_DEP_1)
	v_dual_mul_f32 v75, 0x3fb8aa3b, v77 :: v_dual_add_f32 v72, v72, v91
	v_exp_f32_e32 v75, v75
	v_cndmask_b32_e64 v93, 0, v73, s16
	s_delay_alu instid0(VALU_DEP_2) | instskip(NEXT) | instid1(VALU_DEP_1)
	v_add_f32_e32 v72, v72, v90
	v_add_f32_e32 v72, v72, v93
	s_waitcnt_depctr 0xfff
	v_cndmask_b32_e64 v92, 0, v75, s17
	s_delay_alu instid0(VALU_DEP_1)
	v_add_f32_e32 v72, v72, v92
	ds_bpermute_b32 v73, v74, v72
	s_and_saveexec_b32 s3, s2
	s_cbranch_execz .LBB1060_12
; %bb.11:
	v_mul_u32_u24_e32 v70, 0x44, v69
	s_waitcnt lgkmcnt(0)
	v_add_f32_e32 v72, v72, v73
	s_delay_alu instid0(VALU_DEP_2) | instskip(NEXT) | instid1(VALU_DEP_1)
	v_lshl_add_u32 v70, v68, 2, v70
	v_add_nc_u32_e32 v70, 0x4000, v70
	ds_store_2addr_b32 v70, v71, v72 offset1:136
.LBB1060_12:
	s_or_b32 exec_lo, exec_lo, s3
	v_lshlrev_b32_e32 v70, 2, v68
	s_load_b32 s35, s[0:1], 0x94
	s_waitcnt lgkmcnt(0)
	s_barrier
	buffer_gl0_inv
	v_add_nc_u32_e32 v98, 0x4000, v70
	v_cmp_eq_u32_e32 vcc_lo, 1, v69
	v_cmp_eq_u32_e64 s3, 2, v69
	v_cmp_eq_u32_e64 s4, 3, v69
	v_cmp_eq_u32_e64 s5, 4, v69
	ds_load_2addr_b32 v[70:71], v98 offset1:17
	ds_load_2addr_b32 v[72:73], v98 offset0:34 offset1:51
	ds_load_2addr_b32 v[74:75], v98 offset0:68 offset1:85
	;; [unrolled: 1-line block ×3, first 2 shown]
	v_cmp_eq_u32_e64 s6, 5, v69
	v_cmp_eq_u32_e64 s7, 7, v69
	s_waitcnt lgkmcnt(3)
	v_max3_f32 v76, v70, 0xff7fffff, v71
	s_waitcnt lgkmcnt(2)
	s_delay_alu instid0(VALU_DEP_1) | instskip(SKIP_1) | instid1(VALU_DEP_1)
	v_max3_f32 v76, v76, v72, v73
	s_waitcnt lgkmcnt(1)
	v_max3_f32 v76, v76, v74, v75
	s_waitcnt lgkmcnt(0)
	s_delay_alu instid0(VALU_DEP_1) | instskip(NEXT) | instid1(VALU_DEP_1)
	v_max3_f32 v76, v76, v94, v95
	v_sub_f32_e32 v77, v71, v76
	ds_load_2addr_b32 v[96:97], v98 offset0:136 offset1:153
	v_sub_f32_e32 v74, v74, v76
	v_sub_f32_e32 v70, v70, v76
	;; [unrolled: 1-line block ×3, first 2 shown]
	v_dual_sub_f32 v72, v72, v76 :: v_dual_mul_f32 v77, 0x3fb8aa3b, v77
	s_delay_alu instid0(VALU_DEP_4) | instskip(NEXT) | instid1(VALU_DEP_4)
	v_mul_f32_e32 v103, 0x3fb8aa3b, v74
	v_mul_f32_e32 v99, 0x3fb8aa3b, v70
	ds_load_2addr_b32 v[70:71], v98 offset0:170 offset1:187
	v_dual_mul_f32 v101, 0x3fb8aa3b, v72 :: v_dual_mul_f32 v94, 0x3fb8aa3b, v94
	v_exp_f32_e32 v102, v77
	v_exp_f32_e32 v99, v99
	s_delay_alu instid0(VALU_DEP_1) | instskip(NEXT) | instid1(VALU_DEP_1)
	v_exp_f32_e32 v101, v101
	v_exp_f32_e32 v94, v94
	s_waitcnt lgkmcnt(1)
	s_delay_alu instid0(TRANS32_DEP_3)
	v_fma_f32 v77, v99, v96, 0
	v_sub_f32_e32 v100, v73, v76
	ds_load_2addr_b32 v[72:73], v98 offset0:204 offset1:221
	v_fmac_f32_e32 v77, v102, v97
	v_exp_f32_e32 v97, v103
	s_waitcnt lgkmcnt(1)
	s_delay_alu instid0(VALU_DEP_1)
	v_dual_fmac_f32 v77, v101, v70 :: v_dual_sub_f32 v96, v75, v76
	ds_load_2addr_b32 v[74:75], v98 offset0:238 offset1:255
	v_sub_f32_e32 v70, v95, v76
	s_waitcnt lgkmcnt(0)
	s_barrier
	v_mul_f32_e32 v96, 0x3fb8aa3b, v96
	buffer_gl0_inv
	v_exp_f32_e32 v95, v96
	v_mul_f32_e32 v100, 0x3fb8aa3b, v100
	s_delay_alu instid0(VALU_DEP_1) | instskip(SKIP_3) | instid1(VALU_DEP_2)
	v_exp_f32_e32 v100, v100
	s_waitcnt_depctr 0xfff
	v_dual_fmac_f32 v77, v100, v71 :: v_dual_mul_f32 v70, 0x3fb8aa3b, v70
	v_cndmask_b32_e32 v71, v99, v102, vcc_lo
	v_fmac_f32_e32 v77, v97, v72
	s_delay_alu instid0(VALU_DEP_3) | instskip(NEXT) | instid1(VALU_DEP_1)
	v_exp_f32_e32 v96, v70
	v_fmac_f32_e32 v77, v95, v73
	s_delay_alu instid0(VALU_DEP_1) | instskip(SKIP_2) | instid1(VALU_DEP_1)
	v_fmac_f32_e32 v77, v94, v74
	s_waitcnt_depctr 0xfff
	v_fmac_f32_e32 v77, v96, v75
	v_add_f32_e32 v74, 0x358637bd, v77
	s_delay_alu instid0(VALU_DEP_1) | instskip(SKIP_1) | instid1(VALU_DEP_2)
	v_div_scale_f32 v98, null, v74, v74, 1.0
	v_div_scale_f32 v99, vcc_lo, 1.0, v74, 1.0
	v_rcp_f32_e32 v103, v98
	s_waitcnt_depctr 0xfff
	v_fma_f32 v70, -v98, v103, 1.0
	s_delay_alu instid0(VALU_DEP_1) | instskip(SKIP_2) | instid1(VALU_DEP_2)
	v_fmac_f32_e32 v103, v70, v103
	v_cndmask_b32_e64 v70, v71, v101, s3
	v_cmp_eq_u32_e64 s3, 6, v69
	v_cndmask_b32_e64 v71, v70, v100, s4
	s_delay_alu instid0(VALU_DEP_4) | instskip(NEXT) | instid1(VALU_DEP_2)
	v_dual_mul_f32 v101, v99, v103 :: v_dual_lshlrev_b32 v70, 2, v66
	v_cndmask_b32_e64 v71, v71, v97, s5
	s_delay_alu instid0(VALU_DEP_2) | instskip(NEXT) | instid1(VALU_DEP_3)
	v_or_b32_e32 v72, 1, v70
	v_fma_f32 v100, -v98, v101, v99
	v_cmp_eq_u32_e64 s4, 1, v70
	v_cmp_eq_u32_e64 s5, 2, v70
	v_cndmask_b32_e64 v95, v71, v95, s6
	v_or_b32_e32 v71, 3, v70
	v_fmac_f32_e32 v101, v100, v103
	v_cmp_eq_u32_e64 s9, 1, v72
	v_cmp_eq_u32_e64 s12, 2, v72
	v_cndmask_b32_e64 v94, v95, v94, s3
	v_cmp_eq_u32_e64 s11, 1, v71
	v_fma_f32 v97, -v98, v101, v99
	v_cmp_eq_u32_e64 s16, 2, v71
	v_cmp_eq_u32_e64 s13, 3, v72
	v_cndmask_b32_e64 v94, v94, v96, s7
	v_cmp_eq_u32_e64 s18, 3, v71
	v_div_fmas_f32 v95, v97, v103, v101
	v_cmp_eq_u32_e32 vcc_lo, 3, v70
	v_cmp_eq_u32_e64 s3, 4, v70
	v_cmp_eq_u32_e64 s19, 4, v72
	;; [unrolled: 1-line block ×3, first 2 shown]
	v_div_fixup_f32 v95, v95, v74, 1.0
	v_lshlrev_b32_e32 v73, 6, v68
	v_cmp_eq_u32_e64 s6, 5, v70
	v_cmp_eq_u32_e64 s20, 5, v72
	v_cmp_eq_u32_e64 s24, 5, v71
	v_mul_f32_e32 v102, v94, v95
	v_lshl_or_b32 v75, v69, 11, v73
	v_or_b32_e32 v69, 2, v70
	v_cmp_eq_u32_e64 s25, 6, v72
	v_cmp_eq_u32_e64 s27, 6, v71
	v_fma_mixlo_f16 v94, v102, v79, 0
	v_fma_mixlo_f16 v95, v102, v81, 0
	;; [unrolled: 1-line block ×8, first 2 shown]
	v_lshl_or_b32 v74, v66, 4, v75
	v_fma_mixhi_f16 v94, v102, v78, 0
	v_fma_mixhi_f16 v95, v102, v80, 0
	;; [unrolled: 1-line block ×8, first 2 shown]
	ds_store_b128 v74, v[94:97]
	ds_store_b128 v74, v[98:101] offset:1024
	s_waitcnt lgkmcnt(0)
	s_barrier
	buffer_gl0_inv
	ds_load_b128 v[78:81], v75
	ds_load_b128 v[82:85], v75 offset:16
	ds_load_b128 v[86:89], v75 offset:1024
	;; [unrolled: 1-line block ×3, first 2 shown]
	v_cmp_eq_u32_e64 s10, 1, v69
	v_cmp_eq_u32_e64 s15, 2, v69
	;; [unrolled: 1-line block ×11, first 2 shown]
	s_waitcnt lgkmcnt(3)
	v_lshrrev_b32_e32 v94, 16, v78
	s_waitcnt lgkmcnt(2)
	v_lshrrev_b32_e32 v98, 16, v82
	;; [unrolled: 2-line block ×4, first 2 shown]
	v_lshrrev_b32_e32 v95, 16, v79
	v_cndmask_b32_e64 v110, v78, v94, s4
	v_cndmask_b32_e64 v111, v82, v98, s4
	;; [unrolled: 1-line block ×8, first 2 shown]
	v_lshrrev_b32_e32 v99, 16, v83
	v_cndmask_b32_e64 v94, v86, v102, s4
	v_cndmask_b32_e64 v98, v90, v106, s4
	;; [unrolled: 1-line block ×15, first 2 shown]
	v_lshrrev_b32_e32 v103, 16, v87
	v_lshrrev_b32_e32 v107, 16, v91
	v_cndmask_b32_e64 v113, v115, v83, s15
	v_cndmask_b32_e64 v82, v94, v87, s5
	v_cndmask_b32_e64 v83, v98, v91, s5
	v_cndmask_b32_e64 v94, v116, v87, s12
	v_cndmask_b32_e64 v98, v118, v87, s15
	v_cndmask_b32_e64 v86, v86, v87, s16
	v_cndmask_b32_e64 v87, v90, v91, s16
	v_cndmask_b32_e32 v90, v102, v95, vcc_lo
	v_cndmask_b32_e32 v102, v106, v99, vcc_lo
	v_cndmask_b32_e64 v106, v110, v95, s13
	v_cndmask_b32_e64 v110, v111, v99, s13
	;; [unrolled: 1-line block ×4, first 2 shown]
	v_lshrrev_b32_e32 v96, 16, v80
	v_lshrrev_b32_e32 v100, 16, v84
	v_cndmask_b32_e64 v111, v112, v95, s17
	v_cndmask_b32_e64 v112, v113, v99, s17
	v_cndmask_b32_e32 v82, v82, v103, vcc_lo
	v_cndmask_b32_e32 v83, v83, v107, vcc_lo
	v_cndmask_b32_e64 v94, v94, v103, s13
	v_cndmask_b32_e64 v90, v90, v80, s3
	;; [unrolled: 1-line block ×7, first 2 shown]
	v_lshrrev_b32_e32 v104, 16, v88
	v_cndmask_b32_e64 v106, v111, v80, s21
	v_cndmask_b32_e64 v110, v112, v84, s21
	;; [unrolled: 1-line block ×11, first 2 shown]
	v_lshrrev_b32_e32 v97, 16, v81
	v_lshrrev_b32_e32 v101, 16, v85
	v_cndmask_b32_e64 v99, v106, v96, s23
	v_cndmask_b32_e64 v102, v110, v100, s23
	;; [unrolled: 1-line block ×7, first 2 shown]
	v_lshrrev_b32_e32 v105, 16, v89
	v_cndmask_b32_e64 v80, v80, v104, s6
	v_cndmask_b32_e64 v84, v84, v81, s7
	;; [unrolled: 1-line block ×16, first 2 shown]
	v_perm_b32 v81, v79, v78, 0x5040100
	v_perm_b32 v79, v95, v85, 0x5040100
	v_cndmask_b32_e64 v78, v119, v91, s15
	v_cndmask_b32_e64 v85, v117, v91, s12
	;; [unrolled: 1-line block ×3, first 2 shown]
	v_perm_b32 v80, v94, v90, 0x5040100
	v_cndmask_b32_e64 v90, v98, v103, s17
	v_cndmask_b32_e64 v86, v86, v103, s18
	;; [unrolled: 1-line block ×5, first 2 shown]
	v_lshrrev_b32_e32 v108, 16, v92
	v_cndmask_b32_e64 v90, v90, v88, s21
	v_cndmask_b32_e64 v86, v86, v88, s22
	;; [unrolled: 1-line block ×11, first 2 shown]
	v_lshrrev_b32_e32 v109, 16, v93
	v_cndmask_b32_e64 v82, v82, v93, s7
	v_cndmask_b32_e64 v88, v88, v89, s26
	;; [unrolled: 1-line block ×12, first 2 shown]
	v_perm_b32 v78, v84, v83, 0x5040100
	v_perm_b32 v85, v87, v86, 0x5040100
	;; [unrolled: 1-line block ×5, first 2 shown]
	s_mul_i32 s8, s33, 11
	s_mov_b32 s3, exec_lo
	ds_store_b128 v74, v[78:81]
	ds_store_b128 v74, v[82:85] offset:1024
	v_cmpx_gt_u32_e32 11, v0
	s_cbranch_execz .LBB1060_14
; %bb.13:
	s_mul_i32 s4, s8, s34
	s_delay_alu instid0(SALU_CYCLE_1) | instskip(SKIP_1) | instid1(VALU_DEP_1)
	v_add3_u32 v68, s4, s31, v68
	s_load_b128 s[4:7], s[0:1], 0x58
	v_mad_u64_u32 v[78:79], null, v68, s35, s[14:15]
	s_delay_alu instid0(VALU_DEP_1) | instskip(NEXT) | instid1(VALU_DEP_1)
	v_ashrrev_i32_e32 v79, 31, v78
	v_lshlrev_b64 v[78:79], 2, v[78:79]
	s_waitcnt lgkmcnt(0)
	s_delay_alu instid0(VALU_DEP_1) | instskip(NEXT) | instid1(VALU_DEP_2)
	v_add_co_u32 v80, vcc_lo, s6, v78
	v_add_co_ci_u32_e32 v81, vcc_lo, s7, v79, vcc_lo
	v_add_co_u32 v78, vcc_lo, s4, v78
	v_add_co_ci_u32_e32 v79, vcc_lo, s5, v79, vcc_lo
	global_store_b32 v[80:81], v76, off
	global_store_b32 v[78:79], v77, off
.LBB1060_14:
	s_or_b32 exec_lo, exec_lo, s3
	s_waitcnt lgkmcnt(0)
	s_waitcnt_vscnt null, 0x0
	s_barrier
	buffer_gl0_inv
	ds_load_b128 v[84:87], v73
	ds_load_b128 v[88:91], v73 offset:16
	ds_load_b128 v[96:99], v73 offset:2064
	;; [unrolled: 1-line block ×5, first 2 shown]
	v_cmp_eq_u32_e32 vcc_lo, 1, v70
	v_mov_b32_e32 v76, 0
	ds_load_b128 v[112:115], v73 offset:6160
	ds_load_b128 v[108:111], v73 offset:6144
	;; [unrolled: 1-line block ×4, first 2 shown]
	v_cmp_eq_u32_e64 s4, 1, v69
	v_cmp_eq_u32_e64 s3, 1, v72
	;; [unrolled: 1-line block ×3, first 2 shown]
	v_mov_b32_e32 v77, v76
	v_mov_b32_e32 v78, v76
	;; [unrolled: 1-line block ×7, first 2 shown]
	v_cmp_eq_u32_e64 s6, 3, v72
	v_cmp_eq_u32_e64 s7, 7, v72
	s_waitcnt lgkmcnt(8)
	s_delay_alu instid0(VALU_DEP_3)
	v_wmma_f32_16x16x16_f16 v[76:83], v[49:56], v[84:91], v[76:83]
	ds_load_b128 v[53:56], v73 offset:10256
	ds_load_b128 v[49:52], v73 offset:10240
	s_waitcnt lgkmcnt(8)
	v_wmma_f32_16x16x16_f16 v[76:83], v[41:48], v[92:99], v[76:83]
	ds_load_b128 v[45:48], v73 offset:12304
	ds_load_b128 v[41:44], v73 offset:12288
	s_waitcnt lgkmcnt(8)
	;; [unrolled: 4-line block ×3, first 2 shown]
	s_barrier
	buffer_gl0_inv
	v_wmma_f32_16x16x16_f16 v[76:83], v[1:8], v[108:115], v[76:83]
	s_delay_alu instid0(VALU_DEP_1) | instskip(NEXT) | instid1(VALU_DEP_1)
	v_wmma_f32_16x16x16_f16 v[76:83], v[9:16], v[116:123], v[76:83]
	v_wmma_f32_16x16x16_f16 v[76:83], v[17:24], v[49:56], v[76:83]
	s_delay_alu instid0(VALU_DEP_1) | instskip(NEXT) | instid1(VALU_DEP_1)
	v_wmma_f32_16x16x16_f16 v[76:83], v[25:32], v[41:48], v[76:83]
	v_wmma_f32_16x16x16_f16 v[76:83], v[57:64], v[33:40], v[76:83]
	s_delay_alu instid0(VALU_DEP_1) | instskip(NEXT) | instid1(VALU_DEP_2)
	v_cvt_f16_f32_e32 v1, v76
	v_cvt_f16_f32_e32 v2, v77
	s_delay_alu instid0(VALU_DEP_3) | instskip(NEXT) | instid1(VALU_DEP_4)
	v_cvt_f16_f32_e32 v3, v78
	v_cvt_f16_f32_e32 v4, v79
	;; [unrolled: 1-line block ×6, first 2 shown]
	v_pack_b32_f16 v1, v1, v2
	v_pack_b32_f16 v2, v3, v4
	;; [unrolled: 1-line block ×3, first 2 shown]
	s_delay_alu instid0(VALU_DEP_4)
	v_pack_b32_f16 v4, v7, v8
	ds_store_b128 v74, v[1:4]
	s_waitcnt lgkmcnt(0)
	s_barrier
	buffer_gl0_inv
	ds_load_b128 v[1:4], v75
	ds_load_b128 v[5:8], v75 offset:16
	s_waitcnt lgkmcnt(1)
	v_lshrrev_b32_e32 v9, 16, v1
	s_waitcnt lgkmcnt(0)
	v_lshrrev_b32_e32 v13, 16, v5
	v_lshrrev_b32_e32 v10, 16, v2
	;; [unrolled: 1-line block ×4, first 2 shown]
	v_cndmask_b32_e32 v17, v1, v9, vcc_lo
	v_cndmask_b32_e32 v18, v5, v13, vcc_lo
	v_cndmask_b32_e64 v21, v1, v9, s4
	v_cmp_eq_u32_e32 vcc_lo, 1, v71
	v_cndmask_b32_e64 v22, v5, v13, s4
	v_cmp_eq_u32_e64 s4, 2, v70
	v_cndmask_b32_e64 v19, v1, v9, s3
	v_cndmask_b32_e64 v20, v5, v13, s3
	v_cndmask_b32_e32 v1, v1, v9, vcc_lo
	v_cmp_eq_u32_e64 s3, 2, v71
	v_cndmask_b32_e32 v5, v5, v13, vcc_lo
	v_cndmask_b32_e64 v9, v17, v2, s4
	v_cmp_eq_u32_e32 vcc_lo, 3, v70
	v_cndmask_b32_e64 v13, v18, v6, s4
	v_cmp_eq_u32_e64 s4, 2, v69
	v_cndmask_b32_e64 v17, v19, v2, s5
	v_cndmask_b32_e64 v18, v20, v6, s5
	v_cmp_eq_u32_e64 s5, 3, v69
	v_cndmask_b32_e64 v1, v1, v2, s3
	v_cndmask_b32_e64 v19, v21, v2, s4
	;; [unrolled: 1-line block ×4, first 2 shown]
	v_cndmask_b32_e32 v5, v9, v10, vcc_lo
	v_cndmask_b32_e32 v6, v13, v14, vcc_lo
	v_cmp_eq_u32_e32 vcc_lo, 3, v71
	v_cndmask_b32_e64 v9, v17, v10, s6
	v_cndmask_b32_e64 v13, v18, v14, s6
	;; [unrolled: 1-line block ×3, first 2 shown]
	v_cmp_eq_u32_e64 s4, 4, v70
	v_cndmask_b32_e32 v1, v1, v10, vcc_lo
	v_cndmask_b32_e32 v2, v2, v14, vcc_lo
	v_cmp_eq_u32_e32 vcc_lo, 4, v72
	v_lshrrev_b32_e32 v15, 16, v7
	v_lshrrev_b32_e32 v16, 16, v8
	v_cndmask_b32_e64 v17, v19, v10, s5
	v_cmp_eq_u32_e64 s3, 4, v71
	v_cndmask_b32_e64 v5, v5, v3, s4
	v_cndmask_b32_e64 v6, v6, v7, s4
	v_cndmask_b32_e32 v9, v9, v3, vcc_lo
	v_cmp_eq_u32_e64 s4, 5, v72
	v_cndmask_b32_e32 v10, v13, v7, vcc_lo
	v_cmp_eq_u32_e32 vcc_lo, 4, v69
	v_cmp_eq_u32_e64 s5, 5, v70
	v_cndmask_b32_e64 v2, v2, v7, s3
	v_cndmask_b32_e64 v9, v9, v11, s4
	v_cndmask_b32_e64 v10, v10, v15, s4
	v_cndmask_b32_e32 v13, v17, v3, vcc_lo
	v_cmp_eq_u32_e64 s4, 5, v69
	v_cndmask_b32_e32 v14, v18, v7, vcc_lo
	v_cndmask_b32_e64 v1, v1, v3, s3
	v_cmp_eq_u32_e32 vcc_lo, 5, v71
	v_lshrrev_b32_e32 v12, 16, v4
	v_cndmask_b32_e64 v13, v13, v11, s4
	v_cndmask_b32_e64 v3, v14, v15, s4
	v_cmp_eq_u32_e64 s4, 6, v71
	v_cndmask_b32_e32 v1, v1, v11, vcc_lo
	v_cndmask_b32_e64 v5, v5, v11, s5
	v_cmp_eq_u32_e64 s6, 6, v70
	v_cndmask_b32_e64 v6, v6, v15, s5
	v_cmp_eq_u32_e64 s5, 6, v72
	v_cmp_eq_u32_e64 s3, 6, v69
	v_cndmask_b32_e64 v1, v1, v4, s4
	v_cndmask_b32_e32 v2, v2, v15, vcc_lo
	v_cmp_eq_u32_e32 vcc_lo, 7, v71
	v_cndmask_b32_e64 v5, v5, v4, s6
	v_cndmask_b32_e64 v9, v9, v4, s5
	;; [unrolled: 1-line block ×3, first 2 shown]
	v_cmp_eq_u32_e64 s6, 7, v70
	v_cndmask_b32_e32 v1, v1, v12, vcc_lo
	v_cndmask_b32_e64 v7, v13, v4, s3
	v_cndmask_b32_e64 v3, v3, v8, s3
	;; [unrolled: 1-line block ×3, first 2 shown]
	v_cmp_eq_u32_e64 s3, 7, v69
	v_cndmask_b32_e64 v4, v10, v8, s5
	v_cndmask_b32_e64 v5, v5, v12, s6
	;; [unrolled: 1-line block ×3, first 2 shown]
	v_cndmask_b32_e32 v2, v2, v16, vcc_lo
	v_cndmask_b32_e64 v7, v7, v12, s3
	v_cndmask_b32_e64 v3, v3, v16, s3
	;; [unrolled: 1-line block ×4, first 2 shown]
	v_perm_b32 v4, v2, v1, 0x5040100
	s_mov_b32 s3, exec_lo
	v_perm_b32 v3, v3, v7, 0x5040100
	v_perm_b32 v2, v8, v9, 0x5040100
	;; [unrolled: 1-line block ×3, first 2 shown]
	ds_store_b128 v74, v[1:4]
	s_waitcnt lgkmcnt(0)
	s_barrier
	buffer_gl0_inv
	v_cmpx_gt_u32_e32 32, v0
	s_cbranch_execz .LBB1060_2
; %bb.15:
	s_load_b64 s[4:5], s[0:1], 0x68
	v_lshlrev_b32_e32 v0, 10, v0
	v_lshlrev_b32_e32 v1, 4, v67
	s_lshl_b32 s0, s35, 7
	v_add_nc_u32_e32 v7, s31, v66
	s_mul_i32 s1, s0, s34
	s_delay_alu instid0(SALU_CYCLE_1) | instskip(SKIP_1) | instid1(VALU_DEP_2)
	s_mul_i32 s6, s1, s8
	v_and_or_b32 v0, 0x3800, v0, v1
	v_mul_lo_u32 v1, v7, s0
	v_add_nc_u32_e32 v2, 2, v7
	s_ashr_i32 s7, s6, 31
	v_add_nc_u32_e32 v4, 4, v7
	s_lshl_b64 s[6:7], s[6:7], 1
	v_add_nc_u32_e32 v8, 6, v7
	v_mul_lo_u32 v3, v2, s0
	v_lshl_or_b32 v19, v66, 6, v0
	v_ashrrev_i32_e32 v2, 31, v1
	v_mul_lo_u32 v11, v4, s0
	v_mul_lo_u32 v25, v8, s0
	s_waitcnt lgkmcnt(0)
	s_add_u32 s1, s4, s6
	s_addc_u32 s3, s5, s7
	s_lshl_b32 s4, s14, 7
	v_lshlrev_b64 v[5:6], 1, v[1:2]
	s_ashr_i32 s5, s4, 31
	v_ashrrev_i32_e32 v4, 31, v3
	s_lshl_b64 s[4:5], s[4:5], 1
	v_ashrrev_i32_e32 v12, 31, v11
	s_add_u32 s1, s1, s4
	s_addc_u32 s3, s3, s5
	v_add_co_u32 v1, s1, s1, v65
	s_delay_alu instid0(VALU_DEP_1) | instskip(SKIP_1) | instid1(VALU_DEP_3)
	v_add_co_ci_u32_e64 v2, null, s3, 0, s1
	v_lshlrev_b64 v[3:4], 1, v[3:4]
	v_add_co_u32 v23, vcc_lo, v1, v5
	v_add_nc_u32_e32 v5, 8, v7
	s_delay_alu instid0(VALU_DEP_4) | instskip(NEXT) | instid1(VALU_DEP_4)
	v_add_co_ci_u32_e32 v24, vcc_lo, v2, v6, vcc_lo
	v_add_co_u32 v27, vcc_lo, v1, v3
	s_delay_alu instid0(VALU_DEP_3)
	v_mul_lo_u32 v29, v5, s0
	v_add_co_ci_u32_e32 v28, vcc_lo, v2, v4, vcc_lo
	ds_load_b128 v[3:6], v19
	ds_load_b128 v[7:10], v19 offset:128
	v_lshlrev_b64 v[31:32], 1, v[11:12]
	ds_load_b128 v[11:14], v19 offset:256
	ds_load_b128 v[15:18], v19 offset:384
	;; [unrolled: 1-line block ×3, first 2 shown]
	v_ashrrev_i32_e32 v26, 31, v25
	v_ashrrev_i32_e32 v30, 31, v29
	v_add_co_u32 v31, vcc_lo, v1, v31
	s_delay_alu instid0(VALU_DEP_3) | instskip(NEXT) | instid1(VALU_DEP_3)
	v_lshlrev_b64 v[25:26], 1, v[25:26]
	v_lshlrev_b64 v[29:30], 1, v[29:30]
	v_add_co_ci_u32_e32 v32, vcc_lo, v2, v32, vcc_lo
	s_delay_alu instid0(VALU_DEP_3) | instskip(NEXT) | instid1(VALU_DEP_4)
	v_add_co_u32 v25, vcc_lo, v1, v25
	v_add_co_ci_u32_e32 v26, vcc_lo, v2, v26, vcc_lo
	s_delay_alu instid0(VALU_DEP_4)
	v_add_co_u32 v29, vcc_lo, v1, v29
	v_add_co_ci_u32_e32 v30, vcc_lo, v2, v30, vcc_lo
	s_waitcnt lgkmcnt(4)
	global_store_b128 v[23:24], v[3:6], off
	s_waitcnt lgkmcnt(3)
	global_store_b128 v[27:28], v[7:10], off
	;; [unrolled: 2-line block ×5, first 2 shown]
	s_and_b32 exec_lo, exec_lo, s2
	s_cbranch_execz .LBB1060_2
; %bb.16:
	ds_load_b128 v[3:6], v0 offset:640
	s_add_i32 s1, s31, 10
	s_delay_alu instid0(SALU_CYCLE_1) | instskip(NEXT) | instid1(SALU_CYCLE_1)
	s_mul_i32 s0, s1, s0
	s_ashr_i32 s1, s0, 31
	s_delay_alu instid0(SALU_CYCLE_1) | instskip(NEXT) | instid1(SALU_CYCLE_1)
	s_lshl_b64 s[0:1], s[0:1], 1
	v_add_co_u32 v0, vcc_lo, v1, s0
	v_add_co_ci_u32_e32 v1, vcc_lo, s1, v2, vcc_lo
	s_waitcnt lgkmcnt(0)
	global_store_b128 v[0:1], v[3:6], off
	s_nop 0
	s_sendmsg sendmsg(MSG_DEALLOC_VGPRS)
	s_endpgm
	.section	.rodata,"a",@progbits
	.p2align	6, 0x0
	.amdhsa_kernel _Z39paged_attention_ll4mi_QKV_mfma16_kernelIDF16_hLN4vllm18Fp8KVCacheDataTypeE1EDF16_Li32ELi128ELi256ELb1ELi11EL8MFMAType1EEvPKT_PKT0_S8_ifPKiSA_SA_iPKfiiiPfSD_PS3_PT2_iSC_SC_
		.amdhsa_group_segment_fixed_size 17472
		.amdhsa_private_segment_fixed_size 0
		.amdhsa_kernarg_size 400
		.amdhsa_user_sgpr_count 13
		.amdhsa_user_sgpr_dispatch_ptr 0
		.amdhsa_user_sgpr_queue_ptr 0
		.amdhsa_user_sgpr_kernarg_segment_ptr 1
		.amdhsa_user_sgpr_dispatch_id 0
		.amdhsa_user_sgpr_private_segment_size 0
		.amdhsa_wavefront_size32 1
		.amdhsa_uses_dynamic_stack 0
		.amdhsa_enable_private_segment 0
		.amdhsa_system_sgpr_workgroup_id_x 1
		.amdhsa_system_sgpr_workgroup_id_y 1
		.amdhsa_system_sgpr_workgroup_id_z 1
		.amdhsa_system_sgpr_workgroup_info 0
		.amdhsa_system_vgpr_workitem_id 0
		.amdhsa_next_free_vgpr 150
		.amdhsa_next_free_sgpr 37
		.amdhsa_reserve_vcc 1
		.amdhsa_float_round_mode_32 0
		.amdhsa_float_round_mode_16_64 0
		.amdhsa_float_denorm_mode_32 3
		.amdhsa_float_denorm_mode_16_64 3
		.amdhsa_dx10_clamp 1
		.amdhsa_ieee_mode 1
		.amdhsa_fp16_overflow 0
		.amdhsa_workgroup_processor_mode 1
		.amdhsa_memory_ordered 1
		.amdhsa_forward_progress 0
		.amdhsa_shared_vgpr_count 0
		.amdhsa_exception_fp_ieee_invalid_op 0
		.amdhsa_exception_fp_denorm_src 0
		.amdhsa_exception_fp_ieee_div_zero 0
		.amdhsa_exception_fp_ieee_overflow 0
		.amdhsa_exception_fp_ieee_underflow 0
		.amdhsa_exception_fp_ieee_inexact 0
		.amdhsa_exception_int_div_zero 0
	.end_amdhsa_kernel
	.section	.text._Z39paged_attention_ll4mi_QKV_mfma16_kernelIDF16_hLN4vllm18Fp8KVCacheDataTypeE1EDF16_Li32ELi128ELi256ELb1ELi11EL8MFMAType1EEvPKT_PKT0_S8_ifPKiSA_SA_iPKfiiiPfSD_PS3_PT2_iSC_SC_,"axG",@progbits,_Z39paged_attention_ll4mi_QKV_mfma16_kernelIDF16_hLN4vllm18Fp8KVCacheDataTypeE1EDF16_Li32ELi128ELi256ELb1ELi11EL8MFMAType1EEvPKT_PKT0_S8_ifPKiSA_SA_iPKfiiiPfSD_PS3_PT2_iSC_SC_,comdat
.Lfunc_end1060:
	.size	_Z39paged_attention_ll4mi_QKV_mfma16_kernelIDF16_hLN4vllm18Fp8KVCacheDataTypeE1EDF16_Li32ELi128ELi256ELb1ELi11EL8MFMAType1EEvPKT_PKT0_S8_ifPKiSA_SA_iPKfiiiPfSD_PS3_PT2_iSC_SC_, .Lfunc_end1060-_Z39paged_attention_ll4mi_QKV_mfma16_kernelIDF16_hLN4vllm18Fp8KVCacheDataTypeE1EDF16_Li32ELi128ELi256ELb1ELi11EL8MFMAType1EEvPKT_PKT0_S8_ifPKiSA_SA_iPKfiiiPfSD_PS3_PT2_iSC_SC_
                                        ; -- End function
	.section	.AMDGPU.csdata,"",@progbits
; Kernel info:
; codeLenInByte = 6808
; NumSgprs: 39
; NumVgprs: 150
; ScratchSize: 0
; MemoryBound: 0
; FloatMode: 240
; IeeeMode: 1
; LDSByteSize: 17472 bytes/workgroup (compile time only)
; SGPRBlocks: 4
; VGPRBlocks: 18
; NumSGPRsForWavesPerEU: 39
; NumVGPRsForWavesPerEU: 150
; Occupancy: 9
; WaveLimiterHint : 1
; COMPUTE_PGM_RSRC2:SCRATCH_EN: 0
; COMPUTE_PGM_RSRC2:USER_SGPR: 13
; COMPUTE_PGM_RSRC2:TRAP_HANDLER: 0
; COMPUTE_PGM_RSRC2:TGID_X_EN: 1
; COMPUTE_PGM_RSRC2:TGID_Y_EN: 1
; COMPUTE_PGM_RSRC2:TGID_Z_EN: 1
; COMPUTE_PGM_RSRC2:TIDIG_COMP_CNT: 0
	.section	.text._Z39paged_attention_ll4mi_QKV_mfma16_kernelIDF16_hLN4vllm18Fp8KVCacheDataTypeE1EDF16_Li32ELi128ELi256ELb1ELi12EL8MFMAType1EEvPKT_PKT0_S8_ifPKiSA_SA_iPKfiiiPfSD_PS3_PT2_iSC_SC_,"axG",@progbits,_Z39paged_attention_ll4mi_QKV_mfma16_kernelIDF16_hLN4vllm18Fp8KVCacheDataTypeE1EDF16_Li32ELi128ELi256ELb1ELi12EL8MFMAType1EEvPKT_PKT0_S8_ifPKiSA_SA_iPKfiiiPfSD_PS3_PT2_iSC_SC_,comdat
	.protected	_Z39paged_attention_ll4mi_QKV_mfma16_kernelIDF16_hLN4vllm18Fp8KVCacheDataTypeE1EDF16_Li32ELi128ELi256ELb1ELi12EL8MFMAType1EEvPKT_PKT0_S8_ifPKiSA_SA_iPKfiiiPfSD_PS3_PT2_iSC_SC_ ; -- Begin function _Z39paged_attention_ll4mi_QKV_mfma16_kernelIDF16_hLN4vllm18Fp8KVCacheDataTypeE1EDF16_Li32ELi128ELi256ELb1ELi12EL8MFMAType1EEvPKT_PKT0_S8_ifPKiSA_SA_iPKfiiiPfSD_PS3_PT2_iSC_SC_
	.globl	_Z39paged_attention_ll4mi_QKV_mfma16_kernelIDF16_hLN4vllm18Fp8KVCacheDataTypeE1EDF16_Li32ELi128ELi256ELb1ELi12EL8MFMAType1EEvPKT_PKT0_S8_ifPKiSA_SA_iPKfiiiPfSD_PS3_PT2_iSC_SC_
	.p2align	8
	.type	_Z39paged_attention_ll4mi_QKV_mfma16_kernelIDF16_hLN4vllm18Fp8KVCacheDataTypeE1EDF16_Li32ELi128ELi256ELb1ELi12EL8MFMAType1EEvPKT_PKT0_S8_ifPKiSA_SA_iPKfiiiPfSD_PS3_PT2_iSC_SC_,@function
_Z39paged_attention_ll4mi_QKV_mfma16_kernelIDF16_hLN4vllm18Fp8KVCacheDataTypeE1EDF16_Li32ELi128ELi256ELb1ELi12EL8MFMAType1EEvPKT_PKT0_S8_ifPKiSA_SA_iPKfiiiPfSD_PS3_PT2_iSC_SC_: ; @_Z39paged_attention_ll4mi_QKV_mfma16_kernelIDF16_hLN4vllm18Fp8KVCacheDataTypeE1EDF16_Li32ELi128ELi256ELb1ELi12EL8MFMAType1EEvPKT_PKT0_S8_ifPKiSA_SA_iPKfiiiPfSD_PS3_PT2_iSC_SC_
; %bb.0:
	s_load_b64 s[4:5], s[0:1], 0x30
	s_mov_b32 s30, s13
	s_waitcnt lgkmcnt(0)
	s_cmp_lg_u64 s[4:5], 0
	s_cselect_b32 s8, -1, 0
	s_ashr_i32 s31, s13, 31
	s_cmp_eq_u64 s[4:5], 0
	s_cbranch_scc1 .LBB1061_3
; %bb.1:
	s_lshl_b64 s[2:3], s[30:31], 2
	s_delay_alu instid0(SALU_CYCLE_1) | instskip(SKIP_4) | instid1(SALU_CYCLE_1)
	s_add_u32 s2, s4, s2
	s_addc_u32 s3, s5, s3
	s_load_b64 s[2:3], s[2:3], 0x0
	s_waitcnt lgkmcnt(0)
	s_sub_i32 s2, s3, s2
	s_cmp_eq_u32 s2, 1
	s_cselect_b32 s2, -1, 0
	s_delay_alu instid0(SALU_CYCLE_1)
	s_and_not1_b32 vcc_lo, exec_lo, s2
	s_cbranch_vccz .LBB1061_4
.LBB1061_2:
	s_endpgm
.LBB1061_3:
.LBB1061_4:
	s_load_b64 s[2:3], s[0:1], 0x28
	s_lshl_b64 s[6:7], s[30:31], 2
	s_waitcnt lgkmcnt(0)
	s_add_u32 s2, s2, s6
	s_addc_u32 s3, s3, s7
	s_lshl_b32 s12, s14, 8
	s_load_b32 s24, s[2:3], 0x0
	s_waitcnt lgkmcnt(0)
	s_cmp_ge_i32 s12, s24
	s_cbranch_scc1 .LBB1061_2
; %bb.5:
	s_clause 0x1
	s_load_b128 s[20:23], s[0:1], 0x8
	s_load_b64 s[2:3], s[0:1], 0x20
	s_and_not1_b32 vcc_lo, exec_lo, s8
	s_cbranch_vccnz .LBB1061_7
; %bb.6:
	s_add_u32 s4, s4, s6
	s_addc_u32 s5, s5, s7
	s_load_b32 s5, s[4:5], 0x0
	s_branch .LBB1061_8
.LBB1061_7:
	s_mov_b32 s5, s30
.LBB1061_8:
	s_load_b128 s[16:19], s[0:1], 0x48
	v_and_b32_e32 v68, 15, v0
	v_lshrrev_b32_e32 v69, 5, v0
	v_and_b32_e32 v70, 31, v0
	v_and_b32_e32 v67, 1, v0
	v_bfe_u32 v66, v0, 4, 1
	v_lshlrev_b32_e32 v1, 3, v68
	s_mul_i32 s31, s15, 12
	s_mov_b32 s4, exec_lo
	s_delay_alu instid0(VALU_DEP_1)
	v_lshlrev_b32_e32 v65, 1, v1
	v_cmpx_gt_u32_e32 0xc0, v0
	s_cbranch_execz .LBB1061_10
; %bb.9:
	s_load_b64 s[6:7], s[0:1], 0x0
	v_lshl_or_b32 v5, v69, 1, v66
	s_waitcnt lgkmcnt(0)
	s_mul_hi_i32 s9, s5, s16
	s_mul_i32 s8, s5, s16
	v_lshlrev_b32_e32 v6, 10, v68
	s_lshl_b64 s[8:9], s[8:9], 1
	v_add_lshl_u32 v1, v5, s31, 7
	v_lshlrev_b32_e32 v5, 6, v5
	v_lshlrev_b32_e32 v7, 10, v67
	v_and_b32_e32 v6, 0x3800, v6
	s_delay_alu instid0(VALU_DEP_4) | instskip(NEXT) | instid1(VALU_DEP_2)
	v_ashrrev_i32_e32 v2, 31, v1
	v_or3_b32 v5, v6, v7, v5
	s_delay_alu instid0(VALU_DEP_2) | instskip(SKIP_2) | instid1(VALU_DEP_1)
	v_lshlrev_b64 v[1:2], 1, v[1:2]
	s_add_u32 s5, s6, s8
	s_addc_u32 s6, s7, s9
	v_add_co_u32 v1, vcc_lo, s5, v1
	s_delay_alu instid0(VALU_DEP_2) | instskip(NEXT) | instid1(VALU_DEP_2)
	v_add_co_ci_u32_e32 v2, vcc_lo, s6, v2, vcc_lo
	v_add_co_u32 v1, vcc_lo, v1, v65
	s_delay_alu instid0(VALU_DEP_2)
	v_add_co_ci_u32_e32 v2, vcc_lo, 0, v2, vcc_lo
	global_load_b128 v[1:4], v[1:2], off
	s_waitcnt vmcnt(0)
	ds_store_b128 v5, v[1:4]
.LBB1061_10:
	s_or_b32 exec_lo, exec_lo, s4
	v_and_b32_e32 v1, 0xef, v0
	s_waitcnt lgkmcnt(0)
	s_add_i32 s5, s24, 31
	s_clause 0x1
	s_load_b32 s4, s[0:1], 0x38
	s_load_b32 s33, s[0:1], 0x98
	s_ashr_i32 s6, s5, 31
	v_add_nc_u32_e32 v1, s12, v1
	s_lshr_b32 s6, s6, 27
	s_load_b32 s19, s[0:1], 0x1c
	s_add_i32 s5, s5, s6
	s_waitcnt lgkmcnt(0)
	v_ashrrev_i32_e32 v2, 31, v1
	v_or_b32_e32 v3, 16, v1
	s_ashr_i32 s13, s5, 5
	v_cmp_gt_i32_e32 vcc_lo, s24, v1
	s_add_i32 s13, s13, -1
	v_lshrrev_b32_e32 v2, 27, v2
	s_barrier
	buffer_gl0_inv
	s_mul_i32 s15, s15, s18
	v_add_nc_u32_e32 v4, v1, v2
	s_mul_i32 s4, s30, s4
	s_delay_alu instid0(SALU_CYCLE_1) | instskip(NEXT) | instid1(VALU_DEP_1)
	s_ashr_i32 s5, s4, 31
	v_ashrrev_i32_e32 v4, 5, v4
	v_add_nc_u32_e32 v2, v3, v2
	s_lshl_b64 s[4:5], s[4:5], 2
	s_delay_alu instid0(SALU_CYCLE_1) | instskip(NEXT) | instid1(VALU_DEP_2)
	s_add_u32 s16, s2, s4
	v_cndmask_b32_e32 v1, s13, v4, vcc_lo
	s_delay_alu instid0(VALU_DEP_2)
	v_ashrrev_i32_e32 v2, 5, v2
	v_cmp_gt_i32_e32 vcc_lo, s24, v3
	s_addc_u32 s25, s3, s5
	s_ashr_i32 s18, s15, 31
	s_add_u32 s2, s20, s15
	s_addc_u32 s3, s21, s18
	v_cndmask_b32_e32 v3, s13, v2, vcc_lo
	v_ashrrev_i32_e32 v2, 31, v1
	s_lshl_b32 s4, s14, 3
	s_delay_alu instid0(SALU_CYCLE_1) | instskip(NEXT) | instid1(VALU_DEP_2)
	s_ashr_i32 s5, s4, 31
	v_ashrrev_i32_e32 v4, 31, v3
	s_delay_alu instid0(VALU_DEP_2) | instskip(SKIP_1) | instid1(SALU_CYCLE_1)
	v_lshlrev_b64 v[1:2], 2, v[1:2]
	s_lshl_b64 s[4:5], s[4:5], 2
	s_add_u32 s4, s16, s4
	s_delay_alu instid0(VALU_DEP_2) | instskip(SKIP_1) | instid1(VALU_DEP_2)
	v_lshlrev_b64 v[3:4], 2, v[3:4]
	s_addc_u32 s5, s25, s5
	v_add_co_u32 v1, vcc_lo, s16, v1
	v_add_co_ci_u32_e32 v2, vcc_lo, s25, v2, vcc_lo
	s_delay_alu instid0(VALU_DEP_3) | instskip(NEXT) | instid1(VALU_DEP_4)
	v_add_co_u32 v3, vcc_lo, s16, v3
	v_add_co_ci_u32_e32 v4, vcc_lo, s25, v4, vcc_lo
	s_clause 0x1
	global_load_b32 v5, v[1:2], off
	global_load_b32 v6, v[3:4], off
	s_or_b32 s6, s12, 32
	s_delay_alu instid0(SALU_CYCLE_1) | instskip(SKIP_2) | instid1(SALU_CYCLE_1)
	s_ashr_i32 s7, s6, 5
	s_cmp_lt_i32 s6, s24
	s_cselect_b32 s6, s7, s13
	s_ashr_i32 s7, s6, 31
	s_delay_alu instid0(SALU_CYCLE_1) | instskip(NEXT) | instid1(SALU_CYCLE_1)
	s_lshl_b64 s[6:7], s[6:7], 2
	s_add_u32 s6, s16, s6
	s_addc_u32 s7, s25, s7
	s_or_b32 s8, s12, 64
	s_delay_alu instid0(SALU_CYCLE_1) | instskip(SKIP_2) | instid1(SALU_CYCLE_1)
	s_ashr_i32 s9, s8, 5
	s_cmp_lt_i32 s8, s24
	s_cselect_b32 s8, s9, s13
	s_ashr_i32 s9, s8, 31
	s_delay_alu instid0(SALU_CYCLE_1) | instskip(NEXT) | instid1(SALU_CYCLE_1)
	s_lshl_b64 s[8:9], s[8:9], 2
	s_add_u32 s8, s16, s8
	s_addc_u32 s9, s25, s9
	;; [unrolled: 10-line block ×5, first 2 shown]
	s_clause 0x5
	s_load_b32 s28, s[4:5], 0x0
	s_load_b32 s29, s[6:7], 0x0
	;; [unrolled: 1-line block ×6, first 2 shown]
	s_mov_b32 s4, 0
	s_delay_alu instid0(SALU_CYCLE_1)
	s_mov_b32 s5, s4
	s_mov_b32 s6, s4
	;; [unrolled: 1-line block ×7, first 2 shown]
	s_delay_alu instid0(SALU_CYCLE_1)
	v_dual_mov_b32 v118, s11 :: v_dual_mov_b32 v117, s10
	v_dual_mov_b32 v116, s9 :: v_dual_mov_b32 v115, s8
	v_mov_b32_e32 v113, s6
	v_dual_mov_b32 v111, s4 :: v_dual_mov_b32 v114, s7
	v_mov_b32_e32 v112, s5
	s_waitcnt vmcnt(1)
	v_mad_i64_i32 v[1:2], null, v5, s17, s[2:3]
	v_lshlrev_b32_e32 v5, 4, v68
	s_waitcnt vmcnt(0)
	v_mad_i64_i32 v[3:4], null, v6, s17, s[2:3]
	s_or_b32 s2, s12, 0xc0
	s_delay_alu instid0(SALU_CYCLE_1) | instskip(NEXT) | instid1(VALU_DEP_3)
	s_ashr_i32 s3, s2, 5
	v_add_co_u32 v1, vcc_lo, v1, v5
	s_delay_alu instid0(VALU_DEP_4) | instskip(NEXT) | instid1(VALU_DEP_3)
	v_add_co_ci_u32_e32 v2, vcc_lo, 0, v2, vcc_lo
	v_add_co_u32 v3, vcc_lo, v3, v5
	s_delay_alu instid0(VALU_DEP_4)
	v_add_co_ci_u32_e32 v4, vcc_lo, 0, v4, vcc_lo
	s_clause 0xf
	global_load_b128 v[17:20], v[1:2], off
	global_load_b128 v[21:24], v[1:2], off offset:512
	global_load_b128 v[25:28], v[3:4], off offset:256
	;; [unrolled: 1-line block ×15, first 2 shown]
	s_cmp_lt_i32 s2, s24
	v_add_nc_u32_e32 v1, -12, v68
	s_cselect_b32 s2, s3, s13
	v_cmp_gt_u32_e32 vcc_lo, 12, v68
	s_ashr_i32 s3, s2, 31
	v_lshlrev_b32_e32 v2, 5, v68
	s_lshl_b64 s[2:3], s[2:3], 2
	s_delay_alu instid0(SALU_CYCLE_1)
	s_add_u32 s2, s16, s2
	s_addc_u32 s3, s25, s3
	s_or_b32 s20, s12, 0xe0
	v_cndmask_b32_e32 v1, v1, v68, vcc_lo
	s_ashr_i32 s21, s20, 5
	s_cmp_lt_i32 s20, s24
	s_cselect_b32 s20, s21, s13
	s_delay_alu instid0(VALU_DEP_1)
	v_lshlrev_b32_e32 v149, 6, v1
	s_ashr_i32 s21, s20, 31
	v_lshl_or_b32 v1, v69, 9, v2
	s_lshl_b64 s[4:5], s[20:21], 2
	ds_load_b128 v[119:122], v149
	ds_load_b128 v[123:126], v149 offset:1024
	s_add_u32 s4, s16, s4
	s_addc_u32 s5, s25, s5
	ds_load_b128 v[127:130], v149 offset:2048
	ds_load_b128 v[131:134], v149 offset:3072
	s_clause 0x1
	s_load_b32 s2, s[2:3], 0x0
	s_load_b32 s3, s[4:5], 0x0
	s_add_u32 s6, s22, s15
	s_addc_u32 s7, s23, s18
	v_add_co_u32 v135, s6, s6, v1
	s_delay_alu instid0(VALU_DEP_1) | instskip(SKIP_1) | instid1(VALU_DEP_1)
	v_add_co_ci_u32_e64 v136, null, s7, 0, s6
	s_waitcnt lgkmcnt(0)
	v_mad_i64_i32 v[1:2], null, s28, s17, v[135:136]
	v_mad_i64_i32 v[3:4], null, s29, s17, v[135:136]
	;; [unrolled: 1-line block ×6, first 2 shown]
	s_clause 0x9
	global_load_b128 v[49:52], v[1:2], off
	global_load_b128 v[53:56], v[1:2], off offset:16
	global_load_b128 v[41:44], v[3:4], off
	global_load_b128 v[45:48], v[3:4], off offset:16
	;; [unrolled: 2-line block ×5, first 2 shown]
	v_mad_i64_i32 v[145:146], null, s2, s17, v[135:136]
	v_mad_i64_i32 v[147:148], null, s3, s17, v[135:136]
	s_waitcnt vmcnt(24)
	v_wmma_f32_16x16x16_f16 v[135:142], v[17:24], v[119:126], v[111:118]
	s_waitcnt vmcnt(22)
	v_wmma_f32_16x16x16_f16 v[111:118], v[25:32], v[119:126], v[111:118]
	s_clause 0x3
	global_load_b128 v[17:20], v[143:144], off
	global_load_b128 v[21:24], v[143:144], off offset:16
	global_load_b128 v[25:28], v[145:146], off
	global_load_b128 v[29:32], v[145:146], off offset:16
	v_and_b32_e32 v119, 0xe0, v0
	s_waitcnt vmcnt(24)
	v_wmma_f32_16x16x16_f16 v[135:142], v[57:64], v[127:134], v[135:142]
	s_clause 0x1
	global_load_b128 v[57:60], v[147:148], off
	global_load_b128 v[61:64], v[147:148], off offset:16
	s_waitcnt vmcnt(24)
	v_wmma_f32_16x16x16_f16 v[111:118], v[71:78], v[127:134], v[111:118]
	ds_load_b128 v[71:74], v149 offset:4096
	ds_load_b128 v[75:78], v149 offset:5120
	v_add_nc_u32_e32 v128, s12, v119
	ds_load_b128 v[119:122], v149 offset:6144
	ds_load_b128 v[123:126], v149 offset:7168
	v_mbcnt_lo_u32_b32 v127, -1, 0
	s_waitcnt vmcnt(0) lgkmcnt(0)
	s_barrier
	v_or_b32_e32 v128, v128, v66
	buffer_gl0_inv
	v_xor_b32_e32 v129, 16, v127
	v_or_b32_e32 v130, 4, v128
	v_or_b32_e32 v131, 6, v128
	s_delay_alu instid0(VALU_DEP_3) | instskip(SKIP_4) | instid1(VALU_DEP_4)
	v_cmp_gt_i32_e32 vcc_lo, 32, v129
	v_or_b32_e32 v132, 8, v128
	v_or_b32_e32 v133, 10, v128
	v_cmp_gt_i32_e64 s3, s24, v130
	v_cmp_gt_i32_e64 s4, s24, v131
	;; [unrolled: 1-line block ×3, first 2 shown]
	v_wmma_f32_16x16x16_f16 v[135:142], v[79:86], v[71:78], v[135:142]
	v_wmma_f32_16x16x16_f16 v[111:118], v[87:94], v[71:78], v[111:118]
	v_or_b32_e32 v79, 12, v128
	v_or_b32_e32 v80, 14, v128
	v_cmp_gt_i32_e64 s6, s24, v133
	v_wmma_f32_16x16x16_f16 v[135:142], v[95:102], v[119:126], v[135:142]
	v_wmma_f32_16x16x16_f16 v[111:118], v[103:110], v[119:126], v[111:118]
	v_cndmask_b32_e32 v127, v127, v129, vcc_lo
	v_or_b32_e32 v129, 2, v128
	v_cmp_gt_i32_e32 vcc_lo, s24, v128
	s_delay_alu instid0(VALU_DEP_4) | instskip(SKIP_1) | instid1(VALU_DEP_4)
	v_dual_mul_f32 v87, s19, v136 :: v_dual_mul_f32 v94, s19, v113
	v_mul_f32_e32 v88, s19, v135
	v_cmp_gt_i32_e64 s2, s24, v129
	v_mul_f32_e32 v78, s19, v138
	v_mul_f32_e32 v86, s19, v137
	;; [unrolled: 1-line block ×3, first 2 shown]
	v_cndmask_b32_e32 v88, 0xff7fffff, v88, vcc_lo
	v_cndmask_b32_e64 v87, 0xff7fffff, v87, s2
	v_dual_mul_f32 v77, s19, v139 :: v_dual_mul_f32 v90, s19, v117
	v_cndmask_b32_e64 v86, 0xff7fffff, v86, s3
	v_cndmask_b32_e64 v78, 0xff7fffff, v78, s4
	s_delay_alu instid0(VALU_DEP_4)
	v_max3_f32 v87, v88, 0xff7fffff, v87
	v_or_b32_e32 v81, 16, v128
	v_or_b32_e32 v82, 18, v128
	v_dual_mul_f32 v74, s19, v142 :: v_dual_mul_f32 v75, s19, v141
	v_mul_f32_e32 v96, s19, v111
	v_cndmask_b32_e64 v77, 0xff7fffff, v77, s5
	v_cndmask_b32_e64 v76, 0xff7fffff, v76, s6
	v_max3_f32 v78, v87, v86, v78
	v_cmp_gt_i32_e64 s7, s24, v79
	v_cmp_gt_i32_e64 s8, s24, v80
	v_or_b32_e32 v83, 20, v128
	v_or_b32_e32 v84, 22, v128
	v_mul_f32_e32 v95, s19, v112
	v_cndmask_b32_e64 v75, 0xff7fffff, v75, s7
	v_cndmask_b32_e64 v74, 0xff7fffff, v74, s8
	v_max3_f32 v76, v78, v77, v76
	v_cmp_gt_i32_e64 s9, s24, v81
	v_cmp_gt_i32_e64 s10, s24, v82
	v_or_b32_e32 v85, 24, v128
	v_or_b32_e32 v71, 26, v128
	;; [unrolled: 8-line block ×3, first 2 shown]
	v_dual_mul_f32 v91, s19, v116 :: v_dual_mul_f32 v92, s19, v115
	v_cndmask_b32_e64 v75, 0xff7fffff, v94, s11
	v_cndmask_b32_e64 v76, 0xff7fffff, v93, s12
	v_max3_f32 v74, v74, v77, v78
	v_cmp_gt_i32_e64 s13, s24, v85
	v_cmp_gt_i32_e64 s15, s24, v71
	v_mul_f32_e32 v89, s19, v118
	v_cmp_gt_i32_e64 s16, s24, v72
	v_max3_f32 v74, v74, v75, v76
	v_cndmask_b32_e64 v77, 0xff7fffff, v92, s13
	v_cndmask_b32_e64 v71, 0xff7fffff, v91, s15
	v_cmp_gt_i32_e64 s17, s24, v73
	v_cndmask_b32_e64 v72, 0xff7fffff, v90, s16
	s_delay_alu instid0(VALU_DEP_3) | instskip(SKIP_1) | instid1(VALU_DEP_4)
	v_max3_f32 v71, v74, v77, v71
	v_lshlrev_b32_e32 v74, 2, v127
	v_cndmask_b32_e64 v73, 0xff7fffff, v89, s17
	s_delay_alu instid0(VALU_DEP_1) | instskip(SKIP_3) | instid1(VALU_DEP_1)
	v_max3_f32 v71, v71, v72, v73
	ds_bpermute_b32 v72, v74, v71
	s_waitcnt lgkmcnt(0)
	v_max_f32_e32 v72, v72, v72
	v_max_f32_e32 v71, v71, v72
	s_delay_alu instid0(VALU_DEP_1) | instskip(SKIP_4) | instid1(VALU_DEP_4)
	v_fma_f32 v72, s19, v135, -v71
	v_fma_f32 v73, s19, v136, -v71
	;; [unrolled: 1-line block ×5, first 2 shown]
	v_dual_mul_f32 v72, 0x3fb8aa3b, v72 :: v_dual_mul_f32 v73, 0x3fb8aa3b, v73
	s_delay_alu instid0(VALU_DEP_3) | instskip(SKIP_1) | instid1(VALU_DEP_3)
	v_dual_mul_f32 v75, 0x3fb8aa3b, v75 :: v_dual_mul_f32 v76, 0x3fb8aa3b, v76
	v_fma_f32 v80, s19, v141, -v71
	v_exp_f32_e32 v72, v72
	s_delay_alu instid0(VALU_DEP_3) | instskip(NEXT) | instid1(VALU_DEP_2)
	v_exp_f32_e32 v73, v73
	v_exp_f32_e32 v75, v75
	;; [unrolled: 1-line block ×3, first 2 shown]
	v_mul_f32_e32 v82, 0x3fb8aa3b, v80
	s_delay_alu instid0(VALU_DEP_1) | instskip(SKIP_4) | instid1(TRANS32_DEP_3)
	v_exp_f32_e32 v84, v82
	v_cndmask_b32_e32 v79, 0, v72, vcc_lo
	v_fma_f32 v72, s19, v140, -v71
	v_mul_f32_e32 v77, 0x3fb8aa3b, v77
	v_cndmask_b32_e64 v78, 0, v73, s2
	v_cndmask_b32_e64 v81, 0, v75, s3
	s_delay_alu instid0(VALU_DEP_4) | instskip(NEXT) | instid1(VALU_DEP_4)
	v_dual_add_f32 v73, 0, v79 :: v_dual_mul_f32 v72, 0x3fb8aa3b, v72
	v_exp_f32_e32 v77, v77
	v_cndmask_b32_e64 v80, 0, v76, s4
	s_delay_alu instid0(TRANS32_DEP_2) | instskip(NEXT) | instid1(VALU_DEP_3)
	v_cndmask_b32_e64 v85, 0, v84, s7
	v_add_f32_e32 v73, v73, v78
	v_exp_f32_e32 v72, v72
	s_mov_b32 s2, exec_lo
	s_delay_alu instid0(VALU_DEP_1) | instskip(SKIP_4) | instid1(VALU_DEP_2)
	v_add_f32_e32 v73, v73, v81
	s_waitcnt_depctr 0xfff
	v_cndmask_b32_e64 v83, 0, v77, s5
	v_add_f32_e32 v73, v73, v80
	v_cndmask_b32_e64 v82, 0, v72, s6
	v_add_f32_e32 v72, v73, v83
	s_delay_alu instid0(VALU_DEP_1) | instskip(NEXT) | instid1(VALU_DEP_1)
	v_add_f32_e32 v72, v72, v82
	v_add_f32_e32 v72, v72, v85
	v_fma_f32 v76, s19, v111, -v71
	v_fma_f32 v75, s19, v142, -v71
	;; [unrolled: 1-line block ×5, first 2 shown]
	s_delay_alu instid0(VALU_DEP_4) | instskip(NEXT) | instid1(VALU_DEP_3)
	v_dual_mul_f32 v76, 0x3fb8aa3b, v76 :: v_dual_mul_f32 v75, 0x3fb8aa3b, v75
	v_mul_f32_e32 v86, 0x3fb8aa3b, v86
	s_delay_alu instid0(VALU_DEP_2) | instskip(NEXT) | instid1(VALU_DEP_2)
	v_exp_f32_e32 v76, v76
	v_exp_f32_e32 v75, v75
	s_delay_alu instid0(VALU_DEP_1) | instskip(NEXT) | instid1(TRANS32_DEP_3)
	v_exp_f32_e32 v88, v86
	v_cndmask_b32_e64 v87, 0, v76, s9
	v_fma_f32 v76, s19, v116, -v71
	v_mul_f32_e32 v77, 0x3fb8aa3b, v77
	s_waitcnt_depctr 0xfff
	v_cndmask_b32_e64 v84, 0, v75, s8
	v_fma_f32 v75, s19, v115, -v71
	v_cndmask_b32_e64 v88, 0, v88, s12
	v_mul_f32_e32 v76, 0x3fb8aa3b, v76
	v_exp_f32_e32 v77, v77
	v_add_f32_e32 v72, v72, v84
	s_delay_alu instid0(VALU_DEP_2) | instskip(NEXT) | instid1(VALU_DEP_1)
	v_exp_f32_e32 v76, v76
	v_add_f32_e32 v72, v72, v87
	s_waitcnt_depctr 0xfff
	v_cndmask_b32_e64 v86, 0, v77, s10
	v_mul_f32_e32 v73, 0x3fb8aa3b, v73
	v_fma_f32 v77, s19, v117, -v71
	v_cndmask_b32_e64 v90, 0, v76, s15
	s_delay_alu instid0(VALU_DEP_4) | instskip(NEXT) | instid1(VALU_DEP_4)
	v_add_f32_e32 v72, v72, v86
	v_exp_f32_e32 v73, v73
	s_waitcnt_depctr 0xfff
	v_cndmask_b32_e64 v89, 0, v73, s11
	s_delay_alu instid0(VALU_DEP_1) | instskip(NEXT) | instid1(VALU_DEP_1)
	v_dual_mul_f32 v75, 0x3fb8aa3b, v75 :: v_dual_add_f32 v72, v72, v89
	v_exp_f32_e32 v75, v75
	v_mul_f32_e32 v73, 0x3fb8aa3b, v77
	v_fma_f32 v77, s19, v118, -v71
	s_delay_alu instid0(VALU_DEP_3) | instskip(NEXT) | instid1(VALU_DEP_3)
	v_add_f32_e32 v72, v72, v88
	v_exp_f32_e32 v73, v73
	s_waitcnt_depctr 0xfff
	v_cndmask_b32_e64 v91, 0, v75, s13
	s_delay_alu instid0(VALU_DEP_1) | instskip(NEXT) | instid1(VALU_DEP_1)
	v_dual_mul_f32 v75, 0x3fb8aa3b, v77 :: v_dual_add_f32 v72, v72, v91
	v_exp_f32_e32 v75, v75
	v_cndmask_b32_e64 v93, 0, v73, s16
	s_delay_alu instid0(VALU_DEP_2) | instskip(NEXT) | instid1(VALU_DEP_1)
	v_add_f32_e32 v72, v72, v90
	v_add_f32_e32 v72, v72, v93
	s_waitcnt_depctr 0xfff
	v_cndmask_b32_e64 v92, 0, v75, s17
	s_delay_alu instid0(VALU_DEP_1)
	v_add_f32_e32 v72, v72, v92
	ds_bpermute_b32 v73, v74, v72
	v_cmpx_gt_u32_e32 16, v70
	s_cbranch_execz .LBB1061_12
; %bb.11:
	v_mul_u32_u24_e32 v70, 0x44, v69
	s_waitcnt lgkmcnt(0)
	v_add_f32_e32 v72, v72, v73
	s_delay_alu instid0(VALU_DEP_2) | instskip(NEXT) | instid1(VALU_DEP_1)
	v_lshl_add_u32 v70, v68, 2, v70
	v_add_nc_u32_e32 v70, 0x4000, v70
	ds_store_2addr_b32 v70, v71, v72 offset1:136
.LBB1061_12:
	s_or_b32 exec_lo, exec_lo, s2
	v_lshlrev_b32_e32 v70, 2, v68
	s_load_b32 s34, s[0:1], 0x94
	s_waitcnt lgkmcnt(0)
	s_barrier
	buffer_gl0_inv
	v_add_nc_u32_e32 v98, 0x4000, v70
	v_cmp_eq_u32_e32 vcc_lo, 1, v69
	v_cmp_eq_u32_e64 s2, 2, v69
	v_cmp_eq_u32_e64 s3, 3, v69
	;; [unrolled: 1-line block ×3, first 2 shown]
	ds_load_2addr_b32 v[70:71], v98 offset1:17
	ds_load_2addr_b32 v[72:73], v98 offset0:34 offset1:51
	ds_load_2addr_b32 v[74:75], v98 offset0:68 offset1:85
	;; [unrolled: 1-line block ×3, first 2 shown]
	v_cmp_eq_u32_e64 s5, 5, v69
	v_cmp_eq_u32_e64 s6, 7, v69
	s_waitcnt lgkmcnt(3)
	v_max3_f32 v76, v70, 0xff7fffff, v71
	s_waitcnt lgkmcnt(2)
	s_delay_alu instid0(VALU_DEP_1) | instskip(SKIP_1) | instid1(VALU_DEP_1)
	v_max3_f32 v76, v76, v72, v73
	s_waitcnt lgkmcnt(1)
	v_max3_f32 v76, v76, v74, v75
	s_waitcnt lgkmcnt(0)
	s_delay_alu instid0(VALU_DEP_1) | instskip(NEXT) | instid1(VALU_DEP_1)
	v_max3_f32 v76, v76, v94, v95
	v_sub_f32_e32 v77, v71, v76
	ds_load_2addr_b32 v[96:97], v98 offset0:136 offset1:153
	v_sub_f32_e32 v74, v74, v76
	v_sub_f32_e32 v70, v70, v76
	;; [unrolled: 1-line block ×3, first 2 shown]
	v_dual_sub_f32 v72, v72, v76 :: v_dual_mul_f32 v77, 0x3fb8aa3b, v77
	s_delay_alu instid0(VALU_DEP_4) | instskip(NEXT) | instid1(VALU_DEP_4)
	v_mul_f32_e32 v103, 0x3fb8aa3b, v74
	v_mul_f32_e32 v99, 0x3fb8aa3b, v70
	ds_load_2addr_b32 v[70:71], v98 offset0:170 offset1:187
	v_dual_mul_f32 v101, 0x3fb8aa3b, v72 :: v_dual_mul_f32 v94, 0x3fb8aa3b, v94
	v_exp_f32_e32 v102, v77
	v_exp_f32_e32 v99, v99
	s_delay_alu instid0(VALU_DEP_1) | instskip(NEXT) | instid1(VALU_DEP_1)
	v_exp_f32_e32 v101, v101
	v_exp_f32_e32 v94, v94
	s_waitcnt lgkmcnt(1)
	s_delay_alu instid0(TRANS32_DEP_3)
	v_fma_f32 v77, v99, v96, 0
	v_sub_f32_e32 v100, v73, v76
	ds_load_2addr_b32 v[72:73], v98 offset0:204 offset1:221
	v_fmac_f32_e32 v77, v102, v97
	v_exp_f32_e32 v97, v103
	s_waitcnt lgkmcnt(1)
	s_delay_alu instid0(VALU_DEP_1)
	v_dual_fmac_f32 v77, v101, v70 :: v_dual_sub_f32 v96, v75, v76
	ds_load_2addr_b32 v[74:75], v98 offset0:238 offset1:255
	v_sub_f32_e32 v70, v95, v76
	s_waitcnt lgkmcnt(0)
	s_barrier
	v_mul_f32_e32 v96, 0x3fb8aa3b, v96
	buffer_gl0_inv
	v_exp_f32_e32 v95, v96
	v_mul_f32_e32 v100, 0x3fb8aa3b, v100
	s_delay_alu instid0(VALU_DEP_1) | instskip(SKIP_3) | instid1(VALU_DEP_2)
	v_exp_f32_e32 v100, v100
	s_waitcnt_depctr 0xfff
	v_dual_fmac_f32 v77, v100, v71 :: v_dual_mul_f32 v70, 0x3fb8aa3b, v70
	v_cndmask_b32_e32 v71, v99, v102, vcc_lo
	v_fmac_f32_e32 v77, v97, v72
	s_delay_alu instid0(VALU_DEP_3) | instskip(NEXT) | instid1(VALU_DEP_1)
	v_exp_f32_e32 v96, v70
	v_fmac_f32_e32 v77, v95, v73
	s_delay_alu instid0(VALU_DEP_1) | instskip(SKIP_2) | instid1(VALU_DEP_1)
	v_fmac_f32_e32 v77, v94, v74
	s_waitcnt_depctr 0xfff
	v_fmac_f32_e32 v77, v96, v75
	v_add_f32_e32 v74, 0x358637bd, v77
	s_delay_alu instid0(VALU_DEP_1) | instskip(SKIP_1) | instid1(VALU_DEP_2)
	v_div_scale_f32 v98, null, v74, v74, 1.0
	v_div_scale_f32 v99, vcc_lo, 1.0, v74, 1.0
	v_rcp_f32_e32 v103, v98
	s_waitcnt_depctr 0xfff
	v_fma_f32 v70, -v98, v103, 1.0
	s_delay_alu instid0(VALU_DEP_1) | instskip(SKIP_2) | instid1(VALU_DEP_2)
	v_fmac_f32_e32 v103, v70, v103
	v_cndmask_b32_e64 v70, v71, v101, s2
	v_cmp_eq_u32_e64 s2, 6, v69
	v_cndmask_b32_e64 v71, v70, v100, s3
	s_delay_alu instid0(VALU_DEP_4) | instskip(NEXT) | instid1(VALU_DEP_2)
	v_dual_mul_f32 v101, v99, v103 :: v_dual_lshlrev_b32 v70, 2, v66
	v_cndmask_b32_e64 v71, v71, v97, s4
	s_delay_alu instid0(VALU_DEP_2) | instskip(NEXT) | instid1(VALU_DEP_3)
	v_or_b32_e32 v72, 1, v70
	v_fma_f32 v100, -v98, v101, v99
	v_cmp_eq_u32_e64 s3, 1, v70
	v_cmp_eq_u32_e64 s4, 2, v70
	v_cndmask_b32_e64 v95, v71, v95, s5
	v_or_b32_e32 v71, 3, v70
	v_fmac_f32_e32 v101, v100, v103
	v_cmp_eq_u32_e64 s8, 1, v72
	v_cmp_eq_u32_e64 s11, 2, v72
	v_cndmask_b32_e64 v94, v95, v94, s2
	v_cmp_eq_u32_e64 s10, 1, v71
	v_fma_f32 v97, -v98, v101, v99
	v_cmp_eq_u32_e64 s15, 2, v71
	v_cmp_eq_u32_e64 s12, 3, v72
	v_cndmask_b32_e64 v94, v94, v96, s6
	v_cmp_eq_u32_e64 s17, 3, v71
	v_div_fmas_f32 v95, v97, v103, v101
	v_cmp_eq_u32_e32 vcc_lo, 3, v70
	v_cmp_eq_u32_e64 s2, 4, v70
	v_cmp_eq_u32_e64 s18, 4, v72
	v_cmp_eq_u32_e64 s21, 4, v71
	v_div_fixup_f32 v95, v95, v74, 1.0
	v_lshlrev_b32_e32 v73, 6, v68
	v_cmp_eq_u32_e64 s5, 5, v70
	v_cmp_eq_u32_e64 s19, 5, v72
	v_cmp_eq_u32_e64 s23, 5, v71
	v_mul_f32_e32 v102, v94, v95
	v_lshl_or_b32 v75, v69, 11, v73
	v_or_b32_e32 v69, 2, v70
	v_cmp_eq_u32_e64 s24, 6, v72
	v_cmp_eq_u32_e64 s26, 6, v71
	v_fma_mixlo_f16 v94, v102, v79, 0
	v_fma_mixlo_f16 v95, v102, v81, 0
	;; [unrolled: 1-line block ×8, first 2 shown]
	v_lshl_or_b32 v74, v66, 4, v75
	v_fma_mixhi_f16 v94, v102, v78, 0
	v_fma_mixhi_f16 v95, v102, v80, 0
	;; [unrolled: 1-line block ×8, first 2 shown]
	ds_store_b128 v74, v[94:97]
	ds_store_b128 v74, v[98:101] offset:1024
	s_waitcnt lgkmcnt(0)
	s_barrier
	buffer_gl0_inv
	ds_load_b128 v[78:81], v75
	ds_load_b128 v[82:85], v75 offset:16
	ds_load_b128 v[86:89], v75 offset:1024
	;; [unrolled: 1-line block ×3, first 2 shown]
	v_cmp_eq_u32_e64 s9, 1, v69
	v_cmp_eq_u32_e64 s13, 2, v69
	;; [unrolled: 1-line block ×11, first 2 shown]
	s_waitcnt lgkmcnt(3)
	v_lshrrev_b32_e32 v94, 16, v78
	s_waitcnt lgkmcnt(2)
	v_lshrrev_b32_e32 v98, 16, v82
	;; [unrolled: 2-line block ×4, first 2 shown]
	v_lshrrev_b32_e32 v95, 16, v79
	v_cndmask_b32_e64 v110, v78, v94, s3
	v_cndmask_b32_e64 v111, v82, v98, s3
	;; [unrolled: 1-line block ×8, first 2 shown]
	v_lshrrev_b32_e32 v99, 16, v83
	v_cndmask_b32_e64 v94, v86, v102, s3
	v_cndmask_b32_e64 v98, v90, v106, s3
	;; [unrolled: 1-line block ×15, first 2 shown]
	v_lshrrev_b32_e32 v103, 16, v87
	v_lshrrev_b32_e32 v107, 16, v91
	v_cndmask_b32_e64 v113, v115, v83, s13
	v_cndmask_b32_e64 v82, v94, v87, s4
	;; [unrolled: 1-line block ×7, first 2 shown]
	v_cndmask_b32_e32 v90, v102, v95, vcc_lo
	v_cndmask_b32_e32 v102, v106, v99, vcc_lo
	v_cndmask_b32_e64 v106, v110, v95, s12
	v_cndmask_b32_e64 v110, v111, v99, s12
	v_cndmask_b32_e64 v78, v78, v95, s17
	v_cndmask_b32_e64 v79, v79, v99, s17
	v_lshrrev_b32_e32 v96, 16, v80
	v_lshrrev_b32_e32 v100, 16, v84
	v_cndmask_b32_e64 v111, v112, v95, s16
	v_cndmask_b32_e64 v112, v113, v99, s16
	v_cndmask_b32_e32 v82, v82, v103, vcc_lo
	v_cndmask_b32_e32 v83, v83, v107, vcc_lo
	v_cndmask_b32_e64 v94, v94, v103, s12
	v_cndmask_b32_e64 v90, v90, v80, s2
	v_cndmask_b32_e64 v95, v102, v84, s2
	v_cndmask_b32_e64 v99, v106, v80, s18
	v_cndmask_b32_e64 v102, v110, v84, s18
	v_cndmask_b32_e64 v78, v78, v80, s21
	v_cndmask_b32_e64 v79, v79, v84, s21
	v_lshrrev_b32_e32 v104, 16, v88
	v_cndmask_b32_e64 v106, v111, v80, s20
	v_cndmask_b32_e64 v110, v112, v84, s20
	;; [unrolled: 1-line block ×11, first 2 shown]
	v_lshrrev_b32_e32 v97, 16, v81
	v_lshrrev_b32_e32 v101, 16, v85
	v_cndmask_b32_e64 v99, v106, v96, s22
	v_cndmask_b32_e64 v102, v110, v100, s22
	;; [unrolled: 1-line block ×7, first 2 shown]
	v_lshrrev_b32_e32 v105, 16, v89
	v_cndmask_b32_e64 v80, v80, v104, s5
	v_cndmask_b32_e64 v84, v84, v81, s6
	;; [unrolled: 1-line block ×16, first 2 shown]
	v_perm_b32 v81, v79, v78, 0x5040100
	v_perm_b32 v79, v95, v85, 0x5040100
	v_cndmask_b32_e64 v78, v119, v91, s13
	v_cndmask_b32_e64 v85, v117, v91, s11
	;; [unrolled: 1-line block ×3, first 2 shown]
	v_perm_b32 v80, v94, v90, 0x5040100
	v_cndmask_b32_e64 v90, v98, v103, s16
	v_cndmask_b32_e64 v86, v86, v103, s17
	v_cndmask_b32_e64 v87, v87, v107, s17
	v_cndmask_b32_e64 v78, v78, v107, s16
	v_cndmask_b32_e64 v85, v85, v107, s12
	v_lshrrev_b32_e32 v108, 16, v92
	v_cndmask_b32_e64 v90, v90, v88, s20
	v_cndmask_b32_e64 v86, v86, v88, s21
	;; [unrolled: 1-line block ×11, first 2 shown]
	v_lshrrev_b32_e32 v109, 16, v93
	v_cndmask_b32_e64 v82, v82, v93, s6
	v_cndmask_b32_e64 v88, v88, v89, s25
	;; [unrolled: 1-line block ×12, first 2 shown]
	v_perm_b32 v78, v84, v83, 0x5040100
	v_perm_b32 v85, v87, v86, 0x5040100
	;; [unrolled: 1-line block ×5, first 2 shown]
	s_mul_i32 s7, s33, 12
	s_mov_b32 s2, exec_lo
	ds_store_b128 v74, v[78:81]
	ds_store_b128 v74, v[82:85] offset:1024
	v_cmpx_gt_u32_e32 12, v0
	s_cbranch_execz .LBB1061_14
; %bb.13:
	s_mul_i32 s3, s7, s30
	s_load_b128 s[8:11], s[0:1], 0x58
	v_add3_u32 v68, s3, s31, v68
	s_delay_alu instid0(VALU_DEP_1) | instskip(NEXT) | instid1(VALU_DEP_1)
	v_mad_u64_u32 v[78:79], null, v68, s34, s[14:15]
	v_ashrrev_i32_e32 v79, 31, v78
	s_delay_alu instid0(VALU_DEP_1) | instskip(SKIP_1) | instid1(VALU_DEP_1)
	v_lshlrev_b64 v[78:79], 2, v[78:79]
	s_waitcnt lgkmcnt(0)
	v_add_co_u32 v80, vcc_lo, s10, v78
	s_delay_alu instid0(VALU_DEP_2)
	v_add_co_ci_u32_e32 v81, vcc_lo, s11, v79, vcc_lo
	v_add_co_u32 v78, vcc_lo, s8, v78
	v_add_co_ci_u32_e32 v79, vcc_lo, s9, v79, vcc_lo
	global_store_b32 v[80:81], v76, off
	global_store_b32 v[78:79], v77, off
.LBB1061_14:
	s_or_b32 exec_lo, exec_lo, s2
	s_waitcnt lgkmcnt(0)
	s_waitcnt_vscnt null, 0x0
	s_barrier
	buffer_gl0_inv
	ds_load_b128 v[84:87], v73
	ds_load_b128 v[88:91], v73 offset:16
	ds_load_b128 v[96:99], v73 offset:2064
	;; [unrolled: 1-line block ×5, first 2 shown]
	v_cmp_eq_u32_e32 vcc_lo, 1, v70
	v_mov_b32_e32 v76, 0
	ds_load_b128 v[112:115], v73 offset:6160
	ds_load_b128 v[108:111], v73 offset:6144
	;; [unrolled: 1-line block ×4, first 2 shown]
	v_cmp_eq_u32_e64 s3, 1, v69
	v_cmp_eq_u32_e64 s2, 1, v72
	v_cmp_eq_u32_e64 s4, 2, v72
	v_mov_b32_e32 v77, v76
	v_mov_b32_e32 v78, v76
	;; [unrolled: 1-line block ×7, first 2 shown]
	v_cmp_eq_u32_e64 s5, 3, v72
	v_cmp_eq_u32_e64 s6, 7, v72
	s_waitcnt lgkmcnt(8)
	s_delay_alu instid0(VALU_DEP_3)
	v_wmma_f32_16x16x16_f16 v[76:83], v[49:56], v[84:91], v[76:83]
	ds_load_b128 v[53:56], v73 offset:10256
	ds_load_b128 v[49:52], v73 offset:10240
	s_waitcnt lgkmcnt(8)
	v_wmma_f32_16x16x16_f16 v[76:83], v[41:48], v[92:99], v[76:83]
	ds_load_b128 v[45:48], v73 offset:12304
	ds_load_b128 v[41:44], v73 offset:12288
	s_waitcnt lgkmcnt(8)
	v_wmma_f32_16x16x16_f16 v[76:83], v[33:40], v[100:107], v[76:83]
	ds_load_b128 v[37:40], v73 offset:14352
	ds_load_b128 v[33:36], v73 offset:14336
	s_waitcnt lgkmcnt(0)
	s_barrier
	buffer_gl0_inv
	v_wmma_f32_16x16x16_f16 v[76:83], v[1:8], v[108:115], v[76:83]
	s_delay_alu instid0(VALU_DEP_1) | instskip(NEXT) | instid1(VALU_DEP_1)
	v_wmma_f32_16x16x16_f16 v[76:83], v[9:16], v[116:123], v[76:83]
	v_wmma_f32_16x16x16_f16 v[76:83], v[17:24], v[49:56], v[76:83]
	s_delay_alu instid0(VALU_DEP_1) | instskip(NEXT) | instid1(VALU_DEP_1)
	v_wmma_f32_16x16x16_f16 v[76:83], v[25:32], v[41:48], v[76:83]
	v_wmma_f32_16x16x16_f16 v[76:83], v[57:64], v[33:40], v[76:83]
	s_delay_alu instid0(VALU_DEP_1) | instskip(NEXT) | instid1(VALU_DEP_2)
	v_cvt_f16_f32_e32 v1, v76
	v_cvt_f16_f32_e32 v2, v77
	s_delay_alu instid0(VALU_DEP_3) | instskip(NEXT) | instid1(VALU_DEP_4)
	v_cvt_f16_f32_e32 v3, v78
	v_cvt_f16_f32_e32 v4, v79
	;; [unrolled: 1-line block ×6, first 2 shown]
	v_pack_b32_f16 v1, v1, v2
	v_pack_b32_f16 v2, v3, v4
	;; [unrolled: 1-line block ×3, first 2 shown]
	s_delay_alu instid0(VALU_DEP_4)
	v_pack_b32_f16 v4, v7, v8
	ds_store_b128 v74, v[1:4]
	s_waitcnt lgkmcnt(0)
	s_barrier
	buffer_gl0_inv
	ds_load_b128 v[1:4], v75
	ds_load_b128 v[5:8], v75 offset:16
	s_waitcnt lgkmcnt(1)
	v_lshrrev_b32_e32 v9, 16, v1
	s_waitcnt lgkmcnt(0)
	v_lshrrev_b32_e32 v13, 16, v5
	v_lshrrev_b32_e32 v10, 16, v2
	;; [unrolled: 1-line block ×4, first 2 shown]
	v_cndmask_b32_e32 v17, v1, v9, vcc_lo
	v_cndmask_b32_e32 v18, v5, v13, vcc_lo
	v_cndmask_b32_e64 v21, v1, v9, s3
	v_cmp_eq_u32_e32 vcc_lo, 1, v71
	v_cndmask_b32_e64 v22, v5, v13, s3
	v_cmp_eq_u32_e64 s3, 2, v70
	v_cndmask_b32_e64 v19, v1, v9, s2
	v_cndmask_b32_e64 v20, v5, v13, s2
	v_cndmask_b32_e32 v1, v1, v9, vcc_lo
	v_cmp_eq_u32_e64 s2, 2, v71
	v_cndmask_b32_e32 v5, v5, v13, vcc_lo
	v_cndmask_b32_e64 v9, v17, v2, s3
	v_cmp_eq_u32_e32 vcc_lo, 3, v70
	v_cndmask_b32_e64 v13, v18, v6, s3
	v_cmp_eq_u32_e64 s3, 2, v69
	v_cndmask_b32_e64 v17, v19, v2, s4
	v_cndmask_b32_e64 v18, v20, v6, s4
	v_cmp_eq_u32_e64 s4, 3, v69
	v_cndmask_b32_e64 v1, v1, v2, s2
	v_cndmask_b32_e64 v19, v21, v2, s3
	;; [unrolled: 1-line block ×4, first 2 shown]
	v_cndmask_b32_e32 v5, v9, v10, vcc_lo
	v_cndmask_b32_e32 v6, v13, v14, vcc_lo
	v_cmp_eq_u32_e32 vcc_lo, 3, v71
	v_cndmask_b32_e64 v9, v17, v10, s5
	v_cndmask_b32_e64 v13, v18, v14, s5
	;; [unrolled: 1-line block ×3, first 2 shown]
	v_cmp_eq_u32_e64 s3, 4, v70
	v_cndmask_b32_e32 v1, v1, v10, vcc_lo
	v_cndmask_b32_e32 v2, v2, v14, vcc_lo
	v_cmp_eq_u32_e32 vcc_lo, 4, v72
	v_lshrrev_b32_e32 v15, 16, v7
	v_lshrrev_b32_e32 v16, 16, v8
	v_cndmask_b32_e64 v17, v19, v10, s4
	v_cmp_eq_u32_e64 s2, 4, v71
	v_cndmask_b32_e64 v5, v5, v3, s3
	v_cndmask_b32_e64 v6, v6, v7, s3
	v_cndmask_b32_e32 v9, v9, v3, vcc_lo
	v_cmp_eq_u32_e64 s3, 5, v72
	v_cndmask_b32_e32 v10, v13, v7, vcc_lo
	v_cmp_eq_u32_e32 vcc_lo, 4, v69
	v_cmp_eq_u32_e64 s4, 5, v70
	v_cndmask_b32_e64 v2, v2, v7, s2
	v_cndmask_b32_e64 v9, v9, v11, s3
	;; [unrolled: 1-line block ×3, first 2 shown]
	v_cndmask_b32_e32 v13, v17, v3, vcc_lo
	v_cmp_eq_u32_e64 s3, 5, v69
	v_cndmask_b32_e32 v14, v18, v7, vcc_lo
	v_cndmask_b32_e64 v1, v1, v3, s2
	v_cmp_eq_u32_e32 vcc_lo, 5, v71
	v_lshrrev_b32_e32 v12, 16, v4
	v_cndmask_b32_e64 v13, v13, v11, s3
	v_cndmask_b32_e64 v3, v14, v15, s3
	v_cmp_eq_u32_e64 s3, 6, v71
	v_cndmask_b32_e32 v1, v1, v11, vcc_lo
	v_cndmask_b32_e64 v5, v5, v11, s4
	v_cmp_eq_u32_e64 s5, 6, v70
	v_cndmask_b32_e64 v6, v6, v15, s4
	v_cmp_eq_u32_e64 s4, 6, v72
	v_cmp_eq_u32_e64 s2, 6, v69
	v_cndmask_b32_e64 v1, v1, v4, s3
	v_cndmask_b32_e32 v2, v2, v15, vcc_lo
	v_cmp_eq_u32_e32 vcc_lo, 7, v71
	v_cndmask_b32_e64 v5, v5, v4, s5
	v_cndmask_b32_e64 v9, v9, v4, s4
	;; [unrolled: 1-line block ×3, first 2 shown]
	v_cmp_eq_u32_e64 s5, 7, v70
	v_cndmask_b32_e32 v1, v1, v12, vcc_lo
	v_cndmask_b32_e64 v7, v13, v4, s2
	v_cndmask_b32_e64 v3, v3, v8, s2
	;; [unrolled: 1-line block ×3, first 2 shown]
	v_cmp_eq_u32_e64 s2, 7, v69
	v_cndmask_b32_e64 v4, v10, v8, s4
	v_cndmask_b32_e64 v5, v5, v12, s5
	;; [unrolled: 1-line block ×3, first 2 shown]
	v_cndmask_b32_e32 v2, v2, v16, vcc_lo
	v_cndmask_b32_e64 v7, v7, v12, s2
	v_cndmask_b32_e64 v3, v3, v16, s2
	;; [unrolled: 1-line block ×4, first 2 shown]
	v_perm_b32 v4, v2, v1, 0x5040100
	s_mov_b32 s2, exec_lo
	v_perm_b32 v3, v3, v7, 0x5040100
	v_perm_b32 v2, v8, v9, 0x5040100
	;; [unrolled: 1-line block ×3, first 2 shown]
	ds_store_b128 v74, v[1:4]
	s_waitcnt lgkmcnt(0)
	s_barrier
	buffer_gl0_inv
	v_cmpx_gt_u32_e32 32, v0
	s_cbranch_execz .LBB1061_2
; %bb.15:
	s_load_b64 s[0:1], s[0:1], 0x68
	v_lshlrev_b32_e32 v0, 10, v0
	s_lshl_b32 s4, s34, 7
	v_or_b32_e32 v3, s31, v66
	s_mul_i32 s2, s4, s30
	v_lshlrev_b32_e32 v1, 4, v67
	s_mul_i32 s2, s2, s7
	v_lshlrev_b32_e32 v2, 6, v66
	v_and_b32_e32 v0, 0x3800, v0
	s_ashr_i32 s3, s2, 31
	v_mul_lo_u32 v4, v3, s4
	s_lshl_b64 s[2:3], s[2:3], 1
	s_delay_alu instid0(VALU_DEP_2) | instskip(NEXT) | instid1(VALU_DEP_2)
	v_or3_b32 v16, v0, v1, v2
	v_ashrrev_i32_e32 v5, 31, v4
	ds_load_b128 v[0:3], v16
	s_waitcnt lgkmcnt(0)
	s_add_u32 s2, s0, s2
	s_addc_u32 s3, s1, s3
	s_lshl_b32 s0, s14, 7
	v_lshlrev_b64 v[5:6], 1, v[4:5]
	s_ashr_i32 s1, s0, 31
	s_delay_alu instid0(SALU_CYCLE_1) | instskip(NEXT) | instid1(SALU_CYCLE_1)
	s_lshl_b64 s[0:1], s[0:1], 1
	s_add_u32 s0, s2, s0
	s_addc_u32 s1, s3, s1
	s_lshl_b32 s2, s34, 8
	v_add_co_u32 v30, s0, s0, v65
	v_add_nc_u32_e32 v8, s2, v4
	v_add_co_ci_u32_e64 v31, null, s1, 0, s0
	s_delay_alu instid0(VALU_DEP_3) | instskip(NEXT) | instid1(VALU_DEP_3)
	v_add_co_u32 v12, vcc_lo, v30, v5
	v_add_nc_u32_e32 v10, s2, v8
	v_ashrrev_i32_e32 v9, 31, v8
	s_delay_alu instid0(VALU_DEP_4)
	v_add_co_ci_u32_e32 v13, vcc_lo, v31, v6, vcc_lo
	ds_load_b128 v[4:7], v16 offset:128
	v_ashrrev_i32_e32 v11, 31, v10
	v_lshlrev_b64 v[8:9], 1, v[8:9]
	v_add_nc_u32_e32 v14, s2, v10
	global_store_b128 v[12:13], v[0:3], off
	v_lshlrev_b64 v[0:1], 1, v[10:11]
	v_ashrrev_i32_e32 v15, 31, v14
	v_add_co_u32 v22, vcc_lo, v30, v8
	v_add_nc_u32_e32 v20, s2, v14
	v_add_co_ci_u32_e32 v23, vcc_lo, v31, v9, vcc_lo
	v_add_co_u32 v26, vcc_lo, v30, v0
	v_lshlrev_b64 v[24:25], 1, v[14:15]
	v_add_co_ci_u32_e32 v27, vcc_lo, v31, v1, vcc_lo
	ds_load_b128 v[0:3], v16 offset:256
	ds_load_b128 v[8:11], v16 offset:384
	;; [unrolled: 1-line block ×4, first 2 shown]
	v_add_nc_u32_e32 v28, s2, v20
	v_ashrrev_i32_e32 v21, 31, v20
	v_add_co_u32 v24, vcc_lo, v30, v24
	v_add_co_ci_u32_e32 v25, vcc_lo, v31, v25, vcc_lo
	s_delay_alu instid0(VALU_DEP_4) | instskip(NEXT) | instid1(VALU_DEP_4)
	v_ashrrev_i32_e32 v29, 31, v28
	v_lshlrev_b64 v[20:21], 1, v[20:21]
	s_delay_alu instid0(VALU_DEP_2) | instskip(NEXT) | instid1(VALU_DEP_2)
	v_lshlrev_b64 v[28:29], 1, v[28:29]
	v_add_co_u32 v20, vcc_lo, v30, v20
	s_delay_alu instid0(VALU_DEP_3) | instskip(NEXT) | instid1(VALU_DEP_3)
	v_add_co_ci_u32_e32 v21, vcc_lo, v31, v21, vcc_lo
	v_add_co_u32 v28, vcc_lo, v30, v28
	s_delay_alu instid0(VALU_DEP_4)
	v_add_co_ci_u32_e32 v29, vcc_lo, v31, v29, vcc_lo
	s_waitcnt lgkmcnt(4)
	global_store_b128 v[22:23], v[4:7], off
	s_waitcnt lgkmcnt(3)
	global_store_b128 v[26:27], v[0:3], off
	;; [unrolled: 2-line block ×5, first 2 shown]
	s_nop 0
	s_sendmsg sendmsg(MSG_DEALLOC_VGPRS)
	s_endpgm
	.section	.rodata,"a",@progbits
	.p2align	6, 0x0
	.amdhsa_kernel _Z39paged_attention_ll4mi_QKV_mfma16_kernelIDF16_hLN4vllm18Fp8KVCacheDataTypeE1EDF16_Li32ELi128ELi256ELb1ELi12EL8MFMAType1EEvPKT_PKT0_S8_ifPKiSA_SA_iPKfiiiPfSD_PS3_PT2_iSC_SC_
		.amdhsa_group_segment_fixed_size 17472
		.amdhsa_private_segment_fixed_size 0
		.amdhsa_kernarg_size 400
		.amdhsa_user_sgpr_count 13
		.amdhsa_user_sgpr_dispatch_ptr 0
		.amdhsa_user_sgpr_queue_ptr 0
		.amdhsa_user_sgpr_kernarg_segment_ptr 1
		.amdhsa_user_sgpr_dispatch_id 0
		.amdhsa_user_sgpr_private_segment_size 0
		.amdhsa_wavefront_size32 1
		.amdhsa_uses_dynamic_stack 0
		.amdhsa_enable_private_segment 0
		.amdhsa_system_sgpr_workgroup_id_x 1
		.amdhsa_system_sgpr_workgroup_id_y 1
		.amdhsa_system_sgpr_workgroup_id_z 1
		.amdhsa_system_sgpr_workgroup_info 0
		.amdhsa_system_vgpr_workitem_id 0
		.amdhsa_next_free_vgpr 150
		.amdhsa_next_free_sgpr 37
		.amdhsa_reserve_vcc 1
		.amdhsa_float_round_mode_32 0
		.amdhsa_float_round_mode_16_64 0
		.amdhsa_float_denorm_mode_32 3
		.amdhsa_float_denorm_mode_16_64 3
		.amdhsa_dx10_clamp 1
		.amdhsa_ieee_mode 1
		.amdhsa_fp16_overflow 0
		.amdhsa_workgroup_processor_mode 1
		.amdhsa_memory_ordered 1
		.amdhsa_forward_progress 0
		.amdhsa_shared_vgpr_count 0
		.amdhsa_exception_fp_ieee_invalid_op 0
		.amdhsa_exception_fp_denorm_src 0
		.amdhsa_exception_fp_ieee_div_zero 0
		.amdhsa_exception_fp_ieee_overflow 0
		.amdhsa_exception_fp_ieee_underflow 0
		.amdhsa_exception_fp_ieee_inexact 0
		.amdhsa_exception_int_div_zero 0
	.end_amdhsa_kernel
	.section	.text._Z39paged_attention_ll4mi_QKV_mfma16_kernelIDF16_hLN4vllm18Fp8KVCacheDataTypeE1EDF16_Li32ELi128ELi256ELb1ELi12EL8MFMAType1EEvPKT_PKT0_S8_ifPKiSA_SA_iPKfiiiPfSD_PS3_PT2_iSC_SC_,"axG",@progbits,_Z39paged_attention_ll4mi_QKV_mfma16_kernelIDF16_hLN4vllm18Fp8KVCacheDataTypeE1EDF16_Li32ELi128ELi256ELb1ELi12EL8MFMAType1EEvPKT_PKT0_S8_ifPKiSA_SA_iPKfiiiPfSD_PS3_PT2_iSC_SC_,comdat
.Lfunc_end1061:
	.size	_Z39paged_attention_ll4mi_QKV_mfma16_kernelIDF16_hLN4vllm18Fp8KVCacheDataTypeE1EDF16_Li32ELi128ELi256ELb1ELi12EL8MFMAType1EEvPKT_PKT0_S8_ifPKiSA_SA_iPKfiiiPfSD_PS3_PT2_iSC_SC_, .Lfunc_end1061-_Z39paged_attention_ll4mi_QKV_mfma16_kernelIDF16_hLN4vllm18Fp8KVCacheDataTypeE1EDF16_Li32ELi128ELi256ELb1ELi12EL8MFMAType1EEvPKT_PKT0_S8_ifPKiSA_SA_iPKfiiiPfSD_PS3_PT2_iSC_SC_
                                        ; -- End function
	.section	.AMDGPU.csdata,"",@progbits
; Kernel info:
; codeLenInByte = 6756
; NumSgprs: 39
; NumVgprs: 150
; ScratchSize: 0
; MemoryBound: 0
; FloatMode: 240
; IeeeMode: 1
; LDSByteSize: 17472 bytes/workgroup (compile time only)
; SGPRBlocks: 4
; VGPRBlocks: 18
; NumSGPRsForWavesPerEU: 39
; NumVGPRsForWavesPerEU: 150
; Occupancy: 9
; WaveLimiterHint : 1
; COMPUTE_PGM_RSRC2:SCRATCH_EN: 0
; COMPUTE_PGM_RSRC2:USER_SGPR: 13
; COMPUTE_PGM_RSRC2:TRAP_HANDLER: 0
; COMPUTE_PGM_RSRC2:TGID_X_EN: 1
; COMPUTE_PGM_RSRC2:TGID_Y_EN: 1
; COMPUTE_PGM_RSRC2:TGID_Z_EN: 1
; COMPUTE_PGM_RSRC2:TIDIG_COMP_CNT: 0
	.section	.text._Z39paged_attention_ll4mi_QKV_mfma16_kernelIDF16_hLN4vllm18Fp8KVCacheDataTypeE1EDF16_Li32ELi128ELi256ELb1ELi13EL8MFMAType1EEvPKT_PKT0_S8_ifPKiSA_SA_iPKfiiiPfSD_PS3_PT2_iSC_SC_,"axG",@progbits,_Z39paged_attention_ll4mi_QKV_mfma16_kernelIDF16_hLN4vllm18Fp8KVCacheDataTypeE1EDF16_Li32ELi128ELi256ELb1ELi13EL8MFMAType1EEvPKT_PKT0_S8_ifPKiSA_SA_iPKfiiiPfSD_PS3_PT2_iSC_SC_,comdat
	.protected	_Z39paged_attention_ll4mi_QKV_mfma16_kernelIDF16_hLN4vllm18Fp8KVCacheDataTypeE1EDF16_Li32ELi128ELi256ELb1ELi13EL8MFMAType1EEvPKT_PKT0_S8_ifPKiSA_SA_iPKfiiiPfSD_PS3_PT2_iSC_SC_ ; -- Begin function _Z39paged_attention_ll4mi_QKV_mfma16_kernelIDF16_hLN4vllm18Fp8KVCacheDataTypeE1EDF16_Li32ELi128ELi256ELb1ELi13EL8MFMAType1EEvPKT_PKT0_S8_ifPKiSA_SA_iPKfiiiPfSD_PS3_PT2_iSC_SC_
	.globl	_Z39paged_attention_ll4mi_QKV_mfma16_kernelIDF16_hLN4vllm18Fp8KVCacheDataTypeE1EDF16_Li32ELi128ELi256ELb1ELi13EL8MFMAType1EEvPKT_PKT0_S8_ifPKiSA_SA_iPKfiiiPfSD_PS3_PT2_iSC_SC_
	.p2align	8
	.type	_Z39paged_attention_ll4mi_QKV_mfma16_kernelIDF16_hLN4vllm18Fp8KVCacheDataTypeE1EDF16_Li32ELi128ELi256ELb1ELi13EL8MFMAType1EEvPKT_PKT0_S8_ifPKiSA_SA_iPKfiiiPfSD_PS3_PT2_iSC_SC_,@function
_Z39paged_attention_ll4mi_QKV_mfma16_kernelIDF16_hLN4vllm18Fp8KVCacheDataTypeE1EDF16_Li32ELi128ELi256ELb1ELi13EL8MFMAType1EEvPKT_PKT0_S8_ifPKiSA_SA_iPKfiiiPfSD_PS3_PT2_iSC_SC_: ; @_Z39paged_attention_ll4mi_QKV_mfma16_kernelIDF16_hLN4vllm18Fp8KVCacheDataTypeE1EDF16_Li32ELi128ELi256ELb1ELi13EL8MFMAType1EEvPKT_PKT0_S8_ifPKiSA_SA_iPKfiiiPfSD_PS3_PT2_iSC_SC_
; %bb.0:
	s_load_b64 s[4:5], s[0:1], 0x30
	s_mov_b32 s34, s13
	s_waitcnt lgkmcnt(0)
	s_cmp_lg_u64 s[4:5], 0
	s_cselect_b32 s8, -1, 0
	s_ashr_i32 s35, s13, 31
	s_cmp_eq_u64 s[4:5], 0
	s_cbranch_scc1 .LBB1062_3
; %bb.1:
	s_lshl_b64 s[2:3], s[34:35], 2
	s_delay_alu instid0(SALU_CYCLE_1) | instskip(SKIP_4) | instid1(SALU_CYCLE_1)
	s_add_u32 s2, s4, s2
	s_addc_u32 s3, s5, s3
	s_load_b64 s[2:3], s[2:3], 0x0
	s_waitcnt lgkmcnt(0)
	s_sub_i32 s2, s3, s2
	s_cmp_eq_u32 s2, 1
	s_cselect_b32 s2, -1, 0
	s_delay_alu instid0(SALU_CYCLE_1)
	s_and_not1_b32 vcc_lo, exec_lo, s2
	s_cbranch_vccz .LBB1062_4
.LBB1062_2:
	s_nop 0
	s_sendmsg sendmsg(MSG_DEALLOC_VGPRS)
	s_endpgm
.LBB1062_3:
.LBB1062_4:
	s_load_b64 s[2:3], s[0:1], 0x28
	s_lshl_b64 s[6:7], s[34:35], 2
	s_waitcnt lgkmcnt(0)
	s_add_u32 s2, s2, s6
	s_addc_u32 s3, s3, s7
	s_lshl_b32 s12, s14, 8
	s_load_b32 s24, s[2:3], 0x0
	s_waitcnt lgkmcnt(0)
	s_cmp_ge_i32 s12, s24
	s_cbranch_scc1 .LBB1062_2
; %bb.5:
	s_clause 0x1
	s_load_b128 s[20:23], s[0:1], 0x8
	s_load_b64 s[2:3], s[0:1], 0x20
	s_and_not1_b32 vcc_lo, exec_lo, s8
	s_cbranch_vccnz .LBB1062_7
; %bb.6:
	s_add_u32 s4, s4, s6
	s_addc_u32 s5, s5, s7
	s_load_b32 s5, s[4:5], 0x0
	s_branch .LBB1062_8
.LBB1062_7:
	s_mov_b32 s5, s34
.LBB1062_8:
	s_load_b128 s[16:19], s[0:1], 0x48
	v_and_b32_e32 v68, 15, v0
	v_lshrrev_b32_e32 v69, 5, v0
	v_bfe_u32 v66, v0, 4, 1
	v_and_b32_e32 v70, 31, v0
	v_and_b32_e32 v67, 1, v0
	v_lshlrev_b32_e32 v2, 3, v68
	s_mul_i32 s31, s15, 13
	v_lshl_or_b32 v1, v69, 1, v66
	s_mov_b32 s4, exec_lo
	s_delay_alu instid0(VALU_DEP_2) | instskip(NEXT) | instid1(VALU_DEP_2)
	v_lshlrev_b32_e32 v65, 1, v2
	v_cmpx_gt_u32_e32 13, v1
	s_cbranch_execz .LBB1062_10
; %bb.9:
	s_load_b64 s[6:7], s[0:1], 0x0
	v_add_lshl_u32 v2, v1, s31, 7
	s_waitcnt lgkmcnt(0)
	s_mul_hi_i32 s9, s5, s16
	s_mul_i32 s8, s5, s16
	v_lshlrev_b32_e32 v6, 10, v68
	s_lshl_b64 s[8:9], s[8:9], 1
	v_ashrrev_i32_e32 v3, 31, v2
	v_lshlrev_b32_e32 v1, 6, v1
	v_lshlrev_b32_e32 v7, 10, v67
	v_and_b32_e32 v6, 0x3800, v6
	s_delay_alu instid0(VALU_DEP_4) | instskip(NEXT) | instid1(VALU_DEP_2)
	v_lshlrev_b64 v[2:3], 1, v[2:3]
	v_or3_b32 v1, v6, v7, v1
	s_add_u32 s5, s6, s8
	s_addc_u32 s6, s7, s9
	s_delay_alu instid0(VALU_DEP_2) | instskip(NEXT) | instid1(VALU_DEP_3)
	v_add_co_u32 v2, vcc_lo, s5, v2
	v_add_co_ci_u32_e32 v3, vcc_lo, s6, v3, vcc_lo
	s_delay_alu instid0(VALU_DEP_2) | instskip(NEXT) | instid1(VALU_DEP_2)
	v_add_co_u32 v2, vcc_lo, v2, v65
	v_add_co_ci_u32_e32 v3, vcc_lo, 0, v3, vcc_lo
	global_load_b128 v[2:5], v[2:3], off
	s_waitcnt vmcnt(0)
	ds_store_b128 v1, v[2:5]
.LBB1062_10:
	s_or_b32 exec_lo, exec_lo, s4
	v_and_b32_e32 v1, 0xef, v0
	s_waitcnt lgkmcnt(0)
	s_add_i32 s5, s24, 31
	s_clause 0x1
	s_load_b32 s4, s[0:1], 0x38
	s_load_b32 s33, s[0:1], 0x98
	s_ashr_i32 s6, s5, 31
	v_add_nc_u32_e32 v1, s12, v1
	s_lshr_b32 s6, s6, 27
	s_load_b32 s19, s[0:1], 0x1c
	s_add_i32 s5, s5, s6
	s_waitcnt lgkmcnt(0)
	v_ashrrev_i32_e32 v2, 31, v1
	v_or_b32_e32 v3, 16, v1
	s_ashr_i32 s13, s5, 5
	v_cmp_gt_i32_e32 vcc_lo, s24, v1
	s_add_i32 s13, s13, -1
	v_lshrrev_b32_e32 v2, 27, v2
	s_barrier
	buffer_gl0_inv
	s_mul_i32 s15, s15, s18
	v_add_nc_u32_e32 v4, v1, v2
	s_mul_i32 s4, s34, s4
	s_delay_alu instid0(SALU_CYCLE_1) | instskip(NEXT) | instid1(VALU_DEP_1)
	s_ashr_i32 s5, s4, 31
	v_ashrrev_i32_e32 v4, 5, v4
	v_add_nc_u32_e32 v2, v3, v2
	s_lshl_b64 s[4:5], s[4:5], 2
	s_delay_alu instid0(SALU_CYCLE_1) | instskip(NEXT) | instid1(VALU_DEP_2)
	s_add_u32 s16, s2, s4
	v_cndmask_b32_e32 v1, s13, v4, vcc_lo
	s_delay_alu instid0(VALU_DEP_2)
	v_ashrrev_i32_e32 v2, 5, v2
	v_cmp_gt_i32_e32 vcc_lo, s24, v3
	s_addc_u32 s25, s3, s5
	s_ashr_i32 s18, s15, 31
	s_add_u32 s2, s20, s15
	s_addc_u32 s3, s21, s18
	v_cndmask_b32_e32 v3, s13, v2, vcc_lo
	v_ashrrev_i32_e32 v2, 31, v1
	s_lshl_b32 s4, s14, 3
	s_delay_alu instid0(SALU_CYCLE_1) | instskip(NEXT) | instid1(VALU_DEP_2)
	s_ashr_i32 s5, s4, 31
	v_ashrrev_i32_e32 v4, 31, v3
	s_delay_alu instid0(VALU_DEP_2) | instskip(SKIP_1) | instid1(SALU_CYCLE_1)
	v_lshlrev_b64 v[1:2], 2, v[1:2]
	s_lshl_b64 s[4:5], s[4:5], 2
	s_add_u32 s4, s16, s4
	s_delay_alu instid0(VALU_DEP_2) | instskip(SKIP_1) | instid1(VALU_DEP_2)
	v_lshlrev_b64 v[3:4], 2, v[3:4]
	s_addc_u32 s5, s25, s5
	v_add_co_u32 v1, vcc_lo, s16, v1
	v_add_co_ci_u32_e32 v2, vcc_lo, s25, v2, vcc_lo
	s_delay_alu instid0(VALU_DEP_3) | instskip(NEXT) | instid1(VALU_DEP_4)
	v_add_co_u32 v3, vcc_lo, s16, v3
	v_add_co_ci_u32_e32 v4, vcc_lo, s25, v4, vcc_lo
	s_clause 0x1
	global_load_b32 v5, v[1:2], off
	global_load_b32 v6, v[3:4], off
	s_or_b32 s6, s12, 32
	s_delay_alu instid0(SALU_CYCLE_1) | instskip(SKIP_2) | instid1(SALU_CYCLE_1)
	s_ashr_i32 s7, s6, 5
	s_cmp_lt_i32 s6, s24
	s_cselect_b32 s6, s7, s13
	s_ashr_i32 s7, s6, 31
	s_delay_alu instid0(SALU_CYCLE_1) | instskip(NEXT) | instid1(SALU_CYCLE_1)
	s_lshl_b64 s[6:7], s[6:7], 2
	s_add_u32 s6, s16, s6
	s_addc_u32 s7, s25, s7
	s_or_b32 s8, s12, 64
	s_delay_alu instid0(SALU_CYCLE_1) | instskip(SKIP_2) | instid1(SALU_CYCLE_1)
	s_ashr_i32 s9, s8, 5
	s_cmp_lt_i32 s8, s24
	s_cselect_b32 s8, s9, s13
	s_ashr_i32 s9, s8, 31
	s_delay_alu instid0(SALU_CYCLE_1) | instskip(NEXT) | instid1(SALU_CYCLE_1)
	s_lshl_b64 s[8:9], s[8:9], 2
	s_add_u32 s8, s16, s8
	s_addc_u32 s9, s25, s9
	s_or_b32 s10, s12, 0x60
	s_delay_alu instid0(SALU_CYCLE_1) | instskip(SKIP_2) | instid1(SALU_CYCLE_1)
	s_ashr_i32 s11, s10, 5
	s_cmp_lt_i32 s10, s24
	s_cselect_b32 s10, s11, s13
	s_ashr_i32 s11, s10, 31
	s_delay_alu instid0(SALU_CYCLE_1) | instskip(NEXT) | instid1(SALU_CYCLE_1)
	s_lshl_b64 s[10:11], s[10:11], 2
	s_add_u32 s10, s16, s10
	s_addc_u32 s11, s25, s11
	s_or_b32 s20, s12, 0x80
	s_delay_alu instid0(SALU_CYCLE_1) | instskip(SKIP_2) | instid1(SALU_CYCLE_1)
	s_ashr_i32 s21, s20, 5
	s_cmp_lt_i32 s20, s24
	s_cselect_b32 s20, s21, s13
	s_ashr_i32 s21, s20, 31
	s_delay_alu instid0(SALU_CYCLE_1) | instskip(NEXT) | instid1(SALU_CYCLE_1)
	s_lshl_b64 s[20:21], s[20:21], 2
	s_add_u32 s20, s16, s20
	s_addc_u32 s21, s25, s21
	s_or_b32 s26, s12, 0xa0
	s_delay_alu instid0(SALU_CYCLE_1) | instskip(SKIP_2) | instid1(SALU_CYCLE_1)
	s_ashr_i32 s27, s26, 5
	s_cmp_lt_i32 s26, s24
	s_cselect_b32 s26, s27, s13
	s_ashr_i32 s27, s26, 31
	s_delay_alu instid0(SALU_CYCLE_1) | instskip(NEXT) | instid1(SALU_CYCLE_1)
	s_lshl_b64 s[26:27], s[26:27], 2
	s_add_u32 s26, s16, s26
	s_addc_u32 s27, s25, s27
	s_clause 0x5
	s_load_b32 s28, s[4:5], 0x0
	s_load_b32 s29, s[6:7], 0x0
	;; [unrolled: 1-line block ×6, first 2 shown]
	s_mov_b32 s4, 0
	s_delay_alu instid0(SALU_CYCLE_1)
	s_mov_b32 s5, s4
	s_mov_b32 s6, s4
	;; [unrolled: 1-line block ×7, first 2 shown]
	s_delay_alu instid0(SALU_CYCLE_1)
	v_dual_mov_b32 v118, s11 :: v_dual_mov_b32 v117, s10
	v_dual_mov_b32 v116, s9 :: v_dual_mov_b32 v115, s8
	v_mov_b32_e32 v113, s6
	v_dual_mov_b32 v111, s4 :: v_dual_mov_b32 v114, s7
	v_mov_b32_e32 v112, s5
	s_waitcnt vmcnt(1)
	v_mad_i64_i32 v[1:2], null, v5, s17, s[2:3]
	v_lshlrev_b32_e32 v5, 4, v68
	s_waitcnt vmcnt(0)
	v_mad_i64_i32 v[3:4], null, v6, s17, s[2:3]
	s_or_b32 s2, s12, 0xc0
	s_delay_alu instid0(SALU_CYCLE_1) | instskip(NEXT) | instid1(VALU_DEP_3)
	s_ashr_i32 s3, s2, 5
	v_add_co_u32 v1, vcc_lo, v1, v5
	s_delay_alu instid0(VALU_DEP_4) | instskip(NEXT) | instid1(VALU_DEP_3)
	v_add_co_ci_u32_e32 v2, vcc_lo, 0, v2, vcc_lo
	v_add_co_u32 v3, vcc_lo, v3, v5
	s_delay_alu instid0(VALU_DEP_4)
	v_add_co_ci_u32_e32 v4, vcc_lo, 0, v4, vcc_lo
	s_clause 0xf
	global_load_b128 v[17:20], v[1:2], off
	global_load_b128 v[21:24], v[1:2], off offset:512
	global_load_b128 v[25:28], v[3:4], off offset:256
	;; [unrolled: 1-line block ×15, first 2 shown]
	s_cmp_lt_i32 s2, s24
	v_add_nc_u32_e32 v1, -13, v68
	s_cselect_b32 s2, s3, s13
	v_cmp_gt_u32_e32 vcc_lo, 13, v68
	s_ashr_i32 s3, s2, 31
	v_lshlrev_b32_e32 v2, 5, v68
	s_lshl_b64 s[2:3], s[2:3], 2
	s_delay_alu instid0(SALU_CYCLE_1)
	s_add_u32 s2, s16, s2
	s_addc_u32 s3, s25, s3
	s_or_b32 s20, s12, 0xe0
	v_cndmask_b32_e32 v1, v1, v68, vcc_lo
	s_ashr_i32 s21, s20, 5
	s_cmp_lt_i32 s20, s24
	s_cselect_b32 s20, s21, s13
	s_delay_alu instid0(VALU_DEP_1)
	v_lshlrev_b32_e32 v149, 6, v1
	s_ashr_i32 s21, s20, 31
	v_lshl_or_b32 v1, v69, 9, v2
	s_lshl_b64 s[4:5], s[20:21], 2
	ds_load_b128 v[119:122], v149
	ds_load_b128 v[123:126], v149 offset:1024
	s_add_u32 s4, s16, s4
	s_addc_u32 s5, s25, s5
	ds_load_b128 v[127:130], v149 offset:2048
	ds_load_b128 v[131:134], v149 offset:3072
	s_clause 0x1
	s_load_b32 s2, s[2:3], 0x0
	s_load_b32 s3, s[4:5], 0x0
	s_add_u32 s6, s22, s15
	s_addc_u32 s7, s23, s18
	v_add_co_u32 v135, s6, s6, v1
	s_delay_alu instid0(VALU_DEP_1) | instskip(SKIP_1) | instid1(VALU_DEP_1)
	v_add_co_ci_u32_e64 v136, null, s7, 0, s6
	s_waitcnt lgkmcnt(0)
	v_mad_i64_i32 v[1:2], null, s28, s17, v[135:136]
	v_mad_i64_i32 v[3:4], null, s29, s17, v[135:136]
	;; [unrolled: 1-line block ×6, first 2 shown]
	s_clause 0x9
	global_load_b128 v[49:52], v[1:2], off
	global_load_b128 v[53:56], v[1:2], off offset:16
	global_load_b128 v[41:44], v[3:4], off
	global_load_b128 v[45:48], v[3:4], off offset:16
	;; [unrolled: 2-line block ×5, first 2 shown]
	v_mad_i64_i32 v[145:146], null, s2, s17, v[135:136]
	v_mad_i64_i32 v[147:148], null, s3, s17, v[135:136]
	s_waitcnt vmcnt(24)
	v_wmma_f32_16x16x16_f16 v[135:142], v[17:24], v[119:126], v[111:118]
	s_waitcnt vmcnt(22)
	v_wmma_f32_16x16x16_f16 v[111:118], v[25:32], v[119:126], v[111:118]
	s_clause 0x3
	global_load_b128 v[17:20], v[143:144], off
	global_load_b128 v[21:24], v[143:144], off offset:16
	global_load_b128 v[25:28], v[145:146], off
	global_load_b128 v[29:32], v[145:146], off offset:16
	v_and_b32_e32 v119, 0xe0, v0
	s_waitcnt vmcnt(24)
	v_wmma_f32_16x16x16_f16 v[135:142], v[57:64], v[127:134], v[135:142]
	s_clause 0x1
	global_load_b128 v[57:60], v[147:148], off
	global_load_b128 v[61:64], v[147:148], off offset:16
	s_waitcnt vmcnt(24)
	v_wmma_f32_16x16x16_f16 v[111:118], v[71:78], v[127:134], v[111:118]
	ds_load_b128 v[71:74], v149 offset:4096
	ds_load_b128 v[75:78], v149 offset:5120
	v_add_nc_u32_e32 v128, s12, v119
	ds_load_b128 v[119:122], v149 offset:6144
	ds_load_b128 v[123:126], v149 offset:7168
	v_mbcnt_lo_u32_b32 v127, -1, 0
	s_waitcnt vmcnt(0) lgkmcnt(0)
	s_barrier
	v_or_b32_e32 v128, v128, v66
	buffer_gl0_inv
	v_xor_b32_e32 v129, 16, v127
	v_or_b32_e32 v130, 4, v128
	v_or_b32_e32 v131, 6, v128
	s_delay_alu instid0(VALU_DEP_3) | instskip(SKIP_4) | instid1(VALU_DEP_4)
	v_cmp_gt_i32_e32 vcc_lo, 32, v129
	v_or_b32_e32 v132, 8, v128
	v_or_b32_e32 v133, 10, v128
	v_cmp_gt_i32_e64 s3, s24, v130
	v_cmp_gt_i32_e64 s4, s24, v131
	;; [unrolled: 1-line block ×3, first 2 shown]
	v_wmma_f32_16x16x16_f16 v[135:142], v[79:86], v[71:78], v[135:142]
	v_wmma_f32_16x16x16_f16 v[111:118], v[87:94], v[71:78], v[111:118]
	v_or_b32_e32 v79, 12, v128
	v_or_b32_e32 v80, 14, v128
	v_cmp_gt_i32_e64 s6, s24, v133
	v_wmma_f32_16x16x16_f16 v[135:142], v[95:102], v[119:126], v[135:142]
	v_wmma_f32_16x16x16_f16 v[111:118], v[103:110], v[119:126], v[111:118]
	v_cndmask_b32_e32 v127, v127, v129, vcc_lo
	v_or_b32_e32 v129, 2, v128
	v_cmp_gt_i32_e32 vcc_lo, s24, v128
	s_delay_alu instid0(VALU_DEP_4) | instskip(SKIP_1) | instid1(VALU_DEP_4)
	v_dual_mul_f32 v87, s19, v136 :: v_dual_mul_f32 v94, s19, v113
	v_mul_f32_e32 v88, s19, v135
	v_cmp_gt_i32_e64 s2, s24, v129
	v_mul_f32_e32 v78, s19, v138
	v_mul_f32_e32 v86, s19, v137
	v_mul_f32_e32 v76, s19, v140
	v_cndmask_b32_e32 v88, 0xff7fffff, v88, vcc_lo
	v_cndmask_b32_e64 v87, 0xff7fffff, v87, s2
	v_dual_mul_f32 v77, s19, v139 :: v_dual_mul_f32 v90, s19, v117
	v_cndmask_b32_e64 v86, 0xff7fffff, v86, s3
	v_cndmask_b32_e64 v78, 0xff7fffff, v78, s4
	s_delay_alu instid0(VALU_DEP_4)
	v_max3_f32 v87, v88, 0xff7fffff, v87
	v_or_b32_e32 v81, 16, v128
	v_or_b32_e32 v82, 18, v128
	v_dual_mul_f32 v74, s19, v142 :: v_dual_mul_f32 v75, s19, v141
	v_mul_f32_e32 v96, s19, v111
	v_cndmask_b32_e64 v77, 0xff7fffff, v77, s5
	v_cndmask_b32_e64 v76, 0xff7fffff, v76, s6
	v_max3_f32 v78, v87, v86, v78
	v_cmp_gt_i32_e64 s7, s24, v79
	v_cmp_gt_i32_e64 s8, s24, v80
	v_or_b32_e32 v83, 20, v128
	v_or_b32_e32 v84, 22, v128
	v_mul_f32_e32 v95, s19, v112
	v_cndmask_b32_e64 v75, 0xff7fffff, v75, s7
	v_cndmask_b32_e64 v74, 0xff7fffff, v74, s8
	v_max3_f32 v76, v78, v77, v76
	v_cmp_gt_i32_e64 s9, s24, v81
	v_cmp_gt_i32_e64 s10, s24, v82
	v_or_b32_e32 v85, 24, v128
	v_or_b32_e32 v71, 26, v128
	;; [unrolled: 8-line block ×3, first 2 shown]
	v_dual_mul_f32 v91, s19, v116 :: v_dual_mul_f32 v92, s19, v115
	v_cndmask_b32_e64 v75, 0xff7fffff, v94, s11
	v_cndmask_b32_e64 v76, 0xff7fffff, v93, s12
	v_max3_f32 v74, v74, v77, v78
	v_cmp_gt_i32_e64 s13, s24, v85
	v_cmp_gt_i32_e64 s15, s24, v71
	v_mul_f32_e32 v89, s19, v118
	v_cmp_gt_i32_e64 s16, s24, v72
	v_max3_f32 v74, v74, v75, v76
	v_cndmask_b32_e64 v77, 0xff7fffff, v92, s13
	v_cndmask_b32_e64 v71, 0xff7fffff, v91, s15
	v_cmp_gt_i32_e64 s17, s24, v73
	v_cndmask_b32_e64 v72, 0xff7fffff, v90, s16
	s_delay_alu instid0(VALU_DEP_3) | instskip(SKIP_1) | instid1(VALU_DEP_4)
	v_max3_f32 v71, v74, v77, v71
	v_lshlrev_b32_e32 v74, 2, v127
	v_cndmask_b32_e64 v73, 0xff7fffff, v89, s17
	s_delay_alu instid0(VALU_DEP_1) | instskip(SKIP_3) | instid1(VALU_DEP_1)
	v_max3_f32 v71, v71, v72, v73
	ds_bpermute_b32 v72, v74, v71
	s_waitcnt lgkmcnt(0)
	v_max_f32_e32 v72, v72, v72
	v_max_f32_e32 v71, v71, v72
	s_delay_alu instid0(VALU_DEP_1) | instskip(SKIP_4) | instid1(VALU_DEP_4)
	v_fma_f32 v72, s19, v135, -v71
	v_fma_f32 v73, s19, v136, -v71
	;; [unrolled: 1-line block ×5, first 2 shown]
	v_dual_mul_f32 v72, 0x3fb8aa3b, v72 :: v_dual_mul_f32 v73, 0x3fb8aa3b, v73
	s_delay_alu instid0(VALU_DEP_3) | instskip(SKIP_1) | instid1(VALU_DEP_3)
	v_dual_mul_f32 v75, 0x3fb8aa3b, v75 :: v_dual_mul_f32 v76, 0x3fb8aa3b, v76
	v_fma_f32 v80, s19, v141, -v71
	v_exp_f32_e32 v72, v72
	s_delay_alu instid0(VALU_DEP_3) | instskip(NEXT) | instid1(VALU_DEP_2)
	v_exp_f32_e32 v73, v73
	v_exp_f32_e32 v75, v75
	;; [unrolled: 1-line block ×3, first 2 shown]
	v_mul_f32_e32 v82, 0x3fb8aa3b, v80
	s_delay_alu instid0(VALU_DEP_1) | instskip(SKIP_4) | instid1(TRANS32_DEP_3)
	v_exp_f32_e32 v84, v82
	v_cndmask_b32_e32 v79, 0, v72, vcc_lo
	v_fma_f32 v72, s19, v140, -v71
	v_mul_f32_e32 v77, 0x3fb8aa3b, v77
	v_cndmask_b32_e64 v78, 0, v73, s2
	v_cndmask_b32_e64 v81, 0, v75, s3
	s_delay_alu instid0(VALU_DEP_4) | instskip(NEXT) | instid1(VALU_DEP_4)
	v_dual_add_f32 v73, 0, v79 :: v_dual_mul_f32 v72, 0x3fb8aa3b, v72
	v_exp_f32_e32 v77, v77
	v_cndmask_b32_e64 v80, 0, v76, s4
	s_delay_alu instid0(TRANS32_DEP_2) | instskip(NEXT) | instid1(VALU_DEP_3)
	v_cndmask_b32_e64 v85, 0, v84, s7
	v_add_f32_e32 v73, v73, v78
	v_exp_f32_e32 v72, v72
	v_cmp_gt_u32_e64 s2, 16, v70
	s_delay_alu instid0(VALU_DEP_2) | instskip(NEXT) | instid1(TRANS32_DEP_2)
	v_add_f32_e32 v73, v73, v81
	v_cndmask_b32_e64 v83, 0, v77, s5
	s_delay_alu instid0(VALU_DEP_2) | instskip(SKIP_3) | instid1(VALU_DEP_1)
	v_add_f32_e32 v73, v73, v80
	s_waitcnt_depctr 0xfff
	v_cndmask_b32_e64 v82, 0, v72, s6
	v_add_f32_e32 v72, v73, v83
	v_add_f32_e32 v72, v72, v82
	s_delay_alu instid0(VALU_DEP_1)
	v_add_f32_e32 v72, v72, v85
	v_fma_f32 v76, s19, v111, -v71
	v_fma_f32 v75, s19, v142, -v71
	;; [unrolled: 1-line block ×5, first 2 shown]
	s_delay_alu instid0(VALU_DEP_4) | instskip(NEXT) | instid1(VALU_DEP_3)
	v_dual_mul_f32 v76, 0x3fb8aa3b, v76 :: v_dual_mul_f32 v75, 0x3fb8aa3b, v75
	v_mul_f32_e32 v86, 0x3fb8aa3b, v86
	s_delay_alu instid0(VALU_DEP_2) | instskip(NEXT) | instid1(VALU_DEP_2)
	v_exp_f32_e32 v76, v76
	v_exp_f32_e32 v75, v75
	s_delay_alu instid0(VALU_DEP_1) | instskip(NEXT) | instid1(TRANS32_DEP_3)
	v_exp_f32_e32 v88, v86
	v_cndmask_b32_e64 v87, 0, v76, s9
	v_fma_f32 v76, s19, v116, -v71
	v_mul_f32_e32 v77, 0x3fb8aa3b, v77
	s_waitcnt_depctr 0xfff
	v_cndmask_b32_e64 v84, 0, v75, s8
	v_fma_f32 v75, s19, v115, -v71
	v_cndmask_b32_e64 v88, 0, v88, s12
	v_mul_f32_e32 v76, 0x3fb8aa3b, v76
	v_exp_f32_e32 v77, v77
	v_add_f32_e32 v72, v72, v84
	s_delay_alu instid0(VALU_DEP_2) | instskip(NEXT) | instid1(VALU_DEP_1)
	v_exp_f32_e32 v76, v76
	v_add_f32_e32 v72, v72, v87
	s_waitcnt_depctr 0xfff
	v_cndmask_b32_e64 v86, 0, v77, s10
	v_mul_f32_e32 v73, 0x3fb8aa3b, v73
	v_fma_f32 v77, s19, v117, -v71
	v_cndmask_b32_e64 v90, 0, v76, s15
	s_delay_alu instid0(VALU_DEP_4) | instskip(NEXT) | instid1(VALU_DEP_4)
	v_add_f32_e32 v72, v72, v86
	v_exp_f32_e32 v73, v73
	s_waitcnt_depctr 0xfff
	v_cndmask_b32_e64 v89, 0, v73, s11
	s_delay_alu instid0(VALU_DEP_1) | instskip(NEXT) | instid1(VALU_DEP_1)
	v_dual_mul_f32 v75, 0x3fb8aa3b, v75 :: v_dual_add_f32 v72, v72, v89
	v_exp_f32_e32 v75, v75
	v_mul_f32_e32 v73, 0x3fb8aa3b, v77
	v_fma_f32 v77, s19, v118, -v71
	s_delay_alu instid0(VALU_DEP_3) | instskip(NEXT) | instid1(VALU_DEP_3)
	v_add_f32_e32 v72, v72, v88
	v_exp_f32_e32 v73, v73
	s_waitcnt_depctr 0xfff
	v_cndmask_b32_e64 v91, 0, v75, s13
	s_delay_alu instid0(VALU_DEP_1) | instskip(NEXT) | instid1(VALU_DEP_1)
	v_dual_mul_f32 v75, 0x3fb8aa3b, v77 :: v_dual_add_f32 v72, v72, v91
	v_exp_f32_e32 v75, v75
	v_cndmask_b32_e64 v93, 0, v73, s16
	s_delay_alu instid0(VALU_DEP_2) | instskip(NEXT) | instid1(VALU_DEP_1)
	v_add_f32_e32 v72, v72, v90
	v_add_f32_e32 v72, v72, v93
	s_waitcnt_depctr 0xfff
	v_cndmask_b32_e64 v92, 0, v75, s17
	s_delay_alu instid0(VALU_DEP_1)
	v_add_f32_e32 v72, v72, v92
	ds_bpermute_b32 v73, v74, v72
	s_and_saveexec_b32 s3, s2
	s_cbranch_execz .LBB1062_12
; %bb.11:
	v_mul_u32_u24_e32 v70, 0x44, v69
	s_waitcnt lgkmcnt(0)
	v_add_f32_e32 v72, v72, v73
	s_delay_alu instid0(VALU_DEP_2) | instskip(NEXT) | instid1(VALU_DEP_1)
	v_lshl_add_u32 v70, v68, 2, v70
	v_add_nc_u32_e32 v70, 0x4000, v70
	ds_store_2addr_b32 v70, v71, v72 offset1:136
.LBB1062_12:
	s_or_b32 exec_lo, exec_lo, s3
	v_lshlrev_b32_e32 v70, 2, v68
	s_load_b32 s35, s[0:1], 0x94
	s_waitcnt lgkmcnt(0)
	s_barrier
	buffer_gl0_inv
	v_add_nc_u32_e32 v98, 0x4000, v70
	v_cmp_eq_u32_e32 vcc_lo, 1, v69
	v_cmp_eq_u32_e64 s3, 2, v69
	v_cmp_eq_u32_e64 s4, 3, v69
	;; [unrolled: 1-line block ×3, first 2 shown]
	ds_load_2addr_b32 v[70:71], v98 offset1:17
	ds_load_2addr_b32 v[72:73], v98 offset0:34 offset1:51
	ds_load_2addr_b32 v[74:75], v98 offset0:68 offset1:85
	;; [unrolled: 1-line block ×3, first 2 shown]
	v_cmp_eq_u32_e64 s6, 5, v69
	v_cmp_eq_u32_e64 s7, 7, v69
	s_waitcnt lgkmcnt(3)
	v_max3_f32 v76, v70, 0xff7fffff, v71
	s_waitcnt lgkmcnt(2)
	s_delay_alu instid0(VALU_DEP_1) | instskip(SKIP_1) | instid1(VALU_DEP_1)
	v_max3_f32 v76, v76, v72, v73
	s_waitcnt lgkmcnt(1)
	v_max3_f32 v76, v76, v74, v75
	s_waitcnt lgkmcnt(0)
	s_delay_alu instid0(VALU_DEP_1) | instskip(NEXT) | instid1(VALU_DEP_1)
	v_max3_f32 v76, v76, v94, v95
	v_sub_f32_e32 v77, v71, v76
	ds_load_2addr_b32 v[96:97], v98 offset0:136 offset1:153
	v_sub_f32_e32 v74, v74, v76
	v_sub_f32_e32 v70, v70, v76
	;; [unrolled: 1-line block ×3, first 2 shown]
	v_dual_sub_f32 v72, v72, v76 :: v_dual_mul_f32 v77, 0x3fb8aa3b, v77
	s_delay_alu instid0(VALU_DEP_4) | instskip(NEXT) | instid1(VALU_DEP_4)
	v_mul_f32_e32 v103, 0x3fb8aa3b, v74
	v_mul_f32_e32 v99, 0x3fb8aa3b, v70
	ds_load_2addr_b32 v[70:71], v98 offset0:170 offset1:187
	v_dual_mul_f32 v101, 0x3fb8aa3b, v72 :: v_dual_mul_f32 v94, 0x3fb8aa3b, v94
	v_exp_f32_e32 v102, v77
	v_exp_f32_e32 v99, v99
	s_delay_alu instid0(VALU_DEP_1) | instskip(NEXT) | instid1(VALU_DEP_1)
	v_exp_f32_e32 v101, v101
	v_exp_f32_e32 v94, v94
	s_waitcnt lgkmcnt(1)
	s_delay_alu instid0(TRANS32_DEP_3)
	v_fma_f32 v77, v99, v96, 0
	v_sub_f32_e32 v100, v73, v76
	ds_load_2addr_b32 v[72:73], v98 offset0:204 offset1:221
	v_fmac_f32_e32 v77, v102, v97
	v_exp_f32_e32 v97, v103
	s_waitcnt lgkmcnt(1)
	s_delay_alu instid0(VALU_DEP_1)
	v_dual_fmac_f32 v77, v101, v70 :: v_dual_sub_f32 v96, v75, v76
	ds_load_2addr_b32 v[74:75], v98 offset0:238 offset1:255
	v_sub_f32_e32 v70, v95, v76
	s_waitcnt lgkmcnt(0)
	s_barrier
	v_mul_f32_e32 v96, 0x3fb8aa3b, v96
	buffer_gl0_inv
	v_exp_f32_e32 v95, v96
	v_mul_f32_e32 v100, 0x3fb8aa3b, v100
	s_delay_alu instid0(VALU_DEP_1) | instskip(SKIP_3) | instid1(VALU_DEP_2)
	v_exp_f32_e32 v100, v100
	s_waitcnt_depctr 0xfff
	v_dual_fmac_f32 v77, v100, v71 :: v_dual_mul_f32 v70, 0x3fb8aa3b, v70
	v_cndmask_b32_e32 v71, v99, v102, vcc_lo
	v_fmac_f32_e32 v77, v97, v72
	s_delay_alu instid0(VALU_DEP_3) | instskip(NEXT) | instid1(VALU_DEP_1)
	v_exp_f32_e32 v96, v70
	v_fmac_f32_e32 v77, v95, v73
	s_delay_alu instid0(VALU_DEP_1) | instskip(SKIP_2) | instid1(VALU_DEP_1)
	v_fmac_f32_e32 v77, v94, v74
	s_waitcnt_depctr 0xfff
	v_fmac_f32_e32 v77, v96, v75
	v_add_f32_e32 v74, 0x358637bd, v77
	s_delay_alu instid0(VALU_DEP_1) | instskip(SKIP_1) | instid1(VALU_DEP_2)
	v_div_scale_f32 v98, null, v74, v74, 1.0
	v_div_scale_f32 v99, vcc_lo, 1.0, v74, 1.0
	v_rcp_f32_e32 v103, v98
	s_waitcnt_depctr 0xfff
	v_fma_f32 v70, -v98, v103, 1.0
	s_delay_alu instid0(VALU_DEP_1) | instskip(SKIP_2) | instid1(VALU_DEP_2)
	v_fmac_f32_e32 v103, v70, v103
	v_cndmask_b32_e64 v70, v71, v101, s3
	v_cmp_eq_u32_e64 s3, 6, v69
	v_cndmask_b32_e64 v71, v70, v100, s4
	s_delay_alu instid0(VALU_DEP_4) | instskip(NEXT) | instid1(VALU_DEP_2)
	v_dual_mul_f32 v101, v99, v103 :: v_dual_lshlrev_b32 v70, 2, v66
	v_cndmask_b32_e64 v71, v71, v97, s5
	s_delay_alu instid0(VALU_DEP_2) | instskip(NEXT) | instid1(VALU_DEP_3)
	v_or_b32_e32 v72, 1, v70
	v_fma_f32 v100, -v98, v101, v99
	v_cmp_eq_u32_e64 s4, 1, v70
	v_cmp_eq_u32_e64 s5, 2, v70
	v_cndmask_b32_e64 v95, v71, v95, s6
	v_or_b32_e32 v71, 3, v70
	v_fmac_f32_e32 v101, v100, v103
	v_cmp_eq_u32_e64 s9, 1, v72
	v_cmp_eq_u32_e64 s12, 2, v72
	v_cndmask_b32_e64 v94, v95, v94, s3
	v_cmp_eq_u32_e64 s11, 1, v71
	v_fma_f32 v97, -v98, v101, v99
	v_cmp_eq_u32_e64 s16, 2, v71
	v_cmp_eq_u32_e64 s13, 3, v72
	v_cndmask_b32_e64 v94, v94, v96, s7
	v_cmp_eq_u32_e64 s18, 3, v71
	v_div_fmas_f32 v95, v97, v103, v101
	v_cmp_eq_u32_e32 vcc_lo, 3, v70
	v_cmp_eq_u32_e64 s3, 4, v70
	v_cmp_eq_u32_e64 s19, 4, v72
	;; [unrolled: 1-line block ×3, first 2 shown]
	v_div_fixup_f32 v95, v95, v74, 1.0
	v_lshlrev_b32_e32 v73, 6, v68
	v_cmp_eq_u32_e64 s6, 5, v70
	v_cmp_eq_u32_e64 s20, 5, v72
	v_cmp_eq_u32_e64 s24, 5, v71
	v_mul_f32_e32 v102, v94, v95
	v_lshl_or_b32 v75, v69, 11, v73
	v_or_b32_e32 v69, 2, v70
	v_cmp_eq_u32_e64 s25, 6, v72
	v_cmp_eq_u32_e64 s27, 6, v71
	v_fma_mixlo_f16 v94, v102, v79, 0
	v_fma_mixlo_f16 v95, v102, v81, 0
	;; [unrolled: 1-line block ×8, first 2 shown]
	v_lshl_or_b32 v74, v66, 4, v75
	v_fma_mixhi_f16 v94, v102, v78, 0
	v_fma_mixhi_f16 v95, v102, v80, 0
	;; [unrolled: 1-line block ×8, first 2 shown]
	ds_store_b128 v74, v[94:97]
	ds_store_b128 v74, v[98:101] offset:1024
	s_waitcnt lgkmcnt(0)
	s_barrier
	buffer_gl0_inv
	ds_load_b128 v[78:81], v75
	ds_load_b128 v[82:85], v75 offset:16
	ds_load_b128 v[86:89], v75 offset:1024
	;; [unrolled: 1-line block ×3, first 2 shown]
	v_cmp_eq_u32_e64 s10, 1, v69
	v_cmp_eq_u32_e64 s15, 2, v69
	;; [unrolled: 1-line block ×11, first 2 shown]
	s_waitcnt lgkmcnt(3)
	v_lshrrev_b32_e32 v94, 16, v78
	s_waitcnt lgkmcnt(2)
	v_lshrrev_b32_e32 v98, 16, v82
	;; [unrolled: 2-line block ×4, first 2 shown]
	v_lshrrev_b32_e32 v95, 16, v79
	v_cndmask_b32_e64 v110, v78, v94, s4
	v_cndmask_b32_e64 v111, v82, v98, s4
	;; [unrolled: 1-line block ×8, first 2 shown]
	v_lshrrev_b32_e32 v99, 16, v83
	v_cndmask_b32_e64 v94, v86, v102, s4
	v_cndmask_b32_e64 v98, v90, v106, s4
	;; [unrolled: 1-line block ×15, first 2 shown]
	v_lshrrev_b32_e32 v103, 16, v87
	v_lshrrev_b32_e32 v107, 16, v91
	v_cndmask_b32_e64 v113, v115, v83, s15
	v_cndmask_b32_e64 v82, v94, v87, s5
	;; [unrolled: 1-line block ×7, first 2 shown]
	v_cndmask_b32_e32 v90, v102, v95, vcc_lo
	v_cndmask_b32_e32 v102, v106, v99, vcc_lo
	v_cndmask_b32_e64 v106, v110, v95, s13
	v_cndmask_b32_e64 v110, v111, v99, s13
	;; [unrolled: 1-line block ×4, first 2 shown]
	v_lshrrev_b32_e32 v96, 16, v80
	v_lshrrev_b32_e32 v100, 16, v84
	v_cndmask_b32_e64 v111, v112, v95, s17
	v_cndmask_b32_e64 v112, v113, v99, s17
	v_cndmask_b32_e32 v82, v82, v103, vcc_lo
	v_cndmask_b32_e32 v83, v83, v107, vcc_lo
	v_cndmask_b32_e64 v94, v94, v103, s13
	v_cndmask_b32_e64 v90, v90, v80, s3
	;; [unrolled: 1-line block ×7, first 2 shown]
	v_lshrrev_b32_e32 v104, 16, v88
	v_cndmask_b32_e64 v106, v111, v80, s21
	v_cndmask_b32_e64 v110, v112, v84, s21
	;; [unrolled: 1-line block ×11, first 2 shown]
	v_lshrrev_b32_e32 v97, 16, v81
	v_lshrrev_b32_e32 v101, 16, v85
	v_cndmask_b32_e64 v99, v106, v96, s23
	v_cndmask_b32_e64 v102, v110, v100, s23
	v_cndmask_b32_e64 v83, v83, v104, s20
	v_cndmask_b32_e64 v94, v94, v81, s25
	v_cndmask_b32_e64 v95, v95, v85, s25
	v_cndmask_b32_e64 v78, v78, v81, s27
	v_cndmask_b32_e64 v79, v79, v85, s27
	v_lshrrev_b32_e32 v105, 16, v89
	v_cndmask_b32_e64 v80, v80, v104, s6
	v_cndmask_b32_e64 v84, v84, v81, s7
	;; [unrolled: 1-line block ×16, first 2 shown]
	v_perm_b32 v81, v79, v78, 0x5040100
	v_perm_b32 v79, v95, v85, 0x5040100
	v_cndmask_b32_e64 v78, v119, v91, s15
	v_cndmask_b32_e64 v85, v117, v91, s12
	;; [unrolled: 1-line block ×3, first 2 shown]
	v_perm_b32 v80, v94, v90, 0x5040100
	v_cndmask_b32_e64 v90, v98, v103, s17
	v_cndmask_b32_e64 v86, v86, v103, s18
	;; [unrolled: 1-line block ×5, first 2 shown]
	v_lshrrev_b32_e32 v108, 16, v92
	v_cndmask_b32_e64 v90, v90, v88, s21
	v_cndmask_b32_e64 v86, v86, v88, s22
	;; [unrolled: 1-line block ×11, first 2 shown]
	v_lshrrev_b32_e32 v109, 16, v93
	v_cndmask_b32_e64 v82, v82, v93, s7
	v_cndmask_b32_e64 v88, v88, v89, s26
	;; [unrolled: 1-line block ×12, first 2 shown]
	v_perm_b32 v78, v84, v83, 0x5040100
	v_perm_b32 v85, v87, v86, 0x5040100
	;; [unrolled: 1-line block ×5, first 2 shown]
	s_mul_i32 s8, s33, 13
	s_mov_b32 s3, exec_lo
	ds_store_b128 v74, v[78:81]
	ds_store_b128 v74, v[82:85] offset:1024
	v_cmpx_gt_u32_e32 13, v0
	s_cbranch_execz .LBB1062_14
; %bb.13:
	s_mul_i32 s4, s8, s34
	s_delay_alu instid0(SALU_CYCLE_1) | instskip(SKIP_1) | instid1(VALU_DEP_1)
	v_add3_u32 v68, s4, s31, v68
	s_load_b128 s[4:7], s[0:1], 0x58
	v_mad_u64_u32 v[78:79], null, v68, s35, s[14:15]
	s_delay_alu instid0(VALU_DEP_1) | instskip(NEXT) | instid1(VALU_DEP_1)
	v_ashrrev_i32_e32 v79, 31, v78
	v_lshlrev_b64 v[78:79], 2, v[78:79]
	s_waitcnt lgkmcnt(0)
	s_delay_alu instid0(VALU_DEP_1) | instskip(NEXT) | instid1(VALU_DEP_2)
	v_add_co_u32 v80, vcc_lo, s6, v78
	v_add_co_ci_u32_e32 v81, vcc_lo, s7, v79, vcc_lo
	v_add_co_u32 v78, vcc_lo, s4, v78
	v_add_co_ci_u32_e32 v79, vcc_lo, s5, v79, vcc_lo
	global_store_b32 v[80:81], v76, off
	global_store_b32 v[78:79], v77, off
.LBB1062_14:
	s_or_b32 exec_lo, exec_lo, s3
	s_waitcnt lgkmcnt(0)
	s_waitcnt_vscnt null, 0x0
	s_barrier
	buffer_gl0_inv
	ds_load_b128 v[84:87], v73
	ds_load_b128 v[88:91], v73 offset:16
	ds_load_b128 v[96:99], v73 offset:2064
	;; [unrolled: 1-line block ×5, first 2 shown]
	v_cmp_eq_u32_e32 vcc_lo, 1, v70
	v_mov_b32_e32 v76, 0
	ds_load_b128 v[112:115], v73 offset:6160
	ds_load_b128 v[108:111], v73 offset:6144
	;; [unrolled: 1-line block ×4, first 2 shown]
	v_cmp_eq_u32_e64 s4, 1, v69
	v_cmp_eq_u32_e64 s3, 1, v72
	;; [unrolled: 1-line block ×3, first 2 shown]
	v_mov_b32_e32 v77, v76
	v_mov_b32_e32 v78, v76
	;; [unrolled: 1-line block ×7, first 2 shown]
	v_cmp_eq_u32_e64 s6, 3, v72
	v_cmp_eq_u32_e64 s7, 7, v72
	s_waitcnt lgkmcnt(8)
	s_delay_alu instid0(VALU_DEP_3)
	v_wmma_f32_16x16x16_f16 v[76:83], v[49:56], v[84:91], v[76:83]
	ds_load_b128 v[53:56], v73 offset:10256
	ds_load_b128 v[49:52], v73 offset:10240
	s_waitcnt lgkmcnt(8)
	v_wmma_f32_16x16x16_f16 v[76:83], v[41:48], v[92:99], v[76:83]
	ds_load_b128 v[45:48], v73 offset:12304
	ds_load_b128 v[41:44], v73 offset:12288
	s_waitcnt lgkmcnt(8)
	;; [unrolled: 4-line block ×3, first 2 shown]
	s_barrier
	buffer_gl0_inv
	v_wmma_f32_16x16x16_f16 v[76:83], v[1:8], v[108:115], v[76:83]
	s_delay_alu instid0(VALU_DEP_1) | instskip(NEXT) | instid1(VALU_DEP_1)
	v_wmma_f32_16x16x16_f16 v[76:83], v[9:16], v[116:123], v[76:83]
	v_wmma_f32_16x16x16_f16 v[76:83], v[17:24], v[49:56], v[76:83]
	s_delay_alu instid0(VALU_DEP_1) | instskip(NEXT) | instid1(VALU_DEP_1)
	v_wmma_f32_16x16x16_f16 v[76:83], v[25:32], v[41:48], v[76:83]
	v_wmma_f32_16x16x16_f16 v[76:83], v[57:64], v[33:40], v[76:83]
	s_delay_alu instid0(VALU_DEP_1) | instskip(NEXT) | instid1(VALU_DEP_2)
	v_cvt_f16_f32_e32 v1, v76
	v_cvt_f16_f32_e32 v2, v77
	s_delay_alu instid0(VALU_DEP_3) | instskip(NEXT) | instid1(VALU_DEP_4)
	v_cvt_f16_f32_e32 v3, v78
	v_cvt_f16_f32_e32 v4, v79
	;; [unrolled: 1-line block ×6, first 2 shown]
	v_pack_b32_f16 v1, v1, v2
	v_pack_b32_f16 v2, v3, v4
	;; [unrolled: 1-line block ×3, first 2 shown]
	s_delay_alu instid0(VALU_DEP_4)
	v_pack_b32_f16 v4, v7, v8
	ds_store_b128 v74, v[1:4]
	s_waitcnt lgkmcnt(0)
	s_barrier
	buffer_gl0_inv
	ds_load_b128 v[1:4], v75
	ds_load_b128 v[5:8], v75 offset:16
	s_waitcnt lgkmcnt(1)
	v_lshrrev_b32_e32 v9, 16, v1
	s_waitcnt lgkmcnt(0)
	v_lshrrev_b32_e32 v13, 16, v5
	v_lshrrev_b32_e32 v10, 16, v2
	;; [unrolled: 1-line block ×4, first 2 shown]
	v_cndmask_b32_e32 v17, v1, v9, vcc_lo
	v_cndmask_b32_e32 v18, v5, v13, vcc_lo
	v_cndmask_b32_e64 v21, v1, v9, s4
	v_cmp_eq_u32_e32 vcc_lo, 1, v71
	v_cndmask_b32_e64 v22, v5, v13, s4
	v_cmp_eq_u32_e64 s4, 2, v70
	v_cndmask_b32_e64 v19, v1, v9, s3
	v_cndmask_b32_e64 v20, v5, v13, s3
	v_cndmask_b32_e32 v1, v1, v9, vcc_lo
	v_cmp_eq_u32_e64 s3, 2, v71
	v_cndmask_b32_e32 v5, v5, v13, vcc_lo
	v_cndmask_b32_e64 v9, v17, v2, s4
	v_cmp_eq_u32_e32 vcc_lo, 3, v70
	v_cndmask_b32_e64 v13, v18, v6, s4
	v_cmp_eq_u32_e64 s4, 2, v69
	v_cndmask_b32_e64 v17, v19, v2, s5
	v_cndmask_b32_e64 v18, v20, v6, s5
	v_cmp_eq_u32_e64 s5, 3, v69
	v_cndmask_b32_e64 v1, v1, v2, s3
	v_cndmask_b32_e64 v19, v21, v2, s4
	;; [unrolled: 1-line block ×4, first 2 shown]
	v_cndmask_b32_e32 v5, v9, v10, vcc_lo
	v_cndmask_b32_e32 v6, v13, v14, vcc_lo
	v_cmp_eq_u32_e32 vcc_lo, 3, v71
	v_cndmask_b32_e64 v9, v17, v10, s6
	v_cndmask_b32_e64 v13, v18, v14, s6
	;; [unrolled: 1-line block ×3, first 2 shown]
	v_cmp_eq_u32_e64 s4, 4, v70
	v_cndmask_b32_e32 v1, v1, v10, vcc_lo
	v_cndmask_b32_e32 v2, v2, v14, vcc_lo
	v_cmp_eq_u32_e32 vcc_lo, 4, v72
	v_lshrrev_b32_e32 v15, 16, v7
	v_lshrrev_b32_e32 v16, 16, v8
	v_cndmask_b32_e64 v17, v19, v10, s5
	v_cmp_eq_u32_e64 s3, 4, v71
	v_cndmask_b32_e64 v5, v5, v3, s4
	v_cndmask_b32_e64 v6, v6, v7, s4
	v_cndmask_b32_e32 v9, v9, v3, vcc_lo
	v_cmp_eq_u32_e64 s4, 5, v72
	v_cndmask_b32_e32 v10, v13, v7, vcc_lo
	v_cmp_eq_u32_e32 vcc_lo, 4, v69
	v_cmp_eq_u32_e64 s5, 5, v70
	v_cndmask_b32_e64 v2, v2, v7, s3
	v_cndmask_b32_e64 v9, v9, v11, s4
	;; [unrolled: 1-line block ×3, first 2 shown]
	v_cndmask_b32_e32 v13, v17, v3, vcc_lo
	v_cmp_eq_u32_e64 s4, 5, v69
	v_cndmask_b32_e32 v14, v18, v7, vcc_lo
	v_cndmask_b32_e64 v1, v1, v3, s3
	v_cmp_eq_u32_e32 vcc_lo, 5, v71
	v_lshrrev_b32_e32 v12, 16, v4
	v_cndmask_b32_e64 v13, v13, v11, s4
	v_cndmask_b32_e64 v3, v14, v15, s4
	v_cmp_eq_u32_e64 s4, 6, v71
	v_cndmask_b32_e32 v1, v1, v11, vcc_lo
	v_cndmask_b32_e64 v5, v5, v11, s5
	v_cmp_eq_u32_e64 s6, 6, v70
	v_cndmask_b32_e64 v6, v6, v15, s5
	v_cmp_eq_u32_e64 s5, 6, v72
	v_cmp_eq_u32_e64 s3, 6, v69
	v_cndmask_b32_e64 v1, v1, v4, s4
	v_cndmask_b32_e32 v2, v2, v15, vcc_lo
	v_cmp_eq_u32_e32 vcc_lo, 7, v71
	v_cndmask_b32_e64 v5, v5, v4, s6
	v_cndmask_b32_e64 v9, v9, v4, s5
	v_cndmask_b32_e64 v6, v6, v8, s6
	v_cmp_eq_u32_e64 s6, 7, v70
	v_cndmask_b32_e32 v1, v1, v12, vcc_lo
	v_cndmask_b32_e64 v7, v13, v4, s3
	v_cndmask_b32_e64 v3, v3, v8, s3
	;; [unrolled: 1-line block ×3, first 2 shown]
	v_cmp_eq_u32_e64 s3, 7, v69
	v_cndmask_b32_e64 v4, v10, v8, s5
	v_cndmask_b32_e64 v5, v5, v12, s6
	;; [unrolled: 1-line block ×3, first 2 shown]
	v_cndmask_b32_e32 v2, v2, v16, vcc_lo
	v_cndmask_b32_e64 v7, v7, v12, s3
	v_cndmask_b32_e64 v3, v3, v16, s3
	;; [unrolled: 1-line block ×4, first 2 shown]
	v_perm_b32 v4, v2, v1, 0x5040100
	s_mov_b32 s3, exec_lo
	v_perm_b32 v3, v3, v7, 0x5040100
	v_perm_b32 v2, v8, v9, 0x5040100
	;; [unrolled: 1-line block ×3, first 2 shown]
	ds_store_b128 v74, v[1:4]
	s_waitcnt lgkmcnt(0)
	s_barrier
	buffer_gl0_inv
	v_cmpx_gt_u32_e32 32, v0
	s_cbranch_execz .LBB1062_2
; %bb.15:
	s_load_b64 s[4:5], s[0:1], 0x68
	v_lshlrev_b32_e32 v0, 10, v0
	v_lshlrev_b32_e32 v1, 4, v67
	s_lshl_b32 s0, s35, 7
	v_add_nc_u32_e32 v18, s31, v66
	s_mul_i32 s1, s0, s34
	s_delay_alu instid0(VALU_DEP_2) | instskip(SKIP_1) | instid1(VALU_DEP_2)
	v_and_or_b32 v0, 0x3800, v0, v1
	s_mul_i32 s6, s1, s8
	v_mul_lo_u32 v1, v18, s0
	s_ashr_i32 s7, s6, 31
	v_add_nc_u32_e32 v2, 2, v18
	v_lshl_or_b32 v19, v66, 6, v0
	s_lshl_b64 s[6:7], s[6:7], 1
	v_add_nc_u32_e32 v8, 4, v18
	v_add_nc_u32_e32 v15, 6, v18
	v_mul_lo_u32 v7, v2, s0
	ds_load_b128 v[3:6], v19
	v_ashrrev_i32_e32 v2, 31, v1
	v_mul_lo_u32 v11, v8, s0
	s_waitcnt lgkmcnt(0)
	s_add_u32 s1, s4, s6
	s_addc_u32 s3, s5, s7
	s_lshl_b32 s4, s14, 7
	v_lshlrev_b64 v[9:10], 1, v[1:2]
	s_ashr_i32 s5, s4, 31
	v_ashrrev_i32_e32 v8, 31, v7
	s_lshl_b64 s[4:5], s[4:5], 1
	v_ashrrev_i32_e32 v12, 31, v11
	s_add_u32 s1, s1, s4
	s_addc_u32 s3, s3, s5
	v_add_co_u32 v1, s1, s1, v65
	s_delay_alu instid0(VALU_DEP_1) | instskip(SKIP_1) | instid1(VALU_DEP_3)
	v_add_co_ci_u32_e64 v2, null, s3, 0, s1
	v_mul_lo_u32 v15, v15, s0
	v_add_co_u32 v13, vcc_lo, v1, v9
	s_delay_alu instid0(VALU_DEP_3)
	v_add_co_ci_u32_e32 v14, vcc_lo, v2, v10, vcc_lo
	v_lshlrev_b64 v[16:17], 1, v[7:8]
	ds_load_b128 v[7:10], v19 offset:128
	global_store_b128 v[13:14], v[3:6], off
	v_add_nc_u32_e32 v5, 8, v18
	v_lshlrev_b64 v[3:4], 1, v[11:12]
	v_add_co_u32 v23, vcc_lo, v1, v16
	v_ashrrev_i32_e32 v16, 31, v15
	s_delay_alu instid0(VALU_DEP_4) | instskip(SKIP_3) | instid1(VALU_DEP_3)
	v_mul_lo_u32 v25, v5, s0
	v_add_nc_u32_e32 v5, 10, v18
	v_add_co_ci_u32_e32 v24, vcc_lo, v2, v17, vcc_lo
	v_add_co_u32 v27, vcc_lo, v1, v3
	v_mul_lo_u32 v29, v5, s0
	v_add_co_ci_u32_e32 v28, vcc_lo, v2, v4, vcc_lo
	v_lshlrev_b64 v[31:32], 1, v[15:16]
	ds_load_b128 v[3:6], v19 offset:256
	ds_load_b128 v[11:14], v19 offset:384
	;; [unrolled: 1-line block ×4, first 2 shown]
	v_ashrrev_i32_e32 v26, 31, v25
	v_ashrrev_i32_e32 v30, 31, v29
	v_add_co_u32 v31, vcc_lo, v1, v31
	s_delay_alu instid0(VALU_DEP_3) | instskip(SKIP_1) | instid1(VALU_DEP_4)
	v_lshlrev_b64 v[25:26], 1, v[25:26]
	v_add_co_ci_u32_e32 v32, vcc_lo, v2, v32, vcc_lo
	v_lshlrev_b64 v[29:30], 1, v[29:30]
	s_delay_alu instid0(VALU_DEP_3) | instskip(NEXT) | instid1(VALU_DEP_4)
	v_add_co_u32 v25, vcc_lo, v1, v25
	v_add_co_ci_u32_e32 v26, vcc_lo, v2, v26, vcc_lo
	s_delay_alu instid0(VALU_DEP_3) | instskip(NEXT) | instid1(VALU_DEP_4)
	v_add_co_u32 v29, vcc_lo, v1, v29
	v_add_co_ci_u32_e32 v30, vcc_lo, v2, v30, vcc_lo
	s_waitcnt lgkmcnt(4)
	global_store_b128 v[23:24], v[7:10], off
	s_waitcnt lgkmcnt(3)
	global_store_b128 v[27:28], v[3:6], off
	;; [unrolled: 2-line block ×5, first 2 shown]
	s_and_b32 exec_lo, exec_lo, s2
	s_cbranch_execz .LBB1062_2
; %bb.16:
	ds_load_b128 v[3:6], v0 offset:768
	s_add_i32 s1, s31, 12
	s_delay_alu instid0(SALU_CYCLE_1) | instskip(NEXT) | instid1(SALU_CYCLE_1)
	s_mul_i32 s0, s1, s0
	s_ashr_i32 s1, s0, 31
	s_delay_alu instid0(SALU_CYCLE_1) | instskip(NEXT) | instid1(SALU_CYCLE_1)
	s_lshl_b64 s[0:1], s[0:1], 1
	v_add_co_u32 v0, vcc_lo, v1, s0
	v_add_co_ci_u32_e32 v1, vcc_lo, s1, v2, vcc_lo
	s_waitcnt lgkmcnt(0)
	global_store_b128 v[0:1], v[3:6], off
	s_nop 0
	s_sendmsg sendmsg(MSG_DEALLOC_VGPRS)
	s_endpgm
	.section	.rodata,"a",@progbits
	.p2align	6, 0x0
	.amdhsa_kernel _Z39paged_attention_ll4mi_QKV_mfma16_kernelIDF16_hLN4vllm18Fp8KVCacheDataTypeE1EDF16_Li32ELi128ELi256ELb1ELi13EL8MFMAType1EEvPKT_PKT0_S8_ifPKiSA_SA_iPKfiiiPfSD_PS3_PT2_iSC_SC_
		.amdhsa_group_segment_fixed_size 17472
		.amdhsa_private_segment_fixed_size 0
		.amdhsa_kernarg_size 400
		.amdhsa_user_sgpr_count 13
		.amdhsa_user_sgpr_dispatch_ptr 0
		.amdhsa_user_sgpr_queue_ptr 0
		.amdhsa_user_sgpr_kernarg_segment_ptr 1
		.amdhsa_user_sgpr_dispatch_id 0
		.amdhsa_user_sgpr_private_segment_size 0
		.amdhsa_wavefront_size32 1
		.amdhsa_uses_dynamic_stack 0
		.amdhsa_enable_private_segment 0
		.amdhsa_system_sgpr_workgroup_id_x 1
		.amdhsa_system_sgpr_workgroup_id_y 1
		.amdhsa_system_sgpr_workgroup_id_z 1
		.amdhsa_system_sgpr_workgroup_info 0
		.amdhsa_system_vgpr_workitem_id 0
		.amdhsa_next_free_vgpr 150
		.amdhsa_next_free_sgpr 37
		.amdhsa_reserve_vcc 1
		.amdhsa_float_round_mode_32 0
		.amdhsa_float_round_mode_16_64 0
		.amdhsa_float_denorm_mode_32 3
		.amdhsa_float_denorm_mode_16_64 3
		.amdhsa_dx10_clamp 1
		.amdhsa_ieee_mode 1
		.amdhsa_fp16_overflow 0
		.amdhsa_workgroup_processor_mode 1
		.amdhsa_memory_ordered 1
		.amdhsa_forward_progress 0
		.amdhsa_shared_vgpr_count 0
		.amdhsa_exception_fp_ieee_invalid_op 0
		.amdhsa_exception_fp_denorm_src 0
		.amdhsa_exception_fp_ieee_div_zero 0
		.amdhsa_exception_fp_ieee_overflow 0
		.amdhsa_exception_fp_ieee_underflow 0
		.amdhsa_exception_fp_ieee_inexact 0
		.amdhsa_exception_int_div_zero 0
	.end_amdhsa_kernel
	.section	.text._Z39paged_attention_ll4mi_QKV_mfma16_kernelIDF16_hLN4vllm18Fp8KVCacheDataTypeE1EDF16_Li32ELi128ELi256ELb1ELi13EL8MFMAType1EEvPKT_PKT0_S8_ifPKiSA_SA_iPKfiiiPfSD_PS3_PT2_iSC_SC_,"axG",@progbits,_Z39paged_attention_ll4mi_QKV_mfma16_kernelIDF16_hLN4vllm18Fp8KVCacheDataTypeE1EDF16_Li32ELi128ELi256ELb1ELi13EL8MFMAType1EEvPKT_PKT0_S8_ifPKiSA_SA_iPKfiiiPfSD_PS3_PT2_iSC_SC_,comdat
.Lfunc_end1062:
	.size	_Z39paged_attention_ll4mi_QKV_mfma16_kernelIDF16_hLN4vllm18Fp8KVCacheDataTypeE1EDF16_Li32ELi128ELi256ELb1ELi13EL8MFMAType1EEvPKT_PKT0_S8_ifPKiSA_SA_iPKfiiiPfSD_PS3_PT2_iSC_SC_, .Lfunc_end1062-_Z39paged_attention_ll4mi_QKV_mfma16_kernelIDF16_hLN4vllm18Fp8KVCacheDataTypeE1EDF16_Li32ELi128ELi256ELb1ELi13EL8MFMAType1EEvPKT_PKT0_S8_ifPKiSA_SA_iPKfiiiPfSD_PS3_PT2_iSC_SC_
                                        ; -- End function
	.section	.AMDGPU.csdata,"",@progbits
; Kernel info:
; codeLenInByte = 6860
; NumSgprs: 39
; NumVgprs: 150
; ScratchSize: 0
; MemoryBound: 0
; FloatMode: 240
; IeeeMode: 1
; LDSByteSize: 17472 bytes/workgroup (compile time only)
; SGPRBlocks: 4
; VGPRBlocks: 18
; NumSGPRsForWavesPerEU: 39
; NumVGPRsForWavesPerEU: 150
; Occupancy: 9
; WaveLimiterHint : 1
; COMPUTE_PGM_RSRC2:SCRATCH_EN: 0
; COMPUTE_PGM_RSRC2:USER_SGPR: 13
; COMPUTE_PGM_RSRC2:TRAP_HANDLER: 0
; COMPUTE_PGM_RSRC2:TGID_X_EN: 1
; COMPUTE_PGM_RSRC2:TGID_Y_EN: 1
; COMPUTE_PGM_RSRC2:TGID_Z_EN: 1
; COMPUTE_PGM_RSRC2:TIDIG_COMP_CNT: 0
	.section	.text._Z39paged_attention_ll4mi_QKV_mfma16_kernelIDF16_hLN4vllm18Fp8KVCacheDataTypeE1EDF16_Li32ELi128ELi256ELb1ELi14EL8MFMAType1EEvPKT_PKT0_S8_ifPKiSA_SA_iPKfiiiPfSD_PS3_PT2_iSC_SC_,"axG",@progbits,_Z39paged_attention_ll4mi_QKV_mfma16_kernelIDF16_hLN4vllm18Fp8KVCacheDataTypeE1EDF16_Li32ELi128ELi256ELb1ELi14EL8MFMAType1EEvPKT_PKT0_S8_ifPKiSA_SA_iPKfiiiPfSD_PS3_PT2_iSC_SC_,comdat
	.protected	_Z39paged_attention_ll4mi_QKV_mfma16_kernelIDF16_hLN4vllm18Fp8KVCacheDataTypeE1EDF16_Li32ELi128ELi256ELb1ELi14EL8MFMAType1EEvPKT_PKT0_S8_ifPKiSA_SA_iPKfiiiPfSD_PS3_PT2_iSC_SC_ ; -- Begin function _Z39paged_attention_ll4mi_QKV_mfma16_kernelIDF16_hLN4vllm18Fp8KVCacheDataTypeE1EDF16_Li32ELi128ELi256ELb1ELi14EL8MFMAType1EEvPKT_PKT0_S8_ifPKiSA_SA_iPKfiiiPfSD_PS3_PT2_iSC_SC_
	.globl	_Z39paged_attention_ll4mi_QKV_mfma16_kernelIDF16_hLN4vllm18Fp8KVCacheDataTypeE1EDF16_Li32ELi128ELi256ELb1ELi14EL8MFMAType1EEvPKT_PKT0_S8_ifPKiSA_SA_iPKfiiiPfSD_PS3_PT2_iSC_SC_
	.p2align	8
	.type	_Z39paged_attention_ll4mi_QKV_mfma16_kernelIDF16_hLN4vllm18Fp8KVCacheDataTypeE1EDF16_Li32ELi128ELi256ELb1ELi14EL8MFMAType1EEvPKT_PKT0_S8_ifPKiSA_SA_iPKfiiiPfSD_PS3_PT2_iSC_SC_,@function
_Z39paged_attention_ll4mi_QKV_mfma16_kernelIDF16_hLN4vllm18Fp8KVCacheDataTypeE1EDF16_Li32ELi128ELi256ELb1ELi14EL8MFMAType1EEvPKT_PKT0_S8_ifPKiSA_SA_iPKfiiiPfSD_PS3_PT2_iSC_SC_: ; @_Z39paged_attention_ll4mi_QKV_mfma16_kernelIDF16_hLN4vllm18Fp8KVCacheDataTypeE1EDF16_Li32ELi128ELi256ELb1ELi14EL8MFMAType1EEvPKT_PKT0_S8_ifPKiSA_SA_iPKfiiiPfSD_PS3_PT2_iSC_SC_
; %bb.0:
	s_load_b64 s[4:5], s[0:1], 0x30
	s_mov_b32 s30, s13
	s_waitcnt lgkmcnt(0)
	s_cmp_lg_u64 s[4:5], 0
	s_cselect_b32 s8, -1, 0
	s_ashr_i32 s31, s13, 31
	s_cmp_eq_u64 s[4:5], 0
	s_cbranch_scc1 .LBB1063_3
; %bb.1:
	s_lshl_b64 s[2:3], s[30:31], 2
	s_delay_alu instid0(SALU_CYCLE_1) | instskip(SKIP_4) | instid1(SALU_CYCLE_1)
	s_add_u32 s2, s4, s2
	s_addc_u32 s3, s5, s3
	s_load_b64 s[2:3], s[2:3], 0x0
	s_waitcnt lgkmcnt(0)
	s_sub_i32 s2, s3, s2
	s_cmp_eq_u32 s2, 1
	s_cselect_b32 s2, -1, 0
	s_delay_alu instid0(SALU_CYCLE_1)
	s_and_not1_b32 vcc_lo, exec_lo, s2
	s_cbranch_vccz .LBB1063_4
.LBB1063_2:
	s_endpgm
.LBB1063_3:
.LBB1063_4:
	s_load_b64 s[2:3], s[0:1], 0x28
	s_lshl_b64 s[6:7], s[30:31], 2
	s_waitcnt lgkmcnt(0)
	s_add_u32 s2, s2, s6
	s_addc_u32 s3, s3, s7
	s_lshl_b32 s12, s14, 8
	s_load_b32 s24, s[2:3], 0x0
	s_waitcnt lgkmcnt(0)
	s_cmp_ge_i32 s12, s24
	s_cbranch_scc1 .LBB1063_2
; %bb.5:
	s_clause 0x1
	s_load_b128 s[20:23], s[0:1], 0x8
	s_load_b64 s[2:3], s[0:1], 0x20
	s_and_not1_b32 vcc_lo, exec_lo, s8
	s_cbranch_vccnz .LBB1063_7
; %bb.6:
	s_add_u32 s4, s4, s6
	s_addc_u32 s5, s5, s7
	s_load_b32 s5, s[4:5], 0x0
	s_branch .LBB1063_8
.LBB1063_7:
	s_mov_b32 s5, s30
.LBB1063_8:
	s_load_b128 s[16:19], s[0:1], 0x48
	v_and_b32_e32 v68, 15, v0
	v_lshrrev_b32_e32 v69, 5, v0
	v_and_b32_e32 v70, 31, v0
	v_and_b32_e32 v67, 1, v0
	v_bfe_u32 v66, v0, 4, 1
	v_lshlrev_b32_e32 v1, 3, v68
	s_mul_i32 s31, s15, 14
	s_mov_b32 s4, exec_lo
	s_delay_alu instid0(VALU_DEP_1)
	v_lshlrev_b32_e32 v65, 1, v1
	v_cmpx_gt_u32_e32 0xe0, v0
	s_cbranch_execz .LBB1063_10
; %bb.9:
	s_load_b64 s[6:7], s[0:1], 0x0
	v_lshl_or_b32 v5, v69, 1, v66
	s_waitcnt lgkmcnt(0)
	s_mul_hi_i32 s9, s5, s16
	s_mul_i32 s8, s5, s16
	v_lshlrev_b32_e32 v6, 10, v68
	s_lshl_b64 s[8:9], s[8:9], 1
	v_add_lshl_u32 v1, v5, s31, 7
	v_lshlrev_b32_e32 v5, 6, v5
	v_lshlrev_b32_e32 v7, 10, v67
	v_and_b32_e32 v6, 0x3800, v6
	s_delay_alu instid0(VALU_DEP_4) | instskip(NEXT) | instid1(VALU_DEP_2)
	v_ashrrev_i32_e32 v2, 31, v1
	v_or3_b32 v5, v6, v7, v5
	s_delay_alu instid0(VALU_DEP_2) | instskip(SKIP_2) | instid1(VALU_DEP_1)
	v_lshlrev_b64 v[1:2], 1, v[1:2]
	s_add_u32 s5, s6, s8
	s_addc_u32 s6, s7, s9
	v_add_co_u32 v1, vcc_lo, s5, v1
	s_delay_alu instid0(VALU_DEP_2) | instskip(NEXT) | instid1(VALU_DEP_2)
	v_add_co_ci_u32_e32 v2, vcc_lo, s6, v2, vcc_lo
	v_add_co_u32 v1, vcc_lo, v1, v65
	s_delay_alu instid0(VALU_DEP_2)
	v_add_co_ci_u32_e32 v2, vcc_lo, 0, v2, vcc_lo
	global_load_b128 v[1:4], v[1:2], off
	s_waitcnt vmcnt(0)
	ds_store_b128 v5, v[1:4]
.LBB1063_10:
	s_or_b32 exec_lo, exec_lo, s4
	v_and_b32_e32 v1, 0xef, v0
	s_waitcnt lgkmcnt(0)
	s_add_i32 s5, s24, 31
	s_clause 0x1
	s_load_b32 s4, s[0:1], 0x38
	s_load_b32 s33, s[0:1], 0x98
	s_ashr_i32 s6, s5, 31
	v_add_nc_u32_e32 v1, s12, v1
	s_lshr_b32 s6, s6, 27
	s_load_b32 s19, s[0:1], 0x1c
	s_add_i32 s5, s5, s6
	s_waitcnt lgkmcnt(0)
	v_ashrrev_i32_e32 v2, 31, v1
	v_or_b32_e32 v3, 16, v1
	s_ashr_i32 s13, s5, 5
	v_cmp_gt_i32_e32 vcc_lo, s24, v1
	s_add_i32 s13, s13, -1
	v_lshrrev_b32_e32 v2, 27, v2
	s_barrier
	buffer_gl0_inv
	s_mul_i32 s15, s15, s18
	v_add_nc_u32_e32 v4, v1, v2
	s_mul_i32 s4, s30, s4
	s_delay_alu instid0(SALU_CYCLE_1) | instskip(NEXT) | instid1(VALU_DEP_1)
	s_ashr_i32 s5, s4, 31
	v_ashrrev_i32_e32 v4, 5, v4
	v_add_nc_u32_e32 v2, v3, v2
	s_lshl_b64 s[4:5], s[4:5], 2
	s_delay_alu instid0(SALU_CYCLE_1) | instskip(NEXT) | instid1(VALU_DEP_2)
	s_add_u32 s16, s2, s4
	v_cndmask_b32_e32 v1, s13, v4, vcc_lo
	s_delay_alu instid0(VALU_DEP_2)
	v_ashrrev_i32_e32 v2, 5, v2
	v_cmp_gt_i32_e32 vcc_lo, s24, v3
	s_addc_u32 s25, s3, s5
	s_ashr_i32 s18, s15, 31
	s_add_u32 s2, s20, s15
	s_addc_u32 s3, s21, s18
	v_cndmask_b32_e32 v3, s13, v2, vcc_lo
	v_ashrrev_i32_e32 v2, 31, v1
	s_lshl_b32 s4, s14, 3
	s_delay_alu instid0(SALU_CYCLE_1) | instskip(NEXT) | instid1(VALU_DEP_2)
	s_ashr_i32 s5, s4, 31
	v_ashrrev_i32_e32 v4, 31, v3
	s_delay_alu instid0(VALU_DEP_2) | instskip(SKIP_1) | instid1(SALU_CYCLE_1)
	v_lshlrev_b64 v[1:2], 2, v[1:2]
	s_lshl_b64 s[4:5], s[4:5], 2
	s_add_u32 s4, s16, s4
	s_delay_alu instid0(VALU_DEP_2) | instskip(SKIP_1) | instid1(VALU_DEP_2)
	v_lshlrev_b64 v[3:4], 2, v[3:4]
	s_addc_u32 s5, s25, s5
	v_add_co_u32 v1, vcc_lo, s16, v1
	v_add_co_ci_u32_e32 v2, vcc_lo, s25, v2, vcc_lo
	s_delay_alu instid0(VALU_DEP_3) | instskip(NEXT) | instid1(VALU_DEP_4)
	v_add_co_u32 v3, vcc_lo, s16, v3
	v_add_co_ci_u32_e32 v4, vcc_lo, s25, v4, vcc_lo
	s_clause 0x1
	global_load_b32 v5, v[1:2], off
	global_load_b32 v6, v[3:4], off
	s_or_b32 s6, s12, 32
	s_delay_alu instid0(SALU_CYCLE_1) | instskip(SKIP_2) | instid1(SALU_CYCLE_1)
	s_ashr_i32 s7, s6, 5
	s_cmp_lt_i32 s6, s24
	s_cselect_b32 s6, s7, s13
	s_ashr_i32 s7, s6, 31
	s_delay_alu instid0(SALU_CYCLE_1) | instskip(NEXT) | instid1(SALU_CYCLE_1)
	s_lshl_b64 s[6:7], s[6:7], 2
	s_add_u32 s6, s16, s6
	s_addc_u32 s7, s25, s7
	s_or_b32 s8, s12, 64
	s_delay_alu instid0(SALU_CYCLE_1) | instskip(SKIP_2) | instid1(SALU_CYCLE_1)
	s_ashr_i32 s9, s8, 5
	s_cmp_lt_i32 s8, s24
	s_cselect_b32 s8, s9, s13
	s_ashr_i32 s9, s8, 31
	s_delay_alu instid0(SALU_CYCLE_1) | instskip(NEXT) | instid1(SALU_CYCLE_1)
	s_lshl_b64 s[8:9], s[8:9], 2
	s_add_u32 s8, s16, s8
	s_addc_u32 s9, s25, s9
	;; [unrolled: 10-line block ×5, first 2 shown]
	s_clause 0x5
	s_load_b32 s28, s[4:5], 0x0
	s_load_b32 s29, s[6:7], 0x0
	;; [unrolled: 1-line block ×6, first 2 shown]
	s_mov_b32 s4, 0
	s_delay_alu instid0(SALU_CYCLE_1)
	s_mov_b32 s5, s4
	s_mov_b32 s6, s4
	;; [unrolled: 1-line block ×7, first 2 shown]
	s_delay_alu instid0(SALU_CYCLE_1)
	v_dual_mov_b32 v118, s11 :: v_dual_mov_b32 v117, s10
	v_dual_mov_b32 v116, s9 :: v_dual_mov_b32 v115, s8
	v_mov_b32_e32 v113, s6
	v_dual_mov_b32 v111, s4 :: v_dual_mov_b32 v114, s7
	v_mov_b32_e32 v112, s5
	s_waitcnt vmcnt(1)
	v_mad_i64_i32 v[1:2], null, v5, s17, s[2:3]
	v_lshlrev_b32_e32 v5, 4, v68
	s_waitcnt vmcnt(0)
	v_mad_i64_i32 v[3:4], null, v6, s17, s[2:3]
	s_or_b32 s2, s12, 0xc0
	s_delay_alu instid0(SALU_CYCLE_1) | instskip(NEXT) | instid1(VALU_DEP_3)
	s_ashr_i32 s3, s2, 5
	v_add_co_u32 v1, vcc_lo, v1, v5
	s_delay_alu instid0(VALU_DEP_4) | instskip(NEXT) | instid1(VALU_DEP_3)
	v_add_co_ci_u32_e32 v2, vcc_lo, 0, v2, vcc_lo
	v_add_co_u32 v3, vcc_lo, v3, v5
	s_delay_alu instid0(VALU_DEP_4)
	v_add_co_ci_u32_e32 v4, vcc_lo, 0, v4, vcc_lo
	s_clause 0xf
	global_load_b128 v[17:20], v[1:2], off
	global_load_b128 v[21:24], v[1:2], off offset:512
	global_load_b128 v[25:28], v[3:4], off offset:256
	;; [unrolled: 1-line block ×15, first 2 shown]
	s_cmp_lt_i32 s2, s24
	v_add_nc_u32_e32 v1, -14, v68
	s_cselect_b32 s2, s3, s13
	v_cmp_gt_u32_e32 vcc_lo, 14, v68
	s_ashr_i32 s3, s2, 31
	v_lshlrev_b32_e32 v2, 5, v68
	s_lshl_b64 s[2:3], s[2:3], 2
	s_delay_alu instid0(SALU_CYCLE_1)
	s_add_u32 s2, s16, s2
	s_addc_u32 s3, s25, s3
	s_or_b32 s20, s12, 0xe0
	v_cndmask_b32_e32 v1, v1, v68, vcc_lo
	s_ashr_i32 s21, s20, 5
	s_cmp_lt_i32 s20, s24
	s_cselect_b32 s20, s21, s13
	s_delay_alu instid0(VALU_DEP_1)
	v_lshlrev_b32_e32 v149, 6, v1
	s_ashr_i32 s21, s20, 31
	v_lshl_or_b32 v1, v69, 9, v2
	s_lshl_b64 s[4:5], s[20:21], 2
	ds_load_b128 v[119:122], v149
	ds_load_b128 v[123:126], v149 offset:1024
	s_add_u32 s4, s16, s4
	s_addc_u32 s5, s25, s5
	ds_load_b128 v[127:130], v149 offset:2048
	ds_load_b128 v[131:134], v149 offset:3072
	s_clause 0x1
	s_load_b32 s2, s[2:3], 0x0
	s_load_b32 s3, s[4:5], 0x0
	s_add_u32 s6, s22, s15
	s_addc_u32 s7, s23, s18
	v_add_co_u32 v135, s6, s6, v1
	s_delay_alu instid0(VALU_DEP_1) | instskip(SKIP_1) | instid1(VALU_DEP_1)
	v_add_co_ci_u32_e64 v136, null, s7, 0, s6
	s_waitcnt lgkmcnt(0)
	v_mad_i64_i32 v[1:2], null, s28, s17, v[135:136]
	v_mad_i64_i32 v[3:4], null, s29, s17, v[135:136]
	;; [unrolled: 1-line block ×6, first 2 shown]
	s_clause 0x9
	global_load_b128 v[49:52], v[1:2], off
	global_load_b128 v[53:56], v[1:2], off offset:16
	global_load_b128 v[41:44], v[3:4], off
	global_load_b128 v[45:48], v[3:4], off offset:16
	;; [unrolled: 2-line block ×5, first 2 shown]
	v_mad_i64_i32 v[145:146], null, s2, s17, v[135:136]
	v_mad_i64_i32 v[147:148], null, s3, s17, v[135:136]
	s_waitcnt vmcnt(24)
	v_wmma_f32_16x16x16_f16 v[135:142], v[17:24], v[119:126], v[111:118]
	s_waitcnt vmcnt(22)
	v_wmma_f32_16x16x16_f16 v[111:118], v[25:32], v[119:126], v[111:118]
	s_clause 0x3
	global_load_b128 v[17:20], v[143:144], off
	global_load_b128 v[21:24], v[143:144], off offset:16
	global_load_b128 v[25:28], v[145:146], off
	global_load_b128 v[29:32], v[145:146], off offset:16
	v_and_b32_e32 v119, 0xe0, v0
	s_waitcnt vmcnt(24)
	v_wmma_f32_16x16x16_f16 v[135:142], v[57:64], v[127:134], v[135:142]
	s_clause 0x1
	global_load_b128 v[57:60], v[147:148], off
	global_load_b128 v[61:64], v[147:148], off offset:16
	s_waitcnt vmcnt(24)
	v_wmma_f32_16x16x16_f16 v[111:118], v[71:78], v[127:134], v[111:118]
	ds_load_b128 v[71:74], v149 offset:4096
	ds_load_b128 v[75:78], v149 offset:5120
	v_add_nc_u32_e32 v128, s12, v119
	ds_load_b128 v[119:122], v149 offset:6144
	ds_load_b128 v[123:126], v149 offset:7168
	v_mbcnt_lo_u32_b32 v127, -1, 0
	s_waitcnt vmcnt(0) lgkmcnt(0)
	s_barrier
	v_or_b32_e32 v128, v128, v66
	buffer_gl0_inv
	v_xor_b32_e32 v129, 16, v127
	v_or_b32_e32 v130, 4, v128
	v_or_b32_e32 v131, 6, v128
	s_delay_alu instid0(VALU_DEP_3) | instskip(SKIP_4) | instid1(VALU_DEP_4)
	v_cmp_gt_i32_e32 vcc_lo, 32, v129
	v_or_b32_e32 v132, 8, v128
	v_or_b32_e32 v133, 10, v128
	v_cmp_gt_i32_e64 s3, s24, v130
	v_cmp_gt_i32_e64 s4, s24, v131
	;; [unrolled: 1-line block ×3, first 2 shown]
	v_wmma_f32_16x16x16_f16 v[135:142], v[79:86], v[71:78], v[135:142]
	v_wmma_f32_16x16x16_f16 v[111:118], v[87:94], v[71:78], v[111:118]
	v_or_b32_e32 v79, 12, v128
	v_or_b32_e32 v80, 14, v128
	v_cmp_gt_i32_e64 s6, s24, v133
	v_wmma_f32_16x16x16_f16 v[135:142], v[95:102], v[119:126], v[135:142]
	v_wmma_f32_16x16x16_f16 v[111:118], v[103:110], v[119:126], v[111:118]
	v_cndmask_b32_e32 v127, v127, v129, vcc_lo
	v_or_b32_e32 v129, 2, v128
	v_cmp_gt_i32_e32 vcc_lo, s24, v128
	s_delay_alu instid0(VALU_DEP_4) | instskip(SKIP_1) | instid1(VALU_DEP_4)
	v_dual_mul_f32 v87, s19, v136 :: v_dual_mul_f32 v94, s19, v113
	v_mul_f32_e32 v88, s19, v135
	v_cmp_gt_i32_e64 s2, s24, v129
	v_mul_f32_e32 v78, s19, v138
	v_mul_f32_e32 v86, s19, v137
	;; [unrolled: 1-line block ×3, first 2 shown]
	v_cndmask_b32_e32 v88, 0xff7fffff, v88, vcc_lo
	v_cndmask_b32_e64 v87, 0xff7fffff, v87, s2
	v_dual_mul_f32 v77, s19, v139 :: v_dual_mul_f32 v90, s19, v117
	v_cndmask_b32_e64 v86, 0xff7fffff, v86, s3
	v_cndmask_b32_e64 v78, 0xff7fffff, v78, s4
	s_delay_alu instid0(VALU_DEP_4)
	v_max3_f32 v87, v88, 0xff7fffff, v87
	v_or_b32_e32 v81, 16, v128
	v_or_b32_e32 v82, 18, v128
	v_dual_mul_f32 v74, s19, v142 :: v_dual_mul_f32 v75, s19, v141
	v_mul_f32_e32 v96, s19, v111
	v_cndmask_b32_e64 v77, 0xff7fffff, v77, s5
	v_cndmask_b32_e64 v76, 0xff7fffff, v76, s6
	v_max3_f32 v78, v87, v86, v78
	v_cmp_gt_i32_e64 s7, s24, v79
	v_cmp_gt_i32_e64 s8, s24, v80
	v_or_b32_e32 v83, 20, v128
	v_or_b32_e32 v84, 22, v128
	v_mul_f32_e32 v95, s19, v112
	v_cndmask_b32_e64 v75, 0xff7fffff, v75, s7
	v_cndmask_b32_e64 v74, 0xff7fffff, v74, s8
	v_max3_f32 v76, v78, v77, v76
	v_cmp_gt_i32_e64 s9, s24, v81
	v_cmp_gt_i32_e64 s10, s24, v82
	v_or_b32_e32 v85, 24, v128
	v_or_b32_e32 v71, 26, v128
	;; [unrolled: 8-line block ×3, first 2 shown]
	v_dual_mul_f32 v91, s19, v116 :: v_dual_mul_f32 v92, s19, v115
	v_cndmask_b32_e64 v75, 0xff7fffff, v94, s11
	v_cndmask_b32_e64 v76, 0xff7fffff, v93, s12
	v_max3_f32 v74, v74, v77, v78
	v_cmp_gt_i32_e64 s13, s24, v85
	v_cmp_gt_i32_e64 s15, s24, v71
	v_mul_f32_e32 v89, s19, v118
	v_cmp_gt_i32_e64 s16, s24, v72
	v_max3_f32 v74, v74, v75, v76
	v_cndmask_b32_e64 v77, 0xff7fffff, v92, s13
	v_cndmask_b32_e64 v71, 0xff7fffff, v91, s15
	v_cmp_gt_i32_e64 s17, s24, v73
	v_cndmask_b32_e64 v72, 0xff7fffff, v90, s16
	s_delay_alu instid0(VALU_DEP_3) | instskip(SKIP_1) | instid1(VALU_DEP_4)
	v_max3_f32 v71, v74, v77, v71
	v_lshlrev_b32_e32 v74, 2, v127
	v_cndmask_b32_e64 v73, 0xff7fffff, v89, s17
	s_delay_alu instid0(VALU_DEP_1) | instskip(SKIP_3) | instid1(VALU_DEP_1)
	v_max3_f32 v71, v71, v72, v73
	ds_bpermute_b32 v72, v74, v71
	s_waitcnt lgkmcnt(0)
	v_max_f32_e32 v72, v72, v72
	v_max_f32_e32 v71, v71, v72
	s_delay_alu instid0(VALU_DEP_1) | instskip(SKIP_4) | instid1(VALU_DEP_4)
	v_fma_f32 v72, s19, v135, -v71
	v_fma_f32 v73, s19, v136, -v71
	;; [unrolled: 1-line block ×5, first 2 shown]
	v_dual_mul_f32 v72, 0x3fb8aa3b, v72 :: v_dual_mul_f32 v73, 0x3fb8aa3b, v73
	s_delay_alu instid0(VALU_DEP_3) | instskip(SKIP_1) | instid1(VALU_DEP_3)
	v_dual_mul_f32 v75, 0x3fb8aa3b, v75 :: v_dual_mul_f32 v76, 0x3fb8aa3b, v76
	v_fma_f32 v80, s19, v141, -v71
	v_exp_f32_e32 v72, v72
	s_delay_alu instid0(VALU_DEP_3) | instskip(NEXT) | instid1(VALU_DEP_2)
	v_exp_f32_e32 v73, v73
	v_exp_f32_e32 v75, v75
	v_exp_f32_e32 v76, v76
	v_mul_f32_e32 v82, 0x3fb8aa3b, v80
	s_delay_alu instid0(VALU_DEP_1) | instskip(SKIP_4) | instid1(TRANS32_DEP_3)
	v_exp_f32_e32 v84, v82
	v_cndmask_b32_e32 v79, 0, v72, vcc_lo
	v_fma_f32 v72, s19, v140, -v71
	v_mul_f32_e32 v77, 0x3fb8aa3b, v77
	v_cndmask_b32_e64 v78, 0, v73, s2
	v_cndmask_b32_e64 v81, 0, v75, s3
	s_delay_alu instid0(VALU_DEP_4) | instskip(NEXT) | instid1(VALU_DEP_4)
	v_dual_add_f32 v73, 0, v79 :: v_dual_mul_f32 v72, 0x3fb8aa3b, v72
	v_exp_f32_e32 v77, v77
	v_cndmask_b32_e64 v80, 0, v76, s4
	s_delay_alu instid0(TRANS32_DEP_2) | instskip(NEXT) | instid1(VALU_DEP_3)
	v_cndmask_b32_e64 v85, 0, v84, s7
	v_add_f32_e32 v73, v73, v78
	v_exp_f32_e32 v72, v72
	s_mov_b32 s2, exec_lo
	s_delay_alu instid0(VALU_DEP_1) | instskip(SKIP_4) | instid1(VALU_DEP_2)
	v_add_f32_e32 v73, v73, v81
	s_waitcnt_depctr 0xfff
	v_cndmask_b32_e64 v83, 0, v77, s5
	v_add_f32_e32 v73, v73, v80
	v_cndmask_b32_e64 v82, 0, v72, s6
	v_add_f32_e32 v72, v73, v83
	s_delay_alu instid0(VALU_DEP_1) | instskip(NEXT) | instid1(VALU_DEP_1)
	v_add_f32_e32 v72, v72, v82
	v_add_f32_e32 v72, v72, v85
	v_fma_f32 v76, s19, v111, -v71
	v_fma_f32 v75, s19, v142, -v71
	;; [unrolled: 1-line block ×5, first 2 shown]
	s_delay_alu instid0(VALU_DEP_4) | instskip(NEXT) | instid1(VALU_DEP_3)
	v_dual_mul_f32 v76, 0x3fb8aa3b, v76 :: v_dual_mul_f32 v75, 0x3fb8aa3b, v75
	v_mul_f32_e32 v86, 0x3fb8aa3b, v86
	s_delay_alu instid0(VALU_DEP_2) | instskip(NEXT) | instid1(VALU_DEP_2)
	v_exp_f32_e32 v76, v76
	v_exp_f32_e32 v75, v75
	s_delay_alu instid0(VALU_DEP_1) | instskip(NEXT) | instid1(TRANS32_DEP_3)
	v_exp_f32_e32 v88, v86
	v_cndmask_b32_e64 v87, 0, v76, s9
	v_fma_f32 v76, s19, v116, -v71
	v_mul_f32_e32 v77, 0x3fb8aa3b, v77
	s_waitcnt_depctr 0xfff
	v_cndmask_b32_e64 v84, 0, v75, s8
	v_fma_f32 v75, s19, v115, -v71
	v_cndmask_b32_e64 v88, 0, v88, s12
	v_mul_f32_e32 v76, 0x3fb8aa3b, v76
	v_exp_f32_e32 v77, v77
	v_add_f32_e32 v72, v72, v84
	s_delay_alu instid0(VALU_DEP_2) | instskip(NEXT) | instid1(VALU_DEP_1)
	v_exp_f32_e32 v76, v76
	v_add_f32_e32 v72, v72, v87
	s_waitcnt_depctr 0xfff
	v_cndmask_b32_e64 v86, 0, v77, s10
	v_mul_f32_e32 v73, 0x3fb8aa3b, v73
	v_fma_f32 v77, s19, v117, -v71
	v_cndmask_b32_e64 v90, 0, v76, s15
	s_delay_alu instid0(VALU_DEP_4) | instskip(NEXT) | instid1(VALU_DEP_4)
	v_add_f32_e32 v72, v72, v86
	v_exp_f32_e32 v73, v73
	s_waitcnt_depctr 0xfff
	v_cndmask_b32_e64 v89, 0, v73, s11
	s_delay_alu instid0(VALU_DEP_1) | instskip(NEXT) | instid1(VALU_DEP_1)
	v_dual_mul_f32 v75, 0x3fb8aa3b, v75 :: v_dual_add_f32 v72, v72, v89
	v_exp_f32_e32 v75, v75
	v_mul_f32_e32 v73, 0x3fb8aa3b, v77
	v_fma_f32 v77, s19, v118, -v71
	s_delay_alu instid0(VALU_DEP_3) | instskip(NEXT) | instid1(VALU_DEP_3)
	v_add_f32_e32 v72, v72, v88
	v_exp_f32_e32 v73, v73
	s_waitcnt_depctr 0xfff
	v_cndmask_b32_e64 v91, 0, v75, s13
	s_delay_alu instid0(VALU_DEP_1) | instskip(NEXT) | instid1(VALU_DEP_1)
	v_dual_mul_f32 v75, 0x3fb8aa3b, v77 :: v_dual_add_f32 v72, v72, v91
	v_exp_f32_e32 v75, v75
	v_cndmask_b32_e64 v93, 0, v73, s16
	s_delay_alu instid0(VALU_DEP_2) | instskip(NEXT) | instid1(VALU_DEP_1)
	v_add_f32_e32 v72, v72, v90
	v_add_f32_e32 v72, v72, v93
	s_waitcnt_depctr 0xfff
	v_cndmask_b32_e64 v92, 0, v75, s17
	s_delay_alu instid0(VALU_DEP_1)
	v_add_f32_e32 v72, v72, v92
	ds_bpermute_b32 v73, v74, v72
	v_cmpx_gt_u32_e32 16, v70
	s_cbranch_execz .LBB1063_12
; %bb.11:
	v_mul_u32_u24_e32 v70, 0x44, v69
	s_waitcnt lgkmcnt(0)
	v_add_f32_e32 v72, v72, v73
	s_delay_alu instid0(VALU_DEP_2) | instskip(NEXT) | instid1(VALU_DEP_1)
	v_lshl_add_u32 v70, v68, 2, v70
	v_add_nc_u32_e32 v70, 0x4000, v70
	ds_store_2addr_b32 v70, v71, v72 offset1:136
.LBB1063_12:
	s_or_b32 exec_lo, exec_lo, s2
	v_lshlrev_b32_e32 v70, 2, v68
	s_load_b32 s34, s[0:1], 0x94
	s_waitcnt lgkmcnt(0)
	s_barrier
	buffer_gl0_inv
	v_add_nc_u32_e32 v98, 0x4000, v70
	v_cmp_eq_u32_e32 vcc_lo, 1, v69
	v_cmp_eq_u32_e64 s2, 2, v69
	v_cmp_eq_u32_e64 s3, 3, v69
	;; [unrolled: 1-line block ×3, first 2 shown]
	ds_load_2addr_b32 v[70:71], v98 offset1:17
	ds_load_2addr_b32 v[72:73], v98 offset0:34 offset1:51
	ds_load_2addr_b32 v[74:75], v98 offset0:68 offset1:85
	;; [unrolled: 1-line block ×3, first 2 shown]
	v_cmp_eq_u32_e64 s5, 5, v69
	v_cmp_eq_u32_e64 s6, 7, v69
	s_waitcnt lgkmcnt(3)
	v_max3_f32 v76, v70, 0xff7fffff, v71
	s_waitcnt lgkmcnt(2)
	s_delay_alu instid0(VALU_DEP_1) | instskip(SKIP_1) | instid1(VALU_DEP_1)
	v_max3_f32 v76, v76, v72, v73
	s_waitcnt lgkmcnt(1)
	v_max3_f32 v76, v76, v74, v75
	s_waitcnt lgkmcnt(0)
	s_delay_alu instid0(VALU_DEP_1) | instskip(NEXT) | instid1(VALU_DEP_1)
	v_max3_f32 v76, v76, v94, v95
	v_sub_f32_e32 v77, v71, v76
	ds_load_2addr_b32 v[96:97], v98 offset0:136 offset1:153
	v_sub_f32_e32 v74, v74, v76
	v_sub_f32_e32 v70, v70, v76
	;; [unrolled: 1-line block ×3, first 2 shown]
	v_dual_sub_f32 v72, v72, v76 :: v_dual_mul_f32 v77, 0x3fb8aa3b, v77
	s_delay_alu instid0(VALU_DEP_4) | instskip(NEXT) | instid1(VALU_DEP_4)
	v_mul_f32_e32 v103, 0x3fb8aa3b, v74
	v_mul_f32_e32 v99, 0x3fb8aa3b, v70
	ds_load_2addr_b32 v[70:71], v98 offset0:170 offset1:187
	v_dual_mul_f32 v101, 0x3fb8aa3b, v72 :: v_dual_mul_f32 v94, 0x3fb8aa3b, v94
	v_exp_f32_e32 v102, v77
	v_exp_f32_e32 v99, v99
	s_delay_alu instid0(VALU_DEP_1) | instskip(NEXT) | instid1(VALU_DEP_1)
	v_exp_f32_e32 v101, v101
	v_exp_f32_e32 v94, v94
	s_waitcnt lgkmcnt(1)
	s_delay_alu instid0(TRANS32_DEP_3)
	v_fma_f32 v77, v99, v96, 0
	v_sub_f32_e32 v100, v73, v76
	ds_load_2addr_b32 v[72:73], v98 offset0:204 offset1:221
	v_fmac_f32_e32 v77, v102, v97
	v_exp_f32_e32 v97, v103
	s_waitcnt lgkmcnt(1)
	s_delay_alu instid0(VALU_DEP_1)
	v_dual_fmac_f32 v77, v101, v70 :: v_dual_sub_f32 v96, v75, v76
	ds_load_2addr_b32 v[74:75], v98 offset0:238 offset1:255
	v_sub_f32_e32 v70, v95, v76
	s_waitcnt lgkmcnt(0)
	s_barrier
	v_mul_f32_e32 v96, 0x3fb8aa3b, v96
	buffer_gl0_inv
	v_exp_f32_e32 v95, v96
	v_mul_f32_e32 v100, 0x3fb8aa3b, v100
	s_delay_alu instid0(VALU_DEP_1) | instskip(SKIP_3) | instid1(VALU_DEP_2)
	v_exp_f32_e32 v100, v100
	s_waitcnt_depctr 0xfff
	v_dual_fmac_f32 v77, v100, v71 :: v_dual_mul_f32 v70, 0x3fb8aa3b, v70
	v_cndmask_b32_e32 v71, v99, v102, vcc_lo
	v_fmac_f32_e32 v77, v97, v72
	s_delay_alu instid0(VALU_DEP_3) | instskip(NEXT) | instid1(VALU_DEP_1)
	v_exp_f32_e32 v96, v70
	v_fmac_f32_e32 v77, v95, v73
	s_delay_alu instid0(VALU_DEP_1) | instskip(SKIP_2) | instid1(VALU_DEP_1)
	v_fmac_f32_e32 v77, v94, v74
	s_waitcnt_depctr 0xfff
	v_fmac_f32_e32 v77, v96, v75
	v_add_f32_e32 v74, 0x358637bd, v77
	s_delay_alu instid0(VALU_DEP_1) | instskip(SKIP_1) | instid1(VALU_DEP_2)
	v_div_scale_f32 v98, null, v74, v74, 1.0
	v_div_scale_f32 v99, vcc_lo, 1.0, v74, 1.0
	v_rcp_f32_e32 v103, v98
	s_waitcnt_depctr 0xfff
	v_fma_f32 v70, -v98, v103, 1.0
	s_delay_alu instid0(VALU_DEP_1) | instskip(SKIP_2) | instid1(VALU_DEP_2)
	v_fmac_f32_e32 v103, v70, v103
	v_cndmask_b32_e64 v70, v71, v101, s2
	v_cmp_eq_u32_e64 s2, 6, v69
	v_cndmask_b32_e64 v71, v70, v100, s3
	s_delay_alu instid0(VALU_DEP_4) | instskip(NEXT) | instid1(VALU_DEP_2)
	v_dual_mul_f32 v101, v99, v103 :: v_dual_lshlrev_b32 v70, 2, v66
	v_cndmask_b32_e64 v71, v71, v97, s4
	s_delay_alu instid0(VALU_DEP_2) | instskip(NEXT) | instid1(VALU_DEP_3)
	v_or_b32_e32 v72, 1, v70
	v_fma_f32 v100, -v98, v101, v99
	v_cmp_eq_u32_e64 s3, 1, v70
	v_cmp_eq_u32_e64 s4, 2, v70
	v_cndmask_b32_e64 v95, v71, v95, s5
	v_or_b32_e32 v71, 3, v70
	v_fmac_f32_e32 v101, v100, v103
	v_cmp_eq_u32_e64 s8, 1, v72
	v_cmp_eq_u32_e64 s11, 2, v72
	v_cndmask_b32_e64 v94, v95, v94, s2
	v_cmp_eq_u32_e64 s10, 1, v71
	v_fma_f32 v97, -v98, v101, v99
	v_cmp_eq_u32_e64 s15, 2, v71
	v_cmp_eq_u32_e64 s12, 3, v72
	v_cndmask_b32_e64 v94, v94, v96, s6
	v_cmp_eq_u32_e64 s17, 3, v71
	v_div_fmas_f32 v95, v97, v103, v101
	v_cmp_eq_u32_e32 vcc_lo, 3, v70
	v_cmp_eq_u32_e64 s2, 4, v70
	v_cmp_eq_u32_e64 s18, 4, v72
	;; [unrolled: 1-line block ×3, first 2 shown]
	v_div_fixup_f32 v95, v95, v74, 1.0
	v_lshlrev_b32_e32 v73, 6, v68
	v_cmp_eq_u32_e64 s5, 5, v70
	v_cmp_eq_u32_e64 s19, 5, v72
	;; [unrolled: 1-line block ×3, first 2 shown]
	v_mul_f32_e32 v102, v94, v95
	v_lshl_or_b32 v75, v69, 11, v73
	v_or_b32_e32 v69, 2, v70
	v_cmp_eq_u32_e64 s24, 6, v72
	v_cmp_eq_u32_e64 s26, 6, v71
	v_fma_mixlo_f16 v94, v102, v79, 0
	v_fma_mixlo_f16 v95, v102, v81, 0
	;; [unrolled: 1-line block ×8, first 2 shown]
	v_lshl_or_b32 v74, v66, 4, v75
	v_fma_mixhi_f16 v94, v102, v78, 0
	v_fma_mixhi_f16 v95, v102, v80, 0
	;; [unrolled: 1-line block ×8, first 2 shown]
	ds_store_b128 v74, v[94:97]
	ds_store_b128 v74, v[98:101] offset:1024
	s_waitcnt lgkmcnt(0)
	s_barrier
	buffer_gl0_inv
	ds_load_b128 v[78:81], v75
	ds_load_b128 v[82:85], v75 offset:16
	ds_load_b128 v[86:89], v75 offset:1024
	;; [unrolled: 1-line block ×3, first 2 shown]
	v_cmp_eq_u32_e64 s9, 1, v69
	v_cmp_eq_u32_e64 s13, 2, v69
	;; [unrolled: 1-line block ×11, first 2 shown]
	s_waitcnt lgkmcnt(3)
	v_lshrrev_b32_e32 v94, 16, v78
	s_waitcnt lgkmcnt(2)
	v_lshrrev_b32_e32 v98, 16, v82
	;; [unrolled: 2-line block ×4, first 2 shown]
	v_lshrrev_b32_e32 v95, 16, v79
	v_cndmask_b32_e64 v110, v78, v94, s3
	v_cndmask_b32_e64 v111, v82, v98, s3
	;; [unrolled: 1-line block ×8, first 2 shown]
	v_lshrrev_b32_e32 v99, 16, v83
	v_cndmask_b32_e64 v94, v86, v102, s3
	v_cndmask_b32_e64 v98, v90, v106, s3
	;; [unrolled: 1-line block ×15, first 2 shown]
	v_lshrrev_b32_e32 v103, 16, v87
	v_lshrrev_b32_e32 v107, 16, v91
	v_cndmask_b32_e64 v113, v115, v83, s13
	v_cndmask_b32_e64 v82, v94, v87, s4
	;; [unrolled: 1-line block ×7, first 2 shown]
	v_cndmask_b32_e32 v90, v102, v95, vcc_lo
	v_cndmask_b32_e32 v102, v106, v99, vcc_lo
	v_cndmask_b32_e64 v106, v110, v95, s12
	v_cndmask_b32_e64 v110, v111, v99, s12
	;; [unrolled: 1-line block ×4, first 2 shown]
	v_lshrrev_b32_e32 v96, 16, v80
	v_lshrrev_b32_e32 v100, 16, v84
	v_cndmask_b32_e64 v111, v112, v95, s16
	v_cndmask_b32_e64 v112, v113, v99, s16
	v_cndmask_b32_e32 v82, v82, v103, vcc_lo
	v_cndmask_b32_e32 v83, v83, v107, vcc_lo
	v_cndmask_b32_e64 v94, v94, v103, s12
	v_cndmask_b32_e64 v90, v90, v80, s2
	;; [unrolled: 1-line block ×7, first 2 shown]
	v_lshrrev_b32_e32 v104, 16, v88
	v_cndmask_b32_e64 v106, v111, v80, s20
	v_cndmask_b32_e64 v110, v112, v84, s20
	;; [unrolled: 1-line block ×11, first 2 shown]
	v_lshrrev_b32_e32 v97, 16, v81
	v_lshrrev_b32_e32 v101, 16, v85
	v_cndmask_b32_e64 v99, v106, v96, s22
	v_cndmask_b32_e64 v102, v110, v100, s22
	;; [unrolled: 1-line block ×7, first 2 shown]
	v_lshrrev_b32_e32 v105, 16, v89
	v_cndmask_b32_e64 v80, v80, v104, s5
	v_cndmask_b32_e64 v84, v84, v81, s6
	;; [unrolled: 1-line block ×16, first 2 shown]
	v_perm_b32 v81, v79, v78, 0x5040100
	v_perm_b32 v79, v95, v85, 0x5040100
	v_cndmask_b32_e64 v78, v119, v91, s13
	v_cndmask_b32_e64 v85, v117, v91, s11
	;; [unrolled: 1-line block ×3, first 2 shown]
	v_perm_b32 v80, v94, v90, 0x5040100
	v_cndmask_b32_e64 v90, v98, v103, s16
	v_cndmask_b32_e64 v86, v86, v103, s17
	;; [unrolled: 1-line block ×5, first 2 shown]
	v_lshrrev_b32_e32 v108, 16, v92
	v_cndmask_b32_e64 v90, v90, v88, s20
	v_cndmask_b32_e64 v86, v86, v88, s21
	;; [unrolled: 1-line block ×11, first 2 shown]
	v_lshrrev_b32_e32 v109, 16, v93
	v_cndmask_b32_e64 v82, v82, v93, s6
	v_cndmask_b32_e64 v88, v88, v89, s25
	;; [unrolled: 1-line block ×12, first 2 shown]
	v_perm_b32 v78, v84, v83, 0x5040100
	v_perm_b32 v85, v87, v86, 0x5040100
	;; [unrolled: 1-line block ×5, first 2 shown]
	s_mul_i32 s7, s33, 14
	s_mov_b32 s2, exec_lo
	ds_store_b128 v74, v[78:81]
	ds_store_b128 v74, v[82:85] offset:1024
	v_cmpx_gt_u32_e32 14, v0
	s_cbranch_execz .LBB1063_14
; %bb.13:
	s_mul_i32 s3, s7, s30
	s_load_b128 s[8:11], s[0:1], 0x58
	v_add3_u32 v68, s3, s31, v68
	s_delay_alu instid0(VALU_DEP_1) | instskip(NEXT) | instid1(VALU_DEP_1)
	v_mad_u64_u32 v[78:79], null, v68, s34, s[14:15]
	v_ashrrev_i32_e32 v79, 31, v78
	s_delay_alu instid0(VALU_DEP_1) | instskip(SKIP_1) | instid1(VALU_DEP_1)
	v_lshlrev_b64 v[78:79], 2, v[78:79]
	s_waitcnt lgkmcnt(0)
	v_add_co_u32 v80, vcc_lo, s10, v78
	s_delay_alu instid0(VALU_DEP_2)
	v_add_co_ci_u32_e32 v81, vcc_lo, s11, v79, vcc_lo
	v_add_co_u32 v78, vcc_lo, s8, v78
	v_add_co_ci_u32_e32 v79, vcc_lo, s9, v79, vcc_lo
	global_store_b32 v[80:81], v76, off
	global_store_b32 v[78:79], v77, off
.LBB1063_14:
	s_or_b32 exec_lo, exec_lo, s2
	s_waitcnt lgkmcnt(0)
	s_waitcnt_vscnt null, 0x0
	s_barrier
	buffer_gl0_inv
	ds_load_b128 v[84:87], v73
	ds_load_b128 v[88:91], v73 offset:16
	ds_load_b128 v[96:99], v73 offset:2064
	;; [unrolled: 1-line block ×5, first 2 shown]
	v_cmp_eq_u32_e32 vcc_lo, 1, v70
	v_mov_b32_e32 v76, 0
	ds_load_b128 v[112:115], v73 offset:6160
	ds_load_b128 v[108:111], v73 offset:6144
	;; [unrolled: 1-line block ×4, first 2 shown]
	v_cmp_eq_u32_e64 s3, 1, v69
	v_cmp_eq_u32_e64 s2, 1, v72
	;; [unrolled: 1-line block ×3, first 2 shown]
	v_mov_b32_e32 v77, v76
	v_mov_b32_e32 v78, v76
	;; [unrolled: 1-line block ×7, first 2 shown]
	v_cmp_eq_u32_e64 s5, 3, v72
	v_cmp_eq_u32_e64 s6, 7, v72
	s_waitcnt lgkmcnt(8)
	s_delay_alu instid0(VALU_DEP_3)
	v_wmma_f32_16x16x16_f16 v[76:83], v[49:56], v[84:91], v[76:83]
	ds_load_b128 v[53:56], v73 offset:10256
	ds_load_b128 v[49:52], v73 offset:10240
	s_waitcnt lgkmcnt(8)
	v_wmma_f32_16x16x16_f16 v[76:83], v[41:48], v[92:99], v[76:83]
	ds_load_b128 v[45:48], v73 offset:12304
	ds_load_b128 v[41:44], v73 offset:12288
	s_waitcnt lgkmcnt(8)
	;; [unrolled: 4-line block ×3, first 2 shown]
	s_barrier
	buffer_gl0_inv
	v_wmma_f32_16x16x16_f16 v[76:83], v[1:8], v[108:115], v[76:83]
	s_delay_alu instid0(VALU_DEP_1) | instskip(NEXT) | instid1(VALU_DEP_1)
	v_wmma_f32_16x16x16_f16 v[76:83], v[9:16], v[116:123], v[76:83]
	v_wmma_f32_16x16x16_f16 v[76:83], v[17:24], v[49:56], v[76:83]
	s_delay_alu instid0(VALU_DEP_1) | instskip(NEXT) | instid1(VALU_DEP_1)
	v_wmma_f32_16x16x16_f16 v[76:83], v[25:32], v[41:48], v[76:83]
	v_wmma_f32_16x16x16_f16 v[76:83], v[57:64], v[33:40], v[76:83]
	s_delay_alu instid0(VALU_DEP_1) | instskip(NEXT) | instid1(VALU_DEP_2)
	v_cvt_f16_f32_e32 v1, v76
	v_cvt_f16_f32_e32 v2, v77
	s_delay_alu instid0(VALU_DEP_3) | instskip(NEXT) | instid1(VALU_DEP_4)
	v_cvt_f16_f32_e32 v3, v78
	v_cvt_f16_f32_e32 v4, v79
	;; [unrolled: 1-line block ×6, first 2 shown]
	v_pack_b32_f16 v1, v1, v2
	v_pack_b32_f16 v2, v3, v4
	;; [unrolled: 1-line block ×3, first 2 shown]
	s_delay_alu instid0(VALU_DEP_4)
	v_pack_b32_f16 v4, v7, v8
	ds_store_b128 v74, v[1:4]
	s_waitcnt lgkmcnt(0)
	s_barrier
	buffer_gl0_inv
	ds_load_b128 v[1:4], v75
	ds_load_b128 v[5:8], v75 offset:16
	s_waitcnt lgkmcnt(1)
	v_lshrrev_b32_e32 v9, 16, v1
	s_waitcnt lgkmcnt(0)
	v_lshrrev_b32_e32 v13, 16, v5
	v_lshrrev_b32_e32 v10, 16, v2
	;; [unrolled: 1-line block ×4, first 2 shown]
	v_cndmask_b32_e32 v17, v1, v9, vcc_lo
	v_cndmask_b32_e32 v18, v5, v13, vcc_lo
	v_cndmask_b32_e64 v21, v1, v9, s3
	v_cmp_eq_u32_e32 vcc_lo, 1, v71
	v_cndmask_b32_e64 v22, v5, v13, s3
	v_cmp_eq_u32_e64 s3, 2, v70
	v_cndmask_b32_e64 v19, v1, v9, s2
	v_cndmask_b32_e64 v20, v5, v13, s2
	v_cndmask_b32_e32 v1, v1, v9, vcc_lo
	v_cmp_eq_u32_e64 s2, 2, v71
	v_cndmask_b32_e32 v5, v5, v13, vcc_lo
	v_cndmask_b32_e64 v9, v17, v2, s3
	v_cmp_eq_u32_e32 vcc_lo, 3, v70
	v_cndmask_b32_e64 v13, v18, v6, s3
	v_cmp_eq_u32_e64 s3, 2, v69
	v_cndmask_b32_e64 v17, v19, v2, s4
	v_cndmask_b32_e64 v18, v20, v6, s4
	v_cmp_eq_u32_e64 s4, 3, v69
	v_cndmask_b32_e64 v1, v1, v2, s2
	v_cndmask_b32_e64 v19, v21, v2, s3
	v_cndmask_b32_e64 v20, v22, v6, s3
	v_cndmask_b32_e64 v2, v5, v6, s2
	v_cndmask_b32_e32 v5, v9, v10, vcc_lo
	v_cndmask_b32_e32 v6, v13, v14, vcc_lo
	v_cmp_eq_u32_e32 vcc_lo, 3, v71
	v_cndmask_b32_e64 v9, v17, v10, s5
	v_cndmask_b32_e64 v13, v18, v14, s5
	;; [unrolled: 1-line block ×3, first 2 shown]
	v_cmp_eq_u32_e64 s3, 4, v70
	v_cndmask_b32_e32 v1, v1, v10, vcc_lo
	v_cndmask_b32_e32 v2, v2, v14, vcc_lo
	v_cmp_eq_u32_e32 vcc_lo, 4, v72
	v_lshrrev_b32_e32 v15, 16, v7
	v_lshrrev_b32_e32 v16, 16, v8
	v_cndmask_b32_e64 v17, v19, v10, s4
	v_cmp_eq_u32_e64 s2, 4, v71
	v_cndmask_b32_e64 v5, v5, v3, s3
	v_cndmask_b32_e64 v6, v6, v7, s3
	v_cndmask_b32_e32 v9, v9, v3, vcc_lo
	v_cmp_eq_u32_e64 s3, 5, v72
	v_cndmask_b32_e32 v10, v13, v7, vcc_lo
	v_cmp_eq_u32_e32 vcc_lo, 4, v69
	v_cmp_eq_u32_e64 s4, 5, v70
	v_cndmask_b32_e64 v2, v2, v7, s2
	v_cndmask_b32_e64 v9, v9, v11, s3
	;; [unrolled: 1-line block ×3, first 2 shown]
	v_cndmask_b32_e32 v13, v17, v3, vcc_lo
	v_cmp_eq_u32_e64 s3, 5, v69
	v_cndmask_b32_e32 v14, v18, v7, vcc_lo
	v_cndmask_b32_e64 v1, v1, v3, s2
	v_cmp_eq_u32_e32 vcc_lo, 5, v71
	v_lshrrev_b32_e32 v12, 16, v4
	v_cndmask_b32_e64 v13, v13, v11, s3
	v_cndmask_b32_e64 v3, v14, v15, s3
	v_cmp_eq_u32_e64 s3, 6, v71
	v_cndmask_b32_e32 v1, v1, v11, vcc_lo
	v_cndmask_b32_e64 v5, v5, v11, s4
	v_cmp_eq_u32_e64 s5, 6, v70
	v_cndmask_b32_e64 v6, v6, v15, s4
	v_cmp_eq_u32_e64 s4, 6, v72
	v_cmp_eq_u32_e64 s2, 6, v69
	v_cndmask_b32_e64 v1, v1, v4, s3
	v_cndmask_b32_e32 v2, v2, v15, vcc_lo
	v_cmp_eq_u32_e32 vcc_lo, 7, v71
	v_cndmask_b32_e64 v5, v5, v4, s5
	v_cndmask_b32_e64 v9, v9, v4, s4
	;; [unrolled: 1-line block ×3, first 2 shown]
	v_cmp_eq_u32_e64 s5, 7, v70
	v_cndmask_b32_e32 v1, v1, v12, vcc_lo
	v_cndmask_b32_e64 v7, v13, v4, s2
	v_cndmask_b32_e64 v3, v3, v8, s2
	;; [unrolled: 1-line block ×3, first 2 shown]
	v_cmp_eq_u32_e64 s2, 7, v69
	v_cndmask_b32_e64 v4, v10, v8, s4
	v_cndmask_b32_e64 v5, v5, v12, s5
	;; [unrolled: 1-line block ×3, first 2 shown]
	v_cndmask_b32_e32 v2, v2, v16, vcc_lo
	v_cndmask_b32_e64 v7, v7, v12, s2
	v_cndmask_b32_e64 v3, v3, v16, s2
	;; [unrolled: 1-line block ×4, first 2 shown]
	v_perm_b32 v4, v2, v1, 0x5040100
	s_mov_b32 s2, exec_lo
	v_perm_b32 v3, v3, v7, 0x5040100
	v_perm_b32 v2, v8, v9, 0x5040100
	;; [unrolled: 1-line block ×3, first 2 shown]
	ds_store_b128 v74, v[1:4]
	s_waitcnt lgkmcnt(0)
	s_barrier
	buffer_gl0_inv
	v_cmpx_gt_u32_e32 32, v0
	s_cbranch_execz .LBB1063_2
; %bb.15:
	s_load_b64 s[0:1], s[0:1], 0x68
	v_lshlrev_b32_e32 v0, 10, v0
	s_lshl_b32 s4, s34, 7
	v_or_b32_e32 v3, s31, v66
	s_mul_i32 s2, s4, s30
	v_lshlrev_b32_e32 v1, 4, v67
	v_lshlrev_b32_e32 v2, 6, v66
	v_and_b32_e32 v0, 0x3800, v0
	s_mul_i32 s2, s2, s7
	v_mul_lo_u32 v8, v3, s4
	s_ashr_i32 s3, s2, 31
	s_delay_alu instid0(SALU_CYCLE_1)
	s_lshl_b64 s[2:3], s[2:3], 1
	v_or3_b32 v16, v0, v1, v2
	ds_load_b128 v[0:3], v16
	ds_load_b128 v[4:7], v16 offset:128
	v_ashrrev_i32_e32 v9, 31, v8
	s_waitcnt lgkmcnt(0)
	s_add_u32 s2, s0, s2
	s_addc_u32 s3, s1, s3
	s_lshl_b32 s0, s14, 7
	s_delay_alu instid0(SALU_CYCLE_1) | instskip(SKIP_2) | instid1(SALU_CYCLE_1)
	s_ashr_i32 s1, s0, 31
	v_lshlrev_b64 v[9:10], 1, v[8:9]
	s_lshl_b64 s[0:1], s[0:1], 1
	s_add_u32 s0, s2, s0
	s_addc_u32 s1, s3, s1
	s_lshl_b32 s2, s34, 8
	v_add_co_u32 v30, s0, s0, v65
	v_add_nc_u32_e32 v11, s2, v8
	v_add_co_ci_u32_e64 v31, null, s1, 0, s0
	s_delay_alu instid0(VALU_DEP_3) | instskip(NEXT) | instid1(VALU_DEP_3)
	v_add_co_u32 v9, vcc_lo, v30, v9
	v_add_nc_u32_e32 v8, s2, v11
	s_delay_alu instid0(VALU_DEP_3) | instskip(SKIP_1) | instid1(VALU_DEP_3)
	v_add_co_ci_u32_e32 v10, vcc_lo, v31, v10, vcc_lo
	v_ashrrev_i32_e32 v12, 31, v11
	v_add_nc_u32_e32 v13, s2, v8
	global_store_b128 v[9:10], v[0:3], off
	v_ashrrev_i32_e32 v9, 31, v8
	v_lshlrev_b64 v[11:12], 1, v[11:12]
	v_ashrrev_i32_e32 v14, 31, v13
	v_add_nc_u32_e32 v10, s2, v13
	s_delay_alu instid0(VALU_DEP_4) | instskip(NEXT) | instid1(VALU_DEP_4)
	v_lshlrev_b64 v[2:3], 1, v[8:9]
	v_add_co_u32 v0, vcc_lo, v30, v11
	s_delay_alu instid0(VALU_DEP_4)
	v_lshlrev_b64 v[8:9], 1, v[13:14]
	v_add_co_ci_u32_e32 v1, vcc_lo, v31, v12, vcc_lo
	v_ashrrev_i32_e32 v11, 31, v10
	v_add_co_u32 v22, vcc_lo, v30, v2
	v_add_nc_u32_e32 v20, s2, v10
	v_add_co_ci_u32_e32 v23, vcc_lo, v31, v3, vcc_lo
	v_add_co_u32 v24, vcc_lo, v30, v8
	global_store_b128 v[0:1], v[4:7], off
	v_add_co_ci_u32_e32 v25, vcc_lo, v31, v9, vcc_lo
	ds_load_b128 v[0:3], v16 offset:256
	ds_load_b128 v[4:7], v16 offset:384
	v_lshlrev_b64 v[26:27], 1, v[10:11]
	ds_load_b128 v[8:11], v16 offset:512
	ds_load_b128 v[12:15], v16 offset:640
	;; [unrolled: 1-line block ×3, first 2 shown]
	v_add_nc_u32_e32 v28, s2, v20
	v_ashrrev_i32_e32 v21, 31, v20
	v_add_co_u32 v26, vcc_lo, v30, v26
	s_delay_alu instid0(VALU_DEP_3) | instskip(NEXT) | instid1(VALU_DEP_3)
	v_ashrrev_i32_e32 v29, 31, v28
	v_lshlrev_b64 v[20:21], 1, v[20:21]
	v_add_co_ci_u32_e32 v27, vcc_lo, v31, v27, vcc_lo
	s_delay_alu instid0(VALU_DEP_3) | instskip(NEXT) | instid1(VALU_DEP_3)
	v_lshlrev_b64 v[28:29], 1, v[28:29]
	v_add_co_u32 v20, vcc_lo, v30, v20
	s_delay_alu instid0(VALU_DEP_4) | instskip(NEXT) | instid1(VALU_DEP_3)
	v_add_co_ci_u32_e32 v21, vcc_lo, v31, v21, vcc_lo
	v_add_co_u32 v28, vcc_lo, v30, v28
	s_delay_alu instid0(VALU_DEP_4)
	v_add_co_ci_u32_e32 v29, vcc_lo, v31, v29, vcc_lo
	s_waitcnt lgkmcnt(4)
	global_store_b128 v[22:23], v[0:3], off
	s_waitcnt lgkmcnt(3)
	global_store_b128 v[24:25], v[4:7], off
	s_waitcnt lgkmcnt(2)
	global_store_b128 v[26:27], v[8:11], off
	s_waitcnt lgkmcnt(1)
	global_store_b128 v[20:21], v[12:15], off
	s_waitcnt lgkmcnt(0)
	global_store_b128 v[28:29], v[16:19], off
	s_nop 0
	s_sendmsg sendmsg(MSG_DEALLOC_VGPRS)
	s_endpgm
	.section	.rodata,"a",@progbits
	.p2align	6, 0x0
	.amdhsa_kernel _Z39paged_attention_ll4mi_QKV_mfma16_kernelIDF16_hLN4vllm18Fp8KVCacheDataTypeE1EDF16_Li32ELi128ELi256ELb1ELi14EL8MFMAType1EEvPKT_PKT0_S8_ifPKiSA_SA_iPKfiiiPfSD_PS3_PT2_iSC_SC_
		.amdhsa_group_segment_fixed_size 17472
		.amdhsa_private_segment_fixed_size 0
		.amdhsa_kernarg_size 400
		.amdhsa_user_sgpr_count 13
		.amdhsa_user_sgpr_dispatch_ptr 0
		.amdhsa_user_sgpr_queue_ptr 0
		.amdhsa_user_sgpr_kernarg_segment_ptr 1
		.amdhsa_user_sgpr_dispatch_id 0
		.amdhsa_user_sgpr_private_segment_size 0
		.amdhsa_wavefront_size32 1
		.amdhsa_uses_dynamic_stack 0
		.amdhsa_enable_private_segment 0
		.amdhsa_system_sgpr_workgroup_id_x 1
		.amdhsa_system_sgpr_workgroup_id_y 1
		.amdhsa_system_sgpr_workgroup_id_z 1
		.amdhsa_system_sgpr_workgroup_info 0
		.amdhsa_system_vgpr_workitem_id 0
		.amdhsa_next_free_vgpr 150
		.amdhsa_next_free_sgpr 37
		.amdhsa_reserve_vcc 1
		.amdhsa_float_round_mode_32 0
		.amdhsa_float_round_mode_16_64 0
		.amdhsa_float_denorm_mode_32 3
		.amdhsa_float_denorm_mode_16_64 3
		.amdhsa_dx10_clamp 1
		.amdhsa_ieee_mode 1
		.amdhsa_fp16_overflow 0
		.amdhsa_workgroup_processor_mode 1
		.amdhsa_memory_ordered 1
		.amdhsa_forward_progress 0
		.amdhsa_shared_vgpr_count 0
		.amdhsa_exception_fp_ieee_invalid_op 0
		.amdhsa_exception_fp_denorm_src 0
		.amdhsa_exception_fp_ieee_div_zero 0
		.amdhsa_exception_fp_ieee_overflow 0
		.amdhsa_exception_fp_ieee_underflow 0
		.amdhsa_exception_fp_ieee_inexact 0
		.amdhsa_exception_int_div_zero 0
	.end_amdhsa_kernel
	.section	.text._Z39paged_attention_ll4mi_QKV_mfma16_kernelIDF16_hLN4vllm18Fp8KVCacheDataTypeE1EDF16_Li32ELi128ELi256ELb1ELi14EL8MFMAType1EEvPKT_PKT0_S8_ifPKiSA_SA_iPKfiiiPfSD_PS3_PT2_iSC_SC_,"axG",@progbits,_Z39paged_attention_ll4mi_QKV_mfma16_kernelIDF16_hLN4vllm18Fp8KVCacheDataTypeE1EDF16_Li32ELi128ELi256ELb1ELi14EL8MFMAType1EEvPKT_PKT0_S8_ifPKiSA_SA_iPKfiiiPfSD_PS3_PT2_iSC_SC_,comdat
.Lfunc_end1063:
	.size	_Z39paged_attention_ll4mi_QKV_mfma16_kernelIDF16_hLN4vllm18Fp8KVCacheDataTypeE1EDF16_Li32ELi128ELi256ELb1ELi14EL8MFMAType1EEvPKT_PKT0_S8_ifPKiSA_SA_iPKfiiiPfSD_PS3_PT2_iSC_SC_, .Lfunc_end1063-_Z39paged_attention_ll4mi_QKV_mfma16_kernelIDF16_hLN4vllm18Fp8KVCacheDataTypeE1EDF16_Li32ELi128ELi256ELb1ELi14EL8MFMAType1EEvPKT_PKT0_S8_ifPKiSA_SA_iPKfiiiPfSD_PS3_PT2_iSC_SC_
                                        ; -- End function
	.section	.AMDGPU.csdata,"",@progbits
; Kernel info:
; codeLenInByte = 6808
; NumSgprs: 39
; NumVgprs: 150
; ScratchSize: 0
; MemoryBound: 0
; FloatMode: 240
; IeeeMode: 1
; LDSByteSize: 17472 bytes/workgroup (compile time only)
; SGPRBlocks: 4
; VGPRBlocks: 18
; NumSGPRsForWavesPerEU: 39
; NumVGPRsForWavesPerEU: 150
; Occupancy: 9
; WaveLimiterHint : 1
; COMPUTE_PGM_RSRC2:SCRATCH_EN: 0
; COMPUTE_PGM_RSRC2:USER_SGPR: 13
; COMPUTE_PGM_RSRC2:TRAP_HANDLER: 0
; COMPUTE_PGM_RSRC2:TGID_X_EN: 1
; COMPUTE_PGM_RSRC2:TGID_Y_EN: 1
; COMPUTE_PGM_RSRC2:TGID_Z_EN: 1
; COMPUTE_PGM_RSRC2:TIDIG_COMP_CNT: 0
	.section	.text._Z39paged_attention_ll4mi_QKV_mfma16_kernelIDF16_hLN4vllm18Fp8KVCacheDataTypeE1EDF16_Li32ELi128ELi256ELb1ELi15EL8MFMAType1EEvPKT_PKT0_S8_ifPKiSA_SA_iPKfiiiPfSD_PS3_PT2_iSC_SC_,"axG",@progbits,_Z39paged_attention_ll4mi_QKV_mfma16_kernelIDF16_hLN4vllm18Fp8KVCacheDataTypeE1EDF16_Li32ELi128ELi256ELb1ELi15EL8MFMAType1EEvPKT_PKT0_S8_ifPKiSA_SA_iPKfiiiPfSD_PS3_PT2_iSC_SC_,comdat
	.protected	_Z39paged_attention_ll4mi_QKV_mfma16_kernelIDF16_hLN4vllm18Fp8KVCacheDataTypeE1EDF16_Li32ELi128ELi256ELb1ELi15EL8MFMAType1EEvPKT_PKT0_S8_ifPKiSA_SA_iPKfiiiPfSD_PS3_PT2_iSC_SC_ ; -- Begin function _Z39paged_attention_ll4mi_QKV_mfma16_kernelIDF16_hLN4vllm18Fp8KVCacheDataTypeE1EDF16_Li32ELi128ELi256ELb1ELi15EL8MFMAType1EEvPKT_PKT0_S8_ifPKiSA_SA_iPKfiiiPfSD_PS3_PT2_iSC_SC_
	.globl	_Z39paged_attention_ll4mi_QKV_mfma16_kernelIDF16_hLN4vllm18Fp8KVCacheDataTypeE1EDF16_Li32ELi128ELi256ELb1ELi15EL8MFMAType1EEvPKT_PKT0_S8_ifPKiSA_SA_iPKfiiiPfSD_PS3_PT2_iSC_SC_
	.p2align	8
	.type	_Z39paged_attention_ll4mi_QKV_mfma16_kernelIDF16_hLN4vllm18Fp8KVCacheDataTypeE1EDF16_Li32ELi128ELi256ELb1ELi15EL8MFMAType1EEvPKT_PKT0_S8_ifPKiSA_SA_iPKfiiiPfSD_PS3_PT2_iSC_SC_,@function
_Z39paged_attention_ll4mi_QKV_mfma16_kernelIDF16_hLN4vllm18Fp8KVCacheDataTypeE1EDF16_Li32ELi128ELi256ELb1ELi15EL8MFMAType1EEvPKT_PKT0_S8_ifPKiSA_SA_iPKfiiiPfSD_PS3_PT2_iSC_SC_: ; @_Z39paged_attention_ll4mi_QKV_mfma16_kernelIDF16_hLN4vllm18Fp8KVCacheDataTypeE1EDF16_Li32ELi128ELi256ELb1ELi15EL8MFMAType1EEvPKT_PKT0_S8_ifPKiSA_SA_iPKfiiiPfSD_PS3_PT2_iSC_SC_
; %bb.0:
	s_load_b64 s[4:5], s[0:1], 0x30
	s_mov_b32 s34, s13
	s_waitcnt lgkmcnt(0)
	s_cmp_lg_u64 s[4:5], 0
	s_cselect_b32 s8, -1, 0
	s_ashr_i32 s35, s13, 31
	s_cmp_eq_u64 s[4:5], 0
	s_cbranch_scc1 .LBB1064_3
; %bb.1:
	s_lshl_b64 s[2:3], s[34:35], 2
	s_delay_alu instid0(SALU_CYCLE_1) | instskip(SKIP_4) | instid1(SALU_CYCLE_1)
	s_add_u32 s2, s4, s2
	s_addc_u32 s3, s5, s3
	s_load_b64 s[2:3], s[2:3], 0x0
	s_waitcnt lgkmcnt(0)
	s_sub_i32 s2, s3, s2
	s_cmp_eq_u32 s2, 1
	s_cselect_b32 s2, -1, 0
	s_delay_alu instid0(SALU_CYCLE_1)
	s_and_not1_b32 vcc_lo, exec_lo, s2
	s_cbranch_vccz .LBB1064_4
.LBB1064_2:
	s_nop 0
	s_sendmsg sendmsg(MSG_DEALLOC_VGPRS)
	s_endpgm
.LBB1064_3:
.LBB1064_4:
	s_load_b64 s[2:3], s[0:1], 0x28
	s_lshl_b64 s[6:7], s[34:35], 2
	s_waitcnt lgkmcnt(0)
	s_add_u32 s2, s2, s6
	s_addc_u32 s3, s3, s7
	s_lshl_b32 s12, s14, 8
	s_load_b32 s24, s[2:3], 0x0
	s_waitcnt lgkmcnt(0)
	s_cmp_ge_i32 s12, s24
	s_cbranch_scc1 .LBB1064_2
; %bb.5:
	s_clause 0x1
	s_load_b128 s[20:23], s[0:1], 0x8
	s_load_b64 s[2:3], s[0:1], 0x20
	s_and_not1_b32 vcc_lo, exec_lo, s8
	s_cbranch_vccnz .LBB1064_7
; %bb.6:
	s_add_u32 s4, s4, s6
	s_addc_u32 s5, s5, s7
	s_load_b32 s5, s[4:5], 0x0
	s_branch .LBB1064_8
.LBB1064_7:
	s_mov_b32 s5, s34
.LBB1064_8:
	s_load_b128 s[16:19], s[0:1], 0x48
	v_and_b32_e32 v68, 15, v0
	v_lshrrev_b32_e32 v69, 5, v0
	v_bfe_u32 v66, v0, 4, 1
	v_and_b32_e32 v70, 31, v0
	v_and_b32_e32 v67, 1, v0
	v_lshlrev_b32_e32 v2, 3, v68
	s_mul_i32 s31, s15, 15
	v_lshl_or_b32 v1, v69, 1, v66
	s_mov_b32 s4, exec_lo
	s_delay_alu instid0(VALU_DEP_2) | instskip(NEXT) | instid1(VALU_DEP_2)
	v_lshlrev_b32_e32 v65, 1, v2
	v_cmpx_gt_u32_e32 15, v1
	s_cbranch_execz .LBB1064_10
; %bb.9:
	s_load_b64 s[6:7], s[0:1], 0x0
	v_add_lshl_u32 v2, v1, s31, 7
	s_waitcnt lgkmcnt(0)
	s_mul_hi_i32 s9, s5, s16
	s_mul_i32 s8, s5, s16
	v_lshlrev_b32_e32 v6, 10, v68
	s_lshl_b64 s[8:9], s[8:9], 1
	v_ashrrev_i32_e32 v3, 31, v2
	v_lshlrev_b32_e32 v1, 6, v1
	v_lshlrev_b32_e32 v7, 10, v67
	v_and_b32_e32 v6, 0x3800, v6
	s_delay_alu instid0(VALU_DEP_4) | instskip(NEXT) | instid1(VALU_DEP_2)
	v_lshlrev_b64 v[2:3], 1, v[2:3]
	v_or3_b32 v1, v6, v7, v1
	s_add_u32 s5, s6, s8
	s_addc_u32 s6, s7, s9
	s_delay_alu instid0(VALU_DEP_2) | instskip(NEXT) | instid1(VALU_DEP_3)
	v_add_co_u32 v2, vcc_lo, s5, v2
	v_add_co_ci_u32_e32 v3, vcc_lo, s6, v3, vcc_lo
	s_delay_alu instid0(VALU_DEP_2) | instskip(NEXT) | instid1(VALU_DEP_2)
	v_add_co_u32 v2, vcc_lo, v2, v65
	v_add_co_ci_u32_e32 v3, vcc_lo, 0, v3, vcc_lo
	global_load_b128 v[2:5], v[2:3], off
	s_waitcnt vmcnt(0)
	ds_store_b128 v1, v[2:5]
.LBB1064_10:
	s_or_b32 exec_lo, exec_lo, s4
	v_and_b32_e32 v1, 0xef, v0
	s_waitcnt lgkmcnt(0)
	s_add_i32 s5, s24, 31
	s_clause 0x1
	s_load_b32 s4, s[0:1], 0x38
	s_load_b32 s33, s[0:1], 0x98
	s_ashr_i32 s6, s5, 31
	v_add_nc_u32_e32 v1, s12, v1
	s_lshr_b32 s6, s6, 27
	s_load_b32 s19, s[0:1], 0x1c
	s_add_i32 s5, s5, s6
	s_waitcnt lgkmcnt(0)
	v_ashrrev_i32_e32 v2, 31, v1
	v_or_b32_e32 v3, 16, v1
	s_ashr_i32 s13, s5, 5
	v_cmp_gt_i32_e32 vcc_lo, s24, v1
	s_add_i32 s13, s13, -1
	v_lshrrev_b32_e32 v2, 27, v2
	s_barrier
	buffer_gl0_inv
	s_mul_i32 s15, s15, s18
	v_add_nc_u32_e32 v4, v1, v2
	s_mul_i32 s4, s34, s4
	s_delay_alu instid0(SALU_CYCLE_1) | instskip(NEXT) | instid1(VALU_DEP_1)
	s_ashr_i32 s5, s4, 31
	v_ashrrev_i32_e32 v4, 5, v4
	v_add_nc_u32_e32 v2, v3, v2
	s_lshl_b64 s[4:5], s[4:5], 2
	s_delay_alu instid0(SALU_CYCLE_1) | instskip(NEXT) | instid1(VALU_DEP_2)
	s_add_u32 s16, s2, s4
	v_cndmask_b32_e32 v1, s13, v4, vcc_lo
	s_delay_alu instid0(VALU_DEP_2)
	v_ashrrev_i32_e32 v2, 5, v2
	v_cmp_gt_i32_e32 vcc_lo, s24, v3
	s_addc_u32 s25, s3, s5
	s_ashr_i32 s18, s15, 31
	s_add_u32 s2, s20, s15
	s_addc_u32 s3, s21, s18
	v_cndmask_b32_e32 v3, s13, v2, vcc_lo
	v_ashrrev_i32_e32 v2, 31, v1
	s_lshl_b32 s4, s14, 3
	s_delay_alu instid0(SALU_CYCLE_1) | instskip(NEXT) | instid1(VALU_DEP_2)
	s_ashr_i32 s5, s4, 31
	v_ashrrev_i32_e32 v4, 31, v3
	s_delay_alu instid0(VALU_DEP_2) | instskip(SKIP_1) | instid1(SALU_CYCLE_1)
	v_lshlrev_b64 v[1:2], 2, v[1:2]
	s_lshl_b64 s[4:5], s[4:5], 2
	s_add_u32 s4, s16, s4
	s_delay_alu instid0(VALU_DEP_2) | instskip(SKIP_1) | instid1(VALU_DEP_2)
	v_lshlrev_b64 v[3:4], 2, v[3:4]
	s_addc_u32 s5, s25, s5
	v_add_co_u32 v1, vcc_lo, s16, v1
	v_add_co_ci_u32_e32 v2, vcc_lo, s25, v2, vcc_lo
	s_delay_alu instid0(VALU_DEP_3) | instskip(NEXT) | instid1(VALU_DEP_4)
	v_add_co_u32 v3, vcc_lo, s16, v3
	v_add_co_ci_u32_e32 v4, vcc_lo, s25, v4, vcc_lo
	s_clause 0x1
	global_load_b32 v5, v[1:2], off
	global_load_b32 v6, v[3:4], off
	s_or_b32 s6, s12, 32
	s_delay_alu instid0(SALU_CYCLE_1) | instskip(SKIP_2) | instid1(SALU_CYCLE_1)
	s_ashr_i32 s7, s6, 5
	s_cmp_lt_i32 s6, s24
	s_cselect_b32 s6, s7, s13
	s_ashr_i32 s7, s6, 31
	s_delay_alu instid0(SALU_CYCLE_1) | instskip(NEXT) | instid1(SALU_CYCLE_1)
	s_lshl_b64 s[6:7], s[6:7], 2
	s_add_u32 s6, s16, s6
	s_addc_u32 s7, s25, s7
	s_or_b32 s8, s12, 64
	s_delay_alu instid0(SALU_CYCLE_1) | instskip(SKIP_2) | instid1(SALU_CYCLE_1)
	s_ashr_i32 s9, s8, 5
	s_cmp_lt_i32 s8, s24
	s_cselect_b32 s8, s9, s13
	s_ashr_i32 s9, s8, 31
	s_delay_alu instid0(SALU_CYCLE_1) | instskip(NEXT) | instid1(SALU_CYCLE_1)
	s_lshl_b64 s[8:9], s[8:9], 2
	s_add_u32 s8, s16, s8
	s_addc_u32 s9, s25, s9
	s_or_b32 s10, s12, 0x60
	s_delay_alu instid0(SALU_CYCLE_1) | instskip(SKIP_2) | instid1(SALU_CYCLE_1)
	s_ashr_i32 s11, s10, 5
	s_cmp_lt_i32 s10, s24
	s_cselect_b32 s10, s11, s13
	s_ashr_i32 s11, s10, 31
	s_delay_alu instid0(SALU_CYCLE_1) | instskip(NEXT) | instid1(SALU_CYCLE_1)
	s_lshl_b64 s[10:11], s[10:11], 2
	s_add_u32 s10, s16, s10
	s_addc_u32 s11, s25, s11
	s_or_b32 s20, s12, 0x80
	s_delay_alu instid0(SALU_CYCLE_1) | instskip(SKIP_2) | instid1(SALU_CYCLE_1)
	s_ashr_i32 s21, s20, 5
	s_cmp_lt_i32 s20, s24
	s_cselect_b32 s20, s21, s13
	s_ashr_i32 s21, s20, 31
	s_delay_alu instid0(SALU_CYCLE_1) | instskip(NEXT) | instid1(SALU_CYCLE_1)
	s_lshl_b64 s[20:21], s[20:21], 2
	s_add_u32 s20, s16, s20
	s_addc_u32 s21, s25, s21
	s_or_b32 s26, s12, 0xa0
	s_delay_alu instid0(SALU_CYCLE_1) | instskip(SKIP_2) | instid1(SALU_CYCLE_1)
	s_ashr_i32 s27, s26, 5
	s_cmp_lt_i32 s26, s24
	s_cselect_b32 s26, s27, s13
	s_ashr_i32 s27, s26, 31
	s_delay_alu instid0(SALU_CYCLE_1) | instskip(NEXT) | instid1(SALU_CYCLE_1)
	s_lshl_b64 s[26:27], s[26:27], 2
	s_add_u32 s26, s16, s26
	s_addc_u32 s27, s25, s27
	s_clause 0x5
	s_load_b32 s28, s[4:5], 0x0
	s_load_b32 s29, s[6:7], 0x0
	;; [unrolled: 1-line block ×6, first 2 shown]
	s_mov_b32 s4, 0
	s_delay_alu instid0(SALU_CYCLE_1)
	s_mov_b32 s5, s4
	s_mov_b32 s6, s4
	s_mov_b32 s7, s4
	s_mov_b32 s8, s4
	s_mov_b32 s9, s4
	s_mov_b32 s10, s4
	s_mov_b32 s11, s4
	s_delay_alu instid0(SALU_CYCLE_1)
	v_dual_mov_b32 v118, s11 :: v_dual_mov_b32 v117, s10
	v_dual_mov_b32 v116, s9 :: v_dual_mov_b32 v115, s8
	v_mov_b32_e32 v113, s6
	v_dual_mov_b32 v111, s4 :: v_dual_mov_b32 v114, s7
	v_mov_b32_e32 v112, s5
	s_waitcnt vmcnt(1)
	v_mad_i64_i32 v[1:2], null, v5, s17, s[2:3]
	v_lshlrev_b32_e32 v5, 4, v68
	s_waitcnt vmcnt(0)
	v_mad_i64_i32 v[3:4], null, v6, s17, s[2:3]
	s_or_b32 s2, s12, 0xc0
	s_delay_alu instid0(SALU_CYCLE_1) | instskip(NEXT) | instid1(VALU_DEP_3)
	s_ashr_i32 s3, s2, 5
	v_add_co_u32 v1, vcc_lo, v1, v5
	s_delay_alu instid0(VALU_DEP_4) | instskip(NEXT) | instid1(VALU_DEP_3)
	v_add_co_ci_u32_e32 v2, vcc_lo, 0, v2, vcc_lo
	v_add_co_u32 v3, vcc_lo, v3, v5
	s_delay_alu instid0(VALU_DEP_4)
	v_add_co_ci_u32_e32 v4, vcc_lo, 0, v4, vcc_lo
	s_clause 0xf
	global_load_b128 v[17:20], v[1:2], off
	global_load_b128 v[21:24], v[1:2], off offset:512
	global_load_b128 v[25:28], v[3:4], off offset:256
	;; [unrolled: 1-line block ×15, first 2 shown]
	s_cmp_lt_i32 s2, s24
	v_cmp_ne_u32_e32 vcc_lo, 15, v68
	s_cselect_b32 s2, s3, s13
	v_lshlrev_b32_e32 v2, 5, v68
	s_ashr_i32 s3, s2, 31
	s_delay_alu instid0(SALU_CYCLE_1) | instskip(SKIP_4) | instid1(SALU_CYCLE_1)
	s_lshl_b64 s[2:3], s[2:3], 2
	v_cndmask_b32_e32 v1, 0, v68, vcc_lo
	s_add_u32 s2, s16, s2
	s_addc_u32 s3, s25, s3
	s_or_b32 s20, s12, 0xe0
	s_ashr_i32 s21, s20, 5
	s_cmp_lt_i32 s20, s24
	v_lshlrev_b32_e32 v149, 6, v1
	s_cselect_b32 s20, s21, s13
	v_lshl_or_b32 v1, v69, 9, v2
	s_ashr_i32 s21, s20, 31
	ds_load_b128 v[119:122], v149
	ds_load_b128 v[123:126], v149 offset:1024
	s_lshl_b64 s[4:5], s[20:21], 2
	ds_load_b128 v[127:130], v149 offset:2048
	ds_load_b128 v[131:134], v149 offset:3072
	s_add_u32 s4, s16, s4
	s_addc_u32 s5, s25, s5
	s_clause 0x1
	s_load_b32 s2, s[2:3], 0x0
	s_load_b32 s3, s[4:5], 0x0
	s_add_u32 s6, s22, s15
	s_addc_u32 s7, s23, s18
	v_add_co_u32 v135, s6, s6, v1
	s_delay_alu instid0(VALU_DEP_1) | instskip(SKIP_1) | instid1(VALU_DEP_1)
	v_add_co_ci_u32_e64 v136, null, s7, 0, s6
	s_waitcnt lgkmcnt(0)
	v_mad_i64_i32 v[1:2], null, s28, s17, v[135:136]
	v_mad_i64_i32 v[3:4], null, s29, s17, v[135:136]
	;; [unrolled: 1-line block ×6, first 2 shown]
	s_clause 0x9
	global_load_b128 v[49:52], v[1:2], off
	global_load_b128 v[53:56], v[1:2], off offset:16
	global_load_b128 v[41:44], v[3:4], off
	global_load_b128 v[45:48], v[3:4], off offset:16
	;; [unrolled: 2-line block ×5, first 2 shown]
	v_mad_i64_i32 v[145:146], null, s2, s17, v[135:136]
	v_mad_i64_i32 v[147:148], null, s3, s17, v[135:136]
	s_waitcnt vmcnt(24)
	v_wmma_f32_16x16x16_f16 v[135:142], v[17:24], v[119:126], v[111:118]
	s_waitcnt vmcnt(22)
	v_wmma_f32_16x16x16_f16 v[111:118], v[25:32], v[119:126], v[111:118]
	s_clause 0x3
	global_load_b128 v[17:20], v[143:144], off
	global_load_b128 v[21:24], v[143:144], off offset:16
	global_load_b128 v[25:28], v[145:146], off
	global_load_b128 v[29:32], v[145:146], off offset:16
	v_and_b32_e32 v119, 0xe0, v0
	s_waitcnt vmcnt(24)
	v_wmma_f32_16x16x16_f16 v[135:142], v[57:64], v[127:134], v[135:142]
	s_clause 0x1
	global_load_b128 v[57:60], v[147:148], off
	global_load_b128 v[61:64], v[147:148], off offset:16
	s_waitcnt vmcnt(24)
	v_wmma_f32_16x16x16_f16 v[111:118], v[71:78], v[127:134], v[111:118]
	ds_load_b128 v[71:74], v149 offset:4096
	ds_load_b128 v[75:78], v149 offset:5120
	v_add_nc_u32_e32 v128, s12, v119
	ds_load_b128 v[119:122], v149 offset:6144
	ds_load_b128 v[123:126], v149 offset:7168
	v_mbcnt_lo_u32_b32 v127, -1, 0
	s_waitcnt vmcnt(0) lgkmcnt(0)
	s_barrier
	v_or_b32_e32 v128, v128, v66
	buffer_gl0_inv
	v_xor_b32_e32 v129, 16, v127
	v_or_b32_e32 v130, 4, v128
	v_or_b32_e32 v131, 6, v128
	s_delay_alu instid0(VALU_DEP_3) | instskip(SKIP_4) | instid1(VALU_DEP_4)
	v_cmp_gt_i32_e32 vcc_lo, 32, v129
	v_or_b32_e32 v132, 8, v128
	v_or_b32_e32 v133, 10, v128
	v_cmp_gt_i32_e64 s3, s24, v130
	v_cmp_gt_i32_e64 s4, s24, v131
	;; [unrolled: 1-line block ×3, first 2 shown]
	v_wmma_f32_16x16x16_f16 v[135:142], v[79:86], v[71:78], v[135:142]
	v_wmma_f32_16x16x16_f16 v[111:118], v[87:94], v[71:78], v[111:118]
	v_or_b32_e32 v79, 12, v128
	v_or_b32_e32 v80, 14, v128
	v_cmp_gt_i32_e64 s6, s24, v133
	v_wmma_f32_16x16x16_f16 v[135:142], v[95:102], v[119:126], v[135:142]
	v_cndmask_b32_e32 v127, v127, v129, vcc_lo
	v_or_b32_e32 v129, 2, v128
	v_wmma_f32_16x16x16_f16 v[111:118], v[103:110], v[119:126], v[111:118]
	v_cmp_gt_i32_e32 vcc_lo, s24, v128
	v_dual_mul_f32 v88, s19, v135 :: v_dual_mul_f32 v87, s19, v136
	s_delay_alu instid0(VALU_DEP_4) | instskip(NEXT) | instid1(VALU_DEP_4)
	v_cmp_gt_i32_e64 s2, s24, v129
	v_mul_f32_e32 v94, s19, v113
	v_mul_f32_e32 v78, s19, v138
	;; [unrolled: 1-line block ×3, first 2 shown]
	v_cndmask_b32_e32 v88, 0xff7fffff, v88, vcc_lo
	v_cndmask_b32_e64 v87, 0xff7fffff, v87, s2
	v_dual_mul_f32 v76, s19, v140 :: v_dual_mul_f32 v77, s19, v139
	v_mul_f32_e32 v90, s19, v117
	v_cndmask_b32_e64 v86, 0xff7fffff, v86, s3
	v_cndmask_b32_e64 v78, 0xff7fffff, v78, s4
	v_max3_f32 v87, v88, 0xff7fffff, v87
	v_or_b32_e32 v81, 16, v128
	v_or_b32_e32 v82, 18, v128
	v_dual_mul_f32 v74, s19, v142 :: v_dual_mul_f32 v75, s19, v141
	v_mul_f32_e32 v92, s19, v115
	v_cndmask_b32_e64 v77, 0xff7fffff, v77, s5
	v_cndmask_b32_e64 v76, 0xff7fffff, v76, s6
	v_max3_f32 v78, v87, v86, v78
	v_cmp_gt_i32_e64 s7, s24, v79
	v_cmp_gt_i32_e64 s8, s24, v80
	v_or_b32_e32 v83, 20, v128
	v_or_b32_e32 v84, 22, v128
	v_dual_mul_f32 v89, s19, v118 :: v_dual_mul_f32 v96, s19, v111
	v_mul_f32_e32 v95, s19, v112
	v_cndmask_b32_e64 v75, 0xff7fffff, v75, s7
	v_cndmask_b32_e64 v74, 0xff7fffff, v74, s8
	v_max3_f32 v76, v78, v77, v76
	v_cmp_gt_i32_e64 s9, s24, v81
	v_cmp_gt_i32_e64 s10, s24, v82
	v_or_b32_e32 v85, 24, v128
	v_or_b32_e32 v71, 26, v128
	v_mul_f32_e32 v93, s19, v114
	v_cndmask_b32_e64 v77, 0xff7fffff, v96, s9
	v_cndmask_b32_e64 v78, 0xff7fffff, v95, s10
	v_max3_f32 v74, v76, v75, v74
	v_cmp_gt_i32_e64 s11, s24, v83
	v_cmp_gt_i32_e64 s12, s24, v84
	v_or_b32_e32 v72, 28, v128
	v_or_b32_e32 v73, 30, v128
	v_mul_f32_e32 v91, s19, v116
	v_cndmask_b32_e64 v75, 0xff7fffff, v94, s11
	v_cndmask_b32_e64 v76, 0xff7fffff, v93, s12
	v_max3_f32 v74, v74, v77, v78
	v_cmp_gt_i32_e64 s13, s24, v85
	v_cmp_gt_i32_e64 s15, s24, v71
	;; [unrolled: 1-line block ×4, first 2 shown]
	v_max3_f32 v74, v74, v75, v76
	v_cndmask_b32_e64 v77, 0xff7fffff, v92, s13
	v_cndmask_b32_e64 v71, 0xff7fffff, v91, s15
	;; [unrolled: 1-line block ×4, first 2 shown]
	s_delay_alu instid0(VALU_DEP_3) | instskip(SKIP_1) | instid1(VALU_DEP_2)
	v_max3_f32 v71, v74, v77, v71
	v_lshlrev_b32_e32 v74, 2, v127
	v_max3_f32 v71, v71, v72, v73
	ds_bpermute_b32 v72, v74, v71
	s_waitcnt lgkmcnt(0)
	v_max_f32_e32 v72, v72, v72
	s_delay_alu instid0(VALU_DEP_1) | instskip(NEXT) | instid1(VALU_DEP_1)
	v_max_f32_e32 v71, v71, v72
	v_fma_f32 v75, s19, v137, -v71
	v_fma_f32 v76, s19, v138, -v71
	;; [unrolled: 1-line block ×5, first 2 shown]
	s_delay_alu instid0(VALU_DEP_4) | instskip(NEXT) | instid1(VALU_DEP_4)
	v_dual_mul_f32 v75, 0x3fb8aa3b, v75 :: v_dual_mul_f32 v76, 0x3fb8aa3b, v76
	v_mul_f32_e32 v72, 0x3fb8aa3b, v72
	v_fma_f32 v77, s19, v139, -v71
	s_delay_alu instid0(VALU_DEP_4) | instskip(NEXT) | instid1(VALU_DEP_4)
	v_mul_f32_e32 v73, 0x3fb8aa3b, v73
	v_exp_f32_e32 v75, v75
	v_exp_f32_e32 v76, v76
	;; [unrolled: 1-line block ×3, first 2 shown]
	s_delay_alu instid0(VALU_DEP_1) | instskip(SKIP_2) | instid1(TRANS32_DEP_3)
	v_exp_f32_e32 v73, v73
	v_cndmask_b32_e64 v81, 0, v75, s3
	v_mul_f32_e32 v82, 0x3fb8aa3b, v80
	v_cndmask_b32_e64 v80, 0, v76, s4
	s_waitcnt_depctr 0xfff
	v_cndmask_b32_e64 v78, 0, v73, s2
	v_cmp_gt_u32_e64 s2, 16, v70
	v_exp_f32_e32 v84, v82
	s_waitcnt_depctr 0xfff
	v_cndmask_b32_e64 v85, 0, v84, s7
	v_cndmask_b32_e32 v79, 0, v72, vcc_lo
	v_fma_f32 v72, s19, v140, -v71
	v_mul_f32_e32 v77, 0x3fb8aa3b, v77
	s_delay_alu instid0(VALU_DEP_2) | instskip(NEXT) | instid1(VALU_DEP_2)
	v_dual_add_f32 v73, 0, v79 :: v_dual_mul_f32 v72, 0x3fb8aa3b, v72
	v_exp_f32_e32 v77, v77
	s_delay_alu instid0(VALU_DEP_1) | instskip(NEXT) | instid1(VALU_DEP_2)
	v_add_f32_e32 v73, v73, v78
	v_exp_f32_e32 v72, v72
	s_delay_alu instid0(VALU_DEP_1) | instskip(SKIP_4) | instid1(VALU_DEP_2)
	v_add_f32_e32 v73, v73, v81
	s_waitcnt_depctr 0xfff
	v_cndmask_b32_e64 v83, 0, v77, s5
	v_add_f32_e32 v73, v73, v80
	v_cndmask_b32_e64 v82, 0, v72, s6
	v_add_f32_e32 v72, v73, v83
	s_delay_alu instid0(VALU_DEP_1)
	v_add_f32_e32 v72, v72, v82
	v_fma_f32 v75, s19, v142, -v71
	v_fma_f32 v76, s19, v111, -v71
	v_fma_f32 v86, s19, v114, -v71
	v_fma_f32 v77, s19, v112, -v71
	v_fma_f32 v73, s19, v113, -v71
	s_delay_alu instid0(VALU_DEP_4) | instskip(NEXT) | instid1(VALU_DEP_4)
	v_dual_mul_f32 v75, 0x3fb8aa3b, v75 :: v_dual_mul_f32 v76, 0x3fb8aa3b, v76
	v_mul_f32_e32 v86, 0x3fb8aa3b, v86
	v_add_f32_e32 v72, v72, v85
	s_delay_alu instid0(VALU_DEP_3) | instskip(NEXT) | instid1(VALU_DEP_3)
	v_exp_f32_e32 v75, v75
	v_exp_f32_e32 v76, v76
	s_delay_alu instid0(VALU_DEP_2) | instskip(NEXT) | instid1(TRANS32_DEP_3)
	v_exp_f32_e32 v88, v86
	v_cndmask_b32_e64 v84, 0, v75, s8
	v_mul_f32_e32 v77, 0x3fb8aa3b, v77
	s_waitcnt_depctr 0xfff
	v_cndmask_b32_e64 v87, 0, v76, s9
	v_fma_f32 v76, s19, v116, -v71
	v_dual_mul_f32 v73, 0x3fb8aa3b, v73 :: v_dual_add_f32 v72, v72, v84
	v_exp_f32_e32 v77, v77
	v_fma_f32 v75, s19, v115, -v71
	s_delay_alu instid0(VALU_DEP_3) | instskip(NEXT) | instid1(VALU_DEP_3)
	v_mul_f32_e32 v76, 0x3fb8aa3b, v76
	v_exp_f32_e32 v73, v73
	v_add_f32_e32 v72, v72, v87
	v_cndmask_b32_e64 v88, 0, v88, s12
	s_delay_alu instid0(VALU_DEP_3) | instskip(NEXT) | instid1(TRANS32_DEP_3)
	v_exp_f32_e32 v76, v76
	v_cndmask_b32_e64 v86, 0, v77, s10
	v_mul_f32_e32 v75, 0x3fb8aa3b, v75
	v_fma_f32 v77, s19, v117, -v71
	s_delay_alu instid0(TRANS32_DEP_2) | instskip(NEXT) | instid1(VALU_DEP_4)
	v_cndmask_b32_e64 v89, 0, v73, s11
	v_add_f32_e32 v72, v72, v86
	s_delay_alu instid0(VALU_DEP_4) | instskip(NEXT) | instid1(TRANS32_DEP_2)
	v_exp_f32_e32 v75, v75
	v_cndmask_b32_e64 v90, 0, v76, s15
	s_delay_alu instid0(VALU_DEP_2) | instskip(SKIP_2) | instid1(VALU_DEP_3)
	v_add_f32_e32 v72, v72, v89
	v_mul_f32_e32 v73, 0x3fb8aa3b, v77
	v_fma_f32 v77, s19, v118, -v71
	v_add_f32_e32 v72, v72, v88
	s_delay_alu instid0(VALU_DEP_3) | instskip(NEXT) | instid1(TRANS32_DEP_2)
	v_exp_f32_e32 v73, v73
	v_cndmask_b32_e64 v91, 0, v75, s13
	s_delay_alu instid0(VALU_DEP_1) | instskip(NEXT) | instid1(VALU_DEP_1)
	v_dual_mul_f32 v75, 0x3fb8aa3b, v77 :: v_dual_add_f32 v72, v72, v91
	v_exp_f32_e32 v75, v75
	s_waitcnt_depctr 0xfff
	v_cndmask_b32_e64 v93, 0, v73, s16
	v_add_f32_e32 v72, v72, v90
	s_delay_alu instid0(VALU_DEP_1) | instskip(SKIP_1) | instid1(VALU_DEP_1)
	v_add_f32_e32 v72, v72, v93
	v_cndmask_b32_e64 v92, 0, v75, s17
	v_add_f32_e32 v72, v72, v92
	ds_bpermute_b32 v73, v74, v72
	s_and_saveexec_b32 s3, s2
	s_cbranch_execz .LBB1064_12
; %bb.11:
	v_mul_u32_u24_e32 v70, 0x44, v69
	s_waitcnt lgkmcnt(0)
	v_add_f32_e32 v72, v72, v73
	s_delay_alu instid0(VALU_DEP_2) | instskip(NEXT) | instid1(VALU_DEP_1)
	v_lshl_add_u32 v70, v68, 2, v70
	v_add_nc_u32_e32 v70, 0x4000, v70
	ds_store_2addr_b32 v70, v71, v72 offset1:136
.LBB1064_12:
	s_or_b32 exec_lo, exec_lo, s3
	v_lshlrev_b32_e32 v70, 2, v68
	s_load_b32 s35, s[0:1], 0x94
	s_waitcnt lgkmcnt(0)
	s_barrier
	buffer_gl0_inv
	v_add_nc_u32_e32 v98, 0x4000, v70
	v_cmp_eq_u32_e32 vcc_lo, 1, v69
	v_cmp_eq_u32_e64 s3, 2, v69
	v_cmp_eq_u32_e64 s4, 3, v69
	;; [unrolled: 1-line block ×3, first 2 shown]
	ds_load_2addr_b32 v[70:71], v98 offset1:17
	ds_load_2addr_b32 v[72:73], v98 offset0:34 offset1:51
	ds_load_2addr_b32 v[74:75], v98 offset0:68 offset1:85
	;; [unrolled: 1-line block ×3, first 2 shown]
	v_cmp_eq_u32_e64 s6, 5, v69
	v_cmp_eq_u32_e64 s7, 7, v69
	s_waitcnt lgkmcnt(3)
	v_max3_f32 v76, v70, 0xff7fffff, v71
	s_waitcnt lgkmcnt(2)
	s_delay_alu instid0(VALU_DEP_1) | instskip(SKIP_1) | instid1(VALU_DEP_1)
	v_max3_f32 v76, v76, v72, v73
	s_waitcnt lgkmcnt(1)
	v_max3_f32 v76, v76, v74, v75
	s_waitcnt lgkmcnt(0)
	s_delay_alu instid0(VALU_DEP_1) | instskip(NEXT) | instid1(VALU_DEP_1)
	v_max3_f32 v76, v76, v94, v95
	v_sub_f32_e32 v77, v71, v76
	ds_load_2addr_b32 v[96:97], v98 offset0:136 offset1:153
	v_sub_f32_e32 v74, v74, v76
	v_sub_f32_e32 v70, v70, v76
	v_sub_f32_e32 v94, v94, v76
	v_dual_sub_f32 v72, v72, v76 :: v_dual_mul_f32 v77, 0x3fb8aa3b, v77
	s_delay_alu instid0(VALU_DEP_4) | instskip(NEXT) | instid1(VALU_DEP_4)
	v_mul_f32_e32 v103, 0x3fb8aa3b, v74
	v_mul_f32_e32 v99, 0x3fb8aa3b, v70
	ds_load_2addr_b32 v[70:71], v98 offset0:170 offset1:187
	v_dual_mul_f32 v101, 0x3fb8aa3b, v72 :: v_dual_mul_f32 v94, 0x3fb8aa3b, v94
	v_exp_f32_e32 v102, v77
	v_exp_f32_e32 v99, v99
	s_delay_alu instid0(VALU_DEP_1) | instskip(NEXT) | instid1(VALU_DEP_1)
	v_exp_f32_e32 v101, v101
	v_exp_f32_e32 v94, v94
	s_waitcnt lgkmcnt(1)
	s_delay_alu instid0(TRANS32_DEP_3)
	v_fma_f32 v77, v99, v96, 0
	v_sub_f32_e32 v100, v73, v76
	ds_load_2addr_b32 v[72:73], v98 offset0:204 offset1:221
	v_fmac_f32_e32 v77, v102, v97
	v_exp_f32_e32 v97, v103
	s_waitcnt lgkmcnt(1)
	s_delay_alu instid0(VALU_DEP_1)
	v_dual_fmac_f32 v77, v101, v70 :: v_dual_sub_f32 v96, v75, v76
	ds_load_2addr_b32 v[74:75], v98 offset0:238 offset1:255
	v_sub_f32_e32 v70, v95, v76
	s_waitcnt lgkmcnt(0)
	s_barrier
	v_mul_f32_e32 v96, 0x3fb8aa3b, v96
	buffer_gl0_inv
	v_exp_f32_e32 v95, v96
	v_mul_f32_e32 v100, 0x3fb8aa3b, v100
	s_delay_alu instid0(VALU_DEP_1) | instskip(SKIP_3) | instid1(VALU_DEP_2)
	v_exp_f32_e32 v100, v100
	s_waitcnt_depctr 0xfff
	v_dual_fmac_f32 v77, v100, v71 :: v_dual_mul_f32 v70, 0x3fb8aa3b, v70
	v_cndmask_b32_e32 v71, v99, v102, vcc_lo
	v_fmac_f32_e32 v77, v97, v72
	s_delay_alu instid0(VALU_DEP_3) | instskip(NEXT) | instid1(VALU_DEP_1)
	v_exp_f32_e32 v96, v70
	v_fmac_f32_e32 v77, v95, v73
	s_delay_alu instid0(VALU_DEP_1) | instskip(SKIP_2) | instid1(VALU_DEP_1)
	v_fmac_f32_e32 v77, v94, v74
	s_waitcnt_depctr 0xfff
	v_fmac_f32_e32 v77, v96, v75
	v_add_f32_e32 v74, 0x358637bd, v77
	s_delay_alu instid0(VALU_DEP_1) | instskip(SKIP_1) | instid1(VALU_DEP_2)
	v_div_scale_f32 v98, null, v74, v74, 1.0
	v_div_scale_f32 v99, vcc_lo, 1.0, v74, 1.0
	v_rcp_f32_e32 v103, v98
	s_waitcnt_depctr 0xfff
	v_fma_f32 v70, -v98, v103, 1.0
	s_delay_alu instid0(VALU_DEP_1) | instskip(SKIP_2) | instid1(VALU_DEP_2)
	v_fmac_f32_e32 v103, v70, v103
	v_cndmask_b32_e64 v70, v71, v101, s3
	v_cmp_eq_u32_e64 s3, 6, v69
	v_cndmask_b32_e64 v71, v70, v100, s4
	s_delay_alu instid0(VALU_DEP_4) | instskip(NEXT) | instid1(VALU_DEP_2)
	v_dual_mul_f32 v101, v99, v103 :: v_dual_lshlrev_b32 v70, 2, v66
	v_cndmask_b32_e64 v71, v71, v97, s5
	s_delay_alu instid0(VALU_DEP_2) | instskip(NEXT) | instid1(VALU_DEP_3)
	v_or_b32_e32 v72, 1, v70
	v_fma_f32 v100, -v98, v101, v99
	v_cmp_eq_u32_e64 s4, 1, v70
	v_cmp_eq_u32_e64 s5, 2, v70
	v_cndmask_b32_e64 v95, v71, v95, s6
	v_or_b32_e32 v71, 3, v70
	v_fmac_f32_e32 v101, v100, v103
	v_cmp_eq_u32_e64 s9, 1, v72
	v_cmp_eq_u32_e64 s12, 2, v72
	v_cndmask_b32_e64 v94, v95, v94, s3
	v_cmp_eq_u32_e64 s11, 1, v71
	v_fma_f32 v97, -v98, v101, v99
	v_cmp_eq_u32_e64 s16, 2, v71
	v_cmp_eq_u32_e64 s13, 3, v72
	v_cndmask_b32_e64 v94, v94, v96, s7
	v_cmp_eq_u32_e64 s18, 3, v71
	v_div_fmas_f32 v95, v97, v103, v101
	v_cmp_eq_u32_e32 vcc_lo, 3, v70
	v_cmp_eq_u32_e64 s3, 4, v70
	v_cmp_eq_u32_e64 s19, 4, v72
	;; [unrolled: 1-line block ×3, first 2 shown]
	v_div_fixup_f32 v95, v95, v74, 1.0
	v_lshlrev_b32_e32 v73, 6, v68
	v_cmp_eq_u32_e64 s6, 5, v70
	v_cmp_eq_u32_e64 s20, 5, v72
	;; [unrolled: 1-line block ×3, first 2 shown]
	v_mul_f32_e32 v102, v94, v95
	v_lshl_or_b32 v75, v69, 11, v73
	v_or_b32_e32 v69, 2, v70
	v_cmp_eq_u32_e64 s25, 6, v72
	v_cmp_eq_u32_e64 s27, 6, v71
	v_fma_mixlo_f16 v94, v102, v79, 0
	v_fma_mixlo_f16 v95, v102, v81, 0
	;; [unrolled: 1-line block ×8, first 2 shown]
	v_lshl_or_b32 v74, v66, 4, v75
	v_fma_mixhi_f16 v94, v102, v78, 0
	v_fma_mixhi_f16 v95, v102, v80, 0
	;; [unrolled: 1-line block ×8, first 2 shown]
	ds_store_b128 v74, v[94:97]
	ds_store_b128 v74, v[98:101] offset:1024
	s_waitcnt lgkmcnt(0)
	s_barrier
	buffer_gl0_inv
	ds_load_b128 v[78:81], v75
	ds_load_b128 v[82:85], v75 offset:16
	ds_load_b128 v[86:89], v75 offset:1024
	;; [unrolled: 1-line block ×3, first 2 shown]
	v_cmp_eq_u32_e64 s10, 1, v69
	v_cmp_eq_u32_e64 s15, 2, v69
	;; [unrolled: 1-line block ×11, first 2 shown]
	s_waitcnt lgkmcnt(3)
	v_lshrrev_b32_e32 v94, 16, v78
	s_waitcnt lgkmcnt(2)
	v_lshrrev_b32_e32 v98, 16, v82
	;; [unrolled: 2-line block ×4, first 2 shown]
	v_lshrrev_b32_e32 v95, 16, v79
	v_cndmask_b32_e64 v110, v78, v94, s4
	v_cndmask_b32_e64 v111, v82, v98, s4
	;; [unrolled: 1-line block ×8, first 2 shown]
	v_lshrrev_b32_e32 v99, 16, v83
	v_cndmask_b32_e64 v94, v86, v102, s4
	v_cndmask_b32_e64 v98, v90, v106, s4
	;; [unrolled: 1-line block ×15, first 2 shown]
	v_lshrrev_b32_e32 v103, 16, v87
	v_lshrrev_b32_e32 v107, 16, v91
	v_cndmask_b32_e64 v113, v115, v83, s15
	v_cndmask_b32_e64 v82, v94, v87, s5
	;; [unrolled: 1-line block ×7, first 2 shown]
	v_cndmask_b32_e32 v90, v102, v95, vcc_lo
	v_cndmask_b32_e32 v102, v106, v99, vcc_lo
	v_cndmask_b32_e64 v106, v110, v95, s13
	v_cndmask_b32_e64 v110, v111, v99, s13
	;; [unrolled: 1-line block ×4, first 2 shown]
	v_lshrrev_b32_e32 v96, 16, v80
	v_lshrrev_b32_e32 v100, 16, v84
	v_cndmask_b32_e64 v111, v112, v95, s17
	v_cndmask_b32_e64 v112, v113, v99, s17
	v_cndmask_b32_e32 v82, v82, v103, vcc_lo
	v_cndmask_b32_e32 v83, v83, v107, vcc_lo
	v_cndmask_b32_e64 v94, v94, v103, s13
	v_cndmask_b32_e64 v90, v90, v80, s3
	;; [unrolled: 1-line block ×7, first 2 shown]
	v_lshrrev_b32_e32 v104, 16, v88
	v_cndmask_b32_e64 v106, v111, v80, s21
	v_cndmask_b32_e64 v110, v112, v84, s21
	;; [unrolled: 1-line block ×11, first 2 shown]
	v_lshrrev_b32_e32 v97, 16, v81
	v_lshrrev_b32_e32 v101, 16, v85
	v_cndmask_b32_e64 v99, v106, v96, s23
	v_cndmask_b32_e64 v102, v110, v100, s23
	;; [unrolled: 1-line block ×7, first 2 shown]
	v_lshrrev_b32_e32 v105, 16, v89
	v_cndmask_b32_e64 v80, v80, v104, s6
	v_cndmask_b32_e64 v84, v84, v81, s7
	v_cndmask_b32_e64 v90, v90, v85, s7
	v_cndmask_b32_e64 v96, v99, v81, s26
	v_cndmask_b32_e64 v99, v102, v85, s26
	v_cndmask_b32_e64 v81, v83, v89, s25
	v_cndmask_b32_e64 v85, v94, v97, s30
	v_cndmask_b32_e64 v78, v78, v97, s29
	v_cndmask_b32_e64 v79, v79, v101, s29
	v_cndmask_b32_e64 v95, v95, v101, s30
	v_cndmask_b32_e64 v80, v80, v89, s7
	v_cndmask_b32_e64 v83, v84, v97, s8
	v_cndmask_b32_e64 v84, v90, v101, s8
	v_cndmask_b32_e64 v90, v96, v97, s28
	v_cndmask_b32_e64 v94, v99, v101, s28
	v_cndmask_b32_e64 v97, v81, v105, s30
	v_perm_b32 v81, v79, v78, 0x5040100
	v_perm_b32 v79, v95, v85, 0x5040100
	v_cndmask_b32_e64 v78, v119, v91, s15
	v_cndmask_b32_e64 v85, v117, v91, s12
	;; [unrolled: 1-line block ×3, first 2 shown]
	v_perm_b32 v80, v94, v90, 0x5040100
	v_cndmask_b32_e64 v90, v98, v103, s17
	v_cndmask_b32_e64 v86, v86, v103, s18
	;; [unrolled: 1-line block ×5, first 2 shown]
	v_lshrrev_b32_e32 v108, 16, v92
	v_cndmask_b32_e64 v90, v90, v88, s21
	v_cndmask_b32_e64 v86, v86, v88, s22
	;; [unrolled: 1-line block ×11, first 2 shown]
	v_lshrrev_b32_e32 v109, 16, v93
	v_cndmask_b32_e64 v82, v82, v93, s7
	v_cndmask_b32_e64 v88, v88, v89, s26
	;; [unrolled: 1-line block ×12, first 2 shown]
	v_perm_b32 v78, v84, v83, 0x5040100
	v_perm_b32 v85, v87, v86, 0x5040100
	;; [unrolled: 1-line block ×5, first 2 shown]
	s_mul_i32 s8, s33, 15
	s_mov_b32 s3, exec_lo
	ds_store_b128 v74, v[78:81]
	ds_store_b128 v74, v[82:85] offset:1024
	v_cmpx_gt_u32_e32 15, v0
	s_cbranch_execz .LBB1064_14
; %bb.13:
	s_mul_i32 s4, s8, s34
	s_delay_alu instid0(SALU_CYCLE_1) | instskip(SKIP_1) | instid1(VALU_DEP_1)
	v_add3_u32 v68, s4, s31, v68
	s_load_b128 s[4:7], s[0:1], 0x58
	v_mad_u64_u32 v[78:79], null, v68, s35, s[14:15]
	s_delay_alu instid0(VALU_DEP_1) | instskip(NEXT) | instid1(VALU_DEP_1)
	v_ashrrev_i32_e32 v79, 31, v78
	v_lshlrev_b64 v[78:79], 2, v[78:79]
	s_waitcnt lgkmcnt(0)
	s_delay_alu instid0(VALU_DEP_1) | instskip(NEXT) | instid1(VALU_DEP_2)
	v_add_co_u32 v80, vcc_lo, s6, v78
	v_add_co_ci_u32_e32 v81, vcc_lo, s7, v79, vcc_lo
	v_add_co_u32 v78, vcc_lo, s4, v78
	v_add_co_ci_u32_e32 v79, vcc_lo, s5, v79, vcc_lo
	global_store_b32 v[80:81], v76, off
	global_store_b32 v[78:79], v77, off
.LBB1064_14:
	s_or_b32 exec_lo, exec_lo, s3
	s_waitcnt lgkmcnt(0)
	s_waitcnt_vscnt null, 0x0
	s_barrier
	buffer_gl0_inv
	ds_load_b128 v[84:87], v73
	ds_load_b128 v[88:91], v73 offset:16
	ds_load_b128 v[96:99], v73 offset:2064
	;; [unrolled: 1-line block ×5, first 2 shown]
	v_cmp_eq_u32_e32 vcc_lo, 1, v70
	v_mov_b32_e32 v76, 0
	ds_load_b128 v[112:115], v73 offset:6160
	ds_load_b128 v[108:111], v73 offset:6144
	;; [unrolled: 1-line block ×4, first 2 shown]
	v_cmp_eq_u32_e64 s4, 1, v69
	v_cmp_eq_u32_e64 s3, 1, v72
	;; [unrolled: 1-line block ×3, first 2 shown]
	v_mov_b32_e32 v77, v76
	v_mov_b32_e32 v78, v76
	;; [unrolled: 1-line block ×7, first 2 shown]
	v_cmp_eq_u32_e64 s6, 3, v72
	v_cmp_eq_u32_e64 s7, 7, v72
	s_waitcnt lgkmcnt(8)
	s_delay_alu instid0(VALU_DEP_3)
	v_wmma_f32_16x16x16_f16 v[76:83], v[49:56], v[84:91], v[76:83]
	ds_load_b128 v[53:56], v73 offset:10256
	ds_load_b128 v[49:52], v73 offset:10240
	s_waitcnt lgkmcnt(8)
	v_wmma_f32_16x16x16_f16 v[76:83], v[41:48], v[92:99], v[76:83]
	ds_load_b128 v[45:48], v73 offset:12304
	ds_load_b128 v[41:44], v73 offset:12288
	s_waitcnt lgkmcnt(8)
	;; [unrolled: 4-line block ×3, first 2 shown]
	s_barrier
	buffer_gl0_inv
	v_wmma_f32_16x16x16_f16 v[76:83], v[1:8], v[108:115], v[76:83]
	s_delay_alu instid0(VALU_DEP_1) | instskip(NEXT) | instid1(VALU_DEP_1)
	v_wmma_f32_16x16x16_f16 v[76:83], v[9:16], v[116:123], v[76:83]
	v_wmma_f32_16x16x16_f16 v[76:83], v[17:24], v[49:56], v[76:83]
	s_delay_alu instid0(VALU_DEP_1) | instskip(NEXT) | instid1(VALU_DEP_1)
	v_wmma_f32_16x16x16_f16 v[76:83], v[25:32], v[41:48], v[76:83]
	v_wmma_f32_16x16x16_f16 v[76:83], v[57:64], v[33:40], v[76:83]
	s_delay_alu instid0(VALU_DEP_1) | instskip(NEXT) | instid1(VALU_DEP_2)
	v_cvt_f16_f32_e32 v1, v76
	v_cvt_f16_f32_e32 v2, v77
	s_delay_alu instid0(VALU_DEP_3) | instskip(NEXT) | instid1(VALU_DEP_4)
	v_cvt_f16_f32_e32 v3, v78
	v_cvt_f16_f32_e32 v4, v79
	;; [unrolled: 1-line block ×6, first 2 shown]
	v_pack_b32_f16 v1, v1, v2
	v_pack_b32_f16 v2, v3, v4
	;; [unrolled: 1-line block ×3, first 2 shown]
	s_delay_alu instid0(VALU_DEP_4)
	v_pack_b32_f16 v4, v7, v8
	ds_store_b128 v74, v[1:4]
	s_waitcnt lgkmcnt(0)
	s_barrier
	buffer_gl0_inv
	ds_load_b128 v[1:4], v75
	ds_load_b128 v[5:8], v75 offset:16
	s_waitcnt lgkmcnt(1)
	v_lshrrev_b32_e32 v9, 16, v1
	s_waitcnt lgkmcnt(0)
	v_lshrrev_b32_e32 v13, 16, v5
	v_lshrrev_b32_e32 v10, 16, v2
	;; [unrolled: 1-line block ×4, first 2 shown]
	v_cndmask_b32_e32 v17, v1, v9, vcc_lo
	v_cndmask_b32_e32 v18, v5, v13, vcc_lo
	v_cndmask_b32_e64 v21, v1, v9, s4
	v_cmp_eq_u32_e32 vcc_lo, 1, v71
	v_cndmask_b32_e64 v22, v5, v13, s4
	v_cmp_eq_u32_e64 s4, 2, v70
	v_cndmask_b32_e64 v19, v1, v9, s3
	v_cndmask_b32_e64 v20, v5, v13, s3
	v_cndmask_b32_e32 v1, v1, v9, vcc_lo
	v_cmp_eq_u32_e64 s3, 2, v71
	v_cndmask_b32_e32 v5, v5, v13, vcc_lo
	v_cndmask_b32_e64 v9, v17, v2, s4
	v_cmp_eq_u32_e32 vcc_lo, 3, v70
	v_cndmask_b32_e64 v13, v18, v6, s4
	v_cmp_eq_u32_e64 s4, 2, v69
	v_cndmask_b32_e64 v17, v19, v2, s5
	v_cndmask_b32_e64 v18, v20, v6, s5
	v_cmp_eq_u32_e64 s5, 3, v69
	v_cndmask_b32_e64 v1, v1, v2, s3
	v_cndmask_b32_e64 v19, v21, v2, s4
	;; [unrolled: 1-line block ×4, first 2 shown]
	v_cndmask_b32_e32 v5, v9, v10, vcc_lo
	v_cndmask_b32_e32 v6, v13, v14, vcc_lo
	v_cmp_eq_u32_e32 vcc_lo, 3, v71
	v_cndmask_b32_e64 v9, v17, v10, s6
	v_cndmask_b32_e64 v13, v18, v14, s6
	;; [unrolled: 1-line block ×3, first 2 shown]
	v_cmp_eq_u32_e64 s4, 4, v70
	v_cndmask_b32_e32 v1, v1, v10, vcc_lo
	v_cndmask_b32_e32 v2, v2, v14, vcc_lo
	v_cmp_eq_u32_e32 vcc_lo, 4, v72
	v_lshrrev_b32_e32 v15, 16, v7
	v_lshrrev_b32_e32 v16, 16, v8
	v_cndmask_b32_e64 v17, v19, v10, s5
	v_cmp_eq_u32_e64 s3, 4, v71
	v_cndmask_b32_e64 v5, v5, v3, s4
	v_cndmask_b32_e64 v6, v6, v7, s4
	v_cndmask_b32_e32 v9, v9, v3, vcc_lo
	v_cmp_eq_u32_e64 s4, 5, v72
	v_cndmask_b32_e32 v10, v13, v7, vcc_lo
	v_cmp_eq_u32_e32 vcc_lo, 4, v69
	v_cmp_eq_u32_e64 s5, 5, v70
	v_cndmask_b32_e64 v2, v2, v7, s3
	v_cndmask_b32_e64 v9, v9, v11, s4
	;; [unrolled: 1-line block ×3, first 2 shown]
	v_cndmask_b32_e32 v13, v17, v3, vcc_lo
	v_cmp_eq_u32_e64 s4, 5, v69
	v_cndmask_b32_e32 v14, v18, v7, vcc_lo
	v_cndmask_b32_e64 v1, v1, v3, s3
	v_cmp_eq_u32_e32 vcc_lo, 5, v71
	v_lshrrev_b32_e32 v12, 16, v4
	v_cndmask_b32_e64 v13, v13, v11, s4
	v_cndmask_b32_e64 v3, v14, v15, s4
	v_cmp_eq_u32_e64 s4, 6, v71
	v_cndmask_b32_e32 v1, v1, v11, vcc_lo
	v_cndmask_b32_e64 v5, v5, v11, s5
	v_cmp_eq_u32_e64 s6, 6, v70
	v_cndmask_b32_e64 v6, v6, v15, s5
	v_cmp_eq_u32_e64 s5, 6, v72
	v_cmp_eq_u32_e64 s3, 6, v69
	v_cndmask_b32_e64 v1, v1, v4, s4
	v_cndmask_b32_e32 v2, v2, v15, vcc_lo
	v_cmp_eq_u32_e32 vcc_lo, 7, v71
	v_cndmask_b32_e64 v5, v5, v4, s6
	v_cndmask_b32_e64 v9, v9, v4, s5
	;; [unrolled: 1-line block ×3, first 2 shown]
	v_cmp_eq_u32_e64 s6, 7, v70
	v_cndmask_b32_e32 v1, v1, v12, vcc_lo
	v_cndmask_b32_e64 v7, v13, v4, s3
	v_cndmask_b32_e64 v3, v3, v8, s3
	;; [unrolled: 1-line block ×3, first 2 shown]
	v_cmp_eq_u32_e64 s3, 7, v69
	v_cndmask_b32_e64 v4, v10, v8, s5
	v_cndmask_b32_e64 v5, v5, v12, s6
	;; [unrolled: 1-line block ×3, first 2 shown]
	v_cndmask_b32_e32 v2, v2, v16, vcc_lo
	v_cndmask_b32_e64 v7, v7, v12, s3
	v_cndmask_b32_e64 v3, v3, v16, s3
	;; [unrolled: 1-line block ×4, first 2 shown]
	v_perm_b32 v4, v2, v1, 0x5040100
	s_mov_b32 s3, exec_lo
	v_perm_b32 v3, v3, v7, 0x5040100
	v_perm_b32 v2, v8, v9, 0x5040100
	;; [unrolled: 1-line block ×3, first 2 shown]
	ds_store_b128 v74, v[1:4]
	s_waitcnt lgkmcnt(0)
	s_barrier
	buffer_gl0_inv
	v_cmpx_gt_u32_e32 32, v0
	s_cbranch_execz .LBB1064_2
; %bb.15:
	s_load_b64 s[4:5], s[0:1], 0x68
	v_add_nc_u32_e32 v20, s31, v66
	v_lshlrev_b32_e32 v0, 10, v0
	v_lshlrev_b32_e32 v1, 4, v67
	s_lshl_b32 s0, s35, 7
	s_delay_alu instid0(SALU_CYCLE_1)
	s_mul_i32 s1, s0, s34
	v_add_nc_u32_e32 v2, 2, v20
	s_mul_i32 s6, s1, s8
	v_and_or_b32 v0, 0x3800, v0, v1
	v_mul_lo_u32 v1, v20, s0
	s_ashr_i32 s7, s6, 31
	v_mul_lo_u32 v11, v2, s0
	s_lshl_b64 s[6:7], s[6:7], 1
	v_add_nc_u32_e32 v3, 4, v20
	v_lshl_or_b32 v21, v66, 6, v0
	v_add_nc_u32_e32 v16, 6, v20
	v_ashrrev_i32_e32 v2, 31, v1
	s_delay_alu instid0(VALU_DEP_4)
	v_mul_lo_u32 v13, v3, s0
	s_waitcnt lgkmcnt(0)
	s_add_u32 s1, s4, s6
	s_addc_u32 s3, s5, s7
	s_lshl_b32 s4, s14, 7
	ds_load_b128 v[3:6], v21
	ds_load_b128 v[7:10], v21 offset:128
	s_ashr_i32 s5, s4, 31
	v_ashrrev_i32_e32 v12, 31, v11
	s_lshl_b64 s[4:5], s[4:5], 1
	v_lshlrev_b64 v[14:15], 1, v[1:2]
	s_add_u32 s1, s1, s4
	s_addc_u32 s3, s3, s5
	v_add_co_u32 v1, s1, s1, v65
	s_delay_alu instid0(VALU_DEP_1) | instskip(SKIP_1) | instid1(VALU_DEP_3)
	v_add_co_ci_u32_e64 v2, null, s3, 0, s1
	v_lshlrev_b64 v[11:12], 1, v[11:12]
	v_add_co_u32 v18, vcc_lo, v1, v14
	v_mul_lo_u32 v16, v16, s0
	s_delay_alu instid0(VALU_DEP_4) | instskip(NEXT) | instid1(VALU_DEP_4)
	v_add_co_ci_u32_e32 v19, vcc_lo, v2, v15, vcc_lo
	v_add_co_u32 v11, vcc_lo, v1, v11
	v_ashrrev_i32_e32 v14, 31, v13
	v_add_co_ci_u32_e32 v12, vcc_lo, v2, v12, vcc_lo
	v_add_nc_u32_e32 v15, 8, v20
	v_ashrrev_i32_e32 v17, 31, v16
	s_waitcnt lgkmcnt(1)
	global_store_b128 v[18:19], v[3:6], off
	v_lshlrev_b64 v[3:4], 1, v[13:14]
	s_waitcnt lgkmcnt(0)
	global_store_b128 v[11:12], v[7:10], off
	v_mul_lo_u32 v11, v15, s0
	v_add_nc_u32_e32 v7, 10, v20
	v_lshlrev_b64 v[5:6], 1, v[16:17]
	v_add_co_u32 v23, vcc_lo, v1, v3
	v_add_nc_u32_e32 v3, 12, v20
	s_delay_alu instid0(VALU_DEP_4)
	v_mul_lo_u32 v25, v7, s0
	v_ashrrev_i32_e32 v12, 31, v11
	v_add_co_ci_u32_e32 v24, vcc_lo, v2, v4, vcc_lo
	v_add_co_u32 v27, vcc_lo, v1, v5
	v_mul_lo_u32 v29, v3, s0
	v_add_co_ci_u32_e32 v28, vcc_lo, v2, v6, vcc_lo
	ds_load_b128 v[3:6], v21 offset:256
	ds_load_b128 v[7:10], v21 offset:384
	v_lshlrev_b64 v[31:32], 1, v[11:12]
	ds_load_b128 v[11:14], v21 offset:512
	ds_load_b128 v[15:18], v21 offset:640
	;; [unrolled: 1-line block ×3, first 2 shown]
	v_ashrrev_i32_e32 v26, 31, v25
	v_ashrrev_i32_e32 v30, 31, v29
	v_add_co_u32 v31, vcc_lo, v1, v31
	s_delay_alu instid0(VALU_DEP_3) | instskip(NEXT) | instid1(VALU_DEP_3)
	v_lshlrev_b64 v[25:26], 1, v[25:26]
	v_lshlrev_b64 v[29:30], 1, v[29:30]
	v_add_co_ci_u32_e32 v32, vcc_lo, v2, v32, vcc_lo
	s_delay_alu instid0(VALU_DEP_3) | instskip(NEXT) | instid1(VALU_DEP_4)
	v_add_co_u32 v25, vcc_lo, v1, v25
	v_add_co_ci_u32_e32 v26, vcc_lo, v2, v26, vcc_lo
	s_delay_alu instid0(VALU_DEP_4)
	v_add_co_u32 v29, vcc_lo, v1, v29
	v_add_co_ci_u32_e32 v30, vcc_lo, v2, v30, vcc_lo
	s_waitcnt lgkmcnt(4)
	global_store_b128 v[23:24], v[3:6], off
	s_waitcnt lgkmcnt(3)
	global_store_b128 v[27:28], v[7:10], off
	;; [unrolled: 2-line block ×5, first 2 shown]
	s_and_b32 exec_lo, exec_lo, s2
	s_cbranch_execz .LBB1064_2
; %bb.16:
	ds_load_b128 v[3:6], v0 offset:896
	s_add_i32 s1, s31, 14
	s_delay_alu instid0(SALU_CYCLE_1) | instskip(NEXT) | instid1(SALU_CYCLE_1)
	s_mul_i32 s0, s1, s0
	s_ashr_i32 s1, s0, 31
	s_delay_alu instid0(SALU_CYCLE_1) | instskip(NEXT) | instid1(SALU_CYCLE_1)
	s_lshl_b64 s[0:1], s[0:1], 1
	v_add_co_u32 v0, vcc_lo, v1, s0
	v_add_co_ci_u32_e32 v1, vcc_lo, s1, v2, vcc_lo
	s_waitcnt lgkmcnt(0)
	global_store_b128 v[0:1], v[3:6], off
	s_nop 0
	s_sendmsg sendmsg(MSG_DEALLOC_VGPRS)
	s_endpgm
	.section	.rodata,"a",@progbits
	.p2align	6, 0x0
	.amdhsa_kernel _Z39paged_attention_ll4mi_QKV_mfma16_kernelIDF16_hLN4vllm18Fp8KVCacheDataTypeE1EDF16_Li32ELi128ELi256ELb1ELi15EL8MFMAType1EEvPKT_PKT0_S8_ifPKiSA_SA_iPKfiiiPfSD_PS3_PT2_iSC_SC_
		.amdhsa_group_segment_fixed_size 17472
		.amdhsa_private_segment_fixed_size 0
		.amdhsa_kernarg_size 400
		.amdhsa_user_sgpr_count 13
		.amdhsa_user_sgpr_dispatch_ptr 0
		.amdhsa_user_sgpr_queue_ptr 0
		.amdhsa_user_sgpr_kernarg_segment_ptr 1
		.amdhsa_user_sgpr_dispatch_id 0
		.amdhsa_user_sgpr_private_segment_size 0
		.amdhsa_wavefront_size32 1
		.amdhsa_uses_dynamic_stack 0
		.amdhsa_enable_private_segment 0
		.amdhsa_system_sgpr_workgroup_id_x 1
		.amdhsa_system_sgpr_workgroup_id_y 1
		.amdhsa_system_sgpr_workgroup_id_z 1
		.amdhsa_system_sgpr_workgroup_info 0
		.amdhsa_system_vgpr_workitem_id 0
		.amdhsa_next_free_vgpr 150
		.amdhsa_next_free_sgpr 37
		.amdhsa_reserve_vcc 1
		.amdhsa_float_round_mode_32 0
		.amdhsa_float_round_mode_16_64 0
		.amdhsa_float_denorm_mode_32 3
		.amdhsa_float_denorm_mode_16_64 3
		.amdhsa_dx10_clamp 1
		.amdhsa_ieee_mode 1
		.amdhsa_fp16_overflow 0
		.amdhsa_workgroup_processor_mode 1
		.amdhsa_memory_ordered 1
		.amdhsa_forward_progress 0
		.amdhsa_shared_vgpr_count 0
		.amdhsa_exception_fp_ieee_invalid_op 0
		.amdhsa_exception_fp_denorm_src 0
		.amdhsa_exception_fp_ieee_div_zero 0
		.amdhsa_exception_fp_ieee_overflow 0
		.amdhsa_exception_fp_ieee_underflow 0
		.amdhsa_exception_fp_ieee_inexact 0
		.amdhsa_exception_int_div_zero 0
	.end_amdhsa_kernel
	.section	.text._Z39paged_attention_ll4mi_QKV_mfma16_kernelIDF16_hLN4vllm18Fp8KVCacheDataTypeE1EDF16_Li32ELi128ELi256ELb1ELi15EL8MFMAType1EEvPKT_PKT0_S8_ifPKiSA_SA_iPKfiiiPfSD_PS3_PT2_iSC_SC_,"axG",@progbits,_Z39paged_attention_ll4mi_QKV_mfma16_kernelIDF16_hLN4vllm18Fp8KVCacheDataTypeE1EDF16_Li32ELi128ELi256ELb1ELi15EL8MFMAType1EEvPKT_PKT0_S8_ifPKiSA_SA_iPKfiiiPfSD_PS3_PT2_iSC_SC_,comdat
.Lfunc_end1064:
	.size	_Z39paged_attention_ll4mi_QKV_mfma16_kernelIDF16_hLN4vllm18Fp8KVCacheDataTypeE1EDF16_Li32ELi128ELi256ELb1ELi15EL8MFMAType1EEvPKT_PKT0_S8_ifPKiSA_SA_iPKfiiiPfSD_PS3_PT2_iSC_SC_, .Lfunc_end1064-_Z39paged_attention_ll4mi_QKV_mfma16_kernelIDF16_hLN4vllm18Fp8KVCacheDataTypeE1EDF16_Li32ELi128ELi256ELb1ELi15EL8MFMAType1EEvPKT_PKT0_S8_ifPKiSA_SA_iPKfiiiPfSD_PS3_PT2_iSC_SC_
                                        ; -- End function
	.section	.AMDGPU.csdata,"",@progbits
; Kernel info:
; codeLenInByte = 6908
; NumSgprs: 39
; NumVgprs: 150
; ScratchSize: 0
; MemoryBound: 0
; FloatMode: 240
; IeeeMode: 1
; LDSByteSize: 17472 bytes/workgroup (compile time only)
; SGPRBlocks: 4
; VGPRBlocks: 18
; NumSGPRsForWavesPerEU: 39
; NumVGPRsForWavesPerEU: 150
; Occupancy: 9
; WaveLimiterHint : 1
; COMPUTE_PGM_RSRC2:SCRATCH_EN: 0
; COMPUTE_PGM_RSRC2:USER_SGPR: 13
; COMPUTE_PGM_RSRC2:TRAP_HANDLER: 0
; COMPUTE_PGM_RSRC2:TGID_X_EN: 1
; COMPUTE_PGM_RSRC2:TGID_Y_EN: 1
; COMPUTE_PGM_RSRC2:TGID_Z_EN: 1
; COMPUTE_PGM_RSRC2:TIDIG_COMP_CNT: 0
	.section	.text._Z39paged_attention_ll4mi_QKV_mfma16_kernelIDF16_hLN4vllm18Fp8KVCacheDataTypeE1EDF16_Li32ELi128ELi256ELb1ELi16EL8MFMAType1EEvPKT_PKT0_S8_ifPKiSA_SA_iPKfiiiPfSD_PS3_PT2_iSC_SC_,"axG",@progbits,_Z39paged_attention_ll4mi_QKV_mfma16_kernelIDF16_hLN4vllm18Fp8KVCacheDataTypeE1EDF16_Li32ELi128ELi256ELb1ELi16EL8MFMAType1EEvPKT_PKT0_S8_ifPKiSA_SA_iPKfiiiPfSD_PS3_PT2_iSC_SC_,comdat
	.protected	_Z39paged_attention_ll4mi_QKV_mfma16_kernelIDF16_hLN4vllm18Fp8KVCacheDataTypeE1EDF16_Li32ELi128ELi256ELb1ELi16EL8MFMAType1EEvPKT_PKT0_S8_ifPKiSA_SA_iPKfiiiPfSD_PS3_PT2_iSC_SC_ ; -- Begin function _Z39paged_attention_ll4mi_QKV_mfma16_kernelIDF16_hLN4vllm18Fp8KVCacheDataTypeE1EDF16_Li32ELi128ELi256ELb1ELi16EL8MFMAType1EEvPKT_PKT0_S8_ifPKiSA_SA_iPKfiiiPfSD_PS3_PT2_iSC_SC_
	.globl	_Z39paged_attention_ll4mi_QKV_mfma16_kernelIDF16_hLN4vllm18Fp8KVCacheDataTypeE1EDF16_Li32ELi128ELi256ELb1ELi16EL8MFMAType1EEvPKT_PKT0_S8_ifPKiSA_SA_iPKfiiiPfSD_PS3_PT2_iSC_SC_
	.p2align	8
	.type	_Z39paged_attention_ll4mi_QKV_mfma16_kernelIDF16_hLN4vllm18Fp8KVCacheDataTypeE1EDF16_Li32ELi128ELi256ELb1ELi16EL8MFMAType1EEvPKT_PKT0_S8_ifPKiSA_SA_iPKfiiiPfSD_PS3_PT2_iSC_SC_,@function
_Z39paged_attention_ll4mi_QKV_mfma16_kernelIDF16_hLN4vllm18Fp8KVCacheDataTypeE1EDF16_Li32ELi128ELi256ELb1ELi16EL8MFMAType1EEvPKT_PKT0_S8_ifPKiSA_SA_iPKfiiiPfSD_PS3_PT2_iSC_SC_: ; @_Z39paged_attention_ll4mi_QKV_mfma16_kernelIDF16_hLN4vllm18Fp8KVCacheDataTypeE1EDF16_Li32ELi128ELi256ELb1ELi16EL8MFMAType1EEvPKT_PKT0_S8_ifPKiSA_SA_iPKfiiiPfSD_PS3_PT2_iSC_SC_
; %bb.0:
	s_load_b64 s[4:5], s[0:1], 0x30
	s_mov_b32 s30, s13
	s_waitcnt lgkmcnt(0)
	s_cmp_lg_u64 s[4:5], 0
	s_cselect_b32 s8, -1, 0
	s_ashr_i32 s31, s13, 31
	s_cmp_eq_u64 s[4:5], 0
	s_cbranch_scc1 .LBB1065_3
; %bb.1:
	s_lshl_b64 s[2:3], s[30:31], 2
	s_delay_alu instid0(SALU_CYCLE_1) | instskip(SKIP_4) | instid1(SALU_CYCLE_1)
	s_add_u32 s2, s4, s2
	s_addc_u32 s3, s5, s3
	s_load_b64 s[2:3], s[2:3], 0x0
	s_waitcnt lgkmcnt(0)
	s_sub_i32 s2, s3, s2
	s_cmp_eq_u32 s2, 1
	s_cselect_b32 s2, -1, 0
	s_delay_alu instid0(SALU_CYCLE_1)
	s_and_not1_b32 vcc_lo, exec_lo, s2
	s_cbranch_vccz .LBB1065_4
.LBB1065_2:
	s_endpgm
.LBB1065_3:
.LBB1065_4:
	s_load_b64 s[2:3], s[0:1], 0x28
	s_lshl_b64 s[6:7], s[30:31], 2
	s_waitcnt lgkmcnt(0)
	s_add_u32 s2, s2, s6
	s_addc_u32 s3, s3, s7
	s_lshl_b32 s12, s14, 8
	s_load_b32 s24, s[2:3], 0x0
	s_waitcnt lgkmcnt(0)
	s_cmp_ge_i32 s12, s24
	s_cbranch_scc1 .LBB1065_2
; %bb.5:
	s_clause 0x1
	s_load_b128 s[20:23], s[0:1], 0x8
	s_load_b64 s[2:3], s[0:1], 0x20
	s_and_not1_b32 vcc_lo, exec_lo, s8
	s_cbranch_vccnz .LBB1065_7
; %bb.6:
	s_add_u32 s4, s4, s6
	s_addc_u32 s5, s5, s7
	s_load_b32 s5, s[4:5], 0x0
	s_branch .LBB1065_8
.LBB1065_7:
	s_mov_b32 s5, s30
.LBB1065_8:
	s_load_b128 s[16:19], s[0:1], 0x48
	v_and_b32_e32 v70, 15, v0
	v_lshrrev_b32_e32 v69, 5, v0
	v_and_b32_e32 v71, 31, v0
	v_and_b32_e32 v67, 1, v0
	v_bfe_u32 v66, v0, 4, 1
	v_lshlrev_b32_e32 v1, 3, v70
	s_lshl_b32 s31, s15, 4
	s_mov_b32 s4, exec_lo
	s_delay_alu instid0(VALU_DEP_1)
	v_lshlrev_b32_e32 v65, 1, v1
	v_cmpx_gt_u32_e32 0x100, v0
	s_cbranch_execz .LBB1065_10
; %bb.9:
	v_lshl_or_b32 v5, v69, 1, v66
	s_load_b64 s[6:7], s[0:1], 0x0
	s_waitcnt lgkmcnt(0)
	s_mul_hi_i32 s9, s5, s16
	s_mul_i32 s8, s5, s16
	v_lshlrev_b32_e32 v6, 10, v70
	v_or_b32_e32 v1, s31, v5
	s_lshl_b64 s[8:9], s[8:9], 1
	v_lshlrev_b32_e32 v5, 6, v5
	v_lshlrev_b32_e32 v7, 10, v67
	v_and_b32_e32 v6, 0x3800, v6
	v_lshlrev_b32_e32 v1, 7, v1
	s_delay_alu instid0(VALU_DEP_2) | instskip(NEXT) | instid1(VALU_DEP_2)
	v_or3_b32 v5, v6, v7, v5
	v_ashrrev_i32_e32 v2, 31, v1
	s_delay_alu instid0(VALU_DEP_1) | instskip(SKIP_2) | instid1(VALU_DEP_1)
	v_lshlrev_b64 v[1:2], 1, v[1:2]
	s_add_u32 s5, s6, s8
	s_addc_u32 s6, s7, s9
	v_add_co_u32 v1, vcc_lo, s5, v1
	s_delay_alu instid0(VALU_DEP_2) | instskip(NEXT) | instid1(VALU_DEP_2)
	v_add_co_ci_u32_e32 v2, vcc_lo, s6, v2, vcc_lo
	v_add_co_u32 v1, vcc_lo, v1, v65
	s_delay_alu instid0(VALU_DEP_2)
	v_add_co_ci_u32_e32 v2, vcc_lo, 0, v2, vcc_lo
	global_load_b128 v[1:4], v[1:2], off
	s_waitcnt vmcnt(0)
	ds_store_b128 v5, v[1:4]
.LBB1065_10:
	s_or_b32 exec_lo, exec_lo, s4
	v_and_b32_e32 v1, 0xef, v0
	s_waitcnt lgkmcnt(0)
	s_add_i32 s5, s24, 31
	s_clause 0x1
	s_load_b32 s4, s[0:1], 0x38
	s_load_b32 s33, s[0:1], 0x98
	s_ashr_i32 s6, s5, 31
	v_add_nc_u32_e32 v1, s12, v1
	s_lshr_b32 s6, s6, 27
	s_load_b32 s19, s[0:1], 0x1c
	s_add_i32 s5, s5, s6
	s_waitcnt lgkmcnt(0)
	v_ashrrev_i32_e32 v2, 31, v1
	v_or_b32_e32 v3, 16, v1
	s_ashr_i32 s13, s5, 5
	v_cmp_gt_i32_e32 vcc_lo, s24, v1
	s_add_i32 s13, s13, -1
	v_lshrrev_b32_e32 v2, 27, v2
	s_barrier
	buffer_gl0_inv
	s_mul_i32 s35, s15, s18
	v_add_nc_u32_e32 v4, v1, v2
	s_mul_i32 s4, s30, s4
	s_delay_alu instid0(SALU_CYCLE_1) | instskip(NEXT) | instid1(VALU_DEP_1)
	s_ashr_i32 s5, s4, 31
	v_ashrrev_i32_e32 v4, 5, v4
	v_add_nc_u32_e32 v2, v3, v2
	s_lshl_b64 s[4:5], s[4:5], 2
	s_delay_alu instid0(SALU_CYCLE_1) | instskip(NEXT) | instid1(VALU_DEP_2)
	s_add_u32 s25, s2, s4
	v_cndmask_b32_e32 v1, s13, v4, vcc_lo
	s_delay_alu instid0(VALU_DEP_2)
	v_ashrrev_i32_e32 v2, 5, v2
	v_cmp_gt_i32_e32 vcc_lo, s24, v3
	s_addc_u32 s34, s3, s5
	s_ashr_i32 s36, s35, 31
	s_add_u32 s4, s20, s35
	s_addc_u32 s5, s21, s36
	v_cndmask_b32_e32 v3, s13, v2, vcc_lo
	v_ashrrev_i32_e32 v2, 31, v1
	s_lshl_b32 s2, s14, 3
	s_delay_alu instid0(SALU_CYCLE_1) | instskip(NEXT) | instid1(VALU_DEP_2)
	s_ashr_i32 s3, s2, 31
	v_ashrrev_i32_e32 v4, 31, v3
	s_delay_alu instid0(VALU_DEP_2) | instskip(SKIP_1) | instid1(SALU_CYCLE_1)
	v_lshlrev_b64 v[1:2], 2, v[1:2]
	s_lshl_b64 s[2:3], s[2:3], 2
	s_add_u32 s2, s25, s2
	s_delay_alu instid0(VALU_DEP_2) | instskip(SKIP_1) | instid1(VALU_DEP_2)
	v_lshlrev_b64 v[3:4], 2, v[3:4]
	s_addc_u32 s3, s34, s3
	v_add_co_u32 v1, vcc_lo, s25, v1
	v_add_co_ci_u32_e32 v2, vcc_lo, s34, v2, vcc_lo
	s_delay_alu instid0(VALU_DEP_3) | instskip(NEXT) | instid1(VALU_DEP_4)
	v_add_co_u32 v3, vcc_lo, s25, v3
	v_add_co_ci_u32_e32 v4, vcc_lo, s34, v4, vcc_lo
	s_clause 0x1
	global_load_b32 v5, v[1:2], off
	global_load_b32 v6, v[3:4], off
	s_or_b32 s6, s12, 32
	s_delay_alu instid0(SALU_CYCLE_1) | instskip(SKIP_2) | instid1(SALU_CYCLE_1)
	s_ashr_i32 s7, s6, 5
	s_cmp_lt_i32 s6, s24
	s_cselect_b32 s6, s7, s13
	s_ashr_i32 s7, s6, 31
	s_delay_alu instid0(SALU_CYCLE_1) | instskip(NEXT) | instid1(SALU_CYCLE_1)
	s_lshl_b64 s[6:7], s[6:7], 2
	s_add_u32 s6, s25, s6
	s_addc_u32 s7, s34, s7
	s_or_b32 s8, s12, 64
	s_delay_alu instid0(SALU_CYCLE_1) | instskip(SKIP_2) | instid1(SALU_CYCLE_1)
	s_ashr_i32 s9, s8, 5
	s_cmp_lt_i32 s8, s24
	s_cselect_b32 s8, s9, s13
	s_ashr_i32 s9, s8, 31
	s_delay_alu instid0(SALU_CYCLE_1) | instskip(NEXT) | instid1(SALU_CYCLE_1)
	s_lshl_b64 s[8:9], s[8:9], 2
	s_add_u32 s8, s25, s8
	s_addc_u32 s9, s34, s9
	;; [unrolled: 10-line block ×5, first 2 shown]
	s_clause 0x5
	s_load_b32 s20, s[2:3], 0x0
	s_load_b32 s2, s[6:7], 0x0
	;; [unrolled: 1-line block ×6, first 2 shown]
	s_or_b32 s8, s12, 0xc0
	s_delay_alu instid0(SALU_CYCLE_1) | instskip(SKIP_2) | instid1(SALU_CYCLE_1)
	s_ashr_i32 s9, s8, 5
	s_cmp_lt_i32 s8, s24
	s_cselect_b32 s26, s9, s13
	s_ashr_i32 s27, s26, 31
	s_delay_alu instid0(SALU_CYCLE_1) | instskip(NEXT) | instid1(SALU_CYCLE_1)
	s_lshl_b64 s[26:27], s[26:27], 2
	s_add_u32 s26, s25, s26
	s_addc_u32 s27, s34, s27
	s_or_b32 s21, s12, 0xe0
	s_waitcnt vmcnt(1)
	v_mad_i64_i32 v[1:2], null, v5, s17, s[4:5]
	s_waitcnt vmcnt(0)
	v_mad_i64_i32 v[3:4], null, v6, s17, s[4:5]
	s_mov_b32 s4, 0
	s_delay_alu instid0(SALU_CYCLE_1)
	s_mov_b32 s5, s4
	s_mov_b32 s6, s4
	;; [unrolled: 1-line block ×7, first 2 shown]
	v_lshlrev_b32_e32 v5, 4, v70
	v_dual_mov_b32 v103, s11 :: v_dual_mov_b32 v98, s6
	v_dual_mov_b32 v101, s9 :: v_dual_lshlrev_b32 v68, 6, v70
	s_delay_alu instid0(VALU_DEP_3)
	v_add_co_u32 v33, vcc_lo, v1, v5
	v_add_co_ci_u32_e32 v34, vcc_lo, 0, v2, vcc_lo
	v_add_co_u32 v35, vcc_lo, v3, v5
	v_add_co_ci_u32_e32 v36, vcc_lo, 0, v4, vcc_lo
	s_clause 0xf
	global_load_b128 v[1:4], v[33:34], off
	global_load_b128 v[5:8], v[33:34], off offset:512
	global_load_b128 v[9:12], v[35:36], off offset:256
	;; [unrolled: 1-line block ×15, first 2 shown]
	v_dual_mov_b32 v96, s4 :: v_dual_lshlrev_b32 v41, 5, v70
	v_mov_b32_e32 v102, s10
	v_dual_mov_b32 v100, s8 :: v_dual_mov_b32 v99, s7
	v_mov_b32_e32 v97, s5
	s_ashr_i32 s4, s21, 5
	s_cmp_lt_i32 s21, s24
	ds_load_b128 v[33:36], v68
	ds_load_b128 v[37:40], v68 offset:1024
	s_cselect_b32 s4, s4, s13
	ds_load_b128 v[104:107], v68 offset:2048
	ds_load_b128 v[108:111], v68 offset:3072
	s_ashr_i32 s5, s4, 31
	s_load_b32 s6, s[26:27], 0x0
	s_lshl_b64 s[4:5], s[4:5], 2
	ds_load_b128 v[112:115], v68 offset:4096
	ds_load_b128 v[116:119], v68 offset:5120
	s_add_u32 s4, s25, s4
	s_addc_u32 s5, s34, s5
	v_lshl_or_b32 v41, v69, 9, v41
	s_load_b32 s4, s[4:5], 0x0
	s_add_u32 s7, s22, s35
	s_addc_u32 s8, s23, s36
	s_delay_alu instid0(VALU_DEP_1) | instskip(NEXT) | instid1(VALU_DEP_1)
	v_add_co_u32 v128, s7, s7, v41
	v_add_co_ci_u32_e64 v129, null, s8, 0, s7
	s_waitcnt lgkmcnt(0)
	s_delay_alu instid0(VALU_DEP_1)
	v_mad_i64_i32 v[41:42], null, s20, s17, v[128:129]
	v_mad_i64_i32 v[130:131], null, s3, s17, v[128:129]
	;; [unrolled: 1-line block ×7, first 2 shown]
	s_clause 0x3
	global_load_b128 v[49:52], v[41:42], off
	global_load_b128 v[53:56], v[41:42], off offset:16
	global_load_b128 v[41:44], v[45:46], off
	global_load_b128 v[45:48], v[45:46], off offset:16
	s_waitcnt vmcnt(18)
	v_wmma_f32_16x16x16_f16 v[120:127], v[1:8], v[33:40], v[96:103]
	s_waitcnt vmcnt(16)
	v_wmma_f32_16x16x16_f16 v[96:103], v[9:16], v[33:40], v[96:103]
	s_clause 0x3
	global_load_b128 v[33:36], v[130:131], off
	global_load_b128 v[37:40], v[130:131], off offset:16
	global_load_b128 v[1:4], v[132:133], off
	global_load_b128 v[5:8], v[132:133], off offset:16
	s_waitcnt vmcnt(18)
	v_wmma_f32_16x16x16_f16 v[120:127], v[17:24], v[104:111], v[120:127]
	s_clause 0x3
	global_load_b128 v[9:12], v[134:135], off
	global_load_b128 v[13:16], v[134:135], off offset:16
	global_load_b128 v[17:20], v[136:137], off
	global_load_b128 v[21:24], v[136:137], off offset:16
	s_waitcnt vmcnt(20)
	v_wmma_f32_16x16x16_f16 v[96:103], v[25:32], v[104:111], v[96:103]
	v_mad_i64_i32 v[104:105], null, s4, s17, v[128:129]
	s_waitcnt vmcnt(18)
	v_wmma_f32_16x16x16_f16 v[120:127], v[57:64], v[112:119], v[120:127]
	s_clause 0x3
	global_load_b128 v[25:28], v[138:139], off
	global_load_b128 v[29:32], v[138:139], off offset:16
	global_load_b128 v[57:60], v[104:105], off
	global_load_b128 v[61:64], v[104:105], off offset:16
	s_waitcnt vmcnt(20)
	v_wmma_f32_16x16x16_f16 v[96:103], v[72:79], v[112:119], v[96:103]
	ds_load_b128 v[72:75], v68 offset:6144
	ds_load_b128 v[76:79], v68 offset:7168
	v_and_b32_e32 v104, 0xe0, v0
	v_mbcnt_lo_u32_b32 v105, -1, 0
	s_waitcnt vmcnt(0) lgkmcnt(0)
	s_barrier
	buffer_gl0_inv
	v_add_nc_u32_e32 v104, s12, v104
	v_xor_b32_e32 v106, 16, v105
	s_delay_alu instid0(VALU_DEP_2) | instskip(NEXT) | instid1(VALU_DEP_2)
	v_or_b32_e32 v104, v104, v66
	v_cmp_gt_i32_e32 vcc_lo, 32, v106
	s_delay_alu instid0(VALU_DEP_2)
	v_or_b32_e32 v107, 4, v104
	v_or_b32_e32 v108, 6, v104
	v_cmp_gt_i32_e64 s2, s24, v104
	v_or_b32_e32 v109, 8, v104
	v_wmma_f32_16x16x16_f16 v[120:127], v[80:87], v[72:79], v[120:127]
	v_cndmask_b32_e32 v105, v105, v106, vcc_lo
	v_or_b32_e32 v106, 2, v104
	v_wmma_f32_16x16x16_f16 v[96:103], v[88:95], v[72:79], v[96:103]
	v_or_b32_e32 v80, 10, v104
	v_dual_mul_f32 v78, s19, v124 :: v_dual_mul_f32 v79, s19, v123
	v_dual_mul_f32 v90, s19, v120 :: v_dual_mul_f32 v89, s19, v121
	s_delay_alu instid0(VALU_DEP_4) | instskip(SKIP_2) | instid1(VALU_DEP_4)
	v_mul_f32_e32 v92, s19, v102
	v_cmp_gt_i32_e32 vcc_lo, s24, v106
	v_dual_mul_f32 v77, s19, v125 :: v_dual_mul_f32 v88, s19, v122
	v_cndmask_b32_e64 v90, 0xff7fffff, v90, s2
	v_cmp_gt_i32_e64 s3, s24, v107
	v_cndmask_b32_e32 v89, 0xff7fffff, v89, vcc_lo
	v_cmp_gt_i32_e64 s4, s24, v108
	v_or_b32_e32 v81, 12, v104
	v_or_b32_e32 v82, 14, v104
	v_cndmask_b32_e64 v88, 0xff7fffff, v88, s3
	v_max3_f32 v89, v90, 0xff7fffff, v89
	v_cndmask_b32_e64 v79, 0xff7fffff, v79, s4
	v_cmp_gt_i32_e64 s5, s24, v109
	v_cmp_gt_i32_e64 s6, s24, v80
	v_or_b32_e32 v83, 16, v104
	v_or_b32_e32 v84, 18, v104
	v_dual_mul_f32 v75, s19, v127 :: v_dual_mul_f32 v76, s19, v126
	v_cndmask_b32_e64 v78, 0xff7fffff, v78, s5
	v_cndmask_b32_e64 v77, 0xff7fffff, v77, s6
	v_max3_f32 v79, v89, v88, v79
	v_cmp_gt_i32_e64 s7, s24, v81
	v_cmp_gt_i32_e64 s8, s24, v82
	v_or_b32_e32 v85, 20, v104
	v_or_b32_e32 v86, 22, v104
	;; [unrolled: 1-line block ×6, first 2 shown]
	v_dual_mul_f32 v95, s19, v99 :: v_dual_mul_f32 v104, s19, v97
	v_mul_f32_e32 v107, s19, v96
	v_cndmask_b32_e64 v76, 0xff7fffff, v76, s7
	v_cndmask_b32_e64 v75, 0xff7fffff, v75, s8
	v_max3_f32 v77, v79, v78, v77
	v_cmp_gt_i32_e64 s9, s24, v83
	v_cmp_gt_i32_e64 s10, s24, v84
	v_dual_mul_f32 v93, s19, v101 :: v_dual_mul_f32 v106, s19, v98
	s_delay_alu instid0(VALU_DEP_4) | instskip(NEXT) | instid1(VALU_DEP_4)
	v_max3_f32 v75, v77, v76, v75
	v_cndmask_b32_e64 v78, 0xff7fffff, v107, s9
	s_delay_alu instid0(VALU_DEP_4) | instskip(SKIP_3) | instid1(VALU_DEP_4)
	v_cndmask_b32_e64 v79, 0xff7fffff, v104, s10
	v_cmp_gt_i32_e64 s11, s24, v85
	v_cmp_gt_i32_e64 s12, s24, v86
	v_dual_mul_f32 v91, s19, v103 :: v_dual_mul_f32 v94, s19, v100
	v_max3_f32 v75, v75, v78, v79
	s_delay_alu instid0(VALU_DEP_4) | instskip(NEXT) | instid1(VALU_DEP_4)
	v_cndmask_b32_e64 v76, 0xff7fffff, v106, s11
	v_cndmask_b32_e64 v77, 0xff7fffff, v95, s12
	v_cmp_gt_i32_e64 s13, s24, v87
	v_cmp_gt_i32_e64 s15, s24, v72
	;; [unrolled: 1-line block ×4, first 2 shown]
	v_max3_f32 v75, v75, v76, v77
	v_cndmask_b32_e64 v78, 0xff7fffff, v94, s13
	v_cndmask_b32_e64 v72, 0xff7fffff, v93, s15
	;; [unrolled: 1-line block ×4, first 2 shown]
	s_delay_alu instid0(VALU_DEP_3) | instskip(SKIP_1) | instid1(VALU_DEP_2)
	v_max3_f32 v72, v75, v78, v72
	v_lshlrev_b32_e32 v75, 2, v105
	v_max3_f32 v72, v72, v73, v74
	ds_bpermute_b32 v73, v75, v72
	s_waitcnt lgkmcnt(0)
	v_max_f32_e32 v73, v73, v73
	s_delay_alu instid0(VALU_DEP_1) | instskip(NEXT) | instid1(VALU_DEP_1)
	v_max_f32_e32 v72, v72, v73
	v_fma_f32 v76, s19, v122, -v72
	v_fma_f32 v73, s19, v120, -v72
	;; [unrolled: 1-line block ×5, first 2 shown]
	v_mul_f32_e32 v76, 0x3fb8aa3b, v76
	v_fma_f32 v82, s19, v126, -v72
	v_mul_f32_e32 v74, 0x3fb8aa3b, v74
	v_fma_f32 v86, s19, v99, -v72
	v_fma_f32 v91, s19, v103, -v72
	v_exp_f32_e32 v76, v76
	v_mul_f32_e32 v82, 0x3fb8aa3b, v82
	v_exp_f32_e32 v74, v74
	v_mul_f32_e32 v88, 0x3fb8aa3b, v86
	v_fma_f32 v89, s19, v101, -v72
	s_delay_alu instid0(VALU_DEP_3) | instskip(NEXT) | instid1(VALU_DEP_2)
	v_exp_f32_e32 v84, v82
	v_exp_f32_e32 v90, v88
	s_delay_alu instid0(VALU_DEP_1)
	v_mul_f32_e32 v89, 0x3fb8aa3b, v89
	v_cndmask_b32_e64 v80, 0, v76, s3
	v_mul_f32_e32 v73, 0x3fb8aa3b, v73
	v_fma_f32 v76, s19, v127, -v72
	v_mul_f32_e32 v77, 0x3fb8aa3b, v77
	v_exp_f32_e32 v89, v89
	s_delay_alu instid0(VALU_DEP_3) | instskip(NEXT) | instid1(VALU_DEP_2)
	v_exp_f32_e32 v73, v73
	v_mul_f32_e32 v76, 0x3fb8aa3b, v76
	s_delay_alu instid0(VALU_DEP_2) | instskip(SKIP_2) | instid1(VALU_DEP_3)
	v_exp_f32_e32 v81, v77
	v_cndmask_b32_e32 v77, 0, v74, vcc_lo
	v_cndmask_b32_e64 v84, 0, v84, s7
	v_exp_f32_e32 v76, v76
	v_cndmask_b32_e64 v89, 0, v89, s15
	s_delay_alu instid0(TRANS32_DEP_3) | instskip(SKIP_2) | instid1(VALU_DEP_2)
	v_cndmask_b32_e64 v78, 0, v73, s2
	v_fma_f32 v73, s19, v125, -v72
	s_mov_b32 s2, exec_lo
	v_dual_add_f32 v74, 0, v78 :: v_dual_mul_f32 v79, 0x3fb8aa3b, v79
	s_delay_alu instid0(VALU_DEP_2) | instskip(NEXT) | instid1(VALU_DEP_2)
	v_mul_f32_e32 v73, 0x3fb8aa3b, v73
	v_add_f32_e32 v74, v74, v77
	s_delay_alu instid0(VALU_DEP_3) | instskip(NEXT) | instid1(VALU_DEP_2)
	v_exp_f32_e32 v83, v79
	v_exp_f32_e32 v73, v73
	v_cndmask_b32_e64 v79, 0, v81, s4
	v_fma_f32 v81, s19, v96, -v72
	s_delay_alu instid0(VALU_DEP_1) | instskip(NEXT) | instid1(VALU_DEP_1)
	v_dual_add_f32 v74, v74, v80 :: v_dual_mul_f32 v85, 0x3fb8aa3b, v81
	v_add_f32_e32 v74, v74, v79
	s_waitcnt_depctr 0xfff
	v_cndmask_b32_e64 v82, 0, v83, s5
	v_fma_f32 v83, s19, v97, -v72
	v_cndmask_b32_e64 v81, 0, v73, s6
	v_exp_f32_e32 v85, v85
	s_delay_alu instid0(VALU_DEP_2) | instskip(NEXT) | instid1(VALU_DEP_1)
	v_mul_f32_e32 v83, 0x3fb8aa3b, v83
	v_exp_f32_e32 v87, v83
	v_cndmask_b32_e64 v83, 0, v76, s8
	v_fma_f32 v76, s19, v100, -v72
	v_add_f32_e32 v73, v74, v82
	v_fma_f32 v74, s19, v98, -v72
	s_delay_alu instid0(TRANS32_DEP_2) | instskip(NEXT) | instid1(VALU_DEP_4)
	v_cndmask_b32_e64 v86, 0, v85, s9
	v_mul_f32_e32 v76, 0x3fb8aa3b, v76
	s_delay_alu instid0(VALU_DEP_3) | instskip(NEXT) | instid1(TRANS32_DEP_1)
	v_mul_f32_e32 v74, 0x3fb8aa3b, v74
	v_cndmask_b32_e64 v85, 0, v87, s10
	v_fma_f32 v87, s19, v102, -v72
	v_add_f32_e32 v73, v73, v81
	v_exp_f32_e32 v76, v76
	v_exp_f32_e32 v74, v74
	s_waitcnt_depctr 0xfff
	v_cndmask_b32_e64 v88, 0, v74, s11
	v_dual_mul_f32 v74, 0x3fb8aa3b, v87 :: v_dual_add_f32 v73, v73, v84
	v_cndmask_b32_e64 v87, 0, v90, s12
	v_cndmask_b32_e64 v90, 0, v76, s13
	v_mul_f32_e32 v76, 0x3fb8aa3b, v91
	s_delay_alu instid0(VALU_DEP_4) | instskip(SKIP_1) | instid1(VALU_DEP_2)
	v_exp_f32_e32 v74, v74
	v_add_f32_e32 v73, v73, v83
	v_exp_f32_e32 v76, v76
	s_delay_alu instid0(VALU_DEP_1) | instskip(SKIP_4) | instid1(VALU_DEP_2)
	v_add_f32_e32 v73, v73, v86
	s_waitcnt_depctr 0xfff
	v_cndmask_b32_e64 v92, 0, v74, s16
	v_add_f32_e32 v73, v73, v85
	v_cndmask_b32_e64 v91, 0, v76, s17
	v_add_f32_e32 v73, v73, v88
	s_delay_alu instid0(VALU_DEP_1) | instskip(NEXT) | instid1(VALU_DEP_1)
	v_add_f32_e32 v73, v73, v87
	v_add_f32_e32 v73, v73, v90
	s_delay_alu instid0(VALU_DEP_1) | instskip(NEXT) | instid1(VALU_DEP_1)
	v_add_f32_e32 v73, v73, v89
	v_add_f32_e32 v73, v73, v92
	s_delay_alu instid0(VALU_DEP_1)
	v_add_f32_e32 v73, v73, v91
	ds_bpermute_b32 v74, v75, v73
	v_cmpx_gt_u32_e32 16, v71
	s_cbranch_execz .LBB1065_12
; %bb.11:
	v_mul_u32_u24_e32 v71, 0x44, v69
	s_waitcnt lgkmcnt(0)
	v_add_f32_e32 v73, v73, v74
	s_delay_alu instid0(VALU_DEP_2) | instskip(NEXT) | instid1(VALU_DEP_1)
	v_lshl_add_u32 v71, v70, 2, v71
	v_add_nc_u32_e32 v71, 0x4000, v71
	ds_store_2addr_b32 v71, v72, v73 offset1:136
.LBB1065_12:
	s_or_b32 exec_lo, exec_lo, s2
	v_lshlrev_b32_e32 v70, 2, v70
	s_load_b32 s34, s[0:1], 0x94
	s_waitcnt lgkmcnt(0)
	s_barrier
	buffer_gl0_inv
	v_add_nc_u32_e32 v74, 0x4000, v70
	v_cmp_eq_u32_e32 vcc_lo, 1, v69
	v_cmp_eq_u32_e64 s2, 2, v69
	v_cmp_eq_u32_e64 s3, 3, v69
	;; [unrolled: 1-line block ×3, first 2 shown]
	ds_load_2addr_b32 v[70:71], v74 offset1:17
	ds_load_2addr_b32 v[72:73], v74 offset0:34 offset1:51
	ds_load_2addr_b32 v[93:94], v74 offset0:68 offset1:85
	;; [unrolled: 1-line block ×3, first 2 shown]
	v_cmp_eq_u32_e64 s5, 7, v69
	s_waitcnt lgkmcnt(3)
	v_max3_f32 v75, v70, 0xff7fffff, v71
	s_waitcnt lgkmcnt(2)
	s_delay_alu instid0(VALU_DEP_1) | instskip(SKIP_1) | instid1(VALU_DEP_1)
	v_max3_f32 v75, v75, v72, v73
	s_waitcnt lgkmcnt(1)
	v_max3_f32 v75, v75, v93, v94
	s_waitcnt lgkmcnt(0)
	s_delay_alu instid0(VALU_DEP_1) | instskip(NEXT) | instid1(VALU_DEP_1)
	v_max3_f32 v75, v75, v95, v96
	v_sub_f32_e32 v93, v93, v75
	ds_load_2addr_b32 v[97:98], v74 offset0:136 offset1:153
	v_sub_f32_e32 v70, v70, v75
	v_dual_sub_f32 v100, v73, v75 :: v_dual_mul_f32 v103, 0x3fb8aa3b, v93
	s_delay_alu instid0(VALU_DEP_2) | instskip(SKIP_3) | instid1(VALU_DEP_1)
	v_dual_sub_f32 v76, v71, v75 :: v_dual_mul_f32 v99, 0x3fb8aa3b, v70
	ds_load_2addr_b32 v[70:71], v74 offset0:170 offset1:187
	v_mul_f32_e32 v76, 0x3fb8aa3b, v76
	v_exp_f32_e32 v99, v99
	v_exp_f32_e32 v102, v76
	v_mul_f32_e32 v100, 0x3fb8aa3b, v100
	s_waitcnt lgkmcnt(1)
	s_waitcnt_depctr 0xfff
	v_fma_f32 v76, v99, v97, 0
	v_sub_f32_e32 v97, v94, v75
	v_sub_f32_e32 v72, v72, v75
	v_exp_f32_e32 v100, v100
	ds_load_2addr_b32 v[93:94], v74 offset0:238 offset1:255
	v_dual_fmac_f32 v76, v102, v98 :: v_dual_mul_f32 v101, 0x3fb8aa3b, v72
	ds_load_2addr_b32 v[72:73], v74 offset0:204 offset1:221
	v_dual_sub_f32 v74, v95, v75 :: v_dual_mul_f32 v95, 0x3fb8aa3b, v97
	v_exp_f32_e32 v97, v103
	v_exp_f32_e32 v101, v101
	s_waitcnt lgkmcnt(0)
	s_delay_alu instid0(VALU_DEP_1)
	v_mul_f32_e32 v74, 0x3fb8aa3b, v74
	v_exp_f32_e32 v95, v95
	s_barrier
	buffer_gl0_inv
	v_fmac_f32_e32 v76, v101, v70
	v_sub_f32_e32 v70, v96, v75
	v_exp_f32_e32 v96, v74
	s_delay_alu instid0(VALU_DEP_2) | instskip(NEXT) | instid1(VALU_DEP_2)
	v_fmac_f32_e32 v76, v100, v71
	v_mul_f32_e32 v70, 0x3fb8aa3b, v70
	s_delay_alu instid0(VALU_DEP_2) | instskip(NEXT) | instid1(VALU_DEP_2)
	v_dual_cndmask_b32 v71, v99, v102 :: v_dual_fmac_f32 v76, v97, v72
	v_exp_f32_e32 v98, v70
	s_delay_alu instid0(VALU_DEP_1) | instskip(SKIP_2) | instid1(VALU_DEP_1)
	v_fmac_f32_e32 v76, v95, v73
	s_waitcnt_depctr 0xfff
	v_fmac_f32_e32 v76, v96, v93
	v_fmac_f32_e32 v76, v98, v94
	s_delay_alu instid0(VALU_DEP_1) | instskip(NEXT) | instid1(VALU_DEP_1)
	v_add_f32_e32 v93, 0x358637bd, v76
	v_div_scale_f32 v94, null, v93, v93, 1.0
	v_div_scale_f32 v99, vcc_lo, 1.0, v93, 1.0
	s_delay_alu instid0(VALU_DEP_2) | instskip(SKIP_2) | instid1(VALU_DEP_1)
	v_rcp_f32_e32 v103, v94
	s_waitcnt_depctr 0xfff
	v_fma_f32 v70, -v94, v103, 1.0
	v_fmac_f32_e32 v103, v70, v103
	v_cndmask_b32_e64 v70, v71, v101, s2
	v_cmp_eq_u32_e64 s2, 4, v69
	v_lshlrev_b32_e32 v71, 2, v66
	s_delay_alu instid0(VALU_DEP_4) | instskip(NEXT) | instid1(VALU_DEP_4)
	v_mul_f32_e32 v101, v99, v103
	v_cndmask_b32_e64 v72, v70, v100, s3
	v_cmp_eq_u32_e64 s3, 6, v69
	v_lshl_or_b32 v70, v69, 11, v68
	v_or_b32_e32 v74, 1, v71
	v_fma_f32 v73, -v94, v101, v99
	v_cndmask_b32_e64 v72, v72, v97, s2
	v_cmp_eq_u32_e64 s2, 1, v71
	v_lshl_or_b32 v69, v66, 4, v70
	v_cmp_eq_u32_e64 s8, 1, v74
	v_fmac_f32_e32 v101, v73, v103
	v_cndmask_b32_e64 v95, v72, v95, s4
	v_or_b32_e32 v72, 2, v71
	v_or_b32_e32 v73, 3, v71
	v_cmp_eq_u32_e64 s11, 2, v74
	v_fma_f32 v94, -v94, v101, v99
	v_cndmask_b32_e64 v95, v95, v96, s3
	v_cmp_eq_u32_e64 s9, 1, v72
	v_cmp_eq_u32_e64 s10, 1, v73
	;; [unrolled: 1-line block ×3, first 2 shown]
	v_div_fmas_f32 v94, v94, v103, v101
	v_cndmask_b32_e64 v95, v95, v98, s5
	v_cmp_eq_u32_e32 vcc_lo, 2, v71
	v_cmp_eq_u32_e64 s15, 2, v73
	v_cmp_eq_u32_e64 s17, 3, v73
	v_div_fixup_f32 v93, v94, v93, 1.0
	v_cmp_eq_u32_e64 s3, 3, v71
	v_cmp_eq_u32_e64 s12, 3, v74
	;; [unrolled: 1-line block ×4, first 2 shown]
	v_mul_f32_e32 v101, v95, v93
	v_cmp_eq_u32_e64 s4, 4, v71
	v_cmp_eq_u32_e64 s18, 4, v74
	;; [unrolled: 1-line block ×4, first 2 shown]
	v_fma_mixlo_f16 v93, v101, v78, 0
	v_fma_mixlo_f16 v94, v101, v80, 0
	;; [unrolled: 1-line block ×8, first 2 shown]
	v_fma_mixhi_f16 v93, v101, v77, 0
	v_fma_mixhi_f16 v94, v101, v79, 0
	;; [unrolled: 1-line block ×8, first 2 shown]
	ds_store_b128 v69, v[93:96]
	ds_store_b128 v69, v[97:100] offset:1024
	s_waitcnt lgkmcnt(0)
	s_barrier
	buffer_gl0_inv
	ds_load_b128 v[77:80], v70
	ds_load_b128 v[81:84], v70 offset:16
	ds_load_b128 v[85:88], v70 offset:1024
	;; [unrolled: 1-line block ×3, first 2 shown]
	v_cmp_eq_u32_e64 s5, 5, v71
	v_cmp_eq_u32_e64 s19, 5, v74
	;; [unrolled: 1-line block ×11, first 2 shown]
	s_waitcnt lgkmcnt(3)
	v_lshrrev_b32_e32 v93, 16, v77
	s_waitcnt lgkmcnt(2)
	v_lshrrev_b32_e32 v97, 16, v81
	;; [unrolled: 2-line block ×4, first 2 shown]
	v_lshrrev_b32_e32 v94, 16, v78
	v_cndmask_b32_e64 v109, v77, v93, s2
	v_cndmask_b32_e64 v110, v81, v97, s2
	;; [unrolled: 1-line block ×8, first 2 shown]
	v_lshrrev_b32_e32 v98, 16, v82
	v_cndmask_b32_e64 v93, v85, v101, s2
	v_cndmask_b32_e64 v97, v89, v105, s2
	;; [unrolled: 1-line block ×5, first 2 shown]
	v_cndmask_b32_e32 v101, v109, v78, vcc_lo
	v_cndmask_b32_e64 v109, v111, v78, s11
	v_cndmask_b32_e64 v111, v113, v78, s13
	;; [unrolled: 1-line block ×4, first 2 shown]
	v_lshrrev_b32_e32 v102, 16, v86
	v_lshrrev_b32_e32 v106, 16, v90
	v_cndmask_b32_e64 v116, v89, v105, s8
	v_cndmask_b32_e64 v118, v89, v105, s9
	;; [unrolled: 1-line block ×3, first 2 shown]
	v_cndmask_b32_e32 v105, v110, v82, vcc_lo
	v_cndmask_b32_e64 v110, v112, v82, s11
	v_cndmask_b32_e64 v112, v114, v82, s13
	v_cndmask_b32_e32 v81, v93, v86, vcc_lo
	v_cndmask_b32_e32 v82, v97, v90, vcc_lo
	v_cndmask_b32_e64 v93, v115, v86, s11
	v_cndmask_b32_e64 v77, v77, v94, s17
	;; [unrolled: 1-line block ×3, first 2 shown]
	v_lshrrev_b32_e32 v95, 16, v79
	v_lshrrev_b32_e32 v99, 16, v83
	v_cndmask_b32_e64 v97, v117, v86, s13
	v_cndmask_b32_e64 v85, v85, v86, s15
	;; [unrolled: 1-line block ×14, first 2 shown]
	v_lshrrev_b32_e32 v103, 16, v87
	v_cndmask_b32_e64 v89, v89, v79, s4
	v_cndmask_b32_e64 v94, v101, v83, s4
	;; [unrolled: 1-line block ×11, first 2 shown]
	v_lshrrev_b32_e32 v96, 16, v80
	v_lshrrev_b32_e32 v100, 16, v84
	v_cndmask_b32_e64 v83, v89, v95, s5
	v_cndmask_b32_e64 v89, v94, v99, s5
	;; [unrolled: 1-line block ×9, first 2 shown]
	v_lshrrev_b32_e32 v104, 16, v88
	v_cndmask_b32_e64 v79, v79, v103, s5
	v_cndmask_b32_e64 v83, v83, v80, s6
	;; [unrolled: 1-line block ×19, first 2 shown]
	v_perm_b32 v80, v78, v77, 0x5040100
	v_cndmask_b32_e64 v77, v116, v90, s11
	v_cndmask_b32_e64 v95, v79, v104, s7
	v_perm_b32 v79, v93, v89, 0x5040100
	v_perm_b32 v78, v94, v84, 0x5040100
	v_cndmask_b32_e64 v84, v97, v102, s16
	v_cndmask_b32_e64 v85, v85, v102, s17
	;; [unrolled: 1-line block ×5, first 2 shown]
	v_lshrrev_b32_e32 v107, 16, v91
	v_cndmask_b32_e64 v84, v84, v87, s20
	v_cndmask_b32_e64 v85, v85, v87, s21
	;; [unrolled: 1-line block ×11, first 2 shown]
	v_lshrrev_b32_e32 v108, 16, v92
	v_cndmask_b32_e64 v81, v81, v92, s6
	v_cndmask_b32_e64 v84, v84, v88, s25
	;; [unrolled: 1-line block ×12, first 2 shown]
	v_perm_b32 v77, v83, v82, 0x5040100
	v_perm_b32 v84, v85, v84, 0x5040100
	;; [unrolled: 1-line block ×5, first 2 shown]
	s_lshl_b32 s7, s33, 4
	s_mov_b32 s2, exec_lo
	ds_store_b128 v69, v[77:80]
	ds_store_b128 v69, v[81:84] offset:1024
	v_cmpx_gt_u32_e32 16, v0
	s_cbranch_execz .LBB1065_14
; %bb.13:
	v_or_b32_e32 v77, s31, v0
	s_load_b128 s[8:11], s[0:1], 0x58
	s_delay_alu instid0(VALU_DEP_1) | instskip(NEXT) | instid1(VALU_DEP_1)
	v_mad_u64_u32 v[78:79], null, s7, s30, v[77:78]
	v_mad_u64_u32 v[79:80], null, v78, s34, s[14:15]
	s_delay_alu instid0(VALU_DEP_1) | instskip(NEXT) | instid1(VALU_DEP_1)
	v_ashrrev_i32_e32 v80, 31, v79
	v_lshlrev_b64 v[77:78], 2, v[79:80]
	s_waitcnt lgkmcnt(0)
	s_delay_alu instid0(VALU_DEP_1) | instskip(NEXT) | instid1(VALU_DEP_2)
	v_add_co_u32 v79, vcc_lo, s10, v77
	v_add_co_ci_u32_e32 v80, vcc_lo, s11, v78, vcc_lo
	v_add_co_u32 v77, vcc_lo, s8, v77
	v_add_co_ci_u32_e32 v78, vcc_lo, s9, v78, vcc_lo
	global_store_b32 v[79:80], v75, off
	global_store_b32 v[77:78], v76, off
.LBB1065_14:
	s_or_b32 exec_lo, exec_lo, s2
	s_waitcnt lgkmcnt(0)
	s_waitcnt_vscnt null, 0x0
	s_barrier
	buffer_gl0_inv
	ds_load_b128 v[83:86], v68
	ds_load_b128 v[87:90], v68 offset:16
	ds_load_b128 v[95:98], v68 offset:2064
	;; [unrolled: 1-line block ×5, first 2 shown]
	v_cmp_eq_u32_e32 vcc_lo, 1, v71
	v_mov_b32_e32 v75, 0
	ds_load_b128 v[111:114], v68 offset:6160
	ds_load_b128 v[107:110], v68 offset:6144
	ds_load_b128 v[119:122], v68 offset:8208
	ds_load_b128 v[115:118], v68 offset:8192
	v_cmp_eq_u32_e64 s3, 1, v72
	v_cmp_eq_u32_e64 s2, 1, v74
	;; [unrolled: 1-line block ×3, first 2 shown]
	v_mov_b32_e32 v76, v75
	v_mov_b32_e32 v77, v75
	;; [unrolled: 1-line block ×7, first 2 shown]
	v_cmp_eq_u32_e64 s5, 3, v74
	v_cmp_eq_u32_e64 s6, 7, v74
	s_waitcnt lgkmcnt(8)
	s_delay_alu instid0(VALU_DEP_3)
	v_wmma_f32_16x16x16_f16 v[75:82], v[49:56], v[83:90], v[75:82]
	ds_load_b128 v[53:56], v68 offset:10256
	ds_load_b128 v[49:52], v68 offset:10240
	s_waitcnt lgkmcnt(8)
	v_wmma_f32_16x16x16_f16 v[75:82], v[41:48], v[91:98], v[75:82]
	ds_load_b128 v[45:48], v68 offset:12304
	ds_load_b128 v[41:44], v68 offset:12288
	s_waitcnt lgkmcnt(8)
	;; [unrolled: 4-line block ×3, first 2 shown]
	s_barrier
	buffer_gl0_inv
	v_wmma_f32_16x16x16_f16 v[75:82], v[1:8], v[107:114], v[75:82]
	s_delay_alu instid0(VALU_DEP_1) | instskip(NEXT) | instid1(VALU_DEP_1)
	v_wmma_f32_16x16x16_f16 v[75:82], v[9:16], v[115:122], v[75:82]
	v_wmma_f32_16x16x16_f16 v[75:82], v[17:24], v[49:56], v[75:82]
	s_delay_alu instid0(VALU_DEP_1) | instskip(NEXT) | instid1(VALU_DEP_1)
	v_wmma_f32_16x16x16_f16 v[75:82], v[25:32], v[41:48], v[75:82]
	v_wmma_f32_16x16x16_f16 v[75:82], v[57:64], v[33:40], v[75:82]
	s_delay_alu instid0(VALU_DEP_1) | instskip(NEXT) | instid1(VALU_DEP_2)
	v_cvt_f16_f32_e32 v1, v75
	v_cvt_f16_f32_e32 v2, v76
	s_delay_alu instid0(VALU_DEP_3) | instskip(NEXT) | instid1(VALU_DEP_4)
	v_cvt_f16_f32_e32 v3, v77
	v_cvt_f16_f32_e32 v4, v78
	;; [unrolled: 1-line block ×6, first 2 shown]
	v_pack_b32_f16 v1, v1, v2
	v_pack_b32_f16 v2, v3, v4
	v_pack_b32_f16 v3, v5, v6
	s_delay_alu instid0(VALU_DEP_4)
	v_pack_b32_f16 v4, v7, v8
	ds_store_b128 v69, v[1:4]
	s_waitcnt lgkmcnt(0)
	s_barrier
	buffer_gl0_inv
	ds_load_b128 v[1:4], v70
	ds_load_b128 v[5:8], v70 offset:16
	s_waitcnt lgkmcnt(1)
	v_lshrrev_b32_e32 v9, 16, v1
	s_waitcnt lgkmcnt(0)
	v_lshrrev_b32_e32 v13, 16, v5
	v_lshrrev_b32_e32 v10, 16, v2
	;; [unrolled: 1-line block ×4, first 2 shown]
	v_cndmask_b32_e32 v17, v1, v9, vcc_lo
	v_cndmask_b32_e32 v18, v5, v13, vcc_lo
	v_cndmask_b32_e64 v21, v1, v9, s3
	v_cmp_eq_u32_e32 vcc_lo, 1, v73
	v_cndmask_b32_e64 v22, v5, v13, s3
	v_cmp_eq_u32_e64 s3, 2, v71
	v_cndmask_b32_e64 v19, v1, v9, s2
	v_cndmask_b32_e64 v20, v5, v13, s2
	v_cndmask_b32_e32 v1, v1, v9, vcc_lo
	v_cmp_eq_u32_e64 s2, 2, v73
	v_cndmask_b32_e32 v5, v5, v13, vcc_lo
	v_cndmask_b32_e64 v9, v17, v2, s3
	v_cmp_eq_u32_e32 vcc_lo, 3, v71
	v_cndmask_b32_e64 v13, v18, v6, s3
	v_cmp_eq_u32_e64 s3, 2, v72
	v_cndmask_b32_e64 v17, v19, v2, s4
	v_cndmask_b32_e64 v18, v20, v6, s4
	v_cmp_eq_u32_e64 s4, 3, v72
	v_cndmask_b32_e64 v1, v1, v2, s2
	v_cndmask_b32_e64 v19, v21, v2, s3
	;; [unrolled: 1-line block ×4, first 2 shown]
	v_cndmask_b32_e32 v5, v9, v10, vcc_lo
	v_cndmask_b32_e32 v6, v13, v14, vcc_lo
	v_cmp_eq_u32_e32 vcc_lo, 3, v73
	v_cndmask_b32_e64 v9, v17, v10, s5
	v_cndmask_b32_e64 v13, v18, v14, s5
	;; [unrolled: 1-line block ×3, first 2 shown]
	v_cmp_eq_u32_e64 s3, 4, v71
	v_cndmask_b32_e32 v1, v1, v10, vcc_lo
	v_cndmask_b32_e32 v2, v2, v14, vcc_lo
	v_cmp_eq_u32_e32 vcc_lo, 4, v74
	v_lshrrev_b32_e32 v15, 16, v7
	v_lshrrev_b32_e32 v16, 16, v8
	v_cndmask_b32_e64 v17, v19, v10, s4
	v_cmp_eq_u32_e64 s2, 4, v73
	v_cndmask_b32_e64 v5, v5, v3, s3
	v_cndmask_b32_e64 v6, v6, v7, s3
	v_cndmask_b32_e32 v9, v9, v3, vcc_lo
	v_cmp_eq_u32_e64 s3, 5, v74
	v_cndmask_b32_e32 v10, v13, v7, vcc_lo
	v_cmp_eq_u32_e32 vcc_lo, 4, v72
	v_cmp_eq_u32_e64 s4, 5, v71
	v_cndmask_b32_e64 v2, v2, v7, s2
	v_cndmask_b32_e64 v9, v9, v11, s3
	;; [unrolled: 1-line block ×3, first 2 shown]
	v_cndmask_b32_e32 v13, v17, v3, vcc_lo
	v_cmp_eq_u32_e64 s3, 5, v72
	v_cndmask_b32_e32 v14, v18, v7, vcc_lo
	v_cndmask_b32_e64 v1, v1, v3, s2
	v_cmp_eq_u32_e32 vcc_lo, 5, v73
	v_lshrrev_b32_e32 v12, 16, v4
	v_cndmask_b32_e64 v13, v13, v11, s3
	v_cndmask_b32_e64 v3, v14, v15, s3
	v_cmp_eq_u32_e64 s3, 6, v73
	v_cndmask_b32_e32 v1, v1, v11, vcc_lo
	v_cndmask_b32_e64 v5, v5, v11, s4
	v_cmp_eq_u32_e64 s5, 6, v71
	v_cndmask_b32_e64 v6, v6, v15, s4
	v_cmp_eq_u32_e64 s4, 6, v74
	v_cmp_eq_u32_e64 s2, 6, v72
	v_cndmask_b32_e64 v1, v1, v4, s3
	v_cndmask_b32_e32 v2, v2, v15, vcc_lo
	v_cmp_eq_u32_e32 vcc_lo, 7, v73
	v_cndmask_b32_e64 v5, v5, v4, s5
	v_cndmask_b32_e64 v9, v9, v4, s4
	;; [unrolled: 1-line block ×3, first 2 shown]
	v_cmp_eq_u32_e64 s5, 7, v71
	v_cndmask_b32_e32 v1, v1, v12, vcc_lo
	v_cndmask_b32_e64 v7, v13, v4, s2
	v_cndmask_b32_e64 v3, v3, v8, s2
	;; [unrolled: 1-line block ×3, first 2 shown]
	v_cmp_eq_u32_e64 s2, 7, v72
	v_cndmask_b32_e64 v4, v10, v8, s4
	v_cndmask_b32_e64 v5, v5, v12, s5
	;; [unrolled: 1-line block ×3, first 2 shown]
	v_cndmask_b32_e32 v2, v2, v16, vcc_lo
	v_cndmask_b32_e64 v7, v7, v12, s2
	v_cndmask_b32_e64 v3, v3, v16, s2
	;; [unrolled: 1-line block ×4, first 2 shown]
	v_perm_b32 v4, v2, v1, 0x5040100
	s_mov_b32 s2, exec_lo
	v_perm_b32 v3, v3, v7, 0x5040100
	v_perm_b32 v2, v8, v9, 0x5040100
	;; [unrolled: 1-line block ×3, first 2 shown]
	ds_store_b128 v69, v[1:4]
	s_waitcnt lgkmcnt(0)
	s_barrier
	buffer_gl0_inv
	v_cmpx_gt_u32_e32 32, v0
	s_cbranch_execz .LBB1065_2
; %bb.15:
	s_load_b64 s[0:1], s[0:1], 0x68
	v_lshlrev_b32_e32 v0, 10, v0
	s_lshl_b32 s4, s34, 7
	v_or_b32_e32 v23, s31, v66
	s_mul_i32 s2, s4, s30
	v_lshlrev_b32_e32 v1, 4, v67
	v_lshlrev_b32_e32 v2, 6, v66
	s_mul_i32 s2, s2, s7
	v_and_b32_e32 v0, 0x3800, v0
	v_mul_lo_u32 v8, v23, s4
	s_ashr_i32 s3, s2, 31
	v_or_b32_e32 v3, 2, v23
	s_lshl_b64 s[2:3], s[2:3], 1
	v_or3_b32 v27, v0, v1, v2
	v_or_b32_e32 v11, 4, v23
	v_or_b32_e32 v18, 6, v23
	v_mul_lo_u32 v10, v3, s4
	v_ashrrev_i32_e32 v9, 31, v8
	ds_load_b128 v[0:3], v27
	ds_load_b128 v[4:7], v27 offset:128
	v_mul_lo_u32 v12, v11, s4
	s_waitcnt lgkmcnt(0)
	s_add_u32 s2, s0, s2
	s_addc_u32 s3, s1, s3
	s_lshl_b32 s0, s14, 7
	v_lshlrev_b64 v[8:9], 1, v[8:9]
	s_ashr_i32 s1, s0, 31
	v_ashrrev_i32_e32 v11, 31, v10
	s_lshl_b64 s[0:1], s[0:1], 1
	v_ashrrev_i32_e32 v13, 31, v12
	s_add_u32 s0, s2, s0
	s_addc_u32 s1, s3, s1
	v_add_co_u32 v30, s0, s0, v65
	s_delay_alu instid0(VALU_DEP_1) | instskip(SKIP_1) | instid1(VALU_DEP_3)
	v_add_co_ci_u32_e64 v31, null, s1, 0, s0
	v_lshlrev_b64 v[16:17], 1, v[10:11]
	v_add_co_u32 v14, vcc_lo, v30, v8
	s_delay_alu instid0(VALU_DEP_3)
	v_add_co_ci_u32_e32 v15, vcc_lo, v31, v9, vcc_lo
	ds_load_b128 v[8:11], v27 offset:256
	v_mul_lo_u32 v18, v18, s4
	v_or_b32_e32 v19, 8, v23
	v_add_co_u32 v16, vcc_lo, v30, v16
	global_store_b128 v[14:15], v[0:3], off
	v_lshlrev_b64 v[0:1], 1, v[12:13]
	v_add_co_ci_u32_e32 v17, vcc_lo, v31, v17, vcc_lo
	v_mul_lo_u32 v12, v19, s4
	v_ashrrev_i32_e32 v19, 31, v18
	v_or_b32_e32 v14, 10, v23
	global_store_b128 v[16:17], v[4:7], off
	v_add_co_u32 v4, vcc_lo, v30, v0
	v_add_co_ci_u32_e32 v5, vcc_lo, v31, v1, vcc_lo
	ds_load_b128 v[0:3], v27 offset:384
	v_ashrrev_i32_e32 v13, 31, v12
	v_lshlrev_b64 v[6:7], 1, v[18:19]
	v_mul_lo_u32 v14, v14, s4
	s_waitcnt lgkmcnt(1)
	global_store_b128 v[4:5], v[8:11], off
	v_or_b32_e32 v8, 12, v23
	v_lshlrev_b64 v[4:5], 1, v[12:13]
	v_add_co_u32 v20, vcc_lo, v30, v6
	v_or_b32_e32 v6, 14, v23
	v_ashrrev_i32_e32 v15, 31, v14
	v_mul_lo_u32 v22, v8, s4
	v_add_co_ci_u32_e32 v21, vcc_lo, v31, v7, vcc_lo
	v_add_co_u32 v24, vcc_lo, v30, v4
	v_mul_lo_u32 v26, v6, s4
	v_add_co_ci_u32_e32 v25, vcc_lo, v31, v5, vcc_lo
	v_lshlrev_b64 v[28:29], 1, v[14:15]
	ds_load_b128 v[4:7], v27 offset:512
	ds_load_b128 v[8:11], v27 offset:640
	;; [unrolled: 1-line block ×4, first 2 shown]
	v_ashrrev_i32_e32 v23, 31, v22
	v_ashrrev_i32_e32 v27, 31, v26
	v_add_co_u32 v28, vcc_lo, v30, v28
	s_delay_alu instid0(VALU_DEP_3) | instskip(SKIP_1) | instid1(VALU_DEP_4)
	v_lshlrev_b64 v[22:23], 1, v[22:23]
	v_add_co_ci_u32_e32 v29, vcc_lo, v31, v29, vcc_lo
	v_lshlrev_b64 v[26:27], 1, v[26:27]
	s_delay_alu instid0(VALU_DEP_3) | instskip(NEXT) | instid1(VALU_DEP_4)
	v_add_co_u32 v22, vcc_lo, v30, v22
	v_add_co_ci_u32_e32 v23, vcc_lo, v31, v23, vcc_lo
	s_delay_alu instid0(VALU_DEP_3) | instskip(NEXT) | instid1(VALU_DEP_4)
	v_add_co_u32 v26, vcc_lo, v30, v26
	v_add_co_ci_u32_e32 v27, vcc_lo, v31, v27, vcc_lo
	s_waitcnt lgkmcnt(4)
	global_store_b128 v[20:21], v[0:3], off
	s_waitcnt lgkmcnt(3)
	global_store_b128 v[24:25], v[4:7], off
	;; [unrolled: 2-line block ×5, first 2 shown]
	s_nop 0
	s_sendmsg sendmsg(MSG_DEALLOC_VGPRS)
	s_endpgm
	.section	.rodata,"a",@progbits
	.p2align	6, 0x0
	.amdhsa_kernel _Z39paged_attention_ll4mi_QKV_mfma16_kernelIDF16_hLN4vllm18Fp8KVCacheDataTypeE1EDF16_Li32ELi128ELi256ELb1ELi16EL8MFMAType1EEvPKT_PKT0_S8_ifPKiSA_SA_iPKfiiiPfSD_PS3_PT2_iSC_SC_
		.amdhsa_group_segment_fixed_size 17472
		.amdhsa_private_segment_fixed_size 0
		.amdhsa_kernarg_size 400
		.amdhsa_user_sgpr_count 13
		.amdhsa_user_sgpr_dispatch_ptr 0
		.amdhsa_user_sgpr_queue_ptr 0
		.amdhsa_user_sgpr_kernarg_segment_ptr 1
		.amdhsa_user_sgpr_dispatch_id 0
		.amdhsa_user_sgpr_private_segment_size 0
		.amdhsa_wavefront_size32 1
		.amdhsa_uses_dynamic_stack 0
		.amdhsa_enable_private_segment 0
		.amdhsa_system_sgpr_workgroup_id_x 1
		.amdhsa_system_sgpr_workgroup_id_y 1
		.amdhsa_system_sgpr_workgroup_id_z 1
		.amdhsa_system_sgpr_workgroup_info 0
		.amdhsa_system_vgpr_workitem_id 0
		.amdhsa_next_free_vgpr 140
		.amdhsa_next_free_sgpr 37
		.amdhsa_reserve_vcc 1
		.amdhsa_float_round_mode_32 0
		.amdhsa_float_round_mode_16_64 0
		.amdhsa_float_denorm_mode_32 3
		.amdhsa_float_denorm_mode_16_64 3
		.amdhsa_dx10_clamp 1
		.amdhsa_ieee_mode 1
		.amdhsa_fp16_overflow 0
		.amdhsa_workgroup_processor_mode 1
		.amdhsa_memory_ordered 1
		.amdhsa_forward_progress 0
		.amdhsa_shared_vgpr_count 0
		.amdhsa_exception_fp_ieee_invalid_op 0
		.amdhsa_exception_fp_denorm_src 0
		.amdhsa_exception_fp_ieee_div_zero 0
		.amdhsa_exception_fp_ieee_overflow 0
		.amdhsa_exception_fp_ieee_underflow 0
		.amdhsa_exception_fp_ieee_inexact 0
		.amdhsa_exception_int_div_zero 0
	.end_amdhsa_kernel
	.section	.text._Z39paged_attention_ll4mi_QKV_mfma16_kernelIDF16_hLN4vllm18Fp8KVCacheDataTypeE1EDF16_Li32ELi128ELi256ELb1ELi16EL8MFMAType1EEvPKT_PKT0_S8_ifPKiSA_SA_iPKfiiiPfSD_PS3_PT2_iSC_SC_,"axG",@progbits,_Z39paged_attention_ll4mi_QKV_mfma16_kernelIDF16_hLN4vllm18Fp8KVCacheDataTypeE1EDF16_Li32ELi128ELi256ELb1ELi16EL8MFMAType1EEvPKT_PKT0_S8_ifPKiSA_SA_iPKfiiiPfSD_PS3_PT2_iSC_SC_,comdat
.Lfunc_end1065:
	.size	_Z39paged_attention_ll4mi_QKV_mfma16_kernelIDF16_hLN4vllm18Fp8KVCacheDataTypeE1EDF16_Li32ELi128ELi256ELb1ELi16EL8MFMAType1EEvPKT_PKT0_S8_ifPKiSA_SA_iPKfiiiPfSD_PS3_PT2_iSC_SC_, .Lfunc_end1065-_Z39paged_attention_ll4mi_QKV_mfma16_kernelIDF16_hLN4vllm18Fp8KVCacheDataTypeE1EDF16_Li32ELi128ELi256ELb1ELi16EL8MFMAType1EEvPKT_PKT0_S8_ifPKiSA_SA_iPKfiiiPfSD_PS3_PT2_iSC_SC_
                                        ; -- End function
	.section	.AMDGPU.csdata,"",@progbits
; Kernel info:
; codeLenInByte = 6864
; NumSgprs: 39
; NumVgprs: 140
; ScratchSize: 0
; MemoryBound: 0
; FloatMode: 240
; IeeeMode: 1
; LDSByteSize: 17472 bytes/workgroup (compile time only)
; SGPRBlocks: 4
; VGPRBlocks: 17
; NumSGPRsForWavesPerEU: 39
; NumVGPRsForWavesPerEU: 140
; Occupancy: 10
; WaveLimiterHint : 1
; COMPUTE_PGM_RSRC2:SCRATCH_EN: 0
; COMPUTE_PGM_RSRC2:USER_SGPR: 13
; COMPUTE_PGM_RSRC2:TRAP_HANDLER: 0
; COMPUTE_PGM_RSRC2:TGID_X_EN: 1
; COMPUTE_PGM_RSRC2:TGID_Y_EN: 1
; COMPUTE_PGM_RSRC2:TGID_Z_EN: 1
; COMPUTE_PGM_RSRC2:TIDIG_COMP_CNT: 0
	.section	.text._Z39paged_attention_ll4mi_QKV_mfma16_kernelIDF16_hLN4vllm18Fp8KVCacheDataTypeE1EDF16_Li32ELi128ELi256ELb1ELi1EL8MFMAType1EEvPKT_PKT0_S8_ifPKiSA_SA_iPKfiiiPfSD_PS3_PT2_iSC_SC_,"axG",@progbits,_Z39paged_attention_ll4mi_QKV_mfma16_kernelIDF16_hLN4vllm18Fp8KVCacheDataTypeE1EDF16_Li32ELi128ELi256ELb1ELi1EL8MFMAType1EEvPKT_PKT0_S8_ifPKiSA_SA_iPKfiiiPfSD_PS3_PT2_iSC_SC_,comdat
	.protected	_Z39paged_attention_ll4mi_QKV_mfma16_kernelIDF16_hLN4vllm18Fp8KVCacheDataTypeE1EDF16_Li32ELi128ELi256ELb1ELi1EL8MFMAType1EEvPKT_PKT0_S8_ifPKiSA_SA_iPKfiiiPfSD_PS3_PT2_iSC_SC_ ; -- Begin function _Z39paged_attention_ll4mi_QKV_mfma16_kernelIDF16_hLN4vllm18Fp8KVCacheDataTypeE1EDF16_Li32ELi128ELi256ELb1ELi1EL8MFMAType1EEvPKT_PKT0_S8_ifPKiSA_SA_iPKfiiiPfSD_PS3_PT2_iSC_SC_
	.globl	_Z39paged_attention_ll4mi_QKV_mfma16_kernelIDF16_hLN4vllm18Fp8KVCacheDataTypeE1EDF16_Li32ELi128ELi256ELb1ELi1EL8MFMAType1EEvPKT_PKT0_S8_ifPKiSA_SA_iPKfiiiPfSD_PS3_PT2_iSC_SC_
	.p2align	8
	.type	_Z39paged_attention_ll4mi_QKV_mfma16_kernelIDF16_hLN4vllm18Fp8KVCacheDataTypeE1EDF16_Li32ELi128ELi256ELb1ELi1EL8MFMAType1EEvPKT_PKT0_S8_ifPKiSA_SA_iPKfiiiPfSD_PS3_PT2_iSC_SC_,@function
_Z39paged_attention_ll4mi_QKV_mfma16_kernelIDF16_hLN4vllm18Fp8KVCacheDataTypeE1EDF16_Li32ELi128ELi256ELb1ELi1EL8MFMAType1EEvPKT_PKT0_S8_ifPKiSA_SA_iPKfiiiPfSD_PS3_PT2_iSC_SC_: ; @_Z39paged_attention_ll4mi_QKV_mfma16_kernelIDF16_hLN4vllm18Fp8KVCacheDataTypeE1EDF16_Li32ELi128ELi256ELb1ELi1EL8MFMAType1EEvPKT_PKT0_S8_ifPKiSA_SA_iPKfiiiPfSD_PS3_PT2_iSC_SC_
; %bb.0:
	s_load_b64 s[4:5], s[0:1], 0x30
	s_mov_b32 s34, s13
	s_waitcnt lgkmcnt(0)
	s_cmp_lg_u64 s[4:5], 0
	s_cselect_b32 s6, -1, 0
	s_ashr_i32 s35, s13, 31
	s_cmp_eq_u64 s[4:5], 0
	s_cbranch_scc1 .LBB1066_3
; %bb.1:
	s_lshl_b64 s[2:3], s[34:35], 2
	s_delay_alu instid0(SALU_CYCLE_1) | instskip(SKIP_4) | instid1(SALU_CYCLE_1)
	s_add_u32 s2, s4, s2
	s_addc_u32 s3, s5, s3
	s_load_b64 s[2:3], s[2:3], 0x0
	s_waitcnt lgkmcnt(0)
	s_sub_i32 s2, s3, s2
	s_cmp_eq_u32 s2, 1
	s_cselect_b32 s2, -1, 0
	s_delay_alu instid0(SALU_CYCLE_1)
	s_and_not1_b32 vcc_lo, exec_lo, s2
	s_cbranch_vccz .LBB1066_4
.LBB1066_2:
	s_endpgm
.LBB1066_3:
.LBB1066_4:
	s_load_b64 s[2:3], s[0:1], 0x28
	s_lshl_b64 s[8:9], s[34:35], 2
	s_waitcnt lgkmcnt(0)
	s_add_u32 s2, s2, s8
	s_addc_u32 s3, s3, s9
	s_lshl_b32 s12, s14, 8
	s_load_b32 s33, s[2:3], 0x0
	s_waitcnt lgkmcnt(0)
	s_cmp_ge_i32 s12, s33
	s_cbranch_scc1 .LBB1066_2
; %bb.5:
	s_clause 0x1
	s_load_b128 s[56:59], s[0:1], 0x8
	s_load_b64 s[2:3], s[0:1], 0x20
	s_and_not1_b32 vcc_lo, exec_lo, s6
	s_mov_b64 s[6:7], s[34:35]
	s_cbranch_vccnz .LBB1066_7
; %bb.6:
	s_add_u32 s4, s4, s8
	s_addc_u32 s5, s5, s9
	s_load_b32 s6, s[4:5], 0x0
.LBB1066_7:
	s_load_b128 s[52:55], s[0:1], 0x48
	v_and_b32_e32 v65, 15, v0
	s_mov_b32 s13, exec_lo
                                        ; implicit-def: $sgpr36
                                        ; implicit-def: $sgpr24
                                        ; implicit-def: $sgpr16
                                        ; implicit-def: $sgpr4
	s_delay_alu instid0(VALU_DEP_1)
	v_cmpx_eq_u32_e32 0, v65
	s_cbranch_execz .LBB1066_9
; %bb.8:
	s_load_b64 s[4:5], s[0:1], 0x0
	s_waitcnt lgkmcnt(0)
	s_mul_hi_i32 s7, s6, s52
	s_mul_i32 s6, s6, s52
	s_delay_alu instid0(SALU_CYCLE_1) | instskip(NEXT) | instid1(SALU_CYCLE_1)
	s_lshl_b64 s[6:7], s[6:7], 1
	s_add_u32 s6, s4, s6
	s_addc_u32 s7, s5, s7
	s_lshl_b32 s4, s15, 7
	s_delay_alu instid0(SALU_CYCLE_1) | instskip(NEXT) | instid1(SALU_CYCLE_1)
	s_ashr_i32 s5, s4, 31
	s_lshl_b64 s[4:5], s[4:5], 1
	s_delay_alu instid0(SALU_CYCLE_1)
	s_add_u32 s4, s6, s4
	s_addc_u32 s5, s7, s5
	s_clause 0x3
	s_load_b256 s[36:43], s[4:5], 0x0
	s_load_b256 s[24:31], s[4:5], 0x40
	;; [unrolled: 1-line block ×4, first 2 shown]
.LBB1066_9:
	s_or_b32 exec_lo, exec_lo, s13
	v_and_b32_e32 v1, 0xef, v0
	s_add_i32 s13, s33, 31
	s_load_b32 s44, s[0:1], 0x38
	s_ashr_i32 s35, s13, 31
	s_waitcnt lgkmcnt(0)
	s_mul_i32 s62, s15, s54
	v_add_nc_u32_e32 v1, s12, v1
	s_lshr_b32 s35, s35, 27
	v_lshlrev_b32_e32 v73, 4, v65
	s_add_i32 s13, s13, s35
	s_load_b32 s35, s[0:1], 0x1c
	v_ashrrev_i32_e32 v2, 31, v1
	v_or_b32_e32 v3, 16, v1
	s_ashr_i32 s13, s13, 5
	v_cmp_gt_i32_e32 vcc_lo, s33, v1
	s_add_i32 s13, s13, -1
	v_lshrrev_b32_e32 v2, 27, v2
	v_dual_mov_b32 v105, s31 :: v_dual_mov_b32 v100, s26
	v_dual_mov_b32 v103, s29 :: v_dual_mov_b32 v98, s24
	s_delay_alu instid0(VALU_DEP_3) | instskip(SKIP_3) | instid1(VALU_DEP_2)
	v_dual_mov_b32 v101, s27 :: v_dual_add_nc_u32 v4, v1, v2
	s_mul_i32 s44, s34, s44
	v_mov_b32_e32 v99, s25
	s_ashr_i32 s45, s44, 31
	v_ashrrev_i32_e32 v4, 5, v4
	v_add_nc_u32_e32 v2, v3, v2
	s_lshl_b64 s[44:45], s[44:45], 2
	v_dual_mov_b32 v113, s23 :: v_dual_mov_b32 v106, s16
	s_delay_alu instid0(VALU_DEP_3) | instskip(NEXT) | instid1(VALU_DEP_3)
	v_cndmask_b32_e32 v1, s13, v4, vcc_lo
	v_ashrrev_i32_e32 v2, 5, v2
	v_cmp_gt_i32_e32 vcc_lo, s33, v3
	s_add_u32 s61, s2, s44
	s_addc_u32 s60, s3, s45
	s_ashr_i32 s63, s62, 31
	s_add_u32 s44, s56, s62
	v_cndmask_b32_e32 v3, s13, v2, vcc_lo
	v_ashrrev_i32_e32 v2, 31, v1
	s_addc_u32 s45, s57, s63
	s_lshl_b32 s2, s14, 3
	v_dual_mov_b32 v108, s18 :: v_dual_lshlrev_b32 v41, 5, v65
	v_ashrrev_i32_e32 v4, 31, v3
	v_lshlrev_b64 v[1:2], 2, v[1:2]
	s_ashr_i32 s3, s2, 31
	v_mov_b32_e32 v112, s22
	s_lshl_b64 s[2:3], s[2:3], 2
	v_lshlrev_b64 v[3:4], 2, v[3:4]
	s_add_u32 s2, s61, s2
	v_add_co_u32 v1, vcc_lo, s61, v1
	v_add_co_ci_u32_e32 v2, vcc_lo, s60, v2, vcc_lo
	s_delay_alu instid0(VALU_DEP_3) | instskip(NEXT) | instid1(VALU_DEP_4)
	v_add_co_u32 v3, vcc_lo, s61, v3
	v_add_co_ci_u32_e32 v4, vcc_lo, s60, v4, vcc_lo
	s_clause 0x1
	global_load_b32 v5, v[1:2], off
	global_load_b32 v6, v[3:4], off
	s_addc_u32 s3, s60, s3
	s_or_b32 s46, s12, 32
	v_mov_b32_e32 v110, s20
	s_ashr_i32 s47, s46, 5
	s_cmp_lt_i32 s46, s33
	v_lshrrev_b32_e32 v66, 5, v0
	s_cselect_b32 s46, s47, s13
	v_mov_b32_e32 v104, s30
	s_ashr_i32 s47, s46, 31
	v_mov_b32_e32 v102, s28
	s_lshl_b64 s[46:47], s[46:47], 2
	v_lshl_or_b32 v41, v66, 9, v41
	s_add_u32 s46, s61, s46
	s_addc_u32 s47, s60, s47
	s_or_b32 s48, s12, 64
	s_delay_alu instid0(SALU_CYCLE_1) | instskip(SKIP_2) | instid1(SALU_CYCLE_1)
	s_ashr_i32 s49, s48, 5
	s_cmp_lt_i32 s48, s33
	s_cselect_b32 s48, s49, s13
	s_ashr_i32 s49, s48, 31
	s_delay_alu instid0(SALU_CYCLE_1) | instskip(NEXT) | instid1(SALU_CYCLE_1)
	s_lshl_b64 s[48:49], s[48:49], 2
	s_add_u32 s48, s61, s48
	s_addc_u32 s49, s60, s49
	s_or_b32 s50, s12, 0x60
	s_delay_alu instid0(SALU_CYCLE_1) | instskip(SKIP_2) | instid1(SALU_CYCLE_1)
	s_ashr_i32 s51, s50, 5
	s_cmp_lt_i32 s50, s33
	s_cselect_b32 s50, s51, s13
	s_ashr_i32 s51, s50, 31
	s_delay_alu instid0(SALU_CYCLE_1) | instskip(NEXT) | instid1(SALU_CYCLE_1)
	s_lshl_b64 s[50:51], s[50:51], 2
	s_add_u32 s50, s61, s50
	s_addc_u32 s51, s60, s51
	s_or_b32 s52, s12, 0x80
	s_delay_alu instid0(SALU_CYCLE_1) | instskip(SKIP_2) | instid1(SALU_CYCLE_1)
	s_ashr_i32 s54, s52, 5
	s_cmp_lt_i32 s52, s33
	s_cselect_b32 s54, s54, s13
	s_ashr_i32 s55, s54, 31
	s_delay_alu instid0(SALU_CYCLE_1) | instskip(NEXT) | instid1(SALU_CYCLE_1)
	s_lshl_b64 s[54:55], s[54:55], 2
	s_add_u32 s64, s61, s54
	s_addc_u32 s65, s60, s55
	s_or_b32 s52, s12, 0xa0
	s_delay_alu instid0(SALU_CYCLE_1) | instskip(SKIP_2) | instid1(SALU_CYCLE_1)
	s_ashr_i32 s54, s52, 5
	s_cmp_lt_i32 s52, s33
	s_cselect_b32 s54, s54, s13
	s_ashr_i32 s55, s54, 31
	s_delay_alu instid0(SALU_CYCLE_1) | instskip(NEXT) | instid1(SALU_CYCLE_1)
	s_lshl_b64 s[54:55], s[54:55], 2
	s_add_u32 s66, s61, s54
	s_addc_u32 s67, s60, s55
	s_clause 0x5
	s_load_b32 s56, s[2:3], 0x0
	s_load_b32 s3, s[46:47], 0x0
	;; [unrolled: 1-line block ×6, first 2 shown]
	s_or_b32 s24, s12, 0xc0
	s_delay_alu instid0(SALU_CYCLE_1)
	s_ashr_i32 s25, s24, 5
	s_cmp_lt_i32 s24, s33
	s_waitcnt vmcnt(1)
	v_mad_i64_i32 v[1:2], null, v5, s53, s[44:45]
	s_waitcnt vmcnt(0)
	v_mad_i64_i32 v[3:4], null, v6, s53, s[44:45]
	s_mov_b32 s44, 0
	s_delay_alu instid0(SALU_CYCLE_1) | instskip(SKIP_1) | instid1(VALU_DEP_2)
	s_mov_b32 s45, s44
	s_mov_b32 s46, s44
	v_add_co_u32 v33, vcc_lo, v1, v73
	s_delay_alu instid0(VALU_DEP_3) | instskip(NEXT) | instid1(VALU_DEP_3)
	v_add_co_ci_u32_e32 v34, vcc_lo, 0, v2, vcc_lo
	v_add_co_u32 v35, vcc_lo, v3, v73
	s_delay_alu instid0(VALU_DEP_4)
	v_add_co_ci_u32_e32 v36, vcc_lo, 0, v4, vcc_lo
	s_clause 0xf
	global_load_b128 v[1:4], v[33:34], off
	global_load_b128 v[5:8], v[33:34], off offset:512
	global_load_b128 v[9:12], v[35:36], off offset:256
	;; [unrolled: 1-line block ×15, first 2 shown]
	v_mov_b32_e32 v33, s36
	v_mov_b32_e32 v37, s40
	;; [unrolled: 1-line block ×3, first 2 shown]
	s_mov_b32 s47, s44
	s_mov_b32 s48, s44
	;; [unrolled: 1-line block ×5, first 2 shown]
	v_mov_b32_e32 v111, s21
	v_mov_b32_e32 v109, s19
	v_mov_b32_e32 v107, s17
	s_cselect_b32 s16, s25, s13
	v_dual_mov_b32 v121, s51 :: v_dual_mov_b32 v114, s44
	s_ashr_i32 s17, s16, 31
	v_mov_b32_e32 v34, s37
	s_lshl_b64 s[16:17], s[16:17], 2
	v_dual_mov_b32 v35, s38 :: v_dual_mov_b32 v40, s43
	s_add_u32 s16, s61, s16
	s_addc_u32 s17, s60, s17
	s_or_b32 s18, s12, 0xe0
	v_mov_b32_e32 v36, s39
	s_ashr_i32 s19, s18, 5
	s_cmp_lt_i32 s18, s33
	v_mov_b32_e32 v38, s41
	s_cselect_b32 s18, s19, s13
	v_mov_b32_e32 v120, s50
	s_ashr_i32 s19, s18, 31
	v_mov_b32_e32 v119, s49
	s_lshl_b64 s[18:19], s[18:19], 2
	v_mov_b32_e32 v118, s48
	s_add_u32 s18, s61, s18
	s_addc_u32 s19, s60, s19
	s_add_u32 s13, s58, s62
	s_addc_u32 s20, s59, s63
	v_add_co_u32 v67, s13, s13, v41
	s_delay_alu instid0(VALU_DEP_1)
	v_add_co_ci_u32_e64 v68, null, s20, 0, s13
	s_clause 0x1
	s_load_b32 s13, s[16:17], 0x0
	s_load_b32 s16, s[18:19], 0x0
	v_dual_mov_b32 v117, s47 :: v_dual_mov_b32 v116, s46
	s_waitcnt lgkmcnt(0)
	v_mad_i64_i32 v[41:42], null, s56, s53, v[67:68]
	v_mad_i64_i32 v[71:72], null, s54, s53, v[67:68]
	v_mov_b32_e32 v115, s45
	v_mad_i64_i32 v[45:46], null, s3, s53, v[67:68]
	v_mad_i64_i32 v[69:70], null, s52, s53, v[67:68]
	;; [unrolled: 1-line block ×4, first 2 shown]
	s_waitcnt vmcnt(14)
	v_wmma_f32_16x16x16_f16 v[122:129], v[1:8], v[33:40], v[114:121]
	s_waitcnt vmcnt(12)
	v_wmma_f32_16x16x16_f16 v[114:121], v[9:16], v[33:40], v[114:121]
	s_clause 0x7
	global_load_b128 v[49:52], v[41:42], off
	global_load_b128 v[53:56], v[41:42], off offset:16
	global_load_b128 v[41:44], v[45:46], off
	global_load_b128 v[45:48], v[45:46], off offset:16
	;; [unrolled: 2-line block ×4, first 2 shown]
	v_mad_i64_i32 v[71:72], null, s13, s53, v[67:68]
	v_mad_i64_i32 v[69:70], null, s2, s53, v[67:68]
	s_waitcnt vmcnt(18)
	v_wmma_f32_16x16x16_f16 v[122:129], v[17:24], v[98:105], v[122:129]
	s_waitcnt vmcnt(16)
	v_wmma_f32_16x16x16_f16 v[114:121], v[25:32], v[98:105], v[114:121]
	s_clause 0x3
	global_load_b128 v[9:12], v[130:131], off
	global_load_b128 v[13:16], v[130:131], off offset:16
	global_load_b128 v[17:20], v[69:70], off
	global_load_b128 v[21:24], v[69:70], off offset:16
	s_waitcnt vmcnt(18)
	v_wmma_f32_16x16x16_f16 v[122:129], v[57:64], v[106:113], v[122:129]
	s_clause 0x3
	global_load_b128 v[25:28], v[71:72], off
	global_load_b128 v[29:32], v[71:72], off offset:16
	global_load_b128 v[57:60], v[132:133], off
	global_load_b128 v[61:64], v[132:133], off offset:16
	v_mbcnt_lo_u32_b32 v68, -1, 0
	v_and_b32_e32 v67, 0xe0, v0
	v_mov_b32_e32 v105, s11
	s_waitcnt vmcnt(20)
	v_wmma_f32_16x16x16_f16 v[114:121], v[74:81], v[106:113], v[114:121]
	v_bfe_u32 v74, v0, 4, 1
	v_xor_b32_e32 v69, 16, v68
	v_mov_b32_e32 v98, s4
	v_dual_mov_b32 v104, s10 :: v_dual_mov_b32 v103, s9
	v_mov_b32_e32 v102, s8
	s_delay_alu instid0(VALU_DEP_4) | instskip(SKIP_3) | instid1(VALU_DEP_3)
	v_cmp_gt_i32_e32 vcc_lo, 32, v69
	v_add_nc_u32_e32 v67, s12, v67
	v_dual_mov_b32 v101, s7 :: v_dual_mov_b32 v100, s6
	v_dual_mov_b32 v99, s5 :: v_dual_cndmask_b32 v68, v68, v69
	v_or_b32_e32 v67, v67, v74
	s_waitcnt vmcnt(0)
	s_barrier
	s_delay_alu instid0(VALU_DEP_2)
	v_wmma_f32_16x16x16_f16 v[122:129], v[82:89], v[98:105], v[122:129]
	buffer_gl0_inv
	v_or_b32_e32 v69, 2, v67
	v_or_b32_e32 v70, 4, v67
	;; [unrolled: 1-line block ×3, first 2 shown]
	v_mul_f32_e32 v86, s35, v129
	v_mul_f32_e32 v88, s35, v127
	v_wmma_f32_16x16x16_f16 v[114:121], v[90:97], v[98:105], v[114:121]
	v_dual_mul_f32 v92, s35, v123 :: v_dual_mul_f32 v93, s35, v122
	v_cmp_gt_i32_e32 vcc_lo, s33, v69
	v_cmp_gt_i32_e64 s2, s33, v67
	v_or_b32_e32 v72, 8, v67
	v_or_b32_e32 v75, 10, v67
	v_dual_mul_f32 v90, s35, v125 :: v_dual_mul_f32 v91, s35, v124
	v_mul_f32_e32 v98, s35, v117
	v_cndmask_b32_e64 v93, 0xff7fffff, v93, s2
	v_cndmask_b32_e32 v92, 0xff7fffff, v92, vcc_lo
	v_cmp_gt_i32_e64 s3, s33, v70
	v_cmp_gt_i32_e64 s4, s33, v71
	v_or_b32_e32 v76, 12, v67
	v_or_b32_e32 v77, 14, v67
	v_dual_mul_f32 v89, s35, v126 :: v_dual_mul_f32 v96, s35, v119
	v_cndmask_b32_e64 v70, 0xff7fffff, v91, s3
	v_cndmask_b32_e64 v71, 0xff7fffff, v90, s4
	v_max3_f32 v90, v93, 0xff7fffff, v92
	v_cmp_gt_i32_e64 s5, s33, v72
	v_cmp_gt_i32_e64 s6, s33, v75
	v_or_b32_e32 v78, 16, v67
	v_or_b32_e32 v79, 18, v67
	v_dual_mul_f32 v87, s35, v128 :: v_dual_mul_f32 v94, s35, v121
	v_cndmask_b32_e64 v72, 0xff7fffff, v89, s5
	v_cndmask_b32_e64 v75, 0xff7fffff, v88, s6
	v_max3_f32 v70, v90, v70, v71
	v_cmp_gt_i32_e64 s7, s33, v76
	v_cmp_gt_i32_e64 s8, s33, v77
	v_or_b32_e32 v80, 20, v67
	v_or_b32_e32 v81, 22, v67
	;; [unrolled: 1-line block ×6, first 2 shown]
	v_mul_f32_e32 v69, s35, v115
	v_mul_f32_e32 v67, s35, v114
	v_cndmask_b32_e64 v71, 0xff7fffff, v87, s7
	v_cndmask_b32_e64 v76, 0xff7fffff, v86, s8
	v_max3_f32 v70, v70, v72, v75
	v_cmp_gt_i32_e64 s9, s33, v78
	v_cmp_gt_i32_e64 s10, s33, v79
	v_mul_f32_e32 v99, s35, v116
	v_cmp_gt_i32_e64 s11, s33, v80
	v_max3_f32 v70, v70, v71, v76
	v_cndmask_b32_e64 v67, 0xff7fffff, v67, s9
	v_cndmask_b32_e64 v69, 0xff7fffff, v69, s10
	v_cmp_gt_i32_e64 s12, s33, v81
	v_mul_f32_e32 v97, s35, v118
	v_cndmask_b32_e64 v71, 0xff7fffff, v99, s11
	v_cmp_gt_i32_e64 s13, s33, v82
	v_max3_f32 v67, v70, v67, v69
	v_cndmask_b32_e64 v72, 0xff7fffff, v98, s12
	v_cmp_gt_i32_e64 s16, s33, v83
	v_mul_f32_e32 v95, s35, v120
	v_cndmask_b32_e64 v69, 0xff7fffff, v97, s13
	v_cmp_gt_i32_e64 s17, s33, v84
	v_max3_f32 v67, v67, v71, v72
	v_cndmask_b32_e64 v70, 0xff7fffff, v96, s16
	v_cmp_gt_i32_e64 s18, s33, v85
	v_lshlrev_b32_e32 v75, 2, v68
	v_cndmask_b32_e64 v71, 0xff7fffff, v95, s17
	s_delay_alu instid0(VALU_DEP_4) | instskip(NEXT) | instid1(VALU_DEP_4)
	v_max3_f32 v67, v67, v69, v70
	v_cndmask_b32_e64 v72, 0xff7fffff, v94, s18
	s_delay_alu instid0(VALU_DEP_1) | instskip(SKIP_3) | instid1(VALU_DEP_1)
	v_max3_f32 v67, v67, v71, v72
	ds_bpermute_b32 v68, v75, v67
	s_waitcnt lgkmcnt(0)
	v_max_f32_e32 v68, v68, v68
	v_max_f32_e32 v67, v67, v68
	s_delay_alu instid0(VALU_DEP_1) | instskip(SKIP_4) | instid1(VALU_DEP_4)
	v_fma_f32 v68, s35, v122, -v67
	v_fma_f32 v69, s35, v123, -v67
	;; [unrolled: 1-line block ×5, first 2 shown]
	v_dual_mul_f32 v68, 0x3fb8aa3b, v68 :: v_dual_mul_f32 v69, 0x3fb8aa3b, v69
	s_delay_alu instid0(VALU_DEP_4) | instskip(NEXT) | instid1(VALU_DEP_3)
	v_mul_f32_e32 v72, 0x3fb8aa3b, v72
	v_dual_mul_f32 v70, 0x3fb8aa3b, v70 :: v_dual_mul_f32 v71, 0x3fb8aa3b, v71
	s_delay_alu instid0(VALU_DEP_3) | instskip(NEXT) | instid1(VALU_DEP_3)
	v_exp_f32_e32 v68, v68
	v_exp_f32_e32 v69, v69
	s_delay_alu instid0(VALU_DEP_2) | instskip(NEXT) | instid1(VALU_DEP_1)
	v_exp_f32_e32 v79, v72
	v_exp_f32_e32 v76, v70
	;; [unrolled: 1-line block ×3, first 2 shown]
	v_cndmask_b32_e64 v70, 0, v68, s2
	s_delay_alu instid0(TRANS32_DEP_3)
	v_cndmask_b32_e64 v83, 0, v79, s5
	v_cndmask_b32_e32 v69, 0, v69, vcc_lo
	s_waitcnt_depctr 0xfff
	v_cndmask_b32_e64 v72, 0, v76, s3
	v_add_f32_e32 v77, 0, v70
	v_cndmask_b32_e64 v71, 0, v71, s4
	s_mov_b32 s3, exec_lo
	s_delay_alu instid0(VALU_DEP_2) | instskip(NEXT) | instid1(VALU_DEP_1)
	v_add_f32_e32 v76, v77, v69
	v_add_f32_e32 v76, v76, v72
	s_delay_alu instid0(VALU_DEP_1)
	v_add_f32_e32 v76, v76, v71
	v_fma_f32 v68, s35, v127, -v67
	v_fma_f32 v78, s35, v128, -v67
	;; [unrolled: 1-line block ×5, first 2 shown]
	v_mul_f32_e32 v68, 0x3fb8aa3b, v68
	v_mul_f32_e32 v78, 0x3fb8aa3b, v78
	s_delay_alu instid0(VALU_DEP_4) | instskip(NEXT) | instid1(VALU_DEP_3)
	v_mul_f32_e32 v80, 0x3fb8aa3b, v80
	v_exp_f32_e32 v68, v68
	s_delay_alu instid0(VALU_DEP_2) | instskip(NEXT) | instid1(VALU_DEP_1)
	v_exp_f32_e32 v78, v78
	v_exp_f32_e32 v80, v80
	s_delay_alu instid0(TRANS32_DEP_3)
	v_cndmask_b32_e64 v82, 0, v68, s6
	v_add_f32_e32 v68, v76, v83
	v_fma_f32 v76, s35, v116, -v67
	v_mul_f32_e32 v77, 0x3fb8aa3b, v77
	s_waitcnt_depctr 0xfff
	v_cndmask_b32_e64 v85, 0, v78, s7
	v_fma_f32 v78, s35, v117, -v67
	v_add_f32_e32 v68, v68, v82
	v_mul_f32_e32 v76, 0x3fb8aa3b, v76
	v_exp_f32_e32 v77, v77
	v_mul_f32_e32 v79, 0x3fb8aa3b, v79
	v_cndmask_b32_e64 v87, 0, v80, s9
	v_add_f32_e32 v68, v68, v85
	v_exp_f32_e32 v76, v76
	v_fma_f32 v80, s35, v119, -v67
	v_exp_f32_e32 v79, v79
	s_delay_alu instid0(TRANS32_DEP_3) | instskip(SKIP_3) | instid1(TRANS32_DEP_2)
	v_cndmask_b32_e64 v84, 0, v77, s8
	v_fma_f32 v77, s35, v118, -v67
	v_mul_f32_e32 v78, 0x3fb8aa3b, v78
	v_mul_f32_e32 v80, 0x3fb8aa3b, v80
	v_cndmask_b32_e64 v89, 0, v76, s11
	s_delay_alu instid0(VALU_DEP_4) | instskip(NEXT) | instid1(VALU_DEP_4)
	v_mul_f32_e32 v77, 0x3fb8aa3b, v77
	v_exp_f32_e32 v78, v78
	s_delay_alu instid0(TRANS32_DEP_2) | instskip(SKIP_1) | instid1(VALU_DEP_3)
	v_cndmask_b32_e64 v86, 0, v79, s10
	v_fma_f32 v79, s35, v120, -v67
	v_exp_f32_e32 v77, v77
	s_delay_alu instid0(VALU_DEP_1) | instskip(SKIP_1) | instid1(TRANS32_DEP_3)
	v_mul_f32_e32 v76, 0x3fb8aa3b, v79
	v_exp_f32_e32 v79, v80
	v_cndmask_b32_e64 v88, 0, v78, s12
	v_fma_f32 v78, s35, v121, -v67
	v_add_f32_e32 v68, v68, v84
	v_exp_f32_e32 v76, v76
	s_delay_alu instid0(TRANS32_DEP_3) | instskip(NEXT) | instid1(VALU_DEP_2)
	v_cndmask_b32_e64 v91, 0, v77, s13
	v_dual_mul_f32 v77, 0x3fb8aa3b, v78 :: v_dual_add_f32 v68, v68, v87
	s_delay_alu instid0(TRANS32_DEP_2) | instskip(NEXT) | instid1(VALU_DEP_2)
	v_cndmask_b32_e64 v90, 0, v79, s16
	v_exp_f32_e32 v77, v77
	s_delay_alu instid0(VALU_DEP_2) | instskip(SKIP_4) | instid1(VALU_DEP_2)
	v_add_f32_e32 v68, v68, v86
	s_waitcnt_depctr 0xfff
	v_cndmask_b32_e64 v93, 0, v76, s17
	v_and_b32_e32 v76, 31, v0
	v_add_f32_e32 v68, v68, v89
	v_cmp_lt_u32_e64 s2, 15, v76
	v_cndmask_b32_e64 v92, 0, v77, s18
	s_delay_alu instid0(VALU_DEP_3) | instskip(NEXT) | instid1(VALU_DEP_1)
	v_add_f32_e32 v68, v68, v88
	v_add_f32_e32 v68, v68, v91
	s_delay_alu instid0(VALU_DEP_1) | instskip(NEXT) | instid1(VALU_DEP_1)
	v_add_f32_e32 v68, v68, v90
	v_add_f32_e32 v68, v68, v93
	s_delay_alu instid0(VALU_DEP_1)
	v_add_f32_e32 v68, v68, v92
	ds_bpermute_b32 v75, v75, v68
	v_cmpx_gt_u32_e32 16, v76
	s_cbranch_execz .LBB1066_11
; %bb.10:
	v_mul_u32_u24_e32 v76, 0x44, v66
	s_delay_alu instid0(VALU_DEP_1) | instskip(SKIP_1) | instid1(VALU_DEP_1)
	v_lshl_add_u32 v76, v65, 2, v76
	s_waitcnt lgkmcnt(0)
	v_dual_add_f32 v68, v68, v75 :: v_dual_add_nc_u32 v75, 0x4000, v76
	ds_store_2addr_b32 v75, v67, v68 offset1:136
.LBB1066_11:
	s_or_b32 exec_lo, exec_lo, s3
	v_lshlrev_b32_e32 v67, 2, v65
	s_load_b64 s[36:37], s[0:1], 0x94
	s_waitcnt lgkmcnt(0)
	s_barrier
	buffer_gl0_inv
	v_add_nc_u32_e32 v81, 0x4000, v67
	v_cmp_eq_u32_e32 vcc_lo, 1, v66
	v_cmp_eq_u32_e64 s3, 2, v66
	v_cmp_eq_u32_e64 s5, 3, v66
	;; [unrolled: 1-line block ×3, first 2 shown]
	ds_load_2addr_b32 v[75:76], v81 offset1:17
	ds_load_2addr_b32 v[77:78], v81 offset0:34 offset1:51
	ds_load_2addr_b32 v[79:80], v81 offset0:68 offset1:85
	ds_load_2addr_b32 v[94:95], v81 offset0:102 offset1:119
	ds_load_2addr_b32 v[96:97], v81 offset0:136 offset1:153
	v_cmp_eq_u32_e64 s7, 5, v66
	v_cmp_eq_u32_e64 s4, 6, v66
	s_waitcnt lgkmcnt(4)
	v_max3_f32 v67, v75, 0xff7fffff, v76
	s_waitcnt lgkmcnt(3)
	s_delay_alu instid0(VALU_DEP_1) | instskip(SKIP_1) | instid1(VALU_DEP_1)
	v_max3_f32 v67, v67, v77, v78
	s_waitcnt lgkmcnt(2)
	v_max3_f32 v67, v67, v79, v80
	s_waitcnt lgkmcnt(1)
	s_delay_alu instid0(VALU_DEP_1) | instskip(NEXT) | instid1(VALU_DEP_1)
	v_max3_f32 v67, v67, v94, v95
	v_sub_f32_e32 v68, v75, v67
	s_delay_alu instid0(VALU_DEP_1) | instskip(NEXT) | instid1(VALU_DEP_1)
	v_dual_sub_f32 v79, v79, v67 :: v_dual_mul_f32 v68, 0x3fb8aa3b, v68
	v_mul_f32_e32 v102, 0x3fb8aa3b, v79
	s_delay_alu instid0(VALU_DEP_2) | instskip(SKIP_1) | instid1(VALU_DEP_1)
	v_exp_f32_e32 v99, v68
	v_sub_f32_e32 v68, v78, v67
	v_dual_sub_f32 v98, v76, v67 :: v_dual_mul_f32 v101, 0x3fb8aa3b, v68
	s_delay_alu instid0(VALU_DEP_1)
	v_dual_sub_f32 v77, v77, v67 :: v_dual_mul_f32 v98, 0x3fb8aa3b, v98
	s_waitcnt lgkmcnt(0)
	s_waitcnt_depctr 0xfff
	v_fma_f32 v68, v99, v96, 0
	v_sub_f32_e32 v96, v80, v67
	v_mul_f32_e32 v100, 0x3fb8aa3b, v77
	v_exp_f32_e32 v98, v98
	v_exp_f32_e32 v101, v101
	s_delay_alu instid0(VALU_DEP_1) | instskip(NEXT) | instid1(TRANS32_DEP_3)
	v_exp_f32_e32 v100, v100
	v_fmac_f32_e32 v68, v98, v97
	ds_load_2addr_b32 v[75:76], v81 offset0:170 offset1:187
	ds_load_2addr_b32 v[77:78], v81 offset0:204 offset1:221
	;; [unrolled: 1-line block ×3, first 2 shown]
	v_dual_sub_f32 v81, v94, v67 :: v_dual_mul_f32 v94, 0x3fb8aa3b, v96
	v_exp_f32_e32 v96, v102
	s_waitcnt lgkmcnt(0)
	s_barrier
	s_delay_alu instid0(VALU_DEP_1)
	v_mul_f32_e32 v81, 0x3fb8aa3b, v81
	v_exp_f32_e32 v94, v94
	buffer_gl0_inv
	v_fmac_f32_e32 v68, v100, v75
	v_sub_f32_e32 v75, v95, v67
	v_exp_f32_e32 v95, v81
	s_delay_alu instid0(VALU_DEP_1) | instskip(SKIP_1) | instid1(VALU_DEP_2)
	v_dual_fmac_f32 v68, v101, v76 :: v_dual_mul_f32 v75, 0x3fb8aa3b, v75
	v_cndmask_b32_e32 v76, v99, v98, vcc_lo
	v_fmac_f32_e32 v68, v96, v77
	s_delay_alu instid0(VALU_DEP_3) | instskip(NEXT) | instid1(VALU_DEP_1)
	v_exp_f32_e32 v97, v75
	v_fmac_f32_e32 v68, v94, v78
	s_waitcnt_depctr 0xfff
	v_dual_fmac_f32 v68, v95, v79 :: v_dual_lshlrev_b32 v79, 6, v65
	s_delay_alu instid0(VALU_DEP_1) | instskip(NEXT) | instid1(VALU_DEP_2)
	v_dual_mov_b32 v65, 0 :: v_dual_fmac_f32 v68, v97, v80
	v_lshl_or_b32 v81, v66, 11, v79
	s_delay_alu instid0(VALU_DEP_2) | instskip(NEXT) | instid1(VALU_DEP_1)
	v_add_f32_e32 v80, 0x358637bd, v68
	v_div_scale_f32 v102, null, v80, v80, 1.0
	v_div_scale_f32 v98, vcc_lo, 1.0, v80, 1.0
	s_delay_alu instid0(VALU_DEP_2) | instskip(SKIP_2) | instid1(VALU_DEP_1)
	v_rcp_f32_e32 v103, v102
	s_waitcnt_depctr 0xfff
	v_fma_f32 v75, -v102, v103, 1.0
	v_fmac_f32_e32 v103, v75, v103
	v_cndmask_b32_e64 v75, v76, v100, s3
	v_cmp_eq_u32_e64 s3, 7, v66
	s_delay_alu instid0(VALU_DEP_3) | instskip(NEXT) | instid1(VALU_DEP_3)
	v_mul_f32_e32 v99, v98, v103
	v_cndmask_b32_e64 v76, v75, v101, s5
	v_lshlrev_b32_e32 v75, 2, v74
	s_delay_alu instid0(VALU_DEP_3) | instskip(NEXT) | instid1(VALU_DEP_3)
	v_fma_f32 v77, -v102, v99, v98
	v_cndmask_b32_e64 v96, v76, v96, s6
	s_delay_alu instid0(VALU_DEP_3)
	v_or_b32_e32 v78, 1, v75
	v_or_b32_e32 v76, 2, v75
	v_cmp_eq_u32_e64 s5, 1, v75
	v_fmac_f32_e32 v99, v77, v103
	v_cndmask_b32_e64 v66, v96, v94, s7
	v_or_b32_e32 v77, 3, v75
	v_cmp_eq_u32_e64 s9, 1, v78
	v_cmp_eq_u32_e64 s10, 1, v76
	v_fma_f32 v94, -v102, v99, v98
	v_cndmask_b32_e64 v66, v66, v95, s4
	v_cmp_eq_u32_e64 s11, 1, v77
	v_cmp_eq_u32_e64 s6, 2, v75
	;; [unrolled: 1-line block ×3, first 2 shown]
	v_div_fmas_f32 v94, v94, v103, v99
	v_cndmask_b32_e64 v66, v66, v97, s3
	v_cmp_eq_u32_e64 s17, 2, v77
	v_cmp_eq_u32_e32 vcc_lo, 3, v75
	v_cmp_eq_u32_e64 s13, 3, v78
	v_div_fixup_f32 v94, v94, v80, 1.0
	v_lshl_or_b32 v80, v74, 4, v81
	v_cmp_eq_u32_e64 s16, 2, v76
	v_cmp_eq_u32_e64 s19, 3, v77
	;; [unrolled: 1-line block ×3, first 2 shown]
	v_mul_f32_e32 v66, v66, v94
	v_cmp_eq_u32_e64 s18, 3, v76
	v_cmp_eq_u32_e64 s20, 4, v78
	;; [unrolled: 1-line block ×4, first 2 shown]
	v_fma_mixlo_f16 v94, v66, v70, 0
	v_fma_mixlo_f16 v95, v66, v72, 0
	;; [unrolled: 1-line block ×8, first 2 shown]
	v_fma_mixhi_f16 v94, v66, v69, 0
	v_fma_mixhi_f16 v95, v66, v71, 0
	;; [unrolled: 1-line block ×8, first 2 shown]
	ds_store_b128 v80, v[94:97]
	ds_store_b128 v80, v[98:101] offset:1024
	s_waitcnt lgkmcnt(0)
	s_barrier
	buffer_gl0_inv
	ds_load_b128 v[69:72], v81
	ds_load_b128 v[82:85], v81 offset:16
	ds_load_b128 v[86:89], v81 offset:1024
	;; [unrolled: 1-line block ×3, first 2 shown]
	v_cmp_eq_u32_e64 s21, 5, v78
	v_cmp_eq_u32_e64 s22, 4, v76
	;; [unrolled: 1-line block ×12, first 2 shown]
	s_waitcnt lgkmcnt(3)
	v_lshrrev_b32_e32 v66, 16, v69
	s_waitcnt lgkmcnt(2)
	v_lshrrev_b32_e32 v97, 16, v82
	;; [unrolled: 2-line block ×4, first 2 shown]
	v_lshrrev_b32_e32 v94, 16, v70
	v_cndmask_b32_e64 v109, v69, v66, s5
	v_cndmask_b32_e64 v110, v82, v97, s5
	;; [unrolled: 1-line block ×7, first 2 shown]
	v_lshrrev_b32_e32 v98, 16, v83
	v_cndmask_b32_e64 v114, v82, v97, s10
	v_cndmask_b32_e64 v82, v86, v101, s5
	;; [unrolled: 1-line block ×15, first 2 shown]
	v_lshrrev_b32_e32 v102, 16, v87
	v_lshrrev_b32_e32 v106, 16, v91
	v_cndmask_b32_e64 v111, v113, v70, s16
	v_cndmask_b32_e64 v112, v114, v83, s16
	;; [unrolled: 1-line block ×7, first 2 shown]
	v_cndmask_b32_e32 v87, v101, v94, vcc_lo
	v_cndmask_b32_e32 v101, v105, v98, vcc_lo
	v_cndmask_b32_e64 v105, v109, v94, s13
	v_cndmask_b32_e64 v109, v110, v98, s13
	;; [unrolled: 1-line block ×4, first 2 shown]
	v_lshrrev_b32_e32 v95, 16, v71
	v_lshrrev_b32_e32 v99, 16, v84
	v_cndmask_b32_e64 v110, v111, v94, s18
	v_cndmask_b32_e64 v111, v112, v98, s18
	v_cndmask_b32_e32 v70, v70, v102, vcc_lo
	v_cndmask_b32_e32 v82, v82, v106, vcc_lo
	v_cndmask_b32_e64 v83, v83, v102, s13
	v_cndmask_b32_e64 v87, v87, v71, s4
	;; [unrolled: 1-line block ×7, first 2 shown]
	v_lshrrev_b32_e32 v103, 16, v88
	v_lshrrev_b32_e32 v107, 16, v92
	v_cndmask_b32_e64 v105, v110, v71, s22
	v_cndmask_b32_e64 v109, v111, v84, s22
	v_cndmask_b32_e64 v70, v70, v88, s4
	v_cndmask_b32_e64 v71, v82, v92, s4
	v_cndmask_b32_e64 v82, v83, v88, s20
	v_cndmask_b32_e64 v83, v87, v95, s7
	v_cndmask_b32_e64 v84, v94, v99, s7
	v_cndmask_b32_e64 v87, v98, v95, s21
	v_cndmask_b32_e64 v94, v101, v99, s21
	v_cndmask_b32_e64 v66, v66, v95, s25
	v_cndmask_b32_e64 v69, v69, v99, s25
	v_lshrrev_b32_e32 v96, 16, v72
	v_lshrrev_b32_e32 v100, 16, v85
	v_cndmask_b32_e64 v98, v105, v95, s24
	v_cndmask_b32_e64 v101, v109, v99, s24
	;; [unrolled: 1-line block ×11, first 2 shown]
	v_lshrrev_b32_e32 v104, 16, v89
	v_cndmask_b32_e64 v95, v98, v72, s27
	v_cndmask_b32_e64 v98, v101, v85, s27
	;; [unrolled: 1-line block ×14, first 2 shown]
	v_perm_b32 v72, v69, v66, 0x5040100
	v_perm_b32 v70, v94, v84, 0x5040100
	v_cndmask_b32_e64 v66, v90, v91, s17
	v_cndmask_b32_e64 v69, v118, v91, s16
	;; [unrolled: 1-line block ×4, first 2 shown]
	v_perm_b32 v71, v95, v87, 0x5040100
	v_cndmask_b32_e64 v87, v97, v102, s18
	v_cndmask_b32_e64 v86, v86, v102, s19
	;; [unrolled: 1-line block ×15, first 2 shown]
	v_lshrrev_b32_e32 v108, 16, v93
	v_cndmask_b32_e64 v87, v87, v89, s27
	v_cndmask_b32_e64 v86, v86, v89, s28
	;; [unrolled: 1-line block ×11, first 2 shown]
	v_perm_b32 v69, v83, v82, 0x5040100
	v_perm_b32 v85, v66, v86, 0x5040100
	;; [unrolled: 1-line block ×5, first 2 shown]
	s_mov_b32 s3, exec_lo
	ds_store_b128 v80, v[69:72]
	ds_store_b128 v80, v[82:85] offset:1024
	v_cmpx_eq_u32_e32 0, v0
	s_cbranch_execz .LBB1066_13
; %bb.12:
	s_load_b128 s[4:7], s[0:1], 0x58
	s_mul_i32 s8, s37, s34
	s_delay_alu instid0(SALU_CYCLE_1) | instskip(NEXT) | instid1(SALU_CYCLE_1)
	s_add_i32 s8, s8, s15
	s_mul_i32 s8, s8, s36
	s_delay_alu instid0(SALU_CYCLE_1) | instskip(NEXT) | instid1(SALU_CYCLE_1)
	s_add_i32 s8, s8, s14
	s_ashr_i32 s9, s8, 31
	s_delay_alu instid0(SALU_CYCLE_1)
	s_lshl_b64 s[8:9], s[8:9], 2
	s_waitcnt lgkmcnt(0)
	s_add_u32 s6, s6, s8
	s_addc_u32 s7, s7, s9
	s_add_u32 s4, s4, s8
	s_addc_u32 s5, s5, s9
	s_clause 0x1
	global_store_b32 v65, v67, s[6:7]
	global_store_b32 v65, v68, s[4:5]
.LBB1066_13:
	s_or_b32 exec_lo, exec_lo, s3
	s_waitcnt lgkmcnt(0)
	s_waitcnt_vscnt null, 0x0
	s_barrier
	buffer_gl0_inv
	ds_load_b128 v[82:85], v79
	ds_load_b128 v[86:89], v79 offset:16
	ds_load_b128 v[94:97], v79 offset:2064
	;; [unrolled: 1-line block ×5, first 2 shown]
	v_mov_b32_e32 v66, v65
	v_mov_b32_e32 v67, v65
	;; [unrolled: 1-line block ×7, first 2 shown]
	ds_load_b128 v[110:113], v79 offset:6160
	ds_load_b128 v[106:109], v79 offset:6144
	v_cmp_eq_u32_e32 vcc_lo, 1, v75
	v_cmp_eq_u32_e64 s3, 1, v78
	v_cmp_eq_u32_e64 s4, 1, v77
	;; [unrolled: 1-line block ×5, first 2 shown]
	s_xor_b32 s2, s2, -1
	s_waitcnt lgkmcnt(6)
	v_wmma_f32_16x16x16_f16 v[65:72], v[49:56], v[82:89], v[65:72]
	ds_load_b128 v[53:56], v79 offset:8208
	ds_load_b128 v[49:52], v79 offset:8192
	;; [unrolled: 1-line block ×4, first 2 shown]
	s_waitcnt lgkmcnt(8)
	v_wmma_f32_16x16x16_f16 v[65:72], v[41:48], v[90:97], v[65:72]
	ds_load_b128 v[45:48], v79 offset:12304
	ds_load_b128 v[41:44], v79 offset:12288
	s_waitcnt lgkmcnt(8)
	v_wmma_f32_16x16x16_f16 v[65:72], v[33:40], v[98:105], v[65:72]
	ds_load_b128 v[37:40], v79 offset:14352
	ds_load_b128 v[33:36], v79 offset:14336
	s_waitcnt lgkmcnt(0)
	s_barrier
	buffer_gl0_inv
	v_wmma_f32_16x16x16_f16 v[65:72], v[1:8], v[106:113], v[65:72]
	s_delay_alu instid0(VALU_DEP_1) | instskip(NEXT) | instid1(VALU_DEP_1)
	v_wmma_f32_16x16x16_f16 v[65:72], v[9:16], v[49:56], v[65:72]
	v_wmma_f32_16x16x16_f16 v[65:72], v[17:24], v[82:89], v[65:72]
	s_delay_alu instid0(VALU_DEP_1) | instskip(NEXT) | instid1(VALU_DEP_1)
	v_wmma_f32_16x16x16_f16 v[65:72], v[25:32], v[41:48], v[65:72]
	v_wmma_f32_16x16x16_f16 v[65:72], v[57:64], v[33:40], v[65:72]
	s_delay_alu instid0(VALU_DEP_1) | instskip(NEXT) | instid1(VALU_DEP_2)
	v_cvt_f16_f32_e32 v1, v65
	v_cvt_f16_f32_e32 v2, v66
	s_delay_alu instid0(VALU_DEP_3) | instskip(NEXT) | instid1(VALU_DEP_4)
	v_cvt_f16_f32_e32 v3, v67
	v_cvt_f16_f32_e32 v4, v68
	;; [unrolled: 1-line block ×6, first 2 shown]
	v_pack_b32_f16 v1, v1, v2
	v_pack_b32_f16 v2, v3, v4
	;; [unrolled: 1-line block ×3, first 2 shown]
	s_delay_alu instid0(VALU_DEP_4)
	v_pack_b32_f16 v4, v7, v8
	ds_store_b128 v80, v[1:4]
	s_waitcnt lgkmcnt(0)
	s_barrier
	buffer_gl0_inv
	ds_load_b128 v[1:4], v81
	ds_load_b128 v[5:8], v81 offset:16
	s_waitcnt lgkmcnt(1)
	v_lshrrev_b32_e32 v9, 16, v1
	s_waitcnt lgkmcnt(0)
	v_lshrrev_b32_e32 v13, 16, v5
	v_lshrrev_b32_e32 v16, 16, v8
	;; [unrolled: 1-line block ×4, first 2 shown]
	v_cndmask_b32_e32 v17, v1, v9, vcc_lo
	v_cndmask_b32_e32 v18, v5, v13, vcc_lo
	v_cmp_eq_u32_e32 vcc_lo, 1, v76
	v_cndmask_b32_e64 v19, v1, v9, s3
	v_cndmask_b32_e64 v20, v5, v13, s3
	v_cmp_eq_u32_e64 s3, 2, v76
	v_lshrrev_b32_e32 v11, 16, v3
	v_cndmask_b32_e32 v21, v1, v9, vcc_lo
	v_cndmask_b32_e32 v22, v5, v13, vcc_lo
	v_cndmask_b32_e64 v1, v1, v9, s4
	v_cmp_eq_u32_e32 vcc_lo, 2, v77
	v_cndmask_b32_e64 v5, v5, v13, s4
	v_cmp_eq_u32_e64 s4, 2, v78
	v_cndmask_b32_e64 v9, v17, v2, s5
	v_cndmask_b32_e64 v13, v18, v6, s5
	v_cmp_eq_u32_e64 s5, 3, v78
	v_cndmask_b32_e32 v1, v1, v2, vcc_lo
	v_cndmask_b32_e64 v17, v19, v2, s4
	v_cndmask_b32_e64 v18, v20, v6, s4
	;; [unrolled: 1-line block ×4, first 2 shown]
	v_cndmask_b32_e32 v2, v5, v6, vcc_lo
	v_cmp_eq_u32_e32 vcc_lo, 3, v76
	v_cmp_eq_u32_e64 s4, 3, v77
	v_cndmask_b32_e64 v5, v9, v10, s6
	v_cndmask_b32_e64 v6, v13, v14, s6
	;; [unrolled: 1-line block ×4, first 2 shown]
	v_cndmask_b32_e32 v17, v19, v10, vcc_lo
	v_cmp_eq_u32_e64 s3, 4, v76
	v_cndmask_b32_e32 v18, v20, v14, vcc_lo
	v_cndmask_b32_e64 v1, v1, v10, s4
	v_cmp_eq_u32_e32 vcc_lo, 4, v77
	v_cmp_eq_u32_e64 s5, 4, v75
	v_cndmask_b32_e64 v2, v2, v14, s4
	v_cmp_eq_u32_e64 s4, 4, v78
	v_lshrrev_b32_e32 v15, 16, v7
	v_cmp_eq_u32_e64 s6, 5, v75
	v_cndmask_b32_e64 v5, v5, v3, s5
	v_cndmask_b32_e64 v6, v6, v7, s5
	;; [unrolled: 1-line block ×3, first 2 shown]
	v_cmp_eq_u32_e64 s5, 5, v78
	v_cndmask_b32_e64 v10, v13, v7, s4
	v_cndmask_b32_e64 v13, v17, v3, s3
	;; [unrolled: 1-line block ×3, first 2 shown]
	v_cmp_eq_u32_e64 s4, 5, v76
	v_cndmask_b32_e32 v1, v1, v3, vcc_lo
	v_cndmask_b32_e32 v2, v2, v7, vcc_lo
	v_cmp_eq_u32_e32 vcc_lo, 5, v77
	v_cndmask_b32_e64 v5, v5, v11, s6
	v_cmp_eq_u32_e64 s3, 6, v75
	v_cndmask_b32_e64 v6, v6, v15, s6
	v_cndmask_b32_e64 v9, v9, v11, s5
	;; [unrolled: 1-line block ×4, first 2 shown]
	v_cmp_eq_u32_e64 s5, 6, v78
	v_cndmask_b32_e64 v3, v14, v15, s4
	v_cndmask_b32_e32 v1, v1, v11, vcc_lo
	v_cmp_eq_u32_e64 s4, 6, v77
	v_cndmask_b32_e32 v2, v2, v15, vcc_lo
	v_lshrrev_b32_e32 v12, 16, v4
	v_cndmask_b32_e64 v5, v5, v4, s3
	v_cndmask_b32_e64 v9, v9, v4, s5
	;; [unrolled: 1-line block ×3, first 2 shown]
	v_cmp_eq_u32_e64 s3, 7, v75
	v_cmp_eq_u32_e64 s6, 7, v78
	v_cndmask_b32_e64 v7, v13, v4, s7
	v_cndmask_b32_e64 v3, v3, v8, s7
	;; [unrolled: 1-line block ×3, first 2 shown]
	v_cmp_eq_u32_e32 vcc_lo, 7, v77
	v_cndmask_b32_e64 v2, v2, v8, s4
	v_cmp_eq_u32_e64 s4, 7, v76
	v_cndmask_b32_e64 v4, v10, v8, s5
	v_cndmask_b32_e64 v5, v5, v12, s3
	;; [unrolled: 1-line block ×3, first 2 shown]
	v_cndmask_b32_e32 v2, v2, v16, vcc_lo
	v_cndmask_b32_e64 v7, v7, v12, s4
	v_cndmask_b32_e32 v1, v1, v12, vcc_lo
	v_cndmask_b32_e64 v3, v3, v16, s4
	v_cndmask_b32_e64 v8, v4, v16, s6
	;; [unrolled: 1-line block ×3, first 2 shown]
	v_cmp_gt_u32_e32 vcc_lo, 32, v0
	v_perm_b32 v4, v2, v1, 0x5040100
	v_perm_b32 v3, v3, v7, 0x5040100
	;; [unrolled: 1-line block ×4, first 2 shown]
	s_and_b32 s2, vcc_lo, s2
	ds_store_b128 v80, v[1:4]
	s_waitcnt lgkmcnt(0)
	s_barrier
	buffer_gl0_inv
	s_and_saveexec_b32 s3, s2
	s_cbranch_execz .LBB1066_2
; %bb.14:
	s_load_b64 s[0:1], s[0:1], 0x68
	v_lshlrev_b32_e32 v1, 10, v0
	v_and_b32_e32 v0, 1, v0
	v_lshlrev_b32_e32 v2, 6, v74
	s_lshl_b32 s4, s36, 7
	s_delay_alu instid0(VALU_DEP_3) | instskip(NEXT) | instid1(VALU_DEP_3)
	v_and_b32_e32 v1, 0x3800, v1
	v_lshlrev_b32_e32 v0, 4, v0
	s_mul_i32 s2, s4, s34
	s_delay_alu instid0(SALU_CYCLE_1) | instskip(NEXT) | instid1(VALU_DEP_1)
	s_mul_i32 s2, s2, s37
	v_or3_b32 v0, v1, v2, v0
	s_ashr_i32 s3, s2, 31
	s_delay_alu instid0(SALU_CYCLE_1)
	s_lshl_b64 s[2:3], s[2:3], 1
	ds_load_b128 v[0:3], v0
	s_waitcnt lgkmcnt(0)
	s_add_u32 s5, s0, s2
	s_addc_u32 s3, s1, s3
	s_lshl_b32 s0, s14, 7
	s_mul_i32 s2, s4, s15
	s_ashr_i32 s1, s0, 31
	s_delay_alu instid0(SALU_CYCLE_1) | instskip(NEXT) | instid1(SALU_CYCLE_1)
	s_lshl_b64 s[0:1], s[0:1], 1
	s_add_u32 s4, s5, s0
	s_addc_u32 s5, s3, s1
	s_ashr_i32 s3, s2, 31
	s_delay_alu instid0(SALU_CYCLE_1) | instskip(NEXT) | instid1(SALU_CYCLE_1)
	s_lshl_b64 s[0:1], s[2:3], 1
	s_add_u32 s0, s4, s0
	s_addc_u32 s1, s5, s1
	global_store_b128 v73, v[0:3], s[0:1]
	s_nop 0
	s_sendmsg sendmsg(MSG_DEALLOC_VGPRS)
	s_endpgm
	.section	.rodata,"a",@progbits
	.p2align	6, 0x0
	.amdhsa_kernel _Z39paged_attention_ll4mi_QKV_mfma16_kernelIDF16_hLN4vllm18Fp8KVCacheDataTypeE1EDF16_Li32ELi128ELi256ELb1ELi1EL8MFMAType1EEvPKT_PKT0_S8_ifPKiSA_SA_iPKfiiiPfSD_PS3_PT2_iSC_SC_
		.amdhsa_group_segment_fixed_size 17472
		.amdhsa_private_segment_fixed_size 0
		.amdhsa_kernarg_size 400
		.amdhsa_user_sgpr_count 13
		.amdhsa_user_sgpr_dispatch_ptr 0
		.amdhsa_user_sgpr_queue_ptr 0
		.amdhsa_user_sgpr_kernarg_segment_ptr 1
		.amdhsa_user_sgpr_dispatch_id 0
		.amdhsa_user_sgpr_private_segment_size 0
		.amdhsa_wavefront_size32 1
		.amdhsa_uses_dynamic_stack 0
		.amdhsa_enable_private_segment 0
		.amdhsa_system_sgpr_workgroup_id_x 1
		.amdhsa_system_sgpr_workgroup_id_y 1
		.amdhsa_system_sgpr_workgroup_id_z 1
		.amdhsa_system_sgpr_workgroup_info 0
		.amdhsa_system_vgpr_workitem_id 0
		.amdhsa_next_free_vgpr 134
		.amdhsa_next_free_sgpr 68
		.amdhsa_reserve_vcc 1
		.amdhsa_float_round_mode_32 0
		.amdhsa_float_round_mode_16_64 0
		.amdhsa_float_denorm_mode_32 3
		.amdhsa_float_denorm_mode_16_64 3
		.amdhsa_dx10_clamp 1
		.amdhsa_ieee_mode 1
		.amdhsa_fp16_overflow 0
		.amdhsa_workgroup_processor_mode 1
		.amdhsa_memory_ordered 1
		.amdhsa_forward_progress 0
		.amdhsa_shared_vgpr_count 0
		.amdhsa_exception_fp_ieee_invalid_op 0
		.amdhsa_exception_fp_denorm_src 0
		.amdhsa_exception_fp_ieee_div_zero 0
		.amdhsa_exception_fp_ieee_overflow 0
		.amdhsa_exception_fp_ieee_underflow 0
		.amdhsa_exception_fp_ieee_inexact 0
		.amdhsa_exception_int_div_zero 0
	.end_amdhsa_kernel
	.section	.text._Z39paged_attention_ll4mi_QKV_mfma16_kernelIDF16_hLN4vllm18Fp8KVCacheDataTypeE1EDF16_Li32ELi128ELi256ELb1ELi1EL8MFMAType1EEvPKT_PKT0_S8_ifPKiSA_SA_iPKfiiiPfSD_PS3_PT2_iSC_SC_,"axG",@progbits,_Z39paged_attention_ll4mi_QKV_mfma16_kernelIDF16_hLN4vllm18Fp8KVCacheDataTypeE1EDF16_Li32ELi128ELi256ELb1ELi1EL8MFMAType1EEvPKT_PKT0_S8_ifPKiSA_SA_iPKfiiiPfSD_PS3_PT2_iSC_SC_,comdat
.Lfunc_end1066:
	.size	_Z39paged_attention_ll4mi_QKV_mfma16_kernelIDF16_hLN4vllm18Fp8KVCacheDataTypeE1EDF16_Li32ELi128ELi256ELb1ELi1EL8MFMAType1EEvPKT_PKT0_S8_ifPKiSA_SA_iPKfiiiPfSD_PS3_PT2_iSC_SC_, .Lfunc_end1066-_Z39paged_attention_ll4mi_QKV_mfma16_kernelIDF16_hLN4vllm18Fp8KVCacheDataTypeE1EDF16_Li32ELi128ELi256ELb1ELi1EL8MFMAType1EEvPKT_PKT0_S8_ifPKiSA_SA_iPKfiiiPfSD_PS3_PT2_iSC_SC_
                                        ; -- End function
	.section	.AMDGPU.csdata,"",@progbits
; Kernel info:
; codeLenInByte = 6404
; NumSgprs: 70
; NumVgprs: 134
; ScratchSize: 0
; MemoryBound: 1
; FloatMode: 240
; IeeeMode: 1
; LDSByteSize: 17472 bytes/workgroup (compile time only)
; SGPRBlocks: 8
; VGPRBlocks: 16
; NumSGPRsForWavesPerEU: 70
; NumVGPRsForWavesPerEU: 134
; Occupancy: 10
; WaveLimiterHint : 1
; COMPUTE_PGM_RSRC2:SCRATCH_EN: 0
; COMPUTE_PGM_RSRC2:USER_SGPR: 13
; COMPUTE_PGM_RSRC2:TRAP_HANDLER: 0
; COMPUTE_PGM_RSRC2:TGID_X_EN: 1
; COMPUTE_PGM_RSRC2:TGID_Y_EN: 1
; COMPUTE_PGM_RSRC2:TGID_Z_EN: 1
; COMPUTE_PGM_RSRC2:TIDIG_COMP_CNT: 0
	.section	.text._Z39paged_attention_ll4mi_QKV_mfma16_kernelIDF16_hLN4vllm18Fp8KVCacheDataTypeE1EDF16_Li32ELi128ELi256ELb1ELi2EL8MFMAType1EEvPKT_PKT0_S8_ifPKiSA_SA_iPKfiiiPfSD_PS3_PT2_iSC_SC_,"axG",@progbits,_Z39paged_attention_ll4mi_QKV_mfma16_kernelIDF16_hLN4vllm18Fp8KVCacheDataTypeE1EDF16_Li32ELi128ELi256ELb1ELi2EL8MFMAType1EEvPKT_PKT0_S8_ifPKiSA_SA_iPKfiiiPfSD_PS3_PT2_iSC_SC_,comdat
	.protected	_Z39paged_attention_ll4mi_QKV_mfma16_kernelIDF16_hLN4vllm18Fp8KVCacheDataTypeE1EDF16_Li32ELi128ELi256ELb1ELi2EL8MFMAType1EEvPKT_PKT0_S8_ifPKiSA_SA_iPKfiiiPfSD_PS3_PT2_iSC_SC_ ; -- Begin function _Z39paged_attention_ll4mi_QKV_mfma16_kernelIDF16_hLN4vllm18Fp8KVCacheDataTypeE1EDF16_Li32ELi128ELi256ELb1ELi2EL8MFMAType1EEvPKT_PKT0_S8_ifPKiSA_SA_iPKfiiiPfSD_PS3_PT2_iSC_SC_
	.globl	_Z39paged_attention_ll4mi_QKV_mfma16_kernelIDF16_hLN4vllm18Fp8KVCacheDataTypeE1EDF16_Li32ELi128ELi256ELb1ELi2EL8MFMAType1EEvPKT_PKT0_S8_ifPKiSA_SA_iPKfiiiPfSD_PS3_PT2_iSC_SC_
	.p2align	8
	.type	_Z39paged_attention_ll4mi_QKV_mfma16_kernelIDF16_hLN4vllm18Fp8KVCacheDataTypeE1EDF16_Li32ELi128ELi256ELb1ELi2EL8MFMAType1EEvPKT_PKT0_S8_ifPKiSA_SA_iPKfiiiPfSD_PS3_PT2_iSC_SC_,@function
_Z39paged_attention_ll4mi_QKV_mfma16_kernelIDF16_hLN4vllm18Fp8KVCacheDataTypeE1EDF16_Li32ELi128ELi256ELb1ELi2EL8MFMAType1EEvPKT_PKT0_S8_ifPKiSA_SA_iPKfiiiPfSD_PS3_PT2_iSC_SC_: ; @_Z39paged_attention_ll4mi_QKV_mfma16_kernelIDF16_hLN4vllm18Fp8KVCacheDataTypeE1EDF16_Li32ELi128ELi256ELb1ELi2EL8MFMAType1EEvPKT_PKT0_S8_ifPKiSA_SA_iPKfiiiPfSD_PS3_PT2_iSC_SC_
; %bb.0:
	s_load_b64 s[2:3], s[0:1], 0x30
	s_mov_b32 s34, s13
	s_waitcnt lgkmcnt(0)
	s_cmp_lg_u64 s[2:3], 0
	s_cselect_b32 s8, -1, 0
	s_ashr_i32 s35, s13, 31
	s_cmp_eq_u64 s[2:3], 0
	s_cbranch_scc1 .LBB1067_3
; %bb.1:
	s_lshl_b64 s[4:5], s[34:35], 2
	s_delay_alu instid0(SALU_CYCLE_1) | instskip(SKIP_4) | instid1(SALU_CYCLE_1)
	s_add_u32 s4, s2, s4
	s_addc_u32 s5, s3, s5
	s_load_b64 s[4:5], s[4:5], 0x0
	s_waitcnt lgkmcnt(0)
	s_sub_i32 s4, s5, s4
	s_cmp_eq_u32 s4, 1
	s_cselect_b32 s4, -1, 0
	s_delay_alu instid0(SALU_CYCLE_1)
	s_and_not1_b32 vcc_lo, exec_lo, s4
	s_cbranch_vccz .LBB1067_4
.LBB1067_2:
	s_endpgm
.LBB1067_3:
.LBB1067_4:
	s_load_b64 s[4:5], s[0:1], 0x28
	s_lshl_b64 s[6:7], s[34:35], 2
	s_waitcnt lgkmcnt(0)
	s_add_u32 s4, s4, s6
	s_addc_u32 s5, s5, s7
	s_lshl_b32 s12, s14, 8
	s_load_b32 s24, s[4:5], 0x0
	s_waitcnt lgkmcnt(0)
	s_cmp_ge_i32 s12, s24
	s_cbranch_scc1 .LBB1067_2
; %bb.5:
	s_clause 0x1
	s_load_b128 s[20:23], s[0:1], 0x8
	s_load_b64 s[4:5], s[0:1], 0x20
	s_and_not1_b32 vcc_lo, exec_lo, s8
	s_cbranch_vccnz .LBB1067_7
; %bb.6:
	s_add_u32 s2, s2, s6
	s_addc_u32 s3, s3, s7
	s_load_b32 s3, s[2:3], 0x0
	s_branch .LBB1067_8
.LBB1067_7:
	s_mov_b32 s3, s34
.LBB1067_8:
	s_load_b128 s[16:19], s[0:1], 0x48
	v_and_b32_e32 v70, 15, v0
	v_bfe_u32 v69, v0, 4, 1
	s_lshl_b32 s31, s15, 1
	v_and_b32_e32 v71, 31, v0
	v_and_b32_e32 v68, 1, v0
	v_lshlrev_b32_e32 v1, 3, v70
	v_cmp_gt_u32_e64 s2, 32, v0
	v_or_b32_e32 v67, s31, v69
	v_lshlrev_b32_e32 v66, 6, v69
	s_delay_alu instid0(VALU_DEP_4) | instskip(NEXT) | instid1(VALU_DEP_4)
	v_lshlrev_b32_e32 v65, 1, v1
	s_and_saveexec_b32 s6, s2
	s_cbranch_execz .LBB1067_10
; %bb.9:
	s_load_b64 s[8:9], s[0:1], 0x0
	v_lshlrev_b32_e32 v1, 7, v67
	s_waitcnt lgkmcnt(0)
	s_mul_hi_i32 s11, s3, s16
	s_mul_i32 s10, s3, s16
	v_lshlrev_b32_e32 v5, 10, v70
	s_lshl_b64 s[10:11], s[10:11], 1
	v_ashrrev_i32_e32 v2, 31, v1
	v_lshlrev_b32_e32 v6, 10, v68
	s_delay_alu instid0(VALU_DEP_3) | instskip(NEXT) | instid1(VALU_DEP_3)
	v_and_b32_e32 v5, 0x3800, v5
	v_lshlrev_b64 v[1:2], 1, v[1:2]
	s_delay_alu instid0(VALU_DEP_2) | instskip(SKIP_2) | instid1(VALU_DEP_2)
	v_or3_b32 v5, v5, v6, v66
	s_add_u32 s3, s8, s10
	s_addc_u32 s7, s9, s11
	v_add_co_u32 v1, vcc_lo, s3, v1
	s_delay_alu instid0(VALU_DEP_3) | instskip(NEXT) | instid1(VALU_DEP_2)
	v_add_co_ci_u32_e32 v2, vcc_lo, s7, v2, vcc_lo
	v_add_co_u32 v1, vcc_lo, v1, v65
	s_delay_alu instid0(VALU_DEP_2)
	v_add_co_ci_u32_e32 v2, vcc_lo, 0, v2, vcc_lo
	global_load_b128 v[1:4], v[1:2], off
	s_waitcnt vmcnt(0)
	ds_store_b128 v5, v[1:4]
.LBB1067_10:
	s_or_b32 exec_lo, exec_lo, s6
	v_and_b32_e32 v1, 0xef, v0
	s_waitcnt lgkmcnt(0)
	s_add_i32 s3, s24, 31
	s_clause 0x1
	s_load_b32 s6, s[0:1], 0x38
	s_load_b32 s33, s[0:1], 0x98
	s_ashr_i32 s7, s3, 31
	v_add_nc_u32_e32 v1, s12, v1
	s_lshr_b32 s7, s7, 27
	s_load_b32 s19, s[0:1], 0x1c
	s_add_i32 s3, s3, s7
	s_waitcnt lgkmcnt(0)
	v_ashrrev_i32_e32 v2, 31, v1
	v_or_b32_e32 v3, 16, v1
	s_ashr_i32 s3, s3, 5
	v_cmp_gt_i32_e32 vcc_lo, s24, v1
	s_add_i32 s3, s3, -1
	v_lshrrev_b32_e32 v2, 27, v2
	s_barrier
	buffer_gl0_inv
	s_mul_i32 s35, s15, s18
	v_lshrrev_b32_e32 v72, 5, v0
	v_add_nc_u32_e32 v4, v1, v2
	s_mul_i32 s6, s34, s6
	s_delay_alu instid0(SALU_CYCLE_1) | instskip(NEXT) | instid1(VALU_DEP_1)
	s_ashr_i32 s7, s6, 31
	v_ashrrev_i32_e32 v4, 5, v4
	v_add_nc_u32_e32 v2, v3, v2
	s_lshl_b64 s[6:7], s[6:7], 2
	s_delay_alu instid0(SALU_CYCLE_1) | instskip(NEXT) | instid1(VALU_DEP_2)
	s_add_u32 s25, s4, s6
	v_cndmask_b32_e32 v1, s3, v4, vcc_lo
	s_delay_alu instid0(VALU_DEP_2)
	v_ashrrev_i32_e32 v2, 5, v2
	v_cmp_gt_i32_e32 vcc_lo, s24, v3
	s_addc_u32 s30, s5, s7
	s_ashr_i32 s38, s35, 31
	s_add_u32 s4, s20, s35
	s_addc_u32 s5, s21, s38
	v_cndmask_b32_e32 v3, s3, v2, vcc_lo
	v_ashrrev_i32_e32 v2, 31, v1
	s_lshl_b32 s6, s14, 3
	s_delay_alu instid0(SALU_CYCLE_1) | instskip(NEXT) | instid1(VALU_DEP_2)
	s_ashr_i32 s7, s6, 31
	v_ashrrev_i32_e32 v4, 31, v3
	s_delay_alu instid0(VALU_DEP_2) | instskip(SKIP_1) | instid1(SALU_CYCLE_1)
	v_lshlrev_b64 v[1:2], 2, v[1:2]
	s_lshl_b64 s[6:7], s[6:7], 2
	s_add_u32 s6, s25, s6
	s_delay_alu instid0(VALU_DEP_2) | instskip(SKIP_1) | instid1(VALU_DEP_2)
	v_lshlrev_b64 v[3:4], 2, v[3:4]
	s_addc_u32 s7, s30, s7
	v_add_co_u32 v1, vcc_lo, s25, v1
	v_add_co_ci_u32_e32 v2, vcc_lo, s30, v2, vcc_lo
	s_delay_alu instid0(VALU_DEP_3) | instskip(NEXT) | instid1(VALU_DEP_4)
	v_add_co_u32 v3, vcc_lo, s25, v3
	v_add_co_ci_u32_e32 v4, vcc_lo, s30, v4, vcc_lo
	s_clause 0x1
	global_load_b32 v5, v[1:2], off
	global_load_b32 v6, v[3:4], off
	s_or_b32 s8, s12, 32
	s_delay_alu instid0(SALU_CYCLE_1) | instskip(SKIP_2) | instid1(SALU_CYCLE_1)
	s_ashr_i32 s9, s8, 5
	s_cmp_lt_i32 s8, s24
	s_cselect_b32 s8, s9, s3
	s_ashr_i32 s9, s8, 31
	s_delay_alu instid0(SALU_CYCLE_1) | instskip(NEXT) | instid1(SALU_CYCLE_1)
	s_lshl_b64 s[8:9], s[8:9], 2
	s_add_u32 s8, s25, s8
	s_addc_u32 s9, s30, s9
	s_or_b32 s10, s12, 64
	s_delay_alu instid0(SALU_CYCLE_1) | instskip(SKIP_2) | instid1(SALU_CYCLE_1)
	s_ashr_i32 s11, s10, 5
	s_cmp_lt_i32 s10, s24
	s_cselect_b32 s10, s11, s3
	s_ashr_i32 s11, s10, 31
	s_delay_alu instid0(SALU_CYCLE_1) | instskip(NEXT) | instid1(SALU_CYCLE_1)
	s_lshl_b64 s[10:11], s[10:11], 2
	s_add_u32 s10, s25, s10
	s_addc_u32 s11, s30, s11
	;; [unrolled: 10-line block ×5, first 2 shown]
	s_clause 0x5
	s_load_b32 s21, s[6:7], 0x0
	s_load_b32 s13, s[8:9], 0x0
	;; [unrolled: 1-line block ×6, first 2 shown]
	s_or_b32 s7, s12, 0xc0
	s_delay_alu instid0(SALU_CYCLE_1) | instskip(SKIP_2) | instid1(SALU_CYCLE_1)
	s_ashr_i32 s8, s7, 5
	s_cmp_lt_i32 s7, s24
	s_cselect_b32 s10, s8, s3
	s_ashr_i32 s11, s10, 31
	s_delay_alu instid0(SALU_CYCLE_1) | instskip(NEXT) | instid1(SALU_CYCLE_1)
	s_lshl_b64 s[26:27], s[10:11], 2
	s_add_u32 s26, s25, s26
	s_addc_u32 s27, s30, s27
	s_or_b32 s28, s12, 0xe0
	s_delay_alu instid0(SALU_CYCLE_1)
	s_ashr_i32 s29, s28, 5
	s_cmp_lt_i32 s28, s24
	s_waitcnt vmcnt(1)
	v_mad_i64_i32 v[1:2], null, v5, s17, s[4:5]
	s_waitcnt vmcnt(0)
	v_mad_i64_i32 v[3:4], null, v6, s17, s[4:5]
	s_mov_b32 s4, 0
	s_delay_alu instid0(SALU_CYCLE_1)
	s_mov_b32 s5, s4
	s_mov_b32 s6, s4
	;; [unrolled: 1-line block ×7, first 2 shown]
	s_delay_alu instid0(SALU_CYCLE_1) | instskip(SKIP_2) | instid1(VALU_DEP_3)
	v_dual_mov_b32 v120, s11 :: v_dual_lshlrev_b32 v5, 4, v70
	v_dual_mov_b32 v116, s7 :: v_dual_lshlrev_b32 v145, 6, v68
	v_mov_b32_e32 v114, s5
	v_add_co_u32 v1, vcc_lo, v1, v5
	v_add_co_ci_u32_e32 v2, vcc_lo, 0, v2, vcc_lo
	v_add_co_u32 v3, vcc_lo, v3, v5
	v_add_co_ci_u32_e32 v4, vcc_lo, 0, v4, vcc_lo
	s_clause 0xf
	global_load_b128 v[9:12], v[1:2], off
	global_load_b128 v[13:16], v[1:2], off offset:512
	global_load_b128 v[17:20], v[3:4], off offset:256
	;; [unrolled: 1-line block ×15, first 2 shown]
	v_dual_mov_b32 v119, s10 :: v_dual_mov_b32 v118, s9
	v_mov_b32_e32 v117, s8
	v_mov_b32_e32 v115, s6
	;; [unrolled: 1-line block ×3, first 2 shown]
	s_cselect_b32 s4, s29, s3
	v_lshlrev_b32_e32 v1, 5, v70
	s_ashr_i32 s5, s4, 31
	ds_load_b128 v[25:28], v145
	ds_load_b128 v[29:32], v145 offset:1024
	s_lshl_b64 s[4:5], s[4:5], 2
	s_load_b32 s3, s[26:27], 0x0
	s_add_u32 s4, s25, s4
	s_addc_u32 s5, s30, s5
	ds_load_b128 v[121:124], v145 offset:2048
	ds_load_b128 v[125:128], v145 offset:3072
	s_load_b32 s4, s[4:5], 0x0
	v_lshl_or_b32 v1, v72, 9, v1
	s_add_u32 s6, s22, s35
	s_addc_u32 s7, s23, s38
	s_delay_alu instid0(VALU_DEP_1) | instskip(NEXT) | instid1(VALU_DEP_1)
	v_add_co_u32 v129, s6, s6, v1
	v_add_co_ci_u32_e64 v130, null, s7, 0, s6
	s_waitcnt lgkmcnt(0)
	s_delay_alu instid0(VALU_DEP_1)
	v_mad_i64_i32 v[1:2], null, s21, s17, v[129:130]
	v_mad_i64_i32 v[3:4], null, s13, s17, v[129:130]
	;; [unrolled: 1-line block ×8, first 2 shown]
	s_clause 0x7
	global_load_b128 v[49:52], v[1:2], off
	global_load_b128 v[53:56], v[1:2], off offset:16
	global_load_b128 v[41:44], v[3:4], off
	global_load_b128 v[45:48], v[3:4], off offset:16
	;; [unrolled: 2-line block ×4, first 2 shown]
	s_waitcnt vmcnt(22)
	v_wmma_f32_16x16x16_f16 v[129:136], v[9:16], v[25:32], v[113:120]
	s_waitcnt vmcnt(20)
	v_wmma_f32_16x16x16_f16 v[113:120], v[17:24], v[25:32], v[113:120]
	s_clause 0x5
	global_load_b128 v[9:12], v[137:138], off
	global_load_b128 v[13:16], v[137:138], off offset:16
	global_load_b128 v[17:20], v[139:140], off
	global_load_b128 v[21:24], v[139:140], off offset:16
	;; [unrolled: 2-line block ×3, first 2 shown]
	v_mbcnt_lo_u32_b32 v137, -1, 0
	s_waitcnt vmcnt(24)
	v_wmma_f32_16x16x16_f16 v[129:136], v[57:64], v[121:128], v[129:136]
	s_clause 0x1
	global_load_b128 v[57:60], v[143:144], off
	global_load_b128 v[61:64], v[143:144], off offset:16
	s_waitcnt vmcnt(24)
	v_wmma_f32_16x16x16_f16 v[113:120], v[73:80], v[121:128], v[113:120]
	ds_load_b128 v[73:76], v145 offset:4096
	ds_load_b128 v[77:80], v145 offset:5120
	v_and_b32_e32 v121, 0xe0, v0
	v_xor_b32_e32 v139, 16, v137
	s_delay_alu instid0(VALU_DEP_2)
	v_add_nc_u32_e32 v138, s12, v121
	ds_load_b128 v[121:124], v145 offset:6144
	ds_load_b128 v[125:128], v145 offset:7168
	v_cmp_gt_i32_e32 vcc_lo, 32, v139
	s_waitcnt vmcnt(0) lgkmcnt(0)
	s_barrier
	v_or_b32_e32 v138, v138, v69
	buffer_gl0_inv
	v_or_b32_e32 v140, 4, v138
	v_or_b32_e32 v141, 6, v138
	;; [unrolled: 1-line block ×3, first 2 shown]
	v_wmma_f32_16x16x16_f16 v[129:136], v[81:88], v[73:80], v[129:136]
	v_wmma_f32_16x16x16_f16 v[113:120], v[89:96], v[73:80], v[113:120]
	v_or_b32_e32 v81, 10, v138
	v_cmp_gt_i32_e64 s4, s24, v140
	v_cmp_gt_i32_e64 s5, s24, v141
	v_or_b32_e32 v82, 12, v138
	v_or_b32_e32 v83, 14, v138
	v_wmma_f32_16x16x16_f16 v[129:136], v[97:104], v[121:128], v[129:136]
	v_wmma_f32_16x16x16_f16 v[113:120], v[105:112], v[121:128], v[113:120]
	v_cndmask_b32_e32 v137, v137, v139, vcc_lo
	v_or_b32_e32 v139, 2, v138
	v_cmp_gt_i32_e32 vcc_lo, s24, v138
	v_mul_f32_e32 v90, s19, v130
	v_dual_mul_f32 v92, s19, v120 :: v_dual_mul_f32 v91, s19, v129
	s_delay_alu instid0(VALU_DEP_4) | instskip(SKIP_2) | instid1(VALU_DEP_4)
	v_cmp_gt_i32_e64 s3, s24, v139
	v_dual_mul_f32 v80, s19, v132 :: v_dual_mul_f32 v89, s19, v131
	v_mul_f32_e32 v98, s19, v114
	v_cndmask_b32_e32 v91, 0xff7fffff, v91, vcc_lo
	s_delay_alu instid0(VALU_DEP_4)
	v_cndmask_b32_e64 v90, 0xff7fffff, v90, s3
	v_dual_mul_f32 v78, s19, v134 :: v_dual_mul_f32 v79, s19, v133
	v_mul_f32_e32 v96, s19, v116
	v_cndmask_b32_e64 v89, 0xff7fffff, v89, s4
	v_cndmask_b32_e64 v80, 0xff7fffff, v80, s5
	v_max3_f32 v90, v91, 0xff7fffff, v90
	v_cmp_gt_i32_e64 s6, s24, v142
	v_cmp_gt_i32_e64 s7, s24, v81
	v_or_b32_e32 v84, 16, v138
	v_or_b32_e32 v85, 18, v138
	v_dual_mul_f32 v76, s19, v136 :: v_dual_mul_f32 v77, s19, v135
	v_mul_f32_e32 v94, s19, v118
	v_cndmask_b32_e64 v79, 0xff7fffff, v79, s6
	v_cndmask_b32_e64 v78, 0xff7fffff, v78, s7
	v_max3_f32 v80, v90, v89, v80
	v_cmp_gt_i32_e64 s8, s24, v82
	v_cmp_gt_i32_e64 s9, s24, v83
	v_or_b32_e32 v86, 20, v138
	v_or_b32_e32 v87, 22, v138
	v_mul_f32_e32 v99, s19, v113
	v_cndmask_b32_e64 v77, 0xff7fffff, v77, s8
	v_cndmask_b32_e64 v76, 0xff7fffff, v76, s9
	v_max3_f32 v78, v80, v79, v78
	v_cmp_gt_i32_e64 s10, s24, v84
	v_cmp_gt_i32_e64 s11, s24, v85
	v_or_b32_e32 v88, 24, v138
	v_or_b32_e32 v73, 26, v138
	;; [unrolled: 8-line block ×3, first 2 shown]
	v_mul_f32_e32 v95, s19, v117
	v_cndmask_b32_e64 v77, 0xff7fffff, v97, s12
	v_cndmask_b32_e64 v78, 0xff7fffff, v96, s13
	v_max3_f32 v76, v76, v79, v80
	v_cmp_gt_i32_e64 s15, s24, v88
	v_cmp_gt_i32_e64 s16, s24, v73
	v_mul_f32_e32 v93, s19, v119
	v_cmp_gt_i32_e64 s17, s24, v74
	v_max3_f32 v76, v76, v77, v78
	v_cndmask_b32_e64 v79, 0xff7fffff, v95, s15
	v_cndmask_b32_e64 v73, 0xff7fffff, v94, s16
	v_cmp_gt_i32_e64 s18, s24, v75
	v_cndmask_b32_e64 v74, 0xff7fffff, v93, s17
	s_delay_alu instid0(VALU_DEP_3) | instskip(NEXT) | instid1(VALU_DEP_3)
	v_max3_f32 v73, v76, v79, v73
	v_cndmask_b32_e64 v75, 0xff7fffff, v92, s18
	v_lshlrev_b32_e32 v76, 2, v137
	s_delay_alu instid0(VALU_DEP_2) | instskip(SKIP_3) | instid1(VALU_DEP_1)
	v_max3_f32 v73, v73, v74, v75
	ds_bpermute_b32 v74, v76, v73
	s_waitcnt lgkmcnt(0)
	v_max_f32_e32 v74, v74, v74
	v_max_f32_e32 v73, v73, v74
	s_delay_alu instid0(VALU_DEP_1)
	v_fma_f32 v78, s19, v132, -v73
	v_fma_f32 v74, s19, v129, -v73
	;; [unrolled: 1-line block ×5, first 2 shown]
	v_mul_f32_e32 v78, 0x3fb8aa3b, v78
	v_mul_f32_e32 v74, 0x3fb8aa3b, v74
	s_delay_alu instid0(VALU_DEP_4) | instskip(SKIP_1) | instid1(VALU_DEP_4)
	v_dual_mul_f32 v80, 0x3fb8aa3b, v80 :: v_dual_mul_f32 v83, 0x3fb8aa3b, v83
	v_fma_f32 v77, s19, v131, -v73
	v_exp_f32_e32 v82, v78
	s_delay_alu instid0(VALU_DEP_3) | instskip(NEXT) | instid1(VALU_DEP_2)
	v_exp_f32_e32 v74, v74
	v_exp_f32_e32 v84, v80
	;; [unrolled: 1-line block ×3, first 2 shown]
	v_mul_f32_e32 v77, 0x3fb8aa3b, v77
	s_delay_alu instid0(VALU_DEP_1)
	v_exp_f32_e32 v77, v77
	v_cndmask_b32_e64 v80, 0, v82, s5
	v_fma_f32 v82, s19, v113, -v73
	v_mul_f32_e32 v75, 0x3fb8aa3b, v75
	s_waitcnt_depctr 0xfff
	v_cndmask_b32_e64 v85, 0, v85, s8
	v_cndmask_b32_e32 v79, 0, v74, vcc_lo
	v_fma_f32 v74, s19, v134, -v73
	v_mul_f32_e32 v86, 0x3fb8aa3b, v82
	v_exp_f32_e32 v75, v75
	v_cndmask_b32_e64 v83, 0, v84, s6
	v_cndmask_b32_e64 v81, 0, v77, s4
	v_mul_f32_e32 v74, 0x3fb8aa3b, v74
	v_exp_f32_e32 v86, v86
	s_delay_alu instid0(VALU_DEP_1) | instskip(NEXT) | instid1(TRANS32_DEP_3)
	v_exp_f32_e32 v74, v74
	v_cndmask_b32_e64 v78, 0, v75, s3
	v_add_f32_e32 v75, 0, v79
	s_mov_b32 s3, exec_lo
	s_delay_alu instid0(VALU_DEP_1) | instskip(SKIP_3) | instid1(VALU_DEP_1)
	v_add_f32_e32 v75, v75, v78
	s_waitcnt_depctr 0xfff
	v_cndmask_b32_e64 v82, 0, v74, s7
	v_add_f32_e32 v75, v75, v81
	v_add_f32_e32 v75, v75, v80
	s_delay_alu instid0(VALU_DEP_1)
	v_add_f32_e32 v74, v75, v83
	v_fma_f32 v90, s19, v118, -v73
	v_fma_f32 v84, s19, v114, -v73
	;; [unrolled: 1-line block ×5, first 2 shown]
	v_mul_f32_e32 v90, 0x3fb8aa3b, v90
	v_mul_f32_e32 v84, 0x3fb8aa3b, v84
	s_delay_alu instid0(VALU_DEP_4) | instskip(SKIP_1) | instid1(VALU_DEP_4)
	v_dual_add_f32 v74, v74, v82 :: v_dual_mul_f32 v89, 0x3fb8aa3b, v87
	v_cndmask_b32_e64 v87, 0, v86, s10
	v_exp_f32_e32 v90, v90
	s_delay_alu instid0(VALU_DEP_3) | instskip(NEXT) | instid1(VALU_DEP_2)
	v_exp_f32_e32 v88, v84
	v_add_f32_e32 v74, v74, v85
	v_exp_f32_e32 v91, v89
	v_fma_f32 v92, s19, v120, -v73
	s_delay_alu instid0(TRANS32_DEP_3)
	v_cndmask_b32_e64 v90, 0, v90, s16
	v_mul_f32_e32 v75, 0x3fb8aa3b, v75
	s_waitcnt_depctr 0xfff
	v_cndmask_b32_e64 v86, 0, v88, s11
	v_fma_f32 v88, s19, v119, -v73
	v_exp_f32_e32 v75, v75
	s_waitcnt_depctr 0xfff
	v_cndmask_b32_e64 v89, 0, v75, s12
	v_mul_f32_e32 v75, 0x3fb8aa3b, v88
	v_cndmask_b32_e64 v88, 0, v91, s13
	v_mul_f32_e32 v77, 0x3fb8aa3b, v77
	s_delay_alu instid0(VALU_DEP_3) | instskip(NEXT) | instid1(VALU_DEP_1)
	v_exp_f32_e32 v75, v75
	v_exp_f32_e32 v77, v77
	s_waitcnt_depctr 0xfff
	v_cndmask_b32_e64 v93, 0, v75, s17
	v_cndmask_b32_e64 v84, 0, v77, s9
	v_fma_f32 v77, s19, v117, -v73
	s_delay_alu instid0(VALU_DEP_2) | instskip(NEXT) | instid1(VALU_DEP_1)
	v_add_f32_e32 v74, v74, v84
	v_add_f32_e32 v74, v74, v87
	s_delay_alu instid0(VALU_DEP_1) | instskip(NEXT) | instid1(VALU_DEP_1)
	v_add_f32_e32 v74, v74, v86
	v_add_f32_e32 v74, v74, v89
	s_delay_alu instid0(VALU_DEP_1) | instskip(NEXT) | instid1(VALU_DEP_1)
	v_dual_add_f32 v74, v74, v88 :: v_dual_mul_f32 v77, 0x3fb8aa3b, v77
	v_exp_f32_e32 v77, v77
	s_waitcnt_depctr 0xfff
	v_cndmask_b32_e64 v91, 0, v77, s15
	s_delay_alu instid0(VALU_DEP_1) | instskip(NEXT) | instid1(VALU_DEP_1)
	v_dual_mul_f32 v77, 0x3fb8aa3b, v92 :: v_dual_add_f32 v74, v74, v91
	v_exp_f32_e32 v77, v77
	s_delay_alu instid0(VALU_DEP_1) | instskip(NEXT) | instid1(VALU_DEP_1)
	v_add_f32_e32 v74, v74, v90
	v_add_f32_e32 v74, v74, v93
	s_waitcnt_depctr 0xfff
	v_cndmask_b32_e64 v92, 0, v77, s18
	s_delay_alu instid0(VALU_DEP_1)
	v_add_f32_e32 v74, v74, v92
	ds_bpermute_b32 v75, v76, v74
	v_cmpx_gt_u32_e32 16, v71
	s_cbranch_execz .LBB1067_12
; %bb.11:
	v_mul_u32_u24_e32 v71, 0x44, v72
	s_waitcnt lgkmcnt(0)
	v_add_f32_e32 v74, v74, v75
	s_delay_alu instid0(VALU_DEP_2) | instskip(NEXT) | instid1(VALU_DEP_1)
	v_lshl_add_u32 v71, v70, 2, v71
	v_add_nc_u32_e32 v71, 0x4000, v71
	ds_store_2addr_b32 v71, v73, v74 offset1:136
.LBB1067_12:
	s_or_b32 exec_lo, exec_lo, s3
	v_lshlrev_b32_e32 v71, 2, v70
	s_load_b32 s35, s[0:1], 0x94
	s_waitcnt lgkmcnt(0)
	s_barrier
	buffer_gl0_inv
	v_add_nc_u32_e32 v71, 0x4000, v71
	v_cmp_eq_u32_e32 vcc_lo, 1, v72
	v_cmp_eq_u32_e64 s3, 2, v72
	v_cmp_eq_u32_e64 s4, 3, v72
	;; [unrolled: 1-line block ×3, first 2 shown]
	ds_load_2addr_b32 v[73:74], v71 offset1:17
	ds_load_2addr_b32 v[94:95], v71 offset0:34 offset1:51
	ds_load_2addr_b32 v[96:97], v71 offset0:68 offset1:85
	;; [unrolled: 1-line block ×3, first 2 shown]
	v_cmp_eq_u32_e64 s6, 5, v72
	v_cmp_eq_u32_e64 s7, 7, v72
	s_waitcnt lgkmcnt(3)
	v_max3_f32 v75, v73, 0xff7fffff, v74
	s_waitcnt lgkmcnt(2)
	s_delay_alu instid0(VALU_DEP_1) | instskip(SKIP_1) | instid1(VALU_DEP_1)
	v_max3_f32 v75, v75, v94, v95
	s_waitcnt lgkmcnt(1)
	v_max3_f32 v75, v75, v96, v97
	s_waitcnt lgkmcnt(0)
	s_delay_alu instid0(VALU_DEP_1) | instskip(NEXT) | instid1(VALU_DEP_1)
	v_max3_f32 v76, v75, v98, v99
	v_sub_f32_e32 v96, v96, v76
	ds_load_2addr_b32 v[100:101], v71 offset0:136 offset1:153
	v_sub_f32_e32 v73, v73, v76
	v_sub_f32_e32 v75, v74, v76
	;; [unrolled: 1-line block ×3, first 2 shown]
	v_mul_f32_e32 v105, 0x3fb8aa3b, v96
	s_delay_alu instid0(VALU_DEP_4)
	v_mul_f32_e32 v77, 0x3fb8aa3b, v73
	ds_load_2addr_b32 v[73:74], v71 offset0:170 offset1:187
	v_mul_f32_e32 v103, 0x3fb8aa3b, v94
	v_exp_f32_e32 v102, v77
	v_sub_f32_e32 v77, v95, v76
	ds_load_2addr_b32 v[94:95], v71 offset0:204 offset1:221
	v_exp_f32_e32 v103, v103
	v_mul_f32_e32 v104, 0x3fb8aa3b, v77
	s_waitcnt lgkmcnt(2)
	v_fma_f32 v77, v102, v100, 0
	v_dual_sub_f32 v100, v97, v76 :: v_dual_mul_f32 v75, 0x3fb8aa3b, v75
	ds_load_2addr_b32 v[96:97], v71 offset0:238 offset1:255
	v_sub_f32_e32 v71, v98, v76
	v_exp_f32_e32 v104, v104
	v_mul_f32_e32 v98, 0x3fb8aa3b, v100
	v_exp_f32_e32 v75, v75
	v_exp_f32_e32 v100, v105
	v_mul_f32_e32 v71, 0x3fb8aa3b, v71
	s_waitcnt lgkmcnt(0)
	v_exp_f32_e32 v98, v98
	s_barrier
	buffer_gl0_inv
	v_fmac_f32_e32 v77, v75, v101
	s_delay_alu instid0(VALU_DEP_1) | instskip(SKIP_2) | instid1(VALU_DEP_2)
	v_fmac_f32_e32 v77, v103, v73
	v_sub_f32_e32 v73, v99, v76
	v_exp_f32_e32 v99, v71
	v_fmac_f32_e32 v77, v104, v74
	s_delay_alu instid0(VALU_DEP_2) | instskip(NEXT) | instid1(VALU_DEP_2)
	v_dual_mul_f32 v73, 0x3fb8aa3b, v73 :: v_dual_lshlrev_b32 v74, 6, v70
	v_dual_fmac_f32 v77, v100, v94 :: v_dual_lshlrev_b32 v70, 2, v69
	s_delay_alu instid0(VALU_DEP_2) | instskip(SKIP_1) | instid1(VALU_DEP_3)
	v_exp_f32_e32 v94, v73
	v_cndmask_b32_e32 v73, v102, v75, vcc_lo
	v_lshl_or_b32 v75, v72, 11, v74
	s_delay_alu instid0(VALU_DEP_3) | instskip(SKIP_1) | instid1(VALU_DEP_3)
	v_cmp_eq_u32_e64 s8, 7, v70
	v_fmac_f32_e32 v77, v98, v95
	v_lshl_or_b32 v69, v69, 4, v75
	s_delay_alu instid0(VALU_DEP_2)
	v_fmac_f32_e32 v77, v99, v96
	s_delay_alu instid0(TRANS32_DEP_1) | instid1(VALU_DEP_1)
	v_fmac_f32_e32 v77, v94, v97
	s_delay_alu instid0(VALU_DEP_1) | instskip(NEXT) | instid1(VALU_DEP_1)
	v_add_f32_e32 v95, 0x358637bd, v77
	v_div_scale_f32 v96, null, v95, v95, 1.0
	v_div_scale_f32 v101, vcc_lo, 1.0, v95, 1.0
	s_delay_alu instid0(VALU_DEP_2) | instskip(SKIP_2) | instid1(VALU_DEP_1)
	v_rcp_f32_e32 v97, v96
	s_waitcnt_depctr 0xfff
	v_fma_f32 v71, -v96, v97, 1.0
	v_fmac_f32_e32 v97, v71, v97
	v_cndmask_b32_e64 v71, v73, v103, s3
	v_cmp_eq_u32_e64 s3, 6, v72
	v_or_b32_e32 v73, 1, v70
	v_or_b32_e32 v72, 3, v70
	v_mul_f32_e32 v102, v101, v97
	v_cndmask_b32_e64 v71, v71, v104, s4
	v_cmp_eq_u32_e64 s4, 1, v70
	v_cmp_eq_u32_e64 s9, 1, v73
	;; [unrolled: 1-line block ×3, first 2 shown]
	v_fma_f32 v103, -v96, v102, v101
	v_cndmask_b32_e64 v100, v71, v100, s5
	v_or_b32_e32 v71, 2, v70
	v_cmp_eq_u32_e64 s5, 2, v70
	v_cmp_eq_u32_e64 s12, 2, v73
	v_fmac_f32_e32 v102, v103, v97
	v_cndmask_b32_e64 v98, v100, v98, s6
	v_cmp_eq_u32_e64 s10, 1, v71
	v_cmp_eq_u32_e64 s15, 2, v71
	v_cmp_eq_u32_e64 s16, 2, v72
	v_fma_f32 v96, -v96, v102, v101
	v_cndmask_b32_e64 v98, v98, v99, s3
	v_cmp_eq_u32_e64 s13, 3, v73
	v_cmp_eq_u32_e64 s18, 3, v72
	v_cmp_eq_u32_e64 s3, 4, v70
	v_div_fmas_f32 v96, v96, v97, v102
	v_cndmask_b32_e64 v94, v98, v94, s7
	v_cmp_eq_u32_e32 vcc_lo, 3, v70
	v_cmp_eq_u32_e64 s17, 3, v71
	v_cmp_eq_u32_e64 s19, 4, v73
	v_div_fixup_f32 v95, v96, v95, 1.0
	v_cmp_eq_u32_e64 s22, 4, v72
	v_cmp_eq_u32_e64 s6, 5, v70
	;; [unrolled: 1-line block ×4, first 2 shown]
	v_mul_f32_e32 v102, v94, v95
	v_cmp_eq_u32_e64 s24, 5, v72
	v_cmp_eq_u32_e64 s23, 5, v71
	;; [unrolled: 1-line block ×4, first 2 shown]
	v_fma_mixlo_f16 v94, v102, v79, 0
	v_fma_mixlo_f16 v95, v102, v81, 0
	;; [unrolled: 1-line block ×8, first 2 shown]
	v_fma_mixhi_f16 v94, v102, v78, 0
	v_fma_mixhi_f16 v95, v102, v80, 0
	;; [unrolled: 1-line block ×8, first 2 shown]
	ds_store_b128 v69, v[94:97]
	ds_store_b128 v69, v[98:101] offset:1024
	s_waitcnt lgkmcnt(0)
	s_barrier
	buffer_gl0_inv
	ds_load_b128 v[78:81], v75
	ds_load_b128 v[82:85], v75 offset:16
	ds_load_b128 v[86:89], v75 offset:1024
	;; [unrolled: 1-line block ×3, first 2 shown]
	v_cmp_eq_u32_e64 s7, 6, v70
	v_cmp_eq_u32_e64 s26, 6, v71
	;; [unrolled: 1-line block ×5, first 2 shown]
	s_waitcnt lgkmcnt(3)
	v_lshrrev_b32_e32 v94, 16, v78
	s_waitcnt lgkmcnt(2)
	v_lshrrev_b32_e32 v98, 16, v82
	;; [unrolled: 2-line block ×4, first 2 shown]
	v_lshrrev_b32_e32 v95, 16, v79
	v_cndmask_b32_e64 v110, v78, v94, s4
	v_cndmask_b32_e64 v111, v82, v98, s4
	;; [unrolled: 1-line block ×8, first 2 shown]
	v_lshrrev_b32_e32 v99, 16, v83
	v_cndmask_b32_e64 v94, v86, v102, s4
	v_cndmask_b32_e64 v98, v90, v106, s4
	;; [unrolled: 1-line block ×15, first 2 shown]
	v_lshrrev_b32_e32 v103, 16, v87
	v_lshrrev_b32_e32 v107, 16, v91
	v_cndmask_b32_e64 v113, v115, v83, s15
	v_cndmask_b32_e64 v82, v94, v87, s5
	;; [unrolled: 1-line block ×7, first 2 shown]
	v_cndmask_b32_e32 v90, v102, v95, vcc_lo
	v_cndmask_b32_e32 v102, v106, v99, vcc_lo
	v_cndmask_b32_e64 v106, v110, v95, s13
	v_cndmask_b32_e64 v110, v111, v99, s13
	;; [unrolled: 1-line block ×4, first 2 shown]
	v_lshrrev_b32_e32 v96, 16, v80
	v_lshrrev_b32_e32 v100, 16, v84
	v_cndmask_b32_e64 v111, v112, v95, s17
	v_cndmask_b32_e64 v112, v113, v99, s17
	v_cndmask_b32_e32 v82, v82, v103, vcc_lo
	v_cndmask_b32_e32 v83, v83, v107, vcc_lo
	v_cndmask_b32_e64 v94, v94, v103, s13
	v_cndmask_b32_e64 v90, v90, v80, s3
	;; [unrolled: 1-line block ×7, first 2 shown]
	v_lshrrev_b32_e32 v104, 16, v88
	v_cndmask_b32_e64 v106, v111, v80, s21
	v_cndmask_b32_e64 v110, v112, v84, s21
	;; [unrolled: 1-line block ×11, first 2 shown]
	v_lshrrev_b32_e32 v97, 16, v81
	v_lshrrev_b32_e32 v101, 16, v85
	v_cndmask_b32_e64 v99, v106, v96, s23
	v_cndmask_b32_e64 v102, v110, v100, s23
	;; [unrolled: 1-line block ×7, first 2 shown]
	v_lshrrev_b32_e32 v105, 16, v89
	v_cndmask_b32_e64 v80, v80, v104, s6
	v_cndmask_b32_e64 v84, v84, v81, s7
	;; [unrolled: 1-line block ×16, first 2 shown]
	v_perm_b32 v81, v79, v78, 0x5040100
	v_perm_b32 v79, v95, v85, 0x5040100
	v_cndmask_b32_e64 v78, v119, v91, s15
	v_cndmask_b32_e64 v85, v117, v91, s12
	;; [unrolled: 1-line block ×3, first 2 shown]
	v_perm_b32 v80, v94, v90, 0x5040100
	v_cndmask_b32_e64 v90, v98, v103, s17
	v_cndmask_b32_e64 v86, v86, v103, s18
	v_cndmask_b32_e64 v87, v87, v107, s18
	v_cndmask_b32_e64 v78, v78, v107, s17
	v_cndmask_b32_e64 v85, v85, v107, s13
	v_lshrrev_b32_e32 v108, 16, v92
	v_cndmask_b32_e64 v90, v90, v88, s21
	v_cndmask_b32_e64 v86, v86, v88, s22
	;; [unrolled: 1-line block ×11, first 2 shown]
	v_lshrrev_b32_e32 v109, 16, v93
	v_cndmask_b32_e64 v82, v82, v93, s7
	v_cndmask_b32_e64 v88, v88, v89, s26
	v_cndmask_b32_e64 v86, v86, v89, s27
	v_cndmask_b32_e64 v87, v87, v93, s27
	v_cndmask_b32_e64 v78, v78, v93, s26
	v_cndmask_b32_e64 v85, v85, v93, s25
	v_cndmask_b32_e64 v88, v88, v105, s28
	v_cndmask_b32_e64 v86, v86, v105, s29
	v_cndmask_b32_e64 v87, v87, v109, s29
	v_cndmask_b32_e64 v89, v78, v109, s28
	v_cndmask_b32_e64 v90, v85, v109, s30
	v_cndmask_b32_e64 v82, v82, v109, s8
	v_perm_b32 v78, v84, v83, 0x5040100
	v_perm_b32 v85, v87, v86, 0x5040100
	;; [unrolled: 1-line block ×5, first 2 shown]
	s_lshl_b32 s8, s33, 1
	s_mov_b32 s3, exec_lo
	ds_store_b128 v69, v[78:81]
	ds_store_b128 v69, v[82:85] offset:1024
	v_cmpx_gt_u32_e32 2, v0
	s_cbranch_execz .LBB1067_14
; %bb.13:
	v_or_b32_e32 v78, s31, v0
	s_load_b128 s[4:7], s[0:1], 0x58
	s_delay_alu instid0(VALU_DEP_1) | instskip(NEXT) | instid1(VALU_DEP_1)
	v_mad_u64_u32 v[79:80], null, s8, s34, v[78:79]
	v_mad_u64_u32 v[80:81], null, v79, s35, s[14:15]
	s_delay_alu instid0(VALU_DEP_1) | instskip(NEXT) | instid1(VALU_DEP_1)
	v_ashrrev_i32_e32 v81, 31, v80
	v_lshlrev_b64 v[78:79], 2, v[80:81]
	s_waitcnt lgkmcnt(0)
	s_delay_alu instid0(VALU_DEP_1) | instskip(NEXT) | instid1(VALU_DEP_2)
	v_add_co_u32 v80, vcc_lo, s6, v78
	v_add_co_ci_u32_e32 v81, vcc_lo, s7, v79, vcc_lo
	v_add_co_u32 v78, vcc_lo, s4, v78
	v_add_co_ci_u32_e32 v79, vcc_lo, s5, v79, vcc_lo
	global_store_b32 v[80:81], v76, off
	global_store_b32 v[78:79], v77, off
.LBB1067_14:
	s_or_b32 exec_lo, exec_lo, s3
	s_waitcnt lgkmcnt(0)
	s_waitcnt_vscnt null, 0x0
	s_barrier
	buffer_gl0_inv
	ds_load_b128 v[84:87], v74
	ds_load_b128 v[88:91], v74 offset:16
	ds_load_b128 v[96:99], v74 offset:2064
	;; [unrolled: 1-line block ×5, first 2 shown]
	v_cmp_eq_u32_e32 vcc_lo, 1, v70
	v_mov_b32_e32 v76, 0
	ds_load_b128 v[112:115], v74 offset:6160
	ds_load_b128 v[108:111], v74 offset:6144
	;; [unrolled: 1-line block ×4, first 2 shown]
	v_cmp_eq_u32_e64 s4, 1, v71
	v_cmp_eq_u32_e64 s3, 1, v73
	v_cmp_eq_u32_e64 s5, 2, v73
	v_mov_b32_e32 v77, v76
	v_mov_b32_e32 v78, v76
	;; [unrolled: 1-line block ×7, first 2 shown]
	v_cmp_eq_u32_e64 s6, 3, v73
	v_cmp_eq_u32_e64 s7, 7, v73
	s_waitcnt lgkmcnt(8)
	s_delay_alu instid0(VALU_DEP_3)
	v_wmma_f32_16x16x16_f16 v[76:83], v[49:56], v[84:91], v[76:83]
	ds_load_b128 v[53:56], v74 offset:10256
	ds_load_b128 v[49:52], v74 offset:10240
	s_waitcnt lgkmcnt(8)
	v_wmma_f32_16x16x16_f16 v[76:83], v[41:48], v[92:99], v[76:83]
	ds_load_b128 v[45:48], v74 offset:12304
	ds_load_b128 v[41:44], v74 offset:12288
	s_waitcnt lgkmcnt(8)
	;; [unrolled: 4-line block ×3, first 2 shown]
	s_barrier
	buffer_gl0_inv
	v_wmma_f32_16x16x16_f16 v[76:83], v[1:8], v[108:115], v[76:83]
	s_delay_alu instid0(VALU_DEP_1) | instskip(NEXT) | instid1(VALU_DEP_1)
	v_wmma_f32_16x16x16_f16 v[76:83], v[9:16], v[116:123], v[76:83]
	v_wmma_f32_16x16x16_f16 v[76:83], v[17:24], v[49:56], v[76:83]
	s_delay_alu instid0(VALU_DEP_1) | instskip(NEXT) | instid1(VALU_DEP_1)
	v_wmma_f32_16x16x16_f16 v[76:83], v[25:32], v[41:48], v[76:83]
	v_wmma_f32_16x16x16_f16 v[76:83], v[57:64], v[33:40], v[76:83]
	s_delay_alu instid0(VALU_DEP_1) | instskip(NEXT) | instid1(VALU_DEP_2)
	v_cvt_f16_f32_e32 v1, v76
	v_cvt_f16_f32_e32 v2, v77
	s_delay_alu instid0(VALU_DEP_3) | instskip(NEXT) | instid1(VALU_DEP_4)
	v_cvt_f16_f32_e32 v3, v78
	v_cvt_f16_f32_e32 v4, v79
	;; [unrolled: 1-line block ×6, first 2 shown]
	v_pack_b32_f16 v1, v1, v2
	v_pack_b32_f16 v2, v3, v4
	;; [unrolled: 1-line block ×3, first 2 shown]
	s_delay_alu instid0(VALU_DEP_4)
	v_pack_b32_f16 v4, v7, v8
	ds_store_b128 v69, v[1:4]
	s_waitcnt lgkmcnt(0)
	s_barrier
	buffer_gl0_inv
	ds_load_b128 v[1:4], v75
	ds_load_b128 v[5:8], v75 offset:16
	s_waitcnt lgkmcnt(1)
	v_lshrrev_b32_e32 v9, 16, v1
	s_waitcnt lgkmcnt(0)
	v_lshrrev_b32_e32 v13, 16, v5
	v_lshrrev_b32_e32 v10, 16, v2
	;; [unrolled: 1-line block ×4, first 2 shown]
	v_cndmask_b32_e32 v17, v1, v9, vcc_lo
	v_cndmask_b32_e32 v18, v5, v13, vcc_lo
	v_cndmask_b32_e64 v21, v1, v9, s4
	v_cmp_eq_u32_e32 vcc_lo, 1, v72
	v_cndmask_b32_e64 v22, v5, v13, s4
	v_cmp_eq_u32_e64 s4, 2, v70
	v_cndmask_b32_e64 v19, v1, v9, s3
	v_cndmask_b32_e64 v20, v5, v13, s3
	v_cndmask_b32_e32 v1, v1, v9, vcc_lo
	v_cmp_eq_u32_e64 s3, 2, v72
	v_cndmask_b32_e32 v5, v5, v13, vcc_lo
	v_cndmask_b32_e64 v9, v17, v2, s4
	v_cmp_eq_u32_e32 vcc_lo, 3, v70
	v_cndmask_b32_e64 v13, v18, v6, s4
	v_cmp_eq_u32_e64 s4, 2, v71
	v_cndmask_b32_e64 v17, v19, v2, s5
	v_cndmask_b32_e64 v18, v20, v6, s5
	v_cmp_eq_u32_e64 s5, 3, v71
	v_cndmask_b32_e64 v1, v1, v2, s3
	v_cndmask_b32_e64 v19, v21, v2, s4
	;; [unrolled: 1-line block ×4, first 2 shown]
	v_cndmask_b32_e32 v5, v9, v10, vcc_lo
	v_cndmask_b32_e32 v6, v13, v14, vcc_lo
	v_cmp_eq_u32_e32 vcc_lo, 3, v72
	v_cndmask_b32_e64 v9, v17, v10, s6
	v_cndmask_b32_e64 v13, v18, v14, s6
	;; [unrolled: 1-line block ×3, first 2 shown]
	v_cmp_eq_u32_e64 s4, 4, v70
	v_cndmask_b32_e32 v1, v1, v10, vcc_lo
	v_cndmask_b32_e32 v2, v2, v14, vcc_lo
	v_cmp_eq_u32_e32 vcc_lo, 4, v73
	v_lshrrev_b32_e32 v15, 16, v7
	v_lshrrev_b32_e32 v16, 16, v8
	v_cndmask_b32_e64 v17, v19, v10, s5
	v_cmp_eq_u32_e64 s3, 4, v72
	v_cndmask_b32_e64 v5, v5, v3, s4
	v_cndmask_b32_e64 v6, v6, v7, s4
	v_cndmask_b32_e32 v9, v9, v3, vcc_lo
	v_cmp_eq_u32_e64 s4, 5, v73
	v_cndmask_b32_e32 v10, v13, v7, vcc_lo
	v_cmp_eq_u32_e32 vcc_lo, 4, v71
	v_cmp_eq_u32_e64 s5, 5, v70
	v_cndmask_b32_e64 v2, v2, v7, s3
	v_cndmask_b32_e64 v9, v9, v11, s4
	;; [unrolled: 1-line block ×3, first 2 shown]
	v_cndmask_b32_e32 v13, v17, v3, vcc_lo
	v_cmp_eq_u32_e64 s4, 5, v71
	v_cndmask_b32_e32 v14, v18, v7, vcc_lo
	v_cndmask_b32_e64 v1, v1, v3, s3
	v_cmp_eq_u32_e32 vcc_lo, 5, v72
	v_lshrrev_b32_e32 v12, 16, v4
	v_cndmask_b32_e64 v13, v13, v11, s4
	v_cndmask_b32_e64 v3, v14, v15, s4
	v_cmp_eq_u32_e64 s4, 6, v72
	v_cndmask_b32_e32 v1, v1, v11, vcc_lo
	v_cndmask_b32_e64 v5, v5, v11, s5
	v_cmp_eq_u32_e64 s6, 6, v70
	v_cndmask_b32_e64 v6, v6, v15, s5
	v_cmp_eq_u32_e64 s5, 6, v73
	v_cmp_eq_u32_e64 s3, 6, v71
	v_cndmask_b32_e64 v1, v1, v4, s4
	v_cndmask_b32_e32 v2, v2, v15, vcc_lo
	v_cmp_eq_u32_e32 vcc_lo, 7, v72
	v_cndmask_b32_e64 v5, v5, v4, s6
	v_cndmask_b32_e64 v9, v9, v4, s5
	;; [unrolled: 1-line block ×3, first 2 shown]
	v_cmp_eq_u32_e64 s6, 7, v70
	v_cndmask_b32_e32 v1, v1, v12, vcc_lo
	v_cndmask_b32_e64 v7, v13, v4, s3
	v_cndmask_b32_e64 v3, v3, v8, s3
	;; [unrolled: 1-line block ×3, first 2 shown]
	v_cmp_eq_u32_e64 s3, 7, v71
	v_cndmask_b32_e64 v4, v10, v8, s5
	v_cndmask_b32_e64 v5, v5, v12, s6
	;; [unrolled: 1-line block ×3, first 2 shown]
	v_cndmask_b32_e32 v2, v2, v16, vcc_lo
	v_cndmask_b32_e64 v7, v7, v12, s3
	v_cndmask_b32_e64 v3, v3, v16, s3
	;; [unrolled: 1-line block ×4, first 2 shown]
	v_perm_b32 v4, v2, v1, 0x5040100
	s_delay_alu instid0(VALU_DEP_4) | instskip(NEXT) | instid1(VALU_DEP_4)
	v_perm_b32 v3, v3, v7, 0x5040100
	v_perm_b32 v2, v8, v9, 0x5040100
	s_delay_alu instid0(VALU_DEP_4)
	v_perm_b32 v1, v6, v5, 0x5040100
	ds_store_b128 v69, v[1:4]
	s_waitcnt lgkmcnt(0)
	s_barrier
	buffer_gl0_inv
	s_and_saveexec_b32 s3, s2
	s_cbranch_execz .LBB1067_2
; %bb.15:
	s_load_b64 s[0:1], s[0:1], 0x68
	v_lshlrev_b32_e32 v0, 10, v0
	s_lshl_b32 s2, s35, 7
	v_lshlrev_b32_e32 v1, 4, v68
	v_mul_lo_u32 v4, s2, v67
	s_mul_i32 s3, s2, s34
	v_and_b32_e32 v0, 0x3800, v0
	s_mul_i32 s2, s3, s8
	s_delay_alu instid0(SALU_CYCLE_1) | instskip(NEXT) | instid1(VALU_DEP_1)
	s_ashr_i32 s3, s2, 31
	v_or3_b32 v0, v0, v66, v1
	s_lshl_b64 s[2:3], s[2:3], 1
	s_delay_alu instid0(VALU_DEP_3)
	v_ashrrev_i32_e32 v5, 31, v4
	ds_load_b128 v[0:3], v0
	v_lshlrev_b64 v[4:5], 1, v[4:5]
	s_waitcnt lgkmcnt(0)
	s_add_u32 s2, s0, s2
	s_addc_u32 s3, s1, s3
	s_lshl_b32 s0, s14, 7
	s_delay_alu instid0(SALU_CYCLE_1) | instskip(NEXT) | instid1(SALU_CYCLE_1)
	s_ashr_i32 s1, s0, 31
	s_lshl_b64 s[0:1], s[0:1], 1
	s_delay_alu instid0(SALU_CYCLE_1) | instskip(SKIP_3) | instid1(VALU_DEP_2)
	s_add_u32 s0, s2, s0
	s_addc_u32 s1, s3, s1
	v_add_co_u32 v4, vcc_lo, s0, v4
	v_add_co_ci_u32_e32 v5, vcc_lo, s1, v5, vcc_lo
	v_add_co_u32 v4, vcc_lo, v4, v65
	s_delay_alu instid0(VALU_DEP_2)
	v_add_co_ci_u32_e32 v5, vcc_lo, 0, v5, vcc_lo
	global_store_b128 v[4:5], v[0:3], off
	s_nop 0
	s_sendmsg sendmsg(MSG_DEALLOC_VGPRS)
	s_endpgm
	.section	.rodata,"a",@progbits
	.p2align	6, 0x0
	.amdhsa_kernel _Z39paged_attention_ll4mi_QKV_mfma16_kernelIDF16_hLN4vllm18Fp8KVCacheDataTypeE1EDF16_Li32ELi128ELi256ELb1ELi2EL8MFMAType1EEvPKT_PKT0_S8_ifPKiSA_SA_iPKfiiiPfSD_PS3_PT2_iSC_SC_
		.amdhsa_group_segment_fixed_size 17472
		.amdhsa_private_segment_fixed_size 0
		.amdhsa_kernarg_size 400
		.amdhsa_user_sgpr_count 13
		.amdhsa_user_sgpr_dispatch_ptr 0
		.amdhsa_user_sgpr_queue_ptr 0
		.amdhsa_user_sgpr_kernarg_segment_ptr 1
		.amdhsa_user_sgpr_dispatch_id 0
		.amdhsa_user_sgpr_private_segment_size 0
		.amdhsa_wavefront_size32 1
		.amdhsa_uses_dynamic_stack 0
		.amdhsa_enable_private_segment 0
		.amdhsa_system_sgpr_workgroup_id_x 1
		.amdhsa_system_sgpr_workgroup_id_y 1
		.amdhsa_system_sgpr_workgroup_id_z 1
		.amdhsa_system_sgpr_workgroup_info 0
		.amdhsa_system_vgpr_workitem_id 0
		.amdhsa_next_free_vgpr 146
		.amdhsa_next_free_sgpr 39
		.amdhsa_reserve_vcc 1
		.amdhsa_float_round_mode_32 0
		.amdhsa_float_round_mode_16_64 0
		.amdhsa_float_denorm_mode_32 3
		.amdhsa_float_denorm_mode_16_64 3
		.amdhsa_dx10_clamp 1
		.amdhsa_ieee_mode 1
		.amdhsa_fp16_overflow 0
		.amdhsa_workgroup_processor_mode 1
		.amdhsa_memory_ordered 1
		.amdhsa_forward_progress 0
		.amdhsa_shared_vgpr_count 0
		.amdhsa_exception_fp_ieee_invalid_op 0
		.amdhsa_exception_fp_denorm_src 0
		.amdhsa_exception_fp_ieee_div_zero 0
		.amdhsa_exception_fp_ieee_overflow 0
		.amdhsa_exception_fp_ieee_underflow 0
		.amdhsa_exception_fp_ieee_inexact 0
		.amdhsa_exception_int_div_zero 0
	.end_amdhsa_kernel
	.section	.text._Z39paged_attention_ll4mi_QKV_mfma16_kernelIDF16_hLN4vllm18Fp8KVCacheDataTypeE1EDF16_Li32ELi128ELi256ELb1ELi2EL8MFMAType1EEvPKT_PKT0_S8_ifPKiSA_SA_iPKfiiiPfSD_PS3_PT2_iSC_SC_,"axG",@progbits,_Z39paged_attention_ll4mi_QKV_mfma16_kernelIDF16_hLN4vllm18Fp8KVCacheDataTypeE1EDF16_Li32ELi128ELi256ELb1ELi2EL8MFMAType1EEvPKT_PKT0_S8_ifPKiSA_SA_iPKfiiiPfSD_PS3_PT2_iSC_SC_,comdat
.Lfunc_end1067:
	.size	_Z39paged_attention_ll4mi_QKV_mfma16_kernelIDF16_hLN4vllm18Fp8KVCacheDataTypeE1EDF16_Li32ELi128ELi256ELb1ELi2EL8MFMAType1EEvPKT_PKT0_S8_ifPKiSA_SA_iPKfiiiPfSD_PS3_PT2_iSC_SC_, .Lfunc_end1067-_Z39paged_attention_ll4mi_QKV_mfma16_kernelIDF16_hLN4vllm18Fp8KVCacheDataTypeE1EDF16_Li32ELi128ELi256ELb1ELi2EL8MFMAType1EEvPKT_PKT0_S8_ifPKiSA_SA_iPKfiiiPfSD_PS3_PT2_iSC_SC_
                                        ; -- End function
	.section	.AMDGPU.csdata,"",@progbits
; Kernel info:
; codeLenInByte = 6456
; NumSgprs: 41
; NumVgprs: 146
; ScratchSize: 0
; MemoryBound: 0
; FloatMode: 240
; IeeeMode: 1
; LDSByteSize: 17472 bytes/workgroup (compile time only)
; SGPRBlocks: 5
; VGPRBlocks: 18
; NumSGPRsForWavesPerEU: 41
; NumVGPRsForWavesPerEU: 146
; Occupancy: 9
; WaveLimiterHint : 1
; COMPUTE_PGM_RSRC2:SCRATCH_EN: 0
; COMPUTE_PGM_RSRC2:USER_SGPR: 13
; COMPUTE_PGM_RSRC2:TRAP_HANDLER: 0
; COMPUTE_PGM_RSRC2:TGID_X_EN: 1
; COMPUTE_PGM_RSRC2:TGID_Y_EN: 1
; COMPUTE_PGM_RSRC2:TGID_Z_EN: 1
; COMPUTE_PGM_RSRC2:TIDIG_COMP_CNT: 0
	.section	.text._Z39paged_attention_ll4mi_QKV_mfma16_kernelIDF16_hLN4vllm18Fp8KVCacheDataTypeE1EDF16_Li32ELi128ELi256ELb1ELi3EL8MFMAType1EEvPKT_PKT0_S8_ifPKiSA_SA_iPKfiiiPfSD_PS3_PT2_iSC_SC_,"axG",@progbits,_Z39paged_attention_ll4mi_QKV_mfma16_kernelIDF16_hLN4vllm18Fp8KVCacheDataTypeE1EDF16_Li32ELi128ELi256ELb1ELi3EL8MFMAType1EEvPKT_PKT0_S8_ifPKiSA_SA_iPKfiiiPfSD_PS3_PT2_iSC_SC_,comdat
	.protected	_Z39paged_attention_ll4mi_QKV_mfma16_kernelIDF16_hLN4vllm18Fp8KVCacheDataTypeE1EDF16_Li32ELi128ELi256ELb1ELi3EL8MFMAType1EEvPKT_PKT0_S8_ifPKiSA_SA_iPKfiiiPfSD_PS3_PT2_iSC_SC_ ; -- Begin function _Z39paged_attention_ll4mi_QKV_mfma16_kernelIDF16_hLN4vllm18Fp8KVCacheDataTypeE1EDF16_Li32ELi128ELi256ELb1ELi3EL8MFMAType1EEvPKT_PKT0_S8_ifPKiSA_SA_iPKfiiiPfSD_PS3_PT2_iSC_SC_
	.globl	_Z39paged_attention_ll4mi_QKV_mfma16_kernelIDF16_hLN4vllm18Fp8KVCacheDataTypeE1EDF16_Li32ELi128ELi256ELb1ELi3EL8MFMAType1EEvPKT_PKT0_S8_ifPKiSA_SA_iPKfiiiPfSD_PS3_PT2_iSC_SC_
	.p2align	8
	.type	_Z39paged_attention_ll4mi_QKV_mfma16_kernelIDF16_hLN4vllm18Fp8KVCacheDataTypeE1EDF16_Li32ELi128ELi256ELb1ELi3EL8MFMAType1EEvPKT_PKT0_S8_ifPKiSA_SA_iPKfiiiPfSD_PS3_PT2_iSC_SC_,@function
_Z39paged_attention_ll4mi_QKV_mfma16_kernelIDF16_hLN4vllm18Fp8KVCacheDataTypeE1EDF16_Li32ELi128ELi256ELb1ELi3EL8MFMAType1EEvPKT_PKT0_S8_ifPKiSA_SA_iPKfiiiPfSD_PS3_PT2_iSC_SC_: ; @_Z39paged_attention_ll4mi_QKV_mfma16_kernelIDF16_hLN4vllm18Fp8KVCacheDataTypeE1EDF16_Li32ELi128ELi256ELb1ELi3EL8MFMAType1EEvPKT_PKT0_S8_ifPKiSA_SA_iPKfiiiPfSD_PS3_PT2_iSC_SC_
; %bb.0:
	s_load_b64 s[4:5], s[0:1], 0x30
	s_mov_b32 s34, s13
	s_waitcnt lgkmcnt(0)
	s_cmp_lg_u64 s[4:5], 0
	s_cselect_b32 s8, -1, 0
	s_ashr_i32 s35, s13, 31
	s_cmp_eq_u64 s[4:5], 0
	s_cbranch_scc1 .LBB1068_3
; %bb.1:
	s_lshl_b64 s[2:3], s[34:35], 2
	s_delay_alu instid0(SALU_CYCLE_1) | instskip(SKIP_4) | instid1(SALU_CYCLE_1)
	s_add_u32 s2, s4, s2
	s_addc_u32 s3, s5, s3
	s_load_b64 s[2:3], s[2:3], 0x0
	s_waitcnt lgkmcnt(0)
	s_sub_i32 s2, s3, s2
	s_cmp_eq_u32 s2, 1
	s_cselect_b32 s2, -1, 0
	s_delay_alu instid0(SALU_CYCLE_1)
	s_and_not1_b32 vcc_lo, exec_lo, s2
	s_cbranch_vccz .LBB1068_4
.LBB1068_2:
	s_nop 0
	s_sendmsg sendmsg(MSG_DEALLOC_VGPRS)
	s_endpgm
.LBB1068_3:
.LBB1068_4:
	s_load_b64 s[2:3], s[0:1], 0x28
	s_lshl_b64 s[6:7], s[34:35], 2
	s_waitcnt lgkmcnt(0)
	s_add_u32 s2, s2, s6
	s_addc_u32 s3, s3, s7
	s_lshl_b32 s12, s14, 8
	s_load_b32 s24, s[2:3], 0x0
	s_waitcnt lgkmcnt(0)
	s_cmp_ge_i32 s12, s24
	s_cbranch_scc1 .LBB1068_2
; %bb.5:
	s_clause 0x1
	s_load_b128 s[20:23], s[0:1], 0x8
	s_load_b64 s[2:3], s[0:1], 0x20
	s_and_not1_b32 vcc_lo, exec_lo, s8
	s_cbranch_vccnz .LBB1068_7
; %bb.6:
	s_add_u32 s4, s4, s6
	s_addc_u32 s5, s5, s7
	s_load_b32 s5, s[4:5], 0x0
	s_branch .LBB1068_8
.LBB1068_7:
	s_mov_b32 s5, s34
.LBB1068_8:
	s_load_b128 s[16:19], s[0:1], 0x48
	v_and_b32_e32 v68, 15, v0
	v_lshrrev_b32_e32 v69, 5, v0
	v_bfe_u32 v66, v0, 4, 1
	v_and_b32_e32 v70, 31, v0
	v_and_b32_e32 v67, 1, v0
	v_lshlrev_b32_e32 v2, 3, v68
	s_mul_i32 s31, s15, 3
	v_lshl_or_b32 v1, v69, 1, v66
	s_mov_b32 s4, exec_lo
	s_delay_alu instid0(VALU_DEP_2) | instskip(NEXT) | instid1(VALU_DEP_2)
	v_lshlrev_b32_e32 v65, 1, v2
	v_cmpx_gt_u32_e32 3, v1
	s_cbranch_execz .LBB1068_10
; %bb.9:
	s_load_b64 s[6:7], s[0:1], 0x0
	v_add_lshl_u32 v2, v1, s31, 7
	s_waitcnt lgkmcnt(0)
	s_mul_hi_i32 s9, s5, s16
	s_mul_i32 s8, s5, s16
	v_lshlrev_b32_e32 v6, 10, v68
	s_lshl_b64 s[8:9], s[8:9], 1
	v_ashrrev_i32_e32 v3, 31, v2
	v_lshlrev_b32_e32 v1, 6, v1
	v_lshlrev_b32_e32 v7, 10, v67
	v_and_b32_e32 v6, 0x3800, v6
	s_delay_alu instid0(VALU_DEP_4) | instskip(NEXT) | instid1(VALU_DEP_2)
	v_lshlrev_b64 v[2:3], 1, v[2:3]
	v_or3_b32 v1, v6, v7, v1
	s_add_u32 s5, s6, s8
	s_addc_u32 s6, s7, s9
	s_delay_alu instid0(VALU_DEP_2) | instskip(NEXT) | instid1(VALU_DEP_3)
	v_add_co_u32 v2, vcc_lo, s5, v2
	v_add_co_ci_u32_e32 v3, vcc_lo, s6, v3, vcc_lo
	s_delay_alu instid0(VALU_DEP_2) | instskip(NEXT) | instid1(VALU_DEP_2)
	v_add_co_u32 v2, vcc_lo, v2, v65
	v_add_co_ci_u32_e32 v3, vcc_lo, 0, v3, vcc_lo
	global_load_b128 v[2:5], v[2:3], off
	s_waitcnt vmcnt(0)
	ds_store_b128 v1, v[2:5]
.LBB1068_10:
	s_or_b32 exec_lo, exec_lo, s4
	v_and_b32_e32 v1, 0xef, v0
	s_waitcnt lgkmcnt(0)
	s_add_i32 s5, s24, 31
	s_clause 0x1
	s_load_b32 s4, s[0:1], 0x38
	s_load_b32 s33, s[0:1], 0x98
	s_ashr_i32 s6, s5, 31
	v_add_nc_u32_e32 v1, s12, v1
	s_lshr_b32 s6, s6, 27
	s_load_b32 s19, s[0:1], 0x1c
	s_add_i32 s5, s5, s6
	s_waitcnt lgkmcnt(0)
	v_ashrrev_i32_e32 v2, 31, v1
	v_or_b32_e32 v3, 16, v1
	s_ashr_i32 s13, s5, 5
	v_cmp_gt_i32_e32 vcc_lo, s24, v1
	s_add_i32 s13, s13, -1
	v_lshrrev_b32_e32 v2, 27, v2
	s_barrier
	buffer_gl0_inv
	s_mul_i32 s15, s15, s18
	v_add_nc_u32_e32 v4, v1, v2
	s_mul_i32 s4, s34, s4
	s_delay_alu instid0(SALU_CYCLE_1) | instskip(NEXT) | instid1(VALU_DEP_1)
	s_ashr_i32 s5, s4, 31
	v_ashrrev_i32_e32 v4, 5, v4
	v_add_nc_u32_e32 v2, v3, v2
	s_lshl_b64 s[4:5], s[4:5], 2
	s_delay_alu instid0(SALU_CYCLE_1) | instskip(NEXT) | instid1(VALU_DEP_2)
	s_add_u32 s16, s2, s4
	v_cndmask_b32_e32 v1, s13, v4, vcc_lo
	s_delay_alu instid0(VALU_DEP_2)
	v_ashrrev_i32_e32 v2, 5, v2
	v_cmp_gt_i32_e32 vcc_lo, s24, v3
	s_addc_u32 s25, s3, s5
	s_ashr_i32 s18, s15, 31
	s_add_u32 s2, s20, s15
	s_addc_u32 s3, s21, s18
	v_cndmask_b32_e32 v3, s13, v2, vcc_lo
	v_ashrrev_i32_e32 v2, 31, v1
	s_lshl_b32 s4, s14, 3
	s_delay_alu instid0(SALU_CYCLE_1) | instskip(NEXT) | instid1(VALU_DEP_2)
	s_ashr_i32 s5, s4, 31
	v_ashrrev_i32_e32 v4, 31, v3
	s_delay_alu instid0(VALU_DEP_2) | instskip(SKIP_1) | instid1(SALU_CYCLE_1)
	v_lshlrev_b64 v[1:2], 2, v[1:2]
	s_lshl_b64 s[4:5], s[4:5], 2
	s_add_u32 s4, s16, s4
	s_delay_alu instid0(VALU_DEP_2) | instskip(SKIP_1) | instid1(VALU_DEP_2)
	v_lshlrev_b64 v[3:4], 2, v[3:4]
	s_addc_u32 s5, s25, s5
	v_add_co_u32 v1, vcc_lo, s16, v1
	v_add_co_ci_u32_e32 v2, vcc_lo, s25, v2, vcc_lo
	s_delay_alu instid0(VALU_DEP_3) | instskip(NEXT) | instid1(VALU_DEP_4)
	v_add_co_u32 v3, vcc_lo, s16, v3
	v_add_co_ci_u32_e32 v4, vcc_lo, s25, v4, vcc_lo
	s_clause 0x1
	global_load_b32 v5, v[1:2], off
	global_load_b32 v6, v[3:4], off
	s_or_b32 s6, s12, 32
	s_delay_alu instid0(SALU_CYCLE_1) | instskip(SKIP_2) | instid1(SALU_CYCLE_1)
	s_ashr_i32 s7, s6, 5
	s_cmp_lt_i32 s6, s24
	s_cselect_b32 s6, s7, s13
	s_ashr_i32 s7, s6, 31
	s_delay_alu instid0(SALU_CYCLE_1) | instskip(NEXT) | instid1(SALU_CYCLE_1)
	s_lshl_b64 s[6:7], s[6:7], 2
	s_add_u32 s6, s16, s6
	s_addc_u32 s7, s25, s7
	s_or_b32 s8, s12, 64
	s_delay_alu instid0(SALU_CYCLE_1) | instskip(SKIP_2) | instid1(SALU_CYCLE_1)
	s_ashr_i32 s9, s8, 5
	s_cmp_lt_i32 s8, s24
	s_cselect_b32 s8, s9, s13
	s_ashr_i32 s9, s8, 31
	s_delay_alu instid0(SALU_CYCLE_1) | instskip(NEXT) | instid1(SALU_CYCLE_1)
	s_lshl_b64 s[8:9], s[8:9], 2
	s_add_u32 s8, s16, s8
	s_addc_u32 s9, s25, s9
	s_or_b32 s10, s12, 0x60
	s_delay_alu instid0(SALU_CYCLE_1) | instskip(SKIP_2) | instid1(SALU_CYCLE_1)
	s_ashr_i32 s11, s10, 5
	s_cmp_lt_i32 s10, s24
	s_cselect_b32 s10, s11, s13
	s_ashr_i32 s11, s10, 31
	s_delay_alu instid0(SALU_CYCLE_1) | instskip(NEXT) | instid1(SALU_CYCLE_1)
	s_lshl_b64 s[10:11], s[10:11], 2
	s_add_u32 s10, s16, s10
	s_addc_u32 s11, s25, s11
	s_or_b32 s20, s12, 0x80
	s_delay_alu instid0(SALU_CYCLE_1) | instskip(SKIP_2) | instid1(SALU_CYCLE_1)
	s_ashr_i32 s21, s20, 5
	s_cmp_lt_i32 s20, s24
	s_cselect_b32 s20, s21, s13
	s_ashr_i32 s21, s20, 31
	s_delay_alu instid0(SALU_CYCLE_1) | instskip(NEXT) | instid1(SALU_CYCLE_1)
	s_lshl_b64 s[20:21], s[20:21], 2
	s_add_u32 s20, s16, s20
	s_addc_u32 s21, s25, s21
	s_or_b32 s26, s12, 0xa0
	s_delay_alu instid0(SALU_CYCLE_1) | instskip(SKIP_2) | instid1(SALU_CYCLE_1)
	s_ashr_i32 s27, s26, 5
	s_cmp_lt_i32 s26, s24
	s_cselect_b32 s26, s27, s13
	s_ashr_i32 s27, s26, 31
	s_delay_alu instid0(SALU_CYCLE_1) | instskip(NEXT) | instid1(SALU_CYCLE_1)
	s_lshl_b64 s[26:27], s[26:27], 2
	s_add_u32 s26, s16, s26
	s_addc_u32 s27, s25, s27
	s_clause 0x5
	s_load_b32 s28, s[4:5], 0x0
	s_load_b32 s29, s[6:7], 0x0
	;; [unrolled: 1-line block ×6, first 2 shown]
	s_mov_b32 s4, 0
	s_delay_alu instid0(SALU_CYCLE_1)
	s_mov_b32 s5, s4
	s_mov_b32 s6, s4
	;; [unrolled: 1-line block ×7, first 2 shown]
	s_delay_alu instid0(SALU_CYCLE_1)
	v_dual_mov_b32 v118, s11 :: v_dual_mov_b32 v117, s10
	v_dual_mov_b32 v116, s9 :: v_dual_mov_b32 v115, s8
	v_mov_b32_e32 v113, s6
	v_dual_mov_b32 v111, s4 :: v_dual_mov_b32 v114, s7
	v_mov_b32_e32 v112, s5
	s_waitcnt vmcnt(1)
	v_mad_i64_i32 v[1:2], null, v5, s17, s[2:3]
	v_lshlrev_b32_e32 v5, 4, v68
	s_waitcnt vmcnt(0)
	v_mad_i64_i32 v[3:4], null, v6, s17, s[2:3]
	s_or_b32 s2, s12, 0xc0
	s_delay_alu instid0(SALU_CYCLE_1) | instskip(NEXT) | instid1(VALU_DEP_3)
	s_ashr_i32 s3, s2, 5
	v_add_co_u32 v1, vcc_lo, v1, v5
	s_delay_alu instid0(VALU_DEP_4) | instskip(NEXT) | instid1(VALU_DEP_3)
	v_add_co_ci_u32_e32 v2, vcc_lo, 0, v2, vcc_lo
	v_add_co_u32 v3, vcc_lo, v3, v5
	s_delay_alu instid0(VALU_DEP_4)
	v_add_co_ci_u32_e32 v4, vcc_lo, 0, v4, vcc_lo
	s_clause 0xf
	global_load_b128 v[17:20], v[1:2], off
	global_load_b128 v[21:24], v[1:2], off offset:512
	global_load_b128 v[25:28], v[3:4], off offset:256
	;; [unrolled: 1-line block ×15, first 2 shown]
	v_mul_lo_u16 v1, 0x56, v68
	s_cmp_lt_i32 s2, s24
	v_lshlrev_b32_e32 v2, 5, v68
	s_cselect_b32 s2, s3, s13
	s_delay_alu instid0(VALU_DEP_2) | instskip(SKIP_1) | instid1(SALU_CYCLE_1)
	v_lshrrev_b16 v1, 8, v1
	s_ashr_i32 s3, s2, 31
	s_lshl_b64 s[2:3], s[2:3], 2
	s_delay_alu instid0(VALU_DEP_1) | instskip(SKIP_3) | instid1(VALU_DEP_1)
	v_mul_lo_u16 v1, v1, 3
	s_add_u32 s2, s16, s2
	s_addc_u32 s3, s25, s3
	s_or_b32 s20, s12, 0xe0
	v_sub_nc_u16 v1, v68, v1
	s_ashr_i32 s21, s20, 5
	s_cmp_lt_i32 s20, s24
	s_cselect_b32 s20, s21, s13
	s_delay_alu instid0(VALU_DEP_1) | instskip(SKIP_1) | instid1(SALU_CYCLE_1)
	v_and_b32_e32 v1, 0xff, v1
	s_ashr_i32 s21, s20, 31
	s_lshl_b64 s[4:5], s[20:21], 2
	s_delay_alu instid0(VALU_DEP_1)
	v_lshlrev_b32_e32 v149, 6, v1
	s_add_u32 s4, s16, s4
	s_addc_u32 s5, s25, s5
	v_lshl_or_b32 v1, v69, 9, v2
	ds_load_b128 v[119:122], v149
	ds_load_b128 v[123:126], v149 offset:1024
	ds_load_b128 v[127:130], v149 offset:2048
	;; [unrolled: 1-line block ×3, first 2 shown]
	s_clause 0x1
	s_load_b32 s2, s[2:3], 0x0
	s_load_b32 s3, s[4:5], 0x0
	s_add_u32 s6, s22, s15
	s_addc_u32 s7, s23, s18
	v_add_co_u32 v135, s6, s6, v1
	s_delay_alu instid0(VALU_DEP_1) | instskip(SKIP_1) | instid1(VALU_DEP_1)
	v_add_co_ci_u32_e64 v136, null, s7, 0, s6
	s_waitcnt lgkmcnt(0)
	v_mad_i64_i32 v[1:2], null, s28, s17, v[135:136]
	v_mad_i64_i32 v[3:4], null, s29, s17, v[135:136]
	;; [unrolled: 1-line block ×6, first 2 shown]
	s_clause 0x9
	global_load_b128 v[49:52], v[1:2], off
	global_load_b128 v[53:56], v[1:2], off offset:16
	global_load_b128 v[41:44], v[3:4], off
	global_load_b128 v[45:48], v[3:4], off offset:16
	;; [unrolled: 2-line block ×5, first 2 shown]
	v_mad_i64_i32 v[145:146], null, s2, s17, v[135:136]
	v_mad_i64_i32 v[147:148], null, s3, s17, v[135:136]
	s_waitcnt vmcnt(24)
	v_wmma_f32_16x16x16_f16 v[135:142], v[17:24], v[119:126], v[111:118]
	s_waitcnt vmcnt(22)
	v_wmma_f32_16x16x16_f16 v[111:118], v[25:32], v[119:126], v[111:118]
	s_clause 0x3
	global_load_b128 v[17:20], v[143:144], off
	global_load_b128 v[21:24], v[143:144], off offset:16
	global_load_b128 v[25:28], v[145:146], off
	global_load_b128 v[29:32], v[145:146], off offset:16
	v_and_b32_e32 v119, 0xe0, v0
	s_waitcnt vmcnt(24)
	v_wmma_f32_16x16x16_f16 v[135:142], v[57:64], v[127:134], v[135:142]
	s_clause 0x1
	global_load_b128 v[57:60], v[147:148], off
	global_load_b128 v[61:64], v[147:148], off offset:16
	s_waitcnt vmcnt(24)
	v_wmma_f32_16x16x16_f16 v[111:118], v[71:78], v[127:134], v[111:118]
	ds_load_b128 v[71:74], v149 offset:4096
	ds_load_b128 v[75:78], v149 offset:5120
	v_add_nc_u32_e32 v128, s12, v119
	ds_load_b128 v[119:122], v149 offset:6144
	ds_load_b128 v[123:126], v149 offset:7168
	v_mbcnt_lo_u32_b32 v127, -1, 0
	s_waitcnt vmcnt(0) lgkmcnt(0)
	s_barrier
	v_or_b32_e32 v128, v128, v66
	buffer_gl0_inv
	v_xor_b32_e32 v129, 16, v127
	v_or_b32_e32 v130, 4, v128
	v_or_b32_e32 v131, 6, v128
	s_delay_alu instid0(VALU_DEP_3) | instskip(SKIP_4) | instid1(VALU_DEP_4)
	v_cmp_gt_i32_e32 vcc_lo, 32, v129
	v_or_b32_e32 v132, 8, v128
	v_or_b32_e32 v133, 10, v128
	v_cmp_gt_i32_e64 s3, s24, v130
	v_cmp_gt_i32_e64 s4, s24, v131
	;; [unrolled: 1-line block ×3, first 2 shown]
	v_wmma_f32_16x16x16_f16 v[135:142], v[79:86], v[71:78], v[135:142]
	v_wmma_f32_16x16x16_f16 v[111:118], v[87:94], v[71:78], v[111:118]
	v_or_b32_e32 v79, 12, v128
	v_or_b32_e32 v80, 14, v128
	v_cmp_gt_i32_e64 s6, s24, v133
	v_wmma_f32_16x16x16_f16 v[135:142], v[95:102], v[119:126], v[135:142]
	v_cndmask_b32_e32 v127, v127, v129, vcc_lo
	v_or_b32_e32 v129, 2, v128
	v_wmma_f32_16x16x16_f16 v[111:118], v[103:110], v[119:126], v[111:118]
	v_cmp_gt_i32_e32 vcc_lo, s24, v128
	v_dual_mul_f32 v88, s19, v135 :: v_dual_mul_f32 v87, s19, v136
	s_delay_alu instid0(VALU_DEP_4) | instskip(NEXT) | instid1(VALU_DEP_4)
	v_cmp_gt_i32_e64 s2, s24, v129
	v_mul_f32_e32 v94, s19, v113
	v_mul_f32_e32 v78, s19, v138
	v_mul_f32_e32 v86, s19, v137
	v_cndmask_b32_e32 v88, 0xff7fffff, v88, vcc_lo
	v_cndmask_b32_e64 v87, 0xff7fffff, v87, s2
	v_dual_mul_f32 v76, s19, v140 :: v_dual_mul_f32 v77, s19, v139
	v_mul_f32_e32 v90, s19, v117
	v_cndmask_b32_e64 v86, 0xff7fffff, v86, s3
	v_cndmask_b32_e64 v78, 0xff7fffff, v78, s4
	v_max3_f32 v87, v88, 0xff7fffff, v87
	v_or_b32_e32 v81, 16, v128
	v_or_b32_e32 v82, 18, v128
	v_dual_mul_f32 v74, s19, v142 :: v_dual_mul_f32 v75, s19, v141
	v_mul_f32_e32 v92, s19, v115
	v_cndmask_b32_e64 v77, 0xff7fffff, v77, s5
	v_cndmask_b32_e64 v76, 0xff7fffff, v76, s6
	v_max3_f32 v78, v87, v86, v78
	v_cmp_gt_i32_e64 s7, s24, v79
	v_cmp_gt_i32_e64 s8, s24, v80
	v_or_b32_e32 v83, 20, v128
	v_or_b32_e32 v84, 22, v128
	v_dual_mul_f32 v89, s19, v118 :: v_dual_mul_f32 v96, s19, v111
	v_mul_f32_e32 v95, s19, v112
	v_cndmask_b32_e64 v75, 0xff7fffff, v75, s7
	v_cndmask_b32_e64 v74, 0xff7fffff, v74, s8
	v_max3_f32 v76, v78, v77, v76
	v_cmp_gt_i32_e64 s9, s24, v81
	v_cmp_gt_i32_e64 s10, s24, v82
	v_or_b32_e32 v85, 24, v128
	v_or_b32_e32 v71, 26, v128
	v_mul_f32_e32 v93, s19, v114
	v_cndmask_b32_e64 v77, 0xff7fffff, v96, s9
	v_cndmask_b32_e64 v78, 0xff7fffff, v95, s10
	v_max3_f32 v74, v76, v75, v74
	v_cmp_gt_i32_e64 s11, s24, v83
	v_cmp_gt_i32_e64 s12, s24, v84
	v_or_b32_e32 v72, 28, v128
	v_or_b32_e32 v73, 30, v128
	v_mul_f32_e32 v91, s19, v116
	v_cndmask_b32_e64 v75, 0xff7fffff, v94, s11
	v_cndmask_b32_e64 v76, 0xff7fffff, v93, s12
	v_max3_f32 v74, v74, v77, v78
	v_cmp_gt_i32_e64 s13, s24, v85
	v_cmp_gt_i32_e64 s15, s24, v71
	;; [unrolled: 1-line block ×4, first 2 shown]
	v_max3_f32 v74, v74, v75, v76
	v_cndmask_b32_e64 v77, 0xff7fffff, v92, s13
	v_cndmask_b32_e64 v71, 0xff7fffff, v91, s15
	;; [unrolled: 1-line block ×4, first 2 shown]
	s_delay_alu instid0(VALU_DEP_3) | instskip(SKIP_1) | instid1(VALU_DEP_2)
	v_max3_f32 v71, v74, v77, v71
	v_lshlrev_b32_e32 v74, 2, v127
	v_max3_f32 v71, v71, v72, v73
	ds_bpermute_b32 v72, v74, v71
	s_waitcnt lgkmcnt(0)
	v_max_f32_e32 v72, v72, v72
	s_delay_alu instid0(VALU_DEP_1) | instskip(NEXT) | instid1(VALU_DEP_1)
	v_max_f32_e32 v71, v71, v72
	v_fma_f32 v75, s19, v137, -v71
	v_fma_f32 v76, s19, v138, -v71
	;; [unrolled: 1-line block ×5, first 2 shown]
	s_delay_alu instid0(VALU_DEP_4) | instskip(NEXT) | instid1(VALU_DEP_4)
	v_dual_mul_f32 v75, 0x3fb8aa3b, v75 :: v_dual_mul_f32 v76, 0x3fb8aa3b, v76
	v_mul_f32_e32 v72, 0x3fb8aa3b, v72
	v_fma_f32 v77, s19, v139, -v71
	s_delay_alu instid0(VALU_DEP_4) | instskip(NEXT) | instid1(VALU_DEP_4)
	v_mul_f32_e32 v73, 0x3fb8aa3b, v73
	v_exp_f32_e32 v75, v75
	v_exp_f32_e32 v76, v76
	;; [unrolled: 1-line block ×3, first 2 shown]
	s_delay_alu instid0(VALU_DEP_1) | instskip(SKIP_2) | instid1(TRANS32_DEP_3)
	v_exp_f32_e32 v73, v73
	v_cndmask_b32_e64 v81, 0, v75, s3
	v_mul_f32_e32 v82, 0x3fb8aa3b, v80
	v_cndmask_b32_e64 v80, 0, v76, s4
	s_waitcnt_depctr 0xfff
	v_cndmask_b32_e64 v78, 0, v73, s2
	v_cmp_gt_u32_e64 s2, 16, v70
	v_exp_f32_e32 v84, v82
	s_waitcnt_depctr 0xfff
	v_cndmask_b32_e64 v85, 0, v84, s7
	v_cndmask_b32_e32 v79, 0, v72, vcc_lo
	v_fma_f32 v72, s19, v140, -v71
	v_mul_f32_e32 v77, 0x3fb8aa3b, v77
	s_delay_alu instid0(VALU_DEP_2) | instskip(NEXT) | instid1(VALU_DEP_2)
	v_dual_add_f32 v73, 0, v79 :: v_dual_mul_f32 v72, 0x3fb8aa3b, v72
	v_exp_f32_e32 v77, v77
	s_delay_alu instid0(VALU_DEP_1) | instskip(NEXT) | instid1(VALU_DEP_2)
	v_add_f32_e32 v73, v73, v78
	v_exp_f32_e32 v72, v72
	s_delay_alu instid0(VALU_DEP_1) | instskip(SKIP_4) | instid1(VALU_DEP_2)
	v_add_f32_e32 v73, v73, v81
	s_waitcnt_depctr 0xfff
	v_cndmask_b32_e64 v83, 0, v77, s5
	v_add_f32_e32 v73, v73, v80
	v_cndmask_b32_e64 v82, 0, v72, s6
	v_add_f32_e32 v72, v73, v83
	s_delay_alu instid0(VALU_DEP_1)
	v_add_f32_e32 v72, v72, v82
	v_fma_f32 v75, s19, v142, -v71
	v_fma_f32 v76, s19, v111, -v71
	;; [unrolled: 1-line block ×5, first 2 shown]
	s_delay_alu instid0(VALU_DEP_4) | instskip(NEXT) | instid1(VALU_DEP_4)
	v_dual_mul_f32 v75, 0x3fb8aa3b, v75 :: v_dual_mul_f32 v76, 0x3fb8aa3b, v76
	v_mul_f32_e32 v86, 0x3fb8aa3b, v86
	v_add_f32_e32 v72, v72, v85
	s_delay_alu instid0(VALU_DEP_3) | instskip(NEXT) | instid1(VALU_DEP_3)
	v_exp_f32_e32 v75, v75
	v_exp_f32_e32 v76, v76
	s_delay_alu instid0(VALU_DEP_2) | instskip(NEXT) | instid1(TRANS32_DEP_3)
	v_exp_f32_e32 v88, v86
	v_cndmask_b32_e64 v84, 0, v75, s8
	v_mul_f32_e32 v77, 0x3fb8aa3b, v77
	s_waitcnt_depctr 0xfff
	v_cndmask_b32_e64 v87, 0, v76, s9
	v_fma_f32 v76, s19, v116, -v71
	v_dual_mul_f32 v73, 0x3fb8aa3b, v73 :: v_dual_add_f32 v72, v72, v84
	v_exp_f32_e32 v77, v77
	v_fma_f32 v75, s19, v115, -v71
	s_delay_alu instid0(VALU_DEP_3) | instskip(NEXT) | instid1(VALU_DEP_3)
	v_mul_f32_e32 v76, 0x3fb8aa3b, v76
	v_exp_f32_e32 v73, v73
	v_add_f32_e32 v72, v72, v87
	v_cndmask_b32_e64 v88, 0, v88, s12
	s_delay_alu instid0(VALU_DEP_3) | instskip(NEXT) | instid1(TRANS32_DEP_3)
	v_exp_f32_e32 v76, v76
	v_cndmask_b32_e64 v86, 0, v77, s10
	v_mul_f32_e32 v75, 0x3fb8aa3b, v75
	v_fma_f32 v77, s19, v117, -v71
	s_delay_alu instid0(TRANS32_DEP_2) | instskip(NEXT) | instid1(VALU_DEP_4)
	v_cndmask_b32_e64 v89, 0, v73, s11
	v_add_f32_e32 v72, v72, v86
	s_delay_alu instid0(VALU_DEP_4) | instskip(NEXT) | instid1(TRANS32_DEP_2)
	v_exp_f32_e32 v75, v75
	v_cndmask_b32_e64 v90, 0, v76, s15
	s_delay_alu instid0(VALU_DEP_2) | instskip(SKIP_2) | instid1(VALU_DEP_3)
	v_add_f32_e32 v72, v72, v89
	v_mul_f32_e32 v73, 0x3fb8aa3b, v77
	v_fma_f32 v77, s19, v118, -v71
	v_add_f32_e32 v72, v72, v88
	s_delay_alu instid0(VALU_DEP_3) | instskip(NEXT) | instid1(TRANS32_DEP_2)
	v_exp_f32_e32 v73, v73
	v_cndmask_b32_e64 v91, 0, v75, s13
	s_delay_alu instid0(VALU_DEP_1) | instskip(NEXT) | instid1(VALU_DEP_1)
	v_dual_mul_f32 v75, 0x3fb8aa3b, v77 :: v_dual_add_f32 v72, v72, v91
	v_exp_f32_e32 v75, v75
	s_waitcnt_depctr 0xfff
	v_cndmask_b32_e64 v93, 0, v73, s16
	v_add_f32_e32 v72, v72, v90
	s_delay_alu instid0(VALU_DEP_1) | instskip(SKIP_1) | instid1(VALU_DEP_1)
	v_add_f32_e32 v72, v72, v93
	v_cndmask_b32_e64 v92, 0, v75, s17
	v_add_f32_e32 v72, v72, v92
	ds_bpermute_b32 v73, v74, v72
	s_and_saveexec_b32 s3, s2
	s_cbranch_execz .LBB1068_12
; %bb.11:
	v_mul_u32_u24_e32 v70, 0x44, v69
	s_waitcnt lgkmcnt(0)
	v_add_f32_e32 v72, v72, v73
	s_delay_alu instid0(VALU_DEP_2) | instskip(NEXT) | instid1(VALU_DEP_1)
	v_lshl_add_u32 v70, v68, 2, v70
	v_add_nc_u32_e32 v70, 0x4000, v70
	ds_store_2addr_b32 v70, v71, v72 offset1:136
.LBB1068_12:
	s_or_b32 exec_lo, exec_lo, s3
	v_lshlrev_b32_e32 v70, 2, v68
	s_load_b32 s35, s[0:1], 0x94
	s_waitcnt lgkmcnt(0)
	s_barrier
	buffer_gl0_inv
	v_add_nc_u32_e32 v98, 0x4000, v70
	v_cmp_eq_u32_e32 vcc_lo, 1, v69
	v_cmp_eq_u32_e64 s3, 2, v69
	v_cmp_eq_u32_e64 s4, 3, v69
	;; [unrolled: 1-line block ×3, first 2 shown]
	ds_load_2addr_b32 v[70:71], v98 offset1:17
	ds_load_2addr_b32 v[72:73], v98 offset0:34 offset1:51
	ds_load_2addr_b32 v[74:75], v98 offset0:68 offset1:85
	;; [unrolled: 1-line block ×3, first 2 shown]
	v_cmp_eq_u32_e64 s6, 5, v69
	v_cmp_eq_u32_e64 s7, 7, v69
	s_waitcnt lgkmcnt(3)
	v_max3_f32 v76, v70, 0xff7fffff, v71
	s_waitcnt lgkmcnt(2)
	s_delay_alu instid0(VALU_DEP_1) | instskip(SKIP_1) | instid1(VALU_DEP_1)
	v_max3_f32 v76, v76, v72, v73
	s_waitcnt lgkmcnt(1)
	v_max3_f32 v76, v76, v74, v75
	s_waitcnt lgkmcnt(0)
	s_delay_alu instid0(VALU_DEP_1) | instskip(NEXT) | instid1(VALU_DEP_1)
	v_max3_f32 v76, v76, v94, v95
	v_sub_f32_e32 v77, v71, v76
	ds_load_2addr_b32 v[96:97], v98 offset0:136 offset1:153
	v_sub_f32_e32 v74, v74, v76
	v_sub_f32_e32 v70, v70, v76
	;; [unrolled: 1-line block ×3, first 2 shown]
	v_dual_sub_f32 v72, v72, v76 :: v_dual_mul_f32 v77, 0x3fb8aa3b, v77
	s_delay_alu instid0(VALU_DEP_4) | instskip(NEXT) | instid1(VALU_DEP_4)
	v_mul_f32_e32 v103, 0x3fb8aa3b, v74
	v_mul_f32_e32 v99, 0x3fb8aa3b, v70
	ds_load_2addr_b32 v[70:71], v98 offset0:170 offset1:187
	v_dual_mul_f32 v101, 0x3fb8aa3b, v72 :: v_dual_mul_f32 v94, 0x3fb8aa3b, v94
	v_exp_f32_e32 v102, v77
	v_exp_f32_e32 v99, v99
	s_delay_alu instid0(VALU_DEP_1) | instskip(NEXT) | instid1(VALU_DEP_1)
	v_exp_f32_e32 v101, v101
	v_exp_f32_e32 v94, v94
	s_waitcnt lgkmcnt(1)
	s_delay_alu instid0(TRANS32_DEP_3)
	v_fma_f32 v77, v99, v96, 0
	v_sub_f32_e32 v100, v73, v76
	ds_load_2addr_b32 v[72:73], v98 offset0:204 offset1:221
	v_fmac_f32_e32 v77, v102, v97
	v_exp_f32_e32 v97, v103
	s_waitcnt lgkmcnt(1)
	s_delay_alu instid0(VALU_DEP_1)
	v_dual_fmac_f32 v77, v101, v70 :: v_dual_sub_f32 v96, v75, v76
	ds_load_2addr_b32 v[74:75], v98 offset0:238 offset1:255
	v_sub_f32_e32 v70, v95, v76
	s_waitcnt lgkmcnt(0)
	s_barrier
	v_mul_f32_e32 v96, 0x3fb8aa3b, v96
	buffer_gl0_inv
	v_exp_f32_e32 v95, v96
	v_mul_f32_e32 v100, 0x3fb8aa3b, v100
	s_delay_alu instid0(VALU_DEP_1) | instskip(SKIP_3) | instid1(VALU_DEP_2)
	v_exp_f32_e32 v100, v100
	s_waitcnt_depctr 0xfff
	v_dual_fmac_f32 v77, v100, v71 :: v_dual_mul_f32 v70, 0x3fb8aa3b, v70
	v_cndmask_b32_e32 v71, v99, v102, vcc_lo
	v_fmac_f32_e32 v77, v97, v72
	s_delay_alu instid0(VALU_DEP_3) | instskip(NEXT) | instid1(VALU_DEP_1)
	v_exp_f32_e32 v96, v70
	v_fmac_f32_e32 v77, v95, v73
	s_delay_alu instid0(VALU_DEP_1) | instskip(SKIP_2) | instid1(VALU_DEP_1)
	v_fmac_f32_e32 v77, v94, v74
	s_waitcnt_depctr 0xfff
	v_fmac_f32_e32 v77, v96, v75
	v_add_f32_e32 v74, 0x358637bd, v77
	s_delay_alu instid0(VALU_DEP_1) | instskip(SKIP_1) | instid1(VALU_DEP_2)
	v_div_scale_f32 v98, null, v74, v74, 1.0
	v_div_scale_f32 v99, vcc_lo, 1.0, v74, 1.0
	v_rcp_f32_e32 v103, v98
	s_waitcnt_depctr 0xfff
	v_fma_f32 v70, -v98, v103, 1.0
	s_delay_alu instid0(VALU_DEP_1) | instskip(SKIP_2) | instid1(VALU_DEP_2)
	v_fmac_f32_e32 v103, v70, v103
	v_cndmask_b32_e64 v70, v71, v101, s3
	v_cmp_eq_u32_e64 s3, 6, v69
	v_cndmask_b32_e64 v71, v70, v100, s4
	s_delay_alu instid0(VALU_DEP_4) | instskip(NEXT) | instid1(VALU_DEP_2)
	v_dual_mul_f32 v101, v99, v103 :: v_dual_lshlrev_b32 v70, 2, v66
	v_cndmask_b32_e64 v71, v71, v97, s5
	s_delay_alu instid0(VALU_DEP_2) | instskip(NEXT) | instid1(VALU_DEP_3)
	v_or_b32_e32 v72, 1, v70
	v_fma_f32 v100, -v98, v101, v99
	v_cmp_eq_u32_e64 s4, 1, v70
	v_cmp_eq_u32_e64 s5, 2, v70
	v_cndmask_b32_e64 v95, v71, v95, s6
	v_or_b32_e32 v71, 3, v70
	v_fmac_f32_e32 v101, v100, v103
	v_cmp_eq_u32_e64 s9, 1, v72
	v_cmp_eq_u32_e64 s12, 2, v72
	v_cndmask_b32_e64 v94, v95, v94, s3
	v_cmp_eq_u32_e64 s11, 1, v71
	v_fma_f32 v97, -v98, v101, v99
	v_cmp_eq_u32_e64 s16, 2, v71
	v_cmp_eq_u32_e64 s13, 3, v72
	v_cndmask_b32_e64 v94, v94, v96, s7
	v_cmp_eq_u32_e64 s18, 3, v71
	v_div_fmas_f32 v95, v97, v103, v101
	v_cmp_eq_u32_e32 vcc_lo, 3, v70
	v_cmp_eq_u32_e64 s3, 4, v70
	v_cmp_eq_u32_e64 s19, 4, v72
	;; [unrolled: 1-line block ×3, first 2 shown]
	v_div_fixup_f32 v95, v95, v74, 1.0
	v_lshlrev_b32_e32 v73, 6, v68
	v_cmp_eq_u32_e64 s6, 5, v70
	v_cmp_eq_u32_e64 s20, 5, v72
	;; [unrolled: 1-line block ×3, first 2 shown]
	v_mul_f32_e32 v102, v94, v95
	v_lshl_or_b32 v75, v69, 11, v73
	v_or_b32_e32 v69, 2, v70
	v_cmp_eq_u32_e64 s25, 6, v72
	v_cmp_eq_u32_e64 s27, 6, v71
	v_fma_mixlo_f16 v94, v102, v79, 0
	v_fma_mixlo_f16 v95, v102, v81, 0
	;; [unrolled: 1-line block ×8, first 2 shown]
	v_lshl_or_b32 v74, v66, 4, v75
	v_fma_mixhi_f16 v94, v102, v78, 0
	v_fma_mixhi_f16 v95, v102, v80, 0
	;; [unrolled: 1-line block ×8, first 2 shown]
	ds_store_b128 v74, v[94:97]
	ds_store_b128 v74, v[98:101] offset:1024
	s_waitcnt lgkmcnt(0)
	s_barrier
	buffer_gl0_inv
	ds_load_b128 v[78:81], v75
	ds_load_b128 v[82:85], v75 offset:16
	ds_load_b128 v[86:89], v75 offset:1024
	;; [unrolled: 1-line block ×3, first 2 shown]
	v_cmp_eq_u32_e64 s10, 1, v69
	v_cmp_eq_u32_e64 s15, 2, v69
	;; [unrolled: 1-line block ×11, first 2 shown]
	s_waitcnt lgkmcnt(3)
	v_lshrrev_b32_e32 v94, 16, v78
	s_waitcnt lgkmcnt(2)
	v_lshrrev_b32_e32 v98, 16, v82
	;; [unrolled: 2-line block ×4, first 2 shown]
	v_lshrrev_b32_e32 v95, 16, v79
	v_cndmask_b32_e64 v110, v78, v94, s4
	v_cndmask_b32_e64 v111, v82, v98, s4
	;; [unrolled: 1-line block ×8, first 2 shown]
	v_lshrrev_b32_e32 v99, 16, v83
	v_cndmask_b32_e64 v94, v86, v102, s4
	v_cndmask_b32_e64 v98, v90, v106, s4
	;; [unrolled: 1-line block ×15, first 2 shown]
	v_lshrrev_b32_e32 v103, 16, v87
	v_lshrrev_b32_e32 v107, 16, v91
	v_cndmask_b32_e64 v113, v115, v83, s15
	v_cndmask_b32_e64 v82, v94, v87, s5
	v_cndmask_b32_e64 v83, v98, v91, s5
	v_cndmask_b32_e64 v94, v116, v87, s12
	v_cndmask_b32_e64 v98, v118, v87, s15
	v_cndmask_b32_e64 v86, v86, v87, s16
	v_cndmask_b32_e64 v87, v90, v91, s16
	v_cndmask_b32_e32 v90, v102, v95, vcc_lo
	v_cndmask_b32_e32 v102, v106, v99, vcc_lo
	v_cndmask_b32_e64 v106, v110, v95, s13
	v_cndmask_b32_e64 v110, v111, v99, s13
	;; [unrolled: 1-line block ×4, first 2 shown]
	v_lshrrev_b32_e32 v96, 16, v80
	v_lshrrev_b32_e32 v100, 16, v84
	v_cndmask_b32_e64 v111, v112, v95, s17
	v_cndmask_b32_e64 v112, v113, v99, s17
	v_cndmask_b32_e32 v82, v82, v103, vcc_lo
	v_cndmask_b32_e32 v83, v83, v107, vcc_lo
	v_cndmask_b32_e64 v94, v94, v103, s13
	v_cndmask_b32_e64 v90, v90, v80, s3
	;; [unrolled: 1-line block ×7, first 2 shown]
	v_lshrrev_b32_e32 v104, 16, v88
	v_cndmask_b32_e64 v106, v111, v80, s21
	v_cndmask_b32_e64 v110, v112, v84, s21
	;; [unrolled: 1-line block ×11, first 2 shown]
	v_lshrrev_b32_e32 v97, 16, v81
	v_lshrrev_b32_e32 v101, 16, v85
	v_cndmask_b32_e64 v99, v106, v96, s23
	v_cndmask_b32_e64 v102, v110, v100, s23
	;; [unrolled: 1-line block ×7, first 2 shown]
	v_lshrrev_b32_e32 v105, 16, v89
	v_cndmask_b32_e64 v80, v80, v104, s6
	v_cndmask_b32_e64 v84, v84, v81, s7
	;; [unrolled: 1-line block ×16, first 2 shown]
	v_perm_b32 v81, v79, v78, 0x5040100
	v_perm_b32 v79, v95, v85, 0x5040100
	v_cndmask_b32_e64 v78, v119, v91, s15
	v_cndmask_b32_e64 v85, v117, v91, s12
	;; [unrolled: 1-line block ×3, first 2 shown]
	v_perm_b32 v80, v94, v90, 0x5040100
	v_cndmask_b32_e64 v90, v98, v103, s17
	v_cndmask_b32_e64 v86, v86, v103, s18
	;; [unrolled: 1-line block ×5, first 2 shown]
	v_lshrrev_b32_e32 v108, 16, v92
	v_cndmask_b32_e64 v90, v90, v88, s21
	v_cndmask_b32_e64 v86, v86, v88, s22
	;; [unrolled: 1-line block ×11, first 2 shown]
	v_lshrrev_b32_e32 v109, 16, v93
	v_cndmask_b32_e64 v82, v82, v93, s7
	v_cndmask_b32_e64 v88, v88, v89, s26
	;; [unrolled: 1-line block ×12, first 2 shown]
	v_perm_b32 v78, v84, v83, 0x5040100
	v_perm_b32 v85, v87, v86, 0x5040100
	;; [unrolled: 1-line block ×5, first 2 shown]
	s_mul_i32 s8, s33, 3
	s_mov_b32 s3, exec_lo
	ds_store_b128 v74, v[78:81]
	ds_store_b128 v74, v[82:85] offset:1024
	v_cmpx_gt_u32_e32 3, v0
	s_cbranch_execz .LBB1068_14
; %bb.13:
	s_mul_i32 s4, s8, s34
	s_delay_alu instid0(SALU_CYCLE_1) | instskip(SKIP_1) | instid1(VALU_DEP_1)
	v_add3_u32 v68, s4, s31, v68
	s_load_b128 s[4:7], s[0:1], 0x58
	v_mad_u64_u32 v[78:79], null, v68, s35, s[14:15]
	s_delay_alu instid0(VALU_DEP_1) | instskip(NEXT) | instid1(VALU_DEP_1)
	v_ashrrev_i32_e32 v79, 31, v78
	v_lshlrev_b64 v[78:79], 2, v[78:79]
	s_waitcnt lgkmcnt(0)
	s_delay_alu instid0(VALU_DEP_1) | instskip(NEXT) | instid1(VALU_DEP_2)
	v_add_co_u32 v80, vcc_lo, s6, v78
	v_add_co_ci_u32_e32 v81, vcc_lo, s7, v79, vcc_lo
	v_add_co_u32 v78, vcc_lo, s4, v78
	v_add_co_ci_u32_e32 v79, vcc_lo, s5, v79, vcc_lo
	global_store_b32 v[80:81], v76, off
	global_store_b32 v[78:79], v77, off
.LBB1068_14:
	s_or_b32 exec_lo, exec_lo, s3
	s_waitcnt lgkmcnt(0)
	s_waitcnt_vscnt null, 0x0
	s_barrier
	buffer_gl0_inv
	ds_load_b128 v[84:87], v73
	ds_load_b128 v[88:91], v73 offset:16
	ds_load_b128 v[96:99], v73 offset:2064
	;; [unrolled: 1-line block ×5, first 2 shown]
	v_cmp_eq_u32_e32 vcc_lo, 1, v70
	v_mov_b32_e32 v76, 0
	ds_load_b128 v[112:115], v73 offset:6160
	ds_load_b128 v[108:111], v73 offset:6144
	;; [unrolled: 1-line block ×4, first 2 shown]
	v_cmp_eq_u32_e64 s4, 1, v69
	v_cmp_eq_u32_e64 s3, 1, v72
	;; [unrolled: 1-line block ×3, first 2 shown]
	v_mov_b32_e32 v77, v76
	v_mov_b32_e32 v78, v76
	;; [unrolled: 1-line block ×7, first 2 shown]
	v_cmp_eq_u32_e64 s6, 3, v72
	v_cmp_eq_u32_e64 s7, 7, v72
	s_waitcnt lgkmcnt(8)
	s_delay_alu instid0(VALU_DEP_3)
	v_wmma_f32_16x16x16_f16 v[76:83], v[49:56], v[84:91], v[76:83]
	ds_load_b128 v[53:56], v73 offset:10256
	ds_load_b128 v[49:52], v73 offset:10240
	s_waitcnt lgkmcnt(8)
	v_wmma_f32_16x16x16_f16 v[76:83], v[41:48], v[92:99], v[76:83]
	ds_load_b128 v[45:48], v73 offset:12304
	ds_load_b128 v[41:44], v73 offset:12288
	s_waitcnt lgkmcnt(8)
	;; [unrolled: 4-line block ×3, first 2 shown]
	s_barrier
	buffer_gl0_inv
	v_wmma_f32_16x16x16_f16 v[76:83], v[1:8], v[108:115], v[76:83]
	s_delay_alu instid0(VALU_DEP_1) | instskip(NEXT) | instid1(VALU_DEP_1)
	v_wmma_f32_16x16x16_f16 v[76:83], v[9:16], v[116:123], v[76:83]
	v_wmma_f32_16x16x16_f16 v[76:83], v[17:24], v[49:56], v[76:83]
	s_delay_alu instid0(VALU_DEP_1) | instskip(NEXT) | instid1(VALU_DEP_1)
	v_wmma_f32_16x16x16_f16 v[76:83], v[25:32], v[41:48], v[76:83]
	v_wmma_f32_16x16x16_f16 v[76:83], v[57:64], v[33:40], v[76:83]
	s_delay_alu instid0(VALU_DEP_1) | instskip(NEXT) | instid1(VALU_DEP_2)
	v_cvt_f16_f32_e32 v1, v76
	v_cvt_f16_f32_e32 v2, v77
	s_delay_alu instid0(VALU_DEP_3) | instskip(NEXT) | instid1(VALU_DEP_4)
	v_cvt_f16_f32_e32 v3, v78
	v_cvt_f16_f32_e32 v4, v79
	;; [unrolled: 1-line block ×6, first 2 shown]
	v_pack_b32_f16 v1, v1, v2
	v_pack_b32_f16 v2, v3, v4
	v_pack_b32_f16 v3, v5, v6
	s_delay_alu instid0(VALU_DEP_4)
	v_pack_b32_f16 v4, v7, v8
	ds_store_b128 v74, v[1:4]
	s_waitcnt lgkmcnt(0)
	s_barrier
	buffer_gl0_inv
	ds_load_b128 v[1:4], v75
	ds_load_b128 v[5:8], v75 offset:16
	s_waitcnt lgkmcnt(1)
	v_lshrrev_b32_e32 v9, 16, v1
	s_waitcnt lgkmcnt(0)
	v_lshrrev_b32_e32 v13, 16, v5
	v_lshrrev_b32_e32 v10, 16, v2
	;; [unrolled: 1-line block ×4, first 2 shown]
	v_cndmask_b32_e32 v17, v1, v9, vcc_lo
	v_cndmask_b32_e32 v18, v5, v13, vcc_lo
	v_cndmask_b32_e64 v21, v1, v9, s4
	v_cmp_eq_u32_e32 vcc_lo, 1, v71
	v_cndmask_b32_e64 v22, v5, v13, s4
	v_cmp_eq_u32_e64 s4, 2, v70
	v_cndmask_b32_e64 v19, v1, v9, s3
	v_cndmask_b32_e64 v20, v5, v13, s3
	v_cndmask_b32_e32 v1, v1, v9, vcc_lo
	v_cmp_eq_u32_e64 s3, 2, v71
	v_cndmask_b32_e32 v5, v5, v13, vcc_lo
	v_cndmask_b32_e64 v9, v17, v2, s4
	v_cmp_eq_u32_e32 vcc_lo, 3, v70
	v_cndmask_b32_e64 v13, v18, v6, s4
	v_cmp_eq_u32_e64 s4, 2, v69
	v_cndmask_b32_e64 v17, v19, v2, s5
	v_cndmask_b32_e64 v18, v20, v6, s5
	v_cmp_eq_u32_e64 s5, 3, v69
	v_cndmask_b32_e64 v1, v1, v2, s3
	v_cndmask_b32_e64 v19, v21, v2, s4
	;; [unrolled: 1-line block ×4, first 2 shown]
	v_cndmask_b32_e32 v5, v9, v10, vcc_lo
	v_cndmask_b32_e32 v6, v13, v14, vcc_lo
	v_cmp_eq_u32_e32 vcc_lo, 3, v71
	v_cndmask_b32_e64 v9, v17, v10, s6
	v_cndmask_b32_e64 v13, v18, v14, s6
	;; [unrolled: 1-line block ×3, first 2 shown]
	v_cmp_eq_u32_e64 s4, 4, v70
	v_cndmask_b32_e32 v1, v1, v10, vcc_lo
	v_cndmask_b32_e32 v2, v2, v14, vcc_lo
	v_cmp_eq_u32_e32 vcc_lo, 4, v72
	v_lshrrev_b32_e32 v15, 16, v7
	v_lshrrev_b32_e32 v16, 16, v8
	v_cndmask_b32_e64 v17, v19, v10, s5
	v_cmp_eq_u32_e64 s3, 4, v71
	v_cndmask_b32_e64 v5, v5, v3, s4
	v_cndmask_b32_e64 v6, v6, v7, s4
	v_cndmask_b32_e32 v9, v9, v3, vcc_lo
	v_cmp_eq_u32_e64 s4, 5, v72
	v_cndmask_b32_e32 v10, v13, v7, vcc_lo
	v_cmp_eq_u32_e32 vcc_lo, 4, v69
	v_cmp_eq_u32_e64 s5, 5, v70
	v_cndmask_b32_e64 v2, v2, v7, s3
	v_cndmask_b32_e64 v9, v9, v11, s4
	;; [unrolled: 1-line block ×3, first 2 shown]
	v_cndmask_b32_e32 v13, v17, v3, vcc_lo
	v_cmp_eq_u32_e64 s4, 5, v69
	v_cndmask_b32_e32 v14, v18, v7, vcc_lo
	v_cndmask_b32_e64 v1, v1, v3, s3
	v_cmp_eq_u32_e32 vcc_lo, 5, v71
	v_lshrrev_b32_e32 v12, 16, v4
	v_cndmask_b32_e64 v13, v13, v11, s4
	v_cndmask_b32_e64 v3, v14, v15, s4
	v_cmp_eq_u32_e64 s4, 6, v71
	v_cndmask_b32_e32 v1, v1, v11, vcc_lo
	v_cndmask_b32_e64 v5, v5, v11, s5
	v_cmp_eq_u32_e64 s6, 6, v70
	v_cndmask_b32_e64 v6, v6, v15, s5
	v_cmp_eq_u32_e64 s5, 6, v72
	v_cmp_eq_u32_e64 s3, 6, v69
	v_cndmask_b32_e64 v1, v1, v4, s4
	v_cndmask_b32_e32 v2, v2, v15, vcc_lo
	v_cmp_eq_u32_e32 vcc_lo, 7, v71
	v_cndmask_b32_e64 v5, v5, v4, s6
	v_cndmask_b32_e64 v9, v9, v4, s5
	;; [unrolled: 1-line block ×3, first 2 shown]
	v_cmp_eq_u32_e64 s6, 7, v70
	v_cndmask_b32_e32 v1, v1, v12, vcc_lo
	v_cndmask_b32_e64 v7, v13, v4, s3
	v_cndmask_b32_e64 v3, v3, v8, s3
	;; [unrolled: 1-line block ×3, first 2 shown]
	v_cmp_eq_u32_e64 s3, 7, v69
	v_cndmask_b32_e64 v4, v10, v8, s5
	v_cndmask_b32_e64 v5, v5, v12, s6
	v_cndmask_b32_e64 v9, v9, v12, s7
	v_cndmask_b32_e32 v2, v2, v16, vcc_lo
	v_cndmask_b32_e64 v7, v7, v12, s3
	v_cndmask_b32_e64 v3, v3, v16, s3
	;; [unrolled: 1-line block ×4, first 2 shown]
	v_perm_b32 v4, v2, v1, 0x5040100
	s_mov_b32 s3, exec_lo
	v_perm_b32 v3, v3, v7, 0x5040100
	v_perm_b32 v2, v8, v9, 0x5040100
	;; [unrolled: 1-line block ×3, first 2 shown]
	ds_store_b128 v74, v[1:4]
	s_waitcnt lgkmcnt(0)
	s_barrier
	buffer_gl0_inv
	v_cmpx_gt_u32_e32 32, v0
	s_cbranch_execz .LBB1068_2
; %bb.15:
	s_load_b64 s[4:5], s[0:1], 0x68
	v_lshlrev_b32_e32 v0, 10, v0
	v_lshlrev_b32_e32 v2, 4, v67
	v_add_nc_u32_e32 v1, s31, v66
	s_lshl_b32 s0, s35, 7
	s_delay_alu instid0(SALU_CYCLE_1) | instskip(NEXT) | instid1(VALU_DEP_2)
	s_mul_i32 s1, s0, s34
	v_and_or_b32 v0, 0x3800, v0, v2
	s_mul_i32 s6, s1, s8
	v_mul_lo_u32 v1, v1, s0
	s_ashr_i32 s7, s6, 31
	s_delay_alu instid0(VALU_DEP_2) | instskip(SKIP_1) | instid1(VALU_DEP_2)
	v_lshl_or_b32 v3, v66, 6, v0
	s_lshl_b64 s[6:7], s[6:7], 1
	v_ashrrev_i32_e32 v2, 31, v1
	ds_load_b128 v[3:6], v3
	s_waitcnt lgkmcnt(0)
	s_add_u32 s1, s4, s6
	s_addc_u32 s3, s5, s7
	s_lshl_b32 s4, s14, 7
	v_lshlrev_b64 v[7:8], 1, v[1:2]
	s_ashr_i32 s5, s4, 31
	s_delay_alu instid0(SALU_CYCLE_1) | instskip(NEXT) | instid1(SALU_CYCLE_1)
	s_lshl_b64 s[4:5], s[4:5], 1
	s_add_u32 s1, s1, s4
	s_addc_u32 s3, s3, s5
	v_add_co_u32 v1, s1, s1, v65
	s_delay_alu instid0(VALU_DEP_1) | instskip(NEXT) | instid1(VALU_DEP_2)
	v_add_co_ci_u32_e64 v2, null, s3, 0, s1
	v_add_co_u32 v7, vcc_lo, v1, v7
	s_delay_alu instid0(VALU_DEP_2)
	v_add_co_ci_u32_e32 v8, vcc_lo, v2, v8, vcc_lo
	global_store_b128 v[7:8], v[3:6], off
	s_and_b32 exec_lo, exec_lo, s2
	s_cbranch_execz .LBB1068_2
; %bb.16:
	ds_load_b128 v[3:6], v0 offset:128
	s_add_i32 s1, s31, 2
	s_delay_alu instid0(SALU_CYCLE_1) | instskip(NEXT) | instid1(SALU_CYCLE_1)
	s_mul_i32 s0, s1, s0
	s_ashr_i32 s1, s0, 31
	s_delay_alu instid0(SALU_CYCLE_1) | instskip(NEXT) | instid1(SALU_CYCLE_1)
	s_lshl_b64 s[0:1], s[0:1], 1
	v_add_co_u32 v0, vcc_lo, v1, s0
	v_add_co_ci_u32_e32 v1, vcc_lo, s1, v2, vcc_lo
	s_waitcnt lgkmcnt(0)
	global_store_b128 v[0:1], v[3:6], off
	s_nop 0
	s_sendmsg sendmsg(MSG_DEALLOC_VGPRS)
	s_endpgm
	.section	.rodata,"a",@progbits
	.p2align	6, 0x0
	.amdhsa_kernel _Z39paged_attention_ll4mi_QKV_mfma16_kernelIDF16_hLN4vllm18Fp8KVCacheDataTypeE1EDF16_Li32ELi128ELi256ELb1ELi3EL8MFMAType1EEvPKT_PKT0_S8_ifPKiSA_SA_iPKfiiiPfSD_PS3_PT2_iSC_SC_
		.amdhsa_group_segment_fixed_size 17472
		.amdhsa_private_segment_fixed_size 0
		.amdhsa_kernarg_size 400
		.amdhsa_user_sgpr_count 13
		.amdhsa_user_sgpr_dispatch_ptr 0
		.amdhsa_user_sgpr_queue_ptr 0
		.amdhsa_user_sgpr_kernarg_segment_ptr 1
		.amdhsa_user_sgpr_dispatch_id 0
		.amdhsa_user_sgpr_private_segment_size 0
		.amdhsa_wavefront_size32 1
		.amdhsa_uses_dynamic_stack 0
		.amdhsa_enable_private_segment 0
		.amdhsa_system_sgpr_workgroup_id_x 1
		.amdhsa_system_sgpr_workgroup_id_y 1
		.amdhsa_system_sgpr_workgroup_id_z 1
		.amdhsa_system_sgpr_workgroup_info 0
		.amdhsa_system_vgpr_workitem_id 0
		.amdhsa_next_free_vgpr 150
		.amdhsa_next_free_sgpr 37
		.amdhsa_reserve_vcc 1
		.amdhsa_float_round_mode_32 0
		.amdhsa_float_round_mode_16_64 0
		.amdhsa_float_denorm_mode_32 3
		.amdhsa_float_denorm_mode_16_64 3
		.amdhsa_dx10_clamp 1
		.amdhsa_ieee_mode 1
		.amdhsa_fp16_overflow 0
		.amdhsa_workgroup_processor_mode 1
		.amdhsa_memory_ordered 1
		.amdhsa_forward_progress 0
		.amdhsa_shared_vgpr_count 0
		.amdhsa_exception_fp_ieee_invalid_op 0
		.amdhsa_exception_fp_denorm_src 0
		.amdhsa_exception_fp_ieee_div_zero 0
		.amdhsa_exception_fp_ieee_overflow 0
		.amdhsa_exception_fp_ieee_underflow 0
		.amdhsa_exception_fp_ieee_inexact 0
		.amdhsa_exception_int_div_zero 0
	.end_amdhsa_kernel
	.section	.text._Z39paged_attention_ll4mi_QKV_mfma16_kernelIDF16_hLN4vllm18Fp8KVCacheDataTypeE1EDF16_Li32ELi128ELi256ELb1ELi3EL8MFMAType1EEvPKT_PKT0_S8_ifPKiSA_SA_iPKfiiiPfSD_PS3_PT2_iSC_SC_,"axG",@progbits,_Z39paged_attention_ll4mi_QKV_mfma16_kernelIDF16_hLN4vllm18Fp8KVCacheDataTypeE1EDF16_Li32ELi128ELi256ELb1ELi3EL8MFMAType1EEvPKT_PKT0_S8_ifPKiSA_SA_iPKfiiiPfSD_PS3_PT2_iSC_SC_,comdat
.Lfunc_end1068:
	.size	_Z39paged_attention_ll4mi_QKV_mfma16_kernelIDF16_hLN4vllm18Fp8KVCacheDataTypeE1EDF16_Li32ELi128ELi256ELb1ELi3EL8MFMAType1EEvPKT_PKT0_S8_ifPKiSA_SA_iPKfiiiPfSD_PS3_PT2_iSC_SC_, .Lfunc_end1068-_Z39paged_attention_ll4mi_QKV_mfma16_kernelIDF16_hLN4vllm18Fp8KVCacheDataTypeE1EDF16_Li32ELi128ELi256ELb1ELi3EL8MFMAType1EEvPKT_PKT0_S8_ifPKiSA_SA_iPKfiiiPfSD_PS3_PT2_iSC_SC_
                                        ; -- End function
	.section	.AMDGPU.csdata,"",@progbits
; Kernel info:
; codeLenInByte = 6604
; NumSgprs: 39
; NumVgprs: 150
; ScratchSize: 0
; MemoryBound: 0
; FloatMode: 240
; IeeeMode: 1
; LDSByteSize: 17472 bytes/workgroup (compile time only)
; SGPRBlocks: 4
; VGPRBlocks: 18
; NumSGPRsForWavesPerEU: 39
; NumVGPRsForWavesPerEU: 150
; Occupancy: 9
; WaveLimiterHint : 1
; COMPUTE_PGM_RSRC2:SCRATCH_EN: 0
; COMPUTE_PGM_RSRC2:USER_SGPR: 13
; COMPUTE_PGM_RSRC2:TRAP_HANDLER: 0
; COMPUTE_PGM_RSRC2:TGID_X_EN: 1
; COMPUTE_PGM_RSRC2:TGID_Y_EN: 1
; COMPUTE_PGM_RSRC2:TGID_Z_EN: 1
; COMPUTE_PGM_RSRC2:TIDIG_COMP_CNT: 0
	.section	.text._Z39paged_attention_ll4mi_QKV_mfma16_kernelIDF16_hLN4vllm18Fp8KVCacheDataTypeE1EDF16_Li32ELi128ELi256ELb1ELi4EL8MFMAType1EEvPKT_PKT0_S8_ifPKiSA_SA_iPKfiiiPfSD_PS3_PT2_iSC_SC_,"axG",@progbits,_Z39paged_attention_ll4mi_QKV_mfma16_kernelIDF16_hLN4vllm18Fp8KVCacheDataTypeE1EDF16_Li32ELi128ELi256ELb1ELi4EL8MFMAType1EEvPKT_PKT0_S8_ifPKiSA_SA_iPKfiiiPfSD_PS3_PT2_iSC_SC_,comdat
	.protected	_Z39paged_attention_ll4mi_QKV_mfma16_kernelIDF16_hLN4vllm18Fp8KVCacheDataTypeE1EDF16_Li32ELi128ELi256ELb1ELi4EL8MFMAType1EEvPKT_PKT0_S8_ifPKiSA_SA_iPKfiiiPfSD_PS3_PT2_iSC_SC_ ; -- Begin function _Z39paged_attention_ll4mi_QKV_mfma16_kernelIDF16_hLN4vllm18Fp8KVCacheDataTypeE1EDF16_Li32ELi128ELi256ELb1ELi4EL8MFMAType1EEvPKT_PKT0_S8_ifPKiSA_SA_iPKfiiiPfSD_PS3_PT2_iSC_SC_
	.globl	_Z39paged_attention_ll4mi_QKV_mfma16_kernelIDF16_hLN4vllm18Fp8KVCacheDataTypeE1EDF16_Li32ELi128ELi256ELb1ELi4EL8MFMAType1EEvPKT_PKT0_S8_ifPKiSA_SA_iPKfiiiPfSD_PS3_PT2_iSC_SC_
	.p2align	8
	.type	_Z39paged_attention_ll4mi_QKV_mfma16_kernelIDF16_hLN4vllm18Fp8KVCacheDataTypeE1EDF16_Li32ELi128ELi256ELb1ELi4EL8MFMAType1EEvPKT_PKT0_S8_ifPKiSA_SA_iPKfiiiPfSD_PS3_PT2_iSC_SC_,@function
_Z39paged_attention_ll4mi_QKV_mfma16_kernelIDF16_hLN4vllm18Fp8KVCacheDataTypeE1EDF16_Li32ELi128ELi256ELb1ELi4EL8MFMAType1EEvPKT_PKT0_S8_ifPKiSA_SA_iPKfiiiPfSD_PS3_PT2_iSC_SC_: ; @_Z39paged_attention_ll4mi_QKV_mfma16_kernelIDF16_hLN4vllm18Fp8KVCacheDataTypeE1EDF16_Li32ELi128ELi256ELb1ELi4EL8MFMAType1EEvPKT_PKT0_S8_ifPKiSA_SA_iPKfiiiPfSD_PS3_PT2_iSC_SC_
; %bb.0:
	s_load_b64 s[4:5], s[0:1], 0x30
	s_mov_b32 s30, s13
	s_waitcnt lgkmcnt(0)
	s_cmp_lg_u64 s[4:5], 0
	s_cselect_b32 s13, -1, 0
	s_ashr_i32 s31, s30, 31
	s_cmp_eq_u64 s[4:5], 0
	s_cbranch_scc1 .LBB1069_3
; %bb.1:
	s_lshl_b64 s[2:3], s[30:31], 2
	s_delay_alu instid0(SALU_CYCLE_1) | instskip(SKIP_4) | instid1(SALU_CYCLE_1)
	s_add_u32 s2, s4, s2
	s_addc_u32 s3, s5, s3
	s_load_b64 s[2:3], s[2:3], 0x0
	s_waitcnt lgkmcnt(0)
	s_sub_i32 s2, s3, s2
	s_cmp_eq_u32 s2, 1
	s_cselect_b32 s2, -1, 0
	s_delay_alu instid0(SALU_CYCLE_1)
	s_and_not1_b32 vcc_lo, exec_lo, s2
	s_cbranch_vccz .LBB1069_4
.LBB1069_2:
	s_endpgm
.LBB1069_3:
.LBB1069_4:
	s_load_b64 s[2:3], s[0:1], 0x28
	s_lshl_b64 s[6:7], s[30:31], 2
	s_waitcnt lgkmcnt(0)
	s_add_u32 s2, s2, s6
	s_addc_u32 s3, s3, s7
	s_lshl_b32 s12, s14, 8
	s_load_b32 s17, s[2:3], 0x0
	s_waitcnt lgkmcnt(0)
	s_cmp_ge_i32 s12, s17
	s_cbranch_scc1 .LBB1069_2
; %bb.5:
	s_clause 0x1
	s_load_b128 s[8:11], s[0:1], 0x8
	s_load_b64 s[2:3], s[0:1], 0x20
	s_and_not1_b32 vcc_lo, exec_lo, s13
	s_cbranch_vccnz .LBB1069_7
; %bb.6:
	s_add_u32 s4, s4, s6
	s_addc_u32 s5, s5, s7
	s_load_b32 s13, s[4:5], 0x0
	s_branch .LBB1069_8
.LBB1069_7:
	s_mov_b32 s13, s30
.LBB1069_8:
	s_load_b128 s[4:7], s[0:1], 0x48
	v_and_b32_e32 v69, 15, v0
	v_lshrrev_b32_e32 v68, 5, v0
	v_and_b32_e32 v70, 31, v0
	v_and_b32_e32 v67, 1, v0
	v_bfe_u32 v66, v0, 4, 1
	v_lshlrev_b32_e32 v1, 3, v69
	s_lshl_b32 s31, s15, 2
	s_waitcnt lgkmcnt(0)
	s_mov_b32 s7, exec_lo
	s_delay_alu instid0(VALU_DEP_1)
	v_lshlrev_b32_e32 v65, 1, v1
	v_cmpx_gt_u32_e32 64, v0
	s_cbranch_execz .LBB1069_10
; %bb.9:
	v_lshl_or_b32 v5, v68, 1, v66
	s_load_b64 s[18:19], s[0:1], 0x0
	s_mul_hi_i32 s21, s13, s4
	s_mul_i32 s20, s13, s4
	v_lshlrev_b32_e32 v6, 10, v69
	v_or_b32_e32 v1, s31, v5
	s_lshl_b64 s[20:21], s[20:21], 1
	v_lshlrev_b32_e32 v5, 6, v5
	v_lshlrev_b32_e32 v7, 10, v67
	v_and_b32_e32 v6, 0x3800, v6
	v_lshlrev_b32_e32 v1, 7, v1
	s_delay_alu instid0(VALU_DEP_2) | instskip(NEXT) | instid1(VALU_DEP_2)
	v_or3_b32 v5, v6, v7, v5
	v_ashrrev_i32_e32 v2, 31, v1
	s_delay_alu instid0(VALU_DEP_1) | instskip(SKIP_3) | instid1(VALU_DEP_1)
	v_lshlrev_b64 v[1:2], 1, v[1:2]
	s_waitcnt lgkmcnt(0)
	s_add_u32 s4, s18, s20
	s_addc_u32 s13, s19, s21
	v_add_co_u32 v1, vcc_lo, s4, v1
	s_delay_alu instid0(VALU_DEP_2) | instskip(NEXT) | instid1(VALU_DEP_2)
	v_add_co_ci_u32_e32 v2, vcc_lo, s13, v2, vcc_lo
	v_add_co_u32 v1, vcc_lo, v1, v65
	s_delay_alu instid0(VALU_DEP_2)
	v_add_co_ci_u32_e32 v2, vcc_lo, 0, v2, vcc_lo
	global_load_b128 v[1:4], v[1:2], off
	s_waitcnt vmcnt(0)
	ds_store_b128 v5, v[1:4]
.LBB1069_10:
	s_or_b32 exec_lo, exec_lo, s7
	v_and_b32_e32 v1, 0xef, v0
	s_add_i32 s4, s17, 31
	s_clause 0x1
	s_load_b32 s7, s[0:1], 0x38
	s_load_b32 s33, s[0:1], 0x98
	s_ashr_i32 s13, s4, 31
	v_add_nc_u32_e32 v1, s12, v1
	s_lshr_b32 s13, s13, 27
	s_load_b32 s18, s[0:1], 0x1c
	s_add_i32 s4, s4, s13
	s_waitcnt lgkmcnt(0)
	v_ashrrev_i32_e32 v2, 31, v1
	v_or_b32_e32 v3, 16, v1
	s_ashr_i32 s4, s4, 5
	v_cmp_gt_i32_e32 vcc_lo, s17, v1
	s_add_i32 s4, s4, -1
	v_lshrrev_b32_e32 v2, 27, v2
	s_barrier
	buffer_gl0_inv
	s_mul_i32 s15, s15, s6
	v_add_nc_u32_e32 v4, v1, v2
	s_mul_i32 s20, s30, s7
	s_delay_alu instid0(SALU_CYCLE_1) | instskip(NEXT) | instid1(VALU_DEP_1)
	s_ashr_i32 s21, s20, 31
	v_ashrrev_i32_e32 v4, 5, v4
	v_add_nc_u32_e32 v2, v3, v2
	s_lshl_b64 s[20:21], s[20:21], 2
	s_delay_alu instid0(SALU_CYCLE_1) | instskip(NEXT) | instid1(VALU_DEP_2)
	s_add_u32 s13, s2, s20
	v_cndmask_b32_e32 v1, s4, v4, vcc_lo
	s_delay_alu instid0(VALU_DEP_2)
	v_ashrrev_i32_e32 v2, 5, v2
	v_cmp_gt_i32_e32 vcc_lo, s17, v3
	s_addc_u32 s16, s3, s21
	s_ashr_i32 s19, s15, 31
	s_add_u32 s2, s8, s15
	s_addc_u32 s3, s9, s19
	v_cndmask_b32_e32 v3, s4, v2, vcc_lo
	v_ashrrev_i32_e32 v2, 31, v1
	s_lshl_b32 s6, s14, 3
	s_delay_alu instid0(SALU_CYCLE_1) | instskip(NEXT) | instid1(VALU_DEP_2)
	s_ashr_i32 s7, s6, 31
	v_ashrrev_i32_e32 v4, 31, v3
	s_delay_alu instid0(VALU_DEP_2) | instskip(SKIP_1) | instid1(SALU_CYCLE_1)
	v_lshlrev_b64 v[1:2], 2, v[1:2]
	s_lshl_b64 s[6:7], s[6:7], 2
	s_add_u32 s6, s13, s6
	s_delay_alu instid0(VALU_DEP_2) | instskip(SKIP_1) | instid1(VALU_DEP_2)
	v_lshlrev_b64 v[3:4], 2, v[3:4]
	s_addc_u32 s7, s16, s7
	v_add_co_u32 v1, vcc_lo, s13, v1
	v_add_co_ci_u32_e32 v2, vcc_lo, s16, v2, vcc_lo
	s_delay_alu instid0(VALU_DEP_3) | instskip(NEXT) | instid1(VALU_DEP_4)
	v_add_co_u32 v3, vcc_lo, s13, v3
	v_add_co_ci_u32_e32 v4, vcc_lo, s16, v4, vcc_lo
	s_clause 0x1
	global_load_b32 v5, v[1:2], off
	global_load_b32 v6, v[3:4], off
	s_or_b32 s8, s12, 32
	s_delay_alu instid0(SALU_CYCLE_1) | instskip(SKIP_2) | instid1(SALU_CYCLE_1)
	s_ashr_i32 s9, s8, 5
	s_cmp_lt_i32 s8, s17
	s_cselect_b32 s8, s9, s4
	s_ashr_i32 s9, s8, 31
	s_delay_alu instid0(SALU_CYCLE_1) | instskip(NEXT) | instid1(SALU_CYCLE_1)
	s_lshl_b64 s[8:9], s[8:9], 2
	s_add_u32 s8, s13, s8
	s_addc_u32 s9, s16, s9
	s_or_b32 s20, s12, 64
	s_delay_alu instid0(SALU_CYCLE_1) | instskip(SKIP_2) | instid1(SALU_CYCLE_1)
	s_ashr_i32 s21, s20, 5
	s_cmp_lt_i32 s20, s17
	s_cselect_b32 s20, s21, s4
	s_ashr_i32 s21, s20, 31
	s_delay_alu instid0(SALU_CYCLE_1) | instskip(NEXT) | instid1(SALU_CYCLE_1)
	s_lshl_b64 s[20:21], s[20:21], 2
	s_add_u32 s20, s13, s20
	s_addc_u32 s21, s16, s21
	;; [unrolled: 10-line block ×5, first 2 shown]
	s_clause 0x5
	s_load_b32 s28, s[6:7], 0x0
	s_load_b32 s8, s[8:9], 0x0
	;; [unrolled: 1-line block ×6, first 2 shown]
	s_mov_b32 s20, 0
	s_delay_alu instid0(SALU_CYCLE_1)
	s_mov_b32 s21, s20
	s_mov_b32 s22, s20
	;; [unrolled: 1-line block ×7, first 2 shown]
	s_delay_alu instid0(SALU_CYCLE_1)
	v_dual_mov_b32 v102, s27 :: v_dual_mov_b32 v101, s26
	v_dual_mov_b32 v100, s25 :: v_dual_mov_b32 v99, s24
	v_mov_b32_e32 v97, s22
	v_dual_mov_b32 v95, s20 :: v_dual_mov_b32 v98, s23
	v_mov_b32_e32 v96, s21
	s_waitcnt vmcnt(1)
	v_mad_i64_i32 v[1:2], null, v5, s5, s[2:3]
	v_lshlrev_b32_e32 v5, 4, v69
	s_waitcnt vmcnt(0)
	v_mad_i64_i32 v[3:4], null, v6, s5, s[2:3]
	s_or_b32 s2, s12, 0xc0
	s_delay_alu instid0(SALU_CYCLE_1) | instskip(NEXT) | instid1(VALU_DEP_3)
	s_ashr_i32 s3, s2, 5
	v_add_co_u32 v33, vcc_lo, v1, v5
	s_delay_alu instid0(VALU_DEP_4) | instskip(NEXT) | instid1(VALU_DEP_3)
	v_add_co_ci_u32_e32 v34, vcc_lo, 0, v2, vcc_lo
	v_add_co_u32 v35, vcc_lo, v3, v5
	s_delay_alu instid0(VALU_DEP_4)
	v_add_co_ci_u32_e32 v36, vcc_lo, 0, v4, vcc_lo
	s_clause 0xf
	global_load_b128 v[1:4], v[33:34], off
	global_load_b128 v[5:8], v[33:34], off offset:512
	global_load_b128 v[9:12], v[35:36], off offset:256
	;; [unrolled: 1-line block ×15, first 2 shown]
	s_cmp_lt_i32 s2, s17
	v_and_b32_e32 v33, 3, v0
	s_cselect_b32 s2, s3, s4
	v_lshlrev_b32_e32 v34, 5, v69
	s_ashr_i32 s3, s2, 31
	s_delay_alu instid0(SALU_CYCLE_1)
	s_lshl_b64 s[2:3], s[2:3], 2
	v_lshlrev_b32_e32 v139, 6, v33
	s_add_u32 s2, s13, s2
	s_addc_u32 s3, s16, s3
	s_or_b32 s6, s12, 0xe0
	v_lshl_or_b32 v41, v68, 9, v34
	s_ashr_i32 s7, s6, 5
	s_cmp_lt_i32 s6, s17
	ds_load_b128 v[33:36], v139
	ds_load_b128 v[37:40], v139 offset:1024
	s_cselect_b32 s6, s7, s4
	ds_load_b128 v[103:106], v139 offset:2048
	ds_load_b128 v[107:110], v139 offset:3072
	s_ashr_i32 s7, s6, 31
	s_load_b32 s4, s[2:3], 0x0
	s_lshl_b64 s[6:7], s[6:7], 2
	ds_load_b128 v[111:114], v139 offset:4096
	ds_load_b128 v[115:118], v139 offset:5120
	s_add_u32 s2, s13, s6
	s_addc_u32 s3, s16, s7
	s_add_u32 s6, s10, s15
	s_load_b32 s2, s[2:3], 0x0
	s_addc_u32 s7, s11, s19
	v_add_co_u32 v127, s6, s6, v41
	s_delay_alu instid0(VALU_DEP_1) | instskip(SKIP_1) | instid1(VALU_DEP_1)
	v_add_co_ci_u32_e64 v128, null, s7, 0, s6
	s_waitcnt lgkmcnt(0)
	v_mad_i64_i32 v[41:42], null, s28, s5, v[127:128]
	v_mad_i64_i32 v[129:130], null, s9, s5, v[127:128]
	;; [unrolled: 1-line block ×7, first 2 shown]
	s_clause 0x3
	global_load_b128 v[49:52], v[41:42], off
	global_load_b128 v[53:56], v[41:42], off offset:16
	global_load_b128 v[41:44], v[45:46], off
	global_load_b128 v[45:48], v[45:46], off offset:16
	s_waitcnt vmcnt(18)
	v_wmma_f32_16x16x16_f16 v[119:126], v[1:8], v[33:40], v[95:102]
	s_waitcnt vmcnt(16)
	v_wmma_f32_16x16x16_f16 v[95:102], v[9:16], v[33:40], v[95:102]
	s_clause 0x3
	global_load_b128 v[33:36], v[129:130], off
	global_load_b128 v[37:40], v[129:130], off offset:16
	global_load_b128 v[1:4], v[131:132], off
	global_load_b128 v[5:8], v[131:132], off offset:16
	s_waitcnt vmcnt(18)
	v_wmma_f32_16x16x16_f16 v[119:126], v[17:24], v[103:110], v[119:126]
	s_clause 0x3
	global_load_b128 v[9:12], v[133:134], off
	global_load_b128 v[13:16], v[133:134], off offset:16
	global_load_b128 v[17:20], v[135:136], off
	global_load_b128 v[21:24], v[135:136], off offset:16
	s_waitcnt vmcnt(20)
	v_wmma_f32_16x16x16_f16 v[95:102], v[25:32], v[103:110], v[95:102]
	v_mad_i64_i32 v[103:104], null, s2, s5, v[127:128]
	s_waitcnt vmcnt(18)
	v_wmma_f32_16x16x16_f16 v[119:126], v[57:64], v[111:118], v[119:126]
	s_clause 0x3
	global_load_b128 v[25:28], v[137:138], off
	global_load_b128 v[29:32], v[137:138], off offset:16
	global_load_b128 v[57:60], v[103:104], off
	global_load_b128 v[61:64], v[103:104], off offset:16
	s_waitcnt vmcnt(20)
	v_wmma_f32_16x16x16_f16 v[95:102], v[71:78], v[111:118], v[95:102]
	ds_load_b128 v[71:74], v139 offset:6144
	ds_load_b128 v[75:78], v139 offset:7168
	v_mbcnt_lo_u32_b32 v104, -1, 0
	s_waitcnt vmcnt(0) lgkmcnt(0)
	s_barrier
	buffer_gl0_inv
	v_xor_b32_e32 v105, 16, v104
	s_delay_alu instid0(VALU_DEP_1) | instskip(SKIP_4) | instid1(VALU_DEP_2)
	v_cmp_gt_i32_e32 vcc_lo, 32, v105
	v_cndmask_b32_e32 v104, v104, v105, vcc_lo
	v_wmma_f32_16x16x16_f16 v[119:126], v[79:86], v[71:78], v[119:126]
	v_and_b32_e32 v103, 0xe0, v0
	v_wmma_f32_16x16x16_f16 v[95:102], v[87:94], v[71:78], v[95:102]
	v_dual_mul_f32 v78, s18, v121 :: v_dual_add_nc_u32 v103, s12, v103
	s_delay_alu instid0(VALU_DEP_2) | instskip(SKIP_1) | instid1(VALU_DEP_3)
	v_dual_mul_f32 v90, s18, v101 :: v_dual_mul_f32 v87, s18, v120
	v_dual_mul_f32 v88, s18, v119 :: v_dual_mul_f32 v77, s18, v122
	v_or_b32_e32 v103, v103, v66
	v_dual_mul_f32 v75, s18, v124 :: v_dual_mul_f32 v94, s18, v97
	v_dual_mul_f32 v76, s18, v123 :: v_dual_mul_f32 v73, s18, v126
	v_mul_f32_e32 v92, s18, v99
	s_delay_alu instid0(VALU_DEP_4)
	v_or_b32_e32 v105, 2, v103
	v_or_b32_e32 v106, 4, v103
	;; [unrolled: 1-line block ×3, first 2 shown]
	v_cmp_gt_i32_e64 s2, s17, v103
	v_or_b32_e32 v108, 8, v103
	v_cmp_gt_i32_e32 vcc_lo, s17, v105
	v_or_b32_e32 v109, 10, v103
	v_cmp_gt_i32_e64 s3, s17, v106
	v_cndmask_b32_e64 v88, 0xff7fffff, v88, s2
	v_cmp_gt_i32_e64 s4, s17, v107
	v_cndmask_b32_e32 v87, 0xff7fffff, v87, vcc_lo
	v_or_b32_e32 v79, 12, v103
	v_or_b32_e32 v80, 14, v103
	v_cndmask_b32_e64 v78, 0xff7fffff, v78, s3
	v_cndmask_b32_e64 v77, 0xff7fffff, v77, s4
	v_max3_f32 v87, v88, 0xff7fffff, v87
	v_cmp_gt_i32_e64 s5, s17, v108
	v_cmp_gt_i32_e64 s6, s17, v109
	v_or_b32_e32 v81, 16, v103
	v_or_b32_e32 v82, 18, v103
	v_mul_f32_e32 v74, s18, v125
	v_cndmask_b32_e64 v76, 0xff7fffff, v76, s5
	v_cndmask_b32_e64 v75, 0xff7fffff, v75, s6
	v_max3_f32 v77, v87, v78, v77
	v_cmp_gt_i32_e64 s7, s17, v79
	v_cmp_gt_i32_e64 s8, s17, v80
	v_or_b32_e32 v83, 20, v103
	v_or_b32_e32 v84, 22, v103
	v_or_b32_e32 v85, 24, v103
	v_or_b32_e32 v86, 26, v103
	v_or_b32_e32 v71, 28, v103
	v_or_b32_e32 v72, 30, v103
	v_mul_f32_e32 v105, s18, v96
	v_mul_f32_e32 v103, s18, v95
	v_cndmask_b32_e64 v74, 0xff7fffff, v74, s7
	v_cndmask_b32_e64 v73, 0xff7fffff, v73, s8
	v_max3_f32 v75, v77, v76, v75
	v_cmp_gt_i32_e64 s9, s17, v81
	v_cmp_gt_i32_e64 s10, s17, v82
	v_mul_f32_e32 v93, s18, v98
	v_cmp_gt_i32_e64 s11, s17, v83
	v_max3_f32 v73, v75, v74, v73
	v_cndmask_b32_e64 v76, 0xff7fffff, v103, s9
	v_cndmask_b32_e64 v77, 0xff7fffff, v105, s10
	v_cmp_gt_i32_e64 s12, s17, v84
	v_mul_f32_e32 v91, s18, v100
	v_cndmask_b32_e64 v74, 0xff7fffff, v94, s11
	v_cmp_gt_i32_e64 s13, s17, v85
	v_max3_f32 v73, v73, v76, v77
	v_cndmask_b32_e64 v75, 0xff7fffff, v93, s12
	v_cmp_gt_i32_e64 s15, s17, v86
	v_mul_f32_e32 v89, s18, v102
	v_cndmask_b32_e64 v76, 0xff7fffff, v92, s13
	v_cmp_gt_i32_e64 s16, s17, v71
	v_max3_f32 v73, v73, v74, v75
	v_cndmask_b32_e64 v77, 0xff7fffff, v91, s15
	v_cmp_gt_i32_e64 s17, s17, v72
	v_lshlrev_b32_e32 v74, 2, v104
	v_cndmask_b32_e64 v71, 0xff7fffff, v90, s16
	s_delay_alu instid0(VALU_DEP_4) | instskip(NEXT) | instid1(VALU_DEP_4)
	v_max3_f32 v73, v73, v76, v77
	v_cndmask_b32_e64 v72, 0xff7fffff, v89, s17
	s_delay_alu instid0(VALU_DEP_1) | instskip(SKIP_3) | instid1(VALU_DEP_1)
	v_max3_f32 v71, v73, v71, v72
	ds_bpermute_b32 v72, v74, v71
	s_waitcnt lgkmcnt(0)
	v_max_f32_e32 v72, v72, v72
	v_max_f32_e32 v71, v71, v72
	s_delay_alu instid0(VALU_DEP_1)
	v_fma_f32 v72, s18, v119, -v71
	v_fma_f32 v76, s18, v122, -v71
	;; [unrolled: 1-line block ×5, first 2 shown]
	v_mul_f32_e32 v72, 0x3fb8aa3b, v72
	v_mul_f32_e32 v76, 0x3fb8aa3b, v76
	v_fma_f32 v75, s18, v121, -v71
	v_mul_f32_e32 v79, 0x3fb8aa3b, v77
	v_mul_f32_e32 v85, 0x3fb8aa3b, v84
	v_exp_f32_e32 v72, v72
	v_exp_f32_e32 v76, v76
	v_fma_f32 v86, s18, v98, -v71
	v_exp_f32_e32 v82, v79
	v_exp_f32_e32 v85, v85
	v_fma_f32 v81, s18, v125, -v71
	s_delay_alu instid0(VALU_DEP_2) | instskip(SKIP_3) | instid1(TRANS32_DEP_3)
	v_mul_f32_e32 v87, 0x3fb8aa3b, v86
	v_cndmask_b32_e64 v78, 0, v72, s2
	v_fma_f32 v72, s18, v124, -v71
	v_mul_f32_e32 v73, 0x3fb8aa3b, v73
	v_cndmask_b32_e64 v79, 0, v76, s4
	v_fma_f32 v76, s18, v95, -v71
	s_delay_alu instid0(VALU_DEP_4) | instskip(NEXT) | instid1(VALU_DEP_4)
	v_dual_mul_f32 v75, 0x3fb8aa3b, v75 :: v_dual_mul_f32 v72, 0x3fb8aa3b, v72
	v_exp_f32_e32 v73, v73
	v_exp_f32_e32 v87, v87
	s_delay_alu instid0(VALU_DEP_2) | instskip(NEXT) | instid1(VALU_DEP_2)
	v_mul_f32_e32 v76, 0x3fb8aa3b, v76
	v_exp_f32_e32 v75, v75
	v_cndmask_b32_e64 v85, 0, v85, s10
	v_mul_f32_e32 v81, 0x3fb8aa3b, v81
	v_exp_f32_e32 v72, v72
	v_cndmask_b32_e64 v82, 0, v82, s5
	v_exp_f32_e32 v76, v76
	s_mov_b32 s2, exec_lo
	v_cndmask_b32_e32 v77, 0, v73, vcc_lo
	v_add_f32_e32 v73, 0, v78
	v_cndmask_b32_e64 v87, 0, v87, s12
	v_cndmask_b32_e64 v80, 0, v75, s3
	v_fma_f32 v75, s18, v126, -v71
	v_exp_f32_e32 v83, v81
	v_add_f32_e32 v73, v73, v77
	v_cndmask_b32_e64 v81, 0, v72, s6
	v_cndmask_b32_e64 v86, 0, v76, s9
	v_mul_f32_e32 v75, 0x3fb8aa3b, v75
	s_delay_alu instid0(VALU_DEP_4) | instskip(NEXT) | instid1(VALU_DEP_2)
	v_add_f32_e32 v73, v73, v80
	v_exp_f32_e32 v75, v75
	s_delay_alu instid0(TRANS32_DEP_2) | instskip(NEXT) | instid1(VALU_DEP_2)
	v_cndmask_b32_e64 v84, 0, v83, s7
	v_add_f32_e32 v73, v73, v79
	s_delay_alu instid0(VALU_DEP_1) | instskip(SKIP_3) | instid1(VALU_DEP_1)
	v_add_f32_e32 v72, v73, v82
	s_waitcnt_depctr 0xfff
	v_cndmask_b32_e64 v83, 0, v75, s8
	v_add_f32_e32 v72, v72, v81
	v_add_f32_e32 v72, v72, v84
	s_delay_alu instid0(VALU_DEP_1) | instskip(NEXT) | instid1(VALU_DEP_1)
	v_add_f32_e32 v72, v72, v83
	v_add_f32_e32 v72, v72, v86
	v_fma_f32 v73, s18, v97, -v71
	v_fma_f32 v75, s18, v99, -v71
	;; [unrolled: 1-line block ×4, first 2 shown]
	v_add_f32_e32 v72, v72, v85
	v_mul_f32_e32 v73, 0x3fb8aa3b, v73
	s_delay_alu instid0(VALU_DEP_4) | instskip(NEXT) | instid1(VALU_DEP_2)
	v_dual_mul_f32 v75, 0x3fb8aa3b, v75 :: v_dual_mul_f32 v76, 0x3fb8aa3b, v76
	v_exp_f32_e32 v73, v73
	s_delay_alu instid0(VALU_DEP_1) | instskip(NEXT) | instid1(VALU_DEP_1)
	v_exp_f32_e32 v75, v75
	v_exp_f32_e32 v76, v76
	s_delay_alu instid0(TRANS32_DEP_3)
	v_cndmask_b32_e64 v88, 0, v73, s11
	v_mul_f32_e32 v73, 0x3fb8aa3b, v89
	v_fma_f32 v89, s18, v102, -v71
	s_waitcnt_depctr 0xfff
	v_cndmask_b32_e64 v90, 0, v75, s13
	v_add_f32_e32 v72, v72, v88
	v_exp_f32_e32 v73, v73
	v_mul_f32_e32 v75, 0x3fb8aa3b, v89
	v_cndmask_b32_e64 v89, 0, v76, s15
	s_delay_alu instid0(VALU_DEP_3) | instskip(NEXT) | instid1(VALU_DEP_3)
	v_add_f32_e32 v72, v72, v87
	v_exp_f32_e32 v75, v75
	s_delay_alu instid0(VALU_DEP_1) | instskip(SKIP_4) | instid1(VALU_DEP_2)
	v_add_f32_e32 v72, v72, v90
	s_waitcnt_depctr 0xfff
	v_cndmask_b32_e64 v92, 0, v73, s16
	v_add_f32_e32 v72, v72, v89
	v_cndmask_b32_e64 v91, 0, v75, s17
	v_add_f32_e32 v72, v72, v92
	s_delay_alu instid0(VALU_DEP_1)
	v_add_f32_e32 v72, v72, v91
	ds_bpermute_b32 v73, v74, v72
	v_cmpx_gt_u32_e32 16, v70
	s_cbranch_execz .LBB1069_12
; %bb.11:
	v_mul_u32_u24_e32 v70, 0x44, v68
	s_waitcnt lgkmcnt(0)
	v_add_f32_e32 v72, v72, v73
	s_delay_alu instid0(VALU_DEP_2) | instskip(NEXT) | instid1(VALU_DEP_1)
	v_lshl_add_u32 v70, v69, 2, v70
	v_add_nc_u32_e32 v70, 0x4000, v70
	ds_store_2addr_b32 v70, v71, v72 offset1:136
.LBB1069_12:
	s_or_b32 exec_lo, exec_lo, s2
	v_lshlrev_b32_e32 v70, 2, v69
	s_load_b32 s34, s[0:1], 0x94
	s_waitcnt lgkmcnt(0)
	s_barrier
	buffer_gl0_inv
	v_add_nc_u32_e32 v74, 0x4000, v70
	v_cmp_eq_u32_e32 vcc_lo, 1, v68
	v_cmp_eq_u32_e64 s2, 2, v68
	v_cmp_eq_u32_e64 s3, 3, v68
	;; [unrolled: 1-line block ×3, first 2 shown]
	ds_load_2addr_b32 v[70:71], v74 offset1:17
	ds_load_2addr_b32 v[72:73], v74 offset0:34 offset1:51
	ds_load_2addr_b32 v[93:94], v74 offset0:68 offset1:85
	;; [unrolled: 1-line block ×3, first 2 shown]
	v_cmp_eq_u32_e64 s5, 5, v68
	v_cmp_eq_u32_e64 s6, 7, v68
	s_waitcnt lgkmcnt(3)
	v_max3_f32 v75, v70, 0xff7fffff, v71
	s_waitcnt lgkmcnt(2)
	s_delay_alu instid0(VALU_DEP_1) | instskip(SKIP_1) | instid1(VALU_DEP_1)
	v_max3_f32 v75, v75, v72, v73
	s_waitcnt lgkmcnt(1)
	v_max3_f32 v75, v75, v93, v94
	s_waitcnt lgkmcnt(0)
	s_delay_alu instid0(VALU_DEP_1) | instskip(NEXT) | instid1(VALU_DEP_1)
	v_max3_f32 v75, v75, v95, v96
	v_sub_f32_e32 v93, v93, v75
	ds_load_2addr_b32 v[97:98], v74 offset0:136 offset1:153
	v_sub_f32_e32 v70, v70, v75
	v_dual_sub_f32 v100, v73, v75 :: v_dual_mul_f32 v103, 0x3fb8aa3b, v93
	s_delay_alu instid0(VALU_DEP_2) | instskip(SKIP_3) | instid1(VALU_DEP_1)
	v_dual_sub_f32 v76, v71, v75 :: v_dual_mul_f32 v99, 0x3fb8aa3b, v70
	ds_load_2addr_b32 v[70:71], v74 offset0:170 offset1:187
	v_mul_f32_e32 v76, 0x3fb8aa3b, v76
	v_exp_f32_e32 v99, v99
	v_exp_f32_e32 v102, v76
	v_mul_f32_e32 v100, 0x3fb8aa3b, v100
	s_waitcnt lgkmcnt(1)
	s_waitcnt_depctr 0xfff
	v_fma_f32 v76, v99, v97, 0
	v_sub_f32_e32 v97, v94, v75
	v_sub_f32_e32 v72, v72, v75
	v_exp_f32_e32 v100, v100
	ds_load_2addr_b32 v[93:94], v74 offset0:238 offset1:255
	v_dual_fmac_f32 v76, v102, v98 :: v_dual_mul_f32 v101, 0x3fb8aa3b, v72
	ds_load_2addr_b32 v[72:73], v74 offset0:204 offset1:221
	v_dual_sub_f32 v74, v95, v75 :: v_dual_mul_f32 v95, 0x3fb8aa3b, v97
	v_exp_f32_e32 v97, v103
	v_exp_f32_e32 v101, v101
	s_waitcnt lgkmcnt(0)
	s_barrier
	v_exp_f32_e32 v95, v95
	buffer_gl0_inv
	v_fmac_f32_e32 v76, v101, v70
	v_sub_f32_e32 v70, v96, v75
	s_delay_alu instid0(VALU_DEP_2) | instskip(NEXT) | instid1(VALU_DEP_2)
	v_fmac_f32_e32 v76, v100, v71
	v_mul_f32_e32 v70, 0x3fb8aa3b, v70
	s_delay_alu instid0(VALU_DEP_2)
	v_dual_cndmask_b32 v71, v99, v102 :: v_dual_fmac_f32 v76, v97, v72
	v_lshlrev_b32_e32 v72, 6, v69
	v_lshlrev_b32_e32 v69, 2, v66
	v_mul_f32_e32 v74, 0x3fb8aa3b, v74
	v_exp_f32_e32 v98, v70
	v_fmac_f32_e32 v76, v95, v73
	s_delay_alu instid0(VALU_DEP_3) | instskip(NEXT) | instid1(VALU_DEP_3)
	v_cmp_eq_u32_e64 s7, 7, v69
	v_exp_f32_e32 v96, v74
	v_lshl_or_b32 v74, v68, 11, v72
	s_waitcnt_depctr 0xfff
	v_fmac_f32_e32 v76, v96, v93
	s_delay_alu instid0(VALU_DEP_1) | instskip(NEXT) | instid1(VALU_DEP_1)
	v_fmac_f32_e32 v76, v98, v94
	v_add_f32_e32 v73, 0x358637bd, v76
	s_delay_alu instid0(VALU_DEP_1) | instskip(SKIP_1) | instid1(VALU_DEP_2)
	v_div_scale_f32 v93, null, v73, v73, 1.0
	v_div_scale_f32 v99, vcc_lo, 1.0, v73, 1.0
	v_rcp_f32_e32 v94, v93
	s_waitcnt_depctr 0xfff
	v_fma_f32 v70, -v93, v94, 1.0
	s_delay_alu instid0(VALU_DEP_1)
	v_fmac_f32_e32 v94, v70, v94
	v_cndmask_b32_e64 v70, v71, v101, s2
	v_cmp_eq_u32_e64 s2, 6, v68
	v_or_b32_e32 v71, 1, v69
	v_or_b32_e32 v68, 2, v69
	v_mul_f32_e32 v101, v99, v94
	v_cndmask_b32_e64 v70, v70, v100, s3
	v_cmp_eq_u32_e64 s3, 1, v69
	v_cmp_eq_u32_e64 s8, 1, v71
	;; [unrolled: 1-line block ×3, first 2 shown]
	v_fma_f32 v100, -v93, v101, v99
	v_cndmask_b32_e64 v70, v70, v97, s4
	v_cmp_eq_u32_e64 s4, 2, v69
	v_cmp_eq_u32_e64 s11, 2, v71
	;; [unrolled: 1-line block ×3, first 2 shown]
	v_fmac_f32_e32 v101, v100, v94
	v_cndmask_b32_e64 v95, v70, v95, s5
	v_or_b32_e32 v70, 3, v69
	v_cmp_eq_u32_e64 s12, 3, v71
	v_cmp_eq_u32_e64 s16, 3, v68
	v_fma_f32 v93, -v93, v101, v99
	v_cndmask_b32_e64 v95, v95, v96, s2
	v_cmp_eq_u32_e64 s10, 1, v70
	v_cmp_eq_u32_e64 s15, 2, v70
	;; [unrolled: 1-line block ×3, first 2 shown]
	v_div_fmas_f32 v93, v93, v94, v101
	v_cndmask_b32_e64 v94, v95, v98, s6
	v_cmp_eq_u32_e32 vcc_lo, 3, v69
	v_cmp_eq_u32_e64 s2, 4, v69
	v_cmp_eq_u32_e64 s18, 4, v71
	v_div_fixup_f32 v93, v93, v73, 1.0
	v_lshl_or_b32 v73, v66, 4, v74
	v_cmp_eq_u32_e64 s21, 4, v70
	v_cmp_eq_u32_e64 s5, 5, v69
	;; [unrolled: 1-line block ×3, first 2 shown]
	v_mul_f32_e32 v101, v94, v93
	v_cmp_eq_u32_e64 s20, 4, v68
	v_cmp_eq_u32_e64 s23, 5, v70
	v_cmp_eq_u32_e64 s22, 5, v68
	v_cmp_eq_u32_e64 s24, 6, v71
	v_fma_mixlo_f16 v93, v101, v78, 0
	v_fma_mixlo_f16 v94, v101, v80, 0
	;; [unrolled: 1-line block ×8, first 2 shown]
	v_fma_mixhi_f16 v93, v101, v77, 0
	v_fma_mixhi_f16 v94, v101, v79, 0
	;; [unrolled: 1-line block ×8, first 2 shown]
	ds_store_b128 v73, v[93:96]
	ds_store_b128 v73, v[97:100] offset:1024
	s_waitcnt lgkmcnt(0)
	s_barrier
	buffer_gl0_inv
	ds_load_b128 v[77:80], v74
	ds_load_b128 v[81:84], v74 offset:16
	ds_load_b128 v[85:88], v74 offset:1024
	;; [unrolled: 1-line block ×3, first 2 shown]
	v_cmp_eq_u32_e64 s26, 6, v70
	v_cmp_eq_u32_e64 s6, 6, v69
	;; [unrolled: 1-line block ×6, first 2 shown]
	s_waitcnt lgkmcnt(3)
	v_lshrrev_b32_e32 v93, 16, v77
	s_waitcnt lgkmcnt(2)
	v_lshrrev_b32_e32 v97, 16, v81
	;; [unrolled: 2-line block ×4, first 2 shown]
	v_lshrrev_b32_e32 v94, 16, v78
	v_cndmask_b32_e64 v109, v77, v93, s3
	v_cndmask_b32_e64 v110, v81, v97, s3
	;; [unrolled: 1-line block ×8, first 2 shown]
	v_lshrrev_b32_e32 v98, 16, v82
	v_cndmask_b32_e64 v93, v85, v101, s3
	v_cndmask_b32_e64 v97, v89, v105, s3
	;; [unrolled: 1-line block ×15, first 2 shown]
	v_lshrrev_b32_e32 v102, 16, v86
	v_lshrrev_b32_e32 v106, 16, v90
	v_cndmask_b32_e64 v112, v114, v82, s13
	v_cndmask_b32_e64 v81, v93, v86, s4
	;; [unrolled: 1-line block ×7, first 2 shown]
	v_cndmask_b32_e32 v89, v101, v94, vcc_lo
	v_cndmask_b32_e32 v101, v105, v98, vcc_lo
	v_cndmask_b32_e64 v105, v109, v94, s12
	v_cndmask_b32_e64 v109, v110, v98, s12
	;; [unrolled: 1-line block ×4, first 2 shown]
	v_lshrrev_b32_e32 v95, 16, v79
	v_lshrrev_b32_e32 v99, 16, v83
	v_cndmask_b32_e64 v110, v111, v94, s16
	v_cndmask_b32_e64 v111, v112, v98, s16
	v_cndmask_b32_e32 v81, v81, v102, vcc_lo
	v_cndmask_b32_e32 v82, v82, v106, vcc_lo
	v_cndmask_b32_e64 v93, v93, v102, s12
	v_cndmask_b32_e64 v89, v89, v79, s2
	;; [unrolled: 1-line block ×7, first 2 shown]
	v_lshrrev_b32_e32 v103, 16, v87
	v_cndmask_b32_e64 v105, v110, v79, s20
	v_cndmask_b32_e64 v109, v111, v83, s20
	;; [unrolled: 1-line block ×11, first 2 shown]
	v_lshrrev_b32_e32 v96, 16, v80
	v_lshrrev_b32_e32 v100, 16, v84
	v_cndmask_b32_e64 v98, v105, v95, s22
	v_cndmask_b32_e64 v101, v109, v99, s22
	v_cndmask_b32_e64 v82, v82, v103, s19
	v_cndmask_b32_e64 v93, v93, v80, s24
	v_cndmask_b32_e64 v94, v94, v84, s24
	v_cndmask_b32_e64 v77, v77, v80, s26
	v_cndmask_b32_e64 v78, v78, v84, s26
	v_lshrrev_b32_e32 v104, 16, v88
	v_cndmask_b32_e64 v79, v79, v103, s5
	v_cndmask_b32_e64 v83, v83, v80, s6
	;; [unrolled: 1-line block ×16, first 2 shown]
	v_perm_b32 v80, v78, v77, 0x5040100
	v_perm_b32 v78, v94, v84, 0x5040100
	v_cndmask_b32_e64 v77, v118, v90, s13
	v_cndmask_b32_e64 v84, v116, v90, s11
	;; [unrolled: 1-line block ×3, first 2 shown]
	v_perm_b32 v79, v93, v89, 0x5040100
	v_cndmask_b32_e64 v89, v97, v102, s16
	v_cndmask_b32_e64 v85, v85, v102, s17
	;; [unrolled: 1-line block ×5, first 2 shown]
	v_lshrrev_b32_e32 v107, 16, v91
	v_cndmask_b32_e64 v89, v89, v87, s20
	v_cndmask_b32_e64 v85, v85, v87, s21
	;; [unrolled: 1-line block ×11, first 2 shown]
	v_lshrrev_b32_e32 v108, 16, v92
	v_cndmask_b32_e64 v81, v81, v92, s6
	v_cndmask_b32_e64 v87, v87, v88, s25
	;; [unrolled: 1-line block ×12, first 2 shown]
	v_perm_b32 v77, v83, v82, 0x5040100
	v_perm_b32 v84, v86, v85, 0x5040100
	;; [unrolled: 1-line block ×5, first 2 shown]
	s_lshl_b32 s7, s33, 2
	s_mov_b32 s2, exec_lo
	ds_store_b128 v73, v[77:80]
	ds_store_b128 v73, v[81:84] offset:1024
	v_cmpx_gt_u32_e32 4, v0
	s_cbranch_execz .LBB1069_14
; %bb.13:
	v_or_b32_e32 v77, s31, v0
	s_load_b128 s[8:11], s[0:1], 0x58
	s_delay_alu instid0(VALU_DEP_1) | instskip(NEXT) | instid1(VALU_DEP_1)
	v_mad_u64_u32 v[78:79], null, s7, s30, v[77:78]
	v_mad_u64_u32 v[79:80], null, v78, s34, s[14:15]
	s_delay_alu instid0(VALU_DEP_1) | instskip(NEXT) | instid1(VALU_DEP_1)
	v_ashrrev_i32_e32 v80, 31, v79
	v_lshlrev_b64 v[77:78], 2, v[79:80]
	s_waitcnt lgkmcnt(0)
	s_delay_alu instid0(VALU_DEP_1) | instskip(NEXT) | instid1(VALU_DEP_2)
	v_add_co_u32 v79, vcc_lo, s10, v77
	v_add_co_ci_u32_e32 v80, vcc_lo, s11, v78, vcc_lo
	v_add_co_u32 v77, vcc_lo, s8, v77
	v_add_co_ci_u32_e32 v78, vcc_lo, s9, v78, vcc_lo
	global_store_b32 v[79:80], v75, off
	global_store_b32 v[77:78], v76, off
.LBB1069_14:
	s_or_b32 exec_lo, exec_lo, s2
	s_waitcnt lgkmcnt(0)
	s_waitcnt_vscnt null, 0x0
	s_barrier
	buffer_gl0_inv
	ds_load_b128 v[83:86], v72
	ds_load_b128 v[87:90], v72 offset:16
	ds_load_b128 v[95:98], v72 offset:2064
	;; [unrolled: 1-line block ×5, first 2 shown]
	v_cmp_eq_u32_e32 vcc_lo, 1, v69
	v_mov_b32_e32 v75, 0
	ds_load_b128 v[111:114], v72 offset:6160
	ds_load_b128 v[107:110], v72 offset:6144
	;; [unrolled: 1-line block ×4, first 2 shown]
	v_cmp_eq_u32_e64 s3, 1, v68
	v_cmp_eq_u32_e64 s2, 1, v71
	v_cmp_eq_u32_e64 s4, 2, v71
	v_mov_b32_e32 v76, v75
	v_mov_b32_e32 v77, v75
	;; [unrolled: 1-line block ×7, first 2 shown]
	v_cmp_eq_u32_e64 s5, 3, v71
	v_cmp_eq_u32_e64 s6, 7, v71
	s_waitcnt lgkmcnt(8)
	s_delay_alu instid0(VALU_DEP_3)
	v_wmma_f32_16x16x16_f16 v[75:82], v[49:56], v[83:90], v[75:82]
	ds_load_b128 v[53:56], v72 offset:10256
	ds_load_b128 v[49:52], v72 offset:10240
	s_waitcnt lgkmcnt(8)
	v_wmma_f32_16x16x16_f16 v[75:82], v[41:48], v[91:98], v[75:82]
	ds_load_b128 v[45:48], v72 offset:12304
	ds_load_b128 v[41:44], v72 offset:12288
	s_waitcnt lgkmcnt(8)
	;; [unrolled: 4-line block ×3, first 2 shown]
	s_barrier
	buffer_gl0_inv
	v_wmma_f32_16x16x16_f16 v[75:82], v[1:8], v[107:114], v[75:82]
	s_delay_alu instid0(VALU_DEP_1) | instskip(NEXT) | instid1(VALU_DEP_1)
	v_wmma_f32_16x16x16_f16 v[75:82], v[9:16], v[115:122], v[75:82]
	v_wmma_f32_16x16x16_f16 v[75:82], v[17:24], v[49:56], v[75:82]
	s_delay_alu instid0(VALU_DEP_1) | instskip(NEXT) | instid1(VALU_DEP_1)
	v_wmma_f32_16x16x16_f16 v[75:82], v[25:32], v[41:48], v[75:82]
	v_wmma_f32_16x16x16_f16 v[75:82], v[57:64], v[33:40], v[75:82]
	s_delay_alu instid0(VALU_DEP_1) | instskip(NEXT) | instid1(VALU_DEP_2)
	v_cvt_f16_f32_e32 v1, v75
	v_cvt_f16_f32_e32 v2, v76
	s_delay_alu instid0(VALU_DEP_3) | instskip(NEXT) | instid1(VALU_DEP_4)
	v_cvt_f16_f32_e32 v3, v77
	v_cvt_f16_f32_e32 v4, v78
	;; [unrolled: 1-line block ×6, first 2 shown]
	v_pack_b32_f16 v1, v1, v2
	v_pack_b32_f16 v2, v3, v4
	;; [unrolled: 1-line block ×3, first 2 shown]
	s_delay_alu instid0(VALU_DEP_4)
	v_pack_b32_f16 v4, v7, v8
	ds_store_b128 v73, v[1:4]
	s_waitcnt lgkmcnt(0)
	s_barrier
	buffer_gl0_inv
	ds_load_b128 v[1:4], v74
	ds_load_b128 v[5:8], v74 offset:16
	s_waitcnt lgkmcnt(1)
	v_lshrrev_b32_e32 v9, 16, v1
	s_waitcnt lgkmcnt(0)
	v_lshrrev_b32_e32 v13, 16, v5
	v_lshrrev_b32_e32 v10, 16, v2
	;; [unrolled: 1-line block ×4, first 2 shown]
	v_cndmask_b32_e32 v17, v1, v9, vcc_lo
	v_cndmask_b32_e32 v18, v5, v13, vcc_lo
	v_cndmask_b32_e64 v21, v1, v9, s3
	v_cmp_eq_u32_e32 vcc_lo, 1, v70
	v_cndmask_b32_e64 v22, v5, v13, s3
	v_cmp_eq_u32_e64 s3, 2, v69
	v_cndmask_b32_e64 v19, v1, v9, s2
	v_cndmask_b32_e64 v20, v5, v13, s2
	v_cndmask_b32_e32 v1, v1, v9, vcc_lo
	v_cmp_eq_u32_e64 s2, 2, v70
	v_cndmask_b32_e32 v5, v5, v13, vcc_lo
	v_cndmask_b32_e64 v9, v17, v2, s3
	v_cmp_eq_u32_e32 vcc_lo, 3, v69
	v_cndmask_b32_e64 v13, v18, v6, s3
	v_cmp_eq_u32_e64 s3, 2, v68
	v_cndmask_b32_e64 v17, v19, v2, s4
	v_cndmask_b32_e64 v18, v20, v6, s4
	v_cmp_eq_u32_e64 s4, 3, v68
	v_cndmask_b32_e64 v1, v1, v2, s2
	v_cndmask_b32_e64 v19, v21, v2, s3
	;; [unrolled: 1-line block ×4, first 2 shown]
	v_cndmask_b32_e32 v5, v9, v10, vcc_lo
	v_cndmask_b32_e32 v6, v13, v14, vcc_lo
	v_cmp_eq_u32_e32 vcc_lo, 3, v70
	v_cndmask_b32_e64 v9, v17, v10, s5
	v_cndmask_b32_e64 v13, v18, v14, s5
	;; [unrolled: 1-line block ×3, first 2 shown]
	v_cmp_eq_u32_e64 s3, 4, v69
	v_cndmask_b32_e32 v1, v1, v10, vcc_lo
	v_cndmask_b32_e32 v2, v2, v14, vcc_lo
	v_cmp_eq_u32_e32 vcc_lo, 4, v71
	v_lshrrev_b32_e32 v15, 16, v7
	v_lshrrev_b32_e32 v16, 16, v8
	v_cndmask_b32_e64 v17, v19, v10, s4
	v_cmp_eq_u32_e64 s2, 4, v70
	v_cndmask_b32_e64 v5, v5, v3, s3
	v_cndmask_b32_e64 v6, v6, v7, s3
	v_cndmask_b32_e32 v9, v9, v3, vcc_lo
	v_cmp_eq_u32_e64 s3, 5, v71
	v_cndmask_b32_e32 v10, v13, v7, vcc_lo
	v_cmp_eq_u32_e32 vcc_lo, 4, v68
	v_cmp_eq_u32_e64 s4, 5, v69
	v_cndmask_b32_e64 v2, v2, v7, s2
	v_cndmask_b32_e64 v9, v9, v11, s3
	v_cndmask_b32_e64 v10, v10, v15, s3
	v_cndmask_b32_e32 v13, v17, v3, vcc_lo
	v_cmp_eq_u32_e64 s3, 5, v68
	v_cndmask_b32_e32 v14, v18, v7, vcc_lo
	v_cndmask_b32_e64 v1, v1, v3, s2
	v_cmp_eq_u32_e32 vcc_lo, 5, v70
	v_lshrrev_b32_e32 v12, 16, v4
	v_cndmask_b32_e64 v13, v13, v11, s3
	v_cndmask_b32_e64 v3, v14, v15, s3
	v_cmp_eq_u32_e64 s3, 6, v70
	v_cndmask_b32_e32 v1, v1, v11, vcc_lo
	v_cndmask_b32_e64 v5, v5, v11, s4
	v_cmp_eq_u32_e64 s5, 6, v69
	v_cndmask_b32_e64 v6, v6, v15, s4
	v_cmp_eq_u32_e64 s4, 6, v71
	v_cmp_eq_u32_e64 s2, 6, v68
	v_cndmask_b32_e64 v1, v1, v4, s3
	v_cndmask_b32_e32 v2, v2, v15, vcc_lo
	v_cmp_eq_u32_e32 vcc_lo, 7, v70
	v_cndmask_b32_e64 v5, v5, v4, s5
	v_cndmask_b32_e64 v9, v9, v4, s4
	;; [unrolled: 1-line block ×3, first 2 shown]
	v_cmp_eq_u32_e64 s5, 7, v69
	v_cndmask_b32_e32 v1, v1, v12, vcc_lo
	v_cndmask_b32_e64 v7, v13, v4, s2
	v_cndmask_b32_e64 v3, v3, v8, s2
	;; [unrolled: 1-line block ×3, first 2 shown]
	v_cmp_eq_u32_e64 s2, 7, v68
	v_cndmask_b32_e64 v4, v10, v8, s4
	v_cndmask_b32_e64 v5, v5, v12, s5
	;; [unrolled: 1-line block ×3, first 2 shown]
	v_cndmask_b32_e32 v2, v2, v16, vcc_lo
	v_cndmask_b32_e64 v7, v7, v12, s2
	v_cndmask_b32_e64 v3, v3, v16, s2
	;; [unrolled: 1-line block ×4, first 2 shown]
	v_perm_b32 v4, v2, v1, 0x5040100
	s_mov_b32 s2, exec_lo
	v_perm_b32 v3, v3, v7, 0x5040100
	v_perm_b32 v2, v8, v9, 0x5040100
	;; [unrolled: 1-line block ×3, first 2 shown]
	ds_store_b128 v73, v[1:4]
	s_waitcnt lgkmcnt(0)
	s_barrier
	buffer_gl0_inv
	v_cmpx_gt_u32_e32 32, v0
	s_cbranch_execz .LBB1069_2
; %bb.15:
	s_load_b64 s[0:1], s[0:1], 0x68
	v_lshlrev_b32_e32 v0, 10, v0
	v_or_b32_e32 v1, s31, v66
	s_lshl_b32 s4, s34, 7
	v_lshlrev_b32_e32 v2, 4, v67
	s_mul_i32 s2, s4, s30
	v_lshlrev_b32_e32 v3, 6, v66
	v_mul_lo_u32 v8, v1, s4
	v_and_b32_e32 v0, 0x3800, v0
	v_or_b32_e32 v1, 2, v1
	s_mul_i32 s2, s2, s7
	s_delay_alu instid0(SALU_CYCLE_1) | instskip(NEXT) | instid1(VALU_DEP_2)
	s_ashr_i32 s3, s2, 31
	v_or3_b32 v4, v0, v2, v3
	s_lshl_b64 s[2:3], s[2:3], 1
	v_mul_lo_u32 v10, v1, s4
	v_ashrrev_i32_e32 v9, 31, v8
	ds_load_b128 v[0:3], v4
	ds_load_b128 v[4:7], v4 offset:128
	s_waitcnt lgkmcnt(0)
	s_add_u32 s2, s0, s2
	s_addc_u32 s3, s1, s3
	s_lshl_b32 s0, s14, 7
	v_ashrrev_i32_e32 v11, 31, v10
	s_ashr_i32 s1, s0, 31
	v_lshlrev_b64 v[8:9], 1, v[8:9]
	s_lshl_b64 s[0:1], s[0:1], 1
	s_delay_alu instid0(SALU_CYCLE_1) | instskip(SKIP_2) | instid1(VALU_DEP_1)
	s_add_u32 s0, s2, s0
	s_addc_u32 s1, s3, s1
	v_add_co_u32 v12, s0, s0, v65
	v_add_co_ci_u32_e64 v13, null, s1, 0, s0
	v_lshlrev_b64 v[10:11], 1, v[10:11]
	s_delay_alu instid0(VALU_DEP_3) | instskip(NEXT) | instid1(VALU_DEP_3)
	v_add_co_u32 v8, vcc_lo, v12, v8
	v_add_co_ci_u32_e32 v9, vcc_lo, v13, v9, vcc_lo
	s_delay_alu instid0(VALU_DEP_3) | instskip(NEXT) | instid1(VALU_DEP_4)
	v_add_co_u32 v10, vcc_lo, v12, v10
	v_add_co_ci_u32_e32 v11, vcc_lo, v13, v11, vcc_lo
	s_clause 0x1
	global_store_b128 v[8:9], v[0:3], off
	global_store_b128 v[10:11], v[4:7], off
	s_nop 0
	s_sendmsg sendmsg(MSG_DEALLOC_VGPRS)
	s_endpgm
	.section	.rodata,"a",@progbits
	.p2align	6, 0x0
	.amdhsa_kernel _Z39paged_attention_ll4mi_QKV_mfma16_kernelIDF16_hLN4vllm18Fp8KVCacheDataTypeE1EDF16_Li32ELi128ELi256ELb1ELi4EL8MFMAType1EEvPKT_PKT0_S8_ifPKiSA_SA_iPKfiiiPfSD_PS3_PT2_iSC_SC_
		.amdhsa_group_segment_fixed_size 17472
		.amdhsa_private_segment_fixed_size 0
		.amdhsa_kernarg_size 400
		.amdhsa_user_sgpr_count 13
		.amdhsa_user_sgpr_dispatch_ptr 0
		.amdhsa_user_sgpr_queue_ptr 0
		.amdhsa_user_sgpr_kernarg_segment_ptr 1
		.amdhsa_user_sgpr_dispatch_id 0
		.amdhsa_user_sgpr_private_segment_size 0
		.amdhsa_wavefront_size32 1
		.amdhsa_uses_dynamic_stack 0
		.amdhsa_enable_private_segment 0
		.amdhsa_system_sgpr_workgroup_id_x 1
		.amdhsa_system_sgpr_workgroup_id_y 1
		.amdhsa_system_sgpr_workgroup_id_z 1
		.amdhsa_system_sgpr_workgroup_info 0
		.amdhsa_system_vgpr_workitem_id 0
		.amdhsa_next_free_vgpr 140
		.amdhsa_next_free_sgpr 36
		.amdhsa_reserve_vcc 1
		.amdhsa_float_round_mode_32 0
		.amdhsa_float_round_mode_16_64 0
		.amdhsa_float_denorm_mode_32 3
		.amdhsa_float_denorm_mode_16_64 3
		.amdhsa_dx10_clamp 1
		.amdhsa_ieee_mode 1
		.amdhsa_fp16_overflow 0
		.amdhsa_workgroup_processor_mode 1
		.amdhsa_memory_ordered 1
		.amdhsa_forward_progress 0
		.amdhsa_shared_vgpr_count 0
		.amdhsa_exception_fp_ieee_invalid_op 0
		.amdhsa_exception_fp_denorm_src 0
		.amdhsa_exception_fp_ieee_div_zero 0
		.amdhsa_exception_fp_ieee_overflow 0
		.amdhsa_exception_fp_ieee_underflow 0
		.amdhsa_exception_fp_ieee_inexact 0
		.amdhsa_exception_int_div_zero 0
	.end_amdhsa_kernel
	.section	.text._Z39paged_attention_ll4mi_QKV_mfma16_kernelIDF16_hLN4vllm18Fp8KVCacheDataTypeE1EDF16_Li32ELi128ELi256ELb1ELi4EL8MFMAType1EEvPKT_PKT0_S8_ifPKiSA_SA_iPKfiiiPfSD_PS3_PT2_iSC_SC_,"axG",@progbits,_Z39paged_attention_ll4mi_QKV_mfma16_kernelIDF16_hLN4vllm18Fp8KVCacheDataTypeE1EDF16_Li32ELi128ELi256ELb1ELi4EL8MFMAType1EEvPKT_PKT0_S8_ifPKiSA_SA_iPKfiiiPfSD_PS3_PT2_iSC_SC_,comdat
.Lfunc_end1069:
	.size	_Z39paged_attention_ll4mi_QKV_mfma16_kernelIDF16_hLN4vllm18Fp8KVCacheDataTypeE1EDF16_Li32ELi128ELi256ELb1ELi4EL8MFMAType1EEvPKT_PKT0_S8_ifPKiSA_SA_iPKfiiiPfSD_PS3_PT2_iSC_SC_, .Lfunc_end1069-_Z39paged_attention_ll4mi_QKV_mfma16_kernelIDF16_hLN4vllm18Fp8KVCacheDataTypeE1EDF16_Li32ELi128ELi256ELb1ELi4EL8MFMAType1EEvPKT_PKT0_S8_ifPKiSA_SA_iPKfiiiPfSD_PS3_PT2_iSC_SC_
                                        ; -- End function
	.section	.AMDGPU.csdata,"",@progbits
; Kernel info:
; codeLenInByte = 6504
; NumSgprs: 38
; NumVgprs: 140
; ScratchSize: 0
; MemoryBound: 0
; FloatMode: 240
; IeeeMode: 1
; LDSByteSize: 17472 bytes/workgroup (compile time only)
; SGPRBlocks: 4
; VGPRBlocks: 17
; NumSGPRsForWavesPerEU: 38
; NumVGPRsForWavesPerEU: 140
; Occupancy: 10
; WaveLimiterHint : 1
; COMPUTE_PGM_RSRC2:SCRATCH_EN: 0
; COMPUTE_PGM_RSRC2:USER_SGPR: 13
; COMPUTE_PGM_RSRC2:TRAP_HANDLER: 0
; COMPUTE_PGM_RSRC2:TGID_X_EN: 1
; COMPUTE_PGM_RSRC2:TGID_Y_EN: 1
; COMPUTE_PGM_RSRC2:TGID_Z_EN: 1
; COMPUTE_PGM_RSRC2:TIDIG_COMP_CNT: 0
	.section	.text._Z38paged_attention_ll4mi_QKV_mfma4_kernelIDF16_hLN4vllm18Fp8KVCacheDataTypeE1EDF16_Li32ELi128ELi256ELb0ELi1EEvPKT_PKT0_S7_ifPKiS9_S9_iPKfiiiPfSC_PS2_PT2_iSB_SB_,"axG",@progbits,_Z38paged_attention_ll4mi_QKV_mfma4_kernelIDF16_hLN4vllm18Fp8KVCacheDataTypeE1EDF16_Li32ELi128ELi256ELb0ELi1EEvPKT_PKT0_S7_ifPKiS9_S9_iPKfiiiPfSC_PS2_PT2_iSB_SB_,comdat
	.protected	_Z38paged_attention_ll4mi_QKV_mfma4_kernelIDF16_hLN4vllm18Fp8KVCacheDataTypeE1EDF16_Li32ELi128ELi256ELb0ELi1EEvPKT_PKT0_S7_ifPKiS9_S9_iPKfiiiPfSC_PS2_PT2_iSB_SB_ ; -- Begin function _Z38paged_attention_ll4mi_QKV_mfma4_kernelIDF16_hLN4vllm18Fp8KVCacheDataTypeE1EDF16_Li32ELi128ELi256ELb0ELi1EEvPKT_PKT0_S7_ifPKiS9_S9_iPKfiiiPfSC_PS2_PT2_iSB_SB_
	.globl	_Z38paged_attention_ll4mi_QKV_mfma4_kernelIDF16_hLN4vllm18Fp8KVCacheDataTypeE1EDF16_Li32ELi128ELi256ELb0ELi1EEvPKT_PKT0_S7_ifPKiS9_S9_iPKfiiiPfSC_PS2_PT2_iSB_SB_
	.p2align	8
	.type	_Z38paged_attention_ll4mi_QKV_mfma4_kernelIDF16_hLN4vllm18Fp8KVCacheDataTypeE1EDF16_Li32ELi128ELi256ELb0ELi1EEvPKT_PKT0_S7_ifPKiS9_S9_iPKfiiiPfSC_PS2_PT2_iSB_SB_,@function
_Z38paged_attention_ll4mi_QKV_mfma4_kernelIDF16_hLN4vllm18Fp8KVCacheDataTypeE1EDF16_Li32ELi128ELi256ELb0ELi1EEvPKT_PKT0_S7_ifPKiS9_S9_iPKfiiiPfSC_PS2_PT2_iSB_SB_: ; @_Z38paged_attention_ll4mi_QKV_mfma4_kernelIDF16_hLN4vllm18Fp8KVCacheDataTypeE1EDF16_Li32ELi128ELi256ELb0ELi1EEvPKT_PKT0_S7_ifPKiS9_S9_iPKfiiiPfSC_PS2_PT2_iSB_SB_
; %bb.0:
	s_add_u32 s8, s0, 0x90
	s_addc_u32 s9, s1, 0
	s_getpc_b64 s[0:1]
	s_add_u32 s0, s0, __PRETTY_FUNCTION__._Z38paged_attention_ll4mi_QKV_mfma4_kernelIDF16_hLN4vllm18Fp8KVCacheDataTypeE1EDF16_Li32ELi128ELi256ELb0ELi1EEvPKT_PKT0_S7_ifPKiS9_S9_iPKfiiiPfSC_PS2_PT2_iSB_SB_@rel32@lo+4
	s_addc_u32 s1, s1, __PRETTY_FUNCTION__._Z38paged_attention_ll4mi_QKV_mfma4_kernelIDF16_hLN4vllm18Fp8KVCacheDataTypeE1EDF16_Li32ELi128ELi256ELb0ELi1EEvPKT_PKT0_S7_ifPKiS9_S9_iPKfiiiPfSC_PS2_PT2_iSB_SB_@rel32@hi+12
	s_delay_alu instid0(SALU_CYCLE_1) | instskip(SKIP_4) | instid1(SALU_CYCLE_1)
	v_dual_mov_b32 v0, s0 :: v_dual_mov_b32 v1, s1
	s_mov_b32 s32, 0
	s_getpc_b64 s[2:3]
	s_add_u32 s2, s2, __assert_fail@rel32@lo+4
	s_addc_u32 s3, s3, __assert_fail@rel32@hi+12
	s_swappc_b64 s[30:31], s[2:3]
	.section	.rodata,"a",@progbits
	.p2align	6, 0x0
	.amdhsa_kernel _Z38paged_attention_ll4mi_QKV_mfma4_kernelIDF16_hLN4vllm18Fp8KVCacheDataTypeE1EDF16_Li32ELi128ELi256ELb0ELi1EEvPKT_PKT0_S7_ifPKiS9_S9_iPKfiiiPfSC_PS2_PT2_iSB_SB_
		.amdhsa_group_segment_fixed_size 0
		.amdhsa_private_segment_fixed_size 64
		.amdhsa_kernarg_size 400
		.amdhsa_user_sgpr_count 15
		.amdhsa_user_sgpr_dispatch_ptr 0
		.amdhsa_user_sgpr_queue_ptr 0
		.amdhsa_user_sgpr_kernarg_segment_ptr 1
		.amdhsa_user_sgpr_dispatch_id 0
		.amdhsa_user_sgpr_private_segment_size 0
		.amdhsa_wavefront_size32 1
		.amdhsa_uses_dynamic_stack 0
		.amdhsa_enable_private_segment 1
		.amdhsa_system_sgpr_workgroup_id_x 1
		.amdhsa_system_sgpr_workgroup_id_y 0
		.amdhsa_system_sgpr_workgroup_id_z 0
		.amdhsa_system_sgpr_workgroup_info 0
		.amdhsa_system_vgpr_workitem_id 0
		.amdhsa_next_free_vgpr 41
		.amdhsa_next_free_sgpr 34
		.amdhsa_reserve_vcc 1
		.amdhsa_float_round_mode_32 0
		.amdhsa_float_round_mode_16_64 0
		.amdhsa_float_denorm_mode_32 3
		.amdhsa_float_denorm_mode_16_64 3
		.amdhsa_dx10_clamp 1
		.amdhsa_ieee_mode 1
		.amdhsa_fp16_overflow 0
		.amdhsa_workgroup_processor_mode 1
		.amdhsa_memory_ordered 1
		.amdhsa_forward_progress 0
		.amdhsa_shared_vgpr_count 0
		.amdhsa_exception_fp_ieee_invalid_op 0
		.amdhsa_exception_fp_denorm_src 0
		.amdhsa_exception_fp_ieee_div_zero 0
		.amdhsa_exception_fp_ieee_overflow 0
		.amdhsa_exception_fp_ieee_underflow 0
		.amdhsa_exception_fp_ieee_inexact 0
		.amdhsa_exception_int_div_zero 0
	.end_amdhsa_kernel
	.section	.text._Z38paged_attention_ll4mi_QKV_mfma4_kernelIDF16_hLN4vllm18Fp8KVCacheDataTypeE1EDF16_Li32ELi128ELi256ELb0ELi1EEvPKT_PKT0_S7_ifPKiS9_S9_iPKfiiiPfSC_PS2_PT2_iSB_SB_,"axG",@progbits,_Z38paged_attention_ll4mi_QKV_mfma4_kernelIDF16_hLN4vllm18Fp8KVCacheDataTypeE1EDF16_Li32ELi128ELi256ELb0ELi1EEvPKT_PKT0_S7_ifPKiS9_S9_iPKfiiiPfSC_PS2_PT2_iSB_SB_,comdat
.Lfunc_end1070:
	.size	_Z38paged_attention_ll4mi_QKV_mfma4_kernelIDF16_hLN4vllm18Fp8KVCacheDataTypeE1EDF16_Li32ELi128ELi256ELb0ELi1EEvPKT_PKT0_S7_ifPKiS9_S9_iPKfiiiPfSC_PS2_PT2_iSB_SB_, .Lfunc_end1070-_Z38paged_attention_ll4mi_QKV_mfma4_kernelIDF16_hLN4vllm18Fp8KVCacheDataTypeE1EDF16_Li32ELi128ELi256ELb0ELi1EEvPKT_PKT0_S7_ifPKiS9_S9_iPKfiiiPfSC_PS2_PT2_iSB_SB_
                                        ; -- End function
	.section	.AMDGPU.csdata,"",@progbits
; Kernel info:
; codeLenInByte = 72
; NumSgprs: 36
; NumVgprs: 41
; ScratchSize: 64
; MemoryBound: 0
; FloatMode: 240
; IeeeMode: 1
; LDSByteSize: 0 bytes/workgroup (compile time only)
; SGPRBlocks: 4
; VGPRBlocks: 5
; NumSGPRsForWavesPerEU: 36
; NumVGPRsForWavesPerEU: 41
; Occupancy: 16
; WaveLimiterHint : 1
; COMPUTE_PGM_RSRC2:SCRATCH_EN: 1
; COMPUTE_PGM_RSRC2:USER_SGPR: 15
; COMPUTE_PGM_RSRC2:TRAP_HANDLER: 0
; COMPUTE_PGM_RSRC2:TGID_X_EN: 1
; COMPUTE_PGM_RSRC2:TGID_Y_EN: 0
; COMPUTE_PGM_RSRC2:TGID_Z_EN: 0
; COMPUTE_PGM_RSRC2:TIDIG_COMP_CNT: 0
	.section	.text._Z38paged_attention_ll4mi_QKV_mfma4_kernelIDF16_hLN4vllm18Fp8KVCacheDataTypeE1EDF16_Li32ELi128ELi256ELb0ELi2EEvPKT_PKT0_S7_ifPKiS9_S9_iPKfiiiPfSC_PS2_PT2_iSB_SB_,"axG",@progbits,_Z38paged_attention_ll4mi_QKV_mfma4_kernelIDF16_hLN4vllm18Fp8KVCacheDataTypeE1EDF16_Li32ELi128ELi256ELb0ELi2EEvPKT_PKT0_S7_ifPKiS9_S9_iPKfiiiPfSC_PS2_PT2_iSB_SB_,comdat
	.protected	_Z38paged_attention_ll4mi_QKV_mfma4_kernelIDF16_hLN4vllm18Fp8KVCacheDataTypeE1EDF16_Li32ELi128ELi256ELb0ELi2EEvPKT_PKT0_S7_ifPKiS9_S9_iPKfiiiPfSC_PS2_PT2_iSB_SB_ ; -- Begin function _Z38paged_attention_ll4mi_QKV_mfma4_kernelIDF16_hLN4vllm18Fp8KVCacheDataTypeE1EDF16_Li32ELi128ELi256ELb0ELi2EEvPKT_PKT0_S7_ifPKiS9_S9_iPKfiiiPfSC_PS2_PT2_iSB_SB_
	.globl	_Z38paged_attention_ll4mi_QKV_mfma4_kernelIDF16_hLN4vllm18Fp8KVCacheDataTypeE1EDF16_Li32ELi128ELi256ELb0ELi2EEvPKT_PKT0_S7_ifPKiS9_S9_iPKfiiiPfSC_PS2_PT2_iSB_SB_
	.p2align	8
	.type	_Z38paged_attention_ll4mi_QKV_mfma4_kernelIDF16_hLN4vllm18Fp8KVCacheDataTypeE1EDF16_Li32ELi128ELi256ELb0ELi2EEvPKT_PKT0_S7_ifPKiS9_S9_iPKfiiiPfSC_PS2_PT2_iSB_SB_,@function
_Z38paged_attention_ll4mi_QKV_mfma4_kernelIDF16_hLN4vllm18Fp8KVCacheDataTypeE1EDF16_Li32ELi128ELi256ELb0ELi2EEvPKT_PKT0_S7_ifPKiS9_S9_iPKfiiiPfSC_PS2_PT2_iSB_SB_: ; @_Z38paged_attention_ll4mi_QKV_mfma4_kernelIDF16_hLN4vllm18Fp8KVCacheDataTypeE1EDF16_Li32ELi128ELi256ELb0ELi2EEvPKT_PKT0_S7_ifPKiS9_S9_iPKfiiiPfSC_PS2_PT2_iSB_SB_
; %bb.0:
	s_add_u32 s8, s0, 0x90
	s_addc_u32 s9, s1, 0
	s_getpc_b64 s[0:1]
	s_add_u32 s0, s0, __PRETTY_FUNCTION__._Z38paged_attention_ll4mi_QKV_mfma4_kernelIDF16_hLN4vllm18Fp8KVCacheDataTypeE1EDF16_Li32ELi128ELi256ELb0ELi2EEvPKT_PKT0_S7_ifPKiS9_S9_iPKfiiiPfSC_PS2_PT2_iSB_SB_@rel32@lo+4
	s_addc_u32 s1, s1, __PRETTY_FUNCTION__._Z38paged_attention_ll4mi_QKV_mfma4_kernelIDF16_hLN4vllm18Fp8KVCacheDataTypeE1EDF16_Li32ELi128ELi256ELb0ELi2EEvPKT_PKT0_S7_ifPKiS9_S9_iPKfiiiPfSC_PS2_PT2_iSB_SB_@rel32@hi+12
	s_delay_alu instid0(SALU_CYCLE_1) | instskip(SKIP_4) | instid1(SALU_CYCLE_1)
	v_dual_mov_b32 v0, s0 :: v_dual_mov_b32 v1, s1
	s_mov_b32 s32, 0
	s_getpc_b64 s[2:3]
	s_add_u32 s2, s2, __assert_fail@rel32@lo+4
	s_addc_u32 s3, s3, __assert_fail@rel32@hi+12
	s_swappc_b64 s[30:31], s[2:3]
	.section	.rodata,"a",@progbits
	.p2align	6, 0x0
	.amdhsa_kernel _Z38paged_attention_ll4mi_QKV_mfma4_kernelIDF16_hLN4vllm18Fp8KVCacheDataTypeE1EDF16_Li32ELi128ELi256ELb0ELi2EEvPKT_PKT0_S7_ifPKiS9_S9_iPKfiiiPfSC_PS2_PT2_iSB_SB_
		.amdhsa_group_segment_fixed_size 0
		.amdhsa_private_segment_fixed_size 64
		.amdhsa_kernarg_size 400
		.amdhsa_user_sgpr_count 15
		.amdhsa_user_sgpr_dispatch_ptr 0
		.amdhsa_user_sgpr_queue_ptr 0
		.amdhsa_user_sgpr_kernarg_segment_ptr 1
		.amdhsa_user_sgpr_dispatch_id 0
		.amdhsa_user_sgpr_private_segment_size 0
		.amdhsa_wavefront_size32 1
		.amdhsa_uses_dynamic_stack 0
		.amdhsa_enable_private_segment 1
		.amdhsa_system_sgpr_workgroup_id_x 1
		.amdhsa_system_sgpr_workgroup_id_y 0
		.amdhsa_system_sgpr_workgroup_id_z 0
		.amdhsa_system_sgpr_workgroup_info 0
		.amdhsa_system_vgpr_workitem_id 0
		.amdhsa_next_free_vgpr 41
		.amdhsa_next_free_sgpr 34
		.amdhsa_reserve_vcc 1
		.amdhsa_float_round_mode_32 0
		.amdhsa_float_round_mode_16_64 0
		.amdhsa_float_denorm_mode_32 3
		.amdhsa_float_denorm_mode_16_64 3
		.amdhsa_dx10_clamp 1
		.amdhsa_ieee_mode 1
		.amdhsa_fp16_overflow 0
		.amdhsa_workgroup_processor_mode 1
		.amdhsa_memory_ordered 1
		.amdhsa_forward_progress 0
		.amdhsa_shared_vgpr_count 0
		.amdhsa_exception_fp_ieee_invalid_op 0
		.amdhsa_exception_fp_denorm_src 0
		.amdhsa_exception_fp_ieee_div_zero 0
		.amdhsa_exception_fp_ieee_overflow 0
		.amdhsa_exception_fp_ieee_underflow 0
		.amdhsa_exception_fp_ieee_inexact 0
		.amdhsa_exception_int_div_zero 0
	.end_amdhsa_kernel
	.section	.text._Z38paged_attention_ll4mi_QKV_mfma4_kernelIDF16_hLN4vllm18Fp8KVCacheDataTypeE1EDF16_Li32ELi128ELi256ELb0ELi2EEvPKT_PKT0_S7_ifPKiS9_S9_iPKfiiiPfSC_PS2_PT2_iSB_SB_,"axG",@progbits,_Z38paged_attention_ll4mi_QKV_mfma4_kernelIDF16_hLN4vllm18Fp8KVCacheDataTypeE1EDF16_Li32ELi128ELi256ELb0ELi2EEvPKT_PKT0_S7_ifPKiS9_S9_iPKfiiiPfSC_PS2_PT2_iSB_SB_,comdat
.Lfunc_end1071:
	.size	_Z38paged_attention_ll4mi_QKV_mfma4_kernelIDF16_hLN4vllm18Fp8KVCacheDataTypeE1EDF16_Li32ELi128ELi256ELb0ELi2EEvPKT_PKT0_S7_ifPKiS9_S9_iPKfiiiPfSC_PS2_PT2_iSB_SB_, .Lfunc_end1071-_Z38paged_attention_ll4mi_QKV_mfma4_kernelIDF16_hLN4vllm18Fp8KVCacheDataTypeE1EDF16_Li32ELi128ELi256ELb0ELi2EEvPKT_PKT0_S7_ifPKiS9_S9_iPKfiiiPfSC_PS2_PT2_iSB_SB_
                                        ; -- End function
	.section	.AMDGPU.csdata,"",@progbits
; Kernel info:
; codeLenInByte = 72
; NumSgprs: 36
; NumVgprs: 41
; ScratchSize: 64
; MemoryBound: 0
; FloatMode: 240
; IeeeMode: 1
; LDSByteSize: 0 bytes/workgroup (compile time only)
; SGPRBlocks: 4
; VGPRBlocks: 5
; NumSGPRsForWavesPerEU: 36
; NumVGPRsForWavesPerEU: 41
; Occupancy: 16
; WaveLimiterHint : 1
; COMPUTE_PGM_RSRC2:SCRATCH_EN: 1
; COMPUTE_PGM_RSRC2:USER_SGPR: 15
; COMPUTE_PGM_RSRC2:TRAP_HANDLER: 0
; COMPUTE_PGM_RSRC2:TGID_X_EN: 1
; COMPUTE_PGM_RSRC2:TGID_Y_EN: 0
; COMPUTE_PGM_RSRC2:TGID_Z_EN: 0
; COMPUTE_PGM_RSRC2:TIDIG_COMP_CNT: 0
	.section	.text._Z38paged_attention_ll4mi_QKV_mfma4_kernelIDF16_hLN4vllm18Fp8KVCacheDataTypeE1EDF16_Li32ELi128ELi256ELb0ELi3EEvPKT_PKT0_S7_ifPKiS9_S9_iPKfiiiPfSC_PS2_PT2_iSB_SB_,"axG",@progbits,_Z38paged_attention_ll4mi_QKV_mfma4_kernelIDF16_hLN4vllm18Fp8KVCacheDataTypeE1EDF16_Li32ELi128ELi256ELb0ELi3EEvPKT_PKT0_S7_ifPKiS9_S9_iPKfiiiPfSC_PS2_PT2_iSB_SB_,comdat
	.protected	_Z38paged_attention_ll4mi_QKV_mfma4_kernelIDF16_hLN4vllm18Fp8KVCacheDataTypeE1EDF16_Li32ELi128ELi256ELb0ELi3EEvPKT_PKT0_S7_ifPKiS9_S9_iPKfiiiPfSC_PS2_PT2_iSB_SB_ ; -- Begin function _Z38paged_attention_ll4mi_QKV_mfma4_kernelIDF16_hLN4vllm18Fp8KVCacheDataTypeE1EDF16_Li32ELi128ELi256ELb0ELi3EEvPKT_PKT0_S7_ifPKiS9_S9_iPKfiiiPfSC_PS2_PT2_iSB_SB_
	.globl	_Z38paged_attention_ll4mi_QKV_mfma4_kernelIDF16_hLN4vllm18Fp8KVCacheDataTypeE1EDF16_Li32ELi128ELi256ELb0ELi3EEvPKT_PKT0_S7_ifPKiS9_S9_iPKfiiiPfSC_PS2_PT2_iSB_SB_
	.p2align	8
	.type	_Z38paged_attention_ll4mi_QKV_mfma4_kernelIDF16_hLN4vllm18Fp8KVCacheDataTypeE1EDF16_Li32ELi128ELi256ELb0ELi3EEvPKT_PKT0_S7_ifPKiS9_S9_iPKfiiiPfSC_PS2_PT2_iSB_SB_,@function
_Z38paged_attention_ll4mi_QKV_mfma4_kernelIDF16_hLN4vllm18Fp8KVCacheDataTypeE1EDF16_Li32ELi128ELi256ELb0ELi3EEvPKT_PKT0_S7_ifPKiS9_S9_iPKfiiiPfSC_PS2_PT2_iSB_SB_: ; @_Z38paged_attention_ll4mi_QKV_mfma4_kernelIDF16_hLN4vllm18Fp8KVCacheDataTypeE1EDF16_Li32ELi128ELi256ELb0ELi3EEvPKT_PKT0_S7_ifPKiS9_S9_iPKfiiiPfSC_PS2_PT2_iSB_SB_
; %bb.0:
	s_add_u32 s8, s0, 0x90
	s_addc_u32 s9, s1, 0
	s_getpc_b64 s[0:1]
	s_add_u32 s0, s0, __PRETTY_FUNCTION__._Z38paged_attention_ll4mi_QKV_mfma4_kernelIDF16_hLN4vllm18Fp8KVCacheDataTypeE1EDF16_Li32ELi128ELi256ELb0ELi3EEvPKT_PKT0_S7_ifPKiS9_S9_iPKfiiiPfSC_PS2_PT2_iSB_SB_@rel32@lo+4
	s_addc_u32 s1, s1, __PRETTY_FUNCTION__._Z38paged_attention_ll4mi_QKV_mfma4_kernelIDF16_hLN4vllm18Fp8KVCacheDataTypeE1EDF16_Li32ELi128ELi256ELb0ELi3EEvPKT_PKT0_S7_ifPKiS9_S9_iPKfiiiPfSC_PS2_PT2_iSB_SB_@rel32@hi+12
	s_delay_alu instid0(SALU_CYCLE_1) | instskip(SKIP_4) | instid1(SALU_CYCLE_1)
	v_dual_mov_b32 v0, s0 :: v_dual_mov_b32 v1, s1
	s_mov_b32 s32, 0
	s_getpc_b64 s[2:3]
	s_add_u32 s2, s2, __assert_fail@rel32@lo+4
	s_addc_u32 s3, s3, __assert_fail@rel32@hi+12
	s_swappc_b64 s[30:31], s[2:3]
	.section	.rodata,"a",@progbits
	.p2align	6, 0x0
	.amdhsa_kernel _Z38paged_attention_ll4mi_QKV_mfma4_kernelIDF16_hLN4vllm18Fp8KVCacheDataTypeE1EDF16_Li32ELi128ELi256ELb0ELi3EEvPKT_PKT0_S7_ifPKiS9_S9_iPKfiiiPfSC_PS2_PT2_iSB_SB_
		.amdhsa_group_segment_fixed_size 0
		.amdhsa_private_segment_fixed_size 64
		.amdhsa_kernarg_size 400
		.amdhsa_user_sgpr_count 15
		.amdhsa_user_sgpr_dispatch_ptr 0
		.amdhsa_user_sgpr_queue_ptr 0
		.amdhsa_user_sgpr_kernarg_segment_ptr 1
		.amdhsa_user_sgpr_dispatch_id 0
		.amdhsa_user_sgpr_private_segment_size 0
		.amdhsa_wavefront_size32 1
		.amdhsa_uses_dynamic_stack 0
		.amdhsa_enable_private_segment 1
		.amdhsa_system_sgpr_workgroup_id_x 1
		.amdhsa_system_sgpr_workgroup_id_y 0
		.amdhsa_system_sgpr_workgroup_id_z 0
		.amdhsa_system_sgpr_workgroup_info 0
		.amdhsa_system_vgpr_workitem_id 0
		.amdhsa_next_free_vgpr 41
		.amdhsa_next_free_sgpr 34
		.amdhsa_reserve_vcc 1
		.amdhsa_float_round_mode_32 0
		.amdhsa_float_round_mode_16_64 0
		.amdhsa_float_denorm_mode_32 3
		.amdhsa_float_denorm_mode_16_64 3
		.amdhsa_dx10_clamp 1
		.amdhsa_ieee_mode 1
		.amdhsa_fp16_overflow 0
		.amdhsa_workgroup_processor_mode 1
		.amdhsa_memory_ordered 1
		.amdhsa_forward_progress 0
		.amdhsa_shared_vgpr_count 0
		.amdhsa_exception_fp_ieee_invalid_op 0
		.amdhsa_exception_fp_denorm_src 0
		.amdhsa_exception_fp_ieee_div_zero 0
		.amdhsa_exception_fp_ieee_overflow 0
		.amdhsa_exception_fp_ieee_underflow 0
		.amdhsa_exception_fp_ieee_inexact 0
		.amdhsa_exception_int_div_zero 0
	.end_amdhsa_kernel
	.section	.text._Z38paged_attention_ll4mi_QKV_mfma4_kernelIDF16_hLN4vllm18Fp8KVCacheDataTypeE1EDF16_Li32ELi128ELi256ELb0ELi3EEvPKT_PKT0_S7_ifPKiS9_S9_iPKfiiiPfSC_PS2_PT2_iSB_SB_,"axG",@progbits,_Z38paged_attention_ll4mi_QKV_mfma4_kernelIDF16_hLN4vllm18Fp8KVCacheDataTypeE1EDF16_Li32ELi128ELi256ELb0ELi3EEvPKT_PKT0_S7_ifPKiS9_S9_iPKfiiiPfSC_PS2_PT2_iSB_SB_,comdat
.Lfunc_end1072:
	.size	_Z38paged_attention_ll4mi_QKV_mfma4_kernelIDF16_hLN4vllm18Fp8KVCacheDataTypeE1EDF16_Li32ELi128ELi256ELb0ELi3EEvPKT_PKT0_S7_ifPKiS9_S9_iPKfiiiPfSC_PS2_PT2_iSB_SB_, .Lfunc_end1072-_Z38paged_attention_ll4mi_QKV_mfma4_kernelIDF16_hLN4vllm18Fp8KVCacheDataTypeE1EDF16_Li32ELi128ELi256ELb0ELi3EEvPKT_PKT0_S7_ifPKiS9_S9_iPKfiiiPfSC_PS2_PT2_iSB_SB_
                                        ; -- End function
	.section	.AMDGPU.csdata,"",@progbits
; Kernel info:
; codeLenInByte = 72
; NumSgprs: 36
; NumVgprs: 41
; ScratchSize: 64
; MemoryBound: 0
; FloatMode: 240
; IeeeMode: 1
; LDSByteSize: 0 bytes/workgroup (compile time only)
; SGPRBlocks: 4
; VGPRBlocks: 5
; NumSGPRsForWavesPerEU: 36
; NumVGPRsForWavesPerEU: 41
; Occupancy: 16
; WaveLimiterHint : 1
; COMPUTE_PGM_RSRC2:SCRATCH_EN: 1
; COMPUTE_PGM_RSRC2:USER_SGPR: 15
; COMPUTE_PGM_RSRC2:TRAP_HANDLER: 0
; COMPUTE_PGM_RSRC2:TGID_X_EN: 1
; COMPUTE_PGM_RSRC2:TGID_Y_EN: 0
; COMPUTE_PGM_RSRC2:TGID_Z_EN: 0
; COMPUTE_PGM_RSRC2:TIDIG_COMP_CNT: 0
	.section	.text._Z38paged_attention_ll4mi_QKV_mfma4_kernelIDF16_hLN4vllm18Fp8KVCacheDataTypeE1EDF16_Li32ELi128ELi256ELb0ELi4EEvPKT_PKT0_S7_ifPKiS9_S9_iPKfiiiPfSC_PS2_PT2_iSB_SB_,"axG",@progbits,_Z38paged_attention_ll4mi_QKV_mfma4_kernelIDF16_hLN4vllm18Fp8KVCacheDataTypeE1EDF16_Li32ELi128ELi256ELb0ELi4EEvPKT_PKT0_S7_ifPKiS9_S9_iPKfiiiPfSC_PS2_PT2_iSB_SB_,comdat
	.protected	_Z38paged_attention_ll4mi_QKV_mfma4_kernelIDF16_hLN4vllm18Fp8KVCacheDataTypeE1EDF16_Li32ELi128ELi256ELb0ELi4EEvPKT_PKT0_S7_ifPKiS9_S9_iPKfiiiPfSC_PS2_PT2_iSB_SB_ ; -- Begin function _Z38paged_attention_ll4mi_QKV_mfma4_kernelIDF16_hLN4vllm18Fp8KVCacheDataTypeE1EDF16_Li32ELi128ELi256ELb0ELi4EEvPKT_PKT0_S7_ifPKiS9_S9_iPKfiiiPfSC_PS2_PT2_iSB_SB_
	.globl	_Z38paged_attention_ll4mi_QKV_mfma4_kernelIDF16_hLN4vllm18Fp8KVCacheDataTypeE1EDF16_Li32ELi128ELi256ELb0ELi4EEvPKT_PKT0_S7_ifPKiS9_S9_iPKfiiiPfSC_PS2_PT2_iSB_SB_
	.p2align	8
	.type	_Z38paged_attention_ll4mi_QKV_mfma4_kernelIDF16_hLN4vllm18Fp8KVCacheDataTypeE1EDF16_Li32ELi128ELi256ELb0ELi4EEvPKT_PKT0_S7_ifPKiS9_S9_iPKfiiiPfSC_PS2_PT2_iSB_SB_,@function
_Z38paged_attention_ll4mi_QKV_mfma4_kernelIDF16_hLN4vllm18Fp8KVCacheDataTypeE1EDF16_Li32ELi128ELi256ELb0ELi4EEvPKT_PKT0_S7_ifPKiS9_S9_iPKfiiiPfSC_PS2_PT2_iSB_SB_: ; @_Z38paged_attention_ll4mi_QKV_mfma4_kernelIDF16_hLN4vllm18Fp8KVCacheDataTypeE1EDF16_Li32ELi128ELi256ELb0ELi4EEvPKT_PKT0_S7_ifPKiS9_S9_iPKfiiiPfSC_PS2_PT2_iSB_SB_
; %bb.0:
	s_add_u32 s8, s0, 0x90
	s_addc_u32 s9, s1, 0
	s_getpc_b64 s[0:1]
	s_add_u32 s0, s0, __PRETTY_FUNCTION__._Z38paged_attention_ll4mi_QKV_mfma4_kernelIDF16_hLN4vllm18Fp8KVCacheDataTypeE1EDF16_Li32ELi128ELi256ELb0ELi4EEvPKT_PKT0_S7_ifPKiS9_S9_iPKfiiiPfSC_PS2_PT2_iSB_SB_@rel32@lo+4
	s_addc_u32 s1, s1, __PRETTY_FUNCTION__._Z38paged_attention_ll4mi_QKV_mfma4_kernelIDF16_hLN4vllm18Fp8KVCacheDataTypeE1EDF16_Li32ELi128ELi256ELb0ELi4EEvPKT_PKT0_S7_ifPKiS9_S9_iPKfiiiPfSC_PS2_PT2_iSB_SB_@rel32@hi+12
	s_delay_alu instid0(SALU_CYCLE_1) | instskip(SKIP_4) | instid1(SALU_CYCLE_1)
	v_dual_mov_b32 v0, s0 :: v_dual_mov_b32 v1, s1
	s_mov_b32 s32, 0
	s_getpc_b64 s[2:3]
	s_add_u32 s2, s2, __assert_fail@rel32@lo+4
	s_addc_u32 s3, s3, __assert_fail@rel32@hi+12
	s_swappc_b64 s[30:31], s[2:3]
	.section	.rodata,"a",@progbits
	.p2align	6, 0x0
	.amdhsa_kernel _Z38paged_attention_ll4mi_QKV_mfma4_kernelIDF16_hLN4vllm18Fp8KVCacheDataTypeE1EDF16_Li32ELi128ELi256ELb0ELi4EEvPKT_PKT0_S7_ifPKiS9_S9_iPKfiiiPfSC_PS2_PT2_iSB_SB_
		.amdhsa_group_segment_fixed_size 0
		.amdhsa_private_segment_fixed_size 64
		.amdhsa_kernarg_size 400
		.amdhsa_user_sgpr_count 15
		.amdhsa_user_sgpr_dispatch_ptr 0
		.amdhsa_user_sgpr_queue_ptr 0
		.amdhsa_user_sgpr_kernarg_segment_ptr 1
		.amdhsa_user_sgpr_dispatch_id 0
		.amdhsa_user_sgpr_private_segment_size 0
		.amdhsa_wavefront_size32 1
		.amdhsa_uses_dynamic_stack 0
		.amdhsa_enable_private_segment 1
		.amdhsa_system_sgpr_workgroup_id_x 1
		.amdhsa_system_sgpr_workgroup_id_y 0
		.amdhsa_system_sgpr_workgroup_id_z 0
		.amdhsa_system_sgpr_workgroup_info 0
		.amdhsa_system_vgpr_workitem_id 0
		.amdhsa_next_free_vgpr 41
		.amdhsa_next_free_sgpr 34
		.amdhsa_reserve_vcc 1
		.amdhsa_float_round_mode_32 0
		.amdhsa_float_round_mode_16_64 0
		.amdhsa_float_denorm_mode_32 3
		.amdhsa_float_denorm_mode_16_64 3
		.amdhsa_dx10_clamp 1
		.amdhsa_ieee_mode 1
		.amdhsa_fp16_overflow 0
		.amdhsa_workgroup_processor_mode 1
		.amdhsa_memory_ordered 1
		.amdhsa_forward_progress 0
		.amdhsa_shared_vgpr_count 0
		.amdhsa_exception_fp_ieee_invalid_op 0
		.amdhsa_exception_fp_denorm_src 0
		.amdhsa_exception_fp_ieee_div_zero 0
		.amdhsa_exception_fp_ieee_overflow 0
		.amdhsa_exception_fp_ieee_underflow 0
		.amdhsa_exception_fp_ieee_inexact 0
		.amdhsa_exception_int_div_zero 0
	.end_amdhsa_kernel
	.section	.text._Z38paged_attention_ll4mi_QKV_mfma4_kernelIDF16_hLN4vllm18Fp8KVCacheDataTypeE1EDF16_Li32ELi128ELi256ELb0ELi4EEvPKT_PKT0_S7_ifPKiS9_S9_iPKfiiiPfSC_PS2_PT2_iSB_SB_,"axG",@progbits,_Z38paged_attention_ll4mi_QKV_mfma4_kernelIDF16_hLN4vllm18Fp8KVCacheDataTypeE1EDF16_Li32ELi128ELi256ELb0ELi4EEvPKT_PKT0_S7_ifPKiS9_S9_iPKfiiiPfSC_PS2_PT2_iSB_SB_,comdat
.Lfunc_end1073:
	.size	_Z38paged_attention_ll4mi_QKV_mfma4_kernelIDF16_hLN4vllm18Fp8KVCacheDataTypeE1EDF16_Li32ELi128ELi256ELb0ELi4EEvPKT_PKT0_S7_ifPKiS9_S9_iPKfiiiPfSC_PS2_PT2_iSB_SB_, .Lfunc_end1073-_Z38paged_attention_ll4mi_QKV_mfma4_kernelIDF16_hLN4vllm18Fp8KVCacheDataTypeE1EDF16_Li32ELi128ELi256ELb0ELi4EEvPKT_PKT0_S7_ifPKiS9_S9_iPKfiiiPfSC_PS2_PT2_iSB_SB_
                                        ; -- End function
	.section	.AMDGPU.csdata,"",@progbits
; Kernel info:
; codeLenInByte = 72
; NumSgprs: 36
; NumVgprs: 41
; ScratchSize: 64
; MemoryBound: 0
; FloatMode: 240
; IeeeMode: 1
; LDSByteSize: 0 bytes/workgroup (compile time only)
; SGPRBlocks: 4
; VGPRBlocks: 5
; NumSGPRsForWavesPerEU: 36
; NumVGPRsForWavesPerEU: 41
; Occupancy: 16
; WaveLimiterHint : 1
; COMPUTE_PGM_RSRC2:SCRATCH_EN: 1
; COMPUTE_PGM_RSRC2:USER_SGPR: 15
; COMPUTE_PGM_RSRC2:TRAP_HANDLER: 0
; COMPUTE_PGM_RSRC2:TGID_X_EN: 1
; COMPUTE_PGM_RSRC2:TGID_Y_EN: 0
; COMPUTE_PGM_RSRC2:TGID_Z_EN: 0
; COMPUTE_PGM_RSRC2:TIDIG_COMP_CNT: 0
	.section	.text._Z39paged_attention_ll4mi_QKV_mfma16_kernelIDF16_hLN4vllm18Fp8KVCacheDataTypeE1EDF16_Li32ELi128ELi256ELb0ELi5EL8MFMAType1EEvPKT_PKT0_S8_ifPKiSA_SA_iPKfiiiPfSD_PS3_PT2_iSC_SC_,"axG",@progbits,_Z39paged_attention_ll4mi_QKV_mfma16_kernelIDF16_hLN4vllm18Fp8KVCacheDataTypeE1EDF16_Li32ELi128ELi256ELb0ELi5EL8MFMAType1EEvPKT_PKT0_S8_ifPKiSA_SA_iPKfiiiPfSD_PS3_PT2_iSC_SC_,comdat
	.protected	_Z39paged_attention_ll4mi_QKV_mfma16_kernelIDF16_hLN4vllm18Fp8KVCacheDataTypeE1EDF16_Li32ELi128ELi256ELb0ELi5EL8MFMAType1EEvPKT_PKT0_S8_ifPKiSA_SA_iPKfiiiPfSD_PS3_PT2_iSC_SC_ ; -- Begin function _Z39paged_attention_ll4mi_QKV_mfma16_kernelIDF16_hLN4vllm18Fp8KVCacheDataTypeE1EDF16_Li32ELi128ELi256ELb0ELi5EL8MFMAType1EEvPKT_PKT0_S8_ifPKiSA_SA_iPKfiiiPfSD_PS3_PT2_iSC_SC_
	.globl	_Z39paged_attention_ll4mi_QKV_mfma16_kernelIDF16_hLN4vllm18Fp8KVCacheDataTypeE1EDF16_Li32ELi128ELi256ELb0ELi5EL8MFMAType1EEvPKT_PKT0_S8_ifPKiSA_SA_iPKfiiiPfSD_PS3_PT2_iSC_SC_
	.p2align	8
	.type	_Z39paged_attention_ll4mi_QKV_mfma16_kernelIDF16_hLN4vllm18Fp8KVCacheDataTypeE1EDF16_Li32ELi128ELi256ELb0ELi5EL8MFMAType1EEvPKT_PKT0_S8_ifPKiSA_SA_iPKfiiiPfSD_PS3_PT2_iSC_SC_,@function
_Z39paged_attention_ll4mi_QKV_mfma16_kernelIDF16_hLN4vllm18Fp8KVCacheDataTypeE1EDF16_Li32ELi128ELi256ELb0ELi5EL8MFMAType1EEvPKT_PKT0_S8_ifPKiSA_SA_iPKfiiiPfSD_PS3_PT2_iSC_SC_: ; @_Z39paged_attention_ll4mi_QKV_mfma16_kernelIDF16_hLN4vllm18Fp8KVCacheDataTypeE1EDF16_Li32ELi128ELi256ELb0ELi5EL8MFMAType1EEvPKT_PKT0_S8_ifPKiSA_SA_iPKfiiiPfSD_PS3_PT2_iSC_SC_
; %bb.0:
	s_load_b64 s[4:5], s[0:1], 0x30
	s_mov_b32 s34, s13
	s_waitcnt lgkmcnt(0)
	s_cmp_lg_u64 s[4:5], 0
	s_cselect_b32 s8, -1, 0
	s_ashr_i32 s35, s13, 31
	s_cmp_eq_u64 s[4:5], 0
	s_cbranch_scc1 .LBB1074_3
; %bb.1:
	s_lshl_b64 s[2:3], s[34:35], 2
	s_delay_alu instid0(SALU_CYCLE_1) | instskip(SKIP_4) | instid1(SALU_CYCLE_1)
	s_add_u32 s2, s4, s2
	s_addc_u32 s3, s5, s3
	s_load_b64 s[2:3], s[2:3], 0x0
	s_waitcnt lgkmcnt(0)
	s_sub_i32 s2, s3, s2
	s_cmp_eq_u32 s2, 1
	s_cselect_b32 s2, -1, 0
	s_delay_alu instid0(SALU_CYCLE_1)
	s_and_not1_b32 vcc_lo, exec_lo, s2
	s_cbranch_vccz .LBB1074_4
.LBB1074_2:
	s_nop 0
	s_sendmsg sendmsg(MSG_DEALLOC_VGPRS)
	s_endpgm
.LBB1074_3:
.LBB1074_4:
	s_load_b64 s[2:3], s[0:1], 0x28
	s_lshl_b64 s[6:7], s[34:35], 2
	s_waitcnt lgkmcnt(0)
	s_add_u32 s2, s2, s6
	s_addc_u32 s3, s3, s7
	s_lshl_b32 s12, s14, 8
	s_load_b32 s24, s[2:3], 0x0
	s_waitcnt lgkmcnt(0)
	s_cmp_ge_i32 s12, s24
	s_cbranch_scc1 .LBB1074_2
; %bb.5:
	s_clause 0x1
	s_load_b128 s[20:23], s[0:1], 0x8
	s_load_b64 s[2:3], s[0:1], 0x20
	s_and_not1_b32 vcc_lo, exec_lo, s8
	s_cbranch_vccnz .LBB1074_7
; %bb.6:
	s_add_u32 s4, s4, s6
	s_addc_u32 s5, s5, s7
	s_load_b32 s5, s[4:5], 0x0
	s_branch .LBB1074_8
.LBB1074_7:
	s_mov_b32 s5, s34
.LBB1074_8:
	s_load_b128 s[16:19], s[0:1], 0x48
	v_and_b32_e32 v68, 15, v0
	v_lshrrev_b32_e32 v69, 5, v0
	v_bfe_u32 v66, v0, 4, 1
	v_and_b32_e32 v70, 31, v0
	v_and_b32_e32 v67, 1, v0
	v_lshlrev_b32_e32 v2, 3, v68
	s_mul_i32 s31, s15, 5
	v_lshl_or_b32 v1, v69, 1, v66
	s_mov_b32 s4, exec_lo
	s_delay_alu instid0(VALU_DEP_2) | instskip(NEXT) | instid1(VALU_DEP_2)
	v_lshlrev_b32_e32 v65, 1, v2
	v_cmpx_gt_u32_e32 5, v1
	s_cbranch_execz .LBB1074_10
; %bb.9:
	s_load_b64 s[6:7], s[0:1], 0x0
	v_add_lshl_u32 v2, v1, s31, 7
	s_waitcnt lgkmcnt(0)
	s_mul_hi_i32 s9, s5, s16
	s_mul_i32 s8, s5, s16
	v_lshlrev_b32_e32 v6, 10, v68
	s_lshl_b64 s[8:9], s[8:9], 1
	v_ashrrev_i32_e32 v3, 31, v2
	v_lshlrev_b32_e32 v1, 6, v1
	v_lshlrev_b32_e32 v7, 10, v67
	v_and_b32_e32 v6, 0x3800, v6
	s_delay_alu instid0(VALU_DEP_4) | instskip(NEXT) | instid1(VALU_DEP_2)
	v_lshlrev_b64 v[2:3], 1, v[2:3]
	v_or3_b32 v1, v6, v7, v1
	s_add_u32 s5, s6, s8
	s_addc_u32 s6, s7, s9
	s_delay_alu instid0(VALU_DEP_2) | instskip(NEXT) | instid1(VALU_DEP_3)
	v_add_co_u32 v2, vcc_lo, s5, v2
	v_add_co_ci_u32_e32 v3, vcc_lo, s6, v3, vcc_lo
	s_delay_alu instid0(VALU_DEP_2) | instskip(NEXT) | instid1(VALU_DEP_2)
	v_add_co_u32 v2, vcc_lo, v2, v65
	v_add_co_ci_u32_e32 v3, vcc_lo, 0, v3, vcc_lo
	global_load_b128 v[2:5], v[2:3], off
	s_waitcnt vmcnt(0)
	ds_store_b128 v1, v[2:5]
.LBB1074_10:
	s_or_b32 exec_lo, exec_lo, s4
	v_and_b32_e32 v1, 0xef, v0
	s_waitcnt lgkmcnt(0)
	s_add_i32 s5, s24, 31
	s_clause 0x1
	s_load_b32 s4, s[0:1], 0x38
	s_load_b32 s33, s[0:1], 0x98
	s_ashr_i32 s6, s5, 31
	v_add_nc_u32_e32 v1, s12, v1
	s_lshr_b32 s6, s6, 27
	s_load_b32 s19, s[0:1], 0x1c
	s_add_i32 s5, s5, s6
	s_waitcnt lgkmcnt(0)
	v_ashrrev_i32_e32 v2, 31, v1
	v_or_b32_e32 v3, 16, v1
	s_ashr_i32 s13, s5, 5
	v_cmp_gt_i32_e32 vcc_lo, s24, v1
	s_add_i32 s13, s13, -1
	v_lshrrev_b32_e32 v2, 27, v2
	s_barrier
	buffer_gl0_inv
	s_mul_i32 s15, s15, s18
	v_add_nc_u32_e32 v4, v1, v2
	s_mul_i32 s4, s34, s4
	s_delay_alu instid0(SALU_CYCLE_1) | instskip(NEXT) | instid1(VALU_DEP_1)
	s_ashr_i32 s5, s4, 31
	v_ashrrev_i32_e32 v4, 5, v4
	v_add_nc_u32_e32 v2, v3, v2
	s_lshl_b64 s[4:5], s[4:5], 2
	s_delay_alu instid0(SALU_CYCLE_1) | instskip(NEXT) | instid1(VALU_DEP_2)
	s_add_u32 s16, s2, s4
	v_cndmask_b32_e32 v1, s13, v4, vcc_lo
	s_delay_alu instid0(VALU_DEP_2)
	v_ashrrev_i32_e32 v2, 5, v2
	v_cmp_gt_i32_e32 vcc_lo, s24, v3
	s_addc_u32 s25, s3, s5
	s_ashr_i32 s18, s15, 31
	s_add_u32 s2, s20, s15
	s_addc_u32 s3, s21, s18
	v_cndmask_b32_e32 v3, s13, v2, vcc_lo
	v_ashrrev_i32_e32 v2, 31, v1
	s_lshl_b32 s4, s14, 3
	s_delay_alu instid0(SALU_CYCLE_1) | instskip(NEXT) | instid1(VALU_DEP_2)
	s_ashr_i32 s5, s4, 31
	v_ashrrev_i32_e32 v4, 31, v3
	s_delay_alu instid0(VALU_DEP_2) | instskip(SKIP_1) | instid1(SALU_CYCLE_1)
	v_lshlrev_b64 v[1:2], 2, v[1:2]
	s_lshl_b64 s[4:5], s[4:5], 2
	s_add_u32 s4, s16, s4
	s_delay_alu instid0(VALU_DEP_2) | instskip(SKIP_1) | instid1(VALU_DEP_2)
	v_lshlrev_b64 v[3:4], 2, v[3:4]
	s_addc_u32 s5, s25, s5
	v_add_co_u32 v1, vcc_lo, s16, v1
	v_add_co_ci_u32_e32 v2, vcc_lo, s25, v2, vcc_lo
	s_delay_alu instid0(VALU_DEP_3) | instskip(NEXT) | instid1(VALU_DEP_4)
	v_add_co_u32 v3, vcc_lo, s16, v3
	v_add_co_ci_u32_e32 v4, vcc_lo, s25, v4, vcc_lo
	s_clause 0x1
	global_load_b32 v5, v[1:2], off
	global_load_b32 v6, v[3:4], off
	s_or_b32 s6, s12, 32
	s_delay_alu instid0(SALU_CYCLE_1) | instskip(SKIP_2) | instid1(SALU_CYCLE_1)
	s_ashr_i32 s7, s6, 5
	s_cmp_lt_i32 s6, s24
	s_cselect_b32 s6, s7, s13
	s_ashr_i32 s7, s6, 31
	s_delay_alu instid0(SALU_CYCLE_1) | instskip(NEXT) | instid1(SALU_CYCLE_1)
	s_lshl_b64 s[6:7], s[6:7], 2
	s_add_u32 s6, s16, s6
	s_addc_u32 s7, s25, s7
	s_or_b32 s8, s12, 64
	s_delay_alu instid0(SALU_CYCLE_1) | instskip(SKIP_2) | instid1(SALU_CYCLE_1)
	s_ashr_i32 s9, s8, 5
	s_cmp_lt_i32 s8, s24
	s_cselect_b32 s8, s9, s13
	s_ashr_i32 s9, s8, 31
	s_delay_alu instid0(SALU_CYCLE_1) | instskip(NEXT) | instid1(SALU_CYCLE_1)
	s_lshl_b64 s[8:9], s[8:9], 2
	s_add_u32 s8, s16, s8
	s_addc_u32 s9, s25, s9
	s_or_b32 s10, s12, 0x60
	s_delay_alu instid0(SALU_CYCLE_1) | instskip(SKIP_2) | instid1(SALU_CYCLE_1)
	s_ashr_i32 s11, s10, 5
	s_cmp_lt_i32 s10, s24
	s_cselect_b32 s10, s11, s13
	s_ashr_i32 s11, s10, 31
	s_delay_alu instid0(SALU_CYCLE_1) | instskip(NEXT) | instid1(SALU_CYCLE_1)
	s_lshl_b64 s[10:11], s[10:11], 2
	s_add_u32 s10, s16, s10
	s_addc_u32 s11, s25, s11
	s_or_b32 s20, s12, 0x80
	s_delay_alu instid0(SALU_CYCLE_1) | instskip(SKIP_2) | instid1(SALU_CYCLE_1)
	s_ashr_i32 s21, s20, 5
	s_cmp_lt_i32 s20, s24
	s_cselect_b32 s20, s21, s13
	s_ashr_i32 s21, s20, 31
	s_delay_alu instid0(SALU_CYCLE_1) | instskip(NEXT) | instid1(SALU_CYCLE_1)
	s_lshl_b64 s[20:21], s[20:21], 2
	s_add_u32 s20, s16, s20
	s_addc_u32 s21, s25, s21
	s_or_b32 s26, s12, 0xa0
	s_delay_alu instid0(SALU_CYCLE_1) | instskip(SKIP_2) | instid1(SALU_CYCLE_1)
	s_ashr_i32 s27, s26, 5
	s_cmp_lt_i32 s26, s24
	s_cselect_b32 s26, s27, s13
	s_ashr_i32 s27, s26, 31
	s_delay_alu instid0(SALU_CYCLE_1) | instskip(NEXT) | instid1(SALU_CYCLE_1)
	s_lshl_b64 s[26:27], s[26:27], 2
	s_add_u32 s26, s16, s26
	s_addc_u32 s27, s25, s27
	s_clause 0x5
	s_load_b32 s28, s[4:5], 0x0
	s_load_b32 s29, s[6:7], 0x0
	;; [unrolled: 1-line block ×6, first 2 shown]
	s_mov_b32 s4, 0
	s_delay_alu instid0(SALU_CYCLE_1)
	s_mov_b32 s5, s4
	s_mov_b32 s6, s4
	;; [unrolled: 1-line block ×7, first 2 shown]
	s_delay_alu instid0(SALU_CYCLE_1)
	v_dual_mov_b32 v118, s11 :: v_dual_mov_b32 v117, s10
	v_dual_mov_b32 v116, s9 :: v_dual_mov_b32 v115, s8
	v_mov_b32_e32 v113, s6
	v_dual_mov_b32 v111, s4 :: v_dual_mov_b32 v114, s7
	v_mov_b32_e32 v112, s5
	s_waitcnt vmcnt(1)
	v_mad_i64_i32 v[1:2], null, v5, s17, s[2:3]
	v_lshlrev_b32_e32 v5, 4, v68
	s_waitcnt vmcnt(0)
	v_mad_i64_i32 v[3:4], null, v6, s17, s[2:3]
	s_or_b32 s2, s12, 0xc0
	s_delay_alu instid0(SALU_CYCLE_1) | instskip(NEXT) | instid1(VALU_DEP_3)
	s_ashr_i32 s3, s2, 5
	v_add_co_u32 v1, vcc_lo, v1, v5
	s_delay_alu instid0(VALU_DEP_4) | instskip(NEXT) | instid1(VALU_DEP_3)
	v_add_co_ci_u32_e32 v2, vcc_lo, 0, v2, vcc_lo
	v_add_co_u32 v3, vcc_lo, v3, v5
	s_delay_alu instid0(VALU_DEP_4)
	v_add_co_ci_u32_e32 v4, vcc_lo, 0, v4, vcc_lo
	s_clause 0xf
	global_load_b128 v[17:20], v[1:2], off
	global_load_b128 v[21:24], v[1:2], off offset:512
	global_load_b128 v[25:28], v[3:4], off offset:256
	;; [unrolled: 1-line block ×15, first 2 shown]
	v_mul_lo_u16 v1, v68, 52
	s_cmp_lt_i32 s2, s24
	v_lshlrev_b32_e32 v2, 5, v68
	s_cselect_b32 s2, s3, s13
	s_delay_alu instid0(VALU_DEP_2) | instskip(SKIP_1) | instid1(SALU_CYCLE_1)
	v_lshrrev_b16 v1, 8, v1
	s_ashr_i32 s3, s2, 31
	s_lshl_b64 s[2:3], s[2:3], 2
	s_delay_alu instid0(VALU_DEP_1) | instskip(SKIP_3) | instid1(VALU_DEP_1)
	v_mul_lo_u16 v1, v1, 5
	s_add_u32 s2, s16, s2
	s_addc_u32 s3, s25, s3
	s_or_b32 s20, s12, 0xe0
	v_sub_nc_u16 v1, v68, v1
	s_ashr_i32 s21, s20, 5
	s_cmp_lt_i32 s20, s24
	s_cselect_b32 s20, s21, s13
	s_delay_alu instid0(VALU_DEP_1) | instskip(SKIP_1) | instid1(SALU_CYCLE_1)
	v_and_b32_e32 v1, 0xff, v1
	s_ashr_i32 s21, s20, 31
	s_lshl_b64 s[4:5], s[20:21], 2
	s_delay_alu instid0(VALU_DEP_1)
	v_lshlrev_b32_e32 v149, 6, v1
	s_add_u32 s4, s16, s4
	s_addc_u32 s5, s25, s5
	v_lshl_or_b32 v1, v69, 9, v2
	ds_load_b128 v[119:122], v149
	ds_load_b128 v[123:126], v149 offset:1024
	ds_load_b128 v[127:130], v149 offset:2048
	;; [unrolled: 1-line block ×3, first 2 shown]
	s_clause 0x1
	s_load_b32 s2, s[2:3], 0x0
	s_load_b32 s3, s[4:5], 0x0
	s_add_u32 s6, s22, s15
	s_addc_u32 s7, s23, s18
	v_add_co_u32 v135, s6, s6, v1
	s_delay_alu instid0(VALU_DEP_1) | instskip(SKIP_1) | instid1(VALU_DEP_1)
	v_add_co_ci_u32_e64 v136, null, s7, 0, s6
	s_waitcnt lgkmcnt(0)
	v_mad_i64_i32 v[1:2], null, s28, s17, v[135:136]
	v_mad_i64_i32 v[3:4], null, s29, s17, v[135:136]
	;; [unrolled: 1-line block ×6, first 2 shown]
	s_clause 0x9
	global_load_b128 v[49:52], v[1:2], off
	global_load_b128 v[53:56], v[1:2], off offset:16
	global_load_b128 v[41:44], v[3:4], off
	global_load_b128 v[45:48], v[3:4], off offset:16
	;; [unrolled: 2-line block ×5, first 2 shown]
	v_mad_i64_i32 v[145:146], null, s2, s17, v[135:136]
	v_mad_i64_i32 v[147:148], null, s3, s17, v[135:136]
	s_waitcnt vmcnt(24)
	v_wmma_f32_16x16x16_f16 v[135:142], v[17:24], v[119:126], v[111:118]
	s_waitcnt vmcnt(22)
	v_wmma_f32_16x16x16_f16 v[111:118], v[25:32], v[119:126], v[111:118]
	s_clause 0x3
	global_load_b128 v[17:20], v[143:144], off
	global_load_b128 v[21:24], v[143:144], off offset:16
	global_load_b128 v[25:28], v[145:146], off
	global_load_b128 v[29:32], v[145:146], off offset:16
	v_and_b32_e32 v119, 0xe0, v0
	s_waitcnt vmcnt(24)
	v_wmma_f32_16x16x16_f16 v[135:142], v[57:64], v[127:134], v[135:142]
	s_clause 0x1
	global_load_b128 v[57:60], v[147:148], off
	global_load_b128 v[61:64], v[147:148], off offset:16
	s_waitcnt vmcnt(24)
	v_wmma_f32_16x16x16_f16 v[111:118], v[71:78], v[127:134], v[111:118]
	ds_load_b128 v[71:74], v149 offset:4096
	ds_load_b128 v[75:78], v149 offset:5120
	v_add_nc_u32_e32 v128, s12, v119
	ds_load_b128 v[119:122], v149 offset:6144
	ds_load_b128 v[123:126], v149 offset:7168
	v_mbcnt_lo_u32_b32 v127, -1, 0
	s_waitcnt vmcnt(0) lgkmcnt(0)
	s_barrier
	v_or_b32_e32 v128, v128, v66
	buffer_gl0_inv
	v_xor_b32_e32 v129, 16, v127
	v_or_b32_e32 v130, 4, v128
	v_or_b32_e32 v131, 6, v128
	s_delay_alu instid0(VALU_DEP_3) | instskip(SKIP_4) | instid1(VALU_DEP_4)
	v_cmp_gt_i32_e32 vcc_lo, 32, v129
	v_or_b32_e32 v132, 8, v128
	v_or_b32_e32 v133, 10, v128
	v_cmp_gt_i32_e64 s3, s24, v130
	v_cmp_gt_i32_e64 s4, s24, v131
	;; [unrolled: 1-line block ×3, first 2 shown]
	v_wmma_f32_16x16x16_f16 v[135:142], v[79:86], v[71:78], v[135:142]
	v_wmma_f32_16x16x16_f16 v[111:118], v[87:94], v[71:78], v[111:118]
	v_or_b32_e32 v79, 12, v128
	v_or_b32_e32 v80, 14, v128
	v_cmp_gt_i32_e64 s6, s24, v133
	v_wmma_f32_16x16x16_f16 v[135:142], v[95:102], v[119:126], v[135:142]
	v_cndmask_b32_e32 v127, v127, v129, vcc_lo
	v_or_b32_e32 v129, 2, v128
	v_wmma_f32_16x16x16_f16 v[111:118], v[103:110], v[119:126], v[111:118]
	v_cmp_gt_i32_e32 vcc_lo, s24, v128
	v_dual_mul_f32 v88, s19, v135 :: v_dual_mul_f32 v87, s19, v136
	s_delay_alu instid0(VALU_DEP_4) | instskip(NEXT) | instid1(VALU_DEP_4)
	v_cmp_gt_i32_e64 s2, s24, v129
	v_mul_f32_e32 v94, s19, v113
	v_mul_f32_e32 v78, s19, v138
	;; [unrolled: 1-line block ×3, first 2 shown]
	v_cndmask_b32_e32 v88, 0xff7fffff, v88, vcc_lo
	v_cndmask_b32_e64 v87, 0xff7fffff, v87, s2
	v_dual_mul_f32 v76, s19, v140 :: v_dual_mul_f32 v77, s19, v139
	v_mul_f32_e32 v90, s19, v117
	v_cndmask_b32_e64 v86, 0xff7fffff, v86, s3
	v_cndmask_b32_e64 v78, 0xff7fffff, v78, s4
	v_max3_f32 v87, v88, 0xff7fffff, v87
	v_or_b32_e32 v81, 16, v128
	v_or_b32_e32 v82, 18, v128
	v_dual_mul_f32 v74, s19, v142 :: v_dual_mul_f32 v75, s19, v141
	v_mul_f32_e32 v92, s19, v115
	v_cndmask_b32_e64 v77, 0xff7fffff, v77, s5
	v_cndmask_b32_e64 v76, 0xff7fffff, v76, s6
	v_max3_f32 v78, v87, v86, v78
	v_cmp_gt_i32_e64 s7, s24, v79
	v_cmp_gt_i32_e64 s8, s24, v80
	v_or_b32_e32 v83, 20, v128
	v_or_b32_e32 v84, 22, v128
	v_dual_mul_f32 v89, s19, v118 :: v_dual_mul_f32 v96, s19, v111
	v_mul_f32_e32 v95, s19, v112
	v_cndmask_b32_e64 v75, 0xff7fffff, v75, s7
	v_cndmask_b32_e64 v74, 0xff7fffff, v74, s8
	v_max3_f32 v76, v78, v77, v76
	v_cmp_gt_i32_e64 s9, s24, v81
	v_cmp_gt_i32_e64 s10, s24, v82
	v_or_b32_e32 v85, 24, v128
	v_or_b32_e32 v71, 26, v128
	v_mul_f32_e32 v93, s19, v114
	v_cndmask_b32_e64 v77, 0xff7fffff, v96, s9
	v_cndmask_b32_e64 v78, 0xff7fffff, v95, s10
	v_max3_f32 v74, v76, v75, v74
	v_cmp_gt_i32_e64 s11, s24, v83
	v_cmp_gt_i32_e64 s12, s24, v84
	v_or_b32_e32 v72, 28, v128
	v_or_b32_e32 v73, 30, v128
	v_mul_f32_e32 v91, s19, v116
	v_cndmask_b32_e64 v75, 0xff7fffff, v94, s11
	v_cndmask_b32_e64 v76, 0xff7fffff, v93, s12
	v_max3_f32 v74, v74, v77, v78
	v_cmp_gt_i32_e64 s13, s24, v85
	v_cmp_gt_i32_e64 s15, s24, v71
	;; [unrolled: 1-line block ×4, first 2 shown]
	v_max3_f32 v74, v74, v75, v76
	v_cndmask_b32_e64 v77, 0xff7fffff, v92, s13
	v_cndmask_b32_e64 v71, 0xff7fffff, v91, s15
	v_cndmask_b32_e64 v72, 0xff7fffff, v90, s16
	v_cndmask_b32_e64 v73, 0xff7fffff, v89, s17
	s_delay_alu instid0(VALU_DEP_3) | instskip(SKIP_1) | instid1(VALU_DEP_2)
	v_max3_f32 v71, v74, v77, v71
	v_lshlrev_b32_e32 v74, 2, v127
	v_max3_f32 v71, v71, v72, v73
	ds_bpermute_b32 v72, v74, v71
	s_waitcnt lgkmcnt(0)
	v_max_f32_e32 v72, v72, v72
	s_delay_alu instid0(VALU_DEP_1) | instskip(NEXT) | instid1(VALU_DEP_1)
	v_max_f32_e32 v71, v71, v72
	v_fma_f32 v75, s19, v137, -v71
	v_fma_f32 v76, s19, v138, -v71
	;; [unrolled: 1-line block ×5, first 2 shown]
	s_delay_alu instid0(VALU_DEP_4) | instskip(NEXT) | instid1(VALU_DEP_4)
	v_dual_mul_f32 v75, 0x3fb8aa3b, v75 :: v_dual_mul_f32 v76, 0x3fb8aa3b, v76
	v_mul_f32_e32 v72, 0x3fb8aa3b, v72
	v_fma_f32 v77, s19, v139, -v71
	s_delay_alu instid0(VALU_DEP_4) | instskip(NEXT) | instid1(VALU_DEP_4)
	v_mul_f32_e32 v73, 0x3fb8aa3b, v73
	v_exp_f32_e32 v75, v75
	v_exp_f32_e32 v76, v76
	;; [unrolled: 1-line block ×3, first 2 shown]
	s_delay_alu instid0(VALU_DEP_1) | instskip(SKIP_2) | instid1(TRANS32_DEP_3)
	v_exp_f32_e32 v73, v73
	v_cndmask_b32_e64 v81, 0, v75, s3
	v_mul_f32_e32 v82, 0x3fb8aa3b, v80
	v_cndmask_b32_e64 v80, 0, v76, s4
	s_waitcnt_depctr 0xfff
	v_cndmask_b32_e64 v78, 0, v73, s2
	v_cmp_gt_u32_e64 s2, 16, v70
	v_exp_f32_e32 v84, v82
	s_waitcnt_depctr 0xfff
	v_cndmask_b32_e64 v85, 0, v84, s7
	v_cndmask_b32_e32 v79, 0, v72, vcc_lo
	v_fma_f32 v72, s19, v140, -v71
	v_mul_f32_e32 v77, 0x3fb8aa3b, v77
	s_delay_alu instid0(VALU_DEP_2) | instskip(NEXT) | instid1(VALU_DEP_2)
	v_dual_add_f32 v73, 0, v79 :: v_dual_mul_f32 v72, 0x3fb8aa3b, v72
	v_exp_f32_e32 v77, v77
	s_delay_alu instid0(VALU_DEP_1) | instskip(NEXT) | instid1(VALU_DEP_2)
	v_add_f32_e32 v73, v73, v78
	v_exp_f32_e32 v72, v72
	s_delay_alu instid0(VALU_DEP_1) | instskip(SKIP_4) | instid1(VALU_DEP_2)
	v_add_f32_e32 v73, v73, v81
	s_waitcnt_depctr 0xfff
	v_cndmask_b32_e64 v83, 0, v77, s5
	v_add_f32_e32 v73, v73, v80
	v_cndmask_b32_e64 v82, 0, v72, s6
	v_add_f32_e32 v72, v73, v83
	s_delay_alu instid0(VALU_DEP_1)
	v_add_f32_e32 v72, v72, v82
	v_fma_f32 v75, s19, v142, -v71
	v_fma_f32 v76, s19, v111, -v71
	;; [unrolled: 1-line block ×5, first 2 shown]
	s_delay_alu instid0(VALU_DEP_4) | instskip(NEXT) | instid1(VALU_DEP_4)
	v_dual_mul_f32 v75, 0x3fb8aa3b, v75 :: v_dual_mul_f32 v76, 0x3fb8aa3b, v76
	v_mul_f32_e32 v86, 0x3fb8aa3b, v86
	v_add_f32_e32 v72, v72, v85
	s_delay_alu instid0(VALU_DEP_3) | instskip(NEXT) | instid1(VALU_DEP_3)
	v_exp_f32_e32 v75, v75
	v_exp_f32_e32 v76, v76
	s_delay_alu instid0(VALU_DEP_2) | instskip(NEXT) | instid1(TRANS32_DEP_3)
	v_exp_f32_e32 v88, v86
	v_cndmask_b32_e64 v84, 0, v75, s8
	v_mul_f32_e32 v77, 0x3fb8aa3b, v77
	s_waitcnt_depctr 0xfff
	v_cndmask_b32_e64 v87, 0, v76, s9
	v_fma_f32 v76, s19, v116, -v71
	v_dual_mul_f32 v73, 0x3fb8aa3b, v73 :: v_dual_add_f32 v72, v72, v84
	v_exp_f32_e32 v77, v77
	v_fma_f32 v75, s19, v115, -v71
	s_delay_alu instid0(VALU_DEP_3) | instskip(NEXT) | instid1(VALU_DEP_3)
	v_mul_f32_e32 v76, 0x3fb8aa3b, v76
	v_exp_f32_e32 v73, v73
	v_add_f32_e32 v72, v72, v87
	v_cndmask_b32_e64 v88, 0, v88, s12
	s_delay_alu instid0(VALU_DEP_3) | instskip(NEXT) | instid1(TRANS32_DEP_3)
	v_exp_f32_e32 v76, v76
	v_cndmask_b32_e64 v86, 0, v77, s10
	v_mul_f32_e32 v75, 0x3fb8aa3b, v75
	v_fma_f32 v77, s19, v117, -v71
	s_delay_alu instid0(TRANS32_DEP_2) | instskip(NEXT) | instid1(VALU_DEP_4)
	v_cndmask_b32_e64 v89, 0, v73, s11
	v_add_f32_e32 v72, v72, v86
	s_delay_alu instid0(VALU_DEP_4) | instskip(NEXT) | instid1(TRANS32_DEP_2)
	v_exp_f32_e32 v75, v75
	v_cndmask_b32_e64 v90, 0, v76, s15
	s_delay_alu instid0(VALU_DEP_2) | instskip(SKIP_2) | instid1(VALU_DEP_3)
	v_add_f32_e32 v72, v72, v89
	v_mul_f32_e32 v73, 0x3fb8aa3b, v77
	v_fma_f32 v77, s19, v118, -v71
	v_add_f32_e32 v72, v72, v88
	s_delay_alu instid0(VALU_DEP_3) | instskip(NEXT) | instid1(TRANS32_DEP_2)
	v_exp_f32_e32 v73, v73
	v_cndmask_b32_e64 v91, 0, v75, s13
	s_delay_alu instid0(VALU_DEP_1) | instskip(NEXT) | instid1(VALU_DEP_1)
	v_dual_mul_f32 v75, 0x3fb8aa3b, v77 :: v_dual_add_f32 v72, v72, v91
	v_exp_f32_e32 v75, v75
	s_waitcnt_depctr 0xfff
	v_cndmask_b32_e64 v93, 0, v73, s16
	v_add_f32_e32 v72, v72, v90
	s_delay_alu instid0(VALU_DEP_1) | instskip(SKIP_1) | instid1(VALU_DEP_1)
	v_add_f32_e32 v72, v72, v93
	v_cndmask_b32_e64 v92, 0, v75, s17
	v_add_f32_e32 v72, v72, v92
	ds_bpermute_b32 v73, v74, v72
	s_and_saveexec_b32 s3, s2
	s_cbranch_execz .LBB1074_12
; %bb.11:
	v_mul_u32_u24_e32 v70, 0x44, v69
	s_waitcnt lgkmcnt(0)
	v_add_f32_e32 v72, v72, v73
	s_delay_alu instid0(VALU_DEP_2) | instskip(NEXT) | instid1(VALU_DEP_1)
	v_lshl_add_u32 v70, v68, 2, v70
	v_add_nc_u32_e32 v70, 0x4000, v70
	ds_store_2addr_b32 v70, v71, v72 offset1:136
.LBB1074_12:
	s_or_b32 exec_lo, exec_lo, s3
	v_lshlrev_b32_e32 v70, 2, v68
	s_load_b32 s35, s[0:1], 0x94
	s_waitcnt lgkmcnt(0)
	s_barrier
	buffer_gl0_inv
	v_add_nc_u32_e32 v98, 0x4000, v70
	v_cmp_eq_u32_e32 vcc_lo, 1, v69
	v_cmp_eq_u32_e64 s3, 2, v69
	v_cmp_eq_u32_e64 s4, 3, v69
	v_cmp_eq_u32_e64 s5, 4, v69
	ds_load_2addr_b32 v[70:71], v98 offset1:17
	ds_load_2addr_b32 v[72:73], v98 offset0:34 offset1:51
	ds_load_2addr_b32 v[74:75], v98 offset0:68 offset1:85
	;; [unrolled: 1-line block ×3, first 2 shown]
	v_cmp_eq_u32_e64 s6, 5, v69
	v_cmp_eq_u32_e64 s7, 7, v69
	s_waitcnt lgkmcnt(3)
	v_max3_f32 v76, v70, 0xff7fffff, v71
	s_waitcnt lgkmcnt(2)
	s_delay_alu instid0(VALU_DEP_1) | instskip(SKIP_1) | instid1(VALU_DEP_1)
	v_max3_f32 v76, v76, v72, v73
	s_waitcnt lgkmcnt(1)
	v_max3_f32 v76, v76, v74, v75
	s_waitcnt lgkmcnt(0)
	s_delay_alu instid0(VALU_DEP_1) | instskip(NEXT) | instid1(VALU_DEP_1)
	v_max3_f32 v76, v76, v94, v95
	v_sub_f32_e32 v77, v71, v76
	ds_load_2addr_b32 v[96:97], v98 offset0:136 offset1:153
	v_sub_f32_e32 v74, v74, v76
	v_sub_f32_e32 v70, v70, v76
	;; [unrolled: 1-line block ×3, first 2 shown]
	v_dual_sub_f32 v72, v72, v76 :: v_dual_mul_f32 v77, 0x3fb8aa3b, v77
	s_delay_alu instid0(VALU_DEP_4) | instskip(NEXT) | instid1(VALU_DEP_4)
	v_mul_f32_e32 v103, 0x3fb8aa3b, v74
	v_mul_f32_e32 v99, 0x3fb8aa3b, v70
	ds_load_2addr_b32 v[70:71], v98 offset0:170 offset1:187
	v_dual_mul_f32 v101, 0x3fb8aa3b, v72 :: v_dual_mul_f32 v94, 0x3fb8aa3b, v94
	v_exp_f32_e32 v102, v77
	v_exp_f32_e32 v99, v99
	s_delay_alu instid0(VALU_DEP_1) | instskip(NEXT) | instid1(VALU_DEP_1)
	v_exp_f32_e32 v101, v101
	v_exp_f32_e32 v94, v94
	s_waitcnt lgkmcnt(1)
	s_delay_alu instid0(TRANS32_DEP_3)
	v_fma_f32 v77, v99, v96, 0
	v_sub_f32_e32 v100, v73, v76
	ds_load_2addr_b32 v[72:73], v98 offset0:204 offset1:221
	v_fmac_f32_e32 v77, v102, v97
	v_exp_f32_e32 v97, v103
	s_waitcnt lgkmcnt(1)
	s_delay_alu instid0(VALU_DEP_1)
	v_dual_fmac_f32 v77, v101, v70 :: v_dual_sub_f32 v96, v75, v76
	ds_load_2addr_b32 v[74:75], v98 offset0:238 offset1:255
	v_sub_f32_e32 v70, v95, v76
	s_waitcnt lgkmcnt(0)
	s_barrier
	v_mul_f32_e32 v96, 0x3fb8aa3b, v96
	buffer_gl0_inv
	v_exp_f32_e32 v95, v96
	v_mul_f32_e32 v100, 0x3fb8aa3b, v100
	s_delay_alu instid0(VALU_DEP_1) | instskip(SKIP_3) | instid1(VALU_DEP_2)
	v_exp_f32_e32 v100, v100
	s_waitcnt_depctr 0xfff
	v_dual_fmac_f32 v77, v100, v71 :: v_dual_mul_f32 v70, 0x3fb8aa3b, v70
	v_cndmask_b32_e32 v71, v99, v102, vcc_lo
	v_fmac_f32_e32 v77, v97, v72
	s_delay_alu instid0(VALU_DEP_3) | instskip(NEXT) | instid1(VALU_DEP_1)
	v_exp_f32_e32 v96, v70
	v_fmac_f32_e32 v77, v95, v73
	s_delay_alu instid0(VALU_DEP_1) | instskip(SKIP_2) | instid1(VALU_DEP_1)
	v_fmac_f32_e32 v77, v94, v74
	s_waitcnt_depctr 0xfff
	v_fmac_f32_e32 v77, v96, v75
	v_add_f32_e32 v74, 0x358637bd, v77
	s_delay_alu instid0(VALU_DEP_1) | instskip(SKIP_1) | instid1(VALU_DEP_2)
	v_div_scale_f32 v98, null, v74, v74, 1.0
	v_div_scale_f32 v99, vcc_lo, 1.0, v74, 1.0
	v_rcp_f32_e32 v103, v98
	s_waitcnt_depctr 0xfff
	v_fma_f32 v70, -v98, v103, 1.0
	s_delay_alu instid0(VALU_DEP_1) | instskip(SKIP_2) | instid1(VALU_DEP_2)
	v_fmac_f32_e32 v103, v70, v103
	v_cndmask_b32_e64 v70, v71, v101, s3
	v_cmp_eq_u32_e64 s3, 6, v69
	v_cndmask_b32_e64 v71, v70, v100, s4
	s_delay_alu instid0(VALU_DEP_4) | instskip(NEXT) | instid1(VALU_DEP_2)
	v_dual_mul_f32 v101, v99, v103 :: v_dual_lshlrev_b32 v70, 2, v66
	v_cndmask_b32_e64 v71, v71, v97, s5
	s_delay_alu instid0(VALU_DEP_2) | instskip(NEXT) | instid1(VALU_DEP_3)
	v_or_b32_e32 v72, 1, v70
	v_fma_f32 v100, -v98, v101, v99
	v_cmp_eq_u32_e64 s4, 1, v70
	v_cmp_eq_u32_e64 s5, 2, v70
	v_cndmask_b32_e64 v95, v71, v95, s6
	v_or_b32_e32 v71, 3, v70
	v_fmac_f32_e32 v101, v100, v103
	v_cmp_eq_u32_e64 s9, 1, v72
	v_cmp_eq_u32_e64 s12, 2, v72
	v_cndmask_b32_e64 v94, v95, v94, s3
	v_cmp_eq_u32_e64 s11, 1, v71
	v_fma_f32 v97, -v98, v101, v99
	v_cmp_eq_u32_e64 s16, 2, v71
	v_cmp_eq_u32_e64 s13, 3, v72
	v_cndmask_b32_e64 v94, v94, v96, s7
	v_cmp_eq_u32_e64 s18, 3, v71
	v_div_fmas_f32 v95, v97, v103, v101
	v_cmp_eq_u32_e32 vcc_lo, 3, v70
	v_cmp_eq_u32_e64 s3, 4, v70
	v_cmp_eq_u32_e64 s19, 4, v72
	v_cmp_eq_u32_e64 s22, 4, v71
	v_div_fixup_f32 v95, v95, v74, 1.0
	v_lshlrev_b32_e32 v73, 6, v68
	v_cmp_eq_u32_e64 s6, 5, v70
	v_cmp_eq_u32_e64 s20, 5, v72
	;; [unrolled: 1-line block ×3, first 2 shown]
	v_mul_f32_e32 v102, v94, v95
	v_lshl_or_b32 v75, v69, 11, v73
	v_or_b32_e32 v69, 2, v70
	v_cmp_eq_u32_e64 s25, 6, v72
	v_cmp_eq_u32_e64 s27, 6, v71
	v_fma_mixlo_f16 v94, v102, v79, 0
	v_fma_mixlo_f16 v95, v102, v81, 0
	;; [unrolled: 1-line block ×8, first 2 shown]
	v_lshl_or_b32 v74, v66, 4, v75
	v_fma_mixhi_f16 v94, v102, v78, 0
	v_fma_mixhi_f16 v95, v102, v80, 0
	;; [unrolled: 1-line block ×8, first 2 shown]
	ds_store_b128 v74, v[94:97]
	ds_store_b128 v74, v[98:101] offset:1024
	s_waitcnt lgkmcnt(0)
	s_barrier
	buffer_gl0_inv
	ds_load_b128 v[78:81], v75
	ds_load_b128 v[82:85], v75 offset:16
	ds_load_b128 v[86:89], v75 offset:1024
	ds_load_b128 v[90:93], v75 offset:1040
	v_cmp_eq_u32_e64 s10, 1, v69
	v_cmp_eq_u32_e64 s15, 2, v69
	;; [unrolled: 1-line block ×11, first 2 shown]
	s_waitcnt lgkmcnt(3)
	v_lshrrev_b32_e32 v94, 16, v78
	s_waitcnt lgkmcnt(2)
	v_lshrrev_b32_e32 v98, 16, v82
	;; [unrolled: 2-line block ×4, first 2 shown]
	v_lshrrev_b32_e32 v95, 16, v79
	v_cndmask_b32_e64 v110, v78, v94, s4
	v_cndmask_b32_e64 v111, v82, v98, s4
	;; [unrolled: 1-line block ×8, first 2 shown]
	v_lshrrev_b32_e32 v99, 16, v83
	v_cndmask_b32_e64 v94, v86, v102, s4
	v_cndmask_b32_e64 v98, v90, v106, s4
	;; [unrolled: 1-line block ×15, first 2 shown]
	v_lshrrev_b32_e32 v103, 16, v87
	v_lshrrev_b32_e32 v107, 16, v91
	v_cndmask_b32_e64 v113, v115, v83, s15
	v_cndmask_b32_e64 v82, v94, v87, s5
	v_cndmask_b32_e64 v83, v98, v91, s5
	v_cndmask_b32_e64 v94, v116, v87, s12
	v_cndmask_b32_e64 v98, v118, v87, s15
	v_cndmask_b32_e64 v86, v86, v87, s16
	v_cndmask_b32_e64 v87, v90, v91, s16
	v_cndmask_b32_e32 v90, v102, v95, vcc_lo
	v_cndmask_b32_e32 v102, v106, v99, vcc_lo
	v_cndmask_b32_e64 v106, v110, v95, s13
	v_cndmask_b32_e64 v110, v111, v99, s13
	;; [unrolled: 1-line block ×4, first 2 shown]
	v_lshrrev_b32_e32 v96, 16, v80
	v_lshrrev_b32_e32 v100, 16, v84
	v_cndmask_b32_e64 v111, v112, v95, s17
	v_cndmask_b32_e64 v112, v113, v99, s17
	v_cndmask_b32_e32 v82, v82, v103, vcc_lo
	v_cndmask_b32_e32 v83, v83, v107, vcc_lo
	v_cndmask_b32_e64 v94, v94, v103, s13
	v_cndmask_b32_e64 v90, v90, v80, s3
	;; [unrolled: 1-line block ×7, first 2 shown]
	v_lshrrev_b32_e32 v104, 16, v88
	v_cndmask_b32_e64 v106, v111, v80, s21
	v_cndmask_b32_e64 v110, v112, v84, s21
	;; [unrolled: 1-line block ×11, first 2 shown]
	v_lshrrev_b32_e32 v97, 16, v81
	v_lshrrev_b32_e32 v101, 16, v85
	v_cndmask_b32_e64 v99, v106, v96, s23
	v_cndmask_b32_e64 v102, v110, v100, s23
	;; [unrolled: 1-line block ×7, first 2 shown]
	v_lshrrev_b32_e32 v105, 16, v89
	v_cndmask_b32_e64 v80, v80, v104, s6
	v_cndmask_b32_e64 v84, v84, v81, s7
	;; [unrolled: 1-line block ×16, first 2 shown]
	v_perm_b32 v81, v79, v78, 0x5040100
	v_perm_b32 v79, v95, v85, 0x5040100
	v_cndmask_b32_e64 v78, v119, v91, s15
	v_cndmask_b32_e64 v85, v117, v91, s12
	;; [unrolled: 1-line block ×3, first 2 shown]
	v_perm_b32 v80, v94, v90, 0x5040100
	v_cndmask_b32_e64 v90, v98, v103, s17
	v_cndmask_b32_e64 v86, v86, v103, s18
	;; [unrolled: 1-line block ×5, first 2 shown]
	v_lshrrev_b32_e32 v108, 16, v92
	v_cndmask_b32_e64 v90, v90, v88, s21
	v_cndmask_b32_e64 v86, v86, v88, s22
	v_cndmask_b32_e64 v87, v87, v92, s22
	v_cndmask_b32_e64 v78, v78, v92, s21
	v_cndmask_b32_e64 v85, v85, v92, s19
	v_cndmask_b32_e64 v82, v82, v108, s6
	v_cndmask_b32_e64 v88, v90, v104, s23
	v_cndmask_b32_e64 v86, v86, v104, s24
	v_cndmask_b32_e64 v87, v87, v108, s24
	v_cndmask_b32_e64 v78, v78, v108, s23
	v_cndmask_b32_e64 v85, v85, v108, s20
	v_lshrrev_b32_e32 v109, 16, v93
	v_cndmask_b32_e64 v82, v82, v93, s7
	v_cndmask_b32_e64 v88, v88, v89, s26
	;; [unrolled: 1-line block ×12, first 2 shown]
	v_perm_b32 v78, v84, v83, 0x5040100
	v_perm_b32 v85, v87, v86, 0x5040100
	;; [unrolled: 1-line block ×5, first 2 shown]
	s_mul_i32 s8, s33, 5
	s_mov_b32 s3, exec_lo
	ds_store_b128 v74, v[78:81]
	ds_store_b128 v74, v[82:85] offset:1024
	v_cmpx_gt_u32_e32 5, v0
	s_cbranch_execz .LBB1074_14
; %bb.13:
	s_mul_i32 s4, s8, s34
	s_delay_alu instid0(SALU_CYCLE_1) | instskip(SKIP_1) | instid1(VALU_DEP_1)
	v_add3_u32 v68, s4, s31, v68
	s_load_b128 s[4:7], s[0:1], 0x58
	v_mad_u64_u32 v[78:79], null, v68, s35, s[14:15]
	s_delay_alu instid0(VALU_DEP_1) | instskip(NEXT) | instid1(VALU_DEP_1)
	v_ashrrev_i32_e32 v79, 31, v78
	v_lshlrev_b64 v[78:79], 2, v[78:79]
	s_waitcnt lgkmcnt(0)
	s_delay_alu instid0(VALU_DEP_1) | instskip(NEXT) | instid1(VALU_DEP_2)
	v_add_co_u32 v80, vcc_lo, s6, v78
	v_add_co_ci_u32_e32 v81, vcc_lo, s7, v79, vcc_lo
	v_add_co_u32 v78, vcc_lo, s4, v78
	v_add_co_ci_u32_e32 v79, vcc_lo, s5, v79, vcc_lo
	global_store_b32 v[80:81], v76, off
	global_store_b32 v[78:79], v77, off
.LBB1074_14:
	s_or_b32 exec_lo, exec_lo, s3
	s_waitcnt lgkmcnt(0)
	s_waitcnt_vscnt null, 0x0
	s_barrier
	buffer_gl0_inv
	ds_load_b128 v[84:87], v73
	ds_load_b128 v[88:91], v73 offset:16
	ds_load_b128 v[96:99], v73 offset:2064
	;; [unrolled: 1-line block ×5, first 2 shown]
	v_cmp_eq_u32_e32 vcc_lo, 1, v70
	v_mov_b32_e32 v76, 0
	ds_load_b128 v[112:115], v73 offset:6160
	ds_load_b128 v[108:111], v73 offset:6144
	;; [unrolled: 1-line block ×4, first 2 shown]
	v_cmp_eq_u32_e64 s4, 1, v69
	v_cmp_eq_u32_e64 s3, 1, v72
	v_cmp_eq_u32_e64 s5, 2, v72
	v_mov_b32_e32 v77, v76
	v_mov_b32_e32 v78, v76
	;; [unrolled: 1-line block ×7, first 2 shown]
	v_cmp_eq_u32_e64 s6, 3, v72
	v_cmp_eq_u32_e64 s7, 7, v72
	s_waitcnt lgkmcnt(8)
	s_delay_alu instid0(VALU_DEP_3)
	v_wmma_f32_16x16x16_f16 v[76:83], v[49:56], v[84:91], v[76:83]
	ds_load_b128 v[53:56], v73 offset:10256
	ds_load_b128 v[49:52], v73 offset:10240
	s_waitcnt lgkmcnt(8)
	v_wmma_f32_16x16x16_f16 v[76:83], v[41:48], v[92:99], v[76:83]
	ds_load_b128 v[45:48], v73 offset:12304
	ds_load_b128 v[41:44], v73 offset:12288
	s_waitcnt lgkmcnt(8)
	;; [unrolled: 4-line block ×3, first 2 shown]
	s_barrier
	buffer_gl0_inv
	v_wmma_f32_16x16x16_f16 v[76:83], v[1:8], v[108:115], v[76:83]
	s_delay_alu instid0(VALU_DEP_1) | instskip(NEXT) | instid1(VALU_DEP_1)
	v_wmma_f32_16x16x16_f16 v[76:83], v[9:16], v[116:123], v[76:83]
	v_wmma_f32_16x16x16_f16 v[76:83], v[17:24], v[49:56], v[76:83]
	s_delay_alu instid0(VALU_DEP_1) | instskip(NEXT) | instid1(VALU_DEP_1)
	v_wmma_f32_16x16x16_f16 v[76:83], v[25:32], v[41:48], v[76:83]
	v_wmma_f32_16x16x16_f16 v[76:83], v[57:64], v[33:40], v[76:83]
	s_delay_alu instid0(VALU_DEP_1) | instskip(NEXT) | instid1(VALU_DEP_2)
	v_cvt_f16_f32_e32 v1, v76
	v_cvt_f16_f32_e32 v2, v77
	s_delay_alu instid0(VALU_DEP_3) | instskip(NEXT) | instid1(VALU_DEP_4)
	v_cvt_f16_f32_e32 v3, v78
	v_cvt_f16_f32_e32 v4, v79
	;; [unrolled: 1-line block ×6, first 2 shown]
	v_pack_b32_f16 v1, v1, v2
	v_pack_b32_f16 v2, v3, v4
	;; [unrolled: 1-line block ×3, first 2 shown]
	s_delay_alu instid0(VALU_DEP_4)
	v_pack_b32_f16 v4, v7, v8
	ds_store_b128 v74, v[1:4]
	s_waitcnt lgkmcnt(0)
	s_barrier
	buffer_gl0_inv
	ds_load_b128 v[1:4], v75
	ds_load_b128 v[5:8], v75 offset:16
	s_waitcnt lgkmcnt(1)
	v_lshrrev_b32_e32 v9, 16, v1
	s_waitcnt lgkmcnt(0)
	v_lshrrev_b32_e32 v13, 16, v5
	v_lshrrev_b32_e32 v10, 16, v2
	;; [unrolled: 1-line block ×4, first 2 shown]
	v_cndmask_b32_e32 v17, v1, v9, vcc_lo
	v_cndmask_b32_e32 v18, v5, v13, vcc_lo
	v_cndmask_b32_e64 v21, v1, v9, s4
	v_cmp_eq_u32_e32 vcc_lo, 1, v71
	v_cndmask_b32_e64 v22, v5, v13, s4
	v_cmp_eq_u32_e64 s4, 2, v70
	v_cndmask_b32_e64 v19, v1, v9, s3
	v_cndmask_b32_e64 v20, v5, v13, s3
	v_cndmask_b32_e32 v1, v1, v9, vcc_lo
	v_cmp_eq_u32_e64 s3, 2, v71
	v_cndmask_b32_e32 v5, v5, v13, vcc_lo
	v_cndmask_b32_e64 v9, v17, v2, s4
	v_cmp_eq_u32_e32 vcc_lo, 3, v70
	v_cndmask_b32_e64 v13, v18, v6, s4
	v_cmp_eq_u32_e64 s4, 2, v69
	v_cndmask_b32_e64 v17, v19, v2, s5
	v_cndmask_b32_e64 v18, v20, v6, s5
	v_cmp_eq_u32_e64 s5, 3, v69
	v_cndmask_b32_e64 v1, v1, v2, s3
	v_cndmask_b32_e64 v19, v21, v2, s4
	;; [unrolled: 1-line block ×4, first 2 shown]
	v_cndmask_b32_e32 v5, v9, v10, vcc_lo
	v_cndmask_b32_e32 v6, v13, v14, vcc_lo
	v_cmp_eq_u32_e32 vcc_lo, 3, v71
	v_cndmask_b32_e64 v9, v17, v10, s6
	v_cndmask_b32_e64 v13, v18, v14, s6
	;; [unrolled: 1-line block ×3, first 2 shown]
	v_cmp_eq_u32_e64 s4, 4, v70
	v_cndmask_b32_e32 v1, v1, v10, vcc_lo
	v_cndmask_b32_e32 v2, v2, v14, vcc_lo
	v_cmp_eq_u32_e32 vcc_lo, 4, v72
	v_lshrrev_b32_e32 v15, 16, v7
	v_lshrrev_b32_e32 v16, 16, v8
	v_cndmask_b32_e64 v17, v19, v10, s5
	v_cmp_eq_u32_e64 s3, 4, v71
	v_cndmask_b32_e64 v5, v5, v3, s4
	v_cndmask_b32_e64 v6, v6, v7, s4
	v_cndmask_b32_e32 v9, v9, v3, vcc_lo
	v_cmp_eq_u32_e64 s4, 5, v72
	v_cndmask_b32_e32 v10, v13, v7, vcc_lo
	v_cmp_eq_u32_e32 vcc_lo, 4, v69
	v_cmp_eq_u32_e64 s5, 5, v70
	v_cndmask_b32_e64 v2, v2, v7, s3
	v_cndmask_b32_e64 v9, v9, v11, s4
	;; [unrolled: 1-line block ×3, first 2 shown]
	v_cndmask_b32_e32 v13, v17, v3, vcc_lo
	v_cmp_eq_u32_e64 s4, 5, v69
	v_cndmask_b32_e32 v14, v18, v7, vcc_lo
	v_cndmask_b32_e64 v1, v1, v3, s3
	v_cmp_eq_u32_e32 vcc_lo, 5, v71
	v_lshrrev_b32_e32 v12, 16, v4
	v_cndmask_b32_e64 v13, v13, v11, s4
	v_cndmask_b32_e64 v3, v14, v15, s4
	v_cmp_eq_u32_e64 s4, 6, v71
	v_cndmask_b32_e32 v1, v1, v11, vcc_lo
	v_cndmask_b32_e64 v5, v5, v11, s5
	v_cmp_eq_u32_e64 s6, 6, v70
	v_cndmask_b32_e64 v6, v6, v15, s5
	v_cmp_eq_u32_e64 s5, 6, v72
	v_cmp_eq_u32_e64 s3, 6, v69
	v_cndmask_b32_e64 v1, v1, v4, s4
	v_cndmask_b32_e32 v2, v2, v15, vcc_lo
	v_cmp_eq_u32_e32 vcc_lo, 7, v71
	v_cndmask_b32_e64 v5, v5, v4, s6
	v_cndmask_b32_e64 v9, v9, v4, s5
	;; [unrolled: 1-line block ×3, first 2 shown]
	v_cmp_eq_u32_e64 s6, 7, v70
	v_cndmask_b32_e32 v1, v1, v12, vcc_lo
	v_cndmask_b32_e64 v7, v13, v4, s3
	v_cndmask_b32_e64 v3, v3, v8, s3
	;; [unrolled: 1-line block ×3, first 2 shown]
	v_cmp_eq_u32_e64 s3, 7, v69
	v_cndmask_b32_e64 v4, v10, v8, s5
	v_cndmask_b32_e64 v5, v5, v12, s6
	;; [unrolled: 1-line block ×3, first 2 shown]
	v_cndmask_b32_e32 v2, v2, v16, vcc_lo
	v_cndmask_b32_e64 v7, v7, v12, s3
	v_cndmask_b32_e64 v3, v3, v16, s3
	;; [unrolled: 1-line block ×4, first 2 shown]
	v_perm_b32 v4, v2, v1, 0x5040100
	s_mov_b32 s3, exec_lo
	v_perm_b32 v3, v3, v7, 0x5040100
	v_perm_b32 v2, v8, v9, 0x5040100
	;; [unrolled: 1-line block ×3, first 2 shown]
	ds_store_b128 v74, v[1:4]
	s_waitcnt lgkmcnt(0)
	s_barrier
	buffer_gl0_inv
	v_cmpx_gt_u32_e32 32, v0
	s_cbranch_execz .LBB1074_2
; %bb.15:
	s_load_b64 s[4:5], s[0:1], 0x68
	v_lshlrev_b32_e32 v0, 10, v0
	v_add_nc_u32_e32 v2, s31, v66
	v_lshlrev_b32_e32 v3, 4, v67
	s_lshl_b32 s0, s35, 7
	s_delay_alu instid0(SALU_CYCLE_1) | instskip(NEXT) | instid1(VALU_DEP_2)
	s_mul_i32 s1, s0, s34
	v_mul_lo_u32 v1, v2, s0
	s_delay_alu instid0(VALU_DEP_2) | instskip(SKIP_2) | instid1(SALU_CYCLE_1)
	v_and_or_b32 v0, 0x3800, v0, v3
	v_add_nc_u32_e32 v2, 2, v2
	s_mul_i32 s6, s1, s8
	s_ashr_i32 s7, s6, 31
	s_delay_alu instid0(VALU_DEP_2)
	v_lshl_or_b32 v7, v66, 6, v0
	s_lshl_b64 s[6:7], s[6:7], 1
	v_mul_lo_u32 v11, v2, s0
	v_ashrrev_i32_e32 v2, 31, v1
	ds_load_b128 v[3:6], v7
	ds_load_b128 v[7:10], v7 offset:128
	s_waitcnt lgkmcnt(0)
	s_add_u32 s1, s4, s6
	s_addc_u32 s3, s5, s7
	s_lshl_b32 s4, s14, 7
	v_ashrrev_i32_e32 v12, 31, v11
	s_ashr_i32 s5, s4, 31
	v_lshlrev_b64 v[13:14], 1, v[1:2]
	s_lshl_b64 s[4:5], s[4:5], 1
	s_delay_alu instid0(SALU_CYCLE_1) | instskip(SKIP_2) | instid1(VALU_DEP_1)
	s_add_u32 s1, s1, s4
	s_addc_u32 s3, s3, s5
	v_add_co_u32 v1, s1, s1, v65
	v_add_co_ci_u32_e64 v2, null, s3, 0, s1
	v_lshlrev_b64 v[11:12], 1, v[11:12]
	s_delay_alu instid0(VALU_DEP_3) | instskip(NEXT) | instid1(VALU_DEP_3)
	v_add_co_u32 v13, vcc_lo, v1, v13
	v_add_co_ci_u32_e32 v14, vcc_lo, v2, v14, vcc_lo
	s_delay_alu instid0(VALU_DEP_3) | instskip(NEXT) | instid1(VALU_DEP_4)
	v_add_co_u32 v11, vcc_lo, v1, v11
	v_add_co_ci_u32_e32 v12, vcc_lo, v2, v12, vcc_lo
	s_clause 0x1
	global_store_b128 v[13:14], v[3:6], off
	global_store_b128 v[11:12], v[7:10], off
	s_and_b32 exec_lo, exec_lo, s2
	s_cbranch_execz .LBB1074_2
; %bb.16:
	ds_load_b128 v[3:6], v0 offset:256
	s_add_i32 s1, s31, 4
	s_delay_alu instid0(SALU_CYCLE_1) | instskip(NEXT) | instid1(SALU_CYCLE_1)
	s_mul_i32 s0, s1, s0
	s_ashr_i32 s1, s0, 31
	s_delay_alu instid0(SALU_CYCLE_1) | instskip(NEXT) | instid1(SALU_CYCLE_1)
	s_lshl_b64 s[0:1], s[0:1], 1
	v_add_co_u32 v0, vcc_lo, v1, s0
	v_add_co_ci_u32_e32 v1, vcc_lo, s1, v2, vcc_lo
	s_waitcnt lgkmcnt(0)
	global_store_b128 v[0:1], v[3:6], off
	s_nop 0
	s_sendmsg sendmsg(MSG_DEALLOC_VGPRS)
	s_endpgm
	.section	.rodata,"a",@progbits
	.p2align	6, 0x0
	.amdhsa_kernel _Z39paged_attention_ll4mi_QKV_mfma16_kernelIDF16_hLN4vllm18Fp8KVCacheDataTypeE1EDF16_Li32ELi128ELi256ELb0ELi5EL8MFMAType1EEvPKT_PKT0_S8_ifPKiSA_SA_iPKfiiiPfSD_PS3_PT2_iSC_SC_
		.amdhsa_group_segment_fixed_size 17472
		.amdhsa_private_segment_fixed_size 0
		.amdhsa_kernarg_size 400
		.amdhsa_user_sgpr_count 13
		.amdhsa_user_sgpr_dispatch_ptr 0
		.amdhsa_user_sgpr_queue_ptr 0
		.amdhsa_user_sgpr_kernarg_segment_ptr 1
		.amdhsa_user_sgpr_dispatch_id 0
		.amdhsa_user_sgpr_private_segment_size 0
		.amdhsa_wavefront_size32 1
		.amdhsa_uses_dynamic_stack 0
		.amdhsa_enable_private_segment 0
		.amdhsa_system_sgpr_workgroup_id_x 1
		.amdhsa_system_sgpr_workgroup_id_y 1
		.amdhsa_system_sgpr_workgroup_id_z 1
		.amdhsa_system_sgpr_workgroup_info 0
		.amdhsa_system_vgpr_workitem_id 0
		.amdhsa_next_free_vgpr 150
		.amdhsa_next_free_sgpr 37
		.amdhsa_reserve_vcc 1
		.amdhsa_float_round_mode_32 0
		.amdhsa_float_round_mode_16_64 0
		.amdhsa_float_denorm_mode_32 3
		.amdhsa_float_denorm_mode_16_64 3
		.amdhsa_dx10_clamp 1
		.amdhsa_ieee_mode 1
		.amdhsa_fp16_overflow 0
		.amdhsa_workgroup_processor_mode 1
		.amdhsa_memory_ordered 1
		.amdhsa_forward_progress 0
		.amdhsa_shared_vgpr_count 0
		.amdhsa_exception_fp_ieee_invalid_op 0
		.amdhsa_exception_fp_denorm_src 0
		.amdhsa_exception_fp_ieee_div_zero 0
		.amdhsa_exception_fp_ieee_overflow 0
		.amdhsa_exception_fp_ieee_underflow 0
		.amdhsa_exception_fp_ieee_inexact 0
		.amdhsa_exception_int_div_zero 0
	.end_amdhsa_kernel
	.section	.text._Z39paged_attention_ll4mi_QKV_mfma16_kernelIDF16_hLN4vllm18Fp8KVCacheDataTypeE1EDF16_Li32ELi128ELi256ELb0ELi5EL8MFMAType1EEvPKT_PKT0_S8_ifPKiSA_SA_iPKfiiiPfSD_PS3_PT2_iSC_SC_,"axG",@progbits,_Z39paged_attention_ll4mi_QKV_mfma16_kernelIDF16_hLN4vllm18Fp8KVCacheDataTypeE1EDF16_Li32ELi128ELi256ELb0ELi5EL8MFMAType1EEvPKT_PKT0_S8_ifPKiSA_SA_iPKfiiiPfSD_PS3_PT2_iSC_SC_,comdat
.Lfunc_end1074:
	.size	_Z39paged_attention_ll4mi_QKV_mfma16_kernelIDF16_hLN4vllm18Fp8KVCacheDataTypeE1EDF16_Li32ELi128ELi256ELb0ELi5EL8MFMAType1EEvPKT_PKT0_S8_ifPKiSA_SA_iPKfiiiPfSD_PS3_PT2_iSC_SC_, .Lfunc_end1074-_Z39paged_attention_ll4mi_QKV_mfma16_kernelIDF16_hLN4vllm18Fp8KVCacheDataTypeE1EDF16_Li32ELi128ELi256ELb0ELi5EL8MFMAType1EEvPKT_PKT0_S8_ifPKiSA_SA_iPKfiiiPfSD_PS3_PT2_iSC_SC_
                                        ; -- End function
	.section	.AMDGPU.csdata,"",@progbits
; Kernel info:
; codeLenInByte = 6660
; NumSgprs: 39
; NumVgprs: 150
; ScratchSize: 0
; MemoryBound: 0
; FloatMode: 240
; IeeeMode: 1
; LDSByteSize: 17472 bytes/workgroup (compile time only)
; SGPRBlocks: 4
; VGPRBlocks: 18
; NumSGPRsForWavesPerEU: 39
; NumVGPRsForWavesPerEU: 150
; Occupancy: 9
; WaveLimiterHint : 1
; COMPUTE_PGM_RSRC2:SCRATCH_EN: 0
; COMPUTE_PGM_RSRC2:USER_SGPR: 13
; COMPUTE_PGM_RSRC2:TRAP_HANDLER: 0
; COMPUTE_PGM_RSRC2:TGID_X_EN: 1
; COMPUTE_PGM_RSRC2:TGID_Y_EN: 1
; COMPUTE_PGM_RSRC2:TGID_Z_EN: 1
; COMPUTE_PGM_RSRC2:TIDIG_COMP_CNT: 0
	.section	.text._Z39paged_attention_ll4mi_QKV_mfma16_kernelIDF16_hLN4vllm18Fp8KVCacheDataTypeE1EDF16_Li32ELi128ELi256ELb0ELi6EL8MFMAType1EEvPKT_PKT0_S8_ifPKiSA_SA_iPKfiiiPfSD_PS3_PT2_iSC_SC_,"axG",@progbits,_Z39paged_attention_ll4mi_QKV_mfma16_kernelIDF16_hLN4vllm18Fp8KVCacheDataTypeE1EDF16_Li32ELi128ELi256ELb0ELi6EL8MFMAType1EEvPKT_PKT0_S8_ifPKiSA_SA_iPKfiiiPfSD_PS3_PT2_iSC_SC_,comdat
	.protected	_Z39paged_attention_ll4mi_QKV_mfma16_kernelIDF16_hLN4vllm18Fp8KVCacheDataTypeE1EDF16_Li32ELi128ELi256ELb0ELi6EL8MFMAType1EEvPKT_PKT0_S8_ifPKiSA_SA_iPKfiiiPfSD_PS3_PT2_iSC_SC_ ; -- Begin function _Z39paged_attention_ll4mi_QKV_mfma16_kernelIDF16_hLN4vllm18Fp8KVCacheDataTypeE1EDF16_Li32ELi128ELi256ELb0ELi6EL8MFMAType1EEvPKT_PKT0_S8_ifPKiSA_SA_iPKfiiiPfSD_PS3_PT2_iSC_SC_
	.globl	_Z39paged_attention_ll4mi_QKV_mfma16_kernelIDF16_hLN4vllm18Fp8KVCacheDataTypeE1EDF16_Li32ELi128ELi256ELb0ELi6EL8MFMAType1EEvPKT_PKT0_S8_ifPKiSA_SA_iPKfiiiPfSD_PS3_PT2_iSC_SC_
	.p2align	8
	.type	_Z39paged_attention_ll4mi_QKV_mfma16_kernelIDF16_hLN4vllm18Fp8KVCacheDataTypeE1EDF16_Li32ELi128ELi256ELb0ELi6EL8MFMAType1EEvPKT_PKT0_S8_ifPKiSA_SA_iPKfiiiPfSD_PS3_PT2_iSC_SC_,@function
_Z39paged_attention_ll4mi_QKV_mfma16_kernelIDF16_hLN4vllm18Fp8KVCacheDataTypeE1EDF16_Li32ELi128ELi256ELb0ELi6EL8MFMAType1EEvPKT_PKT0_S8_ifPKiSA_SA_iPKfiiiPfSD_PS3_PT2_iSC_SC_: ; @_Z39paged_attention_ll4mi_QKV_mfma16_kernelIDF16_hLN4vllm18Fp8KVCacheDataTypeE1EDF16_Li32ELi128ELi256ELb0ELi6EL8MFMAType1EEvPKT_PKT0_S8_ifPKiSA_SA_iPKfiiiPfSD_PS3_PT2_iSC_SC_
; %bb.0:
	s_load_b64 s[4:5], s[0:1], 0x30
	s_mov_b32 s30, s13
	s_waitcnt lgkmcnt(0)
	s_cmp_lg_u64 s[4:5], 0
	s_cselect_b32 s8, -1, 0
	s_ashr_i32 s31, s13, 31
	s_cmp_eq_u64 s[4:5], 0
	s_cbranch_scc1 .LBB1075_3
; %bb.1:
	s_lshl_b64 s[2:3], s[30:31], 2
	s_delay_alu instid0(SALU_CYCLE_1) | instskip(SKIP_4) | instid1(SALU_CYCLE_1)
	s_add_u32 s2, s4, s2
	s_addc_u32 s3, s5, s3
	s_load_b64 s[2:3], s[2:3], 0x0
	s_waitcnt lgkmcnt(0)
	s_sub_i32 s2, s3, s2
	s_cmp_eq_u32 s2, 1
	s_cselect_b32 s2, -1, 0
	s_delay_alu instid0(SALU_CYCLE_1)
	s_and_not1_b32 vcc_lo, exec_lo, s2
	s_cbranch_vccz .LBB1075_4
.LBB1075_2:
	s_endpgm
.LBB1075_3:
.LBB1075_4:
	s_load_b64 s[2:3], s[0:1], 0x28
	s_lshl_b64 s[6:7], s[30:31], 2
	s_waitcnt lgkmcnt(0)
	s_add_u32 s2, s2, s6
	s_addc_u32 s3, s3, s7
	s_lshl_b32 s12, s14, 8
	s_load_b32 s24, s[2:3], 0x0
	s_waitcnt lgkmcnt(0)
	s_cmp_ge_i32 s12, s24
	s_cbranch_scc1 .LBB1075_2
; %bb.5:
	s_clause 0x1
	s_load_b128 s[20:23], s[0:1], 0x8
	s_load_b64 s[2:3], s[0:1], 0x20
	s_and_not1_b32 vcc_lo, exec_lo, s8
	s_cbranch_vccnz .LBB1075_7
; %bb.6:
	s_add_u32 s4, s4, s6
	s_addc_u32 s5, s5, s7
	s_load_b32 s5, s[4:5], 0x0
	s_branch .LBB1075_8
.LBB1075_7:
	s_mov_b32 s5, s30
.LBB1075_8:
	s_load_b128 s[16:19], s[0:1], 0x48
	v_and_b32_e32 v68, 15, v0
	v_lshrrev_b32_e32 v69, 5, v0
	v_and_b32_e32 v70, 31, v0
	v_and_b32_e32 v67, 1, v0
	v_bfe_u32 v66, v0, 4, 1
	v_lshlrev_b32_e32 v1, 3, v68
	s_mul_i32 s31, s15, 6
	s_mov_b32 s4, exec_lo
	s_delay_alu instid0(VALU_DEP_1)
	v_lshlrev_b32_e32 v65, 1, v1
	v_cmpx_gt_u32_e32 0x60, v0
	s_cbranch_execz .LBB1075_10
; %bb.9:
	s_load_b64 s[6:7], s[0:1], 0x0
	v_lshl_or_b32 v5, v69, 1, v66
	s_waitcnt lgkmcnt(0)
	s_mul_hi_i32 s9, s5, s16
	s_mul_i32 s8, s5, s16
	v_lshlrev_b32_e32 v6, 10, v68
	s_lshl_b64 s[8:9], s[8:9], 1
	v_add_lshl_u32 v1, v5, s31, 7
	v_lshlrev_b32_e32 v5, 6, v5
	v_lshlrev_b32_e32 v7, 10, v67
	v_and_b32_e32 v6, 0x3800, v6
	s_delay_alu instid0(VALU_DEP_4) | instskip(NEXT) | instid1(VALU_DEP_2)
	v_ashrrev_i32_e32 v2, 31, v1
	v_or3_b32 v5, v6, v7, v5
	s_delay_alu instid0(VALU_DEP_2) | instskip(SKIP_2) | instid1(VALU_DEP_1)
	v_lshlrev_b64 v[1:2], 1, v[1:2]
	s_add_u32 s5, s6, s8
	s_addc_u32 s6, s7, s9
	v_add_co_u32 v1, vcc_lo, s5, v1
	s_delay_alu instid0(VALU_DEP_2) | instskip(NEXT) | instid1(VALU_DEP_2)
	v_add_co_ci_u32_e32 v2, vcc_lo, s6, v2, vcc_lo
	v_add_co_u32 v1, vcc_lo, v1, v65
	s_delay_alu instid0(VALU_DEP_2)
	v_add_co_ci_u32_e32 v2, vcc_lo, 0, v2, vcc_lo
	global_load_b128 v[1:4], v[1:2], off
	s_waitcnt vmcnt(0)
	ds_store_b128 v5, v[1:4]
.LBB1075_10:
	s_or_b32 exec_lo, exec_lo, s4
	v_and_b32_e32 v1, 0xef, v0
	s_waitcnt lgkmcnt(0)
	s_add_i32 s5, s24, 31
	s_clause 0x1
	s_load_b32 s4, s[0:1], 0x38
	s_load_b32 s33, s[0:1], 0x98
	s_ashr_i32 s6, s5, 31
	v_add_nc_u32_e32 v1, s12, v1
	s_lshr_b32 s6, s6, 27
	s_load_b32 s19, s[0:1], 0x1c
	s_add_i32 s5, s5, s6
	s_waitcnt lgkmcnt(0)
	v_ashrrev_i32_e32 v2, 31, v1
	v_or_b32_e32 v3, 16, v1
	s_ashr_i32 s13, s5, 5
	v_cmp_gt_i32_e32 vcc_lo, s24, v1
	s_add_i32 s13, s13, -1
	v_lshrrev_b32_e32 v2, 27, v2
	s_barrier
	buffer_gl0_inv
	s_mul_i32 s15, s15, s18
	v_add_nc_u32_e32 v4, v1, v2
	s_mul_i32 s4, s30, s4
	s_delay_alu instid0(SALU_CYCLE_1) | instskip(NEXT) | instid1(VALU_DEP_1)
	s_ashr_i32 s5, s4, 31
	v_ashrrev_i32_e32 v4, 5, v4
	v_add_nc_u32_e32 v2, v3, v2
	s_lshl_b64 s[4:5], s[4:5], 2
	s_delay_alu instid0(SALU_CYCLE_1) | instskip(NEXT) | instid1(VALU_DEP_2)
	s_add_u32 s16, s2, s4
	v_cndmask_b32_e32 v1, s13, v4, vcc_lo
	s_delay_alu instid0(VALU_DEP_2)
	v_ashrrev_i32_e32 v2, 5, v2
	v_cmp_gt_i32_e32 vcc_lo, s24, v3
	s_addc_u32 s25, s3, s5
	s_ashr_i32 s18, s15, 31
	s_add_u32 s2, s20, s15
	s_addc_u32 s3, s21, s18
	v_cndmask_b32_e32 v3, s13, v2, vcc_lo
	v_ashrrev_i32_e32 v2, 31, v1
	s_lshl_b32 s4, s14, 3
	s_delay_alu instid0(SALU_CYCLE_1) | instskip(NEXT) | instid1(VALU_DEP_2)
	s_ashr_i32 s5, s4, 31
	v_ashrrev_i32_e32 v4, 31, v3
	s_delay_alu instid0(VALU_DEP_2) | instskip(SKIP_1) | instid1(SALU_CYCLE_1)
	v_lshlrev_b64 v[1:2], 2, v[1:2]
	s_lshl_b64 s[4:5], s[4:5], 2
	s_add_u32 s4, s16, s4
	s_delay_alu instid0(VALU_DEP_2) | instskip(SKIP_1) | instid1(VALU_DEP_2)
	v_lshlrev_b64 v[3:4], 2, v[3:4]
	s_addc_u32 s5, s25, s5
	v_add_co_u32 v1, vcc_lo, s16, v1
	v_add_co_ci_u32_e32 v2, vcc_lo, s25, v2, vcc_lo
	s_delay_alu instid0(VALU_DEP_3) | instskip(NEXT) | instid1(VALU_DEP_4)
	v_add_co_u32 v3, vcc_lo, s16, v3
	v_add_co_ci_u32_e32 v4, vcc_lo, s25, v4, vcc_lo
	s_clause 0x1
	global_load_b32 v5, v[1:2], off
	global_load_b32 v6, v[3:4], off
	s_or_b32 s6, s12, 32
	s_delay_alu instid0(SALU_CYCLE_1) | instskip(SKIP_2) | instid1(SALU_CYCLE_1)
	s_ashr_i32 s7, s6, 5
	s_cmp_lt_i32 s6, s24
	s_cselect_b32 s6, s7, s13
	s_ashr_i32 s7, s6, 31
	s_delay_alu instid0(SALU_CYCLE_1) | instskip(NEXT) | instid1(SALU_CYCLE_1)
	s_lshl_b64 s[6:7], s[6:7], 2
	s_add_u32 s6, s16, s6
	s_addc_u32 s7, s25, s7
	s_or_b32 s8, s12, 64
	s_delay_alu instid0(SALU_CYCLE_1) | instskip(SKIP_2) | instid1(SALU_CYCLE_1)
	s_ashr_i32 s9, s8, 5
	s_cmp_lt_i32 s8, s24
	s_cselect_b32 s8, s9, s13
	s_ashr_i32 s9, s8, 31
	s_delay_alu instid0(SALU_CYCLE_1) | instskip(NEXT) | instid1(SALU_CYCLE_1)
	s_lshl_b64 s[8:9], s[8:9], 2
	s_add_u32 s8, s16, s8
	s_addc_u32 s9, s25, s9
	;; [unrolled: 10-line block ×5, first 2 shown]
	s_clause 0x5
	s_load_b32 s28, s[4:5], 0x0
	s_load_b32 s29, s[6:7], 0x0
	;; [unrolled: 1-line block ×6, first 2 shown]
	s_mov_b32 s4, 0
	s_delay_alu instid0(SALU_CYCLE_1)
	s_mov_b32 s5, s4
	s_mov_b32 s6, s4
	s_mov_b32 s7, s4
	s_mov_b32 s8, s4
	s_mov_b32 s9, s4
	s_mov_b32 s10, s4
	s_mov_b32 s11, s4
	s_delay_alu instid0(SALU_CYCLE_1)
	v_dual_mov_b32 v118, s11 :: v_dual_mov_b32 v117, s10
	v_dual_mov_b32 v116, s9 :: v_dual_mov_b32 v115, s8
	v_mov_b32_e32 v113, s6
	v_dual_mov_b32 v111, s4 :: v_dual_mov_b32 v114, s7
	v_mov_b32_e32 v112, s5
	s_waitcnt vmcnt(1)
	v_mad_i64_i32 v[1:2], null, v5, s17, s[2:3]
	v_lshlrev_b32_e32 v5, 4, v68
	s_waitcnt vmcnt(0)
	v_mad_i64_i32 v[3:4], null, v6, s17, s[2:3]
	s_or_b32 s2, s12, 0xc0
	s_delay_alu instid0(SALU_CYCLE_1) | instskip(NEXT) | instid1(VALU_DEP_3)
	s_ashr_i32 s3, s2, 5
	v_add_co_u32 v1, vcc_lo, v1, v5
	s_delay_alu instid0(VALU_DEP_4) | instskip(NEXT) | instid1(VALU_DEP_3)
	v_add_co_ci_u32_e32 v2, vcc_lo, 0, v2, vcc_lo
	v_add_co_u32 v3, vcc_lo, v3, v5
	s_delay_alu instid0(VALU_DEP_4)
	v_add_co_ci_u32_e32 v4, vcc_lo, 0, v4, vcc_lo
	s_clause 0xf
	global_load_b128 v[17:20], v[1:2], off
	global_load_b128 v[21:24], v[1:2], off offset:512
	global_load_b128 v[25:28], v[3:4], off offset:256
	global_load_b128 v[29:32], v[3:4], off offset:768
	global_load_b128 v[57:60], v[1:2], off offset:1024
	global_load_b128 v[61:64], v[1:2], off offset:1536
	global_load_b128 v[71:74], v[3:4], off offset:1280
	global_load_b128 v[75:78], v[3:4], off offset:1792
	global_load_b128 v[79:82], v[1:2], off offset:2048
	global_load_b128 v[83:86], v[1:2], off offset:2560
	global_load_b128 v[87:90], v[3:4], off offset:2304
	global_load_b128 v[91:94], v[3:4], off offset:2816
	global_load_b128 v[95:98], v[1:2], off offset:3072
	global_load_b128 v[99:102], v[1:2], off offset:3584
	global_load_b128 v[103:106], v[3:4], off offset:3328
	global_load_b128 v[107:110], v[3:4], off offset:3840
	v_mul_lo_u16 v1, v68, 43
	s_cmp_lt_i32 s2, s24
	v_lshlrev_b32_e32 v2, 5, v68
	s_cselect_b32 s2, s3, s13
	s_delay_alu instid0(VALU_DEP_2) | instskip(SKIP_1) | instid1(SALU_CYCLE_1)
	v_lshrrev_b16 v1, 8, v1
	s_ashr_i32 s3, s2, 31
	s_lshl_b64 s[2:3], s[2:3], 2
	s_delay_alu instid0(VALU_DEP_1) | instskip(SKIP_3) | instid1(VALU_DEP_1)
	v_mul_lo_u16 v1, v1, 6
	s_add_u32 s2, s16, s2
	s_addc_u32 s3, s25, s3
	s_or_b32 s20, s12, 0xe0
	v_sub_nc_u16 v1, v68, v1
	s_ashr_i32 s21, s20, 5
	s_cmp_lt_i32 s20, s24
	s_cselect_b32 s20, s21, s13
	s_delay_alu instid0(VALU_DEP_1) | instskip(SKIP_1) | instid1(SALU_CYCLE_1)
	v_and_b32_e32 v1, 0xff, v1
	s_ashr_i32 s21, s20, 31
	s_lshl_b64 s[4:5], s[20:21], 2
	s_delay_alu instid0(VALU_DEP_1)
	v_lshlrev_b32_e32 v149, 6, v1
	s_add_u32 s4, s16, s4
	s_addc_u32 s5, s25, s5
	v_lshl_or_b32 v1, v69, 9, v2
	ds_load_b128 v[119:122], v149
	ds_load_b128 v[123:126], v149 offset:1024
	ds_load_b128 v[127:130], v149 offset:2048
	ds_load_b128 v[131:134], v149 offset:3072
	s_clause 0x1
	s_load_b32 s2, s[2:3], 0x0
	s_load_b32 s3, s[4:5], 0x0
	s_add_u32 s6, s22, s15
	s_addc_u32 s7, s23, s18
	v_add_co_u32 v135, s6, s6, v1
	s_delay_alu instid0(VALU_DEP_1) | instskip(SKIP_1) | instid1(VALU_DEP_1)
	v_add_co_ci_u32_e64 v136, null, s7, 0, s6
	s_waitcnt lgkmcnt(0)
	v_mad_i64_i32 v[1:2], null, s28, s17, v[135:136]
	v_mad_i64_i32 v[3:4], null, s29, s17, v[135:136]
	;; [unrolled: 1-line block ×6, first 2 shown]
	s_clause 0x9
	global_load_b128 v[49:52], v[1:2], off
	global_load_b128 v[53:56], v[1:2], off offset:16
	global_load_b128 v[41:44], v[3:4], off
	global_load_b128 v[45:48], v[3:4], off offset:16
	;; [unrolled: 2-line block ×5, first 2 shown]
	v_mad_i64_i32 v[145:146], null, s2, s17, v[135:136]
	v_mad_i64_i32 v[147:148], null, s3, s17, v[135:136]
	s_waitcnt vmcnt(24)
	v_wmma_f32_16x16x16_f16 v[135:142], v[17:24], v[119:126], v[111:118]
	s_waitcnt vmcnt(22)
	v_wmma_f32_16x16x16_f16 v[111:118], v[25:32], v[119:126], v[111:118]
	s_clause 0x3
	global_load_b128 v[17:20], v[143:144], off
	global_load_b128 v[21:24], v[143:144], off offset:16
	global_load_b128 v[25:28], v[145:146], off
	global_load_b128 v[29:32], v[145:146], off offset:16
	v_and_b32_e32 v119, 0xe0, v0
	s_waitcnt vmcnt(24)
	v_wmma_f32_16x16x16_f16 v[135:142], v[57:64], v[127:134], v[135:142]
	s_clause 0x1
	global_load_b128 v[57:60], v[147:148], off
	global_load_b128 v[61:64], v[147:148], off offset:16
	s_waitcnt vmcnt(24)
	v_wmma_f32_16x16x16_f16 v[111:118], v[71:78], v[127:134], v[111:118]
	ds_load_b128 v[71:74], v149 offset:4096
	ds_load_b128 v[75:78], v149 offset:5120
	v_add_nc_u32_e32 v128, s12, v119
	ds_load_b128 v[119:122], v149 offset:6144
	ds_load_b128 v[123:126], v149 offset:7168
	v_mbcnt_lo_u32_b32 v127, -1, 0
	s_waitcnt vmcnt(0) lgkmcnt(0)
	s_barrier
	v_or_b32_e32 v128, v128, v66
	buffer_gl0_inv
	v_xor_b32_e32 v129, 16, v127
	v_or_b32_e32 v130, 4, v128
	v_or_b32_e32 v131, 6, v128
	s_delay_alu instid0(VALU_DEP_3) | instskip(SKIP_4) | instid1(VALU_DEP_4)
	v_cmp_gt_i32_e32 vcc_lo, 32, v129
	v_or_b32_e32 v132, 8, v128
	v_or_b32_e32 v133, 10, v128
	v_cmp_gt_i32_e64 s3, s24, v130
	v_cmp_gt_i32_e64 s4, s24, v131
	;; [unrolled: 1-line block ×3, first 2 shown]
	v_wmma_f32_16x16x16_f16 v[135:142], v[79:86], v[71:78], v[135:142]
	v_wmma_f32_16x16x16_f16 v[111:118], v[87:94], v[71:78], v[111:118]
	v_or_b32_e32 v79, 12, v128
	v_or_b32_e32 v80, 14, v128
	v_cmp_gt_i32_e64 s6, s24, v133
	v_wmma_f32_16x16x16_f16 v[135:142], v[95:102], v[119:126], v[135:142]
	v_cndmask_b32_e32 v127, v127, v129, vcc_lo
	v_or_b32_e32 v129, 2, v128
	v_wmma_f32_16x16x16_f16 v[111:118], v[103:110], v[119:126], v[111:118]
	v_cmp_gt_i32_e32 vcc_lo, s24, v128
	v_dual_mul_f32 v88, s19, v135 :: v_dual_mul_f32 v87, s19, v136
	s_delay_alu instid0(VALU_DEP_4) | instskip(NEXT) | instid1(VALU_DEP_4)
	v_cmp_gt_i32_e64 s2, s24, v129
	v_mul_f32_e32 v94, s19, v113
	v_mul_f32_e32 v78, s19, v138
	v_mul_f32_e32 v86, s19, v137
	v_cndmask_b32_e32 v88, 0xff7fffff, v88, vcc_lo
	v_cndmask_b32_e64 v87, 0xff7fffff, v87, s2
	v_dual_mul_f32 v76, s19, v140 :: v_dual_mul_f32 v77, s19, v139
	v_mul_f32_e32 v90, s19, v117
	v_cndmask_b32_e64 v86, 0xff7fffff, v86, s3
	v_cndmask_b32_e64 v78, 0xff7fffff, v78, s4
	v_max3_f32 v87, v88, 0xff7fffff, v87
	v_or_b32_e32 v81, 16, v128
	v_or_b32_e32 v82, 18, v128
	v_dual_mul_f32 v74, s19, v142 :: v_dual_mul_f32 v75, s19, v141
	v_mul_f32_e32 v92, s19, v115
	v_cndmask_b32_e64 v77, 0xff7fffff, v77, s5
	v_cndmask_b32_e64 v76, 0xff7fffff, v76, s6
	v_max3_f32 v78, v87, v86, v78
	v_cmp_gt_i32_e64 s7, s24, v79
	v_cmp_gt_i32_e64 s8, s24, v80
	v_or_b32_e32 v83, 20, v128
	v_or_b32_e32 v84, 22, v128
	v_dual_mul_f32 v89, s19, v118 :: v_dual_mul_f32 v96, s19, v111
	v_mul_f32_e32 v95, s19, v112
	v_cndmask_b32_e64 v75, 0xff7fffff, v75, s7
	v_cndmask_b32_e64 v74, 0xff7fffff, v74, s8
	v_max3_f32 v76, v78, v77, v76
	v_cmp_gt_i32_e64 s9, s24, v81
	v_cmp_gt_i32_e64 s10, s24, v82
	v_or_b32_e32 v85, 24, v128
	v_or_b32_e32 v71, 26, v128
	v_mul_f32_e32 v93, s19, v114
	v_cndmask_b32_e64 v77, 0xff7fffff, v96, s9
	v_cndmask_b32_e64 v78, 0xff7fffff, v95, s10
	v_max3_f32 v74, v76, v75, v74
	v_cmp_gt_i32_e64 s11, s24, v83
	v_cmp_gt_i32_e64 s12, s24, v84
	v_or_b32_e32 v72, 28, v128
	v_or_b32_e32 v73, 30, v128
	v_mul_f32_e32 v91, s19, v116
	v_cndmask_b32_e64 v75, 0xff7fffff, v94, s11
	v_cndmask_b32_e64 v76, 0xff7fffff, v93, s12
	v_max3_f32 v74, v74, v77, v78
	v_cmp_gt_i32_e64 s13, s24, v85
	v_cmp_gt_i32_e64 s15, s24, v71
	;; [unrolled: 1-line block ×4, first 2 shown]
	v_max3_f32 v74, v74, v75, v76
	v_cndmask_b32_e64 v77, 0xff7fffff, v92, s13
	v_cndmask_b32_e64 v71, 0xff7fffff, v91, s15
	;; [unrolled: 1-line block ×4, first 2 shown]
	s_delay_alu instid0(VALU_DEP_3) | instskip(SKIP_1) | instid1(VALU_DEP_2)
	v_max3_f32 v71, v74, v77, v71
	v_lshlrev_b32_e32 v74, 2, v127
	v_max3_f32 v71, v71, v72, v73
	ds_bpermute_b32 v72, v74, v71
	s_waitcnt lgkmcnt(0)
	v_max_f32_e32 v72, v72, v72
	s_delay_alu instid0(VALU_DEP_1) | instskip(NEXT) | instid1(VALU_DEP_1)
	v_max_f32_e32 v71, v71, v72
	v_fma_f32 v75, s19, v137, -v71
	v_fma_f32 v76, s19, v138, -v71
	;; [unrolled: 1-line block ×5, first 2 shown]
	s_delay_alu instid0(VALU_DEP_4) | instskip(NEXT) | instid1(VALU_DEP_4)
	v_dual_mul_f32 v75, 0x3fb8aa3b, v75 :: v_dual_mul_f32 v76, 0x3fb8aa3b, v76
	v_mul_f32_e32 v72, 0x3fb8aa3b, v72
	v_fma_f32 v77, s19, v139, -v71
	s_delay_alu instid0(VALU_DEP_4) | instskip(NEXT) | instid1(VALU_DEP_4)
	v_mul_f32_e32 v73, 0x3fb8aa3b, v73
	v_exp_f32_e32 v75, v75
	v_exp_f32_e32 v76, v76
	;; [unrolled: 1-line block ×3, first 2 shown]
	s_delay_alu instid0(VALU_DEP_1) | instskip(SKIP_2) | instid1(TRANS32_DEP_3)
	v_exp_f32_e32 v73, v73
	v_cndmask_b32_e64 v81, 0, v75, s3
	v_mul_f32_e32 v82, 0x3fb8aa3b, v80
	v_cndmask_b32_e64 v80, 0, v76, s4
	s_waitcnt_depctr 0xfff
	v_cndmask_b32_e64 v78, 0, v73, s2
	s_mov_b32 s2, exec_lo
	v_exp_f32_e32 v84, v82
	s_waitcnt_depctr 0xfff
	v_cndmask_b32_e64 v85, 0, v84, s7
	v_cndmask_b32_e32 v79, 0, v72, vcc_lo
	v_fma_f32 v72, s19, v140, -v71
	v_mul_f32_e32 v77, 0x3fb8aa3b, v77
	s_delay_alu instid0(VALU_DEP_2) | instskip(NEXT) | instid1(VALU_DEP_2)
	v_dual_add_f32 v73, 0, v79 :: v_dual_mul_f32 v72, 0x3fb8aa3b, v72
	v_exp_f32_e32 v77, v77
	s_delay_alu instid0(VALU_DEP_1) | instskip(NEXT) | instid1(VALU_DEP_2)
	v_add_f32_e32 v73, v73, v78
	v_exp_f32_e32 v72, v72
	s_delay_alu instid0(VALU_DEP_1) | instskip(SKIP_4) | instid1(VALU_DEP_2)
	v_add_f32_e32 v73, v73, v81
	s_waitcnt_depctr 0xfff
	v_cndmask_b32_e64 v83, 0, v77, s5
	v_add_f32_e32 v73, v73, v80
	v_cndmask_b32_e64 v82, 0, v72, s6
	v_add_f32_e32 v72, v73, v83
	s_delay_alu instid0(VALU_DEP_1)
	v_add_f32_e32 v72, v72, v82
	v_fma_f32 v75, s19, v142, -v71
	v_fma_f32 v76, s19, v111, -v71
	;; [unrolled: 1-line block ×5, first 2 shown]
	s_delay_alu instid0(VALU_DEP_4) | instskip(NEXT) | instid1(VALU_DEP_4)
	v_dual_mul_f32 v75, 0x3fb8aa3b, v75 :: v_dual_mul_f32 v76, 0x3fb8aa3b, v76
	v_mul_f32_e32 v86, 0x3fb8aa3b, v86
	v_add_f32_e32 v72, v72, v85
	s_delay_alu instid0(VALU_DEP_3) | instskip(NEXT) | instid1(VALU_DEP_3)
	v_exp_f32_e32 v75, v75
	v_exp_f32_e32 v76, v76
	s_delay_alu instid0(VALU_DEP_2) | instskip(NEXT) | instid1(TRANS32_DEP_3)
	v_exp_f32_e32 v88, v86
	v_cndmask_b32_e64 v84, 0, v75, s8
	v_mul_f32_e32 v77, 0x3fb8aa3b, v77
	s_waitcnt_depctr 0xfff
	v_cndmask_b32_e64 v87, 0, v76, s9
	v_fma_f32 v76, s19, v116, -v71
	v_dual_mul_f32 v73, 0x3fb8aa3b, v73 :: v_dual_add_f32 v72, v72, v84
	v_exp_f32_e32 v77, v77
	v_fma_f32 v75, s19, v115, -v71
	s_delay_alu instid0(VALU_DEP_3) | instskip(NEXT) | instid1(VALU_DEP_3)
	v_mul_f32_e32 v76, 0x3fb8aa3b, v76
	v_exp_f32_e32 v73, v73
	v_add_f32_e32 v72, v72, v87
	v_cndmask_b32_e64 v88, 0, v88, s12
	s_delay_alu instid0(VALU_DEP_3) | instskip(NEXT) | instid1(TRANS32_DEP_3)
	v_exp_f32_e32 v76, v76
	v_cndmask_b32_e64 v86, 0, v77, s10
	v_mul_f32_e32 v75, 0x3fb8aa3b, v75
	v_fma_f32 v77, s19, v117, -v71
	s_delay_alu instid0(TRANS32_DEP_2) | instskip(NEXT) | instid1(VALU_DEP_4)
	v_cndmask_b32_e64 v89, 0, v73, s11
	v_add_f32_e32 v72, v72, v86
	s_delay_alu instid0(VALU_DEP_4) | instskip(NEXT) | instid1(TRANS32_DEP_2)
	v_exp_f32_e32 v75, v75
	v_cndmask_b32_e64 v90, 0, v76, s15
	s_delay_alu instid0(VALU_DEP_2) | instskip(SKIP_2) | instid1(VALU_DEP_3)
	v_add_f32_e32 v72, v72, v89
	v_mul_f32_e32 v73, 0x3fb8aa3b, v77
	v_fma_f32 v77, s19, v118, -v71
	v_add_f32_e32 v72, v72, v88
	s_delay_alu instid0(VALU_DEP_3) | instskip(NEXT) | instid1(TRANS32_DEP_2)
	v_exp_f32_e32 v73, v73
	v_cndmask_b32_e64 v91, 0, v75, s13
	s_delay_alu instid0(VALU_DEP_1) | instskip(NEXT) | instid1(VALU_DEP_1)
	v_dual_mul_f32 v75, 0x3fb8aa3b, v77 :: v_dual_add_f32 v72, v72, v91
	v_exp_f32_e32 v75, v75
	s_waitcnt_depctr 0xfff
	v_cndmask_b32_e64 v93, 0, v73, s16
	v_add_f32_e32 v72, v72, v90
	s_delay_alu instid0(VALU_DEP_1) | instskip(SKIP_1) | instid1(VALU_DEP_1)
	v_add_f32_e32 v72, v72, v93
	v_cndmask_b32_e64 v92, 0, v75, s17
	v_add_f32_e32 v72, v72, v92
	ds_bpermute_b32 v73, v74, v72
	v_cmpx_gt_u32_e32 16, v70
	s_cbranch_execz .LBB1075_12
; %bb.11:
	v_mul_u32_u24_e32 v70, 0x44, v69
	s_waitcnt lgkmcnt(0)
	v_add_f32_e32 v72, v72, v73
	s_delay_alu instid0(VALU_DEP_2) | instskip(NEXT) | instid1(VALU_DEP_1)
	v_lshl_add_u32 v70, v68, 2, v70
	v_add_nc_u32_e32 v70, 0x4000, v70
	ds_store_2addr_b32 v70, v71, v72 offset1:136
.LBB1075_12:
	s_or_b32 exec_lo, exec_lo, s2
	v_lshlrev_b32_e32 v70, 2, v68
	s_load_b32 s34, s[0:1], 0x94
	s_waitcnt lgkmcnt(0)
	s_barrier
	buffer_gl0_inv
	v_add_nc_u32_e32 v98, 0x4000, v70
	v_cmp_eq_u32_e32 vcc_lo, 1, v69
	v_cmp_eq_u32_e64 s2, 2, v69
	v_cmp_eq_u32_e64 s3, 3, v69
	;; [unrolled: 1-line block ×3, first 2 shown]
	ds_load_2addr_b32 v[70:71], v98 offset1:17
	ds_load_2addr_b32 v[72:73], v98 offset0:34 offset1:51
	ds_load_2addr_b32 v[74:75], v98 offset0:68 offset1:85
	ds_load_2addr_b32 v[94:95], v98 offset0:102 offset1:119
	v_cmp_eq_u32_e64 s5, 5, v69
	v_cmp_eq_u32_e64 s6, 7, v69
	s_waitcnt lgkmcnt(3)
	v_max3_f32 v76, v70, 0xff7fffff, v71
	s_waitcnt lgkmcnt(2)
	s_delay_alu instid0(VALU_DEP_1) | instskip(SKIP_1) | instid1(VALU_DEP_1)
	v_max3_f32 v76, v76, v72, v73
	s_waitcnt lgkmcnt(1)
	v_max3_f32 v76, v76, v74, v75
	s_waitcnt lgkmcnt(0)
	s_delay_alu instid0(VALU_DEP_1) | instskip(NEXT) | instid1(VALU_DEP_1)
	v_max3_f32 v76, v76, v94, v95
	v_sub_f32_e32 v77, v71, v76
	ds_load_2addr_b32 v[96:97], v98 offset0:136 offset1:153
	v_sub_f32_e32 v74, v74, v76
	v_sub_f32_e32 v70, v70, v76
	;; [unrolled: 1-line block ×3, first 2 shown]
	v_dual_sub_f32 v72, v72, v76 :: v_dual_mul_f32 v77, 0x3fb8aa3b, v77
	s_delay_alu instid0(VALU_DEP_4) | instskip(NEXT) | instid1(VALU_DEP_4)
	v_mul_f32_e32 v103, 0x3fb8aa3b, v74
	v_mul_f32_e32 v99, 0x3fb8aa3b, v70
	ds_load_2addr_b32 v[70:71], v98 offset0:170 offset1:187
	v_dual_mul_f32 v101, 0x3fb8aa3b, v72 :: v_dual_mul_f32 v94, 0x3fb8aa3b, v94
	v_exp_f32_e32 v102, v77
	v_exp_f32_e32 v99, v99
	s_delay_alu instid0(VALU_DEP_1) | instskip(NEXT) | instid1(VALU_DEP_1)
	v_exp_f32_e32 v101, v101
	v_exp_f32_e32 v94, v94
	s_waitcnt lgkmcnt(1)
	s_delay_alu instid0(TRANS32_DEP_3)
	v_fma_f32 v77, v99, v96, 0
	v_sub_f32_e32 v100, v73, v76
	ds_load_2addr_b32 v[72:73], v98 offset0:204 offset1:221
	v_fmac_f32_e32 v77, v102, v97
	v_exp_f32_e32 v97, v103
	s_waitcnt lgkmcnt(1)
	s_delay_alu instid0(VALU_DEP_1)
	v_dual_fmac_f32 v77, v101, v70 :: v_dual_sub_f32 v96, v75, v76
	ds_load_2addr_b32 v[74:75], v98 offset0:238 offset1:255
	v_sub_f32_e32 v70, v95, v76
	s_waitcnt lgkmcnt(0)
	s_barrier
	v_mul_f32_e32 v96, 0x3fb8aa3b, v96
	buffer_gl0_inv
	v_exp_f32_e32 v95, v96
	v_mul_f32_e32 v100, 0x3fb8aa3b, v100
	s_delay_alu instid0(VALU_DEP_1) | instskip(SKIP_3) | instid1(VALU_DEP_2)
	v_exp_f32_e32 v100, v100
	s_waitcnt_depctr 0xfff
	v_dual_fmac_f32 v77, v100, v71 :: v_dual_mul_f32 v70, 0x3fb8aa3b, v70
	v_cndmask_b32_e32 v71, v99, v102, vcc_lo
	v_fmac_f32_e32 v77, v97, v72
	s_delay_alu instid0(VALU_DEP_3) | instskip(NEXT) | instid1(VALU_DEP_1)
	v_exp_f32_e32 v96, v70
	v_fmac_f32_e32 v77, v95, v73
	s_delay_alu instid0(VALU_DEP_1) | instskip(SKIP_2) | instid1(VALU_DEP_1)
	v_fmac_f32_e32 v77, v94, v74
	s_waitcnt_depctr 0xfff
	v_fmac_f32_e32 v77, v96, v75
	v_add_f32_e32 v74, 0x358637bd, v77
	s_delay_alu instid0(VALU_DEP_1) | instskip(SKIP_1) | instid1(VALU_DEP_2)
	v_div_scale_f32 v98, null, v74, v74, 1.0
	v_div_scale_f32 v99, vcc_lo, 1.0, v74, 1.0
	v_rcp_f32_e32 v103, v98
	s_waitcnt_depctr 0xfff
	v_fma_f32 v70, -v98, v103, 1.0
	s_delay_alu instid0(VALU_DEP_1) | instskip(SKIP_2) | instid1(VALU_DEP_2)
	v_fmac_f32_e32 v103, v70, v103
	v_cndmask_b32_e64 v70, v71, v101, s2
	v_cmp_eq_u32_e64 s2, 6, v69
	v_cndmask_b32_e64 v71, v70, v100, s3
	s_delay_alu instid0(VALU_DEP_4) | instskip(NEXT) | instid1(VALU_DEP_2)
	v_dual_mul_f32 v101, v99, v103 :: v_dual_lshlrev_b32 v70, 2, v66
	v_cndmask_b32_e64 v71, v71, v97, s4
	s_delay_alu instid0(VALU_DEP_2) | instskip(NEXT) | instid1(VALU_DEP_3)
	v_or_b32_e32 v72, 1, v70
	v_fma_f32 v100, -v98, v101, v99
	v_cmp_eq_u32_e64 s3, 1, v70
	v_cmp_eq_u32_e64 s4, 2, v70
	v_cndmask_b32_e64 v95, v71, v95, s5
	v_or_b32_e32 v71, 3, v70
	v_fmac_f32_e32 v101, v100, v103
	v_cmp_eq_u32_e64 s8, 1, v72
	v_cmp_eq_u32_e64 s11, 2, v72
	v_cndmask_b32_e64 v94, v95, v94, s2
	v_cmp_eq_u32_e64 s10, 1, v71
	v_fma_f32 v97, -v98, v101, v99
	v_cmp_eq_u32_e64 s15, 2, v71
	v_cmp_eq_u32_e64 s12, 3, v72
	v_cndmask_b32_e64 v94, v94, v96, s6
	v_cmp_eq_u32_e64 s17, 3, v71
	v_div_fmas_f32 v95, v97, v103, v101
	v_cmp_eq_u32_e32 vcc_lo, 3, v70
	v_cmp_eq_u32_e64 s2, 4, v70
	v_cmp_eq_u32_e64 s18, 4, v72
	;; [unrolled: 1-line block ×3, first 2 shown]
	v_div_fixup_f32 v95, v95, v74, 1.0
	v_lshlrev_b32_e32 v73, 6, v68
	v_cmp_eq_u32_e64 s5, 5, v70
	v_cmp_eq_u32_e64 s19, 5, v72
	;; [unrolled: 1-line block ×3, first 2 shown]
	v_mul_f32_e32 v102, v94, v95
	v_lshl_or_b32 v75, v69, 11, v73
	v_or_b32_e32 v69, 2, v70
	v_cmp_eq_u32_e64 s24, 6, v72
	v_cmp_eq_u32_e64 s26, 6, v71
	v_fma_mixlo_f16 v94, v102, v79, 0
	v_fma_mixlo_f16 v95, v102, v81, 0
	;; [unrolled: 1-line block ×8, first 2 shown]
	v_lshl_or_b32 v74, v66, 4, v75
	v_fma_mixhi_f16 v94, v102, v78, 0
	v_fma_mixhi_f16 v95, v102, v80, 0
	;; [unrolled: 1-line block ×8, first 2 shown]
	ds_store_b128 v74, v[94:97]
	ds_store_b128 v74, v[98:101] offset:1024
	s_waitcnt lgkmcnt(0)
	s_barrier
	buffer_gl0_inv
	ds_load_b128 v[78:81], v75
	ds_load_b128 v[82:85], v75 offset:16
	ds_load_b128 v[86:89], v75 offset:1024
	;; [unrolled: 1-line block ×3, first 2 shown]
	v_cmp_eq_u32_e64 s9, 1, v69
	v_cmp_eq_u32_e64 s13, 2, v69
	;; [unrolled: 1-line block ×11, first 2 shown]
	s_waitcnt lgkmcnt(3)
	v_lshrrev_b32_e32 v94, 16, v78
	s_waitcnt lgkmcnt(2)
	v_lshrrev_b32_e32 v98, 16, v82
	;; [unrolled: 2-line block ×4, first 2 shown]
	v_lshrrev_b32_e32 v95, 16, v79
	v_cndmask_b32_e64 v110, v78, v94, s3
	v_cndmask_b32_e64 v111, v82, v98, s3
	;; [unrolled: 1-line block ×8, first 2 shown]
	v_lshrrev_b32_e32 v99, 16, v83
	v_cndmask_b32_e64 v94, v86, v102, s3
	v_cndmask_b32_e64 v98, v90, v106, s3
	v_cndmask_b32_e64 v116, v86, v102, s8
	v_cndmask_b32_e64 v117, v90, v106, s8
	v_cndmask_b32_e64 v118, v86, v102, s9
	v_cndmask_b32_e64 v119, v90, v106, s9
	v_cndmask_b32_e64 v86, v86, v102, s10
	v_cndmask_b32_e64 v90, v90, v106, s10
	v_cndmask_b32_e64 v102, v110, v79, s4
	v_cndmask_b32_e64 v106, v111, v83, s4
	v_cndmask_b32_e64 v110, v112, v79, s11
	v_cndmask_b32_e64 v111, v113, v83, s11
	v_cndmask_b32_e64 v112, v114, v79, s13
	v_cndmask_b32_e64 v78, v78, v79, s15
	v_cndmask_b32_e64 v79, v82, v83, s15
	v_lshrrev_b32_e32 v103, 16, v87
	v_lshrrev_b32_e32 v107, 16, v91
	v_cndmask_b32_e64 v113, v115, v83, s13
	v_cndmask_b32_e64 v82, v94, v87, s4
	;; [unrolled: 1-line block ×7, first 2 shown]
	v_cndmask_b32_e32 v90, v102, v95, vcc_lo
	v_cndmask_b32_e32 v102, v106, v99, vcc_lo
	v_cndmask_b32_e64 v106, v110, v95, s12
	v_cndmask_b32_e64 v110, v111, v99, s12
	;; [unrolled: 1-line block ×4, first 2 shown]
	v_lshrrev_b32_e32 v96, 16, v80
	v_lshrrev_b32_e32 v100, 16, v84
	v_cndmask_b32_e64 v111, v112, v95, s16
	v_cndmask_b32_e64 v112, v113, v99, s16
	v_cndmask_b32_e32 v82, v82, v103, vcc_lo
	v_cndmask_b32_e32 v83, v83, v107, vcc_lo
	v_cndmask_b32_e64 v94, v94, v103, s12
	v_cndmask_b32_e64 v90, v90, v80, s2
	;; [unrolled: 1-line block ×7, first 2 shown]
	v_lshrrev_b32_e32 v104, 16, v88
	v_cndmask_b32_e64 v106, v111, v80, s20
	v_cndmask_b32_e64 v110, v112, v84, s20
	;; [unrolled: 1-line block ×11, first 2 shown]
	v_lshrrev_b32_e32 v97, 16, v81
	v_lshrrev_b32_e32 v101, 16, v85
	v_cndmask_b32_e64 v99, v106, v96, s22
	v_cndmask_b32_e64 v102, v110, v100, s22
	;; [unrolled: 1-line block ×7, first 2 shown]
	v_lshrrev_b32_e32 v105, 16, v89
	v_cndmask_b32_e64 v80, v80, v104, s5
	v_cndmask_b32_e64 v84, v84, v81, s6
	;; [unrolled: 1-line block ×16, first 2 shown]
	v_perm_b32 v81, v79, v78, 0x5040100
	v_perm_b32 v79, v95, v85, 0x5040100
	v_cndmask_b32_e64 v78, v119, v91, s13
	v_cndmask_b32_e64 v85, v117, v91, s11
	;; [unrolled: 1-line block ×3, first 2 shown]
	v_perm_b32 v80, v94, v90, 0x5040100
	v_cndmask_b32_e64 v90, v98, v103, s16
	v_cndmask_b32_e64 v86, v86, v103, s17
	;; [unrolled: 1-line block ×5, first 2 shown]
	v_lshrrev_b32_e32 v108, 16, v92
	v_cndmask_b32_e64 v90, v90, v88, s20
	v_cndmask_b32_e64 v86, v86, v88, s21
	v_cndmask_b32_e64 v87, v87, v92, s21
	v_cndmask_b32_e64 v78, v78, v92, s20
	v_cndmask_b32_e64 v85, v85, v92, s18
	v_cndmask_b32_e64 v82, v82, v108, s5
	v_cndmask_b32_e64 v88, v90, v104, s22
	v_cndmask_b32_e64 v86, v86, v104, s23
	v_cndmask_b32_e64 v87, v87, v108, s23
	v_cndmask_b32_e64 v78, v78, v108, s22
	v_cndmask_b32_e64 v85, v85, v108, s19
	v_lshrrev_b32_e32 v109, 16, v93
	v_cndmask_b32_e64 v82, v82, v93, s6
	v_cndmask_b32_e64 v88, v88, v89, s25
	;; [unrolled: 1-line block ×12, first 2 shown]
	v_perm_b32 v78, v84, v83, 0x5040100
	v_perm_b32 v85, v87, v86, 0x5040100
	;; [unrolled: 1-line block ×5, first 2 shown]
	s_mul_i32 s7, s33, 6
	s_mov_b32 s2, exec_lo
	ds_store_b128 v74, v[78:81]
	ds_store_b128 v74, v[82:85] offset:1024
	v_cmpx_gt_u32_e32 6, v0
	s_cbranch_execz .LBB1075_14
; %bb.13:
	s_mul_i32 s3, s7, s30
	s_load_b128 s[8:11], s[0:1], 0x58
	v_add3_u32 v68, s3, s31, v68
	s_delay_alu instid0(VALU_DEP_1) | instskip(NEXT) | instid1(VALU_DEP_1)
	v_mad_u64_u32 v[78:79], null, v68, s34, s[14:15]
	v_ashrrev_i32_e32 v79, 31, v78
	s_delay_alu instid0(VALU_DEP_1) | instskip(SKIP_1) | instid1(VALU_DEP_1)
	v_lshlrev_b64 v[78:79], 2, v[78:79]
	s_waitcnt lgkmcnt(0)
	v_add_co_u32 v80, vcc_lo, s10, v78
	s_delay_alu instid0(VALU_DEP_2)
	v_add_co_ci_u32_e32 v81, vcc_lo, s11, v79, vcc_lo
	v_add_co_u32 v78, vcc_lo, s8, v78
	v_add_co_ci_u32_e32 v79, vcc_lo, s9, v79, vcc_lo
	global_store_b32 v[80:81], v76, off
	global_store_b32 v[78:79], v77, off
.LBB1075_14:
	s_or_b32 exec_lo, exec_lo, s2
	s_waitcnt lgkmcnt(0)
	s_waitcnt_vscnt null, 0x0
	s_barrier
	buffer_gl0_inv
	ds_load_b128 v[84:87], v73
	ds_load_b128 v[88:91], v73 offset:16
	ds_load_b128 v[96:99], v73 offset:2064
	;; [unrolled: 1-line block ×5, first 2 shown]
	v_cmp_eq_u32_e32 vcc_lo, 1, v70
	v_mov_b32_e32 v76, 0
	ds_load_b128 v[112:115], v73 offset:6160
	ds_load_b128 v[108:111], v73 offset:6144
	;; [unrolled: 1-line block ×4, first 2 shown]
	v_cmp_eq_u32_e64 s3, 1, v69
	v_cmp_eq_u32_e64 s2, 1, v72
	;; [unrolled: 1-line block ×3, first 2 shown]
	v_mov_b32_e32 v77, v76
	v_mov_b32_e32 v78, v76
	;; [unrolled: 1-line block ×7, first 2 shown]
	v_cmp_eq_u32_e64 s5, 3, v72
	v_cmp_eq_u32_e64 s6, 7, v72
	s_waitcnt lgkmcnt(8)
	s_delay_alu instid0(VALU_DEP_3)
	v_wmma_f32_16x16x16_f16 v[76:83], v[49:56], v[84:91], v[76:83]
	ds_load_b128 v[53:56], v73 offset:10256
	ds_load_b128 v[49:52], v73 offset:10240
	s_waitcnt lgkmcnt(8)
	v_wmma_f32_16x16x16_f16 v[76:83], v[41:48], v[92:99], v[76:83]
	ds_load_b128 v[45:48], v73 offset:12304
	ds_load_b128 v[41:44], v73 offset:12288
	s_waitcnt lgkmcnt(8)
	;; [unrolled: 4-line block ×3, first 2 shown]
	s_barrier
	buffer_gl0_inv
	v_wmma_f32_16x16x16_f16 v[76:83], v[1:8], v[108:115], v[76:83]
	s_delay_alu instid0(VALU_DEP_1) | instskip(NEXT) | instid1(VALU_DEP_1)
	v_wmma_f32_16x16x16_f16 v[76:83], v[9:16], v[116:123], v[76:83]
	v_wmma_f32_16x16x16_f16 v[76:83], v[17:24], v[49:56], v[76:83]
	s_delay_alu instid0(VALU_DEP_1) | instskip(NEXT) | instid1(VALU_DEP_1)
	v_wmma_f32_16x16x16_f16 v[76:83], v[25:32], v[41:48], v[76:83]
	v_wmma_f32_16x16x16_f16 v[76:83], v[57:64], v[33:40], v[76:83]
	s_delay_alu instid0(VALU_DEP_1) | instskip(NEXT) | instid1(VALU_DEP_2)
	v_cvt_f16_f32_e32 v1, v76
	v_cvt_f16_f32_e32 v2, v77
	s_delay_alu instid0(VALU_DEP_3) | instskip(NEXT) | instid1(VALU_DEP_4)
	v_cvt_f16_f32_e32 v3, v78
	v_cvt_f16_f32_e32 v4, v79
	;; [unrolled: 1-line block ×6, first 2 shown]
	v_pack_b32_f16 v1, v1, v2
	v_pack_b32_f16 v2, v3, v4
	;; [unrolled: 1-line block ×3, first 2 shown]
	s_delay_alu instid0(VALU_DEP_4)
	v_pack_b32_f16 v4, v7, v8
	ds_store_b128 v74, v[1:4]
	s_waitcnt lgkmcnt(0)
	s_barrier
	buffer_gl0_inv
	ds_load_b128 v[1:4], v75
	ds_load_b128 v[5:8], v75 offset:16
	s_waitcnt lgkmcnt(1)
	v_lshrrev_b32_e32 v9, 16, v1
	s_waitcnt lgkmcnt(0)
	v_lshrrev_b32_e32 v13, 16, v5
	v_lshrrev_b32_e32 v10, 16, v2
	;; [unrolled: 1-line block ×4, first 2 shown]
	v_cndmask_b32_e32 v17, v1, v9, vcc_lo
	v_cndmask_b32_e32 v18, v5, v13, vcc_lo
	v_cndmask_b32_e64 v21, v1, v9, s3
	v_cmp_eq_u32_e32 vcc_lo, 1, v71
	v_cndmask_b32_e64 v22, v5, v13, s3
	v_cmp_eq_u32_e64 s3, 2, v70
	v_cndmask_b32_e64 v19, v1, v9, s2
	v_cndmask_b32_e64 v20, v5, v13, s2
	v_cndmask_b32_e32 v1, v1, v9, vcc_lo
	v_cmp_eq_u32_e64 s2, 2, v71
	v_cndmask_b32_e32 v5, v5, v13, vcc_lo
	v_cndmask_b32_e64 v9, v17, v2, s3
	v_cmp_eq_u32_e32 vcc_lo, 3, v70
	v_cndmask_b32_e64 v13, v18, v6, s3
	v_cmp_eq_u32_e64 s3, 2, v69
	v_cndmask_b32_e64 v17, v19, v2, s4
	v_cndmask_b32_e64 v18, v20, v6, s4
	v_cmp_eq_u32_e64 s4, 3, v69
	v_cndmask_b32_e64 v1, v1, v2, s2
	v_cndmask_b32_e64 v19, v21, v2, s3
	;; [unrolled: 1-line block ×4, first 2 shown]
	v_cndmask_b32_e32 v5, v9, v10, vcc_lo
	v_cndmask_b32_e32 v6, v13, v14, vcc_lo
	v_cmp_eq_u32_e32 vcc_lo, 3, v71
	v_cndmask_b32_e64 v9, v17, v10, s5
	v_cndmask_b32_e64 v13, v18, v14, s5
	;; [unrolled: 1-line block ×3, first 2 shown]
	v_cmp_eq_u32_e64 s3, 4, v70
	v_cndmask_b32_e32 v1, v1, v10, vcc_lo
	v_cndmask_b32_e32 v2, v2, v14, vcc_lo
	v_cmp_eq_u32_e32 vcc_lo, 4, v72
	v_lshrrev_b32_e32 v15, 16, v7
	v_lshrrev_b32_e32 v16, 16, v8
	v_cndmask_b32_e64 v17, v19, v10, s4
	v_cmp_eq_u32_e64 s2, 4, v71
	v_cndmask_b32_e64 v5, v5, v3, s3
	v_cndmask_b32_e64 v6, v6, v7, s3
	v_cndmask_b32_e32 v9, v9, v3, vcc_lo
	v_cmp_eq_u32_e64 s3, 5, v72
	v_cndmask_b32_e32 v10, v13, v7, vcc_lo
	v_cmp_eq_u32_e32 vcc_lo, 4, v69
	v_cmp_eq_u32_e64 s4, 5, v70
	v_cndmask_b32_e64 v2, v2, v7, s2
	v_cndmask_b32_e64 v9, v9, v11, s3
	;; [unrolled: 1-line block ×3, first 2 shown]
	v_cndmask_b32_e32 v13, v17, v3, vcc_lo
	v_cmp_eq_u32_e64 s3, 5, v69
	v_cndmask_b32_e32 v14, v18, v7, vcc_lo
	v_cndmask_b32_e64 v1, v1, v3, s2
	v_cmp_eq_u32_e32 vcc_lo, 5, v71
	v_lshrrev_b32_e32 v12, 16, v4
	v_cndmask_b32_e64 v13, v13, v11, s3
	v_cndmask_b32_e64 v3, v14, v15, s3
	v_cmp_eq_u32_e64 s3, 6, v71
	v_cndmask_b32_e32 v1, v1, v11, vcc_lo
	v_cndmask_b32_e64 v5, v5, v11, s4
	v_cmp_eq_u32_e64 s5, 6, v70
	v_cndmask_b32_e64 v6, v6, v15, s4
	v_cmp_eq_u32_e64 s4, 6, v72
	v_cmp_eq_u32_e64 s2, 6, v69
	v_cndmask_b32_e64 v1, v1, v4, s3
	v_cndmask_b32_e32 v2, v2, v15, vcc_lo
	v_cmp_eq_u32_e32 vcc_lo, 7, v71
	v_cndmask_b32_e64 v5, v5, v4, s5
	v_cndmask_b32_e64 v9, v9, v4, s4
	v_cndmask_b32_e64 v6, v6, v8, s5
	v_cmp_eq_u32_e64 s5, 7, v70
	v_cndmask_b32_e32 v1, v1, v12, vcc_lo
	v_cndmask_b32_e64 v7, v13, v4, s2
	v_cndmask_b32_e64 v3, v3, v8, s2
	;; [unrolled: 1-line block ×3, first 2 shown]
	v_cmp_eq_u32_e64 s2, 7, v69
	v_cndmask_b32_e64 v4, v10, v8, s4
	v_cndmask_b32_e64 v5, v5, v12, s5
	;; [unrolled: 1-line block ×3, first 2 shown]
	v_cndmask_b32_e32 v2, v2, v16, vcc_lo
	v_cndmask_b32_e64 v7, v7, v12, s2
	v_cndmask_b32_e64 v3, v3, v16, s2
	;; [unrolled: 1-line block ×4, first 2 shown]
	v_perm_b32 v4, v2, v1, 0x5040100
	s_mov_b32 s2, exec_lo
	v_perm_b32 v3, v3, v7, 0x5040100
	v_perm_b32 v2, v8, v9, 0x5040100
	;; [unrolled: 1-line block ×3, first 2 shown]
	ds_store_b128 v74, v[1:4]
	s_waitcnt lgkmcnt(0)
	s_barrier
	buffer_gl0_inv
	v_cmpx_gt_u32_e32 32, v0
	s_cbranch_execz .LBB1075_2
; %bb.15:
	s_load_b64 s[0:1], s[0:1], 0x68
	s_lshl_b32 s4, s34, 7
	v_or_b32_e32 v3, s31, v66
	s_mul_i32 s2, s4, s30
	v_lshlrev_b32_e32 v0, 10, v0
	s_mul_i32 s2, s2, s7
	v_lshlrev_b32_e32 v1, 4, v67
	s_ashr_i32 s3, s2, 31
	v_mul_lo_u32 v12, v3, s4
	s_lshl_b64 s[2:3], s[2:3], 1
	v_lshlrev_b32_e32 v2, 6, v66
	v_and_b32_e32 v0, 0x3800, v0
	s_delay_alu instid0(VALU_DEP_1) | instskip(NEXT) | instid1(VALU_DEP_4)
	v_or3_b32 v8, v0, v1, v2
	v_ashrrev_i32_e32 v13, 31, v12
	ds_load_b128 v[0:3], v8
	ds_load_b128 v[4:7], v8 offset:128
	ds_load_b128 v[8:11], v8 offset:256
	s_waitcnt lgkmcnt(0)
	s_add_u32 s2, s0, s2
	s_addc_u32 s3, s1, s3
	s_lshl_b32 s0, s14, 7
	s_delay_alu instid0(SALU_CYCLE_1) | instskip(NEXT) | instid1(SALU_CYCLE_1)
	s_ashr_i32 s1, s0, 31
	s_lshl_b64 s[0:1], s[0:1], 1
	s_delay_alu instid0(SALU_CYCLE_1)
	s_add_u32 s0, s2, s0
	s_addc_u32 s1, s3, s1
	s_lshl_b32 s2, s34, 8
	v_add_co_u32 v18, s0, s0, v65
	v_add_nc_u32_e32 v14, s2, v12
	v_lshlrev_b64 v[12:13], 1, v[12:13]
	v_add_co_ci_u32_e64 v19, null, s1, 0, s0
	s_delay_alu instid0(VALU_DEP_3) | instskip(SKIP_1) | instid1(VALU_DEP_4)
	v_add_nc_u32_e32 v16, s2, v14
	v_ashrrev_i32_e32 v15, 31, v14
	v_add_co_u32 v12, vcc_lo, v18, v12
	s_delay_alu instid0(VALU_DEP_4) | instskip(NEXT) | instid1(VALU_DEP_4)
	v_add_co_ci_u32_e32 v13, vcc_lo, v19, v13, vcc_lo
	v_ashrrev_i32_e32 v17, 31, v16
	s_delay_alu instid0(VALU_DEP_4) | instskip(NEXT) | instid1(VALU_DEP_2)
	v_lshlrev_b64 v[14:15], 1, v[14:15]
	v_lshlrev_b64 v[16:17], 1, v[16:17]
	s_delay_alu instid0(VALU_DEP_2) | instskip(NEXT) | instid1(VALU_DEP_3)
	v_add_co_u32 v14, vcc_lo, v18, v14
	v_add_co_ci_u32_e32 v15, vcc_lo, v19, v15, vcc_lo
	s_delay_alu instid0(VALU_DEP_3) | instskip(NEXT) | instid1(VALU_DEP_4)
	v_add_co_u32 v16, vcc_lo, v18, v16
	v_add_co_ci_u32_e32 v17, vcc_lo, v19, v17, vcc_lo
	s_clause 0x2
	global_store_b128 v[12:13], v[0:3], off
	global_store_b128 v[14:15], v[4:7], off
	;; [unrolled: 1-line block ×3, first 2 shown]
	s_nop 0
	s_sendmsg sendmsg(MSG_DEALLOC_VGPRS)
	s_endpgm
	.section	.rodata,"a",@progbits
	.p2align	6, 0x0
	.amdhsa_kernel _Z39paged_attention_ll4mi_QKV_mfma16_kernelIDF16_hLN4vllm18Fp8KVCacheDataTypeE1EDF16_Li32ELi128ELi256ELb0ELi6EL8MFMAType1EEvPKT_PKT0_S8_ifPKiSA_SA_iPKfiiiPfSD_PS3_PT2_iSC_SC_
		.amdhsa_group_segment_fixed_size 17472
		.amdhsa_private_segment_fixed_size 0
		.amdhsa_kernarg_size 400
		.amdhsa_user_sgpr_count 13
		.amdhsa_user_sgpr_dispatch_ptr 0
		.amdhsa_user_sgpr_queue_ptr 0
		.amdhsa_user_sgpr_kernarg_segment_ptr 1
		.amdhsa_user_sgpr_dispatch_id 0
		.amdhsa_user_sgpr_private_segment_size 0
		.amdhsa_wavefront_size32 1
		.amdhsa_uses_dynamic_stack 0
		.amdhsa_enable_private_segment 0
		.amdhsa_system_sgpr_workgroup_id_x 1
		.amdhsa_system_sgpr_workgroup_id_y 1
		.amdhsa_system_sgpr_workgroup_id_z 1
		.amdhsa_system_sgpr_workgroup_info 0
		.amdhsa_system_vgpr_workitem_id 0
		.amdhsa_next_free_vgpr 150
		.amdhsa_next_free_sgpr 37
		.amdhsa_reserve_vcc 1
		.amdhsa_float_round_mode_32 0
		.amdhsa_float_round_mode_16_64 0
		.amdhsa_float_denorm_mode_32 3
		.amdhsa_float_denorm_mode_16_64 3
		.amdhsa_dx10_clamp 1
		.amdhsa_ieee_mode 1
		.amdhsa_fp16_overflow 0
		.amdhsa_workgroup_processor_mode 1
		.amdhsa_memory_ordered 1
		.amdhsa_forward_progress 0
		.amdhsa_shared_vgpr_count 0
		.amdhsa_exception_fp_ieee_invalid_op 0
		.amdhsa_exception_fp_denorm_src 0
		.amdhsa_exception_fp_ieee_div_zero 0
		.amdhsa_exception_fp_ieee_overflow 0
		.amdhsa_exception_fp_ieee_underflow 0
		.amdhsa_exception_fp_ieee_inexact 0
		.amdhsa_exception_int_div_zero 0
	.end_amdhsa_kernel
	.section	.text._Z39paged_attention_ll4mi_QKV_mfma16_kernelIDF16_hLN4vllm18Fp8KVCacheDataTypeE1EDF16_Li32ELi128ELi256ELb0ELi6EL8MFMAType1EEvPKT_PKT0_S8_ifPKiSA_SA_iPKfiiiPfSD_PS3_PT2_iSC_SC_,"axG",@progbits,_Z39paged_attention_ll4mi_QKV_mfma16_kernelIDF16_hLN4vllm18Fp8KVCacheDataTypeE1EDF16_Li32ELi128ELi256ELb0ELi6EL8MFMAType1EEvPKT_PKT0_S8_ifPKiSA_SA_iPKfiiiPfSD_PS3_PT2_iSC_SC_,comdat
.Lfunc_end1075:
	.size	_Z39paged_attention_ll4mi_QKV_mfma16_kernelIDF16_hLN4vllm18Fp8KVCacheDataTypeE1EDF16_Li32ELi128ELi256ELb0ELi6EL8MFMAType1EEvPKT_PKT0_S8_ifPKiSA_SA_iPKfiiiPfSD_PS3_PT2_iSC_SC_, .Lfunc_end1075-_Z39paged_attention_ll4mi_QKV_mfma16_kernelIDF16_hLN4vllm18Fp8KVCacheDataTypeE1EDF16_Li32ELi128ELi256ELb0ELi6EL8MFMAType1EEvPKT_PKT0_S8_ifPKiSA_SA_iPKfiiiPfSD_PS3_PT2_iSC_SC_
                                        ; -- End function
	.section	.AMDGPU.csdata,"",@progbits
; Kernel info:
; codeLenInByte = 6640
; NumSgprs: 39
; NumVgprs: 150
; ScratchSize: 0
; MemoryBound: 0
; FloatMode: 240
; IeeeMode: 1
; LDSByteSize: 17472 bytes/workgroup (compile time only)
; SGPRBlocks: 4
; VGPRBlocks: 18
; NumSGPRsForWavesPerEU: 39
; NumVGPRsForWavesPerEU: 150
; Occupancy: 9
; WaveLimiterHint : 1
; COMPUTE_PGM_RSRC2:SCRATCH_EN: 0
; COMPUTE_PGM_RSRC2:USER_SGPR: 13
; COMPUTE_PGM_RSRC2:TRAP_HANDLER: 0
; COMPUTE_PGM_RSRC2:TGID_X_EN: 1
; COMPUTE_PGM_RSRC2:TGID_Y_EN: 1
; COMPUTE_PGM_RSRC2:TGID_Z_EN: 1
; COMPUTE_PGM_RSRC2:TIDIG_COMP_CNT: 0
	.section	.text._Z39paged_attention_ll4mi_QKV_mfma16_kernelIDF16_hLN4vllm18Fp8KVCacheDataTypeE1EDF16_Li32ELi128ELi256ELb0ELi7EL8MFMAType1EEvPKT_PKT0_S8_ifPKiSA_SA_iPKfiiiPfSD_PS3_PT2_iSC_SC_,"axG",@progbits,_Z39paged_attention_ll4mi_QKV_mfma16_kernelIDF16_hLN4vllm18Fp8KVCacheDataTypeE1EDF16_Li32ELi128ELi256ELb0ELi7EL8MFMAType1EEvPKT_PKT0_S8_ifPKiSA_SA_iPKfiiiPfSD_PS3_PT2_iSC_SC_,comdat
	.protected	_Z39paged_attention_ll4mi_QKV_mfma16_kernelIDF16_hLN4vllm18Fp8KVCacheDataTypeE1EDF16_Li32ELi128ELi256ELb0ELi7EL8MFMAType1EEvPKT_PKT0_S8_ifPKiSA_SA_iPKfiiiPfSD_PS3_PT2_iSC_SC_ ; -- Begin function _Z39paged_attention_ll4mi_QKV_mfma16_kernelIDF16_hLN4vllm18Fp8KVCacheDataTypeE1EDF16_Li32ELi128ELi256ELb0ELi7EL8MFMAType1EEvPKT_PKT0_S8_ifPKiSA_SA_iPKfiiiPfSD_PS3_PT2_iSC_SC_
	.globl	_Z39paged_attention_ll4mi_QKV_mfma16_kernelIDF16_hLN4vllm18Fp8KVCacheDataTypeE1EDF16_Li32ELi128ELi256ELb0ELi7EL8MFMAType1EEvPKT_PKT0_S8_ifPKiSA_SA_iPKfiiiPfSD_PS3_PT2_iSC_SC_
	.p2align	8
	.type	_Z39paged_attention_ll4mi_QKV_mfma16_kernelIDF16_hLN4vllm18Fp8KVCacheDataTypeE1EDF16_Li32ELi128ELi256ELb0ELi7EL8MFMAType1EEvPKT_PKT0_S8_ifPKiSA_SA_iPKfiiiPfSD_PS3_PT2_iSC_SC_,@function
_Z39paged_attention_ll4mi_QKV_mfma16_kernelIDF16_hLN4vllm18Fp8KVCacheDataTypeE1EDF16_Li32ELi128ELi256ELb0ELi7EL8MFMAType1EEvPKT_PKT0_S8_ifPKiSA_SA_iPKfiiiPfSD_PS3_PT2_iSC_SC_: ; @_Z39paged_attention_ll4mi_QKV_mfma16_kernelIDF16_hLN4vllm18Fp8KVCacheDataTypeE1EDF16_Li32ELi128ELi256ELb0ELi7EL8MFMAType1EEvPKT_PKT0_S8_ifPKiSA_SA_iPKfiiiPfSD_PS3_PT2_iSC_SC_
; %bb.0:
	s_load_b64 s[4:5], s[0:1], 0x30
	s_mov_b32 s34, s13
	s_waitcnt lgkmcnt(0)
	s_cmp_lg_u64 s[4:5], 0
	s_cselect_b32 s8, -1, 0
	s_ashr_i32 s35, s13, 31
	s_cmp_eq_u64 s[4:5], 0
	s_cbranch_scc1 .LBB1076_3
; %bb.1:
	s_lshl_b64 s[2:3], s[34:35], 2
	s_delay_alu instid0(SALU_CYCLE_1) | instskip(SKIP_4) | instid1(SALU_CYCLE_1)
	s_add_u32 s2, s4, s2
	s_addc_u32 s3, s5, s3
	s_load_b64 s[2:3], s[2:3], 0x0
	s_waitcnt lgkmcnt(0)
	s_sub_i32 s2, s3, s2
	s_cmp_eq_u32 s2, 1
	s_cselect_b32 s2, -1, 0
	s_delay_alu instid0(SALU_CYCLE_1)
	s_and_not1_b32 vcc_lo, exec_lo, s2
	s_cbranch_vccz .LBB1076_4
.LBB1076_2:
	s_nop 0
	s_sendmsg sendmsg(MSG_DEALLOC_VGPRS)
	s_endpgm
.LBB1076_3:
.LBB1076_4:
	s_load_b64 s[2:3], s[0:1], 0x28
	s_lshl_b64 s[6:7], s[34:35], 2
	s_waitcnt lgkmcnt(0)
	s_add_u32 s2, s2, s6
	s_addc_u32 s3, s3, s7
	s_lshl_b32 s12, s14, 8
	s_load_b32 s24, s[2:3], 0x0
	s_waitcnt lgkmcnt(0)
	s_cmp_ge_i32 s12, s24
	s_cbranch_scc1 .LBB1076_2
; %bb.5:
	s_clause 0x1
	s_load_b128 s[20:23], s[0:1], 0x8
	s_load_b64 s[2:3], s[0:1], 0x20
	s_and_not1_b32 vcc_lo, exec_lo, s8
	s_cbranch_vccnz .LBB1076_7
; %bb.6:
	s_add_u32 s4, s4, s6
	s_addc_u32 s5, s5, s7
	s_load_b32 s5, s[4:5], 0x0
	s_branch .LBB1076_8
.LBB1076_7:
	s_mov_b32 s5, s34
.LBB1076_8:
	s_load_b128 s[16:19], s[0:1], 0x48
	v_and_b32_e32 v68, 15, v0
	v_lshrrev_b32_e32 v69, 5, v0
	v_bfe_u32 v66, v0, 4, 1
	v_and_b32_e32 v70, 31, v0
	v_and_b32_e32 v67, 1, v0
	v_lshlrev_b32_e32 v2, 3, v68
	s_mul_i32 s31, s15, 7
	v_lshl_or_b32 v1, v69, 1, v66
	s_mov_b32 s4, exec_lo
	s_delay_alu instid0(VALU_DEP_2) | instskip(NEXT) | instid1(VALU_DEP_2)
	v_lshlrev_b32_e32 v65, 1, v2
	v_cmpx_gt_u32_e32 7, v1
	s_cbranch_execz .LBB1076_10
; %bb.9:
	s_load_b64 s[6:7], s[0:1], 0x0
	v_add_lshl_u32 v2, v1, s31, 7
	s_waitcnt lgkmcnt(0)
	s_mul_hi_i32 s9, s5, s16
	s_mul_i32 s8, s5, s16
	v_lshlrev_b32_e32 v6, 10, v68
	s_lshl_b64 s[8:9], s[8:9], 1
	v_ashrrev_i32_e32 v3, 31, v2
	v_lshlrev_b32_e32 v1, 6, v1
	v_lshlrev_b32_e32 v7, 10, v67
	v_and_b32_e32 v6, 0x3800, v6
	s_delay_alu instid0(VALU_DEP_4) | instskip(NEXT) | instid1(VALU_DEP_2)
	v_lshlrev_b64 v[2:3], 1, v[2:3]
	v_or3_b32 v1, v6, v7, v1
	s_add_u32 s5, s6, s8
	s_addc_u32 s6, s7, s9
	s_delay_alu instid0(VALU_DEP_2) | instskip(NEXT) | instid1(VALU_DEP_3)
	v_add_co_u32 v2, vcc_lo, s5, v2
	v_add_co_ci_u32_e32 v3, vcc_lo, s6, v3, vcc_lo
	s_delay_alu instid0(VALU_DEP_2) | instskip(NEXT) | instid1(VALU_DEP_2)
	v_add_co_u32 v2, vcc_lo, v2, v65
	v_add_co_ci_u32_e32 v3, vcc_lo, 0, v3, vcc_lo
	global_load_b128 v[2:5], v[2:3], off
	s_waitcnt vmcnt(0)
	ds_store_b128 v1, v[2:5]
.LBB1076_10:
	s_or_b32 exec_lo, exec_lo, s4
	v_and_b32_e32 v1, 0xef, v0
	s_waitcnt lgkmcnt(0)
	s_add_i32 s5, s24, 31
	s_clause 0x1
	s_load_b32 s4, s[0:1], 0x38
	s_load_b32 s33, s[0:1], 0x98
	s_ashr_i32 s6, s5, 31
	v_add_nc_u32_e32 v1, s12, v1
	s_lshr_b32 s6, s6, 27
	s_load_b32 s19, s[0:1], 0x1c
	s_add_i32 s5, s5, s6
	s_waitcnt lgkmcnt(0)
	v_ashrrev_i32_e32 v2, 31, v1
	v_or_b32_e32 v3, 16, v1
	s_ashr_i32 s13, s5, 5
	v_cmp_gt_i32_e32 vcc_lo, s24, v1
	s_add_i32 s13, s13, -1
	v_lshrrev_b32_e32 v2, 27, v2
	s_barrier
	buffer_gl0_inv
	s_mul_i32 s15, s15, s18
	v_add_nc_u32_e32 v4, v1, v2
	s_mul_i32 s4, s34, s4
	s_delay_alu instid0(SALU_CYCLE_1) | instskip(NEXT) | instid1(VALU_DEP_1)
	s_ashr_i32 s5, s4, 31
	v_ashrrev_i32_e32 v4, 5, v4
	v_add_nc_u32_e32 v2, v3, v2
	s_lshl_b64 s[4:5], s[4:5], 2
	s_delay_alu instid0(SALU_CYCLE_1) | instskip(NEXT) | instid1(VALU_DEP_2)
	s_add_u32 s16, s2, s4
	v_cndmask_b32_e32 v1, s13, v4, vcc_lo
	s_delay_alu instid0(VALU_DEP_2)
	v_ashrrev_i32_e32 v2, 5, v2
	v_cmp_gt_i32_e32 vcc_lo, s24, v3
	s_addc_u32 s25, s3, s5
	s_ashr_i32 s18, s15, 31
	s_add_u32 s2, s20, s15
	s_addc_u32 s3, s21, s18
	v_cndmask_b32_e32 v3, s13, v2, vcc_lo
	v_ashrrev_i32_e32 v2, 31, v1
	s_lshl_b32 s4, s14, 3
	s_delay_alu instid0(SALU_CYCLE_1) | instskip(NEXT) | instid1(VALU_DEP_2)
	s_ashr_i32 s5, s4, 31
	v_ashrrev_i32_e32 v4, 31, v3
	s_delay_alu instid0(VALU_DEP_2) | instskip(SKIP_1) | instid1(SALU_CYCLE_1)
	v_lshlrev_b64 v[1:2], 2, v[1:2]
	s_lshl_b64 s[4:5], s[4:5], 2
	s_add_u32 s4, s16, s4
	s_delay_alu instid0(VALU_DEP_2) | instskip(SKIP_1) | instid1(VALU_DEP_2)
	v_lshlrev_b64 v[3:4], 2, v[3:4]
	s_addc_u32 s5, s25, s5
	v_add_co_u32 v1, vcc_lo, s16, v1
	v_add_co_ci_u32_e32 v2, vcc_lo, s25, v2, vcc_lo
	s_delay_alu instid0(VALU_DEP_3) | instskip(NEXT) | instid1(VALU_DEP_4)
	v_add_co_u32 v3, vcc_lo, s16, v3
	v_add_co_ci_u32_e32 v4, vcc_lo, s25, v4, vcc_lo
	s_clause 0x1
	global_load_b32 v5, v[1:2], off
	global_load_b32 v6, v[3:4], off
	s_or_b32 s6, s12, 32
	s_delay_alu instid0(SALU_CYCLE_1) | instskip(SKIP_2) | instid1(SALU_CYCLE_1)
	s_ashr_i32 s7, s6, 5
	s_cmp_lt_i32 s6, s24
	s_cselect_b32 s6, s7, s13
	s_ashr_i32 s7, s6, 31
	s_delay_alu instid0(SALU_CYCLE_1) | instskip(NEXT) | instid1(SALU_CYCLE_1)
	s_lshl_b64 s[6:7], s[6:7], 2
	s_add_u32 s6, s16, s6
	s_addc_u32 s7, s25, s7
	s_or_b32 s8, s12, 64
	s_delay_alu instid0(SALU_CYCLE_1) | instskip(SKIP_2) | instid1(SALU_CYCLE_1)
	s_ashr_i32 s9, s8, 5
	s_cmp_lt_i32 s8, s24
	s_cselect_b32 s8, s9, s13
	s_ashr_i32 s9, s8, 31
	s_delay_alu instid0(SALU_CYCLE_1) | instskip(NEXT) | instid1(SALU_CYCLE_1)
	s_lshl_b64 s[8:9], s[8:9], 2
	s_add_u32 s8, s16, s8
	s_addc_u32 s9, s25, s9
	;; [unrolled: 10-line block ×5, first 2 shown]
	s_clause 0x5
	s_load_b32 s28, s[4:5], 0x0
	s_load_b32 s29, s[6:7], 0x0
	s_load_b32 s30, s[8:9], 0x0
	s_load_b32 s35, s[10:11], 0x0
	s_load_b32 s36, s[20:21], 0x0
	s_load_b32 s26, s[26:27], 0x0
	s_mov_b32 s4, 0
	s_delay_alu instid0(SALU_CYCLE_1)
	s_mov_b32 s5, s4
	s_mov_b32 s6, s4
	;; [unrolled: 1-line block ×7, first 2 shown]
	s_delay_alu instid0(SALU_CYCLE_1)
	v_dual_mov_b32 v118, s11 :: v_dual_mov_b32 v117, s10
	v_dual_mov_b32 v116, s9 :: v_dual_mov_b32 v115, s8
	v_mov_b32_e32 v113, s6
	v_dual_mov_b32 v111, s4 :: v_dual_mov_b32 v114, s7
	v_mov_b32_e32 v112, s5
	s_waitcnt vmcnt(1)
	v_mad_i64_i32 v[1:2], null, v5, s17, s[2:3]
	v_lshlrev_b32_e32 v5, 4, v68
	s_waitcnt vmcnt(0)
	v_mad_i64_i32 v[3:4], null, v6, s17, s[2:3]
	s_or_b32 s2, s12, 0xc0
	s_delay_alu instid0(SALU_CYCLE_1) | instskip(NEXT) | instid1(VALU_DEP_3)
	s_ashr_i32 s3, s2, 5
	v_add_co_u32 v1, vcc_lo, v1, v5
	s_delay_alu instid0(VALU_DEP_4) | instskip(NEXT) | instid1(VALU_DEP_3)
	v_add_co_ci_u32_e32 v2, vcc_lo, 0, v2, vcc_lo
	v_add_co_u32 v3, vcc_lo, v3, v5
	s_delay_alu instid0(VALU_DEP_4)
	v_add_co_ci_u32_e32 v4, vcc_lo, 0, v4, vcc_lo
	s_clause 0xf
	global_load_b128 v[17:20], v[1:2], off
	global_load_b128 v[21:24], v[1:2], off offset:512
	global_load_b128 v[25:28], v[3:4], off offset:256
	;; [unrolled: 1-line block ×15, first 2 shown]
	v_mul_lo_u16 v1, v68, 37
	s_cmp_lt_i32 s2, s24
	v_lshlrev_b32_e32 v2, 5, v68
	s_cselect_b32 s2, s3, s13
	s_delay_alu instid0(VALU_DEP_2) | instskip(SKIP_1) | instid1(SALU_CYCLE_1)
	v_lshrrev_b16 v1, 8, v1
	s_ashr_i32 s3, s2, 31
	s_lshl_b64 s[2:3], s[2:3], 2
	s_delay_alu instid0(VALU_DEP_1) | instskip(SKIP_3) | instid1(VALU_DEP_1)
	v_mul_lo_u16 v1, v1, 7
	s_add_u32 s2, s16, s2
	s_addc_u32 s3, s25, s3
	s_or_b32 s20, s12, 0xe0
	v_sub_nc_u16 v1, v68, v1
	s_ashr_i32 s21, s20, 5
	s_cmp_lt_i32 s20, s24
	s_cselect_b32 s20, s21, s13
	s_delay_alu instid0(VALU_DEP_1) | instskip(SKIP_1) | instid1(SALU_CYCLE_1)
	v_and_b32_e32 v1, 0xff, v1
	s_ashr_i32 s21, s20, 31
	s_lshl_b64 s[4:5], s[20:21], 2
	s_delay_alu instid0(VALU_DEP_1)
	v_lshlrev_b32_e32 v149, 6, v1
	s_add_u32 s4, s16, s4
	s_addc_u32 s5, s25, s5
	v_lshl_or_b32 v1, v69, 9, v2
	ds_load_b128 v[119:122], v149
	ds_load_b128 v[123:126], v149 offset:1024
	ds_load_b128 v[127:130], v149 offset:2048
	;; [unrolled: 1-line block ×3, first 2 shown]
	s_clause 0x1
	s_load_b32 s2, s[2:3], 0x0
	s_load_b32 s3, s[4:5], 0x0
	s_add_u32 s6, s22, s15
	s_addc_u32 s7, s23, s18
	v_add_co_u32 v135, s6, s6, v1
	s_delay_alu instid0(VALU_DEP_1) | instskip(SKIP_1) | instid1(VALU_DEP_1)
	v_add_co_ci_u32_e64 v136, null, s7, 0, s6
	s_waitcnt lgkmcnt(0)
	v_mad_i64_i32 v[1:2], null, s28, s17, v[135:136]
	v_mad_i64_i32 v[3:4], null, s29, s17, v[135:136]
	;; [unrolled: 1-line block ×6, first 2 shown]
	s_clause 0x9
	global_load_b128 v[49:52], v[1:2], off
	global_load_b128 v[53:56], v[1:2], off offset:16
	global_load_b128 v[41:44], v[3:4], off
	global_load_b128 v[45:48], v[3:4], off offset:16
	;; [unrolled: 2-line block ×5, first 2 shown]
	v_mad_i64_i32 v[145:146], null, s2, s17, v[135:136]
	v_mad_i64_i32 v[147:148], null, s3, s17, v[135:136]
	s_waitcnt vmcnt(24)
	v_wmma_f32_16x16x16_f16 v[135:142], v[17:24], v[119:126], v[111:118]
	s_waitcnt vmcnt(22)
	v_wmma_f32_16x16x16_f16 v[111:118], v[25:32], v[119:126], v[111:118]
	s_clause 0x3
	global_load_b128 v[17:20], v[143:144], off
	global_load_b128 v[21:24], v[143:144], off offset:16
	global_load_b128 v[25:28], v[145:146], off
	global_load_b128 v[29:32], v[145:146], off offset:16
	v_and_b32_e32 v119, 0xe0, v0
	s_waitcnt vmcnt(24)
	v_wmma_f32_16x16x16_f16 v[135:142], v[57:64], v[127:134], v[135:142]
	s_clause 0x1
	global_load_b128 v[57:60], v[147:148], off
	global_load_b128 v[61:64], v[147:148], off offset:16
	s_waitcnt vmcnt(24)
	v_wmma_f32_16x16x16_f16 v[111:118], v[71:78], v[127:134], v[111:118]
	ds_load_b128 v[71:74], v149 offset:4096
	ds_load_b128 v[75:78], v149 offset:5120
	v_add_nc_u32_e32 v128, s12, v119
	ds_load_b128 v[119:122], v149 offset:6144
	ds_load_b128 v[123:126], v149 offset:7168
	v_mbcnt_lo_u32_b32 v127, -1, 0
	s_waitcnt vmcnt(0) lgkmcnt(0)
	s_barrier
	v_or_b32_e32 v128, v128, v66
	buffer_gl0_inv
	v_xor_b32_e32 v129, 16, v127
	v_or_b32_e32 v130, 4, v128
	v_or_b32_e32 v131, 6, v128
	s_delay_alu instid0(VALU_DEP_3) | instskip(SKIP_4) | instid1(VALU_DEP_4)
	v_cmp_gt_i32_e32 vcc_lo, 32, v129
	v_or_b32_e32 v132, 8, v128
	v_or_b32_e32 v133, 10, v128
	v_cmp_gt_i32_e64 s3, s24, v130
	v_cmp_gt_i32_e64 s4, s24, v131
	;; [unrolled: 1-line block ×3, first 2 shown]
	v_wmma_f32_16x16x16_f16 v[135:142], v[79:86], v[71:78], v[135:142]
	v_wmma_f32_16x16x16_f16 v[111:118], v[87:94], v[71:78], v[111:118]
	v_or_b32_e32 v79, 12, v128
	v_or_b32_e32 v80, 14, v128
	v_cmp_gt_i32_e64 s6, s24, v133
	v_wmma_f32_16x16x16_f16 v[135:142], v[95:102], v[119:126], v[135:142]
	v_cndmask_b32_e32 v127, v127, v129, vcc_lo
	v_or_b32_e32 v129, 2, v128
	v_wmma_f32_16x16x16_f16 v[111:118], v[103:110], v[119:126], v[111:118]
	v_cmp_gt_i32_e32 vcc_lo, s24, v128
	v_dual_mul_f32 v88, s19, v135 :: v_dual_mul_f32 v87, s19, v136
	s_delay_alu instid0(VALU_DEP_4) | instskip(NEXT) | instid1(VALU_DEP_4)
	v_cmp_gt_i32_e64 s2, s24, v129
	v_mul_f32_e32 v94, s19, v113
	v_mul_f32_e32 v78, s19, v138
	;; [unrolled: 1-line block ×3, first 2 shown]
	v_cndmask_b32_e32 v88, 0xff7fffff, v88, vcc_lo
	v_cndmask_b32_e64 v87, 0xff7fffff, v87, s2
	v_dual_mul_f32 v76, s19, v140 :: v_dual_mul_f32 v77, s19, v139
	v_mul_f32_e32 v90, s19, v117
	v_cndmask_b32_e64 v86, 0xff7fffff, v86, s3
	v_cndmask_b32_e64 v78, 0xff7fffff, v78, s4
	v_max3_f32 v87, v88, 0xff7fffff, v87
	v_or_b32_e32 v81, 16, v128
	v_or_b32_e32 v82, 18, v128
	v_dual_mul_f32 v74, s19, v142 :: v_dual_mul_f32 v75, s19, v141
	v_mul_f32_e32 v92, s19, v115
	v_cndmask_b32_e64 v77, 0xff7fffff, v77, s5
	v_cndmask_b32_e64 v76, 0xff7fffff, v76, s6
	v_max3_f32 v78, v87, v86, v78
	v_cmp_gt_i32_e64 s7, s24, v79
	v_cmp_gt_i32_e64 s8, s24, v80
	v_or_b32_e32 v83, 20, v128
	v_or_b32_e32 v84, 22, v128
	v_dual_mul_f32 v89, s19, v118 :: v_dual_mul_f32 v96, s19, v111
	v_mul_f32_e32 v95, s19, v112
	v_cndmask_b32_e64 v75, 0xff7fffff, v75, s7
	v_cndmask_b32_e64 v74, 0xff7fffff, v74, s8
	v_max3_f32 v76, v78, v77, v76
	v_cmp_gt_i32_e64 s9, s24, v81
	v_cmp_gt_i32_e64 s10, s24, v82
	v_or_b32_e32 v85, 24, v128
	v_or_b32_e32 v71, 26, v128
	v_mul_f32_e32 v93, s19, v114
	v_cndmask_b32_e64 v77, 0xff7fffff, v96, s9
	v_cndmask_b32_e64 v78, 0xff7fffff, v95, s10
	v_max3_f32 v74, v76, v75, v74
	v_cmp_gt_i32_e64 s11, s24, v83
	v_cmp_gt_i32_e64 s12, s24, v84
	v_or_b32_e32 v72, 28, v128
	v_or_b32_e32 v73, 30, v128
	v_mul_f32_e32 v91, s19, v116
	v_cndmask_b32_e64 v75, 0xff7fffff, v94, s11
	v_cndmask_b32_e64 v76, 0xff7fffff, v93, s12
	v_max3_f32 v74, v74, v77, v78
	v_cmp_gt_i32_e64 s13, s24, v85
	v_cmp_gt_i32_e64 s15, s24, v71
	;; [unrolled: 1-line block ×4, first 2 shown]
	v_max3_f32 v74, v74, v75, v76
	v_cndmask_b32_e64 v77, 0xff7fffff, v92, s13
	v_cndmask_b32_e64 v71, 0xff7fffff, v91, s15
	;; [unrolled: 1-line block ×4, first 2 shown]
	s_delay_alu instid0(VALU_DEP_3) | instskip(SKIP_1) | instid1(VALU_DEP_2)
	v_max3_f32 v71, v74, v77, v71
	v_lshlrev_b32_e32 v74, 2, v127
	v_max3_f32 v71, v71, v72, v73
	ds_bpermute_b32 v72, v74, v71
	s_waitcnt lgkmcnt(0)
	v_max_f32_e32 v72, v72, v72
	s_delay_alu instid0(VALU_DEP_1) | instskip(NEXT) | instid1(VALU_DEP_1)
	v_max_f32_e32 v71, v71, v72
	v_fma_f32 v75, s19, v137, -v71
	v_fma_f32 v76, s19, v138, -v71
	;; [unrolled: 1-line block ×5, first 2 shown]
	s_delay_alu instid0(VALU_DEP_4) | instskip(NEXT) | instid1(VALU_DEP_4)
	v_dual_mul_f32 v75, 0x3fb8aa3b, v75 :: v_dual_mul_f32 v76, 0x3fb8aa3b, v76
	v_mul_f32_e32 v72, 0x3fb8aa3b, v72
	v_fma_f32 v77, s19, v139, -v71
	s_delay_alu instid0(VALU_DEP_4) | instskip(NEXT) | instid1(VALU_DEP_4)
	v_mul_f32_e32 v73, 0x3fb8aa3b, v73
	v_exp_f32_e32 v75, v75
	v_exp_f32_e32 v76, v76
	;; [unrolled: 1-line block ×3, first 2 shown]
	s_delay_alu instid0(VALU_DEP_1) | instskip(SKIP_2) | instid1(TRANS32_DEP_3)
	v_exp_f32_e32 v73, v73
	v_cndmask_b32_e64 v81, 0, v75, s3
	v_mul_f32_e32 v82, 0x3fb8aa3b, v80
	v_cndmask_b32_e64 v80, 0, v76, s4
	s_waitcnt_depctr 0xfff
	v_cndmask_b32_e64 v78, 0, v73, s2
	v_cmp_gt_u32_e64 s2, 16, v70
	v_exp_f32_e32 v84, v82
	s_waitcnt_depctr 0xfff
	v_cndmask_b32_e64 v85, 0, v84, s7
	v_cndmask_b32_e32 v79, 0, v72, vcc_lo
	v_fma_f32 v72, s19, v140, -v71
	v_mul_f32_e32 v77, 0x3fb8aa3b, v77
	s_delay_alu instid0(VALU_DEP_2) | instskip(NEXT) | instid1(VALU_DEP_2)
	v_dual_add_f32 v73, 0, v79 :: v_dual_mul_f32 v72, 0x3fb8aa3b, v72
	v_exp_f32_e32 v77, v77
	s_delay_alu instid0(VALU_DEP_1) | instskip(NEXT) | instid1(VALU_DEP_2)
	v_add_f32_e32 v73, v73, v78
	v_exp_f32_e32 v72, v72
	s_delay_alu instid0(VALU_DEP_1) | instskip(SKIP_4) | instid1(VALU_DEP_2)
	v_add_f32_e32 v73, v73, v81
	s_waitcnt_depctr 0xfff
	v_cndmask_b32_e64 v83, 0, v77, s5
	v_add_f32_e32 v73, v73, v80
	v_cndmask_b32_e64 v82, 0, v72, s6
	v_add_f32_e32 v72, v73, v83
	s_delay_alu instid0(VALU_DEP_1)
	v_add_f32_e32 v72, v72, v82
	v_fma_f32 v75, s19, v142, -v71
	v_fma_f32 v76, s19, v111, -v71
	;; [unrolled: 1-line block ×5, first 2 shown]
	s_delay_alu instid0(VALU_DEP_4) | instskip(NEXT) | instid1(VALU_DEP_4)
	v_dual_mul_f32 v75, 0x3fb8aa3b, v75 :: v_dual_mul_f32 v76, 0x3fb8aa3b, v76
	v_mul_f32_e32 v86, 0x3fb8aa3b, v86
	v_add_f32_e32 v72, v72, v85
	s_delay_alu instid0(VALU_DEP_3) | instskip(NEXT) | instid1(VALU_DEP_3)
	v_exp_f32_e32 v75, v75
	v_exp_f32_e32 v76, v76
	s_delay_alu instid0(VALU_DEP_2) | instskip(NEXT) | instid1(TRANS32_DEP_3)
	v_exp_f32_e32 v88, v86
	v_cndmask_b32_e64 v84, 0, v75, s8
	v_mul_f32_e32 v77, 0x3fb8aa3b, v77
	s_waitcnt_depctr 0xfff
	v_cndmask_b32_e64 v87, 0, v76, s9
	v_fma_f32 v76, s19, v116, -v71
	v_dual_mul_f32 v73, 0x3fb8aa3b, v73 :: v_dual_add_f32 v72, v72, v84
	v_exp_f32_e32 v77, v77
	v_fma_f32 v75, s19, v115, -v71
	s_delay_alu instid0(VALU_DEP_3) | instskip(NEXT) | instid1(VALU_DEP_3)
	v_mul_f32_e32 v76, 0x3fb8aa3b, v76
	v_exp_f32_e32 v73, v73
	v_add_f32_e32 v72, v72, v87
	v_cndmask_b32_e64 v88, 0, v88, s12
	s_delay_alu instid0(VALU_DEP_3) | instskip(NEXT) | instid1(TRANS32_DEP_3)
	v_exp_f32_e32 v76, v76
	v_cndmask_b32_e64 v86, 0, v77, s10
	v_mul_f32_e32 v75, 0x3fb8aa3b, v75
	v_fma_f32 v77, s19, v117, -v71
	s_delay_alu instid0(TRANS32_DEP_2) | instskip(NEXT) | instid1(VALU_DEP_4)
	v_cndmask_b32_e64 v89, 0, v73, s11
	v_add_f32_e32 v72, v72, v86
	s_delay_alu instid0(VALU_DEP_4) | instskip(NEXT) | instid1(TRANS32_DEP_2)
	v_exp_f32_e32 v75, v75
	v_cndmask_b32_e64 v90, 0, v76, s15
	s_delay_alu instid0(VALU_DEP_2) | instskip(SKIP_2) | instid1(VALU_DEP_3)
	v_add_f32_e32 v72, v72, v89
	v_mul_f32_e32 v73, 0x3fb8aa3b, v77
	v_fma_f32 v77, s19, v118, -v71
	v_add_f32_e32 v72, v72, v88
	s_delay_alu instid0(VALU_DEP_3) | instskip(NEXT) | instid1(TRANS32_DEP_2)
	v_exp_f32_e32 v73, v73
	v_cndmask_b32_e64 v91, 0, v75, s13
	s_delay_alu instid0(VALU_DEP_1) | instskip(NEXT) | instid1(VALU_DEP_1)
	v_dual_mul_f32 v75, 0x3fb8aa3b, v77 :: v_dual_add_f32 v72, v72, v91
	v_exp_f32_e32 v75, v75
	s_waitcnt_depctr 0xfff
	v_cndmask_b32_e64 v93, 0, v73, s16
	v_add_f32_e32 v72, v72, v90
	s_delay_alu instid0(VALU_DEP_1) | instskip(SKIP_1) | instid1(VALU_DEP_1)
	v_add_f32_e32 v72, v72, v93
	v_cndmask_b32_e64 v92, 0, v75, s17
	v_add_f32_e32 v72, v72, v92
	ds_bpermute_b32 v73, v74, v72
	s_and_saveexec_b32 s3, s2
	s_cbranch_execz .LBB1076_12
; %bb.11:
	v_mul_u32_u24_e32 v70, 0x44, v69
	s_waitcnt lgkmcnt(0)
	v_add_f32_e32 v72, v72, v73
	s_delay_alu instid0(VALU_DEP_2) | instskip(NEXT) | instid1(VALU_DEP_1)
	v_lshl_add_u32 v70, v68, 2, v70
	v_add_nc_u32_e32 v70, 0x4000, v70
	ds_store_2addr_b32 v70, v71, v72 offset1:136
.LBB1076_12:
	s_or_b32 exec_lo, exec_lo, s3
	v_lshlrev_b32_e32 v70, 2, v68
	s_load_b32 s35, s[0:1], 0x94
	s_waitcnt lgkmcnt(0)
	s_barrier
	buffer_gl0_inv
	v_add_nc_u32_e32 v98, 0x4000, v70
	v_cmp_eq_u32_e32 vcc_lo, 1, v69
	v_cmp_eq_u32_e64 s3, 2, v69
	v_cmp_eq_u32_e64 s4, 3, v69
	;; [unrolled: 1-line block ×3, first 2 shown]
	ds_load_2addr_b32 v[70:71], v98 offset1:17
	ds_load_2addr_b32 v[72:73], v98 offset0:34 offset1:51
	ds_load_2addr_b32 v[74:75], v98 offset0:68 offset1:85
	;; [unrolled: 1-line block ×3, first 2 shown]
	v_cmp_eq_u32_e64 s6, 5, v69
	v_cmp_eq_u32_e64 s7, 7, v69
	s_waitcnt lgkmcnt(3)
	v_max3_f32 v76, v70, 0xff7fffff, v71
	s_waitcnt lgkmcnt(2)
	s_delay_alu instid0(VALU_DEP_1) | instskip(SKIP_1) | instid1(VALU_DEP_1)
	v_max3_f32 v76, v76, v72, v73
	s_waitcnt lgkmcnt(1)
	v_max3_f32 v76, v76, v74, v75
	s_waitcnt lgkmcnt(0)
	s_delay_alu instid0(VALU_DEP_1) | instskip(NEXT) | instid1(VALU_DEP_1)
	v_max3_f32 v76, v76, v94, v95
	v_sub_f32_e32 v77, v71, v76
	ds_load_2addr_b32 v[96:97], v98 offset0:136 offset1:153
	v_sub_f32_e32 v74, v74, v76
	v_sub_f32_e32 v70, v70, v76
	;; [unrolled: 1-line block ×3, first 2 shown]
	v_dual_sub_f32 v72, v72, v76 :: v_dual_mul_f32 v77, 0x3fb8aa3b, v77
	s_delay_alu instid0(VALU_DEP_4) | instskip(NEXT) | instid1(VALU_DEP_4)
	v_mul_f32_e32 v103, 0x3fb8aa3b, v74
	v_mul_f32_e32 v99, 0x3fb8aa3b, v70
	ds_load_2addr_b32 v[70:71], v98 offset0:170 offset1:187
	v_dual_mul_f32 v101, 0x3fb8aa3b, v72 :: v_dual_mul_f32 v94, 0x3fb8aa3b, v94
	v_exp_f32_e32 v102, v77
	v_exp_f32_e32 v99, v99
	s_delay_alu instid0(VALU_DEP_1) | instskip(NEXT) | instid1(VALU_DEP_1)
	v_exp_f32_e32 v101, v101
	v_exp_f32_e32 v94, v94
	s_waitcnt lgkmcnt(1)
	s_delay_alu instid0(TRANS32_DEP_3)
	v_fma_f32 v77, v99, v96, 0
	v_sub_f32_e32 v100, v73, v76
	ds_load_2addr_b32 v[72:73], v98 offset0:204 offset1:221
	v_fmac_f32_e32 v77, v102, v97
	v_exp_f32_e32 v97, v103
	s_waitcnt lgkmcnt(1)
	s_delay_alu instid0(VALU_DEP_1)
	v_dual_fmac_f32 v77, v101, v70 :: v_dual_sub_f32 v96, v75, v76
	ds_load_2addr_b32 v[74:75], v98 offset0:238 offset1:255
	v_sub_f32_e32 v70, v95, v76
	s_waitcnt lgkmcnt(0)
	s_barrier
	v_mul_f32_e32 v96, 0x3fb8aa3b, v96
	buffer_gl0_inv
	v_exp_f32_e32 v95, v96
	v_mul_f32_e32 v100, 0x3fb8aa3b, v100
	s_delay_alu instid0(VALU_DEP_1) | instskip(SKIP_3) | instid1(VALU_DEP_2)
	v_exp_f32_e32 v100, v100
	s_waitcnt_depctr 0xfff
	v_dual_fmac_f32 v77, v100, v71 :: v_dual_mul_f32 v70, 0x3fb8aa3b, v70
	v_cndmask_b32_e32 v71, v99, v102, vcc_lo
	v_fmac_f32_e32 v77, v97, v72
	s_delay_alu instid0(VALU_DEP_3) | instskip(NEXT) | instid1(VALU_DEP_1)
	v_exp_f32_e32 v96, v70
	v_fmac_f32_e32 v77, v95, v73
	s_delay_alu instid0(VALU_DEP_1) | instskip(SKIP_2) | instid1(VALU_DEP_1)
	v_fmac_f32_e32 v77, v94, v74
	s_waitcnt_depctr 0xfff
	v_fmac_f32_e32 v77, v96, v75
	v_add_f32_e32 v74, 0x358637bd, v77
	s_delay_alu instid0(VALU_DEP_1) | instskip(SKIP_1) | instid1(VALU_DEP_2)
	v_div_scale_f32 v98, null, v74, v74, 1.0
	v_div_scale_f32 v99, vcc_lo, 1.0, v74, 1.0
	v_rcp_f32_e32 v103, v98
	s_waitcnt_depctr 0xfff
	v_fma_f32 v70, -v98, v103, 1.0
	s_delay_alu instid0(VALU_DEP_1) | instskip(SKIP_2) | instid1(VALU_DEP_2)
	v_fmac_f32_e32 v103, v70, v103
	v_cndmask_b32_e64 v70, v71, v101, s3
	v_cmp_eq_u32_e64 s3, 6, v69
	v_cndmask_b32_e64 v71, v70, v100, s4
	s_delay_alu instid0(VALU_DEP_4) | instskip(NEXT) | instid1(VALU_DEP_2)
	v_dual_mul_f32 v101, v99, v103 :: v_dual_lshlrev_b32 v70, 2, v66
	v_cndmask_b32_e64 v71, v71, v97, s5
	s_delay_alu instid0(VALU_DEP_2) | instskip(NEXT) | instid1(VALU_DEP_3)
	v_or_b32_e32 v72, 1, v70
	v_fma_f32 v100, -v98, v101, v99
	v_cmp_eq_u32_e64 s4, 1, v70
	v_cmp_eq_u32_e64 s5, 2, v70
	v_cndmask_b32_e64 v95, v71, v95, s6
	v_or_b32_e32 v71, 3, v70
	v_fmac_f32_e32 v101, v100, v103
	v_cmp_eq_u32_e64 s9, 1, v72
	v_cmp_eq_u32_e64 s12, 2, v72
	v_cndmask_b32_e64 v94, v95, v94, s3
	v_cmp_eq_u32_e64 s11, 1, v71
	v_fma_f32 v97, -v98, v101, v99
	v_cmp_eq_u32_e64 s16, 2, v71
	v_cmp_eq_u32_e64 s13, 3, v72
	v_cndmask_b32_e64 v94, v94, v96, s7
	v_cmp_eq_u32_e64 s18, 3, v71
	v_div_fmas_f32 v95, v97, v103, v101
	v_cmp_eq_u32_e32 vcc_lo, 3, v70
	v_cmp_eq_u32_e64 s3, 4, v70
	v_cmp_eq_u32_e64 s19, 4, v72
	;; [unrolled: 1-line block ×3, first 2 shown]
	v_div_fixup_f32 v95, v95, v74, 1.0
	v_lshlrev_b32_e32 v73, 6, v68
	v_cmp_eq_u32_e64 s6, 5, v70
	v_cmp_eq_u32_e64 s20, 5, v72
	;; [unrolled: 1-line block ×3, first 2 shown]
	v_mul_f32_e32 v102, v94, v95
	v_lshl_or_b32 v75, v69, 11, v73
	v_or_b32_e32 v69, 2, v70
	v_cmp_eq_u32_e64 s25, 6, v72
	v_cmp_eq_u32_e64 s27, 6, v71
	v_fma_mixlo_f16 v94, v102, v79, 0
	v_fma_mixlo_f16 v95, v102, v81, 0
	;; [unrolled: 1-line block ×8, first 2 shown]
	v_lshl_or_b32 v74, v66, 4, v75
	v_fma_mixhi_f16 v94, v102, v78, 0
	v_fma_mixhi_f16 v95, v102, v80, 0
	;; [unrolled: 1-line block ×8, first 2 shown]
	ds_store_b128 v74, v[94:97]
	ds_store_b128 v74, v[98:101] offset:1024
	s_waitcnt lgkmcnt(0)
	s_barrier
	buffer_gl0_inv
	ds_load_b128 v[78:81], v75
	ds_load_b128 v[82:85], v75 offset:16
	ds_load_b128 v[86:89], v75 offset:1024
	;; [unrolled: 1-line block ×3, first 2 shown]
	v_cmp_eq_u32_e64 s10, 1, v69
	v_cmp_eq_u32_e64 s15, 2, v69
	;; [unrolled: 1-line block ×11, first 2 shown]
	s_waitcnt lgkmcnt(3)
	v_lshrrev_b32_e32 v94, 16, v78
	s_waitcnt lgkmcnt(2)
	v_lshrrev_b32_e32 v98, 16, v82
	;; [unrolled: 2-line block ×4, first 2 shown]
	v_lshrrev_b32_e32 v95, 16, v79
	v_cndmask_b32_e64 v110, v78, v94, s4
	v_cndmask_b32_e64 v111, v82, v98, s4
	;; [unrolled: 1-line block ×8, first 2 shown]
	v_lshrrev_b32_e32 v99, 16, v83
	v_cndmask_b32_e64 v94, v86, v102, s4
	v_cndmask_b32_e64 v98, v90, v106, s4
	;; [unrolled: 1-line block ×15, first 2 shown]
	v_lshrrev_b32_e32 v103, 16, v87
	v_lshrrev_b32_e32 v107, 16, v91
	v_cndmask_b32_e64 v113, v115, v83, s15
	v_cndmask_b32_e64 v82, v94, v87, s5
	;; [unrolled: 1-line block ×7, first 2 shown]
	v_cndmask_b32_e32 v90, v102, v95, vcc_lo
	v_cndmask_b32_e32 v102, v106, v99, vcc_lo
	v_cndmask_b32_e64 v106, v110, v95, s13
	v_cndmask_b32_e64 v110, v111, v99, s13
	;; [unrolled: 1-line block ×4, first 2 shown]
	v_lshrrev_b32_e32 v96, 16, v80
	v_lshrrev_b32_e32 v100, 16, v84
	v_cndmask_b32_e64 v111, v112, v95, s17
	v_cndmask_b32_e64 v112, v113, v99, s17
	v_cndmask_b32_e32 v82, v82, v103, vcc_lo
	v_cndmask_b32_e32 v83, v83, v107, vcc_lo
	v_cndmask_b32_e64 v94, v94, v103, s13
	v_cndmask_b32_e64 v90, v90, v80, s3
	v_cndmask_b32_e64 v95, v102, v84, s3
	v_cndmask_b32_e64 v99, v106, v80, s19
	v_cndmask_b32_e64 v102, v110, v84, s19
	v_cndmask_b32_e64 v78, v78, v80, s22
	v_cndmask_b32_e64 v79, v79, v84, s22
	v_lshrrev_b32_e32 v104, 16, v88
	v_cndmask_b32_e64 v106, v111, v80, s21
	v_cndmask_b32_e64 v110, v112, v84, s21
	;; [unrolled: 1-line block ×11, first 2 shown]
	v_lshrrev_b32_e32 v97, 16, v81
	v_lshrrev_b32_e32 v101, 16, v85
	v_cndmask_b32_e64 v99, v106, v96, s23
	v_cndmask_b32_e64 v102, v110, v100, s23
	;; [unrolled: 1-line block ×7, first 2 shown]
	v_lshrrev_b32_e32 v105, 16, v89
	v_cndmask_b32_e64 v80, v80, v104, s6
	v_cndmask_b32_e64 v84, v84, v81, s7
	;; [unrolled: 1-line block ×16, first 2 shown]
	v_perm_b32 v81, v79, v78, 0x5040100
	v_perm_b32 v79, v95, v85, 0x5040100
	v_cndmask_b32_e64 v78, v119, v91, s15
	v_cndmask_b32_e64 v85, v117, v91, s12
	;; [unrolled: 1-line block ×3, first 2 shown]
	v_perm_b32 v80, v94, v90, 0x5040100
	v_cndmask_b32_e64 v90, v98, v103, s17
	v_cndmask_b32_e64 v86, v86, v103, s18
	;; [unrolled: 1-line block ×5, first 2 shown]
	v_lshrrev_b32_e32 v108, 16, v92
	v_cndmask_b32_e64 v90, v90, v88, s21
	v_cndmask_b32_e64 v86, v86, v88, s22
	;; [unrolled: 1-line block ×11, first 2 shown]
	v_lshrrev_b32_e32 v109, 16, v93
	v_cndmask_b32_e64 v82, v82, v93, s7
	v_cndmask_b32_e64 v88, v88, v89, s26
	;; [unrolled: 1-line block ×12, first 2 shown]
	v_perm_b32 v78, v84, v83, 0x5040100
	v_perm_b32 v85, v87, v86, 0x5040100
	;; [unrolled: 1-line block ×5, first 2 shown]
	s_mul_i32 s8, s33, 7
	s_mov_b32 s3, exec_lo
	ds_store_b128 v74, v[78:81]
	ds_store_b128 v74, v[82:85] offset:1024
	v_cmpx_gt_u32_e32 7, v0
	s_cbranch_execz .LBB1076_14
; %bb.13:
	s_mul_i32 s4, s8, s34
	s_delay_alu instid0(SALU_CYCLE_1) | instskip(SKIP_1) | instid1(VALU_DEP_1)
	v_add3_u32 v68, s4, s31, v68
	s_load_b128 s[4:7], s[0:1], 0x58
	v_mad_u64_u32 v[78:79], null, v68, s35, s[14:15]
	s_delay_alu instid0(VALU_DEP_1) | instskip(NEXT) | instid1(VALU_DEP_1)
	v_ashrrev_i32_e32 v79, 31, v78
	v_lshlrev_b64 v[78:79], 2, v[78:79]
	s_waitcnt lgkmcnt(0)
	s_delay_alu instid0(VALU_DEP_1) | instskip(NEXT) | instid1(VALU_DEP_2)
	v_add_co_u32 v80, vcc_lo, s6, v78
	v_add_co_ci_u32_e32 v81, vcc_lo, s7, v79, vcc_lo
	v_add_co_u32 v78, vcc_lo, s4, v78
	v_add_co_ci_u32_e32 v79, vcc_lo, s5, v79, vcc_lo
	global_store_b32 v[80:81], v76, off
	global_store_b32 v[78:79], v77, off
.LBB1076_14:
	s_or_b32 exec_lo, exec_lo, s3
	s_waitcnt lgkmcnt(0)
	s_waitcnt_vscnt null, 0x0
	s_barrier
	buffer_gl0_inv
	ds_load_b128 v[84:87], v73
	ds_load_b128 v[88:91], v73 offset:16
	ds_load_b128 v[96:99], v73 offset:2064
	;; [unrolled: 1-line block ×5, first 2 shown]
	v_cmp_eq_u32_e32 vcc_lo, 1, v70
	v_mov_b32_e32 v76, 0
	ds_load_b128 v[112:115], v73 offset:6160
	ds_load_b128 v[108:111], v73 offset:6144
	;; [unrolled: 1-line block ×4, first 2 shown]
	v_cmp_eq_u32_e64 s4, 1, v69
	v_cmp_eq_u32_e64 s3, 1, v72
	;; [unrolled: 1-line block ×3, first 2 shown]
	v_mov_b32_e32 v77, v76
	v_mov_b32_e32 v78, v76
	;; [unrolled: 1-line block ×7, first 2 shown]
	v_cmp_eq_u32_e64 s6, 3, v72
	v_cmp_eq_u32_e64 s7, 7, v72
	s_waitcnt lgkmcnt(8)
	s_delay_alu instid0(VALU_DEP_3)
	v_wmma_f32_16x16x16_f16 v[76:83], v[49:56], v[84:91], v[76:83]
	ds_load_b128 v[53:56], v73 offset:10256
	ds_load_b128 v[49:52], v73 offset:10240
	s_waitcnt lgkmcnt(8)
	v_wmma_f32_16x16x16_f16 v[76:83], v[41:48], v[92:99], v[76:83]
	ds_load_b128 v[45:48], v73 offset:12304
	ds_load_b128 v[41:44], v73 offset:12288
	s_waitcnt lgkmcnt(8)
	;; [unrolled: 4-line block ×3, first 2 shown]
	s_barrier
	buffer_gl0_inv
	v_wmma_f32_16x16x16_f16 v[76:83], v[1:8], v[108:115], v[76:83]
	s_delay_alu instid0(VALU_DEP_1) | instskip(NEXT) | instid1(VALU_DEP_1)
	v_wmma_f32_16x16x16_f16 v[76:83], v[9:16], v[116:123], v[76:83]
	v_wmma_f32_16x16x16_f16 v[76:83], v[17:24], v[49:56], v[76:83]
	s_delay_alu instid0(VALU_DEP_1) | instskip(NEXT) | instid1(VALU_DEP_1)
	v_wmma_f32_16x16x16_f16 v[76:83], v[25:32], v[41:48], v[76:83]
	v_wmma_f32_16x16x16_f16 v[76:83], v[57:64], v[33:40], v[76:83]
	s_delay_alu instid0(VALU_DEP_1) | instskip(NEXT) | instid1(VALU_DEP_2)
	v_cvt_f16_f32_e32 v1, v76
	v_cvt_f16_f32_e32 v2, v77
	s_delay_alu instid0(VALU_DEP_3) | instskip(NEXT) | instid1(VALU_DEP_4)
	v_cvt_f16_f32_e32 v3, v78
	v_cvt_f16_f32_e32 v4, v79
	;; [unrolled: 1-line block ×6, first 2 shown]
	v_pack_b32_f16 v1, v1, v2
	v_pack_b32_f16 v2, v3, v4
	;; [unrolled: 1-line block ×3, first 2 shown]
	s_delay_alu instid0(VALU_DEP_4)
	v_pack_b32_f16 v4, v7, v8
	ds_store_b128 v74, v[1:4]
	s_waitcnt lgkmcnt(0)
	s_barrier
	buffer_gl0_inv
	ds_load_b128 v[1:4], v75
	ds_load_b128 v[5:8], v75 offset:16
	s_waitcnt lgkmcnt(1)
	v_lshrrev_b32_e32 v9, 16, v1
	s_waitcnt lgkmcnt(0)
	v_lshrrev_b32_e32 v13, 16, v5
	v_lshrrev_b32_e32 v10, 16, v2
	;; [unrolled: 1-line block ×4, first 2 shown]
	v_cndmask_b32_e32 v17, v1, v9, vcc_lo
	v_cndmask_b32_e32 v18, v5, v13, vcc_lo
	v_cndmask_b32_e64 v21, v1, v9, s4
	v_cmp_eq_u32_e32 vcc_lo, 1, v71
	v_cndmask_b32_e64 v22, v5, v13, s4
	v_cmp_eq_u32_e64 s4, 2, v70
	v_cndmask_b32_e64 v19, v1, v9, s3
	v_cndmask_b32_e64 v20, v5, v13, s3
	v_cndmask_b32_e32 v1, v1, v9, vcc_lo
	v_cmp_eq_u32_e64 s3, 2, v71
	v_cndmask_b32_e32 v5, v5, v13, vcc_lo
	v_cndmask_b32_e64 v9, v17, v2, s4
	v_cmp_eq_u32_e32 vcc_lo, 3, v70
	v_cndmask_b32_e64 v13, v18, v6, s4
	v_cmp_eq_u32_e64 s4, 2, v69
	v_cndmask_b32_e64 v17, v19, v2, s5
	v_cndmask_b32_e64 v18, v20, v6, s5
	v_cmp_eq_u32_e64 s5, 3, v69
	v_cndmask_b32_e64 v1, v1, v2, s3
	v_cndmask_b32_e64 v19, v21, v2, s4
	;; [unrolled: 1-line block ×4, first 2 shown]
	v_cndmask_b32_e32 v5, v9, v10, vcc_lo
	v_cndmask_b32_e32 v6, v13, v14, vcc_lo
	v_cmp_eq_u32_e32 vcc_lo, 3, v71
	v_cndmask_b32_e64 v9, v17, v10, s6
	v_cndmask_b32_e64 v13, v18, v14, s6
	;; [unrolled: 1-line block ×3, first 2 shown]
	v_cmp_eq_u32_e64 s4, 4, v70
	v_cndmask_b32_e32 v1, v1, v10, vcc_lo
	v_cndmask_b32_e32 v2, v2, v14, vcc_lo
	v_cmp_eq_u32_e32 vcc_lo, 4, v72
	v_lshrrev_b32_e32 v15, 16, v7
	v_lshrrev_b32_e32 v16, 16, v8
	v_cndmask_b32_e64 v17, v19, v10, s5
	v_cmp_eq_u32_e64 s3, 4, v71
	v_cndmask_b32_e64 v5, v5, v3, s4
	v_cndmask_b32_e64 v6, v6, v7, s4
	v_cndmask_b32_e32 v9, v9, v3, vcc_lo
	v_cmp_eq_u32_e64 s4, 5, v72
	v_cndmask_b32_e32 v10, v13, v7, vcc_lo
	v_cmp_eq_u32_e32 vcc_lo, 4, v69
	v_cmp_eq_u32_e64 s5, 5, v70
	v_cndmask_b32_e64 v2, v2, v7, s3
	v_cndmask_b32_e64 v9, v9, v11, s4
	;; [unrolled: 1-line block ×3, first 2 shown]
	v_cndmask_b32_e32 v13, v17, v3, vcc_lo
	v_cmp_eq_u32_e64 s4, 5, v69
	v_cndmask_b32_e32 v14, v18, v7, vcc_lo
	v_cndmask_b32_e64 v1, v1, v3, s3
	v_cmp_eq_u32_e32 vcc_lo, 5, v71
	v_lshrrev_b32_e32 v12, 16, v4
	v_cndmask_b32_e64 v13, v13, v11, s4
	v_cndmask_b32_e64 v3, v14, v15, s4
	v_cmp_eq_u32_e64 s4, 6, v71
	v_cndmask_b32_e32 v1, v1, v11, vcc_lo
	v_cndmask_b32_e64 v5, v5, v11, s5
	v_cmp_eq_u32_e64 s6, 6, v70
	v_cndmask_b32_e64 v6, v6, v15, s5
	v_cmp_eq_u32_e64 s5, 6, v72
	v_cmp_eq_u32_e64 s3, 6, v69
	v_cndmask_b32_e64 v1, v1, v4, s4
	v_cndmask_b32_e32 v2, v2, v15, vcc_lo
	v_cmp_eq_u32_e32 vcc_lo, 7, v71
	v_cndmask_b32_e64 v5, v5, v4, s6
	v_cndmask_b32_e64 v9, v9, v4, s5
	;; [unrolled: 1-line block ×3, first 2 shown]
	v_cmp_eq_u32_e64 s6, 7, v70
	v_cndmask_b32_e32 v1, v1, v12, vcc_lo
	v_cndmask_b32_e64 v7, v13, v4, s3
	v_cndmask_b32_e64 v3, v3, v8, s3
	;; [unrolled: 1-line block ×3, first 2 shown]
	v_cmp_eq_u32_e64 s3, 7, v69
	v_cndmask_b32_e64 v4, v10, v8, s5
	v_cndmask_b32_e64 v5, v5, v12, s6
	;; [unrolled: 1-line block ×3, first 2 shown]
	v_cndmask_b32_e32 v2, v2, v16, vcc_lo
	v_cndmask_b32_e64 v7, v7, v12, s3
	v_cndmask_b32_e64 v3, v3, v16, s3
	v_cndmask_b32_e64 v8, v4, v16, s7
	v_cndmask_b32_e64 v6, v6, v16, s6
	v_perm_b32 v4, v2, v1, 0x5040100
	s_mov_b32 s3, exec_lo
	v_perm_b32 v3, v3, v7, 0x5040100
	v_perm_b32 v2, v8, v9, 0x5040100
	;; [unrolled: 1-line block ×3, first 2 shown]
	ds_store_b128 v74, v[1:4]
	s_waitcnt lgkmcnt(0)
	s_barrier
	buffer_gl0_inv
	v_cmpx_gt_u32_e32 32, v0
	s_cbranch_execz .LBB1076_2
; %bb.15:
	s_load_b64 s[4:5], s[0:1], 0x68
	v_lshlrev_b32_e32 v0, 10, v0
	v_add_nc_u32_e32 v2, s31, v66
	v_lshlrev_b32_e32 v3, 4, v67
	s_lshl_b32 s0, s35, 7
	s_delay_alu instid0(SALU_CYCLE_1) | instskip(NEXT) | instid1(VALU_DEP_2)
	s_mul_i32 s1, s0, s34
	v_mul_lo_u32 v1, v2, s0
	s_delay_alu instid0(VALU_DEP_2)
	v_and_or_b32 v0, 0x3800, v0, v3
	v_add_nc_u32_e32 v3, 2, v2
	s_mul_i32 s6, s1, s8
	v_add_nc_u32_e32 v4, 4, v2
	s_ashr_i32 s7, s6, 31
	v_lshl_or_b32 v11, v66, 6, v0
	s_lshl_b64 s[6:7], s[6:7], 1
	v_mul_lo_u32 v15, v3, s0
	v_mul_lo_u32 v17, v4, s0
	v_ashrrev_i32_e32 v2, 31, v1
	ds_load_b128 v[3:6], v11
	ds_load_b128 v[7:10], v11 offset:128
	ds_load_b128 v[11:14], v11 offset:256
	s_waitcnt lgkmcnt(0)
	s_add_u32 s1, s4, s6
	s_addc_u32 s3, s5, s7
	s_lshl_b32 s4, s14, 7
	v_ashrrev_i32_e32 v16, 31, v15
	s_ashr_i32 s5, s4, 31
	v_lshlrev_b64 v[19:20], 1, v[1:2]
	s_lshl_b64 s[4:5], s[4:5], 1
	v_ashrrev_i32_e32 v18, 31, v17
	s_add_u32 s1, s1, s4
	s_addc_u32 s3, s3, s5
	v_add_co_u32 v1, s1, s1, v65
	s_delay_alu instid0(VALU_DEP_1) | instskip(SKIP_1) | instid1(VALU_DEP_3)
	v_add_co_ci_u32_e64 v2, null, s3, 0, s1
	v_lshlrev_b64 v[15:16], 1, v[15:16]
	v_add_co_u32 v19, vcc_lo, v1, v19
	v_lshlrev_b64 v[17:18], 1, v[17:18]
	s_delay_alu instid0(VALU_DEP_4) | instskip(NEXT) | instid1(VALU_DEP_4)
	v_add_co_ci_u32_e32 v20, vcc_lo, v2, v20, vcc_lo
	v_add_co_u32 v15, vcc_lo, v1, v15
	v_add_co_ci_u32_e32 v16, vcc_lo, v2, v16, vcc_lo
	s_delay_alu instid0(VALU_DEP_4)
	v_add_co_u32 v17, vcc_lo, v1, v17
	v_add_co_ci_u32_e32 v18, vcc_lo, v2, v18, vcc_lo
	s_clause 0x2
	global_store_b128 v[19:20], v[3:6], off
	global_store_b128 v[15:16], v[7:10], off
	;; [unrolled: 1-line block ×3, first 2 shown]
	s_and_b32 exec_lo, exec_lo, s2
	s_cbranch_execz .LBB1076_2
; %bb.16:
	ds_load_b128 v[3:6], v0 offset:384
	s_add_i32 s1, s31, 6
	s_delay_alu instid0(SALU_CYCLE_1) | instskip(NEXT) | instid1(SALU_CYCLE_1)
	s_mul_i32 s0, s1, s0
	s_ashr_i32 s1, s0, 31
	s_delay_alu instid0(SALU_CYCLE_1) | instskip(NEXT) | instid1(SALU_CYCLE_1)
	s_lshl_b64 s[0:1], s[0:1], 1
	v_add_co_u32 v0, vcc_lo, v1, s0
	v_add_co_ci_u32_e32 v1, vcc_lo, s1, v2, vcc_lo
	s_waitcnt lgkmcnt(0)
	global_store_b128 v[0:1], v[3:6], off
	s_nop 0
	s_sendmsg sendmsg(MSG_DEALLOC_VGPRS)
	s_endpgm
	.section	.rodata,"a",@progbits
	.p2align	6, 0x0
	.amdhsa_kernel _Z39paged_attention_ll4mi_QKV_mfma16_kernelIDF16_hLN4vllm18Fp8KVCacheDataTypeE1EDF16_Li32ELi128ELi256ELb0ELi7EL8MFMAType1EEvPKT_PKT0_S8_ifPKiSA_SA_iPKfiiiPfSD_PS3_PT2_iSC_SC_
		.amdhsa_group_segment_fixed_size 17472
		.amdhsa_private_segment_fixed_size 0
		.amdhsa_kernarg_size 400
		.amdhsa_user_sgpr_count 13
		.amdhsa_user_sgpr_dispatch_ptr 0
		.amdhsa_user_sgpr_queue_ptr 0
		.amdhsa_user_sgpr_kernarg_segment_ptr 1
		.amdhsa_user_sgpr_dispatch_id 0
		.amdhsa_user_sgpr_private_segment_size 0
		.amdhsa_wavefront_size32 1
		.amdhsa_uses_dynamic_stack 0
		.amdhsa_enable_private_segment 0
		.amdhsa_system_sgpr_workgroup_id_x 1
		.amdhsa_system_sgpr_workgroup_id_y 1
		.amdhsa_system_sgpr_workgroup_id_z 1
		.amdhsa_system_sgpr_workgroup_info 0
		.amdhsa_system_vgpr_workitem_id 0
		.amdhsa_next_free_vgpr 150
		.amdhsa_next_free_sgpr 37
		.amdhsa_reserve_vcc 1
		.amdhsa_float_round_mode_32 0
		.amdhsa_float_round_mode_16_64 0
		.amdhsa_float_denorm_mode_32 3
		.amdhsa_float_denorm_mode_16_64 3
		.amdhsa_dx10_clamp 1
		.amdhsa_ieee_mode 1
		.amdhsa_fp16_overflow 0
		.amdhsa_workgroup_processor_mode 1
		.amdhsa_memory_ordered 1
		.amdhsa_forward_progress 0
		.amdhsa_shared_vgpr_count 0
		.amdhsa_exception_fp_ieee_invalid_op 0
		.amdhsa_exception_fp_denorm_src 0
		.amdhsa_exception_fp_ieee_div_zero 0
		.amdhsa_exception_fp_ieee_overflow 0
		.amdhsa_exception_fp_ieee_underflow 0
		.amdhsa_exception_fp_ieee_inexact 0
		.amdhsa_exception_int_div_zero 0
	.end_amdhsa_kernel
	.section	.text._Z39paged_attention_ll4mi_QKV_mfma16_kernelIDF16_hLN4vllm18Fp8KVCacheDataTypeE1EDF16_Li32ELi128ELi256ELb0ELi7EL8MFMAType1EEvPKT_PKT0_S8_ifPKiSA_SA_iPKfiiiPfSD_PS3_PT2_iSC_SC_,"axG",@progbits,_Z39paged_attention_ll4mi_QKV_mfma16_kernelIDF16_hLN4vllm18Fp8KVCacheDataTypeE1EDF16_Li32ELi128ELi256ELb0ELi7EL8MFMAType1EEvPKT_PKT0_S8_ifPKiSA_SA_iPKfiiiPfSD_PS3_PT2_iSC_SC_,comdat
.Lfunc_end1076:
	.size	_Z39paged_attention_ll4mi_QKV_mfma16_kernelIDF16_hLN4vllm18Fp8KVCacheDataTypeE1EDF16_Li32ELi128ELi256ELb0ELi7EL8MFMAType1EEvPKT_PKT0_S8_ifPKiSA_SA_iPKfiiiPfSD_PS3_PT2_iSC_SC_, .Lfunc_end1076-_Z39paged_attention_ll4mi_QKV_mfma16_kernelIDF16_hLN4vllm18Fp8KVCacheDataTypeE1EDF16_Li32ELi128ELi256ELb0ELi7EL8MFMAType1EEvPKT_PKT0_S8_ifPKiSA_SA_iPKfiiiPfSD_PS3_PT2_iSC_SC_
                                        ; -- End function
	.section	.AMDGPU.csdata,"",@progbits
; Kernel info:
; codeLenInByte = 6708
; NumSgprs: 39
; NumVgprs: 150
; ScratchSize: 0
; MemoryBound: 0
; FloatMode: 240
; IeeeMode: 1
; LDSByteSize: 17472 bytes/workgroup (compile time only)
; SGPRBlocks: 4
; VGPRBlocks: 18
; NumSGPRsForWavesPerEU: 39
; NumVGPRsForWavesPerEU: 150
; Occupancy: 9
; WaveLimiterHint : 1
; COMPUTE_PGM_RSRC2:SCRATCH_EN: 0
; COMPUTE_PGM_RSRC2:USER_SGPR: 13
; COMPUTE_PGM_RSRC2:TRAP_HANDLER: 0
; COMPUTE_PGM_RSRC2:TGID_X_EN: 1
; COMPUTE_PGM_RSRC2:TGID_Y_EN: 1
; COMPUTE_PGM_RSRC2:TGID_Z_EN: 1
; COMPUTE_PGM_RSRC2:TIDIG_COMP_CNT: 0
	.section	.text._Z39paged_attention_ll4mi_QKV_mfma16_kernelIDF16_hLN4vllm18Fp8KVCacheDataTypeE1EDF16_Li32ELi128ELi256ELb0ELi8EL8MFMAType1EEvPKT_PKT0_S8_ifPKiSA_SA_iPKfiiiPfSD_PS3_PT2_iSC_SC_,"axG",@progbits,_Z39paged_attention_ll4mi_QKV_mfma16_kernelIDF16_hLN4vllm18Fp8KVCacheDataTypeE1EDF16_Li32ELi128ELi256ELb0ELi8EL8MFMAType1EEvPKT_PKT0_S8_ifPKiSA_SA_iPKfiiiPfSD_PS3_PT2_iSC_SC_,comdat
	.protected	_Z39paged_attention_ll4mi_QKV_mfma16_kernelIDF16_hLN4vllm18Fp8KVCacheDataTypeE1EDF16_Li32ELi128ELi256ELb0ELi8EL8MFMAType1EEvPKT_PKT0_S8_ifPKiSA_SA_iPKfiiiPfSD_PS3_PT2_iSC_SC_ ; -- Begin function _Z39paged_attention_ll4mi_QKV_mfma16_kernelIDF16_hLN4vllm18Fp8KVCacheDataTypeE1EDF16_Li32ELi128ELi256ELb0ELi8EL8MFMAType1EEvPKT_PKT0_S8_ifPKiSA_SA_iPKfiiiPfSD_PS3_PT2_iSC_SC_
	.globl	_Z39paged_attention_ll4mi_QKV_mfma16_kernelIDF16_hLN4vllm18Fp8KVCacheDataTypeE1EDF16_Li32ELi128ELi256ELb0ELi8EL8MFMAType1EEvPKT_PKT0_S8_ifPKiSA_SA_iPKfiiiPfSD_PS3_PT2_iSC_SC_
	.p2align	8
	.type	_Z39paged_attention_ll4mi_QKV_mfma16_kernelIDF16_hLN4vllm18Fp8KVCacheDataTypeE1EDF16_Li32ELi128ELi256ELb0ELi8EL8MFMAType1EEvPKT_PKT0_S8_ifPKiSA_SA_iPKfiiiPfSD_PS3_PT2_iSC_SC_,@function
_Z39paged_attention_ll4mi_QKV_mfma16_kernelIDF16_hLN4vllm18Fp8KVCacheDataTypeE1EDF16_Li32ELi128ELi256ELb0ELi8EL8MFMAType1EEvPKT_PKT0_S8_ifPKiSA_SA_iPKfiiiPfSD_PS3_PT2_iSC_SC_: ; @_Z39paged_attention_ll4mi_QKV_mfma16_kernelIDF16_hLN4vllm18Fp8KVCacheDataTypeE1EDF16_Li32ELi128ELi256ELb0ELi8EL8MFMAType1EEvPKT_PKT0_S8_ifPKiSA_SA_iPKfiiiPfSD_PS3_PT2_iSC_SC_
; %bb.0:
	s_load_b64 s[4:5], s[0:1], 0x30
	s_mov_b32 s30, s13
	s_waitcnt lgkmcnt(0)
	s_cmp_lg_u64 s[4:5], 0
	s_cselect_b32 s13, -1, 0
	s_ashr_i32 s31, s30, 31
	s_cmp_eq_u64 s[4:5], 0
	s_cbranch_scc1 .LBB1077_3
; %bb.1:
	s_lshl_b64 s[2:3], s[30:31], 2
	s_delay_alu instid0(SALU_CYCLE_1) | instskip(SKIP_4) | instid1(SALU_CYCLE_1)
	s_add_u32 s2, s4, s2
	s_addc_u32 s3, s5, s3
	s_load_b64 s[2:3], s[2:3], 0x0
	s_waitcnt lgkmcnt(0)
	s_sub_i32 s2, s3, s2
	s_cmp_eq_u32 s2, 1
	s_cselect_b32 s2, -1, 0
	s_delay_alu instid0(SALU_CYCLE_1)
	s_and_not1_b32 vcc_lo, exec_lo, s2
	s_cbranch_vccz .LBB1077_4
.LBB1077_2:
	s_endpgm
.LBB1077_3:
.LBB1077_4:
	s_load_b64 s[2:3], s[0:1], 0x28
	s_lshl_b64 s[6:7], s[30:31], 2
	s_waitcnt lgkmcnt(0)
	s_add_u32 s2, s2, s6
	s_addc_u32 s3, s3, s7
	s_lshl_b32 s12, s14, 8
	s_load_b32 s17, s[2:3], 0x0
	s_waitcnt lgkmcnt(0)
	s_cmp_ge_i32 s12, s17
	s_cbranch_scc1 .LBB1077_2
; %bb.5:
	s_clause 0x1
	s_load_b128 s[8:11], s[0:1], 0x8
	s_load_b64 s[2:3], s[0:1], 0x20
	s_and_not1_b32 vcc_lo, exec_lo, s13
	s_cbranch_vccnz .LBB1077_7
; %bb.6:
	s_add_u32 s4, s4, s6
	s_addc_u32 s5, s5, s7
	s_load_b32 s13, s[4:5], 0x0
	s_branch .LBB1077_8
.LBB1077_7:
	s_mov_b32 s13, s30
.LBB1077_8:
	s_load_b128 s[4:7], s[0:1], 0x48
	v_and_b32_e32 v69, 15, v0
	v_lshrrev_b32_e32 v68, 5, v0
	v_and_b32_e32 v70, 31, v0
	v_and_b32_e32 v67, 1, v0
	v_bfe_u32 v66, v0, 4, 1
	v_lshlrev_b32_e32 v1, 3, v69
	s_lshl_b32 s31, s15, 3
	s_waitcnt lgkmcnt(0)
	s_mov_b32 s7, exec_lo
	s_delay_alu instid0(VALU_DEP_1)
	v_lshlrev_b32_e32 v65, 1, v1
	v_cmpx_gt_u32_e32 0x80, v0
	s_cbranch_execz .LBB1077_10
; %bb.9:
	v_lshl_or_b32 v5, v68, 1, v66
	s_load_b64 s[18:19], s[0:1], 0x0
	s_mul_hi_i32 s21, s13, s4
	s_mul_i32 s20, s13, s4
	v_lshlrev_b32_e32 v6, 10, v69
	v_or_b32_e32 v1, s31, v5
	s_lshl_b64 s[20:21], s[20:21], 1
	v_lshlrev_b32_e32 v5, 6, v5
	v_lshlrev_b32_e32 v7, 10, v67
	v_and_b32_e32 v6, 0x3800, v6
	v_lshlrev_b32_e32 v1, 7, v1
	s_delay_alu instid0(VALU_DEP_2) | instskip(NEXT) | instid1(VALU_DEP_2)
	v_or3_b32 v5, v6, v7, v5
	v_ashrrev_i32_e32 v2, 31, v1
	s_delay_alu instid0(VALU_DEP_1) | instskip(SKIP_3) | instid1(VALU_DEP_1)
	v_lshlrev_b64 v[1:2], 1, v[1:2]
	s_waitcnt lgkmcnt(0)
	s_add_u32 s4, s18, s20
	s_addc_u32 s13, s19, s21
	v_add_co_u32 v1, vcc_lo, s4, v1
	s_delay_alu instid0(VALU_DEP_2) | instskip(NEXT) | instid1(VALU_DEP_2)
	v_add_co_ci_u32_e32 v2, vcc_lo, s13, v2, vcc_lo
	v_add_co_u32 v1, vcc_lo, v1, v65
	s_delay_alu instid0(VALU_DEP_2)
	v_add_co_ci_u32_e32 v2, vcc_lo, 0, v2, vcc_lo
	global_load_b128 v[1:4], v[1:2], off
	s_waitcnt vmcnt(0)
	ds_store_b128 v5, v[1:4]
.LBB1077_10:
	s_or_b32 exec_lo, exec_lo, s7
	v_and_b32_e32 v1, 0xef, v0
	s_add_i32 s4, s17, 31
	s_clause 0x1
	s_load_b32 s7, s[0:1], 0x38
	s_load_b32 s33, s[0:1], 0x98
	s_ashr_i32 s13, s4, 31
	v_add_nc_u32_e32 v1, s12, v1
	s_lshr_b32 s13, s13, 27
	s_load_b32 s18, s[0:1], 0x1c
	s_add_i32 s4, s4, s13
	s_waitcnt lgkmcnt(0)
	v_ashrrev_i32_e32 v2, 31, v1
	v_or_b32_e32 v3, 16, v1
	s_ashr_i32 s4, s4, 5
	v_cmp_gt_i32_e32 vcc_lo, s17, v1
	s_add_i32 s4, s4, -1
	v_lshrrev_b32_e32 v2, 27, v2
	s_barrier
	buffer_gl0_inv
	s_mul_i32 s15, s15, s6
	v_add_nc_u32_e32 v4, v1, v2
	s_mul_i32 s20, s30, s7
	s_delay_alu instid0(SALU_CYCLE_1) | instskip(NEXT) | instid1(VALU_DEP_1)
	s_ashr_i32 s21, s20, 31
	v_ashrrev_i32_e32 v4, 5, v4
	v_add_nc_u32_e32 v2, v3, v2
	s_lshl_b64 s[20:21], s[20:21], 2
	s_delay_alu instid0(SALU_CYCLE_1) | instskip(NEXT) | instid1(VALU_DEP_2)
	s_add_u32 s13, s2, s20
	v_cndmask_b32_e32 v1, s4, v4, vcc_lo
	s_delay_alu instid0(VALU_DEP_2)
	v_ashrrev_i32_e32 v2, 5, v2
	v_cmp_gt_i32_e32 vcc_lo, s17, v3
	s_addc_u32 s16, s3, s21
	s_ashr_i32 s19, s15, 31
	s_add_u32 s2, s8, s15
	s_addc_u32 s3, s9, s19
	v_cndmask_b32_e32 v3, s4, v2, vcc_lo
	v_ashrrev_i32_e32 v2, 31, v1
	s_lshl_b32 s6, s14, 3
	s_delay_alu instid0(SALU_CYCLE_1) | instskip(NEXT) | instid1(VALU_DEP_2)
	s_ashr_i32 s7, s6, 31
	v_ashrrev_i32_e32 v4, 31, v3
	s_delay_alu instid0(VALU_DEP_2) | instskip(SKIP_1) | instid1(SALU_CYCLE_1)
	v_lshlrev_b64 v[1:2], 2, v[1:2]
	s_lshl_b64 s[6:7], s[6:7], 2
	s_add_u32 s6, s13, s6
	s_delay_alu instid0(VALU_DEP_2) | instskip(SKIP_1) | instid1(VALU_DEP_2)
	v_lshlrev_b64 v[3:4], 2, v[3:4]
	s_addc_u32 s7, s16, s7
	v_add_co_u32 v1, vcc_lo, s13, v1
	v_add_co_ci_u32_e32 v2, vcc_lo, s16, v2, vcc_lo
	s_delay_alu instid0(VALU_DEP_3) | instskip(NEXT) | instid1(VALU_DEP_4)
	v_add_co_u32 v3, vcc_lo, s13, v3
	v_add_co_ci_u32_e32 v4, vcc_lo, s16, v4, vcc_lo
	s_clause 0x1
	global_load_b32 v5, v[1:2], off
	global_load_b32 v6, v[3:4], off
	s_or_b32 s8, s12, 32
	s_delay_alu instid0(SALU_CYCLE_1) | instskip(SKIP_2) | instid1(SALU_CYCLE_1)
	s_ashr_i32 s9, s8, 5
	s_cmp_lt_i32 s8, s17
	s_cselect_b32 s8, s9, s4
	s_ashr_i32 s9, s8, 31
	s_delay_alu instid0(SALU_CYCLE_1) | instskip(NEXT) | instid1(SALU_CYCLE_1)
	s_lshl_b64 s[8:9], s[8:9], 2
	s_add_u32 s8, s13, s8
	s_addc_u32 s9, s16, s9
	s_or_b32 s20, s12, 64
	s_delay_alu instid0(SALU_CYCLE_1) | instskip(SKIP_2) | instid1(SALU_CYCLE_1)
	s_ashr_i32 s21, s20, 5
	s_cmp_lt_i32 s20, s17
	s_cselect_b32 s20, s21, s4
	s_ashr_i32 s21, s20, 31
	s_delay_alu instid0(SALU_CYCLE_1) | instskip(NEXT) | instid1(SALU_CYCLE_1)
	s_lshl_b64 s[20:21], s[20:21], 2
	s_add_u32 s20, s13, s20
	s_addc_u32 s21, s16, s21
	;; [unrolled: 10-line block ×5, first 2 shown]
	s_clause 0x5
	s_load_b32 s28, s[6:7], 0x0
	s_load_b32 s8, s[8:9], 0x0
	;; [unrolled: 1-line block ×6, first 2 shown]
	s_mov_b32 s20, 0
	s_delay_alu instid0(SALU_CYCLE_1)
	s_mov_b32 s21, s20
	s_mov_b32 s22, s20
	;; [unrolled: 1-line block ×7, first 2 shown]
	s_delay_alu instid0(SALU_CYCLE_1)
	v_dual_mov_b32 v102, s27 :: v_dual_mov_b32 v101, s26
	v_dual_mov_b32 v100, s25 :: v_dual_mov_b32 v99, s24
	v_mov_b32_e32 v97, s22
	v_dual_mov_b32 v95, s20 :: v_dual_mov_b32 v98, s23
	v_mov_b32_e32 v96, s21
	s_waitcnt vmcnt(1)
	v_mad_i64_i32 v[1:2], null, v5, s5, s[2:3]
	v_lshlrev_b32_e32 v5, 4, v69
	s_waitcnt vmcnt(0)
	v_mad_i64_i32 v[3:4], null, v6, s5, s[2:3]
	s_or_b32 s2, s12, 0xc0
	s_delay_alu instid0(SALU_CYCLE_1) | instskip(NEXT) | instid1(VALU_DEP_3)
	s_ashr_i32 s3, s2, 5
	v_add_co_u32 v33, vcc_lo, v1, v5
	s_delay_alu instid0(VALU_DEP_4) | instskip(NEXT) | instid1(VALU_DEP_3)
	v_add_co_ci_u32_e32 v34, vcc_lo, 0, v2, vcc_lo
	v_add_co_u32 v35, vcc_lo, v3, v5
	s_delay_alu instid0(VALU_DEP_4)
	v_add_co_ci_u32_e32 v36, vcc_lo, 0, v4, vcc_lo
	s_clause 0xf
	global_load_b128 v[1:4], v[33:34], off
	global_load_b128 v[5:8], v[33:34], off offset:512
	global_load_b128 v[9:12], v[35:36], off offset:256
	;; [unrolled: 1-line block ×15, first 2 shown]
	s_cmp_lt_i32 s2, s17
	v_and_b32_e32 v33, 7, v0
	s_cselect_b32 s2, s3, s4
	v_lshlrev_b32_e32 v34, 5, v69
	s_ashr_i32 s3, s2, 31
	s_delay_alu instid0(SALU_CYCLE_1)
	s_lshl_b64 s[2:3], s[2:3], 2
	v_lshlrev_b32_e32 v139, 6, v33
	s_add_u32 s2, s13, s2
	s_addc_u32 s3, s16, s3
	s_or_b32 s6, s12, 0xe0
	v_lshl_or_b32 v41, v68, 9, v34
	s_ashr_i32 s7, s6, 5
	s_cmp_lt_i32 s6, s17
	ds_load_b128 v[33:36], v139
	ds_load_b128 v[37:40], v139 offset:1024
	s_cselect_b32 s6, s7, s4
	ds_load_b128 v[103:106], v139 offset:2048
	ds_load_b128 v[107:110], v139 offset:3072
	s_ashr_i32 s7, s6, 31
	s_load_b32 s4, s[2:3], 0x0
	s_lshl_b64 s[6:7], s[6:7], 2
	ds_load_b128 v[111:114], v139 offset:4096
	ds_load_b128 v[115:118], v139 offset:5120
	s_add_u32 s2, s13, s6
	s_addc_u32 s3, s16, s7
	s_add_u32 s6, s10, s15
	s_load_b32 s2, s[2:3], 0x0
	s_addc_u32 s7, s11, s19
	v_add_co_u32 v127, s6, s6, v41
	s_delay_alu instid0(VALU_DEP_1) | instskip(SKIP_1) | instid1(VALU_DEP_1)
	v_add_co_ci_u32_e64 v128, null, s7, 0, s6
	s_waitcnt lgkmcnt(0)
	v_mad_i64_i32 v[41:42], null, s28, s5, v[127:128]
	v_mad_i64_i32 v[129:130], null, s9, s5, v[127:128]
	;; [unrolled: 1-line block ×7, first 2 shown]
	s_clause 0x3
	global_load_b128 v[49:52], v[41:42], off
	global_load_b128 v[53:56], v[41:42], off offset:16
	global_load_b128 v[41:44], v[45:46], off
	global_load_b128 v[45:48], v[45:46], off offset:16
	s_waitcnt vmcnt(18)
	v_wmma_f32_16x16x16_f16 v[119:126], v[1:8], v[33:40], v[95:102]
	s_waitcnt vmcnt(16)
	v_wmma_f32_16x16x16_f16 v[95:102], v[9:16], v[33:40], v[95:102]
	s_clause 0x3
	global_load_b128 v[33:36], v[129:130], off
	global_load_b128 v[37:40], v[129:130], off offset:16
	global_load_b128 v[1:4], v[131:132], off
	global_load_b128 v[5:8], v[131:132], off offset:16
	s_waitcnt vmcnt(18)
	v_wmma_f32_16x16x16_f16 v[119:126], v[17:24], v[103:110], v[119:126]
	s_clause 0x3
	global_load_b128 v[9:12], v[133:134], off
	global_load_b128 v[13:16], v[133:134], off offset:16
	global_load_b128 v[17:20], v[135:136], off
	global_load_b128 v[21:24], v[135:136], off offset:16
	s_waitcnt vmcnt(20)
	v_wmma_f32_16x16x16_f16 v[95:102], v[25:32], v[103:110], v[95:102]
	v_mad_i64_i32 v[103:104], null, s2, s5, v[127:128]
	s_waitcnt vmcnt(18)
	v_wmma_f32_16x16x16_f16 v[119:126], v[57:64], v[111:118], v[119:126]
	s_clause 0x3
	global_load_b128 v[25:28], v[137:138], off
	global_load_b128 v[29:32], v[137:138], off offset:16
	global_load_b128 v[57:60], v[103:104], off
	global_load_b128 v[61:64], v[103:104], off offset:16
	s_waitcnt vmcnt(20)
	v_wmma_f32_16x16x16_f16 v[95:102], v[71:78], v[111:118], v[95:102]
	ds_load_b128 v[71:74], v139 offset:6144
	ds_load_b128 v[75:78], v139 offset:7168
	v_mbcnt_lo_u32_b32 v104, -1, 0
	s_waitcnt vmcnt(0) lgkmcnt(0)
	s_barrier
	buffer_gl0_inv
	v_xor_b32_e32 v105, 16, v104
	s_delay_alu instid0(VALU_DEP_1) | instskip(SKIP_4) | instid1(VALU_DEP_2)
	v_cmp_gt_i32_e32 vcc_lo, 32, v105
	v_cndmask_b32_e32 v104, v104, v105, vcc_lo
	v_wmma_f32_16x16x16_f16 v[119:126], v[79:86], v[71:78], v[119:126]
	v_and_b32_e32 v103, 0xe0, v0
	v_wmma_f32_16x16x16_f16 v[95:102], v[87:94], v[71:78], v[95:102]
	v_dual_mul_f32 v78, s18, v121 :: v_dual_add_nc_u32 v103, s12, v103
	s_delay_alu instid0(VALU_DEP_2) | instskip(SKIP_1) | instid1(VALU_DEP_3)
	v_dual_mul_f32 v90, s18, v101 :: v_dual_mul_f32 v87, s18, v120
	v_dual_mul_f32 v88, s18, v119 :: v_dual_mul_f32 v77, s18, v122
	v_or_b32_e32 v103, v103, v66
	v_dual_mul_f32 v75, s18, v124 :: v_dual_mul_f32 v94, s18, v97
	v_dual_mul_f32 v76, s18, v123 :: v_dual_mul_f32 v73, s18, v126
	v_mul_f32_e32 v92, s18, v99
	s_delay_alu instid0(VALU_DEP_4)
	v_or_b32_e32 v105, 2, v103
	v_or_b32_e32 v106, 4, v103
	;; [unrolled: 1-line block ×3, first 2 shown]
	v_cmp_gt_i32_e64 s2, s17, v103
	v_or_b32_e32 v108, 8, v103
	v_cmp_gt_i32_e32 vcc_lo, s17, v105
	v_or_b32_e32 v109, 10, v103
	v_cmp_gt_i32_e64 s3, s17, v106
	v_cndmask_b32_e64 v88, 0xff7fffff, v88, s2
	v_cmp_gt_i32_e64 s4, s17, v107
	v_cndmask_b32_e32 v87, 0xff7fffff, v87, vcc_lo
	v_or_b32_e32 v79, 12, v103
	v_or_b32_e32 v80, 14, v103
	v_cndmask_b32_e64 v78, 0xff7fffff, v78, s3
	v_cndmask_b32_e64 v77, 0xff7fffff, v77, s4
	v_max3_f32 v87, v88, 0xff7fffff, v87
	v_cmp_gt_i32_e64 s5, s17, v108
	v_cmp_gt_i32_e64 s6, s17, v109
	v_or_b32_e32 v81, 16, v103
	v_or_b32_e32 v82, 18, v103
	v_mul_f32_e32 v74, s18, v125
	v_cndmask_b32_e64 v76, 0xff7fffff, v76, s5
	v_cndmask_b32_e64 v75, 0xff7fffff, v75, s6
	v_max3_f32 v77, v87, v78, v77
	v_cmp_gt_i32_e64 s7, s17, v79
	v_cmp_gt_i32_e64 s8, s17, v80
	v_or_b32_e32 v83, 20, v103
	v_or_b32_e32 v84, 22, v103
	;; [unrolled: 1-line block ×6, first 2 shown]
	v_mul_f32_e32 v105, s18, v96
	v_mul_f32_e32 v103, s18, v95
	v_cndmask_b32_e64 v74, 0xff7fffff, v74, s7
	v_cndmask_b32_e64 v73, 0xff7fffff, v73, s8
	v_max3_f32 v75, v77, v76, v75
	v_cmp_gt_i32_e64 s9, s17, v81
	v_cmp_gt_i32_e64 s10, s17, v82
	v_mul_f32_e32 v93, s18, v98
	v_cmp_gt_i32_e64 s11, s17, v83
	v_max3_f32 v73, v75, v74, v73
	v_cndmask_b32_e64 v76, 0xff7fffff, v103, s9
	v_cndmask_b32_e64 v77, 0xff7fffff, v105, s10
	v_cmp_gt_i32_e64 s12, s17, v84
	v_mul_f32_e32 v91, s18, v100
	v_cndmask_b32_e64 v74, 0xff7fffff, v94, s11
	v_cmp_gt_i32_e64 s13, s17, v85
	v_max3_f32 v73, v73, v76, v77
	v_cndmask_b32_e64 v75, 0xff7fffff, v93, s12
	v_cmp_gt_i32_e64 s15, s17, v86
	v_mul_f32_e32 v89, s18, v102
	v_cndmask_b32_e64 v76, 0xff7fffff, v92, s13
	v_cmp_gt_i32_e64 s16, s17, v71
	v_max3_f32 v73, v73, v74, v75
	v_cndmask_b32_e64 v77, 0xff7fffff, v91, s15
	v_cmp_gt_i32_e64 s17, s17, v72
	v_lshlrev_b32_e32 v74, 2, v104
	v_cndmask_b32_e64 v71, 0xff7fffff, v90, s16
	s_delay_alu instid0(VALU_DEP_4) | instskip(NEXT) | instid1(VALU_DEP_4)
	v_max3_f32 v73, v73, v76, v77
	v_cndmask_b32_e64 v72, 0xff7fffff, v89, s17
	s_delay_alu instid0(VALU_DEP_1) | instskip(SKIP_3) | instid1(VALU_DEP_1)
	v_max3_f32 v71, v73, v71, v72
	ds_bpermute_b32 v72, v74, v71
	s_waitcnt lgkmcnt(0)
	v_max_f32_e32 v72, v72, v72
	v_max_f32_e32 v71, v71, v72
	s_delay_alu instid0(VALU_DEP_1)
	v_fma_f32 v72, s18, v119, -v71
	v_fma_f32 v76, s18, v122, -v71
	;; [unrolled: 1-line block ×5, first 2 shown]
	v_mul_f32_e32 v72, 0x3fb8aa3b, v72
	v_mul_f32_e32 v76, 0x3fb8aa3b, v76
	v_fma_f32 v75, s18, v121, -v71
	v_mul_f32_e32 v79, 0x3fb8aa3b, v77
	v_mul_f32_e32 v85, 0x3fb8aa3b, v84
	v_exp_f32_e32 v72, v72
	v_exp_f32_e32 v76, v76
	v_fma_f32 v86, s18, v98, -v71
	v_exp_f32_e32 v82, v79
	v_exp_f32_e32 v85, v85
	v_fma_f32 v81, s18, v125, -v71
	s_delay_alu instid0(VALU_DEP_2) | instskip(SKIP_3) | instid1(TRANS32_DEP_3)
	v_mul_f32_e32 v87, 0x3fb8aa3b, v86
	v_cndmask_b32_e64 v78, 0, v72, s2
	v_fma_f32 v72, s18, v124, -v71
	v_mul_f32_e32 v73, 0x3fb8aa3b, v73
	v_cndmask_b32_e64 v79, 0, v76, s4
	v_fma_f32 v76, s18, v95, -v71
	s_delay_alu instid0(VALU_DEP_4) | instskip(NEXT) | instid1(VALU_DEP_4)
	v_dual_mul_f32 v75, 0x3fb8aa3b, v75 :: v_dual_mul_f32 v72, 0x3fb8aa3b, v72
	v_exp_f32_e32 v73, v73
	v_exp_f32_e32 v87, v87
	s_delay_alu instid0(VALU_DEP_2) | instskip(NEXT) | instid1(VALU_DEP_2)
	v_mul_f32_e32 v76, 0x3fb8aa3b, v76
	v_exp_f32_e32 v75, v75
	v_cndmask_b32_e64 v85, 0, v85, s10
	v_mul_f32_e32 v81, 0x3fb8aa3b, v81
	v_exp_f32_e32 v72, v72
	v_cndmask_b32_e64 v82, 0, v82, s5
	v_exp_f32_e32 v76, v76
	s_mov_b32 s2, exec_lo
	v_cndmask_b32_e32 v77, 0, v73, vcc_lo
	v_add_f32_e32 v73, 0, v78
	v_cndmask_b32_e64 v87, 0, v87, s12
	v_cndmask_b32_e64 v80, 0, v75, s3
	v_fma_f32 v75, s18, v126, -v71
	v_exp_f32_e32 v83, v81
	v_add_f32_e32 v73, v73, v77
	v_cndmask_b32_e64 v81, 0, v72, s6
	v_cndmask_b32_e64 v86, 0, v76, s9
	v_mul_f32_e32 v75, 0x3fb8aa3b, v75
	s_delay_alu instid0(VALU_DEP_4) | instskip(NEXT) | instid1(VALU_DEP_2)
	v_add_f32_e32 v73, v73, v80
	v_exp_f32_e32 v75, v75
	s_delay_alu instid0(TRANS32_DEP_2) | instskip(NEXT) | instid1(VALU_DEP_2)
	v_cndmask_b32_e64 v84, 0, v83, s7
	v_add_f32_e32 v73, v73, v79
	s_delay_alu instid0(VALU_DEP_1) | instskip(SKIP_3) | instid1(VALU_DEP_1)
	v_add_f32_e32 v72, v73, v82
	s_waitcnt_depctr 0xfff
	v_cndmask_b32_e64 v83, 0, v75, s8
	v_add_f32_e32 v72, v72, v81
	v_add_f32_e32 v72, v72, v84
	s_delay_alu instid0(VALU_DEP_1) | instskip(NEXT) | instid1(VALU_DEP_1)
	v_add_f32_e32 v72, v72, v83
	v_add_f32_e32 v72, v72, v86
	v_fma_f32 v73, s18, v97, -v71
	v_fma_f32 v75, s18, v99, -v71
	;; [unrolled: 1-line block ×4, first 2 shown]
	v_add_f32_e32 v72, v72, v85
	v_mul_f32_e32 v73, 0x3fb8aa3b, v73
	s_delay_alu instid0(VALU_DEP_4) | instskip(NEXT) | instid1(VALU_DEP_2)
	v_dual_mul_f32 v75, 0x3fb8aa3b, v75 :: v_dual_mul_f32 v76, 0x3fb8aa3b, v76
	v_exp_f32_e32 v73, v73
	s_delay_alu instid0(VALU_DEP_1) | instskip(NEXT) | instid1(VALU_DEP_1)
	v_exp_f32_e32 v75, v75
	v_exp_f32_e32 v76, v76
	s_delay_alu instid0(TRANS32_DEP_3)
	v_cndmask_b32_e64 v88, 0, v73, s11
	v_mul_f32_e32 v73, 0x3fb8aa3b, v89
	v_fma_f32 v89, s18, v102, -v71
	s_waitcnt_depctr 0xfff
	v_cndmask_b32_e64 v90, 0, v75, s13
	v_add_f32_e32 v72, v72, v88
	v_exp_f32_e32 v73, v73
	v_mul_f32_e32 v75, 0x3fb8aa3b, v89
	v_cndmask_b32_e64 v89, 0, v76, s15
	s_delay_alu instid0(VALU_DEP_3) | instskip(NEXT) | instid1(VALU_DEP_3)
	v_add_f32_e32 v72, v72, v87
	v_exp_f32_e32 v75, v75
	s_delay_alu instid0(VALU_DEP_1) | instskip(SKIP_4) | instid1(VALU_DEP_2)
	v_add_f32_e32 v72, v72, v90
	s_waitcnt_depctr 0xfff
	v_cndmask_b32_e64 v92, 0, v73, s16
	v_add_f32_e32 v72, v72, v89
	v_cndmask_b32_e64 v91, 0, v75, s17
	v_add_f32_e32 v72, v72, v92
	s_delay_alu instid0(VALU_DEP_1)
	v_add_f32_e32 v72, v72, v91
	ds_bpermute_b32 v73, v74, v72
	v_cmpx_gt_u32_e32 16, v70
	s_cbranch_execz .LBB1077_12
; %bb.11:
	v_mul_u32_u24_e32 v70, 0x44, v68
	s_waitcnt lgkmcnt(0)
	v_add_f32_e32 v72, v72, v73
	s_delay_alu instid0(VALU_DEP_2) | instskip(NEXT) | instid1(VALU_DEP_1)
	v_lshl_add_u32 v70, v69, 2, v70
	v_add_nc_u32_e32 v70, 0x4000, v70
	ds_store_2addr_b32 v70, v71, v72 offset1:136
.LBB1077_12:
	s_or_b32 exec_lo, exec_lo, s2
	v_lshlrev_b32_e32 v70, 2, v69
	s_load_b32 s34, s[0:1], 0x94
	s_waitcnt lgkmcnt(0)
	s_barrier
	buffer_gl0_inv
	v_add_nc_u32_e32 v74, 0x4000, v70
	v_cmp_eq_u32_e32 vcc_lo, 1, v68
	v_cmp_eq_u32_e64 s2, 2, v68
	v_cmp_eq_u32_e64 s3, 3, v68
	;; [unrolled: 1-line block ×3, first 2 shown]
	ds_load_2addr_b32 v[70:71], v74 offset1:17
	ds_load_2addr_b32 v[72:73], v74 offset0:34 offset1:51
	ds_load_2addr_b32 v[93:94], v74 offset0:68 offset1:85
	;; [unrolled: 1-line block ×3, first 2 shown]
	v_cmp_eq_u32_e64 s5, 5, v68
	v_cmp_eq_u32_e64 s6, 7, v68
	s_waitcnt lgkmcnt(3)
	v_max3_f32 v75, v70, 0xff7fffff, v71
	s_waitcnt lgkmcnt(2)
	s_delay_alu instid0(VALU_DEP_1) | instskip(SKIP_1) | instid1(VALU_DEP_1)
	v_max3_f32 v75, v75, v72, v73
	s_waitcnt lgkmcnt(1)
	v_max3_f32 v75, v75, v93, v94
	s_waitcnt lgkmcnt(0)
	s_delay_alu instid0(VALU_DEP_1) | instskip(NEXT) | instid1(VALU_DEP_1)
	v_max3_f32 v75, v75, v95, v96
	v_sub_f32_e32 v93, v93, v75
	ds_load_2addr_b32 v[97:98], v74 offset0:136 offset1:153
	v_sub_f32_e32 v70, v70, v75
	v_dual_sub_f32 v100, v73, v75 :: v_dual_mul_f32 v103, 0x3fb8aa3b, v93
	s_delay_alu instid0(VALU_DEP_2) | instskip(SKIP_3) | instid1(VALU_DEP_1)
	v_dual_sub_f32 v76, v71, v75 :: v_dual_mul_f32 v99, 0x3fb8aa3b, v70
	ds_load_2addr_b32 v[70:71], v74 offset0:170 offset1:187
	v_mul_f32_e32 v76, 0x3fb8aa3b, v76
	v_exp_f32_e32 v99, v99
	v_exp_f32_e32 v102, v76
	v_mul_f32_e32 v100, 0x3fb8aa3b, v100
	s_waitcnt lgkmcnt(1)
	s_waitcnt_depctr 0xfff
	v_fma_f32 v76, v99, v97, 0
	v_sub_f32_e32 v97, v94, v75
	v_sub_f32_e32 v72, v72, v75
	v_exp_f32_e32 v100, v100
	ds_load_2addr_b32 v[93:94], v74 offset0:238 offset1:255
	v_dual_fmac_f32 v76, v102, v98 :: v_dual_mul_f32 v101, 0x3fb8aa3b, v72
	ds_load_2addr_b32 v[72:73], v74 offset0:204 offset1:221
	v_dual_sub_f32 v74, v95, v75 :: v_dual_mul_f32 v95, 0x3fb8aa3b, v97
	v_exp_f32_e32 v97, v103
	v_exp_f32_e32 v101, v101
	s_waitcnt lgkmcnt(0)
	s_barrier
	v_exp_f32_e32 v95, v95
	buffer_gl0_inv
	v_fmac_f32_e32 v76, v101, v70
	v_sub_f32_e32 v70, v96, v75
	s_delay_alu instid0(VALU_DEP_2) | instskip(NEXT) | instid1(VALU_DEP_2)
	v_fmac_f32_e32 v76, v100, v71
	v_mul_f32_e32 v70, 0x3fb8aa3b, v70
	s_delay_alu instid0(VALU_DEP_2)
	v_dual_cndmask_b32 v71, v99, v102 :: v_dual_fmac_f32 v76, v97, v72
	v_lshlrev_b32_e32 v72, 6, v69
	v_lshlrev_b32_e32 v69, 2, v66
	v_mul_f32_e32 v74, 0x3fb8aa3b, v74
	v_exp_f32_e32 v98, v70
	v_fmac_f32_e32 v76, v95, v73
	s_delay_alu instid0(VALU_DEP_3) | instskip(NEXT) | instid1(VALU_DEP_3)
	v_cmp_eq_u32_e64 s7, 7, v69
	v_exp_f32_e32 v96, v74
	v_lshl_or_b32 v74, v68, 11, v72
	s_waitcnt_depctr 0xfff
	v_fmac_f32_e32 v76, v96, v93
	s_delay_alu instid0(VALU_DEP_1) | instskip(NEXT) | instid1(VALU_DEP_1)
	v_fmac_f32_e32 v76, v98, v94
	v_add_f32_e32 v73, 0x358637bd, v76
	s_delay_alu instid0(VALU_DEP_1) | instskip(SKIP_1) | instid1(VALU_DEP_2)
	v_div_scale_f32 v93, null, v73, v73, 1.0
	v_div_scale_f32 v99, vcc_lo, 1.0, v73, 1.0
	v_rcp_f32_e32 v94, v93
	s_waitcnt_depctr 0xfff
	v_fma_f32 v70, -v93, v94, 1.0
	s_delay_alu instid0(VALU_DEP_1)
	v_fmac_f32_e32 v94, v70, v94
	v_cndmask_b32_e64 v70, v71, v101, s2
	v_cmp_eq_u32_e64 s2, 6, v68
	v_or_b32_e32 v71, 1, v69
	v_or_b32_e32 v68, 2, v69
	v_mul_f32_e32 v101, v99, v94
	v_cndmask_b32_e64 v70, v70, v100, s3
	v_cmp_eq_u32_e64 s3, 1, v69
	v_cmp_eq_u32_e64 s8, 1, v71
	;; [unrolled: 1-line block ×3, first 2 shown]
	v_fma_f32 v100, -v93, v101, v99
	v_cndmask_b32_e64 v70, v70, v97, s4
	v_cmp_eq_u32_e64 s4, 2, v69
	v_cmp_eq_u32_e64 s11, 2, v71
	;; [unrolled: 1-line block ×3, first 2 shown]
	v_fmac_f32_e32 v101, v100, v94
	v_cndmask_b32_e64 v95, v70, v95, s5
	v_or_b32_e32 v70, 3, v69
	v_cmp_eq_u32_e64 s12, 3, v71
	v_cmp_eq_u32_e64 s16, 3, v68
	v_fma_f32 v93, -v93, v101, v99
	v_cndmask_b32_e64 v95, v95, v96, s2
	v_cmp_eq_u32_e64 s10, 1, v70
	v_cmp_eq_u32_e64 s15, 2, v70
	;; [unrolled: 1-line block ×3, first 2 shown]
	v_div_fmas_f32 v93, v93, v94, v101
	v_cndmask_b32_e64 v94, v95, v98, s6
	v_cmp_eq_u32_e32 vcc_lo, 3, v69
	v_cmp_eq_u32_e64 s2, 4, v69
	v_cmp_eq_u32_e64 s18, 4, v71
	v_div_fixup_f32 v93, v93, v73, 1.0
	v_lshl_or_b32 v73, v66, 4, v74
	v_cmp_eq_u32_e64 s21, 4, v70
	v_cmp_eq_u32_e64 s5, 5, v69
	;; [unrolled: 1-line block ×3, first 2 shown]
	v_mul_f32_e32 v101, v94, v93
	v_cmp_eq_u32_e64 s20, 4, v68
	v_cmp_eq_u32_e64 s23, 5, v70
	;; [unrolled: 1-line block ×4, first 2 shown]
	v_fma_mixlo_f16 v93, v101, v78, 0
	v_fma_mixlo_f16 v94, v101, v80, 0
	;; [unrolled: 1-line block ×8, first 2 shown]
	v_fma_mixhi_f16 v93, v101, v77, 0
	v_fma_mixhi_f16 v94, v101, v79, 0
	;; [unrolled: 1-line block ×8, first 2 shown]
	ds_store_b128 v73, v[93:96]
	ds_store_b128 v73, v[97:100] offset:1024
	s_waitcnt lgkmcnt(0)
	s_barrier
	buffer_gl0_inv
	ds_load_b128 v[77:80], v74
	ds_load_b128 v[81:84], v74 offset:16
	ds_load_b128 v[85:88], v74 offset:1024
	ds_load_b128 v[89:92], v74 offset:1040
	v_cmp_eq_u32_e64 s26, 6, v70
	v_cmp_eq_u32_e64 s6, 6, v69
	;; [unrolled: 1-line block ×6, first 2 shown]
	s_waitcnt lgkmcnt(3)
	v_lshrrev_b32_e32 v93, 16, v77
	s_waitcnt lgkmcnt(2)
	v_lshrrev_b32_e32 v97, 16, v81
	;; [unrolled: 2-line block ×4, first 2 shown]
	v_lshrrev_b32_e32 v94, 16, v78
	v_cndmask_b32_e64 v109, v77, v93, s3
	v_cndmask_b32_e64 v110, v81, v97, s3
	v_cndmask_b32_e64 v111, v77, v93, s8
	v_cndmask_b32_e64 v112, v81, v97, s8
	v_cndmask_b32_e64 v113, v77, v93, s9
	v_cndmask_b32_e64 v114, v81, v97, s9
	v_cndmask_b32_e64 v77, v77, v93, s10
	v_cndmask_b32_e64 v81, v81, v97, s10
	v_lshrrev_b32_e32 v98, 16, v82
	v_cndmask_b32_e64 v93, v85, v101, s3
	v_cndmask_b32_e64 v97, v89, v105, s3
	v_cndmask_b32_e64 v115, v85, v101, s8
	v_cndmask_b32_e64 v116, v89, v105, s8
	v_cndmask_b32_e64 v117, v85, v101, s9
	v_cndmask_b32_e64 v118, v89, v105, s9
	v_cndmask_b32_e64 v85, v85, v101, s10
	v_cndmask_b32_e64 v89, v89, v105, s10
	v_cndmask_b32_e64 v101, v109, v78, s4
	v_cndmask_b32_e64 v105, v110, v82, s4
	v_cndmask_b32_e64 v109, v111, v78, s11
	v_cndmask_b32_e64 v110, v112, v82, s11
	v_cndmask_b32_e64 v111, v113, v78, s13
	v_cndmask_b32_e64 v77, v77, v78, s15
	v_cndmask_b32_e64 v78, v81, v82, s15
	v_lshrrev_b32_e32 v102, 16, v86
	v_lshrrev_b32_e32 v106, 16, v90
	v_cndmask_b32_e64 v112, v114, v82, s13
	v_cndmask_b32_e64 v81, v93, v86, s4
	;; [unrolled: 1-line block ×7, first 2 shown]
	v_cndmask_b32_e32 v89, v101, v94, vcc_lo
	v_cndmask_b32_e32 v101, v105, v98, vcc_lo
	v_cndmask_b32_e64 v105, v109, v94, s12
	v_cndmask_b32_e64 v109, v110, v98, s12
	;; [unrolled: 1-line block ×4, first 2 shown]
	v_lshrrev_b32_e32 v95, 16, v79
	v_lshrrev_b32_e32 v99, 16, v83
	v_cndmask_b32_e64 v110, v111, v94, s16
	v_cndmask_b32_e64 v111, v112, v98, s16
	v_cndmask_b32_e32 v81, v81, v102, vcc_lo
	v_cndmask_b32_e32 v82, v82, v106, vcc_lo
	v_cndmask_b32_e64 v93, v93, v102, s12
	v_cndmask_b32_e64 v89, v89, v79, s2
	;; [unrolled: 1-line block ×7, first 2 shown]
	v_lshrrev_b32_e32 v103, 16, v87
	v_cndmask_b32_e64 v105, v110, v79, s20
	v_cndmask_b32_e64 v109, v111, v83, s20
	;; [unrolled: 1-line block ×11, first 2 shown]
	v_lshrrev_b32_e32 v96, 16, v80
	v_lshrrev_b32_e32 v100, 16, v84
	v_cndmask_b32_e64 v98, v105, v95, s22
	v_cndmask_b32_e64 v101, v109, v99, s22
	;; [unrolled: 1-line block ×7, first 2 shown]
	v_lshrrev_b32_e32 v104, 16, v88
	v_cndmask_b32_e64 v79, v79, v103, s5
	v_cndmask_b32_e64 v83, v83, v80, s6
	;; [unrolled: 1-line block ×16, first 2 shown]
	v_perm_b32 v80, v78, v77, 0x5040100
	v_perm_b32 v78, v94, v84, 0x5040100
	v_cndmask_b32_e64 v77, v118, v90, s13
	v_cndmask_b32_e64 v84, v116, v90, s11
	;; [unrolled: 1-line block ×3, first 2 shown]
	v_perm_b32 v79, v93, v89, 0x5040100
	v_cndmask_b32_e64 v89, v97, v102, s16
	v_cndmask_b32_e64 v85, v85, v102, s17
	;; [unrolled: 1-line block ×5, first 2 shown]
	v_lshrrev_b32_e32 v107, 16, v91
	v_cndmask_b32_e64 v89, v89, v87, s20
	v_cndmask_b32_e64 v85, v85, v87, s21
	;; [unrolled: 1-line block ×11, first 2 shown]
	v_lshrrev_b32_e32 v108, 16, v92
	v_cndmask_b32_e64 v81, v81, v92, s6
	v_cndmask_b32_e64 v87, v87, v88, s25
	;; [unrolled: 1-line block ×12, first 2 shown]
	v_perm_b32 v77, v83, v82, 0x5040100
	v_perm_b32 v84, v86, v85, 0x5040100
	;; [unrolled: 1-line block ×5, first 2 shown]
	s_lshl_b32 s7, s33, 3
	s_mov_b32 s2, exec_lo
	ds_store_b128 v73, v[77:80]
	ds_store_b128 v73, v[81:84] offset:1024
	v_cmpx_gt_u32_e32 8, v0
	s_cbranch_execz .LBB1077_14
; %bb.13:
	v_or_b32_e32 v77, s31, v0
	s_load_b128 s[8:11], s[0:1], 0x58
	s_delay_alu instid0(VALU_DEP_1) | instskip(NEXT) | instid1(VALU_DEP_1)
	v_mad_u64_u32 v[78:79], null, s7, s30, v[77:78]
	v_mad_u64_u32 v[79:80], null, v78, s34, s[14:15]
	s_delay_alu instid0(VALU_DEP_1) | instskip(NEXT) | instid1(VALU_DEP_1)
	v_ashrrev_i32_e32 v80, 31, v79
	v_lshlrev_b64 v[77:78], 2, v[79:80]
	s_waitcnt lgkmcnt(0)
	s_delay_alu instid0(VALU_DEP_1) | instskip(NEXT) | instid1(VALU_DEP_2)
	v_add_co_u32 v79, vcc_lo, s10, v77
	v_add_co_ci_u32_e32 v80, vcc_lo, s11, v78, vcc_lo
	v_add_co_u32 v77, vcc_lo, s8, v77
	v_add_co_ci_u32_e32 v78, vcc_lo, s9, v78, vcc_lo
	global_store_b32 v[79:80], v75, off
	global_store_b32 v[77:78], v76, off
.LBB1077_14:
	s_or_b32 exec_lo, exec_lo, s2
	s_waitcnt lgkmcnt(0)
	s_waitcnt_vscnt null, 0x0
	s_barrier
	buffer_gl0_inv
	ds_load_b128 v[83:86], v72
	ds_load_b128 v[87:90], v72 offset:16
	ds_load_b128 v[95:98], v72 offset:2064
	;; [unrolled: 1-line block ×5, first 2 shown]
	v_cmp_eq_u32_e32 vcc_lo, 1, v69
	v_mov_b32_e32 v75, 0
	ds_load_b128 v[111:114], v72 offset:6160
	ds_load_b128 v[107:110], v72 offset:6144
	;; [unrolled: 1-line block ×4, first 2 shown]
	v_cmp_eq_u32_e64 s3, 1, v68
	v_cmp_eq_u32_e64 s2, 1, v71
	;; [unrolled: 1-line block ×3, first 2 shown]
	v_mov_b32_e32 v76, v75
	v_mov_b32_e32 v77, v75
	;; [unrolled: 1-line block ×7, first 2 shown]
	v_cmp_eq_u32_e64 s5, 3, v71
	v_cmp_eq_u32_e64 s6, 7, v71
	s_waitcnt lgkmcnt(8)
	s_delay_alu instid0(VALU_DEP_3)
	v_wmma_f32_16x16x16_f16 v[75:82], v[49:56], v[83:90], v[75:82]
	ds_load_b128 v[53:56], v72 offset:10256
	ds_load_b128 v[49:52], v72 offset:10240
	s_waitcnt lgkmcnt(8)
	v_wmma_f32_16x16x16_f16 v[75:82], v[41:48], v[91:98], v[75:82]
	ds_load_b128 v[45:48], v72 offset:12304
	ds_load_b128 v[41:44], v72 offset:12288
	s_waitcnt lgkmcnt(8)
	;; [unrolled: 4-line block ×3, first 2 shown]
	s_barrier
	buffer_gl0_inv
	v_wmma_f32_16x16x16_f16 v[75:82], v[1:8], v[107:114], v[75:82]
	s_delay_alu instid0(VALU_DEP_1) | instskip(NEXT) | instid1(VALU_DEP_1)
	v_wmma_f32_16x16x16_f16 v[75:82], v[9:16], v[115:122], v[75:82]
	v_wmma_f32_16x16x16_f16 v[75:82], v[17:24], v[49:56], v[75:82]
	s_delay_alu instid0(VALU_DEP_1) | instskip(NEXT) | instid1(VALU_DEP_1)
	v_wmma_f32_16x16x16_f16 v[75:82], v[25:32], v[41:48], v[75:82]
	v_wmma_f32_16x16x16_f16 v[75:82], v[57:64], v[33:40], v[75:82]
	s_delay_alu instid0(VALU_DEP_1) | instskip(NEXT) | instid1(VALU_DEP_2)
	v_cvt_f16_f32_e32 v1, v75
	v_cvt_f16_f32_e32 v2, v76
	s_delay_alu instid0(VALU_DEP_3) | instskip(NEXT) | instid1(VALU_DEP_4)
	v_cvt_f16_f32_e32 v3, v77
	v_cvt_f16_f32_e32 v4, v78
	;; [unrolled: 1-line block ×6, first 2 shown]
	v_pack_b32_f16 v1, v1, v2
	v_pack_b32_f16 v2, v3, v4
	;; [unrolled: 1-line block ×3, first 2 shown]
	s_delay_alu instid0(VALU_DEP_4)
	v_pack_b32_f16 v4, v7, v8
	ds_store_b128 v73, v[1:4]
	s_waitcnt lgkmcnt(0)
	s_barrier
	buffer_gl0_inv
	ds_load_b128 v[1:4], v74
	ds_load_b128 v[5:8], v74 offset:16
	s_waitcnt lgkmcnt(1)
	v_lshrrev_b32_e32 v9, 16, v1
	s_waitcnt lgkmcnt(0)
	v_lshrrev_b32_e32 v13, 16, v5
	v_lshrrev_b32_e32 v10, 16, v2
	;; [unrolled: 1-line block ×4, first 2 shown]
	v_cndmask_b32_e32 v17, v1, v9, vcc_lo
	v_cndmask_b32_e32 v18, v5, v13, vcc_lo
	v_cndmask_b32_e64 v21, v1, v9, s3
	v_cmp_eq_u32_e32 vcc_lo, 1, v70
	v_cndmask_b32_e64 v22, v5, v13, s3
	v_cmp_eq_u32_e64 s3, 2, v69
	v_cndmask_b32_e64 v19, v1, v9, s2
	v_cndmask_b32_e64 v20, v5, v13, s2
	v_cndmask_b32_e32 v1, v1, v9, vcc_lo
	v_cmp_eq_u32_e64 s2, 2, v70
	v_cndmask_b32_e32 v5, v5, v13, vcc_lo
	v_cndmask_b32_e64 v9, v17, v2, s3
	v_cmp_eq_u32_e32 vcc_lo, 3, v69
	v_cndmask_b32_e64 v13, v18, v6, s3
	v_cmp_eq_u32_e64 s3, 2, v68
	v_cndmask_b32_e64 v17, v19, v2, s4
	v_cndmask_b32_e64 v18, v20, v6, s4
	v_cmp_eq_u32_e64 s4, 3, v68
	v_cndmask_b32_e64 v1, v1, v2, s2
	v_cndmask_b32_e64 v19, v21, v2, s3
	;; [unrolled: 1-line block ×4, first 2 shown]
	v_cndmask_b32_e32 v5, v9, v10, vcc_lo
	v_cndmask_b32_e32 v6, v13, v14, vcc_lo
	v_cmp_eq_u32_e32 vcc_lo, 3, v70
	v_cndmask_b32_e64 v9, v17, v10, s5
	v_cndmask_b32_e64 v13, v18, v14, s5
	;; [unrolled: 1-line block ×3, first 2 shown]
	v_cmp_eq_u32_e64 s3, 4, v69
	v_cndmask_b32_e32 v1, v1, v10, vcc_lo
	v_cndmask_b32_e32 v2, v2, v14, vcc_lo
	v_cmp_eq_u32_e32 vcc_lo, 4, v71
	v_lshrrev_b32_e32 v15, 16, v7
	v_lshrrev_b32_e32 v16, 16, v8
	v_cndmask_b32_e64 v17, v19, v10, s4
	v_cmp_eq_u32_e64 s2, 4, v70
	v_cndmask_b32_e64 v5, v5, v3, s3
	v_cndmask_b32_e64 v6, v6, v7, s3
	v_cndmask_b32_e32 v9, v9, v3, vcc_lo
	v_cmp_eq_u32_e64 s3, 5, v71
	v_cndmask_b32_e32 v10, v13, v7, vcc_lo
	v_cmp_eq_u32_e32 vcc_lo, 4, v68
	v_cmp_eq_u32_e64 s4, 5, v69
	v_cndmask_b32_e64 v2, v2, v7, s2
	v_cndmask_b32_e64 v9, v9, v11, s3
	;; [unrolled: 1-line block ×3, first 2 shown]
	v_cndmask_b32_e32 v13, v17, v3, vcc_lo
	v_cmp_eq_u32_e64 s3, 5, v68
	v_cndmask_b32_e32 v14, v18, v7, vcc_lo
	v_cndmask_b32_e64 v1, v1, v3, s2
	v_cmp_eq_u32_e32 vcc_lo, 5, v70
	v_lshrrev_b32_e32 v12, 16, v4
	v_cndmask_b32_e64 v13, v13, v11, s3
	v_cndmask_b32_e64 v3, v14, v15, s3
	v_cmp_eq_u32_e64 s3, 6, v70
	v_cndmask_b32_e32 v1, v1, v11, vcc_lo
	v_cndmask_b32_e64 v5, v5, v11, s4
	v_cmp_eq_u32_e64 s5, 6, v69
	v_cndmask_b32_e64 v6, v6, v15, s4
	v_cmp_eq_u32_e64 s4, 6, v71
	v_cmp_eq_u32_e64 s2, 6, v68
	v_cndmask_b32_e64 v1, v1, v4, s3
	v_cndmask_b32_e32 v2, v2, v15, vcc_lo
	v_cmp_eq_u32_e32 vcc_lo, 7, v70
	v_cndmask_b32_e64 v5, v5, v4, s5
	v_cndmask_b32_e64 v9, v9, v4, s4
	;; [unrolled: 1-line block ×3, first 2 shown]
	v_cmp_eq_u32_e64 s5, 7, v69
	v_cndmask_b32_e32 v1, v1, v12, vcc_lo
	v_cndmask_b32_e64 v7, v13, v4, s2
	v_cndmask_b32_e64 v3, v3, v8, s2
	;; [unrolled: 1-line block ×3, first 2 shown]
	v_cmp_eq_u32_e64 s2, 7, v68
	v_cndmask_b32_e64 v4, v10, v8, s4
	v_cndmask_b32_e64 v5, v5, v12, s5
	;; [unrolled: 1-line block ×3, first 2 shown]
	v_cndmask_b32_e32 v2, v2, v16, vcc_lo
	v_cndmask_b32_e64 v7, v7, v12, s2
	v_cndmask_b32_e64 v3, v3, v16, s2
	;; [unrolled: 1-line block ×4, first 2 shown]
	v_perm_b32 v4, v2, v1, 0x5040100
	s_mov_b32 s2, exec_lo
	v_perm_b32 v3, v3, v7, 0x5040100
	v_perm_b32 v2, v8, v9, 0x5040100
	;; [unrolled: 1-line block ×3, first 2 shown]
	ds_store_b128 v73, v[1:4]
	s_waitcnt lgkmcnt(0)
	s_barrier
	buffer_gl0_inv
	v_cmpx_gt_u32_e32 32, v0
	s_cbranch_execz .LBB1077_2
; %bb.15:
	s_load_b64 s[0:1], s[0:1], 0x68
	s_lshl_b32 s4, s34, 7
	v_or_b32_e32 v2, s31, v66
	s_mul_i32 s2, s4, s30
	v_lshlrev_b32_e32 v1, 10, v0
	s_mul_i32 s2, s2, s7
	v_lshlrev_b32_e32 v3, 4, v67
	v_mul_lo_u32 v0, v2, s4
	s_ashr_i32 s3, s2, 31
	v_lshlrev_b32_e32 v4, 6, v66
	v_and_b32_e32 v1, 0x3800, v1
	v_or_b32_e32 v5, 2, v2
	s_lshl_b64 s[2:3], s[2:3], 1
	v_or_b32_e32 v6, 4, v2
	v_or_b32_e32 v7, 6, v2
	v_or3_b32 v12, v1, v3, v4
	v_ashrrev_i32_e32 v1, 31, v0
	v_mul_lo_u32 v2, v5, s4
	v_mul_lo_u32 v16, v6, s4
	;; [unrolled: 1-line block ×3, first 2 shown]
	s_waitcnt lgkmcnt(0)
	s_add_u32 s2, s0, s2
	s_addc_u32 s3, s1, s3
	s_lshl_b32 s0, s14, 7
	v_lshlrev_b64 v[0:1], 1, v[0:1]
	s_ashr_i32 s1, s0, 31
	v_ashrrev_i32_e32 v3, 31, v2
	s_lshl_b64 s[0:1], s[0:1], 1
	v_ashrrev_i32_e32 v17, 31, v16
	s_add_u32 s0, s2, s0
	s_addc_u32 s1, s3, s1
	v_add_co_u32 v24, s0, s0, v65
	s_delay_alu instid0(VALU_DEP_1) | instskip(SKIP_1) | instid1(VALU_DEP_3)
	v_add_co_ci_u32_e64 v25, null, s1, 0, s0
	v_lshlrev_b64 v[22:23], 1, v[2:3]
	v_add_co_u32 v18, vcc_lo, v24, v0
	s_delay_alu instid0(VALU_DEP_3)
	v_add_co_ci_u32_e32 v19, vcc_lo, v25, v1, vcc_lo
	ds_load_b128 v[0:3], v12
	ds_load_b128 v[4:7], v12 offset:128
	ds_load_b128 v[8:11], v12 offset:256
	;; [unrolled: 1-line block ×3, first 2 shown]
	v_ashrrev_i32_e32 v21, 31, v20
	v_lshlrev_b64 v[16:17], 1, v[16:17]
	v_add_co_u32 v22, vcc_lo, v24, v22
	v_add_co_ci_u32_e32 v23, vcc_lo, v25, v23, vcc_lo
	s_delay_alu instid0(VALU_DEP_4) | instskip(NEXT) | instid1(VALU_DEP_4)
	v_lshlrev_b64 v[20:21], 1, v[20:21]
	v_add_co_u32 v16, vcc_lo, v24, v16
	v_add_co_ci_u32_e32 v17, vcc_lo, v25, v17, vcc_lo
	s_delay_alu instid0(VALU_DEP_3) | instskip(NEXT) | instid1(VALU_DEP_4)
	v_add_co_u32 v20, vcc_lo, v24, v20
	v_add_co_ci_u32_e32 v21, vcc_lo, v25, v21, vcc_lo
	s_waitcnt lgkmcnt(3)
	global_store_b128 v[18:19], v[0:3], off
	s_waitcnt lgkmcnt(2)
	global_store_b128 v[22:23], v[4:7], off
	;; [unrolled: 2-line block ×4, first 2 shown]
	s_nop 0
	s_sendmsg sendmsg(MSG_DEALLOC_VGPRS)
	s_endpgm
	.section	.rodata,"a",@progbits
	.p2align	6, 0x0
	.amdhsa_kernel _Z39paged_attention_ll4mi_QKV_mfma16_kernelIDF16_hLN4vllm18Fp8KVCacheDataTypeE1EDF16_Li32ELi128ELi256ELb0ELi8EL8MFMAType1EEvPKT_PKT0_S8_ifPKiSA_SA_iPKfiiiPfSD_PS3_PT2_iSC_SC_
		.amdhsa_group_segment_fixed_size 17472
		.amdhsa_private_segment_fixed_size 0
		.amdhsa_kernarg_size 400
		.amdhsa_user_sgpr_count 13
		.amdhsa_user_sgpr_dispatch_ptr 0
		.amdhsa_user_sgpr_queue_ptr 0
		.amdhsa_user_sgpr_kernarg_segment_ptr 1
		.amdhsa_user_sgpr_dispatch_id 0
		.amdhsa_user_sgpr_private_segment_size 0
		.amdhsa_wavefront_size32 1
		.amdhsa_uses_dynamic_stack 0
		.amdhsa_enable_private_segment 0
		.amdhsa_system_sgpr_workgroup_id_x 1
		.amdhsa_system_sgpr_workgroup_id_y 1
		.amdhsa_system_sgpr_workgroup_id_z 1
		.amdhsa_system_sgpr_workgroup_info 0
		.amdhsa_system_vgpr_workitem_id 0
		.amdhsa_next_free_vgpr 140
		.amdhsa_next_free_sgpr 36
		.amdhsa_reserve_vcc 1
		.amdhsa_float_round_mode_32 0
		.amdhsa_float_round_mode_16_64 0
		.amdhsa_float_denorm_mode_32 3
		.amdhsa_float_denorm_mode_16_64 3
		.amdhsa_dx10_clamp 1
		.amdhsa_ieee_mode 1
		.amdhsa_fp16_overflow 0
		.amdhsa_workgroup_processor_mode 1
		.amdhsa_memory_ordered 1
		.amdhsa_forward_progress 0
		.amdhsa_shared_vgpr_count 0
		.amdhsa_exception_fp_ieee_invalid_op 0
		.amdhsa_exception_fp_denorm_src 0
		.amdhsa_exception_fp_ieee_div_zero 0
		.amdhsa_exception_fp_ieee_overflow 0
		.amdhsa_exception_fp_ieee_underflow 0
		.amdhsa_exception_fp_ieee_inexact 0
		.amdhsa_exception_int_div_zero 0
	.end_amdhsa_kernel
	.section	.text._Z39paged_attention_ll4mi_QKV_mfma16_kernelIDF16_hLN4vllm18Fp8KVCacheDataTypeE1EDF16_Li32ELi128ELi256ELb0ELi8EL8MFMAType1EEvPKT_PKT0_S8_ifPKiSA_SA_iPKfiiiPfSD_PS3_PT2_iSC_SC_,"axG",@progbits,_Z39paged_attention_ll4mi_QKV_mfma16_kernelIDF16_hLN4vllm18Fp8KVCacheDataTypeE1EDF16_Li32ELi128ELi256ELb0ELi8EL8MFMAType1EEvPKT_PKT0_S8_ifPKiSA_SA_iPKfiiiPfSD_PS3_PT2_iSC_SC_,comdat
.Lfunc_end1077:
	.size	_Z39paged_attention_ll4mi_QKV_mfma16_kernelIDF16_hLN4vllm18Fp8KVCacheDataTypeE1EDF16_Li32ELi128ELi256ELb0ELi8EL8MFMAType1EEvPKT_PKT0_S8_ifPKiSA_SA_iPKfiiiPfSD_PS3_PT2_iSC_SC_, .Lfunc_end1077-_Z39paged_attention_ll4mi_QKV_mfma16_kernelIDF16_hLN4vllm18Fp8KVCacheDataTypeE1EDF16_Li32ELi128ELi256ELb0ELi8EL8MFMAType1EEvPKT_PKT0_S8_ifPKiSA_SA_iPKfiiiPfSD_PS3_PT2_iSC_SC_
                                        ; -- End function
	.section	.AMDGPU.csdata,"",@progbits
; Kernel info:
; codeLenInByte = 6624
; NumSgprs: 38
; NumVgprs: 140
; ScratchSize: 0
; MemoryBound: 0
; FloatMode: 240
; IeeeMode: 1
; LDSByteSize: 17472 bytes/workgroup (compile time only)
; SGPRBlocks: 4
; VGPRBlocks: 17
; NumSGPRsForWavesPerEU: 38
; NumVGPRsForWavesPerEU: 140
; Occupancy: 10
; WaveLimiterHint : 1
; COMPUTE_PGM_RSRC2:SCRATCH_EN: 0
; COMPUTE_PGM_RSRC2:USER_SGPR: 13
; COMPUTE_PGM_RSRC2:TRAP_HANDLER: 0
; COMPUTE_PGM_RSRC2:TGID_X_EN: 1
; COMPUTE_PGM_RSRC2:TGID_Y_EN: 1
; COMPUTE_PGM_RSRC2:TGID_Z_EN: 1
; COMPUTE_PGM_RSRC2:TIDIG_COMP_CNT: 0
	.section	.text._Z39paged_attention_ll4mi_QKV_mfma16_kernelIDF16_hLN4vllm18Fp8KVCacheDataTypeE1EDF16_Li32ELi128ELi256ELb0ELi9EL8MFMAType1EEvPKT_PKT0_S8_ifPKiSA_SA_iPKfiiiPfSD_PS3_PT2_iSC_SC_,"axG",@progbits,_Z39paged_attention_ll4mi_QKV_mfma16_kernelIDF16_hLN4vllm18Fp8KVCacheDataTypeE1EDF16_Li32ELi128ELi256ELb0ELi9EL8MFMAType1EEvPKT_PKT0_S8_ifPKiSA_SA_iPKfiiiPfSD_PS3_PT2_iSC_SC_,comdat
	.protected	_Z39paged_attention_ll4mi_QKV_mfma16_kernelIDF16_hLN4vllm18Fp8KVCacheDataTypeE1EDF16_Li32ELi128ELi256ELb0ELi9EL8MFMAType1EEvPKT_PKT0_S8_ifPKiSA_SA_iPKfiiiPfSD_PS3_PT2_iSC_SC_ ; -- Begin function _Z39paged_attention_ll4mi_QKV_mfma16_kernelIDF16_hLN4vllm18Fp8KVCacheDataTypeE1EDF16_Li32ELi128ELi256ELb0ELi9EL8MFMAType1EEvPKT_PKT0_S8_ifPKiSA_SA_iPKfiiiPfSD_PS3_PT2_iSC_SC_
	.globl	_Z39paged_attention_ll4mi_QKV_mfma16_kernelIDF16_hLN4vllm18Fp8KVCacheDataTypeE1EDF16_Li32ELi128ELi256ELb0ELi9EL8MFMAType1EEvPKT_PKT0_S8_ifPKiSA_SA_iPKfiiiPfSD_PS3_PT2_iSC_SC_
	.p2align	8
	.type	_Z39paged_attention_ll4mi_QKV_mfma16_kernelIDF16_hLN4vllm18Fp8KVCacheDataTypeE1EDF16_Li32ELi128ELi256ELb0ELi9EL8MFMAType1EEvPKT_PKT0_S8_ifPKiSA_SA_iPKfiiiPfSD_PS3_PT2_iSC_SC_,@function
_Z39paged_attention_ll4mi_QKV_mfma16_kernelIDF16_hLN4vllm18Fp8KVCacheDataTypeE1EDF16_Li32ELi128ELi256ELb0ELi9EL8MFMAType1EEvPKT_PKT0_S8_ifPKiSA_SA_iPKfiiiPfSD_PS3_PT2_iSC_SC_: ; @_Z39paged_attention_ll4mi_QKV_mfma16_kernelIDF16_hLN4vllm18Fp8KVCacheDataTypeE1EDF16_Li32ELi128ELi256ELb0ELi9EL8MFMAType1EEvPKT_PKT0_S8_ifPKiSA_SA_iPKfiiiPfSD_PS3_PT2_iSC_SC_
; %bb.0:
	s_load_b64 s[4:5], s[0:1], 0x30
	s_mov_b32 s34, s13
	s_waitcnt lgkmcnt(0)
	s_cmp_lg_u64 s[4:5], 0
	s_cselect_b32 s8, -1, 0
	s_ashr_i32 s35, s13, 31
	s_cmp_eq_u64 s[4:5], 0
	s_cbranch_scc1 .LBB1078_3
; %bb.1:
	s_lshl_b64 s[2:3], s[34:35], 2
	s_delay_alu instid0(SALU_CYCLE_1) | instskip(SKIP_4) | instid1(SALU_CYCLE_1)
	s_add_u32 s2, s4, s2
	s_addc_u32 s3, s5, s3
	s_load_b64 s[2:3], s[2:3], 0x0
	s_waitcnt lgkmcnt(0)
	s_sub_i32 s2, s3, s2
	s_cmp_eq_u32 s2, 1
	s_cselect_b32 s2, -1, 0
	s_delay_alu instid0(SALU_CYCLE_1)
	s_and_not1_b32 vcc_lo, exec_lo, s2
	s_cbranch_vccz .LBB1078_4
.LBB1078_2:
	s_nop 0
	s_sendmsg sendmsg(MSG_DEALLOC_VGPRS)
	s_endpgm
.LBB1078_3:
.LBB1078_4:
	s_load_b64 s[2:3], s[0:1], 0x28
	s_lshl_b64 s[6:7], s[34:35], 2
	s_waitcnt lgkmcnt(0)
	s_add_u32 s2, s2, s6
	s_addc_u32 s3, s3, s7
	s_lshl_b32 s12, s14, 8
	s_load_b32 s24, s[2:3], 0x0
	s_waitcnt lgkmcnt(0)
	s_cmp_ge_i32 s12, s24
	s_cbranch_scc1 .LBB1078_2
; %bb.5:
	s_clause 0x1
	s_load_b128 s[20:23], s[0:1], 0x8
	s_load_b64 s[2:3], s[0:1], 0x20
	s_and_not1_b32 vcc_lo, exec_lo, s8
	s_cbranch_vccnz .LBB1078_7
; %bb.6:
	s_add_u32 s4, s4, s6
	s_addc_u32 s5, s5, s7
	s_load_b32 s5, s[4:5], 0x0
	s_branch .LBB1078_8
.LBB1078_7:
	s_mov_b32 s5, s34
.LBB1078_8:
	s_load_b128 s[16:19], s[0:1], 0x48
	v_and_b32_e32 v68, 15, v0
	v_lshrrev_b32_e32 v69, 5, v0
	v_bfe_u32 v66, v0, 4, 1
	v_and_b32_e32 v70, 31, v0
	v_and_b32_e32 v67, 1, v0
	v_lshlrev_b32_e32 v2, 3, v68
	s_mul_i32 s31, s15, 9
	v_lshl_or_b32 v1, v69, 1, v66
	s_mov_b32 s4, exec_lo
	s_delay_alu instid0(VALU_DEP_2) | instskip(NEXT) | instid1(VALU_DEP_2)
	v_lshlrev_b32_e32 v65, 1, v2
	v_cmpx_gt_u32_e32 9, v1
	s_cbranch_execz .LBB1078_10
; %bb.9:
	s_load_b64 s[6:7], s[0:1], 0x0
	v_add_lshl_u32 v2, v1, s31, 7
	s_waitcnt lgkmcnt(0)
	s_mul_hi_i32 s9, s5, s16
	s_mul_i32 s8, s5, s16
	v_lshlrev_b32_e32 v6, 10, v68
	s_lshl_b64 s[8:9], s[8:9], 1
	v_ashrrev_i32_e32 v3, 31, v2
	v_lshlrev_b32_e32 v1, 6, v1
	v_lshlrev_b32_e32 v7, 10, v67
	v_and_b32_e32 v6, 0x3800, v6
	s_delay_alu instid0(VALU_DEP_4) | instskip(NEXT) | instid1(VALU_DEP_2)
	v_lshlrev_b64 v[2:3], 1, v[2:3]
	v_or3_b32 v1, v6, v7, v1
	s_add_u32 s5, s6, s8
	s_addc_u32 s6, s7, s9
	s_delay_alu instid0(VALU_DEP_2) | instskip(NEXT) | instid1(VALU_DEP_3)
	v_add_co_u32 v2, vcc_lo, s5, v2
	v_add_co_ci_u32_e32 v3, vcc_lo, s6, v3, vcc_lo
	s_delay_alu instid0(VALU_DEP_2) | instskip(NEXT) | instid1(VALU_DEP_2)
	v_add_co_u32 v2, vcc_lo, v2, v65
	v_add_co_ci_u32_e32 v3, vcc_lo, 0, v3, vcc_lo
	global_load_b128 v[2:5], v[2:3], off
	s_waitcnt vmcnt(0)
	ds_store_b128 v1, v[2:5]
.LBB1078_10:
	s_or_b32 exec_lo, exec_lo, s4
	v_and_b32_e32 v1, 0xef, v0
	s_waitcnt lgkmcnt(0)
	s_add_i32 s5, s24, 31
	s_clause 0x1
	s_load_b32 s4, s[0:1], 0x38
	s_load_b32 s33, s[0:1], 0x98
	s_ashr_i32 s6, s5, 31
	v_add_nc_u32_e32 v1, s12, v1
	s_lshr_b32 s6, s6, 27
	s_load_b32 s19, s[0:1], 0x1c
	s_add_i32 s5, s5, s6
	s_waitcnt lgkmcnt(0)
	v_ashrrev_i32_e32 v2, 31, v1
	v_or_b32_e32 v3, 16, v1
	s_ashr_i32 s13, s5, 5
	v_cmp_gt_i32_e32 vcc_lo, s24, v1
	s_add_i32 s13, s13, -1
	v_lshrrev_b32_e32 v2, 27, v2
	s_barrier
	buffer_gl0_inv
	s_mul_i32 s15, s15, s18
	v_add_nc_u32_e32 v4, v1, v2
	s_mul_i32 s4, s34, s4
	s_delay_alu instid0(SALU_CYCLE_1) | instskip(NEXT) | instid1(VALU_DEP_1)
	s_ashr_i32 s5, s4, 31
	v_ashrrev_i32_e32 v4, 5, v4
	v_add_nc_u32_e32 v2, v3, v2
	s_lshl_b64 s[4:5], s[4:5], 2
	s_delay_alu instid0(SALU_CYCLE_1) | instskip(NEXT) | instid1(VALU_DEP_2)
	s_add_u32 s16, s2, s4
	v_cndmask_b32_e32 v1, s13, v4, vcc_lo
	s_delay_alu instid0(VALU_DEP_2)
	v_ashrrev_i32_e32 v2, 5, v2
	v_cmp_gt_i32_e32 vcc_lo, s24, v3
	s_addc_u32 s25, s3, s5
	s_ashr_i32 s18, s15, 31
	s_add_u32 s2, s20, s15
	s_addc_u32 s3, s21, s18
	v_cndmask_b32_e32 v3, s13, v2, vcc_lo
	v_ashrrev_i32_e32 v2, 31, v1
	s_lshl_b32 s4, s14, 3
	s_delay_alu instid0(SALU_CYCLE_1) | instskip(NEXT) | instid1(VALU_DEP_2)
	s_ashr_i32 s5, s4, 31
	v_ashrrev_i32_e32 v4, 31, v3
	s_delay_alu instid0(VALU_DEP_2) | instskip(SKIP_1) | instid1(SALU_CYCLE_1)
	v_lshlrev_b64 v[1:2], 2, v[1:2]
	s_lshl_b64 s[4:5], s[4:5], 2
	s_add_u32 s4, s16, s4
	s_delay_alu instid0(VALU_DEP_2) | instskip(SKIP_1) | instid1(VALU_DEP_2)
	v_lshlrev_b64 v[3:4], 2, v[3:4]
	s_addc_u32 s5, s25, s5
	v_add_co_u32 v1, vcc_lo, s16, v1
	v_add_co_ci_u32_e32 v2, vcc_lo, s25, v2, vcc_lo
	s_delay_alu instid0(VALU_DEP_3) | instskip(NEXT) | instid1(VALU_DEP_4)
	v_add_co_u32 v3, vcc_lo, s16, v3
	v_add_co_ci_u32_e32 v4, vcc_lo, s25, v4, vcc_lo
	s_clause 0x1
	global_load_b32 v5, v[1:2], off
	global_load_b32 v6, v[3:4], off
	s_or_b32 s6, s12, 32
	s_delay_alu instid0(SALU_CYCLE_1) | instskip(SKIP_2) | instid1(SALU_CYCLE_1)
	s_ashr_i32 s7, s6, 5
	s_cmp_lt_i32 s6, s24
	s_cselect_b32 s6, s7, s13
	s_ashr_i32 s7, s6, 31
	s_delay_alu instid0(SALU_CYCLE_1) | instskip(NEXT) | instid1(SALU_CYCLE_1)
	s_lshl_b64 s[6:7], s[6:7], 2
	s_add_u32 s6, s16, s6
	s_addc_u32 s7, s25, s7
	s_or_b32 s8, s12, 64
	s_delay_alu instid0(SALU_CYCLE_1) | instskip(SKIP_2) | instid1(SALU_CYCLE_1)
	s_ashr_i32 s9, s8, 5
	s_cmp_lt_i32 s8, s24
	s_cselect_b32 s8, s9, s13
	s_ashr_i32 s9, s8, 31
	s_delay_alu instid0(SALU_CYCLE_1) | instskip(NEXT) | instid1(SALU_CYCLE_1)
	s_lshl_b64 s[8:9], s[8:9], 2
	s_add_u32 s8, s16, s8
	s_addc_u32 s9, s25, s9
	;; [unrolled: 10-line block ×5, first 2 shown]
	s_clause 0x5
	s_load_b32 s28, s[4:5], 0x0
	s_load_b32 s29, s[6:7], 0x0
	;; [unrolled: 1-line block ×6, first 2 shown]
	s_mov_b32 s4, 0
	s_delay_alu instid0(SALU_CYCLE_1)
	s_mov_b32 s5, s4
	s_mov_b32 s6, s4
	;; [unrolled: 1-line block ×7, first 2 shown]
	s_delay_alu instid0(SALU_CYCLE_1)
	v_dual_mov_b32 v118, s11 :: v_dual_mov_b32 v117, s10
	v_dual_mov_b32 v116, s9 :: v_dual_mov_b32 v115, s8
	v_mov_b32_e32 v113, s6
	v_dual_mov_b32 v111, s4 :: v_dual_mov_b32 v114, s7
	v_mov_b32_e32 v112, s5
	s_waitcnt vmcnt(1)
	v_mad_i64_i32 v[1:2], null, v5, s17, s[2:3]
	v_lshlrev_b32_e32 v5, 4, v68
	s_waitcnt vmcnt(0)
	v_mad_i64_i32 v[3:4], null, v6, s17, s[2:3]
	s_or_b32 s2, s12, 0xc0
	s_delay_alu instid0(SALU_CYCLE_1) | instskip(NEXT) | instid1(VALU_DEP_3)
	s_ashr_i32 s3, s2, 5
	v_add_co_u32 v1, vcc_lo, v1, v5
	s_delay_alu instid0(VALU_DEP_4) | instskip(NEXT) | instid1(VALU_DEP_3)
	v_add_co_ci_u32_e32 v2, vcc_lo, 0, v2, vcc_lo
	v_add_co_u32 v3, vcc_lo, v3, v5
	s_delay_alu instid0(VALU_DEP_4)
	v_add_co_ci_u32_e32 v4, vcc_lo, 0, v4, vcc_lo
	s_clause 0xf
	global_load_b128 v[17:20], v[1:2], off
	global_load_b128 v[21:24], v[1:2], off offset:512
	global_load_b128 v[25:28], v[3:4], off offset:256
	global_load_b128 v[29:32], v[3:4], off offset:768
	global_load_b128 v[57:60], v[1:2], off offset:1024
	global_load_b128 v[61:64], v[1:2], off offset:1536
	global_load_b128 v[71:74], v[3:4], off offset:1280
	global_load_b128 v[75:78], v[3:4], off offset:1792
	global_load_b128 v[79:82], v[1:2], off offset:2048
	global_load_b128 v[83:86], v[1:2], off offset:2560
	global_load_b128 v[87:90], v[3:4], off offset:2304
	global_load_b128 v[91:94], v[3:4], off offset:2816
	global_load_b128 v[95:98], v[1:2], off offset:3072
	global_load_b128 v[99:102], v[1:2], off offset:3584
	global_load_b128 v[103:106], v[3:4], off offset:3328
	global_load_b128 v[107:110], v[3:4], off offset:3840
	s_cmp_lt_i32 s2, s24
	v_add_nc_u32_e32 v1, -9, v68
	s_cselect_b32 s2, s3, s13
	v_cmp_gt_u32_e32 vcc_lo, 9, v68
	s_ashr_i32 s3, s2, 31
	v_lshlrev_b32_e32 v2, 5, v68
	s_lshl_b64 s[2:3], s[2:3], 2
	s_delay_alu instid0(SALU_CYCLE_1)
	s_add_u32 s2, s16, s2
	s_addc_u32 s3, s25, s3
	s_or_b32 s20, s12, 0xe0
	v_cndmask_b32_e32 v1, v1, v68, vcc_lo
	s_ashr_i32 s21, s20, 5
	s_cmp_lt_i32 s20, s24
	s_cselect_b32 s20, s21, s13
	s_delay_alu instid0(VALU_DEP_1)
	v_lshlrev_b32_e32 v149, 6, v1
	s_ashr_i32 s21, s20, 31
	v_lshl_or_b32 v1, v69, 9, v2
	s_lshl_b64 s[4:5], s[20:21], 2
	ds_load_b128 v[119:122], v149
	ds_load_b128 v[123:126], v149 offset:1024
	s_add_u32 s4, s16, s4
	s_addc_u32 s5, s25, s5
	ds_load_b128 v[127:130], v149 offset:2048
	ds_load_b128 v[131:134], v149 offset:3072
	s_clause 0x1
	s_load_b32 s2, s[2:3], 0x0
	s_load_b32 s3, s[4:5], 0x0
	s_add_u32 s6, s22, s15
	s_addc_u32 s7, s23, s18
	v_add_co_u32 v135, s6, s6, v1
	s_delay_alu instid0(VALU_DEP_1) | instskip(SKIP_1) | instid1(VALU_DEP_1)
	v_add_co_ci_u32_e64 v136, null, s7, 0, s6
	s_waitcnt lgkmcnt(0)
	v_mad_i64_i32 v[1:2], null, s28, s17, v[135:136]
	v_mad_i64_i32 v[3:4], null, s29, s17, v[135:136]
	;; [unrolled: 1-line block ×6, first 2 shown]
	s_clause 0x9
	global_load_b128 v[49:52], v[1:2], off
	global_load_b128 v[53:56], v[1:2], off offset:16
	global_load_b128 v[41:44], v[3:4], off
	global_load_b128 v[45:48], v[3:4], off offset:16
	;; [unrolled: 2-line block ×5, first 2 shown]
	v_mad_i64_i32 v[145:146], null, s2, s17, v[135:136]
	v_mad_i64_i32 v[147:148], null, s3, s17, v[135:136]
	s_waitcnt vmcnt(24)
	v_wmma_f32_16x16x16_f16 v[135:142], v[17:24], v[119:126], v[111:118]
	s_waitcnt vmcnt(22)
	v_wmma_f32_16x16x16_f16 v[111:118], v[25:32], v[119:126], v[111:118]
	s_clause 0x3
	global_load_b128 v[17:20], v[143:144], off
	global_load_b128 v[21:24], v[143:144], off offset:16
	global_load_b128 v[25:28], v[145:146], off
	global_load_b128 v[29:32], v[145:146], off offset:16
	v_and_b32_e32 v119, 0xe0, v0
	s_waitcnt vmcnt(24)
	v_wmma_f32_16x16x16_f16 v[135:142], v[57:64], v[127:134], v[135:142]
	s_clause 0x1
	global_load_b128 v[57:60], v[147:148], off
	global_load_b128 v[61:64], v[147:148], off offset:16
	s_waitcnt vmcnt(24)
	v_wmma_f32_16x16x16_f16 v[111:118], v[71:78], v[127:134], v[111:118]
	ds_load_b128 v[71:74], v149 offset:4096
	ds_load_b128 v[75:78], v149 offset:5120
	v_add_nc_u32_e32 v128, s12, v119
	ds_load_b128 v[119:122], v149 offset:6144
	ds_load_b128 v[123:126], v149 offset:7168
	v_mbcnt_lo_u32_b32 v127, -1, 0
	s_waitcnt vmcnt(0) lgkmcnt(0)
	s_barrier
	v_or_b32_e32 v128, v128, v66
	buffer_gl0_inv
	v_xor_b32_e32 v129, 16, v127
	v_or_b32_e32 v130, 4, v128
	v_or_b32_e32 v131, 6, v128
	s_delay_alu instid0(VALU_DEP_3) | instskip(SKIP_4) | instid1(VALU_DEP_4)
	v_cmp_gt_i32_e32 vcc_lo, 32, v129
	v_or_b32_e32 v132, 8, v128
	v_or_b32_e32 v133, 10, v128
	v_cmp_gt_i32_e64 s3, s24, v130
	v_cmp_gt_i32_e64 s4, s24, v131
	;; [unrolled: 1-line block ×3, first 2 shown]
	v_wmma_f32_16x16x16_f16 v[135:142], v[79:86], v[71:78], v[135:142]
	v_wmma_f32_16x16x16_f16 v[111:118], v[87:94], v[71:78], v[111:118]
	v_or_b32_e32 v79, 12, v128
	v_or_b32_e32 v80, 14, v128
	v_cmp_gt_i32_e64 s6, s24, v133
	v_wmma_f32_16x16x16_f16 v[135:142], v[95:102], v[119:126], v[135:142]
	v_wmma_f32_16x16x16_f16 v[111:118], v[103:110], v[119:126], v[111:118]
	v_cndmask_b32_e32 v127, v127, v129, vcc_lo
	v_or_b32_e32 v129, 2, v128
	v_cmp_gt_i32_e32 vcc_lo, s24, v128
	s_delay_alu instid0(VALU_DEP_4) | instskip(SKIP_1) | instid1(VALU_DEP_4)
	v_dual_mul_f32 v87, s19, v136 :: v_dual_mul_f32 v94, s19, v113
	v_mul_f32_e32 v88, s19, v135
	v_cmp_gt_i32_e64 s2, s24, v129
	v_mul_f32_e32 v78, s19, v138
	v_mul_f32_e32 v86, s19, v137
	;; [unrolled: 1-line block ×3, first 2 shown]
	v_cndmask_b32_e32 v88, 0xff7fffff, v88, vcc_lo
	v_cndmask_b32_e64 v87, 0xff7fffff, v87, s2
	v_dual_mul_f32 v77, s19, v139 :: v_dual_mul_f32 v90, s19, v117
	v_cndmask_b32_e64 v86, 0xff7fffff, v86, s3
	v_cndmask_b32_e64 v78, 0xff7fffff, v78, s4
	s_delay_alu instid0(VALU_DEP_4)
	v_max3_f32 v87, v88, 0xff7fffff, v87
	v_or_b32_e32 v81, 16, v128
	v_or_b32_e32 v82, 18, v128
	v_dual_mul_f32 v74, s19, v142 :: v_dual_mul_f32 v75, s19, v141
	v_mul_f32_e32 v96, s19, v111
	v_cndmask_b32_e64 v77, 0xff7fffff, v77, s5
	v_cndmask_b32_e64 v76, 0xff7fffff, v76, s6
	v_max3_f32 v78, v87, v86, v78
	v_cmp_gt_i32_e64 s7, s24, v79
	v_cmp_gt_i32_e64 s8, s24, v80
	v_or_b32_e32 v83, 20, v128
	v_or_b32_e32 v84, 22, v128
	v_mul_f32_e32 v95, s19, v112
	v_cndmask_b32_e64 v75, 0xff7fffff, v75, s7
	v_cndmask_b32_e64 v74, 0xff7fffff, v74, s8
	v_max3_f32 v76, v78, v77, v76
	v_cmp_gt_i32_e64 s9, s24, v81
	v_cmp_gt_i32_e64 s10, s24, v82
	v_or_b32_e32 v85, 24, v128
	v_or_b32_e32 v71, 26, v128
	;; [unrolled: 8-line block ×3, first 2 shown]
	v_dual_mul_f32 v91, s19, v116 :: v_dual_mul_f32 v92, s19, v115
	v_cndmask_b32_e64 v75, 0xff7fffff, v94, s11
	v_cndmask_b32_e64 v76, 0xff7fffff, v93, s12
	v_max3_f32 v74, v74, v77, v78
	v_cmp_gt_i32_e64 s13, s24, v85
	v_cmp_gt_i32_e64 s15, s24, v71
	v_mul_f32_e32 v89, s19, v118
	v_cmp_gt_i32_e64 s16, s24, v72
	v_max3_f32 v74, v74, v75, v76
	v_cndmask_b32_e64 v77, 0xff7fffff, v92, s13
	v_cndmask_b32_e64 v71, 0xff7fffff, v91, s15
	v_cmp_gt_i32_e64 s17, s24, v73
	v_cndmask_b32_e64 v72, 0xff7fffff, v90, s16
	s_delay_alu instid0(VALU_DEP_3) | instskip(SKIP_1) | instid1(VALU_DEP_4)
	v_max3_f32 v71, v74, v77, v71
	v_lshlrev_b32_e32 v74, 2, v127
	v_cndmask_b32_e64 v73, 0xff7fffff, v89, s17
	s_delay_alu instid0(VALU_DEP_1) | instskip(SKIP_3) | instid1(VALU_DEP_1)
	v_max3_f32 v71, v71, v72, v73
	ds_bpermute_b32 v72, v74, v71
	s_waitcnt lgkmcnt(0)
	v_max_f32_e32 v72, v72, v72
	v_max_f32_e32 v71, v71, v72
	s_delay_alu instid0(VALU_DEP_1) | instskip(SKIP_4) | instid1(VALU_DEP_4)
	v_fma_f32 v72, s19, v135, -v71
	v_fma_f32 v73, s19, v136, -v71
	;; [unrolled: 1-line block ×5, first 2 shown]
	v_dual_mul_f32 v72, 0x3fb8aa3b, v72 :: v_dual_mul_f32 v73, 0x3fb8aa3b, v73
	s_delay_alu instid0(VALU_DEP_3) | instskip(SKIP_1) | instid1(VALU_DEP_3)
	v_dual_mul_f32 v75, 0x3fb8aa3b, v75 :: v_dual_mul_f32 v76, 0x3fb8aa3b, v76
	v_fma_f32 v80, s19, v141, -v71
	v_exp_f32_e32 v72, v72
	s_delay_alu instid0(VALU_DEP_3) | instskip(NEXT) | instid1(VALU_DEP_2)
	v_exp_f32_e32 v73, v73
	v_exp_f32_e32 v75, v75
	;; [unrolled: 1-line block ×3, first 2 shown]
	v_mul_f32_e32 v82, 0x3fb8aa3b, v80
	s_delay_alu instid0(VALU_DEP_1) | instskip(SKIP_4) | instid1(TRANS32_DEP_3)
	v_exp_f32_e32 v84, v82
	v_cndmask_b32_e32 v79, 0, v72, vcc_lo
	v_fma_f32 v72, s19, v140, -v71
	v_mul_f32_e32 v77, 0x3fb8aa3b, v77
	v_cndmask_b32_e64 v78, 0, v73, s2
	v_cndmask_b32_e64 v81, 0, v75, s3
	s_delay_alu instid0(VALU_DEP_4) | instskip(NEXT) | instid1(VALU_DEP_4)
	v_dual_add_f32 v73, 0, v79 :: v_dual_mul_f32 v72, 0x3fb8aa3b, v72
	v_exp_f32_e32 v77, v77
	v_cndmask_b32_e64 v80, 0, v76, s4
	s_delay_alu instid0(TRANS32_DEP_2) | instskip(NEXT) | instid1(VALU_DEP_3)
	v_cndmask_b32_e64 v85, 0, v84, s7
	v_add_f32_e32 v73, v73, v78
	v_exp_f32_e32 v72, v72
	v_cmp_gt_u32_e64 s2, 16, v70
	s_delay_alu instid0(VALU_DEP_2) | instskip(NEXT) | instid1(TRANS32_DEP_2)
	v_add_f32_e32 v73, v73, v81
	v_cndmask_b32_e64 v83, 0, v77, s5
	s_delay_alu instid0(VALU_DEP_2) | instskip(SKIP_3) | instid1(VALU_DEP_1)
	v_add_f32_e32 v73, v73, v80
	s_waitcnt_depctr 0xfff
	v_cndmask_b32_e64 v82, 0, v72, s6
	v_add_f32_e32 v72, v73, v83
	v_add_f32_e32 v72, v72, v82
	s_delay_alu instid0(VALU_DEP_1)
	v_add_f32_e32 v72, v72, v85
	v_fma_f32 v76, s19, v111, -v71
	v_fma_f32 v75, s19, v142, -v71
	;; [unrolled: 1-line block ×5, first 2 shown]
	s_delay_alu instid0(VALU_DEP_4) | instskip(NEXT) | instid1(VALU_DEP_3)
	v_dual_mul_f32 v76, 0x3fb8aa3b, v76 :: v_dual_mul_f32 v75, 0x3fb8aa3b, v75
	v_mul_f32_e32 v86, 0x3fb8aa3b, v86
	s_delay_alu instid0(VALU_DEP_2) | instskip(NEXT) | instid1(VALU_DEP_2)
	v_exp_f32_e32 v76, v76
	v_exp_f32_e32 v75, v75
	s_delay_alu instid0(VALU_DEP_1) | instskip(NEXT) | instid1(TRANS32_DEP_3)
	v_exp_f32_e32 v88, v86
	v_cndmask_b32_e64 v87, 0, v76, s9
	v_fma_f32 v76, s19, v116, -v71
	v_mul_f32_e32 v77, 0x3fb8aa3b, v77
	s_waitcnt_depctr 0xfff
	v_cndmask_b32_e64 v84, 0, v75, s8
	v_fma_f32 v75, s19, v115, -v71
	v_cndmask_b32_e64 v88, 0, v88, s12
	v_mul_f32_e32 v76, 0x3fb8aa3b, v76
	v_exp_f32_e32 v77, v77
	v_add_f32_e32 v72, v72, v84
	s_delay_alu instid0(VALU_DEP_2) | instskip(NEXT) | instid1(VALU_DEP_1)
	v_exp_f32_e32 v76, v76
	v_add_f32_e32 v72, v72, v87
	s_waitcnt_depctr 0xfff
	v_cndmask_b32_e64 v86, 0, v77, s10
	v_mul_f32_e32 v73, 0x3fb8aa3b, v73
	v_fma_f32 v77, s19, v117, -v71
	v_cndmask_b32_e64 v90, 0, v76, s15
	s_delay_alu instid0(VALU_DEP_4) | instskip(NEXT) | instid1(VALU_DEP_4)
	v_add_f32_e32 v72, v72, v86
	v_exp_f32_e32 v73, v73
	s_waitcnt_depctr 0xfff
	v_cndmask_b32_e64 v89, 0, v73, s11
	s_delay_alu instid0(VALU_DEP_1) | instskip(NEXT) | instid1(VALU_DEP_1)
	v_dual_mul_f32 v75, 0x3fb8aa3b, v75 :: v_dual_add_f32 v72, v72, v89
	v_exp_f32_e32 v75, v75
	v_mul_f32_e32 v73, 0x3fb8aa3b, v77
	v_fma_f32 v77, s19, v118, -v71
	s_delay_alu instid0(VALU_DEP_3) | instskip(NEXT) | instid1(VALU_DEP_3)
	v_add_f32_e32 v72, v72, v88
	v_exp_f32_e32 v73, v73
	s_waitcnt_depctr 0xfff
	v_cndmask_b32_e64 v91, 0, v75, s13
	s_delay_alu instid0(VALU_DEP_1) | instskip(NEXT) | instid1(VALU_DEP_1)
	v_dual_mul_f32 v75, 0x3fb8aa3b, v77 :: v_dual_add_f32 v72, v72, v91
	v_exp_f32_e32 v75, v75
	v_cndmask_b32_e64 v93, 0, v73, s16
	s_delay_alu instid0(VALU_DEP_2) | instskip(NEXT) | instid1(VALU_DEP_1)
	v_add_f32_e32 v72, v72, v90
	v_add_f32_e32 v72, v72, v93
	s_waitcnt_depctr 0xfff
	v_cndmask_b32_e64 v92, 0, v75, s17
	s_delay_alu instid0(VALU_DEP_1)
	v_add_f32_e32 v72, v72, v92
	ds_bpermute_b32 v73, v74, v72
	s_and_saveexec_b32 s3, s2
	s_cbranch_execz .LBB1078_12
; %bb.11:
	v_mul_u32_u24_e32 v70, 0x44, v69
	s_waitcnt lgkmcnt(0)
	v_add_f32_e32 v72, v72, v73
	s_delay_alu instid0(VALU_DEP_2) | instskip(NEXT) | instid1(VALU_DEP_1)
	v_lshl_add_u32 v70, v68, 2, v70
	v_add_nc_u32_e32 v70, 0x4000, v70
	ds_store_2addr_b32 v70, v71, v72 offset1:136
.LBB1078_12:
	s_or_b32 exec_lo, exec_lo, s3
	v_lshlrev_b32_e32 v70, 2, v68
	s_load_b32 s35, s[0:1], 0x94
	s_waitcnt lgkmcnt(0)
	s_barrier
	buffer_gl0_inv
	v_add_nc_u32_e32 v98, 0x4000, v70
	v_cmp_eq_u32_e32 vcc_lo, 1, v69
	v_cmp_eq_u32_e64 s3, 2, v69
	v_cmp_eq_u32_e64 s4, 3, v69
	;; [unrolled: 1-line block ×3, first 2 shown]
	ds_load_2addr_b32 v[70:71], v98 offset1:17
	ds_load_2addr_b32 v[72:73], v98 offset0:34 offset1:51
	ds_load_2addr_b32 v[74:75], v98 offset0:68 offset1:85
	;; [unrolled: 1-line block ×3, first 2 shown]
	v_cmp_eq_u32_e64 s6, 5, v69
	v_cmp_eq_u32_e64 s7, 7, v69
	s_waitcnt lgkmcnt(3)
	v_max3_f32 v76, v70, 0xff7fffff, v71
	s_waitcnt lgkmcnt(2)
	s_delay_alu instid0(VALU_DEP_1) | instskip(SKIP_1) | instid1(VALU_DEP_1)
	v_max3_f32 v76, v76, v72, v73
	s_waitcnt lgkmcnt(1)
	v_max3_f32 v76, v76, v74, v75
	s_waitcnt lgkmcnt(0)
	s_delay_alu instid0(VALU_DEP_1) | instskip(NEXT) | instid1(VALU_DEP_1)
	v_max3_f32 v76, v76, v94, v95
	v_sub_f32_e32 v77, v71, v76
	ds_load_2addr_b32 v[96:97], v98 offset0:136 offset1:153
	v_sub_f32_e32 v74, v74, v76
	v_sub_f32_e32 v70, v70, v76
	;; [unrolled: 1-line block ×3, first 2 shown]
	v_dual_sub_f32 v72, v72, v76 :: v_dual_mul_f32 v77, 0x3fb8aa3b, v77
	s_delay_alu instid0(VALU_DEP_4) | instskip(NEXT) | instid1(VALU_DEP_4)
	v_mul_f32_e32 v103, 0x3fb8aa3b, v74
	v_mul_f32_e32 v99, 0x3fb8aa3b, v70
	ds_load_2addr_b32 v[70:71], v98 offset0:170 offset1:187
	v_dual_mul_f32 v101, 0x3fb8aa3b, v72 :: v_dual_mul_f32 v94, 0x3fb8aa3b, v94
	v_exp_f32_e32 v102, v77
	v_exp_f32_e32 v99, v99
	s_delay_alu instid0(VALU_DEP_1) | instskip(NEXT) | instid1(VALU_DEP_1)
	v_exp_f32_e32 v101, v101
	v_exp_f32_e32 v94, v94
	s_waitcnt lgkmcnt(1)
	s_delay_alu instid0(TRANS32_DEP_3)
	v_fma_f32 v77, v99, v96, 0
	v_sub_f32_e32 v100, v73, v76
	ds_load_2addr_b32 v[72:73], v98 offset0:204 offset1:221
	v_fmac_f32_e32 v77, v102, v97
	v_exp_f32_e32 v97, v103
	s_waitcnt lgkmcnt(1)
	s_delay_alu instid0(VALU_DEP_1)
	v_dual_fmac_f32 v77, v101, v70 :: v_dual_sub_f32 v96, v75, v76
	ds_load_2addr_b32 v[74:75], v98 offset0:238 offset1:255
	v_sub_f32_e32 v70, v95, v76
	s_waitcnt lgkmcnt(0)
	s_barrier
	v_mul_f32_e32 v96, 0x3fb8aa3b, v96
	buffer_gl0_inv
	v_exp_f32_e32 v95, v96
	v_mul_f32_e32 v100, 0x3fb8aa3b, v100
	s_delay_alu instid0(VALU_DEP_1) | instskip(SKIP_3) | instid1(VALU_DEP_2)
	v_exp_f32_e32 v100, v100
	s_waitcnt_depctr 0xfff
	v_dual_fmac_f32 v77, v100, v71 :: v_dual_mul_f32 v70, 0x3fb8aa3b, v70
	v_cndmask_b32_e32 v71, v99, v102, vcc_lo
	v_fmac_f32_e32 v77, v97, v72
	s_delay_alu instid0(VALU_DEP_3) | instskip(NEXT) | instid1(VALU_DEP_1)
	v_exp_f32_e32 v96, v70
	v_fmac_f32_e32 v77, v95, v73
	s_delay_alu instid0(VALU_DEP_1) | instskip(SKIP_2) | instid1(VALU_DEP_1)
	v_fmac_f32_e32 v77, v94, v74
	s_waitcnt_depctr 0xfff
	v_fmac_f32_e32 v77, v96, v75
	v_add_f32_e32 v74, 0x358637bd, v77
	s_delay_alu instid0(VALU_DEP_1) | instskip(SKIP_1) | instid1(VALU_DEP_2)
	v_div_scale_f32 v98, null, v74, v74, 1.0
	v_div_scale_f32 v99, vcc_lo, 1.0, v74, 1.0
	v_rcp_f32_e32 v103, v98
	s_waitcnt_depctr 0xfff
	v_fma_f32 v70, -v98, v103, 1.0
	s_delay_alu instid0(VALU_DEP_1) | instskip(SKIP_2) | instid1(VALU_DEP_2)
	v_fmac_f32_e32 v103, v70, v103
	v_cndmask_b32_e64 v70, v71, v101, s3
	v_cmp_eq_u32_e64 s3, 6, v69
	v_cndmask_b32_e64 v71, v70, v100, s4
	s_delay_alu instid0(VALU_DEP_4) | instskip(NEXT) | instid1(VALU_DEP_2)
	v_dual_mul_f32 v101, v99, v103 :: v_dual_lshlrev_b32 v70, 2, v66
	v_cndmask_b32_e64 v71, v71, v97, s5
	s_delay_alu instid0(VALU_DEP_2) | instskip(NEXT) | instid1(VALU_DEP_3)
	v_or_b32_e32 v72, 1, v70
	v_fma_f32 v100, -v98, v101, v99
	v_cmp_eq_u32_e64 s4, 1, v70
	v_cmp_eq_u32_e64 s5, 2, v70
	v_cndmask_b32_e64 v95, v71, v95, s6
	v_or_b32_e32 v71, 3, v70
	v_fmac_f32_e32 v101, v100, v103
	v_cmp_eq_u32_e64 s9, 1, v72
	v_cmp_eq_u32_e64 s12, 2, v72
	v_cndmask_b32_e64 v94, v95, v94, s3
	v_cmp_eq_u32_e64 s11, 1, v71
	v_fma_f32 v97, -v98, v101, v99
	v_cmp_eq_u32_e64 s16, 2, v71
	v_cmp_eq_u32_e64 s13, 3, v72
	v_cndmask_b32_e64 v94, v94, v96, s7
	v_cmp_eq_u32_e64 s18, 3, v71
	v_div_fmas_f32 v95, v97, v103, v101
	v_cmp_eq_u32_e32 vcc_lo, 3, v70
	v_cmp_eq_u32_e64 s3, 4, v70
	v_cmp_eq_u32_e64 s19, 4, v72
	v_cmp_eq_u32_e64 s22, 4, v71
	v_div_fixup_f32 v95, v95, v74, 1.0
	v_lshlrev_b32_e32 v73, 6, v68
	v_cmp_eq_u32_e64 s6, 5, v70
	v_cmp_eq_u32_e64 s20, 5, v72
	;; [unrolled: 1-line block ×3, first 2 shown]
	v_mul_f32_e32 v102, v94, v95
	v_lshl_or_b32 v75, v69, 11, v73
	v_or_b32_e32 v69, 2, v70
	v_cmp_eq_u32_e64 s25, 6, v72
	v_cmp_eq_u32_e64 s27, 6, v71
	v_fma_mixlo_f16 v94, v102, v79, 0
	v_fma_mixlo_f16 v95, v102, v81, 0
	;; [unrolled: 1-line block ×8, first 2 shown]
	v_lshl_or_b32 v74, v66, 4, v75
	v_fma_mixhi_f16 v94, v102, v78, 0
	v_fma_mixhi_f16 v95, v102, v80, 0
	;; [unrolled: 1-line block ×8, first 2 shown]
	ds_store_b128 v74, v[94:97]
	ds_store_b128 v74, v[98:101] offset:1024
	s_waitcnt lgkmcnt(0)
	s_barrier
	buffer_gl0_inv
	ds_load_b128 v[78:81], v75
	ds_load_b128 v[82:85], v75 offset:16
	ds_load_b128 v[86:89], v75 offset:1024
	;; [unrolled: 1-line block ×3, first 2 shown]
	v_cmp_eq_u32_e64 s10, 1, v69
	v_cmp_eq_u32_e64 s15, 2, v69
	;; [unrolled: 1-line block ×11, first 2 shown]
	s_waitcnt lgkmcnt(3)
	v_lshrrev_b32_e32 v94, 16, v78
	s_waitcnt lgkmcnt(2)
	v_lshrrev_b32_e32 v98, 16, v82
	;; [unrolled: 2-line block ×4, first 2 shown]
	v_lshrrev_b32_e32 v95, 16, v79
	v_cndmask_b32_e64 v110, v78, v94, s4
	v_cndmask_b32_e64 v111, v82, v98, s4
	;; [unrolled: 1-line block ×8, first 2 shown]
	v_lshrrev_b32_e32 v99, 16, v83
	v_cndmask_b32_e64 v94, v86, v102, s4
	v_cndmask_b32_e64 v98, v90, v106, s4
	;; [unrolled: 1-line block ×15, first 2 shown]
	v_lshrrev_b32_e32 v103, 16, v87
	v_lshrrev_b32_e32 v107, 16, v91
	v_cndmask_b32_e64 v113, v115, v83, s15
	v_cndmask_b32_e64 v82, v94, v87, s5
	;; [unrolled: 1-line block ×7, first 2 shown]
	v_cndmask_b32_e32 v90, v102, v95, vcc_lo
	v_cndmask_b32_e32 v102, v106, v99, vcc_lo
	v_cndmask_b32_e64 v106, v110, v95, s13
	v_cndmask_b32_e64 v110, v111, v99, s13
	;; [unrolled: 1-line block ×4, first 2 shown]
	v_lshrrev_b32_e32 v96, 16, v80
	v_lshrrev_b32_e32 v100, 16, v84
	v_cndmask_b32_e64 v111, v112, v95, s17
	v_cndmask_b32_e64 v112, v113, v99, s17
	v_cndmask_b32_e32 v82, v82, v103, vcc_lo
	v_cndmask_b32_e32 v83, v83, v107, vcc_lo
	v_cndmask_b32_e64 v94, v94, v103, s13
	v_cndmask_b32_e64 v90, v90, v80, s3
	;; [unrolled: 1-line block ×7, first 2 shown]
	v_lshrrev_b32_e32 v104, 16, v88
	v_cndmask_b32_e64 v106, v111, v80, s21
	v_cndmask_b32_e64 v110, v112, v84, s21
	v_cndmask_b32_e64 v80, v82, v88, s3
	v_cndmask_b32_e64 v82, v83, v92, s3
	v_cndmask_b32_e64 v83, v94, v88, s19
	v_cndmask_b32_e64 v84, v90, v96, s6
	v_cndmask_b32_e64 v90, v95, v100, s6
	v_cndmask_b32_e64 v94, v99, v96, s20
	v_cndmask_b32_e64 v95, v102, v100, s20
	v_cndmask_b32_e64 v78, v78, v96, s24
	v_cndmask_b32_e64 v79, v79, v100, s24
	v_lshrrev_b32_e32 v97, 16, v81
	v_lshrrev_b32_e32 v101, 16, v85
	v_cndmask_b32_e64 v99, v106, v96, s23
	v_cndmask_b32_e64 v102, v110, v100, s23
	;; [unrolled: 1-line block ×7, first 2 shown]
	v_lshrrev_b32_e32 v105, 16, v89
	v_cndmask_b32_e64 v80, v80, v104, s6
	v_cndmask_b32_e64 v84, v84, v81, s7
	;; [unrolled: 1-line block ×16, first 2 shown]
	v_perm_b32 v81, v79, v78, 0x5040100
	v_perm_b32 v79, v95, v85, 0x5040100
	v_cndmask_b32_e64 v78, v119, v91, s15
	v_cndmask_b32_e64 v85, v117, v91, s12
	;; [unrolled: 1-line block ×3, first 2 shown]
	v_perm_b32 v80, v94, v90, 0x5040100
	v_cndmask_b32_e64 v90, v98, v103, s17
	v_cndmask_b32_e64 v86, v86, v103, s18
	;; [unrolled: 1-line block ×5, first 2 shown]
	v_lshrrev_b32_e32 v108, 16, v92
	v_cndmask_b32_e64 v90, v90, v88, s21
	v_cndmask_b32_e64 v86, v86, v88, s22
	;; [unrolled: 1-line block ×11, first 2 shown]
	v_lshrrev_b32_e32 v109, 16, v93
	v_cndmask_b32_e64 v82, v82, v93, s7
	v_cndmask_b32_e64 v88, v88, v89, s26
	;; [unrolled: 1-line block ×12, first 2 shown]
	v_perm_b32 v78, v84, v83, 0x5040100
	v_perm_b32 v85, v87, v86, 0x5040100
	;; [unrolled: 1-line block ×5, first 2 shown]
	s_mul_i32 s8, s33, 9
	s_mov_b32 s3, exec_lo
	ds_store_b128 v74, v[78:81]
	ds_store_b128 v74, v[82:85] offset:1024
	v_cmpx_gt_u32_e32 9, v0
	s_cbranch_execz .LBB1078_14
; %bb.13:
	s_mul_i32 s4, s8, s34
	s_delay_alu instid0(SALU_CYCLE_1) | instskip(SKIP_1) | instid1(VALU_DEP_1)
	v_add3_u32 v68, s4, s31, v68
	s_load_b128 s[4:7], s[0:1], 0x58
	v_mad_u64_u32 v[78:79], null, v68, s35, s[14:15]
	s_delay_alu instid0(VALU_DEP_1) | instskip(NEXT) | instid1(VALU_DEP_1)
	v_ashrrev_i32_e32 v79, 31, v78
	v_lshlrev_b64 v[78:79], 2, v[78:79]
	s_waitcnt lgkmcnt(0)
	s_delay_alu instid0(VALU_DEP_1) | instskip(NEXT) | instid1(VALU_DEP_2)
	v_add_co_u32 v80, vcc_lo, s6, v78
	v_add_co_ci_u32_e32 v81, vcc_lo, s7, v79, vcc_lo
	v_add_co_u32 v78, vcc_lo, s4, v78
	v_add_co_ci_u32_e32 v79, vcc_lo, s5, v79, vcc_lo
	global_store_b32 v[80:81], v76, off
	global_store_b32 v[78:79], v77, off
.LBB1078_14:
	s_or_b32 exec_lo, exec_lo, s3
	s_waitcnt lgkmcnt(0)
	s_waitcnt_vscnt null, 0x0
	s_barrier
	buffer_gl0_inv
	ds_load_b128 v[84:87], v73
	ds_load_b128 v[88:91], v73 offset:16
	ds_load_b128 v[96:99], v73 offset:2064
	;; [unrolled: 1-line block ×5, first 2 shown]
	v_cmp_eq_u32_e32 vcc_lo, 1, v70
	v_mov_b32_e32 v76, 0
	ds_load_b128 v[112:115], v73 offset:6160
	ds_load_b128 v[108:111], v73 offset:6144
	;; [unrolled: 1-line block ×4, first 2 shown]
	v_cmp_eq_u32_e64 s4, 1, v69
	v_cmp_eq_u32_e64 s3, 1, v72
	;; [unrolled: 1-line block ×3, first 2 shown]
	v_mov_b32_e32 v77, v76
	v_mov_b32_e32 v78, v76
	;; [unrolled: 1-line block ×7, first 2 shown]
	v_cmp_eq_u32_e64 s6, 3, v72
	v_cmp_eq_u32_e64 s7, 7, v72
	s_waitcnt lgkmcnt(8)
	s_delay_alu instid0(VALU_DEP_3)
	v_wmma_f32_16x16x16_f16 v[76:83], v[49:56], v[84:91], v[76:83]
	ds_load_b128 v[53:56], v73 offset:10256
	ds_load_b128 v[49:52], v73 offset:10240
	s_waitcnt lgkmcnt(8)
	v_wmma_f32_16x16x16_f16 v[76:83], v[41:48], v[92:99], v[76:83]
	ds_load_b128 v[45:48], v73 offset:12304
	ds_load_b128 v[41:44], v73 offset:12288
	s_waitcnt lgkmcnt(8)
	v_wmma_f32_16x16x16_f16 v[76:83], v[33:40], v[100:107], v[76:83]
	ds_load_b128 v[37:40], v73 offset:14352
	ds_load_b128 v[33:36], v73 offset:14336
	s_waitcnt lgkmcnt(0)
	s_barrier
	buffer_gl0_inv
	v_wmma_f32_16x16x16_f16 v[76:83], v[1:8], v[108:115], v[76:83]
	s_delay_alu instid0(VALU_DEP_1) | instskip(NEXT) | instid1(VALU_DEP_1)
	v_wmma_f32_16x16x16_f16 v[76:83], v[9:16], v[116:123], v[76:83]
	v_wmma_f32_16x16x16_f16 v[76:83], v[17:24], v[49:56], v[76:83]
	s_delay_alu instid0(VALU_DEP_1) | instskip(NEXT) | instid1(VALU_DEP_1)
	v_wmma_f32_16x16x16_f16 v[76:83], v[25:32], v[41:48], v[76:83]
	v_wmma_f32_16x16x16_f16 v[76:83], v[57:64], v[33:40], v[76:83]
	s_delay_alu instid0(VALU_DEP_1) | instskip(NEXT) | instid1(VALU_DEP_2)
	v_cvt_f16_f32_e32 v1, v76
	v_cvt_f16_f32_e32 v2, v77
	s_delay_alu instid0(VALU_DEP_3) | instskip(NEXT) | instid1(VALU_DEP_4)
	v_cvt_f16_f32_e32 v3, v78
	v_cvt_f16_f32_e32 v4, v79
	;; [unrolled: 1-line block ×6, first 2 shown]
	v_pack_b32_f16 v1, v1, v2
	v_pack_b32_f16 v2, v3, v4
	;; [unrolled: 1-line block ×3, first 2 shown]
	s_delay_alu instid0(VALU_DEP_4)
	v_pack_b32_f16 v4, v7, v8
	ds_store_b128 v74, v[1:4]
	s_waitcnt lgkmcnt(0)
	s_barrier
	buffer_gl0_inv
	ds_load_b128 v[1:4], v75
	ds_load_b128 v[5:8], v75 offset:16
	s_waitcnt lgkmcnt(1)
	v_lshrrev_b32_e32 v9, 16, v1
	s_waitcnt lgkmcnt(0)
	v_lshrrev_b32_e32 v13, 16, v5
	v_lshrrev_b32_e32 v10, 16, v2
	;; [unrolled: 1-line block ×4, first 2 shown]
	v_cndmask_b32_e32 v17, v1, v9, vcc_lo
	v_cndmask_b32_e32 v18, v5, v13, vcc_lo
	v_cndmask_b32_e64 v21, v1, v9, s4
	v_cmp_eq_u32_e32 vcc_lo, 1, v71
	v_cndmask_b32_e64 v22, v5, v13, s4
	v_cmp_eq_u32_e64 s4, 2, v70
	v_cndmask_b32_e64 v19, v1, v9, s3
	v_cndmask_b32_e64 v20, v5, v13, s3
	v_cndmask_b32_e32 v1, v1, v9, vcc_lo
	v_cmp_eq_u32_e64 s3, 2, v71
	v_cndmask_b32_e32 v5, v5, v13, vcc_lo
	v_cndmask_b32_e64 v9, v17, v2, s4
	v_cmp_eq_u32_e32 vcc_lo, 3, v70
	v_cndmask_b32_e64 v13, v18, v6, s4
	v_cmp_eq_u32_e64 s4, 2, v69
	v_cndmask_b32_e64 v17, v19, v2, s5
	v_cndmask_b32_e64 v18, v20, v6, s5
	v_cmp_eq_u32_e64 s5, 3, v69
	v_cndmask_b32_e64 v1, v1, v2, s3
	v_cndmask_b32_e64 v19, v21, v2, s4
	;; [unrolled: 1-line block ×4, first 2 shown]
	v_cndmask_b32_e32 v5, v9, v10, vcc_lo
	v_cndmask_b32_e32 v6, v13, v14, vcc_lo
	v_cmp_eq_u32_e32 vcc_lo, 3, v71
	v_cndmask_b32_e64 v9, v17, v10, s6
	v_cndmask_b32_e64 v13, v18, v14, s6
	;; [unrolled: 1-line block ×3, first 2 shown]
	v_cmp_eq_u32_e64 s4, 4, v70
	v_cndmask_b32_e32 v1, v1, v10, vcc_lo
	v_cndmask_b32_e32 v2, v2, v14, vcc_lo
	v_cmp_eq_u32_e32 vcc_lo, 4, v72
	v_lshrrev_b32_e32 v15, 16, v7
	v_lshrrev_b32_e32 v16, 16, v8
	v_cndmask_b32_e64 v17, v19, v10, s5
	v_cmp_eq_u32_e64 s3, 4, v71
	v_cndmask_b32_e64 v5, v5, v3, s4
	v_cndmask_b32_e64 v6, v6, v7, s4
	v_cndmask_b32_e32 v9, v9, v3, vcc_lo
	v_cmp_eq_u32_e64 s4, 5, v72
	v_cndmask_b32_e32 v10, v13, v7, vcc_lo
	v_cmp_eq_u32_e32 vcc_lo, 4, v69
	v_cmp_eq_u32_e64 s5, 5, v70
	v_cndmask_b32_e64 v2, v2, v7, s3
	v_cndmask_b32_e64 v9, v9, v11, s4
	;; [unrolled: 1-line block ×3, first 2 shown]
	v_cndmask_b32_e32 v13, v17, v3, vcc_lo
	v_cmp_eq_u32_e64 s4, 5, v69
	v_cndmask_b32_e32 v14, v18, v7, vcc_lo
	v_cndmask_b32_e64 v1, v1, v3, s3
	v_cmp_eq_u32_e32 vcc_lo, 5, v71
	v_lshrrev_b32_e32 v12, 16, v4
	v_cndmask_b32_e64 v13, v13, v11, s4
	v_cndmask_b32_e64 v3, v14, v15, s4
	v_cmp_eq_u32_e64 s4, 6, v71
	v_cndmask_b32_e32 v1, v1, v11, vcc_lo
	v_cndmask_b32_e64 v5, v5, v11, s5
	v_cmp_eq_u32_e64 s6, 6, v70
	v_cndmask_b32_e64 v6, v6, v15, s5
	v_cmp_eq_u32_e64 s5, 6, v72
	v_cmp_eq_u32_e64 s3, 6, v69
	v_cndmask_b32_e64 v1, v1, v4, s4
	v_cndmask_b32_e32 v2, v2, v15, vcc_lo
	v_cmp_eq_u32_e32 vcc_lo, 7, v71
	v_cndmask_b32_e64 v5, v5, v4, s6
	v_cndmask_b32_e64 v9, v9, v4, s5
	;; [unrolled: 1-line block ×3, first 2 shown]
	v_cmp_eq_u32_e64 s6, 7, v70
	v_cndmask_b32_e32 v1, v1, v12, vcc_lo
	v_cndmask_b32_e64 v7, v13, v4, s3
	v_cndmask_b32_e64 v3, v3, v8, s3
	;; [unrolled: 1-line block ×3, first 2 shown]
	v_cmp_eq_u32_e64 s3, 7, v69
	v_cndmask_b32_e64 v4, v10, v8, s5
	v_cndmask_b32_e64 v5, v5, v12, s6
	;; [unrolled: 1-line block ×3, first 2 shown]
	v_cndmask_b32_e32 v2, v2, v16, vcc_lo
	v_cndmask_b32_e64 v7, v7, v12, s3
	v_cndmask_b32_e64 v3, v3, v16, s3
	;; [unrolled: 1-line block ×4, first 2 shown]
	v_perm_b32 v4, v2, v1, 0x5040100
	s_mov_b32 s3, exec_lo
	v_perm_b32 v3, v3, v7, 0x5040100
	v_perm_b32 v2, v8, v9, 0x5040100
	;; [unrolled: 1-line block ×3, first 2 shown]
	ds_store_b128 v74, v[1:4]
	s_waitcnt lgkmcnt(0)
	s_barrier
	buffer_gl0_inv
	v_cmpx_gt_u32_e32 32, v0
	s_cbranch_execz .LBB1078_2
; %bb.15:
	s_load_b64 s[4:5], s[0:1], 0x68
	v_lshlrev_b32_e32 v0, 10, v0
	v_lshlrev_b32_e32 v1, 4, v67
	s_lshl_b32 s0, s35, 7
	v_add_nc_u32_e32 v2, s31, v66
	s_mul_i32 s1, s0, s34
	s_delay_alu instid0(SALU_CYCLE_1) | instskip(SKIP_1) | instid1(VALU_DEP_2)
	s_mul_i32 s6, s1, s8
	v_and_or_b32 v0, 0x3800, v0, v1
	v_mul_lo_u32 v1, v2, s0
	s_ashr_i32 s7, s6, 31
	v_add_nc_u32_e32 v3, 2, v2
	s_lshl_b64 s[6:7], s[6:7], 1
	v_add_nc_u32_e32 v4, 4, v2
	v_add_nc_u32_e32 v5, 6, v2
	v_lshl_or_b32 v15, v66, 6, v0
	v_mul_lo_u32 v3, v3, s0
	v_ashrrev_i32_e32 v2, 31, v1
	v_mul_lo_u32 v19, v4, s0
	v_mul_lo_u32 v21, v5, s0
	s_waitcnt lgkmcnt(0)
	s_add_u32 s1, s4, s6
	s_addc_u32 s3, s5, s7
	s_lshl_b32 s4, s14, 7
	v_lshlrev_b64 v[5:6], 1, v[1:2]
	s_ashr_i32 s5, s4, 31
	v_ashrrev_i32_e32 v4, 31, v3
	s_lshl_b64 s[4:5], s[4:5], 1
	v_ashrrev_i32_e32 v20, 31, v19
	s_add_u32 s1, s1, s4
	s_addc_u32 s3, s3, s5
	v_add_co_u32 v1, s1, s1, v65
	s_delay_alu instid0(VALU_DEP_1) | instskip(SKIP_1) | instid1(VALU_DEP_3)
	v_add_co_ci_u32_e64 v2, null, s3, 0, s1
	v_lshlrev_b64 v[25:26], 1, v[3:4]
	v_add_co_u32 v23, vcc_lo, v1, v5
	s_delay_alu instid0(VALU_DEP_3)
	v_add_co_ci_u32_e32 v24, vcc_lo, v2, v6, vcc_lo
	ds_load_b128 v[3:6], v15
	ds_load_b128 v[7:10], v15 offset:128
	ds_load_b128 v[11:14], v15 offset:256
	;; [unrolled: 1-line block ×3, first 2 shown]
	v_ashrrev_i32_e32 v22, 31, v21
	v_lshlrev_b64 v[19:20], 1, v[19:20]
	v_add_co_u32 v25, vcc_lo, v1, v25
	v_add_co_ci_u32_e32 v26, vcc_lo, v2, v26, vcc_lo
	s_delay_alu instid0(VALU_DEP_4) | instskip(NEXT) | instid1(VALU_DEP_4)
	v_lshlrev_b64 v[21:22], 1, v[21:22]
	v_add_co_u32 v19, vcc_lo, v1, v19
	v_add_co_ci_u32_e32 v20, vcc_lo, v2, v20, vcc_lo
	s_delay_alu instid0(VALU_DEP_3) | instskip(NEXT) | instid1(VALU_DEP_4)
	v_add_co_u32 v21, vcc_lo, v1, v21
	v_add_co_ci_u32_e32 v22, vcc_lo, v2, v22, vcc_lo
	s_waitcnt lgkmcnt(3)
	global_store_b128 v[23:24], v[3:6], off
	s_waitcnt lgkmcnt(2)
	global_store_b128 v[25:26], v[7:10], off
	;; [unrolled: 2-line block ×4, first 2 shown]
	s_and_b32 exec_lo, exec_lo, s2
	s_cbranch_execz .LBB1078_2
; %bb.16:
	ds_load_b128 v[3:6], v0 offset:512
	s_add_i32 s1, s31, 8
	s_delay_alu instid0(SALU_CYCLE_1) | instskip(NEXT) | instid1(SALU_CYCLE_1)
	s_mul_i32 s0, s1, s0
	s_ashr_i32 s1, s0, 31
	s_delay_alu instid0(SALU_CYCLE_1) | instskip(NEXT) | instid1(SALU_CYCLE_1)
	s_lshl_b64 s[0:1], s[0:1], 1
	v_add_co_u32 v0, vcc_lo, v1, s0
	v_add_co_ci_u32_e32 v1, vcc_lo, s1, v2, vcc_lo
	s_waitcnt lgkmcnt(0)
	global_store_b128 v[0:1], v[3:6], off
	s_nop 0
	s_sendmsg sendmsg(MSG_DEALLOC_VGPRS)
	s_endpgm
	.section	.rodata,"a",@progbits
	.p2align	6, 0x0
	.amdhsa_kernel _Z39paged_attention_ll4mi_QKV_mfma16_kernelIDF16_hLN4vllm18Fp8KVCacheDataTypeE1EDF16_Li32ELi128ELi256ELb0ELi9EL8MFMAType1EEvPKT_PKT0_S8_ifPKiSA_SA_iPKfiiiPfSD_PS3_PT2_iSC_SC_
		.amdhsa_group_segment_fixed_size 17472
		.amdhsa_private_segment_fixed_size 0
		.amdhsa_kernarg_size 400
		.amdhsa_user_sgpr_count 13
		.amdhsa_user_sgpr_dispatch_ptr 0
		.amdhsa_user_sgpr_queue_ptr 0
		.amdhsa_user_sgpr_kernarg_segment_ptr 1
		.amdhsa_user_sgpr_dispatch_id 0
		.amdhsa_user_sgpr_private_segment_size 0
		.amdhsa_wavefront_size32 1
		.amdhsa_uses_dynamic_stack 0
		.amdhsa_enable_private_segment 0
		.amdhsa_system_sgpr_workgroup_id_x 1
		.amdhsa_system_sgpr_workgroup_id_y 1
		.amdhsa_system_sgpr_workgroup_id_z 1
		.amdhsa_system_sgpr_workgroup_info 0
		.amdhsa_system_vgpr_workitem_id 0
		.amdhsa_next_free_vgpr 150
		.amdhsa_next_free_sgpr 37
		.amdhsa_reserve_vcc 1
		.amdhsa_float_round_mode_32 0
		.amdhsa_float_round_mode_16_64 0
		.amdhsa_float_denorm_mode_32 3
		.amdhsa_float_denorm_mode_16_64 3
		.amdhsa_dx10_clamp 1
		.amdhsa_ieee_mode 1
		.amdhsa_fp16_overflow 0
		.amdhsa_workgroup_processor_mode 1
		.amdhsa_memory_ordered 1
		.amdhsa_forward_progress 0
		.amdhsa_shared_vgpr_count 0
		.amdhsa_exception_fp_ieee_invalid_op 0
		.amdhsa_exception_fp_denorm_src 0
		.amdhsa_exception_fp_ieee_div_zero 0
		.amdhsa_exception_fp_ieee_overflow 0
		.amdhsa_exception_fp_ieee_underflow 0
		.amdhsa_exception_fp_ieee_inexact 0
		.amdhsa_exception_int_div_zero 0
	.end_amdhsa_kernel
	.section	.text._Z39paged_attention_ll4mi_QKV_mfma16_kernelIDF16_hLN4vllm18Fp8KVCacheDataTypeE1EDF16_Li32ELi128ELi256ELb0ELi9EL8MFMAType1EEvPKT_PKT0_S8_ifPKiSA_SA_iPKfiiiPfSD_PS3_PT2_iSC_SC_,"axG",@progbits,_Z39paged_attention_ll4mi_QKV_mfma16_kernelIDF16_hLN4vllm18Fp8KVCacheDataTypeE1EDF16_Li32ELi128ELi256ELb0ELi9EL8MFMAType1EEvPKT_PKT0_S8_ifPKiSA_SA_iPKfiiiPfSD_PS3_PT2_iSC_SC_,comdat
.Lfunc_end1078:
	.size	_Z39paged_attention_ll4mi_QKV_mfma16_kernelIDF16_hLN4vllm18Fp8KVCacheDataTypeE1EDF16_Li32ELi128ELi256ELb0ELi9EL8MFMAType1EEvPKT_PKT0_S8_ifPKiSA_SA_iPKfiiiPfSD_PS3_PT2_iSC_SC_, .Lfunc_end1078-_Z39paged_attention_ll4mi_QKV_mfma16_kernelIDF16_hLN4vllm18Fp8KVCacheDataTypeE1EDF16_Li32ELi128ELi256ELb0ELi9EL8MFMAType1EEvPKT_PKT0_S8_ifPKiSA_SA_iPKfiiiPfSD_PS3_PT2_iSC_SC_
                                        ; -- End function
	.section	.AMDGPU.csdata,"",@progbits
; Kernel info:
; codeLenInByte = 6744
; NumSgprs: 39
; NumVgprs: 150
; ScratchSize: 0
; MemoryBound: 0
; FloatMode: 240
; IeeeMode: 1
; LDSByteSize: 17472 bytes/workgroup (compile time only)
; SGPRBlocks: 4
; VGPRBlocks: 18
; NumSGPRsForWavesPerEU: 39
; NumVGPRsForWavesPerEU: 150
; Occupancy: 9
; WaveLimiterHint : 1
; COMPUTE_PGM_RSRC2:SCRATCH_EN: 0
; COMPUTE_PGM_RSRC2:USER_SGPR: 13
; COMPUTE_PGM_RSRC2:TRAP_HANDLER: 0
; COMPUTE_PGM_RSRC2:TGID_X_EN: 1
; COMPUTE_PGM_RSRC2:TGID_Y_EN: 1
; COMPUTE_PGM_RSRC2:TGID_Z_EN: 1
; COMPUTE_PGM_RSRC2:TIDIG_COMP_CNT: 0
	.section	.text._Z39paged_attention_ll4mi_QKV_mfma16_kernelIDF16_hLN4vllm18Fp8KVCacheDataTypeE1EDF16_Li32ELi128ELi256ELb0ELi10EL8MFMAType1EEvPKT_PKT0_S8_ifPKiSA_SA_iPKfiiiPfSD_PS3_PT2_iSC_SC_,"axG",@progbits,_Z39paged_attention_ll4mi_QKV_mfma16_kernelIDF16_hLN4vllm18Fp8KVCacheDataTypeE1EDF16_Li32ELi128ELi256ELb0ELi10EL8MFMAType1EEvPKT_PKT0_S8_ifPKiSA_SA_iPKfiiiPfSD_PS3_PT2_iSC_SC_,comdat
	.protected	_Z39paged_attention_ll4mi_QKV_mfma16_kernelIDF16_hLN4vllm18Fp8KVCacheDataTypeE1EDF16_Li32ELi128ELi256ELb0ELi10EL8MFMAType1EEvPKT_PKT0_S8_ifPKiSA_SA_iPKfiiiPfSD_PS3_PT2_iSC_SC_ ; -- Begin function _Z39paged_attention_ll4mi_QKV_mfma16_kernelIDF16_hLN4vllm18Fp8KVCacheDataTypeE1EDF16_Li32ELi128ELi256ELb0ELi10EL8MFMAType1EEvPKT_PKT0_S8_ifPKiSA_SA_iPKfiiiPfSD_PS3_PT2_iSC_SC_
	.globl	_Z39paged_attention_ll4mi_QKV_mfma16_kernelIDF16_hLN4vllm18Fp8KVCacheDataTypeE1EDF16_Li32ELi128ELi256ELb0ELi10EL8MFMAType1EEvPKT_PKT0_S8_ifPKiSA_SA_iPKfiiiPfSD_PS3_PT2_iSC_SC_
	.p2align	8
	.type	_Z39paged_attention_ll4mi_QKV_mfma16_kernelIDF16_hLN4vllm18Fp8KVCacheDataTypeE1EDF16_Li32ELi128ELi256ELb0ELi10EL8MFMAType1EEvPKT_PKT0_S8_ifPKiSA_SA_iPKfiiiPfSD_PS3_PT2_iSC_SC_,@function
_Z39paged_attention_ll4mi_QKV_mfma16_kernelIDF16_hLN4vllm18Fp8KVCacheDataTypeE1EDF16_Li32ELi128ELi256ELb0ELi10EL8MFMAType1EEvPKT_PKT0_S8_ifPKiSA_SA_iPKfiiiPfSD_PS3_PT2_iSC_SC_: ; @_Z39paged_attention_ll4mi_QKV_mfma16_kernelIDF16_hLN4vllm18Fp8KVCacheDataTypeE1EDF16_Li32ELi128ELi256ELb0ELi10EL8MFMAType1EEvPKT_PKT0_S8_ifPKiSA_SA_iPKfiiiPfSD_PS3_PT2_iSC_SC_
; %bb.0:
	s_load_b64 s[4:5], s[0:1], 0x30
	s_mov_b32 s30, s13
	s_waitcnt lgkmcnt(0)
	s_cmp_lg_u64 s[4:5], 0
	s_cselect_b32 s8, -1, 0
	s_ashr_i32 s31, s13, 31
	s_cmp_eq_u64 s[4:5], 0
	s_cbranch_scc1 .LBB1079_3
; %bb.1:
	s_lshl_b64 s[2:3], s[30:31], 2
	s_delay_alu instid0(SALU_CYCLE_1) | instskip(SKIP_4) | instid1(SALU_CYCLE_1)
	s_add_u32 s2, s4, s2
	s_addc_u32 s3, s5, s3
	s_load_b64 s[2:3], s[2:3], 0x0
	s_waitcnt lgkmcnt(0)
	s_sub_i32 s2, s3, s2
	s_cmp_eq_u32 s2, 1
	s_cselect_b32 s2, -1, 0
	s_delay_alu instid0(SALU_CYCLE_1)
	s_and_not1_b32 vcc_lo, exec_lo, s2
	s_cbranch_vccz .LBB1079_4
.LBB1079_2:
	s_endpgm
.LBB1079_3:
.LBB1079_4:
	s_load_b64 s[2:3], s[0:1], 0x28
	s_lshl_b64 s[6:7], s[30:31], 2
	s_waitcnt lgkmcnt(0)
	s_add_u32 s2, s2, s6
	s_addc_u32 s3, s3, s7
	s_lshl_b32 s12, s14, 8
	s_load_b32 s24, s[2:3], 0x0
	s_waitcnt lgkmcnt(0)
	s_cmp_ge_i32 s12, s24
	s_cbranch_scc1 .LBB1079_2
; %bb.5:
	s_clause 0x1
	s_load_b128 s[20:23], s[0:1], 0x8
	s_load_b64 s[2:3], s[0:1], 0x20
	s_and_not1_b32 vcc_lo, exec_lo, s8
	s_cbranch_vccnz .LBB1079_7
; %bb.6:
	s_add_u32 s4, s4, s6
	s_addc_u32 s5, s5, s7
	s_load_b32 s5, s[4:5], 0x0
	s_branch .LBB1079_8
.LBB1079_7:
	s_mov_b32 s5, s30
.LBB1079_8:
	s_load_b128 s[16:19], s[0:1], 0x48
	v_and_b32_e32 v68, 15, v0
	v_lshrrev_b32_e32 v69, 5, v0
	v_and_b32_e32 v70, 31, v0
	v_and_b32_e32 v67, 1, v0
	v_bfe_u32 v66, v0, 4, 1
	v_lshlrev_b32_e32 v1, 3, v68
	s_mul_i32 s31, s15, 10
	s_mov_b32 s4, exec_lo
	s_delay_alu instid0(VALU_DEP_1)
	v_lshlrev_b32_e32 v65, 1, v1
	v_cmpx_gt_u32_e32 0xa0, v0
	s_cbranch_execz .LBB1079_10
; %bb.9:
	s_load_b64 s[6:7], s[0:1], 0x0
	v_lshl_or_b32 v5, v69, 1, v66
	s_waitcnt lgkmcnt(0)
	s_mul_hi_i32 s9, s5, s16
	s_mul_i32 s8, s5, s16
	v_lshlrev_b32_e32 v6, 10, v68
	s_lshl_b64 s[8:9], s[8:9], 1
	v_add_lshl_u32 v1, v5, s31, 7
	v_lshlrev_b32_e32 v5, 6, v5
	v_lshlrev_b32_e32 v7, 10, v67
	v_and_b32_e32 v6, 0x3800, v6
	s_delay_alu instid0(VALU_DEP_4) | instskip(NEXT) | instid1(VALU_DEP_2)
	v_ashrrev_i32_e32 v2, 31, v1
	v_or3_b32 v5, v6, v7, v5
	s_delay_alu instid0(VALU_DEP_2) | instskip(SKIP_2) | instid1(VALU_DEP_1)
	v_lshlrev_b64 v[1:2], 1, v[1:2]
	s_add_u32 s5, s6, s8
	s_addc_u32 s6, s7, s9
	v_add_co_u32 v1, vcc_lo, s5, v1
	s_delay_alu instid0(VALU_DEP_2) | instskip(NEXT) | instid1(VALU_DEP_2)
	v_add_co_ci_u32_e32 v2, vcc_lo, s6, v2, vcc_lo
	v_add_co_u32 v1, vcc_lo, v1, v65
	s_delay_alu instid0(VALU_DEP_2)
	v_add_co_ci_u32_e32 v2, vcc_lo, 0, v2, vcc_lo
	global_load_b128 v[1:4], v[1:2], off
	s_waitcnt vmcnt(0)
	ds_store_b128 v5, v[1:4]
.LBB1079_10:
	s_or_b32 exec_lo, exec_lo, s4
	v_and_b32_e32 v1, 0xef, v0
	s_waitcnt lgkmcnt(0)
	s_add_i32 s5, s24, 31
	s_clause 0x1
	s_load_b32 s4, s[0:1], 0x38
	s_load_b32 s33, s[0:1], 0x98
	s_ashr_i32 s6, s5, 31
	v_add_nc_u32_e32 v1, s12, v1
	s_lshr_b32 s6, s6, 27
	s_load_b32 s19, s[0:1], 0x1c
	s_add_i32 s5, s5, s6
	s_waitcnt lgkmcnt(0)
	v_ashrrev_i32_e32 v2, 31, v1
	v_or_b32_e32 v3, 16, v1
	s_ashr_i32 s13, s5, 5
	v_cmp_gt_i32_e32 vcc_lo, s24, v1
	s_add_i32 s13, s13, -1
	v_lshrrev_b32_e32 v2, 27, v2
	s_barrier
	buffer_gl0_inv
	s_mul_i32 s15, s15, s18
	v_add_nc_u32_e32 v4, v1, v2
	s_mul_i32 s4, s30, s4
	s_delay_alu instid0(SALU_CYCLE_1) | instskip(NEXT) | instid1(VALU_DEP_1)
	s_ashr_i32 s5, s4, 31
	v_ashrrev_i32_e32 v4, 5, v4
	v_add_nc_u32_e32 v2, v3, v2
	s_lshl_b64 s[4:5], s[4:5], 2
	s_delay_alu instid0(SALU_CYCLE_1) | instskip(NEXT) | instid1(VALU_DEP_2)
	s_add_u32 s16, s2, s4
	v_cndmask_b32_e32 v1, s13, v4, vcc_lo
	s_delay_alu instid0(VALU_DEP_2)
	v_ashrrev_i32_e32 v2, 5, v2
	v_cmp_gt_i32_e32 vcc_lo, s24, v3
	s_addc_u32 s25, s3, s5
	s_ashr_i32 s18, s15, 31
	s_add_u32 s2, s20, s15
	s_addc_u32 s3, s21, s18
	v_cndmask_b32_e32 v3, s13, v2, vcc_lo
	v_ashrrev_i32_e32 v2, 31, v1
	s_lshl_b32 s4, s14, 3
	s_delay_alu instid0(SALU_CYCLE_1) | instskip(NEXT) | instid1(VALU_DEP_2)
	s_ashr_i32 s5, s4, 31
	v_ashrrev_i32_e32 v4, 31, v3
	s_delay_alu instid0(VALU_DEP_2) | instskip(SKIP_1) | instid1(SALU_CYCLE_1)
	v_lshlrev_b64 v[1:2], 2, v[1:2]
	s_lshl_b64 s[4:5], s[4:5], 2
	s_add_u32 s4, s16, s4
	s_delay_alu instid0(VALU_DEP_2) | instskip(SKIP_1) | instid1(VALU_DEP_2)
	v_lshlrev_b64 v[3:4], 2, v[3:4]
	s_addc_u32 s5, s25, s5
	v_add_co_u32 v1, vcc_lo, s16, v1
	v_add_co_ci_u32_e32 v2, vcc_lo, s25, v2, vcc_lo
	s_delay_alu instid0(VALU_DEP_3) | instskip(NEXT) | instid1(VALU_DEP_4)
	v_add_co_u32 v3, vcc_lo, s16, v3
	v_add_co_ci_u32_e32 v4, vcc_lo, s25, v4, vcc_lo
	s_clause 0x1
	global_load_b32 v5, v[1:2], off
	global_load_b32 v6, v[3:4], off
	s_or_b32 s6, s12, 32
	s_delay_alu instid0(SALU_CYCLE_1) | instskip(SKIP_2) | instid1(SALU_CYCLE_1)
	s_ashr_i32 s7, s6, 5
	s_cmp_lt_i32 s6, s24
	s_cselect_b32 s6, s7, s13
	s_ashr_i32 s7, s6, 31
	s_delay_alu instid0(SALU_CYCLE_1) | instskip(NEXT) | instid1(SALU_CYCLE_1)
	s_lshl_b64 s[6:7], s[6:7], 2
	s_add_u32 s6, s16, s6
	s_addc_u32 s7, s25, s7
	s_or_b32 s8, s12, 64
	s_delay_alu instid0(SALU_CYCLE_1) | instskip(SKIP_2) | instid1(SALU_CYCLE_1)
	s_ashr_i32 s9, s8, 5
	s_cmp_lt_i32 s8, s24
	s_cselect_b32 s8, s9, s13
	s_ashr_i32 s9, s8, 31
	s_delay_alu instid0(SALU_CYCLE_1) | instskip(NEXT) | instid1(SALU_CYCLE_1)
	s_lshl_b64 s[8:9], s[8:9], 2
	s_add_u32 s8, s16, s8
	s_addc_u32 s9, s25, s9
	;; [unrolled: 10-line block ×5, first 2 shown]
	s_clause 0x5
	s_load_b32 s28, s[4:5], 0x0
	s_load_b32 s29, s[6:7], 0x0
	;; [unrolled: 1-line block ×6, first 2 shown]
	s_mov_b32 s4, 0
	s_delay_alu instid0(SALU_CYCLE_1)
	s_mov_b32 s5, s4
	s_mov_b32 s6, s4
	s_mov_b32 s7, s4
	s_mov_b32 s8, s4
	s_mov_b32 s9, s4
	s_mov_b32 s10, s4
	s_mov_b32 s11, s4
	s_delay_alu instid0(SALU_CYCLE_1)
	v_dual_mov_b32 v118, s11 :: v_dual_mov_b32 v117, s10
	v_dual_mov_b32 v116, s9 :: v_dual_mov_b32 v115, s8
	v_mov_b32_e32 v113, s6
	v_dual_mov_b32 v111, s4 :: v_dual_mov_b32 v114, s7
	v_mov_b32_e32 v112, s5
	s_waitcnt vmcnt(1)
	v_mad_i64_i32 v[1:2], null, v5, s17, s[2:3]
	v_lshlrev_b32_e32 v5, 4, v68
	s_waitcnt vmcnt(0)
	v_mad_i64_i32 v[3:4], null, v6, s17, s[2:3]
	s_or_b32 s2, s12, 0xc0
	s_delay_alu instid0(SALU_CYCLE_1) | instskip(NEXT) | instid1(VALU_DEP_3)
	s_ashr_i32 s3, s2, 5
	v_add_co_u32 v1, vcc_lo, v1, v5
	s_delay_alu instid0(VALU_DEP_4) | instskip(NEXT) | instid1(VALU_DEP_3)
	v_add_co_ci_u32_e32 v2, vcc_lo, 0, v2, vcc_lo
	v_add_co_u32 v3, vcc_lo, v3, v5
	s_delay_alu instid0(VALU_DEP_4)
	v_add_co_ci_u32_e32 v4, vcc_lo, 0, v4, vcc_lo
	s_clause 0xf
	global_load_b128 v[17:20], v[1:2], off
	global_load_b128 v[21:24], v[1:2], off offset:512
	global_load_b128 v[25:28], v[3:4], off offset:256
	;; [unrolled: 1-line block ×15, first 2 shown]
	s_cmp_lt_i32 s2, s24
	v_add_nc_u32_e32 v1, -10, v68
	s_cselect_b32 s2, s3, s13
	v_cmp_gt_u32_e32 vcc_lo, 10, v68
	s_ashr_i32 s3, s2, 31
	v_lshlrev_b32_e32 v2, 5, v68
	s_lshl_b64 s[2:3], s[2:3], 2
	s_delay_alu instid0(SALU_CYCLE_1)
	s_add_u32 s2, s16, s2
	s_addc_u32 s3, s25, s3
	s_or_b32 s20, s12, 0xe0
	v_cndmask_b32_e32 v1, v1, v68, vcc_lo
	s_ashr_i32 s21, s20, 5
	s_cmp_lt_i32 s20, s24
	s_cselect_b32 s20, s21, s13
	s_delay_alu instid0(VALU_DEP_1)
	v_lshlrev_b32_e32 v149, 6, v1
	s_ashr_i32 s21, s20, 31
	v_lshl_or_b32 v1, v69, 9, v2
	s_lshl_b64 s[4:5], s[20:21], 2
	ds_load_b128 v[119:122], v149
	ds_load_b128 v[123:126], v149 offset:1024
	s_add_u32 s4, s16, s4
	s_addc_u32 s5, s25, s5
	ds_load_b128 v[127:130], v149 offset:2048
	ds_load_b128 v[131:134], v149 offset:3072
	s_clause 0x1
	s_load_b32 s2, s[2:3], 0x0
	s_load_b32 s3, s[4:5], 0x0
	s_add_u32 s6, s22, s15
	s_addc_u32 s7, s23, s18
	v_add_co_u32 v135, s6, s6, v1
	s_delay_alu instid0(VALU_DEP_1) | instskip(SKIP_1) | instid1(VALU_DEP_1)
	v_add_co_ci_u32_e64 v136, null, s7, 0, s6
	s_waitcnt lgkmcnt(0)
	v_mad_i64_i32 v[1:2], null, s28, s17, v[135:136]
	v_mad_i64_i32 v[3:4], null, s29, s17, v[135:136]
	;; [unrolled: 1-line block ×6, first 2 shown]
	s_clause 0x9
	global_load_b128 v[49:52], v[1:2], off
	global_load_b128 v[53:56], v[1:2], off offset:16
	global_load_b128 v[41:44], v[3:4], off
	global_load_b128 v[45:48], v[3:4], off offset:16
	;; [unrolled: 2-line block ×5, first 2 shown]
	v_mad_i64_i32 v[145:146], null, s2, s17, v[135:136]
	v_mad_i64_i32 v[147:148], null, s3, s17, v[135:136]
	s_waitcnt vmcnt(24)
	v_wmma_f32_16x16x16_f16 v[135:142], v[17:24], v[119:126], v[111:118]
	s_waitcnt vmcnt(22)
	v_wmma_f32_16x16x16_f16 v[111:118], v[25:32], v[119:126], v[111:118]
	s_clause 0x3
	global_load_b128 v[17:20], v[143:144], off
	global_load_b128 v[21:24], v[143:144], off offset:16
	global_load_b128 v[25:28], v[145:146], off
	global_load_b128 v[29:32], v[145:146], off offset:16
	v_and_b32_e32 v119, 0xe0, v0
	s_waitcnt vmcnt(24)
	v_wmma_f32_16x16x16_f16 v[135:142], v[57:64], v[127:134], v[135:142]
	s_clause 0x1
	global_load_b128 v[57:60], v[147:148], off
	global_load_b128 v[61:64], v[147:148], off offset:16
	s_waitcnt vmcnt(24)
	v_wmma_f32_16x16x16_f16 v[111:118], v[71:78], v[127:134], v[111:118]
	ds_load_b128 v[71:74], v149 offset:4096
	ds_load_b128 v[75:78], v149 offset:5120
	v_add_nc_u32_e32 v128, s12, v119
	ds_load_b128 v[119:122], v149 offset:6144
	ds_load_b128 v[123:126], v149 offset:7168
	v_mbcnt_lo_u32_b32 v127, -1, 0
	s_waitcnt vmcnt(0) lgkmcnt(0)
	s_barrier
	v_or_b32_e32 v128, v128, v66
	buffer_gl0_inv
	v_xor_b32_e32 v129, 16, v127
	v_or_b32_e32 v130, 4, v128
	v_or_b32_e32 v131, 6, v128
	s_delay_alu instid0(VALU_DEP_3) | instskip(SKIP_4) | instid1(VALU_DEP_4)
	v_cmp_gt_i32_e32 vcc_lo, 32, v129
	v_or_b32_e32 v132, 8, v128
	v_or_b32_e32 v133, 10, v128
	v_cmp_gt_i32_e64 s3, s24, v130
	v_cmp_gt_i32_e64 s4, s24, v131
	;; [unrolled: 1-line block ×3, first 2 shown]
	v_wmma_f32_16x16x16_f16 v[135:142], v[79:86], v[71:78], v[135:142]
	v_wmma_f32_16x16x16_f16 v[111:118], v[87:94], v[71:78], v[111:118]
	v_or_b32_e32 v79, 12, v128
	v_or_b32_e32 v80, 14, v128
	v_cmp_gt_i32_e64 s6, s24, v133
	v_wmma_f32_16x16x16_f16 v[135:142], v[95:102], v[119:126], v[135:142]
	v_wmma_f32_16x16x16_f16 v[111:118], v[103:110], v[119:126], v[111:118]
	v_cndmask_b32_e32 v127, v127, v129, vcc_lo
	v_or_b32_e32 v129, 2, v128
	v_cmp_gt_i32_e32 vcc_lo, s24, v128
	s_delay_alu instid0(VALU_DEP_4) | instskip(SKIP_1) | instid1(VALU_DEP_4)
	v_dual_mul_f32 v87, s19, v136 :: v_dual_mul_f32 v94, s19, v113
	v_mul_f32_e32 v88, s19, v135
	v_cmp_gt_i32_e64 s2, s24, v129
	v_mul_f32_e32 v78, s19, v138
	v_mul_f32_e32 v86, s19, v137
	;; [unrolled: 1-line block ×3, first 2 shown]
	v_cndmask_b32_e32 v88, 0xff7fffff, v88, vcc_lo
	v_cndmask_b32_e64 v87, 0xff7fffff, v87, s2
	v_dual_mul_f32 v77, s19, v139 :: v_dual_mul_f32 v90, s19, v117
	v_cndmask_b32_e64 v86, 0xff7fffff, v86, s3
	v_cndmask_b32_e64 v78, 0xff7fffff, v78, s4
	s_delay_alu instid0(VALU_DEP_4)
	v_max3_f32 v87, v88, 0xff7fffff, v87
	v_or_b32_e32 v81, 16, v128
	v_or_b32_e32 v82, 18, v128
	v_dual_mul_f32 v74, s19, v142 :: v_dual_mul_f32 v75, s19, v141
	v_mul_f32_e32 v96, s19, v111
	v_cndmask_b32_e64 v77, 0xff7fffff, v77, s5
	v_cndmask_b32_e64 v76, 0xff7fffff, v76, s6
	v_max3_f32 v78, v87, v86, v78
	v_cmp_gt_i32_e64 s7, s24, v79
	v_cmp_gt_i32_e64 s8, s24, v80
	v_or_b32_e32 v83, 20, v128
	v_or_b32_e32 v84, 22, v128
	v_mul_f32_e32 v95, s19, v112
	v_cndmask_b32_e64 v75, 0xff7fffff, v75, s7
	v_cndmask_b32_e64 v74, 0xff7fffff, v74, s8
	v_max3_f32 v76, v78, v77, v76
	v_cmp_gt_i32_e64 s9, s24, v81
	v_cmp_gt_i32_e64 s10, s24, v82
	v_or_b32_e32 v85, 24, v128
	v_or_b32_e32 v71, 26, v128
	;; [unrolled: 8-line block ×3, first 2 shown]
	v_dual_mul_f32 v91, s19, v116 :: v_dual_mul_f32 v92, s19, v115
	v_cndmask_b32_e64 v75, 0xff7fffff, v94, s11
	v_cndmask_b32_e64 v76, 0xff7fffff, v93, s12
	v_max3_f32 v74, v74, v77, v78
	v_cmp_gt_i32_e64 s13, s24, v85
	v_cmp_gt_i32_e64 s15, s24, v71
	v_mul_f32_e32 v89, s19, v118
	v_cmp_gt_i32_e64 s16, s24, v72
	v_max3_f32 v74, v74, v75, v76
	v_cndmask_b32_e64 v77, 0xff7fffff, v92, s13
	v_cndmask_b32_e64 v71, 0xff7fffff, v91, s15
	v_cmp_gt_i32_e64 s17, s24, v73
	v_cndmask_b32_e64 v72, 0xff7fffff, v90, s16
	s_delay_alu instid0(VALU_DEP_3) | instskip(SKIP_1) | instid1(VALU_DEP_4)
	v_max3_f32 v71, v74, v77, v71
	v_lshlrev_b32_e32 v74, 2, v127
	v_cndmask_b32_e64 v73, 0xff7fffff, v89, s17
	s_delay_alu instid0(VALU_DEP_1) | instskip(SKIP_3) | instid1(VALU_DEP_1)
	v_max3_f32 v71, v71, v72, v73
	ds_bpermute_b32 v72, v74, v71
	s_waitcnt lgkmcnt(0)
	v_max_f32_e32 v72, v72, v72
	v_max_f32_e32 v71, v71, v72
	s_delay_alu instid0(VALU_DEP_1) | instskip(SKIP_4) | instid1(VALU_DEP_4)
	v_fma_f32 v72, s19, v135, -v71
	v_fma_f32 v73, s19, v136, -v71
	;; [unrolled: 1-line block ×5, first 2 shown]
	v_dual_mul_f32 v72, 0x3fb8aa3b, v72 :: v_dual_mul_f32 v73, 0x3fb8aa3b, v73
	s_delay_alu instid0(VALU_DEP_3) | instskip(SKIP_1) | instid1(VALU_DEP_3)
	v_dual_mul_f32 v75, 0x3fb8aa3b, v75 :: v_dual_mul_f32 v76, 0x3fb8aa3b, v76
	v_fma_f32 v80, s19, v141, -v71
	v_exp_f32_e32 v72, v72
	s_delay_alu instid0(VALU_DEP_3) | instskip(NEXT) | instid1(VALU_DEP_2)
	v_exp_f32_e32 v73, v73
	v_exp_f32_e32 v75, v75
	;; [unrolled: 1-line block ×3, first 2 shown]
	v_mul_f32_e32 v82, 0x3fb8aa3b, v80
	s_delay_alu instid0(VALU_DEP_1) | instskip(SKIP_4) | instid1(TRANS32_DEP_3)
	v_exp_f32_e32 v84, v82
	v_cndmask_b32_e32 v79, 0, v72, vcc_lo
	v_fma_f32 v72, s19, v140, -v71
	v_mul_f32_e32 v77, 0x3fb8aa3b, v77
	v_cndmask_b32_e64 v78, 0, v73, s2
	v_cndmask_b32_e64 v81, 0, v75, s3
	s_delay_alu instid0(VALU_DEP_4) | instskip(NEXT) | instid1(VALU_DEP_4)
	v_dual_add_f32 v73, 0, v79 :: v_dual_mul_f32 v72, 0x3fb8aa3b, v72
	v_exp_f32_e32 v77, v77
	v_cndmask_b32_e64 v80, 0, v76, s4
	s_delay_alu instid0(TRANS32_DEP_2) | instskip(NEXT) | instid1(VALU_DEP_3)
	v_cndmask_b32_e64 v85, 0, v84, s7
	v_add_f32_e32 v73, v73, v78
	v_exp_f32_e32 v72, v72
	s_mov_b32 s2, exec_lo
	s_delay_alu instid0(VALU_DEP_1) | instskip(SKIP_4) | instid1(VALU_DEP_2)
	v_add_f32_e32 v73, v73, v81
	s_waitcnt_depctr 0xfff
	v_cndmask_b32_e64 v83, 0, v77, s5
	v_add_f32_e32 v73, v73, v80
	v_cndmask_b32_e64 v82, 0, v72, s6
	v_add_f32_e32 v72, v73, v83
	s_delay_alu instid0(VALU_DEP_1) | instskip(NEXT) | instid1(VALU_DEP_1)
	v_add_f32_e32 v72, v72, v82
	v_add_f32_e32 v72, v72, v85
	v_fma_f32 v76, s19, v111, -v71
	v_fma_f32 v75, s19, v142, -v71
	;; [unrolled: 1-line block ×5, first 2 shown]
	s_delay_alu instid0(VALU_DEP_4) | instskip(NEXT) | instid1(VALU_DEP_3)
	v_dual_mul_f32 v76, 0x3fb8aa3b, v76 :: v_dual_mul_f32 v75, 0x3fb8aa3b, v75
	v_mul_f32_e32 v86, 0x3fb8aa3b, v86
	s_delay_alu instid0(VALU_DEP_2) | instskip(NEXT) | instid1(VALU_DEP_2)
	v_exp_f32_e32 v76, v76
	v_exp_f32_e32 v75, v75
	s_delay_alu instid0(VALU_DEP_1) | instskip(NEXT) | instid1(TRANS32_DEP_3)
	v_exp_f32_e32 v88, v86
	v_cndmask_b32_e64 v87, 0, v76, s9
	v_fma_f32 v76, s19, v116, -v71
	v_mul_f32_e32 v77, 0x3fb8aa3b, v77
	s_waitcnt_depctr 0xfff
	v_cndmask_b32_e64 v84, 0, v75, s8
	v_fma_f32 v75, s19, v115, -v71
	v_cndmask_b32_e64 v88, 0, v88, s12
	v_mul_f32_e32 v76, 0x3fb8aa3b, v76
	v_exp_f32_e32 v77, v77
	v_add_f32_e32 v72, v72, v84
	s_delay_alu instid0(VALU_DEP_2) | instskip(NEXT) | instid1(VALU_DEP_1)
	v_exp_f32_e32 v76, v76
	v_add_f32_e32 v72, v72, v87
	s_waitcnt_depctr 0xfff
	v_cndmask_b32_e64 v86, 0, v77, s10
	v_mul_f32_e32 v73, 0x3fb8aa3b, v73
	v_fma_f32 v77, s19, v117, -v71
	v_cndmask_b32_e64 v90, 0, v76, s15
	s_delay_alu instid0(VALU_DEP_4) | instskip(NEXT) | instid1(VALU_DEP_4)
	v_add_f32_e32 v72, v72, v86
	v_exp_f32_e32 v73, v73
	s_waitcnt_depctr 0xfff
	v_cndmask_b32_e64 v89, 0, v73, s11
	s_delay_alu instid0(VALU_DEP_1) | instskip(NEXT) | instid1(VALU_DEP_1)
	v_dual_mul_f32 v75, 0x3fb8aa3b, v75 :: v_dual_add_f32 v72, v72, v89
	v_exp_f32_e32 v75, v75
	v_mul_f32_e32 v73, 0x3fb8aa3b, v77
	v_fma_f32 v77, s19, v118, -v71
	s_delay_alu instid0(VALU_DEP_3) | instskip(NEXT) | instid1(VALU_DEP_3)
	v_add_f32_e32 v72, v72, v88
	v_exp_f32_e32 v73, v73
	s_waitcnt_depctr 0xfff
	v_cndmask_b32_e64 v91, 0, v75, s13
	s_delay_alu instid0(VALU_DEP_1) | instskip(NEXT) | instid1(VALU_DEP_1)
	v_dual_mul_f32 v75, 0x3fb8aa3b, v77 :: v_dual_add_f32 v72, v72, v91
	v_exp_f32_e32 v75, v75
	v_cndmask_b32_e64 v93, 0, v73, s16
	s_delay_alu instid0(VALU_DEP_2) | instskip(NEXT) | instid1(VALU_DEP_1)
	v_add_f32_e32 v72, v72, v90
	v_add_f32_e32 v72, v72, v93
	s_waitcnt_depctr 0xfff
	v_cndmask_b32_e64 v92, 0, v75, s17
	s_delay_alu instid0(VALU_DEP_1)
	v_add_f32_e32 v72, v72, v92
	ds_bpermute_b32 v73, v74, v72
	v_cmpx_gt_u32_e32 16, v70
	s_cbranch_execz .LBB1079_12
; %bb.11:
	v_mul_u32_u24_e32 v70, 0x44, v69
	s_waitcnt lgkmcnt(0)
	v_add_f32_e32 v72, v72, v73
	s_delay_alu instid0(VALU_DEP_2) | instskip(NEXT) | instid1(VALU_DEP_1)
	v_lshl_add_u32 v70, v68, 2, v70
	v_add_nc_u32_e32 v70, 0x4000, v70
	ds_store_2addr_b32 v70, v71, v72 offset1:136
.LBB1079_12:
	s_or_b32 exec_lo, exec_lo, s2
	v_lshlrev_b32_e32 v70, 2, v68
	s_load_b32 s34, s[0:1], 0x94
	s_waitcnt lgkmcnt(0)
	s_barrier
	buffer_gl0_inv
	v_add_nc_u32_e32 v98, 0x4000, v70
	v_cmp_eq_u32_e32 vcc_lo, 1, v69
	v_cmp_eq_u32_e64 s2, 2, v69
	v_cmp_eq_u32_e64 s3, 3, v69
	;; [unrolled: 1-line block ×3, first 2 shown]
	ds_load_2addr_b32 v[70:71], v98 offset1:17
	ds_load_2addr_b32 v[72:73], v98 offset0:34 offset1:51
	ds_load_2addr_b32 v[74:75], v98 offset0:68 offset1:85
	;; [unrolled: 1-line block ×3, first 2 shown]
	v_cmp_eq_u32_e64 s5, 5, v69
	v_cmp_eq_u32_e64 s6, 7, v69
	s_waitcnt lgkmcnt(3)
	v_max3_f32 v76, v70, 0xff7fffff, v71
	s_waitcnt lgkmcnt(2)
	s_delay_alu instid0(VALU_DEP_1) | instskip(SKIP_1) | instid1(VALU_DEP_1)
	v_max3_f32 v76, v76, v72, v73
	s_waitcnt lgkmcnt(1)
	v_max3_f32 v76, v76, v74, v75
	s_waitcnt lgkmcnt(0)
	s_delay_alu instid0(VALU_DEP_1) | instskip(NEXT) | instid1(VALU_DEP_1)
	v_max3_f32 v76, v76, v94, v95
	v_sub_f32_e32 v77, v71, v76
	ds_load_2addr_b32 v[96:97], v98 offset0:136 offset1:153
	v_sub_f32_e32 v74, v74, v76
	v_sub_f32_e32 v70, v70, v76
	;; [unrolled: 1-line block ×3, first 2 shown]
	v_dual_sub_f32 v72, v72, v76 :: v_dual_mul_f32 v77, 0x3fb8aa3b, v77
	s_delay_alu instid0(VALU_DEP_4) | instskip(NEXT) | instid1(VALU_DEP_4)
	v_mul_f32_e32 v103, 0x3fb8aa3b, v74
	v_mul_f32_e32 v99, 0x3fb8aa3b, v70
	ds_load_2addr_b32 v[70:71], v98 offset0:170 offset1:187
	v_dual_mul_f32 v101, 0x3fb8aa3b, v72 :: v_dual_mul_f32 v94, 0x3fb8aa3b, v94
	v_exp_f32_e32 v102, v77
	v_exp_f32_e32 v99, v99
	s_delay_alu instid0(VALU_DEP_1) | instskip(NEXT) | instid1(VALU_DEP_1)
	v_exp_f32_e32 v101, v101
	v_exp_f32_e32 v94, v94
	s_waitcnt lgkmcnt(1)
	s_delay_alu instid0(TRANS32_DEP_3)
	v_fma_f32 v77, v99, v96, 0
	v_sub_f32_e32 v100, v73, v76
	ds_load_2addr_b32 v[72:73], v98 offset0:204 offset1:221
	v_fmac_f32_e32 v77, v102, v97
	v_exp_f32_e32 v97, v103
	s_waitcnt lgkmcnt(1)
	s_delay_alu instid0(VALU_DEP_1)
	v_dual_fmac_f32 v77, v101, v70 :: v_dual_sub_f32 v96, v75, v76
	ds_load_2addr_b32 v[74:75], v98 offset0:238 offset1:255
	v_sub_f32_e32 v70, v95, v76
	s_waitcnt lgkmcnt(0)
	s_barrier
	v_mul_f32_e32 v96, 0x3fb8aa3b, v96
	buffer_gl0_inv
	v_exp_f32_e32 v95, v96
	v_mul_f32_e32 v100, 0x3fb8aa3b, v100
	s_delay_alu instid0(VALU_DEP_1) | instskip(SKIP_3) | instid1(VALU_DEP_2)
	v_exp_f32_e32 v100, v100
	s_waitcnt_depctr 0xfff
	v_dual_fmac_f32 v77, v100, v71 :: v_dual_mul_f32 v70, 0x3fb8aa3b, v70
	v_cndmask_b32_e32 v71, v99, v102, vcc_lo
	v_fmac_f32_e32 v77, v97, v72
	s_delay_alu instid0(VALU_DEP_3) | instskip(NEXT) | instid1(VALU_DEP_1)
	v_exp_f32_e32 v96, v70
	v_fmac_f32_e32 v77, v95, v73
	s_delay_alu instid0(VALU_DEP_1) | instskip(SKIP_2) | instid1(VALU_DEP_1)
	v_fmac_f32_e32 v77, v94, v74
	s_waitcnt_depctr 0xfff
	v_fmac_f32_e32 v77, v96, v75
	v_add_f32_e32 v74, 0x358637bd, v77
	s_delay_alu instid0(VALU_DEP_1) | instskip(SKIP_1) | instid1(VALU_DEP_2)
	v_div_scale_f32 v98, null, v74, v74, 1.0
	v_div_scale_f32 v99, vcc_lo, 1.0, v74, 1.0
	v_rcp_f32_e32 v103, v98
	s_waitcnt_depctr 0xfff
	v_fma_f32 v70, -v98, v103, 1.0
	s_delay_alu instid0(VALU_DEP_1) | instskip(SKIP_2) | instid1(VALU_DEP_2)
	v_fmac_f32_e32 v103, v70, v103
	v_cndmask_b32_e64 v70, v71, v101, s2
	v_cmp_eq_u32_e64 s2, 6, v69
	v_cndmask_b32_e64 v71, v70, v100, s3
	s_delay_alu instid0(VALU_DEP_4) | instskip(NEXT) | instid1(VALU_DEP_2)
	v_dual_mul_f32 v101, v99, v103 :: v_dual_lshlrev_b32 v70, 2, v66
	v_cndmask_b32_e64 v71, v71, v97, s4
	s_delay_alu instid0(VALU_DEP_2) | instskip(NEXT) | instid1(VALU_DEP_3)
	v_or_b32_e32 v72, 1, v70
	v_fma_f32 v100, -v98, v101, v99
	v_cmp_eq_u32_e64 s3, 1, v70
	v_cmp_eq_u32_e64 s4, 2, v70
	v_cndmask_b32_e64 v95, v71, v95, s5
	v_or_b32_e32 v71, 3, v70
	v_fmac_f32_e32 v101, v100, v103
	v_cmp_eq_u32_e64 s8, 1, v72
	v_cmp_eq_u32_e64 s11, 2, v72
	v_cndmask_b32_e64 v94, v95, v94, s2
	v_cmp_eq_u32_e64 s10, 1, v71
	v_fma_f32 v97, -v98, v101, v99
	v_cmp_eq_u32_e64 s15, 2, v71
	v_cmp_eq_u32_e64 s12, 3, v72
	v_cndmask_b32_e64 v94, v94, v96, s6
	v_cmp_eq_u32_e64 s17, 3, v71
	v_div_fmas_f32 v95, v97, v103, v101
	v_cmp_eq_u32_e32 vcc_lo, 3, v70
	v_cmp_eq_u32_e64 s2, 4, v70
	v_cmp_eq_u32_e64 s18, 4, v72
	;; [unrolled: 1-line block ×3, first 2 shown]
	v_div_fixup_f32 v95, v95, v74, 1.0
	v_lshlrev_b32_e32 v73, 6, v68
	v_cmp_eq_u32_e64 s5, 5, v70
	v_cmp_eq_u32_e64 s19, 5, v72
	;; [unrolled: 1-line block ×3, first 2 shown]
	v_mul_f32_e32 v102, v94, v95
	v_lshl_or_b32 v75, v69, 11, v73
	v_or_b32_e32 v69, 2, v70
	v_cmp_eq_u32_e64 s24, 6, v72
	v_cmp_eq_u32_e64 s26, 6, v71
	v_fma_mixlo_f16 v94, v102, v79, 0
	v_fma_mixlo_f16 v95, v102, v81, 0
	;; [unrolled: 1-line block ×8, first 2 shown]
	v_lshl_or_b32 v74, v66, 4, v75
	v_fma_mixhi_f16 v94, v102, v78, 0
	v_fma_mixhi_f16 v95, v102, v80, 0
	v_fma_mixhi_f16 v96, v102, v82, 0
	v_fma_mixhi_f16 v97, v102, v84, 0
	v_fma_mixhi_f16 v98, v102, v86, 0
	v_fma_mixhi_f16 v99, v102, v88, 0
	v_fma_mixhi_f16 v100, v102, v90, 0
	v_fma_mixhi_f16 v101, v102, v92, 0
	ds_store_b128 v74, v[94:97]
	ds_store_b128 v74, v[98:101] offset:1024
	s_waitcnt lgkmcnt(0)
	s_barrier
	buffer_gl0_inv
	ds_load_b128 v[78:81], v75
	ds_load_b128 v[82:85], v75 offset:16
	ds_load_b128 v[86:89], v75 offset:1024
	;; [unrolled: 1-line block ×3, first 2 shown]
	v_cmp_eq_u32_e64 s9, 1, v69
	v_cmp_eq_u32_e64 s13, 2, v69
	;; [unrolled: 1-line block ×11, first 2 shown]
	s_waitcnt lgkmcnt(3)
	v_lshrrev_b32_e32 v94, 16, v78
	s_waitcnt lgkmcnt(2)
	v_lshrrev_b32_e32 v98, 16, v82
	;; [unrolled: 2-line block ×4, first 2 shown]
	v_lshrrev_b32_e32 v95, 16, v79
	v_cndmask_b32_e64 v110, v78, v94, s3
	v_cndmask_b32_e64 v111, v82, v98, s3
	;; [unrolled: 1-line block ×8, first 2 shown]
	v_lshrrev_b32_e32 v99, 16, v83
	v_cndmask_b32_e64 v94, v86, v102, s3
	v_cndmask_b32_e64 v98, v90, v106, s3
	;; [unrolled: 1-line block ×15, first 2 shown]
	v_lshrrev_b32_e32 v103, 16, v87
	v_lshrrev_b32_e32 v107, 16, v91
	v_cndmask_b32_e64 v113, v115, v83, s13
	v_cndmask_b32_e64 v82, v94, v87, s4
	;; [unrolled: 1-line block ×7, first 2 shown]
	v_cndmask_b32_e32 v90, v102, v95, vcc_lo
	v_cndmask_b32_e32 v102, v106, v99, vcc_lo
	v_cndmask_b32_e64 v106, v110, v95, s12
	v_cndmask_b32_e64 v110, v111, v99, s12
	;; [unrolled: 1-line block ×4, first 2 shown]
	v_lshrrev_b32_e32 v96, 16, v80
	v_lshrrev_b32_e32 v100, 16, v84
	v_cndmask_b32_e64 v111, v112, v95, s16
	v_cndmask_b32_e64 v112, v113, v99, s16
	v_cndmask_b32_e32 v82, v82, v103, vcc_lo
	v_cndmask_b32_e32 v83, v83, v107, vcc_lo
	v_cndmask_b32_e64 v94, v94, v103, s12
	v_cndmask_b32_e64 v90, v90, v80, s2
	v_cndmask_b32_e64 v95, v102, v84, s2
	v_cndmask_b32_e64 v99, v106, v80, s18
	v_cndmask_b32_e64 v102, v110, v84, s18
	v_cndmask_b32_e64 v78, v78, v80, s21
	v_cndmask_b32_e64 v79, v79, v84, s21
	v_lshrrev_b32_e32 v104, 16, v88
	v_cndmask_b32_e64 v106, v111, v80, s20
	v_cndmask_b32_e64 v110, v112, v84, s20
	;; [unrolled: 1-line block ×11, first 2 shown]
	v_lshrrev_b32_e32 v97, 16, v81
	v_lshrrev_b32_e32 v101, 16, v85
	v_cndmask_b32_e64 v99, v106, v96, s22
	v_cndmask_b32_e64 v102, v110, v100, s22
	;; [unrolled: 1-line block ×7, first 2 shown]
	v_lshrrev_b32_e32 v105, 16, v89
	v_cndmask_b32_e64 v80, v80, v104, s5
	v_cndmask_b32_e64 v84, v84, v81, s6
	;; [unrolled: 1-line block ×16, first 2 shown]
	v_perm_b32 v81, v79, v78, 0x5040100
	v_perm_b32 v79, v95, v85, 0x5040100
	v_cndmask_b32_e64 v78, v119, v91, s13
	v_cndmask_b32_e64 v85, v117, v91, s11
	;; [unrolled: 1-line block ×3, first 2 shown]
	v_perm_b32 v80, v94, v90, 0x5040100
	v_cndmask_b32_e64 v90, v98, v103, s16
	v_cndmask_b32_e64 v86, v86, v103, s17
	v_cndmask_b32_e64 v87, v87, v107, s17
	v_cndmask_b32_e64 v78, v78, v107, s16
	v_cndmask_b32_e64 v85, v85, v107, s12
	v_lshrrev_b32_e32 v108, 16, v92
	v_cndmask_b32_e64 v90, v90, v88, s20
	v_cndmask_b32_e64 v86, v86, v88, s21
	;; [unrolled: 1-line block ×11, first 2 shown]
	v_lshrrev_b32_e32 v109, 16, v93
	v_cndmask_b32_e64 v82, v82, v93, s6
	v_cndmask_b32_e64 v88, v88, v89, s25
	;; [unrolled: 1-line block ×12, first 2 shown]
	v_perm_b32 v78, v84, v83, 0x5040100
	v_perm_b32 v85, v87, v86, 0x5040100
	;; [unrolled: 1-line block ×5, first 2 shown]
	s_mul_i32 s7, s33, 10
	s_mov_b32 s2, exec_lo
	ds_store_b128 v74, v[78:81]
	ds_store_b128 v74, v[82:85] offset:1024
	v_cmpx_gt_u32_e32 10, v0
	s_cbranch_execz .LBB1079_14
; %bb.13:
	s_mul_i32 s3, s7, s30
	s_load_b128 s[8:11], s[0:1], 0x58
	v_add3_u32 v68, s3, s31, v68
	s_delay_alu instid0(VALU_DEP_1) | instskip(NEXT) | instid1(VALU_DEP_1)
	v_mad_u64_u32 v[78:79], null, v68, s34, s[14:15]
	v_ashrrev_i32_e32 v79, 31, v78
	s_delay_alu instid0(VALU_DEP_1) | instskip(SKIP_1) | instid1(VALU_DEP_1)
	v_lshlrev_b64 v[78:79], 2, v[78:79]
	s_waitcnt lgkmcnt(0)
	v_add_co_u32 v80, vcc_lo, s10, v78
	s_delay_alu instid0(VALU_DEP_2)
	v_add_co_ci_u32_e32 v81, vcc_lo, s11, v79, vcc_lo
	v_add_co_u32 v78, vcc_lo, s8, v78
	v_add_co_ci_u32_e32 v79, vcc_lo, s9, v79, vcc_lo
	global_store_b32 v[80:81], v76, off
	global_store_b32 v[78:79], v77, off
.LBB1079_14:
	s_or_b32 exec_lo, exec_lo, s2
	s_waitcnt lgkmcnt(0)
	s_waitcnt_vscnt null, 0x0
	s_barrier
	buffer_gl0_inv
	ds_load_b128 v[84:87], v73
	ds_load_b128 v[88:91], v73 offset:16
	ds_load_b128 v[96:99], v73 offset:2064
	;; [unrolled: 1-line block ×5, first 2 shown]
	v_cmp_eq_u32_e32 vcc_lo, 1, v70
	v_mov_b32_e32 v76, 0
	ds_load_b128 v[112:115], v73 offset:6160
	ds_load_b128 v[108:111], v73 offset:6144
	;; [unrolled: 1-line block ×4, first 2 shown]
	v_cmp_eq_u32_e64 s3, 1, v69
	v_cmp_eq_u32_e64 s2, 1, v72
	;; [unrolled: 1-line block ×3, first 2 shown]
	v_mov_b32_e32 v77, v76
	v_mov_b32_e32 v78, v76
	;; [unrolled: 1-line block ×7, first 2 shown]
	v_cmp_eq_u32_e64 s5, 3, v72
	v_cmp_eq_u32_e64 s6, 7, v72
	s_waitcnt lgkmcnt(8)
	s_delay_alu instid0(VALU_DEP_3)
	v_wmma_f32_16x16x16_f16 v[76:83], v[49:56], v[84:91], v[76:83]
	ds_load_b128 v[53:56], v73 offset:10256
	ds_load_b128 v[49:52], v73 offset:10240
	s_waitcnt lgkmcnt(8)
	v_wmma_f32_16x16x16_f16 v[76:83], v[41:48], v[92:99], v[76:83]
	ds_load_b128 v[45:48], v73 offset:12304
	ds_load_b128 v[41:44], v73 offset:12288
	s_waitcnt lgkmcnt(8)
	;; [unrolled: 4-line block ×3, first 2 shown]
	s_barrier
	buffer_gl0_inv
	v_wmma_f32_16x16x16_f16 v[76:83], v[1:8], v[108:115], v[76:83]
	s_delay_alu instid0(VALU_DEP_1) | instskip(NEXT) | instid1(VALU_DEP_1)
	v_wmma_f32_16x16x16_f16 v[76:83], v[9:16], v[116:123], v[76:83]
	v_wmma_f32_16x16x16_f16 v[76:83], v[17:24], v[49:56], v[76:83]
	s_delay_alu instid0(VALU_DEP_1) | instskip(NEXT) | instid1(VALU_DEP_1)
	v_wmma_f32_16x16x16_f16 v[76:83], v[25:32], v[41:48], v[76:83]
	v_wmma_f32_16x16x16_f16 v[76:83], v[57:64], v[33:40], v[76:83]
	s_delay_alu instid0(VALU_DEP_1) | instskip(NEXT) | instid1(VALU_DEP_2)
	v_cvt_f16_f32_e32 v1, v76
	v_cvt_f16_f32_e32 v2, v77
	s_delay_alu instid0(VALU_DEP_3) | instskip(NEXT) | instid1(VALU_DEP_4)
	v_cvt_f16_f32_e32 v3, v78
	v_cvt_f16_f32_e32 v4, v79
	v_cvt_f16_f32_e32 v5, v80
	v_cvt_f16_f32_e32 v6, v81
	v_cvt_f16_f32_e32 v7, v82
	v_cvt_f16_f32_e32 v8, v83
	v_pack_b32_f16 v1, v1, v2
	v_pack_b32_f16 v2, v3, v4
	;; [unrolled: 1-line block ×3, first 2 shown]
	s_delay_alu instid0(VALU_DEP_4)
	v_pack_b32_f16 v4, v7, v8
	ds_store_b128 v74, v[1:4]
	s_waitcnt lgkmcnt(0)
	s_barrier
	buffer_gl0_inv
	ds_load_b128 v[1:4], v75
	ds_load_b128 v[5:8], v75 offset:16
	s_waitcnt lgkmcnt(1)
	v_lshrrev_b32_e32 v9, 16, v1
	s_waitcnt lgkmcnt(0)
	v_lshrrev_b32_e32 v13, 16, v5
	v_lshrrev_b32_e32 v10, 16, v2
	;; [unrolled: 1-line block ×4, first 2 shown]
	v_cndmask_b32_e32 v17, v1, v9, vcc_lo
	v_cndmask_b32_e32 v18, v5, v13, vcc_lo
	v_cndmask_b32_e64 v21, v1, v9, s3
	v_cmp_eq_u32_e32 vcc_lo, 1, v71
	v_cndmask_b32_e64 v22, v5, v13, s3
	v_cmp_eq_u32_e64 s3, 2, v70
	v_cndmask_b32_e64 v19, v1, v9, s2
	v_cndmask_b32_e64 v20, v5, v13, s2
	v_cndmask_b32_e32 v1, v1, v9, vcc_lo
	v_cmp_eq_u32_e64 s2, 2, v71
	v_cndmask_b32_e32 v5, v5, v13, vcc_lo
	v_cndmask_b32_e64 v9, v17, v2, s3
	v_cmp_eq_u32_e32 vcc_lo, 3, v70
	v_cndmask_b32_e64 v13, v18, v6, s3
	v_cmp_eq_u32_e64 s3, 2, v69
	v_cndmask_b32_e64 v17, v19, v2, s4
	v_cndmask_b32_e64 v18, v20, v6, s4
	v_cmp_eq_u32_e64 s4, 3, v69
	v_cndmask_b32_e64 v1, v1, v2, s2
	v_cndmask_b32_e64 v19, v21, v2, s3
	;; [unrolled: 1-line block ×4, first 2 shown]
	v_cndmask_b32_e32 v5, v9, v10, vcc_lo
	v_cndmask_b32_e32 v6, v13, v14, vcc_lo
	v_cmp_eq_u32_e32 vcc_lo, 3, v71
	v_cndmask_b32_e64 v9, v17, v10, s5
	v_cndmask_b32_e64 v13, v18, v14, s5
	;; [unrolled: 1-line block ×3, first 2 shown]
	v_cmp_eq_u32_e64 s3, 4, v70
	v_cndmask_b32_e32 v1, v1, v10, vcc_lo
	v_cndmask_b32_e32 v2, v2, v14, vcc_lo
	v_cmp_eq_u32_e32 vcc_lo, 4, v72
	v_lshrrev_b32_e32 v15, 16, v7
	v_lshrrev_b32_e32 v16, 16, v8
	v_cndmask_b32_e64 v17, v19, v10, s4
	v_cmp_eq_u32_e64 s2, 4, v71
	v_cndmask_b32_e64 v5, v5, v3, s3
	v_cndmask_b32_e64 v6, v6, v7, s3
	v_cndmask_b32_e32 v9, v9, v3, vcc_lo
	v_cmp_eq_u32_e64 s3, 5, v72
	v_cndmask_b32_e32 v10, v13, v7, vcc_lo
	v_cmp_eq_u32_e32 vcc_lo, 4, v69
	v_cmp_eq_u32_e64 s4, 5, v70
	v_cndmask_b32_e64 v2, v2, v7, s2
	v_cndmask_b32_e64 v9, v9, v11, s3
	;; [unrolled: 1-line block ×3, first 2 shown]
	v_cndmask_b32_e32 v13, v17, v3, vcc_lo
	v_cmp_eq_u32_e64 s3, 5, v69
	v_cndmask_b32_e32 v14, v18, v7, vcc_lo
	v_cndmask_b32_e64 v1, v1, v3, s2
	v_cmp_eq_u32_e32 vcc_lo, 5, v71
	v_lshrrev_b32_e32 v12, 16, v4
	v_cndmask_b32_e64 v13, v13, v11, s3
	v_cndmask_b32_e64 v3, v14, v15, s3
	v_cmp_eq_u32_e64 s3, 6, v71
	v_cndmask_b32_e32 v1, v1, v11, vcc_lo
	v_cndmask_b32_e64 v5, v5, v11, s4
	v_cmp_eq_u32_e64 s5, 6, v70
	v_cndmask_b32_e64 v6, v6, v15, s4
	v_cmp_eq_u32_e64 s4, 6, v72
	v_cmp_eq_u32_e64 s2, 6, v69
	v_cndmask_b32_e64 v1, v1, v4, s3
	v_cndmask_b32_e32 v2, v2, v15, vcc_lo
	v_cmp_eq_u32_e32 vcc_lo, 7, v71
	v_cndmask_b32_e64 v5, v5, v4, s5
	v_cndmask_b32_e64 v9, v9, v4, s4
	;; [unrolled: 1-line block ×3, first 2 shown]
	v_cmp_eq_u32_e64 s5, 7, v70
	v_cndmask_b32_e32 v1, v1, v12, vcc_lo
	v_cndmask_b32_e64 v7, v13, v4, s2
	v_cndmask_b32_e64 v3, v3, v8, s2
	;; [unrolled: 1-line block ×3, first 2 shown]
	v_cmp_eq_u32_e64 s2, 7, v69
	v_cndmask_b32_e64 v4, v10, v8, s4
	v_cndmask_b32_e64 v5, v5, v12, s5
	;; [unrolled: 1-line block ×3, first 2 shown]
	v_cndmask_b32_e32 v2, v2, v16, vcc_lo
	v_cndmask_b32_e64 v7, v7, v12, s2
	v_cndmask_b32_e64 v3, v3, v16, s2
	;; [unrolled: 1-line block ×4, first 2 shown]
	v_perm_b32 v4, v2, v1, 0x5040100
	s_mov_b32 s2, exec_lo
	v_perm_b32 v3, v3, v7, 0x5040100
	v_perm_b32 v2, v8, v9, 0x5040100
	;; [unrolled: 1-line block ×3, first 2 shown]
	ds_store_b128 v74, v[1:4]
	s_waitcnt lgkmcnt(0)
	s_barrier
	buffer_gl0_inv
	v_cmpx_gt_u32_e32 32, v0
	s_cbranch_execz .LBB1079_2
; %bb.15:
	s_load_b64 s[0:1], s[0:1], 0x68
	s_lshl_b32 s4, s34, 7
	v_or_b32_e32 v2, s31, v66
	s_mul_i32 s2, s4, s30
	v_lshlrev_b32_e32 v0, 10, v0
	s_mul_i32 s2, s2, s7
	v_lshlrev_b32_e32 v1, 4, v67
	s_ashr_i32 s3, s2, 31
	v_mul_lo_u32 v20, v2, s4
	s_lshl_b64 s[2:3], s[2:3], 1
	v_lshlrev_b32_e32 v3, 6, v66
	v_and_b32_e32 v0, 0x3800, v0
	s_delay_alu instid0(VALU_DEP_1) | instskip(NEXT) | instid1(VALU_DEP_4)
	v_or3_b32 v16, v0, v1, v3
	v_ashrrev_i32_e32 v21, 31, v20
	ds_load_b128 v[0:3], v16
	ds_load_b128 v[4:7], v16 offset:128
	s_waitcnt lgkmcnt(0)
	s_add_u32 s2, s0, s2
	s_addc_u32 s3, s1, s3
	s_lshl_b32 s0, s14, 7
	ds_load_b128 v[8:11], v16 offset:256
	ds_load_b128 v[12:15], v16 offset:384
	;; [unrolled: 1-line block ×3, first 2 shown]
	s_ashr_i32 s1, s0, 31
	s_delay_alu instid0(SALU_CYCLE_1) | instskip(NEXT) | instid1(SALU_CYCLE_1)
	s_lshl_b64 s[0:1], s[0:1], 1
	s_add_u32 s0, s2, s0
	s_addc_u32 s1, s3, s1
	s_lshl_b32 s2, s34, 8
	v_add_co_u32 v30, s0, s0, v65
	v_add_nc_u32_e32 v22, s2, v20
	v_lshlrev_b64 v[20:21], 1, v[20:21]
	v_add_co_ci_u32_e64 v31, null, s1, 0, s0
	s_delay_alu instid0(VALU_DEP_3) | instskip(SKIP_1) | instid1(VALU_DEP_4)
	v_add_nc_u32_e32 v24, s2, v22
	v_ashrrev_i32_e32 v23, 31, v22
	v_add_co_u32 v20, vcc_lo, v30, v20
	s_delay_alu instid0(VALU_DEP_4) | instskip(NEXT) | instid1(VALU_DEP_4)
	v_add_co_ci_u32_e32 v21, vcc_lo, v31, v21, vcc_lo
	v_add_nc_u32_e32 v26, s2, v24
	v_ashrrev_i32_e32 v25, 31, v24
	v_lshlrev_b64 v[22:23], 1, v[22:23]
	s_delay_alu instid0(VALU_DEP_3) | instskip(SKIP_1) | instid1(VALU_DEP_4)
	v_add_nc_u32_e32 v28, s2, v26
	v_ashrrev_i32_e32 v27, 31, v26
	v_lshlrev_b64 v[24:25], 1, v[24:25]
	s_delay_alu instid0(VALU_DEP_4) | instskip(NEXT) | instid1(VALU_DEP_4)
	v_add_co_u32 v22, vcc_lo, v30, v22
	v_ashrrev_i32_e32 v29, 31, v28
	s_delay_alu instid0(VALU_DEP_4) | instskip(SKIP_2) | instid1(VALU_DEP_4)
	v_lshlrev_b64 v[26:27], 1, v[26:27]
	v_add_co_ci_u32_e32 v23, vcc_lo, v31, v23, vcc_lo
	v_add_co_u32 v24, vcc_lo, v30, v24
	v_lshlrev_b64 v[28:29], 1, v[28:29]
	v_add_co_ci_u32_e32 v25, vcc_lo, v31, v25, vcc_lo
	v_add_co_u32 v26, vcc_lo, v30, v26
	v_add_co_ci_u32_e32 v27, vcc_lo, v31, v27, vcc_lo
	s_delay_alu instid0(VALU_DEP_4)
	v_add_co_u32 v28, vcc_lo, v30, v28
	v_add_co_ci_u32_e32 v29, vcc_lo, v31, v29, vcc_lo
	s_clause 0x1
	global_store_b128 v[20:21], v[0:3], off
	global_store_b128 v[22:23], v[4:7], off
	s_waitcnt lgkmcnt(2)
	global_store_b128 v[24:25], v[8:11], off
	s_waitcnt lgkmcnt(1)
	;; [unrolled: 2-line block ×3, first 2 shown]
	global_store_b128 v[28:29], v[16:19], off
	s_nop 0
	s_sendmsg sendmsg(MSG_DEALLOC_VGPRS)
	s_endpgm
	.section	.rodata,"a",@progbits
	.p2align	6, 0x0
	.amdhsa_kernel _Z39paged_attention_ll4mi_QKV_mfma16_kernelIDF16_hLN4vllm18Fp8KVCacheDataTypeE1EDF16_Li32ELi128ELi256ELb0ELi10EL8MFMAType1EEvPKT_PKT0_S8_ifPKiSA_SA_iPKfiiiPfSD_PS3_PT2_iSC_SC_
		.amdhsa_group_segment_fixed_size 17472
		.amdhsa_private_segment_fixed_size 0
		.amdhsa_kernarg_size 400
		.amdhsa_user_sgpr_count 13
		.amdhsa_user_sgpr_dispatch_ptr 0
		.amdhsa_user_sgpr_queue_ptr 0
		.amdhsa_user_sgpr_kernarg_segment_ptr 1
		.amdhsa_user_sgpr_dispatch_id 0
		.amdhsa_user_sgpr_private_segment_size 0
		.amdhsa_wavefront_size32 1
		.amdhsa_uses_dynamic_stack 0
		.amdhsa_enable_private_segment 0
		.amdhsa_system_sgpr_workgroup_id_x 1
		.amdhsa_system_sgpr_workgroup_id_y 1
		.amdhsa_system_sgpr_workgroup_id_z 1
		.amdhsa_system_sgpr_workgroup_info 0
		.amdhsa_system_vgpr_workitem_id 0
		.amdhsa_next_free_vgpr 150
		.amdhsa_next_free_sgpr 37
		.amdhsa_reserve_vcc 1
		.amdhsa_float_round_mode_32 0
		.amdhsa_float_round_mode_16_64 0
		.amdhsa_float_denorm_mode_32 3
		.amdhsa_float_denorm_mode_16_64 3
		.amdhsa_dx10_clamp 1
		.amdhsa_ieee_mode 1
		.amdhsa_fp16_overflow 0
		.amdhsa_workgroup_processor_mode 1
		.amdhsa_memory_ordered 1
		.amdhsa_forward_progress 0
		.amdhsa_shared_vgpr_count 0
		.amdhsa_exception_fp_ieee_invalid_op 0
		.amdhsa_exception_fp_denorm_src 0
		.amdhsa_exception_fp_ieee_div_zero 0
		.amdhsa_exception_fp_ieee_overflow 0
		.amdhsa_exception_fp_ieee_underflow 0
		.amdhsa_exception_fp_ieee_inexact 0
		.amdhsa_exception_int_div_zero 0
	.end_amdhsa_kernel
	.section	.text._Z39paged_attention_ll4mi_QKV_mfma16_kernelIDF16_hLN4vllm18Fp8KVCacheDataTypeE1EDF16_Li32ELi128ELi256ELb0ELi10EL8MFMAType1EEvPKT_PKT0_S8_ifPKiSA_SA_iPKfiiiPfSD_PS3_PT2_iSC_SC_,"axG",@progbits,_Z39paged_attention_ll4mi_QKV_mfma16_kernelIDF16_hLN4vllm18Fp8KVCacheDataTypeE1EDF16_Li32ELi128ELi256ELb0ELi10EL8MFMAType1EEvPKT_PKT0_S8_ifPKiSA_SA_iPKfiiiPfSD_PS3_PT2_iSC_SC_,comdat
.Lfunc_end1079:
	.size	_Z39paged_attention_ll4mi_QKV_mfma16_kernelIDF16_hLN4vllm18Fp8KVCacheDataTypeE1EDF16_Li32ELi128ELi256ELb0ELi10EL8MFMAType1EEvPKT_PKT0_S8_ifPKiSA_SA_iPKfiiiPfSD_PS3_PT2_iSC_SC_, .Lfunc_end1079-_Z39paged_attention_ll4mi_QKV_mfma16_kernelIDF16_hLN4vllm18Fp8KVCacheDataTypeE1EDF16_Li32ELi128ELi256ELb0ELi10EL8MFMAType1EEvPKT_PKT0_S8_ifPKiSA_SA_iPKfiiiPfSD_PS3_PT2_iSC_SC_
                                        ; -- End function
	.section	.AMDGPU.csdata,"",@progbits
; Kernel info:
; codeLenInByte = 6708
; NumSgprs: 39
; NumVgprs: 150
; ScratchSize: 0
; MemoryBound: 0
; FloatMode: 240
; IeeeMode: 1
; LDSByteSize: 17472 bytes/workgroup (compile time only)
; SGPRBlocks: 4
; VGPRBlocks: 18
; NumSGPRsForWavesPerEU: 39
; NumVGPRsForWavesPerEU: 150
; Occupancy: 9
; WaveLimiterHint : 1
; COMPUTE_PGM_RSRC2:SCRATCH_EN: 0
; COMPUTE_PGM_RSRC2:USER_SGPR: 13
; COMPUTE_PGM_RSRC2:TRAP_HANDLER: 0
; COMPUTE_PGM_RSRC2:TGID_X_EN: 1
; COMPUTE_PGM_RSRC2:TGID_Y_EN: 1
; COMPUTE_PGM_RSRC2:TGID_Z_EN: 1
; COMPUTE_PGM_RSRC2:TIDIG_COMP_CNT: 0
	.section	.text._Z39paged_attention_ll4mi_QKV_mfma16_kernelIDF16_hLN4vllm18Fp8KVCacheDataTypeE1EDF16_Li32ELi128ELi256ELb0ELi11EL8MFMAType1EEvPKT_PKT0_S8_ifPKiSA_SA_iPKfiiiPfSD_PS3_PT2_iSC_SC_,"axG",@progbits,_Z39paged_attention_ll4mi_QKV_mfma16_kernelIDF16_hLN4vllm18Fp8KVCacheDataTypeE1EDF16_Li32ELi128ELi256ELb0ELi11EL8MFMAType1EEvPKT_PKT0_S8_ifPKiSA_SA_iPKfiiiPfSD_PS3_PT2_iSC_SC_,comdat
	.protected	_Z39paged_attention_ll4mi_QKV_mfma16_kernelIDF16_hLN4vllm18Fp8KVCacheDataTypeE1EDF16_Li32ELi128ELi256ELb0ELi11EL8MFMAType1EEvPKT_PKT0_S8_ifPKiSA_SA_iPKfiiiPfSD_PS3_PT2_iSC_SC_ ; -- Begin function _Z39paged_attention_ll4mi_QKV_mfma16_kernelIDF16_hLN4vllm18Fp8KVCacheDataTypeE1EDF16_Li32ELi128ELi256ELb0ELi11EL8MFMAType1EEvPKT_PKT0_S8_ifPKiSA_SA_iPKfiiiPfSD_PS3_PT2_iSC_SC_
	.globl	_Z39paged_attention_ll4mi_QKV_mfma16_kernelIDF16_hLN4vllm18Fp8KVCacheDataTypeE1EDF16_Li32ELi128ELi256ELb0ELi11EL8MFMAType1EEvPKT_PKT0_S8_ifPKiSA_SA_iPKfiiiPfSD_PS3_PT2_iSC_SC_
	.p2align	8
	.type	_Z39paged_attention_ll4mi_QKV_mfma16_kernelIDF16_hLN4vllm18Fp8KVCacheDataTypeE1EDF16_Li32ELi128ELi256ELb0ELi11EL8MFMAType1EEvPKT_PKT0_S8_ifPKiSA_SA_iPKfiiiPfSD_PS3_PT2_iSC_SC_,@function
_Z39paged_attention_ll4mi_QKV_mfma16_kernelIDF16_hLN4vllm18Fp8KVCacheDataTypeE1EDF16_Li32ELi128ELi256ELb0ELi11EL8MFMAType1EEvPKT_PKT0_S8_ifPKiSA_SA_iPKfiiiPfSD_PS3_PT2_iSC_SC_: ; @_Z39paged_attention_ll4mi_QKV_mfma16_kernelIDF16_hLN4vllm18Fp8KVCacheDataTypeE1EDF16_Li32ELi128ELi256ELb0ELi11EL8MFMAType1EEvPKT_PKT0_S8_ifPKiSA_SA_iPKfiiiPfSD_PS3_PT2_iSC_SC_
; %bb.0:
	s_load_b64 s[4:5], s[0:1], 0x30
	s_mov_b32 s34, s13
	s_waitcnt lgkmcnt(0)
	s_cmp_lg_u64 s[4:5], 0
	s_cselect_b32 s8, -1, 0
	s_ashr_i32 s35, s13, 31
	s_cmp_eq_u64 s[4:5], 0
	s_cbranch_scc1 .LBB1080_3
; %bb.1:
	s_lshl_b64 s[2:3], s[34:35], 2
	s_delay_alu instid0(SALU_CYCLE_1) | instskip(SKIP_4) | instid1(SALU_CYCLE_1)
	s_add_u32 s2, s4, s2
	s_addc_u32 s3, s5, s3
	s_load_b64 s[2:3], s[2:3], 0x0
	s_waitcnt lgkmcnt(0)
	s_sub_i32 s2, s3, s2
	s_cmp_eq_u32 s2, 1
	s_cselect_b32 s2, -1, 0
	s_delay_alu instid0(SALU_CYCLE_1)
	s_and_not1_b32 vcc_lo, exec_lo, s2
	s_cbranch_vccz .LBB1080_4
.LBB1080_2:
	s_nop 0
	s_sendmsg sendmsg(MSG_DEALLOC_VGPRS)
	s_endpgm
.LBB1080_3:
.LBB1080_4:
	s_load_b64 s[2:3], s[0:1], 0x28
	s_lshl_b64 s[6:7], s[34:35], 2
	s_waitcnt lgkmcnt(0)
	s_add_u32 s2, s2, s6
	s_addc_u32 s3, s3, s7
	s_lshl_b32 s12, s14, 8
	s_load_b32 s24, s[2:3], 0x0
	s_waitcnt lgkmcnt(0)
	s_cmp_ge_i32 s12, s24
	s_cbranch_scc1 .LBB1080_2
; %bb.5:
	s_clause 0x1
	s_load_b128 s[20:23], s[0:1], 0x8
	s_load_b64 s[2:3], s[0:1], 0x20
	s_and_not1_b32 vcc_lo, exec_lo, s8
	s_cbranch_vccnz .LBB1080_7
; %bb.6:
	s_add_u32 s4, s4, s6
	s_addc_u32 s5, s5, s7
	s_load_b32 s5, s[4:5], 0x0
	s_branch .LBB1080_8
.LBB1080_7:
	s_mov_b32 s5, s34
.LBB1080_8:
	s_load_b128 s[16:19], s[0:1], 0x48
	v_and_b32_e32 v68, 15, v0
	v_lshrrev_b32_e32 v69, 5, v0
	v_bfe_u32 v66, v0, 4, 1
	v_and_b32_e32 v70, 31, v0
	v_and_b32_e32 v67, 1, v0
	v_lshlrev_b32_e32 v2, 3, v68
	s_mul_i32 s31, s15, 11
	v_lshl_or_b32 v1, v69, 1, v66
	s_mov_b32 s4, exec_lo
	s_delay_alu instid0(VALU_DEP_2) | instskip(NEXT) | instid1(VALU_DEP_2)
	v_lshlrev_b32_e32 v65, 1, v2
	v_cmpx_gt_u32_e32 11, v1
	s_cbranch_execz .LBB1080_10
; %bb.9:
	s_load_b64 s[6:7], s[0:1], 0x0
	v_add_lshl_u32 v2, v1, s31, 7
	s_waitcnt lgkmcnt(0)
	s_mul_hi_i32 s9, s5, s16
	s_mul_i32 s8, s5, s16
	v_lshlrev_b32_e32 v6, 10, v68
	s_lshl_b64 s[8:9], s[8:9], 1
	v_ashrrev_i32_e32 v3, 31, v2
	v_lshlrev_b32_e32 v1, 6, v1
	v_lshlrev_b32_e32 v7, 10, v67
	v_and_b32_e32 v6, 0x3800, v6
	s_delay_alu instid0(VALU_DEP_4) | instskip(NEXT) | instid1(VALU_DEP_2)
	v_lshlrev_b64 v[2:3], 1, v[2:3]
	v_or3_b32 v1, v6, v7, v1
	s_add_u32 s5, s6, s8
	s_addc_u32 s6, s7, s9
	s_delay_alu instid0(VALU_DEP_2) | instskip(NEXT) | instid1(VALU_DEP_3)
	v_add_co_u32 v2, vcc_lo, s5, v2
	v_add_co_ci_u32_e32 v3, vcc_lo, s6, v3, vcc_lo
	s_delay_alu instid0(VALU_DEP_2) | instskip(NEXT) | instid1(VALU_DEP_2)
	v_add_co_u32 v2, vcc_lo, v2, v65
	v_add_co_ci_u32_e32 v3, vcc_lo, 0, v3, vcc_lo
	global_load_b128 v[2:5], v[2:3], off
	s_waitcnt vmcnt(0)
	ds_store_b128 v1, v[2:5]
.LBB1080_10:
	s_or_b32 exec_lo, exec_lo, s4
	v_and_b32_e32 v1, 0xef, v0
	s_waitcnt lgkmcnt(0)
	s_add_i32 s5, s24, 31
	s_clause 0x1
	s_load_b32 s4, s[0:1], 0x38
	s_load_b32 s33, s[0:1], 0x98
	s_ashr_i32 s6, s5, 31
	v_add_nc_u32_e32 v1, s12, v1
	s_lshr_b32 s6, s6, 27
	s_load_b32 s19, s[0:1], 0x1c
	s_add_i32 s5, s5, s6
	s_waitcnt lgkmcnt(0)
	v_ashrrev_i32_e32 v2, 31, v1
	v_or_b32_e32 v3, 16, v1
	s_ashr_i32 s13, s5, 5
	v_cmp_gt_i32_e32 vcc_lo, s24, v1
	s_add_i32 s13, s13, -1
	v_lshrrev_b32_e32 v2, 27, v2
	s_barrier
	buffer_gl0_inv
	s_mul_i32 s15, s15, s18
	v_add_nc_u32_e32 v4, v1, v2
	s_mul_i32 s4, s34, s4
	s_delay_alu instid0(SALU_CYCLE_1) | instskip(NEXT) | instid1(VALU_DEP_1)
	s_ashr_i32 s5, s4, 31
	v_ashrrev_i32_e32 v4, 5, v4
	v_add_nc_u32_e32 v2, v3, v2
	s_lshl_b64 s[4:5], s[4:5], 2
	s_delay_alu instid0(SALU_CYCLE_1) | instskip(NEXT) | instid1(VALU_DEP_2)
	s_add_u32 s16, s2, s4
	v_cndmask_b32_e32 v1, s13, v4, vcc_lo
	s_delay_alu instid0(VALU_DEP_2)
	v_ashrrev_i32_e32 v2, 5, v2
	v_cmp_gt_i32_e32 vcc_lo, s24, v3
	s_addc_u32 s25, s3, s5
	s_ashr_i32 s18, s15, 31
	s_add_u32 s2, s20, s15
	s_addc_u32 s3, s21, s18
	v_cndmask_b32_e32 v3, s13, v2, vcc_lo
	v_ashrrev_i32_e32 v2, 31, v1
	s_lshl_b32 s4, s14, 3
	s_delay_alu instid0(SALU_CYCLE_1) | instskip(NEXT) | instid1(VALU_DEP_2)
	s_ashr_i32 s5, s4, 31
	v_ashrrev_i32_e32 v4, 31, v3
	s_delay_alu instid0(VALU_DEP_2) | instskip(SKIP_1) | instid1(SALU_CYCLE_1)
	v_lshlrev_b64 v[1:2], 2, v[1:2]
	s_lshl_b64 s[4:5], s[4:5], 2
	s_add_u32 s4, s16, s4
	s_delay_alu instid0(VALU_DEP_2) | instskip(SKIP_1) | instid1(VALU_DEP_2)
	v_lshlrev_b64 v[3:4], 2, v[3:4]
	s_addc_u32 s5, s25, s5
	v_add_co_u32 v1, vcc_lo, s16, v1
	v_add_co_ci_u32_e32 v2, vcc_lo, s25, v2, vcc_lo
	s_delay_alu instid0(VALU_DEP_3) | instskip(NEXT) | instid1(VALU_DEP_4)
	v_add_co_u32 v3, vcc_lo, s16, v3
	v_add_co_ci_u32_e32 v4, vcc_lo, s25, v4, vcc_lo
	s_clause 0x1
	global_load_b32 v5, v[1:2], off
	global_load_b32 v6, v[3:4], off
	s_or_b32 s6, s12, 32
	s_delay_alu instid0(SALU_CYCLE_1) | instskip(SKIP_2) | instid1(SALU_CYCLE_1)
	s_ashr_i32 s7, s6, 5
	s_cmp_lt_i32 s6, s24
	s_cselect_b32 s6, s7, s13
	s_ashr_i32 s7, s6, 31
	s_delay_alu instid0(SALU_CYCLE_1) | instskip(NEXT) | instid1(SALU_CYCLE_1)
	s_lshl_b64 s[6:7], s[6:7], 2
	s_add_u32 s6, s16, s6
	s_addc_u32 s7, s25, s7
	s_or_b32 s8, s12, 64
	s_delay_alu instid0(SALU_CYCLE_1) | instskip(SKIP_2) | instid1(SALU_CYCLE_1)
	s_ashr_i32 s9, s8, 5
	s_cmp_lt_i32 s8, s24
	s_cselect_b32 s8, s9, s13
	s_ashr_i32 s9, s8, 31
	s_delay_alu instid0(SALU_CYCLE_1) | instskip(NEXT) | instid1(SALU_CYCLE_1)
	s_lshl_b64 s[8:9], s[8:9], 2
	s_add_u32 s8, s16, s8
	s_addc_u32 s9, s25, s9
	s_or_b32 s10, s12, 0x60
	s_delay_alu instid0(SALU_CYCLE_1) | instskip(SKIP_2) | instid1(SALU_CYCLE_1)
	s_ashr_i32 s11, s10, 5
	s_cmp_lt_i32 s10, s24
	s_cselect_b32 s10, s11, s13
	s_ashr_i32 s11, s10, 31
	s_delay_alu instid0(SALU_CYCLE_1) | instskip(NEXT) | instid1(SALU_CYCLE_1)
	s_lshl_b64 s[10:11], s[10:11], 2
	s_add_u32 s10, s16, s10
	s_addc_u32 s11, s25, s11
	s_or_b32 s20, s12, 0x80
	s_delay_alu instid0(SALU_CYCLE_1) | instskip(SKIP_2) | instid1(SALU_CYCLE_1)
	s_ashr_i32 s21, s20, 5
	s_cmp_lt_i32 s20, s24
	s_cselect_b32 s20, s21, s13
	s_ashr_i32 s21, s20, 31
	s_delay_alu instid0(SALU_CYCLE_1) | instskip(NEXT) | instid1(SALU_CYCLE_1)
	s_lshl_b64 s[20:21], s[20:21], 2
	s_add_u32 s20, s16, s20
	s_addc_u32 s21, s25, s21
	s_or_b32 s26, s12, 0xa0
	s_delay_alu instid0(SALU_CYCLE_1) | instskip(SKIP_2) | instid1(SALU_CYCLE_1)
	s_ashr_i32 s27, s26, 5
	s_cmp_lt_i32 s26, s24
	s_cselect_b32 s26, s27, s13
	s_ashr_i32 s27, s26, 31
	s_delay_alu instid0(SALU_CYCLE_1) | instskip(NEXT) | instid1(SALU_CYCLE_1)
	s_lshl_b64 s[26:27], s[26:27], 2
	s_add_u32 s26, s16, s26
	s_addc_u32 s27, s25, s27
	s_clause 0x5
	s_load_b32 s28, s[4:5], 0x0
	s_load_b32 s29, s[6:7], 0x0
	;; [unrolled: 1-line block ×6, first 2 shown]
	s_mov_b32 s4, 0
	s_delay_alu instid0(SALU_CYCLE_1)
	s_mov_b32 s5, s4
	s_mov_b32 s6, s4
	;; [unrolled: 1-line block ×7, first 2 shown]
	s_delay_alu instid0(SALU_CYCLE_1)
	v_dual_mov_b32 v118, s11 :: v_dual_mov_b32 v117, s10
	v_dual_mov_b32 v116, s9 :: v_dual_mov_b32 v115, s8
	v_mov_b32_e32 v113, s6
	v_dual_mov_b32 v111, s4 :: v_dual_mov_b32 v114, s7
	v_mov_b32_e32 v112, s5
	s_waitcnt vmcnt(1)
	v_mad_i64_i32 v[1:2], null, v5, s17, s[2:3]
	v_lshlrev_b32_e32 v5, 4, v68
	s_waitcnt vmcnt(0)
	v_mad_i64_i32 v[3:4], null, v6, s17, s[2:3]
	s_or_b32 s2, s12, 0xc0
	s_delay_alu instid0(SALU_CYCLE_1) | instskip(NEXT) | instid1(VALU_DEP_3)
	s_ashr_i32 s3, s2, 5
	v_add_co_u32 v1, vcc_lo, v1, v5
	s_delay_alu instid0(VALU_DEP_4) | instskip(NEXT) | instid1(VALU_DEP_3)
	v_add_co_ci_u32_e32 v2, vcc_lo, 0, v2, vcc_lo
	v_add_co_u32 v3, vcc_lo, v3, v5
	s_delay_alu instid0(VALU_DEP_4)
	v_add_co_ci_u32_e32 v4, vcc_lo, 0, v4, vcc_lo
	s_clause 0xf
	global_load_b128 v[17:20], v[1:2], off
	global_load_b128 v[21:24], v[1:2], off offset:512
	global_load_b128 v[25:28], v[3:4], off offset:256
	;; [unrolled: 1-line block ×15, first 2 shown]
	s_cmp_lt_i32 s2, s24
	v_add_nc_u32_e32 v1, -11, v68
	s_cselect_b32 s2, s3, s13
	v_cmp_gt_u32_e32 vcc_lo, 11, v68
	s_ashr_i32 s3, s2, 31
	v_lshlrev_b32_e32 v2, 5, v68
	s_lshl_b64 s[2:3], s[2:3], 2
	s_delay_alu instid0(SALU_CYCLE_1)
	s_add_u32 s2, s16, s2
	s_addc_u32 s3, s25, s3
	s_or_b32 s20, s12, 0xe0
	v_cndmask_b32_e32 v1, v1, v68, vcc_lo
	s_ashr_i32 s21, s20, 5
	s_cmp_lt_i32 s20, s24
	s_cselect_b32 s20, s21, s13
	s_delay_alu instid0(VALU_DEP_1)
	v_lshlrev_b32_e32 v149, 6, v1
	s_ashr_i32 s21, s20, 31
	v_lshl_or_b32 v1, v69, 9, v2
	s_lshl_b64 s[4:5], s[20:21], 2
	ds_load_b128 v[119:122], v149
	ds_load_b128 v[123:126], v149 offset:1024
	s_add_u32 s4, s16, s4
	s_addc_u32 s5, s25, s5
	ds_load_b128 v[127:130], v149 offset:2048
	ds_load_b128 v[131:134], v149 offset:3072
	s_clause 0x1
	s_load_b32 s2, s[2:3], 0x0
	s_load_b32 s3, s[4:5], 0x0
	s_add_u32 s6, s22, s15
	s_addc_u32 s7, s23, s18
	v_add_co_u32 v135, s6, s6, v1
	s_delay_alu instid0(VALU_DEP_1) | instskip(SKIP_1) | instid1(VALU_DEP_1)
	v_add_co_ci_u32_e64 v136, null, s7, 0, s6
	s_waitcnt lgkmcnt(0)
	v_mad_i64_i32 v[1:2], null, s28, s17, v[135:136]
	v_mad_i64_i32 v[3:4], null, s29, s17, v[135:136]
	;; [unrolled: 1-line block ×6, first 2 shown]
	s_clause 0x9
	global_load_b128 v[49:52], v[1:2], off
	global_load_b128 v[53:56], v[1:2], off offset:16
	global_load_b128 v[41:44], v[3:4], off
	global_load_b128 v[45:48], v[3:4], off offset:16
	;; [unrolled: 2-line block ×5, first 2 shown]
	v_mad_i64_i32 v[145:146], null, s2, s17, v[135:136]
	v_mad_i64_i32 v[147:148], null, s3, s17, v[135:136]
	s_waitcnt vmcnt(24)
	v_wmma_f32_16x16x16_f16 v[135:142], v[17:24], v[119:126], v[111:118]
	s_waitcnt vmcnt(22)
	v_wmma_f32_16x16x16_f16 v[111:118], v[25:32], v[119:126], v[111:118]
	s_clause 0x3
	global_load_b128 v[17:20], v[143:144], off
	global_load_b128 v[21:24], v[143:144], off offset:16
	global_load_b128 v[25:28], v[145:146], off
	global_load_b128 v[29:32], v[145:146], off offset:16
	v_and_b32_e32 v119, 0xe0, v0
	s_waitcnt vmcnt(24)
	v_wmma_f32_16x16x16_f16 v[135:142], v[57:64], v[127:134], v[135:142]
	s_clause 0x1
	global_load_b128 v[57:60], v[147:148], off
	global_load_b128 v[61:64], v[147:148], off offset:16
	s_waitcnt vmcnt(24)
	v_wmma_f32_16x16x16_f16 v[111:118], v[71:78], v[127:134], v[111:118]
	ds_load_b128 v[71:74], v149 offset:4096
	ds_load_b128 v[75:78], v149 offset:5120
	v_add_nc_u32_e32 v128, s12, v119
	ds_load_b128 v[119:122], v149 offset:6144
	ds_load_b128 v[123:126], v149 offset:7168
	v_mbcnt_lo_u32_b32 v127, -1, 0
	s_waitcnt vmcnt(0) lgkmcnt(0)
	s_barrier
	v_or_b32_e32 v128, v128, v66
	buffer_gl0_inv
	v_xor_b32_e32 v129, 16, v127
	v_or_b32_e32 v130, 4, v128
	v_or_b32_e32 v131, 6, v128
	s_delay_alu instid0(VALU_DEP_3) | instskip(SKIP_4) | instid1(VALU_DEP_4)
	v_cmp_gt_i32_e32 vcc_lo, 32, v129
	v_or_b32_e32 v132, 8, v128
	v_or_b32_e32 v133, 10, v128
	v_cmp_gt_i32_e64 s3, s24, v130
	v_cmp_gt_i32_e64 s4, s24, v131
	;; [unrolled: 1-line block ×3, first 2 shown]
	v_wmma_f32_16x16x16_f16 v[135:142], v[79:86], v[71:78], v[135:142]
	v_wmma_f32_16x16x16_f16 v[111:118], v[87:94], v[71:78], v[111:118]
	v_or_b32_e32 v79, 12, v128
	v_or_b32_e32 v80, 14, v128
	v_cmp_gt_i32_e64 s6, s24, v133
	v_wmma_f32_16x16x16_f16 v[135:142], v[95:102], v[119:126], v[135:142]
	v_wmma_f32_16x16x16_f16 v[111:118], v[103:110], v[119:126], v[111:118]
	v_cndmask_b32_e32 v127, v127, v129, vcc_lo
	v_or_b32_e32 v129, 2, v128
	v_cmp_gt_i32_e32 vcc_lo, s24, v128
	s_delay_alu instid0(VALU_DEP_4) | instskip(SKIP_1) | instid1(VALU_DEP_4)
	v_dual_mul_f32 v87, s19, v136 :: v_dual_mul_f32 v94, s19, v113
	v_mul_f32_e32 v88, s19, v135
	v_cmp_gt_i32_e64 s2, s24, v129
	v_mul_f32_e32 v78, s19, v138
	v_mul_f32_e32 v86, s19, v137
	v_mul_f32_e32 v76, s19, v140
	v_cndmask_b32_e32 v88, 0xff7fffff, v88, vcc_lo
	v_cndmask_b32_e64 v87, 0xff7fffff, v87, s2
	v_dual_mul_f32 v77, s19, v139 :: v_dual_mul_f32 v90, s19, v117
	v_cndmask_b32_e64 v86, 0xff7fffff, v86, s3
	v_cndmask_b32_e64 v78, 0xff7fffff, v78, s4
	s_delay_alu instid0(VALU_DEP_4)
	v_max3_f32 v87, v88, 0xff7fffff, v87
	v_or_b32_e32 v81, 16, v128
	v_or_b32_e32 v82, 18, v128
	v_dual_mul_f32 v74, s19, v142 :: v_dual_mul_f32 v75, s19, v141
	v_mul_f32_e32 v96, s19, v111
	v_cndmask_b32_e64 v77, 0xff7fffff, v77, s5
	v_cndmask_b32_e64 v76, 0xff7fffff, v76, s6
	v_max3_f32 v78, v87, v86, v78
	v_cmp_gt_i32_e64 s7, s24, v79
	v_cmp_gt_i32_e64 s8, s24, v80
	v_or_b32_e32 v83, 20, v128
	v_or_b32_e32 v84, 22, v128
	v_mul_f32_e32 v95, s19, v112
	v_cndmask_b32_e64 v75, 0xff7fffff, v75, s7
	v_cndmask_b32_e64 v74, 0xff7fffff, v74, s8
	v_max3_f32 v76, v78, v77, v76
	v_cmp_gt_i32_e64 s9, s24, v81
	v_cmp_gt_i32_e64 s10, s24, v82
	v_or_b32_e32 v85, 24, v128
	v_or_b32_e32 v71, 26, v128
	;; [unrolled: 8-line block ×3, first 2 shown]
	v_dual_mul_f32 v91, s19, v116 :: v_dual_mul_f32 v92, s19, v115
	v_cndmask_b32_e64 v75, 0xff7fffff, v94, s11
	v_cndmask_b32_e64 v76, 0xff7fffff, v93, s12
	v_max3_f32 v74, v74, v77, v78
	v_cmp_gt_i32_e64 s13, s24, v85
	v_cmp_gt_i32_e64 s15, s24, v71
	v_mul_f32_e32 v89, s19, v118
	v_cmp_gt_i32_e64 s16, s24, v72
	v_max3_f32 v74, v74, v75, v76
	v_cndmask_b32_e64 v77, 0xff7fffff, v92, s13
	v_cndmask_b32_e64 v71, 0xff7fffff, v91, s15
	v_cmp_gt_i32_e64 s17, s24, v73
	v_cndmask_b32_e64 v72, 0xff7fffff, v90, s16
	s_delay_alu instid0(VALU_DEP_3) | instskip(SKIP_1) | instid1(VALU_DEP_4)
	v_max3_f32 v71, v74, v77, v71
	v_lshlrev_b32_e32 v74, 2, v127
	v_cndmask_b32_e64 v73, 0xff7fffff, v89, s17
	s_delay_alu instid0(VALU_DEP_1) | instskip(SKIP_3) | instid1(VALU_DEP_1)
	v_max3_f32 v71, v71, v72, v73
	ds_bpermute_b32 v72, v74, v71
	s_waitcnt lgkmcnt(0)
	v_max_f32_e32 v72, v72, v72
	v_max_f32_e32 v71, v71, v72
	s_delay_alu instid0(VALU_DEP_1) | instskip(SKIP_4) | instid1(VALU_DEP_4)
	v_fma_f32 v72, s19, v135, -v71
	v_fma_f32 v73, s19, v136, -v71
	;; [unrolled: 1-line block ×5, first 2 shown]
	v_dual_mul_f32 v72, 0x3fb8aa3b, v72 :: v_dual_mul_f32 v73, 0x3fb8aa3b, v73
	s_delay_alu instid0(VALU_DEP_3) | instskip(SKIP_1) | instid1(VALU_DEP_3)
	v_dual_mul_f32 v75, 0x3fb8aa3b, v75 :: v_dual_mul_f32 v76, 0x3fb8aa3b, v76
	v_fma_f32 v80, s19, v141, -v71
	v_exp_f32_e32 v72, v72
	s_delay_alu instid0(VALU_DEP_3) | instskip(NEXT) | instid1(VALU_DEP_2)
	v_exp_f32_e32 v73, v73
	v_exp_f32_e32 v75, v75
	;; [unrolled: 1-line block ×3, first 2 shown]
	v_mul_f32_e32 v82, 0x3fb8aa3b, v80
	s_delay_alu instid0(VALU_DEP_1) | instskip(SKIP_4) | instid1(TRANS32_DEP_3)
	v_exp_f32_e32 v84, v82
	v_cndmask_b32_e32 v79, 0, v72, vcc_lo
	v_fma_f32 v72, s19, v140, -v71
	v_mul_f32_e32 v77, 0x3fb8aa3b, v77
	v_cndmask_b32_e64 v78, 0, v73, s2
	v_cndmask_b32_e64 v81, 0, v75, s3
	s_delay_alu instid0(VALU_DEP_4) | instskip(NEXT) | instid1(VALU_DEP_4)
	v_dual_add_f32 v73, 0, v79 :: v_dual_mul_f32 v72, 0x3fb8aa3b, v72
	v_exp_f32_e32 v77, v77
	v_cndmask_b32_e64 v80, 0, v76, s4
	s_delay_alu instid0(TRANS32_DEP_2) | instskip(NEXT) | instid1(VALU_DEP_3)
	v_cndmask_b32_e64 v85, 0, v84, s7
	v_add_f32_e32 v73, v73, v78
	v_exp_f32_e32 v72, v72
	v_cmp_gt_u32_e64 s2, 16, v70
	s_delay_alu instid0(VALU_DEP_2) | instskip(NEXT) | instid1(TRANS32_DEP_2)
	v_add_f32_e32 v73, v73, v81
	v_cndmask_b32_e64 v83, 0, v77, s5
	s_delay_alu instid0(VALU_DEP_2) | instskip(SKIP_3) | instid1(VALU_DEP_1)
	v_add_f32_e32 v73, v73, v80
	s_waitcnt_depctr 0xfff
	v_cndmask_b32_e64 v82, 0, v72, s6
	v_add_f32_e32 v72, v73, v83
	v_add_f32_e32 v72, v72, v82
	s_delay_alu instid0(VALU_DEP_1)
	v_add_f32_e32 v72, v72, v85
	v_fma_f32 v76, s19, v111, -v71
	v_fma_f32 v75, s19, v142, -v71
	;; [unrolled: 1-line block ×5, first 2 shown]
	s_delay_alu instid0(VALU_DEP_4) | instskip(NEXT) | instid1(VALU_DEP_3)
	v_dual_mul_f32 v76, 0x3fb8aa3b, v76 :: v_dual_mul_f32 v75, 0x3fb8aa3b, v75
	v_mul_f32_e32 v86, 0x3fb8aa3b, v86
	s_delay_alu instid0(VALU_DEP_2) | instskip(NEXT) | instid1(VALU_DEP_2)
	v_exp_f32_e32 v76, v76
	v_exp_f32_e32 v75, v75
	s_delay_alu instid0(VALU_DEP_1) | instskip(NEXT) | instid1(TRANS32_DEP_3)
	v_exp_f32_e32 v88, v86
	v_cndmask_b32_e64 v87, 0, v76, s9
	v_fma_f32 v76, s19, v116, -v71
	v_mul_f32_e32 v77, 0x3fb8aa3b, v77
	s_waitcnt_depctr 0xfff
	v_cndmask_b32_e64 v84, 0, v75, s8
	v_fma_f32 v75, s19, v115, -v71
	v_cndmask_b32_e64 v88, 0, v88, s12
	v_mul_f32_e32 v76, 0x3fb8aa3b, v76
	v_exp_f32_e32 v77, v77
	v_add_f32_e32 v72, v72, v84
	s_delay_alu instid0(VALU_DEP_2) | instskip(NEXT) | instid1(VALU_DEP_1)
	v_exp_f32_e32 v76, v76
	v_add_f32_e32 v72, v72, v87
	s_waitcnt_depctr 0xfff
	v_cndmask_b32_e64 v86, 0, v77, s10
	v_mul_f32_e32 v73, 0x3fb8aa3b, v73
	v_fma_f32 v77, s19, v117, -v71
	v_cndmask_b32_e64 v90, 0, v76, s15
	s_delay_alu instid0(VALU_DEP_4) | instskip(NEXT) | instid1(VALU_DEP_4)
	v_add_f32_e32 v72, v72, v86
	v_exp_f32_e32 v73, v73
	s_waitcnt_depctr 0xfff
	v_cndmask_b32_e64 v89, 0, v73, s11
	s_delay_alu instid0(VALU_DEP_1) | instskip(NEXT) | instid1(VALU_DEP_1)
	v_dual_mul_f32 v75, 0x3fb8aa3b, v75 :: v_dual_add_f32 v72, v72, v89
	v_exp_f32_e32 v75, v75
	v_mul_f32_e32 v73, 0x3fb8aa3b, v77
	v_fma_f32 v77, s19, v118, -v71
	s_delay_alu instid0(VALU_DEP_3) | instskip(NEXT) | instid1(VALU_DEP_3)
	v_add_f32_e32 v72, v72, v88
	v_exp_f32_e32 v73, v73
	s_waitcnt_depctr 0xfff
	v_cndmask_b32_e64 v91, 0, v75, s13
	s_delay_alu instid0(VALU_DEP_1) | instskip(NEXT) | instid1(VALU_DEP_1)
	v_dual_mul_f32 v75, 0x3fb8aa3b, v77 :: v_dual_add_f32 v72, v72, v91
	v_exp_f32_e32 v75, v75
	v_cndmask_b32_e64 v93, 0, v73, s16
	s_delay_alu instid0(VALU_DEP_2) | instskip(NEXT) | instid1(VALU_DEP_1)
	v_add_f32_e32 v72, v72, v90
	v_add_f32_e32 v72, v72, v93
	s_waitcnt_depctr 0xfff
	v_cndmask_b32_e64 v92, 0, v75, s17
	s_delay_alu instid0(VALU_DEP_1)
	v_add_f32_e32 v72, v72, v92
	ds_bpermute_b32 v73, v74, v72
	s_and_saveexec_b32 s3, s2
	s_cbranch_execz .LBB1080_12
; %bb.11:
	v_mul_u32_u24_e32 v70, 0x44, v69
	s_waitcnt lgkmcnt(0)
	v_add_f32_e32 v72, v72, v73
	s_delay_alu instid0(VALU_DEP_2) | instskip(NEXT) | instid1(VALU_DEP_1)
	v_lshl_add_u32 v70, v68, 2, v70
	v_add_nc_u32_e32 v70, 0x4000, v70
	ds_store_2addr_b32 v70, v71, v72 offset1:136
.LBB1080_12:
	s_or_b32 exec_lo, exec_lo, s3
	v_lshlrev_b32_e32 v70, 2, v68
	s_load_b32 s35, s[0:1], 0x94
	s_waitcnt lgkmcnt(0)
	s_barrier
	buffer_gl0_inv
	v_add_nc_u32_e32 v98, 0x4000, v70
	v_cmp_eq_u32_e32 vcc_lo, 1, v69
	v_cmp_eq_u32_e64 s3, 2, v69
	v_cmp_eq_u32_e64 s4, 3, v69
	;; [unrolled: 1-line block ×3, first 2 shown]
	ds_load_2addr_b32 v[70:71], v98 offset1:17
	ds_load_2addr_b32 v[72:73], v98 offset0:34 offset1:51
	ds_load_2addr_b32 v[74:75], v98 offset0:68 offset1:85
	ds_load_2addr_b32 v[94:95], v98 offset0:102 offset1:119
	v_cmp_eq_u32_e64 s6, 5, v69
	v_cmp_eq_u32_e64 s7, 7, v69
	s_waitcnt lgkmcnt(3)
	v_max3_f32 v76, v70, 0xff7fffff, v71
	s_waitcnt lgkmcnt(2)
	s_delay_alu instid0(VALU_DEP_1) | instskip(SKIP_1) | instid1(VALU_DEP_1)
	v_max3_f32 v76, v76, v72, v73
	s_waitcnt lgkmcnt(1)
	v_max3_f32 v76, v76, v74, v75
	s_waitcnt lgkmcnt(0)
	s_delay_alu instid0(VALU_DEP_1) | instskip(NEXT) | instid1(VALU_DEP_1)
	v_max3_f32 v76, v76, v94, v95
	v_sub_f32_e32 v77, v71, v76
	ds_load_2addr_b32 v[96:97], v98 offset0:136 offset1:153
	v_sub_f32_e32 v74, v74, v76
	v_sub_f32_e32 v70, v70, v76
	;; [unrolled: 1-line block ×3, first 2 shown]
	v_dual_sub_f32 v72, v72, v76 :: v_dual_mul_f32 v77, 0x3fb8aa3b, v77
	s_delay_alu instid0(VALU_DEP_4) | instskip(NEXT) | instid1(VALU_DEP_4)
	v_mul_f32_e32 v103, 0x3fb8aa3b, v74
	v_mul_f32_e32 v99, 0x3fb8aa3b, v70
	ds_load_2addr_b32 v[70:71], v98 offset0:170 offset1:187
	v_dual_mul_f32 v101, 0x3fb8aa3b, v72 :: v_dual_mul_f32 v94, 0x3fb8aa3b, v94
	v_exp_f32_e32 v102, v77
	v_exp_f32_e32 v99, v99
	s_delay_alu instid0(VALU_DEP_1) | instskip(NEXT) | instid1(VALU_DEP_1)
	v_exp_f32_e32 v101, v101
	v_exp_f32_e32 v94, v94
	s_waitcnt lgkmcnt(1)
	s_delay_alu instid0(TRANS32_DEP_3)
	v_fma_f32 v77, v99, v96, 0
	v_sub_f32_e32 v100, v73, v76
	ds_load_2addr_b32 v[72:73], v98 offset0:204 offset1:221
	v_fmac_f32_e32 v77, v102, v97
	v_exp_f32_e32 v97, v103
	s_waitcnt lgkmcnt(1)
	s_delay_alu instid0(VALU_DEP_1)
	v_dual_fmac_f32 v77, v101, v70 :: v_dual_sub_f32 v96, v75, v76
	ds_load_2addr_b32 v[74:75], v98 offset0:238 offset1:255
	v_sub_f32_e32 v70, v95, v76
	s_waitcnt lgkmcnt(0)
	s_barrier
	v_mul_f32_e32 v96, 0x3fb8aa3b, v96
	buffer_gl0_inv
	v_exp_f32_e32 v95, v96
	v_mul_f32_e32 v100, 0x3fb8aa3b, v100
	s_delay_alu instid0(VALU_DEP_1) | instskip(SKIP_3) | instid1(VALU_DEP_2)
	v_exp_f32_e32 v100, v100
	s_waitcnt_depctr 0xfff
	v_dual_fmac_f32 v77, v100, v71 :: v_dual_mul_f32 v70, 0x3fb8aa3b, v70
	v_cndmask_b32_e32 v71, v99, v102, vcc_lo
	v_fmac_f32_e32 v77, v97, v72
	s_delay_alu instid0(VALU_DEP_3) | instskip(NEXT) | instid1(VALU_DEP_1)
	v_exp_f32_e32 v96, v70
	v_fmac_f32_e32 v77, v95, v73
	s_delay_alu instid0(VALU_DEP_1) | instskip(SKIP_2) | instid1(VALU_DEP_1)
	v_fmac_f32_e32 v77, v94, v74
	s_waitcnt_depctr 0xfff
	v_fmac_f32_e32 v77, v96, v75
	v_add_f32_e32 v74, 0x358637bd, v77
	s_delay_alu instid0(VALU_DEP_1) | instskip(SKIP_1) | instid1(VALU_DEP_2)
	v_div_scale_f32 v98, null, v74, v74, 1.0
	v_div_scale_f32 v99, vcc_lo, 1.0, v74, 1.0
	v_rcp_f32_e32 v103, v98
	s_waitcnt_depctr 0xfff
	v_fma_f32 v70, -v98, v103, 1.0
	s_delay_alu instid0(VALU_DEP_1) | instskip(SKIP_2) | instid1(VALU_DEP_2)
	v_fmac_f32_e32 v103, v70, v103
	v_cndmask_b32_e64 v70, v71, v101, s3
	v_cmp_eq_u32_e64 s3, 6, v69
	v_cndmask_b32_e64 v71, v70, v100, s4
	s_delay_alu instid0(VALU_DEP_4) | instskip(NEXT) | instid1(VALU_DEP_2)
	v_dual_mul_f32 v101, v99, v103 :: v_dual_lshlrev_b32 v70, 2, v66
	v_cndmask_b32_e64 v71, v71, v97, s5
	s_delay_alu instid0(VALU_DEP_2) | instskip(NEXT) | instid1(VALU_DEP_3)
	v_or_b32_e32 v72, 1, v70
	v_fma_f32 v100, -v98, v101, v99
	v_cmp_eq_u32_e64 s4, 1, v70
	v_cmp_eq_u32_e64 s5, 2, v70
	v_cndmask_b32_e64 v95, v71, v95, s6
	v_or_b32_e32 v71, 3, v70
	v_fmac_f32_e32 v101, v100, v103
	v_cmp_eq_u32_e64 s9, 1, v72
	v_cmp_eq_u32_e64 s12, 2, v72
	v_cndmask_b32_e64 v94, v95, v94, s3
	v_cmp_eq_u32_e64 s11, 1, v71
	v_fma_f32 v97, -v98, v101, v99
	v_cmp_eq_u32_e64 s16, 2, v71
	v_cmp_eq_u32_e64 s13, 3, v72
	v_cndmask_b32_e64 v94, v94, v96, s7
	v_cmp_eq_u32_e64 s18, 3, v71
	v_div_fmas_f32 v95, v97, v103, v101
	v_cmp_eq_u32_e32 vcc_lo, 3, v70
	v_cmp_eq_u32_e64 s3, 4, v70
	v_cmp_eq_u32_e64 s19, 4, v72
	;; [unrolled: 1-line block ×3, first 2 shown]
	v_div_fixup_f32 v95, v95, v74, 1.0
	v_lshlrev_b32_e32 v73, 6, v68
	v_cmp_eq_u32_e64 s6, 5, v70
	v_cmp_eq_u32_e64 s20, 5, v72
	;; [unrolled: 1-line block ×3, first 2 shown]
	v_mul_f32_e32 v102, v94, v95
	v_lshl_or_b32 v75, v69, 11, v73
	v_or_b32_e32 v69, 2, v70
	v_cmp_eq_u32_e64 s25, 6, v72
	v_cmp_eq_u32_e64 s27, 6, v71
	v_fma_mixlo_f16 v94, v102, v79, 0
	v_fma_mixlo_f16 v95, v102, v81, 0
	;; [unrolled: 1-line block ×8, first 2 shown]
	v_lshl_or_b32 v74, v66, 4, v75
	v_fma_mixhi_f16 v94, v102, v78, 0
	v_fma_mixhi_f16 v95, v102, v80, 0
	;; [unrolled: 1-line block ×8, first 2 shown]
	ds_store_b128 v74, v[94:97]
	ds_store_b128 v74, v[98:101] offset:1024
	s_waitcnt lgkmcnt(0)
	s_barrier
	buffer_gl0_inv
	ds_load_b128 v[78:81], v75
	ds_load_b128 v[82:85], v75 offset:16
	ds_load_b128 v[86:89], v75 offset:1024
	;; [unrolled: 1-line block ×3, first 2 shown]
	v_cmp_eq_u32_e64 s10, 1, v69
	v_cmp_eq_u32_e64 s15, 2, v69
	;; [unrolled: 1-line block ×11, first 2 shown]
	s_waitcnt lgkmcnt(3)
	v_lshrrev_b32_e32 v94, 16, v78
	s_waitcnt lgkmcnt(2)
	v_lshrrev_b32_e32 v98, 16, v82
	s_waitcnt lgkmcnt(1)
	v_lshrrev_b32_e32 v102, 16, v86
	s_waitcnt lgkmcnt(0)
	v_lshrrev_b32_e32 v106, 16, v90
	v_lshrrev_b32_e32 v95, 16, v79
	v_cndmask_b32_e64 v110, v78, v94, s4
	v_cndmask_b32_e64 v111, v82, v98, s4
	;; [unrolled: 1-line block ×8, first 2 shown]
	v_lshrrev_b32_e32 v99, 16, v83
	v_cndmask_b32_e64 v94, v86, v102, s4
	v_cndmask_b32_e64 v98, v90, v106, s4
	;; [unrolled: 1-line block ×15, first 2 shown]
	v_lshrrev_b32_e32 v103, 16, v87
	v_lshrrev_b32_e32 v107, 16, v91
	v_cndmask_b32_e64 v113, v115, v83, s15
	v_cndmask_b32_e64 v82, v94, v87, s5
	;; [unrolled: 1-line block ×7, first 2 shown]
	v_cndmask_b32_e32 v90, v102, v95, vcc_lo
	v_cndmask_b32_e32 v102, v106, v99, vcc_lo
	v_cndmask_b32_e64 v106, v110, v95, s13
	v_cndmask_b32_e64 v110, v111, v99, s13
	;; [unrolled: 1-line block ×4, first 2 shown]
	v_lshrrev_b32_e32 v96, 16, v80
	v_lshrrev_b32_e32 v100, 16, v84
	v_cndmask_b32_e64 v111, v112, v95, s17
	v_cndmask_b32_e64 v112, v113, v99, s17
	v_cndmask_b32_e32 v82, v82, v103, vcc_lo
	v_cndmask_b32_e32 v83, v83, v107, vcc_lo
	v_cndmask_b32_e64 v94, v94, v103, s13
	v_cndmask_b32_e64 v90, v90, v80, s3
	;; [unrolled: 1-line block ×7, first 2 shown]
	v_lshrrev_b32_e32 v104, 16, v88
	v_cndmask_b32_e64 v106, v111, v80, s21
	v_cndmask_b32_e64 v110, v112, v84, s21
	;; [unrolled: 1-line block ×11, first 2 shown]
	v_lshrrev_b32_e32 v97, 16, v81
	v_lshrrev_b32_e32 v101, 16, v85
	v_cndmask_b32_e64 v99, v106, v96, s23
	v_cndmask_b32_e64 v102, v110, v100, s23
	;; [unrolled: 1-line block ×7, first 2 shown]
	v_lshrrev_b32_e32 v105, 16, v89
	v_cndmask_b32_e64 v80, v80, v104, s6
	v_cndmask_b32_e64 v84, v84, v81, s7
	;; [unrolled: 1-line block ×16, first 2 shown]
	v_perm_b32 v81, v79, v78, 0x5040100
	v_perm_b32 v79, v95, v85, 0x5040100
	v_cndmask_b32_e64 v78, v119, v91, s15
	v_cndmask_b32_e64 v85, v117, v91, s12
	;; [unrolled: 1-line block ×3, first 2 shown]
	v_perm_b32 v80, v94, v90, 0x5040100
	v_cndmask_b32_e64 v90, v98, v103, s17
	v_cndmask_b32_e64 v86, v86, v103, s18
	;; [unrolled: 1-line block ×5, first 2 shown]
	v_lshrrev_b32_e32 v108, 16, v92
	v_cndmask_b32_e64 v90, v90, v88, s21
	v_cndmask_b32_e64 v86, v86, v88, s22
	v_cndmask_b32_e64 v87, v87, v92, s22
	v_cndmask_b32_e64 v78, v78, v92, s21
	v_cndmask_b32_e64 v85, v85, v92, s19
	v_cndmask_b32_e64 v82, v82, v108, s6
	v_cndmask_b32_e64 v88, v90, v104, s23
	v_cndmask_b32_e64 v86, v86, v104, s24
	v_cndmask_b32_e64 v87, v87, v108, s24
	v_cndmask_b32_e64 v78, v78, v108, s23
	v_cndmask_b32_e64 v85, v85, v108, s20
	v_lshrrev_b32_e32 v109, 16, v93
	v_cndmask_b32_e64 v82, v82, v93, s7
	v_cndmask_b32_e64 v88, v88, v89, s26
	v_cndmask_b32_e64 v86, v86, v89, s27
	v_cndmask_b32_e64 v87, v87, v93, s27
	v_cndmask_b32_e64 v78, v78, v93, s26
	v_cndmask_b32_e64 v85, v85, v93, s25
	v_cndmask_b32_e64 v88, v88, v105, s28
	v_cndmask_b32_e64 v86, v86, v105, s29
	v_cndmask_b32_e64 v87, v87, v109, s29
	v_cndmask_b32_e64 v89, v78, v109, s28
	v_cndmask_b32_e64 v90, v85, v109, s30
	v_cndmask_b32_e64 v82, v82, v109, s8
	v_perm_b32 v78, v84, v83, 0x5040100
	v_perm_b32 v85, v87, v86, 0x5040100
	v_perm_b32 v84, v89, v88, 0x5040100
	v_perm_b32 v83, v90, v97, 0x5040100
	v_perm_b32 v82, v82, v96, 0x5040100
	s_mul_i32 s8, s33, 11
	s_mov_b32 s3, exec_lo
	ds_store_b128 v74, v[78:81]
	ds_store_b128 v74, v[82:85] offset:1024
	v_cmpx_gt_u32_e32 11, v0
	s_cbranch_execz .LBB1080_14
; %bb.13:
	s_mul_i32 s4, s8, s34
	s_delay_alu instid0(SALU_CYCLE_1) | instskip(SKIP_1) | instid1(VALU_DEP_1)
	v_add3_u32 v68, s4, s31, v68
	s_load_b128 s[4:7], s[0:1], 0x58
	v_mad_u64_u32 v[78:79], null, v68, s35, s[14:15]
	s_delay_alu instid0(VALU_DEP_1) | instskip(NEXT) | instid1(VALU_DEP_1)
	v_ashrrev_i32_e32 v79, 31, v78
	v_lshlrev_b64 v[78:79], 2, v[78:79]
	s_waitcnt lgkmcnt(0)
	s_delay_alu instid0(VALU_DEP_1) | instskip(NEXT) | instid1(VALU_DEP_2)
	v_add_co_u32 v80, vcc_lo, s6, v78
	v_add_co_ci_u32_e32 v81, vcc_lo, s7, v79, vcc_lo
	v_add_co_u32 v78, vcc_lo, s4, v78
	v_add_co_ci_u32_e32 v79, vcc_lo, s5, v79, vcc_lo
	global_store_b32 v[80:81], v76, off
	global_store_b32 v[78:79], v77, off
.LBB1080_14:
	s_or_b32 exec_lo, exec_lo, s3
	s_waitcnt lgkmcnt(0)
	s_waitcnt_vscnt null, 0x0
	s_barrier
	buffer_gl0_inv
	ds_load_b128 v[84:87], v73
	ds_load_b128 v[88:91], v73 offset:16
	ds_load_b128 v[96:99], v73 offset:2064
	;; [unrolled: 1-line block ×5, first 2 shown]
	v_cmp_eq_u32_e32 vcc_lo, 1, v70
	v_mov_b32_e32 v76, 0
	ds_load_b128 v[112:115], v73 offset:6160
	ds_load_b128 v[108:111], v73 offset:6144
	;; [unrolled: 1-line block ×4, first 2 shown]
	v_cmp_eq_u32_e64 s4, 1, v69
	v_cmp_eq_u32_e64 s3, 1, v72
	;; [unrolled: 1-line block ×3, first 2 shown]
	v_mov_b32_e32 v77, v76
	v_mov_b32_e32 v78, v76
	;; [unrolled: 1-line block ×7, first 2 shown]
	v_cmp_eq_u32_e64 s6, 3, v72
	v_cmp_eq_u32_e64 s7, 7, v72
	s_waitcnt lgkmcnt(8)
	s_delay_alu instid0(VALU_DEP_3)
	v_wmma_f32_16x16x16_f16 v[76:83], v[49:56], v[84:91], v[76:83]
	ds_load_b128 v[53:56], v73 offset:10256
	ds_load_b128 v[49:52], v73 offset:10240
	s_waitcnt lgkmcnt(8)
	v_wmma_f32_16x16x16_f16 v[76:83], v[41:48], v[92:99], v[76:83]
	ds_load_b128 v[45:48], v73 offset:12304
	ds_load_b128 v[41:44], v73 offset:12288
	s_waitcnt lgkmcnt(8)
	;; [unrolled: 4-line block ×3, first 2 shown]
	s_barrier
	buffer_gl0_inv
	v_wmma_f32_16x16x16_f16 v[76:83], v[1:8], v[108:115], v[76:83]
	s_delay_alu instid0(VALU_DEP_1) | instskip(NEXT) | instid1(VALU_DEP_1)
	v_wmma_f32_16x16x16_f16 v[76:83], v[9:16], v[116:123], v[76:83]
	v_wmma_f32_16x16x16_f16 v[76:83], v[17:24], v[49:56], v[76:83]
	s_delay_alu instid0(VALU_DEP_1) | instskip(NEXT) | instid1(VALU_DEP_1)
	v_wmma_f32_16x16x16_f16 v[76:83], v[25:32], v[41:48], v[76:83]
	v_wmma_f32_16x16x16_f16 v[76:83], v[57:64], v[33:40], v[76:83]
	s_delay_alu instid0(VALU_DEP_1) | instskip(NEXT) | instid1(VALU_DEP_2)
	v_cvt_f16_f32_e32 v1, v76
	v_cvt_f16_f32_e32 v2, v77
	s_delay_alu instid0(VALU_DEP_3) | instskip(NEXT) | instid1(VALU_DEP_4)
	v_cvt_f16_f32_e32 v3, v78
	v_cvt_f16_f32_e32 v4, v79
	;; [unrolled: 1-line block ×6, first 2 shown]
	v_pack_b32_f16 v1, v1, v2
	v_pack_b32_f16 v2, v3, v4
	;; [unrolled: 1-line block ×3, first 2 shown]
	s_delay_alu instid0(VALU_DEP_4)
	v_pack_b32_f16 v4, v7, v8
	ds_store_b128 v74, v[1:4]
	s_waitcnt lgkmcnt(0)
	s_barrier
	buffer_gl0_inv
	ds_load_b128 v[1:4], v75
	ds_load_b128 v[5:8], v75 offset:16
	s_waitcnt lgkmcnt(1)
	v_lshrrev_b32_e32 v9, 16, v1
	s_waitcnt lgkmcnt(0)
	v_lshrrev_b32_e32 v13, 16, v5
	v_lshrrev_b32_e32 v10, 16, v2
	;; [unrolled: 1-line block ×4, first 2 shown]
	v_cndmask_b32_e32 v17, v1, v9, vcc_lo
	v_cndmask_b32_e32 v18, v5, v13, vcc_lo
	v_cndmask_b32_e64 v21, v1, v9, s4
	v_cmp_eq_u32_e32 vcc_lo, 1, v71
	v_cndmask_b32_e64 v22, v5, v13, s4
	v_cmp_eq_u32_e64 s4, 2, v70
	v_cndmask_b32_e64 v19, v1, v9, s3
	v_cndmask_b32_e64 v20, v5, v13, s3
	v_cndmask_b32_e32 v1, v1, v9, vcc_lo
	v_cmp_eq_u32_e64 s3, 2, v71
	v_cndmask_b32_e32 v5, v5, v13, vcc_lo
	v_cndmask_b32_e64 v9, v17, v2, s4
	v_cmp_eq_u32_e32 vcc_lo, 3, v70
	v_cndmask_b32_e64 v13, v18, v6, s4
	v_cmp_eq_u32_e64 s4, 2, v69
	v_cndmask_b32_e64 v17, v19, v2, s5
	v_cndmask_b32_e64 v18, v20, v6, s5
	v_cmp_eq_u32_e64 s5, 3, v69
	v_cndmask_b32_e64 v1, v1, v2, s3
	v_cndmask_b32_e64 v19, v21, v2, s4
	;; [unrolled: 1-line block ×4, first 2 shown]
	v_cndmask_b32_e32 v5, v9, v10, vcc_lo
	v_cndmask_b32_e32 v6, v13, v14, vcc_lo
	v_cmp_eq_u32_e32 vcc_lo, 3, v71
	v_cndmask_b32_e64 v9, v17, v10, s6
	v_cndmask_b32_e64 v13, v18, v14, s6
	;; [unrolled: 1-line block ×3, first 2 shown]
	v_cmp_eq_u32_e64 s4, 4, v70
	v_cndmask_b32_e32 v1, v1, v10, vcc_lo
	v_cndmask_b32_e32 v2, v2, v14, vcc_lo
	v_cmp_eq_u32_e32 vcc_lo, 4, v72
	v_lshrrev_b32_e32 v15, 16, v7
	v_lshrrev_b32_e32 v16, 16, v8
	v_cndmask_b32_e64 v17, v19, v10, s5
	v_cmp_eq_u32_e64 s3, 4, v71
	v_cndmask_b32_e64 v5, v5, v3, s4
	v_cndmask_b32_e64 v6, v6, v7, s4
	v_cndmask_b32_e32 v9, v9, v3, vcc_lo
	v_cmp_eq_u32_e64 s4, 5, v72
	v_cndmask_b32_e32 v10, v13, v7, vcc_lo
	v_cmp_eq_u32_e32 vcc_lo, 4, v69
	v_cmp_eq_u32_e64 s5, 5, v70
	v_cndmask_b32_e64 v2, v2, v7, s3
	v_cndmask_b32_e64 v9, v9, v11, s4
	;; [unrolled: 1-line block ×3, first 2 shown]
	v_cndmask_b32_e32 v13, v17, v3, vcc_lo
	v_cmp_eq_u32_e64 s4, 5, v69
	v_cndmask_b32_e32 v14, v18, v7, vcc_lo
	v_cndmask_b32_e64 v1, v1, v3, s3
	v_cmp_eq_u32_e32 vcc_lo, 5, v71
	v_lshrrev_b32_e32 v12, 16, v4
	v_cndmask_b32_e64 v13, v13, v11, s4
	v_cndmask_b32_e64 v3, v14, v15, s4
	v_cmp_eq_u32_e64 s4, 6, v71
	v_cndmask_b32_e32 v1, v1, v11, vcc_lo
	v_cndmask_b32_e64 v5, v5, v11, s5
	v_cmp_eq_u32_e64 s6, 6, v70
	v_cndmask_b32_e64 v6, v6, v15, s5
	v_cmp_eq_u32_e64 s5, 6, v72
	v_cmp_eq_u32_e64 s3, 6, v69
	v_cndmask_b32_e64 v1, v1, v4, s4
	v_cndmask_b32_e32 v2, v2, v15, vcc_lo
	v_cmp_eq_u32_e32 vcc_lo, 7, v71
	v_cndmask_b32_e64 v5, v5, v4, s6
	v_cndmask_b32_e64 v9, v9, v4, s5
	;; [unrolled: 1-line block ×3, first 2 shown]
	v_cmp_eq_u32_e64 s6, 7, v70
	v_cndmask_b32_e32 v1, v1, v12, vcc_lo
	v_cndmask_b32_e64 v7, v13, v4, s3
	v_cndmask_b32_e64 v3, v3, v8, s3
	;; [unrolled: 1-line block ×3, first 2 shown]
	v_cmp_eq_u32_e64 s3, 7, v69
	v_cndmask_b32_e64 v4, v10, v8, s5
	v_cndmask_b32_e64 v5, v5, v12, s6
	;; [unrolled: 1-line block ×3, first 2 shown]
	v_cndmask_b32_e32 v2, v2, v16, vcc_lo
	v_cndmask_b32_e64 v7, v7, v12, s3
	v_cndmask_b32_e64 v3, v3, v16, s3
	;; [unrolled: 1-line block ×4, first 2 shown]
	v_perm_b32 v4, v2, v1, 0x5040100
	s_mov_b32 s3, exec_lo
	v_perm_b32 v3, v3, v7, 0x5040100
	v_perm_b32 v2, v8, v9, 0x5040100
	;; [unrolled: 1-line block ×3, first 2 shown]
	ds_store_b128 v74, v[1:4]
	s_waitcnt lgkmcnt(0)
	s_barrier
	buffer_gl0_inv
	v_cmpx_gt_u32_e32 32, v0
	s_cbranch_execz .LBB1080_2
; %bb.15:
	s_load_b64 s[4:5], s[0:1], 0x68
	v_lshlrev_b32_e32 v0, 10, v0
	v_lshlrev_b32_e32 v1, 4, v67
	s_lshl_b32 s0, s35, 7
	v_add_nc_u32_e32 v7, s31, v66
	s_mul_i32 s1, s0, s34
	s_delay_alu instid0(SALU_CYCLE_1) | instskip(SKIP_1) | instid1(VALU_DEP_2)
	s_mul_i32 s6, s1, s8
	v_and_or_b32 v0, 0x3800, v0, v1
	v_mul_lo_u32 v1, v7, s0
	v_add_nc_u32_e32 v2, 2, v7
	s_ashr_i32 s7, s6, 31
	v_add_nc_u32_e32 v4, 4, v7
	s_lshl_b64 s[6:7], s[6:7], 1
	v_add_nc_u32_e32 v8, 6, v7
	v_mul_lo_u32 v3, v2, s0
	v_lshl_or_b32 v19, v66, 6, v0
	v_ashrrev_i32_e32 v2, 31, v1
	v_mul_lo_u32 v11, v4, s0
	v_mul_lo_u32 v25, v8, s0
	s_waitcnt lgkmcnt(0)
	s_add_u32 s1, s4, s6
	s_addc_u32 s3, s5, s7
	s_lshl_b32 s4, s14, 7
	v_lshlrev_b64 v[5:6], 1, v[1:2]
	s_ashr_i32 s5, s4, 31
	v_ashrrev_i32_e32 v4, 31, v3
	s_lshl_b64 s[4:5], s[4:5], 1
	v_ashrrev_i32_e32 v12, 31, v11
	s_add_u32 s1, s1, s4
	s_addc_u32 s3, s3, s5
	v_add_co_u32 v1, s1, s1, v65
	s_delay_alu instid0(VALU_DEP_1) | instskip(SKIP_1) | instid1(VALU_DEP_3)
	v_add_co_ci_u32_e64 v2, null, s3, 0, s1
	v_lshlrev_b64 v[3:4], 1, v[3:4]
	v_add_co_u32 v23, vcc_lo, v1, v5
	v_add_nc_u32_e32 v5, 8, v7
	s_delay_alu instid0(VALU_DEP_4) | instskip(NEXT) | instid1(VALU_DEP_4)
	v_add_co_ci_u32_e32 v24, vcc_lo, v2, v6, vcc_lo
	v_add_co_u32 v27, vcc_lo, v1, v3
	s_delay_alu instid0(VALU_DEP_3)
	v_mul_lo_u32 v29, v5, s0
	v_add_co_ci_u32_e32 v28, vcc_lo, v2, v4, vcc_lo
	ds_load_b128 v[3:6], v19
	ds_load_b128 v[7:10], v19 offset:128
	v_lshlrev_b64 v[31:32], 1, v[11:12]
	ds_load_b128 v[11:14], v19 offset:256
	ds_load_b128 v[15:18], v19 offset:384
	;; [unrolled: 1-line block ×3, first 2 shown]
	v_ashrrev_i32_e32 v26, 31, v25
	v_ashrrev_i32_e32 v30, 31, v29
	v_add_co_u32 v31, vcc_lo, v1, v31
	s_delay_alu instid0(VALU_DEP_3) | instskip(NEXT) | instid1(VALU_DEP_3)
	v_lshlrev_b64 v[25:26], 1, v[25:26]
	v_lshlrev_b64 v[29:30], 1, v[29:30]
	v_add_co_ci_u32_e32 v32, vcc_lo, v2, v32, vcc_lo
	s_delay_alu instid0(VALU_DEP_3) | instskip(NEXT) | instid1(VALU_DEP_4)
	v_add_co_u32 v25, vcc_lo, v1, v25
	v_add_co_ci_u32_e32 v26, vcc_lo, v2, v26, vcc_lo
	s_delay_alu instid0(VALU_DEP_4)
	v_add_co_u32 v29, vcc_lo, v1, v29
	v_add_co_ci_u32_e32 v30, vcc_lo, v2, v30, vcc_lo
	s_waitcnt lgkmcnt(4)
	global_store_b128 v[23:24], v[3:6], off
	s_waitcnt lgkmcnt(3)
	global_store_b128 v[27:28], v[7:10], off
	;; [unrolled: 2-line block ×5, first 2 shown]
	s_and_b32 exec_lo, exec_lo, s2
	s_cbranch_execz .LBB1080_2
; %bb.16:
	ds_load_b128 v[3:6], v0 offset:640
	s_add_i32 s1, s31, 10
	s_delay_alu instid0(SALU_CYCLE_1) | instskip(NEXT) | instid1(SALU_CYCLE_1)
	s_mul_i32 s0, s1, s0
	s_ashr_i32 s1, s0, 31
	s_delay_alu instid0(SALU_CYCLE_1) | instskip(NEXT) | instid1(SALU_CYCLE_1)
	s_lshl_b64 s[0:1], s[0:1], 1
	v_add_co_u32 v0, vcc_lo, v1, s0
	v_add_co_ci_u32_e32 v1, vcc_lo, s1, v2, vcc_lo
	s_waitcnt lgkmcnt(0)
	global_store_b128 v[0:1], v[3:6], off
	s_nop 0
	s_sendmsg sendmsg(MSG_DEALLOC_VGPRS)
	s_endpgm
	.section	.rodata,"a",@progbits
	.p2align	6, 0x0
	.amdhsa_kernel _Z39paged_attention_ll4mi_QKV_mfma16_kernelIDF16_hLN4vllm18Fp8KVCacheDataTypeE1EDF16_Li32ELi128ELi256ELb0ELi11EL8MFMAType1EEvPKT_PKT0_S8_ifPKiSA_SA_iPKfiiiPfSD_PS3_PT2_iSC_SC_
		.amdhsa_group_segment_fixed_size 17472
		.amdhsa_private_segment_fixed_size 0
		.amdhsa_kernarg_size 400
		.amdhsa_user_sgpr_count 13
		.amdhsa_user_sgpr_dispatch_ptr 0
		.amdhsa_user_sgpr_queue_ptr 0
		.amdhsa_user_sgpr_kernarg_segment_ptr 1
		.amdhsa_user_sgpr_dispatch_id 0
		.amdhsa_user_sgpr_private_segment_size 0
		.amdhsa_wavefront_size32 1
		.amdhsa_uses_dynamic_stack 0
		.amdhsa_enable_private_segment 0
		.amdhsa_system_sgpr_workgroup_id_x 1
		.amdhsa_system_sgpr_workgroup_id_y 1
		.amdhsa_system_sgpr_workgroup_id_z 1
		.amdhsa_system_sgpr_workgroup_info 0
		.amdhsa_system_vgpr_workitem_id 0
		.amdhsa_next_free_vgpr 150
		.amdhsa_next_free_sgpr 37
		.amdhsa_reserve_vcc 1
		.amdhsa_float_round_mode_32 0
		.amdhsa_float_round_mode_16_64 0
		.amdhsa_float_denorm_mode_32 3
		.amdhsa_float_denorm_mode_16_64 3
		.amdhsa_dx10_clamp 1
		.amdhsa_ieee_mode 1
		.amdhsa_fp16_overflow 0
		.amdhsa_workgroup_processor_mode 1
		.amdhsa_memory_ordered 1
		.amdhsa_forward_progress 0
		.amdhsa_shared_vgpr_count 0
		.amdhsa_exception_fp_ieee_invalid_op 0
		.amdhsa_exception_fp_denorm_src 0
		.amdhsa_exception_fp_ieee_div_zero 0
		.amdhsa_exception_fp_ieee_overflow 0
		.amdhsa_exception_fp_ieee_underflow 0
		.amdhsa_exception_fp_ieee_inexact 0
		.amdhsa_exception_int_div_zero 0
	.end_amdhsa_kernel
	.section	.text._Z39paged_attention_ll4mi_QKV_mfma16_kernelIDF16_hLN4vllm18Fp8KVCacheDataTypeE1EDF16_Li32ELi128ELi256ELb0ELi11EL8MFMAType1EEvPKT_PKT0_S8_ifPKiSA_SA_iPKfiiiPfSD_PS3_PT2_iSC_SC_,"axG",@progbits,_Z39paged_attention_ll4mi_QKV_mfma16_kernelIDF16_hLN4vllm18Fp8KVCacheDataTypeE1EDF16_Li32ELi128ELi256ELb0ELi11EL8MFMAType1EEvPKT_PKT0_S8_ifPKiSA_SA_iPKfiiiPfSD_PS3_PT2_iSC_SC_,comdat
.Lfunc_end1080:
	.size	_Z39paged_attention_ll4mi_QKV_mfma16_kernelIDF16_hLN4vllm18Fp8KVCacheDataTypeE1EDF16_Li32ELi128ELi256ELb0ELi11EL8MFMAType1EEvPKT_PKT0_S8_ifPKiSA_SA_iPKfiiiPfSD_PS3_PT2_iSC_SC_, .Lfunc_end1080-_Z39paged_attention_ll4mi_QKV_mfma16_kernelIDF16_hLN4vllm18Fp8KVCacheDataTypeE1EDF16_Li32ELi128ELi256ELb0ELi11EL8MFMAType1EEvPKT_PKT0_S8_ifPKiSA_SA_iPKfiiiPfSD_PS3_PT2_iSC_SC_
                                        ; -- End function
	.section	.AMDGPU.csdata,"",@progbits
; Kernel info:
; codeLenInByte = 6808
; NumSgprs: 39
; NumVgprs: 150
; ScratchSize: 0
; MemoryBound: 0
; FloatMode: 240
; IeeeMode: 1
; LDSByteSize: 17472 bytes/workgroup (compile time only)
; SGPRBlocks: 4
; VGPRBlocks: 18
; NumSGPRsForWavesPerEU: 39
; NumVGPRsForWavesPerEU: 150
; Occupancy: 9
; WaveLimiterHint : 1
; COMPUTE_PGM_RSRC2:SCRATCH_EN: 0
; COMPUTE_PGM_RSRC2:USER_SGPR: 13
; COMPUTE_PGM_RSRC2:TRAP_HANDLER: 0
; COMPUTE_PGM_RSRC2:TGID_X_EN: 1
; COMPUTE_PGM_RSRC2:TGID_Y_EN: 1
; COMPUTE_PGM_RSRC2:TGID_Z_EN: 1
; COMPUTE_PGM_RSRC2:TIDIG_COMP_CNT: 0
	.section	.text._Z39paged_attention_ll4mi_QKV_mfma16_kernelIDF16_hLN4vllm18Fp8KVCacheDataTypeE1EDF16_Li32ELi128ELi256ELb0ELi12EL8MFMAType1EEvPKT_PKT0_S8_ifPKiSA_SA_iPKfiiiPfSD_PS3_PT2_iSC_SC_,"axG",@progbits,_Z39paged_attention_ll4mi_QKV_mfma16_kernelIDF16_hLN4vllm18Fp8KVCacheDataTypeE1EDF16_Li32ELi128ELi256ELb0ELi12EL8MFMAType1EEvPKT_PKT0_S8_ifPKiSA_SA_iPKfiiiPfSD_PS3_PT2_iSC_SC_,comdat
	.protected	_Z39paged_attention_ll4mi_QKV_mfma16_kernelIDF16_hLN4vllm18Fp8KVCacheDataTypeE1EDF16_Li32ELi128ELi256ELb0ELi12EL8MFMAType1EEvPKT_PKT0_S8_ifPKiSA_SA_iPKfiiiPfSD_PS3_PT2_iSC_SC_ ; -- Begin function _Z39paged_attention_ll4mi_QKV_mfma16_kernelIDF16_hLN4vllm18Fp8KVCacheDataTypeE1EDF16_Li32ELi128ELi256ELb0ELi12EL8MFMAType1EEvPKT_PKT0_S8_ifPKiSA_SA_iPKfiiiPfSD_PS3_PT2_iSC_SC_
	.globl	_Z39paged_attention_ll4mi_QKV_mfma16_kernelIDF16_hLN4vllm18Fp8KVCacheDataTypeE1EDF16_Li32ELi128ELi256ELb0ELi12EL8MFMAType1EEvPKT_PKT0_S8_ifPKiSA_SA_iPKfiiiPfSD_PS3_PT2_iSC_SC_
	.p2align	8
	.type	_Z39paged_attention_ll4mi_QKV_mfma16_kernelIDF16_hLN4vllm18Fp8KVCacheDataTypeE1EDF16_Li32ELi128ELi256ELb0ELi12EL8MFMAType1EEvPKT_PKT0_S8_ifPKiSA_SA_iPKfiiiPfSD_PS3_PT2_iSC_SC_,@function
_Z39paged_attention_ll4mi_QKV_mfma16_kernelIDF16_hLN4vllm18Fp8KVCacheDataTypeE1EDF16_Li32ELi128ELi256ELb0ELi12EL8MFMAType1EEvPKT_PKT0_S8_ifPKiSA_SA_iPKfiiiPfSD_PS3_PT2_iSC_SC_: ; @_Z39paged_attention_ll4mi_QKV_mfma16_kernelIDF16_hLN4vllm18Fp8KVCacheDataTypeE1EDF16_Li32ELi128ELi256ELb0ELi12EL8MFMAType1EEvPKT_PKT0_S8_ifPKiSA_SA_iPKfiiiPfSD_PS3_PT2_iSC_SC_
; %bb.0:
	s_load_b64 s[4:5], s[0:1], 0x30
	s_mov_b32 s30, s13
	s_waitcnt lgkmcnt(0)
	s_cmp_lg_u64 s[4:5], 0
	s_cselect_b32 s8, -1, 0
	s_ashr_i32 s31, s13, 31
	s_cmp_eq_u64 s[4:5], 0
	s_cbranch_scc1 .LBB1081_3
; %bb.1:
	s_lshl_b64 s[2:3], s[30:31], 2
	s_delay_alu instid0(SALU_CYCLE_1) | instskip(SKIP_4) | instid1(SALU_CYCLE_1)
	s_add_u32 s2, s4, s2
	s_addc_u32 s3, s5, s3
	s_load_b64 s[2:3], s[2:3], 0x0
	s_waitcnt lgkmcnt(0)
	s_sub_i32 s2, s3, s2
	s_cmp_eq_u32 s2, 1
	s_cselect_b32 s2, -1, 0
	s_delay_alu instid0(SALU_CYCLE_1)
	s_and_not1_b32 vcc_lo, exec_lo, s2
	s_cbranch_vccz .LBB1081_4
.LBB1081_2:
	s_endpgm
.LBB1081_3:
.LBB1081_4:
	s_load_b64 s[2:3], s[0:1], 0x28
	s_lshl_b64 s[6:7], s[30:31], 2
	s_waitcnt lgkmcnt(0)
	s_add_u32 s2, s2, s6
	s_addc_u32 s3, s3, s7
	s_lshl_b32 s12, s14, 8
	s_load_b32 s24, s[2:3], 0x0
	s_waitcnt lgkmcnt(0)
	s_cmp_ge_i32 s12, s24
	s_cbranch_scc1 .LBB1081_2
; %bb.5:
	s_clause 0x1
	s_load_b128 s[20:23], s[0:1], 0x8
	s_load_b64 s[2:3], s[0:1], 0x20
	s_and_not1_b32 vcc_lo, exec_lo, s8
	s_cbranch_vccnz .LBB1081_7
; %bb.6:
	s_add_u32 s4, s4, s6
	s_addc_u32 s5, s5, s7
	s_load_b32 s5, s[4:5], 0x0
	s_branch .LBB1081_8
.LBB1081_7:
	s_mov_b32 s5, s30
.LBB1081_8:
	s_load_b128 s[16:19], s[0:1], 0x48
	v_and_b32_e32 v68, 15, v0
	v_lshrrev_b32_e32 v69, 5, v0
	v_and_b32_e32 v70, 31, v0
	v_and_b32_e32 v67, 1, v0
	v_bfe_u32 v66, v0, 4, 1
	v_lshlrev_b32_e32 v1, 3, v68
	s_mul_i32 s31, s15, 12
	s_mov_b32 s4, exec_lo
	s_delay_alu instid0(VALU_DEP_1)
	v_lshlrev_b32_e32 v65, 1, v1
	v_cmpx_gt_u32_e32 0xc0, v0
	s_cbranch_execz .LBB1081_10
; %bb.9:
	s_load_b64 s[6:7], s[0:1], 0x0
	v_lshl_or_b32 v5, v69, 1, v66
	s_waitcnt lgkmcnt(0)
	s_mul_hi_i32 s9, s5, s16
	s_mul_i32 s8, s5, s16
	v_lshlrev_b32_e32 v6, 10, v68
	s_lshl_b64 s[8:9], s[8:9], 1
	v_add_lshl_u32 v1, v5, s31, 7
	v_lshlrev_b32_e32 v5, 6, v5
	v_lshlrev_b32_e32 v7, 10, v67
	v_and_b32_e32 v6, 0x3800, v6
	s_delay_alu instid0(VALU_DEP_4) | instskip(NEXT) | instid1(VALU_DEP_2)
	v_ashrrev_i32_e32 v2, 31, v1
	v_or3_b32 v5, v6, v7, v5
	s_delay_alu instid0(VALU_DEP_2) | instskip(SKIP_2) | instid1(VALU_DEP_1)
	v_lshlrev_b64 v[1:2], 1, v[1:2]
	s_add_u32 s5, s6, s8
	s_addc_u32 s6, s7, s9
	v_add_co_u32 v1, vcc_lo, s5, v1
	s_delay_alu instid0(VALU_DEP_2) | instskip(NEXT) | instid1(VALU_DEP_2)
	v_add_co_ci_u32_e32 v2, vcc_lo, s6, v2, vcc_lo
	v_add_co_u32 v1, vcc_lo, v1, v65
	s_delay_alu instid0(VALU_DEP_2)
	v_add_co_ci_u32_e32 v2, vcc_lo, 0, v2, vcc_lo
	global_load_b128 v[1:4], v[1:2], off
	s_waitcnt vmcnt(0)
	ds_store_b128 v5, v[1:4]
.LBB1081_10:
	s_or_b32 exec_lo, exec_lo, s4
	v_and_b32_e32 v1, 0xef, v0
	s_waitcnt lgkmcnt(0)
	s_add_i32 s5, s24, 31
	s_clause 0x1
	s_load_b32 s4, s[0:1], 0x38
	s_load_b32 s33, s[0:1], 0x98
	s_ashr_i32 s6, s5, 31
	v_add_nc_u32_e32 v1, s12, v1
	s_lshr_b32 s6, s6, 27
	s_load_b32 s19, s[0:1], 0x1c
	s_add_i32 s5, s5, s6
	s_waitcnt lgkmcnt(0)
	v_ashrrev_i32_e32 v2, 31, v1
	v_or_b32_e32 v3, 16, v1
	s_ashr_i32 s13, s5, 5
	v_cmp_gt_i32_e32 vcc_lo, s24, v1
	s_add_i32 s13, s13, -1
	v_lshrrev_b32_e32 v2, 27, v2
	s_barrier
	buffer_gl0_inv
	s_mul_i32 s15, s15, s18
	v_add_nc_u32_e32 v4, v1, v2
	s_mul_i32 s4, s30, s4
	s_delay_alu instid0(SALU_CYCLE_1) | instskip(NEXT) | instid1(VALU_DEP_1)
	s_ashr_i32 s5, s4, 31
	v_ashrrev_i32_e32 v4, 5, v4
	v_add_nc_u32_e32 v2, v3, v2
	s_lshl_b64 s[4:5], s[4:5], 2
	s_delay_alu instid0(SALU_CYCLE_1) | instskip(NEXT) | instid1(VALU_DEP_2)
	s_add_u32 s16, s2, s4
	v_cndmask_b32_e32 v1, s13, v4, vcc_lo
	s_delay_alu instid0(VALU_DEP_2)
	v_ashrrev_i32_e32 v2, 5, v2
	v_cmp_gt_i32_e32 vcc_lo, s24, v3
	s_addc_u32 s25, s3, s5
	s_ashr_i32 s18, s15, 31
	s_add_u32 s2, s20, s15
	s_addc_u32 s3, s21, s18
	v_cndmask_b32_e32 v3, s13, v2, vcc_lo
	v_ashrrev_i32_e32 v2, 31, v1
	s_lshl_b32 s4, s14, 3
	s_delay_alu instid0(SALU_CYCLE_1) | instskip(NEXT) | instid1(VALU_DEP_2)
	s_ashr_i32 s5, s4, 31
	v_ashrrev_i32_e32 v4, 31, v3
	s_delay_alu instid0(VALU_DEP_2) | instskip(SKIP_1) | instid1(SALU_CYCLE_1)
	v_lshlrev_b64 v[1:2], 2, v[1:2]
	s_lshl_b64 s[4:5], s[4:5], 2
	s_add_u32 s4, s16, s4
	s_delay_alu instid0(VALU_DEP_2) | instskip(SKIP_1) | instid1(VALU_DEP_2)
	v_lshlrev_b64 v[3:4], 2, v[3:4]
	s_addc_u32 s5, s25, s5
	v_add_co_u32 v1, vcc_lo, s16, v1
	v_add_co_ci_u32_e32 v2, vcc_lo, s25, v2, vcc_lo
	s_delay_alu instid0(VALU_DEP_3) | instskip(NEXT) | instid1(VALU_DEP_4)
	v_add_co_u32 v3, vcc_lo, s16, v3
	v_add_co_ci_u32_e32 v4, vcc_lo, s25, v4, vcc_lo
	s_clause 0x1
	global_load_b32 v5, v[1:2], off
	global_load_b32 v6, v[3:4], off
	s_or_b32 s6, s12, 32
	s_delay_alu instid0(SALU_CYCLE_1) | instskip(SKIP_2) | instid1(SALU_CYCLE_1)
	s_ashr_i32 s7, s6, 5
	s_cmp_lt_i32 s6, s24
	s_cselect_b32 s6, s7, s13
	s_ashr_i32 s7, s6, 31
	s_delay_alu instid0(SALU_CYCLE_1) | instskip(NEXT) | instid1(SALU_CYCLE_1)
	s_lshl_b64 s[6:7], s[6:7], 2
	s_add_u32 s6, s16, s6
	s_addc_u32 s7, s25, s7
	s_or_b32 s8, s12, 64
	s_delay_alu instid0(SALU_CYCLE_1) | instskip(SKIP_2) | instid1(SALU_CYCLE_1)
	s_ashr_i32 s9, s8, 5
	s_cmp_lt_i32 s8, s24
	s_cselect_b32 s8, s9, s13
	s_ashr_i32 s9, s8, 31
	s_delay_alu instid0(SALU_CYCLE_1) | instskip(NEXT) | instid1(SALU_CYCLE_1)
	s_lshl_b64 s[8:9], s[8:9], 2
	s_add_u32 s8, s16, s8
	s_addc_u32 s9, s25, s9
	s_or_b32 s10, s12, 0x60
	s_delay_alu instid0(SALU_CYCLE_1) | instskip(SKIP_2) | instid1(SALU_CYCLE_1)
	s_ashr_i32 s11, s10, 5
	s_cmp_lt_i32 s10, s24
	s_cselect_b32 s10, s11, s13
	s_ashr_i32 s11, s10, 31
	s_delay_alu instid0(SALU_CYCLE_1) | instskip(NEXT) | instid1(SALU_CYCLE_1)
	s_lshl_b64 s[10:11], s[10:11], 2
	s_add_u32 s10, s16, s10
	s_addc_u32 s11, s25, s11
	s_or_b32 s20, s12, 0x80
	s_delay_alu instid0(SALU_CYCLE_1) | instskip(SKIP_2) | instid1(SALU_CYCLE_1)
	s_ashr_i32 s21, s20, 5
	s_cmp_lt_i32 s20, s24
	s_cselect_b32 s20, s21, s13
	s_ashr_i32 s21, s20, 31
	s_delay_alu instid0(SALU_CYCLE_1) | instskip(NEXT) | instid1(SALU_CYCLE_1)
	s_lshl_b64 s[20:21], s[20:21], 2
	s_add_u32 s20, s16, s20
	s_addc_u32 s21, s25, s21
	s_or_b32 s26, s12, 0xa0
	s_delay_alu instid0(SALU_CYCLE_1) | instskip(SKIP_2) | instid1(SALU_CYCLE_1)
	s_ashr_i32 s27, s26, 5
	s_cmp_lt_i32 s26, s24
	s_cselect_b32 s26, s27, s13
	s_ashr_i32 s27, s26, 31
	s_delay_alu instid0(SALU_CYCLE_1) | instskip(NEXT) | instid1(SALU_CYCLE_1)
	s_lshl_b64 s[26:27], s[26:27], 2
	s_add_u32 s26, s16, s26
	s_addc_u32 s27, s25, s27
	s_clause 0x5
	s_load_b32 s28, s[4:5], 0x0
	s_load_b32 s29, s[6:7], 0x0
	;; [unrolled: 1-line block ×6, first 2 shown]
	s_mov_b32 s4, 0
	s_delay_alu instid0(SALU_CYCLE_1)
	s_mov_b32 s5, s4
	s_mov_b32 s6, s4
	;; [unrolled: 1-line block ×7, first 2 shown]
	s_delay_alu instid0(SALU_CYCLE_1)
	v_dual_mov_b32 v118, s11 :: v_dual_mov_b32 v117, s10
	v_dual_mov_b32 v116, s9 :: v_dual_mov_b32 v115, s8
	v_mov_b32_e32 v113, s6
	v_dual_mov_b32 v111, s4 :: v_dual_mov_b32 v114, s7
	v_mov_b32_e32 v112, s5
	s_waitcnt vmcnt(1)
	v_mad_i64_i32 v[1:2], null, v5, s17, s[2:3]
	v_lshlrev_b32_e32 v5, 4, v68
	s_waitcnt vmcnt(0)
	v_mad_i64_i32 v[3:4], null, v6, s17, s[2:3]
	s_or_b32 s2, s12, 0xc0
	s_delay_alu instid0(SALU_CYCLE_1) | instskip(NEXT) | instid1(VALU_DEP_3)
	s_ashr_i32 s3, s2, 5
	v_add_co_u32 v1, vcc_lo, v1, v5
	s_delay_alu instid0(VALU_DEP_4) | instskip(NEXT) | instid1(VALU_DEP_3)
	v_add_co_ci_u32_e32 v2, vcc_lo, 0, v2, vcc_lo
	v_add_co_u32 v3, vcc_lo, v3, v5
	s_delay_alu instid0(VALU_DEP_4)
	v_add_co_ci_u32_e32 v4, vcc_lo, 0, v4, vcc_lo
	s_clause 0xf
	global_load_b128 v[17:20], v[1:2], off
	global_load_b128 v[21:24], v[1:2], off offset:512
	global_load_b128 v[25:28], v[3:4], off offset:256
	;; [unrolled: 1-line block ×15, first 2 shown]
	s_cmp_lt_i32 s2, s24
	v_add_nc_u32_e32 v1, -12, v68
	s_cselect_b32 s2, s3, s13
	v_cmp_gt_u32_e32 vcc_lo, 12, v68
	s_ashr_i32 s3, s2, 31
	v_lshlrev_b32_e32 v2, 5, v68
	s_lshl_b64 s[2:3], s[2:3], 2
	s_delay_alu instid0(SALU_CYCLE_1)
	s_add_u32 s2, s16, s2
	s_addc_u32 s3, s25, s3
	s_or_b32 s20, s12, 0xe0
	v_cndmask_b32_e32 v1, v1, v68, vcc_lo
	s_ashr_i32 s21, s20, 5
	s_cmp_lt_i32 s20, s24
	s_cselect_b32 s20, s21, s13
	s_delay_alu instid0(VALU_DEP_1)
	v_lshlrev_b32_e32 v149, 6, v1
	s_ashr_i32 s21, s20, 31
	v_lshl_or_b32 v1, v69, 9, v2
	s_lshl_b64 s[4:5], s[20:21], 2
	ds_load_b128 v[119:122], v149
	ds_load_b128 v[123:126], v149 offset:1024
	s_add_u32 s4, s16, s4
	s_addc_u32 s5, s25, s5
	ds_load_b128 v[127:130], v149 offset:2048
	ds_load_b128 v[131:134], v149 offset:3072
	s_clause 0x1
	s_load_b32 s2, s[2:3], 0x0
	s_load_b32 s3, s[4:5], 0x0
	s_add_u32 s6, s22, s15
	s_addc_u32 s7, s23, s18
	v_add_co_u32 v135, s6, s6, v1
	s_delay_alu instid0(VALU_DEP_1) | instskip(SKIP_1) | instid1(VALU_DEP_1)
	v_add_co_ci_u32_e64 v136, null, s7, 0, s6
	s_waitcnt lgkmcnt(0)
	v_mad_i64_i32 v[1:2], null, s28, s17, v[135:136]
	v_mad_i64_i32 v[3:4], null, s29, s17, v[135:136]
	;; [unrolled: 1-line block ×6, first 2 shown]
	s_clause 0x9
	global_load_b128 v[49:52], v[1:2], off
	global_load_b128 v[53:56], v[1:2], off offset:16
	global_load_b128 v[41:44], v[3:4], off
	global_load_b128 v[45:48], v[3:4], off offset:16
	;; [unrolled: 2-line block ×5, first 2 shown]
	v_mad_i64_i32 v[145:146], null, s2, s17, v[135:136]
	v_mad_i64_i32 v[147:148], null, s3, s17, v[135:136]
	s_waitcnt vmcnt(24)
	v_wmma_f32_16x16x16_f16 v[135:142], v[17:24], v[119:126], v[111:118]
	s_waitcnt vmcnt(22)
	v_wmma_f32_16x16x16_f16 v[111:118], v[25:32], v[119:126], v[111:118]
	s_clause 0x3
	global_load_b128 v[17:20], v[143:144], off
	global_load_b128 v[21:24], v[143:144], off offset:16
	global_load_b128 v[25:28], v[145:146], off
	global_load_b128 v[29:32], v[145:146], off offset:16
	v_and_b32_e32 v119, 0xe0, v0
	s_waitcnt vmcnt(24)
	v_wmma_f32_16x16x16_f16 v[135:142], v[57:64], v[127:134], v[135:142]
	s_clause 0x1
	global_load_b128 v[57:60], v[147:148], off
	global_load_b128 v[61:64], v[147:148], off offset:16
	s_waitcnt vmcnt(24)
	v_wmma_f32_16x16x16_f16 v[111:118], v[71:78], v[127:134], v[111:118]
	ds_load_b128 v[71:74], v149 offset:4096
	ds_load_b128 v[75:78], v149 offset:5120
	v_add_nc_u32_e32 v128, s12, v119
	ds_load_b128 v[119:122], v149 offset:6144
	ds_load_b128 v[123:126], v149 offset:7168
	v_mbcnt_lo_u32_b32 v127, -1, 0
	s_waitcnt vmcnt(0) lgkmcnt(0)
	s_barrier
	v_or_b32_e32 v128, v128, v66
	buffer_gl0_inv
	v_xor_b32_e32 v129, 16, v127
	v_or_b32_e32 v130, 4, v128
	v_or_b32_e32 v131, 6, v128
	s_delay_alu instid0(VALU_DEP_3) | instskip(SKIP_4) | instid1(VALU_DEP_4)
	v_cmp_gt_i32_e32 vcc_lo, 32, v129
	v_or_b32_e32 v132, 8, v128
	v_or_b32_e32 v133, 10, v128
	v_cmp_gt_i32_e64 s3, s24, v130
	v_cmp_gt_i32_e64 s4, s24, v131
	;; [unrolled: 1-line block ×3, first 2 shown]
	v_wmma_f32_16x16x16_f16 v[135:142], v[79:86], v[71:78], v[135:142]
	v_wmma_f32_16x16x16_f16 v[111:118], v[87:94], v[71:78], v[111:118]
	v_or_b32_e32 v79, 12, v128
	v_or_b32_e32 v80, 14, v128
	v_cmp_gt_i32_e64 s6, s24, v133
	v_wmma_f32_16x16x16_f16 v[135:142], v[95:102], v[119:126], v[135:142]
	v_wmma_f32_16x16x16_f16 v[111:118], v[103:110], v[119:126], v[111:118]
	v_cndmask_b32_e32 v127, v127, v129, vcc_lo
	v_or_b32_e32 v129, 2, v128
	v_cmp_gt_i32_e32 vcc_lo, s24, v128
	s_delay_alu instid0(VALU_DEP_4) | instskip(SKIP_1) | instid1(VALU_DEP_4)
	v_dual_mul_f32 v87, s19, v136 :: v_dual_mul_f32 v94, s19, v113
	v_mul_f32_e32 v88, s19, v135
	v_cmp_gt_i32_e64 s2, s24, v129
	v_mul_f32_e32 v78, s19, v138
	v_mul_f32_e32 v86, s19, v137
	;; [unrolled: 1-line block ×3, first 2 shown]
	v_cndmask_b32_e32 v88, 0xff7fffff, v88, vcc_lo
	v_cndmask_b32_e64 v87, 0xff7fffff, v87, s2
	v_dual_mul_f32 v77, s19, v139 :: v_dual_mul_f32 v90, s19, v117
	v_cndmask_b32_e64 v86, 0xff7fffff, v86, s3
	v_cndmask_b32_e64 v78, 0xff7fffff, v78, s4
	s_delay_alu instid0(VALU_DEP_4)
	v_max3_f32 v87, v88, 0xff7fffff, v87
	v_or_b32_e32 v81, 16, v128
	v_or_b32_e32 v82, 18, v128
	v_dual_mul_f32 v74, s19, v142 :: v_dual_mul_f32 v75, s19, v141
	v_mul_f32_e32 v96, s19, v111
	v_cndmask_b32_e64 v77, 0xff7fffff, v77, s5
	v_cndmask_b32_e64 v76, 0xff7fffff, v76, s6
	v_max3_f32 v78, v87, v86, v78
	v_cmp_gt_i32_e64 s7, s24, v79
	v_cmp_gt_i32_e64 s8, s24, v80
	v_or_b32_e32 v83, 20, v128
	v_or_b32_e32 v84, 22, v128
	v_mul_f32_e32 v95, s19, v112
	v_cndmask_b32_e64 v75, 0xff7fffff, v75, s7
	v_cndmask_b32_e64 v74, 0xff7fffff, v74, s8
	v_max3_f32 v76, v78, v77, v76
	v_cmp_gt_i32_e64 s9, s24, v81
	v_cmp_gt_i32_e64 s10, s24, v82
	v_or_b32_e32 v85, 24, v128
	v_or_b32_e32 v71, 26, v128
	;; [unrolled: 8-line block ×3, first 2 shown]
	v_dual_mul_f32 v91, s19, v116 :: v_dual_mul_f32 v92, s19, v115
	v_cndmask_b32_e64 v75, 0xff7fffff, v94, s11
	v_cndmask_b32_e64 v76, 0xff7fffff, v93, s12
	v_max3_f32 v74, v74, v77, v78
	v_cmp_gt_i32_e64 s13, s24, v85
	v_cmp_gt_i32_e64 s15, s24, v71
	v_mul_f32_e32 v89, s19, v118
	v_cmp_gt_i32_e64 s16, s24, v72
	v_max3_f32 v74, v74, v75, v76
	v_cndmask_b32_e64 v77, 0xff7fffff, v92, s13
	v_cndmask_b32_e64 v71, 0xff7fffff, v91, s15
	v_cmp_gt_i32_e64 s17, s24, v73
	v_cndmask_b32_e64 v72, 0xff7fffff, v90, s16
	s_delay_alu instid0(VALU_DEP_3) | instskip(SKIP_1) | instid1(VALU_DEP_4)
	v_max3_f32 v71, v74, v77, v71
	v_lshlrev_b32_e32 v74, 2, v127
	v_cndmask_b32_e64 v73, 0xff7fffff, v89, s17
	s_delay_alu instid0(VALU_DEP_1) | instskip(SKIP_3) | instid1(VALU_DEP_1)
	v_max3_f32 v71, v71, v72, v73
	ds_bpermute_b32 v72, v74, v71
	s_waitcnt lgkmcnt(0)
	v_max_f32_e32 v72, v72, v72
	v_max_f32_e32 v71, v71, v72
	s_delay_alu instid0(VALU_DEP_1) | instskip(SKIP_4) | instid1(VALU_DEP_4)
	v_fma_f32 v72, s19, v135, -v71
	v_fma_f32 v73, s19, v136, -v71
	;; [unrolled: 1-line block ×5, first 2 shown]
	v_dual_mul_f32 v72, 0x3fb8aa3b, v72 :: v_dual_mul_f32 v73, 0x3fb8aa3b, v73
	s_delay_alu instid0(VALU_DEP_3) | instskip(SKIP_1) | instid1(VALU_DEP_3)
	v_dual_mul_f32 v75, 0x3fb8aa3b, v75 :: v_dual_mul_f32 v76, 0x3fb8aa3b, v76
	v_fma_f32 v80, s19, v141, -v71
	v_exp_f32_e32 v72, v72
	s_delay_alu instid0(VALU_DEP_3) | instskip(NEXT) | instid1(VALU_DEP_2)
	v_exp_f32_e32 v73, v73
	v_exp_f32_e32 v75, v75
	;; [unrolled: 1-line block ×3, first 2 shown]
	v_mul_f32_e32 v82, 0x3fb8aa3b, v80
	s_delay_alu instid0(VALU_DEP_1) | instskip(SKIP_4) | instid1(TRANS32_DEP_3)
	v_exp_f32_e32 v84, v82
	v_cndmask_b32_e32 v79, 0, v72, vcc_lo
	v_fma_f32 v72, s19, v140, -v71
	v_mul_f32_e32 v77, 0x3fb8aa3b, v77
	v_cndmask_b32_e64 v78, 0, v73, s2
	v_cndmask_b32_e64 v81, 0, v75, s3
	s_delay_alu instid0(VALU_DEP_4) | instskip(NEXT) | instid1(VALU_DEP_4)
	v_dual_add_f32 v73, 0, v79 :: v_dual_mul_f32 v72, 0x3fb8aa3b, v72
	v_exp_f32_e32 v77, v77
	v_cndmask_b32_e64 v80, 0, v76, s4
	s_delay_alu instid0(TRANS32_DEP_2) | instskip(NEXT) | instid1(VALU_DEP_3)
	v_cndmask_b32_e64 v85, 0, v84, s7
	v_add_f32_e32 v73, v73, v78
	v_exp_f32_e32 v72, v72
	s_mov_b32 s2, exec_lo
	s_delay_alu instid0(VALU_DEP_1) | instskip(SKIP_4) | instid1(VALU_DEP_2)
	v_add_f32_e32 v73, v73, v81
	s_waitcnt_depctr 0xfff
	v_cndmask_b32_e64 v83, 0, v77, s5
	v_add_f32_e32 v73, v73, v80
	v_cndmask_b32_e64 v82, 0, v72, s6
	v_add_f32_e32 v72, v73, v83
	s_delay_alu instid0(VALU_DEP_1) | instskip(NEXT) | instid1(VALU_DEP_1)
	v_add_f32_e32 v72, v72, v82
	v_add_f32_e32 v72, v72, v85
	v_fma_f32 v76, s19, v111, -v71
	v_fma_f32 v75, s19, v142, -v71
	v_fma_f32 v77, s19, v112, -v71
	v_fma_f32 v86, s19, v114, -v71
	v_fma_f32 v73, s19, v113, -v71
	s_delay_alu instid0(VALU_DEP_4) | instskip(NEXT) | instid1(VALU_DEP_3)
	v_dual_mul_f32 v76, 0x3fb8aa3b, v76 :: v_dual_mul_f32 v75, 0x3fb8aa3b, v75
	v_mul_f32_e32 v86, 0x3fb8aa3b, v86
	s_delay_alu instid0(VALU_DEP_2) | instskip(NEXT) | instid1(VALU_DEP_2)
	v_exp_f32_e32 v76, v76
	v_exp_f32_e32 v75, v75
	s_delay_alu instid0(VALU_DEP_1) | instskip(NEXT) | instid1(TRANS32_DEP_3)
	v_exp_f32_e32 v88, v86
	v_cndmask_b32_e64 v87, 0, v76, s9
	v_fma_f32 v76, s19, v116, -v71
	v_mul_f32_e32 v77, 0x3fb8aa3b, v77
	s_waitcnt_depctr 0xfff
	v_cndmask_b32_e64 v84, 0, v75, s8
	v_fma_f32 v75, s19, v115, -v71
	v_cndmask_b32_e64 v88, 0, v88, s12
	v_mul_f32_e32 v76, 0x3fb8aa3b, v76
	v_exp_f32_e32 v77, v77
	v_add_f32_e32 v72, v72, v84
	s_delay_alu instid0(VALU_DEP_2) | instskip(NEXT) | instid1(VALU_DEP_1)
	v_exp_f32_e32 v76, v76
	v_add_f32_e32 v72, v72, v87
	s_waitcnt_depctr 0xfff
	v_cndmask_b32_e64 v86, 0, v77, s10
	v_mul_f32_e32 v73, 0x3fb8aa3b, v73
	v_fma_f32 v77, s19, v117, -v71
	v_cndmask_b32_e64 v90, 0, v76, s15
	s_delay_alu instid0(VALU_DEP_4) | instskip(NEXT) | instid1(VALU_DEP_4)
	v_add_f32_e32 v72, v72, v86
	v_exp_f32_e32 v73, v73
	s_waitcnt_depctr 0xfff
	v_cndmask_b32_e64 v89, 0, v73, s11
	s_delay_alu instid0(VALU_DEP_1) | instskip(NEXT) | instid1(VALU_DEP_1)
	v_dual_mul_f32 v75, 0x3fb8aa3b, v75 :: v_dual_add_f32 v72, v72, v89
	v_exp_f32_e32 v75, v75
	v_mul_f32_e32 v73, 0x3fb8aa3b, v77
	v_fma_f32 v77, s19, v118, -v71
	s_delay_alu instid0(VALU_DEP_3) | instskip(NEXT) | instid1(VALU_DEP_3)
	v_add_f32_e32 v72, v72, v88
	v_exp_f32_e32 v73, v73
	s_waitcnt_depctr 0xfff
	v_cndmask_b32_e64 v91, 0, v75, s13
	s_delay_alu instid0(VALU_DEP_1) | instskip(NEXT) | instid1(VALU_DEP_1)
	v_dual_mul_f32 v75, 0x3fb8aa3b, v77 :: v_dual_add_f32 v72, v72, v91
	v_exp_f32_e32 v75, v75
	v_cndmask_b32_e64 v93, 0, v73, s16
	s_delay_alu instid0(VALU_DEP_2) | instskip(NEXT) | instid1(VALU_DEP_1)
	v_add_f32_e32 v72, v72, v90
	v_add_f32_e32 v72, v72, v93
	s_waitcnt_depctr 0xfff
	v_cndmask_b32_e64 v92, 0, v75, s17
	s_delay_alu instid0(VALU_DEP_1)
	v_add_f32_e32 v72, v72, v92
	ds_bpermute_b32 v73, v74, v72
	v_cmpx_gt_u32_e32 16, v70
	s_cbranch_execz .LBB1081_12
; %bb.11:
	v_mul_u32_u24_e32 v70, 0x44, v69
	s_waitcnt lgkmcnt(0)
	v_add_f32_e32 v72, v72, v73
	s_delay_alu instid0(VALU_DEP_2) | instskip(NEXT) | instid1(VALU_DEP_1)
	v_lshl_add_u32 v70, v68, 2, v70
	v_add_nc_u32_e32 v70, 0x4000, v70
	ds_store_2addr_b32 v70, v71, v72 offset1:136
.LBB1081_12:
	s_or_b32 exec_lo, exec_lo, s2
	v_lshlrev_b32_e32 v70, 2, v68
	s_load_b32 s34, s[0:1], 0x94
	s_waitcnt lgkmcnt(0)
	s_barrier
	buffer_gl0_inv
	v_add_nc_u32_e32 v98, 0x4000, v70
	v_cmp_eq_u32_e32 vcc_lo, 1, v69
	v_cmp_eq_u32_e64 s2, 2, v69
	v_cmp_eq_u32_e64 s3, 3, v69
	;; [unrolled: 1-line block ×3, first 2 shown]
	ds_load_2addr_b32 v[70:71], v98 offset1:17
	ds_load_2addr_b32 v[72:73], v98 offset0:34 offset1:51
	ds_load_2addr_b32 v[74:75], v98 offset0:68 offset1:85
	;; [unrolled: 1-line block ×3, first 2 shown]
	v_cmp_eq_u32_e64 s5, 5, v69
	v_cmp_eq_u32_e64 s6, 7, v69
	s_waitcnt lgkmcnt(3)
	v_max3_f32 v76, v70, 0xff7fffff, v71
	s_waitcnt lgkmcnt(2)
	s_delay_alu instid0(VALU_DEP_1) | instskip(SKIP_1) | instid1(VALU_DEP_1)
	v_max3_f32 v76, v76, v72, v73
	s_waitcnt lgkmcnt(1)
	v_max3_f32 v76, v76, v74, v75
	s_waitcnt lgkmcnt(0)
	s_delay_alu instid0(VALU_DEP_1) | instskip(NEXT) | instid1(VALU_DEP_1)
	v_max3_f32 v76, v76, v94, v95
	v_sub_f32_e32 v77, v71, v76
	ds_load_2addr_b32 v[96:97], v98 offset0:136 offset1:153
	v_sub_f32_e32 v74, v74, v76
	v_sub_f32_e32 v70, v70, v76
	;; [unrolled: 1-line block ×3, first 2 shown]
	v_dual_sub_f32 v72, v72, v76 :: v_dual_mul_f32 v77, 0x3fb8aa3b, v77
	s_delay_alu instid0(VALU_DEP_4) | instskip(NEXT) | instid1(VALU_DEP_4)
	v_mul_f32_e32 v103, 0x3fb8aa3b, v74
	v_mul_f32_e32 v99, 0x3fb8aa3b, v70
	ds_load_2addr_b32 v[70:71], v98 offset0:170 offset1:187
	v_dual_mul_f32 v101, 0x3fb8aa3b, v72 :: v_dual_mul_f32 v94, 0x3fb8aa3b, v94
	v_exp_f32_e32 v102, v77
	v_exp_f32_e32 v99, v99
	s_delay_alu instid0(VALU_DEP_1) | instskip(NEXT) | instid1(VALU_DEP_1)
	v_exp_f32_e32 v101, v101
	v_exp_f32_e32 v94, v94
	s_waitcnt lgkmcnt(1)
	s_delay_alu instid0(TRANS32_DEP_3)
	v_fma_f32 v77, v99, v96, 0
	v_sub_f32_e32 v100, v73, v76
	ds_load_2addr_b32 v[72:73], v98 offset0:204 offset1:221
	v_fmac_f32_e32 v77, v102, v97
	v_exp_f32_e32 v97, v103
	s_waitcnt lgkmcnt(1)
	s_delay_alu instid0(VALU_DEP_1)
	v_dual_fmac_f32 v77, v101, v70 :: v_dual_sub_f32 v96, v75, v76
	ds_load_2addr_b32 v[74:75], v98 offset0:238 offset1:255
	v_sub_f32_e32 v70, v95, v76
	s_waitcnt lgkmcnt(0)
	s_barrier
	v_mul_f32_e32 v96, 0x3fb8aa3b, v96
	buffer_gl0_inv
	v_exp_f32_e32 v95, v96
	v_mul_f32_e32 v100, 0x3fb8aa3b, v100
	s_delay_alu instid0(VALU_DEP_1) | instskip(SKIP_3) | instid1(VALU_DEP_2)
	v_exp_f32_e32 v100, v100
	s_waitcnt_depctr 0xfff
	v_dual_fmac_f32 v77, v100, v71 :: v_dual_mul_f32 v70, 0x3fb8aa3b, v70
	v_cndmask_b32_e32 v71, v99, v102, vcc_lo
	v_fmac_f32_e32 v77, v97, v72
	s_delay_alu instid0(VALU_DEP_3) | instskip(NEXT) | instid1(VALU_DEP_1)
	v_exp_f32_e32 v96, v70
	v_fmac_f32_e32 v77, v95, v73
	s_delay_alu instid0(VALU_DEP_1) | instskip(SKIP_2) | instid1(VALU_DEP_1)
	v_fmac_f32_e32 v77, v94, v74
	s_waitcnt_depctr 0xfff
	v_fmac_f32_e32 v77, v96, v75
	v_add_f32_e32 v74, 0x358637bd, v77
	s_delay_alu instid0(VALU_DEP_1) | instskip(SKIP_1) | instid1(VALU_DEP_2)
	v_div_scale_f32 v98, null, v74, v74, 1.0
	v_div_scale_f32 v99, vcc_lo, 1.0, v74, 1.0
	v_rcp_f32_e32 v103, v98
	s_waitcnt_depctr 0xfff
	v_fma_f32 v70, -v98, v103, 1.0
	s_delay_alu instid0(VALU_DEP_1) | instskip(SKIP_2) | instid1(VALU_DEP_2)
	v_fmac_f32_e32 v103, v70, v103
	v_cndmask_b32_e64 v70, v71, v101, s2
	v_cmp_eq_u32_e64 s2, 6, v69
	v_cndmask_b32_e64 v71, v70, v100, s3
	s_delay_alu instid0(VALU_DEP_4) | instskip(NEXT) | instid1(VALU_DEP_2)
	v_dual_mul_f32 v101, v99, v103 :: v_dual_lshlrev_b32 v70, 2, v66
	v_cndmask_b32_e64 v71, v71, v97, s4
	s_delay_alu instid0(VALU_DEP_2) | instskip(NEXT) | instid1(VALU_DEP_3)
	v_or_b32_e32 v72, 1, v70
	v_fma_f32 v100, -v98, v101, v99
	v_cmp_eq_u32_e64 s3, 1, v70
	v_cmp_eq_u32_e64 s4, 2, v70
	v_cndmask_b32_e64 v95, v71, v95, s5
	v_or_b32_e32 v71, 3, v70
	v_fmac_f32_e32 v101, v100, v103
	v_cmp_eq_u32_e64 s8, 1, v72
	v_cmp_eq_u32_e64 s11, 2, v72
	v_cndmask_b32_e64 v94, v95, v94, s2
	v_cmp_eq_u32_e64 s10, 1, v71
	v_fma_f32 v97, -v98, v101, v99
	v_cmp_eq_u32_e64 s15, 2, v71
	v_cmp_eq_u32_e64 s12, 3, v72
	v_cndmask_b32_e64 v94, v94, v96, s6
	v_cmp_eq_u32_e64 s17, 3, v71
	v_div_fmas_f32 v95, v97, v103, v101
	v_cmp_eq_u32_e32 vcc_lo, 3, v70
	v_cmp_eq_u32_e64 s2, 4, v70
	v_cmp_eq_u32_e64 s18, 4, v72
	;; [unrolled: 1-line block ×3, first 2 shown]
	v_div_fixup_f32 v95, v95, v74, 1.0
	v_lshlrev_b32_e32 v73, 6, v68
	v_cmp_eq_u32_e64 s5, 5, v70
	v_cmp_eq_u32_e64 s19, 5, v72
	;; [unrolled: 1-line block ×3, first 2 shown]
	v_mul_f32_e32 v102, v94, v95
	v_lshl_or_b32 v75, v69, 11, v73
	v_or_b32_e32 v69, 2, v70
	v_cmp_eq_u32_e64 s24, 6, v72
	v_cmp_eq_u32_e64 s26, 6, v71
	v_fma_mixlo_f16 v94, v102, v79, 0
	v_fma_mixlo_f16 v95, v102, v81, 0
	;; [unrolled: 1-line block ×8, first 2 shown]
	v_lshl_or_b32 v74, v66, 4, v75
	v_fma_mixhi_f16 v94, v102, v78, 0
	v_fma_mixhi_f16 v95, v102, v80, 0
	;; [unrolled: 1-line block ×8, first 2 shown]
	ds_store_b128 v74, v[94:97]
	ds_store_b128 v74, v[98:101] offset:1024
	s_waitcnt lgkmcnt(0)
	s_barrier
	buffer_gl0_inv
	ds_load_b128 v[78:81], v75
	ds_load_b128 v[82:85], v75 offset:16
	ds_load_b128 v[86:89], v75 offset:1024
	;; [unrolled: 1-line block ×3, first 2 shown]
	v_cmp_eq_u32_e64 s9, 1, v69
	v_cmp_eq_u32_e64 s13, 2, v69
	v_cmp_eq_u32_e64 s16, 3, v69
	v_cmp_eq_u32_e64 s20, 4, v69
	v_cmp_eq_u32_e64 s22, 5, v69
	v_cmp_eq_u32_e64 s6, 6, v70
	v_cmp_eq_u32_e64 s25, 6, v69
	v_cmp_eq_u32_e64 s28, 7, v71
	v_cmp_eq_u32_e64 s29, 7, v72
	v_cmp_eq_u32_e64 s7, 7, v70
	v_cmp_eq_u32_e64 s27, 7, v69
	s_waitcnt lgkmcnt(3)
	v_lshrrev_b32_e32 v94, 16, v78
	s_waitcnt lgkmcnt(2)
	v_lshrrev_b32_e32 v98, 16, v82
	;; [unrolled: 2-line block ×4, first 2 shown]
	v_lshrrev_b32_e32 v95, 16, v79
	v_cndmask_b32_e64 v110, v78, v94, s3
	v_cndmask_b32_e64 v111, v82, v98, s3
	;; [unrolled: 1-line block ×8, first 2 shown]
	v_lshrrev_b32_e32 v99, 16, v83
	v_cndmask_b32_e64 v94, v86, v102, s3
	v_cndmask_b32_e64 v98, v90, v106, s3
	;; [unrolled: 1-line block ×15, first 2 shown]
	v_lshrrev_b32_e32 v103, 16, v87
	v_lshrrev_b32_e32 v107, 16, v91
	v_cndmask_b32_e64 v113, v115, v83, s13
	v_cndmask_b32_e64 v82, v94, v87, s4
	;; [unrolled: 1-line block ×7, first 2 shown]
	v_cndmask_b32_e32 v90, v102, v95, vcc_lo
	v_cndmask_b32_e32 v102, v106, v99, vcc_lo
	v_cndmask_b32_e64 v106, v110, v95, s12
	v_cndmask_b32_e64 v110, v111, v99, s12
	;; [unrolled: 1-line block ×4, first 2 shown]
	v_lshrrev_b32_e32 v96, 16, v80
	v_lshrrev_b32_e32 v100, 16, v84
	v_cndmask_b32_e64 v111, v112, v95, s16
	v_cndmask_b32_e64 v112, v113, v99, s16
	v_cndmask_b32_e32 v82, v82, v103, vcc_lo
	v_cndmask_b32_e32 v83, v83, v107, vcc_lo
	v_cndmask_b32_e64 v94, v94, v103, s12
	v_cndmask_b32_e64 v90, v90, v80, s2
	;; [unrolled: 1-line block ×7, first 2 shown]
	v_lshrrev_b32_e32 v104, 16, v88
	v_cndmask_b32_e64 v106, v111, v80, s20
	v_cndmask_b32_e64 v110, v112, v84, s20
	;; [unrolled: 1-line block ×11, first 2 shown]
	v_lshrrev_b32_e32 v97, 16, v81
	v_lshrrev_b32_e32 v101, 16, v85
	v_cndmask_b32_e64 v99, v106, v96, s22
	v_cndmask_b32_e64 v102, v110, v100, s22
	v_cndmask_b32_e64 v83, v83, v104, s19
	v_cndmask_b32_e64 v94, v94, v81, s24
	v_cndmask_b32_e64 v95, v95, v85, s24
	v_cndmask_b32_e64 v78, v78, v81, s26
	v_cndmask_b32_e64 v79, v79, v85, s26
	v_lshrrev_b32_e32 v105, 16, v89
	v_cndmask_b32_e64 v80, v80, v104, s5
	v_cndmask_b32_e64 v84, v84, v81, s6
	v_cndmask_b32_e64 v90, v90, v85, s6
	v_cndmask_b32_e64 v96, v99, v81, s25
	v_cndmask_b32_e64 v99, v102, v85, s25
	v_cndmask_b32_e64 v81, v83, v89, s24
	v_cndmask_b32_e64 v85, v94, v97, s29
	v_cndmask_b32_e64 v78, v78, v97, s28
	v_cndmask_b32_e64 v79, v79, v101, s28
	v_cndmask_b32_e64 v95, v95, v101, s29
	v_cndmask_b32_e64 v80, v80, v89, s6
	v_cndmask_b32_e64 v83, v84, v97, s7
	v_cndmask_b32_e64 v84, v90, v101, s7
	v_cndmask_b32_e64 v90, v96, v97, s27
	v_cndmask_b32_e64 v94, v99, v101, s27
	v_cndmask_b32_e64 v97, v81, v105, s29
	v_perm_b32 v81, v79, v78, 0x5040100
	v_perm_b32 v79, v95, v85, 0x5040100
	v_cndmask_b32_e64 v78, v119, v91, s13
	v_cndmask_b32_e64 v85, v117, v91, s11
	;; [unrolled: 1-line block ×3, first 2 shown]
	v_perm_b32 v80, v94, v90, 0x5040100
	v_cndmask_b32_e64 v90, v98, v103, s16
	v_cndmask_b32_e64 v86, v86, v103, s17
	;; [unrolled: 1-line block ×5, first 2 shown]
	v_lshrrev_b32_e32 v108, 16, v92
	v_cndmask_b32_e64 v90, v90, v88, s20
	v_cndmask_b32_e64 v86, v86, v88, s21
	;; [unrolled: 1-line block ×11, first 2 shown]
	v_lshrrev_b32_e32 v109, 16, v93
	v_cndmask_b32_e64 v82, v82, v93, s6
	v_cndmask_b32_e64 v88, v88, v89, s25
	;; [unrolled: 1-line block ×12, first 2 shown]
	v_perm_b32 v78, v84, v83, 0x5040100
	v_perm_b32 v85, v87, v86, 0x5040100
	;; [unrolled: 1-line block ×5, first 2 shown]
	s_mul_i32 s7, s33, 12
	s_mov_b32 s2, exec_lo
	ds_store_b128 v74, v[78:81]
	ds_store_b128 v74, v[82:85] offset:1024
	v_cmpx_gt_u32_e32 12, v0
	s_cbranch_execz .LBB1081_14
; %bb.13:
	s_mul_i32 s3, s7, s30
	s_load_b128 s[8:11], s[0:1], 0x58
	v_add3_u32 v68, s3, s31, v68
	s_delay_alu instid0(VALU_DEP_1) | instskip(NEXT) | instid1(VALU_DEP_1)
	v_mad_u64_u32 v[78:79], null, v68, s34, s[14:15]
	v_ashrrev_i32_e32 v79, 31, v78
	s_delay_alu instid0(VALU_DEP_1) | instskip(SKIP_1) | instid1(VALU_DEP_1)
	v_lshlrev_b64 v[78:79], 2, v[78:79]
	s_waitcnt lgkmcnt(0)
	v_add_co_u32 v80, vcc_lo, s10, v78
	s_delay_alu instid0(VALU_DEP_2)
	v_add_co_ci_u32_e32 v81, vcc_lo, s11, v79, vcc_lo
	v_add_co_u32 v78, vcc_lo, s8, v78
	v_add_co_ci_u32_e32 v79, vcc_lo, s9, v79, vcc_lo
	global_store_b32 v[80:81], v76, off
	global_store_b32 v[78:79], v77, off
.LBB1081_14:
	s_or_b32 exec_lo, exec_lo, s2
	s_waitcnt lgkmcnt(0)
	s_waitcnt_vscnt null, 0x0
	s_barrier
	buffer_gl0_inv
	ds_load_b128 v[84:87], v73
	ds_load_b128 v[88:91], v73 offset:16
	ds_load_b128 v[96:99], v73 offset:2064
	;; [unrolled: 1-line block ×5, first 2 shown]
	v_cmp_eq_u32_e32 vcc_lo, 1, v70
	v_mov_b32_e32 v76, 0
	ds_load_b128 v[112:115], v73 offset:6160
	ds_load_b128 v[108:111], v73 offset:6144
	;; [unrolled: 1-line block ×4, first 2 shown]
	v_cmp_eq_u32_e64 s3, 1, v69
	v_cmp_eq_u32_e64 s2, 1, v72
	;; [unrolled: 1-line block ×3, first 2 shown]
	v_mov_b32_e32 v77, v76
	v_mov_b32_e32 v78, v76
	;; [unrolled: 1-line block ×7, first 2 shown]
	v_cmp_eq_u32_e64 s5, 3, v72
	v_cmp_eq_u32_e64 s6, 7, v72
	s_waitcnt lgkmcnt(8)
	s_delay_alu instid0(VALU_DEP_3)
	v_wmma_f32_16x16x16_f16 v[76:83], v[49:56], v[84:91], v[76:83]
	ds_load_b128 v[53:56], v73 offset:10256
	ds_load_b128 v[49:52], v73 offset:10240
	s_waitcnt lgkmcnt(8)
	v_wmma_f32_16x16x16_f16 v[76:83], v[41:48], v[92:99], v[76:83]
	ds_load_b128 v[45:48], v73 offset:12304
	ds_load_b128 v[41:44], v73 offset:12288
	s_waitcnt lgkmcnt(8)
	;; [unrolled: 4-line block ×3, first 2 shown]
	s_barrier
	buffer_gl0_inv
	v_wmma_f32_16x16x16_f16 v[76:83], v[1:8], v[108:115], v[76:83]
	s_delay_alu instid0(VALU_DEP_1) | instskip(NEXT) | instid1(VALU_DEP_1)
	v_wmma_f32_16x16x16_f16 v[76:83], v[9:16], v[116:123], v[76:83]
	v_wmma_f32_16x16x16_f16 v[76:83], v[17:24], v[49:56], v[76:83]
	s_delay_alu instid0(VALU_DEP_1) | instskip(NEXT) | instid1(VALU_DEP_1)
	v_wmma_f32_16x16x16_f16 v[76:83], v[25:32], v[41:48], v[76:83]
	v_wmma_f32_16x16x16_f16 v[76:83], v[57:64], v[33:40], v[76:83]
	s_delay_alu instid0(VALU_DEP_1) | instskip(NEXT) | instid1(VALU_DEP_2)
	v_cvt_f16_f32_e32 v1, v76
	v_cvt_f16_f32_e32 v2, v77
	s_delay_alu instid0(VALU_DEP_3) | instskip(NEXT) | instid1(VALU_DEP_4)
	v_cvt_f16_f32_e32 v3, v78
	v_cvt_f16_f32_e32 v4, v79
	v_cvt_f16_f32_e32 v5, v80
	v_cvt_f16_f32_e32 v6, v81
	v_cvt_f16_f32_e32 v7, v82
	v_cvt_f16_f32_e32 v8, v83
	v_pack_b32_f16 v1, v1, v2
	v_pack_b32_f16 v2, v3, v4
	;; [unrolled: 1-line block ×3, first 2 shown]
	s_delay_alu instid0(VALU_DEP_4)
	v_pack_b32_f16 v4, v7, v8
	ds_store_b128 v74, v[1:4]
	s_waitcnt lgkmcnt(0)
	s_barrier
	buffer_gl0_inv
	ds_load_b128 v[1:4], v75
	ds_load_b128 v[5:8], v75 offset:16
	s_waitcnt lgkmcnt(1)
	v_lshrrev_b32_e32 v9, 16, v1
	s_waitcnt lgkmcnt(0)
	v_lshrrev_b32_e32 v13, 16, v5
	v_lshrrev_b32_e32 v10, 16, v2
	;; [unrolled: 1-line block ×4, first 2 shown]
	v_cndmask_b32_e32 v17, v1, v9, vcc_lo
	v_cndmask_b32_e32 v18, v5, v13, vcc_lo
	v_cndmask_b32_e64 v21, v1, v9, s3
	v_cmp_eq_u32_e32 vcc_lo, 1, v71
	v_cndmask_b32_e64 v22, v5, v13, s3
	v_cmp_eq_u32_e64 s3, 2, v70
	v_cndmask_b32_e64 v19, v1, v9, s2
	v_cndmask_b32_e64 v20, v5, v13, s2
	v_cndmask_b32_e32 v1, v1, v9, vcc_lo
	v_cmp_eq_u32_e64 s2, 2, v71
	v_cndmask_b32_e32 v5, v5, v13, vcc_lo
	v_cndmask_b32_e64 v9, v17, v2, s3
	v_cmp_eq_u32_e32 vcc_lo, 3, v70
	v_cndmask_b32_e64 v13, v18, v6, s3
	v_cmp_eq_u32_e64 s3, 2, v69
	v_cndmask_b32_e64 v17, v19, v2, s4
	v_cndmask_b32_e64 v18, v20, v6, s4
	v_cmp_eq_u32_e64 s4, 3, v69
	v_cndmask_b32_e64 v1, v1, v2, s2
	v_cndmask_b32_e64 v19, v21, v2, s3
	v_cndmask_b32_e64 v20, v22, v6, s3
	v_cndmask_b32_e64 v2, v5, v6, s2
	v_cndmask_b32_e32 v5, v9, v10, vcc_lo
	v_cndmask_b32_e32 v6, v13, v14, vcc_lo
	v_cmp_eq_u32_e32 vcc_lo, 3, v71
	v_cndmask_b32_e64 v9, v17, v10, s5
	v_cndmask_b32_e64 v13, v18, v14, s5
	;; [unrolled: 1-line block ×3, first 2 shown]
	v_cmp_eq_u32_e64 s3, 4, v70
	v_cndmask_b32_e32 v1, v1, v10, vcc_lo
	v_cndmask_b32_e32 v2, v2, v14, vcc_lo
	v_cmp_eq_u32_e32 vcc_lo, 4, v72
	v_lshrrev_b32_e32 v15, 16, v7
	v_lshrrev_b32_e32 v16, 16, v8
	v_cndmask_b32_e64 v17, v19, v10, s4
	v_cmp_eq_u32_e64 s2, 4, v71
	v_cndmask_b32_e64 v5, v5, v3, s3
	v_cndmask_b32_e64 v6, v6, v7, s3
	v_cndmask_b32_e32 v9, v9, v3, vcc_lo
	v_cmp_eq_u32_e64 s3, 5, v72
	v_cndmask_b32_e32 v10, v13, v7, vcc_lo
	v_cmp_eq_u32_e32 vcc_lo, 4, v69
	v_cmp_eq_u32_e64 s4, 5, v70
	v_cndmask_b32_e64 v2, v2, v7, s2
	v_cndmask_b32_e64 v9, v9, v11, s3
	;; [unrolled: 1-line block ×3, first 2 shown]
	v_cndmask_b32_e32 v13, v17, v3, vcc_lo
	v_cmp_eq_u32_e64 s3, 5, v69
	v_cndmask_b32_e32 v14, v18, v7, vcc_lo
	v_cndmask_b32_e64 v1, v1, v3, s2
	v_cmp_eq_u32_e32 vcc_lo, 5, v71
	v_lshrrev_b32_e32 v12, 16, v4
	v_cndmask_b32_e64 v13, v13, v11, s3
	v_cndmask_b32_e64 v3, v14, v15, s3
	v_cmp_eq_u32_e64 s3, 6, v71
	v_cndmask_b32_e32 v1, v1, v11, vcc_lo
	v_cndmask_b32_e64 v5, v5, v11, s4
	v_cmp_eq_u32_e64 s5, 6, v70
	v_cndmask_b32_e64 v6, v6, v15, s4
	v_cmp_eq_u32_e64 s4, 6, v72
	v_cmp_eq_u32_e64 s2, 6, v69
	v_cndmask_b32_e64 v1, v1, v4, s3
	v_cndmask_b32_e32 v2, v2, v15, vcc_lo
	v_cmp_eq_u32_e32 vcc_lo, 7, v71
	v_cndmask_b32_e64 v5, v5, v4, s5
	v_cndmask_b32_e64 v9, v9, v4, s4
	;; [unrolled: 1-line block ×3, first 2 shown]
	v_cmp_eq_u32_e64 s5, 7, v70
	v_cndmask_b32_e32 v1, v1, v12, vcc_lo
	v_cndmask_b32_e64 v7, v13, v4, s2
	v_cndmask_b32_e64 v3, v3, v8, s2
	;; [unrolled: 1-line block ×3, first 2 shown]
	v_cmp_eq_u32_e64 s2, 7, v69
	v_cndmask_b32_e64 v4, v10, v8, s4
	v_cndmask_b32_e64 v5, v5, v12, s5
	;; [unrolled: 1-line block ×3, first 2 shown]
	v_cndmask_b32_e32 v2, v2, v16, vcc_lo
	v_cndmask_b32_e64 v7, v7, v12, s2
	v_cndmask_b32_e64 v3, v3, v16, s2
	;; [unrolled: 1-line block ×4, first 2 shown]
	v_perm_b32 v4, v2, v1, 0x5040100
	s_mov_b32 s2, exec_lo
	v_perm_b32 v3, v3, v7, 0x5040100
	v_perm_b32 v2, v8, v9, 0x5040100
	;; [unrolled: 1-line block ×3, first 2 shown]
	ds_store_b128 v74, v[1:4]
	s_waitcnt lgkmcnt(0)
	s_barrier
	buffer_gl0_inv
	v_cmpx_gt_u32_e32 32, v0
	s_cbranch_execz .LBB1081_2
; %bb.15:
	s_load_b64 s[0:1], s[0:1], 0x68
	v_lshlrev_b32_e32 v0, 10, v0
	s_lshl_b32 s4, s34, 7
	v_or_b32_e32 v3, s31, v66
	s_mul_i32 s2, s4, s30
	v_lshlrev_b32_e32 v1, 4, v67
	s_mul_i32 s2, s2, s7
	v_lshlrev_b32_e32 v2, 6, v66
	v_and_b32_e32 v0, 0x3800, v0
	s_ashr_i32 s3, s2, 31
	v_mul_lo_u32 v4, v3, s4
	s_lshl_b64 s[2:3], s[2:3], 1
	s_delay_alu instid0(VALU_DEP_2) | instskip(NEXT) | instid1(VALU_DEP_2)
	v_or3_b32 v16, v0, v1, v2
	v_ashrrev_i32_e32 v5, 31, v4
	ds_load_b128 v[0:3], v16
	s_waitcnt lgkmcnt(0)
	s_add_u32 s2, s0, s2
	s_addc_u32 s3, s1, s3
	s_lshl_b32 s0, s14, 7
	v_lshlrev_b64 v[5:6], 1, v[4:5]
	s_ashr_i32 s1, s0, 31
	s_delay_alu instid0(SALU_CYCLE_1) | instskip(NEXT) | instid1(SALU_CYCLE_1)
	s_lshl_b64 s[0:1], s[0:1], 1
	s_add_u32 s0, s2, s0
	s_addc_u32 s1, s3, s1
	s_lshl_b32 s2, s34, 8
	v_add_co_u32 v30, s0, s0, v65
	v_add_nc_u32_e32 v8, s2, v4
	v_add_co_ci_u32_e64 v31, null, s1, 0, s0
	s_delay_alu instid0(VALU_DEP_3) | instskip(NEXT) | instid1(VALU_DEP_3)
	v_add_co_u32 v12, vcc_lo, v30, v5
	v_add_nc_u32_e32 v10, s2, v8
	v_ashrrev_i32_e32 v9, 31, v8
	s_delay_alu instid0(VALU_DEP_4)
	v_add_co_ci_u32_e32 v13, vcc_lo, v31, v6, vcc_lo
	ds_load_b128 v[4:7], v16 offset:128
	v_ashrrev_i32_e32 v11, 31, v10
	v_lshlrev_b64 v[8:9], 1, v[8:9]
	v_add_nc_u32_e32 v14, s2, v10
	global_store_b128 v[12:13], v[0:3], off
	v_lshlrev_b64 v[0:1], 1, v[10:11]
	v_ashrrev_i32_e32 v15, 31, v14
	v_add_co_u32 v22, vcc_lo, v30, v8
	v_add_nc_u32_e32 v20, s2, v14
	v_add_co_ci_u32_e32 v23, vcc_lo, v31, v9, vcc_lo
	v_add_co_u32 v26, vcc_lo, v30, v0
	v_lshlrev_b64 v[24:25], 1, v[14:15]
	v_add_co_ci_u32_e32 v27, vcc_lo, v31, v1, vcc_lo
	ds_load_b128 v[0:3], v16 offset:256
	ds_load_b128 v[8:11], v16 offset:384
	;; [unrolled: 1-line block ×4, first 2 shown]
	v_add_nc_u32_e32 v28, s2, v20
	v_ashrrev_i32_e32 v21, 31, v20
	v_add_co_u32 v24, vcc_lo, v30, v24
	v_add_co_ci_u32_e32 v25, vcc_lo, v31, v25, vcc_lo
	s_delay_alu instid0(VALU_DEP_4) | instskip(NEXT) | instid1(VALU_DEP_4)
	v_ashrrev_i32_e32 v29, 31, v28
	v_lshlrev_b64 v[20:21], 1, v[20:21]
	s_delay_alu instid0(VALU_DEP_2) | instskip(NEXT) | instid1(VALU_DEP_2)
	v_lshlrev_b64 v[28:29], 1, v[28:29]
	v_add_co_u32 v20, vcc_lo, v30, v20
	s_delay_alu instid0(VALU_DEP_3) | instskip(NEXT) | instid1(VALU_DEP_3)
	v_add_co_ci_u32_e32 v21, vcc_lo, v31, v21, vcc_lo
	v_add_co_u32 v28, vcc_lo, v30, v28
	s_delay_alu instid0(VALU_DEP_4)
	v_add_co_ci_u32_e32 v29, vcc_lo, v31, v29, vcc_lo
	s_waitcnt lgkmcnt(4)
	global_store_b128 v[22:23], v[4:7], off
	s_waitcnt lgkmcnt(3)
	global_store_b128 v[26:27], v[0:3], off
	;; [unrolled: 2-line block ×5, first 2 shown]
	s_nop 0
	s_sendmsg sendmsg(MSG_DEALLOC_VGPRS)
	s_endpgm
	.section	.rodata,"a",@progbits
	.p2align	6, 0x0
	.amdhsa_kernel _Z39paged_attention_ll4mi_QKV_mfma16_kernelIDF16_hLN4vllm18Fp8KVCacheDataTypeE1EDF16_Li32ELi128ELi256ELb0ELi12EL8MFMAType1EEvPKT_PKT0_S8_ifPKiSA_SA_iPKfiiiPfSD_PS3_PT2_iSC_SC_
		.amdhsa_group_segment_fixed_size 17472
		.amdhsa_private_segment_fixed_size 0
		.amdhsa_kernarg_size 400
		.amdhsa_user_sgpr_count 13
		.amdhsa_user_sgpr_dispatch_ptr 0
		.amdhsa_user_sgpr_queue_ptr 0
		.amdhsa_user_sgpr_kernarg_segment_ptr 1
		.amdhsa_user_sgpr_dispatch_id 0
		.amdhsa_user_sgpr_private_segment_size 0
		.amdhsa_wavefront_size32 1
		.amdhsa_uses_dynamic_stack 0
		.amdhsa_enable_private_segment 0
		.amdhsa_system_sgpr_workgroup_id_x 1
		.amdhsa_system_sgpr_workgroup_id_y 1
		.amdhsa_system_sgpr_workgroup_id_z 1
		.amdhsa_system_sgpr_workgroup_info 0
		.amdhsa_system_vgpr_workitem_id 0
		.amdhsa_next_free_vgpr 150
		.amdhsa_next_free_sgpr 37
		.amdhsa_reserve_vcc 1
		.amdhsa_float_round_mode_32 0
		.amdhsa_float_round_mode_16_64 0
		.amdhsa_float_denorm_mode_32 3
		.amdhsa_float_denorm_mode_16_64 3
		.amdhsa_dx10_clamp 1
		.amdhsa_ieee_mode 1
		.amdhsa_fp16_overflow 0
		.amdhsa_workgroup_processor_mode 1
		.amdhsa_memory_ordered 1
		.amdhsa_forward_progress 0
		.amdhsa_shared_vgpr_count 0
		.amdhsa_exception_fp_ieee_invalid_op 0
		.amdhsa_exception_fp_denorm_src 0
		.amdhsa_exception_fp_ieee_div_zero 0
		.amdhsa_exception_fp_ieee_overflow 0
		.amdhsa_exception_fp_ieee_underflow 0
		.amdhsa_exception_fp_ieee_inexact 0
		.amdhsa_exception_int_div_zero 0
	.end_amdhsa_kernel
	.section	.text._Z39paged_attention_ll4mi_QKV_mfma16_kernelIDF16_hLN4vllm18Fp8KVCacheDataTypeE1EDF16_Li32ELi128ELi256ELb0ELi12EL8MFMAType1EEvPKT_PKT0_S8_ifPKiSA_SA_iPKfiiiPfSD_PS3_PT2_iSC_SC_,"axG",@progbits,_Z39paged_attention_ll4mi_QKV_mfma16_kernelIDF16_hLN4vllm18Fp8KVCacheDataTypeE1EDF16_Li32ELi128ELi256ELb0ELi12EL8MFMAType1EEvPKT_PKT0_S8_ifPKiSA_SA_iPKfiiiPfSD_PS3_PT2_iSC_SC_,comdat
.Lfunc_end1081:
	.size	_Z39paged_attention_ll4mi_QKV_mfma16_kernelIDF16_hLN4vllm18Fp8KVCacheDataTypeE1EDF16_Li32ELi128ELi256ELb0ELi12EL8MFMAType1EEvPKT_PKT0_S8_ifPKiSA_SA_iPKfiiiPfSD_PS3_PT2_iSC_SC_, .Lfunc_end1081-_Z39paged_attention_ll4mi_QKV_mfma16_kernelIDF16_hLN4vllm18Fp8KVCacheDataTypeE1EDF16_Li32ELi128ELi256ELb0ELi12EL8MFMAType1EEvPKT_PKT0_S8_ifPKiSA_SA_iPKfiiiPfSD_PS3_PT2_iSC_SC_
                                        ; -- End function
	.section	.AMDGPU.csdata,"",@progbits
; Kernel info:
; codeLenInByte = 6756
; NumSgprs: 39
; NumVgprs: 150
; ScratchSize: 0
; MemoryBound: 0
; FloatMode: 240
; IeeeMode: 1
; LDSByteSize: 17472 bytes/workgroup (compile time only)
; SGPRBlocks: 4
; VGPRBlocks: 18
; NumSGPRsForWavesPerEU: 39
; NumVGPRsForWavesPerEU: 150
; Occupancy: 9
; WaveLimiterHint : 1
; COMPUTE_PGM_RSRC2:SCRATCH_EN: 0
; COMPUTE_PGM_RSRC2:USER_SGPR: 13
; COMPUTE_PGM_RSRC2:TRAP_HANDLER: 0
; COMPUTE_PGM_RSRC2:TGID_X_EN: 1
; COMPUTE_PGM_RSRC2:TGID_Y_EN: 1
; COMPUTE_PGM_RSRC2:TGID_Z_EN: 1
; COMPUTE_PGM_RSRC2:TIDIG_COMP_CNT: 0
	.section	.text._Z39paged_attention_ll4mi_QKV_mfma16_kernelIDF16_hLN4vllm18Fp8KVCacheDataTypeE1EDF16_Li32ELi128ELi256ELb0ELi13EL8MFMAType1EEvPKT_PKT0_S8_ifPKiSA_SA_iPKfiiiPfSD_PS3_PT2_iSC_SC_,"axG",@progbits,_Z39paged_attention_ll4mi_QKV_mfma16_kernelIDF16_hLN4vllm18Fp8KVCacheDataTypeE1EDF16_Li32ELi128ELi256ELb0ELi13EL8MFMAType1EEvPKT_PKT0_S8_ifPKiSA_SA_iPKfiiiPfSD_PS3_PT2_iSC_SC_,comdat
	.protected	_Z39paged_attention_ll4mi_QKV_mfma16_kernelIDF16_hLN4vllm18Fp8KVCacheDataTypeE1EDF16_Li32ELi128ELi256ELb0ELi13EL8MFMAType1EEvPKT_PKT0_S8_ifPKiSA_SA_iPKfiiiPfSD_PS3_PT2_iSC_SC_ ; -- Begin function _Z39paged_attention_ll4mi_QKV_mfma16_kernelIDF16_hLN4vllm18Fp8KVCacheDataTypeE1EDF16_Li32ELi128ELi256ELb0ELi13EL8MFMAType1EEvPKT_PKT0_S8_ifPKiSA_SA_iPKfiiiPfSD_PS3_PT2_iSC_SC_
	.globl	_Z39paged_attention_ll4mi_QKV_mfma16_kernelIDF16_hLN4vllm18Fp8KVCacheDataTypeE1EDF16_Li32ELi128ELi256ELb0ELi13EL8MFMAType1EEvPKT_PKT0_S8_ifPKiSA_SA_iPKfiiiPfSD_PS3_PT2_iSC_SC_
	.p2align	8
	.type	_Z39paged_attention_ll4mi_QKV_mfma16_kernelIDF16_hLN4vllm18Fp8KVCacheDataTypeE1EDF16_Li32ELi128ELi256ELb0ELi13EL8MFMAType1EEvPKT_PKT0_S8_ifPKiSA_SA_iPKfiiiPfSD_PS3_PT2_iSC_SC_,@function
_Z39paged_attention_ll4mi_QKV_mfma16_kernelIDF16_hLN4vllm18Fp8KVCacheDataTypeE1EDF16_Li32ELi128ELi256ELb0ELi13EL8MFMAType1EEvPKT_PKT0_S8_ifPKiSA_SA_iPKfiiiPfSD_PS3_PT2_iSC_SC_: ; @_Z39paged_attention_ll4mi_QKV_mfma16_kernelIDF16_hLN4vllm18Fp8KVCacheDataTypeE1EDF16_Li32ELi128ELi256ELb0ELi13EL8MFMAType1EEvPKT_PKT0_S8_ifPKiSA_SA_iPKfiiiPfSD_PS3_PT2_iSC_SC_
; %bb.0:
	s_load_b64 s[4:5], s[0:1], 0x30
	s_mov_b32 s34, s13
	s_waitcnt lgkmcnt(0)
	s_cmp_lg_u64 s[4:5], 0
	s_cselect_b32 s8, -1, 0
	s_ashr_i32 s35, s13, 31
	s_cmp_eq_u64 s[4:5], 0
	s_cbranch_scc1 .LBB1082_3
; %bb.1:
	s_lshl_b64 s[2:3], s[34:35], 2
	s_delay_alu instid0(SALU_CYCLE_1) | instskip(SKIP_4) | instid1(SALU_CYCLE_1)
	s_add_u32 s2, s4, s2
	s_addc_u32 s3, s5, s3
	s_load_b64 s[2:3], s[2:3], 0x0
	s_waitcnt lgkmcnt(0)
	s_sub_i32 s2, s3, s2
	s_cmp_eq_u32 s2, 1
	s_cselect_b32 s2, -1, 0
	s_delay_alu instid0(SALU_CYCLE_1)
	s_and_not1_b32 vcc_lo, exec_lo, s2
	s_cbranch_vccz .LBB1082_4
.LBB1082_2:
	s_nop 0
	s_sendmsg sendmsg(MSG_DEALLOC_VGPRS)
	s_endpgm
.LBB1082_3:
.LBB1082_4:
	s_load_b64 s[2:3], s[0:1], 0x28
	s_lshl_b64 s[6:7], s[34:35], 2
	s_waitcnt lgkmcnt(0)
	s_add_u32 s2, s2, s6
	s_addc_u32 s3, s3, s7
	s_lshl_b32 s12, s14, 8
	s_load_b32 s24, s[2:3], 0x0
	s_waitcnt lgkmcnt(0)
	s_cmp_ge_i32 s12, s24
	s_cbranch_scc1 .LBB1082_2
; %bb.5:
	s_clause 0x1
	s_load_b128 s[20:23], s[0:1], 0x8
	s_load_b64 s[2:3], s[0:1], 0x20
	s_and_not1_b32 vcc_lo, exec_lo, s8
	s_cbranch_vccnz .LBB1082_7
; %bb.6:
	s_add_u32 s4, s4, s6
	s_addc_u32 s5, s5, s7
	s_load_b32 s5, s[4:5], 0x0
	s_branch .LBB1082_8
.LBB1082_7:
	s_mov_b32 s5, s34
.LBB1082_8:
	s_load_b128 s[16:19], s[0:1], 0x48
	v_and_b32_e32 v68, 15, v0
	v_lshrrev_b32_e32 v69, 5, v0
	v_bfe_u32 v66, v0, 4, 1
	v_and_b32_e32 v70, 31, v0
	v_and_b32_e32 v67, 1, v0
	v_lshlrev_b32_e32 v2, 3, v68
	s_mul_i32 s31, s15, 13
	v_lshl_or_b32 v1, v69, 1, v66
	s_mov_b32 s4, exec_lo
	s_delay_alu instid0(VALU_DEP_2) | instskip(NEXT) | instid1(VALU_DEP_2)
	v_lshlrev_b32_e32 v65, 1, v2
	v_cmpx_gt_u32_e32 13, v1
	s_cbranch_execz .LBB1082_10
; %bb.9:
	s_load_b64 s[6:7], s[0:1], 0x0
	v_add_lshl_u32 v2, v1, s31, 7
	s_waitcnt lgkmcnt(0)
	s_mul_hi_i32 s9, s5, s16
	s_mul_i32 s8, s5, s16
	v_lshlrev_b32_e32 v6, 10, v68
	s_lshl_b64 s[8:9], s[8:9], 1
	v_ashrrev_i32_e32 v3, 31, v2
	v_lshlrev_b32_e32 v1, 6, v1
	v_lshlrev_b32_e32 v7, 10, v67
	v_and_b32_e32 v6, 0x3800, v6
	s_delay_alu instid0(VALU_DEP_4) | instskip(NEXT) | instid1(VALU_DEP_2)
	v_lshlrev_b64 v[2:3], 1, v[2:3]
	v_or3_b32 v1, v6, v7, v1
	s_add_u32 s5, s6, s8
	s_addc_u32 s6, s7, s9
	s_delay_alu instid0(VALU_DEP_2) | instskip(NEXT) | instid1(VALU_DEP_3)
	v_add_co_u32 v2, vcc_lo, s5, v2
	v_add_co_ci_u32_e32 v3, vcc_lo, s6, v3, vcc_lo
	s_delay_alu instid0(VALU_DEP_2) | instskip(NEXT) | instid1(VALU_DEP_2)
	v_add_co_u32 v2, vcc_lo, v2, v65
	v_add_co_ci_u32_e32 v3, vcc_lo, 0, v3, vcc_lo
	global_load_b128 v[2:5], v[2:3], off
	s_waitcnt vmcnt(0)
	ds_store_b128 v1, v[2:5]
.LBB1082_10:
	s_or_b32 exec_lo, exec_lo, s4
	v_and_b32_e32 v1, 0xef, v0
	s_waitcnt lgkmcnt(0)
	s_add_i32 s5, s24, 31
	s_clause 0x1
	s_load_b32 s4, s[0:1], 0x38
	s_load_b32 s33, s[0:1], 0x98
	s_ashr_i32 s6, s5, 31
	v_add_nc_u32_e32 v1, s12, v1
	s_lshr_b32 s6, s6, 27
	s_load_b32 s19, s[0:1], 0x1c
	s_add_i32 s5, s5, s6
	s_waitcnt lgkmcnt(0)
	v_ashrrev_i32_e32 v2, 31, v1
	v_or_b32_e32 v3, 16, v1
	s_ashr_i32 s13, s5, 5
	v_cmp_gt_i32_e32 vcc_lo, s24, v1
	s_add_i32 s13, s13, -1
	v_lshrrev_b32_e32 v2, 27, v2
	s_barrier
	buffer_gl0_inv
	s_mul_i32 s15, s15, s18
	v_add_nc_u32_e32 v4, v1, v2
	s_mul_i32 s4, s34, s4
	s_delay_alu instid0(SALU_CYCLE_1) | instskip(NEXT) | instid1(VALU_DEP_1)
	s_ashr_i32 s5, s4, 31
	v_ashrrev_i32_e32 v4, 5, v4
	v_add_nc_u32_e32 v2, v3, v2
	s_lshl_b64 s[4:5], s[4:5], 2
	s_delay_alu instid0(SALU_CYCLE_1) | instskip(NEXT) | instid1(VALU_DEP_2)
	s_add_u32 s16, s2, s4
	v_cndmask_b32_e32 v1, s13, v4, vcc_lo
	s_delay_alu instid0(VALU_DEP_2)
	v_ashrrev_i32_e32 v2, 5, v2
	v_cmp_gt_i32_e32 vcc_lo, s24, v3
	s_addc_u32 s25, s3, s5
	s_ashr_i32 s18, s15, 31
	s_add_u32 s2, s20, s15
	s_addc_u32 s3, s21, s18
	v_cndmask_b32_e32 v3, s13, v2, vcc_lo
	v_ashrrev_i32_e32 v2, 31, v1
	s_lshl_b32 s4, s14, 3
	s_delay_alu instid0(SALU_CYCLE_1) | instskip(NEXT) | instid1(VALU_DEP_2)
	s_ashr_i32 s5, s4, 31
	v_ashrrev_i32_e32 v4, 31, v3
	s_delay_alu instid0(VALU_DEP_2) | instskip(SKIP_1) | instid1(SALU_CYCLE_1)
	v_lshlrev_b64 v[1:2], 2, v[1:2]
	s_lshl_b64 s[4:5], s[4:5], 2
	s_add_u32 s4, s16, s4
	s_delay_alu instid0(VALU_DEP_2) | instskip(SKIP_1) | instid1(VALU_DEP_2)
	v_lshlrev_b64 v[3:4], 2, v[3:4]
	s_addc_u32 s5, s25, s5
	v_add_co_u32 v1, vcc_lo, s16, v1
	v_add_co_ci_u32_e32 v2, vcc_lo, s25, v2, vcc_lo
	s_delay_alu instid0(VALU_DEP_3) | instskip(NEXT) | instid1(VALU_DEP_4)
	v_add_co_u32 v3, vcc_lo, s16, v3
	v_add_co_ci_u32_e32 v4, vcc_lo, s25, v4, vcc_lo
	s_clause 0x1
	global_load_b32 v5, v[1:2], off
	global_load_b32 v6, v[3:4], off
	s_or_b32 s6, s12, 32
	s_delay_alu instid0(SALU_CYCLE_1) | instskip(SKIP_2) | instid1(SALU_CYCLE_1)
	s_ashr_i32 s7, s6, 5
	s_cmp_lt_i32 s6, s24
	s_cselect_b32 s6, s7, s13
	s_ashr_i32 s7, s6, 31
	s_delay_alu instid0(SALU_CYCLE_1) | instskip(NEXT) | instid1(SALU_CYCLE_1)
	s_lshl_b64 s[6:7], s[6:7], 2
	s_add_u32 s6, s16, s6
	s_addc_u32 s7, s25, s7
	s_or_b32 s8, s12, 64
	s_delay_alu instid0(SALU_CYCLE_1) | instskip(SKIP_2) | instid1(SALU_CYCLE_1)
	s_ashr_i32 s9, s8, 5
	s_cmp_lt_i32 s8, s24
	s_cselect_b32 s8, s9, s13
	s_ashr_i32 s9, s8, 31
	s_delay_alu instid0(SALU_CYCLE_1) | instskip(NEXT) | instid1(SALU_CYCLE_1)
	s_lshl_b64 s[8:9], s[8:9], 2
	s_add_u32 s8, s16, s8
	s_addc_u32 s9, s25, s9
	;; [unrolled: 10-line block ×5, first 2 shown]
	s_clause 0x5
	s_load_b32 s28, s[4:5], 0x0
	s_load_b32 s29, s[6:7], 0x0
	;; [unrolled: 1-line block ×6, first 2 shown]
	s_mov_b32 s4, 0
	s_delay_alu instid0(SALU_CYCLE_1)
	s_mov_b32 s5, s4
	s_mov_b32 s6, s4
	;; [unrolled: 1-line block ×7, first 2 shown]
	s_delay_alu instid0(SALU_CYCLE_1)
	v_dual_mov_b32 v118, s11 :: v_dual_mov_b32 v117, s10
	v_dual_mov_b32 v116, s9 :: v_dual_mov_b32 v115, s8
	v_mov_b32_e32 v113, s6
	v_dual_mov_b32 v111, s4 :: v_dual_mov_b32 v114, s7
	v_mov_b32_e32 v112, s5
	s_waitcnt vmcnt(1)
	v_mad_i64_i32 v[1:2], null, v5, s17, s[2:3]
	v_lshlrev_b32_e32 v5, 4, v68
	s_waitcnt vmcnt(0)
	v_mad_i64_i32 v[3:4], null, v6, s17, s[2:3]
	s_or_b32 s2, s12, 0xc0
	s_delay_alu instid0(SALU_CYCLE_1) | instskip(NEXT) | instid1(VALU_DEP_3)
	s_ashr_i32 s3, s2, 5
	v_add_co_u32 v1, vcc_lo, v1, v5
	s_delay_alu instid0(VALU_DEP_4) | instskip(NEXT) | instid1(VALU_DEP_3)
	v_add_co_ci_u32_e32 v2, vcc_lo, 0, v2, vcc_lo
	v_add_co_u32 v3, vcc_lo, v3, v5
	s_delay_alu instid0(VALU_DEP_4)
	v_add_co_ci_u32_e32 v4, vcc_lo, 0, v4, vcc_lo
	s_clause 0xf
	global_load_b128 v[17:20], v[1:2], off
	global_load_b128 v[21:24], v[1:2], off offset:512
	global_load_b128 v[25:28], v[3:4], off offset:256
	;; [unrolled: 1-line block ×15, first 2 shown]
	s_cmp_lt_i32 s2, s24
	v_add_nc_u32_e32 v1, -13, v68
	s_cselect_b32 s2, s3, s13
	v_cmp_gt_u32_e32 vcc_lo, 13, v68
	s_ashr_i32 s3, s2, 31
	v_lshlrev_b32_e32 v2, 5, v68
	s_lshl_b64 s[2:3], s[2:3], 2
	s_delay_alu instid0(SALU_CYCLE_1)
	s_add_u32 s2, s16, s2
	s_addc_u32 s3, s25, s3
	s_or_b32 s20, s12, 0xe0
	v_cndmask_b32_e32 v1, v1, v68, vcc_lo
	s_ashr_i32 s21, s20, 5
	s_cmp_lt_i32 s20, s24
	s_cselect_b32 s20, s21, s13
	s_delay_alu instid0(VALU_DEP_1)
	v_lshlrev_b32_e32 v149, 6, v1
	s_ashr_i32 s21, s20, 31
	v_lshl_or_b32 v1, v69, 9, v2
	s_lshl_b64 s[4:5], s[20:21], 2
	ds_load_b128 v[119:122], v149
	ds_load_b128 v[123:126], v149 offset:1024
	s_add_u32 s4, s16, s4
	s_addc_u32 s5, s25, s5
	ds_load_b128 v[127:130], v149 offset:2048
	ds_load_b128 v[131:134], v149 offset:3072
	s_clause 0x1
	s_load_b32 s2, s[2:3], 0x0
	s_load_b32 s3, s[4:5], 0x0
	s_add_u32 s6, s22, s15
	s_addc_u32 s7, s23, s18
	v_add_co_u32 v135, s6, s6, v1
	s_delay_alu instid0(VALU_DEP_1) | instskip(SKIP_1) | instid1(VALU_DEP_1)
	v_add_co_ci_u32_e64 v136, null, s7, 0, s6
	s_waitcnt lgkmcnt(0)
	v_mad_i64_i32 v[1:2], null, s28, s17, v[135:136]
	v_mad_i64_i32 v[3:4], null, s29, s17, v[135:136]
	;; [unrolled: 1-line block ×6, first 2 shown]
	s_clause 0x9
	global_load_b128 v[49:52], v[1:2], off
	global_load_b128 v[53:56], v[1:2], off offset:16
	global_load_b128 v[41:44], v[3:4], off
	global_load_b128 v[45:48], v[3:4], off offset:16
	global_load_b128 v[33:36], v[5:6], off
	global_load_b128 v[37:40], v[5:6], off offset:16
	global_load_b128 v[1:4], v[7:8], off
	global_load_b128 v[5:8], v[7:8], off offset:16
	global_load_b128 v[9:12], v[13:14], off
	global_load_b128 v[13:16], v[13:14], off offset:16
	v_mad_i64_i32 v[145:146], null, s2, s17, v[135:136]
	v_mad_i64_i32 v[147:148], null, s3, s17, v[135:136]
	s_waitcnt vmcnt(24)
	v_wmma_f32_16x16x16_f16 v[135:142], v[17:24], v[119:126], v[111:118]
	s_waitcnt vmcnt(22)
	v_wmma_f32_16x16x16_f16 v[111:118], v[25:32], v[119:126], v[111:118]
	s_clause 0x3
	global_load_b128 v[17:20], v[143:144], off
	global_load_b128 v[21:24], v[143:144], off offset:16
	global_load_b128 v[25:28], v[145:146], off
	global_load_b128 v[29:32], v[145:146], off offset:16
	v_and_b32_e32 v119, 0xe0, v0
	s_waitcnt vmcnt(24)
	v_wmma_f32_16x16x16_f16 v[135:142], v[57:64], v[127:134], v[135:142]
	s_clause 0x1
	global_load_b128 v[57:60], v[147:148], off
	global_load_b128 v[61:64], v[147:148], off offset:16
	s_waitcnt vmcnt(24)
	v_wmma_f32_16x16x16_f16 v[111:118], v[71:78], v[127:134], v[111:118]
	ds_load_b128 v[71:74], v149 offset:4096
	ds_load_b128 v[75:78], v149 offset:5120
	v_add_nc_u32_e32 v128, s12, v119
	ds_load_b128 v[119:122], v149 offset:6144
	ds_load_b128 v[123:126], v149 offset:7168
	v_mbcnt_lo_u32_b32 v127, -1, 0
	s_waitcnt vmcnt(0) lgkmcnt(0)
	s_barrier
	v_or_b32_e32 v128, v128, v66
	buffer_gl0_inv
	v_xor_b32_e32 v129, 16, v127
	v_or_b32_e32 v130, 4, v128
	v_or_b32_e32 v131, 6, v128
	s_delay_alu instid0(VALU_DEP_3) | instskip(SKIP_4) | instid1(VALU_DEP_4)
	v_cmp_gt_i32_e32 vcc_lo, 32, v129
	v_or_b32_e32 v132, 8, v128
	v_or_b32_e32 v133, 10, v128
	v_cmp_gt_i32_e64 s3, s24, v130
	v_cmp_gt_i32_e64 s4, s24, v131
	v_cmp_gt_i32_e64 s5, s24, v132
	v_wmma_f32_16x16x16_f16 v[135:142], v[79:86], v[71:78], v[135:142]
	v_wmma_f32_16x16x16_f16 v[111:118], v[87:94], v[71:78], v[111:118]
	v_or_b32_e32 v79, 12, v128
	v_or_b32_e32 v80, 14, v128
	v_cmp_gt_i32_e64 s6, s24, v133
	v_wmma_f32_16x16x16_f16 v[135:142], v[95:102], v[119:126], v[135:142]
	v_wmma_f32_16x16x16_f16 v[111:118], v[103:110], v[119:126], v[111:118]
	v_cndmask_b32_e32 v127, v127, v129, vcc_lo
	v_or_b32_e32 v129, 2, v128
	v_cmp_gt_i32_e32 vcc_lo, s24, v128
	s_delay_alu instid0(VALU_DEP_4) | instskip(SKIP_1) | instid1(VALU_DEP_4)
	v_dual_mul_f32 v87, s19, v136 :: v_dual_mul_f32 v94, s19, v113
	v_mul_f32_e32 v88, s19, v135
	v_cmp_gt_i32_e64 s2, s24, v129
	v_mul_f32_e32 v78, s19, v138
	v_mul_f32_e32 v86, s19, v137
	;; [unrolled: 1-line block ×3, first 2 shown]
	v_cndmask_b32_e32 v88, 0xff7fffff, v88, vcc_lo
	v_cndmask_b32_e64 v87, 0xff7fffff, v87, s2
	v_dual_mul_f32 v77, s19, v139 :: v_dual_mul_f32 v90, s19, v117
	v_cndmask_b32_e64 v86, 0xff7fffff, v86, s3
	v_cndmask_b32_e64 v78, 0xff7fffff, v78, s4
	s_delay_alu instid0(VALU_DEP_4)
	v_max3_f32 v87, v88, 0xff7fffff, v87
	v_or_b32_e32 v81, 16, v128
	v_or_b32_e32 v82, 18, v128
	v_dual_mul_f32 v74, s19, v142 :: v_dual_mul_f32 v75, s19, v141
	v_mul_f32_e32 v96, s19, v111
	v_cndmask_b32_e64 v77, 0xff7fffff, v77, s5
	v_cndmask_b32_e64 v76, 0xff7fffff, v76, s6
	v_max3_f32 v78, v87, v86, v78
	v_cmp_gt_i32_e64 s7, s24, v79
	v_cmp_gt_i32_e64 s8, s24, v80
	v_or_b32_e32 v83, 20, v128
	v_or_b32_e32 v84, 22, v128
	v_mul_f32_e32 v95, s19, v112
	v_cndmask_b32_e64 v75, 0xff7fffff, v75, s7
	v_cndmask_b32_e64 v74, 0xff7fffff, v74, s8
	v_max3_f32 v76, v78, v77, v76
	v_cmp_gt_i32_e64 s9, s24, v81
	v_cmp_gt_i32_e64 s10, s24, v82
	v_or_b32_e32 v85, 24, v128
	v_or_b32_e32 v71, 26, v128
	;; [unrolled: 8-line block ×3, first 2 shown]
	v_dual_mul_f32 v91, s19, v116 :: v_dual_mul_f32 v92, s19, v115
	v_cndmask_b32_e64 v75, 0xff7fffff, v94, s11
	v_cndmask_b32_e64 v76, 0xff7fffff, v93, s12
	v_max3_f32 v74, v74, v77, v78
	v_cmp_gt_i32_e64 s13, s24, v85
	v_cmp_gt_i32_e64 s15, s24, v71
	v_mul_f32_e32 v89, s19, v118
	v_cmp_gt_i32_e64 s16, s24, v72
	v_max3_f32 v74, v74, v75, v76
	v_cndmask_b32_e64 v77, 0xff7fffff, v92, s13
	v_cndmask_b32_e64 v71, 0xff7fffff, v91, s15
	v_cmp_gt_i32_e64 s17, s24, v73
	v_cndmask_b32_e64 v72, 0xff7fffff, v90, s16
	s_delay_alu instid0(VALU_DEP_3) | instskip(SKIP_1) | instid1(VALU_DEP_4)
	v_max3_f32 v71, v74, v77, v71
	v_lshlrev_b32_e32 v74, 2, v127
	v_cndmask_b32_e64 v73, 0xff7fffff, v89, s17
	s_delay_alu instid0(VALU_DEP_1) | instskip(SKIP_3) | instid1(VALU_DEP_1)
	v_max3_f32 v71, v71, v72, v73
	ds_bpermute_b32 v72, v74, v71
	s_waitcnt lgkmcnt(0)
	v_max_f32_e32 v72, v72, v72
	v_max_f32_e32 v71, v71, v72
	s_delay_alu instid0(VALU_DEP_1) | instskip(SKIP_4) | instid1(VALU_DEP_4)
	v_fma_f32 v72, s19, v135, -v71
	v_fma_f32 v73, s19, v136, -v71
	;; [unrolled: 1-line block ×5, first 2 shown]
	v_dual_mul_f32 v72, 0x3fb8aa3b, v72 :: v_dual_mul_f32 v73, 0x3fb8aa3b, v73
	s_delay_alu instid0(VALU_DEP_3) | instskip(SKIP_1) | instid1(VALU_DEP_3)
	v_dual_mul_f32 v75, 0x3fb8aa3b, v75 :: v_dual_mul_f32 v76, 0x3fb8aa3b, v76
	v_fma_f32 v80, s19, v141, -v71
	v_exp_f32_e32 v72, v72
	s_delay_alu instid0(VALU_DEP_3) | instskip(NEXT) | instid1(VALU_DEP_2)
	v_exp_f32_e32 v73, v73
	v_exp_f32_e32 v75, v75
	v_exp_f32_e32 v76, v76
	v_mul_f32_e32 v82, 0x3fb8aa3b, v80
	s_delay_alu instid0(VALU_DEP_1) | instskip(SKIP_4) | instid1(TRANS32_DEP_3)
	v_exp_f32_e32 v84, v82
	v_cndmask_b32_e32 v79, 0, v72, vcc_lo
	v_fma_f32 v72, s19, v140, -v71
	v_mul_f32_e32 v77, 0x3fb8aa3b, v77
	v_cndmask_b32_e64 v78, 0, v73, s2
	v_cndmask_b32_e64 v81, 0, v75, s3
	s_delay_alu instid0(VALU_DEP_4) | instskip(NEXT) | instid1(VALU_DEP_4)
	v_dual_add_f32 v73, 0, v79 :: v_dual_mul_f32 v72, 0x3fb8aa3b, v72
	v_exp_f32_e32 v77, v77
	v_cndmask_b32_e64 v80, 0, v76, s4
	s_delay_alu instid0(TRANS32_DEP_2) | instskip(NEXT) | instid1(VALU_DEP_3)
	v_cndmask_b32_e64 v85, 0, v84, s7
	v_add_f32_e32 v73, v73, v78
	v_exp_f32_e32 v72, v72
	v_cmp_gt_u32_e64 s2, 16, v70
	s_delay_alu instid0(VALU_DEP_2) | instskip(NEXT) | instid1(TRANS32_DEP_2)
	v_add_f32_e32 v73, v73, v81
	v_cndmask_b32_e64 v83, 0, v77, s5
	s_delay_alu instid0(VALU_DEP_2) | instskip(SKIP_3) | instid1(VALU_DEP_1)
	v_add_f32_e32 v73, v73, v80
	s_waitcnt_depctr 0xfff
	v_cndmask_b32_e64 v82, 0, v72, s6
	v_add_f32_e32 v72, v73, v83
	v_add_f32_e32 v72, v72, v82
	s_delay_alu instid0(VALU_DEP_1)
	v_add_f32_e32 v72, v72, v85
	v_fma_f32 v76, s19, v111, -v71
	v_fma_f32 v75, s19, v142, -v71
	v_fma_f32 v77, s19, v112, -v71
	v_fma_f32 v86, s19, v114, -v71
	v_fma_f32 v73, s19, v113, -v71
	s_delay_alu instid0(VALU_DEP_4) | instskip(NEXT) | instid1(VALU_DEP_3)
	v_dual_mul_f32 v76, 0x3fb8aa3b, v76 :: v_dual_mul_f32 v75, 0x3fb8aa3b, v75
	v_mul_f32_e32 v86, 0x3fb8aa3b, v86
	s_delay_alu instid0(VALU_DEP_2) | instskip(NEXT) | instid1(VALU_DEP_2)
	v_exp_f32_e32 v76, v76
	v_exp_f32_e32 v75, v75
	s_delay_alu instid0(VALU_DEP_1) | instskip(NEXT) | instid1(TRANS32_DEP_3)
	v_exp_f32_e32 v88, v86
	v_cndmask_b32_e64 v87, 0, v76, s9
	v_fma_f32 v76, s19, v116, -v71
	v_mul_f32_e32 v77, 0x3fb8aa3b, v77
	s_waitcnt_depctr 0xfff
	v_cndmask_b32_e64 v84, 0, v75, s8
	v_fma_f32 v75, s19, v115, -v71
	v_cndmask_b32_e64 v88, 0, v88, s12
	v_mul_f32_e32 v76, 0x3fb8aa3b, v76
	v_exp_f32_e32 v77, v77
	v_add_f32_e32 v72, v72, v84
	s_delay_alu instid0(VALU_DEP_2) | instskip(NEXT) | instid1(VALU_DEP_1)
	v_exp_f32_e32 v76, v76
	v_add_f32_e32 v72, v72, v87
	s_waitcnt_depctr 0xfff
	v_cndmask_b32_e64 v86, 0, v77, s10
	v_mul_f32_e32 v73, 0x3fb8aa3b, v73
	v_fma_f32 v77, s19, v117, -v71
	v_cndmask_b32_e64 v90, 0, v76, s15
	s_delay_alu instid0(VALU_DEP_4) | instskip(NEXT) | instid1(VALU_DEP_4)
	v_add_f32_e32 v72, v72, v86
	v_exp_f32_e32 v73, v73
	s_waitcnt_depctr 0xfff
	v_cndmask_b32_e64 v89, 0, v73, s11
	s_delay_alu instid0(VALU_DEP_1) | instskip(NEXT) | instid1(VALU_DEP_1)
	v_dual_mul_f32 v75, 0x3fb8aa3b, v75 :: v_dual_add_f32 v72, v72, v89
	v_exp_f32_e32 v75, v75
	v_mul_f32_e32 v73, 0x3fb8aa3b, v77
	v_fma_f32 v77, s19, v118, -v71
	s_delay_alu instid0(VALU_DEP_3) | instskip(NEXT) | instid1(VALU_DEP_3)
	v_add_f32_e32 v72, v72, v88
	v_exp_f32_e32 v73, v73
	s_waitcnt_depctr 0xfff
	v_cndmask_b32_e64 v91, 0, v75, s13
	s_delay_alu instid0(VALU_DEP_1) | instskip(NEXT) | instid1(VALU_DEP_1)
	v_dual_mul_f32 v75, 0x3fb8aa3b, v77 :: v_dual_add_f32 v72, v72, v91
	v_exp_f32_e32 v75, v75
	v_cndmask_b32_e64 v93, 0, v73, s16
	s_delay_alu instid0(VALU_DEP_2) | instskip(NEXT) | instid1(VALU_DEP_1)
	v_add_f32_e32 v72, v72, v90
	v_add_f32_e32 v72, v72, v93
	s_waitcnt_depctr 0xfff
	v_cndmask_b32_e64 v92, 0, v75, s17
	s_delay_alu instid0(VALU_DEP_1)
	v_add_f32_e32 v72, v72, v92
	ds_bpermute_b32 v73, v74, v72
	s_and_saveexec_b32 s3, s2
	s_cbranch_execz .LBB1082_12
; %bb.11:
	v_mul_u32_u24_e32 v70, 0x44, v69
	s_waitcnt lgkmcnt(0)
	v_add_f32_e32 v72, v72, v73
	s_delay_alu instid0(VALU_DEP_2) | instskip(NEXT) | instid1(VALU_DEP_1)
	v_lshl_add_u32 v70, v68, 2, v70
	v_add_nc_u32_e32 v70, 0x4000, v70
	ds_store_2addr_b32 v70, v71, v72 offset1:136
.LBB1082_12:
	s_or_b32 exec_lo, exec_lo, s3
	v_lshlrev_b32_e32 v70, 2, v68
	s_load_b32 s35, s[0:1], 0x94
	s_waitcnt lgkmcnt(0)
	s_barrier
	buffer_gl0_inv
	v_add_nc_u32_e32 v98, 0x4000, v70
	v_cmp_eq_u32_e32 vcc_lo, 1, v69
	v_cmp_eq_u32_e64 s3, 2, v69
	v_cmp_eq_u32_e64 s4, 3, v69
	;; [unrolled: 1-line block ×3, first 2 shown]
	ds_load_2addr_b32 v[70:71], v98 offset1:17
	ds_load_2addr_b32 v[72:73], v98 offset0:34 offset1:51
	ds_load_2addr_b32 v[74:75], v98 offset0:68 offset1:85
	;; [unrolled: 1-line block ×3, first 2 shown]
	v_cmp_eq_u32_e64 s6, 5, v69
	v_cmp_eq_u32_e64 s7, 7, v69
	s_waitcnt lgkmcnt(3)
	v_max3_f32 v76, v70, 0xff7fffff, v71
	s_waitcnt lgkmcnt(2)
	s_delay_alu instid0(VALU_DEP_1) | instskip(SKIP_1) | instid1(VALU_DEP_1)
	v_max3_f32 v76, v76, v72, v73
	s_waitcnt lgkmcnt(1)
	v_max3_f32 v76, v76, v74, v75
	s_waitcnt lgkmcnt(0)
	s_delay_alu instid0(VALU_DEP_1) | instskip(NEXT) | instid1(VALU_DEP_1)
	v_max3_f32 v76, v76, v94, v95
	v_sub_f32_e32 v77, v71, v76
	ds_load_2addr_b32 v[96:97], v98 offset0:136 offset1:153
	v_sub_f32_e32 v74, v74, v76
	v_sub_f32_e32 v70, v70, v76
	;; [unrolled: 1-line block ×3, first 2 shown]
	v_dual_sub_f32 v72, v72, v76 :: v_dual_mul_f32 v77, 0x3fb8aa3b, v77
	s_delay_alu instid0(VALU_DEP_4) | instskip(NEXT) | instid1(VALU_DEP_4)
	v_mul_f32_e32 v103, 0x3fb8aa3b, v74
	v_mul_f32_e32 v99, 0x3fb8aa3b, v70
	ds_load_2addr_b32 v[70:71], v98 offset0:170 offset1:187
	v_dual_mul_f32 v101, 0x3fb8aa3b, v72 :: v_dual_mul_f32 v94, 0x3fb8aa3b, v94
	v_exp_f32_e32 v102, v77
	v_exp_f32_e32 v99, v99
	s_delay_alu instid0(VALU_DEP_1) | instskip(NEXT) | instid1(VALU_DEP_1)
	v_exp_f32_e32 v101, v101
	v_exp_f32_e32 v94, v94
	s_waitcnt lgkmcnt(1)
	s_delay_alu instid0(TRANS32_DEP_3)
	v_fma_f32 v77, v99, v96, 0
	v_sub_f32_e32 v100, v73, v76
	ds_load_2addr_b32 v[72:73], v98 offset0:204 offset1:221
	v_fmac_f32_e32 v77, v102, v97
	v_exp_f32_e32 v97, v103
	s_waitcnt lgkmcnt(1)
	s_delay_alu instid0(VALU_DEP_1)
	v_dual_fmac_f32 v77, v101, v70 :: v_dual_sub_f32 v96, v75, v76
	ds_load_2addr_b32 v[74:75], v98 offset0:238 offset1:255
	v_sub_f32_e32 v70, v95, v76
	s_waitcnt lgkmcnt(0)
	s_barrier
	v_mul_f32_e32 v96, 0x3fb8aa3b, v96
	buffer_gl0_inv
	v_exp_f32_e32 v95, v96
	v_mul_f32_e32 v100, 0x3fb8aa3b, v100
	s_delay_alu instid0(VALU_DEP_1) | instskip(SKIP_3) | instid1(VALU_DEP_2)
	v_exp_f32_e32 v100, v100
	s_waitcnt_depctr 0xfff
	v_dual_fmac_f32 v77, v100, v71 :: v_dual_mul_f32 v70, 0x3fb8aa3b, v70
	v_cndmask_b32_e32 v71, v99, v102, vcc_lo
	v_fmac_f32_e32 v77, v97, v72
	s_delay_alu instid0(VALU_DEP_3) | instskip(NEXT) | instid1(VALU_DEP_1)
	v_exp_f32_e32 v96, v70
	v_fmac_f32_e32 v77, v95, v73
	s_delay_alu instid0(VALU_DEP_1) | instskip(SKIP_2) | instid1(VALU_DEP_1)
	v_fmac_f32_e32 v77, v94, v74
	s_waitcnt_depctr 0xfff
	v_fmac_f32_e32 v77, v96, v75
	v_add_f32_e32 v74, 0x358637bd, v77
	s_delay_alu instid0(VALU_DEP_1) | instskip(SKIP_1) | instid1(VALU_DEP_2)
	v_div_scale_f32 v98, null, v74, v74, 1.0
	v_div_scale_f32 v99, vcc_lo, 1.0, v74, 1.0
	v_rcp_f32_e32 v103, v98
	s_waitcnt_depctr 0xfff
	v_fma_f32 v70, -v98, v103, 1.0
	s_delay_alu instid0(VALU_DEP_1) | instskip(SKIP_2) | instid1(VALU_DEP_2)
	v_fmac_f32_e32 v103, v70, v103
	v_cndmask_b32_e64 v70, v71, v101, s3
	v_cmp_eq_u32_e64 s3, 6, v69
	v_cndmask_b32_e64 v71, v70, v100, s4
	s_delay_alu instid0(VALU_DEP_4) | instskip(NEXT) | instid1(VALU_DEP_2)
	v_dual_mul_f32 v101, v99, v103 :: v_dual_lshlrev_b32 v70, 2, v66
	v_cndmask_b32_e64 v71, v71, v97, s5
	s_delay_alu instid0(VALU_DEP_2) | instskip(NEXT) | instid1(VALU_DEP_3)
	v_or_b32_e32 v72, 1, v70
	v_fma_f32 v100, -v98, v101, v99
	v_cmp_eq_u32_e64 s4, 1, v70
	v_cmp_eq_u32_e64 s5, 2, v70
	v_cndmask_b32_e64 v95, v71, v95, s6
	v_or_b32_e32 v71, 3, v70
	v_fmac_f32_e32 v101, v100, v103
	v_cmp_eq_u32_e64 s9, 1, v72
	v_cmp_eq_u32_e64 s12, 2, v72
	v_cndmask_b32_e64 v94, v95, v94, s3
	v_cmp_eq_u32_e64 s11, 1, v71
	v_fma_f32 v97, -v98, v101, v99
	v_cmp_eq_u32_e64 s16, 2, v71
	v_cmp_eq_u32_e64 s13, 3, v72
	v_cndmask_b32_e64 v94, v94, v96, s7
	v_cmp_eq_u32_e64 s18, 3, v71
	v_div_fmas_f32 v95, v97, v103, v101
	v_cmp_eq_u32_e32 vcc_lo, 3, v70
	v_cmp_eq_u32_e64 s3, 4, v70
	v_cmp_eq_u32_e64 s19, 4, v72
	;; [unrolled: 1-line block ×3, first 2 shown]
	v_div_fixup_f32 v95, v95, v74, 1.0
	v_lshlrev_b32_e32 v73, 6, v68
	v_cmp_eq_u32_e64 s6, 5, v70
	v_cmp_eq_u32_e64 s20, 5, v72
	;; [unrolled: 1-line block ×3, first 2 shown]
	v_mul_f32_e32 v102, v94, v95
	v_lshl_or_b32 v75, v69, 11, v73
	v_or_b32_e32 v69, 2, v70
	v_cmp_eq_u32_e64 s25, 6, v72
	v_cmp_eq_u32_e64 s27, 6, v71
	v_fma_mixlo_f16 v94, v102, v79, 0
	v_fma_mixlo_f16 v95, v102, v81, 0
	;; [unrolled: 1-line block ×8, first 2 shown]
	v_lshl_or_b32 v74, v66, 4, v75
	v_fma_mixhi_f16 v94, v102, v78, 0
	v_fma_mixhi_f16 v95, v102, v80, 0
	;; [unrolled: 1-line block ×8, first 2 shown]
	ds_store_b128 v74, v[94:97]
	ds_store_b128 v74, v[98:101] offset:1024
	s_waitcnt lgkmcnt(0)
	s_barrier
	buffer_gl0_inv
	ds_load_b128 v[78:81], v75
	ds_load_b128 v[82:85], v75 offset:16
	ds_load_b128 v[86:89], v75 offset:1024
	;; [unrolled: 1-line block ×3, first 2 shown]
	v_cmp_eq_u32_e64 s10, 1, v69
	v_cmp_eq_u32_e64 s15, 2, v69
	;; [unrolled: 1-line block ×11, first 2 shown]
	s_waitcnt lgkmcnt(3)
	v_lshrrev_b32_e32 v94, 16, v78
	s_waitcnt lgkmcnt(2)
	v_lshrrev_b32_e32 v98, 16, v82
	;; [unrolled: 2-line block ×4, first 2 shown]
	v_lshrrev_b32_e32 v95, 16, v79
	v_cndmask_b32_e64 v110, v78, v94, s4
	v_cndmask_b32_e64 v111, v82, v98, s4
	;; [unrolled: 1-line block ×8, first 2 shown]
	v_lshrrev_b32_e32 v99, 16, v83
	v_cndmask_b32_e64 v94, v86, v102, s4
	v_cndmask_b32_e64 v98, v90, v106, s4
	;; [unrolled: 1-line block ×15, first 2 shown]
	v_lshrrev_b32_e32 v103, 16, v87
	v_lshrrev_b32_e32 v107, 16, v91
	v_cndmask_b32_e64 v113, v115, v83, s15
	v_cndmask_b32_e64 v82, v94, v87, s5
	v_cndmask_b32_e64 v83, v98, v91, s5
	v_cndmask_b32_e64 v94, v116, v87, s12
	v_cndmask_b32_e64 v98, v118, v87, s15
	v_cndmask_b32_e64 v86, v86, v87, s16
	v_cndmask_b32_e64 v87, v90, v91, s16
	v_cndmask_b32_e32 v90, v102, v95, vcc_lo
	v_cndmask_b32_e32 v102, v106, v99, vcc_lo
	v_cndmask_b32_e64 v106, v110, v95, s13
	v_cndmask_b32_e64 v110, v111, v99, s13
	;; [unrolled: 1-line block ×4, first 2 shown]
	v_lshrrev_b32_e32 v96, 16, v80
	v_lshrrev_b32_e32 v100, 16, v84
	v_cndmask_b32_e64 v111, v112, v95, s17
	v_cndmask_b32_e64 v112, v113, v99, s17
	v_cndmask_b32_e32 v82, v82, v103, vcc_lo
	v_cndmask_b32_e32 v83, v83, v107, vcc_lo
	v_cndmask_b32_e64 v94, v94, v103, s13
	v_cndmask_b32_e64 v90, v90, v80, s3
	v_cndmask_b32_e64 v95, v102, v84, s3
	v_cndmask_b32_e64 v99, v106, v80, s19
	v_cndmask_b32_e64 v102, v110, v84, s19
	v_cndmask_b32_e64 v78, v78, v80, s22
	v_cndmask_b32_e64 v79, v79, v84, s22
	v_lshrrev_b32_e32 v104, 16, v88
	v_cndmask_b32_e64 v106, v111, v80, s21
	v_cndmask_b32_e64 v110, v112, v84, s21
	;; [unrolled: 1-line block ×11, first 2 shown]
	v_lshrrev_b32_e32 v97, 16, v81
	v_lshrrev_b32_e32 v101, 16, v85
	v_cndmask_b32_e64 v99, v106, v96, s23
	v_cndmask_b32_e64 v102, v110, v100, s23
	;; [unrolled: 1-line block ×7, first 2 shown]
	v_lshrrev_b32_e32 v105, 16, v89
	v_cndmask_b32_e64 v80, v80, v104, s6
	v_cndmask_b32_e64 v84, v84, v81, s7
	;; [unrolled: 1-line block ×16, first 2 shown]
	v_perm_b32 v81, v79, v78, 0x5040100
	v_perm_b32 v79, v95, v85, 0x5040100
	v_cndmask_b32_e64 v78, v119, v91, s15
	v_cndmask_b32_e64 v85, v117, v91, s12
	;; [unrolled: 1-line block ×3, first 2 shown]
	v_perm_b32 v80, v94, v90, 0x5040100
	v_cndmask_b32_e64 v90, v98, v103, s17
	v_cndmask_b32_e64 v86, v86, v103, s18
	;; [unrolled: 1-line block ×5, first 2 shown]
	v_lshrrev_b32_e32 v108, 16, v92
	v_cndmask_b32_e64 v90, v90, v88, s21
	v_cndmask_b32_e64 v86, v86, v88, s22
	;; [unrolled: 1-line block ×11, first 2 shown]
	v_lshrrev_b32_e32 v109, 16, v93
	v_cndmask_b32_e64 v82, v82, v93, s7
	v_cndmask_b32_e64 v88, v88, v89, s26
	;; [unrolled: 1-line block ×12, first 2 shown]
	v_perm_b32 v78, v84, v83, 0x5040100
	v_perm_b32 v85, v87, v86, 0x5040100
	;; [unrolled: 1-line block ×5, first 2 shown]
	s_mul_i32 s8, s33, 13
	s_mov_b32 s3, exec_lo
	ds_store_b128 v74, v[78:81]
	ds_store_b128 v74, v[82:85] offset:1024
	v_cmpx_gt_u32_e32 13, v0
	s_cbranch_execz .LBB1082_14
; %bb.13:
	s_mul_i32 s4, s8, s34
	s_delay_alu instid0(SALU_CYCLE_1) | instskip(SKIP_1) | instid1(VALU_DEP_1)
	v_add3_u32 v68, s4, s31, v68
	s_load_b128 s[4:7], s[0:1], 0x58
	v_mad_u64_u32 v[78:79], null, v68, s35, s[14:15]
	s_delay_alu instid0(VALU_DEP_1) | instskip(NEXT) | instid1(VALU_DEP_1)
	v_ashrrev_i32_e32 v79, 31, v78
	v_lshlrev_b64 v[78:79], 2, v[78:79]
	s_waitcnt lgkmcnt(0)
	s_delay_alu instid0(VALU_DEP_1) | instskip(NEXT) | instid1(VALU_DEP_2)
	v_add_co_u32 v80, vcc_lo, s6, v78
	v_add_co_ci_u32_e32 v81, vcc_lo, s7, v79, vcc_lo
	v_add_co_u32 v78, vcc_lo, s4, v78
	v_add_co_ci_u32_e32 v79, vcc_lo, s5, v79, vcc_lo
	global_store_b32 v[80:81], v76, off
	global_store_b32 v[78:79], v77, off
.LBB1082_14:
	s_or_b32 exec_lo, exec_lo, s3
	s_waitcnt lgkmcnt(0)
	s_waitcnt_vscnt null, 0x0
	s_barrier
	buffer_gl0_inv
	ds_load_b128 v[84:87], v73
	ds_load_b128 v[88:91], v73 offset:16
	ds_load_b128 v[96:99], v73 offset:2064
	;; [unrolled: 1-line block ×5, first 2 shown]
	v_cmp_eq_u32_e32 vcc_lo, 1, v70
	v_mov_b32_e32 v76, 0
	ds_load_b128 v[112:115], v73 offset:6160
	ds_load_b128 v[108:111], v73 offset:6144
	;; [unrolled: 1-line block ×4, first 2 shown]
	v_cmp_eq_u32_e64 s4, 1, v69
	v_cmp_eq_u32_e64 s3, 1, v72
	;; [unrolled: 1-line block ×3, first 2 shown]
	v_mov_b32_e32 v77, v76
	v_mov_b32_e32 v78, v76
	;; [unrolled: 1-line block ×7, first 2 shown]
	v_cmp_eq_u32_e64 s6, 3, v72
	v_cmp_eq_u32_e64 s7, 7, v72
	s_waitcnt lgkmcnt(8)
	s_delay_alu instid0(VALU_DEP_3)
	v_wmma_f32_16x16x16_f16 v[76:83], v[49:56], v[84:91], v[76:83]
	ds_load_b128 v[53:56], v73 offset:10256
	ds_load_b128 v[49:52], v73 offset:10240
	s_waitcnt lgkmcnt(8)
	v_wmma_f32_16x16x16_f16 v[76:83], v[41:48], v[92:99], v[76:83]
	ds_load_b128 v[45:48], v73 offset:12304
	ds_load_b128 v[41:44], v73 offset:12288
	s_waitcnt lgkmcnt(8)
	;; [unrolled: 4-line block ×3, first 2 shown]
	s_barrier
	buffer_gl0_inv
	v_wmma_f32_16x16x16_f16 v[76:83], v[1:8], v[108:115], v[76:83]
	s_delay_alu instid0(VALU_DEP_1) | instskip(NEXT) | instid1(VALU_DEP_1)
	v_wmma_f32_16x16x16_f16 v[76:83], v[9:16], v[116:123], v[76:83]
	v_wmma_f32_16x16x16_f16 v[76:83], v[17:24], v[49:56], v[76:83]
	s_delay_alu instid0(VALU_DEP_1) | instskip(NEXT) | instid1(VALU_DEP_1)
	v_wmma_f32_16x16x16_f16 v[76:83], v[25:32], v[41:48], v[76:83]
	v_wmma_f32_16x16x16_f16 v[76:83], v[57:64], v[33:40], v[76:83]
	s_delay_alu instid0(VALU_DEP_1) | instskip(NEXT) | instid1(VALU_DEP_2)
	v_cvt_f16_f32_e32 v1, v76
	v_cvt_f16_f32_e32 v2, v77
	s_delay_alu instid0(VALU_DEP_3) | instskip(NEXT) | instid1(VALU_DEP_4)
	v_cvt_f16_f32_e32 v3, v78
	v_cvt_f16_f32_e32 v4, v79
	;; [unrolled: 1-line block ×6, first 2 shown]
	v_pack_b32_f16 v1, v1, v2
	v_pack_b32_f16 v2, v3, v4
	;; [unrolled: 1-line block ×3, first 2 shown]
	s_delay_alu instid0(VALU_DEP_4)
	v_pack_b32_f16 v4, v7, v8
	ds_store_b128 v74, v[1:4]
	s_waitcnt lgkmcnt(0)
	s_barrier
	buffer_gl0_inv
	ds_load_b128 v[1:4], v75
	ds_load_b128 v[5:8], v75 offset:16
	s_waitcnt lgkmcnt(1)
	v_lshrrev_b32_e32 v9, 16, v1
	s_waitcnt lgkmcnt(0)
	v_lshrrev_b32_e32 v13, 16, v5
	v_lshrrev_b32_e32 v10, 16, v2
	;; [unrolled: 1-line block ×4, first 2 shown]
	v_cndmask_b32_e32 v17, v1, v9, vcc_lo
	v_cndmask_b32_e32 v18, v5, v13, vcc_lo
	v_cndmask_b32_e64 v21, v1, v9, s4
	v_cmp_eq_u32_e32 vcc_lo, 1, v71
	v_cndmask_b32_e64 v22, v5, v13, s4
	v_cmp_eq_u32_e64 s4, 2, v70
	v_cndmask_b32_e64 v19, v1, v9, s3
	v_cndmask_b32_e64 v20, v5, v13, s3
	v_cndmask_b32_e32 v1, v1, v9, vcc_lo
	v_cmp_eq_u32_e64 s3, 2, v71
	v_cndmask_b32_e32 v5, v5, v13, vcc_lo
	v_cndmask_b32_e64 v9, v17, v2, s4
	v_cmp_eq_u32_e32 vcc_lo, 3, v70
	v_cndmask_b32_e64 v13, v18, v6, s4
	v_cmp_eq_u32_e64 s4, 2, v69
	v_cndmask_b32_e64 v17, v19, v2, s5
	v_cndmask_b32_e64 v18, v20, v6, s5
	v_cmp_eq_u32_e64 s5, 3, v69
	v_cndmask_b32_e64 v1, v1, v2, s3
	v_cndmask_b32_e64 v19, v21, v2, s4
	;; [unrolled: 1-line block ×4, first 2 shown]
	v_cndmask_b32_e32 v5, v9, v10, vcc_lo
	v_cndmask_b32_e32 v6, v13, v14, vcc_lo
	v_cmp_eq_u32_e32 vcc_lo, 3, v71
	v_cndmask_b32_e64 v9, v17, v10, s6
	v_cndmask_b32_e64 v13, v18, v14, s6
	;; [unrolled: 1-line block ×3, first 2 shown]
	v_cmp_eq_u32_e64 s4, 4, v70
	v_cndmask_b32_e32 v1, v1, v10, vcc_lo
	v_cndmask_b32_e32 v2, v2, v14, vcc_lo
	v_cmp_eq_u32_e32 vcc_lo, 4, v72
	v_lshrrev_b32_e32 v15, 16, v7
	v_lshrrev_b32_e32 v16, 16, v8
	v_cndmask_b32_e64 v17, v19, v10, s5
	v_cmp_eq_u32_e64 s3, 4, v71
	v_cndmask_b32_e64 v5, v5, v3, s4
	v_cndmask_b32_e64 v6, v6, v7, s4
	v_cndmask_b32_e32 v9, v9, v3, vcc_lo
	v_cmp_eq_u32_e64 s4, 5, v72
	v_cndmask_b32_e32 v10, v13, v7, vcc_lo
	v_cmp_eq_u32_e32 vcc_lo, 4, v69
	v_cmp_eq_u32_e64 s5, 5, v70
	v_cndmask_b32_e64 v2, v2, v7, s3
	v_cndmask_b32_e64 v9, v9, v11, s4
	v_cndmask_b32_e64 v10, v10, v15, s4
	v_cndmask_b32_e32 v13, v17, v3, vcc_lo
	v_cmp_eq_u32_e64 s4, 5, v69
	v_cndmask_b32_e32 v14, v18, v7, vcc_lo
	v_cndmask_b32_e64 v1, v1, v3, s3
	v_cmp_eq_u32_e32 vcc_lo, 5, v71
	v_lshrrev_b32_e32 v12, 16, v4
	v_cndmask_b32_e64 v13, v13, v11, s4
	v_cndmask_b32_e64 v3, v14, v15, s4
	v_cmp_eq_u32_e64 s4, 6, v71
	v_cndmask_b32_e32 v1, v1, v11, vcc_lo
	v_cndmask_b32_e64 v5, v5, v11, s5
	v_cmp_eq_u32_e64 s6, 6, v70
	v_cndmask_b32_e64 v6, v6, v15, s5
	v_cmp_eq_u32_e64 s5, 6, v72
	v_cmp_eq_u32_e64 s3, 6, v69
	v_cndmask_b32_e64 v1, v1, v4, s4
	v_cndmask_b32_e32 v2, v2, v15, vcc_lo
	v_cmp_eq_u32_e32 vcc_lo, 7, v71
	v_cndmask_b32_e64 v5, v5, v4, s6
	v_cndmask_b32_e64 v9, v9, v4, s5
	;; [unrolled: 1-line block ×3, first 2 shown]
	v_cmp_eq_u32_e64 s6, 7, v70
	v_cndmask_b32_e32 v1, v1, v12, vcc_lo
	v_cndmask_b32_e64 v7, v13, v4, s3
	v_cndmask_b32_e64 v3, v3, v8, s3
	;; [unrolled: 1-line block ×3, first 2 shown]
	v_cmp_eq_u32_e64 s3, 7, v69
	v_cndmask_b32_e64 v4, v10, v8, s5
	v_cndmask_b32_e64 v5, v5, v12, s6
	;; [unrolled: 1-line block ×3, first 2 shown]
	v_cndmask_b32_e32 v2, v2, v16, vcc_lo
	v_cndmask_b32_e64 v7, v7, v12, s3
	v_cndmask_b32_e64 v3, v3, v16, s3
	;; [unrolled: 1-line block ×4, first 2 shown]
	v_perm_b32 v4, v2, v1, 0x5040100
	s_mov_b32 s3, exec_lo
	v_perm_b32 v3, v3, v7, 0x5040100
	v_perm_b32 v2, v8, v9, 0x5040100
	;; [unrolled: 1-line block ×3, first 2 shown]
	ds_store_b128 v74, v[1:4]
	s_waitcnt lgkmcnt(0)
	s_barrier
	buffer_gl0_inv
	v_cmpx_gt_u32_e32 32, v0
	s_cbranch_execz .LBB1082_2
; %bb.15:
	s_load_b64 s[4:5], s[0:1], 0x68
	v_lshlrev_b32_e32 v0, 10, v0
	v_lshlrev_b32_e32 v1, 4, v67
	s_lshl_b32 s0, s35, 7
	v_add_nc_u32_e32 v18, s31, v66
	s_mul_i32 s1, s0, s34
	s_delay_alu instid0(VALU_DEP_2) | instskip(SKIP_1) | instid1(VALU_DEP_2)
	v_and_or_b32 v0, 0x3800, v0, v1
	s_mul_i32 s6, s1, s8
	v_mul_lo_u32 v1, v18, s0
	s_ashr_i32 s7, s6, 31
	v_add_nc_u32_e32 v2, 2, v18
	v_lshl_or_b32 v19, v66, 6, v0
	s_lshl_b64 s[6:7], s[6:7], 1
	v_add_nc_u32_e32 v8, 4, v18
	v_add_nc_u32_e32 v15, 6, v18
	v_mul_lo_u32 v7, v2, s0
	ds_load_b128 v[3:6], v19
	v_ashrrev_i32_e32 v2, 31, v1
	v_mul_lo_u32 v11, v8, s0
	s_waitcnt lgkmcnt(0)
	s_add_u32 s1, s4, s6
	s_addc_u32 s3, s5, s7
	s_lshl_b32 s4, s14, 7
	v_lshlrev_b64 v[9:10], 1, v[1:2]
	s_ashr_i32 s5, s4, 31
	v_ashrrev_i32_e32 v8, 31, v7
	s_lshl_b64 s[4:5], s[4:5], 1
	v_ashrrev_i32_e32 v12, 31, v11
	s_add_u32 s1, s1, s4
	s_addc_u32 s3, s3, s5
	v_add_co_u32 v1, s1, s1, v65
	s_delay_alu instid0(VALU_DEP_1) | instskip(SKIP_1) | instid1(VALU_DEP_3)
	v_add_co_ci_u32_e64 v2, null, s3, 0, s1
	v_mul_lo_u32 v15, v15, s0
	v_add_co_u32 v13, vcc_lo, v1, v9
	s_delay_alu instid0(VALU_DEP_3)
	v_add_co_ci_u32_e32 v14, vcc_lo, v2, v10, vcc_lo
	v_lshlrev_b64 v[16:17], 1, v[7:8]
	ds_load_b128 v[7:10], v19 offset:128
	global_store_b128 v[13:14], v[3:6], off
	v_add_nc_u32_e32 v5, 8, v18
	v_lshlrev_b64 v[3:4], 1, v[11:12]
	v_add_co_u32 v23, vcc_lo, v1, v16
	v_ashrrev_i32_e32 v16, 31, v15
	s_delay_alu instid0(VALU_DEP_4) | instskip(SKIP_3) | instid1(VALU_DEP_3)
	v_mul_lo_u32 v25, v5, s0
	v_add_nc_u32_e32 v5, 10, v18
	v_add_co_ci_u32_e32 v24, vcc_lo, v2, v17, vcc_lo
	v_add_co_u32 v27, vcc_lo, v1, v3
	v_mul_lo_u32 v29, v5, s0
	v_add_co_ci_u32_e32 v28, vcc_lo, v2, v4, vcc_lo
	v_lshlrev_b64 v[31:32], 1, v[15:16]
	ds_load_b128 v[3:6], v19 offset:256
	ds_load_b128 v[11:14], v19 offset:384
	;; [unrolled: 1-line block ×4, first 2 shown]
	v_ashrrev_i32_e32 v26, 31, v25
	v_ashrrev_i32_e32 v30, 31, v29
	v_add_co_u32 v31, vcc_lo, v1, v31
	s_delay_alu instid0(VALU_DEP_3) | instskip(SKIP_1) | instid1(VALU_DEP_4)
	v_lshlrev_b64 v[25:26], 1, v[25:26]
	v_add_co_ci_u32_e32 v32, vcc_lo, v2, v32, vcc_lo
	v_lshlrev_b64 v[29:30], 1, v[29:30]
	s_delay_alu instid0(VALU_DEP_3) | instskip(NEXT) | instid1(VALU_DEP_4)
	v_add_co_u32 v25, vcc_lo, v1, v25
	v_add_co_ci_u32_e32 v26, vcc_lo, v2, v26, vcc_lo
	s_delay_alu instid0(VALU_DEP_3) | instskip(NEXT) | instid1(VALU_DEP_4)
	v_add_co_u32 v29, vcc_lo, v1, v29
	v_add_co_ci_u32_e32 v30, vcc_lo, v2, v30, vcc_lo
	s_waitcnt lgkmcnt(4)
	global_store_b128 v[23:24], v[7:10], off
	s_waitcnt lgkmcnt(3)
	global_store_b128 v[27:28], v[3:6], off
	;; [unrolled: 2-line block ×5, first 2 shown]
	s_and_b32 exec_lo, exec_lo, s2
	s_cbranch_execz .LBB1082_2
; %bb.16:
	ds_load_b128 v[3:6], v0 offset:768
	s_add_i32 s1, s31, 12
	s_delay_alu instid0(SALU_CYCLE_1) | instskip(NEXT) | instid1(SALU_CYCLE_1)
	s_mul_i32 s0, s1, s0
	s_ashr_i32 s1, s0, 31
	s_delay_alu instid0(SALU_CYCLE_1) | instskip(NEXT) | instid1(SALU_CYCLE_1)
	s_lshl_b64 s[0:1], s[0:1], 1
	v_add_co_u32 v0, vcc_lo, v1, s0
	v_add_co_ci_u32_e32 v1, vcc_lo, s1, v2, vcc_lo
	s_waitcnt lgkmcnt(0)
	global_store_b128 v[0:1], v[3:6], off
	s_nop 0
	s_sendmsg sendmsg(MSG_DEALLOC_VGPRS)
	s_endpgm
	.section	.rodata,"a",@progbits
	.p2align	6, 0x0
	.amdhsa_kernel _Z39paged_attention_ll4mi_QKV_mfma16_kernelIDF16_hLN4vllm18Fp8KVCacheDataTypeE1EDF16_Li32ELi128ELi256ELb0ELi13EL8MFMAType1EEvPKT_PKT0_S8_ifPKiSA_SA_iPKfiiiPfSD_PS3_PT2_iSC_SC_
		.amdhsa_group_segment_fixed_size 17472
		.amdhsa_private_segment_fixed_size 0
		.amdhsa_kernarg_size 400
		.amdhsa_user_sgpr_count 13
		.amdhsa_user_sgpr_dispatch_ptr 0
		.amdhsa_user_sgpr_queue_ptr 0
		.amdhsa_user_sgpr_kernarg_segment_ptr 1
		.amdhsa_user_sgpr_dispatch_id 0
		.amdhsa_user_sgpr_private_segment_size 0
		.amdhsa_wavefront_size32 1
		.amdhsa_uses_dynamic_stack 0
		.amdhsa_enable_private_segment 0
		.amdhsa_system_sgpr_workgroup_id_x 1
		.amdhsa_system_sgpr_workgroup_id_y 1
		.amdhsa_system_sgpr_workgroup_id_z 1
		.amdhsa_system_sgpr_workgroup_info 0
		.amdhsa_system_vgpr_workitem_id 0
		.amdhsa_next_free_vgpr 150
		.amdhsa_next_free_sgpr 37
		.amdhsa_reserve_vcc 1
		.amdhsa_float_round_mode_32 0
		.amdhsa_float_round_mode_16_64 0
		.amdhsa_float_denorm_mode_32 3
		.amdhsa_float_denorm_mode_16_64 3
		.amdhsa_dx10_clamp 1
		.amdhsa_ieee_mode 1
		.amdhsa_fp16_overflow 0
		.amdhsa_workgroup_processor_mode 1
		.amdhsa_memory_ordered 1
		.amdhsa_forward_progress 0
		.amdhsa_shared_vgpr_count 0
		.amdhsa_exception_fp_ieee_invalid_op 0
		.amdhsa_exception_fp_denorm_src 0
		.amdhsa_exception_fp_ieee_div_zero 0
		.amdhsa_exception_fp_ieee_overflow 0
		.amdhsa_exception_fp_ieee_underflow 0
		.amdhsa_exception_fp_ieee_inexact 0
		.amdhsa_exception_int_div_zero 0
	.end_amdhsa_kernel
	.section	.text._Z39paged_attention_ll4mi_QKV_mfma16_kernelIDF16_hLN4vllm18Fp8KVCacheDataTypeE1EDF16_Li32ELi128ELi256ELb0ELi13EL8MFMAType1EEvPKT_PKT0_S8_ifPKiSA_SA_iPKfiiiPfSD_PS3_PT2_iSC_SC_,"axG",@progbits,_Z39paged_attention_ll4mi_QKV_mfma16_kernelIDF16_hLN4vllm18Fp8KVCacheDataTypeE1EDF16_Li32ELi128ELi256ELb0ELi13EL8MFMAType1EEvPKT_PKT0_S8_ifPKiSA_SA_iPKfiiiPfSD_PS3_PT2_iSC_SC_,comdat
.Lfunc_end1082:
	.size	_Z39paged_attention_ll4mi_QKV_mfma16_kernelIDF16_hLN4vllm18Fp8KVCacheDataTypeE1EDF16_Li32ELi128ELi256ELb0ELi13EL8MFMAType1EEvPKT_PKT0_S8_ifPKiSA_SA_iPKfiiiPfSD_PS3_PT2_iSC_SC_, .Lfunc_end1082-_Z39paged_attention_ll4mi_QKV_mfma16_kernelIDF16_hLN4vllm18Fp8KVCacheDataTypeE1EDF16_Li32ELi128ELi256ELb0ELi13EL8MFMAType1EEvPKT_PKT0_S8_ifPKiSA_SA_iPKfiiiPfSD_PS3_PT2_iSC_SC_
                                        ; -- End function
	.section	.AMDGPU.csdata,"",@progbits
; Kernel info:
; codeLenInByte = 6860
; NumSgprs: 39
; NumVgprs: 150
; ScratchSize: 0
; MemoryBound: 0
; FloatMode: 240
; IeeeMode: 1
; LDSByteSize: 17472 bytes/workgroup (compile time only)
; SGPRBlocks: 4
; VGPRBlocks: 18
; NumSGPRsForWavesPerEU: 39
; NumVGPRsForWavesPerEU: 150
; Occupancy: 9
; WaveLimiterHint : 1
; COMPUTE_PGM_RSRC2:SCRATCH_EN: 0
; COMPUTE_PGM_RSRC2:USER_SGPR: 13
; COMPUTE_PGM_RSRC2:TRAP_HANDLER: 0
; COMPUTE_PGM_RSRC2:TGID_X_EN: 1
; COMPUTE_PGM_RSRC2:TGID_Y_EN: 1
; COMPUTE_PGM_RSRC2:TGID_Z_EN: 1
; COMPUTE_PGM_RSRC2:TIDIG_COMP_CNT: 0
	.section	.text._Z39paged_attention_ll4mi_QKV_mfma16_kernelIDF16_hLN4vllm18Fp8KVCacheDataTypeE1EDF16_Li32ELi128ELi256ELb0ELi14EL8MFMAType1EEvPKT_PKT0_S8_ifPKiSA_SA_iPKfiiiPfSD_PS3_PT2_iSC_SC_,"axG",@progbits,_Z39paged_attention_ll4mi_QKV_mfma16_kernelIDF16_hLN4vllm18Fp8KVCacheDataTypeE1EDF16_Li32ELi128ELi256ELb0ELi14EL8MFMAType1EEvPKT_PKT0_S8_ifPKiSA_SA_iPKfiiiPfSD_PS3_PT2_iSC_SC_,comdat
	.protected	_Z39paged_attention_ll4mi_QKV_mfma16_kernelIDF16_hLN4vllm18Fp8KVCacheDataTypeE1EDF16_Li32ELi128ELi256ELb0ELi14EL8MFMAType1EEvPKT_PKT0_S8_ifPKiSA_SA_iPKfiiiPfSD_PS3_PT2_iSC_SC_ ; -- Begin function _Z39paged_attention_ll4mi_QKV_mfma16_kernelIDF16_hLN4vllm18Fp8KVCacheDataTypeE1EDF16_Li32ELi128ELi256ELb0ELi14EL8MFMAType1EEvPKT_PKT0_S8_ifPKiSA_SA_iPKfiiiPfSD_PS3_PT2_iSC_SC_
	.globl	_Z39paged_attention_ll4mi_QKV_mfma16_kernelIDF16_hLN4vllm18Fp8KVCacheDataTypeE1EDF16_Li32ELi128ELi256ELb0ELi14EL8MFMAType1EEvPKT_PKT0_S8_ifPKiSA_SA_iPKfiiiPfSD_PS3_PT2_iSC_SC_
	.p2align	8
	.type	_Z39paged_attention_ll4mi_QKV_mfma16_kernelIDF16_hLN4vllm18Fp8KVCacheDataTypeE1EDF16_Li32ELi128ELi256ELb0ELi14EL8MFMAType1EEvPKT_PKT0_S8_ifPKiSA_SA_iPKfiiiPfSD_PS3_PT2_iSC_SC_,@function
_Z39paged_attention_ll4mi_QKV_mfma16_kernelIDF16_hLN4vllm18Fp8KVCacheDataTypeE1EDF16_Li32ELi128ELi256ELb0ELi14EL8MFMAType1EEvPKT_PKT0_S8_ifPKiSA_SA_iPKfiiiPfSD_PS3_PT2_iSC_SC_: ; @_Z39paged_attention_ll4mi_QKV_mfma16_kernelIDF16_hLN4vllm18Fp8KVCacheDataTypeE1EDF16_Li32ELi128ELi256ELb0ELi14EL8MFMAType1EEvPKT_PKT0_S8_ifPKiSA_SA_iPKfiiiPfSD_PS3_PT2_iSC_SC_
; %bb.0:
	s_load_b64 s[4:5], s[0:1], 0x30
	s_mov_b32 s30, s13
	s_waitcnt lgkmcnt(0)
	s_cmp_lg_u64 s[4:5], 0
	s_cselect_b32 s8, -1, 0
	s_ashr_i32 s31, s13, 31
	s_cmp_eq_u64 s[4:5], 0
	s_cbranch_scc1 .LBB1083_3
; %bb.1:
	s_lshl_b64 s[2:3], s[30:31], 2
	s_delay_alu instid0(SALU_CYCLE_1) | instskip(SKIP_4) | instid1(SALU_CYCLE_1)
	s_add_u32 s2, s4, s2
	s_addc_u32 s3, s5, s3
	s_load_b64 s[2:3], s[2:3], 0x0
	s_waitcnt lgkmcnt(0)
	s_sub_i32 s2, s3, s2
	s_cmp_eq_u32 s2, 1
	s_cselect_b32 s2, -1, 0
	s_delay_alu instid0(SALU_CYCLE_1)
	s_and_not1_b32 vcc_lo, exec_lo, s2
	s_cbranch_vccz .LBB1083_4
.LBB1083_2:
	s_endpgm
.LBB1083_3:
.LBB1083_4:
	s_load_b64 s[2:3], s[0:1], 0x28
	s_lshl_b64 s[6:7], s[30:31], 2
	s_waitcnt lgkmcnt(0)
	s_add_u32 s2, s2, s6
	s_addc_u32 s3, s3, s7
	s_lshl_b32 s12, s14, 8
	s_load_b32 s24, s[2:3], 0x0
	s_waitcnt lgkmcnt(0)
	s_cmp_ge_i32 s12, s24
	s_cbranch_scc1 .LBB1083_2
; %bb.5:
	s_clause 0x1
	s_load_b128 s[20:23], s[0:1], 0x8
	s_load_b64 s[2:3], s[0:1], 0x20
	s_and_not1_b32 vcc_lo, exec_lo, s8
	s_cbranch_vccnz .LBB1083_7
; %bb.6:
	s_add_u32 s4, s4, s6
	s_addc_u32 s5, s5, s7
	s_load_b32 s5, s[4:5], 0x0
	s_branch .LBB1083_8
.LBB1083_7:
	s_mov_b32 s5, s30
.LBB1083_8:
	s_load_b128 s[16:19], s[0:1], 0x48
	v_and_b32_e32 v68, 15, v0
	v_lshrrev_b32_e32 v69, 5, v0
	v_and_b32_e32 v70, 31, v0
	v_and_b32_e32 v67, 1, v0
	v_bfe_u32 v66, v0, 4, 1
	v_lshlrev_b32_e32 v1, 3, v68
	s_mul_i32 s31, s15, 14
	s_mov_b32 s4, exec_lo
	s_delay_alu instid0(VALU_DEP_1)
	v_lshlrev_b32_e32 v65, 1, v1
	v_cmpx_gt_u32_e32 0xe0, v0
	s_cbranch_execz .LBB1083_10
; %bb.9:
	s_load_b64 s[6:7], s[0:1], 0x0
	v_lshl_or_b32 v5, v69, 1, v66
	s_waitcnt lgkmcnt(0)
	s_mul_hi_i32 s9, s5, s16
	s_mul_i32 s8, s5, s16
	v_lshlrev_b32_e32 v6, 10, v68
	s_lshl_b64 s[8:9], s[8:9], 1
	v_add_lshl_u32 v1, v5, s31, 7
	v_lshlrev_b32_e32 v5, 6, v5
	v_lshlrev_b32_e32 v7, 10, v67
	v_and_b32_e32 v6, 0x3800, v6
	s_delay_alu instid0(VALU_DEP_4) | instskip(NEXT) | instid1(VALU_DEP_2)
	v_ashrrev_i32_e32 v2, 31, v1
	v_or3_b32 v5, v6, v7, v5
	s_delay_alu instid0(VALU_DEP_2) | instskip(SKIP_2) | instid1(VALU_DEP_1)
	v_lshlrev_b64 v[1:2], 1, v[1:2]
	s_add_u32 s5, s6, s8
	s_addc_u32 s6, s7, s9
	v_add_co_u32 v1, vcc_lo, s5, v1
	s_delay_alu instid0(VALU_DEP_2) | instskip(NEXT) | instid1(VALU_DEP_2)
	v_add_co_ci_u32_e32 v2, vcc_lo, s6, v2, vcc_lo
	v_add_co_u32 v1, vcc_lo, v1, v65
	s_delay_alu instid0(VALU_DEP_2)
	v_add_co_ci_u32_e32 v2, vcc_lo, 0, v2, vcc_lo
	global_load_b128 v[1:4], v[1:2], off
	s_waitcnt vmcnt(0)
	ds_store_b128 v5, v[1:4]
.LBB1083_10:
	s_or_b32 exec_lo, exec_lo, s4
	v_and_b32_e32 v1, 0xef, v0
	s_waitcnt lgkmcnt(0)
	s_add_i32 s5, s24, 31
	s_clause 0x1
	s_load_b32 s4, s[0:1], 0x38
	s_load_b32 s33, s[0:1], 0x98
	s_ashr_i32 s6, s5, 31
	v_add_nc_u32_e32 v1, s12, v1
	s_lshr_b32 s6, s6, 27
	s_load_b32 s19, s[0:1], 0x1c
	s_add_i32 s5, s5, s6
	s_waitcnt lgkmcnt(0)
	v_ashrrev_i32_e32 v2, 31, v1
	v_or_b32_e32 v3, 16, v1
	s_ashr_i32 s13, s5, 5
	v_cmp_gt_i32_e32 vcc_lo, s24, v1
	s_add_i32 s13, s13, -1
	v_lshrrev_b32_e32 v2, 27, v2
	s_barrier
	buffer_gl0_inv
	s_mul_i32 s15, s15, s18
	v_add_nc_u32_e32 v4, v1, v2
	s_mul_i32 s4, s30, s4
	s_delay_alu instid0(SALU_CYCLE_1) | instskip(NEXT) | instid1(VALU_DEP_1)
	s_ashr_i32 s5, s4, 31
	v_ashrrev_i32_e32 v4, 5, v4
	v_add_nc_u32_e32 v2, v3, v2
	s_lshl_b64 s[4:5], s[4:5], 2
	s_delay_alu instid0(SALU_CYCLE_1) | instskip(NEXT) | instid1(VALU_DEP_2)
	s_add_u32 s16, s2, s4
	v_cndmask_b32_e32 v1, s13, v4, vcc_lo
	s_delay_alu instid0(VALU_DEP_2)
	v_ashrrev_i32_e32 v2, 5, v2
	v_cmp_gt_i32_e32 vcc_lo, s24, v3
	s_addc_u32 s25, s3, s5
	s_ashr_i32 s18, s15, 31
	s_add_u32 s2, s20, s15
	s_addc_u32 s3, s21, s18
	v_cndmask_b32_e32 v3, s13, v2, vcc_lo
	v_ashrrev_i32_e32 v2, 31, v1
	s_lshl_b32 s4, s14, 3
	s_delay_alu instid0(SALU_CYCLE_1) | instskip(NEXT) | instid1(VALU_DEP_2)
	s_ashr_i32 s5, s4, 31
	v_ashrrev_i32_e32 v4, 31, v3
	s_delay_alu instid0(VALU_DEP_2) | instskip(SKIP_1) | instid1(SALU_CYCLE_1)
	v_lshlrev_b64 v[1:2], 2, v[1:2]
	s_lshl_b64 s[4:5], s[4:5], 2
	s_add_u32 s4, s16, s4
	s_delay_alu instid0(VALU_DEP_2) | instskip(SKIP_1) | instid1(VALU_DEP_2)
	v_lshlrev_b64 v[3:4], 2, v[3:4]
	s_addc_u32 s5, s25, s5
	v_add_co_u32 v1, vcc_lo, s16, v1
	v_add_co_ci_u32_e32 v2, vcc_lo, s25, v2, vcc_lo
	s_delay_alu instid0(VALU_DEP_3) | instskip(NEXT) | instid1(VALU_DEP_4)
	v_add_co_u32 v3, vcc_lo, s16, v3
	v_add_co_ci_u32_e32 v4, vcc_lo, s25, v4, vcc_lo
	s_clause 0x1
	global_load_b32 v5, v[1:2], off
	global_load_b32 v6, v[3:4], off
	s_or_b32 s6, s12, 32
	s_delay_alu instid0(SALU_CYCLE_1) | instskip(SKIP_2) | instid1(SALU_CYCLE_1)
	s_ashr_i32 s7, s6, 5
	s_cmp_lt_i32 s6, s24
	s_cselect_b32 s6, s7, s13
	s_ashr_i32 s7, s6, 31
	s_delay_alu instid0(SALU_CYCLE_1) | instskip(NEXT) | instid1(SALU_CYCLE_1)
	s_lshl_b64 s[6:7], s[6:7], 2
	s_add_u32 s6, s16, s6
	s_addc_u32 s7, s25, s7
	s_or_b32 s8, s12, 64
	s_delay_alu instid0(SALU_CYCLE_1) | instskip(SKIP_2) | instid1(SALU_CYCLE_1)
	s_ashr_i32 s9, s8, 5
	s_cmp_lt_i32 s8, s24
	s_cselect_b32 s8, s9, s13
	s_ashr_i32 s9, s8, 31
	s_delay_alu instid0(SALU_CYCLE_1) | instskip(NEXT) | instid1(SALU_CYCLE_1)
	s_lshl_b64 s[8:9], s[8:9], 2
	s_add_u32 s8, s16, s8
	s_addc_u32 s9, s25, s9
	;; [unrolled: 10-line block ×5, first 2 shown]
	s_clause 0x5
	s_load_b32 s28, s[4:5], 0x0
	s_load_b32 s29, s[6:7], 0x0
	;; [unrolled: 1-line block ×6, first 2 shown]
	s_mov_b32 s4, 0
	s_delay_alu instid0(SALU_CYCLE_1)
	s_mov_b32 s5, s4
	s_mov_b32 s6, s4
	s_mov_b32 s7, s4
	s_mov_b32 s8, s4
	s_mov_b32 s9, s4
	s_mov_b32 s10, s4
	s_mov_b32 s11, s4
	s_delay_alu instid0(SALU_CYCLE_1)
	v_dual_mov_b32 v118, s11 :: v_dual_mov_b32 v117, s10
	v_dual_mov_b32 v116, s9 :: v_dual_mov_b32 v115, s8
	v_mov_b32_e32 v113, s6
	v_dual_mov_b32 v111, s4 :: v_dual_mov_b32 v114, s7
	v_mov_b32_e32 v112, s5
	s_waitcnt vmcnt(1)
	v_mad_i64_i32 v[1:2], null, v5, s17, s[2:3]
	v_lshlrev_b32_e32 v5, 4, v68
	s_waitcnt vmcnt(0)
	v_mad_i64_i32 v[3:4], null, v6, s17, s[2:3]
	s_or_b32 s2, s12, 0xc0
	s_delay_alu instid0(SALU_CYCLE_1) | instskip(NEXT) | instid1(VALU_DEP_3)
	s_ashr_i32 s3, s2, 5
	v_add_co_u32 v1, vcc_lo, v1, v5
	s_delay_alu instid0(VALU_DEP_4) | instskip(NEXT) | instid1(VALU_DEP_3)
	v_add_co_ci_u32_e32 v2, vcc_lo, 0, v2, vcc_lo
	v_add_co_u32 v3, vcc_lo, v3, v5
	s_delay_alu instid0(VALU_DEP_4)
	v_add_co_ci_u32_e32 v4, vcc_lo, 0, v4, vcc_lo
	s_clause 0xf
	global_load_b128 v[17:20], v[1:2], off
	global_load_b128 v[21:24], v[1:2], off offset:512
	global_load_b128 v[25:28], v[3:4], off offset:256
	;; [unrolled: 1-line block ×15, first 2 shown]
	s_cmp_lt_i32 s2, s24
	v_add_nc_u32_e32 v1, -14, v68
	s_cselect_b32 s2, s3, s13
	v_cmp_gt_u32_e32 vcc_lo, 14, v68
	s_ashr_i32 s3, s2, 31
	v_lshlrev_b32_e32 v2, 5, v68
	s_lshl_b64 s[2:3], s[2:3], 2
	s_delay_alu instid0(SALU_CYCLE_1)
	s_add_u32 s2, s16, s2
	s_addc_u32 s3, s25, s3
	s_or_b32 s20, s12, 0xe0
	v_cndmask_b32_e32 v1, v1, v68, vcc_lo
	s_ashr_i32 s21, s20, 5
	s_cmp_lt_i32 s20, s24
	s_cselect_b32 s20, s21, s13
	s_delay_alu instid0(VALU_DEP_1)
	v_lshlrev_b32_e32 v149, 6, v1
	s_ashr_i32 s21, s20, 31
	v_lshl_or_b32 v1, v69, 9, v2
	s_lshl_b64 s[4:5], s[20:21], 2
	ds_load_b128 v[119:122], v149
	ds_load_b128 v[123:126], v149 offset:1024
	s_add_u32 s4, s16, s4
	s_addc_u32 s5, s25, s5
	ds_load_b128 v[127:130], v149 offset:2048
	ds_load_b128 v[131:134], v149 offset:3072
	s_clause 0x1
	s_load_b32 s2, s[2:3], 0x0
	s_load_b32 s3, s[4:5], 0x0
	s_add_u32 s6, s22, s15
	s_addc_u32 s7, s23, s18
	v_add_co_u32 v135, s6, s6, v1
	s_delay_alu instid0(VALU_DEP_1) | instskip(SKIP_1) | instid1(VALU_DEP_1)
	v_add_co_ci_u32_e64 v136, null, s7, 0, s6
	s_waitcnt lgkmcnt(0)
	v_mad_i64_i32 v[1:2], null, s28, s17, v[135:136]
	v_mad_i64_i32 v[3:4], null, s29, s17, v[135:136]
	;; [unrolled: 1-line block ×6, first 2 shown]
	s_clause 0x9
	global_load_b128 v[49:52], v[1:2], off
	global_load_b128 v[53:56], v[1:2], off offset:16
	global_load_b128 v[41:44], v[3:4], off
	global_load_b128 v[45:48], v[3:4], off offset:16
	;; [unrolled: 2-line block ×5, first 2 shown]
	v_mad_i64_i32 v[145:146], null, s2, s17, v[135:136]
	v_mad_i64_i32 v[147:148], null, s3, s17, v[135:136]
	s_waitcnt vmcnt(24)
	v_wmma_f32_16x16x16_f16 v[135:142], v[17:24], v[119:126], v[111:118]
	s_waitcnt vmcnt(22)
	v_wmma_f32_16x16x16_f16 v[111:118], v[25:32], v[119:126], v[111:118]
	s_clause 0x3
	global_load_b128 v[17:20], v[143:144], off
	global_load_b128 v[21:24], v[143:144], off offset:16
	global_load_b128 v[25:28], v[145:146], off
	global_load_b128 v[29:32], v[145:146], off offset:16
	v_and_b32_e32 v119, 0xe0, v0
	s_waitcnt vmcnt(24)
	v_wmma_f32_16x16x16_f16 v[135:142], v[57:64], v[127:134], v[135:142]
	s_clause 0x1
	global_load_b128 v[57:60], v[147:148], off
	global_load_b128 v[61:64], v[147:148], off offset:16
	s_waitcnt vmcnt(24)
	v_wmma_f32_16x16x16_f16 v[111:118], v[71:78], v[127:134], v[111:118]
	ds_load_b128 v[71:74], v149 offset:4096
	ds_load_b128 v[75:78], v149 offset:5120
	v_add_nc_u32_e32 v128, s12, v119
	ds_load_b128 v[119:122], v149 offset:6144
	ds_load_b128 v[123:126], v149 offset:7168
	v_mbcnt_lo_u32_b32 v127, -1, 0
	s_waitcnt vmcnt(0) lgkmcnt(0)
	s_barrier
	v_or_b32_e32 v128, v128, v66
	buffer_gl0_inv
	v_xor_b32_e32 v129, 16, v127
	v_or_b32_e32 v130, 4, v128
	v_or_b32_e32 v131, 6, v128
	s_delay_alu instid0(VALU_DEP_3) | instskip(SKIP_4) | instid1(VALU_DEP_4)
	v_cmp_gt_i32_e32 vcc_lo, 32, v129
	v_or_b32_e32 v132, 8, v128
	v_or_b32_e32 v133, 10, v128
	v_cmp_gt_i32_e64 s3, s24, v130
	v_cmp_gt_i32_e64 s4, s24, v131
	;; [unrolled: 1-line block ×3, first 2 shown]
	v_wmma_f32_16x16x16_f16 v[135:142], v[79:86], v[71:78], v[135:142]
	v_wmma_f32_16x16x16_f16 v[111:118], v[87:94], v[71:78], v[111:118]
	v_or_b32_e32 v79, 12, v128
	v_or_b32_e32 v80, 14, v128
	v_cmp_gt_i32_e64 s6, s24, v133
	v_wmma_f32_16x16x16_f16 v[135:142], v[95:102], v[119:126], v[135:142]
	v_wmma_f32_16x16x16_f16 v[111:118], v[103:110], v[119:126], v[111:118]
	v_cndmask_b32_e32 v127, v127, v129, vcc_lo
	v_or_b32_e32 v129, 2, v128
	v_cmp_gt_i32_e32 vcc_lo, s24, v128
	s_delay_alu instid0(VALU_DEP_4) | instskip(SKIP_1) | instid1(VALU_DEP_4)
	v_dual_mul_f32 v87, s19, v136 :: v_dual_mul_f32 v94, s19, v113
	v_mul_f32_e32 v88, s19, v135
	v_cmp_gt_i32_e64 s2, s24, v129
	v_mul_f32_e32 v78, s19, v138
	v_mul_f32_e32 v86, s19, v137
	;; [unrolled: 1-line block ×3, first 2 shown]
	v_cndmask_b32_e32 v88, 0xff7fffff, v88, vcc_lo
	v_cndmask_b32_e64 v87, 0xff7fffff, v87, s2
	v_dual_mul_f32 v77, s19, v139 :: v_dual_mul_f32 v90, s19, v117
	v_cndmask_b32_e64 v86, 0xff7fffff, v86, s3
	v_cndmask_b32_e64 v78, 0xff7fffff, v78, s4
	s_delay_alu instid0(VALU_DEP_4)
	v_max3_f32 v87, v88, 0xff7fffff, v87
	v_or_b32_e32 v81, 16, v128
	v_or_b32_e32 v82, 18, v128
	v_dual_mul_f32 v74, s19, v142 :: v_dual_mul_f32 v75, s19, v141
	v_mul_f32_e32 v96, s19, v111
	v_cndmask_b32_e64 v77, 0xff7fffff, v77, s5
	v_cndmask_b32_e64 v76, 0xff7fffff, v76, s6
	v_max3_f32 v78, v87, v86, v78
	v_cmp_gt_i32_e64 s7, s24, v79
	v_cmp_gt_i32_e64 s8, s24, v80
	v_or_b32_e32 v83, 20, v128
	v_or_b32_e32 v84, 22, v128
	v_mul_f32_e32 v95, s19, v112
	v_cndmask_b32_e64 v75, 0xff7fffff, v75, s7
	v_cndmask_b32_e64 v74, 0xff7fffff, v74, s8
	v_max3_f32 v76, v78, v77, v76
	v_cmp_gt_i32_e64 s9, s24, v81
	v_cmp_gt_i32_e64 s10, s24, v82
	v_or_b32_e32 v85, 24, v128
	v_or_b32_e32 v71, 26, v128
	;; [unrolled: 8-line block ×3, first 2 shown]
	v_dual_mul_f32 v91, s19, v116 :: v_dual_mul_f32 v92, s19, v115
	v_cndmask_b32_e64 v75, 0xff7fffff, v94, s11
	v_cndmask_b32_e64 v76, 0xff7fffff, v93, s12
	v_max3_f32 v74, v74, v77, v78
	v_cmp_gt_i32_e64 s13, s24, v85
	v_cmp_gt_i32_e64 s15, s24, v71
	v_mul_f32_e32 v89, s19, v118
	v_cmp_gt_i32_e64 s16, s24, v72
	v_max3_f32 v74, v74, v75, v76
	v_cndmask_b32_e64 v77, 0xff7fffff, v92, s13
	v_cndmask_b32_e64 v71, 0xff7fffff, v91, s15
	v_cmp_gt_i32_e64 s17, s24, v73
	v_cndmask_b32_e64 v72, 0xff7fffff, v90, s16
	s_delay_alu instid0(VALU_DEP_3) | instskip(SKIP_1) | instid1(VALU_DEP_4)
	v_max3_f32 v71, v74, v77, v71
	v_lshlrev_b32_e32 v74, 2, v127
	v_cndmask_b32_e64 v73, 0xff7fffff, v89, s17
	s_delay_alu instid0(VALU_DEP_1) | instskip(SKIP_3) | instid1(VALU_DEP_1)
	v_max3_f32 v71, v71, v72, v73
	ds_bpermute_b32 v72, v74, v71
	s_waitcnt lgkmcnt(0)
	v_max_f32_e32 v72, v72, v72
	v_max_f32_e32 v71, v71, v72
	s_delay_alu instid0(VALU_DEP_1) | instskip(SKIP_4) | instid1(VALU_DEP_4)
	v_fma_f32 v72, s19, v135, -v71
	v_fma_f32 v73, s19, v136, -v71
	;; [unrolled: 1-line block ×5, first 2 shown]
	v_dual_mul_f32 v72, 0x3fb8aa3b, v72 :: v_dual_mul_f32 v73, 0x3fb8aa3b, v73
	s_delay_alu instid0(VALU_DEP_3) | instskip(SKIP_1) | instid1(VALU_DEP_3)
	v_dual_mul_f32 v75, 0x3fb8aa3b, v75 :: v_dual_mul_f32 v76, 0x3fb8aa3b, v76
	v_fma_f32 v80, s19, v141, -v71
	v_exp_f32_e32 v72, v72
	s_delay_alu instid0(VALU_DEP_3) | instskip(NEXT) | instid1(VALU_DEP_2)
	v_exp_f32_e32 v73, v73
	v_exp_f32_e32 v75, v75
	;; [unrolled: 1-line block ×3, first 2 shown]
	v_mul_f32_e32 v82, 0x3fb8aa3b, v80
	s_delay_alu instid0(VALU_DEP_1) | instskip(SKIP_4) | instid1(TRANS32_DEP_3)
	v_exp_f32_e32 v84, v82
	v_cndmask_b32_e32 v79, 0, v72, vcc_lo
	v_fma_f32 v72, s19, v140, -v71
	v_mul_f32_e32 v77, 0x3fb8aa3b, v77
	v_cndmask_b32_e64 v78, 0, v73, s2
	v_cndmask_b32_e64 v81, 0, v75, s3
	s_delay_alu instid0(VALU_DEP_4) | instskip(NEXT) | instid1(VALU_DEP_4)
	v_dual_add_f32 v73, 0, v79 :: v_dual_mul_f32 v72, 0x3fb8aa3b, v72
	v_exp_f32_e32 v77, v77
	v_cndmask_b32_e64 v80, 0, v76, s4
	s_delay_alu instid0(TRANS32_DEP_2) | instskip(NEXT) | instid1(VALU_DEP_3)
	v_cndmask_b32_e64 v85, 0, v84, s7
	v_add_f32_e32 v73, v73, v78
	v_exp_f32_e32 v72, v72
	s_mov_b32 s2, exec_lo
	s_delay_alu instid0(VALU_DEP_1) | instskip(SKIP_4) | instid1(VALU_DEP_2)
	v_add_f32_e32 v73, v73, v81
	s_waitcnt_depctr 0xfff
	v_cndmask_b32_e64 v83, 0, v77, s5
	v_add_f32_e32 v73, v73, v80
	v_cndmask_b32_e64 v82, 0, v72, s6
	v_add_f32_e32 v72, v73, v83
	s_delay_alu instid0(VALU_DEP_1) | instskip(NEXT) | instid1(VALU_DEP_1)
	v_add_f32_e32 v72, v72, v82
	v_add_f32_e32 v72, v72, v85
	v_fma_f32 v76, s19, v111, -v71
	v_fma_f32 v75, s19, v142, -v71
	;; [unrolled: 1-line block ×5, first 2 shown]
	s_delay_alu instid0(VALU_DEP_4) | instskip(NEXT) | instid1(VALU_DEP_3)
	v_dual_mul_f32 v76, 0x3fb8aa3b, v76 :: v_dual_mul_f32 v75, 0x3fb8aa3b, v75
	v_mul_f32_e32 v86, 0x3fb8aa3b, v86
	s_delay_alu instid0(VALU_DEP_2) | instskip(NEXT) | instid1(VALU_DEP_2)
	v_exp_f32_e32 v76, v76
	v_exp_f32_e32 v75, v75
	s_delay_alu instid0(VALU_DEP_1) | instskip(NEXT) | instid1(TRANS32_DEP_3)
	v_exp_f32_e32 v88, v86
	v_cndmask_b32_e64 v87, 0, v76, s9
	v_fma_f32 v76, s19, v116, -v71
	v_mul_f32_e32 v77, 0x3fb8aa3b, v77
	s_waitcnt_depctr 0xfff
	v_cndmask_b32_e64 v84, 0, v75, s8
	v_fma_f32 v75, s19, v115, -v71
	v_cndmask_b32_e64 v88, 0, v88, s12
	v_mul_f32_e32 v76, 0x3fb8aa3b, v76
	v_exp_f32_e32 v77, v77
	v_add_f32_e32 v72, v72, v84
	s_delay_alu instid0(VALU_DEP_2) | instskip(NEXT) | instid1(VALU_DEP_1)
	v_exp_f32_e32 v76, v76
	v_add_f32_e32 v72, v72, v87
	s_waitcnt_depctr 0xfff
	v_cndmask_b32_e64 v86, 0, v77, s10
	v_mul_f32_e32 v73, 0x3fb8aa3b, v73
	v_fma_f32 v77, s19, v117, -v71
	v_cndmask_b32_e64 v90, 0, v76, s15
	s_delay_alu instid0(VALU_DEP_4) | instskip(NEXT) | instid1(VALU_DEP_4)
	v_add_f32_e32 v72, v72, v86
	v_exp_f32_e32 v73, v73
	s_waitcnt_depctr 0xfff
	v_cndmask_b32_e64 v89, 0, v73, s11
	s_delay_alu instid0(VALU_DEP_1) | instskip(NEXT) | instid1(VALU_DEP_1)
	v_dual_mul_f32 v75, 0x3fb8aa3b, v75 :: v_dual_add_f32 v72, v72, v89
	v_exp_f32_e32 v75, v75
	v_mul_f32_e32 v73, 0x3fb8aa3b, v77
	v_fma_f32 v77, s19, v118, -v71
	s_delay_alu instid0(VALU_DEP_3) | instskip(NEXT) | instid1(VALU_DEP_3)
	v_add_f32_e32 v72, v72, v88
	v_exp_f32_e32 v73, v73
	s_waitcnt_depctr 0xfff
	v_cndmask_b32_e64 v91, 0, v75, s13
	s_delay_alu instid0(VALU_DEP_1) | instskip(NEXT) | instid1(VALU_DEP_1)
	v_dual_mul_f32 v75, 0x3fb8aa3b, v77 :: v_dual_add_f32 v72, v72, v91
	v_exp_f32_e32 v75, v75
	v_cndmask_b32_e64 v93, 0, v73, s16
	s_delay_alu instid0(VALU_DEP_2) | instskip(NEXT) | instid1(VALU_DEP_1)
	v_add_f32_e32 v72, v72, v90
	v_add_f32_e32 v72, v72, v93
	s_waitcnt_depctr 0xfff
	v_cndmask_b32_e64 v92, 0, v75, s17
	s_delay_alu instid0(VALU_DEP_1)
	v_add_f32_e32 v72, v72, v92
	ds_bpermute_b32 v73, v74, v72
	v_cmpx_gt_u32_e32 16, v70
	s_cbranch_execz .LBB1083_12
; %bb.11:
	v_mul_u32_u24_e32 v70, 0x44, v69
	s_waitcnt lgkmcnt(0)
	v_add_f32_e32 v72, v72, v73
	s_delay_alu instid0(VALU_DEP_2) | instskip(NEXT) | instid1(VALU_DEP_1)
	v_lshl_add_u32 v70, v68, 2, v70
	v_add_nc_u32_e32 v70, 0x4000, v70
	ds_store_2addr_b32 v70, v71, v72 offset1:136
.LBB1083_12:
	s_or_b32 exec_lo, exec_lo, s2
	v_lshlrev_b32_e32 v70, 2, v68
	s_load_b32 s34, s[0:1], 0x94
	s_waitcnt lgkmcnt(0)
	s_barrier
	buffer_gl0_inv
	v_add_nc_u32_e32 v98, 0x4000, v70
	v_cmp_eq_u32_e32 vcc_lo, 1, v69
	v_cmp_eq_u32_e64 s2, 2, v69
	v_cmp_eq_u32_e64 s3, 3, v69
	;; [unrolled: 1-line block ×3, first 2 shown]
	ds_load_2addr_b32 v[70:71], v98 offset1:17
	ds_load_2addr_b32 v[72:73], v98 offset0:34 offset1:51
	ds_load_2addr_b32 v[74:75], v98 offset0:68 offset1:85
	;; [unrolled: 1-line block ×3, first 2 shown]
	v_cmp_eq_u32_e64 s5, 5, v69
	v_cmp_eq_u32_e64 s6, 7, v69
	s_waitcnt lgkmcnt(3)
	v_max3_f32 v76, v70, 0xff7fffff, v71
	s_waitcnt lgkmcnt(2)
	s_delay_alu instid0(VALU_DEP_1) | instskip(SKIP_1) | instid1(VALU_DEP_1)
	v_max3_f32 v76, v76, v72, v73
	s_waitcnt lgkmcnt(1)
	v_max3_f32 v76, v76, v74, v75
	s_waitcnt lgkmcnt(0)
	s_delay_alu instid0(VALU_DEP_1) | instskip(NEXT) | instid1(VALU_DEP_1)
	v_max3_f32 v76, v76, v94, v95
	v_sub_f32_e32 v77, v71, v76
	ds_load_2addr_b32 v[96:97], v98 offset0:136 offset1:153
	v_sub_f32_e32 v74, v74, v76
	v_sub_f32_e32 v70, v70, v76
	;; [unrolled: 1-line block ×3, first 2 shown]
	v_dual_sub_f32 v72, v72, v76 :: v_dual_mul_f32 v77, 0x3fb8aa3b, v77
	s_delay_alu instid0(VALU_DEP_4) | instskip(NEXT) | instid1(VALU_DEP_4)
	v_mul_f32_e32 v103, 0x3fb8aa3b, v74
	v_mul_f32_e32 v99, 0x3fb8aa3b, v70
	ds_load_2addr_b32 v[70:71], v98 offset0:170 offset1:187
	v_dual_mul_f32 v101, 0x3fb8aa3b, v72 :: v_dual_mul_f32 v94, 0x3fb8aa3b, v94
	v_exp_f32_e32 v102, v77
	v_exp_f32_e32 v99, v99
	s_delay_alu instid0(VALU_DEP_1) | instskip(NEXT) | instid1(VALU_DEP_1)
	v_exp_f32_e32 v101, v101
	v_exp_f32_e32 v94, v94
	s_waitcnt lgkmcnt(1)
	s_delay_alu instid0(TRANS32_DEP_3)
	v_fma_f32 v77, v99, v96, 0
	v_sub_f32_e32 v100, v73, v76
	ds_load_2addr_b32 v[72:73], v98 offset0:204 offset1:221
	v_fmac_f32_e32 v77, v102, v97
	v_exp_f32_e32 v97, v103
	s_waitcnt lgkmcnt(1)
	s_delay_alu instid0(VALU_DEP_1)
	v_dual_fmac_f32 v77, v101, v70 :: v_dual_sub_f32 v96, v75, v76
	ds_load_2addr_b32 v[74:75], v98 offset0:238 offset1:255
	v_sub_f32_e32 v70, v95, v76
	s_waitcnt lgkmcnt(0)
	s_barrier
	v_mul_f32_e32 v96, 0x3fb8aa3b, v96
	buffer_gl0_inv
	v_exp_f32_e32 v95, v96
	v_mul_f32_e32 v100, 0x3fb8aa3b, v100
	s_delay_alu instid0(VALU_DEP_1) | instskip(SKIP_3) | instid1(VALU_DEP_2)
	v_exp_f32_e32 v100, v100
	s_waitcnt_depctr 0xfff
	v_dual_fmac_f32 v77, v100, v71 :: v_dual_mul_f32 v70, 0x3fb8aa3b, v70
	v_cndmask_b32_e32 v71, v99, v102, vcc_lo
	v_fmac_f32_e32 v77, v97, v72
	s_delay_alu instid0(VALU_DEP_3) | instskip(NEXT) | instid1(VALU_DEP_1)
	v_exp_f32_e32 v96, v70
	v_fmac_f32_e32 v77, v95, v73
	s_delay_alu instid0(VALU_DEP_1) | instskip(SKIP_2) | instid1(VALU_DEP_1)
	v_fmac_f32_e32 v77, v94, v74
	s_waitcnt_depctr 0xfff
	v_fmac_f32_e32 v77, v96, v75
	v_add_f32_e32 v74, 0x358637bd, v77
	s_delay_alu instid0(VALU_DEP_1) | instskip(SKIP_1) | instid1(VALU_DEP_2)
	v_div_scale_f32 v98, null, v74, v74, 1.0
	v_div_scale_f32 v99, vcc_lo, 1.0, v74, 1.0
	v_rcp_f32_e32 v103, v98
	s_waitcnt_depctr 0xfff
	v_fma_f32 v70, -v98, v103, 1.0
	s_delay_alu instid0(VALU_DEP_1) | instskip(SKIP_2) | instid1(VALU_DEP_2)
	v_fmac_f32_e32 v103, v70, v103
	v_cndmask_b32_e64 v70, v71, v101, s2
	v_cmp_eq_u32_e64 s2, 6, v69
	v_cndmask_b32_e64 v71, v70, v100, s3
	s_delay_alu instid0(VALU_DEP_4) | instskip(NEXT) | instid1(VALU_DEP_2)
	v_dual_mul_f32 v101, v99, v103 :: v_dual_lshlrev_b32 v70, 2, v66
	v_cndmask_b32_e64 v71, v71, v97, s4
	s_delay_alu instid0(VALU_DEP_2) | instskip(NEXT) | instid1(VALU_DEP_3)
	v_or_b32_e32 v72, 1, v70
	v_fma_f32 v100, -v98, v101, v99
	v_cmp_eq_u32_e64 s3, 1, v70
	v_cmp_eq_u32_e64 s4, 2, v70
	v_cndmask_b32_e64 v95, v71, v95, s5
	v_or_b32_e32 v71, 3, v70
	v_fmac_f32_e32 v101, v100, v103
	v_cmp_eq_u32_e64 s8, 1, v72
	v_cmp_eq_u32_e64 s11, 2, v72
	v_cndmask_b32_e64 v94, v95, v94, s2
	v_cmp_eq_u32_e64 s10, 1, v71
	v_fma_f32 v97, -v98, v101, v99
	v_cmp_eq_u32_e64 s15, 2, v71
	v_cmp_eq_u32_e64 s12, 3, v72
	v_cndmask_b32_e64 v94, v94, v96, s6
	v_cmp_eq_u32_e64 s17, 3, v71
	v_div_fmas_f32 v95, v97, v103, v101
	v_cmp_eq_u32_e32 vcc_lo, 3, v70
	v_cmp_eq_u32_e64 s2, 4, v70
	v_cmp_eq_u32_e64 s18, 4, v72
	;; [unrolled: 1-line block ×3, first 2 shown]
	v_div_fixup_f32 v95, v95, v74, 1.0
	v_lshlrev_b32_e32 v73, 6, v68
	v_cmp_eq_u32_e64 s5, 5, v70
	v_cmp_eq_u32_e64 s19, 5, v72
	;; [unrolled: 1-line block ×3, first 2 shown]
	v_mul_f32_e32 v102, v94, v95
	v_lshl_or_b32 v75, v69, 11, v73
	v_or_b32_e32 v69, 2, v70
	v_cmp_eq_u32_e64 s24, 6, v72
	v_cmp_eq_u32_e64 s26, 6, v71
	v_fma_mixlo_f16 v94, v102, v79, 0
	v_fma_mixlo_f16 v95, v102, v81, 0
	;; [unrolled: 1-line block ×8, first 2 shown]
	v_lshl_or_b32 v74, v66, 4, v75
	v_fma_mixhi_f16 v94, v102, v78, 0
	v_fma_mixhi_f16 v95, v102, v80, 0
	;; [unrolled: 1-line block ×8, first 2 shown]
	ds_store_b128 v74, v[94:97]
	ds_store_b128 v74, v[98:101] offset:1024
	s_waitcnt lgkmcnt(0)
	s_barrier
	buffer_gl0_inv
	ds_load_b128 v[78:81], v75
	ds_load_b128 v[82:85], v75 offset:16
	ds_load_b128 v[86:89], v75 offset:1024
	;; [unrolled: 1-line block ×3, first 2 shown]
	v_cmp_eq_u32_e64 s9, 1, v69
	v_cmp_eq_u32_e64 s13, 2, v69
	;; [unrolled: 1-line block ×11, first 2 shown]
	s_waitcnt lgkmcnt(3)
	v_lshrrev_b32_e32 v94, 16, v78
	s_waitcnt lgkmcnt(2)
	v_lshrrev_b32_e32 v98, 16, v82
	;; [unrolled: 2-line block ×4, first 2 shown]
	v_lshrrev_b32_e32 v95, 16, v79
	v_cndmask_b32_e64 v110, v78, v94, s3
	v_cndmask_b32_e64 v111, v82, v98, s3
	;; [unrolled: 1-line block ×8, first 2 shown]
	v_lshrrev_b32_e32 v99, 16, v83
	v_cndmask_b32_e64 v94, v86, v102, s3
	v_cndmask_b32_e64 v98, v90, v106, s3
	;; [unrolled: 1-line block ×15, first 2 shown]
	v_lshrrev_b32_e32 v103, 16, v87
	v_lshrrev_b32_e32 v107, 16, v91
	v_cndmask_b32_e64 v113, v115, v83, s13
	v_cndmask_b32_e64 v82, v94, v87, s4
	;; [unrolled: 1-line block ×7, first 2 shown]
	v_cndmask_b32_e32 v90, v102, v95, vcc_lo
	v_cndmask_b32_e32 v102, v106, v99, vcc_lo
	v_cndmask_b32_e64 v106, v110, v95, s12
	v_cndmask_b32_e64 v110, v111, v99, s12
	;; [unrolled: 1-line block ×4, first 2 shown]
	v_lshrrev_b32_e32 v96, 16, v80
	v_lshrrev_b32_e32 v100, 16, v84
	v_cndmask_b32_e64 v111, v112, v95, s16
	v_cndmask_b32_e64 v112, v113, v99, s16
	v_cndmask_b32_e32 v82, v82, v103, vcc_lo
	v_cndmask_b32_e32 v83, v83, v107, vcc_lo
	v_cndmask_b32_e64 v94, v94, v103, s12
	v_cndmask_b32_e64 v90, v90, v80, s2
	;; [unrolled: 1-line block ×7, first 2 shown]
	v_lshrrev_b32_e32 v104, 16, v88
	v_cndmask_b32_e64 v106, v111, v80, s20
	v_cndmask_b32_e64 v110, v112, v84, s20
	;; [unrolled: 1-line block ×11, first 2 shown]
	v_lshrrev_b32_e32 v97, 16, v81
	v_lshrrev_b32_e32 v101, 16, v85
	v_cndmask_b32_e64 v99, v106, v96, s22
	v_cndmask_b32_e64 v102, v110, v100, s22
	;; [unrolled: 1-line block ×7, first 2 shown]
	v_lshrrev_b32_e32 v105, 16, v89
	v_cndmask_b32_e64 v80, v80, v104, s5
	v_cndmask_b32_e64 v84, v84, v81, s6
	;; [unrolled: 1-line block ×16, first 2 shown]
	v_perm_b32 v81, v79, v78, 0x5040100
	v_perm_b32 v79, v95, v85, 0x5040100
	v_cndmask_b32_e64 v78, v119, v91, s13
	v_cndmask_b32_e64 v85, v117, v91, s11
	v_cndmask_b32_e64 v96, v80, v105, s7
	v_perm_b32 v80, v94, v90, 0x5040100
	v_cndmask_b32_e64 v90, v98, v103, s16
	v_cndmask_b32_e64 v86, v86, v103, s17
	;; [unrolled: 1-line block ×5, first 2 shown]
	v_lshrrev_b32_e32 v108, 16, v92
	v_cndmask_b32_e64 v90, v90, v88, s20
	v_cndmask_b32_e64 v86, v86, v88, s21
	;; [unrolled: 1-line block ×11, first 2 shown]
	v_lshrrev_b32_e32 v109, 16, v93
	v_cndmask_b32_e64 v82, v82, v93, s6
	v_cndmask_b32_e64 v88, v88, v89, s25
	;; [unrolled: 1-line block ×12, first 2 shown]
	v_perm_b32 v78, v84, v83, 0x5040100
	v_perm_b32 v85, v87, v86, 0x5040100
	v_perm_b32 v84, v89, v88, 0x5040100
	v_perm_b32 v83, v90, v97, 0x5040100
	v_perm_b32 v82, v82, v96, 0x5040100
	s_mul_i32 s7, s33, 14
	s_mov_b32 s2, exec_lo
	ds_store_b128 v74, v[78:81]
	ds_store_b128 v74, v[82:85] offset:1024
	v_cmpx_gt_u32_e32 14, v0
	s_cbranch_execz .LBB1083_14
; %bb.13:
	s_mul_i32 s3, s7, s30
	s_load_b128 s[8:11], s[0:1], 0x58
	v_add3_u32 v68, s3, s31, v68
	s_delay_alu instid0(VALU_DEP_1) | instskip(NEXT) | instid1(VALU_DEP_1)
	v_mad_u64_u32 v[78:79], null, v68, s34, s[14:15]
	v_ashrrev_i32_e32 v79, 31, v78
	s_delay_alu instid0(VALU_DEP_1) | instskip(SKIP_1) | instid1(VALU_DEP_1)
	v_lshlrev_b64 v[78:79], 2, v[78:79]
	s_waitcnt lgkmcnt(0)
	v_add_co_u32 v80, vcc_lo, s10, v78
	s_delay_alu instid0(VALU_DEP_2)
	v_add_co_ci_u32_e32 v81, vcc_lo, s11, v79, vcc_lo
	v_add_co_u32 v78, vcc_lo, s8, v78
	v_add_co_ci_u32_e32 v79, vcc_lo, s9, v79, vcc_lo
	global_store_b32 v[80:81], v76, off
	global_store_b32 v[78:79], v77, off
.LBB1083_14:
	s_or_b32 exec_lo, exec_lo, s2
	s_waitcnt lgkmcnt(0)
	s_waitcnt_vscnt null, 0x0
	s_barrier
	buffer_gl0_inv
	ds_load_b128 v[84:87], v73
	ds_load_b128 v[88:91], v73 offset:16
	ds_load_b128 v[96:99], v73 offset:2064
	;; [unrolled: 1-line block ×5, first 2 shown]
	v_cmp_eq_u32_e32 vcc_lo, 1, v70
	v_mov_b32_e32 v76, 0
	ds_load_b128 v[112:115], v73 offset:6160
	ds_load_b128 v[108:111], v73 offset:6144
	;; [unrolled: 1-line block ×4, first 2 shown]
	v_cmp_eq_u32_e64 s3, 1, v69
	v_cmp_eq_u32_e64 s2, 1, v72
	;; [unrolled: 1-line block ×3, first 2 shown]
	v_mov_b32_e32 v77, v76
	v_mov_b32_e32 v78, v76
	;; [unrolled: 1-line block ×7, first 2 shown]
	v_cmp_eq_u32_e64 s5, 3, v72
	v_cmp_eq_u32_e64 s6, 7, v72
	s_waitcnt lgkmcnt(8)
	s_delay_alu instid0(VALU_DEP_3)
	v_wmma_f32_16x16x16_f16 v[76:83], v[49:56], v[84:91], v[76:83]
	ds_load_b128 v[53:56], v73 offset:10256
	ds_load_b128 v[49:52], v73 offset:10240
	s_waitcnt lgkmcnt(8)
	v_wmma_f32_16x16x16_f16 v[76:83], v[41:48], v[92:99], v[76:83]
	ds_load_b128 v[45:48], v73 offset:12304
	ds_load_b128 v[41:44], v73 offset:12288
	s_waitcnt lgkmcnt(8)
	;; [unrolled: 4-line block ×3, first 2 shown]
	s_barrier
	buffer_gl0_inv
	v_wmma_f32_16x16x16_f16 v[76:83], v[1:8], v[108:115], v[76:83]
	s_delay_alu instid0(VALU_DEP_1) | instskip(NEXT) | instid1(VALU_DEP_1)
	v_wmma_f32_16x16x16_f16 v[76:83], v[9:16], v[116:123], v[76:83]
	v_wmma_f32_16x16x16_f16 v[76:83], v[17:24], v[49:56], v[76:83]
	s_delay_alu instid0(VALU_DEP_1) | instskip(NEXT) | instid1(VALU_DEP_1)
	v_wmma_f32_16x16x16_f16 v[76:83], v[25:32], v[41:48], v[76:83]
	v_wmma_f32_16x16x16_f16 v[76:83], v[57:64], v[33:40], v[76:83]
	s_delay_alu instid0(VALU_DEP_1) | instskip(NEXT) | instid1(VALU_DEP_2)
	v_cvt_f16_f32_e32 v1, v76
	v_cvt_f16_f32_e32 v2, v77
	s_delay_alu instid0(VALU_DEP_3) | instskip(NEXT) | instid1(VALU_DEP_4)
	v_cvt_f16_f32_e32 v3, v78
	v_cvt_f16_f32_e32 v4, v79
	;; [unrolled: 1-line block ×6, first 2 shown]
	v_pack_b32_f16 v1, v1, v2
	v_pack_b32_f16 v2, v3, v4
	;; [unrolled: 1-line block ×3, first 2 shown]
	s_delay_alu instid0(VALU_DEP_4)
	v_pack_b32_f16 v4, v7, v8
	ds_store_b128 v74, v[1:4]
	s_waitcnt lgkmcnt(0)
	s_barrier
	buffer_gl0_inv
	ds_load_b128 v[1:4], v75
	ds_load_b128 v[5:8], v75 offset:16
	s_waitcnt lgkmcnt(1)
	v_lshrrev_b32_e32 v9, 16, v1
	s_waitcnt lgkmcnt(0)
	v_lshrrev_b32_e32 v13, 16, v5
	v_lshrrev_b32_e32 v10, 16, v2
	;; [unrolled: 1-line block ×4, first 2 shown]
	v_cndmask_b32_e32 v17, v1, v9, vcc_lo
	v_cndmask_b32_e32 v18, v5, v13, vcc_lo
	v_cndmask_b32_e64 v21, v1, v9, s3
	v_cmp_eq_u32_e32 vcc_lo, 1, v71
	v_cndmask_b32_e64 v22, v5, v13, s3
	v_cmp_eq_u32_e64 s3, 2, v70
	v_cndmask_b32_e64 v19, v1, v9, s2
	v_cndmask_b32_e64 v20, v5, v13, s2
	v_cndmask_b32_e32 v1, v1, v9, vcc_lo
	v_cmp_eq_u32_e64 s2, 2, v71
	v_cndmask_b32_e32 v5, v5, v13, vcc_lo
	v_cndmask_b32_e64 v9, v17, v2, s3
	v_cmp_eq_u32_e32 vcc_lo, 3, v70
	v_cndmask_b32_e64 v13, v18, v6, s3
	v_cmp_eq_u32_e64 s3, 2, v69
	v_cndmask_b32_e64 v17, v19, v2, s4
	v_cndmask_b32_e64 v18, v20, v6, s4
	v_cmp_eq_u32_e64 s4, 3, v69
	v_cndmask_b32_e64 v1, v1, v2, s2
	v_cndmask_b32_e64 v19, v21, v2, s3
	v_cndmask_b32_e64 v20, v22, v6, s3
	v_cndmask_b32_e64 v2, v5, v6, s2
	v_cndmask_b32_e32 v5, v9, v10, vcc_lo
	v_cndmask_b32_e32 v6, v13, v14, vcc_lo
	v_cmp_eq_u32_e32 vcc_lo, 3, v71
	v_cndmask_b32_e64 v9, v17, v10, s5
	v_cndmask_b32_e64 v13, v18, v14, s5
	;; [unrolled: 1-line block ×3, first 2 shown]
	v_cmp_eq_u32_e64 s3, 4, v70
	v_cndmask_b32_e32 v1, v1, v10, vcc_lo
	v_cndmask_b32_e32 v2, v2, v14, vcc_lo
	v_cmp_eq_u32_e32 vcc_lo, 4, v72
	v_lshrrev_b32_e32 v15, 16, v7
	v_lshrrev_b32_e32 v16, 16, v8
	v_cndmask_b32_e64 v17, v19, v10, s4
	v_cmp_eq_u32_e64 s2, 4, v71
	v_cndmask_b32_e64 v5, v5, v3, s3
	v_cndmask_b32_e64 v6, v6, v7, s3
	v_cndmask_b32_e32 v9, v9, v3, vcc_lo
	v_cmp_eq_u32_e64 s3, 5, v72
	v_cndmask_b32_e32 v10, v13, v7, vcc_lo
	v_cmp_eq_u32_e32 vcc_lo, 4, v69
	v_cmp_eq_u32_e64 s4, 5, v70
	v_cndmask_b32_e64 v2, v2, v7, s2
	v_cndmask_b32_e64 v9, v9, v11, s3
	;; [unrolled: 1-line block ×3, first 2 shown]
	v_cndmask_b32_e32 v13, v17, v3, vcc_lo
	v_cmp_eq_u32_e64 s3, 5, v69
	v_cndmask_b32_e32 v14, v18, v7, vcc_lo
	v_cndmask_b32_e64 v1, v1, v3, s2
	v_cmp_eq_u32_e32 vcc_lo, 5, v71
	v_lshrrev_b32_e32 v12, 16, v4
	v_cndmask_b32_e64 v13, v13, v11, s3
	v_cndmask_b32_e64 v3, v14, v15, s3
	v_cmp_eq_u32_e64 s3, 6, v71
	v_cndmask_b32_e32 v1, v1, v11, vcc_lo
	v_cndmask_b32_e64 v5, v5, v11, s4
	v_cmp_eq_u32_e64 s5, 6, v70
	v_cndmask_b32_e64 v6, v6, v15, s4
	v_cmp_eq_u32_e64 s4, 6, v72
	v_cmp_eq_u32_e64 s2, 6, v69
	v_cndmask_b32_e64 v1, v1, v4, s3
	v_cndmask_b32_e32 v2, v2, v15, vcc_lo
	v_cmp_eq_u32_e32 vcc_lo, 7, v71
	v_cndmask_b32_e64 v5, v5, v4, s5
	v_cndmask_b32_e64 v9, v9, v4, s4
	v_cndmask_b32_e64 v6, v6, v8, s5
	v_cmp_eq_u32_e64 s5, 7, v70
	v_cndmask_b32_e32 v1, v1, v12, vcc_lo
	v_cndmask_b32_e64 v7, v13, v4, s2
	v_cndmask_b32_e64 v3, v3, v8, s2
	;; [unrolled: 1-line block ×3, first 2 shown]
	v_cmp_eq_u32_e64 s2, 7, v69
	v_cndmask_b32_e64 v4, v10, v8, s4
	v_cndmask_b32_e64 v5, v5, v12, s5
	;; [unrolled: 1-line block ×3, first 2 shown]
	v_cndmask_b32_e32 v2, v2, v16, vcc_lo
	v_cndmask_b32_e64 v7, v7, v12, s2
	v_cndmask_b32_e64 v3, v3, v16, s2
	;; [unrolled: 1-line block ×4, first 2 shown]
	v_perm_b32 v4, v2, v1, 0x5040100
	s_mov_b32 s2, exec_lo
	v_perm_b32 v3, v3, v7, 0x5040100
	v_perm_b32 v2, v8, v9, 0x5040100
	;; [unrolled: 1-line block ×3, first 2 shown]
	ds_store_b128 v74, v[1:4]
	s_waitcnt lgkmcnt(0)
	s_barrier
	buffer_gl0_inv
	v_cmpx_gt_u32_e32 32, v0
	s_cbranch_execz .LBB1083_2
; %bb.15:
	s_load_b64 s[0:1], s[0:1], 0x68
	v_lshlrev_b32_e32 v0, 10, v0
	s_lshl_b32 s4, s34, 7
	v_or_b32_e32 v3, s31, v66
	s_mul_i32 s2, s4, s30
	v_lshlrev_b32_e32 v1, 4, v67
	v_lshlrev_b32_e32 v2, 6, v66
	v_and_b32_e32 v0, 0x3800, v0
	s_mul_i32 s2, s2, s7
	v_mul_lo_u32 v8, v3, s4
	s_ashr_i32 s3, s2, 31
	s_delay_alu instid0(SALU_CYCLE_1)
	s_lshl_b64 s[2:3], s[2:3], 1
	v_or3_b32 v16, v0, v1, v2
	ds_load_b128 v[0:3], v16
	ds_load_b128 v[4:7], v16 offset:128
	v_ashrrev_i32_e32 v9, 31, v8
	s_waitcnt lgkmcnt(0)
	s_add_u32 s2, s0, s2
	s_addc_u32 s3, s1, s3
	s_lshl_b32 s0, s14, 7
	s_delay_alu instid0(SALU_CYCLE_1) | instskip(SKIP_2) | instid1(SALU_CYCLE_1)
	s_ashr_i32 s1, s0, 31
	v_lshlrev_b64 v[9:10], 1, v[8:9]
	s_lshl_b64 s[0:1], s[0:1], 1
	s_add_u32 s0, s2, s0
	s_addc_u32 s1, s3, s1
	s_lshl_b32 s2, s34, 8
	v_add_co_u32 v30, s0, s0, v65
	v_add_nc_u32_e32 v11, s2, v8
	v_add_co_ci_u32_e64 v31, null, s1, 0, s0
	s_delay_alu instid0(VALU_DEP_3) | instskip(NEXT) | instid1(VALU_DEP_3)
	v_add_co_u32 v9, vcc_lo, v30, v9
	v_add_nc_u32_e32 v8, s2, v11
	s_delay_alu instid0(VALU_DEP_3) | instskip(SKIP_1) | instid1(VALU_DEP_3)
	v_add_co_ci_u32_e32 v10, vcc_lo, v31, v10, vcc_lo
	v_ashrrev_i32_e32 v12, 31, v11
	v_add_nc_u32_e32 v13, s2, v8
	global_store_b128 v[9:10], v[0:3], off
	v_ashrrev_i32_e32 v9, 31, v8
	v_lshlrev_b64 v[11:12], 1, v[11:12]
	v_ashrrev_i32_e32 v14, 31, v13
	v_add_nc_u32_e32 v10, s2, v13
	s_delay_alu instid0(VALU_DEP_4) | instskip(NEXT) | instid1(VALU_DEP_4)
	v_lshlrev_b64 v[2:3], 1, v[8:9]
	v_add_co_u32 v0, vcc_lo, v30, v11
	s_delay_alu instid0(VALU_DEP_4)
	v_lshlrev_b64 v[8:9], 1, v[13:14]
	v_add_co_ci_u32_e32 v1, vcc_lo, v31, v12, vcc_lo
	v_ashrrev_i32_e32 v11, 31, v10
	v_add_co_u32 v22, vcc_lo, v30, v2
	v_add_nc_u32_e32 v20, s2, v10
	v_add_co_ci_u32_e32 v23, vcc_lo, v31, v3, vcc_lo
	v_add_co_u32 v24, vcc_lo, v30, v8
	global_store_b128 v[0:1], v[4:7], off
	v_add_co_ci_u32_e32 v25, vcc_lo, v31, v9, vcc_lo
	ds_load_b128 v[0:3], v16 offset:256
	ds_load_b128 v[4:7], v16 offset:384
	v_lshlrev_b64 v[26:27], 1, v[10:11]
	ds_load_b128 v[8:11], v16 offset:512
	ds_load_b128 v[12:15], v16 offset:640
	ds_load_b128 v[16:19], v16 offset:768
	v_add_nc_u32_e32 v28, s2, v20
	v_ashrrev_i32_e32 v21, 31, v20
	v_add_co_u32 v26, vcc_lo, v30, v26
	s_delay_alu instid0(VALU_DEP_3) | instskip(NEXT) | instid1(VALU_DEP_3)
	v_ashrrev_i32_e32 v29, 31, v28
	v_lshlrev_b64 v[20:21], 1, v[20:21]
	v_add_co_ci_u32_e32 v27, vcc_lo, v31, v27, vcc_lo
	s_delay_alu instid0(VALU_DEP_3) | instskip(NEXT) | instid1(VALU_DEP_3)
	v_lshlrev_b64 v[28:29], 1, v[28:29]
	v_add_co_u32 v20, vcc_lo, v30, v20
	s_delay_alu instid0(VALU_DEP_4) | instskip(NEXT) | instid1(VALU_DEP_3)
	v_add_co_ci_u32_e32 v21, vcc_lo, v31, v21, vcc_lo
	v_add_co_u32 v28, vcc_lo, v30, v28
	s_delay_alu instid0(VALU_DEP_4)
	v_add_co_ci_u32_e32 v29, vcc_lo, v31, v29, vcc_lo
	s_waitcnt lgkmcnt(4)
	global_store_b128 v[22:23], v[0:3], off
	s_waitcnt lgkmcnt(3)
	global_store_b128 v[24:25], v[4:7], off
	;; [unrolled: 2-line block ×5, first 2 shown]
	s_nop 0
	s_sendmsg sendmsg(MSG_DEALLOC_VGPRS)
	s_endpgm
	.section	.rodata,"a",@progbits
	.p2align	6, 0x0
	.amdhsa_kernel _Z39paged_attention_ll4mi_QKV_mfma16_kernelIDF16_hLN4vllm18Fp8KVCacheDataTypeE1EDF16_Li32ELi128ELi256ELb0ELi14EL8MFMAType1EEvPKT_PKT0_S8_ifPKiSA_SA_iPKfiiiPfSD_PS3_PT2_iSC_SC_
		.amdhsa_group_segment_fixed_size 17472
		.amdhsa_private_segment_fixed_size 0
		.amdhsa_kernarg_size 400
		.amdhsa_user_sgpr_count 13
		.amdhsa_user_sgpr_dispatch_ptr 0
		.amdhsa_user_sgpr_queue_ptr 0
		.amdhsa_user_sgpr_kernarg_segment_ptr 1
		.amdhsa_user_sgpr_dispatch_id 0
		.amdhsa_user_sgpr_private_segment_size 0
		.amdhsa_wavefront_size32 1
		.amdhsa_uses_dynamic_stack 0
		.amdhsa_enable_private_segment 0
		.amdhsa_system_sgpr_workgroup_id_x 1
		.amdhsa_system_sgpr_workgroup_id_y 1
		.amdhsa_system_sgpr_workgroup_id_z 1
		.amdhsa_system_sgpr_workgroup_info 0
		.amdhsa_system_vgpr_workitem_id 0
		.amdhsa_next_free_vgpr 150
		.amdhsa_next_free_sgpr 37
		.amdhsa_reserve_vcc 1
		.amdhsa_float_round_mode_32 0
		.amdhsa_float_round_mode_16_64 0
		.amdhsa_float_denorm_mode_32 3
		.amdhsa_float_denorm_mode_16_64 3
		.amdhsa_dx10_clamp 1
		.amdhsa_ieee_mode 1
		.amdhsa_fp16_overflow 0
		.amdhsa_workgroup_processor_mode 1
		.amdhsa_memory_ordered 1
		.amdhsa_forward_progress 0
		.amdhsa_shared_vgpr_count 0
		.amdhsa_exception_fp_ieee_invalid_op 0
		.amdhsa_exception_fp_denorm_src 0
		.amdhsa_exception_fp_ieee_div_zero 0
		.amdhsa_exception_fp_ieee_overflow 0
		.amdhsa_exception_fp_ieee_underflow 0
		.amdhsa_exception_fp_ieee_inexact 0
		.amdhsa_exception_int_div_zero 0
	.end_amdhsa_kernel
	.section	.text._Z39paged_attention_ll4mi_QKV_mfma16_kernelIDF16_hLN4vllm18Fp8KVCacheDataTypeE1EDF16_Li32ELi128ELi256ELb0ELi14EL8MFMAType1EEvPKT_PKT0_S8_ifPKiSA_SA_iPKfiiiPfSD_PS3_PT2_iSC_SC_,"axG",@progbits,_Z39paged_attention_ll4mi_QKV_mfma16_kernelIDF16_hLN4vllm18Fp8KVCacheDataTypeE1EDF16_Li32ELi128ELi256ELb0ELi14EL8MFMAType1EEvPKT_PKT0_S8_ifPKiSA_SA_iPKfiiiPfSD_PS3_PT2_iSC_SC_,comdat
.Lfunc_end1083:
	.size	_Z39paged_attention_ll4mi_QKV_mfma16_kernelIDF16_hLN4vllm18Fp8KVCacheDataTypeE1EDF16_Li32ELi128ELi256ELb0ELi14EL8MFMAType1EEvPKT_PKT0_S8_ifPKiSA_SA_iPKfiiiPfSD_PS3_PT2_iSC_SC_, .Lfunc_end1083-_Z39paged_attention_ll4mi_QKV_mfma16_kernelIDF16_hLN4vllm18Fp8KVCacheDataTypeE1EDF16_Li32ELi128ELi256ELb0ELi14EL8MFMAType1EEvPKT_PKT0_S8_ifPKiSA_SA_iPKfiiiPfSD_PS3_PT2_iSC_SC_
                                        ; -- End function
	.section	.AMDGPU.csdata,"",@progbits
; Kernel info:
; codeLenInByte = 6808
; NumSgprs: 39
; NumVgprs: 150
; ScratchSize: 0
; MemoryBound: 0
; FloatMode: 240
; IeeeMode: 1
; LDSByteSize: 17472 bytes/workgroup (compile time only)
; SGPRBlocks: 4
; VGPRBlocks: 18
; NumSGPRsForWavesPerEU: 39
; NumVGPRsForWavesPerEU: 150
; Occupancy: 9
; WaveLimiterHint : 1
; COMPUTE_PGM_RSRC2:SCRATCH_EN: 0
; COMPUTE_PGM_RSRC2:USER_SGPR: 13
; COMPUTE_PGM_RSRC2:TRAP_HANDLER: 0
; COMPUTE_PGM_RSRC2:TGID_X_EN: 1
; COMPUTE_PGM_RSRC2:TGID_Y_EN: 1
; COMPUTE_PGM_RSRC2:TGID_Z_EN: 1
; COMPUTE_PGM_RSRC2:TIDIG_COMP_CNT: 0
	.section	.text._Z39paged_attention_ll4mi_QKV_mfma16_kernelIDF16_hLN4vllm18Fp8KVCacheDataTypeE1EDF16_Li32ELi128ELi256ELb0ELi15EL8MFMAType1EEvPKT_PKT0_S8_ifPKiSA_SA_iPKfiiiPfSD_PS3_PT2_iSC_SC_,"axG",@progbits,_Z39paged_attention_ll4mi_QKV_mfma16_kernelIDF16_hLN4vllm18Fp8KVCacheDataTypeE1EDF16_Li32ELi128ELi256ELb0ELi15EL8MFMAType1EEvPKT_PKT0_S8_ifPKiSA_SA_iPKfiiiPfSD_PS3_PT2_iSC_SC_,comdat
	.protected	_Z39paged_attention_ll4mi_QKV_mfma16_kernelIDF16_hLN4vllm18Fp8KVCacheDataTypeE1EDF16_Li32ELi128ELi256ELb0ELi15EL8MFMAType1EEvPKT_PKT0_S8_ifPKiSA_SA_iPKfiiiPfSD_PS3_PT2_iSC_SC_ ; -- Begin function _Z39paged_attention_ll4mi_QKV_mfma16_kernelIDF16_hLN4vllm18Fp8KVCacheDataTypeE1EDF16_Li32ELi128ELi256ELb0ELi15EL8MFMAType1EEvPKT_PKT0_S8_ifPKiSA_SA_iPKfiiiPfSD_PS3_PT2_iSC_SC_
	.globl	_Z39paged_attention_ll4mi_QKV_mfma16_kernelIDF16_hLN4vllm18Fp8KVCacheDataTypeE1EDF16_Li32ELi128ELi256ELb0ELi15EL8MFMAType1EEvPKT_PKT0_S8_ifPKiSA_SA_iPKfiiiPfSD_PS3_PT2_iSC_SC_
	.p2align	8
	.type	_Z39paged_attention_ll4mi_QKV_mfma16_kernelIDF16_hLN4vllm18Fp8KVCacheDataTypeE1EDF16_Li32ELi128ELi256ELb0ELi15EL8MFMAType1EEvPKT_PKT0_S8_ifPKiSA_SA_iPKfiiiPfSD_PS3_PT2_iSC_SC_,@function
_Z39paged_attention_ll4mi_QKV_mfma16_kernelIDF16_hLN4vllm18Fp8KVCacheDataTypeE1EDF16_Li32ELi128ELi256ELb0ELi15EL8MFMAType1EEvPKT_PKT0_S8_ifPKiSA_SA_iPKfiiiPfSD_PS3_PT2_iSC_SC_: ; @_Z39paged_attention_ll4mi_QKV_mfma16_kernelIDF16_hLN4vllm18Fp8KVCacheDataTypeE1EDF16_Li32ELi128ELi256ELb0ELi15EL8MFMAType1EEvPKT_PKT0_S8_ifPKiSA_SA_iPKfiiiPfSD_PS3_PT2_iSC_SC_
; %bb.0:
	s_load_b64 s[4:5], s[0:1], 0x30
	s_mov_b32 s34, s13
	s_waitcnt lgkmcnt(0)
	s_cmp_lg_u64 s[4:5], 0
	s_cselect_b32 s8, -1, 0
	s_ashr_i32 s35, s13, 31
	s_cmp_eq_u64 s[4:5], 0
	s_cbranch_scc1 .LBB1084_3
; %bb.1:
	s_lshl_b64 s[2:3], s[34:35], 2
	s_delay_alu instid0(SALU_CYCLE_1) | instskip(SKIP_4) | instid1(SALU_CYCLE_1)
	s_add_u32 s2, s4, s2
	s_addc_u32 s3, s5, s3
	s_load_b64 s[2:3], s[2:3], 0x0
	s_waitcnt lgkmcnt(0)
	s_sub_i32 s2, s3, s2
	s_cmp_eq_u32 s2, 1
	s_cselect_b32 s2, -1, 0
	s_delay_alu instid0(SALU_CYCLE_1)
	s_and_not1_b32 vcc_lo, exec_lo, s2
	s_cbranch_vccz .LBB1084_4
.LBB1084_2:
	s_nop 0
	s_sendmsg sendmsg(MSG_DEALLOC_VGPRS)
	s_endpgm
.LBB1084_3:
.LBB1084_4:
	s_load_b64 s[2:3], s[0:1], 0x28
	s_lshl_b64 s[6:7], s[34:35], 2
	s_waitcnt lgkmcnt(0)
	s_add_u32 s2, s2, s6
	s_addc_u32 s3, s3, s7
	s_lshl_b32 s12, s14, 8
	s_load_b32 s24, s[2:3], 0x0
	s_waitcnt lgkmcnt(0)
	s_cmp_ge_i32 s12, s24
	s_cbranch_scc1 .LBB1084_2
; %bb.5:
	s_clause 0x1
	s_load_b128 s[20:23], s[0:1], 0x8
	s_load_b64 s[2:3], s[0:1], 0x20
	s_and_not1_b32 vcc_lo, exec_lo, s8
	s_cbranch_vccnz .LBB1084_7
; %bb.6:
	s_add_u32 s4, s4, s6
	s_addc_u32 s5, s5, s7
	s_load_b32 s5, s[4:5], 0x0
	s_branch .LBB1084_8
.LBB1084_7:
	s_mov_b32 s5, s34
.LBB1084_8:
	s_load_b128 s[16:19], s[0:1], 0x48
	v_and_b32_e32 v68, 15, v0
	v_lshrrev_b32_e32 v69, 5, v0
	v_bfe_u32 v66, v0, 4, 1
	v_and_b32_e32 v70, 31, v0
	v_and_b32_e32 v67, 1, v0
	v_lshlrev_b32_e32 v2, 3, v68
	s_mul_i32 s31, s15, 15
	v_lshl_or_b32 v1, v69, 1, v66
	s_mov_b32 s4, exec_lo
	s_delay_alu instid0(VALU_DEP_2) | instskip(NEXT) | instid1(VALU_DEP_2)
	v_lshlrev_b32_e32 v65, 1, v2
	v_cmpx_gt_u32_e32 15, v1
	s_cbranch_execz .LBB1084_10
; %bb.9:
	s_load_b64 s[6:7], s[0:1], 0x0
	v_add_lshl_u32 v2, v1, s31, 7
	s_waitcnt lgkmcnt(0)
	s_mul_hi_i32 s9, s5, s16
	s_mul_i32 s8, s5, s16
	v_lshlrev_b32_e32 v6, 10, v68
	s_lshl_b64 s[8:9], s[8:9], 1
	v_ashrrev_i32_e32 v3, 31, v2
	v_lshlrev_b32_e32 v1, 6, v1
	v_lshlrev_b32_e32 v7, 10, v67
	v_and_b32_e32 v6, 0x3800, v6
	s_delay_alu instid0(VALU_DEP_4) | instskip(NEXT) | instid1(VALU_DEP_2)
	v_lshlrev_b64 v[2:3], 1, v[2:3]
	v_or3_b32 v1, v6, v7, v1
	s_add_u32 s5, s6, s8
	s_addc_u32 s6, s7, s9
	s_delay_alu instid0(VALU_DEP_2) | instskip(NEXT) | instid1(VALU_DEP_3)
	v_add_co_u32 v2, vcc_lo, s5, v2
	v_add_co_ci_u32_e32 v3, vcc_lo, s6, v3, vcc_lo
	s_delay_alu instid0(VALU_DEP_2) | instskip(NEXT) | instid1(VALU_DEP_2)
	v_add_co_u32 v2, vcc_lo, v2, v65
	v_add_co_ci_u32_e32 v3, vcc_lo, 0, v3, vcc_lo
	global_load_b128 v[2:5], v[2:3], off
	s_waitcnt vmcnt(0)
	ds_store_b128 v1, v[2:5]
.LBB1084_10:
	s_or_b32 exec_lo, exec_lo, s4
	v_and_b32_e32 v1, 0xef, v0
	s_waitcnt lgkmcnt(0)
	s_add_i32 s5, s24, 31
	s_clause 0x1
	s_load_b32 s4, s[0:1], 0x38
	s_load_b32 s33, s[0:1], 0x98
	s_ashr_i32 s6, s5, 31
	v_add_nc_u32_e32 v1, s12, v1
	s_lshr_b32 s6, s6, 27
	s_load_b32 s19, s[0:1], 0x1c
	s_add_i32 s5, s5, s6
	s_waitcnt lgkmcnt(0)
	v_ashrrev_i32_e32 v2, 31, v1
	v_or_b32_e32 v3, 16, v1
	s_ashr_i32 s13, s5, 5
	v_cmp_gt_i32_e32 vcc_lo, s24, v1
	s_add_i32 s13, s13, -1
	v_lshrrev_b32_e32 v2, 27, v2
	s_barrier
	buffer_gl0_inv
	s_mul_i32 s15, s15, s18
	v_add_nc_u32_e32 v4, v1, v2
	s_mul_i32 s4, s34, s4
	s_delay_alu instid0(SALU_CYCLE_1) | instskip(NEXT) | instid1(VALU_DEP_1)
	s_ashr_i32 s5, s4, 31
	v_ashrrev_i32_e32 v4, 5, v4
	v_add_nc_u32_e32 v2, v3, v2
	s_lshl_b64 s[4:5], s[4:5], 2
	s_delay_alu instid0(SALU_CYCLE_1) | instskip(NEXT) | instid1(VALU_DEP_2)
	s_add_u32 s16, s2, s4
	v_cndmask_b32_e32 v1, s13, v4, vcc_lo
	s_delay_alu instid0(VALU_DEP_2)
	v_ashrrev_i32_e32 v2, 5, v2
	v_cmp_gt_i32_e32 vcc_lo, s24, v3
	s_addc_u32 s25, s3, s5
	s_ashr_i32 s18, s15, 31
	s_add_u32 s2, s20, s15
	s_addc_u32 s3, s21, s18
	v_cndmask_b32_e32 v3, s13, v2, vcc_lo
	v_ashrrev_i32_e32 v2, 31, v1
	s_lshl_b32 s4, s14, 3
	s_delay_alu instid0(SALU_CYCLE_1) | instskip(NEXT) | instid1(VALU_DEP_2)
	s_ashr_i32 s5, s4, 31
	v_ashrrev_i32_e32 v4, 31, v3
	s_delay_alu instid0(VALU_DEP_2) | instskip(SKIP_1) | instid1(SALU_CYCLE_1)
	v_lshlrev_b64 v[1:2], 2, v[1:2]
	s_lshl_b64 s[4:5], s[4:5], 2
	s_add_u32 s4, s16, s4
	s_delay_alu instid0(VALU_DEP_2) | instskip(SKIP_1) | instid1(VALU_DEP_2)
	v_lshlrev_b64 v[3:4], 2, v[3:4]
	s_addc_u32 s5, s25, s5
	v_add_co_u32 v1, vcc_lo, s16, v1
	v_add_co_ci_u32_e32 v2, vcc_lo, s25, v2, vcc_lo
	s_delay_alu instid0(VALU_DEP_3) | instskip(NEXT) | instid1(VALU_DEP_4)
	v_add_co_u32 v3, vcc_lo, s16, v3
	v_add_co_ci_u32_e32 v4, vcc_lo, s25, v4, vcc_lo
	s_clause 0x1
	global_load_b32 v5, v[1:2], off
	global_load_b32 v6, v[3:4], off
	s_or_b32 s6, s12, 32
	s_delay_alu instid0(SALU_CYCLE_1) | instskip(SKIP_2) | instid1(SALU_CYCLE_1)
	s_ashr_i32 s7, s6, 5
	s_cmp_lt_i32 s6, s24
	s_cselect_b32 s6, s7, s13
	s_ashr_i32 s7, s6, 31
	s_delay_alu instid0(SALU_CYCLE_1) | instskip(NEXT) | instid1(SALU_CYCLE_1)
	s_lshl_b64 s[6:7], s[6:7], 2
	s_add_u32 s6, s16, s6
	s_addc_u32 s7, s25, s7
	s_or_b32 s8, s12, 64
	s_delay_alu instid0(SALU_CYCLE_1) | instskip(SKIP_2) | instid1(SALU_CYCLE_1)
	s_ashr_i32 s9, s8, 5
	s_cmp_lt_i32 s8, s24
	s_cselect_b32 s8, s9, s13
	s_ashr_i32 s9, s8, 31
	s_delay_alu instid0(SALU_CYCLE_1) | instskip(NEXT) | instid1(SALU_CYCLE_1)
	s_lshl_b64 s[8:9], s[8:9], 2
	s_add_u32 s8, s16, s8
	s_addc_u32 s9, s25, s9
	;; [unrolled: 10-line block ×5, first 2 shown]
	s_clause 0x5
	s_load_b32 s28, s[4:5], 0x0
	s_load_b32 s29, s[6:7], 0x0
	;; [unrolled: 1-line block ×6, first 2 shown]
	s_mov_b32 s4, 0
	s_delay_alu instid0(SALU_CYCLE_1)
	s_mov_b32 s5, s4
	s_mov_b32 s6, s4
	;; [unrolled: 1-line block ×7, first 2 shown]
	s_delay_alu instid0(SALU_CYCLE_1)
	v_dual_mov_b32 v118, s11 :: v_dual_mov_b32 v117, s10
	v_dual_mov_b32 v116, s9 :: v_dual_mov_b32 v115, s8
	v_mov_b32_e32 v113, s6
	v_dual_mov_b32 v111, s4 :: v_dual_mov_b32 v114, s7
	v_mov_b32_e32 v112, s5
	s_waitcnt vmcnt(1)
	v_mad_i64_i32 v[1:2], null, v5, s17, s[2:3]
	v_lshlrev_b32_e32 v5, 4, v68
	s_waitcnt vmcnt(0)
	v_mad_i64_i32 v[3:4], null, v6, s17, s[2:3]
	s_or_b32 s2, s12, 0xc0
	s_delay_alu instid0(SALU_CYCLE_1) | instskip(NEXT) | instid1(VALU_DEP_3)
	s_ashr_i32 s3, s2, 5
	v_add_co_u32 v1, vcc_lo, v1, v5
	s_delay_alu instid0(VALU_DEP_4) | instskip(NEXT) | instid1(VALU_DEP_3)
	v_add_co_ci_u32_e32 v2, vcc_lo, 0, v2, vcc_lo
	v_add_co_u32 v3, vcc_lo, v3, v5
	s_delay_alu instid0(VALU_DEP_4)
	v_add_co_ci_u32_e32 v4, vcc_lo, 0, v4, vcc_lo
	s_clause 0xf
	global_load_b128 v[17:20], v[1:2], off
	global_load_b128 v[21:24], v[1:2], off offset:512
	global_load_b128 v[25:28], v[3:4], off offset:256
	;; [unrolled: 1-line block ×15, first 2 shown]
	s_cmp_lt_i32 s2, s24
	v_cmp_ne_u32_e32 vcc_lo, 15, v68
	s_cselect_b32 s2, s3, s13
	v_lshlrev_b32_e32 v2, 5, v68
	s_ashr_i32 s3, s2, 31
	s_delay_alu instid0(SALU_CYCLE_1) | instskip(SKIP_4) | instid1(SALU_CYCLE_1)
	s_lshl_b64 s[2:3], s[2:3], 2
	v_cndmask_b32_e32 v1, 0, v68, vcc_lo
	s_add_u32 s2, s16, s2
	s_addc_u32 s3, s25, s3
	s_or_b32 s20, s12, 0xe0
	s_ashr_i32 s21, s20, 5
	s_cmp_lt_i32 s20, s24
	v_lshlrev_b32_e32 v149, 6, v1
	s_cselect_b32 s20, s21, s13
	v_lshl_or_b32 v1, v69, 9, v2
	s_ashr_i32 s21, s20, 31
	ds_load_b128 v[119:122], v149
	ds_load_b128 v[123:126], v149 offset:1024
	s_lshl_b64 s[4:5], s[20:21], 2
	ds_load_b128 v[127:130], v149 offset:2048
	ds_load_b128 v[131:134], v149 offset:3072
	s_add_u32 s4, s16, s4
	s_addc_u32 s5, s25, s5
	s_clause 0x1
	s_load_b32 s2, s[2:3], 0x0
	s_load_b32 s3, s[4:5], 0x0
	s_add_u32 s6, s22, s15
	s_addc_u32 s7, s23, s18
	v_add_co_u32 v135, s6, s6, v1
	s_delay_alu instid0(VALU_DEP_1) | instskip(SKIP_1) | instid1(VALU_DEP_1)
	v_add_co_ci_u32_e64 v136, null, s7, 0, s6
	s_waitcnt lgkmcnt(0)
	v_mad_i64_i32 v[1:2], null, s28, s17, v[135:136]
	v_mad_i64_i32 v[3:4], null, s29, s17, v[135:136]
	;; [unrolled: 1-line block ×6, first 2 shown]
	s_clause 0x9
	global_load_b128 v[49:52], v[1:2], off
	global_load_b128 v[53:56], v[1:2], off offset:16
	global_load_b128 v[41:44], v[3:4], off
	global_load_b128 v[45:48], v[3:4], off offset:16
	;; [unrolled: 2-line block ×5, first 2 shown]
	v_mad_i64_i32 v[145:146], null, s2, s17, v[135:136]
	v_mad_i64_i32 v[147:148], null, s3, s17, v[135:136]
	s_waitcnt vmcnt(24)
	v_wmma_f32_16x16x16_f16 v[135:142], v[17:24], v[119:126], v[111:118]
	s_waitcnt vmcnt(22)
	v_wmma_f32_16x16x16_f16 v[111:118], v[25:32], v[119:126], v[111:118]
	s_clause 0x3
	global_load_b128 v[17:20], v[143:144], off
	global_load_b128 v[21:24], v[143:144], off offset:16
	global_load_b128 v[25:28], v[145:146], off
	global_load_b128 v[29:32], v[145:146], off offset:16
	v_and_b32_e32 v119, 0xe0, v0
	s_waitcnt vmcnt(24)
	v_wmma_f32_16x16x16_f16 v[135:142], v[57:64], v[127:134], v[135:142]
	s_clause 0x1
	global_load_b128 v[57:60], v[147:148], off
	global_load_b128 v[61:64], v[147:148], off offset:16
	s_waitcnt vmcnt(24)
	v_wmma_f32_16x16x16_f16 v[111:118], v[71:78], v[127:134], v[111:118]
	ds_load_b128 v[71:74], v149 offset:4096
	ds_load_b128 v[75:78], v149 offset:5120
	v_add_nc_u32_e32 v128, s12, v119
	ds_load_b128 v[119:122], v149 offset:6144
	ds_load_b128 v[123:126], v149 offset:7168
	v_mbcnt_lo_u32_b32 v127, -1, 0
	s_waitcnt vmcnt(0) lgkmcnt(0)
	s_barrier
	v_or_b32_e32 v128, v128, v66
	buffer_gl0_inv
	v_xor_b32_e32 v129, 16, v127
	v_or_b32_e32 v130, 4, v128
	v_or_b32_e32 v131, 6, v128
	s_delay_alu instid0(VALU_DEP_3) | instskip(SKIP_4) | instid1(VALU_DEP_4)
	v_cmp_gt_i32_e32 vcc_lo, 32, v129
	v_or_b32_e32 v132, 8, v128
	v_or_b32_e32 v133, 10, v128
	v_cmp_gt_i32_e64 s3, s24, v130
	v_cmp_gt_i32_e64 s4, s24, v131
	v_cmp_gt_i32_e64 s5, s24, v132
	v_wmma_f32_16x16x16_f16 v[135:142], v[79:86], v[71:78], v[135:142]
	v_wmma_f32_16x16x16_f16 v[111:118], v[87:94], v[71:78], v[111:118]
	v_or_b32_e32 v79, 12, v128
	v_or_b32_e32 v80, 14, v128
	v_cmp_gt_i32_e64 s6, s24, v133
	v_wmma_f32_16x16x16_f16 v[135:142], v[95:102], v[119:126], v[135:142]
	v_cndmask_b32_e32 v127, v127, v129, vcc_lo
	v_or_b32_e32 v129, 2, v128
	v_wmma_f32_16x16x16_f16 v[111:118], v[103:110], v[119:126], v[111:118]
	v_cmp_gt_i32_e32 vcc_lo, s24, v128
	v_dual_mul_f32 v88, s19, v135 :: v_dual_mul_f32 v87, s19, v136
	s_delay_alu instid0(VALU_DEP_4) | instskip(NEXT) | instid1(VALU_DEP_4)
	v_cmp_gt_i32_e64 s2, s24, v129
	v_mul_f32_e32 v94, s19, v113
	v_mul_f32_e32 v78, s19, v138
	;; [unrolled: 1-line block ×3, first 2 shown]
	v_cndmask_b32_e32 v88, 0xff7fffff, v88, vcc_lo
	v_cndmask_b32_e64 v87, 0xff7fffff, v87, s2
	v_dual_mul_f32 v76, s19, v140 :: v_dual_mul_f32 v77, s19, v139
	v_mul_f32_e32 v90, s19, v117
	v_cndmask_b32_e64 v86, 0xff7fffff, v86, s3
	v_cndmask_b32_e64 v78, 0xff7fffff, v78, s4
	v_max3_f32 v87, v88, 0xff7fffff, v87
	v_or_b32_e32 v81, 16, v128
	v_or_b32_e32 v82, 18, v128
	v_dual_mul_f32 v74, s19, v142 :: v_dual_mul_f32 v75, s19, v141
	v_mul_f32_e32 v92, s19, v115
	v_cndmask_b32_e64 v77, 0xff7fffff, v77, s5
	v_cndmask_b32_e64 v76, 0xff7fffff, v76, s6
	v_max3_f32 v78, v87, v86, v78
	v_cmp_gt_i32_e64 s7, s24, v79
	v_cmp_gt_i32_e64 s8, s24, v80
	v_or_b32_e32 v83, 20, v128
	v_or_b32_e32 v84, 22, v128
	v_dual_mul_f32 v89, s19, v118 :: v_dual_mul_f32 v96, s19, v111
	v_mul_f32_e32 v95, s19, v112
	v_cndmask_b32_e64 v75, 0xff7fffff, v75, s7
	v_cndmask_b32_e64 v74, 0xff7fffff, v74, s8
	v_max3_f32 v76, v78, v77, v76
	v_cmp_gt_i32_e64 s9, s24, v81
	v_cmp_gt_i32_e64 s10, s24, v82
	v_or_b32_e32 v85, 24, v128
	v_or_b32_e32 v71, 26, v128
	v_mul_f32_e32 v93, s19, v114
	v_cndmask_b32_e64 v77, 0xff7fffff, v96, s9
	v_cndmask_b32_e64 v78, 0xff7fffff, v95, s10
	v_max3_f32 v74, v76, v75, v74
	v_cmp_gt_i32_e64 s11, s24, v83
	v_cmp_gt_i32_e64 s12, s24, v84
	v_or_b32_e32 v72, 28, v128
	v_or_b32_e32 v73, 30, v128
	v_mul_f32_e32 v91, s19, v116
	v_cndmask_b32_e64 v75, 0xff7fffff, v94, s11
	v_cndmask_b32_e64 v76, 0xff7fffff, v93, s12
	v_max3_f32 v74, v74, v77, v78
	v_cmp_gt_i32_e64 s13, s24, v85
	v_cmp_gt_i32_e64 s15, s24, v71
	;; [unrolled: 1-line block ×4, first 2 shown]
	v_max3_f32 v74, v74, v75, v76
	v_cndmask_b32_e64 v77, 0xff7fffff, v92, s13
	v_cndmask_b32_e64 v71, 0xff7fffff, v91, s15
	;; [unrolled: 1-line block ×4, first 2 shown]
	s_delay_alu instid0(VALU_DEP_3) | instskip(SKIP_1) | instid1(VALU_DEP_2)
	v_max3_f32 v71, v74, v77, v71
	v_lshlrev_b32_e32 v74, 2, v127
	v_max3_f32 v71, v71, v72, v73
	ds_bpermute_b32 v72, v74, v71
	s_waitcnt lgkmcnt(0)
	v_max_f32_e32 v72, v72, v72
	s_delay_alu instid0(VALU_DEP_1) | instskip(NEXT) | instid1(VALU_DEP_1)
	v_max_f32_e32 v71, v71, v72
	v_fma_f32 v75, s19, v137, -v71
	v_fma_f32 v76, s19, v138, -v71
	v_fma_f32 v72, s19, v135, -v71
	v_fma_f32 v80, s19, v141, -v71
	v_fma_f32 v73, s19, v136, -v71
	s_delay_alu instid0(VALU_DEP_4) | instskip(NEXT) | instid1(VALU_DEP_4)
	v_dual_mul_f32 v75, 0x3fb8aa3b, v75 :: v_dual_mul_f32 v76, 0x3fb8aa3b, v76
	v_mul_f32_e32 v72, 0x3fb8aa3b, v72
	v_fma_f32 v77, s19, v139, -v71
	s_delay_alu instid0(VALU_DEP_4) | instskip(NEXT) | instid1(VALU_DEP_4)
	v_mul_f32_e32 v73, 0x3fb8aa3b, v73
	v_exp_f32_e32 v75, v75
	v_exp_f32_e32 v76, v76
	;; [unrolled: 1-line block ×3, first 2 shown]
	s_delay_alu instid0(VALU_DEP_1) | instskip(SKIP_2) | instid1(TRANS32_DEP_3)
	v_exp_f32_e32 v73, v73
	v_cndmask_b32_e64 v81, 0, v75, s3
	v_mul_f32_e32 v82, 0x3fb8aa3b, v80
	v_cndmask_b32_e64 v80, 0, v76, s4
	s_waitcnt_depctr 0xfff
	v_cndmask_b32_e64 v78, 0, v73, s2
	v_cmp_gt_u32_e64 s2, 16, v70
	v_exp_f32_e32 v84, v82
	s_waitcnt_depctr 0xfff
	v_cndmask_b32_e64 v85, 0, v84, s7
	v_cndmask_b32_e32 v79, 0, v72, vcc_lo
	v_fma_f32 v72, s19, v140, -v71
	v_mul_f32_e32 v77, 0x3fb8aa3b, v77
	s_delay_alu instid0(VALU_DEP_2) | instskip(NEXT) | instid1(VALU_DEP_2)
	v_dual_add_f32 v73, 0, v79 :: v_dual_mul_f32 v72, 0x3fb8aa3b, v72
	v_exp_f32_e32 v77, v77
	s_delay_alu instid0(VALU_DEP_1) | instskip(NEXT) | instid1(VALU_DEP_2)
	v_add_f32_e32 v73, v73, v78
	v_exp_f32_e32 v72, v72
	s_delay_alu instid0(VALU_DEP_1) | instskip(SKIP_4) | instid1(VALU_DEP_2)
	v_add_f32_e32 v73, v73, v81
	s_waitcnt_depctr 0xfff
	v_cndmask_b32_e64 v83, 0, v77, s5
	v_add_f32_e32 v73, v73, v80
	v_cndmask_b32_e64 v82, 0, v72, s6
	v_add_f32_e32 v72, v73, v83
	s_delay_alu instid0(VALU_DEP_1)
	v_add_f32_e32 v72, v72, v82
	v_fma_f32 v75, s19, v142, -v71
	v_fma_f32 v76, s19, v111, -v71
	;; [unrolled: 1-line block ×5, first 2 shown]
	s_delay_alu instid0(VALU_DEP_4) | instskip(NEXT) | instid1(VALU_DEP_4)
	v_dual_mul_f32 v75, 0x3fb8aa3b, v75 :: v_dual_mul_f32 v76, 0x3fb8aa3b, v76
	v_mul_f32_e32 v86, 0x3fb8aa3b, v86
	v_add_f32_e32 v72, v72, v85
	s_delay_alu instid0(VALU_DEP_3) | instskip(NEXT) | instid1(VALU_DEP_3)
	v_exp_f32_e32 v75, v75
	v_exp_f32_e32 v76, v76
	s_delay_alu instid0(VALU_DEP_2) | instskip(NEXT) | instid1(TRANS32_DEP_3)
	v_exp_f32_e32 v88, v86
	v_cndmask_b32_e64 v84, 0, v75, s8
	v_mul_f32_e32 v77, 0x3fb8aa3b, v77
	s_waitcnt_depctr 0xfff
	v_cndmask_b32_e64 v87, 0, v76, s9
	v_fma_f32 v76, s19, v116, -v71
	v_dual_mul_f32 v73, 0x3fb8aa3b, v73 :: v_dual_add_f32 v72, v72, v84
	v_exp_f32_e32 v77, v77
	v_fma_f32 v75, s19, v115, -v71
	s_delay_alu instid0(VALU_DEP_3) | instskip(NEXT) | instid1(VALU_DEP_3)
	v_mul_f32_e32 v76, 0x3fb8aa3b, v76
	v_exp_f32_e32 v73, v73
	v_add_f32_e32 v72, v72, v87
	v_cndmask_b32_e64 v88, 0, v88, s12
	s_delay_alu instid0(VALU_DEP_3) | instskip(NEXT) | instid1(TRANS32_DEP_3)
	v_exp_f32_e32 v76, v76
	v_cndmask_b32_e64 v86, 0, v77, s10
	v_mul_f32_e32 v75, 0x3fb8aa3b, v75
	v_fma_f32 v77, s19, v117, -v71
	s_delay_alu instid0(TRANS32_DEP_2) | instskip(NEXT) | instid1(VALU_DEP_4)
	v_cndmask_b32_e64 v89, 0, v73, s11
	v_add_f32_e32 v72, v72, v86
	s_delay_alu instid0(VALU_DEP_4) | instskip(NEXT) | instid1(TRANS32_DEP_2)
	v_exp_f32_e32 v75, v75
	v_cndmask_b32_e64 v90, 0, v76, s15
	s_delay_alu instid0(VALU_DEP_2) | instskip(SKIP_2) | instid1(VALU_DEP_3)
	v_add_f32_e32 v72, v72, v89
	v_mul_f32_e32 v73, 0x3fb8aa3b, v77
	v_fma_f32 v77, s19, v118, -v71
	v_add_f32_e32 v72, v72, v88
	s_delay_alu instid0(VALU_DEP_3) | instskip(NEXT) | instid1(TRANS32_DEP_2)
	v_exp_f32_e32 v73, v73
	v_cndmask_b32_e64 v91, 0, v75, s13
	s_delay_alu instid0(VALU_DEP_1) | instskip(NEXT) | instid1(VALU_DEP_1)
	v_dual_mul_f32 v75, 0x3fb8aa3b, v77 :: v_dual_add_f32 v72, v72, v91
	v_exp_f32_e32 v75, v75
	s_waitcnt_depctr 0xfff
	v_cndmask_b32_e64 v93, 0, v73, s16
	v_add_f32_e32 v72, v72, v90
	s_delay_alu instid0(VALU_DEP_1) | instskip(SKIP_1) | instid1(VALU_DEP_1)
	v_add_f32_e32 v72, v72, v93
	v_cndmask_b32_e64 v92, 0, v75, s17
	v_add_f32_e32 v72, v72, v92
	ds_bpermute_b32 v73, v74, v72
	s_and_saveexec_b32 s3, s2
	s_cbranch_execz .LBB1084_12
; %bb.11:
	v_mul_u32_u24_e32 v70, 0x44, v69
	s_waitcnt lgkmcnt(0)
	v_add_f32_e32 v72, v72, v73
	s_delay_alu instid0(VALU_DEP_2) | instskip(NEXT) | instid1(VALU_DEP_1)
	v_lshl_add_u32 v70, v68, 2, v70
	v_add_nc_u32_e32 v70, 0x4000, v70
	ds_store_2addr_b32 v70, v71, v72 offset1:136
.LBB1084_12:
	s_or_b32 exec_lo, exec_lo, s3
	v_lshlrev_b32_e32 v70, 2, v68
	s_load_b32 s35, s[0:1], 0x94
	s_waitcnt lgkmcnt(0)
	s_barrier
	buffer_gl0_inv
	v_add_nc_u32_e32 v98, 0x4000, v70
	v_cmp_eq_u32_e32 vcc_lo, 1, v69
	v_cmp_eq_u32_e64 s3, 2, v69
	v_cmp_eq_u32_e64 s4, 3, v69
	;; [unrolled: 1-line block ×3, first 2 shown]
	ds_load_2addr_b32 v[70:71], v98 offset1:17
	ds_load_2addr_b32 v[72:73], v98 offset0:34 offset1:51
	ds_load_2addr_b32 v[74:75], v98 offset0:68 offset1:85
	;; [unrolled: 1-line block ×3, first 2 shown]
	v_cmp_eq_u32_e64 s6, 5, v69
	v_cmp_eq_u32_e64 s7, 7, v69
	s_waitcnt lgkmcnt(3)
	v_max3_f32 v76, v70, 0xff7fffff, v71
	s_waitcnt lgkmcnt(2)
	s_delay_alu instid0(VALU_DEP_1) | instskip(SKIP_1) | instid1(VALU_DEP_1)
	v_max3_f32 v76, v76, v72, v73
	s_waitcnt lgkmcnt(1)
	v_max3_f32 v76, v76, v74, v75
	s_waitcnt lgkmcnt(0)
	s_delay_alu instid0(VALU_DEP_1) | instskip(NEXT) | instid1(VALU_DEP_1)
	v_max3_f32 v76, v76, v94, v95
	v_sub_f32_e32 v77, v71, v76
	ds_load_2addr_b32 v[96:97], v98 offset0:136 offset1:153
	v_sub_f32_e32 v74, v74, v76
	v_sub_f32_e32 v70, v70, v76
	;; [unrolled: 1-line block ×3, first 2 shown]
	v_dual_sub_f32 v72, v72, v76 :: v_dual_mul_f32 v77, 0x3fb8aa3b, v77
	s_delay_alu instid0(VALU_DEP_4) | instskip(NEXT) | instid1(VALU_DEP_4)
	v_mul_f32_e32 v103, 0x3fb8aa3b, v74
	v_mul_f32_e32 v99, 0x3fb8aa3b, v70
	ds_load_2addr_b32 v[70:71], v98 offset0:170 offset1:187
	v_dual_mul_f32 v101, 0x3fb8aa3b, v72 :: v_dual_mul_f32 v94, 0x3fb8aa3b, v94
	v_exp_f32_e32 v102, v77
	v_exp_f32_e32 v99, v99
	s_delay_alu instid0(VALU_DEP_1) | instskip(NEXT) | instid1(VALU_DEP_1)
	v_exp_f32_e32 v101, v101
	v_exp_f32_e32 v94, v94
	s_waitcnt lgkmcnt(1)
	s_delay_alu instid0(TRANS32_DEP_3)
	v_fma_f32 v77, v99, v96, 0
	v_sub_f32_e32 v100, v73, v76
	ds_load_2addr_b32 v[72:73], v98 offset0:204 offset1:221
	v_fmac_f32_e32 v77, v102, v97
	v_exp_f32_e32 v97, v103
	s_waitcnt lgkmcnt(1)
	s_delay_alu instid0(VALU_DEP_1)
	v_dual_fmac_f32 v77, v101, v70 :: v_dual_sub_f32 v96, v75, v76
	ds_load_2addr_b32 v[74:75], v98 offset0:238 offset1:255
	v_sub_f32_e32 v70, v95, v76
	s_waitcnt lgkmcnt(0)
	s_barrier
	v_mul_f32_e32 v96, 0x3fb8aa3b, v96
	buffer_gl0_inv
	v_exp_f32_e32 v95, v96
	v_mul_f32_e32 v100, 0x3fb8aa3b, v100
	s_delay_alu instid0(VALU_DEP_1) | instskip(SKIP_3) | instid1(VALU_DEP_2)
	v_exp_f32_e32 v100, v100
	s_waitcnt_depctr 0xfff
	v_dual_fmac_f32 v77, v100, v71 :: v_dual_mul_f32 v70, 0x3fb8aa3b, v70
	v_cndmask_b32_e32 v71, v99, v102, vcc_lo
	v_fmac_f32_e32 v77, v97, v72
	s_delay_alu instid0(VALU_DEP_3) | instskip(NEXT) | instid1(VALU_DEP_1)
	v_exp_f32_e32 v96, v70
	v_fmac_f32_e32 v77, v95, v73
	s_delay_alu instid0(VALU_DEP_1) | instskip(SKIP_2) | instid1(VALU_DEP_1)
	v_fmac_f32_e32 v77, v94, v74
	s_waitcnt_depctr 0xfff
	v_fmac_f32_e32 v77, v96, v75
	v_add_f32_e32 v74, 0x358637bd, v77
	s_delay_alu instid0(VALU_DEP_1) | instskip(SKIP_1) | instid1(VALU_DEP_2)
	v_div_scale_f32 v98, null, v74, v74, 1.0
	v_div_scale_f32 v99, vcc_lo, 1.0, v74, 1.0
	v_rcp_f32_e32 v103, v98
	s_waitcnt_depctr 0xfff
	v_fma_f32 v70, -v98, v103, 1.0
	s_delay_alu instid0(VALU_DEP_1) | instskip(SKIP_2) | instid1(VALU_DEP_2)
	v_fmac_f32_e32 v103, v70, v103
	v_cndmask_b32_e64 v70, v71, v101, s3
	v_cmp_eq_u32_e64 s3, 6, v69
	v_cndmask_b32_e64 v71, v70, v100, s4
	s_delay_alu instid0(VALU_DEP_4) | instskip(NEXT) | instid1(VALU_DEP_2)
	v_dual_mul_f32 v101, v99, v103 :: v_dual_lshlrev_b32 v70, 2, v66
	v_cndmask_b32_e64 v71, v71, v97, s5
	s_delay_alu instid0(VALU_DEP_2) | instskip(NEXT) | instid1(VALU_DEP_3)
	v_or_b32_e32 v72, 1, v70
	v_fma_f32 v100, -v98, v101, v99
	v_cmp_eq_u32_e64 s4, 1, v70
	v_cmp_eq_u32_e64 s5, 2, v70
	v_cndmask_b32_e64 v95, v71, v95, s6
	v_or_b32_e32 v71, 3, v70
	v_fmac_f32_e32 v101, v100, v103
	v_cmp_eq_u32_e64 s9, 1, v72
	v_cmp_eq_u32_e64 s12, 2, v72
	v_cndmask_b32_e64 v94, v95, v94, s3
	v_cmp_eq_u32_e64 s11, 1, v71
	v_fma_f32 v97, -v98, v101, v99
	v_cmp_eq_u32_e64 s16, 2, v71
	v_cmp_eq_u32_e64 s13, 3, v72
	v_cndmask_b32_e64 v94, v94, v96, s7
	v_cmp_eq_u32_e64 s18, 3, v71
	v_div_fmas_f32 v95, v97, v103, v101
	v_cmp_eq_u32_e32 vcc_lo, 3, v70
	v_cmp_eq_u32_e64 s3, 4, v70
	v_cmp_eq_u32_e64 s19, 4, v72
	;; [unrolled: 1-line block ×3, first 2 shown]
	v_div_fixup_f32 v95, v95, v74, 1.0
	v_lshlrev_b32_e32 v73, 6, v68
	v_cmp_eq_u32_e64 s6, 5, v70
	v_cmp_eq_u32_e64 s20, 5, v72
	v_cmp_eq_u32_e64 s24, 5, v71
	v_mul_f32_e32 v102, v94, v95
	v_lshl_or_b32 v75, v69, 11, v73
	v_or_b32_e32 v69, 2, v70
	v_cmp_eq_u32_e64 s25, 6, v72
	v_cmp_eq_u32_e64 s27, 6, v71
	v_fma_mixlo_f16 v94, v102, v79, 0
	v_fma_mixlo_f16 v95, v102, v81, 0
	;; [unrolled: 1-line block ×8, first 2 shown]
	v_lshl_or_b32 v74, v66, 4, v75
	v_fma_mixhi_f16 v94, v102, v78, 0
	v_fma_mixhi_f16 v95, v102, v80, 0
	;; [unrolled: 1-line block ×8, first 2 shown]
	ds_store_b128 v74, v[94:97]
	ds_store_b128 v74, v[98:101] offset:1024
	s_waitcnt lgkmcnt(0)
	s_barrier
	buffer_gl0_inv
	ds_load_b128 v[78:81], v75
	ds_load_b128 v[82:85], v75 offset:16
	ds_load_b128 v[86:89], v75 offset:1024
	ds_load_b128 v[90:93], v75 offset:1040
	v_cmp_eq_u32_e64 s10, 1, v69
	v_cmp_eq_u32_e64 s15, 2, v69
	v_cmp_eq_u32_e64 s17, 3, v69
	v_cmp_eq_u32_e64 s21, 4, v69
	v_cmp_eq_u32_e64 s23, 5, v69
	v_cmp_eq_u32_e64 s7, 6, v70
	v_cmp_eq_u32_e64 s26, 6, v69
	v_cmp_eq_u32_e64 s29, 7, v71
	v_cmp_eq_u32_e64 s30, 7, v72
	v_cmp_eq_u32_e64 s8, 7, v70
	v_cmp_eq_u32_e64 s28, 7, v69
	s_waitcnt lgkmcnt(3)
	v_lshrrev_b32_e32 v94, 16, v78
	s_waitcnt lgkmcnt(2)
	v_lshrrev_b32_e32 v98, 16, v82
	;; [unrolled: 2-line block ×4, first 2 shown]
	v_lshrrev_b32_e32 v95, 16, v79
	v_cndmask_b32_e64 v110, v78, v94, s4
	v_cndmask_b32_e64 v111, v82, v98, s4
	;; [unrolled: 1-line block ×8, first 2 shown]
	v_lshrrev_b32_e32 v99, 16, v83
	v_cndmask_b32_e64 v94, v86, v102, s4
	v_cndmask_b32_e64 v98, v90, v106, s4
	v_cndmask_b32_e64 v116, v86, v102, s9
	v_cndmask_b32_e64 v117, v90, v106, s9
	v_cndmask_b32_e64 v118, v86, v102, s10
	v_cndmask_b32_e64 v119, v90, v106, s10
	v_cndmask_b32_e64 v86, v86, v102, s11
	v_cndmask_b32_e64 v90, v90, v106, s11
	v_cndmask_b32_e64 v102, v110, v79, s5
	v_cndmask_b32_e64 v106, v111, v83, s5
	v_cndmask_b32_e64 v110, v112, v79, s12
	v_cndmask_b32_e64 v111, v113, v83, s12
	v_cndmask_b32_e64 v112, v114, v79, s15
	v_cndmask_b32_e64 v78, v78, v79, s16
	v_cndmask_b32_e64 v79, v82, v83, s16
	v_lshrrev_b32_e32 v103, 16, v87
	v_lshrrev_b32_e32 v107, 16, v91
	v_cndmask_b32_e64 v113, v115, v83, s15
	v_cndmask_b32_e64 v82, v94, v87, s5
	;; [unrolled: 1-line block ×7, first 2 shown]
	v_cndmask_b32_e32 v90, v102, v95, vcc_lo
	v_cndmask_b32_e32 v102, v106, v99, vcc_lo
	v_cndmask_b32_e64 v106, v110, v95, s13
	v_cndmask_b32_e64 v110, v111, v99, s13
	;; [unrolled: 1-line block ×4, first 2 shown]
	v_lshrrev_b32_e32 v96, 16, v80
	v_lshrrev_b32_e32 v100, 16, v84
	v_cndmask_b32_e64 v111, v112, v95, s17
	v_cndmask_b32_e64 v112, v113, v99, s17
	v_cndmask_b32_e32 v82, v82, v103, vcc_lo
	v_cndmask_b32_e32 v83, v83, v107, vcc_lo
	v_cndmask_b32_e64 v94, v94, v103, s13
	v_cndmask_b32_e64 v90, v90, v80, s3
	;; [unrolled: 1-line block ×7, first 2 shown]
	v_lshrrev_b32_e32 v104, 16, v88
	v_cndmask_b32_e64 v106, v111, v80, s21
	v_cndmask_b32_e64 v110, v112, v84, s21
	;; [unrolled: 1-line block ×11, first 2 shown]
	v_lshrrev_b32_e32 v97, 16, v81
	v_lshrrev_b32_e32 v101, 16, v85
	v_cndmask_b32_e64 v99, v106, v96, s23
	v_cndmask_b32_e64 v102, v110, v100, s23
	;; [unrolled: 1-line block ×7, first 2 shown]
	v_lshrrev_b32_e32 v105, 16, v89
	v_cndmask_b32_e64 v80, v80, v104, s6
	v_cndmask_b32_e64 v84, v84, v81, s7
	;; [unrolled: 1-line block ×16, first 2 shown]
	v_perm_b32 v81, v79, v78, 0x5040100
	v_perm_b32 v79, v95, v85, 0x5040100
	v_cndmask_b32_e64 v78, v119, v91, s15
	v_cndmask_b32_e64 v85, v117, v91, s12
	;; [unrolled: 1-line block ×3, first 2 shown]
	v_perm_b32 v80, v94, v90, 0x5040100
	v_cndmask_b32_e64 v90, v98, v103, s17
	v_cndmask_b32_e64 v86, v86, v103, s18
	;; [unrolled: 1-line block ×5, first 2 shown]
	v_lshrrev_b32_e32 v108, 16, v92
	v_cndmask_b32_e64 v90, v90, v88, s21
	v_cndmask_b32_e64 v86, v86, v88, s22
	;; [unrolled: 1-line block ×11, first 2 shown]
	v_lshrrev_b32_e32 v109, 16, v93
	v_cndmask_b32_e64 v82, v82, v93, s7
	v_cndmask_b32_e64 v88, v88, v89, s26
	;; [unrolled: 1-line block ×12, first 2 shown]
	v_perm_b32 v78, v84, v83, 0x5040100
	v_perm_b32 v85, v87, v86, 0x5040100
	;; [unrolled: 1-line block ×5, first 2 shown]
	s_mul_i32 s8, s33, 15
	s_mov_b32 s3, exec_lo
	ds_store_b128 v74, v[78:81]
	ds_store_b128 v74, v[82:85] offset:1024
	v_cmpx_gt_u32_e32 15, v0
	s_cbranch_execz .LBB1084_14
; %bb.13:
	s_mul_i32 s4, s8, s34
	s_delay_alu instid0(SALU_CYCLE_1) | instskip(SKIP_1) | instid1(VALU_DEP_1)
	v_add3_u32 v68, s4, s31, v68
	s_load_b128 s[4:7], s[0:1], 0x58
	v_mad_u64_u32 v[78:79], null, v68, s35, s[14:15]
	s_delay_alu instid0(VALU_DEP_1) | instskip(NEXT) | instid1(VALU_DEP_1)
	v_ashrrev_i32_e32 v79, 31, v78
	v_lshlrev_b64 v[78:79], 2, v[78:79]
	s_waitcnt lgkmcnt(0)
	s_delay_alu instid0(VALU_DEP_1) | instskip(NEXT) | instid1(VALU_DEP_2)
	v_add_co_u32 v80, vcc_lo, s6, v78
	v_add_co_ci_u32_e32 v81, vcc_lo, s7, v79, vcc_lo
	v_add_co_u32 v78, vcc_lo, s4, v78
	v_add_co_ci_u32_e32 v79, vcc_lo, s5, v79, vcc_lo
	global_store_b32 v[80:81], v76, off
	global_store_b32 v[78:79], v77, off
.LBB1084_14:
	s_or_b32 exec_lo, exec_lo, s3
	s_waitcnt lgkmcnt(0)
	s_waitcnt_vscnt null, 0x0
	s_barrier
	buffer_gl0_inv
	ds_load_b128 v[84:87], v73
	ds_load_b128 v[88:91], v73 offset:16
	ds_load_b128 v[96:99], v73 offset:2064
	;; [unrolled: 1-line block ×5, first 2 shown]
	v_cmp_eq_u32_e32 vcc_lo, 1, v70
	v_mov_b32_e32 v76, 0
	ds_load_b128 v[112:115], v73 offset:6160
	ds_load_b128 v[108:111], v73 offset:6144
	;; [unrolled: 1-line block ×4, first 2 shown]
	v_cmp_eq_u32_e64 s4, 1, v69
	v_cmp_eq_u32_e64 s3, 1, v72
	;; [unrolled: 1-line block ×3, first 2 shown]
	v_mov_b32_e32 v77, v76
	v_mov_b32_e32 v78, v76
	;; [unrolled: 1-line block ×7, first 2 shown]
	v_cmp_eq_u32_e64 s6, 3, v72
	v_cmp_eq_u32_e64 s7, 7, v72
	s_waitcnt lgkmcnt(8)
	s_delay_alu instid0(VALU_DEP_3)
	v_wmma_f32_16x16x16_f16 v[76:83], v[49:56], v[84:91], v[76:83]
	ds_load_b128 v[53:56], v73 offset:10256
	ds_load_b128 v[49:52], v73 offset:10240
	s_waitcnt lgkmcnt(8)
	v_wmma_f32_16x16x16_f16 v[76:83], v[41:48], v[92:99], v[76:83]
	ds_load_b128 v[45:48], v73 offset:12304
	ds_load_b128 v[41:44], v73 offset:12288
	s_waitcnt lgkmcnt(8)
	;; [unrolled: 4-line block ×3, first 2 shown]
	s_barrier
	buffer_gl0_inv
	v_wmma_f32_16x16x16_f16 v[76:83], v[1:8], v[108:115], v[76:83]
	s_delay_alu instid0(VALU_DEP_1) | instskip(NEXT) | instid1(VALU_DEP_1)
	v_wmma_f32_16x16x16_f16 v[76:83], v[9:16], v[116:123], v[76:83]
	v_wmma_f32_16x16x16_f16 v[76:83], v[17:24], v[49:56], v[76:83]
	s_delay_alu instid0(VALU_DEP_1) | instskip(NEXT) | instid1(VALU_DEP_1)
	v_wmma_f32_16x16x16_f16 v[76:83], v[25:32], v[41:48], v[76:83]
	v_wmma_f32_16x16x16_f16 v[76:83], v[57:64], v[33:40], v[76:83]
	s_delay_alu instid0(VALU_DEP_1) | instskip(NEXT) | instid1(VALU_DEP_2)
	v_cvt_f16_f32_e32 v1, v76
	v_cvt_f16_f32_e32 v2, v77
	s_delay_alu instid0(VALU_DEP_3) | instskip(NEXT) | instid1(VALU_DEP_4)
	v_cvt_f16_f32_e32 v3, v78
	v_cvt_f16_f32_e32 v4, v79
	;; [unrolled: 1-line block ×6, first 2 shown]
	v_pack_b32_f16 v1, v1, v2
	v_pack_b32_f16 v2, v3, v4
	;; [unrolled: 1-line block ×3, first 2 shown]
	s_delay_alu instid0(VALU_DEP_4)
	v_pack_b32_f16 v4, v7, v8
	ds_store_b128 v74, v[1:4]
	s_waitcnt lgkmcnt(0)
	s_barrier
	buffer_gl0_inv
	ds_load_b128 v[1:4], v75
	ds_load_b128 v[5:8], v75 offset:16
	s_waitcnt lgkmcnt(1)
	v_lshrrev_b32_e32 v9, 16, v1
	s_waitcnt lgkmcnt(0)
	v_lshrrev_b32_e32 v13, 16, v5
	v_lshrrev_b32_e32 v10, 16, v2
	;; [unrolled: 1-line block ×4, first 2 shown]
	v_cndmask_b32_e32 v17, v1, v9, vcc_lo
	v_cndmask_b32_e32 v18, v5, v13, vcc_lo
	v_cndmask_b32_e64 v21, v1, v9, s4
	v_cmp_eq_u32_e32 vcc_lo, 1, v71
	v_cndmask_b32_e64 v22, v5, v13, s4
	v_cmp_eq_u32_e64 s4, 2, v70
	v_cndmask_b32_e64 v19, v1, v9, s3
	v_cndmask_b32_e64 v20, v5, v13, s3
	v_cndmask_b32_e32 v1, v1, v9, vcc_lo
	v_cmp_eq_u32_e64 s3, 2, v71
	v_cndmask_b32_e32 v5, v5, v13, vcc_lo
	v_cndmask_b32_e64 v9, v17, v2, s4
	v_cmp_eq_u32_e32 vcc_lo, 3, v70
	v_cndmask_b32_e64 v13, v18, v6, s4
	v_cmp_eq_u32_e64 s4, 2, v69
	v_cndmask_b32_e64 v17, v19, v2, s5
	v_cndmask_b32_e64 v18, v20, v6, s5
	v_cmp_eq_u32_e64 s5, 3, v69
	v_cndmask_b32_e64 v1, v1, v2, s3
	v_cndmask_b32_e64 v19, v21, v2, s4
	;; [unrolled: 1-line block ×4, first 2 shown]
	v_cndmask_b32_e32 v5, v9, v10, vcc_lo
	v_cndmask_b32_e32 v6, v13, v14, vcc_lo
	v_cmp_eq_u32_e32 vcc_lo, 3, v71
	v_cndmask_b32_e64 v9, v17, v10, s6
	v_cndmask_b32_e64 v13, v18, v14, s6
	;; [unrolled: 1-line block ×3, first 2 shown]
	v_cmp_eq_u32_e64 s4, 4, v70
	v_cndmask_b32_e32 v1, v1, v10, vcc_lo
	v_cndmask_b32_e32 v2, v2, v14, vcc_lo
	v_cmp_eq_u32_e32 vcc_lo, 4, v72
	v_lshrrev_b32_e32 v15, 16, v7
	v_lshrrev_b32_e32 v16, 16, v8
	v_cndmask_b32_e64 v17, v19, v10, s5
	v_cmp_eq_u32_e64 s3, 4, v71
	v_cndmask_b32_e64 v5, v5, v3, s4
	v_cndmask_b32_e64 v6, v6, v7, s4
	v_cndmask_b32_e32 v9, v9, v3, vcc_lo
	v_cmp_eq_u32_e64 s4, 5, v72
	v_cndmask_b32_e32 v10, v13, v7, vcc_lo
	v_cmp_eq_u32_e32 vcc_lo, 4, v69
	v_cmp_eq_u32_e64 s5, 5, v70
	v_cndmask_b32_e64 v2, v2, v7, s3
	v_cndmask_b32_e64 v9, v9, v11, s4
	;; [unrolled: 1-line block ×3, first 2 shown]
	v_cndmask_b32_e32 v13, v17, v3, vcc_lo
	v_cmp_eq_u32_e64 s4, 5, v69
	v_cndmask_b32_e32 v14, v18, v7, vcc_lo
	v_cndmask_b32_e64 v1, v1, v3, s3
	v_cmp_eq_u32_e32 vcc_lo, 5, v71
	v_lshrrev_b32_e32 v12, 16, v4
	v_cndmask_b32_e64 v13, v13, v11, s4
	v_cndmask_b32_e64 v3, v14, v15, s4
	v_cmp_eq_u32_e64 s4, 6, v71
	v_cndmask_b32_e32 v1, v1, v11, vcc_lo
	v_cndmask_b32_e64 v5, v5, v11, s5
	v_cmp_eq_u32_e64 s6, 6, v70
	v_cndmask_b32_e64 v6, v6, v15, s5
	v_cmp_eq_u32_e64 s5, 6, v72
	v_cmp_eq_u32_e64 s3, 6, v69
	v_cndmask_b32_e64 v1, v1, v4, s4
	v_cndmask_b32_e32 v2, v2, v15, vcc_lo
	v_cmp_eq_u32_e32 vcc_lo, 7, v71
	v_cndmask_b32_e64 v5, v5, v4, s6
	v_cndmask_b32_e64 v9, v9, v4, s5
	;; [unrolled: 1-line block ×3, first 2 shown]
	v_cmp_eq_u32_e64 s6, 7, v70
	v_cndmask_b32_e32 v1, v1, v12, vcc_lo
	v_cndmask_b32_e64 v7, v13, v4, s3
	v_cndmask_b32_e64 v3, v3, v8, s3
	;; [unrolled: 1-line block ×3, first 2 shown]
	v_cmp_eq_u32_e64 s3, 7, v69
	v_cndmask_b32_e64 v4, v10, v8, s5
	v_cndmask_b32_e64 v5, v5, v12, s6
	;; [unrolled: 1-line block ×3, first 2 shown]
	v_cndmask_b32_e32 v2, v2, v16, vcc_lo
	v_cndmask_b32_e64 v7, v7, v12, s3
	v_cndmask_b32_e64 v3, v3, v16, s3
	;; [unrolled: 1-line block ×4, first 2 shown]
	v_perm_b32 v4, v2, v1, 0x5040100
	s_mov_b32 s3, exec_lo
	v_perm_b32 v3, v3, v7, 0x5040100
	v_perm_b32 v2, v8, v9, 0x5040100
	;; [unrolled: 1-line block ×3, first 2 shown]
	ds_store_b128 v74, v[1:4]
	s_waitcnt lgkmcnt(0)
	s_barrier
	buffer_gl0_inv
	v_cmpx_gt_u32_e32 32, v0
	s_cbranch_execz .LBB1084_2
; %bb.15:
	s_load_b64 s[4:5], s[0:1], 0x68
	v_add_nc_u32_e32 v20, s31, v66
	v_lshlrev_b32_e32 v0, 10, v0
	v_lshlrev_b32_e32 v1, 4, v67
	s_lshl_b32 s0, s35, 7
	s_delay_alu instid0(SALU_CYCLE_1)
	s_mul_i32 s1, s0, s34
	v_add_nc_u32_e32 v2, 2, v20
	s_mul_i32 s6, s1, s8
	v_and_or_b32 v0, 0x3800, v0, v1
	v_mul_lo_u32 v1, v20, s0
	s_ashr_i32 s7, s6, 31
	v_mul_lo_u32 v11, v2, s0
	s_lshl_b64 s[6:7], s[6:7], 1
	v_add_nc_u32_e32 v3, 4, v20
	v_lshl_or_b32 v21, v66, 6, v0
	v_add_nc_u32_e32 v16, 6, v20
	v_ashrrev_i32_e32 v2, 31, v1
	s_delay_alu instid0(VALU_DEP_4)
	v_mul_lo_u32 v13, v3, s0
	s_waitcnt lgkmcnt(0)
	s_add_u32 s1, s4, s6
	s_addc_u32 s3, s5, s7
	s_lshl_b32 s4, s14, 7
	ds_load_b128 v[3:6], v21
	ds_load_b128 v[7:10], v21 offset:128
	s_ashr_i32 s5, s4, 31
	v_ashrrev_i32_e32 v12, 31, v11
	s_lshl_b64 s[4:5], s[4:5], 1
	v_lshlrev_b64 v[14:15], 1, v[1:2]
	s_add_u32 s1, s1, s4
	s_addc_u32 s3, s3, s5
	v_add_co_u32 v1, s1, s1, v65
	s_delay_alu instid0(VALU_DEP_1) | instskip(SKIP_1) | instid1(VALU_DEP_3)
	v_add_co_ci_u32_e64 v2, null, s3, 0, s1
	v_lshlrev_b64 v[11:12], 1, v[11:12]
	v_add_co_u32 v18, vcc_lo, v1, v14
	v_mul_lo_u32 v16, v16, s0
	s_delay_alu instid0(VALU_DEP_4) | instskip(NEXT) | instid1(VALU_DEP_4)
	v_add_co_ci_u32_e32 v19, vcc_lo, v2, v15, vcc_lo
	v_add_co_u32 v11, vcc_lo, v1, v11
	v_ashrrev_i32_e32 v14, 31, v13
	v_add_co_ci_u32_e32 v12, vcc_lo, v2, v12, vcc_lo
	v_add_nc_u32_e32 v15, 8, v20
	v_ashrrev_i32_e32 v17, 31, v16
	s_waitcnt lgkmcnt(1)
	global_store_b128 v[18:19], v[3:6], off
	v_lshlrev_b64 v[3:4], 1, v[13:14]
	s_waitcnt lgkmcnt(0)
	global_store_b128 v[11:12], v[7:10], off
	v_mul_lo_u32 v11, v15, s0
	v_add_nc_u32_e32 v7, 10, v20
	v_lshlrev_b64 v[5:6], 1, v[16:17]
	v_add_co_u32 v23, vcc_lo, v1, v3
	v_add_nc_u32_e32 v3, 12, v20
	s_delay_alu instid0(VALU_DEP_4)
	v_mul_lo_u32 v25, v7, s0
	v_ashrrev_i32_e32 v12, 31, v11
	v_add_co_ci_u32_e32 v24, vcc_lo, v2, v4, vcc_lo
	v_add_co_u32 v27, vcc_lo, v1, v5
	v_mul_lo_u32 v29, v3, s0
	v_add_co_ci_u32_e32 v28, vcc_lo, v2, v6, vcc_lo
	ds_load_b128 v[3:6], v21 offset:256
	ds_load_b128 v[7:10], v21 offset:384
	v_lshlrev_b64 v[31:32], 1, v[11:12]
	ds_load_b128 v[11:14], v21 offset:512
	ds_load_b128 v[15:18], v21 offset:640
	;; [unrolled: 1-line block ×3, first 2 shown]
	v_ashrrev_i32_e32 v26, 31, v25
	v_ashrrev_i32_e32 v30, 31, v29
	v_add_co_u32 v31, vcc_lo, v1, v31
	s_delay_alu instid0(VALU_DEP_3) | instskip(NEXT) | instid1(VALU_DEP_3)
	v_lshlrev_b64 v[25:26], 1, v[25:26]
	v_lshlrev_b64 v[29:30], 1, v[29:30]
	v_add_co_ci_u32_e32 v32, vcc_lo, v2, v32, vcc_lo
	s_delay_alu instid0(VALU_DEP_3) | instskip(NEXT) | instid1(VALU_DEP_4)
	v_add_co_u32 v25, vcc_lo, v1, v25
	v_add_co_ci_u32_e32 v26, vcc_lo, v2, v26, vcc_lo
	s_delay_alu instid0(VALU_DEP_4)
	v_add_co_u32 v29, vcc_lo, v1, v29
	v_add_co_ci_u32_e32 v30, vcc_lo, v2, v30, vcc_lo
	s_waitcnt lgkmcnt(4)
	global_store_b128 v[23:24], v[3:6], off
	s_waitcnt lgkmcnt(3)
	global_store_b128 v[27:28], v[7:10], off
	;; [unrolled: 2-line block ×5, first 2 shown]
	s_and_b32 exec_lo, exec_lo, s2
	s_cbranch_execz .LBB1084_2
; %bb.16:
	ds_load_b128 v[3:6], v0 offset:896
	s_add_i32 s1, s31, 14
	s_delay_alu instid0(SALU_CYCLE_1) | instskip(NEXT) | instid1(SALU_CYCLE_1)
	s_mul_i32 s0, s1, s0
	s_ashr_i32 s1, s0, 31
	s_delay_alu instid0(SALU_CYCLE_1) | instskip(NEXT) | instid1(SALU_CYCLE_1)
	s_lshl_b64 s[0:1], s[0:1], 1
	v_add_co_u32 v0, vcc_lo, v1, s0
	v_add_co_ci_u32_e32 v1, vcc_lo, s1, v2, vcc_lo
	s_waitcnt lgkmcnt(0)
	global_store_b128 v[0:1], v[3:6], off
	s_nop 0
	s_sendmsg sendmsg(MSG_DEALLOC_VGPRS)
	s_endpgm
	.section	.rodata,"a",@progbits
	.p2align	6, 0x0
	.amdhsa_kernel _Z39paged_attention_ll4mi_QKV_mfma16_kernelIDF16_hLN4vllm18Fp8KVCacheDataTypeE1EDF16_Li32ELi128ELi256ELb0ELi15EL8MFMAType1EEvPKT_PKT0_S8_ifPKiSA_SA_iPKfiiiPfSD_PS3_PT2_iSC_SC_
		.amdhsa_group_segment_fixed_size 17472
		.amdhsa_private_segment_fixed_size 0
		.amdhsa_kernarg_size 400
		.amdhsa_user_sgpr_count 13
		.amdhsa_user_sgpr_dispatch_ptr 0
		.amdhsa_user_sgpr_queue_ptr 0
		.amdhsa_user_sgpr_kernarg_segment_ptr 1
		.amdhsa_user_sgpr_dispatch_id 0
		.amdhsa_user_sgpr_private_segment_size 0
		.amdhsa_wavefront_size32 1
		.amdhsa_uses_dynamic_stack 0
		.amdhsa_enable_private_segment 0
		.amdhsa_system_sgpr_workgroup_id_x 1
		.amdhsa_system_sgpr_workgroup_id_y 1
		.amdhsa_system_sgpr_workgroup_id_z 1
		.amdhsa_system_sgpr_workgroup_info 0
		.amdhsa_system_vgpr_workitem_id 0
		.amdhsa_next_free_vgpr 150
		.amdhsa_next_free_sgpr 37
		.amdhsa_reserve_vcc 1
		.amdhsa_float_round_mode_32 0
		.amdhsa_float_round_mode_16_64 0
		.amdhsa_float_denorm_mode_32 3
		.amdhsa_float_denorm_mode_16_64 3
		.amdhsa_dx10_clamp 1
		.amdhsa_ieee_mode 1
		.amdhsa_fp16_overflow 0
		.amdhsa_workgroup_processor_mode 1
		.amdhsa_memory_ordered 1
		.amdhsa_forward_progress 0
		.amdhsa_shared_vgpr_count 0
		.amdhsa_exception_fp_ieee_invalid_op 0
		.amdhsa_exception_fp_denorm_src 0
		.amdhsa_exception_fp_ieee_div_zero 0
		.amdhsa_exception_fp_ieee_overflow 0
		.amdhsa_exception_fp_ieee_underflow 0
		.amdhsa_exception_fp_ieee_inexact 0
		.amdhsa_exception_int_div_zero 0
	.end_amdhsa_kernel
	.section	.text._Z39paged_attention_ll4mi_QKV_mfma16_kernelIDF16_hLN4vllm18Fp8KVCacheDataTypeE1EDF16_Li32ELi128ELi256ELb0ELi15EL8MFMAType1EEvPKT_PKT0_S8_ifPKiSA_SA_iPKfiiiPfSD_PS3_PT2_iSC_SC_,"axG",@progbits,_Z39paged_attention_ll4mi_QKV_mfma16_kernelIDF16_hLN4vllm18Fp8KVCacheDataTypeE1EDF16_Li32ELi128ELi256ELb0ELi15EL8MFMAType1EEvPKT_PKT0_S8_ifPKiSA_SA_iPKfiiiPfSD_PS3_PT2_iSC_SC_,comdat
.Lfunc_end1084:
	.size	_Z39paged_attention_ll4mi_QKV_mfma16_kernelIDF16_hLN4vllm18Fp8KVCacheDataTypeE1EDF16_Li32ELi128ELi256ELb0ELi15EL8MFMAType1EEvPKT_PKT0_S8_ifPKiSA_SA_iPKfiiiPfSD_PS3_PT2_iSC_SC_, .Lfunc_end1084-_Z39paged_attention_ll4mi_QKV_mfma16_kernelIDF16_hLN4vllm18Fp8KVCacheDataTypeE1EDF16_Li32ELi128ELi256ELb0ELi15EL8MFMAType1EEvPKT_PKT0_S8_ifPKiSA_SA_iPKfiiiPfSD_PS3_PT2_iSC_SC_
                                        ; -- End function
	.section	.AMDGPU.csdata,"",@progbits
; Kernel info:
; codeLenInByte = 6908
; NumSgprs: 39
; NumVgprs: 150
; ScratchSize: 0
; MemoryBound: 0
; FloatMode: 240
; IeeeMode: 1
; LDSByteSize: 17472 bytes/workgroup (compile time only)
; SGPRBlocks: 4
; VGPRBlocks: 18
; NumSGPRsForWavesPerEU: 39
; NumVGPRsForWavesPerEU: 150
; Occupancy: 9
; WaveLimiterHint : 1
; COMPUTE_PGM_RSRC2:SCRATCH_EN: 0
; COMPUTE_PGM_RSRC2:USER_SGPR: 13
; COMPUTE_PGM_RSRC2:TRAP_HANDLER: 0
; COMPUTE_PGM_RSRC2:TGID_X_EN: 1
; COMPUTE_PGM_RSRC2:TGID_Y_EN: 1
; COMPUTE_PGM_RSRC2:TGID_Z_EN: 1
; COMPUTE_PGM_RSRC2:TIDIG_COMP_CNT: 0
	.section	.text._Z39paged_attention_ll4mi_QKV_mfma16_kernelIDF16_hLN4vllm18Fp8KVCacheDataTypeE1EDF16_Li32ELi128ELi256ELb0ELi16EL8MFMAType1EEvPKT_PKT0_S8_ifPKiSA_SA_iPKfiiiPfSD_PS3_PT2_iSC_SC_,"axG",@progbits,_Z39paged_attention_ll4mi_QKV_mfma16_kernelIDF16_hLN4vllm18Fp8KVCacheDataTypeE1EDF16_Li32ELi128ELi256ELb0ELi16EL8MFMAType1EEvPKT_PKT0_S8_ifPKiSA_SA_iPKfiiiPfSD_PS3_PT2_iSC_SC_,comdat
	.protected	_Z39paged_attention_ll4mi_QKV_mfma16_kernelIDF16_hLN4vllm18Fp8KVCacheDataTypeE1EDF16_Li32ELi128ELi256ELb0ELi16EL8MFMAType1EEvPKT_PKT0_S8_ifPKiSA_SA_iPKfiiiPfSD_PS3_PT2_iSC_SC_ ; -- Begin function _Z39paged_attention_ll4mi_QKV_mfma16_kernelIDF16_hLN4vllm18Fp8KVCacheDataTypeE1EDF16_Li32ELi128ELi256ELb0ELi16EL8MFMAType1EEvPKT_PKT0_S8_ifPKiSA_SA_iPKfiiiPfSD_PS3_PT2_iSC_SC_
	.globl	_Z39paged_attention_ll4mi_QKV_mfma16_kernelIDF16_hLN4vllm18Fp8KVCacheDataTypeE1EDF16_Li32ELi128ELi256ELb0ELi16EL8MFMAType1EEvPKT_PKT0_S8_ifPKiSA_SA_iPKfiiiPfSD_PS3_PT2_iSC_SC_
	.p2align	8
	.type	_Z39paged_attention_ll4mi_QKV_mfma16_kernelIDF16_hLN4vllm18Fp8KVCacheDataTypeE1EDF16_Li32ELi128ELi256ELb0ELi16EL8MFMAType1EEvPKT_PKT0_S8_ifPKiSA_SA_iPKfiiiPfSD_PS3_PT2_iSC_SC_,@function
_Z39paged_attention_ll4mi_QKV_mfma16_kernelIDF16_hLN4vllm18Fp8KVCacheDataTypeE1EDF16_Li32ELi128ELi256ELb0ELi16EL8MFMAType1EEvPKT_PKT0_S8_ifPKiSA_SA_iPKfiiiPfSD_PS3_PT2_iSC_SC_: ; @_Z39paged_attention_ll4mi_QKV_mfma16_kernelIDF16_hLN4vllm18Fp8KVCacheDataTypeE1EDF16_Li32ELi128ELi256ELb0ELi16EL8MFMAType1EEvPKT_PKT0_S8_ifPKiSA_SA_iPKfiiiPfSD_PS3_PT2_iSC_SC_
; %bb.0:
	s_load_b64 s[4:5], s[0:1], 0x30
	s_mov_b32 s30, s13
	s_waitcnt lgkmcnt(0)
	s_cmp_lg_u64 s[4:5], 0
	s_cselect_b32 s8, -1, 0
	s_ashr_i32 s31, s13, 31
	s_cmp_eq_u64 s[4:5], 0
	s_cbranch_scc1 .LBB1085_3
; %bb.1:
	s_lshl_b64 s[2:3], s[30:31], 2
	s_delay_alu instid0(SALU_CYCLE_1) | instskip(SKIP_4) | instid1(SALU_CYCLE_1)
	s_add_u32 s2, s4, s2
	s_addc_u32 s3, s5, s3
	s_load_b64 s[2:3], s[2:3], 0x0
	s_waitcnt lgkmcnt(0)
	s_sub_i32 s2, s3, s2
	s_cmp_eq_u32 s2, 1
	s_cselect_b32 s2, -1, 0
	s_delay_alu instid0(SALU_CYCLE_1)
	s_and_not1_b32 vcc_lo, exec_lo, s2
	s_cbranch_vccz .LBB1085_4
.LBB1085_2:
	s_endpgm
.LBB1085_3:
.LBB1085_4:
	s_load_b64 s[2:3], s[0:1], 0x28
	s_lshl_b64 s[6:7], s[30:31], 2
	s_waitcnt lgkmcnt(0)
	s_add_u32 s2, s2, s6
	s_addc_u32 s3, s3, s7
	s_lshl_b32 s12, s14, 8
	s_load_b32 s24, s[2:3], 0x0
	s_waitcnt lgkmcnt(0)
	s_cmp_ge_i32 s12, s24
	s_cbranch_scc1 .LBB1085_2
; %bb.5:
	s_clause 0x1
	s_load_b128 s[20:23], s[0:1], 0x8
	s_load_b64 s[2:3], s[0:1], 0x20
	s_and_not1_b32 vcc_lo, exec_lo, s8
	s_cbranch_vccnz .LBB1085_7
; %bb.6:
	s_add_u32 s4, s4, s6
	s_addc_u32 s5, s5, s7
	s_load_b32 s5, s[4:5], 0x0
	s_branch .LBB1085_8
.LBB1085_7:
	s_mov_b32 s5, s30
.LBB1085_8:
	s_load_b128 s[16:19], s[0:1], 0x48
	v_and_b32_e32 v70, 15, v0
	v_lshrrev_b32_e32 v69, 5, v0
	v_and_b32_e32 v71, 31, v0
	v_and_b32_e32 v67, 1, v0
	v_bfe_u32 v66, v0, 4, 1
	v_lshlrev_b32_e32 v1, 3, v70
	s_lshl_b32 s31, s15, 4
	s_mov_b32 s4, exec_lo
	s_delay_alu instid0(VALU_DEP_1)
	v_lshlrev_b32_e32 v65, 1, v1
	v_cmpx_gt_u32_e32 0x100, v0
	s_cbranch_execz .LBB1085_10
; %bb.9:
	v_lshl_or_b32 v5, v69, 1, v66
	s_load_b64 s[6:7], s[0:1], 0x0
	s_waitcnt lgkmcnt(0)
	s_mul_hi_i32 s9, s5, s16
	s_mul_i32 s8, s5, s16
	v_lshlrev_b32_e32 v6, 10, v70
	v_or_b32_e32 v1, s31, v5
	s_lshl_b64 s[8:9], s[8:9], 1
	v_lshlrev_b32_e32 v5, 6, v5
	v_lshlrev_b32_e32 v7, 10, v67
	v_and_b32_e32 v6, 0x3800, v6
	v_lshlrev_b32_e32 v1, 7, v1
	s_delay_alu instid0(VALU_DEP_2) | instskip(NEXT) | instid1(VALU_DEP_2)
	v_or3_b32 v5, v6, v7, v5
	v_ashrrev_i32_e32 v2, 31, v1
	s_delay_alu instid0(VALU_DEP_1) | instskip(SKIP_2) | instid1(VALU_DEP_1)
	v_lshlrev_b64 v[1:2], 1, v[1:2]
	s_add_u32 s5, s6, s8
	s_addc_u32 s6, s7, s9
	v_add_co_u32 v1, vcc_lo, s5, v1
	s_delay_alu instid0(VALU_DEP_2) | instskip(NEXT) | instid1(VALU_DEP_2)
	v_add_co_ci_u32_e32 v2, vcc_lo, s6, v2, vcc_lo
	v_add_co_u32 v1, vcc_lo, v1, v65
	s_delay_alu instid0(VALU_DEP_2)
	v_add_co_ci_u32_e32 v2, vcc_lo, 0, v2, vcc_lo
	global_load_b128 v[1:4], v[1:2], off
	s_waitcnt vmcnt(0)
	ds_store_b128 v5, v[1:4]
.LBB1085_10:
	s_or_b32 exec_lo, exec_lo, s4
	v_and_b32_e32 v1, 0xef, v0
	s_waitcnt lgkmcnt(0)
	s_add_i32 s5, s24, 31
	s_clause 0x1
	s_load_b32 s4, s[0:1], 0x38
	s_load_b32 s33, s[0:1], 0x98
	s_ashr_i32 s6, s5, 31
	v_add_nc_u32_e32 v1, s12, v1
	s_lshr_b32 s6, s6, 27
	s_load_b32 s19, s[0:1], 0x1c
	s_add_i32 s5, s5, s6
	s_waitcnt lgkmcnt(0)
	v_ashrrev_i32_e32 v2, 31, v1
	v_or_b32_e32 v3, 16, v1
	s_ashr_i32 s13, s5, 5
	v_cmp_gt_i32_e32 vcc_lo, s24, v1
	s_add_i32 s13, s13, -1
	v_lshrrev_b32_e32 v2, 27, v2
	s_barrier
	buffer_gl0_inv
	s_mul_i32 s35, s15, s18
	v_add_nc_u32_e32 v4, v1, v2
	s_mul_i32 s4, s30, s4
	s_delay_alu instid0(SALU_CYCLE_1) | instskip(NEXT) | instid1(VALU_DEP_1)
	s_ashr_i32 s5, s4, 31
	v_ashrrev_i32_e32 v4, 5, v4
	v_add_nc_u32_e32 v2, v3, v2
	s_lshl_b64 s[4:5], s[4:5], 2
	s_delay_alu instid0(SALU_CYCLE_1) | instskip(NEXT) | instid1(VALU_DEP_2)
	s_add_u32 s25, s2, s4
	v_cndmask_b32_e32 v1, s13, v4, vcc_lo
	s_delay_alu instid0(VALU_DEP_2)
	v_ashrrev_i32_e32 v2, 5, v2
	v_cmp_gt_i32_e32 vcc_lo, s24, v3
	s_addc_u32 s34, s3, s5
	s_ashr_i32 s36, s35, 31
	s_add_u32 s4, s20, s35
	s_addc_u32 s5, s21, s36
	v_cndmask_b32_e32 v3, s13, v2, vcc_lo
	v_ashrrev_i32_e32 v2, 31, v1
	s_lshl_b32 s2, s14, 3
	s_delay_alu instid0(SALU_CYCLE_1) | instskip(NEXT) | instid1(VALU_DEP_2)
	s_ashr_i32 s3, s2, 31
	v_ashrrev_i32_e32 v4, 31, v3
	s_delay_alu instid0(VALU_DEP_2) | instskip(SKIP_1) | instid1(SALU_CYCLE_1)
	v_lshlrev_b64 v[1:2], 2, v[1:2]
	s_lshl_b64 s[2:3], s[2:3], 2
	s_add_u32 s2, s25, s2
	s_delay_alu instid0(VALU_DEP_2) | instskip(SKIP_1) | instid1(VALU_DEP_2)
	v_lshlrev_b64 v[3:4], 2, v[3:4]
	s_addc_u32 s3, s34, s3
	v_add_co_u32 v1, vcc_lo, s25, v1
	v_add_co_ci_u32_e32 v2, vcc_lo, s34, v2, vcc_lo
	s_delay_alu instid0(VALU_DEP_3) | instskip(NEXT) | instid1(VALU_DEP_4)
	v_add_co_u32 v3, vcc_lo, s25, v3
	v_add_co_ci_u32_e32 v4, vcc_lo, s34, v4, vcc_lo
	s_clause 0x1
	global_load_b32 v5, v[1:2], off
	global_load_b32 v6, v[3:4], off
	s_or_b32 s6, s12, 32
	s_delay_alu instid0(SALU_CYCLE_1) | instskip(SKIP_2) | instid1(SALU_CYCLE_1)
	s_ashr_i32 s7, s6, 5
	s_cmp_lt_i32 s6, s24
	s_cselect_b32 s6, s7, s13
	s_ashr_i32 s7, s6, 31
	s_delay_alu instid0(SALU_CYCLE_1) | instskip(NEXT) | instid1(SALU_CYCLE_1)
	s_lshl_b64 s[6:7], s[6:7], 2
	s_add_u32 s6, s25, s6
	s_addc_u32 s7, s34, s7
	s_or_b32 s8, s12, 64
	s_delay_alu instid0(SALU_CYCLE_1) | instskip(SKIP_2) | instid1(SALU_CYCLE_1)
	s_ashr_i32 s9, s8, 5
	s_cmp_lt_i32 s8, s24
	s_cselect_b32 s8, s9, s13
	s_ashr_i32 s9, s8, 31
	s_delay_alu instid0(SALU_CYCLE_1) | instskip(NEXT) | instid1(SALU_CYCLE_1)
	s_lshl_b64 s[8:9], s[8:9], 2
	s_add_u32 s8, s25, s8
	s_addc_u32 s9, s34, s9
	;; [unrolled: 10-line block ×5, first 2 shown]
	s_clause 0x5
	s_load_b32 s20, s[2:3], 0x0
	s_load_b32 s2, s[6:7], 0x0
	;; [unrolled: 1-line block ×6, first 2 shown]
	s_or_b32 s8, s12, 0xc0
	s_delay_alu instid0(SALU_CYCLE_1) | instskip(SKIP_2) | instid1(SALU_CYCLE_1)
	s_ashr_i32 s9, s8, 5
	s_cmp_lt_i32 s8, s24
	s_cselect_b32 s26, s9, s13
	s_ashr_i32 s27, s26, 31
	s_delay_alu instid0(SALU_CYCLE_1) | instskip(NEXT) | instid1(SALU_CYCLE_1)
	s_lshl_b64 s[26:27], s[26:27], 2
	s_add_u32 s26, s25, s26
	s_addc_u32 s27, s34, s27
	s_or_b32 s21, s12, 0xe0
	s_waitcnt vmcnt(1)
	v_mad_i64_i32 v[1:2], null, v5, s17, s[4:5]
	s_waitcnt vmcnt(0)
	v_mad_i64_i32 v[3:4], null, v6, s17, s[4:5]
	s_mov_b32 s4, 0
	s_delay_alu instid0(SALU_CYCLE_1)
	s_mov_b32 s5, s4
	s_mov_b32 s6, s4
	;; [unrolled: 1-line block ×7, first 2 shown]
	v_lshlrev_b32_e32 v5, 4, v70
	v_dual_mov_b32 v103, s11 :: v_dual_mov_b32 v98, s6
	v_dual_mov_b32 v101, s9 :: v_dual_lshlrev_b32 v68, 6, v70
	s_delay_alu instid0(VALU_DEP_3)
	v_add_co_u32 v33, vcc_lo, v1, v5
	v_add_co_ci_u32_e32 v34, vcc_lo, 0, v2, vcc_lo
	v_add_co_u32 v35, vcc_lo, v3, v5
	v_add_co_ci_u32_e32 v36, vcc_lo, 0, v4, vcc_lo
	s_clause 0xf
	global_load_b128 v[1:4], v[33:34], off
	global_load_b128 v[5:8], v[33:34], off offset:512
	global_load_b128 v[9:12], v[35:36], off offset:256
	;; [unrolled: 1-line block ×15, first 2 shown]
	v_dual_mov_b32 v96, s4 :: v_dual_lshlrev_b32 v41, 5, v70
	v_mov_b32_e32 v102, s10
	v_dual_mov_b32 v100, s8 :: v_dual_mov_b32 v99, s7
	v_mov_b32_e32 v97, s5
	s_ashr_i32 s4, s21, 5
	s_cmp_lt_i32 s21, s24
	ds_load_b128 v[33:36], v68
	ds_load_b128 v[37:40], v68 offset:1024
	s_cselect_b32 s4, s4, s13
	ds_load_b128 v[104:107], v68 offset:2048
	ds_load_b128 v[108:111], v68 offset:3072
	s_ashr_i32 s5, s4, 31
	s_load_b32 s6, s[26:27], 0x0
	s_lshl_b64 s[4:5], s[4:5], 2
	ds_load_b128 v[112:115], v68 offset:4096
	ds_load_b128 v[116:119], v68 offset:5120
	s_add_u32 s4, s25, s4
	s_addc_u32 s5, s34, s5
	v_lshl_or_b32 v41, v69, 9, v41
	s_load_b32 s4, s[4:5], 0x0
	s_add_u32 s7, s22, s35
	s_addc_u32 s8, s23, s36
	s_delay_alu instid0(VALU_DEP_1) | instskip(NEXT) | instid1(VALU_DEP_1)
	v_add_co_u32 v128, s7, s7, v41
	v_add_co_ci_u32_e64 v129, null, s8, 0, s7
	s_waitcnt lgkmcnt(0)
	s_delay_alu instid0(VALU_DEP_1)
	v_mad_i64_i32 v[41:42], null, s20, s17, v[128:129]
	v_mad_i64_i32 v[130:131], null, s3, s17, v[128:129]
	;; [unrolled: 1-line block ×7, first 2 shown]
	s_clause 0x3
	global_load_b128 v[49:52], v[41:42], off
	global_load_b128 v[53:56], v[41:42], off offset:16
	global_load_b128 v[41:44], v[45:46], off
	global_load_b128 v[45:48], v[45:46], off offset:16
	s_waitcnt vmcnt(18)
	v_wmma_f32_16x16x16_f16 v[120:127], v[1:8], v[33:40], v[96:103]
	s_waitcnt vmcnt(16)
	v_wmma_f32_16x16x16_f16 v[96:103], v[9:16], v[33:40], v[96:103]
	s_clause 0x3
	global_load_b128 v[33:36], v[130:131], off
	global_load_b128 v[37:40], v[130:131], off offset:16
	global_load_b128 v[1:4], v[132:133], off
	global_load_b128 v[5:8], v[132:133], off offset:16
	s_waitcnt vmcnt(18)
	v_wmma_f32_16x16x16_f16 v[120:127], v[17:24], v[104:111], v[120:127]
	s_clause 0x3
	global_load_b128 v[9:12], v[134:135], off
	global_load_b128 v[13:16], v[134:135], off offset:16
	global_load_b128 v[17:20], v[136:137], off
	global_load_b128 v[21:24], v[136:137], off offset:16
	s_waitcnt vmcnt(20)
	v_wmma_f32_16x16x16_f16 v[96:103], v[25:32], v[104:111], v[96:103]
	v_mad_i64_i32 v[104:105], null, s4, s17, v[128:129]
	s_waitcnt vmcnt(18)
	v_wmma_f32_16x16x16_f16 v[120:127], v[57:64], v[112:119], v[120:127]
	s_clause 0x3
	global_load_b128 v[25:28], v[138:139], off
	global_load_b128 v[29:32], v[138:139], off offset:16
	global_load_b128 v[57:60], v[104:105], off
	global_load_b128 v[61:64], v[104:105], off offset:16
	s_waitcnt vmcnt(20)
	v_wmma_f32_16x16x16_f16 v[96:103], v[72:79], v[112:119], v[96:103]
	ds_load_b128 v[72:75], v68 offset:6144
	ds_load_b128 v[76:79], v68 offset:7168
	v_and_b32_e32 v104, 0xe0, v0
	v_mbcnt_lo_u32_b32 v105, -1, 0
	s_waitcnt vmcnt(0) lgkmcnt(0)
	s_barrier
	buffer_gl0_inv
	v_add_nc_u32_e32 v104, s12, v104
	v_xor_b32_e32 v106, 16, v105
	s_delay_alu instid0(VALU_DEP_2) | instskip(NEXT) | instid1(VALU_DEP_2)
	v_or_b32_e32 v104, v104, v66
	v_cmp_gt_i32_e32 vcc_lo, 32, v106
	s_delay_alu instid0(VALU_DEP_2)
	v_or_b32_e32 v107, 4, v104
	v_or_b32_e32 v108, 6, v104
	v_cmp_gt_i32_e64 s2, s24, v104
	v_or_b32_e32 v109, 8, v104
	v_wmma_f32_16x16x16_f16 v[120:127], v[80:87], v[72:79], v[120:127]
	v_cndmask_b32_e32 v105, v105, v106, vcc_lo
	v_or_b32_e32 v106, 2, v104
	v_wmma_f32_16x16x16_f16 v[96:103], v[88:95], v[72:79], v[96:103]
	v_or_b32_e32 v80, 10, v104
	v_dual_mul_f32 v78, s19, v124 :: v_dual_mul_f32 v79, s19, v123
	v_dual_mul_f32 v90, s19, v120 :: v_dual_mul_f32 v89, s19, v121
	s_delay_alu instid0(VALU_DEP_4) | instskip(SKIP_2) | instid1(VALU_DEP_4)
	v_mul_f32_e32 v92, s19, v102
	v_cmp_gt_i32_e32 vcc_lo, s24, v106
	v_dual_mul_f32 v77, s19, v125 :: v_dual_mul_f32 v88, s19, v122
	v_cndmask_b32_e64 v90, 0xff7fffff, v90, s2
	v_cmp_gt_i32_e64 s3, s24, v107
	v_cndmask_b32_e32 v89, 0xff7fffff, v89, vcc_lo
	v_cmp_gt_i32_e64 s4, s24, v108
	v_or_b32_e32 v81, 12, v104
	v_or_b32_e32 v82, 14, v104
	v_cndmask_b32_e64 v88, 0xff7fffff, v88, s3
	v_max3_f32 v89, v90, 0xff7fffff, v89
	v_cndmask_b32_e64 v79, 0xff7fffff, v79, s4
	v_cmp_gt_i32_e64 s5, s24, v109
	v_cmp_gt_i32_e64 s6, s24, v80
	v_or_b32_e32 v83, 16, v104
	v_or_b32_e32 v84, 18, v104
	v_dual_mul_f32 v75, s19, v127 :: v_dual_mul_f32 v76, s19, v126
	v_cndmask_b32_e64 v78, 0xff7fffff, v78, s5
	v_cndmask_b32_e64 v77, 0xff7fffff, v77, s6
	v_max3_f32 v79, v89, v88, v79
	v_cmp_gt_i32_e64 s7, s24, v81
	v_cmp_gt_i32_e64 s8, s24, v82
	v_or_b32_e32 v85, 20, v104
	v_or_b32_e32 v86, 22, v104
	;; [unrolled: 1-line block ×6, first 2 shown]
	v_dual_mul_f32 v95, s19, v99 :: v_dual_mul_f32 v104, s19, v97
	v_mul_f32_e32 v107, s19, v96
	v_cndmask_b32_e64 v76, 0xff7fffff, v76, s7
	v_cndmask_b32_e64 v75, 0xff7fffff, v75, s8
	v_max3_f32 v77, v79, v78, v77
	v_cmp_gt_i32_e64 s9, s24, v83
	v_cmp_gt_i32_e64 s10, s24, v84
	v_dual_mul_f32 v93, s19, v101 :: v_dual_mul_f32 v106, s19, v98
	s_delay_alu instid0(VALU_DEP_4) | instskip(NEXT) | instid1(VALU_DEP_4)
	v_max3_f32 v75, v77, v76, v75
	v_cndmask_b32_e64 v78, 0xff7fffff, v107, s9
	s_delay_alu instid0(VALU_DEP_4) | instskip(SKIP_3) | instid1(VALU_DEP_4)
	v_cndmask_b32_e64 v79, 0xff7fffff, v104, s10
	v_cmp_gt_i32_e64 s11, s24, v85
	v_cmp_gt_i32_e64 s12, s24, v86
	v_dual_mul_f32 v91, s19, v103 :: v_dual_mul_f32 v94, s19, v100
	v_max3_f32 v75, v75, v78, v79
	s_delay_alu instid0(VALU_DEP_4) | instskip(NEXT) | instid1(VALU_DEP_4)
	v_cndmask_b32_e64 v76, 0xff7fffff, v106, s11
	v_cndmask_b32_e64 v77, 0xff7fffff, v95, s12
	v_cmp_gt_i32_e64 s13, s24, v87
	v_cmp_gt_i32_e64 s15, s24, v72
	;; [unrolled: 1-line block ×4, first 2 shown]
	v_max3_f32 v75, v75, v76, v77
	v_cndmask_b32_e64 v78, 0xff7fffff, v94, s13
	v_cndmask_b32_e64 v72, 0xff7fffff, v93, s15
	;; [unrolled: 1-line block ×4, first 2 shown]
	s_delay_alu instid0(VALU_DEP_3) | instskip(SKIP_1) | instid1(VALU_DEP_2)
	v_max3_f32 v72, v75, v78, v72
	v_lshlrev_b32_e32 v75, 2, v105
	v_max3_f32 v72, v72, v73, v74
	ds_bpermute_b32 v73, v75, v72
	s_waitcnt lgkmcnt(0)
	v_max_f32_e32 v73, v73, v73
	s_delay_alu instid0(VALU_DEP_1) | instskip(NEXT) | instid1(VALU_DEP_1)
	v_max_f32_e32 v72, v72, v73
	v_fma_f32 v76, s19, v122, -v72
	v_fma_f32 v73, s19, v120, -v72
	;; [unrolled: 1-line block ×5, first 2 shown]
	v_mul_f32_e32 v76, 0x3fb8aa3b, v76
	v_fma_f32 v82, s19, v126, -v72
	v_mul_f32_e32 v74, 0x3fb8aa3b, v74
	v_fma_f32 v86, s19, v99, -v72
	v_fma_f32 v91, s19, v103, -v72
	v_exp_f32_e32 v76, v76
	v_mul_f32_e32 v82, 0x3fb8aa3b, v82
	v_exp_f32_e32 v74, v74
	v_mul_f32_e32 v88, 0x3fb8aa3b, v86
	v_fma_f32 v89, s19, v101, -v72
	s_delay_alu instid0(VALU_DEP_3) | instskip(NEXT) | instid1(VALU_DEP_2)
	v_exp_f32_e32 v84, v82
	v_exp_f32_e32 v90, v88
	s_delay_alu instid0(VALU_DEP_1)
	v_mul_f32_e32 v89, 0x3fb8aa3b, v89
	v_cndmask_b32_e64 v80, 0, v76, s3
	v_mul_f32_e32 v73, 0x3fb8aa3b, v73
	v_fma_f32 v76, s19, v127, -v72
	v_mul_f32_e32 v77, 0x3fb8aa3b, v77
	v_exp_f32_e32 v89, v89
	s_delay_alu instid0(VALU_DEP_3) | instskip(NEXT) | instid1(VALU_DEP_2)
	v_exp_f32_e32 v73, v73
	v_mul_f32_e32 v76, 0x3fb8aa3b, v76
	s_delay_alu instid0(VALU_DEP_2) | instskip(SKIP_2) | instid1(VALU_DEP_3)
	v_exp_f32_e32 v81, v77
	v_cndmask_b32_e32 v77, 0, v74, vcc_lo
	v_cndmask_b32_e64 v84, 0, v84, s7
	v_exp_f32_e32 v76, v76
	v_cndmask_b32_e64 v89, 0, v89, s15
	s_delay_alu instid0(TRANS32_DEP_3) | instskip(SKIP_2) | instid1(VALU_DEP_2)
	v_cndmask_b32_e64 v78, 0, v73, s2
	v_fma_f32 v73, s19, v125, -v72
	s_mov_b32 s2, exec_lo
	v_dual_add_f32 v74, 0, v78 :: v_dual_mul_f32 v79, 0x3fb8aa3b, v79
	s_delay_alu instid0(VALU_DEP_2) | instskip(NEXT) | instid1(VALU_DEP_2)
	v_mul_f32_e32 v73, 0x3fb8aa3b, v73
	v_add_f32_e32 v74, v74, v77
	s_delay_alu instid0(VALU_DEP_3) | instskip(NEXT) | instid1(VALU_DEP_2)
	v_exp_f32_e32 v83, v79
	v_exp_f32_e32 v73, v73
	v_cndmask_b32_e64 v79, 0, v81, s4
	v_fma_f32 v81, s19, v96, -v72
	s_delay_alu instid0(VALU_DEP_1) | instskip(NEXT) | instid1(VALU_DEP_1)
	v_dual_add_f32 v74, v74, v80 :: v_dual_mul_f32 v85, 0x3fb8aa3b, v81
	v_add_f32_e32 v74, v74, v79
	s_waitcnt_depctr 0xfff
	v_cndmask_b32_e64 v82, 0, v83, s5
	v_fma_f32 v83, s19, v97, -v72
	v_cndmask_b32_e64 v81, 0, v73, s6
	v_exp_f32_e32 v85, v85
	s_delay_alu instid0(VALU_DEP_2) | instskip(NEXT) | instid1(VALU_DEP_1)
	v_mul_f32_e32 v83, 0x3fb8aa3b, v83
	v_exp_f32_e32 v87, v83
	v_cndmask_b32_e64 v83, 0, v76, s8
	v_fma_f32 v76, s19, v100, -v72
	v_add_f32_e32 v73, v74, v82
	v_fma_f32 v74, s19, v98, -v72
	s_delay_alu instid0(TRANS32_DEP_2) | instskip(NEXT) | instid1(VALU_DEP_4)
	v_cndmask_b32_e64 v86, 0, v85, s9
	v_mul_f32_e32 v76, 0x3fb8aa3b, v76
	s_delay_alu instid0(VALU_DEP_3) | instskip(NEXT) | instid1(TRANS32_DEP_1)
	v_mul_f32_e32 v74, 0x3fb8aa3b, v74
	v_cndmask_b32_e64 v85, 0, v87, s10
	v_fma_f32 v87, s19, v102, -v72
	v_add_f32_e32 v73, v73, v81
	v_exp_f32_e32 v76, v76
	v_exp_f32_e32 v74, v74
	s_waitcnt_depctr 0xfff
	v_cndmask_b32_e64 v88, 0, v74, s11
	v_dual_mul_f32 v74, 0x3fb8aa3b, v87 :: v_dual_add_f32 v73, v73, v84
	v_cndmask_b32_e64 v87, 0, v90, s12
	v_cndmask_b32_e64 v90, 0, v76, s13
	v_mul_f32_e32 v76, 0x3fb8aa3b, v91
	s_delay_alu instid0(VALU_DEP_4) | instskip(SKIP_1) | instid1(VALU_DEP_2)
	v_exp_f32_e32 v74, v74
	v_add_f32_e32 v73, v73, v83
	v_exp_f32_e32 v76, v76
	s_delay_alu instid0(VALU_DEP_1) | instskip(SKIP_4) | instid1(VALU_DEP_2)
	v_add_f32_e32 v73, v73, v86
	s_waitcnt_depctr 0xfff
	v_cndmask_b32_e64 v92, 0, v74, s16
	v_add_f32_e32 v73, v73, v85
	v_cndmask_b32_e64 v91, 0, v76, s17
	v_add_f32_e32 v73, v73, v88
	s_delay_alu instid0(VALU_DEP_1) | instskip(NEXT) | instid1(VALU_DEP_1)
	v_add_f32_e32 v73, v73, v87
	v_add_f32_e32 v73, v73, v90
	s_delay_alu instid0(VALU_DEP_1) | instskip(NEXT) | instid1(VALU_DEP_1)
	v_add_f32_e32 v73, v73, v89
	v_add_f32_e32 v73, v73, v92
	s_delay_alu instid0(VALU_DEP_1)
	v_add_f32_e32 v73, v73, v91
	ds_bpermute_b32 v74, v75, v73
	v_cmpx_gt_u32_e32 16, v71
	s_cbranch_execz .LBB1085_12
; %bb.11:
	v_mul_u32_u24_e32 v71, 0x44, v69
	s_waitcnt lgkmcnt(0)
	v_add_f32_e32 v73, v73, v74
	s_delay_alu instid0(VALU_DEP_2) | instskip(NEXT) | instid1(VALU_DEP_1)
	v_lshl_add_u32 v71, v70, 2, v71
	v_add_nc_u32_e32 v71, 0x4000, v71
	ds_store_2addr_b32 v71, v72, v73 offset1:136
.LBB1085_12:
	s_or_b32 exec_lo, exec_lo, s2
	v_lshlrev_b32_e32 v70, 2, v70
	s_load_b32 s34, s[0:1], 0x94
	s_waitcnt lgkmcnt(0)
	s_barrier
	buffer_gl0_inv
	v_add_nc_u32_e32 v74, 0x4000, v70
	v_cmp_eq_u32_e32 vcc_lo, 1, v69
	v_cmp_eq_u32_e64 s2, 2, v69
	v_cmp_eq_u32_e64 s3, 3, v69
	;; [unrolled: 1-line block ×3, first 2 shown]
	ds_load_2addr_b32 v[70:71], v74 offset1:17
	ds_load_2addr_b32 v[72:73], v74 offset0:34 offset1:51
	ds_load_2addr_b32 v[93:94], v74 offset0:68 offset1:85
	;; [unrolled: 1-line block ×3, first 2 shown]
	v_cmp_eq_u32_e64 s5, 7, v69
	s_waitcnt lgkmcnt(3)
	v_max3_f32 v75, v70, 0xff7fffff, v71
	s_waitcnt lgkmcnt(2)
	s_delay_alu instid0(VALU_DEP_1) | instskip(SKIP_1) | instid1(VALU_DEP_1)
	v_max3_f32 v75, v75, v72, v73
	s_waitcnt lgkmcnt(1)
	v_max3_f32 v75, v75, v93, v94
	s_waitcnt lgkmcnt(0)
	s_delay_alu instid0(VALU_DEP_1) | instskip(NEXT) | instid1(VALU_DEP_1)
	v_max3_f32 v75, v75, v95, v96
	v_sub_f32_e32 v93, v93, v75
	ds_load_2addr_b32 v[97:98], v74 offset0:136 offset1:153
	v_sub_f32_e32 v70, v70, v75
	v_dual_sub_f32 v100, v73, v75 :: v_dual_mul_f32 v103, 0x3fb8aa3b, v93
	s_delay_alu instid0(VALU_DEP_2) | instskip(SKIP_3) | instid1(VALU_DEP_1)
	v_dual_sub_f32 v76, v71, v75 :: v_dual_mul_f32 v99, 0x3fb8aa3b, v70
	ds_load_2addr_b32 v[70:71], v74 offset0:170 offset1:187
	v_mul_f32_e32 v76, 0x3fb8aa3b, v76
	v_exp_f32_e32 v99, v99
	v_exp_f32_e32 v102, v76
	v_mul_f32_e32 v100, 0x3fb8aa3b, v100
	s_waitcnt lgkmcnt(1)
	s_waitcnt_depctr 0xfff
	v_fma_f32 v76, v99, v97, 0
	v_sub_f32_e32 v97, v94, v75
	v_sub_f32_e32 v72, v72, v75
	v_exp_f32_e32 v100, v100
	ds_load_2addr_b32 v[93:94], v74 offset0:238 offset1:255
	v_dual_fmac_f32 v76, v102, v98 :: v_dual_mul_f32 v101, 0x3fb8aa3b, v72
	ds_load_2addr_b32 v[72:73], v74 offset0:204 offset1:221
	v_dual_sub_f32 v74, v95, v75 :: v_dual_mul_f32 v95, 0x3fb8aa3b, v97
	v_exp_f32_e32 v97, v103
	v_exp_f32_e32 v101, v101
	s_waitcnt lgkmcnt(0)
	s_delay_alu instid0(VALU_DEP_1)
	v_mul_f32_e32 v74, 0x3fb8aa3b, v74
	v_exp_f32_e32 v95, v95
	s_barrier
	buffer_gl0_inv
	v_fmac_f32_e32 v76, v101, v70
	v_sub_f32_e32 v70, v96, v75
	v_exp_f32_e32 v96, v74
	s_delay_alu instid0(VALU_DEP_2) | instskip(NEXT) | instid1(VALU_DEP_2)
	v_fmac_f32_e32 v76, v100, v71
	v_mul_f32_e32 v70, 0x3fb8aa3b, v70
	s_delay_alu instid0(VALU_DEP_2) | instskip(NEXT) | instid1(VALU_DEP_2)
	v_dual_cndmask_b32 v71, v99, v102 :: v_dual_fmac_f32 v76, v97, v72
	v_exp_f32_e32 v98, v70
	s_delay_alu instid0(VALU_DEP_1) | instskip(SKIP_2) | instid1(VALU_DEP_1)
	v_fmac_f32_e32 v76, v95, v73
	s_waitcnt_depctr 0xfff
	v_fmac_f32_e32 v76, v96, v93
	v_fmac_f32_e32 v76, v98, v94
	s_delay_alu instid0(VALU_DEP_1) | instskip(NEXT) | instid1(VALU_DEP_1)
	v_add_f32_e32 v93, 0x358637bd, v76
	v_div_scale_f32 v94, null, v93, v93, 1.0
	v_div_scale_f32 v99, vcc_lo, 1.0, v93, 1.0
	s_delay_alu instid0(VALU_DEP_2) | instskip(SKIP_2) | instid1(VALU_DEP_1)
	v_rcp_f32_e32 v103, v94
	s_waitcnt_depctr 0xfff
	v_fma_f32 v70, -v94, v103, 1.0
	v_fmac_f32_e32 v103, v70, v103
	v_cndmask_b32_e64 v70, v71, v101, s2
	v_cmp_eq_u32_e64 s2, 4, v69
	v_lshlrev_b32_e32 v71, 2, v66
	s_delay_alu instid0(VALU_DEP_4) | instskip(NEXT) | instid1(VALU_DEP_4)
	v_mul_f32_e32 v101, v99, v103
	v_cndmask_b32_e64 v72, v70, v100, s3
	v_cmp_eq_u32_e64 s3, 6, v69
	v_lshl_or_b32 v70, v69, 11, v68
	v_or_b32_e32 v74, 1, v71
	v_fma_f32 v73, -v94, v101, v99
	v_cndmask_b32_e64 v72, v72, v97, s2
	v_cmp_eq_u32_e64 s2, 1, v71
	v_lshl_or_b32 v69, v66, 4, v70
	v_cmp_eq_u32_e64 s8, 1, v74
	v_fmac_f32_e32 v101, v73, v103
	v_cndmask_b32_e64 v95, v72, v95, s4
	v_or_b32_e32 v72, 2, v71
	v_or_b32_e32 v73, 3, v71
	v_cmp_eq_u32_e64 s11, 2, v74
	v_fma_f32 v94, -v94, v101, v99
	v_cndmask_b32_e64 v95, v95, v96, s3
	v_cmp_eq_u32_e64 s9, 1, v72
	v_cmp_eq_u32_e64 s10, 1, v73
	v_cmp_eq_u32_e64 s13, 2, v72
	v_div_fmas_f32 v94, v94, v103, v101
	v_cndmask_b32_e64 v95, v95, v98, s5
	v_cmp_eq_u32_e32 vcc_lo, 2, v71
	v_cmp_eq_u32_e64 s15, 2, v73
	v_cmp_eq_u32_e64 s17, 3, v73
	v_div_fixup_f32 v93, v94, v93, 1.0
	v_cmp_eq_u32_e64 s3, 3, v71
	v_cmp_eq_u32_e64 s12, 3, v74
	;; [unrolled: 1-line block ×4, first 2 shown]
	v_mul_f32_e32 v101, v95, v93
	v_cmp_eq_u32_e64 s4, 4, v71
	v_cmp_eq_u32_e64 s18, 4, v74
	;; [unrolled: 1-line block ×4, first 2 shown]
	v_fma_mixlo_f16 v93, v101, v78, 0
	v_fma_mixlo_f16 v94, v101, v80, 0
	;; [unrolled: 1-line block ×8, first 2 shown]
	v_fma_mixhi_f16 v93, v101, v77, 0
	v_fma_mixhi_f16 v94, v101, v79, 0
	;; [unrolled: 1-line block ×8, first 2 shown]
	ds_store_b128 v69, v[93:96]
	ds_store_b128 v69, v[97:100] offset:1024
	s_waitcnt lgkmcnt(0)
	s_barrier
	buffer_gl0_inv
	ds_load_b128 v[77:80], v70
	ds_load_b128 v[81:84], v70 offset:16
	ds_load_b128 v[85:88], v70 offset:1024
	;; [unrolled: 1-line block ×3, first 2 shown]
	v_cmp_eq_u32_e64 s5, 5, v71
	v_cmp_eq_u32_e64 s19, 5, v74
	;; [unrolled: 1-line block ×11, first 2 shown]
	s_waitcnt lgkmcnt(3)
	v_lshrrev_b32_e32 v93, 16, v77
	s_waitcnt lgkmcnt(2)
	v_lshrrev_b32_e32 v97, 16, v81
	;; [unrolled: 2-line block ×4, first 2 shown]
	v_lshrrev_b32_e32 v94, 16, v78
	v_cndmask_b32_e64 v109, v77, v93, s2
	v_cndmask_b32_e64 v110, v81, v97, s2
	;; [unrolled: 1-line block ×8, first 2 shown]
	v_lshrrev_b32_e32 v98, 16, v82
	v_cndmask_b32_e64 v93, v85, v101, s2
	v_cndmask_b32_e64 v97, v89, v105, s2
	v_cndmask_b32_e64 v115, v85, v101, s8
	v_cndmask_b32_e64 v117, v85, v101, s9
	v_cndmask_b32_e64 v85, v85, v101, s10
	v_cndmask_b32_e32 v101, v109, v78, vcc_lo
	v_cndmask_b32_e64 v109, v111, v78, s11
	v_cndmask_b32_e64 v111, v113, v78, s13
	;; [unrolled: 1-line block ×4, first 2 shown]
	v_lshrrev_b32_e32 v102, 16, v86
	v_lshrrev_b32_e32 v106, 16, v90
	v_cndmask_b32_e64 v116, v89, v105, s8
	v_cndmask_b32_e64 v118, v89, v105, s9
	;; [unrolled: 1-line block ×3, first 2 shown]
	v_cndmask_b32_e32 v105, v110, v82, vcc_lo
	v_cndmask_b32_e64 v110, v112, v82, s11
	v_cndmask_b32_e64 v112, v114, v82, s13
	v_cndmask_b32_e32 v81, v93, v86, vcc_lo
	v_cndmask_b32_e32 v82, v97, v90, vcc_lo
	v_cndmask_b32_e64 v93, v115, v86, s11
	v_cndmask_b32_e64 v77, v77, v94, s17
	v_cndmask_b32_e64 v78, v78, v98, s17
	v_lshrrev_b32_e32 v95, 16, v79
	v_lshrrev_b32_e32 v99, 16, v83
	v_cndmask_b32_e64 v97, v117, v86, s13
	v_cndmask_b32_e64 v85, v85, v86, s15
	;; [unrolled: 1-line block ×14, first 2 shown]
	v_lshrrev_b32_e32 v103, 16, v87
	v_cndmask_b32_e64 v89, v89, v79, s4
	v_cndmask_b32_e64 v94, v101, v83, s4
	v_cndmask_b32_e64 v98, v105, v79, s18
	v_cndmask_b32_e64 v101, v109, v83, s18
	v_cndmask_b32_e64 v105, v110, v79, s20
	v_cndmask_b32_e64 v109, v111, v83, s20
	v_cndmask_b32_e64 v79, v81, v87, s4
	v_cndmask_b32_e64 v81, v82, v91, s4
	v_cndmask_b32_e64 v82, v93, v87, s18
	v_cndmask_b32_e64 v77, v77, v95, s23
	v_cndmask_b32_e64 v78, v78, v99, s23
	v_lshrrev_b32_e32 v96, 16, v80
	v_lshrrev_b32_e32 v100, 16, v84
	v_cndmask_b32_e64 v83, v89, v95, s5
	v_cndmask_b32_e64 v89, v94, v99, s5
	;; [unrolled: 1-line block ×9, first 2 shown]
	v_lshrrev_b32_e32 v104, 16, v88
	v_cndmask_b32_e64 v79, v79, v103, s5
	v_cndmask_b32_e64 v83, v83, v80, s6
	;; [unrolled: 1-line block ×19, first 2 shown]
	v_perm_b32 v80, v78, v77, 0x5040100
	v_cndmask_b32_e64 v77, v116, v90, s11
	v_cndmask_b32_e64 v95, v79, v104, s7
	v_perm_b32 v79, v93, v89, 0x5040100
	v_perm_b32 v78, v94, v84, 0x5040100
	v_cndmask_b32_e64 v84, v97, v102, s16
	v_cndmask_b32_e64 v85, v85, v102, s17
	;; [unrolled: 1-line block ×5, first 2 shown]
	v_lshrrev_b32_e32 v107, 16, v91
	v_cndmask_b32_e64 v84, v84, v87, s20
	v_cndmask_b32_e64 v85, v85, v87, s21
	;; [unrolled: 1-line block ×11, first 2 shown]
	v_lshrrev_b32_e32 v108, 16, v92
	v_cndmask_b32_e64 v81, v81, v92, s6
	v_cndmask_b32_e64 v84, v84, v88, s25
	;; [unrolled: 1-line block ×12, first 2 shown]
	v_perm_b32 v77, v83, v82, 0x5040100
	v_perm_b32 v84, v85, v84, 0x5040100
	;; [unrolled: 1-line block ×5, first 2 shown]
	s_lshl_b32 s7, s33, 4
	s_mov_b32 s2, exec_lo
	ds_store_b128 v69, v[77:80]
	ds_store_b128 v69, v[81:84] offset:1024
	v_cmpx_gt_u32_e32 16, v0
	s_cbranch_execz .LBB1085_14
; %bb.13:
	v_or_b32_e32 v77, s31, v0
	s_load_b128 s[8:11], s[0:1], 0x58
	s_delay_alu instid0(VALU_DEP_1) | instskip(NEXT) | instid1(VALU_DEP_1)
	v_mad_u64_u32 v[78:79], null, s7, s30, v[77:78]
	v_mad_u64_u32 v[79:80], null, v78, s34, s[14:15]
	s_delay_alu instid0(VALU_DEP_1) | instskip(NEXT) | instid1(VALU_DEP_1)
	v_ashrrev_i32_e32 v80, 31, v79
	v_lshlrev_b64 v[77:78], 2, v[79:80]
	s_waitcnt lgkmcnt(0)
	s_delay_alu instid0(VALU_DEP_1) | instskip(NEXT) | instid1(VALU_DEP_2)
	v_add_co_u32 v79, vcc_lo, s10, v77
	v_add_co_ci_u32_e32 v80, vcc_lo, s11, v78, vcc_lo
	v_add_co_u32 v77, vcc_lo, s8, v77
	v_add_co_ci_u32_e32 v78, vcc_lo, s9, v78, vcc_lo
	global_store_b32 v[79:80], v75, off
	global_store_b32 v[77:78], v76, off
.LBB1085_14:
	s_or_b32 exec_lo, exec_lo, s2
	s_waitcnt lgkmcnt(0)
	s_waitcnt_vscnt null, 0x0
	s_barrier
	buffer_gl0_inv
	ds_load_b128 v[83:86], v68
	ds_load_b128 v[87:90], v68 offset:16
	ds_load_b128 v[95:98], v68 offset:2064
	;; [unrolled: 1-line block ×5, first 2 shown]
	v_cmp_eq_u32_e32 vcc_lo, 1, v71
	v_mov_b32_e32 v75, 0
	ds_load_b128 v[111:114], v68 offset:6160
	ds_load_b128 v[107:110], v68 offset:6144
	;; [unrolled: 1-line block ×4, first 2 shown]
	v_cmp_eq_u32_e64 s3, 1, v72
	v_cmp_eq_u32_e64 s2, 1, v74
	;; [unrolled: 1-line block ×3, first 2 shown]
	v_mov_b32_e32 v76, v75
	v_mov_b32_e32 v77, v75
	;; [unrolled: 1-line block ×7, first 2 shown]
	v_cmp_eq_u32_e64 s5, 3, v74
	v_cmp_eq_u32_e64 s6, 7, v74
	s_waitcnt lgkmcnt(8)
	s_delay_alu instid0(VALU_DEP_3)
	v_wmma_f32_16x16x16_f16 v[75:82], v[49:56], v[83:90], v[75:82]
	ds_load_b128 v[53:56], v68 offset:10256
	ds_load_b128 v[49:52], v68 offset:10240
	s_waitcnt lgkmcnt(8)
	v_wmma_f32_16x16x16_f16 v[75:82], v[41:48], v[91:98], v[75:82]
	ds_load_b128 v[45:48], v68 offset:12304
	ds_load_b128 v[41:44], v68 offset:12288
	s_waitcnt lgkmcnt(8)
	;; [unrolled: 4-line block ×3, first 2 shown]
	s_barrier
	buffer_gl0_inv
	v_wmma_f32_16x16x16_f16 v[75:82], v[1:8], v[107:114], v[75:82]
	s_delay_alu instid0(VALU_DEP_1) | instskip(NEXT) | instid1(VALU_DEP_1)
	v_wmma_f32_16x16x16_f16 v[75:82], v[9:16], v[115:122], v[75:82]
	v_wmma_f32_16x16x16_f16 v[75:82], v[17:24], v[49:56], v[75:82]
	s_delay_alu instid0(VALU_DEP_1) | instskip(NEXT) | instid1(VALU_DEP_1)
	v_wmma_f32_16x16x16_f16 v[75:82], v[25:32], v[41:48], v[75:82]
	v_wmma_f32_16x16x16_f16 v[75:82], v[57:64], v[33:40], v[75:82]
	s_delay_alu instid0(VALU_DEP_1) | instskip(NEXT) | instid1(VALU_DEP_2)
	v_cvt_f16_f32_e32 v1, v75
	v_cvt_f16_f32_e32 v2, v76
	s_delay_alu instid0(VALU_DEP_3) | instskip(NEXT) | instid1(VALU_DEP_4)
	v_cvt_f16_f32_e32 v3, v77
	v_cvt_f16_f32_e32 v4, v78
	;; [unrolled: 1-line block ×6, first 2 shown]
	v_pack_b32_f16 v1, v1, v2
	v_pack_b32_f16 v2, v3, v4
	;; [unrolled: 1-line block ×3, first 2 shown]
	s_delay_alu instid0(VALU_DEP_4)
	v_pack_b32_f16 v4, v7, v8
	ds_store_b128 v69, v[1:4]
	s_waitcnt lgkmcnt(0)
	s_barrier
	buffer_gl0_inv
	ds_load_b128 v[1:4], v70
	ds_load_b128 v[5:8], v70 offset:16
	s_waitcnt lgkmcnt(1)
	v_lshrrev_b32_e32 v9, 16, v1
	s_waitcnt lgkmcnt(0)
	v_lshrrev_b32_e32 v13, 16, v5
	v_lshrrev_b32_e32 v10, 16, v2
	;; [unrolled: 1-line block ×4, first 2 shown]
	v_cndmask_b32_e32 v17, v1, v9, vcc_lo
	v_cndmask_b32_e32 v18, v5, v13, vcc_lo
	v_cndmask_b32_e64 v21, v1, v9, s3
	v_cmp_eq_u32_e32 vcc_lo, 1, v73
	v_cndmask_b32_e64 v22, v5, v13, s3
	v_cmp_eq_u32_e64 s3, 2, v71
	v_cndmask_b32_e64 v19, v1, v9, s2
	v_cndmask_b32_e64 v20, v5, v13, s2
	v_cndmask_b32_e32 v1, v1, v9, vcc_lo
	v_cmp_eq_u32_e64 s2, 2, v73
	v_cndmask_b32_e32 v5, v5, v13, vcc_lo
	v_cndmask_b32_e64 v9, v17, v2, s3
	v_cmp_eq_u32_e32 vcc_lo, 3, v71
	v_cndmask_b32_e64 v13, v18, v6, s3
	v_cmp_eq_u32_e64 s3, 2, v72
	v_cndmask_b32_e64 v17, v19, v2, s4
	v_cndmask_b32_e64 v18, v20, v6, s4
	v_cmp_eq_u32_e64 s4, 3, v72
	v_cndmask_b32_e64 v1, v1, v2, s2
	v_cndmask_b32_e64 v19, v21, v2, s3
	;; [unrolled: 1-line block ×4, first 2 shown]
	v_cndmask_b32_e32 v5, v9, v10, vcc_lo
	v_cndmask_b32_e32 v6, v13, v14, vcc_lo
	v_cmp_eq_u32_e32 vcc_lo, 3, v73
	v_cndmask_b32_e64 v9, v17, v10, s5
	v_cndmask_b32_e64 v13, v18, v14, s5
	;; [unrolled: 1-line block ×3, first 2 shown]
	v_cmp_eq_u32_e64 s3, 4, v71
	v_cndmask_b32_e32 v1, v1, v10, vcc_lo
	v_cndmask_b32_e32 v2, v2, v14, vcc_lo
	v_cmp_eq_u32_e32 vcc_lo, 4, v74
	v_lshrrev_b32_e32 v15, 16, v7
	v_lshrrev_b32_e32 v16, 16, v8
	v_cndmask_b32_e64 v17, v19, v10, s4
	v_cmp_eq_u32_e64 s2, 4, v73
	v_cndmask_b32_e64 v5, v5, v3, s3
	v_cndmask_b32_e64 v6, v6, v7, s3
	v_cndmask_b32_e32 v9, v9, v3, vcc_lo
	v_cmp_eq_u32_e64 s3, 5, v74
	v_cndmask_b32_e32 v10, v13, v7, vcc_lo
	v_cmp_eq_u32_e32 vcc_lo, 4, v72
	v_cmp_eq_u32_e64 s4, 5, v71
	v_cndmask_b32_e64 v2, v2, v7, s2
	v_cndmask_b32_e64 v9, v9, v11, s3
	;; [unrolled: 1-line block ×3, first 2 shown]
	v_cndmask_b32_e32 v13, v17, v3, vcc_lo
	v_cmp_eq_u32_e64 s3, 5, v72
	v_cndmask_b32_e32 v14, v18, v7, vcc_lo
	v_cndmask_b32_e64 v1, v1, v3, s2
	v_cmp_eq_u32_e32 vcc_lo, 5, v73
	v_lshrrev_b32_e32 v12, 16, v4
	v_cndmask_b32_e64 v13, v13, v11, s3
	v_cndmask_b32_e64 v3, v14, v15, s3
	v_cmp_eq_u32_e64 s3, 6, v73
	v_cndmask_b32_e32 v1, v1, v11, vcc_lo
	v_cndmask_b32_e64 v5, v5, v11, s4
	v_cmp_eq_u32_e64 s5, 6, v71
	v_cndmask_b32_e64 v6, v6, v15, s4
	v_cmp_eq_u32_e64 s4, 6, v74
	v_cmp_eq_u32_e64 s2, 6, v72
	v_cndmask_b32_e64 v1, v1, v4, s3
	v_cndmask_b32_e32 v2, v2, v15, vcc_lo
	v_cmp_eq_u32_e32 vcc_lo, 7, v73
	v_cndmask_b32_e64 v5, v5, v4, s5
	v_cndmask_b32_e64 v9, v9, v4, s4
	;; [unrolled: 1-line block ×3, first 2 shown]
	v_cmp_eq_u32_e64 s5, 7, v71
	v_cndmask_b32_e32 v1, v1, v12, vcc_lo
	v_cndmask_b32_e64 v7, v13, v4, s2
	v_cndmask_b32_e64 v3, v3, v8, s2
	;; [unrolled: 1-line block ×3, first 2 shown]
	v_cmp_eq_u32_e64 s2, 7, v72
	v_cndmask_b32_e64 v4, v10, v8, s4
	v_cndmask_b32_e64 v5, v5, v12, s5
	v_cndmask_b32_e64 v9, v9, v12, s6
	v_cndmask_b32_e32 v2, v2, v16, vcc_lo
	v_cndmask_b32_e64 v7, v7, v12, s2
	v_cndmask_b32_e64 v3, v3, v16, s2
	;; [unrolled: 1-line block ×4, first 2 shown]
	v_perm_b32 v4, v2, v1, 0x5040100
	s_mov_b32 s2, exec_lo
	v_perm_b32 v3, v3, v7, 0x5040100
	v_perm_b32 v2, v8, v9, 0x5040100
	;; [unrolled: 1-line block ×3, first 2 shown]
	ds_store_b128 v69, v[1:4]
	s_waitcnt lgkmcnt(0)
	s_barrier
	buffer_gl0_inv
	v_cmpx_gt_u32_e32 32, v0
	s_cbranch_execz .LBB1085_2
; %bb.15:
	s_load_b64 s[0:1], s[0:1], 0x68
	v_lshlrev_b32_e32 v0, 10, v0
	s_lshl_b32 s4, s34, 7
	v_or_b32_e32 v23, s31, v66
	s_mul_i32 s2, s4, s30
	v_lshlrev_b32_e32 v1, 4, v67
	v_lshlrev_b32_e32 v2, 6, v66
	s_mul_i32 s2, s2, s7
	v_and_b32_e32 v0, 0x3800, v0
	v_mul_lo_u32 v8, v23, s4
	s_ashr_i32 s3, s2, 31
	v_or_b32_e32 v3, 2, v23
	s_lshl_b64 s[2:3], s[2:3], 1
	v_or3_b32 v27, v0, v1, v2
	v_or_b32_e32 v11, 4, v23
	v_or_b32_e32 v18, 6, v23
	v_mul_lo_u32 v10, v3, s4
	v_ashrrev_i32_e32 v9, 31, v8
	ds_load_b128 v[0:3], v27
	ds_load_b128 v[4:7], v27 offset:128
	v_mul_lo_u32 v12, v11, s4
	s_waitcnt lgkmcnt(0)
	s_add_u32 s2, s0, s2
	s_addc_u32 s3, s1, s3
	s_lshl_b32 s0, s14, 7
	v_lshlrev_b64 v[8:9], 1, v[8:9]
	s_ashr_i32 s1, s0, 31
	v_ashrrev_i32_e32 v11, 31, v10
	s_lshl_b64 s[0:1], s[0:1], 1
	v_ashrrev_i32_e32 v13, 31, v12
	s_add_u32 s0, s2, s0
	s_addc_u32 s1, s3, s1
	v_add_co_u32 v30, s0, s0, v65
	s_delay_alu instid0(VALU_DEP_1) | instskip(SKIP_1) | instid1(VALU_DEP_3)
	v_add_co_ci_u32_e64 v31, null, s1, 0, s0
	v_lshlrev_b64 v[16:17], 1, v[10:11]
	v_add_co_u32 v14, vcc_lo, v30, v8
	s_delay_alu instid0(VALU_DEP_3)
	v_add_co_ci_u32_e32 v15, vcc_lo, v31, v9, vcc_lo
	ds_load_b128 v[8:11], v27 offset:256
	v_mul_lo_u32 v18, v18, s4
	v_or_b32_e32 v19, 8, v23
	v_add_co_u32 v16, vcc_lo, v30, v16
	global_store_b128 v[14:15], v[0:3], off
	v_lshlrev_b64 v[0:1], 1, v[12:13]
	v_add_co_ci_u32_e32 v17, vcc_lo, v31, v17, vcc_lo
	v_mul_lo_u32 v12, v19, s4
	v_ashrrev_i32_e32 v19, 31, v18
	v_or_b32_e32 v14, 10, v23
	global_store_b128 v[16:17], v[4:7], off
	v_add_co_u32 v4, vcc_lo, v30, v0
	v_add_co_ci_u32_e32 v5, vcc_lo, v31, v1, vcc_lo
	ds_load_b128 v[0:3], v27 offset:384
	v_ashrrev_i32_e32 v13, 31, v12
	v_lshlrev_b64 v[6:7], 1, v[18:19]
	v_mul_lo_u32 v14, v14, s4
	s_waitcnt lgkmcnt(1)
	global_store_b128 v[4:5], v[8:11], off
	v_or_b32_e32 v8, 12, v23
	v_lshlrev_b64 v[4:5], 1, v[12:13]
	v_add_co_u32 v20, vcc_lo, v30, v6
	v_or_b32_e32 v6, 14, v23
	v_ashrrev_i32_e32 v15, 31, v14
	v_mul_lo_u32 v22, v8, s4
	v_add_co_ci_u32_e32 v21, vcc_lo, v31, v7, vcc_lo
	v_add_co_u32 v24, vcc_lo, v30, v4
	v_mul_lo_u32 v26, v6, s4
	v_add_co_ci_u32_e32 v25, vcc_lo, v31, v5, vcc_lo
	v_lshlrev_b64 v[28:29], 1, v[14:15]
	ds_load_b128 v[4:7], v27 offset:512
	ds_load_b128 v[8:11], v27 offset:640
	;; [unrolled: 1-line block ×4, first 2 shown]
	v_ashrrev_i32_e32 v23, 31, v22
	v_ashrrev_i32_e32 v27, 31, v26
	v_add_co_u32 v28, vcc_lo, v30, v28
	s_delay_alu instid0(VALU_DEP_3) | instskip(SKIP_1) | instid1(VALU_DEP_4)
	v_lshlrev_b64 v[22:23], 1, v[22:23]
	v_add_co_ci_u32_e32 v29, vcc_lo, v31, v29, vcc_lo
	v_lshlrev_b64 v[26:27], 1, v[26:27]
	s_delay_alu instid0(VALU_DEP_3) | instskip(NEXT) | instid1(VALU_DEP_4)
	v_add_co_u32 v22, vcc_lo, v30, v22
	v_add_co_ci_u32_e32 v23, vcc_lo, v31, v23, vcc_lo
	s_delay_alu instid0(VALU_DEP_3) | instskip(NEXT) | instid1(VALU_DEP_4)
	v_add_co_u32 v26, vcc_lo, v30, v26
	v_add_co_ci_u32_e32 v27, vcc_lo, v31, v27, vcc_lo
	s_waitcnt lgkmcnt(4)
	global_store_b128 v[20:21], v[0:3], off
	s_waitcnt lgkmcnt(3)
	global_store_b128 v[24:25], v[4:7], off
	;; [unrolled: 2-line block ×5, first 2 shown]
	s_nop 0
	s_sendmsg sendmsg(MSG_DEALLOC_VGPRS)
	s_endpgm
	.section	.rodata,"a",@progbits
	.p2align	6, 0x0
	.amdhsa_kernel _Z39paged_attention_ll4mi_QKV_mfma16_kernelIDF16_hLN4vllm18Fp8KVCacheDataTypeE1EDF16_Li32ELi128ELi256ELb0ELi16EL8MFMAType1EEvPKT_PKT0_S8_ifPKiSA_SA_iPKfiiiPfSD_PS3_PT2_iSC_SC_
		.amdhsa_group_segment_fixed_size 17472
		.amdhsa_private_segment_fixed_size 0
		.amdhsa_kernarg_size 400
		.amdhsa_user_sgpr_count 13
		.amdhsa_user_sgpr_dispatch_ptr 0
		.amdhsa_user_sgpr_queue_ptr 0
		.amdhsa_user_sgpr_kernarg_segment_ptr 1
		.amdhsa_user_sgpr_dispatch_id 0
		.amdhsa_user_sgpr_private_segment_size 0
		.amdhsa_wavefront_size32 1
		.amdhsa_uses_dynamic_stack 0
		.amdhsa_enable_private_segment 0
		.amdhsa_system_sgpr_workgroup_id_x 1
		.amdhsa_system_sgpr_workgroup_id_y 1
		.amdhsa_system_sgpr_workgroup_id_z 1
		.amdhsa_system_sgpr_workgroup_info 0
		.amdhsa_system_vgpr_workitem_id 0
		.amdhsa_next_free_vgpr 140
		.amdhsa_next_free_sgpr 37
		.amdhsa_reserve_vcc 1
		.amdhsa_float_round_mode_32 0
		.amdhsa_float_round_mode_16_64 0
		.amdhsa_float_denorm_mode_32 3
		.amdhsa_float_denorm_mode_16_64 3
		.amdhsa_dx10_clamp 1
		.amdhsa_ieee_mode 1
		.amdhsa_fp16_overflow 0
		.amdhsa_workgroup_processor_mode 1
		.amdhsa_memory_ordered 1
		.amdhsa_forward_progress 0
		.amdhsa_shared_vgpr_count 0
		.amdhsa_exception_fp_ieee_invalid_op 0
		.amdhsa_exception_fp_denorm_src 0
		.amdhsa_exception_fp_ieee_div_zero 0
		.amdhsa_exception_fp_ieee_overflow 0
		.amdhsa_exception_fp_ieee_underflow 0
		.amdhsa_exception_fp_ieee_inexact 0
		.amdhsa_exception_int_div_zero 0
	.end_amdhsa_kernel
	.section	.text._Z39paged_attention_ll4mi_QKV_mfma16_kernelIDF16_hLN4vllm18Fp8KVCacheDataTypeE1EDF16_Li32ELi128ELi256ELb0ELi16EL8MFMAType1EEvPKT_PKT0_S8_ifPKiSA_SA_iPKfiiiPfSD_PS3_PT2_iSC_SC_,"axG",@progbits,_Z39paged_attention_ll4mi_QKV_mfma16_kernelIDF16_hLN4vllm18Fp8KVCacheDataTypeE1EDF16_Li32ELi128ELi256ELb0ELi16EL8MFMAType1EEvPKT_PKT0_S8_ifPKiSA_SA_iPKfiiiPfSD_PS3_PT2_iSC_SC_,comdat
.Lfunc_end1085:
	.size	_Z39paged_attention_ll4mi_QKV_mfma16_kernelIDF16_hLN4vllm18Fp8KVCacheDataTypeE1EDF16_Li32ELi128ELi256ELb0ELi16EL8MFMAType1EEvPKT_PKT0_S8_ifPKiSA_SA_iPKfiiiPfSD_PS3_PT2_iSC_SC_, .Lfunc_end1085-_Z39paged_attention_ll4mi_QKV_mfma16_kernelIDF16_hLN4vllm18Fp8KVCacheDataTypeE1EDF16_Li32ELi128ELi256ELb0ELi16EL8MFMAType1EEvPKT_PKT0_S8_ifPKiSA_SA_iPKfiiiPfSD_PS3_PT2_iSC_SC_
                                        ; -- End function
	.section	.AMDGPU.csdata,"",@progbits
; Kernel info:
; codeLenInByte = 6864
; NumSgprs: 39
; NumVgprs: 140
; ScratchSize: 0
; MemoryBound: 0
; FloatMode: 240
; IeeeMode: 1
; LDSByteSize: 17472 bytes/workgroup (compile time only)
; SGPRBlocks: 4
; VGPRBlocks: 17
; NumSGPRsForWavesPerEU: 39
; NumVGPRsForWavesPerEU: 140
; Occupancy: 10
; WaveLimiterHint : 1
; COMPUTE_PGM_RSRC2:SCRATCH_EN: 0
; COMPUTE_PGM_RSRC2:USER_SGPR: 13
; COMPUTE_PGM_RSRC2:TRAP_HANDLER: 0
; COMPUTE_PGM_RSRC2:TGID_X_EN: 1
; COMPUTE_PGM_RSRC2:TGID_Y_EN: 1
; COMPUTE_PGM_RSRC2:TGID_Z_EN: 1
; COMPUTE_PGM_RSRC2:TIDIG_COMP_CNT: 0
	.section	.text._Z39paged_attention_ll4mi_QKV_mfma16_kernelIDF16_hLN4vllm18Fp8KVCacheDataTypeE1EDF16_Li32ELi128ELi256ELb0ELi1EL8MFMAType1EEvPKT_PKT0_S8_ifPKiSA_SA_iPKfiiiPfSD_PS3_PT2_iSC_SC_,"axG",@progbits,_Z39paged_attention_ll4mi_QKV_mfma16_kernelIDF16_hLN4vllm18Fp8KVCacheDataTypeE1EDF16_Li32ELi128ELi256ELb0ELi1EL8MFMAType1EEvPKT_PKT0_S8_ifPKiSA_SA_iPKfiiiPfSD_PS3_PT2_iSC_SC_,comdat
	.protected	_Z39paged_attention_ll4mi_QKV_mfma16_kernelIDF16_hLN4vllm18Fp8KVCacheDataTypeE1EDF16_Li32ELi128ELi256ELb0ELi1EL8MFMAType1EEvPKT_PKT0_S8_ifPKiSA_SA_iPKfiiiPfSD_PS3_PT2_iSC_SC_ ; -- Begin function _Z39paged_attention_ll4mi_QKV_mfma16_kernelIDF16_hLN4vllm18Fp8KVCacheDataTypeE1EDF16_Li32ELi128ELi256ELb0ELi1EL8MFMAType1EEvPKT_PKT0_S8_ifPKiSA_SA_iPKfiiiPfSD_PS3_PT2_iSC_SC_
	.globl	_Z39paged_attention_ll4mi_QKV_mfma16_kernelIDF16_hLN4vllm18Fp8KVCacheDataTypeE1EDF16_Li32ELi128ELi256ELb0ELi1EL8MFMAType1EEvPKT_PKT0_S8_ifPKiSA_SA_iPKfiiiPfSD_PS3_PT2_iSC_SC_
	.p2align	8
	.type	_Z39paged_attention_ll4mi_QKV_mfma16_kernelIDF16_hLN4vllm18Fp8KVCacheDataTypeE1EDF16_Li32ELi128ELi256ELb0ELi1EL8MFMAType1EEvPKT_PKT0_S8_ifPKiSA_SA_iPKfiiiPfSD_PS3_PT2_iSC_SC_,@function
_Z39paged_attention_ll4mi_QKV_mfma16_kernelIDF16_hLN4vllm18Fp8KVCacheDataTypeE1EDF16_Li32ELi128ELi256ELb0ELi1EL8MFMAType1EEvPKT_PKT0_S8_ifPKiSA_SA_iPKfiiiPfSD_PS3_PT2_iSC_SC_: ; @_Z39paged_attention_ll4mi_QKV_mfma16_kernelIDF16_hLN4vllm18Fp8KVCacheDataTypeE1EDF16_Li32ELi128ELi256ELb0ELi1EL8MFMAType1EEvPKT_PKT0_S8_ifPKiSA_SA_iPKfiiiPfSD_PS3_PT2_iSC_SC_
; %bb.0:
	s_load_b64 s[4:5], s[0:1], 0x30
	s_mov_b32 s34, s13
	s_waitcnt lgkmcnt(0)
	s_cmp_lg_u64 s[4:5], 0
	s_cselect_b32 s6, -1, 0
	s_ashr_i32 s35, s13, 31
	s_cmp_eq_u64 s[4:5], 0
	s_cbranch_scc1 .LBB1086_3
; %bb.1:
	s_lshl_b64 s[2:3], s[34:35], 2
	s_delay_alu instid0(SALU_CYCLE_1) | instskip(SKIP_4) | instid1(SALU_CYCLE_1)
	s_add_u32 s2, s4, s2
	s_addc_u32 s3, s5, s3
	s_load_b64 s[2:3], s[2:3], 0x0
	s_waitcnt lgkmcnt(0)
	s_sub_i32 s2, s3, s2
	s_cmp_eq_u32 s2, 1
	s_cselect_b32 s2, -1, 0
	s_delay_alu instid0(SALU_CYCLE_1)
	s_and_not1_b32 vcc_lo, exec_lo, s2
	s_cbranch_vccz .LBB1086_4
.LBB1086_2:
	s_endpgm
.LBB1086_3:
.LBB1086_4:
	s_load_b64 s[2:3], s[0:1], 0x28
	s_lshl_b64 s[8:9], s[34:35], 2
	s_waitcnt lgkmcnt(0)
	s_add_u32 s2, s2, s8
	s_addc_u32 s3, s3, s9
	s_lshl_b32 s12, s14, 8
	s_load_b32 s33, s[2:3], 0x0
	s_waitcnt lgkmcnt(0)
	s_cmp_ge_i32 s12, s33
	s_cbranch_scc1 .LBB1086_2
; %bb.5:
	s_clause 0x1
	s_load_b128 s[56:59], s[0:1], 0x8
	s_load_b64 s[2:3], s[0:1], 0x20
	s_and_not1_b32 vcc_lo, exec_lo, s6
	s_mov_b64 s[6:7], s[34:35]
	s_cbranch_vccnz .LBB1086_7
; %bb.6:
	s_add_u32 s4, s4, s8
	s_addc_u32 s5, s5, s9
	s_load_b32 s6, s[4:5], 0x0
.LBB1086_7:
	s_load_b128 s[52:55], s[0:1], 0x48
	v_and_b32_e32 v65, 15, v0
	s_mov_b32 s13, exec_lo
                                        ; implicit-def: $sgpr36
                                        ; implicit-def: $sgpr24
                                        ; implicit-def: $sgpr16
                                        ; implicit-def: $sgpr4
	s_delay_alu instid0(VALU_DEP_1)
	v_cmpx_eq_u32_e32 0, v65
	s_cbranch_execz .LBB1086_9
; %bb.8:
	s_load_b64 s[4:5], s[0:1], 0x0
	s_waitcnt lgkmcnt(0)
	s_mul_hi_i32 s7, s6, s52
	s_mul_i32 s6, s6, s52
	s_delay_alu instid0(SALU_CYCLE_1) | instskip(NEXT) | instid1(SALU_CYCLE_1)
	s_lshl_b64 s[6:7], s[6:7], 1
	s_add_u32 s6, s4, s6
	s_addc_u32 s7, s5, s7
	s_lshl_b32 s4, s15, 7
	s_delay_alu instid0(SALU_CYCLE_1) | instskip(NEXT) | instid1(SALU_CYCLE_1)
	s_ashr_i32 s5, s4, 31
	s_lshl_b64 s[4:5], s[4:5], 1
	s_delay_alu instid0(SALU_CYCLE_1)
	s_add_u32 s4, s6, s4
	s_addc_u32 s5, s7, s5
	s_clause 0x3
	s_load_b256 s[36:43], s[4:5], 0x0
	s_load_b256 s[24:31], s[4:5], 0x40
	;; [unrolled: 1-line block ×4, first 2 shown]
.LBB1086_9:
	s_or_b32 exec_lo, exec_lo, s13
	v_and_b32_e32 v1, 0xef, v0
	s_add_i32 s13, s33, 31
	s_load_b32 s44, s[0:1], 0x38
	s_ashr_i32 s35, s13, 31
	s_waitcnt lgkmcnt(0)
	s_mul_i32 s62, s15, s54
	v_add_nc_u32_e32 v1, s12, v1
	s_lshr_b32 s35, s35, 27
	v_lshlrev_b32_e32 v73, 4, v65
	s_add_i32 s13, s13, s35
	s_load_b32 s35, s[0:1], 0x1c
	v_ashrrev_i32_e32 v2, 31, v1
	v_or_b32_e32 v3, 16, v1
	s_ashr_i32 s13, s13, 5
	v_cmp_gt_i32_e32 vcc_lo, s33, v1
	s_add_i32 s13, s13, -1
	v_lshrrev_b32_e32 v2, 27, v2
	v_dual_mov_b32 v105, s31 :: v_dual_mov_b32 v100, s26
	v_dual_mov_b32 v103, s29 :: v_dual_mov_b32 v98, s24
	s_delay_alu instid0(VALU_DEP_3) | instskip(SKIP_3) | instid1(VALU_DEP_2)
	v_dual_mov_b32 v101, s27 :: v_dual_add_nc_u32 v4, v1, v2
	s_mul_i32 s44, s34, s44
	v_mov_b32_e32 v99, s25
	s_ashr_i32 s45, s44, 31
	v_ashrrev_i32_e32 v4, 5, v4
	v_add_nc_u32_e32 v2, v3, v2
	s_lshl_b64 s[44:45], s[44:45], 2
	v_dual_mov_b32 v113, s23 :: v_dual_mov_b32 v106, s16
	s_delay_alu instid0(VALU_DEP_3) | instskip(NEXT) | instid1(VALU_DEP_3)
	v_cndmask_b32_e32 v1, s13, v4, vcc_lo
	v_ashrrev_i32_e32 v2, 5, v2
	v_cmp_gt_i32_e32 vcc_lo, s33, v3
	s_add_u32 s61, s2, s44
	s_addc_u32 s60, s3, s45
	s_ashr_i32 s63, s62, 31
	s_add_u32 s44, s56, s62
	v_cndmask_b32_e32 v3, s13, v2, vcc_lo
	v_ashrrev_i32_e32 v2, 31, v1
	s_addc_u32 s45, s57, s63
	s_lshl_b32 s2, s14, 3
	v_dual_mov_b32 v108, s18 :: v_dual_lshlrev_b32 v41, 5, v65
	v_ashrrev_i32_e32 v4, 31, v3
	v_lshlrev_b64 v[1:2], 2, v[1:2]
	s_ashr_i32 s3, s2, 31
	v_mov_b32_e32 v112, s22
	s_lshl_b64 s[2:3], s[2:3], 2
	v_lshlrev_b64 v[3:4], 2, v[3:4]
	s_add_u32 s2, s61, s2
	v_add_co_u32 v1, vcc_lo, s61, v1
	v_add_co_ci_u32_e32 v2, vcc_lo, s60, v2, vcc_lo
	s_delay_alu instid0(VALU_DEP_3) | instskip(NEXT) | instid1(VALU_DEP_4)
	v_add_co_u32 v3, vcc_lo, s61, v3
	v_add_co_ci_u32_e32 v4, vcc_lo, s60, v4, vcc_lo
	s_clause 0x1
	global_load_b32 v5, v[1:2], off
	global_load_b32 v6, v[3:4], off
	s_addc_u32 s3, s60, s3
	s_or_b32 s46, s12, 32
	v_mov_b32_e32 v110, s20
	s_ashr_i32 s47, s46, 5
	s_cmp_lt_i32 s46, s33
	v_lshrrev_b32_e32 v66, 5, v0
	s_cselect_b32 s46, s47, s13
	v_mov_b32_e32 v104, s30
	s_ashr_i32 s47, s46, 31
	v_mov_b32_e32 v102, s28
	s_lshl_b64 s[46:47], s[46:47], 2
	v_lshl_or_b32 v41, v66, 9, v41
	s_add_u32 s46, s61, s46
	s_addc_u32 s47, s60, s47
	s_or_b32 s48, s12, 64
	s_delay_alu instid0(SALU_CYCLE_1) | instskip(SKIP_2) | instid1(SALU_CYCLE_1)
	s_ashr_i32 s49, s48, 5
	s_cmp_lt_i32 s48, s33
	s_cselect_b32 s48, s49, s13
	s_ashr_i32 s49, s48, 31
	s_delay_alu instid0(SALU_CYCLE_1) | instskip(NEXT) | instid1(SALU_CYCLE_1)
	s_lshl_b64 s[48:49], s[48:49], 2
	s_add_u32 s48, s61, s48
	s_addc_u32 s49, s60, s49
	s_or_b32 s50, s12, 0x60
	s_delay_alu instid0(SALU_CYCLE_1) | instskip(SKIP_2) | instid1(SALU_CYCLE_1)
	s_ashr_i32 s51, s50, 5
	s_cmp_lt_i32 s50, s33
	s_cselect_b32 s50, s51, s13
	s_ashr_i32 s51, s50, 31
	s_delay_alu instid0(SALU_CYCLE_1) | instskip(NEXT) | instid1(SALU_CYCLE_1)
	s_lshl_b64 s[50:51], s[50:51], 2
	;; [unrolled: 10-line block ×4, first 2 shown]
	s_add_u32 s66, s61, s54
	s_addc_u32 s67, s60, s55
	s_clause 0x5
	s_load_b32 s56, s[2:3], 0x0
	s_load_b32 s3, s[46:47], 0x0
	;; [unrolled: 1-line block ×6, first 2 shown]
	s_or_b32 s24, s12, 0xc0
	s_delay_alu instid0(SALU_CYCLE_1)
	s_ashr_i32 s25, s24, 5
	s_cmp_lt_i32 s24, s33
	s_waitcnt vmcnt(1)
	v_mad_i64_i32 v[1:2], null, v5, s53, s[44:45]
	s_waitcnt vmcnt(0)
	v_mad_i64_i32 v[3:4], null, v6, s53, s[44:45]
	s_mov_b32 s44, 0
	s_delay_alu instid0(SALU_CYCLE_1) | instskip(SKIP_1) | instid1(VALU_DEP_2)
	s_mov_b32 s45, s44
	s_mov_b32 s46, s44
	v_add_co_u32 v33, vcc_lo, v1, v73
	s_delay_alu instid0(VALU_DEP_3) | instskip(NEXT) | instid1(VALU_DEP_3)
	v_add_co_ci_u32_e32 v34, vcc_lo, 0, v2, vcc_lo
	v_add_co_u32 v35, vcc_lo, v3, v73
	s_delay_alu instid0(VALU_DEP_4)
	v_add_co_ci_u32_e32 v36, vcc_lo, 0, v4, vcc_lo
	s_clause 0xf
	global_load_b128 v[1:4], v[33:34], off
	global_load_b128 v[5:8], v[33:34], off offset:512
	global_load_b128 v[9:12], v[35:36], off offset:256
	;; [unrolled: 1-line block ×15, first 2 shown]
	v_mov_b32_e32 v33, s36
	v_mov_b32_e32 v37, s40
	;; [unrolled: 1-line block ×3, first 2 shown]
	s_mov_b32 s47, s44
	s_mov_b32 s48, s44
	;; [unrolled: 1-line block ×5, first 2 shown]
	v_mov_b32_e32 v111, s21
	v_mov_b32_e32 v109, s19
	;; [unrolled: 1-line block ×3, first 2 shown]
	s_cselect_b32 s16, s25, s13
	v_dual_mov_b32 v121, s51 :: v_dual_mov_b32 v114, s44
	s_ashr_i32 s17, s16, 31
	v_mov_b32_e32 v34, s37
	s_lshl_b64 s[16:17], s[16:17], 2
	v_dual_mov_b32 v35, s38 :: v_dual_mov_b32 v40, s43
	s_add_u32 s16, s61, s16
	s_addc_u32 s17, s60, s17
	s_or_b32 s18, s12, 0xe0
	v_mov_b32_e32 v36, s39
	s_ashr_i32 s19, s18, 5
	s_cmp_lt_i32 s18, s33
	v_mov_b32_e32 v38, s41
	s_cselect_b32 s18, s19, s13
	v_mov_b32_e32 v120, s50
	s_ashr_i32 s19, s18, 31
	v_mov_b32_e32 v119, s49
	s_lshl_b64 s[18:19], s[18:19], 2
	v_mov_b32_e32 v118, s48
	s_add_u32 s18, s61, s18
	s_addc_u32 s19, s60, s19
	s_add_u32 s13, s58, s62
	s_addc_u32 s20, s59, s63
	v_add_co_u32 v67, s13, s13, v41
	s_delay_alu instid0(VALU_DEP_1)
	v_add_co_ci_u32_e64 v68, null, s20, 0, s13
	s_clause 0x1
	s_load_b32 s13, s[16:17], 0x0
	s_load_b32 s16, s[18:19], 0x0
	v_dual_mov_b32 v117, s47 :: v_dual_mov_b32 v116, s46
	s_waitcnt lgkmcnt(0)
	v_mad_i64_i32 v[41:42], null, s56, s53, v[67:68]
	v_mad_i64_i32 v[71:72], null, s54, s53, v[67:68]
	v_mov_b32_e32 v115, s45
	v_mad_i64_i32 v[45:46], null, s3, s53, v[67:68]
	v_mad_i64_i32 v[69:70], null, s52, s53, v[67:68]
	;; [unrolled: 1-line block ×4, first 2 shown]
	s_waitcnt vmcnt(14)
	v_wmma_f32_16x16x16_f16 v[122:129], v[1:8], v[33:40], v[114:121]
	s_waitcnt vmcnt(12)
	v_wmma_f32_16x16x16_f16 v[114:121], v[9:16], v[33:40], v[114:121]
	s_clause 0x7
	global_load_b128 v[49:52], v[41:42], off
	global_load_b128 v[53:56], v[41:42], off offset:16
	global_load_b128 v[41:44], v[45:46], off
	global_load_b128 v[45:48], v[45:46], off offset:16
	global_load_b128 v[33:36], v[69:70], off
	global_load_b128 v[37:40], v[69:70], off offset:16
	global_load_b128 v[1:4], v[71:72], off
	global_load_b128 v[5:8], v[71:72], off offset:16
	v_mad_i64_i32 v[71:72], null, s13, s53, v[67:68]
	v_mad_i64_i32 v[69:70], null, s2, s53, v[67:68]
	s_waitcnt vmcnt(18)
	v_wmma_f32_16x16x16_f16 v[122:129], v[17:24], v[98:105], v[122:129]
	s_waitcnt vmcnt(16)
	v_wmma_f32_16x16x16_f16 v[114:121], v[25:32], v[98:105], v[114:121]
	s_clause 0x3
	global_load_b128 v[9:12], v[130:131], off
	global_load_b128 v[13:16], v[130:131], off offset:16
	global_load_b128 v[17:20], v[69:70], off
	global_load_b128 v[21:24], v[69:70], off offset:16
	s_waitcnt vmcnt(18)
	v_wmma_f32_16x16x16_f16 v[122:129], v[57:64], v[106:113], v[122:129]
	s_clause 0x3
	global_load_b128 v[25:28], v[71:72], off
	global_load_b128 v[29:32], v[71:72], off offset:16
	global_load_b128 v[57:60], v[132:133], off
	global_load_b128 v[61:64], v[132:133], off offset:16
	v_mbcnt_lo_u32_b32 v68, -1, 0
	v_and_b32_e32 v67, 0xe0, v0
	v_mov_b32_e32 v105, s11
	s_waitcnt vmcnt(20)
	v_wmma_f32_16x16x16_f16 v[114:121], v[74:81], v[106:113], v[114:121]
	v_bfe_u32 v74, v0, 4, 1
	v_xor_b32_e32 v69, 16, v68
	v_mov_b32_e32 v98, s4
	v_dual_mov_b32 v104, s10 :: v_dual_mov_b32 v103, s9
	v_mov_b32_e32 v102, s8
	s_delay_alu instid0(VALU_DEP_4) | instskip(SKIP_3) | instid1(VALU_DEP_3)
	v_cmp_gt_i32_e32 vcc_lo, 32, v69
	v_add_nc_u32_e32 v67, s12, v67
	v_dual_mov_b32 v101, s7 :: v_dual_mov_b32 v100, s6
	v_dual_mov_b32 v99, s5 :: v_dual_cndmask_b32 v68, v68, v69
	v_or_b32_e32 v67, v67, v74
	s_waitcnt vmcnt(0)
	s_barrier
	s_delay_alu instid0(VALU_DEP_2)
	v_wmma_f32_16x16x16_f16 v[122:129], v[82:89], v[98:105], v[122:129]
	buffer_gl0_inv
	v_or_b32_e32 v69, 2, v67
	v_or_b32_e32 v70, 4, v67
	;; [unrolled: 1-line block ×3, first 2 shown]
	v_mul_f32_e32 v86, s35, v129
	v_mul_f32_e32 v88, s35, v127
	v_wmma_f32_16x16x16_f16 v[114:121], v[90:97], v[98:105], v[114:121]
	v_dual_mul_f32 v92, s35, v123 :: v_dual_mul_f32 v93, s35, v122
	v_cmp_gt_i32_e32 vcc_lo, s33, v69
	v_cmp_gt_i32_e64 s2, s33, v67
	v_or_b32_e32 v72, 8, v67
	v_or_b32_e32 v75, 10, v67
	v_dual_mul_f32 v90, s35, v125 :: v_dual_mul_f32 v91, s35, v124
	v_mul_f32_e32 v98, s35, v117
	v_cndmask_b32_e64 v93, 0xff7fffff, v93, s2
	v_cndmask_b32_e32 v92, 0xff7fffff, v92, vcc_lo
	v_cmp_gt_i32_e64 s3, s33, v70
	v_cmp_gt_i32_e64 s4, s33, v71
	v_or_b32_e32 v76, 12, v67
	v_or_b32_e32 v77, 14, v67
	v_dual_mul_f32 v89, s35, v126 :: v_dual_mul_f32 v96, s35, v119
	v_cndmask_b32_e64 v70, 0xff7fffff, v91, s3
	v_cndmask_b32_e64 v71, 0xff7fffff, v90, s4
	v_max3_f32 v90, v93, 0xff7fffff, v92
	v_cmp_gt_i32_e64 s5, s33, v72
	v_cmp_gt_i32_e64 s6, s33, v75
	v_or_b32_e32 v78, 16, v67
	v_or_b32_e32 v79, 18, v67
	v_dual_mul_f32 v87, s35, v128 :: v_dual_mul_f32 v94, s35, v121
	v_cndmask_b32_e64 v72, 0xff7fffff, v89, s5
	v_cndmask_b32_e64 v75, 0xff7fffff, v88, s6
	v_max3_f32 v70, v90, v70, v71
	v_cmp_gt_i32_e64 s7, s33, v76
	v_cmp_gt_i32_e64 s8, s33, v77
	v_or_b32_e32 v80, 20, v67
	v_or_b32_e32 v81, 22, v67
	;; [unrolled: 1-line block ×6, first 2 shown]
	v_mul_f32_e32 v69, s35, v115
	v_mul_f32_e32 v67, s35, v114
	v_cndmask_b32_e64 v71, 0xff7fffff, v87, s7
	v_cndmask_b32_e64 v76, 0xff7fffff, v86, s8
	v_max3_f32 v70, v70, v72, v75
	v_cmp_gt_i32_e64 s9, s33, v78
	v_cmp_gt_i32_e64 s10, s33, v79
	v_mul_f32_e32 v99, s35, v116
	v_cmp_gt_i32_e64 s11, s33, v80
	v_max3_f32 v70, v70, v71, v76
	v_cndmask_b32_e64 v67, 0xff7fffff, v67, s9
	v_cndmask_b32_e64 v69, 0xff7fffff, v69, s10
	v_cmp_gt_i32_e64 s12, s33, v81
	v_mul_f32_e32 v97, s35, v118
	v_cndmask_b32_e64 v71, 0xff7fffff, v99, s11
	v_cmp_gt_i32_e64 s13, s33, v82
	v_max3_f32 v67, v70, v67, v69
	v_cndmask_b32_e64 v72, 0xff7fffff, v98, s12
	v_cmp_gt_i32_e64 s16, s33, v83
	v_mul_f32_e32 v95, s35, v120
	v_cndmask_b32_e64 v69, 0xff7fffff, v97, s13
	v_cmp_gt_i32_e64 s17, s33, v84
	v_max3_f32 v67, v67, v71, v72
	v_cndmask_b32_e64 v70, 0xff7fffff, v96, s16
	v_cmp_gt_i32_e64 s18, s33, v85
	v_lshlrev_b32_e32 v75, 2, v68
	v_cndmask_b32_e64 v71, 0xff7fffff, v95, s17
	s_delay_alu instid0(VALU_DEP_4) | instskip(NEXT) | instid1(VALU_DEP_4)
	v_max3_f32 v67, v67, v69, v70
	v_cndmask_b32_e64 v72, 0xff7fffff, v94, s18
	s_delay_alu instid0(VALU_DEP_1) | instskip(SKIP_3) | instid1(VALU_DEP_1)
	v_max3_f32 v67, v67, v71, v72
	ds_bpermute_b32 v68, v75, v67
	s_waitcnt lgkmcnt(0)
	v_max_f32_e32 v68, v68, v68
	v_max_f32_e32 v67, v67, v68
	s_delay_alu instid0(VALU_DEP_1) | instskip(SKIP_4) | instid1(VALU_DEP_4)
	v_fma_f32 v68, s35, v122, -v67
	v_fma_f32 v69, s35, v123, -v67
	;; [unrolled: 1-line block ×5, first 2 shown]
	v_dual_mul_f32 v68, 0x3fb8aa3b, v68 :: v_dual_mul_f32 v69, 0x3fb8aa3b, v69
	s_delay_alu instid0(VALU_DEP_4) | instskip(NEXT) | instid1(VALU_DEP_3)
	v_mul_f32_e32 v72, 0x3fb8aa3b, v72
	v_dual_mul_f32 v70, 0x3fb8aa3b, v70 :: v_dual_mul_f32 v71, 0x3fb8aa3b, v71
	s_delay_alu instid0(VALU_DEP_3) | instskip(NEXT) | instid1(VALU_DEP_3)
	v_exp_f32_e32 v68, v68
	v_exp_f32_e32 v69, v69
	s_delay_alu instid0(VALU_DEP_2) | instskip(NEXT) | instid1(VALU_DEP_1)
	v_exp_f32_e32 v79, v72
	v_exp_f32_e32 v76, v70
	;; [unrolled: 1-line block ×3, first 2 shown]
	v_cndmask_b32_e64 v70, 0, v68, s2
	s_delay_alu instid0(TRANS32_DEP_3)
	v_cndmask_b32_e64 v83, 0, v79, s5
	v_cndmask_b32_e32 v69, 0, v69, vcc_lo
	s_waitcnt_depctr 0xfff
	v_cndmask_b32_e64 v72, 0, v76, s3
	v_add_f32_e32 v77, 0, v70
	v_cndmask_b32_e64 v71, 0, v71, s4
	s_mov_b32 s3, exec_lo
	s_delay_alu instid0(VALU_DEP_2) | instskip(NEXT) | instid1(VALU_DEP_1)
	v_add_f32_e32 v76, v77, v69
	v_add_f32_e32 v76, v76, v72
	s_delay_alu instid0(VALU_DEP_1)
	v_add_f32_e32 v76, v76, v71
	v_fma_f32 v68, s35, v127, -v67
	v_fma_f32 v78, s35, v128, -v67
	;; [unrolled: 1-line block ×5, first 2 shown]
	v_mul_f32_e32 v68, 0x3fb8aa3b, v68
	v_mul_f32_e32 v78, 0x3fb8aa3b, v78
	s_delay_alu instid0(VALU_DEP_4) | instskip(NEXT) | instid1(VALU_DEP_3)
	v_mul_f32_e32 v80, 0x3fb8aa3b, v80
	v_exp_f32_e32 v68, v68
	s_delay_alu instid0(VALU_DEP_2) | instskip(NEXT) | instid1(VALU_DEP_1)
	v_exp_f32_e32 v78, v78
	v_exp_f32_e32 v80, v80
	s_delay_alu instid0(TRANS32_DEP_3)
	v_cndmask_b32_e64 v82, 0, v68, s6
	v_add_f32_e32 v68, v76, v83
	v_fma_f32 v76, s35, v116, -v67
	v_mul_f32_e32 v77, 0x3fb8aa3b, v77
	s_waitcnt_depctr 0xfff
	v_cndmask_b32_e64 v85, 0, v78, s7
	v_fma_f32 v78, s35, v117, -v67
	v_add_f32_e32 v68, v68, v82
	v_mul_f32_e32 v76, 0x3fb8aa3b, v76
	v_exp_f32_e32 v77, v77
	v_mul_f32_e32 v79, 0x3fb8aa3b, v79
	v_cndmask_b32_e64 v87, 0, v80, s9
	v_add_f32_e32 v68, v68, v85
	v_exp_f32_e32 v76, v76
	v_fma_f32 v80, s35, v119, -v67
	v_exp_f32_e32 v79, v79
	s_delay_alu instid0(TRANS32_DEP_3) | instskip(SKIP_3) | instid1(TRANS32_DEP_2)
	v_cndmask_b32_e64 v84, 0, v77, s8
	v_fma_f32 v77, s35, v118, -v67
	v_mul_f32_e32 v78, 0x3fb8aa3b, v78
	v_mul_f32_e32 v80, 0x3fb8aa3b, v80
	v_cndmask_b32_e64 v89, 0, v76, s11
	s_delay_alu instid0(VALU_DEP_4) | instskip(NEXT) | instid1(VALU_DEP_4)
	v_mul_f32_e32 v77, 0x3fb8aa3b, v77
	v_exp_f32_e32 v78, v78
	s_delay_alu instid0(TRANS32_DEP_2) | instskip(SKIP_1) | instid1(VALU_DEP_3)
	v_cndmask_b32_e64 v86, 0, v79, s10
	v_fma_f32 v79, s35, v120, -v67
	v_exp_f32_e32 v77, v77
	s_delay_alu instid0(VALU_DEP_1) | instskip(SKIP_1) | instid1(TRANS32_DEP_3)
	v_mul_f32_e32 v76, 0x3fb8aa3b, v79
	v_exp_f32_e32 v79, v80
	v_cndmask_b32_e64 v88, 0, v78, s12
	v_fma_f32 v78, s35, v121, -v67
	v_add_f32_e32 v68, v68, v84
	v_exp_f32_e32 v76, v76
	s_delay_alu instid0(TRANS32_DEP_3) | instskip(NEXT) | instid1(VALU_DEP_2)
	v_cndmask_b32_e64 v91, 0, v77, s13
	v_dual_mul_f32 v77, 0x3fb8aa3b, v78 :: v_dual_add_f32 v68, v68, v87
	s_delay_alu instid0(TRANS32_DEP_2) | instskip(NEXT) | instid1(VALU_DEP_2)
	v_cndmask_b32_e64 v90, 0, v79, s16
	v_exp_f32_e32 v77, v77
	s_delay_alu instid0(VALU_DEP_2) | instskip(SKIP_4) | instid1(VALU_DEP_2)
	v_add_f32_e32 v68, v68, v86
	s_waitcnt_depctr 0xfff
	v_cndmask_b32_e64 v93, 0, v76, s17
	v_and_b32_e32 v76, 31, v0
	v_add_f32_e32 v68, v68, v89
	v_cmp_lt_u32_e64 s2, 15, v76
	v_cndmask_b32_e64 v92, 0, v77, s18
	s_delay_alu instid0(VALU_DEP_3) | instskip(NEXT) | instid1(VALU_DEP_1)
	v_add_f32_e32 v68, v68, v88
	v_add_f32_e32 v68, v68, v91
	s_delay_alu instid0(VALU_DEP_1) | instskip(NEXT) | instid1(VALU_DEP_1)
	v_add_f32_e32 v68, v68, v90
	v_add_f32_e32 v68, v68, v93
	s_delay_alu instid0(VALU_DEP_1)
	v_add_f32_e32 v68, v68, v92
	ds_bpermute_b32 v75, v75, v68
	v_cmpx_gt_u32_e32 16, v76
	s_cbranch_execz .LBB1086_11
; %bb.10:
	v_mul_u32_u24_e32 v76, 0x44, v66
	s_delay_alu instid0(VALU_DEP_1) | instskip(SKIP_1) | instid1(VALU_DEP_1)
	v_lshl_add_u32 v76, v65, 2, v76
	s_waitcnt lgkmcnt(0)
	v_dual_add_f32 v68, v68, v75 :: v_dual_add_nc_u32 v75, 0x4000, v76
	ds_store_2addr_b32 v75, v67, v68 offset1:136
.LBB1086_11:
	s_or_b32 exec_lo, exec_lo, s3
	v_lshlrev_b32_e32 v67, 2, v65
	s_load_b64 s[36:37], s[0:1], 0x94
	s_waitcnt lgkmcnt(0)
	s_barrier
	buffer_gl0_inv
	v_add_nc_u32_e32 v81, 0x4000, v67
	v_cmp_eq_u32_e32 vcc_lo, 1, v66
	v_cmp_eq_u32_e64 s3, 2, v66
	v_cmp_eq_u32_e64 s5, 3, v66
	;; [unrolled: 1-line block ×3, first 2 shown]
	ds_load_2addr_b32 v[75:76], v81 offset1:17
	ds_load_2addr_b32 v[77:78], v81 offset0:34 offset1:51
	ds_load_2addr_b32 v[79:80], v81 offset0:68 offset1:85
	;; [unrolled: 1-line block ×4, first 2 shown]
	v_cmp_eq_u32_e64 s7, 5, v66
	v_cmp_eq_u32_e64 s4, 6, v66
	s_waitcnt lgkmcnt(4)
	v_max3_f32 v67, v75, 0xff7fffff, v76
	s_waitcnt lgkmcnt(3)
	s_delay_alu instid0(VALU_DEP_1) | instskip(SKIP_1) | instid1(VALU_DEP_1)
	v_max3_f32 v67, v67, v77, v78
	s_waitcnt lgkmcnt(2)
	v_max3_f32 v67, v67, v79, v80
	s_waitcnt lgkmcnt(1)
	s_delay_alu instid0(VALU_DEP_1) | instskip(NEXT) | instid1(VALU_DEP_1)
	v_max3_f32 v67, v67, v94, v95
	v_sub_f32_e32 v68, v75, v67
	s_delay_alu instid0(VALU_DEP_1) | instskip(NEXT) | instid1(VALU_DEP_1)
	v_dual_sub_f32 v79, v79, v67 :: v_dual_mul_f32 v68, 0x3fb8aa3b, v68
	v_mul_f32_e32 v102, 0x3fb8aa3b, v79
	s_delay_alu instid0(VALU_DEP_2) | instskip(SKIP_1) | instid1(VALU_DEP_1)
	v_exp_f32_e32 v99, v68
	v_sub_f32_e32 v68, v78, v67
	v_dual_sub_f32 v98, v76, v67 :: v_dual_mul_f32 v101, 0x3fb8aa3b, v68
	s_delay_alu instid0(VALU_DEP_1)
	v_dual_sub_f32 v77, v77, v67 :: v_dual_mul_f32 v98, 0x3fb8aa3b, v98
	s_waitcnt lgkmcnt(0)
	s_waitcnt_depctr 0xfff
	v_fma_f32 v68, v99, v96, 0
	v_sub_f32_e32 v96, v80, v67
	v_mul_f32_e32 v100, 0x3fb8aa3b, v77
	v_exp_f32_e32 v98, v98
	v_exp_f32_e32 v101, v101
	s_delay_alu instid0(VALU_DEP_1) | instskip(NEXT) | instid1(TRANS32_DEP_3)
	v_exp_f32_e32 v100, v100
	v_fmac_f32_e32 v68, v98, v97
	ds_load_2addr_b32 v[75:76], v81 offset0:170 offset1:187
	ds_load_2addr_b32 v[77:78], v81 offset0:204 offset1:221
	;; [unrolled: 1-line block ×3, first 2 shown]
	v_dual_sub_f32 v81, v94, v67 :: v_dual_mul_f32 v94, 0x3fb8aa3b, v96
	v_exp_f32_e32 v96, v102
	s_waitcnt lgkmcnt(0)
	s_barrier
	s_delay_alu instid0(VALU_DEP_1)
	v_mul_f32_e32 v81, 0x3fb8aa3b, v81
	v_exp_f32_e32 v94, v94
	buffer_gl0_inv
	v_fmac_f32_e32 v68, v100, v75
	v_sub_f32_e32 v75, v95, v67
	v_exp_f32_e32 v95, v81
	s_delay_alu instid0(VALU_DEP_1) | instskip(SKIP_1) | instid1(VALU_DEP_2)
	v_dual_fmac_f32 v68, v101, v76 :: v_dual_mul_f32 v75, 0x3fb8aa3b, v75
	v_cndmask_b32_e32 v76, v99, v98, vcc_lo
	v_fmac_f32_e32 v68, v96, v77
	s_delay_alu instid0(VALU_DEP_3) | instskip(NEXT) | instid1(VALU_DEP_1)
	v_exp_f32_e32 v97, v75
	v_fmac_f32_e32 v68, v94, v78
	s_waitcnt_depctr 0xfff
	v_dual_fmac_f32 v68, v95, v79 :: v_dual_lshlrev_b32 v79, 6, v65
	s_delay_alu instid0(VALU_DEP_1) | instskip(NEXT) | instid1(VALU_DEP_2)
	v_dual_mov_b32 v65, 0 :: v_dual_fmac_f32 v68, v97, v80
	v_lshl_or_b32 v81, v66, 11, v79
	s_delay_alu instid0(VALU_DEP_2) | instskip(NEXT) | instid1(VALU_DEP_1)
	v_add_f32_e32 v80, 0x358637bd, v68
	v_div_scale_f32 v102, null, v80, v80, 1.0
	v_div_scale_f32 v98, vcc_lo, 1.0, v80, 1.0
	s_delay_alu instid0(VALU_DEP_2) | instskip(SKIP_2) | instid1(VALU_DEP_1)
	v_rcp_f32_e32 v103, v102
	s_waitcnt_depctr 0xfff
	v_fma_f32 v75, -v102, v103, 1.0
	v_fmac_f32_e32 v103, v75, v103
	v_cndmask_b32_e64 v75, v76, v100, s3
	v_cmp_eq_u32_e64 s3, 7, v66
	s_delay_alu instid0(VALU_DEP_3) | instskip(NEXT) | instid1(VALU_DEP_3)
	v_mul_f32_e32 v99, v98, v103
	v_cndmask_b32_e64 v76, v75, v101, s5
	v_lshlrev_b32_e32 v75, 2, v74
	s_delay_alu instid0(VALU_DEP_3) | instskip(NEXT) | instid1(VALU_DEP_3)
	v_fma_f32 v77, -v102, v99, v98
	v_cndmask_b32_e64 v96, v76, v96, s6
	s_delay_alu instid0(VALU_DEP_3)
	v_or_b32_e32 v78, 1, v75
	v_or_b32_e32 v76, 2, v75
	v_cmp_eq_u32_e64 s5, 1, v75
	v_fmac_f32_e32 v99, v77, v103
	v_cndmask_b32_e64 v66, v96, v94, s7
	v_or_b32_e32 v77, 3, v75
	v_cmp_eq_u32_e64 s9, 1, v78
	v_cmp_eq_u32_e64 s10, 1, v76
	v_fma_f32 v94, -v102, v99, v98
	v_cndmask_b32_e64 v66, v66, v95, s4
	v_cmp_eq_u32_e64 s11, 1, v77
	v_cmp_eq_u32_e64 s6, 2, v75
	;; [unrolled: 1-line block ×3, first 2 shown]
	v_div_fmas_f32 v94, v94, v103, v99
	v_cndmask_b32_e64 v66, v66, v97, s3
	v_cmp_eq_u32_e64 s17, 2, v77
	v_cmp_eq_u32_e32 vcc_lo, 3, v75
	v_cmp_eq_u32_e64 s13, 3, v78
	v_div_fixup_f32 v94, v94, v80, 1.0
	v_lshl_or_b32 v80, v74, 4, v81
	v_cmp_eq_u32_e64 s16, 2, v76
	v_cmp_eq_u32_e64 s19, 3, v77
	;; [unrolled: 1-line block ×3, first 2 shown]
	v_mul_f32_e32 v66, v66, v94
	v_cmp_eq_u32_e64 s18, 3, v76
	v_cmp_eq_u32_e64 s20, 4, v78
	;; [unrolled: 1-line block ×4, first 2 shown]
	v_fma_mixlo_f16 v94, v66, v70, 0
	v_fma_mixlo_f16 v95, v66, v72, 0
	;; [unrolled: 1-line block ×8, first 2 shown]
	v_fma_mixhi_f16 v94, v66, v69, 0
	v_fma_mixhi_f16 v95, v66, v71, 0
	;; [unrolled: 1-line block ×8, first 2 shown]
	ds_store_b128 v80, v[94:97]
	ds_store_b128 v80, v[98:101] offset:1024
	s_waitcnt lgkmcnt(0)
	s_barrier
	buffer_gl0_inv
	ds_load_b128 v[69:72], v81
	ds_load_b128 v[82:85], v81 offset:16
	ds_load_b128 v[86:89], v81 offset:1024
	;; [unrolled: 1-line block ×3, first 2 shown]
	v_cmp_eq_u32_e64 s21, 5, v78
	v_cmp_eq_u32_e64 s22, 4, v76
	;; [unrolled: 1-line block ×12, first 2 shown]
	s_waitcnt lgkmcnt(3)
	v_lshrrev_b32_e32 v66, 16, v69
	s_waitcnt lgkmcnt(2)
	v_lshrrev_b32_e32 v97, 16, v82
	;; [unrolled: 2-line block ×4, first 2 shown]
	v_lshrrev_b32_e32 v94, 16, v70
	v_cndmask_b32_e64 v109, v69, v66, s5
	v_cndmask_b32_e64 v110, v82, v97, s5
	;; [unrolled: 1-line block ×7, first 2 shown]
	v_lshrrev_b32_e32 v98, 16, v83
	v_cndmask_b32_e64 v114, v82, v97, s10
	v_cndmask_b32_e64 v82, v86, v101, s5
	;; [unrolled: 1-line block ×15, first 2 shown]
	v_lshrrev_b32_e32 v102, 16, v87
	v_lshrrev_b32_e32 v106, 16, v91
	v_cndmask_b32_e64 v111, v113, v70, s16
	v_cndmask_b32_e64 v112, v114, v83, s16
	;; [unrolled: 1-line block ×7, first 2 shown]
	v_cndmask_b32_e32 v87, v101, v94, vcc_lo
	v_cndmask_b32_e32 v101, v105, v98, vcc_lo
	v_cndmask_b32_e64 v105, v109, v94, s13
	v_cndmask_b32_e64 v109, v110, v98, s13
	v_cndmask_b32_e64 v66, v66, v94, s19
	v_cndmask_b32_e64 v69, v69, v98, s19
	v_lshrrev_b32_e32 v95, 16, v71
	v_lshrrev_b32_e32 v99, 16, v84
	v_cndmask_b32_e64 v110, v111, v94, s18
	v_cndmask_b32_e64 v111, v112, v98, s18
	v_cndmask_b32_e32 v70, v70, v102, vcc_lo
	v_cndmask_b32_e32 v82, v82, v106, vcc_lo
	v_cndmask_b32_e64 v83, v83, v102, s13
	v_cndmask_b32_e64 v87, v87, v71, s4
	;; [unrolled: 1-line block ×7, first 2 shown]
	v_lshrrev_b32_e32 v103, 16, v88
	v_lshrrev_b32_e32 v107, 16, v92
	v_cndmask_b32_e64 v105, v110, v71, s22
	v_cndmask_b32_e64 v109, v111, v84, s22
	;; [unrolled: 1-line block ×11, first 2 shown]
	v_lshrrev_b32_e32 v96, 16, v72
	v_lshrrev_b32_e32 v100, 16, v85
	v_cndmask_b32_e64 v98, v105, v95, s24
	v_cndmask_b32_e64 v101, v109, v99, s24
	;; [unrolled: 1-line block ×11, first 2 shown]
	v_lshrrev_b32_e32 v104, 16, v89
	v_cndmask_b32_e64 v95, v98, v72, s27
	v_cndmask_b32_e64 v98, v101, v85, s27
	;; [unrolled: 1-line block ×14, first 2 shown]
	v_perm_b32 v72, v69, v66, 0x5040100
	v_perm_b32 v70, v94, v84, 0x5040100
	v_cndmask_b32_e64 v66, v90, v91, s17
	v_cndmask_b32_e64 v69, v118, v91, s16
	;; [unrolled: 1-line block ×4, first 2 shown]
	v_perm_b32 v71, v95, v87, 0x5040100
	v_cndmask_b32_e64 v87, v97, v102, s18
	v_cndmask_b32_e64 v86, v86, v102, s19
	;; [unrolled: 1-line block ×15, first 2 shown]
	v_lshrrev_b32_e32 v108, 16, v93
	v_cndmask_b32_e64 v87, v87, v89, s27
	v_cndmask_b32_e64 v86, v86, v89, s28
	;; [unrolled: 1-line block ×11, first 2 shown]
	v_perm_b32 v69, v83, v82, 0x5040100
	v_perm_b32 v85, v66, v86, 0x5040100
	;; [unrolled: 1-line block ×5, first 2 shown]
	s_mov_b32 s3, exec_lo
	ds_store_b128 v80, v[69:72]
	ds_store_b128 v80, v[82:85] offset:1024
	v_cmpx_eq_u32_e32 0, v0
	s_cbranch_execz .LBB1086_13
; %bb.12:
	s_load_b128 s[4:7], s[0:1], 0x58
	s_mul_i32 s8, s37, s34
	s_delay_alu instid0(SALU_CYCLE_1) | instskip(NEXT) | instid1(SALU_CYCLE_1)
	s_add_i32 s8, s8, s15
	s_mul_i32 s8, s8, s36
	s_delay_alu instid0(SALU_CYCLE_1) | instskip(NEXT) | instid1(SALU_CYCLE_1)
	s_add_i32 s8, s8, s14
	s_ashr_i32 s9, s8, 31
	s_delay_alu instid0(SALU_CYCLE_1)
	s_lshl_b64 s[8:9], s[8:9], 2
	s_waitcnt lgkmcnt(0)
	s_add_u32 s6, s6, s8
	s_addc_u32 s7, s7, s9
	s_add_u32 s4, s4, s8
	s_addc_u32 s5, s5, s9
	s_clause 0x1
	global_store_b32 v65, v67, s[6:7]
	global_store_b32 v65, v68, s[4:5]
.LBB1086_13:
	s_or_b32 exec_lo, exec_lo, s3
	s_waitcnt lgkmcnt(0)
	s_waitcnt_vscnt null, 0x0
	s_barrier
	buffer_gl0_inv
	ds_load_b128 v[82:85], v79
	ds_load_b128 v[86:89], v79 offset:16
	ds_load_b128 v[94:97], v79 offset:2064
	;; [unrolled: 1-line block ×5, first 2 shown]
	v_mov_b32_e32 v66, v65
	v_mov_b32_e32 v67, v65
	;; [unrolled: 1-line block ×7, first 2 shown]
	ds_load_b128 v[110:113], v79 offset:6160
	ds_load_b128 v[106:109], v79 offset:6144
	v_cmp_eq_u32_e32 vcc_lo, 1, v75
	v_cmp_eq_u32_e64 s3, 1, v78
	v_cmp_eq_u32_e64 s4, 1, v77
	;; [unrolled: 1-line block ×5, first 2 shown]
	s_xor_b32 s2, s2, -1
	s_waitcnt lgkmcnt(6)
	v_wmma_f32_16x16x16_f16 v[65:72], v[49:56], v[82:89], v[65:72]
	ds_load_b128 v[53:56], v79 offset:8208
	ds_load_b128 v[49:52], v79 offset:8192
	;; [unrolled: 1-line block ×4, first 2 shown]
	s_waitcnt lgkmcnt(8)
	v_wmma_f32_16x16x16_f16 v[65:72], v[41:48], v[90:97], v[65:72]
	ds_load_b128 v[45:48], v79 offset:12304
	ds_load_b128 v[41:44], v79 offset:12288
	s_waitcnt lgkmcnt(8)
	v_wmma_f32_16x16x16_f16 v[65:72], v[33:40], v[98:105], v[65:72]
	ds_load_b128 v[37:40], v79 offset:14352
	ds_load_b128 v[33:36], v79 offset:14336
	s_waitcnt lgkmcnt(0)
	s_barrier
	buffer_gl0_inv
	v_wmma_f32_16x16x16_f16 v[65:72], v[1:8], v[106:113], v[65:72]
	s_delay_alu instid0(VALU_DEP_1) | instskip(NEXT) | instid1(VALU_DEP_1)
	v_wmma_f32_16x16x16_f16 v[65:72], v[9:16], v[49:56], v[65:72]
	v_wmma_f32_16x16x16_f16 v[65:72], v[17:24], v[82:89], v[65:72]
	s_delay_alu instid0(VALU_DEP_1) | instskip(NEXT) | instid1(VALU_DEP_1)
	v_wmma_f32_16x16x16_f16 v[65:72], v[25:32], v[41:48], v[65:72]
	v_wmma_f32_16x16x16_f16 v[65:72], v[57:64], v[33:40], v[65:72]
	s_delay_alu instid0(VALU_DEP_1) | instskip(NEXT) | instid1(VALU_DEP_2)
	v_cvt_f16_f32_e32 v1, v65
	v_cvt_f16_f32_e32 v2, v66
	s_delay_alu instid0(VALU_DEP_3) | instskip(NEXT) | instid1(VALU_DEP_4)
	v_cvt_f16_f32_e32 v3, v67
	v_cvt_f16_f32_e32 v4, v68
	v_cvt_f16_f32_e32 v5, v69
	v_cvt_f16_f32_e32 v6, v70
	v_cvt_f16_f32_e32 v7, v71
	v_cvt_f16_f32_e32 v8, v72
	v_pack_b32_f16 v1, v1, v2
	v_pack_b32_f16 v2, v3, v4
	;; [unrolled: 1-line block ×3, first 2 shown]
	s_delay_alu instid0(VALU_DEP_4)
	v_pack_b32_f16 v4, v7, v8
	ds_store_b128 v80, v[1:4]
	s_waitcnt lgkmcnt(0)
	s_barrier
	buffer_gl0_inv
	ds_load_b128 v[1:4], v81
	ds_load_b128 v[5:8], v81 offset:16
	s_waitcnt lgkmcnt(1)
	v_lshrrev_b32_e32 v9, 16, v1
	s_waitcnt lgkmcnt(0)
	v_lshrrev_b32_e32 v13, 16, v5
	v_lshrrev_b32_e32 v16, 16, v8
	;; [unrolled: 1-line block ×4, first 2 shown]
	v_cndmask_b32_e32 v17, v1, v9, vcc_lo
	v_cndmask_b32_e32 v18, v5, v13, vcc_lo
	v_cmp_eq_u32_e32 vcc_lo, 1, v76
	v_cndmask_b32_e64 v19, v1, v9, s3
	v_cndmask_b32_e64 v20, v5, v13, s3
	v_cmp_eq_u32_e64 s3, 2, v76
	v_lshrrev_b32_e32 v11, 16, v3
	v_cndmask_b32_e32 v21, v1, v9, vcc_lo
	v_cndmask_b32_e32 v22, v5, v13, vcc_lo
	v_cndmask_b32_e64 v1, v1, v9, s4
	v_cmp_eq_u32_e32 vcc_lo, 2, v77
	v_cndmask_b32_e64 v5, v5, v13, s4
	v_cmp_eq_u32_e64 s4, 2, v78
	v_cndmask_b32_e64 v9, v17, v2, s5
	v_cndmask_b32_e64 v13, v18, v6, s5
	v_cmp_eq_u32_e64 s5, 3, v78
	v_cndmask_b32_e32 v1, v1, v2, vcc_lo
	v_cndmask_b32_e64 v17, v19, v2, s4
	v_cndmask_b32_e64 v18, v20, v6, s4
	;; [unrolled: 1-line block ×4, first 2 shown]
	v_cndmask_b32_e32 v2, v5, v6, vcc_lo
	v_cmp_eq_u32_e32 vcc_lo, 3, v76
	v_cmp_eq_u32_e64 s4, 3, v77
	v_cndmask_b32_e64 v5, v9, v10, s6
	v_cndmask_b32_e64 v6, v13, v14, s6
	v_cndmask_b32_e64 v9, v17, v10, s5
	v_cndmask_b32_e64 v13, v18, v14, s5
	v_cndmask_b32_e32 v17, v19, v10, vcc_lo
	v_cmp_eq_u32_e64 s3, 4, v76
	v_cndmask_b32_e32 v18, v20, v14, vcc_lo
	v_cndmask_b32_e64 v1, v1, v10, s4
	v_cmp_eq_u32_e32 vcc_lo, 4, v77
	v_cmp_eq_u32_e64 s5, 4, v75
	v_cndmask_b32_e64 v2, v2, v14, s4
	v_cmp_eq_u32_e64 s4, 4, v78
	v_lshrrev_b32_e32 v15, 16, v7
	v_cmp_eq_u32_e64 s6, 5, v75
	v_cndmask_b32_e64 v5, v5, v3, s5
	v_cndmask_b32_e64 v6, v6, v7, s5
	;; [unrolled: 1-line block ×3, first 2 shown]
	v_cmp_eq_u32_e64 s5, 5, v78
	v_cndmask_b32_e64 v10, v13, v7, s4
	v_cndmask_b32_e64 v13, v17, v3, s3
	;; [unrolled: 1-line block ×3, first 2 shown]
	v_cmp_eq_u32_e64 s4, 5, v76
	v_cndmask_b32_e32 v1, v1, v3, vcc_lo
	v_cndmask_b32_e32 v2, v2, v7, vcc_lo
	v_cmp_eq_u32_e32 vcc_lo, 5, v77
	v_cndmask_b32_e64 v5, v5, v11, s6
	v_cmp_eq_u32_e64 s3, 6, v75
	v_cndmask_b32_e64 v6, v6, v15, s6
	v_cndmask_b32_e64 v9, v9, v11, s5
	;; [unrolled: 1-line block ×4, first 2 shown]
	v_cmp_eq_u32_e64 s5, 6, v78
	v_cndmask_b32_e64 v3, v14, v15, s4
	v_cndmask_b32_e32 v1, v1, v11, vcc_lo
	v_cmp_eq_u32_e64 s4, 6, v77
	v_cndmask_b32_e32 v2, v2, v15, vcc_lo
	v_lshrrev_b32_e32 v12, 16, v4
	v_cndmask_b32_e64 v5, v5, v4, s3
	v_cndmask_b32_e64 v9, v9, v4, s5
	;; [unrolled: 1-line block ×3, first 2 shown]
	v_cmp_eq_u32_e64 s3, 7, v75
	v_cmp_eq_u32_e64 s6, 7, v78
	v_cndmask_b32_e64 v7, v13, v4, s7
	v_cndmask_b32_e64 v3, v3, v8, s7
	;; [unrolled: 1-line block ×3, first 2 shown]
	v_cmp_eq_u32_e32 vcc_lo, 7, v77
	v_cndmask_b32_e64 v2, v2, v8, s4
	v_cmp_eq_u32_e64 s4, 7, v76
	v_cndmask_b32_e64 v4, v10, v8, s5
	v_cndmask_b32_e64 v5, v5, v12, s3
	;; [unrolled: 1-line block ×3, first 2 shown]
	v_cndmask_b32_e32 v2, v2, v16, vcc_lo
	v_cndmask_b32_e64 v7, v7, v12, s4
	v_cndmask_b32_e32 v1, v1, v12, vcc_lo
	v_cndmask_b32_e64 v3, v3, v16, s4
	v_cndmask_b32_e64 v8, v4, v16, s6
	;; [unrolled: 1-line block ×3, first 2 shown]
	v_cmp_gt_u32_e32 vcc_lo, 32, v0
	v_perm_b32 v4, v2, v1, 0x5040100
	v_perm_b32 v3, v3, v7, 0x5040100
	;; [unrolled: 1-line block ×4, first 2 shown]
	s_and_b32 s2, vcc_lo, s2
	ds_store_b128 v80, v[1:4]
	s_waitcnt lgkmcnt(0)
	s_barrier
	buffer_gl0_inv
	s_and_saveexec_b32 s3, s2
	s_cbranch_execz .LBB1086_2
; %bb.14:
	s_load_b64 s[0:1], s[0:1], 0x68
	v_lshlrev_b32_e32 v1, 10, v0
	v_and_b32_e32 v0, 1, v0
	v_lshlrev_b32_e32 v2, 6, v74
	s_lshl_b32 s4, s36, 7
	s_delay_alu instid0(VALU_DEP_3) | instskip(NEXT) | instid1(VALU_DEP_3)
	v_and_b32_e32 v1, 0x3800, v1
	v_lshlrev_b32_e32 v0, 4, v0
	s_mul_i32 s2, s4, s34
	s_delay_alu instid0(SALU_CYCLE_1) | instskip(NEXT) | instid1(VALU_DEP_1)
	s_mul_i32 s2, s2, s37
	v_or3_b32 v0, v1, v2, v0
	s_ashr_i32 s3, s2, 31
	s_delay_alu instid0(SALU_CYCLE_1)
	s_lshl_b64 s[2:3], s[2:3], 1
	ds_load_b128 v[0:3], v0
	s_waitcnt lgkmcnt(0)
	s_add_u32 s5, s0, s2
	s_addc_u32 s3, s1, s3
	s_lshl_b32 s0, s14, 7
	s_mul_i32 s2, s4, s15
	s_ashr_i32 s1, s0, 31
	s_delay_alu instid0(SALU_CYCLE_1) | instskip(NEXT) | instid1(SALU_CYCLE_1)
	s_lshl_b64 s[0:1], s[0:1], 1
	s_add_u32 s4, s5, s0
	s_addc_u32 s5, s3, s1
	s_ashr_i32 s3, s2, 31
	s_delay_alu instid0(SALU_CYCLE_1) | instskip(NEXT) | instid1(SALU_CYCLE_1)
	s_lshl_b64 s[0:1], s[2:3], 1
	s_add_u32 s0, s4, s0
	s_addc_u32 s1, s5, s1
	global_store_b128 v73, v[0:3], s[0:1]
	s_nop 0
	s_sendmsg sendmsg(MSG_DEALLOC_VGPRS)
	s_endpgm
	.section	.rodata,"a",@progbits
	.p2align	6, 0x0
	.amdhsa_kernel _Z39paged_attention_ll4mi_QKV_mfma16_kernelIDF16_hLN4vllm18Fp8KVCacheDataTypeE1EDF16_Li32ELi128ELi256ELb0ELi1EL8MFMAType1EEvPKT_PKT0_S8_ifPKiSA_SA_iPKfiiiPfSD_PS3_PT2_iSC_SC_
		.amdhsa_group_segment_fixed_size 17472
		.amdhsa_private_segment_fixed_size 0
		.amdhsa_kernarg_size 400
		.amdhsa_user_sgpr_count 13
		.amdhsa_user_sgpr_dispatch_ptr 0
		.amdhsa_user_sgpr_queue_ptr 0
		.amdhsa_user_sgpr_kernarg_segment_ptr 1
		.amdhsa_user_sgpr_dispatch_id 0
		.amdhsa_user_sgpr_private_segment_size 0
		.amdhsa_wavefront_size32 1
		.amdhsa_uses_dynamic_stack 0
		.amdhsa_enable_private_segment 0
		.amdhsa_system_sgpr_workgroup_id_x 1
		.amdhsa_system_sgpr_workgroup_id_y 1
		.amdhsa_system_sgpr_workgroup_id_z 1
		.amdhsa_system_sgpr_workgroup_info 0
		.amdhsa_system_vgpr_workitem_id 0
		.amdhsa_next_free_vgpr 134
		.amdhsa_next_free_sgpr 68
		.amdhsa_reserve_vcc 1
		.amdhsa_float_round_mode_32 0
		.amdhsa_float_round_mode_16_64 0
		.amdhsa_float_denorm_mode_32 3
		.amdhsa_float_denorm_mode_16_64 3
		.amdhsa_dx10_clamp 1
		.amdhsa_ieee_mode 1
		.amdhsa_fp16_overflow 0
		.amdhsa_workgroup_processor_mode 1
		.amdhsa_memory_ordered 1
		.amdhsa_forward_progress 0
		.amdhsa_shared_vgpr_count 0
		.amdhsa_exception_fp_ieee_invalid_op 0
		.amdhsa_exception_fp_denorm_src 0
		.amdhsa_exception_fp_ieee_div_zero 0
		.amdhsa_exception_fp_ieee_overflow 0
		.amdhsa_exception_fp_ieee_underflow 0
		.amdhsa_exception_fp_ieee_inexact 0
		.amdhsa_exception_int_div_zero 0
	.end_amdhsa_kernel
	.section	.text._Z39paged_attention_ll4mi_QKV_mfma16_kernelIDF16_hLN4vllm18Fp8KVCacheDataTypeE1EDF16_Li32ELi128ELi256ELb0ELi1EL8MFMAType1EEvPKT_PKT0_S8_ifPKiSA_SA_iPKfiiiPfSD_PS3_PT2_iSC_SC_,"axG",@progbits,_Z39paged_attention_ll4mi_QKV_mfma16_kernelIDF16_hLN4vllm18Fp8KVCacheDataTypeE1EDF16_Li32ELi128ELi256ELb0ELi1EL8MFMAType1EEvPKT_PKT0_S8_ifPKiSA_SA_iPKfiiiPfSD_PS3_PT2_iSC_SC_,comdat
.Lfunc_end1086:
	.size	_Z39paged_attention_ll4mi_QKV_mfma16_kernelIDF16_hLN4vllm18Fp8KVCacheDataTypeE1EDF16_Li32ELi128ELi256ELb0ELi1EL8MFMAType1EEvPKT_PKT0_S8_ifPKiSA_SA_iPKfiiiPfSD_PS3_PT2_iSC_SC_, .Lfunc_end1086-_Z39paged_attention_ll4mi_QKV_mfma16_kernelIDF16_hLN4vllm18Fp8KVCacheDataTypeE1EDF16_Li32ELi128ELi256ELb0ELi1EL8MFMAType1EEvPKT_PKT0_S8_ifPKiSA_SA_iPKfiiiPfSD_PS3_PT2_iSC_SC_
                                        ; -- End function
	.section	.AMDGPU.csdata,"",@progbits
; Kernel info:
; codeLenInByte = 6404
; NumSgprs: 70
; NumVgprs: 134
; ScratchSize: 0
; MemoryBound: 1
; FloatMode: 240
; IeeeMode: 1
; LDSByteSize: 17472 bytes/workgroup (compile time only)
; SGPRBlocks: 8
; VGPRBlocks: 16
; NumSGPRsForWavesPerEU: 70
; NumVGPRsForWavesPerEU: 134
; Occupancy: 10
; WaveLimiterHint : 1
; COMPUTE_PGM_RSRC2:SCRATCH_EN: 0
; COMPUTE_PGM_RSRC2:USER_SGPR: 13
; COMPUTE_PGM_RSRC2:TRAP_HANDLER: 0
; COMPUTE_PGM_RSRC2:TGID_X_EN: 1
; COMPUTE_PGM_RSRC2:TGID_Y_EN: 1
; COMPUTE_PGM_RSRC2:TGID_Z_EN: 1
; COMPUTE_PGM_RSRC2:TIDIG_COMP_CNT: 0
	.section	.text._Z39paged_attention_ll4mi_QKV_mfma16_kernelIDF16_hLN4vllm18Fp8KVCacheDataTypeE1EDF16_Li32ELi128ELi256ELb0ELi2EL8MFMAType1EEvPKT_PKT0_S8_ifPKiSA_SA_iPKfiiiPfSD_PS3_PT2_iSC_SC_,"axG",@progbits,_Z39paged_attention_ll4mi_QKV_mfma16_kernelIDF16_hLN4vllm18Fp8KVCacheDataTypeE1EDF16_Li32ELi128ELi256ELb0ELi2EL8MFMAType1EEvPKT_PKT0_S8_ifPKiSA_SA_iPKfiiiPfSD_PS3_PT2_iSC_SC_,comdat
	.protected	_Z39paged_attention_ll4mi_QKV_mfma16_kernelIDF16_hLN4vllm18Fp8KVCacheDataTypeE1EDF16_Li32ELi128ELi256ELb0ELi2EL8MFMAType1EEvPKT_PKT0_S8_ifPKiSA_SA_iPKfiiiPfSD_PS3_PT2_iSC_SC_ ; -- Begin function _Z39paged_attention_ll4mi_QKV_mfma16_kernelIDF16_hLN4vllm18Fp8KVCacheDataTypeE1EDF16_Li32ELi128ELi256ELb0ELi2EL8MFMAType1EEvPKT_PKT0_S8_ifPKiSA_SA_iPKfiiiPfSD_PS3_PT2_iSC_SC_
	.globl	_Z39paged_attention_ll4mi_QKV_mfma16_kernelIDF16_hLN4vllm18Fp8KVCacheDataTypeE1EDF16_Li32ELi128ELi256ELb0ELi2EL8MFMAType1EEvPKT_PKT0_S8_ifPKiSA_SA_iPKfiiiPfSD_PS3_PT2_iSC_SC_
	.p2align	8
	.type	_Z39paged_attention_ll4mi_QKV_mfma16_kernelIDF16_hLN4vllm18Fp8KVCacheDataTypeE1EDF16_Li32ELi128ELi256ELb0ELi2EL8MFMAType1EEvPKT_PKT0_S8_ifPKiSA_SA_iPKfiiiPfSD_PS3_PT2_iSC_SC_,@function
_Z39paged_attention_ll4mi_QKV_mfma16_kernelIDF16_hLN4vllm18Fp8KVCacheDataTypeE1EDF16_Li32ELi128ELi256ELb0ELi2EL8MFMAType1EEvPKT_PKT0_S8_ifPKiSA_SA_iPKfiiiPfSD_PS3_PT2_iSC_SC_: ; @_Z39paged_attention_ll4mi_QKV_mfma16_kernelIDF16_hLN4vllm18Fp8KVCacheDataTypeE1EDF16_Li32ELi128ELi256ELb0ELi2EL8MFMAType1EEvPKT_PKT0_S8_ifPKiSA_SA_iPKfiiiPfSD_PS3_PT2_iSC_SC_
; %bb.0:
	s_load_b64 s[2:3], s[0:1], 0x30
	s_mov_b32 s34, s13
	s_waitcnt lgkmcnt(0)
	s_cmp_lg_u64 s[2:3], 0
	s_cselect_b32 s8, -1, 0
	s_ashr_i32 s35, s13, 31
	s_cmp_eq_u64 s[2:3], 0
	s_cbranch_scc1 .LBB1087_3
; %bb.1:
	s_lshl_b64 s[4:5], s[34:35], 2
	s_delay_alu instid0(SALU_CYCLE_1) | instskip(SKIP_4) | instid1(SALU_CYCLE_1)
	s_add_u32 s4, s2, s4
	s_addc_u32 s5, s3, s5
	s_load_b64 s[4:5], s[4:5], 0x0
	s_waitcnt lgkmcnt(0)
	s_sub_i32 s4, s5, s4
	s_cmp_eq_u32 s4, 1
	s_cselect_b32 s4, -1, 0
	s_delay_alu instid0(SALU_CYCLE_1)
	s_and_not1_b32 vcc_lo, exec_lo, s4
	s_cbranch_vccz .LBB1087_4
.LBB1087_2:
	s_endpgm
.LBB1087_3:
.LBB1087_4:
	s_load_b64 s[4:5], s[0:1], 0x28
	s_lshl_b64 s[6:7], s[34:35], 2
	s_waitcnt lgkmcnt(0)
	s_add_u32 s4, s4, s6
	s_addc_u32 s5, s5, s7
	s_lshl_b32 s12, s14, 8
	s_load_b32 s24, s[4:5], 0x0
	s_waitcnt lgkmcnt(0)
	s_cmp_ge_i32 s12, s24
	s_cbranch_scc1 .LBB1087_2
; %bb.5:
	s_clause 0x1
	s_load_b128 s[20:23], s[0:1], 0x8
	s_load_b64 s[4:5], s[0:1], 0x20
	s_and_not1_b32 vcc_lo, exec_lo, s8
	s_cbranch_vccnz .LBB1087_7
; %bb.6:
	s_add_u32 s2, s2, s6
	s_addc_u32 s3, s3, s7
	s_load_b32 s3, s[2:3], 0x0
	s_branch .LBB1087_8
.LBB1087_7:
	s_mov_b32 s3, s34
.LBB1087_8:
	s_load_b128 s[16:19], s[0:1], 0x48
	v_and_b32_e32 v70, 15, v0
	v_bfe_u32 v69, v0, 4, 1
	s_lshl_b32 s31, s15, 1
	v_and_b32_e32 v71, 31, v0
	v_and_b32_e32 v68, 1, v0
	v_lshlrev_b32_e32 v1, 3, v70
	v_cmp_gt_u32_e64 s2, 32, v0
	v_or_b32_e32 v67, s31, v69
	v_lshlrev_b32_e32 v66, 6, v69
	s_delay_alu instid0(VALU_DEP_4) | instskip(NEXT) | instid1(VALU_DEP_4)
	v_lshlrev_b32_e32 v65, 1, v1
	s_and_saveexec_b32 s6, s2
	s_cbranch_execz .LBB1087_10
; %bb.9:
	s_load_b64 s[8:9], s[0:1], 0x0
	v_lshlrev_b32_e32 v1, 7, v67
	s_waitcnt lgkmcnt(0)
	s_mul_hi_i32 s11, s3, s16
	s_mul_i32 s10, s3, s16
	v_lshlrev_b32_e32 v5, 10, v70
	s_lshl_b64 s[10:11], s[10:11], 1
	v_ashrrev_i32_e32 v2, 31, v1
	v_lshlrev_b32_e32 v6, 10, v68
	s_delay_alu instid0(VALU_DEP_3) | instskip(NEXT) | instid1(VALU_DEP_3)
	v_and_b32_e32 v5, 0x3800, v5
	v_lshlrev_b64 v[1:2], 1, v[1:2]
	s_delay_alu instid0(VALU_DEP_2) | instskip(SKIP_2) | instid1(VALU_DEP_2)
	v_or3_b32 v5, v5, v6, v66
	s_add_u32 s3, s8, s10
	s_addc_u32 s7, s9, s11
	v_add_co_u32 v1, vcc_lo, s3, v1
	s_delay_alu instid0(VALU_DEP_3) | instskip(NEXT) | instid1(VALU_DEP_2)
	v_add_co_ci_u32_e32 v2, vcc_lo, s7, v2, vcc_lo
	v_add_co_u32 v1, vcc_lo, v1, v65
	s_delay_alu instid0(VALU_DEP_2)
	v_add_co_ci_u32_e32 v2, vcc_lo, 0, v2, vcc_lo
	global_load_b128 v[1:4], v[1:2], off
	s_waitcnt vmcnt(0)
	ds_store_b128 v5, v[1:4]
.LBB1087_10:
	s_or_b32 exec_lo, exec_lo, s6
	v_and_b32_e32 v1, 0xef, v0
	s_waitcnt lgkmcnt(0)
	s_add_i32 s3, s24, 31
	s_clause 0x1
	s_load_b32 s6, s[0:1], 0x38
	s_load_b32 s33, s[0:1], 0x98
	s_ashr_i32 s7, s3, 31
	v_add_nc_u32_e32 v1, s12, v1
	s_lshr_b32 s7, s7, 27
	s_load_b32 s19, s[0:1], 0x1c
	s_add_i32 s3, s3, s7
	s_waitcnt lgkmcnt(0)
	v_ashrrev_i32_e32 v2, 31, v1
	v_or_b32_e32 v3, 16, v1
	s_ashr_i32 s3, s3, 5
	v_cmp_gt_i32_e32 vcc_lo, s24, v1
	s_add_i32 s3, s3, -1
	v_lshrrev_b32_e32 v2, 27, v2
	s_barrier
	buffer_gl0_inv
	s_mul_i32 s35, s15, s18
	v_lshrrev_b32_e32 v72, 5, v0
	v_add_nc_u32_e32 v4, v1, v2
	s_mul_i32 s6, s34, s6
	s_delay_alu instid0(SALU_CYCLE_1) | instskip(NEXT) | instid1(VALU_DEP_1)
	s_ashr_i32 s7, s6, 31
	v_ashrrev_i32_e32 v4, 5, v4
	v_add_nc_u32_e32 v2, v3, v2
	s_lshl_b64 s[6:7], s[6:7], 2
	s_delay_alu instid0(SALU_CYCLE_1) | instskip(NEXT) | instid1(VALU_DEP_2)
	s_add_u32 s25, s4, s6
	v_cndmask_b32_e32 v1, s3, v4, vcc_lo
	s_delay_alu instid0(VALU_DEP_2)
	v_ashrrev_i32_e32 v2, 5, v2
	v_cmp_gt_i32_e32 vcc_lo, s24, v3
	s_addc_u32 s30, s5, s7
	s_ashr_i32 s38, s35, 31
	s_add_u32 s4, s20, s35
	s_addc_u32 s5, s21, s38
	v_cndmask_b32_e32 v3, s3, v2, vcc_lo
	v_ashrrev_i32_e32 v2, 31, v1
	s_lshl_b32 s6, s14, 3
	s_delay_alu instid0(SALU_CYCLE_1) | instskip(NEXT) | instid1(VALU_DEP_2)
	s_ashr_i32 s7, s6, 31
	v_ashrrev_i32_e32 v4, 31, v3
	s_delay_alu instid0(VALU_DEP_2) | instskip(SKIP_1) | instid1(SALU_CYCLE_1)
	v_lshlrev_b64 v[1:2], 2, v[1:2]
	s_lshl_b64 s[6:7], s[6:7], 2
	s_add_u32 s6, s25, s6
	s_delay_alu instid0(VALU_DEP_2) | instskip(SKIP_1) | instid1(VALU_DEP_2)
	v_lshlrev_b64 v[3:4], 2, v[3:4]
	s_addc_u32 s7, s30, s7
	v_add_co_u32 v1, vcc_lo, s25, v1
	v_add_co_ci_u32_e32 v2, vcc_lo, s30, v2, vcc_lo
	s_delay_alu instid0(VALU_DEP_3) | instskip(NEXT) | instid1(VALU_DEP_4)
	v_add_co_u32 v3, vcc_lo, s25, v3
	v_add_co_ci_u32_e32 v4, vcc_lo, s30, v4, vcc_lo
	s_clause 0x1
	global_load_b32 v5, v[1:2], off
	global_load_b32 v6, v[3:4], off
	s_or_b32 s8, s12, 32
	s_delay_alu instid0(SALU_CYCLE_1) | instskip(SKIP_2) | instid1(SALU_CYCLE_1)
	s_ashr_i32 s9, s8, 5
	s_cmp_lt_i32 s8, s24
	s_cselect_b32 s8, s9, s3
	s_ashr_i32 s9, s8, 31
	s_delay_alu instid0(SALU_CYCLE_1) | instskip(NEXT) | instid1(SALU_CYCLE_1)
	s_lshl_b64 s[8:9], s[8:9], 2
	s_add_u32 s8, s25, s8
	s_addc_u32 s9, s30, s9
	s_or_b32 s10, s12, 64
	s_delay_alu instid0(SALU_CYCLE_1) | instskip(SKIP_2) | instid1(SALU_CYCLE_1)
	s_ashr_i32 s11, s10, 5
	s_cmp_lt_i32 s10, s24
	s_cselect_b32 s10, s11, s3
	s_ashr_i32 s11, s10, 31
	s_delay_alu instid0(SALU_CYCLE_1) | instskip(NEXT) | instid1(SALU_CYCLE_1)
	s_lshl_b64 s[10:11], s[10:11], 2
	s_add_u32 s10, s25, s10
	s_addc_u32 s11, s30, s11
	;; [unrolled: 10-line block ×5, first 2 shown]
	s_clause 0x5
	s_load_b32 s21, s[6:7], 0x0
	s_load_b32 s13, s[8:9], 0x0
	;; [unrolled: 1-line block ×6, first 2 shown]
	s_or_b32 s7, s12, 0xc0
	s_delay_alu instid0(SALU_CYCLE_1) | instskip(SKIP_2) | instid1(SALU_CYCLE_1)
	s_ashr_i32 s8, s7, 5
	s_cmp_lt_i32 s7, s24
	s_cselect_b32 s10, s8, s3
	s_ashr_i32 s11, s10, 31
	s_delay_alu instid0(SALU_CYCLE_1) | instskip(NEXT) | instid1(SALU_CYCLE_1)
	s_lshl_b64 s[26:27], s[10:11], 2
	s_add_u32 s26, s25, s26
	s_addc_u32 s27, s30, s27
	s_or_b32 s28, s12, 0xe0
	s_delay_alu instid0(SALU_CYCLE_1)
	s_ashr_i32 s29, s28, 5
	s_cmp_lt_i32 s28, s24
	s_waitcnt vmcnt(1)
	v_mad_i64_i32 v[1:2], null, v5, s17, s[4:5]
	s_waitcnt vmcnt(0)
	v_mad_i64_i32 v[3:4], null, v6, s17, s[4:5]
	s_mov_b32 s4, 0
	s_delay_alu instid0(SALU_CYCLE_1)
	s_mov_b32 s5, s4
	s_mov_b32 s6, s4
	;; [unrolled: 1-line block ×7, first 2 shown]
	s_delay_alu instid0(SALU_CYCLE_1) | instskip(SKIP_2) | instid1(VALU_DEP_3)
	v_dual_mov_b32 v120, s11 :: v_dual_lshlrev_b32 v5, 4, v70
	v_dual_mov_b32 v116, s7 :: v_dual_lshlrev_b32 v145, 6, v68
	v_mov_b32_e32 v114, s5
	v_add_co_u32 v1, vcc_lo, v1, v5
	v_add_co_ci_u32_e32 v2, vcc_lo, 0, v2, vcc_lo
	v_add_co_u32 v3, vcc_lo, v3, v5
	v_add_co_ci_u32_e32 v4, vcc_lo, 0, v4, vcc_lo
	s_clause 0xf
	global_load_b128 v[9:12], v[1:2], off
	global_load_b128 v[13:16], v[1:2], off offset:512
	global_load_b128 v[17:20], v[3:4], off offset:256
	;; [unrolled: 1-line block ×15, first 2 shown]
	v_dual_mov_b32 v119, s10 :: v_dual_mov_b32 v118, s9
	v_mov_b32_e32 v117, s8
	v_mov_b32_e32 v115, s6
	;; [unrolled: 1-line block ×3, first 2 shown]
	s_cselect_b32 s4, s29, s3
	v_lshlrev_b32_e32 v1, 5, v70
	s_ashr_i32 s5, s4, 31
	ds_load_b128 v[25:28], v145
	ds_load_b128 v[29:32], v145 offset:1024
	s_lshl_b64 s[4:5], s[4:5], 2
	s_load_b32 s3, s[26:27], 0x0
	s_add_u32 s4, s25, s4
	s_addc_u32 s5, s30, s5
	ds_load_b128 v[121:124], v145 offset:2048
	ds_load_b128 v[125:128], v145 offset:3072
	s_load_b32 s4, s[4:5], 0x0
	v_lshl_or_b32 v1, v72, 9, v1
	s_add_u32 s6, s22, s35
	s_addc_u32 s7, s23, s38
	s_delay_alu instid0(VALU_DEP_1) | instskip(NEXT) | instid1(VALU_DEP_1)
	v_add_co_u32 v129, s6, s6, v1
	v_add_co_ci_u32_e64 v130, null, s7, 0, s6
	s_waitcnt lgkmcnt(0)
	s_delay_alu instid0(VALU_DEP_1)
	v_mad_i64_i32 v[1:2], null, s21, s17, v[129:130]
	v_mad_i64_i32 v[3:4], null, s13, s17, v[129:130]
	;; [unrolled: 1-line block ×8, first 2 shown]
	s_clause 0x7
	global_load_b128 v[49:52], v[1:2], off
	global_load_b128 v[53:56], v[1:2], off offset:16
	global_load_b128 v[41:44], v[3:4], off
	global_load_b128 v[45:48], v[3:4], off offset:16
	;; [unrolled: 2-line block ×4, first 2 shown]
	s_waitcnt vmcnt(22)
	v_wmma_f32_16x16x16_f16 v[129:136], v[9:16], v[25:32], v[113:120]
	s_waitcnt vmcnt(20)
	v_wmma_f32_16x16x16_f16 v[113:120], v[17:24], v[25:32], v[113:120]
	s_clause 0x5
	global_load_b128 v[9:12], v[137:138], off
	global_load_b128 v[13:16], v[137:138], off offset:16
	global_load_b128 v[17:20], v[139:140], off
	global_load_b128 v[21:24], v[139:140], off offset:16
	;; [unrolled: 2-line block ×3, first 2 shown]
	v_mbcnt_lo_u32_b32 v137, -1, 0
	s_waitcnt vmcnt(24)
	v_wmma_f32_16x16x16_f16 v[129:136], v[57:64], v[121:128], v[129:136]
	s_clause 0x1
	global_load_b128 v[57:60], v[143:144], off
	global_load_b128 v[61:64], v[143:144], off offset:16
	s_waitcnt vmcnt(24)
	v_wmma_f32_16x16x16_f16 v[113:120], v[73:80], v[121:128], v[113:120]
	ds_load_b128 v[73:76], v145 offset:4096
	ds_load_b128 v[77:80], v145 offset:5120
	v_and_b32_e32 v121, 0xe0, v0
	v_xor_b32_e32 v139, 16, v137
	s_delay_alu instid0(VALU_DEP_2)
	v_add_nc_u32_e32 v138, s12, v121
	ds_load_b128 v[121:124], v145 offset:6144
	ds_load_b128 v[125:128], v145 offset:7168
	v_cmp_gt_i32_e32 vcc_lo, 32, v139
	s_waitcnt vmcnt(0) lgkmcnt(0)
	s_barrier
	v_or_b32_e32 v138, v138, v69
	buffer_gl0_inv
	v_or_b32_e32 v140, 4, v138
	v_or_b32_e32 v141, 6, v138
	v_or_b32_e32 v142, 8, v138
	v_wmma_f32_16x16x16_f16 v[129:136], v[81:88], v[73:80], v[129:136]
	v_wmma_f32_16x16x16_f16 v[113:120], v[89:96], v[73:80], v[113:120]
	v_or_b32_e32 v81, 10, v138
	v_cmp_gt_i32_e64 s4, s24, v140
	v_cmp_gt_i32_e64 s5, s24, v141
	v_or_b32_e32 v82, 12, v138
	v_or_b32_e32 v83, 14, v138
	v_wmma_f32_16x16x16_f16 v[129:136], v[97:104], v[121:128], v[129:136]
	v_wmma_f32_16x16x16_f16 v[113:120], v[105:112], v[121:128], v[113:120]
	v_cndmask_b32_e32 v137, v137, v139, vcc_lo
	v_or_b32_e32 v139, 2, v138
	v_cmp_gt_i32_e32 vcc_lo, s24, v138
	v_mul_f32_e32 v90, s19, v130
	v_dual_mul_f32 v92, s19, v120 :: v_dual_mul_f32 v91, s19, v129
	s_delay_alu instid0(VALU_DEP_4) | instskip(SKIP_2) | instid1(VALU_DEP_4)
	v_cmp_gt_i32_e64 s3, s24, v139
	v_dual_mul_f32 v80, s19, v132 :: v_dual_mul_f32 v89, s19, v131
	v_mul_f32_e32 v98, s19, v114
	v_cndmask_b32_e32 v91, 0xff7fffff, v91, vcc_lo
	s_delay_alu instid0(VALU_DEP_4)
	v_cndmask_b32_e64 v90, 0xff7fffff, v90, s3
	v_dual_mul_f32 v78, s19, v134 :: v_dual_mul_f32 v79, s19, v133
	v_mul_f32_e32 v96, s19, v116
	v_cndmask_b32_e64 v89, 0xff7fffff, v89, s4
	v_cndmask_b32_e64 v80, 0xff7fffff, v80, s5
	v_max3_f32 v90, v91, 0xff7fffff, v90
	v_cmp_gt_i32_e64 s6, s24, v142
	v_cmp_gt_i32_e64 s7, s24, v81
	v_or_b32_e32 v84, 16, v138
	v_or_b32_e32 v85, 18, v138
	v_dual_mul_f32 v76, s19, v136 :: v_dual_mul_f32 v77, s19, v135
	v_mul_f32_e32 v94, s19, v118
	v_cndmask_b32_e64 v79, 0xff7fffff, v79, s6
	v_cndmask_b32_e64 v78, 0xff7fffff, v78, s7
	v_max3_f32 v80, v90, v89, v80
	v_cmp_gt_i32_e64 s8, s24, v82
	v_cmp_gt_i32_e64 s9, s24, v83
	v_or_b32_e32 v86, 20, v138
	v_or_b32_e32 v87, 22, v138
	v_mul_f32_e32 v99, s19, v113
	v_cndmask_b32_e64 v77, 0xff7fffff, v77, s8
	v_cndmask_b32_e64 v76, 0xff7fffff, v76, s9
	v_max3_f32 v78, v80, v79, v78
	v_cmp_gt_i32_e64 s10, s24, v84
	v_cmp_gt_i32_e64 s11, s24, v85
	v_or_b32_e32 v88, 24, v138
	v_or_b32_e32 v73, 26, v138
	;; [unrolled: 8-line block ×3, first 2 shown]
	v_mul_f32_e32 v95, s19, v117
	v_cndmask_b32_e64 v77, 0xff7fffff, v97, s12
	v_cndmask_b32_e64 v78, 0xff7fffff, v96, s13
	v_max3_f32 v76, v76, v79, v80
	v_cmp_gt_i32_e64 s15, s24, v88
	v_cmp_gt_i32_e64 s16, s24, v73
	v_mul_f32_e32 v93, s19, v119
	v_cmp_gt_i32_e64 s17, s24, v74
	v_max3_f32 v76, v76, v77, v78
	v_cndmask_b32_e64 v79, 0xff7fffff, v95, s15
	v_cndmask_b32_e64 v73, 0xff7fffff, v94, s16
	v_cmp_gt_i32_e64 s18, s24, v75
	v_cndmask_b32_e64 v74, 0xff7fffff, v93, s17
	s_delay_alu instid0(VALU_DEP_3) | instskip(NEXT) | instid1(VALU_DEP_3)
	v_max3_f32 v73, v76, v79, v73
	v_cndmask_b32_e64 v75, 0xff7fffff, v92, s18
	v_lshlrev_b32_e32 v76, 2, v137
	s_delay_alu instid0(VALU_DEP_2) | instskip(SKIP_3) | instid1(VALU_DEP_1)
	v_max3_f32 v73, v73, v74, v75
	ds_bpermute_b32 v74, v76, v73
	s_waitcnt lgkmcnt(0)
	v_max_f32_e32 v74, v74, v74
	v_max_f32_e32 v73, v73, v74
	s_delay_alu instid0(VALU_DEP_1)
	v_fma_f32 v78, s19, v132, -v73
	v_fma_f32 v74, s19, v129, -v73
	;; [unrolled: 1-line block ×5, first 2 shown]
	v_mul_f32_e32 v78, 0x3fb8aa3b, v78
	v_mul_f32_e32 v74, 0x3fb8aa3b, v74
	s_delay_alu instid0(VALU_DEP_4) | instskip(SKIP_1) | instid1(VALU_DEP_4)
	v_dual_mul_f32 v80, 0x3fb8aa3b, v80 :: v_dual_mul_f32 v83, 0x3fb8aa3b, v83
	v_fma_f32 v77, s19, v131, -v73
	v_exp_f32_e32 v82, v78
	s_delay_alu instid0(VALU_DEP_3) | instskip(NEXT) | instid1(VALU_DEP_2)
	v_exp_f32_e32 v74, v74
	v_exp_f32_e32 v84, v80
	;; [unrolled: 1-line block ×3, first 2 shown]
	v_mul_f32_e32 v77, 0x3fb8aa3b, v77
	s_delay_alu instid0(VALU_DEP_1)
	v_exp_f32_e32 v77, v77
	v_cndmask_b32_e64 v80, 0, v82, s5
	v_fma_f32 v82, s19, v113, -v73
	v_mul_f32_e32 v75, 0x3fb8aa3b, v75
	s_waitcnt_depctr 0xfff
	v_cndmask_b32_e64 v85, 0, v85, s8
	v_cndmask_b32_e32 v79, 0, v74, vcc_lo
	v_fma_f32 v74, s19, v134, -v73
	v_mul_f32_e32 v86, 0x3fb8aa3b, v82
	v_exp_f32_e32 v75, v75
	v_cndmask_b32_e64 v83, 0, v84, s6
	v_cndmask_b32_e64 v81, 0, v77, s4
	v_mul_f32_e32 v74, 0x3fb8aa3b, v74
	v_exp_f32_e32 v86, v86
	s_delay_alu instid0(VALU_DEP_1) | instskip(NEXT) | instid1(TRANS32_DEP_3)
	v_exp_f32_e32 v74, v74
	v_cndmask_b32_e64 v78, 0, v75, s3
	v_add_f32_e32 v75, 0, v79
	s_mov_b32 s3, exec_lo
	s_delay_alu instid0(VALU_DEP_1) | instskip(SKIP_3) | instid1(VALU_DEP_1)
	v_add_f32_e32 v75, v75, v78
	s_waitcnt_depctr 0xfff
	v_cndmask_b32_e64 v82, 0, v74, s7
	v_add_f32_e32 v75, v75, v81
	v_add_f32_e32 v75, v75, v80
	s_delay_alu instid0(VALU_DEP_1)
	v_add_f32_e32 v74, v75, v83
	v_fma_f32 v90, s19, v118, -v73
	v_fma_f32 v84, s19, v114, -v73
	v_fma_f32 v75, s19, v115, -v73
	v_fma_f32 v87, s19, v116, -v73
	v_fma_f32 v77, s19, v136, -v73
	v_mul_f32_e32 v90, 0x3fb8aa3b, v90
	v_mul_f32_e32 v84, 0x3fb8aa3b, v84
	s_delay_alu instid0(VALU_DEP_4) | instskip(SKIP_1) | instid1(VALU_DEP_4)
	v_dual_add_f32 v74, v74, v82 :: v_dual_mul_f32 v89, 0x3fb8aa3b, v87
	v_cndmask_b32_e64 v87, 0, v86, s10
	v_exp_f32_e32 v90, v90
	s_delay_alu instid0(VALU_DEP_3) | instskip(NEXT) | instid1(VALU_DEP_2)
	v_exp_f32_e32 v88, v84
	v_add_f32_e32 v74, v74, v85
	v_exp_f32_e32 v91, v89
	v_fma_f32 v92, s19, v120, -v73
	s_delay_alu instid0(TRANS32_DEP_3)
	v_cndmask_b32_e64 v90, 0, v90, s16
	v_mul_f32_e32 v75, 0x3fb8aa3b, v75
	s_waitcnt_depctr 0xfff
	v_cndmask_b32_e64 v86, 0, v88, s11
	v_fma_f32 v88, s19, v119, -v73
	v_exp_f32_e32 v75, v75
	s_waitcnt_depctr 0xfff
	v_cndmask_b32_e64 v89, 0, v75, s12
	v_mul_f32_e32 v75, 0x3fb8aa3b, v88
	v_cndmask_b32_e64 v88, 0, v91, s13
	v_mul_f32_e32 v77, 0x3fb8aa3b, v77
	s_delay_alu instid0(VALU_DEP_3) | instskip(NEXT) | instid1(VALU_DEP_1)
	v_exp_f32_e32 v75, v75
	v_exp_f32_e32 v77, v77
	s_waitcnt_depctr 0xfff
	v_cndmask_b32_e64 v93, 0, v75, s17
	v_cndmask_b32_e64 v84, 0, v77, s9
	v_fma_f32 v77, s19, v117, -v73
	s_delay_alu instid0(VALU_DEP_2) | instskip(NEXT) | instid1(VALU_DEP_1)
	v_add_f32_e32 v74, v74, v84
	v_add_f32_e32 v74, v74, v87
	s_delay_alu instid0(VALU_DEP_1) | instskip(NEXT) | instid1(VALU_DEP_1)
	v_add_f32_e32 v74, v74, v86
	v_add_f32_e32 v74, v74, v89
	s_delay_alu instid0(VALU_DEP_1) | instskip(NEXT) | instid1(VALU_DEP_1)
	v_dual_add_f32 v74, v74, v88 :: v_dual_mul_f32 v77, 0x3fb8aa3b, v77
	v_exp_f32_e32 v77, v77
	s_waitcnt_depctr 0xfff
	v_cndmask_b32_e64 v91, 0, v77, s15
	s_delay_alu instid0(VALU_DEP_1) | instskip(NEXT) | instid1(VALU_DEP_1)
	v_dual_mul_f32 v77, 0x3fb8aa3b, v92 :: v_dual_add_f32 v74, v74, v91
	v_exp_f32_e32 v77, v77
	s_delay_alu instid0(VALU_DEP_1) | instskip(NEXT) | instid1(VALU_DEP_1)
	v_add_f32_e32 v74, v74, v90
	v_add_f32_e32 v74, v74, v93
	s_waitcnt_depctr 0xfff
	v_cndmask_b32_e64 v92, 0, v77, s18
	s_delay_alu instid0(VALU_DEP_1)
	v_add_f32_e32 v74, v74, v92
	ds_bpermute_b32 v75, v76, v74
	v_cmpx_gt_u32_e32 16, v71
	s_cbranch_execz .LBB1087_12
; %bb.11:
	v_mul_u32_u24_e32 v71, 0x44, v72
	s_waitcnt lgkmcnt(0)
	v_add_f32_e32 v74, v74, v75
	s_delay_alu instid0(VALU_DEP_2) | instskip(NEXT) | instid1(VALU_DEP_1)
	v_lshl_add_u32 v71, v70, 2, v71
	v_add_nc_u32_e32 v71, 0x4000, v71
	ds_store_2addr_b32 v71, v73, v74 offset1:136
.LBB1087_12:
	s_or_b32 exec_lo, exec_lo, s3
	v_lshlrev_b32_e32 v71, 2, v70
	s_load_b32 s35, s[0:1], 0x94
	s_waitcnt lgkmcnt(0)
	s_barrier
	buffer_gl0_inv
	v_add_nc_u32_e32 v71, 0x4000, v71
	v_cmp_eq_u32_e32 vcc_lo, 1, v72
	v_cmp_eq_u32_e64 s3, 2, v72
	v_cmp_eq_u32_e64 s4, 3, v72
	;; [unrolled: 1-line block ×3, first 2 shown]
	ds_load_2addr_b32 v[73:74], v71 offset1:17
	ds_load_2addr_b32 v[94:95], v71 offset0:34 offset1:51
	ds_load_2addr_b32 v[96:97], v71 offset0:68 offset1:85
	;; [unrolled: 1-line block ×3, first 2 shown]
	v_cmp_eq_u32_e64 s6, 5, v72
	v_cmp_eq_u32_e64 s7, 7, v72
	s_waitcnt lgkmcnt(3)
	v_max3_f32 v75, v73, 0xff7fffff, v74
	s_waitcnt lgkmcnt(2)
	s_delay_alu instid0(VALU_DEP_1) | instskip(SKIP_1) | instid1(VALU_DEP_1)
	v_max3_f32 v75, v75, v94, v95
	s_waitcnt lgkmcnt(1)
	v_max3_f32 v75, v75, v96, v97
	s_waitcnt lgkmcnt(0)
	s_delay_alu instid0(VALU_DEP_1) | instskip(NEXT) | instid1(VALU_DEP_1)
	v_max3_f32 v76, v75, v98, v99
	v_sub_f32_e32 v96, v96, v76
	ds_load_2addr_b32 v[100:101], v71 offset0:136 offset1:153
	v_sub_f32_e32 v73, v73, v76
	v_sub_f32_e32 v75, v74, v76
	;; [unrolled: 1-line block ×3, first 2 shown]
	v_mul_f32_e32 v105, 0x3fb8aa3b, v96
	s_delay_alu instid0(VALU_DEP_4)
	v_mul_f32_e32 v77, 0x3fb8aa3b, v73
	ds_load_2addr_b32 v[73:74], v71 offset0:170 offset1:187
	v_mul_f32_e32 v103, 0x3fb8aa3b, v94
	v_exp_f32_e32 v102, v77
	v_sub_f32_e32 v77, v95, v76
	ds_load_2addr_b32 v[94:95], v71 offset0:204 offset1:221
	v_exp_f32_e32 v103, v103
	v_mul_f32_e32 v104, 0x3fb8aa3b, v77
	s_waitcnt lgkmcnt(2)
	v_fma_f32 v77, v102, v100, 0
	v_dual_sub_f32 v100, v97, v76 :: v_dual_mul_f32 v75, 0x3fb8aa3b, v75
	ds_load_2addr_b32 v[96:97], v71 offset0:238 offset1:255
	v_sub_f32_e32 v71, v98, v76
	v_exp_f32_e32 v104, v104
	v_mul_f32_e32 v98, 0x3fb8aa3b, v100
	v_exp_f32_e32 v75, v75
	v_exp_f32_e32 v100, v105
	v_mul_f32_e32 v71, 0x3fb8aa3b, v71
	s_waitcnt lgkmcnt(0)
	v_exp_f32_e32 v98, v98
	s_barrier
	buffer_gl0_inv
	v_fmac_f32_e32 v77, v75, v101
	s_delay_alu instid0(VALU_DEP_1) | instskip(SKIP_2) | instid1(VALU_DEP_2)
	v_fmac_f32_e32 v77, v103, v73
	v_sub_f32_e32 v73, v99, v76
	v_exp_f32_e32 v99, v71
	v_fmac_f32_e32 v77, v104, v74
	s_delay_alu instid0(VALU_DEP_2) | instskip(NEXT) | instid1(VALU_DEP_2)
	v_dual_mul_f32 v73, 0x3fb8aa3b, v73 :: v_dual_lshlrev_b32 v74, 6, v70
	v_dual_fmac_f32 v77, v100, v94 :: v_dual_lshlrev_b32 v70, 2, v69
	s_delay_alu instid0(VALU_DEP_2) | instskip(SKIP_1) | instid1(VALU_DEP_3)
	v_exp_f32_e32 v94, v73
	v_cndmask_b32_e32 v73, v102, v75, vcc_lo
	v_lshl_or_b32 v75, v72, 11, v74
	s_delay_alu instid0(VALU_DEP_3) | instskip(SKIP_1) | instid1(VALU_DEP_3)
	v_cmp_eq_u32_e64 s8, 7, v70
	v_fmac_f32_e32 v77, v98, v95
	v_lshl_or_b32 v69, v69, 4, v75
	s_delay_alu instid0(VALU_DEP_2)
	v_fmac_f32_e32 v77, v99, v96
	s_delay_alu instid0(TRANS32_DEP_1) | instid1(VALU_DEP_1)
	v_fmac_f32_e32 v77, v94, v97
	s_delay_alu instid0(VALU_DEP_1) | instskip(NEXT) | instid1(VALU_DEP_1)
	v_add_f32_e32 v95, 0x358637bd, v77
	v_div_scale_f32 v96, null, v95, v95, 1.0
	v_div_scale_f32 v101, vcc_lo, 1.0, v95, 1.0
	s_delay_alu instid0(VALU_DEP_2) | instskip(SKIP_2) | instid1(VALU_DEP_1)
	v_rcp_f32_e32 v97, v96
	s_waitcnt_depctr 0xfff
	v_fma_f32 v71, -v96, v97, 1.0
	v_fmac_f32_e32 v97, v71, v97
	v_cndmask_b32_e64 v71, v73, v103, s3
	v_cmp_eq_u32_e64 s3, 6, v72
	v_or_b32_e32 v73, 1, v70
	v_or_b32_e32 v72, 3, v70
	v_mul_f32_e32 v102, v101, v97
	v_cndmask_b32_e64 v71, v71, v104, s4
	v_cmp_eq_u32_e64 s4, 1, v70
	v_cmp_eq_u32_e64 s9, 1, v73
	;; [unrolled: 1-line block ×3, first 2 shown]
	v_fma_f32 v103, -v96, v102, v101
	v_cndmask_b32_e64 v100, v71, v100, s5
	v_or_b32_e32 v71, 2, v70
	v_cmp_eq_u32_e64 s5, 2, v70
	v_cmp_eq_u32_e64 s12, 2, v73
	v_fmac_f32_e32 v102, v103, v97
	v_cndmask_b32_e64 v98, v100, v98, s6
	v_cmp_eq_u32_e64 s10, 1, v71
	v_cmp_eq_u32_e64 s15, 2, v71
	;; [unrolled: 1-line block ×3, first 2 shown]
	v_fma_f32 v96, -v96, v102, v101
	v_cndmask_b32_e64 v98, v98, v99, s3
	v_cmp_eq_u32_e64 s13, 3, v73
	v_cmp_eq_u32_e64 s18, 3, v72
	;; [unrolled: 1-line block ×3, first 2 shown]
	v_div_fmas_f32 v96, v96, v97, v102
	v_cndmask_b32_e64 v94, v98, v94, s7
	v_cmp_eq_u32_e32 vcc_lo, 3, v70
	v_cmp_eq_u32_e64 s17, 3, v71
	v_cmp_eq_u32_e64 s19, 4, v73
	v_div_fixup_f32 v95, v96, v95, 1.0
	v_cmp_eq_u32_e64 s22, 4, v72
	v_cmp_eq_u32_e64 s6, 5, v70
	;; [unrolled: 1-line block ×4, first 2 shown]
	v_mul_f32_e32 v102, v94, v95
	v_cmp_eq_u32_e64 s24, 5, v72
	v_cmp_eq_u32_e64 s23, 5, v71
	;; [unrolled: 1-line block ×4, first 2 shown]
	v_fma_mixlo_f16 v94, v102, v79, 0
	v_fma_mixlo_f16 v95, v102, v81, 0
	;; [unrolled: 1-line block ×8, first 2 shown]
	v_fma_mixhi_f16 v94, v102, v78, 0
	v_fma_mixhi_f16 v95, v102, v80, 0
	;; [unrolled: 1-line block ×8, first 2 shown]
	ds_store_b128 v69, v[94:97]
	ds_store_b128 v69, v[98:101] offset:1024
	s_waitcnt lgkmcnt(0)
	s_barrier
	buffer_gl0_inv
	ds_load_b128 v[78:81], v75
	ds_load_b128 v[82:85], v75 offset:16
	ds_load_b128 v[86:89], v75 offset:1024
	ds_load_b128 v[90:93], v75 offset:1040
	v_cmp_eq_u32_e64 s7, 6, v70
	v_cmp_eq_u32_e64 s26, 6, v71
	;; [unrolled: 1-line block ×5, first 2 shown]
	s_waitcnt lgkmcnt(3)
	v_lshrrev_b32_e32 v94, 16, v78
	s_waitcnt lgkmcnt(2)
	v_lshrrev_b32_e32 v98, 16, v82
	;; [unrolled: 2-line block ×4, first 2 shown]
	v_lshrrev_b32_e32 v95, 16, v79
	v_cndmask_b32_e64 v110, v78, v94, s4
	v_cndmask_b32_e64 v111, v82, v98, s4
	;; [unrolled: 1-line block ×8, first 2 shown]
	v_lshrrev_b32_e32 v99, 16, v83
	v_cndmask_b32_e64 v94, v86, v102, s4
	v_cndmask_b32_e64 v98, v90, v106, s4
	;; [unrolled: 1-line block ×15, first 2 shown]
	v_lshrrev_b32_e32 v103, 16, v87
	v_lshrrev_b32_e32 v107, 16, v91
	v_cndmask_b32_e64 v113, v115, v83, s15
	v_cndmask_b32_e64 v82, v94, v87, s5
	;; [unrolled: 1-line block ×7, first 2 shown]
	v_cndmask_b32_e32 v90, v102, v95, vcc_lo
	v_cndmask_b32_e32 v102, v106, v99, vcc_lo
	v_cndmask_b32_e64 v106, v110, v95, s13
	v_cndmask_b32_e64 v110, v111, v99, s13
	;; [unrolled: 1-line block ×4, first 2 shown]
	v_lshrrev_b32_e32 v96, 16, v80
	v_lshrrev_b32_e32 v100, 16, v84
	v_cndmask_b32_e64 v111, v112, v95, s17
	v_cndmask_b32_e64 v112, v113, v99, s17
	v_cndmask_b32_e32 v82, v82, v103, vcc_lo
	v_cndmask_b32_e32 v83, v83, v107, vcc_lo
	v_cndmask_b32_e64 v94, v94, v103, s13
	v_cndmask_b32_e64 v90, v90, v80, s3
	;; [unrolled: 1-line block ×7, first 2 shown]
	v_lshrrev_b32_e32 v104, 16, v88
	v_cndmask_b32_e64 v106, v111, v80, s21
	v_cndmask_b32_e64 v110, v112, v84, s21
	;; [unrolled: 1-line block ×11, first 2 shown]
	v_lshrrev_b32_e32 v97, 16, v81
	v_lshrrev_b32_e32 v101, 16, v85
	v_cndmask_b32_e64 v99, v106, v96, s23
	v_cndmask_b32_e64 v102, v110, v100, s23
	;; [unrolled: 1-line block ×7, first 2 shown]
	v_lshrrev_b32_e32 v105, 16, v89
	v_cndmask_b32_e64 v80, v80, v104, s6
	v_cndmask_b32_e64 v84, v84, v81, s7
	;; [unrolled: 1-line block ×16, first 2 shown]
	v_perm_b32 v81, v79, v78, 0x5040100
	v_perm_b32 v79, v95, v85, 0x5040100
	v_cndmask_b32_e64 v78, v119, v91, s15
	v_cndmask_b32_e64 v85, v117, v91, s12
	;; [unrolled: 1-line block ×3, first 2 shown]
	v_perm_b32 v80, v94, v90, 0x5040100
	v_cndmask_b32_e64 v90, v98, v103, s17
	v_cndmask_b32_e64 v86, v86, v103, s18
	;; [unrolled: 1-line block ×5, first 2 shown]
	v_lshrrev_b32_e32 v108, 16, v92
	v_cndmask_b32_e64 v90, v90, v88, s21
	v_cndmask_b32_e64 v86, v86, v88, s22
	v_cndmask_b32_e64 v87, v87, v92, s22
	v_cndmask_b32_e64 v78, v78, v92, s21
	v_cndmask_b32_e64 v85, v85, v92, s19
	v_cndmask_b32_e64 v82, v82, v108, s6
	v_cndmask_b32_e64 v88, v90, v104, s23
	v_cndmask_b32_e64 v86, v86, v104, s24
	v_cndmask_b32_e64 v87, v87, v108, s24
	v_cndmask_b32_e64 v78, v78, v108, s23
	v_cndmask_b32_e64 v85, v85, v108, s20
	v_lshrrev_b32_e32 v109, 16, v93
	v_cndmask_b32_e64 v82, v82, v93, s7
	v_cndmask_b32_e64 v88, v88, v89, s26
	;; [unrolled: 1-line block ×12, first 2 shown]
	v_perm_b32 v78, v84, v83, 0x5040100
	v_perm_b32 v85, v87, v86, 0x5040100
	;; [unrolled: 1-line block ×5, first 2 shown]
	s_lshl_b32 s8, s33, 1
	s_mov_b32 s3, exec_lo
	ds_store_b128 v69, v[78:81]
	ds_store_b128 v69, v[82:85] offset:1024
	v_cmpx_gt_u32_e32 2, v0
	s_cbranch_execz .LBB1087_14
; %bb.13:
	v_or_b32_e32 v78, s31, v0
	s_load_b128 s[4:7], s[0:1], 0x58
	s_delay_alu instid0(VALU_DEP_1) | instskip(NEXT) | instid1(VALU_DEP_1)
	v_mad_u64_u32 v[79:80], null, s8, s34, v[78:79]
	v_mad_u64_u32 v[80:81], null, v79, s35, s[14:15]
	s_delay_alu instid0(VALU_DEP_1) | instskip(NEXT) | instid1(VALU_DEP_1)
	v_ashrrev_i32_e32 v81, 31, v80
	v_lshlrev_b64 v[78:79], 2, v[80:81]
	s_waitcnt lgkmcnt(0)
	s_delay_alu instid0(VALU_DEP_1) | instskip(NEXT) | instid1(VALU_DEP_2)
	v_add_co_u32 v80, vcc_lo, s6, v78
	v_add_co_ci_u32_e32 v81, vcc_lo, s7, v79, vcc_lo
	v_add_co_u32 v78, vcc_lo, s4, v78
	v_add_co_ci_u32_e32 v79, vcc_lo, s5, v79, vcc_lo
	global_store_b32 v[80:81], v76, off
	global_store_b32 v[78:79], v77, off
.LBB1087_14:
	s_or_b32 exec_lo, exec_lo, s3
	s_waitcnt lgkmcnt(0)
	s_waitcnt_vscnt null, 0x0
	s_barrier
	buffer_gl0_inv
	ds_load_b128 v[84:87], v74
	ds_load_b128 v[88:91], v74 offset:16
	ds_load_b128 v[96:99], v74 offset:2064
	;; [unrolled: 1-line block ×5, first 2 shown]
	v_cmp_eq_u32_e32 vcc_lo, 1, v70
	v_mov_b32_e32 v76, 0
	ds_load_b128 v[112:115], v74 offset:6160
	ds_load_b128 v[108:111], v74 offset:6144
	;; [unrolled: 1-line block ×4, first 2 shown]
	v_cmp_eq_u32_e64 s4, 1, v71
	v_cmp_eq_u32_e64 s3, 1, v73
	;; [unrolled: 1-line block ×3, first 2 shown]
	v_mov_b32_e32 v77, v76
	v_mov_b32_e32 v78, v76
	;; [unrolled: 1-line block ×7, first 2 shown]
	v_cmp_eq_u32_e64 s6, 3, v73
	v_cmp_eq_u32_e64 s7, 7, v73
	s_waitcnt lgkmcnt(8)
	s_delay_alu instid0(VALU_DEP_3)
	v_wmma_f32_16x16x16_f16 v[76:83], v[49:56], v[84:91], v[76:83]
	ds_load_b128 v[53:56], v74 offset:10256
	ds_load_b128 v[49:52], v74 offset:10240
	s_waitcnt lgkmcnt(8)
	v_wmma_f32_16x16x16_f16 v[76:83], v[41:48], v[92:99], v[76:83]
	ds_load_b128 v[45:48], v74 offset:12304
	ds_load_b128 v[41:44], v74 offset:12288
	s_waitcnt lgkmcnt(8)
	;; [unrolled: 4-line block ×3, first 2 shown]
	s_barrier
	buffer_gl0_inv
	v_wmma_f32_16x16x16_f16 v[76:83], v[1:8], v[108:115], v[76:83]
	s_delay_alu instid0(VALU_DEP_1) | instskip(NEXT) | instid1(VALU_DEP_1)
	v_wmma_f32_16x16x16_f16 v[76:83], v[9:16], v[116:123], v[76:83]
	v_wmma_f32_16x16x16_f16 v[76:83], v[17:24], v[49:56], v[76:83]
	s_delay_alu instid0(VALU_DEP_1) | instskip(NEXT) | instid1(VALU_DEP_1)
	v_wmma_f32_16x16x16_f16 v[76:83], v[25:32], v[41:48], v[76:83]
	v_wmma_f32_16x16x16_f16 v[76:83], v[57:64], v[33:40], v[76:83]
	s_delay_alu instid0(VALU_DEP_1) | instskip(NEXT) | instid1(VALU_DEP_2)
	v_cvt_f16_f32_e32 v1, v76
	v_cvt_f16_f32_e32 v2, v77
	s_delay_alu instid0(VALU_DEP_3) | instskip(NEXT) | instid1(VALU_DEP_4)
	v_cvt_f16_f32_e32 v3, v78
	v_cvt_f16_f32_e32 v4, v79
	;; [unrolled: 1-line block ×6, first 2 shown]
	v_pack_b32_f16 v1, v1, v2
	v_pack_b32_f16 v2, v3, v4
	;; [unrolled: 1-line block ×3, first 2 shown]
	s_delay_alu instid0(VALU_DEP_4)
	v_pack_b32_f16 v4, v7, v8
	ds_store_b128 v69, v[1:4]
	s_waitcnt lgkmcnt(0)
	s_barrier
	buffer_gl0_inv
	ds_load_b128 v[1:4], v75
	ds_load_b128 v[5:8], v75 offset:16
	s_waitcnt lgkmcnt(1)
	v_lshrrev_b32_e32 v9, 16, v1
	s_waitcnt lgkmcnt(0)
	v_lshrrev_b32_e32 v13, 16, v5
	v_lshrrev_b32_e32 v10, 16, v2
	;; [unrolled: 1-line block ×4, first 2 shown]
	v_cndmask_b32_e32 v17, v1, v9, vcc_lo
	v_cndmask_b32_e32 v18, v5, v13, vcc_lo
	v_cndmask_b32_e64 v21, v1, v9, s4
	v_cmp_eq_u32_e32 vcc_lo, 1, v72
	v_cndmask_b32_e64 v22, v5, v13, s4
	v_cmp_eq_u32_e64 s4, 2, v70
	v_cndmask_b32_e64 v19, v1, v9, s3
	v_cndmask_b32_e64 v20, v5, v13, s3
	v_cndmask_b32_e32 v1, v1, v9, vcc_lo
	v_cmp_eq_u32_e64 s3, 2, v72
	v_cndmask_b32_e32 v5, v5, v13, vcc_lo
	v_cndmask_b32_e64 v9, v17, v2, s4
	v_cmp_eq_u32_e32 vcc_lo, 3, v70
	v_cndmask_b32_e64 v13, v18, v6, s4
	v_cmp_eq_u32_e64 s4, 2, v71
	v_cndmask_b32_e64 v17, v19, v2, s5
	v_cndmask_b32_e64 v18, v20, v6, s5
	v_cmp_eq_u32_e64 s5, 3, v71
	v_cndmask_b32_e64 v1, v1, v2, s3
	v_cndmask_b32_e64 v19, v21, v2, s4
	;; [unrolled: 1-line block ×4, first 2 shown]
	v_cndmask_b32_e32 v5, v9, v10, vcc_lo
	v_cndmask_b32_e32 v6, v13, v14, vcc_lo
	v_cmp_eq_u32_e32 vcc_lo, 3, v72
	v_cndmask_b32_e64 v9, v17, v10, s6
	v_cndmask_b32_e64 v13, v18, v14, s6
	;; [unrolled: 1-line block ×3, first 2 shown]
	v_cmp_eq_u32_e64 s4, 4, v70
	v_cndmask_b32_e32 v1, v1, v10, vcc_lo
	v_cndmask_b32_e32 v2, v2, v14, vcc_lo
	v_cmp_eq_u32_e32 vcc_lo, 4, v73
	v_lshrrev_b32_e32 v15, 16, v7
	v_lshrrev_b32_e32 v16, 16, v8
	v_cndmask_b32_e64 v17, v19, v10, s5
	v_cmp_eq_u32_e64 s3, 4, v72
	v_cndmask_b32_e64 v5, v5, v3, s4
	v_cndmask_b32_e64 v6, v6, v7, s4
	v_cndmask_b32_e32 v9, v9, v3, vcc_lo
	v_cmp_eq_u32_e64 s4, 5, v73
	v_cndmask_b32_e32 v10, v13, v7, vcc_lo
	v_cmp_eq_u32_e32 vcc_lo, 4, v71
	v_cmp_eq_u32_e64 s5, 5, v70
	v_cndmask_b32_e64 v2, v2, v7, s3
	v_cndmask_b32_e64 v9, v9, v11, s4
	;; [unrolled: 1-line block ×3, first 2 shown]
	v_cndmask_b32_e32 v13, v17, v3, vcc_lo
	v_cmp_eq_u32_e64 s4, 5, v71
	v_cndmask_b32_e32 v14, v18, v7, vcc_lo
	v_cndmask_b32_e64 v1, v1, v3, s3
	v_cmp_eq_u32_e32 vcc_lo, 5, v72
	v_lshrrev_b32_e32 v12, 16, v4
	v_cndmask_b32_e64 v13, v13, v11, s4
	v_cndmask_b32_e64 v3, v14, v15, s4
	v_cmp_eq_u32_e64 s4, 6, v72
	v_cndmask_b32_e32 v1, v1, v11, vcc_lo
	v_cndmask_b32_e64 v5, v5, v11, s5
	v_cmp_eq_u32_e64 s6, 6, v70
	v_cndmask_b32_e64 v6, v6, v15, s5
	v_cmp_eq_u32_e64 s5, 6, v73
	v_cmp_eq_u32_e64 s3, 6, v71
	v_cndmask_b32_e64 v1, v1, v4, s4
	v_cndmask_b32_e32 v2, v2, v15, vcc_lo
	v_cmp_eq_u32_e32 vcc_lo, 7, v72
	v_cndmask_b32_e64 v5, v5, v4, s6
	v_cndmask_b32_e64 v9, v9, v4, s5
	;; [unrolled: 1-line block ×3, first 2 shown]
	v_cmp_eq_u32_e64 s6, 7, v70
	v_cndmask_b32_e32 v1, v1, v12, vcc_lo
	v_cndmask_b32_e64 v7, v13, v4, s3
	v_cndmask_b32_e64 v3, v3, v8, s3
	;; [unrolled: 1-line block ×3, first 2 shown]
	v_cmp_eq_u32_e64 s3, 7, v71
	v_cndmask_b32_e64 v4, v10, v8, s5
	v_cndmask_b32_e64 v5, v5, v12, s6
	;; [unrolled: 1-line block ×3, first 2 shown]
	v_cndmask_b32_e32 v2, v2, v16, vcc_lo
	v_cndmask_b32_e64 v7, v7, v12, s3
	v_cndmask_b32_e64 v3, v3, v16, s3
	;; [unrolled: 1-line block ×4, first 2 shown]
	v_perm_b32 v4, v2, v1, 0x5040100
	s_delay_alu instid0(VALU_DEP_4) | instskip(NEXT) | instid1(VALU_DEP_4)
	v_perm_b32 v3, v3, v7, 0x5040100
	v_perm_b32 v2, v8, v9, 0x5040100
	s_delay_alu instid0(VALU_DEP_4)
	v_perm_b32 v1, v6, v5, 0x5040100
	ds_store_b128 v69, v[1:4]
	s_waitcnt lgkmcnt(0)
	s_barrier
	buffer_gl0_inv
	s_and_saveexec_b32 s3, s2
	s_cbranch_execz .LBB1087_2
; %bb.15:
	s_load_b64 s[0:1], s[0:1], 0x68
	v_lshlrev_b32_e32 v0, 10, v0
	s_lshl_b32 s2, s35, 7
	v_lshlrev_b32_e32 v1, 4, v68
	v_mul_lo_u32 v4, s2, v67
	s_mul_i32 s3, s2, s34
	v_and_b32_e32 v0, 0x3800, v0
	s_mul_i32 s2, s3, s8
	s_delay_alu instid0(SALU_CYCLE_1) | instskip(NEXT) | instid1(VALU_DEP_1)
	s_ashr_i32 s3, s2, 31
	v_or3_b32 v0, v0, v66, v1
	s_lshl_b64 s[2:3], s[2:3], 1
	s_delay_alu instid0(VALU_DEP_3)
	v_ashrrev_i32_e32 v5, 31, v4
	ds_load_b128 v[0:3], v0
	v_lshlrev_b64 v[4:5], 1, v[4:5]
	s_waitcnt lgkmcnt(0)
	s_add_u32 s2, s0, s2
	s_addc_u32 s3, s1, s3
	s_lshl_b32 s0, s14, 7
	s_delay_alu instid0(SALU_CYCLE_1) | instskip(NEXT) | instid1(SALU_CYCLE_1)
	s_ashr_i32 s1, s0, 31
	s_lshl_b64 s[0:1], s[0:1], 1
	s_delay_alu instid0(SALU_CYCLE_1) | instskip(SKIP_3) | instid1(VALU_DEP_2)
	s_add_u32 s0, s2, s0
	s_addc_u32 s1, s3, s1
	v_add_co_u32 v4, vcc_lo, s0, v4
	v_add_co_ci_u32_e32 v5, vcc_lo, s1, v5, vcc_lo
	v_add_co_u32 v4, vcc_lo, v4, v65
	s_delay_alu instid0(VALU_DEP_2)
	v_add_co_ci_u32_e32 v5, vcc_lo, 0, v5, vcc_lo
	global_store_b128 v[4:5], v[0:3], off
	s_nop 0
	s_sendmsg sendmsg(MSG_DEALLOC_VGPRS)
	s_endpgm
	.section	.rodata,"a",@progbits
	.p2align	6, 0x0
	.amdhsa_kernel _Z39paged_attention_ll4mi_QKV_mfma16_kernelIDF16_hLN4vllm18Fp8KVCacheDataTypeE1EDF16_Li32ELi128ELi256ELb0ELi2EL8MFMAType1EEvPKT_PKT0_S8_ifPKiSA_SA_iPKfiiiPfSD_PS3_PT2_iSC_SC_
		.amdhsa_group_segment_fixed_size 17472
		.amdhsa_private_segment_fixed_size 0
		.amdhsa_kernarg_size 400
		.amdhsa_user_sgpr_count 13
		.amdhsa_user_sgpr_dispatch_ptr 0
		.amdhsa_user_sgpr_queue_ptr 0
		.amdhsa_user_sgpr_kernarg_segment_ptr 1
		.amdhsa_user_sgpr_dispatch_id 0
		.amdhsa_user_sgpr_private_segment_size 0
		.amdhsa_wavefront_size32 1
		.amdhsa_uses_dynamic_stack 0
		.amdhsa_enable_private_segment 0
		.amdhsa_system_sgpr_workgroup_id_x 1
		.amdhsa_system_sgpr_workgroup_id_y 1
		.amdhsa_system_sgpr_workgroup_id_z 1
		.amdhsa_system_sgpr_workgroup_info 0
		.amdhsa_system_vgpr_workitem_id 0
		.amdhsa_next_free_vgpr 146
		.amdhsa_next_free_sgpr 39
		.amdhsa_reserve_vcc 1
		.amdhsa_float_round_mode_32 0
		.amdhsa_float_round_mode_16_64 0
		.amdhsa_float_denorm_mode_32 3
		.amdhsa_float_denorm_mode_16_64 3
		.amdhsa_dx10_clamp 1
		.amdhsa_ieee_mode 1
		.amdhsa_fp16_overflow 0
		.amdhsa_workgroup_processor_mode 1
		.amdhsa_memory_ordered 1
		.amdhsa_forward_progress 0
		.amdhsa_shared_vgpr_count 0
		.amdhsa_exception_fp_ieee_invalid_op 0
		.amdhsa_exception_fp_denorm_src 0
		.amdhsa_exception_fp_ieee_div_zero 0
		.amdhsa_exception_fp_ieee_overflow 0
		.amdhsa_exception_fp_ieee_underflow 0
		.amdhsa_exception_fp_ieee_inexact 0
		.amdhsa_exception_int_div_zero 0
	.end_amdhsa_kernel
	.section	.text._Z39paged_attention_ll4mi_QKV_mfma16_kernelIDF16_hLN4vllm18Fp8KVCacheDataTypeE1EDF16_Li32ELi128ELi256ELb0ELi2EL8MFMAType1EEvPKT_PKT0_S8_ifPKiSA_SA_iPKfiiiPfSD_PS3_PT2_iSC_SC_,"axG",@progbits,_Z39paged_attention_ll4mi_QKV_mfma16_kernelIDF16_hLN4vllm18Fp8KVCacheDataTypeE1EDF16_Li32ELi128ELi256ELb0ELi2EL8MFMAType1EEvPKT_PKT0_S8_ifPKiSA_SA_iPKfiiiPfSD_PS3_PT2_iSC_SC_,comdat
.Lfunc_end1087:
	.size	_Z39paged_attention_ll4mi_QKV_mfma16_kernelIDF16_hLN4vllm18Fp8KVCacheDataTypeE1EDF16_Li32ELi128ELi256ELb0ELi2EL8MFMAType1EEvPKT_PKT0_S8_ifPKiSA_SA_iPKfiiiPfSD_PS3_PT2_iSC_SC_, .Lfunc_end1087-_Z39paged_attention_ll4mi_QKV_mfma16_kernelIDF16_hLN4vllm18Fp8KVCacheDataTypeE1EDF16_Li32ELi128ELi256ELb0ELi2EL8MFMAType1EEvPKT_PKT0_S8_ifPKiSA_SA_iPKfiiiPfSD_PS3_PT2_iSC_SC_
                                        ; -- End function
	.section	.AMDGPU.csdata,"",@progbits
; Kernel info:
; codeLenInByte = 6456
; NumSgprs: 41
; NumVgprs: 146
; ScratchSize: 0
; MemoryBound: 0
; FloatMode: 240
; IeeeMode: 1
; LDSByteSize: 17472 bytes/workgroup (compile time only)
; SGPRBlocks: 5
; VGPRBlocks: 18
; NumSGPRsForWavesPerEU: 41
; NumVGPRsForWavesPerEU: 146
; Occupancy: 9
; WaveLimiterHint : 1
; COMPUTE_PGM_RSRC2:SCRATCH_EN: 0
; COMPUTE_PGM_RSRC2:USER_SGPR: 13
; COMPUTE_PGM_RSRC2:TRAP_HANDLER: 0
; COMPUTE_PGM_RSRC2:TGID_X_EN: 1
; COMPUTE_PGM_RSRC2:TGID_Y_EN: 1
; COMPUTE_PGM_RSRC2:TGID_Z_EN: 1
; COMPUTE_PGM_RSRC2:TIDIG_COMP_CNT: 0
	.section	.text._Z39paged_attention_ll4mi_QKV_mfma16_kernelIDF16_hLN4vllm18Fp8KVCacheDataTypeE1EDF16_Li32ELi128ELi256ELb0ELi3EL8MFMAType1EEvPKT_PKT0_S8_ifPKiSA_SA_iPKfiiiPfSD_PS3_PT2_iSC_SC_,"axG",@progbits,_Z39paged_attention_ll4mi_QKV_mfma16_kernelIDF16_hLN4vllm18Fp8KVCacheDataTypeE1EDF16_Li32ELi128ELi256ELb0ELi3EL8MFMAType1EEvPKT_PKT0_S8_ifPKiSA_SA_iPKfiiiPfSD_PS3_PT2_iSC_SC_,comdat
	.protected	_Z39paged_attention_ll4mi_QKV_mfma16_kernelIDF16_hLN4vllm18Fp8KVCacheDataTypeE1EDF16_Li32ELi128ELi256ELb0ELi3EL8MFMAType1EEvPKT_PKT0_S8_ifPKiSA_SA_iPKfiiiPfSD_PS3_PT2_iSC_SC_ ; -- Begin function _Z39paged_attention_ll4mi_QKV_mfma16_kernelIDF16_hLN4vllm18Fp8KVCacheDataTypeE1EDF16_Li32ELi128ELi256ELb0ELi3EL8MFMAType1EEvPKT_PKT0_S8_ifPKiSA_SA_iPKfiiiPfSD_PS3_PT2_iSC_SC_
	.globl	_Z39paged_attention_ll4mi_QKV_mfma16_kernelIDF16_hLN4vllm18Fp8KVCacheDataTypeE1EDF16_Li32ELi128ELi256ELb0ELi3EL8MFMAType1EEvPKT_PKT0_S8_ifPKiSA_SA_iPKfiiiPfSD_PS3_PT2_iSC_SC_
	.p2align	8
	.type	_Z39paged_attention_ll4mi_QKV_mfma16_kernelIDF16_hLN4vllm18Fp8KVCacheDataTypeE1EDF16_Li32ELi128ELi256ELb0ELi3EL8MFMAType1EEvPKT_PKT0_S8_ifPKiSA_SA_iPKfiiiPfSD_PS3_PT2_iSC_SC_,@function
_Z39paged_attention_ll4mi_QKV_mfma16_kernelIDF16_hLN4vllm18Fp8KVCacheDataTypeE1EDF16_Li32ELi128ELi256ELb0ELi3EL8MFMAType1EEvPKT_PKT0_S8_ifPKiSA_SA_iPKfiiiPfSD_PS3_PT2_iSC_SC_: ; @_Z39paged_attention_ll4mi_QKV_mfma16_kernelIDF16_hLN4vllm18Fp8KVCacheDataTypeE1EDF16_Li32ELi128ELi256ELb0ELi3EL8MFMAType1EEvPKT_PKT0_S8_ifPKiSA_SA_iPKfiiiPfSD_PS3_PT2_iSC_SC_
; %bb.0:
	s_load_b64 s[4:5], s[0:1], 0x30
	s_mov_b32 s34, s13
	s_waitcnt lgkmcnt(0)
	s_cmp_lg_u64 s[4:5], 0
	s_cselect_b32 s8, -1, 0
	s_ashr_i32 s35, s13, 31
	s_cmp_eq_u64 s[4:5], 0
	s_cbranch_scc1 .LBB1088_3
; %bb.1:
	s_lshl_b64 s[2:3], s[34:35], 2
	s_delay_alu instid0(SALU_CYCLE_1) | instskip(SKIP_4) | instid1(SALU_CYCLE_1)
	s_add_u32 s2, s4, s2
	s_addc_u32 s3, s5, s3
	s_load_b64 s[2:3], s[2:3], 0x0
	s_waitcnt lgkmcnt(0)
	s_sub_i32 s2, s3, s2
	s_cmp_eq_u32 s2, 1
	s_cselect_b32 s2, -1, 0
	s_delay_alu instid0(SALU_CYCLE_1)
	s_and_not1_b32 vcc_lo, exec_lo, s2
	s_cbranch_vccz .LBB1088_4
.LBB1088_2:
	s_nop 0
	s_sendmsg sendmsg(MSG_DEALLOC_VGPRS)
	s_endpgm
.LBB1088_3:
.LBB1088_4:
	s_load_b64 s[2:3], s[0:1], 0x28
	s_lshl_b64 s[6:7], s[34:35], 2
	s_waitcnt lgkmcnt(0)
	s_add_u32 s2, s2, s6
	s_addc_u32 s3, s3, s7
	s_lshl_b32 s12, s14, 8
	s_load_b32 s24, s[2:3], 0x0
	s_waitcnt lgkmcnt(0)
	s_cmp_ge_i32 s12, s24
	s_cbranch_scc1 .LBB1088_2
; %bb.5:
	s_clause 0x1
	s_load_b128 s[20:23], s[0:1], 0x8
	s_load_b64 s[2:3], s[0:1], 0x20
	s_and_not1_b32 vcc_lo, exec_lo, s8
	s_cbranch_vccnz .LBB1088_7
; %bb.6:
	s_add_u32 s4, s4, s6
	s_addc_u32 s5, s5, s7
	s_load_b32 s5, s[4:5], 0x0
	s_branch .LBB1088_8
.LBB1088_7:
	s_mov_b32 s5, s34
.LBB1088_8:
	s_load_b128 s[16:19], s[0:1], 0x48
	v_and_b32_e32 v68, 15, v0
	v_lshrrev_b32_e32 v69, 5, v0
	v_bfe_u32 v66, v0, 4, 1
	v_and_b32_e32 v70, 31, v0
	v_and_b32_e32 v67, 1, v0
	v_lshlrev_b32_e32 v2, 3, v68
	s_mul_i32 s31, s15, 3
	v_lshl_or_b32 v1, v69, 1, v66
	s_mov_b32 s4, exec_lo
	s_delay_alu instid0(VALU_DEP_2) | instskip(NEXT) | instid1(VALU_DEP_2)
	v_lshlrev_b32_e32 v65, 1, v2
	v_cmpx_gt_u32_e32 3, v1
	s_cbranch_execz .LBB1088_10
; %bb.9:
	s_load_b64 s[6:7], s[0:1], 0x0
	v_add_lshl_u32 v2, v1, s31, 7
	s_waitcnt lgkmcnt(0)
	s_mul_hi_i32 s9, s5, s16
	s_mul_i32 s8, s5, s16
	v_lshlrev_b32_e32 v6, 10, v68
	s_lshl_b64 s[8:9], s[8:9], 1
	v_ashrrev_i32_e32 v3, 31, v2
	v_lshlrev_b32_e32 v1, 6, v1
	v_lshlrev_b32_e32 v7, 10, v67
	v_and_b32_e32 v6, 0x3800, v6
	s_delay_alu instid0(VALU_DEP_4) | instskip(NEXT) | instid1(VALU_DEP_2)
	v_lshlrev_b64 v[2:3], 1, v[2:3]
	v_or3_b32 v1, v6, v7, v1
	s_add_u32 s5, s6, s8
	s_addc_u32 s6, s7, s9
	s_delay_alu instid0(VALU_DEP_2) | instskip(NEXT) | instid1(VALU_DEP_3)
	v_add_co_u32 v2, vcc_lo, s5, v2
	v_add_co_ci_u32_e32 v3, vcc_lo, s6, v3, vcc_lo
	s_delay_alu instid0(VALU_DEP_2) | instskip(NEXT) | instid1(VALU_DEP_2)
	v_add_co_u32 v2, vcc_lo, v2, v65
	v_add_co_ci_u32_e32 v3, vcc_lo, 0, v3, vcc_lo
	global_load_b128 v[2:5], v[2:3], off
	s_waitcnt vmcnt(0)
	ds_store_b128 v1, v[2:5]
.LBB1088_10:
	s_or_b32 exec_lo, exec_lo, s4
	v_and_b32_e32 v1, 0xef, v0
	s_waitcnt lgkmcnt(0)
	s_add_i32 s5, s24, 31
	s_clause 0x1
	s_load_b32 s4, s[0:1], 0x38
	s_load_b32 s33, s[0:1], 0x98
	s_ashr_i32 s6, s5, 31
	v_add_nc_u32_e32 v1, s12, v1
	s_lshr_b32 s6, s6, 27
	s_load_b32 s19, s[0:1], 0x1c
	s_add_i32 s5, s5, s6
	s_waitcnt lgkmcnt(0)
	v_ashrrev_i32_e32 v2, 31, v1
	v_or_b32_e32 v3, 16, v1
	s_ashr_i32 s13, s5, 5
	v_cmp_gt_i32_e32 vcc_lo, s24, v1
	s_add_i32 s13, s13, -1
	v_lshrrev_b32_e32 v2, 27, v2
	s_barrier
	buffer_gl0_inv
	s_mul_i32 s15, s15, s18
	v_add_nc_u32_e32 v4, v1, v2
	s_mul_i32 s4, s34, s4
	s_delay_alu instid0(SALU_CYCLE_1) | instskip(NEXT) | instid1(VALU_DEP_1)
	s_ashr_i32 s5, s4, 31
	v_ashrrev_i32_e32 v4, 5, v4
	v_add_nc_u32_e32 v2, v3, v2
	s_lshl_b64 s[4:5], s[4:5], 2
	s_delay_alu instid0(SALU_CYCLE_1) | instskip(NEXT) | instid1(VALU_DEP_2)
	s_add_u32 s16, s2, s4
	v_cndmask_b32_e32 v1, s13, v4, vcc_lo
	s_delay_alu instid0(VALU_DEP_2)
	v_ashrrev_i32_e32 v2, 5, v2
	v_cmp_gt_i32_e32 vcc_lo, s24, v3
	s_addc_u32 s25, s3, s5
	s_ashr_i32 s18, s15, 31
	s_add_u32 s2, s20, s15
	s_addc_u32 s3, s21, s18
	v_cndmask_b32_e32 v3, s13, v2, vcc_lo
	v_ashrrev_i32_e32 v2, 31, v1
	s_lshl_b32 s4, s14, 3
	s_delay_alu instid0(SALU_CYCLE_1) | instskip(NEXT) | instid1(VALU_DEP_2)
	s_ashr_i32 s5, s4, 31
	v_ashrrev_i32_e32 v4, 31, v3
	s_delay_alu instid0(VALU_DEP_2) | instskip(SKIP_1) | instid1(SALU_CYCLE_1)
	v_lshlrev_b64 v[1:2], 2, v[1:2]
	s_lshl_b64 s[4:5], s[4:5], 2
	s_add_u32 s4, s16, s4
	s_delay_alu instid0(VALU_DEP_2) | instskip(SKIP_1) | instid1(VALU_DEP_2)
	v_lshlrev_b64 v[3:4], 2, v[3:4]
	s_addc_u32 s5, s25, s5
	v_add_co_u32 v1, vcc_lo, s16, v1
	v_add_co_ci_u32_e32 v2, vcc_lo, s25, v2, vcc_lo
	s_delay_alu instid0(VALU_DEP_3) | instskip(NEXT) | instid1(VALU_DEP_4)
	v_add_co_u32 v3, vcc_lo, s16, v3
	v_add_co_ci_u32_e32 v4, vcc_lo, s25, v4, vcc_lo
	s_clause 0x1
	global_load_b32 v5, v[1:2], off
	global_load_b32 v6, v[3:4], off
	s_or_b32 s6, s12, 32
	s_delay_alu instid0(SALU_CYCLE_1) | instskip(SKIP_2) | instid1(SALU_CYCLE_1)
	s_ashr_i32 s7, s6, 5
	s_cmp_lt_i32 s6, s24
	s_cselect_b32 s6, s7, s13
	s_ashr_i32 s7, s6, 31
	s_delay_alu instid0(SALU_CYCLE_1) | instskip(NEXT) | instid1(SALU_CYCLE_1)
	s_lshl_b64 s[6:7], s[6:7], 2
	s_add_u32 s6, s16, s6
	s_addc_u32 s7, s25, s7
	s_or_b32 s8, s12, 64
	s_delay_alu instid0(SALU_CYCLE_1) | instskip(SKIP_2) | instid1(SALU_CYCLE_1)
	s_ashr_i32 s9, s8, 5
	s_cmp_lt_i32 s8, s24
	s_cselect_b32 s8, s9, s13
	s_ashr_i32 s9, s8, 31
	s_delay_alu instid0(SALU_CYCLE_1) | instskip(NEXT) | instid1(SALU_CYCLE_1)
	s_lshl_b64 s[8:9], s[8:9], 2
	s_add_u32 s8, s16, s8
	s_addc_u32 s9, s25, s9
	;; [unrolled: 10-line block ×5, first 2 shown]
	s_clause 0x5
	s_load_b32 s28, s[4:5], 0x0
	s_load_b32 s29, s[6:7], 0x0
	;; [unrolled: 1-line block ×6, first 2 shown]
	s_mov_b32 s4, 0
	s_delay_alu instid0(SALU_CYCLE_1)
	s_mov_b32 s5, s4
	s_mov_b32 s6, s4
	s_mov_b32 s7, s4
	s_mov_b32 s8, s4
	s_mov_b32 s9, s4
	s_mov_b32 s10, s4
	s_mov_b32 s11, s4
	s_delay_alu instid0(SALU_CYCLE_1)
	v_dual_mov_b32 v118, s11 :: v_dual_mov_b32 v117, s10
	v_dual_mov_b32 v116, s9 :: v_dual_mov_b32 v115, s8
	v_mov_b32_e32 v113, s6
	v_dual_mov_b32 v111, s4 :: v_dual_mov_b32 v114, s7
	v_mov_b32_e32 v112, s5
	s_waitcnt vmcnt(1)
	v_mad_i64_i32 v[1:2], null, v5, s17, s[2:3]
	v_lshlrev_b32_e32 v5, 4, v68
	s_waitcnt vmcnt(0)
	v_mad_i64_i32 v[3:4], null, v6, s17, s[2:3]
	s_or_b32 s2, s12, 0xc0
	s_delay_alu instid0(SALU_CYCLE_1) | instskip(NEXT) | instid1(VALU_DEP_3)
	s_ashr_i32 s3, s2, 5
	v_add_co_u32 v1, vcc_lo, v1, v5
	s_delay_alu instid0(VALU_DEP_4) | instskip(NEXT) | instid1(VALU_DEP_3)
	v_add_co_ci_u32_e32 v2, vcc_lo, 0, v2, vcc_lo
	v_add_co_u32 v3, vcc_lo, v3, v5
	s_delay_alu instid0(VALU_DEP_4)
	v_add_co_ci_u32_e32 v4, vcc_lo, 0, v4, vcc_lo
	s_clause 0xf
	global_load_b128 v[17:20], v[1:2], off
	global_load_b128 v[21:24], v[1:2], off offset:512
	global_load_b128 v[25:28], v[3:4], off offset:256
	;; [unrolled: 1-line block ×15, first 2 shown]
	v_mul_lo_u16 v1, 0x56, v68
	s_cmp_lt_i32 s2, s24
	v_lshlrev_b32_e32 v2, 5, v68
	s_cselect_b32 s2, s3, s13
	s_delay_alu instid0(VALU_DEP_2) | instskip(SKIP_1) | instid1(SALU_CYCLE_1)
	v_lshrrev_b16 v1, 8, v1
	s_ashr_i32 s3, s2, 31
	s_lshl_b64 s[2:3], s[2:3], 2
	s_delay_alu instid0(VALU_DEP_1) | instskip(SKIP_3) | instid1(VALU_DEP_1)
	v_mul_lo_u16 v1, v1, 3
	s_add_u32 s2, s16, s2
	s_addc_u32 s3, s25, s3
	s_or_b32 s20, s12, 0xe0
	v_sub_nc_u16 v1, v68, v1
	s_ashr_i32 s21, s20, 5
	s_cmp_lt_i32 s20, s24
	s_cselect_b32 s20, s21, s13
	s_delay_alu instid0(VALU_DEP_1) | instskip(SKIP_1) | instid1(SALU_CYCLE_1)
	v_and_b32_e32 v1, 0xff, v1
	s_ashr_i32 s21, s20, 31
	s_lshl_b64 s[4:5], s[20:21], 2
	s_delay_alu instid0(VALU_DEP_1)
	v_lshlrev_b32_e32 v149, 6, v1
	s_add_u32 s4, s16, s4
	s_addc_u32 s5, s25, s5
	v_lshl_or_b32 v1, v69, 9, v2
	ds_load_b128 v[119:122], v149
	ds_load_b128 v[123:126], v149 offset:1024
	ds_load_b128 v[127:130], v149 offset:2048
	;; [unrolled: 1-line block ×3, first 2 shown]
	s_clause 0x1
	s_load_b32 s2, s[2:3], 0x0
	s_load_b32 s3, s[4:5], 0x0
	s_add_u32 s6, s22, s15
	s_addc_u32 s7, s23, s18
	v_add_co_u32 v135, s6, s6, v1
	s_delay_alu instid0(VALU_DEP_1) | instskip(SKIP_1) | instid1(VALU_DEP_1)
	v_add_co_ci_u32_e64 v136, null, s7, 0, s6
	s_waitcnt lgkmcnt(0)
	v_mad_i64_i32 v[1:2], null, s28, s17, v[135:136]
	v_mad_i64_i32 v[3:4], null, s29, s17, v[135:136]
	v_mad_i64_i32 v[5:6], null, s30, s17, v[135:136]
	v_mad_i64_i32 v[7:8], null, s35, s17, v[135:136]
	v_mad_i64_i32 v[143:144], null, s26, s17, v[135:136]
	v_mad_i64_i32 v[13:14], null, s36, s17, v[135:136]
	s_clause 0x9
	global_load_b128 v[49:52], v[1:2], off
	global_load_b128 v[53:56], v[1:2], off offset:16
	global_load_b128 v[41:44], v[3:4], off
	global_load_b128 v[45:48], v[3:4], off offset:16
	;; [unrolled: 2-line block ×5, first 2 shown]
	v_mad_i64_i32 v[145:146], null, s2, s17, v[135:136]
	v_mad_i64_i32 v[147:148], null, s3, s17, v[135:136]
	s_waitcnt vmcnt(24)
	v_wmma_f32_16x16x16_f16 v[135:142], v[17:24], v[119:126], v[111:118]
	s_waitcnt vmcnt(22)
	v_wmma_f32_16x16x16_f16 v[111:118], v[25:32], v[119:126], v[111:118]
	s_clause 0x3
	global_load_b128 v[17:20], v[143:144], off
	global_load_b128 v[21:24], v[143:144], off offset:16
	global_load_b128 v[25:28], v[145:146], off
	global_load_b128 v[29:32], v[145:146], off offset:16
	v_and_b32_e32 v119, 0xe0, v0
	s_waitcnt vmcnt(24)
	v_wmma_f32_16x16x16_f16 v[135:142], v[57:64], v[127:134], v[135:142]
	s_clause 0x1
	global_load_b128 v[57:60], v[147:148], off
	global_load_b128 v[61:64], v[147:148], off offset:16
	s_waitcnt vmcnt(24)
	v_wmma_f32_16x16x16_f16 v[111:118], v[71:78], v[127:134], v[111:118]
	ds_load_b128 v[71:74], v149 offset:4096
	ds_load_b128 v[75:78], v149 offset:5120
	v_add_nc_u32_e32 v128, s12, v119
	ds_load_b128 v[119:122], v149 offset:6144
	ds_load_b128 v[123:126], v149 offset:7168
	v_mbcnt_lo_u32_b32 v127, -1, 0
	s_waitcnt vmcnt(0) lgkmcnt(0)
	s_barrier
	v_or_b32_e32 v128, v128, v66
	buffer_gl0_inv
	v_xor_b32_e32 v129, 16, v127
	v_or_b32_e32 v130, 4, v128
	v_or_b32_e32 v131, 6, v128
	s_delay_alu instid0(VALU_DEP_3) | instskip(SKIP_4) | instid1(VALU_DEP_4)
	v_cmp_gt_i32_e32 vcc_lo, 32, v129
	v_or_b32_e32 v132, 8, v128
	v_or_b32_e32 v133, 10, v128
	v_cmp_gt_i32_e64 s3, s24, v130
	v_cmp_gt_i32_e64 s4, s24, v131
	;; [unrolled: 1-line block ×3, first 2 shown]
	v_wmma_f32_16x16x16_f16 v[135:142], v[79:86], v[71:78], v[135:142]
	v_wmma_f32_16x16x16_f16 v[111:118], v[87:94], v[71:78], v[111:118]
	v_or_b32_e32 v79, 12, v128
	v_or_b32_e32 v80, 14, v128
	v_cmp_gt_i32_e64 s6, s24, v133
	v_wmma_f32_16x16x16_f16 v[135:142], v[95:102], v[119:126], v[135:142]
	v_cndmask_b32_e32 v127, v127, v129, vcc_lo
	v_or_b32_e32 v129, 2, v128
	v_wmma_f32_16x16x16_f16 v[111:118], v[103:110], v[119:126], v[111:118]
	v_cmp_gt_i32_e32 vcc_lo, s24, v128
	v_dual_mul_f32 v88, s19, v135 :: v_dual_mul_f32 v87, s19, v136
	s_delay_alu instid0(VALU_DEP_4) | instskip(NEXT) | instid1(VALU_DEP_4)
	v_cmp_gt_i32_e64 s2, s24, v129
	v_mul_f32_e32 v94, s19, v113
	v_mul_f32_e32 v78, s19, v138
	;; [unrolled: 1-line block ×3, first 2 shown]
	v_cndmask_b32_e32 v88, 0xff7fffff, v88, vcc_lo
	v_cndmask_b32_e64 v87, 0xff7fffff, v87, s2
	v_dual_mul_f32 v76, s19, v140 :: v_dual_mul_f32 v77, s19, v139
	v_mul_f32_e32 v90, s19, v117
	v_cndmask_b32_e64 v86, 0xff7fffff, v86, s3
	v_cndmask_b32_e64 v78, 0xff7fffff, v78, s4
	v_max3_f32 v87, v88, 0xff7fffff, v87
	v_or_b32_e32 v81, 16, v128
	v_or_b32_e32 v82, 18, v128
	v_dual_mul_f32 v74, s19, v142 :: v_dual_mul_f32 v75, s19, v141
	v_mul_f32_e32 v92, s19, v115
	v_cndmask_b32_e64 v77, 0xff7fffff, v77, s5
	v_cndmask_b32_e64 v76, 0xff7fffff, v76, s6
	v_max3_f32 v78, v87, v86, v78
	v_cmp_gt_i32_e64 s7, s24, v79
	v_cmp_gt_i32_e64 s8, s24, v80
	v_or_b32_e32 v83, 20, v128
	v_or_b32_e32 v84, 22, v128
	v_dual_mul_f32 v89, s19, v118 :: v_dual_mul_f32 v96, s19, v111
	v_mul_f32_e32 v95, s19, v112
	v_cndmask_b32_e64 v75, 0xff7fffff, v75, s7
	v_cndmask_b32_e64 v74, 0xff7fffff, v74, s8
	v_max3_f32 v76, v78, v77, v76
	v_cmp_gt_i32_e64 s9, s24, v81
	v_cmp_gt_i32_e64 s10, s24, v82
	v_or_b32_e32 v85, 24, v128
	v_or_b32_e32 v71, 26, v128
	v_mul_f32_e32 v93, s19, v114
	v_cndmask_b32_e64 v77, 0xff7fffff, v96, s9
	v_cndmask_b32_e64 v78, 0xff7fffff, v95, s10
	v_max3_f32 v74, v76, v75, v74
	v_cmp_gt_i32_e64 s11, s24, v83
	v_cmp_gt_i32_e64 s12, s24, v84
	v_or_b32_e32 v72, 28, v128
	v_or_b32_e32 v73, 30, v128
	v_mul_f32_e32 v91, s19, v116
	v_cndmask_b32_e64 v75, 0xff7fffff, v94, s11
	v_cndmask_b32_e64 v76, 0xff7fffff, v93, s12
	v_max3_f32 v74, v74, v77, v78
	v_cmp_gt_i32_e64 s13, s24, v85
	v_cmp_gt_i32_e64 s15, s24, v71
	;; [unrolled: 1-line block ×4, first 2 shown]
	v_max3_f32 v74, v74, v75, v76
	v_cndmask_b32_e64 v77, 0xff7fffff, v92, s13
	v_cndmask_b32_e64 v71, 0xff7fffff, v91, s15
	;; [unrolled: 1-line block ×4, first 2 shown]
	s_delay_alu instid0(VALU_DEP_3) | instskip(SKIP_1) | instid1(VALU_DEP_2)
	v_max3_f32 v71, v74, v77, v71
	v_lshlrev_b32_e32 v74, 2, v127
	v_max3_f32 v71, v71, v72, v73
	ds_bpermute_b32 v72, v74, v71
	s_waitcnt lgkmcnt(0)
	v_max_f32_e32 v72, v72, v72
	s_delay_alu instid0(VALU_DEP_1) | instskip(NEXT) | instid1(VALU_DEP_1)
	v_max_f32_e32 v71, v71, v72
	v_fma_f32 v75, s19, v137, -v71
	v_fma_f32 v76, s19, v138, -v71
	;; [unrolled: 1-line block ×5, first 2 shown]
	s_delay_alu instid0(VALU_DEP_4) | instskip(NEXT) | instid1(VALU_DEP_4)
	v_dual_mul_f32 v75, 0x3fb8aa3b, v75 :: v_dual_mul_f32 v76, 0x3fb8aa3b, v76
	v_mul_f32_e32 v72, 0x3fb8aa3b, v72
	v_fma_f32 v77, s19, v139, -v71
	s_delay_alu instid0(VALU_DEP_4) | instskip(NEXT) | instid1(VALU_DEP_4)
	v_mul_f32_e32 v73, 0x3fb8aa3b, v73
	v_exp_f32_e32 v75, v75
	v_exp_f32_e32 v76, v76
	;; [unrolled: 1-line block ×3, first 2 shown]
	s_delay_alu instid0(VALU_DEP_1) | instskip(SKIP_2) | instid1(TRANS32_DEP_3)
	v_exp_f32_e32 v73, v73
	v_cndmask_b32_e64 v81, 0, v75, s3
	v_mul_f32_e32 v82, 0x3fb8aa3b, v80
	v_cndmask_b32_e64 v80, 0, v76, s4
	s_waitcnt_depctr 0xfff
	v_cndmask_b32_e64 v78, 0, v73, s2
	v_cmp_gt_u32_e64 s2, 16, v70
	v_exp_f32_e32 v84, v82
	s_waitcnt_depctr 0xfff
	v_cndmask_b32_e64 v85, 0, v84, s7
	v_cndmask_b32_e32 v79, 0, v72, vcc_lo
	v_fma_f32 v72, s19, v140, -v71
	v_mul_f32_e32 v77, 0x3fb8aa3b, v77
	s_delay_alu instid0(VALU_DEP_2) | instskip(NEXT) | instid1(VALU_DEP_2)
	v_dual_add_f32 v73, 0, v79 :: v_dual_mul_f32 v72, 0x3fb8aa3b, v72
	v_exp_f32_e32 v77, v77
	s_delay_alu instid0(VALU_DEP_1) | instskip(NEXT) | instid1(VALU_DEP_2)
	v_add_f32_e32 v73, v73, v78
	v_exp_f32_e32 v72, v72
	s_delay_alu instid0(VALU_DEP_1) | instskip(SKIP_4) | instid1(VALU_DEP_2)
	v_add_f32_e32 v73, v73, v81
	s_waitcnt_depctr 0xfff
	v_cndmask_b32_e64 v83, 0, v77, s5
	v_add_f32_e32 v73, v73, v80
	v_cndmask_b32_e64 v82, 0, v72, s6
	v_add_f32_e32 v72, v73, v83
	s_delay_alu instid0(VALU_DEP_1)
	v_add_f32_e32 v72, v72, v82
	v_fma_f32 v75, s19, v142, -v71
	v_fma_f32 v76, s19, v111, -v71
	;; [unrolled: 1-line block ×5, first 2 shown]
	s_delay_alu instid0(VALU_DEP_4) | instskip(NEXT) | instid1(VALU_DEP_4)
	v_dual_mul_f32 v75, 0x3fb8aa3b, v75 :: v_dual_mul_f32 v76, 0x3fb8aa3b, v76
	v_mul_f32_e32 v86, 0x3fb8aa3b, v86
	v_add_f32_e32 v72, v72, v85
	s_delay_alu instid0(VALU_DEP_3) | instskip(NEXT) | instid1(VALU_DEP_3)
	v_exp_f32_e32 v75, v75
	v_exp_f32_e32 v76, v76
	s_delay_alu instid0(VALU_DEP_2) | instskip(NEXT) | instid1(TRANS32_DEP_3)
	v_exp_f32_e32 v88, v86
	v_cndmask_b32_e64 v84, 0, v75, s8
	v_mul_f32_e32 v77, 0x3fb8aa3b, v77
	s_waitcnt_depctr 0xfff
	v_cndmask_b32_e64 v87, 0, v76, s9
	v_fma_f32 v76, s19, v116, -v71
	v_dual_mul_f32 v73, 0x3fb8aa3b, v73 :: v_dual_add_f32 v72, v72, v84
	v_exp_f32_e32 v77, v77
	v_fma_f32 v75, s19, v115, -v71
	s_delay_alu instid0(VALU_DEP_3) | instskip(NEXT) | instid1(VALU_DEP_3)
	v_mul_f32_e32 v76, 0x3fb8aa3b, v76
	v_exp_f32_e32 v73, v73
	v_add_f32_e32 v72, v72, v87
	v_cndmask_b32_e64 v88, 0, v88, s12
	s_delay_alu instid0(VALU_DEP_3) | instskip(NEXT) | instid1(TRANS32_DEP_3)
	v_exp_f32_e32 v76, v76
	v_cndmask_b32_e64 v86, 0, v77, s10
	v_mul_f32_e32 v75, 0x3fb8aa3b, v75
	v_fma_f32 v77, s19, v117, -v71
	s_delay_alu instid0(TRANS32_DEP_2) | instskip(NEXT) | instid1(VALU_DEP_4)
	v_cndmask_b32_e64 v89, 0, v73, s11
	v_add_f32_e32 v72, v72, v86
	s_delay_alu instid0(VALU_DEP_4) | instskip(NEXT) | instid1(TRANS32_DEP_2)
	v_exp_f32_e32 v75, v75
	v_cndmask_b32_e64 v90, 0, v76, s15
	s_delay_alu instid0(VALU_DEP_2) | instskip(SKIP_2) | instid1(VALU_DEP_3)
	v_add_f32_e32 v72, v72, v89
	v_mul_f32_e32 v73, 0x3fb8aa3b, v77
	v_fma_f32 v77, s19, v118, -v71
	v_add_f32_e32 v72, v72, v88
	s_delay_alu instid0(VALU_DEP_3) | instskip(NEXT) | instid1(TRANS32_DEP_2)
	v_exp_f32_e32 v73, v73
	v_cndmask_b32_e64 v91, 0, v75, s13
	s_delay_alu instid0(VALU_DEP_1) | instskip(NEXT) | instid1(VALU_DEP_1)
	v_dual_mul_f32 v75, 0x3fb8aa3b, v77 :: v_dual_add_f32 v72, v72, v91
	v_exp_f32_e32 v75, v75
	s_waitcnt_depctr 0xfff
	v_cndmask_b32_e64 v93, 0, v73, s16
	v_add_f32_e32 v72, v72, v90
	s_delay_alu instid0(VALU_DEP_1) | instskip(SKIP_1) | instid1(VALU_DEP_1)
	v_add_f32_e32 v72, v72, v93
	v_cndmask_b32_e64 v92, 0, v75, s17
	v_add_f32_e32 v72, v72, v92
	ds_bpermute_b32 v73, v74, v72
	s_and_saveexec_b32 s3, s2
	s_cbranch_execz .LBB1088_12
; %bb.11:
	v_mul_u32_u24_e32 v70, 0x44, v69
	s_waitcnt lgkmcnt(0)
	v_add_f32_e32 v72, v72, v73
	s_delay_alu instid0(VALU_DEP_2) | instskip(NEXT) | instid1(VALU_DEP_1)
	v_lshl_add_u32 v70, v68, 2, v70
	v_add_nc_u32_e32 v70, 0x4000, v70
	ds_store_2addr_b32 v70, v71, v72 offset1:136
.LBB1088_12:
	s_or_b32 exec_lo, exec_lo, s3
	v_lshlrev_b32_e32 v70, 2, v68
	s_load_b32 s35, s[0:1], 0x94
	s_waitcnt lgkmcnt(0)
	s_barrier
	buffer_gl0_inv
	v_add_nc_u32_e32 v98, 0x4000, v70
	v_cmp_eq_u32_e32 vcc_lo, 1, v69
	v_cmp_eq_u32_e64 s3, 2, v69
	v_cmp_eq_u32_e64 s4, 3, v69
	;; [unrolled: 1-line block ×3, first 2 shown]
	ds_load_2addr_b32 v[70:71], v98 offset1:17
	ds_load_2addr_b32 v[72:73], v98 offset0:34 offset1:51
	ds_load_2addr_b32 v[74:75], v98 offset0:68 offset1:85
	;; [unrolled: 1-line block ×3, first 2 shown]
	v_cmp_eq_u32_e64 s6, 5, v69
	v_cmp_eq_u32_e64 s7, 7, v69
	s_waitcnt lgkmcnt(3)
	v_max3_f32 v76, v70, 0xff7fffff, v71
	s_waitcnt lgkmcnt(2)
	s_delay_alu instid0(VALU_DEP_1) | instskip(SKIP_1) | instid1(VALU_DEP_1)
	v_max3_f32 v76, v76, v72, v73
	s_waitcnt lgkmcnt(1)
	v_max3_f32 v76, v76, v74, v75
	s_waitcnt lgkmcnt(0)
	s_delay_alu instid0(VALU_DEP_1) | instskip(NEXT) | instid1(VALU_DEP_1)
	v_max3_f32 v76, v76, v94, v95
	v_sub_f32_e32 v77, v71, v76
	ds_load_2addr_b32 v[96:97], v98 offset0:136 offset1:153
	v_sub_f32_e32 v74, v74, v76
	v_sub_f32_e32 v70, v70, v76
	;; [unrolled: 1-line block ×3, first 2 shown]
	v_dual_sub_f32 v72, v72, v76 :: v_dual_mul_f32 v77, 0x3fb8aa3b, v77
	s_delay_alu instid0(VALU_DEP_4) | instskip(NEXT) | instid1(VALU_DEP_4)
	v_mul_f32_e32 v103, 0x3fb8aa3b, v74
	v_mul_f32_e32 v99, 0x3fb8aa3b, v70
	ds_load_2addr_b32 v[70:71], v98 offset0:170 offset1:187
	v_dual_mul_f32 v101, 0x3fb8aa3b, v72 :: v_dual_mul_f32 v94, 0x3fb8aa3b, v94
	v_exp_f32_e32 v102, v77
	v_exp_f32_e32 v99, v99
	s_delay_alu instid0(VALU_DEP_1) | instskip(NEXT) | instid1(VALU_DEP_1)
	v_exp_f32_e32 v101, v101
	v_exp_f32_e32 v94, v94
	s_waitcnt lgkmcnt(1)
	s_delay_alu instid0(TRANS32_DEP_3)
	v_fma_f32 v77, v99, v96, 0
	v_sub_f32_e32 v100, v73, v76
	ds_load_2addr_b32 v[72:73], v98 offset0:204 offset1:221
	v_fmac_f32_e32 v77, v102, v97
	v_exp_f32_e32 v97, v103
	s_waitcnt lgkmcnt(1)
	s_delay_alu instid0(VALU_DEP_1)
	v_dual_fmac_f32 v77, v101, v70 :: v_dual_sub_f32 v96, v75, v76
	ds_load_2addr_b32 v[74:75], v98 offset0:238 offset1:255
	v_sub_f32_e32 v70, v95, v76
	s_waitcnt lgkmcnt(0)
	s_barrier
	v_mul_f32_e32 v96, 0x3fb8aa3b, v96
	buffer_gl0_inv
	v_exp_f32_e32 v95, v96
	v_mul_f32_e32 v100, 0x3fb8aa3b, v100
	s_delay_alu instid0(VALU_DEP_1) | instskip(SKIP_3) | instid1(VALU_DEP_2)
	v_exp_f32_e32 v100, v100
	s_waitcnt_depctr 0xfff
	v_dual_fmac_f32 v77, v100, v71 :: v_dual_mul_f32 v70, 0x3fb8aa3b, v70
	v_cndmask_b32_e32 v71, v99, v102, vcc_lo
	v_fmac_f32_e32 v77, v97, v72
	s_delay_alu instid0(VALU_DEP_3) | instskip(NEXT) | instid1(VALU_DEP_1)
	v_exp_f32_e32 v96, v70
	v_fmac_f32_e32 v77, v95, v73
	s_delay_alu instid0(VALU_DEP_1) | instskip(SKIP_2) | instid1(VALU_DEP_1)
	v_fmac_f32_e32 v77, v94, v74
	s_waitcnt_depctr 0xfff
	v_fmac_f32_e32 v77, v96, v75
	v_add_f32_e32 v74, 0x358637bd, v77
	s_delay_alu instid0(VALU_DEP_1) | instskip(SKIP_1) | instid1(VALU_DEP_2)
	v_div_scale_f32 v98, null, v74, v74, 1.0
	v_div_scale_f32 v99, vcc_lo, 1.0, v74, 1.0
	v_rcp_f32_e32 v103, v98
	s_waitcnt_depctr 0xfff
	v_fma_f32 v70, -v98, v103, 1.0
	s_delay_alu instid0(VALU_DEP_1) | instskip(SKIP_2) | instid1(VALU_DEP_2)
	v_fmac_f32_e32 v103, v70, v103
	v_cndmask_b32_e64 v70, v71, v101, s3
	v_cmp_eq_u32_e64 s3, 6, v69
	v_cndmask_b32_e64 v71, v70, v100, s4
	s_delay_alu instid0(VALU_DEP_4) | instskip(NEXT) | instid1(VALU_DEP_2)
	v_dual_mul_f32 v101, v99, v103 :: v_dual_lshlrev_b32 v70, 2, v66
	v_cndmask_b32_e64 v71, v71, v97, s5
	s_delay_alu instid0(VALU_DEP_2) | instskip(NEXT) | instid1(VALU_DEP_3)
	v_or_b32_e32 v72, 1, v70
	v_fma_f32 v100, -v98, v101, v99
	v_cmp_eq_u32_e64 s4, 1, v70
	v_cmp_eq_u32_e64 s5, 2, v70
	v_cndmask_b32_e64 v95, v71, v95, s6
	v_or_b32_e32 v71, 3, v70
	v_fmac_f32_e32 v101, v100, v103
	v_cmp_eq_u32_e64 s9, 1, v72
	v_cmp_eq_u32_e64 s12, 2, v72
	v_cndmask_b32_e64 v94, v95, v94, s3
	v_cmp_eq_u32_e64 s11, 1, v71
	v_fma_f32 v97, -v98, v101, v99
	v_cmp_eq_u32_e64 s16, 2, v71
	v_cmp_eq_u32_e64 s13, 3, v72
	v_cndmask_b32_e64 v94, v94, v96, s7
	v_cmp_eq_u32_e64 s18, 3, v71
	v_div_fmas_f32 v95, v97, v103, v101
	v_cmp_eq_u32_e32 vcc_lo, 3, v70
	v_cmp_eq_u32_e64 s3, 4, v70
	v_cmp_eq_u32_e64 s19, 4, v72
	;; [unrolled: 1-line block ×3, first 2 shown]
	v_div_fixup_f32 v95, v95, v74, 1.0
	v_lshlrev_b32_e32 v73, 6, v68
	v_cmp_eq_u32_e64 s6, 5, v70
	v_cmp_eq_u32_e64 s20, 5, v72
	;; [unrolled: 1-line block ×3, first 2 shown]
	v_mul_f32_e32 v102, v94, v95
	v_lshl_or_b32 v75, v69, 11, v73
	v_or_b32_e32 v69, 2, v70
	v_cmp_eq_u32_e64 s25, 6, v72
	v_cmp_eq_u32_e64 s27, 6, v71
	v_fma_mixlo_f16 v94, v102, v79, 0
	v_fma_mixlo_f16 v95, v102, v81, 0
	;; [unrolled: 1-line block ×8, first 2 shown]
	v_lshl_or_b32 v74, v66, 4, v75
	v_fma_mixhi_f16 v94, v102, v78, 0
	v_fma_mixhi_f16 v95, v102, v80, 0
	;; [unrolled: 1-line block ×8, first 2 shown]
	ds_store_b128 v74, v[94:97]
	ds_store_b128 v74, v[98:101] offset:1024
	s_waitcnt lgkmcnt(0)
	s_barrier
	buffer_gl0_inv
	ds_load_b128 v[78:81], v75
	ds_load_b128 v[82:85], v75 offset:16
	ds_load_b128 v[86:89], v75 offset:1024
	;; [unrolled: 1-line block ×3, first 2 shown]
	v_cmp_eq_u32_e64 s10, 1, v69
	v_cmp_eq_u32_e64 s15, 2, v69
	;; [unrolled: 1-line block ×11, first 2 shown]
	s_waitcnt lgkmcnt(3)
	v_lshrrev_b32_e32 v94, 16, v78
	s_waitcnt lgkmcnt(2)
	v_lshrrev_b32_e32 v98, 16, v82
	;; [unrolled: 2-line block ×4, first 2 shown]
	v_lshrrev_b32_e32 v95, 16, v79
	v_cndmask_b32_e64 v110, v78, v94, s4
	v_cndmask_b32_e64 v111, v82, v98, s4
	;; [unrolled: 1-line block ×8, first 2 shown]
	v_lshrrev_b32_e32 v99, 16, v83
	v_cndmask_b32_e64 v94, v86, v102, s4
	v_cndmask_b32_e64 v98, v90, v106, s4
	;; [unrolled: 1-line block ×15, first 2 shown]
	v_lshrrev_b32_e32 v103, 16, v87
	v_lshrrev_b32_e32 v107, 16, v91
	v_cndmask_b32_e64 v113, v115, v83, s15
	v_cndmask_b32_e64 v82, v94, v87, s5
	;; [unrolled: 1-line block ×7, first 2 shown]
	v_cndmask_b32_e32 v90, v102, v95, vcc_lo
	v_cndmask_b32_e32 v102, v106, v99, vcc_lo
	v_cndmask_b32_e64 v106, v110, v95, s13
	v_cndmask_b32_e64 v110, v111, v99, s13
	;; [unrolled: 1-line block ×4, first 2 shown]
	v_lshrrev_b32_e32 v96, 16, v80
	v_lshrrev_b32_e32 v100, 16, v84
	v_cndmask_b32_e64 v111, v112, v95, s17
	v_cndmask_b32_e64 v112, v113, v99, s17
	v_cndmask_b32_e32 v82, v82, v103, vcc_lo
	v_cndmask_b32_e32 v83, v83, v107, vcc_lo
	v_cndmask_b32_e64 v94, v94, v103, s13
	v_cndmask_b32_e64 v90, v90, v80, s3
	v_cndmask_b32_e64 v95, v102, v84, s3
	v_cndmask_b32_e64 v99, v106, v80, s19
	v_cndmask_b32_e64 v102, v110, v84, s19
	v_cndmask_b32_e64 v78, v78, v80, s22
	v_cndmask_b32_e64 v79, v79, v84, s22
	v_lshrrev_b32_e32 v104, 16, v88
	v_cndmask_b32_e64 v106, v111, v80, s21
	v_cndmask_b32_e64 v110, v112, v84, s21
	;; [unrolled: 1-line block ×11, first 2 shown]
	v_lshrrev_b32_e32 v97, 16, v81
	v_lshrrev_b32_e32 v101, 16, v85
	v_cndmask_b32_e64 v99, v106, v96, s23
	v_cndmask_b32_e64 v102, v110, v100, s23
	;; [unrolled: 1-line block ×7, first 2 shown]
	v_lshrrev_b32_e32 v105, 16, v89
	v_cndmask_b32_e64 v80, v80, v104, s6
	v_cndmask_b32_e64 v84, v84, v81, s7
	;; [unrolled: 1-line block ×16, first 2 shown]
	v_perm_b32 v81, v79, v78, 0x5040100
	v_perm_b32 v79, v95, v85, 0x5040100
	v_cndmask_b32_e64 v78, v119, v91, s15
	v_cndmask_b32_e64 v85, v117, v91, s12
	;; [unrolled: 1-line block ×3, first 2 shown]
	v_perm_b32 v80, v94, v90, 0x5040100
	v_cndmask_b32_e64 v90, v98, v103, s17
	v_cndmask_b32_e64 v86, v86, v103, s18
	;; [unrolled: 1-line block ×5, first 2 shown]
	v_lshrrev_b32_e32 v108, 16, v92
	v_cndmask_b32_e64 v90, v90, v88, s21
	v_cndmask_b32_e64 v86, v86, v88, s22
	;; [unrolled: 1-line block ×11, first 2 shown]
	v_lshrrev_b32_e32 v109, 16, v93
	v_cndmask_b32_e64 v82, v82, v93, s7
	v_cndmask_b32_e64 v88, v88, v89, s26
	;; [unrolled: 1-line block ×12, first 2 shown]
	v_perm_b32 v78, v84, v83, 0x5040100
	v_perm_b32 v85, v87, v86, 0x5040100
	;; [unrolled: 1-line block ×5, first 2 shown]
	s_mul_i32 s8, s33, 3
	s_mov_b32 s3, exec_lo
	ds_store_b128 v74, v[78:81]
	ds_store_b128 v74, v[82:85] offset:1024
	v_cmpx_gt_u32_e32 3, v0
	s_cbranch_execz .LBB1088_14
; %bb.13:
	s_mul_i32 s4, s8, s34
	s_delay_alu instid0(SALU_CYCLE_1) | instskip(SKIP_1) | instid1(VALU_DEP_1)
	v_add3_u32 v68, s4, s31, v68
	s_load_b128 s[4:7], s[0:1], 0x58
	v_mad_u64_u32 v[78:79], null, v68, s35, s[14:15]
	s_delay_alu instid0(VALU_DEP_1) | instskip(NEXT) | instid1(VALU_DEP_1)
	v_ashrrev_i32_e32 v79, 31, v78
	v_lshlrev_b64 v[78:79], 2, v[78:79]
	s_waitcnt lgkmcnt(0)
	s_delay_alu instid0(VALU_DEP_1) | instskip(NEXT) | instid1(VALU_DEP_2)
	v_add_co_u32 v80, vcc_lo, s6, v78
	v_add_co_ci_u32_e32 v81, vcc_lo, s7, v79, vcc_lo
	v_add_co_u32 v78, vcc_lo, s4, v78
	v_add_co_ci_u32_e32 v79, vcc_lo, s5, v79, vcc_lo
	global_store_b32 v[80:81], v76, off
	global_store_b32 v[78:79], v77, off
.LBB1088_14:
	s_or_b32 exec_lo, exec_lo, s3
	s_waitcnt lgkmcnt(0)
	s_waitcnt_vscnt null, 0x0
	s_barrier
	buffer_gl0_inv
	ds_load_b128 v[84:87], v73
	ds_load_b128 v[88:91], v73 offset:16
	ds_load_b128 v[96:99], v73 offset:2064
	;; [unrolled: 1-line block ×5, first 2 shown]
	v_cmp_eq_u32_e32 vcc_lo, 1, v70
	v_mov_b32_e32 v76, 0
	ds_load_b128 v[112:115], v73 offset:6160
	ds_load_b128 v[108:111], v73 offset:6144
	;; [unrolled: 1-line block ×4, first 2 shown]
	v_cmp_eq_u32_e64 s4, 1, v69
	v_cmp_eq_u32_e64 s3, 1, v72
	;; [unrolled: 1-line block ×3, first 2 shown]
	v_mov_b32_e32 v77, v76
	v_mov_b32_e32 v78, v76
	;; [unrolled: 1-line block ×7, first 2 shown]
	v_cmp_eq_u32_e64 s6, 3, v72
	v_cmp_eq_u32_e64 s7, 7, v72
	s_waitcnt lgkmcnt(8)
	s_delay_alu instid0(VALU_DEP_3)
	v_wmma_f32_16x16x16_f16 v[76:83], v[49:56], v[84:91], v[76:83]
	ds_load_b128 v[53:56], v73 offset:10256
	ds_load_b128 v[49:52], v73 offset:10240
	s_waitcnt lgkmcnt(8)
	v_wmma_f32_16x16x16_f16 v[76:83], v[41:48], v[92:99], v[76:83]
	ds_load_b128 v[45:48], v73 offset:12304
	ds_load_b128 v[41:44], v73 offset:12288
	s_waitcnt lgkmcnt(8)
	;; [unrolled: 4-line block ×3, first 2 shown]
	s_barrier
	buffer_gl0_inv
	v_wmma_f32_16x16x16_f16 v[76:83], v[1:8], v[108:115], v[76:83]
	s_delay_alu instid0(VALU_DEP_1) | instskip(NEXT) | instid1(VALU_DEP_1)
	v_wmma_f32_16x16x16_f16 v[76:83], v[9:16], v[116:123], v[76:83]
	v_wmma_f32_16x16x16_f16 v[76:83], v[17:24], v[49:56], v[76:83]
	s_delay_alu instid0(VALU_DEP_1) | instskip(NEXT) | instid1(VALU_DEP_1)
	v_wmma_f32_16x16x16_f16 v[76:83], v[25:32], v[41:48], v[76:83]
	v_wmma_f32_16x16x16_f16 v[76:83], v[57:64], v[33:40], v[76:83]
	s_delay_alu instid0(VALU_DEP_1) | instskip(NEXT) | instid1(VALU_DEP_2)
	v_cvt_f16_f32_e32 v1, v76
	v_cvt_f16_f32_e32 v2, v77
	s_delay_alu instid0(VALU_DEP_3) | instskip(NEXT) | instid1(VALU_DEP_4)
	v_cvt_f16_f32_e32 v3, v78
	v_cvt_f16_f32_e32 v4, v79
	;; [unrolled: 1-line block ×6, first 2 shown]
	v_pack_b32_f16 v1, v1, v2
	v_pack_b32_f16 v2, v3, v4
	;; [unrolled: 1-line block ×3, first 2 shown]
	s_delay_alu instid0(VALU_DEP_4)
	v_pack_b32_f16 v4, v7, v8
	ds_store_b128 v74, v[1:4]
	s_waitcnt lgkmcnt(0)
	s_barrier
	buffer_gl0_inv
	ds_load_b128 v[1:4], v75
	ds_load_b128 v[5:8], v75 offset:16
	s_waitcnt lgkmcnt(1)
	v_lshrrev_b32_e32 v9, 16, v1
	s_waitcnt lgkmcnt(0)
	v_lshrrev_b32_e32 v13, 16, v5
	v_lshrrev_b32_e32 v10, 16, v2
	;; [unrolled: 1-line block ×4, first 2 shown]
	v_cndmask_b32_e32 v17, v1, v9, vcc_lo
	v_cndmask_b32_e32 v18, v5, v13, vcc_lo
	v_cndmask_b32_e64 v21, v1, v9, s4
	v_cmp_eq_u32_e32 vcc_lo, 1, v71
	v_cndmask_b32_e64 v22, v5, v13, s4
	v_cmp_eq_u32_e64 s4, 2, v70
	v_cndmask_b32_e64 v19, v1, v9, s3
	v_cndmask_b32_e64 v20, v5, v13, s3
	v_cndmask_b32_e32 v1, v1, v9, vcc_lo
	v_cmp_eq_u32_e64 s3, 2, v71
	v_cndmask_b32_e32 v5, v5, v13, vcc_lo
	v_cndmask_b32_e64 v9, v17, v2, s4
	v_cmp_eq_u32_e32 vcc_lo, 3, v70
	v_cndmask_b32_e64 v13, v18, v6, s4
	v_cmp_eq_u32_e64 s4, 2, v69
	v_cndmask_b32_e64 v17, v19, v2, s5
	v_cndmask_b32_e64 v18, v20, v6, s5
	v_cmp_eq_u32_e64 s5, 3, v69
	v_cndmask_b32_e64 v1, v1, v2, s3
	v_cndmask_b32_e64 v19, v21, v2, s4
	;; [unrolled: 1-line block ×4, first 2 shown]
	v_cndmask_b32_e32 v5, v9, v10, vcc_lo
	v_cndmask_b32_e32 v6, v13, v14, vcc_lo
	v_cmp_eq_u32_e32 vcc_lo, 3, v71
	v_cndmask_b32_e64 v9, v17, v10, s6
	v_cndmask_b32_e64 v13, v18, v14, s6
	;; [unrolled: 1-line block ×3, first 2 shown]
	v_cmp_eq_u32_e64 s4, 4, v70
	v_cndmask_b32_e32 v1, v1, v10, vcc_lo
	v_cndmask_b32_e32 v2, v2, v14, vcc_lo
	v_cmp_eq_u32_e32 vcc_lo, 4, v72
	v_lshrrev_b32_e32 v15, 16, v7
	v_lshrrev_b32_e32 v16, 16, v8
	v_cndmask_b32_e64 v17, v19, v10, s5
	v_cmp_eq_u32_e64 s3, 4, v71
	v_cndmask_b32_e64 v5, v5, v3, s4
	v_cndmask_b32_e64 v6, v6, v7, s4
	v_cndmask_b32_e32 v9, v9, v3, vcc_lo
	v_cmp_eq_u32_e64 s4, 5, v72
	v_cndmask_b32_e32 v10, v13, v7, vcc_lo
	v_cmp_eq_u32_e32 vcc_lo, 4, v69
	v_cmp_eq_u32_e64 s5, 5, v70
	v_cndmask_b32_e64 v2, v2, v7, s3
	v_cndmask_b32_e64 v9, v9, v11, s4
	;; [unrolled: 1-line block ×3, first 2 shown]
	v_cndmask_b32_e32 v13, v17, v3, vcc_lo
	v_cmp_eq_u32_e64 s4, 5, v69
	v_cndmask_b32_e32 v14, v18, v7, vcc_lo
	v_cndmask_b32_e64 v1, v1, v3, s3
	v_cmp_eq_u32_e32 vcc_lo, 5, v71
	v_lshrrev_b32_e32 v12, 16, v4
	v_cndmask_b32_e64 v13, v13, v11, s4
	v_cndmask_b32_e64 v3, v14, v15, s4
	v_cmp_eq_u32_e64 s4, 6, v71
	v_cndmask_b32_e32 v1, v1, v11, vcc_lo
	v_cndmask_b32_e64 v5, v5, v11, s5
	v_cmp_eq_u32_e64 s6, 6, v70
	v_cndmask_b32_e64 v6, v6, v15, s5
	v_cmp_eq_u32_e64 s5, 6, v72
	v_cmp_eq_u32_e64 s3, 6, v69
	v_cndmask_b32_e64 v1, v1, v4, s4
	v_cndmask_b32_e32 v2, v2, v15, vcc_lo
	v_cmp_eq_u32_e32 vcc_lo, 7, v71
	v_cndmask_b32_e64 v5, v5, v4, s6
	v_cndmask_b32_e64 v9, v9, v4, s5
	;; [unrolled: 1-line block ×3, first 2 shown]
	v_cmp_eq_u32_e64 s6, 7, v70
	v_cndmask_b32_e32 v1, v1, v12, vcc_lo
	v_cndmask_b32_e64 v7, v13, v4, s3
	v_cndmask_b32_e64 v3, v3, v8, s3
	;; [unrolled: 1-line block ×3, first 2 shown]
	v_cmp_eq_u32_e64 s3, 7, v69
	v_cndmask_b32_e64 v4, v10, v8, s5
	v_cndmask_b32_e64 v5, v5, v12, s6
	;; [unrolled: 1-line block ×3, first 2 shown]
	v_cndmask_b32_e32 v2, v2, v16, vcc_lo
	v_cndmask_b32_e64 v7, v7, v12, s3
	v_cndmask_b32_e64 v3, v3, v16, s3
	;; [unrolled: 1-line block ×4, first 2 shown]
	v_perm_b32 v4, v2, v1, 0x5040100
	s_mov_b32 s3, exec_lo
	v_perm_b32 v3, v3, v7, 0x5040100
	v_perm_b32 v2, v8, v9, 0x5040100
	;; [unrolled: 1-line block ×3, first 2 shown]
	ds_store_b128 v74, v[1:4]
	s_waitcnt lgkmcnt(0)
	s_barrier
	buffer_gl0_inv
	v_cmpx_gt_u32_e32 32, v0
	s_cbranch_execz .LBB1088_2
; %bb.15:
	s_load_b64 s[4:5], s[0:1], 0x68
	v_lshlrev_b32_e32 v0, 10, v0
	v_lshlrev_b32_e32 v2, 4, v67
	v_add_nc_u32_e32 v1, s31, v66
	s_lshl_b32 s0, s35, 7
	s_delay_alu instid0(SALU_CYCLE_1) | instskip(NEXT) | instid1(VALU_DEP_2)
	s_mul_i32 s1, s0, s34
	v_and_or_b32 v0, 0x3800, v0, v2
	s_mul_i32 s6, s1, s8
	v_mul_lo_u32 v1, v1, s0
	s_ashr_i32 s7, s6, 31
	s_delay_alu instid0(VALU_DEP_2) | instskip(SKIP_1) | instid1(VALU_DEP_2)
	v_lshl_or_b32 v3, v66, 6, v0
	s_lshl_b64 s[6:7], s[6:7], 1
	v_ashrrev_i32_e32 v2, 31, v1
	ds_load_b128 v[3:6], v3
	s_waitcnt lgkmcnt(0)
	s_add_u32 s1, s4, s6
	s_addc_u32 s3, s5, s7
	s_lshl_b32 s4, s14, 7
	v_lshlrev_b64 v[7:8], 1, v[1:2]
	s_ashr_i32 s5, s4, 31
	s_delay_alu instid0(SALU_CYCLE_1) | instskip(NEXT) | instid1(SALU_CYCLE_1)
	s_lshl_b64 s[4:5], s[4:5], 1
	s_add_u32 s1, s1, s4
	s_addc_u32 s3, s3, s5
	v_add_co_u32 v1, s1, s1, v65
	s_delay_alu instid0(VALU_DEP_1) | instskip(NEXT) | instid1(VALU_DEP_2)
	v_add_co_ci_u32_e64 v2, null, s3, 0, s1
	v_add_co_u32 v7, vcc_lo, v1, v7
	s_delay_alu instid0(VALU_DEP_2)
	v_add_co_ci_u32_e32 v8, vcc_lo, v2, v8, vcc_lo
	global_store_b128 v[7:8], v[3:6], off
	s_and_b32 exec_lo, exec_lo, s2
	s_cbranch_execz .LBB1088_2
; %bb.16:
	ds_load_b128 v[3:6], v0 offset:128
	s_add_i32 s1, s31, 2
	s_delay_alu instid0(SALU_CYCLE_1) | instskip(NEXT) | instid1(SALU_CYCLE_1)
	s_mul_i32 s0, s1, s0
	s_ashr_i32 s1, s0, 31
	s_delay_alu instid0(SALU_CYCLE_1) | instskip(NEXT) | instid1(SALU_CYCLE_1)
	s_lshl_b64 s[0:1], s[0:1], 1
	v_add_co_u32 v0, vcc_lo, v1, s0
	v_add_co_ci_u32_e32 v1, vcc_lo, s1, v2, vcc_lo
	s_waitcnt lgkmcnt(0)
	global_store_b128 v[0:1], v[3:6], off
	s_nop 0
	s_sendmsg sendmsg(MSG_DEALLOC_VGPRS)
	s_endpgm
	.section	.rodata,"a",@progbits
	.p2align	6, 0x0
	.amdhsa_kernel _Z39paged_attention_ll4mi_QKV_mfma16_kernelIDF16_hLN4vllm18Fp8KVCacheDataTypeE1EDF16_Li32ELi128ELi256ELb0ELi3EL8MFMAType1EEvPKT_PKT0_S8_ifPKiSA_SA_iPKfiiiPfSD_PS3_PT2_iSC_SC_
		.amdhsa_group_segment_fixed_size 17472
		.amdhsa_private_segment_fixed_size 0
		.amdhsa_kernarg_size 400
		.amdhsa_user_sgpr_count 13
		.amdhsa_user_sgpr_dispatch_ptr 0
		.amdhsa_user_sgpr_queue_ptr 0
		.amdhsa_user_sgpr_kernarg_segment_ptr 1
		.amdhsa_user_sgpr_dispatch_id 0
		.amdhsa_user_sgpr_private_segment_size 0
		.amdhsa_wavefront_size32 1
		.amdhsa_uses_dynamic_stack 0
		.amdhsa_enable_private_segment 0
		.amdhsa_system_sgpr_workgroup_id_x 1
		.amdhsa_system_sgpr_workgroup_id_y 1
		.amdhsa_system_sgpr_workgroup_id_z 1
		.amdhsa_system_sgpr_workgroup_info 0
		.amdhsa_system_vgpr_workitem_id 0
		.amdhsa_next_free_vgpr 150
		.amdhsa_next_free_sgpr 37
		.amdhsa_reserve_vcc 1
		.amdhsa_float_round_mode_32 0
		.amdhsa_float_round_mode_16_64 0
		.amdhsa_float_denorm_mode_32 3
		.amdhsa_float_denorm_mode_16_64 3
		.amdhsa_dx10_clamp 1
		.amdhsa_ieee_mode 1
		.amdhsa_fp16_overflow 0
		.amdhsa_workgroup_processor_mode 1
		.amdhsa_memory_ordered 1
		.amdhsa_forward_progress 0
		.amdhsa_shared_vgpr_count 0
		.amdhsa_exception_fp_ieee_invalid_op 0
		.amdhsa_exception_fp_denorm_src 0
		.amdhsa_exception_fp_ieee_div_zero 0
		.amdhsa_exception_fp_ieee_overflow 0
		.amdhsa_exception_fp_ieee_underflow 0
		.amdhsa_exception_fp_ieee_inexact 0
		.amdhsa_exception_int_div_zero 0
	.end_amdhsa_kernel
	.section	.text._Z39paged_attention_ll4mi_QKV_mfma16_kernelIDF16_hLN4vllm18Fp8KVCacheDataTypeE1EDF16_Li32ELi128ELi256ELb0ELi3EL8MFMAType1EEvPKT_PKT0_S8_ifPKiSA_SA_iPKfiiiPfSD_PS3_PT2_iSC_SC_,"axG",@progbits,_Z39paged_attention_ll4mi_QKV_mfma16_kernelIDF16_hLN4vllm18Fp8KVCacheDataTypeE1EDF16_Li32ELi128ELi256ELb0ELi3EL8MFMAType1EEvPKT_PKT0_S8_ifPKiSA_SA_iPKfiiiPfSD_PS3_PT2_iSC_SC_,comdat
.Lfunc_end1088:
	.size	_Z39paged_attention_ll4mi_QKV_mfma16_kernelIDF16_hLN4vllm18Fp8KVCacheDataTypeE1EDF16_Li32ELi128ELi256ELb0ELi3EL8MFMAType1EEvPKT_PKT0_S8_ifPKiSA_SA_iPKfiiiPfSD_PS3_PT2_iSC_SC_, .Lfunc_end1088-_Z39paged_attention_ll4mi_QKV_mfma16_kernelIDF16_hLN4vllm18Fp8KVCacheDataTypeE1EDF16_Li32ELi128ELi256ELb0ELi3EL8MFMAType1EEvPKT_PKT0_S8_ifPKiSA_SA_iPKfiiiPfSD_PS3_PT2_iSC_SC_
                                        ; -- End function
	.section	.AMDGPU.csdata,"",@progbits
; Kernel info:
; codeLenInByte = 6604
; NumSgprs: 39
; NumVgprs: 150
; ScratchSize: 0
; MemoryBound: 0
; FloatMode: 240
; IeeeMode: 1
; LDSByteSize: 17472 bytes/workgroup (compile time only)
; SGPRBlocks: 4
; VGPRBlocks: 18
; NumSGPRsForWavesPerEU: 39
; NumVGPRsForWavesPerEU: 150
; Occupancy: 9
; WaveLimiterHint : 1
; COMPUTE_PGM_RSRC2:SCRATCH_EN: 0
; COMPUTE_PGM_RSRC2:USER_SGPR: 13
; COMPUTE_PGM_RSRC2:TRAP_HANDLER: 0
; COMPUTE_PGM_RSRC2:TGID_X_EN: 1
; COMPUTE_PGM_RSRC2:TGID_Y_EN: 1
; COMPUTE_PGM_RSRC2:TGID_Z_EN: 1
; COMPUTE_PGM_RSRC2:TIDIG_COMP_CNT: 0
	.section	.text._Z39paged_attention_ll4mi_QKV_mfma16_kernelIDF16_hLN4vllm18Fp8KVCacheDataTypeE1EDF16_Li32ELi128ELi256ELb0ELi4EL8MFMAType1EEvPKT_PKT0_S8_ifPKiSA_SA_iPKfiiiPfSD_PS3_PT2_iSC_SC_,"axG",@progbits,_Z39paged_attention_ll4mi_QKV_mfma16_kernelIDF16_hLN4vllm18Fp8KVCacheDataTypeE1EDF16_Li32ELi128ELi256ELb0ELi4EL8MFMAType1EEvPKT_PKT0_S8_ifPKiSA_SA_iPKfiiiPfSD_PS3_PT2_iSC_SC_,comdat
	.protected	_Z39paged_attention_ll4mi_QKV_mfma16_kernelIDF16_hLN4vllm18Fp8KVCacheDataTypeE1EDF16_Li32ELi128ELi256ELb0ELi4EL8MFMAType1EEvPKT_PKT0_S8_ifPKiSA_SA_iPKfiiiPfSD_PS3_PT2_iSC_SC_ ; -- Begin function _Z39paged_attention_ll4mi_QKV_mfma16_kernelIDF16_hLN4vllm18Fp8KVCacheDataTypeE1EDF16_Li32ELi128ELi256ELb0ELi4EL8MFMAType1EEvPKT_PKT0_S8_ifPKiSA_SA_iPKfiiiPfSD_PS3_PT2_iSC_SC_
	.globl	_Z39paged_attention_ll4mi_QKV_mfma16_kernelIDF16_hLN4vllm18Fp8KVCacheDataTypeE1EDF16_Li32ELi128ELi256ELb0ELi4EL8MFMAType1EEvPKT_PKT0_S8_ifPKiSA_SA_iPKfiiiPfSD_PS3_PT2_iSC_SC_
	.p2align	8
	.type	_Z39paged_attention_ll4mi_QKV_mfma16_kernelIDF16_hLN4vllm18Fp8KVCacheDataTypeE1EDF16_Li32ELi128ELi256ELb0ELi4EL8MFMAType1EEvPKT_PKT0_S8_ifPKiSA_SA_iPKfiiiPfSD_PS3_PT2_iSC_SC_,@function
_Z39paged_attention_ll4mi_QKV_mfma16_kernelIDF16_hLN4vllm18Fp8KVCacheDataTypeE1EDF16_Li32ELi128ELi256ELb0ELi4EL8MFMAType1EEvPKT_PKT0_S8_ifPKiSA_SA_iPKfiiiPfSD_PS3_PT2_iSC_SC_: ; @_Z39paged_attention_ll4mi_QKV_mfma16_kernelIDF16_hLN4vllm18Fp8KVCacheDataTypeE1EDF16_Li32ELi128ELi256ELb0ELi4EL8MFMAType1EEvPKT_PKT0_S8_ifPKiSA_SA_iPKfiiiPfSD_PS3_PT2_iSC_SC_
; %bb.0:
	s_load_b64 s[4:5], s[0:1], 0x30
	s_mov_b32 s30, s13
	s_waitcnt lgkmcnt(0)
	s_cmp_lg_u64 s[4:5], 0
	s_cselect_b32 s13, -1, 0
	s_ashr_i32 s31, s30, 31
	s_cmp_eq_u64 s[4:5], 0
	s_cbranch_scc1 .LBB1089_3
; %bb.1:
	s_lshl_b64 s[2:3], s[30:31], 2
	s_delay_alu instid0(SALU_CYCLE_1) | instskip(SKIP_4) | instid1(SALU_CYCLE_1)
	s_add_u32 s2, s4, s2
	s_addc_u32 s3, s5, s3
	s_load_b64 s[2:3], s[2:3], 0x0
	s_waitcnt lgkmcnt(0)
	s_sub_i32 s2, s3, s2
	s_cmp_eq_u32 s2, 1
	s_cselect_b32 s2, -1, 0
	s_delay_alu instid0(SALU_CYCLE_1)
	s_and_not1_b32 vcc_lo, exec_lo, s2
	s_cbranch_vccz .LBB1089_4
.LBB1089_2:
	s_endpgm
.LBB1089_3:
.LBB1089_4:
	s_load_b64 s[2:3], s[0:1], 0x28
	s_lshl_b64 s[6:7], s[30:31], 2
	s_waitcnt lgkmcnt(0)
	s_add_u32 s2, s2, s6
	s_addc_u32 s3, s3, s7
	s_lshl_b32 s12, s14, 8
	s_load_b32 s17, s[2:3], 0x0
	s_waitcnt lgkmcnt(0)
	s_cmp_ge_i32 s12, s17
	s_cbranch_scc1 .LBB1089_2
; %bb.5:
	s_clause 0x1
	s_load_b128 s[8:11], s[0:1], 0x8
	s_load_b64 s[2:3], s[0:1], 0x20
	s_and_not1_b32 vcc_lo, exec_lo, s13
	s_cbranch_vccnz .LBB1089_7
; %bb.6:
	s_add_u32 s4, s4, s6
	s_addc_u32 s5, s5, s7
	s_load_b32 s13, s[4:5], 0x0
	s_branch .LBB1089_8
.LBB1089_7:
	s_mov_b32 s13, s30
.LBB1089_8:
	s_load_b128 s[4:7], s[0:1], 0x48
	v_and_b32_e32 v69, 15, v0
	v_lshrrev_b32_e32 v68, 5, v0
	v_and_b32_e32 v70, 31, v0
	v_and_b32_e32 v67, 1, v0
	v_bfe_u32 v66, v0, 4, 1
	v_lshlrev_b32_e32 v1, 3, v69
	s_lshl_b32 s31, s15, 2
	s_waitcnt lgkmcnt(0)
	s_mov_b32 s7, exec_lo
	s_delay_alu instid0(VALU_DEP_1)
	v_lshlrev_b32_e32 v65, 1, v1
	v_cmpx_gt_u32_e32 64, v0
	s_cbranch_execz .LBB1089_10
; %bb.9:
	v_lshl_or_b32 v5, v68, 1, v66
	s_load_b64 s[18:19], s[0:1], 0x0
	s_mul_hi_i32 s21, s13, s4
	s_mul_i32 s20, s13, s4
	v_lshlrev_b32_e32 v6, 10, v69
	v_or_b32_e32 v1, s31, v5
	s_lshl_b64 s[20:21], s[20:21], 1
	v_lshlrev_b32_e32 v5, 6, v5
	v_lshlrev_b32_e32 v7, 10, v67
	v_and_b32_e32 v6, 0x3800, v6
	v_lshlrev_b32_e32 v1, 7, v1
	s_delay_alu instid0(VALU_DEP_2) | instskip(NEXT) | instid1(VALU_DEP_2)
	v_or3_b32 v5, v6, v7, v5
	v_ashrrev_i32_e32 v2, 31, v1
	s_delay_alu instid0(VALU_DEP_1) | instskip(SKIP_3) | instid1(VALU_DEP_1)
	v_lshlrev_b64 v[1:2], 1, v[1:2]
	s_waitcnt lgkmcnt(0)
	s_add_u32 s4, s18, s20
	s_addc_u32 s13, s19, s21
	v_add_co_u32 v1, vcc_lo, s4, v1
	s_delay_alu instid0(VALU_DEP_2) | instskip(NEXT) | instid1(VALU_DEP_2)
	v_add_co_ci_u32_e32 v2, vcc_lo, s13, v2, vcc_lo
	v_add_co_u32 v1, vcc_lo, v1, v65
	s_delay_alu instid0(VALU_DEP_2)
	v_add_co_ci_u32_e32 v2, vcc_lo, 0, v2, vcc_lo
	global_load_b128 v[1:4], v[1:2], off
	s_waitcnt vmcnt(0)
	ds_store_b128 v5, v[1:4]
.LBB1089_10:
	s_or_b32 exec_lo, exec_lo, s7
	v_and_b32_e32 v1, 0xef, v0
	s_add_i32 s4, s17, 31
	s_clause 0x1
	s_load_b32 s7, s[0:1], 0x38
	s_load_b32 s33, s[0:1], 0x98
	s_ashr_i32 s13, s4, 31
	v_add_nc_u32_e32 v1, s12, v1
	s_lshr_b32 s13, s13, 27
	s_load_b32 s18, s[0:1], 0x1c
	s_add_i32 s4, s4, s13
	s_waitcnt lgkmcnt(0)
	v_ashrrev_i32_e32 v2, 31, v1
	v_or_b32_e32 v3, 16, v1
	s_ashr_i32 s4, s4, 5
	v_cmp_gt_i32_e32 vcc_lo, s17, v1
	s_add_i32 s4, s4, -1
	v_lshrrev_b32_e32 v2, 27, v2
	s_barrier
	buffer_gl0_inv
	s_mul_i32 s15, s15, s6
	v_add_nc_u32_e32 v4, v1, v2
	s_mul_i32 s20, s30, s7
	s_delay_alu instid0(SALU_CYCLE_1) | instskip(NEXT) | instid1(VALU_DEP_1)
	s_ashr_i32 s21, s20, 31
	v_ashrrev_i32_e32 v4, 5, v4
	v_add_nc_u32_e32 v2, v3, v2
	s_lshl_b64 s[20:21], s[20:21], 2
	s_delay_alu instid0(SALU_CYCLE_1) | instskip(NEXT) | instid1(VALU_DEP_2)
	s_add_u32 s13, s2, s20
	v_cndmask_b32_e32 v1, s4, v4, vcc_lo
	s_delay_alu instid0(VALU_DEP_2)
	v_ashrrev_i32_e32 v2, 5, v2
	v_cmp_gt_i32_e32 vcc_lo, s17, v3
	s_addc_u32 s16, s3, s21
	s_ashr_i32 s19, s15, 31
	s_add_u32 s2, s8, s15
	s_addc_u32 s3, s9, s19
	v_cndmask_b32_e32 v3, s4, v2, vcc_lo
	v_ashrrev_i32_e32 v2, 31, v1
	s_lshl_b32 s6, s14, 3
	s_delay_alu instid0(SALU_CYCLE_1) | instskip(NEXT) | instid1(VALU_DEP_2)
	s_ashr_i32 s7, s6, 31
	v_ashrrev_i32_e32 v4, 31, v3
	s_delay_alu instid0(VALU_DEP_2) | instskip(SKIP_1) | instid1(SALU_CYCLE_1)
	v_lshlrev_b64 v[1:2], 2, v[1:2]
	s_lshl_b64 s[6:7], s[6:7], 2
	s_add_u32 s6, s13, s6
	s_delay_alu instid0(VALU_DEP_2) | instskip(SKIP_1) | instid1(VALU_DEP_2)
	v_lshlrev_b64 v[3:4], 2, v[3:4]
	s_addc_u32 s7, s16, s7
	v_add_co_u32 v1, vcc_lo, s13, v1
	v_add_co_ci_u32_e32 v2, vcc_lo, s16, v2, vcc_lo
	s_delay_alu instid0(VALU_DEP_3) | instskip(NEXT) | instid1(VALU_DEP_4)
	v_add_co_u32 v3, vcc_lo, s13, v3
	v_add_co_ci_u32_e32 v4, vcc_lo, s16, v4, vcc_lo
	s_clause 0x1
	global_load_b32 v5, v[1:2], off
	global_load_b32 v6, v[3:4], off
	s_or_b32 s8, s12, 32
	s_delay_alu instid0(SALU_CYCLE_1) | instskip(SKIP_2) | instid1(SALU_CYCLE_1)
	s_ashr_i32 s9, s8, 5
	s_cmp_lt_i32 s8, s17
	s_cselect_b32 s8, s9, s4
	s_ashr_i32 s9, s8, 31
	s_delay_alu instid0(SALU_CYCLE_1) | instskip(NEXT) | instid1(SALU_CYCLE_1)
	s_lshl_b64 s[8:9], s[8:9], 2
	s_add_u32 s8, s13, s8
	s_addc_u32 s9, s16, s9
	s_or_b32 s20, s12, 64
	s_delay_alu instid0(SALU_CYCLE_1) | instskip(SKIP_2) | instid1(SALU_CYCLE_1)
	s_ashr_i32 s21, s20, 5
	s_cmp_lt_i32 s20, s17
	s_cselect_b32 s20, s21, s4
	s_ashr_i32 s21, s20, 31
	s_delay_alu instid0(SALU_CYCLE_1) | instskip(NEXT) | instid1(SALU_CYCLE_1)
	s_lshl_b64 s[20:21], s[20:21], 2
	s_add_u32 s20, s13, s20
	s_addc_u32 s21, s16, s21
	;; [unrolled: 10-line block ×5, first 2 shown]
	s_clause 0x5
	s_load_b32 s28, s[6:7], 0x0
	s_load_b32 s8, s[8:9], 0x0
	;; [unrolled: 1-line block ×6, first 2 shown]
	s_mov_b32 s20, 0
	s_delay_alu instid0(SALU_CYCLE_1)
	s_mov_b32 s21, s20
	s_mov_b32 s22, s20
	;; [unrolled: 1-line block ×7, first 2 shown]
	s_delay_alu instid0(SALU_CYCLE_1)
	v_dual_mov_b32 v102, s27 :: v_dual_mov_b32 v101, s26
	v_dual_mov_b32 v100, s25 :: v_dual_mov_b32 v99, s24
	v_mov_b32_e32 v97, s22
	v_dual_mov_b32 v95, s20 :: v_dual_mov_b32 v98, s23
	v_mov_b32_e32 v96, s21
	s_waitcnt vmcnt(1)
	v_mad_i64_i32 v[1:2], null, v5, s5, s[2:3]
	v_lshlrev_b32_e32 v5, 4, v69
	s_waitcnt vmcnt(0)
	v_mad_i64_i32 v[3:4], null, v6, s5, s[2:3]
	s_or_b32 s2, s12, 0xc0
	s_delay_alu instid0(SALU_CYCLE_1) | instskip(NEXT) | instid1(VALU_DEP_3)
	s_ashr_i32 s3, s2, 5
	v_add_co_u32 v33, vcc_lo, v1, v5
	s_delay_alu instid0(VALU_DEP_4) | instskip(NEXT) | instid1(VALU_DEP_3)
	v_add_co_ci_u32_e32 v34, vcc_lo, 0, v2, vcc_lo
	v_add_co_u32 v35, vcc_lo, v3, v5
	s_delay_alu instid0(VALU_DEP_4)
	v_add_co_ci_u32_e32 v36, vcc_lo, 0, v4, vcc_lo
	s_clause 0xf
	global_load_b128 v[1:4], v[33:34], off
	global_load_b128 v[5:8], v[33:34], off offset:512
	global_load_b128 v[9:12], v[35:36], off offset:256
	;; [unrolled: 1-line block ×15, first 2 shown]
	s_cmp_lt_i32 s2, s17
	v_and_b32_e32 v33, 3, v0
	s_cselect_b32 s2, s3, s4
	v_lshlrev_b32_e32 v34, 5, v69
	s_ashr_i32 s3, s2, 31
	s_delay_alu instid0(SALU_CYCLE_1)
	s_lshl_b64 s[2:3], s[2:3], 2
	v_lshlrev_b32_e32 v139, 6, v33
	s_add_u32 s2, s13, s2
	s_addc_u32 s3, s16, s3
	s_or_b32 s6, s12, 0xe0
	v_lshl_or_b32 v41, v68, 9, v34
	s_ashr_i32 s7, s6, 5
	s_cmp_lt_i32 s6, s17
	ds_load_b128 v[33:36], v139
	ds_load_b128 v[37:40], v139 offset:1024
	s_cselect_b32 s6, s7, s4
	ds_load_b128 v[103:106], v139 offset:2048
	ds_load_b128 v[107:110], v139 offset:3072
	s_ashr_i32 s7, s6, 31
	s_load_b32 s4, s[2:3], 0x0
	s_lshl_b64 s[6:7], s[6:7], 2
	ds_load_b128 v[111:114], v139 offset:4096
	ds_load_b128 v[115:118], v139 offset:5120
	s_add_u32 s2, s13, s6
	s_addc_u32 s3, s16, s7
	s_add_u32 s6, s10, s15
	s_load_b32 s2, s[2:3], 0x0
	s_addc_u32 s7, s11, s19
	v_add_co_u32 v127, s6, s6, v41
	s_delay_alu instid0(VALU_DEP_1) | instskip(SKIP_1) | instid1(VALU_DEP_1)
	v_add_co_ci_u32_e64 v128, null, s7, 0, s6
	s_waitcnt lgkmcnt(0)
	v_mad_i64_i32 v[41:42], null, s28, s5, v[127:128]
	v_mad_i64_i32 v[129:130], null, s9, s5, v[127:128]
	;; [unrolled: 1-line block ×7, first 2 shown]
	s_clause 0x3
	global_load_b128 v[49:52], v[41:42], off
	global_load_b128 v[53:56], v[41:42], off offset:16
	global_load_b128 v[41:44], v[45:46], off
	global_load_b128 v[45:48], v[45:46], off offset:16
	s_waitcnt vmcnt(18)
	v_wmma_f32_16x16x16_f16 v[119:126], v[1:8], v[33:40], v[95:102]
	s_waitcnt vmcnt(16)
	v_wmma_f32_16x16x16_f16 v[95:102], v[9:16], v[33:40], v[95:102]
	s_clause 0x3
	global_load_b128 v[33:36], v[129:130], off
	global_load_b128 v[37:40], v[129:130], off offset:16
	global_load_b128 v[1:4], v[131:132], off
	global_load_b128 v[5:8], v[131:132], off offset:16
	s_waitcnt vmcnt(18)
	v_wmma_f32_16x16x16_f16 v[119:126], v[17:24], v[103:110], v[119:126]
	s_clause 0x3
	global_load_b128 v[9:12], v[133:134], off
	global_load_b128 v[13:16], v[133:134], off offset:16
	global_load_b128 v[17:20], v[135:136], off
	global_load_b128 v[21:24], v[135:136], off offset:16
	s_waitcnt vmcnt(20)
	v_wmma_f32_16x16x16_f16 v[95:102], v[25:32], v[103:110], v[95:102]
	v_mad_i64_i32 v[103:104], null, s2, s5, v[127:128]
	s_waitcnt vmcnt(18)
	v_wmma_f32_16x16x16_f16 v[119:126], v[57:64], v[111:118], v[119:126]
	s_clause 0x3
	global_load_b128 v[25:28], v[137:138], off
	global_load_b128 v[29:32], v[137:138], off offset:16
	global_load_b128 v[57:60], v[103:104], off
	global_load_b128 v[61:64], v[103:104], off offset:16
	s_waitcnt vmcnt(20)
	v_wmma_f32_16x16x16_f16 v[95:102], v[71:78], v[111:118], v[95:102]
	ds_load_b128 v[71:74], v139 offset:6144
	ds_load_b128 v[75:78], v139 offset:7168
	v_mbcnt_lo_u32_b32 v104, -1, 0
	s_waitcnt vmcnt(0) lgkmcnt(0)
	s_barrier
	buffer_gl0_inv
	v_xor_b32_e32 v105, 16, v104
	s_delay_alu instid0(VALU_DEP_1) | instskip(SKIP_4) | instid1(VALU_DEP_2)
	v_cmp_gt_i32_e32 vcc_lo, 32, v105
	v_cndmask_b32_e32 v104, v104, v105, vcc_lo
	v_wmma_f32_16x16x16_f16 v[119:126], v[79:86], v[71:78], v[119:126]
	v_and_b32_e32 v103, 0xe0, v0
	v_wmma_f32_16x16x16_f16 v[95:102], v[87:94], v[71:78], v[95:102]
	v_dual_mul_f32 v78, s18, v121 :: v_dual_add_nc_u32 v103, s12, v103
	s_delay_alu instid0(VALU_DEP_2) | instskip(SKIP_1) | instid1(VALU_DEP_3)
	v_dual_mul_f32 v90, s18, v101 :: v_dual_mul_f32 v87, s18, v120
	v_dual_mul_f32 v88, s18, v119 :: v_dual_mul_f32 v77, s18, v122
	v_or_b32_e32 v103, v103, v66
	v_dual_mul_f32 v75, s18, v124 :: v_dual_mul_f32 v94, s18, v97
	v_dual_mul_f32 v76, s18, v123 :: v_dual_mul_f32 v73, s18, v126
	v_mul_f32_e32 v92, s18, v99
	s_delay_alu instid0(VALU_DEP_4)
	v_or_b32_e32 v105, 2, v103
	v_or_b32_e32 v106, 4, v103
	v_or_b32_e32 v107, 6, v103
	v_cmp_gt_i32_e64 s2, s17, v103
	v_or_b32_e32 v108, 8, v103
	v_cmp_gt_i32_e32 vcc_lo, s17, v105
	v_or_b32_e32 v109, 10, v103
	v_cmp_gt_i32_e64 s3, s17, v106
	v_cndmask_b32_e64 v88, 0xff7fffff, v88, s2
	v_cmp_gt_i32_e64 s4, s17, v107
	v_cndmask_b32_e32 v87, 0xff7fffff, v87, vcc_lo
	v_or_b32_e32 v79, 12, v103
	v_or_b32_e32 v80, 14, v103
	v_cndmask_b32_e64 v78, 0xff7fffff, v78, s3
	v_cndmask_b32_e64 v77, 0xff7fffff, v77, s4
	v_max3_f32 v87, v88, 0xff7fffff, v87
	v_cmp_gt_i32_e64 s5, s17, v108
	v_cmp_gt_i32_e64 s6, s17, v109
	v_or_b32_e32 v81, 16, v103
	v_or_b32_e32 v82, 18, v103
	v_mul_f32_e32 v74, s18, v125
	v_cndmask_b32_e64 v76, 0xff7fffff, v76, s5
	v_cndmask_b32_e64 v75, 0xff7fffff, v75, s6
	v_max3_f32 v77, v87, v78, v77
	v_cmp_gt_i32_e64 s7, s17, v79
	v_cmp_gt_i32_e64 s8, s17, v80
	v_or_b32_e32 v83, 20, v103
	v_or_b32_e32 v84, 22, v103
	;; [unrolled: 1-line block ×6, first 2 shown]
	v_mul_f32_e32 v105, s18, v96
	v_mul_f32_e32 v103, s18, v95
	v_cndmask_b32_e64 v74, 0xff7fffff, v74, s7
	v_cndmask_b32_e64 v73, 0xff7fffff, v73, s8
	v_max3_f32 v75, v77, v76, v75
	v_cmp_gt_i32_e64 s9, s17, v81
	v_cmp_gt_i32_e64 s10, s17, v82
	v_mul_f32_e32 v93, s18, v98
	v_cmp_gt_i32_e64 s11, s17, v83
	v_max3_f32 v73, v75, v74, v73
	v_cndmask_b32_e64 v76, 0xff7fffff, v103, s9
	v_cndmask_b32_e64 v77, 0xff7fffff, v105, s10
	v_cmp_gt_i32_e64 s12, s17, v84
	v_mul_f32_e32 v91, s18, v100
	v_cndmask_b32_e64 v74, 0xff7fffff, v94, s11
	v_cmp_gt_i32_e64 s13, s17, v85
	v_max3_f32 v73, v73, v76, v77
	v_cndmask_b32_e64 v75, 0xff7fffff, v93, s12
	v_cmp_gt_i32_e64 s15, s17, v86
	v_mul_f32_e32 v89, s18, v102
	v_cndmask_b32_e64 v76, 0xff7fffff, v92, s13
	v_cmp_gt_i32_e64 s16, s17, v71
	v_max3_f32 v73, v73, v74, v75
	v_cndmask_b32_e64 v77, 0xff7fffff, v91, s15
	v_cmp_gt_i32_e64 s17, s17, v72
	v_lshlrev_b32_e32 v74, 2, v104
	v_cndmask_b32_e64 v71, 0xff7fffff, v90, s16
	s_delay_alu instid0(VALU_DEP_4) | instskip(NEXT) | instid1(VALU_DEP_4)
	v_max3_f32 v73, v73, v76, v77
	v_cndmask_b32_e64 v72, 0xff7fffff, v89, s17
	s_delay_alu instid0(VALU_DEP_1) | instskip(SKIP_3) | instid1(VALU_DEP_1)
	v_max3_f32 v71, v73, v71, v72
	ds_bpermute_b32 v72, v74, v71
	s_waitcnt lgkmcnt(0)
	v_max_f32_e32 v72, v72, v72
	v_max_f32_e32 v71, v71, v72
	s_delay_alu instid0(VALU_DEP_1)
	v_fma_f32 v72, s18, v119, -v71
	v_fma_f32 v76, s18, v122, -v71
	;; [unrolled: 1-line block ×5, first 2 shown]
	v_mul_f32_e32 v72, 0x3fb8aa3b, v72
	v_mul_f32_e32 v76, 0x3fb8aa3b, v76
	v_fma_f32 v75, s18, v121, -v71
	v_mul_f32_e32 v79, 0x3fb8aa3b, v77
	v_mul_f32_e32 v85, 0x3fb8aa3b, v84
	v_exp_f32_e32 v72, v72
	v_exp_f32_e32 v76, v76
	v_fma_f32 v86, s18, v98, -v71
	v_exp_f32_e32 v82, v79
	v_exp_f32_e32 v85, v85
	v_fma_f32 v81, s18, v125, -v71
	s_delay_alu instid0(VALU_DEP_2) | instskip(SKIP_3) | instid1(TRANS32_DEP_3)
	v_mul_f32_e32 v87, 0x3fb8aa3b, v86
	v_cndmask_b32_e64 v78, 0, v72, s2
	v_fma_f32 v72, s18, v124, -v71
	v_mul_f32_e32 v73, 0x3fb8aa3b, v73
	v_cndmask_b32_e64 v79, 0, v76, s4
	v_fma_f32 v76, s18, v95, -v71
	s_delay_alu instid0(VALU_DEP_4) | instskip(NEXT) | instid1(VALU_DEP_4)
	v_dual_mul_f32 v75, 0x3fb8aa3b, v75 :: v_dual_mul_f32 v72, 0x3fb8aa3b, v72
	v_exp_f32_e32 v73, v73
	v_exp_f32_e32 v87, v87
	s_delay_alu instid0(VALU_DEP_2) | instskip(NEXT) | instid1(VALU_DEP_2)
	v_mul_f32_e32 v76, 0x3fb8aa3b, v76
	v_exp_f32_e32 v75, v75
	v_cndmask_b32_e64 v85, 0, v85, s10
	v_mul_f32_e32 v81, 0x3fb8aa3b, v81
	v_exp_f32_e32 v72, v72
	v_cndmask_b32_e64 v82, 0, v82, s5
	v_exp_f32_e32 v76, v76
	s_mov_b32 s2, exec_lo
	v_cndmask_b32_e32 v77, 0, v73, vcc_lo
	v_add_f32_e32 v73, 0, v78
	v_cndmask_b32_e64 v87, 0, v87, s12
	v_cndmask_b32_e64 v80, 0, v75, s3
	v_fma_f32 v75, s18, v126, -v71
	v_exp_f32_e32 v83, v81
	v_add_f32_e32 v73, v73, v77
	v_cndmask_b32_e64 v81, 0, v72, s6
	v_cndmask_b32_e64 v86, 0, v76, s9
	v_mul_f32_e32 v75, 0x3fb8aa3b, v75
	s_delay_alu instid0(VALU_DEP_4) | instskip(NEXT) | instid1(VALU_DEP_2)
	v_add_f32_e32 v73, v73, v80
	v_exp_f32_e32 v75, v75
	s_delay_alu instid0(TRANS32_DEP_2) | instskip(NEXT) | instid1(VALU_DEP_2)
	v_cndmask_b32_e64 v84, 0, v83, s7
	v_add_f32_e32 v73, v73, v79
	s_delay_alu instid0(VALU_DEP_1) | instskip(SKIP_3) | instid1(VALU_DEP_1)
	v_add_f32_e32 v72, v73, v82
	s_waitcnt_depctr 0xfff
	v_cndmask_b32_e64 v83, 0, v75, s8
	v_add_f32_e32 v72, v72, v81
	v_add_f32_e32 v72, v72, v84
	s_delay_alu instid0(VALU_DEP_1) | instskip(NEXT) | instid1(VALU_DEP_1)
	v_add_f32_e32 v72, v72, v83
	v_add_f32_e32 v72, v72, v86
	v_fma_f32 v73, s18, v97, -v71
	v_fma_f32 v75, s18, v99, -v71
	;; [unrolled: 1-line block ×4, first 2 shown]
	v_add_f32_e32 v72, v72, v85
	v_mul_f32_e32 v73, 0x3fb8aa3b, v73
	s_delay_alu instid0(VALU_DEP_4) | instskip(NEXT) | instid1(VALU_DEP_2)
	v_dual_mul_f32 v75, 0x3fb8aa3b, v75 :: v_dual_mul_f32 v76, 0x3fb8aa3b, v76
	v_exp_f32_e32 v73, v73
	s_delay_alu instid0(VALU_DEP_1) | instskip(NEXT) | instid1(VALU_DEP_1)
	v_exp_f32_e32 v75, v75
	v_exp_f32_e32 v76, v76
	s_delay_alu instid0(TRANS32_DEP_3)
	v_cndmask_b32_e64 v88, 0, v73, s11
	v_mul_f32_e32 v73, 0x3fb8aa3b, v89
	v_fma_f32 v89, s18, v102, -v71
	s_waitcnt_depctr 0xfff
	v_cndmask_b32_e64 v90, 0, v75, s13
	v_add_f32_e32 v72, v72, v88
	v_exp_f32_e32 v73, v73
	v_mul_f32_e32 v75, 0x3fb8aa3b, v89
	v_cndmask_b32_e64 v89, 0, v76, s15
	s_delay_alu instid0(VALU_DEP_3) | instskip(NEXT) | instid1(VALU_DEP_3)
	v_add_f32_e32 v72, v72, v87
	v_exp_f32_e32 v75, v75
	s_delay_alu instid0(VALU_DEP_1) | instskip(SKIP_4) | instid1(VALU_DEP_2)
	v_add_f32_e32 v72, v72, v90
	s_waitcnt_depctr 0xfff
	v_cndmask_b32_e64 v92, 0, v73, s16
	v_add_f32_e32 v72, v72, v89
	v_cndmask_b32_e64 v91, 0, v75, s17
	v_add_f32_e32 v72, v72, v92
	s_delay_alu instid0(VALU_DEP_1)
	v_add_f32_e32 v72, v72, v91
	ds_bpermute_b32 v73, v74, v72
	v_cmpx_gt_u32_e32 16, v70
	s_cbranch_execz .LBB1089_12
; %bb.11:
	v_mul_u32_u24_e32 v70, 0x44, v68
	s_waitcnt lgkmcnt(0)
	v_add_f32_e32 v72, v72, v73
	s_delay_alu instid0(VALU_DEP_2) | instskip(NEXT) | instid1(VALU_DEP_1)
	v_lshl_add_u32 v70, v69, 2, v70
	v_add_nc_u32_e32 v70, 0x4000, v70
	ds_store_2addr_b32 v70, v71, v72 offset1:136
.LBB1089_12:
	s_or_b32 exec_lo, exec_lo, s2
	v_lshlrev_b32_e32 v70, 2, v69
	s_load_b32 s34, s[0:1], 0x94
	s_waitcnt lgkmcnt(0)
	s_barrier
	buffer_gl0_inv
	v_add_nc_u32_e32 v74, 0x4000, v70
	v_cmp_eq_u32_e32 vcc_lo, 1, v68
	v_cmp_eq_u32_e64 s2, 2, v68
	v_cmp_eq_u32_e64 s3, 3, v68
	;; [unrolled: 1-line block ×3, first 2 shown]
	ds_load_2addr_b32 v[70:71], v74 offset1:17
	ds_load_2addr_b32 v[72:73], v74 offset0:34 offset1:51
	ds_load_2addr_b32 v[93:94], v74 offset0:68 offset1:85
	;; [unrolled: 1-line block ×3, first 2 shown]
	v_cmp_eq_u32_e64 s5, 5, v68
	v_cmp_eq_u32_e64 s6, 7, v68
	s_waitcnt lgkmcnt(3)
	v_max3_f32 v75, v70, 0xff7fffff, v71
	s_waitcnt lgkmcnt(2)
	s_delay_alu instid0(VALU_DEP_1) | instskip(SKIP_1) | instid1(VALU_DEP_1)
	v_max3_f32 v75, v75, v72, v73
	s_waitcnt lgkmcnt(1)
	v_max3_f32 v75, v75, v93, v94
	s_waitcnt lgkmcnt(0)
	s_delay_alu instid0(VALU_DEP_1) | instskip(NEXT) | instid1(VALU_DEP_1)
	v_max3_f32 v75, v75, v95, v96
	v_sub_f32_e32 v93, v93, v75
	ds_load_2addr_b32 v[97:98], v74 offset0:136 offset1:153
	v_sub_f32_e32 v70, v70, v75
	v_dual_sub_f32 v100, v73, v75 :: v_dual_mul_f32 v103, 0x3fb8aa3b, v93
	s_delay_alu instid0(VALU_DEP_2) | instskip(SKIP_3) | instid1(VALU_DEP_1)
	v_dual_sub_f32 v76, v71, v75 :: v_dual_mul_f32 v99, 0x3fb8aa3b, v70
	ds_load_2addr_b32 v[70:71], v74 offset0:170 offset1:187
	v_mul_f32_e32 v76, 0x3fb8aa3b, v76
	v_exp_f32_e32 v99, v99
	v_exp_f32_e32 v102, v76
	v_mul_f32_e32 v100, 0x3fb8aa3b, v100
	s_waitcnt lgkmcnt(1)
	s_waitcnt_depctr 0xfff
	v_fma_f32 v76, v99, v97, 0
	v_sub_f32_e32 v97, v94, v75
	v_sub_f32_e32 v72, v72, v75
	v_exp_f32_e32 v100, v100
	ds_load_2addr_b32 v[93:94], v74 offset0:238 offset1:255
	v_dual_fmac_f32 v76, v102, v98 :: v_dual_mul_f32 v101, 0x3fb8aa3b, v72
	ds_load_2addr_b32 v[72:73], v74 offset0:204 offset1:221
	v_dual_sub_f32 v74, v95, v75 :: v_dual_mul_f32 v95, 0x3fb8aa3b, v97
	v_exp_f32_e32 v97, v103
	v_exp_f32_e32 v101, v101
	s_waitcnt lgkmcnt(0)
	s_barrier
	v_exp_f32_e32 v95, v95
	buffer_gl0_inv
	v_fmac_f32_e32 v76, v101, v70
	v_sub_f32_e32 v70, v96, v75
	s_delay_alu instid0(VALU_DEP_2) | instskip(NEXT) | instid1(VALU_DEP_2)
	v_fmac_f32_e32 v76, v100, v71
	v_mul_f32_e32 v70, 0x3fb8aa3b, v70
	s_delay_alu instid0(VALU_DEP_2)
	v_dual_cndmask_b32 v71, v99, v102 :: v_dual_fmac_f32 v76, v97, v72
	v_lshlrev_b32_e32 v72, 6, v69
	v_lshlrev_b32_e32 v69, 2, v66
	v_mul_f32_e32 v74, 0x3fb8aa3b, v74
	v_exp_f32_e32 v98, v70
	v_fmac_f32_e32 v76, v95, v73
	s_delay_alu instid0(VALU_DEP_3) | instskip(NEXT) | instid1(VALU_DEP_3)
	v_cmp_eq_u32_e64 s7, 7, v69
	v_exp_f32_e32 v96, v74
	v_lshl_or_b32 v74, v68, 11, v72
	s_waitcnt_depctr 0xfff
	v_fmac_f32_e32 v76, v96, v93
	s_delay_alu instid0(VALU_DEP_1) | instskip(NEXT) | instid1(VALU_DEP_1)
	v_fmac_f32_e32 v76, v98, v94
	v_add_f32_e32 v73, 0x358637bd, v76
	s_delay_alu instid0(VALU_DEP_1) | instskip(SKIP_1) | instid1(VALU_DEP_2)
	v_div_scale_f32 v93, null, v73, v73, 1.0
	v_div_scale_f32 v99, vcc_lo, 1.0, v73, 1.0
	v_rcp_f32_e32 v94, v93
	s_waitcnt_depctr 0xfff
	v_fma_f32 v70, -v93, v94, 1.0
	s_delay_alu instid0(VALU_DEP_1)
	v_fmac_f32_e32 v94, v70, v94
	v_cndmask_b32_e64 v70, v71, v101, s2
	v_cmp_eq_u32_e64 s2, 6, v68
	v_or_b32_e32 v71, 1, v69
	v_or_b32_e32 v68, 2, v69
	v_mul_f32_e32 v101, v99, v94
	v_cndmask_b32_e64 v70, v70, v100, s3
	v_cmp_eq_u32_e64 s3, 1, v69
	v_cmp_eq_u32_e64 s8, 1, v71
	v_cmp_eq_u32_e64 s9, 1, v68
	v_fma_f32 v100, -v93, v101, v99
	v_cndmask_b32_e64 v70, v70, v97, s4
	v_cmp_eq_u32_e64 s4, 2, v69
	v_cmp_eq_u32_e64 s11, 2, v71
	;; [unrolled: 1-line block ×3, first 2 shown]
	v_fmac_f32_e32 v101, v100, v94
	v_cndmask_b32_e64 v95, v70, v95, s5
	v_or_b32_e32 v70, 3, v69
	v_cmp_eq_u32_e64 s12, 3, v71
	v_cmp_eq_u32_e64 s16, 3, v68
	v_fma_f32 v93, -v93, v101, v99
	v_cndmask_b32_e64 v95, v95, v96, s2
	v_cmp_eq_u32_e64 s10, 1, v70
	v_cmp_eq_u32_e64 s15, 2, v70
	;; [unrolled: 1-line block ×3, first 2 shown]
	v_div_fmas_f32 v93, v93, v94, v101
	v_cndmask_b32_e64 v94, v95, v98, s6
	v_cmp_eq_u32_e32 vcc_lo, 3, v69
	v_cmp_eq_u32_e64 s2, 4, v69
	v_cmp_eq_u32_e64 s18, 4, v71
	v_div_fixup_f32 v93, v93, v73, 1.0
	v_lshl_or_b32 v73, v66, 4, v74
	v_cmp_eq_u32_e64 s21, 4, v70
	v_cmp_eq_u32_e64 s5, 5, v69
	;; [unrolled: 1-line block ×3, first 2 shown]
	v_mul_f32_e32 v101, v94, v93
	v_cmp_eq_u32_e64 s20, 4, v68
	v_cmp_eq_u32_e64 s23, 5, v70
	;; [unrolled: 1-line block ×4, first 2 shown]
	v_fma_mixlo_f16 v93, v101, v78, 0
	v_fma_mixlo_f16 v94, v101, v80, 0
	;; [unrolled: 1-line block ×8, first 2 shown]
	v_fma_mixhi_f16 v93, v101, v77, 0
	v_fma_mixhi_f16 v94, v101, v79, 0
	;; [unrolled: 1-line block ×8, first 2 shown]
	ds_store_b128 v73, v[93:96]
	ds_store_b128 v73, v[97:100] offset:1024
	s_waitcnt lgkmcnt(0)
	s_barrier
	buffer_gl0_inv
	ds_load_b128 v[77:80], v74
	ds_load_b128 v[81:84], v74 offset:16
	ds_load_b128 v[85:88], v74 offset:1024
	;; [unrolled: 1-line block ×3, first 2 shown]
	v_cmp_eq_u32_e64 s26, 6, v70
	v_cmp_eq_u32_e64 s6, 6, v69
	;; [unrolled: 1-line block ×6, first 2 shown]
	s_waitcnt lgkmcnt(3)
	v_lshrrev_b32_e32 v93, 16, v77
	s_waitcnt lgkmcnt(2)
	v_lshrrev_b32_e32 v97, 16, v81
	;; [unrolled: 2-line block ×4, first 2 shown]
	v_lshrrev_b32_e32 v94, 16, v78
	v_cndmask_b32_e64 v109, v77, v93, s3
	v_cndmask_b32_e64 v110, v81, v97, s3
	;; [unrolled: 1-line block ×8, first 2 shown]
	v_lshrrev_b32_e32 v98, 16, v82
	v_cndmask_b32_e64 v93, v85, v101, s3
	v_cndmask_b32_e64 v97, v89, v105, s3
	;; [unrolled: 1-line block ×15, first 2 shown]
	v_lshrrev_b32_e32 v102, 16, v86
	v_lshrrev_b32_e32 v106, 16, v90
	v_cndmask_b32_e64 v112, v114, v82, s13
	v_cndmask_b32_e64 v81, v93, v86, s4
	;; [unrolled: 1-line block ×7, first 2 shown]
	v_cndmask_b32_e32 v89, v101, v94, vcc_lo
	v_cndmask_b32_e32 v101, v105, v98, vcc_lo
	v_cndmask_b32_e64 v105, v109, v94, s12
	v_cndmask_b32_e64 v109, v110, v98, s12
	;; [unrolled: 1-line block ×4, first 2 shown]
	v_lshrrev_b32_e32 v95, 16, v79
	v_lshrrev_b32_e32 v99, 16, v83
	v_cndmask_b32_e64 v110, v111, v94, s16
	v_cndmask_b32_e64 v111, v112, v98, s16
	v_cndmask_b32_e32 v81, v81, v102, vcc_lo
	v_cndmask_b32_e32 v82, v82, v106, vcc_lo
	v_cndmask_b32_e64 v93, v93, v102, s12
	v_cndmask_b32_e64 v89, v89, v79, s2
	;; [unrolled: 1-line block ×7, first 2 shown]
	v_lshrrev_b32_e32 v103, 16, v87
	v_cndmask_b32_e64 v105, v110, v79, s20
	v_cndmask_b32_e64 v109, v111, v83, s20
	;; [unrolled: 1-line block ×11, first 2 shown]
	v_lshrrev_b32_e32 v96, 16, v80
	v_lshrrev_b32_e32 v100, 16, v84
	v_cndmask_b32_e64 v98, v105, v95, s22
	v_cndmask_b32_e64 v101, v109, v99, s22
	;; [unrolled: 1-line block ×7, first 2 shown]
	v_lshrrev_b32_e32 v104, 16, v88
	v_cndmask_b32_e64 v79, v79, v103, s5
	v_cndmask_b32_e64 v83, v83, v80, s6
	;; [unrolled: 1-line block ×16, first 2 shown]
	v_perm_b32 v80, v78, v77, 0x5040100
	v_perm_b32 v78, v94, v84, 0x5040100
	v_cndmask_b32_e64 v77, v118, v90, s13
	v_cndmask_b32_e64 v84, v116, v90, s11
	;; [unrolled: 1-line block ×3, first 2 shown]
	v_perm_b32 v79, v93, v89, 0x5040100
	v_cndmask_b32_e64 v89, v97, v102, s16
	v_cndmask_b32_e64 v85, v85, v102, s17
	;; [unrolled: 1-line block ×5, first 2 shown]
	v_lshrrev_b32_e32 v107, 16, v91
	v_cndmask_b32_e64 v89, v89, v87, s20
	v_cndmask_b32_e64 v85, v85, v87, s21
	;; [unrolled: 1-line block ×11, first 2 shown]
	v_lshrrev_b32_e32 v108, 16, v92
	v_cndmask_b32_e64 v81, v81, v92, s6
	v_cndmask_b32_e64 v87, v87, v88, s25
	;; [unrolled: 1-line block ×12, first 2 shown]
	v_perm_b32 v77, v83, v82, 0x5040100
	v_perm_b32 v84, v86, v85, 0x5040100
	;; [unrolled: 1-line block ×5, first 2 shown]
	s_lshl_b32 s7, s33, 2
	s_mov_b32 s2, exec_lo
	ds_store_b128 v73, v[77:80]
	ds_store_b128 v73, v[81:84] offset:1024
	v_cmpx_gt_u32_e32 4, v0
	s_cbranch_execz .LBB1089_14
; %bb.13:
	v_or_b32_e32 v77, s31, v0
	s_load_b128 s[8:11], s[0:1], 0x58
	s_delay_alu instid0(VALU_DEP_1) | instskip(NEXT) | instid1(VALU_DEP_1)
	v_mad_u64_u32 v[78:79], null, s7, s30, v[77:78]
	v_mad_u64_u32 v[79:80], null, v78, s34, s[14:15]
	s_delay_alu instid0(VALU_DEP_1) | instskip(NEXT) | instid1(VALU_DEP_1)
	v_ashrrev_i32_e32 v80, 31, v79
	v_lshlrev_b64 v[77:78], 2, v[79:80]
	s_waitcnt lgkmcnt(0)
	s_delay_alu instid0(VALU_DEP_1) | instskip(NEXT) | instid1(VALU_DEP_2)
	v_add_co_u32 v79, vcc_lo, s10, v77
	v_add_co_ci_u32_e32 v80, vcc_lo, s11, v78, vcc_lo
	v_add_co_u32 v77, vcc_lo, s8, v77
	v_add_co_ci_u32_e32 v78, vcc_lo, s9, v78, vcc_lo
	global_store_b32 v[79:80], v75, off
	global_store_b32 v[77:78], v76, off
.LBB1089_14:
	s_or_b32 exec_lo, exec_lo, s2
	s_waitcnt lgkmcnt(0)
	s_waitcnt_vscnt null, 0x0
	s_barrier
	buffer_gl0_inv
	ds_load_b128 v[83:86], v72
	ds_load_b128 v[87:90], v72 offset:16
	ds_load_b128 v[95:98], v72 offset:2064
	;; [unrolled: 1-line block ×5, first 2 shown]
	v_cmp_eq_u32_e32 vcc_lo, 1, v69
	v_mov_b32_e32 v75, 0
	ds_load_b128 v[111:114], v72 offset:6160
	ds_load_b128 v[107:110], v72 offset:6144
	;; [unrolled: 1-line block ×4, first 2 shown]
	v_cmp_eq_u32_e64 s3, 1, v68
	v_cmp_eq_u32_e64 s2, 1, v71
	;; [unrolled: 1-line block ×3, first 2 shown]
	v_mov_b32_e32 v76, v75
	v_mov_b32_e32 v77, v75
	;; [unrolled: 1-line block ×7, first 2 shown]
	v_cmp_eq_u32_e64 s5, 3, v71
	v_cmp_eq_u32_e64 s6, 7, v71
	s_waitcnt lgkmcnt(8)
	s_delay_alu instid0(VALU_DEP_3)
	v_wmma_f32_16x16x16_f16 v[75:82], v[49:56], v[83:90], v[75:82]
	ds_load_b128 v[53:56], v72 offset:10256
	ds_load_b128 v[49:52], v72 offset:10240
	s_waitcnt lgkmcnt(8)
	v_wmma_f32_16x16x16_f16 v[75:82], v[41:48], v[91:98], v[75:82]
	ds_load_b128 v[45:48], v72 offset:12304
	ds_load_b128 v[41:44], v72 offset:12288
	s_waitcnt lgkmcnt(8)
	;; [unrolled: 4-line block ×3, first 2 shown]
	s_barrier
	buffer_gl0_inv
	v_wmma_f32_16x16x16_f16 v[75:82], v[1:8], v[107:114], v[75:82]
	s_delay_alu instid0(VALU_DEP_1) | instskip(NEXT) | instid1(VALU_DEP_1)
	v_wmma_f32_16x16x16_f16 v[75:82], v[9:16], v[115:122], v[75:82]
	v_wmma_f32_16x16x16_f16 v[75:82], v[17:24], v[49:56], v[75:82]
	s_delay_alu instid0(VALU_DEP_1) | instskip(NEXT) | instid1(VALU_DEP_1)
	v_wmma_f32_16x16x16_f16 v[75:82], v[25:32], v[41:48], v[75:82]
	v_wmma_f32_16x16x16_f16 v[75:82], v[57:64], v[33:40], v[75:82]
	s_delay_alu instid0(VALU_DEP_1) | instskip(NEXT) | instid1(VALU_DEP_2)
	v_cvt_f16_f32_e32 v1, v75
	v_cvt_f16_f32_e32 v2, v76
	s_delay_alu instid0(VALU_DEP_3) | instskip(NEXT) | instid1(VALU_DEP_4)
	v_cvt_f16_f32_e32 v3, v77
	v_cvt_f16_f32_e32 v4, v78
	;; [unrolled: 1-line block ×6, first 2 shown]
	v_pack_b32_f16 v1, v1, v2
	v_pack_b32_f16 v2, v3, v4
	;; [unrolled: 1-line block ×3, first 2 shown]
	s_delay_alu instid0(VALU_DEP_4)
	v_pack_b32_f16 v4, v7, v8
	ds_store_b128 v73, v[1:4]
	s_waitcnt lgkmcnt(0)
	s_barrier
	buffer_gl0_inv
	ds_load_b128 v[1:4], v74
	ds_load_b128 v[5:8], v74 offset:16
	s_waitcnt lgkmcnt(1)
	v_lshrrev_b32_e32 v9, 16, v1
	s_waitcnt lgkmcnt(0)
	v_lshrrev_b32_e32 v13, 16, v5
	v_lshrrev_b32_e32 v10, 16, v2
	;; [unrolled: 1-line block ×4, first 2 shown]
	v_cndmask_b32_e32 v17, v1, v9, vcc_lo
	v_cndmask_b32_e32 v18, v5, v13, vcc_lo
	v_cndmask_b32_e64 v21, v1, v9, s3
	v_cmp_eq_u32_e32 vcc_lo, 1, v70
	v_cndmask_b32_e64 v22, v5, v13, s3
	v_cmp_eq_u32_e64 s3, 2, v69
	v_cndmask_b32_e64 v19, v1, v9, s2
	v_cndmask_b32_e64 v20, v5, v13, s2
	v_cndmask_b32_e32 v1, v1, v9, vcc_lo
	v_cmp_eq_u32_e64 s2, 2, v70
	v_cndmask_b32_e32 v5, v5, v13, vcc_lo
	v_cndmask_b32_e64 v9, v17, v2, s3
	v_cmp_eq_u32_e32 vcc_lo, 3, v69
	v_cndmask_b32_e64 v13, v18, v6, s3
	v_cmp_eq_u32_e64 s3, 2, v68
	v_cndmask_b32_e64 v17, v19, v2, s4
	v_cndmask_b32_e64 v18, v20, v6, s4
	v_cmp_eq_u32_e64 s4, 3, v68
	v_cndmask_b32_e64 v1, v1, v2, s2
	v_cndmask_b32_e64 v19, v21, v2, s3
	;; [unrolled: 1-line block ×4, first 2 shown]
	v_cndmask_b32_e32 v5, v9, v10, vcc_lo
	v_cndmask_b32_e32 v6, v13, v14, vcc_lo
	v_cmp_eq_u32_e32 vcc_lo, 3, v70
	v_cndmask_b32_e64 v9, v17, v10, s5
	v_cndmask_b32_e64 v13, v18, v14, s5
	v_cndmask_b32_e64 v18, v20, v14, s4
	v_cmp_eq_u32_e64 s3, 4, v69
	v_cndmask_b32_e32 v1, v1, v10, vcc_lo
	v_cndmask_b32_e32 v2, v2, v14, vcc_lo
	v_cmp_eq_u32_e32 vcc_lo, 4, v71
	v_lshrrev_b32_e32 v15, 16, v7
	v_lshrrev_b32_e32 v16, 16, v8
	v_cndmask_b32_e64 v17, v19, v10, s4
	v_cmp_eq_u32_e64 s2, 4, v70
	v_cndmask_b32_e64 v5, v5, v3, s3
	v_cndmask_b32_e64 v6, v6, v7, s3
	v_cndmask_b32_e32 v9, v9, v3, vcc_lo
	v_cmp_eq_u32_e64 s3, 5, v71
	v_cndmask_b32_e32 v10, v13, v7, vcc_lo
	v_cmp_eq_u32_e32 vcc_lo, 4, v68
	v_cmp_eq_u32_e64 s4, 5, v69
	v_cndmask_b32_e64 v2, v2, v7, s2
	v_cndmask_b32_e64 v9, v9, v11, s3
	;; [unrolled: 1-line block ×3, first 2 shown]
	v_cndmask_b32_e32 v13, v17, v3, vcc_lo
	v_cmp_eq_u32_e64 s3, 5, v68
	v_cndmask_b32_e32 v14, v18, v7, vcc_lo
	v_cndmask_b32_e64 v1, v1, v3, s2
	v_cmp_eq_u32_e32 vcc_lo, 5, v70
	v_lshrrev_b32_e32 v12, 16, v4
	v_cndmask_b32_e64 v13, v13, v11, s3
	v_cndmask_b32_e64 v3, v14, v15, s3
	v_cmp_eq_u32_e64 s3, 6, v70
	v_cndmask_b32_e32 v1, v1, v11, vcc_lo
	v_cndmask_b32_e64 v5, v5, v11, s4
	v_cmp_eq_u32_e64 s5, 6, v69
	v_cndmask_b32_e64 v6, v6, v15, s4
	v_cmp_eq_u32_e64 s4, 6, v71
	v_cmp_eq_u32_e64 s2, 6, v68
	v_cndmask_b32_e64 v1, v1, v4, s3
	v_cndmask_b32_e32 v2, v2, v15, vcc_lo
	v_cmp_eq_u32_e32 vcc_lo, 7, v70
	v_cndmask_b32_e64 v5, v5, v4, s5
	v_cndmask_b32_e64 v9, v9, v4, s4
	;; [unrolled: 1-line block ×3, first 2 shown]
	v_cmp_eq_u32_e64 s5, 7, v69
	v_cndmask_b32_e32 v1, v1, v12, vcc_lo
	v_cndmask_b32_e64 v7, v13, v4, s2
	v_cndmask_b32_e64 v3, v3, v8, s2
	;; [unrolled: 1-line block ×3, first 2 shown]
	v_cmp_eq_u32_e64 s2, 7, v68
	v_cndmask_b32_e64 v4, v10, v8, s4
	v_cndmask_b32_e64 v5, v5, v12, s5
	;; [unrolled: 1-line block ×3, first 2 shown]
	v_cndmask_b32_e32 v2, v2, v16, vcc_lo
	v_cndmask_b32_e64 v7, v7, v12, s2
	v_cndmask_b32_e64 v3, v3, v16, s2
	;; [unrolled: 1-line block ×4, first 2 shown]
	v_perm_b32 v4, v2, v1, 0x5040100
	s_mov_b32 s2, exec_lo
	v_perm_b32 v3, v3, v7, 0x5040100
	v_perm_b32 v2, v8, v9, 0x5040100
	v_perm_b32 v1, v6, v5, 0x5040100
	ds_store_b128 v73, v[1:4]
	s_waitcnt lgkmcnt(0)
	s_barrier
	buffer_gl0_inv
	v_cmpx_gt_u32_e32 32, v0
	s_cbranch_execz .LBB1089_2
; %bb.15:
	s_load_b64 s[0:1], s[0:1], 0x68
	v_lshlrev_b32_e32 v0, 10, v0
	v_or_b32_e32 v1, s31, v66
	s_lshl_b32 s4, s34, 7
	v_lshlrev_b32_e32 v2, 4, v67
	s_mul_i32 s2, s4, s30
	v_lshlrev_b32_e32 v3, 6, v66
	v_mul_lo_u32 v8, v1, s4
	v_and_b32_e32 v0, 0x3800, v0
	v_or_b32_e32 v1, 2, v1
	s_mul_i32 s2, s2, s7
	s_delay_alu instid0(SALU_CYCLE_1) | instskip(NEXT) | instid1(VALU_DEP_2)
	s_ashr_i32 s3, s2, 31
	v_or3_b32 v4, v0, v2, v3
	s_lshl_b64 s[2:3], s[2:3], 1
	v_mul_lo_u32 v10, v1, s4
	v_ashrrev_i32_e32 v9, 31, v8
	ds_load_b128 v[0:3], v4
	ds_load_b128 v[4:7], v4 offset:128
	s_waitcnt lgkmcnt(0)
	s_add_u32 s2, s0, s2
	s_addc_u32 s3, s1, s3
	s_lshl_b32 s0, s14, 7
	v_ashrrev_i32_e32 v11, 31, v10
	s_ashr_i32 s1, s0, 31
	v_lshlrev_b64 v[8:9], 1, v[8:9]
	s_lshl_b64 s[0:1], s[0:1], 1
	s_delay_alu instid0(SALU_CYCLE_1) | instskip(SKIP_2) | instid1(VALU_DEP_1)
	s_add_u32 s0, s2, s0
	s_addc_u32 s1, s3, s1
	v_add_co_u32 v12, s0, s0, v65
	v_add_co_ci_u32_e64 v13, null, s1, 0, s0
	v_lshlrev_b64 v[10:11], 1, v[10:11]
	s_delay_alu instid0(VALU_DEP_3) | instskip(NEXT) | instid1(VALU_DEP_3)
	v_add_co_u32 v8, vcc_lo, v12, v8
	v_add_co_ci_u32_e32 v9, vcc_lo, v13, v9, vcc_lo
	s_delay_alu instid0(VALU_DEP_3) | instskip(NEXT) | instid1(VALU_DEP_4)
	v_add_co_u32 v10, vcc_lo, v12, v10
	v_add_co_ci_u32_e32 v11, vcc_lo, v13, v11, vcc_lo
	s_clause 0x1
	global_store_b128 v[8:9], v[0:3], off
	global_store_b128 v[10:11], v[4:7], off
	s_nop 0
	s_sendmsg sendmsg(MSG_DEALLOC_VGPRS)
	s_endpgm
	.section	.rodata,"a",@progbits
	.p2align	6, 0x0
	.amdhsa_kernel _Z39paged_attention_ll4mi_QKV_mfma16_kernelIDF16_hLN4vllm18Fp8KVCacheDataTypeE1EDF16_Li32ELi128ELi256ELb0ELi4EL8MFMAType1EEvPKT_PKT0_S8_ifPKiSA_SA_iPKfiiiPfSD_PS3_PT2_iSC_SC_
		.amdhsa_group_segment_fixed_size 17472
		.amdhsa_private_segment_fixed_size 0
		.amdhsa_kernarg_size 400
		.amdhsa_user_sgpr_count 13
		.amdhsa_user_sgpr_dispatch_ptr 0
		.amdhsa_user_sgpr_queue_ptr 0
		.amdhsa_user_sgpr_kernarg_segment_ptr 1
		.amdhsa_user_sgpr_dispatch_id 0
		.amdhsa_user_sgpr_private_segment_size 0
		.amdhsa_wavefront_size32 1
		.amdhsa_uses_dynamic_stack 0
		.amdhsa_enable_private_segment 0
		.amdhsa_system_sgpr_workgroup_id_x 1
		.amdhsa_system_sgpr_workgroup_id_y 1
		.amdhsa_system_sgpr_workgroup_id_z 1
		.amdhsa_system_sgpr_workgroup_info 0
		.amdhsa_system_vgpr_workitem_id 0
		.amdhsa_next_free_vgpr 140
		.amdhsa_next_free_sgpr 36
		.amdhsa_reserve_vcc 1
		.amdhsa_float_round_mode_32 0
		.amdhsa_float_round_mode_16_64 0
		.amdhsa_float_denorm_mode_32 3
		.amdhsa_float_denorm_mode_16_64 3
		.amdhsa_dx10_clamp 1
		.amdhsa_ieee_mode 1
		.amdhsa_fp16_overflow 0
		.amdhsa_workgroup_processor_mode 1
		.amdhsa_memory_ordered 1
		.amdhsa_forward_progress 0
		.amdhsa_shared_vgpr_count 0
		.amdhsa_exception_fp_ieee_invalid_op 0
		.amdhsa_exception_fp_denorm_src 0
		.amdhsa_exception_fp_ieee_div_zero 0
		.amdhsa_exception_fp_ieee_overflow 0
		.amdhsa_exception_fp_ieee_underflow 0
		.amdhsa_exception_fp_ieee_inexact 0
		.amdhsa_exception_int_div_zero 0
	.end_amdhsa_kernel
	.section	.text._Z39paged_attention_ll4mi_QKV_mfma16_kernelIDF16_hLN4vllm18Fp8KVCacheDataTypeE1EDF16_Li32ELi128ELi256ELb0ELi4EL8MFMAType1EEvPKT_PKT0_S8_ifPKiSA_SA_iPKfiiiPfSD_PS3_PT2_iSC_SC_,"axG",@progbits,_Z39paged_attention_ll4mi_QKV_mfma16_kernelIDF16_hLN4vllm18Fp8KVCacheDataTypeE1EDF16_Li32ELi128ELi256ELb0ELi4EL8MFMAType1EEvPKT_PKT0_S8_ifPKiSA_SA_iPKfiiiPfSD_PS3_PT2_iSC_SC_,comdat
.Lfunc_end1089:
	.size	_Z39paged_attention_ll4mi_QKV_mfma16_kernelIDF16_hLN4vllm18Fp8KVCacheDataTypeE1EDF16_Li32ELi128ELi256ELb0ELi4EL8MFMAType1EEvPKT_PKT0_S8_ifPKiSA_SA_iPKfiiiPfSD_PS3_PT2_iSC_SC_, .Lfunc_end1089-_Z39paged_attention_ll4mi_QKV_mfma16_kernelIDF16_hLN4vllm18Fp8KVCacheDataTypeE1EDF16_Li32ELi128ELi256ELb0ELi4EL8MFMAType1EEvPKT_PKT0_S8_ifPKiSA_SA_iPKfiiiPfSD_PS3_PT2_iSC_SC_
                                        ; -- End function
	.section	.AMDGPU.csdata,"",@progbits
; Kernel info:
; codeLenInByte = 6504
; NumSgprs: 38
; NumVgprs: 140
; ScratchSize: 0
; MemoryBound: 0
; FloatMode: 240
; IeeeMode: 1
; LDSByteSize: 17472 bytes/workgroup (compile time only)
; SGPRBlocks: 4
; VGPRBlocks: 17
; NumSGPRsForWavesPerEU: 38
; NumVGPRsForWavesPerEU: 140
; Occupancy: 10
; WaveLimiterHint : 1
; COMPUTE_PGM_RSRC2:SCRATCH_EN: 0
; COMPUTE_PGM_RSRC2:USER_SGPR: 13
; COMPUTE_PGM_RSRC2:TRAP_HANDLER: 0
; COMPUTE_PGM_RSRC2:TGID_X_EN: 1
; COMPUTE_PGM_RSRC2:TGID_Y_EN: 1
; COMPUTE_PGM_RSRC2:TGID_Z_EN: 1
; COMPUTE_PGM_RSRC2:TIDIG_COMP_CNT: 0
	.section	.text._Z39paged_attention_ll4mi_QKV_mfma16_kernelIDF16_hLN4vllm18Fp8KVCacheDataTypeE1EhLi16ELi64ELi256ELb1ELi5EL8MFMAType0EEvPKT_PKT0_S8_ifPKiSA_SA_iPKfiiiPfSD_PS3_PT2_iSC_SC_,"axG",@progbits,_Z39paged_attention_ll4mi_QKV_mfma16_kernelIDF16_hLN4vllm18Fp8KVCacheDataTypeE1EhLi16ELi64ELi256ELb1ELi5EL8MFMAType0EEvPKT_PKT0_S8_ifPKiSA_SA_iPKfiiiPfSD_PS3_PT2_iSC_SC_,comdat
	.protected	_Z39paged_attention_ll4mi_QKV_mfma16_kernelIDF16_hLN4vllm18Fp8KVCacheDataTypeE1EhLi16ELi64ELi256ELb1ELi5EL8MFMAType0EEvPKT_PKT0_S8_ifPKiSA_SA_iPKfiiiPfSD_PS3_PT2_iSC_SC_ ; -- Begin function _Z39paged_attention_ll4mi_QKV_mfma16_kernelIDF16_hLN4vllm18Fp8KVCacheDataTypeE1EhLi16ELi64ELi256ELb1ELi5EL8MFMAType0EEvPKT_PKT0_S8_ifPKiSA_SA_iPKfiiiPfSD_PS3_PT2_iSC_SC_
	.globl	_Z39paged_attention_ll4mi_QKV_mfma16_kernelIDF16_hLN4vllm18Fp8KVCacheDataTypeE1EhLi16ELi64ELi256ELb1ELi5EL8MFMAType0EEvPKT_PKT0_S8_ifPKiSA_SA_iPKfiiiPfSD_PS3_PT2_iSC_SC_
	.p2align	8
	.type	_Z39paged_attention_ll4mi_QKV_mfma16_kernelIDF16_hLN4vllm18Fp8KVCacheDataTypeE1EhLi16ELi64ELi256ELb1ELi5EL8MFMAType0EEvPKT_PKT0_S8_ifPKiSA_SA_iPKfiiiPfSD_PS3_PT2_iSC_SC_,@function
_Z39paged_attention_ll4mi_QKV_mfma16_kernelIDF16_hLN4vllm18Fp8KVCacheDataTypeE1EhLi16ELi64ELi256ELb1ELi5EL8MFMAType0EEvPKT_PKT0_S8_ifPKiSA_SA_iPKfiiiPfSD_PS3_PT2_iSC_SC_: ; @_Z39paged_attention_ll4mi_QKV_mfma16_kernelIDF16_hLN4vllm18Fp8KVCacheDataTypeE1EhLi16ELi64ELi256ELb1ELi5EL8MFMAType0EEvPKT_PKT0_S8_ifPKiSA_SA_iPKfiiiPfSD_PS3_PT2_iSC_SC_
; %bb.0:
	s_load_b64 s[2:3], s[0:1], 0x30
	s_mov_b32 s34, s13
	s_waitcnt lgkmcnt(0)
	s_cmp_lg_u64 s[2:3], 0
	s_cselect_b32 s6, -1, 0
	s_ashr_i32 s35, s13, 31
	s_cmp_eq_u64 s[2:3], 0
	s_cbranch_scc1 .LBB1090_3
; %bb.1:
	s_lshl_b64 s[4:5], s[34:35], 2
	s_delay_alu instid0(SALU_CYCLE_1) | instskip(SKIP_4) | instid1(SALU_CYCLE_1)
	s_add_u32 s4, s2, s4
	s_addc_u32 s5, s3, s5
	s_load_b64 s[4:5], s[4:5], 0x0
	s_waitcnt lgkmcnt(0)
	s_sub_i32 s4, s5, s4
	s_cmp_eq_u32 s4, 1
	s_cselect_b32 s4, -1, 0
	s_delay_alu instid0(SALU_CYCLE_1)
	s_and_not1_b32 vcc_lo, exec_lo, s4
	s_cbranch_vccz .LBB1090_4
.LBB1090_2:
	s_nop 0
	s_sendmsg sendmsg(MSG_DEALLOC_VGPRS)
	s_endpgm
.LBB1090_3:
.LBB1090_4:
	s_load_b64 s[8:9], s[0:1], 0x28
	s_lshl_b64 s[4:5], s[34:35], 2
	s_waitcnt lgkmcnt(0)
	s_add_u32 s8, s8, s4
	s_addc_u32 s9, s9, s5
	s_lshl_b32 s16, s14, 8
	s_load_b32 s18, s[8:9], 0x0
	s_waitcnt lgkmcnt(0)
	s_cmp_ge_i32 s16, s18
	s_cbranch_scc1 .LBB1090_2
; %bb.5:
	s_clause 0x1
	s_load_b128 s[8:11], s[0:1], 0x8
	s_load_b64 s[12:13], s[0:1], 0x20
	s_and_not1_b32 vcc_lo, exec_lo, s6
	s_cbranch_vccnz .LBB1090_7
; %bb.6:
	s_add_u32 s2, s2, s4
	s_addc_u32 s3, s3, s5
	s_load_b32 s3, s[2:3], 0x0
	s_branch .LBB1090_8
.LBB1090_7:
	s_mov_b32 s3, s34
.LBB1090_8:
	s_load_b128 s[4:7], s[0:1], 0x48
	v_lshrrev_b32_e32 v69, 5, v0
	v_bfe_u32 v66, v0, 4, 1
	v_and_b32_e32 v68, 15, v0
	v_and_b32_e32 v70, 31, v0
	;; [unrolled: 1-line block ×3, first 2 shown]
	s_mul_i32 s33, s15, 5
	v_lshl_or_b32 v1, v69, 1, v66
	v_lshlrev_b32_e32 v2, 3, v68
	v_cmp_gt_u32_e64 s2, 8, v68
	s_delay_alu instid0(VALU_DEP_3) | instskip(NEXT) | instid1(VALU_DEP_3)
	v_cmp_gt_u32_e32 vcc_lo, 5, v1
	v_lshlrev_b32_e32 v65, 1, v2
	s_delay_alu instid0(VALU_DEP_3)
	s_and_b32 s17, s2, vcc_lo
	s_waitcnt lgkmcnt(0)
	s_and_saveexec_b32 s7, s17
	s_cbranch_execz .LBB1090_10
; %bb.9:
	s_load_b64 s[20:21], s[0:1], 0x0
	v_add_lshl_u32 v2, v1, s33, 6
	s_mul_hi_i32 s23, s3, s4
	s_mul_i32 s22, s3, s4
	v_lshlrev_b32_e32 v6, 10, v68
	s_lshl_b64 s[22:23], s[22:23], 1
	v_ashrrev_i32_e32 v3, 31, v2
	v_lshlrev_b32_e32 v1, 6, v1
	v_lshlrev_b32_e32 v7, 10, v67
	v_and_b32_e32 v6, 0x3800, v6
	s_delay_alu instid0(VALU_DEP_4) | instskip(NEXT) | instid1(VALU_DEP_2)
	v_lshlrev_b64 v[2:3], 1, v[2:3]
	v_or3_b32 v1, v6, v7, v1
	s_waitcnt lgkmcnt(0)
	s_add_u32 s3, s20, s22
	s_addc_u32 s4, s21, s23
	s_delay_alu instid0(VALU_DEP_2) | instskip(SKIP_1) | instid1(VALU_DEP_2)
	v_add_co_u32 v2, vcc_lo, s3, v2
	v_add_co_ci_u32_e32 v3, vcc_lo, s4, v3, vcc_lo
	v_add_co_u32 v2, vcc_lo, v2, v65
	s_delay_alu instid0(VALU_DEP_2)
	v_add_co_ci_u32_e32 v3, vcc_lo, 0, v3, vcc_lo
	global_load_b128 v[2:5], v[2:3], off
	s_waitcnt vmcnt(0)
	ds_store_b128 v1, v[2:5]
.LBB1090_10:
	s_or_b32 exec_lo, exec_lo, s7
	v_and_b32_e32 v1, 0xef, v0
	s_add_i32 s3, s18, 15
	s_clause 0x1
	s_load_b32 s4, s[0:1], 0x38
	s_load_b32 s35, s[0:1], 0x98
	s_ashr_i32 s7, s3, 31
	v_add_nc_u32_e32 v1, s16, v1
	s_lshr_b32 s7, s7, 28
	s_load_b32 s19, s[0:1], 0x1c
	s_add_i32 s3, s3, s7
	s_waitcnt lgkmcnt(0)
	v_ashrrev_i32_e32 v2, 31, v1
	v_or_b32_e32 v3, 16, v1
	s_ashr_i32 s3, s3, 4
	v_cmp_gt_i32_e32 vcc_lo, s18, v1
	s_add_i32 s3, s3, -1
	v_lshrrev_b32_e32 v2, 28, v2
	s_barrier
	buffer_gl0_inv
	s_mul_i32 s15, s15, s6
	v_mul_lo_u16 v103, v68, 52
	v_add_nc_u32_e32 v4, v1, v2
	v_mbcnt_lo_u32_b32 v127, -1, 0
	s_mul_i32 s20, s34, s4
	s_delay_alu instid0(SALU_CYCLE_1) | instskip(NEXT) | instid1(VALU_DEP_2)
	s_ashr_i32 s21, s20, 31
	v_ashrrev_i32_e32 v4, 4, v4
	v_add_nc_u32_e32 v2, v3, v2
	s_lshl_b64 s[20:21], s[20:21], 2
	v_lshrrev_b16 v103, 8, v103
	s_add_u32 s17, s12, s20
	v_cndmask_b32_e32 v1, s3, v4, vcc_lo
	v_ashrrev_i32_e32 v2, 4, v2
	v_cmp_gt_i32_e32 vcc_lo, s18, v3
	s_addc_u32 s13, s13, s21
	s_ashr_i32 s20, s15, 31
	s_add_u32 s4, s8, s15
	s_addc_u32 s12, s9, s20
	v_cndmask_b32_e32 v3, s3, v2, vcc_lo
	v_ashrrev_i32_e32 v2, 31, v1
	s_lshl_b32 s6, s14, 4
	v_mul_lo_u16 v103, v103, 5
	s_ashr_i32 s7, s6, 31
	v_ashrrev_i32_e32 v4, 31, v3
	v_lshlrev_b64 v[1:2], 2, v[1:2]
	s_lshl_b64 s[6:7], s[6:7], 2
	v_sub_nc_u16 v103, v68, v103
	s_add_u32 s6, s17, s6
	v_lshlrev_b64 v[3:4], 2, v[3:4]
	s_addc_u32 s7, s13, s7
	v_add_co_u32 v1, vcc_lo, s17, v1
	v_add_co_ci_u32_e32 v2, vcc_lo, s13, v2, vcc_lo
	s_delay_alu instid0(VALU_DEP_3) | instskip(NEXT) | instid1(VALU_DEP_4)
	v_add_co_u32 v3, vcc_lo, s17, v3
	v_add_co_ci_u32_e32 v4, vcc_lo, s13, v4, vcc_lo
	s_clause 0x1
	global_load_b32 v5, v[1:2], off
	global_load_b32 v7, v[3:4], off
	s_or_b32 s8, s16, 32
	v_lshlrev_b32_e32 v1, 4, v0
	s_ashr_i32 s9, s8, 4
	s_cmp_lt_i32 s8, s18
	v_xor_b32_e32 v128, 16, v127
	s_cselect_b32 s8, s9, s3
	v_and_b32_e32 v1, 0xf0, v1
	s_ashr_i32 s9, s8, 31
	s_delay_alu instid0(SALU_CYCLE_1)
	s_lshl_b64 s[8:9], s[8:9], 2
	v_cmp_gt_i32_e32 vcc_lo, 32, v128
	s_add_u32 s8, s17, s8
	s_addc_u32 s9, s13, s9
	s_or_b32 s21, s16, 64
	v_add_co_u32 v1, s4, s4, v1
	s_ashr_i32 s22, s21, 4
	s_cmp_lt_i32 s21, s18
	v_add_co_ci_u32_e64 v2, null, s12, 0, s4
	s_cselect_b32 s22, s22, s3
	v_dual_cndmask_b32 v136, v127, v128 :: v_dual_and_b32 v103, 0xff, v103
	s_ashr_i32 s23, s22, 31
	s_delay_alu instid0(SALU_CYCLE_1) | instskip(NEXT) | instid1(VALU_DEP_1)
	s_lshl_b64 s[22:23], s[22:23], 2
	v_lshlrev_b32_e32 v115, 6, v103
	s_add_u32 s22, s17, s22
	s_addc_u32 s23, s13, s23
	s_or_b32 s21, s16, 0x60
	s_delay_alu instid0(SALU_CYCLE_1) | instskip(SKIP_2) | instid1(SALU_CYCLE_1)
	s_ashr_i32 s24, s21, 4
	s_cmp_lt_i32 s21, s18
	s_cselect_b32 s24, s24, s3
	s_ashr_i32 s25, s24, 31
	s_delay_alu instid0(SALU_CYCLE_1) | instskip(NEXT) | instid1(SALU_CYCLE_1)
	s_lshl_b64 s[24:25], s[24:25], 2
	s_add_u32 s24, s17, s24
	s_addc_u32 s25, s13, s25
	s_or_b32 s21, s16, 0x80
	s_delay_alu instid0(SALU_CYCLE_1) | instskip(SKIP_2) | instid1(SALU_CYCLE_1)
	s_ashr_i32 s26, s21, 4
	s_cmp_lt_i32 s21, s18
	s_cselect_b32 s26, s26, s3
	s_ashr_i32 s27, s26, 31
	s_delay_alu instid0(SALU_CYCLE_1) | instskip(NEXT) | instid1(SALU_CYCLE_1)
	s_lshl_b64 s[26:27], s[26:27], 2
	;; [unrolled: 10-line block ×3, first 2 shown]
	s_add_u32 s28, s17, s28
	s_addc_u32 s29, s13, s29
	s_clause 0x5
	s_load_b32 s12, s[6:7], 0x0
	s_load_b32 s4, s[8:9], 0x0
	;; [unrolled: 1-line block ×6, first 2 shown]
	s_or_b32 s21, s16, 0xc0
	s_delay_alu instid0(SALU_CYCLE_1) | instskip(SKIP_2) | instid1(SALU_CYCLE_1)
	s_ashr_i32 s22, s21, 4
	s_cmp_lt_i32 s21, s18
	s_cselect_b32 s22, s22, s3
	s_ashr_i32 s23, s22, 31
	s_delay_alu instid0(SALU_CYCLE_1) | instskip(NEXT) | instid1(SALU_CYCLE_1)
	s_lshl_b64 s[22:23], s[22:23], 2
	s_add_u32 s22, s17, s22
	s_addc_u32 s23, s13, s23
	s_or_b32 s21, s16, 0xe0
	s_delay_alu instid0(SALU_CYCLE_1) | instskip(SKIP_2) | instid1(SALU_CYCLE_1)
	s_ashr_i32 s24, s21, 4
	s_cmp_lt_i32 s21, s18
	s_cselect_b32 s24, s24, s3
	s_ashr_i32 s25, s24, 31
	s_delay_alu instid0(SALU_CYCLE_1)
	s_lshl_b64 s[24:25], s[24:25], 2
	s_waitcnt vmcnt(1)
	v_mad_i64_i32 v[3:4], null, v5, s5, v[1:2]
	s_waitcnt vmcnt(0)
	v_mad_i64_i32 v[5:6], null, v7, s5, v[1:2]
	v_lshlrev_b32_e32 v1, 4, v68
	s_clause 0x7
	global_load_b128 v[71:74], v[3:4], off
	global_load_b128 v[75:78], v[3:4], off offset:256
	global_load_b128 v[79:82], v[5:6], off
	global_load_b128 v[83:86], v[5:6], off offset:256
	global_load_b128 v[87:90], v[3:4], off offset:512
	;; [unrolled: 1-line block ×5, first 2 shown]
	v_lshl_or_b32 v1, v69, 8, v1
	s_load_b32 s3, s[22:23], 0x0
	s_add_u32 s22, s17, s24
	s_addc_u32 s23, s13, s25
	s_add_u32 s10, s10, s15
	s_addc_u32 s11, s11, s20
	v_add_co_u32 v1, s10, s10, v1
	s_delay_alu instid0(VALU_DEP_1) | instskip(SKIP_2) | instid1(VALU_DEP_1)
	v_add_co_ci_u32_e64 v2, null, s11, 0, s10
	s_load_b32 s10, s[22:23], 0x0
	s_waitcnt lgkmcnt(0)
	v_mad_i64_i32 v[3:4], null, s12, s5, v[1:2]
	v_mad_i64_i32 v[9:10], null, s7, s5, v[1:2]
	;; [unrolled: 1-line block ×7, first 2 shown]
	s_clause 0x5
	global_load_b128 v[49:52], v[3:4], off
	global_load_b128 v[53:56], v[3:4], off offset:16
	global_load_b128 v[41:44], v[5:6], off
	global_load_b128 v[45:48], v[5:6], off offset:16
	global_load_b128 v[33:36], v[7:8], off
	global_load_b128 v[37:40], v[7:8], off offset:16
	s_mov_b32 s4, 0
	v_mad_i64_i32 v[61:62], null, s10, s5, v[1:2]
	s_clause 0x9
	global_load_b128 v[1:4], v[9:10], off
	global_load_b128 v[5:8], v[9:10], off offset:16
	global_load_b128 v[9:12], v[13:14], off
	global_load_b128 v[13:16], v[13:14], off offset:16
	;; [unrolled: 2-line block ×5, first 2 shown]
	s_mov_b32 s5, s4
	s_mov_b32 s6, s4
	;; [unrolled: 1-line block ×7, first 2 shown]
	v_and_b32_e32 v104, 0xe0, v0
	v_dual_mov_b32 v126, s11 :: v_dual_mov_b32 v123, s8
	v_dual_mov_b32 v125, s10 :: v_dual_mov_b32 v124, s9
	s_delay_alu instid0(VALU_DEP_3)
	v_add_nc_u32_e32 v111, s16, v104
	ds_load_b128 v[103:106], v115
	ds_load_b128 v[107:110], v115 offset:1024
	v_dual_mov_b32 v122, s7 :: v_dual_mov_b32 v121, s6
	v_mov_b32_e32 v120, s5
	v_or_b32_e32 v135, v111, v66
	ds_load_b128 v[111:114], v115 offset:2048
	ds_load_b128 v[115:118], v115 offset:3072
	v_mov_b32_e32 v119, s4
	s_waitcnt vmcnt(0) lgkmcnt(0)
	s_barrier
	v_or_b32_e32 v137, 2, v135
	v_or_b32_e32 v138, 4, v135
	;; [unrolled: 1-line block ×3, first 2 shown]
	v_cmp_gt_i32_e32 vcc_lo, s18, v135
	v_or_b32_e32 v140, 8, v135
	v_cmp_gt_i32_e64 s3, s18, v137
	v_or_b32_e32 v141, 10, v135
	v_cmp_gt_i32_e64 s4, s18, v138
	v_cmp_gt_i32_e64 s5, s18, v139
	v_or_b32_e32 v142, 12, v135
	v_or_b32_e32 v143, 14, v135
	v_cmp_gt_i32_e64 s6, s18, v140
	v_cmp_gt_i32_e64 s7, s18, v141
	v_or_b32_e32 v144, 16, v135
	v_or_b32_e32 v145, 18, v135
	v_cmp_gt_i32_e64 s8, s18, v142
	v_cmp_gt_i32_e64 s9, s18, v143
	buffer_gl0_inv
	v_cmp_gt_i32_e64 s10, s18, v144
	v_cmp_gt_i32_e64 s11, s18, v145
	v_wmma_f32_16x16x16_f16 v[127:134], v[71:78], v[103:110], v[119:126]
	v_wmma_f32_16x16x16_f16 v[119:126], v[79:86], v[103:110], v[119:126]
	v_or_b32_e32 v71, 20, v135
	v_or_b32_e32 v72, 22, v135
	s_delay_alu instid0(VALU_DEP_4)
	v_wmma_f32_16x16x16_f16 v[127:134], v[87:94], v[111:118], v[127:134]
	v_or_b32_e32 v73, 24, v135
	v_wmma_f32_16x16x16_f16 v[119:126], v[95:102], v[111:118], v[119:126]
	v_or_b32_e32 v74, 26, v135
	v_cmp_gt_i32_e64 s12, s18, v71
	v_dual_mul_f32 v83, s19, v128 :: v_dual_mul_f32 v84, s19, v127
	s_delay_alu instid0(VALU_DEP_4) | instskip(SKIP_1) | instid1(VALU_DEP_3)
	v_dual_mul_f32 v81, s19, v130 :: v_dual_mul_f32 v92, s19, v119
	v_mul_f32_e32 v82, s19, v129
	v_cndmask_b32_e64 v83, 0xff7fffff, v83, s3
	s_delay_alu instid0(VALU_DEP_4)
	v_cndmask_b32_e32 v84, 0xff7fffff, v84, vcc_lo
	v_dual_mul_f32 v79, s19, v132 :: v_dual_mul_f32 v90, s19, v121
	v_mul_f32_e32 v80, s19, v131
	v_cndmask_b32_e64 v82, 0xff7fffff, v82, s4
	v_cndmask_b32_e64 v81, 0xff7fffff, v81, s5
	v_max3_f32 v83, v84, 0xff7fffff, v83
	v_dual_mul_f32 v77, s19, v134 :: v_dual_mul_f32 v88, s19, v123
	v_mul_f32_e32 v78, s19, v133
	v_cndmask_b32_e64 v80, 0xff7fffff, v80, s6
	v_cndmask_b32_e64 v79, 0xff7fffff, v79, s7
	v_max3_f32 v81, v83, v82, v81
	v_mul_f32_e32 v91, s19, v120
	v_cndmask_b32_e64 v78, 0xff7fffff, v78, s8
	v_cndmask_b32_e64 v77, 0xff7fffff, v77, s9
	v_mul_f32_e32 v89, s19, v122
	v_max3_f32 v79, v81, v80, v79
	v_cndmask_b32_e64 v80, 0xff7fffff, v92, s10
	v_cndmask_b32_e64 v81, 0xff7fffff, v91, s11
	v_cmp_gt_i32_e64 s13, s18, v72
	v_or_b32_e32 v75, 28, v135
	v_max3_f32 v77, v79, v78, v77
	v_or_b32_e32 v76, 30, v135
	v_mul_f32_e32 v87, s19, v124
	v_cndmask_b32_e64 v71, 0xff7fffff, v90, s12
	v_cndmask_b32_e64 v72, 0xff7fffff, v89, s13
	v_max3_f32 v77, v77, v80, v81
	v_cmp_gt_i32_e64 s15, s18, v73
	v_cmp_gt_i32_e64 s16, s18, v74
	v_dual_mul_f32 v85, s19, v126 :: v_dual_mul_f32 v86, s19, v125
	s_delay_alu instid0(VALU_DEP_4) | instskip(NEXT) | instid1(VALU_DEP_4)
	v_max3_f32 v71, v77, v71, v72
	v_cndmask_b32_e64 v73, 0xff7fffff, v88, s15
	s_delay_alu instid0(VALU_DEP_4) | instskip(SKIP_2) | instid1(VALU_DEP_3)
	v_cndmask_b32_e64 v74, 0xff7fffff, v87, s16
	v_cmp_gt_i32_e64 s17, s18, v75
	v_cmp_gt_i32_e64 s18, s18, v76
	v_max3_f32 v71, v71, v73, v74
	s_delay_alu instid0(VALU_DEP_3) | instskip(NEXT) | instid1(VALU_DEP_3)
	v_cndmask_b32_e64 v72, 0xff7fffff, v86, s17
	v_cndmask_b32_e64 v75, 0xff7fffff, v85, s18
	v_lshlrev_b32_e32 v73, 2, v136
	s_delay_alu instid0(VALU_DEP_2) | instskip(SKIP_3) | instid1(VALU_DEP_1)
	v_max3_f32 v71, v71, v72, v75
	ds_bpermute_b32 v72, v73, v71
	s_waitcnt lgkmcnt(0)
	v_max_f32_e32 v72, v72, v72
	v_max_f32_e32 v71, v71, v72
	s_delay_alu instid0(VALU_DEP_1)
	v_fma_f32 v72, s19, v127, -v71
	v_fma_f32 v74, s19, v128, -v71
	;; [unrolled: 1-line block ×5, first 2 shown]
	v_mul_f32_e32 v72, 0x3fb8aa3b, v72
	v_mul_f32_e32 v74, 0x3fb8aa3b, v74
	v_fma_f32 v80, s19, v133, -v71
	s_delay_alu instid0(VALU_DEP_4) | instskip(NEXT) | instid1(VALU_DEP_4)
	v_dual_mul_f32 v76, 0x3fb8aa3b, v76 :: v_dual_mul_f32 v77, 0x3fb8aa3b, v77
	v_exp_f32_e32 v72, v72
	s_delay_alu instid0(VALU_DEP_3) | instskip(NEXT) | instid1(VALU_DEP_2)
	v_exp_f32_e32 v74, v74
	v_mul_f32_e32 v82, 0x3fb8aa3b, v80
	s_delay_alu instid0(VALU_DEP_2) | instskip(SKIP_1) | instid1(VALU_DEP_1)
	v_exp_f32_e32 v76, v76
	v_exp_f32_e32 v77, v77
	;; [unrolled: 1-line block ×3, first 2 shown]
	v_cndmask_b32_e32 v79, 0, v72, vcc_lo
	v_fma_f32 v72, s19, v132, -v71
	v_mul_f32_e32 v75, 0x3fb8aa3b, v75
	v_cndmask_b32_e64 v78, 0, v74, s3
	s_delay_alu instid0(TRANS32_DEP_3)
	v_cndmask_b32_e64 v80, 0, v76, s5
	v_add_f32_e32 v74, 0, v79
	v_mul_f32_e32 v72, 0x3fb8aa3b, v72
	v_exp_f32_e32 v75, v75
	v_cndmask_b32_e64 v83, 0, v77, s6
	v_cndmask_b32_e64 v85, 0, v84, s8
	v_add_f32_e32 v74, v74, v78
	v_exp_f32_e32 v72, v72
	v_cmp_gt_u32_e64 s3, 16, v70
	s_waitcnt_depctr 0xfff
	v_cndmask_b32_e64 v81, 0, v75, s4
	v_cndmask_b32_e64 v82, 0, v72, s7
	s_delay_alu instid0(VALU_DEP_2) | instskip(NEXT) | instid1(VALU_DEP_1)
	v_add_f32_e32 v74, v74, v81
	v_add_f32_e32 v74, v74, v80
	s_delay_alu instid0(VALU_DEP_1) | instskip(SKIP_4) | instid1(VALU_DEP_4)
	v_add_f32_e32 v72, v74, v83
	v_fma_f32 v75, s19, v134, -v71
	v_fma_f32 v76, s19, v119, -v71
	;; [unrolled: 1-line block ×4, first 2 shown]
	v_dual_add_f32 v72, v72, v82 :: v_dual_mul_f32 v75, 0x3fb8aa3b, v75
	s_delay_alu instid0(VALU_DEP_3) | instskip(SKIP_1) | instid1(VALU_DEP_3)
	v_dual_mul_f32 v76, 0x3fb8aa3b, v76 :: v_dual_mul_f32 v77, 0x3fb8aa3b, v77
	v_fma_f32 v86, s19, v122, -v71
	v_add_f32_e32 v72, v72, v85
	s_delay_alu instid0(VALU_DEP_4) | instskip(NEXT) | instid1(VALU_DEP_3)
	v_exp_f32_e32 v75, v75
	v_exp_f32_e32 v76, v76
	;; [unrolled: 1-line block ×3, first 2 shown]
	v_mul_f32_e32 v86, 0x3fb8aa3b, v86
	s_delay_alu instid0(VALU_DEP_1) | instskip(SKIP_3) | instid1(TRANS32_DEP_3)
	v_exp_f32_e32 v88, v86
	v_cndmask_b32_e64 v84, 0, v75, s9
	v_fma_f32 v75, s19, v123, -v71
	v_mul_f32_e32 v74, 0x3fb8aa3b, v74
	v_cndmask_b32_e64 v87, 0, v76, s10
	v_fma_f32 v76, s19, v124, -v71
	s_delay_alu instid0(VALU_DEP_4) | instskip(NEXT) | instid1(VALU_DEP_4)
	v_dual_add_f32 v72, v72, v84 :: v_dual_mul_f32 v75, 0x3fb8aa3b, v75
	v_exp_f32_e32 v74, v74
	v_cndmask_b32_e64 v86, 0, v77, s11
	v_fma_f32 v77, s19, v125, -v71
	s_delay_alu instid0(VALU_DEP_3) | instskip(SKIP_3) | instid1(VALU_DEP_3)
	v_add_f32_e32 v72, v72, v87
	v_mul_f32_e32 v76, 0x3fb8aa3b, v76
	v_exp_f32_e32 v75, v75
	v_cndmask_b32_e64 v88, 0, v88, s13
	v_add_f32_e32 v72, v72, v86
	s_delay_alu instid0(VALU_DEP_3) | instskip(NEXT) | instid1(TRANS32_DEP_3)
	v_exp_f32_e32 v76, v76
	v_cndmask_b32_e64 v89, 0, v74, s12
	v_mul_f32_e32 v74, 0x3fb8aa3b, v77
	v_fma_f32 v77, s19, v126, -v71
	s_delay_alu instid0(VALU_DEP_3) | instskip(NEXT) | instid1(VALU_DEP_3)
	v_add_f32_e32 v72, v72, v89
	v_exp_f32_e32 v74, v74
	s_delay_alu instid0(TRANS32_DEP_3) | instskip(NEXT) | instid1(VALU_DEP_3)
	v_cndmask_b32_e64 v91, 0, v75, s15
	v_mul_f32_e32 v75, 0x3fb8aa3b, v77
	s_delay_alu instid0(TRANS32_DEP_2) | instskip(SKIP_1) | instid1(VALU_DEP_3)
	v_cndmask_b32_e64 v90, 0, v76, s16
	v_add_f32_e32 v72, v72, v88
	v_exp_f32_e32 v75, v75
	s_delay_alu instid0(VALU_DEP_1) | instskip(NEXT) | instid1(TRANS32_DEP_2)
	v_add_f32_e32 v72, v72, v91
	v_cndmask_b32_e64 v93, 0, v74, s17
	s_delay_alu instid0(VALU_DEP_2) | instskip(SKIP_3) | instid1(VALU_DEP_1)
	v_add_f32_e32 v72, v72, v90
	s_waitcnt_depctr 0xfff
	v_cndmask_b32_e64 v92, 0, v75, s18
	v_add_f32_e32 v72, v72, v93
	v_add_f32_e32 v72, v72, v92
	ds_bpermute_b32 v73, v73, v72
	s_and_saveexec_b32 s4, s3
	s_cbranch_execz .LBB1090_12
; %bb.11:
	v_mul_u32_u24_e32 v70, 0x44, v69
	s_waitcnt lgkmcnt(0)
	v_add_f32_e32 v72, v72, v73
	s_delay_alu instid0(VALU_DEP_2) | instskip(NEXT) | instid1(VALU_DEP_1)
	v_lshl_add_u32 v70, v68, 2, v70
	v_add_nc_u32_e32 v70, 0x4000, v70
	ds_store_2addr_b32 v70, v71, v72 offset1:136
.LBB1090_12:
	s_or_b32 exec_lo, exec_lo, s4
	v_lshlrev_b32_e32 v70, 2, v68
	s_load_b32 s36, s[0:1], 0x94
	s_waitcnt lgkmcnt(0)
	s_barrier
	buffer_gl0_inv
	v_add_nc_u32_e32 v98, 0x4000, v70
	v_cmp_eq_u32_e32 vcc_lo, 1, v69
	v_cmp_eq_u32_e64 s4, 2, v69
	v_cmp_eq_u32_e64 s5, 3, v69
	;; [unrolled: 1-line block ×3, first 2 shown]
	ds_load_2addr_b32 v[70:71], v98 offset1:17
	ds_load_2addr_b32 v[72:73], v98 offset0:34 offset1:51
	ds_load_2addr_b32 v[74:75], v98 offset0:68 offset1:85
	;; [unrolled: 1-line block ×3, first 2 shown]
	v_cmp_eq_u32_e64 s7, 5, v69
	v_cmp_eq_u32_e64 s8, 7, v69
	s_waitcnt lgkmcnt(3)
	v_max3_f32 v76, v70, 0xff7fffff, v71
	s_waitcnt lgkmcnt(2)
	s_delay_alu instid0(VALU_DEP_1) | instskip(SKIP_1) | instid1(VALU_DEP_1)
	v_max3_f32 v76, v76, v72, v73
	s_waitcnt lgkmcnt(1)
	v_max3_f32 v76, v76, v74, v75
	s_waitcnt lgkmcnt(0)
	s_delay_alu instid0(VALU_DEP_1) | instskip(NEXT) | instid1(VALU_DEP_1)
	v_max3_f32 v76, v76, v94, v95
	v_sub_f32_e32 v77, v71, v76
	ds_load_2addr_b32 v[96:97], v98 offset0:136 offset1:153
	v_sub_f32_e32 v74, v74, v76
	v_sub_f32_e32 v70, v70, v76
	;; [unrolled: 1-line block ×3, first 2 shown]
	v_dual_sub_f32 v72, v72, v76 :: v_dual_mul_f32 v77, 0x3fb8aa3b, v77
	s_delay_alu instid0(VALU_DEP_4) | instskip(NEXT) | instid1(VALU_DEP_4)
	v_mul_f32_e32 v103, 0x3fb8aa3b, v74
	v_mul_f32_e32 v99, 0x3fb8aa3b, v70
	ds_load_2addr_b32 v[70:71], v98 offset0:170 offset1:187
	v_dual_mul_f32 v101, 0x3fb8aa3b, v72 :: v_dual_mul_f32 v94, 0x3fb8aa3b, v94
	v_exp_f32_e32 v102, v77
	v_exp_f32_e32 v99, v99
	s_delay_alu instid0(VALU_DEP_1) | instskip(NEXT) | instid1(VALU_DEP_1)
	v_exp_f32_e32 v101, v101
	v_exp_f32_e32 v94, v94
	s_waitcnt lgkmcnt(1)
	s_delay_alu instid0(TRANS32_DEP_3)
	v_fma_f32 v77, v99, v96, 0
	v_sub_f32_e32 v100, v73, v76
	ds_load_2addr_b32 v[72:73], v98 offset0:204 offset1:221
	v_fmac_f32_e32 v77, v102, v97
	v_exp_f32_e32 v97, v103
	s_waitcnt lgkmcnt(1)
	s_delay_alu instid0(VALU_DEP_1)
	v_dual_fmac_f32 v77, v101, v70 :: v_dual_sub_f32 v96, v75, v76
	ds_load_2addr_b32 v[74:75], v98 offset0:238 offset1:255
	v_sub_f32_e32 v70, v95, v76
	s_waitcnt lgkmcnt(0)
	s_barrier
	v_mul_f32_e32 v96, 0x3fb8aa3b, v96
	buffer_gl0_inv
	v_exp_f32_e32 v95, v96
	v_mul_f32_e32 v100, 0x3fb8aa3b, v100
	s_delay_alu instid0(VALU_DEP_1) | instskip(SKIP_3) | instid1(VALU_DEP_2)
	v_exp_f32_e32 v100, v100
	s_waitcnt_depctr 0xfff
	v_dual_fmac_f32 v77, v100, v71 :: v_dual_mul_f32 v70, 0x3fb8aa3b, v70
	v_cndmask_b32_e32 v71, v99, v102, vcc_lo
	v_fmac_f32_e32 v77, v97, v72
	s_delay_alu instid0(VALU_DEP_3) | instskip(NEXT) | instid1(VALU_DEP_1)
	v_exp_f32_e32 v96, v70
	v_fmac_f32_e32 v77, v95, v73
	s_delay_alu instid0(VALU_DEP_1) | instskip(SKIP_2) | instid1(VALU_DEP_1)
	v_fmac_f32_e32 v77, v94, v74
	s_waitcnt_depctr 0xfff
	v_fmac_f32_e32 v77, v96, v75
	v_add_f32_e32 v74, 0x358637bd, v77
	s_delay_alu instid0(VALU_DEP_1) | instskip(SKIP_1) | instid1(VALU_DEP_2)
	v_div_scale_f32 v98, null, v74, v74, 1.0
	v_div_scale_f32 v99, vcc_lo, 1.0, v74, 1.0
	v_rcp_f32_e32 v103, v98
	s_waitcnt_depctr 0xfff
	v_fma_f32 v70, -v98, v103, 1.0
	s_delay_alu instid0(VALU_DEP_1) | instskip(SKIP_2) | instid1(VALU_DEP_2)
	v_fmac_f32_e32 v103, v70, v103
	v_cndmask_b32_e64 v70, v71, v101, s4
	v_cmp_eq_u32_e64 s4, 6, v69
	v_cndmask_b32_e64 v71, v70, v100, s5
	s_delay_alu instid0(VALU_DEP_4) | instskip(NEXT) | instid1(VALU_DEP_2)
	v_dual_mul_f32 v101, v99, v103 :: v_dual_lshlrev_b32 v70, 2, v66
	v_cndmask_b32_e64 v71, v71, v97, s6
	s_delay_alu instid0(VALU_DEP_2) | instskip(NEXT) | instid1(VALU_DEP_3)
	v_or_b32_e32 v72, 1, v70
	v_fma_f32 v100, -v98, v101, v99
	v_cmp_eq_u32_e64 s5, 1, v70
	v_cmp_eq_u32_e64 s6, 2, v70
	v_cndmask_b32_e64 v95, v71, v95, s7
	v_or_b32_e32 v71, 3, v70
	v_fmac_f32_e32 v101, v100, v103
	v_cmp_eq_u32_e64 s10, 1, v72
	v_cmp_eq_u32_e64 s13, 2, v72
	v_cndmask_b32_e64 v94, v95, v94, s4
	v_cmp_eq_u32_e64 s12, 1, v71
	v_fma_f32 v97, -v98, v101, v99
	v_cmp_eq_u32_e64 s17, 2, v71
	v_cmp_eq_u32_e64 s15, 3, v72
	v_cndmask_b32_e64 v94, v94, v96, s8
	v_cmp_eq_u32_e64 s19, 3, v71
	v_div_fmas_f32 v95, v97, v103, v101
	v_cmp_eq_u32_e32 vcc_lo, 3, v70
	v_cmp_eq_u32_e64 s4, 4, v70
	v_cmp_eq_u32_e64 s20, 4, v72
	;; [unrolled: 1-line block ×3, first 2 shown]
	v_div_fixup_f32 v95, v95, v74, 1.0
	v_lshlrev_b32_e32 v73, 6, v68
	v_cmp_eq_u32_e64 s7, 5, v70
	v_cmp_eq_u32_e64 s21, 5, v72
	;; [unrolled: 1-line block ×3, first 2 shown]
	v_mul_f32_e32 v102, v94, v95
	v_lshl_or_b32 v75, v69, 11, v73
	v_or_b32_e32 v69, 2, v70
	v_cmp_eq_u32_e64 s26, 6, v72
	v_cmp_eq_u32_e64 s28, 6, v71
	v_fma_mixlo_f16 v94, v102, v79, 0
	v_fma_mixlo_f16 v95, v102, v81, 0
	;; [unrolled: 1-line block ×8, first 2 shown]
	v_lshl_or_b32 v74, v66, 4, v75
	v_fma_mixhi_f16 v94, v102, v78, 0
	v_fma_mixhi_f16 v95, v102, v80, 0
	;; [unrolled: 1-line block ×8, first 2 shown]
	ds_store_b128 v74, v[94:97]
	ds_store_b128 v74, v[98:101] offset:1024
	s_waitcnt lgkmcnt(0)
	s_barrier
	buffer_gl0_inv
	ds_load_b128 v[78:81], v75
	ds_load_b128 v[82:85], v75 offset:16
	ds_load_b128 v[86:89], v75 offset:1024
	;; [unrolled: 1-line block ×3, first 2 shown]
	v_cmp_eq_u32_e64 s11, 1, v69
	v_cmp_eq_u32_e64 s16, 2, v69
	;; [unrolled: 1-line block ×11, first 2 shown]
	s_waitcnt lgkmcnt(3)
	v_lshrrev_b32_e32 v94, 16, v78
	s_waitcnt lgkmcnt(2)
	v_lshrrev_b32_e32 v98, 16, v82
	;; [unrolled: 2-line block ×4, first 2 shown]
	v_lshrrev_b32_e32 v95, 16, v79
	v_cndmask_b32_e64 v110, v78, v94, s5
	v_cndmask_b32_e64 v111, v82, v98, s5
	;; [unrolled: 1-line block ×8, first 2 shown]
	v_lshrrev_b32_e32 v99, 16, v83
	v_cndmask_b32_e64 v94, v86, v102, s5
	v_cndmask_b32_e64 v98, v90, v106, s5
	;; [unrolled: 1-line block ×15, first 2 shown]
	v_lshrrev_b32_e32 v103, 16, v87
	v_lshrrev_b32_e32 v107, 16, v91
	v_cndmask_b32_e64 v113, v115, v83, s16
	v_cndmask_b32_e64 v82, v94, v87, s6
	v_cndmask_b32_e64 v83, v98, v91, s6
	v_cndmask_b32_e64 v94, v116, v87, s13
	v_cndmask_b32_e64 v98, v118, v87, s16
	v_cndmask_b32_e64 v86, v86, v87, s17
	v_cndmask_b32_e64 v87, v90, v91, s17
	v_cndmask_b32_e32 v90, v102, v95, vcc_lo
	v_cndmask_b32_e32 v102, v106, v99, vcc_lo
	v_cndmask_b32_e64 v106, v110, v95, s15
	v_cndmask_b32_e64 v110, v111, v99, s15
	;; [unrolled: 1-line block ×4, first 2 shown]
	v_lshrrev_b32_e32 v96, 16, v80
	v_lshrrev_b32_e32 v100, 16, v84
	v_cndmask_b32_e64 v111, v112, v95, s18
	v_cndmask_b32_e64 v112, v113, v99, s18
	v_cndmask_b32_e32 v82, v82, v103, vcc_lo
	v_cndmask_b32_e32 v83, v83, v107, vcc_lo
	v_cndmask_b32_e64 v94, v94, v103, s15
	v_cndmask_b32_e64 v90, v90, v80, s4
	;; [unrolled: 1-line block ×7, first 2 shown]
	v_lshrrev_b32_e32 v104, 16, v88
	v_cndmask_b32_e64 v106, v111, v80, s22
	v_cndmask_b32_e64 v110, v112, v84, s22
	;; [unrolled: 1-line block ×11, first 2 shown]
	v_lshrrev_b32_e32 v97, 16, v81
	v_lshrrev_b32_e32 v101, 16, v85
	v_cndmask_b32_e64 v99, v106, v96, s24
	v_cndmask_b32_e64 v102, v110, v100, s24
	;; [unrolled: 1-line block ×7, first 2 shown]
	v_lshrrev_b32_e32 v105, 16, v89
	v_cndmask_b32_e64 v80, v80, v104, s7
	v_cndmask_b32_e64 v84, v84, v81, s8
	;; [unrolled: 1-line block ×16, first 2 shown]
	v_perm_b32 v81, v79, v78, 0x5040100
	v_perm_b32 v79, v95, v85, 0x5040100
	v_cndmask_b32_e64 v78, v119, v91, s16
	v_cndmask_b32_e64 v85, v117, v91, s13
	;; [unrolled: 1-line block ×3, first 2 shown]
	v_perm_b32 v80, v94, v90, 0x5040100
	v_cndmask_b32_e64 v90, v98, v103, s18
	v_cndmask_b32_e64 v86, v86, v103, s19
	;; [unrolled: 1-line block ×5, first 2 shown]
	v_lshrrev_b32_e32 v108, 16, v92
	v_cndmask_b32_e64 v90, v90, v88, s22
	v_cndmask_b32_e64 v86, v86, v88, s23
	;; [unrolled: 1-line block ×11, first 2 shown]
	v_lshrrev_b32_e32 v109, 16, v93
	v_cndmask_b32_e64 v82, v82, v93, s8
	v_cndmask_b32_e64 v88, v88, v89, s27
	;; [unrolled: 1-line block ×12, first 2 shown]
	v_perm_b32 v78, v84, v83, 0x5040100
	v_perm_b32 v85, v87, v86, 0x5040100
	;; [unrolled: 1-line block ×5, first 2 shown]
	s_mul_i32 s9, s35, 5
	s_mov_b32 s4, exec_lo
	ds_store_b128 v74, v[78:81]
	ds_store_b128 v74, v[82:85] offset:1024
	v_cmpx_gt_u32_e32 5, v0
	s_cbranch_execz .LBB1090_14
; %bb.13:
	s_mul_i32 s5, s9, s34
	s_load_b128 s[16:19], s[0:1], 0x58
	v_add3_u32 v68, s5, s33, v68
	s_delay_alu instid0(VALU_DEP_1) | instskip(NEXT) | instid1(VALU_DEP_1)
	v_mad_u64_u32 v[78:79], null, v68, s36, s[14:15]
	v_ashrrev_i32_e32 v79, 31, v78
	s_delay_alu instid0(VALU_DEP_1) | instskip(SKIP_1) | instid1(VALU_DEP_1)
	v_lshlrev_b64 v[78:79], 2, v[78:79]
	s_waitcnt lgkmcnt(0)
	v_add_co_u32 v80, vcc_lo, s18, v78
	s_delay_alu instid0(VALU_DEP_2)
	v_add_co_ci_u32_e32 v81, vcc_lo, s19, v79, vcc_lo
	v_add_co_u32 v78, vcc_lo, s16, v78
	v_add_co_ci_u32_e32 v79, vcc_lo, s17, v79, vcc_lo
	global_store_b32 v[80:81], v76, off
	global_store_b32 v[78:79], v77, off
.LBB1090_14:
	s_or_b32 exec_lo, exec_lo, s4
	s_waitcnt lgkmcnt(0)
	s_waitcnt_vscnt null, 0x0
	s_barrier
	buffer_gl0_inv
	ds_load_b128 v[84:87], v73
	ds_load_b128 v[88:91], v73 offset:16
	ds_load_b128 v[96:99], v73 offset:2064
	;; [unrolled: 1-line block ×5, first 2 shown]
	v_cmp_eq_u32_e32 vcc_lo, 1, v70
	v_mov_b32_e32 v76, 0
	ds_load_b128 v[112:115], v73 offset:6160
	ds_load_b128 v[108:111], v73 offset:6144
	;; [unrolled: 1-line block ×4, first 2 shown]
	v_cmp_eq_u32_e64 s5, 1, v69
	v_cmp_eq_u32_e64 s4, 1, v72
	;; [unrolled: 1-line block ×3, first 2 shown]
	v_mov_b32_e32 v77, v76
	v_mov_b32_e32 v78, v76
	;; [unrolled: 1-line block ×7, first 2 shown]
	v_cmp_eq_u32_e64 s7, 3, v72
	v_cmp_eq_u32_e64 s8, 7, v72
	s_waitcnt lgkmcnt(8)
	s_delay_alu instid0(VALU_DEP_3)
	v_wmma_f32_16x16x16_f16 v[76:83], v[49:56], v[84:91], v[76:83]
	ds_load_b128 v[53:56], v73 offset:10256
	ds_load_b128 v[49:52], v73 offset:10240
	s_waitcnt lgkmcnt(8)
	v_wmma_f32_16x16x16_f16 v[76:83], v[41:48], v[92:99], v[76:83]
	ds_load_b128 v[45:48], v73 offset:12304
	ds_load_b128 v[41:44], v73 offset:12288
	s_waitcnt lgkmcnt(8)
	v_wmma_f32_16x16x16_f16 v[76:83], v[33:40], v[100:107], v[76:83]
	ds_load_b128 v[37:40], v73 offset:14352
	ds_load_b128 v[33:36], v73 offset:14336
	s_waitcnt lgkmcnt(0)
	s_barrier
	buffer_gl0_inv
	v_wmma_f32_16x16x16_f16 v[76:83], v[1:8], v[108:115], v[76:83]
	s_delay_alu instid0(VALU_DEP_1) | instskip(NEXT) | instid1(VALU_DEP_1)
	v_wmma_f32_16x16x16_f16 v[76:83], v[9:16], v[116:123], v[76:83]
	v_wmma_f32_16x16x16_f16 v[76:83], v[17:24], v[49:56], v[76:83]
	s_delay_alu instid0(VALU_DEP_1) | instskip(NEXT) | instid1(VALU_DEP_1)
	v_wmma_f32_16x16x16_f16 v[76:83], v[25:32], v[41:48], v[76:83]
	v_wmma_f32_16x16x16_f16 v[76:83], v[57:64], v[33:40], v[76:83]
	s_delay_alu instid0(VALU_DEP_1) | instskip(NEXT) | instid1(VALU_DEP_2)
	v_cvt_f16_f32_e32 v1, v76
	v_cvt_f16_f32_e32 v2, v77
	s_delay_alu instid0(VALU_DEP_3) | instskip(NEXT) | instid1(VALU_DEP_4)
	v_cvt_f16_f32_e32 v3, v78
	v_cvt_f16_f32_e32 v4, v79
	;; [unrolled: 1-line block ×6, first 2 shown]
	v_pack_b32_f16 v1, v1, v2
	v_pack_b32_f16 v2, v3, v4
	;; [unrolled: 1-line block ×3, first 2 shown]
	s_delay_alu instid0(VALU_DEP_4)
	v_pack_b32_f16 v4, v7, v8
	ds_store_b128 v74, v[1:4]
	s_waitcnt lgkmcnt(0)
	s_barrier
	buffer_gl0_inv
	ds_load_b128 v[1:4], v75
	ds_load_b128 v[5:8], v75 offset:16
	s_waitcnt lgkmcnt(1)
	v_lshrrev_b32_e32 v9, 16, v1
	s_waitcnt lgkmcnt(0)
	v_lshrrev_b32_e32 v13, 16, v5
	v_lshrrev_b32_e32 v10, 16, v2
	;; [unrolled: 1-line block ×4, first 2 shown]
	v_cndmask_b32_e32 v17, v1, v9, vcc_lo
	v_cndmask_b32_e32 v18, v5, v13, vcc_lo
	v_cndmask_b32_e64 v21, v1, v9, s5
	v_cmp_eq_u32_e32 vcc_lo, 1, v71
	v_cndmask_b32_e64 v22, v5, v13, s5
	v_cmp_eq_u32_e64 s5, 2, v70
	v_cndmask_b32_e64 v19, v1, v9, s4
	v_cndmask_b32_e64 v20, v5, v13, s4
	v_cndmask_b32_e32 v1, v1, v9, vcc_lo
	v_cmp_eq_u32_e64 s4, 2, v71
	v_cndmask_b32_e32 v5, v5, v13, vcc_lo
	v_cndmask_b32_e64 v9, v17, v2, s5
	v_cmp_eq_u32_e32 vcc_lo, 3, v70
	v_cndmask_b32_e64 v13, v18, v6, s5
	v_cmp_eq_u32_e64 s5, 2, v69
	v_cndmask_b32_e64 v17, v19, v2, s6
	v_cndmask_b32_e64 v18, v20, v6, s6
	v_cmp_eq_u32_e64 s6, 3, v69
	v_cndmask_b32_e64 v1, v1, v2, s4
	v_cndmask_b32_e64 v19, v21, v2, s5
	;; [unrolled: 1-line block ×4, first 2 shown]
	v_cndmask_b32_e32 v5, v9, v10, vcc_lo
	v_cndmask_b32_e32 v6, v13, v14, vcc_lo
	v_cmp_eq_u32_e32 vcc_lo, 3, v71
	v_cndmask_b32_e64 v9, v17, v10, s7
	v_cndmask_b32_e64 v13, v18, v14, s7
	;; [unrolled: 1-line block ×3, first 2 shown]
	v_cmp_eq_u32_e64 s5, 4, v70
	v_cndmask_b32_e32 v1, v1, v10, vcc_lo
	v_cndmask_b32_e32 v2, v2, v14, vcc_lo
	v_cmp_eq_u32_e32 vcc_lo, 4, v72
	v_lshrrev_b32_e32 v15, 16, v7
	v_lshrrev_b32_e32 v16, 16, v8
	v_cndmask_b32_e64 v17, v19, v10, s6
	v_cmp_eq_u32_e64 s4, 4, v71
	v_cndmask_b32_e64 v5, v5, v3, s5
	v_cndmask_b32_e64 v6, v6, v7, s5
	v_cndmask_b32_e32 v9, v9, v3, vcc_lo
	v_cmp_eq_u32_e64 s5, 5, v72
	v_cndmask_b32_e32 v10, v13, v7, vcc_lo
	v_cmp_eq_u32_e32 vcc_lo, 4, v69
	v_cmp_eq_u32_e64 s6, 5, v70
	v_cndmask_b32_e64 v2, v2, v7, s4
	v_cndmask_b32_e64 v9, v9, v11, s5
	v_cndmask_b32_e64 v10, v10, v15, s5
	v_cndmask_b32_e32 v13, v17, v3, vcc_lo
	v_cmp_eq_u32_e64 s5, 5, v69
	v_cndmask_b32_e32 v14, v18, v7, vcc_lo
	v_cndmask_b32_e64 v1, v1, v3, s4
	v_cmp_eq_u32_e32 vcc_lo, 5, v71
	v_lshrrev_b32_e32 v12, 16, v4
	v_cndmask_b32_e64 v13, v13, v11, s5
	v_cndmask_b32_e64 v3, v14, v15, s5
	v_cmp_eq_u32_e64 s5, 6, v71
	v_cndmask_b32_e32 v1, v1, v11, vcc_lo
	v_cndmask_b32_e64 v5, v5, v11, s6
	v_cmp_eq_u32_e64 s7, 6, v70
	v_cndmask_b32_e64 v6, v6, v15, s6
	v_cmp_eq_u32_e64 s6, 6, v72
	v_cmp_eq_u32_e64 s4, 6, v69
	v_cndmask_b32_e64 v1, v1, v4, s5
	v_cndmask_b32_e32 v2, v2, v15, vcc_lo
	v_cmp_eq_u32_e32 vcc_lo, 7, v71
	v_cndmask_b32_e64 v5, v5, v4, s7
	v_cndmask_b32_e64 v9, v9, v4, s6
	;; [unrolled: 1-line block ×3, first 2 shown]
	v_cmp_eq_u32_e64 s7, 7, v70
	v_cndmask_b32_e32 v1, v1, v12, vcc_lo
	v_cndmask_b32_e64 v7, v13, v4, s4
	v_cndmask_b32_e64 v3, v3, v8, s4
	;; [unrolled: 1-line block ×3, first 2 shown]
	v_cmp_eq_u32_e64 s4, 7, v69
	v_cndmask_b32_e64 v4, v10, v8, s6
	v_cndmask_b32_e64 v5, v5, v12, s7
	;; [unrolled: 1-line block ×3, first 2 shown]
	v_cndmask_b32_e32 v2, v2, v16, vcc_lo
	v_cndmask_b32_e64 v7, v7, v12, s4
	v_cndmask_b32_e64 v3, v3, v16, s4
	;; [unrolled: 1-line block ×4, first 2 shown]
	v_cmp_gt_u32_e32 vcc_lo, 32, v0
	v_perm_b32 v4, v2, v1, 0x5040100
	v_perm_b32 v3, v3, v7, 0x5040100
	;; [unrolled: 1-line block ×4, first 2 shown]
	s_and_b32 s2, vcc_lo, s2
	ds_store_b128 v74, v[1:4]
	s_waitcnt lgkmcnt(0)
	s_barrier
	buffer_gl0_inv
	s_and_saveexec_b32 s4, s2
	s_cbranch_execz .LBB1090_2
; %bb.15:
	s_load_b64 s[4:5], s[0:1], 0x68
	v_lshlrev_b32_e32 v0, 10, v0
	v_add_nc_u32_e32 v2, s33, v66
	v_lshlrev_b32_e32 v3, 4, v67
	s_lshl_b32 s0, s36, 6
	s_delay_alu instid0(SALU_CYCLE_1) | instskip(NEXT) | instid1(VALU_DEP_2)
	s_mul_i32 s1, s0, s34
	v_mul_lo_u32 v1, v2, s0
	s_delay_alu instid0(VALU_DEP_2) | instskip(SKIP_2) | instid1(SALU_CYCLE_1)
	v_and_or_b32 v0, 0x3800, v0, v3
	v_add_nc_u32_e32 v2, 2, v2
	s_mul_i32 s6, s1, s9
	s_ashr_i32 s7, s6, 31
	s_delay_alu instid0(VALU_DEP_2)
	v_lshl_or_b32 v7, v66, 6, v0
	s_lshl_b64 s[6:7], s[6:7], 1
	v_mul_lo_u32 v11, v2, s0
	v_ashrrev_i32_e32 v2, 31, v1
	ds_load_b128 v[3:6], v7
	ds_load_b128 v[7:10], v7 offset:128
	s_waitcnt lgkmcnt(0)
	s_add_u32 s1, s4, s6
	s_addc_u32 s2, s5, s7
	s_lshl_b32 s4, s14, 6
	v_ashrrev_i32_e32 v12, 31, v11
	s_ashr_i32 s5, s4, 31
	v_lshlrev_b64 v[13:14], 1, v[1:2]
	s_lshl_b64 s[4:5], s[4:5], 1
	s_delay_alu instid0(SALU_CYCLE_1) | instskip(SKIP_2) | instid1(VALU_DEP_1)
	s_add_u32 s1, s1, s4
	s_addc_u32 s2, s2, s5
	v_add_co_u32 v1, s1, s1, v65
	v_add_co_ci_u32_e64 v2, null, s2, 0, s1
	v_lshlrev_b64 v[11:12], 1, v[11:12]
	s_delay_alu instid0(VALU_DEP_3) | instskip(NEXT) | instid1(VALU_DEP_3)
	v_add_co_u32 v13, vcc_lo, v1, v13
	v_add_co_ci_u32_e32 v14, vcc_lo, v2, v14, vcc_lo
	s_delay_alu instid0(VALU_DEP_3) | instskip(NEXT) | instid1(VALU_DEP_4)
	v_add_co_u32 v11, vcc_lo, v1, v11
	v_add_co_ci_u32_e32 v12, vcc_lo, v2, v12, vcc_lo
	s_clause 0x1
	global_store_b128 v[13:14], v[3:6], off
	global_store_b128 v[11:12], v[7:10], off
	s_and_b32 exec_lo, exec_lo, s3
	s_cbranch_execz .LBB1090_2
; %bb.16:
	ds_load_b128 v[3:6], v0 offset:256
	s_add_i32 s1, s33, 4
	s_delay_alu instid0(SALU_CYCLE_1) | instskip(NEXT) | instid1(SALU_CYCLE_1)
	s_mul_i32 s0, s1, s0
	s_ashr_i32 s1, s0, 31
	s_delay_alu instid0(SALU_CYCLE_1) | instskip(NEXT) | instid1(SALU_CYCLE_1)
	s_lshl_b64 s[0:1], s[0:1], 1
	v_add_co_u32 v0, vcc_lo, v1, s0
	v_add_co_ci_u32_e32 v1, vcc_lo, s1, v2, vcc_lo
	s_waitcnt lgkmcnt(0)
	global_store_b128 v[0:1], v[3:6], off
	s_nop 0
	s_sendmsg sendmsg(MSG_DEALLOC_VGPRS)
	s_endpgm
	.section	.rodata,"a",@progbits
	.p2align	6, 0x0
	.amdhsa_kernel _Z39paged_attention_ll4mi_QKV_mfma16_kernelIDF16_hLN4vllm18Fp8KVCacheDataTypeE1EhLi16ELi64ELi256ELb1ELi5EL8MFMAType0EEvPKT_PKT0_S8_ifPKiSA_SA_iPKfiiiPfSD_PS3_PT2_iSC_SC_
		.amdhsa_group_segment_fixed_size 17472
		.amdhsa_private_segment_fixed_size 0
		.amdhsa_kernarg_size 400
		.amdhsa_user_sgpr_count 13
		.amdhsa_user_sgpr_dispatch_ptr 0
		.amdhsa_user_sgpr_queue_ptr 0
		.amdhsa_user_sgpr_kernarg_segment_ptr 1
		.amdhsa_user_sgpr_dispatch_id 0
		.amdhsa_user_sgpr_private_segment_size 0
		.amdhsa_wavefront_size32 1
		.amdhsa_uses_dynamic_stack 0
		.amdhsa_enable_private_segment 0
		.amdhsa_system_sgpr_workgroup_id_x 1
		.amdhsa_system_sgpr_workgroup_id_y 1
		.amdhsa_system_sgpr_workgroup_id_z 1
		.amdhsa_system_sgpr_workgroup_info 0
		.amdhsa_system_vgpr_workitem_id 0
		.amdhsa_next_free_vgpr 146
		.amdhsa_next_free_sgpr 37
		.amdhsa_reserve_vcc 1
		.amdhsa_float_round_mode_32 0
		.amdhsa_float_round_mode_16_64 0
		.amdhsa_float_denorm_mode_32 3
		.amdhsa_float_denorm_mode_16_64 3
		.amdhsa_dx10_clamp 1
		.amdhsa_ieee_mode 1
		.amdhsa_fp16_overflow 0
		.amdhsa_workgroup_processor_mode 1
		.amdhsa_memory_ordered 1
		.amdhsa_forward_progress 0
		.amdhsa_shared_vgpr_count 0
		.amdhsa_exception_fp_ieee_invalid_op 0
		.amdhsa_exception_fp_denorm_src 0
		.amdhsa_exception_fp_ieee_div_zero 0
		.amdhsa_exception_fp_ieee_overflow 0
		.amdhsa_exception_fp_ieee_underflow 0
		.amdhsa_exception_fp_ieee_inexact 0
		.amdhsa_exception_int_div_zero 0
	.end_amdhsa_kernel
	.section	.text._Z39paged_attention_ll4mi_QKV_mfma16_kernelIDF16_hLN4vllm18Fp8KVCacheDataTypeE1EhLi16ELi64ELi256ELb1ELi5EL8MFMAType0EEvPKT_PKT0_S8_ifPKiSA_SA_iPKfiiiPfSD_PS3_PT2_iSC_SC_,"axG",@progbits,_Z39paged_attention_ll4mi_QKV_mfma16_kernelIDF16_hLN4vllm18Fp8KVCacheDataTypeE1EhLi16ELi64ELi256ELb1ELi5EL8MFMAType0EEvPKT_PKT0_S8_ifPKiSA_SA_iPKfiiiPfSD_PS3_PT2_iSC_SC_,comdat
.Lfunc_end1090:
	.size	_Z39paged_attention_ll4mi_QKV_mfma16_kernelIDF16_hLN4vllm18Fp8KVCacheDataTypeE1EhLi16ELi64ELi256ELb1ELi5EL8MFMAType0EEvPKT_PKT0_S8_ifPKiSA_SA_iPKfiiiPfSD_PS3_PT2_iSC_SC_, .Lfunc_end1090-_Z39paged_attention_ll4mi_QKV_mfma16_kernelIDF16_hLN4vllm18Fp8KVCacheDataTypeE1EhLi16ELi64ELi256ELb1ELi5EL8MFMAType0EEvPKT_PKT0_S8_ifPKiSA_SA_iPKfiiiPfSD_PS3_PT2_iSC_SC_
                                        ; -- End function
	.section	.AMDGPU.csdata,"",@progbits
; Kernel info:
; codeLenInByte = 6484
; NumSgprs: 39
; NumVgprs: 146
; ScratchSize: 0
; MemoryBound: 0
; FloatMode: 240
; IeeeMode: 1
; LDSByteSize: 17472 bytes/workgroup (compile time only)
; SGPRBlocks: 4
; VGPRBlocks: 18
; NumSGPRsForWavesPerEU: 39
; NumVGPRsForWavesPerEU: 146
; Occupancy: 9
; WaveLimiterHint : 1
; COMPUTE_PGM_RSRC2:SCRATCH_EN: 0
; COMPUTE_PGM_RSRC2:USER_SGPR: 13
; COMPUTE_PGM_RSRC2:TRAP_HANDLER: 0
; COMPUTE_PGM_RSRC2:TGID_X_EN: 1
; COMPUTE_PGM_RSRC2:TGID_Y_EN: 1
; COMPUTE_PGM_RSRC2:TGID_Z_EN: 1
; COMPUTE_PGM_RSRC2:TIDIG_COMP_CNT: 0
	.section	.text._Z39paged_attention_ll4mi_QKV_mfma16_kernelIDF16_hLN4vllm18Fp8KVCacheDataTypeE1EhLi16ELi64ELi256ELb1ELi6EL8MFMAType0EEvPKT_PKT0_S8_ifPKiSA_SA_iPKfiiiPfSD_PS3_PT2_iSC_SC_,"axG",@progbits,_Z39paged_attention_ll4mi_QKV_mfma16_kernelIDF16_hLN4vllm18Fp8KVCacheDataTypeE1EhLi16ELi64ELi256ELb1ELi6EL8MFMAType0EEvPKT_PKT0_S8_ifPKiSA_SA_iPKfiiiPfSD_PS3_PT2_iSC_SC_,comdat
	.protected	_Z39paged_attention_ll4mi_QKV_mfma16_kernelIDF16_hLN4vllm18Fp8KVCacheDataTypeE1EhLi16ELi64ELi256ELb1ELi6EL8MFMAType0EEvPKT_PKT0_S8_ifPKiSA_SA_iPKfiiiPfSD_PS3_PT2_iSC_SC_ ; -- Begin function _Z39paged_attention_ll4mi_QKV_mfma16_kernelIDF16_hLN4vllm18Fp8KVCacheDataTypeE1EhLi16ELi64ELi256ELb1ELi6EL8MFMAType0EEvPKT_PKT0_S8_ifPKiSA_SA_iPKfiiiPfSD_PS3_PT2_iSC_SC_
	.globl	_Z39paged_attention_ll4mi_QKV_mfma16_kernelIDF16_hLN4vllm18Fp8KVCacheDataTypeE1EhLi16ELi64ELi256ELb1ELi6EL8MFMAType0EEvPKT_PKT0_S8_ifPKiSA_SA_iPKfiiiPfSD_PS3_PT2_iSC_SC_
	.p2align	8
	.type	_Z39paged_attention_ll4mi_QKV_mfma16_kernelIDF16_hLN4vllm18Fp8KVCacheDataTypeE1EhLi16ELi64ELi256ELb1ELi6EL8MFMAType0EEvPKT_PKT0_S8_ifPKiSA_SA_iPKfiiiPfSD_PS3_PT2_iSC_SC_,@function
_Z39paged_attention_ll4mi_QKV_mfma16_kernelIDF16_hLN4vllm18Fp8KVCacheDataTypeE1EhLi16ELi64ELi256ELb1ELi6EL8MFMAType0EEvPKT_PKT0_S8_ifPKiSA_SA_iPKfiiiPfSD_PS3_PT2_iSC_SC_: ; @_Z39paged_attention_ll4mi_QKV_mfma16_kernelIDF16_hLN4vllm18Fp8KVCacheDataTypeE1EhLi16ELi64ELi256ELb1ELi6EL8MFMAType0EEvPKT_PKT0_S8_ifPKiSA_SA_iPKfiiiPfSD_PS3_PT2_iSC_SC_
; %bb.0:
	s_load_b64 s[2:3], s[0:1], 0x30
	s_mov_b32 s34, s13
	s_waitcnt lgkmcnt(0)
	s_cmp_lg_u64 s[2:3], 0
	s_cselect_b32 s6, -1, 0
	s_ashr_i32 s35, s13, 31
	s_cmp_eq_u64 s[2:3], 0
	s_cbranch_scc1 .LBB1091_3
; %bb.1:
	s_lshl_b64 s[4:5], s[34:35], 2
	s_delay_alu instid0(SALU_CYCLE_1) | instskip(SKIP_4) | instid1(SALU_CYCLE_1)
	s_add_u32 s4, s2, s4
	s_addc_u32 s5, s3, s5
	s_load_b64 s[4:5], s[4:5], 0x0
	s_waitcnt lgkmcnt(0)
	s_sub_i32 s4, s5, s4
	s_cmp_eq_u32 s4, 1
	s_cselect_b32 s4, -1, 0
	s_delay_alu instid0(SALU_CYCLE_1)
	s_and_not1_b32 vcc_lo, exec_lo, s4
	s_cbranch_vccz .LBB1091_4
.LBB1091_2:
	s_endpgm
.LBB1091_3:
.LBB1091_4:
	s_load_b64 s[8:9], s[0:1], 0x28
	s_lshl_b64 s[4:5], s[34:35], 2
	s_waitcnt lgkmcnt(0)
	s_add_u32 s8, s8, s4
	s_addc_u32 s9, s9, s5
	s_lshl_b32 s16, s14, 8
	s_load_b32 s18, s[8:9], 0x0
	s_waitcnt lgkmcnt(0)
	s_cmp_ge_i32 s16, s18
	s_cbranch_scc1 .LBB1091_2
; %bb.5:
	s_clause 0x1
	s_load_b128 s[8:11], s[0:1], 0x8
	s_load_b64 s[12:13], s[0:1], 0x20
	s_and_not1_b32 vcc_lo, exec_lo, s6
	s_cbranch_vccnz .LBB1091_7
; %bb.6:
	s_add_u32 s2, s2, s4
	s_addc_u32 s3, s3, s5
	s_load_b32 s3, s[2:3], 0x0
	s_branch .LBB1091_8
.LBB1091_7:
	s_mov_b32 s3, s34
.LBB1091_8:
	s_load_b128 s[4:7], s[0:1], 0x48
	v_and_b32_e32 v68, 15, v0
	v_cmp_gt_u32_e32 vcc_lo, 0x60, v0
	v_lshrrev_b32_e32 v69, 5, v0
	v_and_b32_e32 v70, 31, v0
	v_and_b32_e32 v67, 1, v0
	v_lshlrev_b32_e32 v1, 3, v68
	v_cmp_gt_u32_e64 s2, 8, v68
	v_bfe_u32 v66, v0, 4, 1
	s_mul_i32 s31, s15, 6
	s_delay_alu instid0(VALU_DEP_3) | instskip(NEXT) | instid1(VALU_DEP_3)
	v_lshlrev_b32_e32 v65, 1, v1
	s_and_b32 s17, vcc_lo, s2
	s_waitcnt lgkmcnt(0)
	s_and_saveexec_b32 s7, s17
	s_cbranch_execz .LBB1091_10
; %bb.9:
	s_load_b64 s[20:21], s[0:1], 0x0
	v_lshl_or_b32 v5, v69, 1, v66
	s_mul_hi_i32 s23, s3, s4
	s_mul_i32 s22, s3, s4
	v_lshlrev_b32_e32 v6, 10, v68
	s_lshl_b64 s[22:23], s[22:23], 1
	v_add_lshl_u32 v1, v5, s31, 6
	v_lshlrev_b32_e32 v5, 6, v5
	v_lshlrev_b32_e32 v7, 10, v67
	v_and_b32_e32 v6, 0x3800, v6
	s_delay_alu instid0(VALU_DEP_4) | instskip(NEXT) | instid1(VALU_DEP_2)
	v_ashrrev_i32_e32 v2, 31, v1
	v_or3_b32 v5, v6, v7, v5
	s_delay_alu instid0(VALU_DEP_2) | instskip(SKIP_3) | instid1(VALU_DEP_1)
	v_lshlrev_b64 v[1:2], 1, v[1:2]
	s_waitcnt lgkmcnt(0)
	s_add_u32 s3, s20, s22
	s_addc_u32 s4, s21, s23
	v_add_co_u32 v1, vcc_lo, s3, v1
	s_delay_alu instid0(VALU_DEP_2) | instskip(NEXT) | instid1(VALU_DEP_2)
	v_add_co_ci_u32_e32 v2, vcc_lo, s4, v2, vcc_lo
	v_add_co_u32 v1, vcc_lo, v1, v65
	s_delay_alu instid0(VALU_DEP_2)
	v_add_co_ci_u32_e32 v2, vcc_lo, 0, v2, vcc_lo
	global_load_b128 v[1:4], v[1:2], off
	s_waitcnt vmcnt(0)
	ds_store_b128 v5, v[1:4]
.LBB1091_10:
	s_or_b32 exec_lo, exec_lo, s7
	v_and_b32_e32 v1, 0xef, v0
	s_add_i32 s3, s18, 15
	s_clause 0x1
	s_load_b32 s4, s[0:1], 0x38
	s_load_b32 s33, s[0:1], 0x98
	s_ashr_i32 s7, s3, 31
	v_add_nc_u32_e32 v1, s16, v1
	s_lshr_b32 s7, s7, 28
	s_load_b32 s19, s[0:1], 0x1c
	s_add_i32 s3, s3, s7
	s_waitcnt lgkmcnt(0)
	v_ashrrev_i32_e32 v2, 31, v1
	v_or_b32_e32 v3, 16, v1
	s_ashr_i32 s3, s3, 4
	v_cmp_gt_i32_e32 vcc_lo, s18, v1
	s_add_i32 s3, s3, -1
	v_lshrrev_b32_e32 v2, 28, v2
	s_barrier
	buffer_gl0_inv
	s_mul_i32 s15, s15, s6
	v_mul_lo_u16 v103, v68, 43
	v_add_nc_u32_e32 v4, v1, v2
	v_mbcnt_lo_u32_b32 v127, -1, 0
	s_mul_i32 s20, s34, s4
	s_delay_alu instid0(SALU_CYCLE_1) | instskip(NEXT) | instid1(VALU_DEP_2)
	s_ashr_i32 s21, s20, 31
	v_ashrrev_i32_e32 v4, 4, v4
	v_add_nc_u32_e32 v2, v3, v2
	s_lshl_b64 s[20:21], s[20:21], 2
	v_lshrrev_b16 v103, 8, v103
	s_add_u32 s17, s12, s20
	v_cndmask_b32_e32 v1, s3, v4, vcc_lo
	v_ashrrev_i32_e32 v2, 4, v2
	v_cmp_gt_i32_e32 vcc_lo, s18, v3
	s_addc_u32 s13, s13, s21
	s_ashr_i32 s20, s15, 31
	s_add_u32 s4, s8, s15
	s_addc_u32 s12, s9, s20
	v_cndmask_b32_e32 v3, s3, v2, vcc_lo
	v_ashrrev_i32_e32 v2, 31, v1
	s_lshl_b32 s6, s14, 4
	v_mul_lo_u16 v103, v103, 6
	s_ashr_i32 s7, s6, 31
	v_ashrrev_i32_e32 v4, 31, v3
	v_lshlrev_b64 v[1:2], 2, v[1:2]
	s_lshl_b64 s[6:7], s[6:7], 2
	v_sub_nc_u16 v103, v68, v103
	s_add_u32 s6, s17, s6
	v_lshlrev_b64 v[3:4], 2, v[3:4]
	s_addc_u32 s7, s13, s7
	v_add_co_u32 v1, vcc_lo, s17, v1
	v_add_co_ci_u32_e32 v2, vcc_lo, s13, v2, vcc_lo
	s_delay_alu instid0(VALU_DEP_3) | instskip(NEXT) | instid1(VALU_DEP_4)
	v_add_co_u32 v3, vcc_lo, s17, v3
	v_add_co_ci_u32_e32 v4, vcc_lo, s13, v4, vcc_lo
	s_clause 0x1
	global_load_b32 v5, v[1:2], off
	global_load_b32 v7, v[3:4], off
	s_or_b32 s8, s16, 32
	v_lshlrev_b32_e32 v1, 4, v0
	s_ashr_i32 s9, s8, 4
	s_cmp_lt_i32 s8, s18
	v_xor_b32_e32 v128, 16, v127
	s_cselect_b32 s8, s9, s3
	v_and_b32_e32 v1, 0xf0, v1
	s_ashr_i32 s9, s8, 31
	s_delay_alu instid0(SALU_CYCLE_1)
	s_lshl_b64 s[8:9], s[8:9], 2
	v_cmp_gt_i32_e32 vcc_lo, 32, v128
	s_add_u32 s8, s17, s8
	s_addc_u32 s9, s13, s9
	s_or_b32 s21, s16, 64
	v_add_co_u32 v1, s4, s4, v1
	s_ashr_i32 s22, s21, 4
	s_cmp_lt_i32 s21, s18
	v_add_co_ci_u32_e64 v2, null, s12, 0, s4
	s_cselect_b32 s22, s22, s3
	v_dual_cndmask_b32 v136, v127, v128 :: v_dual_and_b32 v103, 0xff, v103
	s_ashr_i32 s23, s22, 31
	s_delay_alu instid0(SALU_CYCLE_1) | instskip(NEXT) | instid1(VALU_DEP_1)
	s_lshl_b64 s[22:23], s[22:23], 2
	v_lshlrev_b32_e32 v115, 6, v103
	s_add_u32 s22, s17, s22
	s_addc_u32 s23, s13, s23
	s_or_b32 s21, s16, 0x60
	s_delay_alu instid0(SALU_CYCLE_1) | instskip(SKIP_2) | instid1(SALU_CYCLE_1)
	s_ashr_i32 s24, s21, 4
	s_cmp_lt_i32 s21, s18
	s_cselect_b32 s24, s24, s3
	s_ashr_i32 s25, s24, 31
	s_delay_alu instid0(SALU_CYCLE_1) | instskip(NEXT) | instid1(SALU_CYCLE_1)
	s_lshl_b64 s[24:25], s[24:25], 2
	s_add_u32 s24, s17, s24
	s_addc_u32 s25, s13, s25
	s_or_b32 s21, s16, 0x80
	s_delay_alu instid0(SALU_CYCLE_1) | instskip(SKIP_2) | instid1(SALU_CYCLE_1)
	s_ashr_i32 s26, s21, 4
	s_cmp_lt_i32 s21, s18
	s_cselect_b32 s26, s26, s3
	s_ashr_i32 s27, s26, 31
	s_delay_alu instid0(SALU_CYCLE_1) | instskip(NEXT) | instid1(SALU_CYCLE_1)
	s_lshl_b64 s[26:27], s[26:27], 2
	;; [unrolled: 10-line block ×3, first 2 shown]
	s_add_u32 s28, s17, s28
	s_addc_u32 s29, s13, s29
	s_clause 0x5
	s_load_b32 s12, s[6:7], 0x0
	s_load_b32 s4, s[8:9], 0x0
	;; [unrolled: 1-line block ×6, first 2 shown]
	s_or_b32 s21, s16, 0xc0
	s_delay_alu instid0(SALU_CYCLE_1) | instskip(SKIP_2) | instid1(SALU_CYCLE_1)
	s_ashr_i32 s22, s21, 4
	s_cmp_lt_i32 s21, s18
	s_cselect_b32 s22, s22, s3
	s_ashr_i32 s23, s22, 31
	s_delay_alu instid0(SALU_CYCLE_1) | instskip(NEXT) | instid1(SALU_CYCLE_1)
	s_lshl_b64 s[22:23], s[22:23], 2
	s_add_u32 s22, s17, s22
	s_addc_u32 s23, s13, s23
	s_or_b32 s21, s16, 0xe0
	s_delay_alu instid0(SALU_CYCLE_1) | instskip(SKIP_2) | instid1(SALU_CYCLE_1)
	s_ashr_i32 s24, s21, 4
	s_cmp_lt_i32 s21, s18
	s_cselect_b32 s24, s24, s3
	s_ashr_i32 s25, s24, 31
	s_delay_alu instid0(SALU_CYCLE_1)
	s_lshl_b64 s[24:25], s[24:25], 2
	s_waitcnt vmcnt(1)
	v_mad_i64_i32 v[3:4], null, v5, s5, v[1:2]
	s_waitcnt vmcnt(0)
	v_mad_i64_i32 v[5:6], null, v7, s5, v[1:2]
	v_lshlrev_b32_e32 v1, 4, v68
	s_clause 0x7
	global_load_b128 v[71:74], v[3:4], off
	global_load_b128 v[75:78], v[3:4], off offset:256
	global_load_b128 v[79:82], v[5:6], off
	global_load_b128 v[83:86], v[5:6], off offset:256
	global_load_b128 v[87:90], v[3:4], off offset:512
	global_load_b128 v[91:94], v[3:4], off offset:768
	global_load_b128 v[95:98], v[5:6], off offset:512
	global_load_b128 v[99:102], v[5:6], off offset:768
	v_lshl_or_b32 v1, v69, 8, v1
	s_load_b32 s3, s[22:23], 0x0
	s_add_u32 s22, s17, s24
	s_addc_u32 s23, s13, s25
	s_add_u32 s10, s10, s15
	s_addc_u32 s11, s11, s20
	v_add_co_u32 v1, s10, s10, v1
	s_delay_alu instid0(VALU_DEP_1) | instskip(SKIP_2) | instid1(VALU_DEP_1)
	v_add_co_ci_u32_e64 v2, null, s11, 0, s10
	s_load_b32 s10, s[22:23], 0x0
	s_waitcnt lgkmcnt(0)
	v_mad_i64_i32 v[3:4], null, s12, s5, v[1:2]
	v_mad_i64_i32 v[9:10], null, s7, s5, v[1:2]
	;; [unrolled: 1-line block ×7, first 2 shown]
	s_clause 0x5
	global_load_b128 v[49:52], v[3:4], off
	global_load_b128 v[53:56], v[3:4], off offset:16
	global_load_b128 v[41:44], v[5:6], off
	global_load_b128 v[45:48], v[5:6], off offset:16
	;; [unrolled: 2-line block ×3, first 2 shown]
	s_mov_b32 s4, 0
	v_mad_i64_i32 v[61:62], null, s10, s5, v[1:2]
	s_clause 0x9
	global_load_b128 v[1:4], v[9:10], off
	global_load_b128 v[5:8], v[9:10], off offset:16
	global_load_b128 v[9:12], v[13:14], off
	global_load_b128 v[13:16], v[13:14], off offset:16
	;; [unrolled: 2-line block ×5, first 2 shown]
	s_mov_b32 s5, s4
	s_mov_b32 s6, s4
	;; [unrolled: 1-line block ×7, first 2 shown]
	v_and_b32_e32 v104, 0xe0, v0
	v_dual_mov_b32 v126, s11 :: v_dual_mov_b32 v123, s8
	v_dual_mov_b32 v125, s10 :: v_dual_mov_b32 v124, s9
	s_delay_alu instid0(VALU_DEP_3)
	v_add_nc_u32_e32 v111, s16, v104
	ds_load_b128 v[103:106], v115
	ds_load_b128 v[107:110], v115 offset:1024
	v_dual_mov_b32 v122, s7 :: v_dual_mov_b32 v121, s6
	v_mov_b32_e32 v120, s5
	v_or_b32_e32 v135, v111, v66
	ds_load_b128 v[111:114], v115 offset:2048
	ds_load_b128 v[115:118], v115 offset:3072
	v_mov_b32_e32 v119, s4
	s_waitcnt vmcnt(0) lgkmcnt(0)
	s_barrier
	v_or_b32_e32 v137, 2, v135
	v_or_b32_e32 v138, 4, v135
	;; [unrolled: 1-line block ×3, first 2 shown]
	v_cmp_gt_i32_e32 vcc_lo, s18, v135
	v_or_b32_e32 v140, 8, v135
	v_cmp_gt_i32_e64 s3, s18, v137
	v_or_b32_e32 v141, 10, v135
	v_cmp_gt_i32_e64 s4, s18, v138
	v_cmp_gt_i32_e64 s5, s18, v139
	v_or_b32_e32 v142, 12, v135
	v_or_b32_e32 v143, 14, v135
	v_cmp_gt_i32_e64 s6, s18, v140
	v_cmp_gt_i32_e64 s7, s18, v141
	v_or_b32_e32 v144, 16, v135
	v_or_b32_e32 v145, 18, v135
	v_cmp_gt_i32_e64 s8, s18, v142
	v_cmp_gt_i32_e64 s9, s18, v143
	buffer_gl0_inv
	v_cmp_gt_i32_e64 s10, s18, v144
	v_cmp_gt_i32_e64 s11, s18, v145
	v_wmma_f32_16x16x16_f16 v[127:134], v[71:78], v[103:110], v[119:126]
	v_wmma_f32_16x16x16_f16 v[119:126], v[79:86], v[103:110], v[119:126]
	v_or_b32_e32 v71, 20, v135
	v_or_b32_e32 v72, 22, v135
	s_delay_alu instid0(VALU_DEP_4)
	v_wmma_f32_16x16x16_f16 v[127:134], v[87:94], v[111:118], v[127:134]
	v_or_b32_e32 v73, 24, v135
	v_wmma_f32_16x16x16_f16 v[119:126], v[95:102], v[111:118], v[119:126]
	v_or_b32_e32 v74, 26, v135
	v_cmp_gt_i32_e64 s12, s18, v71
	v_dual_mul_f32 v83, s19, v128 :: v_dual_mul_f32 v84, s19, v127
	s_delay_alu instid0(VALU_DEP_4) | instskip(SKIP_1) | instid1(VALU_DEP_3)
	v_dual_mul_f32 v81, s19, v130 :: v_dual_mul_f32 v92, s19, v119
	v_mul_f32_e32 v82, s19, v129
	v_cndmask_b32_e64 v83, 0xff7fffff, v83, s3
	s_delay_alu instid0(VALU_DEP_4)
	v_cndmask_b32_e32 v84, 0xff7fffff, v84, vcc_lo
	v_dual_mul_f32 v79, s19, v132 :: v_dual_mul_f32 v90, s19, v121
	v_mul_f32_e32 v80, s19, v131
	v_cndmask_b32_e64 v82, 0xff7fffff, v82, s4
	v_cndmask_b32_e64 v81, 0xff7fffff, v81, s5
	v_max3_f32 v83, v84, 0xff7fffff, v83
	v_dual_mul_f32 v77, s19, v134 :: v_dual_mul_f32 v88, s19, v123
	v_mul_f32_e32 v78, s19, v133
	v_cndmask_b32_e64 v80, 0xff7fffff, v80, s6
	v_cndmask_b32_e64 v79, 0xff7fffff, v79, s7
	v_max3_f32 v81, v83, v82, v81
	v_mul_f32_e32 v91, s19, v120
	v_cndmask_b32_e64 v78, 0xff7fffff, v78, s8
	v_cndmask_b32_e64 v77, 0xff7fffff, v77, s9
	v_mul_f32_e32 v89, s19, v122
	v_max3_f32 v79, v81, v80, v79
	v_cndmask_b32_e64 v80, 0xff7fffff, v92, s10
	v_cndmask_b32_e64 v81, 0xff7fffff, v91, s11
	v_cmp_gt_i32_e64 s13, s18, v72
	v_or_b32_e32 v75, 28, v135
	v_max3_f32 v77, v79, v78, v77
	v_or_b32_e32 v76, 30, v135
	v_mul_f32_e32 v87, s19, v124
	v_cndmask_b32_e64 v71, 0xff7fffff, v90, s12
	v_cndmask_b32_e64 v72, 0xff7fffff, v89, s13
	v_max3_f32 v77, v77, v80, v81
	v_cmp_gt_i32_e64 s15, s18, v73
	v_cmp_gt_i32_e64 s16, s18, v74
	v_dual_mul_f32 v85, s19, v126 :: v_dual_mul_f32 v86, s19, v125
	s_delay_alu instid0(VALU_DEP_4) | instskip(NEXT) | instid1(VALU_DEP_4)
	v_max3_f32 v71, v77, v71, v72
	v_cndmask_b32_e64 v73, 0xff7fffff, v88, s15
	s_delay_alu instid0(VALU_DEP_4) | instskip(SKIP_2) | instid1(VALU_DEP_3)
	v_cndmask_b32_e64 v74, 0xff7fffff, v87, s16
	v_cmp_gt_i32_e64 s17, s18, v75
	v_cmp_gt_i32_e64 s18, s18, v76
	v_max3_f32 v71, v71, v73, v74
	s_delay_alu instid0(VALU_DEP_3) | instskip(NEXT) | instid1(VALU_DEP_3)
	v_cndmask_b32_e64 v72, 0xff7fffff, v86, s17
	v_cndmask_b32_e64 v75, 0xff7fffff, v85, s18
	v_lshlrev_b32_e32 v73, 2, v136
	s_delay_alu instid0(VALU_DEP_2) | instskip(SKIP_3) | instid1(VALU_DEP_1)
	v_max3_f32 v71, v71, v72, v75
	ds_bpermute_b32 v72, v73, v71
	s_waitcnt lgkmcnt(0)
	v_max_f32_e32 v72, v72, v72
	v_max_f32_e32 v71, v71, v72
	s_delay_alu instid0(VALU_DEP_1)
	v_fma_f32 v72, s19, v127, -v71
	v_fma_f32 v74, s19, v128, -v71
	;; [unrolled: 1-line block ×5, first 2 shown]
	v_mul_f32_e32 v72, 0x3fb8aa3b, v72
	v_mul_f32_e32 v74, 0x3fb8aa3b, v74
	v_fma_f32 v80, s19, v133, -v71
	s_delay_alu instid0(VALU_DEP_4) | instskip(NEXT) | instid1(VALU_DEP_4)
	v_dual_mul_f32 v76, 0x3fb8aa3b, v76 :: v_dual_mul_f32 v77, 0x3fb8aa3b, v77
	v_exp_f32_e32 v72, v72
	s_delay_alu instid0(VALU_DEP_3) | instskip(NEXT) | instid1(VALU_DEP_2)
	v_exp_f32_e32 v74, v74
	v_mul_f32_e32 v82, 0x3fb8aa3b, v80
	s_delay_alu instid0(VALU_DEP_2) | instskip(SKIP_1) | instid1(VALU_DEP_1)
	v_exp_f32_e32 v76, v76
	v_exp_f32_e32 v77, v77
	;; [unrolled: 1-line block ×3, first 2 shown]
	v_cndmask_b32_e32 v79, 0, v72, vcc_lo
	v_fma_f32 v72, s19, v132, -v71
	v_mul_f32_e32 v75, 0x3fb8aa3b, v75
	v_cndmask_b32_e64 v78, 0, v74, s3
	s_delay_alu instid0(TRANS32_DEP_3)
	v_cndmask_b32_e64 v80, 0, v76, s5
	v_add_f32_e32 v74, 0, v79
	v_mul_f32_e32 v72, 0x3fb8aa3b, v72
	v_exp_f32_e32 v75, v75
	v_cndmask_b32_e64 v83, 0, v77, s6
	v_cndmask_b32_e64 v85, 0, v84, s8
	v_add_f32_e32 v74, v74, v78
	v_exp_f32_e32 v72, v72
	s_mov_b32 s3, exec_lo
	s_waitcnt_depctr 0xfff
	v_cndmask_b32_e64 v81, 0, v75, s4
	v_cndmask_b32_e64 v82, 0, v72, s7
	s_delay_alu instid0(VALU_DEP_2) | instskip(NEXT) | instid1(VALU_DEP_1)
	v_add_f32_e32 v74, v74, v81
	v_add_f32_e32 v74, v74, v80
	s_delay_alu instid0(VALU_DEP_1) | instskip(SKIP_4) | instid1(VALU_DEP_4)
	v_add_f32_e32 v72, v74, v83
	v_fma_f32 v75, s19, v134, -v71
	v_fma_f32 v76, s19, v119, -v71
	;; [unrolled: 1-line block ×4, first 2 shown]
	v_dual_add_f32 v72, v72, v82 :: v_dual_mul_f32 v75, 0x3fb8aa3b, v75
	s_delay_alu instid0(VALU_DEP_3) | instskip(SKIP_1) | instid1(VALU_DEP_3)
	v_dual_mul_f32 v76, 0x3fb8aa3b, v76 :: v_dual_mul_f32 v77, 0x3fb8aa3b, v77
	v_fma_f32 v86, s19, v122, -v71
	v_add_f32_e32 v72, v72, v85
	s_delay_alu instid0(VALU_DEP_4) | instskip(NEXT) | instid1(VALU_DEP_3)
	v_exp_f32_e32 v75, v75
	v_exp_f32_e32 v76, v76
	;; [unrolled: 1-line block ×3, first 2 shown]
	v_mul_f32_e32 v86, 0x3fb8aa3b, v86
	s_delay_alu instid0(VALU_DEP_1) | instskip(SKIP_3) | instid1(TRANS32_DEP_3)
	v_exp_f32_e32 v88, v86
	v_cndmask_b32_e64 v84, 0, v75, s9
	v_fma_f32 v75, s19, v123, -v71
	v_mul_f32_e32 v74, 0x3fb8aa3b, v74
	v_cndmask_b32_e64 v87, 0, v76, s10
	v_fma_f32 v76, s19, v124, -v71
	s_delay_alu instid0(VALU_DEP_4) | instskip(NEXT) | instid1(VALU_DEP_4)
	v_dual_add_f32 v72, v72, v84 :: v_dual_mul_f32 v75, 0x3fb8aa3b, v75
	v_exp_f32_e32 v74, v74
	v_cndmask_b32_e64 v86, 0, v77, s11
	v_fma_f32 v77, s19, v125, -v71
	s_delay_alu instid0(VALU_DEP_3) | instskip(SKIP_3) | instid1(VALU_DEP_3)
	v_add_f32_e32 v72, v72, v87
	v_mul_f32_e32 v76, 0x3fb8aa3b, v76
	v_exp_f32_e32 v75, v75
	v_cndmask_b32_e64 v88, 0, v88, s13
	v_add_f32_e32 v72, v72, v86
	s_delay_alu instid0(VALU_DEP_3) | instskip(NEXT) | instid1(TRANS32_DEP_3)
	v_exp_f32_e32 v76, v76
	v_cndmask_b32_e64 v89, 0, v74, s12
	v_mul_f32_e32 v74, 0x3fb8aa3b, v77
	v_fma_f32 v77, s19, v126, -v71
	s_delay_alu instid0(VALU_DEP_3) | instskip(NEXT) | instid1(VALU_DEP_3)
	v_add_f32_e32 v72, v72, v89
	v_exp_f32_e32 v74, v74
	s_delay_alu instid0(TRANS32_DEP_3) | instskip(NEXT) | instid1(VALU_DEP_3)
	v_cndmask_b32_e64 v91, 0, v75, s15
	v_mul_f32_e32 v75, 0x3fb8aa3b, v77
	s_delay_alu instid0(TRANS32_DEP_2) | instskip(SKIP_1) | instid1(VALU_DEP_3)
	v_cndmask_b32_e64 v90, 0, v76, s16
	v_add_f32_e32 v72, v72, v88
	v_exp_f32_e32 v75, v75
	s_delay_alu instid0(VALU_DEP_1) | instskip(NEXT) | instid1(TRANS32_DEP_2)
	v_add_f32_e32 v72, v72, v91
	v_cndmask_b32_e64 v93, 0, v74, s17
	s_delay_alu instid0(VALU_DEP_2) | instskip(SKIP_3) | instid1(VALU_DEP_1)
	v_add_f32_e32 v72, v72, v90
	s_waitcnt_depctr 0xfff
	v_cndmask_b32_e64 v92, 0, v75, s18
	v_add_f32_e32 v72, v72, v93
	v_add_f32_e32 v72, v72, v92
	ds_bpermute_b32 v73, v73, v72
	v_cmpx_gt_u32_e32 16, v70
	s_cbranch_execz .LBB1091_12
; %bb.11:
	v_mul_u32_u24_e32 v70, 0x44, v69
	s_waitcnt lgkmcnt(0)
	v_add_f32_e32 v72, v72, v73
	s_delay_alu instid0(VALU_DEP_2) | instskip(NEXT) | instid1(VALU_DEP_1)
	v_lshl_add_u32 v70, v68, 2, v70
	v_add_nc_u32_e32 v70, 0x4000, v70
	ds_store_2addr_b32 v70, v71, v72 offset1:136
.LBB1091_12:
	s_or_b32 exec_lo, exec_lo, s3
	v_lshlrev_b32_e32 v70, 2, v68
	s_load_b32 s35, s[0:1], 0x94
	s_waitcnt lgkmcnt(0)
	s_barrier
	buffer_gl0_inv
	v_add_nc_u32_e32 v98, 0x4000, v70
	v_cmp_eq_u32_e32 vcc_lo, 1, v69
	v_cmp_eq_u32_e64 s3, 2, v69
	v_cmp_eq_u32_e64 s4, 3, v69
	;; [unrolled: 1-line block ×3, first 2 shown]
	ds_load_2addr_b32 v[70:71], v98 offset1:17
	ds_load_2addr_b32 v[72:73], v98 offset0:34 offset1:51
	ds_load_2addr_b32 v[74:75], v98 offset0:68 offset1:85
	ds_load_2addr_b32 v[94:95], v98 offset0:102 offset1:119
	v_cmp_eq_u32_e64 s6, 5, v69
	v_cmp_eq_u32_e64 s7, 7, v69
	s_waitcnt lgkmcnt(3)
	v_max3_f32 v76, v70, 0xff7fffff, v71
	s_waitcnt lgkmcnt(2)
	s_delay_alu instid0(VALU_DEP_1) | instskip(SKIP_1) | instid1(VALU_DEP_1)
	v_max3_f32 v76, v76, v72, v73
	s_waitcnt lgkmcnt(1)
	v_max3_f32 v76, v76, v74, v75
	s_waitcnt lgkmcnt(0)
	s_delay_alu instid0(VALU_DEP_1) | instskip(NEXT) | instid1(VALU_DEP_1)
	v_max3_f32 v76, v76, v94, v95
	v_sub_f32_e32 v77, v71, v76
	ds_load_2addr_b32 v[96:97], v98 offset0:136 offset1:153
	v_sub_f32_e32 v74, v74, v76
	v_sub_f32_e32 v70, v70, v76
	;; [unrolled: 1-line block ×3, first 2 shown]
	v_dual_sub_f32 v72, v72, v76 :: v_dual_mul_f32 v77, 0x3fb8aa3b, v77
	s_delay_alu instid0(VALU_DEP_4) | instskip(NEXT) | instid1(VALU_DEP_4)
	v_mul_f32_e32 v103, 0x3fb8aa3b, v74
	v_mul_f32_e32 v99, 0x3fb8aa3b, v70
	ds_load_2addr_b32 v[70:71], v98 offset0:170 offset1:187
	v_dual_mul_f32 v101, 0x3fb8aa3b, v72 :: v_dual_mul_f32 v94, 0x3fb8aa3b, v94
	v_exp_f32_e32 v102, v77
	v_exp_f32_e32 v99, v99
	s_delay_alu instid0(VALU_DEP_1) | instskip(NEXT) | instid1(VALU_DEP_1)
	v_exp_f32_e32 v101, v101
	v_exp_f32_e32 v94, v94
	s_waitcnt lgkmcnt(1)
	s_delay_alu instid0(TRANS32_DEP_3)
	v_fma_f32 v77, v99, v96, 0
	v_sub_f32_e32 v100, v73, v76
	ds_load_2addr_b32 v[72:73], v98 offset0:204 offset1:221
	v_fmac_f32_e32 v77, v102, v97
	v_exp_f32_e32 v97, v103
	s_waitcnt lgkmcnt(1)
	s_delay_alu instid0(VALU_DEP_1)
	v_dual_fmac_f32 v77, v101, v70 :: v_dual_sub_f32 v96, v75, v76
	ds_load_2addr_b32 v[74:75], v98 offset0:238 offset1:255
	v_sub_f32_e32 v70, v95, v76
	s_waitcnt lgkmcnt(0)
	s_barrier
	v_mul_f32_e32 v96, 0x3fb8aa3b, v96
	buffer_gl0_inv
	v_exp_f32_e32 v95, v96
	v_mul_f32_e32 v100, 0x3fb8aa3b, v100
	s_delay_alu instid0(VALU_DEP_1) | instskip(SKIP_3) | instid1(VALU_DEP_2)
	v_exp_f32_e32 v100, v100
	s_waitcnt_depctr 0xfff
	v_dual_fmac_f32 v77, v100, v71 :: v_dual_mul_f32 v70, 0x3fb8aa3b, v70
	v_cndmask_b32_e32 v71, v99, v102, vcc_lo
	v_fmac_f32_e32 v77, v97, v72
	s_delay_alu instid0(VALU_DEP_3) | instskip(NEXT) | instid1(VALU_DEP_1)
	v_exp_f32_e32 v96, v70
	v_fmac_f32_e32 v77, v95, v73
	s_delay_alu instid0(VALU_DEP_1) | instskip(SKIP_2) | instid1(VALU_DEP_1)
	v_fmac_f32_e32 v77, v94, v74
	s_waitcnt_depctr 0xfff
	v_fmac_f32_e32 v77, v96, v75
	v_add_f32_e32 v74, 0x358637bd, v77
	s_delay_alu instid0(VALU_DEP_1) | instskip(SKIP_1) | instid1(VALU_DEP_2)
	v_div_scale_f32 v98, null, v74, v74, 1.0
	v_div_scale_f32 v99, vcc_lo, 1.0, v74, 1.0
	v_rcp_f32_e32 v103, v98
	s_waitcnt_depctr 0xfff
	v_fma_f32 v70, -v98, v103, 1.0
	s_delay_alu instid0(VALU_DEP_1) | instskip(SKIP_2) | instid1(VALU_DEP_2)
	v_fmac_f32_e32 v103, v70, v103
	v_cndmask_b32_e64 v70, v71, v101, s3
	v_cmp_eq_u32_e64 s3, 6, v69
	v_cndmask_b32_e64 v71, v70, v100, s4
	s_delay_alu instid0(VALU_DEP_4) | instskip(NEXT) | instid1(VALU_DEP_2)
	v_dual_mul_f32 v101, v99, v103 :: v_dual_lshlrev_b32 v70, 2, v66
	v_cndmask_b32_e64 v71, v71, v97, s5
	s_delay_alu instid0(VALU_DEP_2) | instskip(NEXT) | instid1(VALU_DEP_3)
	v_or_b32_e32 v72, 1, v70
	v_fma_f32 v100, -v98, v101, v99
	v_cmp_eq_u32_e64 s4, 1, v70
	v_cmp_eq_u32_e64 s5, 2, v70
	v_cndmask_b32_e64 v95, v71, v95, s6
	v_or_b32_e32 v71, 3, v70
	v_fmac_f32_e32 v101, v100, v103
	v_cmp_eq_u32_e64 s9, 1, v72
	v_cmp_eq_u32_e64 s12, 2, v72
	v_cndmask_b32_e64 v94, v95, v94, s3
	v_cmp_eq_u32_e64 s11, 1, v71
	v_fma_f32 v97, -v98, v101, v99
	v_cmp_eq_u32_e64 s16, 2, v71
	v_cmp_eq_u32_e64 s13, 3, v72
	v_cndmask_b32_e64 v94, v94, v96, s7
	v_cmp_eq_u32_e64 s18, 3, v71
	v_div_fmas_f32 v95, v97, v103, v101
	v_cmp_eq_u32_e32 vcc_lo, 3, v70
	v_cmp_eq_u32_e64 s3, 4, v70
	v_cmp_eq_u32_e64 s19, 4, v72
	;; [unrolled: 1-line block ×3, first 2 shown]
	v_div_fixup_f32 v95, v95, v74, 1.0
	v_lshlrev_b32_e32 v73, 6, v68
	v_cmp_eq_u32_e64 s6, 5, v70
	v_cmp_eq_u32_e64 s20, 5, v72
	;; [unrolled: 1-line block ×3, first 2 shown]
	v_mul_f32_e32 v102, v94, v95
	v_lshl_or_b32 v75, v69, 11, v73
	v_or_b32_e32 v69, 2, v70
	v_cmp_eq_u32_e64 s25, 6, v72
	v_cmp_eq_u32_e64 s27, 6, v71
	v_fma_mixlo_f16 v94, v102, v79, 0
	v_fma_mixlo_f16 v95, v102, v81, 0
	;; [unrolled: 1-line block ×8, first 2 shown]
	v_lshl_or_b32 v74, v66, 4, v75
	v_fma_mixhi_f16 v94, v102, v78, 0
	v_fma_mixhi_f16 v95, v102, v80, 0
	;; [unrolled: 1-line block ×8, first 2 shown]
	ds_store_b128 v74, v[94:97]
	ds_store_b128 v74, v[98:101] offset:1024
	s_waitcnt lgkmcnt(0)
	s_barrier
	buffer_gl0_inv
	ds_load_b128 v[78:81], v75
	ds_load_b128 v[82:85], v75 offset:16
	ds_load_b128 v[86:89], v75 offset:1024
	;; [unrolled: 1-line block ×3, first 2 shown]
	v_cmp_eq_u32_e64 s10, 1, v69
	v_cmp_eq_u32_e64 s15, 2, v69
	;; [unrolled: 1-line block ×11, first 2 shown]
	s_waitcnt lgkmcnt(3)
	v_lshrrev_b32_e32 v94, 16, v78
	s_waitcnt lgkmcnt(2)
	v_lshrrev_b32_e32 v98, 16, v82
	;; [unrolled: 2-line block ×4, first 2 shown]
	v_lshrrev_b32_e32 v95, 16, v79
	v_cndmask_b32_e64 v110, v78, v94, s4
	v_cndmask_b32_e64 v111, v82, v98, s4
	;; [unrolled: 1-line block ×8, first 2 shown]
	v_lshrrev_b32_e32 v99, 16, v83
	v_cndmask_b32_e64 v94, v86, v102, s4
	v_cndmask_b32_e64 v98, v90, v106, s4
	;; [unrolled: 1-line block ×15, first 2 shown]
	v_lshrrev_b32_e32 v103, 16, v87
	v_lshrrev_b32_e32 v107, 16, v91
	v_cndmask_b32_e64 v113, v115, v83, s15
	v_cndmask_b32_e64 v82, v94, v87, s5
	;; [unrolled: 1-line block ×7, first 2 shown]
	v_cndmask_b32_e32 v90, v102, v95, vcc_lo
	v_cndmask_b32_e32 v102, v106, v99, vcc_lo
	v_cndmask_b32_e64 v106, v110, v95, s13
	v_cndmask_b32_e64 v110, v111, v99, s13
	;; [unrolled: 1-line block ×4, first 2 shown]
	v_lshrrev_b32_e32 v96, 16, v80
	v_lshrrev_b32_e32 v100, 16, v84
	v_cndmask_b32_e64 v111, v112, v95, s17
	v_cndmask_b32_e64 v112, v113, v99, s17
	v_cndmask_b32_e32 v82, v82, v103, vcc_lo
	v_cndmask_b32_e32 v83, v83, v107, vcc_lo
	v_cndmask_b32_e64 v94, v94, v103, s13
	v_cndmask_b32_e64 v90, v90, v80, s3
	;; [unrolled: 1-line block ×7, first 2 shown]
	v_lshrrev_b32_e32 v104, 16, v88
	v_cndmask_b32_e64 v106, v111, v80, s21
	v_cndmask_b32_e64 v110, v112, v84, s21
	v_cndmask_b32_e64 v80, v82, v88, s3
	v_cndmask_b32_e64 v82, v83, v92, s3
	v_cndmask_b32_e64 v83, v94, v88, s19
	v_cndmask_b32_e64 v84, v90, v96, s6
	v_cndmask_b32_e64 v90, v95, v100, s6
	v_cndmask_b32_e64 v94, v99, v96, s20
	v_cndmask_b32_e64 v95, v102, v100, s20
	v_cndmask_b32_e64 v78, v78, v96, s24
	v_cndmask_b32_e64 v79, v79, v100, s24
	v_lshrrev_b32_e32 v97, 16, v81
	v_lshrrev_b32_e32 v101, 16, v85
	v_cndmask_b32_e64 v99, v106, v96, s23
	v_cndmask_b32_e64 v102, v110, v100, s23
	;; [unrolled: 1-line block ×7, first 2 shown]
	v_lshrrev_b32_e32 v105, 16, v89
	v_cndmask_b32_e64 v80, v80, v104, s6
	v_cndmask_b32_e64 v84, v84, v81, s7
	;; [unrolled: 1-line block ×16, first 2 shown]
	v_perm_b32 v81, v79, v78, 0x5040100
	v_perm_b32 v79, v95, v85, 0x5040100
	v_cndmask_b32_e64 v78, v119, v91, s15
	v_cndmask_b32_e64 v85, v117, v91, s12
	;; [unrolled: 1-line block ×3, first 2 shown]
	v_perm_b32 v80, v94, v90, 0x5040100
	v_cndmask_b32_e64 v90, v98, v103, s17
	v_cndmask_b32_e64 v86, v86, v103, s18
	;; [unrolled: 1-line block ×5, first 2 shown]
	v_lshrrev_b32_e32 v108, 16, v92
	v_cndmask_b32_e64 v90, v90, v88, s21
	v_cndmask_b32_e64 v86, v86, v88, s22
	;; [unrolled: 1-line block ×11, first 2 shown]
	v_lshrrev_b32_e32 v109, 16, v93
	v_cndmask_b32_e64 v82, v82, v93, s7
	v_cndmask_b32_e64 v88, v88, v89, s26
	;; [unrolled: 1-line block ×12, first 2 shown]
	v_perm_b32 v78, v84, v83, 0x5040100
	v_perm_b32 v85, v87, v86, 0x5040100
	;; [unrolled: 1-line block ×5, first 2 shown]
	s_mul_i32 s8, s33, 6
	s_mov_b32 s3, exec_lo
	ds_store_b128 v74, v[78:81]
	ds_store_b128 v74, v[82:85] offset:1024
	v_cmpx_gt_u32_e32 6, v0
	s_cbranch_execz .LBB1091_14
; %bb.13:
	s_mul_i32 s4, s8, s34
	s_delay_alu instid0(SALU_CYCLE_1) | instskip(SKIP_1) | instid1(VALU_DEP_1)
	v_add3_u32 v68, s4, s31, v68
	s_load_b128 s[4:7], s[0:1], 0x58
	v_mad_u64_u32 v[78:79], null, v68, s35, s[14:15]
	s_delay_alu instid0(VALU_DEP_1) | instskip(NEXT) | instid1(VALU_DEP_1)
	v_ashrrev_i32_e32 v79, 31, v78
	v_lshlrev_b64 v[78:79], 2, v[78:79]
	s_waitcnt lgkmcnt(0)
	s_delay_alu instid0(VALU_DEP_1) | instskip(NEXT) | instid1(VALU_DEP_2)
	v_add_co_u32 v80, vcc_lo, s6, v78
	v_add_co_ci_u32_e32 v81, vcc_lo, s7, v79, vcc_lo
	v_add_co_u32 v78, vcc_lo, s4, v78
	v_add_co_ci_u32_e32 v79, vcc_lo, s5, v79, vcc_lo
	global_store_b32 v[80:81], v76, off
	global_store_b32 v[78:79], v77, off
.LBB1091_14:
	s_or_b32 exec_lo, exec_lo, s3
	s_waitcnt lgkmcnt(0)
	s_waitcnt_vscnt null, 0x0
	s_barrier
	buffer_gl0_inv
	ds_load_b128 v[84:87], v73
	ds_load_b128 v[88:91], v73 offset:16
	ds_load_b128 v[96:99], v73 offset:2064
	;; [unrolled: 1-line block ×5, first 2 shown]
	v_cmp_eq_u32_e32 vcc_lo, 1, v70
	v_mov_b32_e32 v76, 0
	ds_load_b128 v[112:115], v73 offset:6160
	ds_load_b128 v[108:111], v73 offset:6144
	;; [unrolled: 1-line block ×4, first 2 shown]
	v_cmp_eq_u32_e64 s4, 1, v69
	v_cmp_eq_u32_e64 s3, 1, v72
	v_cmp_eq_u32_e64 s5, 2, v72
	v_mov_b32_e32 v77, v76
	v_mov_b32_e32 v78, v76
	;; [unrolled: 1-line block ×7, first 2 shown]
	v_cmp_eq_u32_e64 s6, 3, v72
	v_cmp_eq_u32_e64 s7, 7, v72
	s_waitcnt lgkmcnt(8)
	s_delay_alu instid0(VALU_DEP_3)
	v_wmma_f32_16x16x16_f16 v[76:83], v[49:56], v[84:91], v[76:83]
	ds_load_b128 v[53:56], v73 offset:10256
	ds_load_b128 v[49:52], v73 offset:10240
	s_waitcnt lgkmcnt(8)
	v_wmma_f32_16x16x16_f16 v[76:83], v[41:48], v[92:99], v[76:83]
	ds_load_b128 v[45:48], v73 offset:12304
	ds_load_b128 v[41:44], v73 offset:12288
	s_waitcnt lgkmcnt(8)
	;; [unrolled: 4-line block ×3, first 2 shown]
	s_barrier
	buffer_gl0_inv
	v_wmma_f32_16x16x16_f16 v[76:83], v[1:8], v[108:115], v[76:83]
	s_delay_alu instid0(VALU_DEP_1) | instskip(NEXT) | instid1(VALU_DEP_1)
	v_wmma_f32_16x16x16_f16 v[76:83], v[9:16], v[116:123], v[76:83]
	v_wmma_f32_16x16x16_f16 v[76:83], v[17:24], v[49:56], v[76:83]
	s_delay_alu instid0(VALU_DEP_1) | instskip(NEXT) | instid1(VALU_DEP_1)
	v_wmma_f32_16x16x16_f16 v[76:83], v[25:32], v[41:48], v[76:83]
	v_wmma_f32_16x16x16_f16 v[76:83], v[57:64], v[33:40], v[76:83]
	s_delay_alu instid0(VALU_DEP_1) | instskip(NEXT) | instid1(VALU_DEP_2)
	v_cvt_f16_f32_e32 v1, v76
	v_cvt_f16_f32_e32 v2, v77
	s_delay_alu instid0(VALU_DEP_3) | instskip(NEXT) | instid1(VALU_DEP_4)
	v_cvt_f16_f32_e32 v3, v78
	v_cvt_f16_f32_e32 v4, v79
	;; [unrolled: 1-line block ×6, first 2 shown]
	v_pack_b32_f16 v1, v1, v2
	v_pack_b32_f16 v2, v3, v4
	;; [unrolled: 1-line block ×3, first 2 shown]
	s_delay_alu instid0(VALU_DEP_4)
	v_pack_b32_f16 v4, v7, v8
	ds_store_b128 v74, v[1:4]
	s_waitcnt lgkmcnt(0)
	s_barrier
	buffer_gl0_inv
	ds_load_b128 v[1:4], v75
	ds_load_b128 v[5:8], v75 offset:16
	s_waitcnt lgkmcnt(1)
	v_lshrrev_b32_e32 v9, 16, v1
	s_waitcnt lgkmcnt(0)
	v_lshrrev_b32_e32 v13, 16, v5
	v_lshrrev_b32_e32 v10, 16, v2
	;; [unrolled: 1-line block ×4, first 2 shown]
	v_cndmask_b32_e32 v17, v1, v9, vcc_lo
	v_cndmask_b32_e32 v18, v5, v13, vcc_lo
	v_cndmask_b32_e64 v21, v1, v9, s4
	v_cmp_eq_u32_e32 vcc_lo, 1, v71
	v_cndmask_b32_e64 v22, v5, v13, s4
	v_cmp_eq_u32_e64 s4, 2, v70
	v_cndmask_b32_e64 v19, v1, v9, s3
	v_cndmask_b32_e64 v20, v5, v13, s3
	v_cndmask_b32_e32 v1, v1, v9, vcc_lo
	v_cmp_eq_u32_e64 s3, 2, v71
	v_cndmask_b32_e32 v5, v5, v13, vcc_lo
	v_cndmask_b32_e64 v9, v17, v2, s4
	v_cmp_eq_u32_e32 vcc_lo, 3, v70
	v_cndmask_b32_e64 v13, v18, v6, s4
	v_cmp_eq_u32_e64 s4, 2, v69
	v_cndmask_b32_e64 v17, v19, v2, s5
	v_cndmask_b32_e64 v18, v20, v6, s5
	v_cmp_eq_u32_e64 s5, 3, v69
	v_cndmask_b32_e64 v1, v1, v2, s3
	v_cndmask_b32_e64 v19, v21, v2, s4
	;; [unrolled: 1-line block ×4, first 2 shown]
	v_cndmask_b32_e32 v5, v9, v10, vcc_lo
	v_cndmask_b32_e32 v6, v13, v14, vcc_lo
	v_cmp_eq_u32_e32 vcc_lo, 3, v71
	v_cndmask_b32_e64 v9, v17, v10, s6
	v_cndmask_b32_e64 v13, v18, v14, s6
	;; [unrolled: 1-line block ×3, first 2 shown]
	v_cmp_eq_u32_e64 s4, 4, v70
	v_cndmask_b32_e32 v1, v1, v10, vcc_lo
	v_cndmask_b32_e32 v2, v2, v14, vcc_lo
	v_cmp_eq_u32_e32 vcc_lo, 4, v72
	v_lshrrev_b32_e32 v15, 16, v7
	v_lshrrev_b32_e32 v16, 16, v8
	v_cndmask_b32_e64 v17, v19, v10, s5
	v_cmp_eq_u32_e64 s3, 4, v71
	v_cndmask_b32_e64 v5, v5, v3, s4
	v_cndmask_b32_e64 v6, v6, v7, s4
	v_cndmask_b32_e32 v9, v9, v3, vcc_lo
	v_cmp_eq_u32_e64 s4, 5, v72
	v_cndmask_b32_e32 v10, v13, v7, vcc_lo
	v_cmp_eq_u32_e32 vcc_lo, 4, v69
	v_cmp_eq_u32_e64 s5, 5, v70
	v_cndmask_b32_e64 v2, v2, v7, s3
	v_cndmask_b32_e64 v9, v9, v11, s4
	;; [unrolled: 1-line block ×3, first 2 shown]
	v_cndmask_b32_e32 v13, v17, v3, vcc_lo
	v_cmp_eq_u32_e64 s4, 5, v69
	v_cndmask_b32_e32 v14, v18, v7, vcc_lo
	v_cndmask_b32_e64 v1, v1, v3, s3
	v_cmp_eq_u32_e32 vcc_lo, 5, v71
	v_lshrrev_b32_e32 v12, 16, v4
	v_cndmask_b32_e64 v13, v13, v11, s4
	v_cndmask_b32_e64 v3, v14, v15, s4
	v_cmp_eq_u32_e64 s4, 6, v71
	v_cndmask_b32_e32 v1, v1, v11, vcc_lo
	v_cndmask_b32_e64 v5, v5, v11, s5
	v_cmp_eq_u32_e64 s6, 6, v70
	v_cndmask_b32_e64 v6, v6, v15, s5
	v_cmp_eq_u32_e64 s5, 6, v72
	v_cmp_eq_u32_e64 s3, 6, v69
	v_cndmask_b32_e64 v1, v1, v4, s4
	v_cndmask_b32_e32 v2, v2, v15, vcc_lo
	v_cmp_eq_u32_e32 vcc_lo, 7, v71
	v_cndmask_b32_e64 v5, v5, v4, s6
	v_cndmask_b32_e64 v9, v9, v4, s5
	;; [unrolled: 1-line block ×3, first 2 shown]
	v_cmp_eq_u32_e64 s6, 7, v70
	v_cndmask_b32_e32 v1, v1, v12, vcc_lo
	v_cndmask_b32_e64 v7, v13, v4, s3
	v_cndmask_b32_e64 v3, v3, v8, s3
	;; [unrolled: 1-line block ×3, first 2 shown]
	v_cmp_eq_u32_e64 s3, 7, v69
	v_cndmask_b32_e64 v4, v10, v8, s5
	v_cndmask_b32_e64 v5, v5, v12, s6
	;; [unrolled: 1-line block ×3, first 2 shown]
	v_cndmask_b32_e32 v2, v2, v16, vcc_lo
	v_cndmask_b32_e64 v7, v7, v12, s3
	v_cndmask_b32_e64 v3, v3, v16, s3
	;; [unrolled: 1-line block ×4, first 2 shown]
	v_cmp_gt_u32_e32 vcc_lo, 32, v0
	v_perm_b32 v4, v2, v1, 0x5040100
	v_perm_b32 v3, v3, v7, 0x5040100
	v_perm_b32 v2, v8, v9, 0x5040100
	v_perm_b32 v1, v6, v5, 0x5040100
	s_and_b32 s2, vcc_lo, s2
	ds_store_b128 v74, v[1:4]
	s_waitcnt lgkmcnt(0)
	s_barrier
	buffer_gl0_inv
	s_and_saveexec_b32 s3, s2
	s_cbranch_execz .LBB1091_2
; %bb.15:
	s_load_b64 s[0:1], s[0:1], 0x68
	s_lshl_b32 s4, s35, 6
	v_or_b32_e32 v3, s31, v66
	s_mul_i32 s2, s4, s34
	v_lshlrev_b32_e32 v0, 10, v0
	s_mul_i32 s2, s2, s8
	v_lshlrev_b32_e32 v1, 4, v67
	s_ashr_i32 s3, s2, 31
	v_mul_lo_u32 v12, v3, s4
	s_lshl_b64 s[2:3], s[2:3], 1
	v_lshlrev_b32_e32 v2, 6, v66
	v_and_b32_e32 v0, 0x3800, v0
	s_delay_alu instid0(VALU_DEP_1) | instskip(NEXT) | instid1(VALU_DEP_4)
	v_or3_b32 v8, v0, v1, v2
	v_ashrrev_i32_e32 v13, 31, v12
	ds_load_b128 v[0:3], v8
	ds_load_b128 v[4:7], v8 offset:128
	ds_load_b128 v[8:11], v8 offset:256
	s_waitcnt lgkmcnt(0)
	s_add_u32 s2, s0, s2
	s_addc_u32 s3, s1, s3
	s_lshl_b32 s0, s14, 6
	s_delay_alu instid0(SALU_CYCLE_1) | instskip(NEXT) | instid1(SALU_CYCLE_1)
	s_ashr_i32 s1, s0, 31
	s_lshl_b64 s[0:1], s[0:1], 1
	s_delay_alu instid0(SALU_CYCLE_1)
	s_add_u32 s0, s2, s0
	s_addc_u32 s1, s3, s1
	s_lshl_b32 s2, s35, 7
	v_add_co_u32 v18, s0, s0, v65
	v_add_nc_u32_e32 v14, s2, v12
	v_lshlrev_b64 v[12:13], 1, v[12:13]
	v_add_co_ci_u32_e64 v19, null, s1, 0, s0
	s_delay_alu instid0(VALU_DEP_3) | instskip(SKIP_1) | instid1(VALU_DEP_4)
	v_add_nc_u32_e32 v16, s2, v14
	v_ashrrev_i32_e32 v15, 31, v14
	v_add_co_u32 v12, vcc_lo, v18, v12
	s_delay_alu instid0(VALU_DEP_4) | instskip(NEXT) | instid1(VALU_DEP_4)
	v_add_co_ci_u32_e32 v13, vcc_lo, v19, v13, vcc_lo
	v_ashrrev_i32_e32 v17, 31, v16
	s_delay_alu instid0(VALU_DEP_4) | instskip(NEXT) | instid1(VALU_DEP_2)
	v_lshlrev_b64 v[14:15], 1, v[14:15]
	v_lshlrev_b64 v[16:17], 1, v[16:17]
	s_delay_alu instid0(VALU_DEP_2) | instskip(NEXT) | instid1(VALU_DEP_3)
	v_add_co_u32 v14, vcc_lo, v18, v14
	v_add_co_ci_u32_e32 v15, vcc_lo, v19, v15, vcc_lo
	s_delay_alu instid0(VALU_DEP_3) | instskip(NEXT) | instid1(VALU_DEP_4)
	v_add_co_u32 v16, vcc_lo, v18, v16
	v_add_co_ci_u32_e32 v17, vcc_lo, v19, v17, vcc_lo
	s_clause 0x2
	global_store_b128 v[12:13], v[0:3], off
	global_store_b128 v[14:15], v[4:7], off
	;; [unrolled: 1-line block ×3, first 2 shown]
	s_nop 0
	s_sendmsg sendmsg(MSG_DEALLOC_VGPRS)
	s_endpgm
	.section	.rodata,"a",@progbits
	.p2align	6, 0x0
	.amdhsa_kernel _Z39paged_attention_ll4mi_QKV_mfma16_kernelIDF16_hLN4vllm18Fp8KVCacheDataTypeE1EhLi16ELi64ELi256ELb1ELi6EL8MFMAType0EEvPKT_PKT0_S8_ifPKiSA_SA_iPKfiiiPfSD_PS3_PT2_iSC_SC_
		.amdhsa_group_segment_fixed_size 17472
		.amdhsa_private_segment_fixed_size 0
		.amdhsa_kernarg_size 400
		.amdhsa_user_sgpr_count 13
		.amdhsa_user_sgpr_dispatch_ptr 0
		.amdhsa_user_sgpr_queue_ptr 0
		.amdhsa_user_sgpr_kernarg_segment_ptr 1
		.amdhsa_user_sgpr_dispatch_id 0
		.amdhsa_user_sgpr_private_segment_size 0
		.amdhsa_wavefront_size32 1
		.amdhsa_uses_dynamic_stack 0
		.amdhsa_enable_private_segment 0
		.amdhsa_system_sgpr_workgroup_id_x 1
		.amdhsa_system_sgpr_workgroup_id_y 1
		.amdhsa_system_sgpr_workgroup_id_z 1
		.amdhsa_system_sgpr_workgroup_info 0
		.amdhsa_system_vgpr_workitem_id 0
		.amdhsa_next_free_vgpr 146
		.amdhsa_next_free_sgpr 36
		.amdhsa_reserve_vcc 1
		.amdhsa_float_round_mode_32 0
		.amdhsa_float_round_mode_16_64 0
		.amdhsa_float_denorm_mode_32 3
		.amdhsa_float_denorm_mode_16_64 3
		.amdhsa_dx10_clamp 1
		.amdhsa_ieee_mode 1
		.amdhsa_fp16_overflow 0
		.amdhsa_workgroup_processor_mode 1
		.amdhsa_memory_ordered 1
		.amdhsa_forward_progress 0
		.amdhsa_shared_vgpr_count 0
		.amdhsa_exception_fp_ieee_invalid_op 0
		.amdhsa_exception_fp_denorm_src 0
		.amdhsa_exception_fp_ieee_div_zero 0
		.amdhsa_exception_fp_ieee_overflow 0
		.amdhsa_exception_fp_ieee_underflow 0
		.amdhsa_exception_fp_ieee_inexact 0
		.amdhsa_exception_int_div_zero 0
	.end_amdhsa_kernel
	.section	.text._Z39paged_attention_ll4mi_QKV_mfma16_kernelIDF16_hLN4vllm18Fp8KVCacheDataTypeE1EhLi16ELi64ELi256ELb1ELi6EL8MFMAType0EEvPKT_PKT0_S8_ifPKiSA_SA_iPKfiiiPfSD_PS3_PT2_iSC_SC_,"axG",@progbits,_Z39paged_attention_ll4mi_QKV_mfma16_kernelIDF16_hLN4vllm18Fp8KVCacheDataTypeE1EhLi16ELi64ELi256ELb1ELi6EL8MFMAType0EEvPKT_PKT0_S8_ifPKiSA_SA_iPKfiiiPfSD_PS3_PT2_iSC_SC_,comdat
.Lfunc_end1091:
	.size	_Z39paged_attention_ll4mi_QKV_mfma16_kernelIDF16_hLN4vllm18Fp8KVCacheDataTypeE1EhLi16ELi64ELi256ELb1ELi6EL8MFMAType0EEvPKT_PKT0_S8_ifPKiSA_SA_iPKfiiiPfSD_PS3_PT2_iSC_SC_, .Lfunc_end1091-_Z39paged_attention_ll4mi_QKV_mfma16_kernelIDF16_hLN4vllm18Fp8KVCacheDataTypeE1EhLi16ELi64ELi256ELb1ELi6EL8MFMAType0EEvPKT_PKT0_S8_ifPKiSA_SA_iPKfiiiPfSD_PS3_PT2_iSC_SC_
                                        ; -- End function
	.section	.AMDGPU.csdata,"",@progbits
; Kernel info:
; codeLenInByte = 6460
; NumSgprs: 38
; NumVgprs: 146
; ScratchSize: 0
; MemoryBound: 0
; FloatMode: 240
; IeeeMode: 1
; LDSByteSize: 17472 bytes/workgroup (compile time only)
; SGPRBlocks: 4
; VGPRBlocks: 18
; NumSGPRsForWavesPerEU: 38
; NumVGPRsForWavesPerEU: 146
; Occupancy: 9
; WaveLimiterHint : 1
; COMPUTE_PGM_RSRC2:SCRATCH_EN: 0
; COMPUTE_PGM_RSRC2:USER_SGPR: 13
; COMPUTE_PGM_RSRC2:TRAP_HANDLER: 0
; COMPUTE_PGM_RSRC2:TGID_X_EN: 1
; COMPUTE_PGM_RSRC2:TGID_Y_EN: 1
; COMPUTE_PGM_RSRC2:TGID_Z_EN: 1
; COMPUTE_PGM_RSRC2:TIDIG_COMP_CNT: 0
	.section	.text._Z39paged_attention_ll4mi_QKV_mfma16_kernelIDF16_hLN4vllm18Fp8KVCacheDataTypeE1EhLi16ELi64ELi256ELb1ELi7EL8MFMAType0EEvPKT_PKT0_S8_ifPKiSA_SA_iPKfiiiPfSD_PS3_PT2_iSC_SC_,"axG",@progbits,_Z39paged_attention_ll4mi_QKV_mfma16_kernelIDF16_hLN4vllm18Fp8KVCacheDataTypeE1EhLi16ELi64ELi256ELb1ELi7EL8MFMAType0EEvPKT_PKT0_S8_ifPKiSA_SA_iPKfiiiPfSD_PS3_PT2_iSC_SC_,comdat
	.protected	_Z39paged_attention_ll4mi_QKV_mfma16_kernelIDF16_hLN4vllm18Fp8KVCacheDataTypeE1EhLi16ELi64ELi256ELb1ELi7EL8MFMAType0EEvPKT_PKT0_S8_ifPKiSA_SA_iPKfiiiPfSD_PS3_PT2_iSC_SC_ ; -- Begin function _Z39paged_attention_ll4mi_QKV_mfma16_kernelIDF16_hLN4vllm18Fp8KVCacheDataTypeE1EhLi16ELi64ELi256ELb1ELi7EL8MFMAType0EEvPKT_PKT0_S8_ifPKiSA_SA_iPKfiiiPfSD_PS3_PT2_iSC_SC_
	.globl	_Z39paged_attention_ll4mi_QKV_mfma16_kernelIDF16_hLN4vllm18Fp8KVCacheDataTypeE1EhLi16ELi64ELi256ELb1ELi7EL8MFMAType0EEvPKT_PKT0_S8_ifPKiSA_SA_iPKfiiiPfSD_PS3_PT2_iSC_SC_
	.p2align	8
	.type	_Z39paged_attention_ll4mi_QKV_mfma16_kernelIDF16_hLN4vllm18Fp8KVCacheDataTypeE1EhLi16ELi64ELi256ELb1ELi7EL8MFMAType0EEvPKT_PKT0_S8_ifPKiSA_SA_iPKfiiiPfSD_PS3_PT2_iSC_SC_,@function
_Z39paged_attention_ll4mi_QKV_mfma16_kernelIDF16_hLN4vllm18Fp8KVCacheDataTypeE1EhLi16ELi64ELi256ELb1ELi7EL8MFMAType0EEvPKT_PKT0_S8_ifPKiSA_SA_iPKfiiiPfSD_PS3_PT2_iSC_SC_: ; @_Z39paged_attention_ll4mi_QKV_mfma16_kernelIDF16_hLN4vllm18Fp8KVCacheDataTypeE1EhLi16ELi64ELi256ELb1ELi7EL8MFMAType0EEvPKT_PKT0_S8_ifPKiSA_SA_iPKfiiiPfSD_PS3_PT2_iSC_SC_
; %bb.0:
	s_load_b64 s[2:3], s[0:1], 0x30
	s_mov_b32 s34, s13
	s_waitcnt lgkmcnt(0)
	s_cmp_lg_u64 s[2:3], 0
	s_cselect_b32 s6, -1, 0
	s_ashr_i32 s35, s13, 31
	s_cmp_eq_u64 s[2:3], 0
	s_cbranch_scc1 .LBB1092_3
; %bb.1:
	s_lshl_b64 s[4:5], s[34:35], 2
	s_delay_alu instid0(SALU_CYCLE_1) | instskip(SKIP_4) | instid1(SALU_CYCLE_1)
	s_add_u32 s4, s2, s4
	s_addc_u32 s5, s3, s5
	s_load_b64 s[4:5], s[4:5], 0x0
	s_waitcnt lgkmcnt(0)
	s_sub_i32 s4, s5, s4
	s_cmp_eq_u32 s4, 1
	s_cselect_b32 s4, -1, 0
	s_delay_alu instid0(SALU_CYCLE_1)
	s_and_not1_b32 vcc_lo, exec_lo, s4
	s_cbranch_vccz .LBB1092_4
.LBB1092_2:
	s_nop 0
	s_sendmsg sendmsg(MSG_DEALLOC_VGPRS)
	s_endpgm
.LBB1092_3:
.LBB1092_4:
	s_load_b64 s[8:9], s[0:1], 0x28
	s_lshl_b64 s[4:5], s[34:35], 2
	s_waitcnt lgkmcnt(0)
	s_add_u32 s8, s8, s4
	s_addc_u32 s9, s9, s5
	s_lshl_b32 s16, s14, 8
	s_load_b32 s18, s[8:9], 0x0
	s_waitcnt lgkmcnt(0)
	s_cmp_ge_i32 s16, s18
	s_cbranch_scc1 .LBB1092_2
; %bb.5:
	s_clause 0x1
	s_load_b128 s[8:11], s[0:1], 0x8
	s_load_b64 s[12:13], s[0:1], 0x20
	s_and_not1_b32 vcc_lo, exec_lo, s6
	s_cbranch_vccnz .LBB1092_7
; %bb.6:
	s_add_u32 s2, s2, s4
	s_addc_u32 s3, s3, s5
	s_load_b32 s3, s[2:3], 0x0
	s_branch .LBB1092_8
.LBB1092_7:
	s_mov_b32 s3, s34
.LBB1092_8:
	s_load_b128 s[4:7], s[0:1], 0x48
	v_lshrrev_b32_e32 v69, 5, v0
	v_bfe_u32 v66, v0, 4, 1
	v_and_b32_e32 v68, 15, v0
	v_and_b32_e32 v70, 31, v0
	;; [unrolled: 1-line block ×3, first 2 shown]
	s_mul_i32 s33, s15, 7
	v_lshl_or_b32 v1, v69, 1, v66
	v_lshlrev_b32_e32 v2, 3, v68
	v_cmp_gt_u32_e64 s2, 8, v68
	s_delay_alu instid0(VALU_DEP_3) | instskip(NEXT) | instid1(VALU_DEP_3)
	v_cmp_gt_u32_e32 vcc_lo, 7, v1
	v_lshlrev_b32_e32 v65, 1, v2
	s_delay_alu instid0(VALU_DEP_3)
	s_and_b32 s17, s2, vcc_lo
	s_waitcnt lgkmcnt(0)
	s_and_saveexec_b32 s7, s17
	s_cbranch_execz .LBB1092_10
; %bb.9:
	s_load_b64 s[20:21], s[0:1], 0x0
	v_add_lshl_u32 v2, v1, s33, 6
	s_mul_hi_i32 s23, s3, s4
	s_mul_i32 s22, s3, s4
	v_lshlrev_b32_e32 v6, 10, v68
	s_lshl_b64 s[22:23], s[22:23], 1
	v_ashrrev_i32_e32 v3, 31, v2
	v_lshlrev_b32_e32 v1, 6, v1
	v_lshlrev_b32_e32 v7, 10, v67
	v_and_b32_e32 v6, 0x3800, v6
	s_delay_alu instid0(VALU_DEP_4) | instskip(NEXT) | instid1(VALU_DEP_2)
	v_lshlrev_b64 v[2:3], 1, v[2:3]
	v_or3_b32 v1, v6, v7, v1
	s_waitcnt lgkmcnt(0)
	s_add_u32 s3, s20, s22
	s_addc_u32 s4, s21, s23
	s_delay_alu instid0(VALU_DEP_2) | instskip(SKIP_1) | instid1(VALU_DEP_2)
	v_add_co_u32 v2, vcc_lo, s3, v2
	v_add_co_ci_u32_e32 v3, vcc_lo, s4, v3, vcc_lo
	v_add_co_u32 v2, vcc_lo, v2, v65
	s_delay_alu instid0(VALU_DEP_2)
	v_add_co_ci_u32_e32 v3, vcc_lo, 0, v3, vcc_lo
	global_load_b128 v[2:5], v[2:3], off
	s_waitcnt vmcnt(0)
	ds_store_b128 v1, v[2:5]
.LBB1092_10:
	s_or_b32 exec_lo, exec_lo, s7
	v_and_b32_e32 v1, 0xef, v0
	s_add_i32 s3, s18, 15
	s_clause 0x1
	s_load_b32 s4, s[0:1], 0x38
	s_load_b32 s35, s[0:1], 0x98
	s_ashr_i32 s7, s3, 31
	v_add_nc_u32_e32 v1, s16, v1
	s_lshr_b32 s7, s7, 28
	s_load_b32 s19, s[0:1], 0x1c
	s_add_i32 s3, s3, s7
	s_waitcnt lgkmcnt(0)
	v_ashrrev_i32_e32 v2, 31, v1
	v_or_b32_e32 v3, 16, v1
	s_ashr_i32 s3, s3, 4
	v_cmp_gt_i32_e32 vcc_lo, s18, v1
	s_add_i32 s3, s3, -1
	v_lshrrev_b32_e32 v2, 28, v2
	s_barrier
	buffer_gl0_inv
	s_mul_i32 s15, s15, s6
	v_mul_lo_u16 v103, v68, 37
	v_add_nc_u32_e32 v4, v1, v2
	v_mbcnt_lo_u32_b32 v127, -1, 0
	s_mul_i32 s20, s34, s4
	s_delay_alu instid0(SALU_CYCLE_1) | instskip(NEXT) | instid1(VALU_DEP_2)
	s_ashr_i32 s21, s20, 31
	v_ashrrev_i32_e32 v4, 4, v4
	v_add_nc_u32_e32 v2, v3, v2
	s_lshl_b64 s[20:21], s[20:21], 2
	v_lshrrev_b16 v103, 8, v103
	s_add_u32 s17, s12, s20
	v_cndmask_b32_e32 v1, s3, v4, vcc_lo
	v_ashrrev_i32_e32 v2, 4, v2
	v_cmp_gt_i32_e32 vcc_lo, s18, v3
	s_addc_u32 s13, s13, s21
	s_ashr_i32 s20, s15, 31
	s_add_u32 s4, s8, s15
	s_addc_u32 s12, s9, s20
	v_cndmask_b32_e32 v3, s3, v2, vcc_lo
	v_ashrrev_i32_e32 v2, 31, v1
	s_lshl_b32 s6, s14, 4
	v_mul_lo_u16 v103, v103, 7
	s_ashr_i32 s7, s6, 31
	v_ashrrev_i32_e32 v4, 31, v3
	v_lshlrev_b64 v[1:2], 2, v[1:2]
	s_lshl_b64 s[6:7], s[6:7], 2
	v_sub_nc_u16 v103, v68, v103
	s_add_u32 s6, s17, s6
	v_lshlrev_b64 v[3:4], 2, v[3:4]
	s_addc_u32 s7, s13, s7
	v_add_co_u32 v1, vcc_lo, s17, v1
	v_add_co_ci_u32_e32 v2, vcc_lo, s13, v2, vcc_lo
	s_delay_alu instid0(VALU_DEP_3) | instskip(NEXT) | instid1(VALU_DEP_4)
	v_add_co_u32 v3, vcc_lo, s17, v3
	v_add_co_ci_u32_e32 v4, vcc_lo, s13, v4, vcc_lo
	s_clause 0x1
	global_load_b32 v5, v[1:2], off
	global_load_b32 v7, v[3:4], off
	s_or_b32 s8, s16, 32
	v_lshlrev_b32_e32 v1, 4, v0
	s_ashr_i32 s9, s8, 4
	s_cmp_lt_i32 s8, s18
	v_xor_b32_e32 v128, 16, v127
	s_cselect_b32 s8, s9, s3
	v_and_b32_e32 v1, 0xf0, v1
	s_ashr_i32 s9, s8, 31
	s_delay_alu instid0(SALU_CYCLE_1)
	s_lshl_b64 s[8:9], s[8:9], 2
	v_cmp_gt_i32_e32 vcc_lo, 32, v128
	s_add_u32 s8, s17, s8
	s_addc_u32 s9, s13, s9
	s_or_b32 s21, s16, 64
	v_add_co_u32 v1, s4, s4, v1
	s_ashr_i32 s22, s21, 4
	s_cmp_lt_i32 s21, s18
	v_add_co_ci_u32_e64 v2, null, s12, 0, s4
	s_cselect_b32 s22, s22, s3
	v_dual_cndmask_b32 v136, v127, v128 :: v_dual_and_b32 v103, 0xff, v103
	s_ashr_i32 s23, s22, 31
	s_delay_alu instid0(SALU_CYCLE_1) | instskip(NEXT) | instid1(VALU_DEP_1)
	s_lshl_b64 s[22:23], s[22:23], 2
	v_lshlrev_b32_e32 v115, 6, v103
	s_add_u32 s22, s17, s22
	s_addc_u32 s23, s13, s23
	s_or_b32 s21, s16, 0x60
	s_delay_alu instid0(SALU_CYCLE_1) | instskip(SKIP_2) | instid1(SALU_CYCLE_1)
	s_ashr_i32 s24, s21, 4
	s_cmp_lt_i32 s21, s18
	s_cselect_b32 s24, s24, s3
	s_ashr_i32 s25, s24, 31
	s_delay_alu instid0(SALU_CYCLE_1) | instskip(NEXT) | instid1(SALU_CYCLE_1)
	s_lshl_b64 s[24:25], s[24:25], 2
	s_add_u32 s24, s17, s24
	s_addc_u32 s25, s13, s25
	s_or_b32 s21, s16, 0x80
	s_delay_alu instid0(SALU_CYCLE_1) | instskip(SKIP_2) | instid1(SALU_CYCLE_1)
	s_ashr_i32 s26, s21, 4
	s_cmp_lt_i32 s21, s18
	s_cselect_b32 s26, s26, s3
	s_ashr_i32 s27, s26, 31
	s_delay_alu instid0(SALU_CYCLE_1) | instskip(NEXT) | instid1(SALU_CYCLE_1)
	s_lshl_b64 s[26:27], s[26:27], 2
	;; [unrolled: 10-line block ×3, first 2 shown]
	s_add_u32 s28, s17, s28
	s_addc_u32 s29, s13, s29
	s_clause 0x5
	s_load_b32 s12, s[6:7], 0x0
	s_load_b32 s4, s[8:9], 0x0
	s_load_b32 s6, s[22:23], 0x0
	s_load_b32 s7, s[24:25], 0x0
	s_load_b32 s8, s[26:27], 0x0
	s_load_b32 s9, s[28:29], 0x0
	s_or_b32 s21, s16, 0xc0
	s_delay_alu instid0(SALU_CYCLE_1) | instskip(SKIP_2) | instid1(SALU_CYCLE_1)
	s_ashr_i32 s22, s21, 4
	s_cmp_lt_i32 s21, s18
	s_cselect_b32 s22, s22, s3
	s_ashr_i32 s23, s22, 31
	s_delay_alu instid0(SALU_CYCLE_1) | instskip(NEXT) | instid1(SALU_CYCLE_1)
	s_lshl_b64 s[22:23], s[22:23], 2
	s_add_u32 s22, s17, s22
	s_addc_u32 s23, s13, s23
	s_or_b32 s21, s16, 0xe0
	s_delay_alu instid0(SALU_CYCLE_1) | instskip(SKIP_2) | instid1(SALU_CYCLE_1)
	s_ashr_i32 s24, s21, 4
	s_cmp_lt_i32 s21, s18
	s_cselect_b32 s24, s24, s3
	s_ashr_i32 s25, s24, 31
	s_delay_alu instid0(SALU_CYCLE_1)
	s_lshl_b64 s[24:25], s[24:25], 2
	s_waitcnt vmcnt(1)
	v_mad_i64_i32 v[3:4], null, v5, s5, v[1:2]
	s_waitcnt vmcnt(0)
	v_mad_i64_i32 v[5:6], null, v7, s5, v[1:2]
	v_lshlrev_b32_e32 v1, 4, v68
	s_clause 0x7
	global_load_b128 v[71:74], v[3:4], off
	global_load_b128 v[75:78], v[3:4], off offset:256
	global_load_b128 v[79:82], v[5:6], off
	global_load_b128 v[83:86], v[5:6], off offset:256
	global_load_b128 v[87:90], v[3:4], off offset:512
	global_load_b128 v[91:94], v[3:4], off offset:768
	global_load_b128 v[95:98], v[5:6], off offset:512
	global_load_b128 v[99:102], v[5:6], off offset:768
	v_lshl_or_b32 v1, v69, 8, v1
	s_load_b32 s3, s[22:23], 0x0
	s_add_u32 s22, s17, s24
	s_addc_u32 s23, s13, s25
	s_add_u32 s10, s10, s15
	s_addc_u32 s11, s11, s20
	v_add_co_u32 v1, s10, s10, v1
	s_delay_alu instid0(VALU_DEP_1) | instskip(SKIP_2) | instid1(VALU_DEP_1)
	v_add_co_ci_u32_e64 v2, null, s11, 0, s10
	s_load_b32 s10, s[22:23], 0x0
	s_waitcnt lgkmcnt(0)
	v_mad_i64_i32 v[3:4], null, s12, s5, v[1:2]
	v_mad_i64_i32 v[9:10], null, s7, s5, v[1:2]
	;; [unrolled: 1-line block ×7, first 2 shown]
	s_clause 0x5
	global_load_b128 v[49:52], v[3:4], off
	global_load_b128 v[53:56], v[3:4], off offset:16
	global_load_b128 v[41:44], v[5:6], off
	global_load_b128 v[45:48], v[5:6], off offset:16
	;; [unrolled: 2-line block ×3, first 2 shown]
	s_mov_b32 s4, 0
	v_mad_i64_i32 v[61:62], null, s10, s5, v[1:2]
	s_clause 0x9
	global_load_b128 v[1:4], v[9:10], off
	global_load_b128 v[5:8], v[9:10], off offset:16
	global_load_b128 v[9:12], v[13:14], off
	global_load_b128 v[13:16], v[13:14], off offset:16
	;; [unrolled: 2-line block ×5, first 2 shown]
	s_mov_b32 s5, s4
	s_mov_b32 s6, s4
	;; [unrolled: 1-line block ×7, first 2 shown]
	v_and_b32_e32 v104, 0xe0, v0
	v_dual_mov_b32 v126, s11 :: v_dual_mov_b32 v123, s8
	v_dual_mov_b32 v125, s10 :: v_dual_mov_b32 v124, s9
	s_delay_alu instid0(VALU_DEP_3)
	v_add_nc_u32_e32 v111, s16, v104
	ds_load_b128 v[103:106], v115
	ds_load_b128 v[107:110], v115 offset:1024
	v_dual_mov_b32 v122, s7 :: v_dual_mov_b32 v121, s6
	v_mov_b32_e32 v120, s5
	v_or_b32_e32 v135, v111, v66
	ds_load_b128 v[111:114], v115 offset:2048
	ds_load_b128 v[115:118], v115 offset:3072
	v_mov_b32_e32 v119, s4
	s_waitcnt vmcnt(0) lgkmcnt(0)
	s_barrier
	v_or_b32_e32 v137, 2, v135
	v_or_b32_e32 v138, 4, v135
	v_or_b32_e32 v139, 6, v135
	v_cmp_gt_i32_e32 vcc_lo, s18, v135
	v_or_b32_e32 v140, 8, v135
	v_cmp_gt_i32_e64 s3, s18, v137
	v_or_b32_e32 v141, 10, v135
	v_cmp_gt_i32_e64 s4, s18, v138
	v_cmp_gt_i32_e64 s5, s18, v139
	v_or_b32_e32 v142, 12, v135
	v_or_b32_e32 v143, 14, v135
	v_cmp_gt_i32_e64 s6, s18, v140
	v_cmp_gt_i32_e64 s7, s18, v141
	v_or_b32_e32 v144, 16, v135
	v_or_b32_e32 v145, 18, v135
	v_cmp_gt_i32_e64 s8, s18, v142
	v_cmp_gt_i32_e64 s9, s18, v143
	buffer_gl0_inv
	v_cmp_gt_i32_e64 s10, s18, v144
	v_cmp_gt_i32_e64 s11, s18, v145
	v_wmma_f32_16x16x16_f16 v[127:134], v[71:78], v[103:110], v[119:126]
	v_wmma_f32_16x16x16_f16 v[119:126], v[79:86], v[103:110], v[119:126]
	v_or_b32_e32 v71, 20, v135
	v_or_b32_e32 v72, 22, v135
	s_delay_alu instid0(VALU_DEP_4)
	v_wmma_f32_16x16x16_f16 v[127:134], v[87:94], v[111:118], v[127:134]
	v_or_b32_e32 v73, 24, v135
	v_wmma_f32_16x16x16_f16 v[119:126], v[95:102], v[111:118], v[119:126]
	v_or_b32_e32 v74, 26, v135
	v_cmp_gt_i32_e64 s12, s18, v71
	v_dual_mul_f32 v83, s19, v128 :: v_dual_mul_f32 v84, s19, v127
	s_delay_alu instid0(VALU_DEP_4) | instskip(SKIP_1) | instid1(VALU_DEP_3)
	v_dual_mul_f32 v81, s19, v130 :: v_dual_mul_f32 v92, s19, v119
	v_mul_f32_e32 v82, s19, v129
	v_cndmask_b32_e64 v83, 0xff7fffff, v83, s3
	s_delay_alu instid0(VALU_DEP_4)
	v_cndmask_b32_e32 v84, 0xff7fffff, v84, vcc_lo
	v_dual_mul_f32 v79, s19, v132 :: v_dual_mul_f32 v90, s19, v121
	v_mul_f32_e32 v80, s19, v131
	v_cndmask_b32_e64 v82, 0xff7fffff, v82, s4
	v_cndmask_b32_e64 v81, 0xff7fffff, v81, s5
	v_max3_f32 v83, v84, 0xff7fffff, v83
	v_dual_mul_f32 v77, s19, v134 :: v_dual_mul_f32 v88, s19, v123
	v_mul_f32_e32 v78, s19, v133
	v_cndmask_b32_e64 v80, 0xff7fffff, v80, s6
	v_cndmask_b32_e64 v79, 0xff7fffff, v79, s7
	v_max3_f32 v81, v83, v82, v81
	v_mul_f32_e32 v91, s19, v120
	v_cndmask_b32_e64 v78, 0xff7fffff, v78, s8
	v_cndmask_b32_e64 v77, 0xff7fffff, v77, s9
	v_mul_f32_e32 v89, s19, v122
	v_max3_f32 v79, v81, v80, v79
	v_cndmask_b32_e64 v80, 0xff7fffff, v92, s10
	v_cndmask_b32_e64 v81, 0xff7fffff, v91, s11
	v_cmp_gt_i32_e64 s13, s18, v72
	v_or_b32_e32 v75, 28, v135
	v_max3_f32 v77, v79, v78, v77
	v_or_b32_e32 v76, 30, v135
	v_mul_f32_e32 v87, s19, v124
	v_cndmask_b32_e64 v71, 0xff7fffff, v90, s12
	v_cndmask_b32_e64 v72, 0xff7fffff, v89, s13
	v_max3_f32 v77, v77, v80, v81
	v_cmp_gt_i32_e64 s15, s18, v73
	v_cmp_gt_i32_e64 s16, s18, v74
	v_dual_mul_f32 v85, s19, v126 :: v_dual_mul_f32 v86, s19, v125
	s_delay_alu instid0(VALU_DEP_4) | instskip(NEXT) | instid1(VALU_DEP_4)
	v_max3_f32 v71, v77, v71, v72
	v_cndmask_b32_e64 v73, 0xff7fffff, v88, s15
	s_delay_alu instid0(VALU_DEP_4) | instskip(SKIP_2) | instid1(VALU_DEP_3)
	v_cndmask_b32_e64 v74, 0xff7fffff, v87, s16
	v_cmp_gt_i32_e64 s17, s18, v75
	v_cmp_gt_i32_e64 s18, s18, v76
	v_max3_f32 v71, v71, v73, v74
	s_delay_alu instid0(VALU_DEP_3) | instskip(NEXT) | instid1(VALU_DEP_3)
	v_cndmask_b32_e64 v72, 0xff7fffff, v86, s17
	v_cndmask_b32_e64 v75, 0xff7fffff, v85, s18
	v_lshlrev_b32_e32 v73, 2, v136
	s_delay_alu instid0(VALU_DEP_2) | instskip(SKIP_3) | instid1(VALU_DEP_1)
	v_max3_f32 v71, v71, v72, v75
	ds_bpermute_b32 v72, v73, v71
	s_waitcnt lgkmcnt(0)
	v_max_f32_e32 v72, v72, v72
	v_max_f32_e32 v71, v71, v72
	s_delay_alu instid0(VALU_DEP_1)
	v_fma_f32 v72, s19, v127, -v71
	v_fma_f32 v74, s19, v128, -v71
	;; [unrolled: 1-line block ×5, first 2 shown]
	v_mul_f32_e32 v72, 0x3fb8aa3b, v72
	v_mul_f32_e32 v74, 0x3fb8aa3b, v74
	v_fma_f32 v80, s19, v133, -v71
	s_delay_alu instid0(VALU_DEP_4) | instskip(NEXT) | instid1(VALU_DEP_4)
	v_dual_mul_f32 v76, 0x3fb8aa3b, v76 :: v_dual_mul_f32 v77, 0x3fb8aa3b, v77
	v_exp_f32_e32 v72, v72
	s_delay_alu instid0(VALU_DEP_3) | instskip(NEXT) | instid1(VALU_DEP_2)
	v_exp_f32_e32 v74, v74
	v_mul_f32_e32 v82, 0x3fb8aa3b, v80
	s_delay_alu instid0(VALU_DEP_2) | instskip(SKIP_1) | instid1(VALU_DEP_1)
	v_exp_f32_e32 v76, v76
	v_exp_f32_e32 v77, v77
	;; [unrolled: 1-line block ×3, first 2 shown]
	v_cndmask_b32_e32 v79, 0, v72, vcc_lo
	v_fma_f32 v72, s19, v132, -v71
	v_mul_f32_e32 v75, 0x3fb8aa3b, v75
	v_cndmask_b32_e64 v78, 0, v74, s3
	s_delay_alu instid0(TRANS32_DEP_3)
	v_cndmask_b32_e64 v80, 0, v76, s5
	v_add_f32_e32 v74, 0, v79
	v_mul_f32_e32 v72, 0x3fb8aa3b, v72
	v_exp_f32_e32 v75, v75
	v_cndmask_b32_e64 v83, 0, v77, s6
	v_cndmask_b32_e64 v85, 0, v84, s8
	v_add_f32_e32 v74, v74, v78
	v_exp_f32_e32 v72, v72
	v_cmp_gt_u32_e64 s3, 16, v70
	s_waitcnt_depctr 0xfff
	v_cndmask_b32_e64 v81, 0, v75, s4
	v_cndmask_b32_e64 v82, 0, v72, s7
	s_delay_alu instid0(VALU_DEP_2) | instskip(NEXT) | instid1(VALU_DEP_1)
	v_add_f32_e32 v74, v74, v81
	v_add_f32_e32 v74, v74, v80
	s_delay_alu instid0(VALU_DEP_1) | instskip(SKIP_4) | instid1(VALU_DEP_4)
	v_add_f32_e32 v72, v74, v83
	v_fma_f32 v75, s19, v134, -v71
	v_fma_f32 v76, s19, v119, -v71
	;; [unrolled: 1-line block ×4, first 2 shown]
	v_dual_add_f32 v72, v72, v82 :: v_dual_mul_f32 v75, 0x3fb8aa3b, v75
	s_delay_alu instid0(VALU_DEP_3) | instskip(SKIP_1) | instid1(VALU_DEP_3)
	v_dual_mul_f32 v76, 0x3fb8aa3b, v76 :: v_dual_mul_f32 v77, 0x3fb8aa3b, v77
	v_fma_f32 v86, s19, v122, -v71
	v_add_f32_e32 v72, v72, v85
	s_delay_alu instid0(VALU_DEP_4) | instskip(NEXT) | instid1(VALU_DEP_3)
	v_exp_f32_e32 v75, v75
	v_exp_f32_e32 v76, v76
	;; [unrolled: 1-line block ×3, first 2 shown]
	v_mul_f32_e32 v86, 0x3fb8aa3b, v86
	s_delay_alu instid0(VALU_DEP_1) | instskip(SKIP_3) | instid1(TRANS32_DEP_3)
	v_exp_f32_e32 v88, v86
	v_cndmask_b32_e64 v84, 0, v75, s9
	v_fma_f32 v75, s19, v123, -v71
	v_mul_f32_e32 v74, 0x3fb8aa3b, v74
	v_cndmask_b32_e64 v87, 0, v76, s10
	v_fma_f32 v76, s19, v124, -v71
	s_delay_alu instid0(VALU_DEP_4) | instskip(NEXT) | instid1(VALU_DEP_4)
	v_dual_add_f32 v72, v72, v84 :: v_dual_mul_f32 v75, 0x3fb8aa3b, v75
	v_exp_f32_e32 v74, v74
	v_cndmask_b32_e64 v86, 0, v77, s11
	v_fma_f32 v77, s19, v125, -v71
	s_delay_alu instid0(VALU_DEP_3) | instskip(SKIP_3) | instid1(VALU_DEP_3)
	v_add_f32_e32 v72, v72, v87
	v_mul_f32_e32 v76, 0x3fb8aa3b, v76
	v_exp_f32_e32 v75, v75
	v_cndmask_b32_e64 v88, 0, v88, s13
	v_add_f32_e32 v72, v72, v86
	s_delay_alu instid0(VALU_DEP_3) | instskip(NEXT) | instid1(TRANS32_DEP_3)
	v_exp_f32_e32 v76, v76
	v_cndmask_b32_e64 v89, 0, v74, s12
	v_mul_f32_e32 v74, 0x3fb8aa3b, v77
	v_fma_f32 v77, s19, v126, -v71
	s_delay_alu instid0(VALU_DEP_3) | instskip(NEXT) | instid1(VALU_DEP_3)
	v_add_f32_e32 v72, v72, v89
	v_exp_f32_e32 v74, v74
	s_delay_alu instid0(TRANS32_DEP_3) | instskip(NEXT) | instid1(VALU_DEP_3)
	v_cndmask_b32_e64 v91, 0, v75, s15
	v_mul_f32_e32 v75, 0x3fb8aa3b, v77
	s_delay_alu instid0(TRANS32_DEP_2) | instskip(SKIP_1) | instid1(VALU_DEP_3)
	v_cndmask_b32_e64 v90, 0, v76, s16
	v_add_f32_e32 v72, v72, v88
	v_exp_f32_e32 v75, v75
	s_delay_alu instid0(VALU_DEP_1) | instskip(NEXT) | instid1(TRANS32_DEP_2)
	v_add_f32_e32 v72, v72, v91
	v_cndmask_b32_e64 v93, 0, v74, s17
	s_delay_alu instid0(VALU_DEP_2) | instskip(SKIP_3) | instid1(VALU_DEP_1)
	v_add_f32_e32 v72, v72, v90
	s_waitcnt_depctr 0xfff
	v_cndmask_b32_e64 v92, 0, v75, s18
	v_add_f32_e32 v72, v72, v93
	v_add_f32_e32 v72, v72, v92
	ds_bpermute_b32 v73, v73, v72
	s_and_saveexec_b32 s4, s3
	s_cbranch_execz .LBB1092_12
; %bb.11:
	v_mul_u32_u24_e32 v70, 0x44, v69
	s_waitcnt lgkmcnt(0)
	v_add_f32_e32 v72, v72, v73
	s_delay_alu instid0(VALU_DEP_2) | instskip(NEXT) | instid1(VALU_DEP_1)
	v_lshl_add_u32 v70, v68, 2, v70
	v_add_nc_u32_e32 v70, 0x4000, v70
	ds_store_2addr_b32 v70, v71, v72 offset1:136
.LBB1092_12:
	s_or_b32 exec_lo, exec_lo, s4
	v_lshlrev_b32_e32 v70, 2, v68
	s_load_b32 s36, s[0:1], 0x94
	s_waitcnt lgkmcnt(0)
	s_barrier
	buffer_gl0_inv
	v_add_nc_u32_e32 v98, 0x4000, v70
	v_cmp_eq_u32_e32 vcc_lo, 1, v69
	v_cmp_eq_u32_e64 s4, 2, v69
	v_cmp_eq_u32_e64 s5, 3, v69
	v_cmp_eq_u32_e64 s6, 4, v69
	ds_load_2addr_b32 v[70:71], v98 offset1:17
	ds_load_2addr_b32 v[72:73], v98 offset0:34 offset1:51
	ds_load_2addr_b32 v[74:75], v98 offset0:68 offset1:85
	;; [unrolled: 1-line block ×3, first 2 shown]
	v_cmp_eq_u32_e64 s7, 5, v69
	v_cmp_eq_u32_e64 s8, 7, v69
	s_waitcnt lgkmcnt(3)
	v_max3_f32 v76, v70, 0xff7fffff, v71
	s_waitcnt lgkmcnt(2)
	s_delay_alu instid0(VALU_DEP_1) | instskip(SKIP_1) | instid1(VALU_DEP_1)
	v_max3_f32 v76, v76, v72, v73
	s_waitcnt lgkmcnt(1)
	v_max3_f32 v76, v76, v74, v75
	s_waitcnt lgkmcnt(0)
	s_delay_alu instid0(VALU_DEP_1) | instskip(NEXT) | instid1(VALU_DEP_1)
	v_max3_f32 v76, v76, v94, v95
	v_sub_f32_e32 v77, v71, v76
	ds_load_2addr_b32 v[96:97], v98 offset0:136 offset1:153
	v_sub_f32_e32 v74, v74, v76
	v_sub_f32_e32 v70, v70, v76
	;; [unrolled: 1-line block ×3, first 2 shown]
	v_dual_sub_f32 v72, v72, v76 :: v_dual_mul_f32 v77, 0x3fb8aa3b, v77
	s_delay_alu instid0(VALU_DEP_4) | instskip(NEXT) | instid1(VALU_DEP_4)
	v_mul_f32_e32 v103, 0x3fb8aa3b, v74
	v_mul_f32_e32 v99, 0x3fb8aa3b, v70
	ds_load_2addr_b32 v[70:71], v98 offset0:170 offset1:187
	v_dual_mul_f32 v101, 0x3fb8aa3b, v72 :: v_dual_mul_f32 v94, 0x3fb8aa3b, v94
	v_exp_f32_e32 v102, v77
	v_exp_f32_e32 v99, v99
	s_delay_alu instid0(VALU_DEP_1) | instskip(NEXT) | instid1(VALU_DEP_1)
	v_exp_f32_e32 v101, v101
	v_exp_f32_e32 v94, v94
	s_waitcnt lgkmcnt(1)
	s_delay_alu instid0(TRANS32_DEP_3)
	v_fma_f32 v77, v99, v96, 0
	v_sub_f32_e32 v100, v73, v76
	ds_load_2addr_b32 v[72:73], v98 offset0:204 offset1:221
	v_fmac_f32_e32 v77, v102, v97
	v_exp_f32_e32 v97, v103
	s_waitcnt lgkmcnt(1)
	s_delay_alu instid0(VALU_DEP_1)
	v_dual_fmac_f32 v77, v101, v70 :: v_dual_sub_f32 v96, v75, v76
	ds_load_2addr_b32 v[74:75], v98 offset0:238 offset1:255
	v_sub_f32_e32 v70, v95, v76
	s_waitcnt lgkmcnt(0)
	s_barrier
	v_mul_f32_e32 v96, 0x3fb8aa3b, v96
	buffer_gl0_inv
	v_exp_f32_e32 v95, v96
	v_mul_f32_e32 v100, 0x3fb8aa3b, v100
	s_delay_alu instid0(VALU_DEP_1) | instskip(SKIP_3) | instid1(VALU_DEP_2)
	v_exp_f32_e32 v100, v100
	s_waitcnt_depctr 0xfff
	v_dual_fmac_f32 v77, v100, v71 :: v_dual_mul_f32 v70, 0x3fb8aa3b, v70
	v_cndmask_b32_e32 v71, v99, v102, vcc_lo
	v_fmac_f32_e32 v77, v97, v72
	s_delay_alu instid0(VALU_DEP_3) | instskip(NEXT) | instid1(VALU_DEP_1)
	v_exp_f32_e32 v96, v70
	v_fmac_f32_e32 v77, v95, v73
	s_delay_alu instid0(VALU_DEP_1) | instskip(SKIP_2) | instid1(VALU_DEP_1)
	v_fmac_f32_e32 v77, v94, v74
	s_waitcnt_depctr 0xfff
	v_fmac_f32_e32 v77, v96, v75
	v_add_f32_e32 v74, 0x358637bd, v77
	s_delay_alu instid0(VALU_DEP_1) | instskip(SKIP_1) | instid1(VALU_DEP_2)
	v_div_scale_f32 v98, null, v74, v74, 1.0
	v_div_scale_f32 v99, vcc_lo, 1.0, v74, 1.0
	v_rcp_f32_e32 v103, v98
	s_waitcnt_depctr 0xfff
	v_fma_f32 v70, -v98, v103, 1.0
	s_delay_alu instid0(VALU_DEP_1) | instskip(SKIP_2) | instid1(VALU_DEP_2)
	v_fmac_f32_e32 v103, v70, v103
	v_cndmask_b32_e64 v70, v71, v101, s4
	v_cmp_eq_u32_e64 s4, 6, v69
	v_cndmask_b32_e64 v71, v70, v100, s5
	s_delay_alu instid0(VALU_DEP_4) | instskip(NEXT) | instid1(VALU_DEP_2)
	v_dual_mul_f32 v101, v99, v103 :: v_dual_lshlrev_b32 v70, 2, v66
	v_cndmask_b32_e64 v71, v71, v97, s6
	s_delay_alu instid0(VALU_DEP_2) | instskip(NEXT) | instid1(VALU_DEP_3)
	v_or_b32_e32 v72, 1, v70
	v_fma_f32 v100, -v98, v101, v99
	v_cmp_eq_u32_e64 s5, 1, v70
	v_cmp_eq_u32_e64 s6, 2, v70
	v_cndmask_b32_e64 v95, v71, v95, s7
	v_or_b32_e32 v71, 3, v70
	v_fmac_f32_e32 v101, v100, v103
	v_cmp_eq_u32_e64 s10, 1, v72
	v_cmp_eq_u32_e64 s13, 2, v72
	v_cndmask_b32_e64 v94, v95, v94, s4
	v_cmp_eq_u32_e64 s12, 1, v71
	v_fma_f32 v97, -v98, v101, v99
	v_cmp_eq_u32_e64 s17, 2, v71
	v_cmp_eq_u32_e64 s15, 3, v72
	v_cndmask_b32_e64 v94, v94, v96, s8
	v_cmp_eq_u32_e64 s19, 3, v71
	v_div_fmas_f32 v95, v97, v103, v101
	v_cmp_eq_u32_e32 vcc_lo, 3, v70
	v_cmp_eq_u32_e64 s4, 4, v70
	v_cmp_eq_u32_e64 s20, 4, v72
	;; [unrolled: 1-line block ×3, first 2 shown]
	v_div_fixup_f32 v95, v95, v74, 1.0
	v_lshlrev_b32_e32 v73, 6, v68
	v_cmp_eq_u32_e64 s7, 5, v70
	v_cmp_eq_u32_e64 s21, 5, v72
	;; [unrolled: 1-line block ×3, first 2 shown]
	v_mul_f32_e32 v102, v94, v95
	v_lshl_or_b32 v75, v69, 11, v73
	v_or_b32_e32 v69, 2, v70
	v_cmp_eq_u32_e64 s26, 6, v72
	v_cmp_eq_u32_e64 s28, 6, v71
	v_fma_mixlo_f16 v94, v102, v79, 0
	v_fma_mixlo_f16 v95, v102, v81, 0
	;; [unrolled: 1-line block ×8, first 2 shown]
	v_lshl_or_b32 v74, v66, 4, v75
	v_fma_mixhi_f16 v94, v102, v78, 0
	v_fma_mixhi_f16 v95, v102, v80, 0
	;; [unrolled: 1-line block ×8, first 2 shown]
	ds_store_b128 v74, v[94:97]
	ds_store_b128 v74, v[98:101] offset:1024
	s_waitcnt lgkmcnt(0)
	s_barrier
	buffer_gl0_inv
	ds_load_b128 v[78:81], v75
	ds_load_b128 v[82:85], v75 offset:16
	ds_load_b128 v[86:89], v75 offset:1024
	;; [unrolled: 1-line block ×3, first 2 shown]
	v_cmp_eq_u32_e64 s11, 1, v69
	v_cmp_eq_u32_e64 s16, 2, v69
	;; [unrolled: 1-line block ×11, first 2 shown]
	s_waitcnt lgkmcnt(3)
	v_lshrrev_b32_e32 v94, 16, v78
	s_waitcnt lgkmcnt(2)
	v_lshrrev_b32_e32 v98, 16, v82
	;; [unrolled: 2-line block ×4, first 2 shown]
	v_lshrrev_b32_e32 v95, 16, v79
	v_cndmask_b32_e64 v110, v78, v94, s5
	v_cndmask_b32_e64 v111, v82, v98, s5
	;; [unrolled: 1-line block ×8, first 2 shown]
	v_lshrrev_b32_e32 v99, 16, v83
	v_cndmask_b32_e64 v94, v86, v102, s5
	v_cndmask_b32_e64 v98, v90, v106, s5
	;; [unrolled: 1-line block ×15, first 2 shown]
	v_lshrrev_b32_e32 v103, 16, v87
	v_lshrrev_b32_e32 v107, 16, v91
	v_cndmask_b32_e64 v113, v115, v83, s16
	v_cndmask_b32_e64 v82, v94, v87, s6
	;; [unrolled: 1-line block ×7, first 2 shown]
	v_cndmask_b32_e32 v90, v102, v95, vcc_lo
	v_cndmask_b32_e32 v102, v106, v99, vcc_lo
	v_cndmask_b32_e64 v106, v110, v95, s15
	v_cndmask_b32_e64 v110, v111, v99, s15
	;; [unrolled: 1-line block ×4, first 2 shown]
	v_lshrrev_b32_e32 v96, 16, v80
	v_lshrrev_b32_e32 v100, 16, v84
	v_cndmask_b32_e64 v111, v112, v95, s18
	v_cndmask_b32_e64 v112, v113, v99, s18
	v_cndmask_b32_e32 v82, v82, v103, vcc_lo
	v_cndmask_b32_e32 v83, v83, v107, vcc_lo
	v_cndmask_b32_e64 v94, v94, v103, s15
	v_cndmask_b32_e64 v90, v90, v80, s4
	;; [unrolled: 1-line block ×7, first 2 shown]
	v_lshrrev_b32_e32 v104, 16, v88
	v_cndmask_b32_e64 v106, v111, v80, s22
	v_cndmask_b32_e64 v110, v112, v84, s22
	;; [unrolled: 1-line block ×11, first 2 shown]
	v_lshrrev_b32_e32 v97, 16, v81
	v_lshrrev_b32_e32 v101, 16, v85
	v_cndmask_b32_e64 v99, v106, v96, s24
	v_cndmask_b32_e64 v102, v110, v100, s24
	;; [unrolled: 1-line block ×7, first 2 shown]
	v_lshrrev_b32_e32 v105, 16, v89
	v_cndmask_b32_e64 v80, v80, v104, s7
	v_cndmask_b32_e64 v84, v84, v81, s8
	;; [unrolled: 1-line block ×16, first 2 shown]
	v_perm_b32 v81, v79, v78, 0x5040100
	v_perm_b32 v79, v95, v85, 0x5040100
	v_cndmask_b32_e64 v78, v119, v91, s16
	v_cndmask_b32_e64 v85, v117, v91, s13
	;; [unrolled: 1-line block ×3, first 2 shown]
	v_perm_b32 v80, v94, v90, 0x5040100
	v_cndmask_b32_e64 v90, v98, v103, s18
	v_cndmask_b32_e64 v86, v86, v103, s19
	;; [unrolled: 1-line block ×5, first 2 shown]
	v_lshrrev_b32_e32 v108, 16, v92
	v_cndmask_b32_e64 v90, v90, v88, s22
	v_cndmask_b32_e64 v86, v86, v88, s23
	;; [unrolled: 1-line block ×11, first 2 shown]
	v_lshrrev_b32_e32 v109, 16, v93
	v_cndmask_b32_e64 v82, v82, v93, s8
	v_cndmask_b32_e64 v88, v88, v89, s27
	;; [unrolled: 1-line block ×12, first 2 shown]
	v_perm_b32 v78, v84, v83, 0x5040100
	v_perm_b32 v85, v87, v86, 0x5040100
	;; [unrolled: 1-line block ×5, first 2 shown]
	s_mul_i32 s9, s35, 7
	s_mov_b32 s4, exec_lo
	ds_store_b128 v74, v[78:81]
	ds_store_b128 v74, v[82:85] offset:1024
	v_cmpx_gt_u32_e32 7, v0
	s_cbranch_execz .LBB1092_14
; %bb.13:
	s_mul_i32 s5, s9, s34
	s_load_b128 s[16:19], s[0:1], 0x58
	v_add3_u32 v68, s5, s33, v68
	s_delay_alu instid0(VALU_DEP_1) | instskip(NEXT) | instid1(VALU_DEP_1)
	v_mad_u64_u32 v[78:79], null, v68, s36, s[14:15]
	v_ashrrev_i32_e32 v79, 31, v78
	s_delay_alu instid0(VALU_DEP_1) | instskip(SKIP_1) | instid1(VALU_DEP_1)
	v_lshlrev_b64 v[78:79], 2, v[78:79]
	s_waitcnt lgkmcnt(0)
	v_add_co_u32 v80, vcc_lo, s18, v78
	s_delay_alu instid0(VALU_DEP_2)
	v_add_co_ci_u32_e32 v81, vcc_lo, s19, v79, vcc_lo
	v_add_co_u32 v78, vcc_lo, s16, v78
	v_add_co_ci_u32_e32 v79, vcc_lo, s17, v79, vcc_lo
	global_store_b32 v[80:81], v76, off
	global_store_b32 v[78:79], v77, off
.LBB1092_14:
	s_or_b32 exec_lo, exec_lo, s4
	s_waitcnt lgkmcnt(0)
	s_waitcnt_vscnt null, 0x0
	s_barrier
	buffer_gl0_inv
	ds_load_b128 v[84:87], v73
	ds_load_b128 v[88:91], v73 offset:16
	ds_load_b128 v[96:99], v73 offset:2064
	ds_load_b128 v[92:95], v73 offset:2048
	ds_load_b128 v[104:107], v73 offset:4112
	ds_load_b128 v[100:103], v73 offset:4096
	v_cmp_eq_u32_e32 vcc_lo, 1, v70
	v_mov_b32_e32 v76, 0
	ds_load_b128 v[112:115], v73 offset:6160
	ds_load_b128 v[108:111], v73 offset:6144
	;; [unrolled: 1-line block ×4, first 2 shown]
	v_cmp_eq_u32_e64 s5, 1, v69
	v_cmp_eq_u32_e64 s4, 1, v72
	;; [unrolled: 1-line block ×3, first 2 shown]
	v_mov_b32_e32 v77, v76
	v_mov_b32_e32 v78, v76
	;; [unrolled: 1-line block ×7, first 2 shown]
	v_cmp_eq_u32_e64 s7, 3, v72
	v_cmp_eq_u32_e64 s8, 7, v72
	s_waitcnt lgkmcnt(8)
	s_delay_alu instid0(VALU_DEP_3)
	v_wmma_f32_16x16x16_f16 v[76:83], v[49:56], v[84:91], v[76:83]
	ds_load_b128 v[53:56], v73 offset:10256
	ds_load_b128 v[49:52], v73 offset:10240
	s_waitcnt lgkmcnt(8)
	v_wmma_f32_16x16x16_f16 v[76:83], v[41:48], v[92:99], v[76:83]
	ds_load_b128 v[45:48], v73 offset:12304
	ds_load_b128 v[41:44], v73 offset:12288
	s_waitcnt lgkmcnt(8)
	;; [unrolled: 4-line block ×3, first 2 shown]
	s_barrier
	buffer_gl0_inv
	v_wmma_f32_16x16x16_f16 v[76:83], v[1:8], v[108:115], v[76:83]
	s_delay_alu instid0(VALU_DEP_1) | instskip(NEXT) | instid1(VALU_DEP_1)
	v_wmma_f32_16x16x16_f16 v[76:83], v[9:16], v[116:123], v[76:83]
	v_wmma_f32_16x16x16_f16 v[76:83], v[17:24], v[49:56], v[76:83]
	s_delay_alu instid0(VALU_DEP_1) | instskip(NEXT) | instid1(VALU_DEP_1)
	v_wmma_f32_16x16x16_f16 v[76:83], v[25:32], v[41:48], v[76:83]
	v_wmma_f32_16x16x16_f16 v[76:83], v[57:64], v[33:40], v[76:83]
	s_delay_alu instid0(VALU_DEP_1) | instskip(NEXT) | instid1(VALU_DEP_2)
	v_cvt_f16_f32_e32 v1, v76
	v_cvt_f16_f32_e32 v2, v77
	s_delay_alu instid0(VALU_DEP_3) | instskip(NEXT) | instid1(VALU_DEP_4)
	v_cvt_f16_f32_e32 v3, v78
	v_cvt_f16_f32_e32 v4, v79
	;; [unrolled: 1-line block ×6, first 2 shown]
	v_pack_b32_f16 v1, v1, v2
	v_pack_b32_f16 v2, v3, v4
	;; [unrolled: 1-line block ×3, first 2 shown]
	s_delay_alu instid0(VALU_DEP_4)
	v_pack_b32_f16 v4, v7, v8
	ds_store_b128 v74, v[1:4]
	s_waitcnt lgkmcnt(0)
	s_barrier
	buffer_gl0_inv
	ds_load_b128 v[1:4], v75
	ds_load_b128 v[5:8], v75 offset:16
	s_waitcnt lgkmcnt(1)
	v_lshrrev_b32_e32 v9, 16, v1
	s_waitcnt lgkmcnt(0)
	v_lshrrev_b32_e32 v13, 16, v5
	v_lshrrev_b32_e32 v10, 16, v2
	;; [unrolled: 1-line block ×4, first 2 shown]
	v_cndmask_b32_e32 v17, v1, v9, vcc_lo
	v_cndmask_b32_e32 v18, v5, v13, vcc_lo
	v_cndmask_b32_e64 v21, v1, v9, s5
	v_cmp_eq_u32_e32 vcc_lo, 1, v71
	v_cndmask_b32_e64 v22, v5, v13, s5
	v_cmp_eq_u32_e64 s5, 2, v70
	v_cndmask_b32_e64 v19, v1, v9, s4
	v_cndmask_b32_e64 v20, v5, v13, s4
	v_cndmask_b32_e32 v1, v1, v9, vcc_lo
	v_cmp_eq_u32_e64 s4, 2, v71
	v_cndmask_b32_e32 v5, v5, v13, vcc_lo
	v_cndmask_b32_e64 v9, v17, v2, s5
	v_cmp_eq_u32_e32 vcc_lo, 3, v70
	v_cndmask_b32_e64 v13, v18, v6, s5
	v_cmp_eq_u32_e64 s5, 2, v69
	v_cndmask_b32_e64 v17, v19, v2, s6
	v_cndmask_b32_e64 v18, v20, v6, s6
	v_cmp_eq_u32_e64 s6, 3, v69
	v_cndmask_b32_e64 v1, v1, v2, s4
	v_cndmask_b32_e64 v19, v21, v2, s5
	;; [unrolled: 1-line block ×4, first 2 shown]
	v_cndmask_b32_e32 v5, v9, v10, vcc_lo
	v_cndmask_b32_e32 v6, v13, v14, vcc_lo
	v_cmp_eq_u32_e32 vcc_lo, 3, v71
	v_cndmask_b32_e64 v9, v17, v10, s7
	v_cndmask_b32_e64 v13, v18, v14, s7
	;; [unrolled: 1-line block ×3, first 2 shown]
	v_cmp_eq_u32_e64 s5, 4, v70
	v_cndmask_b32_e32 v1, v1, v10, vcc_lo
	v_cndmask_b32_e32 v2, v2, v14, vcc_lo
	v_cmp_eq_u32_e32 vcc_lo, 4, v72
	v_lshrrev_b32_e32 v15, 16, v7
	v_lshrrev_b32_e32 v16, 16, v8
	v_cndmask_b32_e64 v17, v19, v10, s6
	v_cmp_eq_u32_e64 s4, 4, v71
	v_cndmask_b32_e64 v5, v5, v3, s5
	v_cndmask_b32_e64 v6, v6, v7, s5
	v_cndmask_b32_e32 v9, v9, v3, vcc_lo
	v_cmp_eq_u32_e64 s5, 5, v72
	v_cndmask_b32_e32 v10, v13, v7, vcc_lo
	v_cmp_eq_u32_e32 vcc_lo, 4, v69
	v_cmp_eq_u32_e64 s6, 5, v70
	v_cndmask_b32_e64 v2, v2, v7, s4
	v_cndmask_b32_e64 v9, v9, v11, s5
	;; [unrolled: 1-line block ×3, first 2 shown]
	v_cndmask_b32_e32 v13, v17, v3, vcc_lo
	v_cmp_eq_u32_e64 s5, 5, v69
	v_cndmask_b32_e32 v14, v18, v7, vcc_lo
	v_cndmask_b32_e64 v1, v1, v3, s4
	v_cmp_eq_u32_e32 vcc_lo, 5, v71
	v_lshrrev_b32_e32 v12, 16, v4
	v_cndmask_b32_e64 v13, v13, v11, s5
	v_cndmask_b32_e64 v3, v14, v15, s5
	v_cmp_eq_u32_e64 s5, 6, v71
	v_cndmask_b32_e32 v1, v1, v11, vcc_lo
	v_cndmask_b32_e64 v5, v5, v11, s6
	v_cmp_eq_u32_e64 s7, 6, v70
	v_cndmask_b32_e64 v6, v6, v15, s6
	v_cmp_eq_u32_e64 s6, 6, v72
	v_cmp_eq_u32_e64 s4, 6, v69
	v_cndmask_b32_e64 v1, v1, v4, s5
	v_cndmask_b32_e32 v2, v2, v15, vcc_lo
	v_cmp_eq_u32_e32 vcc_lo, 7, v71
	v_cndmask_b32_e64 v5, v5, v4, s7
	v_cndmask_b32_e64 v9, v9, v4, s6
	;; [unrolled: 1-line block ×3, first 2 shown]
	v_cmp_eq_u32_e64 s7, 7, v70
	v_cndmask_b32_e32 v1, v1, v12, vcc_lo
	v_cndmask_b32_e64 v7, v13, v4, s4
	v_cndmask_b32_e64 v3, v3, v8, s4
	;; [unrolled: 1-line block ×3, first 2 shown]
	v_cmp_eq_u32_e64 s4, 7, v69
	v_cndmask_b32_e64 v4, v10, v8, s6
	v_cndmask_b32_e64 v5, v5, v12, s7
	;; [unrolled: 1-line block ×3, first 2 shown]
	v_cndmask_b32_e32 v2, v2, v16, vcc_lo
	v_cndmask_b32_e64 v7, v7, v12, s4
	v_cndmask_b32_e64 v3, v3, v16, s4
	;; [unrolled: 1-line block ×4, first 2 shown]
	v_cmp_gt_u32_e32 vcc_lo, 32, v0
	v_perm_b32 v4, v2, v1, 0x5040100
	v_perm_b32 v3, v3, v7, 0x5040100
	;; [unrolled: 1-line block ×4, first 2 shown]
	s_and_b32 s2, vcc_lo, s2
	ds_store_b128 v74, v[1:4]
	s_waitcnt lgkmcnt(0)
	s_barrier
	buffer_gl0_inv
	s_and_saveexec_b32 s4, s2
	s_cbranch_execz .LBB1092_2
; %bb.15:
	s_load_b64 s[4:5], s[0:1], 0x68
	v_lshlrev_b32_e32 v0, 10, v0
	v_add_nc_u32_e32 v2, s33, v66
	v_lshlrev_b32_e32 v3, 4, v67
	s_lshl_b32 s0, s36, 6
	s_delay_alu instid0(SALU_CYCLE_1) | instskip(NEXT) | instid1(VALU_DEP_2)
	s_mul_i32 s1, s0, s34
	v_mul_lo_u32 v1, v2, s0
	s_delay_alu instid0(VALU_DEP_2)
	v_and_or_b32 v0, 0x3800, v0, v3
	v_add_nc_u32_e32 v3, 2, v2
	s_mul_i32 s6, s1, s9
	v_add_nc_u32_e32 v4, 4, v2
	s_ashr_i32 s7, s6, 31
	v_lshl_or_b32 v11, v66, 6, v0
	s_lshl_b64 s[6:7], s[6:7], 1
	v_mul_lo_u32 v15, v3, s0
	v_mul_lo_u32 v17, v4, s0
	v_ashrrev_i32_e32 v2, 31, v1
	ds_load_b128 v[3:6], v11
	ds_load_b128 v[7:10], v11 offset:128
	ds_load_b128 v[11:14], v11 offset:256
	s_waitcnt lgkmcnt(0)
	s_add_u32 s1, s4, s6
	s_addc_u32 s2, s5, s7
	s_lshl_b32 s4, s14, 6
	v_ashrrev_i32_e32 v16, 31, v15
	s_ashr_i32 s5, s4, 31
	v_lshlrev_b64 v[19:20], 1, v[1:2]
	s_lshl_b64 s[4:5], s[4:5], 1
	v_ashrrev_i32_e32 v18, 31, v17
	s_add_u32 s1, s1, s4
	s_addc_u32 s2, s2, s5
	v_add_co_u32 v1, s1, s1, v65
	s_delay_alu instid0(VALU_DEP_1) | instskip(SKIP_1) | instid1(VALU_DEP_3)
	v_add_co_ci_u32_e64 v2, null, s2, 0, s1
	v_lshlrev_b64 v[15:16], 1, v[15:16]
	v_add_co_u32 v19, vcc_lo, v1, v19
	v_lshlrev_b64 v[17:18], 1, v[17:18]
	s_delay_alu instid0(VALU_DEP_4) | instskip(NEXT) | instid1(VALU_DEP_4)
	v_add_co_ci_u32_e32 v20, vcc_lo, v2, v20, vcc_lo
	v_add_co_u32 v15, vcc_lo, v1, v15
	v_add_co_ci_u32_e32 v16, vcc_lo, v2, v16, vcc_lo
	s_delay_alu instid0(VALU_DEP_4)
	v_add_co_u32 v17, vcc_lo, v1, v17
	v_add_co_ci_u32_e32 v18, vcc_lo, v2, v18, vcc_lo
	s_clause 0x2
	global_store_b128 v[19:20], v[3:6], off
	global_store_b128 v[15:16], v[7:10], off
	;; [unrolled: 1-line block ×3, first 2 shown]
	s_and_b32 exec_lo, exec_lo, s3
	s_cbranch_execz .LBB1092_2
; %bb.16:
	ds_load_b128 v[3:6], v0 offset:384
	s_add_i32 s1, s33, 6
	s_delay_alu instid0(SALU_CYCLE_1) | instskip(NEXT) | instid1(SALU_CYCLE_1)
	s_mul_i32 s0, s1, s0
	s_ashr_i32 s1, s0, 31
	s_delay_alu instid0(SALU_CYCLE_1) | instskip(NEXT) | instid1(SALU_CYCLE_1)
	s_lshl_b64 s[0:1], s[0:1], 1
	v_add_co_u32 v0, vcc_lo, v1, s0
	v_add_co_ci_u32_e32 v1, vcc_lo, s1, v2, vcc_lo
	s_waitcnt lgkmcnt(0)
	global_store_b128 v[0:1], v[3:6], off
	s_nop 0
	s_sendmsg sendmsg(MSG_DEALLOC_VGPRS)
	s_endpgm
	.section	.rodata,"a",@progbits
	.p2align	6, 0x0
	.amdhsa_kernel _Z39paged_attention_ll4mi_QKV_mfma16_kernelIDF16_hLN4vllm18Fp8KVCacheDataTypeE1EhLi16ELi64ELi256ELb1ELi7EL8MFMAType0EEvPKT_PKT0_S8_ifPKiSA_SA_iPKfiiiPfSD_PS3_PT2_iSC_SC_
		.amdhsa_group_segment_fixed_size 17472
		.amdhsa_private_segment_fixed_size 0
		.amdhsa_kernarg_size 400
		.amdhsa_user_sgpr_count 13
		.amdhsa_user_sgpr_dispatch_ptr 0
		.amdhsa_user_sgpr_queue_ptr 0
		.amdhsa_user_sgpr_kernarg_segment_ptr 1
		.amdhsa_user_sgpr_dispatch_id 0
		.amdhsa_user_sgpr_private_segment_size 0
		.amdhsa_wavefront_size32 1
		.amdhsa_uses_dynamic_stack 0
		.amdhsa_enable_private_segment 0
		.amdhsa_system_sgpr_workgroup_id_x 1
		.amdhsa_system_sgpr_workgroup_id_y 1
		.amdhsa_system_sgpr_workgroup_id_z 1
		.amdhsa_system_sgpr_workgroup_info 0
		.amdhsa_system_vgpr_workitem_id 0
		.amdhsa_next_free_vgpr 146
		.amdhsa_next_free_sgpr 37
		.amdhsa_reserve_vcc 1
		.amdhsa_float_round_mode_32 0
		.amdhsa_float_round_mode_16_64 0
		.amdhsa_float_denorm_mode_32 3
		.amdhsa_float_denorm_mode_16_64 3
		.amdhsa_dx10_clamp 1
		.amdhsa_ieee_mode 1
		.amdhsa_fp16_overflow 0
		.amdhsa_workgroup_processor_mode 1
		.amdhsa_memory_ordered 1
		.amdhsa_forward_progress 0
		.amdhsa_shared_vgpr_count 0
		.amdhsa_exception_fp_ieee_invalid_op 0
		.amdhsa_exception_fp_denorm_src 0
		.amdhsa_exception_fp_ieee_div_zero 0
		.amdhsa_exception_fp_ieee_overflow 0
		.amdhsa_exception_fp_ieee_underflow 0
		.amdhsa_exception_fp_ieee_inexact 0
		.amdhsa_exception_int_div_zero 0
	.end_amdhsa_kernel
	.section	.text._Z39paged_attention_ll4mi_QKV_mfma16_kernelIDF16_hLN4vllm18Fp8KVCacheDataTypeE1EhLi16ELi64ELi256ELb1ELi7EL8MFMAType0EEvPKT_PKT0_S8_ifPKiSA_SA_iPKfiiiPfSD_PS3_PT2_iSC_SC_,"axG",@progbits,_Z39paged_attention_ll4mi_QKV_mfma16_kernelIDF16_hLN4vllm18Fp8KVCacheDataTypeE1EhLi16ELi64ELi256ELb1ELi7EL8MFMAType0EEvPKT_PKT0_S8_ifPKiSA_SA_iPKfiiiPfSD_PS3_PT2_iSC_SC_,comdat
.Lfunc_end1092:
	.size	_Z39paged_attention_ll4mi_QKV_mfma16_kernelIDF16_hLN4vllm18Fp8KVCacheDataTypeE1EhLi16ELi64ELi256ELb1ELi7EL8MFMAType0EEvPKT_PKT0_S8_ifPKiSA_SA_iPKfiiiPfSD_PS3_PT2_iSC_SC_, .Lfunc_end1092-_Z39paged_attention_ll4mi_QKV_mfma16_kernelIDF16_hLN4vllm18Fp8KVCacheDataTypeE1EhLi16ELi64ELi256ELb1ELi7EL8MFMAType0EEvPKT_PKT0_S8_ifPKiSA_SA_iPKfiiiPfSD_PS3_PT2_iSC_SC_
                                        ; -- End function
	.section	.AMDGPU.csdata,"",@progbits
; Kernel info:
; codeLenInByte = 6532
; NumSgprs: 39
; NumVgprs: 146
; ScratchSize: 0
; MemoryBound: 0
; FloatMode: 240
; IeeeMode: 1
; LDSByteSize: 17472 bytes/workgroup (compile time only)
; SGPRBlocks: 4
; VGPRBlocks: 18
; NumSGPRsForWavesPerEU: 39
; NumVGPRsForWavesPerEU: 146
; Occupancy: 9
; WaveLimiterHint : 1
; COMPUTE_PGM_RSRC2:SCRATCH_EN: 0
; COMPUTE_PGM_RSRC2:USER_SGPR: 13
; COMPUTE_PGM_RSRC2:TRAP_HANDLER: 0
; COMPUTE_PGM_RSRC2:TGID_X_EN: 1
; COMPUTE_PGM_RSRC2:TGID_Y_EN: 1
; COMPUTE_PGM_RSRC2:TGID_Z_EN: 1
; COMPUTE_PGM_RSRC2:TIDIG_COMP_CNT: 0
	.section	.text._Z39paged_attention_ll4mi_QKV_mfma16_kernelIDF16_hLN4vllm18Fp8KVCacheDataTypeE1EhLi16ELi64ELi256ELb1ELi8EL8MFMAType0EEvPKT_PKT0_S8_ifPKiSA_SA_iPKfiiiPfSD_PS3_PT2_iSC_SC_,"axG",@progbits,_Z39paged_attention_ll4mi_QKV_mfma16_kernelIDF16_hLN4vllm18Fp8KVCacheDataTypeE1EhLi16ELi64ELi256ELb1ELi8EL8MFMAType0EEvPKT_PKT0_S8_ifPKiSA_SA_iPKfiiiPfSD_PS3_PT2_iSC_SC_,comdat
	.protected	_Z39paged_attention_ll4mi_QKV_mfma16_kernelIDF16_hLN4vllm18Fp8KVCacheDataTypeE1EhLi16ELi64ELi256ELb1ELi8EL8MFMAType0EEvPKT_PKT0_S8_ifPKiSA_SA_iPKfiiiPfSD_PS3_PT2_iSC_SC_ ; -- Begin function _Z39paged_attention_ll4mi_QKV_mfma16_kernelIDF16_hLN4vllm18Fp8KVCacheDataTypeE1EhLi16ELi64ELi256ELb1ELi8EL8MFMAType0EEvPKT_PKT0_S8_ifPKiSA_SA_iPKfiiiPfSD_PS3_PT2_iSC_SC_
	.globl	_Z39paged_attention_ll4mi_QKV_mfma16_kernelIDF16_hLN4vllm18Fp8KVCacheDataTypeE1EhLi16ELi64ELi256ELb1ELi8EL8MFMAType0EEvPKT_PKT0_S8_ifPKiSA_SA_iPKfiiiPfSD_PS3_PT2_iSC_SC_
	.p2align	8
	.type	_Z39paged_attention_ll4mi_QKV_mfma16_kernelIDF16_hLN4vllm18Fp8KVCacheDataTypeE1EhLi16ELi64ELi256ELb1ELi8EL8MFMAType0EEvPKT_PKT0_S8_ifPKiSA_SA_iPKfiiiPfSD_PS3_PT2_iSC_SC_,@function
_Z39paged_attention_ll4mi_QKV_mfma16_kernelIDF16_hLN4vllm18Fp8KVCacheDataTypeE1EhLi16ELi64ELi256ELb1ELi8EL8MFMAType0EEvPKT_PKT0_S8_ifPKiSA_SA_iPKfiiiPfSD_PS3_PT2_iSC_SC_: ; @_Z39paged_attention_ll4mi_QKV_mfma16_kernelIDF16_hLN4vllm18Fp8KVCacheDataTypeE1EhLi16ELi64ELi256ELb1ELi8EL8MFMAType0EEvPKT_PKT0_S8_ifPKiSA_SA_iPKfiiiPfSD_PS3_PT2_iSC_SC_
; %bb.0:
	s_load_b64 s[2:3], s[0:1], 0x30
	s_mov_b32 s34, s13
	s_waitcnt lgkmcnt(0)
	s_cmp_lg_u64 s[2:3], 0
	s_cselect_b32 s8, -1, 0
	s_ashr_i32 s35, s13, 31
	s_cmp_eq_u64 s[2:3], 0
	s_cbranch_scc1 .LBB1093_3
; %bb.1:
	s_lshl_b64 s[4:5], s[34:35], 2
	s_delay_alu instid0(SALU_CYCLE_1) | instskip(SKIP_4) | instid1(SALU_CYCLE_1)
	s_add_u32 s4, s2, s4
	s_addc_u32 s5, s3, s5
	s_load_b64 s[4:5], s[4:5], 0x0
	s_waitcnt lgkmcnt(0)
	s_sub_i32 s4, s5, s4
	s_cmp_eq_u32 s4, 1
	s_cselect_b32 s4, -1, 0
	s_delay_alu instid0(SALU_CYCLE_1)
	s_and_not1_b32 vcc_lo, exec_lo, s4
	s_cbranch_vccz .LBB1093_4
.LBB1093_2:
	s_endpgm
.LBB1093_3:
.LBB1093_4:
	s_load_b64 s[4:5], s[0:1], 0x28
	s_lshl_b64 s[6:7], s[34:35], 2
	s_waitcnt lgkmcnt(0)
	s_add_u32 s4, s4, s6
	s_addc_u32 s5, s5, s7
	s_lshl_b32 s12, s14, 8
	s_load_b32 s24, s[4:5], 0x0
	s_waitcnt lgkmcnt(0)
	s_cmp_ge_i32 s12, s24
	s_cbranch_scc1 .LBB1093_2
; %bb.5:
	s_clause 0x1
	s_load_b128 s[20:23], s[0:1], 0x8
	s_load_b64 s[4:5], s[0:1], 0x20
	s_and_not1_b32 vcc_lo, exec_lo, s8
	s_cbranch_vccnz .LBB1093_7
; %bb.6:
	s_add_u32 s2, s2, s6
	s_addc_u32 s3, s3, s7
	s_load_b32 s3, s[2:3], 0x0
	s_branch .LBB1093_8
.LBB1093_7:
	s_mov_b32 s3, s34
.LBB1093_8:
	s_load_b128 s[16:19], s[0:1], 0x48
	v_and_b32_e32 v69, 15, v0
	v_cmp_gt_u32_e32 vcc_lo, 0x80, v0
	v_lshrrev_b32_e32 v68, 5, v0
	v_and_b32_e32 v70, 31, v0
	v_and_b32_e32 v66, 1, v0
	v_lshlrev_b32_e32 v1, 3, v69
	v_cmp_gt_u32_e64 s2, 8, v69
	v_bfe_u32 v67, v0, 4, 1
	s_lshl_b32 s31, s15, 3
	s_delay_alu instid0(VALU_DEP_3) | instskip(NEXT) | instid1(VALU_DEP_3)
	v_lshlrev_b32_e32 v65, 1, v1
	s_and_b32 s7, vcc_lo, s2
	s_delay_alu instid0(SALU_CYCLE_1)
	s_and_saveexec_b32 s6, s7
	s_cbranch_execz .LBB1093_10
; %bb.9:
	v_lshl_or_b32 v5, v68, 1, v67
	s_load_b64 s[8:9], s[0:1], 0x0
	s_waitcnt lgkmcnt(0)
	s_mul_hi_i32 s11, s3, s16
	s_mul_i32 s10, s3, s16
	v_lshlrev_b32_e32 v6, 10, v69
	v_or_b32_e32 v1, s31, v5
	s_lshl_b64 s[10:11], s[10:11], 1
	v_lshlrev_b32_e32 v5, 6, v5
	v_lshlrev_b32_e32 v7, 10, v66
	v_and_b32_e32 v6, 0x3800, v6
	v_lshlrev_b32_e32 v1, 6, v1
	s_delay_alu instid0(VALU_DEP_2) | instskip(NEXT) | instid1(VALU_DEP_2)
	v_or3_b32 v5, v6, v7, v5
	v_ashrrev_i32_e32 v2, 31, v1
	s_delay_alu instid0(VALU_DEP_1) | instskip(SKIP_2) | instid1(VALU_DEP_1)
	v_lshlrev_b64 v[1:2], 1, v[1:2]
	s_add_u32 s3, s8, s10
	s_addc_u32 s7, s9, s11
	v_add_co_u32 v1, vcc_lo, s3, v1
	s_delay_alu instid0(VALU_DEP_2) | instskip(NEXT) | instid1(VALU_DEP_2)
	v_add_co_ci_u32_e32 v2, vcc_lo, s7, v2, vcc_lo
	v_add_co_u32 v1, vcc_lo, v1, v65
	s_delay_alu instid0(VALU_DEP_2)
	v_add_co_ci_u32_e32 v2, vcc_lo, 0, v2, vcc_lo
	global_load_b128 v[1:4], v[1:2], off
	s_waitcnt vmcnt(0)
	ds_store_b128 v5, v[1:4]
.LBB1093_10:
	s_or_b32 exec_lo, exec_lo, s6
	v_and_b32_e32 v1, 0xef, v0
	s_waitcnt lgkmcnt(0)
	s_add_i32 s3, s24, 15
	s_clause 0x1
	s_load_b32 s6, s[0:1], 0x38
	s_load_b32 s33, s[0:1], 0x98
	s_ashr_i32 s7, s3, 31
	v_add_nc_u32_e32 v1, s12, v1
	s_lshr_b32 s7, s7, 28
	s_load_b32 s19, s[0:1], 0x1c
	s_add_i32 s3, s3, s7
	s_waitcnt lgkmcnt(0)
	v_ashrrev_i32_e32 v2, 31, v1
	v_or_b32_e32 v3, 16, v1
	s_ashr_i32 s3, s3, 4
	v_cmp_gt_i32_e32 vcc_lo, s24, v1
	s_add_i32 s3, s3, -1
	v_lshrrev_b32_e32 v2, 28, v2
	s_barrier
	buffer_gl0_inv
	s_mul_i32 s27, s15, s18
	v_add_nc_u32_e32 v4, v1, v2
	s_mul_i32 s6, s34, s6
	s_delay_alu instid0(SALU_CYCLE_1) | instskip(NEXT) | instid1(VALU_DEP_1)
	s_ashr_i32 s7, s6, 31
	v_ashrrev_i32_e32 v4, 4, v4
	v_add_nc_u32_e32 v2, v3, v2
	s_lshl_b64 s[6:7], s[6:7], 2
	s_delay_alu instid0(SALU_CYCLE_1) | instskip(NEXT) | instid1(VALU_DEP_2)
	s_add_u32 s26, s4, s6
	v_cndmask_b32_e32 v1, s3, v4, vcc_lo
	s_delay_alu instid0(VALU_DEP_2)
	v_ashrrev_i32_e32 v2, 4, v2
	v_cmp_gt_i32_e32 vcc_lo, s24, v3
	s_addc_u32 s25, s5, s7
	s_ashr_i32 s28, s27, 31
	s_add_u32 s13, s20, s27
	s_addc_u32 s15, s21, s28
	v_cndmask_b32_e32 v3, s3, v2, vcc_lo
	v_ashrrev_i32_e32 v2, 31, v1
	s_lshl_b32 s4, s14, 4
	s_delay_alu instid0(SALU_CYCLE_1) | instskip(NEXT) | instid1(VALU_DEP_2)
	s_ashr_i32 s5, s4, 31
	v_ashrrev_i32_e32 v4, 31, v3
	s_delay_alu instid0(VALU_DEP_2) | instskip(SKIP_1) | instid1(SALU_CYCLE_1)
	v_lshlrev_b64 v[1:2], 2, v[1:2]
	s_lshl_b64 s[4:5], s[4:5], 2
	s_add_u32 s4, s26, s4
	s_delay_alu instid0(VALU_DEP_2) | instskip(SKIP_1) | instid1(VALU_DEP_2)
	v_lshlrev_b64 v[3:4], 2, v[3:4]
	s_addc_u32 s5, s25, s5
	v_add_co_u32 v1, vcc_lo, s26, v1
	v_add_co_ci_u32_e32 v2, vcc_lo, s25, v2, vcc_lo
	s_delay_alu instid0(VALU_DEP_3) | instskip(NEXT) | instid1(VALU_DEP_4)
	v_add_co_u32 v3, vcc_lo, s26, v3
	v_add_co_ci_u32_e32 v4, vcc_lo, s25, v4, vcc_lo
	s_clause 0x1
	global_load_b32 v5, v[1:2], off
	global_load_b32 v7, v[3:4], off
	s_or_b32 s6, s12, 32
	v_lshlrev_b32_e32 v1, 4, v0
	s_ashr_i32 s7, s6, 4
	s_cmp_lt_i32 s6, s24
	s_cselect_b32 s6, s7, s3
	s_delay_alu instid0(VALU_DEP_1) | instskip(SKIP_1) | instid1(SALU_CYCLE_1)
	v_and_b32_e32 v1, 0xf0, v1
	s_ashr_i32 s7, s6, 31
	s_lshl_b64 s[6:7], s[6:7], 2
	s_delay_alu instid0(SALU_CYCLE_1)
	s_add_u32 s6, s26, s6
	s_addc_u32 s7, s25, s7
	s_or_b32 s8, s12, 64
	v_add_co_u32 v1, s13, s13, v1
	s_ashr_i32 s9, s8, 4
	s_cmp_lt_i32 s8, s24
	v_add_co_ci_u32_e64 v2, null, s15, 0, s13
	s_cselect_b32 s8, s9, s3
	s_delay_alu instid0(SALU_CYCLE_1) | instskip(NEXT) | instid1(SALU_CYCLE_1)
	s_ashr_i32 s9, s8, 31
	s_lshl_b64 s[8:9], s[8:9], 2
	s_delay_alu instid0(SALU_CYCLE_1) | instskip(SKIP_2) | instid1(SALU_CYCLE_1)
	s_add_u32 s8, s26, s8
	s_addc_u32 s9, s25, s9
	s_or_b32 s10, s12, 0x60
	s_ashr_i32 s11, s10, 4
	s_cmp_lt_i32 s10, s24
	s_cselect_b32 s10, s11, s3
	s_delay_alu instid0(SALU_CYCLE_1) | instskip(NEXT) | instid1(SALU_CYCLE_1)
	s_ashr_i32 s11, s10, 31
	s_lshl_b64 s[10:11], s[10:11], 2
	s_delay_alu instid0(SALU_CYCLE_1) | instskip(SKIP_2) | instid1(SALU_CYCLE_1)
	s_add_u32 s10, s26, s10
	s_addc_u32 s11, s25, s11
	s_or_b32 s16, s12, 0x80
	s_ashr_i32 s18, s16, 4
	s_cmp_lt_i32 s16, s24
	;; [unrolled: 10-line block ×3, first 2 shown]
	s_cselect_b32 s20, s18, s3
	s_delay_alu instid0(SALU_CYCLE_1) | instskip(NEXT) | instid1(SALU_CYCLE_1)
	s_ashr_i32 s21, s20, 31
	s_lshl_b64 s[20:21], s[20:21], 2
	s_delay_alu instid0(SALU_CYCLE_1)
	s_add_u32 s38, s26, s20
	s_addc_u32 s39, s25, s21
	s_clause 0x5
	s_load_b32 s21, s[4:5], 0x0
	s_load_b32 s13, s[6:7], 0x0
	;; [unrolled: 1-line block ×6, first 2 shown]
	s_or_b32 s7, s12, 0xc0
	s_mov_b32 s4, 0
	s_ashr_i32 s8, s7, 4
	s_cmp_lt_i32 s7, s24
	s_mov_b32 s5, s4
	s_cselect_b32 s10, s8, s3
	s_mov_b32 s6, s4
	s_ashr_i32 s11, s10, 31
	s_mov_b32 s7, s4
	s_lshl_b64 s[36:37], s[10:11], 2
	s_mov_b32 s11, s4
	s_add_u32 s36, s26, s36
	s_addc_u32 s37, s25, s37
	s_or_b32 s29, s12, 0xe0
	s_mov_b32 s8, s4
	s_ashr_i32 s30, s29, 4
	s_mov_b32 s9, s4
	s_mov_b32 s10, s4
	s_cmp_lt_i32 s29, s24
	v_mov_b32_e32 v102, s11
	v_dual_mov_b32 v96, s5 :: v_dual_mov_b32 v101, s10
	v_dual_mov_b32 v100, s9 :: v_dual_mov_b32 v99, s8
	;; [unrolled: 1-line block ×3, first 2 shown]
	v_mov_b32_e32 v95, s4
	s_cselect_b32 s4, s30, s3
	s_delay_alu instid0(SALU_CYCLE_1) | instskip(NEXT) | instid1(SALU_CYCLE_1)
	s_ashr_i32 s5, s4, 31
	s_lshl_b64 s[4:5], s[4:5], 2
	s_delay_alu instid0(SALU_CYCLE_1)
	s_add_u32 s4, s26, s4
	s_addc_u32 s5, s25, s5
	s_add_u32 s6, s22, s27
	s_addc_u32 s7, s23, s28
	s_waitcnt vmcnt(1)
	v_mad_i64_i32 v[3:4], null, v5, s17, v[1:2]
	s_waitcnt vmcnt(0)
	v_mad_i64_i32 v[5:6], null, v7, s17, v[1:2]
	v_and_b32_e32 v1, 7, v0
	v_lshlrev_b32_e32 v2, 4, v69
	s_clause 0x7
	global_load_b128 v[57:60], v[3:4], off
	global_load_b128 v[61:64], v[3:4], off offset:256
	global_load_b128 v[71:74], v[5:6], off
	global_load_b128 v[75:78], v[5:6], off offset:256
	global_load_b128 v[79:82], v[3:4], off offset:512
	;; [unrolled: 1-line block ×5, first 2 shown]
	v_lshlrev_b32_e32 v121, 6, v1
	v_lshl_or_b32 v1, v68, 8, v2
	s_load_b32 s3, s[36:37], 0x0
	ds_load_b128 v[103:106], v121
	ds_load_b128 v[107:110], v121 offset:1024
	s_load_b32 s4, s[4:5], 0x0
	v_add_co_u32 v17, s6, s6, v1
	s_delay_alu instid0(VALU_DEP_1) | instskip(SKIP_1) | instid1(VALU_DEP_1)
	v_add_co_ci_u32_e64 v18, null, s7, 0, s6
	s_waitcnt lgkmcnt(0)
	v_mad_i64_i32 v[1:2], null, s21, s17, v[17:18]
	v_mad_i64_i32 v[3:4], null, s13, s17, v[17:18]
	;; [unrolled: 1-line block ×7, first 2 shown]
	s_clause 0x9
	global_load_b128 v[49:52], v[1:2], off
	global_load_b128 v[53:56], v[1:2], off offset:16
	global_load_b128 v[41:44], v[3:4], off
	global_load_b128 v[45:48], v[3:4], off offset:16
	;; [unrolled: 2-line block ×5, first 2 shown]
	v_mad_i64_i32 v[119:120], null, s4, s17, v[17:18]
	s_clause 0x3
	global_load_b128 v[17:20], v[21:22], off
	global_load_b128 v[21:24], v[21:22], off offset:16
	global_load_b128 v[25:28], v[29:30], off
	global_load_b128 v[29:32], v[29:30], off offset:16
	s_waitcnt vmcnt(20)
	v_wmma_f32_16x16x16_f16 v[111:118], v[57:64], v[103:110], v[95:102]
	s_clause 0x1
	global_load_b128 v[57:60], v[119:120], off
	global_load_b128 v[61:64], v[119:120], off offset:16
	s_waitcnt vmcnt(20)
	v_wmma_f32_16x16x16_f16 v[95:102], v[71:78], v[103:110], v[95:102]
	ds_load_b128 v[71:74], v121 offset:2048
	ds_load_b128 v[75:78], v121 offset:3072
	v_mbcnt_lo_u32_b32 v104, -1, 0
	s_waitcnt vmcnt(0) lgkmcnt(0)
	s_barrier
	buffer_gl0_inv
	v_xor_b32_e32 v105, 16, v104
	s_delay_alu instid0(VALU_DEP_1) | instskip(SKIP_4) | instid1(VALU_DEP_2)
	v_cmp_gt_i32_e32 vcc_lo, 32, v105
	v_cndmask_b32_e32 v104, v104, v105, vcc_lo
	v_wmma_f32_16x16x16_f16 v[95:102], v[87:94], v[71:78], v[95:102]
	v_and_b32_e32 v103, 0xe0, v0
	v_wmma_f32_16x16x16_f16 v[111:118], v[79:86], v[71:78], v[111:118]
	v_dual_mul_f32 v90, s19, v101 :: v_dual_add_nc_u32 v103, s12, v103
	s_delay_alu instid0(VALU_DEP_2) | instskip(NEXT) | instid1(VALU_DEP_3)
	v_dual_mul_f32 v94, s19, v97 :: v_dual_mul_f32 v87, s19, v112
	v_dual_mul_f32 v88, s19, v111 :: v_dual_mul_f32 v77, s19, v114
	s_delay_alu instid0(VALU_DEP_3) | instskip(SKIP_3) | instid1(VALU_DEP_4)
	v_or_b32_e32 v103, v103, v67
	v_dual_mul_f32 v78, s19, v113 :: v_dual_mul_f32 v75, s19, v116
	v_dual_mul_f32 v76, s19, v115 :: v_dual_mul_f32 v73, s19, v118
	v_mul_f32_e32 v92, s19, v99
	v_or_b32_e32 v105, 2, v103
	v_or_b32_e32 v106, 4, v103
	;; [unrolled: 1-line block ×3, first 2 shown]
	v_cmp_gt_i32_e64 s3, s24, v103
	v_or_b32_e32 v108, 8, v103
	v_cmp_gt_i32_e32 vcc_lo, s24, v105
	v_or_b32_e32 v109, 10, v103
	v_cmp_gt_i32_e64 s4, s24, v106
	v_cndmask_b32_e64 v88, 0xff7fffff, v88, s3
	v_cmp_gt_i32_e64 s5, s24, v107
	v_cndmask_b32_e32 v87, 0xff7fffff, v87, vcc_lo
	v_or_b32_e32 v79, 12, v103
	v_or_b32_e32 v80, 14, v103
	v_cndmask_b32_e64 v78, 0xff7fffff, v78, s4
	v_cndmask_b32_e64 v77, 0xff7fffff, v77, s5
	v_max3_f32 v87, v88, 0xff7fffff, v87
	v_cmp_gt_i32_e64 s6, s24, v108
	v_cmp_gt_i32_e64 s7, s24, v109
	v_or_b32_e32 v81, 16, v103
	v_or_b32_e32 v82, 18, v103
	v_mul_f32_e32 v74, s19, v117
	v_cndmask_b32_e64 v76, 0xff7fffff, v76, s6
	v_cndmask_b32_e64 v75, 0xff7fffff, v75, s7
	v_max3_f32 v77, v87, v78, v77
	v_cmp_gt_i32_e64 s8, s24, v79
	v_cmp_gt_i32_e64 s9, s24, v80
	v_or_b32_e32 v83, 20, v103
	v_or_b32_e32 v84, 22, v103
	;; [unrolled: 1-line block ×6, first 2 shown]
	v_mul_f32_e32 v105, s19, v96
	v_mul_f32_e32 v103, s19, v95
	v_cndmask_b32_e64 v74, 0xff7fffff, v74, s8
	v_cndmask_b32_e64 v73, 0xff7fffff, v73, s9
	v_max3_f32 v75, v77, v76, v75
	v_cmp_gt_i32_e64 s10, s24, v81
	v_cmp_gt_i32_e64 s11, s24, v82
	v_mul_f32_e32 v93, s19, v98
	v_cmp_gt_i32_e64 s12, s24, v83
	v_max3_f32 v73, v75, v74, v73
	v_cndmask_b32_e64 v76, 0xff7fffff, v103, s10
	v_cndmask_b32_e64 v77, 0xff7fffff, v105, s11
	v_cmp_gt_i32_e64 s13, s24, v84
	v_mul_f32_e32 v91, s19, v100
	v_cndmask_b32_e64 v74, 0xff7fffff, v94, s12
	v_cmp_gt_i32_e64 s15, s24, v85
	v_max3_f32 v73, v73, v76, v77
	v_cndmask_b32_e64 v75, 0xff7fffff, v93, s13
	v_cmp_gt_i32_e64 s16, s24, v86
	v_mul_f32_e32 v89, s19, v102
	v_cndmask_b32_e64 v76, 0xff7fffff, v92, s15
	v_cmp_gt_i32_e64 s17, s24, v71
	v_max3_f32 v73, v73, v74, v75
	v_cndmask_b32_e64 v77, 0xff7fffff, v91, s16
	v_cmp_gt_i32_e64 s18, s24, v72
	v_lshlrev_b32_e32 v74, 2, v104
	v_cndmask_b32_e64 v71, 0xff7fffff, v90, s17
	s_delay_alu instid0(VALU_DEP_4) | instskip(NEXT) | instid1(VALU_DEP_4)
	v_max3_f32 v73, v73, v76, v77
	v_cndmask_b32_e64 v72, 0xff7fffff, v89, s18
	s_delay_alu instid0(VALU_DEP_1) | instskip(SKIP_3) | instid1(VALU_DEP_1)
	v_max3_f32 v71, v73, v71, v72
	ds_bpermute_b32 v72, v74, v71
	s_waitcnt lgkmcnt(0)
	v_max_f32_e32 v72, v72, v72
	v_max_f32_e32 v71, v71, v72
	s_delay_alu instid0(VALU_DEP_1)
	v_fma_f32 v72, s19, v111, -v71
	v_fma_f32 v76, s19, v114, -v71
	;; [unrolled: 1-line block ×5, first 2 shown]
	v_mul_f32_e32 v72, 0x3fb8aa3b, v72
	v_mul_f32_e32 v76, 0x3fb8aa3b, v76
	v_fma_f32 v75, s19, v113, -v71
	v_mul_f32_e32 v79, 0x3fb8aa3b, v77
	v_mul_f32_e32 v87, 0x3fb8aa3b, v86
	v_exp_f32_e32 v72, v72
	v_exp_f32_e32 v76, v76
	v_fma_f32 v81, s19, v117, -v71
	v_exp_f32_e32 v82, v79
	v_exp_f32_e32 v87, v87
	v_fma_f32 v84, s19, v96, -v71
	s_delay_alu instid0(VALU_DEP_2) | instskip(SKIP_3) | instid1(TRANS32_DEP_3)
	v_mul_f32_e32 v81, 0x3fb8aa3b, v81
	v_cndmask_b32_e64 v78, 0, v72, s3
	v_fma_f32 v72, s19, v116, -v71
	v_mul_f32_e32 v73, 0x3fb8aa3b, v73
	v_cndmask_b32_e64 v79, 0, v76, s5
	v_fma_f32 v76, s19, v95, -v71
	s_delay_alu instid0(VALU_DEP_4) | instskip(NEXT) | instid1(VALU_DEP_4)
	v_dual_mul_f32 v75, 0x3fb8aa3b, v75 :: v_dual_mul_f32 v72, 0x3fb8aa3b, v72
	v_exp_f32_e32 v73, v73
	v_cndmask_b32_e64 v87, 0, v87, s13
	s_delay_alu instid0(VALU_DEP_3) | instskip(NEXT) | instid1(VALU_DEP_3)
	v_mul_f32_e32 v76, 0x3fb8aa3b, v76
	v_exp_f32_e32 v75, v75
	v_exp_f32_e32 v72, v72
	;; [unrolled: 1-line block ×3, first 2 shown]
	v_cndmask_b32_e64 v82, 0, v82, s6
	v_mul_f32_e32 v85, 0x3fb8aa3b, v84
	v_exp_f32_e32 v76, v76
	s_mov_b32 s3, exec_lo
	v_cndmask_b32_e32 v77, 0, v73, vcc_lo
	v_add_f32_e32 v73, 0, v78
	v_exp_f32_e32 v85, v85
	v_cndmask_b32_e64 v80, 0, v75, s4
	v_fma_f32 v75, s19, v118, -v71
	v_cndmask_b32_e64 v81, 0, v72, s7
	v_add_f32_e32 v73, v73, v77
	v_cndmask_b32_e64 v84, 0, v83, s8
	v_cndmask_b32_e64 v86, 0, v76, s10
	v_mul_f32_e32 v75, 0x3fb8aa3b, v75
	s_delay_alu instid0(VALU_DEP_4) | instskip(NEXT) | instid1(TRANS32_DEP_1)
	v_add_f32_e32 v73, v73, v80
	v_cndmask_b32_e64 v85, 0, v85, s11
	s_delay_alu instid0(VALU_DEP_3) | instskip(NEXT) | instid1(VALU_DEP_2)
	v_exp_f32_e32 v75, v75
	v_add_f32_e32 v73, v73, v79
	s_delay_alu instid0(VALU_DEP_1) | instskip(SKIP_3) | instid1(VALU_DEP_1)
	v_add_f32_e32 v72, v73, v82
	s_waitcnt_depctr 0xfff
	v_cndmask_b32_e64 v83, 0, v75, s9
	v_add_f32_e32 v72, v72, v81
	v_add_f32_e32 v72, v72, v84
	s_delay_alu instid0(VALU_DEP_1) | instskip(NEXT) | instid1(VALU_DEP_1)
	v_add_f32_e32 v72, v72, v83
	v_add_f32_e32 v72, v72, v86
	s_delay_alu instid0(VALU_DEP_1) | instskip(SKIP_4) | instid1(VALU_DEP_4)
	v_add_f32_e32 v72, v72, v85
	v_fma_f32 v73, s19, v97, -v71
	v_fma_f32 v75, s19, v99, -v71
	;; [unrolled: 1-line block ×4, first 2 shown]
	v_mul_f32_e32 v73, 0x3fb8aa3b, v73
	s_delay_alu instid0(VALU_DEP_3) | instskip(NEXT) | instid1(VALU_DEP_2)
	v_dual_mul_f32 v75, 0x3fb8aa3b, v75 :: v_dual_mul_f32 v76, 0x3fb8aa3b, v76
	v_exp_f32_e32 v73, v73
	s_delay_alu instid0(VALU_DEP_1) | instskip(NEXT) | instid1(VALU_DEP_1)
	v_exp_f32_e32 v75, v75
	v_exp_f32_e32 v76, v76
	s_delay_alu instid0(TRANS32_DEP_3)
	v_cndmask_b32_e64 v88, 0, v73, s12
	v_mul_f32_e32 v73, 0x3fb8aa3b, v89
	v_fma_f32 v89, s19, v102, -v71
	s_waitcnt_depctr 0xfff
	v_cndmask_b32_e64 v90, 0, v75, s15
	v_add_f32_e32 v72, v72, v88
	v_exp_f32_e32 v73, v73
	v_mul_f32_e32 v75, 0x3fb8aa3b, v89
	v_cndmask_b32_e64 v89, 0, v76, s16
	s_delay_alu instid0(VALU_DEP_3) | instskip(NEXT) | instid1(VALU_DEP_3)
	v_add_f32_e32 v72, v72, v87
	v_exp_f32_e32 v75, v75
	s_delay_alu instid0(VALU_DEP_1) | instskip(SKIP_4) | instid1(VALU_DEP_2)
	v_add_f32_e32 v72, v72, v90
	s_waitcnt_depctr 0xfff
	v_cndmask_b32_e64 v92, 0, v73, s17
	v_add_f32_e32 v72, v72, v89
	v_cndmask_b32_e64 v91, 0, v75, s18
	v_add_f32_e32 v72, v72, v92
	s_delay_alu instid0(VALU_DEP_1)
	v_add_f32_e32 v72, v72, v91
	ds_bpermute_b32 v73, v74, v72
	v_cmpx_gt_u32_e32 16, v70
	s_cbranch_execz .LBB1093_12
; %bb.11:
	v_mul_u32_u24_e32 v70, 0x44, v68
	s_waitcnt lgkmcnt(0)
	v_add_f32_e32 v72, v72, v73
	s_delay_alu instid0(VALU_DEP_2) | instskip(NEXT) | instid1(VALU_DEP_1)
	v_lshl_add_u32 v70, v69, 2, v70
	v_add_nc_u32_e32 v70, 0x4000, v70
	ds_store_2addr_b32 v70, v71, v72 offset1:136
.LBB1093_12:
	s_or_b32 exec_lo, exec_lo, s3
	v_lshlrev_b32_e32 v70, 2, v69
	s_load_b32 s35, s[0:1], 0x94
	s_waitcnt lgkmcnt(0)
	s_barrier
	buffer_gl0_inv
	v_add_nc_u32_e32 v74, 0x4000, v70
	v_cmp_eq_u32_e32 vcc_lo, 1, v68
	v_cmp_eq_u32_e64 s3, 2, v68
	v_cmp_eq_u32_e64 s4, 3, v68
	;; [unrolled: 1-line block ×3, first 2 shown]
	ds_load_2addr_b32 v[70:71], v74 offset1:17
	ds_load_2addr_b32 v[72:73], v74 offset0:34 offset1:51
	ds_load_2addr_b32 v[93:94], v74 offset0:68 offset1:85
	;; [unrolled: 1-line block ×3, first 2 shown]
	v_cmp_eq_u32_e64 s6, 5, v68
	v_cmp_eq_u32_e64 s7, 7, v68
	s_waitcnt lgkmcnt(3)
	v_max3_f32 v75, v70, 0xff7fffff, v71
	s_waitcnt lgkmcnt(2)
	s_delay_alu instid0(VALU_DEP_1) | instskip(SKIP_1) | instid1(VALU_DEP_1)
	v_max3_f32 v75, v75, v72, v73
	s_waitcnt lgkmcnt(1)
	v_max3_f32 v75, v75, v93, v94
	s_waitcnt lgkmcnt(0)
	s_delay_alu instid0(VALU_DEP_1) | instskip(NEXT) | instid1(VALU_DEP_1)
	v_max3_f32 v75, v75, v95, v96
	v_sub_f32_e32 v93, v93, v75
	ds_load_2addr_b32 v[97:98], v74 offset0:136 offset1:153
	v_sub_f32_e32 v70, v70, v75
	v_dual_sub_f32 v100, v73, v75 :: v_dual_mul_f32 v103, 0x3fb8aa3b, v93
	s_delay_alu instid0(VALU_DEP_2) | instskip(SKIP_3) | instid1(VALU_DEP_1)
	v_dual_sub_f32 v76, v71, v75 :: v_dual_mul_f32 v99, 0x3fb8aa3b, v70
	ds_load_2addr_b32 v[70:71], v74 offset0:170 offset1:187
	v_mul_f32_e32 v76, 0x3fb8aa3b, v76
	v_exp_f32_e32 v99, v99
	v_exp_f32_e32 v102, v76
	v_mul_f32_e32 v100, 0x3fb8aa3b, v100
	s_waitcnt lgkmcnt(1)
	s_waitcnt_depctr 0xfff
	v_fma_f32 v76, v99, v97, 0
	v_sub_f32_e32 v97, v94, v75
	v_sub_f32_e32 v72, v72, v75
	v_exp_f32_e32 v100, v100
	ds_load_2addr_b32 v[93:94], v74 offset0:238 offset1:255
	v_dual_fmac_f32 v76, v102, v98 :: v_dual_mul_f32 v101, 0x3fb8aa3b, v72
	ds_load_2addr_b32 v[72:73], v74 offset0:204 offset1:221
	v_dual_sub_f32 v74, v95, v75 :: v_dual_mul_f32 v95, 0x3fb8aa3b, v97
	v_exp_f32_e32 v97, v103
	v_exp_f32_e32 v101, v101
	s_waitcnt lgkmcnt(0)
	s_delay_alu instid0(VALU_DEP_1)
	v_mul_f32_e32 v74, 0x3fb8aa3b, v74
	v_exp_f32_e32 v95, v95
	s_barrier
	buffer_gl0_inv
	v_fmac_f32_e32 v76, v101, v70
	v_sub_f32_e32 v70, v96, v75
	v_exp_f32_e32 v96, v74
	s_delay_alu instid0(VALU_DEP_2) | instskip(NEXT) | instid1(VALU_DEP_2)
	v_fmac_f32_e32 v76, v100, v71
	v_mul_f32_e32 v70, 0x3fb8aa3b, v70
	s_delay_alu instid0(VALU_DEP_2) | instskip(NEXT) | instid1(VALU_DEP_2)
	v_dual_cndmask_b32 v71, v99, v102 :: v_dual_fmac_f32 v76, v97, v72
	v_exp_f32_e32 v98, v70
	v_lshlrev_b32_e32 v72, 6, v69
	s_delay_alu instid0(VALU_DEP_2) | instskip(NEXT) | instid1(VALU_DEP_2)
	v_dual_fmac_f32 v76, v95, v73 :: v_dual_lshlrev_b32 v69, 2, v67
	v_lshl_or_b32 v74, v68, 11, v72
	s_delay_alu instid0(VALU_DEP_2)
	v_cmp_eq_u32_e64 s8, 7, v69
	s_delay_alu instid0(TRANS32_DEP_2) | instid1(VALU_DEP_3)
	v_fmac_f32_e32 v76, v96, v93
	s_waitcnt_depctr 0xfff
	v_fmac_f32_e32 v76, v98, v94
	s_delay_alu instid0(VALU_DEP_1) | instskip(NEXT) | instid1(VALU_DEP_1)
	v_add_f32_e32 v73, 0x358637bd, v76
	v_div_scale_f32 v93, null, v73, v73, 1.0
	v_div_scale_f32 v99, vcc_lo, 1.0, v73, 1.0
	s_delay_alu instid0(VALU_DEP_2) | instskip(SKIP_2) | instid1(VALU_DEP_1)
	v_rcp_f32_e32 v94, v93
	s_waitcnt_depctr 0xfff
	v_fma_f32 v70, -v93, v94, 1.0
	v_fmac_f32_e32 v94, v70, v94
	v_cndmask_b32_e64 v70, v71, v101, s3
	v_cmp_eq_u32_e64 s3, 6, v68
	v_or_b32_e32 v71, 1, v69
	v_or_b32_e32 v68, 2, v69
	v_mul_f32_e32 v101, v99, v94
	v_cndmask_b32_e64 v70, v70, v100, s4
	v_cmp_eq_u32_e64 s4, 1, v69
	v_cmp_eq_u32_e64 s9, 1, v71
	;; [unrolled: 1-line block ×3, first 2 shown]
	v_fma_f32 v100, -v93, v101, v99
	v_cndmask_b32_e64 v70, v70, v97, s5
	v_cmp_eq_u32_e64 s5, 2, v69
	v_cmp_eq_u32_e64 s12, 2, v71
	;; [unrolled: 1-line block ×3, first 2 shown]
	v_fmac_f32_e32 v101, v100, v94
	v_cndmask_b32_e64 v95, v70, v95, s6
	v_or_b32_e32 v70, 3, v69
	v_cmp_eq_u32_e64 s13, 3, v71
	v_cmp_eq_u32_e64 s17, 3, v68
	v_fma_f32 v93, -v93, v101, v99
	v_cndmask_b32_e64 v95, v95, v96, s3
	v_cmp_eq_u32_e64 s11, 1, v70
	v_cmp_eq_u32_e64 s16, 2, v70
	;; [unrolled: 1-line block ×3, first 2 shown]
	v_div_fmas_f32 v93, v93, v94, v101
	v_cndmask_b32_e64 v94, v95, v98, s7
	v_cmp_eq_u32_e32 vcc_lo, 3, v69
	v_cmp_eq_u32_e64 s3, 4, v69
	v_cmp_eq_u32_e64 s19, 4, v71
	v_div_fixup_f32 v93, v93, v73, 1.0
	v_lshl_or_b32 v73, v67, 4, v74
	v_cmp_eq_u32_e64 s22, 4, v70
	v_cmp_eq_u32_e64 s6, 5, v69
	;; [unrolled: 1-line block ×3, first 2 shown]
	v_mul_f32_e32 v101, v94, v93
	v_cmp_eq_u32_e64 s21, 4, v68
	v_cmp_eq_u32_e64 s24, 5, v70
	;; [unrolled: 1-line block ×4, first 2 shown]
	v_fma_mixlo_f16 v93, v101, v78, 0
	v_fma_mixlo_f16 v94, v101, v80, 0
	;; [unrolled: 1-line block ×8, first 2 shown]
	v_fma_mixhi_f16 v93, v101, v77, 0
	v_fma_mixhi_f16 v94, v101, v79, 0
	;; [unrolled: 1-line block ×8, first 2 shown]
	ds_store_b128 v73, v[93:96]
	ds_store_b128 v73, v[97:100] offset:1024
	s_waitcnt lgkmcnt(0)
	s_barrier
	buffer_gl0_inv
	ds_load_b128 v[77:80], v74
	ds_load_b128 v[81:84], v74 offset:16
	ds_load_b128 v[85:88], v74 offset:1024
	;; [unrolled: 1-line block ×3, first 2 shown]
	v_cmp_eq_u32_e64 s27, 6, v70
	v_cmp_eq_u32_e64 s7, 6, v69
	;; [unrolled: 1-line block ×6, first 2 shown]
	s_waitcnt lgkmcnt(3)
	v_lshrrev_b32_e32 v93, 16, v77
	s_waitcnt lgkmcnt(2)
	v_lshrrev_b32_e32 v97, 16, v81
	;; [unrolled: 2-line block ×4, first 2 shown]
	v_lshrrev_b32_e32 v94, 16, v78
	v_cndmask_b32_e64 v109, v77, v93, s4
	v_cndmask_b32_e64 v110, v81, v97, s4
	v_cndmask_b32_e64 v111, v77, v93, s9
	v_cndmask_b32_e64 v112, v81, v97, s9
	v_cndmask_b32_e64 v113, v77, v93, s10
	v_cndmask_b32_e64 v114, v81, v97, s10
	v_cndmask_b32_e64 v77, v77, v93, s11
	v_cndmask_b32_e64 v81, v81, v97, s11
	v_lshrrev_b32_e32 v98, 16, v82
	v_cndmask_b32_e64 v93, v85, v101, s4
	v_cndmask_b32_e64 v97, v89, v105, s4
	;; [unrolled: 1-line block ×15, first 2 shown]
	v_lshrrev_b32_e32 v102, 16, v86
	v_lshrrev_b32_e32 v106, 16, v90
	v_cndmask_b32_e64 v112, v114, v82, s15
	v_cndmask_b32_e64 v81, v93, v86, s5
	;; [unrolled: 1-line block ×7, first 2 shown]
	v_cndmask_b32_e32 v89, v101, v94, vcc_lo
	v_cndmask_b32_e32 v101, v105, v98, vcc_lo
	v_cndmask_b32_e64 v105, v109, v94, s13
	v_cndmask_b32_e64 v109, v110, v98, s13
	;; [unrolled: 1-line block ×4, first 2 shown]
	v_lshrrev_b32_e32 v95, 16, v79
	v_lshrrev_b32_e32 v99, 16, v83
	v_cndmask_b32_e64 v110, v111, v94, s17
	v_cndmask_b32_e64 v111, v112, v98, s17
	v_cndmask_b32_e32 v81, v81, v102, vcc_lo
	v_cndmask_b32_e32 v82, v82, v106, vcc_lo
	v_cndmask_b32_e64 v93, v93, v102, s13
	v_cndmask_b32_e64 v89, v89, v79, s3
	;; [unrolled: 1-line block ×7, first 2 shown]
	v_lshrrev_b32_e32 v103, 16, v87
	v_cndmask_b32_e64 v105, v110, v79, s21
	v_cndmask_b32_e64 v109, v111, v83, s21
	v_cndmask_b32_e64 v79, v81, v87, s3
	v_cndmask_b32_e64 v81, v82, v91, s3
	v_cndmask_b32_e64 v82, v93, v87, s19
	v_cndmask_b32_e64 v83, v89, v95, s6
	v_cndmask_b32_e64 v89, v94, v99, s6
	v_cndmask_b32_e64 v93, v98, v95, s20
	v_cndmask_b32_e64 v94, v101, v99, s20
	v_cndmask_b32_e64 v77, v77, v95, s24
	v_cndmask_b32_e64 v78, v78, v99, s24
	v_lshrrev_b32_e32 v96, 16, v80
	v_lshrrev_b32_e32 v100, 16, v84
	v_cndmask_b32_e64 v98, v105, v95, s23
	v_cndmask_b32_e64 v101, v109, v99, s23
	;; [unrolled: 1-line block ×7, first 2 shown]
	v_lshrrev_b32_e32 v104, 16, v88
	v_cndmask_b32_e64 v79, v79, v103, s6
	v_cndmask_b32_e64 v83, v83, v80, s7
	;; [unrolled: 1-line block ×16, first 2 shown]
	v_perm_b32 v80, v78, v77, 0x5040100
	v_perm_b32 v78, v94, v84, 0x5040100
	v_cndmask_b32_e64 v77, v118, v90, s15
	v_cndmask_b32_e64 v84, v116, v90, s12
	;; [unrolled: 1-line block ×3, first 2 shown]
	v_perm_b32 v79, v93, v89, 0x5040100
	v_cndmask_b32_e64 v89, v97, v102, s17
	v_cndmask_b32_e64 v85, v85, v102, s18
	;; [unrolled: 1-line block ×5, first 2 shown]
	v_lshrrev_b32_e32 v107, 16, v91
	v_cndmask_b32_e64 v89, v89, v87, s21
	v_cndmask_b32_e64 v85, v85, v87, s22
	v_cndmask_b32_e64 v86, v86, v91, s22
	v_cndmask_b32_e64 v77, v77, v91, s21
	v_cndmask_b32_e64 v84, v84, v91, s19
	v_cndmask_b32_e64 v81, v81, v107, s6
	v_cndmask_b32_e64 v87, v89, v103, s23
	v_cndmask_b32_e64 v85, v85, v103, s24
	v_cndmask_b32_e64 v86, v86, v107, s24
	v_cndmask_b32_e64 v77, v77, v107, s23
	v_cndmask_b32_e64 v84, v84, v107, s20
	v_lshrrev_b32_e32 v108, 16, v92
	v_cndmask_b32_e64 v81, v81, v92, s7
	v_cndmask_b32_e64 v87, v87, v88, s26
	;; [unrolled: 1-line block ×12, first 2 shown]
	v_perm_b32 v77, v83, v82, 0x5040100
	v_perm_b32 v84, v86, v85, 0x5040100
	;; [unrolled: 1-line block ×5, first 2 shown]
	s_lshl_b32 s8, s33, 3
	s_mov_b32 s3, exec_lo
	ds_store_b128 v73, v[77:80]
	ds_store_b128 v73, v[81:84] offset:1024
	v_cmpx_gt_u32_e32 8, v0
	s_cbranch_execz .LBB1093_14
; %bb.13:
	v_or_b32_e32 v77, s31, v0
	s_load_b128 s[4:7], s[0:1], 0x58
	s_delay_alu instid0(VALU_DEP_1) | instskip(NEXT) | instid1(VALU_DEP_1)
	v_mad_u64_u32 v[78:79], null, s8, s34, v[77:78]
	v_mad_u64_u32 v[79:80], null, v78, s35, s[14:15]
	s_delay_alu instid0(VALU_DEP_1) | instskip(NEXT) | instid1(VALU_DEP_1)
	v_ashrrev_i32_e32 v80, 31, v79
	v_lshlrev_b64 v[77:78], 2, v[79:80]
	s_waitcnt lgkmcnt(0)
	s_delay_alu instid0(VALU_DEP_1) | instskip(NEXT) | instid1(VALU_DEP_2)
	v_add_co_u32 v79, vcc_lo, s6, v77
	v_add_co_ci_u32_e32 v80, vcc_lo, s7, v78, vcc_lo
	v_add_co_u32 v77, vcc_lo, s4, v77
	v_add_co_ci_u32_e32 v78, vcc_lo, s5, v78, vcc_lo
	global_store_b32 v[79:80], v75, off
	global_store_b32 v[77:78], v76, off
.LBB1093_14:
	s_or_b32 exec_lo, exec_lo, s3
	s_waitcnt lgkmcnt(0)
	s_waitcnt_vscnt null, 0x0
	s_barrier
	buffer_gl0_inv
	ds_load_b128 v[83:86], v72
	ds_load_b128 v[87:90], v72 offset:16
	ds_load_b128 v[95:98], v72 offset:2064
	;; [unrolled: 1-line block ×5, first 2 shown]
	v_cmp_eq_u32_e32 vcc_lo, 1, v69
	v_mov_b32_e32 v75, 0
	ds_load_b128 v[111:114], v72 offset:6160
	ds_load_b128 v[107:110], v72 offset:6144
	;; [unrolled: 1-line block ×4, first 2 shown]
	v_cmp_eq_u32_e64 s4, 1, v68
	v_cmp_eq_u32_e64 s3, 1, v71
	;; [unrolled: 1-line block ×3, first 2 shown]
	v_mov_b32_e32 v76, v75
	v_mov_b32_e32 v77, v75
	;; [unrolled: 1-line block ×7, first 2 shown]
	v_cmp_eq_u32_e64 s6, 3, v71
	v_cmp_eq_u32_e64 s7, 7, v71
	s_waitcnt lgkmcnt(8)
	s_delay_alu instid0(VALU_DEP_3)
	v_wmma_f32_16x16x16_f16 v[75:82], v[49:56], v[83:90], v[75:82]
	ds_load_b128 v[53:56], v72 offset:10256
	ds_load_b128 v[49:52], v72 offset:10240
	s_waitcnt lgkmcnt(8)
	v_wmma_f32_16x16x16_f16 v[75:82], v[41:48], v[91:98], v[75:82]
	ds_load_b128 v[45:48], v72 offset:12304
	ds_load_b128 v[41:44], v72 offset:12288
	s_waitcnt lgkmcnt(8)
	;; [unrolled: 4-line block ×3, first 2 shown]
	s_barrier
	buffer_gl0_inv
	v_wmma_f32_16x16x16_f16 v[75:82], v[1:8], v[107:114], v[75:82]
	s_delay_alu instid0(VALU_DEP_1) | instskip(NEXT) | instid1(VALU_DEP_1)
	v_wmma_f32_16x16x16_f16 v[75:82], v[9:16], v[115:122], v[75:82]
	v_wmma_f32_16x16x16_f16 v[75:82], v[17:24], v[49:56], v[75:82]
	s_delay_alu instid0(VALU_DEP_1) | instskip(NEXT) | instid1(VALU_DEP_1)
	v_wmma_f32_16x16x16_f16 v[75:82], v[25:32], v[41:48], v[75:82]
	v_wmma_f32_16x16x16_f16 v[75:82], v[57:64], v[33:40], v[75:82]
	s_delay_alu instid0(VALU_DEP_1) | instskip(NEXT) | instid1(VALU_DEP_2)
	v_cvt_f16_f32_e32 v1, v75
	v_cvt_f16_f32_e32 v2, v76
	s_delay_alu instid0(VALU_DEP_3) | instskip(NEXT) | instid1(VALU_DEP_4)
	v_cvt_f16_f32_e32 v3, v77
	v_cvt_f16_f32_e32 v4, v78
	;; [unrolled: 1-line block ×6, first 2 shown]
	v_pack_b32_f16 v1, v1, v2
	v_pack_b32_f16 v2, v3, v4
	;; [unrolled: 1-line block ×3, first 2 shown]
	s_delay_alu instid0(VALU_DEP_4)
	v_pack_b32_f16 v4, v7, v8
	ds_store_b128 v73, v[1:4]
	s_waitcnt lgkmcnt(0)
	s_barrier
	buffer_gl0_inv
	ds_load_b128 v[1:4], v74
	ds_load_b128 v[5:8], v74 offset:16
	s_waitcnt lgkmcnt(1)
	v_lshrrev_b32_e32 v9, 16, v1
	s_waitcnt lgkmcnt(0)
	v_lshrrev_b32_e32 v13, 16, v5
	v_lshrrev_b32_e32 v10, 16, v2
	;; [unrolled: 1-line block ×4, first 2 shown]
	v_cndmask_b32_e32 v17, v1, v9, vcc_lo
	v_cndmask_b32_e32 v18, v5, v13, vcc_lo
	v_cndmask_b32_e64 v21, v1, v9, s4
	v_cmp_eq_u32_e32 vcc_lo, 1, v70
	v_cndmask_b32_e64 v22, v5, v13, s4
	v_cmp_eq_u32_e64 s4, 2, v69
	v_cndmask_b32_e64 v19, v1, v9, s3
	v_cndmask_b32_e64 v20, v5, v13, s3
	v_cndmask_b32_e32 v1, v1, v9, vcc_lo
	v_cmp_eq_u32_e64 s3, 2, v70
	v_cndmask_b32_e32 v5, v5, v13, vcc_lo
	v_cndmask_b32_e64 v9, v17, v2, s4
	v_cmp_eq_u32_e32 vcc_lo, 3, v69
	v_cndmask_b32_e64 v13, v18, v6, s4
	v_cmp_eq_u32_e64 s4, 2, v68
	v_cndmask_b32_e64 v17, v19, v2, s5
	v_cndmask_b32_e64 v18, v20, v6, s5
	v_cmp_eq_u32_e64 s5, 3, v68
	v_cndmask_b32_e64 v1, v1, v2, s3
	v_cndmask_b32_e64 v19, v21, v2, s4
	;; [unrolled: 1-line block ×4, first 2 shown]
	v_cndmask_b32_e32 v5, v9, v10, vcc_lo
	v_cndmask_b32_e32 v6, v13, v14, vcc_lo
	v_cmp_eq_u32_e32 vcc_lo, 3, v70
	v_cndmask_b32_e64 v9, v17, v10, s6
	v_cndmask_b32_e64 v13, v18, v14, s6
	;; [unrolled: 1-line block ×3, first 2 shown]
	v_cmp_eq_u32_e64 s4, 4, v69
	v_cndmask_b32_e32 v1, v1, v10, vcc_lo
	v_cndmask_b32_e32 v2, v2, v14, vcc_lo
	v_cmp_eq_u32_e32 vcc_lo, 4, v71
	v_lshrrev_b32_e32 v15, 16, v7
	v_lshrrev_b32_e32 v16, 16, v8
	v_cndmask_b32_e64 v17, v19, v10, s5
	v_cmp_eq_u32_e64 s3, 4, v70
	v_cndmask_b32_e64 v5, v5, v3, s4
	v_cndmask_b32_e64 v6, v6, v7, s4
	v_cndmask_b32_e32 v9, v9, v3, vcc_lo
	v_cmp_eq_u32_e64 s4, 5, v71
	v_cndmask_b32_e32 v10, v13, v7, vcc_lo
	v_cmp_eq_u32_e32 vcc_lo, 4, v68
	v_cmp_eq_u32_e64 s5, 5, v69
	v_cndmask_b32_e64 v2, v2, v7, s3
	v_cndmask_b32_e64 v9, v9, v11, s4
	;; [unrolled: 1-line block ×3, first 2 shown]
	v_cndmask_b32_e32 v13, v17, v3, vcc_lo
	v_cmp_eq_u32_e64 s4, 5, v68
	v_cndmask_b32_e32 v14, v18, v7, vcc_lo
	v_cndmask_b32_e64 v1, v1, v3, s3
	v_cmp_eq_u32_e32 vcc_lo, 5, v70
	v_lshrrev_b32_e32 v12, 16, v4
	v_cndmask_b32_e64 v13, v13, v11, s4
	v_cndmask_b32_e64 v3, v14, v15, s4
	v_cmp_eq_u32_e64 s4, 6, v70
	v_cndmask_b32_e32 v1, v1, v11, vcc_lo
	v_cndmask_b32_e64 v5, v5, v11, s5
	v_cmp_eq_u32_e64 s6, 6, v69
	v_cndmask_b32_e64 v6, v6, v15, s5
	v_cmp_eq_u32_e64 s5, 6, v71
	v_cmp_eq_u32_e64 s3, 6, v68
	v_cndmask_b32_e64 v1, v1, v4, s4
	v_cndmask_b32_e32 v2, v2, v15, vcc_lo
	v_cmp_eq_u32_e32 vcc_lo, 7, v70
	v_cndmask_b32_e64 v5, v5, v4, s6
	v_cndmask_b32_e64 v9, v9, v4, s5
	;; [unrolled: 1-line block ×3, first 2 shown]
	v_cmp_eq_u32_e64 s6, 7, v69
	v_cndmask_b32_e32 v1, v1, v12, vcc_lo
	v_cndmask_b32_e64 v7, v13, v4, s3
	v_cndmask_b32_e64 v3, v3, v8, s3
	v_cndmask_b32_e64 v2, v2, v8, s4
	v_cmp_eq_u32_e64 s3, 7, v68
	v_cndmask_b32_e64 v4, v10, v8, s5
	v_cndmask_b32_e64 v5, v5, v12, s6
	v_cndmask_b32_e64 v9, v9, v12, s7
	v_cndmask_b32_e32 v2, v2, v16, vcc_lo
	v_cndmask_b32_e64 v7, v7, v12, s3
	v_cndmask_b32_e64 v3, v3, v16, s3
	v_cndmask_b32_e64 v8, v4, v16, s7
	v_cndmask_b32_e64 v6, v6, v16, s6
	v_cmp_gt_u32_e32 vcc_lo, 32, v0
	v_perm_b32 v4, v2, v1, 0x5040100
	v_perm_b32 v3, v3, v7, 0x5040100
	;; [unrolled: 1-line block ×4, first 2 shown]
	s_and_b32 s2, vcc_lo, s2
	ds_store_b128 v73, v[1:4]
	s_waitcnt lgkmcnt(0)
	s_barrier
	buffer_gl0_inv
	s_and_saveexec_b32 s3, s2
	s_cbranch_execz .LBB1093_2
; %bb.15:
	s_load_b64 s[0:1], s[0:1], 0x68
	s_lshl_b32 s4, s35, 6
	v_or_b32_e32 v2, s31, v67
	s_mul_i32 s2, s4, s34
	v_lshlrev_b32_e32 v1, 10, v0
	s_mul_i32 s2, s2, s8
	v_lshlrev_b32_e32 v3, 4, v66
	v_mul_lo_u32 v0, v2, s4
	s_ashr_i32 s3, s2, 31
	v_lshlrev_b32_e32 v4, 6, v67
	v_and_b32_e32 v1, 0x3800, v1
	v_or_b32_e32 v5, 2, v2
	s_lshl_b64 s[2:3], s[2:3], 1
	v_or_b32_e32 v6, 4, v2
	v_or_b32_e32 v7, 6, v2
	v_or3_b32 v12, v1, v3, v4
	v_ashrrev_i32_e32 v1, 31, v0
	v_mul_lo_u32 v2, v5, s4
	v_mul_lo_u32 v16, v6, s4
	;; [unrolled: 1-line block ×3, first 2 shown]
	s_waitcnt lgkmcnt(0)
	s_add_u32 s2, s0, s2
	s_addc_u32 s3, s1, s3
	s_lshl_b32 s0, s14, 6
	v_lshlrev_b64 v[0:1], 1, v[0:1]
	s_ashr_i32 s1, s0, 31
	v_ashrrev_i32_e32 v3, 31, v2
	s_lshl_b64 s[0:1], s[0:1], 1
	v_ashrrev_i32_e32 v17, 31, v16
	s_add_u32 s0, s2, s0
	s_addc_u32 s1, s3, s1
	v_add_co_u32 v24, s0, s0, v65
	s_delay_alu instid0(VALU_DEP_1) | instskip(SKIP_1) | instid1(VALU_DEP_3)
	v_add_co_ci_u32_e64 v25, null, s1, 0, s0
	v_lshlrev_b64 v[22:23], 1, v[2:3]
	v_add_co_u32 v18, vcc_lo, v24, v0
	s_delay_alu instid0(VALU_DEP_3)
	v_add_co_ci_u32_e32 v19, vcc_lo, v25, v1, vcc_lo
	ds_load_b128 v[0:3], v12
	ds_load_b128 v[4:7], v12 offset:128
	ds_load_b128 v[8:11], v12 offset:256
	;; [unrolled: 1-line block ×3, first 2 shown]
	v_ashrrev_i32_e32 v21, 31, v20
	v_lshlrev_b64 v[16:17], 1, v[16:17]
	v_add_co_u32 v22, vcc_lo, v24, v22
	v_add_co_ci_u32_e32 v23, vcc_lo, v25, v23, vcc_lo
	s_delay_alu instid0(VALU_DEP_4) | instskip(NEXT) | instid1(VALU_DEP_4)
	v_lshlrev_b64 v[20:21], 1, v[20:21]
	v_add_co_u32 v16, vcc_lo, v24, v16
	v_add_co_ci_u32_e32 v17, vcc_lo, v25, v17, vcc_lo
	s_delay_alu instid0(VALU_DEP_3) | instskip(NEXT) | instid1(VALU_DEP_4)
	v_add_co_u32 v20, vcc_lo, v24, v20
	v_add_co_ci_u32_e32 v21, vcc_lo, v25, v21, vcc_lo
	s_waitcnt lgkmcnt(3)
	global_store_b128 v[18:19], v[0:3], off
	s_waitcnt lgkmcnt(2)
	global_store_b128 v[22:23], v[4:7], off
	;; [unrolled: 2-line block ×4, first 2 shown]
	s_nop 0
	s_sendmsg sendmsg(MSG_DEALLOC_VGPRS)
	s_endpgm
	.section	.rodata,"a",@progbits
	.p2align	6, 0x0
	.amdhsa_kernel _Z39paged_attention_ll4mi_QKV_mfma16_kernelIDF16_hLN4vllm18Fp8KVCacheDataTypeE1EhLi16ELi64ELi256ELb1ELi8EL8MFMAType0EEvPKT_PKT0_S8_ifPKiSA_SA_iPKfiiiPfSD_PS3_PT2_iSC_SC_
		.amdhsa_group_segment_fixed_size 17472
		.amdhsa_private_segment_fixed_size 0
		.amdhsa_kernarg_size 400
		.amdhsa_user_sgpr_count 13
		.amdhsa_user_sgpr_dispatch_ptr 0
		.amdhsa_user_sgpr_queue_ptr 0
		.amdhsa_user_sgpr_kernarg_segment_ptr 1
		.amdhsa_user_sgpr_dispatch_id 0
		.amdhsa_user_sgpr_private_segment_size 0
		.amdhsa_wavefront_size32 1
		.amdhsa_uses_dynamic_stack 0
		.amdhsa_enable_private_segment 0
		.amdhsa_system_sgpr_workgroup_id_x 1
		.amdhsa_system_sgpr_workgroup_id_y 1
		.amdhsa_system_sgpr_workgroup_id_z 1
		.amdhsa_system_sgpr_workgroup_info 0
		.amdhsa_system_vgpr_workitem_id 0
		.amdhsa_next_free_vgpr 123
		.amdhsa_next_free_sgpr 40
		.amdhsa_reserve_vcc 1
		.amdhsa_float_round_mode_32 0
		.amdhsa_float_round_mode_16_64 0
		.amdhsa_float_denorm_mode_32 3
		.amdhsa_float_denorm_mode_16_64 3
		.amdhsa_dx10_clamp 1
		.amdhsa_ieee_mode 1
		.amdhsa_fp16_overflow 0
		.amdhsa_workgroup_processor_mode 1
		.amdhsa_memory_ordered 1
		.amdhsa_forward_progress 0
		.amdhsa_shared_vgpr_count 0
		.amdhsa_exception_fp_ieee_invalid_op 0
		.amdhsa_exception_fp_denorm_src 0
		.amdhsa_exception_fp_ieee_div_zero 0
		.amdhsa_exception_fp_ieee_overflow 0
		.amdhsa_exception_fp_ieee_underflow 0
		.amdhsa_exception_fp_ieee_inexact 0
		.amdhsa_exception_int_div_zero 0
	.end_amdhsa_kernel
	.section	.text._Z39paged_attention_ll4mi_QKV_mfma16_kernelIDF16_hLN4vllm18Fp8KVCacheDataTypeE1EhLi16ELi64ELi256ELb1ELi8EL8MFMAType0EEvPKT_PKT0_S8_ifPKiSA_SA_iPKfiiiPfSD_PS3_PT2_iSC_SC_,"axG",@progbits,_Z39paged_attention_ll4mi_QKV_mfma16_kernelIDF16_hLN4vllm18Fp8KVCacheDataTypeE1EhLi16ELi64ELi256ELb1ELi8EL8MFMAType0EEvPKT_PKT0_S8_ifPKiSA_SA_iPKfiiiPfSD_PS3_PT2_iSC_SC_,comdat
.Lfunc_end1093:
	.size	_Z39paged_attention_ll4mi_QKV_mfma16_kernelIDF16_hLN4vllm18Fp8KVCacheDataTypeE1EhLi16ELi64ELi256ELb1ELi8EL8MFMAType0EEvPKT_PKT0_S8_ifPKiSA_SA_iPKfiiiPfSD_PS3_PT2_iSC_SC_, .Lfunc_end1093-_Z39paged_attention_ll4mi_QKV_mfma16_kernelIDF16_hLN4vllm18Fp8KVCacheDataTypeE1EhLi16ELi64ELi256ELb1ELi8EL8MFMAType0EEvPKT_PKT0_S8_ifPKiSA_SA_iPKfiiiPfSD_PS3_PT2_iSC_SC_
                                        ; -- End function
	.section	.AMDGPU.csdata,"",@progbits
; Kernel info:
; codeLenInByte = 6492
; NumSgprs: 42
; NumVgprs: 123
; ScratchSize: 0
; MemoryBound: 0
; FloatMode: 240
; IeeeMode: 1
; LDSByteSize: 17472 bytes/workgroup (compile time only)
; SGPRBlocks: 5
; VGPRBlocks: 15
; NumSGPRsForWavesPerEU: 42
; NumVGPRsForWavesPerEU: 123
; Occupancy: 10
; WaveLimiterHint : 1
; COMPUTE_PGM_RSRC2:SCRATCH_EN: 0
; COMPUTE_PGM_RSRC2:USER_SGPR: 13
; COMPUTE_PGM_RSRC2:TRAP_HANDLER: 0
; COMPUTE_PGM_RSRC2:TGID_X_EN: 1
; COMPUTE_PGM_RSRC2:TGID_Y_EN: 1
; COMPUTE_PGM_RSRC2:TGID_Z_EN: 1
; COMPUTE_PGM_RSRC2:TIDIG_COMP_CNT: 0
	.section	.text._Z39paged_attention_ll4mi_QKV_mfma16_kernelIDF16_hLN4vllm18Fp8KVCacheDataTypeE1EhLi16ELi64ELi256ELb1ELi9EL8MFMAType0EEvPKT_PKT0_S8_ifPKiSA_SA_iPKfiiiPfSD_PS3_PT2_iSC_SC_,"axG",@progbits,_Z39paged_attention_ll4mi_QKV_mfma16_kernelIDF16_hLN4vllm18Fp8KVCacheDataTypeE1EhLi16ELi64ELi256ELb1ELi9EL8MFMAType0EEvPKT_PKT0_S8_ifPKiSA_SA_iPKfiiiPfSD_PS3_PT2_iSC_SC_,comdat
	.protected	_Z39paged_attention_ll4mi_QKV_mfma16_kernelIDF16_hLN4vllm18Fp8KVCacheDataTypeE1EhLi16ELi64ELi256ELb1ELi9EL8MFMAType0EEvPKT_PKT0_S8_ifPKiSA_SA_iPKfiiiPfSD_PS3_PT2_iSC_SC_ ; -- Begin function _Z39paged_attention_ll4mi_QKV_mfma16_kernelIDF16_hLN4vllm18Fp8KVCacheDataTypeE1EhLi16ELi64ELi256ELb1ELi9EL8MFMAType0EEvPKT_PKT0_S8_ifPKiSA_SA_iPKfiiiPfSD_PS3_PT2_iSC_SC_
	.globl	_Z39paged_attention_ll4mi_QKV_mfma16_kernelIDF16_hLN4vllm18Fp8KVCacheDataTypeE1EhLi16ELi64ELi256ELb1ELi9EL8MFMAType0EEvPKT_PKT0_S8_ifPKiSA_SA_iPKfiiiPfSD_PS3_PT2_iSC_SC_
	.p2align	8
	.type	_Z39paged_attention_ll4mi_QKV_mfma16_kernelIDF16_hLN4vllm18Fp8KVCacheDataTypeE1EhLi16ELi64ELi256ELb1ELi9EL8MFMAType0EEvPKT_PKT0_S8_ifPKiSA_SA_iPKfiiiPfSD_PS3_PT2_iSC_SC_,@function
_Z39paged_attention_ll4mi_QKV_mfma16_kernelIDF16_hLN4vllm18Fp8KVCacheDataTypeE1EhLi16ELi64ELi256ELb1ELi9EL8MFMAType0EEvPKT_PKT0_S8_ifPKiSA_SA_iPKfiiiPfSD_PS3_PT2_iSC_SC_: ; @_Z39paged_attention_ll4mi_QKV_mfma16_kernelIDF16_hLN4vllm18Fp8KVCacheDataTypeE1EhLi16ELi64ELi256ELb1ELi9EL8MFMAType0EEvPKT_PKT0_S8_ifPKiSA_SA_iPKfiiiPfSD_PS3_PT2_iSC_SC_
; %bb.0:
	s_load_b64 s[2:3], s[0:1], 0x30
	s_mov_b32 s34, s13
	s_waitcnt lgkmcnt(0)
	s_cmp_lg_u64 s[2:3], 0
	s_cselect_b32 s6, -1, 0
	s_ashr_i32 s35, s13, 31
	s_cmp_eq_u64 s[2:3], 0
	s_cbranch_scc1 .LBB1094_3
; %bb.1:
	s_lshl_b64 s[4:5], s[34:35], 2
	s_delay_alu instid0(SALU_CYCLE_1) | instskip(SKIP_4) | instid1(SALU_CYCLE_1)
	s_add_u32 s4, s2, s4
	s_addc_u32 s5, s3, s5
	s_load_b64 s[4:5], s[4:5], 0x0
	s_waitcnt lgkmcnt(0)
	s_sub_i32 s4, s5, s4
	s_cmp_eq_u32 s4, 1
	s_cselect_b32 s4, -1, 0
	s_delay_alu instid0(SALU_CYCLE_1)
	s_and_not1_b32 vcc_lo, exec_lo, s4
	s_cbranch_vccz .LBB1094_4
.LBB1094_2:
	s_nop 0
	s_sendmsg sendmsg(MSG_DEALLOC_VGPRS)
	s_endpgm
.LBB1094_3:
.LBB1094_4:
	s_load_b64 s[8:9], s[0:1], 0x28
	s_lshl_b64 s[4:5], s[34:35], 2
	s_waitcnt lgkmcnt(0)
	s_add_u32 s8, s8, s4
	s_addc_u32 s9, s9, s5
	s_lshl_b32 s16, s14, 8
	s_load_b32 s18, s[8:9], 0x0
	s_waitcnt lgkmcnt(0)
	s_cmp_ge_i32 s16, s18
	s_cbranch_scc1 .LBB1094_2
; %bb.5:
	s_clause 0x1
	s_load_b128 s[8:11], s[0:1], 0x8
	s_load_b64 s[12:13], s[0:1], 0x20
	s_and_not1_b32 vcc_lo, exec_lo, s6
	s_cbranch_vccnz .LBB1094_7
; %bb.6:
	s_add_u32 s2, s2, s4
	s_addc_u32 s3, s3, s5
	s_load_b32 s3, s[2:3], 0x0
	s_branch .LBB1094_8
.LBB1094_7:
	s_mov_b32 s3, s34
.LBB1094_8:
	s_load_b128 s[4:7], s[0:1], 0x48
	v_lshrrev_b32_e32 v69, 5, v0
	v_bfe_u32 v66, v0, 4, 1
	v_and_b32_e32 v68, 15, v0
	v_and_b32_e32 v70, 31, v0
	;; [unrolled: 1-line block ×3, first 2 shown]
	s_mul_i32 s33, s15, 9
	v_lshl_or_b32 v1, v69, 1, v66
	v_lshlrev_b32_e32 v2, 3, v68
	v_cmp_gt_u32_e64 s2, 8, v68
	s_delay_alu instid0(VALU_DEP_3) | instskip(NEXT) | instid1(VALU_DEP_3)
	v_cmp_gt_u32_e32 vcc_lo, 9, v1
	v_lshlrev_b32_e32 v65, 1, v2
	s_delay_alu instid0(VALU_DEP_3)
	s_and_b32 s17, s2, vcc_lo
	s_waitcnt lgkmcnt(0)
	s_and_saveexec_b32 s7, s17
	s_cbranch_execz .LBB1094_10
; %bb.9:
	s_load_b64 s[20:21], s[0:1], 0x0
	v_add_lshl_u32 v2, v1, s33, 6
	s_mul_hi_i32 s23, s3, s4
	s_mul_i32 s22, s3, s4
	v_lshlrev_b32_e32 v6, 10, v68
	s_lshl_b64 s[22:23], s[22:23], 1
	v_ashrrev_i32_e32 v3, 31, v2
	v_lshlrev_b32_e32 v1, 6, v1
	v_lshlrev_b32_e32 v7, 10, v67
	v_and_b32_e32 v6, 0x3800, v6
	s_delay_alu instid0(VALU_DEP_4) | instskip(NEXT) | instid1(VALU_DEP_2)
	v_lshlrev_b64 v[2:3], 1, v[2:3]
	v_or3_b32 v1, v6, v7, v1
	s_waitcnt lgkmcnt(0)
	s_add_u32 s3, s20, s22
	s_addc_u32 s4, s21, s23
	s_delay_alu instid0(VALU_DEP_2) | instskip(SKIP_1) | instid1(VALU_DEP_2)
	v_add_co_u32 v2, vcc_lo, s3, v2
	v_add_co_ci_u32_e32 v3, vcc_lo, s4, v3, vcc_lo
	v_add_co_u32 v2, vcc_lo, v2, v65
	s_delay_alu instid0(VALU_DEP_2)
	v_add_co_ci_u32_e32 v3, vcc_lo, 0, v3, vcc_lo
	global_load_b128 v[2:5], v[2:3], off
	s_waitcnt vmcnt(0)
	ds_store_b128 v1, v[2:5]
.LBB1094_10:
	s_or_b32 exec_lo, exec_lo, s7
	v_and_b32_e32 v1, 0xef, v0
	s_add_i32 s3, s18, 15
	s_clause 0x1
	s_load_b32 s4, s[0:1], 0x38
	s_load_b32 s35, s[0:1], 0x98
	s_ashr_i32 s7, s3, 31
	v_add_nc_u32_e32 v1, s16, v1
	s_lshr_b32 s7, s7, 28
	s_load_b32 s19, s[0:1], 0x1c
	v_add_nc_u32_e32 v103, -9, v68
	s_add_i32 s3, s3, s7
	v_ashrrev_i32_e32 v2, 31, v1
	v_or_b32_e32 v3, 16, v1
	s_ashr_i32 s3, s3, 4
	v_cmp_gt_i32_e32 vcc_lo, s18, v1
	s_add_i32 s3, s3, -1
	v_lshrrev_b32_e32 v2, 28, v2
	s_waitcnt lgkmcnt(0)
	s_barrier
	buffer_gl0_inv
	s_mul_i32 s15, s15, s6
	v_add_nc_u32_e32 v4, v1, v2
	v_mbcnt_lo_u32_b32 v127, -1, 0
	s_mul_i32 s20, s34, s4
	s_delay_alu instid0(SALU_CYCLE_1) | instskip(NEXT) | instid1(VALU_DEP_2)
	s_ashr_i32 s21, s20, 31
	v_ashrrev_i32_e32 v4, 4, v4
	v_add_nc_u32_e32 v2, v3, v2
	s_lshl_b64 s[20:21], s[20:21], 2
	v_xor_b32_e32 v128, 16, v127
	s_add_u32 s17, s12, s20
	v_cndmask_b32_e32 v1, s3, v4, vcc_lo
	v_ashrrev_i32_e32 v2, 4, v2
	v_cmp_gt_i32_e32 vcc_lo, s18, v3
	s_addc_u32 s13, s13, s21
	s_ashr_i32 s20, s15, 31
	s_add_u32 s4, s8, s15
	s_addc_u32 s12, s9, s20
	v_cndmask_b32_e32 v3, s3, v2, vcc_lo
	v_ashrrev_i32_e32 v2, 31, v1
	s_lshl_b32 s6, s14, 4
	s_delay_alu instid0(SALU_CYCLE_1) | instskip(NEXT) | instid1(VALU_DEP_2)
	s_ashr_i32 s7, s6, 31
	v_ashrrev_i32_e32 v4, 31, v3
	s_delay_alu instid0(VALU_DEP_2) | instskip(SKIP_1) | instid1(SALU_CYCLE_1)
	v_lshlrev_b64 v[1:2], 2, v[1:2]
	s_lshl_b64 s[6:7], s[6:7], 2
	s_add_u32 s6, s17, s6
	s_delay_alu instid0(VALU_DEP_2) | instskip(SKIP_1) | instid1(VALU_DEP_2)
	v_lshlrev_b64 v[3:4], 2, v[3:4]
	s_addc_u32 s7, s13, s7
	v_add_co_u32 v1, vcc_lo, s17, v1
	v_add_co_ci_u32_e32 v2, vcc_lo, s13, v2, vcc_lo
	s_delay_alu instid0(VALU_DEP_3) | instskip(NEXT) | instid1(VALU_DEP_4)
	v_add_co_u32 v3, vcc_lo, s17, v3
	v_add_co_ci_u32_e32 v4, vcc_lo, s13, v4, vcc_lo
	s_clause 0x1
	global_load_b32 v5, v[1:2], off
	global_load_b32 v7, v[3:4], off
	s_or_b32 s8, s16, 32
	v_lshlrev_b32_e32 v1, 4, v0
	s_ashr_i32 s9, s8, 4
	s_cmp_lt_i32 s8, s18
	v_cmp_gt_u32_e32 vcc_lo, 9, v68
	s_cselect_b32 s8, s9, s3
	v_and_b32_e32 v1, 0xf0, v1
	s_ashr_i32 s9, s8, 31
	s_delay_alu instid0(SALU_CYCLE_1)
	s_lshl_b64 s[8:9], s[8:9], 2
	v_cndmask_b32_e32 v103, v103, v68, vcc_lo
	s_add_u32 s8, s17, s8
	s_addc_u32 s9, s13, s9
	s_or_b32 s21, s16, 64
	v_add_co_u32 v1, s4, s4, v1
	s_ashr_i32 s22, s21, 4
	s_cmp_lt_i32 s21, s18
	v_add_co_ci_u32_e64 v2, null, s12, 0, s4
	s_cselect_b32 s22, s22, s3
	v_cmp_gt_i32_e32 vcc_lo, 32, v128
	s_ashr_i32 s23, s22, 31
	v_lshlrev_b32_e32 v115, 6, v103
	s_lshl_b64 s[22:23], s[22:23], 2
	v_cndmask_b32_e32 v136, v127, v128, vcc_lo
	s_add_u32 s22, s17, s22
	s_addc_u32 s23, s13, s23
	s_or_b32 s21, s16, 0x60
	s_delay_alu instid0(SALU_CYCLE_1) | instskip(SKIP_2) | instid1(SALU_CYCLE_1)
	s_ashr_i32 s24, s21, 4
	s_cmp_lt_i32 s21, s18
	s_cselect_b32 s24, s24, s3
	s_ashr_i32 s25, s24, 31
	s_delay_alu instid0(SALU_CYCLE_1) | instskip(NEXT) | instid1(SALU_CYCLE_1)
	s_lshl_b64 s[24:25], s[24:25], 2
	s_add_u32 s24, s17, s24
	s_addc_u32 s25, s13, s25
	s_or_b32 s21, s16, 0x80
	s_delay_alu instid0(SALU_CYCLE_1) | instskip(SKIP_2) | instid1(SALU_CYCLE_1)
	s_ashr_i32 s26, s21, 4
	s_cmp_lt_i32 s21, s18
	s_cselect_b32 s26, s26, s3
	s_ashr_i32 s27, s26, 31
	s_delay_alu instid0(SALU_CYCLE_1) | instskip(NEXT) | instid1(SALU_CYCLE_1)
	s_lshl_b64 s[26:27], s[26:27], 2
	s_add_u32 s26, s17, s26
	s_addc_u32 s27, s13, s27
	s_or_b32 s21, s16, 0xa0
	s_delay_alu instid0(SALU_CYCLE_1) | instskip(SKIP_2) | instid1(SALU_CYCLE_1)
	s_ashr_i32 s28, s21, 4
	s_cmp_lt_i32 s21, s18
	s_cselect_b32 s28, s28, s3
	s_ashr_i32 s29, s28, 31
	s_delay_alu instid0(SALU_CYCLE_1) | instskip(NEXT) | instid1(SALU_CYCLE_1)
	s_lshl_b64 s[28:29], s[28:29], 2
	s_add_u32 s28, s17, s28
	s_addc_u32 s29, s13, s29
	s_clause 0x5
	s_load_b32 s12, s[6:7], 0x0
	s_load_b32 s4, s[8:9], 0x0
	;; [unrolled: 1-line block ×6, first 2 shown]
	s_or_b32 s21, s16, 0xc0
	s_delay_alu instid0(SALU_CYCLE_1) | instskip(SKIP_2) | instid1(SALU_CYCLE_1)
	s_ashr_i32 s22, s21, 4
	s_cmp_lt_i32 s21, s18
	s_cselect_b32 s22, s22, s3
	s_ashr_i32 s23, s22, 31
	s_delay_alu instid0(SALU_CYCLE_1) | instskip(NEXT) | instid1(SALU_CYCLE_1)
	s_lshl_b64 s[22:23], s[22:23], 2
	s_add_u32 s22, s17, s22
	s_addc_u32 s23, s13, s23
	s_or_b32 s21, s16, 0xe0
	s_delay_alu instid0(SALU_CYCLE_1) | instskip(SKIP_2) | instid1(SALU_CYCLE_1)
	s_ashr_i32 s24, s21, 4
	s_cmp_lt_i32 s21, s18
	s_cselect_b32 s24, s24, s3
	s_ashr_i32 s25, s24, 31
	s_delay_alu instid0(SALU_CYCLE_1)
	s_lshl_b64 s[24:25], s[24:25], 2
	s_waitcnt vmcnt(1)
	v_mad_i64_i32 v[3:4], null, v5, s5, v[1:2]
	s_waitcnt vmcnt(0)
	v_mad_i64_i32 v[5:6], null, v7, s5, v[1:2]
	v_lshlrev_b32_e32 v1, 4, v68
	s_clause 0x7
	global_load_b128 v[71:74], v[3:4], off
	global_load_b128 v[75:78], v[3:4], off offset:256
	global_load_b128 v[79:82], v[5:6], off
	global_load_b128 v[83:86], v[5:6], off offset:256
	global_load_b128 v[87:90], v[3:4], off offset:512
	global_load_b128 v[91:94], v[3:4], off offset:768
	global_load_b128 v[95:98], v[5:6], off offset:512
	global_load_b128 v[99:102], v[5:6], off offset:768
	v_lshl_or_b32 v1, v69, 8, v1
	s_load_b32 s3, s[22:23], 0x0
	s_add_u32 s22, s17, s24
	s_addc_u32 s23, s13, s25
	s_add_u32 s10, s10, s15
	s_addc_u32 s11, s11, s20
	v_add_co_u32 v1, s10, s10, v1
	s_delay_alu instid0(VALU_DEP_1) | instskip(SKIP_2) | instid1(VALU_DEP_1)
	v_add_co_ci_u32_e64 v2, null, s11, 0, s10
	s_load_b32 s10, s[22:23], 0x0
	s_waitcnt lgkmcnt(0)
	v_mad_i64_i32 v[3:4], null, s12, s5, v[1:2]
	v_mad_i64_i32 v[9:10], null, s7, s5, v[1:2]
	;; [unrolled: 1-line block ×7, first 2 shown]
	s_clause 0x5
	global_load_b128 v[49:52], v[3:4], off
	global_load_b128 v[53:56], v[3:4], off offset:16
	global_load_b128 v[41:44], v[5:6], off
	global_load_b128 v[45:48], v[5:6], off offset:16
	;; [unrolled: 2-line block ×3, first 2 shown]
	s_mov_b32 s4, 0
	v_mad_i64_i32 v[61:62], null, s10, s5, v[1:2]
	s_clause 0x9
	global_load_b128 v[1:4], v[9:10], off
	global_load_b128 v[5:8], v[9:10], off offset:16
	global_load_b128 v[9:12], v[13:14], off
	global_load_b128 v[13:16], v[13:14], off offset:16
	;; [unrolled: 2-line block ×5, first 2 shown]
	s_mov_b32 s5, s4
	s_mov_b32 s6, s4
	;; [unrolled: 1-line block ×7, first 2 shown]
	v_and_b32_e32 v104, 0xe0, v0
	v_dual_mov_b32 v126, s11 :: v_dual_mov_b32 v125, s10
	v_dual_mov_b32 v124, s9 :: v_dual_mov_b32 v123, s8
	s_delay_alu instid0(VALU_DEP_3)
	v_add_nc_u32_e32 v111, s16, v104
	ds_load_b128 v[103:106], v115
	ds_load_b128 v[107:110], v115 offset:1024
	v_dual_mov_b32 v122, s7 :: v_dual_mov_b32 v121, s6
	v_mov_b32_e32 v120, s5
	v_or_b32_e32 v135, v111, v66
	ds_load_b128 v[111:114], v115 offset:2048
	ds_load_b128 v[115:118], v115 offset:3072
	v_mov_b32_e32 v119, s4
	s_waitcnt vmcnt(0) lgkmcnt(0)
	s_barrier
	v_or_b32_e32 v137, 2, v135
	v_or_b32_e32 v138, 4, v135
	;; [unrolled: 1-line block ×3, first 2 shown]
	v_cmp_gt_i32_e32 vcc_lo, s18, v135
	v_or_b32_e32 v140, 8, v135
	v_cmp_gt_i32_e64 s3, s18, v137
	v_or_b32_e32 v141, 10, v135
	v_cmp_gt_i32_e64 s4, s18, v138
	v_cmp_gt_i32_e64 s5, s18, v139
	v_or_b32_e32 v142, 12, v135
	v_or_b32_e32 v143, 14, v135
	v_cmp_gt_i32_e64 s6, s18, v140
	v_cmp_gt_i32_e64 s7, s18, v141
	v_or_b32_e32 v144, 16, v135
	v_or_b32_e32 v145, 18, v135
	v_cmp_gt_i32_e64 s8, s18, v142
	v_cmp_gt_i32_e64 s9, s18, v143
	buffer_gl0_inv
	v_cmp_gt_i32_e64 s10, s18, v144
	v_cmp_gt_i32_e64 s11, s18, v145
	v_wmma_f32_16x16x16_f16 v[127:134], v[71:78], v[103:110], v[119:126]
	v_wmma_f32_16x16x16_f16 v[119:126], v[79:86], v[103:110], v[119:126]
	v_or_b32_e32 v71, 20, v135
	v_or_b32_e32 v72, 22, v135
	s_delay_alu instid0(VALU_DEP_4)
	v_wmma_f32_16x16x16_f16 v[127:134], v[87:94], v[111:118], v[127:134]
	v_or_b32_e32 v73, 24, v135
	v_wmma_f32_16x16x16_f16 v[119:126], v[95:102], v[111:118], v[119:126]
	v_or_b32_e32 v74, 26, v135
	v_cmp_gt_i32_e64 s12, s18, v71
	v_dual_mul_f32 v83, s19, v128 :: v_dual_mul_f32 v84, s19, v127
	v_dual_mul_f32 v81, s19, v130 :: v_dual_mul_f32 v82, s19, v129
	;; [unrolled: 1-line block ×3, first 2 shown]
	s_delay_alu instid0(VALU_DEP_3) | instskip(NEXT) | instid1(VALU_DEP_4)
	v_cndmask_b32_e32 v84, 0xff7fffff, v84, vcc_lo
	v_cndmask_b32_e64 v83, 0xff7fffff, v83, s3
	v_mul_f32_e32 v80, s19, v131
	v_cndmask_b32_e64 v82, 0xff7fffff, v82, s4
	v_cndmask_b32_e64 v81, 0xff7fffff, v81, s5
	v_dual_mul_f32 v77, s19, v134 :: v_dual_mul_f32 v90, s19, v121
	v_max3_f32 v83, v84, 0xff7fffff, v83
	v_mul_f32_e32 v78, s19, v133
	v_cndmask_b32_e64 v80, 0xff7fffff, v80, s6
	v_cndmask_b32_e64 v79, 0xff7fffff, v79, s7
	v_mul_f32_e32 v91, s19, v120
	v_max3_f32 v81, v83, v82, v81
	v_cndmask_b32_e64 v78, 0xff7fffff, v78, s8
	v_cndmask_b32_e64 v77, 0xff7fffff, v77, s9
	v_mul_f32_e32 v89, s19, v122
	v_cmp_gt_i32_e64 s13, s18, v72
	v_max3_f32 v79, v81, v80, v79
	v_cndmask_b32_e64 v80, 0xff7fffff, v92, s10
	v_cndmask_b32_e64 v81, 0xff7fffff, v91, s11
	v_or_b32_e32 v75, 28, v135
	v_or_b32_e32 v76, 30, v135
	v_max3_f32 v77, v79, v78, v77
	v_dual_mul_f32 v87, s19, v124 :: v_dual_mul_f32 v88, s19, v123
	v_cndmask_b32_e64 v71, 0xff7fffff, v90, s12
	v_cndmask_b32_e64 v72, 0xff7fffff, v89, s13
	s_delay_alu instid0(VALU_DEP_4) | instskip(SKIP_3) | instid1(VALU_DEP_4)
	v_max3_f32 v77, v77, v80, v81
	v_cmp_gt_i32_e64 s15, s18, v73
	v_cmp_gt_i32_e64 s16, s18, v74
	v_dual_mul_f32 v85, s19, v126 :: v_dual_mul_f32 v86, s19, v125
	v_max3_f32 v71, v77, v71, v72
	s_delay_alu instid0(VALU_DEP_4) | instskip(NEXT) | instid1(VALU_DEP_4)
	v_cndmask_b32_e64 v73, 0xff7fffff, v88, s15
	v_cndmask_b32_e64 v74, 0xff7fffff, v87, s16
	v_cmp_gt_i32_e64 s17, s18, v75
	v_cmp_gt_i32_e64 s18, s18, v76
	s_delay_alu instid0(VALU_DEP_3) | instskip(NEXT) | instid1(VALU_DEP_3)
	v_max3_f32 v71, v71, v73, v74
	v_cndmask_b32_e64 v72, 0xff7fffff, v86, s17
	s_delay_alu instid0(VALU_DEP_3) | instskip(SKIP_1) | instid1(VALU_DEP_2)
	v_cndmask_b32_e64 v75, 0xff7fffff, v85, s18
	v_lshlrev_b32_e32 v73, 2, v136
	v_max3_f32 v71, v71, v72, v75
	ds_bpermute_b32 v72, v73, v71
	s_waitcnt lgkmcnt(0)
	v_max_f32_e32 v72, v72, v72
	s_delay_alu instid0(VALU_DEP_1) | instskip(NEXT) | instid1(VALU_DEP_1)
	v_max_f32_e32 v71, v71, v72
	v_fma_f32 v72, s19, v127, -v71
	v_fma_f32 v74, s19, v128, -v71
	;; [unrolled: 1-line block ×5, first 2 shown]
	v_mul_f32_e32 v72, 0x3fb8aa3b, v72
	s_delay_alu instid0(VALU_DEP_4) | instskip(NEXT) | instid1(VALU_DEP_4)
	v_dual_mul_f32 v74, 0x3fb8aa3b, v74 :: v_dual_mul_f32 v75, 0x3fb8aa3b, v75
	v_mul_f32_e32 v76, 0x3fb8aa3b, v76
	s_delay_alu instid0(VALU_DEP_4) | instskip(NEXT) | instid1(VALU_DEP_4)
	v_mul_f32_e32 v82, 0x3fb8aa3b, v80
	v_exp_f32_e32 v72, v72
	s_delay_alu instid0(VALU_DEP_3)
	v_exp_f32_e32 v74, v74
	v_exp_f32_e32 v75, v75
	;; [unrolled: 1-line block ×3, first 2 shown]
	v_fma_f32 v77, s19, v131, -v71
	v_exp_f32_e32 v84, v82
	v_cndmask_b32_e32 v79, 0, v72, vcc_lo
	v_cndmask_b32_e64 v78, 0, v74, s3
	s_delay_alu instid0(TRANS32_DEP_3) | instskip(SKIP_1) | instid1(TRANS32_DEP_2)
	v_cndmask_b32_e64 v81, 0, v75, s4
	v_fma_f32 v72, s19, v132, -v71
	v_cndmask_b32_e64 v80, 0, v76, s5
	v_add_f32_e32 v74, 0, v79
	s_delay_alu instid0(TRANS32_DEP_1) | instskip(SKIP_2) | instid1(VALU_DEP_4)
	v_cndmask_b32_e64 v85, 0, v84, s8
	v_cmp_gt_u32_e64 s3, 16, v70
	v_mul_f32_e32 v72, 0x3fb8aa3b, v72
	v_add_f32_e32 v74, v74, v78
	s_delay_alu instid0(VALU_DEP_2) | instskip(NEXT) | instid1(VALU_DEP_1)
	v_exp_f32_e32 v72, v72
	v_add_f32_e32 v74, v74, v81
	s_delay_alu instid0(VALU_DEP_1) | instskip(NEXT) | instid1(VALU_DEP_1)
	v_dual_mul_f32 v77, 0x3fb8aa3b, v77 :: v_dual_add_f32 v74, v74, v80
	v_exp_f32_e32 v77, v77
	s_waitcnt_depctr 0xfff
	v_cndmask_b32_e64 v82, 0, v72, s7
	v_cndmask_b32_e64 v83, 0, v77, s6
	s_delay_alu instid0(VALU_DEP_1) | instskip(SKIP_4) | instid1(VALU_DEP_4)
	v_add_f32_e32 v72, v74, v83
	v_fma_f32 v75, s19, v134, -v71
	v_fma_f32 v76, s19, v119, -v71
	;; [unrolled: 1-line block ×4, first 2 shown]
	v_dual_add_f32 v72, v72, v82 :: v_dual_mul_f32 v75, 0x3fb8aa3b, v75
	s_delay_alu instid0(VALU_DEP_3) | instskip(NEXT) | instid1(VALU_DEP_3)
	v_dual_mul_f32 v76, 0x3fb8aa3b, v76 :: v_dual_mul_f32 v77, 0x3fb8aa3b, v77
	v_mul_f32_e32 v74, 0x3fb8aa3b, v74
	v_fma_f32 v86, s19, v122, -v71
	s_delay_alu instid0(VALU_DEP_4) | instskip(NEXT) | instid1(VALU_DEP_3)
	v_exp_f32_e32 v75, v75
	v_exp_f32_e32 v76, v76
	;; [unrolled: 1-line block ×4, first 2 shown]
	v_mul_f32_e32 v86, 0x3fb8aa3b, v86
	s_delay_alu instid0(VALU_DEP_1)
	v_exp_f32_e32 v88, v86
	v_cndmask_b32_e64 v84, 0, v75, s9
	v_fma_f32 v75, s19, v123, -v71
	v_add_f32_e32 v72, v72, v85
	v_cndmask_b32_e64 v87, 0, v76, s10
	v_fma_f32 v76, s19, v124, -v71
	s_delay_alu instid0(TRANS32_DEP_3) | instskip(NEXT) | instid1(VALU_DEP_4)
	v_cndmask_b32_e64 v86, 0, v77, s11
	v_dual_mul_f32 v75, 0x3fb8aa3b, v75 :: v_dual_add_f32 v72, v72, v84
	v_fma_f32 v77, s19, v125, -v71
	s_delay_alu instid0(VALU_DEP_4) | instskip(SKIP_1) | instid1(VALU_DEP_4)
	v_mul_f32_e32 v76, 0x3fb8aa3b, v76
	v_cndmask_b32_e64 v89, 0, v74, s12
	v_exp_f32_e32 v75, v75
	v_add_f32_e32 v72, v72, v87
	v_mul_f32_e32 v74, 0x3fb8aa3b, v77
	v_exp_f32_e32 v76, v76
	v_cndmask_b32_e64 v88, 0, v88, s13
	v_fma_f32 v77, s19, v126, -v71
	v_add_f32_e32 v72, v72, v86
	v_exp_f32_e32 v74, v74
	s_delay_alu instid0(TRANS32_DEP_3) | instskip(NEXT) | instid1(VALU_DEP_2)
	v_cndmask_b32_e64 v91, 0, v75, s15
	v_add_f32_e32 v72, v72, v89
	v_mul_f32_e32 v75, 0x3fb8aa3b, v77
	s_delay_alu instid0(TRANS32_DEP_2) | instskip(NEXT) | instid1(VALU_DEP_3)
	v_cndmask_b32_e64 v90, 0, v76, s16
	v_add_f32_e32 v72, v72, v88
	s_delay_alu instid0(VALU_DEP_3) | instskip(NEXT) | instid1(TRANS32_DEP_2)
	v_exp_f32_e32 v75, v75
	v_cndmask_b32_e64 v93, 0, v74, s17
	s_delay_alu instid0(VALU_DEP_2) | instskip(NEXT) | instid1(VALU_DEP_1)
	v_add_f32_e32 v72, v72, v91
	v_add_f32_e32 v72, v72, v90
	s_waitcnt_depctr 0xfff
	v_cndmask_b32_e64 v92, 0, v75, s18
	v_add_f32_e32 v72, v72, v93
	s_delay_alu instid0(VALU_DEP_1)
	v_add_f32_e32 v72, v72, v92
	ds_bpermute_b32 v73, v73, v72
	s_and_saveexec_b32 s4, s3
	s_cbranch_execz .LBB1094_12
; %bb.11:
	v_mul_u32_u24_e32 v70, 0x44, v69
	s_waitcnt lgkmcnt(0)
	v_add_f32_e32 v72, v72, v73
	s_delay_alu instid0(VALU_DEP_2) | instskip(NEXT) | instid1(VALU_DEP_1)
	v_lshl_add_u32 v70, v68, 2, v70
	v_add_nc_u32_e32 v70, 0x4000, v70
	ds_store_2addr_b32 v70, v71, v72 offset1:136
.LBB1094_12:
	s_or_b32 exec_lo, exec_lo, s4
	v_lshlrev_b32_e32 v70, 2, v68
	s_load_b32 s36, s[0:1], 0x94
	s_waitcnt lgkmcnt(0)
	s_barrier
	buffer_gl0_inv
	v_add_nc_u32_e32 v98, 0x4000, v70
	v_cmp_eq_u32_e32 vcc_lo, 1, v69
	v_cmp_eq_u32_e64 s4, 2, v69
	v_cmp_eq_u32_e64 s5, 3, v69
	;; [unrolled: 1-line block ×3, first 2 shown]
	ds_load_2addr_b32 v[70:71], v98 offset1:17
	ds_load_2addr_b32 v[72:73], v98 offset0:34 offset1:51
	ds_load_2addr_b32 v[74:75], v98 offset0:68 offset1:85
	;; [unrolled: 1-line block ×3, first 2 shown]
	v_cmp_eq_u32_e64 s7, 5, v69
	v_cmp_eq_u32_e64 s8, 7, v69
	s_waitcnt lgkmcnt(3)
	v_max3_f32 v76, v70, 0xff7fffff, v71
	s_waitcnt lgkmcnt(2)
	s_delay_alu instid0(VALU_DEP_1) | instskip(SKIP_1) | instid1(VALU_DEP_1)
	v_max3_f32 v76, v76, v72, v73
	s_waitcnt lgkmcnt(1)
	v_max3_f32 v76, v76, v74, v75
	s_waitcnt lgkmcnt(0)
	s_delay_alu instid0(VALU_DEP_1) | instskip(NEXT) | instid1(VALU_DEP_1)
	v_max3_f32 v76, v76, v94, v95
	v_sub_f32_e32 v77, v71, v76
	ds_load_2addr_b32 v[96:97], v98 offset0:136 offset1:153
	v_sub_f32_e32 v74, v74, v76
	v_sub_f32_e32 v70, v70, v76
	;; [unrolled: 1-line block ×3, first 2 shown]
	v_dual_sub_f32 v72, v72, v76 :: v_dual_mul_f32 v77, 0x3fb8aa3b, v77
	s_delay_alu instid0(VALU_DEP_4) | instskip(NEXT) | instid1(VALU_DEP_4)
	v_mul_f32_e32 v103, 0x3fb8aa3b, v74
	v_mul_f32_e32 v99, 0x3fb8aa3b, v70
	ds_load_2addr_b32 v[70:71], v98 offset0:170 offset1:187
	v_dual_mul_f32 v101, 0x3fb8aa3b, v72 :: v_dual_mul_f32 v94, 0x3fb8aa3b, v94
	v_exp_f32_e32 v102, v77
	v_exp_f32_e32 v99, v99
	s_delay_alu instid0(VALU_DEP_1) | instskip(NEXT) | instid1(VALU_DEP_1)
	v_exp_f32_e32 v101, v101
	v_exp_f32_e32 v94, v94
	s_waitcnt lgkmcnt(1)
	s_delay_alu instid0(TRANS32_DEP_3)
	v_fma_f32 v77, v99, v96, 0
	v_sub_f32_e32 v100, v73, v76
	ds_load_2addr_b32 v[72:73], v98 offset0:204 offset1:221
	v_fmac_f32_e32 v77, v102, v97
	v_exp_f32_e32 v97, v103
	s_waitcnt lgkmcnt(1)
	s_delay_alu instid0(VALU_DEP_1)
	v_dual_fmac_f32 v77, v101, v70 :: v_dual_sub_f32 v96, v75, v76
	ds_load_2addr_b32 v[74:75], v98 offset0:238 offset1:255
	v_sub_f32_e32 v70, v95, v76
	s_waitcnt lgkmcnt(0)
	s_barrier
	v_mul_f32_e32 v96, 0x3fb8aa3b, v96
	buffer_gl0_inv
	v_exp_f32_e32 v95, v96
	v_mul_f32_e32 v100, 0x3fb8aa3b, v100
	s_delay_alu instid0(VALU_DEP_1) | instskip(SKIP_3) | instid1(VALU_DEP_2)
	v_exp_f32_e32 v100, v100
	s_waitcnt_depctr 0xfff
	v_dual_fmac_f32 v77, v100, v71 :: v_dual_mul_f32 v70, 0x3fb8aa3b, v70
	v_cndmask_b32_e32 v71, v99, v102, vcc_lo
	v_fmac_f32_e32 v77, v97, v72
	s_delay_alu instid0(VALU_DEP_3) | instskip(NEXT) | instid1(VALU_DEP_1)
	v_exp_f32_e32 v96, v70
	v_fmac_f32_e32 v77, v95, v73
	s_delay_alu instid0(VALU_DEP_1) | instskip(SKIP_2) | instid1(VALU_DEP_1)
	v_fmac_f32_e32 v77, v94, v74
	s_waitcnt_depctr 0xfff
	v_fmac_f32_e32 v77, v96, v75
	v_add_f32_e32 v74, 0x358637bd, v77
	s_delay_alu instid0(VALU_DEP_1) | instskip(SKIP_1) | instid1(VALU_DEP_2)
	v_div_scale_f32 v98, null, v74, v74, 1.0
	v_div_scale_f32 v99, vcc_lo, 1.0, v74, 1.0
	v_rcp_f32_e32 v103, v98
	s_waitcnt_depctr 0xfff
	v_fma_f32 v70, -v98, v103, 1.0
	s_delay_alu instid0(VALU_DEP_1) | instskip(SKIP_2) | instid1(VALU_DEP_2)
	v_fmac_f32_e32 v103, v70, v103
	v_cndmask_b32_e64 v70, v71, v101, s4
	v_cmp_eq_u32_e64 s4, 6, v69
	v_cndmask_b32_e64 v71, v70, v100, s5
	s_delay_alu instid0(VALU_DEP_4) | instskip(NEXT) | instid1(VALU_DEP_2)
	v_dual_mul_f32 v101, v99, v103 :: v_dual_lshlrev_b32 v70, 2, v66
	v_cndmask_b32_e64 v71, v71, v97, s6
	s_delay_alu instid0(VALU_DEP_2) | instskip(NEXT) | instid1(VALU_DEP_3)
	v_or_b32_e32 v72, 1, v70
	v_fma_f32 v100, -v98, v101, v99
	v_cmp_eq_u32_e64 s5, 1, v70
	v_cmp_eq_u32_e64 s6, 2, v70
	v_cndmask_b32_e64 v95, v71, v95, s7
	v_or_b32_e32 v71, 3, v70
	v_fmac_f32_e32 v101, v100, v103
	v_cmp_eq_u32_e64 s10, 1, v72
	v_cmp_eq_u32_e64 s13, 2, v72
	v_cndmask_b32_e64 v94, v95, v94, s4
	v_cmp_eq_u32_e64 s12, 1, v71
	v_fma_f32 v97, -v98, v101, v99
	v_cmp_eq_u32_e64 s17, 2, v71
	v_cmp_eq_u32_e64 s15, 3, v72
	v_cndmask_b32_e64 v94, v94, v96, s8
	v_cmp_eq_u32_e64 s19, 3, v71
	v_div_fmas_f32 v95, v97, v103, v101
	v_cmp_eq_u32_e32 vcc_lo, 3, v70
	v_cmp_eq_u32_e64 s4, 4, v70
	v_cmp_eq_u32_e64 s20, 4, v72
	;; [unrolled: 1-line block ×3, first 2 shown]
	v_div_fixup_f32 v95, v95, v74, 1.0
	v_lshlrev_b32_e32 v73, 6, v68
	v_cmp_eq_u32_e64 s7, 5, v70
	v_cmp_eq_u32_e64 s21, 5, v72
	;; [unrolled: 1-line block ×3, first 2 shown]
	v_mul_f32_e32 v102, v94, v95
	v_lshl_or_b32 v75, v69, 11, v73
	v_or_b32_e32 v69, 2, v70
	v_cmp_eq_u32_e64 s26, 6, v72
	v_cmp_eq_u32_e64 s28, 6, v71
	v_fma_mixlo_f16 v94, v102, v79, 0
	v_fma_mixlo_f16 v95, v102, v81, 0
	;; [unrolled: 1-line block ×8, first 2 shown]
	v_lshl_or_b32 v74, v66, 4, v75
	v_fma_mixhi_f16 v94, v102, v78, 0
	v_fma_mixhi_f16 v95, v102, v80, 0
	;; [unrolled: 1-line block ×8, first 2 shown]
	ds_store_b128 v74, v[94:97]
	ds_store_b128 v74, v[98:101] offset:1024
	s_waitcnt lgkmcnt(0)
	s_barrier
	buffer_gl0_inv
	ds_load_b128 v[78:81], v75
	ds_load_b128 v[82:85], v75 offset:16
	ds_load_b128 v[86:89], v75 offset:1024
	;; [unrolled: 1-line block ×3, first 2 shown]
	v_cmp_eq_u32_e64 s11, 1, v69
	v_cmp_eq_u32_e64 s16, 2, v69
	;; [unrolled: 1-line block ×11, first 2 shown]
	s_waitcnt lgkmcnt(3)
	v_lshrrev_b32_e32 v94, 16, v78
	s_waitcnt lgkmcnt(2)
	v_lshrrev_b32_e32 v98, 16, v82
	;; [unrolled: 2-line block ×4, first 2 shown]
	v_lshrrev_b32_e32 v95, 16, v79
	v_cndmask_b32_e64 v110, v78, v94, s5
	v_cndmask_b32_e64 v111, v82, v98, s5
	;; [unrolled: 1-line block ×8, first 2 shown]
	v_lshrrev_b32_e32 v99, 16, v83
	v_cndmask_b32_e64 v94, v86, v102, s5
	v_cndmask_b32_e64 v98, v90, v106, s5
	;; [unrolled: 1-line block ×15, first 2 shown]
	v_lshrrev_b32_e32 v103, 16, v87
	v_lshrrev_b32_e32 v107, 16, v91
	v_cndmask_b32_e64 v113, v115, v83, s16
	v_cndmask_b32_e64 v82, v94, v87, s6
	;; [unrolled: 1-line block ×7, first 2 shown]
	v_cndmask_b32_e32 v90, v102, v95, vcc_lo
	v_cndmask_b32_e32 v102, v106, v99, vcc_lo
	v_cndmask_b32_e64 v106, v110, v95, s15
	v_cndmask_b32_e64 v110, v111, v99, s15
	;; [unrolled: 1-line block ×4, first 2 shown]
	v_lshrrev_b32_e32 v96, 16, v80
	v_lshrrev_b32_e32 v100, 16, v84
	v_cndmask_b32_e64 v111, v112, v95, s18
	v_cndmask_b32_e64 v112, v113, v99, s18
	v_cndmask_b32_e32 v82, v82, v103, vcc_lo
	v_cndmask_b32_e32 v83, v83, v107, vcc_lo
	v_cndmask_b32_e64 v94, v94, v103, s15
	v_cndmask_b32_e64 v90, v90, v80, s4
	;; [unrolled: 1-line block ×7, first 2 shown]
	v_lshrrev_b32_e32 v104, 16, v88
	v_cndmask_b32_e64 v106, v111, v80, s22
	v_cndmask_b32_e64 v110, v112, v84, s22
	;; [unrolled: 1-line block ×11, first 2 shown]
	v_lshrrev_b32_e32 v97, 16, v81
	v_lshrrev_b32_e32 v101, 16, v85
	v_cndmask_b32_e64 v99, v106, v96, s24
	v_cndmask_b32_e64 v102, v110, v100, s24
	;; [unrolled: 1-line block ×7, first 2 shown]
	v_lshrrev_b32_e32 v105, 16, v89
	v_cndmask_b32_e64 v80, v80, v104, s7
	v_cndmask_b32_e64 v84, v84, v81, s8
	v_cndmask_b32_e64 v90, v90, v85, s8
	v_cndmask_b32_e64 v96, v99, v81, s27
	v_cndmask_b32_e64 v99, v102, v85, s27
	v_cndmask_b32_e64 v81, v83, v89, s26
	v_cndmask_b32_e64 v85, v94, v97, s31
	v_cndmask_b32_e64 v78, v78, v97, s30
	v_cndmask_b32_e64 v79, v79, v101, s30
	v_cndmask_b32_e64 v95, v95, v101, s31
	v_cndmask_b32_e64 v80, v80, v89, s8
	v_cndmask_b32_e64 v83, v84, v97, s9
	v_cndmask_b32_e64 v84, v90, v101, s9
	v_cndmask_b32_e64 v90, v96, v97, s29
	v_cndmask_b32_e64 v94, v99, v101, s29
	v_cndmask_b32_e64 v97, v81, v105, s31
	v_perm_b32 v81, v79, v78, 0x5040100
	v_perm_b32 v79, v95, v85, 0x5040100
	v_cndmask_b32_e64 v78, v119, v91, s16
	v_cndmask_b32_e64 v85, v117, v91, s13
	;; [unrolled: 1-line block ×3, first 2 shown]
	v_perm_b32 v80, v94, v90, 0x5040100
	v_cndmask_b32_e64 v90, v98, v103, s18
	v_cndmask_b32_e64 v86, v86, v103, s19
	;; [unrolled: 1-line block ×5, first 2 shown]
	v_lshrrev_b32_e32 v108, 16, v92
	v_cndmask_b32_e64 v90, v90, v88, s22
	v_cndmask_b32_e64 v86, v86, v88, s23
	;; [unrolled: 1-line block ×11, first 2 shown]
	v_lshrrev_b32_e32 v109, 16, v93
	v_cndmask_b32_e64 v82, v82, v93, s8
	v_cndmask_b32_e64 v88, v88, v89, s27
	;; [unrolled: 1-line block ×12, first 2 shown]
	v_perm_b32 v78, v84, v83, 0x5040100
	v_perm_b32 v85, v87, v86, 0x5040100
	;; [unrolled: 1-line block ×5, first 2 shown]
	s_mul_i32 s9, s35, 9
	s_mov_b32 s4, exec_lo
	ds_store_b128 v74, v[78:81]
	ds_store_b128 v74, v[82:85] offset:1024
	v_cmpx_gt_u32_e32 9, v0
	s_cbranch_execz .LBB1094_14
; %bb.13:
	s_mul_i32 s5, s9, s34
	s_load_b128 s[16:19], s[0:1], 0x58
	v_add3_u32 v68, s5, s33, v68
	s_delay_alu instid0(VALU_DEP_1) | instskip(NEXT) | instid1(VALU_DEP_1)
	v_mad_u64_u32 v[78:79], null, v68, s36, s[14:15]
	v_ashrrev_i32_e32 v79, 31, v78
	s_delay_alu instid0(VALU_DEP_1) | instskip(SKIP_1) | instid1(VALU_DEP_1)
	v_lshlrev_b64 v[78:79], 2, v[78:79]
	s_waitcnt lgkmcnt(0)
	v_add_co_u32 v80, vcc_lo, s18, v78
	s_delay_alu instid0(VALU_DEP_2)
	v_add_co_ci_u32_e32 v81, vcc_lo, s19, v79, vcc_lo
	v_add_co_u32 v78, vcc_lo, s16, v78
	v_add_co_ci_u32_e32 v79, vcc_lo, s17, v79, vcc_lo
	global_store_b32 v[80:81], v76, off
	global_store_b32 v[78:79], v77, off
.LBB1094_14:
	s_or_b32 exec_lo, exec_lo, s4
	s_waitcnt lgkmcnt(0)
	s_waitcnt_vscnt null, 0x0
	s_barrier
	buffer_gl0_inv
	ds_load_b128 v[84:87], v73
	ds_load_b128 v[88:91], v73 offset:16
	ds_load_b128 v[96:99], v73 offset:2064
	;; [unrolled: 1-line block ×5, first 2 shown]
	v_cmp_eq_u32_e32 vcc_lo, 1, v70
	v_mov_b32_e32 v76, 0
	ds_load_b128 v[112:115], v73 offset:6160
	ds_load_b128 v[108:111], v73 offset:6144
	;; [unrolled: 1-line block ×4, first 2 shown]
	v_cmp_eq_u32_e64 s5, 1, v69
	v_cmp_eq_u32_e64 s4, 1, v72
	;; [unrolled: 1-line block ×3, first 2 shown]
	v_mov_b32_e32 v77, v76
	v_mov_b32_e32 v78, v76
	;; [unrolled: 1-line block ×7, first 2 shown]
	v_cmp_eq_u32_e64 s7, 3, v72
	v_cmp_eq_u32_e64 s8, 7, v72
	s_waitcnt lgkmcnt(8)
	s_delay_alu instid0(VALU_DEP_3)
	v_wmma_f32_16x16x16_f16 v[76:83], v[49:56], v[84:91], v[76:83]
	ds_load_b128 v[53:56], v73 offset:10256
	ds_load_b128 v[49:52], v73 offset:10240
	s_waitcnt lgkmcnt(8)
	v_wmma_f32_16x16x16_f16 v[76:83], v[41:48], v[92:99], v[76:83]
	ds_load_b128 v[45:48], v73 offset:12304
	ds_load_b128 v[41:44], v73 offset:12288
	s_waitcnt lgkmcnt(8)
	;; [unrolled: 4-line block ×3, first 2 shown]
	s_barrier
	buffer_gl0_inv
	v_wmma_f32_16x16x16_f16 v[76:83], v[1:8], v[108:115], v[76:83]
	s_delay_alu instid0(VALU_DEP_1) | instskip(NEXT) | instid1(VALU_DEP_1)
	v_wmma_f32_16x16x16_f16 v[76:83], v[9:16], v[116:123], v[76:83]
	v_wmma_f32_16x16x16_f16 v[76:83], v[17:24], v[49:56], v[76:83]
	s_delay_alu instid0(VALU_DEP_1) | instskip(NEXT) | instid1(VALU_DEP_1)
	v_wmma_f32_16x16x16_f16 v[76:83], v[25:32], v[41:48], v[76:83]
	v_wmma_f32_16x16x16_f16 v[76:83], v[57:64], v[33:40], v[76:83]
	s_delay_alu instid0(VALU_DEP_1) | instskip(NEXT) | instid1(VALU_DEP_2)
	v_cvt_f16_f32_e32 v1, v76
	v_cvt_f16_f32_e32 v2, v77
	s_delay_alu instid0(VALU_DEP_3) | instskip(NEXT) | instid1(VALU_DEP_4)
	v_cvt_f16_f32_e32 v3, v78
	v_cvt_f16_f32_e32 v4, v79
	;; [unrolled: 1-line block ×6, first 2 shown]
	v_pack_b32_f16 v1, v1, v2
	v_pack_b32_f16 v2, v3, v4
	;; [unrolled: 1-line block ×3, first 2 shown]
	s_delay_alu instid0(VALU_DEP_4)
	v_pack_b32_f16 v4, v7, v8
	ds_store_b128 v74, v[1:4]
	s_waitcnt lgkmcnt(0)
	s_barrier
	buffer_gl0_inv
	ds_load_b128 v[1:4], v75
	ds_load_b128 v[5:8], v75 offset:16
	s_waitcnt lgkmcnt(1)
	v_lshrrev_b32_e32 v9, 16, v1
	s_waitcnt lgkmcnt(0)
	v_lshrrev_b32_e32 v13, 16, v5
	v_lshrrev_b32_e32 v10, 16, v2
	;; [unrolled: 1-line block ×4, first 2 shown]
	v_cndmask_b32_e32 v17, v1, v9, vcc_lo
	v_cndmask_b32_e32 v18, v5, v13, vcc_lo
	v_cndmask_b32_e64 v21, v1, v9, s5
	v_cmp_eq_u32_e32 vcc_lo, 1, v71
	v_cndmask_b32_e64 v22, v5, v13, s5
	v_cmp_eq_u32_e64 s5, 2, v70
	v_cndmask_b32_e64 v19, v1, v9, s4
	v_cndmask_b32_e64 v20, v5, v13, s4
	v_cndmask_b32_e32 v1, v1, v9, vcc_lo
	v_cmp_eq_u32_e64 s4, 2, v71
	v_cndmask_b32_e32 v5, v5, v13, vcc_lo
	v_cndmask_b32_e64 v9, v17, v2, s5
	v_cmp_eq_u32_e32 vcc_lo, 3, v70
	v_cndmask_b32_e64 v13, v18, v6, s5
	v_cmp_eq_u32_e64 s5, 2, v69
	v_cndmask_b32_e64 v17, v19, v2, s6
	v_cndmask_b32_e64 v18, v20, v6, s6
	v_cmp_eq_u32_e64 s6, 3, v69
	v_cndmask_b32_e64 v1, v1, v2, s4
	v_cndmask_b32_e64 v19, v21, v2, s5
	;; [unrolled: 1-line block ×4, first 2 shown]
	v_cndmask_b32_e32 v5, v9, v10, vcc_lo
	v_cndmask_b32_e32 v6, v13, v14, vcc_lo
	v_cmp_eq_u32_e32 vcc_lo, 3, v71
	v_cndmask_b32_e64 v9, v17, v10, s7
	v_cndmask_b32_e64 v13, v18, v14, s7
	;; [unrolled: 1-line block ×3, first 2 shown]
	v_cmp_eq_u32_e64 s5, 4, v70
	v_cndmask_b32_e32 v1, v1, v10, vcc_lo
	v_cndmask_b32_e32 v2, v2, v14, vcc_lo
	v_cmp_eq_u32_e32 vcc_lo, 4, v72
	v_lshrrev_b32_e32 v15, 16, v7
	v_lshrrev_b32_e32 v16, 16, v8
	v_cndmask_b32_e64 v17, v19, v10, s6
	v_cmp_eq_u32_e64 s4, 4, v71
	v_cndmask_b32_e64 v5, v5, v3, s5
	v_cndmask_b32_e64 v6, v6, v7, s5
	v_cndmask_b32_e32 v9, v9, v3, vcc_lo
	v_cmp_eq_u32_e64 s5, 5, v72
	v_cndmask_b32_e32 v10, v13, v7, vcc_lo
	v_cmp_eq_u32_e32 vcc_lo, 4, v69
	v_cmp_eq_u32_e64 s6, 5, v70
	v_cndmask_b32_e64 v2, v2, v7, s4
	v_cndmask_b32_e64 v9, v9, v11, s5
	;; [unrolled: 1-line block ×3, first 2 shown]
	v_cndmask_b32_e32 v13, v17, v3, vcc_lo
	v_cmp_eq_u32_e64 s5, 5, v69
	v_cndmask_b32_e32 v14, v18, v7, vcc_lo
	v_cndmask_b32_e64 v1, v1, v3, s4
	v_cmp_eq_u32_e32 vcc_lo, 5, v71
	v_lshrrev_b32_e32 v12, 16, v4
	v_cndmask_b32_e64 v13, v13, v11, s5
	v_cndmask_b32_e64 v3, v14, v15, s5
	v_cmp_eq_u32_e64 s5, 6, v71
	v_cndmask_b32_e32 v1, v1, v11, vcc_lo
	v_cndmask_b32_e64 v5, v5, v11, s6
	v_cmp_eq_u32_e64 s7, 6, v70
	v_cndmask_b32_e64 v6, v6, v15, s6
	v_cmp_eq_u32_e64 s6, 6, v72
	v_cmp_eq_u32_e64 s4, 6, v69
	v_cndmask_b32_e64 v1, v1, v4, s5
	v_cndmask_b32_e32 v2, v2, v15, vcc_lo
	v_cmp_eq_u32_e32 vcc_lo, 7, v71
	v_cndmask_b32_e64 v5, v5, v4, s7
	v_cndmask_b32_e64 v9, v9, v4, s6
	;; [unrolled: 1-line block ×3, first 2 shown]
	v_cmp_eq_u32_e64 s7, 7, v70
	v_cndmask_b32_e32 v1, v1, v12, vcc_lo
	v_cndmask_b32_e64 v7, v13, v4, s4
	v_cndmask_b32_e64 v3, v3, v8, s4
	;; [unrolled: 1-line block ×3, first 2 shown]
	v_cmp_eq_u32_e64 s4, 7, v69
	v_cndmask_b32_e64 v4, v10, v8, s6
	v_cndmask_b32_e64 v5, v5, v12, s7
	;; [unrolled: 1-line block ×3, first 2 shown]
	v_cndmask_b32_e32 v2, v2, v16, vcc_lo
	v_cndmask_b32_e64 v7, v7, v12, s4
	v_cndmask_b32_e64 v3, v3, v16, s4
	;; [unrolled: 1-line block ×4, first 2 shown]
	v_cmp_gt_u32_e32 vcc_lo, 32, v0
	v_perm_b32 v4, v2, v1, 0x5040100
	v_perm_b32 v3, v3, v7, 0x5040100
	;; [unrolled: 1-line block ×4, first 2 shown]
	s_and_b32 s2, vcc_lo, s2
	ds_store_b128 v74, v[1:4]
	s_waitcnt lgkmcnt(0)
	s_barrier
	buffer_gl0_inv
	s_and_saveexec_b32 s4, s2
	s_cbranch_execz .LBB1094_2
; %bb.15:
	s_load_b64 s[4:5], s[0:1], 0x68
	v_lshlrev_b32_e32 v0, 10, v0
	v_lshlrev_b32_e32 v1, 4, v67
	s_lshl_b32 s0, s36, 6
	v_add_nc_u32_e32 v2, s33, v66
	s_mul_i32 s1, s0, s34
	s_delay_alu instid0(SALU_CYCLE_1) | instskip(SKIP_1) | instid1(VALU_DEP_2)
	s_mul_i32 s6, s1, s9
	v_and_or_b32 v0, 0x3800, v0, v1
	v_mul_lo_u32 v1, v2, s0
	s_ashr_i32 s7, s6, 31
	v_add_nc_u32_e32 v3, 2, v2
	s_lshl_b64 s[6:7], s[6:7], 1
	v_add_nc_u32_e32 v4, 4, v2
	v_add_nc_u32_e32 v5, 6, v2
	v_lshl_or_b32 v15, v66, 6, v0
	v_mul_lo_u32 v3, v3, s0
	v_ashrrev_i32_e32 v2, 31, v1
	v_mul_lo_u32 v19, v4, s0
	v_mul_lo_u32 v21, v5, s0
	s_waitcnt lgkmcnt(0)
	s_add_u32 s1, s4, s6
	s_addc_u32 s2, s5, s7
	s_lshl_b32 s4, s14, 6
	v_lshlrev_b64 v[5:6], 1, v[1:2]
	s_ashr_i32 s5, s4, 31
	v_ashrrev_i32_e32 v4, 31, v3
	s_lshl_b64 s[4:5], s[4:5], 1
	v_ashrrev_i32_e32 v20, 31, v19
	s_add_u32 s1, s1, s4
	s_addc_u32 s2, s2, s5
	v_add_co_u32 v1, s1, s1, v65
	s_delay_alu instid0(VALU_DEP_1) | instskip(SKIP_1) | instid1(VALU_DEP_3)
	v_add_co_ci_u32_e64 v2, null, s2, 0, s1
	v_lshlrev_b64 v[25:26], 1, v[3:4]
	v_add_co_u32 v23, vcc_lo, v1, v5
	s_delay_alu instid0(VALU_DEP_3)
	v_add_co_ci_u32_e32 v24, vcc_lo, v2, v6, vcc_lo
	ds_load_b128 v[3:6], v15
	ds_load_b128 v[7:10], v15 offset:128
	ds_load_b128 v[11:14], v15 offset:256
	;; [unrolled: 1-line block ×3, first 2 shown]
	v_ashrrev_i32_e32 v22, 31, v21
	v_lshlrev_b64 v[19:20], 1, v[19:20]
	v_add_co_u32 v25, vcc_lo, v1, v25
	v_add_co_ci_u32_e32 v26, vcc_lo, v2, v26, vcc_lo
	s_delay_alu instid0(VALU_DEP_4) | instskip(NEXT) | instid1(VALU_DEP_4)
	v_lshlrev_b64 v[21:22], 1, v[21:22]
	v_add_co_u32 v19, vcc_lo, v1, v19
	v_add_co_ci_u32_e32 v20, vcc_lo, v2, v20, vcc_lo
	s_delay_alu instid0(VALU_DEP_3) | instskip(NEXT) | instid1(VALU_DEP_4)
	v_add_co_u32 v21, vcc_lo, v1, v21
	v_add_co_ci_u32_e32 v22, vcc_lo, v2, v22, vcc_lo
	s_waitcnt lgkmcnt(3)
	global_store_b128 v[23:24], v[3:6], off
	s_waitcnt lgkmcnt(2)
	global_store_b128 v[25:26], v[7:10], off
	;; [unrolled: 2-line block ×4, first 2 shown]
	s_and_b32 exec_lo, exec_lo, s3
	s_cbranch_execz .LBB1094_2
; %bb.16:
	ds_load_b128 v[3:6], v0 offset:512
	s_add_i32 s1, s33, 8
	s_delay_alu instid0(SALU_CYCLE_1) | instskip(NEXT) | instid1(SALU_CYCLE_1)
	s_mul_i32 s0, s1, s0
	s_ashr_i32 s1, s0, 31
	s_delay_alu instid0(SALU_CYCLE_1) | instskip(NEXT) | instid1(SALU_CYCLE_1)
	s_lshl_b64 s[0:1], s[0:1], 1
	v_add_co_u32 v0, vcc_lo, v1, s0
	v_add_co_ci_u32_e32 v1, vcc_lo, s1, v2, vcc_lo
	s_waitcnt lgkmcnt(0)
	global_store_b128 v[0:1], v[3:6], off
	s_nop 0
	s_sendmsg sendmsg(MSG_DEALLOC_VGPRS)
	s_endpgm
	.section	.rodata,"a",@progbits
	.p2align	6, 0x0
	.amdhsa_kernel _Z39paged_attention_ll4mi_QKV_mfma16_kernelIDF16_hLN4vllm18Fp8KVCacheDataTypeE1EhLi16ELi64ELi256ELb1ELi9EL8MFMAType0EEvPKT_PKT0_S8_ifPKiSA_SA_iPKfiiiPfSD_PS3_PT2_iSC_SC_
		.amdhsa_group_segment_fixed_size 17472
		.amdhsa_private_segment_fixed_size 0
		.amdhsa_kernarg_size 400
		.amdhsa_user_sgpr_count 13
		.amdhsa_user_sgpr_dispatch_ptr 0
		.amdhsa_user_sgpr_queue_ptr 0
		.amdhsa_user_sgpr_kernarg_segment_ptr 1
		.amdhsa_user_sgpr_dispatch_id 0
		.amdhsa_user_sgpr_private_segment_size 0
		.amdhsa_wavefront_size32 1
		.amdhsa_uses_dynamic_stack 0
		.amdhsa_enable_private_segment 0
		.amdhsa_system_sgpr_workgroup_id_x 1
		.amdhsa_system_sgpr_workgroup_id_y 1
		.amdhsa_system_sgpr_workgroup_id_z 1
		.amdhsa_system_sgpr_workgroup_info 0
		.amdhsa_system_vgpr_workitem_id 0
		.amdhsa_next_free_vgpr 146
		.amdhsa_next_free_sgpr 37
		.amdhsa_reserve_vcc 1
		.amdhsa_float_round_mode_32 0
		.amdhsa_float_round_mode_16_64 0
		.amdhsa_float_denorm_mode_32 3
		.amdhsa_float_denorm_mode_16_64 3
		.amdhsa_dx10_clamp 1
		.amdhsa_ieee_mode 1
		.amdhsa_fp16_overflow 0
		.amdhsa_workgroup_processor_mode 1
		.amdhsa_memory_ordered 1
		.amdhsa_forward_progress 0
		.amdhsa_shared_vgpr_count 0
		.amdhsa_exception_fp_ieee_invalid_op 0
		.amdhsa_exception_fp_denorm_src 0
		.amdhsa_exception_fp_ieee_div_zero 0
		.amdhsa_exception_fp_ieee_overflow 0
		.amdhsa_exception_fp_ieee_underflow 0
		.amdhsa_exception_fp_ieee_inexact 0
		.amdhsa_exception_int_div_zero 0
	.end_amdhsa_kernel
	.section	.text._Z39paged_attention_ll4mi_QKV_mfma16_kernelIDF16_hLN4vllm18Fp8KVCacheDataTypeE1EhLi16ELi64ELi256ELb1ELi9EL8MFMAType0EEvPKT_PKT0_S8_ifPKiSA_SA_iPKfiiiPfSD_PS3_PT2_iSC_SC_,"axG",@progbits,_Z39paged_attention_ll4mi_QKV_mfma16_kernelIDF16_hLN4vllm18Fp8KVCacheDataTypeE1EhLi16ELi64ELi256ELb1ELi9EL8MFMAType0EEvPKT_PKT0_S8_ifPKiSA_SA_iPKfiiiPfSD_PS3_PT2_iSC_SC_,comdat
.Lfunc_end1094:
	.size	_Z39paged_attention_ll4mi_QKV_mfma16_kernelIDF16_hLN4vllm18Fp8KVCacheDataTypeE1EhLi16ELi64ELi256ELb1ELi9EL8MFMAType0EEvPKT_PKT0_S8_ifPKiSA_SA_iPKfiiiPfSD_PS3_PT2_iSC_SC_, .Lfunc_end1094-_Z39paged_attention_ll4mi_QKV_mfma16_kernelIDF16_hLN4vllm18Fp8KVCacheDataTypeE1EhLi16ELi64ELi256ELb1ELi9EL8MFMAType0EEvPKT_PKT0_S8_ifPKiSA_SA_iPKfiiiPfSD_PS3_PT2_iSC_SC_
                                        ; -- End function
	.section	.AMDGPU.csdata,"",@progbits
; Kernel info:
; codeLenInByte = 6576
; NumSgprs: 39
; NumVgprs: 146
; ScratchSize: 0
; MemoryBound: 0
; FloatMode: 240
; IeeeMode: 1
; LDSByteSize: 17472 bytes/workgroup (compile time only)
; SGPRBlocks: 4
; VGPRBlocks: 18
; NumSGPRsForWavesPerEU: 39
; NumVGPRsForWavesPerEU: 146
; Occupancy: 9
; WaveLimiterHint : 1
; COMPUTE_PGM_RSRC2:SCRATCH_EN: 0
; COMPUTE_PGM_RSRC2:USER_SGPR: 13
; COMPUTE_PGM_RSRC2:TRAP_HANDLER: 0
; COMPUTE_PGM_RSRC2:TGID_X_EN: 1
; COMPUTE_PGM_RSRC2:TGID_Y_EN: 1
; COMPUTE_PGM_RSRC2:TGID_Z_EN: 1
; COMPUTE_PGM_RSRC2:TIDIG_COMP_CNT: 0
	.section	.text._Z39paged_attention_ll4mi_QKV_mfma16_kernelIDF16_hLN4vllm18Fp8KVCacheDataTypeE1EhLi16ELi64ELi256ELb1ELi10EL8MFMAType0EEvPKT_PKT0_S8_ifPKiSA_SA_iPKfiiiPfSD_PS3_PT2_iSC_SC_,"axG",@progbits,_Z39paged_attention_ll4mi_QKV_mfma16_kernelIDF16_hLN4vllm18Fp8KVCacheDataTypeE1EhLi16ELi64ELi256ELb1ELi10EL8MFMAType0EEvPKT_PKT0_S8_ifPKiSA_SA_iPKfiiiPfSD_PS3_PT2_iSC_SC_,comdat
	.protected	_Z39paged_attention_ll4mi_QKV_mfma16_kernelIDF16_hLN4vllm18Fp8KVCacheDataTypeE1EhLi16ELi64ELi256ELb1ELi10EL8MFMAType0EEvPKT_PKT0_S8_ifPKiSA_SA_iPKfiiiPfSD_PS3_PT2_iSC_SC_ ; -- Begin function _Z39paged_attention_ll4mi_QKV_mfma16_kernelIDF16_hLN4vllm18Fp8KVCacheDataTypeE1EhLi16ELi64ELi256ELb1ELi10EL8MFMAType0EEvPKT_PKT0_S8_ifPKiSA_SA_iPKfiiiPfSD_PS3_PT2_iSC_SC_
	.globl	_Z39paged_attention_ll4mi_QKV_mfma16_kernelIDF16_hLN4vllm18Fp8KVCacheDataTypeE1EhLi16ELi64ELi256ELb1ELi10EL8MFMAType0EEvPKT_PKT0_S8_ifPKiSA_SA_iPKfiiiPfSD_PS3_PT2_iSC_SC_
	.p2align	8
	.type	_Z39paged_attention_ll4mi_QKV_mfma16_kernelIDF16_hLN4vllm18Fp8KVCacheDataTypeE1EhLi16ELi64ELi256ELb1ELi10EL8MFMAType0EEvPKT_PKT0_S8_ifPKiSA_SA_iPKfiiiPfSD_PS3_PT2_iSC_SC_,@function
_Z39paged_attention_ll4mi_QKV_mfma16_kernelIDF16_hLN4vllm18Fp8KVCacheDataTypeE1EhLi16ELi64ELi256ELb1ELi10EL8MFMAType0EEvPKT_PKT0_S8_ifPKiSA_SA_iPKfiiiPfSD_PS3_PT2_iSC_SC_: ; @_Z39paged_attention_ll4mi_QKV_mfma16_kernelIDF16_hLN4vllm18Fp8KVCacheDataTypeE1EhLi16ELi64ELi256ELb1ELi10EL8MFMAType0EEvPKT_PKT0_S8_ifPKiSA_SA_iPKfiiiPfSD_PS3_PT2_iSC_SC_
; %bb.0:
	s_load_b64 s[2:3], s[0:1], 0x30
	s_mov_b32 s34, s13
	s_waitcnt lgkmcnt(0)
	s_cmp_lg_u64 s[2:3], 0
	s_cselect_b32 s6, -1, 0
	s_ashr_i32 s35, s13, 31
	s_cmp_eq_u64 s[2:3], 0
	s_cbranch_scc1 .LBB1095_3
; %bb.1:
	s_lshl_b64 s[4:5], s[34:35], 2
	s_delay_alu instid0(SALU_CYCLE_1) | instskip(SKIP_4) | instid1(SALU_CYCLE_1)
	s_add_u32 s4, s2, s4
	s_addc_u32 s5, s3, s5
	s_load_b64 s[4:5], s[4:5], 0x0
	s_waitcnt lgkmcnt(0)
	s_sub_i32 s4, s5, s4
	s_cmp_eq_u32 s4, 1
	s_cselect_b32 s4, -1, 0
	s_delay_alu instid0(SALU_CYCLE_1)
	s_and_not1_b32 vcc_lo, exec_lo, s4
	s_cbranch_vccz .LBB1095_4
.LBB1095_2:
	s_endpgm
.LBB1095_3:
.LBB1095_4:
	s_load_b64 s[8:9], s[0:1], 0x28
	s_lshl_b64 s[4:5], s[34:35], 2
	s_waitcnt lgkmcnt(0)
	s_add_u32 s8, s8, s4
	s_addc_u32 s9, s9, s5
	s_lshl_b32 s16, s14, 8
	s_load_b32 s18, s[8:9], 0x0
	s_waitcnt lgkmcnt(0)
	s_cmp_ge_i32 s16, s18
	s_cbranch_scc1 .LBB1095_2
; %bb.5:
	s_clause 0x1
	s_load_b128 s[8:11], s[0:1], 0x8
	s_load_b64 s[12:13], s[0:1], 0x20
	s_and_not1_b32 vcc_lo, exec_lo, s6
	s_cbranch_vccnz .LBB1095_7
; %bb.6:
	s_add_u32 s2, s2, s4
	s_addc_u32 s3, s3, s5
	s_load_b32 s3, s[2:3], 0x0
	s_branch .LBB1095_8
.LBB1095_7:
	s_mov_b32 s3, s34
.LBB1095_8:
	s_load_b128 s[4:7], s[0:1], 0x48
	v_and_b32_e32 v68, 15, v0
	v_cmp_gt_u32_e32 vcc_lo, 0xa0, v0
	v_lshrrev_b32_e32 v69, 5, v0
	v_and_b32_e32 v70, 31, v0
	v_and_b32_e32 v67, 1, v0
	v_lshlrev_b32_e32 v1, 3, v68
	v_cmp_gt_u32_e64 s2, 8, v68
	v_bfe_u32 v66, v0, 4, 1
	s_mul_i32 s31, s15, 10
	s_delay_alu instid0(VALU_DEP_3) | instskip(NEXT) | instid1(VALU_DEP_3)
	v_lshlrev_b32_e32 v65, 1, v1
	s_and_b32 s17, vcc_lo, s2
	s_waitcnt lgkmcnt(0)
	s_and_saveexec_b32 s7, s17
	s_cbranch_execz .LBB1095_10
; %bb.9:
	s_load_b64 s[20:21], s[0:1], 0x0
	v_lshl_or_b32 v5, v69, 1, v66
	s_mul_hi_i32 s23, s3, s4
	s_mul_i32 s22, s3, s4
	v_lshlrev_b32_e32 v6, 10, v68
	s_lshl_b64 s[22:23], s[22:23], 1
	v_add_lshl_u32 v1, v5, s31, 6
	v_lshlrev_b32_e32 v5, 6, v5
	v_lshlrev_b32_e32 v7, 10, v67
	v_and_b32_e32 v6, 0x3800, v6
	s_delay_alu instid0(VALU_DEP_4) | instskip(NEXT) | instid1(VALU_DEP_2)
	v_ashrrev_i32_e32 v2, 31, v1
	v_or3_b32 v5, v6, v7, v5
	s_delay_alu instid0(VALU_DEP_2) | instskip(SKIP_3) | instid1(VALU_DEP_1)
	v_lshlrev_b64 v[1:2], 1, v[1:2]
	s_waitcnt lgkmcnt(0)
	s_add_u32 s3, s20, s22
	s_addc_u32 s4, s21, s23
	v_add_co_u32 v1, vcc_lo, s3, v1
	s_delay_alu instid0(VALU_DEP_2) | instskip(NEXT) | instid1(VALU_DEP_2)
	v_add_co_ci_u32_e32 v2, vcc_lo, s4, v2, vcc_lo
	v_add_co_u32 v1, vcc_lo, v1, v65
	s_delay_alu instid0(VALU_DEP_2)
	v_add_co_ci_u32_e32 v2, vcc_lo, 0, v2, vcc_lo
	global_load_b128 v[1:4], v[1:2], off
	s_waitcnt vmcnt(0)
	ds_store_b128 v5, v[1:4]
.LBB1095_10:
	s_or_b32 exec_lo, exec_lo, s7
	v_and_b32_e32 v1, 0xef, v0
	s_add_i32 s3, s18, 15
	s_clause 0x1
	s_load_b32 s4, s[0:1], 0x38
	s_load_b32 s33, s[0:1], 0x98
	s_ashr_i32 s7, s3, 31
	v_add_nc_u32_e32 v1, s16, v1
	s_lshr_b32 s7, s7, 28
	s_load_b32 s19, s[0:1], 0x1c
	v_add_nc_u32_e32 v103, -10, v68
	s_add_i32 s3, s3, s7
	v_ashrrev_i32_e32 v2, 31, v1
	v_or_b32_e32 v3, 16, v1
	s_ashr_i32 s3, s3, 4
	v_cmp_gt_i32_e32 vcc_lo, s18, v1
	s_add_i32 s3, s3, -1
	v_lshrrev_b32_e32 v2, 28, v2
	s_waitcnt lgkmcnt(0)
	s_barrier
	buffer_gl0_inv
	s_mul_i32 s15, s15, s6
	v_add_nc_u32_e32 v4, v1, v2
	v_mbcnt_lo_u32_b32 v127, -1, 0
	s_mul_i32 s20, s34, s4
	s_delay_alu instid0(SALU_CYCLE_1) | instskip(NEXT) | instid1(VALU_DEP_2)
	s_ashr_i32 s21, s20, 31
	v_ashrrev_i32_e32 v4, 4, v4
	v_add_nc_u32_e32 v2, v3, v2
	s_lshl_b64 s[20:21], s[20:21], 2
	v_xor_b32_e32 v128, 16, v127
	s_add_u32 s17, s12, s20
	v_cndmask_b32_e32 v1, s3, v4, vcc_lo
	v_ashrrev_i32_e32 v2, 4, v2
	v_cmp_gt_i32_e32 vcc_lo, s18, v3
	s_addc_u32 s13, s13, s21
	s_ashr_i32 s20, s15, 31
	s_add_u32 s4, s8, s15
	s_addc_u32 s12, s9, s20
	v_cndmask_b32_e32 v3, s3, v2, vcc_lo
	v_ashrrev_i32_e32 v2, 31, v1
	s_lshl_b32 s6, s14, 4
	s_delay_alu instid0(SALU_CYCLE_1) | instskip(NEXT) | instid1(VALU_DEP_2)
	s_ashr_i32 s7, s6, 31
	v_ashrrev_i32_e32 v4, 31, v3
	s_delay_alu instid0(VALU_DEP_2) | instskip(SKIP_1) | instid1(SALU_CYCLE_1)
	v_lshlrev_b64 v[1:2], 2, v[1:2]
	s_lshl_b64 s[6:7], s[6:7], 2
	s_add_u32 s6, s17, s6
	s_delay_alu instid0(VALU_DEP_2) | instskip(SKIP_1) | instid1(VALU_DEP_2)
	v_lshlrev_b64 v[3:4], 2, v[3:4]
	s_addc_u32 s7, s13, s7
	v_add_co_u32 v1, vcc_lo, s17, v1
	v_add_co_ci_u32_e32 v2, vcc_lo, s13, v2, vcc_lo
	s_delay_alu instid0(VALU_DEP_3) | instskip(NEXT) | instid1(VALU_DEP_4)
	v_add_co_u32 v3, vcc_lo, s17, v3
	v_add_co_ci_u32_e32 v4, vcc_lo, s13, v4, vcc_lo
	s_clause 0x1
	global_load_b32 v5, v[1:2], off
	global_load_b32 v7, v[3:4], off
	s_or_b32 s8, s16, 32
	v_lshlrev_b32_e32 v1, 4, v0
	s_ashr_i32 s9, s8, 4
	s_cmp_lt_i32 s8, s18
	v_cmp_gt_u32_e32 vcc_lo, 10, v68
	s_cselect_b32 s8, s9, s3
	v_and_b32_e32 v1, 0xf0, v1
	s_ashr_i32 s9, s8, 31
	s_delay_alu instid0(SALU_CYCLE_1)
	s_lshl_b64 s[8:9], s[8:9], 2
	v_cndmask_b32_e32 v103, v103, v68, vcc_lo
	s_add_u32 s8, s17, s8
	s_addc_u32 s9, s13, s9
	s_or_b32 s21, s16, 64
	v_add_co_u32 v1, s4, s4, v1
	s_ashr_i32 s22, s21, 4
	s_cmp_lt_i32 s21, s18
	v_add_co_ci_u32_e64 v2, null, s12, 0, s4
	s_cselect_b32 s22, s22, s3
	v_cmp_gt_i32_e32 vcc_lo, 32, v128
	s_ashr_i32 s23, s22, 31
	v_lshlrev_b32_e32 v115, 6, v103
	s_lshl_b64 s[22:23], s[22:23], 2
	v_cndmask_b32_e32 v136, v127, v128, vcc_lo
	s_add_u32 s22, s17, s22
	s_addc_u32 s23, s13, s23
	s_or_b32 s21, s16, 0x60
	s_delay_alu instid0(SALU_CYCLE_1) | instskip(SKIP_2) | instid1(SALU_CYCLE_1)
	s_ashr_i32 s24, s21, 4
	s_cmp_lt_i32 s21, s18
	s_cselect_b32 s24, s24, s3
	s_ashr_i32 s25, s24, 31
	s_delay_alu instid0(SALU_CYCLE_1) | instskip(NEXT) | instid1(SALU_CYCLE_1)
	s_lshl_b64 s[24:25], s[24:25], 2
	s_add_u32 s24, s17, s24
	s_addc_u32 s25, s13, s25
	s_or_b32 s21, s16, 0x80
	s_delay_alu instid0(SALU_CYCLE_1) | instskip(SKIP_2) | instid1(SALU_CYCLE_1)
	s_ashr_i32 s26, s21, 4
	s_cmp_lt_i32 s21, s18
	s_cselect_b32 s26, s26, s3
	s_ashr_i32 s27, s26, 31
	s_delay_alu instid0(SALU_CYCLE_1) | instskip(NEXT) | instid1(SALU_CYCLE_1)
	s_lshl_b64 s[26:27], s[26:27], 2
	;; [unrolled: 10-line block ×3, first 2 shown]
	s_add_u32 s28, s17, s28
	s_addc_u32 s29, s13, s29
	s_clause 0x5
	s_load_b32 s12, s[6:7], 0x0
	s_load_b32 s4, s[8:9], 0x0
	;; [unrolled: 1-line block ×6, first 2 shown]
	s_or_b32 s21, s16, 0xc0
	s_delay_alu instid0(SALU_CYCLE_1) | instskip(SKIP_2) | instid1(SALU_CYCLE_1)
	s_ashr_i32 s22, s21, 4
	s_cmp_lt_i32 s21, s18
	s_cselect_b32 s22, s22, s3
	s_ashr_i32 s23, s22, 31
	s_delay_alu instid0(SALU_CYCLE_1) | instskip(NEXT) | instid1(SALU_CYCLE_1)
	s_lshl_b64 s[22:23], s[22:23], 2
	s_add_u32 s22, s17, s22
	s_addc_u32 s23, s13, s23
	s_or_b32 s21, s16, 0xe0
	s_delay_alu instid0(SALU_CYCLE_1) | instskip(SKIP_2) | instid1(SALU_CYCLE_1)
	s_ashr_i32 s24, s21, 4
	s_cmp_lt_i32 s21, s18
	s_cselect_b32 s24, s24, s3
	s_ashr_i32 s25, s24, 31
	s_delay_alu instid0(SALU_CYCLE_1)
	s_lshl_b64 s[24:25], s[24:25], 2
	s_waitcnt vmcnt(1)
	v_mad_i64_i32 v[3:4], null, v5, s5, v[1:2]
	s_waitcnt vmcnt(0)
	v_mad_i64_i32 v[5:6], null, v7, s5, v[1:2]
	v_lshlrev_b32_e32 v1, 4, v68
	s_clause 0x7
	global_load_b128 v[71:74], v[3:4], off
	global_load_b128 v[75:78], v[3:4], off offset:256
	global_load_b128 v[79:82], v[5:6], off
	global_load_b128 v[83:86], v[5:6], off offset:256
	global_load_b128 v[87:90], v[3:4], off offset:512
	;; [unrolled: 1-line block ×5, first 2 shown]
	v_lshl_or_b32 v1, v69, 8, v1
	s_load_b32 s3, s[22:23], 0x0
	s_add_u32 s22, s17, s24
	s_addc_u32 s23, s13, s25
	s_add_u32 s10, s10, s15
	s_addc_u32 s11, s11, s20
	v_add_co_u32 v1, s10, s10, v1
	s_delay_alu instid0(VALU_DEP_1) | instskip(SKIP_2) | instid1(VALU_DEP_1)
	v_add_co_ci_u32_e64 v2, null, s11, 0, s10
	s_load_b32 s10, s[22:23], 0x0
	s_waitcnt lgkmcnt(0)
	v_mad_i64_i32 v[3:4], null, s12, s5, v[1:2]
	v_mad_i64_i32 v[9:10], null, s7, s5, v[1:2]
	;; [unrolled: 1-line block ×7, first 2 shown]
	s_clause 0x5
	global_load_b128 v[49:52], v[3:4], off
	global_load_b128 v[53:56], v[3:4], off offset:16
	global_load_b128 v[41:44], v[5:6], off
	global_load_b128 v[45:48], v[5:6], off offset:16
	;; [unrolled: 2-line block ×3, first 2 shown]
	s_mov_b32 s4, 0
	v_mad_i64_i32 v[61:62], null, s10, s5, v[1:2]
	s_clause 0x9
	global_load_b128 v[1:4], v[9:10], off
	global_load_b128 v[5:8], v[9:10], off offset:16
	global_load_b128 v[9:12], v[13:14], off
	global_load_b128 v[13:16], v[13:14], off offset:16
	;; [unrolled: 2-line block ×5, first 2 shown]
	s_mov_b32 s5, s4
	s_mov_b32 s6, s4
	;; [unrolled: 1-line block ×7, first 2 shown]
	v_and_b32_e32 v104, 0xe0, v0
	v_dual_mov_b32 v126, s11 :: v_dual_mov_b32 v125, s10
	v_dual_mov_b32 v124, s9 :: v_dual_mov_b32 v123, s8
	s_delay_alu instid0(VALU_DEP_3)
	v_add_nc_u32_e32 v111, s16, v104
	ds_load_b128 v[103:106], v115
	ds_load_b128 v[107:110], v115 offset:1024
	v_dual_mov_b32 v122, s7 :: v_dual_mov_b32 v121, s6
	v_mov_b32_e32 v120, s5
	v_or_b32_e32 v135, v111, v66
	ds_load_b128 v[111:114], v115 offset:2048
	ds_load_b128 v[115:118], v115 offset:3072
	v_mov_b32_e32 v119, s4
	s_waitcnt vmcnt(0) lgkmcnt(0)
	s_barrier
	v_or_b32_e32 v137, 2, v135
	v_or_b32_e32 v138, 4, v135
	;; [unrolled: 1-line block ×3, first 2 shown]
	v_cmp_gt_i32_e32 vcc_lo, s18, v135
	v_or_b32_e32 v140, 8, v135
	v_cmp_gt_i32_e64 s3, s18, v137
	v_or_b32_e32 v141, 10, v135
	v_cmp_gt_i32_e64 s4, s18, v138
	v_cmp_gt_i32_e64 s5, s18, v139
	v_or_b32_e32 v142, 12, v135
	v_or_b32_e32 v143, 14, v135
	v_cmp_gt_i32_e64 s6, s18, v140
	v_cmp_gt_i32_e64 s7, s18, v141
	v_or_b32_e32 v144, 16, v135
	v_or_b32_e32 v145, 18, v135
	v_cmp_gt_i32_e64 s8, s18, v142
	v_cmp_gt_i32_e64 s9, s18, v143
	buffer_gl0_inv
	v_cmp_gt_i32_e64 s10, s18, v144
	v_cmp_gt_i32_e64 s11, s18, v145
	v_wmma_f32_16x16x16_f16 v[127:134], v[71:78], v[103:110], v[119:126]
	v_wmma_f32_16x16x16_f16 v[119:126], v[79:86], v[103:110], v[119:126]
	v_or_b32_e32 v71, 20, v135
	v_or_b32_e32 v72, 22, v135
	s_delay_alu instid0(VALU_DEP_4)
	v_wmma_f32_16x16x16_f16 v[127:134], v[87:94], v[111:118], v[127:134]
	v_or_b32_e32 v73, 24, v135
	v_wmma_f32_16x16x16_f16 v[119:126], v[95:102], v[111:118], v[119:126]
	v_or_b32_e32 v74, 26, v135
	v_cmp_gt_i32_e64 s12, s18, v71
	v_dual_mul_f32 v83, s19, v128 :: v_dual_mul_f32 v84, s19, v127
	v_dual_mul_f32 v81, s19, v130 :: v_dual_mul_f32 v82, s19, v129
	;; [unrolled: 1-line block ×3, first 2 shown]
	s_delay_alu instid0(VALU_DEP_3) | instskip(NEXT) | instid1(VALU_DEP_4)
	v_cndmask_b32_e32 v84, 0xff7fffff, v84, vcc_lo
	v_cndmask_b32_e64 v83, 0xff7fffff, v83, s3
	v_mul_f32_e32 v80, s19, v131
	v_cndmask_b32_e64 v82, 0xff7fffff, v82, s4
	v_cndmask_b32_e64 v81, 0xff7fffff, v81, s5
	v_dual_mul_f32 v77, s19, v134 :: v_dual_mul_f32 v90, s19, v121
	v_max3_f32 v83, v84, 0xff7fffff, v83
	v_mul_f32_e32 v78, s19, v133
	v_cndmask_b32_e64 v80, 0xff7fffff, v80, s6
	v_cndmask_b32_e64 v79, 0xff7fffff, v79, s7
	v_mul_f32_e32 v91, s19, v120
	v_max3_f32 v81, v83, v82, v81
	v_cndmask_b32_e64 v78, 0xff7fffff, v78, s8
	v_cndmask_b32_e64 v77, 0xff7fffff, v77, s9
	v_mul_f32_e32 v89, s19, v122
	v_cmp_gt_i32_e64 s13, s18, v72
	v_max3_f32 v79, v81, v80, v79
	v_cndmask_b32_e64 v80, 0xff7fffff, v92, s10
	v_cndmask_b32_e64 v81, 0xff7fffff, v91, s11
	v_or_b32_e32 v75, 28, v135
	v_or_b32_e32 v76, 30, v135
	v_max3_f32 v77, v79, v78, v77
	v_dual_mul_f32 v87, s19, v124 :: v_dual_mul_f32 v88, s19, v123
	v_cndmask_b32_e64 v71, 0xff7fffff, v90, s12
	v_cndmask_b32_e64 v72, 0xff7fffff, v89, s13
	s_delay_alu instid0(VALU_DEP_4) | instskip(SKIP_3) | instid1(VALU_DEP_4)
	v_max3_f32 v77, v77, v80, v81
	v_cmp_gt_i32_e64 s15, s18, v73
	v_cmp_gt_i32_e64 s16, s18, v74
	v_dual_mul_f32 v85, s19, v126 :: v_dual_mul_f32 v86, s19, v125
	v_max3_f32 v71, v77, v71, v72
	s_delay_alu instid0(VALU_DEP_4) | instskip(NEXT) | instid1(VALU_DEP_4)
	v_cndmask_b32_e64 v73, 0xff7fffff, v88, s15
	v_cndmask_b32_e64 v74, 0xff7fffff, v87, s16
	v_cmp_gt_i32_e64 s17, s18, v75
	v_cmp_gt_i32_e64 s18, s18, v76
	s_delay_alu instid0(VALU_DEP_3) | instskip(NEXT) | instid1(VALU_DEP_3)
	v_max3_f32 v71, v71, v73, v74
	v_cndmask_b32_e64 v72, 0xff7fffff, v86, s17
	s_delay_alu instid0(VALU_DEP_3) | instskip(SKIP_1) | instid1(VALU_DEP_2)
	v_cndmask_b32_e64 v75, 0xff7fffff, v85, s18
	v_lshlrev_b32_e32 v73, 2, v136
	v_max3_f32 v71, v71, v72, v75
	ds_bpermute_b32 v72, v73, v71
	s_waitcnt lgkmcnt(0)
	v_max_f32_e32 v72, v72, v72
	s_delay_alu instid0(VALU_DEP_1) | instskip(NEXT) | instid1(VALU_DEP_1)
	v_max_f32_e32 v71, v71, v72
	v_fma_f32 v72, s19, v127, -v71
	v_fma_f32 v74, s19, v128, -v71
	;; [unrolled: 1-line block ×5, first 2 shown]
	v_mul_f32_e32 v72, 0x3fb8aa3b, v72
	s_delay_alu instid0(VALU_DEP_4) | instskip(NEXT) | instid1(VALU_DEP_4)
	v_dual_mul_f32 v74, 0x3fb8aa3b, v74 :: v_dual_mul_f32 v75, 0x3fb8aa3b, v75
	v_mul_f32_e32 v76, 0x3fb8aa3b, v76
	s_delay_alu instid0(VALU_DEP_4) | instskip(NEXT) | instid1(VALU_DEP_4)
	v_mul_f32_e32 v82, 0x3fb8aa3b, v80
	v_exp_f32_e32 v72, v72
	s_delay_alu instid0(VALU_DEP_3)
	v_exp_f32_e32 v74, v74
	v_exp_f32_e32 v75, v75
	;; [unrolled: 1-line block ×3, first 2 shown]
	v_fma_f32 v77, s19, v131, -v71
	v_exp_f32_e32 v84, v82
	v_cndmask_b32_e32 v79, 0, v72, vcc_lo
	v_cndmask_b32_e64 v78, 0, v74, s3
	s_delay_alu instid0(TRANS32_DEP_3) | instskip(SKIP_1) | instid1(TRANS32_DEP_2)
	v_cndmask_b32_e64 v81, 0, v75, s4
	v_fma_f32 v72, s19, v132, -v71
	v_cndmask_b32_e64 v80, 0, v76, s5
	v_add_f32_e32 v74, 0, v79
	s_delay_alu instid0(TRANS32_DEP_1) | instskip(SKIP_2) | instid1(VALU_DEP_3)
	v_cndmask_b32_e64 v85, 0, v84, s8
	s_mov_b32 s3, exec_lo
	v_mul_f32_e32 v72, 0x3fb8aa3b, v72
	v_add_f32_e32 v74, v74, v78
	s_delay_alu instid0(VALU_DEP_2) | instskip(NEXT) | instid1(VALU_DEP_1)
	v_exp_f32_e32 v72, v72
	v_add_f32_e32 v74, v74, v81
	s_delay_alu instid0(VALU_DEP_1) | instskip(NEXT) | instid1(VALU_DEP_1)
	v_dual_mul_f32 v77, 0x3fb8aa3b, v77 :: v_dual_add_f32 v74, v74, v80
	v_exp_f32_e32 v77, v77
	s_waitcnt_depctr 0xfff
	v_cndmask_b32_e64 v82, 0, v72, s7
	v_cndmask_b32_e64 v83, 0, v77, s6
	s_delay_alu instid0(VALU_DEP_1) | instskip(SKIP_4) | instid1(VALU_DEP_4)
	v_add_f32_e32 v72, v74, v83
	v_fma_f32 v75, s19, v134, -v71
	v_fma_f32 v76, s19, v119, -v71
	;; [unrolled: 1-line block ×4, first 2 shown]
	v_dual_add_f32 v72, v72, v82 :: v_dual_mul_f32 v75, 0x3fb8aa3b, v75
	s_delay_alu instid0(VALU_DEP_3) | instskip(NEXT) | instid1(VALU_DEP_3)
	v_dual_mul_f32 v76, 0x3fb8aa3b, v76 :: v_dual_mul_f32 v77, 0x3fb8aa3b, v77
	v_mul_f32_e32 v74, 0x3fb8aa3b, v74
	v_fma_f32 v86, s19, v122, -v71
	s_delay_alu instid0(VALU_DEP_4) | instskip(NEXT) | instid1(VALU_DEP_3)
	v_exp_f32_e32 v75, v75
	v_exp_f32_e32 v76, v76
	;; [unrolled: 1-line block ×4, first 2 shown]
	v_mul_f32_e32 v86, 0x3fb8aa3b, v86
	s_delay_alu instid0(VALU_DEP_1)
	v_exp_f32_e32 v88, v86
	v_cndmask_b32_e64 v84, 0, v75, s9
	v_fma_f32 v75, s19, v123, -v71
	v_add_f32_e32 v72, v72, v85
	v_cndmask_b32_e64 v87, 0, v76, s10
	v_fma_f32 v76, s19, v124, -v71
	s_delay_alu instid0(TRANS32_DEP_3) | instskip(NEXT) | instid1(VALU_DEP_4)
	v_cndmask_b32_e64 v86, 0, v77, s11
	v_dual_mul_f32 v75, 0x3fb8aa3b, v75 :: v_dual_add_f32 v72, v72, v84
	v_fma_f32 v77, s19, v125, -v71
	s_delay_alu instid0(VALU_DEP_4) | instskip(SKIP_1) | instid1(VALU_DEP_4)
	v_mul_f32_e32 v76, 0x3fb8aa3b, v76
	v_cndmask_b32_e64 v89, 0, v74, s12
	v_exp_f32_e32 v75, v75
	v_add_f32_e32 v72, v72, v87
	v_mul_f32_e32 v74, 0x3fb8aa3b, v77
	v_exp_f32_e32 v76, v76
	v_cndmask_b32_e64 v88, 0, v88, s13
	v_fma_f32 v77, s19, v126, -v71
	v_add_f32_e32 v72, v72, v86
	v_exp_f32_e32 v74, v74
	s_delay_alu instid0(TRANS32_DEP_3) | instskip(NEXT) | instid1(VALU_DEP_2)
	v_cndmask_b32_e64 v91, 0, v75, s15
	v_add_f32_e32 v72, v72, v89
	v_mul_f32_e32 v75, 0x3fb8aa3b, v77
	s_delay_alu instid0(TRANS32_DEP_2) | instskip(NEXT) | instid1(VALU_DEP_3)
	v_cndmask_b32_e64 v90, 0, v76, s16
	v_add_f32_e32 v72, v72, v88
	s_delay_alu instid0(VALU_DEP_3) | instskip(NEXT) | instid1(TRANS32_DEP_2)
	v_exp_f32_e32 v75, v75
	v_cndmask_b32_e64 v93, 0, v74, s17
	s_delay_alu instid0(VALU_DEP_2) | instskip(NEXT) | instid1(VALU_DEP_1)
	v_add_f32_e32 v72, v72, v91
	v_add_f32_e32 v72, v72, v90
	s_waitcnt_depctr 0xfff
	v_cndmask_b32_e64 v92, 0, v75, s18
	v_add_f32_e32 v72, v72, v93
	s_delay_alu instid0(VALU_DEP_1)
	v_add_f32_e32 v72, v72, v92
	ds_bpermute_b32 v73, v73, v72
	v_cmpx_gt_u32_e32 16, v70
	s_cbranch_execz .LBB1095_12
; %bb.11:
	v_mul_u32_u24_e32 v70, 0x44, v69
	s_waitcnt lgkmcnt(0)
	v_add_f32_e32 v72, v72, v73
	s_delay_alu instid0(VALU_DEP_2) | instskip(NEXT) | instid1(VALU_DEP_1)
	v_lshl_add_u32 v70, v68, 2, v70
	v_add_nc_u32_e32 v70, 0x4000, v70
	ds_store_2addr_b32 v70, v71, v72 offset1:136
.LBB1095_12:
	s_or_b32 exec_lo, exec_lo, s3
	v_lshlrev_b32_e32 v70, 2, v68
	s_load_b32 s35, s[0:1], 0x94
	s_waitcnt lgkmcnt(0)
	s_barrier
	buffer_gl0_inv
	v_add_nc_u32_e32 v98, 0x4000, v70
	v_cmp_eq_u32_e32 vcc_lo, 1, v69
	v_cmp_eq_u32_e64 s3, 2, v69
	v_cmp_eq_u32_e64 s4, 3, v69
	;; [unrolled: 1-line block ×3, first 2 shown]
	ds_load_2addr_b32 v[70:71], v98 offset1:17
	ds_load_2addr_b32 v[72:73], v98 offset0:34 offset1:51
	ds_load_2addr_b32 v[74:75], v98 offset0:68 offset1:85
	;; [unrolled: 1-line block ×3, first 2 shown]
	v_cmp_eq_u32_e64 s6, 5, v69
	v_cmp_eq_u32_e64 s7, 7, v69
	s_waitcnt lgkmcnt(3)
	v_max3_f32 v76, v70, 0xff7fffff, v71
	s_waitcnt lgkmcnt(2)
	s_delay_alu instid0(VALU_DEP_1) | instskip(SKIP_1) | instid1(VALU_DEP_1)
	v_max3_f32 v76, v76, v72, v73
	s_waitcnt lgkmcnt(1)
	v_max3_f32 v76, v76, v74, v75
	s_waitcnt lgkmcnt(0)
	s_delay_alu instid0(VALU_DEP_1) | instskip(NEXT) | instid1(VALU_DEP_1)
	v_max3_f32 v76, v76, v94, v95
	v_sub_f32_e32 v77, v71, v76
	ds_load_2addr_b32 v[96:97], v98 offset0:136 offset1:153
	v_sub_f32_e32 v74, v74, v76
	v_sub_f32_e32 v70, v70, v76
	;; [unrolled: 1-line block ×3, first 2 shown]
	v_dual_sub_f32 v72, v72, v76 :: v_dual_mul_f32 v77, 0x3fb8aa3b, v77
	s_delay_alu instid0(VALU_DEP_4) | instskip(NEXT) | instid1(VALU_DEP_4)
	v_mul_f32_e32 v103, 0x3fb8aa3b, v74
	v_mul_f32_e32 v99, 0x3fb8aa3b, v70
	ds_load_2addr_b32 v[70:71], v98 offset0:170 offset1:187
	v_dual_mul_f32 v101, 0x3fb8aa3b, v72 :: v_dual_mul_f32 v94, 0x3fb8aa3b, v94
	v_exp_f32_e32 v102, v77
	v_exp_f32_e32 v99, v99
	s_delay_alu instid0(VALU_DEP_1) | instskip(NEXT) | instid1(VALU_DEP_1)
	v_exp_f32_e32 v101, v101
	v_exp_f32_e32 v94, v94
	s_waitcnt lgkmcnt(1)
	s_delay_alu instid0(TRANS32_DEP_3)
	v_fma_f32 v77, v99, v96, 0
	v_sub_f32_e32 v100, v73, v76
	ds_load_2addr_b32 v[72:73], v98 offset0:204 offset1:221
	v_fmac_f32_e32 v77, v102, v97
	v_exp_f32_e32 v97, v103
	s_waitcnt lgkmcnt(1)
	s_delay_alu instid0(VALU_DEP_1)
	v_dual_fmac_f32 v77, v101, v70 :: v_dual_sub_f32 v96, v75, v76
	ds_load_2addr_b32 v[74:75], v98 offset0:238 offset1:255
	v_sub_f32_e32 v70, v95, v76
	s_waitcnt lgkmcnt(0)
	s_barrier
	v_mul_f32_e32 v96, 0x3fb8aa3b, v96
	buffer_gl0_inv
	v_exp_f32_e32 v95, v96
	v_mul_f32_e32 v100, 0x3fb8aa3b, v100
	s_delay_alu instid0(VALU_DEP_1) | instskip(SKIP_3) | instid1(VALU_DEP_2)
	v_exp_f32_e32 v100, v100
	s_waitcnt_depctr 0xfff
	v_dual_fmac_f32 v77, v100, v71 :: v_dual_mul_f32 v70, 0x3fb8aa3b, v70
	v_cndmask_b32_e32 v71, v99, v102, vcc_lo
	v_fmac_f32_e32 v77, v97, v72
	s_delay_alu instid0(VALU_DEP_3) | instskip(NEXT) | instid1(VALU_DEP_1)
	v_exp_f32_e32 v96, v70
	v_fmac_f32_e32 v77, v95, v73
	s_delay_alu instid0(VALU_DEP_1) | instskip(SKIP_2) | instid1(VALU_DEP_1)
	v_fmac_f32_e32 v77, v94, v74
	s_waitcnt_depctr 0xfff
	v_fmac_f32_e32 v77, v96, v75
	v_add_f32_e32 v74, 0x358637bd, v77
	s_delay_alu instid0(VALU_DEP_1) | instskip(SKIP_1) | instid1(VALU_DEP_2)
	v_div_scale_f32 v98, null, v74, v74, 1.0
	v_div_scale_f32 v99, vcc_lo, 1.0, v74, 1.0
	v_rcp_f32_e32 v103, v98
	s_waitcnt_depctr 0xfff
	v_fma_f32 v70, -v98, v103, 1.0
	s_delay_alu instid0(VALU_DEP_1) | instskip(SKIP_2) | instid1(VALU_DEP_2)
	v_fmac_f32_e32 v103, v70, v103
	v_cndmask_b32_e64 v70, v71, v101, s3
	v_cmp_eq_u32_e64 s3, 6, v69
	v_cndmask_b32_e64 v71, v70, v100, s4
	s_delay_alu instid0(VALU_DEP_4) | instskip(NEXT) | instid1(VALU_DEP_2)
	v_dual_mul_f32 v101, v99, v103 :: v_dual_lshlrev_b32 v70, 2, v66
	v_cndmask_b32_e64 v71, v71, v97, s5
	s_delay_alu instid0(VALU_DEP_2) | instskip(NEXT) | instid1(VALU_DEP_3)
	v_or_b32_e32 v72, 1, v70
	v_fma_f32 v100, -v98, v101, v99
	v_cmp_eq_u32_e64 s4, 1, v70
	v_cmp_eq_u32_e64 s5, 2, v70
	v_cndmask_b32_e64 v95, v71, v95, s6
	v_or_b32_e32 v71, 3, v70
	v_fmac_f32_e32 v101, v100, v103
	v_cmp_eq_u32_e64 s9, 1, v72
	v_cmp_eq_u32_e64 s12, 2, v72
	v_cndmask_b32_e64 v94, v95, v94, s3
	v_cmp_eq_u32_e64 s11, 1, v71
	v_fma_f32 v97, -v98, v101, v99
	v_cmp_eq_u32_e64 s16, 2, v71
	v_cmp_eq_u32_e64 s13, 3, v72
	v_cndmask_b32_e64 v94, v94, v96, s7
	v_cmp_eq_u32_e64 s18, 3, v71
	v_div_fmas_f32 v95, v97, v103, v101
	v_cmp_eq_u32_e32 vcc_lo, 3, v70
	v_cmp_eq_u32_e64 s3, 4, v70
	v_cmp_eq_u32_e64 s19, 4, v72
	;; [unrolled: 1-line block ×3, first 2 shown]
	v_div_fixup_f32 v95, v95, v74, 1.0
	v_lshlrev_b32_e32 v73, 6, v68
	v_cmp_eq_u32_e64 s6, 5, v70
	v_cmp_eq_u32_e64 s20, 5, v72
	;; [unrolled: 1-line block ×3, first 2 shown]
	v_mul_f32_e32 v102, v94, v95
	v_lshl_or_b32 v75, v69, 11, v73
	v_or_b32_e32 v69, 2, v70
	v_cmp_eq_u32_e64 s25, 6, v72
	v_cmp_eq_u32_e64 s27, 6, v71
	v_fma_mixlo_f16 v94, v102, v79, 0
	v_fma_mixlo_f16 v95, v102, v81, 0
	;; [unrolled: 1-line block ×8, first 2 shown]
	v_lshl_or_b32 v74, v66, 4, v75
	v_fma_mixhi_f16 v94, v102, v78, 0
	v_fma_mixhi_f16 v95, v102, v80, 0
	;; [unrolled: 1-line block ×8, first 2 shown]
	ds_store_b128 v74, v[94:97]
	ds_store_b128 v74, v[98:101] offset:1024
	s_waitcnt lgkmcnt(0)
	s_barrier
	buffer_gl0_inv
	ds_load_b128 v[78:81], v75
	ds_load_b128 v[82:85], v75 offset:16
	ds_load_b128 v[86:89], v75 offset:1024
	;; [unrolled: 1-line block ×3, first 2 shown]
	v_cmp_eq_u32_e64 s10, 1, v69
	v_cmp_eq_u32_e64 s15, 2, v69
	v_cmp_eq_u32_e64 s17, 3, v69
	v_cmp_eq_u32_e64 s21, 4, v69
	v_cmp_eq_u32_e64 s23, 5, v69
	v_cmp_eq_u32_e64 s7, 6, v70
	v_cmp_eq_u32_e64 s26, 6, v69
	v_cmp_eq_u32_e64 s29, 7, v71
	v_cmp_eq_u32_e64 s30, 7, v72
	v_cmp_eq_u32_e64 s8, 7, v70
	v_cmp_eq_u32_e64 s28, 7, v69
	s_waitcnt lgkmcnt(3)
	v_lshrrev_b32_e32 v94, 16, v78
	s_waitcnt lgkmcnt(2)
	v_lshrrev_b32_e32 v98, 16, v82
	;; [unrolled: 2-line block ×4, first 2 shown]
	v_lshrrev_b32_e32 v95, 16, v79
	v_cndmask_b32_e64 v110, v78, v94, s4
	v_cndmask_b32_e64 v111, v82, v98, s4
	;; [unrolled: 1-line block ×8, first 2 shown]
	v_lshrrev_b32_e32 v99, 16, v83
	v_cndmask_b32_e64 v94, v86, v102, s4
	v_cndmask_b32_e64 v98, v90, v106, s4
	;; [unrolled: 1-line block ×15, first 2 shown]
	v_lshrrev_b32_e32 v103, 16, v87
	v_lshrrev_b32_e32 v107, 16, v91
	v_cndmask_b32_e64 v113, v115, v83, s15
	v_cndmask_b32_e64 v82, v94, v87, s5
	;; [unrolled: 1-line block ×7, first 2 shown]
	v_cndmask_b32_e32 v90, v102, v95, vcc_lo
	v_cndmask_b32_e32 v102, v106, v99, vcc_lo
	v_cndmask_b32_e64 v106, v110, v95, s13
	v_cndmask_b32_e64 v110, v111, v99, s13
	;; [unrolled: 1-line block ×4, first 2 shown]
	v_lshrrev_b32_e32 v96, 16, v80
	v_lshrrev_b32_e32 v100, 16, v84
	v_cndmask_b32_e64 v111, v112, v95, s17
	v_cndmask_b32_e64 v112, v113, v99, s17
	v_cndmask_b32_e32 v82, v82, v103, vcc_lo
	v_cndmask_b32_e32 v83, v83, v107, vcc_lo
	v_cndmask_b32_e64 v94, v94, v103, s13
	v_cndmask_b32_e64 v90, v90, v80, s3
	;; [unrolled: 1-line block ×7, first 2 shown]
	v_lshrrev_b32_e32 v104, 16, v88
	v_cndmask_b32_e64 v106, v111, v80, s21
	v_cndmask_b32_e64 v110, v112, v84, s21
	;; [unrolled: 1-line block ×11, first 2 shown]
	v_lshrrev_b32_e32 v97, 16, v81
	v_lshrrev_b32_e32 v101, 16, v85
	v_cndmask_b32_e64 v99, v106, v96, s23
	v_cndmask_b32_e64 v102, v110, v100, s23
	;; [unrolled: 1-line block ×7, first 2 shown]
	v_lshrrev_b32_e32 v105, 16, v89
	v_cndmask_b32_e64 v80, v80, v104, s6
	v_cndmask_b32_e64 v84, v84, v81, s7
	;; [unrolled: 1-line block ×16, first 2 shown]
	v_perm_b32 v81, v79, v78, 0x5040100
	v_perm_b32 v79, v95, v85, 0x5040100
	v_cndmask_b32_e64 v78, v119, v91, s15
	v_cndmask_b32_e64 v85, v117, v91, s12
	;; [unrolled: 1-line block ×3, first 2 shown]
	v_perm_b32 v80, v94, v90, 0x5040100
	v_cndmask_b32_e64 v90, v98, v103, s17
	v_cndmask_b32_e64 v86, v86, v103, s18
	;; [unrolled: 1-line block ×5, first 2 shown]
	v_lshrrev_b32_e32 v108, 16, v92
	v_cndmask_b32_e64 v90, v90, v88, s21
	v_cndmask_b32_e64 v86, v86, v88, s22
	;; [unrolled: 1-line block ×11, first 2 shown]
	v_lshrrev_b32_e32 v109, 16, v93
	v_cndmask_b32_e64 v82, v82, v93, s7
	v_cndmask_b32_e64 v88, v88, v89, s26
	;; [unrolled: 1-line block ×12, first 2 shown]
	v_perm_b32 v78, v84, v83, 0x5040100
	v_perm_b32 v85, v87, v86, 0x5040100
	;; [unrolled: 1-line block ×5, first 2 shown]
	s_mul_i32 s8, s33, 10
	s_mov_b32 s3, exec_lo
	ds_store_b128 v74, v[78:81]
	ds_store_b128 v74, v[82:85] offset:1024
	v_cmpx_gt_u32_e32 10, v0
	s_cbranch_execz .LBB1095_14
; %bb.13:
	s_mul_i32 s4, s8, s34
	s_delay_alu instid0(SALU_CYCLE_1) | instskip(SKIP_1) | instid1(VALU_DEP_1)
	v_add3_u32 v68, s4, s31, v68
	s_load_b128 s[4:7], s[0:1], 0x58
	v_mad_u64_u32 v[78:79], null, v68, s35, s[14:15]
	s_delay_alu instid0(VALU_DEP_1) | instskip(NEXT) | instid1(VALU_DEP_1)
	v_ashrrev_i32_e32 v79, 31, v78
	v_lshlrev_b64 v[78:79], 2, v[78:79]
	s_waitcnt lgkmcnt(0)
	s_delay_alu instid0(VALU_DEP_1) | instskip(NEXT) | instid1(VALU_DEP_2)
	v_add_co_u32 v80, vcc_lo, s6, v78
	v_add_co_ci_u32_e32 v81, vcc_lo, s7, v79, vcc_lo
	v_add_co_u32 v78, vcc_lo, s4, v78
	v_add_co_ci_u32_e32 v79, vcc_lo, s5, v79, vcc_lo
	global_store_b32 v[80:81], v76, off
	global_store_b32 v[78:79], v77, off
.LBB1095_14:
	s_or_b32 exec_lo, exec_lo, s3
	s_waitcnt lgkmcnt(0)
	s_waitcnt_vscnt null, 0x0
	s_barrier
	buffer_gl0_inv
	ds_load_b128 v[84:87], v73
	ds_load_b128 v[88:91], v73 offset:16
	ds_load_b128 v[96:99], v73 offset:2064
	;; [unrolled: 1-line block ×5, first 2 shown]
	v_cmp_eq_u32_e32 vcc_lo, 1, v70
	v_mov_b32_e32 v76, 0
	ds_load_b128 v[112:115], v73 offset:6160
	ds_load_b128 v[108:111], v73 offset:6144
	;; [unrolled: 1-line block ×4, first 2 shown]
	v_cmp_eq_u32_e64 s4, 1, v69
	v_cmp_eq_u32_e64 s3, 1, v72
	;; [unrolled: 1-line block ×3, first 2 shown]
	v_mov_b32_e32 v77, v76
	v_mov_b32_e32 v78, v76
	;; [unrolled: 1-line block ×7, first 2 shown]
	v_cmp_eq_u32_e64 s6, 3, v72
	v_cmp_eq_u32_e64 s7, 7, v72
	s_waitcnt lgkmcnt(8)
	s_delay_alu instid0(VALU_DEP_3)
	v_wmma_f32_16x16x16_f16 v[76:83], v[49:56], v[84:91], v[76:83]
	ds_load_b128 v[53:56], v73 offset:10256
	ds_load_b128 v[49:52], v73 offset:10240
	s_waitcnt lgkmcnt(8)
	v_wmma_f32_16x16x16_f16 v[76:83], v[41:48], v[92:99], v[76:83]
	ds_load_b128 v[45:48], v73 offset:12304
	ds_load_b128 v[41:44], v73 offset:12288
	s_waitcnt lgkmcnt(8)
	;; [unrolled: 4-line block ×3, first 2 shown]
	s_barrier
	buffer_gl0_inv
	v_wmma_f32_16x16x16_f16 v[76:83], v[1:8], v[108:115], v[76:83]
	s_delay_alu instid0(VALU_DEP_1) | instskip(NEXT) | instid1(VALU_DEP_1)
	v_wmma_f32_16x16x16_f16 v[76:83], v[9:16], v[116:123], v[76:83]
	v_wmma_f32_16x16x16_f16 v[76:83], v[17:24], v[49:56], v[76:83]
	s_delay_alu instid0(VALU_DEP_1) | instskip(NEXT) | instid1(VALU_DEP_1)
	v_wmma_f32_16x16x16_f16 v[76:83], v[25:32], v[41:48], v[76:83]
	v_wmma_f32_16x16x16_f16 v[76:83], v[57:64], v[33:40], v[76:83]
	s_delay_alu instid0(VALU_DEP_1) | instskip(NEXT) | instid1(VALU_DEP_2)
	v_cvt_f16_f32_e32 v1, v76
	v_cvt_f16_f32_e32 v2, v77
	s_delay_alu instid0(VALU_DEP_3) | instskip(NEXT) | instid1(VALU_DEP_4)
	v_cvt_f16_f32_e32 v3, v78
	v_cvt_f16_f32_e32 v4, v79
	;; [unrolled: 1-line block ×6, first 2 shown]
	v_pack_b32_f16 v1, v1, v2
	v_pack_b32_f16 v2, v3, v4
	;; [unrolled: 1-line block ×3, first 2 shown]
	s_delay_alu instid0(VALU_DEP_4)
	v_pack_b32_f16 v4, v7, v8
	ds_store_b128 v74, v[1:4]
	s_waitcnt lgkmcnt(0)
	s_barrier
	buffer_gl0_inv
	ds_load_b128 v[1:4], v75
	ds_load_b128 v[5:8], v75 offset:16
	s_waitcnt lgkmcnt(1)
	v_lshrrev_b32_e32 v9, 16, v1
	s_waitcnt lgkmcnt(0)
	v_lshrrev_b32_e32 v13, 16, v5
	v_lshrrev_b32_e32 v10, 16, v2
	;; [unrolled: 1-line block ×4, first 2 shown]
	v_cndmask_b32_e32 v17, v1, v9, vcc_lo
	v_cndmask_b32_e32 v18, v5, v13, vcc_lo
	v_cndmask_b32_e64 v21, v1, v9, s4
	v_cmp_eq_u32_e32 vcc_lo, 1, v71
	v_cndmask_b32_e64 v22, v5, v13, s4
	v_cmp_eq_u32_e64 s4, 2, v70
	v_cndmask_b32_e64 v19, v1, v9, s3
	v_cndmask_b32_e64 v20, v5, v13, s3
	v_cndmask_b32_e32 v1, v1, v9, vcc_lo
	v_cmp_eq_u32_e64 s3, 2, v71
	v_cndmask_b32_e32 v5, v5, v13, vcc_lo
	v_cndmask_b32_e64 v9, v17, v2, s4
	v_cmp_eq_u32_e32 vcc_lo, 3, v70
	v_cndmask_b32_e64 v13, v18, v6, s4
	v_cmp_eq_u32_e64 s4, 2, v69
	v_cndmask_b32_e64 v17, v19, v2, s5
	v_cndmask_b32_e64 v18, v20, v6, s5
	v_cmp_eq_u32_e64 s5, 3, v69
	v_cndmask_b32_e64 v1, v1, v2, s3
	v_cndmask_b32_e64 v19, v21, v2, s4
	;; [unrolled: 1-line block ×4, first 2 shown]
	v_cndmask_b32_e32 v5, v9, v10, vcc_lo
	v_cndmask_b32_e32 v6, v13, v14, vcc_lo
	v_cmp_eq_u32_e32 vcc_lo, 3, v71
	v_cndmask_b32_e64 v9, v17, v10, s6
	v_cndmask_b32_e64 v13, v18, v14, s6
	;; [unrolled: 1-line block ×3, first 2 shown]
	v_cmp_eq_u32_e64 s4, 4, v70
	v_cndmask_b32_e32 v1, v1, v10, vcc_lo
	v_cndmask_b32_e32 v2, v2, v14, vcc_lo
	v_cmp_eq_u32_e32 vcc_lo, 4, v72
	v_lshrrev_b32_e32 v15, 16, v7
	v_lshrrev_b32_e32 v16, 16, v8
	v_cndmask_b32_e64 v17, v19, v10, s5
	v_cmp_eq_u32_e64 s3, 4, v71
	v_cndmask_b32_e64 v5, v5, v3, s4
	v_cndmask_b32_e64 v6, v6, v7, s4
	v_cndmask_b32_e32 v9, v9, v3, vcc_lo
	v_cmp_eq_u32_e64 s4, 5, v72
	v_cndmask_b32_e32 v10, v13, v7, vcc_lo
	v_cmp_eq_u32_e32 vcc_lo, 4, v69
	v_cmp_eq_u32_e64 s5, 5, v70
	v_cndmask_b32_e64 v2, v2, v7, s3
	v_cndmask_b32_e64 v9, v9, v11, s4
	;; [unrolled: 1-line block ×3, first 2 shown]
	v_cndmask_b32_e32 v13, v17, v3, vcc_lo
	v_cmp_eq_u32_e64 s4, 5, v69
	v_cndmask_b32_e32 v14, v18, v7, vcc_lo
	v_cndmask_b32_e64 v1, v1, v3, s3
	v_cmp_eq_u32_e32 vcc_lo, 5, v71
	v_lshrrev_b32_e32 v12, 16, v4
	v_cndmask_b32_e64 v13, v13, v11, s4
	v_cndmask_b32_e64 v3, v14, v15, s4
	v_cmp_eq_u32_e64 s4, 6, v71
	v_cndmask_b32_e32 v1, v1, v11, vcc_lo
	v_cndmask_b32_e64 v5, v5, v11, s5
	v_cmp_eq_u32_e64 s6, 6, v70
	v_cndmask_b32_e64 v6, v6, v15, s5
	v_cmp_eq_u32_e64 s5, 6, v72
	v_cmp_eq_u32_e64 s3, 6, v69
	v_cndmask_b32_e64 v1, v1, v4, s4
	v_cndmask_b32_e32 v2, v2, v15, vcc_lo
	v_cmp_eq_u32_e32 vcc_lo, 7, v71
	v_cndmask_b32_e64 v5, v5, v4, s6
	v_cndmask_b32_e64 v9, v9, v4, s5
	v_cndmask_b32_e64 v6, v6, v8, s6
	v_cmp_eq_u32_e64 s6, 7, v70
	v_cndmask_b32_e32 v1, v1, v12, vcc_lo
	v_cndmask_b32_e64 v7, v13, v4, s3
	v_cndmask_b32_e64 v3, v3, v8, s3
	;; [unrolled: 1-line block ×3, first 2 shown]
	v_cmp_eq_u32_e64 s3, 7, v69
	v_cndmask_b32_e64 v4, v10, v8, s5
	v_cndmask_b32_e64 v5, v5, v12, s6
	;; [unrolled: 1-line block ×3, first 2 shown]
	v_cndmask_b32_e32 v2, v2, v16, vcc_lo
	v_cndmask_b32_e64 v7, v7, v12, s3
	v_cndmask_b32_e64 v3, v3, v16, s3
	;; [unrolled: 1-line block ×4, first 2 shown]
	v_cmp_gt_u32_e32 vcc_lo, 32, v0
	v_perm_b32 v4, v2, v1, 0x5040100
	v_perm_b32 v3, v3, v7, 0x5040100
	;; [unrolled: 1-line block ×4, first 2 shown]
	s_and_b32 s2, vcc_lo, s2
	ds_store_b128 v74, v[1:4]
	s_waitcnt lgkmcnt(0)
	s_barrier
	buffer_gl0_inv
	s_and_saveexec_b32 s3, s2
	s_cbranch_execz .LBB1095_2
; %bb.15:
	s_load_b64 s[0:1], s[0:1], 0x68
	s_lshl_b32 s4, s35, 6
	v_or_b32_e32 v2, s31, v66
	s_mul_i32 s2, s4, s34
	v_lshlrev_b32_e32 v0, 10, v0
	s_mul_i32 s2, s2, s8
	v_lshlrev_b32_e32 v1, 4, v67
	s_ashr_i32 s3, s2, 31
	v_mul_lo_u32 v20, v2, s4
	s_lshl_b64 s[2:3], s[2:3], 1
	v_lshlrev_b32_e32 v3, 6, v66
	v_and_b32_e32 v0, 0x3800, v0
	s_delay_alu instid0(VALU_DEP_1) | instskip(NEXT) | instid1(VALU_DEP_4)
	v_or3_b32 v16, v0, v1, v3
	v_ashrrev_i32_e32 v21, 31, v20
	ds_load_b128 v[0:3], v16
	ds_load_b128 v[4:7], v16 offset:128
	s_waitcnt lgkmcnt(0)
	s_add_u32 s2, s0, s2
	s_addc_u32 s3, s1, s3
	s_lshl_b32 s0, s14, 6
	ds_load_b128 v[8:11], v16 offset:256
	ds_load_b128 v[12:15], v16 offset:384
	;; [unrolled: 1-line block ×3, first 2 shown]
	s_ashr_i32 s1, s0, 31
	s_delay_alu instid0(SALU_CYCLE_1) | instskip(NEXT) | instid1(SALU_CYCLE_1)
	s_lshl_b64 s[0:1], s[0:1], 1
	s_add_u32 s0, s2, s0
	s_addc_u32 s1, s3, s1
	s_lshl_b32 s2, s35, 7
	v_add_co_u32 v30, s0, s0, v65
	v_add_nc_u32_e32 v22, s2, v20
	v_lshlrev_b64 v[20:21], 1, v[20:21]
	v_add_co_ci_u32_e64 v31, null, s1, 0, s0
	s_delay_alu instid0(VALU_DEP_3) | instskip(SKIP_1) | instid1(VALU_DEP_4)
	v_add_nc_u32_e32 v24, s2, v22
	v_ashrrev_i32_e32 v23, 31, v22
	v_add_co_u32 v20, vcc_lo, v30, v20
	s_delay_alu instid0(VALU_DEP_4) | instskip(NEXT) | instid1(VALU_DEP_4)
	v_add_co_ci_u32_e32 v21, vcc_lo, v31, v21, vcc_lo
	v_add_nc_u32_e32 v26, s2, v24
	v_ashrrev_i32_e32 v25, 31, v24
	v_lshlrev_b64 v[22:23], 1, v[22:23]
	s_delay_alu instid0(VALU_DEP_3) | instskip(SKIP_1) | instid1(VALU_DEP_4)
	v_add_nc_u32_e32 v28, s2, v26
	v_ashrrev_i32_e32 v27, 31, v26
	v_lshlrev_b64 v[24:25], 1, v[24:25]
	s_delay_alu instid0(VALU_DEP_4) | instskip(NEXT) | instid1(VALU_DEP_4)
	v_add_co_u32 v22, vcc_lo, v30, v22
	v_ashrrev_i32_e32 v29, 31, v28
	s_delay_alu instid0(VALU_DEP_4) | instskip(SKIP_2) | instid1(VALU_DEP_4)
	v_lshlrev_b64 v[26:27], 1, v[26:27]
	v_add_co_ci_u32_e32 v23, vcc_lo, v31, v23, vcc_lo
	v_add_co_u32 v24, vcc_lo, v30, v24
	v_lshlrev_b64 v[28:29], 1, v[28:29]
	v_add_co_ci_u32_e32 v25, vcc_lo, v31, v25, vcc_lo
	v_add_co_u32 v26, vcc_lo, v30, v26
	v_add_co_ci_u32_e32 v27, vcc_lo, v31, v27, vcc_lo
	s_delay_alu instid0(VALU_DEP_4)
	v_add_co_u32 v28, vcc_lo, v30, v28
	v_add_co_ci_u32_e32 v29, vcc_lo, v31, v29, vcc_lo
	s_clause 0x1
	global_store_b128 v[20:21], v[0:3], off
	global_store_b128 v[22:23], v[4:7], off
	s_waitcnt lgkmcnt(2)
	global_store_b128 v[24:25], v[8:11], off
	s_waitcnt lgkmcnt(1)
	;; [unrolled: 2-line block ×3, first 2 shown]
	global_store_b128 v[28:29], v[16:19], off
	s_nop 0
	s_sendmsg sendmsg(MSG_DEALLOC_VGPRS)
	s_endpgm
	.section	.rodata,"a",@progbits
	.p2align	6, 0x0
	.amdhsa_kernel _Z39paged_attention_ll4mi_QKV_mfma16_kernelIDF16_hLN4vllm18Fp8KVCacheDataTypeE1EhLi16ELi64ELi256ELb1ELi10EL8MFMAType0EEvPKT_PKT0_S8_ifPKiSA_SA_iPKfiiiPfSD_PS3_PT2_iSC_SC_
		.amdhsa_group_segment_fixed_size 17472
		.amdhsa_private_segment_fixed_size 0
		.amdhsa_kernarg_size 400
		.amdhsa_user_sgpr_count 13
		.amdhsa_user_sgpr_dispatch_ptr 0
		.amdhsa_user_sgpr_queue_ptr 0
		.amdhsa_user_sgpr_kernarg_segment_ptr 1
		.amdhsa_user_sgpr_dispatch_id 0
		.amdhsa_user_sgpr_private_segment_size 0
		.amdhsa_wavefront_size32 1
		.amdhsa_uses_dynamic_stack 0
		.amdhsa_enable_private_segment 0
		.amdhsa_system_sgpr_workgroup_id_x 1
		.amdhsa_system_sgpr_workgroup_id_y 1
		.amdhsa_system_sgpr_workgroup_id_z 1
		.amdhsa_system_sgpr_workgroup_info 0
		.amdhsa_system_vgpr_workitem_id 0
		.amdhsa_next_free_vgpr 146
		.amdhsa_next_free_sgpr 36
		.amdhsa_reserve_vcc 1
		.amdhsa_float_round_mode_32 0
		.amdhsa_float_round_mode_16_64 0
		.amdhsa_float_denorm_mode_32 3
		.amdhsa_float_denorm_mode_16_64 3
		.amdhsa_dx10_clamp 1
		.amdhsa_ieee_mode 1
		.amdhsa_fp16_overflow 0
		.amdhsa_workgroup_processor_mode 1
		.amdhsa_memory_ordered 1
		.amdhsa_forward_progress 0
		.amdhsa_shared_vgpr_count 0
		.amdhsa_exception_fp_ieee_invalid_op 0
		.amdhsa_exception_fp_denorm_src 0
		.amdhsa_exception_fp_ieee_div_zero 0
		.amdhsa_exception_fp_ieee_overflow 0
		.amdhsa_exception_fp_ieee_underflow 0
		.amdhsa_exception_fp_ieee_inexact 0
		.amdhsa_exception_int_div_zero 0
	.end_amdhsa_kernel
	.section	.text._Z39paged_attention_ll4mi_QKV_mfma16_kernelIDF16_hLN4vllm18Fp8KVCacheDataTypeE1EhLi16ELi64ELi256ELb1ELi10EL8MFMAType0EEvPKT_PKT0_S8_ifPKiSA_SA_iPKfiiiPfSD_PS3_PT2_iSC_SC_,"axG",@progbits,_Z39paged_attention_ll4mi_QKV_mfma16_kernelIDF16_hLN4vllm18Fp8KVCacheDataTypeE1EhLi16ELi64ELi256ELb1ELi10EL8MFMAType0EEvPKT_PKT0_S8_ifPKiSA_SA_iPKfiiiPfSD_PS3_PT2_iSC_SC_,comdat
.Lfunc_end1095:
	.size	_Z39paged_attention_ll4mi_QKV_mfma16_kernelIDF16_hLN4vllm18Fp8KVCacheDataTypeE1EhLi16ELi64ELi256ELb1ELi10EL8MFMAType0EEvPKT_PKT0_S8_ifPKiSA_SA_iPKfiiiPfSD_PS3_PT2_iSC_SC_, .Lfunc_end1095-_Z39paged_attention_ll4mi_QKV_mfma16_kernelIDF16_hLN4vllm18Fp8KVCacheDataTypeE1EhLi16ELi64ELi256ELb1ELi10EL8MFMAType0EEvPKT_PKT0_S8_ifPKiSA_SA_iPKfiiiPfSD_PS3_PT2_iSC_SC_
                                        ; -- End function
	.section	.AMDGPU.csdata,"",@progbits
; Kernel info:
; codeLenInByte = 6540
; NumSgprs: 38
; NumVgprs: 146
; ScratchSize: 0
; MemoryBound: 0
; FloatMode: 240
; IeeeMode: 1
; LDSByteSize: 17472 bytes/workgroup (compile time only)
; SGPRBlocks: 4
; VGPRBlocks: 18
; NumSGPRsForWavesPerEU: 38
; NumVGPRsForWavesPerEU: 146
; Occupancy: 9
; WaveLimiterHint : 1
; COMPUTE_PGM_RSRC2:SCRATCH_EN: 0
; COMPUTE_PGM_RSRC2:USER_SGPR: 13
; COMPUTE_PGM_RSRC2:TRAP_HANDLER: 0
; COMPUTE_PGM_RSRC2:TGID_X_EN: 1
; COMPUTE_PGM_RSRC2:TGID_Y_EN: 1
; COMPUTE_PGM_RSRC2:TGID_Z_EN: 1
; COMPUTE_PGM_RSRC2:TIDIG_COMP_CNT: 0
	.section	.text._Z39paged_attention_ll4mi_QKV_mfma16_kernelIDF16_hLN4vllm18Fp8KVCacheDataTypeE1EhLi16ELi64ELi256ELb1ELi11EL8MFMAType0EEvPKT_PKT0_S8_ifPKiSA_SA_iPKfiiiPfSD_PS3_PT2_iSC_SC_,"axG",@progbits,_Z39paged_attention_ll4mi_QKV_mfma16_kernelIDF16_hLN4vllm18Fp8KVCacheDataTypeE1EhLi16ELi64ELi256ELb1ELi11EL8MFMAType0EEvPKT_PKT0_S8_ifPKiSA_SA_iPKfiiiPfSD_PS3_PT2_iSC_SC_,comdat
	.protected	_Z39paged_attention_ll4mi_QKV_mfma16_kernelIDF16_hLN4vllm18Fp8KVCacheDataTypeE1EhLi16ELi64ELi256ELb1ELi11EL8MFMAType0EEvPKT_PKT0_S8_ifPKiSA_SA_iPKfiiiPfSD_PS3_PT2_iSC_SC_ ; -- Begin function _Z39paged_attention_ll4mi_QKV_mfma16_kernelIDF16_hLN4vllm18Fp8KVCacheDataTypeE1EhLi16ELi64ELi256ELb1ELi11EL8MFMAType0EEvPKT_PKT0_S8_ifPKiSA_SA_iPKfiiiPfSD_PS3_PT2_iSC_SC_
	.globl	_Z39paged_attention_ll4mi_QKV_mfma16_kernelIDF16_hLN4vllm18Fp8KVCacheDataTypeE1EhLi16ELi64ELi256ELb1ELi11EL8MFMAType0EEvPKT_PKT0_S8_ifPKiSA_SA_iPKfiiiPfSD_PS3_PT2_iSC_SC_
	.p2align	8
	.type	_Z39paged_attention_ll4mi_QKV_mfma16_kernelIDF16_hLN4vllm18Fp8KVCacheDataTypeE1EhLi16ELi64ELi256ELb1ELi11EL8MFMAType0EEvPKT_PKT0_S8_ifPKiSA_SA_iPKfiiiPfSD_PS3_PT2_iSC_SC_,@function
_Z39paged_attention_ll4mi_QKV_mfma16_kernelIDF16_hLN4vllm18Fp8KVCacheDataTypeE1EhLi16ELi64ELi256ELb1ELi11EL8MFMAType0EEvPKT_PKT0_S8_ifPKiSA_SA_iPKfiiiPfSD_PS3_PT2_iSC_SC_: ; @_Z39paged_attention_ll4mi_QKV_mfma16_kernelIDF16_hLN4vllm18Fp8KVCacheDataTypeE1EhLi16ELi64ELi256ELb1ELi11EL8MFMAType0EEvPKT_PKT0_S8_ifPKiSA_SA_iPKfiiiPfSD_PS3_PT2_iSC_SC_
; %bb.0:
	s_load_b64 s[2:3], s[0:1], 0x30
	s_mov_b32 s34, s13
	s_waitcnt lgkmcnt(0)
	s_cmp_lg_u64 s[2:3], 0
	s_cselect_b32 s6, -1, 0
	s_ashr_i32 s35, s13, 31
	s_cmp_eq_u64 s[2:3], 0
	s_cbranch_scc1 .LBB1096_3
; %bb.1:
	s_lshl_b64 s[4:5], s[34:35], 2
	s_delay_alu instid0(SALU_CYCLE_1) | instskip(SKIP_4) | instid1(SALU_CYCLE_1)
	s_add_u32 s4, s2, s4
	s_addc_u32 s5, s3, s5
	s_load_b64 s[4:5], s[4:5], 0x0
	s_waitcnt lgkmcnt(0)
	s_sub_i32 s4, s5, s4
	s_cmp_eq_u32 s4, 1
	s_cselect_b32 s4, -1, 0
	s_delay_alu instid0(SALU_CYCLE_1)
	s_and_not1_b32 vcc_lo, exec_lo, s4
	s_cbranch_vccz .LBB1096_4
.LBB1096_2:
	s_nop 0
	s_sendmsg sendmsg(MSG_DEALLOC_VGPRS)
	s_endpgm
.LBB1096_3:
.LBB1096_4:
	s_load_b64 s[8:9], s[0:1], 0x28
	s_lshl_b64 s[4:5], s[34:35], 2
	s_waitcnt lgkmcnt(0)
	s_add_u32 s8, s8, s4
	s_addc_u32 s9, s9, s5
	s_lshl_b32 s16, s14, 8
	s_load_b32 s18, s[8:9], 0x0
	s_waitcnt lgkmcnt(0)
	s_cmp_ge_i32 s16, s18
	s_cbranch_scc1 .LBB1096_2
; %bb.5:
	s_clause 0x1
	s_load_b128 s[8:11], s[0:1], 0x8
	s_load_b64 s[12:13], s[0:1], 0x20
	s_and_not1_b32 vcc_lo, exec_lo, s6
	s_cbranch_vccnz .LBB1096_7
; %bb.6:
	s_add_u32 s2, s2, s4
	s_addc_u32 s3, s3, s5
	s_load_b32 s3, s[2:3], 0x0
	s_branch .LBB1096_8
.LBB1096_7:
	s_mov_b32 s3, s34
.LBB1096_8:
	s_load_b128 s[4:7], s[0:1], 0x48
	v_lshrrev_b32_e32 v69, 5, v0
	v_bfe_u32 v66, v0, 4, 1
	v_and_b32_e32 v68, 15, v0
	v_and_b32_e32 v70, 31, v0
	;; [unrolled: 1-line block ×3, first 2 shown]
	s_mul_i32 s33, s15, 11
	v_lshl_or_b32 v1, v69, 1, v66
	v_lshlrev_b32_e32 v2, 3, v68
	v_cmp_gt_u32_e64 s2, 8, v68
	s_delay_alu instid0(VALU_DEP_3) | instskip(NEXT) | instid1(VALU_DEP_3)
	v_cmp_gt_u32_e32 vcc_lo, 11, v1
	v_lshlrev_b32_e32 v65, 1, v2
	s_delay_alu instid0(VALU_DEP_3)
	s_and_b32 s17, s2, vcc_lo
	s_waitcnt lgkmcnt(0)
	s_and_saveexec_b32 s7, s17
	s_cbranch_execz .LBB1096_10
; %bb.9:
	s_load_b64 s[20:21], s[0:1], 0x0
	v_add_lshl_u32 v2, v1, s33, 6
	s_mul_hi_i32 s23, s3, s4
	s_mul_i32 s22, s3, s4
	v_lshlrev_b32_e32 v6, 10, v68
	s_lshl_b64 s[22:23], s[22:23], 1
	v_ashrrev_i32_e32 v3, 31, v2
	v_lshlrev_b32_e32 v1, 6, v1
	v_lshlrev_b32_e32 v7, 10, v67
	v_and_b32_e32 v6, 0x3800, v6
	s_delay_alu instid0(VALU_DEP_4) | instskip(NEXT) | instid1(VALU_DEP_2)
	v_lshlrev_b64 v[2:3], 1, v[2:3]
	v_or3_b32 v1, v6, v7, v1
	s_waitcnt lgkmcnt(0)
	s_add_u32 s3, s20, s22
	s_addc_u32 s4, s21, s23
	s_delay_alu instid0(VALU_DEP_2) | instskip(SKIP_1) | instid1(VALU_DEP_2)
	v_add_co_u32 v2, vcc_lo, s3, v2
	v_add_co_ci_u32_e32 v3, vcc_lo, s4, v3, vcc_lo
	v_add_co_u32 v2, vcc_lo, v2, v65
	s_delay_alu instid0(VALU_DEP_2)
	v_add_co_ci_u32_e32 v3, vcc_lo, 0, v3, vcc_lo
	global_load_b128 v[2:5], v[2:3], off
	s_waitcnt vmcnt(0)
	ds_store_b128 v1, v[2:5]
.LBB1096_10:
	s_or_b32 exec_lo, exec_lo, s7
	v_and_b32_e32 v1, 0xef, v0
	s_add_i32 s3, s18, 15
	s_clause 0x1
	s_load_b32 s4, s[0:1], 0x38
	s_load_b32 s35, s[0:1], 0x98
	s_ashr_i32 s7, s3, 31
	v_add_nc_u32_e32 v1, s16, v1
	s_lshr_b32 s7, s7, 28
	s_load_b32 s19, s[0:1], 0x1c
	v_add_nc_u32_e32 v103, -11, v68
	s_add_i32 s3, s3, s7
	v_ashrrev_i32_e32 v2, 31, v1
	v_or_b32_e32 v3, 16, v1
	s_ashr_i32 s3, s3, 4
	v_cmp_gt_i32_e32 vcc_lo, s18, v1
	s_add_i32 s3, s3, -1
	v_lshrrev_b32_e32 v2, 28, v2
	s_waitcnt lgkmcnt(0)
	s_barrier
	buffer_gl0_inv
	s_mul_i32 s15, s15, s6
	v_add_nc_u32_e32 v4, v1, v2
	v_mbcnt_lo_u32_b32 v127, -1, 0
	s_mul_i32 s20, s34, s4
	s_delay_alu instid0(SALU_CYCLE_1) | instskip(NEXT) | instid1(VALU_DEP_2)
	s_ashr_i32 s21, s20, 31
	v_ashrrev_i32_e32 v4, 4, v4
	v_add_nc_u32_e32 v2, v3, v2
	s_lshl_b64 s[20:21], s[20:21], 2
	v_xor_b32_e32 v128, 16, v127
	s_add_u32 s17, s12, s20
	v_cndmask_b32_e32 v1, s3, v4, vcc_lo
	v_ashrrev_i32_e32 v2, 4, v2
	v_cmp_gt_i32_e32 vcc_lo, s18, v3
	s_addc_u32 s13, s13, s21
	s_ashr_i32 s20, s15, 31
	s_add_u32 s4, s8, s15
	s_addc_u32 s12, s9, s20
	v_cndmask_b32_e32 v3, s3, v2, vcc_lo
	v_ashrrev_i32_e32 v2, 31, v1
	s_lshl_b32 s6, s14, 4
	s_delay_alu instid0(SALU_CYCLE_1) | instskip(NEXT) | instid1(VALU_DEP_2)
	s_ashr_i32 s7, s6, 31
	v_ashrrev_i32_e32 v4, 31, v3
	s_delay_alu instid0(VALU_DEP_2) | instskip(SKIP_1) | instid1(SALU_CYCLE_1)
	v_lshlrev_b64 v[1:2], 2, v[1:2]
	s_lshl_b64 s[6:7], s[6:7], 2
	s_add_u32 s6, s17, s6
	s_delay_alu instid0(VALU_DEP_2) | instskip(SKIP_1) | instid1(VALU_DEP_2)
	v_lshlrev_b64 v[3:4], 2, v[3:4]
	s_addc_u32 s7, s13, s7
	v_add_co_u32 v1, vcc_lo, s17, v1
	v_add_co_ci_u32_e32 v2, vcc_lo, s13, v2, vcc_lo
	s_delay_alu instid0(VALU_DEP_3) | instskip(NEXT) | instid1(VALU_DEP_4)
	v_add_co_u32 v3, vcc_lo, s17, v3
	v_add_co_ci_u32_e32 v4, vcc_lo, s13, v4, vcc_lo
	s_clause 0x1
	global_load_b32 v5, v[1:2], off
	global_load_b32 v7, v[3:4], off
	s_or_b32 s8, s16, 32
	v_lshlrev_b32_e32 v1, 4, v0
	s_ashr_i32 s9, s8, 4
	s_cmp_lt_i32 s8, s18
	v_cmp_gt_u32_e32 vcc_lo, 11, v68
	s_cselect_b32 s8, s9, s3
	v_and_b32_e32 v1, 0xf0, v1
	s_ashr_i32 s9, s8, 31
	s_delay_alu instid0(SALU_CYCLE_1)
	s_lshl_b64 s[8:9], s[8:9], 2
	v_cndmask_b32_e32 v103, v103, v68, vcc_lo
	s_add_u32 s8, s17, s8
	s_addc_u32 s9, s13, s9
	s_or_b32 s21, s16, 64
	v_add_co_u32 v1, s4, s4, v1
	s_ashr_i32 s22, s21, 4
	s_cmp_lt_i32 s21, s18
	v_add_co_ci_u32_e64 v2, null, s12, 0, s4
	s_cselect_b32 s22, s22, s3
	v_cmp_gt_i32_e32 vcc_lo, 32, v128
	s_ashr_i32 s23, s22, 31
	v_lshlrev_b32_e32 v115, 6, v103
	s_lshl_b64 s[22:23], s[22:23], 2
	v_cndmask_b32_e32 v136, v127, v128, vcc_lo
	s_add_u32 s22, s17, s22
	s_addc_u32 s23, s13, s23
	s_or_b32 s21, s16, 0x60
	s_delay_alu instid0(SALU_CYCLE_1) | instskip(SKIP_2) | instid1(SALU_CYCLE_1)
	s_ashr_i32 s24, s21, 4
	s_cmp_lt_i32 s21, s18
	s_cselect_b32 s24, s24, s3
	s_ashr_i32 s25, s24, 31
	s_delay_alu instid0(SALU_CYCLE_1) | instskip(NEXT) | instid1(SALU_CYCLE_1)
	s_lshl_b64 s[24:25], s[24:25], 2
	s_add_u32 s24, s17, s24
	s_addc_u32 s25, s13, s25
	s_or_b32 s21, s16, 0x80
	s_delay_alu instid0(SALU_CYCLE_1) | instskip(SKIP_2) | instid1(SALU_CYCLE_1)
	s_ashr_i32 s26, s21, 4
	s_cmp_lt_i32 s21, s18
	s_cselect_b32 s26, s26, s3
	s_ashr_i32 s27, s26, 31
	s_delay_alu instid0(SALU_CYCLE_1) | instskip(NEXT) | instid1(SALU_CYCLE_1)
	s_lshl_b64 s[26:27], s[26:27], 2
	;; [unrolled: 10-line block ×3, first 2 shown]
	s_add_u32 s28, s17, s28
	s_addc_u32 s29, s13, s29
	s_clause 0x5
	s_load_b32 s12, s[6:7], 0x0
	s_load_b32 s4, s[8:9], 0x0
	;; [unrolled: 1-line block ×6, first 2 shown]
	s_or_b32 s21, s16, 0xc0
	s_delay_alu instid0(SALU_CYCLE_1) | instskip(SKIP_2) | instid1(SALU_CYCLE_1)
	s_ashr_i32 s22, s21, 4
	s_cmp_lt_i32 s21, s18
	s_cselect_b32 s22, s22, s3
	s_ashr_i32 s23, s22, 31
	s_delay_alu instid0(SALU_CYCLE_1) | instskip(NEXT) | instid1(SALU_CYCLE_1)
	s_lshl_b64 s[22:23], s[22:23], 2
	s_add_u32 s22, s17, s22
	s_addc_u32 s23, s13, s23
	s_or_b32 s21, s16, 0xe0
	s_delay_alu instid0(SALU_CYCLE_1) | instskip(SKIP_2) | instid1(SALU_CYCLE_1)
	s_ashr_i32 s24, s21, 4
	s_cmp_lt_i32 s21, s18
	s_cselect_b32 s24, s24, s3
	s_ashr_i32 s25, s24, 31
	s_delay_alu instid0(SALU_CYCLE_1)
	s_lshl_b64 s[24:25], s[24:25], 2
	s_waitcnt vmcnt(1)
	v_mad_i64_i32 v[3:4], null, v5, s5, v[1:2]
	s_waitcnt vmcnt(0)
	v_mad_i64_i32 v[5:6], null, v7, s5, v[1:2]
	v_lshlrev_b32_e32 v1, 4, v68
	s_clause 0x7
	global_load_b128 v[71:74], v[3:4], off
	global_load_b128 v[75:78], v[3:4], off offset:256
	global_load_b128 v[79:82], v[5:6], off
	global_load_b128 v[83:86], v[5:6], off offset:256
	global_load_b128 v[87:90], v[3:4], off offset:512
	;; [unrolled: 1-line block ×5, first 2 shown]
	v_lshl_or_b32 v1, v69, 8, v1
	s_load_b32 s3, s[22:23], 0x0
	s_add_u32 s22, s17, s24
	s_addc_u32 s23, s13, s25
	s_add_u32 s10, s10, s15
	s_addc_u32 s11, s11, s20
	v_add_co_u32 v1, s10, s10, v1
	s_delay_alu instid0(VALU_DEP_1) | instskip(SKIP_2) | instid1(VALU_DEP_1)
	v_add_co_ci_u32_e64 v2, null, s11, 0, s10
	s_load_b32 s10, s[22:23], 0x0
	s_waitcnt lgkmcnt(0)
	v_mad_i64_i32 v[3:4], null, s12, s5, v[1:2]
	v_mad_i64_i32 v[9:10], null, s7, s5, v[1:2]
	;; [unrolled: 1-line block ×7, first 2 shown]
	s_clause 0x5
	global_load_b128 v[49:52], v[3:4], off
	global_load_b128 v[53:56], v[3:4], off offset:16
	global_load_b128 v[41:44], v[5:6], off
	global_load_b128 v[45:48], v[5:6], off offset:16
	;; [unrolled: 2-line block ×3, first 2 shown]
	s_mov_b32 s4, 0
	v_mad_i64_i32 v[61:62], null, s10, s5, v[1:2]
	s_clause 0x9
	global_load_b128 v[1:4], v[9:10], off
	global_load_b128 v[5:8], v[9:10], off offset:16
	global_load_b128 v[9:12], v[13:14], off
	global_load_b128 v[13:16], v[13:14], off offset:16
	global_load_b128 v[17:20], v[21:22], off
	global_load_b128 v[21:24], v[21:22], off offset:16
	global_load_b128 v[25:28], v[29:30], off
	global_load_b128 v[29:32], v[29:30], off offset:16
	global_load_b128 v[57:60], v[61:62], off
	global_load_b128 v[61:64], v[61:62], off offset:16
	s_mov_b32 s5, s4
	s_mov_b32 s6, s4
	;; [unrolled: 1-line block ×7, first 2 shown]
	v_and_b32_e32 v104, 0xe0, v0
	v_dual_mov_b32 v126, s11 :: v_dual_mov_b32 v125, s10
	v_dual_mov_b32 v124, s9 :: v_dual_mov_b32 v123, s8
	s_delay_alu instid0(VALU_DEP_3)
	v_add_nc_u32_e32 v111, s16, v104
	ds_load_b128 v[103:106], v115
	ds_load_b128 v[107:110], v115 offset:1024
	v_dual_mov_b32 v122, s7 :: v_dual_mov_b32 v121, s6
	v_mov_b32_e32 v120, s5
	v_or_b32_e32 v135, v111, v66
	ds_load_b128 v[111:114], v115 offset:2048
	ds_load_b128 v[115:118], v115 offset:3072
	v_mov_b32_e32 v119, s4
	s_waitcnt vmcnt(0) lgkmcnt(0)
	s_barrier
	v_or_b32_e32 v137, 2, v135
	v_or_b32_e32 v138, 4, v135
	;; [unrolled: 1-line block ×3, first 2 shown]
	v_cmp_gt_i32_e32 vcc_lo, s18, v135
	v_or_b32_e32 v140, 8, v135
	v_cmp_gt_i32_e64 s3, s18, v137
	v_or_b32_e32 v141, 10, v135
	v_cmp_gt_i32_e64 s4, s18, v138
	v_cmp_gt_i32_e64 s5, s18, v139
	v_or_b32_e32 v142, 12, v135
	v_or_b32_e32 v143, 14, v135
	v_cmp_gt_i32_e64 s6, s18, v140
	v_cmp_gt_i32_e64 s7, s18, v141
	v_or_b32_e32 v144, 16, v135
	v_or_b32_e32 v145, 18, v135
	v_cmp_gt_i32_e64 s8, s18, v142
	v_cmp_gt_i32_e64 s9, s18, v143
	buffer_gl0_inv
	v_cmp_gt_i32_e64 s10, s18, v144
	v_cmp_gt_i32_e64 s11, s18, v145
	v_wmma_f32_16x16x16_f16 v[127:134], v[71:78], v[103:110], v[119:126]
	v_wmma_f32_16x16x16_f16 v[119:126], v[79:86], v[103:110], v[119:126]
	v_or_b32_e32 v71, 20, v135
	v_or_b32_e32 v72, 22, v135
	s_delay_alu instid0(VALU_DEP_4)
	v_wmma_f32_16x16x16_f16 v[127:134], v[87:94], v[111:118], v[127:134]
	v_or_b32_e32 v73, 24, v135
	v_wmma_f32_16x16x16_f16 v[119:126], v[95:102], v[111:118], v[119:126]
	v_or_b32_e32 v74, 26, v135
	v_cmp_gt_i32_e64 s12, s18, v71
	v_dual_mul_f32 v83, s19, v128 :: v_dual_mul_f32 v84, s19, v127
	v_dual_mul_f32 v81, s19, v130 :: v_dual_mul_f32 v82, s19, v129
	;; [unrolled: 1-line block ×3, first 2 shown]
	s_delay_alu instid0(VALU_DEP_3) | instskip(NEXT) | instid1(VALU_DEP_4)
	v_cndmask_b32_e32 v84, 0xff7fffff, v84, vcc_lo
	v_cndmask_b32_e64 v83, 0xff7fffff, v83, s3
	v_mul_f32_e32 v80, s19, v131
	v_cndmask_b32_e64 v82, 0xff7fffff, v82, s4
	v_cndmask_b32_e64 v81, 0xff7fffff, v81, s5
	v_dual_mul_f32 v77, s19, v134 :: v_dual_mul_f32 v90, s19, v121
	v_max3_f32 v83, v84, 0xff7fffff, v83
	v_mul_f32_e32 v78, s19, v133
	v_cndmask_b32_e64 v80, 0xff7fffff, v80, s6
	v_cndmask_b32_e64 v79, 0xff7fffff, v79, s7
	v_mul_f32_e32 v91, s19, v120
	v_max3_f32 v81, v83, v82, v81
	v_cndmask_b32_e64 v78, 0xff7fffff, v78, s8
	v_cndmask_b32_e64 v77, 0xff7fffff, v77, s9
	v_mul_f32_e32 v89, s19, v122
	v_cmp_gt_i32_e64 s13, s18, v72
	v_max3_f32 v79, v81, v80, v79
	v_cndmask_b32_e64 v80, 0xff7fffff, v92, s10
	v_cndmask_b32_e64 v81, 0xff7fffff, v91, s11
	v_or_b32_e32 v75, 28, v135
	v_or_b32_e32 v76, 30, v135
	v_max3_f32 v77, v79, v78, v77
	v_dual_mul_f32 v87, s19, v124 :: v_dual_mul_f32 v88, s19, v123
	v_cndmask_b32_e64 v71, 0xff7fffff, v90, s12
	v_cndmask_b32_e64 v72, 0xff7fffff, v89, s13
	s_delay_alu instid0(VALU_DEP_4) | instskip(SKIP_3) | instid1(VALU_DEP_4)
	v_max3_f32 v77, v77, v80, v81
	v_cmp_gt_i32_e64 s15, s18, v73
	v_cmp_gt_i32_e64 s16, s18, v74
	v_dual_mul_f32 v85, s19, v126 :: v_dual_mul_f32 v86, s19, v125
	v_max3_f32 v71, v77, v71, v72
	s_delay_alu instid0(VALU_DEP_4) | instskip(NEXT) | instid1(VALU_DEP_4)
	v_cndmask_b32_e64 v73, 0xff7fffff, v88, s15
	v_cndmask_b32_e64 v74, 0xff7fffff, v87, s16
	v_cmp_gt_i32_e64 s17, s18, v75
	v_cmp_gt_i32_e64 s18, s18, v76
	s_delay_alu instid0(VALU_DEP_3) | instskip(NEXT) | instid1(VALU_DEP_3)
	v_max3_f32 v71, v71, v73, v74
	v_cndmask_b32_e64 v72, 0xff7fffff, v86, s17
	s_delay_alu instid0(VALU_DEP_3) | instskip(SKIP_1) | instid1(VALU_DEP_2)
	v_cndmask_b32_e64 v75, 0xff7fffff, v85, s18
	v_lshlrev_b32_e32 v73, 2, v136
	v_max3_f32 v71, v71, v72, v75
	ds_bpermute_b32 v72, v73, v71
	s_waitcnt lgkmcnt(0)
	v_max_f32_e32 v72, v72, v72
	s_delay_alu instid0(VALU_DEP_1) | instskip(NEXT) | instid1(VALU_DEP_1)
	v_max_f32_e32 v71, v71, v72
	v_fma_f32 v72, s19, v127, -v71
	v_fma_f32 v74, s19, v128, -v71
	v_fma_f32 v75, s19, v129, -v71
	v_fma_f32 v76, s19, v130, -v71
	v_fma_f32 v80, s19, v133, -v71
	v_mul_f32_e32 v72, 0x3fb8aa3b, v72
	s_delay_alu instid0(VALU_DEP_4) | instskip(NEXT) | instid1(VALU_DEP_4)
	v_dual_mul_f32 v74, 0x3fb8aa3b, v74 :: v_dual_mul_f32 v75, 0x3fb8aa3b, v75
	v_mul_f32_e32 v76, 0x3fb8aa3b, v76
	s_delay_alu instid0(VALU_DEP_4) | instskip(NEXT) | instid1(VALU_DEP_4)
	v_mul_f32_e32 v82, 0x3fb8aa3b, v80
	v_exp_f32_e32 v72, v72
	s_delay_alu instid0(VALU_DEP_3)
	v_exp_f32_e32 v74, v74
	v_exp_f32_e32 v75, v75
	;; [unrolled: 1-line block ×3, first 2 shown]
	v_fma_f32 v77, s19, v131, -v71
	v_exp_f32_e32 v84, v82
	v_cndmask_b32_e32 v79, 0, v72, vcc_lo
	v_cndmask_b32_e64 v78, 0, v74, s3
	s_delay_alu instid0(TRANS32_DEP_3) | instskip(SKIP_1) | instid1(TRANS32_DEP_2)
	v_cndmask_b32_e64 v81, 0, v75, s4
	v_fma_f32 v72, s19, v132, -v71
	v_cndmask_b32_e64 v80, 0, v76, s5
	v_add_f32_e32 v74, 0, v79
	s_delay_alu instid0(TRANS32_DEP_1) | instskip(SKIP_2) | instid1(VALU_DEP_4)
	v_cndmask_b32_e64 v85, 0, v84, s8
	v_cmp_gt_u32_e64 s3, 16, v70
	v_mul_f32_e32 v72, 0x3fb8aa3b, v72
	v_add_f32_e32 v74, v74, v78
	s_delay_alu instid0(VALU_DEP_2) | instskip(NEXT) | instid1(VALU_DEP_1)
	v_exp_f32_e32 v72, v72
	v_add_f32_e32 v74, v74, v81
	s_delay_alu instid0(VALU_DEP_1) | instskip(NEXT) | instid1(VALU_DEP_1)
	v_dual_mul_f32 v77, 0x3fb8aa3b, v77 :: v_dual_add_f32 v74, v74, v80
	v_exp_f32_e32 v77, v77
	s_waitcnt_depctr 0xfff
	v_cndmask_b32_e64 v82, 0, v72, s7
	v_cndmask_b32_e64 v83, 0, v77, s6
	s_delay_alu instid0(VALU_DEP_1) | instskip(SKIP_4) | instid1(VALU_DEP_4)
	v_add_f32_e32 v72, v74, v83
	v_fma_f32 v75, s19, v134, -v71
	v_fma_f32 v76, s19, v119, -v71
	;; [unrolled: 1-line block ×4, first 2 shown]
	v_dual_add_f32 v72, v72, v82 :: v_dual_mul_f32 v75, 0x3fb8aa3b, v75
	s_delay_alu instid0(VALU_DEP_3) | instskip(NEXT) | instid1(VALU_DEP_3)
	v_dual_mul_f32 v76, 0x3fb8aa3b, v76 :: v_dual_mul_f32 v77, 0x3fb8aa3b, v77
	v_mul_f32_e32 v74, 0x3fb8aa3b, v74
	v_fma_f32 v86, s19, v122, -v71
	s_delay_alu instid0(VALU_DEP_4) | instskip(NEXT) | instid1(VALU_DEP_3)
	v_exp_f32_e32 v75, v75
	v_exp_f32_e32 v76, v76
	;; [unrolled: 1-line block ×4, first 2 shown]
	v_mul_f32_e32 v86, 0x3fb8aa3b, v86
	s_delay_alu instid0(VALU_DEP_1)
	v_exp_f32_e32 v88, v86
	v_cndmask_b32_e64 v84, 0, v75, s9
	v_fma_f32 v75, s19, v123, -v71
	v_add_f32_e32 v72, v72, v85
	v_cndmask_b32_e64 v87, 0, v76, s10
	v_fma_f32 v76, s19, v124, -v71
	s_delay_alu instid0(TRANS32_DEP_3) | instskip(NEXT) | instid1(VALU_DEP_4)
	v_cndmask_b32_e64 v86, 0, v77, s11
	v_dual_mul_f32 v75, 0x3fb8aa3b, v75 :: v_dual_add_f32 v72, v72, v84
	v_fma_f32 v77, s19, v125, -v71
	s_delay_alu instid0(VALU_DEP_4) | instskip(SKIP_1) | instid1(VALU_DEP_4)
	v_mul_f32_e32 v76, 0x3fb8aa3b, v76
	v_cndmask_b32_e64 v89, 0, v74, s12
	v_exp_f32_e32 v75, v75
	v_add_f32_e32 v72, v72, v87
	v_mul_f32_e32 v74, 0x3fb8aa3b, v77
	v_exp_f32_e32 v76, v76
	v_cndmask_b32_e64 v88, 0, v88, s13
	v_fma_f32 v77, s19, v126, -v71
	v_add_f32_e32 v72, v72, v86
	v_exp_f32_e32 v74, v74
	s_delay_alu instid0(TRANS32_DEP_3) | instskip(NEXT) | instid1(VALU_DEP_2)
	v_cndmask_b32_e64 v91, 0, v75, s15
	v_add_f32_e32 v72, v72, v89
	v_mul_f32_e32 v75, 0x3fb8aa3b, v77
	s_delay_alu instid0(TRANS32_DEP_2) | instskip(NEXT) | instid1(VALU_DEP_3)
	v_cndmask_b32_e64 v90, 0, v76, s16
	v_add_f32_e32 v72, v72, v88
	s_delay_alu instid0(VALU_DEP_3) | instskip(NEXT) | instid1(TRANS32_DEP_2)
	v_exp_f32_e32 v75, v75
	v_cndmask_b32_e64 v93, 0, v74, s17
	s_delay_alu instid0(VALU_DEP_2) | instskip(NEXT) | instid1(VALU_DEP_1)
	v_add_f32_e32 v72, v72, v91
	v_add_f32_e32 v72, v72, v90
	s_waitcnt_depctr 0xfff
	v_cndmask_b32_e64 v92, 0, v75, s18
	v_add_f32_e32 v72, v72, v93
	s_delay_alu instid0(VALU_DEP_1)
	v_add_f32_e32 v72, v72, v92
	ds_bpermute_b32 v73, v73, v72
	s_and_saveexec_b32 s4, s3
	s_cbranch_execz .LBB1096_12
; %bb.11:
	v_mul_u32_u24_e32 v70, 0x44, v69
	s_waitcnt lgkmcnt(0)
	v_add_f32_e32 v72, v72, v73
	s_delay_alu instid0(VALU_DEP_2) | instskip(NEXT) | instid1(VALU_DEP_1)
	v_lshl_add_u32 v70, v68, 2, v70
	v_add_nc_u32_e32 v70, 0x4000, v70
	ds_store_2addr_b32 v70, v71, v72 offset1:136
.LBB1096_12:
	s_or_b32 exec_lo, exec_lo, s4
	v_lshlrev_b32_e32 v70, 2, v68
	s_load_b32 s36, s[0:1], 0x94
	s_waitcnt lgkmcnt(0)
	s_barrier
	buffer_gl0_inv
	v_add_nc_u32_e32 v98, 0x4000, v70
	v_cmp_eq_u32_e32 vcc_lo, 1, v69
	v_cmp_eq_u32_e64 s4, 2, v69
	v_cmp_eq_u32_e64 s5, 3, v69
	;; [unrolled: 1-line block ×3, first 2 shown]
	ds_load_2addr_b32 v[70:71], v98 offset1:17
	ds_load_2addr_b32 v[72:73], v98 offset0:34 offset1:51
	ds_load_2addr_b32 v[74:75], v98 offset0:68 offset1:85
	;; [unrolled: 1-line block ×3, first 2 shown]
	v_cmp_eq_u32_e64 s7, 5, v69
	v_cmp_eq_u32_e64 s8, 7, v69
	s_waitcnt lgkmcnt(3)
	v_max3_f32 v76, v70, 0xff7fffff, v71
	s_waitcnt lgkmcnt(2)
	s_delay_alu instid0(VALU_DEP_1) | instskip(SKIP_1) | instid1(VALU_DEP_1)
	v_max3_f32 v76, v76, v72, v73
	s_waitcnt lgkmcnt(1)
	v_max3_f32 v76, v76, v74, v75
	s_waitcnt lgkmcnt(0)
	s_delay_alu instid0(VALU_DEP_1) | instskip(NEXT) | instid1(VALU_DEP_1)
	v_max3_f32 v76, v76, v94, v95
	v_sub_f32_e32 v77, v71, v76
	ds_load_2addr_b32 v[96:97], v98 offset0:136 offset1:153
	v_sub_f32_e32 v74, v74, v76
	v_sub_f32_e32 v70, v70, v76
	;; [unrolled: 1-line block ×3, first 2 shown]
	v_dual_sub_f32 v72, v72, v76 :: v_dual_mul_f32 v77, 0x3fb8aa3b, v77
	s_delay_alu instid0(VALU_DEP_4) | instskip(NEXT) | instid1(VALU_DEP_4)
	v_mul_f32_e32 v103, 0x3fb8aa3b, v74
	v_mul_f32_e32 v99, 0x3fb8aa3b, v70
	ds_load_2addr_b32 v[70:71], v98 offset0:170 offset1:187
	v_dual_mul_f32 v101, 0x3fb8aa3b, v72 :: v_dual_mul_f32 v94, 0x3fb8aa3b, v94
	v_exp_f32_e32 v102, v77
	v_exp_f32_e32 v99, v99
	s_delay_alu instid0(VALU_DEP_1) | instskip(NEXT) | instid1(VALU_DEP_1)
	v_exp_f32_e32 v101, v101
	v_exp_f32_e32 v94, v94
	s_waitcnt lgkmcnt(1)
	s_delay_alu instid0(TRANS32_DEP_3)
	v_fma_f32 v77, v99, v96, 0
	v_sub_f32_e32 v100, v73, v76
	ds_load_2addr_b32 v[72:73], v98 offset0:204 offset1:221
	v_fmac_f32_e32 v77, v102, v97
	v_exp_f32_e32 v97, v103
	s_waitcnt lgkmcnt(1)
	s_delay_alu instid0(VALU_DEP_1)
	v_dual_fmac_f32 v77, v101, v70 :: v_dual_sub_f32 v96, v75, v76
	ds_load_2addr_b32 v[74:75], v98 offset0:238 offset1:255
	v_sub_f32_e32 v70, v95, v76
	s_waitcnt lgkmcnt(0)
	s_barrier
	v_mul_f32_e32 v96, 0x3fb8aa3b, v96
	buffer_gl0_inv
	v_exp_f32_e32 v95, v96
	v_mul_f32_e32 v100, 0x3fb8aa3b, v100
	s_delay_alu instid0(VALU_DEP_1) | instskip(SKIP_3) | instid1(VALU_DEP_2)
	v_exp_f32_e32 v100, v100
	s_waitcnt_depctr 0xfff
	v_dual_fmac_f32 v77, v100, v71 :: v_dual_mul_f32 v70, 0x3fb8aa3b, v70
	v_cndmask_b32_e32 v71, v99, v102, vcc_lo
	v_fmac_f32_e32 v77, v97, v72
	s_delay_alu instid0(VALU_DEP_3) | instskip(NEXT) | instid1(VALU_DEP_1)
	v_exp_f32_e32 v96, v70
	v_fmac_f32_e32 v77, v95, v73
	s_delay_alu instid0(VALU_DEP_1) | instskip(SKIP_2) | instid1(VALU_DEP_1)
	v_fmac_f32_e32 v77, v94, v74
	s_waitcnt_depctr 0xfff
	v_fmac_f32_e32 v77, v96, v75
	v_add_f32_e32 v74, 0x358637bd, v77
	s_delay_alu instid0(VALU_DEP_1) | instskip(SKIP_1) | instid1(VALU_DEP_2)
	v_div_scale_f32 v98, null, v74, v74, 1.0
	v_div_scale_f32 v99, vcc_lo, 1.0, v74, 1.0
	v_rcp_f32_e32 v103, v98
	s_waitcnt_depctr 0xfff
	v_fma_f32 v70, -v98, v103, 1.0
	s_delay_alu instid0(VALU_DEP_1) | instskip(SKIP_2) | instid1(VALU_DEP_2)
	v_fmac_f32_e32 v103, v70, v103
	v_cndmask_b32_e64 v70, v71, v101, s4
	v_cmp_eq_u32_e64 s4, 6, v69
	v_cndmask_b32_e64 v71, v70, v100, s5
	s_delay_alu instid0(VALU_DEP_4) | instskip(NEXT) | instid1(VALU_DEP_2)
	v_dual_mul_f32 v101, v99, v103 :: v_dual_lshlrev_b32 v70, 2, v66
	v_cndmask_b32_e64 v71, v71, v97, s6
	s_delay_alu instid0(VALU_DEP_2) | instskip(NEXT) | instid1(VALU_DEP_3)
	v_or_b32_e32 v72, 1, v70
	v_fma_f32 v100, -v98, v101, v99
	v_cmp_eq_u32_e64 s5, 1, v70
	v_cmp_eq_u32_e64 s6, 2, v70
	v_cndmask_b32_e64 v95, v71, v95, s7
	v_or_b32_e32 v71, 3, v70
	v_fmac_f32_e32 v101, v100, v103
	v_cmp_eq_u32_e64 s10, 1, v72
	v_cmp_eq_u32_e64 s13, 2, v72
	v_cndmask_b32_e64 v94, v95, v94, s4
	v_cmp_eq_u32_e64 s12, 1, v71
	v_fma_f32 v97, -v98, v101, v99
	v_cmp_eq_u32_e64 s17, 2, v71
	v_cmp_eq_u32_e64 s15, 3, v72
	v_cndmask_b32_e64 v94, v94, v96, s8
	v_cmp_eq_u32_e64 s19, 3, v71
	v_div_fmas_f32 v95, v97, v103, v101
	v_cmp_eq_u32_e32 vcc_lo, 3, v70
	v_cmp_eq_u32_e64 s4, 4, v70
	v_cmp_eq_u32_e64 s20, 4, v72
	;; [unrolled: 1-line block ×3, first 2 shown]
	v_div_fixup_f32 v95, v95, v74, 1.0
	v_lshlrev_b32_e32 v73, 6, v68
	v_cmp_eq_u32_e64 s7, 5, v70
	v_cmp_eq_u32_e64 s21, 5, v72
	;; [unrolled: 1-line block ×3, first 2 shown]
	v_mul_f32_e32 v102, v94, v95
	v_lshl_or_b32 v75, v69, 11, v73
	v_or_b32_e32 v69, 2, v70
	v_cmp_eq_u32_e64 s26, 6, v72
	v_cmp_eq_u32_e64 s28, 6, v71
	v_fma_mixlo_f16 v94, v102, v79, 0
	v_fma_mixlo_f16 v95, v102, v81, 0
	;; [unrolled: 1-line block ×8, first 2 shown]
	v_lshl_or_b32 v74, v66, 4, v75
	v_fma_mixhi_f16 v94, v102, v78, 0
	v_fma_mixhi_f16 v95, v102, v80, 0
	;; [unrolled: 1-line block ×8, first 2 shown]
	ds_store_b128 v74, v[94:97]
	ds_store_b128 v74, v[98:101] offset:1024
	s_waitcnt lgkmcnt(0)
	s_barrier
	buffer_gl0_inv
	ds_load_b128 v[78:81], v75
	ds_load_b128 v[82:85], v75 offset:16
	ds_load_b128 v[86:89], v75 offset:1024
	;; [unrolled: 1-line block ×3, first 2 shown]
	v_cmp_eq_u32_e64 s11, 1, v69
	v_cmp_eq_u32_e64 s16, 2, v69
	;; [unrolled: 1-line block ×11, first 2 shown]
	s_waitcnt lgkmcnt(3)
	v_lshrrev_b32_e32 v94, 16, v78
	s_waitcnt lgkmcnt(2)
	v_lshrrev_b32_e32 v98, 16, v82
	;; [unrolled: 2-line block ×4, first 2 shown]
	v_lshrrev_b32_e32 v95, 16, v79
	v_cndmask_b32_e64 v110, v78, v94, s5
	v_cndmask_b32_e64 v111, v82, v98, s5
	;; [unrolled: 1-line block ×8, first 2 shown]
	v_lshrrev_b32_e32 v99, 16, v83
	v_cndmask_b32_e64 v94, v86, v102, s5
	v_cndmask_b32_e64 v98, v90, v106, s5
	v_cndmask_b32_e64 v116, v86, v102, s10
	v_cndmask_b32_e64 v117, v90, v106, s10
	v_cndmask_b32_e64 v118, v86, v102, s11
	v_cndmask_b32_e64 v119, v90, v106, s11
	v_cndmask_b32_e64 v86, v86, v102, s12
	v_cndmask_b32_e64 v90, v90, v106, s12
	v_cndmask_b32_e64 v102, v110, v79, s6
	v_cndmask_b32_e64 v106, v111, v83, s6
	v_cndmask_b32_e64 v110, v112, v79, s13
	v_cndmask_b32_e64 v111, v113, v83, s13
	v_cndmask_b32_e64 v112, v114, v79, s16
	v_cndmask_b32_e64 v78, v78, v79, s17
	v_cndmask_b32_e64 v79, v82, v83, s17
	v_lshrrev_b32_e32 v103, 16, v87
	v_lshrrev_b32_e32 v107, 16, v91
	v_cndmask_b32_e64 v113, v115, v83, s16
	v_cndmask_b32_e64 v82, v94, v87, s6
	;; [unrolled: 1-line block ×7, first 2 shown]
	v_cndmask_b32_e32 v90, v102, v95, vcc_lo
	v_cndmask_b32_e32 v102, v106, v99, vcc_lo
	v_cndmask_b32_e64 v106, v110, v95, s15
	v_cndmask_b32_e64 v110, v111, v99, s15
	;; [unrolled: 1-line block ×4, first 2 shown]
	v_lshrrev_b32_e32 v96, 16, v80
	v_lshrrev_b32_e32 v100, 16, v84
	v_cndmask_b32_e64 v111, v112, v95, s18
	v_cndmask_b32_e64 v112, v113, v99, s18
	v_cndmask_b32_e32 v82, v82, v103, vcc_lo
	v_cndmask_b32_e32 v83, v83, v107, vcc_lo
	v_cndmask_b32_e64 v94, v94, v103, s15
	v_cndmask_b32_e64 v90, v90, v80, s4
	;; [unrolled: 1-line block ×7, first 2 shown]
	v_lshrrev_b32_e32 v104, 16, v88
	v_cndmask_b32_e64 v106, v111, v80, s22
	v_cndmask_b32_e64 v110, v112, v84, s22
	v_cndmask_b32_e64 v80, v82, v88, s4
	v_cndmask_b32_e64 v82, v83, v92, s4
	v_cndmask_b32_e64 v83, v94, v88, s20
	v_cndmask_b32_e64 v84, v90, v96, s7
	v_cndmask_b32_e64 v90, v95, v100, s7
	v_cndmask_b32_e64 v94, v99, v96, s21
	v_cndmask_b32_e64 v95, v102, v100, s21
	v_cndmask_b32_e64 v78, v78, v96, s25
	v_cndmask_b32_e64 v79, v79, v100, s25
	v_lshrrev_b32_e32 v97, 16, v81
	v_lshrrev_b32_e32 v101, 16, v85
	v_cndmask_b32_e64 v99, v106, v96, s24
	v_cndmask_b32_e64 v102, v110, v100, s24
	;; [unrolled: 1-line block ×7, first 2 shown]
	v_lshrrev_b32_e32 v105, 16, v89
	v_cndmask_b32_e64 v80, v80, v104, s7
	v_cndmask_b32_e64 v84, v84, v81, s8
	;; [unrolled: 1-line block ×16, first 2 shown]
	v_perm_b32 v81, v79, v78, 0x5040100
	v_perm_b32 v79, v95, v85, 0x5040100
	v_cndmask_b32_e64 v78, v119, v91, s16
	v_cndmask_b32_e64 v85, v117, v91, s13
	;; [unrolled: 1-line block ×3, first 2 shown]
	v_perm_b32 v80, v94, v90, 0x5040100
	v_cndmask_b32_e64 v90, v98, v103, s18
	v_cndmask_b32_e64 v86, v86, v103, s19
	;; [unrolled: 1-line block ×5, first 2 shown]
	v_lshrrev_b32_e32 v108, 16, v92
	v_cndmask_b32_e64 v90, v90, v88, s22
	v_cndmask_b32_e64 v86, v86, v88, s23
	;; [unrolled: 1-line block ×11, first 2 shown]
	v_lshrrev_b32_e32 v109, 16, v93
	v_cndmask_b32_e64 v82, v82, v93, s8
	v_cndmask_b32_e64 v88, v88, v89, s27
	;; [unrolled: 1-line block ×12, first 2 shown]
	v_perm_b32 v78, v84, v83, 0x5040100
	v_perm_b32 v85, v87, v86, 0x5040100
	;; [unrolled: 1-line block ×5, first 2 shown]
	s_mul_i32 s9, s35, 11
	s_mov_b32 s4, exec_lo
	ds_store_b128 v74, v[78:81]
	ds_store_b128 v74, v[82:85] offset:1024
	v_cmpx_gt_u32_e32 11, v0
	s_cbranch_execz .LBB1096_14
; %bb.13:
	s_mul_i32 s5, s9, s34
	s_load_b128 s[16:19], s[0:1], 0x58
	v_add3_u32 v68, s5, s33, v68
	s_delay_alu instid0(VALU_DEP_1) | instskip(NEXT) | instid1(VALU_DEP_1)
	v_mad_u64_u32 v[78:79], null, v68, s36, s[14:15]
	v_ashrrev_i32_e32 v79, 31, v78
	s_delay_alu instid0(VALU_DEP_1) | instskip(SKIP_1) | instid1(VALU_DEP_1)
	v_lshlrev_b64 v[78:79], 2, v[78:79]
	s_waitcnt lgkmcnt(0)
	v_add_co_u32 v80, vcc_lo, s18, v78
	s_delay_alu instid0(VALU_DEP_2)
	v_add_co_ci_u32_e32 v81, vcc_lo, s19, v79, vcc_lo
	v_add_co_u32 v78, vcc_lo, s16, v78
	v_add_co_ci_u32_e32 v79, vcc_lo, s17, v79, vcc_lo
	global_store_b32 v[80:81], v76, off
	global_store_b32 v[78:79], v77, off
.LBB1096_14:
	s_or_b32 exec_lo, exec_lo, s4
	s_waitcnt lgkmcnt(0)
	s_waitcnt_vscnt null, 0x0
	s_barrier
	buffer_gl0_inv
	ds_load_b128 v[84:87], v73
	ds_load_b128 v[88:91], v73 offset:16
	ds_load_b128 v[96:99], v73 offset:2064
	;; [unrolled: 1-line block ×5, first 2 shown]
	v_cmp_eq_u32_e32 vcc_lo, 1, v70
	v_mov_b32_e32 v76, 0
	ds_load_b128 v[112:115], v73 offset:6160
	ds_load_b128 v[108:111], v73 offset:6144
	;; [unrolled: 1-line block ×4, first 2 shown]
	v_cmp_eq_u32_e64 s5, 1, v69
	v_cmp_eq_u32_e64 s4, 1, v72
	;; [unrolled: 1-line block ×3, first 2 shown]
	v_mov_b32_e32 v77, v76
	v_mov_b32_e32 v78, v76
	;; [unrolled: 1-line block ×7, first 2 shown]
	v_cmp_eq_u32_e64 s7, 3, v72
	v_cmp_eq_u32_e64 s8, 7, v72
	s_waitcnt lgkmcnt(8)
	s_delay_alu instid0(VALU_DEP_3)
	v_wmma_f32_16x16x16_f16 v[76:83], v[49:56], v[84:91], v[76:83]
	ds_load_b128 v[53:56], v73 offset:10256
	ds_load_b128 v[49:52], v73 offset:10240
	s_waitcnt lgkmcnt(8)
	v_wmma_f32_16x16x16_f16 v[76:83], v[41:48], v[92:99], v[76:83]
	ds_load_b128 v[45:48], v73 offset:12304
	ds_load_b128 v[41:44], v73 offset:12288
	s_waitcnt lgkmcnt(8)
	;; [unrolled: 4-line block ×3, first 2 shown]
	s_barrier
	buffer_gl0_inv
	v_wmma_f32_16x16x16_f16 v[76:83], v[1:8], v[108:115], v[76:83]
	s_delay_alu instid0(VALU_DEP_1) | instskip(NEXT) | instid1(VALU_DEP_1)
	v_wmma_f32_16x16x16_f16 v[76:83], v[9:16], v[116:123], v[76:83]
	v_wmma_f32_16x16x16_f16 v[76:83], v[17:24], v[49:56], v[76:83]
	s_delay_alu instid0(VALU_DEP_1) | instskip(NEXT) | instid1(VALU_DEP_1)
	v_wmma_f32_16x16x16_f16 v[76:83], v[25:32], v[41:48], v[76:83]
	v_wmma_f32_16x16x16_f16 v[76:83], v[57:64], v[33:40], v[76:83]
	s_delay_alu instid0(VALU_DEP_1) | instskip(NEXT) | instid1(VALU_DEP_2)
	v_cvt_f16_f32_e32 v1, v76
	v_cvt_f16_f32_e32 v2, v77
	s_delay_alu instid0(VALU_DEP_3) | instskip(NEXT) | instid1(VALU_DEP_4)
	v_cvt_f16_f32_e32 v3, v78
	v_cvt_f16_f32_e32 v4, v79
	;; [unrolled: 1-line block ×6, first 2 shown]
	v_pack_b32_f16 v1, v1, v2
	v_pack_b32_f16 v2, v3, v4
	;; [unrolled: 1-line block ×3, first 2 shown]
	s_delay_alu instid0(VALU_DEP_4)
	v_pack_b32_f16 v4, v7, v8
	ds_store_b128 v74, v[1:4]
	s_waitcnt lgkmcnt(0)
	s_barrier
	buffer_gl0_inv
	ds_load_b128 v[1:4], v75
	ds_load_b128 v[5:8], v75 offset:16
	s_waitcnt lgkmcnt(1)
	v_lshrrev_b32_e32 v9, 16, v1
	s_waitcnt lgkmcnt(0)
	v_lshrrev_b32_e32 v13, 16, v5
	v_lshrrev_b32_e32 v10, 16, v2
	;; [unrolled: 1-line block ×4, first 2 shown]
	v_cndmask_b32_e32 v17, v1, v9, vcc_lo
	v_cndmask_b32_e32 v18, v5, v13, vcc_lo
	v_cndmask_b32_e64 v21, v1, v9, s5
	v_cmp_eq_u32_e32 vcc_lo, 1, v71
	v_cndmask_b32_e64 v22, v5, v13, s5
	v_cmp_eq_u32_e64 s5, 2, v70
	v_cndmask_b32_e64 v19, v1, v9, s4
	v_cndmask_b32_e64 v20, v5, v13, s4
	v_cndmask_b32_e32 v1, v1, v9, vcc_lo
	v_cmp_eq_u32_e64 s4, 2, v71
	v_cndmask_b32_e32 v5, v5, v13, vcc_lo
	v_cndmask_b32_e64 v9, v17, v2, s5
	v_cmp_eq_u32_e32 vcc_lo, 3, v70
	v_cndmask_b32_e64 v13, v18, v6, s5
	v_cmp_eq_u32_e64 s5, 2, v69
	v_cndmask_b32_e64 v17, v19, v2, s6
	v_cndmask_b32_e64 v18, v20, v6, s6
	v_cmp_eq_u32_e64 s6, 3, v69
	v_cndmask_b32_e64 v1, v1, v2, s4
	v_cndmask_b32_e64 v19, v21, v2, s5
	;; [unrolled: 1-line block ×4, first 2 shown]
	v_cndmask_b32_e32 v5, v9, v10, vcc_lo
	v_cndmask_b32_e32 v6, v13, v14, vcc_lo
	v_cmp_eq_u32_e32 vcc_lo, 3, v71
	v_cndmask_b32_e64 v9, v17, v10, s7
	v_cndmask_b32_e64 v13, v18, v14, s7
	;; [unrolled: 1-line block ×3, first 2 shown]
	v_cmp_eq_u32_e64 s5, 4, v70
	v_cndmask_b32_e32 v1, v1, v10, vcc_lo
	v_cndmask_b32_e32 v2, v2, v14, vcc_lo
	v_cmp_eq_u32_e32 vcc_lo, 4, v72
	v_lshrrev_b32_e32 v15, 16, v7
	v_lshrrev_b32_e32 v16, 16, v8
	v_cndmask_b32_e64 v17, v19, v10, s6
	v_cmp_eq_u32_e64 s4, 4, v71
	v_cndmask_b32_e64 v5, v5, v3, s5
	v_cndmask_b32_e64 v6, v6, v7, s5
	v_cndmask_b32_e32 v9, v9, v3, vcc_lo
	v_cmp_eq_u32_e64 s5, 5, v72
	v_cndmask_b32_e32 v10, v13, v7, vcc_lo
	v_cmp_eq_u32_e32 vcc_lo, 4, v69
	v_cmp_eq_u32_e64 s6, 5, v70
	v_cndmask_b32_e64 v2, v2, v7, s4
	v_cndmask_b32_e64 v9, v9, v11, s5
	;; [unrolled: 1-line block ×3, first 2 shown]
	v_cndmask_b32_e32 v13, v17, v3, vcc_lo
	v_cmp_eq_u32_e64 s5, 5, v69
	v_cndmask_b32_e32 v14, v18, v7, vcc_lo
	v_cndmask_b32_e64 v1, v1, v3, s4
	v_cmp_eq_u32_e32 vcc_lo, 5, v71
	v_lshrrev_b32_e32 v12, 16, v4
	v_cndmask_b32_e64 v13, v13, v11, s5
	v_cndmask_b32_e64 v3, v14, v15, s5
	v_cmp_eq_u32_e64 s5, 6, v71
	v_cndmask_b32_e32 v1, v1, v11, vcc_lo
	v_cndmask_b32_e64 v5, v5, v11, s6
	v_cmp_eq_u32_e64 s7, 6, v70
	v_cndmask_b32_e64 v6, v6, v15, s6
	v_cmp_eq_u32_e64 s6, 6, v72
	v_cmp_eq_u32_e64 s4, 6, v69
	v_cndmask_b32_e64 v1, v1, v4, s5
	v_cndmask_b32_e32 v2, v2, v15, vcc_lo
	v_cmp_eq_u32_e32 vcc_lo, 7, v71
	v_cndmask_b32_e64 v5, v5, v4, s7
	v_cndmask_b32_e64 v9, v9, v4, s6
	;; [unrolled: 1-line block ×3, first 2 shown]
	v_cmp_eq_u32_e64 s7, 7, v70
	v_cndmask_b32_e32 v1, v1, v12, vcc_lo
	v_cndmask_b32_e64 v7, v13, v4, s4
	v_cndmask_b32_e64 v3, v3, v8, s4
	;; [unrolled: 1-line block ×3, first 2 shown]
	v_cmp_eq_u32_e64 s4, 7, v69
	v_cndmask_b32_e64 v4, v10, v8, s6
	v_cndmask_b32_e64 v5, v5, v12, s7
	;; [unrolled: 1-line block ×3, first 2 shown]
	v_cndmask_b32_e32 v2, v2, v16, vcc_lo
	v_cndmask_b32_e64 v7, v7, v12, s4
	v_cndmask_b32_e64 v3, v3, v16, s4
	;; [unrolled: 1-line block ×4, first 2 shown]
	v_cmp_gt_u32_e32 vcc_lo, 32, v0
	v_perm_b32 v4, v2, v1, 0x5040100
	v_perm_b32 v3, v3, v7, 0x5040100
	;; [unrolled: 1-line block ×4, first 2 shown]
	s_and_b32 s2, vcc_lo, s2
	ds_store_b128 v74, v[1:4]
	s_waitcnt lgkmcnt(0)
	s_barrier
	buffer_gl0_inv
	s_and_saveexec_b32 s4, s2
	s_cbranch_execz .LBB1096_2
; %bb.15:
	s_load_b64 s[4:5], s[0:1], 0x68
	v_lshlrev_b32_e32 v0, 10, v0
	v_lshlrev_b32_e32 v1, 4, v67
	s_lshl_b32 s0, s36, 6
	v_add_nc_u32_e32 v7, s33, v66
	s_mul_i32 s1, s0, s34
	s_delay_alu instid0(SALU_CYCLE_1) | instskip(SKIP_1) | instid1(VALU_DEP_2)
	s_mul_i32 s6, s1, s9
	v_and_or_b32 v0, 0x3800, v0, v1
	v_mul_lo_u32 v1, v7, s0
	v_add_nc_u32_e32 v2, 2, v7
	s_ashr_i32 s7, s6, 31
	v_add_nc_u32_e32 v4, 4, v7
	s_lshl_b64 s[6:7], s[6:7], 1
	v_add_nc_u32_e32 v8, 6, v7
	v_mul_lo_u32 v3, v2, s0
	v_lshl_or_b32 v19, v66, 6, v0
	v_ashrrev_i32_e32 v2, 31, v1
	v_mul_lo_u32 v11, v4, s0
	v_mul_lo_u32 v25, v8, s0
	s_waitcnt lgkmcnt(0)
	s_add_u32 s1, s4, s6
	s_addc_u32 s2, s5, s7
	s_lshl_b32 s4, s14, 6
	v_lshlrev_b64 v[5:6], 1, v[1:2]
	s_ashr_i32 s5, s4, 31
	v_ashrrev_i32_e32 v4, 31, v3
	s_lshl_b64 s[4:5], s[4:5], 1
	v_ashrrev_i32_e32 v12, 31, v11
	s_add_u32 s1, s1, s4
	s_addc_u32 s2, s2, s5
	v_add_co_u32 v1, s1, s1, v65
	s_delay_alu instid0(VALU_DEP_1) | instskip(SKIP_1) | instid1(VALU_DEP_3)
	v_add_co_ci_u32_e64 v2, null, s2, 0, s1
	v_lshlrev_b64 v[3:4], 1, v[3:4]
	v_add_co_u32 v23, vcc_lo, v1, v5
	v_add_nc_u32_e32 v5, 8, v7
	s_delay_alu instid0(VALU_DEP_4) | instskip(NEXT) | instid1(VALU_DEP_4)
	v_add_co_ci_u32_e32 v24, vcc_lo, v2, v6, vcc_lo
	v_add_co_u32 v27, vcc_lo, v1, v3
	s_delay_alu instid0(VALU_DEP_3)
	v_mul_lo_u32 v29, v5, s0
	v_add_co_ci_u32_e32 v28, vcc_lo, v2, v4, vcc_lo
	ds_load_b128 v[3:6], v19
	ds_load_b128 v[7:10], v19 offset:128
	v_lshlrev_b64 v[31:32], 1, v[11:12]
	ds_load_b128 v[11:14], v19 offset:256
	ds_load_b128 v[15:18], v19 offset:384
	;; [unrolled: 1-line block ×3, first 2 shown]
	v_ashrrev_i32_e32 v26, 31, v25
	v_ashrrev_i32_e32 v30, 31, v29
	v_add_co_u32 v31, vcc_lo, v1, v31
	s_delay_alu instid0(VALU_DEP_3) | instskip(NEXT) | instid1(VALU_DEP_3)
	v_lshlrev_b64 v[25:26], 1, v[25:26]
	v_lshlrev_b64 v[29:30], 1, v[29:30]
	v_add_co_ci_u32_e32 v32, vcc_lo, v2, v32, vcc_lo
	s_delay_alu instid0(VALU_DEP_3) | instskip(NEXT) | instid1(VALU_DEP_4)
	v_add_co_u32 v25, vcc_lo, v1, v25
	v_add_co_ci_u32_e32 v26, vcc_lo, v2, v26, vcc_lo
	s_delay_alu instid0(VALU_DEP_4)
	v_add_co_u32 v29, vcc_lo, v1, v29
	v_add_co_ci_u32_e32 v30, vcc_lo, v2, v30, vcc_lo
	s_waitcnt lgkmcnt(4)
	global_store_b128 v[23:24], v[3:6], off
	s_waitcnt lgkmcnt(3)
	global_store_b128 v[27:28], v[7:10], off
	;; [unrolled: 2-line block ×5, first 2 shown]
	s_and_b32 exec_lo, exec_lo, s3
	s_cbranch_execz .LBB1096_2
; %bb.16:
	ds_load_b128 v[3:6], v0 offset:640
	s_add_i32 s1, s33, 10
	s_delay_alu instid0(SALU_CYCLE_1) | instskip(NEXT) | instid1(SALU_CYCLE_1)
	s_mul_i32 s0, s1, s0
	s_ashr_i32 s1, s0, 31
	s_delay_alu instid0(SALU_CYCLE_1) | instskip(NEXT) | instid1(SALU_CYCLE_1)
	s_lshl_b64 s[0:1], s[0:1], 1
	v_add_co_u32 v0, vcc_lo, v1, s0
	v_add_co_ci_u32_e32 v1, vcc_lo, s1, v2, vcc_lo
	s_waitcnt lgkmcnt(0)
	global_store_b128 v[0:1], v[3:6], off
	s_nop 0
	s_sendmsg sendmsg(MSG_DEALLOC_VGPRS)
	s_endpgm
	.section	.rodata,"a",@progbits
	.p2align	6, 0x0
	.amdhsa_kernel _Z39paged_attention_ll4mi_QKV_mfma16_kernelIDF16_hLN4vllm18Fp8KVCacheDataTypeE1EhLi16ELi64ELi256ELb1ELi11EL8MFMAType0EEvPKT_PKT0_S8_ifPKiSA_SA_iPKfiiiPfSD_PS3_PT2_iSC_SC_
		.amdhsa_group_segment_fixed_size 17472
		.amdhsa_private_segment_fixed_size 0
		.amdhsa_kernarg_size 400
		.amdhsa_user_sgpr_count 13
		.amdhsa_user_sgpr_dispatch_ptr 0
		.amdhsa_user_sgpr_queue_ptr 0
		.amdhsa_user_sgpr_kernarg_segment_ptr 1
		.amdhsa_user_sgpr_dispatch_id 0
		.amdhsa_user_sgpr_private_segment_size 0
		.amdhsa_wavefront_size32 1
		.amdhsa_uses_dynamic_stack 0
		.amdhsa_enable_private_segment 0
		.amdhsa_system_sgpr_workgroup_id_x 1
		.amdhsa_system_sgpr_workgroup_id_y 1
		.amdhsa_system_sgpr_workgroup_id_z 1
		.amdhsa_system_sgpr_workgroup_info 0
		.amdhsa_system_vgpr_workitem_id 0
		.amdhsa_next_free_vgpr 146
		.amdhsa_next_free_sgpr 37
		.amdhsa_reserve_vcc 1
		.amdhsa_float_round_mode_32 0
		.amdhsa_float_round_mode_16_64 0
		.amdhsa_float_denorm_mode_32 3
		.amdhsa_float_denorm_mode_16_64 3
		.amdhsa_dx10_clamp 1
		.amdhsa_ieee_mode 1
		.amdhsa_fp16_overflow 0
		.amdhsa_workgroup_processor_mode 1
		.amdhsa_memory_ordered 1
		.amdhsa_forward_progress 0
		.amdhsa_shared_vgpr_count 0
		.amdhsa_exception_fp_ieee_invalid_op 0
		.amdhsa_exception_fp_denorm_src 0
		.amdhsa_exception_fp_ieee_div_zero 0
		.amdhsa_exception_fp_ieee_overflow 0
		.amdhsa_exception_fp_ieee_underflow 0
		.amdhsa_exception_fp_ieee_inexact 0
		.amdhsa_exception_int_div_zero 0
	.end_amdhsa_kernel
	.section	.text._Z39paged_attention_ll4mi_QKV_mfma16_kernelIDF16_hLN4vllm18Fp8KVCacheDataTypeE1EhLi16ELi64ELi256ELb1ELi11EL8MFMAType0EEvPKT_PKT0_S8_ifPKiSA_SA_iPKfiiiPfSD_PS3_PT2_iSC_SC_,"axG",@progbits,_Z39paged_attention_ll4mi_QKV_mfma16_kernelIDF16_hLN4vllm18Fp8KVCacheDataTypeE1EhLi16ELi64ELi256ELb1ELi11EL8MFMAType0EEvPKT_PKT0_S8_ifPKiSA_SA_iPKfiiiPfSD_PS3_PT2_iSC_SC_,comdat
.Lfunc_end1096:
	.size	_Z39paged_attention_ll4mi_QKV_mfma16_kernelIDF16_hLN4vllm18Fp8KVCacheDataTypeE1EhLi16ELi64ELi256ELb1ELi11EL8MFMAType0EEvPKT_PKT0_S8_ifPKiSA_SA_iPKfiiiPfSD_PS3_PT2_iSC_SC_, .Lfunc_end1096-_Z39paged_attention_ll4mi_QKV_mfma16_kernelIDF16_hLN4vllm18Fp8KVCacheDataTypeE1EhLi16ELi64ELi256ELb1ELi11EL8MFMAType0EEvPKT_PKT0_S8_ifPKiSA_SA_iPKfiiiPfSD_PS3_PT2_iSC_SC_
                                        ; -- End function
	.section	.AMDGPU.csdata,"",@progbits
; Kernel info:
; codeLenInByte = 6640
; NumSgprs: 39
; NumVgprs: 146
; ScratchSize: 0
; MemoryBound: 0
; FloatMode: 240
; IeeeMode: 1
; LDSByteSize: 17472 bytes/workgroup (compile time only)
; SGPRBlocks: 4
; VGPRBlocks: 18
; NumSGPRsForWavesPerEU: 39
; NumVGPRsForWavesPerEU: 146
; Occupancy: 9
; WaveLimiterHint : 1
; COMPUTE_PGM_RSRC2:SCRATCH_EN: 0
; COMPUTE_PGM_RSRC2:USER_SGPR: 13
; COMPUTE_PGM_RSRC2:TRAP_HANDLER: 0
; COMPUTE_PGM_RSRC2:TGID_X_EN: 1
; COMPUTE_PGM_RSRC2:TGID_Y_EN: 1
; COMPUTE_PGM_RSRC2:TGID_Z_EN: 1
; COMPUTE_PGM_RSRC2:TIDIG_COMP_CNT: 0
	.section	.text._Z39paged_attention_ll4mi_QKV_mfma16_kernelIDF16_hLN4vllm18Fp8KVCacheDataTypeE1EhLi16ELi64ELi256ELb1ELi12EL8MFMAType0EEvPKT_PKT0_S8_ifPKiSA_SA_iPKfiiiPfSD_PS3_PT2_iSC_SC_,"axG",@progbits,_Z39paged_attention_ll4mi_QKV_mfma16_kernelIDF16_hLN4vllm18Fp8KVCacheDataTypeE1EhLi16ELi64ELi256ELb1ELi12EL8MFMAType0EEvPKT_PKT0_S8_ifPKiSA_SA_iPKfiiiPfSD_PS3_PT2_iSC_SC_,comdat
	.protected	_Z39paged_attention_ll4mi_QKV_mfma16_kernelIDF16_hLN4vllm18Fp8KVCacheDataTypeE1EhLi16ELi64ELi256ELb1ELi12EL8MFMAType0EEvPKT_PKT0_S8_ifPKiSA_SA_iPKfiiiPfSD_PS3_PT2_iSC_SC_ ; -- Begin function _Z39paged_attention_ll4mi_QKV_mfma16_kernelIDF16_hLN4vllm18Fp8KVCacheDataTypeE1EhLi16ELi64ELi256ELb1ELi12EL8MFMAType0EEvPKT_PKT0_S8_ifPKiSA_SA_iPKfiiiPfSD_PS3_PT2_iSC_SC_
	.globl	_Z39paged_attention_ll4mi_QKV_mfma16_kernelIDF16_hLN4vllm18Fp8KVCacheDataTypeE1EhLi16ELi64ELi256ELb1ELi12EL8MFMAType0EEvPKT_PKT0_S8_ifPKiSA_SA_iPKfiiiPfSD_PS3_PT2_iSC_SC_
	.p2align	8
	.type	_Z39paged_attention_ll4mi_QKV_mfma16_kernelIDF16_hLN4vllm18Fp8KVCacheDataTypeE1EhLi16ELi64ELi256ELb1ELi12EL8MFMAType0EEvPKT_PKT0_S8_ifPKiSA_SA_iPKfiiiPfSD_PS3_PT2_iSC_SC_,@function
_Z39paged_attention_ll4mi_QKV_mfma16_kernelIDF16_hLN4vllm18Fp8KVCacheDataTypeE1EhLi16ELi64ELi256ELb1ELi12EL8MFMAType0EEvPKT_PKT0_S8_ifPKiSA_SA_iPKfiiiPfSD_PS3_PT2_iSC_SC_: ; @_Z39paged_attention_ll4mi_QKV_mfma16_kernelIDF16_hLN4vllm18Fp8KVCacheDataTypeE1EhLi16ELi64ELi256ELb1ELi12EL8MFMAType0EEvPKT_PKT0_S8_ifPKiSA_SA_iPKfiiiPfSD_PS3_PT2_iSC_SC_
; %bb.0:
	s_load_b64 s[2:3], s[0:1], 0x30
	s_mov_b32 s34, s13
	s_waitcnt lgkmcnt(0)
	s_cmp_lg_u64 s[2:3], 0
	s_cselect_b32 s6, -1, 0
	s_ashr_i32 s35, s13, 31
	s_cmp_eq_u64 s[2:3], 0
	s_cbranch_scc1 .LBB1097_3
; %bb.1:
	s_lshl_b64 s[4:5], s[34:35], 2
	s_delay_alu instid0(SALU_CYCLE_1) | instskip(SKIP_4) | instid1(SALU_CYCLE_1)
	s_add_u32 s4, s2, s4
	s_addc_u32 s5, s3, s5
	s_load_b64 s[4:5], s[4:5], 0x0
	s_waitcnt lgkmcnt(0)
	s_sub_i32 s4, s5, s4
	s_cmp_eq_u32 s4, 1
	s_cselect_b32 s4, -1, 0
	s_delay_alu instid0(SALU_CYCLE_1)
	s_and_not1_b32 vcc_lo, exec_lo, s4
	s_cbranch_vccz .LBB1097_4
.LBB1097_2:
	s_endpgm
.LBB1097_3:
.LBB1097_4:
	s_load_b64 s[8:9], s[0:1], 0x28
	s_lshl_b64 s[4:5], s[34:35], 2
	s_waitcnt lgkmcnt(0)
	s_add_u32 s8, s8, s4
	s_addc_u32 s9, s9, s5
	s_lshl_b32 s16, s14, 8
	s_load_b32 s18, s[8:9], 0x0
	s_waitcnt lgkmcnt(0)
	s_cmp_ge_i32 s16, s18
	s_cbranch_scc1 .LBB1097_2
; %bb.5:
	s_clause 0x1
	s_load_b128 s[8:11], s[0:1], 0x8
	s_load_b64 s[12:13], s[0:1], 0x20
	s_and_not1_b32 vcc_lo, exec_lo, s6
	s_cbranch_vccnz .LBB1097_7
; %bb.6:
	s_add_u32 s2, s2, s4
	s_addc_u32 s3, s3, s5
	s_load_b32 s3, s[2:3], 0x0
	s_branch .LBB1097_8
.LBB1097_7:
	s_mov_b32 s3, s34
.LBB1097_8:
	s_load_b128 s[4:7], s[0:1], 0x48
	v_and_b32_e32 v68, 15, v0
	v_cmp_gt_u32_e32 vcc_lo, 0xc0, v0
	v_lshrrev_b32_e32 v69, 5, v0
	v_and_b32_e32 v70, 31, v0
	v_and_b32_e32 v67, 1, v0
	v_lshlrev_b32_e32 v1, 3, v68
	v_cmp_gt_u32_e64 s2, 8, v68
	v_bfe_u32 v66, v0, 4, 1
	s_mul_i32 s31, s15, 12
	s_delay_alu instid0(VALU_DEP_3) | instskip(NEXT) | instid1(VALU_DEP_3)
	v_lshlrev_b32_e32 v65, 1, v1
	s_and_b32 s17, vcc_lo, s2
	s_waitcnt lgkmcnt(0)
	s_and_saveexec_b32 s7, s17
	s_cbranch_execz .LBB1097_10
; %bb.9:
	s_load_b64 s[20:21], s[0:1], 0x0
	v_lshl_or_b32 v5, v69, 1, v66
	s_mul_hi_i32 s23, s3, s4
	s_mul_i32 s22, s3, s4
	v_lshlrev_b32_e32 v6, 10, v68
	s_lshl_b64 s[22:23], s[22:23], 1
	v_add_lshl_u32 v1, v5, s31, 6
	v_lshlrev_b32_e32 v5, 6, v5
	v_lshlrev_b32_e32 v7, 10, v67
	v_and_b32_e32 v6, 0x3800, v6
	s_delay_alu instid0(VALU_DEP_4) | instskip(NEXT) | instid1(VALU_DEP_2)
	v_ashrrev_i32_e32 v2, 31, v1
	v_or3_b32 v5, v6, v7, v5
	s_delay_alu instid0(VALU_DEP_2) | instskip(SKIP_3) | instid1(VALU_DEP_1)
	v_lshlrev_b64 v[1:2], 1, v[1:2]
	s_waitcnt lgkmcnt(0)
	s_add_u32 s3, s20, s22
	s_addc_u32 s4, s21, s23
	v_add_co_u32 v1, vcc_lo, s3, v1
	s_delay_alu instid0(VALU_DEP_2) | instskip(NEXT) | instid1(VALU_DEP_2)
	v_add_co_ci_u32_e32 v2, vcc_lo, s4, v2, vcc_lo
	v_add_co_u32 v1, vcc_lo, v1, v65
	s_delay_alu instid0(VALU_DEP_2)
	v_add_co_ci_u32_e32 v2, vcc_lo, 0, v2, vcc_lo
	global_load_b128 v[1:4], v[1:2], off
	s_waitcnt vmcnt(0)
	ds_store_b128 v5, v[1:4]
.LBB1097_10:
	s_or_b32 exec_lo, exec_lo, s7
	v_and_b32_e32 v1, 0xef, v0
	s_add_i32 s3, s18, 15
	s_clause 0x1
	s_load_b32 s4, s[0:1], 0x38
	s_load_b32 s33, s[0:1], 0x98
	s_ashr_i32 s7, s3, 31
	v_add_nc_u32_e32 v1, s16, v1
	s_lshr_b32 s7, s7, 28
	s_load_b32 s19, s[0:1], 0x1c
	v_add_nc_u32_e32 v103, -12, v68
	s_add_i32 s3, s3, s7
	v_ashrrev_i32_e32 v2, 31, v1
	v_or_b32_e32 v3, 16, v1
	s_ashr_i32 s3, s3, 4
	v_cmp_gt_i32_e32 vcc_lo, s18, v1
	s_add_i32 s3, s3, -1
	v_lshrrev_b32_e32 v2, 28, v2
	s_waitcnt lgkmcnt(0)
	s_barrier
	buffer_gl0_inv
	s_mul_i32 s15, s15, s6
	v_add_nc_u32_e32 v4, v1, v2
	v_mbcnt_lo_u32_b32 v127, -1, 0
	s_mul_i32 s20, s34, s4
	s_delay_alu instid0(SALU_CYCLE_1) | instskip(NEXT) | instid1(VALU_DEP_2)
	s_ashr_i32 s21, s20, 31
	v_ashrrev_i32_e32 v4, 4, v4
	v_add_nc_u32_e32 v2, v3, v2
	s_lshl_b64 s[20:21], s[20:21], 2
	v_xor_b32_e32 v128, 16, v127
	s_add_u32 s17, s12, s20
	v_cndmask_b32_e32 v1, s3, v4, vcc_lo
	v_ashrrev_i32_e32 v2, 4, v2
	v_cmp_gt_i32_e32 vcc_lo, s18, v3
	s_addc_u32 s13, s13, s21
	s_ashr_i32 s20, s15, 31
	s_add_u32 s4, s8, s15
	s_addc_u32 s12, s9, s20
	v_cndmask_b32_e32 v3, s3, v2, vcc_lo
	v_ashrrev_i32_e32 v2, 31, v1
	s_lshl_b32 s6, s14, 4
	s_delay_alu instid0(SALU_CYCLE_1) | instskip(NEXT) | instid1(VALU_DEP_2)
	s_ashr_i32 s7, s6, 31
	v_ashrrev_i32_e32 v4, 31, v3
	s_delay_alu instid0(VALU_DEP_2) | instskip(SKIP_1) | instid1(SALU_CYCLE_1)
	v_lshlrev_b64 v[1:2], 2, v[1:2]
	s_lshl_b64 s[6:7], s[6:7], 2
	s_add_u32 s6, s17, s6
	s_delay_alu instid0(VALU_DEP_2) | instskip(SKIP_1) | instid1(VALU_DEP_2)
	v_lshlrev_b64 v[3:4], 2, v[3:4]
	s_addc_u32 s7, s13, s7
	v_add_co_u32 v1, vcc_lo, s17, v1
	v_add_co_ci_u32_e32 v2, vcc_lo, s13, v2, vcc_lo
	s_delay_alu instid0(VALU_DEP_3) | instskip(NEXT) | instid1(VALU_DEP_4)
	v_add_co_u32 v3, vcc_lo, s17, v3
	v_add_co_ci_u32_e32 v4, vcc_lo, s13, v4, vcc_lo
	s_clause 0x1
	global_load_b32 v5, v[1:2], off
	global_load_b32 v7, v[3:4], off
	s_or_b32 s8, s16, 32
	v_lshlrev_b32_e32 v1, 4, v0
	s_ashr_i32 s9, s8, 4
	s_cmp_lt_i32 s8, s18
	v_cmp_gt_u32_e32 vcc_lo, 12, v68
	s_cselect_b32 s8, s9, s3
	v_and_b32_e32 v1, 0xf0, v1
	s_ashr_i32 s9, s8, 31
	s_delay_alu instid0(SALU_CYCLE_1)
	s_lshl_b64 s[8:9], s[8:9], 2
	v_cndmask_b32_e32 v103, v103, v68, vcc_lo
	s_add_u32 s8, s17, s8
	s_addc_u32 s9, s13, s9
	s_or_b32 s21, s16, 64
	v_add_co_u32 v1, s4, s4, v1
	s_ashr_i32 s22, s21, 4
	s_cmp_lt_i32 s21, s18
	v_add_co_ci_u32_e64 v2, null, s12, 0, s4
	s_cselect_b32 s22, s22, s3
	v_cmp_gt_i32_e32 vcc_lo, 32, v128
	s_ashr_i32 s23, s22, 31
	v_lshlrev_b32_e32 v115, 6, v103
	s_lshl_b64 s[22:23], s[22:23], 2
	v_cndmask_b32_e32 v136, v127, v128, vcc_lo
	s_add_u32 s22, s17, s22
	s_addc_u32 s23, s13, s23
	s_or_b32 s21, s16, 0x60
	s_delay_alu instid0(SALU_CYCLE_1) | instskip(SKIP_2) | instid1(SALU_CYCLE_1)
	s_ashr_i32 s24, s21, 4
	s_cmp_lt_i32 s21, s18
	s_cselect_b32 s24, s24, s3
	s_ashr_i32 s25, s24, 31
	s_delay_alu instid0(SALU_CYCLE_1) | instskip(NEXT) | instid1(SALU_CYCLE_1)
	s_lshl_b64 s[24:25], s[24:25], 2
	s_add_u32 s24, s17, s24
	s_addc_u32 s25, s13, s25
	s_or_b32 s21, s16, 0x80
	s_delay_alu instid0(SALU_CYCLE_1) | instskip(SKIP_2) | instid1(SALU_CYCLE_1)
	s_ashr_i32 s26, s21, 4
	s_cmp_lt_i32 s21, s18
	s_cselect_b32 s26, s26, s3
	s_ashr_i32 s27, s26, 31
	s_delay_alu instid0(SALU_CYCLE_1) | instskip(NEXT) | instid1(SALU_CYCLE_1)
	s_lshl_b64 s[26:27], s[26:27], 2
	s_add_u32 s26, s17, s26
	s_addc_u32 s27, s13, s27
	s_or_b32 s21, s16, 0xa0
	s_delay_alu instid0(SALU_CYCLE_1) | instskip(SKIP_2) | instid1(SALU_CYCLE_1)
	s_ashr_i32 s28, s21, 4
	s_cmp_lt_i32 s21, s18
	s_cselect_b32 s28, s28, s3
	s_ashr_i32 s29, s28, 31
	s_delay_alu instid0(SALU_CYCLE_1) | instskip(NEXT) | instid1(SALU_CYCLE_1)
	s_lshl_b64 s[28:29], s[28:29], 2
	s_add_u32 s28, s17, s28
	s_addc_u32 s29, s13, s29
	s_clause 0x5
	s_load_b32 s12, s[6:7], 0x0
	s_load_b32 s4, s[8:9], 0x0
	;; [unrolled: 1-line block ×6, first 2 shown]
	s_or_b32 s21, s16, 0xc0
	s_delay_alu instid0(SALU_CYCLE_1) | instskip(SKIP_2) | instid1(SALU_CYCLE_1)
	s_ashr_i32 s22, s21, 4
	s_cmp_lt_i32 s21, s18
	s_cselect_b32 s22, s22, s3
	s_ashr_i32 s23, s22, 31
	s_delay_alu instid0(SALU_CYCLE_1) | instskip(NEXT) | instid1(SALU_CYCLE_1)
	s_lshl_b64 s[22:23], s[22:23], 2
	s_add_u32 s22, s17, s22
	s_addc_u32 s23, s13, s23
	s_or_b32 s21, s16, 0xe0
	s_delay_alu instid0(SALU_CYCLE_1) | instskip(SKIP_2) | instid1(SALU_CYCLE_1)
	s_ashr_i32 s24, s21, 4
	s_cmp_lt_i32 s21, s18
	s_cselect_b32 s24, s24, s3
	s_ashr_i32 s25, s24, 31
	s_delay_alu instid0(SALU_CYCLE_1)
	s_lshl_b64 s[24:25], s[24:25], 2
	s_waitcnt vmcnt(1)
	v_mad_i64_i32 v[3:4], null, v5, s5, v[1:2]
	s_waitcnt vmcnt(0)
	v_mad_i64_i32 v[5:6], null, v7, s5, v[1:2]
	v_lshlrev_b32_e32 v1, 4, v68
	s_clause 0x7
	global_load_b128 v[71:74], v[3:4], off
	global_load_b128 v[75:78], v[3:4], off offset:256
	global_load_b128 v[79:82], v[5:6], off
	global_load_b128 v[83:86], v[5:6], off offset:256
	global_load_b128 v[87:90], v[3:4], off offset:512
	;; [unrolled: 1-line block ×5, first 2 shown]
	v_lshl_or_b32 v1, v69, 8, v1
	s_load_b32 s3, s[22:23], 0x0
	s_add_u32 s22, s17, s24
	s_addc_u32 s23, s13, s25
	s_add_u32 s10, s10, s15
	s_addc_u32 s11, s11, s20
	v_add_co_u32 v1, s10, s10, v1
	s_delay_alu instid0(VALU_DEP_1) | instskip(SKIP_2) | instid1(VALU_DEP_1)
	v_add_co_ci_u32_e64 v2, null, s11, 0, s10
	s_load_b32 s10, s[22:23], 0x0
	s_waitcnt lgkmcnt(0)
	v_mad_i64_i32 v[3:4], null, s12, s5, v[1:2]
	v_mad_i64_i32 v[9:10], null, s7, s5, v[1:2]
	;; [unrolled: 1-line block ×7, first 2 shown]
	s_clause 0x5
	global_load_b128 v[49:52], v[3:4], off
	global_load_b128 v[53:56], v[3:4], off offset:16
	global_load_b128 v[41:44], v[5:6], off
	global_load_b128 v[45:48], v[5:6], off offset:16
	;; [unrolled: 2-line block ×3, first 2 shown]
	s_mov_b32 s4, 0
	v_mad_i64_i32 v[61:62], null, s10, s5, v[1:2]
	s_clause 0x9
	global_load_b128 v[1:4], v[9:10], off
	global_load_b128 v[5:8], v[9:10], off offset:16
	global_load_b128 v[9:12], v[13:14], off
	global_load_b128 v[13:16], v[13:14], off offset:16
	;; [unrolled: 2-line block ×5, first 2 shown]
	s_mov_b32 s5, s4
	s_mov_b32 s6, s4
	;; [unrolled: 1-line block ×7, first 2 shown]
	v_and_b32_e32 v104, 0xe0, v0
	v_dual_mov_b32 v126, s11 :: v_dual_mov_b32 v125, s10
	v_dual_mov_b32 v124, s9 :: v_dual_mov_b32 v123, s8
	s_delay_alu instid0(VALU_DEP_3)
	v_add_nc_u32_e32 v111, s16, v104
	ds_load_b128 v[103:106], v115
	ds_load_b128 v[107:110], v115 offset:1024
	v_dual_mov_b32 v122, s7 :: v_dual_mov_b32 v121, s6
	v_mov_b32_e32 v120, s5
	v_or_b32_e32 v135, v111, v66
	ds_load_b128 v[111:114], v115 offset:2048
	ds_load_b128 v[115:118], v115 offset:3072
	v_mov_b32_e32 v119, s4
	s_waitcnt vmcnt(0) lgkmcnt(0)
	s_barrier
	v_or_b32_e32 v137, 2, v135
	v_or_b32_e32 v138, 4, v135
	;; [unrolled: 1-line block ×3, first 2 shown]
	v_cmp_gt_i32_e32 vcc_lo, s18, v135
	v_or_b32_e32 v140, 8, v135
	v_cmp_gt_i32_e64 s3, s18, v137
	v_or_b32_e32 v141, 10, v135
	v_cmp_gt_i32_e64 s4, s18, v138
	v_cmp_gt_i32_e64 s5, s18, v139
	v_or_b32_e32 v142, 12, v135
	v_or_b32_e32 v143, 14, v135
	v_cmp_gt_i32_e64 s6, s18, v140
	v_cmp_gt_i32_e64 s7, s18, v141
	v_or_b32_e32 v144, 16, v135
	v_or_b32_e32 v145, 18, v135
	v_cmp_gt_i32_e64 s8, s18, v142
	v_cmp_gt_i32_e64 s9, s18, v143
	buffer_gl0_inv
	v_cmp_gt_i32_e64 s10, s18, v144
	v_cmp_gt_i32_e64 s11, s18, v145
	v_wmma_f32_16x16x16_f16 v[127:134], v[71:78], v[103:110], v[119:126]
	v_wmma_f32_16x16x16_f16 v[119:126], v[79:86], v[103:110], v[119:126]
	v_or_b32_e32 v71, 20, v135
	v_or_b32_e32 v72, 22, v135
	s_delay_alu instid0(VALU_DEP_4)
	v_wmma_f32_16x16x16_f16 v[127:134], v[87:94], v[111:118], v[127:134]
	v_or_b32_e32 v73, 24, v135
	v_wmma_f32_16x16x16_f16 v[119:126], v[95:102], v[111:118], v[119:126]
	v_or_b32_e32 v74, 26, v135
	v_cmp_gt_i32_e64 s12, s18, v71
	v_dual_mul_f32 v83, s19, v128 :: v_dual_mul_f32 v84, s19, v127
	v_dual_mul_f32 v81, s19, v130 :: v_dual_mul_f32 v82, s19, v129
	v_dual_mul_f32 v79, s19, v132 :: v_dual_mul_f32 v92, s19, v119
	s_delay_alu instid0(VALU_DEP_3) | instskip(NEXT) | instid1(VALU_DEP_4)
	v_cndmask_b32_e32 v84, 0xff7fffff, v84, vcc_lo
	v_cndmask_b32_e64 v83, 0xff7fffff, v83, s3
	v_mul_f32_e32 v80, s19, v131
	v_cndmask_b32_e64 v82, 0xff7fffff, v82, s4
	v_cndmask_b32_e64 v81, 0xff7fffff, v81, s5
	v_dual_mul_f32 v77, s19, v134 :: v_dual_mul_f32 v90, s19, v121
	v_max3_f32 v83, v84, 0xff7fffff, v83
	v_mul_f32_e32 v78, s19, v133
	v_cndmask_b32_e64 v80, 0xff7fffff, v80, s6
	v_cndmask_b32_e64 v79, 0xff7fffff, v79, s7
	v_mul_f32_e32 v91, s19, v120
	v_max3_f32 v81, v83, v82, v81
	v_cndmask_b32_e64 v78, 0xff7fffff, v78, s8
	v_cndmask_b32_e64 v77, 0xff7fffff, v77, s9
	v_mul_f32_e32 v89, s19, v122
	v_cmp_gt_i32_e64 s13, s18, v72
	v_max3_f32 v79, v81, v80, v79
	v_cndmask_b32_e64 v80, 0xff7fffff, v92, s10
	v_cndmask_b32_e64 v81, 0xff7fffff, v91, s11
	v_or_b32_e32 v75, 28, v135
	v_or_b32_e32 v76, 30, v135
	v_max3_f32 v77, v79, v78, v77
	v_dual_mul_f32 v87, s19, v124 :: v_dual_mul_f32 v88, s19, v123
	v_cndmask_b32_e64 v71, 0xff7fffff, v90, s12
	v_cndmask_b32_e64 v72, 0xff7fffff, v89, s13
	s_delay_alu instid0(VALU_DEP_4) | instskip(SKIP_3) | instid1(VALU_DEP_4)
	v_max3_f32 v77, v77, v80, v81
	v_cmp_gt_i32_e64 s15, s18, v73
	v_cmp_gt_i32_e64 s16, s18, v74
	v_dual_mul_f32 v85, s19, v126 :: v_dual_mul_f32 v86, s19, v125
	v_max3_f32 v71, v77, v71, v72
	s_delay_alu instid0(VALU_DEP_4) | instskip(NEXT) | instid1(VALU_DEP_4)
	v_cndmask_b32_e64 v73, 0xff7fffff, v88, s15
	v_cndmask_b32_e64 v74, 0xff7fffff, v87, s16
	v_cmp_gt_i32_e64 s17, s18, v75
	v_cmp_gt_i32_e64 s18, s18, v76
	s_delay_alu instid0(VALU_DEP_3) | instskip(NEXT) | instid1(VALU_DEP_3)
	v_max3_f32 v71, v71, v73, v74
	v_cndmask_b32_e64 v72, 0xff7fffff, v86, s17
	s_delay_alu instid0(VALU_DEP_3) | instskip(SKIP_1) | instid1(VALU_DEP_2)
	v_cndmask_b32_e64 v75, 0xff7fffff, v85, s18
	v_lshlrev_b32_e32 v73, 2, v136
	v_max3_f32 v71, v71, v72, v75
	ds_bpermute_b32 v72, v73, v71
	s_waitcnt lgkmcnt(0)
	v_max_f32_e32 v72, v72, v72
	s_delay_alu instid0(VALU_DEP_1) | instskip(NEXT) | instid1(VALU_DEP_1)
	v_max_f32_e32 v71, v71, v72
	v_fma_f32 v72, s19, v127, -v71
	v_fma_f32 v74, s19, v128, -v71
	;; [unrolled: 1-line block ×5, first 2 shown]
	v_mul_f32_e32 v72, 0x3fb8aa3b, v72
	s_delay_alu instid0(VALU_DEP_4) | instskip(NEXT) | instid1(VALU_DEP_4)
	v_dual_mul_f32 v74, 0x3fb8aa3b, v74 :: v_dual_mul_f32 v75, 0x3fb8aa3b, v75
	v_mul_f32_e32 v76, 0x3fb8aa3b, v76
	s_delay_alu instid0(VALU_DEP_4) | instskip(NEXT) | instid1(VALU_DEP_4)
	v_mul_f32_e32 v82, 0x3fb8aa3b, v80
	v_exp_f32_e32 v72, v72
	s_delay_alu instid0(VALU_DEP_3)
	v_exp_f32_e32 v74, v74
	v_exp_f32_e32 v75, v75
	;; [unrolled: 1-line block ×3, first 2 shown]
	v_fma_f32 v77, s19, v131, -v71
	v_exp_f32_e32 v84, v82
	v_cndmask_b32_e32 v79, 0, v72, vcc_lo
	v_cndmask_b32_e64 v78, 0, v74, s3
	s_delay_alu instid0(TRANS32_DEP_3) | instskip(SKIP_1) | instid1(TRANS32_DEP_2)
	v_cndmask_b32_e64 v81, 0, v75, s4
	v_fma_f32 v72, s19, v132, -v71
	v_cndmask_b32_e64 v80, 0, v76, s5
	v_add_f32_e32 v74, 0, v79
	s_delay_alu instid0(TRANS32_DEP_1) | instskip(SKIP_2) | instid1(VALU_DEP_3)
	v_cndmask_b32_e64 v85, 0, v84, s8
	s_mov_b32 s3, exec_lo
	v_mul_f32_e32 v72, 0x3fb8aa3b, v72
	v_add_f32_e32 v74, v74, v78
	s_delay_alu instid0(VALU_DEP_2) | instskip(NEXT) | instid1(VALU_DEP_1)
	v_exp_f32_e32 v72, v72
	v_add_f32_e32 v74, v74, v81
	s_delay_alu instid0(VALU_DEP_1) | instskip(NEXT) | instid1(VALU_DEP_1)
	v_dual_mul_f32 v77, 0x3fb8aa3b, v77 :: v_dual_add_f32 v74, v74, v80
	v_exp_f32_e32 v77, v77
	s_waitcnt_depctr 0xfff
	v_cndmask_b32_e64 v82, 0, v72, s7
	v_cndmask_b32_e64 v83, 0, v77, s6
	s_delay_alu instid0(VALU_DEP_1) | instskip(SKIP_4) | instid1(VALU_DEP_4)
	v_add_f32_e32 v72, v74, v83
	v_fma_f32 v75, s19, v134, -v71
	v_fma_f32 v76, s19, v119, -v71
	;; [unrolled: 1-line block ×4, first 2 shown]
	v_dual_add_f32 v72, v72, v82 :: v_dual_mul_f32 v75, 0x3fb8aa3b, v75
	s_delay_alu instid0(VALU_DEP_3) | instskip(NEXT) | instid1(VALU_DEP_3)
	v_dual_mul_f32 v76, 0x3fb8aa3b, v76 :: v_dual_mul_f32 v77, 0x3fb8aa3b, v77
	v_mul_f32_e32 v74, 0x3fb8aa3b, v74
	v_fma_f32 v86, s19, v122, -v71
	s_delay_alu instid0(VALU_DEP_4) | instskip(NEXT) | instid1(VALU_DEP_3)
	v_exp_f32_e32 v75, v75
	v_exp_f32_e32 v76, v76
	v_exp_f32_e32 v77, v77
	v_exp_f32_e32 v74, v74
	v_mul_f32_e32 v86, 0x3fb8aa3b, v86
	s_delay_alu instid0(VALU_DEP_1)
	v_exp_f32_e32 v88, v86
	v_cndmask_b32_e64 v84, 0, v75, s9
	v_fma_f32 v75, s19, v123, -v71
	v_add_f32_e32 v72, v72, v85
	v_cndmask_b32_e64 v87, 0, v76, s10
	v_fma_f32 v76, s19, v124, -v71
	s_delay_alu instid0(TRANS32_DEP_3) | instskip(NEXT) | instid1(VALU_DEP_4)
	v_cndmask_b32_e64 v86, 0, v77, s11
	v_dual_mul_f32 v75, 0x3fb8aa3b, v75 :: v_dual_add_f32 v72, v72, v84
	v_fma_f32 v77, s19, v125, -v71
	s_delay_alu instid0(VALU_DEP_4) | instskip(SKIP_1) | instid1(VALU_DEP_4)
	v_mul_f32_e32 v76, 0x3fb8aa3b, v76
	v_cndmask_b32_e64 v89, 0, v74, s12
	v_exp_f32_e32 v75, v75
	v_add_f32_e32 v72, v72, v87
	v_mul_f32_e32 v74, 0x3fb8aa3b, v77
	v_exp_f32_e32 v76, v76
	v_cndmask_b32_e64 v88, 0, v88, s13
	v_fma_f32 v77, s19, v126, -v71
	v_add_f32_e32 v72, v72, v86
	v_exp_f32_e32 v74, v74
	s_delay_alu instid0(TRANS32_DEP_3) | instskip(NEXT) | instid1(VALU_DEP_2)
	v_cndmask_b32_e64 v91, 0, v75, s15
	v_add_f32_e32 v72, v72, v89
	v_mul_f32_e32 v75, 0x3fb8aa3b, v77
	s_delay_alu instid0(TRANS32_DEP_2) | instskip(NEXT) | instid1(VALU_DEP_3)
	v_cndmask_b32_e64 v90, 0, v76, s16
	v_add_f32_e32 v72, v72, v88
	s_delay_alu instid0(VALU_DEP_3) | instskip(NEXT) | instid1(TRANS32_DEP_2)
	v_exp_f32_e32 v75, v75
	v_cndmask_b32_e64 v93, 0, v74, s17
	s_delay_alu instid0(VALU_DEP_2) | instskip(NEXT) | instid1(VALU_DEP_1)
	v_add_f32_e32 v72, v72, v91
	v_add_f32_e32 v72, v72, v90
	s_waitcnt_depctr 0xfff
	v_cndmask_b32_e64 v92, 0, v75, s18
	v_add_f32_e32 v72, v72, v93
	s_delay_alu instid0(VALU_DEP_1)
	v_add_f32_e32 v72, v72, v92
	ds_bpermute_b32 v73, v73, v72
	v_cmpx_gt_u32_e32 16, v70
	s_cbranch_execz .LBB1097_12
; %bb.11:
	v_mul_u32_u24_e32 v70, 0x44, v69
	s_waitcnt lgkmcnt(0)
	v_add_f32_e32 v72, v72, v73
	s_delay_alu instid0(VALU_DEP_2) | instskip(NEXT) | instid1(VALU_DEP_1)
	v_lshl_add_u32 v70, v68, 2, v70
	v_add_nc_u32_e32 v70, 0x4000, v70
	ds_store_2addr_b32 v70, v71, v72 offset1:136
.LBB1097_12:
	s_or_b32 exec_lo, exec_lo, s3
	v_lshlrev_b32_e32 v70, 2, v68
	s_load_b32 s35, s[0:1], 0x94
	s_waitcnt lgkmcnt(0)
	s_barrier
	buffer_gl0_inv
	v_add_nc_u32_e32 v98, 0x4000, v70
	v_cmp_eq_u32_e32 vcc_lo, 1, v69
	v_cmp_eq_u32_e64 s3, 2, v69
	v_cmp_eq_u32_e64 s4, 3, v69
	;; [unrolled: 1-line block ×3, first 2 shown]
	ds_load_2addr_b32 v[70:71], v98 offset1:17
	ds_load_2addr_b32 v[72:73], v98 offset0:34 offset1:51
	ds_load_2addr_b32 v[74:75], v98 offset0:68 offset1:85
	;; [unrolled: 1-line block ×3, first 2 shown]
	v_cmp_eq_u32_e64 s6, 5, v69
	v_cmp_eq_u32_e64 s7, 7, v69
	s_waitcnt lgkmcnt(3)
	v_max3_f32 v76, v70, 0xff7fffff, v71
	s_waitcnt lgkmcnt(2)
	s_delay_alu instid0(VALU_DEP_1) | instskip(SKIP_1) | instid1(VALU_DEP_1)
	v_max3_f32 v76, v76, v72, v73
	s_waitcnt lgkmcnt(1)
	v_max3_f32 v76, v76, v74, v75
	s_waitcnt lgkmcnt(0)
	s_delay_alu instid0(VALU_DEP_1) | instskip(NEXT) | instid1(VALU_DEP_1)
	v_max3_f32 v76, v76, v94, v95
	v_sub_f32_e32 v77, v71, v76
	ds_load_2addr_b32 v[96:97], v98 offset0:136 offset1:153
	v_sub_f32_e32 v74, v74, v76
	v_sub_f32_e32 v70, v70, v76
	;; [unrolled: 1-line block ×3, first 2 shown]
	v_dual_sub_f32 v72, v72, v76 :: v_dual_mul_f32 v77, 0x3fb8aa3b, v77
	s_delay_alu instid0(VALU_DEP_4) | instskip(NEXT) | instid1(VALU_DEP_4)
	v_mul_f32_e32 v103, 0x3fb8aa3b, v74
	v_mul_f32_e32 v99, 0x3fb8aa3b, v70
	ds_load_2addr_b32 v[70:71], v98 offset0:170 offset1:187
	v_dual_mul_f32 v101, 0x3fb8aa3b, v72 :: v_dual_mul_f32 v94, 0x3fb8aa3b, v94
	v_exp_f32_e32 v102, v77
	v_exp_f32_e32 v99, v99
	s_delay_alu instid0(VALU_DEP_1) | instskip(NEXT) | instid1(VALU_DEP_1)
	v_exp_f32_e32 v101, v101
	v_exp_f32_e32 v94, v94
	s_waitcnt lgkmcnt(1)
	s_delay_alu instid0(TRANS32_DEP_3)
	v_fma_f32 v77, v99, v96, 0
	v_sub_f32_e32 v100, v73, v76
	ds_load_2addr_b32 v[72:73], v98 offset0:204 offset1:221
	v_fmac_f32_e32 v77, v102, v97
	v_exp_f32_e32 v97, v103
	s_waitcnt lgkmcnt(1)
	s_delay_alu instid0(VALU_DEP_1)
	v_dual_fmac_f32 v77, v101, v70 :: v_dual_sub_f32 v96, v75, v76
	ds_load_2addr_b32 v[74:75], v98 offset0:238 offset1:255
	v_sub_f32_e32 v70, v95, v76
	s_waitcnt lgkmcnt(0)
	s_barrier
	v_mul_f32_e32 v96, 0x3fb8aa3b, v96
	buffer_gl0_inv
	v_exp_f32_e32 v95, v96
	v_mul_f32_e32 v100, 0x3fb8aa3b, v100
	s_delay_alu instid0(VALU_DEP_1) | instskip(SKIP_3) | instid1(VALU_DEP_2)
	v_exp_f32_e32 v100, v100
	s_waitcnt_depctr 0xfff
	v_dual_fmac_f32 v77, v100, v71 :: v_dual_mul_f32 v70, 0x3fb8aa3b, v70
	v_cndmask_b32_e32 v71, v99, v102, vcc_lo
	v_fmac_f32_e32 v77, v97, v72
	s_delay_alu instid0(VALU_DEP_3) | instskip(NEXT) | instid1(VALU_DEP_1)
	v_exp_f32_e32 v96, v70
	v_fmac_f32_e32 v77, v95, v73
	s_delay_alu instid0(VALU_DEP_1) | instskip(SKIP_2) | instid1(VALU_DEP_1)
	v_fmac_f32_e32 v77, v94, v74
	s_waitcnt_depctr 0xfff
	v_fmac_f32_e32 v77, v96, v75
	v_add_f32_e32 v74, 0x358637bd, v77
	s_delay_alu instid0(VALU_DEP_1) | instskip(SKIP_1) | instid1(VALU_DEP_2)
	v_div_scale_f32 v98, null, v74, v74, 1.0
	v_div_scale_f32 v99, vcc_lo, 1.0, v74, 1.0
	v_rcp_f32_e32 v103, v98
	s_waitcnt_depctr 0xfff
	v_fma_f32 v70, -v98, v103, 1.0
	s_delay_alu instid0(VALU_DEP_1) | instskip(SKIP_2) | instid1(VALU_DEP_2)
	v_fmac_f32_e32 v103, v70, v103
	v_cndmask_b32_e64 v70, v71, v101, s3
	v_cmp_eq_u32_e64 s3, 6, v69
	v_cndmask_b32_e64 v71, v70, v100, s4
	s_delay_alu instid0(VALU_DEP_4) | instskip(NEXT) | instid1(VALU_DEP_2)
	v_dual_mul_f32 v101, v99, v103 :: v_dual_lshlrev_b32 v70, 2, v66
	v_cndmask_b32_e64 v71, v71, v97, s5
	s_delay_alu instid0(VALU_DEP_2) | instskip(NEXT) | instid1(VALU_DEP_3)
	v_or_b32_e32 v72, 1, v70
	v_fma_f32 v100, -v98, v101, v99
	v_cmp_eq_u32_e64 s4, 1, v70
	v_cmp_eq_u32_e64 s5, 2, v70
	v_cndmask_b32_e64 v95, v71, v95, s6
	v_or_b32_e32 v71, 3, v70
	v_fmac_f32_e32 v101, v100, v103
	v_cmp_eq_u32_e64 s9, 1, v72
	v_cmp_eq_u32_e64 s12, 2, v72
	v_cndmask_b32_e64 v94, v95, v94, s3
	v_cmp_eq_u32_e64 s11, 1, v71
	v_fma_f32 v97, -v98, v101, v99
	v_cmp_eq_u32_e64 s16, 2, v71
	v_cmp_eq_u32_e64 s13, 3, v72
	v_cndmask_b32_e64 v94, v94, v96, s7
	v_cmp_eq_u32_e64 s18, 3, v71
	v_div_fmas_f32 v95, v97, v103, v101
	v_cmp_eq_u32_e32 vcc_lo, 3, v70
	v_cmp_eq_u32_e64 s3, 4, v70
	v_cmp_eq_u32_e64 s19, 4, v72
	;; [unrolled: 1-line block ×3, first 2 shown]
	v_div_fixup_f32 v95, v95, v74, 1.0
	v_lshlrev_b32_e32 v73, 6, v68
	v_cmp_eq_u32_e64 s6, 5, v70
	v_cmp_eq_u32_e64 s20, 5, v72
	;; [unrolled: 1-line block ×3, first 2 shown]
	v_mul_f32_e32 v102, v94, v95
	v_lshl_or_b32 v75, v69, 11, v73
	v_or_b32_e32 v69, 2, v70
	v_cmp_eq_u32_e64 s25, 6, v72
	v_cmp_eq_u32_e64 s27, 6, v71
	v_fma_mixlo_f16 v94, v102, v79, 0
	v_fma_mixlo_f16 v95, v102, v81, 0
	;; [unrolled: 1-line block ×8, first 2 shown]
	v_lshl_or_b32 v74, v66, 4, v75
	v_fma_mixhi_f16 v94, v102, v78, 0
	v_fma_mixhi_f16 v95, v102, v80, 0
	;; [unrolled: 1-line block ×8, first 2 shown]
	ds_store_b128 v74, v[94:97]
	ds_store_b128 v74, v[98:101] offset:1024
	s_waitcnt lgkmcnt(0)
	s_barrier
	buffer_gl0_inv
	ds_load_b128 v[78:81], v75
	ds_load_b128 v[82:85], v75 offset:16
	ds_load_b128 v[86:89], v75 offset:1024
	;; [unrolled: 1-line block ×3, first 2 shown]
	v_cmp_eq_u32_e64 s10, 1, v69
	v_cmp_eq_u32_e64 s15, 2, v69
	;; [unrolled: 1-line block ×11, first 2 shown]
	s_waitcnt lgkmcnt(3)
	v_lshrrev_b32_e32 v94, 16, v78
	s_waitcnt lgkmcnt(2)
	v_lshrrev_b32_e32 v98, 16, v82
	;; [unrolled: 2-line block ×4, first 2 shown]
	v_lshrrev_b32_e32 v95, 16, v79
	v_cndmask_b32_e64 v110, v78, v94, s4
	v_cndmask_b32_e64 v111, v82, v98, s4
	;; [unrolled: 1-line block ×8, first 2 shown]
	v_lshrrev_b32_e32 v99, 16, v83
	v_cndmask_b32_e64 v94, v86, v102, s4
	v_cndmask_b32_e64 v98, v90, v106, s4
	;; [unrolled: 1-line block ×15, first 2 shown]
	v_lshrrev_b32_e32 v103, 16, v87
	v_lshrrev_b32_e32 v107, 16, v91
	v_cndmask_b32_e64 v113, v115, v83, s15
	v_cndmask_b32_e64 v82, v94, v87, s5
	;; [unrolled: 1-line block ×7, first 2 shown]
	v_cndmask_b32_e32 v90, v102, v95, vcc_lo
	v_cndmask_b32_e32 v102, v106, v99, vcc_lo
	v_cndmask_b32_e64 v106, v110, v95, s13
	v_cndmask_b32_e64 v110, v111, v99, s13
	;; [unrolled: 1-line block ×4, first 2 shown]
	v_lshrrev_b32_e32 v96, 16, v80
	v_lshrrev_b32_e32 v100, 16, v84
	v_cndmask_b32_e64 v111, v112, v95, s17
	v_cndmask_b32_e64 v112, v113, v99, s17
	v_cndmask_b32_e32 v82, v82, v103, vcc_lo
	v_cndmask_b32_e32 v83, v83, v107, vcc_lo
	v_cndmask_b32_e64 v94, v94, v103, s13
	v_cndmask_b32_e64 v90, v90, v80, s3
	;; [unrolled: 1-line block ×7, first 2 shown]
	v_lshrrev_b32_e32 v104, 16, v88
	v_cndmask_b32_e64 v106, v111, v80, s21
	v_cndmask_b32_e64 v110, v112, v84, s21
	;; [unrolled: 1-line block ×11, first 2 shown]
	v_lshrrev_b32_e32 v97, 16, v81
	v_lshrrev_b32_e32 v101, 16, v85
	v_cndmask_b32_e64 v99, v106, v96, s23
	v_cndmask_b32_e64 v102, v110, v100, s23
	v_cndmask_b32_e64 v83, v83, v104, s20
	v_cndmask_b32_e64 v94, v94, v81, s25
	v_cndmask_b32_e64 v95, v95, v85, s25
	v_cndmask_b32_e64 v78, v78, v81, s27
	v_cndmask_b32_e64 v79, v79, v85, s27
	v_lshrrev_b32_e32 v105, 16, v89
	v_cndmask_b32_e64 v80, v80, v104, s6
	v_cndmask_b32_e64 v84, v84, v81, s7
	v_cndmask_b32_e64 v90, v90, v85, s7
	v_cndmask_b32_e64 v96, v99, v81, s26
	v_cndmask_b32_e64 v99, v102, v85, s26
	v_cndmask_b32_e64 v81, v83, v89, s25
	v_cndmask_b32_e64 v85, v94, v97, s30
	v_cndmask_b32_e64 v78, v78, v97, s29
	v_cndmask_b32_e64 v79, v79, v101, s29
	v_cndmask_b32_e64 v95, v95, v101, s30
	v_cndmask_b32_e64 v80, v80, v89, s7
	v_cndmask_b32_e64 v83, v84, v97, s8
	v_cndmask_b32_e64 v84, v90, v101, s8
	v_cndmask_b32_e64 v90, v96, v97, s28
	v_cndmask_b32_e64 v94, v99, v101, s28
	v_cndmask_b32_e64 v97, v81, v105, s30
	v_perm_b32 v81, v79, v78, 0x5040100
	v_perm_b32 v79, v95, v85, 0x5040100
	v_cndmask_b32_e64 v78, v119, v91, s15
	v_cndmask_b32_e64 v85, v117, v91, s12
	;; [unrolled: 1-line block ×3, first 2 shown]
	v_perm_b32 v80, v94, v90, 0x5040100
	v_cndmask_b32_e64 v90, v98, v103, s17
	v_cndmask_b32_e64 v86, v86, v103, s18
	;; [unrolled: 1-line block ×5, first 2 shown]
	v_lshrrev_b32_e32 v108, 16, v92
	v_cndmask_b32_e64 v90, v90, v88, s21
	v_cndmask_b32_e64 v86, v86, v88, s22
	;; [unrolled: 1-line block ×11, first 2 shown]
	v_lshrrev_b32_e32 v109, 16, v93
	v_cndmask_b32_e64 v82, v82, v93, s7
	v_cndmask_b32_e64 v88, v88, v89, s26
	;; [unrolled: 1-line block ×12, first 2 shown]
	v_perm_b32 v78, v84, v83, 0x5040100
	v_perm_b32 v85, v87, v86, 0x5040100
	;; [unrolled: 1-line block ×5, first 2 shown]
	s_mul_i32 s8, s33, 12
	s_mov_b32 s3, exec_lo
	ds_store_b128 v74, v[78:81]
	ds_store_b128 v74, v[82:85] offset:1024
	v_cmpx_gt_u32_e32 12, v0
	s_cbranch_execz .LBB1097_14
; %bb.13:
	s_mul_i32 s4, s8, s34
	s_delay_alu instid0(SALU_CYCLE_1) | instskip(SKIP_1) | instid1(VALU_DEP_1)
	v_add3_u32 v68, s4, s31, v68
	s_load_b128 s[4:7], s[0:1], 0x58
	v_mad_u64_u32 v[78:79], null, v68, s35, s[14:15]
	s_delay_alu instid0(VALU_DEP_1) | instskip(NEXT) | instid1(VALU_DEP_1)
	v_ashrrev_i32_e32 v79, 31, v78
	v_lshlrev_b64 v[78:79], 2, v[78:79]
	s_waitcnt lgkmcnt(0)
	s_delay_alu instid0(VALU_DEP_1) | instskip(NEXT) | instid1(VALU_DEP_2)
	v_add_co_u32 v80, vcc_lo, s6, v78
	v_add_co_ci_u32_e32 v81, vcc_lo, s7, v79, vcc_lo
	v_add_co_u32 v78, vcc_lo, s4, v78
	v_add_co_ci_u32_e32 v79, vcc_lo, s5, v79, vcc_lo
	global_store_b32 v[80:81], v76, off
	global_store_b32 v[78:79], v77, off
.LBB1097_14:
	s_or_b32 exec_lo, exec_lo, s3
	s_waitcnt lgkmcnt(0)
	s_waitcnt_vscnt null, 0x0
	s_barrier
	buffer_gl0_inv
	ds_load_b128 v[84:87], v73
	ds_load_b128 v[88:91], v73 offset:16
	ds_load_b128 v[96:99], v73 offset:2064
	;; [unrolled: 1-line block ×5, first 2 shown]
	v_cmp_eq_u32_e32 vcc_lo, 1, v70
	v_mov_b32_e32 v76, 0
	ds_load_b128 v[112:115], v73 offset:6160
	ds_load_b128 v[108:111], v73 offset:6144
	;; [unrolled: 1-line block ×4, first 2 shown]
	v_cmp_eq_u32_e64 s4, 1, v69
	v_cmp_eq_u32_e64 s3, 1, v72
	;; [unrolled: 1-line block ×3, first 2 shown]
	v_mov_b32_e32 v77, v76
	v_mov_b32_e32 v78, v76
	v_mov_b32_e32 v79, v76
	v_mov_b32_e32 v80, v76
	v_mov_b32_e32 v81, v76
	v_mov_b32_e32 v82, v76
	v_mov_b32_e32 v83, v76
	v_cmp_eq_u32_e64 s6, 3, v72
	v_cmp_eq_u32_e64 s7, 7, v72
	s_waitcnt lgkmcnt(8)
	s_delay_alu instid0(VALU_DEP_3)
	v_wmma_f32_16x16x16_f16 v[76:83], v[49:56], v[84:91], v[76:83]
	ds_load_b128 v[53:56], v73 offset:10256
	ds_load_b128 v[49:52], v73 offset:10240
	s_waitcnt lgkmcnt(8)
	v_wmma_f32_16x16x16_f16 v[76:83], v[41:48], v[92:99], v[76:83]
	ds_load_b128 v[45:48], v73 offset:12304
	ds_load_b128 v[41:44], v73 offset:12288
	s_waitcnt lgkmcnt(8)
	;; [unrolled: 4-line block ×3, first 2 shown]
	s_barrier
	buffer_gl0_inv
	v_wmma_f32_16x16x16_f16 v[76:83], v[1:8], v[108:115], v[76:83]
	s_delay_alu instid0(VALU_DEP_1) | instskip(NEXT) | instid1(VALU_DEP_1)
	v_wmma_f32_16x16x16_f16 v[76:83], v[9:16], v[116:123], v[76:83]
	v_wmma_f32_16x16x16_f16 v[76:83], v[17:24], v[49:56], v[76:83]
	s_delay_alu instid0(VALU_DEP_1) | instskip(NEXT) | instid1(VALU_DEP_1)
	v_wmma_f32_16x16x16_f16 v[76:83], v[25:32], v[41:48], v[76:83]
	v_wmma_f32_16x16x16_f16 v[76:83], v[57:64], v[33:40], v[76:83]
	s_delay_alu instid0(VALU_DEP_1) | instskip(NEXT) | instid1(VALU_DEP_2)
	v_cvt_f16_f32_e32 v1, v76
	v_cvt_f16_f32_e32 v2, v77
	s_delay_alu instid0(VALU_DEP_3) | instskip(NEXT) | instid1(VALU_DEP_4)
	v_cvt_f16_f32_e32 v3, v78
	v_cvt_f16_f32_e32 v4, v79
	;; [unrolled: 1-line block ×6, first 2 shown]
	v_pack_b32_f16 v1, v1, v2
	v_pack_b32_f16 v2, v3, v4
	;; [unrolled: 1-line block ×3, first 2 shown]
	s_delay_alu instid0(VALU_DEP_4)
	v_pack_b32_f16 v4, v7, v8
	ds_store_b128 v74, v[1:4]
	s_waitcnt lgkmcnt(0)
	s_barrier
	buffer_gl0_inv
	ds_load_b128 v[1:4], v75
	ds_load_b128 v[5:8], v75 offset:16
	s_waitcnt lgkmcnt(1)
	v_lshrrev_b32_e32 v9, 16, v1
	s_waitcnt lgkmcnt(0)
	v_lshrrev_b32_e32 v13, 16, v5
	v_lshrrev_b32_e32 v10, 16, v2
	v_lshrrev_b32_e32 v14, 16, v6
	v_lshrrev_b32_e32 v11, 16, v3
	v_cndmask_b32_e32 v17, v1, v9, vcc_lo
	v_cndmask_b32_e32 v18, v5, v13, vcc_lo
	v_cndmask_b32_e64 v21, v1, v9, s4
	v_cmp_eq_u32_e32 vcc_lo, 1, v71
	v_cndmask_b32_e64 v22, v5, v13, s4
	v_cmp_eq_u32_e64 s4, 2, v70
	v_cndmask_b32_e64 v19, v1, v9, s3
	v_cndmask_b32_e64 v20, v5, v13, s3
	v_cndmask_b32_e32 v1, v1, v9, vcc_lo
	v_cmp_eq_u32_e64 s3, 2, v71
	v_cndmask_b32_e32 v5, v5, v13, vcc_lo
	v_cndmask_b32_e64 v9, v17, v2, s4
	v_cmp_eq_u32_e32 vcc_lo, 3, v70
	v_cndmask_b32_e64 v13, v18, v6, s4
	v_cmp_eq_u32_e64 s4, 2, v69
	v_cndmask_b32_e64 v17, v19, v2, s5
	v_cndmask_b32_e64 v18, v20, v6, s5
	v_cmp_eq_u32_e64 s5, 3, v69
	v_cndmask_b32_e64 v1, v1, v2, s3
	v_cndmask_b32_e64 v19, v21, v2, s4
	;; [unrolled: 1-line block ×4, first 2 shown]
	v_cndmask_b32_e32 v5, v9, v10, vcc_lo
	v_cndmask_b32_e32 v6, v13, v14, vcc_lo
	v_cmp_eq_u32_e32 vcc_lo, 3, v71
	v_cndmask_b32_e64 v9, v17, v10, s6
	v_cndmask_b32_e64 v13, v18, v14, s6
	;; [unrolled: 1-line block ×3, first 2 shown]
	v_cmp_eq_u32_e64 s4, 4, v70
	v_cndmask_b32_e32 v1, v1, v10, vcc_lo
	v_cndmask_b32_e32 v2, v2, v14, vcc_lo
	v_cmp_eq_u32_e32 vcc_lo, 4, v72
	v_lshrrev_b32_e32 v15, 16, v7
	v_lshrrev_b32_e32 v16, 16, v8
	v_cndmask_b32_e64 v17, v19, v10, s5
	v_cmp_eq_u32_e64 s3, 4, v71
	v_cndmask_b32_e64 v5, v5, v3, s4
	v_cndmask_b32_e64 v6, v6, v7, s4
	v_cndmask_b32_e32 v9, v9, v3, vcc_lo
	v_cmp_eq_u32_e64 s4, 5, v72
	v_cndmask_b32_e32 v10, v13, v7, vcc_lo
	v_cmp_eq_u32_e32 vcc_lo, 4, v69
	v_cmp_eq_u32_e64 s5, 5, v70
	v_cndmask_b32_e64 v2, v2, v7, s3
	v_cndmask_b32_e64 v9, v9, v11, s4
	;; [unrolled: 1-line block ×3, first 2 shown]
	v_cndmask_b32_e32 v13, v17, v3, vcc_lo
	v_cmp_eq_u32_e64 s4, 5, v69
	v_cndmask_b32_e32 v14, v18, v7, vcc_lo
	v_cndmask_b32_e64 v1, v1, v3, s3
	v_cmp_eq_u32_e32 vcc_lo, 5, v71
	v_lshrrev_b32_e32 v12, 16, v4
	v_cndmask_b32_e64 v13, v13, v11, s4
	v_cndmask_b32_e64 v3, v14, v15, s4
	v_cmp_eq_u32_e64 s4, 6, v71
	v_cndmask_b32_e32 v1, v1, v11, vcc_lo
	v_cndmask_b32_e64 v5, v5, v11, s5
	v_cmp_eq_u32_e64 s6, 6, v70
	v_cndmask_b32_e64 v6, v6, v15, s5
	v_cmp_eq_u32_e64 s5, 6, v72
	v_cmp_eq_u32_e64 s3, 6, v69
	v_cndmask_b32_e64 v1, v1, v4, s4
	v_cndmask_b32_e32 v2, v2, v15, vcc_lo
	v_cmp_eq_u32_e32 vcc_lo, 7, v71
	v_cndmask_b32_e64 v5, v5, v4, s6
	v_cndmask_b32_e64 v9, v9, v4, s5
	;; [unrolled: 1-line block ×3, first 2 shown]
	v_cmp_eq_u32_e64 s6, 7, v70
	v_cndmask_b32_e32 v1, v1, v12, vcc_lo
	v_cndmask_b32_e64 v7, v13, v4, s3
	v_cndmask_b32_e64 v3, v3, v8, s3
	;; [unrolled: 1-line block ×3, first 2 shown]
	v_cmp_eq_u32_e64 s3, 7, v69
	v_cndmask_b32_e64 v4, v10, v8, s5
	v_cndmask_b32_e64 v5, v5, v12, s6
	;; [unrolled: 1-line block ×3, first 2 shown]
	v_cndmask_b32_e32 v2, v2, v16, vcc_lo
	v_cndmask_b32_e64 v7, v7, v12, s3
	v_cndmask_b32_e64 v3, v3, v16, s3
	;; [unrolled: 1-line block ×4, first 2 shown]
	v_cmp_gt_u32_e32 vcc_lo, 32, v0
	v_perm_b32 v4, v2, v1, 0x5040100
	v_perm_b32 v3, v3, v7, 0x5040100
	;; [unrolled: 1-line block ×4, first 2 shown]
	s_and_b32 s2, vcc_lo, s2
	ds_store_b128 v74, v[1:4]
	s_waitcnt lgkmcnt(0)
	s_barrier
	buffer_gl0_inv
	s_and_saveexec_b32 s3, s2
	s_cbranch_execz .LBB1097_2
; %bb.15:
	s_load_b64 s[0:1], s[0:1], 0x68
	v_lshlrev_b32_e32 v0, 10, v0
	s_lshl_b32 s4, s35, 6
	v_or_b32_e32 v3, s31, v66
	s_mul_i32 s2, s4, s34
	v_lshlrev_b32_e32 v1, 4, v67
	s_mul_i32 s2, s2, s8
	v_lshlrev_b32_e32 v2, 6, v66
	v_and_b32_e32 v0, 0x3800, v0
	s_ashr_i32 s3, s2, 31
	v_mul_lo_u32 v4, v3, s4
	s_lshl_b64 s[2:3], s[2:3], 1
	s_delay_alu instid0(VALU_DEP_2) | instskip(NEXT) | instid1(VALU_DEP_2)
	v_or3_b32 v16, v0, v1, v2
	v_ashrrev_i32_e32 v5, 31, v4
	ds_load_b128 v[0:3], v16
	s_waitcnt lgkmcnt(0)
	s_add_u32 s2, s0, s2
	s_addc_u32 s3, s1, s3
	s_lshl_b32 s0, s14, 6
	v_lshlrev_b64 v[5:6], 1, v[4:5]
	s_ashr_i32 s1, s0, 31
	s_delay_alu instid0(SALU_CYCLE_1) | instskip(NEXT) | instid1(SALU_CYCLE_1)
	s_lshl_b64 s[0:1], s[0:1], 1
	s_add_u32 s0, s2, s0
	s_addc_u32 s1, s3, s1
	s_lshl_b32 s2, s35, 7
	v_add_co_u32 v30, s0, s0, v65
	v_add_nc_u32_e32 v8, s2, v4
	v_add_co_ci_u32_e64 v31, null, s1, 0, s0
	s_delay_alu instid0(VALU_DEP_3) | instskip(NEXT) | instid1(VALU_DEP_3)
	v_add_co_u32 v12, vcc_lo, v30, v5
	v_add_nc_u32_e32 v10, s2, v8
	v_ashrrev_i32_e32 v9, 31, v8
	s_delay_alu instid0(VALU_DEP_4)
	v_add_co_ci_u32_e32 v13, vcc_lo, v31, v6, vcc_lo
	ds_load_b128 v[4:7], v16 offset:128
	v_ashrrev_i32_e32 v11, 31, v10
	v_lshlrev_b64 v[8:9], 1, v[8:9]
	v_add_nc_u32_e32 v14, s2, v10
	global_store_b128 v[12:13], v[0:3], off
	v_lshlrev_b64 v[0:1], 1, v[10:11]
	v_ashrrev_i32_e32 v15, 31, v14
	v_add_co_u32 v22, vcc_lo, v30, v8
	v_add_nc_u32_e32 v20, s2, v14
	v_add_co_ci_u32_e32 v23, vcc_lo, v31, v9, vcc_lo
	v_add_co_u32 v26, vcc_lo, v30, v0
	v_lshlrev_b64 v[24:25], 1, v[14:15]
	v_add_co_ci_u32_e32 v27, vcc_lo, v31, v1, vcc_lo
	ds_load_b128 v[0:3], v16 offset:256
	ds_load_b128 v[8:11], v16 offset:384
	;; [unrolled: 1-line block ×4, first 2 shown]
	v_add_nc_u32_e32 v28, s2, v20
	v_ashrrev_i32_e32 v21, 31, v20
	v_add_co_u32 v24, vcc_lo, v30, v24
	v_add_co_ci_u32_e32 v25, vcc_lo, v31, v25, vcc_lo
	s_delay_alu instid0(VALU_DEP_4) | instskip(NEXT) | instid1(VALU_DEP_4)
	v_ashrrev_i32_e32 v29, 31, v28
	v_lshlrev_b64 v[20:21], 1, v[20:21]
	s_delay_alu instid0(VALU_DEP_2) | instskip(NEXT) | instid1(VALU_DEP_2)
	v_lshlrev_b64 v[28:29], 1, v[28:29]
	v_add_co_u32 v20, vcc_lo, v30, v20
	s_delay_alu instid0(VALU_DEP_3) | instskip(NEXT) | instid1(VALU_DEP_3)
	v_add_co_ci_u32_e32 v21, vcc_lo, v31, v21, vcc_lo
	v_add_co_u32 v28, vcc_lo, v30, v28
	s_delay_alu instid0(VALU_DEP_4)
	v_add_co_ci_u32_e32 v29, vcc_lo, v31, v29, vcc_lo
	s_waitcnt lgkmcnt(4)
	global_store_b128 v[22:23], v[4:7], off
	s_waitcnt lgkmcnt(3)
	global_store_b128 v[26:27], v[0:3], off
	;; [unrolled: 2-line block ×5, first 2 shown]
	s_nop 0
	s_sendmsg sendmsg(MSG_DEALLOC_VGPRS)
	s_endpgm
	.section	.rodata,"a",@progbits
	.p2align	6, 0x0
	.amdhsa_kernel _Z39paged_attention_ll4mi_QKV_mfma16_kernelIDF16_hLN4vllm18Fp8KVCacheDataTypeE1EhLi16ELi64ELi256ELb1ELi12EL8MFMAType0EEvPKT_PKT0_S8_ifPKiSA_SA_iPKfiiiPfSD_PS3_PT2_iSC_SC_
		.amdhsa_group_segment_fixed_size 17472
		.amdhsa_private_segment_fixed_size 0
		.amdhsa_kernarg_size 400
		.amdhsa_user_sgpr_count 13
		.amdhsa_user_sgpr_dispatch_ptr 0
		.amdhsa_user_sgpr_queue_ptr 0
		.amdhsa_user_sgpr_kernarg_segment_ptr 1
		.amdhsa_user_sgpr_dispatch_id 0
		.amdhsa_user_sgpr_private_segment_size 0
		.amdhsa_wavefront_size32 1
		.amdhsa_uses_dynamic_stack 0
		.amdhsa_enable_private_segment 0
		.amdhsa_system_sgpr_workgroup_id_x 1
		.amdhsa_system_sgpr_workgroup_id_y 1
		.amdhsa_system_sgpr_workgroup_id_z 1
		.amdhsa_system_sgpr_workgroup_info 0
		.amdhsa_system_vgpr_workitem_id 0
		.amdhsa_next_free_vgpr 146
		.amdhsa_next_free_sgpr 36
		.amdhsa_reserve_vcc 1
		.amdhsa_float_round_mode_32 0
		.amdhsa_float_round_mode_16_64 0
		.amdhsa_float_denorm_mode_32 3
		.amdhsa_float_denorm_mode_16_64 3
		.amdhsa_dx10_clamp 1
		.amdhsa_ieee_mode 1
		.amdhsa_fp16_overflow 0
		.amdhsa_workgroup_processor_mode 1
		.amdhsa_memory_ordered 1
		.amdhsa_forward_progress 0
		.amdhsa_shared_vgpr_count 0
		.amdhsa_exception_fp_ieee_invalid_op 0
		.amdhsa_exception_fp_denorm_src 0
		.amdhsa_exception_fp_ieee_div_zero 0
		.amdhsa_exception_fp_ieee_overflow 0
		.amdhsa_exception_fp_ieee_underflow 0
		.amdhsa_exception_fp_ieee_inexact 0
		.amdhsa_exception_int_div_zero 0
	.end_amdhsa_kernel
	.section	.text._Z39paged_attention_ll4mi_QKV_mfma16_kernelIDF16_hLN4vllm18Fp8KVCacheDataTypeE1EhLi16ELi64ELi256ELb1ELi12EL8MFMAType0EEvPKT_PKT0_S8_ifPKiSA_SA_iPKfiiiPfSD_PS3_PT2_iSC_SC_,"axG",@progbits,_Z39paged_attention_ll4mi_QKV_mfma16_kernelIDF16_hLN4vllm18Fp8KVCacheDataTypeE1EhLi16ELi64ELi256ELb1ELi12EL8MFMAType0EEvPKT_PKT0_S8_ifPKiSA_SA_iPKfiiiPfSD_PS3_PT2_iSC_SC_,comdat
.Lfunc_end1097:
	.size	_Z39paged_attention_ll4mi_QKV_mfma16_kernelIDF16_hLN4vllm18Fp8KVCacheDataTypeE1EhLi16ELi64ELi256ELb1ELi12EL8MFMAType0EEvPKT_PKT0_S8_ifPKiSA_SA_iPKfiiiPfSD_PS3_PT2_iSC_SC_, .Lfunc_end1097-_Z39paged_attention_ll4mi_QKV_mfma16_kernelIDF16_hLN4vllm18Fp8KVCacheDataTypeE1EhLi16ELi64ELi256ELb1ELi12EL8MFMAType0EEvPKT_PKT0_S8_ifPKiSA_SA_iPKfiiiPfSD_PS3_PT2_iSC_SC_
                                        ; -- End function
	.section	.AMDGPU.csdata,"",@progbits
; Kernel info:
; codeLenInByte = 6588
; NumSgprs: 38
; NumVgprs: 146
; ScratchSize: 0
; MemoryBound: 0
; FloatMode: 240
; IeeeMode: 1
; LDSByteSize: 17472 bytes/workgroup (compile time only)
; SGPRBlocks: 4
; VGPRBlocks: 18
; NumSGPRsForWavesPerEU: 38
; NumVGPRsForWavesPerEU: 146
; Occupancy: 9
; WaveLimiterHint : 1
; COMPUTE_PGM_RSRC2:SCRATCH_EN: 0
; COMPUTE_PGM_RSRC2:USER_SGPR: 13
; COMPUTE_PGM_RSRC2:TRAP_HANDLER: 0
; COMPUTE_PGM_RSRC2:TGID_X_EN: 1
; COMPUTE_PGM_RSRC2:TGID_Y_EN: 1
; COMPUTE_PGM_RSRC2:TGID_Z_EN: 1
; COMPUTE_PGM_RSRC2:TIDIG_COMP_CNT: 0
	.section	.text._Z39paged_attention_ll4mi_QKV_mfma16_kernelIDF16_hLN4vllm18Fp8KVCacheDataTypeE1EhLi16ELi64ELi256ELb1ELi13EL8MFMAType0EEvPKT_PKT0_S8_ifPKiSA_SA_iPKfiiiPfSD_PS3_PT2_iSC_SC_,"axG",@progbits,_Z39paged_attention_ll4mi_QKV_mfma16_kernelIDF16_hLN4vllm18Fp8KVCacheDataTypeE1EhLi16ELi64ELi256ELb1ELi13EL8MFMAType0EEvPKT_PKT0_S8_ifPKiSA_SA_iPKfiiiPfSD_PS3_PT2_iSC_SC_,comdat
	.protected	_Z39paged_attention_ll4mi_QKV_mfma16_kernelIDF16_hLN4vllm18Fp8KVCacheDataTypeE1EhLi16ELi64ELi256ELb1ELi13EL8MFMAType0EEvPKT_PKT0_S8_ifPKiSA_SA_iPKfiiiPfSD_PS3_PT2_iSC_SC_ ; -- Begin function _Z39paged_attention_ll4mi_QKV_mfma16_kernelIDF16_hLN4vllm18Fp8KVCacheDataTypeE1EhLi16ELi64ELi256ELb1ELi13EL8MFMAType0EEvPKT_PKT0_S8_ifPKiSA_SA_iPKfiiiPfSD_PS3_PT2_iSC_SC_
	.globl	_Z39paged_attention_ll4mi_QKV_mfma16_kernelIDF16_hLN4vllm18Fp8KVCacheDataTypeE1EhLi16ELi64ELi256ELb1ELi13EL8MFMAType0EEvPKT_PKT0_S8_ifPKiSA_SA_iPKfiiiPfSD_PS3_PT2_iSC_SC_
	.p2align	8
	.type	_Z39paged_attention_ll4mi_QKV_mfma16_kernelIDF16_hLN4vllm18Fp8KVCacheDataTypeE1EhLi16ELi64ELi256ELb1ELi13EL8MFMAType0EEvPKT_PKT0_S8_ifPKiSA_SA_iPKfiiiPfSD_PS3_PT2_iSC_SC_,@function
_Z39paged_attention_ll4mi_QKV_mfma16_kernelIDF16_hLN4vllm18Fp8KVCacheDataTypeE1EhLi16ELi64ELi256ELb1ELi13EL8MFMAType0EEvPKT_PKT0_S8_ifPKiSA_SA_iPKfiiiPfSD_PS3_PT2_iSC_SC_: ; @_Z39paged_attention_ll4mi_QKV_mfma16_kernelIDF16_hLN4vllm18Fp8KVCacheDataTypeE1EhLi16ELi64ELi256ELb1ELi13EL8MFMAType0EEvPKT_PKT0_S8_ifPKiSA_SA_iPKfiiiPfSD_PS3_PT2_iSC_SC_
; %bb.0:
	s_load_b64 s[2:3], s[0:1], 0x30
	s_mov_b32 s34, s13
	s_waitcnt lgkmcnt(0)
	s_cmp_lg_u64 s[2:3], 0
	s_cselect_b32 s6, -1, 0
	s_ashr_i32 s35, s13, 31
	s_cmp_eq_u64 s[2:3], 0
	s_cbranch_scc1 .LBB1098_3
; %bb.1:
	s_lshl_b64 s[4:5], s[34:35], 2
	s_delay_alu instid0(SALU_CYCLE_1) | instskip(SKIP_4) | instid1(SALU_CYCLE_1)
	s_add_u32 s4, s2, s4
	s_addc_u32 s5, s3, s5
	s_load_b64 s[4:5], s[4:5], 0x0
	s_waitcnt lgkmcnt(0)
	s_sub_i32 s4, s5, s4
	s_cmp_eq_u32 s4, 1
	s_cselect_b32 s4, -1, 0
	s_delay_alu instid0(SALU_CYCLE_1)
	s_and_not1_b32 vcc_lo, exec_lo, s4
	s_cbranch_vccz .LBB1098_4
.LBB1098_2:
	s_nop 0
	s_sendmsg sendmsg(MSG_DEALLOC_VGPRS)
	s_endpgm
.LBB1098_3:
.LBB1098_4:
	s_load_b64 s[8:9], s[0:1], 0x28
	s_lshl_b64 s[4:5], s[34:35], 2
	s_waitcnt lgkmcnt(0)
	s_add_u32 s8, s8, s4
	s_addc_u32 s9, s9, s5
	s_lshl_b32 s16, s14, 8
	s_load_b32 s18, s[8:9], 0x0
	s_waitcnt lgkmcnt(0)
	s_cmp_ge_i32 s16, s18
	s_cbranch_scc1 .LBB1098_2
; %bb.5:
	s_clause 0x1
	s_load_b128 s[8:11], s[0:1], 0x8
	s_load_b64 s[12:13], s[0:1], 0x20
	s_and_not1_b32 vcc_lo, exec_lo, s6
	s_cbranch_vccnz .LBB1098_7
; %bb.6:
	s_add_u32 s2, s2, s4
	s_addc_u32 s3, s3, s5
	s_load_b32 s3, s[2:3], 0x0
	s_branch .LBB1098_8
.LBB1098_7:
	s_mov_b32 s3, s34
.LBB1098_8:
	s_load_b128 s[4:7], s[0:1], 0x48
	v_lshrrev_b32_e32 v69, 5, v0
	v_bfe_u32 v66, v0, 4, 1
	v_and_b32_e32 v68, 15, v0
	v_and_b32_e32 v70, 31, v0
	;; [unrolled: 1-line block ×3, first 2 shown]
	s_mul_i32 s33, s15, 13
	v_lshl_or_b32 v1, v69, 1, v66
	v_lshlrev_b32_e32 v2, 3, v68
	v_cmp_gt_u32_e64 s2, 8, v68
	s_delay_alu instid0(VALU_DEP_3) | instskip(NEXT) | instid1(VALU_DEP_3)
	v_cmp_gt_u32_e32 vcc_lo, 13, v1
	v_lshlrev_b32_e32 v65, 1, v2
	s_delay_alu instid0(VALU_DEP_3)
	s_and_b32 s17, s2, vcc_lo
	s_waitcnt lgkmcnt(0)
	s_and_saveexec_b32 s7, s17
	s_cbranch_execz .LBB1098_10
; %bb.9:
	s_load_b64 s[20:21], s[0:1], 0x0
	v_add_lshl_u32 v2, v1, s33, 6
	s_mul_hi_i32 s23, s3, s4
	s_mul_i32 s22, s3, s4
	v_lshlrev_b32_e32 v6, 10, v68
	s_lshl_b64 s[22:23], s[22:23], 1
	v_ashrrev_i32_e32 v3, 31, v2
	v_lshlrev_b32_e32 v1, 6, v1
	v_lshlrev_b32_e32 v7, 10, v67
	v_and_b32_e32 v6, 0x3800, v6
	s_delay_alu instid0(VALU_DEP_4) | instskip(NEXT) | instid1(VALU_DEP_2)
	v_lshlrev_b64 v[2:3], 1, v[2:3]
	v_or3_b32 v1, v6, v7, v1
	s_waitcnt lgkmcnt(0)
	s_add_u32 s3, s20, s22
	s_addc_u32 s4, s21, s23
	s_delay_alu instid0(VALU_DEP_2) | instskip(SKIP_1) | instid1(VALU_DEP_2)
	v_add_co_u32 v2, vcc_lo, s3, v2
	v_add_co_ci_u32_e32 v3, vcc_lo, s4, v3, vcc_lo
	v_add_co_u32 v2, vcc_lo, v2, v65
	s_delay_alu instid0(VALU_DEP_2)
	v_add_co_ci_u32_e32 v3, vcc_lo, 0, v3, vcc_lo
	global_load_b128 v[2:5], v[2:3], off
	s_waitcnt vmcnt(0)
	ds_store_b128 v1, v[2:5]
.LBB1098_10:
	s_or_b32 exec_lo, exec_lo, s7
	v_and_b32_e32 v1, 0xef, v0
	s_add_i32 s3, s18, 15
	s_clause 0x1
	s_load_b32 s4, s[0:1], 0x38
	s_load_b32 s35, s[0:1], 0x98
	s_ashr_i32 s7, s3, 31
	v_add_nc_u32_e32 v1, s16, v1
	s_lshr_b32 s7, s7, 28
	s_load_b32 s19, s[0:1], 0x1c
	v_add_nc_u32_e32 v103, -13, v68
	s_add_i32 s3, s3, s7
	v_ashrrev_i32_e32 v2, 31, v1
	v_or_b32_e32 v3, 16, v1
	s_ashr_i32 s3, s3, 4
	v_cmp_gt_i32_e32 vcc_lo, s18, v1
	s_add_i32 s3, s3, -1
	v_lshrrev_b32_e32 v2, 28, v2
	s_waitcnt lgkmcnt(0)
	s_barrier
	buffer_gl0_inv
	s_mul_i32 s15, s15, s6
	v_add_nc_u32_e32 v4, v1, v2
	v_mbcnt_lo_u32_b32 v127, -1, 0
	s_mul_i32 s20, s34, s4
	s_delay_alu instid0(SALU_CYCLE_1) | instskip(NEXT) | instid1(VALU_DEP_2)
	s_ashr_i32 s21, s20, 31
	v_ashrrev_i32_e32 v4, 4, v4
	v_add_nc_u32_e32 v2, v3, v2
	s_lshl_b64 s[20:21], s[20:21], 2
	v_xor_b32_e32 v128, 16, v127
	s_add_u32 s17, s12, s20
	v_cndmask_b32_e32 v1, s3, v4, vcc_lo
	v_ashrrev_i32_e32 v2, 4, v2
	v_cmp_gt_i32_e32 vcc_lo, s18, v3
	s_addc_u32 s13, s13, s21
	s_ashr_i32 s20, s15, 31
	s_add_u32 s4, s8, s15
	s_addc_u32 s12, s9, s20
	v_cndmask_b32_e32 v3, s3, v2, vcc_lo
	v_ashrrev_i32_e32 v2, 31, v1
	s_lshl_b32 s6, s14, 4
	s_delay_alu instid0(SALU_CYCLE_1) | instskip(NEXT) | instid1(VALU_DEP_2)
	s_ashr_i32 s7, s6, 31
	v_ashrrev_i32_e32 v4, 31, v3
	s_delay_alu instid0(VALU_DEP_2) | instskip(SKIP_1) | instid1(SALU_CYCLE_1)
	v_lshlrev_b64 v[1:2], 2, v[1:2]
	s_lshl_b64 s[6:7], s[6:7], 2
	s_add_u32 s6, s17, s6
	s_delay_alu instid0(VALU_DEP_2) | instskip(SKIP_1) | instid1(VALU_DEP_2)
	v_lshlrev_b64 v[3:4], 2, v[3:4]
	s_addc_u32 s7, s13, s7
	v_add_co_u32 v1, vcc_lo, s17, v1
	v_add_co_ci_u32_e32 v2, vcc_lo, s13, v2, vcc_lo
	s_delay_alu instid0(VALU_DEP_3) | instskip(NEXT) | instid1(VALU_DEP_4)
	v_add_co_u32 v3, vcc_lo, s17, v3
	v_add_co_ci_u32_e32 v4, vcc_lo, s13, v4, vcc_lo
	s_clause 0x1
	global_load_b32 v5, v[1:2], off
	global_load_b32 v7, v[3:4], off
	s_or_b32 s8, s16, 32
	v_lshlrev_b32_e32 v1, 4, v0
	s_ashr_i32 s9, s8, 4
	s_cmp_lt_i32 s8, s18
	v_cmp_gt_u32_e32 vcc_lo, 13, v68
	s_cselect_b32 s8, s9, s3
	v_and_b32_e32 v1, 0xf0, v1
	s_ashr_i32 s9, s8, 31
	s_delay_alu instid0(SALU_CYCLE_1)
	s_lshl_b64 s[8:9], s[8:9], 2
	v_cndmask_b32_e32 v103, v103, v68, vcc_lo
	s_add_u32 s8, s17, s8
	s_addc_u32 s9, s13, s9
	s_or_b32 s21, s16, 64
	v_add_co_u32 v1, s4, s4, v1
	s_ashr_i32 s22, s21, 4
	s_cmp_lt_i32 s21, s18
	v_add_co_ci_u32_e64 v2, null, s12, 0, s4
	s_cselect_b32 s22, s22, s3
	v_cmp_gt_i32_e32 vcc_lo, 32, v128
	s_ashr_i32 s23, s22, 31
	v_lshlrev_b32_e32 v115, 6, v103
	s_lshl_b64 s[22:23], s[22:23], 2
	v_cndmask_b32_e32 v136, v127, v128, vcc_lo
	s_add_u32 s22, s17, s22
	s_addc_u32 s23, s13, s23
	s_or_b32 s21, s16, 0x60
	s_delay_alu instid0(SALU_CYCLE_1) | instskip(SKIP_2) | instid1(SALU_CYCLE_1)
	s_ashr_i32 s24, s21, 4
	s_cmp_lt_i32 s21, s18
	s_cselect_b32 s24, s24, s3
	s_ashr_i32 s25, s24, 31
	s_delay_alu instid0(SALU_CYCLE_1) | instskip(NEXT) | instid1(SALU_CYCLE_1)
	s_lshl_b64 s[24:25], s[24:25], 2
	s_add_u32 s24, s17, s24
	s_addc_u32 s25, s13, s25
	s_or_b32 s21, s16, 0x80
	s_delay_alu instid0(SALU_CYCLE_1) | instskip(SKIP_2) | instid1(SALU_CYCLE_1)
	s_ashr_i32 s26, s21, 4
	s_cmp_lt_i32 s21, s18
	s_cselect_b32 s26, s26, s3
	s_ashr_i32 s27, s26, 31
	s_delay_alu instid0(SALU_CYCLE_1) | instskip(NEXT) | instid1(SALU_CYCLE_1)
	s_lshl_b64 s[26:27], s[26:27], 2
	;; [unrolled: 10-line block ×3, first 2 shown]
	s_add_u32 s28, s17, s28
	s_addc_u32 s29, s13, s29
	s_clause 0x5
	s_load_b32 s12, s[6:7], 0x0
	s_load_b32 s4, s[8:9], 0x0
	;; [unrolled: 1-line block ×6, first 2 shown]
	s_or_b32 s21, s16, 0xc0
	s_delay_alu instid0(SALU_CYCLE_1) | instskip(SKIP_2) | instid1(SALU_CYCLE_1)
	s_ashr_i32 s22, s21, 4
	s_cmp_lt_i32 s21, s18
	s_cselect_b32 s22, s22, s3
	s_ashr_i32 s23, s22, 31
	s_delay_alu instid0(SALU_CYCLE_1) | instskip(NEXT) | instid1(SALU_CYCLE_1)
	s_lshl_b64 s[22:23], s[22:23], 2
	s_add_u32 s22, s17, s22
	s_addc_u32 s23, s13, s23
	s_or_b32 s21, s16, 0xe0
	s_delay_alu instid0(SALU_CYCLE_1) | instskip(SKIP_2) | instid1(SALU_CYCLE_1)
	s_ashr_i32 s24, s21, 4
	s_cmp_lt_i32 s21, s18
	s_cselect_b32 s24, s24, s3
	s_ashr_i32 s25, s24, 31
	s_delay_alu instid0(SALU_CYCLE_1)
	s_lshl_b64 s[24:25], s[24:25], 2
	s_waitcnt vmcnt(1)
	v_mad_i64_i32 v[3:4], null, v5, s5, v[1:2]
	s_waitcnt vmcnt(0)
	v_mad_i64_i32 v[5:6], null, v7, s5, v[1:2]
	v_lshlrev_b32_e32 v1, 4, v68
	s_clause 0x7
	global_load_b128 v[71:74], v[3:4], off
	global_load_b128 v[75:78], v[3:4], off offset:256
	global_load_b128 v[79:82], v[5:6], off
	global_load_b128 v[83:86], v[5:6], off offset:256
	global_load_b128 v[87:90], v[3:4], off offset:512
	;; [unrolled: 1-line block ×5, first 2 shown]
	v_lshl_or_b32 v1, v69, 8, v1
	s_load_b32 s3, s[22:23], 0x0
	s_add_u32 s22, s17, s24
	s_addc_u32 s23, s13, s25
	s_add_u32 s10, s10, s15
	s_addc_u32 s11, s11, s20
	v_add_co_u32 v1, s10, s10, v1
	s_delay_alu instid0(VALU_DEP_1) | instskip(SKIP_2) | instid1(VALU_DEP_1)
	v_add_co_ci_u32_e64 v2, null, s11, 0, s10
	s_load_b32 s10, s[22:23], 0x0
	s_waitcnt lgkmcnt(0)
	v_mad_i64_i32 v[3:4], null, s12, s5, v[1:2]
	v_mad_i64_i32 v[9:10], null, s7, s5, v[1:2]
	;; [unrolled: 1-line block ×7, first 2 shown]
	s_clause 0x5
	global_load_b128 v[49:52], v[3:4], off
	global_load_b128 v[53:56], v[3:4], off offset:16
	global_load_b128 v[41:44], v[5:6], off
	global_load_b128 v[45:48], v[5:6], off offset:16
	;; [unrolled: 2-line block ×3, first 2 shown]
	s_mov_b32 s4, 0
	v_mad_i64_i32 v[61:62], null, s10, s5, v[1:2]
	s_clause 0x9
	global_load_b128 v[1:4], v[9:10], off
	global_load_b128 v[5:8], v[9:10], off offset:16
	global_load_b128 v[9:12], v[13:14], off
	global_load_b128 v[13:16], v[13:14], off offset:16
	;; [unrolled: 2-line block ×5, first 2 shown]
	s_mov_b32 s5, s4
	s_mov_b32 s6, s4
	s_mov_b32 s7, s4
	s_mov_b32 s8, s4
	s_mov_b32 s9, s4
	s_mov_b32 s10, s4
	s_mov_b32 s11, s4
	v_and_b32_e32 v104, 0xe0, v0
	v_dual_mov_b32 v126, s11 :: v_dual_mov_b32 v125, s10
	v_dual_mov_b32 v124, s9 :: v_dual_mov_b32 v123, s8
	s_delay_alu instid0(VALU_DEP_3)
	v_add_nc_u32_e32 v111, s16, v104
	ds_load_b128 v[103:106], v115
	ds_load_b128 v[107:110], v115 offset:1024
	v_dual_mov_b32 v122, s7 :: v_dual_mov_b32 v121, s6
	v_mov_b32_e32 v120, s5
	v_or_b32_e32 v135, v111, v66
	ds_load_b128 v[111:114], v115 offset:2048
	ds_load_b128 v[115:118], v115 offset:3072
	v_mov_b32_e32 v119, s4
	s_waitcnt vmcnt(0) lgkmcnt(0)
	s_barrier
	v_or_b32_e32 v137, 2, v135
	v_or_b32_e32 v138, 4, v135
	;; [unrolled: 1-line block ×3, first 2 shown]
	v_cmp_gt_i32_e32 vcc_lo, s18, v135
	v_or_b32_e32 v140, 8, v135
	v_cmp_gt_i32_e64 s3, s18, v137
	v_or_b32_e32 v141, 10, v135
	v_cmp_gt_i32_e64 s4, s18, v138
	v_cmp_gt_i32_e64 s5, s18, v139
	v_or_b32_e32 v142, 12, v135
	v_or_b32_e32 v143, 14, v135
	v_cmp_gt_i32_e64 s6, s18, v140
	v_cmp_gt_i32_e64 s7, s18, v141
	v_or_b32_e32 v144, 16, v135
	v_or_b32_e32 v145, 18, v135
	v_cmp_gt_i32_e64 s8, s18, v142
	v_cmp_gt_i32_e64 s9, s18, v143
	buffer_gl0_inv
	v_cmp_gt_i32_e64 s10, s18, v144
	v_cmp_gt_i32_e64 s11, s18, v145
	v_wmma_f32_16x16x16_f16 v[127:134], v[71:78], v[103:110], v[119:126]
	v_wmma_f32_16x16x16_f16 v[119:126], v[79:86], v[103:110], v[119:126]
	v_or_b32_e32 v71, 20, v135
	v_or_b32_e32 v72, 22, v135
	s_delay_alu instid0(VALU_DEP_4)
	v_wmma_f32_16x16x16_f16 v[127:134], v[87:94], v[111:118], v[127:134]
	v_or_b32_e32 v73, 24, v135
	v_wmma_f32_16x16x16_f16 v[119:126], v[95:102], v[111:118], v[119:126]
	v_or_b32_e32 v74, 26, v135
	v_cmp_gt_i32_e64 s12, s18, v71
	v_dual_mul_f32 v83, s19, v128 :: v_dual_mul_f32 v84, s19, v127
	v_dual_mul_f32 v81, s19, v130 :: v_dual_mul_f32 v82, s19, v129
	;; [unrolled: 1-line block ×3, first 2 shown]
	s_delay_alu instid0(VALU_DEP_3) | instskip(NEXT) | instid1(VALU_DEP_4)
	v_cndmask_b32_e32 v84, 0xff7fffff, v84, vcc_lo
	v_cndmask_b32_e64 v83, 0xff7fffff, v83, s3
	v_mul_f32_e32 v80, s19, v131
	v_cndmask_b32_e64 v82, 0xff7fffff, v82, s4
	v_cndmask_b32_e64 v81, 0xff7fffff, v81, s5
	v_dual_mul_f32 v77, s19, v134 :: v_dual_mul_f32 v90, s19, v121
	v_max3_f32 v83, v84, 0xff7fffff, v83
	v_mul_f32_e32 v78, s19, v133
	v_cndmask_b32_e64 v80, 0xff7fffff, v80, s6
	v_cndmask_b32_e64 v79, 0xff7fffff, v79, s7
	v_mul_f32_e32 v91, s19, v120
	v_max3_f32 v81, v83, v82, v81
	v_cndmask_b32_e64 v78, 0xff7fffff, v78, s8
	v_cndmask_b32_e64 v77, 0xff7fffff, v77, s9
	v_mul_f32_e32 v89, s19, v122
	v_cmp_gt_i32_e64 s13, s18, v72
	v_max3_f32 v79, v81, v80, v79
	v_cndmask_b32_e64 v80, 0xff7fffff, v92, s10
	v_cndmask_b32_e64 v81, 0xff7fffff, v91, s11
	v_or_b32_e32 v75, 28, v135
	v_or_b32_e32 v76, 30, v135
	v_max3_f32 v77, v79, v78, v77
	v_dual_mul_f32 v87, s19, v124 :: v_dual_mul_f32 v88, s19, v123
	v_cndmask_b32_e64 v71, 0xff7fffff, v90, s12
	v_cndmask_b32_e64 v72, 0xff7fffff, v89, s13
	s_delay_alu instid0(VALU_DEP_4) | instskip(SKIP_3) | instid1(VALU_DEP_4)
	v_max3_f32 v77, v77, v80, v81
	v_cmp_gt_i32_e64 s15, s18, v73
	v_cmp_gt_i32_e64 s16, s18, v74
	v_dual_mul_f32 v85, s19, v126 :: v_dual_mul_f32 v86, s19, v125
	v_max3_f32 v71, v77, v71, v72
	s_delay_alu instid0(VALU_DEP_4) | instskip(NEXT) | instid1(VALU_DEP_4)
	v_cndmask_b32_e64 v73, 0xff7fffff, v88, s15
	v_cndmask_b32_e64 v74, 0xff7fffff, v87, s16
	v_cmp_gt_i32_e64 s17, s18, v75
	v_cmp_gt_i32_e64 s18, s18, v76
	s_delay_alu instid0(VALU_DEP_3) | instskip(NEXT) | instid1(VALU_DEP_3)
	v_max3_f32 v71, v71, v73, v74
	v_cndmask_b32_e64 v72, 0xff7fffff, v86, s17
	s_delay_alu instid0(VALU_DEP_3) | instskip(SKIP_1) | instid1(VALU_DEP_2)
	v_cndmask_b32_e64 v75, 0xff7fffff, v85, s18
	v_lshlrev_b32_e32 v73, 2, v136
	v_max3_f32 v71, v71, v72, v75
	ds_bpermute_b32 v72, v73, v71
	s_waitcnt lgkmcnt(0)
	v_max_f32_e32 v72, v72, v72
	s_delay_alu instid0(VALU_DEP_1) | instskip(NEXT) | instid1(VALU_DEP_1)
	v_max_f32_e32 v71, v71, v72
	v_fma_f32 v72, s19, v127, -v71
	v_fma_f32 v74, s19, v128, -v71
	;; [unrolled: 1-line block ×5, first 2 shown]
	v_mul_f32_e32 v72, 0x3fb8aa3b, v72
	s_delay_alu instid0(VALU_DEP_4) | instskip(NEXT) | instid1(VALU_DEP_4)
	v_dual_mul_f32 v74, 0x3fb8aa3b, v74 :: v_dual_mul_f32 v75, 0x3fb8aa3b, v75
	v_mul_f32_e32 v76, 0x3fb8aa3b, v76
	s_delay_alu instid0(VALU_DEP_4) | instskip(NEXT) | instid1(VALU_DEP_4)
	v_mul_f32_e32 v82, 0x3fb8aa3b, v80
	v_exp_f32_e32 v72, v72
	s_delay_alu instid0(VALU_DEP_3)
	v_exp_f32_e32 v74, v74
	v_exp_f32_e32 v75, v75
	;; [unrolled: 1-line block ×3, first 2 shown]
	v_fma_f32 v77, s19, v131, -v71
	v_exp_f32_e32 v84, v82
	v_cndmask_b32_e32 v79, 0, v72, vcc_lo
	v_cndmask_b32_e64 v78, 0, v74, s3
	s_delay_alu instid0(TRANS32_DEP_3) | instskip(SKIP_1) | instid1(TRANS32_DEP_2)
	v_cndmask_b32_e64 v81, 0, v75, s4
	v_fma_f32 v72, s19, v132, -v71
	v_cndmask_b32_e64 v80, 0, v76, s5
	v_add_f32_e32 v74, 0, v79
	s_delay_alu instid0(TRANS32_DEP_1) | instskip(SKIP_2) | instid1(VALU_DEP_4)
	v_cndmask_b32_e64 v85, 0, v84, s8
	v_cmp_gt_u32_e64 s3, 16, v70
	v_mul_f32_e32 v72, 0x3fb8aa3b, v72
	v_add_f32_e32 v74, v74, v78
	s_delay_alu instid0(VALU_DEP_2) | instskip(NEXT) | instid1(VALU_DEP_1)
	v_exp_f32_e32 v72, v72
	v_add_f32_e32 v74, v74, v81
	s_delay_alu instid0(VALU_DEP_1) | instskip(NEXT) | instid1(VALU_DEP_1)
	v_dual_mul_f32 v77, 0x3fb8aa3b, v77 :: v_dual_add_f32 v74, v74, v80
	v_exp_f32_e32 v77, v77
	s_waitcnt_depctr 0xfff
	v_cndmask_b32_e64 v82, 0, v72, s7
	v_cndmask_b32_e64 v83, 0, v77, s6
	s_delay_alu instid0(VALU_DEP_1) | instskip(SKIP_4) | instid1(VALU_DEP_4)
	v_add_f32_e32 v72, v74, v83
	v_fma_f32 v75, s19, v134, -v71
	v_fma_f32 v76, s19, v119, -v71
	;; [unrolled: 1-line block ×4, first 2 shown]
	v_dual_add_f32 v72, v72, v82 :: v_dual_mul_f32 v75, 0x3fb8aa3b, v75
	s_delay_alu instid0(VALU_DEP_3) | instskip(NEXT) | instid1(VALU_DEP_3)
	v_dual_mul_f32 v76, 0x3fb8aa3b, v76 :: v_dual_mul_f32 v77, 0x3fb8aa3b, v77
	v_mul_f32_e32 v74, 0x3fb8aa3b, v74
	v_fma_f32 v86, s19, v122, -v71
	s_delay_alu instid0(VALU_DEP_4) | instskip(NEXT) | instid1(VALU_DEP_3)
	v_exp_f32_e32 v75, v75
	v_exp_f32_e32 v76, v76
	;; [unrolled: 1-line block ×4, first 2 shown]
	v_mul_f32_e32 v86, 0x3fb8aa3b, v86
	s_delay_alu instid0(VALU_DEP_1)
	v_exp_f32_e32 v88, v86
	v_cndmask_b32_e64 v84, 0, v75, s9
	v_fma_f32 v75, s19, v123, -v71
	v_add_f32_e32 v72, v72, v85
	v_cndmask_b32_e64 v87, 0, v76, s10
	v_fma_f32 v76, s19, v124, -v71
	s_delay_alu instid0(TRANS32_DEP_3) | instskip(NEXT) | instid1(VALU_DEP_4)
	v_cndmask_b32_e64 v86, 0, v77, s11
	v_dual_mul_f32 v75, 0x3fb8aa3b, v75 :: v_dual_add_f32 v72, v72, v84
	v_fma_f32 v77, s19, v125, -v71
	s_delay_alu instid0(VALU_DEP_4) | instskip(SKIP_1) | instid1(VALU_DEP_4)
	v_mul_f32_e32 v76, 0x3fb8aa3b, v76
	v_cndmask_b32_e64 v89, 0, v74, s12
	v_exp_f32_e32 v75, v75
	v_add_f32_e32 v72, v72, v87
	v_mul_f32_e32 v74, 0x3fb8aa3b, v77
	v_exp_f32_e32 v76, v76
	v_cndmask_b32_e64 v88, 0, v88, s13
	v_fma_f32 v77, s19, v126, -v71
	v_add_f32_e32 v72, v72, v86
	v_exp_f32_e32 v74, v74
	s_delay_alu instid0(TRANS32_DEP_3) | instskip(NEXT) | instid1(VALU_DEP_2)
	v_cndmask_b32_e64 v91, 0, v75, s15
	v_add_f32_e32 v72, v72, v89
	v_mul_f32_e32 v75, 0x3fb8aa3b, v77
	s_delay_alu instid0(TRANS32_DEP_2) | instskip(NEXT) | instid1(VALU_DEP_3)
	v_cndmask_b32_e64 v90, 0, v76, s16
	v_add_f32_e32 v72, v72, v88
	s_delay_alu instid0(VALU_DEP_3) | instskip(NEXT) | instid1(TRANS32_DEP_2)
	v_exp_f32_e32 v75, v75
	v_cndmask_b32_e64 v93, 0, v74, s17
	s_delay_alu instid0(VALU_DEP_2) | instskip(NEXT) | instid1(VALU_DEP_1)
	v_add_f32_e32 v72, v72, v91
	v_add_f32_e32 v72, v72, v90
	s_waitcnt_depctr 0xfff
	v_cndmask_b32_e64 v92, 0, v75, s18
	v_add_f32_e32 v72, v72, v93
	s_delay_alu instid0(VALU_DEP_1)
	v_add_f32_e32 v72, v72, v92
	ds_bpermute_b32 v73, v73, v72
	s_and_saveexec_b32 s4, s3
	s_cbranch_execz .LBB1098_12
; %bb.11:
	v_mul_u32_u24_e32 v70, 0x44, v69
	s_waitcnt lgkmcnt(0)
	v_add_f32_e32 v72, v72, v73
	s_delay_alu instid0(VALU_DEP_2) | instskip(NEXT) | instid1(VALU_DEP_1)
	v_lshl_add_u32 v70, v68, 2, v70
	v_add_nc_u32_e32 v70, 0x4000, v70
	ds_store_2addr_b32 v70, v71, v72 offset1:136
.LBB1098_12:
	s_or_b32 exec_lo, exec_lo, s4
	v_lshlrev_b32_e32 v70, 2, v68
	s_load_b32 s36, s[0:1], 0x94
	s_waitcnt lgkmcnt(0)
	s_barrier
	buffer_gl0_inv
	v_add_nc_u32_e32 v98, 0x4000, v70
	v_cmp_eq_u32_e32 vcc_lo, 1, v69
	v_cmp_eq_u32_e64 s4, 2, v69
	v_cmp_eq_u32_e64 s5, 3, v69
	;; [unrolled: 1-line block ×3, first 2 shown]
	ds_load_2addr_b32 v[70:71], v98 offset1:17
	ds_load_2addr_b32 v[72:73], v98 offset0:34 offset1:51
	ds_load_2addr_b32 v[74:75], v98 offset0:68 offset1:85
	;; [unrolled: 1-line block ×3, first 2 shown]
	v_cmp_eq_u32_e64 s7, 5, v69
	v_cmp_eq_u32_e64 s8, 7, v69
	s_waitcnt lgkmcnt(3)
	v_max3_f32 v76, v70, 0xff7fffff, v71
	s_waitcnt lgkmcnt(2)
	s_delay_alu instid0(VALU_DEP_1) | instskip(SKIP_1) | instid1(VALU_DEP_1)
	v_max3_f32 v76, v76, v72, v73
	s_waitcnt lgkmcnt(1)
	v_max3_f32 v76, v76, v74, v75
	s_waitcnt lgkmcnt(0)
	s_delay_alu instid0(VALU_DEP_1) | instskip(NEXT) | instid1(VALU_DEP_1)
	v_max3_f32 v76, v76, v94, v95
	v_sub_f32_e32 v77, v71, v76
	ds_load_2addr_b32 v[96:97], v98 offset0:136 offset1:153
	v_sub_f32_e32 v74, v74, v76
	v_sub_f32_e32 v70, v70, v76
	;; [unrolled: 1-line block ×3, first 2 shown]
	v_dual_sub_f32 v72, v72, v76 :: v_dual_mul_f32 v77, 0x3fb8aa3b, v77
	s_delay_alu instid0(VALU_DEP_4) | instskip(NEXT) | instid1(VALU_DEP_4)
	v_mul_f32_e32 v103, 0x3fb8aa3b, v74
	v_mul_f32_e32 v99, 0x3fb8aa3b, v70
	ds_load_2addr_b32 v[70:71], v98 offset0:170 offset1:187
	v_dual_mul_f32 v101, 0x3fb8aa3b, v72 :: v_dual_mul_f32 v94, 0x3fb8aa3b, v94
	v_exp_f32_e32 v102, v77
	v_exp_f32_e32 v99, v99
	s_delay_alu instid0(VALU_DEP_1) | instskip(NEXT) | instid1(VALU_DEP_1)
	v_exp_f32_e32 v101, v101
	v_exp_f32_e32 v94, v94
	s_waitcnt lgkmcnt(1)
	s_delay_alu instid0(TRANS32_DEP_3)
	v_fma_f32 v77, v99, v96, 0
	v_sub_f32_e32 v100, v73, v76
	ds_load_2addr_b32 v[72:73], v98 offset0:204 offset1:221
	v_fmac_f32_e32 v77, v102, v97
	v_exp_f32_e32 v97, v103
	s_waitcnt lgkmcnt(1)
	s_delay_alu instid0(VALU_DEP_1)
	v_dual_fmac_f32 v77, v101, v70 :: v_dual_sub_f32 v96, v75, v76
	ds_load_2addr_b32 v[74:75], v98 offset0:238 offset1:255
	v_sub_f32_e32 v70, v95, v76
	s_waitcnt lgkmcnt(0)
	s_barrier
	v_mul_f32_e32 v96, 0x3fb8aa3b, v96
	buffer_gl0_inv
	v_exp_f32_e32 v95, v96
	v_mul_f32_e32 v100, 0x3fb8aa3b, v100
	s_delay_alu instid0(VALU_DEP_1) | instskip(SKIP_3) | instid1(VALU_DEP_2)
	v_exp_f32_e32 v100, v100
	s_waitcnt_depctr 0xfff
	v_dual_fmac_f32 v77, v100, v71 :: v_dual_mul_f32 v70, 0x3fb8aa3b, v70
	v_cndmask_b32_e32 v71, v99, v102, vcc_lo
	v_fmac_f32_e32 v77, v97, v72
	s_delay_alu instid0(VALU_DEP_3) | instskip(NEXT) | instid1(VALU_DEP_1)
	v_exp_f32_e32 v96, v70
	v_fmac_f32_e32 v77, v95, v73
	s_delay_alu instid0(VALU_DEP_1) | instskip(SKIP_2) | instid1(VALU_DEP_1)
	v_fmac_f32_e32 v77, v94, v74
	s_waitcnt_depctr 0xfff
	v_fmac_f32_e32 v77, v96, v75
	v_add_f32_e32 v74, 0x358637bd, v77
	s_delay_alu instid0(VALU_DEP_1) | instskip(SKIP_1) | instid1(VALU_DEP_2)
	v_div_scale_f32 v98, null, v74, v74, 1.0
	v_div_scale_f32 v99, vcc_lo, 1.0, v74, 1.0
	v_rcp_f32_e32 v103, v98
	s_waitcnt_depctr 0xfff
	v_fma_f32 v70, -v98, v103, 1.0
	s_delay_alu instid0(VALU_DEP_1) | instskip(SKIP_2) | instid1(VALU_DEP_2)
	v_fmac_f32_e32 v103, v70, v103
	v_cndmask_b32_e64 v70, v71, v101, s4
	v_cmp_eq_u32_e64 s4, 6, v69
	v_cndmask_b32_e64 v71, v70, v100, s5
	s_delay_alu instid0(VALU_DEP_4) | instskip(NEXT) | instid1(VALU_DEP_2)
	v_dual_mul_f32 v101, v99, v103 :: v_dual_lshlrev_b32 v70, 2, v66
	v_cndmask_b32_e64 v71, v71, v97, s6
	s_delay_alu instid0(VALU_DEP_2) | instskip(NEXT) | instid1(VALU_DEP_3)
	v_or_b32_e32 v72, 1, v70
	v_fma_f32 v100, -v98, v101, v99
	v_cmp_eq_u32_e64 s5, 1, v70
	v_cmp_eq_u32_e64 s6, 2, v70
	v_cndmask_b32_e64 v95, v71, v95, s7
	v_or_b32_e32 v71, 3, v70
	v_fmac_f32_e32 v101, v100, v103
	v_cmp_eq_u32_e64 s10, 1, v72
	v_cmp_eq_u32_e64 s13, 2, v72
	v_cndmask_b32_e64 v94, v95, v94, s4
	v_cmp_eq_u32_e64 s12, 1, v71
	v_fma_f32 v97, -v98, v101, v99
	v_cmp_eq_u32_e64 s17, 2, v71
	v_cmp_eq_u32_e64 s15, 3, v72
	v_cndmask_b32_e64 v94, v94, v96, s8
	v_cmp_eq_u32_e64 s19, 3, v71
	v_div_fmas_f32 v95, v97, v103, v101
	v_cmp_eq_u32_e32 vcc_lo, 3, v70
	v_cmp_eq_u32_e64 s4, 4, v70
	v_cmp_eq_u32_e64 s20, 4, v72
	;; [unrolled: 1-line block ×3, first 2 shown]
	v_div_fixup_f32 v95, v95, v74, 1.0
	v_lshlrev_b32_e32 v73, 6, v68
	v_cmp_eq_u32_e64 s7, 5, v70
	v_cmp_eq_u32_e64 s21, 5, v72
	;; [unrolled: 1-line block ×3, first 2 shown]
	v_mul_f32_e32 v102, v94, v95
	v_lshl_or_b32 v75, v69, 11, v73
	v_or_b32_e32 v69, 2, v70
	v_cmp_eq_u32_e64 s26, 6, v72
	v_cmp_eq_u32_e64 s28, 6, v71
	v_fma_mixlo_f16 v94, v102, v79, 0
	v_fma_mixlo_f16 v95, v102, v81, 0
	;; [unrolled: 1-line block ×8, first 2 shown]
	v_lshl_or_b32 v74, v66, 4, v75
	v_fma_mixhi_f16 v94, v102, v78, 0
	v_fma_mixhi_f16 v95, v102, v80, 0
	;; [unrolled: 1-line block ×8, first 2 shown]
	ds_store_b128 v74, v[94:97]
	ds_store_b128 v74, v[98:101] offset:1024
	s_waitcnt lgkmcnt(0)
	s_barrier
	buffer_gl0_inv
	ds_load_b128 v[78:81], v75
	ds_load_b128 v[82:85], v75 offset:16
	ds_load_b128 v[86:89], v75 offset:1024
	;; [unrolled: 1-line block ×3, first 2 shown]
	v_cmp_eq_u32_e64 s11, 1, v69
	v_cmp_eq_u32_e64 s16, 2, v69
	;; [unrolled: 1-line block ×11, first 2 shown]
	s_waitcnt lgkmcnt(3)
	v_lshrrev_b32_e32 v94, 16, v78
	s_waitcnt lgkmcnt(2)
	v_lshrrev_b32_e32 v98, 16, v82
	;; [unrolled: 2-line block ×4, first 2 shown]
	v_lshrrev_b32_e32 v95, 16, v79
	v_cndmask_b32_e64 v110, v78, v94, s5
	v_cndmask_b32_e64 v111, v82, v98, s5
	;; [unrolled: 1-line block ×8, first 2 shown]
	v_lshrrev_b32_e32 v99, 16, v83
	v_cndmask_b32_e64 v94, v86, v102, s5
	v_cndmask_b32_e64 v98, v90, v106, s5
	;; [unrolled: 1-line block ×15, first 2 shown]
	v_lshrrev_b32_e32 v103, 16, v87
	v_lshrrev_b32_e32 v107, 16, v91
	v_cndmask_b32_e64 v113, v115, v83, s16
	v_cndmask_b32_e64 v82, v94, v87, s6
	v_cndmask_b32_e64 v83, v98, v91, s6
	v_cndmask_b32_e64 v94, v116, v87, s13
	v_cndmask_b32_e64 v98, v118, v87, s16
	v_cndmask_b32_e64 v86, v86, v87, s17
	v_cndmask_b32_e64 v87, v90, v91, s17
	v_cndmask_b32_e32 v90, v102, v95, vcc_lo
	v_cndmask_b32_e32 v102, v106, v99, vcc_lo
	v_cndmask_b32_e64 v106, v110, v95, s15
	v_cndmask_b32_e64 v110, v111, v99, s15
	;; [unrolled: 1-line block ×4, first 2 shown]
	v_lshrrev_b32_e32 v96, 16, v80
	v_lshrrev_b32_e32 v100, 16, v84
	v_cndmask_b32_e64 v111, v112, v95, s18
	v_cndmask_b32_e64 v112, v113, v99, s18
	v_cndmask_b32_e32 v82, v82, v103, vcc_lo
	v_cndmask_b32_e32 v83, v83, v107, vcc_lo
	v_cndmask_b32_e64 v94, v94, v103, s15
	v_cndmask_b32_e64 v90, v90, v80, s4
	;; [unrolled: 1-line block ×7, first 2 shown]
	v_lshrrev_b32_e32 v104, 16, v88
	v_cndmask_b32_e64 v106, v111, v80, s22
	v_cndmask_b32_e64 v110, v112, v84, s22
	;; [unrolled: 1-line block ×11, first 2 shown]
	v_lshrrev_b32_e32 v97, 16, v81
	v_lshrrev_b32_e32 v101, 16, v85
	v_cndmask_b32_e64 v99, v106, v96, s24
	v_cndmask_b32_e64 v102, v110, v100, s24
	v_cndmask_b32_e64 v83, v83, v104, s21
	v_cndmask_b32_e64 v94, v94, v81, s26
	v_cndmask_b32_e64 v95, v95, v85, s26
	v_cndmask_b32_e64 v78, v78, v81, s28
	v_cndmask_b32_e64 v79, v79, v85, s28
	v_lshrrev_b32_e32 v105, 16, v89
	v_cndmask_b32_e64 v80, v80, v104, s7
	v_cndmask_b32_e64 v84, v84, v81, s8
	;; [unrolled: 1-line block ×16, first 2 shown]
	v_perm_b32 v81, v79, v78, 0x5040100
	v_perm_b32 v79, v95, v85, 0x5040100
	v_cndmask_b32_e64 v78, v119, v91, s16
	v_cndmask_b32_e64 v85, v117, v91, s13
	;; [unrolled: 1-line block ×3, first 2 shown]
	v_perm_b32 v80, v94, v90, 0x5040100
	v_cndmask_b32_e64 v90, v98, v103, s18
	v_cndmask_b32_e64 v86, v86, v103, s19
	;; [unrolled: 1-line block ×5, first 2 shown]
	v_lshrrev_b32_e32 v108, 16, v92
	v_cndmask_b32_e64 v90, v90, v88, s22
	v_cndmask_b32_e64 v86, v86, v88, s23
	;; [unrolled: 1-line block ×11, first 2 shown]
	v_lshrrev_b32_e32 v109, 16, v93
	v_cndmask_b32_e64 v82, v82, v93, s8
	v_cndmask_b32_e64 v88, v88, v89, s27
	;; [unrolled: 1-line block ×12, first 2 shown]
	v_perm_b32 v78, v84, v83, 0x5040100
	v_perm_b32 v85, v87, v86, 0x5040100
	v_perm_b32 v84, v89, v88, 0x5040100
	v_perm_b32 v83, v90, v97, 0x5040100
	v_perm_b32 v82, v82, v96, 0x5040100
	s_mul_i32 s9, s35, 13
	s_mov_b32 s4, exec_lo
	ds_store_b128 v74, v[78:81]
	ds_store_b128 v74, v[82:85] offset:1024
	v_cmpx_gt_u32_e32 13, v0
	s_cbranch_execz .LBB1098_14
; %bb.13:
	s_mul_i32 s5, s9, s34
	s_load_b128 s[16:19], s[0:1], 0x58
	v_add3_u32 v68, s5, s33, v68
	s_delay_alu instid0(VALU_DEP_1) | instskip(NEXT) | instid1(VALU_DEP_1)
	v_mad_u64_u32 v[78:79], null, v68, s36, s[14:15]
	v_ashrrev_i32_e32 v79, 31, v78
	s_delay_alu instid0(VALU_DEP_1) | instskip(SKIP_1) | instid1(VALU_DEP_1)
	v_lshlrev_b64 v[78:79], 2, v[78:79]
	s_waitcnt lgkmcnt(0)
	v_add_co_u32 v80, vcc_lo, s18, v78
	s_delay_alu instid0(VALU_DEP_2)
	v_add_co_ci_u32_e32 v81, vcc_lo, s19, v79, vcc_lo
	v_add_co_u32 v78, vcc_lo, s16, v78
	v_add_co_ci_u32_e32 v79, vcc_lo, s17, v79, vcc_lo
	global_store_b32 v[80:81], v76, off
	global_store_b32 v[78:79], v77, off
.LBB1098_14:
	s_or_b32 exec_lo, exec_lo, s4
	s_waitcnt lgkmcnt(0)
	s_waitcnt_vscnt null, 0x0
	s_barrier
	buffer_gl0_inv
	ds_load_b128 v[84:87], v73
	ds_load_b128 v[88:91], v73 offset:16
	ds_load_b128 v[96:99], v73 offset:2064
	;; [unrolled: 1-line block ×5, first 2 shown]
	v_cmp_eq_u32_e32 vcc_lo, 1, v70
	v_mov_b32_e32 v76, 0
	ds_load_b128 v[112:115], v73 offset:6160
	ds_load_b128 v[108:111], v73 offset:6144
	;; [unrolled: 1-line block ×4, first 2 shown]
	v_cmp_eq_u32_e64 s5, 1, v69
	v_cmp_eq_u32_e64 s4, 1, v72
	;; [unrolled: 1-line block ×3, first 2 shown]
	v_mov_b32_e32 v77, v76
	v_mov_b32_e32 v78, v76
	;; [unrolled: 1-line block ×7, first 2 shown]
	v_cmp_eq_u32_e64 s7, 3, v72
	v_cmp_eq_u32_e64 s8, 7, v72
	s_waitcnt lgkmcnt(8)
	s_delay_alu instid0(VALU_DEP_3)
	v_wmma_f32_16x16x16_f16 v[76:83], v[49:56], v[84:91], v[76:83]
	ds_load_b128 v[53:56], v73 offset:10256
	ds_load_b128 v[49:52], v73 offset:10240
	s_waitcnt lgkmcnt(8)
	v_wmma_f32_16x16x16_f16 v[76:83], v[41:48], v[92:99], v[76:83]
	ds_load_b128 v[45:48], v73 offset:12304
	ds_load_b128 v[41:44], v73 offset:12288
	s_waitcnt lgkmcnt(8)
	;; [unrolled: 4-line block ×3, first 2 shown]
	s_barrier
	buffer_gl0_inv
	v_wmma_f32_16x16x16_f16 v[76:83], v[1:8], v[108:115], v[76:83]
	s_delay_alu instid0(VALU_DEP_1) | instskip(NEXT) | instid1(VALU_DEP_1)
	v_wmma_f32_16x16x16_f16 v[76:83], v[9:16], v[116:123], v[76:83]
	v_wmma_f32_16x16x16_f16 v[76:83], v[17:24], v[49:56], v[76:83]
	s_delay_alu instid0(VALU_DEP_1) | instskip(NEXT) | instid1(VALU_DEP_1)
	v_wmma_f32_16x16x16_f16 v[76:83], v[25:32], v[41:48], v[76:83]
	v_wmma_f32_16x16x16_f16 v[76:83], v[57:64], v[33:40], v[76:83]
	s_delay_alu instid0(VALU_DEP_1) | instskip(NEXT) | instid1(VALU_DEP_2)
	v_cvt_f16_f32_e32 v1, v76
	v_cvt_f16_f32_e32 v2, v77
	s_delay_alu instid0(VALU_DEP_3) | instskip(NEXT) | instid1(VALU_DEP_4)
	v_cvt_f16_f32_e32 v3, v78
	v_cvt_f16_f32_e32 v4, v79
	v_cvt_f16_f32_e32 v5, v80
	v_cvt_f16_f32_e32 v6, v81
	v_cvt_f16_f32_e32 v7, v82
	v_cvt_f16_f32_e32 v8, v83
	v_pack_b32_f16 v1, v1, v2
	v_pack_b32_f16 v2, v3, v4
	;; [unrolled: 1-line block ×3, first 2 shown]
	s_delay_alu instid0(VALU_DEP_4)
	v_pack_b32_f16 v4, v7, v8
	ds_store_b128 v74, v[1:4]
	s_waitcnt lgkmcnt(0)
	s_barrier
	buffer_gl0_inv
	ds_load_b128 v[1:4], v75
	ds_load_b128 v[5:8], v75 offset:16
	s_waitcnt lgkmcnt(1)
	v_lshrrev_b32_e32 v9, 16, v1
	s_waitcnt lgkmcnt(0)
	v_lshrrev_b32_e32 v13, 16, v5
	v_lshrrev_b32_e32 v10, 16, v2
	;; [unrolled: 1-line block ×4, first 2 shown]
	v_cndmask_b32_e32 v17, v1, v9, vcc_lo
	v_cndmask_b32_e32 v18, v5, v13, vcc_lo
	v_cndmask_b32_e64 v21, v1, v9, s5
	v_cmp_eq_u32_e32 vcc_lo, 1, v71
	v_cndmask_b32_e64 v22, v5, v13, s5
	v_cmp_eq_u32_e64 s5, 2, v70
	v_cndmask_b32_e64 v19, v1, v9, s4
	v_cndmask_b32_e64 v20, v5, v13, s4
	v_cndmask_b32_e32 v1, v1, v9, vcc_lo
	v_cmp_eq_u32_e64 s4, 2, v71
	v_cndmask_b32_e32 v5, v5, v13, vcc_lo
	v_cndmask_b32_e64 v9, v17, v2, s5
	v_cmp_eq_u32_e32 vcc_lo, 3, v70
	v_cndmask_b32_e64 v13, v18, v6, s5
	v_cmp_eq_u32_e64 s5, 2, v69
	v_cndmask_b32_e64 v17, v19, v2, s6
	v_cndmask_b32_e64 v18, v20, v6, s6
	v_cmp_eq_u32_e64 s6, 3, v69
	v_cndmask_b32_e64 v1, v1, v2, s4
	v_cndmask_b32_e64 v19, v21, v2, s5
	;; [unrolled: 1-line block ×4, first 2 shown]
	v_cndmask_b32_e32 v5, v9, v10, vcc_lo
	v_cndmask_b32_e32 v6, v13, v14, vcc_lo
	v_cmp_eq_u32_e32 vcc_lo, 3, v71
	v_cndmask_b32_e64 v9, v17, v10, s7
	v_cndmask_b32_e64 v13, v18, v14, s7
	;; [unrolled: 1-line block ×3, first 2 shown]
	v_cmp_eq_u32_e64 s5, 4, v70
	v_cndmask_b32_e32 v1, v1, v10, vcc_lo
	v_cndmask_b32_e32 v2, v2, v14, vcc_lo
	v_cmp_eq_u32_e32 vcc_lo, 4, v72
	v_lshrrev_b32_e32 v15, 16, v7
	v_lshrrev_b32_e32 v16, 16, v8
	v_cndmask_b32_e64 v17, v19, v10, s6
	v_cmp_eq_u32_e64 s4, 4, v71
	v_cndmask_b32_e64 v5, v5, v3, s5
	v_cndmask_b32_e64 v6, v6, v7, s5
	v_cndmask_b32_e32 v9, v9, v3, vcc_lo
	v_cmp_eq_u32_e64 s5, 5, v72
	v_cndmask_b32_e32 v10, v13, v7, vcc_lo
	v_cmp_eq_u32_e32 vcc_lo, 4, v69
	v_cmp_eq_u32_e64 s6, 5, v70
	v_cndmask_b32_e64 v2, v2, v7, s4
	v_cndmask_b32_e64 v9, v9, v11, s5
	;; [unrolled: 1-line block ×3, first 2 shown]
	v_cndmask_b32_e32 v13, v17, v3, vcc_lo
	v_cmp_eq_u32_e64 s5, 5, v69
	v_cndmask_b32_e32 v14, v18, v7, vcc_lo
	v_cndmask_b32_e64 v1, v1, v3, s4
	v_cmp_eq_u32_e32 vcc_lo, 5, v71
	v_lshrrev_b32_e32 v12, 16, v4
	v_cndmask_b32_e64 v13, v13, v11, s5
	v_cndmask_b32_e64 v3, v14, v15, s5
	v_cmp_eq_u32_e64 s5, 6, v71
	v_cndmask_b32_e32 v1, v1, v11, vcc_lo
	v_cndmask_b32_e64 v5, v5, v11, s6
	v_cmp_eq_u32_e64 s7, 6, v70
	v_cndmask_b32_e64 v6, v6, v15, s6
	v_cmp_eq_u32_e64 s6, 6, v72
	v_cmp_eq_u32_e64 s4, 6, v69
	v_cndmask_b32_e64 v1, v1, v4, s5
	v_cndmask_b32_e32 v2, v2, v15, vcc_lo
	v_cmp_eq_u32_e32 vcc_lo, 7, v71
	v_cndmask_b32_e64 v5, v5, v4, s7
	v_cndmask_b32_e64 v9, v9, v4, s6
	;; [unrolled: 1-line block ×3, first 2 shown]
	v_cmp_eq_u32_e64 s7, 7, v70
	v_cndmask_b32_e32 v1, v1, v12, vcc_lo
	v_cndmask_b32_e64 v7, v13, v4, s4
	v_cndmask_b32_e64 v3, v3, v8, s4
	;; [unrolled: 1-line block ×3, first 2 shown]
	v_cmp_eq_u32_e64 s4, 7, v69
	v_cndmask_b32_e64 v4, v10, v8, s6
	v_cndmask_b32_e64 v5, v5, v12, s7
	;; [unrolled: 1-line block ×3, first 2 shown]
	v_cndmask_b32_e32 v2, v2, v16, vcc_lo
	v_cndmask_b32_e64 v7, v7, v12, s4
	v_cndmask_b32_e64 v3, v3, v16, s4
	;; [unrolled: 1-line block ×4, first 2 shown]
	v_cmp_gt_u32_e32 vcc_lo, 32, v0
	v_perm_b32 v4, v2, v1, 0x5040100
	v_perm_b32 v3, v3, v7, 0x5040100
	;; [unrolled: 1-line block ×4, first 2 shown]
	s_and_b32 s2, vcc_lo, s2
	ds_store_b128 v74, v[1:4]
	s_waitcnt lgkmcnt(0)
	s_barrier
	buffer_gl0_inv
	s_and_saveexec_b32 s4, s2
	s_cbranch_execz .LBB1098_2
; %bb.15:
	s_load_b64 s[4:5], s[0:1], 0x68
	v_lshlrev_b32_e32 v0, 10, v0
	v_lshlrev_b32_e32 v1, 4, v67
	s_lshl_b32 s0, s36, 6
	v_add_nc_u32_e32 v18, s33, v66
	s_mul_i32 s1, s0, s34
	s_delay_alu instid0(VALU_DEP_2) | instskip(SKIP_1) | instid1(VALU_DEP_2)
	v_and_or_b32 v0, 0x3800, v0, v1
	s_mul_i32 s6, s1, s9
	v_mul_lo_u32 v1, v18, s0
	s_ashr_i32 s7, s6, 31
	v_add_nc_u32_e32 v2, 2, v18
	v_lshl_or_b32 v19, v66, 6, v0
	s_lshl_b64 s[6:7], s[6:7], 1
	v_add_nc_u32_e32 v8, 4, v18
	v_add_nc_u32_e32 v15, 6, v18
	v_mul_lo_u32 v7, v2, s0
	ds_load_b128 v[3:6], v19
	v_ashrrev_i32_e32 v2, 31, v1
	v_mul_lo_u32 v11, v8, s0
	s_waitcnt lgkmcnt(0)
	s_add_u32 s1, s4, s6
	s_addc_u32 s2, s5, s7
	s_lshl_b32 s4, s14, 6
	v_lshlrev_b64 v[9:10], 1, v[1:2]
	s_ashr_i32 s5, s4, 31
	v_ashrrev_i32_e32 v8, 31, v7
	s_lshl_b64 s[4:5], s[4:5], 1
	v_ashrrev_i32_e32 v12, 31, v11
	s_add_u32 s1, s1, s4
	s_addc_u32 s2, s2, s5
	v_add_co_u32 v1, s1, s1, v65
	s_delay_alu instid0(VALU_DEP_1) | instskip(SKIP_1) | instid1(VALU_DEP_3)
	v_add_co_ci_u32_e64 v2, null, s2, 0, s1
	v_mul_lo_u32 v15, v15, s0
	v_add_co_u32 v13, vcc_lo, v1, v9
	s_delay_alu instid0(VALU_DEP_3)
	v_add_co_ci_u32_e32 v14, vcc_lo, v2, v10, vcc_lo
	v_lshlrev_b64 v[16:17], 1, v[7:8]
	ds_load_b128 v[7:10], v19 offset:128
	global_store_b128 v[13:14], v[3:6], off
	v_add_nc_u32_e32 v5, 8, v18
	v_lshlrev_b64 v[3:4], 1, v[11:12]
	v_add_co_u32 v23, vcc_lo, v1, v16
	v_ashrrev_i32_e32 v16, 31, v15
	s_delay_alu instid0(VALU_DEP_4) | instskip(SKIP_3) | instid1(VALU_DEP_3)
	v_mul_lo_u32 v25, v5, s0
	v_add_nc_u32_e32 v5, 10, v18
	v_add_co_ci_u32_e32 v24, vcc_lo, v2, v17, vcc_lo
	v_add_co_u32 v27, vcc_lo, v1, v3
	v_mul_lo_u32 v29, v5, s0
	v_add_co_ci_u32_e32 v28, vcc_lo, v2, v4, vcc_lo
	v_lshlrev_b64 v[31:32], 1, v[15:16]
	ds_load_b128 v[3:6], v19 offset:256
	ds_load_b128 v[11:14], v19 offset:384
	ds_load_b128 v[15:18], v19 offset:512
	ds_load_b128 v[19:22], v19 offset:640
	v_ashrrev_i32_e32 v26, 31, v25
	v_ashrrev_i32_e32 v30, 31, v29
	v_add_co_u32 v31, vcc_lo, v1, v31
	s_delay_alu instid0(VALU_DEP_3) | instskip(SKIP_1) | instid1(VALU_DEP_4)
	v_lshlrev_b64 v[25:26], 1, v[25:26]
	v_add_co_ci_u32_e32 v32, vcc_lo, v2, v32, vcc_lo
	v_lshlrev_b64 v[29:30], 1, v[29:30]
	s_delay_alu instid0(VALU_DEP_3) | instskip(NEXT) | instid1(VALU_DEP_4)
	v_add_co_u32 v25, vcc_lo, v1, v25
	v_add_co_ci_u32_e32 v26, vcc_lo, v2, v26, vcc_lo
	s_delay_alu instid0(VALU_DEP_3) | instskip(NEXT) | instid1(VALU_DEP_4)
	v_add_co_u32 v29, vcc_lo, v1, v29
	v_add_co_ci_u32_e32 v30, vcc_lo, v2, v30, vcc_lo
	s_waitcnt lgkmcnt(4)
	global_store_b128 v[23:24], v[7:10], off
	s_waitcnt lgkmcnt(3)
	global_store_b128 v[27:28], v[3:6], off
	;; [unrolled: 2-line block ×5, first 2 shown]
	s_and_b32 exec_lo, exec_lo, s3
	s_cbranch_execz .LBB1098_2
; %bb.16:
	ds_load_b128 v[3:6], v0 offset:768
	s_add_i32 s1, s33, 12
	s_delay_alu instid0(SALU_CYCLE_1) | instskip(NEXT) | instid1(SALU_CYCLE_1)
	s_mul_i32 s0, s1, s0
	s_ashr_i32 s1, s0, 31
	s_delay_alu instid0(SALU_CYCLE_1) | instskip(NEXT) | instid1(SALU_CYCLE_1)
	s_lshl_b64 s[0:1], s[0:1], 1
	v_add_co_u32 v0, vcc_lo, v1, s0
	v_add_co_ci_u32_e32 v1, vcc_lo, s1, v2, vcc_lo
	s_waitcnt lgkmcnt(0)
	global_store_b128 v[0:1], v[3:6], off
	s_nop 0
	s_sendmsg sendmsg(MSG_DEALLOC_VGPRS)
	s_endpgm
	.section	.rodata,"a",@progbits
	.p2align	6, 0x0
	.amdhsa_kernel _Z39paged_attention_ll4mi_QKV_mfma16_kernelIDF16_hLN4vllm18Fp8KVCacheDataTypeE1EhLi16ELi64ELi256ELb1ELi13EL8MFMAType0EEvPKT_PKT0_S8_ifPKiSA_SA_iPKfiiiPfSD_PS3_PT2_iSC_SC_
		.amdhsa_group_segment_fixed_size 17472
		.amdhsa_private_segment_fixed_size 0
		.amdhsa_kernarg_size 400
		.amdhsa_user_sgpr_count 13
		.amdhsa_user_sgpr_dispatch_ptr 0
		.amdhsa_user_sgpr_queue_ptr 0
		.amdhsa_user_sgpr_kernarg_segment_ptr 1
		.amdhsa_user_sgpr_dispatch_id 0
		.amdhsa_user_sgpr_private_segment_size 0
		.amdhsa_wavefront_size32 1
		.amdhsa_uses_dynamic_stack 0
		.amdhsa_enable_private_segment 0
		.amdhsa_system_sgpr_workgroup_id_x 1
		.amdhsa_system_sgpr_workgroup_id_y 1
		.amdhsa_system_sgpr_workgroup_id_z 1
		.amdhsa_system_sgpr_workgroup_info 0
		.amdhsa_system_vgpr_workitem_id 0
		.amdhsa_next_free_vgpr 146
		.amdhsa_next_free_sgpr 37
		.amdhsa_reserve_vcc 1
		.amdhsa_float_round_mode_32 0
		.amdhsa_float_round_mode_16_64 0
		.amdhsa_float_denorm_mode_32 3
		.amdhsa_float_denorm_mode_16_64 3
		.amdhsa_dx10_clamp 1
		.amdhsa_ieee_mode 1
		.amdhsa_fp16_overflow 0
		.amdhsa_workgroup_processor_mode 1
		.amdhsa_memory_ordered 1
		.amdhsa_forward_progress 0
		.amdhsa_shared_vgpr_count 0
		.amdhsa_exception_fp_ieee_invalid_op 0
		.amdhsa_exception_fp_denorm_src 0
		.amdhsa_exception_fp_ieee_div_zero 0
		.amdhsa_exception_fp_ieee_overflow 0
		.amdhsa_exception_fp_ieee_underflow 0
		.amdhsa_exception_fp_ieee_inexact 0
		.amdhsa_exception_int_div_zero 0
	.end_amdhsa_kernel
	.section	.text._Z39paged_attention_ll4mi_QKV_mfma16_kernelIDF16_hLN4vllm18Fp8KVCacheDataTypeE1EhLi16ELi64ELi256ELb1ELi13EL8MFMAType0EEvPKT_PKT0_S8_ifPKiSA_SA_iPKfiiiPfSD_PS3_PT2_iSC_SC_,"axG",@progbits,_Z39paged_attention_ll4mi_QKV_mfma16_kernelIDF16_hLN4vllm18Fp8KVCacheDataTypeE1EhLi16ELi64ELi256ELb1ELi13EL8MFMAType0EEvPKT_PKT0_S8_ifPKiSA_SA_iPKfiiiPfSD_PS3_PT2_iSC_SC_,comdat
.Lfunc_end1098:
	.size	_Z39paged_attention_ll4mi_QKV_mfma16_kernelIDF16_hLN4vllm18Fp8KVCacheDataTypeE1EhLi16ELi64ELi256ELb1ELi13EL8MFMAType0EEvPKT_PKT0_S8_ifPKiSA_SA_iPKfiiiPfSD_PS3_PT2_iSC_SC_, .Lfunc_end1098-_Z39paged_attention_ll4mi_QKV_mfma16_kernelIDF16_hLN4vllm18Fp8KVCacheDataTypeE1EhLi16ELi64ELi256ELb1ELi13EL8MFMAType0EEvPKT_PKT0_S8_ifPKiSA_SA_iPKfiiiPfSD_PS3_PT2_iSC_SC_
                                        ; -- End function
	.section	.AMDGPU.csdata,"",@progbits
; Kernel info:
; codeLenInByte = 6692
; NumSgprs: 39
; NumVgprs: 146
; ScratchSize: 0
; MemoryBound: 0
; FloatMode: 240
; IeeeMode: 1
; LDSByteSize: 17472 bytes/workgroup (compile time only)
; SGPRBlocks: 4
; VGPRBlocks: 18
; NumSGPRsForWavesPerEU: 39
; NumVGPRsForWavesPerEU: 146
; Occupancy: 9
; WaveLimiterHint : 1
; COMPUTE_PGM_RSRC2:SCRATCH_EN: 0
; COMPUTE_PGM_RSRC2:USER_SGPR: 13
; COMPUTE_PGM_RSRC2:TRAP_HANDLER: 0
; COMPUTE_PGM_RSRC2:TGID_X_EN: 1
; COMPUTE_PGM_RSRC2:TGID_Y_EN: 1
; COMPUTE_PGM_RSRC2:TGID_Z_EN: 1
; COMPUTE_PGM_RSRC2:TIDIG_COMP_CNT: 0
	.section	.text._Z39paged_attention_ll4mi_QKV_mfma16_kernelIDF16_hLN4vllm18Fp8KVCacheDataTypeE1EhLi16ELi64ELi256ELb1ELi14EL8MFMAType0EEvPKT_PKT0_S8_ifPKiSA_SA_iPKfiiiPfSD_PS3_PT2_iSC_SC_,"axG",@progbits,_Z39paged_attention_ll4mi_QKV_mfma16_kernelIDF16_hLN4vllm18Fp8KVCacheDataTypeE1EhLi16ELi64ELi256ELb1ELi14EL8MFMAType0EEvPKT_PKT0_S8_ifPKiSA_SA_iPKfiiiPfSD_PS3_PT2_iSC_SC_,comdat
	.protected	_Z39paged_attention_ll4mi_QKV_mfma16_kernelIDF16_hLN4vllm18Fp8KVCacheDataTypeE1EhLi16ELi64ELi256ELb1ELi14EL8MFMAType0EEvPKT_PKT0_S8_ifPKiSA_SA_iPKfiiiPfSD_PS3_PT2_iSC_SC_ ; -- Begin function _Z39paged_attention_ll4mi_QKV_mfma16_kernelIDF16_hLN4vllm18Fp8KVCacheDataTypeE1EhLi16ELi64ELi256ELb1ELi14EL8MFMAType0EEvPKT_PKT0_S8_ifPKiSA_SA_iPKfiiiPfSD_PS3_PT2_iSC_SC_
	.globl	_Z39paged_attention_ll4mi_QKV_mfma16_kernelIDF16_hLN4vllm18Fp8KVCacheDataTypeE1EhLi16ELi64ELi256ELb1ELi14EL8MFMAType0EEvPKT_PKT0_S8_ifPKiSA_SA_iPKfiiiPfSD_PS3_PT2_iSC_SC_
	.p2align	8
	.type	_Z39paged_attention_ll4mi_QKV_mfma16_kernelIDF16_hLN4vllm18Fp8KVCacheDataTypeE1EhLi16ELi64ELi256ELb1ELi14EL8MFMAType0EEvPKT_PKT0_S8_ifPKiSA_SA_iPKfiiiPfSD_PS3_PT2_iSC_SC_,@function
_Z39paged_attention_ll4mi_QKV_mfma16_kernelIDF16_hLN4vllm18Fp8KVCacheDataTypeE1EhLi16ELi64ELi256ELb1ELi14EL8MFMAType0EEvPKT_PKT0_S8_ifPKiSA_SA_iPKfiiiPfSD_PS3_PT2_iSC_SC_: ; @_Z39paged_attention_ll4mi_QKV_mfma16_kernelIDF16_hLN4vllm18Fp8KVCacheDataTypeE1EhLi16ELi64ELi256ELb1ELi14EL8MFMAType0EEvPKT_PKT0_S8_ifPKiSA_SA_iPKfiiiPfSD_PS3_PT2_iSC_SC_
; %bb.0:
	s_load_b64 s[2:3], s[0:1], 0x30
	s_mov_b32 s34, s13
	s_waitcnt lgkmcnt(0)
	s_cmp_lg_u64 s[2:3], 0
	s_cselect_b32 s6, -1, 0
	s_ashr_i32 s35, s13, 31
	s_cmp_eq_u64 s[2:3], 0
	s_cbranch_scc1 .LBB1099_3
; %bb.1:
	s_lshl_b64 s[4:5], s[34:35], 2
	s_delay_alu instid0(SALU_CYCLE_1) | instskip(SKIP_4) | instid1(SALU_CYCLE_1)
	s_add_u32 s4, s2, s4
	s_addc_u32 s5, s3, s5
	s_load_b64 s[4:5], s[4:5], 0x0
	s_waitcnt lgkmcnt(0)
	s_sub_i32 s4, s5, s4
	s_cmp_eq_u32 s4, 1
	s_cselect_b32 s4, -1, 0
	s_delay_alu instid0(SALU_CYCLE_1)
	s_and_not1_b32 vcc_lo, exec_lo, s4
	s_cbranch_vccz .LBB1099_4
.LBB1099_2:
	s_endpgm
.LBB1099_3:
.LBB1099_4:
	s_load_b64 s[8:9], s[0:1], 0x28
	s_lshl_b64 s[4:5], s[34:35], 2
	s_waitcnt lgkmcnt(0)
	s_add_u32 s8, s8, s4
	s_addc_u32 s9, s9, s5
	s_lshl_b32 s16, s14, 8
	s_load_b32 s18, s[8:9], 0x0
	s_waitcnt lgkmcnt(0)
	s_cmp_ge_i32 s16, s18
	s_cbranch_scc1 .LBB1099_2
; %bb.5:
	s_clause 0x1
	s_load_b128 s[8:11], s[0:1], 0x8
	s_load_b64 s[12:13], s[0:1], 0x20
	s_and_not1_b32 vcc_lo, exec_lo, s6
	s_cbranch_vccnz .LBB1099_7
; %bb.6:
	s_add_u32 s2, s2, s4
	s_addc_u32 s3, s3, s5
	s_load_b32 s3, s[2:3], 0x0
	s_branch .LBB1099_8
.LBB1099_7:
	s_mov_b32 s3, s34
.LBB1099_8:
	s_load_b128 s[4:7], s[0:1], 0x48
	v_and_b32_e32 v68, 15, v0
	v_cmp_gt_u32_e32 vcc_lo, 0xe0, v0
	v_lshrrev_b32_e32 v69, 5, v0
	v_and_b32_e32 v70, 31, v0
	v_and_b32_e32 v67, 1, v0
	v_lshlrev_b32_e32 v1, 3, v68
	v_cmp_gt_u32_e64 s2, 8, v68
	v_bfe_u32 v66, v0, 4, 1
	s_mul_i32 s31, s15, 14
	s_delay_alu instid0(VALU_DEP_3) | instskip(NEXT) | instid1(VALU_DEP_3)
	v_lshlrev_b32_e32 v65, 1, v1
	s_and_b32 s17, vcc_lo, s2
	s_waitcnt lgkmcnt(0)
	s_and_saveexec_b32 s7, s17
	s_cbranch_execz .LBB1099_10
; %bb.9:
	s_load_b64 s[20:21], s[0:1], 0x0
	v_lshl_or_b32 v5, v69, 1, v66
	s_mul_hi_i32 s23, s3, s4
	s_mul_i32 s22, s3, s4
	v_lshlrev_b32_e32 v6, 10, v68
	s_lshl_b64 s[22:23], s[22:23], 1
	v_add_lshl_u32 v1, v5, s31, 6
	v_lshlrev_b32_e32 v5, 6, v5
	v_lshlrev_b32_e32 v7, 10, v67
	v_and_b32_e32 v6, 0x3800, v6
	s_delay_alu instid0(VALU_DEP_4) | instskip(NEXT) | instid1(VALU_DEP_2)
	v_ashrrev_i32_e32 v2, 31, v1
	v_or3_b32 v5, v6, v7, v5
	s_delay_alu instid0(VALU_DEP_2) | instskip(SKIP_3) | instid1(VALU_DEP_1)
	v_lshlrev_b64 v[1:2], 1, v[1:2]
	s_waitcnt lgkmcnt(0)
	s_add_u32 s3, s20, s22
	s_addc_u32 s4, s21, s23
	v_add_co_u32 v1, vcc_lo, s3, v1
	s_delay_alu instid0(VALU_DEP_2) | instskip(NEXT) | instid1(VALU_DEP_2)
	v_add_co_ci_u32_e32 v2, vcc_lo, s4, v2, vcc_lo
	v_add_co_u32 v1, vcc_lo, v1, v65
	s_delay_alu instid0(VALU_DEP_2)
	v_add_co_ci_u32_e32 v2, vcc_lo, 0, v2, vcc_lo
	global_load_b128 v[1:4], v[1:2], off
	s_waitcnt vmcnt(0)
	ds_store_b128 v5, v[1:4]
.LBB1099_10:
	s_or_b32 exec_lo, exec_lo, s7
	v_and_b32_e32 v1, 0xef, v0
	s_add_i32 s3, s18, 15
	s_clause 0x1
	s_load_b32 s4, s[0:1], 0x38
	s_load_b32 s33, s[0:1], 0x98
	s_ashr_i32 s7, s3, 31
	v_add_nc_u32_e32 v1, s16, v1
	s_lshr_b32 s7, s7, 28
	s_load_b32 s19, s[0:1], 0x1c
	v_add_nc_u32_e32 v103, -14, v68
	s_add_i32 s3, s3, s7
	v_ashrrev_i32_e32 v2, 31, v1
	v_or_b32_e32 v3, 16, v1
	s_ashr_i32 s3, s3, 4
	v_cmp_gt_i32_e32 vcc_lo, s18, v1
	s_add_i32 s3, s3, -1
	v_lshrrev_b32_e32 v2, 28, v2
	s_waitcnt lgkmcnt(0)
	s_barrier
	buffer_gl0_inv
	s_mul_i32 s15, s15, s6
	v_add_nc_u32_e32 v4, v1, v2
	v_mbcnt_lo_u32_b32 v127, -1, 0
	s_mul_i32 s20, s34, s4
	s_delay_alu instid0(SALU_CYCLE_1) | instskip(NEXT) | instid1(VALU_DEP_2)
	s_ashr_i32 s21, s20, 31
	v_ashrrev_i32_e32 v4, 4, v4
	v_add_nc_u32_e32 v2, v3, v2
	s_lshl_b64 s[20:21], s[20:21], 2
	v_xor_b32_e32 v128, 16, v127
	s_add_u32 s17, s12, s20
	v_cndmask_b32_e32 v1, s3, v4, vcc_lo
	v_ashrrev_i32_e32 v2, 4, v2
	v_cmp_gt_i32_e32 vcc_lo, s18, v3
	s_addc_u32 s13, s13, s21
	s_ashr_i32 s20, s15, 31
	s_add_u32 s4, s8, s15
	s_addc_u32 s12, s9, s20
	v_cndmask_b32_e32 v3, s3, v2, vcc_lo
	v_ashrrev_i32_e32 v2, 31, v1
	s_lshl_b32 s6, s14, 4
	s_delay_alu instid0(SALU_CYCLE_1) | instskip(NEXT) | instid1(VALU_DEP_2)
	s_ashr_i32 s7, s6, 31
	v_ashrrev_i32_e32 v4, 31, v3
	s_delay_alu instid0(VALU_DEP_2) | instskip(SKIP_1) | instid1(SALU_CYCLE_1)
	v_lshlrev_b64 v[1:2], 2, v[1:2]
	s_lshl_b64 s[6:7], s[6:7], 2
	s_add_u32 s6, s17, s6
	s_delay_alu instid0(VALU_DEP_2) | instskip(SKIP_1) | instid1(VALU_DEP_2)
	v_lshlrev_b64 v[3:4], 2, v[3:4]
	s_addc_u32 s7, s13, s7
	v_add_co_u32 v1, vcc_lo, s17, v1
	v_add_co_ci_u32_e32 v2, vcc_lo, s13, v2, vcc_lo
	s_delay_alu instid0(VALU_DEP_3) | instskip(NEXT) | instid1(VALU_DEP_4)
	v_add_co_u32 v3, vcc_lo, s17, v3
	v_add_co_ci_u32_e32 v4, vcc_lo, s13, v4, vcc_lo
	s_clause 0x1
	global_load_b32 v5, v[1:2], off
	global_load_b32 v7, v[3:4], off
	s_or_b32 s8, s16, 32
	v_lshlrev_b32_e32 v1, 4, v0
	s_ashr_i32 s9, s8, 4
	s_cmp_lt_i32 s8, s18
	v_cmp_gt_u32_e32 vcc_lo, 14, v68
	s_cselect_b32 s8, s9, s3
	v_and_b32_e32 v1, 0xf0, v1
	s_ashr_i32 s9, s8, 31
	s_delay_alu instid0(SALU_CYCLE_1)
	s_lshl_b64 s[8:9], s[8:9], 2
	v_cndmask_b32_e32 v103, v103, v68, vcc_lo
	s_add_u32 s8, s17, s8
	s_addc_u32 s9, s13, s9
	s_or_b32 s21, s16, 64
	v_add_co_u32 v1, s4, s4, v1
	s_ashr_i32 s22, s21, 4
	s_cmp_lt_i32 s21, s18
	v_add_co_ci_u32_e64 v2, null, s12, 0, s4
	s_cselect_b32 s22, s22, s3
	v_cmp_gt_i32_e32 vcc_lo, 32, v128
	s_ashr_i32 s23, s22, 31
	v_lshlrev_b32_e32 v115, 6, v103
	s_lshl_b64 s[22:23], s[22:23], 2
	v_cndmask_b32_e32 v136, v127, v128, vcc_lo
	s_add_u32 s22, s17, s22
	s_addc_u32 s23, s13, s23
	s_or_b32 s21, s16, 0x60
	s_delay_alu instid0(SALU_CYCLE_1) | instskip(SKIP_2) | instid1(SALU_CYCLE_1)
	s_ashr_i32 s24, s21, 4
	s_cmp_lt_i32 s21, s18
	s_cselect_b32 s24, s24, s3
	s_ashr_i32 s25, s24, 31
	s_delay_alu instid0(SALU_CYCLE_1) | instskip(NEXT) | instid1(SALU_CYCLE_1)
	s_lshl_b64 s[24:25], s[24:25], 2
	s_add_u32 s24, s17, s24
	s_addc_u32 s25, s13, s25
	s_or_b32 s21, s16, 0x80
	s_delay_alu instid0(SALU_CYCLE_1) | instskip(SKIP_2) | instid1(SALU_CYCLE_1)
	s_ashr_i32 s26, s21, 4
	s_cmp_lt_i32 s21, s18
	s_cselect_b32 s26, s26, s3
	s_ashr_i32 s27, s26, 31
	s_delay_alu instid0(SALU_CYCLE_1) | instskip(NEXT) | instid1(SALU_CYCLE_1)
	s_lshl_b64 s[26:27], s[26:27], 2
	;; [unrolled: 10-line block ×3, first 2 shown]
	s_add_u32 s28, s17, s28
	s_addc_u32 s29, s13, s29
	s_clause 0x5
	s_load_b32 s12, s[6:7], 0x0
	s_load_b32 s4, s[8:9], 0x0
	s_load_b32 s6, s[22:23], 0x0
	s_load_b32 s7, s[24:25], 0x0
	s_load_b32 s8, s[26:27], 0x0
	s_load_b32 s9, s[28:29], 0x0
	s_or_b32 s21, s16, 0xc0
	s_delay_alu instid0(SALU_CYCLE_1) | instskip(SKIP_2) | instid1(SALU_CYCLE_1)
	s_ashr_i32 s22, s21, 4
	s_cmp_lt_i32 s21, s18
	s_cselect_b32 s22, s22, s3
	s_ashr_i32 s23, s22, 31
	s_delay_alu instid0(SALU_CYCLE_1) | instskip(NEXT) | instid1(SALU_CYCLE_1)
	s_lshl_b64 s[22:23], s[22:23], 2
	s_add_u32 s22, s17, s22
	s_addc_u32 s23, s13, s23
	s_or_b32 s21, s16, 0xe0
	s_delay_alu instid0(SALU_CYCLE_1) | instskip(SKIP_2) | instid1(SALU_CYCLE_1)
	s_ashr_i32 s24, s21, 4
	s_cmp_lt_i32 s21, s18
	s_cselect_b32 s24, s24, s3
	s_ashr_i32 s25, s24, 31
	s_delay_alu instid0(SALU_CYCLE_1)
	s_lshl_b64 s[24:25], s[24:25], 2
	s_waitcnt vmcnt(1)
	v_mad_i64_i32 v[3:4], null, v5, s5, v[1:2]
	s_waitcnt vmcnt(0)
	v_mad_i64_i32 v[5:6], null, v7, s5, v[1:2]
	v_lshlrev_b32_e32 v1, 4, v68
	s_clause 0x7
	global_load_b128 v[71:74], v[3:4], off
	global_load_b128 v[75:78], v[3:4], off offset:256
	global_load_b128 v[79:82], v[5:6], off
	global_load_b128 v[83:86], v[5:6], off offset:256
	global_load_b128 v[87:90], v[3:4], off offset:512
	;; [unrolled: 1-line block ×5, first 2 shown]
	v_lshl_or_b32 v1, v69, 8, v1
	s_load_b32 s3, s[22:23], 0x0
	s_add_u32 s22, s17, s24
	s_addc_u32 s23, s13, s25
	s_add_u32 s10, s10, s15
	s_addc_u32 s11, s11, s20
	v_add_co_u32 v1, s10, s10, v1
	s_delay_alu instid0(VALU_DEP_1) | instskip(SKIP_2) | instid1(VALU_DEP_1)
	v_add_co_ci_u32_e64 v2, null, s11, 0, s10
	s_load_b32 s10, s[22:23], 0x0
	s_waitcnt lgkmcnt(0)
	v_mad_i64_i32 v[3:4], null, s12, s5, v[1:2]
	v_mad_i64_i32 v[9:10], null, s7, s5, v[1:2]
	v_mad_i64_i32 v[5:6], null, s4, s5, v[1:2]
	v_mad_i64_i32 v[13:14], null, s8, s5, v[1:2]
	v_mad_i64_i32 v[7:8], null, s6, s5, v[1:2]
	v_mad_i64_i32 v[21:22], null, s9, s5, v[1:2]
	v_mad_i64_i32 v[29:30], null, s3, s5, v[1:2]
	s_clause 0x5
	global_load_b128 v[49:52], v[3:4], off
	global_load_b128 v[53:56], v[3:4], off offset:16
	global_load_b128 v[41:44], v[5:6], off
	global_load_b128 v[45:48], v[5:6], off offset:16
	;; [unrolled: 2-line block ×3, first 2 shown]
	s_mov_b32 s4, 0
	v_mad_i64_i32 v[61:62], null, s10, s5, v[1:2]
	s_clause 0x9
	global_load_b128 v[1:4], v[9:10], off
	global_load_b128 v[5:8], v[9:10], off offset:16
	global_load_b128 v[9:12], v[13:14], off
	global_load_b128 v[13:16], v[13:14], off offset:16
	;; [unrolled: 2-line block ×5, first 2 shown]
	s_mov_b32 s5, s4
	s_mov_b32 s6, s4
	;; [unrolled: 1-line block ×7, first 2 shown]
	v_and_b32_e32 v104, 0xe0, v0
	v_dual_mov_b32 v126, s11 :: v_dual_mov_b32 v125, s10
	v_dual_mov_b32 v124, s9 :: v_dual_mov_b32 v123, s8
	s_delay_alu instid0(VALU_DEP_3)
	v_add_nc_u32_e32 v111, s16, v104
	ds_load_b128 v[103:106], v115
	ds_load_b128 v[107:110], v115 offset:1024
	v_dual_mov_b32 v122, s7 :: v_dual_mov_b32 v121, s6
	v_mov_b32_e32 v120, s5
	v_or_b32_e32 v135, v111, v66
	ds_load_b128 v[111:114], v115 offset:2048
	ds_load_b128 v[115:118], v115 offset:3072
	v_mov_b32_e32 v119, s4
	s_waitcnt vmcnt(0) lgkmcnt(0)
	s_barrier
	v_or_b32_e32 v137, 2, v135
	v_or_b32_e32 v138, 4, v135
	;; [unrolled: 1-line block ×3, first 2 shown]
	v_cmp_gt_i32_e32 vcc_lo, s18, v135
	v_or_b32_e32 v140, 8, v135
	v_cmp_gt_i32_e64 s3, s18, v137
	v_or_b32_e32 v141, 10, v135
	v_cmp_gt_i32_e64 s4, s18, v138
	v_cmp_gt_i32_e64 s5, s18, v139
	v_or_b32_e32 v142, 12, v135
	v_or_b32_e32 v143, 14, v135
	v_cmp_gt_i32_e64 s6, s18, v140
	v_cmp_gt_i32_e64 s7, s18, v141
	v_or_b32_e32 v144, 16, v135
	v_or_b32_e32 v145, 18, v135
	v_cmp_gt_i32_e64 s8, s18, v142
	v_cmp_gt_i32_e64 s9, s18, v143
	buffer_gl0_inv
	v_cmp_gt_i32_e64 s10, s18, v144
	v_cmp_gt_i32_e64 s11, s18, v145
	v_wmma_f32_16x16x16_f16 v[127:134], v[71:78], v[103:110], v[119:126]
	v_wmma_f32_16x16x16_f16 v[119:126], v[79:86], v[103:110], v[119:126]
	v_or_b32_e32 v71, 20, v135
	v_or_b32_e32 v72, 22, v135
	s_delay_alu instid0(VALU_DEP_4)
	v_wmma_f32_16x16x16_f16 v[127:134], v[87:94], v[111:118], v[127:134]
	v_or_b32_e32 v73, 24, v135
	v_wmma_f32_16x16x16_f16 v[119:126], v[95:102], v[111:118], v[119:126]
	v_or_b32_e32 v74, 26, v135
	v_cmp_gt_i32_e64 s12, s18, v71
	v_dual_mul_f32 v83, s19, v128 :: v_dual_mul_f32 v84, s19, v127
	v_dual_mul_f32 v81, s19, v130 :: v_dual_mul_f32 v82, s19, v129
	;; [unrolled: 1-line block ×3, first 2 shown]
	s_delay_alu instid0(VALU_DEP_3) | instskip(NEXT) | instid1(VALU_DEP_4)
	v_cndmask_b32_e32 v84, 0xff7fffff, v84, vcc_lo
	v_cndmask_b32_e64 v83, 0xff7fffff, v83, s3
	v_mul_f32_e32 v80, s19, v131
	v_cndmask_b32_e64 v82, 0xff7fffff, v82, s4
	v_cndmask_b32_e64 v81, 0xff7fffff, v81, s5
	v_dual_mul_f32 v77, s19, v134 :: v_dual_mul_f32 v90, s19, v121
	v_max3_f32 v83, v84, 0xff7fffff, v83
	v_mul_f32_e32 v78, s19, v133
	v_cndmask_b32_e64 v80, 0xff7fffff, v80, s6
	v_cndmask_b32_e64 v79, 0xff7fffff, v79, s7
	v_mul_f32_e32 v91, s19, v120
	v_max3_f32 v81, v83, v82, v81
	v_cndmask_b32_e64 v78, 0xff7fffff, v78, s8
	v_cndmask_b32_e64 v77, 0xff7fffff, v77, s9
	v_mul_f32_e32 v89, s19, v122
	v_cmp_gt_i32_e64 s13, s18, v72
	v_max3_f32 v79, v81, v80, v79
	v_cndmask_b32_e64 v80, 0xff7fffff, v92, s10
	v_cndmask_b32_e64 v81, 0xff7fffff, v91, s11
	v_or_b32_e32 v75, 28, v135
	v_or_b32_e32 v76, 30, v135
	v_max3_f32 v77, v79, v78, v77
	v_dual_mul_f32 v87, s19, v124 :: v_dual_mul_f32 v88, s19, v123
	v_cndmask_b32_e64 v71, 0xff7fffff, v90, s12
	v_cndmask_b32_e64 v72, 0xff7fffff, v89, s13
	s_delay_alu instid0(VALU_DEP_4) | instskip(SKIP_3) | instid1(VALU_DEP_4)
	v_max3_f32 v77, v77, v80, v81
	v_cmp_gt_i32_e64 s15, s18, v73
	v_cmp_gt_i32_e64 s16, s18, v74
	v_dual_mul_f32 v85, s19, v126 :: v_dual_mul_f32 v86, s19, v125
	v_max3_f32 v71, v77, v71, v72
	s_delay_alu instid0(VALU_DEP_4) | instskip(NEXT) | instid1(VALU_DEP_4)
	v_cndmask_b32_e64 v73, 0xff7fffff, v88, s15
	v_cndmask_b32_e64 v74, 0xff7fffff, v87, s16
	v_cmp_gt_i32_e64 s17, s18, v75
	v_cmp_gt_i32_e64 s18, s18, v76
	s_delay_alu instid0(VALU_DEP_3) | instskip(NEXT) | instid1(VALU_DEP_3)
	v_max3_f32 v71, v71, v73, v74
	v_cndmask_b32_e64 v72, 0xff7fffff, v86, s17
	s_delay_alu instid0(VALU_DEP_3) | instskip(SKIP_1) | instid1(VALU_DEP_2)
	v_cndmask_b32_e64 v75, 0xff7fffff, v85, s18
	v_lshlrev_b32_e32 v73, 2, v136
	v_max3_f32 v71, v71, v72, v75
	ds_bpermute_b32 v72, v73, v71
	s_waitcnt lgkmcnt(0)
	v_max_f32_e32 v72, v72, v72
	s_delay_alu instid0(VALU_DEP_1) | instskip(NEXT) | instid1(VALU_DEP_1)
	v_max_f32_e32 v71, v71, v72
	v_fma_f32 v72, s19, v127, -v71
	v_fma_f32 v74, s19, v128, -v71
	v_fma_f32 v75, s19, v129, -v71
	v_fma_f32 v76, s19, v130, -v71
	v_fma_f32 v80, s19, v133, -v71
	v_mul_f32_e32 v72, 0x3fb8aa3b, v72
	s_delay_alu instid0(VALU_DEP_4) | instskip(NEXT) | instid1(VALU_DEP_4)
	v_dual_mul_f32 v74, 0x3fb8aa3b, v74 :: v_dual_mul_f32 v75, 0x3fb8aa3b, v75
	v_mul_f32_e32 v76, 0x3fb8aa3b, v76
	s_delay_alu instid0(VALU_DEP_4) | instskip(NEXT) | instid1(VALU_DEP_4)
	v_mul_f32_e32 v82, 0x3fb8aa3b, v80
	v_exp_f32_e32 v72, v72
	s_delay_alu instid0(VALU_DEP_3)
	v_exp_f32_e32 v74, v74
	v_exp_f32_e32 v75, v75
	;; [unrolled: 1-line block ×3, first 2 shown]
	v_fma_f32 v77, s19, v131, -v71
	v_exp_f32_e32 v84, v82
	v_cndmask_b32_e32 v79, 0, v72, vcc_lo
	v_cndmask_b32_e64 v78, 0, v74, s3
	s_delay_alu instid0(TRANS32_DEP_3) | instskip(SKIP_1) | instid1(TRANS32_DEP_2)
	v_cndmask_b32_e64 v81, 0, v75, s4
	v_fma_f32 v72, s19, v132, -v71
	v_cndmask_b32_e64 v80, 0, v76, s5
	v_add_f32_e32 v74, 0, v79
	s_delay_alu instid0(TRANS32_DEP_1) | instskip(SKIP_2) | instid1(VALU_DEP_3)
	v_cndmask_b32_e64 v85, 0, v84, s8
	s_mov_b32 s3, exec_lo
	v_mul_f32_e32 v72, 0x3fb8aa3b, v72
	v_add_f32_e32 v74, v74, v78
	s_delay_alu instid0(VALU_DEP_2) | instskip(NEXT) | instid1(VALU_DEP_1)
	v_exp_f32_e32 v72, v72
	v_add_f32_e32 v74, v74, v81
	s_delay_alu instid0(VALU_DEP_1) | instskip(NEXT) | instid1(VALU_DEP_1)
	v_dual_mul_f32 v77, 0x3fb8aa3b, v77 :: v_dual_add_f32 v74, v74, v80
	v_exp_f32_e32 v77, v77
	s_waitcnt_depctr 0xfff
	v_cndmask_b32_e64 v82, 0, v72, s7
	v_cndmask_b32_e64 v83, 0, v77, s6
	s_delay_alu instid0(VALU_DEP_1) | instskip(SKIP_4) | instid1(VALU_DEP_4)
	v_add_f32_e32 v72, v74, v83
	v_fma_f32 v75, s19, v134, -v71
	v_fma_f32 v76, s19, v119, -v71
	v_fma_f32 v77, s19, v120, -v71
	v_fma_f32 v74, s19, v121, -v71
	v_dual_add_f32 v72, v72, v82 :: v_dual_mul_f32 v75, 0x3fb8aa3b, v75
	s_delay_alu instid0(VALU_DEP_3) | instskip(NEXT) | instid1(VALU_DEP_3)
	v_dual_mul_f32 v76, 0x3fb8aa3b, v76 :: v_dual_mul_f32 v77, 0x3fb8aa3b, v77
	v_mul_f32_e32 v74, 0x3fb8aa3b, v74
	v_fma_f32 v86, s19, v122, -v71
	s_delay_alu instid0(VALU_DEP_4) | instskip(NEXT) | instid1(VALU_DEP_3)
	v_exp_f32_e32 v75, v75
	v_exp_f32_e32 v76, v76
	;; [unrolled: 1-line block ×4, first 2 shown]
	v_mul_f32_e32 v86, 0x3fb8aa3b, v86
	s_delay_alu instid0(VALU_DEP_1)
	v_exp_f32_e32 v88, v86
	v_cndmask_b32_e64 v84, 0, v75, s9
	v_fma_f32 v75, s19, v123, -v71
	v_add_f32_e32 v72, v72, v85
	v_cndmask_b32_e64 v87, 0, v76, s10
	v_fma_f32 v76, s19, v124, -v71
	s_delay_alu instid0(TRANS32_DEP_3) | instskip(NEXT) | instid1(VALU_DEP_4)
	v_cndmask_b32_e64 v86, 0, v77, s11
	v_dual_mul_f32 v75, 0x3fb8aa3b, v75 :: v_dual_add_f32 v72, v72, v84
	v_fma_f32 v77, s19, v125, -v71
	s_delay_alu instid0(VALU_DEP_4) | instskip(SKIP_1) | instid1(VALU_DEP_4)
	v_mul_f32_e32 v76, 0x3fb8aa3b, v76
	v_cndmask_b32_e64 v89, 0, v74, s12
	v_exp_f32_e32 v75, v75
	v_add_f32_e32 v72, v72, v87
	v_mul_f32_e32 v74, 0x3fb8aa3b, v77
	v_exp_f32_e32 v76, v76
	v_cndmask_b32_e64 v88, 0, v88, s13
	v_fma_f32 v77, s19, v126, -v71
	v_add_f32_e32 v72, v72, v86
	v_exp_f32_e32 v74, v74
	s_delay_alu instid0(TRANS32_DEP_3) | instskip(NEXT) | instid1(VALU_DEP_2)
	v_cndmask_b32_e64 v91, 0, v75, s15
	v_add_f32_e32 v72, v72, v89
	v_mul_f32_e32 v75, 0x3fb8aa3b, v77
	s_delay_alu instid0(TRANS32_DEP_2) | instskip(NEXT) | instid1(VALU_DEP_3)
	v_cndmask_b32_e64 v90, 0, v76, s16
	v_add_f32_e32 v72, v72, v88
	s_delay_alu instid0(VALU_DEP_3) | instskip(NEXT) | instid1(TRANS32_DEP_2)
	v_exp_f32_e32 v75, v75
	v_cndmask_b32_e64 v93, 0, v74, s17
	s_delay_alu instid0(VALU_DEP_2) | instskip(NEXT) | instid1(VALU_DEP_1)
	v_add_f32_e32 v72, v72, v91
	v_add_f32_e32 v72, v72, v90
	s_waitcnt_depctr 0xfff
	v_cndmask_b32_e64 v92, 0, v75, s18
	v_add_f32_e32 v72, v72, v93
	s_delay_alu instid0(VALU_DEP_1)
	v_add_f32_e32 v72, v72, v92
	ds_bpermute_b32 v73, v73, v72
	v_cmpx_gt_u32_e32 16, v70
	s_cbranch_execz .LBB1099_12
; %bb.11:
	v_mul_u32_u24_e32 v70, 0x44, v69
	s_waitcnt lgkmcnt(0)
	v_add_f32_e32 v72, v72, v73
	s_delay_alu instid0(VALU_DEP_2) | instskip(NEXT) | instid1(VALU_DEP_1)
	v_lshl_add_u32 v70, v68, 2, v70
	v_add_nc_u32_e32 v70, 0x4000, v70
	ds_store_2addr_b32 v70, v71, v72 offset1:136
.LBB1099_12:
	s_or_b32 exec_lo, exec_lo, s3
	v_lshlrev_b32_e32 v70, 2, v68
	s_load_b32 s35, s[0:1], 0x94
	s_waitcnt lgkmcnt(0)
	s_barrier
	buffer_gl0_inv
	v_add_nc_u32_e32 v98, 0x4000, v70
	v_cmp_eq_u32_e32 vcc_lo, 1, v69
	v_cmp_eq_u32_e64 s3, 2, v69
	v_cmp_eq_u32_e64 s4, 3, v69
	;; [unrolled: 1-line block ×3, first 2 shown]
	ds_load_2addr_b32 v[70:71], v98 offset1:17
	ds_load_2addr_b32 v[72:73], v98 offset0:34 offset1:51
	ds_load_2addr_b32 v[74:75], v98 offset0:68 offset1:85
	;; [unrolled: 1-line block ×3, first 2 shown]
	v_cmp_eq_u32_e64 s6, 5, v69
	v_cmp_eq_u32_e64 s7, 7, v69
	s_waitcnt lgkmcnt(3)
	v_max3_f32 v76, v70, 0xff7fffff, v71
	s_waitcnt lgkmcnt(2)
	s_delay_alu instid0(VALU_DEP_1) | instskip(SKIP_1) | instid1(VALU_DEP_1)
	v_max3_f32 v76, v76, v72, v73
	s_waitcnt lgkmcnt(1)
	v_max3_f32 v76, v76, v74, v75
	s_waitcnt lgkmcnt(0)
	s_delay_alu instid0(VALU_DEP_1) | instskip(NEXT) | instid1(VALU_DEP_1)
	v_max3_f32 v76, v76, v94, v95
	v_sub_f32_e32 v77, v71, v76
	ds_load_2addr_b32 v[96:97], v98 offset0:136 offset1:153
	v_sub_f32_e32 v74, v74, v76
	v_sub_f32_e32 v70, v70, v76
	;; [unrolled: 1-line block ×3, first 2 shown]
	v_dual_sub_f32 v72, v72, v76 :: v_dual_mul_f32 v77, 0x3fb8aa3b, v77
	s_delay_alu instid0(VALU_DEP_4) | instskip(NEXT) | instid1(VALU_DEP_4)
	v_mul_f32_e32 v103, 0x3fb8aa3b, v74
	v_mul_f32_e32 v99, 0x3fb8aa3b, v70
	ds_load_2addr_b32 v[70:71], v98 offset0:170 offset1:187
	v_dual_mul_f32 v101, 0x3fb8aa3b, v72 :: v_dual_mul_f32 v94, 0x3fb8aa3b, v94
	v_exp_f32_e32 v102, v77
	v_exp_f32_e32 v99, v99
	s_delay_alu instid0(VALU_DEP_1) | instskip(NEXT) | instid1(VALU_DEP_1)
	v_exp_f32_e32 v101, v101
	v_exp_f32_e32 v94, v94
	s_waitcnt lgkmcnt(1)
	s_delay_alu instid0(TRANS32_DEP_3)
	v_fma_f32 v77, v99, v96, 0
	v_sub_f32_e32 v100, v73, v76
	ds_load_2addr_b32 v[72:73], v98 offset0:204 offset1:221
	v_fmac_f32_e32 v77, v102, v97
	v_exp_f32_e32 v97, v103
	s_waitcnt lgkmcnt(1)
	s_delay_alu instid0(VALU_DEP_1)
	v_dual_fmac_f32 v77, v101, v70 :: v_dual_sub_f32 v96, v75, v76
	ds_load_2addr_b32 v[74:75], v98 offset0:238 offset1:255
	v_sub_f32_e32 v70, v95, v76
	s_waitcnt lgkmcnt(0)
	s_barrier
	v_mul_f32_e32 v96, 0x3fb8aa3b, v96
	buffer_gl0_inv
	v_exp_f32_e32 v95, v96
	v_mul_f32_e32 v100, 0x3fb8aa3b, v100
	s_delay_alu instid0(VALU_DEP_1) | instskip(SKIP_3) | instid1(VALU_DEP_2)
	v_exp_f32_e32 v100, v100
	s_waitcnt_depctr 0xfff
	v_dual_fmac_f32 v77, v100, v71 :: v_dual_mul_f32 v70, 0x3fb8aa3b, v70
	v_cndmask_b32_e32 v71, v99, v102, vcc_lo
	v_fmac_f32_e32 v77, v97, v72
	s_delay_alu instid0(VALU_DEP_3) | instskip(NEXT) | instid1(VALU_DEP_1)
	v_exp_f32_e32 v96, v70
	v_fmac_f32_e32 v77, v95, v73
	s_delay_alu instid0(VALU_DEP_1) | instskip(SKIP_2) | instid1(VALU_DEP_1)
	v_fmac_f32_e32 v77, v94, v74
	s_waitcnt_depctr 0xfff
	v_fmac_f32_e32 v77, v96, v75
	v_add_f32_e32 v74, 0x358637bd, v77
	s_delay_alu instid0(VALU_DEP_1) | instskip(SKIP_1) | instid1(VALU_DEP_2)
	v_div_scale_f32 v98, null, v74, v74, 1.0
	v_div_scale_f32 v99, vcc_lo, 1.0, v74, 1.0
	v_rcp_f32_e32 v103, v98
	s_waitcnt_depctr 0xfff
	v_fma_f32 v70, -v98, v103, 1.0
	s_delay_alu instid0(VALU_DEP_1) | instskip(SKIP_2) | instid1(VALU_DEP_2)
	v_fmac_f32_e32 v103, v70, v103
	v_cndmask_b32_e64 v70, v71, v101, s3
	v_cmp_eq_u32_e64 s3, 6, v69
	v_cndmask_b32_e64 v71, v70, v100, s4
	s_delay_alu instid0(VALU_DEP_4) | instskip(NEXT) | instid1(VALU_DEP_2)
	v_dual_mul_f32 v101, v99, v103 :: v_dual_lshlrev_b32 v70, 2, v66
	v_cndmask_b32_e64 v71, v71, v97, s5
	s_delay_alu instid0(VALU_DEP_2) | instskip(NEXT) | instid1(VALU_DEP_3)
	v_or_b32_e32 v72, 1, v70
	v_fma_f32 v100, -v98, v101, v99
	v_cmp_eq_u32_e64 s4, 1, v70
	v_cmp_eq_u32_e64 s5, 2, v70
	v_cndmask_b32_e64 v95, v71, v95, s6
	v_or_b32_e32 v71, 3, v70
	v_fmac_f32_e32 v101, v100, v103
	v_cmp_eq_u32_e64 s9, 1, v72
	v_cmp_eq_u32_e64 s12, 2, v72
	v_cndmask_b32_e64 v94, v95, v94, s3
	v_cmp_eq_u32_e64 s11, 1, v71
	v_fma_f32 v97, -v98, v101, v99
	v_cmp_eq_u32_e64 s16, 2, v71
	v_cmp_eq_u32_e64 s13, 3, v72
	v_cndmask_b32_e64 v94, v94, v96, s7
	v_cmp_eq_u32_e64 s18, 3, v71
	v_div_fmas_f32 v95, v97, v103, v101
	v_cmp_eq_u32_e32 vcc_lo, 3, v70
	v_cmp_eq_u32_e64 s3, 4, v70
	v_cmp_eq_u32_e64 s19, 4, v72
	;; [unrolled: 1-line block ×3, first 2 shown]
	v_div_fixup_f32 v95, v95, v74, 1.0
	v_lshlrev_b32_e32 v73, 6, v68
	v_cmp_eq_u32_e64 s6, 5, v70
	v_cmp_eq_u32_e64 s20, 5, v72
	;; [unrolled: 1-line block ×3, first 2 shown]
	v_mul_f32_e32 v102, v94, v95
	v_lshl_or_b32 v75, v69, 11, v73
	v_or_b32_e32 v69, 2, v70
	v_cmp_eq_u32_e64 s25, 6, v72
	v_cmp_eq_u32_e64 s27, 6, v71
	v_fma_mixlo_f16 v94, v102, v79, 0
	v_fma_mixlo_f16 v95, v102, v81, 0
	;; [unrolled: 1-line block ×8, first 2 shown]
	v_lshl_or_b32 v74, v66, 4, v75
	v_fma_mixhi_f16 v94, v102, v78, 0
	v_fma_mixhi_f16 v95, v102, v80, 0
	;; [unrolled: 1-line block ×8, first 2 shown]
	ds_store_b128 v74, v[94:97]
	ds_store_b128 v74, v[98:101] offset:1024
	s_waitcnt lgkmcnt(0)
	s_barrier
	buffer_gl0_inv
	ds_load_b128 v[78:81], v75
	ds_load_b128 v[82:85], v75 offset:16
	ds_load_b128 v[86:89], v75 offset:1024
	;; [unrolled: 1-line block ×3, first 2 shown]
	v_cmp_eq_u32_e64 s10, 1, v69
	v_cmp_eq_u32_e64 s15, 2, v69
	;; [unrolled: 1-line block ×11, first 2 shown]
	s_waitcnt lgkmcnt(3)
	v_lshrrev_b32_e32 v94, 16, v78
	s_waitcnt lgkmcnt(2)
	v_lshrrev_b32_e32 v98, 16, v82
	;; [unrolled: 2-line block ×4, first 2 shown]
	v_lshrrev_b32_e32 v95, 16, v79
	v_cndmask_b32_e64 v110, v78, v94, s4
	v_cndmask_b32_e64 v111, v82, v98, s4
	;; [unrolled: 1-line block ×8, first 2 shown]
	v_lshrrev_b32_e32 v99, 16, v83
	v_cndmask_b32_e64 v94, v86, v102, s4
	v_cndmask_b32_e64 v98, v90, v106, s4
	;; [unrolled: 1-line block ×15, first 2 shown]
	v_lshrrev_b32_e32 v103, 16, v87
	v_lshrrev_b32_e32 v107, 16, v91
	v_cndmask_b32_e64 v113, v115, v83, s15
	v_cndmask_b32_e64 v82, v94, v87, s5
	v_cndmask_b32_e64 v83, v98, v91, s5
	v_cndmask_b32_e64 v94, v116, v87, s12
	v_cndmask_b32_e64 v98, v118, v87, s15
	v_cndmask_b32_e64 v86, v86, v87, s16
	v_cndmask_b32_e64 v87, v90, v91, s16
	v_cndmask_b32_e32 v90, v102, v95, vcc_lo
	v_cndmask_b32_e32 v102, v106, v99, vcc_lo
	v_cndmask_b32_e64 v106, v110, v95, s13
	v_cndmask_b32_e64 v110, v111, v99, s13
	;; [unrolled: 1-line block ×4, first 2 shown]
	v_lshrrev_b32_e32 v96, 16, v80
	v_lshrrev_b32_e32 v100, 16, v84
	v_cndmask_b32_e64 v111, v112, v95, s17
	v_cndmask_b32_e64 v112, v113, v99, s17
	v_cndmask_b32_e32 v82, v82, v103, vcc_lo
	v_cndmask_b32_e32 v83, v83, v107, vcc_lo
	v_cndmask_b32_e64 v94, v94, v103, s13
	v_cndmask_b32_e64 v90, v90, v80, s3
	v_cndmask_b32_e64 v95, v102, v84, s3
	v_cndmask_b32_e64 v99, v106, v80, s19
	v_cndmask_b32_e64 v102, v110, v84, s19
	v_cndmask_b32_e64 v78, v78, v80, s22
	v_cndmask_b32_e64 v79, v79, v84, s22
	v_lshrrev_b32_e32 v104, 16, v88
	v_cndmask_b32_e64 v106, v111, v80, s21
	v_cndmask_b32_e64 v110, v112, v84, s21
	;; [unrolled: 1-line block ×11, first 2 shown]
	v_lshrrev_b32_e32 v97, 16, v81
	v_lshrrev_b32_e32 v101, 16, v85
	v_cndmask_b32_e64 v99, v106, v96, s23
	v_cndmask_b32_e64 v102, v110, v100, s23
	;; [unrolled: 1-line block ×7, first 2 shown]
	v_lshrrev_b32_e32 v105, 16, v89
	v_cndmask_b32_e64 v80, v80, v104, s6
	v_cndmask_b32_e64 v84, v84, v81, s7
	;; [unrolled: 1-line block ×16, first 2 shown]
	v_perm_b32 v81, v79, v78, 0x5040100
	v_perm_b32 v79, v95, v85, 0x5040100
	v_cndmask_b32_e64 v78, v119, v91, s15
	v_cndmask_b32_e64 v85, v117, v91, s12
	;; [unrolled: 1-line block ×3, first 2 shown]
	v_perm_b32 v80, v94, v90, 0x5040100
	v_cndmask_b32_e64 v90, v98, v103, s17
	v_cndmask_b32_e64 v86, v86, v103, s18
	;; [unrolled: 1-line block ×5, first 2 shown]
	v_lshrrev_b32_e32 v108, 16, v92
	v_cndmask_b32_e64 v90, v90, v88, s21
	v_cndmask_b32_e64 v86, v86, v88, s22
	;; [unrolled: 1-line block ×11, first 2 shown]
	v_lshrrev_b32_e32 v109, 16, v93
	v_cndmask_b32_e64 v82, v82, v93, s7
	v_cndmask_b32_e64 v88, v88, v89, s26
	;; [unrolled: 1-line block ×12, first 2 shown]
	v_perm_b32 v78, v84, v83, 0x5040100
	v_perm_b32 v85, v87, v86, 0x5040100
	;; [unrolled: 1-line block ×5, first 2 shown]
	s_mul_i32 s8, s33, 14
	s_mov_b32 s3, exec_lo
	ds_store_b128 v74, v[78:81]
	ds_store_b128 v74, v[82:85] offset:1024
	v_cmpx_gt_u32_e32 14, v0
	s_cbranch_execz .LBB1099_14
; %bb.13:
	s_mul_i32 s4, s8, s34
	s_delay_alu instid0(SALU_CYCLE_1) | instskip(SKIP_1) | instid1(VALU_DEP_1)
	v_add3_u32 v68, s4, s31, v68
	s_load_b128 s[4:7], s[0:1], 0x58
	v_mad_u64_u32 v[78:79], null, v68, s35, s[14:15]
	s_delay_alu instid0(VALU_DEP_1) | instskip(NEXT) | instid1(VALU_DEP_1)
	v_ashrrev_i32_e32 v79, 31, v78
	v_lshlrev_b64 v[78:79], 2, v[78:79]
	s_waitcnt lgkmcnt(0)
	s_delay_alu instid0(VALU_DEP_1) | instskip(NEXT) | instid1(VALU_DEP_2)
	v_add_co_u32 v80, vcc_lo, s6, v78
	v_add_co_ci_u32_e32 v81, vcc_lo, s7, v79, vcc_lo
	v_add_co_u32 v78, vcc_lo, s4, v78
	v_add_co_ci_u32_e32 v79, vcc_lo, s5, v79, vcc_lo
	global_store_b32 v[80:81], v76, off
	global_store_b32 v[78:79], v77, off
.LBB1099_14:
	s_or_b32 exec_lo, exec_lo, s3
	s_waitcnt lgkmcnt(0)
	s_waitcnt_vscnt null, 0x0
	s_barrier
	buffer_gl0_inv
	ds_load_b128 v[84:87], v73
	ds_load_b128 v[88:91], v73 offset:16
	ds_load_b128 v[96:99], v73 offset:2064
	;; [unrolled: 1-line block ×5, first 2 shown]
	v_cmp_eq_u32_e32 vcc_lo, 1, v70
	v_mov_b32_e32 v76, 0
	ds_load_b128 v[112:115], v73 offset:6160
	ds_load_b128 v[108:111], v73 offset:6144
	;; [unrolled: 1-line block ×4, first 2 shown]
	v_cmp_eq_u32_e64 s4, 1, v69
	v_cmp_eq_u32_e64 s3, 1, v72
	v_cmp_eq_u32_e64 s5, 2, v72
	v_mov_b32_e32 v77, v76
	v_mov_b32_e32 v78, v76
	;; [unrolled: 1-line block ×7, first 2 shown]
	v_cmp_eq_u32_e64 s6, 3, v72
	v_cmp_eq_u32_e64 s7, 7, v72
	s_waitcnt lgkmcnt(8)
	s_delay_alu instid0(VALU_DEP_3)
	v_wmma_f32_16x16x16_f16 v[76:83], v[49:56], v[84:91], v[76:83]
	ds_load_b128 v[53:56], v73 offset:10256
	ds_load_b128 v[49:52], v73 offset:10240
	s_waitcnt lgkmcnt(8)
	v_wmma_f32_16x16x16_f16 v[76:83], v[41:48], v[92:99], v[76:83]
	ds_load_b128 v[45:48], v73 offset:12304
	ds_load_b128 v[41:44], v73 offset:12288
	s_waitcnt lgkmcnt(8)
	;; [unrolled: 4-line block ×3, first 2 shown]
	s_barrier
	buffer_gl0_inv
	v_wmma_f32_16x16x16_f16 v[76:83], v[1:8], v[108:115], v[76:83]
	s_delay_alu instid0(VALU_DEP_1) | instskip(NEXT) | instid1(VALU_DEP_1)
	v_wmma_f32_16x16x16_f16 v[76:83], v[9:16], v[116:123], v[76:83]
	v_wmma_f32_16x16x16_f16 v[76:83], v[17:24], v[49:56], v[76:83]
	s_delay_alu instid0(VALU_DEP_1) | instskip(NEXT) | instid1(VALU_DEP_1)
	v_wmma_f32_16x16x16_f16 v[76:83], v[25:32], v[41:48], v[76:83]
	v_wmma_f32_16x16x16_f16 v[76:83], v[57:64], v[33:40], v[76:83]
	s_delay_alu instid0(VALU_DEP_1) | instskip(NEXT) | instid1(VALU_DEP_2)
	v_cvt_f16_f32_e32 v1, v76
	v_cvt_f16_f32_e32 v2, v77
	s_delay_alu instid0(VALU_DEP_3) | instskip(NEXT) | instid1(VALU_DEP_4)
	v_cvt_f16_f32_e32 v3, v78
	v_cvt_f16_f32_e32 v4, v79
	;; [unrolled: 1-line block ×6, first 2 shown]
	v_pack_b32_f16 v1, v1, v2
	v_pack_b32_f16 v2, v3, v4
	;; [unrolled: 1-line block ×3, first 2 shown]
	s_delay_alu instid0(VALU_DEP_4)
	v_pack_b32_f16 v4, v7, v8
	ds_store_b128 v74, v[1:4]
	s_waitcnt lgkmcnt(0)
	s_barrier
	buffer_gl0_inv
	ds_load_b128 v[1:4], v75
	ds_load_b128 v[5:8], v75 offset:16
	s_waitcnt lgkmcnt(1)
	v_lshrrev_b32_e32 v9, 16, v1
	s_waitcnt lgkmcnt(0)
	v_lshrrev_b32_e32 v13, 16, v5
	v_lshrrev_b32_e32 v10, 16, v2
	;; [unrolled: 1-line block ×4, first 2 shown]
	v_cndmask_b32_e32 v17, v1, v9, vcc_lo
	v_cndmask_b32_e32 v18, v5, v13, vcc_lo
	v_cndmask_b32_e64 v21, v1, v9, s4
	v_cmp_eq_u32_e32 vcc_lo, 1, v71
	v_cndmask_b32_e64 v22, v5, v13, s4
	v_cmp_eq_u32_e64 s4, 2, v70
	v_cndmask_b32_e64 v19, v1, v9, s3
	v_cndmask_b32_e64 v20, v5, v13, s3
	v_cndmask_b32_e32 v1, v1, v9, vcc_lo
	v_cmp_eq_u32_e64 s3, 2, v71
	v_cndmask_b32_e32 v5, v5, v13, vcc_lo
	v_cndmask_b32_e64 v9, v17, v2, s4
	v_cmp_eq_u32_e32 vcc_lo, 3, v70
	v_cndmask_b32_e64 v13, v18, v6, s4
	v_cmp_eq_u32_e64 s4, 2, v69
	v_cndmask_b32_e64 v17, v19, v2, s5
	v_cndmask_b32_e64 v18, v20, v6, s5
	v_cmp_eq_u32_e64 s5, 3, v69
	v_cndmask_b32_e64 v1, v1, v2, s3
	v_cndmask_b32_e64 v19, v21, v2, s4
	;; [unrolled: 1-line block ×4, first 2 shown]
	v_cndmask_b32_e32 v5, v9, v10, vcc_lo
	v_cndmask_b32_e32 v6, v13, v14, vcc_lo
	v_cmp_eq_u32_e32 vcc_lo, 3, v71
	v_cndmask_b32_e64 v9, v17, v10, s6
	v_cndmask_b32_e64 v13, v18, v14, s6
	;; [unrolled: 1-line block ×3, first 2 shown]
	v_cmp_eq_u32_e64 s4, 4, v70
	v_cndmask_b32_e32 v1, v1, v10, vcc_lo
	v_cndmask_b32_e32 v2, v2, v14, vcc_lo
	v_cmp_eq_u32_e32 vcc_lo, 4, v72
	v_lshrrev_b32_e32 v15, 16, v7
	v_lshrrev_b32_e32 v16, 16, v8
	v_cndmask_b32_e64 v17, v19, v10, s5
	v_cmp_eq_u32_e64 s3, 4, v71
	v_cndmask_b32_e64 v5, v5, v3, s4
	v_cndmask_b32_e64 v6, v6, v7, s4
	v_cndmask_b32_e32 v9, v9, v3, vcc_lo
	v_cmp_eq_u32_e64 s4, 5, v72
	v_cndmask_b32_e32 v10, v13, v7, vcc_lo
	v_cmp_eq_u32_e32 vcc_lo, 4, v69
	v_cmp_eq_u32_e64 s5, 5, v70
	v_cndmask_b32_e64 v2, v2, v7, s3
	v_cndmask_b32_e64 v9, v9, v11, s4
	;; [unrolled: 1-line block ×3, first 2 shown]
	v_cndmask_b32_e32 v13, v17, v3, vcc_lo
	v_cmp_eq_u32_e64 s4, 5, v69
	v_cndmask_b32_e32 v14, v18, v7, vcc_lo
	v_cndmask_b32_e64 v1, v1, v3, s3
	v_cmp_eq_u32_e32 vcc_lo, 5, v71
	v_lshrrev_b32_e32 v12, 16, v4
	v_cndmask_b32_e64 v13, v13, v11, s4
	v_cndmask_b32_e64 v3, v14, v15, s4
	v_cmp_eq_u32_e64 s4, 6, v71
	v_cndmask_b32_e32 v1, v1, v11, vcc_lo
	v_cndmask_b32_e64 v5, v5, v11, s5
	v_cmp_eq_u32_e64 s6, 6, v70
	v_cndmask_b32_e64 v6, v6, v15, s5
	v_cmp_eq_u32_e64 s5, 6, v72
	v_cmp_eq_u32_e64 s3, 6, v69
	v_cndmask_b32_e64 v1, v1, v4, s4
	v_cndmask_b32_e32 v2, v2, v15, vcc_lo
	v_cmp_eq_u32_e32 vcc_lo, 7, v71
	v_cndmask_b32_e64 v5, v5, v4, s6
	v_cndmask_b32_e64 v9, v9, v4, s5
	v_cndmask_b32_e64 v6, v6, v8, s6
	v_cmp_eq_u32_e64 s6, 7, v70
	v_cndmask_b32_e32 v1, v1, v12, vcc_lo
	v_cndmask_b32_e64 v7, v13, v4, s3
	v_cndmask_b32_e64 v3, v3, v8, s3
	;; [unrolled: 1-line block ×3, first 2 shown]
	v_cmp_eq_u32_e64 s3, 7, v69
	v_cndmask_b32_e64 v4, v10, v8, s5
	v_cndmask_b32_e64 v5, v5, v12, s6
	;; [unrolled: 1-line block ×3, first 2 shown]
	v_cndmask_b32_e32 v2, v2, v16, vcc_lo
	v_cndmask_b32_e64 v7, v7, v12, s3
	v_cndmask_b32_e64 v3, v3, v16, s3
	;; [unrolled: 1-line block ×4, first 2 shown]
	v_cmp_gt_u32_e32 vcc_lo, 32, v0
	v_perm_b32 v4, v2, v1, 0x5040100
	v_perm_b32 v3, v3, v7, 0x5040100
	;; [unrolled: 1-line block ×4, first 2 shown]
	s_and_b32 s2, vcc_lo, s2
	ds_store_b128 v74, v[1:4]
	s_waitcnt lgkmcnt(0)
	s_barrier
	buffer_gl0_inv
	s_and_saveexec_b32 s3, s2
	s_cbranch_execz .LBB1099_2
; %bb.15:
	s_load_b64 s[0:1], s[0:1], 0x68
	v_lshlrev_b32_e32 v0, 10, v0
	s_lshl_b32 s4, s35, 6
	v_or_b32_e32 v3, s31, v66
	s_mul_i32 s2, s4, s34
	v_lshlrev_b32_e32 v1, 4, v67
	v_lshlrev_b32_e32 v2, 6, v66
	v_and_b32_e32 v0, 0x3800, v0
	s_mul_i32 s2, s2, s8
	v_mul_lo_u32 v8, v3, s4
	s_ashr_i32 s3, s2, 31
	s_delay_alu instid0(SALU_CYCLE_1)
	s_lshl_b64 s[2:3], s[2:3], 1
	v_or3_b32 v16, v0, v1, v2
	ds_load_b128 v[0:3], v16
	ds_load_b128 v[4:7], v16 offset:128
	v_ashrrev_i32_e32 v9, 31, v8
	s_waitcnt lgkmcnt(0)
	s_add_u32 s2, s0, s2
	s_addc_u32 s3, s1, s3
	s_lshl_b32 s0, s14, 6
	s_delay_alu instid0(SALU_CYCLE_1) | instskip(SKIP_2) | instid1(SALU_CYCLE_1)
	s_ashr_i32 s1, s0, 31
	v_lshlrev_b64 v[9:10], 1, v[8:9]
	s_lshl_b64 s[0:1], s[0:1], 1
	s_add_u32 s0, s2, s0
	s_addc_u32 s1, s3, s1
	s_lshl_b32 s2, s35, 7
	v_add_co_u32 v30, s0, s0, v65
	v_add_nc_u32_e32 v11, s2, v8
	v_add_co_ci_u32_e64 v31, null, s1, 0, s0
	s_delay_alu instid0(VALU_DEP_3) | instskip(NEXT) | instid1(VALU_DEP_3)
	v_add_co_u32 v9, vcc_lo, v30, v9
	v_add_nc_u32_e32 v8, s2, v11
	s_delay_alu instid0(VALU_DEP_3) | instskip(SKIP_1) | instid1(VALU_DEP_3)
	v_add_co_ci_u32_e32 v10, vcc_lo, v31, v10, vcc_lo
	v_ashrrev_i32_e32 v12, 31, v11
	v_add_nc_u32_e32 v13, s2, v8
	global_store_b128 v[9:10], v[0:3], off
	v_ashrrev_i32_e32 v9, 31, v8
	v_lshlrev_b64 v[11:12], 1, v[11:12]
	v_ashrrev_i32_e32 v14, 31, v13
	v_add_nc_u32_e32 v10, s2, v13
	s_delay_alu instid0(VALU_DEP_4) | instskip(NEXT) | instid1(VALU_DEP_4)
	v_lshlrev_b64 v[2:3], 1, v[8:9]
	v_add_co_u32 v0, vcc_lo, v30, v11
	s_delay_alu instid0(VALU_DEP_4)
	v_lshlrev_b64 v[8:9], 1, v[13:14]
	v_add_co_ci_u32_e32 v1, vcc_lo, v31, v12, vcc_lo
	v_ashrrev_i32_e32 v11, 31, v10
	v_add_co_u32 v22, vcc_lo, v30, v2
	v_add_nc_u32_e32 v20, s2, v10
	v_add_co_ci_u32_e32 v23, vcc_lo, v31, v3, vcc_lo
	v_add_co_u32 v24, vcc_lo, v30, v8
	global_store_b128 v[0:1], v[4:7], off
	v_add_co_ci_u32_e32 v25, vcc_lo, v31, v9, vcc_lo
	ds_load_b128 v[0:3], v16 offset:256
	ds_load_b128 v[4:7], v16 offset:384
	v_lshlrev_b64 v[26:27], 1, v[10:11]
	ds_load_b128 v[8:11], v16 offset:512
	ds_load_b128 v[12:15], v16 offset:640
	;; [unrolled: 1-line block ×3, first 2 shown]
	v_add_nc_u32_e32 v28, s2, v20
	v_ashrrev_i32_e32 v21, 31, v20
	v_add_co_u32 v26, vcc_lo, v30, v26
	s_delay_alu instid0(VALU_DEP_3) | instskip(NEXT) | instid1(VALU_DEP_3)
	v_ashrrev_i32_e32 v29, 31, v28
	v_lshlrev_b64 v[20:21], 1, v[20:21]
	v_add_co_ci_u32_e32 v27, vcc_lo, v31, v27, vcc_lo
	s_delay_alu instid0(VALU_DEP_3) | instskip(NEXT) | instid1(VALU_DEP_3)
	v_lshlrev_b64 v[28:29], 1, v[28:29]
	v_add_co_u32 v20, vcc_lo, v30, v20
	s_delay_alu instid0(VALU_DEP_4) | instskip(NEXT) | instid1(VALU_DEP_3)
	v_add_co_ci_u32_e32 v21, vcc_lo, v31, v21, vcc_lo
	v_add_co_u32 v28, vcc_lo, v30, v28
	s_delay_alu instid0(VALU_DEP_4)
	v_add_co_ci_u32_e32 v29, vcc_lo, v31, v29, vcc_lo
	s_waitcnt lgkmcnt(4)
	global_store_b128 v[22:23], v[0:3], off
	s_waitcnt lgkmcnt(3)
	global_store_b128 v[24:25], v[4:7], off
	s_waitcnt lgkmcnt(2)
	global_store_b128 v[26:27], v[8:11], off
	s_waitcnt lgkmcnt(1)
	global_store_b128 v[20:21], v[12:15], off
	s_waitcnt lgkmcnt(0)
	global_store_b128 v[28:29], v[16:19], off
	s_nop 0
	s_sendmsg sendmsg(MSG_DEALLOC_VGPRS)
	s_endpgm
	.section	.rodata,"a",@progbits
	.p2align	6, 0x0
	.amdhsa_kernel _Z39paged_attention_ll4mi_QKV_mfma16_kernelIDF16_hLN4vllm18Fp8KVCacheDataTypeE1EhLi16ELi64ELi256ELb1ELi14EL8MFMAType0EEvPKT_PKT0_S8_ifPKiSA_SA_iPKfiiiPfSD_PS3_PT2_iSC_SC_
		.amdhsa_group_segment_fixed_size 17472
		.amdhsa_private_segment_fixed_size 0
		.amdhsa_kernarg_size 400
		.amdhsa_user_sgpr_count 13
		.amdhsa_user_sgpr_dispatch_ptr 0
		.amdhsa_user_sgpr_queue_ptr 0
		.amdhsa_user_sgpr_kernarg_segment_ptr 1
		.amdhsa_user_sgpr_dispatch_id 0
		.amdhsa_user_sgpr_private_segment_size 0
		.amdhsa_wavefront_size32 1
		.amdhsa_uses_dynamic_stack 0
		.amdhsa_enable_private_segment 0
		.amdhsa_system_sgpr_workgroup_id_x 1
		.amdhsa_system_sgpr_workgroup_id_y 1
		.amdhsa_system_sgpr_workgroup_id_z 1
		.amdhsa_system_sgpr_workgroup_info 0
		.amdhsa_system_vgpr_workitem_id 0
		.amdhsa_next_free_vgpr 146
		.amdhsa_next_free_sgpr 36
		.amdhsa_reserve_vcc 1
		.amdhsa_float_round_mode_32 0
		.amdhsa_float_round_mode_16_64 0
		.amdhsa_float_denorm_mode_32 3
		.amdhsa_float_denorm_mode_16_64 3
		.amdhsa_dx10_clamp 1
		.amdhsa_ieee_mode 1
		.amdhsa_fp16_overflow 0
		.amdhsa_workgroup_processor_mode 1
		.amdhsa_memory_ordered 1
		.amdhsa_forward_progress 0
		.amdhsa_shared_vgpr_count 0
		.amdhsa_exception_fp_ieee_invalid_op 0
		.amdhsa_exception_fp_denorm_src 0
		.amdhsa_exception_fp_ieee_div_zero 0
		.amdhsa_exception_fp_ieee_overflow 0
		.amdhsa_exception_fp_ieee_underflow 0
		.amdhsa_exception_fp_ieee_inexact 0
		.amdhsa_exception_int_div_zero 0
	.end_amdhsa_kernel
	.section	.text._Z39paged_attention_ll4mi_QKV_mfma16_kernelIDF16_hLN4vllm18Fp8KVCacheDataTypeE1EhLi16ELi64ELi256ELb1ELi14EL8MFMAType0EEvPKT_PKT0_S8_ifPKiSA_SA_iPKfiiiPfSD_PS3_PT2_iSC_SC_,"axG",@progbits,_Z39paged_attention_ll4mi_QKV_mfma16_kernelIDF16_hLN4vllm18Fp8KVCacheDataTypeE1EhLi16ELi64ELi256ELb1ELi14EL8MFMAType0EEvPKT_PKT0_S8_ifPKiSA_SA_iPKfiiiPfSD_PS3_PT2_iSC_SC_,comdat
.Lfunc_end1099:
	.size	_Z39paged_attention_ll4mi_QKV_mfma16_kernelIDF16_hLN4vllm18Fp8KVCacheDataTypeE1EhLi16ELi64ELi256ELb1ELi14EL8MFMAType0EEvPKT_PKT0_S8_ifPKiSA_SA_iPKfiiiPfSD_PS3_PT2_iSC_SC_, .Lfunc_end1099-_Z39paged_attention_ll4mi_QKV_mfma16_kernelIDF16_hLN4vllm18Fp8KVCacheDataTypeE1EhLi16ELi64ELi256ELb1ELi14EL8MFMAType0EEvPKT_PKT0_S8_ifPKiSA_SA_iPKfiiiPfSD_PS3_PT2_iSC_SC_
                                        ; -- End function
	.section	.AMDGPU.csdata,"",@progbits
; Kernel info:
; codeLenInByte = 6640
; NumSgprs: 38
; NumVgprs: 146
; ScratchSize: 0
; MemoryBound: 0
; FloatMode: 240
; IeeeMode: 1
; LDSByteSize: 17472 bytes/workgroup (compile time only)
; SGPRBlocks: 4
; VGPRBlocks: 18
; NumSGPRsForWavesPerEU: 38
; NumVGPRsForWavesPerEU: 146
; Occupancy: 9
; WaveLimiterHint : 1
; COMPUTE_PGM_RSRC2:SCRATCH_EN: 0
; COMPUTE_PGM_RSRC2:USER_SGPR: 13
; COMPUTE_PGM_RSRC2:TRAP_HANDLER: 0
; COMPUTE_PGM_RSRC2:TGID_X_EN: 1
; COMPUTE_PGM_RSRC2:TGID_Y_EN: 1
; COMPUTE_PGM_RSRC2:TGID_Z_EN: 1
; COMPUTE_PGM_RSRC2:TIDIG_COMP_CNT: 0
	.section	.text._Z39paged_attention_ll4mi_QKV_mfma16_kernelIDF16_hLN4vllm18Fp8KVCacheDataTypeE1EhLi16ELi64ELi256ELb1ELi15EL8MFMAType0EEvPKT_PKT0_S8_ifPKiSA_SA_iPKfiiiPfSD_PS3_PT2_iSC_SC_,"axG",@progbits,_Z39paged_attention_ll4mi_QKV_mfma16_kernelIDF16_hLN4vllm18Fp8KVCacheDataTypeE1EhLi16ELi64ELi256ELb1ELi15EL8MFMAType0EEvPKT_PKT0_S8_ifPKiSA_SA_iPKfiiiPfSD_PS3_PT2_iSC_SC_,comdat
	.protected	_Z39paged_attention_ll4mi_QKV_mfma16_kernelIDF16_hLN4vllm18Fp8KVCacheDataTypeE1EhLi16ELi64ELi256ELb1ELi15EL8MFMAType0EEvPKT_PKT0_S8_ifPKiSA_SA_iPKfiiiPfSD_PS3_PT2_iSC_SC_ ; -- Begin function _Z39paged_attention_ll4mi_QKV_mfma16_kernelIDF16_hLN4vllm18Fp8KVCacheDataTypeE1EhLi16ELi64ELi256ELb1ELi15EL8MFMAType0EEvPKT_PKT0_S8_ifPKiSA_SA_iPKfiiiPfSD_PS3_PT2_iSC_SC_
	.globl	_Z39paged_attention_ll4mi_QKV_mfma16_kernelIDF16_hLN4vllm18Fp8KVCacheDataTypeE1EhLi16ELi64ELi256ELb1ELi15EL8MFMAType0EEvPKT_PKT0_S8_ifPKiSA_SA_iPKfiiiPfSD_PS3_PT2_iSC_SC_
	.p2align	8
	.type	_Z39paged_attention_ll4mi_QKV_mfma16_kernelIDF16_hLN4vllm18Fp8KVCacheDataTypeE1EhLi16ELi64ELi256ELb1ELi15EL8MFMAType0EEvPKT_PKT0_S8_ifPKiSA_SA_iPKfiiiPfSD_PS3_PT2_iSC_SC_,@function
_Z39paged_attention_ll4mi_QKV_mfma16_kernelIDF16_hLN4vllm18Fp8KVCacheDataTypeE1EhLi16ELi64ELi256ELb1ELi15EL8MFMAType0EEvPKT_PKT0_S8_ifPKiSA_SA_iPKfiiiPfSD_PS3_PT2_iSC_SC_: ; @_Z39paged_attention_ll4mi_QKV_mfma16_kernelIDF16_hLN4vllm18Fp8KVCacheDataTypeE1EhLi16ELi64ELi256ELb1ELi15EL8MFMAType0EEvPKT_PKT0_S8_ifPKiSA_SA_iPKfiiiPfSD_PS3_PT2_iSC_SC_
; %bb.0:
	s_load_b64 s[2:3], s[0:1], 0x30
	s_mov_b32 s34, s13
	s_waitcnt lgkmcnt(0)
	s_cmp_lg_u64 s[2:3], 0
	s_cselect_b32 s6, -1, 0
	s_ashr_i32 s35, s13, 31
	s_cmp_eq_u64 s[2:3], 0
	s_cbranch_scc1 .LBB1100_3
; %bb.1:
	s_lshl_b64 s[4:5], s[34:35], 2
	s_delay_alu instid0(SALU_CYCLE_1) | instskip(SKIP_4) | instid1(SALU_CYCLE_1)
	s_add_u32 s4, s2, s4
	s_addc_u32 s5, s3, s5
	s_load_b64 s[4:5], s[4:5], 0x0
	s_waitcnt lgkmcnt(0)
	s_sub_i32 s4, s5, s4
	s_cmp_eq_u32 s4, 1
	s_cselect_b32 s4, -1, 0
	s_delay_alu instid0(SALU_CYCLE_1)
	s_and_not1_b32 vcc_lo, exec_lo, s4
	s_cbranch_vccz .LBB1100_4
.LBB1100_2:
	s_nop 0
	s_sendmsg sendmsg(MSG_DEALLOC_VGPRS)
	s_endpgm
.LBB1100_3:
.LBB1100_4:
	s_load_b64 s[8:9], s[0:1], 0x28
	s_lshl_b64 s[4:5], s[34:35], 2
	s_waitcnt lgkmcnt(0)
	s_add_u32 s8, s8, s4
	s_addc_u32 s9, s9, s5
	s_lshl_b32 s16, s14, 8
	s_load_b32 s18, s[8:9], 0x0
	s_waitcnt lgkmcnt(0)
	s_cmp_ge_i32 s16, s18
	s_cbranch_scc1 .LBB1100_2
; %bb.5:
	s_clause 0x1
	s_load_b128 s[8:11], s[0:1], 0x8
	s_load_b64 s[12:13], s[0:1], 0x20
	s_and_not1_b32 vcc_lo, exec_lo, s6
	s_cbranch_vccnz .LBB1100_7
; %bb.6:
	s_add_u32 s2, s2, s4
	s_addc_u32 s3, s3, s5
	s_load_b32 s3, s[2:3], 0x0
	s_branch .LBB1100_8
.LBB1100_7:
	s_mov_b32 s3, s34
.LBB1100_8:
	s_load_b128 s[4:7], s[0:1], 0x48
	v_lshrrev_b32_e32 v69, 5, v0
	v_bfe_u32 v66, v0, 4, 1
	v_and_b32_e32 v68, 15, v0
	v_and_b32_e32 v70, 31, v0
	;; [unrolled: 1-line block ×3, first 2 shown]
	s_mul_i32 s33, s15, 15
	v_lshl_or_b32 v1, v69, 1, v66
	v_lshlrev_b32_e32 v2, 3, v68
	v_cmp_gt_u32_e64 s2, 8, v68
	s_delay_alu instid0(VALU_DEP_3) | instskip(NEXT) | instid1(VALU_DEP_3)
	v_cmp_gt_u32_e32 vcc_lo, 15, v1
	v_lshlrev_b32_e32 v65, 1, v2
	s_delay_alu instid0(VALU_DEP_3)
	s_and_b32 s17, s2, vcc_lo
	s_waitcnt lgkmcnt(0)
	s_and_saveexec_b32 s7, s17
	s_cbranch_execz .LBB1100_10
; %bb.9:
	s_load_b64 s[20:21], s[0:1], 0x0
	v_add_lshl_u32 v2, v1, s33, 6
	s_mul_hi_i32 s23, s3, s4
	s_mul_i32 s22, s3, s4
	v_lshlrev_b32_e32 v6, 10, v68
	s_lshl_b64 s[22:23], s[22:23], 1
	v_ashrrev_i32_e32 v3, 31, v2
	v_lshlrev_b32_e32 v1, 6, v1
	v_lshlrev_b32_e32 v7, 10, v67
	v_and_b32_e32 v6, 0x3800, v6
	s_delay_alu instid0(VALU_DEP_4) | instskip(NEXT) | instid1(VALU_DEP_2)
	v_lshlrev_b64 v[2:3], 1, v[2:3]
	v_or3_b32 v1, v6, v7, v1
	s_waitcnt lgkmcnt(0)
	s_add_u32 s3, s20, s22
	s_addc_u32 s4, s21, s23
	s_delay_alu instid0(VALU_DEP_2) | instskip(SKIP_1) | instid1(VALU_DEP_2)
	v_add_co_u32 v2, vcc_lo, s3, v2
	v_add_co_ci_u32_e32 v3, vcc_lo, s4, v3, vcc_lo
	v_add_co_u32 v2, vcc_lo, v2, v65
	s_delay_alu instid0(VALU_DEP_2)
	v_add_co_ci_u32_e32 v3, vcc_lo, 0, v3, vcc_lo
	global_load_b128 v[2:5], v[2:3], off
	s_waitcnt vmcnt(0)
	ds_store_b128 v1, v[2:5]
.LBB1100_10:
	s_or_b32 exec_lo, exec_lo, s7
	v_and_b32_e32 v1, 0xef, v0
	s_add_i32 s3, s18, 15
	s_clause 0x1
	s_load_b32 s4, s[0:1], 0x38
	s_load_b32 s35, s[0:1], 0x98
	s_ashr_i32 s7, s3, 31
	v_add_nc_u32_e32 v1, s16, v1
	s_lshr_b32 s7, s7, 28
	s_load_b32 s19, s[0:1], 0x1c
	s_add_i32 s3, s3, s7
	s_waitcnt lgkmcnt(0)
	v_ashrrev_i32_e32 v2, 31, v1
	v_or_b32_e32 v3, 16, v1
	s_ashr_i32 s3, s3, 4
	v_cmp_gt_i32_e32 vcc_lo, s18, v1
	s_add_i32 s3, s3, -1
	v_lshrrev_b32_e32 v2, 28, v2
	s_barrier
	buffer_gl0_inv
	s_mul_i32 s15, s15, s6
	v_mbcnt_lo_u32_b32 v127, -1, 0
	v_add_nc_u32_e32 v4, v1, v2
	s_mul_i32 s20, s34, s4
	s_delay_alu instid0(SALU_CYCLE_1) | instskip(NEXT) | instid1(VALU_DEP_1)
	s_ashr_i32 s21, s20, 31
	v_ashrrev_i32_e32 v4, 4, v4
	v_add_nc_u32_e32 v2, v3, v2
	s_lshl_b64 s[20:21], s[20:21], 2
	v_xor_b32_e32 v128, 16, v127
	s_add_u32 s17, s12, s20
	v_cndmask_b32_e32 v1, s3, v4, vcc_lo
	v_ashrrev_i32_e32 v2, 4, v2
	v_cmp_gt_i32_e32 vcc_lo, s18, v3
	s_addc_u32 s13, s13, s21
	s_ashr_i32 s20, s15, 31
	s_add_u32 s4, s8, s15
	s_addc_u32 s12, s9, s20
	v_cndmask_b32_e32 v3, s3, v2, vcc_lo
	v_ashrrev_i32_e32 v2, 31, v1
	s_lshl_b32 s6, s14, 4
	s_delay_alu instid0(SALU_CYCLE_1) | instskip(NEXT) | instid1(VALU_DEP_2)
	s_ashr_i32 s7, s6, 31
	v_ashrrev_i32_e32 v4, 31, v3
	s_delay_alu instid0(VALU_DEP_2) | instskip(SKIP_1) | instid1(SALU_CYCLE_1)
	v_lshlrev_b64 v[1:2], 2, v[1:2]
	s_lshl_b64 s[6:7], s[6:7], 2
	s_add_u32 s6, s17, s6
	s_delay_alu instid0(VALU_DEP_2) | instskip(SKIP_1) | instid1(VALU_DEP_2)
	v_lshlrev_b64 v[3:4], 2, v[3:4]
	s_addc_u32 s7, s13, s7
	v_add_co_u32 v1, vcc_lo, s17, v1
	v_add_co_ci_u32_e32 v2, vcc_lo, s13, v2, vcc_lo
	s_delay_alu instid0(VALU_DEP_3) | instskip(NEXT) | instid1(VALU_DEP_4)
	v_add_co_u32 v3, vcc_lo, s17, v3
	v_add_co_ci_u32_e32 v4, vcc_lo, s13, v4, vcc_lo
	s_clause 0x1
	global_load_b32 v5, v[1:2], off
	global_load_b32 v7, v[3:4], off
	s_or_b32 s8, s16, 32
	v_lshlrev_b32_e32 v1, 4, v0
	s_ashr_i32 s9, s8, 4
	s_cmp_lt_i32 s8, s18
	v_cmp_ne_u32_e32 vcc_lo, 15, v68
	s_cselect_b32 s8, s9, s3
	v_and_b32_e32 v1, 0xf0, v1
	s_ashr_i32 s9, s8, 31
	s_delay_alu instid0(SALU_CYCLE_1)
	s_lshl_b64 s[8:9], s[8:9], 2
	v_cndmask_b32_e32 v103, 0, v68, vcc_lo
	s_add_u32 s8, s17, s8
	s_addc_u32 s9, s13, s9
	s_or_b32 s21, s16, 64
	v_add_co_u32 v1, s4, s4, v1
	s_ashr_i32 s22, s21, 4
	s_cmp_lt_i32 s21, s18
	v_add_co_ci_u32_e64 v2, null, s12, 0, s4
	s_cselect_b32 s22, s22, s3
	v_cmp_gt_i32_e32 vcc_lo, 32, v128
	s_ashr_i32 s23, s22, 31
	v_lshlrev_b32_e32 v115, 6, v103
	s_lshl_b64 s[22:23], s[22:23], 2
	v_cndmask_b32_e32 v136, v127, v128, vcc_lo
	s_add_u32 s22, s17, s22
	s_addc_u32 s23, s13, s23
	s_or_b32 s21, s16, 0x60
	s_delay_alu instid0(SALU_CYCLE_1) | instskip(SKIP_2) | instid1(SALU_CYCLE_1)
	s_ashr_i32 s24, s21, 4
	s_cmp_lt_i32 s21, s18
	s_cselect_b32 s24, s24, s3
	s_ashr_i32 s25, s24, 31
	s_delay_alu instid0(SALU_CYCLE_1) | instskip(NEXT) | instid1(SALU_CYCLE_1)
	s_lshl_b64 s[24:25], s[24:25], 2
	s_add_u32 s24, s17, s24
	s_addc_u32 s25, s13, s25
	s_or_b32 s21, s16, 0x80
	s_delay_alu instid0(SALU_CYCLE_1) | instskip(SKIP_2) | instid1(SALU_CYCLE_1)
	s_ashr_i32 s26, s21, 4
	s_cmp_lt_i32 s21, s18
	s_cselect_b32 s26, s26, s3
	s_ashr_i32 s27, s26, 31
	s_delay_alu instid0(SALU_CYCLE_1) | instskip(NEXT) | instid1(SALU_CYCLE_1)
	s_lshl_b64 s[26:27], s[26:27], 2
	;; [unrolled: 10-line block ×3, first 2 shown]
	s_add_u32 s28, s17, s28
	s_addc_u32 s29, s13, s29
	s_clause 0x5
	s_load_b32 s12, s[6:7], 0x0
	s_load_b32 s4, s[8:9], 0x0
	;; [unrolled: 1-line block ×6, first 2 shown]
	s_or_b32 s21, s16, 0xc0
	s_delay_alu instid0(SALU_CYCLE_1) | instskip(SKIP_2) | instid1(SALU_CYCLE_1)
	s_ashr_i32 s22, s21, 4
	s_cmp_lt_i32 s21, s18
	s_cselect_b32 s22, s22, s3
	s_ashr_i32 s23, s22, 31
	s_delay_alu instid0(SALU_CYCLE_1) | instskip(NEXT) | instid1(SALU_CYCLE_1)
	s_lshl_b64 s[22:23], s[22:23], 2
	s_add_u32 s22, s17, s22
	s_addc_u32 s23, s13, s23
	s_or_b32 s21, s16, 0xe0
	s_delay_alu instid0(SALU_CYCLE_1) | instskip(SKIP_2) | instid1(SALU_CYCLE_1)
	s_ashr_i32 s24, s21, 4
	s_cmp_lt_i32 s21, s18
	s_cselect_b32 s24, s24, s3
	s_ashr_i32 s25, s24, 31
	s_delay_alu instid0(SALU_CYCLE_1)
	s_lshl_b64 s[24:25], s[24:25], 2
	s_waitcnt vmcnt(1)
	v_mad_i64_i32 v[3:4], null, v5, s5, v[1:2]
	s_waitcnt vmcnt(0)
	v_mad_i64_i32 v[5:6], null, v7, s5, v[1:2]
	v_lshlrev_b32_e32 v1, 4, v68
	s_clause 0x7
	global_load_b128 v[71:74], v[3:4], off
	global_load_b128 v[75:78], v[3:4], off offset:256
	global_load_b128 v[79:82], v[5:6], off
	global_load_b128 v[83:86], v[5:6], off offset:256
	global_load_b128 v[87:90], v[3:4], off offset:512
	;; [unrolled: 1-line block ×5, first 2 shown]
	v_lshl_or_b32 v1, v69, 8, v1
	s_load_b32 s3, s[22:23], 0x0
	s_add_u32 s22, s17, s24
	s_addc_u32 s23, s13, s25
	s_add_u32 s10, s10, s15
	s_addc_u32 s11, s11, s20
	v_add_co_u32 v1, s10, s10, v1
	s_delay_alu instid0(VALU_DEP_1) | instskip(SKIP_2) | instid1(VALU_DEP_1)
	v_add_co_ci_u32_e64 v2, null, s11, 0, s10
	s_load_b32 s10, s[22:23], 0x0
	s_waitcnt lgkmcnt(0)
	v_mad_i64_i32 v[3:4], null, s12, s5, v[1:2]
	v_mad_i64_i32 v[9:10], null, s7, s5, v[1:2]
	;; [unrolled: 1-line block ×7, first 2 shown]
	s_clause 0x5
	global_load_b128 v[49:52], v[3:4], off
	global_load_b128 v[53:56], v[3:4], off offset:16
	global_load_b128 v[41:44], v[5:6], off
	global_load_b128 v[45:48], v[5:6], off offset:16
	;; [unrolled: 2-line block ×3, first 2 shown]
	s_mov_b32 s4, 0
	v_mad_i64_i32 v[61:62], null, s10, s5, v[1:2]
	s_clause 0x9
	global_load_b128 v[1:4], v[9:10], off
	global_load_b128 v[5:8], v[9:10], off offset:16
	global_load_b128 v[9:12], v[13:14], off
	global_load_b128 v[13:16], v[13:14], off offset:16
	;; [unrolled: 2-line block ×5, first 2 shown]
	s_mov_b32 s5, s4
	s_mov_b32 s6, s4
	;; [unrolled: 1-line block ×7, first 2 shown]
	v_and_b32_e32 v104, 0xe0, v0
	v_dual_mov_b32 v126, s11 :: v_dual_mov_b32 v125, s10
	v_dual_mov_b32 v124, s9 :: v_dual_mov_b32 v123, s8
	s_delay_alu instid0(VALU_DEP_3)
	v_add_nc_u32_e32 v111, s16, v104
	ds_load_b128 v[103:106], v115
	ds_load_b128 v[107:110], v115 offset:1024
	v_dual_mov_b32 v122, s7 :: v_dual_mov_b32 v121, s6
	v_mov_b32_e32 v120, s5
	v_or_b32_e32 v135, v111, v66
	ds_load_b128 v[111:114], v115 offset:2048
	ds_load_b128 v[115:118], v115 offset:3072
	v_mov_b32_e32 v119, s4
	s_waitcnt vmcnt(0) lgkmcnt(0)
	s_barrier
	v_or_b32_e32 v137, 2, v135
	v_or_b32_e32 v138, 4, v135
	;; [unrolled: 1-line block ×3, first 2 shown]
	v_cmp_gt_i32_e32 vcc_lo, s18, v135
	v_or_b32_e32 v140, 8, v135
	v_cmp_gt_i32_e64 s3, s18, v137
	v_or_b32_e32 v141, 10, v135
	v_cmp_gt_i32_e64 s4, s18, v138
	v_cmp_gt_i32_e64 s5, s18, v139
	v_or_b32_e32 v142, 12, v135
	v_or_b32_e32 v143, 14, v135
	v_cmp_gt_i32_e64 s6, s18, v140
	v_cmp_gt_i32_e64 s7, s18, v141
	v_or_b32_e32 v144, 16, v135
	v_or_b32_e32 v145, 18, v135
	v_cmp_gt_i32_e64 s8, s18, v142
	v_cmp_gt_i32_e64 s9, s18, v143
	buffer_gl0_inv
	v_cmp_gt_i32_e64 s10, s18, v144
	v_cmp_gt_i32_e64 s11, s18, v145
	v_wmma_f32_16x16x16_f16 v[127:134], v[71:78], v[103:110], v[119:126]
	v_wmma_f32_16x16x16_f16 v[119:126], v[79:86], v[103:110], v[119:126]
	v_or_b32_e32 v71, 20, v135
	v_or_b32_e32 v72, 22, v135
	s_delay_alu instid0(VALU_DEP_4)
	v_wmma_f32_16x16x16_f16 v[127:134], v[87:94], v[111:118], v[127:134]
	v_or_b32_e32 v73, 24, v135
	v_wmma_f32_16x16x16_f16 v[119:126], v[95:102], v[111:118], v[119:126]
	v_or_b32_e32 v74, 26, v135
	v_cmp_gt_i32_e64 s12, s18, v71
	v_dual_mul_f32 v83, s19, v128 :: v_dual_mul_f32 v84, s19, v127
	s_delay_alu instid0(VALU_DEP_4) | instskip(SKIP_1) | instid1(VALU_DEP_3)
	v_dual_mul_f32 v81, s19, v130 :: v_dual_mul_f32 v92, s19, v119
	v_mul_f32_e32 v82, s19, v129
	v_cndmask_b32_e64 v83, 0xff7fffff, v83, s3
	s_delay_alu instid0(VALU_DEP_4)
	v_cndmask_b32_e32 v84, 0xff7fffff, v84, vcc_lo
	v_dual_mul_f32 v79, s19, v132 :: v_dual_mul_f32 v90, s19, v121
	v_mul_f32_e32 v80, s19, v131
	v_cndmask_b32_e64 v82, 0xff7fffff, v82, s4
	v_cndmask_b32_e64 v81, 0xff7fffff, v81, s5
	v_max3_f32 v83, v84, 0xff7fffff, v83
	v_dual_mul_f32 v77, s19, v134 :: v_dual_mul_f32 v88, s19, v123
	v_mul_f32_e32 v78, s19, v133
	v_cndmask_b32_e64 v80, 0xff7fffff, v80, s6
	v_cndmask_b32_e64 v79, 0xff7fffff, v79, s7
	v_max3_f32 v81, v83, v82, v81
	v_mul_f32_e32 v91, s19, v120
	v_cndmask_b32_e64 v78, 0xff7fffff, v78, s8
	v_cndmask_b32_e64 v77, 0xff7fffff, v77, s9
	v_mul_f32_e32 v89, s19, v122
	v_max3_f32 v79, v81, v80, v79
	v_cndmask_b32_e64 v80, 0xff7fffff, v92, s10
	v_cndmask_b32_e64 v81, 0xff7fffff, v91, s11
	v_cmp_gt_i32_e64 s13, s18, v72
	v_or_b32_e32 v75, 28, v135
	v_max3_f32 v77, v79, v78, v77
	v_or_b32_e32 v76, 30, v135
	v_mul_f32_e32 v87, s19, v124
	v_cndmask_b32_e64 v71, 0xff7fffff, v90, s12
	v_cndmask_b32_e64 v72, 0xff7fffff, v89, s13
	v_max3_f32 v77, v77, v80, v81
	v_cmp_gt_i32_e64 s15, s18, v73
	v_cmp_gt_i32_e64 s16, s18, v74
	v_dual_mul_f32 v85, s19, v126 :: v_dual_mul_f32 v86, s19, v125
	s_delay_alu instid0(VALU_DEP_4) | instskip(NEXT) | instid1(VALU_DEP_4)
	v_max3_f32 v71, v77, v71, v72
	v_cndmask_b32_e64 v73, 0xff7fffff, v88, s15
	s_delay_alu instid0(VALU_DEP_4) | instskip(SKIP_2) | instid1(VALU_DEP_3)
	v_cndmask_b32_e64 v74, 0xff7fffff, v87, s16
	v_cmp_gt_i32_e64 s17, s18, v75
	v_cmp_gt_i32_e64 s18, s18, v76
	v_max3_f32 v71, v71, v73, v74
	s_delay_alu instid0(VALU_DEP_3) | instskip(NEXT) | instid1(VALU_DEP_3)
	v_cndmask_b32_e64 v72, 0xff7fffff, v86, s17
	v_cndmask_b32_e64 v75, 0xff7fffff, v85, s18
	v_lshlrev_b32_e32 v73, 2, v136
	s_delay_alu instid0(VALU_DEP_2) | instskip(SKIP_3) | instid1(VALU_DEP_1)
	v_max3_f32 v71, v71, v72, v75
	ds_bpermute_b32 v72, v73, v71
	s_waitcnt lgkmcnt(0)
	v_max_f32_e32 v72, v72, v72
	v_max_f32_e32 v71, v71, v72
	s_delay_alu instid0(VALU_DEP_1)
	v_fma_f32 v72, s19, v127, -v71
	v_fma_f32 v74, s19, v128, -v71
	;; [unrolled: 1-line block ×5, first 2 shown]
	v_mul_f32_e32 v72, 0x3fb8aa3b, v72
	v_mul_f32_e32 v74, 0x3fb8aa3b, v74
	v_fma_f32 v80, s19, v133, -v71
	s_delay_alu instid0(VALU_DEP_4) | instskip(NEXT) | instid1(VALU_DEP_4)
	v_dual_mul_f32 v76, 0x3fb8aa3b, v76 :: v_dual_mul_f32 v77, 0x3fb8aa3b, v77
	v_exp_f32_e32 v72, v72
	s_delay_alu instid0(VALU_DEP_3) | instskip(NEXT) | instid1(VALU_DEP_2)
	v_exp_f32_e32 v74, v74
	v_mul_f32_e32 v82, 0x3fb8aa3b, v80
	s_delay_alu instid0(VALU_DEP_2) | instskip(SKIP_1) | instid1(VALU_DEP_1)
	v_exp_f32_e32 v76, v76
	v_exp_f32_e32 v77, v77
	;; [unrolled: 1-line block ×3, first 2 shown]
	v_cndmask_b32_e32 v79, 0, v72, vcc_lo
	v_fma_f32 v72, s19, v132, -v71
	v_mul_f32_e32 v75, 0x3fb8aa3b, v75
	v_cndmask_b32_e64 v78, 0, v74, s3
	s_delay_alu instid0(TRANS32_DEP_3)
	v_cndmask_b32_e64 v80, 0, v76, s5
	v_add_f32_e32 v74, 0, v79
	v_mul_f32_e32 v72, 0x3fb8aa3b, v72
	v_exp_f32_e32 v75, v75
	v_cndmask_b32_e64 v83, 0, v77, s6
	v_cndmask_b32_e64 v85, 0, v84, s8
	v_add_f32_e32 v74, v74, v78
	v_exp_f32_e32 v72, v72
	v_cmp_gt_u32_e64 s3, 16, v70
	s_waitcnt_depctr 0xfff
	v_cndmask_b32_e64 v81, 0, v75, s4
	v_cndmask_b32_e64 v82, 0, v72, s7
	s_delay_alu instid0(VALU_DEP_2) | instskip(NEXT) | instid1(VALU_DEP_1)
	v_add_f32_e32 v74, v74, v81
	v_add_f32_e32 v74, v74, v80
	s_delay_alu instid0(VALU_DEP_1) | instskip(SKIP_4) | instid1(VALU_DEP_4)
	v_add_f32_e32 v72, v74, v83
	v_fma_f32 v75, s19, v134, -v71
	v_fma_f32 v76, s19, v119, -v71
	;; [unrolled: 1-line block ×4, first 2 shown]
	v_dual_add_f32 v72, v72, v82 :: v_dual_mul_f32 v75, 0x3fb8aa3b, v75
	s_delay_alu instid0(VALU_DEP_3) | instskip(SKIP_1) | instid1(VALU_DEP_3)
	v_dual_mul_f32 v76, 0x3fb8aa3b, v76 :: v_dual_mul_f32 v77, 0x3fb8aa3b, v77
	v_fma_f32 v86, s19, v122, -v71
	v_add_f32_e32 v72, v72, v85
	s_delay_alu instid0(VALU_DEP_4) | instskip(NEXT) | instid1(VALU_DEP_3)
	v_exp_f32_e32 v75, v75
	v_exp_f32_e32 v76, v76
	;; [unrolled: 1-line block ×3, first 2 shown]
	v_mul_f32_e32 v86, 0x3fb8aa3b, v86
	s_delay_alu instid0(VALU_DEP_1) | instskip(SKIP_3) | instid1(TRANS32_DEP_3)
	v_exp_f32_e32 v88, v86
	v_cndmask_b32_e64 v84, 0, v75, s9
	v_fma_f32 v75, s19, v123, -v71
	v_mul_f32_e32 v74, 0x3fb8aa3b, v74
	v_cndmask_b32_e64 v87, 0, v76, s10
	v_fma_f32 v76, s19, v124, -v71
	s_delay_alu instid0(VALU_DEP_4) | instskip(NEXT) | instid1(VALU_DEP_4)
	v_dual_add_f32 v72, v72, v84 :: v_dual_mul_f32 v75, 0x3fb8aa3b, v75
	v_exp_f32_e32 v74, v74
	v_cndmask_b32_e64 v86, 0, v77, s11
	v_fma_f32 v77, s19, v125, -v71
	s_delay_alu instid0(VALU_DEP_3) | instskip(SKIP_3) | instid1(VALU_DEP_3)
	v_add_f32_e32 v72, v72, v87
	v_mul_f32_e32 v76, 0x3fb8aa3b, v76
	v_exp_f32_e32 v75, v75
	v_cndmask_b32_e64 v88, 0, v88, s13
	v_add_f32_e32 v72, v72, v86
	s_delay_alu instid0(VALU_DEP_3) | instskip(NEXT) | instid1(TRANS32_DEP_3)
	v_exp_f32_e32 v76, v76
	v_cndmask_b32_e64 v89, 0, v74, s12
	v_mul_f32_e32 v74, 0x3fb8aa3b, v77
	v_fma_f32 v77, s19, v126, -v71
	s_delay_alu instid0(VALU_DEP_3) | instskip(NEXT) | instid1(VALU_DEP_3)
	v_add_f32_e32 v72, v72, v89
	v_exp_f32_e32 v74, v74
	s_delay_alu instid0(TRANS32_DEP_3) | instskip(NEXT) | instid1(VALU_DEP_3)
	v_cndmask_b32_e64 v91, 0, v75, s15
	v_mul_f32_e32 v75, 0x3fb8aa3b, v77
	s_delay_alu instid0(TRANS32_DEP_2) | instskip(SKIP_1) | instid1(VALU_DEP_3)
	v_cndmask_b32_e64 v90, 0, v76, s16
	v_add_f32_e32 v72, v72, v88
	v_exp_f32_e32 v75, v75
	s_delay_alu instid0(VALU_DEP_1) | instskip(NEXT) | instid1(TRANS32_DEP_2)
	v_add_f32_e32 v72, v72, v91
	v_cndmask_b32_e64 v93, 0, v74, s17
	s_delay_alu instid0(VALU_DEP_2) | instskip(SKIP_3) | instid1(VALU_DEP_1)
	v_add_f32_e32 v72, v72, v90
	s_waitcnt_depctr 0xfff
	v_cndmask_b32_e64 v92, 0, v75, s18
	v_add_f32_e32 v72, v72, v93
	v_add_f32_e32 v72, v72, v92
	ds_bpermute_b32 v73, v73, v72
	s_and_saveexec_b32 s4, s3
	s_cbranch_execz .LBB1100_12
; %bb.11:
	v_mul_u32_u24_e32 v70, 0x44, v69
	s_waitcnt lgkmcnt(0)
	v_add_f32_e32 v72, v72, v73
	s_delay_alu instid0(VALU_DEP_2) | instskip(NEXT) | instid1(VALU_DEP_1)
	v_lshl_add_u32 v70, v68, 2, v70
	v_add_nc_u32_e32 v70, 0x4000, v70
	ds_store_2addr_b32 v70, v71, v72 offset1:136
.LBB1100_12:
	s_or_b32 exec_lo, exec_lo, s4
	v_lshlrev_b32_e32 v70, 2, v68
	s_load_b32 s36, s[0:1], 0x94
	s_waitcnt lgkmcnt(0)
	s_barrier
	buffer_gl0_inv
	v_add_nc_u32_e32 v98, 0x4000, v70
	v_cmp_eq_u32_e32 vcc_lo, 1, v69
	v_cmp_eq_u32_e64 s4, 2, v69
	v_cmp_eq_u32_e64 s5, 3, v69
	;; [unrolled: 1-line block ×3, first 2 shown]
	ds_load_2addr_b32 v[70:71], v98 offset1:17
	ds_load_2addr_b32 v[72:73], v98 offset0:34 offset1:51
	ds_load_2addr_b32 v[74:75], v98 offset0:68 offset1:85
	;; [unrolled: 1-line block ×3, first 2 shown]
	v_cmp_eq_u32_e64 s7, 5, v69
	v_cmp_eq_u32_e64 s8, 7, v69
	s_waitcnt lgkmcnt(3)
	v_max3_f32 v76, v70, 0xff7fffff, v71
	s_waitcnt lgkmcnt(2)
	s_delay_alu instid0(VALU_DEP_1) | instskip(SKIP_1) | instid1(VALU_DEP_1)
	v_max3_f32 v76, v76, v72, v73
	s_waitcnt lgkmcnt(1)
	v_max3_f32 v76, v76, v74, v75
	s_waitcnt lgkmcnt(0)
	s_delay_alu instid0(VALU_DEP_1) | instskip(NEXT) | instid1(VALU_DEP_1)
	v_max3_f32 v76, v76, v94, v95
	v_sub_f32_e32 v77, v71, v76
	ds_load_2addr_b32 v[96:97], v98 offset0:136 offset1:153
	v_sub_f32_e32 v74, v74, v76
	v_sub_f32_e32 v70, v70, v76
	;; [unrolled: 1-line block ×3, first 2 shown]
	v_dual_sub_f32 v72, v72, v76 :: v_dual_mul_f32 v77, 0x3fb8aa3b, v77
	s_delay_alu instid0(VALU_DEP_4) | instskip(NEXT) | instid1(VALU_DEP_4)
	v_mul_f32_e32 v103, 0x3fb8aa3b, v74
	v_mul_f32_e32 v99, 0x3fb8aa3b, v70
	ds_load_2addr_b32 v[70:71], v98 offset0:170 offset1:187
	v_dual_mul_f32 v101, 0x3fb8aa3b, v72 :: v_dual_mul_f32 v94, 0x3fb8aa3b, v94
	v_exp_f32_e32 v102, v77
	v_exp_f32_e32 v99, v99
	s_delay_alu instid0(VALU_DEP_1) | instskip(NEXT) | instid1(VALU_DEP_1)
	v_exp_f32_e32 v101, v101
	v_exp_f32_e32 v94, v94
	s_waitcnt lgkmcnt(1)
	s_delay_alu instid0(TRANS32_DEP_3)
	v_fma_f32 v77, v99, v96, 0
	v_sub_f32_e32 v100, v73, v76
	ds_load_2addr_b32 v[72:73], v98 offset0:204 offset1:221
	v_fmac_f32_e32 v77, v102, v97
	v_exp_f32_e32 v97, v103
	s_waitcnt lgkmcnt(1)
	s_delay_alu instid0(VALU_DEP_1)
	v_dual_fmac_f32 v77, v101, v70 :: v_dual_sub_f32 v96, v75, v76
	ds_load_2addr_b32 v[74:75], v98 offset0:238 offset1:255
	v_sub_f32_e32 v70, v95, v76
	s_waitcnt lgkmcnt(0)
	s_barrier
	v_mul_f32_e32 v96, 0x3fb8aa3b, v96
	buffer_gl0_inv
	v_exp_f32_e32 v95, v96
	v_mul_f32_e32 v100, 0x3fb8aa3b, v100
	s_delay_alu instid0(VALU_DEP_1) | instskip(SKIP_3) | instid1(VALU_DEP_2)
	v_exp_f32_e32 v100, v100
	s_waitcnt_depctr 0xfff
	v_dual_fmac_f32 v77, v100, v71 :: v_dual_mul_f32 v70, 0x3fb8aa3b, v70
	v_cndmask_b32_e32 v71, v99, v102, vcc_lo
	v_fmac_f32_e32 v77, v97, v72
	s_delay_alu instid0(VALU_DEP_3) | instskip(NEXT) | instid1(VALU_DEP_1)
	v_exp_f32_e32 v96, v70
	v_fmac_f32_e32 v77, v95, v73
	s_delay_alu instid0(VALU_DEP_1) | instskip(SKIP_2) | instid1(VALU_DEP_1)
	v_fmac_f32_e32 v77, v94, v74
	s_waitcnt_depctr 0xfff
	v_fmac_f32_e32 v77, v96, v75
	v_add_f32_e32 v74, 0x358637bd, v77
	s_delay_alu instid0(VALU_DEP_1) | instskip(SKIP_1) | instid1(VALU_DEP_2)
	v_div_scale_f32 v98, null, v74, v74, 1.0
	v_div_scale_f32 v99, vcc_lo, 1.0, v74, 1.0
	v_rcp_f32_e32 v103, v98
	s_waitcnt_depctr 0xfff
	v_fma_f32 v70, -v98, v103, 1.0
	s_delay_alu instid0(VALU_DEP_1) | instskip(SKIP_2) | instid1(VALU_DEP_2)
	v_fmac_f32_e32 v103, v70, v103
	v_cndmask_b32_e64 v70, v71, v101, s4
	v_cmp_eq_u32_e64 s4, 6, v69
	v_cndmask_b32_e64 v71, v70, v100, s5
	s_delay_alu instid0(VALU_DEP_4) | instskip(NEXT) | instid1(VALU_DEP_2)
	v_dual_mul_f32 v101, v99, v103 :: v_dual_lshlrev_b32 v70, 2, v66
	v_cndmask_b32_e64 v71, v71, v97, s6
	s_delay_alu instid0(VALU_DEP_2) | instskip(NEXT) | instid1(VALU_DEP_3)
	v_or_b32_e32 v72, 1, v70
	v_fma_f32 v100, -v98, v101, v99
	v_cmp_eq_u32_e64 s5, 1, v70
	v_cmp_eq_u32_e64 s6, 2, v70
	v_cndmask_b32_e64 v95, v71, v95, s7
	v_or_b32_e32 v71, 3, v70
	v_fmac_f32_e32 v101, v100, v103
	v_cmp_eq_u32_e64 s10, 1, v72
	v_cmp_eq_u32_e64 s13, 2, v72
	v_cndmask_b32_e64 v94, v95, v94, s4
	v_cmp_eq_u32_e64 s12, 1, v71
	v_fma_f32 v97, -v98, v101, v99
	v_cmp_eq_u32_e64 s17, 2, v71
	v_cmp_eq_u32_e64 s15, 3, v72
	v_cndmask_b32_e64 v94, v94, v96, s8
	v_cmp_eq_u32_e64 s19, 3, v71
	v_div_fmas_f32 v95, v97, v103, v101
	v_cmp_eq_u32_e32 vcc_lo, 3, v70
	v_cmp_eq_u32_e64 s4, 4, v70
	v_cmp_eq_u32_e64 s20, 4, v72
	;; [unrolled: 1-line block ×3, first 2 shown]
	v_div_fixup_f32 v95, v95, v74, 1.0
	v_lshlrev_b32_e32 v73, 6, v68
	v_cmp_eq_u32_e64 s7, 5, v70
	v_cmp_eq_u32_e64 s21, 5, v72
	;; [unrolled: 1-line block ×3, first 2 shown]
	v_mul_f32_e32 v102, v94, v95
	v_lshl_or_b32 v75, v69, 11, v73
	v_or_b32_e32 v69, 2, v70
	v_cmp_eq_u32_e64 s26, 6, v72
	v_cmp_eq_u32_e64 s28, 6, v71
	v_fma_mixlo_f16 v94, v102, v79, 0
	v_fma_mixlo_f16 v95, v102, v81, 0
	;; [unrolled: 1-line block ×8, first 2 shown]
	v_lshl_or_b32 v74, v66, 4, v75
	v_fma_mixhi_f16 v94, v102, v78, 0
	v_fma_mixhi_f16 v95, v102, v80, 0
	;; [unrolled: 1-line block ×8, first 2 shown]
	ds_store_b128 v74, v[94:97]
	ds_store_b128 v74, v[98:101] offset:1024
	s_waitcnt lgkmcnt(0)
	s_barrier
	buffer_gl0_inv
	ds_load_b128 v[78:81], v75
	ds_load_b128 v[82:85], v75 offset:16
	ds_load_b128 v[86:89], v75 offset:1024
	;; [unrolled: 1-line block ×3, first 2 shown]
	v_cmp_eq_u32_e64 s11, 1, v69
	v_cmp_eq_u32_e64 s16, 2, v69
	;; [unrolled: 1-line block ×11, first 2 shown]
	s_waitcnt lgkmcnt(3)
	v_lshrrev_b32_e32 v94, 16, v78
	s_waitcnt lgkmcnt(2)
	v_lshrrev_b32_e32 v98, 16, v82
	;; [unrolled: 2-line block ×4, first 2 shown]
	v_lshrrev_b32_e32 v95, 16, v79
	v_cndmask_b32_e64 v110, v78, v94, s5
	v_cndmask_b32_e64 v111, v82, v98, s5
	;; [unrolled: 1-line block ×8, first 2 shown]
	v_lshrrev_b32_e32 v99, 16, v83
	v_cndmask_b32_e64 v94, v86, v102, s5
	v_cndmask_b32_e64 v98, v90, v106, s5
	;; [unrolled: 1-line block ×15, first 2 shown]
	v_lshrrev_b32_e32 v103, 16, v87
	v_lshrrev_b32_e32 v107, 16, v91
	v_cndmask_b32_e64 v113, v115, v83, s16
	v_cndmask_b32_e64 v82, v94, v87, s6
	;; [unrolled: 1-line block ×7, first 2 shown]
	v_cndmask_b32_e32 v90, v102, v95, vcc_lo
	v_cndmask_b32_e32 v102, v106, v99, vcc_lo
	v_cndmask_b32_e64 v106, v110, v95, s15
	v_cndmask_b32_e64 v110, v111, v99, s15
	;; [unrolled: 1-line block ×4, first 2 shown]
	v_lshrrev_b32_e32 v96, 16, v80
	v_lshrrev_b32_e32 v100, 16, v84
	v_cndmask_b32_e64 v111, v112, v95, s18
	v_cndmask_b32_e64 v112, v113, v99, s18
	v_cndmask_b32_e32 v82, v82, v103, vcc_lo
	v_cndmask_b32_e32 v83, v83, v107, vcc_lo
	v_cndmask_b32_e64 v94, v94, v103, s15
	v_cndmask_b32_e64 v90, v90, v80, s4
	;; [unrolled: 1-line block ×7, first 2 shown]
	v_lshrrev_b32_e32 v104, 16, v88
	v_cndmask_b32_e64 v106, v111, v80, s22
	v_cndmask_b32_e64 v110, v112, v84, s22
	;; [unrolled: 1-line block ×11, first 2 shown]
	v_lshrrev_b32_e32 v97, 16, v81
	v_lshrrev_b32_e32 v101, 16, v85
	v_cndmask_b32_e64 v99, v106, v96, s24
	v_cndmask_b32_e64 v102, v110, v100, s24
	;; [unrolled: 1-line block ×7, first 2 shown]
	v_lshrrev_b32_e32 v105, 16, v89
	v_cndmask_b32_e64 v80, v80, v104, s7
	v_cndmask_b32_e64 v84, v84, v81, s8
	v_cndmask_b32_e64 v90, v90, v85, s8
	v_cndmask_b32_e64 v96, v99, v81, s27
	v_cndmask_b32_e64 v99, v102, v85, s27
	v_cndmask_b32_e64 v81, v83, v89, s26
	v_cndmask_b32_e64 v85, v94, v97, s31
	v_cndmask_b32_e64 v78, v78, v97, s30
	v_cndmask_b32_e64 v79, v79, v101, s30
	v_cndmask_b32_e64 v95, v95, v101, s31
	v_cndmask_b32_e64 v80, v80, v89, s8
	v_cndmask_b32_e64 v83, v84, v97, s9
	v_cndmask_b32_e64 v84, v90, v101, s9
	v_cndmask_b32_e64 v90, v96, v97, s29
	v_cndmask_b32_e64 v94, v99, v101, s29
	v_cndmask_b32_e64 v97, v81, v105, s31
	v_perm_b32 v81, v79, v78, 0x5040100
	v_perm_b32 v79, v95, v85, 0x5040100
	v_cndmask_b32_e64 v78, v119, v91, s16
	v_cndmask_b32_e64 v85, v117, v91, s13
	;; [unrolled: 1-line block ×3, first 2 shown]
	v_perm_b32 v80, v94, v90, 0x5040100
	v_cndmask_b32_e64 v90, v98, v103, s18
	v_cndmask_b32_e64 v86, v86, v103, s19
	;; [unrolled: 1-line block ×5, first 2 shown]
	v_lshrrev_b32_e32 v108, 16, v92
	v_cndmask_b32_e64 v90, v90, v88, s22
	v_cndmask_b32_e64 v86, v86, v88, s23
	;; [unrolled: 1-line block ×11, first 2 shown]
	v_lshrrev_b32_e32 v109, 16, v93
	v_cndmask_b32_e64 v82, v82, v93, s8
	v_cndmask_b32_e64 v88, v88, v89, s27
	;; [unrolled: 1-line block ×12, first 2 shown]
	v_perm_b32 v78, v84, v83, 0x5040100
	v_perm_b32 v85, v87, v86, 0x5040100
	;; [unrolled: 1-line block ×5, first 2 shown]
	s_mul_i32 s9, s35, 15
	s_mov_b32 s4, exec_lo
	ds_store_b128 v74, v[78:81]
	ds_store_b128 v74, v[82:85] offset:1024
	v_cmpx_gt_u32_e32 15, v0
	s_cbranch_execz .LBB1100_14
; %bb.13:
	s_mul_i32 s5, s9, s34
	s_load_b128 s[16:19], s[0:1], 0x58
	v_add3_u32 v68, s5, s33, v68
	s_delay_alu instid0(VALU_DEP_1) | instskip(NEXT) | instid1(VALU_DEP_1)
	v_mad_u64_u32 v[78:79], null, v68, s36, s[14:15]
	v_ashrrev_i32_e32 v79, 31, v78
	s_delay_alu instid0(VALU_DEP_1) | instskip(SKIP_1) | instid1(VALU_DEP_1)
	v_lshlrev_b64 v[78:79], 2, v[78:79]
	s_waitcnt lgkmcnt(0)
	v_add_co_u32 v80, vcc_lo, s18, v78
	s_delay_alu instid0(VALU_DEP_2)
	v_add_co_ci_u32_e32 v81, vcc_lo, s19, v79, vcc_lo
	v_add_co_u32 v78, vcc_lo, s16, v78
	v_add_co_ci_u32_e32 v79, vcc_lo, s17, v79, vcc_lo
	global_store_b32 v[80:81], v76, off
	global_store_b32 v[78:79], v77, off
.LBB1100_14:
	s_or_b32 exec_lo, exec_lo, s4
	s_waitcnt lgkmcnt(0)
	s_waitcnt_vscnt null, 0x0
	s_barrier
	buffer_gl0_inv
	ds_load_b128 v[84:87], v73
	ds_load_b128 v[88:91], v73 offset:16
	ds_load_b128 v[96:99], v73 offset:2064
	;; [unrolled: 1-line block ×5, first 2 shown]
	v_cmp_eq_u32_e32 vcc_lo, 1, v70
	v_mov_b32_e32 v76, 0
	ds_load_b128 v[112:115], v73 offset:6160
	ds_load_b128 v[108:111], v73 offset:6144
	;; [unrolled: 1-line block ×4, first 2 shown]
	v_cmp_eq_u32_e64 s5, 1, v69
	v_cmp_eq_u32_e64 s4, 1, v72
	;; [unrolled: 1-line block ×3, first 2 shown]
	v_mov_b32_e32 v77, v76
	v_mov_b32_e32 v78, v76
	v_mov_b32_e32 v79, v76
	v_mov_b32_e32 v80, v76
	v_mov_b32_e32 v81, v76
	v_mov_b32_e32 v82, v76
	v_mov_b32_e32 v83, v76
	v_cmp_eq_u32_e64 s7, 3, v72
	v_cmp_eq_u32_e64 s8, 7, v72
	s_waitcnt lgkmcnt(8)
	s_delay_alu instid0(VALU_DEP_3)
	v_wmma_f32_16x16x16_f16 v[76:83], v[49:56], v[84:91], v[76:83]
	ds_load_b128 v[53:56], v73 offset:10256
	ds_load_b128 v[49:52], v73 offset:10240
	s_waitcnt lgkmcnt(8)
	v_wmma_f32_16x16x16_f16 v[76:83], v[41:48], v[92:99], v[76:83]
	ds_load_b128 v[45:48], v73 offset:12304
	ds_load_b128 v[41:44], v73 offset:12288
	s_waitcnt lgkmcnt(8)
	;; [unrolled: 4-line block ×3, first 2 shown]
	s_barrier
	buffer_gl0_inv
	v_wmma_f32_16x16x16_f16 v[76:83], v[1:8], v[108:115], v[76:83]
	s_delay_alu instid0(VALU_DEP_1) | instskip(NEXT) | instid1(VALU_DEP_1)
	v_wmma_f32_16x16x16_f16 v[76:83], v[9:16], v[116:123], v[76:83]
	v_wmma_f32_16x16x16_f16 v[76:83], v[17:24], v[49:56], v[76:83]
	s_delay_alu instid0(VALU_DEP_1) | instskip(NEXT) | instid1(VALU_DEP_1)
	v_wmma_f32_16x16x16_f16 v[76:83], v[25:32], v[41:48], v[76:83]
	v_wmma_f32_16x16x16_f16 v[76:83], v[57:64], v[33:40], v[76:83]
	s_delay_alu instid0(VALU_DEP_1) | instskip(NEXT) | instid1(VALU_DEP_2)
	v_cvt_f16_f32_e32 v1, v76
	v_cvt_f16_f32_e32 v2, v77
	s_delay_alu instid0(VALU_DEP_3) | instskip(NEXT) | instid1(VALU_DEP_4)
	v_cvt_f16_f32_e32 v3, v78
	v_cvt_f16_f32_e32 v4, v79
	;; [unrolled: 1-line block ×6, first 2 shown]
	v_pack_b32_f16 v1, v1, v2
	v_pack_b32_f16 v2, v3, v4
	;; [unrolled: 1-line block ×3, first 2 shown]
	s_delay_alu instid0(VALU_DEP_4)
	v_pack_b32_f16 v4, v7, v8
	ds_store_b128 v74, v[1:4]
	s_waitcnt lgkmcnt(0)
	s_barrier
	buffer_gl0_inv
	ds_load_b128 v[1:4], v75
	ds_load_b128 v[5:8], v75 offset:16
	s_waitcnt lgkmcnt(1)
	v_lshrrev_b32_e32 v9, 16, v1
	s_waitcnt lgkmcnt(0)
	v_lshrrev_b32_e32 v13, 16, v5
	v_lshrrev_b32_e32 v10, 16, v2
	;; [unrolled: 1-line block ×4, first 2 shown]
	v_cndmask_b32_e32 v17, v1, v9, vcc_lo
	v_cndmask_b32_e32 v18, v5, v13, vcc_lo
	v_cndmask_b32_e64 v21, v1, v9, s5
	v_cmp_eq_u32_e32 vcc_lo, 1, v71
	v_cndmask_b32_e64 v22, v5, v13, s5
	v_cmp_eq_u32_e64 s5, 2, v70
	v_cndmask_b32_e64 v19, v1, v9, s4
	v_cndmask_b32_e64 v20, v5, v13, s4
	v_cndmask_b32_e32 v1, v1, v9, vcc_lo
	v_cmp_eq_u32_e64 s4, 2, v71
	v_cndmask_b32_e32 v5, v5, v13, vcc_lo
	v_cndmask_b32_e64 v9, v17, v2, s5
	v_cmp_eq_u32_e32 vcc_lo, 3, v70
	v_cndmask_b32_e64 v13, v18, v6, s5
	v_cmp_eq_u32_e64 s5, 2, v69
	v_cndmask_b32_e64 v17, v19, v2, s6
	v_cndmask_b32_e64 v18, v20, v6, s6
	v_cmp_eq_u32_e64 s6, 3, v69
	v_cndmask_b32_e64 v1, v1, v2, s4
	v_cndmask_b32_e64 v19, v21, v2, s5
	;; [unrolled: 1-line block ×4, first 2 shown]
	v_cndmask_b32_e32 v5, v9, v10, vcc_lo
	v_cndmask_b32_e32 v6, v13, v14, vcc_lo
	v_cmp_eq_u32_e32 vcc_lo, 3, v71
	v_cndmask_b32_e64 v9, v17, v10, s7
	v_cndmask_b32_e64 v13, v18, v14, s7
	;; [unrolled: 1-line block ×3, first 2 shown]
	v_cmp_eq_u32_e64 s5, 4, v70
	v_cndmask_b32_e32 v1, v1, v10, vcc_lo
	v_cndmask_b32_e32 v2, v2, v14, vcc_lo
	v_cmp_eq_u32_e32 vcc_lo, 4, v72
	v_lshrrev_b32_e32 v15, 16, v7
	v_lshrrev_b32_e32 v16, 16, v8
	v_cndmask_b32_e64 v17, v19, v10, s6
	v_cmp_eq_u32_e64 s4, 4, v71
	v_cndmask_b32_e64 v5, v5, v3, s5
	v_cndmask_b32_e64 v6, v6, v7, s5
	v_cndmask_b32_e32 v9, v9, v3, vcc_lo
	v_cmp_eq_u32_e64 s5, 5, v72
	v_cndmask_b32_e32 v10, v13, v7, vcc_lo
	v_cmp_eq_u32_e32 vcc_lo, 4, v69
	v_cmp_eq_u32_e64 s6, 5, v70
	v_cndmask_b32_e64 v2, v2, v7, s4
	v_cndmask_b32_e64 v9, v9, v11, s5
	;; [unrolled: 1-line block ×3, first 2 shown]
	v_cndmask_b32_e32 v13, v17, v3, vcc_lo
	v_cmp_eq_u32_e64 s5, 5, v69
	v_cndmask_b32_e32 v14, v18, v7, vcc_lo
	v_cndmask_b32_e64 v1, v1, v3, s4
	v_cmp_eq_u32_e32 vcc_lo, 5, v71
	v_lshrrev_b32_e32 v12, 16, v4
	v_cndmask_b32_e64 v13, v13, v11, s5
	v_cndmask_b32_e64 v3, v14, v15, s5
	v_cmp_eq_u32_e64 s5, 6, v71
	v_cndmask_b32_e32 v1, v1, v11, vcc_lo
	v_cndmask_b32_e64 v5, v5, v11, s6
	v_cmp_eq_u32_e64 s7, 6, v70
	v_cndmask_b32_e64 v6, v6, v15, s6
	v_cmp_eq_u32_e64 s6, 6, v72
	v_cmp_eq_u32_e64 s4, 6, v69
	v_cndmask_b32_e64 v1, v1, v4, s5
	v_cndmask_b32_e32 v2, v2, v15, vcc_lo
	v_cmp_eq_u32_e32 vcc_lo, 7, v71
	v_cndmask_b32_e64 v5, v5, v4, s7
	v_cndmask_b32_e64 v9, v9, v4, s6
	;; [unrolled: 1-line block ×3, first 2 shown]
	v_cmp_eq_u32_e64 s7, 7, v70
	v_cndmask_b32_e32 v1, v1, v12, vcc_lo
	v_cndmask_b32_e64 v7, v13, v4, s4
	v_cndmask_b32_e64 v3, v3, v8, s4
	;; [unrolled: 1-line block ×3, first 2 shown]
	v_cmp_eq_u32_e64 s4, 7, v69
	v_cndmask_b32_e64 v4, v10, v8, s6
	v_cndmask_b32_e64 v5, v5, v12, s7
	;; [unrolled: 1-line block ×3, first 2 shown]
	v_cndmask_b32_e32 v2, v2, v16, vcc_lo
	v_cndmask_b32_e64 v7, v7, v12, s4
	v_cndmask_b32_e64 v3, v3, v16, s4
	;; [unrolled: 1-line block ×4, first 2 shown]
	v_cmp_gt_u32_e32 vcc_lo, 32, v0
	v_perm_b32 v4, v2, v1, 0x5040100
	v_perm_b32 v3, v3, v7, 0x5040100
	;; [unrolled: 1-line block ×4, first 2 shown]
	s_and_b32 s2, vcc_lo, s2
	ds_store_b128 v74, v[1:4]
	s_waitcnt lgkmcnt(0)
	s_barrier
	buffer_gl0_inv
	s_and_saveexec_b32 s4, s2
	s_cbranch_execz .LBB1100_2
; %bb.15:
	s_load_b64 s[4:5], s[0:1], 0x68
	v_add_nc_u32_e32 v20, s33, v66
	v_lshlrev_b32_e32 v0, 10, v0
	v_lshlrev_b32_e32 v1, 4, v67
	s_lshl_b32 s0, s36, 6
	s_delay_alu instid0(SALU_CYCLE_1)
	s_mul_i32 s1, s0, s34
	v_add_nc_u32_e32 v2, 2, v20
	s_mul_i32 s6, s1, s9
	v_and_or_b32 v0, 0x3800, v0, v1
	v_mul_lo_u32 v1, v20, s0
	s_ashr_i32 s7, s6, 31
	v_mul_lo_u32 v11, v2, s0
	s_lshl_b64 s[6:7], s[6:7], 1
	v_add_nc_u32_e32 v3, 4, v20
	v_lshl_or_b32 v21, v66, 6, v0
	v_add_nc_u32_e32 v16, 6, v20
	v_ashrrev_i32_e32 v2, 31, v1
	s_delay_alu instid0(VALU_DEP_4)
	v_mul_lo_u32 v13, v3, s0
	s_waitcnt lgkmcnt(0)
	s_add_u32 s1, s4, s6
	s_addc_u32 s2, s5, s7
	s_lshl_b32 s4, s14, 6
	ds_load_b128 v[3:6], v21
	ds_load_b128 v[7:10], v21 offset:128
	s_ashr_i32 s5, s4, 31
	v_ashrrev_i32_e32 v12, 31, v11
	s_lshl_b64 s[4:5], s[4:5], 1
	v_lshlrev_b64 v[14:15], 1, v[1:2]
	s_add_u32 s1, s1, s4
	s_addc_u32 s2, s2, s5
	v_add_co_u32 v1, s1, s1, v65
	s_delay_alu instid0(VALU_DEP_1) | instskip(SKIP_1) | instid1(VALU_DEP_3)
	v_add_co_ci_u32_e64 v2, null, s2, 0, s1
	v_lshlrev_b64 v[11:12], 1, v[11:12]
	v_add_co_u32 v18, vcc_lo, v1, v14
	v_mul_lo_u32 v16, v16, s0
	s_delay_alu instid0(VALU_DEP_4) | instskip(NEXT) | instid1(VALU_DEP_4)
	v_add_co_ci_u32_e32 v19, vcc_lo, v2, v15, vcc_lo
	v_add_co_u32 v11, vcc_lo, v1, v11
	v_ashrrev_i32_e32 v14, 31, v13
	v_add_co_ci_u32_e32 v12, vcc_lo, v2, v12, vcc_lo
	v_add_nc_u32_e32 v15, 8, v20
	v_ashrrev_i32_e32 v17, 31, v16
	s_waitcnt lgkmcnt(1)
	global_store_b128 v[18:19], v[3:6], off
	v_lshlrev_b64 v[3:4], 1, v[13:14]
	s_waitcnt lgkmcnt(0)
	global_store_b128 v[11:12], v[7:10], off
	v_mul_lo_u32 v11, v15, s0
	v_add_nc_u32_e32 v7, 10, v20
	v_lshlrev_b64 v[5:6], 1, v[16:17]
	v_add_co_u32 v23, vcc_lo, v1, v3
	v_add_nc_u32_e32 v3, 12, v20
	s_delay_alu instid0(VALU_DEP_4)
	v_mul_lo_u32 v25, v7, s0
	v_ashrrev_i32_e32 v12, 31, v11
	v_add_co_ci_u32_e32 v24, vcc_lo, v2, v4, vcc_lo
	v_add_co_u32 v27, vcc_lo, v1, v5
	v_mul_lo_u32 v29, v3, s0
	v_add_co_ci_u32_e32 v28, vcc_lo, v2, v6, vcc_lo
	ds_load_b128 v[3:6], v21 offset:256
	ds_load_b128 v[7:10], v21 offset:384
	v_lshlrev_b64 v[31:32], 1, v[11:12]
	ds_load_b128 v[11:14], v21 offset:512
	ds_load_b128 v[15:18], v21 offset:640
	;; [unrolled: 1-line block ×3, first 2 shown]
	v_ashrrev_i32_e32 v26, 31, v25
	v_ashrrev_i32_e32 v30, 31, v29
	v_add_co_u32 v31, vcc_lo, v1, v31
	s_delay_alu instid0(VALU_DEP_3) | instskip(NEXT) | instid1(VALU_DEP_3)
	v_lshlrev_b64 v[25:26], 1, v[25:26]
	v_lshlrev_b64 v[29:30], 1, v[29:30]
	v_add_co_ci_u32_e32 v32, vcc_lo, v2, v32, vcc_lo
	s_delay_alu instid0(VALU_DEP_3) | instskip(NEXT) | instid1(VALU_DEP_4)
	v_add_co_u32 v25, vcc_lo, v1, v25
	v_add_co_ci_u32_e32 v26, vcc_lo, v2, v26, vcc_lo
	s_delay_alu instid0(VALU_DEP_4)
	v_add_co_u32 v29, vcc_lo, v1, v29
	v_add_co_ci_u32_e32 v30, vcc_lo, v2, v30, vcc_lo
	s_waitcnt lgkmcnt(4)
	global_store_b128 v[23:24], v[3:6], off
	s_waitcnt lgkmcnt(3)
	global_store_b128 v[27:28], v[7:10], off
	;; [unrolled: 2-line block ×5, first 2 shown]
	s_and_b32 exec_lo, exec_lo, s3
	s_cbranch_execz .LBB1100_2
; %bb.16:
	ds_load_b128 v[3:6], v0 offset:896
	s_add_i32 s1, s33, 14
	s_delay_alu instid0(SALU_CYCLE_1) | instskip(NEXT) | instid1(SALU_CYCLE_1)
	s_mul_i32 s0, s1, s0
	s_ashr_i32 s1, s0, 31
	s_delay_alu instid0(SALU_CYCLE_1) | instskip(NEXT) | instid1(SALU_CYCLE_1)
	s_lshl_b64 s[0:1], s[0:1], 1
	v_add_co_u32 v0, vcc_lo, v1, s0
	v_add_co_ci_u32_e32 v1, vcc_lo, s1, v2, vcc_lo
	s_waitcnt lgkmcnt(0)
	global_store_b128 v[0:1], v[3:6], off
	s_nop 0
	s_sendmsg sendmsg(MSG_DEALLOC_VGPRS)
	s_endpgm
	.section	.rodata,"a",@progbits
	.p2align	6, 0x0
	.amdhsa_kernel _Z39paged_attention_ll4mi_QKV_mfma16_kernelIDF16_hLN4vllm18Fp8KVCacheDataTypeE1EhLi16ELi64ELi256ELb1ELi15EL8MFMAType0EEvPKT_PKT0_S8_ifPKiSA_SA_iPKfiiiPfSD_PS3_PT2_iSC_SC_
		.amdhsa_group_segment_fixed_size 17472
		.amdhsa_private_segment_fixed_size 0
		.amdhsa_kernarg_size 400
		.amdhsa_user_sgpr_count 13
		.amdhsa_user_sgpr_dispatch_ptr 0
		.amdhsa_user_sgpr_queue_ptr 0
		.amdhsa_user_sgpr_kernarg_segment_ptr 1
		.amdhsa_user_sgpr_dispatch_id 0
		.amdhsa_user_sgpr_private_segment_size 0
		.amdhsa_wavefront_size32 1
		.amdhsa_uses_dynamic_stack 0
		.amdhsa_enable_private_segment 0
		.amdhsa_system_sgpr_workgroup_id_x 1
		.amdhsa_system_sgpr_workgroup_id_y 1
		.amdhsa_system_sgpr_workgroup_id_z 1
		.amdhsa_system_sgpr_workgroup_info 0
		.amdhsa_system_vgpr_workitem_id 0
		.amdhsa_next_free_vgpr 146
		.amdhsa_next_free_sgpr 37
		.amdhsa_reserve_vcc 1
		.amdhsa_float_round_mode_32 0
		.amdhsa_float_round_mode_16_64 0
		.amdhsa_float_denorm_mode_32 3
		.amdhsa_float_denorm_mode_16_64 3
		.amdhsa_dx10_clamp 1
		.amdhsa_ieee_mode 1
		.amdhsa_fp16_overflow 0
		.amdhsa_workgroup_processor_mode 1
		.amdhsa_memory_ordered 1
		.amdhsa_forward_progress 0
		.amdhsa_shared_vgpr_count 0
		.amdhsa_exception_fp_ieee_invalid_op 0
		.amdhsa_exception_fp_denorm_src 0
		.amdhsa_exception_fp_ieee_div_zero 0
		.amdhsa_exception_fp_ieee_overflow 0
		.amdhsa_exception_fp_ieee_underflow 0
		.amdhsa_exception_fp_ieee_inexact 0
		.amdhsa_exception_int_div_zero 0
	.end_amdhsa_kernel
	.section	.text._Z39paged_attention_ll4mi_QKV_mfma16_kernelIDF16_hLN4vllm18Fp8KVCacheDataTypeE1EhLi16ELi64ELi256ELb1ELi15EL8MFMAType0EEvPKT_PKT0_S8_ifPKiSA_SA_iPKfiiiPfSD_PS3_PT2_iSC_SC_,"axG",@progbits,_Z39paged_attention_ll4mi_QKV_mfma16_kernelIDF16_hLN4vllm18Fp8KVCacheDataTypeE1EhLi16ELi64ELi256ELb1ELi15EL8MFMAType0EEvPKT_PKT0_S8_ifPKiSA_SA_iPKfiiiPfSD_PS3_PT2_iSC_SC_,comdat
.Lfunc_end1100:
	.size	_Z39paged_attention_ll4mi_QKV_mfma16_kernelIDF16_hLN4vllm18Fp8KVCacheDataTypeE1EhLi16ELi64ELi256ELb1ELi15EL8MFMAType0EEvPKT_PKT0_S8_ifPKiSA_SA_iPKfiiiPfSD_PS3_PT2_iSC_SC_, .Lfunc_end1100-_Z39paged_attention_ll4mi_QKV_mfma16_kernelIDF16_hLN4vllm18Fp8KVCacheDataTypeE1EhLi16ELi64ELi256ELb1ELi15EL8MFMAType0EEvPKT_PKT0_S8_ifPKiSA_SA_iPKfiiiPfSD_PS3_PT2_iSC_SC_
                                        ; -- End function
	.section	.AMDGPU.csdata,"",@progbits
; Kernel info:
; codeLenInByte = 6752
; NumSgprs: 39
; NumVgprs: 146
; ScratchSize: 0
; MemoryBound: 0
; FloatMode: 240
; IeeeMode: 1
; LDSByteSize: 17472 bytes/workgroup (compile time only)
; SGPRBlocks: 4
; VGPRBlocks: 18
; NumSGPRsForWavesPerEU: 39
; NumVGPRsForWavesPerEU: 146
; Occupancy: 9
; WaveLimiterHint : 1
; COMPUTE_PGM_RSRC2:SCRATCH_EN: 0
; COMPUTE_PGM_RSRC2:USER_SGPR: 13
; COMPUTE_PGM_RSRC2:TRAP_HANDLER: 0
; COMPUTE_PGM_RSRC2:TGID_X_EN: 1
; COMPUTE_PGM_RSRC2:TGID_Y_EN: 1
; COMPUTE_PGM_RSRC2:TGID_Z_EN: 1
; COMPUTE_PGM_RSRC2:TIDIG_COMP_CNT: 0
	.section	.text._Z39paged_attention_ll4mi_QKV_mfma16_kernelIDF16_hLN4vllm18Fp8KVCacheDataTypeE1EhLi16ELi64ELi256ELb1ELi16EL8MFMAType0EEvPKT_PKT0_S8_ifPKiSA_SA_iPKfiiiPfSD_PS3_PT2_iSC_SC_,"axG",@progbits,_Z39paged_attention_ll4mi_QKV_mfma16_kernelIDF16_hLN4vllm18Fp8KVCacheDataTypeE1EhLi16ELi64ELi256ELb1ELi16EL8MFMAType0EEvPKT_PKT0_S8_ifPKiSA_SA_iPKfiiiPfSD_PS3_PT2_iSC_SC_,comdat
	.protected	_Z39paged_attention_ll4mi_QKV_mfma16_kernelIDF16_hLN4vllm18Fp8KVCacheDataTypeE1EhLi16ELi64ELi256ELb1ELi16EL8MFMAType0EEvPKT_PKT0_S8_ifPKiSA_SA_iPKfiiiPfSD_PS3_PT2_iSC_SC_ ; -- Begin function _Z39paged_attention_ll4mi_QKV_mfma16_kernelIDF16_hLN4vllm18Fp8KVCacheDataTypeE1EhLi16ELi64ELi256ELb1ELi16EL8MFMAType0EEvPKT_PKT0_S8_ifPKiSA_SA_iPKfiiiPfSD_PS3_PT2_iSC_SC_
	.globl	_Z39paged_attention_ll4mi_QKV_mfma16_kernelIDF16_hLN4vllm18Fp8KVCacheDataTypeE1EhLi16ELi64ELi256ELb1ELi16EL8MFMAType0EEvPKT_PKT0_S8_ifPKiSA_SA_iPKfiiiPfSD_PS3_PT2_iSC_SC_
	.p2align	8
	.type	_Z39paged_attention_ll4mi_QKV_mfma16_kernelIDF16_hLN4vllm18Fp8KVCacheDataTypeE1EhLi16ELi64ELi256ELb1ELi16EL8MFMAType0EEvPKT_PKT0_S8_ifPKiSA_SA_iPKfiiiPfSD_PS3_PT2_iSC_SC_,@function
_Z39paged_attention_ll4mi_QKV_mfma16_kernelIDF16_hLN4vllm18Fp8KVCacheDataTypeE1EhLi16ELi64ELi256ELb1ELi16EL8MFMAType0EEvPKT_PKT0_S8_ifPKiSA_SA_iPKfiiiPfSD_PS3_PT2_iSC_SC_: ; @_Z39paged_attention_ll4mi_QKV_mfma16_kernelIDF16_hLN4vllm18Fp8KVCacheDataTypeE1EhLi16ELi64ELi256ELb1ELi16EL8MFMAType0EEvPKT_PKT0_S8_ifPKiSA_SA_iPKfiiiPfSD_PS3_PT2_iSC_SC_
; %bb.0:
	s_load_b64 s[2:3], s[0:1], 0x30
	s_mov_b32 s34, s13
	s_waitcnt lgkmcnt(0)
	s_cmp_lg_u64 s[2:3], 0
	s_cselect_b32 s8, -1, 0
	s_ashr_i32 s35, s13, 31
	s_cmp_eq_u64 s[2:3], 0
	s_cbranch_scc1 .LBB1101_3
; %bb.1:
	s_lshl_b64 s[4:5], s[34:35], 2
	s_delay_alu instid0(SALU_CYCLE_1) | instskip(SKIP_4) | instid1(SALU_CYCLE_1)
	s_add_u32 s4, s2, s4
	s_addc_u32 s5, s3, s5
	s_load_b64 s[4:5], s[4:5], 0x0
	s_waitcnt lgkmcnt(0)
	s_sub_i32 s4, s5, s4
	s_cmp_eq_u32 s4, 1
	s_cselect_b32 s4, -1, 0
	s_delay_alu instid0(SALU_CYCLE_1)
	s_and_not1_b32 vcc_lo, exec_lo, s4
	s_cbranch_vccz .LBB1101_4
.LBB1101_2:
	s_endpgm
.LBB1101_3:
.LBB1101_4:
	s_load_b64 s[4:5], s[0:1], 0x28
	s_lshl_b64 s[6:7], s[34:35], 2
	s_waitcnt lgkmcnt(0)
	s_add_u32 s4, s4, s6
	s_addc_u32 s5, s5, s7
	s_lshl_b32 s12, s14, 8
	s_load_b32 s24, s[4:5], 0x0
	s_waitcnt lgkmcnt(0)
	s_cmp_ge_i32 s12, s24
	s_cbranch_scc1 .LBB1101_2
; %bb.5:
	s_clause 0x1
	s_load_b128 s[20:23], s[0:1], 0x8
	s_load_b64 s[4:5], s[0:1], 0x20
	s_and_not1_b32 vcc_lo, exec_lo, s8
	s_cbranch_vccnz .LBB1101_7
; %bb.6:
	s_add_u32 s2, s2, s6
	s_addc_u32 s3, s3, s7
	s_load_b32 s3, s[2:3], 0x0
	s_branch .LBB1101_8
.LBB1101_7:
	s_mov_b32 s3, s34
.LBB1101_8:
	s_load_b128 s[16:19], s[0:1], 0x48
	v_and_b32_e32 v70, 15, v0
	v_cmp_gt_u32_e32 vcc_lo, 0x100, v0
	v_lshrrev_b32_e32 v69, 5, v0
	v_and_b32_e32 v71, 31, v0
	v_and_b32_e32 v67, 1, v0
	v_lshlrev_b32_e32 v1, 3, v70
	v_cmp_gt_u32_e64 s2, 8, v70
	v_bfe_u32 v66, v0, 4, 1
	s_lshl_b32 s31, s15, 4
	s_delay_alu instid0(VALU_DEP_3) | instskip(NEXT) | instid1(VALU_DEP_3)
	v_lshlrev_b32_e32 v65, 1, v1
	s_and_b32 s7, vcc_lo, s2
	s_delay_alu instid0(SALU_CYCLE_1)
	s_and_saveexec_b32 s6, s7
	s_cbranch_execz .LBB1101_10
; %bb.9:
	v_lshl_or_b32 v5, v69, 1, v66
	s_load_b64 s[8:9], s[0:1], 0x0
	s_waitcnt lgkmcnt(0)
	s_mul_hi_i32 s11, s3, s16
	s_mul_i32 s10, s3, s16
	v_lshlrev_b32_e32 v6, 10, v70
	v_or_b32_e32 v1, s31, v5
	s_lshl_b64 s[10:11], s[10:11], 1
	v_lshlrev_b32_e32 v5, 6, v5
	v_lshlrev_b32_e32 v7, 10, v67
	v_and_b32_e32 v6, 0x3800, v6
	v_lshlrev_b32_e32 v1, 6, v1
	s_delay_alu instid0(VALU_DEP_2) | instskip(NEXT) | instid1(VALU_DEP_2)
	v_or3_b32 v5, v6, v7, v5
	v_ashrrev_i32_e32 v2, 31, v1
	s_delay_alu instid0(VALU_DEP_1) | instskip(SKIP_2) | instid1(VALU_DEP_1)
	v_lshlrev_b64 v[1:2], 1, v[1:2]
	s_add_u32 s3, s8, s10
	s_addc_u32 s7, s9, s11
	v_add_co_u32 v1, vcc_lo, s3, v1
	s_delay_alu instid0(VALU_DEP_2) | instskip(NEXT) | instid1(VALU_DEP_2)
	v_add_co_ci_u32_e32 v2, vcc_lo, s7, v2, vcc_lo
	v_add_co_u32 v1, vcc_lo, v1, v65
	s_delay_alu instid0(VALU_DEP_2)
	v_add_co_ci_u32_e32 v2, vcc_lo, 0, v2, vcc_lo
	global_load_b128 v[1:4], v[1:2], off
	s_waitcnt vmcnt(0)
	ds_store_b128 v5, v[1:4]
.LBB1101_10:
	s_or_b32 exec_lo, exec_lo, s6
	v_and_b32_e32 v1, 0xef, v0
	s_waitcnt lgkmcnt(0)
	s_add_i32 s3, s24, 15
	s_clause 0x1
	s_load_b32 s6, s[0:1], 0x38
	s_load_b32 s33, s[0:1], 0x98
	s_ashr_i32 s7, s3, 31
	v_add_nc_u32_e32 v1, s12, v1
	s_lshr_b32 s7, s7, 28
	s_load_b32 s19, s[0:1], 0x1c
	s_add_i32 s3, s3, s7
	s_waitcnt lgkmcnt(0)
	v_ashrrev_i32_e32 v2, 31, v1
	v_or_b32_e32 v3, 16, v1
	s_ashr_i32 s3, s3, 4
	v_cmp_gt_i32_e32 vcc_lo, s24, v1
	s_add_i32 s3, s3, -1
	v_lshrrev_b32_e32 v2, 28, v2
	s_barrier
	buffer_gl0_inv
	s_mul_i32 s27, s15, s18
	v_add_nc_u32_e32 v4, v1, v2
	s_mul_i32 s6, s34, s6
	s_delay_alu instid0(SALU_CYCLE_1) | instskip(NEXT) | instid1(VALU_DEP_1)
	s_ashr_i32 s7, s6, 31
	v_ashrrev_i32_e32 v4, 4, v4
	v_add_nc_u32_e32 v2, v3, v2
	s_lshl_b64 s[6:7], s[6:7], 2
	s_delay_alu instid0(SALU_CYCLE_1) | instskip(NEXT) | instid1(VALU_DEP_2)
	s_add_u32 s26, s4, s6
	v_cndmask_b32_e32 v1, s3, v4, vcc_lo
	s_delay_alu instid0(VALU_DEP_2)
	v_ashrrev_i32_e32 v2, 4, v2
	v_cmp_gt_i32_e32 vcc_lo, s24, v3
	s_addc_u32 s25, s5, s7
	s_ashr_i32 s28, s27, 31
	s_add_u32 s13, s20, s27
	s_addc_u32 s15, s21, s28
	v_cndmask_b32_e32 v3, s3, v2, vcc_lo
	v_ashrrev_i32_e32 v2, 31, v1
	s_lshl_b32 s4, s14, 4
	s_delay_alu instid0(SALU_CYCLE_1) | instskip(NEXT) | instid1(VALU_DEP_2)
	s_ashr_i32 s5, s4, 31
	v_ashrrev_i32_e32 v4, 31, v3
	s_delay_alu instid0(VALU_DEP_2) | instskip(SKIP_1) | instid1(SALU_CYCLE_1)
	v_lshlrev_b64 v[1:2], 2, v[1:2]
	s_lshl_b64 s[4:5], s[4:5], 2
	s_add_u32 s4, s26, s4
	s_delay_alu instid0(VALU_DEP_2) | instskip(SKIP_1) | instid1(VALU_DEP_2)
	v_lshlrev_b64 v[3:4], 2, v[3:4]
	s_addc_u32 s5, s25, s5
	v_add_co_u32 v1, vcc_lo, s26, v1
	v_add_co_ci_u32_e32 v2, vcc_lo, s25, v2, vcc_lo
	s_delay_alu instid0(VALU_DEP_3) | instskip(NEXT) | instid1(VALU_DEP_4)
	v_add_co_u32 v3, vcc_lo, s26, v3
	v_add_co_ci_u32_e32 v4, vcc_lo, s25, v4, vcc_lo
	s_clause 0x1
	global_load_b32 v5, v[1:2], off
	global_load_b32 v7, v[3:4], off
	s_or_b32 s6, s12, 32
	v_lshlrev_b32_e32 v1, 4, v0
	s_ashr_i32 s7, s6, 4
	s_cmp_lt_i32 s6, s24
	s_cselect_b32 s6, s7, s3
	s_delay_alu instid0(VALU_DEP_1) | instskip(SKIP_1) | instid1(SALU_CYCLE_1)
	v_and_b32_e32 v1, 0xf0, v1
	s_ashr_i32 s7, s6, 31
	s_lshl_b64 s[6:7], s[6:7], 2
	s_delay_alu instid0(SALU_CYCLE_1)
	s_add_u32 s6, s26, s6
	s_addc_u32 s7, s25, s7
	s_or_b32 s8, s12, 64
	v_add_co_u32 v1, s13, s13, v1
	s_ashr_i32 s9, s8, 4
	s_cmp_lt_i32 s8, s24
	v_add_co_ci_u32_e64 v2, null, s15, 0, s13
	s_cselect_b32 s8, s9, s3
	s_delay_alu instid0(SALU_CYCLE_1) | instskip(NEXT) | instid1(SALU_CYCLE_1)
	s_ashr_i32 s9, s8, 31
	s_lshl_b64 s[8:9], s[8:9], 2
	s_delay_alu instid0(SALU_CYCLE_1) | instskip(SKIP_2) | instid1(SALU_CYCLE_1)
	s_add_u32 s8, s26, s8
	s_addc_u32 s9, s25, s9
	s_or_b32 s10, s12, 0x60
	s_ashr_i32 s11, s10, 4
	s_cmp_lt_i32 s10, s24
	s_cselect_b32 s10, s11, s3
	s_delay_alu instid0(SALU_CYCLE_1) | instskip(NEXT) | instid1(SALU_CYCLE_1)
	s_ashr_i32 s11, s10, 31
	s_lshl_b64 s[10:11], s[10:11], 2
	s_delay_alu instid0(SALU_CYCLE_1) | instskip(SKIP_2) | instid1(SALU_CYCLE_1)
	s_add_u32 s10, s26, s10
	s_addc_u32 s11, s25, s11
	s_or_b32 s16, s12, 0x80
	s_ashr_i32 s18, s16, 4
	s_cmp_lt_i32 s16, s24
	;; [unrolled: 10-line block ×3, first 2 shown]
	s_cselect_b32 s20, s18, s3
	s_delay_alu instid0(SALU_CYCLE_1) | instskip(NEXT) | instid1(SALU_CYCLE_1)
	s_ashr_i32 s21, s20, 31
	s_lshl_b64 s[20:21], s[20:21], 2
	s_delay_alu instid0(SALU_CYCLE_1)
	s_add_u32 s38, s26, s20
	s_addc_u32 s39, s25, s21
	s_clause 0x5
	s_load_b32 s21, s[4:5], 0x0
	s_load_b32 s13, s[6:7], 0x0
	;; [unrolled: 1-line block ×6, first 2 shown]
	s_or_b32 s6, s12, 0xc0
	s_mov_b32 s4, 0
	s_ashr_i32 s7, s6, 4
	s_cmp_lt_i32 s6, s24
	s_mov_b32 s5, s4
	s_cselect_b32 s10, s7, s3
	s_mov_b32 s6, s4
	s_ashr_i32 s11, s10, 31
	s_mov_b32 s7, s4
	s_lshl_b64 s[10:11], s[10:11], 2
	s_mov_b32 s8, s4
	s_add_u32 s36, s26, s10
	s_addc_u32 s37, s25, s11
	s_or_b32 s11, s12, 0xe0
	s_mov_b32 s9, s4
	s_ashr_i32 s29, s11, 4
	s_cmp_lt_i32 s11, s24
	s_mov_b32 s11, s4
	s_cselect_b32 s38, s29, s3
	s_mov_b32 s10, s4
	s_ashr_i32 s39, s38, 31
	v_dual_mov_b32 v103, s11 :: v_dual_mov_b32 v96, s4
	v_dual_mov_b32 v101, s9 :: v_dual_lshlrev_b32 v68, 6, v70
	v_mov_b32_e32 v102, s10
	v_dual_mov_b32 v100, s8 :: v_dual_mov_b32 v99, s7
	v_dual_mov_b32 v98, s6 :: v_dual_mov_b32 v97, s5
	s_lshl_b64 s[4:5], s[38:39], 2
	s_delay_alu instid0(SALU_CYCLE_1)
	s_add_u32 s4, s26, s4
	s_addc_u32 s5, s25, s5
	s_add_u32 s6, s22, s27
	s_addc_u32 s7, s23, s28
	s_waitcnt vmcnt(1)
	v_mad_i64_i32 v[3:4], null, v5, s17, v[1:2]
	s_waitcnt vmcnt(0)
	v_mad_i64_i32 v[5:6], null, v7, s17, v[1:2]
	v_lshlrev_b32_e32 v1, 4, v70
	s_clause 0x7
	global_load_b128 v[57:60], v[3:4], off
	global_load_b128 v[61:64], v[3:4], off offset:256
	global_load_b128 v[72:75], v[5:6], off
	global_load_b128 v[76:79], v[5:6], off offset:256
	global_load_b128 v[80:83], v[3:4], off offset:512
	;; [unrolled: 1-line block ×5, first 2 shown]
	v_lshl_or_b32 v1, v69, 8, v1
	s_load_b32 s3, s[36:37], 0x0
	ds_load_b128 v[104:107], v68
	ds_load_b128 v[108:111], v68 offset:1024
	s_load_b32 s4, s[4:5], 0x0
	v_add_co_u32 v17, s6, s6, v1
	s_delay_alu instid0(VALU_DEP_1) | instskip(SKIP_1) | instid1(VALU_DEP_1)
	v_add_co_ci_u32_e64 v18, null, s7, 0, s6
	s_waitcnt lgkmcnt(0)
	v_mad_i64_i32 v[1:2], null, s21, s17, v[17:18]
	v_mad_i64_i32 v[3:4], null, s13, s17, v[17:18]
	;; [unrolled: 1-line block ×7, first 2 shown]
	s_clause 0x9
	global_load_b128 v[49:52], v[1:2], off
	global_load_b128 v[53:56], v[1:2], off offset:16
	global_load_b128 v[41:44], v[3:4], off
	global_load_b128 v[45:48], v[3:4], off offset:16
	;; [unrolled: 2-line block ×5, first 2 shown]
	v_mad_i64_i32 v[120:121], null, s4, s17, v[17:18]
	s_clause 0x3
	global_load_b128 v[17:20], v[21:22], off
	global_load_b128 v[21:24], v[21:22], off offset:16
	global_load_b128 v[25:28], v[29:30], off
	global_load_b128 v[29:32], v[29:30], off offset:16
	s_waitcnt vmcnt(20)
	v_wmma_f32_16x16x16_f16 v[112:119], v[57:64], v[104:111], v[96:103]
	s_clause 0x1
	global_load_b128 v[57:60], v[120:121], off
	global_load_b128 v[61:64], v[120:121], off offset:16
	s_waitcnt vmcnt(20)
	v_wmma_f32_16x16x16_f16 v[96:103], v[72:79], v[104:111], v[96:103]
	ds_load_b128 v[72:75], v68 offset:2048
	ds_load_b128 v[76:79], v68 offset:3072
	v_and_b32_e32 v104, 0xe0, v0
	v_mbcnt_lo_u32_b32 v105, -1, 0
	s_waitcnt vmcnt(0) lgkmcnt(0)
	s_barrier
	buffer_gl0_inv
	v_add_nc_u32_e32 v104, s12, v104
	v_xor_b32_e32 v106, 16, v105
	s_delay_alu instid0(VALU_DEP_2) | instskip(NEXT) | instid1(VALU_DEP_2)
	v_or_b32_e32 v104, v104, v66
	v_cmp_gt_i32_e32 vcc_lo, 32, v106
	s_delay_alu instid0(VALU_DEP_2)
	v_or_b32_e32 v107, 4, v104
	v_or_b32_e32 v108, 6, v104
	v_cmp_gt_i32_e64 s3, s24, v104
	v_or_b32_e32 v109, 8, v104
	v_wmma_f32_16x16x16_f16 v[112:119], v[80:87], v[72:79], v[112:119]
	v_cndmask_b32_e32 v105, v105, v106, vcc_lo
	v_or_b32_e32 v106, 2, v104
	v_wmma_f32_16x16x16_f16 v[96:103], v[88:95], v[72:79], v[96:103]
	v_or_b32_e32 v80, 10, v104
	v_dual_mul_f32 v90, s19, v112 :: v_dual_mul_f32 v89, s19, v113
	s_delay_alu instid0(VALU_DEP_4) | instskip(NEXT) | instid1(VALU_DEP_4)
	v_cmp_gt_i32_e32 vcc_lo, s24, v106
	v_dual_mul_f32 v94, s19, v100 :: v_dual_mul_f32 v77, s19, v117
	v_dual_mul_f32 v88, s19, v114 :: v_dual_mul_f32 v79, s19, v115
	v_mul_f32_e32 v92, s19, v102
	v_cndmask_b32_e64 v90, 0xff7fffff, v90, s3
	v_cndmask_b32_e32 v89, 0xff7fffff, v89, vcc_lo
	v_cmp_gt_i32_e64 s4, s24, v107
	v_cmp_gt_i32_e64 s5, s24, v108
	v_or_b32_e32 v81, 12, v104
	v_or_b32_e32 v82, 14, v104
	v_mul_f32_e32 v78, s19, v116
	v_cndmask_b32_e64 v88, 0xff7fffff, v88, s4
	v_cndmask_b32_e64 v79, 0xff7fffff, v79, s5
	v_max3_f32 v89, v90, 0xff7fffff, v89
	v_cmp_gt_i32_e64 s6, s24, v109
	v_cmp_gt_i32_e64 s7, s24, v80
	v_or_b32_e32 v83, 16, v104
	v_or_b32_e32 v84, 18, v104
	v_dual_mul_f32 v75, s19, v119 :: v_dual_mul_f32 v76, s19, v118
	v_cndmask_b32_e64 v78, 0xff7fffff, v78, s6
	v_cndmask_b32_e64 v77, 0xff7fffff, v77, s7
	v_max3_f32 v79, v89, v88, v79
	v_cmp_gt_i32_e64 s8, s24, v81
	v_cmp_gt_i32_e64 s9, s24, v82
	v_or_b32_e32 v85, 20, v104
	v_or_b32_e32 v86, 22, v104
	;; [unrolled: 1-line block ×6, first 2 shown]
	v_dual_mul_f32 v95, s19, v99 :: v_dual_mul_f32 v104, s19, v97
	v_mul_f32_e32 v107, s19, v96
	v_cndmask_b32_e64 v76, 0xff7fffff, v76, s8
	v_cndmask_b32_e64 v75, 0xff7fffff, v75, s9
	v_max3_f32 v77, v79, v78, v77
	v_cmp_gt_i32_e64 s10, s24, v83
	v_cmp_gt_i32_e64 s11, s24, v84
	v_dual_mul_f32 v91, s19, v103 :: v_dual_mul_f32 v106, s19, v98
	s_delay_alu instid0(VALU_DEP_4) | instskip(NEXT) | instid1(VALU_DEP_4)
	v_max3_f32 v75, v77, v76, v75
	v_cndmask_b32_e64 v78, 0xff7fffff, v107, s10
	s_delay_alu instid0(VALU_DEP_4)
	v_cndmask_b32_e64 v79, 0xff7fffff, v104, s11
	v_cmp_gt_i32_e64 s12, s24, v85
	v_cmp_gt_i32_e64 s13, s24, v86
	v_mul_f32_e32 v93, s19, v101
	v_cmp_gt_i32_e64 s15, s24, v87
	v_max3_f32 v75, v75, v78, v79
	v_cndmask_b32_e64 v76, 0xff7fffff, v106, s12
	v_cndmask_b32_e64 v77, 0xff7fffff, v95, s13
	v_cmp_gt_i32_e64 s16, s24, v72
	v_cndmask_b32_e64 v78, 0xff7fffff, v94, s15
	v_cmp_gt_i32_e64 s17, s24, v73
	v_cmp_gt_i32_e64 s18, s24, v74
	v_max3_f32 v75, v75, v76, v77
	v_cndmask_b32_e64 v72, 0xff7fffff, v93, s16
	s_delay_alu instid0(VALU_DEP_4) | instskip(NEXT) | instid1(VALU_DEP_4)
	v_cndmask_b32_e64 v73, 0xff7fffff, v92, s17
	v_cndmask_b32_e64 v74, 0xff7fffff, v91, s18
	s_delay_alu instid0(VALU_DEP_3) | instskip(SKIP_1) | instid1(VALU_DEP_2)
	v_max3_f32 v72, v75, v78, v72
	v_lshlrev_b32_e32 v75, 2, v105
	v_max3_f32 v72, v72, v73, v74
	ds_bpermute_b32 v73, v75, v72
	s_waitcnt lgkmcnt(0)
	v_max_f32_e32 v73, v73, v73
	s_delay_alu instid0(VALU_DEP_1) | instskip(NEXT) | instid1(VALU_DEP_1)
	v_max_f32_e32 v72, v72, v73
	v_fma_f32 v76, s19, v114, -v72
	v_fma_f32 v73, s19, v112, -v72
	;; [unrolled: 1-line block ×5, first 2 shown]
	v_mul_f32_e32 v76, 0x3fb8aa3b, v76
	v_fma_f32 v82, s19, v118, -v72
	s_delay_alu instid0(VALU_DEP_4) | instskip(SKIP_1) | instid1(VALU_DEP_4)
	v_dual_mul_f32 v79, 0x3fb8aa3b, v79 :: v_dual_mul_f32 v74, 0x3fb8aa3b, v74
	v_fma_f32 v86, s19, v99, -v72
	v_exp_f32_e32 v76, v76
	s_delay_alu instid0(VALU_DEP_3) | instskip(NEXT) | instid1(VALU_DEP_3)
	v_mul_f32_e32 v82, 0x3fb8aa3b, v82
	v_exp_f32_e32 v83, v79
	v_exp_f32_e32 v74, v74
	v_mul_f32_e32 v88, 0x3fb8aa3b, v86
	v_fma_f32 v91, s19, v103, -v72
	v_exp_f32_e32 v84, v82
	v_fma_f32 v89, s19, v101, -v72
	s_delay_alu instid0(VALU_DEP_3)
	v_exp_f32_e32 v90, v88
	v_cndmask_b32_e64 v80, 0, v76, s4
	v_mul_f32_e32 v73, 0x3fb8aa3b, v73
	v_fma_f32 v76, s19, v119, -v72
	v_mul_f32_e32 v77, 0x3fb8aa3b, v77
	v_cndmask_b32_e64 v82, 0, v83, s6
	v_fma_f32 v83, s19, v97, -v72
	v_exp_f32_e32 v73, v73
	v_mul_f32_e32 v76, 0x3fb8aa3b, v76
	v_exp_f32_e32 v81, v77
	v_cndmask_b32_e64 v84, 0, v84, s8
	v_mul_f32_e32 v83, 0x3fb8aa3b, v83
	v_mul_f32_e32 v89, 0x3fb8aa3b, v89
	v_exp_f32_e32 v76, v76
	s_delay_alu instid0(VALU_DEP_2) | instskip(SKIP_2) | instid1(TRANS32_DEP_3)
	v_exp_f32_e32 v87, v83
	v_cndmask_b32_e64 v78, 0, v73, s3
	v_fma_f32 v73, s19, v117, -v72
	v_cndmask_b32_e64 v79, 0, v81, s5
	v_cndmask_b32_e32 v77, 0, v74, vcc_lo
	v_fma_f32 v81, s19, v96, -v72
	s_delay_alu instid0(VALU_DEP_4) | instskip(NEXT) | instid1(TRANS32_DEP_2)
	v_dual_add_f32 v74, 0, v78 :: v_dual_mul_f32 v73, 0x3fb8aa3b, v73
	v_cndmask_b32_e64 v83, 0, v76, s9
	v_fma_f32 v76, s19, v100, -v72
	s_delay_alu instid0(VALU_DEP_4) | instskip(NEXT) | instid1(VALU_DEP_4)
	v_mul_f32_e32 v85, 0x3fb8aa3b, v81
	v_add_f32_e32 v74, v74, v77
	v_exp_f32_e32 v73, v73
	v_exp_f32_e32 v89, v89
	v_mul_f32_e32 v76, 0x3fb8aa3b, v76
	v_exp_f32_e32 v85, v85
	v_add_f32_e32 v74, v74, v80
	s_mov_b32 s3, exec_lo
	s_delay_alu instid0(VALU_DEP_2) | instskip(NEXT) | instid1(VALU_DEP_1)
	v_exp_f32_e32 v76, v76
	v_add_f32_e32 v74, v74, v79
	v_cndmask_b32_e64 v81, 0, v73, s7
	s_delay_alu instid0(TRANS32_DEP_3)
	v_cndmask_b32_e64 v89, 0, v89, s16
	s_waitcnt_depctr 0xfff
	v_cndmask_b32_e64 v86, 0, v85, s10
	v_cndmask_b32_e64 v85, 0, v87, s11
	v_fma_f32 v87, s19, v102, -v72
	v_add_f32_e32 v73, v74, v82
	v_fma_f32 v74, s19, v98, -v72
	s_delay_alu instid0(VALU_DEP_1) | instskip(NEXT) | instid1(VALU_DEP_1)
	v_mul_f32_e32 v74, 0x3fb8aa3b, v74
	v_exp_f32_e32 v74, v74
	s_waitcnt_depctr 0xfff
	v_cndmask_b32_e64 v88, 0, v74, s12
	v_dual_mul_f32 v74, 0x3fb8aa3b, v87 :: v_dual_add_f32 v73, v73, v81
	v_cndmask_b32_e64 v87, 0, v90, s13
	v_cndmask_b32_e64 v90, 0, v76, s15
	v_mul_f32_e32 v76, 0x3fb8aa3b, v91
	s_delay_alu instid0(VALU_DEP_4) | instskip(SKIP_1) | instid1(VALU_DEP_2)
	v_exp_f32_e32 v74, v74
	v_add_f32_e32 v73, v73, v84
	v_exp_f32_e32 v76, v76
	s_delay_alu instid0(VALU_DEP_1) | instskip(SKIP_4) | instid1(VALU_DEP_2)
	v_add_f32_e32 v73, v73, v83
	s_waitcnt_depctr 0xfff
	v_cndmask_b32_e64 v92, 0, v74, s17
	v_add_f32_e32 v73, v73, v86
	v_cndmask_b32_e64 v91, 0, v76, s18
	v_add_f32_e32 v73, v73, v85
	s_delay_alu instid0(VALU_DEP_1) | instskip(NEXT) | instid1(VALU_DEP_1)
	v_add_f32_e32 v73, v73, v88
	v_add_f32_e32 v73, v73, v87
	s_delay_alu instid0(VALU_DEP_1) | instskip(NEXT) | instid1(VALU_DEP_1)
	v_add_f32_e32 v73, v73, v90
	;; [unrolled: 3-line block ×3, first 2 shown]
	v_add_f32_e32 v73, v73, v91
	ds_bpermute_b32 v74, v75, v73
	v_cmpx_gt_u32_e32 16, v71
	s_cbranch_execz .LBB1101_12
; %bb.11:
	v_mul_u32_u24_e32 v71, 0x44, v69
	s_waitcnt lgkmcnt(0)
	v_add_f32_e32 v73, v73, v74
	s_delay_alu instid0(VALU_DEP_2) | instskip(NEXT) | instid1(VALU_DEP_1)
	v_lshl_add_u32 v71, v70, 2, v71
	v_add_nc_u32_e32 v71, 0x4000, v71
	ds_store_2addr_b32 v71, v72, v73 offset1:136
.LBB1101_12:
	s_or_b32 exec_lo, exec_lo, s3
	v_lshlrev_b32_e32 v70, 2, v70
	s_load_b32 s35, s[0:1], 0x94
	s_waitcnt lgkmcnt(0)
	s_barrier
	buffer_gl0_inv
	v_add_nc_u32_e32 v74, 0x4000, v70
	v_cmp_eq_u32_e32 vcc_lo, 1, v69
	v_cmp_eq_u32_e64 s3, 2, v69
	v_cmp_eq_u32_e64 s4, 3, v69
	;; [unrolled: 1-line block ×3, first 2 shown]
	ds_load_2addr_b32 v[70:71], v74 offset1:17
	ds_load_2addr_b32 v[72:73], v74 offset0:34 offset1:51
	ds_load_2addr_b32 v[93:94], v74 offset0:68 offset1:85
	;; [unrolled: 1-line block ×3, first 2 shown]
	v_cmp_eq_u32_e64 s6, 7, v69
	s_waitcnt lgkmcnt(3)
	v_max3_f32 v75, v70, 0xff7fffff, v71
	s_waitcnt lgkmcnt(2)
	s_delay_alu instid0(VALU_DEP_1) | instskip(SKIP_1) | instid1(VALU_DEP_1)
	v_max3_f32 v75, v75, v72, v73
	s_waitcnt lgkmcnt(1)
	v_max3_f32 v75, v75, v93, v94
	s_waitcnt lgkmcnt(0)
	s_delay_alu instid0(VALU_DEP_1) | instskip(NEXT) | instid1(VALU_DEP_1)
	v_max3_f32 v75, v75, v95, v96
	v_sub_f32_e32 v93, v93, v75
	ds_load_2addr_b32 v[97:98], v74 offset0:136 offset1:153
	v_sub_f32_e32 v70, v70, v75
	v_dual_sub_f32 v100, v73, v75 :: v_dual_mul_f32 v103, 0x3fb8aa3b, v93
	s_delay_alu instid0(VALU_DEP_2) | instskip(SKIP_3) | instid1(VALU_DEP_1)
	v_dual_sub_f32 v76, v71, v75 :: v_dual_mul_f32 v99, 0x3fb8aa3b, v70
	ds_load_2addr_b32 v[70:71], v74 offset0:170 offset1:187
	v_mul_f32_e32 v76, 0x3fb8aa3b, v76
	v_exp_f32_e32 v99, v99
	v_exp_f32_e32 v102, v76
	v_mul_f32_e32 v100, 0x3fb8aa3b, v100
	s_waitcnt lgkmcnt(1)
	s_waitcnt_depctr 0xfff
	v_fma_f32 v76, v99, v97, 0
	v_sub_f32_e32 v97, v94, v75
	v_sub_f32_e32 v72, v72, v75
	v_exp_f32_e32 v100, v100
	ds_load_2addr_b32 v[93:94], v74 offset0:238 offset1:255
	v_dual_fmac_f32 v76, v102, v98 :: v_dual_mul_f32 v101, 0x3fb8aa3b, v72
	ds_load_2addr_b32 v[72:73], v74 offset0:204 offset1:221
	v_dual_sub_f32 v74, v95, v75 :: v_dual_mul_f32 v95, 0x3fb8aa3b, v97
	v_exp_f32_e32 v97, v103
	v_exp_f32_e32 v101, v101
	s_waitcnt lgkmcnt(0)
	s_delay_alu instid0(VALU_DEP_1)
	v_mul_f32_e32 v74, 0x3fb8aa3b, v74
	v_exp_f32_e32 v95, v95
	s_barrier
	buffer_gl0_inv
	v_fmac_f32_e32 v76, v101, v70
	v_sub_f32_e32 v70, v96, v75
	v_exp_f32_e32 v96, v74
	s_delay_alu instid0(VALU_DEP_2) | instskip(NEXT) | instid1(VALU_DEP_2)
	v_fmac_f32_e32 v76, v100, v71
	v_mul_f32_e32 v70, 0x3fb8aa3b, v70
	s_delay_alu instid0(VALU_DEP_2) | instskip(NEXT) | instid1(VALU_DEP_2)
	v_dual_cndmask_b32 v71, v99, v102 :: v_dual_fmac_f32 v76, v97, v72
	v_exp_f32_e32 v98, v70
	s_delay_alu instid0(VALU_DEP_1) | instskip(SKIP_2) | instid1(VALU_DEP_1)
	v_fmac_f32_e32 v76, v95, v73
	s_waitcnt_depctr 0xfff
	v_fmac_f32_e32 v76, v96, v93
	v_fmac_f32_e32 v76, v98, v94
	s_delay_alu instid0(VALU_DEP_1) | instskip(NEXT) | instid1(VALU_DEP_1)
	v_add_f32_e32 v93, 0x358637bd, v76
	v_div_scale_f32 v94, null, v93, v93, 1.0
	v_div_scale_f32 v99, vcc_lo, 1.0, v93, 1.0
	s_delay_alu instid0(VALU_DEP_2) | instskip(SKIP_2) | instid1(VALU_DEP_1)
	v_rcp_f32_e32 v103, v94
	s_waitcnt_depctr 0xfff
	v_fma_f32 v70, -v94, v103, 1.0
	v_fmac_f32_e32 v103, v70, v103
	v_cndmask_b32_e64 v70, v71, v101, s3
	v_cmp_eq_u32_e64 s3, 4, v69
	v_lshlrev_b32_e32 v71, 2, v66
	s_delay_alu instid0(VALU_DEP_4) | instskip(NEXT) | instid1(VALU_DEP_4)
	v_mul_f32_e32 v101, v99, v103
	v_cndmask_b32_e64 v72, v70, v100, s4
	v_cmp_eq_u32_e64 s4, 6, v69
	v_lshl_or_b32 v70, v69, 11, v68
	v_or_b32_e32 v74, 1, v71
	v_fma_f32 v73, -v94, v101, v99
	v_cndmask_b32_e64 v72, v72, v97, s3
	v_cmp_eq_u32_e64 s3, 1, v71
	v_lshl_or_b32 v69, v66, 4, v70
	v_cmp_eq_u32_e64 s9, 1, v74
	v_fmac_f32_e32 v101, v73, v103
	v_cndmask_b32_e64 v95, v72, v95, s5
	v_or_b32_e32 v72, 2, v71
	v_or_b32_e32 v73, 3, v71
	v_cmp_eq_u32_e64 s12, 2, v74
	v_fma_f32 v94, -v94, v101, v99
	v_cndmask_b32_e64 v95, v95, v96, s4
	v_cmp_eq_u32_e64 s10, 1, v72
	v_cmp_eq_u32_e64 s11, 1, v73
	;; [unrolled: 1-line block ×3, first 2 shown]
	v_div_fmas_f32 v94, v94, v103, v101
	v_cndmask_b32_e64 v95, v95, v98, s6
	v_cmp_eq_u32_e32 vcc_lo, 2, v71
	v_cmp_eq_u32_e64 s16, 2, v73
	v_cmp_eq_u32_e64 s18, 3, v73
	v_div_fixup_f32 v93, v94, v93, 1.0
	v_cmp_eq_u32_e64 s4, 3, v71
	v_cmp_eq_u32_e64 s13, 3, v74
	;; [unrolled: 1-line block ×4, first 2 shown]
	v_mul_f32_e32 v101, v95, v93
	v_cmp_eq_u32_e64 s5, 4, v71
	v_cmp_eq_u32_e64 s19, 4, v74
	;; [unrolled: 1-line block ×4, first 2 shown]
	v_fma_mixlo_f16 v93, v101, v78, 0
	v_fma_mixlo_f16 v94, v101, v80, 0
	;; [unrolled: 1-line block ×8, first 2 shown]
	v_fma_mixhi_f16 v93, v101, v77, 0
	v_fma_mixhi_f16 v94, v101, v79, 0
	;; [unrolled: 1-line block ×8, first 2 shown]
	ds_store_b128 v69, v[93:96]
	ds_store_b128 v69, v[97:100] offset:1024
	s_waitcnt lgkmcnt(0)
	s_barrier
	buffer_gl0_inv
	ds_load_b128 v[77:80], v70
	ds_load_b128 v[81:84], v70 offset:16
	ds_load_b128 v[85:88], v70 offset:1024
	ds_load_b128 v[89:92], v70 offset:1040
	v_cmp_eq_u32_e64 s6, 5, v71
	v_cmp_eq_u32_e64 s20, 5, v74
	;; [unrolled: 1-line block ×11, first 2 shown]
	s_waitcnt lgkmcnt(3)
	v_lshrrev_b32_e32 v93, 16, v77
	s_waitcnt lgkmcnt(2)
	v_lshrrev_b32_e32 v97, 16, v81
	;; [unrolled: 2-line block ×4, first 2 shown]
	v_lshrrev_b32_e32 v94, 16, v78
	v_cndmask_b32_e64 v109, v77, v93, s3
	v_cndmask_b32_e64 v110, v81, v97, s3
	;; [unrolled: 1-line block ×8, first 2 shown]
	v_lshrrev_b32_e32 v98, 16, v82
	v_cndmask_b32_e64 v93, v85, v101, s3
	v_cndmask_b32_e64 v97, v89, v105, s3
	;; [unrolled: 1-line block ×5, first 2 shown]
	v_cndmask_b32_e32 v101, v109, v78, vcc_lo
	v_cndmask_b32_e64 v109, v111, v78, s12
	v_cndmask_b32_e64 v111, v113, v78, s15
	;; [unrolled: 1-line block ×4, first 2 shown]
	v_lshrrev_b32_e32 v102, 16, v86
	v_lshrrev_b32_e32 v106, 16, v90
	v_cndmask_b32_e64 v116, v89, v105, s9
	v_cndmask_b32_e64 v118, v89, v105, s10
	;; [unrolled: 1-line block ×3, first 2 shown]
	v_cndmask_b32_e32 v105, v110, v82, vcc_lo
	v_cndmask_b32_e64 v110, v112, v82, s12
	v_cndmask_b32_e64 v112, v114, v82, s15
	v_cndmask_b32_e32 v81, v93, v86, vcc_lo
	v_cndmask_b32_e32 v82, v97, v90, vcc_lo
	v_cndmask_b32_e64 v93, v115, v86, s12
	v_cndmask_b32_e64 v77, v77, v94, s18
	v_cndmask_b32_e64 v78, v78, v98, s18
	v_lshrrev_b32_e32 v95, 16, v79
	v_lshrrev_b32_e32 v99, 16, v83
	v_cndmask_b32_e64 v97, v117, v86, s15
	v_cndmask_b32_e64 v85, v85, v86, s16
	;; [unrolled: 1-line block ×14, first 2 shown]
	v_lshrrev_b32_e32 v103, 16, v87
	v_cndmask_b32_e64 v89, v89, v79, s5
	v_cndmask_b32_e64 v94, v101, v83, s5
	;; [unrolled: 1-line block ×11, first 2 shown]
	v_lshrrev_b32_e32 v96, 16, v80
	v_lshrrev_b32_e32 v100, 16, v84
	v_cndmask_b32_e64 v83, v89, v95, s6
	v_cndmask_b32_e64 v89, v94, v99, s6
	v_cndmask_b32_e64 v93, v98, v95, s20
	v_cndmask_b32_e64 v94, v101, v99, s20
	v_cndmask_b32_e64 v98, v105, v95, s23
	v_cndmask_b32_e64 v101, v109, v99, s23
	v_cndmask_b32_e64 v82, v82, v103, s20
	v_cndmask_b32_e64 v77, v77, v80, s27
	v_cndmask_b32_e64 v78, v78, v84, s27
	v_lshrrev_b32_e32 v104, 16, v88
	v_cndmask_b32_e64 v79, v79, v103, s6
	v_cndmask_b32_e64 v83, v83, v80, s7
	;; [unrolled: 1-line block ×19, first 2 shown]
	v_perm_b32 v80, v78, v77, 0x5040100
	v_cndmask_b32_e64 v77, v116, v90, s12
	v_cndmask_b32_e64 v95, v79, v104, s8
	v_perm_b32 v79, v93, v89, 0x5040100
	v_perm_b32 v78, v94, v84, 0x5040100
	v_cndmask_b32_e64 v84, v97, v102, s17
	v_cndmask_b32_e64 v85, v85, v102, s18
	;; [unrolled: 1-line block ×5, first 2 shown]
	v_lshrrev_b32_e32 v107, 16, v91
	v_cndmask_b32_e64 v84, v84, v87, s21
	v_cndmask_b32_e64 v85, v85, v87, s22
	;; [unrolled: 1-line block ×11, first 2 shown]
	v_lshrrev_b32_e32 v108, 16, v92
	v_cndmask_b32_e64 v81, v81, v92, s7
	v_cndmask_b32_e64 v84, v84, v88, s26
	;; [unrolled: 1-line block ×12, first 2 shown]
	v_perm_b32 v77, v83, v82, 0x5040100
	v_perm_b32 v84, v85, v84, 0x5040100
	;; [unrolled: 1-line block ×5, first 2 shown]
	s_lshl_b32 s8, s33, 4
	s_mov_b32 s3, exec_lo
	ds_store_b128 v69, v[77:80]
	ds_store_b128 v69, v[81:84] offset:1024
	v_cmpx_gt_u32_e32 16, v0
	s_cbranch_execz .LBB1101_14
; %bb.13:
	v_or_b32_e32 v77, s31, v0
	s_load_b128 s[4:7], s[0:1], 0x58
	s_delay_alu instid0(VALU_DEP_1) | instskip(NEXT) | instid1(VALU_DEP_1)
	v_mad_u64_u32 v[78:79], null, s8, s34, v[77:78]
	v_mad_u64_u32 v[79:80], null, v78, s35, s[14:15]
	s_delay_alu instid0(VALU_DEP_1) | instskip(NEXT) | instid1(VALU_DEP_1)
	v_ashrrev_i32_e32 v80, 31, v79
	v_lshlrev_b64 v[77:78], 2, v[79:80]
	s_waitcnt lgkmcnt(0)
	s_delay_alu instid0(VALU_DEP_1) | instskip(NEXT) | instid1(VALU_DEP_2)
	v_add_co_u32 v79, vcc_lo, s6, v77
	v_add_co_ci_u32_e32 v80, vcc_lo, s7, v78, vcc_lo
	v_add_co_u32 v77, vcc_lo, s4, v77
	v_add_co_ci_u32_e32 v78, vcc_lo, s5, v78, vcc_lo
	global_store_b32 v[79:80], v75, off
	global_store_b32 v[77:78], v76, off
.LBB1101_14:
	s_or_b32 exec_lo, exec_lo, s3
	s_waitcnt lgkmcnt(0)
	s_waitcnt_vscnt null, 0x0
	s_barrier
	buffer_gl0_inv
	ds_load_b128 v[83:86], v68
	ds_load_b128 v[87:90], v68 offset:16
	ds_load_b128 v[95:98], v68 offset:2064
	ds_load_b128 v[91:94], v68 offset:2048
	ds_load_b128 v[103:106], v68 offset:4112
	ds_load_b128 v[99:102], v68 offset:4096
	v_cmp_eq_u32_e32 vcc_lo, 1, v71
	v_mov_b32_e32 v75, 0
	ds_load_b128 v[111:114], v68 offset:6160
	ds_load_b128 v[107:110], v68 offset:6144
	;; [unrolled: 1-line block ×4, first 2 shown]
	v_cmp_eq_u32_e64 s4, 1, v72
	v_cmp_eq_u32_e64 s3, 1, v74
	;; [unrolled: 1-line block ×3, first 2 shown]
	v_mov_b32_e32 v76, v75
	v_mov_b32_e32 v77, v75
	;; [unrolled: 1-line block ×7, first 2 shown]
	v_cmp_eq_u32_e64 s6, 3, v74
	v_cmp_eq_u32_e64 s7, 7, v74
	s_waitcnt lgkmcnt(8)
	s_delay_alu instid0(VALU_DEP_3)
	v_wmma_f32_16x16x16_f16 v[75:82], v[49:56], v[83:90], v[75:82]
	ds_load_b128 v[53:56], v68 offset:10256
	ds_load_b128 v[49:52], v68 offset:10240
	s_waitcnt lgkmcnt(8)
	v_wmma_f32_16x16x16_f16 v[75:82], v[41:48], v[91:98], v[75:82]
	ds_load_b128 v[45:48], v68 offset:12304
	ds_load_b128 v[41:44], v68 offset:12288
	s_waitcnt lgkmcnt(8)
	;; [unrolled: 4-line block ×3, first 2 shown]
	s_barrier
	buffer_gl0_inv
	v_wmma_f32_16x16x16_f16 v[75:82], v[1:8], v[107:114], v[75:82]
	s_delay_alu instid0(VALU_DEP_1) | instskip(NEXT) | instid1(VALU_DEP_1)
	v_wmma_f32_16x16x16_f16 v[75:82], v[9:16], v[115:122], v[75:82]
	v_wmma_f32_16x16x16_f16 v[75:82], v[17:24], v[49:56], v[75:82]
	s_delay_alu instid0(VALU_DEP_1) | instskip(NEXT) | instid1(VALU_DEP_1)
	v_wmma_f32_16x16x16_f16 v[75:82], v[25:32], v[41:48], v[75:82]
	v_wmma_f32_16x16x16_f16 v[75:82], v[57:64], v[33:40], v[75:82]
	s_delay_alu instid0(VALU_DEP_1) | instskip(NEXT) | instid1(VALU_DEP_2)
	v_cvt_f16_f32_e32 v1, v75
	v_cvt_f16_f32_e32 v2, v76
	s_delay_alu instid0(VALU_DEP_3) | instskip(NEXT) | instid1(VALU_DEP_4)
	v_cvt_f16_f32_e32 v3, v77
	v_cvt_f16_f32_e32 v4, v78
	;; [unrolled: 1-line block ×6, first 2 shown]
	v_pack_b32_f16 v1, v1, v2
	v_pack_b32_f16 v2, v3, v4
	;; [unrolled: 1-line block ×3, first 2 shown]
	s_delay_alu instid0(VALU_DEP_4)
	v_pack_b32_f16 v4, v7, v8
	ds_store_b128 v69, v[1:4]
	s_waitcnt lgkmcnt(0)
	s_barrier
	buffer_gl0_inv
	ds_load_b128 v[1:4], v70
	ds_load_b128 v[5:8], v70 offset:16
	s_waitcnt lgkmcnt(1)
	v_lshrrev_b32_e32 v9, 16, v1
	s_waitcnt lgkmcnt(0)
	v_lshrrev_b32_e32 v13, 16, v5
	v_lshrrev_b32_e32 v10, 16, v2
	;; [unrolled: 1-line block ×4, first 2 shown]
	v_cndmask_b32_e32 v17, v1, v9, vcc_lo
	v_cndmask_b32_e32 v18, v5, v13, vcc_lo
	v_cndmask_b32_e64 v21, v1, v9, s4
	v_cmp_eq_u32_e32 vcc_lo, 1, v73
	v_cndmask_b32_e64 v22, v5, v13, s4
	v_cmp_eq_u32_e64 s4, 2, v71
	v_cndmask_b32_e64 v19, v1, v9, s3
	v_cndmask_b32_e64 v20, v5, v13, s3
	v_cndmask_b32_e32 v1, v1, v9, vcc_lo
	v_cmp_eq_u32_e64 s3, 2, v73
	v_cndmask_b32_e32 v5, v5, v13, vcc_lo
	v_cndmask_b32_e64 v9, v17, v2, s4
	v_cmp_eq_u32_e32 vcc_lo, 3, v71
	v_cndmask_b32_e64 v13, v18, v6, s4
	v_cmp_eq_u32_e64 s4, 2, v72
	v_cndmask_b32_e64 v17, v19, v2, s5
	v_cndmask_b32_e64 v18, v20, v6, s5
	v_cmp_eq_u32_e64 s5, 3, v72
	v_cndmask_b32_e64 v1, v1, v2, s3
	v_cndmask_b32_e64 v19, v21, v2, s4
	;; [unrolled: 1-line block ×4, first 2 shown]
	v_cndmask_b32_e32 v5, v9, v10, vcc_lo
	v_cndmask_b32_e32 v6, v13, v14, vcc_lo
	v_cmp_eq_u32_e32 vcc_lo, 3, v73
	v_cndmask_b32_e64 v9, v17, v10, s6
	v_cndmask_b32_e64 v13, v18, v14, s6
	;; [unrolled: 1-line block ×3, first 2 shown]
	v_cmp_eq_u32_e64 s4, 4, v71
	v_cndmask_b32_e32 v1, v1, v10, vcc_lo
	v_cndmask_b32_e32 v2, v2, v14, vcc_lo
	v_cmp_eq_u32_e32 vcc_lo, 4, v74
	v_lshrrev_b32_e32 v15, 16, v7
	v_lshrrev_b32_e32 v16, 16, v8
	v_cndmask_b32_e64 v17, v19, v10, s5
	v_cmp_eq_u32_e64 s3, 4, v73
	v_cndmask_b32_e64 v5, v5, v3, s4
	v_cndmask_b32_e64 v6, v6, v7, s4
	v_cndmask_b32_e32 v9, v9, v3, vcc_lo
	v_cmp_eq_u32_e64 s4, 5, v74
	v_cndmask_b32_e32 v10, v13, v7, vcc_lo
	v_cmp_eq_u32_e32 vcc_lo, 4, v72
	v_cmp_eq_u32_e64 s5, 5, v71
	v_cndmask_b32_e64 v2, v2, v7, s3
	v_cndmask_b32_e64 v9, v9, v11, s4
	;; [unrolled: 1-line block ×3, first 2 shown]
	v_cndmask_b32_e32 v13, v17, v3, vcc_lo
	v_cmp_eq_u32_e64 s4, 5, v72
	v_cndmask_b32_e32 v14, v18, v7, vcc_lo
	v_cndmask_b32_e64 v1, v1, v3, s3
	v_cmp_eq_u32_e32 vcc_lo, 5, v73
	v_lshrrev_b32_e32 v12, 16, v4
	v_cndmask_b32_e64 v13, v13, v11, s4
	v_cndmask_b32_e64 v3, v14, v15, s4
	v_cmp_eq_u32_e64 s4, 6, v73
	v_cndmask_b32_e32 v1, v1, v11, vcc_lo
	v_cndmask_b32_e64 v5, v5, v11, s5
	v_cmp_eq_u32_e64 s6, 6, v71
	v_cndmask_b32_e64 v6, v6, v15, s5
	v_cmp_eq_u32_e64 s5, 6, v74
	v_cmp_eq_u32_e64 s3, 6, v72
	v_cndmask_b32_e64 v1, v1, v4, s4
	v_cndmask_b32_e32 v2, v2, v15, vcc_lo
	v_cmp_eq_u32_e32 vcc_lo, 7, v73
	v_cndmask_b32_e64 v5, v5, v4, s6
	v_cndmask_b32_e64 v9, v9, v4, s5
	;; [unrolled: 1-line block ×3, first 2 shown]
	v_cmp_eq_u32_e64 s6, 7, v71
	v_cndmask_b32_e32 v1, v1, v12, vcc_lo
	v_cndmask_b32_e64 v7, v13, v4, s3
	v_cndmask_b32_e64 v3, v3, v8, s3
	;; [unrolled: 1-line block ×3, first 2 shown]
	v_cmp_eq_u32_e64 s3, 7, v72
	v_cndmask_b32_e64 v4, v10, v8, s5
	v_cndmask_b32_e64 v5, v5, v12, s6
	;; [unrolled: 1-line block ×3, first 2 shown]
	v_cndmask_b32_e32 v2, v2, v16, vcc_lo
	v_cndmask_b32_e64 v7, v7, v12, s3
	v_cndmask_b32_e64 v3, v3, v16, s3
	v_cndmask_b32_e64 v8, v4, v16, s7
	v_cndmask_b32_e64 v6, v6, v16, s6
	v_cmp_gt_u32_e32 vcc_lo, 32, v0
	v_perm_b32 v4, v2, v1, 0x5040100
	v_perm_b32 v3, v3, v7, 0x5040100
	;; [unrolled: 1-line block ×4, first 2 shown]
	s_and_b32 s2, vcc_lo, s2
	ds_store_b128 v69, v[1:4]
	s_waitcnt lgkmcnt(0)
	s_barrier
	buffer_gl0_inv
	s_and_saveexec_b32 s3, s2
	s_cbranch_execz .LBB1101_2
; %bb.15:
	s_load_b64 s[0:1], s[0:1], 0x68
	v_lshlrev_b32_e32 v0, 10, v0
	s_lshl_b32 s4, s35, 6
	v_or_b32_e32 v23, s31, v66
	s_mul_i32 s2, s4, s34
	v_lshlrev_b32_e32 v1, 4, v67
	v_lshlrev_b32_e32 v2, 6, v66
	s_mul_i32 s2, s2, s8
	v_and_b32_e32 v0, 0x3800, v0
	v_mul_lo_u32 v8, v23, s4
	s_ashr_i32 s3, s2, 31
	v_or_b32_e32 v3, 2, v23
	s_lshl_b64 s[2:3], s[2:3], 1
	v_or3_b32 v27, v0, v1, v2
	v_or_b32_e32 v11, 4, v23
	v_or_b32_e32 v18, 6, v23
	v_mul_lo_u32 v10, v3, s4
	v_ashrrev_i32_e32 v9, 31, v8
	ds_load_b128 v[0:3], v27
	ds_load_b128 v[4:7], v27 offset:128
	v_mul_lo_u32 v12, v11, s4
	s_waitcnt lgkmcnt(0)
	s_add_u32 s2, s0, s2
	s_addc_u32 s3, s1, s3
	s_lshl_b32 s0, s14, 6
	v_lshlrev_b64 v[8:9], 1, v[8:9]
	s_ashr_i32 s1, s0, 31
	v_ashrrev_i32_e32 v11, 31, v10
	s_lshl_b64 s[0:1], s[0:1], 1
	v_ashrrev_i32_e32 v13, 31, v12
	s_add_u32 s0, s2, s0
	s_addc_u32 s1, s3, s1
	v_add_co_u32 v30, s0, s0, v65
	s_delay_alu instid0(VALU_DEP_1) | instskip(SKIP_1) | instid1(VALU_DEP_3)
	v_add_co_ci_u32_e64 v31, null, s1, 0, s0
	v_lshlrev_b64 v[16:17], 1, v[10:11]
	v_add_co_u32 v14, vcc_lo, v30, v8
	s_delay_alu instid0(VALU_DEP_3)
	v_add_co_ci_u32_e32 v15, vcc_lo, v31, v9, vcc_lo
	ds_load_b128 v[8:11], v27 offset:256
	v_mul_lo_u32 v18, v18, s4
	v_or_b32_e32 v19, 8, v23
	v_add_co_u32 v16, vcc_lo, v30, v16
	global_store_b128 v[14:15], v[0:3], off
	v_lshlrev_b64 v[0:1], 1, v[12:13]
	v_add_co_ci_u32_e32 v17, vcc_lo, v31, v17, vcc_lo
	v_mul_lo_u32 v12, v19, s4
	v_ashrrev_i32_e32 v19, 31, v18
	v_or_b32_e32 v14, 10, v23
	global_store_b128 v[16:17], v[4:7], off
	v_add_co_u32 v4, vcc_lo, v30, v0
	v_add_co_ci_u32_e32 v5, vcc_lo, v31, v1, vcc_lo
	ds_load_b128 v[0:3], v27 offset:384
	v_ashrrev_i32_e32 v13, 31, v12
	v_lshlrev_b64 v[6:7], 1, v[18:19]
	v_mul_lo_u32 v14, v14, s4
	s_waitcnt lgkmcnt(1)
	global_store_b128 v[4:5], v[8:11], off
	v_or_b32_e32 v8, 12, v23
	v_lshlrev_b64 v[4:5], 1, v[12:13]
	v_add_co_u32 v20, vcc_lo, v30, v6
	v_or_b32_e32 v6, 14, v23
	v_ashrrev_i32_e32 v15, 31, v14
	v_mul_lo_u32 v22, v8, s4
	v_add_co_ci_u32_e32 v21, vcc_lo, v31, v7, vcc_lo
	v_add_co_u32 v24, vcc_lo, v30, v4
	v_mul_lo_u32 v26, v6, s4
	v_add_co_ci_u32_e32 v25, vcc_lo, v31, v5, vcc_lo
	v_lshlrev_b64 v[28:29], 1, v[14:15]
	ds_load_b128 v[4:7], v27 offset:512
	ds_load_b128 v[8:11], v27 offset:640
	;; [unrolled: 1-line block ×4, first 2 shown]
	v_ashrrev_i32_e32 v23, 31, v22
	v_ashrrev_i32_e32 v27, 31, v26
	v_add_co_u32 v28, vcc_lo, v30, v28
	s_delay_alu instid0(VALU_DEP_3) | instskip(SKIP_1) | instid1(VALU_DEP_4)
	v_lshlrev_b64 v[22:23], 1, v[22:23]
	v_add_co_ci_u32_e32 v29, vcc_lo, v31, v29, vcc_lo
	v_lshlrev_b64 v[26:27], 1, v[26:27]
	s_delay_alu instid0(VALU_DEP_3) | instskip(NEXT) | instid1(VALU_DEP_4)
	v_add_co_u32 v22, vcc_lo, v30, v22
	v_add_co_ci_u32_e32 v23, vcc_lo, v31, v23, vcc_lo
	s_delay_alu instid0(VALU_DEP_3) | instskip(NEXT) | instid1(VALU_DEP_4)
	v_add_co_u32 v26, vcc_lo, v30, v26
	v_add_co_ci_u32_e32 v27, vcc_lo, v31, v27, vcc_lo
	s_waitcnt lgkmcnt(4)
	global_store_b128 v[20:21], v[0:3], off
	s_waitcnt lgkmcnt(3)
	global_store_b128 v[24:25], v[4:7], off
	;; [unrolled: 2-line block ×5, first 2 shown]
	s_nop 0
	s_sendmsg sendmsg(MSG_DEALLOC_VGPRS)
	s_endpgm
	.section	.rodata,"a",@progbits
	.p2align	6, 0x0
	.amdhsa_kernel _Z39paged_attention_ll4mi_QKV_mfma16_kernelIDF16_hLN4vllm18Fp8KVCacheDataTypeE1EhLi16ELi64ELi256ELb1ELi16EL8MFMAType0EEvPKT_PKT0_S8_ifPKiSA_SA_iPKfiiiPfSD_PS3_PT2_iSC_SC_
		.amdhsa_group_segment_fixed_size 17472
		.amdhsa_private_segment_fixed_size 0
		.amdhsa_kernarg_size 400
		.amdhsa_user_sgpr_count 13
		.amdhsa_user_sgpr_dispatch_ptr 0
		.amdhsa_user_sgpr_queue_ptr 0
		.amdhsa_user_sgpr_kernarg_segment_ptr 1
		.amdhsa_user_sgpr_dispatch_id 0
		.amdhsa_user_sgpr_private_segment_size 0
		.amdhsa_wavefront_size32 1
		.amdhsa_uses_dynamic_stack 0
		.amdhsa_enable_private_segment 0
		.amdhsa_system_sgpr_workgroup_id_x 1
		.amdhsa_system_sgpr_workgroup_id_y 1
		.amdhsa_system_sgpr_workgroup_id_z 1
		.amdhsa_system_sgpr_workgroup_info 0
		.amdhsa_system_vgpr_workitem_id 0
		.amdhsa_next_free_vgpr 123
		.amdhsa_next_free_sgpr 40
		.amdhsa_reserve_vcc 1
		.amdhsa_float_round_mode_32 0
		.amdhsa_float_round_mode_16_64 0
		.amdhsa_float_denorm_mode_32 3
		.amdhsa_float_denorm_mode_16_64 3
		.amdhsa_dx10_clamp 1
		.amdhsa_ieee_mode 1
		.amdhsa_fp16_overflow 0
		.amdhsa_workgroup_processor_mode 1
		.amdhsa_memory_ordered 1
		.amdhsa_forward_progress 0
		.amdhsa_shared_vgpr_count 0
		.amdhsa_exception_fp_ieee_invalid_op 0
		.amdhsa_exception_fp_denorm_src 0
		.amdhsa_exception_fp_ieee_div_zero 0
		.amdhsa_exception_fp_ieee_overflow 0
		.amdhsa_exception_fp_ieee_underflow 0
		.amdhsa_exception_fp_ieee_inexact 0
		.amdhsa_exception_int_div_zero 0
	.end_amdhsa_kernel
	.section	.text._Z39paged_attention_ll4mi_QKV_mfma16_kernelIDF16_hLN4vllm18Fp8KVCacheDataTypeE1EhLi16ELi64ELi256ELb1ELi16EL8MFMAType0EEvPKT_PKT0_S8_ifPKiSA_SA_iPKfiiiPfSD_PS3_PT2_iSC_SC_,"axG",@progbits,_Z39paged_attention_ll4mi_QKV_mfma16_kernelIDF16_hLN4vllm18Fp8KVCacheDataTypeE1EhLi16ELi64ELi256ELb1ELi16EL8MFMAType0EEvPKT_PKT0_S8_ifPKiSA_SA_iPKfiiiPfSD_PS3_PT2_iSC_SC_,comdat
.Lfunc_end1101:
	.size	_Z39paged_attention_ll4mi_QKV_mfma16_kernelIDF16_hLN4vllm18Fp8KVCacheDataTypeE1EhLi16ELi64ELi256ELb1ELi16EL8MFMAType0EEvPKT_PKT0_S8_ifPKiSA_SA_iPKfiiiPfSD_PS3_PT2_iSC_SC_, .Lfunc_end1101-_Z39paged_attention_ll4mi_QKV_mfma16_kernelIDF16_hLN4vllm18Fp8KVCacheDataTypeE1EhLi16ELi64ELi256ELb1ELi16EL8MFMAType0EEvPKT_PKT0_S8_ifPKiSA_SA_iPKfiiiPfSD_PS3_PT2_iSC_SC_
                                        ; -- End function
	.section	.AMDGPU.csdata,"",@progbits
; Kernel info:
; codeLenInByte = 6708
; NumSgprs: 42
; NumVgprs: 123
; ScratchSize: 0
; MemoryBound: 0
; FloatMode: 240
; IeeeMode: 1
; LDSByteSize: 17472 bytes/workgroup (compile time only)
; SGPRBlocks: 5
; VGPRBlocks: 15
; NumSGPRsForWavesPerEU: 42
; NumVGPRsForWavesPerEU: 123
; Occupancy: 10
; WaveLimiterHint : 1
; COMPUTE_PGM_RSRC2:SCRATCH_EN: 0
; COMPUTE_PGM_RSRC2:USER_SGPR: 13
; COMPUTE_PGM_RSRC2:TRAP_HANDLER: 0
; COMPUTE_PGM_RSRC2:TGID_X_EN: 1
; COMPUTE_PGM_RSRC2:TGID_Y_EN: 1
; COMPUTE_PGM_RSRC2:TGID_Z_EN: 1
; COMPUTE_PGM_RSRC2:TIDIG_COMP_CNT: 0
	.section	.text._Z39paged_attention_ll4mi_QKV_mfma16_kernelIDF16_hLN4vllm18Fp8KVCacheDataTypeE1EhLi16ELi64ELi256ELb1ELi1EL8MFMAType0EEvPKT_PKT0_S8_ifPKiSA_SA_iPKfiiiPfSD_PS3_PT2_iSC_SC_,"axG",@progbits,_Z39paged_attention_ll4mi_QKV_mfma16_kernelIDF16_hLN4vllm18Fp8KVCacheDataTypeE1EhLi16ELi64ELi256ELb1ELi1EL8MFMAType0EEvPKT_PKT0_S8_ifPKiSA_SA_iPKfiiiPfSD_PS3_PT2_iSC_SC_,comdat
	.protected	_Z39paged_attention_ll4mi_QKV_mfma16_kernelIDF16_hLN4vllm18Fp8KVCacheDataTypeE1EhLi16ELi64ELi256ELb1ELi1EL8MFMAType0EEvPKT_PKT0_S8_ifPKiSA_SA_iPKfiiiPfSD_PS3_PT2_iSC_SC_ ; -- Begin function _Z39paged_attention_ll4mi_QKV_mfma16_kernelIDF16_hLN4vllm18Fp8KVCacheDataTypeE1EhLi16ELi64ELi256ELb1ELi1EL8MFMAType0EEvPKT_PKT0_S8_ifPKiSA_SA_iPKfiiiPfSD_PS3_PT2_iSC_SC_
	.globl	_Z39paged_attention_ll4mi_QKV_mfma16_kernelIDF16_hLN4vllm18Fp8KVCacheDataTypeE1EhLi16ELi64ELi256ELb1ELi1EL8MFMAType0EEvPKT_PKT0_S8_ifPKiSA_SA_iPKfiiiPfSD_PS3_PT2_iSC_SC_
	.p2align	8
	.type	_Z39paged_attention_ll4mi_QKV_mfma16_kernelIDF16_hLN4vllm18Fp8KVCacheDataTypeE1EhLi16ELi64ELi256ELb1ELi1EL8MFMAType0EEvPKT_PKT0_S8_ifPKiSA_SA_iPKfiiiPfSD_PS3_PT2_iSC_SC_,@function
_Z39paged_attention_ll4mi_QKV_mfma16_kernelIDF16_hLN4vllm18Fp8KVCacheDataTypeE1EhLi16ELi64ELi256ELb1ELi1EL8MFMAType0EEvPKT_PKT0_S8_ifPKiSA_SA_iPKfiiiPfSD_PS3_PT2_iSC_SC_: ; @_Z39paged_attention_ll4mi_QKV_mfma16_kernelIDF16_hLN4vllm18Fp8KVCacheDataTypeE1EhLi16ELi64ELi256ELb1ELi1EL8MFMAType0EEvPKT_PKT0_S8_ifPKiSA_SA_iPKfiiiPfSD_PS3_PT2_iSC_SC_
; %bb.0:
	s_load_b64 s[4:5], s[0:1], 0x30
	s_mov_b32 s34, s13
	s_waitcnt lgkmcnt(0)
	s_cmp_lg_u64 s[4:5], 0
	s_cselect_b32 s6, -1, 0
	s_ashr_i32 s35, s13, 31
	s_cmp_eq_u64 s[4:5], 0
	s_cbranch_scc1 .LBB1102_3
; %bb.1:
	s_lshl_b64 s[2:3], s[34:35], 2
	s_delay_alu instid0(SALU_CYCLE_1) | instskip(SKIP_4) | instid1(SALU_CYCLE_1)
	s_add_u32 s2, s4, s2
	s_addc_u32 s3, s5, s3
	s_load_b64 s[2:3], s[2:3], 0x0
	s_waitcnt lgkmcnt(0)
	s_sub_i32 s2, s3, s2
	s_cmp_eq_u32 s2, 1
	s_cselect_b32 s2, -1, 0
	s_delay_alu instid0(SALU_CYCLE_1)
	s_and_not1_b32 vcc_lo, exec_lo, s2
	s_cbranch_vccz .LBB1102_4
.LBB1102_2:
	s_endpgm
.LBB1102_3:
.LBB1102_4:
	s_load_b64 s[2:3], s[0:1], 0x28
	s_lshl_b64 s[8:9], s[34:35], 2
	s_waitcnt lgkmcnt(0)
	s_add_u32 s2, s2, s8
	s_addc_u32 s3, s3, s9
	s_lshl_b32 s12, s14, 8
	s_load_b32 s33, s[2:3], 0x0
	s_waitcnt lgkmcnt(0)
	s_cmp_ge_i32 s12, s33
	s_cbranch_scc1 .LBB1102_2
; %bb.5:
	s_clause 0x1
	s_load_b128 s[28:31], s[0:1], 0x8
	s_load_b64 s[2:3], s[0:1], 0x20
	s_and_not1_b32 vcc_lo, exec_lo, s6
	s_mov_b64 s[6:7], s[34:35]
	s_cbranch_vccnz .LBB1102_7
; %bb.6:
	s_add_u32 s4, s4, s8
	s_addc_u32 s5, s5, s9
	s_load_b32 s6, s[4:5], 0x0
.LBB1102_7:
	s_load_b128 s[24:27], s[0:1], 0x48
	v_and_b32_e32 v73, 15, v0
	s_mov_b32 s13, exec_lo
                                        ; implicit-def: $sgpr16
                                        ; implicit-def: $sgpr4
	s_delay_alu instid0(VALU_DEP_1)
	v_cmpx_eq_u32_e32 0, v73
	s_cbranch_execz .LBB1102_9
; %bb.8:
	s_load_b64 s[4:5], s[0:1], 0x0
	s_waitcnt lgkmcnt(0)
	s_mul_hi_i32 s7, s6, s24
	s_mul_i32 s6, s6, s24
	s_delay_alu instid0(SALU_CYCLE_1) | instskip(NEXT) | instid1(SALU_CYCLE_1)
	s_lshl_b64 s[6:7], s[6:7], 1
	s_add_u32 s6, s4, s6
	s_addc_u32 s7, s5, s7
	s_lshl_b32 s4, s15, 6
	s_delay_alu instid0(SALU_CYCLE_1) | instskip(NEXT) | instid1(SALU_CYCLE_1)
	s_ashr_i32 s5, s4, 31
	s_lshl_b64 s[4:5], s[4:5], 1
	s_delay_alu instid0(SALU_CYCLE_1)
	s_add_u32 s4, s6, s4
	s_addc_u32 s5, s7, s5
	s_clause 0x1
	s_load_b256 s[16:23], s[4:5], 0x0
	s_load_b256 s[4:11], s[4:5], 0x40
.LBB1102_9:
	s_or_b32 exec_lo, exec_lo, s13
	v_and_b32_e32 v1, 0xef, v0
	s_waitcnt lgkmcnt(0)
	v_dual_mov_b32 v115, s23 :: v_dual_mov_b32 v114, s22
	s_add_i32 s13, s33, 15
	s_load_b32 s27, s[0:1], 0x38
	v_dual_mov_b32 v112, s20 :: v_dual_add_nc_u32 v1, s12, v1
	s_ashr_i32 s24, s13, 31
	v_lshrrev_b32_e32 v66, 5, v0
	s_lshr_b32 s24, s24, 28
	s_delay_alu instid0(VALU_DEP_2)
	v_ashrrev_i32_e32 v2, 31, v1
	v_or_b32_e32 v3, 16, v1
	s_add_i32 s13, s13, s24
	v_cmp_gt_i32_e32 vcc_lo, s33, v1
	s_ashr_i32 s13, s13, 4
	v_lshrrev_b32_e32 v2, 28, v2
	s_add_i32 s13, s13, -1
	s_load_b32 s24, s[0:1], 0x1c
	v_and_b32_e32 v65, 0xe0, v0
	s_delay_alu instid0(VALU_DEP_2)
	v_dual_mov_b32 v111, s19 :: v_dual_add_nc_u32 v4, v1, v2
	v_mov_b32_e32 v113, s21
	v_mov_b32_e32 v109, s17
	v_mbcnt_lo_u32_b32 v67, -1, 0
	s_waitcnt lgkmcnt(0)
	s_mul_i32 s36, s34, s27
	v_ashrrev_i32_e32 v4, 4, v4
	v_add_nc_u32_e32 v2, v3, v2
	s_ashr_i32 s37, s36, 31
	v_bfe_u32 v75, v0, 4, 1
	s_lshl_b64 s[36:37], s[36:37], 2
	v_cndmask_b32_e32 v1, s13, v4, vcc_lo
	v_ashrrev_i32_e32 v2, 4, v2
	v_cmp_gt_i32_e32 vcc_lo, s33, v3
	s_add_u32 s36, s2, s36
	s_addc_u32 s35, s3, s37
	v_lshlrev_b32_e32 v74, 4, v73
	s_mul_i32 s37, s15, s26
	v_cndmask_b32_e32 v3, s13, v2, vcc_lo
	v_ashrrev_i32_e32 v2, 31, v1
	s_ashr_i32 s38, s37, 31
	s_add_u32 s39, s28, s37
	s_addc_u32 s46, s29, s38
	v_ashrrev_i32_e32 v4, 31, v3
	v_lshlrev_b64 v[1:2], 2, v[1:2]
	s_lshl_b32 s2, s14, 4
	v_xor_b32_e32 v68, 16, v67
	s_ashr_i32 s3, s2, 31
	v_lshlrev_b64 v[3:4], 2, v[3:4]
	s_lshl_b64 s[2:3], s[2:3], 2
	v_add_co_u32 v1, vcc_lo, s36, v1
	v_add_co_ci_u32_e32 v2, vcc_lo, s35, v2, vcc_lo
	s_delay_alu instid0(VALU_DEP_3) | instskip(NEXT) | instid1(VALU_DEP_4)
	v_add_co_u32 v3, vcc_lo, s36, v3
	v_add_co_ci_u32_e32 v4, vcc_lo, s35, v4, vcc_lo
	s_clause 0x1
	global_load_b32 v5, v[1:2], off
	global_load_b32 v7, v[3:4], off
	s_add_u32 s2, s36, s2
	s_addc_u32 s3, s35, s3
	s_or_b32 s26, s12, 32
	v_dual_mov_b32 v110, s18 :: v_dual_lshlrev_b32 v1, 4, v0
	s_ashr_i32 s27, s26, 4
	s_cmp_lt_i32 s26, s33
	v_mov_b32_e32 v108, s16
	s_cselect_b32 s26, s27, s13
	v_and_b32_e32 v1, 0xf0, v1
	s_ashr_i32 s27, s26, 31
	v_cmp_gt_i32_e32 vcc_lo, 32, v68
	s_lshl_b64 s[26:27], s[26:27], 2
	s_delay_alu instid0(SALU_CYCLE_1)
	s_add_u32 s26, s36, s26
	s_addc_u32 s27, s35, s27
	s_or_b32 s28, s12, 64
	v_add_co_u32 v1, s39, s39, v1
	s_ashr_i32 s29, s28, 4
	s_cmp_lt_i32 s28, s33
	v_add_co_ci_u32_e64 v2, null, s46, 0, s39
	s_cselect_b32 s28, s29, s13
	s_delay_alu instid0(SALU_CYCLE_1) | instskip(NEXT) | instid1(SALU_CYCLE_1)
	s_ashr_i32 s29, s28, 31
	s_lshl_b64 s[28:29], s[28:29], 2
	s_delay_alu instid0(SALU_CYCLE_1) | instskip(SKIP_2) | instid1(SALU_CYCLE_1)
	s_add_u32 s40, s36, s28
	s_addc_u32 s41, s35, s29
	s_or_b32 s28, s12, 0x60
	s_ashr_i32 s29, s28, 4
	s_cmp_lt_i32 s28, s33
	s_cselect_b32 s28, s29, s13
	s_delay_alu instid0(SALU_CYCLE_1) | instskip(NEXT) | instid1(SALU_CYCLE_1)
	s_ashr_i32 s29, s28, 31
	s_lshl_b64 s[28:29], s[28:29], 2
	s_delay_alu instid0(SALU_CYCLE_1) | instskip(SKIP_2) | instid1(SALU_CYCLE_1)
	s_add_u32 s42, s36, s28
	s_addc_u32 s43, s35, s29
	s_or_b32 s28, s12, 0x80
	s_ashr_i32 s29, s28, 4
	s_cmp_lt_i32 s28, s33
	;; [unrolled: 10-line block ×3, first 2 shown]
	s_cselect_b32 s28, s29, s13
	s_delay_alu instid0(SALU_CYCLE_1) | instskip(NEXT) | instid1(SALU_CYCLE_1)
	s_ashr_i32 s29, s28, 31
	s_lshl_b64 s[28:29], s[28:29], 2
	s_delay_alu instid0(SALU_CYCLE_1)
	s_add_u32 s46, s36, s28
	s_addc_u32 s47, s35, s29
	s_clause 0x5
	s_load_b32 s29, s[2:3], 0x0
	s_load_b32 s2, s[26:27], 0x0
	;; [unrolled: 1-line block ×6, first 2 shown]
	s_or_b32 s39, s12, 0xc0
	s_delay_alu instid0(SALU_CYCLE_1) | instskip(SKIP_2) | instid1(SALU_CYCLE_1)
	s_ashr_i32 s40, s39, 4
	s_cmp_lt_i32 s39, s33
	s_cselect_b32 s40, s40, s13
	s_ashr_i32 s41, s40, 31
	s_delay_alu instid0(SALU_CYCLE_1) | instskip(NEXT) | instid1(SALU_CYCLE_1)
	s_lshl_b64 s[40:41], s[40:41], 2
	s_add_u32 s40, s36, s40
	s_addc_u32 s41, s35, s41
	s_or_b32 s39, s12, 0xe0
	s_delay_alu instid0(SALU_CYCLE_1) | instskip(SKIP_2) | instid1(SALU_CYCLE_1)
	s_ashr_i32 s42, s39, 4
	s_cmp_lt_i32 s39, s33
	s_cselect_b32 s42, s42, s13
	s_ashr_i32 s43, s42, 31
	s_delay_alu instid0(SALU_CYCLE_1)
	s_lshl_b64 s[42:43], s[42:43], 2
	s_waitcnt vmcnt(1)
	v_mad_i64_i32 v[3:4], null, v5, s25, v[1:2]
	s_waitcnt vmcnt(0)
	v_mad_i64_i32 v[5:6], null, v7, s25, v[1:2]
	v_lshl_or_b32 v1, v66, 8, v74
	s_clause 0x7
	global_load_b128 v[76:79], v[3:4], off
	global_load_b128 v[80:83], v[3:4], off offset:256
	global_load_b128 v[84:87], v[5:6], off
	global_load_b128 v[88:91], v[5:6], off offset:256
	global_load_b128 v[92:95], v[3:4], off offset:512
	;; [unrolled: 1-line block ×5, first 2 shown]
	s_load_b32 s13, s[40:41], 0x0
	s_add_u32 s40, s36, s42
	s_addc_u32 s41, s35, s43
	s_add_u32 s30, s30, s37
	s_addc_u32 s31, s31, s38
	v_add_co_u32 v1, s30, s30, v1
	s_delay_alu instid0(VALU_DEP_1) | instskip(SKIP_3) | instid1(VALU_DEP_1)
	v_add_co_ci_u32_e64 v2, null, s31, 0, s30
	s_load_b32 s30, s[40:41], 0x0
	s_mov_b32 s36, 0
	s_waitcnt lgkmcnt(0)
	v_mad_i64_i32 v[3:4], null, s29, s25, v[1:2]
	v_mad_i64_i32 v[9:10], null, s26, s25, v[1:2]
	;; [unrolled: 1-line block ×7, first 2 shown]
	s_clause 0x5
	global_load_b128 v[49:52], v[3:4], off
	global_load_b128 v[53:56], v[3:4], off offset:16
	global_load_b128 v[41:44], v[5:6], off
	global_load_b128 v[45:48], v[5:6], off offset:16
	;; [unrolled: 2-line block ×3, first 2 shown]
	s_mov_b32 s43, s36
	s_mov_b32 s37, s36
	v_mad_i64_i32 v[61:62], null, s30, s25, v[1:2]
	s_clause 0x9
	global_load_b128 v[1:4], v[9:10], off
	global_load_b128 v[5:8], v[9:10], off offset:16
	global_load_b128 v[9:12], v[13:14], off
	global_load_b128 v[13:16], v[13:14], off offset:16
	;; [unrolled: 2-line block ×5, first 2 shown]
	s_mov_b32 s38, s36
	s_mov_b32 s39, s36
	s_mov_b32 s40, s36
	s_mov_b32 s41, s36
	s_mov_b32 s42, s36
	v_mov_b32_e32 v123, s11
	v_mov_b32_e32 v131, s43
	v_dual_mov_b32 v121, s9 :: v_dual_mov_b32 v126, s38
	v_dual_mov_b32 v119, s7 :: v_dual_mov_b32 v124, s36
	v_dual_mov_b32 v116, s4 :: v_dual_add_nc_u32 v65, s12, v65
	v_dual_mov_b32 v130, s42 :: v_dual_mov_b32 v129, s41
	v_dual_mov_b32 v128, s40 :: v_dual_mov_b32 v127, s39
	v_dual_mov_b32 v125, s37 :: v_dual_mov_b32 v122, s10
	v_mov_b32_e32 v120, s8
	v_dual_mov_b32 v118, s6 :: v_dual_mov_b32 v117, s5
	v_or_b32_e32 v65, v65, v75
	s_waitcnt vmcnt(0)
	s_barrier
	buffer_gl0_inv
	v_or_b32_e32 v69, 4, v65
	v_or_b32_e32 v70, 6, v65
	;; [unrolled: 1-line block ×8, first 2 shown]
	v_cmp_gt_i32_e64 s3, s33, v69
	v_cmp_gt_i32_e64 s4, s33, v70
	;; [unrolled: 1-line block ×8, first 2 shown]
	v_wmma_f32_16x16x16_f16 v[132:139], v[76:83], v[108:115], v[124:131]
	v_wmma_f32_16x16x16_f16 v[124:131], v[84:91], v[108:115], v[124:131]
	v_or_b32_e32 v76, 20, v65
	v_or_b32_e32 v77, 22, v65
	s_delay_alu instid0(VALU_DEP_4)
	v_wmma_f32_16x16x16_f16 v[132:139], v[92:99], v[116:123], v[132:139]
	v_or_b32_e32 v78, 24, v65
	v_or_b32_e32 v79, 26, v65
	v_or_b32_e32 v80, 28, v65
	v_or_b32_e32 v81, 30, v65
	v_mul_f32_e32 v82, s24, v139
	v_wmma_f32_16x16x16_f16 v[124:131], v[100:107], v[116:123], v[124:131]
	v_cndmask_b32_e32 v67, v67, v68, vcc_lo
	v_or_b32_e32 v68, 2, v65
	v_dual_mul_f32 v88, s24, v133 :: v_dual_mul_f32 v89, s24, v132
	v_cmp_gt_i32_e32 vcc_lo, s33, v65
	v_mul_f32_e32 v86, s24, v135
	s_delay_alu instid0(VALU_DEP_4) | instskip(SKIP_3) | instid1(VALU_DEP_4)
	v_cmp_gt_i32_e64 s2, s33, v68
	v_dual_mul_f32 v92, s24, v129 :: v_dual_mul_f32 v87, s24, v134
	v_cndmask_b32_e32 v65, 0xff7fffff, v89, vcc_lo
	v_mul_f32_e32 v84, s24, v137
	v_cndmask_b32_e64 v68, 0xff7fffff, v88, s2
	v_dual_mul_f32 v85, s24, v136 :: v_dual_mul_f32 v96, s24, v125
	v_cndmask_b32_e64 v69, 0xff7fffff, v87, s3
	v_cndmask_b32_e64 v70, 0xff7fffff, v86, s4
	s_delay_alu instid0(VALU_DEP_4) | instskip(SKIP_3) | instid1(VALU_DEP_4)
	v_max3_f32 v65, v65, 0xff7fffff, v68
	v_dual_mul_f32 v83, s24, v138 :: v_dual_mul_f32 v94, s24, v127
	v_cndmask_b32_e64 v68, 0xff7fffff, v85, s5
	v_cndmask_b32_e64 v71, 0xff7fffff, v84, s6
	v_max3_f32 v65, v65, v69, v70
	v_mul_f32_e32 v97, s24, v124
	v_cndmask_b32_e64 v69, 0xff7fffff, v83, s7
	v_cndmask_b32_e64 v70, 0xff7fffff, v82, s8
	v_mul_f32_e32 v95, s24, v126
	v_max3_f32 v65, v65, v68, v71
	v_cndmask_b32_e64 v68, 0xff7fffff, v97, s9
	v_cndmask_b32_e64 v71, 0xff7fffff, v96, s10
	v_cmp_gt_i32_e64 s11, s33, v76
	v_cmp_gt_i32_e64 s12, s33, v77
	v_max3_f32 v65, v65, v69, v70
	v_mul_f32_e32 v93, s24, v128
	v_cmp_gt_i32_e64 s13, s33, v78
	v_cndmask_b32_e64 v69, 0xff7fffff, v95, s11
	v_cndmask_b32_e64 v70, 0xff7fffff, v94, s12
	v_max3_f32 v65, v65, v68, v71
	v_cmp_gt_i32_e64 s16, s33, v79
	v_dual_mul_f32 v90, s24, v131 :: v_dual_mul_f32 v91, s24, v130
	v_cndmask_b32_e64 v68, 0xff7fffff, v93, s13
	s_delay_alu instid0(VALU_DEP_4) | instskip(NEXT) | instid1(VALU_DEP_4)
	v_max3_f32 v65, v65, v69, v70
	v_cndmask_b32_e64 v71, 0xff7fffff, v92, s16
	v_cmp_gt_i32_e64 s17, s33, v80
	v_cmp_gt_i32_e64 s18, s33, v81
	s_delay_alu instid0(VALU_DEP_3) | instskip(NEXT) | instid1(VALU_DEP_3)
	v_max3_f32 v65, v65, v68, v71
	v_cndmask_b32_e64 v69, 0xff7fffff, v91, s17
	s_delay_alu instid0(VALU_DEP_3) | instskip(SKIP_1) | instid1(VALU_DEP_2)
	v_cndmask_b32_e64 v70, 0xff7fffff, v90, s18
	v_lshlrev_b32_e32 v68, 2, v67
	v_max3_f32 v65, v65, v69, v70
	ds_bpermute_b32 v67, v68, v65
	s_waitcnt lgkmcnt(0)
	v_max_f32_e32 v67, v67, v67
	s_delay_alu instid0(VALU_DEP_1) | instskip(NEXT) | instid1(VALU_DEP_1)
	v_max_f32_e32 v65, v65, v67
	v_fma_f32 v71, s24, v135, -v65
	v_fma_f32 v67, s24, v132, -v65
	;; [unrolled: 1-line block ×5, first 2 shown]
	v_mul_f32_e32 v71, 0x3fb8aa3b, v71
	s_delay_alu instid0(VALU_DEP_3) | instskip(NEXT) | instid1(VALU_DEP_3)
	v_dual_mul_f32 v67, 0x3fb8aa3b, v67 :: v_dual_mul_f32 v70, 0x3fb8aa3b, v70
	v_mul_f32_e32 v72, 0x3fb8aa3b, v72
	s_delay_alu instid0(VALU_DEP_3) | instskip(NEXT) | instid1(VALU_DEP_2)
	v_exp_f32_e32 v71, v71
	v_exp_f32_e32 v67, v67
	s_delay_alu instid0(VALU_DEP_2) | instskip(NEXT) | instid1(VALU_DEP_1)
	v_exp_f32_e32 v76, v70
	v_exp_f32_e32 v79, v72
	v_cndmask_b32_e64 v71, 0, v71, s4
	s_delay_alu instid0(TRANS32_DEP_3)
	v_dual_mul_f32 v69, 0x3fb8aa3b, v69 :: v_dual_cndmask_b32 v70, 0, v67
	v_fma_f32 v67, s24, v137, -v65
	s_waitcnt_depctr 0xfff
	v_cndmask_b32_e64 v72, 0, v76, s3
	v_cndmask_b32_e64 v84, 0, v79, s5
	v_exp_f32_e32 v69, v69
	v_add_f32_e32 v77, 0, v70
	v_mul_f32_e32 v67, 0x3fb8aa3b, v67
	s_mov_b32 s3, exec_lo
	s_delay_alu instid0(VALU_DEP_1) | instskip(SKIP_2) | instid1(VALU_DEP_1)
	v_exp_f32_e32 v67, v67
	s_waitcnt_depctr 0xfff
	v_cndmask_b32_e64 v69, 0, v69, s2
	v_add_f32_e32 v76, v77, v69
	v_cndmask_b32_e64 v83, 0, v67, s6
	s_delay_alu instid0(VALU_DEP_2) | instskip(NEXT) | instid1(VALU_DEP_1)
	v_add_f32_e32 v76, v76, v72
	v_add_f32_e32 v76, v76, v71
	s_delay_alu instid0(VALU_DEP_1) | instskip(SKIP_1) | instid1(VALU_DEP_1)
	v_add_f32_e32 v67, v76, v84
	v_fma_f32 v76, s24, v126, -v65
	v_dual_add_f32 v67, v67, v83 :: v_dual_mul_f32 v76, 0x3fb8aa3b, v76
	v_fma_f32 v78, s24, v138, -v65
	v_fma_f32 v77, s24, v139, -v65
	;; [unrolled: 1-line block ×4, first 2 shown]
	v_exp_f32_e32 v76, v76
	s_delay_alu instid0(VALU_DEP_3) | instskip(NEXT) | instid1(VALU_DEP_2)
	v_dual_mul_f32 v78, 0x3fb8aa3b, v78 :: v_dual_mul_f32 v77, 0x3fb8aa3b, v77
	v_dual_mul_f32 v80, 0x3fb8aa3b, v80 :: v_dual_mul_f32 v79, 0x3fb8aa3b, v79
	s_delay_alu instid0(VALU_DEP_2) | instskip(NEXT) | instid1(VALU_DEP_2)
	v_exp_f32_e32 v78, v78
	v_exp_f32_e32 v77, v77
	s_delay_alu instid0(VALU_DEP_1) | instskip(NEXT) | instid1(VALU_DEP_1)
	v_exp_f32_e32 v80, v80
	v_exp_f32_e32 v79, v79
	v_cndmask_b32_e64 v90, 0, v76, s11
	v_cndmask_b32_e64 v86, 0, v78, s7
	v_fma_f32 v78, s24, v127, -v65
	s_delay_alu instid0(TRANS32_DEP_3) | instskip(SKIP_1) | instid1(TRANS32_DEP_2)
	v_cndmask_b32_e64 v85, 0, v77, s8
	v_fma_f32 v77, s24, v128, -v65
	v_cndmask_b32_e64 v88, 0, v80, s9
	v_add_f32_e32 v67, v67, v86
	v_mul_f32_e32 v78, 0x3fb8aa3b, v78
	v_fma_f32 v80, s24, v129, -v65
	v_mul_f32_e32 v77, 0x3fb8aa3b, v77
	v_cndmask_b32_e64 v87, 0, v79, s10
	v_add_f32_e32 v67, v67, v85
	v_exp_f32_e32 v78, v78
	v_fma_f32 v79, s24, v130, -v65
	v_mul_f32_e32 v80, 0x3fb8aa3b, v80
	v_exp_f32_e32 v77, v77
	s_delay_alu instid0(VALU_DEP_2) | instskip(NEXT) | instid1(VALU_DEP_2)
	v_dual_add_f32 v67, v67, v88 :: v_dual_mul_f32 v76, 0x3fb8aa3b, v79
	v_exp_f32_e32 v79, v80
	s_delay_alu instid0(VALU_DEP_1) | instskip(NEXT) | instid1(TRANS32_DEP_3)
	v_add_f32_e32 v67, v67, v87
	v_cndmask_b32_e64 v89, 0, v78, s12
	v_fma_f32 v78, s24, v131, -v65
	v_exp_f32_e32 v76, v76
	s_delay_alu instid0(TRANS32_DEP_3) | instskip(SKIP_1) | instid1(VALU_DEP_3)
	v_cndmask_b32_e64 v92, 0, v77, s13
	v_add_f32_e32 v67, v67, v90
	v_mul_f32_e32 v77, 0x3fb8aa3b, v78
	s_delay_alu instid0(TRANS32_DEP_2) | instskip(NEXT) | instid1(VALU_DEP_3)
	v_cndmask_b32_e64 v91, 0, v79, s16
	v_add_f32_e32 v67, v67, v89
	s_delay_alu instid0(VALU_DEP_3) | instskip(NEXT) | instid1(TRANS32_DEP_2)
	v_exp_f32_e32 v77, v77
	v_cndmask_b32_e64 v94, 0, v76, s17
	v_and_b32_e32 v76, 31, v0
	s_delay_alu instid0(VALU_DEP_3) | instskip(NEXT) | instid1(VALU_DEP_2)
	v_add_f32_e32 v67, v67, v92
	v_cmp_lt_u32_e64 s2, 15, v76
	s_delay_alu instid0(VALU_DEP_2) | instskip(SKIP_3) | instid1(VALU_DEP_1)
	v_add_f32_e32 v67, v67, v91
	s_waitcnt_depctr 0xfff
	v_cndmask_b32_e64 v93, 0, v77, s18
	v_add_f32_e32 v67, v67, v94
	v_add_f32_e32 v67, v67, v93
	ds_bpermute_b32 v68, v68, v67
	v_cmpx_gt_u32_e32 16, v76
	s_cbranch_execz .LBB1102_11
; %bb.10:
	v_mul_u32_u24_e32 v76, 0x44, v66
	s_waitcnt lgkmcnt(0)
	v_add_f32_e32 v67, v67, v68
	s_delay_alu instid0(VALU_DEP_2) | instskip(NEXT) | instid1(VALU_DEP_1)
	v_lshl_add_u32 v76, v73, 2, v76
	v_add_nc_u32_e32 v68, 0x4000, v76
	ds_store_2addr_b32 v68, v65, v67 offset1:136
.LBB1102_11:
	s_or_b32 exec_lo, exec_lo, s3
	v_lshlrev_b32_e32 v65, 2, v73
	s_load_b64 s[36:37], s[0:1], 0x94
	s_waitcnt lgkmcnt(0)
	s_barrier
	buffer_gl0_inv
	v_add_nc_u32_e32 v65, 0x4000, v65
	v_cmp_eq_u32_e32 vcc_lo, 1, v66
	v_cmp_eq_u32_e64 s3, 2, v66
	v_cmp_eq_u32_e64 s5, 3, v66
	;; [unrolled: 1-line block ×3, first 2 shown]
	ds_load_2addr_b32 v[76:77], v65 offset1:17
	ds_load_2addr_b32 v[78:79], v65 offset0:34 offset1:51
	ds_load_2addr_b32 v[80:81], v65 offset0:68 offset1:85
	;; [unrolled: 1-line block ×3, first 2 shown]
	v_cmp_eq_u32_e64 s7, 5, v66
	v_cmp_eq_u32_e64 s4, 6, v66
	s_waitcnt lgkmcnt(3)
	v_max3_f32 v67, v76, 0xff7fffff, v77
	s_waitcnt lgkmcnt(2)
	s_delay_alu instid0(VALU_DEP_1) | instskip(SKIP_1) | instid1(VALU_DEP_1)
	v_max3_f32 v67, v67, v78, v79
	s_waitcnt lgkmcnt(1)
	v_max3_f32 v67, v67, v80, v81
	s_waitcnt lgkmcnt(0)
	s_delay_alu instid0(VALU_DEP_1) | instskip(NEXT) | instid1(VALU_DEP_1)
	v_max3_f32 v67, v67, v95, v96
	v_sub_f32_e32 v82, v77, v67
	ds_load_2addr_b32 v[97:98], v65 offset0:136 offset1:153
	v_sub_f32_e32 v68, v76, v67
	ds_load_2addr_b32 v[76:77], v65 offset0:170 offset1:187
	v_sub_f32_e32 v80, v80, v67
	v_mul_f32_e32 v82, 0x3fb8aa3b, v82
	v_mul_f32_e32 v68, 0x3fb8aa3b, v68
	s_delay_alu instid0(VALU_DEP_3) | instskip(NEXT) | instid1(VALU_DEP_2)
	v_mul_f32_e32 v102, 0x3fb8aa3b, v80
	v_exp_f32_e32 v99, v68
	v_sub_f32_e32 v68, v79, v67
	s_delay_alu instid0(VALU_DEP_1) | instskip(NEXT) | instid1(VALU_DEP_1)
	v_dual_sub_f32 v78, v78, v67 :: v_dual_mul_f32 v101, 0x3fb8aa3b, v68
	v_mul_f32_e32 v100, 0x3fb8aa3b, v78
	ds_load_2addr_b32 v[78:79], v65 offset0:204 offset1:221
	s_waitcnt lgkmcnt(2)
	v_fma_f32 v68, v99, v97, 0
	v_sub_f32_e32 v97, v81, v67
	ds_load_2addr_b32 v[80:81], v65 offset0:238 offset1:255
	v_sub_f32_e32 v65, v95, v67
	v_exp_f32_e32 v82, v82
	v_exp_f32_e32 v101, v101
	v_mul_f32_e32 v95, 0x3fb8aa3b, v97
	v_exp_f32_e32 v97, v102
	v_mul_f32_e32 v65, 0x3fb8aa3b, v65
	v_exp_f32_e32 v100, v100
	s_waitcnt lgkmcnt(0)
	v_exp_f32_e32 v95, v95
	s_barrier
	buffer_gl0_inv
	v_fmac_f32_e32 v68, v82, v98
	s_delay_alu instid0(VALU_DEP_1) | instskip(SKIP_2) | instid1(VALU_DEP_2)
	v_fmac_f32_e32 v68, v100, v76
	v_sub_f32_e32 v76, v96, v67
	v_exp_f32_e32 v96, v65
	v_fmac_f32_e32 v68, v101, v77
	s_delay_alu instid0(VALU_DEP_2) | instskip(NEXT) | instid1(VALU_DEP_2)
	v_mul_f32_e32 v76, 0x3fb8aa3b, v76
	v_fmac_f32_e32 v68, v97, v78
	s_delay_alu instid0(VALU_DEP_2) | instskip(SKIP_1) | instid1(VALU_DEP_2)
	v_exp_f32_e32 v98, v76
	v_cndmask_b32_e32 v76, v99, v82, vcc_lo
	v_fmac_f32_e32 v68, v95, v79
	s_delay_alu instid0(TRANS32_DEP_2) | instid1(VALU_DEP_1)
	v_fmac_f32_e32 v68, v96, v80
	v_lshlrev_b32_e32 v80, 6, v73
	s_waitcnt_depctr 0xfff
	v_fmac_f32_e32 v68, v98, v81
	v_lshl_or_b32 v82, v66, 11, v80
	s_delay_alu instid0(VALU_DEP_2) | instskip(NEXT) | instid1(VALU_DEP_1)
	v_add_f32_e32 v81, 0x358637bd, v68
	v_div_scale_f32 v102, null, v81, v81, 1.0
	v_div_scale_f32 v99, vcc_lo, 1.0, v81, 1.0
	s_delay_alu instid0(VALU_DEP_2) | instskip(SKIP_2) | instid1(VALU_DEP_1)
	v_rcp_f32_e32 v103, v102
	s_waitcnt_depctr 0xfff
	v_fma_f32 v65, -v102, v103, 1.0
	v_fmac_f32_e32 v103, v65, v103
	v_cndmask_b32_e64 v65, v76, v100, s3
	v_cmp_eq_u32_e64 s3, 7, v66
	v_lshlrev_b32_e32 v76, 2, v75
	s_delay_alu instid0(VALU_DEP_4) | instskip(NEXT) | instid1(VALU_DEP_4)
	v_mul_f32_e32 v100, v99, v103
	v_cndmask_b32_e64 v77, v65, v101, s5
	v_mov_b32_e32 v65, 0
	s_delay_alu instid0(VALU_DEP_4)
	v_or_b32_e32 v79, 1, v76
	v_cmp_eq_u32_e64 s5, 1, v76
	v_fma_f32 v78, -v102, v100, v99
	v_cndmask_b32_e64 v97, v77, v97, s6
	v_or_b32_e32 v77, 2, v76
	v_cmp_eq_u32_e64 s9, 1, v79
	v_cmp_eq_u32_e64 s6, 2, v76
	v_fmac_f32_e32 v100, v78, v103
	v_cndmask_b32_e64 v66, v97, v95, s7
	v_or_b32_e32 v78, 3, v76
	v_cmp_eq_u32_e64 s10, 1, v77
	v_cmp_eq_u32_e64 s12, 2, v79
	v_fma_f32 v95, -v102, v100, v99
	v_cndmask_b32_e64 v66, v66, v96, s4
	v_cmp_eq_u32_e64 s11, 1, v78
	v_cmp_eq_u32_e64 s17, 2, v78
	;; [unrolled: 1-line block ×3, first 2 shown]
	v_div_fmas_f32 v95, v95, v103, v100
	v_cndmask_b32_e64 v66, v66, v98, s3
	v_cmp_eq_u32_e32 vcc_lo, 3, v76
	v_cmp_eq_u32_e64 s16, 2, v77
	v_cmp_eq_u32_e64 s19, 3, v78
	v_div_fixup_f32 v95, v95, v81, 1.0
	v_lshl_or_b32 v81, v75, 4, v82
	v_cmp_eq_u32_e64 s4, 4, v76
	v_cmp_eq_u32_e64 s18, 3, v77
	;; [unrolled: 1-line block ×3, first 2 shown]
	v_mul_f32_e32 v66, v66, v95
	v_cmp_eq_u32_e64 s23, 4, v78
	v_cmp_eq_u32_e64 s7, 5, v76
	;; [unrolled: 1-line block ×4, first 2 shown]
	v_fma_mixlo_f16 v95, v66, v70, 0
	v_fma_mixlo_f16 v96, v66, v72, 0
	;; [unrolled: 1-line block ×8, first 2 shown]
	v_fma_mixhi_f16 v95, v66, v69, 0
	v_fma_mixhi_f16 v96, v66, v71, 0
	;; [unrolled: 1-line block ×8, first 2 shown]
	ds_store_b128 v81, v[95:98]
	ds_store_b128 v81, v[99:102] offset:1024
	s_waitcnt lgkmcnt(0)
	s_barrier
	buffer_gl0_inv
	ds_load_b128 v[69:72], v82
	ds_load_b128 v[83:86], v82 offset:16
	ds_load_b128 v[87:90], v82 offset:1024
	;; [unrolled: 1-line block ×3, first 2 shown]
	v_cmp_eq_u32_e64 s25, 5, v78
	v_cmp_eq_u32_e64 s3, 6, v76
	v_cmp_eq_u32_e64 s24, 5, v77
	v_cmp_eq_u32_e64 s26, 6, v79
	v_cmp_eq_u32_e64 s28, 6, v78
	v_cmp_eq_u32_e64 s8, 7, v76
	v_cmp_eq_u32_e64 s27, 6, v77
	v_cmp_eq_u32_e64 s30, 7, v78
	v_cmp_eq_u32_e64 s31, 7, v79
	v_cmp_eq_u32_e64 s29, 7, v77
	s_waitcnt lgkmcnt(3)
	v_lshrrev_b32_e32 v66, 16, v69
	s_waitcnt lgkmcnt(2)
	v_lshrrev_b32_e32 v98, 16, v83
	;; [unrolled: 2-line block ×4, first 2 shown]
	v_lshrrev_b32_e32 v95, 16, v70
	v_cndmask_b32_e64 v110, v69, v66, s5
	v_cndmask_b32_e64 v111, v83, v98, s5
	;; [unrolled: 1-line block ×7, first 2 shown]
	v_lshrrev_b32_e32 v99, 16, v84
	v_cndmask_b32_e64 v115, v83, v98, s10
	v_cndmask_b32_e64 v83, v87, v102, s5
	;; [unrolled: 1-line block ×15, first 2 shown]
	v_lshrrev_b32_e32 v103, 16, v88
	v_lshrrev_b32_e32 v107, 16, v92
	v_cndmask_b32_e64 v112, v114, v70, s16
	v_cndmask_b32_e64 v113, v115, v84, s16
	;; [unrolled: 1-line block ×7, first 2 shown]
	v_cndmask_b32_e32 v88, v102, v95, vcc_lo
	v_cndmask_b32_e32 v102, v106, v99, vcc_lo
	v_cndmask_b32_e64 v106, v110, v95, s13
	v_cndmask_b32_e64 v110, v111, v99, s13
	;; [unrolled: 1-line block ×4, first 2 shown]
	v_lshrrev_b32_e32 v96, 16, v71
	v_lshrrev_b32_e32 v100, 16, v85
	v_cndmask_b32_e64 v111, v112, v95, s18
	v_cndmask_b32_e64 v112, v113, v99, s18
	v_cndmask_b32_e32 v70, v70, v103, vcc_lo
	v_cndmask_b32_e32 v83, v83, v107, vcc_lo
	v_cndmask_b32_e64 v84, v84, v103, s13
	v_cndmask_b32_e64 v88, v88, v71, s4
	;; [unrolled: 1-line block ×7, first 2 shown]
	v_lshrrev_b32_e32 v104, 16, v89
	v_lshrrev_b32_e32 v108, 16, v93
	v_cndmask_b32_e64 v106, v111, v71, s22
	v_cndmask_b32_e64 v110, v112, v85, s22
	;; [unrolled: 1-line block ×11, first 2 shown]
	v_lshrrev_b32_e32 v97, 16, v72
	v_lshrrev_b32_e32 v101, 16, v86
	v_cndmask_b32_e64 v99, v106, v96, s24
	v_cndmask_b32_e64 v102, v110, v100, s24
	;; [unrolled: 1-line block ×11, first 2 shown]
	v_lshrrev_b32_e32 v105, 16, v90
	v_cndmask_b32_e64 v96, v99, v72, s27
	v_cndmask_b32_e64 v99, v102, v86, s27
	v_cndmask_b32_e64 v70, v70, v90, s3
	v_cndmask_b32_e64 v86, v71, v94, s3
	v_cndmask_b32_e64 v71, v83, v90, s26
	v_cndmask_b32_e64 v83, v84, v97, s8
	v_cndmask_b32_e64 v84, v85, v101, s8
	v_cndmask_b32_e64 v85, v88, v97, s31
	v_cndmask_b32_e64 v66, v66, v97, s30
	v_cndmask_b32_e64 v69, v69, v101, s30
	v_cndmask_b32_e64 v95, v95, v101, s31
	v_cndmask_b32_e64 v88, v96, v97, s29
	v_cndmask_b32_e64 v96, v99, v101, s29
	v_cndmask_b32_e64 v97, v70, v105, s8
	v_perm_b32 v72, v69, v66, 0x5040100
	v_perm_b32 v70, v95, v85, 0x5040100
	v_cndmask_b32_e64 v66, v91, v92, s17
	v_cndmask_b32_e64 v69, v119, v92, s16
	;; [unrolled: 1-line block ×4, first 2 shown]
	v_perm_b32 v71, v96, v88, 0x5040100
	v_cndmask_b32_e64 v88, v98, v103, s18
	v_cndmask_b32_e64 v87, v87, v103, s19
	;; [unrolled: 1-line block ×15, first 2 shown]
	v_lshrrev_b32_e32 v109, 16, v94
	v_cndmask_b32_e64 v88, v88, v90, s27
	v_cndmask_b32_e64 v87, v87, v90, s28
	;; [unrolled: 1-line block ×11, first 2 shown]
	v_perm_b32 v69, v84, v83, 0x5040100
	v_perm_b32 v86, v66, v87, 0x5040100
	;; [unrolled: 1-line block ×5, first 2 shown]
	s_mov_b32 s3, exec_lo
	ds_store_b128 v81, v[69:72]
	ds_store_b128 v81, v[83:86] offset:1024
	v_cmpx_eq_u32_e32 0, v0
	s_cbranch_execz .LBB1102_13
; %bb.12:
	s_load_b128 s[4:7], s[0:1], 0x58
	s_mul_i32 s8, s37, s34
	s_delay_alu instid0(SALU_CYCLE_1) | instskip(NEXT) | instid1(SALU_CYCLE_1)
	s_add_i32 s8, s8, s15
	s_mul_i32 s8, s8, s36
	s_delay_alu instid0(SALU_CYCLE_1) | instskip(NEXT) | instid1(SALU_CYCLE_1)
	s_add_i32 s8, s8, s14
	s_ashr_i32 s9, s8, 31
	s_delay_alu instid0(SALU_CYCLE_1)
	s_lshl_b64 s[8:9], s[8:9], 2
	s_waitcnt lgkmcnt(0)
	s_add_u32 s6, s6, s8
	s_addc_u32 s7, s7, s9
	s_add_u32 s4, s4, s8
	s_addc_u32 s5, s5, s9
	s_clause 0x1
	global_store_b32 v65, v67, s[6:7]
	global_store_b32 v65, v68, s[4:5]
.LBB1102_13:
	s_or_b32 exec_lo, exec_lo, s3
	s_waitcnt lgkmcnt(0)
	s_waitcnt_vscnt null, 0x0
	s_barrier
	buffer_gl0_inv
	ds_load_b128 v[83:86], v80
	ds_load_b128 v[87:90], v80 offset:16
	ds_load_b128 v[95:98], v80 offset:2064
	;; [unrolled: 1-line block ×5, first 2 shown]
	v_mov_b32_e32 v66, v65
	v_mov_b32_e32 v67, v65
	;; [unrolled: 1-line block ×7, first 2 shown]
	ds_load_b128 v[111:114], v80 offset:6160
	ds_load_b128 v[107:110], v80 offset:6144
	;; [unrolled: 1-line block ×4, first 2 shown]
	v_cmp_eq_u32_e32 vcc_lo, 1, v76
	v_cmp_eq_u32_e64 s3, 1, v79
	v_cmp_eq_u32_e64 s4, 1, v78
	;; [unrolled: 1-line block ×5, first 2 shown]
	s_waitcnt lgkmcnt(8)
	v_wmma_f32_16x16x16_f16 v[65:72], v[49:56], v[83:90], v[65:72]
	ds_load_b128 v[53:56], v80 offset:10256
	ds_load_b128 v[49:52], v80 offset:10240
	s_waitcnt lgkmcnt(8)
	v_wmma_f32_16x16x16_f16 v[65:72], v[41:48], v[91:98], v[65:72]
	ds_load_b128 v[45:48], v80 offset:12304
	ds_load_b128 v[41:44], v80 offset:12288
	;; [unrolled: 4-line block ×3, first 2 shown]
	s_waitcnt lgkmcnt(0)
	s_barrier
	buffer_gl0_inv
	v_wmma_f32_16x16x16_f16 v[65:72], v[1:8], v[107:114], v[65:72]
	s_delay_alu instid0(VALU_DEP_1) | instskip(NEXT) | instid1(VALU_DEP_1)
	v_wmma_f32_16x16x16_f16 v[65:72], v[9:16], v[115:122], v[65:72]
	v_wmma_f32_16x16x16_f16 v[65:72], v[17:24], v[49:56], v[65:72]
	s_delay_alu instid0(VALU_DEP_1) | instskip(NEXT) | instid1(VALU_DEP_1)
	v_wmma_f32_16x16x16_f16 v[65:72], v[25:32], v[41:48], v[65:72]
	v_wmma_f32_16x16x16_f16 v[65:72], v[57:64], v[33:40], v[65:72]
	s_delay_alu instid0(VALU_DEP_1) | instskip(NEXT) | instid1(VALU_DEP_2)
	v_cvt_f16_f32_e32 v1, v65
	v_cvt_f16_f32_e32 v2, v66
	s_delay_alu instid0(VALU_DEP_3) | instskip(NEXT) | instid1(VALU_DEP_4)
	v_cvt_f16_f32_e32 v3, v67
	v_cvt_f16_f32_e32 v4, v68
	;; [unrolled: 1-line block ×6, first 2 shown]
	v_pack_b32_f16 v1, v1, v2
	v_pack_b32_f16 v2, v3, v4
	;; [unrolled: 1-line block ×3, first 2 shown]
	s_delay_alu instid0(VALU_DEP_4)
	v_pack_b32_f16 v4, v7, v8
	ds_store_b128 v81, v[1:4]
	s_waitcnt lgkmcnt(0)
	s_barrier
	buffer_gl0_inv
	ds_load_b128 v[1:4], v82
	ds_load_b128 v[5:8], v82 offset:16
	s_waitcnt lgkmcnt(1)
	v_lshrrev_b32_e32 v9, 16, v1
	s_waitcnt lgkmcnt(0)
	v_lshrrev_b32_e32 v13, 16, v5
	v_lshrrev_b32_e32 v16, 16, v8
	;; [unrolled: 1-line block ×4, first 2 shown]
	v_cndmask_b32_e32 v17, v1, v9, vcc_lo
	v_cndmask_b32_e32 v18, v5, v13, vcc_lo
	v_cmp_eq_u32_e32 vcc_lo, 1, v77
	v_cndmask_b32_e64 v19, v1, v9, s3
	v_cndmask_b32_e64 v20, v5, v13, s3
	v_cmp_eq_u32_e64 s3, 2, v77
	v_lshrrev_b32_e32 v11, 16, v3
	v_cndmask_b32_e32 v21, v1, v9, vcc_lo
	v_cndmask_b32_e32 v22, v5, v13, vcc_lo
	v_cndmask_b32_e64 v1, v1, v9, s4
	v_cmp_eq_u32_e32 vcc_lo, 2, v78
	v_cndmask_b32_e64 v5, v5, v13, s4
	v_cmp_eq_u32_e64 s4, 2, v79
	v_cndmask_b32_e64 v9, v17, v2, s5
	v_cndmask_b32_e64 v13, v18, v6, s5
	v_cmp_eq_u32_e64 s5, 3, v79
	v_cndmask_b32_e32 v1, v1, v2, vcc_lo
	v_cndmask_b32_e64 v17, v19, v2, s4
	v_cndmask_b32_e64 v18, v20, v6, s4
	;; [unrolled: 1-line block ×4, first 2 shown]
	v_cndmask_b32_e32 v2, v5, v6, vcc_lo
	v_cmp_eq_u32_e32 vcc_lo, 3, v77
	v_cmp_eq_u32_e64 s4, 3, v78
	v_cndmask_b32_e64 v5, v9, v10, s6
	v_cndmask_b32_e64 v6, v13, v14, s6
	;; [unrolled: 1-line block ×4, first 2 shown]
	v_cndmask_b32_e32 v17, v19, v10, vcc_lo
	v_cmp_eq_u32_e64 s3, 4, v77
	v_cndmask_b32_e32 v18, v20, v14, vcc_lo
	v_cndmask_b32_e64 v1, v1, v10, s4
	v_cmp_eq_u32_e32 vcc_lo, 4, v78
	v_cmp_eq_u32_e64 s5, 4, v76
	v_cndmask_b32_e64 v2, v2, v14, s4
	v_cmp_eq_u32_e64 s4, 4, v79
	v_lshrrev_b32_e32 v15, 16, v7
	v_cmp_eq_u32_e64 s6, 5, v76
	v_cndmask_b32_e64 v5, v5, v3, s5
	v_cndmask_b32_e64 v6, v6, v7, s5
	v_cndmask_b32_e64 v9, v9, v3, s4
	v_cndmask_b32_e64 v10, v13, v7, s4
	v_cndmask_b32_e64 v13, v17, v3, s3
	v_cndmask_b32_e64 v14, v18, v7, s3
	v_cmp_eq_u32_e64 s4, 5, v77
	v_cndmask_b32_e32 v1, v1, v3, vcc_lo
	v_cndmask_b32_e32 v2, v2, v7, vcc_lo
	v_cmp_eq_u32_e32 vcc_lo, 5, v78
	v_cmp_eq_u32_e64 s5, 5, v79
	v_cndmask_b32_e64 v5, v5, v11, s6
	v_cmp_eq_u32_e64 s3, 6, v76
	v_cndmask_b32_e64 v6, v6, v15, s6
	v_cndmask_b32_e64 v13, v13, v11, s4
	;; [unrolled: 1-line block ×3, first 2 shown]
	v_cndmask_b32_e32 v1, v1, v11, vcc_lo
	v_cmp_eq_u32_e64 s4, 6, v78
	v_cndmask_b32_e32 v2, v2, v15, vcc_lo
	v_cndmask_b32_e64 v9, v9, v11, s5
	v_cndmask_b32_e64 v10, v10, v15, s5
	v_cmp_eq_u32_e64 s5, 6, v79
	v_lshrrev_b32_e32 v12, 16, v4
	v_cndmask_b32_e64 v5, v5, v4, s3
	v_cndmask_b32_e64 v6, v6, v8, s3
	v_cmp_eq_u32_e64 s3, 7, v76
	v_cndmask_b32_e64 v1, v1, v4, s4
	v_cmp_eq_u32_e32 vcc_lo, 7, v78
	v_cndmask_b32_e64 v2, v2, v8, s4
	v_cndmask_b32_e64 v9, v9, v4, s5
	v_cmp_eq_u32_e64 s6, 7, v79
	v_cndmask_b32_e64 v7, v13, v4, s7
	v_cndmask_b32_e64 v3, v3, v8, s7
	v_cndmask_b32_e32 v2, v2, v16, vcc_lo
	v_cmp_eq_u32_e64 s4, 7, v77
	v_cndmask_b32_e64 v4, v10, v8, s5
	v_cndmask_b32_e64 v5, v5, v12, s3
	v_cndmask_b32_e32 v1, v1, v12, vcc_lo
	v_cndmask_b32_e64 v6, v6, v16, s3
	v_cmp_lt_u32_e32 vcc_lo, 31, v0
	v_cmp_lt_u32_e64 s3, 7, v73
	v_cndmask_b32_e64 v9, v9, v12, s6
	v_cndmask_b32_e64 v7, v7, v12, s4
	;; [unrolled: 1-line block ×4, first 2 shown]
	s_or_b32 s3, vcc_lo, s3
	v_perm_b32 v4, v2, v1, 0x5040100
	v_perm_b32 v1, v6, v5, 0x5040100
	;; [unrolled: 1-line block ×4, first 2 shown]
	s_or_b32 s2, s2, s3
	s_delay_alu instid0(SALU_CYCLE_1)
	s_xor_b32 s2, s2, -1
	ds_store_b128 v81, v[1:4]
	s_waitcnt lgkmcnt(0)
	s_barrier
	buffer_gl0_inv
	s_and_saveexec_b32 s3, s2
	s_cbranch_execz .LBB1102_2
; %bb.14:
	s_load_b64 s[0:1], s[0:1], 0x68
	v_lshlrev_b32_e32 v1, 10, v0
	v_and_b32_e32 v0, 1, v0
	v_lshlrev_b32_e32 v2, 6, v75
	s_lshl_b32 s4, s36, 6
	s_delay_alu instid0(VALU_DEP_3) | instskip(NEXT) | instid1(VALU_DEP_3)
	v_and_b32_e32 v1, 0x3800, v1
	v_lshlrev_b32_e32 v0, 4, v0
	s_mul_i32 s2, s4, s34
	s_delay_alu instid0(SALU_CYCLE_1) | instskip(NEXT) | instid1(VALU_DEP_1)
	s_mul_i32 s2, s2, s37
	v_or3_b32 v0, v1, v2, v0
	s_ashr_i32 s3, s2, 31
	s_delay_alu instid0(SALU_CYCLE_1)
	s_lshl_b64 s[2:3], s[2:3], 1
	ds_load_b128 v[0:3], v0
	s_waitcnt lgkmcnt(0)
	s_add_u32 s5, s0, s2
	s_addc_u32 s3, s1, s3
	s_lshl_b32 s0, s14, 6
	s_mul_i32 s2, s4, s15
	s_ashr_i32 s1, s0, 31
	s_delay_alu instid0(SALU_CYCLE_1) | instskip(NEXT) | instid1(SALU_CYCLE_1)
	s_lshl_b64 s[0:1], s[0:1], 1
	s_add_u32 s4, s5, s0
	s_addc_u32 s5, s3, s1
	s_ashr_i32 s3, s2, 31
	s_delay_alu instid0(SALU_CYCLE_1) | instskip(NEXT) | instid1(SALU_CYCLE_1)
	s_lshl_b64 s[0:1], s[2:3], 1
	s_add_u32 s0, s4, s0
	s_addc_u32 s1, s5, s1
	global_store_b128 v74, v[0:3], s[0:1]
	s_nop 0
	s_sendmsg sendmsg(MSG_DEALLOC_VGPRS)
	s_endpgm
	.section	.rodata,"a",@progbits
	.p2align	6, 0x0
	.amdhsa_kernel _Z39paged_attention_ll4mi_QKV_mfma16_kernelIDF16_hLN4vllm18Fp8KVCacheDataTypeE1EhLi16ELi64ELi256ELb1ELi1EL8MFMAType0EEvPKT_PKT0_S8_ifPKiSA_SA_iPKfiiiPfSD_PS3_PT2_iSC_SC_
		.amdhsa_group_segment_fixed_size 17472
		.amdhsa_private_segment_fixed_size 0
		.amdhsa_kernarg_size 400
		.amdhsa_user_sgpr_count 13
		.amdhsa_user_sgpr_dispatch_ptr 0
		.amdhsa_user_sgpr_queue_ptr 0
		.amdhsa_user_sgpr_kernarg_segment_ptr 1
		.amdhsa_user_sgpr_dispatch_id 0
		.amdhsa_user_sgpr_private_segment_size 0
		.amdhsa_wavefront_size32 1
		.amdhsa_uses_dynamic_stack 0
		.amdhsa_enable_private_segment 0
		.amdhsa_system_sgpr_workgroup_id_x 1
		.amdhsa_system_sgpr_workgroup_id_y 1
		.amdhsa_system_sgpr_workgroup_id_z 1
		.amdhsa_system_sgpr_workgroup_info 0
		.amdhsa_system_vgpr_workitem_id 0
		.amdhsa_next_free_vgpr 144
		.amdhsa_next_free_sgpr 48
		.amdhsa_reserve_vcc 1
		.amdhsa_float_round_mode_32 0
		.amdhsa_float_round_mode_16_64 0
		.amdhsa_float_denorm_mode_32 3
		.amdhsa_float_denorm_mode_16_64 3
		.amdhsa_dx10_clamp 1
		.amdhsa_ieee_mode 1
		.amdhsa_fp16_overflow 0
		.amdhsa_workgroup_processor_mode 1
		.amdhsa_memory_ordered 1
		.amdhsa_forward_progress 0
		.amdhsa_shared_vgpr_count 0
		.amdhsa_exception_fp_ieee_invalid_op 0
		.amdhsa_exception_fp_denorm_src 0
		.amdhsa_exception_fp_ieee_div_zero 0
		.amdhsa_exception_fp_ieee_overflow 0
		.amdhsa_exception_fp_ieee_underflow 0
		.amdhsa_exception_fp_ieee_inexact 0
		.amdhsa_exception_int_div_zero 0
	.end_amdhsa_kernel
	.section	.text._Z39paged_attention_ll4mi_QKV_mfma16_kernelIDF16_hLN4vllm18Fp8KVCacheDataTypeE1EhLi16ELi64ELi256ELb1ELi1EL8MFMAType0EEvPKT_PKT0_S8_ifPKiSA_SA_iPKfiiiPfSD_PS3_PT2_iSC_SC_,"axG",@progbits,_Z39paged_attention_ll4mi_QKV_mfma16_kernelIDF16_hLN4vllm18Fp8KVCacheDataTypeE1EhLi16ELi64ELi256ELb1ELi1EL8MFMAType0EEvPKT_PKT0_S8_ifPKiSA_SA_iPKfiiiPfSD_PS3_PT2_iSC_SC_,comdat
.Lfunc_end1102:
	.size	_Z39paged_attention_ll4mi_QKV_mfma16_kernelIDF16_hLN4vllm18Fp8KVCacheDataTypeE1EhLi16ELi64ELi256ELb1ELi1EL8MFMAType0EEvPKT_PKT0_S8_ifPKiSA_SA_iPKfiiiPfSD_PS3_PT2_iSC_SC_, .Lfunc_end1102-_Z39paged_attention_ll4mi_QKV_mfma16_kernelIDF16_hLN4vllm18Fp8KVCacheDataTypeE1EhLi16ELi64ELi256ELb1ELi1EL8MFMAType0EEvPKT_PKT0_S8_ifPKiSA_SA_iPKfiiiPfSD_PS3_PT2_iSC_SC_
                                        ; -- End function
	.section	.AMDGPU.csdata,"",@progbits
; Kernel info:
; codeLenInByte = 6204
; NumSgprs: 50
; NumVgprs: 144
; ScratchSize: 0
; MemoryBound: 1
; FloatMode: 240
; IeeeMode: 1
; LDSByteSize: 17472 bytes/workgroup (compile time only)
; SGPRBlocks: 6
; VGPRBlocks: 17
; NumSGPRsForWavesPerEU: 50
; NumVGPRsForWavesPerEU: 144
; Occupancy: 10
; WaveLimiterHint : 1
; COMPUTE_PGM_RSRC2:SCRATCH_EN: 0
; COMPUTE_PGM_RSRC2:USER_SGPR: 13
; COMPUTE_PGM_RSRC2:TRAP_HANDLER: 0
; COMPUTE_PGM_RSRC2:TGID_X_EN: 1
; COMPUTE_PGM_RSRC2:TGID_Y_EN: 1
; COMPUTE_PGM_RSRC2:TGID_Z_EN: 1
; COMPUTE_PGM_RSRC2:TIDIG_COMP_CNT: 0
	.section	.text._Z39paged_attention_ll4mi_QKV_mfma16_kernelIDF16_hLN4vllm18Fp8KVCacheDataTypeE1EhLi16ELi64ELi256ELb1ELi2EL8MFMAType0EEvPKT_PKT0_S8_ifPKiSA_SA_iPKfiiiPfSD_PS3_PT2_iSC_SC_,"axG",@progbits,_Z39paged_attention_ll4mi_QKV_mfma16_kernelIDF16_hLN4vllm18Fp8KVCacheDataTypeE1EhLi16ELi64ELi256ELb1ELi2EL8MFMAType0EEvPKT_PKT0_S8_ifPKiSA_SA_iPKfiiiPfSD_PS3_PT2_iSC_SC_,comdat
	.protected	_Z39paged_attention_ll4mi_QKV_mfma16_kernelIDF16_hLN4vllm18Fp8KVCacheDataTypeE1EhLi16ELi64ELi256ELb1ELi2EL8MFMAType0EEvPKT_PKT0_S8_ifPKiSA_SA_iPKfiiiPfSD_PS3_PT2_iSC_SC_ ; -- Begin function _Z39paged_attention_ll4mi_QKV_mfma16_kernelIDF16_hLN4vllm18Fp8KVCacheDataTypeE1EhLi16ELi64ELi256ELb1ELi2EL8MFMAType0EEvPKT_PKT0_S8_ifPKiSA_SA_iPKfiiiPfSD_PS3_PT2_iSC_SC_
	.globl	_Z39paged_attention_ll4mi_QKV_mfma16_kernelIDF16_hLN4vllm18Fp8KVCacheDataTypeE1EhLi16ELi64ELi256ELb1ELi2EL8MFMAType0EEvPKT_PKT0_S8_ifPKiSA_SA_iPKfiiiPfSD_PS3_PT2_iSC_SC_
	.p2align	8
	.type	_Z39paged_attention_ll4mi_QKV_mfma16_kernelIDF16_hLN4vllm18Fp8KVCacheDataTypeE1EhLi16ELi64ELi256ELb1ELi2EL8MFMAType0EEvPKT_PKT0_S8_ifPKiSA_SA_iPKfiiiPfSD_PS3_PT2_iSC_SC_,@function
_Z39paged_attention_ll4mi_QKV_mfma16_kernelIDF16_hLN4vllm18Fp8KVCacheDataTypeE1EhLi16ELi64ELi256ELb1ELi2EL8MFMAType0EEvPKT_PKT0_S8_ifPKiSA_SA_iPKfiiiPfSD_PS3_PT2_iSC_SC_: ; @_Z39paged_attention_ll4mi_QKV_mfma16_kernelIDF16_hLN4vllm18Fp8KVCacheDataTypeE1EhLi16ELi64ELi256ELb1ELi2EL8MFMAType0EEvPKT_PKT0_S8_ifPKiSA_SA_iPKfiiiPfSD_PS3_PT2_iSC_SC_
; %bb.0:
	s_load_b64 s[2:3], s[0:1], 0x30
	s_mov_b32 s30, s13
	s_waitcnt lgkmcnt(0)
	s_cmp_lg_u64 s[2:3], 0
	s_cselect_b32 s6, -1, 0
	s_ashr_i32 s31, s13, 31
	s_cmp_eq_u64 s[2:3], 0
	s_cbranch_scc1 .LBB1103_3
; %bb.1:
	s_lshl_b64 s[4:5], s[30:31], 2
	s_delay_alu instid0(SALU_CYCLE_1) | instskip(SKIP_4) | instid1(SALU_CYCLE_1)
	s_add_u32 s4, s2, s4
	s_addc_u32 s5, s3, s5
	s_load_b64 s[4:5], s[4:5], 0x0
	s_waitcnt lgkmcnt(0)
	s_sub_i32 s4, s5, s4
	s_cmp_eq_u32 s4, 1
	s_cselect_b32 s4, -1, 0
	s_delay_alu instid0(SALU_CYCLE_1)
	s_and_not1_b32 vcc_lo, exec_lo, s4
	s_cbranch_vccz .LBB1103_4
.LBB1103_2:
	s_endpgm
.LBB1103_3:
.LBB1103_4:
	s_load_b64 s[8:9], s[0:1], 0x28
	s_lshl_b64 s[4:5], s[30:31], 2
	s_waitcnt lgkmcnt(0)
	s_add_u32 s8, s8, s4
	s_addc_u32 s9, s9, s5
	s_lshl_b32 s16, s14, 8
	s_load_b32 s17, s[8:9], 0x0
	s_waitcnt lgkmcnt(0)
	s_cmp_ge_i32 s16, s17
	s_cbranch_scc1 .LBB1103_2
; %bb.5:
	s_clause 0x1
	s_load_b128 s[8:11], s[0:1], 0x8
	s_load_b64 s[12:13], s[0:1], 0x20
	s_and_not1_b32 vcc_lo, exec_lo, s6
	s_cbranch_vccnz .LBB1103_7
; %bb.6:
	s_add_u32 s2, s2, s4
	s_addc_u32 s3, s3, s5
	s_load_b32 s3, s[2:3], 0x0
	s_branch .LBB1103_8
.LBB1103_7:
	s_mov_b32 s3, s30
.LBB1103_8:
	s_load_b128 s[4:7], s[0:1], 0x48
	v_and_b32_e32 v70, 15, v0
	v_bfe_u32 v69, v0, 4, 1
	s_lshl_b32 s33, s15, 1
	v_cmp_gt_u32_e32 vcc_lo, 32, v0
	v_and_b32_e32 v71, 31, v0
	v_lshlrev_b32_e32 v1, 3, v70
	v_cmp_gt_u32_e64 s2, 8, v70
	v_and_b32_e32 v68, 1, v0
	v_or_b32_e32 v67, s33, v69
	v_lshlrev_b32_e32 v66, 6, v69
	v_lshlrev_b32_e32 v65, 1, v1
	s_and_b32 s31, vcc_lo, s2
	s_delay_alu instid0(SALU_CYCLE_1)
	s_and_saveexec_b32 s2, s31
	s_cbranch_execz .LBB1103_10
; %bb.9:
	s_load_b64 s[18:19], s[0:1], 0x0
	v_lshlrev_b32_e32 v1, 6, v67
	s_waitcnt lgkmcnt(0)
	s_mul_hi_i32 s21, s3, s4
	s_mul_i32 s20, s3, s4
	v_lshlrev_b32_e32 v5, 10, v70
	s_lshl_b64 s[20:21], s[20:21], 1
	v_ashrrev_i32_e32 v2, 31, v1
	v_lshlrev_b32_e32 v6, 10, v68
	s_delay_alu instid0(VALU_DEP_3) | instskip(NEXT) | instid1(VALU_DEP_3)
	v_and_b32_e32 v5, 0x3800, v5
	v_lshlrev_b64 v[1:2], 1, v[1:2]
	s_delay_alu instid0(VALU_DEP_2) | instskip(SKIP_2) | instid1(VALU_DEP_2)
	v_or3_b32 v5, v5, v6, v66
	s_add_u32 s3, s18, s20
	s_addc_u32 s4, s19, s21
	v_add_co_u32 v1, vcc_lo, s3, v1
	s_delay_alu instid0(VALU_DEP_3) | instskip(NEXT) | instid1(VALU_DEP_2)
	v_add_co_ci_u32_e32 v2, vcc_lo, s4, v2, vcc_lo
	v_add_co_u32 v1, vcc_lo, v1, v65
	s_delay_alu instid0(VALU_DEP_2)
	v_add_co_ci_u32_e32 v2, vcc_lo, 0, v2, vcc_lo
	global_load_b128 v[1:4], v[1:2], off
	s_waitcnt vmcnt(0)
	ds_store_b128 v5, v[1:4]
.LBB1103_10:
	s_or_b32 exec_lo, exec_lo, s2
	v_and_b32_e32 v1, 0xef, v0
	s_add_i32 s2, s17, 15
	s_waitcnt lgkmcnt(0)
	s_clause 0x1
	s_load_b32 s3, s[0:1], 0x38
	s_load_b32 s34, s[0:1], 0x98
	s_ashr_i32 s4, s2, 31
	v_add_nc_u32_e32 v1, s16, v1
	s_lshr_b32 s4, s4, 28
	s_load_b32 s18, s[0:1], 0x1c
	s_add_i32 s2, s2, s4
	s_waitcnt lgkmcnt(0)
	v_ashrrev_i32_e32 v2, 31, v1
	v_or_b32_e32 v3, 16, v1
	s_ashr_i32 s2, s2, 4
	v_cmp_gt_i32_e32 vcc_lo, s17, v1
	s_add_i32 s2, s2, -1
	v_lshrrev_b32_e32 v2, 28, v2
	s_barrier
	buffer_gl0_inv
	s_mul_i32 s15, s15, s6
	v_lshrrev_b32_e32 v72, 5, v0
	v_add_nc_u32_e32 v4, v1, v2
	v_mbcnt_lo_u32_b32 v129, -1, 0
	s_mul_i32 s20, s30, s3
	v_and_b32_e32 v105, 0xe0, v0
	s_ashr_i32 s21, s20, 31
	v_ashrrev_i32_e32 v4, 4, v4
	v_add_nc_u32_e32 v2, v3, v2
	s_lshl_b64 s[20:21], s[20:21], 2
	v_xor_b32_e32 v130, 16, v129
	s_add_u32 s19, s12, s20
	v_cndmask_b32_e32 v1, s2, v4, vcc_lo
	v_ashrrev_i32_e32 v2, 4, v2
	v_cmp_gt_i32_e32 vcc_lo, s17, v3
	s_addc_u32 s12, s13, s21
	s_ashr_i32 s13, s15, 31
	s_add_u32 s3, s8, s15
	s_addc_u32 s4, s9, s13
	v_cndmask_b32_e32 v3, s2, v2, vcc_lo
	v_ashrrev_i32_e32 v2, 31, v1
	s_lshl_b32 s6, s14, 4
	v_add_nc_u32_e32 v121, s16, v105
	s_ashr_i32 s7, s6, 31
	v_ashrrev_i32_e32 v4, 31, v3
	v_lshlrev_b64 v[1:2], 2, v[1:2]
	s_lshl_b64 s[6:7], s[6:7], 2
	v_or_b32_e32 v137, v121, v69
	s_add_u32 s6, s19, s6
	v_lshlrev_b64 v[3:4], 2, v[3:4]
	s_addc_u32 s7, s12, s7
	v_add_co_u32 v1, vcc_lo, s19, v1
	v_add_co_ci_u32_e32 v2, vcc_lo, s12, v2, vcc_lo
	s_delay_alu instid0(VALU_DEP_3) | instskip(NEXT) | instid1(VALU_DEP_4)
	v_add_co_u32 v3, vcc_lo, s19, v3
	v_add_co_ci_u32_e32 v4, vcc_lo, s12, v4, vcc_lo
	s_clause 0x1
	global_load_b32 v5, v[1:2], off
	global_load_b32 v7, v[3:4], off
	s_or_b32 s8, s16, 32
	v_lshlrev_b32_e32 v1, 4, v0
	s_ashr_i32 s9, s8, 4
	s_cmp_lt_i32 s8, s17
	v_cmp_gt_i32_e32 vcc_lo, 32, v130
	s_cselect_b32 s8, s9, s2
	v_and_b32_e32 v1, 0xf0, v1
	s_ashr_i32 s9, s8, 31
	v_dual_cndmask_b32 v138, v129, v130 :: v_dual_lshlrev_b32 v117, 6, v68
	s_lshl_b64 s[8:9], s[8:9], 2
	s_delay_alu instid0(VALU_DEP_2)
	v_add_co_u32 v1, s3, s3, v1
	s_add_u32 s20, s19, s8
	s_addc_u32 s21, s12, s9
	s_or_b32 s8, s16, 64
	v_add_co_ci_u32_e64 v2, null, s4, 0, s3
	s_ashr_i32 s9, s8, 4
	s_cmp_lt_i32 s8, s17
	v_or_b32_e32 v139, 2, v137
	s_cselect_b32 s8, s9, s2
	v_or_b32_e32 v140, 4, v137
	s_ashr_i32 s9, s8, 31
	v_or_b32_e32 v141, 6, v137
	s_lshl_b64 s[8:9], s[8:9], 2
	v_cmp_gt_i32_e32 vcc_lo, s17, v137
	s_add_u32 s22, s19, s8
	s_addc_u32 s23, s12, s9
	s_or_b32 s8, s16, 0x60
	v_or_b32_e32 v142, 8, v137
	s_ashr_i32 s9, s8, 4
	s_cmp_lt_i32 s8, s17
	v_or_b32_e32 v143, 10, v137
	s_cselect_b32 s8, s9, s2
	v_or_b32_e32 v144, 12, v137
	s_ashr_i32 s9, s8, 31
	v_or_b32_e32 v145, 14, v137
	s_lshl_b64 s[8:9], s[8:9], 2
	v_or_b32_e32 v146, 16, v137
	s_add_u32 s24, s19, s8
	s_addc_u32 s25, s12, s9
	s_or_b32 s8, s16, 0x80
	v_or_b32_e32 v147, 18, v137
	s_ashr_i32 s9, s8, 4
	s_cmp_lt_i32 s8, s17
	s_cselect_b32 s8, s9, s2
	s_delay_alu instid0(SALU_CYCLE_1) | instskip(NEXT) | instid1(SALU_CYCLE_1)
	s_ashr_i32 s9, s8, 31
	s_lshl_b64 s[8:9], s[8:9], 2
	s_delay_alu instid0(SALU_CYCLE_1) | instskip(SKIP_2) | instid1(SALU_CYCLE_1)
	s_add_u32 s26, s19, s8
	s_addc_u32 s27, s12, s9
	s_or_b32 s8, s16, 0xa0
	s_ashr_i32 s9, s8, 4
	s_cmp_lt_i32 s8, s17
	s_cselect_b32 s8, s9, s2
	s_delay_alu instid0(SALU_CYCLE_1) | instskip(NEXT) | instid1(SALU_CYCLE_1)
	s_ashr_i32 s9, s8, 31
	s_lshl_b64 s[8:9], s[8:9], 2
	s_delay_alu instid0(SALU_CYCLE_1)
	s_add_u32 s28, s19, s8
	s_addc_u32 s29, s12, s9
	s_clause 0x5
	s_load_b32 s9, s[6:7], 0x0
	s_load_b32 s3, s[20:21], 0x0
	;; [unrolled: 1-line block ×6, first 2 shown]
	s_or_b32 s20, s16, 0xc0
	s_delay_alu instid0(SALU_CYCLE_1) | instskip(SKIP_2) | instid1(SALU_CYCLE_1)
	s_ashr_i32 s21, s20, 4
	s_cmp_lt_i32 s20, s17
	s_cselect_b32 s20, s21, s2
	s_ashr_i32 s21, s20, 31
	s_delay_alu instid0(SALU_CYCLE_1) | instskip(NEXT) | instid1(SALU_CYCLE_1)
	s_lshl_b64 s[20:21], s[20:21], 2
	s_add_u32 s20, s19, s20
	s_addc_u32 s21, s12, s21
	s_or_b32 s22, s16, 0xe0
	s_delay_alu instid0(SALU_CYCLE_1) | instskip(SKIP_2) | instid1(SALU_CYCLE_1)
	s_ashr_i32 s23, s22, 4
	s_cmp_lt_i32 s22, s17
	s_cselect_b32 s22, s23, s2
	s_ashr_i32 s23, s22, 31
	s_delay_alu instid0(SALU_CYCLE_1)
	s_lshl_b64 s[22:23], s[22:23], 2
	s_waitcnt vmcnt(1)
	v_mad_i64_i32 v[3:4], null, v5, s5, v[1:2]
	s_waitcnt vmcnt(0)
	v_mad_i64_i32 v[5:6], null, v7, s5, v[1:2]
	v_lshlrev_b32_e32 v1, 4, v70
	s_clause 0x7
	global_load_b128 v[73:76], v[3:4], off
	global_load_b128 v[77:80], v[3:4], off offset:256
	global_load_b128 v[81:84], v[5:6], off
	global_load_b128 v[85:88], v[5:6], off offset:256
	global_load_b128 v[89:92], v[3:4], off offset:512
	;; [unrolled: 1-line block ×5, first 2 shown]
	v_lshl_or_b32 v1, v72, 8, v1
	s_load_b32 s2, s[20:21], 0x0
	s_add_u32 s20, s19, s22
	s_addc_u32 s21, s12, s23
	s_add_u32 s10, s10, s15
	s_addc_u32 s11, s11, s13
	v_add_co_u32 v1, s10, s10, v1
	s_delay_alu instid0(VALU_DEP_1) | instskip(SKIP_2) | instid1(VALU_DEP_1)
	v_add_co_ci_u32_e64 v2, null, s11, 0, s10
	s_load_b32 s10, s[20:21], 0x0
	s_waitcnt lgkmcnt(0)
	v_mad_i64_i32 v[3:4], null, s9, s5, v[1:2]
	v_mad_i64_i32 v[9:10], null, s6, s5, v[1:2]
	;; [unrolled: 1-line block ×7, first 2 shown]
	s_clause 0x5
	global_load_b128 v[49:52], v[3:4], off
	global_load_b128 v[53:56], v[3:4], off offset:16
	global_load_b128 v[41:44], v[5:6], off
	global_load_b128 v[45:48], v[5:6], off offset:16
	;; [unrolled: 2-line block ×3, first 2 shown]
	s_mov_b32 s4, 0
	v_cmp_gt_i32_e64 s2, s17, v139
	v_mad_i64_i32 v[61:62], null, s10, s5, v[1:2]
	s_clause 0x9
	global_load_b128 v[1:4], v[9:10], off
	global_load_b128 v[5:8], v[9:10], off offset:16
	global_load_b128 v[9:12], v[13:14], off
	global_load_b128 v[13:16], v[13:14], off offset:16
	;; [unrolled: 2-line block ×5, first 2 shown]
	ds_load_b128 v[105:108], v117
	ds_load_b128 v[109:112], v117 offset:1024
	ds_load_b128 v[113:116], v117 offset:2048
	;; [unrolled: 1-line block ×3, first 2 shown]
	s_mov_b32 s11, s4
	s_mov_b32 s5, s4
	;; [unrolled: 1-line block ×7, first 2 shown]
	s_delay_alu instid0(SALU_CYCLE_1)
	v_dual_mov_b32 v128, s11 :: v_dual_mov_b32 v127, s10
	v_dual_mov_b32 v126, s9 :: v_dual_mov_b32 v125, s8
	;; [unrolled: 1-line block ×4, first 2 shown]
	v_cmp_gt_i32_e64 s3, s17, v140
	v_cmp_gt_i32_e64 s4, s17, v141
	;; [unrolled: 1-line block ×8, first 2 shown]
	s_waitcnt vmcnt(0) lgkmcnt(0)
	s_barrier
	buffer_gl0_inv
	v_wmma_f32_16x16x16_f16 v[129:136], v[73:80], v[105:112], v[121:128]
	v_wmma_f32_16x16x16_f16 v[121:128], v[81:88], v[105:112], v[121:128]
	v_or_b32_e32 v73, 20, v137
	v_or_b32_e32 v74, 22, v137
	s_delay_alu instid0(VALU_DEP_4)
	v_wmma_f32_16x16x16_f16 v[129:136], v[89:96], v[113:120], v[129:136]
	v_or_b32_e32 v75, 24, v137
	v_wmma_f32_16x16x16_f16 v[121:128], v[97:104], v[113:120], v[121:128]
	v_or_b32_e32 v76, 26, v137
	v_cmp_gt_i32_e64 s11, s17, v73
	v_dual_mul_f32 v85, s18, v130 :: v_dual_mul_f32 v86, s18, v129
	v_dual_mul_f32 v83, s18, v132 :: v_dual_mul_f32 v84, s18, v131
	;; [unrolled: 1-line block ×3, first 2 shown]
	s_delay_alu instid0(VALU_DEP_3) | instskip(NEXT) | instid1(VALU_DEP_4)
	v_cndmask_b32_e32 v86, 0xff7fffff, v86, vcc_lo
	v_cndmask_b32_e64 v85, 0xff7fffff, v85, s2
	v_mul_f32_e32 v82, s18, v133
	v_cndmask_b32_e64 v84, 0xff7fffff, v84, s3
	v_cndmask_b32_e64 v83, 0xff7fffff, v83, s4
	v_dual_mul_f32 v79, s18, v136 :: v_dual_mul_f32 v92, s18, v123
	v_max3_f32 v85, v86, 0xff7fffff, v85
	v_mul_f32_e32 v80, s18, v135
	v_cndmask_b32_e64 v82, 0xff7fffff, v82, s5
	v_cndmask_b32_e64 v81, 0xff7fffff, v81, s6
	v_mul_f32_e32 v93, s18, v122
	v_max3_f32 v83, v85, v84, v83
	v_cndmask_b32_e64 v80, 0xff7fffff, v80, s7
	v_cndmask_b32_e64 v79, 0xff7fffff, v79, s8
	v_mul_f32_e32 v91, s18, v124
	v_cmp_gt_i32_e64 s12, s17, v74
	v_max3_f32 v81, v83, v82, v81
	v_cndmask_b32_e64 v82, 0xff7fffff, v94, s9
	v_cndmask_b32_e64 v83, 0xff7fffff, v93, s10
	v_or_b32_e32 v77, 28, v137
	v_or_b32_e32 v78, 30, v137
	v_max3_f32 v79, v81, v80, v79
	v_dual_mul_f32 v89, s18, v126 :: v_dual_mul_f32 v90, s18, v125
	v_cndmask_b32_e64 v73, 0xff7fffff, v92, s11
	v_cndmask_b32_e64 v74, 0xff7fffff, v91, s12
	s_delay_alu instid0(VALU_DEP_4) | instskip(SKIP_3) | instid1(VALU_DEP_4)
	v_max3_f32 v79, v79, v82, v83
	v_cmp_gt_i32_e64 s13, s17, v75
	v_cmp_gt_i32_e64 s15, s17, v76
	v_dual_mul_f32 v87, s18, v128 :: v_dual_mul_f32 v88, s18, v127
	v_max3_f32 v73, v79, v73, v74
	s_delay_alu instid0(VALU_DEP_4) | instskip(NEXT) | instid1(VALU_DEP_4)
	v_cndmask_b32_e64 v75, 0xff7fffff, v90, s13
	v_cndmask_b32_e64 v76, 0xff7fffff, v89, s15
	v_cmp_gt_i32_e64 s16, s17, v77
	v_cmp_gt_i32_e64 s17, s17, v78
	s_delay_alu instid0(VALU_DEP_3) | instskip(NEXT) | instid1(VALU_DEP_3)
	v_max3_f32 v73, v73, v75, v76
	v_cndmask_b32_e64 v74, 0xff7fffff, v88, s16
	s_delay_alu instid0(VALU_DEP_3) | instskip(SKIP_1) | instid1(VALU_DEP_2)
	v_cndmask_b32_e64 v77, 0xff7fffff, v87, s17
	v_lshlrev_b32_e32 v75, 2, v138
	v_max3_f32 v73, v73, v74, v77
	ds_bpermute_b32 v74, v75, v73
	s_waitcnt lgkmcnt(0)
	v_max_f32_e32 v74, v74, v74
	s_delay_alu instid0(VALU_DEP_1) | instskip(NEXT) | instid1(VALU_DEP_1)
	v_max_f32_e32 v73, v73, v74
	v_fma_f32 v74, s18, v129, -v73
	v_fma_f32 v76, s18, v130, -v73
	;; [unrolled: 1-line block ×5, first 2 shown]
	v_mul_f32_e32 v74, 0x3fb8aa3b, v74
	v_mul_f32_e32 v76, 0x3fb8aa3b, v76
	v_fma_f32 v83, s18, v135, -v73
	v_mul_f32_e32 v78, 0x3fb8aa3b, v78
	v_mul_f32_e32 v80, 0x3fb8aa3b, v80
	v_exp_f32_e32 v74, v74
	v_exp_f32_e32 v76, v76
	v_mul_f32_e32 v83, 0x3fb8aa3b, v83
	v_exp_f32_e32 v82, v78
	v_exp_f32_e32 v84, v80
	s_delay_alu instid0(VALU_DEP_1) | instskip(SKIP_4) | instid1(TRANS32_DEP_3)
	v_exp_f32_e32 v85, v83
	v_cndmask_b32_e32 v79, 0, v74, vcc_lo
	v_fma_f32 v74, s18, v134, -v73
	v_mul_f32_e32 v77, 0x3fb8aa3b, v77
	v_cndmask_b32_e64 v78, 0, v76, s2
	v_cndmask_b32_e64 v80, 0, v82, s4
	v_add_f32_e32 v76, 0, v79
	v_mul_f32_e32 v74, 0x3fb8aa3b, v74
	v_exp_f32_e32 v77, v77
	v_fma_f32 v82, s18, v121, -v73
	v_cndmask_b32_e64 v83, 0, v84, s5
	v_add_f32_e32 v76, v76, v78
	v_exp_f32_e32 v74, v74
	s_mov_b32 s2, exec_lo
	v_mul_f32_e32 v86, 0x3fb8aa3b, v82
	v_cndmask_b32_e64 v85, 0, v85, s7
	s_delay_alu instid0(TRANS32_DEP_2) | instskip(SKIP_3) | instid1(VALU_DEP_1)
	v_cndmask_b32_e64 v81, 0, v77, s3
	s_waitcnt_depctr 0xfff
	v_cndmask_b32_e64 v82, 0, v74, s6
	v_add_f32_e32 v76, v76, v81
	v_add_f32_e32 v76, v76, v80
	s_delay_alu instid0(VALU_DEP_1) | instskip(SKIP_4) | instid1(VALU_DEP_4)
	v_add_f32_e32 v74, v76, v83
	v_fma_f32 v77, s18, v136, -v73
	v_fma_f32 v84, s18, v122, -v73
	;; [unrolled: 1-line block ×4, first 2 shown]
	v_dual_add_f32 v74, v74, v82 :: v_dual_mul_f32 v77, 0x3fb8aa3b, v77
	s_delay_alu instid0(VALU_DEP_4) | instskip(SKIP_1) | instid1(VALU_DEP_4)
	v_mul_f32_e32 v84, 0x3fb8aa3b, v84
	v_fma_f32 v92, s18, v128, -v73
	v_mul_f32_e32 v89, 0x3fb8aa3b, v87
	v_exp_f32_e32 v86, v86
	v_exp_f32_e32 v77, v77
	;; [unrolled: 1-line block ×3, first 2 shown]
	v_add_f32_e32 v74, v74, v85
	v_exp_f32_e32 v91, v89
	v_fma_f32 v90, s18, v126, -v73
	v_cndmask_b32_e64 v87, 0, v86, s9
	s_delay_alu instid0(TRANS32_DEP_3) | instskip(SKIP_2) | instid1(TRANS32_DEP_2)
	v_cndmask_b32_e64 v84, 0, v77, s8
	v_fma_f32 v77, s18, v125, -v73
	v_mul_f32_e32 v76, 0x3fb8aa3b, v76
	v_cndmask_b32_e64 v86, 0, v88, s10
	v_fma_f32 v88, s18, v127, -v73
	s_delay_alu instid0(VALU_DEP_4) | instskip(NEXT) | instid1(VALU_DEP_4)
	v_dual_mul_f32 v90, 0x3fb8aa3b, v90 :: v_dual_mul_f32 v77, 0x3fb8aa3b, v77
	v_exp_f32_e32 v76, v76
	s_delay_alu instid0(VALU_DEP_1) | instskip(NEXT) | instid1(VALU_DEP_1)
	v_exp_f32_e32 v90, v90
	v_exp_f32_e32 v77, v77
	s_delay_alu instid0(TRANS32_DEP_3)
	v_cndmask_b32_e64 v89, 0, v76, s11
	v_mul_f32_e32 v76, 0x3fb8aa3b, v88
	v_cndmask_b32_e64 v88, 0, v91, s12
	s_waitcnt_depctr 0xfff
	v_cndmask_b32_e64 v90, 0, v90, s15
	v_cndmask_b32_e64 v91, 0, v77, s13
	v_mul_f32_e32 v77, 0x3fb8aa3b, v92
	v_add_f32_e32 v74, v74, v84
	v_exp_f32_e32 v76, v76
	s_delay_alu instid0(VALU_DEP_2) | instskip(NEXT) | instid1(VALU_DEP_1)
	v_exp_f32_e32 v77, v77
	v_add_f32_e32 v74, v74, v87
	s_delay_alu instid0(VALU_DEP_1) | instskip(SKIP_4) | instid1(VALU_DEP_1)
	v_add_f32_e32 v74, v74, v86
	s_waitcnt_depctr 0xfff
	v_cndmask_b32_e64 v93, 0, v76, s16
	v_cndmask_b32_e64 v92, 0, v77, s17
	v_add_f32_e32 v74, v74, v89
	v_add_f32_e32 v74, v74, v88
	s_delay_alu instid0(VALU_DEP_1) | instskip(NEXT) | instid1(VALU_DEP_1)
	v_add_f32_e32 v74, v74, v91
	v_add_f32_e32 v74, v74, v90
	s_delay_alu instid0(VALU_DEP_1) | instskip(NEXT) | instid1(VALU_DEP_1)
	v_add_f32_e32 v74, v74, v93
	v_add_f32_e32 v74, v74, v92
	ds_bpermute_b32 v75, v75, v74
	v_cmpx_gt_u32_e32 16, v71
	s_cbranch_execz .LBB1103_12
; %bb.11:
	v_mul_u32_u24_e32 v71, 0x44, v72
	s_waitcnt lgkmcnt(0)
	v_add_f32_e32 v74, v74, v75
	s_delay_alu instid0(VALU_DEP_2) | instskip(NEXT) | instid1(VALU_DEP_1)
	v_lshl_add_u32 v71, v70, 2, v71
	v_add_nc_u32_e32 v71, 0x4000, v71
	ds_store_2addr_b32 v71, v73, v74 offset1:136
.LBB1103_12:
	s_or_b32 exec_lo, exec_lo, s2
	v_lshlrev_b32_e32 v71, 2, v70
	s_load_b32 s35, s[0:1], 0x94
	s_waitcnt lgkmcnt(0)
	s_barrier
	buffer_gl0_inv
	v_add_nc_u32_e32 v71, 0x4000, v71
	v_cmp_eq_u32_e32 vcc_lo, 1, v72
	v_cmp_eq_u32_e64 s2, 2, v72
	v_cmp_eq_u32_e64 s3, 3, v72
	;; [unrolled: 1-line block ×3, first 2 shown]
	ds_load_2addr_b32 v[73:74], v71 offset1:17
	ds_load_2addr_b32 v[94:95], v71 offset0:34 offset1:51
	ds_load_2addr_b32 v[96:97], v71 offset0:68 offset1:85
	;; [unrolled: 1-line block ×3, first 2 shown]
	v_cmp_eq_u32_e64 s5, 5, v72
	v_cmp_eq_u32_e64 s6, 7, v72
	s_waitcnt lgkmcnt(3)
	v_max3_f32 v75, v73, 0xff7fffff, v74
	s_waitcnt lgkmcnt(2)
	s_delay_alu instid0(VALU_DEP_1) | instskip(SKIP_1) | instid1(VALU_DEP_1)
	v_max3_f32 v75, v75, v94, v95
	s_waitcnt lgkmcnt(1)
	v_max3_f32 v75, v75, v96, v97
	s_waitcnt lgkmcnt(0)
	s_delay_alu instid0(VALU_DEP_1) | instskip(NEXT) | instid1(VALU_DEP_1)
	v_max3_f32 v76, v75, v98, v99
	v_sub_f32_e32 v96, v96, v76
	ds_load_2addr_b32 v[100:101], v71 offset0:136 offset1:153
	v_sub_f32_e32 v73, v73, v76
	v_sub_f32_e32 v75, v74, v76
	;; [unrolled: 1-line block ×3, first 2 shown]
	v_mul_f32_e32 v105, 0x3fb8aa3b, v96
	s_delay_alu instid0(VALU_DEP_4)
	v_mul_f32_e32 v77, 0x3fb8aa3b, v73
	ds_load_2addr_b32 v[73:74], v71 offset0:170 offset1:187
	v_mul_f32_e32 v103, 0x3fb8aa3b, v94
	v_exp_f32_e32 v102, v77
	v_sub_f32_e32 v77, v95, v76
	ds_load_2addr_b32 v[94:95], v71 offset0:204 offset1:221
	v_exp_f32_e32 v103, v103
	v_mul_f32_e32 v104, 0x3fb8aa3b, v77
	s_waitcnt lgkmcnt(2)
	v_fma_f32 v77, v102, v100, 0
	v_dual_sub_f32 v100, v97, v76 :: v_dual_mul_f32 v75, 0x3fb8aa3b, v75
	ds_load_2addr_b32 v[96:97], v71 offset0:238 offset1:255
	v_sub_f32_e32 v71, v98, v76
	v_exp_f32_e32 v104, v104
	v_mul_f32_e32 v98, 0x3fb8aa3b, v100
	v_exp_f32_e32 v75, v75
	v_exp_f32_e32 v100, v105
	v_mul_f32_e32 v71, 0x3fb8aa3b, v71
	s_waitcnt lgkmcnt(0)
	v_exp_f32_e32 v98, v98
	s_barrier
	buffer_gl0_inv
	v_fmac_f32_e32 v77, v75, v101
	s_delay_alu instid0(VALU_DEP_1) | instskip(SKIP_2) | instid1(VALU_DEP_2)
	v_fmac_f32_e32 v77, v103, v73
	v_sub_f32_e32 v73, v99, v76
	v_exp_f32_e32 v99, v71
	v_fmac_f32_e32 v77, v104, v74
	s_delay_alu instid0(VALU_DEP_2) | instskip(NEXT) | instid1(VALU_DEP_2)
	v_dual_mul_f32 v73, 0x3fb8aa3b, v73 :: v_dual_lshlrev_b32 v74, 6, v70
	v_dual_fmac_f32 v77, v100, v94 :: v_dual_lshlrev_b32 v70, 2, v69
	s_delay_alu instid0(VALU_DEP_2) | instskip(SKIP_1) | instid1(VALU_DEP_3)
	v_exp_f32_e32 v94, v73
	v_cndmask_b32_e32 v73, v102, v75, vcc_lo
	v_lshl_or_b32 v75, v72, 11, v74
	s_delay_alu instid0(VALU_DEP_3) | instskip(SKIP_1) | instid1(VALU_DEP_3)
	v_cmp_eq_u32_e64 s7, 7, v70
	v_fmac_f32_e32 v77, v98, v95
	v_lshl_or_b32 v69, v69, 4, v75
	s_delay_alu instid0(VALU_DEP_2)
	v_fmac_f32_e32 v77, v99, v96
	s_delay_alu instid0(TRANS32_DEP_1) | instid1(VALU_DEP_1)
	v_fmac_f32_e32 v77, v94, v97
	s_delay_alu instid0(VALU_DEP_1) | instskip(NEXT) | instid1(VALU_DEP_1)
	v_add_f32_e32 v95, 0x358637bd, v77
	v_div_scale_f32 v96, null, v95, v95, 1.0
	v_div_scale_f32 v101, vcc_lo, 1.0, v95, 1.0
	s_delay_alu instid0(VALU_DEP_2) | instskip(SKIP_2) | instid1(VALU_DEP_1)
	v_rcp_f32_e32 v97, v96
	s_waitcnt_depctr 0xfff
	v_fma_f32 v71, -v96, v97, 1.0
	v_fmac_f32_e32 v97, v71, v97
	v_cndmask_b32_e64 v71, v73, v103, s2
	v_cmp_eq_u32_e64 s2, 6, v72
	v_or_b32_e32 v73, 1, v70
	v_or_b32_e32 v72, 3, v70
	v_mul_f32_e32 v102, v101, v97
	v_cndmask_b32_e64 v71, v71, v104, s3
	v_cmp_eq_u32_e64 s3, 1, v70
	v_cmp_eq_u32_e64 s8, 1, v73
	;; [unrolled: 1-line block ×3, first 2 shown]
	v_fma_f32 v103, -v96, v102, v101
	v_cndmask_b32_e64 v100, v71, v100, s4
	v_or_b32_e32 v71, 2, v70
	v_cmp_eq_u32_e64 s4, 2, v70
	v_cmp_eq_u32_e64 s11, 2, v73
	v_fmac_f32_e32 v102, v103, v97
	v_cndmask_b32_e64 v98, v100, v98, s5
	v_cmp_eq_u32_e64 s9, 1, v71
	v_cmp_eq_u32_e64 s13, 2, v71
	;; [unrolled: 1-line block ×3, first 2 shown]
	v_fma_f32 v96, -v96, v102, v101
	v_cndmask_b32_e64 v98, v98, v99, s2
	v_cmp_eq_u32_e64 s12, 3, v73
	v_cmp_eq_u32_e64 s17, 3, v72
	;; [unrolled: 1-line block ×3, first 2 shown]
	v_div_fmas_f32 v96, v96, v97, v102
	v_cndmask_b32_e64 v94, v98, v94, s6
	v_cmp_eq_u32_e32 vcc_lo, 3, v70
	v_cmp_eq_u32_e64 s16, 3, v71
	v_cmp_eq_u32_e64 s18, 4, v73
	v_div_fixup_f32 v95, v96, v95, 1.0
	v_cmp_eq_u32_e64 s21, 4, v72
	v_cmp_eq_u32_e64 s5, 5, v70
	;; [unrolled: 1-line block ×4, first 2 shown]
	v_mul_f32_e32 v102, v94, v95
	v_cmp_eq_u32_e64 s23, 5, v72
	v_cmp_eq_u32_e64 s22, 5, v71
	;; [unrolled: 1-line block ×4, first 2 shown]
	v_fma_mixlo_f16 v94, v102, v79, 0
	v_fma_mixlo_f16 v95, v102, v81, 0
	;; [unrolled: 1-line block ×8, first 2 shown]
	v_fma_mixhi_f16 v94, v102, v78, 0
	v_fma_mixhi_f16 v95, v102, v80, 0
	;; [unrolled: 1-line block ×8, first 2 shown]
	ds_store_b128 v69, v[94:97]
	ds_store_b128 v69, v[98:101] offset:1024
	s_waitcnt lgkmcnt(0)
	s_barrier
	buffer_gl0_inv
	ds_load_b128 v[78:81], v75
	ds_load_b128 v[82:85], v75 offset:16
	ds_load_b128 v[86:89], v75 offset:1024
	;; [unrolled: 1-line block ×3, first 2 shown]
	v_cmp_eq_u32_e64 s6, 6, v70
	v_cmp_eq_u32_e64 s25, 6, v71
	;; [unrolled: 1-line block ×5, first 2 shown]
	s_waitcnt lgkmcnt(3)
	v_lshrrev_b32_e32 v94, 16, v78
	s_waitcnt lgkmcnt(2)
	v_lshrrev_b32_e32 v98, 16, v82
	;; [unrolled: 2-line block ×4, first 2 shown]
	v_lshrrev_b32_e32 v95, 16, v79
	v_cndmask_b32_e64 v110, v78, v94, s3
	v_cndmask_b32_e64 v111, v82, v98, s3
	;; [unrolled: 1-line block ×8, first 2 shown]
	v_lshrrev_b32_e32 v99, 16, v83
	v_cndmask_b32_e64 v94, v86, v102, s3
	v_cndmask_b32_e64 v98, v90, v106, s3
	;; [unrolled: 1-line block ×15, first 2 shown]
	v_lshrrev_b32_e32 v103, 16, v87
	v_lshrrev_b32_e32 v107, 16, v91
	v_cndmask_b32_e64 v113, v115, v83, s13
	v_cndmask_b32_e64 v82, v94, v87, s4
	v_cndmask_b32_e64 v83, v98, v91, s4
	v_cndmask_b32_e64 v94, v116, v87, s11
	v_cndmask_b32_e64 v98, v118, v87, s13
	v_cndmask_b32_e64 v86, v86, v87, s15
	v_cndmask_b32_e64 v87, v90, v91, s15
	v_cndmask_b32_e32 v90, v102, v95, vcc_lo
	v_cndmask_b32_e32 v102, v106, v99, vcc_lo
	v_cndmask_b32_e64 v106, v110, v95, s12
	v_cndmask_b32_e64 v110, v111, v99, s12
	;; [unrolled: 1-line block ×4, first 2 shown]
	v_lshrrev_b32_e32 v96, 16, v80
	v_lshrrev_b32_e32 v100, 16, v84
	v_cndmask_b32_e64 v111, v112, v95, s16
	v_cndmask_b32_e64 v112, v113, v99, s16
	v_cndmask_b32_e32 v82, v82, v103, vcc_lo
	v_cndmask_b32_e32 v83, v83, v107, vcc_lo
	v_cndmask_b32_e64 v94, v94, v103, s12
	v_cndmask_b32_e64 v90, v90, v80, s2
	;; [unrolled: 1-line block ×7, first 2 shown]
	v_lshrrev_b32_e32 v104, 16, v88
	v_cndmask_b32_e64 v106, v111, v80, s20
	v_cndmask_b32_e64 v110, v112, v84, s20
	;; [unrolled: 1-line block ×11, first 2 shown]
	v_lshrrev_b32_e32 v97, 16, v81
	v_lshrrev_b32_e32 v101, 16, v85
	v_cndmask_b32_e64 v99, v106, v96, s22
	v_cndmask_b32_e64 v102, v110, v100, s22
	;; [unrolled: 1-line block ×7, first 2 shown]
	v_lshrrev_b32_e32 v105, 16, v89
	v_cndmask_b32_e64 v80, v80, v104, s5
	v_cndmask_b32_e64 v84, v84, v81, s6
	;; [unrolled: 1-line block ×16, first 2 shown]
	v_perm_b32 v81, v79, v78, 0x5040100
	v_perm_b32 v79, v95, v85, 0x5040100
	v_cndmask_b32_e64 v78, v119, v91, s13
	v_cndmask_b32_e64 v85, v117, v91, s11
	;; [unrolled: 1-line block ×3, first 2 shown]
	v_perm_b32 v80, v94, v90, 0x5040100
	v_cndmask_b32_e64 v90, v98, v103, s16
	v_cndmask_b32_e64 v86, v86, v103, s17
	;; [unrolled: 1-line block ×5, first 2 shown]
	v_lshrrev_b32_e32 v108, 16, v92
	v_cndmask_b32_e64 v90, v90, v88, s20
	v_cndmask_b32_e64 v86, v86, v88, s21
	;; [unrolled: 1-line block ×11, first 2 shown]
	v_lshrrev_b32_e32 v109, 16, v93
	v_cndmask_b32_e64 v82, v82, v93, s6
	v_cndmask_b32_e64 v88, v88, v89, s25
	;; [unrolled: 1-line block ×12, first 2 shown]
	v_perm_b32 v78, v84, v83, 0x5040100
	v_perm_b32 v85, v87, v86, 0x5040100
	v_perm_b32 v84, v89, v88, 0x5040100
	v_perm_b32 v83, v90, v97, 0x5040100
	v_perm_b32 v82, v82, v96, 0x5040100
	s_lshl_b32 s7, s34, 1
	s_mov_b32 s2, exec_lo
	ds_store_b128 v69, v[78:81]
	ds_store_b128 v69, v[82:85] offset:1024
	v_cmpx_gt_u32_e32 2, v0
	s_cbranch_execz .LBB1103_14
; %bb.13:
	v_or_b32_e32 v78, s33, v0
	s_load_b128 s[8:11], s[0:1], 0x58
	s_delay_alu instid0(VALU_DEP_1) | instskip(NEXT) | instid1(VALU_DEP_1)
	v_mad_u64_u32 v[79:80], null, s7, s30, v[78:79]
	v_mad_u64_u32 v[80:81], null, v79, s35, s[14:15]
	s_delay_alu instid0(VALU_DEP_1) | instskip(NEXT) | instid1(VALU_DEP_1)
	v_ashrrev_i32_e32 v81, 31, v80
	v_lshlrev_b64 v[78:79], 2, v[80:81]
	s_waitcnt lgkmcnt(0)
	s_delay_alu instid0(VALU_DEP_1) | instskip(NEXT) | instid1(VALU_DEP_2)
	v_add_co_u32 v80, vcc_lo, s10, v78
	v_add_co_ci_u32_e32 v81, vcc_lo, s11, v79, vcc_lo
	v_add_co_u32 v78, vcc_lo, s8, v78
	v_add_co_ci_u32_e32 v79, vcc_lo, s9, v79, vcc_lo
	global_store_b32 v[80:81], v76, off
	global_store_b32 v[78:79], v77, off
.LBB1103_14:
	s_or_b32 exec_lo, exec_lo, s2
	s_waitcnt lgkmcnt(0)
	s_waitcnt_vscnt null, 0x0
	s_barrier
	buffer_gl0_inv
	ds_load_b128 v[84:87], v74
	ds_load_b128 v[88:91], v74 offset:16
	ds_load_b128 v[96:99], v74 offset:2064
	;; [unrolled: 1-line block ×5, first 2 shown]
	v_cmp_eq_u32_e32 vcc_lo, 1, v70
	v_mov_b32_e32 v76, 0
	ds_load_b128 v[112:115], v74 offset:6160
	ds_load_b128 v[108:111], v74 offset:6144
	;; [unrolled: 1-line block ×4, first 2 shown]
	v_cmp_eq_u32_e64 s3, 1, v71
	v_cmp_eq_u32_e64 s2, 1, v73
	;; [unrolled: 1-line block ×3, first 2 shown]
	v_mov_b32_e32 v77, v76
	v_mov_b32_e32 v78, v76
	;; [unrolled: 1-line block ×7, first 2 shown]
	v_cmp_eq_u32_e64 s5, 3, v73
	v_cmp_eq_u32_e64 s6, 7, v73
	s_waitcnt lgkmcnt(8)
	s_delay_alu instid0(VALU_DEP_3)
	v_wmma_f32_16x16x16_f16 v[76:83], v[49:56], v[84:91], v[76:83]
	ds_load_b128 v[53:56], v74 offset:10256
	ds_load_b128 v[49:52], v74 offset:10240
	s_waitcnt lgkmcnt(8)
	v_wmma_f32_16x16x16_f16 v[76:83], v[41:48], v[92:99], v[76:83]
	ds_load_b128 v[45:48], v74 offset:12304
	ds_load_b128 v[41:44], v74 offset:12288
	s_waitcnt lgkmcnt(8)
	;; [unrolled: 4-line block ×3, first 2 shown]
	s_barrier
	buffer_gl0_inv
	v_wmma_f32_16x16x16_f16 v[76:83], v[1:8], v[108:115], v[76:83]
	s_delay_alu instid0(VALU_DEP_1) | instskip(NEXT) | instid1(VALU_DEP_1)
	v_wmma_f32_16x16x16_f16 v[76:83], v[9:16], v[116:123], v[76:83]
	v_wmma_f32_16x16x16_f16 v[76:83], v[17:24], v[49:56], v[76:83]
	s_delay_alu instid0(VALU_DEP_1) | instskip(NEXT) | instid1(VALU_DEP_1)
	v_wmma_f32_16x16x16_f16 v[76:83], v[25:32], v[41:48], v[76:83]
	v_wmma_f32_16x16x16_f16 v[76:83], v[57:64], v[33:40], v[76:83]
	s_delay_alu instid0(VALU_DEP_1) | instskip(NEXT) | instid1(VALU_DEP_2)
	v_cvt_f16_f32_e32 v1, v76
	v_cvt_f16_f32_e32 v2, v77
	s_delay_alu instid0(VALU_DEP_3) | instskip(NEXT) | instid1(VALU_DEP_4)
	v_cvt_f16_f32_e32 v3, v78
	v_cvt_f16_f32_e32 v4, v79
	;; [unrolled: 1-line block ×6, first 2 shown]
	v_pack_b32_f16 v1, v1, v2
	v_pack_b32_f16 v2, v3, v4
	;; [unrolled: 1-line block ×3, first 2 shown]
	s_delay_alu instid0(VALU_DEP_4)
	v_pack_b32_f16 v4, v7, v8
	ds_store_b128 v69, v[1:4]
	s_waitcnt lgkmcnt(0)
	s_barrier
	buffer_gl0_inv
	ds_load_b128 v[1:4], v75
	ds_load_b128 v[5:8], v75 offset:16
	s_waitcnt lgkmcnt(1)
	v_lshrrev_b32_e32 v9, 16, v1
	s_waitcnt lgkmcnt(0)
	v_lshrrev_b32_e32 v13, 16, v5
	v_lshrrev_b32_e32 v10, 16, v2
	;; [unrolled: 1-line block ×4, first 2 shown]
	v_cndmask_b32_e32 v17, v1, v9, vcc_lo
	v_cndmask_b32_e32 v18, v5, v13, vcc_lo
	v_cndmask_b32_e64 v21, v1, v9, s3
	v_cmp_eq_u32_e32 vcc_lo, 1, v72
	v_cndmask_b32_e64 v22, v5, v13, s3
	v_cmp_eq_u32_e64 s3, 2, v70
	v_cndmask_b32_e64 v19, v1, v9, s2
	v_cndmask_b32_e64 v20, v5, v13, s2
	v_cndmask_b32_e32 v1, v1, v9, vcc_lo
	v_cmp_eq_u32_e64 s2, 2, v72
	v_cndmask_b32_e32 v5, v5, v13, vcc_lo
	v_cndmask_b32_e64 v9, v17, v2, s3
	v_cmp_eq_u32_e32 vcc_lo, 3, v70
	v_cndmask_b32_e64 v13, v18, v6, s3
	v_cmp_eq_u32_e64 s3, 2, v71
	v_cndmask_b32_e64 v17, v19, v2, s4
	v_cndmask_b32_e64 v18, v20, v6, s4
	v_cmp_eq_u32_e64 s4, 3, v71
	v_cndmask_b32_e64 v1, v1, v2, s2
	v_cndmask_b32_e64 v19, v21, v2, s3
	;; [unrolled: 1-line block ×4, first 2 shown]
	v_cndmask_b32_e32 v5, v9, v10, vcc_lo
	v_cndmask_b32_e32 v6, v13, v14, vcc_lo
	v_cmp_eq_u32_e32 vcc_lo, 3, v72
	v_cndmask_b32_e64 v9, v17, v10, s5
	v_cndmask_b32_e64 v13, v18, v14, s5
	;; [unrolled: 1-line block ×3, first 2 shown]
	v_cmp_eq_u32_e64 s3, 4, v70
	v_cndmask_b32_e32 v1, v1, v10, vcc_lo
	v_cndmask_b32_e32 v2, v2, v14, vcc_lo
	v_cmp_eq_u32_e32 vcc_lo, 4, v73
	v_lshrrev_b32_e32 v15, 16, v7
	v_lshrrev_b32_e32 v16, 16, v8
	v_cndmask_b32_e64 v17, v19, v10, s4
	v_cmp_eq_u32_e64 s2, 4, v72
	v_cndmask_b32_e64 v5, v5, v3, s3
	v_cndmask_b32_e64 v6, v6, v7, s3
	v_cndmask_b32_e32 v9, v9, v3, vcc_lo
	v_cmp_eq_u32_e64 s3, 5, v73
	v_cndmask_b32_e32 v10, v13, v7, vcc_lo
	v_cmp_eq_u32_e32 vcc_lo, 4, v71
	v_cmp_eq_u32_e64 s4, 5, v70
	v_cndmask_b32_e64 v2, v2, v7, s2
	v_cndmask_b32_e64 v9, v9, v11, s3
	;; [unrolled: 1-line block ×3, first 2 shown]
	v_cndmask_b32_e32 v13, v17, v3, vcc_lo
	v_cmp_eq_u32_e64 s3, 5, v71
	v_cndmask_b32_e32 v14, v18, v7, vcc_lo
	v_cndmask_b32_e64 v1, v1, v3, s2
	v_cmp_eq_u32_e32 vcc_lo, 5, v72
	v_lshrrev_b32_e32 v12, 16, v4
	v_cndmask_b32_e64 v13, v13, v11, s3
	v_cndmask_b32_e64 v3, v14, v15, s3
	v_cmp_eq_u32_e64 s3, 6, v72
	v_cndmask_b32_e32 v1, v1, v11, vcc_lo
	v_cndmask_b32_e64 v5, v5, v11, s4
	v_cmp_eq_u32_e64 s5, 6, v70
	v_cndmask_b32_e64 v6, v6, v15, s4
	v_cmp_eq_u32_e64 s4, 6, v73
	v_cmp_eq_u32_e64 s2, 6, v71
	v_cndmask_b32_e64 v1, v1, v4, s3
	v_cndmask_b32_e32 v2, v2, v15, vcc_lo
	v_cmp_eq_u32_e32 vcc_lo, 7, v72
	v_cndmask_b32_e64 v5, v5, v4, s5
	v_cndmask_b32_e64 v9, v9, v4, s4
	;; [unrolled: 1-line block ×3, first 2 shown]
	v_cmp_eq_u32_e64 s5, 7, v70
	v_cndmask_b32_e32 v1, v1, v12, vcc_lo
	v_cndmask_b32_e64 v7, v13, v4, s2
	v_cndmask_b32_e64 v3, v3, v8, s2
	v_cndmask_b32_e64 v2, v2, v8, s3
	v_cmp_eq_u32_e64 s2, 7, v71
	v_cndmask_b32_e64 v4, v10, v8, s4
	v_cndmask_b32_e64 v5, v5, v12, s5
	;; [unrolled: 1-line block ×3, first 2 shown]
	v_cndmask_b32_e32 v2, v2, v16, vcc_lo
	v_cndmask_b32_e64 v7, v7, v12, s2
	v_cndmask_b32_e64 v3, v3, v16, s2
	;; [unrolled: 1-line block ×4, first 2 shown]
	v_perm_b32 v4, v2, v1, 0x5040100
	s_delay_alu instid0(VALU_DEP_4) | instskip(NEXT) | instid1(VALU_DEP_4)
	v_perm_b32 v3, v3, v7, 0x5040100
	v_perm_b32 v2, v8, v9, 0x5040100
	s_delay_alu instid0(VALU_DEP_4)
	v_perm_b32 v1, v6, v5, 0x5040100
	ds_store_b128 v69, v[1:4]
	s_waitcnt lgkmcnt(0)
	s_barrier
	buffer_gl0_inv
	s_and_saveexec_b32 s2, s31
	s_cbranch_execz .LBB1103_2
; %bb.15:
	s_load_b64 s[0:1], s[0:1], 0x68
	v_lshlrev_b32_e32 v0, 10, v0
	s_lshl_b32 s2, s35, 6
	v_lshlrev_b32_e32 v1, 4, v68
	v_mul_lo_u32 v4, s2, v67
	s_mul_i32 s3, s2, s30
	v_and_b32_e32 v0, 0x3800, v0
	s_mul_i32 s2, s3, s7
	s_delay_alu instid0(SALU_CYCLE_1) | instskip(NEXT) | instid1(VALU_DEP_1)
	s_ashr_i32 s3, s2, 31
	v_or3_b32 v0, v0, v66, v1
	s_lshl_b64 s[2:3], s[2:3], 1
	s_delay_alu instid0(VALU_DEP_3)
	v_ashrrev_i32_e32 v5, 31, v4
	ds_load_b128 v[0:3], v0
	v_lshlrev_b64 v[4:5], 1, v[4:5]
	s_waitcnt lgkmcnt(0)
	s_add_u32 s2, s0, s2
	s_addc_u32 s3, s1, s3
	s_lshl_b32 s0, s14, 6
	s_delay_alu instid0(SALU_CYCLE_1) | instskip(NEXT) | instid1(SALU_CYCLE_1)
	s_ashr_i32 s1, s0, 31
	s_lshl_b64 s[0:1], s[0:1], 1
	s_delay_alu instid0(SALU_CYCLE_1) | instskip(SKIP_3) | instid1(VALU_DEP_2)
	s_add_u32 s0, s2, s0
	s_addc_u32 s1, s3, s1
	v_add_co_u32 v4, vcc_lo, s0, v4
	v_add_co_ci_u32_e32 v5, vcc_lo, s1, v5, vcc_lo
	v_add_co_u32 v4, vcc_lo, v4, v65
	s_delay_alu instid0(VALU_DEP_2)
	v_add_co_ci_u32_e32 v5, vcc_lo, 0, v5, vcc_lo
	global_store_b128 v[4:5], v[0:3], off
	s_nop 0
	s_sendmsg sendmsg(MSG_DEALLOC_VGPRS)
	s_endpgm
	.section	.rodata,"a",@progbits
	.p2align	6, 0x0
	.amdhsa_kernel _Z39paged_attention_ll4mi_QKV_mfma16_kernelIDF16_hLN4vllm18Fp8KVCacheDataTypeE1EhLi16ELi64ELi256ELb1ELi2EL8MFMAType0EEvPKT_PKT0_S8_ifPKiSA_SA_iPKfiiiPfSD_PS3_PT2_iSC_SC_
		.amdhsa_group_segment_fixed_size 17472
		.amdhsa_private_segment_fixed_size 0
		.amdhsa_kernarg_size 400
		.amdhsa_user_sgpr_count 13
		.amdhsa_user_sgpr_dispatch_ptr 0
		.amdhsa_user_sgpr_queue_ptr 0
		.amdhsa_user_sgpr_kernarg_segment_ptr 1
		.amdhsa_user_sgpr_dispatch_id 0
		.amdhsa_user_sgpr_private_segment_size 0
		.amdhsa_wavefront_size32 1
		.amdhsa_uses_dynamic_stack 0
		.amdhsa_enable_private_segment 0
		.amdhsa_system_sgpr_workgroup_id_x 1
		.amdhsa_system_sgpr_workgroup_id_y 1
		.amdhsa_system_sgpr_workgroup_id_z 1
		.amdhsa_system_sgpr_workgroup_info 0
		.amdhsa_system_vgpr_workitem_id 0
		.amdhsa_next_free_vgpr 148
		.amdhsa_next_free_sgpr 36
		.amdhsa_reserve_vcc 1
		.amdhsa_float_round_mode_32 0
		.amdhsa_float_round_mode_16_64 0
		.amdhsa_float_denorm_mode_32 3
		.amdhsa_float_denorm_mode_16_64 3
		.amdhsa_dx10_clamp 1
		.amdhsa_ieee_mode 1
		.amdhsa_fp16_overflow 0
		.amdhsa_workgroup_processor_mode 1
		.amdhsa_memory_ordered 1
		.amdhsa_forward_progress 0
		.amdhsa_shared_vgpr_count 0
		.amdhsa_exception_fp_ieee_invalid_op 0
		.amdhsa_exception_fp_denorm_src 0
		.amdhsa_exception_fp_ieee_div_zero 0
		.amdhsa_exception_fp_ieee_overflow 0
		.amdhsa_exception_fp_ieee_underflow 0
		.amdhsa_exception_fp_ieee_inexact 0
		.amdhsa_exception_int_div_zero 0
	.end_amdhsa_kernel
	.section	.text._Z39paged_attention_ll4mi_QKV_mfma16_kernelIDF16_hLN4vllm18Fp8KVCacheDataTypeE1EhLi16ELi64ELi256ELb1ELi2EL8MFMAType0EEvPKT_PKT0_S8_ifPKiSA_SA_iPKfiiiPfSD_PS3_PT2_iSC_SC_,"axG",@progbits,_Z39paged_attention_ll4mi_QKV_mfma16_kernelIDF16_hLN4vllm18Fp8KVCacheDataTypeE1EhLi16ELi64ELi256ELb1ELi2EL8MFMAType0EEvPKT_PKT0_S8_ifPKiSA_SA_iPKfiiiPfSD_PS3_PT2_iSC_SC_,comdat
.Lfunc_end1103:
	.size	_Z39paged_attention_ll4mi_QKV_mfma16_kernelIDF16_hLN4vllm18Fp8KVCacheDataTypeE1EhLi16ELi64ELi256ELb1ELi2EL8MFMAType0EEvPKT_PKT0_S8_ifPKiSA_SA_iPKfiiiPfSD_PS3_PT2_iSC_SC_, .Lfunc_end1103-_Z39paged_attention_ll4mi_QKV_mfma16_kernelIDF16_hLN4vllm18Fp8KVCacheDataTypeE1EhLi16ELi64ELi256ELb1ELi2EL8MFMAType0EEvPKT_PKT0_S8_ifPKiSA_SA_iPKfiiiPfSD_PS3_PT2_iSC_SC_
                                        ; -- End function
	.section	.AMDGPU.csdata,"",@progbits
; Kernel info:
; codeLenInByte = 6240
; NumSgprs: 38
; NumVgprs: 148
; ScratchSize: 0
; MemoryBound: 0
; FloatMode: 240
; IeeeMode: 1
; LDSByteSize: 17472 bytes/workgroup (compile time only)
; SGPRBlocks: 4
; VGPRBlocks: 18
; NumSGPRsForWavesPerEU: 38
; NumVGPRsForWavesPerEU: 148
; Occupancy: 9
; WaveLimiterHint : 1
; COMPUTE_PGM_RSRC2:SCRATCH_EN: 0
; COMPUTE_PGM_RSRC2:USER_SGPR: 13
; COMPUTE_PGM_RSRC2:TRAP_HANDLER: 0
; COMPUTE_PGM_RSRC2:TGID_X_EN: 1
; COMPUTE_PGM_RSRC2:TGID_Y_EN: 1
; COMPUTE_PGM_RSRC2:TGID_Z_EN: 1
; COMPUTE_PGM_RSRC2:TIDIG_COMP_CNT: 0
	.section	.text._Z39paged_attention_ll4mi_QKV_mfma16_kernelIDF16_hLN4vllm18Fp8KVCacheDataTypeE1EhLi16ELi64ELi256ELb1ELi3EL8MFMAType0EEvPKT_PKT0_S8_ifPKiSA_SA_iPKfiiiPfSD_PS3_PT2_iSC_SC_,"axG",@progbits,_Z39paged_attention_ll4mi_QKV_mfma16_kernelIDF16_hLN4vllm18Fp8KVCacheDataTypeE1EhLi16ELi64ELi256ELb1ELi3EL8MFMAType0EEvPKT_PKT0_S8_ifPKiSA_SA_iPKfiiiPfSD_PS3_PT2_iSC_SC_,comdat
	.protected	_Z39paged_attention_ll4mi_QKV_mfma16_kernelIDF16_hLN4vllm18Fp8KVCacheDataTypeE1EhLi16ELi64ELi256ELb1ELi3EL8MFMAType0EEvPKT_PKT0_S8_ifPKiSA_SA_iPKfiiiPfSD_PS3_PT2_iSC_SC_ ; -- Begin function _Z39paged_attention_ll4mi_QKV_mfma16_kernelIDF16_hLN4vllm18Fp8KVCacheDataTypeE1EhLi16ELi64ELi256ELb1ELi3EL8MFMAType0EEvPKT_PKT0_S8_ifPKiSA_SA_iPKfiiiPfSD_PS3_PT2_iSC_SC_
	.globl	_Z39paged_attention_ll4mi_QKV_mfma16_kernelIDF16_hLN4vllm18Fp8KVCacheDataTypeE1EhLi16ELi64ELi256ELb1ELi3EL8MFMAType0EEvPKT_PKT0_S8_ifPKiSA_SA_iPKfiiiPfSD_PS3_PT2_iSC_SC_
	.p2align	8
	.type	_Z39paged_attention_ll4mi_QKV_mfma16_kernelIDF16_hLN4vllm18Fp8KVCacheDataTypeE1EhLi16ELi64ELi256ELb1ELi3EL8MFMAType0EEvPKT_PKT0_S8_ifPKiSA_SA_iPKfiiiPfSD_PS3_PT2_iSC_SC_,@function
_Z39paged_attention_ll4mi_QKV_mfma16_kernelIDF16_hLN4vllm18Fp8KVCacheDataTypeE1EhLi16ELi64ELi256ELb1ELi3EL8MFMAType0EEvPKT_PKT0_S8_ifPKiSA_SA_iPKfiiiPfSD_PS3_PT2_iSC_SC_: ; @_Z39paged_attention_ll4mi_QKV_mfma16_kernelIDF16_hLN4vllm18Fp8KVCacheDataTypeE1EhLi16ELi64ELi256ELb1ELi3EL8MFMAType0EEvPKT_PKT0_S8_ifPKiSA_SA_iPKfiiiPfSD_PS3_PT2_iSC_SC_
; %bb.0:
	s_load_b64 s[2:3], s[0:1], 0x30
	s_mov_b32 s34, s13
	s_waitcnt lgkmcnt(0)
	s_cmp_lg_u64 s[2:3], 0
	s_cselect_b32 s6, -1, 0
	s_ashr_i32 s35, s13, 31
	s_cmp_eq_u64 s[2:3], 0
	s_cbranch_scc1 .LBB1104_3
; %bb.1:
	s_lshl_b64 s[4:5], s[34:35], 2
	s_delay_alu instid0(SALU_CYCLE_1) | instskip(SKIP_4) | instid1(SALU_CYCLE_1)
	s_add_u32 s4, s2, s4
	s_addc_u32 s5, s3, s5
	s_load_b64 s[4:5], s[4:5], 0x0
	s_waitcnt lgkmcnt(0)
	s_sub_i32 s4, s5, s4
	s_cmp_eq_u32 s4, 1
	s_cselect_b32 s4, -1, 0
	s_delay_alu instid0(SALU_CYCLE_1)
	s_and_not1_b32 vcc_lo, exec_lo, s4
	s_cbranch_vccz .LBB1104_4
.LBB1104_2:
	s_nop 0
	s_sendmsg sendmsg(MSG_DEALLOC_VGPRS)
	s_endpgm
.LBB1104_3:
.LBB1104_4:
	s_load_b64 s[8:9], s[0:1], 0x28
	s_lshl_b64 s[4:5], s[34:35], 2
	s_waitcnt lgkmcnt(0)
	s_add_u32 s8, s8, s4
	s_addc_u32 s9, s9, s5
	s_lshl_b32 s16, s14, 8
	s_load_b32 s18, s[8:9], 0x0
	s_waitcnt lgkmcnt(0)
	s_cmp_ge_i32 s16, s18
	s_cbranch_scc1 .LBB1104_2
; %bb.5:
	s_clause 0x1
	s_load_b128 s[8:11], s[0:1], 0x8
	s_load_b64 s[12:13], s[0:1], 0x20
	s_and_not1_b32 vcc_lo, exec_lo, s6
	s_cbranch_vccnz .LBB1104_7
; %bb.6:
	s_add_u32 s2, s2, s4
	s_addc_u32 s3, s3, s5
	s_load_b32 s3, s[2:3], 0x0
	s_branch .LBB1104_8
.LBB1104_7:
	s_mov_b32 s3, s34
.LBB1104_8:
	s_load_b128 s[4:7], s[0:1], 0x48
	v_lshrrev_b32_e32 v69, 5, v0
	v_bfe_u32 v66, v0, 4, 1
	v_and_b32_e32 v68, 15, v0
	v_and_b32_e32 v70, 31, v0
	;; [unrolled: 1-line block ×3, first 2 shown]
	s_mul_i32 s33, s15, 3
	v_lshl_or_b32 v1, v69, 1, v66
	v_lshlrev_b32_e32 v2, 3, v68
	v_cmp_gt_u32_e64 s2, 8, v68
	s_delay_alu instid0(VALU_DEP_3) | instskip(NEXT) | instid1(VALU_DEP_3)
	v_cmp_gt_u32_e32 vcc_lo, 3, v1
	v_lshlrev_b32_e32 v65, 1, v2
	s_delay_alu instid0(VALU_DEP_3)
	s_and_b32 s17, s2, vcc_lo
	s_waitcnt lgkmcnt(0)
	s_and_saveexec_b32 s7, s17
	s_cbranch_execz .LBB1104_10
; %bb.9:
	s_load_b64 s[20:21], s[0:1], 0x0
	v_add_lshl_u32 v2, v1, s33, 6
	s_mul_hi_i32 s23, s3, s4
	s_mul_i32 s22, s3, s4
	v_lshlrev_b32_e32 v6, 10, v68
	s_lshl_b64 s[22:23], s[22:23], 1
	v_ashrrev_i32_e32 v3, 31, v2
	v_lshlrev_b32_e32 v1, 6, v1
	v_lshlrev_b32_e32 v7, 10, v67
	v_and_b32_e32 v6, 0x3800, v6
	s_delay_alu instid0(VALU_DEP_4) | instskip(NEXT) | instid1(VALU_DEP_2)
	v_lshlrev_b64 v[2:3], 1, v[2:3]
	v_or3_b32 v1, v6, v7, v1
	s_waitcnt lgkmcnt(0)
	s_add_u32 s3, s20, s22
	s_addc_u32 s4, s21, s23
	s_delay_alu instid0(VALU_DEP_2) | instskip(SKIP_1) | instid1(VALU_DEP_2)
	v_add_co_u32 v2, vcc_lo, s3, v2
	v_add_co_ci_u32_e32 v3, vcc_lo, s4, v3, vcc_lo
	v_add_co_u32 v2, vcc_lo, v2, v65
	s_delay_alu instid0(VALU_DEP_2)
	v_add_co_ci_u32_e32 v3, vcc_lo, 0, v3, vcc_lo
	global_load_b128 v[2:5], v[2:3], off
	s_waitcnt vmcnt(0)
	ds_store_b128 v1, v[2:5]
.LBB1104_10:
	s_or_b32 exec_lo, exec_lo, s7
	v_and_b32_e32 v1, 0xef, v0
	s_add_i32 s3, s18, 15
	s_clause 0x1
	s_load_b32 s4, s[0:1], 0x38
	s_load_b32 s35, s[0:1], 0x98
	s_ashr_i32 s7, s3, 31
	v_add_nc_u32_e32 v1, s16, v1
	s_lshr_b32 s7, s7, 28
	s_load_b32 s19, s[0:1], 0x1c
	s_add_i32 s3, s3, s7
	s_waitcnt lgkmcnt(0)
	v_ashrrev_i32_e32 v2, 31, v1
	v_or_b32_e32 v3, 16, v1
	s_ashr_i32 s3, s3, 4
	v_cmp_gt_i32_e32 vcc_lo, s18, v1
	s_add_i32 s3, s3, -1
	v_lshrrev_b32_e32 v2, 28, v2
	s_barrier
	buffer_gl0_inv
	s_mul_i32 s15, s15, s6
	v_mul_lo_u16 v103, 0x56, v68
	v_add_nc_u32_e32 v4, v1, v2
	v_mbcnt_lo_u32_b32 v127, -1, 0
	s_mul_i32 s20, s34, s4
	s_delay_alu instid0(SALU_CYCLE_1) | instskip(NEXT) | instid1(VALU_DEP_2)
	s_ashr_i32 s21, s20, 31
	v_ashrrev_i32_e32 v4, 4, v4
	v_add_nc_u32_e32 v2, v3, v2
	s_lshl_b64 s[20:21], s[20:21], 2
	v_lshrrev_b16 v103, 8, v103
	s_add_u32 s17, s12, s20
	v_cndmask_b32_e32 v1, s3, v4, vcc_lo
	v_ashrrev_i32_e32 v2, 4, v2
	v_cmp_gt_i32_e32 vcc_lo, s18, v3
	s_addc_u32 s13, s13, s21
	s_ashr_i32 s20, s15, 31
	s_add_u32 s4, s8, s15
	s_addc_u32 s12, s9, s20
	v_cndmask_b32_e32 v3, s3, v2, vcc_lo
	v_ashrrev_i32_e32 v2, 31, v1
	s_lshl_b32 s6, s14, 4
	v_mul_lo_u16 v103, v103, 3
	s_ashr_i32 s7, s6, 31
	v_ashrrev_i32_e32 v4, 31, v3
	v_lshlrev_b64 v[1:2], 2, v[1:2]
	s_lshl_b64 s[6:7], s[6:7], 2
	v_sub_nc_u16 v103, v68, v103
	s_add_u32 s6, s17, s6
	v_lshlrev_b64 v[3:4], 2, v[3:4]
	s_addc_u32 s7, s13, s7
	v_add_co_u32 v1, vcc_lo, s17, v1
	v_add_co_ci_u32_e32 v2, vcc_lo, s13, v2, vcc_lo
	s_delay_alu instid0(VALU_DEP_3) | instskip(NEXT) | instid1(VALU_DEP_4)
	v_add_co_u32 v3, vcc_lo, s17, v3
	v_add_co_ci_u32_e32 v4, vcc_lo, s13, v4, vcc_lo
	s_clause 0x1
	global_load_b32 v5, v[1:2], off
	global_load_b32 v7, v[3:4], off
	s_or_b32 s8, s16, 32
	v_lshlrev_b32_e32 v1, 4, v0
	s_ashr_i32 s9, s8, 4
	s_cmp_lt_i32 s8, s18
	v_xor_b32_e32 v128, 16, v127
	s_cselect_b32 s8, s9, s3
	v_and_b32_e32 v1, 0xf0, v1
	s_ashr_i32 s9, s8, 31
	s_delay_alu instid0(SALU_CYCLE_1)
	s_lshl_b64 s[8:9], s[8:9], 2
	v_cmp_gt_i32_e32 vcc_lo, 32, v128
	s_add_u32 s8, s17, s8
	s_addc_u32 s9, s13, s9
	s_or_b32 s21, s16, 64
	v_add_co_u32 v1, s4, s4, v1
	s_ashr_i32 s22, s21, 4
	s_cmp_lt_i32 s21, s18
	v_add_co_ci_u32_e64 v2, null, s12, 0, s4
	s_cselect_b32 s22, s22, s3
	v_dual_cndmask_b32 v136, v127, v128 :: v_dual_and_b32 v103, 0xff, v103
	s_ashr_i32 s23, s22, 31
	s_delay_alu instid0(SALU_CYCLE_1) | instskip(NEXT) | instid1(VALU_DEP_1)
	s_lshl_b64 s[22:23], s[22:23], 2
	v_lshlrev_b32_e32 v115, 6, v103
	s_add_u32 s22, s17, s22
	s_addc_u32 s23, s13, s23
	s_or_b32 s21, s16, 0x60
	s_delay_alu instid0(SALU_CYCLE_1) | instskip(SKIP_2) | instid1(SALU_CYCLE_1)
	s_ashr_i32 s24, s21, 4
	s_cmp_lt_i32 s21, s18
	s_cselect_b32 s24, s24, s3
	s_ashr_i32 s25, s24, 31
	s_delay_alu instid0(SALU_CYCLE_1) | instskip(NEXT) | instid1(SALU_CYCLE_1)
	s_lshl_b64 s[24:25], s[24:25], 2
	s_add_u32 s24, s17, s24
	s_addc_u32 s25, s13, s25
	s_or_b32 s21, s16, 0x80
	s_delay_alu instid0(SALU_CYCLE_1) | instskip(SKIP_2) | instid1(SALU_CYCLE_1)
	s_ashr_i32 s26, s21, 4
	s_cmp_lt_i32 s21, s18
	s_cselect_b32 s26, s26, s3
	s_ashr_i32 s27, s26, 31
	s_delay_alu instid0(SALU_CYCLE_1) | instskip(NEXT) | instid1(SALU_CYCLE_1)
	s_lshl_b64 s[26:27], s[26:27], 2
	;; [unrolled: 10-line block ×3, first 2 shown]
	s_add_u32 s28, s17, s28
	s_addc_u32 s29, s13, s29
	s_clause 0x5
	s_load_b32 s12, s[6:7], 0x0
	s_load_b32 s4, s[8:9], 0x0
	;; [unrolled: 1-line block ×6, first 2 shown]
	s_or_b32 s21, s16, 0xc0
	s_delay_alu instid0(SALU_CYCLE_1) | instskip(SKIP_2) | instid1(SALU_CYCLE_1)
	s_ashr_i32 s22, s21, 4
	s_cmp_lt_i32 s21, s18
	s_cselect_b32 s22, s22, s3
	s_ashr_i32 s23, s22, 31
	s_delay_alu instid0(SALU_CYCLE_1) | instskip(NEXT) | instid1(SALU_CYCLE_1)
	s_lshl_b64 s[22:23], s[22:23], 2
	s_add_u32 s22, s17, s22
	s_addc_u32 s23, s13, s23
	s_or_b32 s21, s16, 0xe0
	s_delay_alu instid0(SALU_CYCLE_1) | instskip(SKIP_2) | instid1(SALU_CYCLE_1)
	s_ashr_i32 s24, s21, 4
	s_cmp_lt_i32 s21, s18
	s_cselect_b32 s24, s24, s3
	s_ashr_i32 s25, s24, 31
	s_delay_alu instid0(SALU_CYCLE_1)
	s_lshl_b64 s[24:25], s[24:25], 2
	s_waitcnt vmcnt(1)
	v_mad_i64_i32 v[3:4], null, v5, s5, v[1:2]
	s_waitcnt vmcnt(0)
	v_mad_i64_i32 v[5:6], null, v7, s5, v[1:2]
	v_lshlrev_b32_e32 v1, 4, v68
	s_clause 0x7
	global_load_b128 v[71:74], v[3:4], off
	global_load_b128 v[75:78], v[3:4], off offset:256
	global_load_b128 v[79:82], v[5:6], off
	global_load_b128 v[83:86], v[5:6], off offset:256
	global_load_b128 v[87:90], v[3:4], off offset:512
	;; [unrolled: 1-line block ×5, first 2 shown]
	v_lshl_or_b32 v1, v69, 8, v1
	s_load_b32 s3, s[22:23], 0x0
	s_add_u32 s22, s17, s24
	s_addc_u32 s23, s13, s25
	s_add_u32 s10, s10, s15
	s_addc_u32 s11, s11, s20
	v_add_co_u32 v1, s10, s10, v1
	s_delay_alu instid0(VALU_DEP_1) | instskip(SKIP_2) | instid1(VALU_DEP_1)
	v_add_co_ci_u32_e64 v2, null, s11, 0, s10
	s_load_b32 s10, s[22:23], 0x0
	s_waitcnt lgkmcnt(0)
	v_mad_i64_i32 v[3:4], null, s12, s5, v[1:2]
	v_mad_i64_i32 v[9:10], null, s7, s5, v[1:2]
	;; [unrolled: 1-line block ×7, first 2 shown]
	s_clause 0x5
	global_load_b128 v[49:52], v[3:4], off
	global_load_b128 v[53:56], v[3:4], off offset:16
	global_load_b128 v[41:44], v[5:6], off
	global_load_b128 v[45:48], v[5:6], off offset:16
	;; [unrolled: 2-line block ×3, first 2 shown]
	s_mov_b32 s4, 0
	v_mad_i64_i32 v[61:62], null, s10, s5, v[1:2]
	s_clause 0x9
	global_load_b128 v[1:4], v[9:10], off
	global_load_b128 v[5:8], v[9:10], off offset:16
	global_load_b128 v[9:12], v[13:14], off
	global_load_b128 v[13:16], v[13:14], off offset:16
	;; [unrolled: 2-line block ×5, first 2 shown]
	s_mov_b32 s5, s4
	s_mov_b32 s6, s4
	;; [unrolled: 1-line block ×7, first 2 shown]
	v_and_b32_e32 v104, 0xe0, v0
	v_dual_mov_b32 v126, s11 :: v_dual_mov_b32 v123, s8
	v_dual_mov_b32 v125, s10 :: v_dual_mov_b32 v124, s9
	s_delay_alu instid0(VALU_DEP_3)
	v_add_nc_u32_e32 v111, s16, v104
	ds_load_b128 v[103:106], v115
	ds_load_b128 v[107:110], v115 offset:1024
	v_dual_mov_b32 v122, s7 :: v_dual_mov_b32 v121, s6
	v_mov_b32_e32 v120, s5
	v_or_b32_e32 v135, v111, v66
	ds_load_b128 v[111:114], v115 offset:2048
	ds_load_b128 v[115:118], v115 offset:3072
	v_mov_b32_e32 v119, s4
	s_waitcnt vmcnt(0) lgkmcnt(0)
	s_barrier
	v_or_b32_e32 v137, 2, v135
	v_or_b32_e32 v138, 4, v135
	;; [unrolled: 1-line block ×3, first 2 shown]
	v_cmp_gt_i32_e32 vcc_lo, s18, v135
	v_or_b32_e32 v140, 8, v135
	v_cmp_gt_i32_e64 s3, s18, v137
	v_or_b32_e32 v141, 10, v135
	v_cmp_gt_i32_e64 s4, s18, v138
	v_cmp_gt_i32_e64 s5, s18, v139
	v_or_b32_e32 v142, 12, v135
	v_or_b32_e32 v143, 14, v135
	v_cmp_gt_i32_e64 s6, s18, v140
	v_cmp_gt_i32_e64 s7, s18, v141
	v_or_b32_e32 v144, 16, v135
	v_or_b32_e32 v145, 18, v135
	v_cmp_gt_i32_e64 s8, s18, v142
	v_cmp_gt_i32_e64 s9, s18, v143
	buffer_gl0_inv
	v_cmp_gt_i32_e64 s10, s18, v144
	v_cmp_gt_i32_e64 s11, s18, v145
	v_wmma_f32_16x16x16_f16 v[127:134], v[71:78], v[103:110], v[119:126]
	v_wmma_f32_16x16x16_f16 v[119:126], v[79:86], v[103:110], v[119:126]
	v_or_b32_e32 v71, 20, v135
	v_or_b32_e32 v72, 22, v135
	s_delay_alu instid0(VALU_DEP_4)
	v_wmma_f32_16x16x16_f16 v[127:134], v[87:94], v[111:118], v[127:134]
	v_or_b32_e32 v73, 24, v135
	v_wmma_f32_16x16x16_f16 v[119:126], v[95:102], v[111:118], v[119:126]
	v_or_b32_e32 v74, 26, v135
	v_cmp_gt_i32_e64 s12, s18, v71
	v_dual_mul_f32 v83, s19, v128 :: v_dual_mul_f32 v84, s19, v127
	s_delay_alu instid0(VALU_DEP_4) | instskip(SKIP_1) | instid1(VALU_DEP_3)
	v_dual_mul_f32 v81, s19, v130 :: v_dual_mul_f32 v92, s19, v119
	v_mul_f32_e32 v82, s19, v129
	v_cndmask_b32_e64 v83, 0xff7fffff, v83, s3
	s_delay_alu instid0(VALU_DEP_4)
	v_cndmask_b32_e32 v84, 0xff7fffff, v84, vcc_lo
	v_dual_mul_f32 v79, s19, v132 :: v_dual_mul_f32 v90, s19, v121
	v_mul_f32_e32 v80, s19, v131
	v_cndmask_b32_e64 v82, 0xff7fffff, v82, s4
	v_cndmask_b32_e64 v81, 0xff7fffff, v81, s5
	v_max3_f32 v83, v84, 0xff7fffff, v83
	v_dual_mul_f32 v77, s19, v134 :: v_dual_mul_f32 v88, s19, v123
	v_mul_f32_e32 v78, s19, v133
	v_cndmask_b32_e64 v80, 0xff7fffff, v80, s6
	v_cndmask_b32_e64 v79, 0xff7fffff, v79, s7
	v_max3_f32 v81, v83, v82, v81
	v_mul_f32_e32 v91, s19, v120
	v_cndmask_b32_e64 v78, 0xff7fffff, v78, s8
	v_cndmask_b32_e64 v77, 0xff7fffff, v77, s9
	v_mul_f32_e32 v89, s19, v122
	v_max3_f32 v79, v81, v80, v79
	v_cndmask_b32_e64 v80, 0xff7fffff, v92, s10
	v_cndmask_b32_e64 v81, 0xff7fffff, v91, s11
	v_cmp_gt_i32_e64 s13, s18, v72
	v_or_b32_e32 v75, 28, v135
	v_max3_f32 v77, v79, v78, v77
	v_or_b32_e32 v76, 30, v135
	v_mul_f32_e32 v87, s19, v124
	v_cndmask_b32_e64 v71, 0xff7fffff, v90, s12
	v_cndmask_b32_e64 v72, 0xff7fffff, v89, s13
	v_max3_f32 v77, v77, v80, v81
	v_cmp_gt_i32_e64 s15, s18, v73
	v_cmp_gt_i32_e64 s16, s18, v74
	v_dual_mul_f32 v85, s19, v126 :: v_dual_mul_f32 v86, s19, v125
	s_delay_alu instid0(VALU_DEP_4) | instskip(NEXT) | instid1(VALU_DEP_4)
	v_max3_f32 v71, v77, v71, v72
	v_cndmask_b32_e64 v73, 0xff7fffff, v88, s15
	s_delay_alu instid0(VALU_DEP_4) | instskip(SKIP_2) | instid1(VALU_DEP_3)
	v_cndmask_b32_e64 v74, 0xff7fffff, v87, s16
	v_cmp_gt_i32_e64 s17, s18, v75
	v_cmp_gt_i32_e64 s18, s18, v76
	v_max3_f32 v71, v71, v73, v74
	s_delay_alu instid0(VALU_DEP_3) | instskip(NEXT) | instid1(VALU_DEP_3)
	v_cndmask_b32_e64 v72, 0xff7fffff, v86, s17
	v_cndmask_b32_e64 v75, 0xff7fffff, v85, s18
	v_lshlrev_b32_e32 v73, 2, v136
	s_delay_alu instid0(VALU_DEP_2) | instskip(SKIP_3) | instid1(VALU_DEP_1)
	v_max3_f32 v71, v71, v72, v75
	ds_bpermute_b32 v72, v73, v71
	s_waitcnt lgkmcnt(0)
	v_max_f32_e32 v72, v72, v72
	v_max_f32_e32 v71, v71, v72
	s_delay_alu instid0(VALU_DEP_1)
	v_fma_f32 v72, s19, v127, -v71
	v_fma_f32 v74, s19, v128, -v71
	;; [unrolled: 1-line block ×5, first 2 shown]
	v_mul_f32_e32 v72, 0x3fb8aa3b, v72
	v_mul_f32_e32 v74, 0x3fb8aa3b, v74
	v_fma_f32 v80, s19, v133, -v71
	s_delay_alu instid0(VALU_DEP_4) | instskip(NEXT) | instid1(VALU_DEP_4)
	v_dual_mul_f32 v76, 0x3fb8aa3b, v76 :: v_dual_mul_f32 v77, 0x3fb8aa3b, v77
	v_exp_f32_e32 v72, v72
	s_delay_alu instid0(VALU_DEP_3) | instskip(NEXT) | instid1(VALU_DEP_2)
	v_exp_f32_e32 v74, v74
	v_mul_f32_e32 v82, 0x3fb8aa3b, v80
	s_delay_alu instid0(VALU_DEP_2) | instskip(SKIP_1) | instid1(VALU_DEP_1)
	v_exp_f32_e32 v76, v76
	v_exp_f32_e32 v77, v77
	;; [unrolled: 1-line block ×3, first 2 shown]
	v_cndmask_b32_e32 v79, 0, v72, vcc_lo
	v_fma_f32 v72, s19, v132, -v71
	v_mul_f32_e32 v75, 0x3fb8aa3b, v75
	v_cndmask_b32_e64 v78, 0, v74, s3
	s_delay_alu instid0(TRANS32_DEP_3)
	v_cndmask_b32_e64 v80, 0, v76, s5
	v_add_f32_e32 v74, 0, v79
	v_mul_f32_e32 v72, 0x3fb8aa3b, v72
	v_exp_f32_e32 v75, v75
	v_cndmask_b32_e64 v83, 0, v77, s6
	v_cndmask_b32_e64 v85, 0, v84, s8
	v_add_f32_e32 v74, v74, v78
	v_exp_f32_e32 v72, v72
	v_cmp_gt_u32_e64 s3, 16, v70
	s_waitcnt_depctr 0xfff
	v_cndmask_b32_e64 v81, 0, v75, s4
	v_cndmask_b32_e64 v82, 0, v72, s7
	s_delay_alu instid0(VALU_DEP_2) | instskip(NEXT) | instid1(VALU_DEP_1)
	v_add_f32_e32 v74, v74, v81
	v_add_f32_e32 v74, v74, v80
	s_delay_alu instid0(VALU_DEP_1) | instskip(SKIP_4) | instid1(VALU_DEP_4)
	v_add_f32_e32 v72, v74, v83
	v_fma_f32 v75, s19, v134, -v71
	v_fma_f32 v76, s19, v119, -v71
	;; [unrolled: 1-line block ×4, first 2 shown]
	v_dual_add_f32 v72, v72, v82 :: v_dual_mul_f32 v75, 0x3fb8aa3b, v75
	s_delay_alu instid0(VALU_DEP_3) | instskip(SKIP_1) | instid1(VALU_DEP_3)
	v_dual_mul_f32 v76, 0x3fb8aa3b, v76 :: v_dual_mul_f32 v77, 0x3fb8aa3b, v77
	v_fma_f32 v86, s19, v122, -v71
	v_add_f32_e32 v72, v72, v85
	s_delay_alu instid0(VALU_DEP_4) | instskip(NEXT) | instid1(VALU_DEP_3)
	v_exp_f32_e32 v75, v75
	v_exp_f32_e32 v76, v76
	;; [unrolled: 1-line block ×3, first 2 shown]
	v_mul_f32_e32 v86, 0x3fb8aa3b, v86
	s_delay_alu instid0(VALU_DEP_1) | instskip(SKIP_3) | instid1(TRANS32_DEP_3)
	v_exp_f32_e32 v88, v86
	v_cndmask_b32_e64 v84, 0, v75, s9
	v_fma_f32 v75, s19, v123, -v71
	v_mul_f32_e32 v74, 0x3fb8aa3b, v74
	v_cndmask_b32_e64 v87, 0, v76, s10
	v_fma_f32 v76, s19, v124, -v71
	s_delay_alu instid0(VALU_DEP_4) | instskip(NEXT) | instid1(VALU_DEP_4)
	v_dual_add_f32 v72, v72, v84 :: v_dual_mul_f32 v75, 0x3fb8aa3b, v75
	v_exp_f32_e32 v74, v74
	v_cndmask_b32_e64 v86, 0, v77, s11
	v_fma_f32 v77, s19, v125, -v71
	s_delay_alu instid0(VALU_DEP_3) | instskip(SKIP_3) | instid1(VALU_DEP_3)
	v_add_f32_e32 v72, v72, v87
	v_mul_f32_e32 v76, 0x3fb8aa3b, v76
	v_exp_f32_e32 v75, v75
	v_cndmask_b32_e64 v88, 0, v88, s13
	v_add_f32_e32 v72, v72, v86
	s_delay_alu instid0(VALU_DEP_3) | instskip(NEXT) | instid1(TRANS32_DEP_3)
	v_exp_f32_e32 v76, v76
	v_cndmask_b32_e64 v89, 0, v74, s12
	v_mul_f32_e32 v74, 0x3fb8aa3b, v77
	v_fma_f32 v77, s19, v126, -v71
	s_delay_alu instid0(VALU_DEP_3) | instskip(NEXT) | instid1(VALU_DEP_3)
	v_add_f32_e32 v72, v72, v89
	v_exp_f32_e32 v74, v74
	s_delay_alu instid0(TRANS32_DEP_3) | instskip(NEXT) | instid1(VALU_DEP_3)
	v_cndmask_b32_e64 v91, 0, v75, s15
	v_mul_f32_e32 v75, 0x3fb8aa3b, v77
	s_delay_alu instid0(TRANS32_DEP_2) | instskip(SKIP_1) | instid1(VALU_DEP_3)
	v_cndmask_b32_e64 v90, 0, v76, s16
	v_add_f32_e32 v72, v72, v88
	v_exp_f32_e32 v75, v75
	s_delay_alu instid0(VALU_DEP_1) | instskip(NEXT) | instid1(TRANS32_DEP_2)
	v_add_f32_e32 v72, v72, v91
	v_cndmask_b32_e64 v93, 0, v74, s17
	s_delay_alu instid0(VALU_DEP_2) | instskip(SKIP_3) | instid1(VALU_DEP_1)
	v_add_f32_e32 v72, v72, v90
	s_waitcnt_depctr 0xfff
	v_cndmask_b32_e64 v92, 0, v75, s18
	v_add_f32_e32 v72, v72, v93
	v_add_f32_e32 v72, v72, v92
	ds_bpermute_b32 v73, v73, v72
	s_and_saveexec_b32 s4, s3
	s_cbranch_execz .LBB1104_12
; %bb.11:
	v_mul_u32_u24_e32 v70, 0x44, v69
	s_waitcnt lgkmcnt(0)
	v_add_f32_e32 v72, v72, v73
	s_delay_alu instid0(VALU_DEP_2) | instskip(NEXT) | instid1(VALU_DEP_1)
	v_lshl_add_u32 v70, v68, 2, v70
	v_add_nc_u32_e32 v70, 0x4000, v70
	ds_store_2addr_b32 v70, v71, v72 offset1:136
.LBB1104_12:
	s_or_b32 exec_lo, exec_lo, s4
	v_lshlrev_b32_e32 v70, 2, v68
	s_load_b32 s36, s[0:1], 0x94
	s_waitcnt lgkmcnt(0)
	s_barrier
	buffer_gl0_inv
	v_add_nc_u32_e32 v98, 0x4000, v70
	v_cmp_eq_u32_e32 vcc_lo, 1, v69
	v_cmp_eq_u32_e64 s4, 2, v69
	v_cmp_eq_u32_e64 s5, 3, v69
	;; [unrolled: 1-line block ×3, first 2 shown]
	ds_load_2addr_b32 v[70:71], v98 offset1:17
	ds_load_2addr_b32 v[72:73], v98 offset0:34 offset1:51
	ds_load_2addr_b32 v[74:75], v98 offset0:68 offset1:85
	;; [unrolled: 1-line block ×3, first 2 shown]
	v_cmp_eq_u32_e64 s7, 5, v69
	v_cmp_eq_u32_e64 s8, 7, v69
	s_waitcnt lgkmcnt(3)
	v_max3_f32 v76, v70, 0xff7fffff, v71
	s_waitcnt lgkmcnt(2)
	s_delay_alu instid0(VALU_DEP_1) | instskip(SKIP_1) | instid1(VALU_DEP_1)
	v_max3_f32 v76, v76, v72, v73
	s_waitcnt lgkmcnt(1)
	v_max3_f32 v76, v76, v74, v75
	s_waitcnt lgkmcnt(0)
	s_delay_alu instid0(VALU_DEP_1) | instskip(NEXT) | instid1(VALU_DEP_1)
	v_max3_f32 v76, v76, v94, v95
	v_sub_f32_e32 v77, v71, v76
	ds_load_2addr_b32 v[96:97], v98 offset0:136 offset1:153
	v_sub_f32_e32 v74, v74, v76
	v_sub_f32_e32 v70, v70, v76
	v_sub_f32_e32 v94, v94, v76
	v_dual_sub_f32 v72, v72, v76 :: v_dual_mul_f32 v77, 0x3fb8aa3b, v77
	s_delay_alu instid0(VALU_DEP_4) | instskip(NEXT) | instid1(VALU_DEP_4)
	v_mul_f32_e32 v103, 0x3fb8aa3b, v74
	v_mul_f32_e32 v99, 0x3fb8aa3b, v70
	ds_load_2addr_b32 v[70:71], v98 offset0:170 offset1:187
	v_dual_mul_f32 v101, 0x3fb8aa3b, v72 :: v_dual_mul_f32 v94, 0x3fb8aa3b, v94
	v_exp_f32_e32 v102, v77
	v_exp_f32_e32 v99, v99
	s_delay_alu instid0(VALU_DEP_1) | instskip(NEXT) | instid1(VALU_DEP_1)
	v_exp_f32_e32 v101, v101
	v_exp_f32_e32 v94, v94
	s_waitcnt lgkmcnt(1)
	s_delay_alu instid0(TRANS32_DEP_3)
	v_fma_f32 v77, v99, v96, 0
	v_sub_f32_e32 v100, v73, v76
	ds_load_2addr_b32 v[72:73], v98 offset0:204 offset1:221
	v_fmac_f32_e32 v77, v102, v97
	v_exp_f32_e32 v97, v103
	s_waitcnt lgkmcnt(1)
	s_delay_alu instid0(VALU_DEP_1)
	v_dual_fmac_f32 v77, v101, v70 :: v_dual_sub_f32 v96, v75, v76
	ds_load_2addr_b32 v[74:75], v98 offset0:238 offset1:255
	v_sub_f32_e32 v70, v95, v76
	s_waitcnt lgkmcnt(0)
	s_barrier
	v_mul_f32_e32 v96, 0x3fb8aa3b, v96
	buffer_gl0_inv
	v_exp_f32_e32 v95, v96
	v_mul_f32_e32 v100, 0x3fb8aa3b, v100
	s_delay_alu instid0(VALU_DEP_1) | instskip(SKIP_3) | instid1(VALU_DEP_2)
	v_exp_f32_e32 v100, v100
	s_waitcnt_depctr 0xfff
	v_dual_fmac_f32 v77, v100, v71 :: v_dual_mul_f32 v70, 0x3fb8aa3b, v70
	v_cndmask_b32_e32 v71, v99, v102, vcc_lo
	v_fmac_f32_e32 v77, v97, v72
	s_delay_alu instid0(VALU_DEP_3) | instskip(NEXT) | instid1(VALU_DEP_1)
	v_exp_f32_e32 v96, v70
	v_fmac_f32_e32 v77, v95, v73
	s_delay_alu instid0(VALU_DEP_1) | instskip(SKIP_2) | instid1(VALU_DEP_1)
	v_fmac_f32_e32 v77, v94, v74
	s_waitcnt_depctr 0xfff
	v_fmac_f32_e32 v77, v96, v75
	v_add_f32_e32 v74, 0x358637bd, v77
	s_delay_alu instid0(VALU_DEP_1) | instskip(SKIP_1) | instid1(VALU_DEP_2)
	v_div_scale_f32 v98, null, v74, v74, 1.0
	v_div_scale_f32 v99, vcc_lo, 1.0, v74, 1.0
	v_rcp_f32_e32 v103, v98
	s_waitcnt_depctr 0xfff
	v_fma_f32 v70, -v98, v103, 1.0
	s_delay_alu instid0(VALU_DEP_1) | instskip(SKIP_2) | instid1(VALU_DEP_2)
	v_fmac_f32_e32 v103, v70, v103
	v_cndmask_b32_e64 v70, v71, v101, s4
	v_cmp_eq_u32_e64 s4, 6, v69
	v_cndmask_b32_e64 v71, v70, v100, s5
	s_delay_alu instid0(VALU_DEP_4) | instskip(NEXT) | instid1(VALU_DEP_2)
	v_dual_mul_f32 v101, v99, v103 :: v_dual_lshlrev_b32 v70, 2, v66
	v_cndmask_b32_e64 v71, v71, v97, s6
	s_delay_alu instid0(VALU_DEP_2) | instskip(NEXT) | instid1(VALU_DEP_3)
	v_or_b32_e32 v72, 1, v70
	v_fma_f32 v100, -v98, v101, v99
	v_cmp_eq_u32_e64 s5, 1, v70
	v_cmp_eq_u32_e64 s6, 2, v70
	v_cndmask_b32_e64 v95, v71, v95, s7
	v_or_b32_e32 v71, 3, v70
	v_fmac_f32_e32 v101, v100, v103
	v_cmp_eq_u32_e64 s10, 1, v72
	v_cmp_eq_u32_e64 s13, 2, v72
	v_cndmask_b32_e64 v94, v95, v94, s4
	v_cmp_eq_u32_e64 s12, 1, v71
	v_fma_f32 v97, -v98, v101, v99
	v_cmp_eq_u32_e64 s17, 2, v71
	v_cmp_eq_u32_e64 s15, 3, v72
	v_cndmask_b32_e64 v94, v94, v96, s8
	v_cmp_eq_u32_e64 s19, 3, v71
	v_div_fmas_f32 v95, v97, v103, v101
	v_cmp_eq_u32_e32 vcc_lo, 3, v70
	v_cmp_eq_u32_e64 s4, 4, v70
	v_cmp_eq_u32_e64 s20, 4, v72
	;; [unrolled: 1-line block ×3, first 2 shown]
	v_div_fixup_f32 v95, v95, v74, 1.0
	v_lshlrev_b32_e32 v73, 6, v68
	v_cmp_eq_u32_e64 s7, 5, v70
	v_cmp_eq_u32_e64 s21, 5, v72
	;; [unrolled: 1-line block ×3, first 2 shown]
	v_mul_f32_e32 v102, v94, v95
	v_lshl_or_b32 v75, v69, 11, v73
	v_or_b32_e32 v69, 2, v70
	v_cmp_eq_u32_e64 s26, 6, v72
	v_cmp_eq_u32_e64 s28, 6, v71
	v_fma_mixlo_f16 v94, v102, v79, 0
	v_fma_mixlo_f16 v95, v102, v81, 0
	;; [unrolled: 1-line block ×8, first 2 shown]
	v_lshl_or_b32 v74, v66, 4, v75
	v_fma_mixhi_f16 v94, v102, v78, 0
	v_fma_mixhi_f16 v95, v102, v80, 0
	;; [unrolled: 1-line block ×8, first 2 shown]
	ds_store_b128 v74, v[94:97]
	ds_store_b128 v74, v[98:101] offset:1024
	s_waitcnt lgkmcnt(0)
	s_barrier
	buffer_gl0_inv
	ds_load_b128 v[78:81], v75
	ds_load_b128 v[82:85], v75 offset:16
	ds_load_b128 v[86:89], v75 offset:1024
	;; [unrolled: 1-line block ×3, first 2 shown]
	v_cmp_eq_u32_e64 s11, 1, v69
	v_cmp_eq_u32_e64 s16, 2, v69
	;; [unrolled: 1-line block ×11, first 2 shown]
	s_waitcnt lgkmcnt(3)
	v_lshrrev_b32_e32 v94, 16, v78
	s_waitcnt lgkmcnt(2)
	v_lshrrev_b32_e32 v98, 16, v82
	;; [unrolled: 2-line block ×4, first 2 shown]
	v_lshrrev_b32_e32 v95, 16, v79
	v_cndmask_b32_e64 v110, v78, v94, s5
	v_cndmask_b32_e64 v111, v82, v98, s5
	;; [unrolled: 1-line block ×8, first 2 shown]
	v_lshrrev_b32_e32 v99, 16, v83
	v_cndmask_b32_e64 v94, v86, v102, s5
	v_cndmask_b32_e64 v98, v90, v106, s5
	;; [unrolled: 1-line block ×15, first 2 shown]
	v_lshrrev_b32_e32 v103, 16, v87
	v_lshrrev_b32_e32 v107, 16, v91
	v_cndmask_b32_e64 v113, v115, v83, s16
	v_cndmask_b32_e64 v82, v94, v87, s6
	v_cndmask_b32_e64 v83, v98, v91, s6
	v_cndmask_b32_e64 v94, v116, v87, s13
	v_cndmask_b32_e64 v98, v118, v87, s16
	v_cndmask_b32_e64 v86, v86, v87, s17
	v_cndmask_b32_e64 v87, v90, v91, s17
	v_cndmask_b32_e32 v90, v102, v95, vcc_lo
	v_cndmask_b32_e32 v102, v106, v99, vcc_lo
	v_cndmask_b32_e64 v106, v110, v95, s15
	v_cndmask_b32_e64 v110, v111, v99, s15
	;; [unrolled: 1-line block ×4, first 2 shown]
	v_lshrrev_b32_e32 v96, 16, v80
	v_lshrrev_b32_e32 v100, 16, v84
	v_cndmask_b32_e64 v111, v112, v95, s18
	v_cndmask_b32_e64 v112, v113, v99, s18
	v_cndmask_b32_e32 v82, v82, v103, vcc_lo
	v_cndmask_b32_e32 v83, v83, v107, vcc_lo
	v_cndmask_b32_e64 v94, v94, v103, s15
	v_cndmask_b32_e64 v90, v90, v80, s4
	;; [unrolled: 1-line block ×7, first 2 shown]
	v_lshrrev_b32_e32 v104, 16, v88
	v_cndmask_b32_e64 v106, v111, v80, s22
	v_cndmask_b32_e64 v110, v112, v84, s22
	;; [unrolled: 1-line block ×11, first 2 shown]
	v_lshrrev_b32_e32 v97, 16, v81
	v_lshrrev_b32_e32 v101, 16, v85
	v_cndmask_b32_e64 v99, v106, v96, s24
	v_cndmask_b32_e64 v102, v110, v100, s24
	;; [unrolled: 1-line block ×7, first 2 shown]
	v_lshrrev_b32_e32 v105, 16, v89
	v_cndmask_b32_e64 v80, v80, v104, s7
	v_cndmask_b32_e64 v84, v84, v81, s8
	v_cndmask_b32_e64 v90, v90, v85, s8
	v_cndmask_b32_e64 v96, v99, v81, s27
	v_cndmask_b32_e64 v99, v102, v85, s27
	v_cndmask_b32_e64 v81, v83, v89, s26
	v_cndmask_b32_e64 v85, v94, v97, s31
	v_cndmask_b32_e64 v78, v78, v97, s30
	v_cndmask_b32_e64 v79, v79, v101, s30
	v_cndmask_b32_e64 v95, v95, v101, s31
	v_cndmask_b32_e64 v80, v80, v89, s8
	v_cndmask_b32_e64 v83, v84, v97, s9
	v_cndmask_b32_e64 v84, v90, v101, s9
	v_cndmask_b32_e64 v90, v96, v97, s29
	v_cndmask_b32_e64 v94, v99, v101, s29
	v_cndmask_b32_e64 v97, v81, v105, s31
	v_perm_b32 v81, v79, v78, 0x5040100
	v_perm_b32 v79, v95, v85, 0x5040100
	v_cndmask_b32_e64 v78, v119, v91, s16
	v_cndmask_b32_e64 v85, v117, v91, s13
	;; [unrolled: 1-line block ×3, first 2 shown]
	v_perm_b32 v80, v94, v90, 0x5040100
	v_cndmask_b32_e64 v90, v98, v103, s18
	v_cndmask_b32_e64 v86, v86, v103, s19
	;; [unrolled: 1-line block ×5, first 2 shown]
	v_lshrrev_b32_e32 v108, 16, v92
	v_cndmask_b32_e64 v90, v90, v88, s22
	v_cndmask_b32_e64 v86, v86, v88, s23
	;; [unrolled: 1-line block ×11, first 2 shown]
	v_lshrrev_b32_e32 v109, 16, v93
	v_cndmask_b32_e64 v82, v82, v93, s8
	v_cndmask_b32_e64 v88, v88, v89, s27
	;; [unrolled: 1-line block ×12, first 2 shown]
	v_perm_b32 v78, v84, v83, 0x5040100
	v_perm_b32 v85, v87, v86, 0x5040100
	;; [unrolled: 1-line block ×5, first 2 shown]
	s_mul_i32 s9, s35, 3
	s_mov_b32 s4, exec_lo
	ds_store_b128 v74, v[78:81]
	ds_store_b128 v74, v[82:85] offset:1024
	v_cmpx_gt_u32_e32 3, v0
	s_cbranch_execz .LBB1104_14
; %bb.13:
	s_mul_i32 s5, s9, s34
	s_load_b128 s[16:19], s[0:1], 0x58
	v_add3_u32 v68, s5, s33, v68
	s_delay_alu instid0(VALU_DEP_1) | instskip(NEXT) | instid1(VALU_DEP_1)
	v_mad_u64_u32 v[78:79], null, v68, s36, s[14:15]
	v_ashrrev_i32_e32 v79, 31, v78
	s_delay_alu instid0(VALU_DEP_1) | instskip(SKIP_1) | instid1(VALU_DEP_1)
	v_lshlrev_b64 v[78:79], 2, v[78:79]
	s_waitcnt lgkmcnt(0)
	v_add_co_u32 v80, vcc_lo, s18, v78
	s_delay_alu instid0(VALU_DEP_2)
	v_add_co_ci_u32_e32 v81, vcc_lo, s19, v79, vcc_lo
	v_add_co_u32 v78, vcc_lo, s16, v78
	v_add_co_ci_u32_e32 v79, vcc_lo, s17, v79, vcc_lo
	global_store_b32 v[80:81], v76, off
	global_store_b32 v[78:79], v77, off
.LBB1104_14:
	s_or_b32 exec_lo, exec_lo, s4
	s_waitcnt lgkmcnt(0)
	s_waitcnt_vscnt null, 0x0
	s_barrier
	buffer_gl0_inv
	ds_load_b128 v[84:87], v73
	ds_load_b128 v[88:91], v73 offset:16
	ds_load_b128 v[96:99], v73 offset:2064
	;; [unrolled: 1-line block ×5, first 2 shown]
	v_cmp_eq_u32_e32 vcc_lo, 1, v70
	v_mov_b32_e32 v76, 0
	ds_load_b128 v[112:115], v73 offset:6160
	ds_load_b128 v[108:111], v73 offset:6144
	;; [unrolled: 1-line block ×4, first 2 shown]
	v_cmp_eq_u32_e64 s5, 1, v69
	v_cmp_eq_u32_e64 s4, 1, v72
	;; [unrolled: 1-line block ×3, first 2 shown]
	v_mov_b32_e32 v77, v76
	v_mov_b32_e32 v78, v76
	v_mov_b32_e32 v79, v76
	v_mov_b32_e32 v80, v76
	v_mov_b32_e32 v81, v76
	v_mov_b32_e32 v82, v76
	v_mov_b32_e32 v83, v76
	v_cmp_eq_u32_e64 s7, 3, v72
	v_cmp_eq_u32_e64 s8, 7, v72
	s_waitcnt lgkmcnt(8)
	s_delay_alu instid0(VALU_DEP_3)
	v_wmma_f32_16x16x16_f16 v[76:83], v[49:56], v[84:91], v[76:83]
	ds_load_b128 v[53:56], v73 offset:10256
	ds_load_b128 v[49:52], v73 offset:10240
	s_waitcnt lgkmcnt(8)
	v_wmma_f32_16x16x16_f16 v[76:83], v[41:48], v[92:99], v[76:83]
	ds_load_b128 v[45:48], v73 offset:12304
	ds_load_b128 v[41:44], v73 offset:12288
	s_waitcnt lgkmcnt(8)
	;; [unrolled: 4-line block ×3, first 2 shown]
	s_barrier
	buffer_gl0_inv
	v_wmma_f32_16x16x16_f16 v[76:83], v[1:8], v[108:115], v[76:83]
	s_delay_alu instid0(VALU_DEP_1) | instskip(NEXT) | instid1(VALU_DEP_1)
	v_wmma_f32_16x16x16_f16 v[76:83], v[9:16], v[116:123], v[76:83]
	v_wmma_f32_16x16x16_f16 v[76:83], v[17:24], v[49:56], v[76:83]
	s_delay_alu instid0(VALU_DEP_1) | instskip(NEXT) | instid1(VALU_DEP_1)
	v_wmma_f32_16x16x16_f16 v[76:83], v[25:32], v[41:48], v[76:83]
	v_wmma_f32_16x16x16_f16 v[76:83], v[57:64], v[33:40], v[76:83]
	s_delay_alu instid0(VALU_DEP_1) | instskip(NEXT) | instid1(VALU_DEP_2)
	v_cvt_f16_f32_e32 v1, v76
	v_cvt_f16_f32_e32 v2, v77
	s_delay_alu instid0(VALU_DEP_3) | instskip(NEXT) | instid1(VALU_DEP_4)
	v_cvt_f16_f32_e32 v3, v78
	v_cvt_f16_f32_e32 v4, v79
	;; [unrolled: 1-line block ×6, first 2 shown]
	v_pack_b32_f16 v1, v1, v2
	v_pack_b32_f16 v2, v3, v4
	;; [unrolled: 1-line block ×3, first 2 shown]
	s_delay_alu instid0(VALU_DEP_4)
	v_pack_b32_f16 v4, v7, v8
	ds_store_b128 v74, v[1:4]
	s_waitcnt lgkmcnt(0)
	s_barrier
	buffer_gl0_inv
	ds_load_b128 v[1:4], v75
	ds_load_b128 v[5:8], v75 offset:16
	s_waitcnt lgkmcnt(1)
	v_lshrrev_b32_e32 v9, 16, v1
	s_waitcnt lgkmcnt(0)
	v_lshrrev_b32_e32 v13, 16, v5
	v_lshrrev_b32_e32 v10, 16, v2
	;; [unrolled: 1-line block ×4, first 2 shown]
	v_cndmask_b32_e32 v17, v1, v9, vcc_lo
	v_cndmask_b32_e32 v18, v5, v13, vcc_lo
	v_cndmask_b32_e64 v21, v1, v9, s5
	v_cmp_eq_u32_e32 vcc_lo, 1, v71
	v_cndmask_b32_e64 v22, v5, v13, s5
	v_cmp_eq_u32_e64 s5, 2, v70
	v_cndmask_b32_e64 v19, v1, v9, s4
	v_cndmask_b32_e64 v20, v5, v13, s4
	v_cndmask_b32_e32 v1, v1, v9, vcc_lo
	v_cmp_eq_u32_e64 s4, 2, v71
	v_cndmask_b32_e32 v5, v5, v13, vcc_lo
	v_cndmask_b32_e64 v9, v17, v2, s5
	v_cmp_eq_u32_e32 vcc_lo, 3, v70
	v_cndmask_b32_e64 v13, v18, v6, s5
	v_cmp_eq_u32_e64 s5, 2, v69
	v_cndmask_b32_e64 v17, v19, v2, s6
	v_cndmask_b32_e64 v18, v20, v6, s6
	v_cmp_eq_u32_e64 s6, 3, v69
	v_cndmask_b32_e64 v1, v1, v2, s4
	v_cndmask_b32_e64 v19, v21, v2, s5
	;; [unrolled: 1-line block ×4, first 2 shown]
	v_cndmask_b32_e32 v5, v9, v10, vcc_lo
	v_cndmask_b32_e32 v6, v13, v14, vcc_lo
	v_cmp_eq_u32_e32 vcc_lo, 3, v71
	v_cndmask_b32_e64 v9, v17, v10, s7
	v_cndmask_b32_e64 v13, v18, v14, s7
	;; [unrolled: 1-line block ×3, first 2 shown]
	v_cmp_eq_u32_e64 s5, 4, v70
	v_cndmask_b32_e32 v1, v1, v10, vcc_lo
	v_cndmask_b32_e32 v2, v2, v14, vcc_lo
	v_cmp_eq_u32_e32 vcc_lo, 4, v72
	v_lshrrev_b32_e32 v15, 16, v7
	v_lshrrev_b32_e32 v16, 16, v8
	v_cndmask_b32_e64 v17, v19, v10, s6
	v_cmp_eq_u32_e64 s4, 4, v71
	v_cndmask_b32_e64 v5, v5, v3, s5
	v_cndmask_b32_e64 v6, v6, v7, s5
	v_cndmask_b32_e32 v9, v9, v3, vcc_lo
	v_cmp_eq_u32_e64 s5, 5, v72
	v_cndmask_b32_e32 v10, v13, v7, vcc_lo
	v_cmp_eq_u32_e32 vcc_lo, 4, v69
	v_cmp_eq_u32_e64 s6, 5, v70
	v_cndmask_b32_e64 v2, v2, v7, s4
	v_cndmask_b32_e64 v9, v9, v11, s5
	v_cndmask_b32_e64 v10, v10, v15, s5
	v_cndmask_b32_e32 v13, v17, v3, vcc_lo
	v_cmp_eq_u32_e64 s5, 5, v69
	v_cndmask_b32_e32 v14, v18, v7, vcc_lo
	v_cndmask_b32_e64 v1, v1, v3, s4
	v_cmp_eq_u32_e32 vcc_lo, 5, v71
	v_lshrrev_b32_e32 v12, 16, v4
	v_cndmask_b32_e64 v13, v13, v11, s5
	v_cndmask_b32_e64 v3, v14, v15, s5
	v_cmp_eq_u32_e64 s5, 6, v71
	v_cndmask_b32_e32 v1, v1, v11, vcc_lo
	v_cndmask_b32_e64 v5, v5, v11, s6
	v_cmp_eq_u32_e64 s7, 6, v70
	v_cndmask_b32_e64 v6, v6, v15, s6
	v_cmp_eq_u32_e64 s6, 6, v72
	v_cmp_eq_u32_e64 s4, 6, v69
	v_cndmask_b32_e64 v1, v1, v4, s5
	v_cndmask_b32_e32 v2, v2, v15, vcc_lo
	v_cmp_eq_u32_e32 vcc_lo, 7, v71
	v_cndmask_b32_e64 v5, v5, v4, s7
	v_cndmask_b32_e64 v9, v9, v4, s6
	;; [unrolled: 1-line block ×3, first 2 shown]
	v_cmp_eq_u32_e64 s7, 7, v70
	v_cndmask_b32_e32 v1, v1, v12, vcc_lo
	v_cndmask_b32_e64 v7, v13, v4, s4
	v_cndmask_b32_e64 v3, v3, v8, s4
	;; [unrolled: 1-line block ×3, first 2 shown]
	v_cmp_eq_u32_e64 s4, 7, v69
	v_cndmask_b32_e64 v4, v10, v8, s6
	v_cndmask_b32_e64 v5, v5, v12, s7
	;; [unrolled: 1-line block ×3, first 2 shown]
	v_cndmask_b32_e32 v2, v2, v16, vcc_lo
	v_cndmask_b32_e64 v7, v7, v12, s4
	v_cndmask_b32_e64 v3, v3, v16, s4
	;; [unrolled: 1-line block ×4, first 2 shown]
	v_cmp_gt_u32_e32 vcc_lo, 32, v0
	v_perm_b32 v4, v2, v1, 0x5040100
	v_perm_b32 v3, v3, v7, 0x5040100
	;; [unrolled: 1-line block ×4, first 2 shown]
	s_and_b32 s2, vcc_lo, s2
	ds_store_b128 v74, v[1:4]
	s_waitcnt lgkmcnt(0)
	s_barrier
	buffer_gl0_inv
	s_and_saveexec_b32 s4, s2
	s_cbranch_execz .LBB1104_2
; %bb.15:
	s_load_b64 s[4:5], s[0:1], 0x68
	v_lshlrev_b32_e32 v0, 10, v0
	v_lshlrev_b32_e32 v2, 4, v67
	v_add_nc_u32_e32 v1, s33, v66
	s_lshl_b32 s0, s36, 6
	s_delay_alu instid0(SALU_CYCLE_1) | instskip(NEXT) | instid1(VALU_DEP_2)
	s_mul_i32 s1, s0, s34
	v_and_or_b32 v0, 0x3800, v0, v2
	s_mul_i32 s6, s1, s9
	v_mul_lo_u32 v1, v1, s0
	s_ashr_i32 s7, s6, 31
	s_delay_alu instid0(VALU_DEP_2) | instskip(SKIP_1) | instid1(VALU_DEP_2)
	v_lshl_or_b32 v3, v66, 6, v0
	s_lshl_b64 s[6:7], s[6:7], 1
	v_ashrrev_i32_e32 v2, 31, v1
	ds_load_b128 v[3:6], v3
	s_waitcnt lgkmcnt(0)
	s_add_u32 s1, s4, s6
	s_addc_u32 s2, s5, s7
	s_lshl_b32 s4, s14, 6
	v_lshlrev_b64 v[7:8], 1, v[1:2]
	s_ashr_i32 s5, s4, 31
	s_delay_alu instid0(SALU_CYCLE_1) | instskip(NEXT) | instid1(SALU_CYCLE_1)
	s_lshl_b64 s[4:5], s[4:5], 1
	s_add_u32 s1, s1, s4
	s_addc_u32 s2, s2, s5
	v_add_co_u32 v1, s1, s1, v65
	s_delay_alu instid0(VALU_DEP_1) | instskip(NEXT) | instid1(VALU_DEP_2)
	v_add_co_ci_u32_e64 v2, null, s2, 0, s1
	v_add_co_u32 v7, vcc_lo, v1, v7
	s_delay_alu instid0(VALU_DEP_2)
	v_add_co_ci_u32_e32 v8, vcc_lo, v2, v8, vcc_lo
	global_store_b128 v[7:8], v[3:6], off
	s_and_b32 exec_lo, exec_lo, s3
	s_cbranch_execz .LBB1104_2
; %bb.16:
	ds_load_b128 v[3:6], v0 offset:128
	s_add_i32 s1, s33, 2
	s_delay_alu instid0(SALU_CYCLE_1) | instskip(NEXT) | instid1(SALU_CYCLE_1)
	s_mul_i32 s0, s1, s0
	s_ashr_i32 s1, s0, 31
	s_delay_alu instid0(SALU_CYCLE_1) | instskip(NEXT) | instid1(SALU_CYCLE_1)
	s_lshl_b64 s[0:1], s[0:1], 1
	v_add_co_u32 v0, vcc_lo, v1, s0
	v_add_co_ci_u32_e32 v1, vcc_lo, s1, v2, vcc_lo
	s_waitcnt lgkmcnt(0)
	global_store_b128 v[0:1], v[3:6], off
	s_nop 0
	s_sendmsg sendmsg(MSG_DEALLOC_VGPRS)
	s_endpgm
	.section	.rodata,"a",@progbits
	.p2align	6, 0x0
	.amdhsa_kernel _Z39paged_attention_ll4mi_QKV_mfma16_kernelIDF16_hLN4vllm18Fp8KVCacheDataTypeE1EhLi16ELi64ELi256ELb1ELi3EL8MFMAType0EEvPKT_PKT0_S8_ifPKiSA_SA_iPKfiiiPfSD_PS3_PT2_iSC_SC_
		.amdhsa_group_segment_fixed_size 17472
		.amdhsa_private_segment_fixed_size 0
		.amdhsa_kernarg_size 400
		.amdhsa_user_sgpr_count 13
		.amdhsa_user_sgpr_dispatch_ptr 0
		.amdhsa_user_sgpr_queue_ptr 0
		.amdhsa_user_sgpr_kernarg_segment_ptr 1
		.amdhsa_user_sgpr_dispatch_id 0
		.amdhsa_user_sgpr_private_segment_size 0
		.amdhsa_wavefront_size32 1
		.amdhsa_uses_dynamic_stack 0
		.amdhsa_enable_private_segment 0
		.amdhsa_system_sgpr_workgroup_id_x 1
		.amdhsa_system_sgpr_workgroup_id_y 1
		.amdhsa_system_sgpr_workgroup_id_z 1
		.amdhsa_system_sgpr_workgroup_info 0
		.amdhsa_system_vgpr_workitem_id 0
		.amdhsa_next_free_vgpr 146
		.amdhsa_next_free_sgpr 37
		.amdhsa_reserve_vcc 1
		.amdhsa_float_round_mode_32 0
		.amdhsa_float_round_mode_16_64 0
		.amdhsa_float_denorm_mode_32 3
		.amdhsa_float_denorm_mode_16_64 3
		.amdhsa_dx10_clamp 1
		.amdhsa_ieee_mode 1
		.amdhsa_fp16_overflow 0
		.amdhsa_workgroup_processor_mode 1
		.amdhsa_memory_ordered 1
		.amdhsa_forward_progress 0
		.amdhsa_shared_vgpr_count 0
		.amdhsa_exception_fp_ieee_invalid_op 0
		.amdhsa_exception_fp_denorm_src 0
		.amdhsa_exception_fp_ieee_div_zero 0
		.amdhsa_exception_fp_ieee_overflow 0
		.amdhsa_exception_fp_ieee_underflow 0
		.amdhsa_exception_fp_ieee_inexact 0
		.amdhsa_exception_int_div_zero 0
	.end_amdhsa_kernel
	.section	.text._Z39paged_attention_ll4mi_QKV_mfma16_kernelIDF16_hLN4vllm18Fp8KVCacheDataTypeE1EhLi16ELi64ELi256ELb1ELi3EL8MFMAType0EEvPKT_PKT0_S8_ifPKiSA_SA_iPKfiiiPfSD_PS3_PT2_iSC_SC_,"axG",@progbits,_Z39paged_attention_ll4mi_QKV_mfma16_kernelIDF16_hLN4vllm18Fp8KVCacheDataTypeE1EhLi16ELi64ELi256ELb1ELi3EL8MFMAType0EEvPKT_PKT0_S8_ifPKiSA_SA_iPKfiiiPfSD_PS3_PT2_iSC_SC_,comdat
.Lfunc_end1104:
	.size	_Z39paged_attention_ll4mi_QKV_mfma16_kernelIDF16_hLN4vllm18Fp8KVCacheDataTypeE1EhLi16ELi64ELi256ELb1ELi3EL8MFMAType0EEvPKT_PKT0_S8_ifPKiSA_SA_iPKfiiiPfSD_PS3_PT2_iSC_SC_, .Lfunc_end1104-_Z39paged_attention_ll4mi_QKV_mfma16_kernelIDF16_hLN4vllm18Fp8KVCacheDataTypeE1EhLi16ELi64ELi256ELb1ELi3EL8MFMAType0EEvPKT_PKT0_S8_ifPKiSA_SA_iPKfiiiPfSD_PS3_PT2_iSC_SC_
                                        ; -- End function
	.section	.AMDGPU.csdata,"",@progbits
; Kernel info:
; codeLenInByte = 6428
; NumSgprs: 39
; NumVgprs: 146
; ScratchSize: 0
; MemoryBound: 0
; FloatMode: 240
; IeeeMode: 1
; LDSByteSize: 17472 bytes/workgroup (compile time only)
; SGPRBlocks: 4
; VGPRBlocks: 18
; NumSGPRsForWavesPerEU: 39
; NumVGPRsForWavesPerEU: 146
; Occupancy: 9
; WaveLimiterHint : 1
; COMPUTE_PGM_RSRC2:SCRATCH_EN: 0
; COMPUTE_PGM_RSRC2:USER_SGPR: 13
; COMPUTE_PGM_RSRC2:TRAP_HANDLER: 0
; COMPUTE_PGM_RSRC2:TGID_X_EN: 1
; COMPUTE_PGM_RSRC2:TGID_Y_EN: 1
; COMPUTE_PGM_RSRC2:TGID_Z_EN: 1
; COMPUTE_PGM_RSRC2:TIDIG_COMP_CNT: 0
	.section	.text._Z39paged_attention_ll4mi_QKV_mfma16_kernelIDF16_hLN4vllm18Fp8KVCacheDataTypeE1EhLi16ELi64ELi256ELb1ELi4EL8MFMAType0EEvPKT_PKT0_S8_ifPKiSA_SA_iPKfiiiPfSD_PS3_PT2_iSC_SC_,"axG",@progbits,_Z39paged_attention_ll4mi_QKV_mfma16_kernelIDF16_hLN4vllm18Fp8KVCacheDataTypeE1EhLi16ELi64ELi256ELb1ELi4EL8MFMAType0EEvPKT_PKT0_S8_ifPKiSA_SA_iPKfiiiPfSD_PS3_PT2_iSC_SC_,comdat
	.protected	_Z39paged_attention_ll4mi_QKV_mfma16_kernelIDF16_hLN4vllm18Fp8KVCacheDataTypeE1EhLi16ELi64ELi256ELb1ELi4EL8MFMAType0EEvPKT_PKT0_S8_ifPKiSA_SA_iPKfiiiPfSD_PS3_PT2_iSC_SC_ ; -- Begin function _Z39paged_attention_ll4mi_QKV_mfma16_kernelIDF16_hLN4vllm18Fp8KVCacheDataTypeE1EhLi16ELi64ELi256ELb1ELi4EL8MFMAType0EEvPKT_PKT0_S8_ifPKiSA_SA_iPKfiiiPfSD_PS3_PT2_iSC_SC_
	.globl	_Z39paged_attention_ll4mi_QKV_mfma16_kernelIDF16_hLN4vllm18Fp8KVCacheDataTypeE1EhLi16ELi64ELi256ELb1ELi4EL8MFMAType0EEvPKT_PKT0_S8_ifPKiSA_SA_iPKfiiiPfSD_PS3_PT2_iSC_SC_
	.p2align	8
	.type	_Z39paged_attention_ll4mi_QKV_mfma16_kernelIDF16_hLN4vllm18Fp8KVCacheDataTypeE1EhLi16ELi64ELi256ELb1ELi4EL8MFMAType0EEvPKT_PKT0_S8_ifPKiSA_SA_iPKfiiiPfSD_PS3_PT2_iSC_SC_,@function
_Z39paged_attention_ll4mi_QKV_mfma16_kernelIDF16_hLN4vllm18Fp8KVCacheDataTypeE1EhLi16ELi64ELi256ELb1ELi4EL8MFMAType0EEvPKT_PKT0_S8_ifPKiSA_SA_iPKfiiiPfSD_PS3_PT2_iSC_SC_: ; @_Z39paged_attention_ll4mi_QKV_mfma16_kernelIDF16_hLN4vllm18Fp8KVCacheDataTypeE1EhLi16ELi64ELi256ELb1ELi4EL8MFMAType0EEvPKT_PKT0_S8_ifPKiSA_SA_iPKfiiiPfSD_PS3_PT2_iSC_SC_
; %bb.0:
	s_load_b64 s[2:3], s[0:1], 0x30
	s_mov_b32 s34, s13
	s_waitcnt lgkmcnt(0)
	s_cmp_lg_u64 s[2:3], 0
	s_cselect_b32 s8, -1, 0
	s_ashr_i32 s35, s13, 31
	s_cmp_eq_u64 s[2:3], 0
	s_cbranch_scc1 .LBB1105_3
; %bb.1:
	s_lshl_b64 s[4:5], s[34:35], 2
	s_delay_alu instid0(SALU_CYCLE_1) | instskip(SKIP_4) | instid1(SALU_CYCLE_1)
	s_add_u32 s4, s2, s4
	s_addc_u32 s5, s3, s5
	s_load_b64 s[4:5], s[4:5], 0x0
	s_waitcnt lgkmcnt(0)
	s_sub_i32 s4, s5, s4
	s_cmp_eq_u32 s4, 1
	s_cselect_b32 s4, -1, 0
	s_delay_alu instid0(SALU_CYCLE_1)
	s_and_not1_b32 vcc_lo, exec_lo, s4
	s_cbranch_vccz .LBB1105_4
.LBB1105_2:
	s_endpgm
.LBB1105_3:
.LBB1105_4:
	s_load_b64 s[4:5], s[0:1], 0x28
	s_lshl_b64 s[6:7], s[34:35], 2
	s_waitcnt lgkmcnt(0)
	s_add_u32 s4, s4, s6
	s_addc_u32 s5, s5, s7
	s_lshl_b32 s12, s14, 8
	s_load_b32 s24, s[4:5], 0x0
	s_waitcnt lgkmcnt(0)
	s_cmp_ge_i32 s12, s24
	s_cbranch_scc1 .LBB1105_2
; %bb.5:
	s_clause 0x1
	s_load_b128 s[20:23], s[0:1], 0x8
	s_load_b64 s[4:5], s[0:1], 0x20
	s_and_not1_b32 vcc_lo, exec_lo, s8
	s_cbranch_vccnz .LBB1105_7
; %bb.6:
	s_add_u32 s2, s2, s6
	s_addc_u32 s3, s3, s7
	s_load_b32 s3, s[2:3], 0x0
	s_branch .LBB1105_8
.LBB1105_7:
	s_mov_b32 s3, s34
.LBB1105_8:
	s_load_b128 s[16:19], s[0:1], 0x48
	v_and_b32_e32 v69, 15, v0
	v_cmp_gt_u32_e32 vcc_lo, 64, v0
	v_lshrrev_b32_e32 v68, 5, v0
	v_and_b32_e32 v70, 31, v0
	v_and_b32_e32 v66, 1, v0
	v_lshlrev_b32_e32 v1, 3, v69
	v_cmp_gt_u32_e64 s2, 8, v69
	v_bfe_u32 v67, v0, 4, 1
	s_lshl_b32 s31, s15, 2
	s_delay_alu instid0(VALU_DEP_3) | instskip(NEXT) | instid1(VALU_DEP_3)
	v_lshlrev_b32_e32 v65, 1, v1
	s_and_b32 s7, vcc_lo, s2
	s_delay_alu instid0(SALU_CYCLE_1)
	s_and_saveexec_b32 s6, s7
	s_cbranch_execz .LBB1105_10
; %bb.9:
	v_lshl_or_b32 v5, v68, 1, v67
	s_load_b64 s[8:9], s[0:1], 0x0
	s_waitcnt lgkmcnt(0)
	s_mul_hi_i32 s11, s3, s16
	s_mul_i32 s10, s3, s16
	v_lshlrev_b32_e32 v6, 10, v69
	v_or_b32_e32 v1, s31, v5
	s_lshl_b64 s[10:11], s[10:11], 1
	v_lshlrev_b32_e32 v5, 6, v5
	v_lshlrev_b32_e32 v7, 10, v66
	v_and_b32_e32 v6, 0x3800, v6
	v_lshlrev_b32_e32 v1, 6, v1
	s_delay_alu instid0(VALU_DEP_2) | instskip(NEXT) | instid1(VALU_DEP_2)
	v_or3_b32 v5, v6, v7, v5
	v_ashrrev_i32_e32 v2, 31, v1
	s_delay_alu instid0(VALU_DEP_1) | instskip(SKIP_2) | instid1(VALU_DEP_1)
	v_lshlrev_b64 v[1:2], 1, v[1:2]
	s_add_u32 s3, s8, s10
	s_addc_u32 s7, s9, s11
	v_add_co_u32 v1, vcc_lo, s3, v1
	s_delay_alu instid0(VALU_DEP_2) | instskip(NEXT) | instid1(VALU_DEP_2)
	v_add_co_ci_u32_e32 v2, vcc_lo, s7, v2, vcc_lo
	v_add_co_u32 v1, vcc_lo, v1, v65
	s_delay_alu instid0(VALU_DEP_2)
	v_add_co_ci_u32_e32 v2, vcc_lo, 0, v2, vcc_lo
	global_load_b128 v[1:4], v[1:2], off
	s_waitcnt vmcnt(0)
	ds_store_b128 v5, v[1:4]
.LBB1105_10:
	s_or_b32 exec_lo, exec_lo, s6
	v_and_b32_e32 v1, 0xef, v0
	s_waitcnt lgkmcnt(0)
	s_add_i32 s3, s24, 15
	s_clause 0x1
	s_load_b32 s6, s[0:1], 0x38
	s_load_b32 s33, s[0:1], 0x98
	s_ashr_i32 s7, s3, 31
	v_add_nc_u32_e32 v1, s12, v1
	s_lshr_b32 s7, s7, 28
	s_load_b32 s19, s[0:1], 0x1c
	s_add_i32 s3, s3, s7
	s_waitcnt lgkmcnt(0)
	v_ashrrev_i32_e32 v2, 31, v1
	v_or_b32_e32 v3, 16, v1
	s_ashr_i32 s3, s3, 4
	v_cmp_gt_i32_e32 vcc_lo, s24, v1
	s_add_i32 s3, s3, -1
	v_lshrrev_b32_e32 v2, 28, v2
	s_barrier
	buffer_gl0_inv
	s_mul_i32 s27, s15, s18
	v_add_nc_u32_e32 v4, v1, v2
	s_mul_i32 s6, s34, s6
	s_delay_alu instid0(SALU_CYCLE_1) | instskip(NEXT) | instid1(VALU_DEP_1)
	s_ashr_i32 s7, s6, 31
	v_ashrrev_i32_e32 v4, 4, v4
	v_add_nc_u32_e32 v2, v3, v2
	s_lshl_b64 s[6:7], s[6:7], 2
	s_delay_alu instid0(SALU_CYCLE_1) | instskip(NEXT) | instid1(VALU_DEP_2)
	s_add_u32 s26, s4, s6
	v_cndmask_b32_e32 v1, s3, v4, vcc_lo
	s_delay_alu instid0(VALU_DEP_2)
	v_ashrrev_i32_e32 v2, 4, v2
	v_cmp_gt_i32_e32 vcc_lo, s24, v3
	s_addc_u32 s25, s5, s7
	s_ashr_i32 s28, s27, 31
	s_add_u32 s13, s20, s27
	s_addc_u32 s15, s21, s28
	v_cndmask_b32_e32 v3, s3, v2, vcc_lo
	v_ashrrev_i32_e32 v2, 31, v1
	s_lshl_b32 s4, s14, 4
	s_delay_alu instid0(SALU_CYCLE_1) | instskip(NEXT) | instid1(VALU_DEP_2)
	s_ashr_i32 s5, s4, 31
	v_ashrrev_i32_e32 v4, 31, v3
	s_delay_alu instid0(VALU_DEP_2) | instskip(SKIP_1) | instid1(SALU_CYCLE_1)
	v_lshlrev_b64 v[1:2], 2, v[1:2]
	s_lshl_b64 s[4:5], s[4:5], 2
	s_add_u32 s4, s26, s4
	s_delay_alu instid0(VALU_DEP_2) | instskip(SKIP_1) | instid1(VALU_DEP_2)
	v_lshlrev_b64 v[3:4], 2, v[3:4]
	s_addc_u32 s5, s25, s5
	v_add_co_u32 v1, vcc_lo, s26, v1
	v_add_co_ci_u32_e32 v2, vcc_lo, s25, v2, vcc_lo
	s_delay_alu instid0(VALU_DEP_3) | instskip(NEXT) | instid1(VALU_DEP_4)
	v_add_co_u32 v3, vcc_lo, s26, v3
	v_add_co_ci_u32_e32 v4, vcc_lo, s25, v4, vcc_lo
	s_clause 0x1
	global_load_b32 v5, v[1:2], off
	global_load_b32 v7, v[3:4], off
	s_or_b32 s6, s12, 32
	v_lshlrev_b32_e32 v1, 4, v0
	s_ashr_i32 s7, s6, 4
	s_cmp_lt_i32 s6, s24
	s_cselect_b32 s6, s7, s3
	s_delay_alu instid0(VALU_DEP_1) | instskip(SKIP_1) | instid1(SALU_CYCLE_1)
	v_and_b32_e32 v1, 0xf0, v1
	s_ashr_i32 s7, s6, 31
	s_lshl_b64 s[6:7], s[6:7], 2
	s_delay_alu instid0(SALU_CYCLE_1)
	s_add_u32 s6, s26, s6
	s_addc_u32 s7, s25, s7
	s_or_b32 s8, s12, 64
	v_add_co_u32 v1, s13, s13, v1
	s_ashr_i32 s9, s8, 4
	s_cmp_lt_i32 s8, s24
	v_add_co_ci_u32_e64 v2, null, s15, 0, s13
	s_cselect_b32 s8, s9, s3
	s_delay_alu instid0(SALU_CYCLE_1) | instskip(NEXT) | instid1(SALU_CYCLE_1)
	s_ashr_i32 s9, s8, 31
	s_lshl_b64 s[8:9], s[8:9], 2
	s_delay_alu instid0(SALU_CYCLE_1) | instskip(SKIP_2) | instid1(SALU_CYCLE_1)
	s_add_u32 s8, s26, s8
	s_addc_u32 s9, s25, s9
	s_or_b32 s10, s12, 0x60
	s_ashr_i32 s11, s10, 4
	s_cmp_lt_i32 s10, s24
	s_cselect_b32 s10, s11, s3
	s_delay_alu instid0(SALU_CYCLE_1) | instskip(NEXT) | instid1(SALU_CYCLE_1)
	s_ashr_i32 s11, s10, 31
	s_lshl_b64 s[10:11], s[10:11], 2
	s_delay_alu instid0(SALU_CYCLE_1) | instskip(SKIP_2) | instid1(SALU_CYCLE_1)
	s_add_u32 s10, s26, s10
	s_addc_u32 s11, s25, s11
	s_or_b32 s16, s12, 0x80
	s_ashr_i32 s18, s16, 4
	s_cmp_lt_i32 s16, s24
	;; [unrolled: 10-line block ×3, first 2 shown]
	s_cselect_b32 s20, s18, s3
	s_delay_alu instid0(SALU_CYCLE_1) | instskip(NEXT) | instid1(SALU_CYCLE_1)
	s_ashr_i32 s21, s20, 31
	s_lshl_b64 s[20:21], s[20:21], 2
	s_delay_alu instid0(SALU_CYCLE_1)
	s_add_u32 s38, s26, s20
	s_addc_u32 s39, s25, s21
	s_clause 0x5
	s_load_b32 s21, s[4:5], 0x0
	s_load_b32 s13, s[6:7], 0x0
	;; [unrolled: 1-line block ×6, first 2 shown]
	s_or_b32 s7, s12, 0xc0
	s_mov_b32 s4, 0
	s_ashr_i32 s8, s7, 4
	s_cmp_lt_i32 s7, s24
	s_mov_b32 s5, s4
	s_cselect_b32 s10, s8, s3
	s_mov_b32 s6, s4
	s_ashr_i32 s11, s10, 31
	s_mov_b32 s7, s4
	s_lshl_b64 s[36:37], s[10:11], 2
	s_mov_b32 s11, s4
	s_add_u32 s36, s26, s36
	s_addc_u32 s37, s25, s37
	s_or_b32 s29, s12, 0xe0
	s_mov_b32 s8, s4
	s_ashr_i32 s30, s29, 4
	s_mov_b32 s9, s4
	s_mov_b32 s10, s4
	s_cmp_lt_i32 s29, s24
	v_mov_b32_e32 v102, s11
	v_dual_mov_b32 v96, s5 :: v_dual_mov_b32 v101, s10
	v_dual_mov_b32 v100, s9 :: v_dual_mov_b32 v99, s8
	;; [unrolled: 1-line block ×3, first 2 shown]
	v_mov_b32_e32 v95, s4
	s_cselect_b32 s4, s30, s3
	s_delay_alu instid0(SALU_CYCLE_1) | instskip(NEXT) | instid1(SALU_CYCLE_1)
	s_ashr_i32 s5, s4, 31
	s_lshl_b64 s[4:5], s[4:5], 2
	s_delay_alu instid0(SALU_CYCLE_1)
	s_add_u32 s4, s26, s4
	s_addc_u32 s5, s25, s5
	s_add_u32 s6, s22, s27
	s_addc_u32 s7, s23, s28
	s_waitcnt vmcnt(1)
	v_mad_i64_i32 v[3:4], null, v5, s17, v[1:2]
	s_waitcnt vmcnt(0)
	v_mad_i64_i32 v[5:6], null, v7, s17, v[1:2]
	v_and_b32_e32 v1, 3, v0
	v_lshlrev_b32_e32 v2, 4, v69
	s_clause 0x7
	global_load_b128 v[57:60], v[3:4], off
	global_load_b128 v[61:64], v[3:4], off offset:256
	global_load_b128 v[71:74], v[5:6], off
	global_load_b128 v[75:78], v[5:6], off offset:256
	global_load_b128 v[79:82], v[3:4], off offset:512
	;; [unrolled: 1-line block ×5, first 2 shown]
	v_lshlrev_b32_e32 v121, 6, v1
	v_lshl_or_b32 v1, v68, 8, v2
	s_load_b32 s3, s[36:37], 0x0
	ds_load_b128 v[103:106], v121
	ds_load_b128 v[107:110], v121 offset:1024
	s_load_b32 s4, s[4:5], 0x0
	v_add_co_u32 v17, s6, s6, v1
	s_delay_alu instid0(VALU_DEP_1) | instskip(SKIP_1) | instid1(VALU_DEP_1)
	v_add_co_ci_u32_e64 v18, null, s7, 0, s6
	s_waitcnt lgkmcnt(0)
	v_mad_i64_i32 v[1:2], null, s21, s17, v[17:18]
	v_mad_i64_i32 v[3:4], null, s13, s17, v[17:18]
	;; [unrolled: 1-line block ×7, first 2 shown]
	s_clause 0x9
	global_load_b128 v[49:52], v[1:2], off
	global_load_b128 v[53:56], v[1:2], off offset:16
	global_load_b128 v[41:44], v[3:4], off
	global_load_b128 v[45:48], v[3:4], off offset:16
	;; [unrolled: 2-line block ×5, first 2 shown]
	v_mad_i64_i32 v[119:120], null, s4, s17, v[17:18]
	s_clause 0x3
	global_load_b128 v[17:20], v[21:22], off
	global_load_b128 v[21:24], v[21:22], off offset:16
	global_load_b128 v[25:28], v[29:30], off
	global_load_b128 v[29:32], v[29:30], off offset:16
	s_waitcnt vmcnt(20)
	v_wmma_f32_16x16x16_f16 v[111:118], v[57:64], v[103:110], v[95:102]
	s_clause 0x1
	global_load_b128 v[57:60], v[119:120], off
	global_load_b128 v[61:64], v[119:120], off offset:16
	s_waitcnt vmcnt(20)
	v_wmma_f32_16x16x16_f16 v[95:102], v[71:78], v[103:110], v[95:102]
	ds_load_b128 v[71:74], v121 offset:2048
	ds_load_b128 v[75:78], v121 offset:3072
	v_mbcnt_lo_u32_b32 v104, -1, 0
	s_waitcnt vmcnt(0) lgkmcnt(0)
	s_barrier
	buffer_gl0_inv
	v_xor_b32_e32 v105, 16, v104
	s_delay_alu instid0(VALU_DEP_1) | instskip(SKIP_4) | instid1(VALU_DEP_2)
	v_cmp_gt_i32_e32 vcc_lo, 32, v105
	v_cndmask_b32_e32 v104, v104, v105, vcc_lo
	v_wmma_f32_16x16x16_f16 v[95:102], v[87:94], v[71:78], v[95:102]
	v_and_b32_e32 v103, 0xe0, v0
	v_wmma_f32_16x16x16_f16 v[111:118], v[79:86], v[71:78], v[111:118]
	v_dual_mul_f32 v90, s19, v101 :: v_dual_add_nc_u32 v103, s12, v103
	s_delay_alu instid0(VALU_DEP_2) | instskip(NEXT) | instid1(VALU_DEP_3)
	v_dual_mul_f32 v94, s19, v97 :: v_dual_mul_f32 v87, s19, v112
	v_dual_mul_f32 v88, s19, v111 :: v_dual_mul_f32 v77, s19, v114
	s_delay_alu instid0(VALU_DEP_3) | instskip(SKIP_3) | instid1(VALU_DEP_4)
	v_or_b32_e32 v103, v103, v67
	v_dual_mul_f32 v78, s19, v113 :: v_dual_mul_f32 v75, s19, v116
	v_dual_mul_f32 v76, s19, v115 :: v_dual_mul_f32 v73, s19, v118
	v_mul_f32_e32 v92, s19, v99
	v_or_b32_e32 v105, 2, v103
	v_or_b32_e32 v106, 4, v103
	v_or_b32_e32 v107, 6, v103
	v_cmp_gt_i32_e64 s3, s24, v103
	v_or_b32_e32 v108, 8, v103
	v_cmp_gt_i32_e32 vcc_lo, s24, v105
	v_or_b32_e32 v109, 10, v103
	v_cmp_gt_i32_e64 s4, s24, v106
	v_cndmask_b32_e64 v88, 0xff7fffff, v88, s3
	v_cmp_gt_i32_e64 s5, s24, v107
	v_cndmask_b32_e32 v87, 0xff7fffff, v87, vcc_lo
	v_or_b32_e32 v79, 12, v103
	v_or_b32_e32 v80, 14, v103
	v_cndmask_b32_e64 v78, 0xff7fffff, v78, s4
	v_cndmask_b32_e64 v77, 0xff7fffff, v77, s5
	v_max3_f32 v87, v88, 0xff7fffff, v87
	v_cmp_gt_i32_e64 s6, s24, v108
	v_cmp_gt_i32_e64 s7, s24, v109
	v_or_b32_e32 v81, 16, v103
	v_or_b32_e32 v82, 18, v103
	v_mul_f32_e32 v74, s19, v117
	v_cndmask_b32_e64 v76, 0xff7fffff, v76, s6
	v_cndmask_b32_e64 v75, 0xff7fffff, v75, s7
	v_max3_f32 v77, v87, v78, v77
	v_cmp_gt_i32_e64 s8, s24, v79
	v_cmp_gt_i32_e64 s9, s24, v80
	v_or_b32_e32 v83, 20, v103
	v_or_b32_e32 v84, 22, v103
	;; [unrolled: 1-line block ×6, first 2 shown]
	v_mul_f32_e32 v105, s19, v96
	v_mul_f32_e32 v103, s19, v95
	v_cndmask_b32_e64 v74, 0xff7fffff, v74, s8
	v_cndmask_b32_e64 v73, 0xff7fffff, v73, s9
	v_max3_f32 v75, v77, v76, v75
	v_cmp_gt_i32_e64 s10, s24, v81
	v_cmp_gt_i32_e64 s11, s24, v82
	v_mul_f32_e32 v93, s19, v98
	v_cmp_gt_i32_e64 s12, s24, v83
	v_max3_f32 v73, v75, v74, v73
	v_cndmask_b32_e64 v76, 0xff7fffff, v103, s10
	v_cndmask_b32_e64 v77, 0xff7fffff, v105, s11
	v_cmp_gt_i32_e64 s13, s24, v84
	v_mul_f32_e32 v91, s19, v100
	v_cndmask_b32_e64 v74, 0xff7fffff, v94, s12
	v_cmp_gt_i32_e64 s15, s24, v85
	v_max3_f32 v73, v73, v76, v77
	v_cndmask_b32_e64 v75, 0xff7fffff, v93, s13
	v_cmp_gt_i32_e64 s16, s24, v86
	v_mul_f32_e32 v89, s19, v102
	v_cndmask_b32_e64 v76, 0xff7fffff, v92, s15
	v_cmp_gt_i32_e64 s17, s24, v71
	v_max3_f32 v73, v73, v74, v75
	v_cndmask_b32_e64 v77, 0xff7fffff, v91, s16
	v_cmp_gt_i32_e64 s18, s24, v72
	v_lshlrev_b32_e32 v74, 2, v104
	v_cndmask_b32_e64 v71, 0xff7fffff, v90, s17
	s_delay_alu instid0(VALU_DEP_4) | instskip(NEXT) | instid1(VALU_DEP_4)
	v_max3_f32 v73, v73, v76, v77
	v_cndmask_b32_e64 v72, 0xff7fffff, v89, s18
	s_delay_alu instid0(VALU_DEP_1) | instskip(SKIP_3) | instid1(VALU_DEP_1)
	v_max3_f32 v71, v73, v71, v72
	ds_bpermute_b32 v72, v74, v71
	s_waitcnt lgkmcnt(0)
	v_max_f32_e32 v72, v72, v72
	v_max_f32_e32 v71, v71, v72
	s_delay_alu instid0(VALU_DEP_1)
	v_fma_f32 v72, s19, v111, -v71
	v_fma_f32 v76, s19, v114, -v71
	;; [unrolled: 1-line block ×5, first 2 shown]
	v_mul_f32_e32 v72, 0x3fb8aa3b, v72
	v_mul_f32_e32 v76, 0x3fb8aa3b, v76
	v_fma_f32 v75, s19, v113, -v71
	v_mul_f32_e32 v79, 0x3fb8aa3b, v77
	v_mul_f32_e32 v87, 0x3fb8aa3b, v86
	v_exp_f32_e32 v72, v72
	v_exp_f32_e32 v76, v76
	v_fma_f32 v81, s19, v117, -v71
	v_exp_f32_e32 v82, v79
	v_exp_f32_e32 v87, v87
	v_fma_f32 v84, s19, v96, -v71
	s_delay_alu instid0(VALU_DEP_2) | instskip(SKIP_3) | instid1(TRANS32_DEP_3)
	v_mul_f32_e32 v81, 0x3fb8aa3b, v81
	v_cndmask_b32_e64 v78, 0, v72, s3
	v_fma_f32 v72, s19, v116, -v71
	v_mul_f32_e32 v73, 0x3fb8aa3b, v73
	v_cndmask_b32_e64 v79, 0, v76, s5
	v_fma_f32 v76, s19, v95, -v71
	s_delay_alu instid0(VALU_DEP_4) | instskip(NEXT) | instid1(VALU_DEP_4)
	v_dual_mul_f32 v75, 0x3fb8aa3b, v75 :: v_dual_mul_f32 v72, 0x3fb8aa3b, v72
	v_exp_f32_e32 v73, v73
	v_cndmask_b32_e64 v87, 0, v87, s13
	s_delay_alu instid0(VALU_DEP_3) | instskip(NEXT) | instid1(VALU_DEP_3)
	v_mul_f32_e32 v76, 0x3fb8aa3b, v76
	v_exp_f32_e32 v75, v75
	v_exp_f32_e32 v72, v72
	;; [unrolled: 1-line block ×3, first 2 shown]
	v_cndmask_b32_e64 v82, 0, v82, s6
	v_mul_f32_e32 v85, 0x3fb8aa3b, v84
	v_exp_f32_e32 v76, v76
	s_mov_b32 s3, exec_lo
	v_cndmask_b32_e32 v77, 0, v73, vcc_lo
	v_add_f32_e32 v73, 0, v78
	v_exp_f32_e32 v85, v85
	v_cndmask_b32_e64 v80, 0, v75, s4
	v_fma_f32 v75, s19, v118, -v71
	v_cndmask_b32_e64 v81, 0, v72, s7
	v_add_f32_e32 v73, v73, v77
	v_cndmask_b32_e64 v84, 0, v83, s8
	v_cndmask_b32_e64 v86, 0, v76, s10
	v_mul_f32_e32 v75, 0x3fb8aa3b, v75
	s_delay_alu instid0(VALU_DEP_4) | instskip(NEXT) | instid1(TRANS32_DEP_1)
	v_add_f32_e32 v73, v73, v80
	v_cndmask_b32_e64 v85, 0, v85, s11
	s_delay_alu instid0(VALU_DEP_3) | instskip(NEXT) | instid1(VALU_DEP_2)
	v_exp_f32_e32 v75, v75
	v_add_f32_e32 v73, v73, v79
	s_delay_alu instid0(VALU_DEP_1) | instskip(SKIP_3) | instid1(VALU_DEP_1)
	v_add_f32_e32 v72, v73, v82
	s_waitcnt_depctr 0xfff
	v_cndmask_b32_e64 v83, 0, v75, s9
	v_add_f32_e32 v72, v72, v81
	v_add_f32_e32 v72, v72, v84
	s_delay_alu instid0(VALU_DEP_1) | instskip(NEXT) | instid1(VALU_DEP_1)
	v_add_f32_e32 v72, v72, v83
	v_add_f32_e32 v72, v72, v86
	s_delay_alu instid0(VALU_DEP_1) | instskip(SKIP_4) | instid1(VALU_DEP_4)
	v_add_f32_e32 v72, v72, v85
	v_fma_f32 v73, s19, v97, -v71
	v_fma_f32 v75, s19, v99, -v71
	;; [unrolled: 1-line block ×4, first 2 shown]
	v_mul_f32_e32 v73, 0x3fb8aa3b, v73
	s_delay_alu instid0(VALU_DEP_3) | instskip(NEXT) | instid1(VALU_DEP_2)
	v_dual_mul_f32 v75, 0x3fb8aa3b, v75 :: v_dual_mul_f32 v76, 0x3fb8aa3b, v76
	v_exp_f32_e32 v73, v73
	s_delay_alu instid0(VALU_DEP_1) | instskip(NEXT) | instid1(VALU_DEP_1)
	v_exp_f32_e32 v75, v75
	v_exp_f32_e32 v76, v76
	s_delay_alu instid0(TRANS32_DEP_3)
	v_cndmask_b32_e64 v88, 0, v73, s12
	v_mul_f32_e32 v73, 0x3fb8aa3b, v89
	v_fma_f32 v89, s19, v102, -v71
	s_waitcnt_depctr 0xfff
	v_cndmask_b32_e64 v90, 0, v75, s15
	v_add_f32_e32 v72, v72, v88
	v_exp_f32_e32 v73, v73
	v_mul_f32_e32 v75, 0x3fb8aa3b, v89
	v_cndmask_b32_e64 v89, 0, v76, s16
	s_delay_alu instid0(VALU_DEP_3) | instskip(NEXT) | instid1(VALU_DEP_3)
	v_add_f32_e32 v72, v72, v87
	v_exp_f32_e32 v75, v75
	s_delay_alu instid0(VALU_DEP_1) | instskip(SKIP_4) | instid1(VALU_DEP_2)
	v_add_f32_e32 v72, v72, v90
	s_waitcnt_depctr 0xfff
	v_cndmask_b32_e64 v92, 0, v73, s17
	v_add_f32_e32 v72, v72, v89
	v_cndmask_b32_e64 v91, 0, v75, s18
	v_add_f32_e32 v72, v72, v92
	s_delay_alu instid0(VALU_DEP_1)
	v_add_f32_e32 v72, v72, v91
	ds_bpermute_b32 v73, v74, v72
	v_cmpx_gt_u32_e32 16, v70
	s_cbranch_execz .LBB1105_12
; %bb.11:
	v_mul_u32_u24_e32 v70, 0x44, v68
	s_waitcnt lgkmcnt(0)
	v_add_f32_e32 v72, v72, v73
	s_delay_alu instid0(VALU_DEP_2) | instskip(NEXT) | instid1(VALU_DEP_1)
	v_lshl_add_u32 v70, v69, 2, v70
	v_add_nc_u32_e32 v70, 0x4000, v70
	ds_store_2addr_b32 v70, v71, v72 offset1:136
.LBB1105_12:
	s_or_b32 exec_lo, exec_lo, s3
	v_lshlrev_b32_e32 v70, 2, v69
	s_load_b32 s35, s[0:1], 0x94
	s_waitcnt lgkmcnt(0)
	s_barrier
	buffer_gl0_inv
	v_add_nc_u32_e32 v74, 0x4000, v70
	v_cmp_eq_u32_e32 vcc_lo, 1, v68
	v_cmp_eq_u32_e64 s3, 2, v68
	v_cmp_eq_u32_e64 s4, 3, v68
	;; [unrolled: 1-line block ×3, first 2 shown]
	ds_load_2addr_b32 v[70:71], v74 offset1:17
	ds_load_2addr_b32 v[72:73], v74 offset0:34 offset1:51
	ds_load_2addr_b32 v[93:94], v74 offset0:68 offset1:85
	;; [unrolled: 1-line block ×3, first 2 shown]
	v_cmp_eq_u32_e64 s6, 5, v68
	v_cmp_eq_u32_e64 s7, 7, v68
	s_waitcnt lgkmcnt(3)
	v_max3_f32 v75, v70, 0xff7fffff, v71
	s_waitcnt lgkmcnt(2)
	s_delay_alu instid0(VALU_DEP_1) | instskip(SKIP_1) | instid1(VALU_DEP_1)
	v_max3_f32 v75, v75, v72, v73
	s_waitcnt lgkmcnt(1)
	v_max3_f32 v75, v75, v93, v94
	s_waitcnt lgkmcnt(0)
	s_delay_alu instid0(VALU_DEP_1) | instskip(NEXT) | instid1(VALU_DEP_1)
	v_max3_f32 v75, v75, v95, v96
	v_sub_f32_e32 v93, v93, v75
	ds_load_2addr_b32 v[97:98], v74 offset0:136 offset1:153
	v_sub_f32_e32 v70, v70, v75
	v_dual_sub_f32 v100, v73, v75 :: v_dual_mul_f32 v103, 0x3fb8aa3b, v93
	s_delay_alu instid0(VALU_DEP_2) | instskip(SKIP_3) | instid1(VALU_DEP_1)
	v_dual_sub_f32 v76, v71, v75 :: v_dual_mul_f32 v99, 0x3fb8aa3b, v70
	ds_load_2addr_b32 v[70:71], v74 offset0:170 offset1:187
	v_mul_f32_e32 v76, 0x3fb8aa3b, v76
	v_exp_f32_e32 v99, v99
	v_exp_f32_e32 v102, v76
	v_mul_f32_e32 v100, 0x3fb8aa3b, v100
	s_waitcnt lgkmcnt(1)
	s_waitcnt_depctr 0xfff
	v_fma_f32 v76, v99, v97, 0
	v_sub_f32_e32 v97, v94, v75
	v_sub_f32_e32 v72, v72, v75
	v_exp_f32_e32 v100, v100
	ds_load_2addr_b32 v[93:94], v74 offset0:238 offset1:255
	v_dual_fmac_f32 v76, v102, v98 :: v_dual_mul_f32 v101, 0x3fb8aa3b, v72
	ds_load_2addr_b32 v[72:73], v74 offset0:204 offset1:221
	v_dual_sub_f32 v74, v95, v75 :: v_dual_mul_f32 v95, 0x3fb8aa3b, v97
	v_exp_f32_e32 v97, v103
	v_exp_f32_e32 v101, v101
	s_waitcnt lgkmcnt(0)
	s_delay_alu instid0(VALU_DEP_1)
	v_mul_f32_e32 v74, 0x3fb8aa3b, v74
	v_exp_f32_e32 v95, v95
	s_barrier
	buffer_gl0_inv
	v_fmac_f32_e32 v76, v101, v70
	v_sub_f32_e32 v70, v96, v75
	v_exp_f32_e32 v96, v74
	s_delay_alu instid0(VALU_DEP_2) | instskip(NEXT) | instid1(VALU_DEP_2)
	v_fmac_f32_e32 v76, v100, v71
	v_mul_f32_e32 v70, 0x3fb8aa3b, v70
	s_delay_alu instid0(VALU_DEP_2) | instskip(NEXT) | instid1(VALU_DEP_2)
	v_dual_cndmask_b32 v71, v99, v102 :: v_dual_fmac_f32 v76, v97, v72
	v_exp_f32_e32 v98, v70
	v_lshlrev_b32_e32 v72, 6, v69
	s_delay_alu instid0(VALU_DEP_2) | instskip(NEXT) | instid1(VALU_DEP_2)
	v_dual_fmac_f32 v76, v95, v73 :: v_dual_lshlrev_b32 v69, 2, v67
	v_lshl_or_b32 v74, v68, 11, v72
	s_delay_alu instid0(VALU_DEP_2)
	v_cmp_eq_u32_e64 s8, 7, v69
	s_delay_alu instid0(TRANS32_DEP_2) | instid1(VALU_DEP_3)
	v_fmac_f32_e32 v76, v96, v93
	s_waitcnt_depctr 0xfff
	v_fmac_f32_e32 v76, v98, v94
	s_delay_alu instid0(VALU_DEP_1) | instskip(NEXT) | instid1(VALU_DEP_1)
	v_add_f32_e32 v73, 0x358637bd, v76
	v_div_scale_f32 v93, null, v73, v73, 1.0
	v_div_scale_f32 v99, vcc_lo, 1.0, v73, 1.0
	s_delay_alu instid0(VALU_DEP_2) | instskip(SKIP_2) | instid1(VALU_DEP_1)
	v_rcp_f32_e32 v94, v93
	s_waitcnt_depctr 0xfff
	v_fma_f32 v70, -v93, v94, 1.0
	v_fmac_f32_e32 v94, v70, v94
	v_cndmask_b32_e64 v70, v71, v101, s3
	v_cmp_eq_u32_e64 s3, 6, v68
	v_or_b32_e32 v71, 1, v69
	v_or_b32_e32 v68, 2, v69
	v_mul_f32_e32 v101, v99, v94
	v_cndmask_b32_e64 v70, v70, v100, s4
	v_cmp_eq_u32_e64 s4, 1, v69
	v_cmp_eq_u32_e64 s9, 1, v71
	;; [unrolled: 1-line block ×3, first 2 shown]
	v_fma_f32 v100, -v93, v101, v99
	v_cndmask_b32_e64 v70, v70, v97, s5
	v_cmp_eq_u32_e64 s5, 2, v69
	v_cmp_eq_u32_e64 s12, 2, v71
	;; [unrolled: 1-line block ×3, first 2 shown]
	v_fmac_f32_e32 v101, v100, v94
	v_cndmask_b32_e64 v95, v70, v95, s6
	v_or_b32_e32 v70, 3, v69
	v_cmp_eq_u32_e64 s13, 3, v71
	v_cmp_eq_u32_e64 s17, 3, v68
	v_fma_f32 v93, -v93, v101, v99
	v_cndmask_b32_e64 v95, v95, v96, s3
	v_cmp_eq_u32_e64 s11, 1, v70
	v_cmp_eq_u32_e64 s16, 2, v70
	;; [unrolled: 1-line block ×3, first 2 shown]
	v_div_fmas_f32 v93, v93, v94, v101
	v_cndmask_b32_e64 v94, v95, v98, s7
	v_cmp_eq_u32_e32 vcc_lo, 3, v69
	v_cmp_eq_u32_e64 s3, 4, v69
	v_cmp_eq_u32_e64 s19, 4, v71
	v_div_fixup_f32 v93, v93, v73, 1.0
	v_lshl_or_b32 v73, v67, 4, v74
	v_cmp_eq_u32_e64 s22, 4, v70
	v_cmp_eq_u32_e64 s6, 5, v69
	;; [unrolled: 1-line block ×3, first 2 shown]
	v_mul_f32_e32 v101, v94, v93
	v_cmp_eq_u32_e64 s21, 4, v68
	v_cmp_eq_u32_e64 s24, 5, v70
	;; [unrolled: 1-line block ×4, first 2 shown]
	v_fma_mixlo_f16 v93, v101, v78, 0
	v_fma_mixlo_f16 v94, v101, v80, 0
	;; [unrolled: 1-line block ×8, first 2 shown]
	v_fma_mixhi_f16 v93, v101, v77, 0
	v_fma_mixhi_f16 v94, v101, v79, 0
	;; [unrolled: 1-line block ×8, first 2 shown]
	ds_store_b128 v73, v[93:96]
	ds_store_b128 v73, v[97:100] offset:1024
	s_waitcnt lgkmcnt(0)
	s_barrier
	buffer_gl0_inv
	ds_load_b128 v[77:80], v74
	ds_load_b128 v[81:84], v74 offset:16
	ds_load_b128 v[85:88], v74 offset:1024
	;; [unrolled: 1-line block ×3, first 2 shown]
	v_cmp_eq_u32_e64 s27, 6, v70
	v_cmp_eq_u32_e64 s7, 6, v69
	v_cmp_eq_u32_e64 s26, 6, v68
	v_cmp_eq_u32_e64 s29, 7, v70
	v_cmp_eq_u32_e64 s30, 7, v71
	v_cmp_eq_u32_e64 s28, 7, v68
	s_waitcnt lgkmcnt(3)
	v_lshrrev_b32_e32 v93, 16, v77
	s_waitcnt lgkmcnt(2)
	v_lshrrev_b32_e32 v97, 16, v81
	;; [unrolled: 2-line block ×4, first 2 shown]
	v_lshrrev_b32_e32 v94, 16, v78
	v_cndmask_b32_e64 v109, v77, v93, s4
	v_cndmask_b32_e64 v110, v81, v97, s4
	v_cndmask_b32_e64 v111, v77, v93, s9
	v_cndmask_b32_e64 v112, v81, v97, s9
	v_cndmask_b32_e64 v113, v77, v93, s10
	v_cndmask_b32_e64 v114, v81, v97, s10
	v_cndmask_b32_e64 v77, v77, v93, s11
	v_cndmask_b32_e64 v81, v81, v97, s11
	v_lshrrev_b32_e32 v98, 16, v82
	v_cndmask_b32_e64 v93, v85, v101, s4
	v_cndmask_b32_e64 v97, v89, v105, s4
	;; [unrolled: 1-line block ×15, first 2 shown]
	v_lshrrev_b32_e32 v102, 16, v86
	v_lshrrev_b32_e32 v106, 16, v90
	v_cndmask_b32_e64 v112, v114, v82, s15
	v_cndmask_b32_e64 v81, v93, v86, s5
	;; [unrolled: 1-line block ×7, first 2 shown]
	v_cndmask_b32_e32 v89, v101, v94, vcc_lo
	v_cndmask_b32_e32 v101, v105, v98, vcc_lo
	v_cndmask_b32_e64 v105, v109, v94, s13
	v_cndmask_b32_e64 v109, v110, v98, s13
	;; [unrolled: 1-line block ×4, first 2 shown]
	v_lshrrev_b32_e32 v95, 16, v79
	v_lshrrev_b32_e32 v99, 16, v83
	v_cndmask_b32_e64 v110, v111, v94, s17
	v_cndmask_b32_e64 v111, v112, v98, s17
	v_cndmask_b32_e32 v81, v81, v102, vcc_lo
	v_cndmask_b32_e32 v82, v82, v106, vcc_lo
	v_cndmask_b32_e64 v93, v93, v102, s13
	v_cndmask_b32_e64 v89, v89, v79, s3
	;; [unrolled: 1-line block ×7, first 2 shown]
	v_lshrrev_b32_e32 v103, 16, v87
	v_cndmask_b32_e64 v105, v110, v79, s21
	v_cndmask_b32_e64 v109, v111, v83, s21
	;; [unrolled: 1-line block ×11, first 2 shown]
	v_lshrrev_b32_e32 v96, 16, v80
	v_lshrrev_b32_e32 v100, 16, v84
	v_cndmask_b32_e64 v98, v105, v95, s23
	v_cndmask_b32_e64 v101, v109, v99, s23
	;; [unrolled: 1-line block ×7, first 2 shown]
	v_lshrrev_b32_e32 v104, 16, v88
	v_cndmask_b32_e64 v79, v79, v103, s6
	v_cndmask_b32_e64 v83, v83, v80, s7
	;; [unrolled: 1-line block ×16, first 2 shown]
	v_perm_b32 v80, v78, v77, 0x5040100
	v_perm_b32 v78, v94, v84, 0x5040100
	v_cndmask_b32_e64 v77, v118, v90, s15
	v_cndmask_b32_e64 v84, v116, v90, s12
	v_cndmask_b32_e64 v95, v79, v104, s8
	v_perm_b32 v79, v93, v89, 0x5040100
	v_cndmask_b32_e64 v89, v97, v102, s17
	v_cndmask_b32_e64 v85, v85, v102, s18
	;; [unrolled: 1-line block ×5, first 2 shown]
	v_lshrrev_b32_e32 v107, 16, v91
	v_cndmask_b32_e64 v89, v89, v87, s21
	v_cndmask_b32_e64 v85, v85, v87, s22
	v_cndmask_b32_e64 v86, v86, v91, s22
	v_cndmask_b32_e64 v77, v77, v91, s21
	v_cndmask_b32_e64 v84, v84, v91, s19
	v_cndmask_b32_e64 v81, v81, v107, s6
	v_cndmask_b32_e64 v87, v89, v103, s23
	v_cndmask_b32_e64 v85, v85, v103, s24
	v_cndmask_b32_e64 v86, v86, v107, s24
	v_cndmask_b32_e64 v77, v77, v107, s23
	v_cndmask_b32_e64 v84, v84, v107, s20
	v_lshrrev_b32_e32 v108, 16, v92
	v_cndmask_b32_e64 v81, v81, v92, s7
	v_cndmask_b32_e64 v87, v87, v88, s26
	;; [unrolled: 1-line block ×12, first 2 shown]
	v_perm_b32 v77, v83, v82, 0x5040100
	v_perm_b32 v84, v86, v85, 0x5040100
	;; [unrolled: 1-line block ×5, first 2 shown]
	s_lshl_b32 s8, s33, 2
	s_mov_b32 s3, exec_lo
	ds_store_b128 v73, v[77:80]
	ds_store_b128 v73, v[81:84] offset:1024
	v_cmpx_gt_u32_e32 4, v0
	s_cbranch_execz .LBB1105_14
; %bb.13:
	v_or_b32_e32 v77, s31, v0
	s_load_b128 s[4:7], s[0:1], 0x58
	s_delay_alu instid0(VALU_DEP_1) | instskip(NEXT) | instid1(VALU_DEP_1)
	v_mad_u64_u32 v[78:79], null, s8, s34, v[77:78]
	v_mad_u64_u32 v[79:80], null, v78, s35, s[14:15]
	s_delay_alu instid0(VALU_DEP_1) | instskip(NEXT) | instid1(VALU_DEP_1)
	v_ashrrev_i32_e32 v80, 31, v79
	v_lshlrev_b64 v[77:78], 2, v[79:80]
	s_waitcnt lgkmcnt(0)
	s_delay_alu instid0(VALU_DEP_1) | instskip(NEXT) | instid1(VALU_DEP_2)
	v_add_co_u32 v79, vcc_lo, s6, v77
	v_add_co_ci_u32_e32 v80, vcc_lo, s7, v78, vcc_lo
	v_add_co_u32 v77, vcc_lo, s4, v77
	v_add_co_ci_u32_e32 v78, vcc_lo, s5, v78, vcc_lo
	global_store_b32 v[79:80], v75, off
	global_store_b32 v[77:78], v76, off
.LBB1105_14:
	s_or_b32 exec_lo, exec_lo, s3
	s_waitcnt lgkmcnt(0)
	s_waitcnt_vscnt null, 0x0
	s_barrier
	buffer_gl0_inv
	ds_load_b128 v[83:86], v72
	ds_load_b128 v[87:90], v72 offset:16
	ds_load_b128 v[95:98], v72 offset:2064
	;; [unrolled: 1-line block ×5, first 2 shown]
	v_cmp_eq_u32_e32 vcc_lo, 1, v69
	v_mov_b32_e32 v75, 0
	ds_load_b128 v[111:114], v72 offset:6160
	ds_load_b128 v[107:110], v72 offset:6144
	;; [unrolled: 1-line block ×4, first 2 shown]
	v_cmp_eq_u32_e64 s4, 1, v68
	v_cmp_eq_u32_e64 s3, 1, v71
	;; [unrolled: 1-line block ×3, first 2 shown]
	v_mov_b32_e32 v76, v75
	v_mov_b32_e32 v77, v75
	v_mov_b32_e32 v78, v75
	v_mov_b32_e32 v79, v75
	v_mov_b32_e32 v80, v75
	v_mov_b32_e32 v81, v75
	v_mov_b32_e32 v82, v75
	v_cmp_eq_u32_e64 s6, 3, v71
	v_cmp_eq_u32_e64 s7, 7, v71
	s_waitcnt lgkmcnt(8)
	s_delay_alu instid0(VALU_DEP_3)
	v_wmma_f32_16x16x16_f16 v[75:82], v[49:56], v[83:90], v[75:82]
	ds_load_b128 v[53:56], v72 offset:10256
	ds_load_b128 v[49:52], v72 offset:10240
	s_waitcnt lgkmcnt(8)
	v_wmma_f32_16x16x16_f16 v[75:82], v[41:48], v[91:98], v[75:82]
	ds_load_b128 v[45:48], v72 offset:12304
	ds_load_b128 v[41:44], v72 offset:12288
	s_waitcnt lgkmcnt(8)
	v_wmma_f32_16x16x16_f16 v[75:82], v[33:40], v[99:106], v[75:82]
	ds_load_b128 v[37:40], v72 offset:14352
	ds_load_b128 v[33:36], v72 offset:14336
	s_waitcnt lgkmcnt(0)
	s_barrier
	buffer_gl0_inv
	v_wmma_f32_16x16x16_f16 v[75:82], v[1:8], v[107:114], v[75:82]
	s_delay_alu instid0(VALU_DEP_1) | instskip(NEXT) | instid1(VALU_DEP_1)
	v_wmma_f32_16x16x16_f16 v[75:82], v[9:16], v[115:122], v[75:82]
	v_wmma_f32_16x16x16_f16 v[75:82], v[17:24], v[49:56], v[75:82]
	s_delay_alu instid0(VALU_DEP_1) | instskip(NEXT) | instid1(VALU_DEP_1)
	v_wmma_f32_16x16x16_f16 v[75:82], v[25:32], v[41:48], v[75:82]
	v_wmma_f32_16x16x16_f16 v[75:82], v[57:64], v[33:40], v[75:82]
	s_delay_alu instid0(VALU_DEP_1) | instskip(NEXT) | instid1(VALU_DEP_2)
	v_cvt_f16_f32_e32 v1, v75
	v_cvt_f16_f32_e32 v2, v76
	s_delay_alu instid0(VALU_DEP_3) | instskip(NEXT) | instid1(VALU_DEP_4)
	v_cvt_f16_f32_e32 v3, v77
	v_cvt_f16_f32_e32 v4, v78
	v_cvt_f16_f32_e32 v5, v79
	v_cvt_f16_f32_e32 v6, v80
	v_cvt_f16_f32_e32 v7, v81
	v_cvt_f16_f32_e32 v8, v82
	v_pack_b32_f16 v1, v1, v2
	v_pack_b32_f16 v2, v3, v4
	;; [unrolled: 1-line block ×3, first 2 shown]
	s_delay_alu instid0(VALU_DEP_4)
	v_pack_b32_f16 v4, v7, v8
	ds_store_b128 v73, v[1:4]
	s_waitcnt lgkmcnt(0)
	s_barrier
	buffer_gl0_inv
	ds_load_b128 v[1:4], v74
	ds_load_b128 v[5:8], v74 offset:16
	s_waitcnt lgkmcnt(1)
	v_lshrrev_b32_e32 v9, 16, v1
	s_waitcnt lgkmcnt(0)
	v_lshrrev_b32_e32 v13, 16, v5
	v_lshrrev_b32_e32 v10, 16, v2
	;; [unrolled: 1-line block ×4, first 2 shown]
	v_cndmask_b32_e32 v17, v1, v9, vcc_lo
	v_cndmask_b32_e32 v18, v5, v13, vcc_lo
	v_cndmask_b32_e64 v21, v1, v9, s4
	v_cmp_eq_u32_e32 vcc_lo, 1, v70
	v_cndmask_b32_e64 v22, v5, v13, s4
	v_cmp_eq_u32_e64 s4, 2, v69
	v_cndmask_b32_e64 v19, v1, v9, s3
	v_cndmask_b32_e64 v20, v5, v13, s3
	v_cndmask_b32_e32 v1, v1, v9, vcc_lo
	v_cmp_eq_u32_e64 s3, 2, v70
	v_cndmask_b32_e32 v5, v5, v13, vcc_lo
	v_cndmask_b32_e64 v9, v17, v2, s4
	v_cmp_eq_u32_e32 vcc_lo, 3, v69
	v_cndmask_b32_e64 v13, v18, v6, s4
	v_cmp_eq_u32_e64 s4, 2, v68
	v_cndmask_b32_e64 v17, v19, v2, s5
	v_cndmask_b32_e64 v18, v20, v6, s5
	v_cmp_eq_u32_e64 s5, 3, v68
	v_cndmask_b32_e64 v1, v1, v2, s3
	v_cndmask_b32_e64 v19, v21, v2, s4
	;; [unrolled: 1-line block ×4, first 2 shown]
	v_cndmask_b32_e32 v5, v9, v10, vcc_lo
	v_cndmask_b32_e32 v6, v13, v14, vcc_lo
	v_cmp_eq_u32_e32 vcc_lo, 3, v70
	v_cndmask_b32_e64 v9, v17, v10, s6
	v_cndmask_b32_e64 v13, v18, v14, s6
	;; [unrolled: 1-line block ×3, first 2 shown]
	v_cmp_eq_u32_e64 s4, 4, v69
	v_cndmask_b32_e32 v1, v1, v10, vcc_lo
	v_cndmask_b32_e32 v2, v2, v14, vcc_lo
	v_cmp_eq_u32_e32 vcc_lo, 4, v71
	v_lshrrev_b32_e32 v15, 16, v7
	v_lshrrev_b32_e32 v16, 16, v8
	v_cndmask_b32_e64 v17, v19, v10, s5
	v_cmp_eq_u32_e64 s3, 4, v70
	v_cndmask_b32_e64 v5, v5, v3, s4
	v_cndmask_b32_e64 v6, v6, v7, s4
	v_cndmask_b32_e32 v9, v9, v3, vcc_lo
	v_cmp_eq_u32_e64 s4, 5, v71
	v_cndmask_b32_e32 v10, v13, v7, vcc_lo
	v_cmp_eq_u32_e32 vcc_lo, 4, v68
	v_cmp_eq_u32_e64 s5, 5, v69
	v_cndmask_b32_e64 v2, v2, v7, s3
	v_cndmask_b32_e64 v9, v9, v11, s4
	;; [unrolled: 1-line block ×3, first 2 shown]
	v_cndmask_b32_e32 v13, v17, v3, vcc_lo
	v_cmp_eq_u32_e64 s4, 5, v68
	v_cndmask_b32_e32 v14, v18, v7, vcc_lo
	v_cndmask_b32_e64 v1, v1, v3, s3
	v_cmp_eq_u32_e32 vcc_lo, 5, v70
	v_lshrrev_b32_e32 v12, 16, v4
	v_cndmask_b32_e64 v13, v13, v11, s4
	v_cndmask_b32_e64 v3, v14, v15, s4
	v_cmp_eq_u32_e64 s4, 6, v70
	v_cndmask_b32_e32 v1, v1, v11, vcc_lo
	v_cndmask_b32_e64 v5, v5, v11, s5
	v_cmp_eq_u32_e64 s6, 6, v69
	v_cndmask_b32_e64 v6, v6, v15, s5
	v_cmp_eq_u32_e64 s5, 6, v71
	v_cmp_eq_u32_e64 s3, 6, v68
	v_cndmask_b32_e64 v1, v1, v4, s4
	v_cndmask_b32_e32 v2, v2, v15, vcc_lo
	v_cmp_eq_u32_e32 vcc_lo, 7, v70
	v_cndmask_b32_e64 v5, v5, v4, s6
	v_cndmask_b32_e64 v9, v9, v4, s5
	;; [unrolled: 1-line block ×3, first 2 shown]
	v_cmp_eq_u32_e64 s6, 7, v69
	v_cndmask_b32_e32 v1, v1, v12, vcc_lo
	v_cndmask_b32_e64 v7, v13, v4, s3
	v_cndmask_b32_e64 v3, v3, v8, s3
	;; [unrolled: 1-line block ×3, first 2 shown]
	v_cmp_eq_u32_e64 s3, 7, v68
	v_cndmask_b32_e64 v4, v10, v8, s5
	v_cndmask_b32_e64 v5, v5, v12, s6
	;; [unrolled: 1-line block ×3, first 2 shown]
	v_cndmask_b32_e32 v2, v2, v16, vcc_lo
	v_cndmask_b32_e64 v7, v7, v12, s3
	v_cndmask_b32_e64 v3, v3, v16, s3
	;; [unrolled: 1-line block ×4, first 2 shown]
	v_cmp_gt_u32_e32 vcc_lo, 32, v0
	v_perm_b32 v4, v2, v1, 0x5040100
	v_perm_b32 v3, v3, v7, 0x5040100
	v_perm_b32 v2, v8, v9, 0x5040100
	v_perm_b32 v1, v6, v5, 0x5040100
	s_and_b32 s2, vcc_lo, s2
	ds_store_b128 v73, v[1:4]
	s_waitcnt lgkmcnt(0)
	s_barrier
	buffer_gl0_inv
	s_and_saveexec_b32 s3, s2
	s_cbranch_execz .LBB1105_2
; %bb.15:
	s_load_b64 s[0:1], s[0:1], 0x68
	v_lshlrev_b32_e32 v0, 10, v0
	v_or_b32_e32 v1, s31, v67
	s_lshl_b32 s4, s35, 6
	v_lshlrev_b32_e32 v2, 4, v66
	s_mul_i32 s2, s4, s34
	v_lshlrev_b32_e32 v3, 6, v67
	v_mul_lo_u32 v8, v1, s4
	v_and_b32_e32 v0, 0x3800, v0
	v_or_b32_e32 v1, 2, v1
	s_mul_i32 s2, s2, s8
	s_delay_alu instid0(SALU_CYCLE_1) | instskip(NEXT) | instid1(VALU_DEP_2)
	s_ashr_i32 s3, s2, 31
	v_or3_b32 v4, v0, v2, v3
	s_lshl_b64 s[2:3], s[2:3], 1
	v_mul_lo_u32 v10, v1, s4
	v_ashrrev_i32_e32 v9, 31, v8
	ds_load_b128 v[0:3], v4
	ds_load_b128 v[4:7], v4 offset:128
	s_waitcnt lgkmcnt(0)
	s_add_u32 s2, s0, s2
	s_addc_u32 s3, s1, s3
	s_lshl_b32 s0, s14, 6
	v_ashrrev_i32_e32 v11, 31, v10
	s_ashr_i32 s1, s0, 31
	v_lshlrev_b64 v[8:9], 1, v[8:9]
	s_lshl_b64 s[0:1], s[0:1], 1
	s_delay_alu instid0(SALU_CYCLE_1) | instskip(SKIP_2) | instid1(VALU_DEP_1)
	s_add_u32 s0, s2, s0
	s_addc_u32 s1, s3, s1
	v_add_co_u32 v12, s0, s0, v65
	v_add_co_ci_u32_e64 v13, null, s1, 0, s0
	v_lshlrev_b64 v[10:11], 1, v[10:11]
	s_delay_alu instid0(VALU_DEP_3) | instskip(NEXT) | instid1(VALU_DEP_3)
	v_add_co_u32 v8, vcc_lo, v12, v8
	v_add_co_ci_u32_e32 v9, vcc_lo, v13, v9, vcc_lo
	s_delay_alu instid0(VALU_DEP_3) | instskip(NEXT) | instid1(VALU_DEP_4)
	v_add_co_u32 v10, vcc_lo, v12, v10
	v_add_co_ci_u32_e32 v11, vcc_lo, v13, v11, vcc_lo
	s_clause 0x1
	global_store_b128 v[8:9], v[0:3], off
	global_store_b128 v[10:11], v[4:7], off
	s_nop 0
	s_sendmsg sendmsg(MSG_DEALLOC_VGPRS)
	s_endpgm
	.section	.rodata,"a",@progbits
	.p2align	6, 0x0
	.amdhsa_kernel _Z39paged_attention_ll4mi_QKV_mfma16_kernelIDF16_hLN4vllm18Fp8KVCacheDataTypeE1EhLi16ELi64ELi256ELb1ELi4EL8MFMAType0EEvPKT_PKT0_S8_ifPKiSA_SA_iPKfiiiPfSD_PS3_PT2_iSC_SC_
		.amdhsa_group_segment_fixed_size 17472
		.amdhsa_private_segment_fixed_size 0
		.amdhsa_kernarg_size 400
		.amdhsa_user_sgpr_count 13
		.amdhsa_user_sgpr_dispatch_ptr 0
		.amdhsa_user_sgpr_queue_ptr 0
		.amdhsa_user_sgpr_kernarg_segment_ptr 1
		.amdhsa_user_sgpr_dispatch_id 0
		.amdhsa_user_sgpr_private_segment_size 0
		.amdhsa_wavefront_size32 1
		.amdhsa_uses_dynamic_stack 0
		.amdhsa_enable_private_segment 0
		.amdhsa_system_sgpr_workgroup_id_x 1
		.amdhsa_system_sgpr_workgroup_id_y 1
		.amdhsa_system_sgpr_workgroup_id_z 1
		.amdhsa_system_sgpr_workgroup_info 0
		.amdhsa_system_vgpr_workitem_id 0
		.amdhsa_next_free_vgpr 123
		.amdhsa_next_free_sgpr 40
		.amdhsa_reserve_vcc 1
		.amdhsa_float_round_mode_32 0
		.amdhsa_float_round_mode_16_64 0
		.amdhsa_float_denorm_mode_32 3
		.amdhsa_float_denorm_mode_16_64 3
		.amdhsa_dx10_clamp 1
		.amdhsa_ieee_mode 1
		.amdhsa_fp16_overflow 0
		.amdhsa_workgroup_processor_mode 1
		.amdhsa_memory_ordered 1
		.amdhsa_forward_progress 0
		.amdhsa_shared_vgpr_count 0
		.amdhsa_exception_fp_ieee_invalid_op 0
		.amdhsa_exception_fp_denorm_src 0
		.amdhsa_exception_fp_ieee_div_zero 0
		.amdhsa_exception_fp_ieee_overflow 0
		.amdhsa_exception_fp_ieee_underflow 0
		.amdhsa_exception_fp_ieee_inexact 0
		.amdhsa_exception_int_div_zero 0
	.end_amdhsa_kernel
	.section	.text._Z39paged_attention_ll4mi_QKV_mfma16_kernelIDF16_hLN4vllm18Fp8KVCacheDataTypeE1EhLi16ELi64ELi256ELb1ELi4EL8MFMAType0EEvPKT_PKT0_S8_ifPKiSA_SA_iPKfiiiPfSD_PS3_PT2_iSC_SC_,"axG",@progbits,_Z39paged_attention_ll4mi_QKV_mfma16_kernelIDF16_hLN4vllm18Fp8KVCacheDataTypeE1EhLi16ELi64ELi256ELb1ELi4EL8MFMAType0EEvPKT_PKT0_S8_ifPKiSA_SA_iPKfiiiPfSD_PS3_PT2_iSC_SC_,comdat
.Lfunc_end1105:
	.size	_Z39paged_attention_ll4mi_QKV_mfma16_kernelIDF16_hLN4vllm18Fp8KVCacheDataTypeE1EhLi16ELi64ELi256ELb1ELi4EL8MFMAType0EEvPKT_PKT0_S8_ifPKiSA_SA_iPKfiiiPfSD_PS3_PT2_iSC_SC_, .Lfunc_end1105-_Z39paged_attention_ll4mi_QKV_mfma16_kernelIDF16_hLN4vllm18Fp8KVCacheDataTypeE1EhLi16ELi64ELi256ELb1ELi4EL8MFMAType0EEvPKT_PKT0_S8_ifPKiSA_SA_iPKfiiiPfSD_PS3_PT2_iSC_SC_
                                        ; -- End function
	.section	.AMDGPU.csdata,"",@progbits
; Kernel info:
; codeLenInByte = 6372
; NumSgprs: 42
; NumVgprs: 123
; ScratchSize: 0
; MemoryBound: 0
; FloatMode: 240
; IeeeMode: 1
; LDSByteSize: 17472 bytes/workgroup (compile time only)
; SGPRBlocks: 5
; VGPRBlocks: 15
; NumSGPRsForWavesPerEU: 42
; NumVGPRsForWavesPerEU: 123
; Occupancy: 10
; WaveLimiterHint : 1
; COMPUTE_PGM_RSRC2:SCRATCH_EN: 0
; COMPUTE_PGM_RSRC2:USER_SGPR: 13
; COMPUTE_PGM_RSRC2:TRAP_HANDLER: 0
; COMPUTE_PGM_RSRC2:TGID_X_EN: 1
; COMPUTE_PGM_RSRC2:TGID_Y_EN: 1
; COMPUTE_PGM_RSRC2:TGID_Z_EN: 1
; COMPUTE_PGM_RSRC2:TIDIG_COMP_CNT: 0
	.section	.text._Z39paged_attention_ll4mi_QKV_mfma16_kernelIDF16_hLN4vllm18Fp8KVCacheDataTypeE1EhLi16ELi64ELi256ELb0ELi5EL8MFMAType0EEvPKT_PKT0_S8_ifPKiSA_SA_iPKfiiiPfSD_PS3_PT2_iSC_SC_,"axG",@progbits,_Z39paged_attention_ll4mi_QKV_mfma16_kernelIDF16_hLN4vllm18Fp8KVCacheDataTypeE1EhLi16ELi64ELi256ELb0ELi5EL8MFMAType0EEvPKT_PKT0_S8_ifPKiSA_SA_iPKfiiiPfSD_PS3_PT2_iSC_SC_,comdat
	.protected	_Z39paged_attention_ll4mi_QKV_mfma16_kernelIDF16_hLN4vllm18Fp8KVCacheDataTypeE1EhLi16ELi64ELi256ELb0ELi5EL8MFMAType0EEvPKT_PKT0_S8_ifPKiSA_SA_iPKfiiiPfSD_PS3_PT2_iSC_SC_ ; -- Begin function _Z39paged_attention_ll4mi_QKV_mfma16_kernelIDF16_hLN4vllm18Fp8KVCacheDataTypeE1EhLi16ELi64ELi256ELb0ELi5EL8MFMAType0EEvPKT_PKT0_S8_ifPKiSA_SA_iPKfiiiPfSD_PS3_PT2_iSC_SC_
	.globl	_Z39paged_attention_ll4mi_QKV_mfma16_kernelIDF16_hLN4vllm18Fp8KVCacheDataTypeE1EhLi16ELi64ELi256ELb0ELi5EL8MFMAType0EEvPKT_PKT0_S8_ifPKiSA_SA_iPKfiiiPfSD_PS3_PT2_iSC_SC_
	.p2align	8
	.type	_Z39paged_attention_ll4mi_QKV_mfma16_kernelIDF16_hLN4vllm18Fp8KVCacheDataTypeE1EhLi16ELi64ELi256ELb0ELi5EL8MFMAType0EEvPKT_PKT0_S8_ifPKiSA_SA_iPKfiiiPfSD_PS3_PT2_iSC_SC_,@function
_Z39paged_attention_ll4mi_QKV_mfma16_kernelIDF16_hLN4vllm18Fp8KVCacheDataTypeE1EhLi16ELi64ELi256ELb0ELi5EL8MFMAType0EEvPKT_PKT0_S8_ifPKiSA_SA_iPKfiiiPfSD_PS3_PT2_iSC_SC_: ; @_Z39paged_attention_ll4mi_QKV_mfma16_kernelIDF16_hLN4vllm18Fp8KVCacheDataTypeE1EhLi16ELi64ELi256ELb0ELi5EL8MFMAType0EEvPKT_PKT0_S8_ifPKiSA_SA_iPKfiiiPfSD_PS3_PT2_iSC_SC_
; %bb.0:
	s_load_b64 s[2:3], s[0:1], 0x30
	s_mov_b32 s34, s13
	s_waitcnt lgkmcnt(0)
	s_cmp_lg_u64 s[2:3], 0
	s_cselect_b32 s6, -1, 0
	s_ashr_i32 s35, s13, 31
	s_cmp_eq_u64 s[2:3], 0
	s_cbranch_scc1 .LBB1106_3
; %bb.1:
	s_lshl_b64 s[4:5], s[34:35], 2
	s_delay_alu instid0(SALU_CYCLE_1) | instskip(SKIP_4) | instid1(SALU_CYCLE_1)
	s_add_u32 s4, s2, s4
	s_addc_u32 s5, s3, s5
	s_load_b64 s[4:5], s[4:5], 0x0
	s_waitcnt lgkmcnt(0)
	s_sub_i32 s4, s5, s4
	s_cmp_eq_u32 s4, 1
	s_cselect_b32 s4, -1, 0
	s_delay_alu instid0(SALU_CYCLE_1)
	s_and_not1_b32 vcc_lo, exec_lo, s4
	s_cbranch_vccz .LBB1106_4
.LBB1106_2:
	s_nop 0
	s_sendmsg sendmsg(MSG_DEALLOC_VGPRS)
	s_endpgm
.LBB1106_3:
.LBB1106_4:
	s_load_b64 s[8:9], s[0:1], 0x28
	s_lshl_b64 s[4:5], s[34:35], 2
	s_waitcnt lgkmcnt(0)
	s_add_u32 s8, s8, s4
	s_addc_u32 s9, s9, s5
	s_lshl_b32 s16, s14, 8
	s_load_b32 s18, s[8:9], 0x0
	s_waitcnt lgkmcnt(0)
	s_cmp_ge_i32 s16, s18
	s_cbranch_scc1 .LBB1106_2
; %bb.5:
	s_clause 0x1
	s_load_b128 s[8:11], s[0:1], 0x8
	s_load_b64 s[12:13], s[0:1], 0x20
	s_and_not1_b32 vcc_lo, exec_lo, s6
	s_cbranch_vccnz .LBB1106_7
; %bb.6:
	s_add_u32 s2, s2, s4
	s_addc_u32 s3, s3, s5
	s_load_b32 s3, s[2:3], 0x0
	s_branch .LBB1106_8
.LBB1106_7:
	s_mov_b32 s3, s34
.LBB1106_8:
	s_load_b128 s[4:7], s[0:1], 0x48
	v_lshrrev_b32_e32 v69, 5, v0
	v_bfe_u32 v66, v0, 4, 1
	v_and_b32_e32 v68, 15, v0
	v_and_b32_e32 v70, 31, v0
	;; [unrolled: 1-line block ×3, first 2 shown]
	s_mul_i32 s33, s15, 5
	v_lshl_or_b32 v1, v69, 1, v66
	v_lshlrev_b32_e32 v2, 3, v68
	v_cmp_gt_u32_e64 s2, 8, v68
	s_delay_alu instid0(VALU_DEP_3) | instskip(NEXT) | instid1(VALU_DEP_3)
	v_cmp_gt_u32_e32 vcc_lo, 5, v1
	v_lshlrev_b32_e32 v65, 1, v2
	s_delay_alu instid0(VALU_DEP_3)
	s_and_b32 s17, s2, vcc_lo
	s_waitcnt lgkmcnt(0)
	s_and_saveexec_b32 s7, s17
	s_cbranch_execz .LBB1106_10
; %bb.9:
	s_load_b64 s[20:21], s[0:1], 0x0
	v_add_lshl_u32 v2, v1, s33, 6
	s_mul_hi_i32 s23, s3, s4
	s_mul_i32 s22, s3, s4
	v_lshlrev_b32_e32 v6, 10, v68
	s_lshl_b64 s[22:23], s[22:23], 1
	v_ashrrev_i32_e32 v3, 31, v2
	v_lshlrev_b32_e32 v1, 6, v1
	v_lshlrev_b32_e32 v7, 10, v67
	v_and_b32_e32 v6, 0x3800, v6
	s_delay_alu instid0(VALU_DEP_4) | instskip(NEXT) | instid1(VALU_DEP_2)
	v_lshlrev_b64 v[2:3], 1, v[2:3]
	v_or3_b32 v1, v6, v7, v1
	s_waitcnt lgkmcnt(0)
	s_add_u32 s3, s20, s22
	s_addc_u32 s4, s21, s23
	s_delay_alu instid0(VALU_DEP_2) | instskip(SKIP_1) | instid1(VALU_DEP_2)
	v_add_co_u32 v2, vcc_lo, s3, v2
	v_add_co_ci_u32_e32 v3, vcc_lo, s4, v3, vcc_lo
	v_add_co_u32 v2, vcc_lo, v2, v65
	s_delay_alu instid0(VALU_DEP_2)
	v_add_co_ci_u32_e32 v3, vcc_lo, 0, v3, vcc_lo
	global_load_b128 v[2:5], v[2:3], off
	s_waitcnt vmcnt(0)
	ds_store_b128 v1, v[2:5]
.LBB1106_10:
	s_or_b32 exec_lo, exec_lo, s7
	v_and_b32_e32 v1, 0xef, v0
	s_add_i32 s3, s18, 15
	s_clause 0x1
	s_load_b32 s4, s[0:1], 0x38
	s_load_b32 s35, s[0:1], 0x98
	s_ashr_i32 s7, s3, 31
	v_add_nc_u32_e32 v1, s16, v1
	s_lshr_b32 s7, s7, 28
	s_load_b32 s19, s[0:1], 0x1c
	s_add_i32 s3, s3, s7
	s_waitcnt lgkmcnt(0)
	v_ashrrev_i32_e32 v2, 31, v1
	v_or_b32_e32 v3, 16, v1
	s_ashr_i32 s3, s3, 4
	v_cmp_gt_i32_e32 vcc_lo, s18, v1
	s_add_i32 s3, s3, -1
	v_lshrrev_b32_e32 v2, 28, v2
	s_barrier
	buffer_gl0_inv
	s_mul_i32 s15, s15, s6
	v_mul_lo_u16 v103, v68, 52
	v_add_nc_u32_e32 v4, v1, v2
	v_mbcnt_lo_u32_b32 v127, -1, 0
	s_mul_i32 s20, s34, s4
	s_delay_alu instid0(SALU_CYCLE_1) | instskip(NEXT) | instid1(VALU_DEP_2)
	s_ashr_i32 s21, s20, 31
	v_ashrrev_i32_e32 v4, 4, v4
	v_add_nc_u32_e32 v2, v3, v2
	s_lshl_b64 s[20:21], s[20:21], 2
	v_lshrrev_b16 v103, 8, v103
	s_add_u32 s17, s12, s20
	v_cndmask_b32_e32 v1, s3, v4, vcc_lo
	v_ashrrev_i32_e32 v2, 4, v2
	v_cmp_gt_i32_e32 vcc_lo, s18, v3
	s_addc_u32 s13, s13, s21
	s_ashr_i32 s20, s15, 31
	s_add_u32 s4, s8, s15
	s_addc_u32 s12, s9, s20
	v_cndmask_b32_e32 v3, s3, v2, vcc_lo
	v_ashrrev_i32_e32 v2, 31, v1
	s_lshl_b32 s6, s14, 4
	v_mul_lo_u16 v103, v103, 5
	s_ashr_i32 s7, s6, 31
	v_ashrrev_i32_e32 v4, 31, v3
	v_lshlrev_b64 v[1:2], 2, v[1:2]
	s_lshl_b64 s[6:7], s[6:7], 2
	v_sub_nc_u16 v103, v68, v103
	s_add_u32 s6, s17, s6
	v_lshlrev_b64 v[3:4], 2, v[3:4]
	s_addc_u32 s7, s13, s7
	v_add_co_u32 v1, vcc_lo, s17, v1
	v_add_co_ci_u32_e32 v2, vcc_lo, s13, v2, vcc_lo
	s_delay_alu instid0(VALU_DEP_3) | instskip(NEXT) | instid1(VALU_DEP_4)
	v_add_co_u32 v3, vcc_lo, s17, v3
	v_add_co_ci_u32_e32 v4, vcc_lo, s13, v4, vcc_lo
	s_clause 0x1
	global_load_b32 v5, v[1:2], off
	global_load_b32 v7, v[3:4], off
	s_or_b32 s8, s16, 32
	v_lshlrev_b32_e32 v1, 4, v0
	s_ashr_i32 s9, s8, 4
	s_cmp_lt_i32 s8, s18
	v_xor_b32_e32 v128, 16, v127
	s_cselect_b32 s8, s9, s3
	v_and_b32_e32 v1, 0xf0, v1
	s_ashr_i32 s9, s8, 31
	s_delay_alu instid0(SALU_CYCLE_1)
	s_lshl_b64 s[8:9], s[8:9], 2
	v_cmp_gt_i32_e32 vcc_lo, 32, v128
	s_add_u32 s8, s17, s8
	s_addc_u32 s9, s13, s9
	s_or_b32 s21, s16, 64
	v_add_co_u32 v1, s4, s4, v1
	s_ashr_i32 s22, s21, 4
	s_cmp_lt_i32 s21, s18
	v_add_co_ci_u32_e64 v2, null, s12, 0, s4
	s_cselect_b32 s22, s22, s3
	v_dual_cndmask_b32 v136, v127, v128 :: v_dual_and_b32 v103, 0xff, v103
	s_ashr_i32 s23, s22, 31
	s_delay_alu instid0(SALU_CYCLE_1) | instskip(NEXT) | instid1(VALU_DEP_1)
	s_lshl_b64 s[22:23], s[22:23], 2
	v_lshlrev_b32_e32 v115, 6, v103
	s_add_u32 s22, s17, s22
	s_addc_u32 s23, s13, s23
	s_or_b32 s21, s16, 0x60
	s_delay_alu instid0(SALU_CYCLE_1) | instskip(SKIP_2) | instid1(SALU_CYCLE_1)
	s_ashr_i32 s24, s21, 4
	s_cmp_lt_i32 s21, s18
	s_cselect_b32 s24, s24, s3
	s_ashr_i32 s25, s24, 31
	s_delay_alu instid0(SALU_CYCLE_1) | instskip(NEXT) | instid1(SALU_CYCLE_1)
	s_lshl_b64 s[24:25], s[24:25], 2
	s_add_u32 s24, s17, s24
	s_addc_u32 s25, s13, s25
	s_or_b32 s21, s16, 0x80
	s_delay_alu instid0(SALU_CYCLE_1) | instskip(SKIP_2) | instid1(SALU_CYCLE_1)
	s_ashr_i32 s26, s21, 4
	s_cmp_lt_i32 s21, s18
	s_cselect_b32 s26, s26, s3
	s_ashr_i32 s27, s26, 31
	s_delay_alu instid0(SALU_CYCLE_1) | instskip(NEXT) | instid1(SALU_CYCLE_1)
	s_lshl_b64 s[26:27], s[26:27], 2
	;; [unrolled: 10-line block ×3, first 2 shown]
	s_add_u32 s28, s17, s28
	s_addc_u32 s29, s13, s29
	s_clause 0x5
	s_load_b32 s12, s[6:7], 0x0
	s_load_b32 s4, s[8:9], 0x0
	;; [unrolled: 1-line block ×6, first 2 shown]
	s_or_b32 s21, s16, 0xc0
	s_delay_alu instid0(SALU_CYCLE_1) | instskip(SKIP_2) | instid1(SALU_CYCLE_1)
	s_ashr_i32 s22, s21, 4
	s_cmp_lt_i32 s21, s18
	s_cselect_b32 s22, s22, s3
	s_ashr_i32 s23, s22, 31
	s_delay_alu instid0(SALU_CYCLE_1) | instskip(NEXT) | instid1(SALU_CYCLE_1)
	s_lshl_b64 s[22:23], s[22:23], 2
	s_add_u32 s22, s17, s22
	s_addc_u32 s23, s13, s23
	s_or_b32 s21, s16, 0xe0
	s_delay_alu instid0(SALU_CYCLE_1) | instskip(SKIP_2) | instid1(SALU_CYCLE_1)
	s_ashr_i32 s24, s21, 4
	s_cmp_lt_i32 s21, s18
	s_cselect_b32 s24, s24, s3
	s_ashr_i32 s25, s24, 31
	s_delay_alu instid0(SALU_CYCLE_1)
	s_lshl_b64 s[24:25], s[24:25], 2
	s_waitcnt vmcnt(1)
	v_mad_i64_i32 v[3:4], null, v5, s5, v[1:2]
	s_waitcnt vmcnt(0)
	v_mad_i64_i32 v[5:6], null, v7, s5, v[1:2]
	v_lshlrev_b32_e32 v1, 4, v68
	s_clause 0x7
	global_load_b128 v[71:74], v[3:4], off
	global_load_b128 v[75:78], v[3:4], off offset:256
	global_load_b128 v[79:82], v[5:6], off
	global_load_b128 v[83:86], v[5:6], off offset:256
	global_load_b128 v[87:90], v[3:4], off offset:512
	;; [unrolled: 1-line block ×5, first 2 shown]
	v_lshl_or_b32 v1, v69, 8, v1
	s_load_b32 s3, s[22:23], 0x0
	s_add_u32 s22, s17, s24
	s_addc_u32 s23, s13, s25
	s_add_u32 s10, s10, s15
	s_addc_u32 s11, s11, s20
	v_add_co_u32 v1, s10, s10, v1
	s_delay_alu instid0(VALU_DEP_1) | instskip(SKIP_2) | instid1(VALU_DEP_1)
	v_add_co_ci_u32_e64 v2, null, s11, 0, s10
	s_load_b32 s10, s[22:23], 0x0
	s_waitcnt lgkmcnt(0)
	v_mad_i64_i32 v[3:4], null, s12, s5, v[1:2]
	v_mad_i64_i32 v[9:10], null, s7, s5, v[1:2]
	;; [unrolled: 1-line block ×7, first 2 shown]
	s_clause 0x5
	global_load_b128 v[49:52], v[3:4], off
	global_load_b128 v[53:56], v[3:4], off offset:16
	global_load_b128 v[41:44], v[5:6], off
	global_load_b128 v[45:48], v[5:6], off offset:16
	;; [unrolled: 2-line block ×3, first 2 shown]
	s_mov_b32 s4, 0
	v_mad_i64_i32 v[61:62], null, s10, s5, v[1:2]
	s_clause 0x9
	global_load_b128 v[1:4], v[9:10], off
	global_load_b128 v[5:8], v[9:10], off offset:16
	global_load_b128 v[9:12], v[13:14], off
	global_load_b128 v[13:16], v[13:14], off offset:16
	;; [unrolled: 2-line block ×5, first 2 shown]
	s_mov_b32 s5, s4
	s_mov_b32 s6, s4
	;; [unrolled: 1-line block ×7, first 2 shown]
	v_and_b32_e32 v104, 0xe0, v0
	v_dual_mov_b32 v126, s11 :: v_dual_mov_b32 v123, s8
	v_dual_mov_b32 v125, s10 :: v_dual_mov_b32 v124, s9
	s_delay_alu instid0(VALU_DEP_3)
	v_add_nc_u32_e32 v111, s16, v104
	ds_load_b128 v[103:106], v115
	ds_load_b128 v[107:110], v115 offset:1024
	v_dual_mov_b32 v122, s7 :: v_dual_mov_b32 v121, s6
	v_mov_b32_e32 v120, s5
	v_or_b32_e32 v135, v111, v66
	ds_load_b128 v[111:114], v115 offset:2048
	ds_load_b128 v[115:118], v115 offset:3072
	v_mov_b32_e32 v119, s4
	s_waitcnt vmcnt(0) lgkmcnt(0)
	s_barrier
	v_or_b32_e32 v137, 2, v135
	v_or_b32_e32 v138, 4, v135
	;; [unrolled: 1-line block ×3, first 2 shown]
	v_cmp_gt_i32_e32 vcc_lo, s18, v135
	v_or_b32_e32 v140, 8, v135
	v_cmp_gt_i32_e64 s3, s18, v137
	v_or_b32_e32 v141, 10, v135
	v_cmp_gt_i32_e64 s4, s18, v138
	v_cmp_gt_i32_e64 s5, s18, v139
	v_or_b32_e32 v142, 12, v135
	v_or_b32_e32 v143, 14, v135
	v_cmp_gt_i32_e64 s6, s18, v140
	v_cmp_gt_i32_e64 s7, s18, v141
	v_or_b32_e32 v144, 16, v135
	v_or_b32_e32 v145, 18, v135
	v_cmp_gt_i32_e64 s8, s18, v142
	v_cmp_gt_i32_e64 s9, s18, v143
	buffer_gl0_inv
	v_cmp_gt_i32_e64 s10, s18, v144
	v_cmp_gt_i32_e64 s11, s18, v145
	v_wmma_f32_16x16x16_f16 v[127:134], v[71:78], v[103:110], v[119:126]
	v_wmma_f32_16x16x16_f16 v[119:126], v[79:86], v[103:110], v[119:126]
	v_or_b32_e32 v71, 20, v135
	v_or_b32_e32 v72, 22, v135
	s_delay_alu instid0(VALU_DEP_4)
	v_wmma_f32_16x16x16_f16 v[127:134], v[87:94], v[111:118], v[127:134]
	v_or_b32_e32 v73, 24, v135
	v_wmma_f32_16x16x16_f16 v[119:126], v[95:102], v[111:118], v[119:126]
	v_or_b32_e32 v74, 26, v135
	v_cmp_gt_i32_e64 s12, s18, v71
	v_dual_mul_f32 v83, s19, v128 :: v_dual_mul_f32 v84, s19, v127
	s_delay_alu instid0(VALU_DEP_4) | instskip(SKIP_1) | instid1(VALU_DEP_3)
	v_dual_mul_f32 v81, s19, v130 :: v_dual_mul_f32 v92, s19, v119
	v_mul_f32_e32 v82, s19, v129
	v_cndmask_b32_e64 v83, 0xff7fffff, v83, s3
	s_delay_alu instid0(VALU_DEP_4)
	v_cndmask_b32_e32 v84, 0xff7fffff, v84, vcc_lo
	v_dual_mul_f32 v79, s19, v132 :: v_dual_mul_f32 v90, s19, v121
	v_mul_f32_e32 v80, s19, v131
	v_cndmask_b32_e64 v82, 0xff7fffff, v82, s4
	v_cndmask_b32_e64 v81, 0xff7fffff, v81, s5
	v_max3_f32 v83, v84, 0xff7fffff, v83
	v_dual_mul_f32 v77, s19, v134 :: v_dual_mul_f32 v88, s19, v123
	v_mul_f32_e32 v78, s19, v133
	v_cndmask_b32_e64 v80, 0xff7fffff, v80, s6
	v_cndmask_b32_e64 v79, 0xff7fffff, v79, s7
	v_max3_f32 v81, v83, v82, v81
	v_mul_f32_e32 v91, s19, v120
	v_cndmask_b32_e64 v78, 0xff7fffff, v78, s8
	v_cndmask_b32_e64 v77, 0xff7fffff, v77, s9
	v_mul_f32_e32 v89, s19, v122
	v_max3_f32 v79, v81, v80, v79
	v_cndmask_b32_e64 v80, 0xff7fffff, v92, s10
	v_cndmask_b32_e64 v81, 0xff7fffff, v91, s11
	v_cmp_gt_i32_e64 s13, s18, v72
	v_or_b32_e32 v75, 28, v135
	v_max3_f32 v77, v79, v78, v77
	v_or_b32_e32 v76, 30, v135
	v_mul_f32_e32 v87, s19, v124
	v_cndmask_b32_e64 v71, 0xff7fffff, v90, s12
	v_cndmask_b32_e64 v72, 0xff7fffff, v89, s13
	v_max3_f32 v77, v77, v80, v81
	v_cmp_gt_i32_e64 s15, s18, v73
	v_cmp_gt_i32_e64 s16, s18, v74
	v_dual_mul_f32 v85, s19, v126 :: v_dual_mul_f32 v86, s19, v125
	s_delay_alu instid0(VALU_DEP_4) | instskip(NEXT) | instid1(VALU_DEP_4)
	v_max3_f32 v71, v77, v71, v72
	v_cndmask_b32_e64 v73, 0xff7fffff, v88, s15
	s_delay_alu instid0(VALU_DEP_4) | instskip(SKIP_2) | instid1(VALU_DEP_3)
	v_cndmask_b32_e64 v74, 0xff7fffff, v87, s16
	v_cmp_gt_i32_e64 s17, s18, v75
	v_cmp_gt_i32_e64 s18, s18, v76
	v_max3_f32 v71, v71, v73, v74
	s_delay_alu instid0(VALU_DEP_3) | instskip(NEXT) | instid1(VALU_DEP_3)
	v_cndmask_b32_e64 v72, 0xff7fffff, v86, s17
	v_cndmask_b32_e64 v75, 0xff7fffff, v85, s18
	v_lshlrev_b32_e32 v73, 2, v136
	s_delay_alu instid0(VALU_DEP_2) | instskip(SKIP_3) | instid1(VALU_DEP_1)
	v_max3_f32 v71, v71, v72, v75
	ds_bpermute_b32 v72, v73, v71
	s_waitcnt lgkmcnt(0)
	v_max_f32_e32 v72, v72, v72
	v_max_f32_e32 v71, v71, v72
	s_delay_alu instid0(VALU_DEP_1)
	v_fma_f32 v72, s19, v127, -v71
	v_fma_f32 v74, s19, v128, -v71
	;; [unrolled: 1-line block ×5, first 2 shown]
	v_mul_f32_e32 v72, 0x3fb8aa3b, v72
	v_mul_f32_e32 v74, 0x3fb8aa3b, v74
	v_fma_f32 v80, s19, v133, -v71
	s_delay_alu instid0(VALU_DEP_4) | instskip(NEXT) | instid1(VALU_DEP_4)
	v_dual_mul_f32 v76, 0x3fb8aa3b, v76 :: v_dual_mul_f32 v77, 0x3fb8aa3b, v77
	v_exp_f32_e32 v72, v72
	s_delay_alu instid0(VALU_DEP_3) | instskip(NEXT) | instid1(VALU_DEP_2)
	v_exp_f32_e32 v74, v74
	v_mul_f32_e32 v82, 0x3fb8aa3b, v80
	s_delay_alu instid0(VALU_DEP_2) | instskip(SKIP_1) | instid1(VALU_DEP_1)
	v_exp_f32_e32 v76, v76
	v_exp_f32_e32 v77, v77
	;; [unrolled: 1-line block ×3, first 2 shown]
	v_cndmask_b32_e32 v79, 0, v72, vcc_lo
	v_fma_f32 v72, s19, v132, -v71
	v_mul_f32_e32 v75, 0x3fb8aa3b, v75
	v_cndmask_b32_e64 v78, 0, v74, s3
	s_delay_alu instid0(TRANS32_DEP_3)
	v_cndmask_b32_e64 v80, 0, v76, s5
	v_add_f32_e32 v74, 0, v79
	v_mul_f32_e32 v72, 0x3fb8aa3b, v72
	v_exp_f32_e32 v75, v75
	v_cndmask_b32_e64 v83, 0, v77, s6
	v_cndmask_b32_e64 v85, 0, v84, s8
	v_add_f32_e32 v74, v74, v78
	v_exp_f32_e32 v72, v72
	v_cmp_gt_u32_e64 s3, 16, v70
	s_waitcnt_depctr 0xfff
	v_cndmask_b32_e64 v81, 0, v75, s4
	v_cndmask_b32_e64 v82, 0, v72, s7
	s_delay_alu instid0(VALU_DEP_2) | instskip(NEXT) | instid1(VALU_DEP_1)
	v_add_f32_e32 v74, v74, v81
	v_add_f32_e32 v74, v74, v80
	s_delay_alu instid0(VALU_DEP_1) | instskip(SKIP_4) | instid1(VALU_DEP_4)
	v_add_f32_e32 v72, v74, v83
	v_fma_f32 v75, s19, v134, -v71
	v_fma_f32 v76, s19, v119, -v71
	;; [unrolled: 1-line block ×4, first 2 shown]
	v_dual_add_f32 v72, v72, v82 :: v_dual_mul_f32 v75, 0x3fb8aa3b, v75
	s_delay_alu instid0(VALU_DEP_3) | instskip(SKIP_1) | instid1(VALU_DEP_3)
	v_dual_mul_f32 v76, 0x3fb8aa3b, v76 :: v_dual_mul_f32 v77, 0x3fb8aa3b, v77
	v_fma_f32 v86, s19, v122, -v71
	v_add_f32_e32 v72, v72, v85
	s_delay_alu instid0(VALU_DEP_4) | instskip(NEXT) | instid1(VALU_DEP_3)
	v_exp_f32_e32 v75, v75
	v_exp_f32_e32 v76, v76
	;; [unrolled: 1-line block ×3, first 2 shown]
	v_mul_f32_e32 v86, 0x3fb8aa3b, v86
	s_delay_alu instid0(VALU_DEP_1) | instskip(SKIP_3) | instid1(TRANS32_DEP_3)
	v_exp_f32_e32 v88, v86
	v_cndmask_b32_e64 v84, 0, v75, s9
	v_fma_f32 v75, s19, v123, -v71
	v_mul_f32_e32 v74, 0x3fb8aa3b, v74
	v_cndmask_b32_e64 v87, 0, v76, s10
	v_fma_f32 v76, s19, v124, -v71
	s_delay_alu instid0(VALU_DEP_4) | instskip(NEXT) | instid1(VALU_DEP_4)
	v_dual_add_f32 v72, v72, v84 :: v_dual_mul_f32 v75, 0x3fb8aa3b, v75
	v_exp_f32_e32 v74, v74
	v_cndmask_b32_e64 v86, 0, v77, s11
	v_fma_f32 v77, s19, v125, -v71
	s_delay_alu instid0(VALU_DEP_3) | instskip(SKIP_3) | instid1(VALU_DEP_3)
	v_add_f32_e32 v72, v72, v87
	v_mul_f32_e32 v76, 0x3fb8aa3b, v76
	v_exp_f32_e32 v75, v75
	v_cndmask_b32_e64 v88, 0, v88, s13
	v_add_f32_e32 v72, v72, v86
	s_delay_alu instid0(VALU_DEP_3) | instskip(NEXT) | instid1(TRANS32_DEP_3)
	v_exp_f32_e32 v76, v76
	v_cndmask_b32_e64 v89, 0, v74, s12
	v_mul_f32_e32 v74, 0x3fb8aa3b, v77
	v_fma_f32 v77, s19, v126, -v71
	s_delay_alu instid0(VALU_DEP_3) | instskip(NEXT) | instid1(VALU_DEP_3)
	v_add_f32_e32 v72, v72, v89
	v_exp_f32_e32 v74, v74
	s_delay_alu instid0(TRANS32_DEP_3) | instskip(NEXT) | instid1(VALU_DEP_3)
	v_cndmask_b32_e64 v91, 0, v75, s15
	v_mul_f32_e32 v75, 0x3fb8aa3b, v77
	s_delay_alu instid0(TRANS32_DEP_2) | instskip(SKIP_1) | instid1(VALU_DEP_3)
	v_cndmask_b32_e64 v90, 0, v76, s16
	v_add_f32_e32 v72, v72, v88
	v_exp_f32_e32 v75, v75
	s_delay_alu instid0(VALU_DEP_1) | instskip(NEXT) | instid1(TRANS32_DEP_2)
	v_add_f32_e32 v72, v72, v91
	v_cndmask_b32_e64 v93, 0, v74, s17
	s_delay_alu instid0(VALU_DEP_2) | instskip(SKIP_3) | instid1(VALU_DEP_1)
	v_add_f32_e32 v72, v72, v90
	s_waitcnt_depctr 0xfff
	v_cndmask_b32_e64 v92, 0, v75, s18
	v_add_f32_e32 v72, v72, v93
	v_add_f32_e32 v72, v72, v92
	ds_bpermute_b32 v73, v73, v72
	s_and_saveexec_b32 s4, s3
	s_cbranch_execz .LBB1106_12
; %bb.11:
	v_mul_u32_u24_e32 v70, 0x44, v69
	s_waitcnt lgkmcnt(0)
	v_add_f32_e32 v72, v72, v73
	s_delay_alu instid0(VALU_DEP_2) | instskip(NEXT) | instid1(VALU_DEP_1)
	v_lshl_add_u32 v70, v68, 2, v70
	v_add_nc_u32_e32 v70, 0x4000, v70
	ds_store_2addr_b32 v70, v71, v72 offset1:136
.LBB1106_12:
	s_or_b32 exec_lo, exec_lo, s4
	v_lshlrev_b32_e32 v70, 2, v68
	s_load_b32 s36, s[0:1], 0x94
	s_waitcnt lgkmcnt(0)
	s_barrier
	buffer_gl0_inv
	v_add_nc_u32_e32 v98, 0x4000, v70
	v_cmp_eq_u32_e32 vcc_lo, 1, v69
	v_cmp_eq_u32_e64 s4, 2, v69
	v_cmp_eq_u32_e64 s5, 3, v69
	;; [unrolled: 1-line block ×3, first 2 shown]
	ds_load_2addr_b32 v[70:71], v98 offset1:17
	ds_load_2addr_b32 v[72:73], v98 offset0:34 offset1:51
	ds_load_2addr_b32 v[74:75], v98 offset0:68 offset1:85
	;; [unrolled: 1-line block ×3, first 2 shown]
	v_cmp_eq_u32_e64 s7, 5, v69
	v_cmp_eq_u32_e64 s8, 7, v69
	s_waitcnt lgkmcnt(3)
	v_max3_f32 v76, v70, 0xff7fffff, v71
	s_waitcnt lgkmcnt(2)
	s_delay_alu instid0(VALU_DEP_1) | instskip(SKIP_1) | instid1(VALU_DEP_1)
	v_max3_f32 v76, v76, v72, v73
	s_waitcnt lgkmcnt(1)
	v_max3_f32 v76, v76, v74, v75
	s_waitcnt lgkmcnt(0)
	s_delay_alu instid0(VALU_DEP_1) | instskip(NEXT) | instid1(VALU_DEP_1)
	v_max3_f32 v76, v76, v94, v95
	v_sub_f32_e32 v77, v71, v76
	ds_load_2addr_b32 v[96:97], v98 offset0:136 offset1:153
	v_sub_f32_e32 v74, v74, v76
	v_sub_f32_e32 v70, v70, v76
	;; [unrolled: 1-line block ×3, first 2 shown]
	v_dual_sub_f32 v72, v72, v76 :: v_dual_mul_f32 v77, 0x3fb8aa3b, v77
	s_delay_alu instid0(VALU_DEP_4) | instskip(NEXT) | instid1(VALU_DEP_4)
	v_mul_f32_e32 v103, 0x3fb8aa3b, v74
	v_mul_f32_e32 v99, 0x3fb8aa3b, v70
	ds_load_2addr_b32 v[70:71], v98 offset0:170 offset1:187
	v_dual_mul_f32 v101, 0x3fb8aa3b, v72 :: v_dual_mul_f32 v94, 0x3fb8aa3b, v94
	v_exp_f32_e32 v102, v77
	v_exp_f32_e32 v99, v99
	s_delay_alu instid0(VALU_DEP_1) | instskip(NEXT) | instid1(VALU_DEP_1)
	v_exp_f32_e32 v101, v101
	v_exp_f32_e32 v94, v94
	s_waitcnt lgkmcnt(1)
	s_delay_alu instid0(TRANS32_DEP_3)
	v_fma_f32 v77, v99, v96, 0
	v_sub_f32_e32 v100, v73, v76
	ds_load_2addr_b32 v[72:73], v98 offset0:204 offset1:221
	v_fmac_f32_e32 v77, v102, v97
	v_exp_f32_e32 v97, v103
	s_waitcnt lgkmcnt(1)
	s_delay_alu instid0(VALU_DEP_1)
	v_dual_fmac_f32 v77, v101, v70 :: v_dual_sub_f32 v96, v75, v76
	ds_load_2addr_b32 v[74:75], v98 offset0:238 offset1:255
	v_sub_f32_e32 v70, v95, v76
	s_waitcnt lgkmcnt(0)
	s_barrier
	v_mul_f32_e32 v96, 0x3fb8aa3b, v96
	buffer_gl0_inv
	v_exp_f32_e32 v95, v96
	v_mul_f32_e32 v100, 0x3fb8aa3b, v100
	s_delay_alu instid0(VALU_DEP_1) | instskip(SKIP_3) | instid1(VALU_DEP_2)
	v_exp_f32_e32 v100, v100
	s_waitcnt_depctr 0xfff
	v_dual_fmac_f32 v77, v100, v71 :: v_dual_mul_f32 v70, 0x3fb8aa3b, v70
	v_cndmask_b32_e32 v71, v99, v102, vcc_lo
	v_fmac_f32_e32 v77, v97, v72
	s_delay_alu instid0(VALU_DEP_3) | instskip(NEXT) | instid1(VALU_DEP_1)
	v_exp_f32_e32 v96, v70
	v_fmac_f32_e32 v77, v95, v73
	s_delay_alu instid0(VALU_DEP_1) | instskip(SKIP_2) | instid1(VALU_DEP_1)
	v_fmac_f32_e32 v77, v94, v74
	s_waitcnt_depctr 0xfff
	v_fmac_f32_e32 v77, v96, v75
	v_add_f32_e32 v74, 0x358637bd, v77
	s_delay_alu instid0(VALU_DEP_1) | instskip(SKIP_1) | instid1(VALU_DEP_2)
	v_div_scale_f32 v98, null, v74, v74, 1.0
	v_div_scale_f32 v99, vcc_lo, 1.0, v74, 1.0
	v_rcp_f32_e32 v103, v98
	s_waitcnt_depctr 0xfff
	v_fma_f32 v70, -v98, v103, 1.0
	s_delay_alu instid0(VALU_DEP_1) | instskip(SKIP_2) | instid1(VALU_DEP_2)
	v_fmac_f32_e32 v103, v70, v103
	v_cndmask_b32_e64 v70, v71, v101, s4
	v_cmp_eq_u32_e64 s4, 6, v69
	v_cndmask_b32_e64 v71, v70, v100, s5
	s_delay_alu instid0(VALU_DEP_4) | instskip(NEXT) | instid1(VALU_DEP_2)
	v_dual_mul_f32 v101, v99, v103 :: v_dual_lshlrev_b32 v70, 2, v66
	v_cndmask_b32_e64 v71, v71, v97, s6
	s_delay_alu instid0(VALU_DEP_2) | instskip(NEXT) | instid1(VALU_DEP_3)
	v_or_b32_e32 v72, 1, v70
	v_fma_f32 v100, -v98, v101, v99
	v_cmp_eq_u32_e64 s5, 1, v70
	v_cmp_eq_u32_e64 s6, 2, v70
	v_cndmask_b32_e64 v95, v71, v95, s7
	v_or_b32_e32 v71, 3, v70
	v_fmac_f32_e32 v101, v100, v103
	v_cmp_eq_u32_e64 s10, 1, v72
	v_cmp_eq_u32_e64 s13, 2, v72
	v_cndmask_b32_e64 v94, v95, v94, s4
	v_cmp_eq_u32_e64 s12, 1, v71
	v_fma_f32 v97, -v98, v101, v99
	v_cmp_eq_u32_e64 s17, 2, v71
	v_cmp_eq_u32_e64 s15, 3, v72
	v_cndmask_b32_e64 v94, v94, v96, s8
	v_cmp_eq_u32_e64 s19, 3, v71
	v_div_fmas_f32 v95, v97, v103, v101
	v_cmp_eq_u32_e32 vcc_lo, 3, v70
	v_cmp_eq_u32_e64 s4, 4, v70
	v_cmp_eq_u32_e64 s20, 4, v72
	v_cmp_eq_u32_e64 s23, 4, v71
	v_div_fixup_f32 v95, v95, v74, 1.0
	v_lshlrev_b32_e32 v73, 6, v68
	v_cmp_eq_u32_e64 s7, 5, v70
	v_cmp_eq_u32_e64 s21, 5, v72
	;; [unrolled: 1-line block ×3, first 2 shown]
	v_mul_f32_e32 v102, v94, v95
	v_lshl_or_b32 v75, v69, 11, v73
	v_or_b32_e32 v69, 2, v70
	v_cmp_eq_u32_e64 s26, 6, v72
	v_cmp_eq_u32_e64 s28, 6, v71
	v_fma_mixlo_f16 v94, v102, v79, 0
	v_fma_mixlo_f16 v95, v102, v81, 0
	;; [unrolled: 1-line block ×8, first 2 shown]
	v_lshl_or_b32 v74, v66, 4, v75
	v_fma_mixhi_f16 v94, v102, v78, 0
	v_fma_mixhi_f16 v95, v102, v80, 0
	;; [unrolled: 1-line block ×8, first 2 shown]
	ds_store_b128 v74, v[94:97]
	ds_store_b128 v74, v[98:101] offset:1024
	s_waitcnt lgkmcnt(0)
	s_barrier
	buffer_gl0_inv
	ds_load_b128 v[78:81], v75
	ds_load_b128 v[82:85], v75 offset:16
	ds_load_b128 v[86:89], v75 offset:1024
	;; [unrolled: 1-line block ×3, first 2 shown]
	v_cmp_eq_u32_e64 s11, 1, v69
	v_cmp_eq_u32_e64 s16, 2, v69
	;; [unrolled: 1-line block ×11, first 2 shown]
	s_waitcnt lgkmcnt(3)
	v_lshrrev_b32_e32 v94, 16, v78
	s_waitcnt lgkmcnt(2)
	v_lshrrev_b32_e32 v98, 16, v82
	;; [unrolled: 2-line block ×4, first 2 shown]
	v_lshrrev_b32_e32 v95, 16, v79
	v_cndmask_b32_e64 v110, v78, v94, s5
	v_cndmask_b32_e64 v111, v82, v98, s5
	;; [unrolled: 1-line block ×8, first 2 shown]
	v_lshrrev_b32_e32 v99, 16, v83
	v_cndmask_b32_e64 v94, v86, v102, s5
	v_cndmask_b32_e64 v98, v90, v106, s5
	;; [unrolled: 1-line block ×15, first 2 shown]
	v_lshrrev_b32_e32 v103, 16, v87
	v_lshrrev_b32_e32 v107, 16, v91
	v_cndmask_b32_e64 v113, v115, v83, s16
	v_cndmask_b32_e64 v82, v94, v87, s6
	;; [unrolled: 1-line block ×7, first 2 shown]
	v_cndmask_b32_e32 v90, v102, v95, vcc_lo
	v_cndmask_b32_e32 v102, v106, v99, vcc_lo
	v_cndmask_b32_e64 v106, v110, v95, s15
	v_cndmask_b32_e64 v110, v111, v99, s15
	v_cndmask_b32_e64 v78, v78, v95, s19
	v_cndmask_b32_e64 v79, v79, v99, s19
	v_lshrrev_b32_e32 v96, 16, v80
	v_lshrrev_b32_e32 v100, 16, v84
	v_cndmask_b32_e64 v111, v112, v95, s18
	v_cndmask_b32_e64 v112, v113, v99, s18
	v_cndmask_b32_e32 v82, v82, v103, vcc_lo
	v_cndmask_b32_e32 v83, v83, v107, vcc_lo
	v_cndmask_b32_e64 v94, v94, v103, s15
	v_cndmask_b32_e64 v90, v90, v80, s4
	v_cndmask_b32_e64 v95, v102, v84, s4
	v_cndmask_b32_e64 v99, v106, v80, s20
	v_cndmask_b32_e64 v102, v110, v84, s20
	v_cndmask_b32_e64 v78, v78, v80, s23
	v_cndmask_b32_e64 v79, v79, v84, s23
	v_lshrrev_b32_e32 v104, 16, v88
	v_cndmask_b32_e64 v106, v111, v80, s22
	v_cndmask_b32_e64 v110, v112, v84, s22
	;; [unrolled: 1-line block ×11, first 2 shown]
	v_lshrrev_b32_e32 v97, 16, v81
	v_lshrrev_b32_e32 v101, 16, v85
	v_cndmask_b32_e64 v99, v106, v96, s24
	v_cndmask_b32_e64 v102, v110, v100, s24
	;; [unrolled: 1-line block ×7, first 2 shown]
	v_lshrrev_b32_e32 v105, 16, v89
	v_cndmask_b32_e64 v80, v80, v104, s7
	v_cndmask_b32_e64 v84, v84, v81, s8
	;; [unrolled: 1-line block ×16, first 2 shown]
	v_perm_b32 v81, v79, v78, 0x5040100
	v_perm_b32 v79, v95, v85, 0x5040100
	v_cndmask_b32_e64 v78, v119, v91, s16
	v_cndmask_b32_e64 v85, v117, v91, s13
	;; [unrolled: 1-line block ×3, first 2 shown]
	v_perm_b32 v80, v94, v90, 0x5040100
	v_cndmask_b32_e64 v90, v98, v103, s18
	v_cndmask_b32_e64 v86, v86, v103, s19
	;; [unrolled: 1-line block ×5, first 2 shown]
	v_lshrrev_b32_e32 v108, 16, v92
	v_cndmask_b32_e64 v90, v90, v88, s22
	v_cndmask_b32_e64 v86, v86, v88, s23
	;; [unrolled: 1-line block ×11, first 2 shown]
	v_lshrrev_b32_e32 v109, 16, v93
	v_cndmask_b32_e64 v82, v82, v93, s8
	v_cndmask_b32_e64 v88, v88, v89, s27
	;; [unrolled: 1-line block ×12, first 2 shown]
	v_perm_b32 v78, v84, v83, 0x5040100
	v_perm_b32 v85, v87, v86, 0x5040100
	;; [unrolled: 1-line block ×5, first 2 shown]
	s_mul_i32 s9, s35, 5
	s_mov_b32 s4, exec_lo
	ds_store_b128 v74, v[78:81]
	ds_store_b128 v74, v[82:85] offset:1024
	v_cmpx_gt_u32_e32 5, v0
	s_cbranch_execz .LBB1106_14
; %bb.13:
	s_mul_i32 s5, s9, s34
	s_load_b128 s[16:19], s[0:1], 0x58
	v_add3_u32 v68, s5, s33, v68
	s_delay_alu instid0(VALU_DEP_1) | instskip(NEXT) | instid1(VALU_DEP_1)
	v_mad_u64_u32 v[78:79], null, v68, s36, s[14:15]
	v_ashrrev_i32_e32 v79, 31, v78
	s_delay_alu instid0(VALU_DEP_1) | instskip(SKIP_1) | instid1(VALU_DEP_1)
	v_lshlrev_b64 v[78:79], 2, v[78:79]
	s_waitcnt lgkmcnt(0)
	v_add_co_u32 v80, vcc_lo, s18, v78
	s_delay_alu instid0(VALU_DEP_2)
	v_add_co_ci_u32_e32 v81, vcc_lo, s19, v79, vcc_lo
	v_add_co_u32 v78, vcc_lo, s16, v78
	v_add_co_ci_u32_e32 v79, vcc_lo, s17, v79, vcc_lo
	global_store_b32 v[80:81], v76, off
	global_store_b32 v[78:79], v77, off
.LBB1106_14:
	s_or_b32 exec_lo, exec_lo, s4
	s_waitcnt lgkmcnt(0)
	s_waitcnt_vscnt null, 0x0
	s_barrier
	buffer_gl0_inv
	ds_load_b128 v[84:87], v73
	ds_load_b128 v[88:91], v73 offset:16
	ds_load_b128 v[96:99], v73 offset:2064
	;; [unrolled: 1-line block ×5, first 2 shown]
	v_cmp_eq_u32_e32 vcc_lo, 1, v70
	v_mov_b32_e32 v76, 0
	ds_load_b128 v[112:115], v73 offset:6160
	ds_load_b128 v[108:111], v73 offset:6144
	;; [unrolled: 1-line block ×4, first 2 shown]
	v_cmp_eq_u32_e64 s5, 1, v69
	v_cmp_eq_u32_e64 s4, 1, v72
	;; [unrolled: 1-line block ×3, first 2 shown]
	v_mov_b32_e32 v77, v76
	v_mov_b32_e32 v78, v76
	;; [unrolled: 1-line block ×7, first 2 shown]
	v_cmp_eq_u32_e64 s7, 3, v72
	v_cmp_eq_u32_e64 s8, 7, v72
	s_waitcnt lgkmcnt(8)
	s_delay_alu instid0(VALU_DEP_3)
	v_wmma_f32_16x16x16_f16 v[76:83], v[49:56], v[84:91], v[76:83]
	ds_load_b128 v[53:56], v73 offset:10256
	ds_load_b128 v[49:52], v73 offset:10240
	s_waitcnt lgkmcnt(8)
	v_wmma_f32_16x16x16_f16 v[76:83], v[41:48], v[92:99], v[76:83]
	ds_load_b128 v[45:48], v73 offset:12304
	ds_load_b128 v[41:44], v73 offset:12288
	s_waitcnt lgkmcnt(8)
	;; [unrolled: 4-line block ×3, first 2 shown]
	s_barrier
	buffer_gl0_inv
	v_wmma_f32_16x16x16_f16 v[76:83], v[1:8], v[108:115], v[76:83]
	s_delay_alu instid0(VALU_DEP_1) | instskip(NEXT) | instid1(VALU_DEP_1)
	v_wmma_f32_16x16x16_f16 v[76:83], v[9:16], v[116:123], v[76:83]
	v_wmma_f32_16x16x16_f16 v[76:83], v[17:24], v[49:56], v[76:83]
	s_delay_alu instid0(VALU_DEP_1) | instskip(NEXT) | instid1(VALU_DEP_1)
	v_wmma_f32_16x16x16_f16 v[76:83], v[25:32], v[41:48], v[76:83]
	v_wmma_f32_16x16x16_f16 v[76:83], v[57:64], v[33:40], v[76:83]
	s_delay_alu instid0(VALU_DEP_1) | instskip(NEXT) | instid1(VALU_DEP_2)
	v_cvt_f16_f32_e32 v1, v76
	v_cvt_f16_f32_e32 v2, v77
	s_delay_alu instid0(VALU_DEP_3) | instskip(NEXT) | instid1(VALU_DEP_4)
	v_cvt_f16_f32_e32 v3, v78
	v_cvt_f16_f32_e32 v4, v79
	;; [unrolled: 1-line block ×6, first 2 shown]
	v_pack_b32_f16 v1, v1, v2
	v_pack_b32_f16 v2, v3, v4
	;; [unrolled: 1-line block ×3, first 2 shown]
	s_delay_alu instid0(VALU_DEP_4)
	v_pack_b32_f16 v4, v7, v8
	ds_store_b128 v74, v[1:4]
	s_waitcnt lgkmcnt(0)
	s_barrier
	buffer_gl0_inv
	ds_load_b128 v[1:4], v75
	ds_load_b128 v[5:8], v75 offset:16
	s_waitcnt lgkmcnt(1)
	v_lshrrev_b32_e32 v9, 16, v1
	s_waitcnt lgkmcnt(0)
	v_lshrrev_b32_e32 v13, 16, v5
	v_lshrrev_b32_e32 v10, 16, v2
	v_lshrrev_b32_e32 v14, 16, v6
	v_lshrrev_b32_e32 v11, 16, v3
	v_cndmask_b32_e32 v17, v1, v9, vcc_lo
	v_cndmask_b32_e32 v18, v5, v13, vcc_lo
	v_cndmask_b32_e64 v21, v1, v9, s5
	v_cmp_eq_u32_e32 vcc_lo, 1, v71
	v_cndmask_b32_e64 v22, v5, v13, s5
	v_cmp_eq_u32_e64 s5, 2, v70
	v_cndmask_b32_e64 v19, v1, v9, s4
	v_cndmask_b32_e64 v20, v5, v13, s4
	v_cndmask_b32_e32 v1, v1, v9, vcc_lo
	v_cmp_eq_u32_e64 s4, 2, v71
	v_cndmask_b32_e32 v5, v5, v13, vcc_lo
	v_cndmask_b32_e64 v9, v17, v2, s5
	v_cmp_eq_u32_e32 vcc_lo, 3, v70
	v_cndmask_b32_e64 v13, v18, v6, s5
	v_cmp_eq_u32_e64 s5, 2, v69
	v_cndmask_b32_e64 v17, v19, v2, s6
	v_cndmask_b32_e64 v18, v20, v6, s6
	v_cmp_eq_u32_e64 s6, 3, v69
	v_cndmask_b32_e64 v1, v1, v2, s4
	v_cndmask_b32_e64 v19, v21, v2, s5
	;; [unrolled: 1-line block ×4, first 2 shown]
	v_cndmask_b32_e32 v5, v9, v10, vcc_lo
	v_cndmask_b32_e32 v6, v13, v14, vcc_lo
	v_cmp_eq_u32_e32 vcc_lo, 3, v71
	v_cndmask_b32_e64 v9, v17, v10, s7
	v_cndmask_b32_e64 v13, v18, v14, s7
	;; [unrolled: 1-line block ×3, first 2 shown]
	v_cmp_eq_u32_e64 s5, 4, v70
	v_cndmask_b32_e32 v1, v1, v10, vcc_lo
	v_cndmask_b32_e32 v2, v2, v14, vcc_lo
	v_cmp_eq_u32_e32 vcc_lo, 4, v72
	v_lshrrev_b32_e32 v15, 16, v7
	v_lshrrev_b32_e32 v16, 16, v8
	v_cndmask_b32_e64 v17, v19, v10, s6
	v_cmp_eq_u32_e64 s4, 4, v71
	v_cndmask_b32_e64 v5, v5, v3, s5
	v_cndmask_b32_e64 v6, v6, v7, s5
	v_cndmask_b32_e32 v9, v9, v3, vcc_lo
	v_cmp_eq_u32_e64 s5, 5, v72
	v_cndmask_b32_e32 v10, v13, v7, vcc_lo
	v_cmp_eq_u32_e32 vcc_lo, 4, v69
	v_cmp_eq_u32_e64 s6, 5, v70
	v_cndmask_b32_e64 v2, v2, v7, s4
	v_cndmask_b32_e64 v9, v9, v11, s5
	v_cndmask_b32_e64 v10, v10, v15, s5
	v_cndmask_b32_e32 v13, v17, v3, vcc_lo
	v_cmp_eq_u32_e64 s5, 5, v69
	v_cndmask_b32_e32 v14, v18, v7, vcc_lo
	v_cndmask_b32_e64 v1, v1, v3, s4
	v_cmp_eq_u32_e32 vcc_lo, 5, v71
	v_lshrrev_b32_e32 v12, 16, v4
	v_cndmask_b32_e64 v13, v13, v11, s5
	v_cndmask_b32_e64 v3, v14, v15, s5
	v_cmp_eq_u32_e64 s5, 6, v71
	v_cndmask_b32_e32 v1, v1, v11, vcc_lo
	v_cndmask_b32_e64 v5, v5, v11, s6
	v_cmp_eq_u32_e64 s7, 6, v70
	v_cndmask_b32_e64 v6, v6, v15, s6
	v_cmp_eq_u32_e64 s6, 6, v72
	v_cmp_eq_u32_e64 s4, 6, v69
	v_cndmask_b32_e64 v1, v1, v4, s5
	v_cndmask_b32_e32 v2, v2, v15, vcc_lo
	v_cmp_eq_u32_e32 vcc_lo, 7, v71
	v_cndmask_b32_e64 v5, v5, v4, s7
	v_cndmask_b32_e64 v9, v9, v4, s6
	;; [unrolled: 1-line block ×3, first 2 shown]
	v_cmp_eq_u32_e64 s7, 7, v70
	v_cndmask_b32_e32 v1, v1, v12, vcc_lo
	v_cndmask_b32_e64 v7, v13, v4, s4
	v_cndmask_b32_e64 v3, v3, v8, s4
	;; [unrolled: 1-line block ×3, first 2 shown]
	v_cmp_eq_u32_e64 s4, 7, v69
	v_cndmask_b32_e64 v4, v10, v8, s6
	v_cndmask_b32_e64 v5, v5, v12, s7
	;; [unrolled: 1-line block ×3, first 2 shown]
	v_cndmask_b32_e32 v2, v2, v16, vcc_lo
	v_cndmask_b32_e64 v7, v7, v12, s4
	v_cndmask_b32_e64 v3, v3, v16, s4
	;; [unrolled: 1-line block ×4, first 2 shown]
	v_cmp_gt_u32_e32 vcc_lo, 32, v0
	v_perm_b32 v4, v2, v1, 0x5040100
	v_perm_b32 v3, v3, v7, 0x5040100
	;; [unrolled: 1-line block ×4, first 2 shown]
	s_and_b32 s2, vcc_lo, s2
	ds_store_b128 v74, v[1:4]
	s_waitcnt lgkmcnt(0)
	s_barrier
	buffer_gl0_inv
	s_and_saveexec_b32 s4, s2
	s_cbranch_execz .LBB1106_2
; %bb.15:
	s_load_b64 s[4:5], s[0:1], 0x68
	v_lshlrev_b32_e32 v0, 10, v0
	v_add_nc_u32_e32 v2, s33, v66
	v_lshlrev_b32_e32 v3, 4, v67
	s_lshl_b32 s0, s36, 6
	s_delay_alu instid0(SALU_CYCLE_1) | instskip(NEXT) | instid1(VALU_DEP_2)
	s_mul_i32 s1, s0, s34
	v_mul_lo_u32 v1, v2, s0
	s_delay_alu instid0(VALU_DEP_2) | instskip(SKIP_2) | instid1(SALU_CYCLE_1)
	v_and_or_b32 v0, 0x3800, v0, v3
	v_add_nc_u32_e32 v2, 2, v2
	s_mul_i32 s6, s1, s9
	s_ashr_i32 s7, s6, 31
	s_delay_alu instid0(VALU_DEP_2)
	v_lshl_or_b32 v7, v66, 6, v0
	s_lshl_b64 s[6:7], s[6:7], 1
	v_mul_lo_u32 v11, v2, s0
	v_ashrrev_i32_e32 v2, 31, v1
	ds_load_b128 v[3:6], v7
	ds_load_b128 v[7:10], v7 offset:128
	s_waitcnt lgkmcnt(0)
	s_add_u32 s1, s4, s6
	s_addc_u32 s2, s5, s7
	s_lshl_b32 s4, s14, 6
	v_ashrrev_i32_e32 v12, 31, v11
	s_ashr_i32 s5, s4, 31
	v_lshlrev_b64 v[13:14], 1, v[1:2]
	s_lshl_b64 s[4:5], s[4:5], 1
	s_delay_alu instid0(SALU_CYCLE_1) | instskip(SKIP_2) | instid1(VALU_DEP_1)
	s_add_u32 s1, s1, s4
	s_addc_u32 s2, s2, s5
	v_add_co_u32 v1, s1, s1, v65
	v_add_co_ci_u32_e64 v2, null, s2, 0, s1
	v_lshlrev_b64 v[11:12], 1, v[11:12]
	s_delay_alu instid0(VALU_DEP_3) | instskip(NEXT) | instid1(VALU_DEP_3)
	v_add_co_u32 v13, vcc_lo, v1, v13
	v_add_co_ci_u32_e32 v14, vcc_lo, v2, v14, vcc_lo
	s_delay_alu instid0(VALU_DEP_3) | instskip(NEXT) | instid1(VALU_DEP_4)
	v_add_co_u32 v11, vcc_lo, v1, v11
	v_add_co_ci_u32_e32 v12, vcc_lo, v2, v12, vcc_lo
	s_clause 0x1
	global_store_b128 v[13:14], v[3:6], off
	global_store_b128 v[11:12], v[7:10], off
	s_and_b32 exec_lo, exec_lo, s3
	s_cbranch_execz .LBB1106_2
; %bb.16:
	ds_load_b128 v[3:6], v0 offset:256
	s_add_i32 s1, s33, 4
	s_delay_alu instid0(SALU_CYCLE_1) | instskip(NEXT) | instid1(SALU_CYCLE_1)
	s_mul_i32 s0, s1, s0
	s_ashr_i32 s1, s0, 31
	s_delay_alu instid0(SALU_CYCLE_1) | instskip(NEXT) | instid1(SALU_CYCLE_1)
	s_lshl_b64 s[0:1], s[0:1], 1
	v_add_co_u32 v0, vcc_lo, v1, s0
	v_add_co_ci_u32_e32 v1, vcc_lo, s1, v2, vcc_lo
	s_waitcnt lgkmcnt(0)
	global_store_b128 v[0:1], v[3:6], off
	s_nop 0
	s_sendmsg sendmsg(MSG_DEALLOC_VGPRS)
	s_endpgm
	.section	.rodata,"a",@progbits
	.p2align	6, 0x0
	.amdhsa_kernel _Z39paged_attention_ll4mi_QKV_mfma16_kernelIDF16_hLN4vllm18Fp8KVCacheDataTypeE1EhLi16ELi64ELi256ELb0ELi5EL8MFMAType0EEvPKT_PKT0_S8_ifPKiSA_SA_iPKfiiiPfSD_PS3_PT2_iSC_SC_
		.amdhsa_group_segment_fixed_size 17472
		.amdhsa_private_segment_fixed_size 0
		.amdhsa_kernarg_size 400
		.amdhsa_user_sgpr_count 13
		.amdhsa_user_sgpr_dispatch_ptr 0
		.amdhsa_user_sgpr_queue_ptr 0
		.amdhsa_user_sgpr_kernarg_segment_ptr 1
		.amdhsa_user_sgpr_dispatch_id 0
		.amdhsa_user_sgpr_private_segment_size 0
		.amdhsa_wavefront_size32 1
		.amdhsa_uses_dynamic_stack 0
		.amdhsa_enable_private_segment 0
		.amdhsa_system_sgpr_workgroup_id_x 1
		.amdhsa_system_sgpr_workgroup_id_y 1
		.amdhsa_system_sgpr_workgroup_id_z 1
		.amdhsa_system_sgpr_workgroup_info 0
		.amdhsa_system_vgpr_workitem_id 0
		.amdhsa_next_free_vgpr 146
		.amdhsa_next_free_sgpr 37
		.amdhsa_reserve_vcc 1
		.amdhsa_float_round_mode_32 0
		.amdhsa_float_round_mode_16_64 0
		.amdhsa_float_denorm_mode_32 3
		.amdhsa_float_denorm_mode_16_64 3
		.amdhsa_dx10_clamp 1
		.amdhsa_ieee_mode 1
		.amdhsa_fp16_overflow 0
		.amdhsa_workgroup_processor_mode 1
		.amdhsa_memory_ordered 1
		.amdhsa_forward_progress 0
		.amdhsa_shared_vgpr_count 0
		.amdhsa_exception_fp_ieee_invalid_op 0
		.amdhsa_exception_fp_denorm_src 0
		.amdhsa_exception_fp_ieee_div_zero 0
		.amdhsa_exception_fp_ieee_overflow 0
		.amdhsa_exception_fp_ieee_underflow 0
		.amdhsa_exception_fp_ieee_inexact 0
		.amdhsa_exception_int_div_zero 0
	.end_amdhsa_kernel
	.section	.text._Z39paged_attention_ll4mi_QKV_mfma16_kernelIDF16_hLN4vllm18Fp8KVCacheDataTypeE1EhLi16ELi64ELi256ELb0ELi5EL8MFMAType0EEvPKT_PKT0_S8_ifPKiSA_SA_iPKfiiiPfSD_PS3_PT2_iSC_SC_,"axG",@progbits,_Z39paged_attention_ll4mi_QKV_mfma16_kernelIDF16_hLN4vllm18Fp8KVCacheDataTypeE1EhLi16ELi64ELi256ELb0ELi5EL8MFMAType0EEvPKT_PKT0_S8_ifPKiSA_SA_iPKfiiiPfSD_PS3_PT2_iSC_SC_,comdat
.Lfunc_end1106:
	.size	_Z39paged_attention_ll4mi_QKV_mfma16_kernelIDF16_hLN4vllm18Fp8KVCacheDataTypeE1EhLi16ELi64ELi256ELb0ELi5EL8MFMAType0EEvPKT_PKT0_S8_ifPKiSA_SA_iPKfiiiPfSD_PS3_PT2_iSC_SC_, .Lfunc_end1106-_Z39paged_attention_ll4mi_QKV_mfma16_kernelIDF16_hLN4vllm18Fp8KVCacheDataTypeE1EhLi16ELi64ELi256ELb0ELi5EL8MFMAType0EEvPKT_PKT0_S8_ifPKiSA_SA_iPKfiiiPfSD_PS3_PT2_iSC_SC_
                                        ; -- End function
	.section	.AMDGPU.csdata,"",@progbits
; Kernel info:
; codeLenInByte = 6484
; NumSgprs: 39
; NumVgprs: 146
; ScratchSize: 0
; MemoryBound: 0
; FloatMode: 240
; IeeeMode: 1
; LDSByteSize: 17472 bytes/workgroup (compile time only)
; SGPRBlocks: 4
; VGPRBlocks: 18
; NumSGPRsForWavesPerEU: 39
; NumVGPRsForWavesPerEU: 146
; Occupancy: 9
; WaveLimiterHint : 1
; COMPUTE_PGM_RSRC2:SCRATCH_EN: 0
; COMPUTE_PGM_RSRC2:USER_SGPR: 13
; COMPUTE_PGM_RSRC2:TRAP_HANDLER: 0
; COMPUTE_PGM_RSRC2:TGID_X_EN: 1
; COMPUTE_PGM_RSRC2:TGID_Y_EN: 1
; COMPUTE_PGM_RSRC2:TGID_Z_EN: 1
; COMPUTE_PGM_RSRC2:TIDIG_COMP_CNT: 0
	.section	.text._Z39paged_attention_ll4mi_QKV_mfma16_kernelIDF16_hLN4vllm18Fp8KVCacheDataTypeE1EhLi16ELi64ELi256ELb0ELi6EL8MFMAType0EEvPKT_PKT0_S8_ifPKiSA_SA_iPKfiiiPfSD_PS3_PT2_iSC_SC_,"axG",@progbits,_Z39paged_attention_ll4mi_QKV_mfma16_kernelIDF16_hLN4vllm18Fp8KVCacheDataTypeE1EhLi16ELi64ELi256ELb0ELi6EL8MFMAType0EEvPKT_PKT0_S8_ifPKiSA_SA_iPKfiiiPfSD_PS3_PT2_iSC_SC_,comdat
	.protected	_Z39paged_attention_ll4mi_QKV_mfma16_kernelIDF16_hLN4vllm18Fp8KVCacheDataTypeE1EhLi16ELi64ELi256ELb0ELi6EL8MFMAType0EEvPKT_PKT0_S8_ifPKiSA_SA_iPKfiiiPfSD_PS3_PT2_iSC_SC_ ; -- Begin function _Z39paged_attention_ll4mi_QKV_mfma16_kernelIDF16_hLN4vllm18Fp8KVCacheDataTypeE1EhLi16ELi64ELi256ELb0ELi6EL8MFMAType0EEvPKT_PKT0_S8_ifPKiSA_SA_iPKfiiiPfSD_PS3_PT2_iSC_SC_
	.globl	_Z39paged_attention_ll4mi_QKV_mfma16_kernelIDF16_hLN4vllm18Fp8KVCacheDataTypeE1EhLi16ELi64ELi256ELb0ELi6EL8MFMAType0EEvPKT_PKT0_S8_ifPKiSA_SA_iPKfiiiPfSD_PS3_PT2_iSC_SC_
	.p2align	8
	.type	_Z39paged_attention_ll4mi_QKV_mfma16_kernelIDF16_hLN4vllm18Fp8KVCacheDataTypeE1EhLi16ELi64ELi256ELb0ELi6EL8MFMAType0EEvPKT_PKT0_S8_ifPKiSA_SA_iPKfiiiPfSD_PS3_PT2_iSC_SC_,@function
_Z39paged_attention_ll4mi_QKV_mfma16_kernelIDF16_hLN4vllm18Fp8KVCacheDataTypeE1EhLi16ELi64ELi256ELb0ELi6EL8MFMAType0EEvPKT_PKT0_S8_ifPKiSA_SA_iPKfiiiPfSD_PS3_PT2_iSC_SC_: ; @_Z39paged_attention_ll4mi_QKV_mfma16_kernelIDF16_hLN4vllm18Fp8KVCacheDataTypeE1EhLi16ELi64ELi256ELb0ELi6EL8MFMAType0EEvPKT_PKT0_S8_ifPKiSA_SA_iPKfiiiPfSD_PS3_PT2_iSC_SC_
; %bb.0:
	s_load_b64 s[2:3], s[0:1], 0x30
	s_mov_b32 s34, s13
	s_waitcnt lgkmcnt(0)
	s_cmp_lg_u64 s[2:3], 0
	s_cselect_b32 s6, -1, 0
	s_ashr_i32 s35, s13, 31
	s_cmp_eq_u64 s[2:3], 0
	s_cbranch_scc1 .LBB1107_3
; %bb.1:
	s_lshl_b64 s[4:5], s[34:35], 2
	s_delay_alu instid0(SALU_CYCLE_1) | instskip(SKIP_4) | instid1(SALU_CYCLE_1)
	s_add_u32 s4, s2, s4
	s_addc_u32 s5, s3, s5
	s_load_b64 s[4:5], s[4:5], 0x0
	s_waitcnt lgkmcnt(0)
	s_sub_i32 s4, s5, s4
	s_cmp_eq_u32 s4, 1
	s_cselect_b32 s4, -1, 0
	s_delay_alu instid0(SALU_CYCLE_1)
	s_and_not1_b32 vcc_lo, exec_lo, s4
	s_cbranch_vccz .LBB1107_4
.LBB1107_2:
	s_endpgm
.LBB1107_3:
.LBB1107_4:
	s_load_b64 s[8:9], s[0:1], 0x28
	s_lshl_b64 s[4:5], s[34:35], 2
	s_waitcnt lgkmcnt(0)
	s_add_u32 s8, s8, s4
	s_addc_u32 s9, s9, s5
	s_lshl_b32 s16, s14, 8
	s_load_b32 s18, s[8:9], 0x0
	s_waitcnt lgkmcnt(0)
	s_cmp_ge_i32 s16, s18
	s_cbranch_scc1 .LBB1107_2
; %bb.5:
	s_clause 0x1
	s_load_b128 s[8:11], s[0:1], 0x8
	s_load_b64 s[12:13], s[0:1], 0x20
	s_and_not1_b32 vcc_lo, exec_lo, s6
	s_cbranch_vccnz .LBB1107_7
; %bb.6:
	s_add_u32 s2, s2, s4
	s_addc_u32 s3, s3, s5
	s_load_b32 s3, s[2:3], 0x0
	s_branch .LBB1107_8
.LBB1107_7:
	s_mov_b32 s3, s34
.LBB1107_8:
	s_load_b128 s[4:7], s[0:1], 0x48
	v_and_b32_e32 v68, 15, v0
	v_cmp_gt_u32_e32 vcc_lo, 0x60, v0
	v_lshrrev_b32_e32 v69, 5, v0
	v_and_b32_e32 v70, 31, v0
	v_and_b32_e32 v67, 1, v0
	v_lshlrev_b32_e32 v1, 3, v68
	v_cmp_gt_u32_e64 s2, 8, v68
	v_bfe_u32 v66, v0, 4, 1
	s_mul_i32 s31, s15, 6
	s_delay_alu instid0(VALU_DEP_3) | instskip(NEXT) | instid1(VALU_DEP_3)
	v_lshlrev_b32_e32 v65, 1, v1
	s_and_b32 s17, vcc_lo, s2
	s_waitcnt lgkmcnt(0)
	s_and_saveexec_b32 s7, s17
	s_cbranch_execz .LBB1107_10
; %bb.9:
	s_load_b64 s[20:21], s[0:1], 0x0
	v_lshl_or_b32 v5, v69, 1, v66
	s_mul_hi_i32 s23, s3, s4
	s_mul_i32 s22, s3, s4
	v_lshlrev_b32_e32 v6, 10, v68
	s_lshl_b64 s[22:23], s[22:23], 1
	v_add_lshl_u32 v1, v5, s31, 6
	v_lshlrev_b32_e32 v5, 6, v5
	v_lshlrev_b32_e32 v7, 10, v67
	v_and_b32_e32 v6, 0x3800, v6
	s_delay_alu instid0(VALU_DEP_4) | instskip(NEXT) | instid1(VALU_DEP_2)
	v_ashrrev_i32_e32 v2, 31, v1
	v_or3_b32 v5, v6, v7, v5
	s_delay_alu instid0(VALU_DEP_2) | instskip(SKIP_3) | instid1(VALU_DEP_1)
	v_lshlrev_b64 v[1:2], 1, v[1:2]
	s_waitcnt lgkmcnt(0)
	s_add_u32 s3, s20, s22
	s_addc_u32 s4, s21, s23
	v_add_co_u32 v1, vcc_lo, s3, v1
	s_delay_alu instid0(VALU_DEP_2) | instskip(NEXT) | instid1(VALU_DEP_2)
	v_add_co_ci_u32_e32 v2, vcc_lo, s4, v2, vcc_lo
	v_add_co_u32 v1, vcc_lo, v1, v65
	s_delay_alu instid0(VALU_DEP_2)
	v_add_co_ci_u32_e32 v2, vcc_lo, 0, v2, vcc_lo
	global_load_b128 v[1:4], v[1:2], off
	s_waitcnt vmcnt(0)
	ds_store_b128 v5, v[1:4]
.LBB1107_10:
	s_or_b32 exec_lo, exec_lo, s7
	v_and_b32_e32 v1, 0xef, v0
	s_add_i32 s3, s18, 15
	s_clause 0x1
	s_load_b32 s4, s[0:1], 0x38
	s_load_b32 s33, s[0:1], 0x98
	s_ashr_i32 s7, s3, 31
	v_add_nc_u32_e32 v1, s16, v1
	s_lshr_b32 s7, s7, 28
	s_load_b32 s19, s[0:1], 0x1c
	s_add_i32 s3, s3, s7
	s_waitcnt lgkmcnt(0)
	v_ashrrev_i32_e32 v2, 31, v1
	v_or_b32_e32 v3, 16, v1
	s_ashr_i32 s3, s3, 4
	v_cmp_gt_i32_e32 vcc_lo, s18, v1
	s_add_i32 s3, s3, -1
	v_lshrrev_b32_e32 v2, 28, v2
	s_barrier
	buffer_gl0_inv
	s_mul_i32 s15, s15, s6
	v_mul_lo_u16 v103, v68, 43
	v_add_nc_u32_e32 v4, v1, v2
	v_mbcnt_lo_u32_b32 v127, -1, 0
	s_mul_i32 s20, s34, s4
	s_delay_alu instid0(SALU_CYCLE_1) | instskip(NEXT) | instid1(VALU_DEP_2)
	s_ashr_i32 s21, s20, 31
	v_ashrrev_i32_e32 v4, 4, v4
	v_add_nc_u32_e32 v2, v3, v2
	s_lshl_b64 s[20:21], s[20:21], 2
	v_lshrrev_b16 v103, 8, v103
	s_add_u32 s17, s12, s20
	v_cndmask_b32_e32 v1, s3, v4, vcc_lo
	v_ashrrev_i32_e32 v2, 4, v2
	v_cmp_gt_i32_e32 vcc_lo, s18, v3
	s_addc_u32 s13, s13, s21
	s_ashr_i32 s20, s15, 31
	s_add_u32 s4, s8, s15
	s_addc_u32 s12, s9, s20
	v_cndmask_b32_e32 v3, s3, v2, vcc_lo
	v_ashrrev_i32_e32 v2, 31, v1
	s_lshl_b32 s6, s14, 4
	v_mul_lo_u16 v103, v103, 6
	s_ashr_i32 s7, s6, 31
	v_ashrrev_i32_e32 v4, 31, v3
	v_lshlrev_b64 v[1:2], 2, v[1:2]
	s_lshl_b64 s[6:7], s[6:7], 2
	v_sub_nc_u16 v103, v68, v103
	s_add_u32 s6, s17, s6
	v_lshlrev_b64 v[3:4], 2, v[3:4]
	s_addc_u32 s7, s13, s7
	v_add_co_u32 v1, vcc_lo, s17, v1
	v_add_co_ci_u32_e32 v2, vcc_lo, s13, v2, vcc_lo
	s_delay_alu instid0(VALU_DEP_3) | instskip(NEXT) | instid1(VALU_DEP_4)
	v_add_co_u32 v3, vcc_lo, s17, v3
	v_add_co_ci_u32_e32 v4, vcc_lo, s13, v4, vcc_lo
	s_clause 0x1
	global_load_b32 v5, v[1:2], off
	global_load_b32 v7, v[3:4], off
	s_or_b32 s8, s16, 32
	v_lshlrev_b32_e32 v1, 4, v0
	s_ashr_i32 s9, s8, 4
	s_cmp_lt_i32 s8, s18
	v_xor_b32_e32 v128, 16, v127
	s_cselect_b32 s8, s9, s3
	v_and_b32_e32 v1, 0xf0, v1
	s_ashr_i32 s9, s8, 31
	s_delay_alu instid0(SALU_CYCLE_1)
	s_lshl_b64 s[8:9], s[8:9], 2
	v_cmp_gt_i32_e32 vcc_lo, 32, v128
	s_add_u32 s8, s17, s8
	s_addc_u32 s9, s13, s9
	s_or_b32 s21, s16, 64
	v_add_co_u32 v1, s4, s4, v1
	s_ashr_i32 s22, s21, 4
	s_cmp_lt_i32 s21, s18
	v_add_co_ci_u32_e64 v2, null, s12, 0, s4
	s_cselect_b32 s22, s22, s3
	v_dual_cndmask_b32 v136, v127, v128 :: v_dual_and_b32 v103, 0xff, v103
	s_ashr_i32 s23, s22, 31
	s_delay_alu instid0(SALU_CYCLE_1) | instskip(NEXT) | instid1(VALU_DEP_1)
	s_lshl_b64 s[22:23], s[22:23], 2
	v_lshlrev_b32_e32 v115, 6, v103
	s_add_u32 s22, s17, s22
	s_addc_u32 s23, s13, s23
	s_or_b32 s21, s16, 0x60
	s_delay_alu instid0(SALU_CYCLE_1) | instskip(SKIP_2) | instid1(SALU_CYCLE_1)
	s_ashr_i32 s24, s21, 4
	s_cmp_lt_i32 s21, s18
	s_cselect_b32 s24, s24, s3
	s_ashr_i32 s25, s24, 31
	s_delay_alu instid0(SALU_CYCLE_1) | instskip(NEXT) | instid1(SALU_CYCLE_1)
	s_lshl_b64 s[24:25], s[24:25], 2
	s_add_u32 s24, s17, s24
	s_addc_u32 s25, s13, s25
	s_or_b32 s21, s16, 0x80
	s_delay_alu instid0(SALU_CYCLE_1) | instskip(SKIP_2) | instid1(SALU_CYCLE_1)
	s_ashr_i32 s26, s21, 4
	s_cmp_lt_i32 s21, s18
	s_cselect_b32 s26, s26, s3
	s_ashr_i32 s27, s26, 31
	s_delay_alu instid0(SALU_CYCLE_1) | instskip(NEXT) | instid1(SALU_CYCLE_1)
	s_lshl_b64 s[26:27], s[26:27], 2
	;; [unrolled: 10-line block ×3, first 2 shown]
	s_add_u32 s28, s17, s28
	s_addc_u32 s29, s13, s29
	s_clause 0x5
	s_load_b32 s12, s[6:7], 0x0
	s_load_b32 s4, s[8:9], 0x0
	;; [unrolled: 1-line block ×6, first 2 shown]
	s_or_b32 s21, s16, 0xc0
	s_delay_alu instid0(SALU_CYCLE_1) | instskip(SKIP_2) | instid1(SALU_CYCLE_1)
	s_ashr_i32 s22, s21, 4
	s_cmp_lt_i32 s21, s18
	s_cselect_b32 s22, s22, s3
	s_ashr_i32 s23, s22, 31
	s_delay_alu instid0(SALU_CYCLE_1) | instskip(NEXT) | instid1(SALU_CYCLE_1)
	s_lshl_b64 s[22:23], s[22:23], 2
	s_add_u32 s22, s17, s22
	s_addc_u32 s23, s13, s23
	s_or_b32 s21, s16, 0xe0
	s_delay_alu instid0(SALU_CYCLE_1) | instskip(SKIP_2) | instid1(SALU_CYCLE_1)
	s_ashr_i32 s24, s21, 4
	s_cmp_lt_i32 s21, s18
	s_cselect_b32 s24, s24, s3
	s_ashr_i32 s25, s24, 31
	s_delay_alu instid0(SALU_CYCLE_1)
	s_lshl_b64 s[24:25], s[24:25], 2
	s_waitcnt vmcnt(1)
	v_mad_i64_i32 v[3:4], null, v5, s5, v[1:2]
	s_waitcnt vmcnt(0)
	v_mad_i64_i32 v[5:6], null, v7, s5, v[1:2]
	v_lshlrev_b32_e32 v1, 4, v68
	s_clause 0x7
	global_load_b128 v[71:74], v[3:4], off
	global_load_b128 v[75:78], v[3:4], off offset:256
	global_load_b128 v[79:82], v[5:6], off
	global_load_b128 v[83:86], v[5:6], off offset:256
	global_load_b128 v[87:90], v[3:4], off offset:512
	;; [unrolled: 1-line block ×5, first 2 shown]
	v_lshl_or_b32 v1, v69, 8, v1
	s_load_b32 s3, s[22:23], 0x0
	s_add_u32 s22, s17, s24
	s_addc_u32 s23, s13, s25
	s_add_u32 s10, s10, s15
	s_addc_u32 s11, s11, s20
	v_add_co_u32 v1, s10, s10, v1
	s_delay_alu instid0(VALU_DEP_1) | instskip(SKIP_2) | instid1(VALU_DEP_1)
	v_add_co_ci_u32_e64 v2, null, s11, 0, s10
	s_load_b32 s10, s[22:23], 0x0
	s_waitcnt lgkmcnt(0)
	v_mad_i64_i32 v[3:4], null, s12, s5, v[1:2]
	v_mad_i64_i32 v[9:10], null, s7, s5, v[1:2]
	;; [unrolled: 1-line block ×7, first 2 shown]
	s_clause 0x5
	global_load_b128 v[49:52], v[3:4], off
	global_load_b128 v[53:56], v[3:4], off offset:16
	global_load_b128 v[41:44], v[5:6], off
	global_load_b128 v[45:48], v[5:6], off offset:16
	;; [unrolled: 2-line block ×3, first 2 shown]
	s_mov_b32 s4, 0
	v_mad_i64_i32 v[61:62], null, s10, s5, v[1:2]
	s_clause 0x9
	global_load_b128 v[1:4], v[9:10], off
	global_load_b128 v[5:8], v[9:10], off offset:16
	global_load_b128 v[9:12], v[13:14], off
	global_load_b128 v[13:16], v[13:14], off offset:16
	;; [unrolled: 2-line block ×5, first 2 shown]
	s_mov_b32 s5, s4
	s_mov_b32 s6, s4
	;; [unrolled: 1-line block ×7, first 2 shown]
	v_and_b32_e32 v104, 0xe0, v0
	v_dual_mov_b32 v126, s11 :: v_dual_mov_b32 v123, s8
	v_dual_mov_b32 v125, s10 :: v_dual_mov_b32 v124, s9
	s_delay_alu instid0(VALU_DEP_3)
	v_add_nc_u32_e32 v111, s16, v104
	ds_load_b128 v[103:106], v115
	ds_load_b128 v[107:110], v115 offset:1024
	v_dual_mov_b32 v122, s7 :: v_dual_mov_b32 v121, s6
	v_mov_b32_e32 v120, s5
	v_or_b32_e32 v135, v111, v66
	ds_load_b128 v[111:114], v115 offset:2048
	ds_load_b128 v[115:118], v115 offset:3072
	v_mov_b32_e32 v119, s4
	s_waitcnt vmcnt(0) lgkmcnt(0)
	s_barrier
	v_or_b32_e32 v137, 2, v135
	v_or_b32_e32 v138, 4, v135
	;; [unrolled: 1-line block ×3, first 2 shown]
	v_cmp_gt_i32_e32 vcc_lo, s18, v135
	v_or_b32_e32 v140, 8, v135
	v_cmp_gt_i32_e64 s3, s18, v137
	v_or_b32_e32 v141, 10, v135
	v_cmp_gt_i32_e64 s4, s18, v138
	v_cmp_gt_i32_e64 s5, s18, v139
	v_or_b32_e32 v142, 12, v135
	v_or_b32_e32 v143, 14, v135
	v_cmp_gt_i32_e64 s6, s18, v140
	v_cmp_gt_i32_e64 s7, s18, v141
	v_or_b32_e32 v144, 16, v135
	v_or_b32_e32 v145, 18, v135
	v_cmp_gt_i32_e64 s8, s18, v142
	v_cmp_gt_i32_e64 s9, s18, v143
	buffer_gl0_inv
	v_cmp_gt_i32_e64 s10, s18, v144
	v_cmp_gt_i32_e64 s11, s18, v145
	v_wmma_f32_16x16x16_f16 v[127:134], v[71:78], v[103:110], v[119:126]
	v_wmma_f32_16x16x16_f16 v[119:126], v[79:86], v[103:110], v[119:126]
	v_or_b32_e32 v71, 20, v135
	v_or_b32_e32 v72, 22, v135
	s_delay_alu instid0(VALU_DEP_4)
	v_wmma_f32_16x16x16_f16 v[127:134], v[87:94], v[111:118], v[127:134]
	v_or_b32_e32 v73, 24, v135
	v_wmma_f32_16x16x16_f16 v[119:126], v[95:102], v[111:118], v[119:126]
	v_or_b32_e32 v74, 26, v135
	v_cmp_gt_i32_e64 s12, s18, v71
	v_dual_mul_f32 v83, s19, v128 :: v_dual_mul_f32 v84, s19, v127
	s_delay_alu instid0(VALU_DEP_4) | instskip(SKIP_1) | instid1(VALU_DEP_3)
	v_dual_mul_f32 v81, s19, v130 :: v_dual_mul_f32 v92, s19, v119
	v_mul_f32_e32 v82, s19, v129
	v_cndmask_b32_e64 v83, 0xff7fffff, v83, s3
	s_delay_alu instid0(VALU_DEP_4)
	v_cndmask_b32_e32 v84, 0xff7fffff, v84, vcc_lo
	v_dual_mul_f32 v79, s19, v132 :: v_dual_mul_f32 v90, s19, v121
	v_mul_f32_e32 v80, s19, v131
	v_cndmask_b32_e64 v82, 0xff7fffff, v82, s4
	v_cndmask_b32_e64 v81, 0xff7fffff, v81, s5
	v_max3_f32 v83, v84, 0xff7fffff, v83
	v_dual_mul_f32 v77, s19, v134 :: v_dual_mul_f32 v88, s19, v123
	v_mul_f32_e32 v78, s19, v133
	v_cndmask_b32_e64 v80, 0xff7fffff, v80, s6
	v_cndmask_b32_e64 v79, 0xff7fffff, v79, s7
	v_max3_f32 v81, v83, v82, v81
	v_mul_f32_e32 v91, s19, v120
	v_cndmask_b32_e64 v78, 0xff7fffff, v78, s8
	v_cndmask_b32_e64 v77, 0xff7fffff, v77, s9
	v_mul_f32_e32 v89, s19, v122
	v_max3_f32 v79, v81, v80, v79
	v_cndmask_b32_e64 v80, 0xff7fffff, v92, s10
	v_cndmask_b32_e64 v81, 0xff7fffff, v91, s11
	v_cmp_gt_i32_e64 s13, s18, v72
	v_or_b32_e32 v75, 28, v135
	v_max3_f32 v77, v79, v78, v77
	v_or_b32_e32 v76, 30, v135
	v_mul_f32_e32 v87, s19, v124
	v_cndmask_b32_e64 v71, 0xff7fffff, v90, s12
	v_cndmask_b32_e64 v72, 0xff7fffff, v89, s13
	v_max3_f32 v77, v77, v80, v81
	v_cmp_gt_i32_e64 s15, s18, v73
	v_cmp_gt_i32_e64 s16, s18, v74
	v_dual_mul_f32 v85, s19, v126 :: v_dual_mul_f32 v86, s19, v125
	s_delay_alu instid0(VALU_DEP_4) | instskip(NEXT) | instid1(VALU_DEP_4)
	v_max3_f32 v71, v77, v71, v72
	v_cndmask_b32_e64 v73, 0xff7fffff, v88, s15
	s_delay_alu instid0(VALU_DEP_4) | instskip(SKIP_2) | instid1(VALU_DEP_3)
	v_cndmask_b32_e64 v74, 0xff7fffff, v87, s16
	v_cmp_gt_i32_e64 s17, s18, v75
	v_cmp_gt_i32_e64 s18, s18, v76
	v_max3_f32 v71, v71, v73, v74
	s_delay_alu instid0(VALU_DEP_3) | instskip(NEXT) | instid1(VALU_DEP_3)
	v_cndmask_b32_e64 v72, 0xff7fffff, v86, s17
	v_cndmask_b32_e64 v75, 0xff7fffff, v85, s18
	v_lshlrev_b32_e32 v73, 2, v136
	s_delay_alu instid0(VALU_DEP_2) | instskip(SKIP_3) | instid1(VALU_DEP_1)
	v_max3_f32 v71, v71, v72, v75
	ds_bpermute_b32 v72, v73, v71
	s_waitcnt lgkmcnt(0)
	v_max_f32_e32 v72, v72, v72
	v_max_f32_e32 v71, v71, v72
	s_delay_alu instid0(VALU_DEP_1)
	v_fma_f32 v72, s19, v127, -v71
	v_fma_f32 v74, s19, v128, -v71
	v_fma_f32 v75, s19, v129, -v71
	v_fma_f32 v76, s19, v130, -v71
	v_fma_f32 v77, s19, v131, -v71
	v_mul_f32_e32 v72, 0x3fb8aa3b, v72
	v_mul_f32_e32 v74, 0x3fb8aa3b, v74
	v_fma_f32 v80, s19, v133, -v71
	s_delay_alu instid0(VALU_DEP_4) | instskip(NEXT) | instid1(VALU_DEP_4)
	v_dual_mul_f32 v76, 0x3fb8aa3b, v76 :: v_dual_mul_f32 v77, 0x3fb8aa3b, v77
	v_exp_f32_e32 v72, v72
	s_delay_alu instid0(VALU_DEP_3) | instskip(NEXT) | instid1(VALU_DEP_2)
	v_exp_f32_e32 v74, v74
	v_mul_f32_e32 v82, 0x3fb8aa3b, v80
	s_delay_alu instid0(VALU_DEP_2) | instskip(SKIP_1) | instid1(VALU_DEP_1)
	v_exp_f32_e32 v76, v76
	v_exp_f32_e32 v77, v77
	;; [unrolled: 1-line block ×3, first 2 shown]
	v_cndmask_b32_e32 v79, 0, v72, vcc_lo
	v_fma_f32 v72, s19, v132, -v71
	v_mul_f32_e32 v75, 0x3fb8aa3b, v75
	v_cndmask_b32_e64 v78, 0, v74, s3
	s_delay_alu instid0(TRANS32_DEP_3)
	v_cndmask_b32_e64 v80, 0, v76, s5
	v_add_f32_e32 v74, 0, v79
	v_mul_f32_e32 v72, 0x3fb8aa3b, v72
	v_exp_f32_e32 v75, v75
	v_cndmask_b32_e64 v83, 0, v77, s6
	v_cndmask_b32_e64 v85, 0, v84, s8
	v_add_f32_e32 v74, v74, v78
	v_exp_f32_e32 v72, v72
	s_mov_b32 s3, exec_lo
	s_waitcnt_depctr 0xfff
	v_cndmask_b32_e64 v81, 0, v75, s4
	v_cndmask_b32_e64 v82, 0, v72, s7
	s_delay_alu instid0(VALU_DEP_2) | instskip(NEXT) | instid1(VALU_DEP_1)
	v_add_f32_e32 v74, v74, v81
	v_add_f32_e32 v74, v74, v80
	s_delay_alu instid0(VALU_DEP_1) | instskip(SKIP_4) | instid1(VALU_DEP_4)
	v_add_f32_e32 v72, v74, v83
	v_fma_f32 v75, s19, v134, -v71
	v_fma_f32 v76, s19, v119, -v71
	;; [unrolled: 1-line block ×4, first 2 shown]
	v_dual_add_f32 v72, v72, v82 :: v_dual_mul_f32 v75, 0x3fb8aa3b, v75
	s_delay_alu instid0(VALU_DEP_3) | instskip(SKIP_1) | instid1(VALU_DEP_3)
	v_dual_mul_f32 v76, 0x3fb8aa3b, v76 :: v_dual_mul_f32 v77, 0x3fb8aa3b, v77
	v_fma_f32 v86, s19, v122, -v71
	v_add_f32_e32 v72, v72, v85
	s_delay_alu instid0(VALU_DEP_4) | instskip(NEXT) | instid1(VALU_DEP_3)
	v_exp_f32_e32 v75, v75
	v_exp_f32_e32 v76, v76
	;; [unrolled: 1-line block ×3, first 2 shown]
	v_mul_f32_e32 v86, 0x3fb8aa3b, v86
	s_delay_alu instid0(VALU_DEP_1) | instskip(SKIP_3) | instid1(TRANS32_DEP_3)
	v_exp_f32_e32 v88, v86
	v_cndmask_b32_e64 v84, 0, v75, s9
	v_fma_f32 v75, s19, v123, -v71
	v_mul_f32_e32 v74, 0x3fb8aa3b, v74
	v_cndmask_b32_e64 v87, 0, v76, s10
	v_fma_f32 v76, s19, v124, -v71
	s_delay_alu instid0(VALU_DEP_4) | instskip(NEXT) | instid1(VALU_DEP_4)
	v_dual_add_f32 v72, v72, v84 :: v_dual_mul_f32 v75, 0x3fb8aa3b, v75
	v_exp_f32_e32 v74, v74
	v_cndmask_b32_e64 v86, 0, v77, s11
	v_fma_f32 v77, s19, v125, -v71
	s_delay_alu instid0(VALU_DEP_3) | instskip(SKIP_3) | instid1(VALU_DEP_3)
	v_add_f32_e32 v72, v72, v87
	v_mul_f32_e32 v76, 0x3fb8aa3b, v76
	v_exp_f32_e32 v75, v75
	v_cndmask_b32_e64 v88, 0, v88, s13
	v_add_f32_e32 v72, v72, v86
	s_delay_alu instid0(VALU_DEP_3) | instskip(NEXT) | instid1(TRANS32_DEP_3)
	v_exp_f32_e32 v76, v76
	v_cndmask_b32_e64 v89, 0, v74, s12
	v_mul_f32_e32 v74, 0x3fb8aa3b, v77
	v_fma_f32 v77, s19, v126, -v71
	s_delay_alu instid0(VALU_DEP_3) | instskip(NEXT) | instid1(VALU_DEP_3)
	v_add_f32_e32 v72, v72, v89
	v_exp_f32_e32 v74, v74
	s_delay_alu instid0(TRANS32_DEP_3) | instskip(NEXT) | instid1(VALU_DEP_3)
	v_cndmask_b32_e64 v91, 0, v75, s15
	v_mul_f32_e32 v75, 0x3fb8aa3b, v77
	s_delay_alu instid0(TRANS32_DEP_2) | instskip(SKIP_1) | instid1(VALU_DEP_3)
	v_cndmask_b32_e64 v90, 0, v76, s16
	v_add_f32_e32 v72, v72, v88
	v_exp_f32_e32 v75, v75
	s_delay_alu instid0(VALU_DEP_1) | instskip(NEXT) | instid1(TRANS32_DEP_2)
	v_add_f32_e32 v72, v72, v91
	v_cndmask_b32_e64 v93, 0, v74, s17
	s_delay_alu instid0(VALU_DEP_2) | instskip(SKIP_3) | instid1(VALU_DEP_1)
	v_add_f32_e32 v72, v72, v90
	s_waitcnt_depctr 0xfff
	v_cndmask_b32_e64 v92, 0, v75, s18
	v_add_f32_e32 v72, v72, v93
	v_add_f32_e32 v72, v72, v92
	ds_bpermute_b32 v73, v73, v72
	v_cmpx_gt_u32_e32 16, v70
	s_cbranch_execz .LBB1107_12
; %bb.11:
	v_mul_u32_u24_e32 v70, 0x44, v69
	s_waitcnt lgkmcnt(0)
	v_add_f32_e32 v72, v72, v73
	s_delay_alu instid0(VALU_DEP_2) | instskip(NEXT) | instid1(VALU_DEP_1)
	v_lshl_add_u32 v70, v68, 2, v70
	v_add_nc_u32_e32 v70, 0x4000, v70
	ds_store_2addr_b32 v70, v71, v72 offset1:136
.LBB1107_12:
	s_or_b32 exec_lo, exec_lo, s3
	v_lshlrev_b32_e32 v70, 2, v68
	s_load_b32 s35, s[0:1], 0x94
	s_waitcnt lgkmcnt(0)
	s_barrier
	buffer_gl0_inv
	v_add_nc_u32_e32 v98, 0x4000, v70
	v_cmp_eq_u32_e32 vcc_lo, 1, v69
	v_cmp_eq_u32_e64 s3, 2, v69
	v_cmp_eq_u32_e64 s4, 3, v69
	;; [unrolled: 1-line block ×3, first 2 shown]
	ds_load_2addr_b32 v[70:71], v98 offset1:17
	ds_load_2addr_b32 v[72:73], v98 offset0:34 offset1:51
	ds_load_2addr_b32 v[74:75], v98 offset0:68 offset1:85
	;; [unrolled: 1-line block ×3, first 2 shown]
	v_cmp_eq_u32_e64 s6, 5, v69
	v_cmp_eq_u32_e64 s7, 7, v69
	s_waitcnt lgkmcnt(3)
	v_max3_f32 v76, v70, 0xff7fffff, v71
	s_waitcnt lgkmcnt(2)
	s_delay_alu instid0(VALU_DEP_1) | instskip(SKIP_1) | instid1(VALU_DEP_1)
	v_max3_f32 v76, v76, v72, v73
	s_waitcnt lgkmcnt(1)
	v_max3_f32 v76, v76, v74, v75
	s_waitcnt lgkmcnt(0)
	s_delay_alu instid0(VALU_DEP_1) | instskip(NEXT) | instid1(VALU_DEP_1)
	v_max3_f32 v76, v76, v94, v95
	v_sub_f32_e32 v77, v71, v76
	ds_load_2addr_b32 v[96:97], v98 offset0:136 offset1:153
	v_sub_f32_e32 v74, v74, v76
	v_sub_f32_e32 v70, v70, v76
	v_sub_f32_e32 v94, v94, v76
	v_dual_sub_f32 v72, v72, v76 :: v_dual_mul_f32 v77, 0x3fb8aa3b, v77
	s_delay_alu instid0(VALU_DEP_4) | instskip(NEXT) | instid1(VALU_DEP_4)
	v_mul_f32_e32 v103, 0x3fb8aa3b, v74
	v_mul_f32_e32 v99, 0x3fb8aa3b, v70
	ds_load_2addr_b32 v[70:71], v98 offset0:170 offset1:187
	v_dual_mul_f32 v101, 0x3fb8aa3b, v72 :: v_dual_mul_f32 v94, 0x3fb8aa3b, v94
	v_exp_f32_e32 v102, v77
	v_exp_f32_e32 v99, v99
	s_delay_alu instid0(VALU_DEP_1) | instskip(NEXT) | instid1(VALU_DEP_1)
	v_exp_f32_e32 v101, v101
	v_exp_f32_e32 v94, v94
	s_waitcnt lgkmcnt(1)
	s_delay_alu instid0(TRANS32_DEP_3)
	v_fma_f32 v77, v99, v96, 0
	v_sub_f32_e32 v100, v73, v76
	ds_load_2addr_b32 v[72:73], v98 offset0:204 offset1:221
	v_fmac_f32_e32 v77, v102, v97
	v_exp_f32_e32 v97, v103
	s_waitcnt lgkmcnt(1)
	s_delay_alu instid0(VALU_DEP_1)
	v_dual_fmac_f32 v77, v101, v70 :: v_dual_sub_f32 v96, v75, v76
	ds_load_2addr_b32 v[74:75], v98 offset0:238 offset1:255
	v_sub_f32_e32 v70, v95, v76
	s_waitcnt lgkmcnt(0)
	s_barrier
	v_mul_f32_e32 v96, 0x3fb8aa3b, v96
	buffer_gl0_inv
	v_exp_f32_e32 v95, v96
	v_mul_f32_e32 v100, 0x3fb8aa3b, v100
	s_delay_alu instid0(VALU_DEP_1) | instskip(SKIP_3) | instid1(VALU_DEP_2)
	v_exp_f32_e32 v100, v100
	s_waitcnt_depctr 0xfff
	v_dual_fmac_f32 v77, v100, v71 :: v_dual_mul_f32 v70, 0x3fb8aa3b, v70
	v_cndmask_b32_e32 v71, v99, v102, vcc_lo
	v_fmac_f32_e32 v77, v97, v72
	s_delay_alu instid0(VALU_DEP_3) | instskip(NEXT) | instid1(VALU_DEP_1)
	v_exp_f32_e32 v96, v70
	v_fmac_f32_e32 v77, v95, v73
	s_delay_alu instid0(VALU_DEP_1) | instskip(SKIP_2) | instid1(VALU_DEP_1)
	v_fmac_f32_e32 v77, v94, v74
	s_waitcnt_depctr 0xfff
	v_fmac_f32_e32 v77, v96, v75
	v_add_f32_e32 v74, 0x358637bd, v77
	s_delay_alu instid0(VALU_DEP_1) | instskip(SKIP_1) | instid1(VALU_DEP_2)
	v_div_scale_f32 v98, null, v74, v74, 1.0
	v_div_scale_f32 v99, vcc_lo, 1.0, v74, 1.0
	v_rcp_f32_e32 v103, v98
	s_waitcnt_depctr 0xfff
	v_fma_f32 v70, -v98, v103, 1.0
	s_delay_alu instid0(VALU_DEP_1) | instskip(SKIP_2) | instid1(VALU_DEP_2)
	v_fmac_f32_e32 v103, v70, v103
	v_cndmask_b32_e64 v70, v71, v101, s3
	v_cmp_eq_u32_e64 s3, 6, v69
	v_cndmask_b32_e64 v71, v70, v100, s4
	s_delay_alu instid0(VALU_DEP_4) | instskip(NEXT) | instid1(VALU_DEP_2)
	v_dual_mul_f32 v101, v99, v103 :: v_dual_lshlrev_b32 v70, 2, v66
	v_cndmask_b32_e64 v71, v71, v97, s5
	s_delay_alu instid0(VALU_DEP_2) | instskip(NEXT) | instid1(VALU_DEP_3)
	v_or_b32_e32 v72, 1, v70
	v_fma_f32 v100, -v98, v101, v99
	v_cmp_eq_u32_e64 s4, 1, v70
	v_cmp_eq_u32_e64 s5, 2, v70
	v_cndmask_b32_e64 v95, v71, v95, s6
	v_or_b32_e32 v71, 3, v70
	v_fmac_f32_e32 v101, v100, v103
	v_cmp_eq_u32_e64 s9, 1, v72
	v_cmp_eq_u32_e64 s12, 2, v72
	v_cndmask_b32_e64 v94, v95, v94, s3
	v_cmp_eq_u32_e64 s11, 1, v71
	v_fma_f32 v97, -v98, v101, v99
	v_cmp_eq_u32_e64 s16, 2, v71
	v_cmp_eq_u32_e64 s13, 3, v72
	v_cndmask_b32_e64 v94, v94, v96, s7
	v_cmp_eq_u32_e64 s18, 3, v71
	v_div_fmas_f32 v95, v97, v103, v101
	v_cmp_eq_u32_e32 vcc_lo, 3, v70
	v_cmp_eq_u32_e64 s3, 4, v70
	v_cmp_eq_u32_e64 s19, 4, v72
	;; [unrolled: 1-line block ×3, first 2 shown]
	v_div_fixup_f32 v95, v95, v74, 1.0
	v_lshlrev_b32_e32 v73, 6, v68
	v_cmp_eq_u32_e64 s6, 5, v70
	v_cmp_eq_u32_e64 s20, 5, v72
	v_cmp_eq_u32_e64 s24, 5, v71
	v_mul_f32_e32 v102, v94, v95
	v_lshl_or_b32 v75, v69, 11, v73
	v_or_b32_e32 v69, 2, v70
	v_cmp_eq_u32_e64 s25, 6, v72
	v_cmp_eq_u32_e64 s27, 6, v71
	v_fma_mixlo_f16 v94, v102, v79, 0
	v_fma_mixlo_f16 v95, v102, v81, 0
	;; [unrolled: 1-line block ×8, first 2 shown]
	v_lshl_or_b32 v74, v66, 4, v75
	v_fma_mixhi_f16 v94, v102, v78, 0
	v_fma_mixhi_f16 v95, v102, v80, 0
	v_fma_mixhi_f16 v96, v102, v82, 0
	v_fma_mixhi_f16 v97, v102, v84, 0
	v_fma_mixhi_f16 v98, v102, v86, 0
	v_fma_mixhi_f16 v99, v102, v88, 0
	v_fma_mixhi_f16 v100, v102, v90, 0
	v_fma_mixhi_f16 v101, v102, v92, 0
	ds_store_b128 v74, v[94:97]
	ds_store_b128 v74, v[98:101] offset:1024
	s_waitcnt lgkmcnt(0)
	s_barrier
	buffer_gl0_inv
	ds_load_b128 v[78:81], v75
	ds_load_b128 v[82:85], v75 offset:16
	ds_load_b128 v[86:89], v75 offset:1024
	;; [unrolled: 1-line block ×3, first 2 shown]
	v_cmp_eq_u32_e64 s10, 1, v69
	v_cmp_eq_u32_e64 s15, 2, v69
	;; [unrolled: 1-line block ×11, first 2 shown]
	s_waitcnt lgkmcnt(3)
	v_lshrrev_b32_e32 v94, 16, v78
	s_waitcnt lgkmcnt(2)
	v_lshrrev_b32_e32 v98, 16, v82
	;; [unrolled: 2-line block ×4, first 2 shown]
	v_lshrrev_b32_e32 v95, 16, v79
	v_cndmask_b32_e64 v110, v78, v94, s4
	v_cndmask_b32_e64 v111, v82, v98, s4
	v_cndmask_b32_e64 v112, v78, v94, s9
	v_cndmask_b32_e64 v113, v82, v98, s9
	v_cndmask_b32_e64 v114, v78, v94, s10
	v_cndmask_b32_e64 v115, v82, v98, s10
	v_cndmask_b32_e64 v78, v78, v94, s11
	v_cndmask_b32_e64 v82, v82, v98, s11
	v_lshrrev_b32_e32 v99, 16, v83
	v_cndmask_b32_e64 v94, v86, v102, s4
	v_cndmask_b32_e64 v98, v90, v106, s4
	;; [unrolled: 1-line block ×15, first 2 shown]
	v_lshrrev_b32_e32 v103, 16, v87
	v_lshrrev_b32_e32 v107, 16, v91
	v_cndmask_b32_e64 v113, v115, v83, s15
	v_cndmask_b32_e64 v82, v94, v87, s5
	;; [unrolled: 1-line block ×7, first 2 shown]
	v_cndmask_b32_e32 v90, v102, v95, vcc_lo
	v_cndmask_b32_e32 v102, v106, v99, vcc_lo
	v_cndmask_b32_e64 v106, v110, v95, s13
	v_cndmask_b32_e64 v110, v111, v99, s13
	;; [unrolled: 1-line block ×4, first 2 shown]
	v_lshrrev_b32_e32 v96, 16, v80
	v_lshrrev_b32_e32 v100, 16, v84
	v_cndmask_b32_e64 v111, v112, v95, s17
	v_cndmask_b32_e64 v112, v113, v99, s17
	v_cndmask_b32_e32 v82, v82, v103, vcc_lo
	v_cndmask_b32_e32 v83, v83, v107, vcc_lo
	v_cndmask_b32_e64 v94, v94, v103, s13
	v_cndmask_b32_e64 v90, v90, v80, s3
	;; [unrolled: 1-line block ×7, first 2 shown]
	v_lshrrev_b32_e32 v104, 16, v88
	v_cndmask_b32_e64 v106, v111, v80, s21
	v_cndmask_b32_e64 v110, v112, v84, s21
	;; [unrolled: 1-line block ×11, first 2 shown]
	v_lshrrev_b32_e32 v97, 16, v81
	v_lshrrev_b32_e32 v101, 16, v85
	v_cndmask_b32_e64 v99, v106, v96, s23
	v_cndmask_b32_e64 v102, v110, v100, s23
	;; [unrolled: 1-line block ×7, first 2 shown]
	v_lshrrev_b32_e32 v105, 16, v89
	v_cndmask_b32_e64 v80, v80, v104, s6
	v_cndmask_b32_e64 v84, v84, v81, s7
	;; [unrolled: 1-line block ×16, first 2 shown]
	v_perm_b32 v81, v79, v78, 0x5040100
	v_perm_b32 v79, v95, v85, 0x5040100
	v_cndmask_b32_e64 v78, v119, v91, s15
	v_cndmask_b32_e64 v85, v117, v91, s12
	;; [unrolled: 1-line block ×3, first 2 shown]
	v_perm_b32 v80, v94, v90, 0x5040100
	v_cndmask_b32_e64 v90, v98, v103, s17
	v_cndmask_b32_e64 v86, v86, v103, s18
	;; [unrolled: 1-line block ×5, first 2 shown]
	v_lshrrev_b32_e32 v108, 16, v92
	v_cndmask_b32_e64 v90, v90, v88, s21
	v_cndmask_b32_e64 v86, v86, v88, s22
	v_cndmask_b32_e64 v87, v87, v92, s22
	v_cndmask_b32_e64 v78, v78, v92, s21
	v_cndmask_b32_e64 v85, v85, v92, s19
	v_cndmask_b32_e64 v82, v82, v108, s6
	v_cndmask_b32_e64 v88, v90, v104, s23
	v_cndmask_b32_e64 v86, v86, v104, s24
	v_cndmask_b32_e64 v87, v87, v108, s24
	v_cndmask_b32_e64 v78, v78, v108, s23
	v_cndmask_b32_e64 v85, v85, v108, s20
	v_lshrrev_b32_e32 v109, 16, v93
	v_cndmask_b32_e64 v82, v82, v93, s7
	v_cndmask_b32_e64 v88, v88, v89, s26
	;; [unrolled: 1-line block ×12, first 2 shown]
	v_perm_b32 v78, v84, v83, 0x5040100
	v_perm_b32 v85, v87, v86, 0x5040100
	;; [unrolled: 1-line block ×5, first 2 shown]
	s_mul_i32 s8, s33, 6
	s_mov_b32 s3, exec_lo
	ds_store_b128 v74, v[78:81]
	ds_store_b128 v74, v[82:85] offset:1024
	v_cmpx_gt_u32_e32 6, v0
	s_cbranch_execz .LBB1107_14
; %bb.13:
	s_mul_i32 s4, s8, s34
	s_delay_alu instid0(SALU_CYCLE_1) | instskip(SKIP_1) | instid1(VALU_DEP_1)
	v_add3_u32 v68, s4, s31, v68
	s_load_b128 s[4:7], s[0:1], 0x58
	v_mad_u64_u32 v[78:79], null, v68, s35, s[14:15]
	s_delay_alu instid0(VALU_DEP_1) | instskip(NEXT) | instid1(VALU_DEP_1)
	v_ashrrev_i32_e32 v79, 31, v78
	v_lshlrev_b64 v[78:79], 2, v[78:79]
	s_waitcnt lgkmcnt(0)
	s_delay_alu instid0(VALU_DEP_1) | instskip(NEXT) | instid1(VALU_DEP_2)
	v_add_co_u32 v80, vcc_lo, s6, v78
	v_add_co_ci_u32_e32 v81, vcc_lo, s7, v79, vcc_lo
	v_add_co_u32 v78, vcc_lo, s4, v78
	v_add_co_ci_u32_e32 v79, vcc_lo, s5, v79, vcc_lo
	global_store_b32 v[80:81], v76, off
	global_store_b32 v[78:79], v77, off
.LBB1107_14:
	s_or_b32 exec_lo, exec_lo, s3
	s_waitcnt lgkmcnt(0)
	s_waitcnt_vscnt null, 0x0
	s_barrier
	buffer_gl0_inv
	ds_load_b128 v[84:87], v73
	ds_load_b128 v[88:91], v73 offset:16
	ds_load_b128 v[96:99], v73 offset:2064
	ds_load_b128 v[92:95], v73 offset:2048
	ds_load_b128 v[104:107], v73 offset:4112
	ds_load_b128 v[100:103], v73 offset:4096
	v_cmp_eq_u32_e32 vcc_lo, 1, v70
	v_mov_b32_e32 v76, 0
	ds_load_b128 v[112:115], v73 offset:6160
	ds_load_b128 v[108:111], v73 offset:6144
	;; [unrolled: 1-line block ×4, first 2 shown]
	v_cmp_eq_u32_e64 s4, 1, v69
	v_cmp_eq_u32_e64 s3, 1, v72
	;; [unrolled: 1-line block ×3, first 2 shown]
	v_mov_b32_e32 v77, v76
	v_mov_b32_e32 v78, v76
	;; [unrolled: 1-line block ×7, first 2 shown]
	v_cmp_eq_u32_e64 s6, 3, v72
	v_cmp_eq_u32_e64 s7, 7, v72
	s_waitcnt lgkmcnt(8)
	s_delay_alu instid0(VALU_DEP_3)
	v_wmma_f32_16x16x16_f16 v[76:83], v[49:56], v[84:91], v[76:83]
	ds_load_b128 v[53:56], v73 offset:10256
	ds_load_b128 v[49:52], v73 offset:10240
	s_waitcnt lgkmcnt(8)
	v_wmma_f32_16x16x16_f16 v[76:83], v[41:48], v[92:99], v[76:83]
	ds_load_b128 v[45:48], v73 offset:12304
	ds_load_b128 v[41:44], v73 offset:12288
	s_waitcnt lgkmcnt(8)
	;; [unrolled: 4-line block ×3, first 2 shown]
	s_barrier
	buffer_gl0_inv
	v_wmma_f32_16x16x16_f16 v[76:83], v[1:8], v[108:115], v[76:83]
	s_delay_alu instid0(VALU_DEP_1) | instskip(NEXT) | instid1(VALU_DEP_1)
	v_wmma_f32_16x16x16_f16 v[76:83], v[9:16], v[116:123], v[76:83]
	v_wmma_f32_16x16x16_f16 v[76:83], v[17:24], v[49:56], v[76:83]
	s_delay_alu instid0(VALU_DEP_1) | instskip(NEXT) | instid1(VALU_DEP_1)
	v_wmma_f32_16x16x16_f16 v[76:83], v[25:32], v[41:48], v[76:83]
	v_wmma_f32_16x16x16_f16 v[76:83], v[57:64], v[33:40], v[76:83]
	s_delay_alu instid0(VALU_DEP_1) | instskip(NEXT) | instid1(VALU_DEP_2)
	v_cvt_f16_f32_e32 v1, v76
	v_cvt_f16_f32_e32 v2, v77
	s_delay_alu instid0(VALU_DEP_3) | instskip(NEXT) | instid1(VALU_DEP_4)
	v_cvt_f16_f32_e32 v3, v78
	v_cvt_f16_f32_e32 v4, v79
	;; [unrolled: 1-line block ×6, first 2 shown]
	v_pack_b32_f16 v1, v1, v2
	v_pack_b32_f16 v2, v3, v4
	;; [unrolled: 1-line block ×3, first 2 shown]
	s_delay_alu instid0(VALU_DEP_4)
	v_pack_b32_f16 v4, v7, v8
	ds_store_b128 v74, v[1:4]
	s_waitcnt lgkmcnt(0)
	s_barrier
	buffer_gl0_inv
	ds_load_b128 v[1:4], v75
	ds_load_b128 v[5:8], v75 offset:16
	s_waitcnt lgkmcnt(1)
	v_lshrrev_b32_e32 v9, 16, v1
	s_waitcnt lgkmcnt(0)
	v_lshrrev_b32_e32 v13, 16, v5
	v_lshrrev_b32_e32 v10, 16, v2
	;; [unrolled: 1-line block ×4, first 2 shown]
	v_cndmask_b32_e32 v17, v1, v9, vcc_lo
	v_cndmask_b32_e32 v18, v5, v13, vcc_lo
	v_cndmask_b32_e64 v21, v1, v9, s4
	v_cmp_eq_u32_e32 vcc_lo, 1, v71
	v_cndmask_b32_e64 v22, v5, v13, s4
	v_cmp_eq_u32_e64 s4, 2, v70
	v_cndmask_b32_e64 v19, v1, v9, s3
	v_cndmask_b32_e64 v20, v5, v13, s3
	v_cndmask_b32_e32 v1, v1, v9, vcc_lo
	v_cmp_eq_u32_e64 s3, 2, v71
	v_cndmask_b32_e32 v5, v5, v13, vcc_lo
	v_cndmask_b32_e64 v9, v17, v2, s4
	v_cmp_eq_u32_e32 vcc_lo, 3, v70
	v_cndmask_b32_e64 v13, v18, v6, s4
	v_cmp_eq_u32_e64 s4, 2, v69
	v_cndmask_b32_e64 v17, v19, v2, s5
	v_cndmask_b32_e64 v18, v20, v6, s5
	v_cmp_eq_u32_e64 s5, 3, v69
	v_cndmask_b32_e64 v1, v1, v2, s3
	v_cndmask_b32_e64 v19, v21, v2, s4
	v_cndmask_b32_e64 v20, v22, v6, s4
	v_cndmask_b32_e64 v2, v5, v6, s3
	v_cndmask_b32_e32 v5, v9, v10, vcc_lo
	v_cndmask_b32_e32 v6, v13, v14, vcc_lo
	v_cmp_eq_u32_e32 vcc_lo, 3, v71
	v_cndmask_b32_e64 v9, v17, v10, s6
	v_cndmask_b32_e64 v13, v18, v14, s6
	;; [unrolled: 1-line block ×3, first 2 shown]
	v_cmp_eq_u32_e64 s4, 4, v70
	v_cndmask_b32_e32 v1, v1, v10, vcc_lo
	v_cndmask_b32_e32 v2, v2, v14, vcc_lo
	v_cmp_eq_u32_e32 vcc_lo, 4, v72
	v_lshrrev_b32_e32 v15, 16, v7
	v_lshrrev_b32_e32 v16, 16, v8
	v_cndmask_b32_e64 v17, v19, v10, s5
	v_cmp_eq_u32_e64 s3, 4, v71
	v_cndmask_b32_e64 v5, v5, v3, s4
	v_cndmask_b32_e64 v6, v6, v7, s4
	v_cndmask_b32_e32 v9, v9, v3, vcc_lo
	v_cmp_eq_u32_e64 s4, 5, v72
	v_cndmask_b32_e32 v10, v13, v7, vcc_lo
	v_cmp_eq_u32_e32 vcc_lo, 4, v69
	v_cmp_eq_u32_e64 s5, 5, v70
	v_cndmask_b32_e64 v2, v2, v7, s3
	v_cndmask_b32_e64 v9, v9, v11, s4
	;; [unrolled: 1-line block ×3, first 2 shown]
	v_cndmask_b32_e32 v13, v17, v3, vcc_lo
	v_cmp_eq_u32_e64 s4, 5, v69
	v_cndmask_b32_e32 v14, v18, v7, vcc_lo
	v_cndmask_b32_e64 v1, v1, v3, s3
	v_cmp_eq_u32_e32 vcc_lo, 5, v71
	v_lshrrev_b32_e32 v12, 16, v4
	v_cndmask_b32_e64 v13, v13, v11, s4
	v_cndmask_b32_e64 v3, v14, v15, s4
	v_cmp_eq_u32_e64 s4, 6, v71
	v_cndmask_b32_e32 v1, v1, v11, vcc_lo
	v_cndmask_b32_e64 v5, v5, v11, s5
	v_cmp_eq_u32_e64 s6, 6, v70
	v_cndmask_b32_e64 v6, v6, v15, s5
	v_cmp_eq_u32_e64 s5, 6, v72
	v_cmp_eq_u32_e64 s3, 6, v69
	v_cndmask_b32_e64 v1, v1, v4, s4
	v_cndmask_b32_e32 v2, v2, v15, vcc_lo
	v_cmp_eq_u32_e32 vcc_lo, 7, v71
	v_cndmask_b32_e64 v5, v5, v4, s6
	v_cndmask_b32_e64 v9, v9, v4, s5
	;; [unrolled: 1-line block ×3, first 2 shown]
	v_cmp_eq_u32_e64 s6, 7, v70
	v_cndmask_b32_e32 v1, v1, v12, vcc_lo
	v_cndmask_b32_e64 v7, v13, v4, s3
	v_cndmask_b32_e64 v3, v3, v8, s3
	;; [unrolled: 1-line block ×3, first 2 shown]
	v_cmp_eq_u32_e64 s3, 7, v69
	v_cndmask_b32_e64 v4, v10, v8, s5
	v_cndmask_b32_e64 v5, v5, v12, s6
	;; [unrolled: 1-line block ×3, first 2 shown]
	v_cndmask_b32_e32 v2, v2, v16, vcc_lo
	v_cndmask_b32_e64 v7, v7, v12, s3
	v_cndmask_b32_e64 v3, v3, v16, s3
	;; [unrolled: 1-line block ×4, first 2 shown]
	v_cmp_gt_u32_e32 vcc_lo, 32, v0
	v_perm_b32 v4, v2, v1, 0x5040100
	v_perm_b32 v3, v3, v7, 0x5040100
	;; [unrolled: 1-line block ×4, first 2 shown]
	s_and_b32 s2, vcc_lo, s2
	ds_store_b128 v74, v[1:4]
	s_waitcnt lgkmcnt(0)
	s_barrier
	buffer_gl0_inv
	s_and_saveexec_b32 s3, s2
	s_cbranch_execz .LBB1107_2
; %bb.15:
	s_load_b64 s[0:1], s[0:1], 0x68
	s_lshl_b32 s4, s35, 6
	v_or_b32_e32 v3, s31, v66
	s_mul_i32 s2, s4, s34
	v_lshlrev_b32_e32 v0, 10, v0
	s_mul_i32 s2, s2, s8
	v_lshlrev_b32_e32 v1, 4, v67
	s_ashr_i32 s3, s2, 31
	v_mul_lo_u32 v12, v3, s4
	s_lshl_b64 s[2:3], s[2:3], 1
	v_lshlrev_b32_e32 v2, 6, v66
	v_and_b32_e32 v0, 0x3800, v0
	s_delay_alu instid0(VALU_DEP_1) | instskip(NEXT) | instid1(VALU_DEP_4)
	v_or3_b32 v8, v0, v1, v2
	v_ashrrev_i32_e32 v13, 31, v12
	ds_load_b128 v[0:3], v8
	ds_load_b128 v[4:7], v8 offset:128
	ds_load_b128 v[8:11], v8 offset:256
	s_waitcnt lgkmcnt(0)
	s_add_u32 s2, s0, s2
	s_addc_u32 s3, s1, s3
	s_lshl_b32 s0, s14, 6
	s_delay_alu instid0(SALU_CYCLE_1) | instskip(NEXT) | instid1(SALU_CYCLE_1)
	s_ashr_i32 s1, s0, 31
	s_lshl_b64 s[0:1], s[0:1], 1
	s_delay_alu instid0(SALU_CYCLE_1)
	s_add_u32 s0, s2, s0
	s_addc_u32 s1, s3, s1
	s_lshl_b32 s2, s35, 7
	v_add_co_u32 v18, s0, s0, v65
	v_add_nc_u32_e32 v14, s2, v12
	v_lshlrev_b64 v[12:13], 1, v[12:13]
	v_add_co_ci_u32_e64 v19, null, s1, 0, s0
	s_delay_alu instid0(VALU_DEP_3) | instskip(SKIP_1) | instid1(VALU_DEP_4)
	v_add_nc_u32_e32 v16, s2, v14
	v_ashrrev_i32_e32 v15, 31, v14
	v_add_co_u32 v12, vcc_lo, v18, v12
	s_delay_alu instid0(VALU_DEP_4) | instskip(NEXT) | instid1(VALU_DEP_4)
	v_add_co_ci_u32_e32 v13, vcc_lo, v19, v13, vcc_lo
	v_ashrrev_i32_e32 v17, 31, v16
	s_delay_alu instid0(VALU_DEP_4) | instskip(NEXT) | instid1(VALU_DEP_2)
	v_lshlrev_b64 v[14:15], 1, v[14:15]
	v_lshlrev_b64 v[16:17], 1, v[16:17]
	s_delay_alu instid0(VALU_DEP_2) | instskip(NEXT) | instid1(VALU_DEP_3)
	v_add_co_u32 v14, vcc_lo, v18, v14
	v_add_co_ci_u32_e32 v15, vcc_lo, v19, v15, vcc_lo
	s_delay_alu instid0(VALU_DEP_3) | instskip(NEXT) | instid1(VALU_DEP_4)
	v_add_co_u32 v16, vcc_lo, v18, v16
	v_add_co_ci_u32_e32 v17, vcc_lo, v19, v17, vcc_lo
	s_clause 0x2
	global_store_b128 v[12:13], v[0:3], off
	global_store_b128 v[14:15], v[4:7], off
	;; [unrolled: 1-line block ×3, first 2 shown]
	s_nop 0
	s_sendmsg sendmsg(MSG_DEALLOC_VGPRS)
	s_endpgm
	.section	.rodata,"a",@progbits
	.p2align	6, 0x0
	.amdhsa_kernel _Z39paged_attention_ll4mi_QKV_mfma16_kernelIDF16_hLN4vllm18Fp8KVCacheDataTypeE1EhLi16ELi64ELi256ELb0ELi6EL8MFMAType0EEvPKT_PKT0_S8_ifPKiSA_SA_iPKfiiiPfSD_PS3_PT2_iSC_SC_
		.amdhsa_group_segment_fixed_size 17472
		.amdhsa_private_segment_fixed_size 0
		.amdhsa_kernarg_size 400
		.amdhsa_user_sgpr_count 13
		.amdhsa_user_sgpr_dispatch_ptr 0
		.amdhsa_user_sgpr_queue_ptr 0
		.amdhsa_user_sgpr_kernarg_segment_ptr 1
		.amdhsa_user_sgpr_dispatch_id 0
		.amdhsa_user_sgpr_private_segment_size 0
		.amdhsa_wavefront_size32 1
		.amdhsa_uses_dynamic_stack 0
		.amdhsa_enable_private_segment 0
		.amdhsa_system_sgpr_workgroup_id_x 1
		.amdhsa_system_sgpr_workgroup_id_y 1
		.amdhsa_system_sgpr_workgroup_id_z 1
		.amdhsa_system_sgpr_workgroup_info 0
		.amdhsa_system_vgpr_workitem_id 0
		.amdhsa_next_free_vgpr 146
		.amdhsa_next_free_sgpr 36
		.amdhsa_reserve_vcc 1
		.amdhsa_float_round_mode_32 0
		.amdhsa_float_round_mode_16_64 0
		.amdhsa_float_denorm_mode_32 3
		.amdhsa_float_denorm_mode_16_64 3
		.amdhsa_dx10_clamp 1
		.amdhsa_ieee_mode 1
		.amdhsa_fp16_overflow 0
		.amdhsa_workgroup_processor_mode 1
		.amdhsa_memory_ordered 1
		.amdhsa_forward_progress 0
		.amdhsa_shared_vgpr_count 0
		.amdhsa_exception_fp_ieee_invalid_op 0
		.amdhsa_exception_fp_denorm_src 0
		.amdhsa_exception_fp_ieee_div_zero 0
		.amdhsa_exception_fp_ieee_overflow 0
		.amdhsa_exception_fp_ieee_underflow 0
		.amdhsa_exception_fp_ieee_inexact 0
		.amdhsa_exception_int_div_zero 0
	.end_amdhsa_kernel
	.section	.text._Z39paged_attention_ll4mi_QKV_mfma16_kernelIDF16_hLN4vllm18Fp8KVCacheDataTypeE1EhLi16ELi64ELi256ELb0ELi6EL8MFMAType0EEvPKT_PKT0_S8_ifPKiSA_SA_iPKfiiiPfSD_PS3_PT2_iSC_SC_,"axG",@progbits,_Z39paged_attention_ll4mi_QKV_mfma16_kernelIDF16_hLN4vllm18Fp8KVCacheDataTypeE1EhLi16ELi64ELi256ELb0ELi6EL8MFMAType0EEvPKT_PKT0_S8_ifPKiSA_SA_iPKfiiiPfSD_PS3_PT2_iSC_SC_,comdat
.Lfunc_end1107:
	.size	_Z39paged_attention_ll4mi_QKV_mfma16_kernelIDF16_hLN4vllm18Fp8KVCacheDataTypeE1EhLi16ELi64ELi256ELb0ELi6EL8MFMAType0EEvPKT_PKT0_S8_ifPKiSA_SA_iPKfiiiPfSD_PS3_PT2_iSC_SC_, .Lfunc_end1107-_Z39paged_attention_ll4mi_QKV_mfma16_kernelIDF16_hLN4vllm18Fp8KVCacheDataTypeE1EhLi16ELi64ELi256ELb0ELi6EL8MFMAType0EEvPKT_PKT0_S8_ifPKiSA_SA_iPKfiiiPfSD_PS3_PT2_iSC_SC_
                                        ; -- End function
	.section	.AMDGPU.csdata,"",@progbits
; Kernel info:
; codeLenInByte = 6460
; NumSgprs: 38
; NumVgprs: 146
; ScratchSize: 0
; MemoryBound: 0
; FloatMode: 240
; IeeeMode: 1
; LDSByteSize: 17472 bytes/workgroup (compile time only)
; SGPRBlocks: 4
; VGPRBlocks: 18
; NumSGPRsForWavesPerEU: 38
; NumVGPRsForWavesPerEU: 146
; Occupancy: 9
; WaveLimiterHint : 1
; COMPUTE_PGM_RSRC2:SCRATCH_EN: 0
; COMPUTE_PGM_RSRC2:USER_SGPR: 13
; COMPUTE_PGM_RSRC2:TRAP_HANDLER: 0
; COMPUTE_PGM_RSRC2:TGID_X_EN: 1
; COMPUTE_PGM_RSRC2:TGID_Y_EN: 1
; COMPUTE_PGM_RSRC2:TGID_Z_EN: 1
; COMPUTE_PGM_RSRC2:TIDIG_COMP_CNT: 0
	.section	.text._Z39paged_attention_ll4mi_QKV_mfma16_kernelIDF16_hLN4vllm18Fp8KVCacheDataTypeE1EhLi16ELi64ELi256ELb0ELi7EL8MFMAType0EEvPKT_PKT0_S8_ifPKiSA_SA_iPKfiiiPfSD_PS3_PT2_iSC_SC_,"axG",@progbits,_Z39paged_attention_ll4mi_QKV_mfma16_kernelIDF16_hLN4vllm18Fp8KVCacheDataTypeE1EhLi16ELi64ELi256ELb0ELi7EL8MFMAType0EEvPKT_PKT0_S8_ifPKiSA_SA_iPKfiiiPfSD_PS3_PT2_iSC_SC_,comdat
	.protected	_Z39paged_attention_ll4mi_QKV_mfma16_kernelIDF16_hLN4vllm18Fp8KVCacheDataTypeE1EhLi16ELi64ELi256ELb0ELi7EL8MFMAType0EEvPKT_PKT0_S8_ifPKiSA_SA_iPKfiiiPfSD_PS3_PT2_iSC_SC_ ; -- Begin function _Z39paged_attention_ll4mi_QKV_mfma16_kernelIDF16_hLN4vllm18Fp8KVCacheDataTypeE1EhLi16ELi64ELi256ELb0ELi7EL8MFMAType0EEvPKT_PKT0_S8_ifPKiSA_SA_iPKfiiiPfSD_PS3_PT2_iSC_SC_
	.globl	_Z39paged_attention_ll4mi_QKV_mfma16_kernelIDF16_hLN4vllm18Fp8KVCacheDataTypeE1EhLi16ELi64ELi256ELb0ELi7EL8MFMAType0EEvPKT_PKT0_S8_ifPKiSA_SA_iPKfiiiPfSD_PS3_PT2_iSC_SC_
	.p2align	8
	.type	_Z39paged_attention_ll4mi_QKV_mfma16_kernelIDF16_hLN4vllm18Fp8KVCacheDataTypeE1EhLi16ELi64ELi256ELb0ELi7EL8MFMAType0EEvPKT_PKT0_S8_ifPKiSA_SA_iPKfiiiPfSD_PS3_PT2_iSC_SC_,@function
_Z39paged_attention_ll4mi_QKV_mfma16_kernelIDF16_hLN4vllm18Fp8KVCacheDataTypeE1EhLi16ELi64ELi256ELb0ELi7EL8MFMAType0EEvPKT_PKT0_S8_ifPKiSA_SA_iPKfiiiPfSD_PS3_PT2_iSC_SC_: ; @_Z39paged_attention_ll4mi_QKV_mfma16_kernelIDF16_hLN4vllm18Fp8KVCacheDataTypeE1EhLi16ELi64ELi256ELb0ELi7EL8MFMAType0EEvPKT_PKT0_S8_ifPKiSA_SA_iPKfiiiPfSD_PS3_PT2_iSC_SC_
; %bb.0:
	s_load_b64 s[2:3], s[0:1], 0x30
	s_mov_b32 s34, s13
	s_waitcnt lgkmcnt(0)
	s_cmp_lg_u64 s[2:3], 0
	s_cselect_b32 s6, -1, 0
	s_ashr_i32 s35, s13, 31
	s_cmp_eq_u64 s[2:3], 0
	s_cbranch_scc1 .LBB1108_3
; %bb.1:
	s_lshl_b64 s[4:5], s[34:35], 2
	s_delay_alu instid0(SALU_CYCLE_1) | instskip(SKIP_4) | instid1(SALU_CYCLE_1)
	s_add_u32 s4, s2, s4
	s_addc_u32 s5, s3, s5
	s_load_b64 s[4:5], s[4:5], 0x0
	s_waitcnt lgkmcnt(0)
	s_sub_i32 s4, s5, s4
	s_cmp_eq_u32 s4, 1
	s_cselect_b32 s4, -1, 0
	s_delay_alu instid0(SALU_CYCLE_1)
	s_and_not1_b32 vcc_lo, exec_lo, s4
	s_cbranch_vccz .LBB1108_4
.LBB1108_2:
	s_nop 0
	s_sendmsg sendmsg(MSG_DEALLOC_VGPRS)
	s_endpgm
.LBB1108_3:
.LBB1108_4:
	s_load_b64 s[8:9], s[0:1], 0x28
	s_lshl_b64 s[4:5], s[34:35], 2
	s_waitcnt lgkmcnt(0)
	s_add_u32 s8, s8, s4
	s_addc_u32 s9, s9, s5
	s_lshl_b32 s16, s14, 8
	s_load_b32 s18, s[8:9], 0x0
	s_waitcnt lgkmcnt(0)
	s_cmp_ge_i32 s16, s18
	s_cbranch_scc1 .LBB1108_2
; %bb.5:
	s_clause 0x1
	s_load_b128 s[8:11], s[0:1], 0x8
	s_load_b64 s[12:13], s[0:1], 0x20
	s_and_not1_b32 vcc_lo, exec_lo, s6
	s_cbranch_vccnz .LBB1108_7
; %bb.6:
	s_add_u32 s2, s2, s4
	s_addc_u32 s3, s3, s5
	s_load_b32 s3, s[2:3], 0x0
	s_branch .LBB1108_8
.LBB1108_7:
	s_mov_b32 s3, s34
.LBB1108_8:
	s_load_b128 s[4:7], s[0:1], 0x48
	v_lshrrev_b32_e32 v69, 5, v0
	v_bfe_u32 v66, v0, 4, 1
	v_and_b32_e32 v68, 15, v0
	v_and_b32_e32 v70, 31, v0
	;; [unrolled: 1-line block ×3, first 2 shown]
	s_mul_i32 s33, s15, 7
	v_lshl_or_b32 v1, v69, 1, v66
	v_lshlrev_b32_e32 v2, 3, v68
	v_cmp_gt_u32_e64 s2, 8, v68
	s_delay_alu instid0(VALU_DEP_3) | instskip(NEXT) | instid1(VALU_DEP_3)
	v_cmp_gt_u32_e32 vcc_lo, 7, v1
	v_lshlrev_b32_e32 v65, 1, v2
	s_delay_alu instid0(VALU_DEP_3)
	s_and_b32 s17, s2, vcc_lo
	s_waitcnt lgkmcnt(0)
	s_and_saveexec_b32 s7, s17
	s_cbranch_execz .LBB1108_10
; %bb.9:
	s_load_b64 s[20:21], s[0:1], 0x0
	v_add_lshl_u32 v2, v1, s33, 6
	s_mul_hi_i32 s23, s3, s4
	s_mul_i32 s22, s3, s4
	v_lshlrev_b32_e32 v6, 10, v68
	s_lshl_b64 s[22:23], s[22:23], 1
	v_ashrrev_i32_e32 v3, 31, v2
	v_lshlrev_b32_e32 v1, 6, v1
	v_lshlrev_b32_e32 v7, 10, v67
	v_and_b32_e32 v6, 0x3800, v6
	s_delay_alu instid0(VALU_DEP_4) | instskip(NEXT) | instid1(VALU_DEP_2)
	v_lshlrev_b64 v[2:3], 1, v[2:3]
	v_or3_b32 v1, v6, v7, v1
	s_waitcnt lgkmcnt(0)
	s_add_u32 s3, s20, s22
	s_addc_u32 s4, s21, s23
	s_delay_alu instid0(VALU_DEP_2) | instskip(SKIP_1) | instid1(VALU_DEP_2)
	v_add_co_u32 v2, vcc_lo, s3, v2
	v_add_co_ci_u32_e32 v3, vcc_lo, s4, v3, vcc_lo
	v_add_co_u32 v2, vcc_lo, v2, v65
	s_delay_alu instid0(VALU_DEP_2)
	v_add_co_ci_u32_e32 v3, vcc_lo, 0, v3, vcc_lo
	global_load_b128 v[2:5], v[2:3], off
	s_waitcnt vmcnt(0)
	ds_store_b128 v1, v[2:5]
.LBB1108_10:
	s_or_b32 exec_lo, exec_lo, s7
	v_and_b32_e32 v1, 0xef, v0
	s_add_i32 s3, s18, 15
	s_clause 0x1
	s_load_b32 s4, s[0:1], 0x38
	s_load_b32 s35, s[0:1], 0x98
	s_ashr_i32 s7, s3, 31
	v_add_nc_u32_e32 v1, s16, v1
	s_lshr_b32 s7, s7, 28
	s_load_b32 s19, s[0:1], 0x1c
	s_add_i32 s3, s3, s7
	s_waitcnt lgkmcnt(0)
	v_ashrrev_i32_e32 v2, 31, v1
	v_or_b32_e32 v3, 16, v1
	s_ashr_i32 s3, s3, 4
	v_cmp_gt_i32_e32 vcc_lo, s18, v1
	s_add_i32 s3, s3, -1
	v_lshrrev_b32_e32 v2, 28, v2
	s_barrier
	buffer_gl0_inv
	s_mul_i32 s15, s15, s6
	v_mul_lo_u16 v103, v68, 37
	v_add_nc_u32_e32 v4, v1, v2
	v_mbcnt_lo_u32_b32 v127, -1, 0
	s_mul_i32 s20, s34, s4
	s_delay_alu instid0(SALU_CYCLE_1) | instskip(NEXT) | instid1(VALU_DEP_2)
	s_ashr_i32 s21, s20, 31
	v_ashrrev_i32_e32 v4, 4, v4
	v_add_nc_u32_e32 v2, v3, v2
	s_lshl_b64 s[20:21], s[20:21], 2
	v_lshrrev_b16 v103, 8, v103
	s_add_u32 s17, s12, s20
	v_cndmask_b32_e32 v1, s3, v4, vcc_lo
	v_ashrrev_i32_e32 v2, 4, v2
	v_cmp_gt_i32_e32 vcc_lo, s18, v3
	s_addc_u32 s13, s13, s21
	s_ashr_i32 s20, s15, 31
	s_add_u32 s4, s8, s15
	s_addc_u32 s12, s9, s20
	v_cndmask_b32_e32 v3, s3, v2, vcc_lo
	v_ashrrev_i32_e32 v2, 31, v1
	s_lshl_b32 s6, s14, 4
	v_mul_lo_u16 v103, v103, 7
	s_ashr_i32 s7, s6, 31
	v_ashrrev_i32_e32 v4, 31, v3
	v_lshlrev_b64 v[1:2], 2, v[1:2]
	s_lshl_b64 s[6:7], s[6:7], 2
	v_sub_nc_u16 v103, v68, v103
	s_add_u32 s6, s17, s6
	v_lshlrev_b64 v[3:4], 2, v[3:4]
	s_addc_u32 s7, s13, s7
	v_add_co_u32 v1, vcc_lo, s17, v1
	v_add_co_ci_u32_e32 v2, vcc_lo, s13, v2, vcc_lo
	s_delay_alu instid0(VALU_DEP_3) | instskip(NEXT) | instid1(VALU_DEP_4)
	v_add_co_u32 v3, vcc_lo, s17, v3
	v_add_co_ci_u32_e32 v4, vcc_lo, s13, v4, vcc_lo
	s_clause 0x1
	global_load_b32 v5, v[1:2], off
	global_load_b32 v7, v[3:4], off
	s_or_b32 s8, s16, 32
	v_lshlrev_b32_e32 v1, 4, v0
	s_ashr_i32 s9, s8, 4
	s_cmp_lt_i32 s8, s18
	v_xor_b32_e32 v128, 16, v127
	s_cselect_b32 s8, s9, s3
	v_and_b32_e32 v1, 0xf0, v1
	s_ashr_i32 s9, s8, 31
	s_delay_alu instid0(SALU_CYCLE_1)
	s_lshl_b64 s[8:9], s[8:9], 2
	v_cmp_gt_i32_e32 vcc_lo, 32, v128
	s_add_u32 s8, s17, s8
	s_addc_u32 s9, s13, s9
	s_or_b32 s21, s16, 64
	v_add_co_u32 v1, s4, s4, v1
	s_ashr_i32 s22, s21, 4
	s_cmp_lt_i32 s21, s18
	v_add_co_ci_u32_e64 v2, null, s12, 0, s4
	s_cselect_b32 s22, s22, s3
	v_dual_cndmask_b32 v136, v127, v128 :: v_dual_and_b32 v103, 0xff, v103
	s_ashr_i32 s23, s22, 31
	s_delay_alu instid0(SALU_CYCLE_1) | instskip(NEXT) | instid1(VALU_DEP_1)
	s_lshl_b64 s[22:23], s[22:23], 2
	v_lshlrev_b32_e32 v115, 6, v103
	s_add_u32 s22, s17, s22
	s_addc_u32 s23, s13, s23
	s_or_b32 s21, s16, 0x60
	s_delay_alu instid0(SALU_CYCLE_1) | instskip(SKIP_2) | instid1(SALU_CYCLE_1)
	s_ashr_i32 s24, s21, 4
	s_cmp_lt_i32 s21, s18
	s_cselect_b32 s24, s24, s3
	s_ashr_i32 s25, s24, 31
	s_delay_alu instid0(SALU_CYCLE_1) | instskip(NEXT) | instid1(SALU_CYCLE_1)
	s_lshl_b64 s[24:25], s[24:25], 2
	s_add_u32 s24, s17, s24
	s_addc_u32 s25, s13, s25
	s_or_b32 s21, s16, 0x80
	s_delay_alu instid0(SALU_CYCLE_1) | instskip(SKIP_2) | instid1(SALU_CYCLE_1)
	s_ashr_i32 s26, s21, 4
	s_cmp_lt_i32 s21, s18
	s_cselect_b32 s26, s26, s3
	s_ashr_i32 s27, s26, 31
	s_delay_alu instid0(SALU_CYCLE_1) | instskip(NEXT) | instid1(SALU_CYCLE_1)
	s_lshl_b64 s[26:27], s[26:27], 2
	;; [unrolled: 10-line block ×3, first 2 shown]
	s_add_u32 s28, s17, s28
	s_addc_u32 s29, s13, s29
	s_clause 0x5
	s_load_b32 s12, s[6:7], 0x0
	s_load_b32 s4, s[8:9], 0x0
	;; [unrolled: 1-line block ×6, first 2 shown]
	s_or_b32 s21, s16, 0xc0
	s_delay_alu instid0(SALU_CYCLE_1) | instskip(SKIP_2) | instid1(SALU_CYCLE_1)
	s_ashr_i32 s22, s21, 4
	s_cmp_lt_i32 s21, s18
	s_cselect_b32 s22, s22, s3
	s_ashr_i32 s23, s22, 31
	s_delay_alu instid0(SALU_CYCLE_1) | instskip(NEXT) | instid1(SALU_CYCLE_1)
	s_lshl_b64 s[22:23], s[22:23], 2
	s_add_u32 s22, s17, s22
	s_addc_u32 s23, s13, s23
	s_or_b32 s21, s16, 0xe0
	s_delay_alu instid0(SALU_CYCLE_1) | instskip(SKIP_2) | instid1(SALU_CYCLE_1)
	s_ashr_i32 s24, s21, 4
	s_cmp_lt_i32 s21, s18
	s_cselect_b32 s24, s24, s3
	s_ashr_i32 s25, s24, 31
	s_delay_alu instid0(SALU_CYCLE_1)
	s_lshl_b64 s[24:25], s[24:25], 2
	s_waitcnt vmcnt(1)
	v_mad_i64_i32 v[3:4], null, v5, s5, v[1:2]
	s_waitcnt vmcnt(0)
	v_mad_i64_i32 v[5:6], null, v7, s5, v[1:2]
	v_lshlrev_b32_e32 v1, 4, v68
	s_clause 0x7
	global_load_b128 v[71:74], v[3:4], off
	global_load_b128 v[75:78], v[3:4], off offset:256
	global_load_b128 v[79:82], v[5:6], off
	global_load_b128 v[83:86], v[5:6], off offset:256
	global_load_b128 v[87:90], v[3:4], off offset:512
	global_load_b128 v[91:94], v[3:4], off offset:768
	global_load_b128 v[95:98], v[5:6], off offset:512
	global_load_b128 v[99:102], v[5:6], off offset:768
	v_lshl_or_b32 v1, v69, 8, v1
	s_load_b32 s3, s[22:23], 0x0
	s_add_u32 s22, s17, s24
	s_addc_u32 s23, s13, s25
	s_add_u32 s10, s10, s15
	s_addc_u32 s11, s11, s20
	v_add_co_u32 v1, s10, s10, v1
	s_delay_alu instid0(VALU_DEP_1) | instskip(SKIP_2) | instid1(VALU_DEP_1)
	v_add_co_ci_u32_e64 v2, null, s11, 0, s10
	s_load_b32 s10, s[22:23], 0x0
	s_waitcnt lgkmcnt(0)
	v_mad_i64_i32 v[3:4], null, s12, s5, v[1:2]
	v_mad_i64_i32 v[9:10], null, s7, s5, v[1:2]
	;; [unrolled: 1-line block ×7, first 2 shown]
	s_clause 0x5
	global_load_b128 v[49:52], v[3:4], off
	global_load_b128 v[53:56], v[3:4], off offset:16
	global_load_b128 v[41:44], v[5:6], off
	global_load_b128 v[45:48], v[5:6], off offset:16
	;; [unrolled: 2-line block ×3, first 2 shown]
	s_mov_b32 s4, 0
	v_mad_i64_i32 v[61:62], null, s10, s5, v[1:2]
	s_clause 0x9
	global_load_b128 v[1:4], v[9:10], off
	global_load_b128 v[5:8], v[9:10], off offset:16
	global_load_b128 v[9:12], v[13:14], off
	global_load_b128 v[13:16], v[13:14], off offset:16
	;; [unrolled: 2-line block ×5, first 2 shown]
	s_mov_b32 s5, s4
	s_mov_b32 s6, s4
	;; [unrolled: 1-line block ×7, first 2 shown]
	v_and_b32_e32 v104, 0xe0, v0
	v_dual_mov_b32 v126, s11 :: v_dual_mov_b32 v123, s8
	v_dual_mov_b32 v125, s10 :: v_dual_mov_b32 v124, s9
	s_delay_alu instid0(VALU_DEP_3)
	v_add_nc_u32_e32 v111, s16, v104
	ds_load_b128 v[103:106], v115
	ds_load_b128 v[107:110], v115 offset:1024
	v_dual_mov_b32 v122, s7 :: v_dual_mov_b32 v121, s6
	v_mov_b32_e32 v120, s5
	v_or_b32_e32 v135, v111, v66
	ds_load_b128 v[111:114], v115 offset:2048
	ds_load_b128 v[115:118], v115 offset:3072
	v_mov_b32_e32 v119, s4
	s_waitcnt vmcnt(0) lgkmcnt(0)
	s_barrier
	v_or_b32_e32 v137, 2, v135
	v_or_b32_e32 v138, 4, v135
	;; [unrolled: 1-line block ×3, first 2 shown]
	v_cmp_gt_i32_e32 vcc_lo, s18, v135
	v_or_b32_e32 v140, 8, v135
	v_cmp_gt_i32_e64 s3, s18, v137
	v_or_b32_e32 v141, 10, v135
	v_cmp_gt_i32_e64 s4, s18, v138
	v_cmp_gt_i32_e64 s5, s18, v139
	v_or_b32_e32 v142, 12, v135
	v_or_b32_e32 v143, 14, v135
	v_cmp_gt_i32_e64 s6, s18, v140
	v_cmp_gt_i32_e64 s7, s18, v141
	v_or_b32_e32 v144, 16, v135
	v_or_b32_e32 v145, 18, v135
	v_cmp_gt_i32_e64 s8, s18, v142
	v_cmp_gt_i32_e64 s9, s18, v143
	buffer_gl0_inv
	v_cmp_gt_i32_e64 s10, s18, v144
	v_cmp_gt_i32_e64 s11, s18, v145
	v_wmma_f32_16x16x16_f16 v[127:134], v[71:78], v[103:110], v[119:126]
	v_wmma_f32_16x16x16_f16 v[119:126], v[79:86], v[103:110], v[119:126]
	v_or_b32_e32 v71, 20, v135
	v_or_b32_e32 v72, 22, v135
	s_delay_alu instid0(VALU_DEP_4)
	v_wmma_f32_16x16x16_f16 v[127:134], v[87:94], v[111:118], v[127:134]
	v_or_b32_e32 v73, 24, v135
	v_wmma_f32_16x16x16_f16 v[119:126], v[95:102], v[111:118], v[119:126]
	v_or_b32_e32 v74, 26, v135
	v_cmp_gt_i32_e64 s12, s18, v71
	v_dual_mul_f32 v83, s19, v128 :: v_dual_mul_f32 v84, s19, v127
	s_delay_alu instid0(VALU_DEP_4) | instskip(SKIP_1) | instid1(VALU_DEP_3)
	v_dual_mul_f32 v81, s19, v130 :: v_dual_mul_f32 v92, s19, v119
	v_mul_f32_e32 v82, s19, v129
	v_cndmask_b32_e64 v83, 0xff7fffff, v83, s3
	s_delay_alu instid0(VALU_DEP_4)
	v_cndmask_b32_e32 v84, 0xff7fffff, v84, vcc_lo
	v_dual_mul_f32 v79, s19, v132 :: v_dual_mul_f32 v90, s19, v121
	v_mul_f32_e32 v80, s19, v131
	v_cndmask_b32_e64 v82, 0xff7fffff, v82, s4
	v_cndmask_b32_e64 v81, 0xff7fffff, v81, s5
	v_max3_f32 v83, v84, 0xff7fffff, v83
	v_dual_mul_f32 v77, s19, v134 :: v_dual_mul_f32 v88, s19, v123
	v_mul_f32_e32 v78, s19, v133
	v_cndmask_b32_e64 v80, 0xff7fffff, v80, s6
	v_cndmask_b32_e64 v79, 0xff7fffff, v79, s7
	v_max3_f32 v81, v83, v82, v81
	v_mul_f32_e32 v91, s19, v120
	v_cndmask_b32_e64 v78, 0xff7fffff, v78, s8
	v_cndmask_b32_e64 v77, 0xff7fffff, v77, s9
	v_mul_f32_e32 v89, s19, v122
	v_max3_f32 v79, v81, v80, v79
	v_cndmask_b32_e64 v80, 0xff7fffff, v92, s10
	v_cndmask_b32_e64 v81, 0xff7fffff, v91, s11
	v_cmp_gt_i32_e64 s13, s18, v72
	v_or_b32_e32 v75, 28, v135
	v_max3_f32 v77, v79, v78, v77
	v_or_b32_e32 v76, 30, v135
	v_mul_f32_e32 v87, s19, v124
	v_cndmask_b32_e64 v71, 0xff7fffff, v90, s12
	v_cndmask_b32_e64 v72, 0xff7fffff, v89, s13
	v_max3_f32 v77, v77, v80, v81
	v_cmp_gt_i32_e64 s15, s18, v73
	v_cmp_gt_i32_e64 s16, s18, v74
	v_dual_mul_f32 v85, s19, v126 :: v_dual_mul_f32 v86, s19, v125
	s_delay_alu instid0(VALU_DEP_4) | instskip(NEXT) | instid1(VALU_DEP_4)
	v_max3_f32 v71, v77, v71, v72
	v_cndmask_b32_e64 v73, 0xff7fffff, v88, s15
	s_delay_alu instid0(VALU_DEP_4) | instskip(SKIP_2) | instid1(VALU_DEP_3)
	v_cndmask_b32_e64 v74, 0xff7fffff, v87, s16
	v_cmp_gt_i32_e64 s17, s18, v75
	v_cmp_gt_i32_e64 s18, s18, v76
	v_max3_f32 v71, v71, v73, v74
	s_delay_alu instid0(VALU_DEP_3) | instskip(NEXT) | instid1(VALU_DEP_3)
	v_cndmask_b32_e64 v72, 0xff7fffff, v86, s17
	v_cndmask_b32_e64 v75, 0xff7fffff, v85, s18
	v_lshlrev_b32_e32 v73, 2, v136
	s_delay_alu instid0(VALU_DEP_2) | instskip(SKIP_3) | instid1(VALU_DEP_1)
	v_max3_f32 v71, v71, v72, v75
	ds_bpermute_b32 v72, v73, v71
	s_waitcnt lgkmcnt(0)
	v_max_f32_e32 v72, v72, v72
	v_max_f32_e32 v71, v71, v72
	s_delay_alu instid0(VALU_DEP_1)
	v_fma_f32 v72, s19, v127, -v71
	v_fma_f32 v74, s19, v128, -v71
	v_fma_f32 v75, s19, v129, -v71
	v_fma_f32 v76, s19, v130, -v71
	v_fma_f32 v77, s19, v131, -v71
	v_mul_f32_e32 v72, 0x3fb8aa3b, v72
	v_mul_f32_e32 v74, 0x3fb8aa3b, v74
	v_fma_f32 v80, s19, v133, -v71
	s_delay_alu instid0(VALU_DEP_4) | instskip(NEXT) | instid1(VALU_DEP_4)
	v_dual_mul_f32 v76, 0x3fb8aa3b, v76 :: v_dual_mul_f32 v77, 0x3fb8aa3b, v77
	v_exp_f32_e32 v72, v72
	s_delay_alu instid0(VALU_DEP_3) | instskip(NEXT) | instid1(VALU_DEP_2)
	v_exp_f32_e32 v74, v74
	v_mul_f32_e32 v82, 0x3fb8aa3b, v80
	s_delay_alu instid0(VALU_DEP_2) | instskip(SKIP_1) | instid1(VALU_DEP_1)
	v_exp_f32_e32 v76, v76
	v_exp_f32_e32 v77, v77
	;; [unrolled: 1-line block ×3, first 2 shown]
	v_cndmask_b32_e32 v79, 0, v72, vcc_lo
	v_fma_f32 v72, s19, v132, -v71
	v_mul_f32_e32 v75, 0x3fb8aa3b, v75
	v_cndmask_b32_e64 v78, 0, v74, s3
	s_delay_alu instid0(TRANS32_DEP_3)
	v_cndmask_b32_e64 v80, 0, v76, s5
	v_add_f32_e32 v74, 0, v79
	v_mul_f32_e32 v72, 0x3fb8aa3b, v72
	v_exp_f32_e32 v75, v75
	v_cndmask_b32_e64 v83, 0, v77, s6
	v_cndmask_b32_e64 v85, 0, v84, s8
	v_add_f32_e32 v74, v74, v78
	v_exp_f32_e32 v72, v72
	v_cmp_gt_u32_e64 s3, 16, v70
	s_waitcnt_depctr 0xfff
	v_cndmask_b32_e64 v81, 0, v75, s4
	v_cndmask_b32_e64 v82, 0, v72, s7
	s_delay_alu instid0(VALU_DEP_2) | instskip(NEXT) | instid1(VALU_DEP_1)
	v_add_f32_e32 v74, v74, v81
	v_add_f32_e32 v74, v74, v80
	s_delay_alu instid0(VALU_DEP_1) | instskip(SKIP_4) | instid1(VALU_DEP_4)
	v_add_f32_e32 v72, v74, v83
	v_fma_f32 v75, s19, v134, -v71
	v_fma_f32 v76, s19, v119, -v71
	;; [unrolled: 1-line block ×4, first 2 shown]
	v_dual_add_f32 v72, v72, v82 :: v_dual_mul_f32 v75, 0x3fb8aa3b, v75
	s_delay_alu instid0(VALU_DEP_3) | instskip(SKIP_1) | instid1(VALU_DEP_3)
	v_dual_mul_f32 v76, 0x3fb8aa3b, v76 :: v_dual_mul_f32 v77, 0x3fb8aa3b, v77
	v_fma_f32 v86, s19, v122, -v71
	v_add_f32_e32 v72, v72, v85
	s_delay_alu instid0(VALU_DEP_4) | instskip(NEXT) | instid1(VALU_DEP_3)
	v_exp_f32_e32 v75, v75
	v_exp_f32_e32 v76, v76
	;; [unrolled: 1-line block ×3, first 2 shown]
	v_mul_f32_e32 v86, 0x3fb8aa3b, v86
	s_delay_alu instid0(VALU_DEP_1) | instskip(SKIP_3) | instid1(TRANS32_DEP_3)
	v_exp_f32_e32 v88, v86
	v_cndmask_b32_e64 v84, 0, v75, s9
	v_fma_f32 v75, s19, v123, -v71
	v_mul_f32_e32 v74, 0x3fb8aa3b, v74
	v_cndmask_b32_e64 v87, 0, v76, s10
	v_fma_f32 v76, s19, v124, -v71
	s_delay_alu instid0(VALU_DEP_4) | instskip(NEXT) | instid1(VALU_DEP_4)
	v_dual_add_f32 v72, v72, v84 :: v_dual_mul_f32 v75, 0x3fb8aa3b, v75
	v_exp_f32_e32 v74, v74
	v_cndmask_b32_e64 v86, 0, v77, s11
	v_fma_f32 v77, s19, v125, -v71
	s_delay_alu instid0(VALU_DEP_3) | instskip(SKIP_3) | instid1(VALU_DEP_3)
	v_add_f32_e32 v72, v72, v87
	v_mul_f32_e32 v76, 0x3fb8aa3b, v76
	v_exp_f32_e32 v75, v75
	v_cndmask_b32_e64 v88, 0, v88, s13
	v_add_f32_e32 v72, v72, v86
	s_delay_alu instid0(VALU_DEP_3) | instskip(NEXT) | instid1(TRANS32_DEP_3)
	v_exp_f32_e32 v76, v76
	v_cndmask_b32_e64 v89, 0, v74, s12
	v_mul_f32_e32 v74, 0x3fb8aa3b, v77
	v_fma_f32 v77, s19, v126, -v71
	s_delay_alu instid0(VALU_DEP_3) | instskip(NEXT) | instid1(VALU_DEP_3)
	v_add_f32_e32 v72, v72, v89
	v_exp_f32_e32 v74, v74
	s_delay_alu instid0(TRANS32_DEP_3) | instskip(NEXT) | instid1(VALU_DEP_3)
	v_cndmask_b32_e64 v91, 0, v75, s15
	v_mul_f32_e32 v75, 0x3fb8aa3b, v77
	s_delay_alu instid0(TRANS32_DEP_2) | instskip(SKIP_1) | instid1(VALU_DEP_3)
	v_cndmask_b32_e64 v90, 0, v76, s16
	v_add_f32_e32 v72, v72, v88
	v_exp_f32_e32 v75, v75
	s_delay_alu instid0(VALU_DEP_1) | instskip(NEXT) | instid1(TRANS32_DEP_2)
	v_add_f32_e32 v72, v72, v91
	v_cndmask_b32_e64 v93, 0, v74, s17
	s_delay_alu instid0(VALU_DEP_2) | instskip(SKIP_3) | instid1(VALU_DEP_1)
	v_add_f32_e32 v72, v72, v90
	s_waitcnt_depctr 0xfff
	v_cndmask_b32_e64 v92, 0, v75, s18
	v_add_f32_e32 v72, v72, v93
	v_add_f32_e32 v72, v72, v92
	ds_bpermute_b32 v73, v73, v72
	s_and_saveexec_b32 s4, s3
	s_cbranch_execz .LBB1108_12
; %bb.11:
	v_mul_u32_u24_e32 v70, 0x44, v69
	s_waitcnt lgkmcnt(0)
	v_add_f32_e32 v72, v72, v73
	s_delay_alu instid0(VALU_DEP_2) | instskip(NEXT) | instid1(VALU_DEP_1)
	v_lshl_add_u32 v70, v68, 2, v70
	v_add_nc_u32_e32 v70, 0x4000, v70
	ds_store_2addr_b32 v70, v71, v72 offset1:136
.LBB1108_12:
	s_or_b32 exec_lo, exec_lo, s4
	v_lshlrev_b32_e32 v70, 2, v68
	s_load_b32 s36, s[0:1], 0x94
	s_waitcnt lgkmcnt(0)
	s_barrier
	buffer_gl0_inv
	v_add_nc_u32_e32 v98, 0x4000, v70
	v_cmp_eq_u32_e32 vcc_lo, 1, v69
	v_cmp_eq_u32_e64 s4, 2, v69
	v_cmp_eq_u32_e64 s5, 3, v69
	;; [unrolled: 1-line block ×3, first 2 shown]
	ds_load_2addr_b32 v[70:71], v98 offset1:17
	ds_load_2addr_b32 v[72:73], v98 offset0:34 offset1:51
	ds_load_2addr_b32 v[74:75], v98 offset0:68 offset1:85
	;; [unrolled: 1-line block ×3, first 2 shown]
	v_cmp_eq_u32_e64 s7, 5, v69
	v_cmp_eq_u32_e64 s8, 7, v69
	s_waitcnt lgkmcnt(3)
	v_max3_f32 v76, v70, 0xff7fffff, v71
	s_waitcnt lgkmcnt(2)
	s_delay_alu instid0(VALU_DEP_1) | instskip(SKIP_1) | instid1(VALU_DEP_1)
	v_max3_f32 v76, v76, v72, v73
	s_waitcnt lgkmcnt(1)
	v_max3_f32 v76, v76, v74, v75
	s_waitcnt lgkmcnt(0)
	s_delay_alu instid0(VALU_DEP_1) | instskip(NEXT) | instid1(VALU_DEP_1)
	v_max3_f32 v76, v76, v94, v95
	v_sub_f32_e32 v77, v71, v76
	ds_load_2addr_b32 v[96:97], v98 offset0:136 offset1:153
	v_sub_f32_e32 v74, v74, v76
	v_sub_f32_e32 v70, v70, v76
	;; [unrolled: 1-line block ×3, first 2 shown]
	v_dual_sub_f32 v72, v72, v76 :: v_dual_mul_f32 v77, 0x3fb8aa3b, v77
	s_delay_alu instid0(VALU_DEP_4) | instskip(NEXT) | instid1(VALU_DEP_4)
	v_mul_f32_e32 v103, 0x3fb8aa3b, v74
	v_mul_f32_e32 v99, 0x3fb8aa3b, v70
	ds_load_2addr_b32 v[70:71], v98 offset0:170 offset1:187
	v_dual_mul_f32 v101, 0x3fb8aa3b, v72 :: v_dual_mul_f32 v94, 0x3fb8aa3b, v94
	v_exp_f32_e32 v102, v77
	v_exp_f32_e32 v99, v99
	s_delay_alu instid0(VALU_DEP_1) | instskip(NEXT) | instid1(VALU_DEP_1)
	v_exp_f32_e32 v101, v101
	v_exp_f32_e32 v94, v94
	s_waitcnt lgkmcnt(1)
	s_delay_alu instid0(TRANS32_DEP_3)
	v_fma_f32 v77, v99, v96, 0
	v_sub_f32_e32 v100, v73, v76
	ds_load_2addr_b32 v[72:73], v98 offset0:204 offset1:221
	v_fmac_f32_e32 v77, v102, v97
	v_exp_f32_e32 v97, v103
	s_waitcnt lgkmcnt(1)
	s_delay_alu instid0(VALU_DEP_1)
	v_dual_fmac_f32 v77, v101, v70 :: v_dual_sub_f32 v96, v75, v76
	ds_load_2addr_b32 v[74:75], v98 offset0:238 offset1:255
	v_sub_f32_e32 v70, v95, v76
	s_waitcnt lgkmcnt(0)
	s_barrier
	v_mul_f32_e32 v96, 0x3fb8aa3b, v96
	buffer_gl0_inv
	v_exp_f32_e32 v95, v96
	v_mul_f32_e32 v100, 0x3fb8aa3b, v100
	s_delay_alu instid0(VALU_DEP_1) | instskip(SKIP_3) | instid1(VALU_DEP_2)
	v_exp_f32_e32 v100, v100
	s_waitcnt_depctr 0xfff
	v_dual_fmac_f32 v77, v100, v71 :: v_dual_mul_f32 v70, 0x3fb8aa3b, v70
	v_cndmask_b32_e32 v71, v99, v102, vcc_lo
	v_fmac_f32_e32 v77, v97, v72
	s_delay_alu instid0(VALU_DEP_3) | instskip(NEXT) | instid1(VALU_DEP_1)
	v_exp_f32_e32 v96, v70
	v_fmac_f32_e32 v77, v95, v73
	s_delay_alu instid0(VALU_DEP_1) | instskip(SKIP_2) | instid1(VALU_DEP_1)
	v_fmac_f32_e32 v77, v94, v74
	s_waitcnt_depctr 0xfff
	v_fmac_f32_e32 v77, v96, v75
	v_add_f32_e32 v74, 0x358637bd, v77
	s_delay_alu instid0(VALU_DEP_1) | instskip(SKIP_1) | instid1(VALU_DEP_2)
	v_div_scale_f32 v98, null, v74, v74, 1.0
	v_div_scale_f32 v99, vcc_lo, 1.0, v74, 1.0
	v_rcp_f32_e32 v103, v98
	s_waitcnt_depctr 0xfff
	v_fma_f32 v70, -v98, v103, 1.0
	s_delay_alu instid0(VALU_DEP_1) | instskip(SKIP_2) | instid1(VALU_DEP_2)
	v_fmac_f32_e32 v103, v70, v103
	v_cndmask_b32_e64 v70, v71, v101, s4
	v_cmp_eq_u32_e64 s4, 6, v69
	v_cndmask_b32_e64 v71, v70, v100, s5
	s_delay_alu instid0(VALU_DEP_4) | instskip(NEXT) | instid1(VALU_DEP_2)
	v_dual_mul_f32 v101, v99, v103 :: v_dual_lshlrev_b32 v70, 2, v66
	v_cndmask_b32_e64 v71, v71, v97, s6
	s_delay_alu instid0(VALU_DEP_2) | instskip(NEXT) | instid1(VALU_DEP_3)
	v_or_b32_e32 v72, 1, v70
	v_fma_f32 v100, -v98, v101, v99
	v_cmp_eq_u32_e64 s5, 1, v70
	v_cmp_eq_u32_e64 s6, 2, v70
	v_cndmask_b32_e64 v95, v71, v95, s7
	v_or_b32_e32 v71, 3, v70
	v_fmac_f32_e32 v101, v100, v103
	v_cmp_eq_u32_e64 s10, 1, v72
	v_cmp_eq_u32_e64 s13, 2, v72
	v_cndmask_b32_e64 v94, v95, v94, s4
	v_cmp_eq_u32_e64 s12, 1, v71
	v_fma_f32 v97, -v98, v101, v99
	v_cmp_eq_u32_e64 s17, 2, v71
	v_cmp_eq_u32_e64 s15, 3, v72
	v_cndmask_b32_e64 v94, v94, v96, s8
	v_cmp_eq_u32_e64 s19, 3, v71
	v_div_fmas_f32 v95, v97, v103, v101
	v_cmp_eq_u32_e32 vcc_lo, 3, v70
	v_cmp_eq_u32_e64 s4, 4, v70
	v_cmp_eq_u32_e64 s20, 4, v72
	;; [unrolled: 1-line block ×3, first 2 shown]
	v_div_fixup_f32 v95, v95, v74, 1.0
	v_lshlrev_b32_e32 v73, 6, v68
	v_cmp_eq_u32_e64 s7, 5, v70
	v_cmp_eq_u32_e64 s21, 5, v72
	;; [unrolled: 1-line block ×3, first 2 shown]
	v_mul_f32_e32 v102, v94, v95
	v_lshl_or_b32 v75, v69, 11, v73
	v_or_b32_e32 v69, 2, v70
	v_cmp_eq_u32_e64 s26, 6, v72
	v_cmp_eq_u32_e64 s28, 6, v71
	v_fma_mixlo_f16 v94, v102, v79, 0
	v_fma_mixlo_f16 v95, v102, v81, 0
	;; [unrolled: 1-line block ×8, first 2 shown]
	v_lshl_or_b32 v74, v66, 4, v75
	v_fma_mixhi_f16 v94, v102, v78, 0
	v_fma_mixhi_f16 v95, v102, v80, 0
	;; [unrolled: 1-line block ×8, first 2 shown]
	ds_store_b128 v74, v[94:97]
	ds_store_b128 v74, v[98:101] offset:1024
	s_waitcnt lgkmcnt(0)
	s_barrier
	buffer_gl0_inv
	ds_load_b128 v[78:81], v75
	ds_load_b128 v[82:85], v75 offset:16
	ds_load_b128 v[86:89], v75 offset:1024
	;; [unrolled: 1-line block ×3, first 2 shown]
	v_cmp_eq_u32_e64 s11, 1, v69
	v_cmp_eq_u32_e64 s16, 2, v69
	;; [unrolled: 1-line block ×11, first 2 shown]
	s_waitcnt lgkmcnt(3)
	v_lshrrev_b32_e32 v94, 16, v78
	s_waitcnt lgkmcnt(2)
	v_lshrrev_b32_e32 v98, 16, v82
	;; [unrolled: 2-line block ×4, first 2 shown]
	v_lshrrev_b32_e32 v95, 16, v79
	v_cndmask_b32_e64 v110, v78, v94, s5
	v_cndmask_b32_e64 v111, v82, v98, s5
	;; [unrolled: 1-line block ×8, first 2 shown]
	v_lshrrev_b32_e32 v99, 16, v83
	v_cndmask_b32_e64 v94, v86, v102, s5
	v_cndmask_b32_e64 v98, v90, v106, s5
	;; [unrolled: 1-line block ×15, first 2 shown]
	v_lshrrev_b32_e32 v103, 16, v87
	v_lshrrev_b32_e32 v107, 16, v91
	v_cndmask_b32_e64 v113, v115, v83, s16
	v_cndmask_b32_e64 v82, v94, v87, s6
	;; [unrolled: 1-line block ×7, first 2 shown]
	v_cndmask_b32_e32 v90, v102, v95, vcc_lo
	v_cndmask_b32_e32 v102, v106, v99, vcc_lo
	v_cndmask_b32_e64 v106, v110, v95, s15
	v_cndmask_b32_e64 v110, v111, v99, s15
	;; [unrolled: 1-line block ×4, first 2 shown]
	v_lshrrev_b32_e32 v96, 16, v80
	v_lshrrev_b32_e32 v100, 16, v84
	v_cndmask_b32_e64 v111, v112, v95, s18
	v_cndmask_b32_e64 v112, v113, v99, s18
	v_cndmask_b32_e32 v82, v82, v103, vcc_lo
	v_cndmask_b32_e32 v83, v83, v107, vcc_lo
	v_cndmask_b32_e64 v94, v94, v103, s15
	v_cndmask_b32_e64 v90, v90, v80, s4
	;; [unrolled: 1-line block ×7, first 2 shown]
	v_lshrrev_b32_e32 v104, 16, v88
	v_cndmask_b32_e64 v106, v111, v80, s22
	v_cndmask_b32_e64 v110, v112, v84, s22
	v_cndmask_b32_e64 v80, v82, v88, s4
	v_cndmask_b32_e64 v82, v83, v92, s4
	v_cndmask_b32_e64 v83, v94, v88, s20
	v_cndmask_b32_e64 v84, v90, v96, s7
	v_cndmask_b32_e64 v90, v95, v100, s7
	v_cndmask_b32_e64 v94, v99, v96, s21
	v_cndmask_b32_e64 v95, v102, v100, s21
	v_cndmask_b32_e64 v78, v78, v96, s25
	v_cndmask_b32_e64 v79, v79, v100, s25
	v_lshrrev_b32_e32 v97, 16, v81
	v_lshrrev_b32_e32 v101, 16, v85
	v_cndmask_b32_e64 v99, v106, v96, s24
	v_cndmask_b32_e64 v102, v110, v100, s24
	;; [unrolled: 1-line block ×7, first 2 shown]
	v_lshrrev_b32_e32 v105, 16, v89
	v_cndmask_b32_e64 v80, v80, v104, s7
	v_cndmask_b32_e64 v84, v84, v81, s8
	;; [unrolled: 1-line block ×16, first 2 shown]
	v_perm_b32 v81, v79, v78, 0x5040100
	v_perm_b32 v79, v95, v85, 0x5040100
	v_cndmask_b32_e64 v78, v119, v91, s16
	v_cndmask_b32_e64 v85, v117, v91, s13
	;; [unrolled: 1-line block ×3, first 2 shown]
	v_perm_b32 v80, v94, v90, 0x5040100
	v_cndmask_b32_e64 v90, v98, v103, s18
	v_cndmask_b32_e64 v86, v86, v103, s19
	;; [unrolled: 1-line block ×5, first 2 shown]
	v_lshrrev_b32_e32 v108, 16, v92
	v_cndmask_b32_e64 v90, v90, v88, s22
	v_cndmask_b32_e64 v86, v86, v88, s23
	;; [unrolled: 1-line block ×11, first 2 shown]
	v_lshrrev_b32_e32 v109, 16, v93
	v_cndmask_b32_e64 v82, v82, v93, s8
	v_cndmask_b32_e64 v88, v88, v89, s27
	;; [unrolled: 1-line block ×12, first 2 shown]
	v_perm_b32 v78, v84, v83, 0x5040100
	v_perm_b32 v85, v87, v86, 0x5040100
	;; [unrolled: 1-line block ×5, first 2 shown]
	s_mul_i32 s9, s35, 7
	s_mov_b32 s4, exec_lo
	ds_store_b128 v74, v[78:81]
	ds_store_b128 v74, v[82:85] offset:1024
	v_cmpx_gt_u32_e32 7, v0
	s_cbranch_execz .LBB1108_14
; %bb.13:
	s_mul_i32 s5, s9, s34
	s_load_b128 s[16:19], s[0:1], 0x58
	v_add3_u32 v68, s5, s33, v68
	s_delay_alu instid0(VALU_DEP_1) | instskip(NEXT) | instid1(VALU_DEP_1)
	v_mad_u64_u32 v[78:79], null, v68, s36, s[14:15]
	v_ashrrev_i32_e32 v79, 31, v78
	s_delay_alu instid0(VALU_DEP_1) | instskip(SKIP_1) | instid1(VALU_DEP_1)
	v_lshlrev_b64 v[78:79], 2, v[78:79]
	s_waitcnt lgkmcnt(0)
	v_add_co_u32 v80, vcc_lo, s18, v78
	s_delay_alu instid0(VALU_DEP_2)
	v_add_co_ci_u32_e32 v81, vcc_lo, s19, v79, vcc_lo
	v_add_co_u32 v78, vcc_lo, s16, v78
	v_add_co_ci_u32_e32 v79, vcc_lo, s17, v79, vcc_lo
	global_store_b32 v[80:81], v76, off
	global_store_b32 v[78:79], v77, off
.LBB1108_14:
	s_or_b32 exec_lo, exec_lo, s4
	s_waitcnt lgkmcnt(0)
	s_waitcnt_vscnt null, 0x0
	s_barrier
	buffer_gl0_inv
	ds_load_b128 v[84:87], v73
	ds_load_b128 v[88:91], v73 offset:16
	ds_load_b128 v[96:99], v73 offset:2064
	ds_load_b128 v[92:95], v73 offset:2048
	ds_load_b128 v[104:107], v73 offset:4112
	ds_load_b128 v[100:103], v73 offset:4096
	v_cmp_eq_u32_e32 vcc_lo, 1, v70
	v_mov_b32_e32 v76, 0
	ds_load_b128 v[112:115], v73 offset:6160
	ds_load_b128 v[108:111], v73 offset:6144
	;; [unrolled: 1-line block ×4, first 2 shown]
	v_cmp_eq_u32_e64 s5, 1, v69
	v_cmp_eq_u32_e64 s4, 1, v72
	;; [unrolled: 1-line block ×3, first 2 shown]
	v_mov_b32_e32 v77, v76
	v_mov_b32_e32 v78, v76
	;; [unrolled: 1-line block ×7, first 2 shown]
	v_cmp_eq_u32_e64 s7, 3, v72
	v_cmp_eq_u32_e64 s8, 7, v72
	s_waitcnt lgkmcnt(8)
	s_delay_alu instid0(VALU_DEP_3)
	v_wmma_f32_16x16x16_f16 v[76:83], v[49:56], v[84:91], v[76:83]
	ds_load_b128 v[53:56], v73 offset:10256
	ds_load_b128 v[49:52], v73 offset:10240
	s_waitcnt lgkmcnt(8)
	v_wmma_f32_16x16x16_f16 v[76:83], v[41:48], v[92:99], v[76:83]
	ds_load_b128 v[45:48], v73 offset:12304
	ds_load_b128 v[41:44], v73 offset:12288
	s_waitcnt lgkmcnt(8)
	;; [unrolled: 4-line block ×3, first 2 shown]
	s_barrier
	buffer_gl0_inv
	v_wmma_f32_16x16x16_f16 v[76:83], v[1:8], v[108:115], v[76:83]
	s_delay_alu instid0(VALU_DEP_1) | instskip(NEXT) | instid1(VALU_DEP_1)
	v_wmma_f32_16x16x16_f16 v[76:83], v[9:16], v[116:123], v[76:83]
	v_wmma_f32_16x16x16_f16 v[76:83], v[17:24], v[49:56], v[76:83]
	s_delay_alu instid0(VALU_DEP_1) | instskip(NEXT) | instid1(VALU_DEP_1)
	v_wmma_f32_16x16x16_f16 v[76:83], v[25:32], v[41:48], v[76:83]
	v_wmma_f32_16x16x16_f16 v[76:83], v[57:64], v[33:40], v[76:83]
	s_delay_alu instid0(VALU_DEP_1) | instskip(NEXT) | instid1(VALU_DEP_2)
	v_cvt_f16_f32_e32 v1, v76
	v_cvt_f16_f32_e32 v2, v77
	s_delay_alu instid0(VALU_DEP_3) | instskip(NEXT) | instid1(VALU_DEP_4)
	v_cvt_f16_f32_e32 v3, v78
	v_cvt_f16_f32_e32 v4, v79
	;; [unrolled: 1-line block ×6, first 2 shown]
	v_pack_b32_f16 v1, v1, v2
	v_pack_b32_f16 v2, v3, v4
	;; [unrolled: 1-line block ×3, first 2 shown]
	s_delay_alu instid0(VALU_DEP_4)
	v_pack_b32_f16 v4, v7, v8
	ds_store_b128 v74, v[1:4]
	s_waitcnt lgkmcnt(0)
	s_barrier
	buffer_gl0_inv
	ds_load_b128 v[1:4], v75
	ds_load_b128 v[5:8], v75 offset:16
	s_waitcnt lgkmcnt(1)
	v_lshrrev_b32_e32 v9, 16, v1
	s_waitcnt lgkmcnt(0)
	v_lshrrev_b32_e32 v13, 16, v5
	v_lshrrev_b32_e32 v10, 16, v2
	;; [unrolled: 1-line block ×4, first 2 shown]
	v_cndmask_b32_e32 v17, v1, v9, vcc_lo
	v_cndmask_b32_e32 v18, v5, v13, vcc_lo
	v_cndmask_b32_e64 v21, v1, v9, s5
	v_cmp_eq_u32_e32 vcc_lo, 1, v71
	v_cndmask_b32_e64 v22, v5, v13, s5
	v_cmp_eq_u32_e64 s5, 2, v70
	v_cndmask_b32_e64 v19, v1, v9, s4
	v_cndmask_b32_e64 v20, v5, v13, s4
	v_cndmask_b32_e32 v1, v1, v9, vcc_lo
	v_cmp_eq_u32_e64 s4, 2, v71
	v_cndmask_b32_e32 v5, v5, v13, vcc_lo
	v_cndmask_b32_e64 v9, v17, v2, s5
	v_cmp_eq_u32_e32 vcc_lo, 3, v70
	v_cndmask_b32_e64 v13, v18, v6, s5
	v_cmp_eq_u32_e64 s5, 2, v69
	v_cndmask_b32_e64 v17, v19, v2, s6
	v_cndmask_b32_e64 v18, v20, v6, s6
	v_cmp_eq_u32_e64 s6, 3, v69
	v_cndmask_b32_e64 v1, v1, v2, s4
	v_cndmask_b32_e64 v19, v21, v2, s5
	;; [unrolled: 1-line block ×4, first 2 shown]
	v_cndmask_b32_e32 v5, v9, v10, vcc_lo
	v_cndmask_b32_e32 v6, v13, v14, vcc_lo
	v_cmp_eq_u32_e32 vcc_lo, 3, v71
	v_cndmask_b32_e64 v9, v17, v10, s7
	v_cndmask_b32_e64 v13, v18, v14, s7
	;; [unrolled: 1-line block ×3, first 2 shown]
	v_cmp_eq_u32_e64 s5, 4, v70
	v_cndmask_b32_e32 v1, v1, v10, vcc_lo
	v_cndmask_b32_e32 v2, v2, v14, vcc_lo
	v_cmp_eq_u32_e32 vcc_lo, 4, v72
	v_lshrrev_b32_e32 v15, 16, v7
	v_lshrrev_b32_e32 v16, 16, v8
	v_cndmask_b32_e64 v17, v19, v10, s6
	v_cmp_eq_u32_e64 s4, 4, v71
	v_cndmask_b32_e64 v5, v5, v3, s5
	v_cndmask_b32_e64 v6, v6, v7, s5
	v_cndmask_b32_e32 v9, v9, v3, vcc_lo
	v_cmp_eq_u32_e64 s5, 5, v72
	v_cndmask_b32_e32 v10, v13, v7, vcc_lo
	v_cmp_eq_u32_e32 vcc_lo, 4, v69
	v_cmp_eq_u32_e64 s6, 5, v70
	v_cndmask_b32_e64 v2, v2, v7, s4
	v_cndmask_b32_e64 v9, v9, v11, s5
	;; [unrolled: 1-line block ×3, first 2 shown]
	v_cndmask_b32_e32 v13, v17, v3, vcc_lo
	v_cmp_eq_u32_e64 s5, 5, v69
	v_cndmask_b32_e32 v14, v18, v7, vcc_lo
	v_cndmask_b32_e64 v1, v1, v3, s4
	v_cmp_eq_u32_e32 vcc_lo, 5, v71
	v_lshrrev_b32_e32 v12, 16, v4
	v_cndmask_b32_e64 v13, v13, v11, s5
	v_cndmask_b32_e64 v3, v14, v15, s5
	v_cmp_eq_u32_e64 s5, 6, v71
	v_cndmask_b32_e32 v1, v1, v11, vcc_lo
	v_cndmask_b32_e64 v5, v5, v11, s6
	v_cmp_eq_u32_e64 s7, 6, v70
	v_cndmask_b32_e64 v6, v6, v15, s6
	v_cmp_eq_u32_e64 s6, 6, v72
	v_cmp_eq_u32_e64 s4, 6, v69
	v_cndmask_b32_e64 v1, v1, v4, s5
	v_cndmask_b32_e32 v2, v2, v15, vcc_lo
	v_cmp_eq_u32_e32 vcc_lo, 7, v71
	v_cndmask_b32_e64 v5, v5, v4, s7
	v_cndmask_b32_e64 v9, v9, v4, s6
	;; [unrolled: 1-line block ×3, first 2 shown]
	v_cmp_eq_u32_e64 s7, 7, v70
	v_cndmask_b32_e32 v1, v1, v12, vcc_lo
	v_cndmask_b32_e64 v7, v13, v4, s4
	v_cndmask_b32_e64 v3, v3, v8, s4
	;; [unrolled: 1-line block ×3, first 2 shown]
	v_cmp_eq_u32_e64 s4, 7, v69
	v_cndmask_b32_e64 v4, v10, v8, s6
	v_cndmask_b32_e64 v5, v5, v12, s7
	;; [unrolled: 1-line block ×3, first 2 shown]
	v_cndmask_b32_e32 v2, v2, v16, vcc_lo
	v_cndmask_b32_e64 v7, v7, v12, s4
	v_cndmask_b32_e64 v3, v3, v16, s4
	;; [unrolled: 1-line block ×4, first 2 shown]
	v_cmp_gt_u32_e32 vcc_lo, 32, v0
	v_perm_b32 v4, v2, v1, 0x5040100
	v_perm_b32 v3, v3, v7, 0x5040100
	;; [unrolled: 1-line block ×4, first 2 shown]
	s_and_b32 s2, vcc_lo, s2
	ds_store_b128 v74, v[1:4]
	s_waitcnt lgkmcnt(0)
	s_barrier
	buffer_gl0_inv
	s_and_saveexec_b32 s4, s2
	s_cbranch_execz .LBB1108_2
; %bb.15:
	s_load_b64 s[4:5], s[0:1], 0x68
	v_lshlrev_b32_e32 v0, 10, v0
	v_add_nc_u32_e32 v2, s33, v66
	v_lshlrev_b32_e32 v3, 4, v67
	s_lshl_b32 s0, s36, 6
	s_delay_alu instid0(SALU_CYCLE_1) | instskip(NEXT) | instid1(VALU_DEP_2)
	s_mul_i32 s1, s0, s34
	v_mul_lo_u32 v1, v2, s0
	s_delay_alu instid0(VALU_DEP_2)
	v_and_or_b32 v0, 0x3800, v0, v3
	v_add_nc_u32_e32 v3, 2, v2
	s_mul_i32 s6, s1, s9
	v_add_nc_u32_e32 v4, 4, v2
	s_ashr_i32 s7, s6, 31
	v_lshl_or_b32 v11, v66, 6, v0
	s_lshl_b64 s[6:7], s[6:7], 1
	v_mul_lo_u32 v15, v3, s0
	v_mul_lo_u32 v17, v4, s0
	v_ashrrev_i32_e32 v2, 31, v1
	ds_load_b128 v[3:6], v11
	ds_load_b128 v[7:10], v11 offset:128
	ds_load_b128 v[11:14], v11 offset:256
	s_waitcnt lgkmcnt(0)
	s_add_u32 s1, s4, s6
	s_addc_u32 s2, s5, s7
	s_lshl_b32 s4, s14, 6
	v_ashrrev_i32_e32 v16, 31, v15
	s_ashr_i32 s5, s4, 31
	v_lshlrev_b64 v[19:20], 1, v[1:2]
	s_lshl_b64 s[4:5], s[4:5], 1
	v_ashrrev_i32_e32 v18, 31, v17
	s_add_u32 s1, s1, s4
	s_addc_u32 s2, s2, s5
	v_add_co_u32 v1, s1, s1, v65
	s_delay_alu instid0(VALU_DEP_1) | instskip(SKIP_1) | instid1(VALU_DEP_3)
	v_add_co_ci_u32_e64 v2, null, s2, 0, s1
	v_lshlrev_b64 v[15:16], 1, v[15:16]
	v_add_co_u32 v19, vcc_lo, v1, v19
	v_lshlrev_b64 v[17:18], 1, v[17:18]
	s_delay_alu instid0(VALU_DEP_4) | instskip(NEXT) | instid1(VALU_DEP_4)
	v_add_co_ci_u32_e32 v20, vcc_lo, v2, v20, vcc_lo
	v_add_co_u32 v15, vcc_lo, v1, v15
	v_add_co_ci_u32_e32 v16, vcc_lo, v2, v16, vcc_lo
	s_delay_alu instid0(VALU_DEP_4)
	v_add_co_u32 v17, vcc_lo, v1, v17
	v_add_co_ci_u32_e32 v18, vcc_lo, v2, v18, vcc_lo
	s_clause 0x2
	global_store_b128 v[19:20], v[3:6], off
	global_store_b128 v[15:16], v[7:10], off
	;; [unrolled: 1-line block ×3, first 2 shown]
	s_and_b32 exec_lo, exec_lo, s3
	s_cbranch_execz .LBB1108_2
; %bb.16:
	ds_load_b128 v[3:6], v0 offset:384
	s_add_i32 s1, s33, 6
	s_delay_alu instid0(SALU_CYCLE_1) | instskip(NEXT) | instid1(SALU_CYCLE_1)
	s_mul_i32 s0, s1, s0
	s_ashr_i32 s1, s0, 31
	s_delay_alu instid0(SALU_CYCLE_1) | instskip(NEXT) | instid1(SALU_CYCLE_1)
	s_lshl_b64 s[0:1], s[0:1], 1
	v_add_co_u32 v0, vcc_lo, v1, s0
	v_add_co_ci_u32_e32 v1, vcc_lo, s1, v2, vcc_lo
	s_waitcnt lgkmcnt(0)
	global_store_b128 v[0:1], v[3:6], off
	s_nop 0
	s_sendmsg sendmsg(MSG_DEALLOC_VGPRS)
	s_endpgm
	.section	.rodata,"a",@progbits
	.p2align	6, 0x0
	.amdhsa_kernel _Z39paged_attention_ll4mi_QKV_mfma16_kernelIDF16_hLN4vllm18Fp8KVCacheDataTypeE1EhLi16ELi64ELi256ELb0ELi7EL8MFMAType0EEvPKT_PKT0_S8_ifPKiSA_SA_iPKfiiiPfSD_PS3_PT2_iSC_SC_
		.amdhsa_group_segment_fixed_size 17472
		.amdhsa_private_segment_fixed_size 0
		.amdhsa_kernarg_size 400
		.amdhsa_user_sgpr_count 13
		.amdhsa_user_sgpr_dispatch_ptr 0
		.amdhsa_user_sgpr_queue_ptr 0
		.amdhsa_user_sgpr_kernarg_segment_ptr 1
		.amdhsa_user_sgpr_dispatch_id 0
		.amdhsa_user_sgpr_private_segment_size 0
		.amdhsa_wavefront_size32 1
		.amdhsa_uses_dynamic_stack 0
		.amdhsa_enable_private_segment 0
		.amdhsa_system_sgpr_workgroup_id_x 1
		.amdhsa_system_sgpr_workgroup_id_y 1
		.amdhsa_system_sgpr_workgroup_id_z 1
		.amdhsa_system_sgpr_workgroup_info 0
		.amdhsa_system_vgpr_workitem_id 0
		.amdhsa_next_free_vgpr 146
		.amdhsa_next_free_sgpr 37
		.amdhsa_reserve_vcc 1
		.amdhsa_float_round_mode_32 0
		.amdhsa_float_round_mode_16_64 0
		.amdhsa_float_denorm_mode_32 3
		.amdhsa_float_denorm_mode_16_64 3
		.amdhsa_dx10_clamp 1
		.amdhsa_ieee_mode 1
		.amdhsa_fp16_overflow 0
		.amdhsa_workgroup_processor_mode 1
		.amdhsa_memory_ordered 1
		.amdhsa_forward_progress 0
		.amdhsa_shared_vgpr_count 0
		.amdhsa_exception_fp_ieee_invalid_op 0
		.amdhsa_exception_fp_denorm_src 0
		.amdhsa_exception_fp_ieee_div_zero 0
		.amdhsa_exception_fp_ieee_overflow 0
		.amdhsa_exception_fp_ieee_underflow 0
		.amdhsa_exception_fp_ieee_inexact 0
		.amdhsa_exception_int_div_zero 0
	.end_amdhsa_kernel
	.section	.text._Z39paged_attention_ll4mi_QKV_mfma16_kernelIDF16_hLN4vllm18Fp8KVCacheDataTypeE1EhLi16ELi64ELi256ELb0ELi7EL8MFMAType0EEvPKT_PKT0_S8_ifPKiSA_SA_iPKfiiiPfSD_PS3_PT2_iSC_SC_,"axG",@progbits,_Z39paged_attention_ll4mi_QKV_mfma16_kernelIDF16_hLN4vllm18Fp8KVCacheDataTypeE1EhLi16ELi64ELi256ELb0ELi7EL8MFMAType0EEvPKT_PKT0_S8_ifPKiSA_SA_iPKfiiiPfSD_PS3_PT2_iSC_SC_,comdat
.Lfunc_end1108:
	.size	_Z39paged_attention_ll4mi_QKV_mfma16_kernelIDF16_hLN4vllm18Fp8KVCacheDataTypeE1EhLi16ELi64ELi256ELb0ELi7EL8MFMAType0EEvPKT_PKT0_S8_ifPKiSA_SA_iPKfiiiPfSD_PS3_PT2_iSC_SC_, .Lfunc_end1108-_Z39paged_attention_ll4mi_QKV_mfma16_kernelIDF16_hLN4vllm18Fp8KVCacheDataTypeE1EhLi16ELi64ELi256ELb0ELi7EL8MFMAType0EEvPKT_PKT0_S8_ifPKiSA_SA_iPKfiiiPfSD_PS3_PT2_iSC_SC_
                                        ; -- End function
	.section	.AMDGPU.csdata,"",@progbits
; Kernel info:
; codeLenInByte = 6532
; NumSgprs: 39
; NumVgprs: 146
; ScratchSize: 0
; MemoryBound: 0
; FloatMode: 240
; IeeeMode: 1
; LDSByteSize: 17472 bytes/workgroup (compile time only)
; SGPRBlocks: 4
; VGPRBlocks: 18
; NumSGPRsForWavesPerEU: 39
; NumVGPRsForWavesPerEU: 146
; Occupancy: 9
; WaveLimiterHint : 1
; COMPUTE_PGM_RSRC2:SCRATCH_EN: 0
; COMPUTE_PGM_RSRC2:USER_SGPR: 13
; COMPUTE_PGM_RSRC2:TRAP_HANDLER: 0
; COMPUTE_PGM_RSRC2:TGID_X_EN: 1
; COMPUTE_PGM_RSRC2:TGID_Y_EN: 1
; COMPUTE_PGM_RSRC2:TGID_Z_EN: 1
; COMPUTE_PGM_RSRC2:TIDIG_COMP_CNT: 0
	.section	.text._Z39paged_attention_ll4mi_QKV_mfma16_kernelIDF16_hLN4vllm18Fp8KVCacheDataTypeE1EhLi16ELi64ELi256ELb0ELi8EL8MFMAType0EEvPKT_PKT0_S8_ifPKiSA_SA_iPKfiiiPfSD_PS3_PT2_iSC_SC_,"axG",@progbits,_Z39paged_attention_ll4mi_QKV_mfma16_kernelIDF16_hLN4vllm18Fp8KVCacheDataTypeE1EhLi16ELi64ELi256ELb0ELi8EL8MFMAType0EEvPKT_PKT0_S8_ifPKiSA_SA_iPKfiiiPfSD_PS3_PT2_iSC_SC_,comdat
	.protected	_Z39paged_attention_ll4mi_QKV_mfma16_kernelIDF16_hLN4vllm18Fp8KVCacheDataTypeE1EhLi16ELi64ELi256ELb0ELi8EL8MFMAType0EEvPKT_PKT0_S8_ifPKiSA_SA_iPKfiiiPfSD_PS3_PT2_iSC_SC_ ; -- Begin function _Z39paged_attention_ll4mi_QKV_mfma16_kernelIDF16_hLN4vllm18Fp8KVCacheDataTypeE1EhLi16ELi64ELi256ELb0ELi8EL8MFMAType0EEvPKT_PKT0_S8_ifPKiSA_SA_iPKfiiiPfSD_PS3_PT2_iSC_SC_
	.globl	_Z39paged_attention_ll4mi_QKV_mfma16_kernelIDF16_hLN4vllm18Fp8KVCacheDataTypeE1EhLi16ELi64ELi256ELb0ELi8EL8MFMAType0EEvPKT_PKT0_S8_ifPKiSA_SA_iPKfiiiPfSD_PS3_PT2_iSC_SC_
	.p2align	8
	.type	_Z39paged_attention_ll4mi_QKV_mfma16_kernelIDF16_hLN4vllm18Fp8KVCacheDataTypeE1EhLi16ELi64ELi256ELb0ELi8EL8MFMAType0EEvPKT_PKT0_S8_ifPKiSA_SA_iPKfiiiPfSD_PS3_PT2_iSC_SC_,@function
_Z39paged_attention_ll4mi_QKV_mfma16_kernelIDF16_hLN4vllm18Fp8KVCacheDataTypeE1EhLi16ELi64ELi256ELb0ELi8EL8MFMAType0EEvPKT_PKT0_S8_ifPKiSA_SA_iPKfiiiPfSD_PS3_PT2_iSC_SC_: ; @_Z39paged_attention_ll4mi_QKV_mfma16_kernelIDF16_hLN4vllm18Fp8KVCacheDataTypeE1EhLi16ELi64ELi256ELb0ELi8EL8MFMAType0EEvPKT_PKT0_S8_ifPKiSA_SA_iPKfiiiPfSD_PS3_PT2_iSC_SC_
; %bb.0:
	s_load_b64 s[2:3], s[0:1], 0x30
	s_mov_b32 s34, s13
	s_waitcnt lgkmcnt(0)
	s_cmp_lg_u64 s[2:3], 0
	s_cselect_b32 s8, -1, 0
	s_ashr_i32 s35, s13, 31
	s_cmp_eq_u64 s[2:3], 0
	s_cbranch_scc1 .LBB1109_3
; %bb.1:
	s_lshl_b64 s[4:5], s[34:35], 2
	s_delay_alu instid0(SALU_CYCLE_1) | instskip(SKIP_4) | instid1(SALU_CYCLE_1)
	s_add_u32 s4, s2, s4
	s_addc_u32 s5, s3, s5
	s_load_b64 s[4:5], s[4:5], 0x0
	s_waitcnt lgkmcnt(0)
	s_sub_i32 s4, s5, s4
	s_cmp_eq_u32 s4, 1
	s_cselect_b32 s4, -1, 0
	s_delay_alu instid0(SALU_CYCLE_1)
	s_and_not1_b32 vcc_lo, exec_lo, s4
	s_cbranch_vccz .LBB1109_4
.LBB1109_2:
	s_endpgm
.LBB1109_3:
.LBB1109_4:
	s_load_b64 s[4:5], s[0:1], 0x28
	s_lshl_b64 s[6:7], s[34:35], 2
	s_waitcnt lgkmcnt(0)
	s_add_u32 s4, s4, s6
	s_addc_u32 s5, s5, s7
	s_lshl_b32 s12, s14, 8
	s_load_b32 s24, s[4:5], 0x0
	s_waitcnt lgkmcnt(0)
	s_cmp_ge_i32 s12, s24
	s_cbranch_scc1 .LBB1109_2
; %bb.5:
	s_clause 0x1
	s_load_b128 s[20:23], s[0:1], 0x8
	s_load_b64 s[4:5], s[0:1], 0x20
	s_and_not1_b32 vcc_lo, exec_lo, s8
	s_cbranch_vccnz .LBB1109_7
; %bb.6:
	s_add_u32 s2, s2, s6
	s_addc_u32 s3, s3, s7
	s_load_b32 s3, s[2:3], 0x0
	s_branch .LBB1109_8
.LBB1109_7:
	s_mov_b32 s3, s34
.LBB1109_8:
	s_load_b128 s[16:19], s[0:1], 0x48
	v_and_b32_e32 v69, 15, v0
	v_cmp_gt_u32_e32 vcc_lo, 0x80, v0
	v_lshrrev_b32_e32 v68, 5, v0
	v_and_b32_e32 v70, 31, v0
	v_and_b32_e32 v66, 1, v0
	v_lshlrev_b32_e32 v1, 3, v69
	v_cmp_gt_u32_e64 s2, 8, v69
	v_bfe_u32 v67, v0, 4, 1
	s_lshl_b32 s31, s15, 3
	s_delay_alu instid0(VALU_DEP_3) | instskip(NEXT) | instid1(VALU_DEP_3)
	v_lshlrev_b32_e32 v65, 1, v1
	s_and_b32 s7, vcc_lo, s2
	s_delay_alu instid0(SALU_CYCLE_1)
	s_and_saveexec_b32 s6, s7
	s_cbranch_execz .LBB1109_10
; %bb.9:
	v_lshl_or_b32 v5, v68, 1, v67
	s_load_b64 s[8:9], s[0:1], 0x0
	s_waitcnt lgkmcnt(0)
	s_mul_hi_i32 s11, s3, s16
	s_mul_i32 s10, s3, s16
	v_lshlrev_b32_e32 v6, 10, v69
	v_or_b32_e32 v1, s31, v5
	s_lshl_b64 s[10:11], s[10:11], 1
	v_lshlrev_b32_e32 v5, 6, v5
	v_lshlrev_b32_e32 v7, 10, v66
	v_and_b32_e32 v6, 0x3800, v6
	v_lshlrev_b32_e32 v1, 6, v1
	s_delay_alu instid0(VALU_DEP_2) | instskip(NEXT) | instid1(VALU_DEP_2)
	v_or3_b32 v5, v6, v7, v5
	v_ashrrev_i32_e32 v2, 31, v1
	s_delay_alu instid0(VALU_DEP_1) | instskip(SKIP_2) | instid1(VALU_DEP_1)
	v_lshlrev_b64 v[1:2], 1, v[1:2]
	s_add_u32 s3, s8, s10
	s_addc_u32 s7, s9, s11
	v_add_co_u32 v1, vcc_lo, s3, v1
	s_delay_alu instid0(VALU_DEP_2) | instskip(NEXT) | instid1(VALU_DEP_2)
	v_add_co_ci_u32_e32 v2, vcc_lo, s7, v2, vcc_lo
	v_add_co_u32 v1, vcc_lo, v1, v65
	s_delay_alu instid0(VALU_DEP_2)
	v_add_co_ci_u32_e32 v2, vcc_lo, 0, v2, vcc_lo
	global_load_b128 v[1:4], v[1:2], off
	s_waitcnt vmcnt(0)
	ds_store_b128 v5, v[1:4]
.LBB1109_10:
	s_or_b32 exec_lo, exec_lo, s6
	v_and_b32_e32 v1, 0xef, v0
	s_waitcnt lgkmcnt(0)
	s_add_i32 s3, s24, 15
	s_clause 0x1
	s_load_b32 s6, s[0:1], 0x38
	s_load_b32 s33, s[0:1], 0x98
	s_ashr_i32 s7, s3, 31
	v_add_nc_u32_e32 v1, s12, v1
	s_lshr_b32 s7, s7, 28
	s_load_b32 s19, s[0:1], 0x1c
	s_add_i32 s3, s3, s7
	s_waitcnt lgkmcnt(0)
	v_ashrrev_i32_e32 v2, 31, v1
	v_or_b32_e32 v3, 16, v1
	s_ashr_i32 s3, s3, 4
	v_cmp_gt_i32_e32 vcc_lo, s24, v1
	s_add_i32 s3, s3, -1
	v_lshrrev_b32_e32 v2, 28, v2
	s_barrier
	buffer_gl0_inv
	s_mul_i32 s27, s15, s18
	v_add_nc_u32_e32 v4, v1, v2
	s_mul_i32 s6, s34, s6
	s_delay_alu instid0(SALU_CYCLE_1) | instskip(NEXT) | instid1(VALU_DEP_1)
	s_ashr_i32 s7, s6, 31
	v_ashrrev_i32_e32 v4, 4, v4
	v_add_nc_u32_e32 v2, v3, v2
	s_lshl_b64 s[6:7], s[6:7], 2
	s_delay_alu instid0(SALU_CYCLE_1) | instskip(NEXT) | instid1(VALU_DEP_2)
	s_add_u32 s26, s4, s6
	v_cndmask_b32_e32 v1, s3, v4, vcc_lo
	s_delay_alu instid0(VALU_DEP_2)
	v_ashrrev_i32_e32 v2, 4, v2
	v_cmp_gt_i32_e32 vcc_lo, s24, v3
	s_addc_u32 s25, s5, s7
	s_ashr_i32 s28, s27, 31
	s_add_u32 s13, s20, s27
	s_addc_u32 s15, s21, s28
	v_cndmask_b32_e32 v3, s3, v2, vcc_lo
	v_ashrrev_i32_e32 v2, 31, v1
	s_lshl_b32 s4, s14, 4
	s_delay_alu instid0(SALU_CYCLE_1) | instskip(NEXT) | instid1(VALU_DEP_2)
	s_ashr_i32 s5, s4, 31
	v_ashrrev_i32_e32 v4, 31, v3
	s_delay_alu instid0(VALU_DEP_2) | instskip(SKIP_1) | instid1(SALU_CYCLE_1)
	v_lshlrev_b64 v[1:2], 2, v[1:2]
	s_lshl_b64 s[4:5], s[4:5], 2
	s_add_u32 s4, s26, s4
	s_delay_alu instid0(VALU_DEP_2) | instskip(SKIP_1) | instid1(VALU_DEP_2)
	v_lshlrev_b64 v[3:4], 2, v[3:4]
	s_addc_u32 s5, s25, s5
	v_add_co_u32 v1, vcc_lo, s26, v1
	v_add_co_ci_u32_e32 v2, vcc_lo, s25, v2, vcc_lo
	s_delay_alu instid0(VALU_DEP_3) | instskip(NEXT) | instid1(VALU_DEP_4)
	v_add_co_u32 v3, vcc_lo, s26, v3
	v_add_co_ci_u32_e32 v4, vcc_lo, s25, v4, vcc_lo
	s_clause 0x1
	global_load_b32 v5, v[1:2], off
	global_load_b32 v7, v[3:4], off
	s_or_b32 s6, s12, 32
	v_lshlrev_b32_e32 v1, 4, v0
	s_ashr_i32 s7, s6, 4
	s_cmp_lt_i32 s6, s24
	s_cselect_b32 s6, s7, s3
	s_delay_alu instid0(VALU_DEP_1) | instskip(SKIP_1) | instid1(SALU_CYCLE_1)
	v_and_b32_e32 v1, 0xf0, v1
	s_ashr_i32 s7, s6, 31
	s_lshl_b64 s[6:7], s[6:7], 2
	s_delay_alu instid0(SALU_CYCLE_1)
	s_add_u32 s6, s26, s6
	s_addc_u32 s7, s25, s7
	s_or_b32 s8, s12, 64
	v_add_co_u32 v1, s13, s13, v1
	s_ashr_i32 s9, s8, 4
	s_cmp_lt_i32 s8, s24
	v_add_co_ci_u32_e64 v2, null, s15, 0, s13
	s_cselect_b32 s8, s9, s3
	s_delay_alu instid0(SALU_CYCLE_1) | instskip(NEXT) | instid1(SALU_CYCLE_1)
	s_ashr_i32 s9, s8, 31
	s_lshl_b64 s[8:9], s[8:9], 2
	s_delay_alu instid0(SALU_CYCLE_1) | instskip(SKIP_2) | instid1(SALU_CYCLE_1)
	s_add_u32 s8, s26, s8
	s_addc_u32 s9, s25, s9
	s_or_b32 s10, s12, 0x60
	s_ashr_i32 s11, s10, 4
	s_cmp_lt_i32 s10, s24
	s_cselect_b32 s10, s11, s3
	s_delay_alu instid0(SALU_CYCLE_1) | instskip(NEXT) | instid1(SALU_CYCLE_1)
	s_ashr_i32 s11, s10, 31
	s_lshl_b64 s[10:11], s[10:11], 2
	s_delay_alu instid0(SALU_CYCLE_1) | instskip(SKIP_2) | instid1(SALU_CYCLE_1)
	s_add_u32 s10, s26, s10
	s_addc_u32 s11, s25, s11
	s_or_b32 s16, s12, 0x80
	s_ashr_i32 s18, s16, 4
	s_cmp_lt_i32 s16, s24
	;; [unrolled: 10-line block ×3, first 2 shown]
	s_cselect_b32 s20, s18, s3
	s_delay_alu instid0(SALU_CYCLE_1) | instskip(NEXT) | instid1(SALU_CYCLE_1)
	s_ashr_i32 s21, s20, 31
	s_lshl_b64 s[20:21], s[20:21], 2
	s_delay_alu instid0(SALU_CYCLE_1)
	s_add_u32 s38, s26, s20
	s_addc_u32 s39, s25, s21
	s_clause 0x5
	s_load_b32 s21, s[4:5], 0x0
	s_load_b32 s13, s[6:7], 0x0
	;; [unrolled: 1-line block ×6, first 2 shown]
	s_or_b32 s7, s12, 0xc0
	s_mov_b32 s4, 0
	s_ashr_i32 s8, s7, 4
	s_cmp_lt_i32 s7, s24
	s_mov_b32 s5, s4
	s_cselect_b32 s10, s8, s3
	s_mov_b32 s6, s4
	s_ashr_i32 s11, s10, 31
	s_mov_b32 s7, s4
	s_lshl_b64 s[36:37], s[10:11], 2
	s_mov_b32 s11, s4
	s_add_u32 s36, s26, s36
	s_addc_u32 s37, s25, s37
	s_or_b32 s29, s12, 0xe0
	s_mov_b32 s8, s4
	s_ashr_i32 s30, s29, 4
	s_mov_b32 s9, s4
	s_mov_b32 s10, s4
	s_cmp_lt_i32 s29, s24
	v_mov_b32_e32 v102, s11
	v_dual_mov_b32 v96, s5 :: v_dual_mov_b32 v101, s10
	v_dual_mov_b32 v100, s9 :: v_dual_mov_b32 v99, s8
	;; [unrolled: 1-line block ×3, first 2 shown]
	v_mov_b32_e32 v95, s4
	s_cselect_b32 s4, s30, s3
	s_delay_alu instid0(SALU_CYCLE_1) | instskip(NEXT) | instid1(SALU_CYCLE_1)
	s_ashr_i32 s5, s4, 31
	s_lshl_b64 s[4:5], s[4:5], 2
	s_delay_alu instid0(SALU_CYCLE_1)
	s_add_u32 s4, s26, s4
	s_addc_u32 s5, s25, s5
	s_add_u32 s6, s22, s27
	s_addc_u32 s7, s23, s28
	s_waitcnt vmcnt(1)
	v_mad_i64_i32 v[3:4], null, v5, s17, v[1:2]
	s_waitcnt vmcnt(0)
	v_mad_i64_i32 v[5:6], null, v7, s17, v[1:2]
	v_and_b32_e32 v1, 7, v0
	v_lshlrev_b32_e32 v2, 4, v69
	s_clause 0x7
	global_load_b128 v[57:60], v[3:4], off
	global_load_b128 v[61:64], v[3:4], off offset:256
	global_load_b128 v[71:74], v[5:6], off
	global_load_b128 v[75:78], v[5:6], off offset:256
	global_load_b128 v[79:82], v[3:4], off offset:512
	;; [unrolled: 1-line block ×5, first 2 shown]
	v_lshlrev_b32_e32 v121, 6, v1
	v_lshl_or_b32 v1, v68, 8, v2
	s_load_b32 s3, s[36:37], 0x0
	ds_load_b128 v[103:106], v121
	ds_load_b128 v[107:110], v121 offset:1024
	s_load_b32 s4, s[4:5], 0x0
	v_add_co_u32 v17, s6, s6, v1
	s_delay_alu instid0(VALU_DEP_1) | instskip(SKIP_1) | instid1(VALU_DEP_1)
	v_add_co_ci_u32_e64 v18, null, s7, 0, s6
	s_waitcnt lgkmcnt(0)
	v_mad_i64_i32 v[1:2], null, s21, s17, v[17:18]
	v_mad_i64_i32 v[3:4], null, s13, s17, v[17:18]
	;; [unrolled: 1-line block ×7, first 2 shown]
	s_clause 0x9
	global_load_b128 v[49:52], v[1:2], off
	global_load_b128 v[53:56], v[1:2], off offset:16
	global_load_b128 v[41:44], v[3:4], off
	global_load_b128 v[45:48], v[3:4], off offset:16
	;; [unrolled: 2-line block ×5, first 2 shown]
	v_mad_i64_i32 v[119:120], null, s4, s17, v[17:18]
	s_clause 0x3
	global_load_b128 v[17:20], v[21:22], off
	global_load_b128 v[21:24], v[21:22], off offset:16
	global_load_b128 v[25:28], v[29:30], off
	global_load_b128 v[29:32], v[29:30], off offset:16
	s_waitcnt vmcnt(20)
	v_wmma_f32_16x16x16_f16 v[111:118], v[57:64], v[103:110], v[95:102]
	s_clause 0x1
	global_load_b128 v[57:60], v[119:120], off
	global_load_b128 v[61:64], v[119:120], off offset:16
	s_waitcnt vmcnt(20)
	v_wmma_f32_16x16x16_f16 v[95:102], v[71:78], v[103:110], v[95:102]
	ds_load_b128 v[71:74], v121 offset:2048
	ds_load_b128 v[75:78], v121 offset:3072
	v_mbcnt_lo_u32_b32 v104, -1, 0
	s_waitcnt vmcnt(0) lgkmcnt(0)
	s_barrier
	buffer_gl0_inv
	v_xor_b32_e32 v105, 16, v104
	s_delay_alu instid0(VALU_DEP_1) | instskip(SKIP_4) | instid1(VALU_DEP_2)
	v_cmp_gt_i32_e32 vcc_lo, 32, v105
	v_cndmask_b32_e32 v104, v104, v105, vcc_lo
	v_wmma_f32_16x16x16_f16 v[95:102], v[87:94], v[71:78], v[95:102]
	v_and_b32_e32 v103, 0xe0, v0
	v_wmma_f32_16x16x16_f16 v[111:118], v[79:86], v[71:78], v[111:118]
	v_dual_mul_f32 v90, s19, v101 :: v_dual_add_nc_u32 v103, s12, v103
	s_delay_alu instid0(VALU_DEP_2) | instskip(NEXT) | instid1(VALU_DEP_3)
	v_dual_mul_f32 v94, s19, v97 :: v_dual_mul_f32 v87, s19, v112
	v_dual_mul_f32 v88, s19, v111 :: v_dual_mul_f32 v77, s19, v114
	s_delay_alu instid0(VALU_DEP_3) | instskip(SKIP_3) | instid1(VALU_DEP_4)
	v_or_b32_e32 v103, v103, v67
	v_dual_mul_f32 v78, s19, v113 :: v_dual_mul_f32 v75, s19, v116
	v_dual_mul_f32 v76, s19, v115 :: v_dual_mul_f32 v73, s19, v118
	v_mul_f32_e32 v92, s19, v99
	v_or_b32_e32 v105, 2, v103
	v_or_b32_e32 v106, 4, v103
	;; [unrolled: 1-line block ×3, first 2 shown]
	v_cmp_gt_i32_e64 s3, s24, v103
	v_or_b32_e32 v108, 8, v103
	v_cmp_gt_i32_e32 vcc_lo, s24, v105
	v_or_b32_e32 v109, 10, v103
	v_cmp_gt_i32_e64 s4, s24, v106
	v_cndmask_b32_e64 v88, 0xff7fffff, v88, s3
	v_cmp_gt_i32_e64 s5, s24, v107
	v_cndmask_b32_e32 v87, 0xff7fffff, v87, vcc_lo
	v_or_b32_e32 v79, 12, v103
	v_or_b32_e32 v80, 14, v103
	v_cndmask_b32_e64 v78, 0xff7fffff, v78, s4
	v_cndmask_b32_e64 v77, 0xff7fffff, v77, s5
	v_max3_f32 v87, v88, 0xff7fffff, v87
	v_cmp_gt_i32_e64 s6, s24, v108
	v_cmp_gt_i32_e64 s7, s24, v109
	v_or_b32_e32 v81, 16, v103
	v_or_b32_e32 v82, 18, v103
	v_mul_f32_e32 v74, s19, v117
	v_cndmask_b32_e64 v76, 0xff7fffff, v76, s6
	v_cndmask_b32_e64 v75, 0xff7fffff, v75, s7
	v_max3_f32 v77, v87, v78, v77
	v_cmp_gt_i32_e64 s8, s24, v79
	v_cmp_gt_i32_e64 s9, s24, v80
	v_or_b32_e32 v83, 20, v103
	v_or_b32_e32 v84, 22, v103
	;; [unrolled: 1-line block ×6, first 2 shown]
	v_mul_f32_e32 v105, s19, v96
	v_mul_f32_e32 v103, s19, v95
	v_cndmask_b32_e64 v74, 0xff7fffff, v74, s8
	v_cndmask_b32_e64 v73, 0xff7fffff, v73, s9
	v_max3_f32 v75, v77, v76, v75
	v_cmp_gt_i32_e64 s10, s24, v81
	v_cmp_gt_i32_e64 s11, s24, v82
	v_mul_f32_e32 v93, s19, v98
	v_cmp_gt_i32_e64 s12, s24, v83
	v_max3_f32 v73, v75, v74, v73
	v_cndmask_b32_e64 v76, 0xff7fffff, v103, s10
	v_cndmask_b32_e64 v77, 0xff7fffff, v105, s11
	v_cmp_gt_i32_e64 s13, s24, v84
	v_mul_f32_e32 v91, s19, v100
	v_cndmask_b32_e64 v74, 0xff7fffff, v94, s12
	v_cmp_gt_i32_e64 s15, s24, v85
	v_max3_f32 v73, v73, v76, v77
	v_cndmask_b32_e64 v75, 0xff7fffff, v93, s13
	v_cmp_gt_i32_e64 s16, s24, v86
	v_mul_f32_e32 v89, s19, v102
	v_cndmask_b32_e64 v76, 0xff7fffff, v92, s15
	v_cmp_gt_i32_e64 s17, s24, v71
	v_max3_f32 v73, v73, v74, v75
	v_cndmask_b32_e64 v77, 0xff7fffff, v91, s16
	v_cmp_gt_i32_e64 s18, s24, v72
	v_lshlrev_b32_e32 v74, 2, v104
	v_cndmask_b32_e64 v71, 0xff7fffff, v90, s17
	s_delay_alu instid0(VALU_DEP_4) | instskip(NEXT) | instid1(VALU_DEP_4)
	v_max3_f32 v73, v73, v76, v77
	v_cndmask_b32_e64 v72, 0xff7fffff, v89, s18
	s_delay_alu instid0(VALU_DEP_1) | instskip(SKIP_3) | instid1(VALU_DEP_1)
	v_max3_f32 v71, v73, v71, v72
	ds_bpermute_b32 v72, v74, v71
	s_waitcnt lgkmcnt(0)
	v_max_f32_e32 v72, v72, v72
	v_max_f32_e32 v71, v71, v72
	s_delay_alu instid0(VALU_DEP_1)
	v_fma_f32 v72, s19, v111, -v71
	v_fma_f32 v76, s19, v114, -v71
	;; [unrolled: 1-line block ×5, first 2 shown]
	v_mul_f32_e32 v72, 0x3fb8aa3b, v72
	v_mul_f32_e32 v76, 0x3fb8aa3b, v76
	v_fma_f32 v75, s19, v113, -v71
	v_mul_f32_e32 v79, 0x3fb8aa3b, v77
	v_mul_f32_e32 v87, 0x3fb8aa3b, v86
	v_exp_f32_e32 v72, v72
	v_exp_f32_e32 v76, v76
	v_fma_f32 v81, s19, v117, -v71
	v_exp_f32_e32 v82, v79
	v_exp_f32_e32 v87, v87
	v_fma_f32 v84, s19, v96, -v71
	s_delay_alu instid0(VALU_DEP_2) | instskip(SKIP_3) | instid1(TRANS32_DEP_3)
	v_mul_f32_e32 v81, 0x3fb8aa3b, v81
	v_cndmask_b32_e64 v78, 0, v72, s3
	v_fma_f32 v72, s19, v116, -v71
	v_mul_f32_e32 v73, 0x3fb8aa3b, v73
	v_cndmask_b32_e64 v79, 0, v76, s5
	v_fma_f32 v76, s19, v95, -v71
	s_delay_alu instid0(VALU_DEP_4) | instskip(NEXT) | instid1(VALU_DEP_4)
	v_dual_mul_f32 v75, 0x3fb8aa3b, v75 :: v_dual_mul_f32 v72, 0x3fb8aa3b, v72
	v_exp_f32_e32 v73, v73
	v_cndmask_b32_e64 v87, 0, v87, s13
	s_delay_alu instid0(VALU_DEP_3) | instskip(NEXT) | instid1(VALU_DEP_3)
	v_mul_f32_e32 v76, 0x3fb8aa3b, v76
	v_exp_f32_e32 v75, v75
	v_exp_f32_e32 v72, v72
	;; [unrolled: 1-line block ×3, first 2 shown]
	v_cndmask_b32_e64 v82, 0, v82, s6
	v_mul_f32_e32 v85, 0x3fb8aa3b, v84
	v_exp_f32_e32 v76, v76
	s_mov_b32 s3, exec_lo
	v_cndmask_b32_e32 v77, 0, v73, vcc_lo
	v_add_f32_e32 v73, 0, v78
	v_exp_f32_e32 v85, v85
	v_cndmask_b32_e64 v80, 0, v75, s4
	v_fma_f32 v75, s19, v118, -v71
	v_cndmask_b32_e64 v81, 0, v72, s7
	v_add_f32_e32 v73, v73, v77
	v_cndmask_b32_e64 v84, 0, v83, s8
	v_cndmask_b32_e64 v86, 0, v76, s10
	v_mul_f32_e32 v75, 0x3fb8aa3b, v75
	s_delay_alu instid0(VALU_DEP_4) | instskip(NEXT) | instid1(TRANS32_DEP_1)
	v_add_f32_e32 v73, v73, v80
	v_cndmask_b32_e64 v85, 0, v85, s11
	s_delay_alu instid0(VALU_DEP_3) | instskip(NEXT) | instid1(VALU_DEP_2)
	v_exp_f32_e32 v75, v75
	v_add_f32_e32 v73, v73, v79
	s_delay_alu instid0(VALU_DEP_1) | instskip(SKIP_3) | instid1(VALU_DEP_1)
	v_add_f32_e32 v72, v73, v82
	s_waitcnt_depctr 0xfff
	v_cndmask_b32_e64 v83, 0, v75, s9
	v_add_f32_e32 v72, v72, v81
	v_add_f32_e32 v72, v72, v84
	s_delay_alu instid0(VALU_DEP_1) | instskip(NEXT) | instid1(VALU_DEP_1)
	v_add_f32_e32 v72, v72, v83
	v_add_f32_e32 v72, v72, v86
	s_delay_alu instid0(VALU_DEP_1) | instskip(SKIP_4) | instid1(VALU_DEP_4)
	v_add_f32_e32 v72, v72, v85
	v_fma_f32 v73, s19, v97, -v71
	v_fma_f32 v75, s19, v99, -v71
	;; [unrolled: 1-line block ×4, first 2 shown]
	v_mul_f32_e32 v73, 0x3fb8aa3b, v73
	s_delay_alu instid0(VALU_DEP_3) | instskip(NEXT) | instid1(VALU_DEP_2)
	v_dual_mul_f32 v75, 0x3fb8aa3b, v75 :: v_dual_mul_f32 v76, 0x3fb8aa3b, v76
	v_exp_f32_e32 v73, v73
	s_delay_alu instid0(VALU_DEP_1) | instskip(NEXT) | instid1(VALU_DEP_1)
	v_exp_f32_e32 v75, v75
	v_exp_f32_e32 v76, v76
	s_delay_alu instid0(TRANS32_DEP_3)
	v_cndmask_b32_e64 v88, 0, v73, s12
	v_mul_f32_e32 v73, 0x3fb8aa3b, v89
	v_fma_f32 v89, s19, v102, -v71
	s_waitcnt_depctr 0xfff
	v_cndmask_b32_e64 v90, 0, v75, s15
	v_add_f32_e32 v72, v72, v88
	v_exp_f32_e32 v73, v73
	v_mul_f32_e32 v75, 0x3fb8aa3b, v89
	v_cndmask_b32_e64 v89, 0, v76, s16
	s_delay_alu instid0(VALU_DEP_3) | instskip(NEXT) | instid1(VALU_DEP_3)
	v_add_f32_e32 v72, v72, v87
	v_exp_f32_e32 v75, v75
	s_delay_alu instid0(VALU_DEP_1) | instskip(SKIP_4) | instid1(VALU_DEP_2)
	v_add_f32_e32 v72, v72, v90
	s_waitcnt_depctr 0xfff
	v_cndmask_b32_e64 v92, 0, v73, s17
	v_add_f32_e32 v72, v72, v89
	v_cndmask_b32_e64 v91, 0, v75, s18
	v_add_f32_e32 v72, v72, v92
	s_delay_alu instid0(VALU_DEP_1)
	v_add_f32_e32 v72, v72, v91
	ds_bpermute_b32 v73, v74, v72
	v_cmpx_gt_u32_e32 16, v70
	s_cbranch_execz .LBB1109_12
; %bb.11:
	v_mul_u32_u24_e32 v70, 0x44, v68
	s_waitcnt lgkmcnt(0)
	v_add_f32_e32 v72, v72, v73
	s_delay_alu instid0(VALU_DEP_2) | instskip(NEXT) | instid1(VALU_DEP_1)
	v_lshl_add_u32 v70, v69, 2, v70
	v_add_nc_u32_e32 v70, 0x4000, v70
	ds_store_2addr_b32 v70, v71, v72 offset1:136
.LBB1109_12:
	s_or_b32 exec_lo, exec_lo, s3
	v_lshlrev_b32_e32 v70, 2, v69
	s_load_b32 s35, s[0:1], 0x94
	s_waitcnt lgkmcnt(0)
	s_barrier
	buffer_gl0_inv
	v_add_nc_u32_e32 v74, 0x4000, v70
	v_cmp_eq_u32_e32 vcc_lo, 1, v68
	v_cmp_eq_u32_e64 s3, 2, v68
	v_cmp_eq_u32_e64 s4, 3, v68
	;; [unrolled: 1-line block ×3, first 2 shown]
	ds_load_2addr_b32 v[70:71], v74 offset1:17
	ds_load_2addr_b32 v[72:73], v74 offset0:34 offset1:51
	ds_load_2addr_b32 v[93:94], v74 offset0:68 offset1:85
	;; [unrolled: 1-line block ×3, first 2 shown]
	v_cmp_eq_u32_e64 s6, 5, v68
	v_cmp_eq_u32_e64 s7, 7, v68
	s_waitcnt lgkmcnt(3)
	v_max3_f32 v75, v70, 0xff7fffff, v71
	s_waitcnt lgkmcnt(2)
	s_delay_alu instid0(VALU_DEP_1) | instskip(SKIP_1) | instid1(VALU_DEP_1)
	v_max3_f32 v75, v75, v72, v73
	s_waitcnt lgkmcnt(1)
	v_max3_f32 v75, v75, v93, v94
	s_waitcnt lgkmcnt(0)
	s_delay_alu instid0(VALU_DEP_1) | instskip(NEXT) | instid1(VALU_DEP_1)
	v_max3_f32 v75, v75, v95, v96
	v_sub_f32_e32 v93, v93, v75
	ds_load_2addr_b32 v[97:98], v74 offset0:136 offset1:153
	v_sub_f32_e32 v70, v70, v75
	v_dual_sub_f32 v100, v73, v75 :: v_dual_mul_f32 v103, 0x3fb8aa3b, v93
	s_delay_alu instid0(VALU_DEP_2) | instskip(SKIP_3) | instid1(VALU_DEP_1)
	v_dual_sub_f32 v76, v71, v75 :: v_dual_mul_f32 v99, 0x3fb8aa3b, v70
	ds_load_2addr_b32 v[70:71], v74 offset0:170 offset1:187
	v_mul_f32_e32 v76, 0x3fb8aa3b, v76
	v_exp_f32_e32 v99, v99
	v_exp_f32_e32 v102, v76
	v_mul_f32_e32 v100, 0x3fb8aa3b, v100
	s_waitcnt lgkmcnt(1)
	s_waitcnt_depctr 0xfff
	v_fma_f32 v76, v99, v97, 0
	v_sub_f32_e32 v97, v94, v75
	v_sub_f32_e32 v72, v72, v75
	v_exp_f32_e32 v100, v100
	ds_load_2addr_b32 v[93:94], v74 offset0:238 offset1:255
	v_dual_fmac_f32 v76, v102, v98 :: v_dual_mul_f32 v101, 0x3fb8aa3b, v72
	ds_load_2addr_b32 v[72:73], v74 offset0:204 offset1:221
	v_dual_sub_f32 v74, v95, v75 :: v_dual_mul_f32 v95, 0x3fb8aa3b, v97
	v_exp_f32_e32 v97, v103
	v_exp_f32_e32 v101, v101
	s_waitcnt lgkmcnt(0)
	s_delay_alu instid0(VALU_DEP_1)
	v_mul_f32_e32 v74, 0x3fb8aa3b, v74
	v_exp_f32_e32 v95, v95
	s_barrier
	buffer_gl0_inv
	v_fmac_f32_e32 v76, v101, v70
	v_sub_f32_e32 v70, v96, v75
	v_exp_f32_e32 v96, v74
	s_delay_alu instid0(VALU_DEP_2) | instskip(NEXT) | instid1(VALU_DEP_2)
	v_fmac_f32_e32 v76, v100, v71
	v_mul_f32_e32 v70, 0x3fb8aa3b, v70
	s_delay_alu instid0(VALU_DEP_2) | instskip(NEXT) | instid1(VALU_DEP_2)
	v_dual_cndmask_b32 v71, v99, v102 :: v_dual_fmac_f32 v76, v97, v72
	v_exp_f32_e32 v98, v70
	v_lshlrev_b32_e32 v72, 6, v69
	s_delay_alu instid0(VALU_DEP_2) | instskip(NEXT) | instid1(VALU_DEP_2)
	v_dual_fmac_f32 v76, v95, v73 :: v_dual_lshlrev_b32 v69, 2, v67
	v_lshl_or_b32 v74, v68, 11, v72
	s_delay_alu instid0(VALU_DEP_2)
	v_cmp_eq_u32_e64 s8, 7, v69
	s_delay_alu instid0(TRANS32_DEP_2) | instid1(VALU_DEP_3)
	v_fmac_f32_e32 v76, v96, v93
	s_waitcnt_depctr 0xfff
	v_fmac_f32_e32 v76, v98, v94
	s_delay_alu instid0(VALU_DEP_1) | instskip(NEXT) | instid1(VALU_DEP_1)
	v_add_f32_e32 v73, 0x358637bd, v76
	v_div_scale_f32 v93, null, v73, v73, 1.0
	v_div_scale_f32 v99, vcc_lo, 1.0, v73, 1.0
	s_delay_alu instid0(VALU_DEP_2) | instskip(SKIP_2) | instid1(VALU_DEP_1)
	v_rcp_f32_e32 v94, v93
	s_waitcnt_depctr 0xfff
	v_fma_f32 v70, -v93, v94, 1.0
	v_fmac_f32_e32 v94, v70, v94
	v_cndmask_b32_e64 v70, v71, v101, s3
	v_cmp_eq_u32_e64 s3, 6, v68
	v_or_b32_e32 v71, 1, v69
	v_or_b32_e32 v68, 2, v69
	v_mul_f32_e32 v101, v99, v94
	v_cndmask_b32_e64 v70, v70, v100, s4
	v_cmp_eq_u32_e64 s4, 1, v69
	v_cmp_eq_u32_e64 s9, 1, v71
	;; [unrolled: 1-line block ×3, first 2 shown]
	v_fma_f32 v100, -v93, v101, v99
	v_cndmask_b32_e64 v70, v70, v97, s5
	v_cmp_eq_u32_e64 s5, 2, v69
	v_cmp_eq_u32_e64 s12, 2, v71
	;; [unrolled: 1-line block ×3, first 2 shown]
	v_fmac_f32_e32 v101, v100, v94
	v_cndmask_b32_e64 v95, v70, v95, s6
	v_or_b32_e32 v70, 3, v69
	v_cmp_eq_u32_e64 s13, 3, v71
	v_cmp_eq_u32_e64 s17, 3, v68
	v_fma_f32 v93, -v93, v101, v99
	v_cndmask_b32_e64 v95, v95, v96, s3
	v_cmp_eq_u32_e64 s11, 1, v70
	v_cmp_eq_u32_e64 s16, 2, v70
	;; [unrolled: 1-line block ×3, first 2 shown]
	v_div_fmas_f32 v93, v93, v94, v101
	v_cndmask_b32_e64 v94, v95, v98, s7
	v_cmp_eq_u32_e32 vcc_lo, 3, v69
	v_cmp_eq_u32_e64 s3, 4, v69
	v_cmp_eq_u32_e64 s19, 4, v71
	v_div_fixup_f32 v93, v93, v73, 1.0
	v_lshl_or_b32 v73, v67, 4, v74
	v_cmp_eq_u32_e64 s22, 4, v70
	v_cmp_eq_u32_e64 s6, 5, v69
	;; [unrolled: 1-line block ×3, first 2 shown]
	v_mul_f32_e32 v101, v94, v93
	v_cmp_eq_u32_e64 s21, 4, v68
	v_cmp_eq_u32_e64 s24, 5, v70
	;; [unrolled: 1-line block ×4, first 2 shown]
	v_fma_mixlo_f16 v93, v101, v78, 0
	v_fma_mixlo_f16 v94, v101, v80, 0
	;; [unrolled: 1-line block ×8, first 2 shown]
	v_fma_mixhi_f16 v93, v101, v77, 0
	v_fma_mixhi_f16 v94, v101, v79, 0
	;; [unrolled: 1-line block ×8, first 2 shown]
	ds_store_b128 v73, v[93:96]
	ds_store_b128 v73, v[97:100] offset:1024
	s_waitcnt lgkmcnt(0)
	s_barrier
	buffer_gl0_inv
	ds_load_b128 v[77:80], v74
	ds_load_b128 v[81:84], v74 offset:16
	ds_load_b128 v[85:88], v74 offset:1024
	;; [unrolled: 1-line block ×3, first 2 shown]
	v_cmp_eq_u32_e64 s27, 6, v70
	v_cmp_eq_u32_e64 s7, 6, v69
	v_cmp_eq_u32_e64 s26, 6, v68
	v_cmp_eq_u32_e64 s29, 7, v70
	v_cmp_eq_u32_e64 s30, 7, v71
	v_cmp_eq_u32_e64 s28, 7, v68
	s_waitcnt lgkmcnt(3)
	v_lshrrev_b32_e32 v93, 16, v77
	s_waitcnt lgkmcnt(2)
	v_lshrrev_b32_e32 v97, 16, v81
	;; [unrolled: 2-line block ×4, first 2 shown]
	v_lshrrev_b32_e32 v94, 16, v78
	v_cndmask_b32_e64 v109, v77, v93, s4
	v_cndmask_b32_e64 v110, v81, v97, s4
	;; [unrolled: 1-line block ×8, first 2 shown]
	v_lshrrev_b32_e32 v98, 16, v82
	v_cndmask_b32_e64 v93, v85, v101, s4
	v_cndmask_b32_e64 v97, v89, v105, s4
	;; [unrolled: 1-line block ×15, first 2 shown]
	v_lshrrev_b32_e32 v102, 16, v86
	v_lshrrev_b32_e32 v106, 16, v90
	v_cndmask_b32_e64 v112, v114, v82, s15
	v_cndmask_b32_e64 v81, v93, v86, s5
	;; [unrolled: 1-line block ×7, first 2 shown]
	v_cndmask_b32_e32 v89, v101, v94, vcc_lo
	v_cndmask_b32_e32 v101, v105, v98, vcc_lo
	v_cndmask_b32_e64 v105, v109, v94, s13
	v_cndmask_b32_e64 v109, v110, v98, s13
	;; [unrolled: 1-line block ×4, first 2 shown]
	v_lshrrev_b32_e32 v95, 16, v79
	v_lshrrev_b32_e32 v99, 16, v83
	v_cndmask_b32_e64 v110, v111, v94, s17
	v_cndmask_b32_e64 v111, v112, v98, s17
	v_cndmask_b32_e32 v81, v81, v102, vcc_lo
	v_cndmask_b32_e32 v82, v82, v106, vcc_lo
	v_cndmask_b32_e64 v93, v93, v102, s13
	v_cndmask_b32_e64 v89, v89, v79, s3
	;; [unrolled: 1-line block ×7, first 2 shown]
	v_lshrrev_b32_e32 v103, 16, v87
	v_cndmask_b32_e64 v105, v110, v79, s21
	v_cndmask_b32_e64 v109, v111, v83, s21
	;; [unrolled: 1-line block ×11, first 2 shown]
	v_lshrrev_b32_e32 v96, 16, v80
	v_lshrrev_b32_e32 v100, 16, v84
	v_cndmask_b32_e64 v98, v105, v95, s23
	v_cndmask_b32_e64 v101, v109, v99, s23
	;; [unrolled: 1-line block ×7, first 2 shown]
	v_lshrrev_b32_e32 v104, 16, v88
	v_cndmask_b32_e64 v79, v79, v103, s6
	v_cndmask_b32_e64 v83, v83, v80, s7
	;; [unrolled: 1-line block ×16, first 2 shown]
	v_perm_b32 v80, v78, v77, 0x5040100
	v_perm_b32 v78, v94, v84, 0x5040100
	v_cndmask_b32_e64 v77, v118, v90, s15
	v_cndmask_b32_e64 v84, v116, v90, s12
	;; [unrolled: 1-line block ×3, first 2 shown]
	v_perm_b32 v79, v93, v89, 0x5040100
	v_cndmask_b32_e64 v89, v97, v102, s17
	v_cndmask_b32_e64 v85, v85, v102, s18
	;; [unrolled: 1-line block ×5, first 2 shown]
	v_lshrrev_b32_e32 v107, 16, v91
	v_cndmask_b32_e64 v89, v89, v87, s21
	v_cndmask_b32_e64 v85, v85, v87, s22
	;; [unrolled: 1-line block ×11, first 2 shown]
	v_lshrrev_b32_e32 v108, 16, v92
	v_cndmask_b32_e64 v81, v81, v92, s7
	v_cndmask_b32_e64 v87, v87, v88, s26
	;; [unrolled: 1-line block ×12, first 2 shown]
	v_perm_b32 v77, v83, v82, 0x5040100
	v_perm_b32 v84, v86, v85, 0x5040100
	;; [unrolled: 1-line block ×5, first 2 shown]
	s_lshl_b32 s8, s33, 3
	s_mov_b32 s3, exec_lo
	ds_store_b128 v73, v[77:80]
	ds_store_b128 v73, v[81:84] offset:1024
	v_cmpx_gt_u32_e32 8, v0
	s_cbranch_execz .LBB1109_14
; %bb.13:
	v_or_b32_e32 v77, s31, v0
	s_load_b128 s[4:7], s[0:1], 0x58
	s_delay_alu instid0(VALU_DEP_1) | instskip(NEXT) | instid1(VALU_DEP_1)
	v_mad_u64_u32 v[78:79], null, s8, s34, v[77:78]
	v_mad_u64_u32 v[79:80], null, v78, s35, s[14:15]
	s_delay_alu instid0(VALU_DEP_1) | instskip(NEXT) | instid1(VALU_DEP_1)
	v_ashrrev_i32_e32 v80, 31, v79
	v_lshlrev_b64 v[77:78], 2, v[79:80]
	s_waitcnt lgkmcnt(0)
	s_delay_alu instid0(VALU_DEP_1) | instskip(NEXT) | instid1(VALU_DEP_2)
	v_add_co_u32 v79, vcc_lo, s6, v77
	v_add_co_ci_u32_e32 v80, vcc_lo, s7, v78, vcc_lo
	v_add_co_u32 v77, vcc_lo, s4, v77
	v_add_co_ci_u32_e32 v78, vcc_lo, s5, v78, vcc_lo
	global_store_b32 v[79:80], v75, off
	global_store_b32 v[77:78], v76, off
.LBB1109_14:
	s_or_b32 exec_lo, exec_lo, s3
	s_waitcnt lgkmcnt(0)
	s_waitcnt_vscnt null, 0x0
	s_barrier
	buffer_gl0_inv
	ds_load_b128 v[83:86], v72
	ds_load_b128 v[87:90], v72 offset:16
	ds_load_b128 v[95:98], v72 offset:2064
	;; [unrolled: 1-line block ×5, first 2 shown]
	v_cmp_eq_u32_e32 vcc_lo, 1, v69
	v_mov_b32_e32 v75, 0
	ds_load_b128 v[111:114], v72 offset:6160
	ds_load_b128 v[107:110], v72 offset:6144
	;; [unrolled: 1-line block ×4, first 2 shown]
	v_cmp_eq_u32_e64 s4, 1, v68
	v_cmp_eq_u32_e64 s3, 1, v71
	;; [unrolled: 1-line block ×3, first 2 shown]
	v_mov_b32_e32 v76, v75
	v_mov_b32_e32 v77, v75
	;; [unrolled: 1-line block ×7, first 2 shown]
	v_cmp_eq_u32_e64 s6, 3, v71
	v_cmp_eq_u32_e64 s7, 7, v71
	s_waitcnt lgkmcnt(8)
	s_delay_alu instid0(VALU_DEP_3)
	v_wmma_f32_16x16x16_f16 v[75:82], v[49:56], v[83:90], v[75:82]
	ds_load_b128 v[53:56], v72 offset:10256
	ds_load_b128 v[49:52], v72 offset:10240
	s_waitcnt lgkmcnt(8)
	v_wmma_f32_16x16x16_f16 v[75:82], v[41:48], v[91:98], v[75:82]
	ds_load_b128 v[45:48], v72 offset:12304
	ds_load_b128 v[41:44], v72 offset:12288
	s_waitcnt lgkmcnt(8)
	;; [unrolled: 4-line block ×3, first 2 shown]
	s_barrier
	buffer_gl0_inv
	v_wmma_f32_16x16x16_f16 v[75:82], v[1:8], v[107:114], v[75:82]
	s_delay_alu instid0(VALU_DEP_1) | instskip(NEXT) | instid1(VALU_DEP_1)
	v_wmma_f32_16x16x16_f16 v[75:82], v[9:16], v[115:122], v[75:82]
	v_wmma_f32_16x16x16_f16 v[75:82], v[17:24], v[49:56], v[75:82]
	s_delay_alu instid0(VALU_DEP_1) | instskip(NEXT) | instid1(VALU_DEP_1)
	v_wmma_f32_16x16x16_f16 v[75:82], v[25:32], v[41:48], v[75:82]
	v_wmma_f32_16x16x16_f16 v[75:82], v[57:64], v[33:40], v[75:82]
	s_delay_alu instid0(VALU_DEP_1) | instskip(NEXT) | instid1(VALU_DEP_2)
	v_cvt_f16_f32_e32 v1, v75
	v_cvt_f16_f32_e32 v2, v76
	s_delay_alu instid0(VALU_DEP_3) | instskip(NEXT) | instid1(VALU_DEP_4)
	v_cvt_f16_f32_e32 v3, v77
	v_cvt_f16_f32_e32 v4, v78
	;; [unrolled: 1-line block ×6, first 2 shown]
	v_pack_b32_f16 v1, v1, v2
	v_pack_b32_f16 v2, v3, v4
	;; [unrolled: 1-line block ×3, first 2 shown]
	s_delay_alu instid0(VALU_DEP_4)
	v_pack_b32_f16 v4, v7, v8
	ds_store_b128 v73, v[1:4]
	s_waitcnt lgkmcnt(0)
	s_barrier
	buffer_gl0_inv
	ds_load_b128 v[1:4], v74
	ds_load_b128 v[5:8], v74 offset:16
	s_waitcnt lgkmcnt(1)
	v_lshrrev_b32_e32 v9, 16, v1
	s_waitcnt lgkmcnt(0)
	v_lshrrev_b32_e32 v13, 16, v5
	v_lshrrev_b32_e32 v10, 16, v2
	v_lshrrev_b32_e32 v14, 16, v6
	v_lshrrev_b32_e32 v11, 16, v3
	v_cndmask_b32_e32 v17, v1, v9, vcc_lo
	v_cndmask_b32_e32 v18, v5, v13, vcc_lo
	v_cndmask_b32_e64 v21, v1, v9, s4
	v_cmp_eq_u32_e32 vcc_lo, 1, v70
	v_cndmask_b32_e64 v22, v5, v13, s4
	v_cmp_eq_u32_e64 s4, 2, v69
	v_cndmask_b32_e64 v19, v1, v9, s3
	v_cndmask_b32_e64 v20, v5, v13, s3
	v_cndmask_b32_e32 v1, v1, v9, vcc_lo
	v_cmp_eq_u32_e64 s3, 2, v70
	v_cndmask_b32_e32 v5, v5, v13, vcc_lo
	v_cndmask_b32_e64 v9, v17, v2, s4
	v_cmp_eq_u32_e32 vcc_lo, 3, v69
	v_cndmask_b32_e64 v13, v18, v6, s4
	v_cmp_eq_u32_e64 s4, 2, v68
	v_cndmask_b32_e64 v17, v19, v2, s5
	v_cndmask_b32_e64 v18, v20, v6, s5
	v_cmp_eq_u32_e64 s5, 3, v68
	v_cndmask_b32_e64 v1, v1, v2, s3
	v_cndmask_b32_e64 v19, v21, v2, s4
	;; [unrolled: 1-line block ×4, first 2 shown]
	v_cndmask_b32_e32 v5, v9, v10, vcc_lo
	v_cndmask_b32_e32 v6, v13, v14, vcc_lo
	v_cmp_eq_u32_e32 vcc_lo, 3, v70
	v_cndmask_b32_e64 v9, v17, v10, s6
	v_cndmask_b32_e64 v13, v18, v14, s6
	;; [unrolled: 1-line block ×3, first 2 shown]
	v_cmp_eq_u32_e64 s4, 4, v69
	v_cndmask_b32_e32 v1, v1, v10, vcc_lo
	v_cndmask_b32_e32 v2, v2, v14, vcc_lo
	v_cmp_eq_u32_e32 vcc_lo, 4, v71
	v_lshrrev_b32_e32 v15, 16, v7
	v_lshrrev_b32_e32 v16, 16, v8
	v_cndmask_b32_e64 v17, v19, v10, s5
	v_cmp_eq_u32_e64 s3, 4, v70
	v_cndmask_b32_e64 v5, v5, v3, s4
	v_cndmask_b32_e64 v6, v6, v7, s4
	v_cndmask_b32_e32 v9, v9, v3, vcc_lo
	v_cmp_eq_u32_e64 s4, 5, v71
	v_cndmask_b32_e32 v10, v13, v7, vcc_lo
	v_cmp_eq_u32_e32 vcc_lo, 4, v68
	v_cmp_eq_u32_e64 s5, 5, v69
	v_cndmask_b32_e64 v2, v2, v7, s3
	v_cndmask_b32_e64 v9, v9, v11, s4
	;; [unrolled: 1-line block ×3, first 2 shown]
	v_cndmask_b32_e32 v13, v17, v3, vcc_lo
	v_cmp_eq_u32_e64 s4, 5, v68
	v_cndmask_b32_e32 v14, v18, v7, vcc_lo
	v_cndmask_b32_e64 v1, v1, v3, s3
	v_cmp_eq_u32_e32 vcc_lo, 5, v70
	v_lshrrev_b32_e32 v12, 16, v4
	v_cndmask_b32_e64 v13, v13, v11, s4
	v_cndmask_b32_e64 v3, v14, v15, s4
	v_cmp_eq_u32_e64 s4, 6, v70
	v_cndmask_b32_e32 v1, v1, v11, vcc_lo
	v_cndmask_b32_e64 v5, v5, v11, s5
	v_cmp_eq_u32_e64 s6, 6, v69
	v_cndmask_b32_e64 v6, v6, v15, s5
	v_cmp_eq_u32_e64 s5, 6, v71
	v_cmp_eq_u32_e64 s3, 6, v68
	v_cndmask_b32_e64 v1, v1, v4, s4
	v_cndmask_b32_e32 v2, v2, v15, vcc_lo
	v_cmp_eq_u32_e32 vcc_lo, 7, v70
	v_cndmask_b32_e64 v5, v5, v4, s6
	v_cndmask_b32_e64 v9, v9, v4, s5
	;; [unrolled: 1-line block ×3, first 2 shown]
	v_cmp_eq_u32_e64 s6, 7, v69
	v_cndmask_b32_e32 v1, v1, v12, vcc_lo
	v_cndmask_b32_e64 v7, v13, v4, s3
	v_cndmask_b32_e64 v3, v3, v8, s3
	;; [unrolled: 1-line block ×3, first 2 shown]
	v_cmp_eq_u32_e64 s3, 7, v68
	v_cndmask_b32_e64 v4, v10, v8, s5
	v_cndmask_b32_e64 v5, v5, v12, s6
	;; [unrolled: 1-line block ×3, first 2 shown]
	v_cndmask_b32_e32 v2, v2, v16, vcc_lo
	v_cndmask_b32_e64 v7, v7, v12, s3
	v_cndmask_b32_e64 v3, v3, v16, s3
	;; [unrolled: 1-line block ×4, first 2 shown]
	v_cmp_gt_u32_e32 vcc_lo, 32, v0
	v_perm_b32 v4, v2, v1, 0x5040100
	v_perm_b32 v3, v3, v7, 0x5040100
	;; [unrolled: 1-line block ×4, first 2 shown]
	s_and_b32 s2, vcc_lo, s2
	ds_store_b128 v73, v[1:4]
	s_waitcnt lgkmcnt(0)
	s_barrier
	buffer_gl0_inv
	s_and_saveexec_b32 s3, s2
	s_cbranch_execz .LBB1109_2
; %bb.15:
	s_load_b64 s[0:1], s[0:1], 0x68
	s_lshl_b32 s4, s35, 6
	v_or_b32_e32 v2, s31, v67
	s_mul_i32 s2, s4, s34
	v_lshlrev_b32_e32 v1, 10, v0
	s_mul_i32 s2, s2, s8
	v_lshlrev_b32_e32 v3, 4, v66
	v_mul_lo_u32 v0, v2, s4
	s_ashr_i32 s3, s2, 31
	v_lshlrev_b32_e32 v4, 6, v67
	v_and_b32_e32 v1, 0x3800, v1
	v_or_b32_e32 v5, 2, v2
	s_lshl_b64 s[2:3], s[2:3], 1
	v_or_b32_e32 v6, 4, v2
	v_or_b32_e32 v7, 6, v2
	v_or3_b32 v12, v1, v3, v4
	v_ashrrev_i32_e32 v1, 31, v0
	v_mul_lo_u32 v2, v5, s4
	v_mul_lo_u32 v16, v6, s4
	v_mul_lo_u32 v20, v7, s4
	s_waitcnt lgkmcnt(0)
	s_add_u32 s2, s0, s2
	s_addc_u32 s3, s1, s3
	s_lshl_b32 s0, s14, 6
	v_lshlrev_b64 v[0:1], 1, v[0:1]
	s_ashr_i32 s1, s0, 31
	v_ashrrev_i32_e32 v3, 31, v2
	s_lshl_b64 s[0:1], s[0:1], 1
	v_ashrrev_i32_e32 v17, 31, v16
	s_add_u32 s0, s2, s0
	s_addc_u32 s1, s3, s1
	v_add_co_u32 v24, s0, s0, v65
	s_delay_alu instid0(VALU_DEP_1) | instskip(SKIP_1) | instid1(VALU_DEP_3)
	v_add_co_ci_u32_e64 v25, null, s1, 0, s0
	v_lshlrev_b64 v[22:23], 1, v[2:3]
	v_add_co_u32 v18, vcc_lo, v24, v0
	s_delay_alu instid0(VALU_DEP_3)
	v_add_co_ci_u32_e32 v19, vcc_lo, v25, v1, vcc_lo
	ds_load_b128 v[0:3], v12
	ds_load_b128 v[4:7], v12 offset:128
	ds_load_b128 v[8:11], v12 offset:256
	;; [unrolled: 1-line block ×3, first 2 shown]
	v_ashrrev_i32_e32 v21, 31, v20
	v_lshlrev_b64 v[16:17], 1, v[16:17]
	v_add_co_u32 v22, vcc_lo, v24, v22
	v_add_co_ci_u32_e32 v23, vcc_lo, v25, v23, vcc_lo
	s_delay_alu instid0(VALU_DEP_4) | instskip(NEXT) | instid1(VALU_DEP_4)
	v_lshlrev_b64 v[20:21], 1, v[20:21]
	v_add_co_u32 v16, vcc_lo, v24, v16
	v_add_co_ci_u32_e32 v17, vcc_lo, v25, v17, vcc_lo
	s_delay_alu instid0(VALU_DEP_3) | instskip(NEXT) | instid1(VALU_DEP_4)
	v_add_co_u32 v20, vcc_lo, v24, v20
	v_add_co_ci_u32_e32 v21, vcc_lo, v25, v21, vcc_lo
	s_waitcnt lgkmcnt(3)
	global_store_b128 v[18:19], v[0:3], off
	s_waitcnt lgkmcnt(2)
	global_store_b128 v[22:23], v[4:7], off
	;; [unrolled: 2-line block ×4, first 2 shown]
	s_nop 0
	s_sendmsg sendmsg(MSG_DEALLOC_VGPRS)
	s_endpgm
	.section	.rodata,"a",@progbits
	.p2align	6, 0x0
	.amdhsa_kernel _Z39paged_attention_ll4mi_QKV_mfma16_kernelIDF16_hLN4vllm18Fp8KVCacheDataTypeE1EhLi16ELi64ELi256ELb0ELi8EL8MFMAType0EEvPKT_PKT0_S8_ifPKiSA_SA_iPKfiiiPfSD_PS3_PT2_iSC_SC_
		.amdhsa_group_segment_fixed_size 17472
		.amdhsa_private_segment_fixed_size 0
		.amdhsa_kernarg_size 400
		.amdhsa_user_sgpr_count 13
		.amdhsa_user_sgpr_dispatch_ptr 0
		.amdhsa_user_sgpr_queue_ptr 0
		.amdhsa_user_sgpr_kernarg_segment_ptr 1
		.amdhsa_user_sgpr_dispatch_id 0
		.amdhsa_user_sgpr_private_segment_size 0
		.amdhsa_wavefront_size32 1
		.amdhsa_uses_dynamic_stack 0
		.amdhsa_enable_private_segment 0
		.amdhsa_system_sgpr_workgroup_id_x 1
		.amdhsa_system_sgpr_workgroup_id_y 1
		.amdhsa_system_sgpr_workgroup_id_z 1
		.amdhsa_system_sgpr_workgroup_info 0
		.amdhsa_system_vgpr_workitem_id 0
		.amdhsa_next_free_vgpr 123
		.amdhsa_next_free_sgpr 40
		.amdhsa_reserve_vcc 1
		.amdhsa_float_round_mode_32 0
		.amdhsa_float_round_mode_16_64 0
		.amdhsa_float_denorm_mode_32 3
		.amdhsa_float_denorm_mode_16_64 3
		.amdhsa_dx10_clamp 1
		.amdhsa_ieee_mode 1
		.amdhsa_fp16_overflow 0
		.amdhsa_workgroup_processor_mode 1
		.amdhsa_memory_ordered 1
		.amdhsa_forward_progress 0
		.amdhsa_shared_vgpr_count 0
		.amdhsa_exception_fp_ieee_invalid_op 0
		.amdhsa_exception_fp_denorm_src 0
		.amdhsa_exception_fp_ieee_div_zero 0
		.amdhsa_exception_fp_ieee_overflow 0
		.amdhsa_exception_fp_ieee_underflow 0
		.amdhsa_exception_fp_ieee_inexact 0
		.amdhsa_exception_int_div_zero 0
	.end_amdhsa_kernel
	.section	.text._Z39paged_attention_ll4mi_QKV_mfma16_kernelIDF16_hLN4vllm18Fp8KVCacheDataTypeE1EhLi16ELi64ELi256ELb0ELi8EL8MFMAType0EEvPKT_PKT0_S8_ifPKiSA_SA_iPKfiiiPfSD_PS3_PT2_iSC_SC_,"axG",@progbits,_Z39paged_attention_ll4mi_QKV_mfma16_kernelIDF16_hLN4vllm18Fp8KVCacheDataTypeE1EhLi16ELi64ELi256ELb0ELi8EL8MFMAType0EEvPKT_PKT0_S8_ifPKiSA_SA_iPKfiiiPfSD_PS3_PT2_iSC_SC_,comdat
.Lfunc_end1109:
	.size	_Z39paged_attention_ll4mi_QKV_mfma16_kernelIDF16_hLN4vllm18Fp8KVCacheDataTypeE1EhLi16ELi64ELi256ELb0ELi8EL8MFMAType0EEvPKT_PKT0_S8_ifPKiSA_SA_iPKfiiiPfSD_PS3_PT2_iSC_SC_, .Lfunc_end1109-_Z39paged_attention_ll4mi_QKV_mfma16_kernelIDF16_hLN4vllm18Fp8KVCacheDataTypeE1EhLi16ELi64ELi256ELb0ELi8EL8MFMAType0EEvPKT_PKT0_S8_ifPKiSA_SA_iPKfiiiPfSD_PS3_PT2_iSC_SC_
                                        ; -- End function
	.section	.AMDGPU.csdata,"",@progbits
; Kernel info:
; codeLenInByte = 6492
; NumSgprs: 42
; NumVgprs: 123
; ScratchSize: 0
; MemoryBound: 0
; FloatMode: 240
; IeeeMode: 1
; LDSByteSize: 17472 bytes/workgroup (compile time only)
; SGPRBlocks: 5
; VGPRBlocks: 15
; NumSGPRsForWavesPerEU: 42
; NumVGPRsForWavesPerEU: 123
; Occupancy: 10
; WaveLimiterHint : 1
; COMPUTE_PGM_RSRC2:SCRATCH_EN: 0
; COMPUTE_PGM_RSRC2:USER_SGPR: 13
; COMPUTE_PGM_RSRC2:TRAP_HANDLER: 0
; COMPUTE_PGM_RSRC2:TGID_X_EN: 1
; COMPUTE_PGM_RSRC2:TGID_Y_EN: 1
; COMPUTE_PGM_RSRC2:TGID_Z_EN: 1
; COMPUTE_PGM_RSRC2:TIDIG_COMP_CNT: 0
	.section	.text._Z39paged_attention_ll4mi_QKV_mfma16_kernelIDF16_hLN4vllm18Fp8KVCacheDataTypeE1EhLi16ELi64ELi256ELb0ELi9EL8MFMAType0EEvPKT_PKT0_S8_ifPKiSA_SA_iPKfiiiPfSD_PS3_PT2_iSC_SC_,"axG",@progbits,_Z39paged_attention_ll4mi_QKV_mfma16_kernelIDF16_hLN4vllm18Fp8KVCacheDataTypeE1EhLi16ELi64ELi256ELb0ELi9EL8MFMAType0EEvPKT_PKT0_S8_ifPKiSA_SA_iPKfiiiPfSD_PS3_PT2_iSC_SC_,comdat
	.protected	_Z39paged_attention_ll4mi_QKV_mfma16_kernelIDF16_hLN4vllm18Fp8KVCacheDataTypeE1EhLi16ELi64ELi256ELb0ELi9EL8MFMAType0EEvPKT_PKT0_S8_ifPKiSA_SA_iPKfiiiPfSD_PS3_PT2_iSC_SC_ ; -- Begin function _Z39paged_attention_ll4mi_QKV_mfma16_kernelIDF16_hLN4vllm18Fp8KVCacheDataTypeE1EhLi16ELi64ELi256ELb0ELi9EL8MFMAType0EEvPKT_PKT0_S8_ifPKiSA_SA_iPKfiiiPfSD_PS3_PT2_iSC_SC_
	.globl	_Z39paged_attention_ll4mi_QKV_mfma16_kernelIDF16_hLN4vllm18Fp8KVCacheDataTypeE1EhLi16ELi64ELi256ELb0ELi9EL8MFMAType0EEvPKT_PKT0_S8_ifPKiSA_SA_iPKfiiiPfSD_PS3_PT2_iSC_SC_
	.p2align	8
	.type	_Z39paged_attention_ll4mi_QKV_mfma16_kernelIDF16_hLN4vllm18Fp8KVCacheDataTypeE1EhLi16ELi64ELi256ELb0ELi9EL8MFMAType0EEvPKT_PKT0_S8_ifPKiSA_SA_iPKfiiiPfSD_PS3_PT2_iSC_SC_,@function
_Z39paged_attention_ll4mi_QKV_mfma16_kernelIDF16_hLN4vllm18Fp8KVCacheDataTypeE1EhLi16ELi64ELi256ELb0ELi9EL8MFMAType0EEvPKT_PKT0_S8_ifPKiSA_SA_iPKfiiiPfSD_PS3_PT2_iSC_SC_: ; @_Z39paged_attention_ll4mi_QKV_mfma16_kernelIDF16_hLN4vllm18Fp8KVCacheDataTypeE1EhLi16ELi64ELi256ELb0ELi9EL8MFMAType0EEvPKT_PKT0_S8_ifPKiSA_SA_iPKfiiiPfSD_PS3_PT2_iSC_SC_
; %bb.0:
	s_load_b64 s[2:3], s[0:1], 0x30
	s_mov_b32 s34, s13
	s_waitcnt lgkmcnt(0)
	s_cmp_lg_u64 s[2:3], 0
	s_cselect_b32 s6, -1, 0
	s_ashr_i32 s35, s13, 31
	s_cmp_eq_u64 s[2:3], 0
	s_cbranch_scc1 .LBB1110_3
; %bb.1:
	s_lshl_b64 s[4:5], s[34:35], 2
	s_delay_alu instid0(SALU_CYCLE_1) | instskip(SKIP_4) | instid1(SALU_CYCLE_1)
	s_add_u32 s4, s2, s4
	s_addc_u32 s5, s3, s5
	s_load_b64 s[4:5], s[4:5], 0x0
	s_waitcnt lgkmcnt(0)
	s_sub_i32 s4, s5, s4
	s_cmp_eq_u32 s4, 1
	s_cselect_b32 s4, -1, 0
	s_delay_alu instid0(SALU_CYCLE_1)
	s_and_not1_b32 vcc_lo, exec_lo, s4
	s_cbranch_vccz .LBB1110_4
.LBB1110_2:
	s_nop 0
	s_sendmsg sendmsg(MSG_DEALLOC_VGPRS)
	s_endpgm
.LBB1110_3:
.LBB1110_4:
	s_load_b64 s[8:9], s[0:1], 0x28
	s_lshl_b64 s[4:5], s[34:35], 2
	s_waitcnt lgkmcnt(0)
	s_add_u32 s8, s8, s4
	s_addc_u32 s9, s9, s5
	s_lshl_b32 s16, s14, 8
	s_load_b32 s18, s[8:9], 0x0
	s_waitcnt lgkmcnt(0)
	s_cmp_ge_i32 s16, s18
	s_cbranch_scc1 .LBB1110_2
; %bb.5:
	s_clause 0x1
	s_load_b128 s[8:11], s[0:1], 0x8
	s_load_b64 s[12:13], s[0:1], 0x20
	s_and_not1_b32 vcc_lo, exec_lo, s6
	s_cbranch_vccnz .LBB1110_7
; %bb.6:
	s_add_u32 s2, s2, s4
	s_addc_u32 s3, s3, s5
	s_load_b32 s3, s[2:3], 0x0
	s_branch .LBB1110_8
.LBB1110_7:
	s_mov_b32 s3, s34
.LBB1110_8:
	s_load_b128 s[4:7], s[0:1], 0x48
	v_lshrrev_b32_e32 v69, 5, v0
	v_bfe_u32 v66, v0, 4, 1
	v_and_b32_e32 v68, 15, v0
	v_and_b32_e32 v70, 31, v0
	;; [unrolled: 1-line block ×3, first 2 shown]
	s_mul_i32 s33, s15, 9
	v_lshl_or_b32 v1, v69, 1, v66
	v_lshlrev_b32_e32 v2, 3, v68
	v_cmp_gt_u32_e64 s2, 8, v68
	s_delay_alu instid0(VALU_DEP_3) | instskip(NEXT) | instid1(VALU_DEP_3)
	v_cmp_gt_u32_e32 vcc_lo, 9, v1
	v_lshlrev_b32_e32 v65, 1, v2
	s_delay_alu instid0(VALU_DEP_3)
	s_and_b32 s17, s2, vcc_lo
	s_waitcnt lgkmcnt(0)
	s_and_saveexec_b32 s7, s17
	s_cbranch_execz .LBB1110_10
; %bb.9:
	s_load_b64 s[20:21], s[0:1], 0x0
	v_add_lshl_u32 v2, v1, s33, 6
	s_mul_hi_i32 s23, s3, s4
	s_mul_i32 s22, s3, s4
	v_lshlrev_b32_e32 v6, 10, v68
	s_lshl_b64 s[22:23], s[22:23], 1
	v_ashrrev_i32_e32 v3, 31, v2
	v_lshlrev_b32_e32 v1, 6, v1
	v_lshlrev_b32_e32 v7, 10, v67
	v_and_b32_e32 v6, 0x3800, v6
	s_delay_alu instid0(VALU_DEP_4) | instskip(NEXT) | instid1(VALU_DEP_2)
	v_lshlrev_b64 v[2:3], 1, v[2:3]
	v_or3_b32 v1, v6, v7, v1
	s_waitcnt lgkmcnt(0)
	s_add_u32 s3, s20, s22
	s_addc_u32 s4, s21, s23
	s_delay_alu instid0(VALU_DEP_2) | instskip(SKIP_1) | instid1(VALU_DEP_2)
	v_add_co_u32 v2, vcc_lo, s3, v2
	v_add_co_ci_u32_e32 v3, vcc_lo, s4, v3, vcc_lo
	v_add_co_u32 v2, vcc_lo, v2, v65
	s_delay_alu instid0(VALU_DEP_2)
	v_add_co_ci_u32_e32 v3, vcc_lo, 0, v3, vcc_lo
	global_load_b128 v[2:5], v[2:3], off
	s_waitcnt vmcnt(0)
	ds_store_b128 v1, v[2:5]
.LBB1110_10:
	s_or_b32 exec_lo, exec_lo, s7
	v_and_b32_e32 v1, 0xef, v0
	s_add_i32 s3, s18, 15
	s_clause 0x1
	s_load_b32 s4, s[0:1], 0x38
	s_load_b32 s35, s[0:1], 0x98
	s_ashr_i32 s7, s3, 31
	v_add_nc_u32_e32 v1, s16, v1
	s_lshr_b32 s7, s7, 28
	s_load_b32 s19, s[0:1], 0x1c
	v_add_nc_u32_e32 v103, -9, v68
	s_add_i32 s3, s3, s7
	v_ashrrev_i32_e32 v2, 31, v1
	v_or_b32_e32 v3, 16, v1
	s_ashr_i32 s3, s3, 4
	v_cmp_gt_i32_e32 vcc_lo, s18, v1
	s_add_i32 s3, s3, -1
	v_lshrrev_b32_e32 v2, 28, v2
	s_waitcnt lgkmcnt(0)
	s_barrier
	buffer_gl0_inv
	s_mul_i32 s15, s15, s6
	v_add_nc_u32_e32 v4, v1, v2
	v_mbcnt_lo_u32_b32 v127, -1, 0
	s_mul_i32 s20, s34, s4
	s_delay_alu instid0(SALU_CYCLE_1) | instskip(NEXT) | instid1(VALU_DEP_2)
	s_ashr_i32 s21, s20, 31
	v_ashrrev_i32_e32 v4, 4, v4
	v_add_nc_u32_e32 v2, v3, v2
	s_lshl_b64 s[20:21], s[20:21], 2
	v_xor_b32_e32 v128, 16, v127
	s_add_u32 s17, s12, s20
	v_cndmask_b32_e32 v1, s3, v4, vcc_lo
	v_ashrrev_i32_e32 v2, 4, v2
	v_cmp_gt_i32_e32 vcc_lo, s18, v3
	s_addc_u32 s13, s13, s21
	s_ashr_i32 s20, s15, 31
	s_add_u32 s4, s8, s15
	s_addc_u32 s12, s9, s20
	v_cndmask_b32_e32 v3, s3, v2, vcc_lo
	v_ashrrev_i32_e32 v2, 31, v1
	s_lshl_b32 s6, s14, 4
	s_delay_alu instid0(SALU_CYCLE_1) | instskip(NEXT) | instid1(VALU_DEP_2)
	s_ashr_i32 s7, s6, 31
	v_ashrrev_i32_e32 v4, 31, v3
	s_delay_alu instid0(VALU_DEP_2) | instskip(SKIP_1) | instid1(SALU_CYCLE_1)
	v_lshlrev_b64 v[1:2], 2, v[1:2]
	s_lshl_b64 s[6:7], s[6:7], 2
	s_add_u32 s6, s17, s6
	s_delay_alu instid0(VALU_DEP_2) | instskip(SKIP_1) | instid1(VALU_DEP_2)
	v_lshlrev_b64 v[3:4], 2, v[3:4]
	s_addc_u32 s7, s13, s7
	v_add_co_u32 v1, vcc_lo, s17, v1
	v_add_co_ci_u32_e32 v2, vcc_lo, s13, v2, vcc_lo
	s_delay_alu instid0(VALU_DEP_3) | instskip(NEXT) | instid1(VALU_DEP_4)
	v_add_co_u32 v3, vcc_lo, s17, v3
	v_add_co_ci_u32_e32 v4, vcc_lo, s13, v4, vcc_lo
	s_clause 0x1
	global_load_b32 v5, v[1:2], off
	global_load_b32 v7, v[3:4], off
	s_or_b32 s8, s16, 32
	v_lshlrev_b32_e32 v1, 4, v0
	s_ashr_i32 s9, s8, 4
	s_cmp_lt_i32 s8, s18
	v_cmp_gt_u32_e32 vcc_lo, 9, v68
	s_cselect_b32 s8, s9, s3
	v_and_b32_e32 v1, 0xf0, v1
	s_ashr_i32 s9, s8, 31
	s_delay_alu instid0(SALU_CYCLE_1)
	s_lshl_b64 s[8:9], s[8:9], 2
	v_cndmask_b32_e32 v103, v103, v68, vcc_lo
	s_add_u32 s8, s17, s8
	s_addc_u32 s9, s13, s9
	s_or_b32 s21, s16, 64
	v_add_co_u32 v1, s4, s4, v1
	s_ashr_i32 s22, s21, 4
	s_cmp_lt_i32 s21, s18
	v_add_co_ci_u32_e64 v2, null, s12, 0, s4
	s_cselect_b32 s22, s22, s3
	v_cmp_gt_i32_e32 vcc_lo, 32, v128
	s_ashr_i32 s23, s22, 31
	v_lshlrev_b32_e32 v115, 6, v103
	s_lshl_b64 s[22:23], s[22:23], 2
	v_cndmask_b32_e32 v136, v127, v128, vcc_lo
	s_add_u32 s22, s17, s22
	s_addc_u32 s23, s13, s23
	s_or_b32 s21, s16, 0x60
	s_delay_alu instid0(SALU_CYCLE_1) | instskip(SKIP_2) | instid1(SALU_CYCLE_1)
	s_ashr_i32 s24, s21, 4
	s_cmp_lt_i32 s21, s18
	s_cselect_b32 s24, s24, s3
	s_ashr_i32 s25, s24, 31
	s_delay_alu instid0(SALU_CYCLE_1) | instskip(NEXT) | instid1(SALU_CYCLE_1)
	s_lshl_b64 s[24:25], s[24:25], 2
	s_add_u32 s24, s17, s24
	s_addc_u32 s25, s13, s25
	s_or_b32 s21, s16, 0x80
	s_delay_alu instid0(SALU_CYCLE_1) | instskip(SKIP_2) | instid1(SALU_CYCLE_1)
	s_ashr_i32 s26, s21, 4
	s_cmp_lt_i32 s21, s18
	s_cselect_b32 s26, s26, s3
	s_ashr_i32 s27, s26, 31
	s_delay_alu instid0(SALU_CYCLE_1) | instskip(NEXT) | instid1(SALU_CYCLE_1)
	s_lshl_b64 s[26:27], s[26:27], 2
	;; [unrolled: 10-line block ×3, first 2 shown]
	s_add_u32 s28, s17, s28
	s_addc_u32 s29, s13, s29
	s_clause 0x5
	s_load_b32 s12, s[6:7], 0x0
	s_load_b32 s4, s[8:9], 0x0
	;; [unrolled: 1-line block ×6, first 2 shown]
	s_or_b32 s21, s16, 0xc0
	s_delay_alu instid0(SALU_CYCLE_1) | instskip(SKIP_2) | instid1(SALU_CYCLE_1)
	s_ashr_i32 s22, s21, 4
	s_cmp_lt_i32 s21, s18
	s_cselect_b32 s22, s22, s3
	s_ashr_i32 s23, s22, 31
	s_delay_alu instid0(SALU_CYCLE_1) | instskip(NEXT) | instid1(SALU_CYCLE_1)
	s_lshl_b64 s[22:23], s[22:23], 2
	s_add_u32 s22, s17, s22
	s_addc_u32 s23, s13, s23
	s_or_b32 s21, s16, 0xe0
	s_delay_alu instid0(SALU_CYCLE_1) | instskip(SKIP_2) | instid1(SALU_CYCLE_1)
	s_ashr_i32 s24, s21, 4
	s_cmp_lt_i32 s21, s18
	s_cselect_b32 s24, s24, s3
	s_ashr_i32 s25, s24, 31
	s_delay_alu instid0(SALU_CYCLE_1)
	s_lshl_b64 s[24:25], s[24:25], 2
	s_waitcnt vmcnt(1)
	v_mad_i64_i32 v[3:4], null, v5, s5, v[1:2]
	s_waitcnt vmcnt(0)
	v_mad_i64_i32 v[5:6], null, v7, s5, v[1:2]
	v_lshlrev_b32_e32 v1, 4, v68
	s_clause 0x7
	global_load_b128 v[71:74], v[3:4], off
	global_load_b128 v[75:78], v[3:4], off offset:256
	global_load_b128 v[79:82], v[5:6], off
	global_load_b128 v[83:86], v[5:6], off offset:256
	global_load_b128 v[87:90], v[3:4], off offset:512
	;; [unrolled: 1-line block ×5, first 2 shown]
	v_lshl_or_b32 v1, v69, 8, v1
	s_load_b32 s3, s[22:23], 0x0
	s_add_u32 s22, s17, s24
	s_addc_u32 s23, s13, s25
	s_add_u32 s10, s10, s15
	s_addc_u32 s11, s11, s20
	v_add_co_u32 v1, s10, s10, v1
	s_delay_alu instid0(VALU_DEP_1) | instskip(SKIP_2) | instid1(VALU_DEP_1)
	v_add_co_ci_u32_e64 v2, null, s11, 0, s10
	s_load_b32 s10, s[22:23], 0x0
	s_waitcnt lgkmcnt(0)
	v_mad_i64_i32 v[3:4], null, s12, s5, v[1:2]
	v_mad_i64_i32 v[9:10], null, s7, s5, v[1:2]
	;; [unrolled: 1-line block ×7, first 2 shown]
	s_clause 0x5
	global_load_b128 v[49:52], v[3:4], off
	global_load_b128 v[53:56], v[3:4], off offset:16
	global_load_b128 v[41:44], v[5:6], off
	global_load_b128 v[45:48], v[5:6], off offset:16
	;; [unrolled: 2-line block ×3, first 2 shown]
	s_mov_b32 s4, 0
	v_mad_i64_i32 v[61:62], null, s10, s5, v[1:2]
	s_clause 0x9
	global_load_b128 v[1:4], v[9:10], off
	global_load_b128 v[5:8], v[9:10], off offset:16
	global_load_b128 v[9:12], v[13:14], off
	global_load_b128 v[13:16], v[13:14], off offset:16
	;; [unrolled: 2-line block ×5, first 2 shown]
	s_mov_b32 s5, s4
	s_mov_b32 s6, s4
	;; [unrolled: 1-line block ×7, first 2 shown]
	v_and_b32_e32 v104, 0xe0, v0
	v_dual_mov_b32 v126, s11 :: v_dual_mov_b32 v125, s10
	v_dual_mov_b32 v124, s9 :: v_dual_mov_b32 v123, s8
	s_delay_alu instid0(VALU_DEP_3)
	v_add_nc_u32_e32 v111, s16, v104
	ds_load_b128 v[103:106], v115
	ds_load_b128 v[107:110], v115 offset:1024
	v_dual_mov_b32 v122, s7 :: v_dual_mov_b32 v121, s6
	v_mov_b32_e32 v120, s5
	v_or_b32_e32 v135, v111, v66
	ds_load_b128 v[111:114], v115 offset:2048
	ds_load_b128 v[115:118], v115 offset:3072
	v_mov_b32_e32 v119, s4
	s_waitcnt vmcnt(0) lgkmcnt(0)
	s_barrier
	v_or_b32_e32 v137, 2, v135
	v_or_b32_e32 v138, 4, v135
	;; [unrolled: 1-line block ×3, first 2 shown]
	v_cmp_gt_i32_e32 vcc_lo, s18, v135
	v_or_b32_e32 v140, 8, v135
	v_cmp_gt_i32_e64 s3, s18, v137
	v_or_b32_e32 v141, 10, v135
	v_cmp_gt_i32_e64 s4, s18, v138
	v_cmp_gt_i32_e64 s5, s18, v139
	v_or_b32_e32 v142, 12, v135
	v_or_b32_e32 v143, 14, v135
	v_cmp_gt_i32_e64 s6, s18, v140
	v_cmp_gt_i32_e64 s7, s18, v141
	v_or_b32_e32 v144, 16, v135
	v_or_b32_e32 v145, 18, v135
	v_cmp_gt_i32_e64 s8, s18, v142
	v_cmp_gt_i32_e64 s9, s18, v143
	buffer_gl0_inv
	v_cmp_gt_i32_e64 s10, s18, v144
	v_cmp_gt_i32_e64 s11, s18, v145
	v_wmma_f32_16x16x16_f16 v[127:134], v[71:78], v[103:110], v[119:126]
	v_wmma_f32_16x16x16_f16 v[119:126], v[79:86], v[103:110], v[119:126]
	v_or_b32_e32 v71, 20, v135
	v_or_b32_e32 v72, 22, v135
	s_delay_alu instid0(VALU_DEP_4)
	v_wmma_f32_16x16x16_f16 v[127:134], v[87:94], v[111:118], v[127:134]
	v_or_b32_e32 v73, 24, v135
	v_wmma_f32_16x16x16_f16 v[119:126], v[95:102], v[111:118], v[119:126]
	v_or_b32_e32 v74, 26, v135
	v_cmp_gt_i32_e64 s12, s18, v71
	v_dual_mul_f32 v83, s19, v128 :: v_dual_mul_f32 v84, s19, v127
	v_dual_mul_f32 v81, s19, v130 :: v_dual_mul_f32 v82, s19, v129
	;; [unrolled: 1-line block ×3, first 2 shown]
	s_delay_alu instid0(VALU_DEP_3) | instskip(NEXT) | instid1(VALU_DEP_4)
	v_cndmask_b32_e32 v84, 0xff7fffff, v84, vcc_lo
	v_cndmask_b32_e64 v83, 0xff7fffff, v83, s3
	v_mul_f32_e32 v80, s19, v131
	v_cndmask_b32_e64 v82, 0xff7fffff, v82, s4
	v_cndmask_b32_e64 v81, 0xff7fffff, v81, s5
	v_dual_mul_f32 v77, s19, v134 :: v_dual_mul_f32 v90, s19, v121
	v_max3_f32 v83, v84, 0xff7fffff, v83
	v_mul_f32_e32 v78, s19, v133
	v_cndmask_b32_e64 v80, 0xff7fffff, v80, s6
	v_cndmask_b32_e64 v79, 0xff7fffff, v79, s7
	v_mul_f32_e32 v91, s19, v120
	v_max3_f32 v81, v83, v82, v81
	v_cndmask_b32_e64 v78, 0xff7fffff, v78, s8
	v_cndmask_b32_e64 v77, 0xff7fffff, v77, s9
	v_mul_f32_e32 v89, s19, v122
	v_cmp_gt_i32_e64 s13, s18, v72
	v_max3_f32 v79, v81, v80, v79
	v_cndmask_b32_e64 v80, 0xff7fffff, v92, s10
	v_cndmask_b32_e64 v81, 0xff7fffff, v91, s11
	v_or_b32_e32 v75, 28, v135
	v_or_b32_e32 v76, 30, v135
	v_max3_f32 v77, v79, v78, v77
	v_dual_mul_f32 v87, s19, v124 :: v_dual_mul_f32 v88, s19, v123
	v_cndmask_b32_e64 v71, 0xff7fffff, v90, s12
	v_cndmask_b32_e64 v72, 0xff7fffff, v89, s13
	s_delay_alu instid0(VALU_DEP_4) | instskip(SKIP_3) | instid1(VALU_DEP_4)
	v_max3_f32 v77, v77, v80, v81
	v_cmp_gt_i32_e64 s15, s18, v73
	v_cmp_gt_i32_e64 s16, s18, v74
	v_dual_mul_f32 v85, s19, v126 :: v_dual_mul_f32 v86, s19, v125
	v_max3_f32 v71, v77, v71, v72
	s_delay_alu instid0(VALU_DEP_4) | instskip(NEXT) | instid1(VALU_DEP_4)
	v_cndmask_b32_e64 v73, 0xff7fffff, v88, s15
	v_cndmask_b32_e64 v74, 0xff7fffff, v87, s16
	v_cmp_gt_i32_e64 s17, s18, v75
	v_cmp_gt_i32_e64 s18, s18, v76
	s_delay_alu instid0(VALU_DEP_3) | instskip(NEXT) | instid1(VALU_DEP_3)
	v_max3_f32 v71, v71, v73, v74
	v_cndmask_b32_e64 v72, 0xff7fffff, v86, s17
	s_delay_alu instid0(VALU_DEP_3) | instskip(SKIP_1) | instid1(VALU_DEP_2)
	v_cndmask_b32_e64 v75, 0xff7fffff, v85, s18
	v_lshlrev_b32_e32 v73, 2, v136
	v_max3_f32 v71, v71, v72, v75
	ds_bpermute_b32 v72, v73, v71
	s_waitcnt lgkmcnt(0)
	v_max_f32_e32 v72, v72, v72
	s_delay_alu instid0(VALU_DEP_1) | instskip(NEXT) | instid1(VALU_DEP_1)
	v_max_f32_e32 v71, v71, v72
	v_fma_f32 v72, s19, v127, -v71
	v_fma_f32 v74, s19, v128, -v71
	;; [unrolled: 1-line block ×5, first 2 shown]
	v_mul_f32_e32 v72, 0x3fb8aa3b, v72
	s_delay_alu instid0(VALU_DEP_4) | instskip(NEXT) | instid1(VALU_DEP_4)
	v_dual_mul_f32 v74, 0x3fb8aa3b, v74 :: v_dual_mul_f32 v75, 0x3fb8aa3b, v75
	v_mul_f32_e32 v76, 0x3fb8aa3b, v76
	s_delay_alu instid0(VALU_DEP_4) | instskip(NEXT) | instid1(VALU_DEP_4)
	v_mul_f32_e32 v82, 0x3fb8aa3b, v80
	v_exp_f32_e32 v72, v72
	s_delay_alu instid0(VALU_DEP_3)
	v_exp_f32_e32 v74, v74
	v_exp_f32_e32 v75, v75
	;; [unrolled: 1-line block ×3, first 2 shown]
	v_fma_f32 v77, s19, v131, -v71
	v_exp_f32_e32 v84, v82
	v_cndmask_b32_e32 v79, 0, v72, vcc_lo
	v_cndmask_b32_e64 v78, 0, v74, s3
	s_delay_alu instid0(TRANS32_DEP_3) | instskip(SKIP_1) | instid1(TRANS32_DEP_2)
	v_cndmask_b32_e64 v81, 0, v75, s4
	v_fma_f32 v72, s19, v132, -v71
	v_cndmask_b32_e64 v80, 0, v76, s5
	v_add_f32_e32 v74, 0, v79
	s_delay_alu instid0(TRANS32_DEP_1) | instskip(SKIP_2) | instid1(VALU_DEP_4)
	v_cndmask_b32_e64 v85, 0, v84, s8
	v_cmp_gt_u32_e64 s3, 16, v70
	v_mul_f32_e32 v72, 0x3fb8aa3b, v72
	v_add_f32_e32 v74, v74, v78
	s_delay_alu instid0(VALU_DEP_2) | instskip(NEXT) | instid1(VALU_DEP_1)
	v_exp_f32_e32 v72, v72
	v_add_f32_e32 v74, v74, v81
	s_delay_alu instid0(VALU_DEP_1) | instskip(NEXT) | instid1(VALU_DEP_1)
	v_dual_mul_f32 v77, 0x3fb8aa3b, v77 :: v_dual_add_f32 v74, v74, v80
	v_exp_f32_e32 v77, v77
	s_waitcnt_depctr 0xfff
	v_cndmask_b32_e64 v82, 0, v72, s7
	v_cndmask_b32_e64 v83, 0, v77, s6
	s_delay_alu instid0(VALU_DEP_1) | instskip(SKIP_4) | instid1(VALU_DEP_4)
	v_add_f32_e32 v72, v74, v83
	v_fma_f32 v75, s19, v134, -v71
	v_fma_f32 v76, s19, v119, -v71
	;; [unrolled: 1-line block ×4, first 2 shown]
	v_dual_add_f32 v72, v72, v82 :: v_dual_mul_f32 v75, 0x3fb8aa3b, v75
	s_delay_alu instid0(VALU_DEP_3) | instskip(NEXT) | instid1(VALU_DEP_3)
	v_dual_mul_f32 v76, 0x3fb8aa3b, v76 :: v_dual_mul_f32 v77, 0x3fb8aa3b, v77
	v_mul_f32_e32 v74, 0x3fb8aa3b, v74
	v_fma_f32 v86, s19, v122, -v71
	s_delay_alu instid0(VALU_DEP_4) | instskip(NEXT) | instid1(VALU_DEP_3)
	v_exp_f32_e32 v75, v75
	v_exp_f32_e32 v76, v76
	;; [unrolled: 1-line block ×4, first 2 shown]
	v_mul_f32_e32 v86, 0x3fb8aa3b, v86
	s_delay_alu instid0(VALU_DEP_1)
	v_exp_f32_e32 v88, v86
	v_cndmask_b32_e64 v84, 0, v75, s9
	v_fma_f32 v75, s19, v123, -v71
	v_add_f32_e32 v72, v72, v85
	v_cndmask_b32_e64 v87, 0, v76, s10
	v_fma_f32 v76, s19, v124, -v71
	s_delay_alu instid0(TRANS32_DEP_3) | instskip(NEXT) | instid1(VALU_DEP_4)
	v_cndmask_b32_e64 v86, 0, v77, s11
	v_dual_mul_f32 v75, 0x3fb8aa3b, v75 :: v_dual_add_f32 v72, v72, v84
	v_fma_f32 v77, s19, v125, -v71
	s_delay_alu instid0(VALU_DEP_4) | instskip(SKIP_1) | instid1(VALU_DEP_4)
	v_mul_f32_e32 v76, 0x3fb8aa3b, v76
	v_cndmask_b32_e64 v89, 0, v74, s12
	v_exp_f32_e32 v75, v75
	v_add_f32_e32 v72, v72, v87
	v_mul_f32_e32 v74, 0x3fb8aa3b, v77
	v_exp_f32_e32 v76, v76
	v_cndmask_b32_e64 v88, 0, v88, s13
	v_fma_f32 v77, s19, v126, -v71
	v_add_f32_e32 v72, v72, v86
	v_exp_f32_e32 v74, v74
	s_delay_alu instid0(TRANS32_DEP_3) | instskip(NEXT) | instid1(VALU_DEP_2)
	v_cndmask_b32_e64 v91, 0, v75, s15
	v_add_f32_e32 v72, v72, v89
	v_mul_f32_e32 v75, 0x3fb8aa3b, v77
	s_delay_alu instid0(TRANS32_DEP_2) | instskip(NEXT) | instid1(VALU_DEP_3)
	v_cndmask_b32_e64 v90, 0, v76, s16
	v_add_f32_e32 v72, v72, v88
	s_delay_alu instid0(VALU_DEP_3) | instskip(NEXT) | instid1(TRANS32_DEP_2)
	v_exp_f32_e32 v75, v75
	v_cndmask_b32_e64 v93, 0, v74, s17
	s_delay_alu instid0(VALU_DEP_2) | instskip(NEXT) | instid1(VALU_DEP_1)
	v_add_f32_e32 v72, v72, v91
	v_add_f32_e32 v72, v72, v90
	s_waitcnt_depctr 0xfff
	v_cndmask_b32_e64 v92, 0, v75, s18
	v_add_f32_e32 v72, v72, v93
	s_delay_alu instid0(VALU_DEP_1)
	v_add_f32_e32 v72, v72, v92
	ds_bpermute_b32 v73, v73, v72
	s_and_saveexec_b32 s4, s3
	s_cbranch_execz .LBB1110_12
; %bb.11:
	v_mul_u32_u24_e32 v70, 0x44, v69
	s_waitcnt lgkmcnt(0)
	v_add_f32_e32 v72, v72, v73
	s_delay_alu instid0(VALU_DEP_2) | instskip(NEXT) | instid1(VALU_DEP_1)
	v_lshl_add_u32 v70, v68, 2, v70
	v_add_nc_u32_e32 v70, 0x4000, v70
	ds_store_2addr_b32 v70, v71, v72 offset1:136
.LBB1110_12:
	s_or_b32 exec_lo, exec_lo, s4
	v_lshlrev_b32_e32 v70, 2, v68
	s_load_b32 s36, s[0:1], 0x94
	s_waitcnt lgkmcnt(0)
	s_barrier
	buffer_gl0_inv
	v_add_nc_u32_e32 v98, 0x4000, v70
	v_cmp_eq_u32_e32 vcc_lo, 1, v69
	v_cmp_eq_u32_e64 s4, 2, v69
	v_cmp_eq_u32_e64 s5, 3, v69
	;; [unrolled: 1-line block ×3, first 2 shown]
	ds_load_2addr_b32 v[70:71], v98 offset1:17
	ds_load_2addr_b32 v[72:73], v98 offset0:34 offset1:51
	ds_load_2addr_b32 v[74:75], v98 offset0:68 offset1:85
	;; [unrolled: 1-line block ×3, first 2 shown]
	v_cmp_eq_u32_e64 s7, 5, v69
	v_cmp_eq_u32_e64 s8, 7, v69
	s_waitcnt lgkmcnt(3)
	v_max3_f32 v76, v70, 0xff7fffff, v71
	s_waitcnt lgkmcnt(2)
	s_delay_alu instid0(VALU_DEP_1) | instskip(SKIP_1) | instid1(VALU_DEP_1)
	v_max3_f32 v76, v76, v72, v73
	s_waitcnt lgkmcnt(1)
	v_max3_f32 v76, v76, v74, v75
	s_waitcnt lgkmcnt(0)
	s_delay_alu instid0(VALU_DEP_1) | instskip(NEXT) | instid1(VALU_DEP_1)
	v_max3_f32 v76, v76, v94, v95
	v_sub_f32_e32 v77, v71, v76
	ds_load_2addr_b32 v[96:97], v98 offset0:136 offset1:153
	v_sub_f32_e32 v74, v74, v76
	v_sub_f32_e32 v70, v70, v76
	v_sub_f32_e32 v94, v94, v76
	v_dual_sub_f32 v72, v72, v76 :: v_dual_mul_f32 v77, 0x3fb8aa3b, v77
	s_delay_alu instid0(VALU_DEP_4) | instskip(NEXT) | instid1(VALU_DEP_4)
	v_mul_f32_e32 v103, 0x3fb8aa3b, v74
	v_mul_f32_e32 v99, 0x3fb8aa3b, v70
	ds_load_2addr_b32 v[70:71], v98 offset0:170 offset1:187
	v_dual_mul_f32 v101, 0x3fb8aa3b, v72 :: v_dual_mul_f32 v94, 0x3fb8aa3b, v94
	v_exp_f32_e32 v102, v77
	v_exp_f32_e32 v99, v99
	s_delay_alu instid0(VALU_DEP_1) | instskip(NEXT) | instid1(VALU_DEP_1)
	v_exp_f32_e32 v101, v101
	v_exp_f32_e32 v94, v94
	s_waitcnt lgkmcnt(1)
	s_delay_alu instid0(TRANS32_DEP_3)
	v_fma_f32 v77, v99, v96, 0
	v_sub_f32_e32 v100, v73, v76
	ds_load_2addr_b32 v[72:73], v98 offset0:204 offset1:221
	v_fmac_f32_e32 v77, v102, v97
	v_exp_f32_e32 v97, v103
	s_waitcnt lgkmcnt(1)
	s_delay_alu instid0(VALU_DEP_1)
	v_dual_fmac_f32 v77, v101, v70 :: v_dual_sub_f32 v96, v75, v76
	ds_load_2addr_b32 v[74:75], v98 offset0:238 offset1:255
	v_sub_f32_e32 v70, v95, v76
	s_waitcnt lgkmcnt(0)
	s_barrier
	v_mul_f32_e32 v96, 0x3fb8aa3b, v96
	buffer_gl0_inv
	v_exp_f32_e32 v95, v96
	v_mul_f32_e32 v100, 0x3fb8aa3b, v100
	s_delay_alu instid0(VALU_DEP_1) | instskip(SKIP_3) | instid1(VALU_DEP_2)
	v_exp_f32_e32 v100, v100
	s_waitcnt_depctr 0xfff
	v_dual_fmac_f32 v77, v100, v71 :: v_dual_mul_f32 v70, 0x3fb8aa3b, v70
	v_cndmask_b32_e32 v71, v99, v102, vcc_lo
	v_fmac_f32_e32 v77, v97, v72
	s_delay_alu instid0(VALU_DEP_3) | instskip(NEXT) | instid1(VALU_DEP_1)
	v_exp_f32_e32 v96, v70
	v_fmac_f32_e32 v77, v95, v73
	s_delay_alu instid0(VALU_DEP_1) | instskip(SKIP_2) | instid1(VALU_DEP_1)
	v_fmac_f32_e32 v77, v94, v74
	s_waitcnt_depctr 0xfff
	v_fmac_f32_e32 v77, v96, v75
	v_add_f32_e32 v74, 0x358637bd, v77
	s_delay_alu instid0(VALU_DEP_1) | instskip(SKIP_1) | instid1(VALU_DEP_2)
	v_div_scale_f32 v98, null, v74, v74, 1.0
	v_div_scale_f32 v99, vcc_lo, 1.0, v74, 1.0
	v_rcp_f32_e32 v103, v98
	s_waitcnt_depctr 0xfff
	v_fma_f32 v70, -v98, v103, 1.0
	s_delay_alu instid0(VALU_DEP_1) | instskip(SKIP_2) | instid1(VALU_DEP_2)
	v_fmac_f32_e32 v103, v70, v103
	v_cndmask_b32_e64 v70, v71, v101, s4
	v_cmp_eq_u32_e64 s4, 6, v69
	v_cndmask_b32_e64 v71, v70, v100, s5
	s_delay_alu instid0(VALU_DEP_4) | instskip(NEXT) | instid1(VALU_DEP_2)
	v_dual_mul_f32 v101, v99, v103 :: v_dual_lshlrev_b32 v70, 2, v66
	v_cndmask_b32_e64 v71, v71, v97, s6
	s_delay_alu instid0(VALU_DEP_2) | instskip(NEXT) | instid1(VALU_DEP_3)
	v_or_b32_e32 v72, 1, v70
	v_fma_f32 v100, -v98, v101, v99
	v_cmp_eq_u32_e64 s5, 1, v70
	v_cmp_eq_u32_e64 s6, 2, v70
	v_cndmask_b32_e64 v95, v71, v95, s7
	v_or_b32_e32 v71, 3, v70
	v_fmac_f32_e32 v101, v100, v103
	v_cmp_eq_u32_e64 s10, 1, v72
	v_cmp_eq_u32_e64 s13, 2, v72
	v_cndmask_b32_e64 v94, v95, v94, s4
	v_cmp_eq_u32_e64 s12, 1, v71
	v_fma_f32 v97, -v98, v101, v99
	v_cmp_eq_u32_e64 s17, 2, v71
	v_cmp_eq_u32_e64 s15, 3, v72
	v_cndmask_b32_e64 v94, v94, v96, s8
	v_cmp_eq_u32_e64 s19, 3, v71
	v_div_fmas_f32 v95, v97, v103, v101
	v_cmp_eq_u32_e32 vcc_lo, 3, v70
	v_cmp_eq_u32_e64 s4, 4, v70
	v_cmp_eq_u32_e64 s20, 4, v72
	v_cmp_eq_u32_e64 s23, 4, v71
	v_div_fixup_f32 v95, v95, v74, 1.0
	v_lshlrev_b32_e32 v73, 6, v68
	v_cmp_eq_u32_e64 s7, 5, v70
	v_cmp_eq_u32_e64 s21, 5, v72
	v_cmp_eq_u32_e64 s25, 5, v71
	v_mul_f32_e32 v102, v94, v95
	v_lshl_or_b32 v75, v69, 11, v73
	v_or_b32_e32 v69, 2, v70
	v_cmp_eq_u32_e64 s26, 6, v72
	v_cmp_eq_u32_e64 s28, 6, v71
	v_fma_mixlo_f16 v94, v102, v79, 0
	v_fma_mixlo_f16 v95, v102, v81, 0
	;; [unrolled: 1-line block ×8, first 2 shown]
	v_lshl_or_b32 v74, v66, 4, v75
	v_fma_mixhi_f16 v94, v102, v78, 0
	v_fma_mixhi_f16 v95, v102, v80, 0
	;; [unrolled: 1-line block ×8, first 2 shown]
	ds_store_b128 v74, v[94:97]
	ds_store_b128 v74, v[98:101] offset:1024
	s_waitcnt lgkmcnt(0)
	s_barrier
	buffer_gl0_inv
	ds_load_b128 v[78:81], v75
	ds_load_b128 v[82:85], v75 offset:16
	ds_load_b128 v[86:89], v75 offset:1024
	;; [unrolled: 1-line block ×3, first 2 shown]
	v_cmp_eq_u32_e64 s11, 1, v69
	v_cmp_eq_u32_e64 s16, 2, v69
	;; [unrolled: 1-line block ×11, first 2 shown]
	s_waitcnt lgkmcnt(3)
	v_lshrrev_b32_e32 v94, 16, v78
	s_waitcnt lgkmcnt(2)
	v_lshrrev_b32_e32 v98, 16, v82
	;; [unrolled: 2-line block ×4, first 2 shown]
	v_lshrrev_b32_e32 v95, 16, v79
	v_cndmask_b32_e64 v110, v78, v94, s5
	v_cndmask_b32_e64 v111, v82, v98, s5
	;; [unrolled: 1-line block ×8, first 2 shown]
	v_lshrrev_b32_e32 v99, 16, v83
	v_cndmask_b32_e64 v94, v86, v102, s5
	v_cndmask_b32_e64 v98, v90, v106, s5
	;; [unrolled: 1-line block ×15, first 2 shown]
	v_lshrrev_b32_e32 v103, 16, v87
	v_lshrrev_b32_e32 v107, 16, v91
	v_cndmask_b32_e64 v113, v115, v83, s16
	v_cndmask_b32_e64 v82, v94, v87, s6
	;; [unrolled: 1-line block ×7, first 2 shown]
	v_cndmask_b32_e32 v90, v102, v95, vcc_lo
	v_cndmask_b32_e32 v102, v106, v99, vcc_lo
	v_cndmask_b32_e64 v106, v110, v95, s15
	v_cndmask_b32_e64 v110, v111, v99, s15
	;; [unrolled: 1-line block ×4, first 2 shown]
	v_lshrrev_b32_e32 v96, 16, v80
	v_lshrrev_b32_e32 v100, 16, v84
	v_cndmask_b32_e64 v111, v112, v95, s18
	v_cndmask_b32_e64 v112, v113, v99, s18
	v_cndmask_b32_e32 v82, v82, v103, vcc_lo
	v_cndmask_b32_e32 v83, v83, v107, vcc_lo
	v_cndmask_b32_e64 v94, v94, v103, s15
	v_cndmask_b32_e64 v90, v90, v80, s4
	v_cndmask_b32_e64 v95, v102, v84, s4
	v_cndmask_b32_e64 v99, v106, v80, s20
	v_cndmask_b32_e64 v102, v110, v84, s20
	v_cndmask_b32_e64 v78, v78, v80, s23
	v_cndmask_b32_e64 v79, v79, v84, s23
	v_lshrrev_b32_e32 v104, 16, v88
	v_cndmask_b32_e64 v106, v111, v80, s22
	v_cndmask_b32_e64 v110, v112, v84, s22
	;; [unrolled: 1-line block ×11, first 2 shown]
	v_lshrrev_b32_e32 v97, 16, v81
	v_lshrrev_b32_e32 v101, 16, v85
	v_cndmask_b32_e64 v99, v106, v96, s24
	v_cndmask_b32_e64 v102, v110, v100, s24
	v_cndmask_b32_e64 v83, v83, v104, s21
	v_cndmask_b32_e64 v94, v94, v81, s26
	v_cndmask_b32_e64 v95, v95, v85, s26
	v_cndmask_b32_e64 v78, v78, v81, s28
	v_cndmask_b32_e64 v79, v79, v85, s28
	v_lshrrev_b32_e32 v105, 16, v89
	v_cndmask_b32_e64 v80, v80, v104, s7
	v_cndmask_b32_e64 v84, v84, v81, s8
	;; [unrolled: 1-line block ×16, first 2 shown]
	v_perm_b32 v81, v79, v78, 0x5040100
	v_perm_b32 v79, v95, v85, 0x5040100
	v_cndmask_b32_e64 v78, v119, v91, s16
	v_cndmask_b32_e64 v85, v117, v91, s13
	;; [unrolled: 1-line block ×3, first 2 shown]
	v_perm_b32 v80, v94, v90, 0x5040100
	v_cndmask_b32_e64 v90, v98, v103, s18
	v_cndmask_b32_e64 v86, v86, v103, s19
	;; [unrolled: 1-line block ×5, first 2 shown]
	v_lshrrev_b32_e32 v108, 16, v92
	v_cndmask_b32_e64 v90, v90, v88, s22
	v_cndmask_b32_e64 v86, v86, v88, s23
	;; [unrolled: 1-line block ×11, first 2 shown]
	v_lshrrev_b32_e32 v109, 16, v93
	v_cndmask_b32_e64 v82, v82, v93, s8
	v_cndmask_b32_e64 v88, v88, v89, s27
	;; [unrolled: 1-line block ×12, first 2 shown]
	v_perm_b32 v78, v84, v83, 0x5040100
	v_perm_b32 v85, v87, v86, 0x5040100
	;; [unrolled: 1-line block ×5, first 2 shown]
	s_mul_i32 s9, s35, 9
	s_mov_b32 s4, exec_lo
	ds_store_b128 v74, v[78:81]
	ds_store_b128 v74, v[82:85] offset:1024
	v_cmpx_gt_u32_e32 9, v0
	s_cbranch_execz .LBB1110_14
; %bb.13:
	s_mul_i32 s5, s9, s34
	s_load_b128 s[16:19], s[0:1], 0x58
	v_add3_u32 v68, s5, s33, v68
	s_delay_alu instid0(VALU_DEP_1) | instskip(NEXT) | instid1(VALU_DEP_1)
	v_mad_u64_u32 v[78:79], null, v68, s36, s[14:15]
	v_ashrrev_i32_e32 v79, 31, v78
	s_delay_alu instid0(VALU_DEP_1) | instskip(SKIP_1) | instid1(VALU_DEP_1)
	v_lshlrev_b64 v[78:79], 2, v[78:79]
	s_waitcnt lgkmcnt(0)
	v_add_co_u32 v80, vcc_lo, s18, v78
	s_delay_alu instid0(VALU_DEP_2)
	v_add_co_ci_u32_e32 v81, vcc_lo, s19, v79, vcc_lo
	v_add_co_u32 v78, vcc_lo, s16, v78
	v_add_co_ci_u32_e32 v79, vcc_lo, s17, v79, vcc_lo
	global_store_b32 v[80:81], v76, off
	global_store_b32 v[78:79], v77, off
.LBB1110_14:
	s_or_b32 exec_lo, exec_lo, s4
	s_waitcnt lgkmcnt(0)
	s_waitcnt_vscnt null, 0x0
	s_barrier
	buffer_gl0_inv
	ds_load_b128 v[84:87], v73
	ds_load_b128 v[88:91], v73 offset:16
	ds_load_b128 v[96:99], v73 offset:2064
	;; [unrolled: 1-line block ×5, first 2 shown]
	v_cmp_eq_u32_e32 vcc_lo, 1, v70
	v_mov_b32_e32 v76, 0
	ds_load_b128 v[112:115], v73 offset:6160
	ds_load_b128 v[108:111], v73 offset:6144
	ds_load_b128 v[120:123], v73 offset:8208
	ds_load_b128 v[116:119], v73 offset:8192
	v_cmp_eq_u32_e64 s5, 1, v69
	v_cmp_eq_u32_e64 s4, 1, v72
	;; [unrolled: 1-line block ×3, first 2 shown]
	v_mov_b32_e32 v77, v76
	v_mov_b32_e32 v78, v76
	;; [unrolled: 1-line block ×7, first 2 shown]
	v_cmp_eq_u32_e64 s7, 3, v72
	v_cmp_eq_u32_e64 s8, 7, v72
	s_waitcnt lgkmcnt(8)
	s_delay_alu instid0(VALU_DEP_3)
	v_wmma_f32_16x16x16_f16 v[76:83], v[49:56], v[84:91], v[76:83]
	ds_load_b128 v[53:56], v73 offset:10256
	ds_load_b128 v[49:52], v73 offset:10240
	s_waitcnt lgkmcnt(8)
	v_wmma_f32_16x16x16_f16 v[76:83], v[41:48], v[92:99], v[76:83]
	ds_load_b128 v[45:48], v73 offset:12304
	ds_load_b128 v[41:44], v73 offset:12288
	s_waitcnt lgkmcnt(8)
	;; [unrolled: 4-line block ×3, first 2 shown]
	s_barrier
	buffer_gl0_inv
	v_wmma_f32_16x16x16_f16 v[76:83], v[1:8], v[108:115], v[76:83]
	s_delay_alu instid0(VALU_DEP_1) | instskip(NEXT) | instid1(VALU_DEP_1)
	v_wmma_f32_16x16x16_f16 v[76:83], v[9:16], v[116:123], v[76:83]
	v_wmma_f32_16x16x16_f16 v[76:83], v[17:24], v[49:56], v[76:83]
	s_delay_alu instid0(VALU_DEP_1) | instskip(NEXT) | instid1(VALU_DEP_1)
	v_wmma_f32_16x16x16_f16 v[76:83], v[25:32], v[41:48], v[76:83]
	v_wmma_f32_16x16x16_f16 v[76:83], v[57:64], v[33:40], v[76:83]
	s_delay_alu instid0(VALU_DEP_1) | instskip(NEXT) | instid1(VALU_DEP_2)
	v_cvt_f16_f32_e32 v1, v76
	v_cvt_f16_f32_e32 v2, v77
	s_delay_alu instid0(VALU_DEP_3) | instskip(NEXT) | instid1(VALU_DEP_4)
	v_cvt_f16_f32_e32 v3, v78
	v_cvt_f16_f32_e32 v4, v79
	;; [unrolled: 1-line block ×6, first 2 shown]
	v_pack_b32_f16 v1, v1, v2
	v_pack_b32_f16 v2, v3, v4
	;; [unrolled: 1-line block ×3, first 2 shown]
	s_delay_alu instid0(VALU_DEP_4)
	v_pack_b32_f16 v4, v7, v8
	ds_store_b128 v74, v[1:4]
	s_waitcnt lgkmcnt(0)
	s_barrier
	buffer_gl0_inv
	ds_load_b128 v[1:4], v75
	ds_load_b128 v[5:8], v75 offset:16
	s_waitcnt lgkmcnt(1)
	v_lshrrev_b32_e32 v9, 16, v1
	s_waitcnt lgkmcnt(0)
	v_lshrrev_b32_e32 v13, 16, v5
	v_lshrrev_b32_e32 v10, 16, v2
	;; [unrolled: 1-line block ×4, first 2 shown]
	v_cndmask_b32_e32 v17, v1, v9, vcc_lo
	v_cndmask_b32_e32 v18, v5, v13, vcc_lo
	v_cndmask_b32_e64 v21, v1, v9, s5
	v_cmp_eq_u32_e32 vcc_lo, 1, v71
	v_cndmask_b32_e64 v22, v5, v13, s5
	v_cmp_eq_u32_e64 s5, 2, v70
	v_cndmask_b32_e64 v19, v1, v9, s4
	v_cndmask_b32_e64 v20, v5, v13, s4
	v_cndmask_b32_e32 v1, v1, v9, vcc_lo
	v_cmp_eq_u32_e64 s4, 2, v71
	v_cndmask_b32_e32 v5, v5, v13, vcc_lo
	v_cndmask_b32_e64 v9, v17, v2, s5
	v_cmp_eq_u32_e32 vcc_lo, 3, v70
	v_cndmask_b32_e64 v13, v18, v6, s5
	v_cmp_eq_u32_e64 s5, 2, v69
	v_cndmask_b32_e64 v17, v19, v2, s6
	v_cndmask_b32_e64 v18, v20, v6, s6
	v_cmp_eq_u32_e64 s6, 3, v69
	v_cndmask_b32_e64 v1, v1, v2, s4
	v_cndmask_b32_e64 v19, v21, v2, s5
	;; [unrolled: 1-line block ×4, first 2 shown]
	v_cndmask_b32_e32 v5, v9, v10, vcc_lo
	v_cndmask_b32_e32 v6, v13, v14, vcc_lo
	v_cmp_eq_u32_e32 vcc_lo, 3, v71
	v_cndmask_b32_e64 v9, v17, v10, s7
	v_cndmask_b32_e64 v13, v18, v14, s7
	v_cndmask_b32_e64 v18, v20, v14, s6
	v_cmp_eq_u32_e64 s5, 4, v70
	v_cndmask_b32_e32 v1, v1, v10, vcc_lo
	v_cndmask_b32_e32 v2, v2, v14, vcc_lo
	v_cmp_eq_u32_e32 vcc_lo, 4, v72
	v_lshrrev_b32_e32 v15, 16, v7
	v_lshrrev_b32_e32 v16, 16, v8
	v_cndmask_b32_e64 v17, v19, v10, s6
	v_cmp_eq_u32_e64 s4, 4, v71
	v_cndmask_b32_e64 v5, v5, v3, s5
	v_cndmask_b32_e64 v6, v6, v7, s5
	v_cndmask_b32_e32 v9, v9, v3, vcc_lo
	v_cmp_eq_u32_e64 s5, 5, v72
	v_cndmask_b32_e32 v10, v13, v7, vcc_lo
	v_cmp_eq_u32_e32 vcc_lo, 4, v69
	v_cmp_eq_u32_e64 s6, 5, v70
	v_cndmask_b32_e64 v2, v2, v7, s4
	v_cndmask_b32_e64 v9, v9, v11, s5
	;; [unrolled: 1-line block ×3, first 2 shown]
	v_cndmask_b32_e32 v13, v17, v3, vcc_lo
	v_cmp_eq_u32_e64 s5, 5, v69
	v_cndmask_b32_e32 v14, v18, v7, vcc_lo
	v_cndmask_b32_e64 v1, v1, v3, s4
	v_cmp_eq_u32_e32 vcc_lo, 5, v71
	v_lshrrev_b32_e32 v12, 16, v4
	v_cndmask_b32_e64 v13, v13, v11, s5
	v_cndmask_b32_e64 v3, v14, v15, s5
	v_cmp_eq_u32_e64 s5, 6, v71
	v_cndmask_b32_e32 v1, v1, v11, vcc_lo
	v_cndmask_b32_e64 v5, v5, v11, s6
	v_cmp_eq_u32_e64 s7, 6, v70
	v_cndmask_b32_e64 v6, v6, v15, s6
	v_cmp_eq_u32_e64 s6, 6, v72
	v_cmp_eq_u32_e64 s4, 6, v69
	v_cndmask_b32_e64 v1, v1, v4, s5
	v_cndmask_b32_e32 v2, v2, v15, vcc_lo
	v_cmp_eq_u32_e32 vcc_lo, 7, v71
	v_cndmask_b32_e64 v5, v5, v4, s7
	v_cndmask_b32_e64 v9, v9, v4, s6
	;; [unrolled: 1-line block ×3, first 2 shown]
	v_cmp_eq_u32_e64 s7, 7, v70
	v_cndmask_b32_e32 v1, v1, v12, vcc_lo
	v_cndmask_b32_e64 v7, v13, v4, s4
	v_cndmask_b32_e64 v3, v3, v8, s4
	;; [unrolled: 1-line block ×3, first 2 shown]
	v_cmp_eq_u32_e64 s4, 7, v69
	v_cndmask_b32_e64 v4, v10, v8, s6
	v_cndmask_b32_e64 v5, v5, v12, s7
	;; [unrolled: 1-line block ×3, first 2 shown]
	v_cndmask_b32_e32 v2, v2, v16, vcc_lo
	v_cndmask_b32_e64 v7, v7, v12, s4
	v_cndmask_b32_e64 v3, v3, v16, s4
	;; [unrolled: 1-line block ×4, first 2 shown]
	v_cmp_gt_u32_e32 vcc_lo, 32, v0
	v_perm_b32 v4, v2, v1, 0x5040100
	v_perm_b32 v3, v3, v7, 0x5040100
	;; [unrolled: 1-line block ×4, first 2 shown]
	s_and_b32 s2, vcc_lo, s2
	ds_store_b128 v74, v[1:4]
	s_waitcnt lgkmcnt(0)
	s_barrier
	buffer_gl0_inv
	s_and_saveexec_b32 s4, s2
	s_cbranch_execz .LBB1110_2
; %bb.15:
	s_load_b64 s[4:5], s[0:1], 0x68
	v_lshlrev_b32_e32 v0, 10, v0
	v_lshlrev_b32_e32 v1, 4, v67
	s_lshl_b32 s0, s36, 6
	v_add_nc_u32_e32 v2, s33, v66
	s_mul_i32 s1, s0, s34
	s_delay_alu instid0(SALU_CYCLE_1) | instskip(SKIP_1) | instid1(VALU_DEP_2)
	s_mul_i32 s6, s1, s9
	v_and_or_b32 v0, 0x3800, v0, v1
	v_mul_lo_u32 v1, v2, s0
	s_ashr_i32 s7, s6, 31
	v_add_nc_u32_e32 v3, 2, v2
	s_lshl_b64 s[6:7], s[6:7], 1
	v_add_nc_u32_e32 v4, 4, v2
	v_add_nc_u32_e32 v5, 6, v2
	v_lshl_or_b32 v15, v66, 6, v0
	v_mul_lo_u32 v3, v3, s0
	v_ashrrev_i32_e32 v2, 31, v1
	v_mul_lo_u32 v19, v4, s0
	v_mul_lo_u32 v21, v5, s0
	s_waitcnt lgkmcnt(0)
	s_add_u32 s1, s4, s6
	s_addc_u32 s2, s5, s7
	s_lshl_b32 s4, s14, 6
	v_lshlrev_b64 v[5:6], 1, v[1:2]
	s_ashr_i32 s5, s4, 31
	v_ashrrev_i32_e32 v4, 31, v3
	s_lshl_b64 s[4:5], s[4:5], 1
	v_ashrrev_i32_e32 v20, 31, v19
	s_add_u32 s1, s1, s4
	s_addc_u32 s2, s2, s5
	v_add_co_u32 v1, s1, s1, v65
	s_delay_alu instid0(VALU_DEP_1) | instskip(SKIP_1) | instid1(VALU_DEP_3)
	v_add_co_ci_u32_e64 v2, null, s2, 0, s1
	v_lshlrev_b64 v[25:26], 1, v[3:4]
	v_add_co_u32 v23, vcc_lo, v1, v5
	s_delay_alu instid0(VALU_DEP_3)
	v_add_co_ci_u32_e32 v24, vcc_lo, v2, v6, vcc_lo
	ds_load_b128 v[3:6], v15
	ds_load_b128 v[7:10], v15 offset:128
	ds_load_b128 v[11:14], v15 offset:256
	;; [unrolled: 1-line block ×3, first 2 shown]
	v_ashrrev_i32_e32 v22, 31, v21
	v_lshlrev_b64 v[19:20], 1, v[19:20]
	v_add_co_u32 v25, vcc_lo, v1, v25
	v_add_co_ci_u32_e32 v26, vcc_lo, v2, v26, vcc_lo
	s_delay_alu instid0(VALU_DEP_4) | instskip(NEXT) | instid1(VALU_DEP_4)
	v_lshlrev_b64 v[21:22], 1, v[21:22]
	v_add_co_u32 v19, vcc_lo, v1, v19
	v_add_co_ci_u32_e32 v20, vcc_lo, v2, v20, vcc_lo
	s_delay_alu instid0(VALU_DEP_3) | instskip(NEXT) | instid1(VALU_DEP_4)
	v_add_co_u32 v21, vcc_lo, v1, v21
	v_add_co_ci_u32_e32 v22, vcc_lo, v2, v22, vcc_lo
	s_waitcnt lgkmcnt(3)
	global_store_b128 v[23:24], v[3:6], off
	s_waitcnt lgkmcnt(2)
	global_store_b128 v[25:26], v[7:10], off
	;; [unrolled: 2-line block ×4, first 2 shown]
	s_and_b32 exec_lo, exec_lo, s3
	s_cbranch_execz .LBB1110_2
; %bb.16:
	ds_load_b128 v[3:6], v0 offset:512
	s_add_i32 s1, s33, 8
	s_delay_alu instid0(SALU_CYCLE_1) | instskip(NEXT) | instid1(SALU_CYCLE_1)
	s_mul_i32 s0, s1, s0
	s_ashr_i32 s1, s0, 31
	s_delay_alu instid0(SALU_CYCLE_1) | instskip(NEXT) | instid1(SALU_CYCLE_1)
	s_lshl_b64 s[0:1], s[0:1], 1
	v_add_co_u32 v0, vcc_lo, v1, s0
	v_add_co_ci_u32_e32 v1, vcc_lo, s1, v2, vcc_lo
	s_waitcnt lgkmcnt(0)
	global_store_b128 v[0:1], v[3:6], off
	s_nop 0
	s_sendmsg sendmsg(MSG_DEALLOC_VGPRS)
	s_endpgm
	.section	.rodata,"a",@progbits
	.p2align	6, 0x0
	.amdhsa_kernel _Z39paged_attention_ll4mi_QKV_mfma16_kernelIDF16_hLN4vllm18Fp8KVCacheDataTypeE1EhLi16ELi64ELi256ELb0ELi9EL8MFMAType0EEvPKT_PKT0_S8_ifPKiSA_SA_iPKfiiiPfSD_PS3_PT2_iSC_SC_
		.amdhsa_group_segment_fixed_size 17472
		.amdhsa_private_segment_fixed_size 0
		.amdhsa_kernarg_size 400
		.amdhsa_user_sgpr_count 13
		.amdhsa_user_sgpr_dispatch_ptr 0
		.amdhsa_user_sgpr_queue_ptr 0
		.amdhsa_user_sgpr_kernarg_segment_ptr 1
		.amdhsa_user_sgpr_dispatch_id 0
		.amdhsa_user_sgpr_private_segment_size 0
		.amdhsa_wavefront_size32 1
		.amdhsa_uses_dynamic_stack 0
		.amdhsa_enable_private_segment 0
		.amdhsa_system_sgpr_workgroup_id_x 1
		.amdhsa_system_sgpr_workgroup_id_y 1
		.amdhsa_system_sgpr_workgroup_id_z 1
		.amdhsa_system_sgpr_workgroup_info 0
		.amdhsa_system_vgpr_workitem_id 0
		.amdhsa_next_free_vgpr 146
		.amdhsa_next_free_sgpr 37
		.amdhsa_reserve_vcc 1
		.amdhsa_float_round_mode_32 0
		.amdhsa_float_round_mode_16_64 0
		.amdhsa_float_denorm_mode_32 3
		.amdhsa_float_denorm_mode_16_64 3
		.amdhsa_dx10_clamp 1
		.amdhsa_ieee_mode 1
		.amdhsa_fp16_overflow 0
		.amdhsa_workgroup_processor_mode 1
		.amdhsa_memory_ordered 1
		.amdhsa_forward_progress 0
		.amdhsa_shared_vgpr_count 0
		.amdhsa_exception_fp_ieee_invalid_op 0
		.amdhsa_exception_fp_denorm_src 0
		.amdhsa_exception_fp_ieee_div_zero 0
		.amdhsa_exception_fp_ieee_overflow 0
		.amdhsa_exception_fp_ieee_underflow 0
		.amdhsa_exception_fp_ieee_inexact 0
		.amdhsa_exception_int_div_zero 0
	.end_amdhsa_kernel
	.section	.text._Z39paged_attention_ll4mi_QKV_mfma16_kernelIDF16_hLN4vllm18Fp8KVCacheDataTypeE1EhLi16ELi64ELi256ELb0ELi9EL8MFMAType0EEvPKT_PKT0_S8_ifPKiSA_SA_iPKfiiiPfSD_PS3_PT2_iSC_SC_,"axG",@progbits,_Z39paged_attention_ll4mi_QKV_mfma16_kernelIDF16_hLN4vllm18Fp8KVCacheDataTypeE1EhLi16ELi64ELi256ELb0ELi9EL8MFMAType0EEvPKT_PKT0_S8_ifPKiSA_SA_iPKfiiiPfSD_PS3_PT2_iSC_SC_,comdat
.Lfunc_end1110:
	.size	_Z39paged_attention_ll4mi_QKV_mfma16_kernelIDF16_hLN4vllm18Fp8KVCacheDataTypeE1EhLi16ELi64ELi256ELb0ELi9EL8MFMAType0EEvPKT_PKT0_S8_ifPKiSA_SA_iPKfiiiPfSD_PS3_PT2_iSC_SC_, .Lfunc_end1110-_Z39paged_attention_ll4mi_QKV_mfma16_kernelIDF16_hLN4vllm18Fp8KVCacheDataTypeE1EhLi16ELi64ELi256ELb0ELi9EL8MFMAType0EEvPKT_PKT0_S8_ifPKiSA_SA_iPKfiiiPfSD_PS3_PT2_iSC_SC_
                                        ; -- End function
	.section	.AMDGPU.csdata,"",@progbits
; Kernel info:
; codeLenInByte = 6576
; NumSgprs: 39
; NumVgprs: 146
; ScratchSize: 0
; MemoryBound: 0
; FloatMode: 240
; IeeeMode: 1
; LDSByteSize: 17472 bytes/workgroup (compile time only)
; SGPRBlocks: 4
; VGPRBlocks: 18
; NumSGPRsForWavesPerEU: 39
; NumVGPRsForWavesPerEU: 146
; Occupancy: 9
; WaveLimiterHint : 1
; COMPUTE_PGM_RSRC2:SCRATCH_EN: 0
; COMPUTE_PGM_RSRC2:USER_SGPR: 13
; COMPUTE_PGM_RSRC2:TRAP_HANDLER: 0
; COMPUTE_PGM_RSRC2:TGID_X_EN: 1
; COMPUTE_PGM_RSRC2:TGID_Y_EN: 1
; COMPUTE_PGM_RSRC2:TGID_Z_EN: 1
; COMPUTE_PGM_RSRC2:TIDIG_COMP_CNT: 0
	.section	.text._Z39paged_attention_ll4mi_QKV_mfma16_kernelIDF16_hLN4vllm18Fp8KVCacheDataTypeE1EhLi16ELi64ELi256ELb0ELi10EL8MFMAType0EEvPKT_PKT0_S8_ifPKiSA_SA_iPKfiiiPfSD_PS3_PT2_iSC_SC_,"axG",@progbits,_Z39paged_attention_ll4mi_QKV_mfma16_kernelIDF16_hLN4vllm18Fp8KVCacheDataTypeE1EhLi16ELi64ELi256ELb0ELi10EL8MFMAType0EEvPKT_PKT0_S8_ifPKiSA_SA_iPKfiiiPfSD_PS3_PT2_iSC_SC_,comdat
	.protected	_Z39paged_attention_ll4mi_QKV_mfma16_kernelIDF16_hLN4vllm18Fp8KVCacheDataTypeE1EhLi16ELi64ELi256ELb0ELi10EL8MFMAType0EEvPKT_PKT0_S8_ifPKiSA_SA_iPKfiiiPfSD_PS3_PT2_iSC_SC_ ; -- Begin function _Z39paged_attention_ll4mi_QKV_mfma16_kernelIDF16_hLN4vllm18Fp8KVCacheDataTypeE1EhLi16ELi64ELi256ELb0ELi10EL8MFMAType0EEvPKT_PKT0_S8_ifPKiSA_SA_iPKfiiiPfSD_PS3_PT2_iSC_SC_
	.globl	_Z39paged_attention_ll4mi_QKV_mfma16_kernelIDF16_hLN4vllm18Fp8KVCacheDataTypeE1EhLi16ELi64ELi256ELb0ELi10EL8MFMAType0EEvPKT_PKT0_S8_ifPKiSA_SA_iPKfiiiPfSD_PS3_PT2_iSC_SC_
	.p2align	8
	.type	_Z39paged_attention_ll4mi_QKV_mfma16_kernelIDF16_hLN4vllm18Fp8KVCacheDataTypeE1EhLi16ELi64ELi256ELb0ELi10EL8MFMAType0EEvPKT_PKT0_S8_ifPKiSA_SA_iPKfiiiPfSD_PS3_PT2_iSC_SC_,@function
_Z39paged_attention_ll4mi_QKV_mfma16_kernelIDF16_hLN4vllm18Fp8KVCacheDataTypeE1EhLi16ELi64ELi256ELb0ELi10EL8MFMAType0EEvPKT_PKT0_S8_ifPKiSA_SA_iPKfiiiPfSD_PS3_PT2_iSC_SC_: ; @_Z39paged_attention_ll4mi_QKV_mfma16_kernelIDF16_hLN4vllm18Fp8KVCacheDataTypeE1EhLi16ELi64ELi256ELb0ELi10EL8MFMAType0EEvPKT_PKT0_S8_ifPKiSA_SA_iPKfiiiPfSD_PS3_PT2_iSC_SC_
; %bb.0:
	s_load_b64 s[2:3], s[0:1], 0x30
	s_mov_b32 s34, s13
	s_waitcnt lgkmcnt(0)
	s_cmp_lg_u64 s[2:3], 0
	s_cselect_b32 s6, -1, 0
	s_ashr_i32 s35, s13, 31
	s_cmp_eq_u64 s[2:3], 0
	s_cbranch_scc1 .LBB1111_3
; %bb.1:
	s_lshl_b64 s[4:5], s[34:35], 2
	s_delay_alu instid0(SALU_CYCLE_1) | instskip(SKIP_4) | instid1(SALU_CYCLE_1)
	s_add_u32 s4, s2, s4
	s_addc_u32 s5, s3, s5
	s_load_b64 s[4:5], s[4:5], 0x0
	s_waitcnt lgkmcnt(0)
	s_sub_i32 s4, s5, s4
	s_cmp_eq_u32 s4, 1
	s_cselect_b32 s4, -1, 0
	s_delay_alu instid0(SALU_CYCLE_1)
	s_and_not1_b32 vcc_lo, exec_lo, s4
	s_cbranch_vccz .LBB1111_4
.LBB1111_2:
	s_endpgm
.LBB1111_3:
.LBB1111_4:
	s_load_b64 s[8:9], s[0:1], 0x28
	s_lshl_b64 s[4:5], s[34:35], 2
	s_waitcnt lgkmcnt(0)
	s_add_u32 s8, s8, s4
	s_addc_u32 s9, s9, s5
	s_lshl_b32 s16, s14, 8
	s_load_b32 s18, s[8:9], 0x0
	s_waitcnt lgkmcnt(0)
	s_cmp_ge_i32 s16, s18
	s_cbranch_scc1 .LBB1111_2
; %bb.5:
	s_clause 0x1
	s_load_b128 s[8:11], s[0:1], 0x8
	s_load_b64 s[12:13], s[0:1], 0x20
	s_and_not1_b32 vcc_lo, exec_lo, s6
	s_cbranch_vccnz .LBB1111_7
; %bb.6:
	s_add_u32 s2, s2, s4
	s_addc_u32 s3, s3, s5
	s_load_b32 s3, s[2:3], 0x0
	s_branch .LBB1111_8
.LBB1111_7:
	s_mov_b32 s3, s34
.LBB1111_8:
	s_load_b128 s[4:7], s[0:1], 0x48
	v_and_b32_e32 v68, 15, v0
	v_cmp_gt_u32_e32 vcc_lo, 0xa0, v0
	v_lshrrev_b32_e32 v69, 5, v0
	v_and_b32_e32 v70, 31, v0
	v_and_b32_e32 v67, 1, v0
	v_lshlrev_b32_e32 v1, 3, v68
	v_cmp_gt_u32_e64 s2, 8, v68
	v_bfe_u32 v66, v0, 4, 1
	s_mul_i32 s31, s15, 10
	s_delay_alu instid0(VALU_DEP_3) | instskip(NEXT) | instid1(VALU_DEP_3)
	v_lshlrev_b32_e32 v65, 1, v1
	s_and_b32 s17, vcc_lo, s2
	s_waitcnt lgkmcnt(0)
	s_and_saveexec_b32 s7, s17
	s_cbranch_execz .LBB1111_10
; %bb.9:
	s_load_b64 s[20:21], s[0:1], 0x0
	v_lshl_or_b32 v5, v69, 1, v66
	s_mul_hi_i32 s23, s3, s4
	s_mul_i32 s22, s3, s4
	v_lshlrev_b32_e32 v6, 10, v68
	s_lshl_b64 s[22:23], s[22:23], 1
	v_add_lshl_u32 v1, v5, s31, 6
	v_lshlrev_b32_e32 v5, 6, v5
	v_lshlrev_b32_e32 v7, 10, v67
	v_and_b32_e32 v6, 0x3800, v6
	s_delay_alu instid0(VALU_DEP_4) | instskip(NEXT) | instid1(VALU_DEP_2)
	v_ashrrev_i32_e32 v2, 31, v1
	v_or3_b32 v5, v6, v7, v5
	s_delay_alu instid0(VALU_DEP_2) | instskip(SKIP_3) | instid1(VALU_DEP_1)
	v_lshlrev_b64 v[1:2], 1, v[1:2]
	s_waitcnt lgkmcnt(0)
	s_add_u32 s3, s20, s22
	s_addc_u32 s4, s21, s23
	v_add_co_u32 v1, vcc_lo, s3, v1
	s_delay_alu instid0(VALU_DEP_2) | instskip(NEXT) | instid1(VALU_DEP_2)
	v_add_co_ci_u32_e32 v2, vcc_lo, s4, v2, vcc_lo
	v_add_co_u32 v1, vcc_lo, v1, v65
	s_delay_alu instid0(VALU_DEP_2)
	v_add_co_ci_u32_e32 v2, vcc_lo, 0, v2, vcc_lo
	global_load_b128 v[1:4], v[1:2], off
	s_waitcnt vmcnt(0)
	ds_store_b128 v5, v[1:4]
.LBB1111_10:
	s_or_b32 exec_lo, exec_lo, s7
	v_and_b32_e32 v1, 0xef, v0
	s_add_i32 s3, s18, 15
	s_clause 0x1
	s_load_b32 s4, s[0:1], 0x38
	s_load_b32 s33, s[0:1], 0x98
	s_ashr_i32 s7, s3, 31
	v_add_nc_u32_e32 v1, s16, v1
	s_lshr_b32 s7, s7, 28
	s_load_b32 s19, s[0:1], 0x1c
	v_add_nc_u32_e32 v103, -10, v68
	s_add_i32 s3, s3, s7
	v_ashrrev_i32_e32 v2, 31, v1
	v_or_b32_e32 v3, 16, v1
	s_ashr_i32 s3, s3, 4
	v_cmp_gt_i32_e32 vcc_lo, s18, v1
	s_add_i32 s3, s3, -1
	v_lshrrev_b32_e32 v2, 28, v2
	s_waitcnt lgkmcnt(0)
	s_barrier
	buffer_gl0_inv
	s_mul_i32 s15, s15, s6
	v_add_nc_u32_e32 v4, v1, v2
	v_mbcnt_lo_u32_b32 v127, -1, 0
	s_mul_i32 s20, s34, s4
	s_delay_alu instid0(SALU_CYCLE_1) | instskip(NEXT) | instid1(VALU_DEP_2)
	s_ashr_i32 s21, s20, 31
	v_ashrrev_i32_e32 v4, 4, v4
	v_add_nc_u32_e32 v2, v3, v2
	s_lshl_b64 s[20:21], s[20:21], 2
	v_xor_b32_e32 v128, 16, v127
	s_add_u32 s17, s12, s20
	v_cndmask_b32_e32 v1, s3, v4, vcc_lo
	v_ashrrev_i32_e32 v2, 4, v2
	v_cmp_gt_i32_e32 vcc_lo, s18, v3
	s_addc_u32 s13, s13, s21
	s_ashr_i32 s20, s15, 31
	s_add_u32 s4, s8, s15
	s_addc_u32 s12, s9, s20
	v_cndmask_b32_e32 v3, s3, v2, vcc_lo
	v_ashrrev_i32_e32 v2, 31, v1
	s_lshl_b32 s6, s14, 4
	s_delay_alu instid0(SALU_CYCLE_1) | instskip(NEXT) | instid1(VALU_DEP_2)
	s_ashr_i32 s7, s6, 31
	v_ashrrev_i32_e32 v4, 31, v3
	s_delay_alu instid0(VALU_DEP_2) | instskip(SKIP_1) | instid1(SALU_CYCLE_1)
	v_lshlrev_b64 v[1:2], 2, v[1:2]
	s_lshl_b64 s[6:7], s[6:7], 2
	s_add_u32 s6, s17, s6
	s_delay_alu instid0(VALU_DEP_2) | instskip(SKIP_1) | instid1(VALU_DEP_2)
	v_lshlrev_b64 v[3:4], 2, v[3:4]
	s_addc_u32 s7, s13, s7
	v_add_co_u32 v1, vcc_lo, s17, v1
	v_add_co_ci_u32_e32 v2, vcc_lo, s13, v2, vcc_lo
	s_delay_alu instid0(VALU_DEP_3) | instskip(NEXT) | instid1(VALU_DEP_4)
	v_add_co_u32 v3, vcc_lo, s17, v3
	v_add_co_ci_u32_e32 v4, vcc_lo, s13, v4, vcc_lo
	s_clause 0x1
	global_load_b32 v5, v[1:2], off
	global_load_b32 v7, v[3:4], off
	s_or_b32 s8, s16, 32
	v_lshlrev_b32_e32 v1, 4, v0
	s_ashr_i32 s9, s8, 4
	s_cmp_lt_i32 s8, s18
	v_cmp_gt_u32_e32 vcc_lo, 10, v68
	s_cselect_b32 s8, s9, s3
	v_and_b32_e32 v1, 0xf0, v1
	s_ashr_i32 s9, s8, 31
	s_delay_alu instid0(SALU_CYCLE_1)
	s_lshl_b64 s[8:9], s[8:9], 2
	v_cndmask_b32_e32 v103, v103, v68, vcc_lo
	s_add_u32 s8, s17, s8
	s_addc_u32 s9, s13, s9
	s_or_b32 s21, s16, 64
	v_add_co_u32 v1, s4, s4, v1
	s_ashr_i32 s22, s21, 4
	s_cmp_lt_i32 s21, s18
	v_add_co_ci_u32_e64 v2, null, s12, 0, s4
	s_cselect_b32 s22, s22, s3
	v_cmp_gt_i32_e32 vcc_lo, 32, v128
	s_ashr_i32 s23, s22, 31
	v_lshlrev_b32_e32 v115, 6, v103
	s_lshl_b64 s[22:23], s[22:23], 2
	v_cndmask_b32_e32 v136, v127, v128, vcc_lo
	s_add_u32 s22, s17, s22
	s_addc_u32 s23, s13, s23
	s_or_b32 s21, s16, 0x60
	s_delay_alu instid0(SALU_CYCLE_1) | instskip(SKIP_2) | instid1(SALU_CYCLE_1)
	s_ashr_i32 s24, s21, 4
	s_cmp_lt_i32 s21, s18
	s_cselect_b32 s24, s24, s3
	s_ashr_i32 s25, s24, 31
	s_delay_alu instid0(SALU_CYCLE_1) | instskip(NEXT) | instid1(SALU_CYCLE_1)
	s_lshl_b64 s[24:25], s[24:25], 2
	s_add_u32 s24, s17, s24
	s_addc_u32 s25, s13, s25
	s_or_b32 s21, s16, 0x80
	s_delay_alu instid0(SALU_CYCLE_1) | instskip(SKIP_2) | instid1(SALU_CYCLE_1)
	s_ashr_i32 s26, s21, 4
	s_cmp_lt_i32 s21, s18
	s_cselect_b32 s26, s26, s3
	s_ashr_i32 s27, s26, 31
	s_delay_alu instid0(SALU_CYCLE_1) | instskip(NEXT) | instid1(SALU_CYCLE_1)
	s_lshl_b64 s[26:27], s[26:27], 2
	;; [unrolled: 10-line block ×3, first 2 shown]
	s_add_u32 s28, s17, s28
	s_addc_u32 s29, s13, s29
	s_clause 0x5
	s_load_b32 s12, s[6:7], 0x0
	s_load_b32 s4, s[8:9], 0x0
	;; [unrolled: 1-line block ×6, first 2 shown]
	s_or_b32 s21, s16, 0xc0
	s_delay_alu instid0(SALU_CYCLE_1) | instskip(SKIP_2) | instid1(SALU_CYCLE_1)
	s_ashr_i32 s22, s21, 4
	s_cmp_lt_i32 s21, s18
	s_cselect_b32 s22, s22, s3
	s_ashr_i32 s23, s22, 31
	s_delay_alu instid0(SALU_CYCLE_1) | instskip(NEXT) | instid1(SALU_CYCLE_1)
	s_lshl_b64 s[22:23], s[22:23], 2
	s_add_u32 s22, s17, s22
	s_addc_u32 s23, s13, s23
	s_or_b32 s21, s16, 0xe0
	s_delay_alu instid0(SALU_CYCLE_1) | instskip(SKIP_2) | instid1(SALU_CYCLE_1)
	s_ashr_i32 s24, s21, 4
	s_cmp_lt_i32 s21, s18
	s_cselect_b32 s24, s24, s3
	s_ashr_i32 s25, s24, 31
	s_delay_alu instid0(SALU_CYCLE_1)
	s_lshl_b64 s[24:25], s[24:25], 2
	s_waitcnt vmcnt(1)
	v_mad_i64_i32 v[3:4], null, v5, s5, v[1:2]
	s_waitcnt vmcnt(0)
	v_mad_i64_i32 v[5:6], null, v7, s5, v[1:2]
	v_lshlrev_b32_e32 v1, 4, v68
	s_clause 0x7
	global_load_b128 v[71:74], v[3:4], off
	global_load_b128 v[75:78], v[3:4], off offset:256
	global_load_b128 v[79:82], v[5:6], off
	global_load_b128 v[83:86], v[5:6], off offset:256
	global_load_b128 v[87:90], v[3:4], off offset:512
	;; [unrolled: 1-line block ×5, first 2 shown]
	v_lshl_or_b32 v1, v69, 8, v1
	s_load_b32 s3, s[22:23], 0x0
	s_add_u32 s22, s17, s24
	s_addc_u32 s23, s13, s25
	s_add_u32 s10, s10, s15
	s_addc_u32 s11, s11, s20
	v_add_co_u32 v1, s10, s10, v1
	s_delay_alu instid0(VALU_DEP_1) | instskip(SKIP_2) | instid1(VALU_DEP_1)
	v_add_co_ci_u32_e64 v2, null, s11, 0, s10
	s_load_b32 s10, s[22:23], 0x0
	s_waitcnt lgkmcnt(0)
	v_mad_i64_i32 v[3:4], null, s12, s5, v[1:2]
	v_mad_i64_i32 v[9:10], null, s7, s5, v[1:2]
	;; [unrolled: 1-line block ×7, first 2 shown]
	s_clause 0x5
	global_load_b128 v[49:52], v[3:4], off
	global_load_b128 v[53:56], v[3:4], off offset:16
	global_load_b128 v[41:44], v[5:6], off
	global_load_b128 v[45:48], v[5:6], off offset:16
	;; [unrolled: 2-line block ×3, first 2 shown]
	s_mov_b32 s4, 0
	v_mad_i64_i32 v[61:62], null, s10, s5, v[1:2]
	s_clause 0x9
	global_load_b128 v[1:4], v[9:10], off
	global_load_b128 v[5:8], v[9:10], off offset:16
	global_load_b128 v[9:12], v[13:14], off
	global_load_b128 v[13:16], v[13:14], off offset:16
	;; [unrolled: 2-line block ×5, first 2 shown]
	s_mov_b32 s5, s4
	s_mov_b32 s6, s4
	;; [unrolled: 1-line block ×7, first 2 shown]
	v_and_b32_e32 v104, 0xe0, v0
	v_dual_mov_b32 v126, s11 :: v_dual_mov_b32 v125, s10
	v_dual_mov_b32 v124, s9 :: v_dual_mov_b32 v123, s8
	s_delay_alu instid0(VALU_DEP_3)
	v_add_nc_u32_e32 v111, s16, v104
	ds_load_b128 v[103:106], v115
	ds_load_b128 v[107:110], v115 offset:1024
	v_dual_mov_b32 v122, s7 :: v_dual_mov_b32 v121, s6
	v_mov_b32_e32 v120, s5
	v_or_b32_e32 v135, v111, v66
	ds_load_b128 v[111:114], v115 offset:2048
	ds_load_b128 v[115:118], v115 offset:3072
	v_mov_b32_e32 v119, s4
	s_waitcnt vmcnt(0) lgkmcnt(0)
	s_barrier
	v_or_b32_e32 v137, 2, v135
	v_or_b32_e32 v138, 4, v135
	;; [unrolled: 1-line block ×3, first 2 shown]
	v_cmp_gt_i32_e32 vcc_lo, s18, v135
	v_or_b32_e32 v140, 8, v135
	v_cmp_gt_i32_e64 s3, s18, v137
	v_or_b32_e32 v141, 10, v135
	v_cmp_gt_i32_e64 s4, s18, v138
	v_cmp_gt_i32_e64 s5, s18, v139
	v_or_b32_e32 v142, 12, v135
	v_or_b32_e32 v143, 14, v135
	v_cmp_gt_i32_e64 s6, s18, v140
	v_cmp_gt_i32_e64 s7, s18, v141
	v_or_b32_e32 v144, 16, v135
	v_or_b32_e32 v145, 18, v135
	v_cmp_gt_i32_e64 s8, s18, v142
	v_cmp_gt_i32_e64 s9, s18, v143
	buffer_gl0_inv
	v_cmp_gt_i32_e64 s10, s18, v144
	v_cmp_gt_i32_e64 s11, s18, v145
	v_wmma_f32_16x16x16_f16 v[127:134], v[71:78], v[103:110], v[119:126]
	v_wmma_f32_16x16x16_f16 v[119:126], v[79:86], v[103:110], v[119:126]
	v_or_b32_e32 v71, 20, v135
	v_or_b32_e32 v72, 22, v135
	s_delay_alu instid0(VALU_DEP_4)
	v_wmma_f32_16x16x16_f16 v[127:134], v[87:94], v[111:118], v[127:134]
	v_or_b32_e32 v73, 24, v135
	v_wmma_f32_16x16x16_f16 v[119:126], v[95:102], v[111:118], v[119:126]
	v_or_b32_e32 v74, 26, v135
	v_cmp_gt_i32_e64 s12, s18, v71
	v_dual_mul_f32 v83, s19, v128 :: v_dual_mul_f32 v84, s19, v127
	v_dual_mul_f32 v81, s19, v130 :: v_dual_mul_f32 v82, s19, v129
	;; [unrolled: 1-line block ×3, first 2 shown]
	s_delay_alu instid0(VALU_DEP_3) | instskip(NEXT) | instid1(VALU_DEP_4)
	v_cndmask_b32_e32 v84, 0xff7fffff, v84, vcc_lo
	v_cndmask_b32_e64 v83, 0xff7fffff, v83, s3
	v_mul_f32_e32 v80, s19, v131
	v_cndmask_b32_e64 v82, 0xff7fffff, v82, s4
	v_cndmask_b32_e64 v81, 0xff7fffff, v81, s5
	v_dual_mul_f32 v77, s19, v134 :: v_dual_mul_f32 v90, s19, v121
	v_max3_f32 v83, v84, 0xff7fffff, v83
	v_mul_f32_e32 v78, s19, v133
	v_cndmask_b32_e64 v80, 0xff7fffff, v80, s6
	v_cndmask_b32_e64 v79, 0xff7fffff, v79, s7
	v_mul_f32_e32 v91, s19, v120
	v_max3_f32 v81, v83, v82, v81
	v_cndmask_b32_e64 v78, 0xff7fffff, v78, s8
	v_cndmask_b32_e64 v77, 0xff7fffff, v77, s9
	v_mul_f32_e32 v89, s19, v122
	v_cmp_gt_i32_e64 s13, s18, v72
	v_max3_f32 v79, v81, v80, v79
	v_cndmask_b32_e64 v80, 0xff7fffff, v92, s10
	v_cndmask_b32_e64 v81, 0xff7fffff, v91, s11
	v_or_b32_e32 v75, 28, v135
	v_or_b32_e32 v76, 30, v135
	v_max3_f32 v77, v79, v78, v77
	v_dual_mul_f32 v87, s19, v124 :: v_dual_mul_f32 v88, s19, v123
	v_cndmask_b32_e64 v71, 0xff7fffff, v90, s12
	v_cndmask_b32_e64 v72, 0xff7fffff, v89, s13
	s_delay_alu instid0(VALU_DEP_4) | instskip(SKIP_3) | instid1(VALU_DEP_4)
	v_max3_f32 v77, v77, v80, v81
	v_cmp_gt_i32_e64 s15, s18, v73
	v_cmp_gt_i32_e64 s16, s18, v74
	v_dual_mul_f32 v85, s19, v126 :: v_dual_mul_f32 v86, s19, v125
	v_max3_f32 v71, v77, v71, v72
	s_delay_alu instid0(VALU_DEP_4) | instskip(NEXT) | instid1(VALU_DEP_4)
	v_cndmask_b32_e64 v73, 0xff7fffff, v88, s15
	v_cndmask_b32_e64 v74, 0xff7fffff, v87, s16
	v_cmp_gt_i32_e64 s17, s18, v75
	v_cmp_gt_i32_e64 s18, s18, v76
	s_delay_alu instid0(VALU_DEP_3) | instskip(NEXT) | instid1(VALU_DEP_3)
	v_max3_f32 v71, v71, v73, v74
	v_cndmask_b32_e64 v72, 0xff7fffff, v86, s17
	s_delay_alu instid0(VALU_DEP_3) | instskip(SKIP_1) | instid1(VALU_DEP_2)
	v_cndmask_b32_e64 v75, 0xff7fffff, v85, s18
	v_lshlrev_b32_e32 v73, 2, v136
	v_max3_f32 v71, v71, v72, v75
	ds_bpermute_b32 v72, v73, v71
	s_waitcnt lgkmcnt(0)
	v_max_f32_e32 v72, v72, v72
	s_delay_alu instid0(VALU_DEP_1) | instskip(NEXT) | instid1(VALU_DEP_1)
	v_max_f32_e32 v71, v71, v72
	v_fma_f32 v72, s19, v127, -v71
	v_fma_f32 v74, s19, v128, -v71
	;; [unrolled: 1-line block ×5, first 2 shown]
	v_mul_f32_e32 v72, 0x3fb8aa3b, v72
	s_delay_alu instid0(VALU_DEP_4) | instskip(NEXT) | instid1(VALU_DEP_4)
	v_dual_mul_f32 v74, 0x3fb8aa3b, v74 :: v_dual_mul_f32 v75, 0x3fb8aa3b, v75
	v_mul_f32_e32 v76, 0x3fb8aa3b, v76
	s_delay_alu instid0(VALU_DEP_4) | instskip(NEXT) | instid1(VALU_DEP_4)
	v_mul_f32_e32 v82, 0x3fb8aa3b, v80
	v_exp_f32_e32 v72, v72
	s_delay_alu instid0(VALU_DEP_3)
	v_exp_f32_e32 v74, v74
	v_exp_f32_e32 v75, v75
	;; [unrolled: 1-line block ×3, first 2 shown]
	v_fma_f32 v77, s19, v131, -v71
	v_exp_f32_e32 v84, v82
	v_cndmask_b32_e32 v79, 0, v72, vcc_lo
	v_cndmask_b32_e64 v78, 0, v74, s3
	s_delay_alu instid0(TRANS32_DEP_3) | instskip(SKIP_1) | instid1(TRANS32_DEP_2)
	v_cndmask_b32_e64 v81, 0, v75, s4
	v_fma_f32 v72, s19, v132, -v71
	v_cndmask_b32_e64 v80, 0, v76, s5
	v_add_f32_e32 v74, 0, v79
	s_delay_alu instid0(TRANS32_DEP_1) | instskip(SKIP_2) | instid1(VALU_DEP_3)
	v_cndmask_b32_e64 v85, 0, v84, s8
	s_mov_b32 s3, exec_lo
	v_mul_f32_e32 v72, 0x3fb8aa3b, v72
	v_add_f32_e32 v74, v74, v78
	s_delay_alu instid0(VALU_DEP_2) | instskip(NEXT) | instid1(VALU_DEP_1)
	v_exp_f32_e32 v72, v72
	v_add_f32_e32 v74, v74, v81
	s_delay_alu instid0(VALU_DEP_1) | instskip(NEXT) | instid1(VALU_DEP_1)
	v_dual_mul_f32 v77, 0x3fb8aa3b, v77 :: v_dual_add_f32 v74, v74, v80
	v_exp_f32_e32 v77, v77
	s_waitcnt_depctr 0xfff
	v_cndmask_b32_e64 v82, 0, v72, s7
	v_cndmask_b32_e64 v83, 0, v77, s6
	s_delay_alu instid0(VALU_DEP_1) | instskip(SKIP_4) | instid1(VALU_DEP_4)
	v_add_f32_e32 v72, v74, v83
	v_fma_f32 v75, s19, v134, -v71
	v_fma_f32 v76, s19, v119, -v71
	;; [unrolled: 1-line block ×4, first 2 shown]
	v_dual_add_f32 v72, v72, v82 :: v_dual_mul_f32 v75, 0x3fb8aa3b, v75
	s_delay_alu instid0(VALU_DEP_3) | instskip(NEXT) | instid1(VALU_DEP_3)
	v_dual_mul_f32 v76, 0x3fb8aa3b, v76 :: v_dual_mul_f32 v77, 0x3fb8aa3b, v77
	v_mul_f32_e32 v74, 0x3fb8aa3b, v74
	v_fma_f32 v86, s19, v122, -v71
	s_delay_alu instid0(VALU_DEP_4) | instskip(NEXT) | instid1(VALU_DEP_3)
	v_exp_f32_e32 v75, v75
	v_exp_f32_e32 v76, v76
	;; [unrolled: 1-line block ×4, first 2 shown]
	v_mul_f32_e32 v86, 0x3fb8aa3b, v86
	s_delay_alu instid0(VALU_DEP_1)
	v_exp_f32_e32 v88, v86
	v_cndmask_b32_e64 v84, 0, v75, s9
	v_fma_f32 v75, s19, v123, -v71
	v_add_f32_e32 v72, v72, v85
	v_cndmask_b32_e64 v87, 0, v76, s10
	v_fma_f32 v76, s19, v124, -v71
	s_delay_alu instid0(TRANS32_DEP_3) | instskip(NEXT) | instid1(VALU_DEP_4)
	v_cndmask_b32_e64 v86, 0, v77, s11
	v_dual_mul_f32 v75, 0x3fb8aa3b, v75 :: v_dual_add_f32 v72, v72, v84
	v_fma_f32 v77, s19, v125, -v71
	s_delay_alu instid0(VALU_DEP_4) | instskip(SKIP_1) | instid1(VALU_DEP_4)
	v_mul_f32_e32 v76, 0x3fb8aa3b, v76
	v_cndmask_b32_e64 v89, 0, v74, s12
	v_exp_f32_e32 v75, v75
	v_add_f32_e32 v72, v72, v87
	v_mul_f32_e32 v74, 0x3fb8aa3b, v77
	v_exp_f32_e32 v76, v76
	v_cndmask_b32_e64 v88, 0, v88, s13
	v_fma_f32 v77, s19, v126, -v71
	v_add_f32_e32 v72, v72, v86
	v_exp_f32_e32 v74, v74
	s_delay_alu instid0(TRANS32_DEP_3) | instskip(NEXT) | instid1(VALU_DEP_2)
	v_cndmask_b32_e64 v91, 0, v75, s15
	v_add_f32_e32 v72, v72, v89
	v_mul_f32_e32 v75, 0x3fb8aa3b, v77
	s_delay_alu instid0(TRANS32_DEP_2) | instskip(NEXT) | instid1(VALU_DEP_3)
	v_cndmask_b32_e64 v90, 0, v76, s16
	v_add_f32_e32 v72, v72, v88
	s_delay_alu instid0(VALU_DEP_3) | instskip(NEXT) | instid1(TRANS32_DEP_2)
	v_exp_f32_e32 v75, v75
	v_cndmask_b32_e64 v93, 0, v74, s17
	s_delay_alu instid0(VALU_DEP_2) | instskip(NEXT) | instid1(VALU_DEP_1)
	v_add_f32_e32 v72, v72, v91
	v_add_f32_e32 v72, v72, v90
	s_waitcnt_depctr 0xfff
	v_cndmask_b32_e64 v92, 0, v75, s18
	v_add_f32_e32 v72, v72, v93
	s_delay_alu instid0(VALU_DEP_1)
	v_add_f32_e32 v72, v72, v92
	ds_bpermute_b32 v73, v73, v72
	v_cmpx_gt_u32_e32 16, v70
	s_cbranch_execz .LBB1111_12
; %bb.11:
	v_mul_u32_u24_e32 v70, 0x44, v69
	s_waitcnt lgkmcnt(0)
	v_add_f32_e32 v72, v72, v73
	s_delay_alu instid0(VALU_DEP_2) | instskip(NEXT) | instid1(VALU_DEP_1)
	v_lshl_add_u32 v70, v68, 2, v70
	v_add_nc_u32_e32 v70, 0x4000, v70
	ds_store_2addr_b32 v70, v71, v72 offset1:136
.LBB1111_12:
	s_or_b32 exec_lo, exec_lo, s3
	v_lshlrev_b32_e32 v70, 2, v68
	s_load_b32 s35, s[0:1], 0x94
	s_waitcnt lgkmcnt(0)
	s_barrier
	buffer_gl0_inv
	v_add_nc_u32_e32 v98, 0x4000, v70
	v_cmp_eq_u32_e32 vcc_lo, 1, v69
	v_cmp_eq_u32_e64 s3, 2, v69
	v_cmp_eq_u32_e64 s4, 3, v69
	;; [unrolled: 1-line block ×3, first 2 shown]
	ds_load_2addr_b32 v[70:71], v98 offset1:17
	ds_load_2addr_b32 v[72:73], v98 offset0:34 offset1:51
	ds_load_2addr_b32 v[74:75], v98 offset0:68 offset1:85
	;; [unrolled: 1-line block ×3, first 2 shown]
	v_cmp_eq_u32_e64 s6, 5, v69
	v_cmp_eq_u32_e64 s7, 7, v69
	s_waitcnt lgkmcnt(3)
	v_max3_f32 v76, v70, 0xff7fffff, v71
	s_waitcnt lgkmcnt(2)
	s_delay_alu instid0(VALU_DEP_1) | instskip(SKIP_1) | instid1(VALU_DEP_1)
	v_max3_f32 v76, v76, v72, v73
	s_waitcnt lgkmcnt(1)
	v_max3_f32 v76, v76, v74, v75
	s_waitcnt lgkmcnt(0)
	s_delay_alu instid0(VALU_DEP_1) | instskip(NEXT) | instid1(VALU_DEP_1)
	v_max3_f32 v76, v76, v94, v95
	v_sub_f32_e32 v77, v71, v76
	ds_load_2addr_b32 v[96:97], v98 offset0:136 offset1:153
	v_sub_f32_e32 v74, v74, v76
	v_sub_f32_e32 v70, v70, v76
	;; [unrolled: 1-line block ×3, first 2 shown]
	v_dual_sub_f32 v72, v72, v76 :: v_dual_mul_f32 v77, 0x3fb8aa3b, v77
	s_delay_alu instid0(VALU_DEP_4) | instskip(NEXT) | instid1(VALU_DEP_4)
	v_mul_f32_e32 v103, 0x3fb8aa3b, v74
	v_mul_f32_e32 v99, 0x3fb8aa3b, v70
	ds_load_2addr_b32 v[70:71], v98 offset0:170 offset1:187
	v_dual_mul_f32 v101, 0x3fb8aa3b, v72 :: v_dual_mul_f32 v94, 0x3fb8aa3b, v94
	v_exp_f32_e32 v102, v77
	v_exp_f32_e32 v99, v99
	s_delay_alu instid0(VALU_DEP_1) | instskip(NEXT) | instid1(VALU_DEP_1)
	v_exp_f32_e32 v101, v101
	v_exp_f32_e32 v94, v94
	s_waitcnt lgkmcnt(1)
	s_delay_alu instid0(TRANS32_DEP_3)
	v_fma_f32 v77, v99, v96, 0
	v_sub_f32_e32 v100, v73, v76
	ds_load_2addr_b32 v[72:73], v98 offset0:204 offset1:221
	v_fmac_f32_e32 v77, v102, v97
	v_exp_f32_e32 v97, v103
	s_waitcnt lgkmcnt(1)
	s_delay_alu instid0(VALU_DEP_1)
	v_dual_fmac_f32 v77, v101, v70 :: v_dual_sub_f32 v96, v75, v76
	ds_load_2addr_b32 v[74:75], v98 offset0:238 offset1:255
	v_sub_f32_e32 v70, v95, v76
	s_waitcnt lgkmcnt(0)
	s_barrier
	v_mul_f32_e32 v96, 0x3fb8aa3b, v96
	buffer_gl0_inv
	v_exp_f32_e32 v95, v96
	v_mul_f32_e32 v100, 0x3fb8aa3b, v100
	s_delay_alu instid0(VALU_DEP_1) | instskip(SKIP_3) | instid1(VALU_DEP_2)
	v_exp_f32_e32 v100, v100
	s_waitcnt_depctr 0xfff
	v_dual_fmac_f32 v77, v100, v71 :: v_dual_mul_f32 v70, 0x3fb8aa3b, v70
	v_cndmask_b32_e32 v71, v99, v102, vcc_lo
	v_fmac_f32_e32 v77, v97, v72
	s_delay_alu instid0(VALU_DEP_3) | instskip(NEXT) | instid1(VALU_DEP_1)
	v_exp_f32_e32 v96, v70
	v_fmac_f32_e32 v77, v95, v73
	s_delay_alu instid0(VALU_DEP_1) | instskip(SKIP_2) | instid1(VALU_DEP_1)
	v_fmac_f32_e32 v77, v94, v74
	s_waitcnt_depctr 0xfff
	v_fmac_f32_e32 v77, v96, v75
	v_add_f32_e32 v74, 0x358637bd, v77
	s_delay_alu instid0(VALU_DEP_1) | instskip(SKIP_1) | instid1(VALU_DEP_2)
	v_div_scale_f32 v98, null, v74, v74, 1.0
	v_div_scale_f32 v99, vcc_lo, 1.0, v74, 1.0
	v_rcp_f32_e32 v103, v98
	s_waitcnt_depctr 0xfff
	v_fma_f32 v70, -v98, v103, 1.0
	s_delay_alu instid0(VALU_DEP_1) | instskip(SKIP_2) | instid1(VALU_DEP_2)
	v_fmac_f32_e32 v103, v70, v103
	v_cndmask_b32_e64 v70, v71, v101, s3
	v_cmp_eq_u32_e64 s3, 6, v69
	v_cndmask_b32_e64 v71, v70, v100, s4
	s_delay_alu instid0(VALU_DEP_4) | instskip(NEXT) | instid1(VALU_DEP_2)
	v_dual_mul_f32 v101, v99, v103 :: v_dual_lshlrev_b32 v70, 2, v66
	v_cndmask_b32_e64 v71, v71, v97, s5
	s_delay_alu instid0(VALU_DEP_2) | instskip(NEXT) | instid1(VALU_DEP_3)
	v_or_b32_e32 v72, 1, v70
	v_fma_f32 v100, -v98, v101, v99
	v_cmp_eq_u32_e64 s4, 1, v70
	v_cmp_eq_u32_e64 s5, 2, v70
	v_cndmask_b32_e64 v95, v71, v95, s6
	v_or_b32_e32 v71, 3, v70
	v_fmac_f32_e32 v101, v100, v103
	v_cmp_eq_u32_e64 s9, 1, v72
	v_cmp_eq_u32_e64 s12, 2, v72
	v_cndmask_b32_e64 v94, v95, v94, s3
	v_cmp_eq_u32_e64 s11, 1, v71
	v_fma_f32 v97, -v98, v101, v99
	v_cmp_eq_u32_e64 s16, 2, v71
	v_cmp_eq_u32_e64 s13, 3, v72
	v_cndmask_b32_e64 v94, v94, v96, s7
	v_cmp_eq_u32_e64 s18, 3, v71
	v_div_fmas_f32 v95, v97, v103, v101
	v_cmp_eq_u32_e32 vcc_lo, 3, v70
	v_cmp_eq_u32_e64 s3, 4, v70
	v_cmp_eq_u32_e64 s19, 4, v72
	;; [unrolled: 1-line block ×3, first 2 shown]
	v_div_fixup_f32 v95, v95, v74, 1.0
	v_lshlrev_b32_e32 v73, 6, v68
	v_cmp_eq_u32_e64 s6, 5, v70
	v_cmp_eq_u32_e64 s20, 5, v72
	;; [unrolled: 1-line block ×3, first 2 shown]
	v_mul_f32_e32 v102, v94, v95
	v_lshl_or_b32 v75, v69, 11, v73
	v_or_b32_e32 v69, 2, v70
	v_cmp_eq_u32_e64 s25, 6, v72
	v_cmp_eq_u32_e64 s27, 6, v71
	v_fma_mixlo_f16 v94, v102, v79, 0
	v_fma_mixlo_f16 v95, v102, v81, 0
	;; [unrolled: 1-line block ×8, first 2 shown]
	v_lshl_or_b32 v74, v66, 4, v75
	v_fma_mixhi_f16 v94, v102, v78, 0
	v_fma_mixhi_f16 v95, v102, v80, 0
	;; [unrolled: 1-line block ×8, first 2 shown]
	ds_store_b128 v74, v[94:97]
	ds_store_b128 v74, v[98:101] offset:1024
	s_waitcnt lgkmcnt(0)
	s_barrier
	buffer_gl0_inv
	ds_load_b128 v[78:81], v75
	ds_load_b128 v[82:85], v75 offset:16
	ds_load_b128 v[86:89], v75 offset:1024
	;; [unrolled: 1-line block ×3, first 2 shown]
	v_cmp_eq_u32_e64 s10, 1, v69
	v_cmp_eq_u32_e64 s15, 2, v69
	;; [unrolled: 1-line block ×11, first 2 shown]
	s_waitcnt lgkmcnt(3)
	v_lshrrev_b32_e32 v94, 16, v78
	s_waitcnt lgkmcnt(2)
	v_lshrrev_b32_e32 v98, 16, v82
	;; [unrolled: 2-line block ×4, first 2 shown]
	v_lshrrev_b32_e32 v95, 16, v79
	v_cndmask_b32_e64 v110, v78, v94, s4
	v_cndmask_b32_e64 v111, v82, v98, s4
	;; [unrolled: 1-line block ×8, first 2 shown]
	v_lshrrev_b32_e32 v99, 16, v83
	v_cndmask_b32_e64 v94, v86, v102, s4
	v_cndmask_b32_e64 v98, v90, v106, s4
	;; [unrolled: 1-line block ×15, first 2 shown]
	v_lshrrev_b32_e32 v103, 16, v87
	v_lshrrev_b32_e32 v107, 16, v91
	v_cndmask_b32_e64 v113, v115, v83, s15
	v_cndmask_b32_e64 v82, v94, v87, s5
	;; [unrolled: 1-line block ×7, first 2 shown]
	v_cndmask_b32_e32 v90, v102, v95, vcc_lo
	v_cndmask_b32_e32 v102, v106, v99, vcc_lo
	v_cndmask_b32_e64 v106, v110, v95, s13
	v_cndmask_b32_e64 v110, v111, v99, s13
	;; [unrolled: 1-line block ×4, first 2 shown]
	v_lshrrev_b32_e32 v96, 16, v80
	v_lshrrev_b32_e32 v100, 16, v84
	v_cndmask_b32_e64 v111, v112, v95, s17
	v_cndmask_b32_e64 v112, v113, v99, s17
	v_cndmask_b32_e32 v82, v82, v103, vcc_lo
	v_cndmask_b32_e32 v83, v83, v107, vcc_lo
	v_cndmask_b32_e64 v94, v94, v103, s13
	v_cndmask_b32_e64 v90, v90, v80, s3
	;; [unrolled: 1-line block ×7, first 2 shown]
	v_lshrrev_b32_e32 v104, 16, v88
	v_cndmask_b32_e64 v106, v111, v80, s21
	v_cndmask_b32_e64 v110, v112, v84, s21
	;; [unrolled: 1-line block ×11, first 2 shown]
	v_lshrrev_b32_e32 v97, 16, v81
	v_lshrrev_b32_e32 v101, 16, v85
	v_cndmask_b32_e64 v99, v106, v96, s23
	v_cndmask_b32_e64 v102, v110, v100, s23
	;; [unrolled: 1-line block ×7, first 2 shown]
	v_lshrrev_b32_e32 v105, 16, v89
	v_cndmask_b32_e64 v80, v80, v104, s6
	v_cndmask_b32_e64 v84, v84, v81, s7
	;; [unrolled: 1-line block ×16, first 2 shown]
	v_perm_b32 v81, v79, v78, 0x5040100
	v_perm_b32 v79, v95, v85, 0x5040100
	v_cndmask_b32_e64 v78, v119, v91, s15
	v_cndmask_b32_e64 v85, v117, v91, s12
	;; [unrolled: 1-line block ×3, first 2 shown]
	v_perm_b32 v80, v94, v90, 0x5040100
	v_cndmask_b32_e64 v90, v98, v103, s17
	v_cndmask_b32_e64 v86, v86, v103, s18
	;; [unrolled: 1-line block ×5, first 2 shown]
	v_lshrrev_b32_e32 v108, 16, v92
	v_cndmask_b32_e64 v90, v90, v88, s21
	v_cndmask_b32_e64 v86, v86, v88, s22
	;; [unrolled: 1-line block ×11, first 2 shown]
	v_lshrrev_b32_e32 v109, 16, v93
	v_cndmask_b32_e64 v82, v82, v93, s7
	v_cndmask_b32_e64 v88, v88, v89, s26
	;; [unrolled: 1-line block ×12, first 2 shown]
	v_perm_b32 v78, v84, v83, 0x5040100
	v_perm_b32 v85, v87, v86, 0x5040100
	;; [unrolled: 1-line block ×5, first 2 shown]
	s_mul_i32 s8, s33, 10
	s_mov_b32 s3, exec_lo
	ds_store_b128 v74, v[78:81]
	ds_store_b128 v74, v[82:85] offset:1024
	v_cmpx_gt_u32_e32 10, v0
	s_cbranch_execz .LBB1111_14
; %bb.13:
	s_mul_i32 s4, s8, s34
	s_delay_alu instid0(SALU_CYCLE_1) | instskip(SKIP_1) | instid1(VALU_DEP_1)
	v_add3_u32 v68, s4, s31, v68
	s_load_b128 s[4:7], s[0:1], 0x58
	v_mad_u64_u32 v[78:79], null, v68, s35, s[14:15]
	s_delay_alu instid0(VALU_DEP_1) | instskip(NEXT) | instid1(VALU_DEP_1)
	v_ashrrev_i32_e32 v79, 31, v78
	v_lshlrev_b64 v[78:79], 2, v[78:79]
	s_waitcnt lgkmcnt(0)
	s_delay_alu instid0(VALU_DEP_1) | instskip(NEXT) | instid1(VALU_DEP_2)
	v_add_co_u32 v80, vcc_lo, s6, v78
	v_add_co_ci_u32_e32 v81, vcc_lo, s7, v79, vcc_lo
	v_add_co_u32 v78, vcc_lo, s4, v78
	v_add_co_ci_u32_e32 v79, vcc_lo, s5, v79, vcc_lo
	global_store_b32 v[80:81], v76, off
	global_store_b32 v[78:79], v77, off
.LBB1111_14:
	s_or_b32 exec_lo, exec_lo, s3
	s_waitcnt lgkmcnt(0)
	s_waitcnt_vscnt null, 0x0
	s_barrier
	buffer_gl0_inv
	ds_load_b128 v[84:87], v73
	ds_load_b128 v[88:91], v73 offset:16
	ds_load_b128 v[96:99], v73 offset:2064
	;; [unrolled: 1-line block ×5, first 2 shown]
	v_cmp_eq_u32_e32 vcc_lo, 1, v70
	v_mov_b32_e32 v76, 0
	ds_load_b128 v[112:115], v73 offset:6160
	ds_load_b128 v[108:111], v73 offset:6144
	;; [unrolled: 1-line block ×4, first 2 shown]
	v_cmp_eq_u32_e64 s4, 1, v69
	v_cmp_eq_u32_e64 s3, 1, v72
	v_cmp_eq_u32_e64 s5, 2, v72
	v_mov_b32_e32 v77, v76
	v_mov_b32_e32 v78, v76
	;; [unrolled: 1-line block ×7, first 2 shown]
	v_cmp_eq_u32_e64 s6, 3, v72
	v_cmp_eq_u32_e64 s7, 7, v72
	s_waitcnt lgkmcnt(8)
	s_delay_alu instid0(VALU_DEP_3)
	v_wmma_f32_16x16x16_f16 v[76:83], v[49:56], v[84:91], v[76:83]
	ds_load_b128 v[53:56], v73 offset:10256
	ds_load_b128 v[49:52], v73 offset:10240
	s_waitcnt lgkmcnt(8)
	v_wmma_f32_16x16x16_f16 v[76:83], v[41:48], v[92:99], v[76:83]
	ds_load_b128 v[45:48], v73 offset:12304
	ds_load_b128 v[41:44], v73 offset:12288
	s_waitcnt lgkmcnt(8)
	;; [unrolled: 4-line block ×3, first 2 shown]
	s_barrier
	buffer_gl0_inv
	v_wmma_f32_16x16x16_f16 v[76:83], v[1:8], v[108:115], v[76:83]
	s_delay_alu instid0(VALU_DEP_1) | instskip(NEXT) | instid1(VALU_DEP_1)
	v_wmma_f32_16x16x16_f16 v[76:83], v[9:16], v[116:123], v[76:83]
	v_wmma_f32_16x16x16_f16 v[76:83], v[17:24], v[49:56], v[76:83]
	s_delay_alu instid0(VALU_DEP_1) | instskip(NEXT) | instid1(VALU_DEP_1)
	v_wmma_f32_16x16x16_f16 v[76:83], v[25:32], v[41:48], v[76:83]
	v_wmma_f32_16x16x16_f16 v[76:83], v[57:64], v[33:40], v[76:83]
	s_delay_alu instid0(VALU_DEP_1) | instskip(NEXT) | instid1(VALU_DEP_2)
	v_cvt_f16_f32_e32 v1, v76
	v_cvt_f16_f32_e32 v2, v77
	s_delay_alu instid0(VALU_DEP_3) | instskip(NEXT) | instid1(VALU_DEP_4)
	v_cvt_f16_f32_e32 v3, v78
	v_cvt_f16_f32_e32 v4, v79
	;; [unrolled: 1-line block ×6, first 2 shown]
	v_pack_b32_f16 v1, v1, v2
	v_pack_b32_f16 v2, v3, v4
	;; [unrolled: 1-line block ×3, first 2 shown]
	s_delay_alu instid0(VALU_DEP_4)
	v_pack_b32_f16 v4, v7, v8
	ds_store_b128 v74, v[1:4]
	s_waitcnt lgkmcnt(0)
	s_barrier
	buffer_gl0_inv
	ds_load_b128 v[1:4], v75
	ds_load_b128 v[5:8], v75 offset:16
	s_waitcnt lgkmcnt(1)
	v_lshrrev_b32_e32 v9, 16, v1
	s_waitcnt lgkmcnt(0)
	v_lshrrev_b32_e32 v13, 16, v5
	v_lshrrev_b32_e32 v10, 16, v2
	;; [unrolled: 1-line block ×4, first 2 shown]
	v_cndmask_b32_e32 v17, v1, v9, vcc_lo
	v_cndmask_b32_e32 v18, v5, v13, vcc_lo
	v_cndmask_b32_e64 v21, v1, v9, s4
	v_cmp_eq_u32_e32 vcc_lo, 1, v71
	v_cndmask_b32_e64 v22, v5, v13, s4
	v_cmp_eq_u32_e64 s4, 2, v70
	v_cndmask_b32_e64 v19, v1, v9, s3
	v_cndmask_b32_e64 v20, v5, v13, s3
	v_cndmask_b32_e32 v1, v1, v9, vcc_lo
	v_cmp_eq_u32_e64 s3, 2, v71
	v_cndmask_b32_e32 v5, v5, v13, vcc_lo
	v_cndmask_b32_e64 v9, v17, v2, s4
	v_cmp_eq_u32_e32 vcc_lo, 3, v70
	v_cndmask_b32_e64 v13, v18, v6, s4
	v_cmp_eq_u32_e64 s4, 2, v69
	v_cndmask_b32_e64 v17, v19, v2, s5
	v_cndmask_b32_e64 v18, v20, v6, s5
	v_cmp_eq_u32_e64 s5, 3, v69
	v_cndmask_b32_e64 v1, v1, v2, s3
	v_cndmask_b32_e64 v19, v21, v2, s4
	v_cndmask_b32_e64 v20, v22, v6, s4
	v_cndmask_b32_e64 v2, v5, v6, s3
	v_cndmask_b32_e32 v5, v9, v10, vcc_lo
	v_cndmask_b32_e32 v6, v13, v14, vcc_lo
	v_cmp_eq_u32_e32 vcc_lo, 3, v71
	v_cndmask_b32_e64 v9, v17, v10, s6
	v_cndmask_b32_e64 v13, v18, v14, s6
	;; [unrolled: 1-line block ×3, first 2 shown]
	v_cmp_eq_u32_e64 s4, 4, v70
	v_cndmask_b32_e32 v1, v1, v10, vcc_lo
	v_cndmask_b32_e32 v2, v2, v14, vcc_lo
	v_cmp_eq_u32_e32 vcc_lo, 4, v72
	v_lshrrev_b32_e32 v15, 16, v7
	v_lshrrev_b32_e32 v16, 16, v8
	v_cndmask_b32_e64 v17, v19, v10, s5
	v_cmp_eq_u32_e64 s3, 4, v71
	v_cndmask_b32_e64 v5, v5, v3, s4
	v_cndmask_b32_e64 v6, v6, v7, s4
	v_cndmask_b32_e32 v9, v9, v3, vcc_lo
	v_cmp_eq_u32_e64 s4, 5, v72
	v_cndmask_b32_e32 v10, v13, v7, vcc_lo
	v_cmp_eq_u32_e32 vcc_lo, 4, v69
	v_cmp_eq_u32_e64 s5, 5, v70
	v_cndmask_b32_e64 v2, v2, v7, s3
	v_cndmask_b32_e64 v9, v9, v11, s4
	;; [unrolled: 1-line block ×3, first 2 shown]
	v_cndmask_b32_e32 v13, v17, v3, vcc_lo
	v_cmp_eq_u32_e64 s4, 5, v69
	v_cndmask_b32_e32 v14, v18, v7, vcc_lo
	v_cndmask_b32_e64 v1, v1, v3, s3
	v_cmp_eq_u32_e32 vcc_lo, 5, v71
	v_lshrrev_b32_e32 v12, 16, v4
	v_cndmask_b32_e64 v13, v13, v11, s4
	v_cndmask_b32_e64 v3, v14, v15, s4
	v_cmp_eq_u32_e64 s4, 6, v71
	v_cndmask_b32_e32 v1, v1, v11, vcc_lo
	v_cndmask_b32_e64 v5, v5, v11, s5
	v_cmp_eq_u32_e64 s6, 6, v70
	v_cndmask_b32_e64 v6, v6, v15, s5
	v_cmp_eq_u32_e64 s5, 6, v72
	v_cmp_eq_u32_e64 s3, 6, v69
	v_cndmask_b32_e64 v1, v1, v4, s4
	v_cndmask_b32_e32 v2, v2, v15, vcc_lo
	v_cmp_eq_u32_e32 vcc_lo, 7, v71
	v_cndmask_b32_e64 v5, v5, v4, s6
	v_cndmask_b32_e64 v9, v9, v4, s5
	;; [unrolled: 1-line block ×3, first 2 shown]
	v_cmp_eq_u32_e64 s6, 7, v70
	v_cndmask_b32_e32 v1, v1, v12, vcc_lo
	v_cndmask_b32_e64 v7, v13, v4, s3
	v_cndmask_b32_e64 v3, v3, v8, s3
	;; [unrolled: 1-line block ×3, first 2 shown]
	v_cmp_eq_u32_e64 s3, 7, v69
	v_cndmask_b32_e64 v4, v10, v8, s5
	v_cndmask_b32_e64 v5, v5, v12, s6
	;; [unrolled: 1-line block ×3, first 2 shown]
	v_cndmask_b32_e32 v2, v2, v16, vcc_lo
	v_cndmask_b32_e64 v7, v7, v12, s3
	v_cndmask_b32_e64 v3, v3, v16, s3
	;; [unrolled: 1-line block ×4, first 2 shown]
	v_cmp_gt_u32_e32 vcc_lo, 32, v0
	v_perm_b32 v4, v2, v1, 0x5040100
	v_perm_b32 v3, v3, v7, 0x5040100
	;; [unrolled: 1-line block ×4, first 2 shown]
	s_and_b32 s2, vcc_lo, s2
	ds_store_b128 v74, v[1:4]
	s_waitcnt lgkmcnt(0)
	s_barrier
	buffer_gl0_inv
	s_and_saveexec_b32 s3, s2
	s_cbranch_execz .LBB1111_2
; %bb.15:
	s_load_b64 s[0:1], s[0:1], 0x68
	s_lshl_b32 s4, s35, 6
	v_or_b32_e32 v2, s31, v66
	s_mul_i32 s2, s4, s34
	v_lshlrev_b32_e32 v0, 10, v0
	s_mul_i32 s2, s2, s8
	v_lshlrev_b32_e32 v1, 4, v67
	s_ashr_i32 s3, s2, 31
	v_mul_lo_u32 v20, v2, s4
	s_lshl_b64 s[2:3], s[2:3], 1
	v_lshlrev_b32_e32 v3, 6, v66
	v_and_b32_e32 v0, 0x3800, v0
	s_delay_alu instid0(VALU_DEP_1) | instskip(NEXT) | instid1(VALU_DEP_4)
	v_or3_b32 v16, v0, v1, v3
	v_ashrrev_i32_e32 v21, 31, v20
	ds_load_b128 v[0:3], v16
	ds_load_b128 v[4:7], v16 offset:128
	s_waitcnt lgkmcnt(0)
	s_add_u32 s2, s0, s2
	s_addc_u32 s3, s1, s3
	s_lshl_b32 s0, s14, 6
	ds_load_b128 v[8:11], v16 offset:256
	ds_load_b128 v[12:15], v16 offset:384
	;; [unrolled: 1-line block ×3, first 2 shown]
	s_ashr_i32 s1, s0, 31
	s_delay_alu instid0(SALU_CYCLE_1) | instskip(NEXT) | instid1(SALU_CYCLE_1)
	s_lshl_b64 s[0:1], s[0:1], 1
	s_add_u32 s0, s2, s0
	s_addc_u32 s1, s3, s1
	s_lshl_b32 s2, s35, 7
	v_add_co_u32 v30, s0, s0, v65
	v_add_nc_u32_e32 v22, s2, v20
	v_lshlrev_b64 v[20:21], 1, v[20:21]
	v_add_co_ci_u32_e64 v31, null, s1, 0, s0
	s_delay_alu instid0(VALU_DEP_3) | instskip(SKIP_1) | instid1(VALU_DEP_4)
	v_add_nc_u32_e32 v24, s2, v22
	v_ashrrev_i32_e32 v23, 31, v22
	v_add_co_u32 v20, vcc_lo, v30, v20
	s_delay_alu instid0(VALU_DEP_4) | instskip(NEXT) | instid1(VALU_DEP_4)
	v_add_co_ci_u32_e32 v21, vcc_lo, v31, v21, vcc_lo
	v_add_nc_u32_e32 v26, s2, v24
	v_ashrrev_i32_e32 v25, 31, v24
	v_lshlrev_b64 v[22:23], 1, v[22:23]
	s_delay_alu instid0(VALU_DEP_3) | instskip(SKIP_1) | instid1(VALU_DEP_4)
	v_add_nc_u32_e32 v28, s2, v26
	v_ashrrev_i32_e32 v27, 31, v26
	v_lshlrev_b64 v[24:25], 1, v[24:25]
	s_delay_alu instid0(VALU_DEP_4) | instskip(NEXT) | instid1(VALU_DEP_4)
	v_add_co_u32 v22, vcc_lo, v30, v22
	v_ashrrev_i32_e32 v29, 31, v28
	s_delay_alu instid0(VALU_DEP_4) | instskip(SKIP_2) | instid1(VALU_DEP_4)
	v_lshlrev_b64 v[26:27], 1, v[26:27]
	v_add_co_ci_u32_e32 v23, vcc_lo, v31, v23, vcc_lo
	v_add_co_u32 v24, vcc_lo, v30, v24
	v_lshlrev_b64 v[28:29], 1, v[28:29]
	v_add_co_ci_u32_e32 v25, vcc_lo, v31, v25, vcc_lo
	v_add_co_u32 v26, vcc_lo, v30, v26
	v_add_co_ci_u32_e32 v27, vcc_lo, v31, v27, vcc_lo
	s_delay_alu instid0(VALU_DEP_4)
	v_add_co_u32 v28, vcc_lo, v30, v28
	v_add_co_ci_u32_e32 v29, vcc_lo, v31, v29, vcc_lo
	s_clause 0x1
	global_store_b128 v[20:21], v[0:3], off
	global_store_b128 v[22:23], v[4:7], off
	s_waitcnt lgkmcnt(2)
	global_store_b128 v[24:25], v[8:11], off
	s_waitcnt lgkmcnt(1)
	;; [unrolled: 2-line block ×3, first 2 shown]
	global_store_b128 v[28:29], v[16:19], off
	s_nop 0
	s_sendmsg sendmsg(MSG_DEALLOC_VGPRS)
	s_endpgm
	.section	.rodata,"a",@progbits
	.p2align	6, 0x0
	.amdhsa_kernel _Z39paged_attention_ll4mi_QKV_mfma16_kernelIDF16_hLN4vllm18Fp8KVCacheDataTypeE1EhLi16ELi64ELi256ELb0ELi10EL8MFMAType0EEvPKT_PKT0_S8_ifPKiSA_SA_iPKfiiiPfSD_PS3_PT2_iSC_SC_
		.amdhsa_group_segment_fixed_size 17472
		.amdhsa_private_segment_fixed_size 0
		.amdhsa_kernarg_size 400
		.amdhsa_user_sgpr_count 13
		.amdhsa_user_sgpr_dispatch_ptr 0
		.amdhsa_user_sgpr_queue_ptr 0
		.amdhsa_user_sgpr_kernarg_segment_ptr 1
		.amdhsa_user_sgpr_dispatch_id 0
		.amdhsa_user_sgpr_private_segment_size 0
		.amdhsa_wavefront_size32 1
		.amdhsa_uses_dynamic_stack 0
		.amdhsa_enable_private_segment 0
		.amdhsa_system_sgpr_workgroup_id_x 1
		.amdhsa_system_sgpr_workgroup_id_y 1
		.amdhsa_system_sgpr_workgroup_id_z 1
		.amdhsa_system_sgpr_workgroup_info 0
		.amdhsa_system_vgpr_workitem_id 0
		.amdhsa_next_free_vgpr 146
		.amdhsa_next_free_sgpr 36
		.amdhsa_reserve_vcc 1
		.amdhsa_float_round_mode_32 0
		.amdhsa_float_round_mode_16_64 0
		.amdhsa_float_denorm_mode_32 3
		.amdhsa_float_denorm_mode_16_64 3
		.amdhsa_dx10_clamp 1
		.amdhsa_ieee_mode 1
		.amdhsa_fp16_overflow 0
		.amdhsa_workgroup_processor_mode 1
		.amdhsa_memory_ordered 1
		.amdhsa_forward_progress 0
		.amdhsa_shared_vgpr_count 0
		.amdhsa_exception_fp_ieee_invalid_op 0
		.amdhsa_exception_fp_denorm_src 0
		.amdhsa_exception_fp_ieee_div_zero 0
		.amdhsa_exception_fp_ieee_overflow 0
		.amdhsa_exception_fp_ieee_underflow 0
		.amdhsa_exception_fp_ieee_inexact 0
		.amdhsa_exception_int_div_zero 0
	.end_amdhsa_kernel
	.section	.text._Z39paged_attention_ll4mi_QKV_mfma16_kernelIDF16_hLN4vllm18Fp8KVCacheDataTypeE1EhLi16ELi64ELi256ELb0ELi10EL8MFMAType0EEvPKT_PKT0_S8_ifPKiSA_SA_iPKfiiiPfSD_PS3_PT2_iSC_SC_,"axG",@progbits,_Z39paged_attention_ll4mi_QKV_mfma16_kernelIDF16_hLN4vllm18Fp8KVCacheDataTypeE1EhLi16ELi64ELi256ELb0ELi10EL8MFMAType0EEvPKT_PKT0_S8_ifPKiSA_SA_iPKfiiiPfSD_PS3_PT2_iSC_SC_,comdat
.Lfunc_end1111:
	.size	_Z39paged_attention_ll4mi_QKV_mfma16_kernelIDF16_hLN4vllm18Fp8KVCacheDataTypeE1EhLi16ELi64ELi256ELb0ELi10EL8MFMAType0EEvPKT_PKT0_S8_ifPKiSA_SA_iPKfiiiPfSD_PS3_PT2_iSC_SC_, .Lfunc_end1111-_Z39paged_attention_ll4mi_QKV_mfma16_kernelIDF16_hLN4vllm18Fp8KVCacheDataTypeE1EhLi16ELi64ELi256ELb0ELi10EL8MFMAType0EEvPKT_PKT0_S8_ifPKiSA_SA_iPKfiiiPfSD_PS3_PT2_iSC_SC_
                                        ; -- End function
	.section	.AMDGPU.csdata,"",@progbits
; Kernel info:
; codeLenInByte = 6540
; NumSgprs: 38
; NumVgprs: 146
; ScratchSize: 0
; MemoryBound: 0
; FloatMode: 240
; IeeeMode: 1
; LDSByteSize: 17472 bytes/workgroup (compile time only)
; SGPRBlocks: 4
; VGPRBlocks: 18
; NumSGPRsForWavesPerEU: 38
; NumVGPRsForWavesPerEU: 146
; Occupancy: 9
; WaveLimiterHint : 1
; COMPUTE_PGM_RSRC2:SCRATCH_EN: 0
; COMPUTE_PGM_RSRC2:USER_SGPR: 13
; COMPUTE_PGM_RSRC2:TRAP_HANDLER: 0
; COMPUTE_PGM_RSRC2:TGID_X_EN: 1
; COMPUTE_PGM_RSRC2:TGID_Y_EN: 1
; COMPUTE_PGM_RSRC2:TGID_Z_EN: 1
; COMPUTE_PGM_RSRC2:TIDIG_COMP_CNT: 0
	.section	.text._Z39paged_attention_ll4mi_QKV_mfma16_kernelIDF16_hLN4vllm18Fp8KVCacheDataTypeE1EhLi16ELi64ELi256ELb0ELi11EL8MFMAType0EEvPKT_PKT0_S8_ifPKiSA_SA_iPKfiiiPfSD_PS3_PT2_iSC_SC_,"axG",@progbits,_Z39paged_attention_ll4mi_QKV_mfma16_kernelIDF16_hLN4vllm18Fp8KVCacheDataTypeE1EhLi16ELi64ELi256ELb0ELi11EL8MFMAType0EEvPKT_PKT0_S8_ifPKiSA_SA_iPKfiiiPfSD_PS3_PT2_iSC_SC_,comdat
	.protected	_Z39paged_attention_ll4mi_QKV_mfma16_kernelIDF16_hLN4vllm18Fp8KVCacheDataTypeE1EhLi16ELi64ELi256ELb0ELi11EL8MFMAType0EEvPKT_PKT0_S8_ifPKiSA_SA_iPKfiiiPfSD_PS3_PT2_iSC_SC_ ; -- Begin function _Z39paged_attention_ll4mi_QKV_mfma16_kernelIDF16_hLN4vllm18Fp8KVCacheDataTypeE1EhLi16ELi64ELi256ELb0ELi11EL8MFMAType0EEvPKT_PKT0_S8_ifPKiSA_SA_iPKfiiiPfSD_PS3_PT2_iSC_SC_
	.globl	_Z39paged_attention_ll4mi_QKV_mfma16_kernelIDF16_hLN4vllm18Fp8KVCacheDataTypeE1EhLi16ELi64ELi256ELb0ELi11EL8MFMAType0EEvPKT_PKT0_S8_ifPKiSA_SA_iPKfiiiPfSD_PS3_PT2_iSC_SC_
	.p2align	8
	.type	_Z39paged_attention_ll4mi_QKV_mfma16_kernelIDF16_hLN4vllm18Fp8KVCacheDataTypeE1EhLi16ELi64ELi256ELb0ELi11EL8MFMAType0EEvPKT_PKT0_S8_ifPKiSA_SA_iPKfiiiPfSD_PS3_PT2_iSC_SC_,@function
_Z39paged_attention_ll4mi_QKV_mfma16_kernelIDF16_hLN4vllm18Fp8KVCacheDataTypeE1EhLi16ELi64ELi256ELb0ELi11EL8MFMAType0EEvPKT_PKT0_S8_ifPKiSA_SA_iPKfiiiPfSD_PS3_PT2_iSC_SC_: ; @_Z39paged_attention_ll4mi_QKV_mfma16_kernelIDF16_hLN4vllm18Fp8KVCacheDataTypeE1EhLi16ELi64ELi256ELb0ELi11EL8MFMAType0EEvPKT_PKT0_S8_ifPKiSA_SA_iPKfiiiPfSD_PS3_PT2_iSC_SC_
; %bb.0:
	s_load_b64 s[2:3], s[0:1], 0x30
	s_mov_b32 s34, s13
	s_waitcnt lgkmcnt(0)
	s_cmp_lg_u64 s[2:3], 0
	s_cselect_b32 s6, -1, 0
	s_ashr_i32 s35, s13, 31
	s_cmp_eq_u64 s[2:3], 0
	s_cbranch_scc1 .LBB1112_3
; %bb.1:
	s_lshl_b64 s[4:5], s[34:35], 2
	s_delay_alu instid0(SALU_CYCLE_1) | instskip(SKIP_4) | instid1(SALU_CYCLE_1)
	s_add_u32 s4, s2, s4
	s_addc_u32 s5, s3, s5
	s_load_b64 s[4:5], s[4:5], 0x0
	s_waitcnt lgkmcnt(0)
	s_sub_i32 s4, s5, s4
	s_cmp_eq_u32 s4, 1
	s_cselect_b32 s4, -1, 0
	s_delay_alu instid0(SALU_CYCLE_1)
	s_and_not1_b32 vcc_lo, exec_lo, s4
	s_cbranch_vccz .LBB1112_4
.LBB1112_2:
	s_nop 0
	s_sendmsg sendmsg(MSG_DEALLOC_VGPRS)
	s_endpgm
.LBB1112_3:
.LBB1112_4:
	s_load_b64 s[8:9], s[0:1], 0x28
	s_lshl_b64 s[4:5], s[34:35], 2
	s_waitcnt lgkmcnt(0)
	s_add_u32 s8, s8, s4
	s_addc_u32 s9, s9, s5
	s_lshl_b32 s16, s14, 8
	s_load_b32 s18, s[8:9], 0x0
	s_waitcnt lgkmcnt(0)
	s_cmp_ge_i32 s16, s18
	s_cbranch_scc1 .LBB1112_2
; %bb.5:
	s_clause 0x1
	s_load_b128 s[8:11], s[0:1], 0x8
	s_load_b64 s[12:13], s[0:1], 0x20
	s_and_not1_b32 vcc_lo, exec_lo, s6
	s_cbranch_vccnz .LBB1112_7
; %bb.6:
	s_add_u32 s2, s2, s4
	s_addc_u32 s3, s3, s5
	s_load_b32 s3, s[2:3], 0x0
	s_branch .LBB1112_8
.LBB1112_7:
	s_mov_b32 s3, s34
.LBB1112_8:
	s_load_b128 s[4:7], s[0:1], 0x48
	v_lshrrev_b32_e32 v69, 5, v0
	v_bfe_u32 v66, v0, 4, 1
	v_and_b32_e32 v68, 15, v0
	v_and_b32_e32 v70, 31, v0
	;; [unrolled: 1-line block ×3, first 2 shown]
	s_mul_i32 s33, s15, 11
	v_lshl_or_b32 v1, v69, 1, v66
	v_lshlrev_b32_e32 v2, 3, v68
	v_cmp_gt_u32_e64 s2, 8, v68
	s_delay_alu instid0(VALU_DEP_3) | instskip(NEXT) | instid1(VALU_DEP_3)
	v_cmp_gt_u32_e32 vcc_lo, 11, v1
	v_lshlrev_b32_e32 v65, 1, v2
	s_delay_alu instid0(VALU_DEP_3)
	s_and_b32 s17, s2, vcc_lo
	s_waitcnt lgkmcnt(0)
	s_and_saveexec_b32 s7, s17
	s_cbranch_execz .LBB1112_10
; %bb.9:
	s_load_b64 s[20:21], s[0:1], 0x0
	v_add_lshl_u32 v2, v1, s33, 6
	s_mul_hi_i32 s23, s3, s4
	s_mul_i32 s22, s3, s4
	v_lshlrev_b32_e32 v6, 10, v68
	s_lshl_b64 s[22:23], s[22:23], 1
	v_ashrrev_i32_e32 v3, 31, v2
	v_lshlrev_b32_e32 v1, 6, v1
	v_lshlrev_b32_e32 v7, 10, v67
	v_and_b32_e32 v6, 0x3800, v6
	s_delay_alu instid0(VALU_DEP_4) | instskip(NEXT) | instid1(VALU_DEP_2)
	v_lshlrev_b64 v[2:3], 1, v[2:3]
	v_or3_b32 v1, v6, v7, v1
	s_waitcnt lgkmcnt(0)
	s_add_u32 s3, s20, s22
	s_addc_u32 s4, s21, s23
	s_delay_alu instid0(VALU_DEP_2) | instskip(SKIP_1) | instid1(VALU_DEP_2)
	v_add_co_u32 v2, vcc_lo, s3, v2
	v_add_co_ci_u32_e32 v3, vcc_lo, s4, v3, vcc_lo
	v_add_co_u32 v2, vcc_lo, v2, v65
	s_delay_alu instid0(VALU_DEP_2)
	v_add_co_ci_u32_e32 v3, vcc_lo, 0, v3, vcc_lo
	global_load_b128 v[2:5], v[2:3], off
	s_waitcnt vmcnt(0)
	ds_store_b128 v1, v[2:5]
.LBB1112_10:
	s_or_b32 exec_lo, exec_lo, s7
	v_and_b32_e32 v1, 0xef, v0
	s_add_i32 s3, s18, 15
	s_clause 0x1
	s_load_b32 s4, s[0:1], 0x38
	s_load_b32 s35, s[0:1], 0x98
	s_ashr_i32 s7, s3, 31
	v_add_nc_u32_e32 v1, s16, v1
	s_lshr_b32 s7, s7, 28
	s_load_b32 s19, s[0:1], 0x1c
	v_add_nc_u32_e32 v103, -11, v68
	s_add_i32 s3, s3, s7
	v_ashrrev_i32_e32 v2, 31, v1
	v_or_b32_e32 v3, 16, v1
	s_ashr_i32 s3, s3, 4
	v_cmp_gt_i32_e32 vcc_lo, s18, v1
	s_add_i32 s3, s3, -1
	v_lshrrev_b32_e32 v2, 28, v2
	s_waitcnt lgkmcnt(0)
	s_barrier
	buffer_gl0_inv
	s_mul_i32 s15, s15, s6
	v_add_nc_u32_e32 v4, v1, v2
	v_mbcnt_lo_u32_b32 v127, -1, 0
	s_mul_i32 s20, s34, s4
	s_delay_alu instid0(SALU_CYCLE_1) | instskip(NEXT) | instid1(VALU_DEP_2)
	s_ashr_i32 s21, s20, 31
	v_ashrrev_i32_e32 v4, 4, v4
	v_add_nc_u32_e32 v2, v3, v2
	s_lshl_b64 s[20:21], s[20:21], 2
	v_xor_b32_e32 v128, 16, v127
	s_add_u32 s17, s12, s20
	v_cndmask_b32_e32 v1, s3, v4, vcc_lo
	v_ashrrev_i32_e32 v2, 4, v2
	v_cmp_gt_i32_e32 vcc_lo, s18, v3
	s_addc_u32 s13, s13, s21
	s_ashr_i32 s20, s15, 31
	s_add_u32 s4, s8, s15
	s_addc_u32 s12, s9, s20
	v_cndmask_b32_e32 v3, s3, v2, vcc_lo
	v_ashrrev_i32_e32 v2, 31, v1
	s_lshl_b32 s6, s14, 4
	s_delay_alu instid0(SALU_CYCLE_1) | instskip(NEXT) | instid1(VALU_DEP_2)
	s_ashr_i32 s7, s6, 31
	v_ashrrev_i32_e32 v4, 31, v3
	s_delay_alu instid0(VALU_DEP_2) | instskip(SKIP_1) | instid1(SALU_CYCLE_1)
	v_lshlrev_b64 v[1:2], 2, v[1:2]
	s_lshl_b64 s[6:7], s[6:7], 2
	s_add_u32 s6, s17, s6
	s_delay_alu instid0(VALU_DEP_2) | instskip(SKIP_1) | instid1(VALU_DEP_2)
	v_lshlrev_b64 v[3:4], 2, v[3:4]
	s_addc_u32 s7, s13, s7
	v_add_co_u32 v1, vcc_lo, s17, v1
	v_add_co_ci_u32_e32 v2, vcc_lo, s13, v2, vcc_lo
	s_delay_alu instid0(VALU_DEP_3) | instskip(NEXT) | instid1(VALU_DEP_4)
	v_add_co_u32 v3, vcc_lo, s17, v3
	v_add_co_ci_u32_e32 v4, vcc_lo, s13, v4, vcc_lo
	s_clause 0x1
	global_load_b32 v5, v[1:2], off
	global_load_b32 v7, v[3:4], off
	s_or_b32 s8, s16, 32
	v_lshlrev_b32_e32 v1, 4, v0
	s_ashr_i32 s9, s8, 4
	s_cmp_lt_i32 s8, s18
	v_cmp_gt_u32_e32 vcc_lo, 11, v68
	s_cselect_b32 s8, s9, s3
	v_and_b32_e32 v1, 0xf0, v1
	s_ashr_i32 s9, s8, 31
	s_delay_alu instid0(SALU_CYCLE_1)
	s_lshl_b64 s[8:9], s[8:9], 2
	v_cndmask_b32_e32 v103, v103, v68, vcc_lo
	s_add_u32 s8, s17, s8
	s_addc_u32 s9, s13, s9
	s_or_b32 s21, s16, 64
	v_add_co_u32 v1, s4, s4, v1
	s_ashr_i32 s22, s21, 4
	s_cmp_lt_i32 s21, s18
	v_add_co_ci_u32_e64 v2, null, s12, 0, s4
	s_cselect_b32 s22, s22, s3
	v_cmp_gt_i32_e32 vcc_lo, 32, v128
	s_ashr_i32 s23, s22, 31
	v_lshlrev_b32_e32 v115, 6, v103
	s_lshl_b64 s[22:23], s[22:23], 2
	v_cndmask_b32_e32 v136, v127, v128, vcc_lo
	s_add_u32 s22, s17, s22
	s_addc_u32 s23, s13, s23
	s_or_b32 s21, s16, 0x60
	s_delay_alu instid0(SALU_CYCLE_1) | instskip(SKIP_2) | instid1(SALU_CYCLE_1)
	s_ashr_i32 s24, s21, 4
	s_cmp_lt_i32 s21, s18
	s_cselect_b32 s24, s24, s3
	s_ashr_i32 s25, s24, 31
	s_delay_alu instid0(SALU_CYCLE_1) | instskip(NEXT) | instid1(SALU_CYCLE_1)
	s_lshl_b64 s[24:25], s[24:25], 2
	s_add_u32 s24, s17, s24
	s_addc_u32 s25, s13, s25
	s_or_b32 s21, s16, 0x80
	s_delay_alu instid0(SALU_CYCLE_1) | instskip(SKIP_2) | instid1(SALU_CYCLE_1)
	s_ashr_i32 s26, s21, 4
	s_cmp_lt_i32 s21, s18
	s_cselect_b32 s26, s26, s3
	s_ashr_i32 s27, s26, 31
	s_delay_alu instid0(SALU_CYCLE_1) | instskip(NEXT) | instid1(SALU_CYCLE_1)
	s_lshl_b64 s[26:27], s[26:27], 2
	;; [unrolled: 10-line block ×3, first 2 shown]
	s_add_u32 s28, s17, s28
	s_addc_u32 s29, s13, s29
	s_clause 0x5
	s_load_b32 s12, s[6:7], 0x0
	s_load_b32 s4, s[8:9], 0x0
	;; [unrolled: 1-line block ×6, first 2 shown]
	s_or_b32 s21, s16, 0xc0
	s_delay_alu instid0(SALU_CYCLE_1) | instskip(SKIP_2) | instid1(SALU_CYCLE_1)
	s_ashr_i32 s22, s21, 4
	s_cmp_lt_i32 s21, s18
	s_cselect_b32 s22, s22, s3
	s_ashr_i32 s23, s22, 31
	s_delay_alu instid0(SALU_CYCLE_1) | instskip(NEXT) | instid1(SALU_CYCLE_1)
	s_lshl_b64 s[22:23], s[22:23], 2
	s_add_u32 s22, s17, s22
	s_addc_u32 s23, s13, s23
	s_or_b32 s21, s16, 0xe0
	s_delay_alu instid0(SALU_CYCLE_1) | instskip(SKIP_2) | instid1(SALU_CYCLE_1)
	s_ashr_i32 s24, s21, 4
	s_cmp_lt_i32 s21, s18
	s_cselect_b32 s24, s24, s3
	s_ashr_i32 s25, s24, 31
	s_delay_alu instid0(SALU_CYCLE_1)
	s_lshl_b64 s[24:25], s[24:25], 2
	s_waitcnt vmcnt(1)
	v_mad_i64_i32 v[3:4], null, v5, s5, v[1:2]
	s_waitcnt vmcnt(0)
	v_mad_i64_i32 v[5:6], null, v7, s5, v[1:2]
	v_lshlrev_b32_e32 v1, 4, v68
	s_clause 0x7
	global_load_b128 v[71:74], v[3:4], off
	global_load_b128 v[75:78], v[3:4], off offset:256
	global_load_b128 v[79:82], v[5:6], off
	global_load_b128 v[83:86], v[5:6], off offset:256
	global_load_b128 v[87:90], v[3:4], off offset:512
	;; [unrolled: 1-line block ×5, first 2 shown]
	v_lshl_or_b32 v1, v69, 8, v1
	s_load_b32 s3, s[22:23], 0x0
	s_add_u32 s22, s17, s24
	s_addc_u32 s23, s13, s25
	s_add_u32 s10, s10, s15
	s_addc_u32 s11, s11, s20
	v_add_co_u32 v1, s10, s10, v1
	s_delay_alu instid0(VALU_DEP_1) | instskip(SKIP_2) | instid1(VALU_DEP_1)
	v_add_co_ci_u32_e64 v2, null, s11, 0, s10
	s_load_b32 s10, s[22:23], 0x0
	s_waitcnt lgkmcnt(0)
	v_mad_i64_i32 v[3:4], null, s12, s5, v[1:2]
	v_mad_i64_i32 v[9:10], null, s7, s5, v[1:2]
	;; [unrolled: 1-line block ×7, first 2 shown]
	s_clause 0x5
	global_load_b128 v[49:52], v[3:4], off
	global_load_b128 v[53:56], v[3:4], off offset:16
	global_load_b128 v[41:44], v[5:6], off
	global_load_b128 v[45:48], v[5:6], off offset:16
	;; [unrolled: 2-line block ×3, first 2 shown]
	s_mov_b32 s4, 0
	v_mad_i64_i32 v[61:62], null, s10, s5, v[1:2]
	s_clause 0x9
	global_load_b128 v[1:4], v[9:10], off
	global_load_b128 v[5:8], v[9:10], off offset:16
	global_load_b128 v[9:12], v[13:14], off
	global_load_b128 v[13:16], v[13:14], off offset:16
	;; [unrolled: 2-line block ×5, first 2 shown]
	s_mov_b32 s5, s4
	s_mov_b32 s6, s4
	;; [unrolled: 1-line block ×7, first 2 shown]
	v_and_b32_e32 v104, 0xe0, v0
	v_dual_mov_b32 v126, s11 :: v_dual_mov_b32 v125, s10
	v_dual_mov_b32 v124, s9 :: v_dual_mov_b32 v123, s8
	s_delay_alu instid0(VALU_DEP_3)
	v_add_nc_u32_e32 v111, s16, v104
	ds_load_b128 v[103:106], v115
	ds_load_b128 v[107:110], v115 offset:1024
	v_dual_mov_b32 v122, s7 :: v_dual_mov_b32 v121, s6
	v_mov_b32_e32 v120, s5
	v_or_b32_e32 v135, v111, v66
	ds_load_b128 v[111:114], v115 offset:2048
	ds_load_b128 v[115:118], v115 offset:3072
	v_mov_b32_e32 v119, s4
	s_waitcnt vmcnt(0) lgkmcnt(0)
	s_barrier
	v_or_b32_e32 v137, 2, v135
	v_or_b32_e32 v138, 4, v135
	;; [unrolled: 1-line block ×3, first 2 shown]
	v_cmp_gt_i32_e32 vcc_lo, s18, v135
	v_or_b32_e32 v140, 8, v135
	v_cmp_gt_i32_e64 s3, s18, v137
	v_or_b32_e32 v141, 10, v135
	v_cmp_gt_i32_e64 s4, s18, v138
	v_cmp_gt_i32_e64 s5, s18, v139
	v_or_b32_e32 v142, 12, v135
	v_or_b32_e32 v143, 14, v135
	v_cmp_gt_i32_e64 s6, s18, v140
	v_cmp_gt_i32_e64 s7, s18, v141
	v_or_b32_e32 v144, 16, v135
	v_or_b32_e32 v145, 18, v135
	v_cmp_gt_i32_e64 s8, s18, v142
	v_cmp_gt_i32_e64 s9, s18, v143
	buffer_gl0_inv
	v_cmp_gt_i32_e64 s10, s18, v144
	v_cmp_gt_i32_e64 s11, s18, v145
	v_wmma_f32_16x16x16_f16 v[127:134], v[71:78], v[103:110], v[119:126]
	v_wmma_f32_16x16x16_f16 v[119:126], v[79:86], v[103:110], v[119:126]
	v_or_b32_e32 v71, 20, v135
	v_or_b32_e32 v72, 22, v135
	s_delay_alu instid0(VALU_DEP_4)
	v_wmma_f32_16x16x16_f16 v[127:134], v[87:94], v[111:118], v[127:134]
	v_or_b32_e32 v73, 24, v135
	v_wmma_f32_16x16x16_f16 v[119:126], v[95:102], v[111:118], v[119:126]
	v_or_b32_e32 v74, 26, v135
	v_cmp_gt_i32_e64 s12, s18, v71
	v_dual_mul_f32 v83, s19, v128 :: v_dual_mul_f32 v84, s19, v127
	v_dual_mul_f32 v81, s19, v130 :: v_dual_mul_f32 v82, s19, v129
	;; [unrolled: 1-line block ×3, first 2 shown]
	s_delay_alu instid0(VALU_DEP_3) | instskip(NEXT) | instid1(VALU_DEP_4)
	v_cndmask_b32_e32 v84, 0xff7fffff, v84, vcc_lo
	v_cndmask_b32_e64 v83, 0xff7fffff, v83, s3
	v_mul_f32_e32 v80, s19, v131
	v_cndmask_b32_e64 v82, 0xff7fffff, v82, s4
	v_cndmask_b32_e64 v81, 0xff7fffff, v81, s5
	v_dual_mul_f32 v77, s19, v134 :: v_dual_mul_f32 v90, s19, v121
	v_max3_f32 v83, v84, 0xff7fffff, v83
	v_mul_f32_e32 v78, s19, v133
	v_cndmask_b32_e64 v80, 0xff7fffff, v80, s6
	v_cndmask_b32_e64 v79, 0xff7fffff, v79, s7
	v_mul_f32_e32 v91, s19, v120
	v_max3_f32 v81, v83, v82, v81
	v_cndmask_b32_e64 v78, 0xff7fffff, v78, s8
	v_cndmask_b32_e64 v77, 0xff7fffff, v77, s9
	v_mul_f32_e32 v89, s19, v122
	v_cmp_gt_i32_e64 s13, s18, v72
	v_max3_f32 v79, v81, v80, v79
	v_cndmask_b32_e64 v80, 0xff7fffff, v92, s10
	v_cndmask_b32_e64 v81, 0xff7fffff, v91, s11
	v_or_b32_e32 v75, 28, v135
	v_or_b32_e32 v76, 30, v135
	v_max3_f32 v77, v79, v78, v77
	v_dual_mul_f32 v87, s19, v124 :: v_dual_mul_f32 v88, s19, v123
	v_cndmask_b32_e64 v71, 0xff7fffff, v90, s12
	v_cndmask_b32_e64 v72, 0xff7fffff, v89, s13
	s_delay_alu instid0(VALU_DEP_4) | instskip(SKIP_3) | instid1(VALU_DEP_4)
	v_max3_f32 v77, v77, v80, v81
	v_cmp_gt_i32_e64 s15, s18, v73
	v_cmp_gt_i32_e64 s16, s18, v74
	v_dual_mul_f32 v85, s19, v126 :: v_dual_mul_f32 v86, s19, v125
	v_max3_f32 v71, v77, v71, v72
	s_delay_alu instid0(VALU_DEP_4) | instskip(NEXT) | instid1(VALU_DEP_4)
	v_cndmask_b32_e64 v73, 0xff7fffff, v88, s15
	v_cndmask_b32_e64 v74, 0xff7fffff, v87, s16
	v_cmp_gt_i32_e64 s17, s18, v75
	v_cmp_gt_i32_e64 s18, s18, v76
	s_delay_alu instid0(VALU_DEP_3) | instskip(NEXT) | instid1(VALU_DEP_3)
	v_max3_f32 v71, v71, v73, v74
	v_cndmask_b32_e64 v72, 0xff7fffff, v86, s17
	s_delay_alu instid0(VALU_DEP_3) | instskip(SKIP_1) | instid1(VALU_DEP_2)
	v_cndmask_b32_e64 v75, 0xff7fffff, v85, s18
	v_lshlrev_b32_e32 v73, 2, v136
	v_max3_f32 v71, v71, v72, v75
	ds_bpermute_b32 v72, v73, v71
	s_waitcnt lgkmcnt(0)
	v_max_f32_e32 v72, v72, v72
	s_delay_alu instid0(VALU_DEP_1) | instskip(NEXT) | instid1(VALU_DEP_1)
	v_max_f32_e32 v71, v71, v72
	v_fma_f32 v72, s19, v127, -v71
	v_fma_f32 v74, s19, v128, -v71
	;; [unrolled: 1-line block ×5, first 2 shown]
	v_mul_f32_e32 v72, 0x3fb8aa3b, v72
	s_delay_alu instid0(VALU_DEP_4) | instskip(NEXT) | instid1(VALU_DEP_4)
	v_dual_mul_f32 v74, 0x3fb8aa3b, v74 :: v_dual_mul_f32 v75, 0x3fb8aa3b, v75
	v_mul_f32_e32 v76, 0x3fb8aa3b, v76
	s_delay_alu instid0(VALU_DEP_4) | instskip(NEXT) | instid1(VALU_DEP_4)
	v_mul_f32_e32 v82, 0x3fb8aa3b, v80
	v_exp_f32_e32 v72, v72
	s_delay_alu instid0(VALU_DEP_3)
	v_exp_f32_e32 v74, v74
	v_exp_f32_e32 v75, v75
	;; [unrolled: 1-line block ×3, first 2 shown]
	v_fma_f32 v77, s19, v131, -v71
	v_exp_f32_e32 v84, v82
	v_cndmask_b32_e32 v79, 0, v72, vcc_lo
	v_cndmask_b32_e64 v78, 0, v74, s3
	s_delay_alu instid0(TRANS32_DEP_3) | instskip(SKIP_1) | instid1(TRANS32_DEP_2)
	v_cndmask_b32_e64 v81, 0, v75, s4
	v_fma_f32 v72, s19, v132, -v71
	v_cndmask_b32_e64 v80, 0, v76, s5
	v_add_f32_e32 v74, 0, v79
	s_delay_alu instid0(TRANS32_DEP_1) | instskip(SKIP_2) | instid1(VALU_DEP_4)
	v_cndmask_b32_e64 v85, 0, v84, s8
	v_cmp_gt_u32_e64 s3, 16, v70
	v_mul_f32_e32 v72, 0x3fb8aa3b, v72
	v_add_f32_e32 v74, v74, v78
	s_delay_alu instid0(VALU_DEP_2) | instskip(NEXT) | instid1(VALU_DEP_1)
	v_exp_f32_e32 v72, v72
	v_add_f32_e32 v74, v74, v81
	s_delay_alu instid0(VALU_DEP_1) | instskip(NEXT) | instid1(VALU_DEP_1)
	v_dual_mul_f32 v77, 0x3fb8aa3b, v77 :: v_dual_add_f32 v74, v74, v80
	v_exp_f32_e32 v77, v77
	s_waitcnt_depctr 0xfff
	v_cndmask_b32_e64 v82, 0, v72, s7
	v_cndmask_b32_e64 v83, 0, v77, s6
	s_delay_alu instid0(VALU_DEP_1) | instskip(SKIP_4) | instid1(VALU_DEP_4)
	v_add_f32_e32 v72, v74, v83
	v_fma_f32 v75, s19, v134, -v71
	v_fma_f32 v76, s19, v119, -v71
	;; [unrolled: 1-line block ×4, first 2 shown]
	v_dual_add_f32 v72, v72, v82 :: v_dual_mul_f32 v75, 0x3fb8aa3b, v75
	s_delay_alu instid0(VALU_DEP_3) | instskip(NEXT) | instid1(VALU_DEP_3)
	v_dual_mul_f32 v76, 0x3fb8aa3b, v76 :: v_dual_mul_f32 v77, 0x3fb8aa3b, v77
	v_mul_f32_e32 v74, 0x3fb8aa3b, v74
	v_fma_f32 v86, s19, v122, -v71
	s_delay_alu instid0(VALU_DEP_4) | instskip(NEXT) | instid1(VALU_DEP_3)
	v_exp_f32_e32 v75, v75
	v_exp_f32_e32 v76, v76
	;; [unrolled: 1-line block ×4, first 2 shown]
	v_mul_f32_e32 v86, 0x3fb8aa3b, v86
	s_delay_alu instid0(VALU_DEP_1)
	v_exp_f32_e32 v88, v86
	v_cndmask_b32_e64 v84, 0, v75, s9
	v_fma_f32 v75, s19, v123, -v71
	v_add_f32_e32 v72, v72, v85
	v_cndmask_b32_e64 v87, 0, v76, s10
	v_fma_f32 v76, s19, v124, -v71
	s_delay_alu instid0(TRANS32_DEP_3) | instskip(NEXT) | instid1(VALU_DEP_4)
	v_cndmask_b32_e64 v86, 0, v77, s11
	v_dual_mul_f32 v75, 0x3fb8aa3b, v75 :: v_dual_add_f32 v72, v72, v84
	v_fma_f32 v77, s19, v125, -v71
	s_delay_alu instid0(VALU_DEP_4) | instskip(SKIP_1) | instid1(VALU_DEP_4)
	v_mul_f32_e32 v76, 0x3fb8aa3b, v76
	v_cndmask_b32_e64 v89, 0, v74, s12
	v_exp_f32_e32 v75, v75
	v_add_f32_e32 v72, v72, v87
	v_mul_f32_e32 v74, 0x3fb8aa3b, v77
	v_exp_f32_e32 v76, v76
	v_cndmask_b32_e64 v88, 0, v88, s13
	v_fma_f32 v77, s19, v126, -v71
	v_add_f32_e32 v72, v72, v86
	v_exp_f32_e32 v74, v74
	s_delay_alu instid0(TRANS32_DEP_3) | instskip(NEXT) | instid1(VALU_DEP_2)
	v_cndmask_b32_e64 v91, 0, v75, s15
	v_add_f32_e32 v72, v72, v89
	v_mul_f32_e32 v75, 0x3fb8aa3b, v77
	s_delay_alu instid0(TRANS32_DEP_2) | instskip(NEXT) | instid1(VALU_DEP_3)
	v_cndmask_b32_e64 v90, 0, v76, s16
	v_add_f32_e32 v72, v72, v88
	s_delay_alu instid0(VALU_DEP_3) | instskip(NEXT) | instid1(TRANS32_DEP_2)
	v_exp_f32_e32 v75, v75
	v_cndmask_b32_e64 v93, 0, v74, s17
	s_delay_alu instid0(VALU_DEP_2) | instskip(NEXT) | instid1(VALU_DEP_1)
	v_add_f32_e32 v72, v72, v91
	v_add_f32_e32 v72, v72, v90
	s_waitcnt_depctr 0xfff
	v_cndmask_b32_e64 v92, 0, v75, s18
	v_add_f32_e32 v72, v72, v93
	s_delay_alu instid0(VALU_DEP_1)
	v_add_f32_e32 v72, v72, v92
	ds_bpermute_b32 v73, v73, v72
	s_and_saveexec_b32 s4, s3
	s_cbranch_execz .LBB1112_12
; %bb.11:
	v_mul_u32_u24_e32 v70, 0x44, v69
	s_waitcnt lgkmcnt(0)
	v_add_f32_e32 v72, v72, v73
	s_delay_alu instid0(VALU_DEP_2) | instskip(NEXT) | instid1(VALU_DEP_1)
	v_lshl_add_u32 v70, v68, 2, v70
	v_add_nc_u32_e32 v70, 0x4000, v70
	ds_store_2addr_b32 v70, v71, v72 offset1:136
.LBB1112_12:
	s_or_b32 exec_lo, exec_lo, s4
	v_lshlrev_b32_e32 v70, 2, v68
	s_load_b32 s36, s[0:1], 0x94
	s_waitcnt lgkmcnt(0)
	s_barrier
	buffer_gl0_inv
	v_add_nc_u32_e32 v98, 0x4000, v70
	v_cmp_eq_u32_e32 vcc_lo, 1, v69
	v_cmp_eq_u32_e64 s4, 2, v69
	v_cmp_eq_u32_e64 s5, 3, v69
	;; [unrolled: 1-line block ×3, first 2 shown]
	ds_load_2addr_b32 v[70:71], v98 offset1:17
	ds_load_2addr_b32 v[72:73], v98 offset0:34 offset1:51
	ds_load_2addr_b32 v[74:75], v98 offset0:68 offset1:85
	;; [unrolled: 1-line block ×3, first 2 shown]
	v_cmp_eq_u32_e64 s7, 5, v69
	v_cmp_eq_u32_e64 s8, 7, v69
	s_waitcnt lgkmcnt(3)
	v_max3_f32 v76, v70, 0xff7fffff, v71
	s_waitcnt lgkmcnt(2)
	s_delay_alu instid0(VALU_DEP_1) | instskip(SKIP_1) | instid1(VALU_DEP_1)
	v_max3_f32 v76, v76, v72, v73
	s_waitcnt lgkmcnt(1)
	v_max3_f32 v76, v76, v74, v75
	s_waitcnt lgkmcnt(0)
	s_delay_alu instid0(VALU_DEP_1) | instskip(NEXT) | instid1(VALU_DEP_1)
	v_max3_f32 v76, v76, v94, v95
	v_sub_f32_e32 v77, v71, v76
	ds_load_2addr_b32 v[96:97], v98 offset0:136 offset1:153
	v_sub_f32_e32 v74, v74, v76
	v_sub_f32_e32 v70, v70, v76
	;; [unrolled: 1-line block ×3, first 2 shown]
	v_dual_sub_f32 v72, v72, v76 :: v_dual_mul_f32 v77, 0x3fb8aa3b, v77
	s_delay_alu instid0(VALU_DEP_4) | instskip(NEXT) | instid1(VALU_DEP_4)
	v_mul_f32_e32 v103, 0x3fb8aa3b, v74
	v_mul_f32_e32 v99, 0x3fb8aa3b, v70
	ds_load_2addr_b32 v[70:71], v98 offset0:170 offset1:187
	v_dual_mul_f32 v101, 0x3fb8aa3b, v72 :: v_dual_mul_f32 v94, 0x3fb8aa3b, v94
	v_exp_f32_e32 v102, v77
	v_exp_f32_e32 v99, v99
	s_delay_alu instid0(VALU_DEP_1) | instskip(NEXT) | instid1(VALU_DEP_1)
	v_exp_f32_e32 v101, v101
	v_exp_f32_e32 v94, v94
	s_waitcnt lgkmcnt(1)
	s_delay_alu instid0(TRANS32_DEP_3)
	v_fma_f32 v77, v99, v96, 0
	v_sub_f32_e32 v100, v73, v76
	ds_load_2addr_b32 v[72:73], v98 offset0:204 offset1:221
	v_fmac_f32_e32 v77, v102, v97
	v_exp_f32_e32 v97, v103
	s_waitcnt lgkmcnt(1)
	s_delay_alu instid0(VALU_DEP_1)
	v_dual_fmac_f32 v77, v101, v70 :: v_dual_sub_f32 v96, v75, v76
	ds_load_2addr_b32 v[74:75], v98 offset0:238 offset1:255
	v_sub_f32_e32 v70, v95, v76
	s_waitcnt lgkmcnt(0)
	s_barrier
	v_mul_f32_e32 v96, 0x3fb8aa3b, v96
	buffer_gl0_inv
	v_exp_f32_e32 v95, v96
	v_mul_f32_e32 v100, 0x3fb8aa3b, v100
	s_delay_alu instid0(VALU_DEP_1) | instskip(SKIP_3) | instid1(VALU_DEP_2)
	v_exp_f32_e32 v100, v100
	s_waitcnt_depctr 0xfff
	v_dual_fmac_f32 v77, v100, v71 :: v_dual_mul_f32 v70, 0x3fb8aa3b, v70
	v_cndmask_b32_e32 v71, v99, v102, vcc_lo
	v_fmac_f32_e32 v77, v97, v72
	s_delay_alu instid0(VALU_DEP_3) | instskip(NEXT) | instid1(VALU_DEP_1)
	v_exp_f32_e32 v96, v70
	v_fmac_f32_e32 v77, v95, v73
	s_delay_alu instid0(VALU_DEP_1) | instskip(SKIP_2) | instid1(VALU_DEP_1)
	v_fmac_f32_e32 v77, v94, v74
	s_waitcnt_depctr 0xfff
	v_fmac_f32_e32 v77, v96, v75
	v_add_f32_e32 v74, 0x358637bd, v77
	s_delay_alu instid0(VALU_DEP_1) | instskip(SKIP_1) | instid1(VALU_DEP_2)
	v_div_scale_f32 v98, null, v74, v74, 1.0
	v_div_scale_f32 v99, vcc_lo, 1.0, v74, 1.0
	v_rcp_f32_e32 v103, v98
	s_waitcnt_depctr 0xfff
	v_fma_f32 v70, -v98, v103, 1.0
	s_delay_alu instid0(VALU_DEP_1) | instskip(SKIP_2) | instid1(VALU_DEP_2)
	v_fmac_f32_e32 v103, v70, v103
	v_cndmask_b32_e64 v70, v71, v101, s4
	v_cmp_eq_u32_e64 s4, 6, v69
	v_cndmask_b32_e64 v71, v70, v100, s5
	s_delay_alu instid0(VALU_DEP_4) | instskip(NEXT) | instid1(VALU_DEP_2)
	v_dual_mul_f32 v101, v99, v103 :: v_dual_lshlrev_b32 v70, 2, v66
	v_cndmask_b32_e64 v71, v71, v97, s6
	s_delay_alu instid0(VALU_DEP_2) | instskip(NEXT) | instid1(VALU_DEP_3)
	v_or_b32_e32 v72, 1, v70
	v_fma_f32 v100, -v98, v101, v99
	v_cmp_eq_u32_e64 s5, 1, v70
	v_cmp_eq_u32_e64 s6, 2, v70
	v_cndmask_b32_e64 v95, v71, v95, s7
	v_or_b32_e32 v71, 3, v70
	v_fmac_f32_e32 v101, v100, v103
	v_cmp_eq_u32_e64 s10, 1, v72
	v_cmp_eq_u32_e64 s13, 2, v72
	v_cndmask_b32_e64 v94, v95, v94, s4
	v_cmp_eq_u32_e64 s12, 1, v71
	v_fma_f32 v97, -v98, v101, v99
	v_cmp_eq_u32_e64 s17, 2, v71
	v_cmp_eq_u32_e64 s15, 3, v72
	v_cndmask_b32_e64 v94, v94, v96, s8
	v_cmp_eq_u32_e64 s19, 3, v71
	v_div_fmas_f32 v95, v97, v103, v101
	v_cmp_eq_u32_e32 vcc_lo, 3, v70
	v_cmp_eq_u32_e64 s4, 4, v70
	v_cmp_eq_u32_e64 s20, 4, v72
	;; [unrolled: 1-line block ×3, first 2 shown]
	v_div_fixup_f32 v95, v95, v74, 1.0
	v_lshlrev_b32_e32 v73, 6, v68
	v_cmp_eq_u32_e64 s7, 5, v70
	v_cmp_eq_u32_e64 s21, 5, v72
	;; [unrolled: 1-line block ×3, first 2 shown]
	v_mul_f32_e32 v102, v94, v95
	v_lshl_or_b32 v75, v69, 11, v73
	v_or_b32_e32 v69, 2, v70
	v_cmp_eq_u32_e64 s26, 6, v72
	v_cmp_eq_u32_e64 s28, 6, v71
	v_fma_mixlo_f16 v94, v102, v79, 0
	v_fma_mixlo_f16 v95, v102, v81, 0
	;; [unrolled: 1-line block ×8, first 2 shown]
	v_lshl_or_b32 v74, v66, 4, v75
	v_fma_mixhi_f16 v94, v102, v78, 0
	v_fma_mixhi_f16 v95, v102, v80, 0
	;; [unrolled: 1-line block ×8, first 2 shown]
	ds_store_b128 v74, v[94:97]
	ds_store_b128 v74, v[98:101] offset:1024
	s_waitcnt lgkmcnt(0)
	s_barrier
	buffer_gl0_inv
	ds_load_b128 v[78:81], v75
	ds_load_b128 v[82:85], v75 offset:16
	ds_load_b128 v[86:89], v75 offset:1024
	;; [unrolled: 1-line block ×3, first 2 shown]
	v_cmp_eq_u32_e64 s11, 1, v69
	v_cmp_eq_u32_e64 s16, 2, v69
	;; [unrolled: 1-line block ×11, first 2 shown]
	s_waitcnt lgkmcnt(3)
	v_lshrrev_b32_e32 v94, 16, v78
	s_waitcnt lgkmcnt(2)
	v_lshrrev_b32_e32 v98, 16, v82
	;; [unrolled: 2-line block ×4, first 2 shown]
	v_lshrrev_b32_e32 v95, 16, v79
	v_cndmask_b32_e64 v110, v78, v94, s5
	v_cndmask_b32_e64 v111, v82, v98, s5
	;; [unrolled: 1-line block ×8, first 2 shown]
	v_lshrrev_b32_e32 v99, 16, v83
	v_cndmask_b32_e64 v94, v86, v102, s5
	v_cndmask_b32_e64 v98, v90, v106, s5
	;; [unrolled: 1-line block ×15, first 2 shown]
	v_lshrrev_b32_e32 v103, 16, v87
	v_lshrrev_b32_e32 v107, 16, v91
	v_cndmask_b32_e64 v113, v115, v83, s16
	v_cndmask_b32_e64 v82, v94, v87, s6
	;; [unrolled: 1-line block ×7, first 2 shown]
	v_cndmask_b32_e32 v90, v102, v95, vcc_lo
	v_cndmask_b32_e32 v102, v106, v99, vcc_lo
	v_cndmask_b32_e64 v106, v110, v95, s15
	v_cndmask_b32_e64 v110, v111, v99, s15
	;; [unrolled: 1-line block ×4, first 2 shown]
	v_lshrrev_b32_e32 v96, 16, v80
	v_lshrrev_b32_e32 v100, 16, v84
	v_cndmask_b32_e64 v111, v112, v95, s18
	v_cndmask_b32_e64 v112, v113, v99, s18
	v_cndmask_b32_e32 v82, v82, v103, vcc_lo
	v_cndmask_b32_e32 v83, v83, v107, vcc_lo
	v_cndmask_b32_e64 v94, v94, v103, s15
	v_cndmask_b32_e64 v90, v90, v80, s4
	;; [unrolled: 1-line block ×7, first 2 shown]
	v_lshrrev_b32_e32 v104, 16, v88
	v_cndmask_b32_e64 v106, v111, v80, s22
	v_cndmask_b32_e64 v110, v112, v84, s22
	;; [unrolled: 1-line block ×11, first 2 shown]
	v_lshrrev_b32_e32 v97, 16, v81
	v_lshrrev_b32_e32 v101, 16, v85
	v_cndmask_b32_e64 v99, v106, v96, s24
	v_cndmask_b32_e64 v102, v110, v100, s24
	;; [unrolled: 1-line block ×7, first 2 shown]
	v_lshrrev_b32_e32 v105, 16, v89
	v_cndmask_b32_e64 v80, v80, v104, s7
	v_cndmask_b32_e64 v84, v84, v81, s8
	;; [unrolled: 1-line block ×16, first 2 shown]
	v_perm_b32 v81, v79, v78, 0x5040100
	v_perm_b32 v79, v95, v85, 0x5040100
	v_cndmask_b32_e64 v78, v119, v91, s16
	v_cndmask_b32_e64 v85, v117, v91, s13
	;; [unrolled: 1-line block ×3, first 2 shown]
	v_perm_b32 v80, v94, v90, 0x5040100
	v_cndmask_b32_e64 v90, v98, v103, s18
	v_cndmask_b32_e64 v86, v86, v103, s19
	;; [unrolled: 1-line block ×5, first 2 shown]
	v_lshrrev_b32_e32 v108, 16, v92
	v_cndmask_b32_e64 v90, v90, v88, s22
	v_cndmask_b32_e64 v86, v86, v88, s23
	;; [unrolled: 1-line block ×11, first 2 shown]
	v_lshrrev_b32_e32 v109, 16, v93
	v_cndmask_b32_e64 v82, v82, v93, s8
	v_cndmask_b32_e64 v88, v88, v89, s27
	;; [unrolled: 1-line block ×12, first 2 shown]
	v_perm_b32 v78, v84, v83, 0x5040100
	v_perm_b32 v85, v87, v86, 0x5040100
	;; [unrolled: 1-line block ×5, first 2 shown]
	s_mul_i32 s9, s35, 11
	s_mov_b32 s4, exec_lo
	ds_store_b128 v74, v[78:81]
	ds_store_b128 v74, v[82:85] offset:1024
	v_cmpx_gt_u32_e32 11, v0
	s_cbranch_execz .LBB1112_14
; %bb.13:
	s_mul_i32 s5, s9, s34
	s_load_b128 s[16:19], s[0:1], 0x58
	v_add3_u32 v68, s5, s33, v68
	s_delay_alu instid0(VALU_DEP_1) | instskip(NEXT) | instid1(VALU_DEP_1)
	v_mad_u64_u32 v[78:79], null, v68, s36, s[14:15]
	v_ashrrev_i32_e32 v79, 31, v78
	s_delay_alu instid0(VALU_DEP_1) | instskip(SKIP_1) | instid1(VALU_DEP_1)
	v_lshlrev_b64 v[78:79], 2, v[78:79]
	s_waitcnt lgkmcnt(0)
	v_add_co_u32 v80, vcc_lo, s18, v78
	s_delay_alu instid0(VALU_DEP_2)
	v_add_co_ci_u32_e32 v81, vcc_lo, s19, v79, vcc_lo
	v_add_co_u32 v78, vcc_lo, s16, v78
	v_add_co_ci_u32_e32 v79, vcc_lo, s17, v79, vcc_lo
	global_store_b32 v[80:81], v76, off
	global_store_b32 v[78:79], v77, off
.LBB1112_14:
	s_or_b32 exec_lo, exec_lo, s4
	s_waitcnt lgkmcnt(0)
	s_waitcnt_vscnt null, 0x0
	s_barrier
	buffer_gl0_inv
	ds_load_b128 v[84:87], v73
	ds_load_b128 v[88:91], v73 offset:16
	ds_load_b128 v[96:99], v73 offset:2064
	ds_load_b128 v[92:95], v73 offset:2048
	ds_load_b128 v[104:107], v73 offset:4112
	ds_load_b128 v[100:103], v73 offset:4096
	v_cmp_eq_u32_e32 vcc_lo, 1, v70
	v_mov_b32_e32 v76, 0
	ds_load_b128 v[112:115], v73 offset:6160
	ds_load_b128 v[108:111], v73 offset:6144
	;; [unrolled: 1-line block ×4, first 2 shown]
	v_cmp_eq_u32_e64 s5, 1, v69
	v_cmp_eq_u32_e64 s4, 1, v72
	v_cmp_eq_u32_e64 s6, 2, v72
	v_mov_b32_e32 v77, v76
	v_mov_b32_e32 v78, v76
	v_mov_b32_e32 v79, v76
	v_mov_b32_e32 v80, v76
	v_mov_b32_e32 v81, v76
	v_mov_b32_e32 v82, v76
	v_mov_b32_e32 v83, v76
	v_cmp_eq_u32_e64 s7, 3, v72
	v_cmp_eq_u32_e64 s8, 7, v72
	s_waitcnt lgkmcnt(8)
	s_delay_alu instid0(VALU_DEP_3)
	v_wmma_f32_16x16x16_f16 v[76:83], v[49:56], v[84:91], v[76:83]
	ds_load_b128 v[53:56], v73 offset:10256
	ds_load_b128 v[49:52], v73 offset:10240
	s_waitcnt lgkmcnt(8)
	v_wmma_f32_16x16x16_f16 v[76:83], v[41:48], v[92:99], v[76:83]
	ds_load_b128 v[45:48], v73 offset:12304
	ds_load_b128 v[41:44], v73 offset:12288
	s_waitcnt lgkmcnt(8)
	;; [unrolled: 4-line block ×3, first 2 shown]
	s_barrier
	buffer_gl0_inv
	v_wmma_f32_16x16x16_f16 v[76:83], v[1:8], v[108:115], v[76:83]
	s_delay_alu instid0(VALU_DEP_1) | instskip(NEXT) | instid1(VALU_DEP_1)
	v_wmma_f32_16x16x16_f16 v[76:83], v[9:16], v[116:123], v[76:83]
	v_wmma_f32_16x16x16_f16 v[76:83], v[17:24], v[49:56], v[76:83]
	s_delay_alu instid0(VALU_DEP_1) | instskip(NEXT) | instid1(VALU_DEP_1)
	v_wmma_f32_16x16x16_f16 v[76:83], v[25:32], v[41:48], v[76:83]
	v_wmma_f32_16x16x16_f16 v[76:83], v[57:64], v[33:40], v[76:83]
	s_delay_alu instid0(VALU_DEP_1) | instskip(NEXT) | instid1(VALU_DEP_2)
	v_cvt_f16_f32_e32 v1, v76
	v_cvt_f16_f32_e32 v2, v77
	s_delay_alu instid0(VALU_DEP_3) | instskip(NEXT) | instid1(VALU_DEP_4)
	v_cvt_f16_f32_e32 v3, v78
	v_cvt_f16_f32_e32 v4, v79
	;; [unrolled: 1-line block ×6, first 2 shown]
	v_pack_b32_f16 v1, v1, v2
	v_pack_b32_f16 v2, v3, v4
	;; [unrolled: 1-line block ×3, first 2 shown]
	s_delay_alu instid0(VALU_DEP_4)
	v_pack_b32_f16 v4, v7, v8
	ds_store_b128 v74, v[1:4]
	s_waitcnt lgkmcnt(0)
	s_barrier
	buffer_gl0_inv
	ds_load_b128 v[1:4], v75
	ds_load_b128 v[5:8], v75 offset:16
	s_waitcnt lgkmcnt(1)
	v_lshrrev_b32_e32 v9, 16, v1
	s_waitcnt lgkmcnt(0)
	v_lshrrev_b32_e32 v13, 16, v5
	v_lshrrev_b32_e32 v10, 16, v2
	;; [unrolled: 1-line block ×4, first 2 shown]
	v_cndmask_b32_e32 v17, v1, v9, vcc_lo
	v_cndmask_b32_e32 v18, v5, v13, vcc_lo
	v_cndmask_b32_e64 v21, v1, v9, s5
	v_cmp_eq_u32_e32 vcc_lo, 1, v71
	v_cndmask_b32_e64 v22, v5, v13, s5
	v_cmp_eq_u32_e64 s5, 2, v70
	v_cndmask_b32_e64 v19, v1, v9, s4
	v_cndmask_b32_e64 v20, v5, v13, s4
	v_cndmask_b32_e32 v1, v1, v9, vcc_lo
	v_cmp_eq_u32_e64 s4, 2, v71
	v_cndmask_b32_e32 v5, v5, v13, vcc_lo
	v_cndmask_b32_e64 v9, v17, v2, s5
	v_cmp_eq_u32_e32 vcc_lo, 3, v70
	v_cndmask_b32_e64 v13, v18, v6, s5
	v_cmp_eq_u32_e64 s5, 2, v69
	v_cndmask_b32_e64 v17, v19, v2, s6
	v_cndmask_b32_e64 v18, v20, v6, s6
	v_cmp_eq_u32_e64 s6, 3, v69
	v_cndmask_b32_e64 v1, v1, v2, s4
	v_cndmask_b32_e64 v19, v21, v2, s5
	;; [unrolled: 1-line block ×4, first 2 shown]
	v_cndmask_b32_e32 v5, v9, v10, vcc_lo
	v_cndmask_b32_e32 v6, v13, v14, vcc_lo
	v_cmp_eq_u32_e32 vcc_lo, 3, v71
	v_cndmask_b32_e64 v9, v17, v10, s7
	v_cndmask_b32_e64 v13, v18, v14, s7
	;; [unrolled: 1-line block ×3, first 2 shown]
	v_cmp_eq_u32_e64 s5, 4, v70
	v_cndmask_b32_e32 v1, v1, v10, vcc_lo
	v_cndmask_b32_e32 v2, v2, v14, vcc_lo
	v_cmp_eq_u32_e32 vcc_lo, 4, v72
	v_lshrrev_b32_e32 v15, 16, v7
	v_lshrrev_b32_e32 v16, 16, v8
	v_cndmask_b32_e64 v17, v19, v10, s6
	v_cmp_eq_u32_e64 s4, 4, v71
	v_cndmask_b32_e64 v5, v5, v3, s5
	v_cndmask_b32_e64 v6, v6, v7, s5
	v_cndmask_b32_e32 v9, v9, v3, vcc_lo
	v_cmp_eq_u32_e64 s5, 5, v72
	v_cndmask_b32_e32 v10, v13, v7, vcc_lo
	v_cmp_eq_u32_e32 vcc_lo, 4, v69
	v_cmp_eq_u32_e64 s6, 5, v70
	v_cndmask_b32_e64 v2, v2, v7, s4
	v_cndmask_b32_e64 v9, v9, v11, s5
	;; [unrolled: 1-line block ×3, first 2 shown]
	v_cndmask_b32_e32 v13, v17, v3, vcc_lo
	v_cmp_eq_u32_e64 s5, 5, v69
	v_cndmask_b32_e32 v14, v18, v7, vcc_lo
	v_cndmask_b32_e64 v1, v1, v3, s4
	v_cmp_eq_u32_e32 vcc_lo, 5, v71
	v_lshrrev_b32_e32 v12, 16, v4
	v_cndmask_b32_e64 v13, v13, v11, s5
	v_cndmask_b32_e64 v3, v14, v15, s5
	v_cmp_eq_u32_e64 s5, 6, v71
	v_cndmask_b32_e32 v1, v1, v11, vcc_lo
	v_cndmask_b32_e64 v5, v5, v11, s6
	v_cmp_eq_u32_e64 s7, 6, v70
	v_cndmask_b32_e64 v6, v6, v15, s6
	v_cmp_eq_u32_e64 s6, 6, v72
	v_cmp_eq_u32_e64 s4, 6, v69
	v_cndmask_b32_e64 v1, v1, v4, s5
	v_cndmask_b32_e32 v2, v2, v15, vcc_lo
	v_cmp_eq_u32_e32 vcc_lo, 7, v71
	v_cndmask_b32_e64 v5, v5, v4, s7
	v_cndmask_b32_e64 v9, v9, v4, s6
	;; [unrolled: 1-line block ×3, first 2 shown]
	v_cmp_eq_u32_e64 s7, 7, v70
	v_cndmask_b32_e32 v1, v1, v12, vcc_lo
	v_cndmask_b32_e64 v7, v13, v4, s4
	v_cndmask_b32_e64 v3, v3, v8, s4
	;; [unrolled: 1-line block ×3, first 2 shown]
	v_cmp_eq_u32_e64 s4, 7, v69
	v_cndmask_b32_e64 v4, v10, v8, s6
	v_cndmask_b32_e64 v5, v5, v12, s7
	;; [unrolled: 1-line block ×3, first 2 shown]
	v_cndmask_b32_e32 v2, v2, v16, vcc_lo
	v_cndmask_b32_e64 v7, v7, v12, s4
	v_cndmask_b32_e64 v3, v3, v16, s4
	v_cndmask_b32_e64 v8, v4, v16, s8
	v_cndmask_b32_e64 v6, v6, v16, s7
	v_cmp_gt_u32_e32 vcc_lo, 32, v0
	v_perm_b32 v4, v2, v1, 0x5040100
	v_perm_b32 v3, v3, v7, 0x5040100
	;; [unrolled: 1-line block ×4, first 2 shown]
	s_and_b32 s2, vcc_lo, s2
	ds_store_b128 v74, v[1:4]
	s_waitcnt lgkmcnt(0)
	s_barrier
	buffer_gl0_inv
	s_and_saveexec_b32 s4, s2
	s_cbranch_execz .LBB1112_2
; %bb.15:
	s_load_b64 s[4:5], s[0:1], 0x68
	v_lshlrev_b32_e32 v0, 10, v0
	v_lshlrev_b32_e32 v1, 4, v67
	s_lshl_b32 s0, s36, 6
	v_add_nc_u32_e32 v7, s33, v66
	s_mul_i32 s1, s0, s34
	s_delay_alu instid0(SALU_CYCLE_1) | instskip(SKIP_1) | instid1(VALU_DEP_2)
	s_mul_i32 s6, s1, s9
	v_and_or_b32 v0, 0x3800, v0, v1
	v_mul_lo_u32 v1, v7, s0
	v_add_nc_u32_e32 v2, 2, v7
	s_ashr_i32 s7, s6, 31
	v_add_nc_u32_e32 v4, 4, v7
	s_lshl_b64 s[6:7], s[6:7], 1
	v_add_nc_u32_e32 v8, 6, v7
	v_mul_lo_u32 v3, v2, s0
	v_lshl_or_b32 v19, v66, 6, v0
	v_ashrrev_i32_e32 v2, 31, v1
	v_mul_lo_u32 v11, v4, s0
	v_mul_lo_u32 v25, v8, s0
	s_waitcnt lgkmcnt(0)
	s_add_u32 s1, s4, s6
	s_addc_u32 s2, s5, s7
	s_lshl_b32 s4, s14, 6
	v_lshlrev_b64 v[5:6], 1, v[1:2]
	s_ashr_i32 s5, s4, 31
	v_ashrrev_i32_e32 v4, 31, v3
	s_lshl_b64 s[4:5], s[4:5], 1
	v_ashrrev_i32_e32 v12, 31, v11
	s_add_u32 s1, s1, s4
	s_addc_u32 s2, s2, s5
	v_add_co_u32 v1, s1, s1, v65
	s_delay_alu instid0(VALU_DEP_1) | instskip(SKIP_1) | instid1(VALU_DEP_3)
	v_add_co_ci_u32_e64 v2, null, s2, 0, s1
	v_lshlrev_b64 v[3:4], 1, v[3:4]
	v_add_co_u32 v23, vcc_lo, v1, v5
	v_add_nc_u32_e32 v5, 8, v7
	s_delay_alu instid0(VALU_DEP_4) | instskip(NEXT) | instid1(VALU_DEP_4)
	v_add_co_ci_u32_e32 v24, vcc_lo, v2, v6, vcc_lo
	v_add_co_u32 v27, vcc_lo, v1, v3
	s_delay_alu instid0(VALU_DEP_3)
	v_mul_lo_u32 v29, v5, s0
	v_add_co_ci_u32_e32 v28, vcc_lo, v2, v4, vcc_lo
	ds_load_b128 v[3:6], v19
	ds_load_b128 v[7:10], v19 offset:128
	v_lshlrev_b64 v[31:32], 1, v[11:12]
	ds_load_b128 v[11:14], v19 offset:256
	ds_load_b128 v[15:18], v19 offset:384
	;; [unrolled: 1-line block ×3, first 2 shown]
	v_ashrrev_i32_e32 v26, 31, v25
	v_ashrrev_i32_e32 v30, 31, v29
	v_add_co_u32 v31, vcc_lo, v1, v31
	s_delay_alu instid0(VALU_DEP_3) | instskip(NEXT) | instid1(VALU_DEP_3)
	v_lshlrev_b64 v[25:26], 1, v[25:26]
	v_lshlrev_b64 v[29:30], 1, v[29:30]
	v_add_co_ci_u32_e32 v32, vcc_lo, v2, v32, vcc_lo
	s_delay_alu instid0(VALU_DEP_3) | instskip(NEXT) | instid1(VALU_DEP_4)
	v_add_co_u32 v25, vcc_lo, v1, v25
	v_add_co_ci_u32_e32 v26, vcc_lo, v2, v26, vcc_lo
	s_delay_alu instid0(VALU_DEP_4)
	v_add_co_u32 v29, vcc_lo, v1, v29
	v_add_co_ci_u32_e32 v30, vcc_lo, v2, v30, vcc_lo
	s_waitcnt lgkmcnt(4)
	global_store_b128 v[23:24], v[3:6], off
	s_waitcnt lgkmcnt(3)
	global_store_b128 v[27:28], v[7:10], off
	;; [unrolled: 2-line block ×5, first 2 shown]
	s_and_b32 exec_lo, exec_lo, s3
	s_cbranch_execz .LBB1112_2
; %bb.16:
	ds_load_b128 v[3:6], v0 offset:640
	s_add_i32 s1, s33, 10
	s_delay_alu instid0(SALU_CYCLE_1) | instskip(NEXT) | instid1(SALU_CYCLE_1)
	s_mul_i32 s0, s1, s0
	s_ashr_i32 s1, s0, 31
	s_delay_alu instid0(SALU_CYCLE_1) | instskip(NEXT) | instid1(SALU_CYCLE_1)
	s_lshl_b64 s[0:1], s[0:1], 1
	v_add_co_u32 v0, vcc_lo, v1, s0
	v_add_co_ci_u32_e32 v1, vcc_lo, s1, v2, vcc_lo
	s_waitcnt lgkmcnt(0)
	global_store_b128 v[0:1], v[3:6], off
	s_nop 0
	s_sendmsg sendmsg(MSG_DEALLOC_VGPRS)
	s_endpgm
	.section	.rodata,"a",@progbits
	.p2align	6, 0x0
	.amdhsa_kernel _Z39paged_attention_ll4mi_QKV_mfma16_kernelIDF16_hLN4vllm18Fp8KVCacheDataTypeE1EhLi16ELi64ELi256ELb0ELi11EL8MFMAType0EEvPKT_PKT0_S8_ifPKiSA_SA_iPKfiiiPfSD_PS3_PT2_iSC_SC_
		.amdhsa_group_segment_fixed_size 17472
		.amdhsa_private_segment_fixed_size 0
		.amdhsa_kernarg_size 400
		.amdhsa_user_sgpr_count 13
		.amdhsa_user_sgpr_dispatch_ptr 0
		.amdhsa_user_sgpr_queue_ptr 0
		.amdhsa_user_sgpr_kernarg_segment_ptr 1
		.amdhsa_user_sgpr_dispatch_id 0
		.amdhsa_user_sgpr_private_segment_size 0
		.amdhsa_wavefront_size32 1
		.amdhsa_uses_dynamic_stack 0
		.amdhsa_enable_private_segment 0
		.amdhsa_system_sgpr_workgroup_id_x 1
		.amdhsa_system_sgpr_workgroup_id_y 1
		.amdhsa_system_sgpr_workgroup_id_z 1
		.amdhsa_system_sgpr_workgroup_info 0
		.amdhsa_system_vgpr_workitem_id 0
		.amdhsa_next_free_vgpr 146
		.amdhsa_next_free_sgpr 37
		.amdhsa_reserve_vcc 1
		.amdhsa_float_round_mode_32 0
		.amdhsa_float_round_mode_16_64 0
		.amdhsa_float_denorm_mode_32 3
		.amdhsa_float_denorm_mode_16_64 3
		.amdhsa_dx10_clamp 1
		.amdhsa_ieee_mode 1
		.amdhsa_fp16_overflow 0
		.amdhsa_workgroup_processor_mode 1
		.amdhsa_memory_ordered 1
		.amdhsa_forward_progress 0
		.amdhsa_shared_vgpr_count 0
		.amdhsa_exception_fp_ieee_invalid_op 0
		.amdhsa_exception_fp_denorm_src 0
		.amdhsa_exception_fp_ieee_div_zero 0
		.amdhsa_exception_fp_ieee_overflow 0
		.amdhsa_exception_fp_ieee_underflow 0
		.amdhsa_exception_fp_ieee_inexact 0
		.amdhsa_exception_int_div_zero 0
	.end_amdhsa_kernel
	.section	.text._Z39paged_attention_ll4mi_QKV_mfma16_kernelIDF16_hLN4vllm18Fp8KVCacheDataTypeE1EhLi16ELi64ELi256ELb0ELi11EL8MFMAType0EEvPKT_PKT0_S8_ifPKiSA_SA_iPKfiiiPfSD_PS3_PT2_iSC_SC_,"axG",@progbits,_Z39paged_attention_ll4mi_QKV_mfma16_kernelIDF16_hLN4vllm18Fp8KVCacheDataTypeE1EhLi16ELi64ELi256ELb0ELi11EL8MFMAType0EEvPKT_PKT0_S8_ifPKiSA_SA_iPKfiiiPfSD_PS3_PT2_iSC_SC_,comdat
.Lfunc_end1112:
	.size	_Z39paged_attention_ll4mi_QKV_mfma16_kernelIDF16_hLN4vllm18Fp8KVCacheDataTypeE1EhLi16ELi64ELi256ELb0ELi11EL8MFMAType0EEvPKT_PKT0_S8_ifPKiSA_SA_iPKfiiiPfSD_PS3_PT2_iSC_SC_, .Lfunc_end1112-_Z39paged_attention_ll4mi_QKV_mfma16_kernelIDF16_hLN4vllm18Fp8KVCacheDataTypeE1EhLi16ELi64ELi256ELb0ELi11EL8MFMAType0EEvPKT_PKT0_S8_ifPKiSA_SA_iPKfiiiPfSD_PS3_PT2_iSC_SC_
                                        ; -- End function
	.section	.AMDGPU.csdata,"",@progbits
; Kernel info:
; codeLenInByte = 6640
; NumSgprs: 39
; NumVgprs: 146
; ScratchSize: 0
; MemoryBound: 0
; FloatMode: 240
; IeeeMode: 1
; LDSByteSize: 17472 bytes/workgroup (compile time only)
; SGPRBlocks: 4
; VGPRBlocks: 18
; NumSGPRsForWavesPerEU: 39
; NumVGPRsForWavesPerEU: 146
; Occupancy: 9
; WaveLimiterHint : 1
; COMPUTE_PGM_RSRC2:SCRATCH_EN: 0
; COMPUTE_PGM_RSRC2:USER_SGPR: 13
; COMPUTE_PGM_RSRC2:TRAP_HANDLER: 0
; COMPUTE_PGM_RSRC2:TGID_X_EN: 1
; COMPUTE_PGM_RSRC2:TGID_Y_EN: 1
; COMPUTE_PGM_RSRC2:TGID_Z_EN: 1
; COMPUTE_PGM_RSRC2:TIDIG_COMP_CNT: 0
	.section	.text._Z39paged_attention_ll4mi_QKV_mfma16_kernelIDF16_hLN4vllm18Fp8KVCacheDataTypeE1EhLi16ELi64ELi256ELb0ELi12EL8MFMAType0EEvPKT_PKT0_S8_ifPKiSA_SA_iPKfiiiPfSD_PS3_PT2_iSC_SC_,"axG",@progbits,_Z39paged_attention_ll4mi_QKV_mfma16_kernelIDF16_hLN4vllm18Fp8KVCacheDataTypeE1EhLi16ELi64ELi256ELb0ELi12EL8MFMAType0EEvPKT_PKT0_S8_ifPKiSA_SA_iPKfiiiPfSD_PS3_PT2_iSC_SC_,comdat
	.protected	_Z39paged_attention_ll4mi_QKV_mfma16_kernelIDF16_hLN4vllm18Fp8KVCacheDataTypeE1EhLi16ELi64ELi256ELb0ELi12EL8MFMAType0EEvPKT_PKT0_S8_ifPKiSA_SA_iPKfiiiPfSD_PS3_PT2_iSC_SC_ ; -- Begin function _Z39paged_attention_ll4mi_QKV_mfma16_kernelIDF16_hLN4vllm18Fp8KVCacheDataTypeE1EhLi16ELi64ELi256ELb0ELi12EL8MFMAType0EEvPKT_PKT0_S8_ifPKiSA_SA_iPKfiiiPfSD_PS3_PT2_iSC_SC_
	.globl	_Z39paged_attention_ll4mi_QKV_mfma16_kernelIDF16_hLN4vllm18Fp8KVCacheDataTypeE1EhLi16ELi64ELi256ELb0ELi12EL8MFMAType0EEvPKT_PKT0_S8_ifPKiSA_SA_iPKfiiiPfSD_PS3_PT2_iSC_SC_
	.p2align	8
	.type	_Z39paged_attention_ll4mi_QKV_mfma16_kernelIDF16_hLN4vllm18Fp8KVCacheDataTypeE1EhLi16ELi64ELi256ELb0ELi12EL8MFMAType0EEvPKT_PKT0_S8_ifPKiSA_SA_iPKfiiiPfSD_PS3_PT2_iSC_SC_,@function
_Z39paged_attention_ll4mi_QKV_mfma16_kernelIDF16_hLN4vllm18Fp8KVCacheDataTypeE1EhLi16ELi64ELi256ELb0ELi12EL8MFMAType0EEvPKT_PKT0_S8_ifPKiSA_SA_iPKfiiiPfSD_PS3_PT2_iSC_SC_: ; @_Z39paged_attention_ll4mi_QKV_mfma16_kernelIDF16_hLN4vllm18Fp8KVCacheDataTypeE1EhLi16ELi64ELi256ELb0ELi12EL8MFMAType0EEvPKT_PKT0_S8_ifPKiSA_SA_iPKfiiiPfSD_PS3_PT2_iSC_SC_
; %bb.0:
	s_load_b64 s[2:3], s[0:1], 0x30
	s_mov_b32 s34, s13
	s_waitcnt lgkmcnt(0)
	s_cmp_lg_u64 s[2:3], 0
	s_cselect_b32 s6, -1, 0
	s_ashr_i32 s35, s13, 31
	s_cmp_eq_u64 s[2:3], 0
	s_cbranch_scc1 .LBB1113_3
; %bb.1:
	s_lshl_b64 s[4:5], s[34:35], 2
	s_delay_alu instid0(SALU_CYCLE_1) | instskip(SKIP_4) | instid1(SALU_CYCLE_1)
	s_add_u32 s4, s2, s4
	s_addc_u32 s5, s3, s5
	s_load_b64 s[4:5], s[4:5], 0x0
	s_waitcnt lgkmcnt(0)
	s_sub_i32 s4, s5, s4
	s_cmp_eq_u32 s4, 1
	s_cselect_b32 s4, -1, 0
	s_delay_alu instid0(SALU_CYCLE_1)
	s_and_not1_b32 vcc_lo, exec_lo, s4
	s_cbranch_vccz .LBB1113_4
.LBB1113_2:
	s_endpgm
.LBB1113_3:
.LBB1113_4:
	s_load_b64 s[8:9], s[0:1], 0x28
	s_lshl_b64 s[4:5], s[34:35], 2
	s_waitcnt lgkmcnt(0)
	s_add_u32 s8, s8, s4
	s_addc_u32 s9, s9, s5
	s_lshl_b32 s16, s14, 8
	s_load_b32 s18, s[8:9], 0x0
	s_waitcnt lgkmcnt(0)
	s_cmp_ge_i32 s16, s18
	s_cbranch_scc1 .LBB1113_2
; %bb.5:
	s_clause 0x1
	s_load_b128 s[8:11], s[0:1], 0x8
	s_load_b64 s[12:13], s[0:1], 0x20
	s_and_not1_b32 vcc_lo, exec_lo, s6
	s_cbranch_vccnz .LBB1113_7
; %bb.6:
	s_add_u32 s2, s2, s4
	s_addc_u32 s3, s3, s5
	s_load_b32 s3, s[2:3], 0x0
	s_branch .LBB1113_8
.LBB1113_7:
	s_mov_b32 s3, s34
.LBB1113_8:
	s_load_b128 s[4:7], s[0:1], 0x48
	v_and_b32_e32 v68, 15, v0
	v_cmp_gt_u32_e32 vcc_lo, 0xc0, v0
	v_lshrrev_b32_e32 v69, 5, v0
	v_and_b32_e32 v70, 31, v0
	v_and_b32_e32 v67, 1, v0
	v_lshlrev_b32_e32 v1, 3, v68
	v_cmp_gt_u32_e64 s2, 8, v68
	v_bfe_u32 v66, v0, 4, 1
	s_mul_i32 s31, s15, 12
	s_delay_alu instid0(VALU_DEP_3) | instskip(NEXT) | instid1(VALU_DEP_3)
	v_lshlrev_b32_e32 v65, 1, v1
	s_and_b32 s17, vcc_lo, s2
	s_waitcnt lgkmcnt(0)
	s_and_saveexec_b32 s7, s17
	s_cbranch_execz .LBB1113_10
; %bb.9:
	s_load_b64 s[20:21], s[0:1], 0x0
	v_lshl_or_b32 v5, v69, 1, v66
	s_mul_hi_i32 s23, s3, s4
	s_mul_i32 s22, s3, s4
	v_lshlrev_b32_e32 v6, 10, v68
	s_lshl_b64 s[22:23], s[22:23], 1
	v_add_lshl_u32 v1, v5, s31, 6
	v_lshlrev_b32_e32 v5, 6, v5
	v_lshlrev_b32_e32 v7, 10, v67
	v_and_b32_e32 v6, 0x3800, v6
	s_delay_alu instid0(VALU_DEP_4) | instskip(NEXT) | instid1(VALU_DEP_2)
	v_ashrrev_i32_e32 v2, 31, v1
	v_or3_b32 v5, v6, v7, v5
	s_delay_alu instid0(VALU_DEP_2) | instskip(SKIP_3) | instid1(VALU_DEP_1)
	v_lshlrev_b64 v[1:2], 1, v[1:2]
	s_waitcnt lgkmcnt(0)
	s_add_u32 s3, s20, s22
	s_addc_u32 s4, s21, s23
	v_add_co_u32 v1, vcc_lo, s3, v1
	s_delay_alu instid0(VALU_DEP_2) | instskip(NEXT) | instid1(VALU_DEP_2)
	v_add_co_ci_u32_e32 v2, vcc_lo, s4, v2, vcc_lo
	v_add_co_u32 v1, vcc_lo, v1, v65
	s_delay_alu instid0(VALU_DEP_2)
	v_add_co_ci_u32_e32 v2, vcc_lo, 0, v2, vcc_lo
	global_load_b128 v[1:4], v[1:2], off
	s_waitcnt vmcnt(0)
	ds_store_b128 v5, v[1:4]
.LBB1113_10:
	s_or_b32 exec_lo, exec_lo, s7
	v_and_b32_e32 v1, 0xef, v0
	s_add_i32 s3, s18, 15
	s_clause 0x1
	s_load_b32 s4, s[0:1], 0x38
	s_load_b32 s33, s[0:1], 0x98
	s_ashr_i32 s7, s3, 31
	v_add_nc_u32_e32 v1, s16, v1
	s_lshr_b32 s7, s7, 28
	s_load_b32 s19, s[0:1], 0x1c
	v_add_nc_u32_e32 v103, -12, v68
	s_add_i32 s3, s3, s7
	v_ashrrev_i32_e32 v2, 31, v1
	v_or_b32_e32 v3, 16, v1
	s_ashr_i32 s3, s3, 4
	v_cmp_gt_i32_e32 vcc_lo, s18, v1
	s_add_i32 s3, s3, -1
	v_lshrrev_b32_e32 v2, 28, v2
	s_waitcnt lgkmcnt(0)
	s_barrier
	buffer_gl0_inv
	s_mul_i32 s15, s15, s6
	v_add_nc_u32_e32 v4, v1, v2
	v_mbcnt_lo_u32_b32 v127, -1, 0
	s_mul_i32 s20, s34, s4
	s_delay_alu instid0(SALU_CYCLE_1) | instskip(NEXT) | instid1(VALU_DEP_2)
	s_ashr_i32 s21, s20, 31
	v_ashrrev_i32_e32 v4, 4, v4
	v_add_nc_u32_e32 v2, v3, v2
	s_lshl_b64 s[20:21], s[20:21], 2
	v_xor_b32_e32 v128, 16, v127
	s_add_u32 s17, s12, s20
	v_cndmask_b32_e32 v1, s3, v4, vcc_lo
	v_ashrrev_i32_e32 v2, 4, v2
	v_cmp_gt_i32_e32 vcc_lo, s18, v3
	s_addc_u32 s13, s13, s21
	s_ashr_i32 s20, s15, 31
	s_add_u32 s4, s8, s15
	s_addc_u32 s12, s9, s20
	v_cndmask_b32_e32 v3, s3, v2, vcc_lo
	v_ashrrev_i32_e32 v2, 31, v1
	s_lshl_b32 s6, s14, 4
	s_delay_alu instid0(SALU_CYCLE_1) | instskip(NEXT) | instid1(VALU_DEP_2)
	s_ashr_i32 s7, s6, 31
	v_ashrrev_i32_e32 v4, 31, v3
	s_delay_alu instid0(VALU_DEP_2) | instskip(SKIP_1) | instid1(SALU_CYCLE_1)
	v_lshlrev_b64 v[1:2], 2, v[1:2]
	s_lshl_b64 s[6:7], s[6:7], 2
	s_add_u32 s6, s17, s6
	s_delay_alu instid0(VALU_DEP_2) | instskip(SKIP_1) | instid1(VALU_DEP_2)
	v_lshlrev_b64 v[3:4], 2, v[3:4]
	s_addc_u32 s7, s13, s7
	v_add_co_u32 v1, vcc_lo, s17, v1
	v_add_co_ci_u32_e32 v2, vcc_lo, s13, v2, vcc_lo
	s_delay_alu instid0(VALU_DEP_3) | instskip(NEXT) | instid1(VALU_DEP_4)
	v_add_co_u32 v3, vcc_lo, s17, v3
	v_add_co_ci_u32_e32 v4, vcc_lo, s13, v4, vcc_lo
	s_clause 0x1
	global_load_b32 v5, v[1:2], off
	global_load_b32 v7, v[3:4], off
	s_or_b32 s8, s16, 32
	v_lshlrev_b32_e32 v1, 4, v0
	s_ashr_i32 s9, s8, 4
	s_cmp_lt_i32 s8, s18
	v_cmp_gt_u32_e32 vcc_lo, 12, v68
	s_cselect_b32 s8, s9, s3
	v_and_b32_e32 v1, 0xf0, v1
	s_ashr_i32 s9, s8, 31
	s_delay_alu instid0(SALU_CYCLE_1)
	s_lshl_b64 s[8:9], s[8:9], 2
	v_cndmask_b32_e32 v103, v103, v68, vcc_lo
	s_add_u32 s8, s17, s8
	s_addc_u32 s9, s13, s9
	s_or_b32 s21, s16, 64
	v_add_co_u32 v1, s4, s4, v1
	s_ashr_i32 s22, s21, 4
	s_cmp_lt_i32 s21, s18
	v_add_co_ci_u32_e64 v2, null, s12, 0, s4
	s_cselect_b32 s22, s22, s3
	v_cmp_gt_i32_e32 vcc_lo, 32, v128
	s_ashr_i32 s23, s22, 31
	v_lshlrev_b32_e32 v115, 6, v103
	s_lshl_b64 s[22:23], s[22:23], 2
	v_cndmask_b32_e32 v136, v127, v128, vcc_lo
	s_add_u32 s22, s17, s22
	s_addc_u32 s23, s13, s23
	s_or_b32 s21, s16, 0x60
	s_delay_alu instid0(SALU_CYCLE_1) | instskip(SKIP_2) | instid1(SALU_CYCLE_1)
	s_ashr_i32 s24, s21, 4
	s_cmp_lt_i32 s21, s18
	s_cselect_b32 s24, s24, s3
	s_ashr_i32 s25, s24, 31
	s_delay_alu instid0(SALU_CYCLE_1) | instskip(NEXT) | instid1(SALU_CYCLE_1)
	s_lshl_b64 s[24:25], s[24:25], 2
	s_add_u32 s24, s17, s24
	s_addc_u32 s25, s13, s25
	s_or_b32 s21, s16, 0x80
	s_delay_alu instid0(SALU_CYCLE_1) | instskip(SKIP_2) | instid1(SALU_CYCLE_1)
	s_ashr_i32 s26, s21, 4
	s_cmp_lt_i32 s21, s18
	s_cselect_b32 s26, s26, s3
	s_ashr_i32 s27, s26, 31
	s_delay_alu instid0(SALU_CYCLE_1) | instskip(NEXT) | instid1(SALU_CYCLE_1)
	s_lshl_b64 s[26:27], s[26:27], 2
	;; [unrolled: 10-line block ×3, first 2 shown]
	s_add_u32 s28, s17, s28
	s_addc_u32 s29, s13, s29
	s_clause 0x5
	s_load_b32 s12, s[6:7], 0x0
	s_load_b32 s4, s[8:9], 0x0
	;; [unrolled: 1-line block ×6, first 2 shown]
	s_or_b32 s21, s16, 0xc0
	s_delay_alu instid0(SALU_CYCLE_1) | instskip(SKIP_2) | instid1(SALU_CYCLE_1)
	s_ashr_i32 s22, s21, 4
	s_cmp_lt_i32 s21, s18
	s_cselect_b32 s22, s22, s3
	s_ashr_i32 s23, s22, 31
	s_delay_alu instid0(SALU_CYCLE_1) | instskip(NEXT) | instid1(SALU_CYCLE_1)
	s_lshl_b64 s[22:23], s[22:23], 2
	s_add_u32 s22, s17, s22
	s_addc_u32 s23, s13, s23
	s_or_b32 s21, s16, 0xe0
	s_delay_alu instid0(SALU_CYCLE_1) | instskip(SKIP_2) | instid1(SALU_CYCLE_1)
	s_ashr_i32 s24, s21, 4
	s_cmp_lt_i32 s21, s18
	s_cselect_b32 s24, s24, s3
	s_ashr_i32 s25, s24, 31
	s_delay_alu instid0(SALU_CYCLE_1)
	s_lshl_b64 s[24:25], s[24:25], 2
	s_waitcnt vmcnt(1)
	v_mad_i64_i32 v[3:4], null, v5, s5, v[1:2]
	s_waitcnt vmcnt(0)
	v_mad_i64_i32 v[5:6], null, v7, s5, v[1:2]
	v_lshlrev_b32_e32 v1, 4, v68
	s_clause 0x7
	global_load_b128 v[71:74], v[3:4], off
	global_load_b128 v[75:78], v[3:4], off offset:256
	global_load_b128 v[79:82], v[5:6], off
	global_load_b128 v[83:86], v[5:6], off offset:256
	global_load_b128 v[87:90], v[3:4], off offset:512
	;; [unrolled: 1-line block ×5, first 2 shown]
	v_lshl_or_b32 v1, v69, 8, v1
	s_load_b32 s3, s[22:23], 0x0
	s_add_u32 s22, s17, s24
	s_addc_u32 s23, s13, s25
	s_add_u32 s10, s10, s15
	s_addc_u32 s11, s11, s20
	v_add_co_u32 v1, s10, s10, v1
	s_delay_alu instid0(VALU_DEP_1) | instskip(SKIP_2) | instid1(VALU_DEP_1)
	v_add_co_ci_u32_e64 v2, null, s11, 0, s10
	s_load_b32 s10, s[22:23], 0x0
	s_waitcnt lgkmcnt(0)
	v_mad_i64_i32 v[3:4], null, s12, s5, v[1:2]
	v_mad_i64_i32 v[9:10], null, s7, s5, v[1:2]
	;; [unrolled: 1-line block ×7, first 2 shown]
	s_clause 0x5
	global_load_b128 v[49:52], v[3:4], off
	global_load_b128 v[53:56], v[3:4], off offset:16
	global_load_b128 v[41:44], v[5:6], off
	global_load_b128 v[45:48], v[5:6], off offset:16
	;; [unrolled: 2-line block ×3, first 2 shown]
	s_mov_b32 s4, 0
	v_mad_i64_i32 v[61:62], null, s10, s5, v[1:2]
	s_clause 0x9
	global_load_b128 v[1:4], v[9:10], off
	global_load_b128 v[5:8], v[9:10], off offset:16
	global_load_b128 v[9:12], v[13:14], off
	global_load_b128 v[13:16], v[13:14], off offset:16
	global_load_b128 v[17:20], v[21:22], off
	global_load_b128 v[21:24], v[21:22], off offset:16
	global_load_b128 v[25:28], v[29:30], off
	global_load_b128 v[29:32], v[29:30], off offset:16
	global_load_b128 v[57:60], v[61:62], off
	global_load_b128 v[61:64], v[61:62], off offset:16
	s_mov_b32 s5, s4
	s_mov_b32 s6, s4
	s_mov_b32 s7, s4
	s_mov_b32 s8, s4
	s_mov_b32 s9, s4
	s_mov_b32 s10, s4
	s_mov_b32 s11, s4
	v_and_b32_e32 v104, 0xe0, v0
	v_dual_mov_b32 v126, s11 :: v_dual_mov_b32 v125, s10
	v_dual_mov_b32 v124, s9 :: v_dual_mov_b32 v123, s8
	s_delay_alu instid0(VALU_DEP_3)
	v_add_nc_u32_e32 v111, s16, v104
	ds_load_b128 v[103:106], v115
	ds_load_b128 v[107:110], v115 offset:1024
	v_dual_mov_b32 v122, s7 :: v_dual_mov_b32 v121, s6
	v_mov_b32_e32 v120, s5
	v_or_b32_e32 v135, v111, v66
	ds_load_b128 v[111:114], v115 offset:2048
	ds_load_b128 v[115:118], v115 offset:3072
	v_mov_b32_e32 v119, s4
	s_waitcnt vmcnt(0) lgkmcnt(0)
	s_barrier
	v_or_b32_e32 v137, 2, v135
	v_or_b32_e32 v138, 4, v135
	;; [unrolled: 1-line block ×3, first 2 shown]
	v_cmp_gt_i32_e32 vcc_lo, s18, v135
	v_or_b32_e32 v140, 8, v135
	v_cmp_gt_i32_e64 s3, s18, v137
	v_or_b32_e32 v141, 10, v135
	v_cmp_gt_i32_e64 s4, s18, v138
	v_cmp_gt_i32_e64 s5, s18, v139
	v_or_b32_e32 v142, 12, v135
	v_or_b32_e32 v143, 14, v135
	v_cmp_gt_i32_e64 s6, s18, v140
	v_cmp_gt_i32_e64 s7, s18, v141
	v_or_b32_e32 v144, 16, v135
	v_or_b32_e32 v145, 18, v135
	v_cmp_gt_i32_e64 s8, s18, v142
	v_cmp_gt_i32_e64 s9, s18, v143
	buffer_gl0_inv
	v_cmp_gt_i32_e64 s10, s18, v144
	v_cmp_gt_i32_e64 s11, s18, v145
	v_wmma_f32_16x16x16_f16 v[127:134], v[71:78], v[103:110], v[119:126]
	v_wmma_f32_16x16x16_f16 v[119:126], v[79:86], v[103:110], v[119:126]
	v_or_b32_e32 v71, 20, v135
	v_or_b32_e32 v72, 22, v135
	s_delay_alu instid0(VALU_DEP_4)
	v_wmma_f32_16x16x16_f16 v[127:134], v[87:94], v[111:118], v[127:134]
	v_or_b32_e32 v73, 24, v135
	v_wmma_f32_16x16x16_f16 v[119:126], v[95:102], v[111:118], v[119:126]
	v_or_b32_e32 v74, 26, v135
	v_cmp_gt_i32_e64 s12, s18, v71
	v_dual_mul_f32 v83, s19, v128 :: v_dual_mul_f32 v84, s19, v127
	v_dual_mul_f32 v81, s19, v130 :: v_dual_mul_f32 v82, s19, v129
	;; [unrolled: 1-line block ×3, first 2 shown]
	s_delay_alu instid0(VALU_DEP_3) | instskip(NEXT) | instid1(VALU_DEP_4)
	v_cndmask_b32_e32 v84, 0xff7fffff, v84, vcc_lo
	v_cndmask_b32_e64 v83, 0xff7fffff, v83, s3
	v_mul_f32_e32 v80, s19, v131
	v_cndmask_b32_e64 v82, 0xff7fffff, v82, s4
	v_cndmask_b32_e64 v81, 0xff7fffff, v81, s5
	v_dual_mul_f32 v77, s19, v134 :: v_dual_mul_f32 v90, s19, v121
	v_max3_f32 v83, v84, 0xff7fffff, v83
	v_mul_f32_e32 v78, s19, v133
	v_cndmask_b32_e64 v80, 0xff7fffff, v80, s6
	v_cndmask_b32_e64 v79, 0xff7fffff, v79, s7
	v_mul_f32_e32 v91, s19, v120
	v_max3_f32 v81, v83, v82, v81
	v_cndmask_b32_e64 v78, 0xff7fffff, v78, s8
	v_cndmask_b32_e64 v77, 0xff7fffff, v77, s9
	v_mul_f32_e32 v89, s19, v122
	v_cmp_gt_i32_e64 s13, s18, v72
	v_max3_f32 v79, v81, v80, v79
	v_cndmask_b32_e64 v80, 0xff7fffff, v92, s10
	v_cndmask_b32_e64 v81, 0xff7fffff, v91, s11
	v_or_b32_e32 v75, 28, v135
	v_or_b32_e32 v76, 30, v135
	v_max3_f32 v77, v79, v78, v77
	v_dual_mul_f32 v87, s19, v124 :: v_dual_mul_f32 v88, s19, v123
	v_cndmask_b32_e64 v71, 0xff7fffff, v90, s12
	v_cndmask_b32_e64 v72, 0xff7fffff, v89, s13
	s_delay_alu instid0(VALU_DEP_4) | instskip(SKIP_3) | instid1(VALU_DEP_4)
	v_max3_f32 v77, v77, v80, v81
	v_cmp_gt_i32_e64 s15, s18, v73
	v_cmp_gt_i32_e64 s16, s18, v74
	v_dual_mul_f32 v85, s19, v126 :: v_dual_mul_f32 v86, s19, v125
	v_max3_f32 v71, v77, v71, v72
	s_delay_alu instid0(VALU_DEP_4) | instskip(NEXT) | instid1(VALU_DEP_4)
	v_cndmask_b32_e64 v73, 0xff7fffff, v88, s15
	v_cndmask_b32_e64 v74, 0xff7fffff, v87, s16
	v_cmp_gt_i32_e64 s17, s18, v75
	v_cmp_gt_i32_e64 s18, s18, v76
	s_delay_alu instid0(VALU_DEP_3) | instskip(NEXT) | instid1(VALU_DEP_3)
	v_max3_f32 v71, v71, v73, v74
	v_cndmask_b32_e64 v72, 0xff7fffff, v86, s17
	s_delay_alu instid0(VALU_DEP_3) | instskip(SKIP_1) | instid1(VALU_DEP_2)
	v_cndmask_b32_e64 v75, 0xff7fffff, v85, s18
	v_lshlrev_b32_e32 v73, 2, v136
	v_max3_f32 v71, v71, v72, v75
	ds_bpermute_b32 v72, v73, v71
	s_waitcnt lgkmcnt(0)
	v_max_f32_e32 v72, v72, v72
	s_delay_alu instid0(VALU_DEP_1) | instskip(NEXT) | instid1(VALU_DEP_1)
	v_max_f32_e32 v71, v71, v72
	v_fma_f32 v72, s19, v127, -v71
	v_fma_f32 v74, s19, v128, -v71
	;; [unrolled: 1-line block ×5, first 2 shown]
	v_mul_f32_e32 v72, 0x3fb8aa3b, v72
	s_delay_alu instid0(VALU_DEP_4) | instskip(NEXT) | instid1(VALU_DEP_4)
	v_dual_mul_f32 v74, 0x3fb8aa3b, v74 :: v_dual_mul_f32 v75, 0x3fb8aa3b, v75
	v_mul_f32_e32 v76, 0x3fb8aa3b, v76
	s_delay_alu instid0(VALU_DEP_4) | instskip(NEXT) | instid1(VALU_DEP_4)
	v_mul_f32_e32 v82, 0x3fb8aa3b, v80
	v_exp_f32_e32 v72, v72
	s_delay_alu instid0(VALU_DEP_3)
	v_exp_f32_e32 v74, v74
	v_exp_f32_e32 v75, v75
	;; [unrolled: 1-line block ×3, first 2 shown]
	v_fma_f32 v77, s19, v131, -v71
	v_exp_f32_e32 v84, v82
	v_cndmask_b32_e32 v79, 0, v72, vcc_lo
	v_cndmask_b32_e64 v78, 0, v74, s3
	s_delay_alu instid0(TRANS32_DEP_3) | instskip(SKIP_1) | instid1(TRANS32_DEP_2)
	v_cndmask_b32_e64 v81, 0, v75, s4
	v_fma_f32 v72, s19, v132, -v71
	v_cndmask_b32_e64 v80, 0, v76, s5
	v_add_f32_e32 v74, 0, v79
	s_delay_alu instid0(TRANS32_DEP_1) | instskip(SKIP_2) | instid1(VALU_DEP_3)
	v_cndmask_b32_e64 v85, 0, v84, s8
	s_mov_b32 s3, exec_lo
	v_mul_f32_e32 v72, 0x3fb8aa3b, v72
	v_add_f32_e32 v74, v74, v78
	s_delay_alu instid0(VALU_DEP_2) | instskip(NEXT) | instid1(VALU_DEP_1)
	v_exp_f32_e32 v72, v72
	v_add_f32_e32 v74, v74, v81
	s_delay_alu instid0(VALU_DEP_1) | instskip(NEXT) | instid1(VALU_DEP_1)
	v_dual_mul_f32 v77, 0x3fb8aa3b, v77 :: v_dual_add_f32 v74, v74, v80
	v_exp_f32_e32 v77, v77
	s_waitcnt_depctr 0xfff
	v_cndmask_b32_e64 v82, 0, v72, s7
	v_cndmask_b32_e64 v83, 0, v77, s6
	s_delay_alu instid0(VALU_DEP_1) | instskip(SKIP_4) | instid1(VALU_DEP_4)
	v_add_f32_e32 v72, v74, v83
	v_fma_f32 v75, s19, v134, -v71
	v_fma_f32 v76, s19, v119, -v71
	;; [unrolled: 1-line block ×4, first 2 shown]
	v_dual_add_f32 v72, v72, v82 :: v_dual_mul_f32 v75, 0x3fb8aa3b, v75
	s_delay_alu instid0(VALU_DEP_3) | instskip(NEXT) | instid1(VALU_DEP_3)
	v_dual_mul_f32 v76, 0x3fb8aa3b, v76 :: v_dual_mul_f32 v77, 0x3fb8aa3b, v77
	v_mul_f32_e32 v74, 0x3fb8aa3b, v74
	v_fma_f32 v86, s19, v122, -v71
	s_delay_alu instid0(VALU_DEP_4) | instskip(NEXT) | instid1(VALU_DEP_3)
	v_exp_f32_e32 v75, v75
	v_exp_f32_e32 v76, v76
	;; [unrolled: 1-line block ×4, first 2 shown]
	v_mul_f32_e32 v86, 0x3fb8aa3b, v86
	s_delay_alu instid0(VALU_DEP_1)
	v_exp_f32_e32 v88, v86
	v_cndmask_b32_e64 v84, 0, v75, s9
	v_fma_f32 v75, s19, v123, -v71
	v_add_f32_e32 v72, v72, v85
	v_cndmask_b32_e64 v87, 0, v76, s10
	v_fma_f32 v76, s19, v124, -v71
	s_delay_alu instid0(TRANS32_DEP_3) | instskip(NEXT) | instid1(VALU_DEP_4)
	v_cndmask_b32_e64 v86, 0, v77, s11
	v_dual_mul_f32 v75, 0x3fb8aa3b, v75 :: v_dual_add_f32 v72, v72, v84
	v_fma_f32 v77, s19, v125, -v71
	s_delay_alu instid0(VALU_DEP_4) | instskip(SKIP_1) | instid1(VALU_DEP_4)
	v_mul_f32_e32 v76, 0x3fb8aa3b, v76
	v_cndmask_b32_e64 v89, 0, v74, s12
	v_exp_f32_e32 v75, v75
	v_add_f32_e32 v72, v72, v87
	v_mul_f32_e32 v74, 0x3fb8aa3b, v77
	v_exp_f32_e32 v76, v76
	v_cndmask_b32_e64 v88, 0, v88, s13
	v_fma_f32 v77, s19, v126, -v71
	v_add_f32_e32 v72, v72, v86
	v_exp_f32_e32 v74, v74
	s_delay_alu instid0(TRANS32_DEP_3) | instskip(NEXT) | instid1(VALU_DEP_2)
	v_cndmask_b32_e64 v91, 0, v75, s15
	v_add_f32_e32 v72, v72, v89
	v_mul_f32_e32 v75, 0x3fb8aa3b, v77
	s_delay_alu instid0(TRANS32_DEP_2) | instskip(NEXT) | instid1(VALU_DEP_3)
	v_cndmask_b32_e64 v90, 0, v76, s16
	v_add_f32_e32 v72, v72, v88
	s_delay_alu instid0(VALU_DEP_3) | instskip(NEXT) | instid1(TRANS32_DEP_2)
	v_exp_f32_e32 v75, v75
	v_cndmask_b32_e64 v93, 0, v74, s17
	s_delay_alu instid0(VALU_DEP_2) | instskip(NEXT) | instid1(VALU_DEP_1)
	v_add_f32_e32 v72, v72, v91
	v_add_f32_e32 v72, v72, v90
	s_waitcnt_depctr 0xfff
	v_cndmask_b32_e64 v92, 0, v75, s18
	v_add_f32_e32 v72, v72, v93
	s_delay_alu instid0(VALU_DEP_1)
	v_add_f32_e32 v72, v72, v92
	ds_bpermute_b32 v73, v73, v72
	v_cmpx_gt_u32_e32 16, v70
	s_cbranch_execz .LBB1113_12
; %bb.11:
	v_mul_u32_u24_e32 v70, 0x44, v69
	s_waitcnt lgkmcnt(0)
	v_add_f32_e32 v72, v72, v73
	s_delay_alu instid0(VALU_DEP_2) | instskip(NEXT) | instid1(VALU_DEP_1)
	v_lshl_add_u32 v70, v68, 2, v70
	v_add_nc_u32_e32 v70, 0x4000, v70
	ds_store_2addr_b32 v70, v71, v72 offset1:136
.LBB1113_12:
	s_or_b32 exec_lo, exec_lo, s3
	v_lshlrev_b32_e32 v70, 2, v68
	s_load_b32 s35, s[0:1], 0x94
	s_waitcnt lgkmcnt(0)
	s_barrier
	buffer_gl0_inv
	v_add_nc_u32_e32 v98, 0x4000, v70
	v_cmp_eq_u32_e32 vcc_lo, 1, v69
	v_cmp_eq_u32_e64 s3, 2, v69
	v_cmp_eq_u32_e64 s4, 3, v69
	;; [unrolled: 1-line block ×3, first 2 shown]
	ds_load_2addr_b32 v[70:71], v98 offset1:17
	ds_load_2addr_b32 v[72:73], v98 offset0:34 offset1:51
	ds_load_2addr_b32 v[74:75], v98 offset0:68 offset1:85
	;; [unrolled: 1-line block ×3, first 2 shown]
	v_cmp_eq_u32_e64 s6, 5, v69
	v_cmp_eq_u32_e64 s7, 7, v69
	s_waitcnt lgkmcnt(3)
	v_max3_f32 v76, v70, 0xff7fffff, v71
	s_waitcnt lgkmcnt(2)
	s_delay_alu instid0(VALU_DEP_1) | instskip(SKIP_1) | instid1(VALU_DEP_1)
	v_max3_f32 v76, v76, v72, v73
	s_waitcnt lgkmcnt(1)
	v_max3_f32 v76, v76, v74, v75
	s_waitcnt lgkmcnt(0)
	s_delay_alu instid0(VALU_DEP_1) | instskip(NEXT) | instid1(VALU_DEP_1)
	v_max3_f32 v76, v76, v94, v95
	v_sub_f32_e32 v77, v71, v76
	ds_load_2addr_b32 v[96:97], v98 offset0:136 offset1:153
	v_sub_f32_e32 v74, v74, v76
	v_sub_f32_e32 v70, v70, v76
	v_sub_f32_e32 v94, v94, v76
	v_dual_sub_f32 v72, v72, v76 :: v_dual_mul_f32 v77, 0x3fb8aa3b, v77
	s_delay_alu instid0(VALU_DEP_4) | instskip(NEXT) | instid1(VALU_DEP_4)
	v_mul_f32_e32 v103, 0x3fb8aa3b, v74
	v_mul_f32_e32 v99, 0x3fb8aa3b, v70
	ds_load_2addr_b32 v[70:71], v98 offset0:170 offset1:187
	v_dual_mul_f32 v101, 0x3fb8aa3b, v72 :: v_dual_mul_f32 v94, 0x3fb8aa3b, v94
	v_exp_f32_e32 v102, v77
	v_exp_f32_e32 v99, v99
	s_delay_alu instid0(VALU_DEP_1) | instskip(NEXT) | instid1(VALU_DEP_1)
	v_exp_f32_e32 v101, v101
	v_exp_f32_e32 v94, v94
	s_waitcnt lgkmcnt(1)
	s_delay_alu instid0(TRANS32_DEP_3)
	v_fma_f32 v77, v99, v96, 0
	v_sub_f32_e32 v100, v73, v76
	ds_load_2addr_b32 v[72:73], v98 offset0:204 offset1:221
	v_fmac_f32_e32 v77, v102, v97
	v_exp_f32_e32 v97, v103
	s_waitcnt lgkmcnt(1)
	s_delay_alu instid0(VALU_DEP_1)
	v_dual_fmac_f32 v77, v101, v70 :: v_dual_sub_f32 v96, v75, v76
	ds_load_2addr_b32 v[74:75], v98 offset0:238 offset1:255
	v_sub_f32_e32 v70, v95, v76
	s_waitcnt lgkmcnt(0)
	s_barrier
	v_mul_f32_e32 v96, 0x3fb8aa3b, v96
	buffer_gl0_inv
	v_exp_f32_e32 v95, v96
	v_mul_f32_e32 v100, 0x3fb8aa3b, v100
	s_delay_alu instid0(VALU_DEP_1) | instskip(SKIP_3) | instid1(VALU_DEP_2)
	v_exp_f32_e32 v100, v100
	s_waitcnt_depctr 0xfff
	v_dual_fmac_f32 v77, v100, v71 :: v_dual_mul_f32 v70, 0x3fb8aa3b, v70
	v_cndmask_b32_e32 v71, v99, v102, vcc_lo
	v_fmac_f32_e32 v77, v97, v72
	s_delay_alu instid0(VALU_DEP_3) | instskip(NEXT) | instid1(VALU_DEP_1)
	v_exp_f32_e32 v96, v70
	v_fmac_f32_e32 v77, v95, v73
	s_delay_alu instid0(VALU_DEP_1) | instskip(SKIP_2) | instid1(VALU_DEP_1)
	v_fmac_f32_e32 v77, v94, v74
	s_waitcnt_depctr 0xfff
	v_fmac_f32_e32 v77, v96, v75
	v_add_f32_e32 v74, 0x358637bd, v77
	s_delay_alu instid0(VALU_DEP_1) | instskip(SKIP_1) | instid1(VALU_DEP_2)
	v_div_scale_f32 v98, null, v74, v74, 1.0
	v_div_scale_f32 v99, vcc_lo, 1.0, v74, 1.0
	v_rcp_f32_e32 v103, v98
	s_waitcnt_depctr 0xfff
	v_fma_f32 v70, -v98, v103, 1.0
	s_delay_alu instid0(VALU_DEP_1) | instskip(SKIP_2) | instid1(VALU_DEP_2)
	v_fmac_f32_e32 v103, v70, v103
	v_cndmask_b32_e64 v70, v71, v101, s3
	v_cmp_eq_u32_e64 s3, 6, v69
	v_cndmask_b32_e64 v71, v70, v100, s4
	s_delay_alu instid0(VALU_DEP_4) | instskip(NEXT) | instid1(VALU_DEP_2)
	v_dual_mul_f32 v101, v99, v103 :: v_dual_lshlrev_b32 v70, 2, v66
	v_cndmask_b32_e64 v71, v71, v97, s5
	s_delay_alu instid0(VALU_DEP_2) | instskip(NEXT) | instid1(VALU_DEP_3)
	v_or_b32_e32 v72, 1, v70
	v_fma_f32 v100, -v98, v101, v99
	v_cmp_eq_u32_e64 s4, 1, v70
	v_cmp_eq_u32_e64 s5, 2, v70
	v_cndmask_b32_e64 v95, v71, v95, s6
	v_or_b32_e32 v71, 3, v70
	v_fmac_f32_e32 v101, v100, v103
	v_cmp_eq_u32_e64 s9, 1, v72
	v_cmp_eq_u32_e64 s12, 2, v72
	v_cndmask_b32_e64 v94, v95, v94, s3
	v_cmp_eq_u32_e64 s11, 1, v71
	v_fma_f32 v97, -v98, v101, v99
	v_cmp_eq_u32_e64 s16, 2, v71
	v_cmp_eq_u32_e64 s13, 3, v72
	v_cndmask_b32_e64 v94, v94, v96, s7
	v_cmp_eq_u32_e64 s18, 3, v71
	v_div_fmas_f32 v95, v97, v103, v101
	v_cmp_eq_u32_e32 vcc_lo, 3, v70
	v_cmp_eq_u32_e64 s3, 4, v70
	v_cmp_eq_u32_e64 s19, 4, v72
	;; [unrolled: 1-line block ×3, first 2 shown]
	v_div_fixup_f32 v95, v95, v74, 1.0
	v_lshlrev_b32_e32 v73, 6, v68
	v_cmp_eq_u32_e64 s6, 5, v70
	v_cmp_eq_u32_e64 s20, 5, v72
	v_cmp_eq_u32_e64 s24, 5, v71
	v_mul_f32_e32 v102, v94, v95
	v_lshl_or_b32 v75, v69, 11, v73
	v_or_b32_e32 v69, 2, v70
	v_cmp_eq_u32_e64 s25, 6, v72
	v_cmp_eq_u32_e64 s27, 6, v71
	v_fma_mixlo_f16 v94, v102, v79, 0
	v_fma_mixlo_f16 v95, v102, v81, 0
	;; [unrolled: 1-line block ×8, first 2 shown]
	v_lshl_or_b32 v74, v66, 4, v75
	v_fma_mixhi_f16 v94, v102, v78, 0
	v_fma_mixhi_f16 v95, v102, v80, 0
	;; [unrolled: 1-line block ×8, first 2 shown]
	ds_store_b128 v74, v[94:97]
	ds_store_b128 v74, v[98:101] offset:1024
	s_waitcnt lgkmcnt(0)
	s_barrier
	buffer_gl0_inv
	ds_load_b128 v[78:81], v75
	ds_load_b128 v[82:85], v75 offset:16
	ds_load_b128 v[86:89], v75 offset:1024
	;; [unrolled: 1-line block ×3, first 2 shown]
	v_cmp_eq_u32_e64 s10, 1, v69
	v_cmp_eq_u32_e64 s15, 2, v69
	;; [unrolled: 1-line block ×11, first 2 shown]
	s_waitcnt lgkmcnt(3)
	v_lshrrev_b32_e32 v94, 16, v78
	s_waitcnt lgkmcnt(2)
	v_lshrrev_b32_e32 v98, 16, v82
	;; [unrolled: 2-line block ×4, first 2 shown]
	v_lshrrev_b32_e32 v95, 16, v79
	v_cndmask_b32_e64 v110, v78, v94, s4
	v_cndmask_b32_e64 v111, v82, v98, s4
	v_cndmask_b32_e64 v112, v78, v94, s9
	v_cndmask_b32_e64 v113, v82, v98, s9
	v_cndmask_b32_e64 v114, v78, v94, s10
	v_cndmask_b32_e64 v115, v82, v98, s10
	v_cndmask_b32_e64 v78, v78, v94, s11
	v_cndmask_b32_e64 v82, v82, v98, s11
	v_lshrrev_b32_e32 v99, 16, v83
	v_cndmask_b32_e64 v94, v86, v102, s4
	v_cndmask_b32_e64 v98, v90, v106, s4
	;; [unrolled: 1-line block ×15, first 2 shown]
	v_lshrrev_b32_e32 v103, 16, v87
	v_lshrrev_b32_e32 v107, 16, v91
	v_cndmask_b32_e64 v113, v115, v83, s15
	v_cndmask_b32_e64 v82, v94, v87, s5
	;; [unrolled: 1-line block ×7, first 2 shown]
	v_cndmask_b32_e32 v90, v102, v95, vcc_lo
	v_cndmask_b32_e32 v102, v106, v99, vcc_lo
	v_cndmask_b32_e64 v106, v110, v95, s13
	v_cndmask_b32_e64 v110, v111, v99, s13
	v_cndmask_b32_e64 v78, v78, v95, s18
	v_cndmask_b32_e64 v79, v79, v99, s18
	v_lshrrev_b32_e32 v96, 16, v80
	v_lshrrev_b32_e32 v100, 16, v84
	v_cndmask_b32_e64 v111, v112, v95, s17
	v_cndmask_b32_e64 v112, v113, v99, s17
	v_cndmask_b32_e32 v82, v82, v103, vcc_lo
	v_cndmask_b32_e32 v83, v83, v107, vcc_lo
	v_cndmask_b32_e64 v94, v94, v103, s13
	v_cndmask_b32_e64 v90, v90, v80, s3
	;; [unrolled: 1-line block ×7, first 2 shown]
	v_lshrrev_b32_e32 v104, 16, v88
	v_cndmask_b32_e64 v106, v111, v80, s21
	v_cndmask_b32_e64 v110, v112, v84, s21
	;; [unrolled: 1-line block ×11, first 2 shown]
	v_lshrrev_b32_e32 v97, 16, v81
	v_lshrrev_b32_e32 v101, 16, v85
	v_cndmask_b32_e64 v99, v106, v96, s23
	v_cndmask_b32_e64 v102, v110, v100, s23
	;; [unrolled: 1-line block ×7, first 2 shown]
	v_lshrrev_b32_e32 v105, 16, v89
	v_cndmask_b32_e64 v80, v80, v104, s6
	v_cndmask_b32_e64 v84, v84, v81, s7
	;; [unrolled: 1-line block ×16, first 2 shown]
	v_perm_b32 v81, v79, v78, 0x5040100
	v_perm_b32 v79, v95, v85, 0x5040100
	v_cndmask_b32_e64 v78, v119, v91, s15
	v_cndmask_b32_e64 v85, v117, v91, s12
	;; [unrolled: 1-line block ×3, first 2 shown]
	v_perm_b32 v80, v94, v90, 0x5040100
	v_cndmask_b32_e64 v90, v98, v103, s17
	v_cndmask_b32_e64 v86, v86, v103, s18
	;; [unrolled: 1-line block ×5, first 2 shown]
	v_lshrrev_b32_e32 v108, 16, v92
	v_cndmask_b32_e64 v90, v90, v88, s21
	v_cndmask_b32_e64 v86, v86, v88, s22
	;; [unrolled: 1-line block ×11, first 2 shown]
	v_lshrrev_b32_e32 v109, 16, v93
	v_cndmask_b32_e64 v82, v82, v93, s7
	v_cndmask_b32_e64 v88, v88, v89, s26
	;; [unrolled: 1-line block ×12, first 2 shown]
	v_perm_b32 v78, v84, v83, 0x5040100
	v_perm_b32 v85, v87, v86, 0x5040100
	;; [unrolled: 1-line block ×5, first 2 shown]
	s_mul_i32 s8, s33, 12
	s_mov_b32 s3, exec_lo
	ds_store_b128 v74, v[78:81]
	ds_store_b128 v74, v[82:85] offset:1024
	v_cmpx_gt_u32_e32 12, v0
	s_cbranch_execz .LBB1113_14
; %bb.13:
	s_mul_i32 s4, s8, s34
	s_delay_alu instid0(SALU_CYCLE_1) | instskip(SKIP_1) | instid1(VALU_DEP_1)
	v_add3_u32 v68, s4, s31, v68
	s_load_b128 s[4:7], s[0:1], 0x58
	v_mad_u64_u32 v[78:79], null, v68, s35, s[14:15]
	s_delay_alu instid0(VALU_DEP_1) | instskip(NEXT) | instid1(VALU_DEP_1)
	v_ashrrev_i32_e32 v79, 31, v78
	v_lshlrev_b64 v[78:79], 2, v[78:79]
	s_waitcnt lgkmcnt(0)
	s_delay_alu instid0(VALU_DEP_1) | instskip(NEXT) | instid1(VALU_DEP_2)
	v_add_co_u32 v80, vcc_lo, s6, v78
	v_add_co_ci_u32_e32 v81, vcc_lo, s7, v79, vcc_lo
	v_add_co_u32 v78, vcc_lo, s4, v78
	v_add_co_ci_u32_e32 v79, vcc_lo, s5, v79, vcc_lo
	global_store_b32 v[80:81], v76, off
	global_store_b32 v[78:79], v77, off
.LBB1113_14:
	s_or_b32 exec_lo, exec_lo, s3
	s_waitcnt lgkmcnt(0)
	s_waitcnt_vscnt null, 0x0
	s_barrier
	buffer_gl0_inv
	ds_load_b128 v[84:87], v73
	ds_load_b128 v[88:91], v73 offset:16
	ds_load_b128 v[96:99], v73 offset:2064
	;; [unrolled: 1-line block ×5, first 2 shown]
	v_cmp_eq_u32_e32 vcc_lo, 1, v70
	v_mov_b32_e32 v76, 0
	ds_load_b128 v[112:115], v73 offset:6160
	ds_load_b128 v[108:111], v73 offset:6144
	;; [unrolled: 1-line block ×4, first 2 shown]
	v_cmp_eq_u32_e64 s4, 1, v69
	v_cmp_eq_u32_e64 s3, 1, v72
	;; [unrolled: 1-line block ×3, first 2 shown]
	v_mov_b32_e32 v77, v76
	v_mov_b32_e32 v78, v76
	;; [unrolled: 1-line block ×7, first 2 shown]
	v_cmp_eq_u32_e64 s6, 3, v72
	v_cmp_eq_u32_e64 s7, 7, v72
	s_waitcnt lgkmcnt(8)
	s_delay_alu instid0(VALU_DEP_3)
	v_wmma_f32_16x16x16_f16 v[76:83], v[49:56], v[84:91], v[76:83]
	ds_load_b128 v[53:56], v73 offset:10256
	ds_load_b128 v[49:52], v73 offset:10240
	s_waitcnt lgkmcnt(8)
	v_wmma_f32_16x16x16_f16 v[76:83], v[41:48], v[92:99], v[76:83]
	ds_load_b128 v[45:48], v73 offset:12304
	ds_load_b128 v[41:44], v73 offset:12288
	s_waitcnt lgkmcnt(8)
	;; [unrolled: 4-line block ×3, first 2 shown]
	s_barrier
	buffer_gl0_inv
	v_wmma_f32_16x16x16_f16 v[76:83], v[1:8], v[108:115], v[76:83]
	s_delay_alu instid0(VALU_DEP_1) | instskip(NEXT) | instid1(VALU_DEP_1)
	v_wmma_f32_16x16x16_f16 v[76:83], v[9:16], v[116:123], v[76:83]
	v_wmma_f32_16x16x16_f16 v[76:83], v[17:24], v[49:56], v[76:83]
	s_delay_alu instid0(VALU_DEP_1) | instskip(NEXT) | instid1(VALU_DEP_1)
	v_wmma_f32_16x16x16_f16 v[76:83], v[25:32], v[41:48], v[76:83]
	v_wmma_f32_16x16x16_f16 v[76:83], v[57:64], v[33:40], v[76:83]
	s_delay_alu instid0(VALU_DEP_1) | instskip(NEXT) | instid1(VALU_DEP_2)
	v_cvt_f16_f32_e32 v1, v76
	v_cvt_f16_f32_e32 v2, v77
	s_delay_alu instid0(VALU_DEP_3) | instskip(NEXT) | instid1(VALU_DEP_4)
	v_cvt_f16_f32_e32 v3, v78
	v_cvt_f16_f32_e32 v4, v79
	;; [unrolled: 1-line block ×6, first 2 shown]
	v_pack_b32_f16 v1, v1, v2
	v_pack_b32_f16 v2, v3, v4
	;; [unrolled: 1-line block ×3, first 2 shown]
	s_delay_alu instid0(VALU_DEP_4)
	v_pack_b32_f16 v4, v7, v8
	ds_store_b128 v74, v[1:4]
	s_waitcnt lgkmcnt(0)
	s_barrier
	buffer_gl0_inv
	ds_load_b128 v[1:4], v75
	ds_load_b128 v[5:8], v75 offset:16
	s_waitcnt lgkmcnt(1)
	v_lshrrev_b32_e32 v9, 16, v1
	s_waitcnt lgkmcnt(0)
	v_lshrrev_b32_e32 v13, 16, v5
	v_lshrrev_b32_e32 v10, 16, v2
	;; [unrolled: 1-line block ×4, first 2 shown]
	v_cndmask_b32_e32 v17, v1, v9, vcc_lo
	v_cndmask_b32_e32 v18, v5, v13, vcc_lo
	v_cndmask_b32_e64 v21, v1, v9, s4
	v_cmp_eq_u32_e32 vcc_lo, 1, v71
	v_cndmask_b32_e64 v22, v5, v13, s4
	v_cmp_eq_u32_e64 s4, 2, v70
	v_cndmask_b32_e64 v19, v1, v9, s3
	v_cndmask_b32_e64 v20, v5, v13, s3
	v_cndmask_b32_e32 v1, v1, v9, vcc_lo
	v_cmp_eq_u32_e64 s3, 2, v71
	v_cndmask_b32_e32 v5, v5, v13, vcc_lo
	v_cndmask_b32_e64 v9, v17, v2, s4
	v_cmp_eq_u32_e32 vcc_lo, 3, v70
	v_cndmask_b32_e64 v13, v18, v6, s4
	v_cmp_eq_u32_e64 s4, 2, v69
	v_cndmask_b32_e64 v17, v19, v2, s5
	v_cndmask_b32_e64 v18, v20, v6, s5
	v_cmp_eq_u32_e64 s5, 3, v69
	v_cndmask_b32_e64 v1, v1, v2, s3
	v_cndmask_b32_e64 v19, v21, v2, s4
	;; [unrolled: 1-line block ×4, first 2 shown]
	v_cndmask_b32_e32 v5, v9, v10, vcc_lo
	v_cndmask_b32_e32 v6, v13, v14, vcc_lo
	v_cmp_eq_u32_e32 vcc_lo, 3, v71
	v_cndmask_b32_e64 v9, v17, v10, s6
	v_cndmask_b32_e64 v13, v18, v14, s6
	;; [unrolled: 1-line block ×3, first 2 shown]
	v_cmp_eq_u32_e64 s4, 4, v70
	v_cndmask_b32_e32 v1, v1, v10, vcc_lo
	v_cndmask_b32_e32 v2, v2, v14, vcc_lo
	v_cmp_eq_u32_e32 vcc_lo, 4, v72
	v_lshrrev_b32_e32 v15, 16, v7
	v_lshrrev_b32_e32 v16, 16, v8
	v_cndmask_b32_e64 v17, v19, v10, s5
	v_cmp_eq_u32_e64 s3, 4, v71
	v_cndmask_b32_e64 v5, v5, v3, s4
	v_cndmask_b32_e64 v6, v6, v7, s4
	v_cndmask_b32_e32 v9, v9, v3, vcc_lo
	v_cmp_eq_u32_e64 s4, 5, v72
	v_cndmask_b32_e32 v10, v13, v7, vcc_lo
	v_cmp_eq_u32_e32 vcc_lo, 4, v69
	v_cmp_eq_u32_e64 s5, 5, v70
	v_cndmask_b32_e64 v2, v2, v7, s3
	v_cndmask_b32_e64 v9, v9, v11, s4
	;; [unrolled: 1-line block ×3, first 2 shown]
	v_cndmask_b32_e32 v13, v17, v3, vcc_lo
	v_cmp_eq_u32_e64 s4, 5, v69
	v_cndmask_b32_e32 v14, v18, v7, vcc_lo
	v_cndmask_b32_e64 v1, v1, v3, s3
	v_cmp_eq_u32_e32 vcc_lo, 5, v71
	v_lshrrev_b32_e32 v12, 16, v4
	v_cndmask_b32_e64 v13, v13, v11, s4
	v_cndmask_b32_e64 v3, v14, v15, s4
	v_cmp_eq_u32_e64 s4, 6, v71
	v_cndmask_b32_e32 v1, v1, v11, vcc_lo
	v_cndmask_b32_e64 v5, v5, v11, s5
	v_cmp_eq_u32_e64 s6, 6, v70
	v_cndmask_b32_e64 v6, v6, v15, s5
	v_cmp_eq_u32_e64 s5, 6, v72
	v_cmp_eq_u32_e64 s3, 6, v69
	v_cndmask_b32_e64 v1, v1, v4, s4
	v_cndmask_b32_e32 v2, v2, v15, vcc_lo
	v_cmp_eq_u32_e32 vcc_lo, 7, v71
	v_cndmask_b32_e64 v5, v5, v4, s6
	v_cndmask_b32_e64 v9, v9, v4, s5
	;; [unrolled: 1-line block ×3, first 2 shown]
	v_cmp_eq_u32_e64 s6, 7, v70
	v_cndmask_b32_e32 v1, v1, v12, vcc_lo
	v_cndmask_b32_e64 v7, v13, v4, s3
	v_cndmask_b32_e64 v3, v3, v8, s3
	;; [unrolled: 1-line block ×3, first 2 shown]
	v_cmp_eq_u32_e64 s3, 7, v69
	v_cndmask_b32_e64 v4, v10, v8, s5
	v_cndmask_b32_e64 v5, v5, v12, s6
	v_cndmask_b32_e64 v9, v9, v12, s7
	v_cndmask_b32_e32 v2, v2, v16, vcc_lo
	v_cndmask_b32_e64 v7, v7, v12, s3
	v_cndmask_b32_e64 v3, v3, v16, s3
	;; [unrolled: 1-line block ×4, first 2 shown]
	v_cmp_gt_u32_e32 vcc_lo, 32, v0
	v_perm_b32 v4, v2, v1, 0x5040100
	v_perm_b32 v3, v3, v7, 0x5040100
	;; [unrolled: 1-line block ×4, first 2 shown]
	s_and_b32 s2, vcc_lo, s2
	ds_store_b128 v74, v[1:4]
	s_waitcnt lgkmcnt(0)
	s_barrier
	buffer_gl0_inv
	s_and_saveexec_b32 s3, s2
	s_cbranch_execz .LBB1113_2
; %bb.15:
	s_load_b64 s[0:1], s[0:1], 0x68
	v_lshlrev_b32_e32 v0, 10, v0
	s_lshl_b32 s4, s35, 6
	v_or_b32_e32 v3, s31, v66
	s_mul_i32 s2, s4, s34
	v_lshlrev_b32_e32 v1, 4, v67
	s_mul_i32 s2, s2, s8
	v_lshlrev_b32_e32 v2, 6, v66
	v_and_b32_e32 v0, 0x3800, v0
	s_ashr_i32 s3, s2, 31
	v_mul_lo_u32 v4, v3, s4
	s_lshl_b64 s[2:3], s[2:3], 1
	s_delay_alu instid0(VALU_DEP_2) | instskip(NEXT) | instid1(VALU_DEP_2)
	v_or3_b32 v16, v0, v1, v2
	v_ashrrev_i32_e32 v5, 31, v4
	ds_load_b128 v[0:3], v16
	s_waitcnt lgkmcnt(0)
	s_add_u32 s2, s0, s2
	s_addc_u32 s3, s1, s3
	s_lshl_b32 s0, s14, 6
	v_lshlrev_b64 v[5:6], 1, v[4:5]
	s_ashr_i32 s1, s0, 31
	s_delay_alu instid0(SALU_CYCLE_1) | instskip(NEXT) | instid1(SALU_CYCLE_1)
	s_lshl_b64 s[0:1], s[0:1], 1
	s_add_u32 s0, s2, s0
	s_addc_u32 s1, s3, s1
	s_lshl_b32 s2, s35, 7
	v_add_co_u32 v30, s0, s0, v65
	v_add_nc_u32_e32 v8, s2, v4
	v_add_co_ci_u32_e64 v31, null, s1, 0, s0
	s_delay_alu instid0(VALU_DEP_3) | instskip(NEXT) | instid1(VALU_DEP_3)
	v_add_co_u32 v12, vcc_lo, v30, v5
	v_add_nc_u32_e32 v10, s2, v8
	v_ashrrev_i32_e32 v9, 31, v8
	s_delay_alu instid0(VALU_DEP_4)
	v_add_co_ci_u32_e32 v13, vcc_lo, v31, v6, vcc_lo
	ds_load_b128 v[4:7], v16 offset:128
	v_ashrrev_i32_e32 v11, 31, v10
	v_lshlrev_b64 v[8:9], 1, v[8:9]
	v_add_nc_u32_e32 v14, s2, v10
	global_store_b128 v[12:13], v[0:3], off
	v_lshlrev_b64 v[0:1], 1, v[10:11]
	v_ashrrev_i32_e32 v15, 31, v14
	v_add_co_u32 v22, vcc_lo, v30, v8
	v_add_nc_u32_e32 v20, s2, v14
	v_add_co_ci_u32_e32 v23, vcc_lo, v31, v9, vcc_lo
	v_add_co_u32 v26, vcc_lo, v30, v0
	v_lshlrev_b64 v[24:25], 1, v[14:15]
	v_add_co_ci_u32_e32 v27, vcc_lo, v31, v1, vcc_lo
	ds_load_b128 v[0:3], v16 offset:256
	ds_load_b128 v[8:11], v16 offset:384
	;; [unrolled: 1-line block ×4, first 2 shown]
	v_add_nc_u32_e32 v28, s2, v20
	v_ashrrev_i32_e32 v21, 31, v20
	v_add_co_u32 v24, vcc_lo, v30, v24
	v_add_co_ci_u32_e32 v25, vcc_lo, v31, v25, vcc_lo
	s_delay_alu instid0(VALU_DEP_4) | instskip(NEXT) | instid1(VALU_DEP_4)
	v_ashrrev_i32_e32 v29, 31, v28
	v_lshlrev_b64 v[20:21], 1, v[20:21]
	s_delay_alu instid0(VALU_DEP_2) | instskip(NEXT) | instid1(VALU_DEP_2)
	v_lshlrev_b64 v[28:29], 1, v[28:29]
	v_add_co_u32 v20, vcc_lo, v30, v20
	s_delay_alu instid0(VALU_DEP_3) | instskip(NEXT) | instid1(VALU_DEP_3)
	v_add_co_ci_u32_e32 v21, vcc_lo, v31, v21, vcc_lo
	v_add_co_u32 v28, vcc_lo, v30, v28
	s_delay_alu instid0(VALU_DEP_4)
	v_add_co_ci_u32_e32 v29, vcc_lo, v31, v29, vcc_lo
	s_waitcnt lgkmcnt(4)
	global_store_b128 v[22:23], v[4:7], off
	s_waitcnt lgkmcnt(3)
	global_store_b128 v[26:27], v[0:3], off
	;; [unrolled: 2-line block ×5, first 2 shown]
	s_nop 0
	s_sendmsg sendmsg(MSG_DEALLOC_VGPRS)
	s_endpgm
	.section	.rodata,"a",@progbits
	.p2align	6, 0x0
	.amdhsa_kernel _Z39paged_attention_ll4mi_QKV_mfma16_kernelIDF16_hLN4vllm18Fp8KVCacheDataTypeE1EhLi16ELi64ELi256ELb0ELi12EL8MFMAType0EEvPKT_PKT0_S8_ifPKiSA_SA_iPKfiiiPfSD_PS3_PT2_iSC_SC_
		.amdhsa_group_segment_fixed_size 17472
		.amdhsa_private_segment_fixed_size 0
		.amdhsa_kernarg_size 400
		.amdhsa_user_sgpr_count 13
		.amdhsa_user_sgpr_dispatch_ptr 0
		.amdhsa_user_sgpr_queue_ptr 0
		.amdhsa_user_sgpr_kernarg_segment_ptr 1
		.amdhsa_user_sgpr_dispatch_id 0
		.amdhsa_user_sgpr_private_segment_size 0
		.amdhsa_wavefront_size32 1
		.amdhsa_uses_dynamic_stack 0
		.amdhsa_enable_private_segment 0
		.amdhsa_system_sgpr_workgroup_id_x 1
		.amdhsa_system_sgpr_workgroup_id_y 1
		.amdhsa_system_sgpr_workgroup_id_z 1
		.amdhsa_system_sgpr_workgroup_info 0
		.amdhsa_system_vgpr_workitem_id 0
		.amdhsa_next_free_vgpr 146
		.amdhsa_next_free_sgpr 36
		.amdhsa_reserve_vcc 1
		.amdhsa_float_round_mode_32 0
		.amdhsa_float_round_mode_16_64 0
		.amdhsa_float_denorm_mode_32 3
		.amdhsa_float_denorm_mode_16_64 3
		.amdhsa_dx10_clamp 1
		.amdhsa_ieee_mode 1
		.amdhsa_fp16_overflow 0
		.amdhsa_workgroup_processor_mode 1
		.amdhsa_memory_ordered 1
		.amdhsa_forward_progress 0
		.amdhsa_shared_vgpr_count 0
		.amdhsa_exception_fp_ieee_invalid_op 0
		.amdhsa_exception_fp_denorm_src 0
		.amdhsa_exception_fp_ieee_div_zero 0
		.amdhsa_exception_fp_ieee_overflow 0
		.amdhsa_exception_fp_ieee_underflow 0
		.amdhsa_exception_fp_ieee_inexact 0
		.amdhsa_exception_int_div_zero 0
	.end_amdhsa_kernel
	.section	.text._Z39paged_attention_ll4mi_QKV_mfma16_kernelIDF16_hLN4vllm18Fp8KVCacheDataTypeE1EhLi16ELi64ELi256ELb0ELi12EL8MFMAType0EEvPKT_PKT0_S8_ifPKiSA_SA_iPKfiiiPfSD_PS3_PT2_iSC_SC_,"axG",@progbits,_Z39paged_attention_ll4mi_QKV_mfma16_kernelIDF16_hLN4vllm18Fp8KVCacheDataTypeE1EhLi16ELi64ELi256ELb0ELi12EL8MFMAType0EEvPKT_PKT0_S8_ifPKiSA_SA_iPKfiiiPfSD_PS3_PT2_iSC_SC_,comdat
.Lfunc_end1113:
	.size	_Z39paged_attention_ll4mi_QKV_mfma16_kernelIDF16_hLN4vllm18Fp8KVCacheDataTypeE1EhLi16ELi64ELi256ELb0ELi12EL8MFMAType0EEvPKT_PKT0_S8_ifPKiSA_SA_iPKfiiiPfSD_PS3_PT2_iSC_SC_, .Lfunc_end1113-_Z39paged_attention_ll4mi_QKV_mfma16_kernelIDF16_hLN4vllm18Fp8KVCacheDataTypeE1EhLi16ELi64ELi256ELb0ELi12EL8MFMAType0EEvPKT_PKT0_S8_ifPKiSA_SA_iPKfiiiPfSD_PS3_PT2_iSC_SC_
                                        ; -- End function
	.section	.AMDGPU.csdata,"",@progbits
; Kernel info:
; codeLenInByte = 6588
; NumSgprs: 38
; NumVgprs: 146
; ScratchSize: 0
; MemoryBound: 0
; FloatMode: 240
; IeeeMode: 1
; LDSByteSize: 17472 bytes/workgroup (compile time only)
; SGPRBlocks: 4
; VGPRBlocks: 18
; NumSGPRsForWavesPerEU: 38
; NumVGPRsForWavesPerEU: 146
; Occupancy: 9
; WaveLimiterHint : 1
; COMPUTE_PGM_RSRC2:SCRATCH_EN: 0
; COMPUTE_PGM_RSRC2:USER_SGPR: 13
; COMPUTE_PGM_RSRC2:TRAP_HANDLER: 0
; COMPUTE_PGM_RSRC2:TGID_X_EN: 1
; COMPUTE_PGM_RSRC2:TGID_Y_EN: 1
; COMPUTE_PGM_RSRC2:TGID_Z_EN: 1
; COMPUTE_PGM_RSRC2:TIDIG_COMP_CNT: 0
	.section	.text._Z39paged_attention_ll4mi_QKV_mfma16_kernelIDF16_hLN4vllm18Fp8KVCacheDataTypeE1EhLi16ELi64ELi256ELb0ELi13EL8MFMAType0EEvPKT_PKT0_S8_ifPKiSA_SA_iPKfiiiPfSD_PS3_PT2_iSC_SC_,"axG",@progbits,_Z39paged_attention_ll4mi_QKV_mfma16_kernelIDF16_hLN4vllm18Fp8KVCacheDataTypeE1EhLi16ELi64ELi256ELb0ELi13EL8MFMAType0EEvPKT_PKT0_S8_ifPKiSA_SA_iPKfiiiPfSD_PS3_PT2_iSC_SC_,comdat
	.protected	_Z39paged_attention_ll4mi_QKV_mfma16_kernelIDF16_hLN4vllm18Fp8KVCacheDataTypeE1EhLi16ELi64ELi256ELb0ELi13EL8MFMAType0EEvPKT_PKT0_S8_ifPKiSA_SA_iPKfiiiPfSD_PS3_PT2_iSC_SC_ ; -- Begin function _Z39paged_attention_ll4mi_QKV_mfma16_kernelIDF16_hLN4vllm18Fp8KVCacheDataTypeE1EhLi16ELi64ELi256ELb0ELi13EL8MFMAType0EEvPKT_PKT0_S8_ifPKiSA_SA_iPKfiiiPfSD_PS3_PT2_iSC_SC_
	.globl	_Z39paged_attention_ll4mi_QKV_mfma16_kernelIDF16_hLN4vllm18Fp8KVCacheDataTypeE1EhLi16ELi64ELi256ELb0ELi13EL8MFMAType0EEvPKT_PKT0_S8_ifPKiSA_SA_iPKfiiiPfSD_PS3_PT2_iSC_SC_
	.p2align	8
	.type	_Z39paged_attention_ll4mi_QKV_mfma16_kernelIDF16_hLN4vllm18Fp8KVCacheDataTypeE1EhLi16ELi64ELi256ELb0ELi13EL8MFMAType0EEvPKT_PKT0_S8_ifPKiSA_SA_iPKfiiiPfSD_PS3_PT2_iSC_SC_,@function
_Z39paged_attention_ll4mi_QKV_mfma16_kernelIDF16_hLN4vllm18Fp8KVCacheDataTypeE1EhLi16ELi64ELi256ELb0ELi13EL8MFMAType0EEvPKT_PKT0_S8_ifPKiSA_SA_iPKfiiiPfSD_PS3_PT2_iSC_SC_: ; @_Z39paged_attention_ll4mi_QKV_mfma16_kernelIDF16_hLN4vllm18Fp8KVCacheDataTypeE1EhLi16ELi64ELi256ELb0ELi13EL8MFMAType0EEvPKT_PKT0_S8_ifPKiSA_SA_iPKfiiiPfSD_PS3_PT2_iSC_SC_
; %bb.0:
	s_load_b64 s[2:3], s[0:1], 0x30
	s_mov_b32 s34, s13
	s_waitcnt lgkmcnt(0)
	s_cmp_lg_u64 s[2:3], 0
	s_cselect_b32 s6, -1, 0
	s_ashr_i32 s35, s13, 31
	s_cmp_eq_u64 s[2:3], 0
	s_cbranch_scc1 .LBB1114_3
; %bb.1:
	s_lshl_b64 s[4:5], s[34:35], 2
	s_delay_alu instid0(SALU_CYCLE_1) | instskip(SKIP_4) | instid1(SALU_CYCLE_1)
	s_add_u32 s4, s2, s4
	s_addc_u32 s5, s3, s5
	s_load_b64 s[4:5], s[4:5], 0x0
	s_waitcnt lgkmcnt(0)
	s_sub_i32 s4, s5, s4
	s_cmp_eq_u32 s4, 1
	s_cselect_b32 s4, -1, 0
	s_delay_alu instid0(SALU_CYCLE_1)
	s_and_not1_b32 vcc_lo, exec_lo, s4
	s_cbranch_vccz .LBB1114_4
.LBB1114_2:
	s_nop 0
	s_sendmsg sendmsg(MSG_DEALLOC_VGPRS)
	s_endpgm
.LBB1114_3:
.LBB1114_4:
	s_load_b64 s[8:9], s[0:1], 0x28
	s_lshl_b64 s[4:5], s[34:35], 2
	s_waitcnt lgkmcnt(0)
	s_add_u32 s8, s8, s4
	s_addc_u32 s9, s9, s5
	s_lshl_b32 s16, s14, 8
	s_load_b32 s18, s[8:9], 0x0
	s_waitcnt lgkmcnt(0)
	s_cmp_ge_i32 s16, s18
	s_cbranch_scc1 .LBB1114_2
; %bb.5:
	s_clause 0x1
	s_load_b128 s[8:11], s[0:1], 0x8
	s_load_b64 s[12:13], s[0:1], 0x20
	s_and_not1_b32 vcc_lo, exec_lo, s6
	s_cbranch_vccnz .LBB1114_7
; %bb.6:
	s_add_u32 s2, s2, s4
	s_addc_u32 s3, s3, s5
	s_load_b32 s3, s[2:3], 0x0
	s_branch .LBB1114_8
.LBB1114_7:
	s_mov_b32 s3, s34
.LBB1114_8:
	s_load_b128 s[4:7], s[0:1], 0x48
	v_lshrrev_b32_e32 v69, 5, v0
	v_bfe_u32 v66, v0, 4, 1
	v_and_b32_e32 v68, 15, v0
	v_and_b32_e32 v70, 31, v0
	;; [unrolled: 1-line block ×3, first 2 shown]
	s_mul_i32 s33, s15, 13
	v_lshl_or_b32 v1, v69, 1, v66
	v_lshlrev_b32_e32 v2, 3, v68
	v_cmp_gt_u32_e64 s2, 8, v68
	s_delay_alu instid0(VALU_DEP_3) | instskip(NEXT) | instid1(VALU_DEP_3)
	v_cmp_gt_u32_e32 vcc_lo, 13, v1
	v_lshlrev_b32_e32 v65, 1, v2
	s_delay_alu instid0(VALU_DEP_3)
	s_and_b32 s17, s2, vcc_lo
	s_waitcnt lgkmcnt(0)
	s_and_saveexec_b32 s7, s17
	s_cbranch_execz .LBB1114_10
; %bb.9:
	s_load_b64 s[20:21], s[0:1], 0x0
	v_add_lshl_u32 v2, v1, s33, 6
	s_mul_hi_i32 s23, s3, s4
	s_mul_i32 s22, s3, s4
	v_lshlrev_b32_e32 v6, 10, v68
	s_lshl_b64 s[22:23], s[22:23], 1
	v_ashrrev_i32_e32 v3, 31, v2
	v_lshlrev_b32_e32 v1, 6, v1
	v_lshlrev_b32_e32 v7, 10, v67
	v_and_b32_e32 v6, 0x3800, v6
	s_delay_alu instid0(VALU_DEP_4) | instskip(NEXT) | instid1(VALU_DEP_2)
	v_lshlrev_b64 v[2:3], 1, v[2:3]
	v_or3_b32 v1, v6, v7, v1
	s_waitcnt lgkmcnt(0)
	s_add_u32 s3, s20, s22
	s_addc_u32 s4, s21, s23
	s_delay_alu instid0(VALU_DEP_2) | instskip(SKIP_1) | instid1(VALU_DEP_2)
	v_add_co_u32 v2, vcc_lo, s3, v2
	v_add_co_ci_u32_e32 v3, vcc_lo, s4, v3, vcc_lo
	v_add_co_u32 v2, vcc_lo, v2, v65
	s_delay_alu instid0(VALU_DEP_2)
	v_add_co_ci_u32_e32 v3, vcc_lo, 0, v3, vcc_lo
	global_load_b128 v[2:5], v[2:3], off
	s_waitcnt vmcnt(0)
	ds_store_b128 v1, v[2:5]
.LBB1114_10:
	s_or_b32 exec_lo, exec_lo, s7
	v_and_b32_e32 v1, 0xef, v0
	s_add_i32 s3, s18, 15
	s_clause 0x1
	s_load_b32 s4, s[0:1], 0x38
	s_load_b32 s35, s[0:1], 0x98
	s_ashr_i32 s7, s3, 31
	v_add_nc_u32_e32 v1, s16, v1
	s_lshr_b32 s7, s7, 28
	s_load_b32 s19, s[0:1], 0x1c
	v_add_nc_u32_e32 v103, -13, v68
	s_add_i32 s3, s3, s7
	v_ashrrev_i32_e32 v2, 31, v1
	v_or_b32_e32 v3, 16, v1
	s_ashr_i32 s3, s3, 4
	v_cmp_gt_i32_e32 vcc_lo, s18, v1
	s_add_i32 s3, s3, -1
	v_lshrrev_b32_e32 v2, 28, v2
	s_waitcnt lgkmcnt(0)
	s_barrier
	buffer_gl0_inv
	s_mul_i32 s15, s15, s6
	v_add_nc_u32_e32 v4, v1, v2
	v_mbcnt_lo_u32_b32 v127, -1, 0
	s_mul_i32 s20, s34, s4
	s_delay_alu instid0(SALU_CYCLE_1) | instskip(NEXT) | instid1(VALU_DEP_2)
	s_ashr_i32 s21, s20, 31
	v_ashrrev_i32_e32 v4, 4, v4
	v_add_nc_u32_e32 v2, v3, v2
	s_lshl_b64 s[20:21], s[20:21], 2
	v_xor_b32_e32 v128, 16, v127
	s_add_u32 s17, s12, s20
	v_cndmask_b32_e32 v1, s3, v4, vcc_lo
	v_ashrrev_i32_e32 v2, 4, v2
	v_cmp_gt_i32_e32 vcc_lo, s18, v3
	s_addc_u32 s13, s13, s21
	s_ashr_i32 s20, s15, 31
	s_add_u32 s4, s8, s15
	s_addc_u32 s12, s9, s20
	v_cndmask_b32_e32 v3, s3, v2, vcc_lo
	v_ashrrev_i32_e32 v2, 31, v1
	s_lshl_b32 s6, s14, 4
	s_delay_alu instid0(SALU_CYCLE_1) | instskip(NEXT) | instid1(VALU_DEP_2)
	s_ashr_i32 s7, s6, 31
	v_ashrrev_i32_e32 v4, 31, v3
	s_delay_alu instid0(VALU_DEP_2) | instskip(SKIP_1) | instid1(SALU_CYCLE_1)
	v_lshlrev_b64 v[1:2], 2, v[1:2]
	s_lshl_b64 s[6:7], s[6:7], 2
	s_add_u32 s6, s17, s6
	s_delay_alu instid0(VALU_DEP_2) | instskip(SKIP_1) | instid1(VALU_DEP_2)
	v_lshlrev_b64 v[3:4], 2, v[3:4]
	s_addc_u32 s7, s13, s7
	v_add_co_u32 v1, vcc_lo, s17, v1
	v_add_co_ci_u32_e32 v2, vcc_lo, s13, v2, vcc_lo
	s_delay_alu instid0(VALU_DEP_3) | instskip(NEXT) | instid1(VALU_DEP_4)
	v_add_co_u32 v3, vcc_lo, s17, v3
	v_add_co_ci_u32_e32 v4, vcc_lo, s13, v4, vcc_lo
	s_clause 0x1
	global_load_b32 v5, v[1:2], off
	global_load_b32 v7, v[3:4], off
	s_or_b32 s8, s16, 32
	v_lshlrev_b32_e32 v1, 4, v0
	s_ashr_i32 s9, s8, 4
	s_cmp_lt_i32 s8, s18
	v_cmp_gt_u32_e32 vcc_lo, 13, v68
	s_cselect_b32 s8, s9, s3
	v_and_b32_e32 v1, 0xf0, v1
	s_ashr_i32 s9, s8, 31
	s_delay_alu instid0(SALU_CYCLE_1)
	s_lshl_b64 s[8:9], s[8:9], 2
	v_cndmask_b32_e32 v103, v103, v68, vcc_lo
	s_add_u32 s8, s17, s8
	s_addc_u32 s9, s13, s9
	s_or_b32 s21, s16, 64
	v_add_co_u32 v1, s4, s4, v1
	s_ashr_i32 s22, s21, 4
	s_cmp_lt_i32 s21, s18
	v_add_co_ci_u32_e64 v2, null, s12, 0, s4
	s_cselect_b32 s22, s22, s3
	v_cmp_gt_i32_e32 vcc_lo, 32, v128
	s_ashr_i32 s23, s22, 31
	v_lshlrev_b32_e32 v115, 6, v103
	s_lshl_b64 s[22:23], s[22:23], 2
	v_cndmask_b32_e32 v136, v127, v128, vcc_lo
	s_add_u32 s22, s17, s22
	s_addc_u32 s23, s13, s23
	s_or_b32 s21, s16, 0x60
	s_delay_alu instid0(SALU_CYCLE_1) | instskip(SKIP_2) | instid1(SALU_CYCLE_1)
	s_ashr_i32 s24, s21, 4
	s_cmp_lt_i32 s21, s18
	s_cselect_b32 s24, s24, s3
	s_ashr_i32 s25, s24, 31
	s_delay_alu instid0(SALU_CYCLE_1) | instskip(NEXT) | instid1(SALU_CYCLE_1)
	s_lshl_b64 s[24:25], s[24:25], 2
	s_add_u32 s24, s17, s24
	s_addc_u32 s25, s13, s25
	s_or_b32 s21, s16, 0x80
	s_delay_alu instid0(SALU_CYCLE_1) | instskip(SKIP_2) | instid1(SALU_CYCLE_1)
	s_ashr_i32 s26, s21, 4
	s_cmp_lt_i32 s21, s18
	s_cselect_b32 s26, s26, s3
	s_ashr_i32 s27, s26, 31
	s_delay_alu instid0(SALU_CYCLE_1) | instskip(NEXT) | instid1(SALU_CYCLE_1)
	s_lshl_b64 s[26:27], s[26:27], 2
	;; [unrolled: 10-line block ×3, first 2 shown]
	s_add_u32 s28, s17, s28
	s_addc_u32 s29, s13, s29
	s_clause 0x5
	s_load_b32 s12, s[6:7], 0x0
	s_load_b32 s4, s[8:9], 0x0
	;; [unrolled: 1-line block ×6, first 2 shown]
	s_or_b32 s21, s16, 0xc0
	s_delay_alu instid0(SALU_CYCLE_1) | instskip(SKIP_2) | instid1(SALU_CYCLE_1)
	s_ashr_i32 s22, s21, 4
	s_cmp_lt_i32 s21, s18
	s_cselect_b32 s22, s22, s3
	s_ashr_i32 s23, s22, 31
	s_delay_alu instid0(SALU_CYCLE_1) | instskip(NEXT) | instid1(SALU_CYCLE_1)
	s_lshl_b64 s[22:23], s[22:23], 2
	s_add_u32 s22, s17, s22
	s_addc_u32 s23, s13, s23
	s_or_b32 s21, s16, 0xe0
	s_delay_alu instid0(SALU_CYCLE_1) | instskip(SKIP_2) | instid1(SALU_CYCLE_1)
	s_ashr_i32 s24, s21, 4
	s_cmp_lt_i32 s21, s18
	s_cselect_b32 s24, s24, s3
	s_ashr_i32 s25, s24, 31
	s_delay_alu instid0(SALU_CYCLE_1)
	s_lshl_b64 s[24:25], s[24:25], 2
	s_waitcnt vmcnt(1)
	v_mad_i64_i32 v[3:4], null, v5, s5, v[1:2]
	s_waitcnt vmcnt(0)
	v_mad_i64_i32 v[5:6], null, v7, s5, v[1:2]
	v_lshlrev_b32_e32 v1, 4, v68
	s_clause 0x7
	global_load_b128 v[71:74], v[3:4], off
	global_load_b128 v[75:78], v[3:4], off offset:256
	global_load_b128 v[79:82], v[5:6], off
	global_load_b128 v[83:86], v[5:6], off offset:256
	global_load_b128 v[87:90], v[3:4], off offset:512
	;; [unrolled: 1-line block ×5, first 2 shown]
	v_lshl_or_b32 v1, v69, 8, v1
	s_load_b32 s3, s[22:23], 0x0
	s_add_u32 s22, s17, s24
	s_addc_u32 s23, s13, s25
	s_add_u32 s10, s10, s15
	s_addc_u32 s11, s11, s20
	v_add_co_u32 v1, s10, s10, v1
	s_delay_alu instid0(VALU_DEP_1) | instskip(SKIP_2) | instid1(VALU_DEP_1)
	v_add_co_ci_u32_e64 v2, null, s11, 0, s10
	s_load_b32 s10, s[22:23], 0x0
	s_waitcnt lgkmcnt(0)
	v_mad_i64_i32 v[3:4], null, s12, s5, v[1:2]
	v_mad_i64_i32 v[9:10], null, s7, s5, v[1:2]
	;; [unrolled: 1-line block ×7, first 2 shown]
	s_clause 0x5
	global_load_b128 v[49:52], v[3:4], off
	global_load_b128 v[53:56], v[3:4], off offset:16
	global_load_b128 v[41:44], v[5:6], off
	global_load_b128 v[45:48], v[5:6], off offset:16
	;; [unrolled: 2-line block ×3, first 2 shown]
	s_mov_b32 s4, 0
	v_mad_i64_i32 v[61:62], null, s10, s5, v[1:2]
	s_clause 0x9
	global_load_b128 v[1:4], v[9:10], off
	global_load_b128 v[5:8], v[9:10], off offset:16
	global_load_b128 v[9:12], v[13:14], off
	global_load_b128 v[13:16], v[13:14], off offset:16
	;; [unrolled: 2-line block ×5, first 2 shown]
	s_mov_b32 s5, s4
	s_mov_b32 s6, s4
	;; [unrolled: 1-line block ×7, first 2 shown]
	v_and_b32_e32 v104, 0xe0, v0
	v_dual_mov_b32 v126, s11 :: v_dual_mov_b32 v125, s10
	v_dual_mov_b32 v124, s9 :: v_dual_mov_b32 v123, s8
	s_delay_alu instid0(VALU_DEP_3)
	v_add_nc_u32_e32 v111, s16, v104
	ds_load_b128 v[103:106], v115
	ds_load_b128 v[107:110], v115 offset:1024
	v_dual_mov_b32 v122, s7 :: v_dual_mov_b32 v121, s6
	v_mov_b32_e32 v120, s5
	v_or_b32_e32 v135, v111, v66
	ds_load_b128 v[111:114], v115 offset:2048
	ds_load_b128 v[115:118], v115 offset:3072
	v_mov_b32_e32 v119, s4
	s_waitcnt vmcnt(0) lgkmcnt(0)
	s_barrier
	v_or_b32_e32 v137, 2, v135
	v_or_b32_e32 v138, 4, v135
	;; [unrolled: 1-line block ×3, first 2 shown]
	v_cmp_gt_i32_e32 vcc_lo, s18, v135
	v_or_b32_e32 v140, 8, v135
	v_cmp_gt_i32_e64 s3, s18, v137
	v_or_b32_e32 v141, 10, v135
	v_cmp_gt_i32_e64 s4, s18, v138
	v_cmp_gt_i32_e64 s5, s18, v139
	v_or_b32_e32 v142, 12, v135
	v_or_b32_e32 v143, 14, v135
	v_cmp_gt_i32_e64 s6, s18, v140
	v_cmp_gt_i32_e64 s7, s18, v141
	v_or_b32_e32 v144, 16, v135
	v_or_b32_e32 v145, 18, v135
	v_cmp_gt_i32_e64 s8, s18, v142
	v_cmp_gt_i32_e64 s9, s18, v143
	buffer_gl0_inv
	v_cmp_gt_i32_e64 s10, s18, v144
	v_cmp_gt_i32_e64 s11, s18, v145
	v_wmma_f32_16x16x16_f16 v[127:134], v[71:78], v[103:110], v[119:126]
	v_wmma_f32_16x16x16_f16 v[119:126], v[79:86], v[103:110], v[119:126]
	v_or_b32_e32 v71, 20, v135
	v_or_b32_e32 v72, 22, v135
	s_delay_alu instid0(VALU_DEP_4)
	v_wmma_f32_16x16x16_f16 v[127:134], v[87:94], v[111:118], v[127:134]
	v_or_b32_e32 v73, 24, v135
	v_wmma_f32_16x16x16_f16 v[119:126], v[95:102], v[111:118], v[119:126]
	v_or_b32_e32 v74, 26, v135
	v_cmp_gt_i32_e64 s12, s18, v71
	v_dual_mul_f32 v83, s19, v128 :: v_dual_mul_f32 v84, s19, v127
	v_dual_mul_f32 v81, s19, v130 :: v_dual_mul_f32 v82, s19, v129
	;; [unrolled: 1-line block ×3, first 2 shown]
	s_delay_alu instid0(VALU_DEP_3) | instskip(NEXT) | instid1(VALU_DEP_4)
	v_cndmask_b32_e32 v84, 0xff7fffff, v84, vcc_lo
	v_cndmask_b32_e64 v83, 0xff7fffff, v83, s3
	v_mul_f32_e32 v80, s19, v131
	v_cndmask_b32_e64 v82, 0xff7fffff, v82, s4
	v_cndmask_b32_e64 v81, 0xff7fffff, v81, s5
	v_dual_mul_f32 v77, s19, v134 :: v_dual_mul_f32 v90, s19, v121
	v_max3_f32 v83, v84, 0xff7fffff, v83
	v_mul_f32_e32 v78, s19, v133
	v_cndmask_b32_e64 v80, 0xff7fffff, v80, s6
	v_cndmask_b32_e64 v79, 0xff7fffff, v79, s7
	v_mul_f32_e32 v91, s19, v120
	v_max3_f32 v81, v83, v82, v81
	v_cndmask_b32_e64 v78, 0xff7fffff, v78, s8
	v_cndmask_b32_e64 v77, 0xff7fffff, v77, s9
	v_mul_f32_e32 v89, s19, v122
	v_cmp_gt_i32_e64 s13, s18, v72
	v_max3_f32 v79, v81, v80, v79
	v_cndmask_b32_e64 v80, 0xff7fffff, v92, s10
	v_cndmask_b32_e64 v81, 0xff7fffff, v91, s11
	v_or_b32_e32 v75, 28, v135
	v_or_b32_e32 v76, 30, v135
	v_max3_f32 v77, v79, v78, v77
	v_dual_mul_f32 v87, s19, v124 :: v_dual_mul_f32 v88, s19, v123
	v_cndmask_b32_e64 v71, 0xff7fffff, v90, s12
	v_cndmask_b32_e64 v72, 0xff7fffff, v89, s13
	s_delay_alu instid0(VALU_DEP_4) | instskip(SKIP_3) | instid1(VALU_DEP_4)
	v_max3_f32 v77, v77, v80, v81
	v_cmp_gt_i32_e64 s15, s18, v73
	v_cmp_gt_i32_e64 s16, s18, v74
	v_dual_mul_f32 v85, s19, v126 :: v_dual_mul_f32 v86, s19, v125
	v_max3_f32 v71, v77, v71, v72
	s_delay_alu instid0(VALU_DEP_4) | instskip(NEXT) | instid1(VALU_DEP_4)
	v_cndmask_b32_e64 v73, 0xff7fffff, v88, s15
	v_cndmask_b32_e64 v74, 0xff7fffff, v87, s16
	v_cmp_gt_i32_e64 s17, s18, v75
	v_cmp_gt_i32_e64 s18, s18, v76
	s_delay_alu instid0(VALU_DEP_3) | instskip(NEXT) | instid1(VALU_DEP_3)
	v_max3_f32 v71, v71, v73, v74
	v_cndmask_b32_e64 v72, 0xff7fffff, v86, s17
	s_delay_alu instid0(VALU_DEP_3) | instskip(SKIP_1) | instid1(VALU_DEP_2)
	v_cndmask_b32_e64 v75, 0xff7fffff, v85, s18
	v_lshlrev_b32_e32 v73, 2, v136
	v_max3_f32 v71, v71, v72, v75
	ds_bpermute_b32 v72, v73, v71
	s_waitcnt lgkmcnt(0)
	v_max_f32_e32 v72, v72, v72
	s_delay_alu instid0(VALU_DEP_1) | instskip(NEXT) | instid1(VALU_DEP_1)
	v_max_f32_e32 v71, v71, v72
	v_fma_f32 v72, s19, v127, -v71
	v_fma_f32 v74, s19, v128, -v71
	;; [unrolled: 1-line block ×5, first 2 shown]
	v_mul_f32_e32 v72, 0x3fb8aa3b, v72
	s_delay_alu instid0(VALU_DEP_4) | instskip(NEXT) | instid1(VALU_DEP_4)
	v_dual_mul_f32 v74, 0x3fb8aa3b, v74 :: v_dual_mul_f32 v75, 0x3fb8aa3b, v75
	v_mul_f32_e32 v76, 0x3fb8aa3b, v76
	s_delay_alu instid0(VALU_DEP_4) | instskip(NEXT) | instid1(VALU_DEP_4)
	v_mul_f32_e32 v82, 0x3fb8aa3b, v80
	v_exp_f32_e32 v72, v72
	s_delay_alu instid0(VALU_DEP_3)
	v_exp_f32_e32 v74, v74
	v_exp_f32_e32 v75, v75
	;; [unrolled: 1-line block ×3, first 2 shown]
	v_fma_f32 v77, s19, v131, -v71
	v_exp_f32_e32 v84, v82
	v_cndmask_b32_e32 v79, 0, v72, vcc_lo
	v_cndmask_b32_e64 v78, 0, v74, s3
	s_delay_alu instid0(TRANS32_DEP_3) | instskip(SKIP_1) | instid1(TRANS32_DEP_2)
	v_cndmask_b32_e64 v81, 0, v75, s4
	v_fma_f32 v72, s19, v132, -v71
	v_cndmask_b32_e64 v80, 0, v76, s5
	v_add_f32_e32 v74, 0, v79
	s_delay_alu instid0(TRANS32_DEP_1) | instskip(SKIP_2) | instid1(VALU_DEP_4)
	v_cndmask_b32_e64 v85, 0, v84, s8
	v_cmp_gt_u32_e64 s3, 16, v70
	v_mul_f32_e32 v72, 0x3fb8aa3b, v72
	v_add_f32_e32 v74, v74, v78
	s_delay_alu instid0(VALU_DEP_2) | instskip(NEXT) | instid1(VALU_DEP_1)
	v_exp_f32_e32 v72, v72
	v_add_f32_e32 v74, v74, v81
	s_delay_alu instid0(VALU_DEP_1) | instskip(NEXT) | instid1(VALU_DEP_1)
	v_dual_mul_f32 v77, 0x3fb8aa3b, v77 :: v_dual_add_f32 v74, v74, v80
	v_exp_f32_e32 v77, v77
	s_waitcnt_depctr 0xfff
	v_cndmask_b32_e64 v82, 0, v72, s7
	v_cndmask_b32_e64 v83, 0, v77, s6
	s_delay_alu instid0(VALU_DEP_1) | instskip(SKIP_4) | instid1(VALU_DEP_4)
	v_add_f32_e32 v72, v74, v83
	v_fma_f32 v75, s19, v134, -v71
	v_fma_f32 v76, s19, v119, -v71
	;; [unrolled: 1-line block ×4, first 2 shown]
	v_dual_add_f32 v72, v72, v82 :: v_dual_mul_f32 v75, 0x3fb8aa3b, v75
	s_delay_alu instid0(VALU_DEP_3) | instskip(NEXT) | instid1(VALU_DEP_3)
	v_dual_mul_f32 v76, 0x3fb8aa3b, v76 :: v_dual_mul_f32 v77, 0x3fb8aa3b, v77
	v_mul_f32_e32 v74, 0x3fb8aa3b, v74
	v_fma_f32 v86, s19, v122, -v71
	s_delay_alu instid0(VALU_DEP_4) | instskip(NEXT) | instid1(VALU_DEP_3)
	v_exp_f32_e32 v75, v75
	v_exp_f32_e32 v76, v76
	v_exp_f32_e32 v77, v77
	v_exp_f32_e32 v74, v74
	v_mul_f32_e32 v86, 0x3fb8aa3b, v86
	s_delay_alu instid0(VALU_DEP_1)
	v_exp_f32_e32 v88, v86
	v_cndmask_b32_e64 v84, 0, v75, s9
	v_fma_f32 v75, s19, v123, -v71
	v_add_f32_e32 v72, v72, v85
	v_cndmask_b32_e64 v87, 0, v76, s10
	v_fma_f32 v76, s19, v124, -v71
	s_delay_alu instid0(TRANS32_DEP_3) | instskip(NEXT) | instid1(VALU_DEP_4)
	v_cndmask_b32_e64 v86, 0, v77, s11
	v_dual_mul_f32 v75, 0x3fb8aa3b, v75 :: v_dual_add_f32 v72, v72, v84
	v_fma_f32 v77, s19, v125, -v71
	s_delay_alu instid0(VALU_DEP_4) | instskip(SKIP_1) | instid1(VALU_DEP_4)
	v_mul_f32_e32 v76, 0x3fb8aa3b, v76
	v_cndmask_b32_e64 v89, 0, v74, s12
	v_exp_f32_e32 v75, v75
	v_add_f32_e32 v72, v72, v87
	v_mul_f32_e32 v74, 0x3fb8aa3b, v77
	v_exp_f32_e32 v76, v76
	v_cndmask_b32_e64 v88, 0, v88, s13
	v_fma_f32 v77, s19, v126, -v71
	v_add_f32_e32 v72, v72, v86
	v_exp_f32_e32 v74, v74
	s_delay_alu instid0(TRANS32_DEP_3) | instskip(NEXT) | instid1(VALU_DEP_2)
	v_cndmask_b32_e64 v91, 0, v75, s15
	v_add_f32_e32 v72, v72, v89
	v_mul_f32_e32 v75, 0x3fb8aa3b, v77
	s_delay_alu instid0(TRANS32_DEP_2) | instskip(NEXT) | instid1(VALU_DEP_3)
	v_cndmask_b32_e64 v90, 0, v76, s16
	v_add_f32_e32 v72, v72, v88
	s_delay_alu instid0(VALU_DEP_3) | instskip(NEXT) | instid1(TRANS32_DEP_2)
	v_exp_f32_e32 v75, v75
	v_cndmask_b32_e64 v93, 0, v74, s17
	s_delay_alu instid0(VALU_DEP_2) | instskip(NEXT) | instid1(VALU_DEP_1)
	v_add_f32_e32 v72, v72, v91
	v_add_f32_e32 v72, v72, v90
	s_waitcnt_depctr 0xfff
	v_cndmask_b32_e64 v92, 0, v75, s18
	v_add_f32_e32 v72, v72, v93
	s_delay_alu instid0(VALU_DEP_1)
	v_add_f32_e32 v72, v72, v92
	ds_bpermute_b32 v73, v73, v72
	s_and_saveexec_b32 s4, s3
	s_cbranch_execz .LBB1114_12
; %bb.11:
	v_mul_u32_u24_e32 v70, 0x44, v69
	s_waitcnt lgkmcnt(0)
	v_add_f32_e32 v72, v72, v73
	s_delay_alu instid0(VALU_DEP_2) | instskip(NEXT) | instid1(VALU_DEP_1)
	v_lshl_add_u32 v70, v68, 2, v70
	v_add_nc_u32_e32 v70, 0x4000, v70
	ds_store_2addr_b32 v70, v71, v72 offset1:136
.LBB1114_12:
	s_or_b32 exec_lo, exec_lo, s4
	v_lshlrev_b32_e32 v70, 2, v68
	s_load_b32 s36, s[0:1], 0x94
	s_waitcnt lgkmcnt(0)
	s_barrier
	buffer_gl0_inv
	v_add_nc_u32_e32 v98, 0x4000, v70
	v_cmp_eq_u32_e32 vcc_lo, 1, v69
	v_cmp_eq_u32_e64 s4, 2, v69
	v_cmp_eq_u32_e64 s5, 3, v69
	;; [unrolled: 1-line block ×3, first 2 shown]
	ds_load_2addr_b32 v[70:71], v98 offset1:17
	ds_load_2addr_b32 v[72:73], v98 offset0:34 offset1:51
	ds_load_2addr_b32 v[74:75], v98 offset0:68 offset1:85
	;; [unrolled: 1-line block ×3, first 2 shown]
	v_cmp_eq_u32_e64 s7, 5, v69
	v_cmp_eq_u32_e64 s8, 7, v69
	s_waitcnt lgkmcnt(3)
	v_max3_f32 v76, v70, 0xff7fffff, v71
	s_waitcnt lgkmcnt(2)
	s_delay_alu instid0(VALU_DEP_1) | instskip(SKIP_1) | instid1(VALU_DEP_1)
	v_max3_f32 v76, v76, v72, v73
	s_waitcnt lgkmcnt(1)
	v_max3_f32 v76, v76, v74, v75
	s_waitcnt lgkmcnt(0)
	s_delay_alu instid0(VALU_DEP_1) | instskip(NEXT) | instid1(VALU_DEP_1)
	v_max3_f32 v76, v76, v94, v95
	v_sub_f32_e32 v77, v71, v76
	ds_load_2addr_b32 v[96:97], v98 offset0:136 offset1:153
	v_sub_f32_e32 v74, v74, v76
	v_sub_f32_e32 v70, v70, v76
	v_sub_f32_e32 v94, v94, v76
	v_dual_sub_f32 v72, v72, v76 :: v_dual_mul_f32 v77, 0x3fb8aa3b, v77
	s_delay_alu instid0(VALU_DEP_4) | instskip(NEXT) | instid1(VALU_DEP_4)
	v_mul_f32_e32 v103, 0x3fb8aa3b, v74
	v_mul_f32_e32 v99, 0x3fb8aa3b, v70
	ds_load_2addr_b32 v[70:71], v98 offset0:170 offset1:187
	v_dual_mul_f32 v101, 0x3fb8aa3b, v72 :: v_dual_mul_f32 v94, 0x3fb8aa3b, v94
	v_exp_f32_e32 v102, v77
	v_exp_f32_e32 v99, v99
	s_delay_alu instid0(VALU_DEP_1) | instskip(NEXT) | instid1(VALU_DEP_1)
	v_exp_f32_e32 v101, v101
	v_exp_f32_e32 v94, v94
	s_waitcnt lgkmcnt(1)
	s_delay_alu instid0(TRANS32_DEP_3)
	v_fma_f32 v77, v99, v96, 0
	v_sub_f32_e32 v100, v73, v76
	ds_load_2addr_b32 v[72:73], v98 offset0:204 offset1:221
	v_fmac_f32_e32 v77, v102, v97
	v_exp_f32_e32 v97, v103
	s_waitcnt lgkmcnt(1)
	s_delay_alu instid0(VALU_DEP_1)
	v_dual_fmac_f32 v77, v101, v70 :: v_dual_sub_f32 v96, v75, v76
	ds_load_2addr_b32 v[74:75], v98 offset0:238 offset1:255
	v_sub_f32_e32 v70, v95, v76
	s_waitcnt lgkmcnt(0)
	s_barrier
	v_mul_f32_e32 v96, 0x3fb8aa3b, v96
	buffer_gl0_inv
	v_exp_f32_e32 v95, v96
	v_mul_f32_e32 v100, 0x3fb8aa3b, v100
	s_delay_alu instid0(VALU_DEP_1) | instskip(SKIP_3) | instid1(VALU_DEP_2)
	v_exp_f32_e32 v100, v100
	s_waitcnt_depctr 0xfff
	v_dual_fmac_f32 v77, v100, v71 :: v_dual_mul_f32 v70, 0x3fb8aa3b, v70
	v_cndmask_b32_e32 v71, v99, v102, vcc_lo
	v_fmac_f32_e32 v77, v97, v72
	s_delay_alu instid0(VALU_DEP_3) | instskip(NEXT) | instid1(VALU_DEP_1)
	v_exp_f32_e32 v96, v70
	v_fmac_f32_e32 v77, v95, v73
	s_delay_alu instid0(VALU_DEP_1) | instskip(SKIP_2) | instid1(VALU_DEP_1)
	v_fmac_f32_e32 v77, v94, v74
	s_waitcnt_depctr 0xfff
	v_fmac_f32_e32 v77, v96, v75
	v_add_f32_e32 v74, 0x358637bd, v77
	s_delay_alu instid0(VALU_DEP_1) | instskip(SKIP_1) | instid1(VALU_DEP_2)
	v_div_scale_f32 v98, null, v74, v74, 1.0
	v_div_scale_f32 v99, vcc_lo, 1.0, v74, 1.0
	v_rcp_f32_e32 v103, v98
	s_waitcnt_depctr 0xfff
	v_fma_f32 v70, -v98, v103, 1.0
	s_delay_alu instid0(VALU_DEP_1) | instskip(SKIP_2) | instid1(VALU_DEP_2)
	v_fmac_f32_e32 v103, v70, v103
	v_cndmask_b32_e64 v70, v71, v101, s4
	v_cmp_eq_u32_e64 s4, 6, v69
	v_cndmask_b32_e64 v71, v70, v100, s5
	s_delay_alu instid0(VALU_DEP_4) | instskip(NEXT) | instid1(VALU_DEP_2)
	v_dual_mul_f32 v101, v99, v103 :: v_dual_lshlrev_b32 v70, 2, v66
	v_cndmask_b32_e64 v71, v71, v97, s6
	s_delay_alu instid0(VALU_DEP_2) | instskip(NEXT) | instid1(VALU_DEP_3)
	v_or_b32_e32 v72, 1, v70
	v_fma_f32 v100, -v98, v101, v99
	v_cmp_eq_u32_e64 s5, 1, v70
	v_cmp_eq_u32_e64 s6, 2, v70
	v_cndmask_b32_e64 v95, v71, v95, s7
	v_or_b32_e32 v71, 3, v70
	v_fmac_f32_e32 v101, v100, v103
	v_cmp_eq_u32_e64 s10, 1, v72
	v_cmp_eq_u32_e64 s13, 2, v72
	v_cndmask_b32_e64 v94, v95, v94, s4
	v_cmp_eq_u32_e64 s12, 1, v71
	v_fma_f32 v97, -v98, v101, v99
	v_cmp_eq_u32_e64 s17, 2, v71
	v_cmp_eq_u32_e64 s15, 3, v72
	v_cndmask_b32_e64 v94, v94, v96, s8
	v_cmp_eq_u32_e64 s19, 3, v71
	v_div_fmas_f32 v95, v97, v103, v101
	v_cmp_eq_u32_e32 vcc_lo, 3, v70
	v_cmp_eq_u32_e64 s4, 4, v70
	v_cmp_eq_u32_e64 s20, 4, v72
	;; [unrolled: 1-line block ×3, first 2 shown]
	v_div_fixup_f32 v95, v95, v74, 1.0
	v_lshlrev_b32_e32 v73, 6, v68
	v_cmp_eq_u32_e64 s7, 5, v70
	v_cmp_eq_u32_e64 s21, 5, v72
	;; [unrolled: 1-line block ×3, first 2 shown]
	v_mul_f32_e32 v102, v94, v95
	v_lshl_or_b32 v75, v69, 11, v73
	v_or_b32_e32 v69, 2, v70
	v_cmp_eq_u32_e64 s26, 6, v72
	v_cmp_eq_u32_e64 s28, 6, v71
	v_fma_mixlo_f16 v94, v102, v79, 0
	v_fma_mixlo_f16 v95, v102, v81, 0
	;; [unrolled: 1-line block ×8, first 2 shown]
	v_lshl_or_b32 v74, v66, 4, v75
	v_fma_mixhi_f16 v94, v102, v78, 0
	v_fma_mixhi_f16 v95, v102, v80, 0
	;; [unrolled: 1-line block ×8, first 2 shown]
	ds_store_b128 v74, v[94:97]
	ds_store_b128 v74, v[98:101] offset:1024
	s_waitcnt lgkmcnt(0)
	s_barrier
	buffer_gl0_inv
	ds_load_b128 v[78:81], v75
	ds_load_b128 v[82:85], v75 offset:16
	ds_load_b128 v[86:89], v75 offset:1024
	;; [unrolled: 1-line block ×3, first 2 shown]
	v_cmp_eq_u32_e64 s11, 1, v69
	v_cmp_eq_u32_e64 s16, 2, v69
	;; [unrolled: 1-line block ×11, first 2 shown]
	s_waitcnt lgkmcnt(3)
	v_lshrrev_b32_e32 v94, 16, v78
	s_waitcnt lgkmcnt(2)
	v_lshrrev_b32_e32 v98, 16, v82
	;; [unrolled: 2-line block ×4, first 2 shown]
	v_lshrrev_b32_e32 v95, 16, v79
	v_cndmask_b32_e64 v110, v78, v94, s5
	v_cndmask_b32_e64 v111, v82, v98, s5
	;; [unrolled: 1-line block ×8, first 2 shown]
	v_lshrrev_b32_e32 v99, 16, v83
	v_cndmask_b32_e64 v94, v86, v102, s5
	v_cndmask_b32_e64 v98, v90, v106, s5
	;; [unrolled: 1-line block ×15, first 2 shown]
	v_lshrrev_b32_e32 v103, 16, v87
	v_lshrrev_b32_e32 v107, 16, v91
	v_cndmask_b32_e64 v113, v115, v83, s16
	v_cndmask_b32_e64 v82, v94, v87, s6
	;; [unrolled: 1-line block ×7, first 2 shown]
	v_cndmask_b32_e32 v90, v102, v95, vcc_lo
	v_cndmask_b32_e32 v102, v106, v99, vcc_lo
	v_cndmask_b32_e64 v106, v110, v95, s15
	v_cndmask_b32_e64 v110, v111, v99, s15
	v_cndmask_b32_e64 v78, v78, v95, s19
	v_cndmask_b32_e64 v79, v79, v99, s19
	v_lshrrev_b32_e32 v96, 16, v80
	v_lshrrev_b32_e32 v100, 16, v84
	v_cndmask_b32_e64 v111, v112, v95, s18
	v_cndmask_b32_e64 v112, v113, v99, s18
	v_cndmask_b32_e32 v82, v82, v103, vcc_lo
	v_cndmask_b32_e32 v83, v83, v107, vcc_lo
	v_cndmask_b32_e64 v94, v94, v103, s15
	v_cndmask_b32_e64 v90, v90, v80, s4
	;; [unrolled: 1-line block ×7, first 2 shown]
	v_lshrrev_b32_e32 v104, 16, v88
	v_cndmask_b32_e64 v106, v111, v80, s22
	v_cndmask_b32_e64 v110, v112, v84, s22
	v_cndmask_b32_e64 v80, v82, v88, s4
	v_cndmask_b32_e64 v82, v83, v92, s4
	v_cndmask_b32_e64 v83, v94, v88, s20
	v_cndmask_b32_e64 v84, v90, v96, s7
	v_cndmask_b32_e64 v90, v95, v100, s7
	v_cndmask_b32_e64 v94, v99, v96, s21
	v_cndmask_b32_e64 v95, v102, v100, s21
	v_cndmask_b32_e64 v78, v78, v96, s25
	v_cndmask_b32_e64 v79, v79, v100, s25
	v_lshrrev_b32_e32 v97, 16, v81
	v_lshrrev_b32_e32 v101, 16, v85
	v_cndmask_b32_e64 v99, v106, v96, s24
	v_cndmask_b32_e64 v102, v110, v100, s24
	;; [unrolled: 1-line block ×7, first 2 shown]
	v_lshrrev_b32_e32 v105, 16, v89
	v_cndmask_b32_e64 v80, v80, v104, s7
	v_cndmask_b32_e64 v84, v84, v81, s8
	;; [unrolled: 1-line block ×16, first 2 shown]
	v_perm_b32 v81, v79, v78, 0x5040100
	v_perm_b32 v79, v95, v85, 0x5040100
	v_cndmask_b32_e64 v78, v119, v91, s16
	v_cndmask_b32_e64 v85, v117, v91, s13
	;; [unrolled: 1-line block ×3, first 2 shown]
	v_perm_b32 v80, v94, v90, 0x5040100
	v_cndmask_b32_e64 v90, v98, v103, s18
	v_cndmask_b32_e64 v86, v86, v103, s19
	;; [unrolled: 1-line block ×5, first 2 shown]
	v_lshrrev_b32_e32 v108, 16, v92
	v_cndmask_b32_e64 v90, v90, v88, s22
	v_cndmask_b32_e64 v86, v86, v88, s23
	;; [unrolled: 1-line block ×11, first 2 shown]
	v_lshrrev_b32_e32 v109, 16, v93
	v_cndmask_b32_e64 v82, v82, v93, s8
	v_cndmask_b32_e64 v88, v88, v89, s27
	;; [unrolled: 1-line block ×12, first 2 shown]
	v_perm_b32 v78, v84, v83, 0x5040100
	v_perm_b32 v85, v87, v86, 0x5040100
	;; [unrolled: 1-line block ×5, first 2 shown]
	s_mul_i32 s9, s35, 13
	s_mov_b32 s4, exec_lo
	ds_store_b128 v74, v[78:81]
	ds_store_b128 v74, v[82:85] offset:1024
	v_cmpx_gt_u32_e32 13, v0
	s_cbranch_execz .LBB1114_14
; %bb.13:
	s_mul_i32 s5, s9, s34
	s_load_b128 s[16:19], s[0:1], 0x58
	v_add3_u32 v68, s5, s33, v68
	s_delay_alu instid0(VALU_DEP_1) | instskip(NEXT) | instid1(VALU_DEP_1)
	v_mad_u64_u32 v[78:79], null, v68, s36, s[14:15]
	v_ashrrev_i32_e32 v79, 31, v78
	s_delay_alu instid0(VALU_DEP_1) | instskip(SKIP_1) | instid1(VALU_DEP_1)
	v_lshlrev_b64 v[78:79], 2, v[78:79]
	s_waitcnt lgkmcnt(0)
	v_add_co_u32 v80, vcc_lo, s18, v78
	s_delay_alu instid0(VALU_DEP_2)
	v_add_co_ci_u32_e32 v81, vcc_lo, s19, v79, vcc_lo
	v_add_co_u32 v78, vcc_lo, s16, v78
	v_add_co_ci_u32_e32 v79, vcc_lo, s17, v79, vcc_lo
	global_store_b32 v[80:81], v76, off
	global_store_b32 v[78:79], v77, off
.LBB1114_14:
	s_or_b32 exec_lo, exec_lo, s4
	s_waitcnt lgkmcnt(0)
	s_waitcnt_vscnt null, 0x0
	s_barrier
	buffer_gl0_inv
	ds_load_b128 v[84:87], v73
	ds_load_b128 v[88:91], v73 offset:16
	ds_load_b128 v[96:99], v73 offset:2064
	ds_load_b128 v[92:95], v73 offset:2048
	ds_load_b128 v[104:107], v73 offset:4112
	ds_load_b128 v[100:103], v73 offset:4096
	v_cmp_eq_u32_e32 vcc_lo, 1, v70
	v_mov_b32_e32 v76, 0
	ds_load_b128 v[112:115], v73 offset:6160
	ds_load_b128 v[108:111], v73 offset:6144
	;; [unrolled: 1-line block ×4, first 2 shown]
	v_cmp_eq_u32_e64 s5, 1, v69
	v_cmp_eq_u32_e64 s4, 1, v72
	;; [unrolled: 1-line block ×3, first 2 shown]
	v_mov_b32_e32 v77, v76
	v_mov_b32_e32 v78, v76
	;; [unrolled: 1-line block ×7, first 2 shown]
	v_cmp_eq_u32_e64 s7, 3, v72
	v_cmp_eq_u32_e64 s8, 7, v72
	s_waitcnt lgkmcnt(8)
	s_delay_alu instid0(VALU_DEP_3)
	v_wmma_f32_16x16x16_f16 v[76:83], v[49:56], v[84:91], v[76:83]
	ds_load_b128 v[53:56], v73 offset:10256
	ds_load_b128 v[49:52], v73 offset:10240
	s_waitcnt lgkmcnt(8)
	v_wmma_f32_16x16x16_f16 v[76:83], v[41:48], v[92:99], v[76:83]
	ds_load_b128 v[45:48], v73 offset:12304
	ds_load_b128 v[41:44], v73 offset:12288
	s_waitcnt lgkmcnt(8)
	;; [unrolled: 4-line block ×3, first 2 shown]
	s_barrier
	buffer_gl0_inv
	v_wmma_f32_16x16x16_f16 v[76:83], v[1:8], v[108:115], v[76:83]
	s_delay_alu instid0(VALU_DEP_1) | instskip(NEXT) | instid1(VALU_DEP_1)
	v_wmma_f32_16x16x16_f16 v[76:83], v[9:16], v[116:123], v[76:83]
	v_wmma_f32_16x16x16_f16 v[76:83], v[17:24], v[49:56], v[76:83]
	s_delay_alu instid0(VALU_DEP_1) | instskip(NEXT) | instid1(VALU_DEP_1)
	v_wmma_f32_16x16x16_f16 v[76:83], v[25:32], v[41:48], v[76:83]
	v_wmma_f32_16x16x16_f16 v[76:83], v[57:64], v[33:40], v[76:83]
	s_delay_alu instid0(VALU_DEP_1) | instskip(NEXT) | instid1(VALU_DEP_2)
	v_cvt_f16_f32_e32 v1, v76
	v_cvt_f16_f32_e32 v2, v77
	s_delay_alu instid0(VALU_DEP_3) | instskip(NEXT) | instid1(VALU_DEP_4)
	v_cvt_f16_f32_e32 v3, v78
	v_cvt_f16_f32_e32 v4, v79
	;; [unrolled: 1-line block ×6, first 2 shown]
	v_pack_b32_f16 v1, v1, v2
	v_pack_b32_f16 v2, v3, v4
	;; [unrolled: 1-line block ×3, first 2 shown]
	s_delay_alu instid0(VALU_DEP_4)
	v_pack_b32_f16 v4, v7, v8
	ds_store_b128 v74, v[1:4]
	s_waitcnt lgkmcnt(0)
	s_barrier
	buffer_gl0_inv
	ds_load_b128 v[1:4], v75
	ds_load_b128 v[5:8], v75 offset:16
	s_waitcnt lgkmcnt(1)
	v_lshrrev_b32_e32 v9, 16, v1
	s_waitcnt lgkmcnt(0)
	v_lshrrev_b32_e32 v13, 16, v5
	v_lshrrev_b32_e32 v10, 16, v2
	;; [unrolled: 1-line block ×4, first 2 shown]
	v_cndmask_b32_e32 v17, v1, v9, vcc_lo
	v_cndmask_b32_e32 v18, v5, v13, vcc_lo
	v_cndmask_b32_e64 v21, v1, v9, s5
	v_cmp_eq_u32_e32 vcc_lo, 1, v71
	v_cndmask_b32_e64 v22, v5, v13, s5
	v_cmp_eq_u32_e64 s5, 2, v70
	v_cndmask_b32_e64 v19, v1, v9, s4
	v_cndmask_b32_e64 v20, v5, v13, s4
	v_cndmask_b32_e32 v1, v1, v9, vcc_lo
	v_cmp_eq_u32_e64 s4, 2, v71
	v_cndmask_b32_e32 v5, v5, v13, vcc_lo
	v_cndmask_b32_e64 v9, v17, v2, s5
	v_cmp_eq_u32_e32 vcc_lo, 3, v70
	v_cndmask_b32_e64 v13, v18, v6, s5
	v_cmp_eq_u32_e64 s5, 2, v69
	v_cndmask_b32_e64 v17, v19, v2, s6
	v_cndmask_b32_e64 v18, v20, v6, s6
	v_cmp_eq_u32_e64 s6, 3, v69
	v_cndmask_b32_e64 v1, v1, v2, s4
	v_cndmask_b32_e64 v19, v21, v2, s5
	v_cndmask_b32_e64 v20, v22, v6, s5
	v_cndmask_b32_e64 v2, v5, v6, s4
	v_cndmask_b32_e32 v5, v9, v10, vcc_lo
	v_cndmask_b32_e32 v6, v13, v14, vcc_lo
	v_cmp_eq_u32_e32 vcc_lo, 3, v71
	v_cndmask_b32_e64 v9, v17, v10, s7
	v_cndmask_b32_e64 v13, v18, v14, s7
	;; [unrolled: 1-line block ×3, first 2 shown]
	v_cmp_eq_u32_e64 s5, 4, v70
	v_cndmask_b32_e32 v1, v1, v10, vcc_lo
	v_cndmask_b32_e32 v2, v2, v14, vcc_lo
	v_cmp_eq_u32_e32 vcc_lo, 4, v72
	v_lshrrev_b32_e32 v15, 16, v7
	v_lshrrev_b32_e32 v16, 16, v8
	v_cndmask_b32_e64 v17, v19, v10, s6
	v_cmp_eq_u32_e64 s4, 4, v71
	v_cndmask_b32_e64 v5, v5, v3, s5
	v_cndmask_b32_e64 v6, v6, v7, s5
	v_cndmask_b32_e32 v9, v9, v3, vcc_lo
	v_cmp_eq_u32_e64 s5, 5, v72
	v_cndmask_b32_e32 v10, v13, v7, vcc_lo
	v_cmp_eq_u32_e32 vcc_lo, 4, v69
	v_cmp_eq_u32_e64 s6, 5, v70
	v_cndmask_b32_e64 v2, v2, v7, s4
	v_cndmask_b32_e64 v9, v9, v11, s5
	;; [unrolled: 1-line block ×3, first 2 shown]
	v_cndmask_b32_e32 v13, v17, v3, vcc_lo
	v_cmp_eq_u32_e64 s5, 5, v69
	v_cndmask_b32_e32 v14, v18, v7, vcc_lo
	v_cndmask_b32_e64 v1, v1, v3, s4
	v_cmp_eq_u32_e32 vcc_lo, 5, v71
	v_lshrrev_b32_e32 v12, 16, v4
	v_cndmask_b32_e64 v13, v13, v11, s5
	v_cndmask_b32_e64 v3, v14, v15, s5
	v_cmp_eq_u32_e64 s5, 6, v71
	v_cndmask_b32_e32 v1, v1, v11, vcc_lo
	v_cndmask_b32_e64 v5, v5, v11, s6
	v_cmp_eq_u32_e64 s7, 6, v70
	v_cndmask_b32_e64 v6, v6, v15, s6
	v_cmp_eq_u32_e64 s6, 6, v72
	v_cmp_eq_u32_e64 s4, 6, v69
	v_cndmask_b32_e64 v1, v1, v4, s5
	v_cndmask_b32_e32 v2, v2, v15, vcc_lo
	v_cmp_eq_u32_e32 vcc_lo, 7, v71
	v_cndmask_b32_e64 v5, v5, v4, s7
	v_cndmask_b32_e64 v9, v9, v4, s6
	;; [unrolled: 1-line block ×3, first 2 shown]
	v_cmp_eq_u32_e64 s7, 7, v70
	v_cndmask_b32_e32 v1, v1, v12, vcc_lo
	v_cndmask_b32_e64 v7, v13, v4, s4
	v_cndmask_b32_e64 v3, v3, v8, s4
	;; [unrolled: 1-line block ×3, first 2 shown]
	v_cmp_eq_u32_e64 s4, 7, v69
	v_cndmask_b32_e64 v4, v10, v8, s6
	v_cndmask_b32_e64 v5, v5, v12, s7
	;; [unrolled: 1-line block ×3, first 2 shown]
	v_cndmask_b32_e32 v2, v2, v16, vcc_lo
	v_cndmask_b32_e64 v7, v7, v12, s4
	v_cndmask_b32_e64 v3, v3, v16, s4
	;; [unrolled: 1-line block ×4, first 2 shown]
	v_cmp_gt_u32_e32 vcc_lo, 32, v0
	v_perm_b32 v4, v2, v1, 0x5040100
	v_perm_b32 v3, v3, v7, 0x5040100
	;; [unrolled: 1-line block ×4, first 2 shown]
	s_and_b32 s2, vcc_lo, s2
	ds_store_b128 v74, v[1:4]
	s_waitcnt lgkmcnt(0)
	s_barrier
	buffer_gl0_inv
	s_and_saveexec_b32 s4, s2
	s_cbranch_execz .LBB1114_2
; %bb.15:
	s_load_b64 s[4:5], s[0:1], 0x68
	v_lshlrev_b32_e32 v0, 10, v0
	v_lshlrev_b32_e32 v1, 4, v67
	s_lshl_b32 s0, s36, 6
	v_add_nc_u32_e32 v18, s33, v66
	s_mul_i32 s1, s0, s34
	s_delay_alu instid0(VALU_DEP_2) | instskip(SKIP_1) | instid1(VALU_DEP_2)
	v_and_or_b32 v0, 0x3800, v0, v1
	s_mul_i32 s6, s1, s9
	v_mul_lo_u32 v1, v18, s0
	s_ashr_i32 s7, s6, 31
	v_add_nc_u32_e32 v2, 2, v18
	v_lshl_or_b32 v19, v66, 6, v0
	s_lshl_b64 s[6:7], s[6:7], 1
	v_add_nc_u32_e32 v8, 4, v18
	v_add_nc_u32_e32 v15, 6, v18
	v_mul_lo_u32 v7, v2, s0
	ds_load_b128 v[3:6], v19
	v_ashrrev_i32_e32 v2, 31, v1
	v_mul_lo_u32 v11, v8, s0
	s_waitcnt lgkmcnt(0)
	s_add_u32 s1, s4, s6
	s_addc_u32 s2, s5, s7
	s_lshl_b32 s4, s14, 6
	v_lshlrev_b64 v[9:10], 1, v[1:2]
	s_ashr_i32 s5, s4, 31
	v_ashrrev_i32_e32 v8, 31, v7
	s_lshl_b64 s[4:5], s[4:5], 1
	v_ashrrev_i32_e32 v12, 31, v11
	s_add_u32 s1, s1, s4
	s_addc_u32 s2, s2, s5
	v_add_co_u32 v1, s1, s1, v65
	s_delay_alu instid0(VALU_DEP_1) | instskip(SKIP_1) | instid1(VALU_DEP_3)
	v_add_co_ci_u32_e64 v2, null, s2, 0, s1
	v_mul_lo_u32 v15, v15, s0
	v_add_co_u32 v13, vcc_lo, v1, v9
	s_delay_alu instid0(VALU_DEP_3)
	v_add_co_ci_u32_e32 v14, vcc_lo, v2, v10, vcc_lo
	v_lshlrev_b64 v[16:17], 1, v[7:8]
	ds_load_b128 v[7:10], v19 offset:128
	global_store_b128 v[13:14], v[3:6], off
	v_add_nc_u32_e32 v5, 8, v18
	v_lshlrev_b64 v[3:4], 1, v[11:12]
	v_add_co_u32 v23, vcc_lo, v1, v16
	v_ashrrev_i32_e32 v16, 31, v15
	s_delay_alu instid0(VALU_DEP_4) | instskip(SKIP_3) | instid1(VALU_DEP_3)
	v_mul_lo_u32 v25, v5, s0
	v_add_nc_u32_e32 v5, 10, v18
	v_add_co_ci_u32_e32 v24, vcc_lo, v2, v17, vcc_lo
	v_add_co_u32 v27, vcc_lo, v1, v3
	v_mul_lo_u32 v29, v5, s0
	v_add_co_ci_u32_e32 v28, vcc_lo, v2, v4, vcc_lo
	v_lshlrev_b64 v[31:32], 1, v[15:16]
	ds_load_b128 v[3:6], v19 offset:256
	ds_load_b128 v[11:14], v19 offset:384
	;; [unrolled: 1-line block ×4, first 2 shown]
	v_ashrrev_i32_e32 v26, 31, v25
	v_ashrrev_i32_e32 v30, 31, v29
	v_add_co_u32 v31, vcc_lo, v1, v31
	s_delay_alu instid0(VALU_DEP_3) | instskip(SKIP_1) | instid1(VALU_DEP_4)
	v_lshlrev_b64 v[25:26], 1, v[25:26]
	v_add_co_ci_u32_e32 v32, vcc_lo, v2, v32, vcc_lo
	v_lshlrev_b64 v[29:30], 1, v[29:30]
	s_delay_alu instid0(VALU_DEP_3) | instskip(NEXT) | instid1(VALU_DEP_4)
	v_add_co_u32 v25, vcc_lo, v1, v25
	v_add_co_ci_u32_e32 v26, vcc_lo, v2, v26, vcc_lo
	s_delay_alu instid0(VALU_DEP_3) | instskip(NEXT) | instid1(VALU_DEP_4)
	v_add_co_u32 v29, vcc_lo, v1, v29
	v_add_co_ci_u32_e32 v30, vcc_lo, v2, v30, vcc_lo
	s_waitcnt lgkmcnt(4)
	global_store_b128 v[23:24], v[7:10], off
	s_waitcnt lgkmcnt(3)
	global_store_b128 v[27:28], v[3:6], off
	;; [unrolled: 2-line block ×5, first 2 shown]
	s_and_b32 exec_lo, exec_lo, s3
	s_cbranch_execz .LBB1114_2
; %bb.16:
	ds_load_b128 v[3:6], v0 offset:768
	s_add_i32 s1, s33, 12
	s_delay_alu instid0(SALU_CYCLE_1) | instskip(NEXT) | instid1(SALU_CYCLE_1)
	s_mul_i32 s0, s1, s0
	s_ashr_i32 s1, s0, 31
	s_delay_alu instid0(SALU_CYCLE_1) | instskip(NEXT) | instid1(SALU_CYCLE_1)
	s_lshl_b64 s[0:1], s[0:1], 1
	v_add_co_u32 v0, vcc_lo, v1, s0
	v_add_co_ci_u32_e32 v1, vcc_lo, s1, v2, vcc_lo
	s_waitcnt lgkmcnt(0)
	global_store_b128 v[0:1], v[3:6], off
	s_nop 0
	s_sendmsg sendmsg(MSG_DEALLOC_VGPRS)
	s_endpgm
	.section	.rodata,"a",@progbits
	.p2align	6, 0x0
	.amdhsa_kernel _Z39paged_attention_ll4mi_QKV_mfma16_kernelIDF16_hLN4vllm18Fp8KVCacheDataTypeE1EhLi16ELi64ELi256ELb0ELi13EL8MFMAType0EEvPKT_PKT0_S8_ifPKiSA_SA_iPKfiiiPfSD_PS3_PT2_iSC_SC_
		.amdhsa_group_segment_fixed_size 17472
		.amdhsa_private_segment_fixed_size 0
		.amdhsa_kernarg_size 400
		.amdhsa_user_sgpr_count 13
		.amdhsa_user_sgpr_dispatch_ptr 0
		.amdhsa_user_sgpr_queue_ptr 0
		.amdhsa_user_sgpr_kernarg_segment_ptr 1
		.amdhsa_user_sgpr_dispatch_id 0
		.amdhsa_user_sgpr_private_segment_size 0
		.amdhsa_wavefront_size32 1
		.amdhsa_uses_dynamic_stack 0
		.amdhsa_enable_private_segment 0
		.amdhsa_system_sgpr_workgroup_id_x 1
		.amdhsa_system_sgpr_workgroup_id_y 1
		.amdhsa_system_sgpr_workgroup_id_z 1
		.amdhsa_system_sgpr_workgroup_info 0
		.amdhsa_system_vgpr_workitem_id 0
		.amdhsa_next_free_vgpr 146
		.amdhsa_next_free_sgpr 37
		.amdhsa_reserve_vcc 1
		.amdhsa_float_round_mode_32 0
		.amdhsa_float_round_mode_16_64 0
		.amdhsa_float_denorm_mode_32 3
		.amdhsa_float_denorm_mode_16_64 3
		.amdhsa_dx10_clamp 1
		.amdhsa_ieee_mode 1
		.amdhsa_fp16_overflow 0
		.amdhsa_workgroup_processor_mode 1
		.amdhsa_memory_ordered 1
		.amdhsa_forward_progress 0
		.amdhsa_shared_vgpr_count 0
		.amdhsa_exception_fp_ieee_invalid_op 0
		.amdhsa_exception_fp_denorm_src 0
		.amdhsa_exception_fp_ieee_div_zero 0
		.amdhsa_exception_fp_ieee_overflow 0
		.amdhsa_exception_fp_ieee_underflow 0
		.amdhsa_exception_fp_ieee_inexact 0
		.amdhsa_exception_int_div_zero 0
	.end_amdhsa_kernel
	.section	.text._Z39paged_attention_ll4mi_QKV_mfma16_kernelIDF16_hLN4vllm18Fp8KVCacheDataTypeE1EhLi16ELi64ELi256ELb0ELi13EL8MFMAType0EEvPKT_PKT0_S8_ifPKiSA_SA_iPKfiiiPfSD_PS3_PT2_iSC_SC_,"axG",@progbits,_Z39paged_attention_ll4mi_QKV_mfma16_kernelIDF16_hLN4vllm18Fp8KVCacheDataTypeE1EhLi16ELi64ELi256ELb0ELi13EL8MFMAType0EEvPKT_PKT0_S8_ifPKiSA_SA_iPKfiiiPfSD_PS3_PT2_iSC_SC_,comdat
.Lfunc_end1114:
	.size	_Z39paged_attention_ll4mi_QKV_mfma16_kernelIDF16_hLN4vllm18Fp8KVCacheDataTypeE1EhLi16ELi64ELi256ELb0ELi13EL8MFMAType0EEvPKT_PKT0_S8_ifPKiSA_SA_iPKfiiiPfSD_PS3_PT2_iSC_SC_, .Lfunc_end1114-_Z39paged_attention_ll4mi_QKV_mfma16_kernelIDF16_hLN4vllm18Fp8KVCacheDataTypeE1EhLi16ELi64ELi256ELb0ELi13EL8MFMAType0EEvPKT_PKT0_S8_ifPKiSA_SA_iPKfiiiPfSD_PS3_PT2_iSC_SC_
                                        ; -- End function
	.section	.AMDGPU.csdata,"",@progbits
; Kernel info:
; codeLenInByte = 6692
; NumSgprs: 39
; NumVgprs: 146
; ScratchSize: 0
; MemoryBound: 0
; FloatMode: 240
; IeeeMode: 1
; LDSByteSize: 17472 bytes/workgroup (compile time only)
; SGPRBlocks: 4
; VGPRBlocks: 18
; NumSGPRsForWavesPerEU: 39
; NumVGPRsForWavesPerEU: 146
; Occupancy: 9
; WaveLimiterHint : 1
; COMPUTE_PGM_RSRC2:SCRATCH_EN: 0
; COMPUTE_PGM_RSRC2:USER_SGPR: 13
; COMPUTE_PGM_RSRC2:TRAP_HANDLER: 0
; COMPUTE_PGM_RSRC2:TGID_X_EN: 1
; COMPUTE_PGM_RSRC2:TGID_Y_EN: 1
; COMPUTE_PGM_RSRC2:TGID_Z_EN: 1
; COMPUTE_PGM_RSRC2:TIDIG_COMP_CNT: 0
	.section	.text._Z39paged_attention_ll4mi_QKV_mfma16_kernelIDF16_hLN4vllm18Fp8KVCacheDataTypeE1EhLi16ELi64ELi256ELb0ELi14EL8MFMAType0EEvPKT_PKT0_S8_ifPKiSA_SA_iPKfiiiPfSD_PS3_PT2_iSC_SC_,"axG",@progbits,_Z39paged_attention_ll4mi_QKV_mfma16_kernelIDF16_hLN4vllm18Fp8KVCacheDataTypeE1EhLi16ELi64ELi256ELb0ELi14EL8MFMAType0EEvPKT_PKT0_S8_ifPKiSA_SA_iPKfiiiPfSD_PS3_PT2_iSC_SC_,comdat
	.protected	_Z39paged_attention_ll4mi_QKV_mfma16_kernelIDF16_hLN4vllm18Fp8KVCacheDataTypeE1EhLi16ELi64ELi256ELb0ELi14EL8MFMAType0EEvPKT_PKT0_S8_ifPKiSA_SA_iPKfiiiPfSD_PS3_PT2_iSC_SC_ ; -- Begin function _Z39paged_attention_ll4mi_QKV_mfma16_kernelIDF16_hLN4vllm18Fp8KVCacheDataTypeE1EhLi16ELi64ELi256ELb0ELi14EL8MFMAType0EEvPKT_PKT0_S8_ifPKiSA_SA_iPKfiiiPfSD_PS3_PT2_iSC_SC_
	.globl	_Z39paged_attention_ll4mi_QKV_mfma16_kernelIDF16_hLN4vllm18Fp8KVCacheDataTypeE1EhLi16ELi64ELi256ELb0ELi14EL8MFMAType0EEvPKT_PKT0_S8_ifPKiSA_SA_iPKfiiiPfSD_PS3_PT2_iSC_SC_
	.p2align	8
	.type	_Z39paged_attention_ll4mi_QKV_mfma16_kernelIDF16_hLN4vllm18Fp8KVCacheDataTypeE1EhLi16ELi64ELi256ELb0ELi14EL8MFMAType0EEvPKT_PKT0_S8_ifPKiSA_SA_iPKfiiiPfSD_PS3_PT2_iSC_SC_,@function
_Z39paged_attention_ll4mi_QKV_mfma16_kernelIDF16_hLN4vllm18Fp8KVCacheDataTypeE1EhLi16ELi64ELi256ELb0ELi14EL8MFMAType0EEvPKT_PKT0_S8_ifPKiSA_SA_iPKfiiiPfSD_PS3_PT2_iSC_SC_: ; @_Z39paged_attention_ll4mi_QKV_mfma16_kernelIDF16_hLN4vllm18Fp8KVCacheDataTypeE1EhLi16ELi64ELi256ELb0ELi14EL8MFMAType0EEvPKT_PKT0_S8_ifPKiSA_SA_iPKfiiiPfSD_PS3_PT2_iSC_SC_
; %bb.0:
	s_load_b64 s[2:3], s[0:1], 0x30
	s_mov_b32 s34, s13
	s_waitcnt lgkmcnt(0)
	s_cmp_lg_u64 s[2:3], 0
	s_cselect_b32 s6, -1, 0
	s_ashr_i32 s35, s13, 31
	s_cmp_eq_u64 s[2:3], 0
	s_cbranch_scc1 .LBB1115_3
; %bb.1:
	s_lshl_b64 s[4:5], s[34:35], 2
	s_delay_alu instid0(SALU_CYCLE_1) | instskip(SKIP_4) | instid1(SALU_CYCLE_1)
	s_add_u32 s4, s2, s4
	s_addc_u32 s5, s3, s5
	s_load_b64 s[4:5], s[4:5], 0x0
	s_waitcnt lgkmcnt(0)
	s_sub_i32 s4, s5, s4
	s_cmp_eq_u32 s4, 1
	s_cselect_b32 s4, -1, 0
	s_delay_alu instid0(SALU_CYCLE_1)
	s_and_not1_b32 vcc_lo, exec_lo, s4
	s_cbranch_vccz .LBB1115_4
.LBB1115_2:
	s_endpgm
.LBB1115_3:
.LBB1115_4:
	s_load_b64 s[8:9], s[0:1], 0x28
	s_lshl_b64 s[4:5], s[34:35], 2
	s_waitcnt lgkmcnt(0)
	s_add_u32 s8, s8, s4
	s_addc_u32 s9, s9, s5
	s_lshl_b32 s16, s14, 8
	s_load_b32 s18, s[8:9], 0x0
	s_waitcnt lgkmcnt(0)
	s_cmp_ge_i32 s16, s18
	s_cbranch_scc1 .LBB1115_2
; %bb.5:
	s_clause 0x1
	s_load_b128 s[8:11], s[0:1], 0x8
	s_load_b64 s[12:13], s[0:1], 0x20
	s_and_not1_b32 vcc_lo, exec_lo, s6
	s_cbranch_vccnz .LBB1115_7
; %bb.6:
	s_add_u32 s2, s2, s4
	s_addc_u32 s3, s3, s5
	s_load_b32 s3, s[2:3], 0x0
	s_branch .LBB1115_8
.LBB1115_7:
	s_mov_b32 s3, s34
.LBB1115_8:
	s_load_b128 s[4:7], s[0:1], 0x48
	v_and_b32_e32 v68, 15, v0
	v_cmp_gt_u32_e32 vcc_lo, 0xe0, v0
	v_lshrrev_b32_e32 v69, 5, v0
	v_and_b32_e32 v70, 31, v0
	v_and_b32_e32 v67, 1, v0
	v_lshlrev_b32_e32 v1, 3, v68
	v_cmp_gt_u32_e64 s2, 8, v68
	v_bfe_u32 v66, v0, 4, 1
	s_mul_i32 s31, s15, 14
	s_delay_alu instid0(VALU_DEP_3) | instskip(NEXT) | instid1(VALU_DEP_3)
	v_lshlrev_b32_e32 v65, 1, v1
	s_and_b32 s17, vcc_lo, s2
	s_waitcnt lgkmcnt(0)
	s_and_saveexec_b32 s7, s17
	s_cbranch_execz .LBB1115_10
; %bb.9:
	s_load_b64 s[20:21], s[0:1], 0x0
	v_lshl_or_b32 v5, v69, 1, v66
	s_mul_hi_i32 s23, s3, s4
	s_mul_i32 s22, s3, s4
	v_lshlrev_b32_e32 v6, 10, v68
	s_lshl_b64 s[22:23], s[22:23], 1
	v_add_lshl_u32 v1, v5, s31, 6
	v_lshlrev_b32_e32 v5, 6, v5
	v_lshlrev_b32_e32 v7, 10, v67
	v_and_b32_e32 v6, 0x3800, v6
	s_delay_alu instid0(VALU_DEP_4) | instskip(NEXT) | instid1(VALU_DEP_2)
	v_ashrrev_i32_e32 v2, 31, v1
	v_or3_b32 v5, v6, v7, v5
	s_delay_alu instid0(VALU_DEP_2) | instskip(SKIP_3) | instid1(VALU_DEP_1)
	v_lshlrev_b64 v[1:2], 1, v[1:2]
	s_waitcnt lgkmcnt(0)
	s_add_u32 s3, s20, s22
	s_addc_u32 s4, s21, s23
	v_add_co_u32 v1, vcc_lo, s3, v1
	s_delay_alu instid0(VALU_DEP_2) | instskip(NEXT) | instid1(VALU_DEP_2)
	v_add_co_ci_u32_e32 v2, vcc_lo, s4, v2, vcc_lo
	v_add_co_u32 v1, vcc_lo, v1, v65
	s_delay_alu instid0(VALU_DEP_2)
	v_add_co_ci_u32_e32 v2, vcc_lo, 0, v2, vcc_lo
	global_load_b128 v[1:4], v[1:2], off
	s_waitcnt vmcnt(0)
	ds_store_b128 v5, v[1:4]
.LBB1115_10:
	s_or_b32 exec_lo, exec_lo, s7
	v_and_b32_e32 v1, 0xef, v0
	s_add_i32 s3, s18, 15
	s_clause 0x1
	s_load_b32 s4, s[0:1], 0x38
	s_load_b32 s33, s[0:1], 0x98
	s_ashr_i32 s7, s3, 31
	v_add_nc_u32_e32 v1, s16, v1
	s_lshr_b32 s7, s7, 28
	s_load_b32 s19, s[0:1], 0x1c
	v_add_nc_u32_e32 v103, -14, v68
	s_add_i32 s3, s3, s7
	v_ashrrev_i32_e32 v2, 31, v1
	v_or_b32_e32 v3, 16, v1
	s_ashr_i32 s3, s3, 4
	v_cmp_gt_i32_e32 vcc_lo, s18, v1
	s_add_i32 s3, s3, -1
	v_lshrrev_b32_e32 v2, 28, v2
	s_waitcnt lgkmcnt(0)
	s_barrier
	buffer_gl0_inv
	s_mul_i32 s15, s15, s6
	v_add_nc_u32_e32 v4, v1, v2
	v_mbcnt_lo_u32_b32 v127, -1, 0
	s_mul_i32 s20, s34, s4
	s_delay_alu instid0(SALU_CYCLE_1) | instskip(NEXT) | instid1(VALU_DEP_2)
	s_ashr_i32 s21, s20, 31
	v_ashrrev_i32_e32 v4, 4, v4
	v_add_nc_u32_e32 v2, v3, v2
	s_lshl_b64 s[20:21], s[20:21], 2
	v_xor_b32_e32 v128, 16, v127
	s_add_u32 s17, s12, s20
	v_cndmask_b32_e32 v1, s3, v4, vcc_lo
	v_ashrrev_i32_e32 v2, 4, v2
	v_cmp_gt_i32_e32 vcc_lo, s18, v3
	s_addc_u32 s13, s13, s21
	s_ashr_i32 s20, s15, 31
	s_add_u32 s4, s8, s15
	s_addc_u32 s12, s9, s20
	v_cndmask_b32_e32 v3, s3, v2, vcc_lo
	v_ashrrev_i32_e32 v2, 31, v1
	s_lshl_b32 s6, s14, 4
	s_delay_alu instid0(SALU_CYCLE_1) | instskip(NEXT) | instid1(VALU_DEP_2)
	s_ashr_i32 s7, s6, 31
	v_ashrrev_i32_e32 v4, 31, v3
	s_delay_alu instid0(VALU_DEP_2) | instskip(SKIP_1) | instid1(SALU_CYCLE_1)
	v_lshlrev_b64 v[1:2], 2, v[1:2]
	s_lshl_b64 s[6:7], s[6:7], 2
	s_add_u32 s6, s17, s6
	s_delay_alu instid0(VALU_DEP_2) | instskip(SKIP_1) | instid1(VALU_DEP_2)
	v_lshlrev_b64 v[3:4], 2, v[3:4]
	s_addc_u32 s7, s13, s7
	v_add_co_u32 v1, vcc_lo, s17, v1
	v_add_co_ci_u32_e32 v2, vcc_lo, s13, v2, vcc_lo
	s_delay_alu instid0(VALU_DEP_3) | instskip(NEXT) | instid1(VALU_DEP_4)
	v_add_co_u32 v3, vcc_lo, s17, v3
	v_add_co_ci_u32_e32 v4, vcc_lo, s13, v4, vcc_lo
	s_clause 0x1
	global_load_b32 v5, v[1:2], off
	global_load_b32 v7, v[3:4], off
	s_or_b32 s8, s16, 32
	v_lshlrev_b32_e32 v1, 4, v0
	s_ashr_i32 s9, s8, 4
	s_cmp_lt_i32 s8, s18
	v_cmp_gt_u32_e32 vcc_lo, 14, v68
	s_cselect_b32 s8, s9, s3
	v_and_b32_e32 v1, 0xf0, v1
	s_ashr_i32 s9, s8, 31
	s_delay_alu instid0(SALU_CYCLE_1)
	s_lshl_b64 s[8:9], s[8:9], 2
	v_cndmask_b32_e32 v103, v103, v68, vcc_lo
	s_add_u32 s8, s17, s8
	s_addc_u32 s9, s13, s9
	s_or_b32 s21, s16, 64
	v_add_co_u32 v1, s4, s4, v1
	s_ashr_i32 s22, s21, 4
	s_cmp_lt_i32 s21, s18
	v_add_co_ci_u32_e64 v2, null, s12, 0, s4
	s_cselect_b32 s22, s22, s3
	v_cmp_gt_i32_e32 vcc_lo, 32, v128
	s_ashr_i32 s23, s22, 31
	v_lshlrev_b32_e32 v115, 6, v103
	s_lshl_b64 s[22:23], s[22:23], 2
	v_cndmask_b32_e32 v136, v127, v128, vcc_lo
	s_add_u32 s22, s17, s22
	s_addc_u32 s23, s13, s23
	s_or_b32 s21, s16, 0x60
	s_delay_alu instid0(SALU_CYCLE_1) | instskip(SKIP_2) | instid1(SALU_CYCLE_1)
	s_ashr_i32 s24, s21, 4
	s_cmp_lt_i32 s21, s18
	s_cselect_b32 s24, s24, s3
	s_ashr_i32 s25, s24, 31
	s_delay_alu instid0(SALU_CYCLE_1) | instskip(NEXT) | instid1(SALU_CYCLE_1)
	s_lshl_b64 s[24:25], s[24:25], 2
	s_add_u32 s24, s17, s24
	s_addc_u32 s25, s13, s25
	s_or_b32 s21, s16, 0x80
	s_delay_alu instid0(SALU_CYCLE_1) | instskip(SKIP_2) | instid1(SALU_CYCLE_1)
	s_ashr_i32 s26, s21, 4
	s_cmp_lt_i32 s21, s18
	s_cselect_b32 s26, s26, s3
	s_ashr_i32 s27, s26, 31
	s_delay_alu instid0(SALU_CYCLE_1) | instskip(NEXT) | instid1(SALU_CYCLE_1)
	s_lshl_b64 s[26:27], s[26:27], 2
	;; [unrolled: 10-line block ×3, first 2 shown]
	s_add_u32 s28, s17, s28
	s_addc_u32 s29, s13, s29
	s_clause 0x5
	s_load_b32 s12, s[6:7], 0x0
	s_load_b32 s4, s[8:9], 0x0
	s_load_b32 s6, s[22:23], 0x0
	s_load_b32 s7, s[24:25], 0x0
	s_load_b32 s8, s[26:27], 0x0
	s_load_b32 s9, s[28:29], 0x0
	s_or_b32 s21, s16, 0xc0
	s_delay_alu instid0(SALU_CYCLE_1) | instskip(SKIP_2) | instid1(SALU_CYCLE_1)
	s_ashr_i32 s22, s21, 4
	s_cmp_lt_i32 s21, s18
	s_cselect_b32 s22, s22, s3
	s_ashr_i32 s23, s22, 31
	s_delay_alu instid0(SALU_CYCLE_1) | instskip(NEXT) | instid1(SALU_CYCLE_1)
	s_lshl_b64 s[22:23], s[22:23], 2
	s_add_u32 s22, s17, s22
	s_addc_u32 s23, s13, s23
	s_or_b32 s21, s16, 0xe0
	s_delay_alu instid0(SALU_CYCLE_1) | instskip(SKIP_2) | instid1(SALU_CYCLE_1)
	s_ashr_i32 s24, s21, 4
	s_cmp_lt_i32 s21, s18
	s_cselect_b32 s24, s24, s3
	s_ashr_i32 s25, s24, 31
	s_delay_alu instid0(SALU_CYCLE_1)
	s_lshl_b64 s[24:25], s[24:25], 2
	s_waitcnt vmcnt(1)
	v_mad_i64_i32 v[3:4], null, v5, s5, v[1:2]
	s_waitcnt vmcnt(0)
	v_mad_i64_i32 v[5:6], null, v7, s5, v[1:2]
	v_lshlrev_b32_e32 v1, 4, v68
	s_clause 0x7
	global_load_b128 v[71:74], v[3:4], off
	global_load_b128 v[75:78], v[3:4], off offset:256
	global_load_b128 v[79:82], v[5:6], off
	global_load_b128 v[83:86], v[5:6], off offset:256
	global_load_b128 v[87:90], v[3:4], off offset:512
	;; [unrolled: 1-line block ×5, first 2 shown]
	v_lshl_or_b32 v1, v69, 8, v1
	s_load_b32 s3, s[22:23], 0x0
	s_add_u32 s22, s17, s24
	s_addc_u32 s23, s13, s25
	s_add_u32 s10, s10, s15
	s_addc_u32 s11, s11, s20
	v_add_co_u32 v1, s10, s10, v1
	s_delay_alu instid0(VALU_DEP_1) | instskip(SKIP_2) | instid1(VALU_DEP_1)
	v_add_co_ci_u32_e64 v2, null, s11, 0, s10
	s_load_b32 s10, s[22:23], 0x0
	s_waitcnt lgkmcnt(0)
	v_mad_i64_i32 v[3:4], null, s12, s5, v[1:2]
	v_mad_i64_i32 v[9:10], null, s7, s5, v[1:2]
	;; [unrolled: 1-line block ×7, first 2 shown]
	s_clause 0x5
	global_load_b128 v[49:52], v[3:4], off
	global_load_b128 v[53:56], v[3:4], off offset:16
	global_load_b128 v[41:44], v[5:6], off
	global_load_b128 v[45:48], v[5:6], off offset:16
	;; [unrolled: 2-line block ×3, first 2 shown]
	s_mov_b32 s4, 0
	v_mad_i64_i32 v[61:62], null, s10, s5, v[1:2]
	s_clause 0x9
	global_load_b128 v[1:4], v[9:10], off
	global_load_b128 v[5:8], v[9:10], off offset:16
	global_load_b128 v[9:12], v[13:14], off
	global_load_b128 v[13:16], v[13:14], off offset:16
	;; [unrolled: 2-line block ×5, first 2 shown]
	s_mov_b32 s5, s4
	s_mov_b32 s6, s4
	;; [unrolled: 1-line block ×7, first 2 shown]
	v_and_b32_e32 v104, 0xe0, v0
	v_dual_mov_b32 v126, s11 :: v_dual_mov_b32 v125, s10
	v_dual_mov_b32 v124, s9 :: v_dual_mov_b32 v123, s8
	s_delay_alu instid0(VALU_DEP_3)
	v_add_nc_u32_e32 v111, s16, v104
	ds_load_b128 v[103:106], v115
	ds_load_b128 v[107:110], v115 offset:1024
	v_dual_mov_b32 v122, s7 :: v_dual_mov_b32 v121, s6
	v_mov_b32_e32 v120, s5
	v_or_b32_e32 v135, v111, v66
	ds_load_b128 v[111:114], v115 offset:2048
	ds_load_b128 v[115:118], v115 offset:3072
	v_mov_b32_e32 v119, s4
	s_waitcnt vmcnt(0) lgkmcnt(0)
	s_barrier
	v_or_b32_e32 v137, 2, v135
	v_or_b32_e32 v138, 4, v135
	;; [unrolled: 1-line block ×3, first 2 shown]
	v_cmp_gt_i32_e32 vcc_lo, s18, v135
	v_or_b32_e32 v140, 8, v135
	v_cmp_gt_i32_e64 s3, s18, v137
	v_or_b32_e32 v141, 10, v135
	v_cmp_gt_i32_e64 s4, s18, v138
	v_cmp_gt_i32_e64 s5, s18, v139
	v_or_b32_e32 v142, 12, v135
	v_or_b32_e32 v143, 14, v135
	v_cmp_gt_i32_e64 s6, s18, v140
	v_cmp_gt_i32_e64 s7, s18, v141
	v_or_b32_e32 v144, 16, v135
	v_or_b32_e32 v145, 18, v135
	v_cmp_gt_i32_e64 s8, s18, v142
	v_cmp_gt_i32_e64 s9, s18, v143
	buffer_gl0_inv
	v_cmp_gt_i32_e64 s10, s18, v144
	v_cmp_gt_i32_e64 s11, s18, v145
	v_wmma_f32_16x16x16_f16 v[127:134], v[71:78], v[103:110], v[119:126]
	v_wmma_f32_16x16x16_f16 v[119:126], v[79:86], v[103:110], v[119:126]
	v_or_b32_e32 v71, 20, v135
	v_or_b32_e32 v72, 22, v135
	s_delay_alu instid0(VALU_DEP_4)
	v_wmma_f32_16x16x16_f16 v[127:134], v[87:94], v[111:118], v[127:134]
	v_or_b32_e32 v73, 24, v135
	v_wmma_f32_16x16x16_f16 v[119:126], v[95:102], v[111:118], v[119:126]
	v_or_b32_e32 v74, 26, v135
	v_cmp_gt_i32_e64 s12, s18, v71
	v_dual_mul_f32 v83, s19, v128 :: v_dual_mul_f32 v84, s19, v127
	v_dual_mul_f32 v81, s19, v130 :: v_dual_mul_f32 v82, s19, v129
	;; [unrolled: 1-line block ×3, first 2 shown]
	s_delay_alu instid0(VALU_DEP_3) | instskip(NEXT) | instid1(VALU_DEP_4)
	v_cndmask_b32_e32 v84, 0xff7fffff, v84, vcc_lo
	v_cndmask_b32_e64 v83, 0xff7fffff, v83, s3
	v_mul_f32_e32 v80, s19, v131
	v_cndmask_b32_e64 v82, 0xff7fffff, v82, s4
	v_cndmask_b32_e64 v81, 0xff7fffff, v81, s5
	v_dual_mul_f32 v77, s19, v134 :: v_dual_mul_f32 v90, s19, v121
	v_max3_f32 v83, v84, 0xff7fffff, v83
	v_mul_f32_e32 v78, s19, v133
	v_cndmask_b32_e64 v80, 0xff7fffff, v80, s6
	v_cndmask_b32_e64 v79, 0xff7fffff, v79, s7
	v_mul_f32_e32 v91, s19, v120
	v_max3_f32 v81, v83, v82, v81
	v_cndmask_b32_e64 v78, 0xff7fffff, v78, s8
	v_cndmask_b32_e64 v77, 0xff7fffff, v77, s9
	v_mul_f32_e32 v89, s19, v122
	v_cmp_gt_i32_e64 s13, s18, v72
	v_max3_f32 v79, v81, v80, v79
	v_cndmask_b32_e64 v80, 0xff7fffff, v92, s10
	v_cndmask_b32_e64 v81, 0xff7fffff, v91, s11
	v_or_b32_e32 v75, 28, v135
	v_or_b32_e32 v76, 30, v135
	v_max3_f32 v77, v79, v78, v77
	v_dual_mul_f32 v87, s19, v124 :: v_dual_mul_f32 v88, s19, v123
	v_cndmask_b32_e64 v71, 0xff7fffff, v90, s12
	v_cndmask_b32_e64 v72, 0xff7fffff, v89, s13
	s_delay_alu instid0(VALU_DEP_4) | instskip(SKIP_3) | instid1(VALU_DEP_4)
	v_max3_f32 v77, v77, v80, v81
	v_cmp_gt_i32_e64 s15, s18, v73
	v_cmp_gt_i32_e64 s16, s18, v74
	v_dual_mul_f32 v85, s19, v126 :: v_dual_mul_f32 v86, s19, v125
	v_max3_f32 v71, v77, v71, v72
	s_delay_alu instid0(VALU_DEP_4) | instskip(NEXT) | instid1(VALU_DEP_4)
	v_cndmask_b32_e64 v73, 0xff7fffff, v88, s15
	v_cndmask_b32_e64 v74, 0xff7fffff, v87, s16
	v_cmp_gt_i32_e64 s17, s18, v75
	v_cmp_gt_i32_e64 s18, s18, v76
	s_delay_alu instid0(VALU_DEP_3) | instskip(NEXT) | instid1(VALU_DEP_3)
	v_max3_f32 v71, v71, v73, v74
	v_cndmask_b32_e64 v72, 0xff7fffff, v86, s17
	s_delay_alu instid0(VALU_DEP_3) | instskip(SKIP_1) | instid1(VALU_DEP_2)
	v_cndmask_b32_e64 v75, 0xff7fffff, v85, s18
	v_lshlrev_b32_e32 v73, 2, v136
	v_max3_f32 v71, v71, v72, v75
	ds_bpermute_b32 v72, v73, v71
	s_waitcnt lgkmcnt(0)
	v_max_f32_e32 v72, v72, v72
	s_delay_alu instid0(VALU_DEP_1) | instskip(NEXT) | instid1(VALU_DEP_1)
	v_max_f32_e32 v71, v71, v72
	v_fma_f32 v72, s19, v127, -v71
	v_fma_f32 v74, s19, v128, -v71
	;; [unrolled: 1-line block ×5, first 2 shown]
	v_mul_f32_e32 v72, 0x3fb8aa3b, v72
	s_delay_alu instid0(VALU_DEP_4) | instskip(NEXT) | instid1(VALU_DEP_4)
	v_dual_mul_f32 v74, 0x3fb8aa3b, v74 :: v_dual_mul_f32 v75, 0x3fb8aa3b, v75
	v_mul_f32_e32 v76, 0x3fb8aa3b, v76
	s_delay_alu instid0(VALU_DEP_4) | instskip(NEXT) | instid1(VALU_DEP_4)
	v_mul_f32_e32 v82, 0x3fb8aa3b, v80
	v_exp_f32_e32 v72, v72
	s_delay_alu instid0(VALU_DEP_3)
	v_exp_f32_e32 v74, v74
	v_exp_f32_e32 v75, v75
	v_exp_f32_e32 v76, v76
	v_fma_f32 v77, s19, v131, -v71
	v_exp_f32_e32 v84, v82
	v_cndmask_b32_e32 v79, 0, v72, vcc_lo
	v_cndmask_b32_e64 v78, 0, v74, s3
	s_delay_alu instid0(TRANS32_DEP_3) | instskip(SKIP_1) | instid1(TRANS32_DEP_2)
	v_cndmask_b32_e64 v81, 0, v75, s4
	v_fma_f32 v72, s19, v132, -v71
	v_cndmask_b32_e64 v80, 0, v76, s5
	v_add_f32_e32 v74, 0, v79
	s_delay_alu instid0(TRANS32_DEP_1) | instskip(SKIP_2) | instid1(VALU_DEP_3)
	v_cndmask_b32_e64 v85, 0, v84, s8
	s_mov_b32 s3, exec_lo
	v_mul_f32_e32 v72, 0x3fb8aa3b, v72
	v_add_f32_e32 v74, v74, v78
	s_delay_alu instid0(VALU_DEP_2) | instskip(NEXT) | instid1(VALU_DEP_1)
	v_exp_f32_e32 v72, v72
	v_add_f32_e32 v74, v74, v81
	s_delay_alu instid0(VALU_DEP_1) | instskip(NEXT) | instid1(VALU_DEP_1)
	v_dual_mul_f32 v77, 0x3fb8aa3b, v77 :: v_dual_add_f32 v74, v74, v80
	v_exp_f32_e32 v77, v77
	s_waitcnt_depctr 0xfff
	v_cndmask_b32_e64 v82, 0, v72, s7
	v_cndmask_b32_e64 v83, 0, v77, s6
	s_delay_alu instid0(VALU_DEP_1) | instskip(SKIP_4) | instid1(VALU_DEP_4)
	v_add_f32_e32 v72, v74, v83
	v_fma_f32 v75, s19, v134, -v71
	v_fma_f32 v76, s19, v119, -v71
	;; [unrolled: 1-line block ×4, first 2 shown]
	v_dual_add_f32 v72, v72, v82 :: v_dual_mul_f32 v75, 0x3fb8aa3b, v75
	s_delay_alu instid0(VALU_DEP_3) | instskip(NEXT) | instid1(VALU_DEP_3)
	v_dual_mul_f32 v76, 0x3fb8aa3b, v76 :: v_dual_mul_f32 v77, 0x3fb8aa3b, v77
	v_mul_f32_e32 v74, 0x3fb8aa3b, v74
	v_fma_f32 v86, s19, v122, -v71
	s_delay_alu instid0(VALU_DEP_4) | instskip(NEXT) | instid1(VALU_DEP_3)
	v_exp_f32_e32 v75, v75
	v_exp_f32_e32 v76, v76
	;; [unrolled: 1-line block ×4, first 2 shown]
	v_mul_f32_e32 v86, 0x3fb8aa3b, v86
	s_delay_alu instid0(VALU_DEP_1)
	v_exp_f32_e32 v88, v86
	v_cndmask_b32_e64 v84, 0, v75, s9
	v_fma_f32 v75, s19, v123, -v71
	v_add_f32_e32 v72, v72, v85
	v_cndmask_b32_e64 v87, 0, v76, s10
	v_fma_f32 v76, s19, v124, -v71
	s_delay_alu instid0(TRANS32_DEP_3) | instskip(NEXT) | instid1(VALU_DEP_4)
	v_cndmask_b32_e64 v86, 0, v77, s11
	v_dual_mul_f32 v75, 0x3fb8aa3b, v75 :: v_dual_add_f32 v72, v72, v84
	v_fma_f32 v77, s19, v125, -v71
	s_delay_alu instid0(VALU_DEP_4) | instskip(SKIP_1) | instid1(VALU_DEP_4)
	v_mul_f32_e32 v76, 0x3fb8aa3b, v76
	v_cndmask_b32_e64 v89, 0, v74, s12
	v_exp_f32_e32 v75, v75
	v_add_f32_e32 v72, v72, v87
	v_mul_f32_e32 v74, 0x3fb8aa3b, v77
	v_exp_f32_e32 v76, v76
	v_cndmask_b32_e64 v88, 0, v88, s13
	v_fma_f32 v77, s19, v126, -v71
	v_add_f32_e32 v72, v72, v86
	v_exp_f32_e32 v74, v74
	s_delay_alu instid0(TRANS32_DEP_3) | instskip(NEXT) | instid1(VALU_DEP_2)
	v_cndmask_b32_e64 v91, 0, v75, s15
	v_add_f32_e32 v72, v72, v89
	v_mul_f32_e32 v75, 0x3fb8aa3b, v77
	s_delay_alu instid0(TRANS32_DEP_2) | instskip(NEXT) | instid1(VALU_DEP_3)
	v_cndmask_b32_e64 v90, 0, v76, s16
	v_add_f32_e32 v72, v72, v88
	s_delay_alu instid0(VALU_DEP_3) | instskip(NEXT) | instid1(TRANS32_DEP_2)
	v_exp_f32_e32 v75, v75
	v_cndmask_b32_e64 v93, 0, v74, s17
	s_delay_alu instid0(VALU_DEP_2) | instskip(NEXT) | instid1(VALU_DEP_1)
	v_add_f32_e32 v72, v72, v91
	v_add_f32_e32 v72, v72, v90
	s_waitcnt_depctr 0xfff
	v_cndmask_b32_e64 v92, 0, v75, s18
	v_add_f32_e32 v72, v72, v93
	s_delay_alu instid0(VALU_DEP_1)
	v_add_f32_e32 v72, v72, v92
	ds_bpermute_b32 v73, v73, v72
	v_cmpx_gt_u32_e32 16, v70
	s_cbranch_execz .LBB1115_12
; %bb.11:
	v_mul_u32_u24_e32 v70, 0x44, v69
	s_waitcnt lgkmcnt(0)
	v_add_f32_e32 v72, v72, v73
	s_delay_alu instid0(VALU_DEP_2) | instskip(NEXT) | instid1(VALU_DEP_1)
	v_lshl_add_u32 v70, v68, 2, v70
	v_add_nc_u32_e32 v70, 0x4000, v70
	ds_store_2addr_b32 v70, v71, v72 offset1:136
.LBB1115_12:
	s_or_b32 exec_lo, exec_lo, s3
	v_lshlrev_b32_e32 v70, 2, v68
	s_load_b32 s35, s[0:1], 0x94
	s_waitcnt lgkmcnt(0)
	s_barrier
	buffer_gl0_inv
	v_add_nc_u32_e32 v98, 0x4000, v70
	v_cmp_eq_u32_e32 vcc_lo, 1, v69
	v_cmp_eq_u32_e64 s3, 2, v69
	v_cmp_eq_u32_e64 s4, 3, v69
	;; [unrolled: 1-line block ×3, first 2 shown]
	ds_load_2addr_b32 v[70:71], v98 offset1:17
	ds_load_2addr_b32 v[72:73], v98 offset0:34 offset1:51
	ds_load_2addr_b32 v[74:75], v98 offset0:68 offset1:85
	;; [unrolled: 1-line block ×3, first 2 shown]
	v_cmp_eq_u32_e64 s6, 5, v69
	v_cmp_eq_u32_e64 s7, 7, v69
	s_waitcnt lgkmcnt(3)
	v_max3_f32 v76, v70, 0xff7fffff, v71
	s_waitcnt lgkmcnt(2)
	s_delay_alu instid0(VALU_DEP_1) | instskip(SKIP_1) | instid1(VALU_DEP_1)
	v_max3_f32 v76, v76, v72, v73
	s_waitcnt lgkmcnt(1)
	v_max3_f32 v76, v76, v74, v75
	s_waitcnt lgkmcnt(0)
	s_delay_alu instid0(VALU_DEP_1) | instskip(NEXT) | instid1(VALU_DEP_1)
	v_max3_f32 v76, v76, v94, v95
	v_sub_f32_e32 v77, v71, v76
	ds_load_2addr_b32 v[96:97], v98 offset0:136 offset1:153
	v_sub_f32_e32 v74, v74, v76
	v_sub_f32_e32 v70, v70, v76
	v_sub_f32_e32 v94, v94, v76
	v_dual_sub_f32 v72, v72, v76 :: v_dual_mul_f32 v77, 0x3fb8aa3b, v77
	s_delay_alu instid0(VALU_DEP_4) | instskip(NEXT) | instid1(VALU_DEP_4)
	v_mul_f32_e32 v103, 0x3fb8aa3b, v74
	v_mul_f32_e32 v99, 0x3fb8aa3b, v70
	ds_load_2addr_b32 v[70:71], v98 offset0:170 offset1:187
	v_dual_mul_f32 v101, 0x3fb8aa3b, v72 :: v_dual_mul_f32 v94, 0x3fb8aa3b, v94
	v_exp_f32_e32 v102, v77
	v_exp_f32_e32 v99, v99
	s_delay_alu instid0(VALU_DEP_1) | instskip(NEXT) | instid1(VALU_DEP_1)
	v_exp_f32_e32 v101, v101
	v_exp_f32_e32 v94, v94
	s_waitcnt lgkmcnt(1)
	s_delay_alu instid0(TRANS32_DEP_3)
	v_fma_f32 v77, v99, v96, 0
	v_sub_f32_e32 v100, v73, v76
	ds_load_2addr_b32 v[72:73], v98 offset0:204 offset1:221
	v_fmac_f32_e32 v77, v102, v97
	v_exp_f32_e32 v97, v103
	s_waitcnt lgkmcnt(1)
	s_delay_alu instid0(VALU_DEP_1)
	v_dual_fmac_f32 v77, v101, v70 :: v_dual_sub_f32 v96, v75, v76
	ds_load_2addr_b32 v[74:75], v98 offset0:238 offset1:255
	v_sub_f32_e32 v70, v95, v76
	s_waitcnt lgkmcnt(0)
	s_barrier
	v_mul_f32_e32 v96, 0x3fb8aa3b, v96
	buffer_gl0_inv
	v_exp_f32_e32 v95, v96
	v_mul_f32_e32 v100, 0x3fb8aa3b, v100
	s_delay_alu instid0(VALU_DEP_1) | instskip(SKIP_3) | instid1(VALU_DEP_2)
	v_exp_f32_e32 v100, v100
	s_waitcnt_depctr 0xfff
	v_dual_fmac_f32 v77, v100, v71 :: v_dual_mul_f32 v70, 0x3fb8aa3b, v70
	v_cndmask_b32_e32 v71, v99, v102, vcc_lo
	v_fmac_f32_e32 v77, v97, v72
	s_delay_alu instid0(VALU_DEP_3) | instskip(NEXT) | instid1(VALU_DEP_1)
	v_exp_f32_e32 v96, v70
	v_fmac_f32_e32 v77, v95, v73
	s_delay_alu instid0(VALU_DEP_1) | instskip(SKIP_2) | instid1(VALU_DEP_1)
	v_fmac_f32_e32 v77, v94, v74
	s_waitcnt_depctr 0xfff
	v_fmac_f32_e32 v77, v96, v75
	v_add_f32_e32 v74, 0x358637bd, v77
	s_delay_alu instid0(VALU_DEP_1) | instskip(SKIP_1) | instid1(VALU_DEP_2)
	v_div_scale_f32 v98, null, v74, v74, 1.0
	v_div_scale_f32 v99, vcc_lo, 1.0, v74, 1.0
	v_rcp_f32_e32 v103, v98
	s_waitcnt_depctr 0xfff
	v_fma_f32 v70, -v98, v103, 1.0
	s_delay_alu instid0(VALU_DEP_1) | instskip(SKIP_2) | instid1(VALU_DEP_2)
	v_fmac_f32_e32 v103, v70, v103
	v_cndmask_b32_e64 v70, v71, v101, s3
	v_cmp_eq_u32_e64 s3, 6, v69
	v_cndmask_b32_e64 v71, v70, v100, s4
	s_delay_alu instid0(VALU_DEP_4) | instskip(NEXT) | instid1(VALU_DEP_2)
	v_dual_mul_f32 v101, v99, v103 :: v_dual_lshlrev_b32 v70, 2, v66
	v_cndmask_b32_e64 v71, v71, v97, s5
	s_delay_alu instid0(VALU_DEP_2) | instskip(NEXT) | instid1(VALU_DEP_3)
	v_or_b32_e32 v72, 1, v70
	v_fma_f32 v100, -v98, v101, v99
	v_cmp_eq_u32_e64 s4, 1, v70
	v_cmp_eq_u32_e64 s5, 2, v70
	v_cndmask_b32_e64 v95, v71, v95, s6
	v_or_b32_e32 v71, 3, v70
	v_fmac_f32_e32 v101, v100, v103
	v_cmp_eq_u32_e64 s9, 1, v72
	v_cmp_eq_u32_e64 s12, 2, v72
	v_cndmask_b32_e64 v94, v95, v94, s3
	v_cmp_eq_u32_e64 s11, 1, v71
	v_fma_f32 v97, -v98, v101, v99
	v_cmp_eq_u32_e64 s16, 2, v71
	v_cmp_eq_u32_e64 s13, 3, v72
	v_cndmask_b32_e64 v94, v94, v96, s7
	v_cmp_eq_u32_e64 s18, 3, v71
	v_div_fmas_f32 v95, v97, v103, v101
	v_cmp_eq_u32_e32 vcc_lo, 3, v70
	v_cmp_eq_u32_e64 s3, 4, v70
	v_cmp_eq_u32_e64 s19, 4, v72
	;; [unrolled: 1-line block ×3, first 2 shown]
	v_div_fixup_f32 v95, v95, v74, 1.0
	v_lshlrev_b32_e32 v73, 6, v68
	v_cmp_eq_u32_e64 s6, 5, v70
	v_cmp_eq_u32_e64 s20, 5, v72
	;; [unrolled: 1-line block ×3, first 2 shown]
	v_mul_f32_e32 v102, v94, v95
	v_lshl_or_b32 v75, v69, 11, v73
	v_or_b32_e32 v69, 2, v70
	v_cmp_eq_u32_e64 s25, 6, v72
	v_cmp_eq_u32_e64 s27, 6, v71
	v_fma_mixlo_f16 v94, v102, v79, 0
	v_fma_mixlo_f16 v95, v102, v81, 0
	;; [unrolled: 1-line block ×8, first 2 shown]
	v_lshl_or_b32 v74, v66, 4, v75
	v_fma_mixhi_f16 v94, v102, v78, 0
	v_fma_mixhi_f16 v95, v102, v80, 0
	;; [unrolled: 1-line block ×8, first 2 shown]
	ds_store_b128 v74, v[94:97]
	ds_store_b128 v74, v[98:101] offset:1024
	s_waitcnt lgkmcnt(0)
	s_barrier
	buffer_gl0_inv
	ds_load_b128 v[78:81], v75
	ds_load_b128 v[82:85], v75 offset:16
	ds_load_b128 v[86:89], v75 offset:1024
	;; [unrolled: 1-line block ×3, first 2 shown]
	v_cmp_eq_u32_e64 s10, 1, v69
	v_cmp_eq_u32_e64 s15, 2, v69
	;; [unrolled: 1-line block ×11, first 2 shown]
	s_waitcnt lgkmcnt(3)
	v_lshrrev_b32_e32 v94, 16, v78
	s_waitcnt lgkmcnt(2)
	v_lshrrev_b32_e32 v98, 16, v82
	;; [unrolled: 2-line block ×4, first 2 shown]
	v_lshrrev_b32_e32 v95, 16, v79
	v_cndmask_b32_e64 v110, v78, v94, s4
	v_cndmask_b32_e64 v111, v82, v98, s4
	;; [unrolled: 1-line block ×8, first 2 shown]
	v_lshrrev_b32_e32 v99, 16, v83
	v_cndmask_b32_e64 v94, v86, v102, s4
	v_cndmask_b32_e64 v98, v90, v106, s4
	;; [unrolled: 1-line block ×15, first 2 shown]
	v_lshrrev_b32_e32 v103, 16, v87
	v_lshrrev_b32_e32 v107, 16, v91
	v_cndmask_b32_e64 v113, v115, v83, s15
	v_cndmask_b32_e64 v82, v94, v87, s5
	;; [unrolled: 1-line block ×7, first 2 shown]
	v_cndmask_b32_e32 v90, v102, v95, vcc_lo
	v_cndmask_b32_e32 v102, v106, v99, vcc_lo
	v_cndmask_b32_e64 v106, v110, v95, s13
	v_cndmask_b32_e64 v110, v111, v99, s13
	;; [unrolled: 1-line block ×4, first 2 shown]
	v_lshrrev_b32_e32 v96, 16, v80
	v_lshrrev_b32_e32 v100, 16, v84
	v_cndmask_b32_e64 v111, v112, v95, s17
	v_cndmask_b32_e64 v112, v113, v99, s17
	v_cndmask_b32_e32 v82, v82, v103, vcc_lo
	v_cndmask_b32_e32 v83, v83, v107, vcc_lo
	v_cndmask_b32_e64 v94, v94, v103, s13
	v_cndmask_b32_e64 v90, v90, v80, s3
	;; [unrolled: 1-line block ×7, first 2 shown]
	v_lshrrev_b32_e32 v104, 16, v88
	v_cndmask_b32_e64 v106, v111, v80, s21
	v_cndmask_b32_e64 v110, v112, v84, s21
	;; [unrolled: 1-line block ×11, first 2 shown]
	v_lshrrev_b32_e32 v97, 16, v81
	v_lshrrev_b32_e32 v101, 16, v85
	v_cndmask_b32_e64 v99, v106, v96, s23
	v_cndmask_b32_e64 v102, v110, v100, s23
	;; [unrolled: 1-line block ×7, first 2 shown]
	v_lshrrev_b32_e32 v105, 16, v89
	v_cndmask_b32_e64 v80, v80, v104, s6
	v_cndmask_b32_e64 v84, v84, v81, s7
	;; [unrolled: 1-line block ×16, first 2 shown]
	v_perm_b32 v81, v79, v78, 0x5040100
	v_perm_b32 v79, v95, v85, 0x5040100
	v_cndmask_b32_e64 v78, v119, v91, s15
	v_cndmask_b32_e64 v85, v117, v91, s12
	;; [unrolled: 1-line block ×3, first 2 shown]
	v_perm_b32 v80, v94, v90, 0x5040100
	v_cndmask_b32_e64 v90, v98, v103, s17
	v_cndmask_b32_e64 v86, v86, v103, s18
	;; [unrolled: 1-line block ×5, first 2 shown]
	v_lshrrev_b32_e32 v108, 16, v92
	v_cndmask_b32_e64 v90, v90, v88, s21
	v_cndmask_b32_e64 v86, v86, v88, s22
	;; [unrolled: 1-line block ×11, first 2 shown]
	v_lshrrev_b32_e32 v109, 16, v93
	v_cndmask_b32_e64 v82, v82, v93, s7
	v_cndmask_b32_e64 v88, v88, v89, s26
	;; [unrolled: 1-line block ×12, first 2 shown]
	v_perm_b32 v78, v84, v83, 0x5040100
	v_perm_b32 v85, v87, v86, 0x5040100
	;; [unrolled: 1-line block ×5, first 2 shown]
	s_mul_i32 s8, s33, 14
	s_mov_b32 s3, exec_lo
	ds_store_b128 v74, v[78:81]
	ds_store_b128 v74, v[82:85] offset:1024
	v_cmpx_gt_u32_e32 14, v0
	s_cbranch_execz .LBB1115_14
; %bb.13:
	s_mul_i32 s4, s8, s34
	s_delay_alu instid0(SALU_CYCLE_1) | instskip(SKIP_1) | instid1(VALU_DEP_1)
	v_add3_u32 v68, s4, s31, v68
	s_load_b128 s[4:7], s[0:1], 0x58
	v_mad_u64_u32 v[78:79], null, v68, s35, s[14:15]
	s_delay_alu instid0(VALU_DEP_1) | instskip(NEXT) | instid1(VALU_DEP_1)
	v_ashrrev_i32_e32 v79, 31, v78
	v_lshlrev_b64 v[78:79], 2, v[78:79]
	s_waitcnt lgkmcnt(0)
	s_delay_alu instid0(VALU_DEP_1) | instskip(NEXT) | instid1(VALU_DEP_2)
	v_add_co_u32 v80, vcc_lo, s6, v78
	v_add_co_ci_u32_e32 v81, vcc_lo, s7, v79, vcc_lo
	v_add_co_u32 v78, vcc_lo, s4, v78
	v_add_co_ci_u32_e32 v79, vcc_lo, s5, v79, vcc_lo
	global_store_b32 v[80:81], v76, off
	global_store_b32 v[78:79], v77, off
.LBB1115_14:
	s_or_b32 exec_lo, exec_lo, s3
	s_waitcnt lgkmcnt(0)
	s_waitcnt_vscnt null, 0x0
	s_barrier
	buffer_gl0_inv
	ds_load_b128 v[84:87], v73
	ds_load_b128 v[88:91], v73 offset:16
	ds_load_b128 v[96:99], v73 offset:2064
	ds_load_b128 v[92:95], v73 offset:2048
	ds_load_b128 v[104:107], v73 offset:4112
	ds_load_b128 v[100:103], v73 offset:4096
	v_cmp_eq_u32_e32 vcc_lo, 1, v70
	v_mov_b32_e32 v76, 0
	ds_load_b128 v[112:115], v73 offset:6160
	ds_load_b128 v[108:111], v73 offset:6144
	;; [unrolled: 1-line block ×4, first 2 shown]
	v_cmp_eq_u32_e64 s4, 1, v69
	v_cmp_eq_u32_e64 s3, 1, v72
	;; [unrolled: 1-line block ×3, first 2 shown]
	v_mov_b32_e32 v77, v76
	v_mov_b32_e32 v78, v76
	;; [unrolled: 1-line block ×7, first 2 shown]
	v_cmp_eq_u32_e64 s6, 3, v72
	v_cmp_eq_u32_e64 s7, 7, v72
	s_waitcnt lgkmcnt(8)
	s_delay_alu instid0(VALU_DEP_3)
	v_wmma_f32_16x16x16_f16 v[76:83], v[49:56], v[84:91], v[76:83]
	ds_load_b128 v[53:56], v73 offset:10256
	ds_load_b128 v[49:52], v73 offset:10240
	s_waitcnt lgkmcnt(8)
	v_wmma_f32_16x16x16_f16 v[76:83], v[41:48], v[92:99], v[76:83]
	ds_load_b128 v[45:48], v73 offset:12304
	ds_load_b128 v[41:44], v73 offset:12288
	s_waitcnt lgkmcnt(8)
	;; [unrolled: 4-line block ×3, first 2 shown]
	s_barrier
	buffer_gl0_inv
	v_wmma_f32_16x16x16_f16 v[76:83], v[1:8], v[108:115], v[76:83]
	s_delay_alu instid0(VALU_DEP_1) | instskip(NEXT) | instid1(VALU_DEP_1)
	v_wmma_f32_16x16x16_f16 v[76:83], v[9:16], v[116:123], v[76:83]
	v_wmma_f32_16x16x16_f16 v[76:83], v[17:24], v[49:56], v[76:83]
	s_delay_alu instid0(VALU_DEP_1) | instskip(NEXT) | instid1(VALU_DEP_1)
	v_wmma_f32_16x16x16_f16 v[76:83], v[25:32], v[41:48], v[76:83]
	v_wmma_f32_16x16x16_f16 v[76:83], v[57:64], v[33:40], v[76:83]
	s_delay_alu instid0(VALU_DEP_1) | instskip(NEXT) | instid1(VALU_DEP_2)
	v_cvt_f16_f32_e32 v1, v76
	v_cvt_f16_f32_e32 v2, v77
	s_delay_alu instid0(VALU_DEP_3) | instskip(NEXT) | instid1(VALU_DEP_4)
	v_cvt_f16_f32_e32 v3, v78
	v_cvt_f16_f32_e32 v4, v79
	;; [unrolled: 1-line block ×6, first 2 shown]
	v_pack_b32_f16 v1, v1, v2
	v_pack_b32_f16 v2, v3, v4
	;; [unrolled: 1-line block ×3, first 2 shown]
	s_delay_alu instid0(VALU_DEP_4)
	v_pack_b32_f16 v4, v7, v8
	ds_store_b128 v74, v[1:4]
	s_waitcnt lgkmcnt(0)
	s_barrier
	buffer_gl0_inv
	ds_load_b128 v[1:4], v75
	ds_load_b128 v[5:8], v75 offset:16
	s_waitcnt lgkmcnt(1)
	v_lshrrev_b32_e32 v9, 16, v1
	s_waitcnt lgkmcnt(0)
	v_lshrrev_b32_e32 v13, 16, v5
	v_lshrrev_b32_e32 v10, 16, v2
	;; [unrolled: 1-line block ×4, first 2 shown]
	v_cndmask_b32_e32 v17, v1, v9, vcc_lo
	v_cndmask_b32_e32 v18, v5, v13, vcc_lo
	v_cndmask_b32_e64 v21, v1, v9, s4
	v_cmp_eq_u32_e32 vcc_lo, 1, v71
	v_cndmask_b32_e64 v22, v5, v13, s4
	v_cmp_eq_u32_e64 s4, 2, v70
	v_cndmask_b32_e64 v19, v1, v9, s3
	v_cndmask_b32_e64 v20, v5, v13, s3
	v_cndmask_b32_e32 v1, v1, v9, vcc_lo
	v_cmp_eq_u32_e64 s3, 2, v71
	v_cndmask_b32_e32 v5, v5, v13, vcc_lo
	v_cndmask_b32_e64 v9, v17, v2, s4
	v_cmp_eq_u32_e32 vcc_lo, 3, v70
	v_cndmask_b32_e64 v13, v18, v6, s4
	v_cmp_eq_u32_e64 s4, 2, v69
	v_cndmask_b32_e64 v17, v19, v2, s5
	v_cndmask_b32_e64 v18, v20, v6, s5
	v_cmp_eq_u32_e64 s5, 3, v69
	v_cndmask_b32_e64 v1, v1, v2, s3
	v_cndmask_b32_e64 v19, v21, v2, s4
	;; [unrolled: 1-line block ×4, first 2 shown]
	v_cndmask_b32_e32 v5, v9, v10, vcc_lo
	v_cndmask_b32_e32 v6, v13, v14, vcc_lo
	v_cmp_eq_u32_e32 vcc_lo, 3, v71
	v_cndmask_b32_e64 v9, v17, v10, s6
	v_cndmask_b32_e64 v13, v18, v14, s6
	;; [unrolled: 1-line block ×3, first 2 shown]
	v_cmp_eq_u32_e64 s4, 4, v70
	v_cndmask_b32_e32 v1, v1, v10, vcc_lo
	v_cndmask_b32_e32 v2, v2, v14, vcc_lo
	v_cmp_eq_u32_e32 vcc_lo, 4, v72
	v_lshrrev_b32_e32 v15, 16, v7
	v_lshrrev_b32_e32 v16, 16, v8
	v_cndmask_b32_e64 v17, v19, v10, s5
	v_cmp_eq_u32_e64 s3, 4, v71
	v_cndmask_b32_e64 v5, v5, v3, s4
	v_cndmask_b32_e64 v6, v6, v7, s4
	v_cndmask_b32_e32 v9, v9, v3, vcc_lo
	v_cmp_eq_u32_e64 s4, 5, v72
	v_cndmask_b32_e32 v10, v13, v7, vcc_lo
	v_cmp_eq_u32_e32 vcc_lo, 4, v69
	v_cmp_eq_u32_e64 s5, 5, v70
	v_cndmask_b32_e64 v2, v2, v7, s3
	v_cndmask_b32_e64 v9, v9, v11, s4
	;; [unrolled: 1-line block ×3, first 2 shown]
	v_cndmask_b32_e32 v13, v17, v3, vcc_lo
	v_cmp_eq_u32_e64 s4, 5, v69
	v_cndmask_b32_e32 v14, v18, v7, vcc_lo
	v_cndmask_b32_e64 v1, v1, v3, s3
	v_cmp_eq_u32_e32 vcc_lo, 5, v71
	v_lshrrev_b32_e32 v12, 16, v4
	v_cndmask_b32_e64 v13, v13, v11, s4
	v_cndmask_b32_e64 v3, v14, v15, s4
	v_cmp_eq_u32_e64 s4, 6, v71
	v_cndmask_b32_e32 v1, v1, v11, vcc_lo
	v_cndmask_b32_e64 v5, v5, v11, s5
	v_cmp_eq_u32_e64 s6, 6, v70
	v_cndmask_b32_e64 v6, v6, v15, s5
	v_cmp_eq_u32_e64 s5, 6, v72
	v_cmp_eq_u32_e64 s3, 6, v69
	v_cndmask_b32_e64 v1, v1, v4, s4
	v_cndmask_b32_e32 v2, v2, v15, vcc_lo
	v_cmp_eq_u32_e32 vcc_lo, 7, v71
	v_cndmask_b32_e64 v5, v5, v4, s6
	v_cndmask_b32_e64 v9, v9, v4, s5
	;; [unrolled: 1-line block ×3, first 2 shown]
	v_cmp_eq_u32_e64 s6, 7, v70
	v_cndmask_b32_e32 v1, v1, v12, vcc_lo
	v_cndmask_b32_e64 v7, v13, v4, s3
	v_cndmask_b32_e64 v3, v3, v8, s3
	v_cndmask_b32_e64 v2, v2, v8, s4
	v_cmp_eq_u32_e64 s3, 7, v69
	v_cndmask_b32_e64 v4, v10, v8, s5
	v_cndmask_b32_e64 v5, v5, v12, s6
	;; [unrolled: 1-line block ×3, first 2 shown]
	v_cndmask_b32_e32 v2, v2, v16, vcc_lo
	v_cndmask_b32_e64 v7, v7, v12, s3
	v_cndmask_b32_e64 v3, v3, v16, s3
	v_cndmask_b32_e64 v8, v4, v16, s7
	v_cndmask_b32_e64 v6, v6, v16, s6
	v_cmp_gt_u32_e32 vcc_lo, 32, v0
	v_perm_b32 v4, v2, v1, 0x5040100
	v_perm_b32 v3, v3, v7, 0x5040100
	;; [unrolled: 1-line block ×4, first 2 shown]
	s_and_b32 s2, vcc_lo, s2
	ds_store_b128 v74, v[1:4]
	s_waitcnt lgkmcnt(0)
	s_barrier
	buffer_gl0_inv
	s_and_saveexec_b32 s3, s2
	s_cbranch_execz .LBB1115_2
; %bb.15:
	s_load_b64 s[0:1], s[0:1], 0x68
	v_lshlrev_b32_e32 v0, 10, v0
	s_lshl_b32 s4, s35, 6
	v_or_b32_e32 v3, s31, v66
	s_mul_i32 s2, s4, s34
	v_lshlrev_b32_e32 v1, 4, v67
	v_lshlrev_b32_e32 v2, 6, v66
	v_and_b32_e32 v0, 0x3800, v0
	s_mul_i32 s2, s2, s8
	v_mul_lo_u32 v8, v3, s4
	s_ashr_i32 s3, s2, 31
	s_delay_alu instid0(SALU_CYCLE_1)
	s_lshl_b64 s[2:3], s[2:3], 1
	v_or3_b32 v16, v0, v1, v2
	ds_load_b128 v[0:3], v16
	ds_load_b128 v[4:7], v16 offset:128
	v_ashrrev_i32_e32 v9, 31, v8
	s_waitcnt lgkmcnt(0)
	s_add_u32 s2, s0, s2
	s_addc_u32 s3, s1, s3
	s_lshl_b32 s0, s14, 6
	s_delay_alu instid0(SALU_CYCLE_1) | instskip(SKIP_2) | instid1(SALU_CYCLE_1)
	s_ashr_i32 s1, s0, 31
	v_lshlrev_b64 v[9:10], 1, v[8:9]
	s_lshl_b64 s[0:1], s[0:1], 1
	s_add_u32 s0, s2, s0
	s_addc_u32 s1, s3, s1
	s_lshl_b32 s2, s35, 7
	v_add_co_u32 v30, s0, s0, v65
	v_add_nc_u32_e32 v11, s2, v8
	v_add_co_ci_u32_e64 v31, null, s1, 0, s0
	s_delay_alu instid0(VALU_DEP_3) | instskip(NEXT) | instid1(VALU_DEP_3)
	v_add_co_u32 v9, vcc_lo, v30, v9
	v_add_nc_u32_e32 v8, s2, v11
	s_delay_alu instid0(VALU_DEP_3) | instskip(SKIP_1) | instid1(VALU_DEP_3)
	v_add_co_ci_u32_e32 v10, vcc_lo, v31, v10, vcc_lo
	v_ashrrev_i32_e32 v12, 31, v11
	v_add_nc_u32_e32 v13, s2, v8
	global_store_b128 v[9:10], v[0:3], off
	v_ashrrev_i32_e32 v9, 31, v8
	v_lshlrev_b64 v[11:12], 1, v[11:12]
	v_ashrrev_i32_e32 v14, 31, v13
	v_add_nc_u32_e32 v10, s2, v13
	s_delay_alu instid0(VALU_DEP_4) | instskip(NEXT) | instid1(VALU_DEP_4)
	v_lshlrev_b64 v[2:3], 1, v[8:9]
	v_add_co_u32 v0, vcc_lo, v30, v11
	s_delay_alu instid0(VALU_DEP_4)
	v_lshlrev_b64 v[8:9], 1, v[13:14]
	v_add_co_ci_u32_e32 v1, vcc_lo, v31, v12, vcc_lo
	v_ashrrev_i32_e32 v11, 31, v10
	v_add_co_u32 v22, vcc_lo, v30, v2
	v_add_nc_u32_e32 v20, s2, v10
	v_add_co_ci_u32_e32 v23, vcc_lo, v31, v3, vcc_lo
	v_add_co_u32 v24, vcc_lo, v30, v8
	global_store_b128 v[0:1], v[4:7], off
	v_add_co_ci_u32_e32 v25, vcc_lo, v31, v9, vcc_lo
	ds_load_b128 v[0:3], v16 offset:256
	ds_load_b128 v[4:7], v16 offset:384
	v_lshlrev_b64 v[26:27], 1, v[10:11]
	ds_load_b128 v[8:11], v16 offset:512
	ds_load_b128 v[12:15], v16 offset:640
	;; [unrolled: 1-line block ×3, first 2 shown]
	v_add_nc_u32_e32 v28, s2, v20
	v_ashrrev_i32_e32 v21, 31, v20
	v_add_co_u32 v26, vcc_lo, v30, v26
	s_delay_alu instid0(VALU_DEP_3) | instskip(NEXT) | instid1(VALU_DEP_3)
	v_ashrrev_i32_e32 v29, 31, v28
	v_lshlrev_b64 v[20:21], 1, v[20:21]
	v_add_co_ci_u32_e32 v27, vcc_lo, v31, v27, vcc_lo
	s_delay_alu instid0(VALU_DEP_3) | instskip(NEXT) | instid1(VALU_DEP_3)
	v_lshlrev_b64 v[28:29], 1, v[28:29]
	v_add_co_u32 v20, vcc_lo, v30, v20
	s_delay_alu instid0(VALU_DEP_4) | instskip(NEXT) | instid1(VALU_DEP_3)
	v_add_co_ci_u32_e32 v21, vcc_lo, v31, v21, vcc_lo
	v_add_co_u32 v28, vcc_lo, v30, v28
	s_delay_alu instid0(VALU_DEP_4)
	v_add_co_ci_u32_e32 v29, vcc_lo, v31, v29, vcc_lo
	s_waitcnt lgkmcnt(4)
	global_store_b128 v[22:23], v[0:3], off
	s_waitcnt lgkmcnt(3)
	global_store_b128 v[24:25], v[4:7], off
	;; [unrolled: 2-line block ×5, first 2 shown]
	s_nop 0
	s_sendmsg sendmsg(MSG_DEALLOC_VGPRS)
	s_endpgm
	.section	.rodata,"a",@progbits
	.p2align	6, 0x0
	.amdhsa_kernel _Z39paged_attention_ll4mi_QKV_mfma16_kernelIDF16_hLN4vllm18Fp8KVCacheDataTypeE1EhLi16ELi64ELi256ELb0ELi14EL8MFMAType0EEvPKT_PKT0_S8_ifPKiSA_SA_iPKfiiiPfSD_PS3_PT2_iSC_SC_
		.amdhsa_group_segment_fixed_size 17472
		.amdhsa_private_segment_fixed_size 0
		.amdhsa_kernarg_size 400
		.amdhsa_user_sgpr_count 13
		.amdhsa_user_sgpr_dispatch_ptr 0
		.amdhsa_user_sgpr_queue_ptr 0
		.amdhsa_user_sgpr_kernarg_segment_ptr 1
		.amdhsa_user_sgpr_dispatch_id 0
		.amdhsa_user_sgpr_private_segment_size 0
		.amdhsa_wavefront_size32 1
		.amdhsa_uses_dynamic_stack 0
		.amdhsa_enable_private_segment 0
		.amdhsa_system_sgpr_workgroup_id_x 1
		.amdhsa_system_sgpr_workgroup_id_y 1
		.amdhsa_system_sgpr_workgroup_id_z 1
		.amdhsa_system_sgpr_workgroup_info 0
		.amdhsa_system_vgpr_workitem_id 0
		.amdhsa_next_free_vgpr 146
		.amdhsa_next_free_sgpr 36
		.amdhsa_reserve_vcc 1
		.amdhsa_float_round_mode_32 0
		.amdhsa_float_round_mode_16_64 0
		.amdhsa_float_denorm_mode_32 3
		.amdhsa_float_denorm_mode_16_64 3
		.amdhsa_dx10_clamp 1
		.amdhsa_ieee_mode 1
		.amdhsa_fp16_overflow 0
		.amdhsa_workgroup_processor_mode 1
		.amdhsa_memory_ordered 1
		.amdhsa_forward_progress 0
		.amdhsa_shared_vgpr_count 0
		.amdhsa_exception_fp_ieee_invalid_op 0
		.amdhsa_exception_fp_denorm_src 0
		.amdhsa_exception_fp_ieee_div_zero 0
		.amdhsa_exception_fp_ieee_overflow 0
		.amdhsa_exception_fp_ieee_underflow 0
		.amdhsa_exception_fp_ieee_inexact 0
		.amdhsa_exception_int_div_zero 0
	.end_amdhsa_kernel
	.section	.text._Z39paged_attention_ll4mi_QKV_mfma16_kernelIDF16_hLN4vllm18Fp8KVCacheDataTypeE1EhLi16ELi64ELi256ELb0ELi14EL8MFMAType0EEvPKT_PKT0_S8_ifPKiSA_SA_iPKfiiiPfSD_PS3_PT2_iSC_SC_,"axG",@progbits,_Z39paged_attention_ll4mi_QKV_mfma16_kernelIDF16_hLN4vllm18Fp8KVCacheDataTypeE1EhLi16ELi64ELi256ELb0ELi14EL8MFMAType0EEvPKT_PKT0_S8_ifPKiSA_SA_iPKfiiiPfSD_PS3_PT2_iSC_SC_,comdat
.Lfunc_end1115:
	.size	_Z39paged_attention_ll4mi_QKV_mfma16_kernelIDF16_hLN4vllm18Fp8KVCacheDataTypeE1EhLi16ELi64ELi256ELb0ELi14EL8MFMAType0EEvPKT_PKT0_S8_ifPKiSA_SA_iPKfiiiPfSD_PS3_PT2_iSC_SC_, .Lfunc_end1115-_Z39paged_attention_ll4mi_QKV_mfma16_kernelIDF16_hLN4vllm18Fp8KVCacheDataTypeE1EhLi16ELi64ELi256ELb0ELi14EL8MFMAType0EEvPKT_PKT0_S8_ifPKiSA_SA_iPKfiiiPfSD_PS3_PT2_iSC_SC_
                                        ; -- End function
	.section	.AMDGPU.csdata,"",@progbits
; Kernel info:
; codeLenInByte = 6640
; NumSgprs: 38
; NumVgprs: 146
; ScratchSize: 0
; MemoryBound: 0
; FloatMode: 240
; IeeeMode: 1
; LDSByteSize: 17472 bytes/workgroup (compile time only)
; SGPRBlocks: 4
; VGPRBlocks: 18
; NumSGPRsForWavesPerEU: 38
; NumVGPRsForWavesPerEU: 146
; Occupancy: 9
; WaveLimiterHint : 1
; COMPUTE_PGM_RSRC2:SCRATCH_EN: 0
; COMPUTE_PGM_RSRC2:USER_SGPR: 13
; COMPUTE_PGM_RSRC2:TRAP_HANDLER: 0
; COMPUTE_PGM_RSRC2:TGID_X_EN: 1
; COMPUTE_PGM_RSRC2:TGID_Y_EN: 1
; COMPUTE_PGM_RSRC2:TGID_Z_EN: 1
; COMPUTE_PGM_RSRC2:TIDIG_COMP_CNT: 0
	.section	.text._Z39paged_attention_ll4mi_QKV_mfma16_kernelIDF16_hLN4vllm18Fp8KVCacheDataTypeE1EhLi16ELi64ELi256ELb0ELi15EL8MFMAType0EEvPKT_PKT0_S8_ifPKiSA_SA_iPKfiiiPfSD_PS3_PT2_iSC_SC_,"axG",@progbits,_Z39paged_attention_ll4mi_QKV_mfma16_kernelIDF16_hLN4vllm18Fp8KVCacheDataTypeE1EhLi16ELi64ELi256ELb0ELi15EL8MFMAType0EEvPKT_PKT0_S8_ifPKiSA_SA_iPKfiiiPfSD_PS3_PT2_iSC_SC_,comdat
	.protected	_Z39paged_attention_ll4mi_QKV_mfma16_kernelIDF16_hLN4vllm18Fp8KVCacheDataTypeE1EhLi16ELi64ELi256ELb0ELi15EL8MFMAType0EEvPKT_PKT0_S8_ifPKiSA_SA_iPKfiiiPfSD_PS3_PT2_iSC_SC_ ; -- Begin function _Z39paged_attention_ll4mi_QKV_mfma16_kernelIDF16_hLN4vllm18Fp8KVCacheDataTypeE1EhLi16ELi64ELi256ELb0ELi15EL8MFMAType0EEvPKT_PKT0_S8_ifPKiSA_SA_iPKfiiiPfSD_PS3_PT2_iSC_SC_
	.globl	_Z39paged_attention_ll4mi_QKV_mfma16_kernelIDF16_hLN4vllm18Fp8KVCacheDataTypeE1EhLi16ELi64ELi256ELb0ELi15EL8MFMAType0EEvPKT_PKT0_S8_ifPKiSA_SA_iPKfiiiPfSD_PS3_PT2_iSC_SC_
	.p2align	8
	.type	_Z39paged_attention_ll4mi_QKV_mfma16_kernelIDF16_hLN4vllm18Fp8KVCacheDataTypeE1EhLi16ELi64ELi256ELb0ELi15EL8MFMAType0EEvPKT_PKT0_S8_ifPKiSA_SA_iPKfiiiPfSD_PS3_PT2_iSC_SC_,@function
_Z39paged_attention_ll4mi_QKV_mfma16_kernelIDF16_hLN4vllm18Fp8KVCacheDataTypeE1EhLi16ELi64ELi256ELb0ELi15EL8MFMAType0EEvPKT_PKT0_S8_ifPKiSA_SA_iPKfiiiPfSD_PS3_PT2_iSC_SC_: ; @_Z39paged_attention_ll4mi_QKV_mfma16_kernelIDF16_hLN4vllm18Fp8KVCacheDataTypeE1EhLi16ELi64ELi256ELb0ELi15EL8MFMAType0EEvPKT_PKT0_S8_ifPKiSA_SA_iPKfiiiPfSD_PS3_PT2_iSC_SC_
; %bb.0:
	s_load_b64 s[2:3], s[0:1], 0x30
	s_mov_b32 s34, s13
	s_waitcnt lgkmcnt(0)
	s_cmp_lg_u64 s[2:3], 0
	s_cselect_b32 s6, -1, 0
	s_ashr_i32 s35, s13, 31
	s_cmp_eq_u64 s[2:3], 0
	s_cbranch_scc1 .LBB1116_3
; %bb.1:
	s_lshl_b64 s[4:5], s[34:35], 2
	s_delay_alu instid0(SALU_CYCLE_1) | instskip(SKIP_4) | instid1(SALU_CYCLE_1)
	s_add_u32 s4, s2, s4
	s_addc_u32 s5, s3, s5
	s_load_b64 s[4:5], s[4:5], 0x0
	s_waitcnt lgkmcnt(0)
	s_sub_i32 s4, s5, s4
	s_cmp_eq_u32 s4, 1
	s_cselect_b32 s4, -1, 0
	s_delay_alu instid0(SALU_CYCLE_1)
	s_and_not1_b32 vcc_lo, exec_lo, s4
	s_cbranch_vccz .LBB1116_4
.LBB1116_2:
	s_nop 0
	s_sendmsg sendmsg(MSG_DEALLOC_VGPRS)
	s_endpgm
.LBB1116_3:
.LBB1116_4:
	s_load_b64 s[8:9], s[0:1], 0x28
	s_lshl_b64 s[4:5], s[34:35], 2
	s_waitcnt lgkmcnt(0)
	s_add_u32 s8, s8, s4
	s_addc_u32 s9, s9, s5
	s_lshl_b32 s16, s14, 8
	s_load_b32 s18, s[8:9], 0x0
	s_waitcnt lgkmcnt(0)
	s_cmp_ge_i32 s16, s18
	s_cbranch_scc1 .LBB1116_2
; %bb.5:
	s_clause 0x1
	s_load_b128 s[8:11], s[0:1], 0x8
	s_load_b64 s[12:13], s[0:1], 0x20
	s_and_not1_b32 vcc_lo, exec_lo, s6
	s_cbranch_vccnz .LBB1116_7
; %bb.6:
	s_add_u32 s2, s2, s4
	s_addc_u32 s3, s3, s5
	s_load_b32 s3, s[2:3], 0x0
	s_branch .LBB1116_8
.LBB1116_7:
	s_mov_b32 s3, s34
.LBB1116_8:
	s_load_b128 s[4:7], s[0:1], 0x48
	v_lshrrev_b32_e32 v69, 5, v0
	v_bfe_u32 v66, v0, 4, 1
	v_and_b32_e32 v68, 15, v0
	v_and_b32_e32 v70, 31, v0
	;; [unrolled: 1-line block ×3, first 2 shown]
	s_mul_i32 s33, s15, 15
	v_lshl_or_b32 v1, v69, 1, v66
	v_lshlrev_b32_e32 v2, 3, v68
	v_cmp_gt_u32_e64 s2, 8, v68
	s_delay_alu instid0(VALU_DEP_3) | instskip(NEXT) | instid1(VALU_DEP_3)
	v_cmp_gt_u32_e32 vcc_lo, 15, v1
	v_lshlrev_b32_e32 v65, 1, v2
	s_delay_alu instid0(VALU_DEP_3)
	s_and_b32 s17, s2, vcc_lo
	s_waitcnt lgkmcnt(0)
	s_and_saveexec_b32 s7, s17
	s_cbranch_execz .LBB1116_10
; %bb.9:
	s_load_b64 s[20:21], s[0:1], 0x0
	v_add_lshl_u32 v2, v1, s33, 6
	s_mul_hi_i32 s23, s3, s4
	s_mul_i32 s22, s3, s4
	v_lshlrev_b32_e32 v6, 10, v68
	s_lshl_b64 s[22:23], s[22:23], 1
	v_ashrrev_i32_e32 v3, 31, v2
	v_lshlrev_b32_e32 v1, 6, v1
	v_lshlrev_b32_e32 v7, 10, v67
	v_and_b32_e32 v6, 0x3800, v6
	s_delay_alu instid0(VALU_DEP_4) | instskip(NEXT) | instid1(VALU_DEP_2)
	v_lshlrev_b64 v[2:3], 1, v[2:3]
	v_or3_b32 v1, v6, v7, v1
	s_waitcnt lgkmcnt(0)
	s_add_u32 s3, s20, s22
	s_addc_u32 s4, s21, s23
	s_delay_alu instid0(VALU_DEP_2) | instskip(SKIP_1) | instid1(VALU_DEP_2)
	v_add_co_u32 v2, vcc_lo, s3, v2
	v_add_co_ci_u32_e32 v3, vcc_lo, s4, v3, vcc_lo
	v_add_co_u32 v2, vcc_lo, v2, v65
	s_delay_alu instid0(VALU_DEP_2)
	v_add_co_ci_u32_e32 v3, vcc_lo, 0, v3, vcc_lo
	global_load_b128 v[2:5], v[2:3], off
	s_waitcnt vmcnt(0)
	ds_store_b128 v1, v[2:5]
.LBB1116_10:
	s_or_b32 exec_lo, exec_lo, s7
	v_and_b32_e32 v1, 0xef, v0
	s_add_i32 s3, s18, 15
	s_clause 0x1
	s_load_b32 s4, s[0:1], 0x38
	s_load_b32 s35, s[0:1], 0x98
	s_ashr_i32 s7, s3, 31
	v_add_nc_u32_e32 v1, s16, v1
	s_lshr_b32 s7, s7, 28
	s_load_b32 s19, s[0:1], 0x1c
	s_add_i32 s3, s3, s7
	s_waitcnt lgkmcnt(0)
	v_ashrrev_i32_e32 v2, 31, v1
	v_or_b32_e32 v3, 16, v1
	s_ashr_i32 s3, s3, 4
	v_cmp_gt_i32_e32 vcc_lo, s18, v1
	s_add_i32 s3, s3, -1
	v_lshrrev_b32_e32 v2, 28, v2
	s_barrier
	buffer_gl0_inv
	s_mul_i32 s15, s15, s6
	v_mbcnt_lo_u32_b32 v127, -1, 0
	v_add_nc_u32_e32 v4, v1, v2
	s_mul_i32 s20, s34, s4
	s_delay_alu instid0(SALU_CYCLE_1) | instskip(NEXT) | instid1(VALU_DEP_1)
	s_ashr_i32 s21, s20, 31
	v_ashrrev_i32_e32 v4, 4, v4
	v_add_nc_u32_e32 v2, v3, v2
	s_lshl_b64 s[20:21], s[20:21], 2
	v_xor_b32_e32 v128, 16, v127
	s_add_u32 s17, s12, s20
	v_cndmask_b32_e32 v1, s3, v4, vcc_lo
	v_ashrrev_i32_e32 v2, 4, v2
	v_cmp_gt_i32_e32 vcc_lo, s18, v3
	s_addc_u32 s13, s13, s21
	s_ashr_i32 s20, s15, 31
	s_add_u32 s4, s8, s15
	s_addc_u32 s12, s9, s20
	v_cndmask_b32_e32 v3, s3, v2, vcc_lo
	v_ashrrev_i32_e32 v2, 31, v1
	s_lshl_b32 s6, s14, 4
	s_delay_alu instid0(SALU_CYCLE_1) | instskip(NEXT) | instid1(VALU_DEP_2)
	s_ashr_i32 s7, s6, 31
	v_ashrrev_i32_e32 v4, 31, v3
	s_delay_alu instid0(VALU_DEP_2) | instskip(SKIP_1) | instid1(SALU_CYCLE_1)
	v_lshlrev_b64 v[1:2], 2, v[1:2]
	s_lshl_b64 s[6:7], s[6:7], 2
	s_add_u32 s6, s17, s6
	s_delay_alu instid0(VALU_DEP_2) | instskip(SKIP_1) | instid1(VALU_DEP_2)
	v_lshlrev_b64 v[3:4], 2, v[3:4]
	s_addc_u32 s7, s13, s7
	v_add_co_u32 v1, vcc_lo, s17, v1
	v_add_co_ci_u32_e32 v2, vcc_lo, s13, v2, vcc_lo
	s_delay_alu instid0(VALU_DEP_3) | instskip(NEXT) | instid1(VALU_DEP_4)
	v_add_co_u32 v3, vcc_lo, s17, v3
	v_add_co_ci_u32_e32 v4, vcc_lo, s13, v4, vcc_lo
	s_clause 0x1
	global_load_b32 v5, v[1:2], off
	global_load_b32 v7, v[3:4], off
	s_or_b32 s8, s16, 32
	v_lshlrev_b32_e32 v1, 4, v0
	s_ashr_i32 s9, s8, 4
	s_cmp_lt_i32 s8, s18
	v_cmp_ne_u32_e32 vcc_lo, 15, v68
	s_cselect_b32 s8, s9, s3
	v_and_b32_e32 v1, 0xf0, v1
	s_ashr_i32 s9, s8, 31
	s_delay_alu instid0(SALU_CYCLE_1)
	s_lshl_b64 s[8:9], s[8:9], 2
	v_cndmask_b32_e32 v103, 0, v68, vcc_lo
	s_add_u32 s8, s17, s8
	s_addc_u32 s9, s13, s9
	s_or_b32 s21, s16, 64
	v_add_co_u32 v1, s4, s4, v1
	s_ashr_i32 s22, s21, 4
	s_cmp_lt_i32 s21, s18
	v_add_co_ci_u32_e64 v2, null, s12, 0, s4
	s_cselect_b32 s22, s22, s3
	v_cmp_gt_i32_e32 vcc_lo, 32, v128
	s_ashr_i32 s23, s22, 31
	v_lshlrev_b32_e32 v115, 6, v103
	s_lshl_b64 s[22:23], s[22:23], 2
	v_cndmask_b32_e32 v136, v127, v128, vcc_lo
	s_add_u32 s22, s17, s22
	s_addc_u32 s23, s13, s23
	s_or_b32 s21, s16, 0x60
	s_delay_alu instid0(SALU_CYCLE_1) | instskip(SKIP_2) | instid1(SALU_CYCLE_1)
	s_ashr_i32 s24, s21, 4
	s_cmp_lt_i32 s21, s18
	s_cselect_b32 s24, s24, s3
	s_ashr_i32 s25, s24, 31
	s_delay_alu instid0(SALU_CYCLE_1) | instskip(NEXT) | instid1(SALU_CYCLE_1)
	s_lshl_b64 s[24:25], s[24:25], 2
	s_add_u32 s24, s17, s24
	s_addc_u32 s25, s13, s25
	s_or_b32 s21, s16, 0x80
	s_delay_alu instid0(SALU_CYCLE_1) | instskip(SKIP_2) | instid1(SALU_CYCLE_1)
	s_ashr_i32 s26, s21, 4
	s_cmp_lt_i32 s21, s18
	s_cselect_b32 s26, s26, s3
	s_ashr_i32 s27, s26, 31
	s_delay_alu instid0(SALU_CYCLE_1) | instskip(NEXT) | instid1(SALU_CYCLE_1)
	s_lshl_b64 s[26:27], s[26:27], 2
	;; [unrolled: 10-line block ×3, first 2 shown]
	s_add_u32 s28, s17, s28
	s_addc_u32 s29, s13, s29
	s_clause 0x5
	s_load_b32 s12, s[6:7], 0x0
	s_load_b32 s4, s[8:9], 0x0
	;; [unrolled: 1-line block ×6, first 2 shown]
	s_or_b32 s21, s16, 0xc0
	s_delay_alu instid0(SALU_CYCLE_1) | instskip(SKIP_2) | instid1(SALU_CYCLE_1)
	s_ashr_i32 s22, s21, 4
	s_cmp_lt_i32 s21, s18
	s_cselect_b32 s22, s22, s3
	s_ashr_i32 s23, s22, 31
	s_delay_alu instid0(SALU_CYCLE_1) | instskip(NEXT) | instid1(SALU_CYCLE_1)
	s_lshl_b64 s[22:23], s[22:23], 2
	s_add_u32 s22, s17, s22
	s_addc_u32 s23, s13, s23
	s_or_b32 s21, s16, 0xe0
	s_delay_alu instid0(SALU_CYCLE_1) | instskip(SKIP_2) | instid1(SALU_CYCLE_1)
	s_ashr_i32 s24, s21, 4
	s_cmp_lt_i32 s21, s18
	s_cselect_b32 s24, s24, s3
	s_ashr_i32 s25, s24, 31
	s_delay_alu instid0(SALU_CYCLE_1)
	s_lshl_b64 s[24:25], s[24:25], 2
	s_waitcnt vmcnt(1)
	v_mad_i64_i32 v[3:4], null, v5, s5, v[1:2]
	s_waitcnt vmcnt(0)
	v_mad_i64_i32 v[5:6], null, v7, s5, v[1:2]
	v_lshlrev_b32_e32 v1, 4, v68
	s_clause 0x7
	global_load_b128 v[71:74], v[3:4], off
	global_load_b128 v[75:78], v[3:4], off offset:256
	global_load_b128 v[79:82], v[5:6], off
	global_load_b128 v[83:86], v[5:6], off offset:256
	global_load_b128 v[87:90], v[3:4], off offset:512
	;; [unrolled: 1-line block ×5, first 2 shown]
	v_lshl_or_b32 v1, v69, 8, v1
	s_load_b32 s3, s[22:23], 0x0
	s_add_u32 s22, s17, s24
	s_addc_u32 s23, s13, s25
	s_add_u32 s10, s10, s15
	s_addc_u32 s11, s11, s20
	v_add_co_u32 v1, s10, s10, v1
	s_delay_alu instid0(VALU_DEP_1) | instskip(SKIP_2) | instid1(VALU_DEP_1)
	v_add_co_ci_u32_e64 v2, null, s11, 0, s10
	s_load_b32 s10, s[22:23], 0x0
	s_waitcnt lgkmcnt(0)
	v_mad_i64_i32 v[3:4], null, s12, s5, v[1:2]
	v_mad_i64_i32 v[9:10], null, s7, s5, v[1:2]
	;; [unrolled: 1-line block ×7, first 2 shown]
	s_clause 0x5
	global_load_b128 v[49:52], v[3:4], off
	global_load_b128 v[53:56], v[3:4], off offset:16
	global_load_b128 v[41:44], v[5:6], off
	global_load_b128 v[45:48], v[5:6], off offset:16
	global_load_b128 v[33:36], v[7:8], off
	global_load_b128 v[37:40], v[7:8], off offset:16
	s_mov_b32 s4, 0
	v_mad_i64_i32 v[61:62], null, s10, s5, v[1:2]
	s_clause 0x9
	global_load_b128 v[1:4], v[9:10], off
	global_load_b128 v[5:8], v[9:10], off offset:16
	global_load_b128 v[9:12], v[13:14], off
	global_load_b128 v[13:16], v[13:14], off offset:16
	;; [unrolled: 2-line block ×5, first 2 shown]
	s_mov_b32 s5, s4
	s_mov_b32 s6, s4
	s_mov_b32 s7, s4
	s_mov_b32 s8, s4
	s_mov_b32 s9, s4
	s_mov_b32 s10, s4
	s_mov_b32 s11, s4
	v_and_b32_e32 v104, 0xe0, v0
	v_dual_mov_b32 v126, s11 :: v_dual_mov_b32 v125, s10
	v_dual_mov_b32 v124, s9 :: v_dual_mov_b32 v123, s8
	s_delay_alu instid0(VALU_DEP_3)
	v_add_nc_u32_e32 v111, s16, v104
	ds_load_b128 v[103:106], v115
	ds_load_b128 v[107:110], v115 offset:1024
	v_dual_mov_b32 v122, s7 :: v_dual_mov_b32 v121, s6
	v_mov_b32_e32 v120, s5
	v_or_b32_e32 v135, v111, v66
	ds_load_b128 v[111:114], v115 offset:2048
	ds_load_b128 v[115:118], v115 offset:3072
	v_mov_b32_e32 v119, s4
	s_waitcnt vmcnt(0) lgkmcnt(0)
	s_barrier
	v_or_b32_e32 v137, 2, v135
	v_or_b32_e32 v138, 4, v135
	v_or_b32_e32 v139, 6, v135
	v_cmp_gt_i32_e32 vcc_lo, s18, v135
	v_or_b32_e32 v140, 8, v135
	v_cmp_gt_i32_e64 s3, s18, v137
	v_or_b32_e32 v141, 10, v135
	v_cmp_gt_i32_e64 s4, s18, v138
	v_cmp_gt_i32_e64 s5, s18, v139
	v_or_b32_e32 v142, 12, v135
	v_or_b32_e32 v143, 14, v135
	v_cmp_gt_i32_e64 s6, s18, v140
	v_cmp_gt_i32_e64 s7, s18, v141
	v_or_b32_e32 v144, 16, v135
	v_or_b32_e32 v145, 18, v135
	v_cmp_gt_i32_e64 s8, s18, v142
	v_cmp_gt_i32_e64 s9, s18, v143
	buffer_gl0_inv
	v_cmp_gt_i32_e64 s10, s18, v144
	v_cmp_gt_i32_e64 s11, s18, v145
	v_wmma_f32_16x16x16_f16 v[127:134], v[71:78], v[103:110], v[119:126]
	v_wmma_f32_16x16x16_f16 v[119:126], v[79:86], v[103:110], v[119:126]
	v_or_b32_e32 v71, 20, v135
	v_or_b32_e32 v72, 22, v135
	s_delay_alu instid0(VALU_DEP_4)
	v_wmma_f32_16x16x16_f16 v[127:134], v[87:94], v[111:118], v[127:134]
	v_or_b32_e32 v73, 24, v135
	v_wmma_f32_16x16x16_f16 v[119:126], v[95:102], v[111:118], v[119:126]
	v_or_b32_e32 v74, 26, v135
	v_cmp_gt_i32_e64 s12, s18, v71
	v_dual_mul_f32 v83, s19, v128 :: v_dual_mul_f32 v84, s19, v127
	s_delay_alu instid0(VALU_DEP_4) | instskip(SKIP_1) | instid1(VALU_DEP_3)
	v_dual_mul_f32 v81, s19, v130 :: v_dual_mul_f32 v92, s19, v119
	v_mul_f32_e32 v82, s19, v129
	v_cndmask_b32_e64 v83, 0xff7fffff, v83, s3
	s_delay_alu instid0(VALU_DEP_4)
	v_cndmask_b32_e32 v84, 0xff7fffff, v84, vcc_lo
	v_dual_mul_f32 v79, s19, v132 :: v_dual_mul_f32 v90, s19, v121
	v_mul_f32_e32 v80, s19, v131
	v_cndmask_b32_e64 v82, 0xff7fffff, v82, s4
	v_cndmask_b32_e64 v81, 0xff7fffff, v81, s5
	v_max3_f32 v83, v84, 0xff7fffff, v83
	v_dual_mul_f32 v77, s19, v134 :: v_dual_mul_f32 v88, s19, v123
	v_mul_f32_e32 v78, s19, v133
	v_cndmask_b32_e64 v80, 0xff7fffff, v80, s6
	v_cndmask_b32_e64 v79, 0xff7fffff, v79, s7
	v_max3_f32 v81, v83, v82, v81
	v_mul_f32_e32 v91, s19, v120
	v_cndmask_b32_e64 v78, 0xff7fffff, v78, s8
	v_cndmask_b32_e64 v77, 0xff7fffff, v77, s9
	v_mul_f32_e32 v89, s19, v122
	v_max3_f32 v79, v81, v80, v79
	v_cndmask_b32_e64 v80, 0xff7fffff, v92, s10
	v_cndmask_b32_e64 v81, 0xff7fffff, v91, s11
	v_cmp_gt_i32_e64 s13, s18, v72
	v_or_b32_e32 v75, 28, v135
	v_max3_f32 v77, v79, v78, v77
	v_or_b32_e32 v76, 30, v135
	v_mul_f32_e32 v87, s19, v124
	v_cndmask_b32_e64 v71, 0xff7fffff, v90, s12
	v_cndmask_b32_e64 v72, 0xff7fffff, v89, s13
	v_max3_f32 v77, v77, v80, v81
	v_cmp_gt_i32_e64 s15, s18, v73
	v_cmp_gt_i32_e64 s16, s18, v74
	v_dual_mul_f32 v85, s19, v126 :: v_dual_mul_f32 v86, s19, v125
	s_delay_alu instid0(VALU_DEP_4) | instskip(NEXT) | instid1(VALU_DEP_4)
	v_max3_f32 v71, v77, v71, v72
	v_cndmask_b32_e64 v73, 0xff7fffff, v88, s15
	s_delay_alu instid0(VALU_DEP_4) | instskip(SKIP_2) | instid1(VALU_DEP_3)
	v_cndmask_b32_e64 v74, 0xff7fffff, v87, s16
	v_cmp_gt_i32_e64 s17, s18, v75
	v_cmp_gt_i32_e64 s18, s18, v76
	v_max3_f32 v71, v71, v73, v74
	s_delay_alu instid0(VALU_DEP_3) | instskip(NEXT) | instid1(VALU_DEP_3)
	v_cndmask_b32_e64 v72, 0xff7fffff, v86, s17
	v_cndmask_b32_e64 v75, 0xff7fffff, v85, s18
	v_lshlrev_b32_e32 v73, 2, v136
	s_delay_alu instid0(VALU_DEP_2) | instskip(SKIP_3) | instid1(VALU_DEP_1)
	v_max3_f32 v71, v71, v72, v75
	ds_bpermute_b32 v72, v73, v71
	s_waitcnt lgkmcnt(0)
	v_max_f32_e32 v72, v72, v72
	v_max_f32_e32 v71, v71, v72
	s_delay_alu instid0(VALU_DEP_1)
	v_fma_f32 v72, s19, v127, -v71
	v_fma_f32 v74, s19, v128, -v71
	v_fma_f32 v75, s19, v129, -v71
	v_fma_f32 v76, s19, v130, -v71
	v_fma_f32 v77, s19, v131, -v71
	v_mul_f32_e32 v72, 0x3fb8aa3b, v72
	v_mul_f32_e32 v74, 0x3fb8aa3b, v74
	v_fma_f32 v80, s19, v133, -v71
	s_delay_alu instid0(VALU_DEP_4) | instskip(NEXT) | instid1(VALU_DEP_4)
	v_dual_mul_f32 v76, 0x3fb8aa3b, v76 :: v_dual_mul_f32 v77, 0x3fb8aa3b, v77
	v_exp_f32_e32 v72, v72
	s_delay_alu instid0(VALU_DEP_3) | instskip(NEXT) | instid1(VALU_DEP_2)
	v_exp_f32_e32 v74, v74
	v_mul_f32_e32 v82, 0x3fb8aa3b, v80
	s_delay_alu instid0(VALU_DEP_2) | instskip(SKIP_1) | instid1(VALU_DEP_1)
	v_exp_f32_e32 v76, v76
	v_exp_f32_e32 v77, v77
	v_exp_f32_e32 v84, v82
	v_cndmask_b32_e32 v79, 0, v72, vcc_lo
	v_fma_f32 v72, s19, v132, -v71
	v_mul_f32_e32 v75, 0x3fb8aa3b, v75
	v_cndmask_b32_e64 v78, 0, v74, s3
	s_delay_alu instid0(TRANS32_DEP_3)
	v_cndmask_b32_e64 v80, 0, v76, s5
	v_add_f32_e32 v74, 0, v79
	v_mul_f32_e32 v72, 0x3fb8aa3b, v72
	v_exp_f32_e32 v75, v75
	v_cndmask_b32_e64 v83, 0, v77, s6
	v_cndmask_b32_e64 v85, 0, v84, s8
	v_add_f32_e32 v74, v74, v78
	v_exp_f32_e32 v72, v72
	v_cmp_gt_u32_e64 s3, 16, v70
	s_waitcnt_depctr 0xfff
	v_cndmask_b32_e64 v81, 0, v75, s4
	v_cndmask_b32_e64 v82, 0, v72, s7
	s_delay_alu instid0(VALU_DEP_2) | instskip(NEXT) | instid1(VALU_DEP_1)
	v_add_f32_e32 v74, v74, v81
	v_add_f32_e32 v74, v74, v80
	s_delay_alu instid0(VALU_DEP_1) | instskip(SKIP_4) | instid1(VALU_DEP_4)
	v_add_f32_e32 v72, v74, v83
	v_fma_f32 v75, s19, v134, -v71
	v_fma_f32 v76, s19, v119, -v71
	v_fma_f32 v77, s19, v120, -v71
	v_fma_f32 v74, s19, v121, -v71
	v_dual_add_f32 v72, v72, v82 :: v_dual_mul_f32 v75, 0x3fb8aa3b, v75
	s_delay_alu instid0(VALU_DEP_3) | instskip(SKIP_1) | instid1(VALU_DEP_3)
	v_dual_mul_f32 v76, 0x3fb8aa3b, v76 :: v_dual_mul_f32 v77, 0x3fb8aa3b, v77
	v_fma_f32 v86, s19, v122, -v71
	v_add_f32_e32 v72, v72, v85
	s_delay_alu instid0(VALU_DEP_4) | instskip(NEXT) | instid1(VALU_DEP_3)
	v_exp_f32_e32 v75, v75
	v_exp_f32_e32 v76, v76
	;; [unrolled: 1-line block ×3, first 2 shown]
	v_mul_f32_e32 v86, 0x3fb8aa3b, v86
	s_delay_alu instid0(VALU_DEP_1) | instskip(SKIP_3) | instid1(TRANS32_DEP_3)
	v_exp_f32_e32 v88, v86
	v_cndmask_b32_e64 v84, 0, v75, s9
	v_fma_f32 v75, s19, v123, -v71
	v_mul_f32_e32 v74, 0x3fb8aa3b, v74
	v_cndmask_b32_e64 v87, 0, v76, s10
	v_fma_f32 v76, s19, v124, -v71
	s_delay_alu instid0(VALU_DEP_4) | instskip(NEXT) | instid1(VALU_DEP_4)
	v_dual_add_f32 v72, v72, v84 :: v_dual_mul_f32 v75, 0x3fb8aa3b, v75
	v_exp_f32_e32 v74, v74
	v_cndmask_b32_e64 v86, 0, v77, s11
	v_fma_f32 v77, s19, v125, -v71
	s_delay_alu instid0(VALU_DEP_3) | instskip(SKIP_3) | instid1(VALU_DEP_3)
	v_add_f32_e32 v72, v72, v87
	v_mul_f32_e32 v76, 0x3fb8aa3b, v76
	v_exp_f32_e32 v75, v75
	v_cndmask_b32_e64 v88, 0, v88, s13
	v_add_f32_e32 v72, v72, v86
	s_delay_alu instid0(VALU_DEP_3) | instskip(NEXT) | instid1(TRANS32_DEP_3)
	v_exp_f32_e32 v76, v76
	v_cndmask_b32_e64 v89, 0, v74, s12
	v_mul_f32_e32 v74, 0x3fb8aa3b, v77
	v_fma_f32 v77, s19, v126, -v71
	s_delay_alu instid0(VALU_DEP_3) | instskip(NEXT) | instid1(VALU_DEP_3)
	v_add_f32_e32 v72, v72, v89
	v_exp_f32_e32 v74, v74
	s_delay_alu instid0(TRANS32_DEP_3) | instskip(NEXT) | instid1(VALU_DEP_3)
	v_cndmask_b32_e64 v91, 0, v75, s15
	v_mul_f32_e32 v75, 0x3fb8aa3b, v77
	s_delay_alu instid0(TRANS32_DEP_2) | instskip(SKIP_1) | instid1(VALU_DEP_3)
	v_cndmask_b32_e64 v90, 0, v76, s16
	v_add_f32_e32 v72, v72, v88
	v_exp_f32_e32 v75, v75
	s_delay_alu instid0(VALU_DEP_1) | instskip(NEXT) | instid1(TRANS32_DEP_2)
	v_add_f32_e32 v72, v72, v91
	v_cndmask_b32_e64 v93, 0, v74, s17
	s_delay_alu instid0(VALU_DEP_2) | instskip(SKIP_3) | instid1(VALU_DEP_1)
	v_add_f32_e32 v72, v72, v90
	s_waitcnt_depctr 0xfff
	v_cndmask_b32_e64 v92, 0, v75, s18
	v_add_f32_e32 v72, v72, v93
	v_add_f32_e32 v72, v72, v92
	ds_bpermute_b32 v73, v73, v72
	s_and_saveexec_b32 s4, s3
	s_cbranch_execz .LBB1116_12
; %bb.11:
	v_mul_u32_u24_e32 v70, 0x44, v69
	s_waitcnt lgkmcnt(0)
	v_add_f32_e32 v72, v72, v73
	s_delay_alu instid0(VALU_DEP_2) | instskip(NEXT) | instid1(VALU_DEP_1)
	v_lshl_add_u32 v70, v68, 2, v70
	v_add_nc_u32_e32 v70, 0x4000, v70
	ds_store_2addr_b32 v70, v71, v72 offset1:136
.LBB1116_12:
	s_or_b32 exec_lo, exec_lo, s4
	v_lshlrev_b32_e32 v70, 2, v68
	s_load_b32 s36, s[0:1], 0x94
	s_waitcnt lgkmcnt(0)
	s_barrier
	buffer_gl0_inv
	v_add_nc_u32_e32 v98, 0x4000, v70
	v_cmp_eq_u32_e32 vcc_lo, 1, v69
	v_cmp_eq_u32_e64 s4, 2, v69
	v_cmp_eq_u32_e64 s5, 3, v69
	;; [unrolled: 1-line block ×3, first 2 shown]
	ds_load_2addr_b32 v[70:71], v98 offset1:17
	ds_load_2addr_b32 v[72:73], v98 offset0:34 offset1:51
	ds_load_2addr_b32 v[74:75], v98 offset0:68 offset1:85
	ds_load_2addr_b32 v[94:95], v98 offset0:102 offset1:119
	v_cmp_eq_u32_e64 s7, 5, v69
	v_cmp_eq_u32_e64 s8, 7, v69
	s_waitcnt lgkmcnt(3)
	v_max3_f32 v76, v70, 0xff7fffff, v71
	s_waitcnt lgkmcnt(2)
	s_delay_alu instid0(VALU_DEP_1) | instskip(SKIP_1) | instid1(VALU_DEP_1)
	v_max3_f32 v76, v76, v72, v73
	s_waitcnt lgkmcnt(1)
	v_max3_f32 v76, v76, v74, v75
	s_waitcnt lgkmcnt(0)
	s_delay_alu instid0(VALU_DEP_1) | instskip(NEXT) | instid1(VALU_DEP_1)
	v_max3_f32 v76, v76, v94, v95
	v_sub_f32_e32 v77, v71, v76
	ds_load_2addr_b32 v[96:97], v98 offset0:136 offset1:153
	v_sub_f32_e32 v74, v74, v76
	v_sub_f32_e32 v70, v70, v76
	;; [unrolled: 1-line block ×3, first 2 shown]
	v_dual_sub_f32 v72, v72, v76 :: v_dual_mul_f32 v77, 0x3fb8aa3b, v77
	s_delay_alu instid0(VALU_DEP_4) | instskip(NEXT) | instid1(VALU_DEP_4)
	v_mul_f32_e32 v103, 0x3fb8aa3b, v74
	v_mul_f32_e32 v99, 0x3fb8aa3b, v70
	ds_load_2addr_b32 v[70:71], v98 offset0:170 offset1:187
	v_dual_mul_f32 v101, 0x3fb8aa3b, v72 :: v_dual_mul_f32 v94, 0x3fb8aa3b, v94
	v_exp_f32_e32 v102, v77
	v_exp_f32_e32 v99, v99
	s_delay_alu instid0(VALU_DEP_1) | instskip(NEXT) | instid1(VALU_DEP_1)
	v_exp_f32_e32 v101, v101
	v_exp_f32_e32 v94, v94
	s_waitcnt lgkmcnt(1)
	s_delay_alu instid0(TRANS32_DEP_3)
	v_fma_f32 v77, v99, v96, 0
	v_sub_f32_e32 v100, v73, v76
	ds_load_2addr_b32 v[72:73], v98 offset0:204 offset1:221
	v_fmac_f32_e32 v77, v102, v97
	v_exp_f32_e32 v97, v103
	s_waitcnt lgkmcnt(1)
	s_delay_alu instid0(VALU_DEP_1)
	v_dual_fmac_f32 v77, v101, v70 :: v_dual_sub_f32 v96, v75, v76
	ds_load_2addr_b32 v[74:75], v98 offset0:238 offset1:255
	v_sub_f32_e32 v70, v95, v76
	s_waitcnt lgkmcnt(0)
	s_barrier
	v_mul_f32_e32 v96, 0x3fb8aa3b, v96
	buffer_gl0_inv
	v_exp_f32_e32 v95, v96
	v_mul_f32_e32 v100, 0x3fb8aa3b, v100
	s_delay_alu instid0(VALU_DEP_1) | instskip(SKIP_3) | instid1(VALU_DEP_2)
	v_exp_f32_e32 v100, v100
	s_waitcnt_depctr 0xfff
	v_dual_fmac_f32 v77, v100, v71 :: v_dual_mul_f32 v70, 0x3fb8aa3b, v70
	v_cndmask_b32_e32 v71, v99, v102, vcc_lo
	v_fmac_f32_e32 v77, v97, v72
	s_delay_alu instid0(VALU_DEP_3) | instskip(NEXT) | instid1(VALU_DEP_1)
	v_exp_f32_e32 v96, v70
	v_fmac_f32_e32 v77, v95, v73
	s_delay_alu instid0(VALU_DEP_1) | instskip(SKIP_2) | instid1(VALU_DEP_1)
	v_fmac_f32_e32 v77, v94, v74
	s_waitcnt_depctr 0xfff
	v_fmac_f32_e32 v77, v96, v75
	v_add_f32_e32 v74, 0x358637bd, v77
	s_delay_alu instid0(VALU_DEP_1) | instskip(SKIP_1) | instid1(VALU_DEP_2)
	v_div_scale_f32 v98, null, v74, v74, 1.0
	v_div_scale_f32 v99, vcc_lo, 1.0, v74, 1.0
	v_rcp_f32_e32 v103, v98
	s_waitcnt_depctr 0xfff
	v_fma_f32 v70, -v98, v103, 1.0
	s_delay_alu instid0(VALU_DEP_1) | instskip(SKIP_2) | instid1(VALU_DEP_2)
	v_fmac_f32_e32 v103, v70, v103
	v_cndmask_b32_e64 v70, v71, v101, s4
	v_cmp_eq_u32_e64 s4, 6, v69
	v_cndmask_b32_e64 v71, v70, v100, s5
	s_delay_alu instid0(VALU_DEP_4) | instskip(NEXT) | instid1(VALU_DEP_2)
	v_dual_mul_f32 v101, v99, v103 :: v_dual_lshlrev_b32 v70, 2, v66
	v_cndmask_b32_e64 v71, v71, v97, s6
	s_delay_alu instid0(VALU_DEP_2) | instskip(NEXT) | instid1(VALU_DEP_3)
	v_or_b32_e32 v72, 1, v70
	v_fma_f32 v100, -v98, v101, v99
	v_cmp_eq_u32_e64 s5, 1, v70
	v_cmp_eq_u32_e64 s6, 2, v70
	v_cndmask_b32_e64 v95, v71, v95, s7
	v_or_b32_e32 v71, 3, v70
	v_fmac_f32_e32 v101, v100, v103
	v_cmp_eq_u32_e64 s10, 1, v72
	v_cmp_eq_u32_e64 s13, 2, v72
	v_cndmask_b32_e64 v94, v95, v94, s4
	v_cmp_eq_u32_e64 s12, 1, v71
	v_fma_f32 v97, -v98, v101, v99
	v_cmp_eq_u32_e64 s17, 2, v71
	v_cmp_eq_u32_e64 s15, 3, v72
	v_cndmask_b32_e64 v94, v94, v96, s8
	v_cmp_eq_u32_e64 s19, 3, v71
	v_div_fmas_f32 v95, v97, v103, v101
	v_cmp_eq_u32_e32 vcc_lo, 3, v70
	v_cmp_eq_u32_e64 s4, 4, v70
	v_cmp_eq_u32_e64 s20, 4, v72
	;; [unrolled: 1-line block ×3, first 2 shown]
	v_div_fixup_f32 v95, v95, v74, 1.0
	v_lshlrev_b32_e32 v73, 6, v68
	v_cmp_eq_u32_e64 s7, 5, v70
	v_cmp_eq_u32_e64 s21, 5, v72
	;; [unrolled: 1-line block ×3, first 2 shown]
	v_mul_f32_e32 v102, v94, v95
	v_lshl_or_b32 v75, v69, 11, v73
	v_or_b32_e32 v69, 2, v70
	v_cmp_eq_u32_e64 s26, 6, v72
	v_cmp_eq_u32_e64 s28, 6, v71
	v_fma_mixlo_f16 v94, v102, v79, 0
	v_fma_mixlo_f16 v95, v102, v81, 0
	;; [unrolled: 1-line block ×8, first 2 shown]
	v_lshl_or_b32 v74, v66, 4, v75
	v_fma_mixhi_f16 v94, v102, v78, 0
	v_fma_mixhi_f16 v95, v102, v80, 0
	v_fma_mixhi_f16 v96, v102, v82, 0
	v_fma_mixhi_f16 v97, v102, v84, 0
	v_fma_mixhi_f16 v98, v102, v86, 0
	v_fma_mixhi_f16 v99, v102, v88, 0
	v_fma_mixhi_f16 v100, v102, v90, 0
	v_fma_mixhi_f16 v101, v102, v92, 0
	ds_store_b128 v74, v[94:97]
	ds_store_b128 v74, v[98:101] offset:1024
	s_waitcnt lgkmcnt(0)
	s_barrier
	buffer_gl0_inv
	ds_load_b128 v[78:81], v75
	ds_load_b128 v[82:85], v75 offset:16
	ds_load_b128 v[86:89], v75 offset:1024
	ds_load_b128 v[90:93], v75 offset:1040
	v_cmp_eq_u32_e64 s11, 1, v69
	v_cmp_eq_u32_e64 s16, 2, v69
	;; [unrolled: 1-line block ×11, first 2 shown]
	s_waitcnt lgkmcnt(3)
	v_lshrrev_b32_e32 v94, 16, v78
	s_waitcnt lgkmcnt(2)
	v_lshrrev_b32_e32 v98, 16, v82
	;; [unrolled: 2-line block ×4, first 2 shown]
	v_lshrrev_b32_e32 v95, 16, v79
	v_cndmask_b32_e64 v110, v78, v94, s5
	v_cndmask_b32_e64 v111, v82, v98, s5
	;; [unrolled: 1-line block ×8, first 2 shown]
	v_lshrrev_b32_e32 v99, 16, v83
	v_cndmask_b32_e64 v94, v86, v102, s5
	v_cndmask_b32_e64 v98, v90, v106, s5
	;; [unrolled: 1-line block ×15, first 2 shown]
	v_lshrrev_b32_e32 v103, 16, v87
	v_lshrrev_b32_e32 v107, 16, v91
	v_cndmask_b32_e64 v113, v115, v83, s16
	v_cndmask_b32_e64 v82, v94, v87, s6
	;; [unrolled: 1-line block ×7, first 2 shown]
	v_cndmask_b32_e32 v90, v102, v95, vcc_lo
	v_cndmask_b32_e32 v102, v106, v99, vcc_lo
	v_cndmask_b32_e64 v106, v110, v95, s15
	v_cndmask_b32_e64 v110, v111, v99, s15
	;; [unrolled: 1-line block ×4, first 2 shown]
	v_lshrrev_b32_e32 v96, 16, v80
	v_lshrrev_b32_e32 v100, 16, v84
	v_cndmask_b32_e64 v111, v112, v95, s18
	v_cndmask_b32_e64 v112, v113, v99, s18
	v_cndmask_b32_e32 v82, v82, v103, vcc_lo
	v_cndmask_b32_e32 v83, v83, v107, vcc_lo
	v_cndmask_b32_e64 v94, v94, v103, s15
	v_cndmask_b32_e64 v90, v90, v80, s4
	;; [unrolled: 1-line block ×7, first 2 shown]
	v_lshrrev_b32_e32 v104, 16, v88
	v_cndmask_b32_e64 v106, v111, v80, s22
	v_cndmask_b32_e64 v110, v112, v84, s22
	;; [unrolled: 1-line block ×11, first 2 shown]
	v_lshrrev_b32_e32 v97, 16, v81
	v_lshrrev_b32_e32 v101, 16, v85
	v_cndmask_b32_e64 v99, v106, v96, s24
	v_cndmask_b32_e64 v102, v110, v100, s24
	;; [unrolled: 1-line block ×7, first 2 shown]
	v_lshrrev_b32_e32 v105, 16, v89
	v_cndmask_b32_e64 v80, v80, v104, s7
	v_cndmask_b32_e64 v84, v84, v81, s8
	;; [unrolled: 1-line block ×16, first 2 shown]
	v_perm_b32 v81, v79, v78, 0x5040100
	v_perm_b32 v79, v95, v85, 0x5040100
	v_cndmask_b32_e64 v78, v119, v91, s16
	v_cndmask_b32_e64 v85, v117, v91, s13
	;; [unrolled: 1-line block ×3, first 2 shown]
	v_perm_b32 v80, v94, v90, 0x5040100
	v_cndmask_b32_e64 v90, v98, v103, s18
	v_cndmask_b32_e64 v86, v86, v103, s19
	v_cndmask_b32_e64 v87, v87, v107, s19
	v_cndmask_b32_e64 v78, v78, v107, s18
	v_cndmask_b32_e64 v85, v85, v107, s15
	v_lshrrev_b32_e32 v108, 16, v92
	v_cndmask_b32_e64 v90, v90, v88, s22
	v_cndmask_b32_e64 v86, v86, v88, s23
	;; [unrolled: 1-line block ×11, first 2 shown]
	v_lshrrev_b32_e32 v109, 16, v93
	v_cndmask_b32_e64 v82, v82, v93, s8
	v_cndmask_b32_e64 v88, v88, v89, s27
	;; [unrolled: 1-line block ×12, first 2 shown]
	v_perm_b32 v78, v84, v83, 0x5040100
	v_perm_b32 v85, v87, v86, 0x5040100
	;; [unrolled: 1-line block ×5, first 2 shown]
	s_mul_i32 s9, s35, 15
	s_mov_b32 s4, exec_lo
	ds_store_b128 v74, v[78:81]
	ds_store_b128 v74, v[82:85] offset:1024
	v_cmpx_gt_u32_e32 15, v0
	s_cbranch_execz .LBB1116_14
; %bb.13:
	s_mul_i32 s5, s9, s34
	s_load_b128 s[16:19], s[0:1], 0x58
	v_add3_u32 v68, s5, s33, v68
	s_delay_alu instid0(VALU_DEP_1) | instskip(NEXT) | instid1(VALU_DEP_1)
	v_mad_u64_u32 v[78:79], null, v68, s36, s[14:15]
	v_ashrrev_i32_e32 v79, 31, v78
	s_delay_alu instid0(VALU_DEP_1) | instskip(SKIP_1) | instid1(VALU_DEP_1)
	v_lshlrev_b64 v[78:79], 2, v[78:79]
	s_waitcnt lgkmcnt(0)
	v_add_co_u32 v80, vcc_lo, s18, v78
	s_delay_alu instid0(VALU_DEP_2)
	v_add_co_ci_u32_e32 v81, vcc_lo, s19, v79, vcc_lo
	v_add_co_u32 v78, vcc_lo, s16, v78
	v_add_co_ci_u32_e32 v79, vcc_lo, s17, v79, vcc_lo
	global_store_b32 v[80:81], v76, off
	global_store_b32 v[78:79], v77, off
.LBB1116_14:
	s_or_b32 exec_lo, exec_lo, s4
	s_waitcnt lgkmcnt(0)
	s_waitcnt_vscnt null, 0x0
	s_barrier
	buffer_gl0_inv
	ds_load_b128 v[84:87], v73
	ds_load_b128 v[88:91], v73 offset:16
	ds_load_b128 v[96:99], v73 offset:2064
	;; [unrolled: 1-line block ×5, first 2 shown]
	v_cmp_eq_u32_e32 vcc_lo, 1, v70
	v_mov_b32_e32 v76, 0
	ds_load_b128 v[112:115], v73 offset:6160
	ds_load_b128 v[108:111], v73 offset:6144
	ds_load_b128 v[120:123], v73 offset:8208
	ds_load_b128 v[116:119], v73 offset:8192
	v_cmp_eq_u32_e64 s5, 1, v69
	v_cmp_eq_u32_e64 s4, 1, v72
	;; [unrolled: 1-line block ×3, first 2 shown]
	v_mov_b32_e32 v77, v76
	v_mov_b32_e32 v78, v76
	;; [unrolled: 1-line block ×7, first 2 shown]
	v_cmp_eq_u32_e64 s7, 3, v72
	v_cmp_eq_u32_e64 s8, 7, v72
	s_waitcnt lgkmcnt(8)
	s_delay_alu instid0(VALU_DEP_3)
	v_wmma_f32_16x16x16_f16 v[76:83], v[49:56], v[84:91], v[76:83]
	ds_load_b128 v[53:56], v73 offset:10256
	ds_load_b128 v[49:52], v73 offset:10240
	s_waitcnt lgkmcnt(8)
	v_wmma_f32_16x16x16_f16 v[76:83], v[41:48], v[92:99], v[76:83]
	ds_load_b128 v[45:48], v73 offset:12304
	ds_load_b128 v[41:44], v73 offset:12288
	s_waitcnt lgkmcnt(8)
	;; [unrolled: 4-line block ×3, first 2 shown]
	s_barrier
	buffer_gl0_inv
	v_wmma_f32_16x16x16_f16 v[76:83], v[1:8], v[108:115], v[76:83]
	s_delay_alu instid0(VALU_DEP_1) | instskip(NEXT) | instid1(VALU_DEP_1)
	v_wmma_f32_16x16x16_f16 v[76:83], v[9:16], v[116:123], v[76:83]
	v_wmma_f32_16x16x16_f16 v[76:83], v[17:24], v[49:56], v[76:83]
	s_delay_alu instid0(VALU_DEP_1) | instskip(NEXT) | instid1(VALU_DEP_1)
	v_wmma_f32_16x16x16_f16 v[76:83], v[25:32], v[41:48], v[76:83]
	v_wmma_f32_16x16x16_f16 v[76:83], v[57:64], v[33:40], v[76:83]
	s_delay_alu instid0(VALU_DEP_1) | instskip(NEXT) | instid1(VALU_DEP_2)
	v_cvt_f16_f32_e32 v1, v76
	v_cvt_f16_f32_e32 v2, v77
	s_delay_alu instid0(VALU_DEP_3) | instskip(NEXT) | instid1(VALU_DEP_4)
	v_cvt_f16_f32_e32 v3, v78
	v_cvt_f16_f32_e32 v4, v79
	;; [unrolled: 1-line block ×6, first 2 shown]
	v_pack_b32_f16 v1, v1, v2
	v_pack_b32_f16 v2, v3, v4
	;; [unrolled: 1-line block ×3, first 2 shown]
	s_delay_alu instid0(VALU_DEP_4)
	v_pack_b32_f16 v4, v7, v8
	ds_store_b128 v74, v[1:4]
	s_waitcnt lgkmcnt(0)
	s_barrier
	buffer_gl0_inv
	ds_load_b128 v[1:4], v75
	ds_load_b128 v[5:8], v75 offset:16
	s_waitcnt lgkmcnt(1)
	v_lshrrev_b32_e32 v9, 16, v1
	s_waitcnt lgkmcnt(0)
	v_lshrrev_b32_e32 v13, 16, v5
	v_lshrrev_b32_e32 v10, 16, v2
	;; [unrolled: 1-line block ×4, first 2 shown]
	v_cndmask_b32_e32 v17, v1, v9, vcc_lo
	v_cndmask_b32_e32 v18, v5, v13, vcc_lo
	v_cndmask_b32_e64 v21, v1, v9, s5
	v_cmp_eq_u32_e32 vcc_lo, 1, v71
	v_cndmask_b32_e64 v22, v5, v13, s5
	v_cmp_eq_u32_e64 s5, 2, v70
	v_cndmask_b32_e64 v19, v1, v9, s4
	v_cndmask_b32_e64 v20, v5, v13, s4
	v_cndmask_b32_e32 v1, v1, v9, vcc_lo
	v_cmp_eq_u32_e64 s4, 2, v71
	v_cndmask_b32_e32 v5, v5, v13, vcc_lo
	v_cndmask_b32_e64 v9, v17, v2, s5
	v_cmp_eq_u32_e32 vcc_lo, 3, v70
	v_cndmask_b32_e64 v13, v18, v6, s5
	v_cmp_eq_u32_e64 s5, 2, v69
	v_cndmask_b32_e64 v17, v19, v2, s6
	v_cndmask_b32_e64 v18, v20, v6, s6
	v_cmp_eq_u32_e64 s6, 3, v69
	v_cndmask_b32_e64 v1, v1, v2, s4
	v_cndmask_b32_e64 v19, v21, v2, s5
	;; [unrolled: 1-line block ×4, first 2 shown]
	v_cndmask_b32_e32 v5, v9, v10, vcc_lo
	v_cndmask_b32_e32 v6, v13, v14, vcc_lo
	v_cmp_eq_u32_e32 vcc_lo, 3, v71
	v_cndmask_b32_e64 v9, v17, v10, s7
	v_cndmask_b32_e64 v13, v18, v14, s7
	;; [unrolled: 1-line block ×3, first 2 shown]
	v_cmp_eq_u32_e64 s5, 4, v70
	v_cndmask_b32_e32 v1, v1, v10, vcc_lo
	v_cndmask_b32_e32 v2, v2, v14, vcc_lo
	v_cmp_eq_u32_e32 vcc_lo, 4, v72
	v_lshrrev_b32_e32 v15, 16, v7
	v_lshrrev_b32_e32 v16, 16, v8
	v_cndmask_b32_e64 v17, v19, v10, s6
	v_cmp_eq_u32_e64 s4, 4, v71
	v_cndmask_b32_e64 v5, v5, v3, s5
	v_cndmask_b32_e64 v6, v6, v7, s5
	v_cndmask_b32_e32 v9, v9, v3, vcc_lo
	v_cmp_eq_u32_e64 s5, 5, v72
	v_cndmask_b32_e32 v10, v13, v7, vcc_lo
	v_cmp_eq_u32_e32 vcc_lo, 4, v69
	v_cmp_eq_u32_e64 s6, 5, v70
	v_cndmask_b32_e64 v2, v2, v7, s4
	v_cndmask_b32_e64 v9, v9, v11, s5
	;; [unrolled: 1-line block ×3, first 2 shown]
	v_cndmask_b32_e32 v13, v17, v3, vcc_lo
	v_cmp_eq_u32_e64 s5, 5, v69
	v_cndmask_b32_e32 v14, v18, v7, vcc_lo
	v_cndmask_b32_e64 v1, v1, v3, s4
	v_cmp_eq_u32_e32 vcc_lo, 5, v71
	v_lshrrev_b32_e32 v12, 16, v4
	v_cndmask_b32_e64 v13, v13, v11, s5
	v_cndmask_b32_e64 v3, v14, v15, s5
	v_cmp_eq_u32_e64 s5, 6, v71
	v_cndmask_b32_e32 v1, v1, v11, vcc_lo
	v_cndmask_b32_e64 v5, v5, v11, s6
	v_cmp_eq_u32_e64 s7, 6, v70
	v_cndmask_b32_e64 v6, v6, v15, s6
	v_cmp_eq_u32_e64 s6, 6, v72
	v_cmp_eq_u32_e64 s4, 6, v69
	v_cndmask_b32_e64 v1, v1, v4, s5
	v_cndmask_b32_e32 v2, v2, v15, vcc_lo
	v_cmp_eq_u32_e32 vcc_lo, 7, v71
	v_cndmask_b32_e64 v5, v5, v4, s7
	v_cndmask_b32_e64 v9, v9, v4, s6
	v_cndmask_b32_e64 v6, v6, v8, s7
	v_cmp_eq_u32_e64 s7, 7, v70
	v_cndmask_b32_e32 v1, v1, v12, vcc_lo
	v_cndmask_b32_e64 v7, v13, v4, s4
	v_cndmask_b32_e64 v3, v3, v8, s4
	v_cndmask_b32_e64 v2, v2, v8, s5
	v_cmp_eq_u32_e64 s4, 7, v69
	v_cndmask_b32_e64 v4, v10, v8, s6
	v_cndmask_b32_e64 v5, v5, v12, s7
	;; [unrolled: 1-line block ×3, first 2 shown]
	v_cndmask_b32_e32 v2, v2, v16, vcc_lo
	v_cndmask_b32_e64 v7, v7, v12, s4
	v_cndmask_b32_e64 v3, v3, v16, s4
	;; [unrolled: 1-line block ×4, first 2 shown]
	v_cmp_gt_u32_e32 vcc_lo, 32, v0
	v_perm_b32 v4, v2, v1, 0x5040100
	v_perm_b32 v3, v3, v7, 0x5040100
	;; [unrolled: 1-line block ×4, first 2 shown]
	s_and_b32 s2, vcc_lo, s2
	ds_store_b128 v74, v[1:4]
	s_waitcnt lgkmcnt(0)
	s_barrier
	buffer_gl0_inv
	s_and_saveexec_b32 s4, s2
	s_cbranch_execz .LBB1116_2
; %bb.15:
	s_load_b64 s[4:5], s[0:1], 0x68
	v_add_nc_u32_e32 v20, s33, v66
	v_lshlrev_b32_e32 v0, 10, v0
	v_lshlrev_b32_e32 v1, 4, v67
	s_lshl_b32 s0, s36, 6
	s_delay_alu instid0(SALU_CYCLE_1)
	s_mul_i32 s1, s0, s34
	v_add_nc_u32_e32 v2, 2, v20
	s_mul_i32 s6, s1, s9
	v_and_or_b32 v0, 0x3800, v0, v1
	v_mul_lo_u32 v1, v20, s0
	s_ashr_i32 s7, s6, 31
	v_mul_lo_u32 v11, v2, s0
	s_lshl_b64 s[6:7], s[6:7], 1
	v_add_nc_u32_e32 v3, 4, v20
	v_lshl_or_b32 v21, v66, 6, v0
	v_add_nc_u32_e32 v16, 6, v20
	v_ashrrev_i32_e32 v2, 31, v1
	s_delay_alu instid0(VALU_DEP_4)
	v_mul_lo_u32 v13, v3, s0
	s_waitcnt lgkmcnt(0)
	s_add_u32 s1, s4, s6
	s_addc_u32 s2, s5, s7
	s_lshl_b32 s4, s14, 6
	ds_load_b128 v[3:6], v21
	ds_load_b128 v[7:10], v21 offset:128
	s_ashr_i32 s5, s4, 31
	v_ashrrev_i32_e32 v12, 31, v11
	s_lshl_b64 s[4:5], s[4:5], 1
	v_lshlrev_b64 v[14:15], 1, v[1:2]
	s_add_u32 s1, s1, s4
	s_addc_u32 s2, s2, s5
	v_add_co_u32 v1, s1, s1, v65
	s_delay_alu instid0(VALU_DEP_1) | instskip(SKIP_1) | instid1(VALU_DEP_3)
	v_add_co_ci_u32_e64 v2, null, s2, 0, s1
	v_lshlrev_b64 v[11:12], 1, v[11:12]
	v_add_co_u32 v18, vcc_lo, v1, v14
	v_mul_lo_u32 v16, v16, s0
	s_delay_alu instid0(VALU_DEP_4) | instskip(NEXT) | instid1(VALU_DEP_4)
	v_add_co_ci_u32_e32 v19, vcc_lo, v2, v15, vcc_lo
	v_add_co_u32 v11, vcc_lo, v1, v11
	v_ashrrev_i32_e32 v14, 31, v13
	v_add_co_ci_u32_e32 v12, vcc_lo, v2, v12, vcc_lo
	v_add_nc_u32_e32 v15, 8, v20
	v_ashrrev_i32_e32 v17, 31, v16
	s_waitcnt lgkmcnt(1)
	global_store_b128 v[18:19], v[3:6], off
	v_lshlrev_b64 v[3:4], 1, v[13:14]
	s_waitcnt lgkmcnt(0)
	global_store_b128 v[11:12], v[7:10], off
	v_mul_lo_u32 v11, v15, s0
	v_add_nc_u32_e32 v7, 10, v20
	v_lshlrev_b64 v[5:6], 1, v[16:17]
	v_add_co_u32 v23, vcc_lo, v1, v3
	v_add_nc_u32_e32 v3, 12, v20
	s_delay_alu instid0(VALU_DEP_4)
	v_mul_lo_u32 v25, v7, s0
	v_ashrrev_i32_e32 v12, 31, v11
	v_add_co_ci_u32_e32 v24, vcc_lo, v2, v4, vcc_lo
	v_add_co_u32 v27, vcc_lo, v1, v5
	v_mul_lo_u32 v29, v3, s0
	v_add_co_ci_u32_e32 v28, vcc_lo, v2, v6, vcc_lo
	ds_load_b128 v[3:6], v21 offset:256
	ds_load_b128 v[7:10], v21 offset:384
	v_lshlrev_b64 v[31:32], 1, v[11:12]
	ds_load_b128 v[11:14], v21 offset:512
	ds_load_b128 v[15:18], v21 offset:640
	;; [unrolled: 1-line block ×3, first 2 shown]
	v_ashrrev_i32_e32 v26, 31, v25
	v_ashrrev_i32_e32 v30, 31, v29
	v_add_co_u32 v31, vcc_lo, v1, v31
	s_delay_alu instid0(VALU_DEP_3) | instskip(NEXT) | instid1(VALU_DEP_3)
	v_lshlrev_b64 v[25:26], 1, v[25:26]
	v_lshlrev_b64 v[29:30], 1, v[29:30]
	v_add_co_ci_u32_e32 v32, vcc_lo, v2, v32, vcc_lo
	s_delay_alu instid0(VALU_DEP_3) | instskip(NEXT) | instid1(VALU_DEP_4)
	v_add_co_u32 v25, vcc_lo, v1, v25
	v_add_co_ci_u32_e32 v26, vcc_lo, v2, v26, vcc_lo
	s_delay_alu instid0(VALU_DEP_4)
	v_add_co_u32 v29, vcc_lo, v1, v29
	v_add_co_ci_u32_e32 v30, vcc_lo, v2, v30, vcc_lo
	s_waitcnt lgkmcnt(4)
	global_store_b128 v[23:24], v[3:6], off
	s_waitcnt lgkmcnt(3)
	global_store_b128 v[27:28], v[7:10], off
	;; [unrolled: 2-line block ×5, first 2 shown]
	s_and_b32 exec_lo, exec_lo, s3
	s_cbranch_execz .LBB1116_2
; %bb.16:
	ds_load_b128 v[3:6], v0 offset:896
	s_add_i32 s1, s33, 14
	s_delay_alu instid0(SALU_CYCLE_1) | instskip(NEXT) | instid1(SALU_CYCLE_1)
	s_mul_i32 s0, s1, s0
	s_ashr_i32 s1, s0, 31
	s_delay_alu instid0(SALU_CYCLE_1) | instskip(NEXT) | instid1(SALU_CYCLE_1)
	s_lshl_b64 s[0:1], s[0:1], 1
	v_add_co_u32 v0, vcc_lo, v1, s0
	v_add_co_ci_u32_e32 v1, vcc_lo, s1, v2, vcc_lo
	s_waitcnt lgkmcnt(0)
	global_store_b128 v[0:1], v[3:6], off
	s_nop 0
	s_sendmsg sendmsg(MSG_DEALLOC_VGPRS)
	s_endpgm
	.section	.rodata,"a",@progbits
	.p2align	6, 0x0
	.amdhsa_kernel _Z39paged_attention_ll4mi_QKV_mfma16_kernelIDF16_hLN4vllm18Fp8KVCacheDataTypeE1EhLi16ELi64ELi256ELb0ELi15EL8MFMAType0EEvPKT_PKT0_S8_ifPKiSA_SA_iPKfiiiPfSD_PS3_PT2_iSC_SC_
		.amdhsa_group_segment_fixed_size 17472
		.amdhsa_private_segment_fixed_size 0
		.amdhsa_kernarg_size 400
		.amdhsa_user_sgpr_count 13
		.amdhsa_user_sgpr_dispatch_ptr 0
		.amdhsa_user_sgpr_queue_ptr 0
		.amdhsa_user_sgpr_kernarg_segment_ptr 1
		.amdhsa_user_sgpr_dispatch_id 0
		.amdhsa_user_sgpr_private_segment_size 0
		.amdhsa_wavefront_size32 1
		.amdhsa_uses_dynamic_stack 0
		.amdhsa_enable_private_segment 0
		.amdhsa_system_sgpr_workgroup_id_x 1
		.amdhsa_system_sgpr_workgroup_id_y 1
		.amdhsa_system_sgpr_workgroup_id_z 1
		.amdhsa_system_sgpr_workgroup_info 0
		.amdhsa_system_vgpr_workitem_id 0
		.amdhsa_next_free_vgpr 146
		.amdhsa_next_free_sgpr 37
		.amdhsa_reserve_vcc 1
		.amdhsa_float_round_mode_32 0
		.amdhsa_float_round_mode_16_64 0
		.amdhsa_float_denorm_mode_32 3
		.amdhsa_float_denorm_mode_16_64 3
		.amdhsa_dx10_clamp 1
		.amdhsa_ieee_mode 1
		.amdhsa_fp16_overflow 0
		.amdhsa_workgroup_processor_mode 1
		.amdhsa_memory_ordered 1
		.amdhsa_forward_progress 0
		.amdhsa_shared_vgpr_count 0
		.amdhsa_exception_fp_ieee_invalid_op 0
		.amdhsa_exception_fp_denorm_src 0
		.amdhsa_exception_fp_ieee_div_zero 0
		.amdhsa_exception_fp_ieee_overflow 0
		.amdhsa_exception_fp_ieee_underflow 0
		.amdhsa_exception_fp_ieee_inexact 0
		.amdhsa_exception_int_div_zero 0
	.end_amdhsa_kernel
	.section	.text._Z39paged_attention_ll4mi_QKV_mfma16_kernelIDF16_hLN4vllm18Fp8KVCacheDataTypeE1EhLi16ELi64ELi256ELb0ELi15EL8MFMAType0EEvPKT_PKT0_S8_ifPKiSA_SA_iPKfiiiPfSD_PS3_PT2_iSC_SC_,"axG",@progbits,_Z39paged_attention_ll4mi_QKV_mfma16_kernelIDF16_hLN4vllm18Fp8KVCacheDataTypeE1EhLi16ELi64ELi256ELb0ELi15EL8MFMAType0EEvPKT_PKT0_S8_ifPKiSA_SA_iPKfiiiPfSD_PS3_PT2_iSC_SC_,comdat
.Lfunc_end1116:
	.size	_Z39paged_attention_ll4mi_QKV_mfma16_kernelIDF16_hLN4vllm18Fp8KVCacheDataTypeE1EhLi16ELi64ELi256ELb0ELi15EL8MFMAType0EEvPKT_PKT0_S8_ifPKiSA_SA_iPKfiiiPfSD_PS3_PT2_iSC_SC_, .Lfunc_end1116-_Z39paged_attention_ll4mi_QKV_mfma16_kernelIDF16_hLN4vllm18Fp8KVCacheDataTypeE1EhLi16ELi64ELi256ELb0ELi15EL8MFMAType0EEvPKT_PKT0_S8_ifPKiSA_SA_iPKfiiiPfSD_PS3_PT2_iSC_SC_
                                        ; -- End function
	.section	.AMDGPU.csdata,"",@progbits
; Kernel info:
; codeLenInByte = 6752
; NumSgprs: 39
; NumVgprs: 146
; ScratchSize: 0
; MemoryBound: 0
; FloatMode: 240
; IeeeMode: 1
; LDSByteSize: 17472 bytes/workgroup (compile time only)
; SGPRBlocks: 4
; VGPRBlocks: 18
; NumSGPRsForWavesPerEU: 39
; NumVGPRsForWavesPerEU: 146
; Occupancy: 9
; WaveLimiterHint : 1
; COMPUTE_PGM_RSRC2:SCRATCH_EN: 0
; COMPUTE_PGM_RSRC2:USER_SGPR: 13
; COMPUTE_PGM_RSRC2:TRAP_HANDLER: 0
; COMPUTE_PGM_RSRC2:TGID_X_EN: 1
; COMPUTE_PGM_RSRC2:TGID_Y_EN: 1
; COMPUTE_PGM_RSRC2:TGID_Z_EN: 1
; COMPUTE_PGM_RSRC2:TIDIG_COMP_CNT: 0
	.section	.text._Z39paged_attention_ll4mi_QKV_mfma16_kernelIDF16_hLN4vllm18Fp8KVCacheDataTypeE1EhLi16ELi64ELi256ELb0ELi16EL8MFMAType0EEvPKT_PKT0_S8_ifPKiSA_SA_iPKfiiiPfSD_PS3_PT2_iSC_SC_,"axG",@progbits,_Z39paged_attention_ll4mi_QKV_mfma16_kernelIDF16_hLN4vllm18Fp8KVCacheDataTypeE1EhLi16ELi64ELi256ELb0ELi16EL8MFMAType0EEvPKT_PKT0_S8_ifPKiSA_SA_iPKfiiiPfSD_PS3_PT2_iSC_SC_,comdat
	.protected	_Z39paged_attention_ll4mi_QKV_mfma16_kernelIDF16_hLN4vllm18Fp8KVCacheDataTypeE1EhLi16ELi64ELi256ELb0ELi16EL8MFMAType0EEvPKT_PKT0_S8_ifPKiSA_SA_iPKfiiiPfSD_PS3_PT2_iSC_SC_ ; -- Begin function _Z39paged_attention_ll4mi_QKV_mfma16_kernelIDF16_hLN4vllm18Fp8KVCacheDataTypeE1EhLi16ELi64ELi256ELb0ELi16EL8MFMAType0EEvPKT_PKT0_S8_ifPKiSA_SA_iPKfiiiPfSD_PS3_PT2_iSC_SC_
	.globl	_Z39paged_attention_ll4mi_QKV_mfma16_kernelIDF16_hLN4vllm18Fp8KVCacheDataTypeE1EhLi16ELi64ELi256ELb0ELi16EL8MFMAType0EEvPKT_PKT0_S8_ifPKiSA_SA_iPKfiiiPfSD_PS3_PT2_iSC_SC_
	.p2align	8
	.type	_Z39paged_attention_ll4mi_QKV_mfma16_kernelIDF16_hLN4vllm18Fp8KVCacheDataTypeE1EhLi16ELi64ELi256ELb0ELi16EL8MFMAType0EEvPKT_PKT0_S8_ifPKiSA_SA_iPKfiiiPfSD_PS3_PT2_iSC_SC_,@function
_Z39paged_attention_ll4mi_QKV_mfma16_kernelIDF16_hLN4vllm18Fp8KVCacheDataTypeE1EhLi16ELi64ELi256ELb0ELi16EL8MFMAType0EEvPKT_PKT0_S8_ifPKiSA_SA_iPKfiiiPfSD_PS3_PT2_iSC_SC_: ; @_Z39paged_attention_ll4mi_QKV_mfma16_kernelIDF16_hLN4vllm18Fp8KVCacheDataTypeE1EhLi16ELi64ELi256ELb0ELi16EL8MFMAType0EEvPKT_PKT0_S8_ifPKiSA_SA_iPKfiiiPfSD_PS3_PT2_iSC_SC_
; %bb.0:
	s_load_b64 s[2:3], s[0:1], 0x30
	s_mov_b32 s34, s13
	s_waitcnt lgkmcnt(0)
	s_cmp_lg_u64 s[2:3], 0
	s_cselect_b32 s8, -1, 0
	s_ashr_i32 s35, s13, 31
	s_cmp_eq_u64 s[2:3], 0
	s_cbranch_scc1 .LBB1117_3
; %bb.1:
	s_lshl_b64 s[4:5], s[34:35], 2
	s_delay_alu instid0(SALU_CYCLE_1) | instskip(SKIP_4) | instid1(SALU_CYCLE_1)
	s_add_u32 s4, s2, s4
	s_addc_u32 s5, s3, s5
	s_load_b64 s[4:5], s[4:5], 0x0
	s_waitcnt lgkmcnt(0)
	s_sub_i32 s4, s5, s4
	s_cmp_eq_u32 s4, 1
	s_cselect_b32 s4, -1, 0
	s_delay_alu instid0(SALU_CYCLE_1)
	s_and_not1_b32 vcc_lo, exec_lo, s4
	s_cbranch_vccz .LBB1117_4
.LBB1117_2:
	s_endpgm
.LBB1117_3:
.LBB1117_4:
	s_load_b64 s[4:5], s[0:1], 0x28
	s_lshl_b64 s[6:7], s[34:35], 2
	s_waitcnt lgkmcnt(0)
	s_add_u32 s4, s4, s6
	s_addc_u32 s5, s5, s7
	s_lshl_b32 s12, s14, 8
	s_load_b32 s24, s[4:5], 0x0
	s_waitcnt lgkmcnt(0)
	s_cmp_ge_i32 s12, s24
	s_cbranch_scc1 .LBB1117_2
; %bb.5:
	s_clause 0x1
	s_load_b128 s[20:23], s[0:1], 0x8
	s_load_b64 s[4:5], s[0:1], 0x20
	s_and_not1_b32 vcc_lo, exec_lo, s8
	s_cbranch_vccnz .LBB1117_7
; %bb.6:
	s_add_u32 s2, s2, s6
	s_addc_u32 s3, s3, s7
	s_load_b32 s3, s[2:3], 0x0
	s_branch .LBB1117_8
.LBB1117_7:
	s_mov_b32 s3, s34
.LBB1117_8:
	s_load_b128 s[16:19], s[0:1], 0x48
	v_and_b32_e32 v70, 15, v0
	v_cmp_gt_u32_e32 vcc_lo, 0x100, v0
	v_lshrrev_b32_e32 v69, 5, v0
	v_and_b32_e32 v71, 31, v0
	v_and_b32_e32 v67, 1, v0
	v_lshlrev_b32_e32 v1, 3, v70
	v_cmp_gt_u32_e64 s2, 8, v70
	v_bfe_u32 v66, v0, 4, 1
	s_lshl_b32 s31, s15, 4
	s_delay_alu instid0(VALU_DEP_3) | instskip(NEXT) | instid1(VALU_DEP_3)
	v_lshlrev_b32_e32 v65, 1, v1
	s_and_b32 s7, vcc_lo, s2
	s_delay_alu instid0(SALU_CYCLE_1)
	s_and_saveexec_b32 s6, s7
	s_cbranch_execz .LBB1117_10
; %bb.9:
	v_lshl_or_b32 v5, v69, 1, v66
	s_load_b64 s[8:9], s[0:1], 0x0
	s_waitcnt lgkmcnt(0)
	s_mul_hi_i32 s11, s3, s16
	s_mul_i32 s10, s3, s16
	v_lshlrev_b32_e32 v6, 10, v70
	v_or_b32_e32 v1, s31, v5
	s_lshl_b64 s[10:11], s[10:11], 1
	v_lshlrev_b32_e32 v5, 6, v5
	v_lshlrev_b32_e32 v7, 10, v67
	v_and_b32_e32 v6, 0x3800, v6
	v_lshlrev_b32_e32 v1, 6, v1
	s_delay_alu instid0(VALU_DEP_2) | instskip(NEXT) | instid1(VALU_DEP_2)
	v_or3_b32 v5, v6, v7, v5
	v_ashrrev_i32_e32 v2, 31, v1
	s_delay_alu instid0(VALU_DEP_1) | instskip(SKIP_2) | instid1(VALU_DEP_1)
	v_lshlrev_b64 v[1:2], 1, v[1:2]
	s_add_u32 s3, s8, s10
	s_addc_u32 s7, s9, s11
	v_add_co_u32 v1, vcc_lo, s3, v1
	s_delay_alu instid0(VALU_DEP_2) | instskip(NEXT) | instid1(VALU_DEP_2)
	v_add_co_ci_u32_e32 v2, vcc_lo, s7, v2, vcc_lo
	v_add_co_u32 v1, vcc_lo, v1, v65
	s_delay_alu instid0(VALU_DEP_2)
	v_add_co_ci_u32_e32 v2, vcc_lo, 0, v2, vcc_lo
	global_load_b128 v[1:4], v[1:2], off
	s_waitcnt vmcnt(0)
	ds_store_b128 v5, v[1:4]
.LBB1117_10:
	s_or_b32 exec_lo, exec_lo, s6
	v_and_b32_e32 v1, 0xef, v0
	s_waitcnt lgkmcnt(0)
	s_add_i32 s3, s24, 15
	s_clause 0x1
	s_load_b32 s6, s[0:1], 0x38
	s_load_b32 s33, s[0:1], 0x98
	s_ashr_i32 s7, s3, 31
	v_add_nc_u32_e32 v1, s12, v1
	s_lshr_b32 s7, s7, 28
	s_load_b32 s19, s[0:1], 0x1c
	s_add_i32 s3, s3, s7
	s_waitcnt lgkmcnt(0)
	v_ashrrev_i32_e32 v2, 31, v1
	v_or_b32_e32 v3, 16, v1
	s_ashr_i32 s3, s3, 4
	v_cmp_gt_i32_e32 vcc_lo, s24, v1
	s_add_i32 s3, s3, -1
	v_lshrrev_b32_e32 v2, 28, v2
	s_barrier
	buffer_gl0_inv
	s_mul_i32 s27, s15, s18
	v_add_nc_u32_e32 v4, v1, v2
	s_mul_i32 s6, s34, s6
	s_delay_alu instid0(SALU_CYCLE_1) | instskip(NEXT) | instid1(VALU_DEP_1)
	s_ashr_i32 s7, s6, 31
	v_ashrrev_i32_e32 v4, 4, v4
	v_add_nc_u32_e32 v2, v3, v2
	s_lshl_b64 s[6:7], s[6:7], 2
	s_delay_alu instid0(SALU_CYCLE_1) | instskip(NEXT) | instid1(VALU_DEP_2)
	s_add_u32 s26, s4, s6
	v_cndmask_b32_e32 v1, s3, v4, vcc_lo
	s_delay_alu instid0(VALU_DEP_2)
	v_ashrrev_i32_e32 v2, 4, v2
	v_cmp_gt_i32_e32 vcc_lo, s24, v3
	s_addc_u32 s25, s5, s7
	s_ashr_i32 s28, s27, 31
	s_add_u32 s13, s20, s27
	s_addc_u32 s15, s21, s28
	v_cndmask_b32_e32 v3, s3, v2, vcc_lo
	v_ashrrev_i32_e32 v2, 31, v1
	s_lshl_b32 s4, s14, 4
	s_delay_alu instid0(SALU_CYCLE_1) | instskip(NEXT) | instid1(VALU_DEP_2)
	s_ashr_i32 s5, s4, 31
	v_ashrrev_i32_e32 v4, 31, v3
	s_delay_alu instid0(VALU_DEP_2) | instskip(SKIP_1) | instid1(SALU_CYCLE_1)
	v_lshlrev_b64 v[1:2], 2, v[1:2]
	s_lshl_b64 s[4:5], s[4:5], 2
	s_add_u32 s4, s26, s4
	s_delay_alu instid0(VALU_DEP_2) | instskip(SKIP_1) | instid1(VALU_DEP_2)
	v_lshlrev_b64 v[3:4], 2, v[3:4]
	s_addc_u32 s5, s25, s5
	v_add_co_u32 v1, vcc_lo, s26, v1
	v_add_co_ci_u32_e32 v2, vcc_lo, s25, v2, vcc_lo
	s_delay_alu instid0(VALU_DEP_3) | instskip(NEXT) | instid1(VALU_DEP_4)
	v_add_co_u32 v3, vcc_lo, s26, v3
	v_add_co_ci_u32_e32 v4, vcc_lo, s25, v4, vcc_lo
	s_clause 0x1
	global_load_b32 v5, v[1:2], off
	global_load_b32 v7, v[3:4], off
	s_or_b32 s6, s12, 32
	v_lshlrev_b32_e32 v1, 4, v0
	s_ashr_i32 s7, s6, 4
	s_cmp_lt_i32 s6, s24
	s_cselect_b32 s6, s7, s3
	s_delay_alu instid0(VALU_DEP_1) | instskip(SKIP_1) | instid1(SALU_CYCLE_1)
	v_and_b32_e32 v1, 0xf0, v1
	s_ashr_i32 s7, s6, 31
	s_lshl_b64 s[6:7], s[6:7], 2
	s_delay_alu instid0(SALU_CYCLE_1)
	s_add_u32 s6, s26, s6
	s_addc_u32 s7, s25, s7
	s_or_b32 s8, s12, 64
	v_add_co_u32 v1, s13, s13, v1
	s_ashr_i32 s9, s8, 4
	s_cmp_lt_i32 s8, s24
	v_add_co_ci_u32_e64 v2, null, s15, 0, s13
	s_cselect_b32 s8, s9, s3
	s_delay_alu instid0(SALU_CYCLE_1) | instskip(NEXT) | instid1(SALU_CYCLE_1)
	s_ashr_i32 s9, s8, 31
	s_lshl_b64 s[8:9], s[8:9], 2
	s_delay_alu instid0(SALU_CYCLE_1) | instskip(SKIP_2) | instid1(SALU_CYCLE_1)
	s_add_u32 s8, s26, s8
	s_addc_u32 s9, s25, s9
	s_or_b32 s10, s12, 0x60
	s_ashr_i32 s11, s10, 4
	s_cmp_lt_i32 s10, s24
	s_cselect_b32 s10, s11, s3
	s_delay_alu instid0(SALU_CYCLE_1) | instskip(NEXT) | instid1(SALU_CYCLE_1)
	s_ashr_i32 s11, s10, 31
	s_lshl_b64 s[10:11], s[10:11], 2
	s_delay_alu instid0(SALU_CYCLE_1) | instskip(SKIP_2) | instid1(SALU_CYCLE_1)
	s_add_u32 s10, s26, s10
	s_addc_u32 s11, s25, s11
	s_or_b32 s16, s12, 0x80
	s_ashr_i32 s18, s16, 4
	s_cmp_lt_i32 s16, s24
	;; [unrolled: 10-line block ×3, first 2 shown]
	s_cselect_b32 s20, s18, s3
	s_delay_alu instid0(SALU_CYCLE_1) | instskip(NEXT) | instid1(SALU_CYCLE_1)
	s_ashr_i32 s21, s20, 31
	s_lshl_b64 s[20:21], s[20:21], 2
	s_delay_alu instid0(SALU_CYCLE_1)
	s_add_u32 s38, s26, s20
	s_addc_u32 s39, s25, s21
	s_clause 0x5
	s_load_b32 s21, s[4:5], 0x0
	s_load_b32 s13, s[6:7], 0x0
	;; [unrolled: 1-line block ×6, first 2 shown]
	s_or_b32 s6, s12, 0xc0
	s_mov_b32 s4, 0
	s_ashr_i32 s7, s6, 4
	s_cmp_lt_i32 s6, s24
	s_mov_b32 s5, s4
	s_cselect_b32 s10, s7, s3
	s_mov_b32 s6, s4
	s_ashr_i32 s11, s10, 31
	s_mov_b32 s7, s4
	s_lshl_b64 s[10:11], s[10:11], 2
	s_mov_b32 s8, s4
	s_add_u32 s36, s26, s10
	s_addc_u32 s37, s25, s11
	s_or_b32 s11, s12, 0xe0
	s_mov_b32 s9, s4
	s_ashr_i32 s29, s11, 4
	s_cmp_lt_i32 s11, s24
	s_mov_b32 s11, s4
	s_cselect_b32 s38, s29, s3
	s_mov_b32 s10, s4
	s_ashr_i32 s39, s38, 31
	v_dual_mov_b32 v103, s11 :: v_dual_mov_b32 v96, s4
	v_dual_mov_b32 v101, s9 :: v_dual_lshlrev_b32 v68, 6, v70
	v_mov_b32_e32 v102, s10
	v_dual_mov_b32 v100, s8 :: v_dual_mov_b32 v99, s7
	v_dual_mov_b32 v98, s6 :: v_dual_mov_b32 v97, s5
	s_lshl_b64 s[4:5], s[38:39], 2
	s_delay_alu instid0(SALU_CYCLE_1)
	s_add_u32 s4, s26, s4
	s_addc_u32 s5, s25, s5
	s_add_u32 s6, s22, s27
	s_addc_u32 s7, s23, s28
	s_waitcnt vmcnt(1)
	v_mad_i64_i32 v[3:4], null, v5, s17, v[1:2]
	s_waitcnt vmcnt(0)
	v_mad_i64_i32 v[5:6], null, v7, s17, v[1:2]
	v_lshlrev_b32_e32 v1, 4, v70
	s_clause 0x7
	global_load_b128 v[57:60], v[3:4], off
	global_load_b128 v[61:64], v[3:4], off offset:256
	global_load_b128 v[72:75], v[5:6], off
	global_load_b128 v[76:79], v[5:6], off offset:256
	global_load_b128 v[80:83], v[3:4], off offset:512
	;; [unrolled: 1-line block ×5, first 2 shown]
	v_lshl_or_b32 v1, v69, 8, v1
	s_load_b32 s3, s[36:37], 0x0
	ds_load_b128 v[104:107], v68
	ds_load_b128 v[108:111], v68 offset:1024
	s_load_b32 s4, s[4:5], 0x0
	v_add_co_u32 v17, s6, s6, v1
	s_delay_alu instid0(VALU_DEP_1) | instskip(SKIP_1) | instid1(VALU_DEP_1)
	v_add_co_ci_u32_e64 v18, null, s7, 0, s6
	s_waitcnt lgkmcnt(0)
	v_mad_i64_i32 v[1:2], null, s21, s17, v[17:18]
	v_mad_i64_i32 v[3:4], null, s13, s17, v[17:18]
	;; [unrolled: 1-line block ×7, first 2 shown]
	s_clause 0x9
	global_load_b128 v[49:52], v[1:2], off
	global_load_b128 v[53:56], v[1:2], off offset:16
	global_load_b128 v[41:44], v[3:4], off
	global_load_b128 v[45:48], v[3:4], off offset:16
	;; [unrolled: 2-line block ×5, first 2 shown]
	v_mad_i64_i32 v[120:121], null, s4, s17, v[17:18]
	s_clause 0x3
	global_load_b128 v[17:20], v[21:22], off
	global_load_b128 v[21:24], v[21:22], off offset:16
	global_load_b128 v[25:28], v[29:30], off
	global_load_b128 v[29:32], v[29:30], off offset:16
	s_waitcnt vmcnt(20)
	v_wmma_f32_16x16x16_f16 v[112:119], v[57:64], v[104:111], v[96:103]
	s_clause 0x1
	global_load_b128 v[57:60], v[120:121], off
	global_load_b128 v[61:64], v[120:121], off offset:16
	s_waitcnt vmcnt(20)
	v_wmma_f32_16x16x16_f16 v[96:103], v[72:79], v[104:111], v[96:103]
	ds_load_b128 v[72:75], v68 offset:2048
	ds_load_b128 v[76:79], v68 offset:3072
	v_and_b32_e32 v104, 0xe0, v0
	v_mbcnt_lo_u32_b32 v105, -1, 0
	s_waitcnt vmcnt(0) lgkmcnt(0)
	s_barrier
	buffer_gl0_inv
	v_add_nc_u32_e32 v104, s12, v104
	v_xor_b32_e32 v106, 16, v105
	s_delay_alu instid0(VALU_DEP_2) | instskip(NEXT) | instid1(VALU_DEP_2)
	v_or_b32_e32 v104, v104, v66
	v_cmp_gt_i32_e32 vcc_lo, 32, v106
	s_delay_alu instid0(VALU_DEP_2)
	v_or_b32_e32 v107, 4, v104
	v_or_b32_e32 v108, 6, v104
	v_cmp_gt_i32_e64 s3, s24, v104
	v_or_b32_e32 v109, 8, v104
	v_wmma_f32_16x16x16_f16 v[112:119], v[80:87], v[72:79], v[112:119]
	v_cndmask_b32_e32 v105, v105, v106, vcc_lo
	v_or_b32_e32 v106, 2, v104
	v_wmma_f32_16x16x16_f16 v[96:103], v[88:95], v[72:79], v[96:103]
	v_or_b32_e32 v80, 10, v104
	v_dual_mul_f32 v90, s19, v112 :: v_dual_mul_f32 v89, s19, v113
	s_delay_alu instid0(VALU_DEP_4) | instskip(NEXT) | instid1(VALU_DEP_4)
	v_cmp_gt_i32_e32 vcc_lo, s24, v106
	v_dual_mul_f32 v94, s19, v100 :: v_dual_mul_f32 v77, s19, v117
	v_dual_mul_f32 v88, s19, v114 :: v_dual_mul_f32 v79, s19, v115
	v_mul_f32_e32 v92, s19, v102
	v_cndmask_b32_e64 v90, 0xff7fffff, v90, s3
	v_cndmask_b32_e32 v89, 0xff7fffff, v89, vcc_lo
	v_cmp_gt_i32_e64 s4, s24, v107
	v_cmp_gt_i32_e64 s5, s24, v108
	v_or_b32_e32 v81, 12, v104
	v_or_b32_e32 v82, 14, v104
	v_mul_f32_e32 v78, s19, v116
	v_cndmask_b32_e64 v88, 0xff7fffff, v88, s4
	v_cndmask_b32_e64 v79, 0xff7fffff, v79, s5
	v_max3_f32 v89, v90, 0xff7fffff, v89
	v_cmp_gt_i32_e64 s6, s24, v109
	v_cmp_gt_i32_e64 s7, s24, v80
	v_or_b32_e32 v83, 16, v104
	v_or_b32_e32 v84, 18, v104
	v_dual_mul_f32 v75, s19, v119 :: v_dual_mul_f32 v76, s19, v118
	v_cndmask_b32_e64 v78, 0xff7fffff, v78, s6
	v_cndmask_b32_e64 v77, 0xff7fffff, v77, s7
	v_max3_f32 v79, v89, v88, v79
	v_cmp_gt_i32_e64 s8, s24, v81
	v_cmp_gt_i32_e64 s9, s24, v82
	v_or_b32_e32 v85, 20, v104
	v_or_b32_e32 v86, 22, v104
	;; [unrolled: 1-line block ×6, first 2 shown]
	v_dual_mul_f32 v95, s19, v99 :: v_dual_mul_f32 v104, s19, v97
	v_mul_f32_e32 v107, s19, v96
	v_cndmask_b32_e64 v76, 0xff7fffff, v76, s8
	v_cndmask_b32_e64 v75, 0xff7fffff, v75, s9
	v_max3_f32 v77, v79, v78, v77
	v_cmp_gt_i32_e64 s10, s24, v83
	v_cmp_gt_i32_e64 s11, s24, v84
	v_dual_mul_f32 v91, s19, v103 :: v_dual_mul_f32 v106, s19, v98
	s_delay_alu instid0(VALU_DEP_4) | instskip(NEXT) | instid1(VALU_DEP_4)
	v_max3_f32 v75, v77, v76, v75
	v_cndmask_b32_e64 v78, 0xff7fffff, v107, s10
	s_delay_alu instid0(VALU_DEP_4)
	v_cndmask_b32_e64 v79, 0xff7fffff, v104, s11
	v_cmp_gt_i32_e64 s12, s24, v85
	v_cmp_gt_i32_e64 s13, s24, v86
	v_mul_f32_e32 v93, s19, v101
	v_cmp_gt_i32_e64 s15, s24, v87
	v_max3_f32 v75, v75, v78, v79
	v_cndmask_b32_e64 v76, 0xff7fffff, v106, s12
	v_cndmask_b32_e64 v77, 0xff7fffff, v95, s13
	v_cmp_gt_i32_e64 s16, s24, v72
	v_cndmask_b32_e64 v78, 0xff7fffff, v94, s15
	v_cmp_gt_i32_e64 s17, s24, v73
	v_cmp_gt_i32_e64 s18, s24, v74
	v_max3_f32 v75, v75, v76, v77
	v_cndmask_b32_e64 v72, 0xff7fffff, v93, s16
	s_delay_alu instid0(VALU_DEP_4) | instskip(NEXT) | instid1(VALU_DEP_4)
	v_cndmask_b32_e64 v73, 0xff7fffff, v92, s17
	v_cndmask_b32_e64 v74, 0xff7fffff, v91, s18
	s_delay_alu instid0(VALU_DEP_3) | instskip(SKIP_1) | instid1(VALU_DEP_2)
	v_max3_f32 v72, v75, v78, v72
	v_lshlrev_b32_e32 v75, 2, v105
	v_max3_f32 v72, v72, v73, v74
	ds_bpermute_b32 v73, v75, v72
	s_waitcnt lgkmcnt(0)
	v_max_f32_e32 v73, v73, v73
	s_delay_alu instid0(VALU_DEP_1) | instskip(NEXT) | instid1(VALU_DEP_1)
	v_max_f32_e32 v72, v72, v73
	v_fma_f32 v76, s19, v114, -v72
	v_fma_f32 v73, s19, v112, -v72
	;; [unrolled: 1-line block ×5, first 2 shown]
	v_mul_f32_e32 v76, 0x3fb8aa3b, v76
	v_fma_f32 v82, s19, v118, -v72
	s_delay_alu instid0(VALU_DEP_4) | instskip(SKIP_1) | instid1(VALU_DEP_4)
	v_dual_mul_f32 v79, 0x3fb8aa3b, v79 :: v_dual_mul_f32 v74, 0x3fb8aa3b, v74
	v_fma_f32 v86, s19, v99, -v72
	v_exp_f32_e32 v76, v76
	s_delay_alu instid0(VALU_DEP_3) | instskip(NEXT) | instid1(VALU_DEP_3)
	v_mul_f32_e32 v82, 0x3fb8aa3b, v82
	v_exp_f32_e32 v83, v79
	v_exp_f32_e32 v74, v74
	v_mul_f32_e32 v88, 0x3fb8aa3b, v86
	v_fma_f32 v91, s19, v103, -v72
	v_exp_f32_e32 v84, v82
	v_fma_f32 v89, s19, v101, -v72
	s_delay_alu instid0(VALU_DEP_3)
	v_exp_f32_e32 v90, v88
	v_cndmask_b32_e64 v80, 0, v76, s4
	v_mul_f32_e32 v73, 0x3fb8aa3b, v73
	v_fma_f32 v76, s19, v119, -v72
	v_mul_f32_e32 v77, 0x3fb8aa3b, v77
	v_cndmask_b32_e64 v82, 0, v83, s6
	v_fma_f32 v83, s19, v97, -v72
	v_exp_f32_e32 v73, v73
	v_mul_f32_e32 v76, 0x3fb8aa3b, v76
	v_exp_f32_e32 v81, v77
	v_cndmask_b32_e64 v84, 0, v84, s8
	v_mul_f32_e32 v83, 0x3fb8aa3b, v83
	v_mul_f32_e32 v89, 0x3fb8aa3b, v89
	v_exp_f32_e32 v76, v76
	s_delay_alu instid0(VALU_DEP_2) | instskip(SKIP_2) | instid1(TRANS32_DEP_3)
	v_exp_f32_e32 v87, v83
	v_cndmask_b32_e64 v78, 0, v73, s3
	v_fma_f32 v73, s19, v117, -v72
	v_cndmask_b32_e64 v79, 0, v81, s5
	v_cndmask_b32_e32 v77, 0, v74, vcc_lo
	v_fma_f32 v81, s19, v96, -v72
	s_delay_alu instid0(VALU_DEP_4) | instskip(NEXT) | instid1(TRANS32_DEP_2)
	v_dual_add_f32 v74, 0, v78 :: v_dual_mul_f32 v73, 0x3fb8aa3b, v73
	v_cndmask_b32_e64 v83, 0, v76, s9
	v_fma_f32 v76, s19, v100, -v72
	s_delay_alu instid0(VALU_DEP_4) | instskip(NEXT) | instid1(VALU_DEP_4)
	v_mul_f32_e32 v85, 0x3fb8aa3b, v81
	v_add_f32_e32 v74, v74, v77
	v_exp_f32_e32 v73, v73
	v_exp_f32_e32 v89, v89
	v_mul_f32_e32 v76, 0x3fb8aa3b, v76
	v_exp_f32_e32 v85, v85
	v_add_f32_e32 v74, v74, v80
	s_mov_b32 s3, exec_lo
	s_delay_alu instid0(VALU_DEP_2) | instskip(NEXT) | instid1(VALU_DEP_1)
	v_exp_f32_e32 v76, v76
	v_add_f32_e32 v74, v74, v79
	v_cndmask_b32_e64 v81, 0, v73, s7
	s_delay_alu instid0(TRANS32_DEP_3)
	v_cndmask_b32_e64 v89, 0, v89, s16
	s_waitcnt_depctr 0xfff
	v_cndmask_b32_e64 v86, 0, v85, s10
	v_cndmask_b32_e64 v85, 0, v87, s11
	v_fma_f32 v87, s19, v102, -v72
	v_add_f32_e32 v73, v74, v82
	v_fma_f32 v74, s19, v98, -v72
	s_delay_alu instid0(VALU_DEP_1) | instskip(NEXT) | instid1(VALU_DEP_1)
	v_mul_f32_e32 v74, 0x3fb8aa3b, v74
	v_exp_f32_e32 v74, v74
	s_waitcnt_depctr 0xfff
	v_cndmask_b32_e64 v88, 0, v74, s12
	v_dual_mul_f32 v74, 0x3fb8aa3b, v87 :: v_dual_add_f32 v73, v73, v81
	v_cndmask_b32_e64 v87, 0, v90, s13
	v_cndmask_b32_e64 v90, 0, v76, s15
	v_mul_f32_e32 v76, 0x3fb8aa3b, v91
	s_delay_alu instid0(VALU_DEP_4) | instskip(SKIP_1) | instid1(VALU_DEP_2)
	v_exp_f32_e32 v74, v74
	v_add_f32_e32 v73, v73, v84
	v_exp_f32_e32 v76, v76
	s_delay_alu instid0(VALU_DEP_1) | instskip(SKIP_4) | instid1(VALU_DEP_2)
	v_add_f32_e32 v73, v73, v83
	s_waitcnt_depctr 0xfff
	v_cndmask_b32_e64 v92, 0, v74, s17
	v_add_f32_e32 v73, v73, v86
	v_cndmask_b32_e64 v91, 0, v76, s18
	v_add_f32_e32 v73, v73, v85
	s_delay_alu instid0(VALU_DEP_1) | instskip(NEXT) | instid1(VALU_DEP_1)
	v_add_f32_e32 v73, v73, v88
	v_add_f32_e32 v73, v73, v87
	s_delay_alu instid0(VALU_DEP_1) | instskip(NEXT) | instid1(VALU_DEP_1)
	v_add_f32_e32 v73, v73, v90
	;; [unrolled: 3-line block ×3, first 2 shown]
	v_add_f32_e32 v73, v73, v91
	ds_bpermute_b32 v74, v75, v73
	v_cmpx_gt_u32_e32 16, v71
	s_cbranch_execz .LBB1117_12
; %bb.11:
	v_mul_u32_u24_e32 v71, 0x44, v69
	s_waitcnt lgkmcnt(0)
	v_add_f32_e32 v73, v73, v74
	s_delay_alu instid0(VALU_DEP_2) | instskip(NEXT) | instid1(VALU_DEP_1)
	v_lshl_add_u32 v71, v70, 2, v71
	v_add_nc_u32_e32 v71, 0x4000, v71
	ds_store_2addr_b32 v71, v72, v73 offset1:136
.LBB1117_12:
	s_or_b32 exec_lo, exec_lo, s3
	v_lshlrev_b32_e32 v70, 2, v70
	s_load_b32 s35, s[0:1], 0x94
	s_waitcnt lgkmcnt(0)
	s_barrier
	buffer_gl0_inv
	v_add_nc_u32_e32 v74, 0x4000, v70
	v_cmp_eq_u32_e32 vcc_lo, 1, v69
	v_cmp_eq_u32_e64 s3, 2, v69
	v_cmp_eq_u32_e64 s4, 3, v69
	;; [unrolled: 1-line block ×3, first 2 shown]
	ds_load_2addr_b32 v[70:71], v74 offset1:17
	ds_load_2addr_b32 v[72:73], v74 offset0:34 offset1:51
	ds_load_2addr_b32 v[93:94], v74 offset0:68 offset1:85
	;; [unrolled: 1-line block ×3, first 2 shown]
	v_cmp_eq_u32_e64 s6, 7, v69
	s_waitcnt lgkmcnt(3)
	v_max3_f32 v75, v70, 0xff7fffff, v71
	s_waitcnt lgkmcnt(2)
	s_delay_alu instid0(VALU_DEP_1) | instskip(SKIP_1) | instid1(VALU_DEP_1)
	v_max3_f32 v75, v75, v72, v73
	s_waitcnt lgkmcnt(1)
	v_max3_f32 v75, v75, v93, v94
	s_waitcnt lgkmcnt(0)
	s_delay_alu instid0(VALU_DEP_1) | instskip(NEXT) | instid1(VALU_DEP_1)
	v_max3_f32 v75, v75, v95, v96
	v_sub_f32_e32 v93, v93, v75
	ds_load_2addr_b32 v[97:98], v74 offset0:136 offset1:153
	v_sub_f32_e32 v70, v70, v75
	v_dual_sub_f32 v100, v73, v75 :: v_dual_mul_f32 v103, 0x3fb8aa3b, v93
	s_delay_alu instid0(VALU_DEP_2) | instskip(SKIP_3) | instid1(VALU_DEP_1)
	v_dual_sub_f32 v76, v71, v75 :: v_dual_mul_f32 v99, 0x3fb8aa3b, v70
	ds_load_2addr_b32 v[70:71], v74 offset0:170 offset1:187
	v_mul_f32_e32 v76, 0x3fb8aa3b, v76
	v_exp_f32_e32 v99, v99
	v_exp_f32_e32 v102, v76
	v_mul_f32_e32 v100, 0x3fb8aa3b, v100
	s_waitcnt lgkmcnt(1)
	s_waitcnt_depctr 0xfff
	v_fma_f32 v76, v99, v97, 0
	v_sub_f32_e32 v97, v94, v75
	v_sub_f32_e32 v72, v72, v75
	v_exp_f32_e32 v100, v100
	ds_load_2addr_b32 v[93:94], v74 offset0:238 offset1:255
	v_dual_fmac_f32 v76, v102, v98 :: v_dual_mul_f32 v101, 0x3fb8aa3b, v72
	ds_load_2addr_b32 v[72:73], v74 offset0:204 offset1:221
	v_dual_sub_f32 v74, v95, v75 :: v_dual_mul_f32 v95, 0x3fb8aa3b, v97
	v_exp_f32_e32 v97, v103
	v_exp_f32_e32 v101, v101
	s_waitcnt lgkmcnt(0)
	s_delay_alu instid0(VALU_DEP_1)
	v_mul_f32_e32 v74, 0x3fb8aa3b, v74
	v_exp_f32_e32 v95, v95
	s_barrier
	buffer_gl0_inv
	v_fmac_f32_e32 v76, v101, v70
	v_sub_f32_e32 v70, v96, v75
	v_exp_f32_e32 v96, v74
	s_delay_alu instid0(VALU_DEP_2) | instskip(NEXT) | instid1(VALU_DEP_2)
	v_fmac_f32_e32 v76, v100, v71
	v_mul_f32_e32 v70, 0x3fb8aa3b, v70
	s_delay_alu instid0(VALU_DEP_2) | instskip(NEXT) | instid1(VALU_DEP_2)
	v_dual_cndmask_b32 v71, v99, v102 :: v_dual_fmac_f32 v76, v97, v72
	v_exp_f32_e32 v98, v70
	s_delay_alu instid0(VALU_DEP_1) | instskip(SKIP_2) | instid1(VALU_DEP_1)
	v_fmac_f32_e32 v76, v95, v73
	s_waitcnt_depctr 0xfff
	v_fmac_f32_e32 v76, v96, v93
	v_fmac_f32_e32 v76, v98, v94
	s_delay_alu instid0(VALU_DEP_1) | instskip(NEXT) | instid1(VALU_DEP_1)
	v_add_f32_e32 v93, 0x358637bd, v76
	v_div_scale_f32 v94, null, v93, v93, 1.0
	v_div_scale_f32 v99, vcc_lo, 1.0, v93, 1.0
	s_delay_alu instid0(VALU_DEP_2) | instskip(SKIP_2) | instid1(VALU_DEP_1)
	v_rcp_f32_e32 v103, v94
	s_waitcnt_depctr 0xfff
	v_fma_f32 v70, -v94, v103, 1.0
	v_fmac_f32_e32 v103, v70, v103
	v_cndmask_b32_e64 v70, v71, v101, s3
	v_cmp_eq_u32_e64 s3, 4, v69
	v_lshlrev_b32_e32 v71, 2, v66
	s_delay_alu instid0(VALU_DEP_4) | instskip(NEXT) | instid1(VALU_DEP_4)
	v_mul_f32_e32 v101, v99, v103
	v_cndmask_b32_e64 v72, v70, v100, s4
	v_cmp_eq_u32_e64 s4, 6, v69
	v_lshl_or_b32 v70, v69, 11, v68
	v_or_b32_e32 v74, 1, v71
	v_fma_f32 v73, -v94, v101, v99
	v_cndmask_b32_e64 v72, v72, v97, s3
	v_cmp_eq_u32_e64 s3, 1, v71
	v_lshl_or_b32 v69, v66, 4, v70
	v_cmp_eq_u32_e64 s9, 1, v74
	v_fmac_f32_e32 v101, v73, v103
	v_cndmask_b32_e64 v95, v72, v95, s5
	v_or_b32_e32 v72, 2, v71
	v_or_b32_e32 v73, 3, v71
	v_cmp_eq_u32_e64 s12, 2, v74
	v_fma_f32 v94, -v94, v101, v99
	v_cndmask_b32_e64 v95, v95, v96, s4
	v_cmp_eq_u32_e64 s10, 1, v72
	v_cmp_eq_u32_e64 s11, 1, v73
	;; [unrolled: 1-line block ×3, first 2 shown]
	v_div_fmas_f32 v94, v94, v103, v101
	v_cndmask_b32_e64 v95, v95, v98, s6
	v_cmp_eq_u32_e32 vcc_lo, 2, v71
	v_cmp_eq_u32_e64 s16, 2, v73
	v_cmp_eq_u32_e64 s18, 3, v73
	v_div_fixup_f32 v93, v94, v93, 1.0
	v_cmp_eq_u32_e64 s4, 3, v71
	v_cmp_eq_u32_e64 s13, 3, v74
	;; [unrolled: 1-line block ×4, first 2 shown]
	v_mul_f32_e32 v101, v95, v93
	v_cmp_eq_u32_e64 s5, 4, v71
	v_cmp_eq_u32_e64 s19, 4, v74
	;; [unrolled: 1-line block ×4, first 2 shown]
	v_fma_mixlo_f16 v93, v101, v78, 0
	v_fma_mixlo_f16 v94, v101, v80, 0
	;; [unrolled: 1-line block ×8, first 2 shown]
	v_fma_mixhi_f16 v93, v101, v77, 0
	v_fma_mixhi_f16 v94, v101, v79, 0
	;; [unrolled: 1-line block ×8, first 2 shown]
	ds_store_b128 v69, v[93:96]
	ds_store_b128 v69, v[97:100] offset:1024
	s_waitcnt lgkmcnt(0)
	s_barrier
	buffer_gl0_inv
	ds_load_b128 v[77:80], v70
	ds_load_b128 v[81:84], v70 offset:16
	ds_load_b128 v[85:88], v70 offset:1024
	;; [unrolled: 1-line block ×3, first 2 shown]
	v_cmp_eq_u32_e64 s6, 5, v71
	v_cmp_eq_u32_e64 s20, 5, v74
	;; [unrolled: 1-line block ×11, first 2 shown]
	s_waitcnt lgkmcnt(3)
	v_lshrrev_b32_e32 v93, 16, v77
	s_waitcnt lgkmcnt(2)
	v_lshrrev_b32_e32 v97, 16, v81
	;; [unrolled: 2-line block ×4, first 2 shown]
	v_lshrrev_b32_e32 v94, 16, v78
	v_cndmask_b32_e64 v109, v77, v93, s3
	v_cndmask_b32_e64 v110, v81, v97, s3
	;; [unrolled: 1-line block ×8, first 2 shown]
	v_lshrrev_b32_e32 v98, 16, v82
	v_cndmask_b32_e64 v93, v85, v101, s3
	v_cndmask_b32_e64 v97, v89, v105, s3
	;; [unrolled: 1-line block ×5, first 2 shown]
	v_cndmask_b32_e32 v101, v109, v78, vcc_lo
	v_cndmask_b32_e64 v109, v111, v78, s12
	v_cndmask_b32_e64 v111, v113, v78, s15
	;; [unrolled: 1-line block ×4, first 2 shown]
	v_lshrrev_b32_e32 v102, 16, v86
	v_lshrrev_b32_e32 v106, 16, v90
	v_cndmask_b32_e64 v116, v89, v105, s9
	v_cndmask_b32_e64 v118, v89, v105, s10
	;; [unrolled: 1-line block ×3, first 2 shown]
	v_cndmask_b32_e32 v105, v110, v82, vcc_lo
	v_cndmask_b32_e64 v110, v112, v82, s12
	v_cndmask_b32_e64 v112, v114, v82, s15
	v_cndmask_b32_e32 v81, v93, v86, vcc_lo
	v_cndmask_b32_e32 v82, v97, v90, vcc_lo
	v_cndmask_b32_e64 v93, v115, v86, s12
	v_cndmask_b32_e64 v77, v77, v94, s18
	;; [unrolled: 1-line block ×3, first 2 shown]
	v_lshrrev_b32_e32 v95, 16, v79
	v_lshrrev_b32_e32 v99, 16, v83
	v_cndmask_b32_e64 v97, v117, v86, s15
	v_cndmask_b32_e64 v85, v85, v86, s16
	;; [unrolled: 1-line block ×14, first 2 shown]
	v_lshrrev_b32_e32 v103, 16, v87
	v_cndmask_b32_e64 v89, v89, v79, s5
	v_cndmask_b32_e64 v94, v101, v83, s5
	;; [unrolled: 1-line block ×11, first 2 shown]
	v_lshrrev_b32_e32 v96, 16, v80
	v_lshrrev_b32_e32 v100, 16, v84
	v_cndmask_b32_e64 v83, v89, v95, s6
	v_cndmask_b32_e64 v89, v94, v99, s6
	;; [unrolled: 1-line block ×9, first 2 shown]
	v_lshrrev_b32_e32 v104, 16, v88
	v_cndmask_b32_e64 v79, v79, v103, s6
	v_cndmask_b32_e64 v83, v83, v80, s7
	;; [unrolled: 1-line block ×19, first 2 shown]
	v_perm_b32 v80, v78, v77, 0x5040100
	v_cndmask_b32_e64 v77, v116, v90, s12
	v_cndmask_b32_e64 v95, v79, v104, s8
	v_perm_b32 v79, v93, v89, 0x5040100
	v_perm_b32 v78, v94, v84, 0x5040100
	v_cndmask_b32_e64 v84, v97, v102, s17
	v_cndmask_b32_e64 v85, v85, v102, s18
	;; [unrolled: 1-line block ×5, first 2 shown]
	v_lshrrev_b32_e32 v107, 16, v91
	v_cndmask_b32_e64 v84, v84, v87, s21
	v_cndmask_b32_e64 v85, v85, v87, s22
	v_cndmask_b32_e64 v86, v86, v91, s22
	v_cndmask_b32_e64 v87, v89, v91, s21
	v_cndmask_b32_e64 v77, v77, v91, s19
	v_cndmask_b32_e64 v81, v81, v107, s6
	v_cndmask_b32_e64 v84, v84, v103, s23
	v_cndmask_b32_e64 v85, v85, v103, s24
	v_cndmask_b32_e64 v86, v86, v107, s24
	v_cndmask_b32_e64 v87, v87, v107, s23
	v_cndmask_b32_e64 v77, v77, v107, s20
	v_lshrrev_b32_e32 v108, 16, v92
	v_cndmask_b32_e64 v81, v81, v92, s7
	v_cndmask_b32_e64 v84, v84, v88, s26
	;; [unrolled: 1-line block ×12, first 2 shown]
	v_perm_b32 v77, v83, v82, 0x5040100
	v_perm_b32 v84, v85, v84, 0x5040100
	;; [unrolled: 1-line block ×5, first 2 shown]
	s_lshl_b32 s8, s33, 4
	s_mov_b32 s3, exec_lo
	ds_store_b128 v69, v[77:80]
	ds_store_b128 v69, v[81:84] offset:1024
	v_cmpx_gt_u32_e32 16, v0
	s_cbranch_execz .LBB1117_14
; %bb.13:
	v_or_b32_e32 v77, s31, v0
	s_load_b128 s[4:7], s[0:1], 0x58
	s_delay_alu instid0(VALU_DEP_1) | instskip(NEXT) | instid1(VALU_DEP_1)
	v_mad_u64_u32 v[78:79], null, s8, s34, v[77:78]
	v_mad_u64_u32 v[79:80], null, v78, s35, s[14:15]
	s_delay_alu instid0(VALU_DEP_1) | instskip(NEXT) | instid1(VALU_DEP_1)
	v_ashrrev_i32_e32 v80, 31, v79
	v_lshlrev_b64 v[77:78], 2, v[79:80]
	s_waitcnt lgkmcnt(0)
	s_delay_alu instid0(VALU_DEP_1) | instskip(NEXT) | instid1(VALU_DEP_2)
	v_add_co_u32 v79, vcc_lo, s6, v77
	v_add_co_ci_u32_e32 v80, vcc_lo, s7, v78, vcc_lo
	v_add_co_u32 v77, vcc_lo, s4, v77
	v_add_co_ci_u32_e32 v78, vcc_lo, s5, v78, vcc_lo
	global_store_b32 v[79:80], v75, off
	global_store_b32 v[77:78], v76, off
.LBB1117_14:
	s_or_b32 exec_lo, exec_lo, s3
	s_waitcnt lgkmcnt(0)
	s_waitcnt_vscnt null, 0x0
	s_barrier
	buffer_gl0_inv
	ds_load_b128 v[83:86], v68
	ds_load_b128 v[87:90], v68 offset:16
	ds_load_b128 v[95:98], v68 offset:2064
	;; [unrolled: 1-line block ×5, first 2 shown]
	v_cmp_eq_u32_e32 vcc_lo, 1, v71
	v_mov_b32_e32 v75, 0
	ds_load_b128 v[111:114], v68 offset:6160
	ds_load_b128 v[107:110], v68 offset:6144
	ds_load_b128 v[119:122], v68 offset:8208
	ds_load_b128 v[115:118], v68 offset:8192
	v_cmp_eq_u32_e64 s4, 1, v72
	v_cmp_eq_u32_e64 s3, 1, v74
	;; [unrolled: 1-line block ×3, first 2 shown]
	v_mov_b32_e32 v76, v75
	v_mov_b32_e32 v77, v75
	v_mov_b32_e32 v78, v75
	v_mov_b32_e32 v79, v75
	v_mov_b32_e32 v80, v75
	v_mov_b32_e32 v81, v75
	v_mov_b32_e32 v82, v75
	v_cmp_eq_u32_e64 s6, 3, v74
	v_cmp_eq_u32_e64 s7, 7, v74
	s_waitcnt lgkmcnt(8)
	s_delay_alu instid0(VALU_DEP_3)
	v_wmma_f32_16x16x16_f16 v[75:82], v[49:56], v[83:90], v[75:82]
	ds_load_b128 v[53:56], v68 offset:10256
	ds_load_b128 v[49:52], v68 offset:10240
	s_waitcnt lgkmcnt(8)
	v_wmma_f32_16x16x16_f16 v[75:82], v[41:48], v[91:98], v[75:82]
	ds_load_b128 v[45:48], v68 offset:12304
	ds_load_b128 v[41:44], v68 offset:12288
	s_waitcnt lgkmcnt(8)
	;; [unrolled: 4-line block ×3, first 2 shown]
	s_barrier
	buffer_gl0_inv
	v_wmma_f32_16x16x16_f16 v[75:82], v[1:8], v[107:114], v[75:82]
	s_delay_alu instid0(VALU_DEP_1) | instskip(NEXT) | instid1(VALU_DEP_1)
	v_wmma_f32_16x16x16_f16 v[75:82], v[9:16], v[115:122], v[75:82]
	v_wmma_f32_16x16x16_f16 v[75:82], v[17:24], v[49:56], v[75:82]
	s_delay_alu instid0(VALU_DEP_1) | instskip(NEXT) | instid1(VALU_DEP_1)
	v_wmma_f32_16x16x16_f16 v[75:82], v[25:32], v[41:48], v[75:82]
	v_wmma_f32_16x16x16_f16 v[75:82], v[57:64], v[33:40], v[75:82]
	s_delay_alu instid0(VALU_DEP_1) | instskip(NEXT) | instid1(VALU_DEP_2)
	v_cvt_f16_f32_e32 v1, v75
	v_cvt_f16_f32_e32 v2, v76
	s_delay_alu instid0(VALU_DEP_3) | instskip(NEXT) | instid1(VALU_DEP_4)
	v_cvt_f16_f32_e32 v3, v77
	v_cvt_f16_f32_e32 v4, v78
	;; [unrolled: 1-line block ×6, first 2 shown]
	v_pack_b32_f16 v1, v1, v2
	v_pack_b32_f16 v2, v3, v4
	;; [unrolled: 1-line block ×3, first 2 shown]
	s_delay_alu instid0(VALU_DEP_4)
	v_pack_b32_f16 v4, v7, v8
	ds_store_b128 v69, v[1:4]
	s_waitcnt lgkmcnt(0)
	s_barrier
	buffer_gl0_inv
	ds_load_b128 v[1:4], v70
	ds_load_b128 v[5:8], v70 offset:16
	s_waitcnt lgkmcnt(1)
	v_lshrrev_b32_e32 v9, 16, v1
	s_waitcnt lgkmcnt(0)
	v_lshrrev_b32_e32 v13, 16, v5
	v_lshrrev_b32_e32 v10, 16, v2
	v_lshrrev_b32_e32 v14, 16, v6
	v_lshrrev_b32_e32 v11, 16, v3
	v_cndmask_b32_e32 v17, v1, v9, vcc_lo
	v_cndmask_b32_e32 v18, v5, v13, vcc_lo
	v_cndmask_b32_e64 v21, v1, v9, s4
	v_cmp_eq_u32_e32 vcc_lo, 1, v73
	v_cndmask_b32_e64 v22, v5, v13, s4
	v_cmp_eq_u32_e64 s4, 2, v71
	v_cndmask_b32_e64 v19, v1, v9, s3
	v_cndmask_b32_e64 v20, v5, v13, s3
	v_cndmask_b32_e32 v1, v1, v9, vcc_lo
	v_cmp_eq_u32_e64 s3, 2, v73
	v_cndmask_b32_e32 v5, v5, v13, vcc_lo
	v_cndmask_b32_e64 v9, v17, v2, s4
	v_cmp_eq_u32_e32 vcc_lo, 3, v71
	v_cndmask_b32_e64 v13, v18, v6, s4
	v_cmp_eq_u32_e64 s4, 2, v72
	v_cndmask_b32_e64 v17, v19, v2, s5
	v_cndmask_b32_e64 v18, v20, v6, s5
	v_cmp_eq_u32_e64 s5, 3, v72
	v_cndmask_b32_e64 v1, v1, v2, s3
	v_cndmask_b32_e64 v19, v21, v2, s4
	;; [unrolled: 1-line block ×4, first 2 shown]
	v_cndmask_b32_e32 v5, v9, v10, vcc_lo
	v_cndmask_b32_e32 v6, v13, v14, vcc_lo
	v_cmp_eq_u32_e32 vcc_lo, 3, v73
	v_cndmask_b32_e64 v9, v17, v10, s6
	v_cndmask_b32_e64 v13, v18, v14, s6
	;; [unrolled: 1-line block ×3, first 2 shown]
	v_cmp_eq_u32_e64 s4, 4, v71
	v_cndmask_b32_e32 v1, v1, v10, vcc_lo
	v_cndmask_b32_e32 v2, v2, v14, vcc_lo
	v_cmp_eq_u32_e32 vcc_lo, 4, v74
	v_lshrrev_b32_e32 v15, 16, v7
	v_lshrrev_b32_e32 v16, 16, v8
	v_cndmask_b32_e64 v17, v19, v10, s5
	v_cmp_eq_u32_e64 s3, 4, v73
	v_cndmask_b32_e64 v5, v5, v3, s4
	v_cndmask_b32_e64 v6, v6, v7, s4
	v_cndmask_b32_e32 v9, v9, v3, vcc_lo
	v_cmp_eq_u32_e64 s4, 5, v74
	v_cndmask_b32_e32 v10, v13, v7, vcc_lo
	v_cmp_eq_u32_e32 vcc_lo, 4, v72
	v_cmp_eq_u32_e64 s5, 5, v71
	v_cndmask_b32_e64 v2, v2, v7, s3
	v_cndmask_b32_e64 v9, v9, v11, s4
	;; [unrolled: 1-line block ×3, first 2 shown]
	v_cndmask_b32_e32 v13, v17, v3, vcc_lo
	v_cmp_eq_u32_e64 s4, 5, v72
	v_cndmask_b32_e32 v14, v18, v7, vcc_lo
	v_cndmask_b32_e64 v1, v1, v3, s3
	v_cmp_eq_u32_e32 vcc_lo, 5, v73
	v_lshrrev_b32_e32 v12, 16, v4
	v_cndmask_b32_e64 v13, v13, v11, s4
	v_cndmask_b32_e64 v3, v14, v15, s4
	v_cmp_eq_u32_e64 s4, 6, v73
	v_cndmask_b32_e32 v1, v1, v11, vcc_lo
	v_cndmask_b32_e64 v5, v5, v11, s5
	v_cmp_eq_u32_e64 s6, 6, v71
	v_cndmask_b32_e64 v6, v6, v15, s5
	v_cmp_eq_u32_e64 s5, 6, v74
	v_cmp_eq_u32_e64 s3, 6, v72
	v_cndmask_b32_e64 v1, v1, v4, s4
	v_cndmask_b32_e32 v2, v2, v15, vcc_lo
	v_cmp_eq_u32_e32 vcc_lo, 7, v73
	v_cndmask_b32_e64 v5, v5, v4, s6
	v_cndmask_b32_e64 v9, v9, v4, s5
	v_cndmask_b32_e64 v6, v6, v8, s6
	v_cmp_eq_u32_e64 s6, 7, v71
	v_cndmask_b32_e32 v1, v1, v12, vcc_lo
	v_cndmask_b32_e64 v7, v13, v4, s3
	v_cndmask_b32_e64 v3, v3, v8, s3
	;; [unrolled: 1-line block ×3, first 2 shown]
	v_cmp_eq_u32_e64 s3, 7, v72
	v_cndmask_b32_e64 v4, v10, v8, s5
	v_cndmask_b32_e64 v5, v5, v12, s6
	;; [unrolled: 1-line block ×3, first 2 shown]
	v_cndmask_b32_e32 v2, v2, v16, vcc_lo
	v_cndmask_b32_e64 v7, v7, v12, s3
	v_cndmask_b32_e64 v3, v3, v16, s3
	;; [unrolled: 1-line block ×4, first 2 shown]
	v_cmp_gt_u32_e32 vcc_lo, 32, v0
	v_perm_b32 v4, v2, v1, 0x5040100
	v_perm_b32 v3, v3, v7, 0x5040100
	;; [unrolled: 1-line block ×4, first 2 shown]
	s_and_b32 s2, vcc_lo, s2
	ds_store_b128 v69, v[1:4]
	s_waitcnt lgkmcnt(0)
	s_barrier
	buffer_gl0_inv
	s_and_saveexec_b32 s3, s2
	s_cbranch_execz .LBB1117_2
; %bb.15:
	s_load_b64 s[0:1], s[0:1], 0x68
	v_lshlrev_b32_e32 v0, 10, v0
	s_lshl_b32 s4, s35, 6
	v_or_b32_e32 v23, s31, v66
	s_mul_i32 s2, s4, s34
	v_lshlrev_b32_e32 v1, 4, v67
	v_lshlrev_b32_e32 v2, 6, v66
	s_mul_i32 s2, s2, s8
	v_and_b32_e32 v0, 0x3800, v0
	v_mul_lo_u32 v8, v23, s4
	s_ashr_i32 s3, s2, 31
	v_or_b32_e32 v3, 2, v23
	s_lshl_b64 s[2:3], s[2:3], 1
	v_or3_b32 v27, v0, v1, v2
	v_or_b32_e32 v11, 4, v23
	v_or_b32_e32 v18, 6, v23
	v_mul_lo_u32 v10, v3, s4
	v_ashrrev_i32_e32 v9, 31, v8
	ds_load_b128 v[0:3], v27
	ds_load_b128 v[4:7], v27 offset:128
	v_mul_lo_u32 v12, v11, s4
	s_waitcnt lgkmcnt(0)
	s_add_u32 s2, s0, s2
	s_addc_u32 s3, s1, s3
	s_lshl_b32 s0, s14, 6
	v_lshlrev_b64 v[8:9], 1, v[8:9]
	s_ashr_i32 s1, s0, 31
	v_ashrrev_i32_e32 v11, 31, v10
	s_lshl_b64 s[0:1], s[0:1], 1
	v_ashrrev_i32_e32 v13, 31, v12
	s_add_u32 s0, s2, s0
	s_addc_u32 s1, s3, s1
	v_add_co_u32 v30, s0, s0, v65
	s_delay_alu instid0(VALU_DEP_1) | instskip(SKIP_1) | instid1(VALU_DEP_3)
	v_add_co_ci_u32_e64 v31, null, s1, 0, s0
	v_lshlrev_b64 v[16:17], 1, v[10:11]
	v_add_co_u32 v14, vcc_lo, v30, v8
	s_delay_alu instid0(VALU_DEP_3)
	v_add_co_ci_u32_e32 v15, vcc_lo, v31, v9, vcc_lo
	ds_load_b128 v[8:11], v27 offset:256
	v_mul_lo_u32 v18, v18, s4
	v_or_b32_e32 v19, 8, v23
	v_add_co_u32 v16, vcc_lo, v30, v16
	global_store_b128 v[14:15], v[0:3], off
	v_lshlrev_b64 v[0:1], 1, v[12:13]
	v_add_co_ci_u32_e32 v17, vcc_lo, v31, v17, vcc_lo
	v_mul_lo_u32 v12, v19, s4
	v_ashrrev_i32_e32 v19, 31, v18
	v_or_b32_e32 v14, 10, v23
	global_store_b128 v[16:17], v[4:7], off
	v_add_co_u32 v4, vcc_lo, v30, v0
	v_add_co_ci_u32_e32 v5, vcc_lo, v31, v1, vcc_lo
	ds_load_b128 v[0:3], v27 offset:384
	v_ashrrev_i32_e32 v13, 31, v12
	v_lshlrev_b64 v[6:7], 1, v[18:19]
	v_mul_lo_u32 v14, v14, s4
	s_waitcnt lgkmcnt(1)
	global_store_b128 v[4:5], v[8:11], off
	v_or_b32_e32 v8, 12, v23
	v_lshlrev_b64 v[4:5], 1, v[12:13]
	v_add_co_u32 v20, vcc_lo, v30, v6
	v_or_b32_e32 v6, 14, v23
	v_ashrrev_i32_e32 v15, 31, v14
	v_mul_lo_u32 v22, v8, s4
	v_add_co_ci_u32_e32 v21, vcc_lo, v31, v7, vcc_lo
	v_add_co_u32 v24, vcc_lo, v30, v4
	v_mul_lo_u32 v26, v6, s4
	v_add_co_ci_u32_e32 v25, vcc_lo, v31, v5, vcc_lo
	v_lshlrev_b64 v[28:29], 1, v[14:15]
	ds_load_b128 v[4:7], v27 offset:512
	ds_load_b128 v[8:11], v27 offset:640
	;; [unrolled: 1-line block ×4, first 2 shown]
	v_ashrrev_i32_e32 v23, 31, v22
	v_ashrrev_i32_e32 v27, 31, v26
	v_add_co_u32 v28, vcc_lo, v30, v28
	s_delay_alu instid0(VALU_DEP_3) | instskip(SKIP_1) | instid1(VALU_DEP_4)
	v_lshlrev_b64 v[22:23], 1, v[22:23]
	v_add_co_ci_u32_e32 v29, vcc_lo, v31, v29, vcc_lo
	v_lshlrev_b64 v[26:27], 1, v[26:27]
	s_delay_alu instid0(VALU_DEP_3) | instskip(NEXT) | instid1(VALU_DEP_4)
	v_add_co_u32 v22, vcc_lo, v30, v22
	v_add_co_ci_u32_e32 v23, vcc_lo, v31, v23, vcc_lo
	s_delay_alu instid0(VALU_DEP_3) | instskip(NEXT) | instid1(VALU_DEP_4)
	v_add_co_u32 v26, vcc_lo, v30, v26
	v_add_co_ci_u32_e32 v27, vcc_lo, v31, v27, vcc_lo
	s_waitcnt lgkmcnt(4)
	global_store_b128 v[20:21], v[0:3], off
	s_waitcnt lgkmcnt(3)
	global_store_b128 v[24:25], v[4:7], off
	;; [unrolled: 2-line block ×5, first 2 shown]
	s_nop 0
	s_sendmsg sendmsg(MSG_DEALLOC_VGPRS)
	s_endpgm
	.section	.rodata,"a",@progbits
	.p2align	6, 0x0
	.amdhsa_kernel _Z39paged_attention_ll4mi_QKV_mfma16_kernelIDF16_hLN4vllm18Fp8KVCacheDataTypeE1EhLi16ELi64ELi256ELb0ELi16EL8MFMAType0EEvPKT_PKT0_S8_ifPKiSA_SA_iPKfiiiPfSD_PS3_PT2_iSC_SC_
		.amdhsa_group_segment_fixed_size 17472
		.amdhsa_private_segment_fixed_size 0
		.amdhsa_kernarg_size 400
		.amdhsa_user_sgpr_count 13
		.amdhsa_user_sgpr_dispatch_ptr 0
		.amdhsa_user_sgpr_queue_ptr 0
		.amdhsa_user_sgpr_kernarg_segment_ptr 1
		.amdhsa_user_sgpr_dispatch_id 0
		.amdhsa_user_sgpr_private_segment_size 0
		.amdhsa_wavefront_size32 1
		.amdhsa_uses_dynamic_stack 0
		.amdhsa_enable_private_segment 0
		.amdhsa_system_sgpr_workgroup_id_x 1
		.amdhsa_system_sgpr_workgroup_id_y 1
		.amdhsa_system_sgpr_workgroup_id_z 1
		.amdhsa_system_sgpr_workgroup_info 0
		.amdhsa_system_vgpr_workitem_id 0
		.amdhsa_next_free_vgpr 123
		.amdhsa_next_free_sgpr 40
		.amdhsa_reserve_vcc 1
		.amdhsa_float_round_mode_32 0
		.amdhsa_float_round_mode_16_64 0
		.amdhsa_float_denorm_mode_32 3
		.amdhsa_float_denorm_mode_16_64 3
		.amdhsa_dx10_clamp 1
		.amdhsa_ieee_mode 1
		.amdhsa_fp16_overflow 0
		.amdhsa_workgroup_processor_mode 1
		.amdhsa_memory_ordered 1
		.amdhsa_forward_progress 0
		.amdhsa_shared_vgpr_count 0
		.amdhsa_exception_fp_ieee_invalid_op 0
		.amdhsa_exception_fp_denorm_src 0
		.amdhsa_exception_fp_ieee_div_zero 0
		.amdhsa_exception_fp_ieee_overflow 0
		.amdhsa_exception_fp_ieee_underflow 0
		.amdhsa_exception_fp_ieee_inexact 0
		.amdhsa_exception_int_div_zero 0
	.end_amdhsa_kernel
	.section	.text._Z39paged_attention_ll4mi_QKV_mfma16_kernelIDF16_hLN4vllm18Fp8KVCacheDataTypeE1EhLi16ELi64ELi256ELb0ELi16EL8MFMAType0EEvPKT_PKT0_S8_ifPKiSA_SA_iPKfiiiPfSD_PS3_PT2_iSC_SC_,"axG",@progbits,_Z39paged_attention_ll4mi_QKV_mfma16_kernelIDF16_hLN4vllm18Fp8KVCacheDataTypeE1EhLi16ELi64ELi256ELb0ELi16EL8MFMAType0EEvPKT_PKT0_S8_ifPKiSA_SA_iPKfiiiPfSD_PS3_PT2_iSC_SC_,comdat
.Lfunc_end1117:
	.size	_Z39paged_attention_ll4mi_QKV_mfma16_kernelIDF16_hLN4vllm18Fp8KVCacheDataTypeE1EhLi16ELi64ELi256ELb0ELi16EL8MFMAType0EEvPKT_PKT0_S8_ifPKiSA_SA_iPKfiiiPfSD_PS3_PT2_iSC_SC_, .Lfunc_end1117-_Z39paged_attention_ll4mi_QKV_mfma16_kernelIDF16_hLN4vllm18Fp8KVCacheDataTypeE1EhLi16ELi64ELi256ELb0ELi16EL8MFMAType0EEvPKT_PKT0_S8_ifPKiSA_SA_iPKfiiiPfSD_PS3_PT2_iSC_SC_
                                        ; -- End function
	.section	.AMDGPU.csdata,"",@progbits
; Kernel info:
; codeLenInByte = 6708
; NumSgprs: 42
; NumVgprs: 123
; ScratchSize: 0
; MemoryBound: 0
; FloatMode: 240
; IeeeMode: 1
; LDSByteSize: 17472 bytes/workgroup (compile time only)
; SGPRBlocks: 5
; VGPRBlocks: 15
; NumSGPRsForWavesPerEU: 42
; NumVGPRsForWavesPerEU: 123
; Occupancy: 10
; WaveLimiterHint : 1
; COMPUTE_PGM_RSRC2:SCRATCH_EN: 0
; COMPUTE_PGM_RSRC2:USER_SGPR: 13
; COMPUTE_PGM_RSRC2:TRAP_HANDLER: 0
; COMPUTE_PGM_RSRC2:TGID_X_EN: 1
; COMPUTE_PGM_RSRC2:TGID_Y_EN: 1
; COMPUTE_PGM_RSRC2:TGID_Z_EN: 1
; COMPUTE_PGM_RSRC2:TIDIG_COMP_CNT: 0
	.section	.text._Z39paged_attention_ll4mi_QKV_mfma16_kernelIDF16_hLN4vllm18Fp8KVCacheDataTypeE1EhLi16ELi64ELi256ELb0ELi1EL8MFMAType0EEvPKT_PKT0_S8_ifPKiSA_SA_iPKfiiiPfSD_PS3_PT2_iSC_SC_,"axG",@progbits,_Z39paged_attention_ll4mi_QKV_mfma16_kernelIDF16_hLN4vllm18Fp8KVCacheDataTypeE1EhLi16ELi64ELi256ELb0ELi1EL8MFMAType0EEvPKT_PKT0_S8_ifPKiSA_SA_iPKfiiiPfSD_PS3_PT2_iSC_SC_,comdat
	.protected	_Z39paged_attention_ll4mi_QKV_mfma16_kernelIDF16_hLN4vllm18Fp8KVCacheDataTypeE1EhLi16ELi64ELi256ELb0ELi1EL8MFMAType0EEvPKT_PKT0_S8_ifPKiSA_SA_iPKfiiiPfSD_PS3_PT2_iSC_SC_ ; -- Begin function _Z39paged_attention_ll4mi_QKV_mfma16_kernelIDF16_hLN4vllm18Fp8KVCacheDataTypeE1EhLi16ELi64ELi256ELb0ELi1EL8MFMAType0EEvPKT_PKT0_S8_ifPKiSA_SA_iPKfiiiPfSD_PS3_PT2_iSC_SC_
	.globl	_Z39paged_attention_ll4mi_QKV_mfma16_kernelIDF16_hLN4vllm18Fp8KVCacheDataTypeE1EhLi16ELi64ELi256ELb0ELi1EL8MFMAType0EEvPKT_PKT0_S8_ifPKiSA_SA_iPKfiiiPfSD_PS3_PT2_iSC_SC_
	.p2align	8
	.type	_Z39paged_attention_ll4mi_QKV_mfma16_kernelIDF16_hLN4vllm18Fp8KVCacheDataTypeE1EhLi16ELi64ELi256ELb0ELi1EL8MFMAType0EEvPKT_PKT0_S8_ifPKiSA_SA_iPKfiiiPfSD_PS3_PT2_iSC_SC_,@function
_Z39paged_attention_ll4mi_QKV_mfma16_kernelIDF16_hLN4vllm18Fp8KVCacheDataTypeE1EhLi16ELi64ELi256ELb0ELi1EL8MFMAType0EEvPKT_PKT0_S8_ifPKiSA_SA_iPKfiiiPfSD_PS3_PT2_iSC_SC_: ; @_Z39paged_attention_ll4mi_QKV_mfma16_kernelIDF16_hLN4vllm18Fp8KVCacheDataTypeE1EhLi16ELi64ELi256ELb0ELi1EL8MFMAType0EEvPKT_PKT0_S8_ifPKiSA_SA_iPKfiiiPfSD_PS3_PT2_iSC_SC_
; %bb.0:
	s_load_b64 s[4:5], s[0:1], 0x30
	s_mov_b32 s34, s13
	s_waitcnt lgkmcnt(0)
	s_cmp_lg_u64 s[4:5], 0
	s_cselect_b32 s6, -1, 0
	s_ashr_i32 s35, s13, 31
	s_cmp_eq_u64 s[4:5], 0
	s_cbranch_scc1 .LBB1118_3
; %bb.1:
	s_lshl_b64 s[2:3], s[34:35], 2
	s_delay_alu instid0(SALU_CYCLE_1) | instskip(SKIP_4) | instid1(SALU_CYCLE_1)
	s_add_u32 s2, s4, s2
	s_addc_u32 s3, s5, s3
	s_load_b64 s[2:3], s[2:3], 0x0
	s_waitcnt lgkmcnt(0)
	s_sub_i32 s2, s3, s2
	s_cmp_eq_u32 s2, 1
	s_cselect_b32 s2, -1, 0
	s_delay_alu instid0(SALU_CYCLE_1)
	s_and_not1_b32 vcc_lo, exec_lo, s2
	s_cbranch_vccz .LBB1118_4
.LBB1118_2:
	s_endpgm
.LBB1118_3:
.LBB1118_4:
	s_load_b64 s[2:3], s[0:1], 0x28
	s_lshl_b64 s[8:9], s[34:35], 2
	s_waitcnt lgkmcnt(0)
	s_add_u32 s2, s2, s8
	s_addc_u32 s3, s3, s9
	s_lshl_b32 s12, s14, 8
	s_load_b32 s33, s[2:3], 0x0
	s_waitcnt lgkmcnt(0)
	s_cmp_ge_i32 s12, s33
	s_cbranch_scc1 .LBB1118_2
; %bb.5:
	s_clause 0x1
	s_load_b128 s[28:31], s[0:1], 0x8
	s_load_b64 s[2:3], s[0:1], 0x20
	s_and_not1_b32 vcc_lo, exec_lo, s6
	s_mov_b64 s[6:7], s[34:35]
	s_cbranch_vccnz .LBB1118_7
; %bb.6:
	s_add_u32 s4, s4, s8
	s_addc_u32 s5, s5, s9
	s_load_b32 s6, s[4:5], 0x0
.LBB1118_7:
	s_load_b128 s[24:27], s[0:1], 0x48
	v_and_b32_e32 v73, 15, v0
	s_mov_b32 s13, exec_lo
                                        ; implicit-def: $sgpr16
                                        ; implicit-def: $sgpr4
	s_delay_alu instid0(VALU_DEP_1)
	v_cmpx_eq_u32_e32 0, v73
	s_cbranch_execz .LBB1118_9
; %bb.8:
	s_load_b64 s[4:5], s[0:1], 0x0
	s_waitcnt lgkmcnt(0)
	s_mul_hi_i32 s7, s6, s24
	s_mul_i32 s6, s6, s24
	s_delay_alu instid0(SALU_CYCLE_1) | instskip(NEXT) | instid1(SALU_CYCLE_1)
	s_lshl_b64 s[6:7], s[6:7], 1
	s_add_u32 s6, s4, s6
	s_addc_u32 s7, s5, s7
	s_lshl_b32 s4, s15, 6
	s_delay_alu instid0(SALU_CYCLE_1) | instskip(NEXT) | instid1(SALU_CYCLE_1)
	s_ashr_i32 s5, s4, 31
	s_lshl_b64 s[4:5], s[4:5], 1
	s_delay_alu instid0(SALU_CYCLE_1)
	s_add_u32 s4, s6, s4
	s_addc_u32 s5, s7, s5
	s_clause 0x1
	s_load_b256 s[16:23], s[4:5], 0x0
	s_load_b256 s[4:11], s[4:5], 0x40
.LBB1118_9:
	s_or_b32 exec_lo, exec_lo, s13
	v_and_b32_e32 v1, 0xef, v0
	s_waitcnt lgkmcnt(0)
	v_dual_mov_b32 v115, s23 :: v_dual_mov_b32 v114, s22
	s_add_i32 s13, s33, 15
	s_load_b32 s27, s[0:1], 0x38
	v_dual_mov_b32 v112, s20 :: v_dual_add_nc_u32 v1, s12, v1
	s_ashr_i32 s24, s13, 31
	v_lshrrev_b32_e32 v66, 5, v0
	s_lshr_b32 s24, s24, 28
	s_delay_alu instid0(VALU_DEP_2)
	v_ashrrev_i32_e32 v2, 31, v1
	v_or_b32_e32 v3, 16, v1
	s_add_i32 s13, s13, s24
	v_cmp_gt_i32_e32 vcc_lo, s33, v1
	s_ashr_i32 s13, s13, 4
	v_lshrrev_b32_e32 v2, 28, v2
	s_add_i32 s13, s13, -1
	s_load_b32 s24, s[0:1], 0x1c
	v_and_b32_e32 v65, 0xe0, v0
	s_delay_alu instid0(VALU_DEP_2)
	v_dual_mov_b32 v111, s19 :: v_dual_add_nc_u32 v4, v1, v2
	v_mov_b32_e32 v113, s21
	v_mov_b32_e32 v109, s17
	v_mbcnt_lo_u32_b32 v67, -1, 0
	s_waitcnt lgkmcnt(0)
	s_mul_i32 s36, s34, s27
	v_ashrrev_i32_e32 v4, 4, v4
	v_add_nc_u32_e32 v2, v3, v2
	s_ashr_i32 s37, s36, 31
	v_bfe_u32 v75, v0, 4, 1
	s_lshl_b64 s[36:37], s[36:37], 2
	v_cndmask_b32_e32 v1, s13, v4, vcc_lo
	v_ashrrev_i32_e32 v2, 4, v2
	v_cmp_gt_i32_e32 vcc_lo, s33, v3
	s_add_u32 s36, s2, s36
	s_addc_u32 s35, s3, s37
	v_lshlrev_b32_e32 v74, 4, v73
	s_mul_i32 s37, s15, s26
	v_cndmask_b32_e32 v3, s13, v2, vcc_lo
	v_ashrrev_i32_e32 v2, 31, v1
	s_ashr_i32 s38, s37, 31
	s_add_u32 s39, s28, s37
	s_addc_u32 s46, s29, s38
	v_ashrrev_i32_e32 v4, 31, v3
	v_lshlrev_b64 v[1:2], 2, v[1:2]
	s_lshl_b32 s2, s14, 4
	v_xor_b32_e32 v68, 16, v67
	s_ashr_i32 s3, s2, 31
	v_lshlrev_b64 v[3:4], 2, v[3:4]
	s_lshl_b64 s[2:3], s[2:3], 2
	v_add_co_u32 v1, vcc_lo, s36, v1
	v_add_co_ci_u32_e32 v2, vcc_lo, s35, v2, vcc_lo
	s_delay_alu instid0(VALU_DEP_3) | instskip(NEXT) | instid1(VALU_DEP_4)
	v_add_co_u32 v3, vcc_lo, s36, v3
	v_add_co_ci_u32_e32 v4, vcc_lo, s35, v4, vcc_lo
	s_clause 0x1
	global_load_b32 v5, v[1:2], off
	global_load_b32 v7, v[3:4], off
	s_add_u32 s2, s36, s2
	s_addc_u32 s3, s35, s3
	s_or_b32 s26, s12, 32
	v_dual_mov_b32 v110, s18 :: v_dual_lshlrev_b32 v1, 4, v0
	s_ashr_i32 s27, s26, 4
	s_cmp_lt_i32 s26, s33
	v_mov_b32_e32 v108, s16
	s_cselect_b32 s26, s27, s13
	v_and_b32_e32 v1, 0xf0, v1
	s_ashr_i32 s27, s26, 31
	v_cmp_gt_i32_e32 vcc_lo, 32, v68
	s_lshl_b64 s[26:27], s[26:27], 2
	s_delay_alu instid0(SALU_CYCLE_1)
	s_add_u32 s26, s36, s26
	s_addc_u32 s27, s35, s27
	s_or_b32 s28, s12, 64
	v_add_co_u32 v1, s39, s39, v1
	s_ashr_i32 s29, s28, 4
	s_cmp_lt_i32 s28, s33
	v_add_co_ci_u32_e64 v2, null, s46, 0, s39
	s_cselect_b32 s28, s29, s13
	s_delay_alu instid0(SALU_CYCLE_1) | instskip(NEXT) | instid1(SALU_CYCLE_1)
	s_ashr_i32 s29, s28, 31
	s_lshl_b64 s[28:29], s[28:29], 2
	s_delay_alu instid0(SALU_CYCLE_1) | instskip(SKIP_2) | instid1(SALU_CYCLE_1)
	s_add_u32 s40, s36, s28
	s_addc_u32 s41, s35, s29
	s_or_b32 s28, s12, 0x60
	s_ashr_i32 s29, s28, 4
	s_cmp_lt_i32 s28, s33
	s_cselect_b32 s28, s29, s13
	s_delay_alu instid0(SALU_CYCLE_1) | instskip(NEXT) | instid1(SALU_CYCLE_1)
	s_ashr_i32 s29, s28, 31
	s_lshl_b64 s[28:29], s[28:29], 2
	s_delay_alu instid0(SALU_CYCLE_1) | instskip(SKIP_2) | instid1(SALU_CYCLE_1)
	s_add_u32 s42, s36, s28
	s_addc_u32 s43, s35, s29
	s_or_b32 s28, s12, 0x80
	s_ashr_i32 s29, s28, 4
	s_cmp_lt_i32 s28, s33
	;; [unrolled: 10-line block ×3, first 2 shown]
	s_cselect_b32 s28, s29, s13
	s_delay_alu instid0(SALU_CYCLE_1) | instskip(NEXT) | instid1(SALU_CYCLE_1)
	s_ashr_i32 s29, s28, 31
	s_lshl_b64 s[28:29], s[28:29], 2
	s_delay_alu instid0(SALU_CYCLE_1)
	s_add_u32 s46, s36, s28
	s_addc_u32 s47, s35, s29
	s_clause 0x5
	s_load_b32 s29, s[2:3], 0x0
	s_load_b32 s2, s[26:27], 0x0
	s_load_b32 s3, s[40:41], 0x0
	s_load_b32 s26, s[42:43], 0x0
	s_load_b32 s27, s[44:45], 0x0
	s_load_b32 s28, s[46:47], 0x0
	s_or_b32 s39, s12, 0xc0
	s_delay_alu instid0(SALU_CYCLE_1) | instskip(SKIP_2) | instid1(SALU_CYCLE_1)
	s_ashr_i32 s40, s39, 4
	s_cmp_lt_i32 s39, s33
	s_cselect_b32 s40, s40, s13
	s_ashr_i32 s41, s40, 31
	s_delay_alu instid0(SALU_CYCLE_1) | instskip(NEXT) | instid1(SALU_CYCLE_1)
	s_lshl_b64 s[40:41], s[40:41], 2
	s_add_u32 s40, s36, s40
	s_addc_u32 s41, s35, s41
	s_or_b32 s39, s12, 0xe0
	s_delay_alu instid0(SALU_CYCLE_1) | instskip(SKIP_2) | instid1(SALU_CYCLE_1)
	s_ashr_i32 s42, s39, 4
	s_cmp_lt_i32 s39, s33
	s_cselect_b32 s42, s42, s13
	s_ashr_i32 s43, s42, 31
	s_delay_alu instid0(SALU_CYCLE_1)
	s_lshl_b64 s[42:43], s[42:43], 2
	s_waitcnt vmcnt(1)
	v_mad_i64_i32 v[3:4], null, v5, s25, v[1:2]
	s_waitcnt vmcnt(0)
	v_mad_i64_i32 v[5:6], null, v7, s25, v[1:2]
	v_lshl_or_b32 v1, v66, 8, v74
	s_clause 0x7
	global_load_b128 v[76:79], v[3:4], off
	global_load_b128 v[80:83], v[3:4], off offset:256
	global_load_b128 v[84:87], v[5:6], off
	global_load_b128 v[88:91], v[5:6], off offset:256
	global_load_b128 v[92:95], v[3:4], off offset:512
	;; [unrolled: 1-line block ×5, first 2 shown]
	s_load_b32 s13, s[40:41], 0x0
	s_add_u32 s40, s36, s42
	s_addc_u32 s41, s35, s43
	s_add_u32 s30, s30, s37
	s_addc_u32 s31, s31, s38
	v_add_co_u32 v1, s30, s30, v1
	s_delay_alu instid0(VALU_DEP_1) | instskip(SKIP_3) | instid1(VALU_DEP_1)
	v_add_co_ci_u32_e64 v2, null, s31, 0, s30
	s_load_b32 s30, s[40:41], 0x0
	s_mov_b32 s36, 0
	s_waitcnt lgkmcnt(0)
	v_mad_i64_i32 v[3:4], null, s29, s25, v[1:2]
	v_mad_i64_i32 v[9:10], null, s26, s25, v[1:2]
	;; [unrolled: 1-line block ×7, first 2 shown]
	s_clause 0x5
	global_load_b128 v[49:52], v[3:4], off
	global_load_b128 v[53:56], v[3:4], off offset:16
	global_load_b128 v[41:44], v[5:6], off
	global_load_b128 v[45:48], v[5:6], off offset:16
	;; [unrolled: 2-line block ×3, first 2 shown]
	s_mov_b32 s43, s36
	s_mov_b32 s37, s36
	v_mad_i64_i32 v[61:62], null, s30, s25, v[1:2]
	s_clause 0x9
	global_load_b128 v[1:4], v[9:10], off
	global_load_b128 v[5:8], v[9:10], off offset:16
	global_load_b128 v[9:12], v[13:14], off
	global_load_b128 v[13:16], v[13:14], off offset:16
	;; [unrolled: 2-line block ×5, first 2 shown]
	s_mov_b32 s38, s36
	s_mov_b32 s39, s36
	;; [unrolled: 1-line block ×5, first 2 shown]
	v_mov_b32_e32 v123, s11
	v_mov_b32_e32 v131, s43
	v_dual_mov_b32 v121, s9 :: v_dual_mov_b32 v126, s38
	v_dual_mov_b32 v119, s7 :: v_dual_mov_b32 v124, s36
	v_dual_mov_b32 v116, s4 :: v_dual_add_nc_u32 v65, s12, v65
	v_dual_mov_b32 v130, s42 :: v_dual_mov_b32 v129, s41
	v_dual_mov_b32 v128, s40 :: v_dual_mov_b32 v127, s39
	;; [unrolled: 1-line block ×3, first 2 shown]
	v_mov_b32_e32 v120, s8
	v_dual_mov_b32 v118, s6 :: v_dual_mov_b32 v117, s5
	v_or_b32_e32 v65, v65, v75
	s_waitcnt vmcnt(0)
	s_barrier
	buffer_gl0_inv
	v_or_b32_e32 v69, 4, v65
	v_or_b32_e32 v70, 6, v65
	;; [unrolled: 1-line block ×8, first 2 shown]
	v_cmp_gt_i32_e64 s3, s33, v69
	v_cmp_gt_i32_e64 s4, s33, v70
	;; [unrolled: 1-line block ×8, first 2 shown]
	v_wmma_f32_16x16x16_f16 v[132:139], v[76:83], v[108:115], v[124:131]
	v_wmma_f32_16x16x16_f16 v[124:131], v[84:91], v[108:115], v[124:131]
	v_or_b32_e32 v76, 20, v65
	v_or_b32_e32 v77, 22, v65
	s_delay_alu instid0(VALU_DEP_4)
	v_wmma_f32_16x16x16_f16 v[132:139], v[92:99], v[116:123], v[132:139]
	v_or_b32_e32 v78, 24, v65
	v_or_b32_e32 v79, 26, v65
	;; [unrolled: 1-line block ×4, first 2 shown]
	v_mul_f32_e32 v82, s24, v139
	v_wmma_f32_16x16x16_f16 v[124:131], v[100:107], v[116:123], v[124:131]
	v_cndmask_b32_e32 v67, v67, v68, vcc_lo
	v_or_b32_e32 v68, 2, v65
	v_dual_mul_f32 v88, s24, v133 :: v_dual_mul_f32 v89, s24, v132
	v_cmp_gt_i32_e32 vcc_lo, s33, v65
	v_mul_f32_e32 v86, s24, v135
	s_delay_alu instid0(VALU_DEP_4) | instskip(SKIP_3) | instid1(VALU_DEP_4)
	v_cmp_gt_i32_e64 s2, s33, v68
	v_dual_mul_f32 v92, s24, v129 :: v_dual_mul_f32 v87, s24, v134
	v_cndmask_b32_e32 v65, 0xff7fffff, v89, vcc_lo
	v_mul_f32_e32 v84, s24, v137
	v_cndmask_b32_e64 v68, 0xff7fffff, v88, s2
	v_dual_mul_f32 v85, s24, v136 :: v_dual_mul_f32 v96, s24, v125
	v_cndmask_b32_e64 v69, 0xff7fffff, v87, s3
	v_cndmask_b32_e64 v70, 0xff7fffff, v86, s4
	s_delay_alu instid0(VALU_DEP_4) | instskip(SKIP_3) | instid1(VALU_DEP_4)
	v_max3_f32 v65, v65, 0xff7fffff, v68
	v_dual_mul_f32 v83, s24, v138 :: v_dual_mul_f32 v94, s24, v127
	v_cndmask_b32_e64 v68, 0xff7fffff, v85, s5
	v_cndmask_b32_e64 v71, 0xff7fffff, v84, s6
	v_max3_f32 v65, v65, v69, v70
	v_mul_f32_e32 v97, s24, v124
	v_cndmask_b32_e64 v69, 0xff7fffff, v83, s7
	v_cndmask_b32_e64 v70, 0xff7fffff, v82, s8
	v_mul_f32_e32 v95, s24, v126
	v_max3_f32 v65, v65, v68, v71
	v_cndmask_b32_e64 v68, 0xff7fffff, v97, s9
	v_cndmask_b32_e64 v71, 0xff7fffff, v96, s10
	v_cmp_gt_i32_e64 s11, s33, v76
	v_cmp_gt_i32_e64 s12, s33, v77
	v_max3_f32 v65, v65, v69, v70
	v_mul_f32_e32 v93, s24, v128
	v_cmp_gt_i32_e64 s13, s33, v78
	v_cndmask_b32_e64 v69, 0xff7fffff, v95, s11
	v_cndmask_b32_e64 v70, 0xff7fffff, v94, s12
	v_max3_f32 v65, v65, v68, v71
	v_cmp_gt_i32_e64 s16, s33, v79
	v_dual_mul_f32 v90, s24, v131 :: v_dual_mul_f32 v91, s24, v130
	v_cndmask_b32_e64 v68, 0xff7fffff, v93, s13
	s_delay_alu instid0(VALU_DEP_4) | instskip(NEXT) | instid1(VALU_DEP_4)
	v_max3_f32 v65, v65, v69, v70
	v_cndmask_b32_e64 v71, 0xff7fffff, v92, s16
	v_cmp_gt_i32_e64 s17, s33, v80
	v_cmp_gt_i32_e64 s18, s33, v81
	s_delay_alu instid0(VALU_DEP_3) | instskip(NEXT) | instid1(VALU_DEP_3)
	v_max3_f32 v65, v65, v68, v71
	v_cndmask_b32_e64 v69, 0xff7fffff, v91, s17
	s_delay_alu instid0(VALU_DEP_3) | instskip(SKIP_1) | instid1(VALU_DEP_2)
	v_cndmask_b32_e64 v70, 0xff7fffff, v90, s18
	v_lshlrev_b32_e32 v68, 2, v67
	v_max3_f32 v65, v65, v69, v70
	ds_bpermute_b32 v67, v68, v65
	s_waitcnt lgkmcnt(0)
	v_max_f32_e32 v67, v67, v67
	s_delay_alu instid0(VALU_DEP_1) | instskip(NEXT) | instid1(VALU_DEP_1)
	v_max_f32_e32 v65, v65, v67
	v_fma_f32 v71, s24, v135, -v65
	v_fma_f32 v67, s24, v132, -v65
	;; [unrolled: 1-line block ×5, first 2 shown]
	v_mul_f32_e32 v71, 0x3fb8aa3b, v71
	s_delay_alu instid0(VALU_DEP_3) | instskip(NEXT) | instid1(VALU_DEP_3)
	v_dual_mul_f32 v67, 0x3fb8aa3b, v67 :: v_dual_mul_f32 v70, 0x3fb8aa3b, v70
	v_mul_f32_e32 v72, 0x3fb8aa3b, v72
	s_delay_alu instid0(VALU_DEP_3) | instskip(NEXT) | instid1(VALU_DEP_2)
	v_exp_f32_e32 v71, v71
	v_exp_f32_e32 v67, v67
	s_delay_alu instid0(VALU_DEP_2) | instskip(NEXT) | instid1(VALU_DEP_1)
	v_exp_f32_e32 v76, v70
	v_exp_f32_e32 v79, v72
	v_cndmask_b32_e64 v71, 0, v71, s4
	s_delay_alu instid0(TRANS32_DEP_3)
	v_dual_mul_f32 v69, 0x3fb8aa3b, v69 :: v_dual_cndmask_b32 v70, 0, v67
	v_fma_f32 v67, s24, v137, -v65
	s_waitcnt_depctr 0xfff
	v_cndmask_b32_e64 v72, 0, v76, s3
	v_cndmask_b32_e64 v84, 0, v79, s5
	v_exp_f32_e32 v69, v69
	v_add_f32_e32 v77, 0, v70
	v_mul_f32_e32 v67, 0x3fb8aa3b, v67
	s_mov_b32 s3, exec_lo
	s_delay_alu instid0(VALU_DEP_1) | instskip(SKIP_2) | instid1(VALU_DEP_1)
	v_exp_f32_e32 v67, v67
	s_waitcnt_depctr 0xfff
	v_cndmask_b32_e64 v69, 0, v69, s2
	v_add_f32_e32 v76, v77, v69
	v_cndmask_b32_e64 v83, 0, v67, s6
	s_delay_alu instid0(VALU_DEP_2) | instskip(NEXT) | instid1(VALU_DEP_1)
	v_add_f32_e32 v76, v76, v72
	v_add_f32_e32 v76, v76, v71
	s_delay_alu instid0(VALU_DEP_1) | instskip(SKIP_1) | instid1(VALU_DEP_1)
	v_add_f32_e32 v67, v76, v84
	v_fma_f32 v76, s24, v126, -v65
	v_dual_add_f32 v67, v67, v83 :: v_dual_mul_f32 v76, 0x3fb8aa3b, v76
	v_fma_f32 v78, s24, v138, -v65
	v_fma_f32 v77, s24, v139, -v65
	;; [unrolled: 1-line block ×4, first 2 shown]
	v_exp_f32_e32 v76, v76
	s_delay_alu instid0(VALU_DEP_3) | instskip(NEXT) | instid1(VALU_DEP_2)
	v_dual_mul_f32 v78, 0x3fb8aa3b, v78 :: v_dual_mul_f32 v77, 0x3fb8aa3b, v77
	v_dual_mul_f32 v80, 0x3fb8aa3b, v80 :: v_dual_mul_f32 v79, 0x3fb8aa3b, v79
	s_delay_alu instid0(VALU_DEP_2) | instskip(NEXT) | instid1(VALU_DEP_2)
	v_exp_f32_e32 v78, v78
	v_exp_f32_e32 v77, v77
	s_delay_alu instid0(VALU_DEP_1) | instskip(NEXT) | instid1(VALU_DEP_1)
	v_exp_f32_e32 v80, v80
	v_exp_f32_e32 v79, v79
	v_cndmask_b32_e64 v90, 0, v76, s11
	v_cndmask_b32_e64 v86, 0, v78, s7
	v_fma_f32 v78, s24, v127, -v65
	s_delay_alu instid0(TRANS32_DEP_3) | instskip(SKIP_1) | instid1(TRANS32_DEP_2)
	v_cndmask_b32_e64 v85, 0, v77, s8
	v_fma_f32 v77, s24, v128, -v65
	v_cndmask_b32_e64 v88, 0, v80, s9
	v_add_f32_e32 v67, v67, v86
	v_mul_f32_e32 v78, 0x3fb8aa3b, v78
	v_fma_f32 v80, s24, v129, -v65
	v_mul_f32_e32 v77, 0x3fb8aa3b, v77
	v_cndmask_b32_e64 v87, 0, v79, s10
	v_add_f32_e32 v67, v67, v85
	v_exp_f32_e32 v78, v78
	v_fma_f32 v79, s24, v130, -v65
	v_mul_f32_e32 v80, 0x3fb8aa3b, v80
	v_exp_f32_e32 v77, v77
	s_delay_alu instid0(VALU_DEP_2) | instskip(NEXT) | instid1(VALU_DEP_2)
	v_dual_add_f32 v67, v67, v88 :: v_dual_mul_f32 v76, 0x3fb8aa3b, v79
	v_exp_f32_e32 v79, v80
	s_delay_alu instid0(VALU_DEP_1) | instskip(NEXT) | instid1(TRANS32_DEP_3)
	v_add_f32_e32 v67, v67, v87
	v_cndmask_b32_e64 v89, 0, v78, s12
	v_fma_f32 v78, s24, v131, -v65
	v_exp_f32_e32 v76, v76
	s_delay_alu instid0(TRANS32_DEP_3) | instskip(SKIP_1) | instid1(VALU_DEP_3)
	v_cndmask_b32_e64 v92, 0, v77, s13
	v_add_f32_e32 v67, v67, v90
	v_mul_f32_e32 v77, 0x3fb8aa3b, v78
	s_delay_alu instid0(TRANS32_DEP_2) | instskip(NEXT) | instid1(VALU_DEP_3)
	v_cndmask_b32_e64 v91, 0, v79, s16
	v_add_f32_e32 v67, v67, v89
	s_delay_alu instid0(VALU_DEP_3) | instskip(NEXT) | instid1(TRANS32_DEP_2)
	v_exp_f32_e32 v77, v77
	v_cndmask_b32_e64 v94, 0, v76, s17
	v_and_b32_e32 v76, 31, v0
	s_delay_alu instid0(VALU_DEP_3) | instskip(NEXT) | instid1(VALU_DEP_2)
	v_add_f32_e32 v67, v67, v92
	v_cmp_lt_u32_e64 s2, 15, v76
	s_delay_alu instid0(VALU_DEP_2) | instskip(SKIP_3) | instid1(VALU_DEP_1)
	v_add_f32_e32 v67, v67, v91
	s_waitcnt_depctr 0xfff
	v_cndmask_b32_e64 v93, 0, v77, s18
	v_add_f32_e32 v67, v67, v94
	v_add_f32_e32 v67, v67, v93
	ds_bpermute_b32 v68, v68, v67
	v_cmpx_gt_u32_e32 16, v76
	s_cbranch_execz .LBB1118_11
; %bb.10:
	v_mul_u32_u24_e32 v76, 0x44, v66
	s_waitcnt lgkmcnt(0)
	v_add_f32_e32 v67, v67, v68
	s_delay_alu instid0(VALU_DEP_2) | instskip(NEXT) | instid1(VALU_DEP_1)
	v_lshl_add_u32 v76, v73, 2, v76
	v_add_nc_u32_e32 v68, 0x4000, v76
	ds_store_2addr_b32 v68, v65, v67 offset1:136
.LBB1118_11:
	s_or_b32 exec_lo, exec_lo, s3
	v_lshlrev_b32_e32 v65, 2, v73
	s_load_b64 s[36:37], s[0:1], 0x94
	s_waitcnt lgkmcnt(0)
	s_barrier
	buffer_gl0_inv
	v_add_nc_u32_e32 v65, 0x4000, v65
	v_cmp_eq_u32_e32 vcc_lo, 1, v66
	v_cmp_eq_u32_e64 s3, 2, v66
	v_cmp_eq_u32_e64 s5, 3, v66
	v_cmp_eq_u32_e64 s6, 4, v66
	ds_load_2addr_b32 v[76:77], v65 offset1:17
	ds_load_2addr_b32 v[78:79], v65 offset0:34 offset1:51
	ds_load_2addr_b32 v[80:81], v65 offset0:68 offset1:85
	;; [unrolled: 1-line block ×3, first 2 shown]
	v_cmp_eq_u32_e64 s7, 5, v66
	v_cmp_eq_u32_e64 s4, 6, v66
	s_waitcnt lgkmcnt(3)
	v_max3_f32 v67, v76, 0xff7fffff, v77
	s_waitcnt lgkmcnt(2)
	s_delay_alu instid0(VALU_DEP_1) | instskip(SKIP_1) | instid1(VALU_DEP_1)
	v_max3_f32 v67, v67, v78, v79
	s_waitcnt lgkmcnt(1)
	v_max3_f32 v67, v67, v80, v81
	s_waitcnt lgkmcnt(0)
	s_delay_alu instid0(VALU_DEP_1) | instskip(NEXT) | instid1(VALU_DEP_1)
	v_max3_f32 v67, v67, v95, v96
	v_sub_f32_e32 v82, v77, v67
	ds_load_2addr_b32 v[97:98], v65 offset0:136 offset1:153
	v_sub_f32_e32 v68, v76, v67
	ds_load_2addr_b32 v[76:77], v65 offset0:170 offset1:187
	v_sub_f32_e32 v80, v80, v67
	v_mul_f32_e32 v82, 0x3fb8aa3b, v82
	v_mul_f32_e32 v68, 0x3fb8aa3b, v68
	s_delay_alu instid0(VALU_DEP_3) | instskip(NEXT) | instid1(VALU_DEP_2)
	v_mul_f32_e32 v102, 0x3fb8aa3b, v80
	v_exp_f32_e32 v99, v68
	v_sub_f32_e32 v68, v79, v67
	s_delay_alu instid0(VALU_DEP_1) | instskip(NEXT) | instid1(VALU_DEP_1)
	v_dual_sub_f32 v78, v78, v67 :: v_dual_mul_f32 v101, 0x3fb8aa3b, v68
	v_mul_f32_e32 v100, 0x3fb8aa3b, v78
	ds_load_2addr_b32 v[78:79], v65 offset0:204 offset1:221
	s_waitcnt lgkmcnt(2)
	v_fma_f32 v68, v99, v97, 0
	v_sub_f32_e32 v97, v81, v67
	ds_load_2addr_b32 v[80:81], v65 offset0:238 offset1:255
	v_sub_f32_e32 v65, v95, v67
	v_exp_f32_e32 v82, v82
	v_exp_f32_e32 v101, v101
	v_mul_f32_e32 v95, 0x3fb8aa3b, v97
	v_exp_f32_e32 v97, v102
	v_mul_f32_e32 v65, 0x3fb8aa3b, v65
	v_exp_f32_e32 v100, v100
	s_waitcnt lgkmcnt(0)
	v_exp_f32_e32 v95, v95
	s_barrier
	buffer_gl0_inv
	v_fmac_f32_e32 v68, v82, v98
	s_delay_alu instid0(VALU_DEP_1) | instskip(SKIP_2) | instid1(VALU_DEP_2)
	v_fmac_f32_e32 v68, v100, v76
	v_sub_f32_e32 v76, v96, v67
	v_exp_f32_e32 v96, v65
	v_fmac_f32_e32 v68, v101, v77
	s_delay_alu instid0(VALU_DEP_2) | instskip(NEXT) | instid1(VALU_DEP_2)
	v_mul_f32_e32 v76, 0x3fb8aa3b, v76
	v_fmac_f32_e32 v68, v97, v78
	s_delay_alu instid0(VALU_DEP_2) | instskip(SKIP_1) | instid1(VALU_DEP_2)
	v_exp_f32_e32 v98, v76
	v_cndmask_b32_e32 v76, v99, v82, vcc_lo
	v_fmac_f32_e32 v68, v95, v79
	s_delay_alu instid0(TRANS32_DEP_2) | instid1(VALU_DEP_1)
	v_fmac_f32_e32 v68, v96, v80
	v_lshlrev_b32_e32 v80, 6, v73
	s_waitcnt_depctr 0xfff
	v_fmac_f32_e32 v68, v98, v81
	v_lshl_or_b32 v82, v66, 11, v80
	s_delay_alu instid0(VALU_DEP_2) | instskip(NEXT) | instid1(VALU_DEP_1)
	v_add_f32_e32 v81, 0x358637bd, v68
	v_div_scale_f32 v102, null, v81, v81, 1.0
	v_div_scale_f32 v99, vcc_lo, 1.0, v81, 1.0
	s_delay_alu instid0(VALU_DEP_2) | instskip(SKIP_2) | instid1(VALU_DEP_1)
	v_rcp_f32_e32 v103, v102
	s_waitcnt_depctr 0xfff
	v_fma_f32 v65, -v102, v103, 1.0
	v_fmac_f32_e32 v103, v65, v103
	v_cndmask_b32_e64 v65, v76, v100, s3
	v_cmp_eq_u32_e64 s3, 7, v66
	v_lshlrev_b32_e32 v76, 2, v75
	s_delay_alu instid0(VALU_DEP_4) | instskip(NEXT) | instid1(VALU_DEP_4)
	v_mul_f32_e32 v100, v99, v103
	v_cndmask_b32_e64 v77, v65, v101, s5
	v_mov_b32_e32 v65, 0
	s_delay_alu instid0(VALU_DEP_4)
	v_or_b32_e32 v79, 1, v76
	v_cmp_eq_u32_e64 s5, 1, v76
	v_fma_f32 v78, -v102, v100, v99
	v_cndmask_b32_e64 v97, v77, v97, s6
	v_or_b32_e32 v77, 2, v76
	v_cmp_eq_u32_e64 s9, 1, v79
	v_cmp_eq_u32_e64 s6, 2, v76
	v_fmac_f32_e32 v100, v78, v103
	v_cndmask_b32_e64 v66, v97, v95, s7
	v_or_b32_e32 v78, 3, v76
	v_cmp_eq_u32_e64 s10, 1, v77
	v_cmp_eq_u32_e64 s12, 2, v79
	v_fma_f32 v95, -v102, v100, v99
	v_cndmask_b32_e64 v66, v66, v96, s4
	v_cmp_eq_u32_e64 s11, 1, v78
	v_cmp_eq_u32_e64 s17, 2, v78
	v_cmp_eq_u32_e64 s13, 3, v79
	v_div_fmas_f32 v95, v95, v103, v100
	v_cndmask_b32_e64 v66, v66, v98, s3
	v_cmp_eq_u32_e32 vcc_lo, 3, v76
	v_cmp_eq_u32_e64 s16, 2, v77
	v_cmp_eq_u32_e64 s19, 3, v78
	v_div_fixup_f32 v95, v95, v81, 1.0
	v_lshl_or_b32 v81, v75, 4, v82
	v_cmp_eq_u32_e64 s4, 4, v76
	v_cmp_eq_u32_e64 s18, 3, v77
	;; [unrolled: 1-line block ×3, first 2 shown]
	v_mul_f32_e32 v66, v66, v95
	v_cmp_eq_u32_e64 s23, 4, v78
	v_cmp_eq_u32_e64 s7, 5, v76
	;; [unrolled: 1-line block ×4, first 2 shown]
	v_fma_mixlo_f16 v95, v66, v70, 0
	v_fma_mixlo_f16 v96, v66, v72, 0
	;; [unrolled: 1-line block ×8, first 2 shown]
	v_fma_mixhi_f16 v95, v66, v69, 0
	v_fma_mixhi_f16 v96, v66, v71, 0
	;; [unrolled: 1-line block ×8, first 2 shown]
	ds_store_b128 v81, v[95:98]
	ds_store_b128 v81, v[99:102] offset:1024
	s_waitcnt lgkmcnt(0)
	s_barrier
	buffer_gl0_inv
	ds_load_b128 v[69:72], v82
	ds_load_b128 v[83:86], v82 offset:16
	ds_load_b128 v[87:90], v82 offset:1024
	;; [unrolled: 1-line block ×3, first 2 shown]
	v_cmp_eq_u32_e64 s25, 5, v78
	v_cmp_eq_u32_e64 s3, 6, v76
	;; [unrolled: 1-line block ×10, first 2 shown]
	s_waitcnt lgkmcnt(3)
	v_lshrrev_b32_e32 v66, 16, v69
	s_waitcnt lgkmcnt(2)
	v_lshrrev_b32_e32 v98, 16, v83
	s_waitcnt lgkmcnt(1)
	v_lshrrev_b32_e32 v102, 16, v87
	s_waitcnt lgkmcnt(0)
	v_lshrrev_b32_e32 v106, 16, v91
	v_lshrrev_b32_e32 v95, 16, v70
	v_cndmask_b32_e64 v110, v69, v66, s5
	v_cndmask_b32_e64 v111, v83, v98, s5
	;; [unrolled: 1-line block ×7, first 2 shown]
	v_lshrrev_b32_e32 v99, 16, v84
	v_cndmask_b32_e64 v115, v83, v98, s10
	v_cndmask_b32_e64 v83, v87, v102, s5
	;; [unrolled: 1-line block ×15, first 2 shown]
	v_lshrrev_b32_e32 v103, 16, v88
	v_lshrrev_b32_e32 v107, 16, v92
	v_cndmask_b32_e64 v112, v114, v70, s16
	v_cndmask_b32_e64 v113, v115, v84, s16
	v_cndmask_b32_e64 v70, v83, v88, s6
	v_cndmask_b32_e64 v83, v98, v92, s6
	v_cndmask_b32_e64 v84, v116, v88, s12
	v_cndmask_b32_e64 v98, v118, v88, s16
	v_cndmask_b32_e64 v87, v87, v88, s17
	v_cndmask_b32_e32 v88, v102, v95, vcc_lo
	v_cndmask_b32_e32 v102, v106, v99, vcc_lo
	v_cndmask_b32_e64 v106, v110, v95, s13
	v_cndmask_b32_e64 v110, v111, v99, s13
	;; [unrolled: 1-line block ×4, first 2 shown]
	v_lshrrev_b32_e32 v96, 16, v71
	v_lshrrev_b32_e32 v100, 16, v85
	v_cndmask_b32_e64 v111, v112, v95, s18
	v_cndmask_b32_e64 v112, v113, v99, s18
	v_cndmask_b32_e32 v70, v70, v103, vcc_lo
	v_cndmask_b32_e32 v83, v83, v107, vcc_lo
	v_cndmask_b32_e64 v84, v84, v103, s13
	v_cndmask_b32_e64 v88, v88, v71, s4
	;; [unrolled: 1-line block ×7, first 2 shown]
	v_lshrrev_b32_e32 v104, 16, v89
	v_lshrrev_b32_e32 v108, 16, v93
	v_cndmask_b32_e64 v106, v111, v71, s22
	v_cndmask_b32_e64 v110, v112, v85, s22
	;; [unrolled: 1-line block ×11, first 2 shown]
	v_lshrrev_b32_e32 v97, 16, v72
	v_lshrrev_b32_e32 v101, 16, v86
	v_cndmask_b32_e64 v99, v106, v96, s24
	v_cndmask_b32_e64 v102, v110, v100, s24
	;; [unrolled: 1-line block ×11, first 2 shown]
	v_lshrrev_b32_e32 v105, 16, v90
	v_cndmask_b32_e64 v96, v99, v72, s27
	v_cndmask_b32_e64 v99, v102, v86, s27
	v_cndmask_b32_e64 v70, v70, v90, s3
	v_cndmask_b32_e64 v86, v71, v94, s3
	v_cndmask_b32_e64 v71, v83, v90, s26
	v_cndmask_b32_e64 v83, v84, v97, s8
	v_cndmask_b32_e64 v84, v85, v101, s8
	v_cndmask_b32_e64 v85, v88, v97, s31
	v_cndmask_b32_e64 v66, v66, v97, s30
	v_cndmask_b32_e64 v69, v69, v101, s30
	v_cndmask_b32_e64 v95, v95, v101, s31
	v_cndmask_b32_e64 v88, v96, v97, s29
	v_cndmask_b32_e64 v96, v99, v101, s29
	v_cndmask_b32_e64 v97, v70, v105, s8
	v_perm_b32 v72, v69, v66, 0x5040100
	v_perm_b32 v70, v95, v85, 0x5040100
	v_cndmask_b32_e64 v66, v91, v92, s17
	v_cndmask_b32_e64 v69, v119, v92, s16
	;; [unrolled: 1-line block ×4, first 2 shown]
	v_perm_b32 v71, v96, v88, 0x5040100
	v_cndmask_b32_e64 v88, v98, v103, s18
	v_cndmask_b32_e64 v87, v87, v103, s19
	;; [unrolled: 1-line block ×15, first 2 shown]
	v_lshrrev_b32_e32 v109, 16, v94
	v_cndmask_b32_e64 v88, v88, v90, s27
	v_cndmask_b32_e64 v87, v87, v90, s28
	;; [unrolled: 1-line block ×11, first 2 shown]
	v_perm_b32 v69, v84, v83, 0x5040100
	v_perm_b32 v86, v66, v87, 0x5040100
	;; [unrolled: 1-line block ×5, first 2 shown]
	s_mov_b32 s3, exec_lo
	ds_store_b128 v81, v[69:72]
	ds_store_b128 v81, v[83:86] offset:1024
	v_cmpx_eq_u32_e32 0, v0
	s_cbranch_execz .LBB1118_13
; %bb.12:
	s_load_b128 s[4:7], s[0:1], 0x58
	s_mul_i32 s8, s37, s34
	s_delay_alu instid0(SALU_CYCLE_1) | instskip(NEXT) | instid1(SALU_CYCLE_1)
	s_add_i32 s8, s8, s15
	s_mul_i32 s8, s8, s36
	s_delay_alu instid0(SALU_CYCLE_1) | instskip(NEXT) | instid1(SALU_CYCLE_1)
	s_add_i32 s8, s8, s14
	s_ashr_i32 s9, s8, 31
	s_delay_alu instid0(SALU_CYCLE_1)
	s_lshl_b64 s[8:9], s[8:9], 2
	s_waitcnt lgkmcnt(0)
	s_add_u32 s6, s6, s8
	s_addc_u32 s7, s7, s9
	s_add_u32 s4, s4, s8
	s_addc_u32 s5, s5, s9
	s_clause 0x1
	global_store_b32 v65, v67, s[6:7]
	global_store_b32 v65, v68, s[4:5]
.LBB1118_13:
	s_or_b32 exec_lo, exec_lo, s3
	s_waitcnt lgkmcnt(0)
	s_waitcnt_vscnt null, 0x0
	s_barrier
	buffer_gl0_inv
	ds_load_b128 v[83:86], v80
	ds_load_b128 v[87:90], v80 offset:16
	ds_load_b128 v[95:98], v80 offset:2064
	ds_load_b128 v[91:94], v80 offset:2048
	ds_load_b128 v[103:106], v80 offset:4112
	ds_load_b128 v[99:102], v80 offset:4096
	v_mov_b32_e32 v66, v65
	v_mov_b32_e32 v67, v65
	;; [unrolled: 1-line block ×7, first 2 shown]
	ds_load_b128 v[111:114], v80 offset:6160
	ds_load_b128 v[107:110], v80 offset:6144
	ds_load_b128 v[119:122], v80 offset:8208
	ds_load_b128 v[115:118], v80 offset:8192
	v_cmp_eq_u32_e32 vcc_lo, 1, v76
	v_cmp_eq_u32_e64 s3, 1, v79
	v_cmp_eq_u32_e64 s4, 1, v78
	;; [unrolled: 1-line block ×5, first 2 shown]
	s_waitcnt lgkmcnt(8)
	v_wmma_f32_16x16x16_f16 v[65:72], v[49:56], v[83:90], v[65:72]
	ds_load_b128 v[53:56], v80 offset:10256
	ds_load_b128 v[49:52], v80 offset:10240
	s_waitcnt lgkmcnt(8)
	v_wmma_f32_16x16x16_f16 v[65:72], v[41:48], v[91:98], v[65:72]
	ds_load_b128 v[45:48], v80 offset:12304
	ds_load_b128 v[41:44], v80 offset:12288
	;; [unrolled: 4-line block ×3, first 2 shown]
	s_waitcnt lgkmcnt(0)
	s_barrier
	buffer_gl0_inv
	v_wmma_f32_16x16x16_f16 v[65:72], v[1:8], v[107:114], v[65:72]
	s_delay_alu instid0(VALU_DEP_1) | instskip(NEXT) | instid1(VALU_DEP_1)
	v_wmma_f32_16x16x16_f16 v[65:72], v[9:16], v[115:122], v[65:72]
	v_wmma_f32_16x16x16_f16 v[65:72], v[17:24], v[49:56], v[65:72]
	s_delay_alu instid0(VALU_DEP_1) | instskip(NEXT) | instid1(VALU_DEP_1)
	v_wmma_f32_16x16x16_f16 v[65:72], v[25:32], v[41:48], v[65:72]
	v_wmma_f32_16x16x16_f16 v[65:72], v[57:64], v[33:40], v[65:72]
	s_delay_alu instid0(VALU_DEP_1) | instskip(NEXT) | instid1(VALU_DEP_2)
	v_cvt_f16_f32_e32 v1, v65
	v_cvt_f16_f32_e32 v2, v66
	s_delay_alu instid0(VALU_DEP_3) | instskip(NEXT) | instid1(VALU_DEP_4)
	v_cvt_f16_f32_e32 v3, v67
	v_cvt_f16_f32_e32 v4, v68
	;; [unrolled: 1-line block ×6, first 2 shown]
	v_pack_b32_f16 v1, v1, v2
	v_pack_b32_f16 v2, v3, v4
	;; [unrolled: 1-line block ×3, first 2 shown]
	s_delay_alu instid0(VALU_DEP_4)
	v_pack_b32_f16 v4, v7, v8
	ds_store_b128 v81, v[1:4]
	s_waitcnt lgkmcnt(0)
	s_barrier
	buffer_gl0_inv
	ds_load_b128 v[1:4], v82
	ds_load_b128 v[5:8], v82 offset:16
	s_waitcnt lgkmcnt(1)
	v_lshrrev_b32_e32 v9, 16, v1
	s_waitcnt lgkmcnt(0)
	v_lshrrev_b32_e32 v13, 16, v5
	v_lshrrev_b32_e32 v16, 16, v8
	;; [unrolled: 1-line block ×4, first 2 shown]
	v_cndmask_b32_e32 v17, v1, v9, vcc_lo
	v_cndmask_b32_e32 v18, v5, v13, vcc_lo
	v_cmp_eq_u32_e32 vcc_lo, 1, v77
	v_cndmask_b32_e64 v19, v1, v9, s3
	v_cndmask_b32_e64 v20, v5, v13, s3
	v_cmp_eq_u32_e64 s3, 2, v77
	v_lshrrev_b32_e32 v11, 16, v3
	v_cndmask_b32_e32 v21, v1, v9, vcc_lo
	v_cndmask_b32_e32 v22, v5, v13, vcc_lo
	v_cndmask_b32_e64 v1, v1, v9, s4
	v_cmp_eq_u32_e32 vcc_lo, 2, v78
	v_cndmask_b32_e64 v5, v5, v13, s4
	v_cmp_eq_u32_e64 s4, 2, v79
	v_cndmask_b32_e64 v9, v17, v2, s5
	v_cndmask_b32_e64 v13, v18, v6, s5
	v_cmp_eq_u32_e64 s5, 3, v79
	v_cndmask_b32_e32 v1, v1, v2, vcc_lo
	v_cndmask_b32_e64 v17, v19, v2, s4
	v_cndmask_b32_e64 v18, v20, v6, s4
	;; [unrolled: 1-line block ×4, first 2 shown]
	v_cndmask_b32_e32 v2, v5, v6, vcc_lo
	v_cmp_eq_u32_e32 vcc_lo, 3, v77
	v_cmp_eq_u32_e64 s4, 3, v78
	v_cndmask_b32_e64 v5, v9, v10, s6
	v_cndmask_b32_e64 v6, v13, v14, s6
	;; [unrolled: 1-line block ×4, first 2 shown]
	v_cndmask_b32_e32 v17, v19, v10, vcc_lo
	v_cmp_eq_u32_e64 s3, 4, v77
	v_cndmask_b32_e32 v18, v20, v14, vcc_lo
	v_cndmask_b32_e64 v1, v1, v10, s4
	v_cmp_eq_u32_e32 vcc_lo, 4, v78
	v_cmp_eq_u32_e64 s5, 4, v76
	v_cndmask_b32_e64 v2, v2, v14, s4
	v_cmp_eq_u32_e64 s4, 4, v79
	v_lshrrev_b32_e32 v15, 16, v7
	v_cmp_eq_u32_e64 s6, 5, v76
	v_cndmask_b32_e64 v5, v5, v3, s5
	v_cndmask_b32_e64 v6, v6, v7, s5
	;; [unrolled: 1-line block ×6, first 2 shown]
	v_cmp_eq_u32_e64 s4, 5, v77
	v_cndmask_b32_e32 v1, v1, v3, vcc_lo
	v_cndmask_b32_e32 v2, v2, v7, vcc_lo
	v_cmp_eq_u32_e32 vcc_lo, 5, v78
	v_cmp_eq_u32_e64 s5, 5, v79
	v_cndmask_b32_e64 v5, v5, v11, s6
	v_cmp_eq_u32_e64 s3, 6, v76
	v_cndmask_b32_e64 v6, v6, v15, s6
	v_cndmask_b32_e64 v13, v13, v11, s4
	;; [unrolled: 1-line block ×3, first 2 shown]
	v_cndmask_b32_e32 v1, v1, v11, vcc_lo
	v_cmp_eq_u32_e64 s4, 6, v78
	v_cndmask_b32_e32 v2, v2, v15, vcc_lo
	v_cndmask_b32_e64 v9, v9, v11, s5
	v_cndmask_b32_e64 v10, v10, v15, s5
	v_cmp_eq_u32_e64 s5, 6, v79
	v_lshrrev_b32_e32 v12, 16, v4
	v_cndmask_b32_e64 v5, v5, v4, s3
	v_cndmask_b32_e64 v6, v6, v8, s3
	v_cmp_eq_u32_e64 s3, 7, v76
	v_cndmask_b32_e64 v1, v1, v4, s4
	v_cmp_eq_u32_e32 vcc_lo, 7, v78
	v_cndmask_b32_e64 v2, v2, v8, s4
	v_cndmask_b32_e64 v9, v9, v4, s5
	v_cmp_eq_u32_e64 s6, 7, v79
	v_cndmask_b32_e64 v7, v13, v4, s7
	v_cndmask_b32_e64 v3, v3, v8, s7
	v_cndmask_b32_e32 v2, v2, v16, vcc_lo
	v_cmp_eq_u32_e64 s4, 7, v77
	v_cndmask_b32_e64 v4, v10, v8, s5
	v_cndmask_b32_e64 v5, v5, v12, s3
	v_cndmask_b32_e32 v1, v1, v12, vcc_lo
	v_cndmask_b32_e64 v6, v6, v16, s3
	v_cmp_lt_u32_e32 vcc_lo, 31, v0
	v_cmp_lt_u32_e64 s3, 7, v73
	v_cndmask_b32_e64 v9, v9, v12, s6
	v_cndmask_b32_e64 v7, v7, v12, s4
	;; [unrolled: 1-line block ×4, first 2 shown]
	s_or_b32 s3, vcc_lo, s3
	v_perm_b32 v4, v2, v1, 0x5040100
	v_perm_b32 v1, v6, v5, 0x5040100
	;; [unrolled: 1-line block ×4, first 2 shown]
	s_or_b32 s2, s2, s3
	s_delay_alu instid0(SALU_CYCLE_1)
	s_xor_b32 s2, s2, -1
	ds_store_b128 v81, v[1:4]
	s_waitcnt lgkmcnt(0)
	s_barrier
	buffer_gl0_inv
	s_and_saveexec_b32 s3, s2
	s_cbranch_execz .LBB1118_2
; %bb.14:
	s_load_b64 s[0:1], s[0:1], 0x68
	v_lshlrev_b32_e32 v1, 10, v0
	v_and_b32_e32 v0, 1, v0
	v_lshlrev_b32_e32 v2, 6, v75
	s_lshl_b32 s4, s36, 6
	s_delay_alu instid0(VALU_DEP_3) | instskip(NEXT) | instid1(VALU_DEP_3)
	v_and_b32_e32 v1, 0x3800, v1
	v_lshlrev_b32_e32 v0, 4, v0
	s_mul_i32 s2, s4, s34
	s_delay_alu instid0(SALU_CYCLE_1) | instskip(NEXT) | instid1(VALU_DEP_1)
	s_mul_i32 s2, s2, s37
	v_or3_b32 v0, v1, v2, v0
	s_ashr_i32 s3, s2, 31
	s_delay_alu instid0(SALU_CYCLE_1)
	s_lshl_b64 s[2:3], s[2:3], 1
	ds_load_b128 v[0:3], v0
	s_waitcnt lgkmcnt(0)
	s_add_u32 s5, s0, s2
	s_addc_u32 s3, s1, s3
	s_lshl_b32 s0, s14, 6
	s_mul_i32 s2, s4, s15
	s_ashr_i32 s1, s0, 31
	s_delay_alu instid0(SALU_CYCLE_1) | instskip(NEXT) | instid1(SALU_CYCLE_1)
	s_lshl_b64 s[0:1], s[0:1], 1
	s_add_u32 s4, s5, s0
	s_addc_u32 s5, s3, s1
	s_ashr_i32 s3, s2, 31
	s_delay_alu instid0(SALU_CYCLE_1) | instskip(NEXT) | instid1(SALU_CYCLE_1)
	s_lshl_b64 s[0:1], s[2:3], 1
	s_add_u32 s0, s4, s0
	s_addc_u32 s1, s5, s1
	global_store_b128 v74, v[0:3], s[0:1]
	s_nop 0
	s_sendmsg sendmsg(MSG_DEALLOC_VGPRS)
	s_endpgm
	.section	.rodata,"a",@progbits
	.p2align	6, 0x0
	.amdhsa_kernel _Z39paged_attention_ll4mi_QKV_mfma16_kernelIDF16_hLN4vllm18Fp8KVCacheDataTypeE1EhLi16ELi64ELi256ELb0ELi1EL8MFMAType0EEvPKT_PKT0_S8_ifPKiSA_SA_iPKfiiiPfSD_PS3_PT2_iSC_SC_
		.amdhsa_group_segment_fixed_size 17472
		.amdhsa_private_segment_fixed_size 0
		.amdhsa_kernarg_size 400
		.amdhsa_user_sgpr_count 13
		.amdhsa_user_sgpr_dispatch_ptr 0
		.amdhsa_user_sgpr_queue_ptr 0
		.amdhsa_user_sgpr_kernarg_segment_ptr 1
		.amdhsa_user_sgpr_dispatch_id 0
		.amdhsa_user_sgpr_private_segment_size 0
		.amdhsa_wavefront_size32 1
		.amdhsa_uses_dynamic_stack 0
		.amdhsa_enable_private_segment 0
		.amdhsa_system_sgpr_workgroup_id_x 1
		.amdhsa_system_sgpr_workgroup_id_y 1
		.amdhsa_system_sgpr_workgroup_id_z 1
		.amdhsa_system_sgpr_workgroup_info 0
		.amdhsa_system_vgpr_workitem_id 0
		.amdhsa_next_free_vgpr 144
		.amdhsa_next_free_sgpr 48
		.amdhsa_reserve_vcc 1
		.amdhsa_float_round_mode_32 0
		.amdhsa_float_round_mode_16_64 0
		.amdhsa_float_denorm_mode_32 3
		.amdhsa_float_denorm_mode_16_64 3
		.amdhsa_dx10_clamp 1
		.amdhsa_ieee_mode 1
		.amdhsa_fp16_overflow 0
		.amdhsa_workgroup_processor_mode 1
		.amdhsa_memory_ordered 1
		.amdhsa_forward_progress 0
		.amdhsa_shared_vgpr_count 0
		.amdhsa_exception_fp_ieee_invalid_op 0
		.amdhsa_exception_fp_denorm_src 0
		.amdhsa_exception_fp_ieee_div_zero 0
		.amdhsa_exception_fp_ieee_overflow 0
		.amdhsa_exception_fp_ieee_underflow 0
		.amdhsa_exception_fp_ieee_inexact 0
		.amdhsa_exception_int_div_zero 0
	.end_amdhsa_kernel
	.section	.text._Z39paged_attention_ll4mi_QKV_mfma16_kernelIDF16_hLN4vllm18Fp8KVCacheDataTypeE1EhLi16ELi64ELi256ELb0ELi1EL8MFMAType0EEvPKT_PKT0_S8_ifPKiSA_SA_iPKfiiiPfSD_PS3_PT2_iSC_SC_,"axG",@progbits,_Z39paged_attention_ll4mi_QKV_mfma16_kernelIDF16_hLN4vllm18Fp8KVCacheDataTypeE1EhLi16ELi64ELi256ELb0ELi1EL8MFMAType0EEvPKT_PKT0_S8_ifPKiSA_SA_iPKfiiiPfSD_PS3_PT2_iSC_SC_,comdat
.Lfunc_end1118:
	.size	_Z39paged_attention_ll4mi_QKV_mfma16_kernelIDF16_hLN4vllm18Fp8KVCacheDataTypeE1EhLi16ELi64ELi256ELb0ELi1EL8MFMAType0EEvPKT_PKT0_S8_ifPKiSA_SA_iPKfiiiPfSD_PS3_PT2_iSC_SC_, .Lfunc_end1118-_Z39paged_attention_ll4mi_QKV_mfma16_kernelIDF16_hLN4vllm18Fp8KVCacheDataTypeE1EhLi16ELi64ELi256ELb0ELi1EL8MFMAType0EEvPKT_PKT0_S8_ifPKiSA_SA_iPKfiiiPfSD_PS3_PT2_iSC_SC_
                                        ; -- End function
	.section	.AMDGPU.csdata,"",@progbits
; Kernel info:
; codeLenInByte = 6204
; NumSgprs: 50
; NumVgprs: 144
; ScratchSize: 0
; MemoryBound: 1
; FloatMode: 240
; IeeeMode: 1
; LDSByteSize: 17472 bytes/workgroup (compile time only)
; SGPRBlocks: 6
; VGPRBlocks: 17
; NumSGPRsForWavesPerEU: 50
; NumVGPRsForWavesPerEU: 144
; Occupancy: 10
; WaveLimiterHint : 1
; COMPUTE_PGM_RSRC2:SCRATCH_EN: 0
; COMPUTE_PGM_RSRC2:USER_SGPR: 13
; COMPUTE_PGM_RSRC2:TRAP_HANDLER: 0
; COMPUTE_PGM_RSRC2:TGID_X_EN: 1
; COMPUTE_PGM_RSRC2:TGID_Y_EN: 1
; COMPUTE_PGM_RSRC2:TGID_Z_EN: 1
; COMPUTE_PGM_RSRC2:TIDIG_COMP_CNT: 0
	.section	.text._Z39paged_attention_ll4mi_QKV_mfma16_kernelIDF16_hLN4vllm18Fp8KVCacheDataTypeE1EhLi16ELi64ELi256ELb0ELi2EL8MFMAType0EEvPKT_PKT0_S8_ifPKiSA_SA_iPKfiiiPfSD_PS3_PT2_iSC_SC_,"axG",@progbits,_Z39paged_attention_ll4mi_QKV_mfma16_kernelIDF16_hLN4vllm18Fp8KVCacheDataTypeE1EhLi16ELi64ELi256ELb0ELi2EL8MFMAType0EEvPKT_PKT0_S8_ifPKiSA_SA_iPKfiiiPfSD_PS3_PT2_iSC_SC_,comdat
	.protected	_Z39paged_attention_ll4mi_QKV_mfma16_kernelIDF16_hLN4vllm18Fp8KVCacheDataTypeE1EhLi16ELi64ELi256ELb0ELi2EL8MFMAType0EEvPKT_PKT0_S8_ifPKiSA_SA_iPKfiiiPfSD_PS3_PT2_iSC_SC_ ; -- Begin function _Z39paged_attention_ll4mi_QKV_mfma16_kernelIDF16_hLN4vllm18Fp8KVCacheDataTypeE1EhLi16ELi64ELi256ELb0ELi2EL8MFMAType0EEvPKT_PKT0_S8_ifPKiSA_SA_iPKfiiiPfSD_PS3_PT2_iSC_SC_
	.globl	_Z39paged_attention_ll4mi_QKV_mfma16_kernelIDF16_hLN4vllm18Fp8KVCacheDataTypeE1EhLi16ELi64ELi256ELb0ELi2EL8MFMAType0EEvPKT_PKT0_S8_ifPKiSA_SA_iPKfiiiPfSD_PS3_PT2_iSC_SC_
	.p2align	8
	.type	_Z39paged_attention_ll4mi_QKV_mfma16_kernelIDF16_hLN4vllm18Fp8KVCacheDataTypeE1EhLi16ELi64ELi256ELb0ELi2EL8MFMAType0EEvPKT_PKT0_S8_ifPKiSA_SA_iPKfiiiPfSD_PS3_PT2_iSC_SC_,@function
_Z39paged_attention_ll4mi_QKV_mfma16_kernelIDF16_hLN4vllm18Fp8KVCacheDataTypeE1EhLi16ELi64ELi256ELb0ELi2EL8MFMAType0EEvPKT_PKT0_S8_ifPKiSA_SA_iPKfiiiPfSD_PS3_PT2_iSC_SC_: ; @_Z39paged_attention_ll4mi_QKV_mfma16_kernelIDF16_hLN4vllm18Fp8KVCacheDataTypeE1EhLi16ELi64ELi256ELb0ELi2EL8MFMAType0EEvPKT_PKT0_S8_ifPKiSA_SA_iPKfiiiPfSD_PS3_PT2_iSC_SC_
; %bb.0:
	s_load_b64 s[2:3], s[0:1], 0x30
	s_mov_b32 s30, s13
	s_waitcnt lgkmcnt(0)
	s_cmp_lg_u64 s[2:3], 0
	s_cselect_b32 s6, -1, 0
	s_ashr_i32 s31, s13, 31
	s_cmp_eq_u64 s[2:3], 0
	s_cbranch_scc1 .LBB1119_3
; %bb.1:
	s_lshl_b64 s[4:5], s[30:31], 2
	s_delay_alu instid0(SALU_CYCLE_1) | instskip(SKIP_4) | instid1(SALU_CYCLE_1)
	s_add_u32 s4, s2, s4
	s_addc_u32 s5, s3, s5
	s_load_b64 s[4:5], s[4:5], 0x0
	s_waitcnt lgkmcnt(0)
	s_sub_i32 s4, s5, s4
	s_cmp_eq_u32 s4, 1
	s_cselect_b32 s4, -1, 0
	s_delay_alu instid0(SALU_CYCLE_1)
	s_and_not1_b32 vcc_lo, exec_lo, s4
	s_cbranch_vccz .LBB1119_4
.LBB1119_2:
	s_endpgm
.LBB1119_3:
.LBB1119_4:
	s_load_b64 s[8:9], s[0:1], 0x28
	s_lshl_b64 s[4:5], s[30:31], 2
	s_waitcnt lgkmcnt(0)
	s_add_u32 s8, s8, s4
	s_addc_u32 s9, s9, s5
	s_lshl_b32 s16, s14, 8
	s_load_b32 s17, s[8:9], 0x0
	s_waitcnt lgkmcnt(0)
	s_cmp_ge_i32 s16, s17
	s_cbranch_scc1 .LBB1119_2
; %bb.5:
	s_clause 0x1
	s_load_b128 s[8:11], s[0:1], 0x8
	s_load_b64 s[12:13], s[0:1], 0x20
	s_and_not1_b32 vcc_lo, exec_lo, s6
	s_cbranch_vccnz .LBB1119_7
; %bb.6:
	s_add_u32 s2, s2, s4
	s_addc_u32 s3, s3, s5
	s_load_b32 s3, s[2:3], 0x0
	s_branch .LBB1119_8
.LBB1119_7:
	s_mov_b32 s3, s30
.LBB1119_8:
	s_load_b128 s[4:7], s[0:1], 0x48
	v_and_b32_e32 v70, 15, v0
	v_bfe_u32 v69, v0, 4, 1
	s_lshl_b32 s33, s15, 1
	v_cmp_gt_u32_e32 vcc_lo, 32, v0
	v_and_b32_e32 v71, 31, v0
	v_lshlrev_b32_e32 v1, 3, v70
	v_cmp_gt_u32_e64 s2, 8, v70
	v_and_b32_e32 v68, 1, v0
	v_or_b32_e32 v67, s33, v69
	v_lshlrev_b32_e32 v66, 6, v69
	v_lshlrev_b32_e32 v65, 1, v1
	s_and_b32 s31, vcc_lo, s2
	s_delay_alu instid0(SALU_CYCLE_1)
	s_and_saveexec_b32 s2, s31
	s_cbranch_execz .LBB1119_10
; %bb.9:
	s_load_b64 s[18:19], s[0:1], 0x0
	v_lshlrev_b32_e32 v1, 6, v67
	s_waitcnt lgkmcnt(0)
	s_mul_hi_i32 s21, s3, s4
	s_mul_i32 s20, s3, s4
	v_lshlrev_b32_e32 v5, 10, v70
	s_lshl_b64 s[20:21], s[20:21], 1
	v_ashrrev_i32_e32 v2, 31, v1
	v_lshlrev_b32_e32 v6, 10, v68
	s_delay_alu instid0(VALU_DEP_3) | instskip(NEXT) | instid1(VALU_DEP_3)
	v_and_b32_e32 v5, 0x3800, v5
	v_lshlrev_b64 v[1:2], 1, v[1:2]
	s_delay_alu instid0(VALU_DEP_2) | instskip(SKIP_2) | instid1(VALU_DEP_2)
	v_or3_b32 v5, v5, v6, v66
	s_add_u32 s3, s18, s20
	s_addc_u32 s4, s19, s21
	v_add_co_u32 v1, vcc_lo, s3, v1
	s_delay_alu instid0(VALU_DEP_3) | instskip(NEXT) | instid1(VALU_DEP_2)
	v_add_co_ci_u32_e32 v2, vcc_lo, s4, v2, vcc_lo
	v_add_co_u32 v1, vcc_lo, v1, v65
	s_delay_alu instid0(VALU_DEP_2)
	v_add_co_ci_u32_e32 v2, vcc_lo, 0, v2, vcc_lo
	global_load_b128 v[1:4], v[1:2], off
	s_waitcnt vmcnt(0)
	ds_store_b128 v5, v[1:4]
.LBB1119_10:
	s_or_b32 exec_lo, exec_lo, s2
	v_and_b32_e32 v1, 0xef, v0
	s_add_i32 s2, s17, 15
	s_waitcnt lgkmcnt(0)
	s_clause 0x1
	s_load_b32 s3, s[0:1], 0x38
	s_load_b32 s34, s[0:1], 0x98
	s_ashr_i32 s4, s2, 31
	v_add_nc_u32_e32 v1, s16, v1
	s_lshr_b32 s4, s4, 28
	s_load_b32 s18, s[0:1], 0x1c
	s_add_i32 s2, s2, s4
	s_waitcnt lgkmcnt(0)
	v_ashrrev_i32_e32 v2, 31, v1
	v_or_b32_e32 v3, 16, v1
	s_ashr_i32 s2, s2, 4
	v_cmp_gt_i32_e32 vcc_lo, s17, v1
	s_add_i32 s2, s2, -1
	v_lshrrev_b32_e32 v2, 28, v2
	s_barrier
	buffer_gl0_inv
	s_mul_i32 s15, s15, s6
	v_lshrrev_b32_e32 v72, 5, v0
	v_add_nc_u32_e32 v4, v1, v2
	v_mbcnt_lo_u32_b32 v129, -1, 0
	s_mul_i32 s20, s30, s3
	v_and_b32_e32 v105, 0xe0, v0
	s_ashr_i32 s21, s20, 31
	v_ashrrev_i32_e32 v4, 4, v4
	v_add_nc_u32_e32 v2, v3, v2
	s_lshl_b64 s[20:21], s[20:21], 2
	v_xor_b32_e32 v130, 16, v129
	s_add_u32 s19, s12, s20
	v_cndmask_b32_e32 v1, s2, v4, vcc_lo
	v_ashrrev_i32_e32 v2, 4, v2
	v_cmp_gt_i32_e32 vcc_lo, s17, v3
	s_addc_u32 s12, s13, s21
	s_ashr_i32 s13, s15, 31
	s_add_u32 s3, s8, s15
	s_addc_u32 s4, s9, s13
	v_cndmask_b32_e32 v3, s2, v2, vcc_lo
	v_ashrrev_i32_e32 v2, 31, v1
	s_lshl_b32 s6, s14, 4
	v_add_nc_u32_e32 v121, s16, v105
	s_ashr_i32 s7, s6, 31
	v_ashrrev_i32_e32 v4, 31, v3
	v_lshlrev_b64 v[1:2], 2, v[1:2]
	s_lshl_b64 s[6:7], s[6:7], 2
	v_or_b32_e32 v137, v121, v69
	s_add_u32 s6, s19, s6
	v_lshlrev_b64 v[3:4], 2, v[3:4]
	s_addc_u32 s7, s12, s7
	v_add_co_u32 v1, vcc_lo, s19, v1
	v_add_co_ci_u32_e32 v2, vcc_lo, s12, v2, vcc_lo
	s_delay_alu instid0(VALU_DEP_3) | instskip(NEXT) | instid1(VALU_DEP_4)
	v_add_co_u32 v3, vcc_lo, s19, v3
	v_add_co_ci_u32_e32 v4, vcc_lo, s12, v4, vcc_lo
	s_clause 0x1
	global_load_b32 v5, v[1:2], off
	global_load_b32 v7, v[3:4], off
	s_or_b32 s8, s16, 32
	v_lshlrev_b32_e32 v1, 4, v0
	s_ashr_i32 s9, s8, 4
	s_cmp_lt_i32 s8, s17
	v_cmp_gt_i32_e32 vcc_lo, 32, v130
	s_cselect_b32 s8, s9, s2
	v_and_b32_e32 v1, 0xf0, v1
	s_ashr_i32 s9, s8, 31
	v_dual_cndmask_b32 v138, v129, v130 :: v_dual_lshlrev_b32 v117, 6, v68
	s_lshl_b64 s[8:9], s[8:9], 2
	s_delay_alu instid0(VALU_DEP_2)
	v_add_co_u32 v1, s3, s3, v1
	s_add_u32 s20, s19, s8
	s_addc_u32 s21, s12, s9
	s_or_b32 s8, s16, 64
	v_add_co_ci_u32_e64 v2, null, s4, 0, s3
	s_ashr_i32 s9, s8, 4
	s_cmp_lt_i32 s8, s17
	v_or_b32_e32 v139, 2, v137
	s_cselect_b32 s8, s9, s2
	v_or_b32_e32 v140, 4, v137
	s_ashr_i32 s9, s8, 31
	v_or_b32_e32 v141, 6, v137
	s_lshl_b64 s[8:9], s[8:9], 2
	v_cmp_gt_i32_e32 vcc_lo, s17, v137
	s_add_u32 s22, s19, s8
	s_addc_u32 s23, s12, s9
	s_or_b32 s8, s16, 0x60
	v_or_b32_e32 v142, 8, v137
	s_ashr_i32 s9, s8, 4
	s_cmp_lt_i32 s8, s17
	v_or_b32_e32 v143, 10, v137
	s_cselect_b32 s8, s9, s2
	v_or_b32_e32 v144, 12, v137
	s_ashr_i32 s9, s8, 31
	v_or_b32_e32 v145, 14, v137
	s_lshl_b64 s[8:9], s[8:9], 2
	v_or_b32_e32 v146, 16, v137
	s_add_u32 s24, s19, s8
	s_addc_u32 s25, s12, s9
	s_or_b32 s8, s16, 0x80
	v_or_b32_e32 v147, 18, v137
	s_ashr_i32 s9, s8, 4
	s_cmp_lt_i32 s8, s17
	s_cselect_b32 s8, s9, s2
	s_delay_alu instid0(SALU_CYCLE_1) | instskip(NEXT) | instid1(SALU_CYCLE_1)
	s_ashr_i32 s9, s8, 31
	s_lshl_b64 s[8:9], s[8:9], 2
	s_delay_alu instid0(SALU_CYCLE_1) | instskip(SKIP_2) | instid1(SALU_CYCLE_1)
	s_add_u32 s26, s19, s8
	s_addc_u32 s27, s12, s9
	s_or_b32 s8, s16, 0xa0
	s_ashr_i32 s9, s8, 4
	s_cmp_lt_i32 s8, s17
	s_cselect_b32 s8, s9, s2
	s_delay_alu instid0(SALU_CYCLE_1) | instskip(NEXT) | instid1(SALU_CYCLE_1)
	s_ashr_i32 s9, s8, 31
	s_lshl_b64 s[8:9], s[8:9], 2
	s_delay_alu instid0(SALU_CYCLE_1)
	s_add_u32 s28, s19, s8
	s_addc_u32 s29, s12, s9
	s_clause 0x5
	s_load_b32 s9, s[6:7], 0x0
	s_load_b32 s3, s[20:21], 0x0
	;; [unrolled: 1-line block ×6, first 2 shown]
	s_or_b32 s20, s16, 0xc0
	s_delay_alu instid0(SALU_CYCLE_1) | instskip(SKIP_2) | instid1(SALU_CYCLE_1)
	s_ashr_i32 s21, s20, 4
	s_cmp_lt_i32 s20, s17
	s_cselect_b32 s20, s21, s2
	s_ashr_i32 s21, s20, 31
	s_delay_alu instid0(SALU_CYCLE_1) | instskip(NEXT) | instid1(SALU_CYCLE_1)
	s_lshl_b64 s[20:21], s[20:21], 2
	s_add_u32 s20, s19, s20
	s_addc_u32 s21, s12, s21
	s_or_b32 s22, s16, 0xe0
	s_delay_alu instid0(SALU_CYCLE_1) | instskip(SKIP_2) | instid1(SALU_CYCLE_1)
	s_ashr_i32 s23, s22, 4
	s_cmp_lt_i32 s22, s17
	s_cselect_b32 s22, s23, s2
	s_ashr_i32 s23, s22, 31
	s_delay_alu instid0(SALU_CYCLE_1)
	s_lshl_b64 s[22:23], s[22:23], 2
	s_waitcnt vmcnt(1)
	v_mad_i64_i32 v[3:4], null, v5, s5, v[1:2]
	s_waitcnt vmcnt(0)
	v_mad_i64_i32 v[5:6], null, v7, s5, v[1:2]
	v_lshlrev_b32_e32 v1, 4, v70
	s_clause 0x7
	global_load_b128 v[73:76], v[3:4], off
	global_load_b128 v[77:80], v[3:4], off offset:256
	global_load_b128 v[81:84], v[5:6], off
	global_load_b128 v[85:88], v[5:6], off offset:256
	global_load_b128 v[89:92], v[3:4], off offset:512
	;; [unrolled: 1-line block ×5, first 2 shown]
	v_lshl_or_b32 v1, v72, 8, v1
	s_load_b32 s2, s[20:21], 0x0
	s_add_u32 s20, s19, s22
	s_addc_u32 s21, s12, s23
	s_add_u32 s10, s10, s15
	s_addc_u32 s11, s11, s13
	v_add_co_u32 v1, s10, s10, v1
	s_delay_alu instid0(VALU_DEP_1) | instskip(SKIP_2) | instid1(VALU_DEP_1)
	v_add_co_ci_u32_e64 v2, null, s11, 0, s10
	s_load_b32 s10, s[20:21], 0x0
	s_waitcnt lgkmcnt(0)
	v_mad_i64_i32 v[3:4], null, s9, s5, v[1:2]
	v_mad_i64_i32 v[9:10], null, s6, s5, v[1:2]
	;; [unrolled: 1-line block ×7, first 2 shown]
	s_clause 0x5
	global_load_b128 v[49:52], v[3:4], off
	global_load_b128 v[53:56], v[3:4], off offset:16
	global_load_b128 v[41:44], v[5:6], off
	global_load_b128 v[45:48], v[5:6], off offset:16
	;; [unrolled: 2-line block ×3, first 2 shown]
	s_mov_b32 s4, 0
	v_cmp_gt_i32_e64 s2, s17, v139
	v_mad_i64_i32 v[61:62], null, s10, s5, v[1:2]
	s_clause 0x9
	global_load_b128 v[1:4], v[9:10], off
	global_load_b128 v[5:8], v[9:10], off offset:16
	global_load_b128 v[9:12], v[13:14], off
	global_load_b128 v[13:16], v[13:14], off offset:16
	;; [unrolled: 2-line block ×5, first 2 shown]
	ds_load_b128 v[105:108], v117
	ds_load_b128 v[109:112], v117 offset:1024
	ds_load_b128 v[113:116], v117 offset:2048
	;; [unrolled: 1-line block ×3, first 2 shown]
	s_mov_b32 s11, s4
	s_mov_b32 s5, s4
	;; [unrolled: 1-line block ×7, first 2 shown]
	s_delay_alu instid0(SALU_CYCLE_1)
	v_dual_mov_b32 v128, s11 :: v_dual_mov_b32 v127, s10
	v_dual_mov_b32 v126, s9 :: v_dual_mov_b32 v125, s8
	;; [unrolled: 1-line block ×4, first 2 shown]
	v_cmp_gt_i32_e64 s3, s17, v140
	v_cmp_gt_i32_e64 s4, s17, v141
	;; [unrolled: 1-line block ×8, first 2 shown]
	s_waitcnt vmcnt(0) lgkmcnt(0)
	s_barrier
	buffer_gl0_inv
	v_wmma_f32_16x16x16_f16 v[129:136], v[73:80], v[105:112], v[121:128]
	v_wmma_f32_16x16x16_f16 v[121:128], v[81:88], v[105:112], v[121:128]
	v_or_b32_e32 v73, 20, v137
	v_or_b32_e32 v74, 22, v137
	s_delay_alu instid0(VALU_DEP_4)
	v_wmma_f32_16x16x16_f16 v[129:136], v[89:96], v[113:120], v[129:136]
	v_or_b32_e32 v75, 24, v137
	v_wmma_f32_16x16x16_f16 v[121:128], v[97:104], v[113:120], v[121:128]
	v_or_b32_e32 v76, 26, v137
	v_cmp_gt_i32_e64 s11, s17, v73
	v_dual_mul_f32 v85, s18, v130 :: v_dual_mul_f32 v86, s18, v129
	v_dual_mul_f32 v83, s18, v132 :: v_dual_mul_f32 v84, s18, v131
	;; [unrolled: 1-line block ×3, first 2 shown]
	s_delay_alu instid0(VALU_DEP_3) | instskip(NEXT) | instid1(VALU_DEP_4)
	v_cndmask_b32_e32 v86, 0xff7fffff, v86, vcc_lo
	v_cndmask_b32_e64 v85, 0xff7fffff, v85, s2
	v_mul_f32_e32 v82, s18, v133
	v_cndmask_b32_e64 v84, 0xff7fffff, v84, s3
	v_cndmask_b32_e64 v83, 0xff7fffff, v83, s4
	v_dual_mul_f32 v79, s18, v136 :: v_dual_mul_f32 v92, s18, v123
	v_max3_f32 v85, v86, 0xff7fffff, v85
	v_mul_f32_e32 v80, s18, v135
	v_cndmask_b32_e64 v82, 0xff7fffff, v82, s5
	v_cndmask_b32_e64 v81, 0xff7fffff, v81, s6
	v_mul_f32_e32 v93, s18, v122
	v_max3_f32 v83, v85, v84, v83
	v_cndmask_b32_e64 v80, 0xff7fffff, v80, s7
	v_cndmask_b32_e64 v79, 0xff7fffff, v79, s8
	v_mul_f32_e32 v91, s18, v124
	v_cmp_gt_i32_e64 s12, s17, v74
	v_max3_f32 v81, v83, v82, v81
	v_cndmask_b32_e64 v82, 0xff7fffff, v94, s9
	v_cndmask_b32_e64 v83, 0xff7fffff, v93, s10
	v_or_b32_e32 v77, 28, v137
	v_or_b32_e32 v78, 30, v137
	v_max3_f32 v79, v81, v80, v79
	v_dual_mul_f32 v89, s18, v126 :: v_dual_mul_f32 v90, s18, v125
	v_cndmask_b32_e64 v73, 0xff7fffff, v92, s11
	v_cndmask_b32_e64 v74, 0xff7fffff, v91, s12
	s_delay_alu instid0(VALU_DEP_4) | instskip(SKIP_3) | instid1(VALU_DEP_4)
	v_max3_f32 v79, v79, v82, v83
	v_cmp_gt_i32_e64 s13, s17, v75
	v_cmp_gt_i32_e64 s15, s17, v76
	v_dual_mul_f32 v87, s18, v128 :: v_dual_mul_f32 v88, s18, v127
	v_max3_f32 v73, v79, v73, v74
	s_delay_alu instid0(VALU_DEP_4) | instskip(NEXT) | instid1(VALU_DEP_4)
	v_cndmask_b32_e64 v75, 0xff7fffff, v90, s13
	v_cndmask_b32_e64 v76, 0xff7fffff, v89, s15
	v_cmp_gt_i32_e64 s16, s17, v77
	v_cmp_gt_i32_e64 s17, s17, v78
	s_delay_alu instid0(VALU_DEP_3) | instskip(NEXT) | instid1(VALU_DEP_3)
	v_max3_f32 v73, v73, v75, v76
	v_cndmask_b32_e64 v74, 0xff7fffff, v88, s16
	s_delay_alu instid0(VALU_DEP_3) | instskip(SKIP_1) | instid1(VALU_DEP_2)
	v_cndmask_b32_e64 v77, 0xff7fffff, v87, s17
	v_lshlrev_b32_e32 v75, 2, v138
	v_max3_f32 v73, v73, v74, v77
	ds_bpermute_b32 v74, v75, v73
	s_waitcnt lgkmcnt(0)
	v_max_f32_e32 v74, v74, v74
	s_delay_alu instid0(VALU_DEP_1) | instskip(NEXT) | instid1(VALU_DEP_1)
	v_max_f32_e32 v73, v73, v74
	v_fma_f32 v74, s18, v129, -v73
	v_fma_f32 v76, s18, v130, -v73
	;; [unrolled: 1-line block ×5, first 2 shown]
	v_mul_f32_e32 v74, 0x3fb8aa3b, v74
	v_mul_f32_e32 v76, 0x3fb8aa3b, v76
	v_fma_f32 v83, s18, v135, -v73
	v_mul_f32_e32 v78, 0x3fb8aa3b, v78
	v_mul_f32_e32 v80, 0x3fb8aa3b, v80
	v_exp_f32_e32 v74, v74
	v_exp_f32_e32 v76, v76
	v_mul_f32_e32 v83, 0x3fb8aa3b, v83
	v_exp_f32_e32 v82, v78
	v_exp_f32_e32 v84, v80
	s_delay_alu instid0(VALU_DEP_1) | instskip(SKIP_4) | instid1(TRANS32_DEP_3)
	v_exp_f32_e32 v85, v83
	v_cndmask_b32_e32 v79, 0, v74, vcc_lo
	v_fma_f32 v74, s18, v134, -v73
	v_mul_f32_e32 v77, 0x3fb8aa3b, v77
	v_cndmask_b32_e64 v78, 0, v76, s2
	v_cndmask_b32_e64 v80, 0, v82, s4
	v_add_f32_e32 v76, 0, v79
	v_mul_f32_e32 v74, 0x3fb8aa3b, v74
	v_exp_f32_e32 v77, v77
	v_fma_f32 v82, s18, v121, -v73
	v_cndmask_b32_e64 v83, 0, v84, s5
	v_add_f32_e32 v76, v76, v78
	v_exp_f32_e32 v74, v74
	s_mov_b32 s2, exec_lo
	v_mul_f32_e32 v86, 0x3fb8aa3b, v82
	v_cndmask_b32_e64 v85, 0, v85, s7
	s_delay_alu instid0(TRANS32_DEP_2) | instskip(SKIP_3) | instid1(VALU_DEP_1)
	v_cndmask_b32_e64 v81, 0, v77, s3
	s_waitcnt_depctr 0xfff
	v_cndmask_b32_e64 v82, 0, v74, s6
	v_add_f32_e32 v76, v76, v81
	v_add_f32_e32 v76, v76, v80
	s_delay_alu instid0(VALU_DEP_1) | instskip(SKIP_4) | instid1(VALU_DEP_4)
	v_add_f32_e32 v74, v76, v83
	v_fma_f32 v77, s18, v136, -v73
	v_fma_f32 v84, s18, v122, -v73
	;; [unrolled: 1-line block ×4, first 2 shown]
	v_dual_add_f32 v74, v74, v82 :: v_dual_mul_f32 v77, 0x3fb8aa3b, v77
	s_delay_alu instid0(VALU_DEP_4) | instskip(SKIP_1) | instid1(VALU_DEP_4)
	v_mul_f32_e32 v84, 0x3fb8aa3b, v84
	v_fma_f32 v92, s18, v128, -v73
	v_mul_f32_e32 v89, 0x3fb8aa3b, v87
	v_exp_f32_e32 v86, v86
	v_exp_f32_e32 v77, v77
	;; [unrolled: 1-line block ×3, first 2 shown]
	v_add_f32_e32 v74, v74, v85
	v_exp_f32_e32 v91, v89
	v_fma_f32 v90, s18, v126, -v73
	v_cndmask_b32_e64 v87, 0, v86, s9
	s_delay_alu instid0(TRANS32_DEP_3) | instskip(SKIP_2) | instid1(TRANS32_DEP_2)
	v_cndmask_b32_e64 v84, 0, v77, s8
	v_fma_f32 v77, s18, v125, -v73
	v_mul_f32_e32 v76, 0x3fb8aa3b, v76
	v_cndmask_b32_e64 v86, 0, v88, s10
	v_fma_f32 v88, s18, v127, -v73
	s_delay_alu instid0(VALU_DEP_4) | instskip(NEXT) | instid1(VALU_DEP_4)
	v_dual_mul_f32 v90, 0x3fb8aa3b, v90 :: v_dual_mul_f32 v77, 0x3fb8aa3b, v77
	v_exp_f32_e32 v76, v76
	s_delay_alu instid0(VALU_DEP_1) | instskip(NEXT) | instid1(VALU_DEP_1)
	v_exp_f32_e32 v90, v90
	v_exp_f32_e32 v77, v77
	s_delay_alu instid0(TRANS32_DEP_3)
	v_cndmask_b32_e64 v89, 0, v76, s11
	v_mul_f32_e32 v76, 0x3fb8aa3b, v88
	v_cndmask_b32_e64 v88, 0, v91, s12
	s_waitcnt_depctr 0xfff
	v_cndmask_b32_e64 v90, 0, v90, s15
	v_cndmask_b32_e64 v91, 0, v77, s13
	v_mul_f32_e32 v77, 0x3fb8aa3b, v92
	v_add_f32_e32 v74, v74, v84
	v_exp_f32_e32 v76, v76
	s_delay_alu instid0(VALU_DEP_2) | instskip(NEXT) | instid1(VALU_DEP_1)
	v_exp_f32_e32 v77, v77
	v_add_f32_e32 v74, v74, v87
	s_delay_alu instid0(VALU_DEP_1) | instskip(SKIP_4) | instid1(VALU_DEP_1)
	v_add_f32_e32 v74, v74, v86
	s_waitcnt_depctr 0xfff
	v_cndmask_b32_e64 v93, 0, v76, s16
	v_cndmask_b32_e64 v92, 0, v77, s17
	v_add_f32_e32 v74, v74, v89
	v_add_f32_e32 v74, v74, v88
	s_delay_alu instid0(VALU_DEP_1) | instskip(NEXT) | instid1(VALU_DEP_1)
	v_add_f32_e32 v74, v74, v91
	v_add_f32_e32 v74, v74, v90
	s_delay_alu instid0(VALU_DEP_1) | instskip(NEXT) | instid1(VALU_DEP_1)
	v_add_f32_e32 v74, v74, v93
	v_add_f32_e32 v74, v74, v92
	ds_bpermute_b32 v75, v75, v74
	v_cmpx_gt_u32_e32 16, v71
	s_cbranch_execz .LBB1119_12
; %bb.11:
	v_mul_u32_u24_e32 v71, 0x44, v72
	s_waitcnt lgkmcnt(0)
	v_add_f32_e32 v74, v74, v75
	s_delay_alu instid0(VALU_DEP_2) | instskip(NEXT) | instid1(VALU_DEP_1)
	v_lshl_add_u32 v71, v70, 2, v71
	v_add_nc_u32_e32 v71, 0x4000, v71
	ds_store_2addr_b32 v71, v73, v74 offset1:136
.LBB1119_12:
	s_or_b32 exec_lo, exec_lo, s2
	v_lshlrev_b32_e32 v71, 2, v70
	s_load_b32 s35, s[0:1], 0x94
	s_waitcnt lgkmcnt(0)
	s_barrier
	buffer_gl0_inv
	v_add_nc_u32_e32 v71, 0x4000, v71
	v_cmp_eq_u32_e32 vcc_lo, 1, v72
	v_cmp_eq_u32_e64 s2, 2, v72
	v_cmp_eq_u32_e64 s3, 3, v72
	v_cmp_eq_u32_e64 s4, 4, v72
	ds_load_2addr_b32 v[73:74], v71 offset1:17
	ds_load_2addr_b32 v[94:95], v71 offset0:34 offset1:51
	ds_load_2addr_b32 v[96:97], v71 offset0:68 offset1:85
	;; [unrolled: 1-line block ×3, first 2 shown]
	v_cmp_eq_u32_e64 s5, 5, v72
	v_cmp_eq_u32_e64 s6, 7, v72
	s_waitcnt lgkmcnt(3)
	v_max3_f32 v75, v73, 0xff7fffff, v74
	s_waitcnt lgkmcnt(2)
	s_delay_alu instid0(VALU_DEP_1) | instskip(SKIP_1) | instid1(VALU_DEP_1)
	v_max3_f32 v75, v75, v94, v95
	s_waitcnt lgkmcnt(1)
	v_max3_f32 v75, v75, v96, v97
	s_waitcnt lgkmcnt(0)
	s_delay_alu instid0(VALU_DEP_1) | instskip(NEXT) | instid1(VALU_DEP_1)
	v_max3_f32 v76, v75, v98, v99
	v_sub_f32_e32 v96, v96, v76
	ds_load_2addr_b32 v[100:101], v71 offset0:136 offset1:153
	v_sub_f32_e32 v73, v73, v76
	v_sub_f32_e32 v75, v74, v76
	;; [unrolled: 1-line block ×3, first 2 shown]
	v_mul_f32_e32 v105, 0x3fb8aa3b, v96
	s_delay_alu instid0(VALU_DEP_4)
	v_mul_f32_e32 v77, 0x3fb8aa3b, v73
	ds_load_2addr_b32 v[73:74], v71 offset0:170 offset1:187
	v_mul_f32_e32 v103, 0x3fb8aa3b, v94
	v_exp_f32_e32 v102, v77
	v_sub_f32_e32 v77, v95, v76
	ds_load_2addr_b32 v[94:95], v71 offset0:204 offset1:221
	v_exp_f32_e32 v103, v103
	v_mul_f32_e32 v104, 0x3fb8aa3b, v77
	s_waitcnt lgkmcnt(2)
	v_fma_f32 v77, v102, v100, 0
	v_dual_sub_f32 v100, v97, v76 :: v_dual_mul_f32 v75, 0x3fb8aa3b, v75
	ds_load_2addr_b32 v[96:97], v71 offset0:238 offset1:255
	v_sub_f32_e32 v71, v98, v76
	v_exp_f32_e32 v104, v104
	v_mul_f32_e32 v98, 0x3fb8aa3b, v100
	v_exp_f32_e32 v75, v75
	v_exp_f32_e32 v100, v105
	v_mul_f32_e32 v71, 0x3fb8aa3b, v71
	s_waitcnt lgkmcnt(0)
	v_exp_f32_e32 v98, v98
	s_barrier
	buffer_gl0_inv
	v_fmac_f32_e32 v77, v75, v101
	s_delay_alu instid0(VALU_DEP_1) | instskip(SKIP_2) | instid1(VALU_DEP_2)
	v_fmac_f32_e32 v77, v103, v73
	v_sub_f32_e32 v73, v99, v76
	v_exp_f32_e32 v99, v71
	v_fmac_f32_e32 v77, v104, v74
	s_delay_alu instid0(VALU_DEP_2) | instskip(NEXT) | instid1(VALU_DEP_2)
	v_dual_mul_f32 v73, 0x3fb8aa3b, v73 :: v_dual_lshlrev_b32 v74, 6, v70
	v_dual_fmac_f32 v77, v100, v94 :: v_dual_lshlrev_b32 v70, 2, v69
	s_delay_alu instid0(VALU_DEP_2) | instskip(SKIP_1) | instid1(VALU_DEP_3)
	v_exp_f32_e32 v94, v73
	v_cndmask_b32_e32 v73, v102, v75, vcc_lo
	v_lshl_or_b32 v75, v72, 11, v74
	s_delay_alu instid0(VALU_DEP_3) | instskip(SKIP_1) | instid1(VALU_DEP_3)
	v_cmp_eq_u32_e64 s7, 7, v70
	v_fmac_f32_e32 v77, v98, v95
	v_lshl_or_b32 v69, v69, 4, v75
	s_delay_alu instid0(VALU_DEP_2)
	v_fmac_f32_e32 v77, v99, v96
	s_delay_alu instid0(TRANS32_DEP_1) | instid1(VALU_DEP_1)
	v_fmac_f32_e32 v77, v94, v97
	s_delay_alu instid0(VALU_DEP_1) | instskip(NEXT) | instid1(VALU_DEP_1)
	v_add_f32_e32 v95, 0x358637bd, v77
	v_div_scale_f32 v96, null, v95, v95, 1.0
	v_div_scale_f32 v101, vcc_lo, 1.0, v95, 1.0
	s_delay_alu instid0(VALU_DEP_2) | instskip(SKIP_2) | instid1(VALU_DEP_1)
	v_rcp_f32_e32 v97, v96
	s_waitcnt_depctr 0xfff
	v_fma_f32 v71, -v96, v97, 1.0
	v_fmac_f32_e32 v97, v71, v97
	v_cndmask_b32_e64 v71, v73, v103, s2
	v_cmp_eq_u32_e64 s2, 6, v72
	v_or_b32_e32 v73, 1, v70
	v_or_b32_e32 v72, 3, v70
	v_mul_f32_e32 v102, v101, v97
	v_cndmask_b32_e64 v71, v71, v104, s3
	v_cmp_eq_u32_e64 s3, 1, v70
	v_cmp_eq_u32_e64 s8, 1, v73
	;; [unrolled: 1-line block ×3, first 2 shown]
	v_fma_f32 v103, -v96, v102, v101
	v_cndmask_b32_e64 v100, v71, v100, s4
	v_or_b32_e32 v71, 2, v70
	v_cmp_eq_u32_e64 s4, 2, v70
	v_cmp_eq_u32_e64 s11, 2, v73
	v_fmac_f32_e32 v102, v103, v97
	v_cndmask_b32_e64 v98, v100, v98, s5
	v_cmp_eq_u32_e64 s9, 1, v71
	v_cmp_eq_u32_e64 s13, 2, v71
	;; [unrolled: 1-line block ×3, first 2 shown]
	v_fma_f32 v96, -v96, v102, v101
	v_cndmask_b32_e64 v98, v98, v99, s2
	v_cmp_eq_u32_e64 s12, 3, v73
	v_cmp_eq_u32_e64 s17, 3, v72
	;; [unrolled: 1-line block ×3, first 2 shown]
	v_div_fmas_f32 v96, v96, v97, v102
	v_cndmask_b32_e64 v94, v98, v94, s6
	v_cmp_eq_u32_e32 vcc_lo, 3, v70
	v_cmp_eq_u32_e64 s16, 3, v71
	v_cmp_eq_u32_e64 s18, 4, v73
	v_div_fixup_f32 v95, v96, v95, 1.0
	v_cmp_eq_u32_e64 s21, 4, v72
	v_cmp_eq_u32_e64 s5, 5, v70
	;; [unrolled: 1-line block ×4, first 2 shown]
	v_mul_f32_e32 v102, v94, v95
	v_cmp_eq_u32_e64 s23, 5, v72
	v_cmp_eq_u32_e64 s22, 5, v71
	;; [unrolled: 1-line block ×4, first 2 shown]
	v_fma_mixlo_f16 v94, v102, v79, 0
	v_fma_mixlo_f16 v95, v102, v81, 0
	;; [unrolled: 1-line block ×8, first 2 shown]
	v_fma_mixhi_f16 v94, v102, v78, 0
	v_fma_mixhi_f16 v95, v102, v80, 0
	;; [unrolled: 1-line block ×8, first 2 shown]
	ds_store_b128 v69, v[94:97]
	ds_store_b128 v69, v[98:101] offset:1024
	s_waitcnt lgkmcnt(0)
	s_barrier
	buffer_gl0_inv
	ds_load_b128 v[78:81], v75
	ds_load_b128 v[82:85], v75 offset:16
	ds_load_b128 v[86:89], v75 offset:1024
	;; [unrolled: 1-line block ×3, first 2 shown]
	v_cmp_eq_u32_e64 s6, 6, v70
	v_cmp_eq_u32_e64 s25, 6, v71
	;; [unrolled: 1-line block ×5, first 2 shown]
	s_waitcnt lgkmcnt(3)
	v_lshrrev_b32_e32 v94, 16, v78
	s_waitcnt lgkmcnt(2)
	v_lshrrev_b32_e32 v98, 16, v82
	;; [unrolled: 2-line block ×4, first 2 shown]
	v_lshrrev_b32_e32 v95, 16, v79
	v_cndmask_b32_e64 v110, v78, v94, s3
	v_cndmask_b32_e64 v111, v82, v98, s3
	;; [unrolled: 1-line block ×8, first 2 shown]
	v_lshrrev_b32_e32 v99, 16, v83
	v_cndmask_b32_e64 v94, v86, v102, s3
	v_cndmask_b32_e64 v98, v90, v106, s3
	;; [unrolled: 1-line block ×15, first 2 shown]
	v_lshrrev_b32_e32 v103, 16, v87
	v_lshrrev_b32_e32 v107, 16, v91
	v_cndmask_b32_e64 v113, v115, v83, s13
	v_cndmask_b32_e64 v82, v94, v87, s4
	;; [unrolled: 1-line block ×7, first 2 shown]
	v_cndmask_b32_e32 v90, v102, v95, vcc_lo
	v_cndmask_b32_e32 v102, v106, v99, vcc_lo
	v_cndmask_b32_e64 v106, v110, v95, s12
	v_cndmask_b32_e64 v110, v111, v99, s12
	;; [unrolled: 1-line block ×4, first 2 shown]
	v_lshrrev_b32_e32 v96, 16, v80
	v_lshrrev_b32_e32 v100, 16, v84
	v_cndmask_b32_e64 v111, v112, v95, s16
	v_cndmask_b32_e64 v112, v113, v99, s16
	v_cndmask_b32_e32 v82, v82, v103, vcc_lo
	v_cndmask_b32_e32 v83, v83, v107, vcc_lo
	v_cndmask_b32_e64 v94, v94, v103, s12
	v_cndmask_b32_e64 v90, v90, v80, s2
	;; [unrolled: 1-line block ×7, first 2 shown]
	v_lshrrev_b32_e32 v104, 16, v88
	v_cndmask_b32_e64 v106, v111, v80, s20
	v_cndmask_b32_e64 v110, v112, v84, s20
	v_cndmask_b32_e64 v80, v82, v88, s2
	v_cndmask_b32_e64 v82, v83, v92, s2
	v_cndmask_b32_e64 v83, v94, v88, s18
	v_cndmask_b32_e64 v84, v90, v96, s5
	v_cndmask_b32_e64 v90, v95, v100, s5
	v_cndmask_b32_e64 v94, v99, v96, s19
	v_cndmask_b32_e64 v95, v102, v100, s19
	v_cndmask_b32_e64 v78, v78, v96, s23
	v_cndmask_b32_e64 v79, v79, v100, s23
	v_lshrrev_b32_e32 v97, 16, v81
	v_lshrrev_b32_e32 v101, 16, v85
	v_cndmask_b32_e64 v99, v106, v96, s22
	v_cndmask_b32_e64 v102, v110, v100, s22
	;; [unrolled: 1-line block ×7, first 2 shown]
	v_lshrrev_b32_e32 v105, 16, v89
	v_cndmask_b32_e64 v80, v80, v104, s5
	v_cndmask_b32_e64 v84, v84, v81, s6
	;; [unrolled: 1-line block ×16, first 2 shown]
	v_perm_b32 v81, v79, v78, 0x5040100
	v_perm_b32 v79, v95, v85, 0x5040100
	v_cndmask_b32_e64 v78, v119, v91, s13
	v_cndmask_b32_e64 v85, v117, v91, s11
	;; [unrolled: 1-line block ×3, first 2 shown]
	v_perm_b32 v80, v94, v90, 0x5040100
	v_cndmask_b32_e64 v90, v98, v103, s16
	v_cndmask_b32_e64 v86, v86, v103, s17
	;; [unrolled: 1-line block ×5, first 2 shown]
	v_lshrrev_b32_e32 v108, 16, v92
	v_cndmask_b32_e64 v90, v90, v88, s20
	v_cndmask_b32_e64 v86, v86, v88, s21
	;; [unrolled: 1-line block ×11, first 2 shown]
	v_lshrrev_b32_e32 v109, 16, v93
	v_cndmask_b32_e64 v82, v82, v93, s6
	v_cndmask_b32_e64 v88, v88, v89, s25
	v_cndmask_b32_e64 v86, v86, v89, s26
	v_cndmask_b32_e64 v87, v87, v93, s26
	v_cndmask_b32_e64 v78, v78, v93, s25
	v_cndmask_b32_e64 v85, v85, v93, s24
	v_cndmask_b32_e64 v88, v88, v105, s27
	v_cndmask_b32_e64 v86, v86, v105, s28
	v_cndmask_b32_e64 v87, v87, v109, s28
	v_cndmask_b32_e64 v89, v78, v109, s27
	v_cndmask_b32_e64 v90, v85, v109, s29
	v_cndmask_b32_e64 v82, v82, v109, s7
	v_perm_b32 v78, v84, v83, 0x5040100
	v_perm_b32 v85, v87, v86, 0x5040100
	;; [unrolled: 1-line block ×5, first 2 shown]
	s_lshl_b32 s7, s34, 1
	s_mov_b32 s2, exec_lo
	ds_store_b128 v69, v[78:81]
	ds_store_b128 v69, v[82:85] offset:1024
	v_cmpx_gt_u32_e32 2, v0
	s_cbranch_execz .LBB1119_14
; %bb.13:
	v_or_b32_e32 v78, s33, v0
	s_load_b128 s[8:11], s[0:1], 0x58
	s_delay_alu instid0(VALU_DEP_1) | instskip(NEXT) | instid1(VALU_DEP_1)
	v_mad_u64_u32 v[79:80], null, s7, s30, v[78:79]
	v_mad_u64_u32 v[80:81], null, v79, s35, s[14:15]
	s_delay_alu instid0(VALU_DEP_1) | instskip(NEXT) | instid1(VALU_DEP_1)
	v_ashrrev_i32_e32 v81, 31, v80
	v_lshlrev_b64 v[78:79], 2, v[80:81]
	s_waitcnt lgkmcnt(0)
	s_delay_alu instid0(VALU_DEP_1) | instskip(NEXT) | instid1(VALU_DEP_2)
	v_add_co_u32 v80, vcc_lo, s10, v78
	v_add_co_ci_u32_e32 v81, vcc_lo, s11, v79, vcc_lo
	v_add_co_u32 v78, vcc_lo, s8, v78
	v_add_co_ci_u32_e32 v79, vcc_lo, s9, v79, vcc_lo
	global_store_b32 v[80:81], v76, off
	global_store_b32 v[78:79], v77, off
.LBB1119_14:
	s_or_b32 exec_lo, exec_lo, s2
	s_waitcnt lgkmcnt(0)
	s_waitcnt_vscnt null, 0x0
	s_barrier
	buffer_gl0_inv
	ds_load_b128 v[84:87], v74
	ds_load_b128 v[88:91], v74 offset:16
	ds_load_b128 v[96:99], v74 offset:2064
	;; [unrolled: 1-line block ×5, first 2 shown]
	v_cmp_eq_u32_e32 vcc_lo, 1, v70
	v_mov_b32_e32 v76, 0
	ds_load_b128 v[112:115], v74 offset:6160
	ds_load_b128 v[108:111], v74 offset:6144
	;; [unrolled: 1-line block ×4, first 2 shown]
	v_cmp_eq_u32_e64 s3, 1, v71
	v_cmp_eq_u32_e64 s2, 1, v73
	;; [unrolled: 1-line block ×3, first 2 shown]
	v_mov_b32_e32 v77, v76
	v_mov_b32_e32 v78, v76
	;; [unrolled: 1-line block ×7, first 2 shown]
	v_cmp_eq_u32_e64 s5, 3, v73
	v_cmp_eq_u32_e64 s6, 7, v73
	s_waitcnt lgkmcnt(8)
	s_delay_alu instid0(VALU_DEP_3)
	v_wmma_f32_16x16x16_f16 v[76:83], v[49:56], v[84:91], v[76:83]
	ds_load_b128 v[53:56], v74 offset:10256
	ds_load_b128 v[49:52], v74 offset:10240
	s_waitcnt lgkmcnt(8)
	v_wmma_f32_16x16x16_f16 v[76:83], v[41:48], v[92:99], v[76:83]
	ds_load_b128 v[45:48], v74 offset:12304
	ds_load_b128 v[41:44], v74 offset:12288
	s_waitcnt lgkmcnt(8)
	;; [unrolled: 4-line block ×3, first 2 shown]
	s_barrier
	buffer_gl0_inv
	v_wmma_f32_16x16x16_f16 v[76:83], v[1:8], v[108:115], v[76:83]
	s_delay_alu instid0(VALU_DEP_1) | instskip(NEXT) | instid1(VALU_DEP_1)
	v_wmma_f32_16x16x16_f16 v[76:83], v[9:16], v[116:123], v[76:83]
	v_wmma_f32_16x16x16_f16 v[76:83], v[17:24], v[49:56], v[76:83]
	s_delay_alu instid0(VALU_DEP_1) | instskip(NEXT) | instid1(VALU_DEP_1)
	v_wmma_f32_16x16x16_f16 v[76:83], v[25:32], v[41:48], v[76:83]
	v_wmma_f32_16x16x16_f16 v[76:83], v[57:64], v[33:40], v[76:83]
	s_delay_alu instid0(VALU_DEP_1) | instskip(NEXT) | instid1(VALU_DEP_2)
	v_cvt_f16_f32_e32 v1, v76
	v_cvt_f16_f32_e32 v2, v77
	s_delay_alu instid0(VALU_DEP_3) | instskip(NEXT) | instid1(VALU_DEP_4)
	v_cvt_f16_f32_e32 v3, v78
	v_cvt_f16_f32_e32 v4, v79
	;; [unrolled: 1-line block ×6, first 2 shown]
	v_pack_b32_f16 v1, v1, v2
	v_pack_b32_f16 v2, v3, v4
	;; [unrolled: 1-line block ×3, first 2 shown]
	s_delay_alu instid0(VALU_DEP_4)
	v_pack_b32_f16 v4, v7, v8
	ds_store_b128 v69, v[1:4]
	s_waitcnt lgkmcnt(0)
	s_barrier
	buffer_gl0_inv
	ds_load_b128 v[1:4], v75
	ds_load_b128 v[5:8], v75 offset:16
	s_waitcnt lgkmcnt(1)
	v_lshrrev_b32_e32 v9, 16, v1
	s_waitcnt lgkmcnt(0)
	v_lshrrev_b32_e32 v13, 16, v5
	v_lshrrev_b32_e32 v10, 16, v2
	;; [unrolled: 1-line block ×4, first 2 shown]
	v_cndmask_b32_e32 v17, v1, v9, vcc_lo
	v_cndmask_b32_e32 v18, v5, v13, vcc_lo
	v_cndmask_b32_e64 v21, v1, v9, s3
	v_cmp_eq_u32_e32 vcc_lo, 1, v72
	v_cndmask_b32_e64 v22, v5, v13, s3
	v_cmp_eq_u32_e64 s3, 2, v70
	v_cndmask_b32_e64 v19, v1, v9, s2
	v_cndmask_b32_e64 v20, v5, v13, s2
	v_cndmask_b32_e32 v1, v1, v9, vcc_lo
	v_cmp_eq_u32_e64 s2, 2, v72
	v_cndmask_b32_e32 v5, v5, v13, vcc_lo
	v_cndmask_b32_e64 v9, v17, v2, s3
	v_cmp_eq_u32_e32 vcc_lo, 3, v70
	v_cndmask_b32_e64 v13, v18, v6, s3
	v_cmp_eq_u32_e64 s3, 2, v71
	v_cndmask_b32_e64 v17, v19, v2, s4
	v_cndmask_b32_e64 v18, v20, v6, s4
	v_cmp_eq_u32_e64 s4, 3, v71
	v_cndmask_b32_e64 v1, v1, v2, s2
	v_cndmask_b32_e64 v19, v21, v2, s3
	v_cndmask_b32_e64 v20, v22, v6, s3
	v_cndmask_b32_e64 v2, v5, v6, s2
	v_cndmask_b32_e32 v5, v9, v10, vcc_lo
	v_cndmask_b32_e32 v6, v13, v14, vcc_lo
	v_cmp_eq_u32_e32 vcc_lo, 3, v72
	v_cndmask_b32_e64 v9, v17, v10, s5
	v_cndmask_b32_e64 v13, v18, v14, s5
	;; [unrolled: 1-line block ×3, first 2 shown]
	v_cmp_eq_u32_e64 s3, 4, v70
	v_cndmask_b32_e32 v1, v1, v10, vcc_lo
	v_cndmask_b32_e32 v2, v2, v14, vcc_lo
	v_cmp_eq_u32_e32 vcc_lo, 4, v73
	v_lshrrev_b32_e32 v15, 16, v7
	v_lshrrev_b32_e32 v16, 16, v8
	v_cndmask_b32_e64 v17, v19, v10, s4
	v_cmp_eq_u32_e64 s2, 4, v72
	v_cndmask_b32_e64 v5, v5, v3, s3
	v_cndmask_b32_e64 v6, v6, v7, s3
	v_cndmask_b32_e32 v9, v9, v3, vcc_lo
	v_cmp_eq_u32_e64 s3, 5, v73
	v_cndmask_b32_e32 v10, v13, v7, vcc_lo
	v_cmp_eq_u32_e32 vcc_lo, 4, v71
	v_cmp_eq_u32_e64 s4, 5, v70
	v_cndmask_b32_e64 v2, v2, v7, s2
	v_cndmask_b32_e64 v9, v9, v11, s3
	;; [unrolled: 1-line block ×3, first 2 shown]
	v_cndmask_b32_e32 v13, v17, v3, vcc_lo
	v_cmp_eq_u32_e64 s3, 5, v71
	v_cndmask_b32_e32 v14, v18, v7, vcc_lo
	v_cndmask_b32_e64 v1, v1, v3, s2
	v_cmp_eq_u32_e32 vcc_lo, 5, v72
	v_lshrrev_b32_e32 v12, 16, v4
	v_cndmask_b32_e64 v13, v13, v11, s3
	v_cndmask_b32_e64 v3, v14, v15, s3
	v_cmp_eq_u32_e64 s3, 6, v72
	v_cndmask_b32_e32 v1, v1, v11, vcc_lo
	v_cndmask_b32_e64 v5, v5, v11, s4
	v_cmp_eq_u32_e64 s5, 6, v70
	v_cndmask_b32_e64 v6, v6, v15, s4
	v_cmp_eq_u32_e64 s4, 6, v73
	v_cmp_eq_u32_e64 s2, 6, v71
	v_cndmask_b32_e64 v1, v1, v4, s3
	v_cndmask_b32_e32 v2, v2, v15, vcc_lo
	v_cmp_eq_u32_e32 vcc_lo, 7, v72
	v_cndmask_b32_e64 v5, v5, v4, s5
	v_cndmask_b32_e64 v9, v9, v4, s4
	;; [unrolled: 1-line block ×3, first 2 shown]
	v_cmp_eq_u32_e64 s5, 7, v70
	v_cndmask_b32_e32 v1, v1, v12, vcc_lo
	v_cndmask_b32_e64 v7, v13, v4, s2
	v_cndmask_b32_e64 v3, v3, v8, s2
	;; [unrolled: 1-line block ×3, first 2 shown]
	v_cmp_eq_u32_e64 s2, 7, v71
	v_cndmask_b32_e64 v4, v10, v8, s4
	v_cndmask_b32_e64 v5, v5, v12, s5
	;; [unrolled: 1-line block ×3, first 2 shown]
	v_cndmask_b32_e32 v2, v2, v16, vcc_lo
	v_cndmask_b32_e64 v7, v7, v12, s2
	v_cndmask_b32_e64 v3, v3, v16, s2
	v_cndmask_b32_e64 v8, v4, v16, s6
	v_cndmask_b32_e64 v6, v6, v16, s5
	v_perm_b32 v4, v2, v1, 0x5040100
	s_delay_alu instid0(VALU_DEP_4) | instskip(NEXT) | instid1(VALU_DEP_4)
	v_perm_b32 v3, v3, v7, 0x5040100
	v_perm_b32 v2, v8, v9, 0x5040100
	s_delay_alu instid0(VALU_DEP_4)
	v_perm_b32 v1, v6, v5, 0x5040100
	ds_store_b128 v69, v[1:4]
	s_waitcnt lgkmcnt(0)
	s_barrier
	buffer_gl0_inv
	s_and_saveexec_b32 s2, s31
	s_cbranch_execz .LBB1119_2
; %bb.15:
	s_load_b64 s[0:1], s[0:1], 0x68
	v_lshlrev_b32_e32 v0, 10, v0
	s_lshl_b32 s2, s35, 6
	v_lshlrev_b32_e32 v1, 4, v68
	v_mul_lo_u32 v4, s2, v67
	s_mul_i32 s3, s2, s30
	v_and_b32_e32 v0, 0x3800, v0
	s_mul_i32 s2, s3, s7
	s_delay_alu instid0(SALU_CYCLE_1) | instskip(NEXT) | instid1(VALU_DEP_1)
	s_ashr_i32 s3, s2, 31
	v_or3_b32 v0, v0, v66, v1
	s_lshl_b64 s[2:3], s[2:3], 1
	s_delay_alu instid0(VALU_DEP_3)
	v_ashrrev_i32_e32 v5, 31, v4
	ds_load_b128 v[0:3], v0
	v_lshlrev_b64 v[4:5], 1, v[4:5]
	s_waitcnt lgkmcnt(0)
	s_add_u32 s2, s0, s2
	s_addc_u32 s3, s1, s3
	s_lshl_b32 s0, s14, 6
	s_delay_alu instid0(SALU_CYCLE_1) | instskip(NEXT) | instid1(SALU_CYCLE_1)
	s_ashr_i32 s1, s0, 31
	s_lshl_b64 s[0:1], s[0:1], 1
	s_delay_alu instid0(SALU_CYCLE_1) | instskip(SKIP_3) | instid1(VALU_DEP_2)
	s_add_u32 s0, s2, s0
	s_addc_u32 s1, s3, s1
	v_add_co_u32 v4, vcc_lo, s0, v4
	v_add_co_ci_u32_e32 v5, vcc_lo, s1, v5, vcc_lo
	v_add_co_u32 v4, vcc_lo, v4, v65
	s_delay_alu instid0(VALU_DEP_2)
	v_add_co_ci_u32_e32 v5, vcc_lo, 0, v5, vcc_lo
	global_store_b128 v[4:5], v[0:3], off
	s_nop 0
	s_sendmsg sendmsg(MSG_DEALLOC_VGPRS)
	s_endpgm
	.section	.rodata,"a",@progbits
	.p2align	6, 0x0
	.amdhsa_kernel _Z39paged_attention_ll4mi_QKV_mfma16_kernelIDF16_hLN4vllm18Fp8KVCacheDataTypeE1EhLi16ELi64ELi256ELb0ELi2EL8MFMAType0EEvPKT_PKT0_S8_ifPKiSA_SA_iPKfiiiPfSD_PS3_PT2_iSC_SC_
		.amdhsa_group_segment_fixed_size 17472
		.amdhsa_private_segment_fixed_size 0
		.amdhsa_kernarg_size 400
		.amdhsa_user_sgpr_count 13
		.amdhsa_user_sgpr_dispatch_ptr 0
		.amdhsa_user_sgpr_queue_ptr 0
		.amdhsa_user_sgpr_kernarg_segment_ptr 1
		.amdhsa_user_sgpr_dispatch_id 0
		.amdhsa_user_sgpr_private_segment_size 0
		.amdhsa_wavefront_size32 1
		.amdhsa_uses_dynamic_stack 0
		.amdhsa_enable_private_segment 0
		.amdhsa_system_sgpr_workgroup_id_x 1
		.amdhsa_system_sgpr_workgroup_id_y 1
		.amdhsa_system_sgpr_workgroup_id_z 1
		.amdhsa_system_sgpr_workgroup_info 0
		.amdhsa_system_vgpr_workitem_id 0
		.amdhsa_next_free_vgpr 148
		.amdhsa_next_free_sgpr 36
		.amdhsa_reserve_vcc 1
		.amdhsa_float_round_mode_32 0
		.amdhsa_float_round_mode_16_64 0
		.amdhsa_float_denorm_mode_32 3
		.amdhsa_float_denorm_mode_16_64 3
		.amdhsa_dx10_clamp 1
		.amdhsa_ieee_mode 1
		.amdhsa_fp16_overflow 0
		.amdhsa_workgroup_processor_mode 1
		.amdhsa_memory_ordered 1
		.amdhsa_forward_progress 0
		.amdhsa_shared_vgpr_count 0
		.amdhsa_exception_fp_ieee_invalid_op 0
		.amdhsa_exception_fp_denorm_src 0
		.amdhsa_exception_fp_ieee_div_zero 0
		.amdhsa_exception_fp_ieee_overflow 0
		.amdhsa_exception_fp_ieee_underflow 0
		.amdhsa_exception_fp_ieee_inexact 0
		.amdhsa_exception_int_div_zero 0
	.end_amdhsa_kernel
	.section	.text._Z39paged_attention_ll4mi_QKV_mfma16_kernelIDF16_hLN4vllm18Fp8KVCacheDataTypeE1EhLi16ELi64ELi256ELb0ELi2EL8MFMAType0EEvPKT_PKT0_S8_ifPKiSA_SA_iPKfiiiPfSD_PS3_PT2_iSC_SC_,"axG",@progbits,_Z39paged_attention_ll4mi_QKV_mfma16_kernelIDF16_hLN4vllm18Fp8KVCacheDataTypeE1EhLi16ELi64ELi256ELb0ELi2EL8MFMAType0EEvPKT_PKT0_S8_ifPKiSA_SA_iPKfiiiPfSD_PS3_PT2_iSC_SC_,comdat
.Lfunc_end1119:
	.size	_Z39paged_attention_ll4mi_QKV_mfma16_kernelIDF16_hLN4vllm18Fp8KVCacheDataTypeE1EhLi16ELi64ELi256ELb0ELi2EL8MFMAType0EEvPKT_PKT0_S8_ifPKiSA_SA_iPKfiiiPfSD_PS3_PT2_iSC_SC_, .Lfunc_end1119-_Z39paged_attention_ll4mi_QKV_mfma16_kernelIDF16_hLN4vllm18Fp8KVCacheDataTypeE1EhLi16ELi64ELi256ELb0ELi2EL8MFMAType0EEvPKT_PKT0_S8_ifPKiSA_SA_iPKfiiiPfSD_PS3_PT2_iSC_SC_
                                        ; -- End function
	.section	.AMDGPU.csdata,"",@progbits
; Kernel info:
; codeLenInByte = 6240
; NumSgprs: 38
; NumVgprs: 148
; ScratchSize: 0
; MemoryBound: 0
; FloatMode: 240
; IeeeMode: 1
; LDSByteSize: 17472 bytes/workgroup (compile time only)
; SGPRBlocks: 4
; VGPRBlocks: 18
; NumSGPRsForWavesPerEU: 38
; NumVGPRsForWavesPerEU: 148
; Occupancy: 9
; WaveLimiterHint : 1
; COMPUTE_PGM_RSRC2:SCRATCH_EN: 0
; COMPUTE_PGM_RSRC2:USER_SGPR: 13
; COMPUTE_PGM_RSRC2:TRAP_HANDLER: 0
; COMPUTE_PGM_RSRC2:TGID_X_EN: 1
; COMPUTE_PGM_RSRC2:TGID_Y_EN: 1
; COMPUTE_PGM_RSRC2:TGID_Z_EN: 1
; COMPUTE_PGM_RSRC2:TIDIG_COMP_CNT: 0
	.section	.text._Z39paged_attention_ll4mi_QKV_mfma16_kernelIDF16_hLN4vllm18Fp8KVCacheDataTypeE1EhLi16ELi64ELi256ELb0ELi3EL8MFMAType0EEvPKT_PKT0_S8_ifPKiSA_SA_iPKfiiiPfSD_PS3_PT2_iSC_SC_,"axG",@progbits,_Z39paged_attention_ll4mi_QKV_mfma16_kernelIDF16_hLN4vllm18Fp8KVCacheDataTypeE1EhLi16ELi64ELi256ELb0ELi3EL8MFMAType0EEvPKT_PKT0_S8_ifPKiSA_SA_iPKfiiiPfSD_PS3_PT2_iSC_SC_,comdat
	.protected	_Z39paged_attention_ll4mi_QKV_mfma16_kernelIDF16_hLN4vllm18Fp8KVCacheDataTypeE1EhLi16ELi64ELi256ELb0ELi3EL8MFMAType0EEvPKT_PKT0_S8_ifPKiSA_SA_iPKfiiiPfSD_PS3_PT2_iSC_SC_ ; -- Begin function _Z39paged_attention_ll4mi_QKV_mfma16_kernelIDF16_hLN4vllm18Fp8KVCacheDataTypeE1EhLi16ELi64ELi256ELb0ELi3EL8MFMAType0EEvPKT_PKT0_S8_ifPKiSA_SA_iPKfiiiPfSD_PS3_PT2_iSC_SC_
	.globl	_Z39paged_attention_ll4mi_QKV_mfma16_kernelIDF16_hLN4vllm18Fp8KVCacheDataTypeE1EhLi16ELi64ELi256ELb0ELi3EL8MFMAType0EEvPKT_PKT0_S8_ifPKiSA_SA_iPKfiiiPfSD_PS3_PT2_iSC_SC_
	.p2align	8
	.type	_Z39paged_attention_ll4mi_QKV_mfma16_kernelIDF16_hLN4vllm18Fp8KVCacheDataTypeE1EhLi16ELi64ELi256ELb0ELi3EL8MFMAType0EEvPKT_PKT0_S8_ifPKiSA_SA_iPKfiiiPfSD_PS3_PT2_iSC_SC_,@function
_Z39paged_attention_ll4mi_QKV_mfma16_kernelIDF16_hLN4vllm18Fp8KVCacheDataTypeE1EhLi16ELi64ELi256ELb0ELi3EL8MFMAType0EEvPKT_PKT0_S8_ifPKiSA_SA_iPKfiiiPfSD_PS3_PT2_iSC_SC_: ; @_Z39paged_attention_ll4mi_QKV_mfma16_kernelIDF16_hLN4vllm18Fp8KVCacheDataTypeE1EhLi16ELi64ELi256ELb0ELi3EL8MFMAType0EEvPKT_PKT0_S8_ifPKiSA_SA_iPKfiiiPfSD_PS3_PT2_iSC_SC_
; %bb.0:
	s_load_b64 s[2:3], s[0:1], 0x30
	s_mov_b32 s34, s13
	s_waitcnt lgkmcnt(0)
	s_cmp_lg_u64 s[2:3], 0
	s_cselect_b32 s6, -1, 0
	s_ashr_i32 s35, s13, 31
	s_cmp_eq_u64 s[2:3], 0
	s_cbranch_scc1 .LBB1120_3
; %bb.1:
	s_lshl_b64 s[4:5], s[34:35], 2
	s_delay_alu instid0(SALU_CYCLE_1) | instskip(SKIP_4) | instid1(SALU_CYCLE_1)
	s_add_u32 s4, s2, s4
	s_addc_u32 s5, s3, s5
	s_load_b64 s[4:5], s[4:5], 0x0
	s_waitcnt lgkmcnt(0)
	s_sub_i32 s4, s5, s4
	s_cmp_eq_u32 s4, 1
	s_cselect_b32 s4, -1, 0
	s_delay_alu instid0(SALU_CYCLE_1)
	s_and_not1_b32 vcc_lo, exec_lo, s4
	s_cbranch_vccz .LBB1120_4
.LBB1120_2:
	s_nop 0
	s_sendmsg sendmsg(MSG_DEALLOC_VGPRS)
	s_endpgm
.LBB1120_3:
.LBB1120_4:
	s_load_b64 s[8:9], s[0:1], 0x28
	s_lshl_b64 s[4:5], s[34:35], 2
	s_waitcnt lgkmcnt(0)
	s_add_u32 s8, s8, s4
	s_addc_u32 s9, s9, s5
	s_lshl_b32 s16, s14, 8
	s_load_b32 s18, s[8:9], 0x0
	s_waitcnt lgkmcnt(0)
	s_cmp_ge_i32 s16, s18
	s_cbranch_scc1 .LBB1120_2
; %bb.5:
	s_clause 0x1
	s_load_b128 s[8:11], s[0:1], 0x8
	s_load_b64 s[12:13], s[0:1], 0x20
	s_and_not1_b32 vcc_lo, exec_lo, s6
	s_cbranch_vccnz .LBB1120_7
; %bb.6:
	s_add_u32 s2, s2, s4
	s_addc_u32 s3, s3, s5
	s_load_b32 s3, s[2:3], 0x0
	s_branch .LBB1120_8
.LBB1120_7:
	s_mov_b32 s3, s34
.LBB1120_8:
	s_load_b128 s[4:7], s[0:1], 0x48
	v_lshrrev_b32_e32 v69, 5, v0
	v_bfe_u32 v66, v0, 4, 1
	v_and_b32_e32 v68, 15, v0
	v_and_b32_e32 v70, 31, v0
	v_and_b32_e32 v67, 1, v0
	s_mul_i32 s33, s15, 3
	v_lshl_or_b32 v1, v69, 1, v66
	v_lshlrev_b32_e32 v2, 3, v68
	v_cmp_gt_u32_e64 s2, 8, v68
	s_delay_alu instid0(VALU_DEP_3) | instskip(NEXT) | instid1(VALU_DEP_3)
	v_cmp_gt_u32_e32 vcc_lo, 3, v1
	v_lshlrev_b32_e32 v65, 1, v2
	s_delay_alu instid0(VALU_DEP_3)
	s_and_b32 s17, s2, vcc_lo
	s_waitcnt lgkmcnt(0)
	s_and_saveexec_b32 s7, s17
	s_cbranch_execz .LBB1120_10
; %bb.9:
	s_load_b64 s[20:21], s[0:1], 0x0
	v_add_lshl_u32 v2, v1, s33, 6
	s_mul_hi_i32 s23, s3, s4
	s_mul_i32 s22, s3, s4
	v_lshlrev_b32_e32 v6, 10, v68
	s_lshl_b64 s[22:23], s[22:23], 1
	v_ashrrev_i32_e32 v3, 31, v2
	v_lshlrev_b32_e32 v1, 6, v1
	v_lshlrev_b32_e32 v7, 10, v67
	v_and_b32_e32 v6, 0x3800, v6
	s_delay_alu instid0(VALU_DEP_4) | instskip(NEXT) | instid1(VALU_DEP_2)
	v_lshlrev_b64 v[2:3], 1, v[2:3]
	v_or3_b32 v1, v6, v7, v1
	s_waitcnt lgkmcnt(0)
	s_add_u32 s3, s20, s22
	s_addc_u32 s4, s21, s23
	s_delay_alu instid0(VALU_DEP_2) | instskip(SKIP_1) | instid1(VALU_DEP_2)
	v_add_co_u32 v2, vcc_lo, s3, v2
	v_add_co_ci_u32_e32 v3, vcc_lo, s4, v3, vcc_lo
	v_add_co_u32 v2, vcc_lo, v2, v65
	s_delay_alu instid0(VALU_DEP_2)
	v_add_co_ci_u32_e32 v3, vcc_lo, 0, v3, vcc_lo
	global_load_b128 v[2:5], v[2:3], off
	s_waitcnt vmcnt(0)
	ds_store_b128 v1, v[2:5]
.LBB1120_10:
	s_or_b32 exec_lo, exec_lo, s7
	v_and_b32_e32 v1, 0xef, v0
	s_add_i32 s3, s18, 15
	s_clause 0x1
	s_load_b32 s4, s[0:1], 0x38
	s_load_b32 s35, s[0:1], 0x98
	s_ashr_i32 s7, s3, 31
	v_add_nc_u32_e32 v1, s16, v1
	s_lshr_b32 s7, s7, 28
	s_load_b32 s19, s[0:1], 0x1c
	s_add_i32 s3, s3, s7
	s_waitcnt lgkmcnt(0)
	v_ashrrev_i32_e32 v2, 31, v1
	v_or_b32_e32 v3, 16, v1
	s_ashr_i32 s3, s3, 4
	v_cmp_gt_i32_e32 vcc_lo, s18, v1
	s_add_i32 s3, s3, -1
	v_lshrrev_b32_e32 v2, 28, v2
	s_barrier
	buffer_gl0_inv
	s_mul_i32 s15, s15, s6
	v_mul_lo_u16 v103, 0x56, v68
	v_add_nc_u32_e32 v4, v1, v2
	v_mbcnt_lo_u32_b32 v127, -1, 0
	s_mul_i32 s20, s34, s4
	s_delay_alu instid0(SALU_CYCLE_1) | instskip(NEXT) | instid1(VALU_DEP_2)
	s_ashr_i32 s21, s20, 31
	v_ashrrev_i32_e32 v4, 4, v4
	v_add_nc_u32_e32 v2, v3, v2
	s_lshl_b64 s[20:21], s[20:21], 2
	v_lshrrev_b16 v103, 8, v103
	s_add_u32 s17, s12, s20
	v_cndmask_b32_e32 v1, s3, v4, vcc_lo
	v_ashrrev_i32_e32 v2, 4, v2
	v_cmp_gt_i32_e32 vcc_lo, s18, v3
	s_addc_u32 s13, s13, s21
	s_ashr_i32 s20, s15, 31
	s_add_u32 s4, s8, s15
	s_addc_u32 s12, s9, s20
	v_cndmask_b32_e32 v3, s3, v2, vcc_lo
	v_ashrrev_i32_e32 v2, 31, v1
	s_lshl_b32 s6, s14, 4
	v_mul_lo_u16 v103, v103, 3
	s_ashr_i32 s7, s6, 31
	v_ashrrev_i32_e32 v4, 31, v3
	v_lshlrev_b64 v[1:2], 2, v[1:2]
	s_lshl_b64 s[6:7], s[6:7], 2
	v_sub_nc_u16 v103, v68, v103
	s_add_u32 s6, s17, s6
	v_lshlrev_b64 v[3:4], 2, v[3:4]
	s_addc_u32 s7, s13, s7
	v_add_co_u32 v1, vcc_lo, s17, v1
	v_add_co_ci_u32_e32 v2, vcc_lo, s13, v2, vcc_lo
	s_delay_alu instid0(VALU_DEP_3) | instskip(NEXT) | instid1(VALU_DEP_4)
	v_add_co_u32 v3, vcc_lo, s17, v3
	v_add_co_ci_u32_e32 v4, vcc_lo, s13, v4, vcc_lo
	s_clause 0x1
	global_load_b32 v5, v[1:2], off
	global_load_b32 v7, v[3:4], off
	s_or_b32 s8, s16, 32
	v_lshlrev_b32_e32 v1, 4, v0
	s_ashr_i32 s9, s8, 4
	s_cmp_lt_i32 s8, s18
	v_xor_b32_e32 v128, 16, v127
	s_cselect_b32 s8, s9, s3
	v_and_b32_e32 v1, 0xf0, v1
	s_ashr_i32 s9, s8, 31
	s_delay_alu instid0(SALU_CYCLE_1)
	s_lshl_b64 s[8:9], s[8:9], 2
	v_cmp_gt_i32_e32 vcc_lo, 32, v128
	s_add_u32 s8, s17, s8
	s_addc_u32 s9, s13, s9
	s_or_b32 s21, s16, 64
	v_add_co_u32 v1, s4, s4, v1
	s_ashr_i32 s22, s21, 4
	s_cmp_lt_i32 s21, s18
	v_add_co_ci_u32_e64 v2, null, s12, 0, s4
	s_cselect_b32 s22, s22, s3
	v_dual_cndmask_b32 v136, v127, v128 :: v_dual_and_b32 v103, 0xff, v103
	s_ashr_i32 s23, s22, 31
	s_delay_alu instid0(SALU_CYCLE_1) | instskip(NEXT) | instid1(VALU_DEP_1)
	s_lshl_b64 s[22:23], s[22:23], 2
	v_lshlrev_b32_e32 v115, 6, v103
	s_add_u32 s22, s17, s22
	s_addc_u32 s23, s13, s23
	s_or_b32 s21, s16, 0x60
	s_delay_alu instid0(SALU_CYCLE_1) | instskip(SKIP_2) | instid1(SALU_CYCLE_1)
	s_ashr_i32 s24, s21, 4
	s_cmp_lt_i32 s21, s18
	s_cselect_b32 s24, s24, s3
	s_ashr_i32 s25, s24, 31
	s_delay_alu instid0(SALU_CYCLE_1) | instskip(NEXT) | instid1(SALU_CYCLE_1)
	s_lshl_b64 s[24:25], s[24:25], 2
	s_add_u32 s24, s17, s24
	s_addc_u32 s25, s13, s25
	s_or_b32 s21, s16, 0x80
	s_delay_alu instid0(SALU_CYCLE_1) | instskip(SKIP_2) | instid1(SALU_CYCLE_1)
	s_ashr_i32 s26, s21, 4
	s_cmp_lt_i32 s21, s18
	s_cselect_b32 s26, s26, s3
	s_ashr_i32 s27, s26, 31
	s_delay_alu instid0(SALU_CYCLE_1) | instskip(NEXT) | instid1(SALU_CYCLE_1)
	s_lshl_b64 s[26:27], s[26:27], 2
	;; [unrolled: 10-line block ×3, first 2 shown]
	s_add_u32 s28, s17, s28
	s_addc_u32 s29, s13, s29
	s_clause 0x5
	s_load_b32 s12, s[6:7], 0x0
	s_load_b32 s4, s[8:9], 0x0
	;; [unrolled: 1-line block ×6, first 2 shown]
	s_or_b32 s21, s16, 0xc0
	s_delay_alu instid0(SALU_CYCLE_1) | instskip(SKIP_2) | instid1(SALU_CYCLE_1)
	s_ashr_i32 s22, s21, 4
	s_cmp_lt_i32 s21, s18
	s_cselect_b32 s22, s22, s3
	s_ashr_i32 s23, s22, 31
	s_delay_alu instid0(SALU_CYCLE_1) | instskip(NEXT) | instid1(SALU_CYCLE_1)
	s_lshl_b64 s[22:23], s[22:23], 2
	s_add_u32 s22, s17, s22
	s_addc_u32 s23, s13, s23
	s_or_b32 s21, s16, 0xe0
	s_delay_alu instid0(SALU_CYCLE_1) | instskip(SKIP_2) | instid1(SALU_CYCLE_1)
	s_ashr_i32 s24, s21, 4
	s_cmp_lt_i32 s21, s18
	s_cselect_b32 s24, s24, s3
	s_ashr_i32 s25, s24, 31
	s_delay_alu instid0(SALU_CYCLE_1)
	s_lshl_b64 s[24:25], s[24:25], 2
	s_waitcnt vmcnt(1)
	v_mad_i64_i32 v[3:4], null, v5, s5, v[1:2]
	s_waitcnt vmcnt(0)
	v_mad_i64_i32 v[5:6], null, v7, s5, v[1:2]
	v_lshlrev_b32_e32 v1, 4, v68
	s_clause 0x7
	global_load_b128 v[71:74], v[3:4], off
	global_load_b128 v[75:78], v[3:4], off offset:256
	global_load_b128 v[79:82], v[5:6], off
	global_load_b128 v[83:86], v[5:6], off offset:256
	global_load_b128 v[87:90], v[3:4], off offset:512
	;; [unrolled: 1-line block ×5, first 2 shown]
	v_lshl_or_b32 v1, v69, 8, v1
	s_load_b32 s3, s[22:23], 0x0
	s_add_u32 s22, s17, s24
	s_addc_u32 s23, s13, s25
	s_add_u32 s10, s10, s15
	s_addc_u32 s11, s11, s20
	v_add_co_u32 v1, s10, s10, v1
	s_delay_alu instid0(VALU_DEP_1) | instskip(SKIP_2) | instid1(VALU_DEP_1)
	v_add_co_ci_u32_e64 v2, null, s11, 0, s10
	s_load_b32 s10, s[22:23], 0x0
	s_waitcnt lgkmcnt(0)
	v_mad_i64_i32 v[3:4], null, s12, s5, v[1:2]
	v_mad_i64_i32 v[9:10], null, s7, s5, v[1:2]
	;; [unrolled: 1-line block ×7, first 2 shown]
	s_clause 0x5
	global_load_b128 v[49:52], v[3:4], off
	global_load_b128 v[53:56], v[3:4], off offset:16
	global_load_b128 v[41:44], v[5:6], off
	global_load_b128 v[45:48], v[5:6], off offset:16
	;; [unrolled: 2-line block ×3, first 2 shown]
	s_mov_b32 s4, 0
	v_mad_i64_i32 v[61:62], null, s10, s5, v[1:2]
	s_clause 0x9
	global_load_b128 v[1:4], v[9:10], off
	global_load_b128 v[5:8], v[9:10], off offset:16
	global_load_b128 v[9:12], v[13:14], off
	global_load_b128 v[13:16], v[13:14], off offset:16
	;; [unrolled: 2-line block ×5, first 2 shown]
	s_mov_b32 s5, s4
	s_mov_b32 s6, s4
	;; [unrolled: 1-line block ×7, first 2 shown]
	v_and_b32_e32 v104, 0xe0, v0
	v_dual_mov_b32 v126, s11 :: v_dual_mov_b32 v123, s8
	v_dual_mov_b32 v125, s10 :: v_dual_mov_b32 v124, s9
	s_delay_alu instid0(VALU_DEP_3)
	v_add_nc_u32_e32 v111, s16, v104
	ds_load_b128 v[103:106], v115
	ds_load_b128 v[107:110], v115 offset:1024
	v_dual_mov_b32 v122, s7 :: v_dual_mov_b32 v121, s6
	v_mov_b32_e32 v120, s5
	v_or_b32_e32 v135, v111, v66
	ds_load_b128 v[111:114], v115 offset:2048
	ds_load_b128 v[115:118], v115 offset:3072
	v_mov_b32_e32 v119, s4
	s_waitcnt vmcnt(0) lgkmcnt(0)
	s_barrier
	v_or_b32_e32 v137, 2, v135
	v_or_b32_e32 v138, 4, v135
	;; [unrolled: 1-line block ×3, first 2 shown]
	v_cmp_gt_i32_e32 vcc_lo, s18, v135
	v_or_b32_e32 v140, 8, v135
	v_cmp_gt_i32_e64 s3, s18, v137
	v_or_b32_e32 v141, 10, v135
	v_cmp_gt_i32_e64 s4, s18, v138
	v_cmp_gt_i32_e64 s5, s18, v139
	v_or_b32_e32 v142, 12, v135
	v_or_b32_e32 v143, 14, v135
	v_cmp_gt_i32_e64 s6, s18, v140
	v_cmp_gt_i32_e64 s7, s18, v141
	v_or_b32_e32 v144, 16, v135
	v_or_b32_e32 v145, 18, v135
	v_cmp_gt_i32_e64 s8, s18, v142
	v_cmp_gt_i32_e64 s9, s18, v143
	buffer_gl0_inv
	v_cmp_gt_i32_e64 s10, s18, v144
	v_cmp_gt_i32_e64 s11, s18, v145
	v_wmma_f32_16x16x16_f16 v[127:134], v[71:78], v[103:110], v[119:126]
	v_wmma_f32_16x16x16_f16 v[119:126], v[79:86], v[103:110], v[119:126]
	v_or_b32_e32 v71, 20, v135
	v_or_b32_e32 v72, 22, v135
	s_delay_alu instid0(VALU_DEP_4)
	v_wmma_f32_16x16x16_f16 v[127:134], v[87:94], v[111:118], v[127:134]
	v_or_b32_e32 v73, 24, v135
	v_wmma_f32_16x16x16_f16 v[119:126], v[95:102], v[111:118], v[119:126]
	v_or_b32_e32 v74, 26, v135
	v_cmp_gt_i32_e64 s12, s18, v71
	v_dual_mul_f32 v83, s19, v128 :: v_dual_mul_f32 v84, s19, v127
	s_delay_alu instid0(VALU_DEP_4) | instskip(SKIP_1) | instid1(VALU_DEP_3)
	v_dual_mul_f32 v81, s19, v130 :: v_dual_mul_f32 v92, s19, v119
	v_mul_f32_e32 v82, s19, v129
	v_cndmask_b32_e64 v83, 0xff7fffff, v83, s3
	s_delay_alu instid0(VALU_DEP_4)
	v_cndmask_b32_e32 v84, 0xff7fffff, v84, vcc_lo
	v_dual_mul_f32 v79, s19, v132 :: v_dual_mul_f32 v90, s19, v121
	v_mul_f32_e32 v80, s19, v131
	v_cndmask_b32_e64 v82, 0xff7fffff, v82, s4
	v_cndmask_b32_e64 v81, 0xff7fffff, v81, s5
	v_max3_f32 v83, v84, 0xff7fffff, v83
	v_dual_mul_f32 v77, s19, v134 :: v_dual_mul_f32 v88, s19, v123
	v_mul_f32_e32 v78, s19, v133
	v_cndmask_b32_e64 v80, 0xff7fffff, v80, s6
	v_cndmask_b32_e64 v79, 0xff7fffff, v79, s7
	v_max3_f32 v81, v83, v82, v81
	v_mul_f32_e32 v91, s19, v120
	v_cndmask_b32_e64 v78, 0xff7fffff, v78, s8
	v_cndmask_b32_e64 v77, 0xff7fffff, v77, s9
	v_mul_f32_e32 v89, s19, v122
	v_max3_f32 v79, v81, v80, v79
	v_cndmask_b32_e64 v80, 0xff7fffff, v92, s10
	v_cndmask_b32_e64 v81, 0xff7fffff, v91, s11
	v_cmp_gt_i32_e64 s13, s18, v72
	v_or_b32_e32 v75, 28, v135
	v_max3_f32 v77, v79, v78, v77
	v_or_b32_e32 v76, 30, v135
	v_mul_f32_e32 v87, s19, v124
	v_cndmask_b32_e64 v71, 0xff7fffff, v90, s12
	v_cndmask_b32_e64 v72, 0xff7fffff, v89, s13
	v_max3_f32 v77, v77, v80, v81
	v_cmp_gt_i32_e64 s15, s18, v73
	v_cmp_gt_i32_e64 s16, s18, v74
	v_dual_mul_f32 v85, s19, v126 :: v_dual_mul_f32 v86, s19, v125
	s_delay_alu instid0(VALU_DEP_4) | instskip(NEXT) | instid1(VALU_DEP_4)
	v_max3_f32 v71, v77, v71, v72
	v_cndmask_b32_e64 v73, 0xff7fffff, v88, s15
	s_delay_alu instid0(VALU_DEP_4) | instskip(SKIP_2) | instid1(VALU_DEP_3)
	v_cndmask_b32_e64 v74, 0xff7fffff, v87, s16
	v_cmp_gt_i32_e64 s17, s18, v75
	v_cmp_gt_i32_e64 s18, s18, v76
	v_max3_f32 v71, v71, v73, v74
	s_delay_alu instid0(VALU_DEP_3) | instskip(NEXT) | instid1(VALU_DEP_3)
	v_cndmask_b32_e64 v72, 0xff7fffff, v86, s17
	v_cndmask_b32_e64 v75, 0xff7fffff, v85, s18
	v_lshlrev_b32_e32 v73, 2, v136
	s_delay_alu instid0(VALU_DEP_2) | instskip(SKIP_3) | instid1(VALU_DEP_1)
	v_max3_f32 v71, v71, v72, v75
	ds_bpermute_b32 v72, v73, v71
	s_waitcnt lgkmcnt(0)
	v_max_f32_e32 v72, v72, v72
	v_max_f32_e32 v71, v71, v72
	s_delay_alu instid0(VALU_DEP_1)
	v_fma_f32 v72, s19, v127, -v71
	v_fma_f32 v74, s19, v128, -v71
	;; [unrolled: 1-line block ×5, first 2 shown]
	v_mul_f32_e32 v72, 0x3fb8aa3b, v72
	v_mul_f32_e32 v74, 0x3fb8aa3b, v74
	v_fma_f32 v80, s19, v133, -v71
	s_delay_alu instid0(VALU_DEP_4) | instskip(NEXT) | instid1(VALU_DEP_4)
	v_dual_mul_f32 v76, 0x3fb8aa3b, v76 :: v_dual_mul_f32 v77, 0x3fb8aa3b, v77
	v_exp_f32_e32 v72, v72
	s_delay_alu instid0(VALU_DEP_3) | instskip(NEXT) | instid1(VALU_DEP_2)
	v_exp_f32_e32 v74, v74
	v_mul_f32_e32 v82, 0x3fb8aa3b, v80
	s_delay_alu instid0(VALU_DEP_2) | instskip(SKIP_1) | instid1(VALU_DEP_1)
	v_exp_f32_e32 v76, v76
	v_exp_f32_e32 v77, v77
	;; [unrolled: 1-line block ×3, first 2 shown]
	v_cndmask_b32_e32 v79, 0, v72, vcc_lo
	v_fma_f32 v72, s19, v132, -v71
	v_mul_f32_e32 v75, 0x3fb8aa3b, v75
	v_cndmask_b32_e64 v78, 0, v74, s3
	s_delay_alu instid0(TRANS32_DEP_3)
	v_cndmask_b32_e64 v80, 0, v76, s5
	v_add_f32_e32 v74, 0, v79
	v_mul_f32_e32 v72, 0x3fb8aa3b, v72
	v_exp_f32_e32 v75, v75
	v_cndmask_b32_e64 v83, 0, v77, s6
	v_cndmask_b32_e64 v85, 0, v84, s8
	v_add_f32_e32 v74, v74, v78
	v_exp_f32_e32 v72, v72
	v_cmp_gt_u32_e64 s3, 16, v70
	s_waitcnt_depctr 0xfff
	v_cndmask_b32_e64 v81, 0, v75, s4
	v_cndmask_b32_e64 v82, 0, v72, s7
	s_delay_alu instid0(VALU_DEP_2) | instskip(NEXT) | instid1(VALU_DEP_1)
	v_add_f32_e32 v74, v74, v81
	v_add_f32_e32 v74, v74, v80
	s_delay_alu instid0(VALU_DEP_1) | instskip(SKIP_4) | instid1(VALU_DEP_4)
	v_add_f32_e32 v72, v74, v83
	v_fma_f32 v75, s19, v134, -v71
	v_fma_f32 v76, s19, v119, -v71
	;; [unrolled: 1-line block ×4, first 2 shown]
	v_dual_add_f32 v72, v72, v82 :: v_dual_mul_f32 v75, 0x3fb8aa3b, v75
	s_delay_alu instid0(VALU_DEP_3) | instskip(SKIP_1) | instid1(VALU_DEP_3)
	v_dual_mul_f32 v76, 0x3fb8aa3b, v76 :: v_dual_mul_f32 v77, 0x3fb8aa3b, v77
	v_fma_f32 v86, s19, v122, -v71
	v_add_f32_e32 v72, v72, v85
	s_delay_alu instid0(VALU_DEP_4) | instskip(NEXT) | instid1(VALU_DEP_3)
	v_exp_f32_e32 v75, v75
	v_exp_f32_e32 v76, v76
	;; [unrolled: 1-line block ×3, first 2 shown]
	v_mul_f32_e32 v86, 0x3fb8aa3b, v86
	s_delay_alu instid0(VALU_DEP_1) | instskip(SKIP_3) | instid1(TRANS32_DEP_3)
	v_exp_f32_e32 v88, v86
	v_cndmask_b32_e64 v84, 0, v75, s9
	v_fma_f32 v75, s19, v123, -v71
	v_mul_f32_e32 v74, 0x3fb8aa3b, v74
	v_cndmask_b32_e64 v87, 0, v76, s10
	v_fma_f32 v76, s19, v124, -v71
	s_delay_alu instid0(VALU_DEP_4) | instskip(NEXT) | instid1(VALU_DEP_4)
	v_dual_add_f32 v72, v72, v84 :: v_dual_mul_f32 v75, 0x3fb8aa3b, v75
	v_exp_f32_e32 v74, v74
	v_cndmask_b32_e64 v86, 0, v77, s11
	v_fma_f32 v77, s19, v125, -v71
	s_delay_alu instid0(VALU_DEP_3) | instskip(SKIP_3) | instid1(VALU_DEP_3)
	v_add_f32_e32 v72, v72, v87
	v_mul_f32_e32 v76, 0x3fb8aa3b, v76
	v_exp_f32_e32 v75, v75
	v_cndmask_b32_e64 v88, 0, v88, s13
	v_add_f32_e32 v72, v72, v86
	s_delay_alu instid0(VALU_DEP_3) | instskip(NEXT) | instid1(TRANS32_DEP_3)
	v_exp_f32_e32 v76, v76
	v_cndmask_b32_e64 v89, 0, v74, s12
	v_mul_f32_e32 v74, 0x3fb8aa3b, v77
	v_fma_f32 v77, s19, v126, -v71
	s_delay_alu instid0(VALU_DEP_3) | instskip(NEXT) | instid1(VALU_DEP_3)
	v_add_f32_e32 v72, v72, v89
	v_exp_f32_e32 v74, v74
	s_delay_alu instid0(TRANS32_DEP_3) | instskip(NEXT) | instid1(VALU_DEP_3)
	v_cndmask_b32_e64 v91, 0, v75, s15
	v_mul_f32_e32 v75, 0x3fb8aa3b, v77
	s_delay_alu instid0(TRANS32_DEP_2) | instskip(SKIP_1) | instid1(VALU_DEP_3)
	v_cndmask_b32_e64 v90, 0, v76, s16
	v_add_f32_e32 v72, v72, v88
	v_exp_f32_e32 v75, v75
	s_delay_alu instid0(VALU_DEP_1) | instskip(NEXT) | instid1(TRANS32_DEP_2)
	v_add_f32_e32 v72, v72, v91
	v_cndmask_b32_e64 v93, 0, v74, s17
	s_delay_alu instid0(VALU_DEP_2) | instskip(SKIP_3) | instid1(VALU_DEP_1)
	v_add_f32_e32 v72, v72, v90
	s_waitcnt_depctr 0xfff
	v_cndmask_b32_e64 v92, 0, v75, s18
	v_add_f32_e32 v72, v72, v93
	v_add_f32_e32 v72, v72, v92
	ds_bpermute_b32 v73, v73, v72
	s_and_saveexec_b32 s4, s3
	s_cbranch_execz .LBB1120_12
; %bb.11:
	v_mul_u32_u24_e32 v70, 0x44, v69
	s_waitcnt lgkmcnt(0)
	v_add_f32_e32 v72, v72, v73
	s_delay_alu instid0(VALU_DEP_2) | instskip(NEXT) | instid1(VALU_DEP_1)
	v_lshl_add_u32 v70, v68, 2, v70
	v_add_nc_u32_e32 v70, 0x4000, v70
	ds_store_2addr_b32 v70, v71, v72 offset1:136
.LBB1120_12:
	s_or_b32 exec_lo, exec_lo, s4
	v_lshlrev_b32_e32 v70, 2, v68
	s_load_b32 s36, s[0:1], 0x94
	s_waitcnt lgkmcnt(0)
	s_barrier
	buffer_gl0_inv
	v_add_nc_u32_e32 v98, 0x4000, v70
	v_cmp_eq_u32_e32 vcc_lo, 1, v69
	v_cmp_eq_u32_e64 s4, 2, v69
	v_cmp_eq_u32_e64 s5, 3, v69
	;; [unrolled: 1-line block ×3, first 2 shown]
	ds_load_2addr_b32 v[70:71], v98 offset1:17
	ds_load_2addr_b32 v[72:73], v98 offset0:34 offset1:51
	ds_load_2addr_b32 v[74:75], v98 offset0:68 offset1:85
	;; [unrolled: 1-line block ×3, first 2 shown]
	v_cmp_eq_u32_e64 s7, 5, v69
	v_cmp_eq_u32_e64 s8, 7, v69
	s_waitcnt lgkmcnt(3)
	v_max3_f32 v76, v70, 0xff7fffff, v71
	s_waitcnt lgkmcnt(2)
	s_delay_alu instid0(VALU_DEP_1) | instskip(SKIP_1) | instid1(VALU_DEP_1)
	v_max3_f32 v76, v76, v72, v73
	s_waitcnt lgkmcnt(1)
	v_max3_f32 v76, v76, v74, v75
	s_waitcnt lgkmcnt(0)
	s_delay_alu instid0(VALU_DEP_1) | instskip(NEXT) | instid1(VALU_DEP_1)
	v_max3_f32 v76, v76, v94, v95
	v_sub_f32_e32 v77, v71, v76
	ds_load_2addr_b32 v[96:97], v98 offset0:136 offset1:153
	v_sub_f32_e32 v74, v74, v76
	v_sub_f32_e32 v70, v70, v76
	;; [unrolled: 1-line block ×3, first 2 shown]
	v_dual_sub_f32 v72, v72, v76 :: v_dual_mul_f32 v77, 0x3fb8aa3b, v77
	s_delay_alu instid0(VALU_DEP_4) | instskip(NEXT) | instid1(VALU_DEP_4)
	v_mul_f32_e32 v103, 0x3fb8aa3b, v74
	v_mul_f32_e32 v99, 0x3fb8aa3b, v70
	ds_load_2addr_b32 v[70:71], v98 offset0:170 offset1:187
	v_dual_mul_f32 v101, 0x3fb8aa3b, v72 :: v_dual_mul_f32 v94, 0x3fb8aa3b, v94
	v_exp_f32_e32 v102, v77
	v_exp_f32_e32 v99, v99
	s_delay_alu instid0(VALU_DEP_1) | instskip(NEXT) | instid1(VALU_DEP_1)
	v_exp_f32_e32 v101, v101
	v_exp_f32_e32 v94, v94
	s_waitcnt lgkmcnt(1)
	s_delay_alu instid0(TRANS32_DEP_3)
	v_fma_f32 v77, v99, v96, 0
	v_sub_f32_e32 v100, v73, v76
	ds_load_2addr_b32 v[72:73], v98 offset0:204 offset1:221
	v_fmac_f32_e32 v77, v102, v97
	v_exp_f32_e32 v97, v103
	s_waitcnt lgkmcnt(1)
	s_delay_alu instid0(VALU_DEP_1)
	v_dual_fmac_f32 v77, v101, v70 :: v_dual_sub_f32 v96, v75, v76
	ds_load_2addr_b32 v[74:75], v98 offset0:238 offset1:255
	v_sub_f32_e32 v70, v95, v76
	s_waitcnt lgkmcnt(0)
	s_barrier
	v_mul_f32_e32 v96, 0x3fb8aa3b, v96
	buffer_gl0_inv
	v_exp_f32_e32 v95, v96
	v_mul_f32_e32 v100, 0x3fb8aa3b, v100
	s_delay_alu instid0(VALU_DEP_1) | instskip(SKIP_3) | instid1(VALU_DEP_2)
	v_exp_f32_e32 v100, v100
	s_waitcnt_depctr 0xfff
	v_dual_fmac_f32 v77, v100, v71 :: v_dual_mul_f32 v70, 0x3fb8aa3b, v70
	v_cndmask_b32_e32 v71, v99, v102, vcc_lo
	v_fmac_f32_e32 v77, v97, v72
	s_delay_alu instid0(VALU_DEP_3) | instskip(NEXT) | instid1(VALU_DEP_1)
	v_exp_f32_e32 v96, v70
	v_fmac_f32_e32 v77, v95, v73
	s_delay_alu instid0(VALU_DEP_1) | instskip(SKIP_2) | instid1(VALU_DEP_1)
	v_fmac_f32_e32 v77, v94, v74
	s_waitcnt_depctr 0xfff
	v_fmac_f32_e32 v77, v96, v75
	v_add_f32_e32 v74, 0x358637bd, v77
	s_delay_alu instid0(VALU_DEP_1) | instskip(SKIP_1) | instid1(VALU_DEP_2)
	v_div_scale_f32 v98, null, v74, v74, 1.0
	v_div_scale_f32 v99, vcc_lo, 1.0, v74, 1.0
	v_rcp_f32_e32 v103, v98
	s_waitcnt_depctr 0xfff
	v_fma_f32 v70, -v98, v103, 1.0
	s_delay_alu instid0(VALU_DEP_1) | instskip(SKIP_2) | instid1(VALU_DEP_2)
	v_fmac_f32_e32 v103, v70, v103
	v_cndmask_b32_e64 v70, v71, v101, s4
	v_cmp_eq_u32_e64 s4, 6, v69
	v_cndmask_b32_e64 v71, v70, v100, s5
	s_delay_alu instid0(VALU_DEP_4) | instskip(NEXT) | instid1(VALU_DEP_2)
	v_dual_mul_f32 v101, v99, v103 :: v_dual_lshlrev_b32 v70, 2, v66
	v_cndmask_b32_e64 v71, v71, v97, s6
	s_delay_alu instid0(VALU_DEP_2) | instskip(NEXT) | instid1(VALU_DEP_3)
	v_or_b32_e32 v72, 1, v70
	v_fma_f32 v100, -v98, v101, v99
	v_cmp_eq_u32_e64 s5, 1, v70
	v_cmp_eq_u32_e64 s6, 2, v70
	v_cndmask_b32_e64 v95, v71, v95, s7
	v_or_b32_e32 v71, 3, v70
	v_fmac_f32_e32 v101, v100, v103
	v_cmp_eq_u32_e64 s10, 1, v72
	v_cmp_eq_u32_e64 s13, 2, v72
	v_cndmask_b32_e64 v94, v95, v94, s4
	v_cmp_eq_u32_e64 s12, 1, v71
	v_fma_f32 v97, -v98, v101, v99
	v_cmp_eq_u32_e64 s17, 2, v71
	v_cmp_eq_u32_e64 s15, 3, v72
	v_cndmask_b32_e64 v94, v94, v96, s8
	v_cmp_eq_u32_e64 s19, 3, v71
	v_div_fmas_f32 v95, v97, v103, v101
	v_cmp_eq_u32_e32 vcc_lo, 3, v70
	v_cmp_eq_u32_e64 s4, 4, v70
	v_cmp_eq_u32_e64 s20, 4, v72
	;; [unrolled: 1-line block ×3, first 2 shown]
	v_div_fixup_f32 v95, v95, v74, 1.0
	v_lshlrev_b32_e32 v73, 6, v68
	v_cmp_eq_u32_e64 s7, 5, v70
	v_cmp_eq_u32_e64 s21, 5, v72
	;; [unrolled: 1-line block ×3, first 2 shown]
	v_mul_f32_e32 v102, v94, v95
	v_lshl_or_b32 v75, v69, 11, v73
	v_or_b32_e32 v69, 2, v70
	v_cmp_eq_u32_e64 s26, 6, v72
	v_cmp_eq_u32_e64 s28, 6, v71
	v_fma_mixlo_f16 v94, v102, v79, 0
	v_fma_mixlo_f16 v95, v102, v81, 0
	;; [unrolled: 1-line block ×8, first 2 shown]
	v_lshl_or_b32 v74, v66, 4, v75
	v_fma_mixhi_f16 v94, v102, v78, 0
	v_fma_mixhi_f16 v95, v102, v80, 0
	;; [unrolled: 1-line block ×8, first 2 shown]
	ds_store_b128 v74, v[94:97]
	ds_store_b128 v74, v[98:101] offset:1024
	s_waitcnt lgkmcnt(0)
	s_barrier
	buffer_gl0_inv
	ds_load_b128 v[78:81], v75
	ds_load_b128 v[82:85], v75 offset:16
	ds_load_b128 v[86:89], v75 offset:1024
	;; [unrolled: 1-line block ×3, first 2 shown]
	v_cmp_eq_u32_e64 s11, 1, v69
	v_cmp_eq_u32_e64 s16, 2, v69
	;; [unrolled: 1-line block ×11, first 2 shown]
	s_waitcnt lgkmcnt(3)
	v_lshrrev_b32_e32 v94, 16, v78
	s_waitcnt lgkmcnt(2)
	v_lshrrev_b32_e32 v98, 16, v82
	;; [unrolled: 2-line block ×4, first 2 shown]
	v_lshrrev_b32_e32 v95, 16, v79
	v_cndmask_b32_e64 v110, v78, v94, s5
	v_cndmask_b32_e64 v111, v82, v98, s5
	;; [unrolled: 1-line block ×8, first 2 shown]
	v_lshrrev_b32_e32 v99, 16, v83
	v_cndmask_b32_e64 v94, v86, v102, s5
	v_cndmask_b32_e64 v98, v90, v106, s5
	;; [unrolled: 1-line block ×15, first 2 shown]
	v_lshrrev_b32_e32 v103, 16, v87
	v_lshrrev_b32_e32 v107, 16, v91
	v_cndmask_b32_e64 v113, v115, v83, s16
	v_cndmask_b32_e64 v82, v94, v87, s6
	;; [unrolled: 1-line block ×7, first 2 shown]
	v_cndmask_b32_e32 v90, v102, v95, vcc_lo
	v_cndmask_b32_e32 v102, v106, v99, vcc_lo
	v_cndmask_b32_e64 v106, v110, v95, s15
	v_cndmask_b32_e64 v110, v111, v99, s15
	;; [unrolled: 1-line block ×4, first 2 shown]
	v_lshrrev_b32_e32 v96, 16, v80
	v_lshrrev_b32_e32 v100, 16, v84
	v_cndmask_b32_e64 v111, v112, v95, s18
	v_cndmask_b32_e64 v112, v113, v99, s18
	v_cndmask_b32_e32 v82, v82, v103, vcc_lo
	v_cndmask_b32_e32 v83, v83, v107, vcc_lo
	v_cndmask_b32_e64 v94, v94, v103, s15
	v_cndmask_b32_e64 v90, v90, v80, s4
	;; [unrolled: 1-line block ×7, first 2 shown]
	v_lshrrev_b32_e32 v104, 16, v88
	v_cndmask_b32_e64 v106, v111, v80, s22
	v_cndmask_b32_e64 v110, v112, v84, s22
	;; [unrolled: 1-line block ×11, first 2 shown]
	v_lshrrev_b32_e32 v97, 16, v81
	v_lshrrev_b32_e32 v101, 16, v85
	v_cndmask_b32_e64 v99, v106, v96, s24
	v_cndmask_b32_e64 v102, v110, v100, s24
	;; [unrolled: 1-line block ×7, first 2 shown]
	v_lshrrev_b32_e32 v105, 16, v89
	v_cndmask_b32_e64 v80, v80, v104, s7
	v_cndmask_b32_e64 v84, v84, v81, s8
	v_cndmask_b32_e64 v90, v90, v85, s8
	v_cndmask_b32_e64 v96, v99, v81, s27
	v_cndmask_b32_e64 v99, v102, v85, s27
	v_cndmask_b32_e64 v81, v83, v89, s26
	v_cndmask_b32_e64 v85, v94, v97, s31
	v_cndmask_b32_e64 v78, v78, v97, s30
	v_cndmask_b32_e64 v79, v79, v101, s30
	v_cndmask_b32_e64 v95, v95, v101, s31
	v_cndmask_b32_e64 v80, v80, v89, s8
	v_cndmask_b32_e64 v83, v84, v97, s9
	v_cndmask_b32_e64 v84, v90, v101, s9
	v_cndmask_b32_e64 v90, v96, v97, s29
	v_cndmask_b32_e64 v94, v99, v101, s29
	v_cndmask_b32_e64 v97, v81, v105, s31
	v_perm_b32 v81, v79, v78, 0x5040100
	v_perm_b32 v79, v95, v85, 0x5040100
	v_cndmask_b32_e64 v78, v119, v91, s16
	v_cndmask_b32_e64 v85, v117, v91, s13
	;; [unrolled: 1-line block ×3, first 2 shown]
	v_perm_b32 v80, v94, v90, 0x5040100
	v_cndmask_b32_e64 v90, v98, v103, s18
	v_cndmask_b32_e64 v86, v86, v103, s19
	;; [unrolled: 1-line block ×5, first 2 shown]
	v_lshrrev_b32_e32 v108, 16, v92
	v_cndmask_b32_e64 v90, v90, v88, s22
	v_cndmask_b32_e64 v86, v86, v88, s23
	;; [unrolled: 1-line block ×11, first 2 shown]
	v_lshrrev_b32_e32 v109, 16, v93
	v_cndmask_b32_e64 v82, v82, v93, s8
	v_cndmask_b32_e64 v88, v88, v89, s27
	;; [unrolled: 1-line block ×12, first 2 shown]
	v_perm_b32 v78, v84, v83, 0x5040100
	v_perm_b32 v85, v87, v86, 0x5040100
	;; [unrolled: 1-line block ×5, first 2 shown]
	s_mul_i32 s9, s35, 3
	s_mov_b32 s4, exec_lo
	ds_store_b128 v74, v[78:81]
	ds_store_b128 v74, v[82:85] offset:1024
	v_cmpx_gt_u32_e32 3, v0
	s_cbranch_execz .LBB1120_14
; %bb.13:
	s_mul_i32 s5, s9, s34
	s_load_b128 s[16:19], s[0:1], 0x58
	v_add3_u32 v68, s5, s33, v68
	s_delay_alu instid0(VALU_DEP_1) | instskip(NEXT) | instid1(VALU_DEP_1)
	v_mad_u64_u32 v[78:79], null, v68, s36, s[14:15]
	v_ashrrev_i32_e32 v79, 31, v78
	s_delay_alu instid0(VALU_DEP_1) | instskip(SKIP_1) | instid1(VALU_DEP_1)
	v_lshlrev_b64 v[78:79], 2, v[78:79]
	s_waitcnt lgkmcnt(0)
	v_add_co_u32 v80, vcc_lo, s18, v78
	s_delay_alu instid0(VALU_DEP_2)
	v_add_co_ci_u32_e32 v81, vcc_lo, s19, v79, vcc_lo
	v_add_co_u32 v78, vcc_lo, s16, v78
	v_add_co_ci_u32_e32 v79, vcc_lo, s17, v79, vcc_lo
	global_store_b32 v[80:81], v76, off
	global_store_b32 v[78:79], v77, off
.LBB1120_14:
	s_or_b32 exec_lo, exec_lo, s4
	s_waitcnt lgkmcnt(0)
	s_waitcnt_vscnt null, 0x0
	s_barrier
	buffer_gl0_inv
	ds_load_b128 v[84:87], v73
	ds_load_b128 v[88:91], v73 offset:16
	ds_load_b128 v[96:99], v73 offset:2064
	;; [unrolled: 1-line block ×5, first 2 shown]
	v_cmp_eq_u32_e32 vcc_lo, 1, v70
	v_mov_b32_e32 v76, 0
	ds_load_b128 v[112:115], v73 offset:6160
	ds_load_b128 v[108:111], v73 offset:6144
	;; [unrolled: 1-line block ×4, first 2 shown]
	v_cmp_eq_u32_e64 s5, 1, v69
	v_cmp_eq_u32_e64 s4, 1, v72
	;; [unrolled: 1-line block ×3, first 2 shown]
	v_mov_b32_e32 v77, v76
	v_mov_b32_e32 v78, v76
	;; [unrolled: 1-line block ×7, first 2 shown]
	v_cmp_eq_u32_e64 s7, 3, v72
	v_cmp_eq_u32_e64 s8, 7, v72
	s_waitcnt lgkmcnt(8)
	s_delay_alu instid0(VALU_DEP_3)
	v_wmma_f32_16x16x16_f16 v[76:83], v[49:56], v[84:91], v[76:83]
	ds_load_b128 v[53:56], v73 offset:10256
	ds_load_b128 v[49:52], v73 offset:10240
	s_waitcnt lgkmcnt(8)
	v_wmma_f32_16x16x16_f16 v[76:83], v[41:48], v[92:99], v[76:83]
	ds_load_b128 v[45:48], v73 offset:12304
	ds_load_b128 v[41:44], v73 offset:12288
	s_waitcnt lgkmcnt(8)
	v_wmma_f32_16x16x16_f16 v[76:83], v[33:40], v[100:107], v[76:83]
	ds_load_b128 v[37:40], v73 offset:14352
	ds_load_b128 v[33:36], v73 offset:14336
	s_waitcnt lgkmcnt(0)
	s_barrier
	buffer_gl0_inv
	v_wmma_f32_16x16x16_f16 v[76:83], v[1:8], v[108:115], v[76:83]
	s_delay_alu instid0(VALU_DEP_1) | instskip(NEXT) | instid1(VALU_DEP_1)
	v_wmma_f32_16x16x16_f16 v[76:83], v[9:16], v[116:123], v[76:83]
	v_wmma_f32_16x16x16_f16 v[76:83], v[17:24], v[49:56], v[76:83]
	s_delay_alu instid0(VALU_DEP_1) | instskip(NEXT) | instid1(VALU_DEP_1)
	v_wmma_f32_16x16x16_f16 v[76:83], v[25:32], v[41:48], v[76:83]
	v_wmma_f32_16x16x16_f16 v[76:83], v[57:64], v[33:40], v[76:83]
	s_delay_alu instid0(VALU_DEP_1) | instskip(NEXT) | instid1(VALU_DEP_2)
	v_cvt_f16_f32_e32 v1, v76
	v_cvt_f16_f32_e32 v2, v77
	s_delay_alu instid0(VALU_DEP_3) | instskip(NEXT) | instid1(VALU_DEP_4)
	v_cvt_f16_f32_e32 v3, v78
	v_cvt_f16_f32_e32 v4, v79
	;; [unrolled: 1-line block ×6, first 2 shown]
	v_pack_b32_f16 v1, v1, v2
	v_pack_b32_f16 v2, v3, v4
	v_pack_b32_f16 v3, v5, v6
	s_delay_alu instid0(VALU_DEP_4)
	v_pack_b32_f16 v4, v7, v8
	ds_store_b128 v74, v[1:4]
	s_waitcnt lgkmcnt(0)
	s_barrier
	buffer_gl0_inv
	ds_load_b128 v[1:4], v75
	ds_load_b128 v[5:8], v75 offset:16
	s_waitcnt lgkmcnt(1)
	v_lshrrev_b32_e32 v9, 16, v1
	s_waitcnt lgkmcnt(0)
	v_lshrrev_b32_e32 v13, 16, v5
	v_lshrrev_b32_e32 v10, 16, v2
	;; [unrolled: 1-line block ×4, first 2 shown]
	v_cndmask_b32_e32 v17, v1, v9, vcc_lo
	v_cndmask_b32_e32 v18, v5, v13, vcc_lo
	v_cndmask_b32_e64 v21, v1, v9, s5
	v_cmp_eq_u32_e32 vcc_lo, 1, v71
	v_cndmask_b32_e64 v22, v5, v13, s5
	v_cmp_eq_u32_e64 s5, 2, v70
	v_cndmask_b32_e64 v19, v1, v9, s4
	v_cndmask_b32_e64 v20, v5, v13, s4
	v_cndmask_b32_e32 v1, v1, v9, vcc_lo
	v_cmp_eq_u32_e64 s4, 2, v71
	v_cndmask_b32_e32 v5, v5, v13, vcc_lo
	v_cndmask_b32_e64 v9, v17, v2, s5
	v_cmp_eq_u32_e32 vcc_lo, 3, v70
	v_cndmask_b32_e64 v13, v18, v6, s5
	v_cmp_eq_u32_e64 s5, 2, v69
	v_cndmask_b32_e64 v17, v19, v2, s6
	v_cndmask_b32_e64 v18, v20, v6, s6
	v_cmp_eq_u32_e64 s6, 3, v69
	v_cndmask_b32_e64 v1, v1, v2, s4
	v_cndmask_b32_e64 v19, v21, v2, s5
	;; [unrolled: 1-line block ×4, first 2 shown]
	v_cndmask_b32_e32 v5, v9, v10, vcc_lo
	v_cndmask_b32_e32 v6, v13, v14, vcc_lo
	v_cmp_eq_u32_e32 vcc_lo, 3, v71
	v_cndmask_b32_e64 v9, v17, v10, s7
	v_cndmask_b32_e64 v13, v18, v14, s7
	;; [unrolled: 1-line block ×3, first 2 shown]
	v_cmp_eq_u32_e64 s5, 4, v70
	v_cndmask_b32_e32 v1, v1, v10, vcc_lo
	v_cndmask_b32_e32 v2, v2, v14, vcc_lo
	v_cmp_eq_u32_e32 vcc_lo, 4, v72
	v_lshrrev_b32_e32 v15, 16, v7
	v_lshrrev_b32_e32 v16, 16, v8
	v_cndmask_b32_e64 v17, v19, v10, s6
	v_cmp_eq_u32_e64 s4, 4, v71
	v_cndmask_b32_e64 v5, v5, v3, s5
	v_cndmask_b32_e64 v6, v6, v7, s5
	v_cndmask_b32_e32 v9, v9, v3, vcc_lo
	v_cmp_eq_u32_e64 s5, 5, v72
	v_cndmask_b32_e32 v10, v13, v7, vcc_lo
	v_cmp_eq_u32_e32 vcc_lo, 4, v69
	v_cmp_eq_u32_e64 s6, 5, v70
	v_cndmask_b32_e64 v2, v2, v7, s4
	v_cndmask_b32_e64 v9, v9, v11, s5
	v_cndmask_b32_e64 v10, v10, v15, s5
	v_cndmask_b32_e32 v13, v17, v3, vcc_lo
	v_cmp_eq_u32_e64 s5, 5, v69
	v_cndmask_b32_e32 v14, v18, v7, vcc_lo
	v_cndmask_b32_e64 v1, v1, v3, s4
	v_cmp_eq_u32_e32 vcc_lo, 5, v71
	v_lshrrev_b32_e32 v12, 16, v4
	v_cndmask_b32_e64 v13, v13, v11, s5
	v_cndmask_b32_e64 v3, v14, v15, s5
	v_cmp_eq_u32_e64 s5, 6, v71
	v_cndmask_b32_e32 v1, v1, v11, vcc_lo
	v_cndmask_b32_e64 v5, v5, v11, s6
	v_cmp_eq_u32_e64 s7, 6, v70
	v_cndmask_b32_e64 v6, v6, v15, s6
	v_cmp_eq_u32_e64 s6, 6, v72
	v_cmp_eq_u32_e64 s4, 6, v69
	v_cndmask_b32_e64 v1, v1, v4, s5
	v_cndmask_b32_e32 v2, v2, v15, vcc_lo
	v_cmp_eq_u32_e32 vcc_lo, 7, v71
	v_cndmask_b32_e64 v5, v5, v4, s7
	v_cndmask_b32_e64 v9, v9, v4, s6
	v_cndmask_b32_e64 v6, v6, v8, s7
	v_cmp_eq_u32_e64 s7, 7, v70
	v_cndmask_b32_e32 v1, v1, v12, vcc_lo
	v_cndmask_b32_e64 v7, v13, v4, s4
	v_cndmask_b32_e64 v3, v3, v8, s4
	;; [unrolled: 1-line block ×3, first 2 shown]
	v_cmp_eq_u32_e64 s4, 7, v69
	v_cndmask_b32_e64 v4, v10, v8, s6
	v_cndmask_b32_e64 v5, v5, v12, s7
	v_cndmask_b32_e64 v9, v9, v12, s8
	v_cndmask_b32_e32 v2, v2, v16, vcc_lo
	v_cndmask_b32_e64 v7, v7, v12, s4
	v_cndmask_b32_e64 v3, v3, v16, s4
	;; [unrolled: 1-line block ×4, first 2 shown]
	v_cmp_gt_u32_e32 vcc_lo, 32, v0
	v_perm_b32 v4, v2, v1, 0x5040100
	v_perm_b32 v3, v3, v7, 0x5040100
	;; [unrolled: 1-line block ×4, first 2 shown]
	s_and_b32 s2, vcc_lo, s2
	ds_store_b128 v74, v[1:4]
	s_waitcnt lgkmcnt(0)
	s_barrier
	buffer_gl0_inv
	s_and_saveexec_b32 s4, s2
	s_cbranch_execz .LBB1120_2
; %bb.15:
	s_load_b64 s[4:5], s[0:1], 0x68
	v_lshlrev_b32_e32 v0, 10, v0
	v_lshlrev_b32_e32 v2, 4, v67
	v_add_nc_u32_e32 v1, s33, v66
	s_lshl_b32 s0, s36, 6
	s_delay_alu instid0(SALU_CYCLE_1) | instskip(NEXT) | instid1(VALU_DEP_2)
	s_mul_i32 s1, s0, s34
	v_and_or_b32 v0, 0x3800, v0, v2
	s_mul_i32 s6, s1, s9
	v_mul_lo_u32 v1, v1, s0
	s_ashr_i32 s7, s6, 31
	s_delay_alu instid0(VALU_DEP_2) | instskip(SKIP_1) | instid1(VALU_DEP_2)
	v_lshl_or_b32 v3, v66, 6, v0
	s_lshl_b64 s[6:7], s[6:7], 1
	v_ashrrev_i32_e32 v2, 31, v1
	ds_load_b128 v[3:6], v3
	s_waitcnt lgkmcnt(0)
	s_add_u32 s1, s4, s6
	s_addc_u32 s2, s5, s7
	s_lshl_b32 s4, s14, 6
	v_lshlrev_b64 v[7:8], 1, v[1:2]
	s_ashr_i32 s5, s4, 31
	s_delay_alu instid0(SALU_CYCLE_1) | instskip(NEXT) | instid1(SALU_CYCLE_1)
	s_lshl_b64 s[4:5], s[4:5], 1
	s_add_u32 s1, s1, s4
	s_addc_u32 s2, s2, s5
	v_add_co_u32 v1, s1, s1, v65
	s_delay_alu instid0(VALU_DEP_1) | instskip(NEXT) | instid1(VALU_DEP_2)
	v_add_co_ci_u32_e64 v2, null, s2, 0, s1
	v_add_co_u32 v7, vcc_lo, v1, v7
	s_delay_alu instid0(VALU_DEP_2)
	v_add_co_ci_u32_e32 v8, vcc_lo, v2, v8, vcc_lo
	global_store_b128 v[7:8], v[3:6], off
	s_and_b32 exec_lo, exec_lo, s3
	s_cbranch_execz .LBB1120_2
; %bb.16:
	ds_load_b128 v[3:6], v0 offset:128
	s_add_i32 s1, s33, 2
	s_delay_alu instid0(SALU_CYCLE_1) | instskip(NEXT) | instid1(SALU_CYCLE_1)
	s_mul_i32 s0, s1, s0
	s_ashr_i32 s1, s0, 31
	s_delay_alu instid0(SALU_CYCLE_1) | instskip(NEXT) | instid1(SALU_CYCLE_1)
	s_lshl_b64 s[0:1], s[0:1], 1
	v_add_co_u32 v0, vcc_lo, v1, s0
	v_add_co_ci_u32_e32 v1, vcc_lo, s1, v2, vcc_lo
	s_waitcnt lgkmcnt(0)
	global_store_b128 v[0:1], v[3:6], off
	s_nop 0
	s_sendmsg sendmsg(MSG_DEALLOC_VGPRS)
	s_endpgm
	.section	.rodata,"a",@progbits
	.p2align	6, 0x0
	.amdhsa_kernel _Z39paged_attention_ll4mi_QKV_mfma16_kernelIDF16_hLN4vllm18Fp8KVCacheDataTypeE1EhLi16ELi64ELi256ELb0ELi3EL8MFMAType0EEvPKT_PKT0_S8_ifPKiSA_SA_iPKfiiiPfSD_PS3_PT2_iSC_SC_
		.amdhsa_group_segment_fixed_size 17472
		.amdhsa_private_segment_fixed_size 0
		.amdhsa_kernarg_size 400
		.amdhsa_user_sgpr_count 13
		.amdhsa_user_sgpr_dispatch_ptr 0
		.amdhsa_user_sgpr_queue_ptr 0
		.amdhsa_user_sgpr_kernarg_segment_ptr 1
		.amdhsa_user_sgpr_dispatch_id 0
		.amdhsa_user_sgpr_private_segment_size 0
		.amdhsa_wavefront_size32 1
		.amdhsa_uses_dynamic_stack 0
		.amdhsa_enable_private_segment 0
		.amdhsa_system_sgpr_workgroup_id_x 1
		.amdhsa_system_sgpr_workgroup_id_y 1
		.amdhsa_system_sgpr_workgroup_id_z 1
		.amdhsa_system_sgpr_workgroup_info 0
		.amdhsa_system_vgpr_workitem_id 0
		.amdhsa_next_free_vgpr 146
		.amdhsa_next_free_sgpr 37
		.amdhsa_reserve_vcc 1
		.amdhsa_float_round_mode_32 0
		.amdhsa_float_round_mode_16_64 0
		.amdhsa_float_denorm_mode_32 3
		.amdhsa_float_denorm_mode_16_64 3
		.amdhsa_dx10_clamp 1
		.amdhsa_ieee_mode 1
		.amdhsa_fp16_overflow 0
		.amdhsa_workgroup_processor_mode 1
		.amdhsa_memory_ordered 1
		.amdhsa_forward_progress 0
		.amdhsa_shared_vgpr_count 0
		.amdhsa_exception_fp_ieee_invalid_op 0
		.amdhsa_exception_fp_denorm_src 0
		.amdhsa_exception_fp_ieee_div_zero 0
		.amdhsa_exception_fp_ieee_overflow 0
		.amdhsa_exception_fp_ieee_underflow 0
		.amdhsa_exception_fp_ieee_inexact 0
		.amdhsa_exception_int_div_zero 0
	.end_amdhsa_kernel
	.section	.text._Z39paged_attention_ll4mi_QKV_mfma16_kernelIDF16_hLN4vllm18Fp8KVCacheDataTypeE1EhLi16ELi64ELi256ELb0ELi3EL8MFMAType0EEvPKT_PKT0_S8_ifPKiSA_SA_iPKfiiiPfSD_PS3_PT2_iSC_SC_,"axG",@progbits,_Z39paged_attention_ll4mi_QKV_mfma16_kernelIDF16_hLN4vllm18Fp8KVCacheDataTypeE1EhLi16ELi64ELi256ELb0ELi3EL8MFMAType0EEvPKT_PKT0_S8_ifPKiSA_SA_iPKfiiiPfSD_PS3_PT2_iSC_SC_,comdat
.Lfunc_end1120:
	.size	_Z39paged_attention_ll4mi_QKV_mfma16_kernelIDF16_hLN4vllm18Fp8KVCacheDataTypeE1EhLi16ELi64ELi256ELb0ELi3EL8MFMAType0EEvPKT_PKT0_S8_ifPKiSA_SA_iPKfiiiPfSD_PS3_PT2_iSC_SC_, .Lfunc_end1120-_Z39paged_attention_ll4mi_QKV_mfma16_kernelIDF16_hLN4vllm18Fp8KVCacheDataTypeE1EhLi16ELi64ELi256ELb0ELi3EL8MFMAType0EEvPKT_PKT0_S8_ifPKiSA_SA_iPKfiiiPfSD_PS3_PT2_iSC_SC_
                                        ; -- End function
	.section	.AMDGPU.csdata,"",@progbits
; Kernel info:
; codeLenInByte = 6428
; NumSgprs: 39
; NumVgprs: 146
; ScratchSize: 0
; MemoryBound: 0
; FloatMode: 240
; IeeeMode: 1
; LDSByteSize: 17472 bytes/workgroup (compile time only)
; SGPRBlocks: 4
; VGPRBlocks: 18
; NumSGPRsForWavesPerEU: 39
; NumVGPRsForWavesPerEU: 146
; Occupancy: 9
; WaveLimiterHint : 1
; COMPUTE_PGM_RSRC2:SCRATCH_EN: 0
; COMPUTE_PGM_RSRC2:USER_SGPR: 13
; COMPUTE_PGM_RSRC2:TRAP_HANDLER: 0
; COMPUTE_PGM_RSRC2:TGID_X_EN: 1
; COMPUTE_PGM_RSRC2:TGID_Y_EN: 1
; COMPUTE_PGM_RSRC2:TGID_Z_EN: 1
; COMPUTE_PGM_RSRC2:TIDIG_COMP_CNT: 0
	.section	.text._Z39paged_attention_ll4mi_QKV_mfma16_kernelIDF16_hLN4vllm18Fp8KVCacheDataTypeE1EhLi16ELi64ELi256ELb0ELi4EL8MFMAType0EEvPKT_PKT0_S8_ifPKiSA_SA_iPKfiiiPfSD_PS3_PT2_iSC_SC_,"axG",@progbits,_Z39paged_attention_ll4mi_QKV_mfma16_kernelIDF16_hLN4vllm18Fp8KVCacheDataTypeE1EhLi16ELi64ELi256ELb0ELi4EL8MFMAType0EEvPKT_PKT0_S8_ifPKiSA_SA_iPKfiiiPfSD_PS3_PT2_iSC_SC_,comdat
	.protected	_Z39paged_attention_ll4mi_QKV_mfma16_kernelIDF16_hLN4vllm18Fp8KVCacheDataTypeE1EhLi16ELi64ELi256ELb0ELi4EL8MFMAType0EEvPKT_PKT0_S8_ifPKiSA_SA_iPKfiiiPfSD_PS3_PT2_iSC_SC_ ; -- Begin function _Z39paged_attention_ll4mi_QKV_mfma16_kernelIDF16_hLN4vllm18Fp8KVCacheDataTypeE1EhLi16ELi64ELi256ELb0ELi4EL8MFMAType0EEvPKT_PKT0_S8_ifPKiSA_SA_iPKfiiiPfSD_PS3_PT2_iSC_SC_
	.globl	_Z39paged_attention_ll4mi_QKV_mfma16_kernelIDF16_hLN4vllm18Fp8KVCacheDataTypeE1EhLi16ELi64ELi256ELb0ELi4EL8MFMAType0EEvPKT_PKT0_S8_ifPKiSA_SA_iPKfiiiPfSD_PS3_PT2_iSC_SC_
	.p2align	8
	.type	_Z39paged_attention_ll4mi_QKV_mfma16_kernelIDF16_hLN4vllm18Fp8KVCacheDataTypeE1EhLi16ELi64ELi256ELb0ELi4EL8MFMAType0EEvPKT_PKT0_S8_ifPKiSA_SA_iPKfiiiPfSD_PS3_PT2_iSC_SC_,@function
_Z39paged_attention_ll4mi_QKV_mfma16_kernelIDF16_hLN4vllm18Fp8KVCacheDataTypeE1EhLi16ELi64ELi256ELb0ELi4EL8MFMAType0EEvPKT_PKT0_S8_ifPKiSA_SA_iPKfiiiPfSD_PS3_PT2_iSC_SC_: ; @_Z39paged_attention_ll4mi_QKV_mfma16_kernelIDF16_hLN4vllm18Fp8KVCacheDataTypeE1EhLi16ELi64ELi256ELb0ELi4EL8MFMAType0EEvPKT_PKT0_S8_ifPKiSA_SA_iPKfiiiPfSD_PS3_PT2_iSC_SC_
; %bb.0:
	s_load_b64 s[2:3], s[0:1], 0x30
	s_mov_b32 s34, s13
	s_waitcnt lgkmcnt(0)
	s_cmp_lg_u64 s[2:3], 0
	s_cselect_b32 s8, -1, 0
	s_ashr_i32 s35, s13, 31
	s_cmp_eq_u64 s[2:3], 0
	s_cbranch_scc1 .LBB1121_3
; %bb.1:
	s_lshl_b64 s[4:5], s[34:35], 2
	s_delay_alu instid0(SALU_CYCLE_1) | instskip(SKIP_4) | instid1(SALU_CYCLE_1)
	s_add_u32 s4, s2, s4
	s_addc_u32 s5, s3, s5
	s_load_b64 s[4:5], s[4:5], 0x0
	s_waitcnt lgkmcnt(0)
	s_sub_i32 s4, s5, s4
	s_cmp_eq_u32 s4, 1
	s_cselect_b32 s4, -1, 0
	s_delay_alu instid0(SALU_CYCLE_1)
	s_and_not1_b32 vcc_lo, exec_lo, s4
	s_cbranch_vccz .LBB1121_4
.LBB1121_2:
	s_endpgm
.LBB1121_3:
.LBB1121_4:
	s_load_b64 s[4:5], s[0:1], 0x28
	s_lshl_b64 s[6:7], s[34:35], 2
	s_waitcnt lgkmcnt(0)
	s_add_u32 s4, s4, s6
	s_addc_u32 s5, s5, s7
	s_lshl_b32 s12, s14, 8
	s_load_b32 s24, s[4:5], 0x0
	s_waitcnt lgkmcnt(0)
	s_cmp_ge_i32 s12, s24
	s_cbranch_scc1 .LBB1121_2
; %bb.5:
	s_clause 0x1
	s_load_b128 s[20:23], s[0:1], 0x8
	s_load_b64 s[4:5], s[0:1], 0x20
	s_and_not1_b32 vcc_lo, exec_lo, s8
	s_cbranch_vccnz .LBB1121_7
; %bb.6:
	s_add_u32 s2, s2, s6
	s_addc_u32 s3, s3, s7
	s_load_b32 s3, s[2:3], 0x0
	s_branch .LBB1121_8
.LBB1121_7:
	s_mov_b32 s3, s34
.LBB1121_8:
	s_load_b128 s[16:19], s[0:1], 0x48
	v_and_b32_e32 v69, 15, v0
	v_cmp_gt_u32_e32 vcc_lo, 64, v0
	v_lshrrev_b32_e32 v68, 5, v0
	v_and_b32_e32 v70, 31, v0
	v_and_b32_e32 v66, 1, v0
	v_lshlrev_b32_e32 v1, 3, v69
	v_cmp_gt_u32_e64 s2, 8, v69
	v_bfe_u32 v67, v0, 4, 1
	s_lshl_b32 s31, s15, 2
	s_delay_alu instid0(VALU_DEP_3) | instskip(NEXT) | instid1(VALU_DEP_3)
	v_lshlrev_b32_e32 v65, 1, v1
	s_and_b32 s7, vcc_lo, s2
	s_delay_alu instid0(SALU_CYCLE_1)
	s_and_saveexec_b32 s6, s7
	s_cbranch_execz .LBB1121_10
; %bb.9:
	v_lshl_or_b32 v5, v68, 1, v67
	s_load_b64 s[8:9], s[0:1], 0x0
	s_waitcnt lgkmcnt(0)
	s_mul_hi_i32 s11, s3, s16
	s_mul_i32 s10, s3, s16
	v_lshlrev_b32_e32 v6, 10, v69
	v_or_b32_e32 v1, s31, v5
	s_lshl_b64 s[10:11], s[10:11], 1
	v_lshlrev_b32_e32 v5, 6, v5
	v_lshlrev_b32_e32 v7, 10, v66
	v_and_b32_e32 v6, 0x3800, v6
	v_lshlrev_b32_e32 v1, 6, v1
	s_delay_alu instid0(VALU_DEP_2) | instskip(NEXT) | instid1(VALU_DEP_2)
	v_or3_b32 v5, v6, v7, v5
	v_ashrrev_i32_e32 v2, 31, v1
	s_delay_alu instid0(VALU_DEP_1) | instskip(SKIP_2) | instid1(VALU_DEP_1)
	v_lshlrev_b64 v[1:2], 1, v[1:2]
	s_add_u32 s3, s8, s10
	s_addc_u32 s7, s9, s11
	v_add_co_u32 v1, vcc_lo, s3, v1
	s_delay_alu instid0(VALU_DEP_2) | instskip(NEXT) | instid1(VALU_DEP_2)
	v_add_co_ci_u32_e32 v2, vcc_lo, s7, v2, vcc_lo
	v_add_co_u32 v1, vcc_lo, v1, v65
	s_delay_alu instid0(VALU_DEP_2)
	v_add_co_ci_u32_e32 v2, vcc_lo, 0, v2, vcc_lo
	global_load_b128 v[1:4], v[1:2], off
	s_waitcnt vmcnt(0)
	ds_store_b128 v5, v[1:4]
.LBB1121_10:
	s_or_b32 exec_lo, exec_lo, s6
	v_and_b32_e32 v1, 0xef, v0
	s_waitcnt lgkmcnt(0)
	s_add_i32 s3, s24, 15
	s_clause 0x1
	s_load_b32 s6, s[0:1], 0x38
	s_load_b32 s33, s[0:1], 0x98
	s_ashr_i32 s7, s3, 31
	v_add_nc_u32_e32 v1, s12, v1
	s_lshr_b32 s7, s7, 28
	s_load_b32 s19, s[0:1], 0x1c
	s_add_i32 s3, s3, s7
	s_waitcnt lgkmcnt(0)
	v_ashrrev_i32_e32 v2, 31, v1
	v_or_b32_e32 v3, 16, v1
	s_ashr_i32 s3, s3, 4
	v_cmp_gt_i32_e32 vcc_lo, s24, v1
	s_add_i32 s3, s3, -1
	v_lshrrev_b32_e32 v2, 28, v2
	s_barrier
	buffer_gl0_inv
	s_mul_i32 s27, s15, s18
	v_add_nc_u32_e32 v4, v1, v2
	s_mul_i32 s6, s34, s6
	s_delay_alu instid0(SALU_CYCLE_1) | instskip(NEXT) | instid1(VALU_DEP_1)
	s_ashr_i32 s7, s6, 31
	v_ashrrev_i32_e32 v4, 4, v4
	v_add_nc_u32_e32 v2, v3, v2
	s_lshl_b64 s[6:7], s[6:7], 2
	s_delay_alu instid0(SALU_CYCLE_1) | instskip(NEXT) | instid1(VALU_DEP_2)
	s_add_u32 s26, s4, s6
	v_cndmask_b32_e32 v1, s3, v4, vcc_lo
	s_delay_alu instid0(VALU_DEP_2)
	v_ashrrev_i32_e32 v2, 4, v2
	v_cmp_gt_i32_e32 vcc_lo, s24, v3
	s_addc_u32 s25, s5, s7
	s_ashr_i32 s28, s27, 31
	s_add_u32 s13, s20, s27
	s_addc_u32 s15, s21, s28
	v_cndmask_b32_e32 v3, s3, v2, vcc_lo
	v_ashrrev_i32_e32 v2, 31, v1
	s_lshl_b32 s4, s14, 4
	s_delay_alu instid0(SALU_CYCLE_1) | instskip(NEXT) | instid1(VALU_DEP_2)
	s_ashr_i32 s5, s4, 31
	v_ashrrev_i32_e32 v4, 31, v3
	s_delay_alu instid0(VALU_DEP_2) | instskip(SKIP_1) | instid1(SALU_CYCLE_1)
	v_lshlrev_b64 v[1:2], 2, v[1:2]
	s_lshl_b64 s[4:5], s[4:5], 2
	s_add_u32 s4, s26, s4
	s_delay_alu instid0(VALU_DEP_2) | instskip(SKIP_1) | instid1(VALU_DEP_2)
	v_lshlrev_b64 v[3:4], 2, v[3:4]
	s_addc_u32 s5, s25, s5
	v_add_co_u32 v1, vcc_lo, s26, v1
	v_add_co_ci_u32_e32 v2, vcc_lo, s25, v2, vcc_lo
	s_delay_alu instid0(VALU_DEP_3) | instskip(NEXT) | instid1(VALU_DEP_4)
	v_add_co_u32 v3, vcc_lo, s26, v3
	v_add_co_ci_u32_e32 v4, vcc_lo, s25, v4, vcc_lo
	s_clause 0x1
	global_load_b32 v5, v[1:2], off
	global_load_b32 v7, v[3:4], off
	s_or_b32 s6, s12, 32
	v_lshlrev_b32_e32 v1, 4, v0
	s_ashr_i32 s7, s6, 4
	s_cmp_lt_i32 s6, s24
	s_cselect_b32 s6, s7, s3
	s_delay_alu instid0(VALU_DEP_1) | instskip(SKIP_1) | instid1(SALU_CYCLE_1)
	v_and_b32_e32 v1, 0xf0, v1
	s_ashr_i32 s7, s6, 31
	s_lshl_b64 s[6:7], s[6:7], 2
	s_delay_alu instid0(SALU_CYCLE_1)
	s_add_u32 s6, s26, s6
	s_addc_u32 s7, s25, s7
	s_or_b32 s8, s12, 64
	v_add_co_u32 v1, s13, s13, v1
	s_ashr_i32 s9, s8, 4
	s_cmp_lt_i32 s8, s24
	v_add_co_ci_u32_e64 v2, null, s15, 0, s13
	s_cselect_b32 s8, s9, s3
	s_delay_alu instid0(SALU_CYCLE_1) | instskip(NEXT) | instid1(SALU_CYCLE_1)
	s_ashr_i32 s9, s8, 31
	s_lshl_b64 s[8:9], s[8:9], 2
	s_delay_alu instid0(SALU_CYCLE_1) | instskip(SKIP_2) | instid1(SALU_CYCLE_1)
	s_add_u32 s8, s26, s8
	s_addc_u32 s9, s25, s9
	s_or_b32 s10, s12, 0x60
	s_ashr_i32 s11, s10, 4
	s_cmp_lt_i32 s10, s24
	s_cselect_b32 s10, s11, s3
	s_delay_alu instid0(SALU_CYCLE_1) | instskip(NEXT) | instid1(SALU_CYCLE_1)
	s_ashr_i32 s11, s10, 31
	s_lshl_b64 s[10:11], s[10:11], 2
	s_delay_alu instid0(SALU_CYCLE_1) | instskip(SKIP_2) | instid1(SALU_CYCLE_1)
	s_add_u32 s10, s26, s10
	s_addc_u32 s11, s25, s11
	s_or_b32 s16, s12, 0x80
	s_ashr_i32 s18, s16, 4
	s_cmp_lt_i32 s16, s24
	;; [unrolled: 10-line block ×3, first 2 shown]
	s_cselect_b32 s20, s18, s3
	s_delay_alu instid0(SALU_CYCLE_1) | instskip(NEXT) | instid1(SALU_CYCLE_1)
	s_ashr_i32 s21, s20, 31
	s_lshl_b64 s[20:21], s[20:21], 2
	s_delay_alu instid0(SALU_CYCLE_1)
	s_add_u32 s38, s26, s20
	s_addc_u32 s39, s25, s21
	s_clause 0x5
	s_load_b32 s21, s[4:5], 0x0
	s_load_b32 s13, s[6:7], 0x0
	;; [unrolled: 1-line block ×6, first 2 shown]
	s_or_b32 s7, s12, 0xc0
	s_mov_b32 s4, 0
	s_ashr_i32 s8, s7, 4
	s_cmp_lt_i32 s7, s24
	s_mov_b32 s5, s4
	s_cselect_b32 s10, s8, s3
	s_mov_b32 s6, s4
	s_ashr_i32 s11, s10, 31
	s_mov_b32 s7, s4
	s_lshl_b64 s[36:37], s[10:11], 2
	s_mov_b32 s11, s4
	s_add_u32 s36, s26, s36
	s_addc_u32 s37, s25, s37
	s_or_b32 s29, s12, 0xe0
	s_mov_b32 s8, s4
	s_ashr_i32 s30, s29, 4
	s_mov_b32 s9, s4
	s_mov_b32 s10, s4
	s_cmp_lt_i32 s29, s24
	v_mov_b32_e32 v102, s11
	v_dual_mov_b32 v96, s5 :: v_dual_mov_b32 v101, s10
	v_dual_mov_b32 v100, s9 :: v_dual_mov_b32 v99, s8
	v_dual_mov_b32 v98, s7 :: v_dual_mov_b32 v97, s6
	v_mov_b32_e32 v95, s4
	s_cselect_b32 s4, s30, s3
	s_delay_alu instid0(SALU_CYCLE_1) | instskip(NEXT) | instid1(SALU_CYCLE_1)
	s_ashr_i32 s5, s4, 31
	s_lshl_b64 s[4:5], s[4:5], 2
	s_delay_alu instid0(SALU_CYCLE_1)
	s_add_u32 s4, s26, s4
	s_addc_u32 s5, s25, s5
	s_add_u32 s6, s22, s27
	s_addc_u32 s7, s23, s28
	s_waitcnt vmcnt(1)
	v_mad_i64_i32 v[3:4], null, v5, s17, v[1:2]
	s_waitcnt vmcnt(0)
	v_mad_i64_i32 v[5:6], null, v7, s17, v[1:2]
	v_and_b32_e32 v1, 3, v0
	v_lshlrev_b32_e32 v2, 4, v69
	s_clause 0x7
	global_load_b128 v[57:60], v[3:4], off
	global_load_b128 v[61:64], v[3:4], off offset:256
	global_load_b128 v[71:74], v[5:6], off
	global_load_b128 v[75:78], v[5:6], off offset:256
	global_load_b128 v[79:82], v[3:4], off offset:512
	;; [unrolled: 1-line block ×5, first 2 shown]
	v_lshlrev_b32_e32 v121, 6, v1
	v_lshl_or_b32 v1, v68, 8, v2
	s_load_b32 s3, s[36:37], 0x0
	ds_load_b128 v[103:106], v121
	ds_load_b128 v[107:110], v121 offset:1024
	s_load_b32 s4, s[4:5], 0x0
	v_add_co_u32 v17, s6, s6, v1
	s_delay_alu instid0(VALU_DEP_1) | instskip(SKIP_1) | instid1(VALU_DEP_1)
	v_add_co_ci_u32_e64 v18, null, s7, 0, s6
	s_waitcnt lgkmcnt(0)
	v_mad_i64_i32 v[1:2], null, s21, s17, v[17:18]
	v_mad_i64_i32 v[3:4], null, s13, s17, v[17:18]
	;; [unrolled: 1-line block ×7, first 2 shown]
	s_clause 0x9
	global_load_b128 v[49:52], v[1:2], off
	global_load_b128 v[53:56], v[1:2], off offset:16
	global_load_b128 v[41:44], v[3:4], off
	global_load_b128 v[45:48], v[3:4], off offset:16
	;; [unrolled: 2-line block ×5, first 2 shown]
	v_mad_i64_i32 v[119:120], null, s4, s17, v[17:18]
	s_clause 0x3
	global_load_b128 v[17:20], v[21:22], off
	global_load_b128 v[21:24], v[21:22], off offset:16
	global_load_b128 v[25:28], v[29:30], off
	global_load_b128 v[29:32], v[29:30], off offset:16
	s_waitcnt vmcnt(20)
	v_wmma_f32_16x16x16_f16 v[111:118], v[57:64], v[103:110], v[95:102]
	s_clause 0x1
	global_load_b128 v[57:60], v[119:120], off
	global_load_b128 v[61:64], v[119:120], off offset:16
	s_waitcnt vmcnt(20)
	v_wmma_f32_16x16x16_f16 v[95:102], v[71:78], v[103:110], v[95:102]
	ds_load_b128 v[71:74], v121 offset:2048
	ds_load_b128 v[75:78], v121 offset:3072
	v_mbcnt_lo_u32_b32 v104, -1, 0
	s_waitcnt vmcnt(0) lgkmcnt(0)
	s_barrier
	buffer_gl0_inv
	v_xor_b32_e32 v105, 16, v104
	s_delay_alu instid0(VALU_DEP_1) | instskip(SKIP_4) | instid1(VALU_DEP_2)
	v_cmp_gt_i32_e32 vcc_lo, 32, v105
	v_cndmask_b32_e32 v104, v104, v105, vcc_lo
	v_wmma_f32_16x16x16_f16 v[95:102], v[87:94], v[71:78], v[95:102]
	v_and_b32_e32 v103, 0xe0, v0
	v_wmma_f32_16x16x16_f16 v[111:118], v[79:86], v[71:78], v[111:118]
	v_dual_mul_f32 v90, s19, v101 :: v_dual_add_nc_u32 v103, s12, v103
	s_delay_alu instid0(VALU_DEP_2) | instskip(NEXT) | instid1(VALU_DEP_3)
	v_dual_mul_f32 v94, s19, v97 :: v_dual_mul_f32 v87, s19, v112
	v_dual_mul_f32 v88, s19, v111 :: v_dual_mul_f32 v77, s19, v114
	s_delay_alu instid0(VALU_DEP_3) | instskip(SKIP_3) | instid1(VALU_DEP_4)
	v_or_b32_e32 v103, v103, v67
	v_dual_mul_f32 v78, s19, v113 :: v_dual_mul_f32 v75, s19, v116
	v_dual_mul_f32 v76, s19, v115 :: v_dual_mul_f32 v73, s19, v118
	v_mul_f32_e32 v92, s19, v99
	v_or_b32_e32 v105, 2, v103
	v_or_b32_e32 v106, 4, v103
	;; [unrolled: 1-line block ×3, first 2 shown]
	v_cmp_gt_i32_e64 s3, s24, v103
	v_or_b32_e32 v108, 8, v103
	v_cmp_gt_i32_e32 vcc_lo, s24, v105
	v_or_b32_e32 v109, 10, v103
	v_cmp_gt_i32_e64 s4, s24, v106
	v_cndmask_b32_e64 v88, 0xff7fffff, v88, s3
	v_cmp_gt_i32_e64 s5, s24, v107
	v_cndmask_b32_e32 v87, 0xff7fffff, v87, vcc_lo
	v_or_b32_e32 v79, 12, v103
	v_or_b32_e32 v80, 14, v103
	v_cndmask_b32_e64 v78, 0xff7fffff, v78, s4
	v_cndmask_b32_e64 v77, 0xff7fffff, v77, s5
	v_max3_f32 v87, v88, 0xff7fffff, v87
	v_cmp_gt_i32_e64 s6, s24, v108
	v_cmp_gt_i32_e64 s7, s24, v109
	v_or_b32_e32 v81, 16, v103
	v_or_b32_e32 v82, 18, v103
	v_mul_f32_e32 v74, s19, v117
	v_cndmask_b32_e64 v76, 0xff7fffff, v76, s6
	v_cndmask_b32_e64 v75, 0xff7fffff, v75, s7
	v_max3_f32 v77, v87, v78, v77
	v_cmp_gt_i32_e64 s8, s24, v79
	v_cmp_gt_i32_e64 s9, s24, v80
	v_or_b32_e32 v83, 20, v103
	v_or_b32_e32 v84, 22, v103
	;; [unrolled: 1-line block ×6, first 2 shown]
	v_mul_f32_e32 v105, s19, v96
	v_mul_f32_e32 v103, s19, v95
	v_cndmask_b32_e64 v74, 0xff7fffff, v74, s8
	v_cndmask_b32_e64 v73, 0xff7fffff, v73, s9
	v_max3_f32 v75, v77, v76, v75
	v_cmp_gt_i32_e64 s10, s24, v81
	v_cmp_gt_i32_e64 s11, s24, v82
	v_mul_f32_e32 v93, s19, v98
	v_cmp_gt_i32_e64 s12, s24, v83
	v_max3_f32 v73, v75, v74, v73
	v_cndmask_b32_e64 v76, 0xff7fffff, v103, s10
	v_cndmask_b32_e64 v77, 0xff7fffff, v105, s11
	v_cmp_gt_i32_e64 s13, s24, v84
	v_mul_f32_e32 v91, s19, v100
	v_cndmask_b32_e64 v74, 0xff7fffff, v94, s12
	v_cmp_gt_i32_e64 s15, s24, v85
	v_max3_f32 v73, v73, v76, v77
	v_cndmask_b32_e64 v75, 0xff7fffff, v93, s13
	v_cmp_gt_i32_e64 s16, s24, v86
	v_mul_f32_e32 v89, s19, v102
	v_cndmask_b32_e64 v76, 0xff7fffff, v92, s15
	v_cmp_gt_i32_e64 s17, s24, v71
	v_max3_f32 v73, v73, v74, v75
	v_cndmask_b32_e64 v77, 0xff7fffff, v91, s16
	v_cmp_gt_i32_e64 s18, s24, v72
	v_lshlrev_b32_e32 v74, 2, v104
	v_cndmask_b32_e64 v71, 0xff7fffff, v90, s17
	s_delay_alu instid0(VALU_DEP_4) | instskip(NEXT) | instid1(VALU_DEP_4)
	v_max3_f32 v73, v73, v76, v77
	v_cndmask_b32_e64 v72, 0xff7fffff, v89, s18
	s_delay_alu instid0(VALU_DEP_1) | instskip(SKIP_3) | instid1(VALU_DEP_1)
	v_max3_f32 v71, v73, v71, v72
	ds_bpermute_b32 v72, v74, v71
	s_waitcnt lgkmcnt(0)
	v_max_f32_e32 v72, v72, v72
	v_max_f32_e32 v71, v71, v72
	s_delay_alu instid0(VALU_DEP_1)
	v_fma_f32 v72, s19, v111, -v71
	v_fma_f32 v76, s19, v114, -v71
	;; [unrolled: 1-line block ×5, first 2 shown]
	v_mul_f32_e32 v72, 0x3fb8aa3b, v72
	v_mul_f32_e32 v76, 0x3fb8aa3b, v76
	v_fma_f32 v75, s19, v113, -v71
	v_mul_f32_e32 v79, 0x3fb8aa3b, v77
	v_mul_f32_e32 v87, 0x3fb8aa3b, v86
	v_exp_f32_e32 v72, v72
	v_exp_f32_e32 v76, v76
	v_fma_f32 v81, s19, v117, -v71
	v_exp_f32_e32 v82, v79
	v_exp_f32_e32 v87, v87
	v_fma_f32 v84, s19, v96, -v71
	s_delay_alu instid0(VALU_DEP_2) | instskip(SKIP_3) | instid1(TRANS32_DEP_3)
	v_mul_f32_e32 v81, 0x3fb8aa3b, v81
	v_cndmask_b32_e64 v78, 0, v72, s3
	v_fma_f32 v72, s19, v116, -v71
	v_mul_f32_e32 v73, 0x3fb8aa3b, v73
	v_cndmask_b32_e64 v79, 0, v76, s5
	v_fma_f32 v76, s19, v95, -v71
	s_delay_alu instid0(VALU_DEP_4) | instskip(NEXT) | instid1(VALU_DEP_4)
	v_dual_mul_f32 v75, 0x3fb8aa3b, v75 :: v_dual_mul_f32 v72, 0x3fb8aa3b, v72
	v_exp_f32_e32 v73, v73
	v_cndmask_b32_e64 v87, 0, v87, s13
	s_delay_alu instid0(VALU_DEP_3) | instskip(NEXT) | instid1(VALU_DEP_3)
	v_mul_f32_e32 v76, 0x3fb8aa3b, v76
	v_exp_f32_e32 v75, v75
	v_exp_f32_e32 v72, v72
	v_exp_f32_e32 v83, v81
	v_cndmask_b32_e64 v82, 0, v82, s6
	v_mul_f32_e32 v85, 0x3fb8aa3b, v84
	v_exp_f32_e32 v76, v76
	s_mov_b32 s3, exec_lo
	v_cndmask_b32_e32 v77, 0, v73, vcc_lo
	v_add_f32_e32 v73, 0, v78
	v_exp_f32_e32 v85, v85
	v_cndmask_b32_e64 v80, 0, v75, s4
	v_fma_f32 v75, s19, v118, -v71
	v_cndmask_b32_e64 v81, 0, v72, s7
	v_add_f32_e32 v73, v73, v77
	v_cndmask_b32_e64 v84, 0, v83, s8
	v_cndmask_b32_e64 v86, 0, v76, s10
	v_mul_f32_e32 v75, 0x3fb8aa3b, v75
	s_delay_alu instid0(VALU_DEP_4) | instskip(NEXT) | instid1(TRANS32_DEP_1)
	v_add_f32_e32 v73, v73, v80
	v_cndmask_b32_e64 v85, 0, v85, s11
	s_delay_alu instid0(VALU_DEP_3) | instskip(NEXT) | instid1(VALU_DEP_2)
	v_exp_f32_e32 v75, v75
	v_add_f32_e32 v73, v73, v79
	s_delay_alu instid0(VALU_DEP_1) | instskip(SKIP_3) | instid1(VALU_DEP_1)
	v_add_f32_e32 v72, v73, v82
	s_waitcnt_depctr 0xfff
	v_cndmask_b32_e64 v83, 0, v75, s9
	v_add_f32_e32 v72, v72, v81
	v_add_f32_e32 v72, v72, v84
	s_delay_alu instid0(VALU_DEP_1) | instskip(NEXT) | instid1(VALU_DEP_1)
	v_add_f32_e32 v72, v72, v83
	v_add_f32_e32 v72, v72, v86
	s_delay_alu instid0(VALU_DEP_1) | instskip(SKIP_4) | instid1(VALU_DEP_4)
	v_add_f32_e32 v72, v72, v85
	v_fma_f32 v73, s19, v97, -v71
	v_fma_f32 v75, s19, v99, -v71
	;; [unrolled: 1-line block ×4, first 2 shown]
	v_mul_f32_e32 v73, 0x3fb8aa3b, v73
	s_delay_alu instid0(VALU_DEP_3) | instskip(NEXT) | instid1(VALU_DEP_2)
	v_dual_mul_f32 v75, 0x3fb8aa3b, v75 :: v_dual_mul_f32 v76, 0x3fb8aa3b, v76
	v_exp_f32_e32 v73, v73
	s_delay_alu instid0(VALU_DEP_1) | instskip(NEXT) | instid1(VALU_DEP_1)
	v_exp_f32_e32 v75, v75
	v_exp_f32_e32 v76, v76
	s_delay_alu instid0(TRANS32_DEP_3)
	v_cndmask_b32_e64 v88, 0, v73, s12
	v_mul_f32_e32 v73, 0x3fb8aa3b, v89
	v_fma_f32 v89, s19, v102, -v71
	s_waitcnt_depctr 0xfff
	v_cndmask_b32_e64 v90, 0, v75, s15
	v_add_f32_e32 v72, v72, v88
	v_exp_f32_e32 v73, v73
	v_mul_f32_e32 v75, 0x3fb8aa3b, v89
	v_cndmask_b32_e64 v89, 0, v76, s16
	s_delay_alu instid0(VALU_DEP_3) | instskip(NEXT) | instid1(VALU_DEP_3)
	v_add_f32_e32 v72, v72, v87
	v_exp_f32_e32 v75, v75
	s_delay_alu instid0(VALU_DEP_1) | instskip(SKIP_4) | instid1(VALU_DEP_2)
	v_add_f32_e32 v72, v72, v90
	s_waitcnt_depctr 0xfff
	v_cndmask_b32_e64 v92, 0, v73, s17
	v_add_f32_e32 v72, v72, v89
	v_cndmask_b32_e64 v91, 0, v75, s18
	v_add_f32_e32 v72, v72, v92
	s_delay_alu instid0(VALU_DEP_1)
	v_add_f32_e32 v72, v72, v91
	ds_bpermute_b32 v73, v74, v72
	v_cmpx_gt_u32_e32 16, v70
	s_cbranch_execz .LBB1121_12
; %bb.11:
	v_mul_u32_u24_e32 v70, 0x44, v68
	s_waitcnt lgkmcnt(0)
	v_add_f32_e32 v72, v72, v73
	s_delay_alu instid0(VALU_DEP_2) | instskip(NEXT) | instid1(VALU_DEP_1)
	v_lshl_add_u32 v70, v69, 2, v70
	v_add_nc_u32_e32 v70, 0x4000, v70
	ds_store_2addr_b32 v70, v71, v72 offset1:136
.LBB1121_12:
	s_or_b32 exec_lo, exec_lo, s3
	v_lshlrev_b32_e32 v70, 2, v69
	s_load_b32 s35, s[0:1], 0x94
	s_waitcnt lgkmcnt(0)
	s_barrier
	buffer_gl0_inv
	v_add_nc_u32_e32 v74, 0x4000, v70
	v_cmp_eq_u32_e32 vcc_lo, 1, v68
	v_cmp_eq_u32_e64 s3, 2, v68
	v_cmp_eq_u32_e64 s4, 3, v68
	;; [unrolled: 1-line block ×3, first 2 shown]
	ds_load_2addr_b32 v[70:71], v74 offset1:17
	ds_load_2addr_b32 v[72:73], v74 offset0:34 offset1:51
	ds_load_2addr_b32 v[93:94], v74 offset0:68 offset1:85
	;; [unrolled: 1-line block ×3, first 2 shown]
	v_cmp_eq_u32_e64 s6, 5, v68
	v_cmp_eq_u32_e64 s7, 7, v68
	s_waitcnt lgkmcnt(3)
	v_max3_f32 v75, v70, 0xff7fffff, v71
	s_waitcnt lgkmcnt(2)
	s_delay_alu instid0(VALU_DEP_1) | instskip(SKIP_1) | instid1(VALU_DEP_1)
	v_max3_f32 v75, v75, v72, v73
	s_waitcnt lgkmcnt(1)
	v_max3_f32 v75, v75, v93, v94
	s_waitcnt lgkmcnt(0)
	s_delay_alu instid0(VALU_DEP_1) | instskip(NEXT) | instid1(VALU_DEP_1)
	v_max3_f32 v75, v75, v95, v96
	v_sub_f32_e32 v93, v93, v75
	ds_load_2addr_b32 v[97:98], v74 offset0:136 offset1:153
	v_sub_f32_e32 v70, v70, v75
	v_dual_sub_f32 v100, v73, v75 :: v_dual_mul_f32 v103, 0x3fb8aa3b, v93
	s_delay_alu instid0(VALU_DEP_2) | instskip(SKIP_3) | instid1(VALU_DEP_1)
	v_dual_sub_f32 v76, v71, v75 :: v_dual_mul_f32 v99, 0x3fb8aa3b, v70
	ds_load_2addr_b32 v[70:71], v74 offset0:170 offset1:187
	v_mul_f32_e32 v76, 0x3fb8aa3b, v76
	v_exp_f32_e32 v99, v99
	v_exp_f32_e32 v102, v76
	v_mul_f32_e32 v100, 0x3fb8aa3b, v100
	s_waitcnt lgkmcnt(1)
	s_waitcnt_depctr 0xfff
	v_fma_f32 v76, v99, v97, 0
	v_sub_f32_e32 v97, v94, v75
	v_sub_f32_e32 v72, v72, v75
	v_exp_f32_e32 v100, v100
	ds_load_2addr_b32 v[93:94], v74 offset0:238 offset1:255
	v_dual_fmac_f32 v76, v102, v98 :: v_dual_mul_f32 v101, 0x3fb8aa3b, v72
	ds_load_2addr_b32 v[72:73], v74 offset0:204 offset1:221
	v_dual_sub_f32 v74, v95, v75 :: v_dual_mul_f32 v95, 0x3fb8aa3b, v97
	v_exp_f32_e32 v97, v103
	v_exp_f32_e32 v101, v101
	s_waitcnt lgkmcnt(0)
	s_delay_alu instid0(VALU_DEP_1)
	v_mul_f32_e32 v74, 0x3fb8aa3b, v74
	v_exp_f32_e32 v95, v95
	s_barrier
	buffer_gl0_inv
	v_fmac_f32_e32 v76, v101, v70
	v_sub_f32_e32 v70, v96, v75
	v_exp_f32_e32 v96, v74
	s_delay_alu instid0(VALU_DEP_2) | instskip(NEXT) | instid1(VALU_DEP_2)
	v_fmac_f32_e32 v76, v100, v71
	v_mul_f32_e32 v70, 0x3fb8aa3b, v70
	s_delay_alu instid0(VALU_DEP_2) | instskip(NEXT) | instid1(VALU_DEP_2)
	v_dual_cndmask_b32 v71, v99, v102 :: v_dual_fmac_f32 v76, v97, v72
	v_exp_f32_e32 v98, v70
	v_lshlrev_b32_e32 v72, 6, v69
	s_delay_alu instid0(VALU_DEP_2) | instskip(NEXT) | instid1(VALU_DEP_2)
	v_dual_fmac_f32 v76, v95, v73 :: v_dual_lshlrev_b32 v69, 2, v67
	v_lshl_or_b32 v74, v68, 11, v72
	s_delay_alu instid0(VALU_DEP_2)
	v_cmp_eq_u32_e64 s8, 7, v69
	s_delay_alu instid0(TRANS32_DEP_2) | instid1(VALU_DEP_3)
	v_fmac_f32_e32 v76, v96, v93
	s_waitcnt_depctr 0xfff
	v_fmac_f32_e32 v76, v98, v94
	s_delay_alu instid0(VALU_DEP_1) | instskip(NEXT) | instid1(VALU_DEP_1)
	v_add_f32_e32 v73, 0x358637bd, v76
	v_div_scale_f32 v93, null, v73, v73, 1.0
	v_div_scale_f32 v99, vcc_lo, 1.0, v73, 1.0
	s_delay_alu instid0(VALU_DEP_2) | instskip(SKIP_2) | instid1(VALU_DEP_1)
	v_rcp_f32_e32 v94, v93
	s_waitcnt_depctr 0xfff
	v_fma_f32 v70, -v93, v94, 1.0
	v_fmac_f32_e32 v94, v70, v94
	v_cndmask_b32_e64 v70, v71, v101, s3
	v_cmp_eq_u32_e64 s3, 6, v68
	v_or_b32_e32 v71, 1, v69
	v_or_b32_e32 v68, 2, v69
	v_mul_f32_e32 v101, v99, v94
	v_cndmask_b32_e64 v70, v70, v100, s4
	v_cmp_eq_u32_e64 s4, 1, v69
	v_cmp_eq_u32_e64 s9, 1, v71
	v_cmp_eq_u32_e64 s10, 1, v68
	v_fma_f32 v100, -v93, v101, v99
	v_cndmask_b32_e64 v70, v70, v97, s5
	v_cmp_eq_u32_e64 s5, 2, v69
	v_cmp_eq_u32_e64 s12, 2, v71
	;; [unrolled: 1-line block ×3, first 2 shown]
	v_fmac_f32_e32 v101, v100, v94
	v_cndmask_b32_e64 v95, v70, v95, s6
	v_or_b32_e32 v70, 3, v69
	v_cmp_eq_u32_e64 s13, 3, v71
	v_cmp_eq_u32_e64 s17, 3, v68
	v_fma_f32 v93, -v93, v101, v99
	v_cndmask_b32_e64 v95, v95, v96, s3
	v_cmp_eq_u32_e64 s11, 1, v70
	v_cmp_eq_u32_e64 s16, 2, v70
	;; [unrolled: 1-line block ×3, first 2 shown]
	v_div_fmas_f32 v93, v93, v94, v101
	v_cndmask_b32_e64 v94, v95, v98, s7
	v_cmp_eq_u32_e32 vcc_lo, 3, v69
	v_cmp_eq_u32_e64 s3, 4, v69
	v_cmp_eq_u32_e64 s19, 4, v71
	v_div_fixup_f32 v93, v93, v73, 1.0
	v_lshl_or_b32 v73, v67, 4, v74
	v_cmp_eq_u32_e64 s22, 4, v70
	v_cmp_eq_u32_e64 s6, 5, v69
	;; [unrolled: 1-line block ×3, first 2 shown]
	v_mul_f32_e32 v101, v94, v93
	v_cmp_eq_u32_e64 s21, 4, v68
	v_cmp_eq_u32_e64 s24, 5, v70
	;; [unrolled: 1-line block ×4, first 2 shown]
	v_fma_mixlo_f16 v93, v101, v78, 0
	v_fma_mixlo_f16 v94, v101, v80, 0
	;; [unrolled: 1-line block ×8, first 2 shown]
	v_fma_mixhi_f16 v93, v101, v77, 0
	v_fma_mixhi_f16 v94, v101, v79, 0
	;; [unrolled: 1-line block ×8, first 2 shown]
	ds_store_b128 v73, v[93:96]
	ds_store_b128 v73, v[97:100] offset:1024
	s_waitcnt lgkmcnt(0)
	s_barrier
	buffer_gl0_inv
	ds_load_b128 v[77:80], v74
	ds_load_b128 v[81:84], v74 offset:16
	ds_load_b128 v[85:88], v74 offset:1024
	;; [unrolled: 1-line block ×3, first 2 shown]
	v_cmp_eq_u32_e64 s27, 6, v70
	v_cmp_eq_u32_e64 s7, 6, v69
	;; [unrolled: 1-line block ×6, first 2 shown]
	s_waitcnt lgkmcnt(3)
	v_lshrrev_b32_e32 v93, 16, v77
	s_waitcnt lgkmcnt(2)
	v_lshrrev_b32_e32 v97, 16, v81
	;; [unrolled: 2-line block ×4, first 2 shown]
	v_lshrrev_b32_e32 v94, 16, v78
	v_cndmask_b32_e64 v109, v77, v93, s4
	v_cndmask_b32_e64 v110, v81, v97, s4
	;; [unrolled: 1-line block ×8, first 2 shown]
	v_lshrrev_b32_e32 v98, 16, v82
	v_cndmask_b32_e64 v93, v85, v101, s4
	v_cndmask_b32_e64 v97, v89, v105, s4
	v_cndmask_b32_e64 v115, v85, v101, s9
	v_cndmask_b32_e64 v116, v89, v105, s9
	v_cndmask_b32_e64 v117, v85, v101, s10
	v_cndmask_b32_e64 v118, v89, v105, s10
	v_cndmask_b32_e64 v85, v85, v101, s11
	v_cndmask_b32_e64 v89, v89, v105, s11
	v_cndmask_b32_e64 v101, v109, v78, s5
	v_cndmask_b32_e64 v105, v110, v82, s5
	v_cndmask_b32_e64 v109, v111, v78, s12
	v_cndmask_b32_e64 v110, v112, v82, s12
	v_cndmask_b32_e64 v111, v113, v78, s15
	v_cndmask_b32_e64 v77, v77, v78, s16
	v_cndmask_b32_e64 v78, v81, v82, s16
	v_lshrrev_b32_e32 v102, 16, v86
	v_lshrrev_b32_e32 v106, 16, v90
	v_cndmask_b32_e64 v112, v114, v82, s15
	v_cndmask_b32_e64 v81, v93, v86, s5
	;; [unrolled: 1-line block ×7, first 2 shown]
	v_cndmask_b32_e32 v89, v101, v94, vcc_lo
	v_cndmask_b32_e32 v101, v105, v98, vcc_lo
	v_cndmask_b32_e64 v105, v109, v94, s13
	v_cndmask_b32_e64 v109, v110, v98, s13
	;; [unrolled: 1-line block ×4, first 2 shown]
	v_lshrrev_b32_e32 v95, 16, v79
	v_lshrrev_b32_e32 v99, 16, v83
	v_cndmask_b32_e64 v110, v111, v94, s17
	v_cndmask_b32_e64 v111, v112, v98, s17
	v_cndmask_b32_e32 v81, v81, v102, vcc_lo
	v_cndmask_b32_e32 v82, v82, v106, vcc_lo
	v_cndmask_b32_e64 v93, v93, v102, s13
	v_cndmask_b32_e64 v89, v89, v79, s3
	;; [unrolled: 1-line block ×7, first 2 shown]
	v_lshrrev_b32_e32 v103, 16, v87
	v_cndmask_b32_e64 v105, v110, v79, s21
	v_cndmask_b32_e64 v109, v111, v83, s21
	;; [unrolled: 1-line block ×11, first 2 shown]
	v_lshrrev_b32_e32 v96, 16, v80
	v_lshrrev_b32_e32 v100, 16, v84
	v_cndmask_b32_e64 v98, v105, v95, s23
	v_cndmask_b32_e64 v101, v109, v99, s23
	;; [unrolled: 1-line block ×7, first 2 shown]
	v_lshrrev_b32_e32 v104, 16, v88
	v_cndmask_b32_e64 v79, v79, v103, s6
	v_cndmask_b32_e64 v83, v83, v80, s7
	;; [unrolled: 1-line block ×16, first 2 shown]
	v_perm_b32 v80, v78, v77, 0x5040100
	v_perm_b32 v78, v94, v84, 0x5040100
	v_cndmask_b32_e64 v77, v118, v90, s15
	v_cndmask_b32_e64 v84, v116, v90, s12
	;; [unrolled: 1-line block ×3, first 2 shown]
	v_perm_b32 v79, v93, v89, 0x5040100
	v_cndmask_b32_e64 v89, v97, v102, s17
	v_cndmask_b32_e64 v85, v85, v102, s18
	;; [unrolled: 1-line block ×5, first 2 shown]
	v_lshrrev_b32_e32 v107, 16, v91
	v_cndmask_b32_e64 v89, v89, v87, s21
	v_cndmask_b32_e64 v85, v85, v87, s22
	;; [unrolled: 1-line block ×11, first 2 shown]
	v_lshrrev_b32_e32 v108, 16, v92
	v_cndmask_b32_e64 v81, v81, v92, s7
	v_cndmask_b32_e64 v87, v87, v88, s26
	;; [unrolled: 1-line block ×12, first 2 shown]
	v_perm_b32 v77, v83, v82, 0x5040100
	v_perm_b32 v84, v86, v85, 0x5040100
	;; [unrolled: 1-line block ×5, first 2 shown]
	s_lshl_b32 s8, s33, 2
	s_mov_b32 s3, exec_lo
	ds_store_b128 v73, v[77:80]
	ds_store_b128 v73, v[81:84] offset:1024
	v_cmpx_gt_u32_e32 4, v0
	s_cbranch_execz .LBB1121_14
; %bb.13:
	v_or_b32_e32 v77, s31, v0
	s_load_b128 s[4:7], s[0:1], 0x58
	s_delay_alu instid0(VALU_DEP_1) | instskip(NEXT) | instid1(VALU_DEP_1)
	v_mad_u64_u32 v[78:79], null, s8, s34, v[77:78]
	v_mad_u64_u32 v[79:80], null, v78, s35, s[14:15]
	s_delay_alu instid0(VALU_DEP_1) | instskip(NEXT) | instid1(VALU_DEP_1)
	v_ashrrev_i32_e32 v80, 31, v79
	v_lshlrev_b64 v[77:78], 2, v[79:80]
	s_waitcnt lgkmcnt(0)
	s_delay_alu instid0(VALU_DEP_1) | instskip(NEXT) | instid1(VALU_DEP_2)
	v_add_co_u32 v79, vcc_lo, s6, v77
	v_add_co_ci_u32_e32 v80, vcc_lo, s7, v78, vcc_lo
	v_add_co_u32 v77, vcc_lo, s4, v77
	v_add_co_ci_u32_e32 v78, vcc_lo, s5, v78, vcc_lo
	global_store_b32 v[79:80], v75, off
	global_store_b32 v[77:78], v76, off
.LBB1121_14:
	s_or_b32 exec_lo, exec_lo, s3
	s_waitcnt lgkmcnt(0)
	s_waitcnt_vscnt null, 0x0
	s_barrier
	buffer_gl0_inv
	ds_load_b128 v[83:86], v72
	ds_load_b128 v[87:90], v72 offset:16
	ds_load_b128 v[95:98], v72 offset:2064
	;; [unrolled: 1-line block ×5, first 2 shown]
	v_cmp_eq_u32_e32 vcc_lo, 1, v69
	v_mov_b32_e32 v75, 0
	ds_load_b128 v[111:114], v72 offset:6160
	ds_load_b128 v[107:110], v72 offset:6144
	;; [unrolled: 1-line block ×4, first 2 shown]
	v_cmp_eq_u32_e64 s4, 1, v68
	v_cmp_eq_u32_e64 s3, 1, v71
	;; [unrolled: 1-line block ×3, first 2 shown]
	v_mov_b32_e32 v76, v75
	v_mov_b32_e32 v77, v75
	;; [unrolled: 1-line block ×7, first 2 shown]
	v_cmp_eq_u32_e64 s6, 3, v71
	v_cmp_eq_u32_e64 s7, 7, v71
	s_waitcnt lgkmcnt(8)
	s_delay_alu instid0(VALU_DEP_3)
	v_wmma_f32_16x16x16_f16 v[75:82], v[49:56], v[83:90], v[75:82]
	ds_load_b128 v[53:56], v72 offset:10256
	ds_load_b128 v[49:52], v72 offset:10240
	s_waitcnt lgkmcnt(8)
	v_wmma_f32_16x16x16_f16 v[75:82], v[41:48], v[91:98], v[75:82]
	ds_load_b128 v[45:48], v72 offset:12304
	ds_load_b128 v[41:44], v72 offset:12288
	s_waitcnt lgkmcnt(8)
	;; [unrolled: 4-line block ×3, first 2 shown]
	s_barrier
	buffer_gl0_inv
	v_wmma_f32_16x16x16_f16 v[75:82], v[1:8], v[107:114], v[75:82]
	s_delay_alu instid0(VALU_DEP_1) | instskip(NEXT) | instid1(VALU_DEP_1)
	v_wmma_f32_16x16x16_f16 v[75:82], v[9:16], v[115:122], v[75:82]
	v_wmma_f32_16x16x16_f16 v[75:82], v[17:24], v[49:56], v[75:82]
	s_delay_alu instid0(VALU_DEP_1) | instskip(NEXT) | instid1(VALU_DEP_1)
	v_wmma_f32_16x16x16_f16 v[75:82], v[25:32], v[41:48], v[75:82]
	v_wmma_f32_16x16x16_f16 v[75:82], v[57:64], v[33:40], v[75:82]
	s_delay_alu instid0(VALU_DEP_1) | instskip(NEXT) | instid1(VALU_DEP_2)
	v_cvt_f16_f32_e32 v1, v75
	v_cvt_f16_f32_e32 v2, v76
	s_delay_alu instid0(VALU_DEP_3) | instskip(NEXT) | instid1(VALU_DEP_4)
	v_cvt_f16_f32_e32 v3, v77
	v_cvt_f16_f32_e32 v4, v78
	;; [unrolled: 1-line block ×6, first 2 shown]
	v_pack_b32_f16 v1, v1, v2
	v_pack_b32_f16 v2, v3, v4
	;; [unrolled: 1-line block ×3, first 2 shown]
	s_delay_alu instid0(VALU_DEP_4)
	v_pack_b32_f16 v4, v7, v8
	ds_store_b128 v73, v[1:4]
	s_waitcnt lgkmcnt(0)
	s_barrier
	buffer_gl0_inv
	ds_load_b128 v[1:4], v74
	ds_load_b128 v[5:8], v74 offset:16
	s_waitcnt lgkmcnt(1)
	v_lshrrev_b32_e32 v9, 16, v1
	s_waitcnt lgkmcnt(0)
	v_lshrrev_b32_e32 v13, 16, v5
	v_lshrrev_b32_e32 v10, 16, v2
	;; [unrolled: 1-line block ×4, first 2 shown]
	v_cndmask_b32_e32 v17, v1, v9, vcc_lo
	v_cndmask_b32_e32 v18, v5, v13, vcc_lo
	v_cndmask_b32_e64 v21, v1, v9, s4
	v_cmp_eq_u32_e32 vcc_lo, 1, v70
	v_cndmask_b32_e64 v22, v5, v13, s4
	v_cmp_eq_u32_e64 s4, 2, v69
	v_cndmask_b32_e64 v19, v1, v9, s3
	v_cndmask_b32_e64 v20, v5, v13, s3
	v_cndmask_b32_e32 v1, v1, v9, vcc_lo
	v_cmp_eq_u32_e64 s3, 2, v70
	v_cndmask_b32_e32 v5, v5, v13, vcc_lo
	v_cndmask_b32_e64 v9, v17, v2, s4
	v_cmp_eq_u32_e32 vcc_lo, 3, v69
	v_cndmask_b32_e64 v13, v18, v6, s4
	v_cmp_eq_u32_e64 s4, 2, v68
	v_cndmask_b32_e64 v17, v19, v2, s5
	v_cndmask_b32_e64 v18, v20, v6, s5
	v_cmp_eq_u32_e64 s5, 3, v68
	v_cndmask_b32_e64 v1, v1, v2, s3
	v_cndmask_b32_e64 v19, v21, v2, s4
	v_cndmask_b32_e64 v20, v22, v6, s4
	v_cndmask_b32_e64 v2, v5, v6, s3
	v_cndmask_b32_e32 v5, v9, v10, vcc_lo
	v_cndmask_b32_e32 v6, v13, v14, vcc_lo
	v_cmp_eq_u32_e32 vcc_lo, 3, v70
	v_cndmask_b32_e64 v9, v17, v10, s6
	v_cndmask_b32_e64 v13, v18, v14, s6
	;; [unrolled: 1-line block ×3, first 2 shown]
	v_cmp_eq_u32_e64 s4, 4, v69
	v_cndmask_b32_e32 v1, v1, v10, vcc_lo
	v_cndmask_b32_e32 v2, v2, v14, vcc_lo
	v_cmp_eq_u32_e32 vcc_lo, 4, v71
	v_lshrrev_b32_e32 v15, 16, v7
	v_lshrrev_b32_e32 v16, 16, v8
	v_cndmask_b32_e64 v17, v19, v10, s5
	v_cmp_eq_u32_e64 s3, 4, v70
	v_cndmask_b32_e64 v5, v5, v3, s4
	v_cndmask_b32_e64 v6, v6, v7, s4
	v_cndmask_b32_e32 v9, v9, v3, vcc_lo
	v_cmp_eq_u32_e64 s4, 5, v71
	v_cndmask_b32_e32 v10, v13, v7, vcc_lo
	v_cmp_eq_u32_e32 vcc_lo, 4, v68
	v_cmp_eq_u32_e64 s5, 5, v69
	v_cndmask_b32_e64 v2, v2, v7, s3
	v_cndmask_b32_e64 v9, v9, v11, s4
	;; [unrolled: 1-line block ×3, first 2 shown]
	v_cndmask_b32_e32 v13, v17, v3, vcc_lo
	v_cmp_eq_u32_e64 s4, 5, v68
	v_cndmask_b32_e32 v14, v18, v7, vcc_lo
	v_cndmask_b32_e64 v1, v1, v3, s3
	v_cmp_eq_u32_e32 vcc_lo, 5, v70
	v_lshrrev_b32_e32 v12, 16, v4
	v_cndmask_b32_e64 v13, v13, v11, s4
	v_cndmask_b32_e64 v3, v14, v15, s4
	v_cmp_eq_u32_e64 s4, 6, v70
	v_cndmask_b32_e32 v1, v1, v11, vcc_lo
	v_cndmask_b32_e64 v5, v5, v11, s5
	v_cmp_eq_u32_e64 s6, 6, v69
	v_cndmask_b32_e64 v6, v6, v15, s5
	v_cmp_eq_u32_e64 s5, 6, v71
	v_cmp_eq_u32_e64 s3, 6, v68
	v_cndmask_b32_e64 v1, v1, v4, s4
	v_cndmask_b32_e32 v2, v2, v15, vcc_lo
	v_cmp_eq_u32_e32 vcc_lo, 7, v70
	v_cndmask_b32_e64 v5, v5, v4, s6
	v_cndmask_b32_e64 v9, v9, v4, s5
	;; [unrolled: 1-line block ×3, first 2 shown]
	v_cmp_eq_u32_e64 s6, 7, v69
	v_cndmask_b32_e32 v1, v1, v12, vcc_lo
	v_cndmask_b32_e64 v7, v13, v4, s3
	v_cndmask_b32_e64 v3, v3, v8, s3
	;; [unrolled: 1-line block ×3, first 2 shown]
	v_cmp_eq_u32_e64 s3, 7, v68
	v_cndmask_b32_e64 v4, v10, v8, s5
	v_cndmask_b32_e64 v5, v5, v12, s6
	;; [unrolled: 1-line block ×3, first 2 shown]
	v_cndmask_b32_e32 v2, v2, v16, vcc_lo
	v_cndmask_b32_e64 v7, v7, v12, s3
	v_cndmask_b32_e64 v3, v3, v16, s3
	v_cndmask_b32_e64 v8, v4, v16, s7
	v_cndmask_b32_e64 v6, v6, v16, s6
	v_cmp_gt_u32_e32 vcc_lo, 32, v0
	v_perm_b32 v4, v2, v1, 0x5040100
	v_perm_b32 v3, v3, v7, 0x5040100
	;; [unrolled: 1-line block ×4, first 2 shown]
	s_and_b32 s2, vcc_lo, s2
	ds_store_b128 v73, v[1:4]
	s_waitcnt lgkmcnt(0)
	s_barrier
	buffer_gl0_inv
	s_and_saveexec_b32 s3, s2
	s_cbranch_execz .LBB1121_2
; %bb.15:
	s_load_b64 s[0:1], s[0:1], 0x68
	v_lshlrev_b32_e32 v0, 10, v0
	v_or_b32_e32 v1, s31, v67
	s_lshl_b32 s4, s35, 6
	v_lshlrev_b32_e32 v2, 4, v66
	s_mul_i32 s2, s4, s34
	v_lshlrev_b32_e32 v3, 6, v67
	v_mul_lo_u32 v8, v1, s4
	v_and_b32_e32 v0, 0x3800, v0
	v_or_b32_e32 v1, 2, v1
	s_mul_i32 s2, s2, s8
	s_delay_alu instid0(SALU_CYCLE_1) | instskip(NEXT) | instid1(VALU_DEP_2)
	s_ashr_i32 s3, s2, 31
	v_or3_b32 v4, v0, v2, v3
	s_lshl_b64 s[2:3], s[2:3], 1
	v_mul_lo_u32 v10, v1, s4
	v_ashrrev_i32_e32 v9, 31, v8
	ds_load_b128 v[0:3], v4
	ds_load_b128 v[4:7], v4 offset:128
	s_waitcnt lgkmcnt(0)
	s_add_u32 s2, s0, s2
	s_addc_u32 s3, s1, s3
	s_lshl_b32 s0, s14, 6
	v_ashrrev_i32_e32 v11, 31, v10
	s_ashr_i32 s1, s0, 31
	v_lshlrev_b64 v[8:9], 1, v[8:9]
	s_lshl_b64 s[0:1], s[0:1], 1
	s_delay_alu instid0(SALU_CYCLE_1) | instskip(SKIP_2) | instid1(VALU_DEP_1)
	s_add_u32 s0, s2, s0
	s_addc_u32 s1, s3, s1
	v_add_co_u32 v12, s0, s0, v65
	v_add_co_ci_u32_e64 v13, null, s1, 0, s0
	v_lshlrev_b64 v[10:11], 1, v[10:11]
	s_delay_alu instid0(VALU_DEP_3) | instskip(NEXT) | instid1(VALU_DEP_3)
	v_add_co_u32 v8, vcc_lo, v12, v8
	v_add_co_ci_u32_e32 v9, vcc_lo, v13, v9, vcc_lo
	s_delay_alu instid0(VALU_DEP_3) | instskip(NEXT) | instid1(VALU_DEP_4)
	v_add_co_u32 v10, vcc_lo, v12, v10
	v_add_co_ci_u32_e32 v11, vcc_lo, v13, v11, vcc_lo
	s_clause 0x1
	global_store_b128 v[8:9], v[0:3], off
	global_store_b128 v[10:11], v[4:7], off
	s_nop 0
	s_sendmsg sendmsg(MSG_DEALLOC_VGPRS)
	s_endpgm
	.section	.rodata,"a",@progbits
	.p2align	6, 0x0
	.amdhsa_kernel _Z39paged_attention_ll4mi_QKV_mfma16_kernelIDF16_hLN4vllm18Fp8KVCacheDataTypeE1EhLi16ELi64ELi256ELb0ELi4EL8MFMAType0EEvPKT_PKT0_S8_ifPKiSA_SA_iPKfiiiPfSD_PS3_PT2_iSC_SC_
		.amdhsa_group_segment_fixed_size 17472
		.amdhsa_private_segment_fixed_size 0
		.amdhsa_kernarg_size 400
		.amdhsa_user_sgpr_count 13
		.amdhsa_user_sgpr_dispatch_ptr 0
		.amdhsa_user_sgpr_queue_ptr 0
		.amdhsa_user_sgpr_kernarg_segment_ptr 1
		.amdhsa_user_sgpr_dispatch_id 0
		.amdhsa_user_sgpr_private_segment_size 0
		.amdhsa_wavefront_size32 1
		.amdhsa_uses_dynamic_stack 0
		.amdhsa_enable_private_segment 0
		.amdhsa_system_sgpr_workgroup_id_x 1
		.amdhsa_system_sgpr_workgroup_id_y 1
		.amdhsa_system_sgpr_workgroup_id_z 1
		.amdhsa_system_sgpr_workgroup_info 0
		.amdhsa_system_vgpr_workitem_id 0
		.amdhsa_next_free_vgpr 123
		.amdhsa_next_free_sgpr 40
		.amdhsa_reserve_vcc 1
		.amdhsa_float_round_mode_32 0
		.amdhsa_float_round_mode_16_64 0
		.amdhsa_float_denorm_mode_32 3
		.amdhsa_float_denorm_mode_16_64 3
		.amdhsa_dx10_clamp 1
		.amdhsa_ieee_mode 1
		.amdhsa_fp16_overflow 0
		.amdhsa_workgroup_processor_mode 1
		.amdhsa_memory_ordered 1
		.amdhsa_forward_progress 0
		.amdhsa_shared_vgpr_count 0
		.amdhsa_exception_fp_ieee_invalid_op 0
		.amdhsa_exception_fp_denorm_src 0
		.amdhsa_exception_fp_ieee_div_zero 0
		.amdhsa_exception_fp_ieee_overflow 0
		.amdhsa_exception_fp_ieee_underflow 0
		.amdhsa_exception_fp_ieee_inexact 0
		.amdhsa_exception_int_div_zero 0
	.end_amdhsa_kernel
	.section	.text._Z39paged_attention_ll4mi_QKV_mfma16_kernelIDF16_hLN4vllm18Fp8KVCacheDataTypeE1EhLi16ELi64ELi256ELb0ELi4EL8MFMAType0EEvPKT_PKT0_S8_ifPKiSA_SA_iPKfiiiPfSD_PS3_PT2_iSC_SC_,"axG",@progbits,_Z39paged_attention_ll4mi_QKV_mfma16_kernelIDF16_hLN4vllm18Fp8KVCacheDataTypeE1EhLi16ELi64ELi256ELb0ELi4EL8MFMAType0EEvPKT_PKT0_S8_ifPKiSA_SA_iPKfiiiPfSD_PS3_PT2_iSC_SC_,comdat
.Lfunc_end1121:
	.size	_Z39paged_attention_ll4mi_QKV_mfma16_kernelIDF16_hLN4vllm18Fp8KVCacheDataTypeE1EhLi16ELi64ELi256ELb0ELi4EL8MFMAType0EEvPKT_PKT0_S8_ifPKiSA_SA_iPKfiiiPfSD_PS3_PT2_iSC_SC_, .Lfunc_end1121-_Z39paged_attention_ll4mi_QKV_mfma16_kernelIDF16_hLN4vllm18Fp8KVCacheDataTypeE1EhLi16ELi64ELi256ELb0ELi4EL8MFMAType0EEvPKT_PKT0_S8_ifPKiSA_SA_iPKfiiiPfSD_PS3_PT2_iSC_SC_
                                        ; -- End function
	.section	.AMDGPU.csdata,"",@progbits
; Kernel info:
; codeLenInByte = 6372
; NumSgprs: 42
; NumVgprs: 123
; ScratchSize: 0
; MemoryBound: 0
; FloatMode: 240
; IeeeMode: 1
; LDSByteSize: 17472 bytes/workgroup (compile time only)
; SGPRBlocks: 5
; VGPRBlocks: 15
; NumSGPRsForWavesPerEU: 42
; NumVGPRsForWavesPerEU: 123
; Occupancy: 10
; WaveLimiterHint : 1
; COMPUTE_PGM_RSRC2:SCRATCH_EN: 0
; COMPUTE_PGM_RSRC2:USER_SGPR: 13
; COMPUTE_PGM_RSRC2:TRAP_HANDLER: 0
; COMPUTE_PGM_RSRC2:TGID_X_EN: 1
; COMPUTE_PGM_RSRC2:TGID_Y_EN: 1
; COMPUTE_PGM_RSRC2:TGID_Z_EN: 1
; COMPUTE_PGM_RSRC2:TIDIG_COMP_CNT: 0
	.section	.text._Z39paged_attention_ll4mi_QKV_mfma16_kernelIDF16_hLN4vllm18Fp8KVCacheDataTypeE1EDF16_Li16ELi64ELi256ELb1ELi5EL8MFMAType0EEvPKT_PKT0_S8_ifPKiSA_SA_iPKfiiiPfSD_PS3_PT2_iSC_SC_,"axG",@progbits,_Z39paged_attention_ll4mi_QKV_mfma16_kernelIDF16_hLN4vllm18Fp8KVCacheDataTypeE1EDF16_Li16ELi64ELi256ELb1ELi5EL8MFMAType0EEvPKT_PKT0_S8_ifPKiSA_SA_iPKfiiiPfSD_PS3_PT2_iSC_SC_,comdat
	.protected	_Z39paged_attention_ll4mi_QKV_mfma16_kernelIDF16_hLN4vllm18Fp8KVCacheDataTypeE1EDF16_Li16ELi64ELi256ELb1ELi5EL8MFMAType0EEvPKT_PKT0_S8_ifPKiSA_SA_iPKfiiiPfSD_PS3_PT2_iSC_SC_ ; -- Begin function _Z39paged_attention_ll4mi_QKV_mfma16_kernelIDF16_hLN4vllm18Fp8KVCacheDataTypeE1EDF16_Li16ELi64ELi256ELb1ELi5EL8MFMAType0EEvPKT_PKT0_S8_ifPKiSA_SA_iPKfiiiPfSD_PS3_PT2_iSC_SC_
	.globl	_Z39paged_attention_ll4mi_QKV_mfma16_kernelIDF16_hLN4vllm18Fp8KVCacheDataTypeE1EDF16_Li16ELi64ELi256ELb1ELi5EL8MFMAType0EEvPKT_PKT0_S8_ifPKiSA_SA_iPKfiiiPfSD_PS3_PT2_iSC_SC_
	.p2align	8
	.type	_Z39paged_attention_ll4mi_QKV_mfma16_kernelIDF16_hLN4vllm18Fp8KVCacheDataTypeE1EDF16_Li16ELi64ELi256ELb1ELi5EL8MFMAType0EEvPKT_PKT0_S8_ifPKiSA_SA_iPKfiiiPfSD_PS3_PT2_iSC_SC_,@function
_Z39paged_attention_ll4mi_QKV_mfma16_kernelIDF16_hLN4vllm18Fp8KVCacheDataTypeE1EDF16_Li16ELi64ELi256ELb1ELi5EL8MFMAType0EEvPKT_PKT0_S8_ifPKiSA_SA_iPKfiiiPfSD_PS3_PT2_iSC_SC_: ; @_Z39paged_attention_ll4mi_QKV_mfma16_kernelIDF16_hLN4vllm18Fp8KVCacheDataTypeE1EDF16_Li16ELi64ELi256ELb1ELi5EL8MFMAType0EEvPKT_PKT0_S8_ifPKiSA_SA_iPKfiiiPfSD_PS3_PT2_iSC_SC_
; %bb.0:
	s_load_b64 s[2:3], s[0:1], 0x30
	s_mov_b32 s34, s13
	s_waitcnt lgkmcnt(0)
	s_cmp_lg_u64 s[2:3], 0
	s_cselect_b32 s6, -1, 0
	s_ashr_i32 s35, s13, 31
	s_cmp_eq_u64 s[2:3], 0
	s_cbranch_scc1 .LBB1122_3
; %bb.1:
	s_lshl_b64 s[4:5], s[34:35], 2
	s_delay_alu instid0(SALU_CYCLE_1) | instskip(SKIP_4) | instid1(SALU_CYCLE_1)
	s_add_u32 s4, s2, s4
	s_addc_u32 s5, s3, s5
	s_load_b64 s[4:5], s[4:5], 0x0
	s_waitcnt lgkmcnt(0)
	s_sub_i32 s4, s5, s4
	s_cmp_eq_u32 s4, 1
	s_cselect_b32 s4, -1, 0
	s_delay_alu instid0(SALU_CYCLE_1)
	s_and_not1_b32 vcc_lo, exec_lo, s4
	s_cbranch_vccz .LBB1122_4
.LBB1122_2:
	s_nop 0
	s_sendmsg sendmsg(MSG_DEALLOC_VGPRS)
	s_endpgm
.LBB1122_3:
.LBB1122_4:
	s_load_b64 s[8:9], s[0:1], 0x28
	s_lshl_b64 s[4:5], s[34:35], 2
	s_waitcnt lgkmcnt(0)
	s_add_u32 s8, s8, s4
	s_addc_u32 s9, s9, s5
	s_lshl_b32 s16, s14, 8
	s_load_b32 s18, s[8:9], 0x0
	s_waitcnt lgkmcnt(0)
	s_cmp_ge_i32 s16, s18
	s_cbranch_scc1 .LBB1122_2
; %bb.5:
	s_clause 0x1
	s_load_b128 s[8:11], s[0:1], 0x8
	s_load_b64 s[12:13], s[0:1], 0x20
	s_and_not1_b32 vcc_lo, exec_lo, s6
	s_cbranch_vccnz .LBB1122_7
; %bb.6:
	s_add_u32 s2, s2, s4
	s_addc_u32 s3, s3, s5
	s_load_b32 s3, s[2:3], 0x0
	s_branch .LBB1122_8
.LBB1122_7:
	s_mov_b32 s3, s34
.LBB1122_8:
	s_load_b128 s[4:7], s[0:1], 0x48
	v_lshrrev_b32_e32 v69, 5, v0
	v_bfe_u32 v66, v0, 4, 1
	v_and_b32_e32 v68, 15, v0
	v_and_b32_e32 v70, 31, v0
	v_and_b32_e32 v67, 1, v0
	s_mul_i32 s33, s15, 5
	v_lshl_or_b32 v1, v69, 1, v66
	v_lshlrev_b32_e32 v2, 3, v68
	v_cmp_gt_u32_e64 s2, 8, v68
	s_delay_alu instid0(VALU_DEP_3) | instskip(NEXT) | instid1(VALU_DEP_3)
	v_cmp_gt_u32_e32 vcc_lo, 5, v1
	v_lshlrev_b32_e32 v65, 1, v2
	s_delay_alu instid0(VALU_DEP_3)
	s_and_b32 s17, s2, vcc_lo
	s_waitcnt lgkmcnt(0)
	s_and_saveexec_b32 s7, s17
	s_cbranch_execz .LBB1122_10
; %bb.9:
	s_load_b64 s[20:21], s[0:1], 0x0
	v_add_lshl_u32 v2, v1, s33, 6
	s_mul_hi_i32 s23, s3, s4
	s_mul_i32 s22, s3, s4
	v_lshlrev_b32_e32 v6, 10, v68
	s_lshl_b64 s[22:23], s[22:23], 1
	v_ashrrev_i32_e32 v3, 31, v2
	v_lshlrev_b32_e32 v1, 6, v1
	v_lshlrev_b32_e32 v7, 10, v67
	v_and_b32_e32 v6, 0x3800, v6
	s_delay_alu instid0(VALU_DEP_4) | instskip(NEXT) | instid1(VALU_DEP_2)
	v_lshlrev_b64 v[2:3], 1, v[2:3]
	v_or3_b32 v1, v6, v7, v1
	s_waitcnt lgkmcnt(0)
	s_add_u32 s3, s20, s22
	s_addc_u32 s4, s21, s23
	s_delay_alu instid0(VALU_DEP_2) | instskip(SKIP_1) | instid1(VALU_DEP_2)
	v_add_co_u32 v2, vcc_lo, s3, v2
	v_add_co_ci_u32_e32 v3, vcc_lo, s4, v3, vcc_lo
	v_add_co_u32 v2, vcc_lo, v2, v65
	s_delay_alu instid0(VALU_DEP_2)
	v_add_co_ci_u32_e32 v3, vcc_lo, 0, v3, vcc_lo
	global_load_b128 v[2:5], v[2:3], off
	s_waitcnt vmcnt(0)
	ds_store_b128 v1, v[2:5]
.LBB1122_10:
	s_or_b32 exec_lo, exec_lo, s7
	v_and_b32_e32 v1, 0xef, v0
	s_add_i32 s3, s18, 15
	s_clause 0x1
	s_load_b32 s4, s[0:1], 0x38
	s_load_b32 s35, s[0:1], 0x98
	s_ashr_i32 s7, s3, 31
	v_add_nc_u32_e32 v1, s16, v1
	s_lshr_b32 s7, s7, 28
	s_load_b32 s19, s[0:1], 0x1c
	s_add_i32 s3, s3, s7
	s_waitcnt lgkmcnt(0)
	v_ashrrev_i32_e32 v2, 31, v1
	v_or_b32_e32 v3, 16, v1
	s_ashr_i32 s3, s3, 4
	v_cmp_gt_i32_e32 vcc_lo, s18, v1
	s_add_i32 s3, s3, -1
	v_lshrrev_b32_e32 v2, 28, v2
	s_barrier
	buffer_gl0_inv
	s_mul_i32 s15, s15, s6
	v_mul_lo_u16 v103, v68, 52
	v_add_nc_u32_e32 v4, v1, v2
	v_mbcnt_lo_u32_b32 v127, -1, 0
	s_mul_i32 s20, s34, s4
	s_delay_alu instid0(SALU_CYCLE_1) | instskip(NEXT) | instid1(VALU_DEP_2)
	s_ashr_i32 s21, s20, 31
	v_ashrrev_i32_e32 v4, 4, v4
	v_add_nc_u32_e32 v2, v3, v2
	s_lshl_b64 s[20:21], s[20:21], 2
	v_lshrrev_b16 v103, 8, v103
	s_add_u32 s17, s12, s20
	v_cndmask_b32_e32 v1, s3, v4, vcc_lo
	v_ashrrev_i32_e32 v2, 4, v2
	v_cmp_gt_i32_e32 vcc_lo, s18, v3
	s_addc_u32 s13, s13, s21
	s_ashr_i32 s20, s15, 31
	s_add_u32 s4, s8, s15
	s_addc_u32 s12, s9, s20
	v_cndmask_b32_e32 v3, s3, v2, vcc_lo
	v_ashrrev_i32_e32 v2, 31, v1
	s_lshl_b32 s6, s14, 4
	v_mul_lo_u16 v103, v103, 5
	s_ashr_i32 s7, s6, 31
	v_ashrrev_i32_e32 v4, 31, v3
	v_lshlrev_b64 v[1:2], 2, v[1:2]
	s_lshl_b64 s[6:7], s[6:7], 2
	v_sub_nc_u16 v103, v68, v103
	s_add_u32 s6, s17, s6
	v_lshlrev_b64 v[3:4], 2, v[3:4]
	s_addc_u32 s7, s13, s7
	v_add_co_u32 v1, vcc_lo, s17, v1
	v_add_co_ci_u32_e32 v2, vcc_lo, s13, v2, vcc_lo
	s_delay_alu instid0(VALU_DEP_3) | instskip(NEXT) | instid1(VALU_DEP_4)
	v_add_co_u32 v3, vcc_lo, s17, v3
	v_add_co_ci_u32_e32 v4, vcc_lo, s13, v4, vcc_lo
	s_clause 0x1
	global_load_b32 v5, v[1:2], off
	global_load_b32 v7, v[3:4], off
	s_or_b32 s8, s16, 32
	v_lshlrev_b32_e32 v1, 4, v0
	s_ashr_i32 s9, s8, 4
	s_cmp_lt_i32 s8, s18
	v_xor_b32_e32 v128, 16, v127
	s_cselect_b32 s8, s9, s3
	v_and_b32_e32 v1, 0xf0, v1
	s_ashr_i32 s9, s8, 31
	s_delay_alu instid0(SALU_CYCLE_1)
	s_lshl_b64 s[8:9], s[8:9], 2
	v_cmp_gt_i32_e32 vcc_lo, 32, v128
	s_add_u32 s8, s17, s8
	s_addc_u32 s9, s13, s9
	s_or_b32 s21, s16, 64
	v_add_co_u32 v1, s4, s4, v1
	s_ashr_i32 s22, s21, 4
	s_cmp_lt_i32 s21, s18
	v_add_co_ci_u32_e64 v2, null, s12, 0, s4
	s_cselect_b32 s22, s22, s3
	v_dual_cndmask_b32 v136, v127, v128 :: v_dual_and_b32 v103, 0xff, v103
	s_ashr_i32 s23, s22, 31
	s_delay_alu instid0(SALU_CYCLE_1) | instskip(NEXT) | instid1(VALU_DEP_1)
	s_lshl_b64 s[22:23], s[22:23], 2
	v_lshlrev_b32_e32 v115, 6, v103
	s_add_u32 s22, s17, s22
	s_addc_u32 s23, s13, s23
	s_or_b32 s21, s16, 0x60
	s_delay_alu instid0(SALU_CYCLE_1) | instskip(SKIP_2) | instid1(SALU_CYCLE_1)
	s_ashr_i32 s24, s21, 4
	s_cmp_lt_i32 s21, s18
	s_cselect_b32 s24, s24, s3
	s_ashr_i32 s25, s24, 31
	s_delay_alu instid0(SALU_CYCLE_1) | instskip(NEXT) | instid1(SALU_CYCLE_1)
	s_lshl_b64 s[24:25], s[24:25], 2
	s_add_u32 s24, s17, s24
	s_addc_u32 s25, s13, s25
	s_or_b32 s21, s16, 0x80
	s_delay_alu instid0(SALU_CYCLE_1) | instskip(SKIP_2) | instid1(SALU_CYCLE_1)
	s_ashr_i32 s26, s21, 4
	s_cmp_lt_i32 s21, s18
	s_cselect_b32 s26, s26, s3
	s_ashr_i32 s27, s26, 31
	s_delay_alu instid0(SALU_CYCLE_1) | instskip(NEXT) | instid1(SALU_CYCLE_1)
	s_lshl_b64 s[26:27], s[26:27], 2
	;; [unrolled: 10-line block ×3, first 2 shown]
	s_add_u32 s28, s17, s28
	s_addc_u32 s29, s13, s29
	s_clause 0x5
	s_load_b32 s12, s[6:7], 0x0
	s_load_b32 s4, s[8:9], 0x0
	;; [unrolled: 1-line block ×6, first 2 shown]
	s_or_b32 s21, s16, 0xc0
	s_delay_alu instid0(SALU_CYCLE_1) | instskip(SKIP_2) | instid1(SALU_CYCLE_1)
	s_ashr_i32 s22, s21, 4
	s_cmp_lt_i32 s21, s18
	s_cselect_b32 s22, s22, s3
	s_ashr_i32 s23, s22, 31
	s_delay_alu instid0(SALU_CYCLE_1) | instskip(NEXT) | instid1(SALU_CYCLE_1)
	s_lshl_b64 s[22:23], s[22:23], 2
	s_add_u32 s22, s17, s22
	s_addc_u32 s23, s13, s23
	s_or_b32 s21, s16, 0xe0
	s_delay_alu instid0(SALU_CYCLE_1) | instskip(SKIP_2) | instid1(SALU_CYCLE_1)
	s_ashr_i32 s24, s21, 4
	s_cmp_lt_i32 s21, s18
	s_cselect_b32 s24, s24, s3
	s_ashr_i32 s25, s24, 31
	s_delay_alu instid0(SALU_CYCLE_1)
	s_lshl_b64 s[24:25], s[24:25], 2
	s_waitcnt vmcnt(1)
	v_mad_i64_i32 v[3:4], null, v5, s5, v[1:2]
	s_waitcnt vmcnt(0)
	v_mad_i64_i32 v[5:6], null, v7, s5, v[1:2]
	v_lshlrev_b32_e32 v1, 4, v68
	s_clause 0x7
	global_load_b128 v[71:74], v[3:4], off
	global_load_b128 v[75:78], v[3:4], off offset:256
	global_load_b128 v[79:82], v[5:6], off
	global_load_b128 v[83:86], v[5:6], off offset:256
	global_load_b128 v[87:90], v[3:4], off offset:512
	;; [unrolled: 1-line block ×5, first 2 shown]
	v_lshl_or_b32 v1, v69, 8, v1
	s_load_b32 s3, s[22:23], 0x0
	s_add_u32 s22, s17, s24
	s_addc_u32 s23, s13, s25
	s_add_u32 s10, s10, s15
	s_addc_u32 s11, s11, s20
	v_add_co_u32 v1, s10, s10, v1
	s_delay_alu instid0(VALU_DEP_1) | instskip(SKIP_2) | instid1(VALU_DEP_1)
	v_add_co_ci_u32_e64 v2, null, s11, 0, s10
	s_load_b32 s10, s[22:23], 0x0
	s_waitcnt lgkmcnt(0)
	v_mad_i64_i32 v[3:4], null, s12, s5, v[1:2]
	v_mad_i64_i32 v[9:10], null, s7, s5, v[1:2]
	;; [unrolled: 1-line block ×7, first 2 shown]
	s_clause 0x5
	global_load_b128 v[49:52], v[3:4], off
	global_load_b128 v[53:56], v[3:4], off offset:16
	global_load_b128 v[41:44], v[5:6], off
	global_load_b128 v[45:48], v[5:6], off offset:16
	;; [unrolled: 2-line block ×3, first 2 shown]
	s_mov_b32 s4, 0
	v_mad_i64_i32 v[61:62], null, s10, s5, v[1:2]
	s_clause 0x9
	global_load_b128 v[1:4], v[9:10], off
	global_load_b128 v[5:8], v[9:10], off offset:16
	global_load_b128 v[9:12], v[13:14], off
	global_load_b128 v[13:16], v[13:14], off offset:16
	;; [unrolled: 2-line block ×5, first 2 shown]
	s_mov_b32 s5, s4
	s_mov_b32 s6, s4
	;; [unrolled: 1-line block ×7, first 2 shown]
	v_and_b32_e32 v104, 0xe0, v0
	v_dual_mov_b32 v126, s11 :: v_dual_mov_b32 v123, s8
	v_dual_mov_b32 v125, s10 :: v_dual_mov_b32 v124, s9
	s_delay_alu instid0(VALU_DEP_3)
	v_add_nc_u32_e32 v111, s16, v104
	ds_load_b128 v[103:106], v115
	ds_load_b128 v[107:110], v115 offset:1024
	v_dual_mov_b32 v122, s7 :: v_dual_mov_b32 v121, s6
	v_mov_b32_e32 v120, s5
	v_or_b32_e32 v135, v111, v66
	ds_load_b128 v[111:114], v115 offset:2048
	ds_load_b128 v[115:118], v115 offset:3072
	v_mov_b32_e32 v119, s4
	s_waitcnt vmcnt(0) lgkmcnt(0)
	s_barrier
	v_or_b32_e32 v137, 2, v135
	v_or_b32_e32 v138, 4, v135
	v_or_b32_e32 v139, 6, v135
	v_cmp_gt_i32_e32 vcc_lo, s18, v135
	v_or_b32_e32 v140, 8, v135
	v_cmp_gt_i32_e64 s3, s18, v137
	v_or_b32_e32 v141, 10, v135
	v_cmp_gt_i32_e64 s4, s18, v138
	v_cmp_gt_i32_e64 s5, s18, v139
	v_or_b32_e32 v142, 12, v135
	v_or_b32_e32 v143, 14, v135
	v_cmp_gt_i32_e64 s6, s18, v140
	v_cmp_gt_i32_e64 s7, s18, v141
	v_or_b32_e32 v144, 16, v135
	v_or_b32_e32 v145, 18, v135
	v_cmp_gt_i32_e64 s8, s18, v142
	v_cmp_gt_i32_e64 s9, s18, v143
	buffer_gl0_inv
	v_cmp_gt_i32_e64 s10, s18, v144
	v_cmp_gt_i32_e64 s11, s18, v145
	v_wmma_f32_16x16x16_f16 v[127:134], v[71:78], v[103:110], v[119:126]
	v_wmma_f32_16x16x16_f16 v[119:126], v[79:86], v[103:110], v[119:126]
	v_or_b32_e32 v71, 20, v135
	v_or_b32_e32 v72, 22, v135
	s_delay_alu instid0(VALU_DEP_4)
	v_wmma_f32_16x16x16_f16 v[127:134], v[87:94], v[111:118], v[127:134]
	v_or_b32_e32 v73, 24, v135
	v_wmma_f32_16x16x16_f16 v[119:126], v[95:102], v[111:118], v[119:126]
	v_or_b32_e32 v74, 26, v135
	v_cmp_gt_i32_e64 s12, s18, v71
	v_dual_mul_f32 v83, s19, v128 :: v_dual_mul_f32 v84, s19, v127
	s_delay_alu instid0(VALU_DEP_4) | instskip(SKIP_1) | instid1(VALU_DEP_3)
	v_dual_mul_f32 v81, s19, v130 :: v_dual_mul_f32 v92, s19, v119
	v_mul_f32_e32 v82, s19, v129
	v_cndmask_b32_e64 v83, 0xff7fffff, v83, s3
	s_delay_alu instid0(VALU_DEP_4)
	v_cndmask_b32_e32 v84, 0xff7fffff, v84, vcc_lo
	v_dual_mul_f32 v79, s19, v132 :: v_dual_mul_f32 v90, s19, v121
	v_mul_f32_e32 v80, s19, v131
	v_cndmask_b32_e64 v82, 0xff7fffff, v82, s4
	v_cndmask_b32_e64 v81, 0xff7fffff, v81, s5
	v_max3_f32 v83, v84, 0xff7fffff, v83
	v_dual_mul_f32 v77, s19, v134 :: v_dual_mul_f32 v88, s19, v123
	v_mul_f32_e32 v78, s19, v133
	v_cndmask_b32_e64 v80, 0xff7fffff, v80, s6
	v_cndmask_b32_e64 v79, 0xff7fffff, v79, s7
	v_max3_f32 v81, v83, v82, v81
	v_mul_f32_e32 v91, s19, v120
	v_cndmask_b32_e64 v78, 0xff7fffff, v78, s8
	v_cndmask_b32_e64 v77, 0xff7fffff, v77, s9
	v_mul_f32_e32 v89, s19, v122
	v_max3_f32 v79, v81, v80, v79
	v_cndmask_b32_e64 v80, 0xff7fffff, v92, s10
	v_cndmask_b32_e64 v81, 0xff7fffff, v91, s11
	v_cmp_gt_i32_e64 s13, s18, v72
	v_or_b32_e32 v75, 28, v135
	v_max3_f32 v77, v79, v78, v77
	v_or_b32_e32 v76, 30, v135
	v_mul_f32_e32 v87, s19, v124
	v_cndmask_b32_e64 v71, 0xff7fffff, v90, s12
	v_cndmask_b32_e64 v72, 0xff7fffff, v89, s13
	v_max3_f32 v77, v77, v80, v81
	v_cmp_gt_i32_e64 s15, s18, v73
	v_cmp_gt_i32_e64 s16, s18, v74
	v_dual_mul_f32 v85, s19, v126 :: v_dual_mul_f32 v86, s19, v125
	s_delay_alu instid0(VALU_DEP_4) | instskip(NEXT) | instid1(VALU_DEP_4)
	v_max3_f32 v71, v77, v71, v72
	v_cndmask_b32_e64 v73, 0xff7fffff, v88, s15
	s_delay_alu instid0(VALU_DEP_4) | instskip(SKIP_2) | instid1(VALU_DEP_3)
	v_cndmask_b32_e64 v74, 0xff7fffff, v87, s16
	v_cmp_gt_i32_e64 s17, s18, v75
	v_cmp_gt_i32_e64 s18, s18, v76
	v_max3_f32 v71, v71, v73, v74
	s_delay_alu instid0(VALU_DEP_3) | instskip(NEXT) | instid1(VALU_DEP_3)
	v_cndmask_b32_e64 v72, 0xff7fffff, v86, s17
	v_cndmask_b32_e64 v75, 0xff7fffff, v85, s18
	v_lshlrev_b32_e32 v73, 2, v136
	s_delay_alu instid0(VALU_DEP_2) | instskip(SKIP_3) | instid1(VALU_DEP_1)
	v_max3_f32 v71, v71, v72, v75
	ds_bpermute_b32 v72, v73, v71
	s_waitcnt lgkmcnt(0)
	v_max_f32_e32 v72, v72, v72
	v_max_f32_e32 v71, v71, v72
	s_delay_alu instid0(VALU_DEP_1)
	v_fma_f32 v72, s19, v127, -v71
	v_fma_f32 v74, s19, v128, -v71
	;; [unrolled: 1-line block ×5, first 2 shown]
	v_mul_f32_e32 v72, 0x3fb8aa3b, v72
	v_mul_f32_e32 v74, 0x3fb8aa3b, v74
	v_fma_f32 v80, s19, v133, -v71
	s_delay_alu instid0(VALU_DEP_4) | instskip(NEXT) | instid1(VALU_DEP_4)
	v_dual_mul_f32 v76, 0x3fb8aa3b, v76 :: v_dual_mul_f32 v77, 0x3fb8aa3b, v77
	v_exp_f32_e32 v72, v72
	s_delay_alu instid0(VALU_DEP_3) | instskip(NEXT) | instid1(VALU_DEP_2)
	v_exp_f32_e32 v74, v74
	v_mul_f32_e32 v82, 0x3fb8aa3b, v80
	s_delay_alu instid0(VALU_DEP_2) | instskip(SKIP_1) | instid1(VALU_DEP_1)
	v_exp_f32_e32 v76, v76
	v_exp_f32_e32 v77, v77
	;; [unrolled: 1-line block ×3, first 2 shown]
	v_cndmask_b32_e32 v79, 0, v72, vcc_lo
	v_fma_f32 v72, s19, v132, -v71
	v_mul_f32_e32 v75, 0x3fb8aa3b, v75
	v_cndmask_b32_e64 v78, 0, v74, s3
	s_delay_alu instid0(TRANS32_DEP_3)
	v_cndmask_b32_e64 v80, 0, v76, s5
	v_add_f32_e32 v74, 0, v79
	v_mul_f32_e32 v72, 0x3fb8aa3b, v72
	v_exp_f32_e32 v75, v75
	v_cndmask_b32_e64 v83, 0, v77, s6
	v_cndmask_b32_e64 v85, 0, v84, s8
	v_add_f32_e32 v74, v74, v78
	v_exp_f32_e32 v72, v72
	v_cmp_gt_u32_e64 s3, 16, v70
	s_waitcnt_depctr 0xfff
	v_cndmask_b32_e64 v81, 0, v75, s4
	v_cndmask_b32_e64 v82, 0, v72, s7
	s_delay_alu instid0(VALU_DEP_2) | instskip(NEXT) | instid1(VALU_DEP_1)
	v_add_f32_e32 v74, v74, v81
	v_add_f32_e32 v74, v74, v80
	s_delay_alu instid0(VALU_DEP_1) | instskip(SKIP_4) | instid1(VALU_DEP_4)
	v_add_f32_e32 v72, v74, v83
	v_fma_f32 v75, s19, v134, -v71
	v_fma_f32 v76, s19, v119, -v71
	;; [unrolled: 1-line block ×4, first 2 shown]
	v_dual_add_f32 v72, v72, v82 :: v_dual_mul_f32 v75, 0x3fb8aa3b, v75
	s_delay_alu instid0(VALU_DEP_3) | instskip(SKIP_1) | instid1(VALU_DEP_3)
	v_dual_mul_f32 v76, 0x3fb8aa3b, v76 :: v_dual_mul_f32 v77, 0x3fb8aa3b, v77
	v_fma_f32 v86, s19, v122, -v71
	v_add_f32_e32 v72, v72, v85
	s_delay_alu instid0(VALU_DEP_4) | instskip(NEXT) | instid1(VALU_DEP_3)
	v_exp_f32_e32 v75, v75
	v_exp_f32_e32 v76, v76
	v_exp_f32_e32 v77, v77
	v_mul_f32_e32 v86, 0x3fb8aa3b, v86
	s_delay_alu instid0(VALU_DEP_1) | instskip(SKIP_3) | instid1(TRANS32_DEP_3)
	v_exp_f32_e32 v88, v86
	v_cndmask_b32_e64 v84, 0, v75, s9
	v_fma_f32 v75, s19, v123, -v71
	v_mul_f32_e32 v74, 0x3fb8aa3b, v74
	v_cndmask_b32_e64 v87, 0, v76, s10
	v_fma_f32 v76, s19, v124, -v71
	s_delay_alu instid0(VALU_DEP_4) | instskip(NEXT) | instid1(VALU_DEP_4)
	v_dual_add_f32 v72, v72, v84 :: v_dual_mul_f32 v75, 0x3fb8aa3b, v75
	v_exp_f32_e32 v74, v74
	v_cndmask_b32_e64 v86, 0, v77, s11
	v_fma_f32 v77, s19, v125, -v71
	s_delay_alu instid0(VALU_DEP_3) | instskip(SKIP_3) | instid1(VALU_DEP_3)
	v_add_f32_e32 v72, v72, v87
	v_mul_f32_e32 v76, 0x3fb8aa3b, v76
	v_exp_f32_e32 v75, v75
	v_cndmask_b32_e64 v88, 0, v88, s13
	v_add_f32_e32 v72, v72, v86
	s_delay_alu instid0(VALU_DEP_3) | instskip(NEXT) | instid1(TRANS32_DEP_3)
	v_exp_f32_e32 v76, v76
	v_cndmask_b32_e64 v89, 0, v74, s12
	v_mul_f32_e32 v74, 0x3fb8aa3b, v77
	v_fma_f32 v77, s19, v126, -v71
	s_delay_alu instid0(VALU_DEP_3) | instskip(NEXT) | instid1(VALU_DEP_3)
	v_add_f32_e32 v72, v72, v89
	v_exp_f32_e32 v74, v74
	s_delay_alu instid0(TRANS32_DEP_3) | instskip(NEXT) | instid1(VALU_DEP_3)
	v_cndmask_b32_e64 v91, 0, v75, s15
	v_mul_f32_e32 v75, 0x3fb8aa3b, v77
	s_delay_alu instid0(TRANS32_DEP_2) | instskip(SKIP_1) | instid1(VALU_DEP_3)
	v_cndmask_b32_e64 v90, 0, v76, s16
	v_add_f32_e32 v72, v72, v88
	v_exp_f32_e32 v75, v75
	s_delay_alu instid0(VALU_DEP_1) | instskip(NEXT) | instid1(TRANS32_DEP_2)
	v_add_f32_e32 v72, v72, v91
	v_cndmask_b32_e64 v93, 0, v74, s17
	s_delay_alu instid0(VALU_DEP_2) | instskip(SKIP_3) | instid1(VALU_DEP_1)
	v_add_f32_e32 v72, v72, v90
	s_waitcnt_depctr 0xfff
	v_cndmask_b32_e64 v92, 0, v75, s18
	v_add_f32_e32 v72, v72, v93
	v_add_f32_e32 v72, v72, v92
	ds_bpermute_b32 v73, v73, v72
	s_and_saveexec_b32 s4, s3
	s_cbranch_execz .LBB1122_12
; %bb.11:
	v_mul_u32_u24_e32 v70, 0x44, v69
	s_waitcnt lgkmcnt(0)
	v_add_f32_e32 v72, v72, v73
	s_delay_alu instid0(VALU_DEP_2) | instskip(NEXT) | instid1(VALU_DEP_1)
	v_lshl_add_u32 v70, v68, 2, v70
	v_add_nc_u32_e32 v70, 0x4000, v70
	ds_store_2addr_b32 v70, v71, v72 offset1:136
.LBB1122_12:
	s_or_b32 exec_lo, exec_lo, s4
	v_lshlrev_b32_e32 v70, 2, v68
	s_load_b32 s36, s[0:1], 0x94
	s_waitcnt lgkmcnt(0)
	s_barrier
	buffer_gl0_inv
	v_add_nc_u32_e32 v98, 0x4000, v70
	v_cmp_eq_u32_e32 vcc_lo, 1, v69
	v_cmp_eq_u32_e64 s4, 2, v69
	v_cmp_eq_u32_e64 s5, 3, v69
	;; [unrolled: 1-line block ×3, first 2 shown]
	ds_load_2addr_b32 v[70:71], v98 offset1:17
	ds_load_2addr_b32 v[72:73], v98 offset0:34 offset1:51
	ds_load_2addr_b32 v[74:75], v98 offset0:68 offset1:85
	;; [unrolled: 1-line block ×3, first 2 shown]
	v_cmp_eq_u32_e64 s7, 5, v69
	v_cmp_eq_u32_e64 s8, 7, v69
	s_waitcnt lgkmcnt(3)
	v_max3_f32 v76, v70, 0xff7fffff, v71
	s_waitcnt lgkmcnt(2)
	s_delay_alu instid0(VALU_DEP_1) | instskip(SKIP_1) | instid1(VALU_DEP_1)
	v_max3_f32 v76, v76, v72, v73
	s_waitcnt lgkmcnt(1)
	v_max3_f32 v76, v76, v74, v75
	s_waitcnt lgkmcnt(0)
	s_delay_alu instid0(VALU_DEP_1) | instskip(NEXT) | instid1(VALU_DEP_1)
	v_max3_f32 v76, v76, v94, v95
	v_sub_f32_e32 v77, v71, v76
	ds_load_2addr_b32 v[96:97], v98 offset0:136 offset1:153
	v_sub_f32_e32 v74, v74, v76
	v_sub_f32_e32 v70, v70, v76
	;; [unrolled: 1-line block ×3, first 2 shown]
	v_dual_sub_f32 v72, v72, v76 :: v_dual_mul_f32 v77, 0x3fb8aa3b, v77
	s_delay_alu instid0(VALU_DEP_4) | instskip(NEXT) | instid1(VALU_DEP_4)
	v_mul_f32_e32 v103, 0x3fb8aa3b, v74
	v_mul_f32_e32 v99, 0x3fb8aa3b, v70
	ds_load_2addr_b32 v[70:71], v98 offset0:170 offset1:187
	v_dual_mul_f32 v101, 0x3fb8aa3b, v72 :: v_dual_mul_f32 v94, 0x3fb8aa3b, v94
	v_exp_f32_e32 v102, v77
	v_exp_f32_e32 v99, v99
	s_delay_alu instid0(VALU_DEP_1) | instskip(NEXT) | instid1(VALU_DEP_1)
	v_exp_f32_e32 v101, v101
	v_exp_f32_e32 v94, v94
	s_waitcnt lgkmcnt(1)
	s_delay_alu instid0(TRANS32_DEP_3)
	v_fma_f32 v77, v99, v96, 0
	v_sub_f32_e32 v100, v73, v76
	ds_load_2addr_b32 v[72:73], v98 offset0:204 offset1:221
	v_fmac_f32_e32 v77, v102, v97
	v_exp_f32_e32 v97, v103
	s_waitcnt lgkmcnt(1)
	s_delay_alu instid0(VALU_DEP_1)
	v_dual_fmac_f32 v77, v101, v70 :: v_dual_sub_f32 v96, v75, v76
	ds_load_2addr_b32 v[74:75], v98 offset0:238 offset1:255
	v_sub_f32_e32 v70, v95, v76
	s_waitcnt lgkmcnt(0)
	s_barrier
	v_mul_f32_e32 v96, 0x3fb8aa3b, v96
	buffer_gl0_inv
	v_exp_f32_e32 v95, v96
	v_mul_f32_e32 v100, 0x3fb8aa3b, v100
	s_delay_alu instid0(VALU_DEP_1) | instskip(SKIP_3) | instid1(VALU_DEP_2)
	v_exp_f32_e32 v100, v100
	s_waitcnt_depctr 0xfff
	v_dual_fmac_f32 v77, v100, v71 :: v_dual_mul_f32 v70, 0x3fb8aa3b, v70
	v_cndmask_b32_e32 v71, v99, v102, vcc_lo
	v_fmac_f32_e32 v77, v97, v72
	s_delay_alu instid0(VALU_DEP_3) | instskip(NEXT) | instid1(VALU_DEP_1)
	v_exp_f32_e32 v96, v70
	v_fmac_f32_e32 v77, v95, v73
	s_delay_alu instid0(VALU_DEP_1) | instskip(SKIP_2) | instid1(VALU_DEP_1)
	v_fmac_f32_e32 v77, v94, v74
	s_waitcnt_depctr 0xfff
	v_fmac_f32_e32 v77, v96, v75
	v_add_f32_e32 v74, 0x358637bd, v77
	s_delay_alu instid0(VALU_DEP_1) | instskip(SKIP_1) | instid1(VALU_DEP_2)
	v_div_scale_f32 v98, null, v74, v74, 1.0
	v_div_scale_f32 v99, vcc_lo, 1.0, v74, 1.0
	v_rcp_f32_e32 v103, v98
	s_waitcnt_depctr 0xfff
	v_fma_f32 v70, -v98, v103, 1.0
	s_delay_alu instid0(VALU_DEP_1) | instskip(SKIP_2) | instid1(VALU_DEP_2)
	v_fmac_f32_e32 v103, v70, v103
	v_cndmask_b32_e64 v70, v71, v101, s4
	v_cmp_eq_u32_e64 s4, 6, v69
	v_cndmask_b32_e64 v71, v70, v100, s5
	s_delay_alu instid0(VALU_DEP_4) | instskip(NEXT) | instid1(VALU_DEP_2)
	v_dual_mul_f32 v101, v99, v103 :: v_dual_lshlrev_b32 v70, 2, v66
	v_cndmask_b32_e64 v71, v71, v97, s6
	s_delay_alu instid0(VALU_DEP_2) | instskip(NEXT) | instid1(VALU_DEP_3)
	v_or_b32_e32 v72, 1, v70
	v_fma_f32 v100, -v98, v101, v99
	v_cmp_eq_u32_e64 s5, 1, v70
	v_cmp_eq_u32_e64 s6, 2, v70
	v_cndmask_b32_e64 v95, v71, v95, s7
	v_or_b32_e32 v71, 3, v70
	v_fmac_f32_e32 v101, v100, v103
	v_cmp_eq_u32_e64 s10, 1, v72
	v_cmp_eq_u32_e64 s13, 2, v72
	v_cndmask_b32_e64 v94, v95, v94, s4
	v_cmp_eq_u32_e64 s12, 1, v71
	v_fma_f32 v97, -v98, v101, v99
	v_cmp_eq_u32_e64 s17, 2, v71
	v_cmp_eq_u32_e64 s15, 3, v72
	v_cndmask_b32_e64 v94, v94, v96, s8
	v_cmp_eq_u32_e64 s19, 3, v71
	v_div_fmas_f32 v95, v97, v103, v101
	v_cmp_eq_u32_e32 vcc_lo, 3, v70
	v_cmp_eq_u32_e64 s4, 4, v70
	v_cmp_eq_u32_e64 s20, 4, v72
	;; [unrolled: 1-line block ×3, first 2 shown]
	v_div_fixup_f32 v95, v95, v74, 1.0
	v_lshlrev_b32_e32 v73, 6, v68
	v_cmp_eq_u32_e64 s7, 5, v70
	v_cmp_eq_u32_e64 s21, 5, v72
	;; [unrolled: 1-line block ×3, first 2 shown]
	v_mul_f32_e32 v102, v94, v95
	v_lshl_or_b32 v75, v69, 11, v73
	v_or_b32_e32 v69, 2, v70
	v_cmp_eq_u32_e64 s26, 6, v72
	v_cmp_eq_u32_e64 s28, 6, v71
	v_fma_mixlo_f16 v94, v102, v79, 0
	v_fma_mixlo_f16 v95, v102, v81, 0
	;; [unrolled: 1-line block ×8, first 2 shown]
	v_lshl_or_b32 v74, v66, 4, v75
	v_fma_mixhi_f16 v94, v102, v78, 0
	v_fma_mixhi_f16 v95, v102, v80, 0
	;; [unrolled: 1-line block ×8, first 2 shown]
	ds_store_b128 v74, v[94:97]
	ds_store_b128 v74, v[98:101] offset:1024
	s_waitcnt lgkmcnt(0)
	s_barrier
	buffer_gl0_inv
	ds_load_b128 v[78:81], v75
	ds_load_b128 v[82:85], v75 offset:16
	ds_load_b128 v[86:89], v75 offset:1024
	;; [unrolled: 1-line block ×3, first 2 shown]
	v_cmp_eq_u32_e64 s11, 1, v69
	v_cmp_eq_u32_e64 s16, 2, v69
	;; [unrolled: 1-line block ×11, first 2 shown]
	s_waitcnt lgkmcnt(3)
	v_lshrrev_b32_e32 v94, 16, v78
	s_waitcnt lgkmcnt(2)
	v_lshrrev_b32_e32 v98, 16, v82
	;; [unrolled: 2-line block ×4, first 2 shown]
	v_lshrrev_b32_e32 v95, 16, v79
	v_cndmask_b32_e64 v110, v78, v94, s5
	v_cndmask_b32_e64 v111, v82, v98, s5
	;; [unrolled: 1-line block ×8, first 2 shown]
	v_lshrrev_b32_e32 v99, 16, v83
	v_cndmask_b32_e64 v94, v86, v102, s5
	v_cndmask_b32_e64 v98, v90, v106, s5
	;; [unrolled: 1-line block ×15, first 2 shown]
	v_lshrrev_b32_e32 v103, 16, v87
	v_lshrrev_b32_e32 v107, 16, v91
	v_cndmask_b32_e64 v113, v115, v83, s16
	v_cndmask_b32_e64 v82, v94, v87, s6
	;; [unrolled: 1-line block ×7, first 2 shown]
	v_cndmask_b32_e32 v90, v102, v95, vcc_lo
	v_cndmask_b32_e32 v102, v106, v99, vcc_lo
	v_cndmask_b32_e64 v106, v110, v95, s15
	v_cndmask_b32_e64 v110, v111, v99, s15
	v_cndmask_b32_e64 v78, v78, v95, s19
	v_cndmask_b32_e64 v79, v79, v99, s19
	v_lshrrev_b32_e32 v96, 16, v80
	v_lshrrev_b32_e32 v100, 16, v84
	v_cndmask_b32_e64 v111, v112, v95, s18
	v_cndmask_b32_e64 v112, v113, v99, s18
	v_cndmask_b32_e32 v82, v82, v103, vcc_lo
	v_cndmask_b32_e32 v83, v83, v107, vcc_lo
	v_cndmask_b32_e64 v94, v94, v103, s15
	v_cndmask_b32_e64 v90, v90, v80, s4
	;; [unrolled: 1-line block ×7, first 2 shown]
	v_lshrrev_b32_e32 v104, 16, v88
	v_cndmask_b32_e64 v106, v111, v80, s22
	v_cndmask_b32_e64 v110, v112, v84, s22
	;; [unrolled: 1-line block ×11, first 2 shown]
	v_lshrrev_b32_e32 v97, 16, v81
	v_lshrrev_b32_e32 v101, 16, v85
	v_cndmask_b32_e64 v99, v106, v96, s24
	v_cndmask_b32_e64 v102, v110, v100, s24
	v_cndmask_b32_e64 v83, v83, v104, s21
	v_cndmask_b32_e64 v94, v94, v81, s26
	v_cndmask_b32_e64 v95, v95, v85, s26
	v_cndmask_b32_e64 v78, v78, v81, s28
	v_cndmask_b32_e64 v79, v79, v85, s28
	v_lshrrev_b32_e32 v105, 16, v89
	v_cndmask_b32_e64 v80, v80, v104, s7
	v_cndmask_b32_e64 v84, v84, v81, s8
	;; [unrolled: 1-line block ×16, first 2 shown]
	v_perm_b32 v81, v79, v78, 0x5040100
	v_perm_b32 v79, v95, v85, 0x5040100
	v_cndmask_b32_e64 v78, v119, v91, s16
	v_cndmask_b32_e64 v85, v117, v91, s13
	;; [unrolled: 1-line block ×3, first 2 shown]
	v_perm_b32 v80, v94, v90, 0x5040100
	v_cndmask_b32_e64 v90, v98, v103, s18
	v_cndmask_b32_e64 v86, v86, v103, s19
	;; [unrolled: 1-line block ×5, first 2 shown]
	v_lshrrev_b32_e32 v108, 16, v92
	v_cndmask_b32_e64 v90, v90, v88, s22
	v_cndmask_b32_e64 v86, v86, v88, s23
	;; [unrolled: 1-line block ×11, first 2 shown]
	v_lshrrev_b32_e32 v109, 16, v93
	v_cndmask_b32_e64 v82, v82, v93, s8
	v_cndmask_b32_e64 v88, v88, v89, s27
	;; [unrolled: 1-line block ×12, first 2 shown]
	v_perm_b32 v78, v84, v83, 0x5040100
	v_perm_b32 v85, v87, v86, 0x5040100
	;; [unrolled: 1-line block ×5, first 2 shown]
	s_mul_i32 s9, s35, 5
	s_mov_b32 s4, exec_lo
	ds_store_b128 v74, v[78:81]
	ds_store_b128 v74, v[82:85] offset:1024
	v_cmpx_gt_u32_e32 5, v0
	s_cbranch_execz .LBB1122_14
; %bb.13:
	s_mul_i32 s5, s9, s34
	s_load_b128 s[16:19], s[0:1], 0x58
	v_add3_u32 v68, s5, s33, v68
	s_delay_alu instid0(VALU_DEP_1) | instskip(NEXT) | instid1(VALU_DEP_1)
	v_mad_u64_u32 v[78:79], null, v68, s36, s[14:15]
	v_ashrrev_i32_e32 v79, 31, v78
	s_delay_alu instid0(VALU_DEP_1) | instskip(SKIP_1) | instid1(VALU_DEP_1)
	v_lshlrev_b64 v[78:79], 2, v[78:79]
	s_waitcnt lgkmcnt(0)
	v_add_co_u32 v80, vcc_lo, s18, v78
	s_delay_alu instid0(VALU_DEP_2)
	v_add_co_ci_u32_e32 v81, vcc_lo, s19, v79, vcc_lo
	v_add_co_u32 v78, vcc_lo, s16, v78
	v_add_co_ci_u32_e32 v79, vcc_lo, s17, v79, vcc_lo
	global_store_b32 v[80:81], v76, off
	global_store_b32 v[78:79], v77, off
.LBB1122_14:
	s_or_b32 exec_lo, exec_lo, s4
	s_waitcnt lgkmcnt(0)
	s_waitcnt_vscnt null, 0x0
	s_barrier
	buffer_gl0_inv
	ds_load_b128 v[84:87], v73
	ds_load_b128 v[88:91], v73 offset:16
	ds_load_b128 v[96:99], v73 offset:2064
	;; [unrolled: 1-line block ×5, first 2 shown]
	v_cmp_eq_u32_e32 vcc_lo, 1, v70
	v_mov_b32_e32 v76, 0
	ds_load_b128 v[112:115], v73 offset:6160
	ds_load_b128 v[108:111], v73 offset:6144
	;; [unrolled: 1-line block ×4, first 2 shown]
	v_cmp_eq_u32_e64 s5, 1, v69
	v_cmp_eq_u32_e64 s4, 1, v72
	;; [unrolled: 1-line block ×3, first 2 shown]
	v_mov_b32_e32 v77, v76
	v_mov_b32_e32 v78, v76
	;; [unrolled: 1-line block ×7, first 2 shown]
	v_cmp_eq_u32_e64 s7, 3, v72
	v_cmp_eq_u32_e64 s8, 7, v72
	s_waitcnt lgkmcnt(8)
	s_delay_alu instid0(VALU_DEP_3)
	v_wmma_f32_16x16x16_f16 v[76:83], v[49:56], v[84:91], v[76:83]
	ds_load_b128 v[53:56], v73 offset:10256
	ds_load_b128 v[49:52], v73 offset:10240
	s_waitcnt lgkmcnt(8)
	v_wmma_f32_16x16x16_f16 v[76:83], v[41:48], v[92:99], v[76:83]
	ds_load_b128 v[45:48], v73 offset:12304
	ds_load_b128 v[41:44], v73 offset:12288
	s_waitcnt lgkmcnt(8)
	;; [unrolled: 4-line block ×3, first 2 shown]
	s_barrier
	buffer_gl0_inv
	v_wmma_f32_16x16x16_f16 v[76:83], v[1:8], v[108:115], v[76:83]
	s_delay_alu instid0(VALU_DEP_1) | instskip(NEXT) | instid1(VALU_DEP_1)
	v_wmma_f32_16x16x16_f16 v[76:83], v[9:16], v[116:123], v[76:83]
	v_wmma_f32_16x16x16_f16 v[76:83], v[17:24], v[49:56], v[76:83]
	s_delay_alu instid0(VALU_DEP_1) | instskip(NEXT) | instid1(VALU_DEP_1)
	v_wmma_f32_16x16x16_f16 v[76:83], v[25:32], v[41:48], v[76:83]
	v_wmma_f32_16x16x16_f16 v[76:83], v[57:64], v[33:40], v[76:83]
	s_delay_alu instid0(VALU_DEP_1) | instskip(NEXT) | instid1(VALU_DEP_2)
	v_cvt_f16_f32_e32 v1, v76
	v_cvt_f16_f32_e32 v2, v77
	s_delay_alu instid0(VALU_DEP_3) | instskip(NEXT) | instid1(VALU_DEP_4)
	v_cvt_f16_f32_e32 v3, v78
	v_cvt_f16_f32_e32 v4, v79
	v_cvt_f16_f32_e32 v5, v80
	v_cvt_f16_f32_e32 v6, v81
	v_cvt_f16_f32_e32 v7, v82
	v_cvt_f16_f32_e32 v8, v83
	v_pack_b32_f16 v1, v1, v2
	v_pack_b32_f16 v2, v3, v4
	;; [unrolled: 1-line block ×3, first 2 shown]
	s_delay_alu instid0(VALU_DEP_4)
	v_pack_b32_f16 v4, v7, v8
	ds_store_b128 v74, v[1:4]
	s_waitcnt lgkmcnt(0)
	s_barrier
	buffer_gl0_inv
	ds_load_b128 v[1:4], v75
	ds_load_b128 v[5:8], v75 offset:16
	s_waitcnt lgkmcnt(1)
	v_lshrrev_b32_e32 v9, 16, v1
	s_waitcnt lgkmcnt(0)
	v_lshrrev_b32_e32 v13, 16, v5
	v_lshrrev_b32_e32 v10, 16, v2
	;; [unrolled: 1-line block ×4, first 2 shown]
	v_cndmask_b32_e32 v17, v1, v9, vcc_lo
	v_cndmask_b32_e32 v18, v5, v13, vcc_lo
	v_cndmask_b32_e64 v21, v1, v9, s5
	v_cmp_eq_u32_e32 vcc_lo, 1, v71
	v_cndmask_b32_e64 v22, v5, v13, s5
	v_cmp_eq_u32_e64 s5, 2, v70
	v_cndmask_b32_e64 v19, v1, v9, s4
	v_cndmask_b32_e64 v20, v5, v13, s4
	v_cndmask_b32_e32 v1, v1, v9, vcc_lo
	v_cmp_eq_u32_e64 s4, 2, v71
	v_cndmask_b32_e32 v5, v5, v13, vcc_lo
	v_cndmask_b32_e64 v9, v17, v2, s5
	v_cmp_eq_u32_e32 vcc_lo, 3, v70
	v_cndmask_b32_e64 v13, v18, v6, s5
	v_cmp_eq_u32_e64 s5, 2, v69
	v_cndmask_b32_e64 v17, v19, v2, s6
	v_cndmask_b32_e64 v18, v20, v6, s6
	v_cmp_eq_u32_e64 s6, 3, v69
	v_cndmask_b32_e64 v1, v1, v2, s4
	v_cndmask_b32_e64 v19, v21, v2, s5
	;; [unrolled: 1-line block ×4, first 2 shown]
	v_cndmask_b32_e32 v5, v9, v10, vcc_lo
	v_cndmask_b32_e32 v6, v13, v14, vcc_lo
	v_cmp_eq_u32_e32 vcc_lo, 3, v71
	v_cndmask_b32_e64 v9, v17, v10, s7
	v_cndmask_b32_e64 v13, v18, v14, s7
	;; [unrolled: 1-line block ×3, first 2 shown]
	v_cmp_eq_u32_e64 s5, 4, v70
	v_cndmask_b32_e32 v1, v1, v10, vcc_lo
	v_cndmask_b32_e32 v2, v2, v14, vcc_lo
	v_cmp_eq_u32_e32 vcc_lo, 4, v72
	v_lshrrev_b32_e32 v15, 16, v7
	v_lshrrev_b32_e32 v16, 16, v8
	v_cndmask_b32_e64 v17, v19, v10, s6
	v_cmp_eq_u32_e64 s4, 4, v71
	v_cndmask_b32_e64 v5, v5, v3, s5
	v_cndmask_b32_e64 v6, v6, v7, s5
	v_cndmask_b32_e32 v9, v9, v3, vcc_lo
	v_cmp_eq_u32_e64 s5, 5, v72
	v_cndmask_b32_e32 v10, v13, v7, vcc_lo
	v_cmp_eq_u32_e32 vcc_lo, 4, v69
	v_cmp_eq_u32_e64 s6, 5, v70
	v_cndmask_b32_e64 v2, v2, v7, s4
	v_cndmask_b32_e64 v9, v9, v11, s5
	;; [unrolled: 1-line block ×3, first 2 shown]
	v_cndmask_b32_e32 v13, v17, v3, vcc_lo
	v_cmp_eq_u32_e64 s5, 5, v69
	v_cndmask_b32_e32 v14, v18, v7, vcc_lo
	v_cndmask_b32_e64 v1, v1, v3, s4
	v_cmp_eq_u32_e32 vcc_lo, 5, v71
	v_lshrrev_b32_e32 v12, 16, v4
	v_cndmask_b32_e64 v13, v13, v11, s5
	v_cndmask_b32_e64 v3, v14, v15, s5
	v_cmp_eq_u32_e64 s5, 6, v71
	v_cndmask_b32_e32 v1, v1, v11, vcc_lo
	v_cndmask_b32_e64 v5, v5, v11, s6
	v_cmp_eq_u32_e64 s7, 6, v70
	v_cndmask_b32_e64 v6, v6, v15, s6
	v_cmp_eq_u32_e64 s6, 6, v72
	v_cmp_eq_u32_e64 s4, 6, v69
	v_cndmask_b32_e64 v1, v1, v4, s5
	v_cndmask_b32_e32 v2, v2, v15, vcc_lo
	v_cmp_eq_u32_e32 vcc_lo, 7, v71
	v_cndmask_b32_e64 v5, v5, v4, s7
	v_cndmask_b32_e64 v9, v9, v4, s6
	;; [unrolled: 1-line block ×3, first 2 shown]
	v_cmp_eq_u32_e64 s7, 7, v70
	v_cndmask_b32_e32 v1, v1, v12, vcc_lo
	v_cndmask_b32_e64 v7, v13, v4, s4
	v_cndmask_b32_e64 v3, v3, v8, s4
	;; [unrolled: 1-line block ×3, first 2 shown]
	v_cmp_eq_u32_e64 s4, 7, v69
	v_cndmask_b32_e64 v4, v10, v8, s6
	v_cndmask_b32_e64 v5, v5, v12, s7
	;; [unrolled: 1-line block ×3, first 2 shown]
	v_cndmask_b32_e32 v2, v2, v16, vcc_lo
	v_cndmask_b32_e64 v7, v7, v12, s4
	v_cndmask_b32_e64 v3, v3, v16, s4
	;; [unrolled: 1-line block ×4, first 2 shown]
	v_cmp_gt_u32_e32 vcc_lo, 32, v0
	v_perm_b32 v4, v2, v1, 0x5040100
	v_perm_b32 v3, v3, v7, 0x5040100
	;; [unrolled: 1-line block ×4, first 2 shown]
	s_and_b32 s2, vcc_lo, s2
	ds_store_b128 v74, v[1:4]
	s_waitcnt lgkmcnt(0)
	s_barrier
	buffer_gl0_inv
	s_and_saveexec_b32 s4, s2
	s_cbranch_execz .LBB1122_2
; %bb.15:
	s_load_b64 s[4:5], s[0:1], 0x68
	v_lshlrev_b32_e32 v0, 10, v0
	v_add_nc_u32_e32 v2, s33, v66
	v_lshlrev_b32_e32 v3, 4, v67
	s_lshl_b32 s0, s36, 6
	s_delay_alu instid0(SALU_CYCLE_1) | instskip(NEXT) | instid1(VALU_DEP_2)
	s_mul_i32 s1, s0, s34
	v_mul_lo_u32 v1, v2, s0
	s_delay_alu instid0(VALU_DEP_2) | instskip(SKIP_2) | instid1(SALU_CYCLE_1)
	v_and_or_b32 v0, 0x3800, v0, v3
	v_add_nc_u32_e32 v2, 2, v2
	s_mul_i32 s6, s1, s9
	s_ashr_i32 s7, s6, 31
	s_delay_alu instid0(VALU_DEP_2)
	v_lshl_or_b32 v7, v66, 6, v0
	s_lshl_b64 s[6:7], s[6:7], 1
	v_mul_lo_u32 v11, v2, s0
	v_ashrrev_i32_e32 v2, 31, v1
	ds_load_b128 v[3:6], v7
	ds_load_b128 v[7:10], v7 offset:128
	s_waitcnt lgkmcnt(0)
	s_add_u32 s1, s4, s6
	s_addc_u32 s2, s5, s7
	s_lshl_b32 s4, s14, 6
	v_ashrrev_i32_e32 v12, 31, v11
	s_ashr_i32 s5, s4, 31
	v_lshlrev_b64 v[13:14], 1, v[1:2]
	s_lshl_b64 s[4:5], s[4:5], 1
	s_delay_alu instid0(SALU_CYCLE_1) | instskip(SKIP_2) | instid1(VALU_DEP_1)
	s_add_u32 s1, s1, s4
	s_addc_u32 s2, s2, s5
	v_add_co_u32 v1, s1, s1, v65
	v_add_co_ci_u32_e64 v2, null, s2, 0, s1
	v_lshlrev_b64 v[11:12], 1, v[11:12]
	s_delay_alu instid0(VALU_DEP_3) | instskip(NEXT) | instid1(VALU_DEP_3)
	v_add_co_u32 v13, vcc_lo, v1, v13
	v_add_co_ci_u32_e32 v14, vcc_lo, v2, v14, vcc_lo
	s_delay_alu instid0(VALU_DEP_3) | instskip(NEXT) | instid1(VALU_DEP_4)
	v_add_co_u32 v11, vcc_lo, v1, v11
	v_add_co_ci_u32_e32 v12, vcc_lo, v2, v12, vcc_lo
	s_clause 0x1
	global_store_b128 v[13:14], v[3:6], off
	global_store_b128 v[11:12], v[7:10], off
	s_and_b32 exec_lo, exec_lo, s3
	s_cbranch_execz .LBB1122_2
; %bb.16:
	ds_load_b128 v[3:6], v0 offset:256
	s_add_i32 s1, s33, 4
	s_delay_alu instid0(SALU_CYCLE_1) | instskip(NEXT) | instid1(SALU_CYCLE_1)
	s_mul_i32 s0, s1, s0
	s_ashr_i32 s1, s0, 31
	s_delay_alu instid0(SALU_CYCLE_1) | instskip(NEXT) | instid1(SALU_CYCLE_1)
	s_lshl_b64 s[0:1], s[0:1], 1
	v_add_co_u32 v0, vcc_lo, v1, s0
	v_add_co_ci_u32_e32 v1, vcc_lo, s1, v2, vcc_lo
	s_waitcnt lgkmcnt(0)
	global_store_b128 v[0:1], v[3:6], off
	s_nop 0
	s_sendmsg sendmsg(MSG_DEALLOC_VGPRS)
	s_endpgm
	.section	.rodata,"a",@progbits
	.p2align	6, 0x0
	.amdhsa_kernel _Z39paged_attention_ll4mi_QKV_mfma16_kernelIDF16_hLN4vllm18Fp8KVCacheDataTypeE1EDF16_Li16ELi64ELi256ELb1ELi5EL8MFMAType0EEvPKT_PKT0_S8_ifPKiSA_SA_iPKfiiiPfSD_PS3_PT2_iSC_SC_
		.amdhsa_group_segment_fixed_size 17472
		.amdhsa_private_segment_fixed_size 0
		.amdhsa_kernarg_size 400
		.amdhsa_user_sgpr_count 13
		.amdhsa_user_sgpr_dispatch_ptr 0
		.amdhsa_user_sgpr_queue_ptr 0
		.amdhsa_user_sgpr_kernarg_segment_ptr 1
		.amdhsa_user_sgpr_dispatch_id 0
		.amdhsa_user_sgpr_private_segment_size 0
		.amdhsa_wavefront_size32 1
		.amdhsa_uses_dynamic_stack 0
		.amdhsa_enable_private_segment 0
		.amdhsa_system_sgpr_workgroup_id_x 1
		.amdhsa_system_sgpr_workgroup_id_y 1
		.amdhsa_system_sgpr_workgroup_id_z 1
		.amdhsa_system_sgpr_workgroup_info 0
		.amdhsa_system_vgpr_workitem_id 0
		.amdhsa_next_free_vgpr 146
		.amdhsa_next_free_sgpr 37
		.amdhsa_reserve_vcc 1
		.amdhsa_float_round_mode_32 0
		.amdhsa_float_round_mode_16_64 0
		.amdhsa_float_denorm_mode_32 3
		.amdhsa_float_denorm_mode_16_64 3
		.amdhsa_dx10_clamp 1
		.amdhsa_ieee_mode 1
		.amdhsa_fp16_overflow 0
		.amdhsa_workgroup_processor_mode 1
		.amdhsa_memory_ordered 1
		.amdhsa_forward_progress 0
		.amdhsa_shared_vgpr_count 0
		.amdhsa_exception_fp_ieee_invalid_op 0
		.amdhsa_exception_fp_denorm_src 0
		.amdhsa_exception_fp_ieee_div_zero 0
		.amdhsa_exception_fp_ieee_overflow 0
		.amdhsa_exception_fp_ieee_underflow 0
		.amdhsa_exception_fp_ieee_inexact 0
		.amdhsa_exception_int_div_zero 0
	.end_amdhsa_kernel
	.section	.text._Z39paged_attention_ll4mi_QKV_mfma16_kernelIDF16_hLN4vllm18Fp8KVCacheDataTypeE1EDF16_Li16ELi64ELi256ELb1ELi5EL8MFMAType0EEvPKT_PKT0_S8_ifPKiSA_SA_iPKfiiiPfSD_PS3_PT2_iSC_SC_,"axG",@progbits,_Z39paged_attention_ll4mi_QKV_mfma16_kernelIDF16_hLN4vllm18Fp8KVCacheDataTypeE1EDF16_Li16ELi64ELi256ELb1ELi5EL8MFMAType0EEvPKT_PKT0_S8_ifPKiSA_SA_iPKfiiiPfSD_PS3_PT2_iSC_SC_,comdat
.Lfunc_end1122:
	.size	_Z39paged_attention_ll4mi_QKV_mfma16_kernelIDF16_hLN4vllm18Fp8KVCacheDataTypeE1EDF16_Li16ELi64ELi256ELb1ELi5EL8MFMAType0EEvPKT_PKT0_S8_ifPKiSA_SA_iPKfiiiPfSD_PS3_PT2_iSC_SC_, .Lfunc_end1122-_Z39paged_attention_ll4mi_QKV_mfma16_kernelIDF16_hLN4vllm18Fp8KVCacheDataTypeE1EDF16_Li16ELi64ELi256ELb1ELi5EL8MFMAType0EEvPKT_PKT0_S8_ifPKiSA_SA_iPKfiiiPfSD_PS3_PT2_iSC_SC_
                                        ; -- End function
	.section	.AMDGPU.csdata,"",@progbits
; Kernel info:
; codeLenInByte = 6484
; NumSgprs: 39
; NumVgprs: 146
; ScratchSize: 0
; MemoryBound: 0
; FloatMode: 240
; IeeeMode: 1
; LDSByteSize: 17472 bytes/workgroup (compile time only)
; SGPRBlocks: 4
; VGPRBlocks: 18
; NumSGPRsForWavesPerEU: 39
; NumVGPRsForWavesPerEU: 146
; Occupancy: 9
; WaveLimiterHint : 1
; COMPUTE_PGM_RSRC2:SCRATCH_EN: 0
; COMPUTE_PGM_RSRC2:USER_SGPR: 13
; COMPUTE_PGM_RSRC2:TRAP_HANDLER: 0
; COMPUTE_PGM_RSRC2:TGID_X_EN: 1
; COMPUTE_PGM_RSRC2:TGID_Y_EN: 1
; COMPUTE_PGM_RSRC2:TGID_Z_EN: 1
; COMPUTE_PGM_RSRC2:TIDIG_COMP_CNT: 0
	.section	.text._Z39paged_attention_ll4mi_QKV_mfma16_kernelIDF16_hLN4vllm18Fp8KVCacheDataTypeE1EDF16_Li16ELi64ELi256ELb1ELi6EL8MFMAType0EEvPKT_PKT0_S8_ifPKiSA_SA_iPKfiiiPfSD_PS3_PT2_iSC_SC_,"axG",@progbits,_Z39paged_attention_ll4mi_QKV_mfma16_kernelIDF16_hLN4vllm18Fp8KVCacheDataTypeE1EDF16_Li16ELi64ELi256ELb1ELi6EL8MFMAType0EEvPKT_PKT0_S8_ifPKiSA_SA_iPKfiiiPfSD_PS3_PT2_iSC_SC_,comdat
	.protected	_Z39paged_attention_ll4mi_QKV_mfma16_kernelIDF16_hLN4vllm18Fp8KVCacheDataTypeE1EDF16_Li16ELi64ELi256ELb1ELi6EL8MFMAType0EEvPKT_PKT0_S8_ifPKiSA_SA_iPKfiiiPfSD_PS3_PT2_iSC_SC_ ; -- Begin function _Z39paged_attention_ll4mi_QKV_mfma16_kernelIDF16_hLN4vllm18Fp8KVCacheDataTypeE1EDF16_Li16ELi64ELi256ELb1ELi6EL8MFMAType0EEvPKT_PKT0_S8_ifPKiSA_SA_iPKfiiiPfSD_PS3_PT2_iSC_SC_
	.globl	_Z39paged_attention_ll4mi_QKV_mfma16_kernelIDF16_hLN4vllm18Fp8KVCacheDataTypeE1EDF16_Li16ELi64ELi256ELb1ELi6EL8MFMAType0EEvPKT_PKT0_S8_ifPKiSA_SA_iPKfiiiPfSD_PS3_PT2_iSC_SC_
	.p2align	8
	.type	_Z39paged_attention_ll4mi_QKV_mfma16_kernelIDF16_hLN4vllm18Fp8KVCacheDataTypeE1EDF16_Li16ELi64ELi256ELb1ELi6EL8MFMAType0EEvPKT_PKT0_S8_ifPKiSA_SA_iPKfiiiPfSD_PS3_PT2_iSC_SC_,@function
_Z39paged_attention_ll4mi_QKV_mfma16_kernelIDF16_hLN4vllm18Fp8KVCacheDataTypeE1EDF16_Li16ELi64ELi256ELb1ELi6EL8MFMAType0EEvPKT_PKT0_S8_ifPKiSA_SA_iPKfiiiPfSD_PS3_PT2_iSC_SC_: ; @_Z39paged_attention_ll4mi_QKV_mfma16_kernelIDF16_hLN4vllm18Fp8KVCacheDataTypeE1EDF16_Li16ELi64ELi256ELb1ELi6EL8MFMAType0EEvPKT_PKT0_S8_ifPKiSA_SA_iPKfiiiPfSD_PS3_PT2_iSC_SC_
; %bb.0:
	s_load_b64 s[2:3], s[0:1], 0x30
	s_mov_b32 s34, s13
	s_waitcnt lgkmcnt(0)
	s_cmp_lg_u64 s[2:3], 0
	s_cselect_b32 s6, -1, 0
	s_ashr_i32 s35, s13, 31
	s_cmp_eq_u64 s[2:3], 0
	s_cbranch_scc1 .LBB1123_3
; %bb.1:
	s_lshl_b64 s[4:5], s[34:35], 2
	s_delay_alu instid0(SALU_CYCLE_1) | instskip(SKIP_4) | instid1(SALU_CYCLE_1)
	s_add_u32 s4, s2, s4
	s_addc_u32 s5, s3, s5
	s_load_b64 s[4:5], s[4:5], 0x0
	s_waitcnt lgkmcnt(0)
	s_sub_i32 s4, s5, s4
	s_cmp_eq_u32 s4, 1
	s_cselect_b32 s4, -1, 0
	s_delay_alu instid0(SALU_CYCLE_1)
	s_and_not1_b32 vcc_lo, exec_lo, s4
	s_cbranch_vccz .LBB1123_4
.LBB1123_2:
	s_endpgm
.LBB1123_3:
.LBB1123_4:
	s_load_b64 s[8:9], s[0:1], 0x28
	s_lshl_b64 s[4:5], s[34:35], 2
	s_waitcnt lgkmcnt(0)
	s_add_u32 s8, s8, s4
	s_addc_u32 s9, s9, s5
	s_lshl_b32 s16, s14, 8
	s_load_b32 s18, s[8:9], 0x0
	s_waitcnt lgkmcnt(0)
	s_cmp_ge_i32 s16, s18
	s_cbranch_scc1 .LBB1123_2
; %bb.5:
	s_clause 0x1
	s_load_b128 s[8:11], s[0:1], 0x8
	s_load_b64 s[12:13], s[0:1], 0x20
	s_and_not1_b32 vcc_lo, exec_lo, s6
	s_cbranch_vccnz .LBB1123_7
; %bb.6:
	s_add_u32 s2, s2, s4
	s_addc_u32 s3, s3, s5
	s_load_b32 s3, s[2:3], 0x0
	s_branch .LBB1123_8
.LBB1123_7:
	s_mov_b32 s3, s34
.LBB1123_8:
	s_load_b128 s[4:7], s[0:1], 0x48
	v_and_b32_e32 v68, 15, v0
	v_cmp_gt_u32_e32 vcc_lo, 0x60, v0
	v_lshrrev_b32_e32 v69, 5, v0
	v_and_b32_e32 v70, 31, v0
	v_and_b32_e32 v67, 1, v0
	v_lshlrev_b32_e32 v1, 3, v68
	v_cmp_gt_u32_e64 s2, 8, v68
	v_bfe_u32 v66, v0, 4, 1
	s_mul_i32 s31, s15, 6
	s_delay_alu instid0(VALU_DEP_3) | instskip(NEXT) | instid1(VALU_DEP_3)
	v_lshlrev_b32_e32 v65, 1, v1
	s_and_b32 s17, vcc_lo, s2
	s_waitcnt lgkmcnt(0)
	s_and_saveexec_b32 s7, s17
	s_cbranch_execz .LBB1123_10
; %bb.9:
	s_load_b64 s[20:21], s[0:1], 0x0
	v_lshl_or_b32 v5, v69, 1, v66
	s_mul_hi_i32 s23, s3, s4
	s_mul_i32 s22, s3, s4
	v_lshlrev_b32_e32 v6, 10, v68
	s_lshl_b64 s[22:23], s[22:23], 1
	v_add_lshl_u32 v1, v5, s31, 6
	v_lshlrev_b32_e32 v5, 6, v5
	v_lshlrev_b32_e32 v7, 10, v67
	v_and_b32_e32 v6, 0x3800, v6
	s_delay_alu instid0(VALU_DEP_4) | instskip(NEXT) | instid1(VALU_DEP_2)
	v_ashrrev_i32_e32 v2, 31, v1
	v_or3_b32 v5, v6, v7, v5
	s_delay_alu instid0(VALU_DEP_2) | instskip(SKIP_3) | instid1(VALU_DEP_1)
	v_lshlrev_b64 v[1:2], 1, v[1:2]
	s_waitcnt lgkmcnt(0)
	s_add_u32 s3, s20, s22
	s_addc_u32 s4, s21, s23
	v_add_co_u32 v1, vcc_lo, s3, v1
	s_delay_alu instid0(VALU_DEP_2) | instskip(NEXT) | instid1(VALU_DEP_2)
	v_add_co_ci_u32_e32 v2, vcc_lo, s4, v2, vcc_lo
	v_add_co_u32 v1, vcc_lo, v1, v65
	s_delay_alu instid0(VALU_DEP_2)
	v_add_co_ci_u32_e32 v2, vcc_lo, 0, v2, vcc_lo
	global_load_b128 v[1:4], v[1:2], off
	s_waitcnt vmcnt(0)
	ds_store_b128 v5, v[1:4]
.LBB1123_10:
	s_or_b32 exec_lo, exec_lo, s7
	v_and_b32_e32 v1, 0xef, v0
	s_add_i32 s3, s18, 15
	s_clause 0x1
	s_load_b32 s4, s[0:1], 0x38
	s_load_b32 s33, s[0:1], 0x98
	s_ashr_i32 s7, s3, 31
	v_add_nc_u32_e32 v1, s16, v1
	s_lshr_b32 s7, s7, 28
	s_load_b32 s19, s[0:1], 0x1c
	s_add_i32 s3, s3, s7
	s_waitcnt lgkmcnt(0)
	v_ashrrev_i32_e32 v2, 31, v1
	v_or_b32_e32 v3, 16, v1
	s_ashr_i32 s3, s3, 4
	v_cmp_gt_i32_e32 vcc_lo, s18, v1
	s_add_i32 s3, s3, -1
	v_lshrrev_b32_e32 v2, 28, v2
	s_barrier
	buffer_gl0_inv
	s_mul_i32 s15, s15, s6
	v_mul_lo_u16 v103, v68, 43
	v_add_nc_u32_e32 v4, v1, v2
	v_mbcnt_lo_u32_b32 v127, -1, 0
	s_mul_i32 s20, s34, s4
	s_delay_alu instid0(SALU_CYCLE_1) | instskip(NEXT) | instid1(VALU_DEP_2)
	s_ashr_i32 s21, s20, 31
	v_ashrrev_i32_e32 v4, 4, v4
	v_add_nc_u32_e32 v2, v3, v2
	s_lshl_b64 s[20:21], s[20:21], 2
	v_lshrrev_b16 v103, 8, v103
	s_add_u32 s17, s12, s20
	v_cndmask_b32_e32 v1, s3, v4, vcc_lo
	v_ashrrev_i32_e32 v2, 4, v2
	v_cmp_gt_i32_e32 vcc_lo, s18, v3
	s_addc_u32 s13, s13, s21
	s_ashr_i32 s20, s15, 31
	s_add_u32 s4, s8, s15
	s_addc_u32 s12, s9, s20
	v_cndmask_b32_e32 v3, s3, v2, vcc_lo
	v_ashrrev_i32_e32 v2, 31, v1
	s_lshl_b32 s6, s14, 4
	v_mul_lo_u16 v103, v103, 6
	s_ashr_i32 s7, s6, 31
	v_ashrrev_i32_e32 v4, 31, v3
	v_lshlrev_b64 v[1:2], 2, v[1:2]
	s_lshl_b64 s[6:7], s[6:7], 2
	v_sub_nc_u16 v103, v68, v103
	s_add_u32 s6, s17, s6
	v_lshlrev_b64 v[3:4], 2, v[3:4]
	s_addc_u32 s7, s13, s7
	v_add_co_u32 v1, vcc_lo, s17, v1
	v_add_co_ci_u32_e32 v2, vcc_lo, s13, v2, vcc_lo
	s_delay_alu instid0(VALU_DEP_3) | instskip(NEXT) | instid1(VALU_DEP_4)
	v_add_co_u32 v3, vcc_lo, s17, v3
	v_add_co_ci_u32_e32 v4, vcc_lo, s13, v4, vcc_lo
	s_clause 0x1
	global_load_b32 v5, v[1:2], off
	global_load_b32 v7, v[3:4], off
	s_or_b32 s8, s16, 32
	v_lshlrev_b32_e32 v1, 4, v0
	s_ashr_i32 s9, s8, 4
	s_cmp_lt_i32 s8, s18
	v_xor_b32_e32 v128, 16, v127
	s_cselect_b32 s8, s9, s3
	v_and_b32_e32 v1, 0xf0, v1
	s_ashr_i32 s9, s8, 31
	s_delay_alu instid0(SALU_CYCLE_1)
	s_lshl_b64 s[8:9], s[8:9], 2
	v_cmp_gt_i32_e32 vcc_lo, 32, v128
	s_add_u32 s8, s17, s8
	s_addc_u32 s9, s13, s9
	s_or_b32 s21, s16, 64
	v_add_co_u32 v1, s4, s4, v1
	s_ashr_i32 s22, s21, 4
	s_cmp_lt_i32 s21, s18
	v_add_co_ci_u32_e64 v2, null, s12, 0, s4
	s_cselect_b32 s22, s22, s3
	v_dual_cndmask_b32 v136, v127, v128 :: v_dual_and_b32 v103, 0xff, v103
	s_ashr_i32 s23, s22, 31
	s_delay_alu instid0(SALU_CYCLE_1) | instskip(NEXT) | instid1(VALU_DEP_1)
	s_lshl_b64 s[22:23], s[22:23], 2
	v_lshlrev_b32_e32 v115, 6, v103
	s_add_u32 s22, s17, s22
	s_addc_u32 s23, s13, s23
	s_or_b32 s21, s16, 0x60
	s_delay_alu instid0(SALU_CYCLE_1) | instskip(SKIP_2) | instid1(SALU_CYCLE_1)
	s_ashr_i32 s24, s21, 4
	s_cmp_lt_i32 s21, s18
	s_cselect_b32 s24, s24, s3
	s_ashr_i32 s25, s24, 31
	s_delay_alu instid0(SALU_CYCLE_1) | instskip(NEXT) | instid1(SALU_CYCLE_1)
	s_lshl_b64 s[24:25], s[24:25], 2
	s_add_u32 s24, s17, s24
	s_addc_u32 s25, s13, s25
	s_or_b32 s21, s16, 0x80
	s_delay_alu instid0(SALU_CYCLE_1) | instskip(SKIP_2) | instid1(SALU_CYCLE_1)
	s_ashr_i32 s26, s21, 4
	s_cmp_lt_i32 s21, s18
	s_cselect_b32 s26, s26, s3
	s_ashr_i32 s27, s26, 31
	s_delay_alu instid0(SALU_CYCLE_1) | instskip(NEXT) | instid1(SALU_CYCLE_1)
	s_lshl_b64 s[26:27], s[26:27], 2
	s_add_u32 s26, s17, s26
	s_addc_u32 s27, s13, s27
	s_or_b32 s21, s16, 0xa0
	s_delay_alu instid0(SALU_CYCLE_1) | instskip(SKIP_2) | instid1(SALU_CYCLE_1)
	s_ashr_i32 s28, s21, 4
	s_cmp_lt_i32 s21, s18
	s_cselect_b32 s28, s28, s3
	s_ashr_i32 s29, s28, 31
	s_delay_alu instid0(SALU_CYCLE_1) | instskip(NEXT) | instid1(SALU_CYCLE_1)
	s_lshl_b64 s[28:29], s[28:29], 2
	s_add_u32 s28, s17, s28
	s_addc_u32 s29, s13, s29
	s_clause 0x5
	s_load_b32 s12, s[6:7], 0x0
	s_load_b32 s4, s[8:9], 0x0
	;; [unrolled: 1-line block ×6, first 2 shown]
	s_or_b32 s21, s16, 0xc0
	s_delay_alu instid0(SALU_CYCLE_1) | instskip(SKIP_2) | instid1(SALU_CYCLE_1)
	s_ashr_i32 s22, s21, 4
	s_cmp_lt_i32 s21, s18
	s_cselect_b32 s22, s22, s3
	s_ashr_i32 s23, s22, 31
	s_delay_alu instid0(SALU_CYCLE_1) | instskip(NEXT) | instid1(SALU_CYCLE_1)
	s_lshl_b64 s[22:23], s[22:23], 2
	s_add_u32 s22, s17, s22
	s_addc_u32 s23, s13, s23
	s_or_b32 s21, s16, 0xe0
	s_delay_alu instid0(SALU_CYCLE_1) | instskip(SKIP_2) | instid1(SALU_CYCLE_1)
	s_ashr_i32 s24, s21, 4
	s_cmp_lt_i32 s21, s18
	s_cselect_b32 s24, s24, s3
	s_ashr_i32 s25, s24, 31
	s_delay_alu instid0(SALU_CYCLE_1)
	s_lshl_b64 s[24:25], s[24:25], 2
	s_waitcnt vmcnt(1)
	v_mad_i64_i32 v[3:4], null, v5, s5, v[1:2]
	s_waitcnt vmcnt(0)
	v_mad_i64_i32 v[5:6], null, v7, s5, v[1:2]
	v_lshlrev_b32_e32 v1, 4, v68
	s_clause 0x7
	global_load_b128 v[71:74], v[3:4], off
	global_load_b128 v[75:78], v[3:4], off offset:256
	global_load_b128 v[79:82], v[5:6], off
	global_load_b128 v[83:86], v[5:6], off offset:256
	global_load_b128 v[87:90], v[3:4], off offset:512
	global_load_b128 v[91:94], v[3:4], off offset:768
	global_load_b128 v[95:98], v[5:6], off offset:512
	global_load_b128 v[99:102], v[5:6], off offset:768
	v_lshl_or_b32 v1, v69, 8, v1
	s_load_b32 s3, s[22:23], 0x0
	s_add_u32 s22, s17, s24
	s_addc_u32 s23, s13, s25
	s_add_u32 s10, s10, s15
	s_addc_u32 s11, s11, s20
	v_add_co_u32 v1, s10, s10, v1
	s_delay_alu instid0(VALU_DEP_1) | instskip(SKIP_2) | instid1(VALU_DEP_1)
	v_add_co_ci_u32_e64 v2, null, s11, 0, s10
	s_load_b32 s10, s[22:23], 0x0
	s_waitcnt lgkmcnt(0)
	v_mad_i64_i32 v[3:4], null, s12, s5, v[1:2]
	v_mad_i64_i32 v[9:10], null, s7, s5, v[1:2]
	;; [unrolled: 1-line block ×7, first 2 shown]
	s_clause 0x5
	global_load_b128 v[49:52], v[3:4], off
	global_load_b128 v[53:56], v[3:4], off offset:16
	global_load_b128 v[41:44], v[5:6], off
	global_load_b128 v[45:48], v[5:6], off offset:16
	;; [unrolled: 2-line block ×3, first 2 shown]
	s_mov_b32 s4, 0
	v_mad_i64_i32 v[61:62], null, s10, s5, v[1:2]
	s_clause 0x9
	global_load_b128 v[1:4], v[9:10], off
	global_load_b128 v[5:8], v[9:10], off offset:16
	global_load_b128 v[9:12], v[13:14], off
	global_load_b128 v[13:16], v[13:14], off offset:16
	;; [unrolled: 2-line block ×5, first 2 shown]
	s_mov_b32 s5, s4
	s_mov_b32 s6, s4
	;; [unrolled: 1-line block ×7, first 2 shown]
	v_and_b32_e32 v104, 0xe0, v0
	v_dual_mov_b32 v126, s11 :: v_dual_mov_b32 v123, s8
	v_dual_mov_b32 v125, s10 :: v_dual_mov_b32 v124, s9
	s_delay_alu instid0(VALU_DEP_3)
	v_add_nc_u32_e32 v111, s16, v104
	ds_load_b128 v[103:106], v115
	ds_load_b128 v[107:110], v115 offset:1024
	v_dual_mov_b32 v122, s7 :: v_dual_mov_b32 v121, s6
	v_mov_b32_e32 v120, s5
	v_or_b32_e32 v135, v111, v66
	ds_load_b128 v[111:114], v115 offset:2048
	ds_load_b128 v[115:118], v115 offset:3072
	v_mov_b32_e32 v119, s4
	s_waitcnt vmcnt(0) lgkmcnt(0)
	s_barrier
	v_or_b32_e32 v137, 2, v135
	v_or_b32_e32 v138, 4, v135
	;; [unrolled: 1-line block ×3, first 2 shown]
	v_cmp_gt_i32_e32 vcc_lo, s18, v135
	v_or_b32_e32 v140, 8, v135
	v_cmp_gt_i32_e64 s3, s18, v137
	v_or_b32_e32 v141, 10, v135
	v_cmp_gt_i32_e64 s4, s18, v138
	v_cmp_gt_i32_e64 s5, s18, v139
	v_or_b32_e32 v142, 12, v135
	v_or_b32_e32 v143, 14, v135
	v_cmp_gt_i32_e64 s6, s18, v140
	v_cmp_gt_i32_e64 s7, s18, v141
	v_or_b32_e32 v144, 16, v135
	v_or_b32_e32 v145, 18, v135
	v_cmp_gt_i32_e64 s8, s18, v142
	v_cmp_gt_i32_e64 s9, s18, v143
	buffer_gl0_inv
	v_cmp_gt_i32_e64 s10, s18, v144
	v_cmp_gt_i32_e64 s11, s18, v145
	v_wmma_f32_16x16x16_f16 v[127:134], v[71:78], v[103:110], v[119:126]
	v_wmma_f32_16x16x16_f16 v[119:126], v[79:86], v[103:110], v[119:126]
	v_or_b32_e32 v71, 20, v135
	v_or_b32_e32 v72, 22, v135
	s_delay_alu instid0(VALU_DEP_4)
	v_wmma_f32_16x16x16_f16 v[127:134], v[87:94], v[111:118], v[127:134]
	v_or_b32_e32 v73, 24, v135
	v_wmma_f32_16x16x16_f16 v[119:126], v[95:102], v[111:118], v[119:126]
	v_or_b32_e32 v74, 26, v135
	v_cmp_gt_i32_e64 s12, s18, v71
	v_dual_mul_f32 v83, s19, v128 :: v_dual_mul_f32 v84, s19, v127
	s_delay_alu instid0(VALU_DEP_4) | instskip(SKIP_1) | instid1(VALU_DEP_3)
	v_dual_mul_f32 v81, s19, v130 :: v_dual_mul_f32 v92, s19, v119
	v_mul_f32_e32 v82, s19, v129
	v_cndmask_b32_e64 v83, 0xff7fffff, v83, s3
	s_delay_alu instid0(VALU_DEP_4)
	v_cndmask_b32_e32 v84, 0xff7fffff, v84, vcc_lo
	v_dual_mul_f32 v79, s19, v132 :: v_dual_mul_f32 v90, s19, v121
	v_mul_f32_e32 v80, s19, v131
	v_cndmask_b32_e64 v82, 0xff7fffff, v82, s4
	v_cndmask_b32_e64 v81, 0xff7fffff, v81, s5
	v_max3_f32 v83, v84, 0xff7fffff, v83
	v_dual_mul_f32 v77, s19, v134 :: v_dual_mul_f32 v88, s19, v123
	v_mul_f32_e32 v78, s19, v133
	v_cndmask_b32_e64 v80, 0xff7fffff, v80, s6
	v_cndmask_b32_e64 v79, 0xff7fffff, v79, s7
	v_max3_f32 v81, v83, v82, v81
	v_mul_f32_e32 v91, s19, v120
	v_cndmask_b32_e64 v78, 0xff7fffff, v78, s8
	v_cndmask_b32_e64 v77, 0xff7fffff, v77, s9
	v_mul_f32_e32 v89, s19, v122
	v_max3_f32 v79, v81, v80, v79
	v_cndmask_b32_e64 v80, 0xff7fffff, v92, s10
	v_cndmask_b32_e64 v81, 0xff7fffff, v91, s11
	v_cmp_gt_i32_e64 s13, s18, v72
	v_or_b32_e32 v75, 28, v135
	v_max3_f32 v77, v79, v78, v77
	v_or_b32_e32 v76, 30, v135
	v_mul_f32_e32 v87, s19, v124
	v_cndmask_b32_e64 v71, 0xff7fffff, v90, s12
	v_cndmask_b32_e64 v72, 0xff7fffff, v89, s13
	v_max3_f32 v77, v77, v80, v81
	v_cmp_gt_i32_e64 s15, s18, v73
	v_cmp_gt_i32_e64 s16, s18, v74
	v_dual_mul_f32 v85, s19, v126 :: v_dual_mul_f32 v86, s19, v125
	s_delay_alu instid0(VALU_DEP_4) | instskip(NEXT) | instid1(VALU_DEP_4)
	v_max3_f32 v71, v77, v71, v72
	v_cndmask_b32_e64 v73, 0xff7fffff, v88, s15
	s_delay_alu instid0(VALU_DEP_4) | instskip(SKIP_2) | instid1(VALU_DEP_3)
	v_cndmask_b32_e64 v74, 0xff7fffff, v87, s16
	v_cmp_gt_i32_e64 s17, s18, v75
	v_cmp_gt_i32_e64 s18, s18, v76
	v_max3_f32 v71, v71, v73, v74
	s_delay_alu instid0(VALU_DEP_3) | instskip(NEXT) | instid1(VALU_DEP_3)
	v_cndmask_b32_e64 v72, 0xff7fffff, v86, s17
	v_cndmask_b32_e64 v75, 0xff7fffff, v85, s18
	v_lshlrev_b32_e32 v73, 2, v136
	s_delay_alu instid0(VALU_DEP_2) | instskip(SKIP_3) | instid1(VALU_DEP_1)
	v_max3_f32 v71, v71, v72, v75
	ds_bpermute_b32 v72, v73, v71
	s_waitcnt lgkmcnt(0)
	v_max_f32_e32 v72, v72, v72
	v_max_f32_e32 v71, v71, v72
	s_delay_alu instid0(VALU_DEP_1)
	v_fma_f32 v72, s19, v127, -v71
	v_fma_f32 v74, s19, v128, -v71
	;; [unrolled: 1-line block ×5, first 2 shown]
	v_mul_f32_e32 v72, 0x3fb8aa3b, v72
	v_mul_f32_e32 v74, 0x3fb8aa3b, v74
	v_fma_f32 v80, s19, v133, -v71
	s_delay_alu instid0(VALU_DEP_4) | instskip(NEXT) | instid1(VALU_DEP_4)
	v_dual_mul_f32 v76, 0x3fb8aa3b, v76 :: v_dual_mul_f32 v77, 0x3fb8aa3b, v77
	v_exp_f32_e32 v72, v72
	s_delay_alu instid0(VALU_DEP_3) | instskip(NEXT) | instid1(VALU_DEP_2)
	v_exp_f32_e32 v74, v74
	v_mul_f32_e32 v82, 0x3fb8aa3b, v80
	s_delay_alu instid0(VALU_DEP_2) | instskip(SKIP_1) | instid1(VALU_DEP_1)
	v_exp_f32_e32 v76, v76
	v_exp_f32_e32 v77, v77
	;; [unrolled: 1-line block ×3, first 2 shown]
	v_cndmask_b32_e32 v79, 0, v72, vcc_lo
	v_fma_f32 v72, s19, v132, -v71
	v_mul_f32_e32 v75, 0x3fb8aa3b, v75
	v_cndmask_b32_e64 v78, 0, v74, s3
	s_delay_alu instid0(TRANS32_DEP_3)
	v_cndmask_b32_e64 v80, 0, v76, s5
	v_add_f32_e32 v74, 0, v79
	v_mul_f32_e32 v72, 0x3fb8aa3b, v72
	v_exp_f32_e32 v75, v75
	v_cndmask_b32_e64 v83, 0, v77, s6
	v_cndmask_b32_e64 v85, 0, v84, s8
	v_add_f32_e32 v74, v74, v78
	v_exp_f32_e32 v72, v72
	s_mov_b32 s3, exec_lo
	s_waitcnt_depctr 0xfff
	v_cndmask_b32_e64 v81, 0, v75, s4
	v_cndmask_b32_e64 v82, 0, v72, s7
	s_delay_alu instid0(VALU_DEP_2) | instskip(NEXT) | instid1(VALU_DEP_1)
	v_add_f32_e32 v74, v74, v81
	v_add_f32_e32 v74, v74, v80
	s_delay_alu instid0(VALU_DEP_1) | instskip(SKIP_4) | instid1(VALU_DEP_4)
	v_add_f32_e32 v72, v74, v83
	v_fma_f32 v75, s19, v134, -v71
	v_fma_f32 v76, s19, v119, -v71
	;; [unrolled: 1-line block ×4, first 2 shown]
	v_dual_add_f32 v72, v72, v82 :: v_dual_mul_f32 v75, 0x3fb8aa3b, v75
	s_delay_alu instid0(VALU_DEP_3) | instskip(SKIP_1) | instid1(VALU_DEP_3)
	v_dual_mul_f32 v76, 0x3fb8aa3b, v76 :: v_dual_mul_f32 v77, 0x3fb8aa3b, v77
	v_fma_f32 v86, s19, v122, -v71
	v_add_f32_e32 v72, v72, v85
	s_delay_alu instid0(VALU_DEP_4) | instskip(NEXT) | instid1(VALU_DEP_3)
	v_exp_f32_e32 v75, v75
	v_exp_f32_e32 v76, v76
	;; [unrolled: 1-line block ×3, first 2 shown]
	v_mul_f32_e32 v86, 0x3fb8aa3b, v86
	s_delay_alu instid0(VALU_DEP_1) | instskip(SKIP_3) | instid1(TRANS32_DEP_3)
	v_exp_f32_e32 v88, v86
	v_cndmask_b32_e64 v84, 0, v75, s9
	v_fma_f32 v75, s19, v123, -v71
	v_mul_f32_e32 v74, 0x3fb8aa3b, v74
	v_cndmask_b32_e64 v87, 0, v76, s10
	v_fma_f32 v76, s19, v124, -v71
	s_delay_alu instid0(VALU_DEP_4) | instskip(NEXT) | instid1(VALU_DEP_4)
	v_dual_add_f32 v72, v72, v84 :: v_dual_mul_f32 v75, 0x3fb8aa3b, v75
	v_exp_f32_e32 v74, v74
	v_cndmask_b32_e64 v86, 0, v77, s11
	v_fma_f32 v77, s19, v125, -v71
	s_delay_alu instid0(VALU_DEP_3) | instskip(SKIP_3) | instid1(VALU_DEP_3)
	v_add_f32_e32 v72, v72, v87
	v_mul_f32_e32 v76, 0x3fb8aa3b, v76
	v_exp_f32_e32 v75, v75
	v_cndmask_b32_e64 v88, 0, v88, s13
	v_add_f32_e32 v72, v72, v86
	s_delay_alu instid0(VALU_DEP_3) | instskip(NEXT) | instid1(TRANS32_DEP_3)
	v_exp_f32_e32 v76, v76
	v_cndmask_b32_e64 v89, 0, v74, s12
	v_mul_f32_e32 v74, 0x3fb8aa3b, v77
	v_fma_f32 v77, s19, v126, -v71
	s_delay_alu instid0(VALU_DEP_3) | instskip(NEXT) | instid1(VALU_DEP_3)
	v_add_f32_e32 v72, v72, v89
	v_exp_f32_e32 v74, v74
	s_delay_alu instid0(TRANS32_DEP_3) | instskip(NEXT) | instid1(VALU_DEP_3)
	v_cndmask_b32_e64 v91, 0, v75, s15
	v_mul_f32_e32 v75, 0x3fb8aa3b, v77
	s_delay_alu instid0(TRANS32_DEP_2) | instskip(SKIP_1) | instid1(VALU_DEP_3)
	v_cndmask_b32_e64 v90, 0, v76, s16
	v_add_f32_e32 v72, v72, v88
	v_exp_f32_e32 v75, v75
	s_delay_alu instid0(VALU_DEP_1) | instskip(NEXT) | instid1(TRANS32_DEP_2)
	v_add_f32_e32 v72, v72, v91
	v_cndmask_b32_e64 v93, 0, v74, s17
	s_delay_alu instid0(VALU_DEP_2) | instskip(SKIP_3) | instid1(VALU_DEP_1)
	v_add_f32_e32 v72, v72, v90
	s_waitcnt_depctr 0xfff
	v_cndmask_b32_e64 v92, 0, v75, s18
	v_add_f32_e32 v72, v72, v93
	v_add_f32_e32 v72, v72, v92
	ds_bpermute_b32 v73, v73, v72
	v_cmpx_gt_u32_e32 16, v70
	s_cbranch_execz .LBB1123_12
; %bb.11:
	v_mul_u32_u24_e32 v70, 0x44, v69
	s_waitcnt lgkmcnt(0)
	v_add_f32_e32 v72, v72, v73
	s_delay_alu instid0(VALU_DEP_2) | instskip(NEXT) | instid1(VALU_DEP_1)
	v_lshl_add_u32 v70, v68, 2, v70
	v_add_nc_u32_e32 v70, 0x4000, v70
	ds_store_2addr_b32 v70, v71, v72 offset1:136
.LBB1123_12:
	s_or_b32 exec_lo, exec_lo, s3
	v_lshlrev_b32_e32 v70, 2, v68
	s_load_b32 s35, s[0:1], 0x94
	s_waitcnt lgkmcnt(0)
	s_barrier
	buffer_gl0_inv
	v_add_nc_u32_e32 v98, 0x4000, v70
	v_cmp_eq_u32_e32 vcc_lo, 1, v69
	v_cmp_eq_u32_e64 s3, 2, v69
	v_cmp_eq_u32_e64 s4, 3, v69
	;; [unrolled: 1-line block ×3, first 2 shown]
	ds_load_2addr_b32 v[70:71], v98 offset1:17
	ds_load_2addr_b32 v[72:73], v98 offset0:34 offset1:51
	ds_load_2addr_b32 v[74:75], v98 offset0:68 offset1:85
	;; [unrolled: 1-line block ×3, first 2 shown]
	v_cmp_eq_u32_e64 s6, 5, v69
	v_cmp_eq_u32_e64 s7, 7, v69
	s_waitcnt lgkmcnt(3)
	v_max3_f32 v76, v70, 0xff7fffff, v71
	s_waitcnt lgkmcnt(2)
	s_delay_alu instid0(VALU_DEP_1) | instskip(SKIP_1) | instid1(VALU_DEP_1)
	v_max3_f32 v76, v76, v72, v73
	s_waitcnt lgkmcnt(1)
	v_max3_f32 v76, v76, v74, v75
	s_waitcnt lgkmcnt(0)
	s_delay_alu instid0(VALU_DEP_1) | instskip(NEXT) | instid1(VALU_DEP_1)
	v_max3_f32 v76, v76, v94, v95
	v_sub_f32_e32 v77, v71, v76
	ds_load_2addr_b32 v[96:97], v98 offset0:136 offset1:153
	v_sub_f32_e32 v74, v74, v76
	v_sub_f32_e32 v70, v70, v76
	;; [unrolled: 1-line block ×3, first 2 shown]
	v_dual_sub_f32 v72, v72, v76 :: v_dual_mul_f32 v77, 0x3fb8aa3b, v77
	s_delay_alu instid0(VALU_DEP_4) | instskip(NEXT) | instid1(VALU_DEP_4)
	v_mul_f32_e32 v103, 0x3fb8aa3b, v74
	v_mul_f32_e32 v99, 0x3fb8aa3b, v70
	ds_load_2addr_b32 v[70:71], v98 offset0:170 offset1:187
	v_dual_mul_f32 v101, 0x3fb8aa3b, v72 :: v_dual_mul_f32 v94, 0x3fb8aa3b, v94
	v_exp_f32_e32 v102, v77
	v_exp_f32_e32 v99, v99
	s_delay_alu instid0(VALU_DEP_1) | instskip(NEXT) | instid1(VALU_DEP_1)
	v_exp_f32_e32 v101, v101
	v_exp_f32_e32 v94, v94
	s_waitcnt lgkmcnt(1)
	s_delay_alu instid0(TRANS32_DEP_3)
	v_fma_f32 v77, v99, v96, 0
	v_sub_f32_e32 v100, v73, v76
	ds_load_2addr_b32 v[72:73], v98 offset0:204 offset1:221
	v_fmac_f32_e32 v77, v102, v97
	v_exp_f32_e32 v97, v103
	s_waitcnt lgkmcnt(1)
	s_delay_alu instid0(VALU_DEP_1)
	v_dual_fmac_f32 v77, v101, v70 :: v_dual_sub_f32 v96, v75, v76
	ds_load_2addr_b32 v[74:75], v98 offset0:238 offset1:255
	v_sub_f32_e32 v70, v95, v76
	s_waitcnt lgkmcnt(0)
	s_barrier
	v_mul_f32_e32 v96, 0x3fb8aa3b, v96
	buffer_gl0_inv
	v_exp_f32_e32 v95, v96
	v_mul_f32_e32 v100, 0x3fb8aa3b, v100
	s_delay_alu instid0(VALU_DEP_1) | instskip(SKIP_3) | instid1(VALU_DEP_2)
	v_exp_f32_e32 v100, v100
	s_waitcnt_depctr 0xfff
	v_dual_fmac_f32 v77, v100, v71 :: v_dual_mul_f32 v70, 0x3fb8aa3b, v70
	v_cndmask_b32_e32 v71, v99, v102, vcc_lo
	v_fmac_f32_e32 v77, v97, v72
	s_delay_alu instid0(VALU_DEP_3) | instskip(NEXT) | instid1(VALU_DEP_1)
	v_exp_f32_e32 v96, v70
	v_fmac_f32_e32 v77, v95, v73
	s_delay_alu instid0(VALU_DEP_1) | instskip(SKIP_2) | instid1(VALU_DEP_1)
	v_fmac_f32_e32 v77, v94, v74
	s_waitcnt_depctr 0xfff
	v_fmac_f32_e32 v77, v96, v75
	v_add_f32_e32 v74, 0x358637bd, v77
	s_delay_alu instid0(VALU_DEP_1) | instskip(SKIP_1) | instid1(VALU_DEP_2)
	v_div_scale_f32 v98, null, v74, v74, 1.0
	v_div_scale_f32 v99, vcc_lo, 1.0, v74, 1.0
	v_rcp_f32_e32 v103, v98
	s_waitcnt_depctr 0xfff
	v_fma_f32 v70, -v98, v103, 1.0
	s_delay_alu instid0(VALU_DEP_1) | instskip(SKIP_2) | instid1(VALU_DEP_2)
	v_fmac_f32_e32 v103, v70, v103
	v_cndmask_b32_e64 v70, v71, v101, s3
	v_cmp_eq_u32_e64 s3, 6, v69
	v_cndmask_b32_e64 v71, v70, v100, s4
	s_delay_alu instid0(VALU_DEP_4) | instskip(NEXT) | instid1(VALU_DEP_2)
	v_dual_mul_f32 v101, v99, v103 :: v_dual_lshlrev_b32 v70, 2, v66
	v_cndmask_b32_e64 v71, v71, v97, s5
	s_delay_alu instid0(VALU_DEP_2) | instskip(NEXT) | instid1(VALU_DEP_3)
	v_or_b32_e32 v72, 1, v70
	v_fma_f32 v100, -v98, v101, v99
	v_cmp_eq_u32_e64 s4, 1, v70
	v_cmp_eq_u32_e64 s5, 2, v70
	v_cndmask_b32_e64 v95, v71, v95, s6
	v_or_b32_e32 v71, 3, v70
	v_fmac_f32_e32 v101, v100, v103
	v_cmp_eq_u32_e64 s9, 1, v72
	v_cmp_eq_u32_e64 s12, 2, v72
	v_cndmask_b32_e64 v94, v95, v94, s3
	v_cmp_eq_u32_e64 s11, 1, v71
	v_fma_f32 v97, -v98, v101, v99
	v_cmp_eq_u32_e64 s16, 2, v71
	v_cmp_eq_u32_e64 s13, 3, v72
	v_cndmask_b32_e64 v94, v94, v96, s7
	v_cmp_eq_u32_e64 s18, 3, v71
	v_div_fmas_f32 v95, v97, v103, v101
	v_cmp_eq_u32_e32 vcc_lo, 3, v70
	v_cmp_eq_u32_e64 s3, 4, v70
	v_cmp_eq_u32_e64 s19, 4, v72
	;; [unrolled: 1-line block ×3, first 2 shown]
	v_div_fixup_f32 v95, v95, v74, 1.0
	v_lshlrev_b32_e32 v73, 6, v68
	v_cmp_eq_u32_e64 s6, 5, v70
	v_cmp_eq_u32_e64 s20, 5, v72
	;; [unrolled: 1-line block ×3, first 2 shown]
	v_mul_f32_e32 v102, v94, v95
	v_lshl_or_b32 v75, v69, 11, v73
	v_or_b32_e32 v69, 2, v70
	v_cmp_eq_u32_e64 s25, 6, v72
	v_cmp_eq_u32_e64 s27, 6, v71
	v_fma_mixlo_f16 v94, v102, v79, 0
	v_fma_mixlo_f16 v95, v102, v81, 0
	;; [unrolled: 1-line block ×8, first 2 shown]
	v_lshl_or_b32 v74, v66, 4, v75
	v_fma_mixhi_f16 v94, v102, v78, 0
	v_fma_mixhi_f16 v95, v102, v80, 0
	;; [unrolled: 1-line block ×8, first 2 shown]
	ds_store_b128 v74, v[94:97]
	ds_store_b128 v74, v[98:101] offset:1024
	s_waitcnt lgkmcnt(0)
	s_barrier
	buffer_gl0_inv
	ds_load_b128 v[78:81], v75
	ds_load_b128 v[82:85], v75 offset:16
	ds_load_b128 v[86:89], v75 offset:1024
	;; [unrolled: 1-line block ×3, first 2 shown]
	v_cmp_eq_u32_e64 s10, 1, v69
	v_cmp_eq_u32_e64 s15, 2, v69
	;; [unrolled: 1-line block ×11, first 2 shown]
	s_waitcnt lgkmcnt(3)
	v_lshrrev_b32_e32 v94, 16, v78
	s_waitcnt lgkmcnt(2)
	v_lshrrev_b32_e32 v98, 16, v82
	;; [unrolled: 2-line block ×4, first 2 shown]
	v_lshrrev_b32_e32 v95, 16, v79
	v_cndmask_b32_e64 v110, v78, v94, s4
	v_cndmask_b32_e64 v111, v82, v98, s4
	;; [unrolled: 1-line block ×8, first 2 shown]
	v_lshrrev_b32_e32 v99, 16, v83
	v_cndmask_b32_e64 v94, v86, v102, s4
	v_cndmask_b32_e64 v98, v90, v106, s4
	v_cndmask_b32_e64 v116, v86, v102, s9
	v_cndmask_b32_e64 v117, v90, v106, s9
	v_cndmask_b32_e64 v118, v86, v102, s10
	v_cndmask_b32_e64 v119, v90, v106, s10
	v_cndmask_b32_e64 v86, v86, v102, s11
	v_cndmask_b32_e64 v90, v90, v106, s11
	v_cndmask_b32_e64 v102, v110, v79, s5
	v_cndmask_b32_e64 v106, v111, v83, s5
	v_cndmask_b32_e64 v110, v112, v79, s12
	v_cndmask_b32_e64 v111, v113, v83, s12
	v_cndmask_b32_e64 v112, v114, v79, s15
	v_cndmask_b32_e64 v78, v78, v79, s16
	v_cndmask_b32_e64 v79, v82, v83, s16
	v_lshrrev_b32_e32 v103, 16, v87
	v_lshrrev_b32_e32 v107, 16, v91
	v_cndmask_b32_e64 v113, v115, v83, s15
	v_cndmask_b32_e64 v82, v94, v87, s5
	;; [unrolled: 1-line block ×7, first 2 shown]
	v_cndmask_b32_e32 v90, v102, v95, vcc_lo
	v_cndmask_b32_e32 v102, v106, v99, vcc_lo
	v_cndmask_b32_e64 v106, v110, v95, s13
	v_cndmask_b32_e64 v110, v111, v99, s13
	;; [unrolled: 1-line block ×4, first 2 shown]
	v_lshrrev_b32_e32 v96, 16, v80
	v_lshrrev_b32_e32 v100, 16, v84
	v_cndmask_b32_e64 v111, v112, v95, s17
	v_cndmask_b32_e64 v112, v113, v99, s17
	v_cndmask_b32_e32 v82, v82, v103, vcc_lo
	v_cndmask_b32_e32 v83, v83, v107, vcc_lo
	v_cndmask_b32_e64 v94, v94, v103, s13
	v_cndmask_b32_e64 v90, v90, v80, s3
	v_cndmask_b32_e64 v95, v102, v84, s3
	v_cndmask_b32_e64 v99, v106, v80, s19
	v_cndmask_b32_e64 v102, v110, v84, s19
	v_cndmask_b32_e64 v78, v78, v80, s22
	v_cndmask_b32_e64 v79, v79, v84, s22
	v_lshrrev_b32_e32 v104, 16, v88
	v_cndmask_b32_e64 v106, v111, v80, s21
	v_cndmask_b32_e64 v110, v112, v84, s21
	;; [unrolled: 1-line block ×11, first 2 shown]
	v_lshrrev_b32_e32 v97, 16, v81
	v_lshrrev_b32_e32 v101, 16, v85
	v_cndmask_b32_e64 v99, v106, v96, s23
	v_cndmask_b32_e64 v102, v110, v100, s23
	;; [unrolled: 1-line block ×7, first 2 shown]
	v_lshrrev_b32_e32 v105, 16, v89
	v_cndmask_b32_e64 v80, v80, v104, s6
	v_cndmask_b32_e64 v84, v84, v81, s7
	;; [unrolled: 1-line block ×16, first 2 shown]
	v_perm_b32 v81, v79, v78, 0x5040100
	v_perm_b32 v79, v95, v85, 0x5040100
	v_cndmask_b32_e64 v78, v119, v91, s15
	v_cndmask_b32_e64 v85, v117, v91, s12
	;; [unrolled: 1-line block ×3, first 2 shown]
	v_perm_b32 v80, v94, v90, 0x5040100
	v_cndmask_b32_e64 v90, v98, v103, s17
	v_cndmask_b32_e64 v86, v86, v103, s18
	;; [unrolled: 1-line block ×5, first 2 shown]
	v_lshrrev_b32_e32 v108, 16, v92
	v_cndmask_b32_e64 v90, v90, v88, s21
	v_cndmask_b32_e64 v86, v86, v88, s22
	;; [unrolled: 1-line block ×11, first 2 shown]
	v_lshrrev_b32_e32 v109, 16, v93
	v_cndmask_b32_e64 v82, v82, v93, s7
	v_cndmask_b32_e64 v88, v88, v89, s26
	;; [unrolled: 1-line block ×12, first 2 shown]
	v_perm_b32 v78, v84, v83, 0x5040100
	v_perm_b32 v85, v87, v86, 0x5040100
	;; [unrolled: 1-line block ×5, first 2 shown]
	s_mul_i32 s8, s33, 6
	s_mov_b32 s3, exec_lo
	ds_store_b128 v74, v[78:81]
	ds_store_b128 v74, v[82:85] offset:1024
	v_cmpx_gt_u32_e32 6, v0
	s_cbranch_execz .LBB1123_14
; %bb.13:
	s_mul_i32 s4, s8, s34
	s_delay_alu instid0(SALU_CYCLE_1) | instskip(SKIP_1) | instid1(VALU_DEP_1)
	v_add3_u32 v68, s4, s31, v68
	s_load_b128 s[4:7], s[0:1], 0x58
	v_mad_u64_u32 v[78:79], null, v68, s35, s[14:15]
	s_delay_alu instid0(VALU_DEP_1) | instskip(NEXT) | instid1(VALU_DEP_1)
	v_ashrrev_i32_e32 v79, 31, v78
	v_lshlrev_b64 v[78:79], 2, v[78:79]
	s_waitcnt lgkmcnt(0)
	s_delay_alu instid0(VALU_DEP_1) | instskip(NEXT) | instid1(VALU_DEP_2)
	v_add_co_u32 v80, vcc_lo, s6, v78
	v_add_co_ci_u32_e32 v81, vcc_lo, s7, v79, vcc_lo
	v_add_co_u32 v78, vcc_lo, s4, v78
	v_add_co_ci_u32_e32 v79, vcc_lo, s5, v79, vcc_lo
	global_store_b32 v[80:81], v76, off
	global_store_b32 v[78:79], v77, off
.LBB1123_14:
	s_or_b32 exec_lo, exec_lo, s3
	s_waitcnt lgkmcnt(0)
	s_waitcnt_vscnt null, 0x0
	s_barrier
	buffer_gl0_inv
	ds_load_b128 v[84:87], v73
	ds_load_b128 v[88:91], v73 offset:16
	ds_load_b128 v[96:99], v73 offset:2064
	;; [unrolled: 1-line block ×5, first 2 shown]
	v_cmp_eq_u32_e32 vcc_lo, 1, v70
	v_mov_b32_e32 v76, 0
	ds_load_b128 v[112:115], v73 offset:6160
	ds_load_b128 v[108:111], v73 offset:6144
	;; [unrolled: 1-line block ×4, first 2 shown]
	v_cmp_eq_u32_e64 s4, 1, v69
	v_cmp_eq_u32_e64 s3, 1, v72
	v_cmp_eq_u32_e64 s5, 2, v72
	v_mov_b32_e32 v77, v76
	v_mov_b32_e32 v78, v76
	;; [unrolled: 1-line block ×7, first 2 shown]
	v_cmp_eq_u32_e64 s6, 3, v72
	v_cmp_eq_u32_e64 s7, 7, v72
	s_waitcnt lgkmcnt(8)
	s_delay_alu instid0(VALU_DEP_3)
	v_wmma_f32_16x16x16_f16 v[76:83], v[49:56], v[84:91], v[76:83]
	ds_load_b128 v[53:56], v73 offset:10256
	ds_load_b128 v[49:52], v73 offset:10240
	s_waitcnt lgkmcnt(8)
	v_wmma_f32_16x16x16_f16 v[76:83], v[41:48], v[92:99], v[76:83]
	ds_load_b128 v[45:48], v73 offset:12304
	ds_load_b128 v[41:44], v73 offset:12288
	s_waitcnt lgkmcnt(8)
	v_wmma_f32_16x16x16_f16 v[76:83], v[33:40], v[100:107], v[76:83]
	ds_load_b128 v[37:40], v73 offset:14352
	ds_load_b128 v[33:36], v73 offset:14336
	s_waitcnt lgkmcnt(0)
	s_barrier
	buffer_gl0_inv
	v_wmma_f32_16x16x16_f16 v[76:83], v[1:8], v[108:115], v[76:83]
	s_delay_alu instid0(VALU_DEP_1) | instskip(NEXT) | instid1(VALU_DEP_1)
	v_wmma_f32_16x16x16_f16 v[76:83], v[9:16], v[116:123], v[76:83]
	v_wmma_f32_16x16x16_f16 v[76:83], v[17:24], v[49:56], v[76:83]
	s_delay_alu instid0(VALU_DEP_1) | instskip(NEXT) | instid1(VALU_DEP_1)
	v_wmma_f32_16x16x16_f16 v[76:83], v[25:32], v[41:48], v[76:83]
	v_wmma_f32_16x16x16_f16 v[76:83], v[57:64], v[33:40], v[76:83]
	s_delay_alu instid0(VALU_DEP_1) | instskip(NEXT) | instid1(VALU_DEP_2)
	v_cvt_f16_f32_e32 v1, v76
	v_cvt_f16_f32_e32 v2, v77
	s_delay_alu instid0(VALU_DEP_3) | instskip(NEXT) | instid1(VALU_DEP_4)
	v_cvt_f16_f32_e32 v3, v78
	v_cvt_f16_f32_e32 v4, v79
	;; [unrolled: 1-line block ×6, first 2 shown]
	v_pack_b32_f16 v1, v1, v2
	v_pack_b32_f16 v2, v3, v4
	;; [unrolled: 1-line block ×3, first 2 shown]
	s_delay_alu instid0(VALU_DEP_4)
	v_pack_b32_f16 v4, v7, v8
	ds_store_b128 v74, v[1:4]
	s_waitcnt lgkmcnt(0)
	s_barrier
	buffer_gl0_inv
	ds_load_b128 v[1:4], v75
	ds_load_b128 v[5:8], v75 offset:16
	s_waitcnt lgkmcnt(1)
	v_lshrrev_b32_e32 v9, 16, v1
	s_waitcnt lgkmcnt(0)
	v_lshrrev_b32_e32 v13, 16, v5
	v_lshrrev_b32_e32 v10, 16, v2
	;; [unrolled: 1-line block ×4, first 2 shown]
	v_cndmask_b32_e32 v17, v1, v9, vcc_lo
	v_cndmask_b32_e32 v18, v5, v13, vcc_lo
	v_cndmask_b32_e64 v21, v1, v9, s4
	v_cmp_eq_u32_e32 vcc_lo, 1, v71
	v_cndmask_b32_e64 v22, v5, v13, s4
	v_cmp_eq_u32_e64 s4, 2, v70
	v_cndmask_b32_e64 v19, v1, v9, s3
	v_cndmask_b32_e64 v20, v5, v13, s3
	v_cndmask_b32_e32 v1, v1, v9, vcc_lo
	v_cmp_eq_u32_e64 s3, 2, v71
	v_cndmask_b32_e32 v5, v5, v13, vcc_lo
	v_cndmask_b32_e64 v9, v17, v2, s4
	v_cmp_eq_u32_e32 vcc_lo, 3, v70
	v_cndmask_b32_e64 v13, v18, v6, s4
	v_cmp_eq_u32_e64 s4, 2, v69
	v_cndmask_b32_e64 v17, v19, v2, s5
	v_cndmask_b32_e64 v18, v20, v6, s5
	v_cmp_eq_u32_e64 s5, 3, v69
	v_cndmask_b32_e64 v1, v1, v2, s3
	v_cndmask_b32_e64 v19, v21, v2, s4
	;; [unrolled: 1-line block ×4, first 2 shown]
	v_cndmask_b32_e32 v5, v9, v10, vcc_lo
	v_cndmask_b32_e32 v6, v13, v14, vcc_lo
	v_cmp_eq_u32_e32 vcc_lo, 3, v71
	v_cndmask_b32_e64 v9, v17, v10, s6
	v_cndmask_b32_e64 v13, v18, v14, s6
	v_cndmask_b32_e64 v18, v20, v14, s5
	v_cmp_eq_u32_e64 s4, 4, v70
	v_cndmask_b32_e32 v1, v1, v10, vcc_lo
	v_cndmask_b32_e32 v2, v2, v14, vcc_lo
	v_cmp_eq_u32_e32 vcc_lo, 4, v72
	v_lshrrev_b32_e32 v15, 16, v7
	v_lshrrev_b32_e32 v16, 16, v8
	v_cndmask_b32_e64 v17, v19, v10, s5
	v_cmp_eq_u32_e64 s3, 4, v71
	v_cndmask_b32_e64 v5, v5, v3, s4
	v_cndmask_b32_e64 v6, v6, v7, s4
	v_cndmask_b32_e32 v9, v9, v3, vcc_lo
	v_cmp_eq_u32_e64 s4, 5, v72
	v_cndmask_b32_e32 v10, v13, v7, vcc_lo
	v_cmp_eq_u32_e32 vcc_lo, 4, v69
	v_cmp_eq_u32_e64 s5, 5, v70
	v_cndmask_b32_e64 v2, v2, v7, s3
	v_cndmask_b32_e64 v9, v9, v11, s4
	;; [unrolled: 1-line block ×3, first 2 shown]
	v_cndmask_b32_e32 v13, v17, v3, vcc_lo
	v_cmp_eq_u32_e64 s4, 5, v69
	v_cndmask_b32_e32 v14, v18, v7, vcc_lo
	v_cndmask_b32_e64 v1, v1, v3, s3
	v_cmp_eq_u32_e32 vcc_lo, 5, v71
	v_lshrrev_b32_e32 v12, 16, v4
	v_cndmask_b32_e64 v13, v13, v11, s4
	v_cndmask_b32_e64 v3, v14, v15, s4
	v_cmp_eq_u32_e64 s4, 6, v71
	v_cndmask_b32_e32 v1, v1, v11, vcc_lo
	v_cndmask_b32_e64 v5, v5, v11, s5
	v_cmp_eq_u32_e64 s6, 6, v70
	v_cndmask_b32_e64 v6, v6, v15, s5
	v_cmp_eq_u32_e64 s5, 6, v72
	v_cmp_eq_u32_e64 s3, 6, v69
	v_cndmask_b32_e64 v1, v1, v4, s4
	v_cndmask_b32_e32 v2, v2, v15, vcc_lo
	v_cmp_eq_u32_e32 vcc_lo, 7, v71
	v_cndmask_b32_e64 v5, v5, v4, s6
	v_cndmask_b32_e64 v9, v9, v4, s5
	;; [unrolled: 1-line block ×3, first 2 shown]
	v_cmp_eq_u32_e64 s6, 7, v70
	v_cndmask_b32_e32 v1, v1, v12, vcc_lo
	v_cndmask_b32_e64 v7, v13, v4, s3
	v_cndmask_b32_e64 v3, v3, v8, s3
	;; [unrolled: 1-line block ×3, first 2 shown]
	v_cmp_eq_u32_e64 s3, 7, v69
	v_cndmask_b32_e64 v4, v10, v8, s5
	v_cndmask_b32_e64 v5, v5, v12, s6
	;; [unrolled: 1-line block ×3, first 2 shown]
	v_cndmask_b32_e32 v2, v2, v16, vcc_lo
	v_cndmask_b32_e64 v7, v7, v12, s3
	v_cndmask_b32_e64 v3, v3, v16, s3
	;; [unrolled: 1-line block ×4, first 2 shown]
	v_cmp_gt_u32_e32 vcc_lo, 32, v0
	v_perm_b32 v4, v2, v1, 0x5040100
	v_perm_b32 v3, v3, v7, 0x5040100
	;; [unrolled: 1-line block ×4, first 2 shown]
	s_and_b32 s2, vcc_lo, s2
	ds_store_b128 v74, v[1:4]
	s_waitcnt lgkmcnt(0)
	s_barrier
	buffer_gl0_inv
	s_and_saveexec_b32 s3, s2
	s_cbranch_execz .LBB1123_2
; %bb.15:
	s_load_b64 s[0:1], s[0:1], 0x68
	s_lshl_b32 s4, s35, 6
	v_or_b32_e32 v3, s31, v66
	s_mul_i32 s2, s4, s34
	v_lshlrev_b32_e32 v0, 10, v0
	s_mul_i32 s2, s2, s8
	v_lshlrev_b32_e32 v1, 4, v67
	s_ashr_i32 s3, s2, 31
	v_mul_lo_u32 v12, v3, s4
	s_lshl_b64 s[2:3], s[2:3], 1
	v_lshlrev_b32_e32 v2, 6, v66
	v_and_b32_e32 v0, 0x3800, v0
	s_delay_alu instid0(VALU_DEP_1) | instskip(NEXT) | instid1(VALU_DEP_4)
	v_or3_b32 v8, v0, v1, v2
	v_ashrrev_i32_e32 v13, 31, v12
	ds_load_b128 v[0:3], v8
	ds_load_b128 v[4:7], v8 offset:128
	ds_load_b128 v[8:11], v8 offset:256
	s_waitcnt lgkmcnt(0)
	s_add_u32 s2, s0, s2
	s_addc_u32 s3, s1, s3
	s_lshl_b32 s0, s14, 6
	s_delay_alu instid0(SALU_CYCLE_1) | instskip(NEXT) | instid1(SALU_CYCLE_1)
	s_ashr_i32 s1, s0, 31
	s_lshl_b64 s[0:1], s[0:1], 1
	s_delay_alu instid0(SALU_CYCLE_1)
	s_add_u32 s0, s2, s0
	s_addc_u32 s1, s3, s1
	s_lshl_b32 s2, s35, 7
	v_add_co_u32 v18, s0, s0, v65
	v_add_nc_u32_e32 v14, s2, v12
	v_lshlrev_b64 v[12:13], 1, v[12:13]
	v_add_co_ci_u32_e64 v19, null, s1, 0, s0
	s_delay_alu instid0(VALU_DEP_3) | instskip(SKIP_1) | instid1(VALU_DEP_4)
	v_add_nc_u32_e32 v16, s2, v14
	v_ashrrev_i32_e32 v15, 31, v14
	v_add_co_u32 v12, vcc_lo, v18, v12
	s_delay_alu instid0(VALU_DEP_4) | instskip(NEXT) | instid1(VALU_DEP_4)
	v_add_co_ci_u32_e32 v13, vcc_lo, v19, v13, vcc_lo
	v_ashrrev_i32_e32 v17, 31, v16
	s_delay_alu instid0(VALU_DEP_4) | instskip(NEXT) | instid1(VALU_DEP_2)
	v_lshlrev_b64 v[14:15], 1, v[14:15]
	v_lshlrev_b64 v[16:17], 1, v[16:17]
	s_delay_alu instid0(VALU_DEP_2) | instskip(NEXT) | instid1(VALU_DEP_3)
	v_add_co_u32 v14, vcc_lo, v18, v14
	v_add_co_ci_u32_e32 v15, vcc_lo, v19, v15, vcc_lo
	s_delay_alu instid0(VALU_DEP_3) | instskip(NEXT) | instid1(VALU_DEP_4)
	v_add_co_u32 v16, vcc_lo, v18, v16
	v_add_co_ci_u32_e32 v17, vcc_lo, v19, v17, vcc_lo
	s_clause 0x2
	global_store_b128 v[12:13], v[0:3], off
	global_store_b128 v[14:15], v[4:7], off
	;; [unrolled: 1-line block ×3, first 2 shown]
	s_nop 0
	s_sendmsg sendmsg(MSG_DEALLOC_VGPRS)
	s_endpgm
	.section	.rodata,"a",@progbits
	.p2align	6, 0x0
	.amdhsa_kernel _Z39paged_attention_ll4mi_QKV_mfma16_kernelIDF16_hLN4vllm18Fp8KVCacheDataTypeE1EDF16_Li16ELi64ELi256ELb1ELi6EL8MFMAType0EEvPKT_PKT0_S8_ifPKiSA_SA_iPKfiiiPfSD_PS3_PT2_iSC_SC_
		.amdhsa_group_segment_fixed_size 17472
		.amdhsa_private_segment_fixed_size 0
		.amdhsa_kernarg_size 400
		.amdhsa_user_sgpr_count 13
		.amdhsa_user_sgpr_dispatch_ptr 0
		.amdhsa_user_sgpr_queue_ptr 0
		.amdhsa_user_sgpr_kernarg_segment_ptr 1
		.amdhsa_user_sgpr_dispatch_id 0
		.amdhsa_user_sgpr_private_segment_size 0
		.amdhsa_wavefront_size32 1
		.amdhsa_uses_dynamic_stack 0
		.amdhsa_enable_private_segment 0
		.amdhsa_system_sgpr_workgroup_id_x 1
		.amdhsa_system_sgpr_workgroup_id_y 1
		.amdhsa_system_sgpr_workgroup_id_z 1
		.amdhsa_system_sgpr_workgroup_info 0
		.amdhsa_system_vgpr_workitem_id 0
		.amdhsa_next_free_vgpr 146
		.amdhsa_next_free_sgpr 36
		.amdhsa_reserve_vcc 1
		.amdhsa_float_round_mode_32 0
		.amdhsa_float_round_mode_16_64 0
		.amdhsa_float_denorm_mode_32 3
		.amdhsa_float_denorm_mode_16_64 3
		.amdhsa_dx10_clamp 1
		.amdhsa_ieee_mode 1
		.amdhsa_fp16_overflow 0
		.amdhsa_workgroup_processor_mode 1
		.amdhsa_memory_ordered 1
		.amdhsa_forward_progress 0
		.amdhsa_shared_vgpr_count 0
		.amdhsa_exception_fp_ieee_invalid_op 0
		.amdhsa_exception_fp_denorm_src 0
		.amdhsa_exception_fp_ieee_div_zero 0
		.amdhsa_exception_fp_ieee_overflow 0
		.amdhsa_exception_fp_ieee_underflow 0
		.amdhsa_exception_fp_ieee_inexact 0
		.amdhsa_exception_int_div_zero 0
	.end_amdhsa_kernel
	.section	.text._Z39paged_attention_ll4mi_QKV_mfma16_kernelIDF16_hLN4vllm18Fp8KVCacheDataTypeE1EDF16_Li16ELi64ELi256ELb1ELi6EL8MFMAType0EEvPKT_PKT0_S8_ifPKiSA_SA_iPKfiiiPfSD_PS3_PT2_iSC_SC_,"axG",@progbits,_Z39paged_attention_ll4mi_QKV_mfma16_kernelIDF16_hLN4vllm18Fp8KVCacheDataTypeE1EDF16_Li16ELi64ELi256ELb1ELi6EL8MFMAType0EEvPKT_PKT0_S8_ifPKiSA_SA_iPKfiiiPfSD_PS3_PT2_iSC_SC_,comdat
.Lfunc_end1123:
	.size	_Z39paged_attention_ll4mi_QKV_mfma16_kernelIDF16_hLN4vllm18Fp8KVCacheDataTypeE1EDF16_Li16ELi64ELi256ELb1ELi6EL8MFMAType0EEvPKT_PKT0_S8_ifPKiSA_SA_iPKfiiiPfSD_PS3_PT2_iSC_SC_, .Lfunc_end1123-_Z39paged_attention_ll4mi_QKV_mfma16_kernelIDF16_hLN4vllm18Fp8KVCacheDataTypeE1EDF16_Li16ELi64ELi256ELb1ELi6EL8MFMAType0EEvPKT_PKT0_S8_ifPKiSA_SA_iPKfiiiPfSD_PS3_PT2_iSC_SC_
                                        ; -- End function
	.section	.AMDGPU.csdata,"",@progbits
; Kernel info:
; codeLenInByte = 6460
; NumSgprs: 38
; NumVgprs: 146
; ScratchSize: 0
; MemoryBound: 0
; FloatMode: 240
; IeeeMode: 1
; LDSByteSize: 17472 bytes/workgroup (compile time only)
; SGPRBlocks: 4
; VGPRBlocks: 18
; NumSGPRsForWavesPerEU: 38
; NumVGPRsForWavesPerEU: 146
; Occupancy: 9
; WaveLimiterHint : 1
; COMPUTE_PGM_RSRC2:SCRATCH_EN: 0
; COMPUTE_PGM_RSRC2:USER_SGPR: 13
; COMPUTE_PGM_RSRC2:TRAP_HANDLER: 0
; COMPUTE_PGM_RSRC2:TGID_X_EN: 1
; COMPUTE_PGM_RSRC2:TGID_Y_EN: 1
; COMPUTE_PGM_RSRC2:TGID_Z_EN: 1
; COMPUTE_PGM_RSRC2:TIDIG_COMP_CNT: 0
	.section	.text._Z39paged_attention_ll4mi_QKV_mfma16_kernelIDF16_hLN4vllm18Fp8KVCacheDataTypeE1EDF16_Li16ELi64ELi256ELb1ELi7EL8MFMAType0EEvPKT_PKT0_S8_ifPKiSA_SA_iPKfiiiPfSD_PS3_PT2_iSC_SC_,"axG",@progbits,_Z39paged_attention_ll4mi_QKV_mfma16_kernelIDF16_hLN4vllm18Fp8KVCacheDataTypeE1EDF16_Li16ELi64ELi256ELb1ELi7EL8MFMAType0EEvPKT_PKT0_S8_ifPKiSA_SA_iPKfiiiPfSD_PS3_PT2_iSC_SC_,comdat
	.protected	_Z39paged_attention_ll4mi_QKV_mfma16_kernelIDF16_hLN4vllm18Fp8KVCacheDataTypeE1EDF16_Li16ELi64ELi256ELb1ELi7EL8MFMAType0EEvPKT_PKT0_S8_ifPKiSA_SA_iPKfiiiPfSD_PS3_PT2_iSC_SC_ ; -- Begin function _Z39paged_attention_ll4mi_QKV_mfma16_kernelIDF16_hLN4vllm18Fp8KVCacheDataTypeE1EDF16_Li16ELi64ELi256ELb1ELi7EL8MFMAType0EEvPKT_PKT0_S8_ifPKiSA_SA_iPKfiiiPfSD_PS3_PT2_iSC_SC_
	.globl	_Z39paged_attention_ll4mi_QKV_mfma16_kernelIDF16_hLN4vllm18Fp8KVCacheDataTypeE1EDF16_Li16ELi64ELi256ELb1ELi7EL8MFMAType0EEvPKT_PKT0_S8_ifPKiSA_SA_iPKfiiiPfSD_PS3_PT2_iSC_SC_
	.p2align	8
	.type	_Z39paged_attention_ll4mi_QKV_mfma16_kernelIDF16_hLN4vllm18Fp8KVCacheDataTypeE1EDF16_Li16ELi64ELi256ELb1ELi7EL8MFMAType0EEvPKT_PKT0_S8_ifPKiSA_SA_iPKfiiiPfSD_PS3_PT2_iSC_SC_,@function
_Z39paged_attention_ll4mi_QKV_mfma16_kernelIDF16_hLN4vllm18Fp8KVCacheDataTypeE1EDF16_Li16ELi64ELi256ELb1ELi7EL8MFMAType0EEvPKT_PKT0_S8_ifPKiSA_SA_iPKfiiiPfSD_PS3_PT2_iSC_SC_: ; @_Z39paged_attention_ll4mi_QKV_mfma16_kernelIDF16_hLN4vllm18Fp8KVCacheDataTypeE1EDF16_Li16ELi64ELi256ELb1ELi7EL8MFMAType0EEvPKT_PKT0_S8_ifPKiSA_SA_iPKfiiiPfSD_PS3_PT2_iSC_SC_
; %bb.0:
	s_load_b64 s[2:3], s[0:1], 0x30
	s_mov_b32 s34, s13
	s_waitcnt lgkmcnt(0)
	s_cmp_lg_u64 s[2:3], 0
	s_cselect_b32 s6, -1, 0
	s_ashr_i32 s35, s13, 31
	s_cmp_eq_u64 s[2:3], 0
	s_cbranch_scc1 .LBB1124_3
; %bb.1:
	s_lshl_b64 s[4:5], s[34:35], 2
	s_delay_alu instid0(SALU_CYCLE_1) | instskip(SKIP_4) | instid1(SALU_CYCLE_1)
	s_add_u32 s4, s2, s4
	s_addc_u32 s5, s3, s5
	s_load_b64 s[4:5], s[4:5], 0x0
	s_waitcnt lgkmcnt(0)
	s_sub_i32 s4, s5, s4
	s_cmp_eq_u32 s4, 1
	s_cselect_b32 s4, -1, 0
	s_delay_alu instid0(SALU_CYCLE_1)
	s_and_not1_b32 vcc_lo, exec_lo, s4
	s_cbranch_vccz .LBB1124_4
.LBB1124_2:
	s_nop 0
	s_sendmsg sendmsg(MSG_DEALLOC_VGPRS)
	s_endpgm
.LBB1124_3:
.LBB1124_4:
	s_load_b64 s[8:9], s[0:1], 0x28
	s_lshl_b64 s[4:5], s[34:35], 2
	s_waitcnt lgkmcnt(0)
	s_add_u32 s8, s8, s4
	s_addc_u32 s9, s9, s5
	s_lshl_b32 s16, s14, 8
	s_load_b32 s18, s[8:9], 0x0
	s_waitcnt lgkmcnt(0)
	s_cmp_ge_i32 s16, s18
	s_cbranch_scc1 .LBB1124_2
; %bb.5:
	s_clause 0x1
	s_load_b128 s[8:11], s[0:1], 0x8
	s_load_b64 s[12:13], s[0:1], 0x20
	s_and_not1_b32 vcc_lo, exec_lo, s6
	s_cbranch_vccnz .LBB1124_7
; %bb.6:
	s_add_u32 s2, s2, s4
	s_addc_u32 s3, s3, s5
	s_load_b32 s3, s[2:3], 0x0
	s_branch .LBB1124_8
.LBB1124_7:
	s_mov_b32 s3, s34
.LBB1124_8:
	s_load_b128 s[4:7], s[0:1], 0x48
	v_lshrrev_b32_e32 v69, 5, v0
	v_bfe_u32 v66, v0, 4, 1
	v_and_b32_e32 v68, 15, v0
	v_and_b32_e32 v70, 31, v0
	;; [unrolled: 1-line block ×3, first 2 shown]
	s_mul_i32 s33, s15, 7
	v_lshl_or_b32 v1, v69, 1, v66
	v_lshlrev_b32_e32 v2, 3, v68
	v_cmp_gt_u32_e64 s2, 8, v68
	s_delay_alu instid0(VALU_DEP_3) | instskip(NEXT) | instid1(VALU_DEP_3)
	v_cmp_gt_u32_e32 vcc_lo, 7, v1
	v_lshlrev_b32_e32 v65, 1, v2
	s_delay_alu instid0(VALU_DEP_3)
	s_and_b32 s17, s2, vcc_lo
	s_waitcnt lgkmcnt(0)
	s_and_saveexec_b32 s7, s17
	s_cbranch_execz .LBB1124_10
; %bb.9:
	s_load_b64 s[20:21], s[0:1], 0x0
	v_add_lshl_u32 v2, v1, s33, 6
	s_mul_hi_i32 s23, s3, s4
	s_mul_i32 s22, s3, s4
	v_lshlrev_b32_e32 v6, 10, v68
	s_lshl_b64 s[22:23], s[22:23], 1
	v_ashrrev_i32_e32 v3, 31, v2
	v_lshlrev_b32_e32 v1, 6, v1
	v_lshlrev_b32_e32 v7, 10, v67
	v_and_b32_e32 v6, 0x3800, v6
	s_delay_alu instid0(VALU_DEP_4) | instskip(NEXT) | instid1(VALU_DEP_2)
	v_lshlrev_b64 v[2:3], 1, v[2:3]
	v_or3_b32 v1, v6, v7, v1
	s_waitcnt lgkmcnt(0)
	s_add_u32 s3, s20, s22
	s_addc_u32 s4, s21, s23
	s_delay_alu instid0(VALU_DEP_2) | instskip(SKIP_1) | instid1(VALU_DEP_2)
	v_add_co_u32 v2, vcc_lo, s3, v2
	v_add_co_ci_u32_e32 v3, vcc_lo, s4, v3, vcc_lo
	v_add_co_u32 v2, vcc_lo, v2, v65
	s_delay_alu instid0(VALU_DEP_2)
	v_add_co_ci_u32_e32 v3, vcc_lo, 0, v3, vcc_lo
	global_load_b128 v[2:5], v[2:3], off
	s_waitcnt vmcnt(0)
	ds_store_b128 v1, v[2:5]
.LBB1124_10:
	s_or_b32 exec_lo, exec_lo, s7
	v_and_b32_e32 v1, 0xef, v0
	s_add_i32 s3, s18, 15
	s_clause 0x1
	s_load_b32 s4, s[0:1], 0x38
	s_load_b32 s35, s[0:1], 0x98
	s_ashr_i32 s7, s3, 31
	v_add_nc_u32_e32 v1, s16, v1
	s_lshr_b32 s7, s7, 28
	s_load_b32 s19, s[0:1], 0x1c
	s_add_i32 s3, s3, s7
	s_waitcnt lgkmcnt(0)
	v_ashrrev_i32_e32 v2, 31, v1
	v_or_b32_e32 v3, 16, v1
	s_ashr_i32 s3, s3, 4
	v_cmp_gt_i32_e32 vcc_lo, s18, v1
	s_add_i32 s3, s3, -1
	v_lshrrev_b32_e32 v2, 28, v2
	s_barrier
	buffer_gl0_inv
	s_mul_i32 s15, s15, s6
	v_mul_lo_u16 v103, v68, 37
	v_add_nc_u32_e32 v4, v1, v2
	v_mbcnt_lo_u32_b32 v127, -1, 0
	s_mul_i32 s20, s34, s4
	s_delay_alu instid0(SALU_CYCLE_1) | instskip(NEXT) | instid1(VALU_DEP_2)
	s_ashr_i32 s21, s20, 31
	v_ashrrev_i32_e32 v4, 4, v4
	v_add_nc_u32_e32 v2, v3, v2
	s_lshl_b64 s[20:21], s[20:21], 2
	v_lshrrev_b16 v103, 8, v103
	s_add_u32 s17, s12, s20
	v_cndmask_b32_e32 v1, s3, v4, vcc_lo
	v_ashrrev_i32_e32 v2, 4, v2
	v_cmp_gt_i32_e32 vcc_lo, s18, v3
	s_addc_u32 s13, s13, s21
	s_ashr_i32 s20, s15, 31
	s_add_u32 s4, s8, s15
	s_addc_u32 s12, s9, s20
	v_cndmask_b32_e32 v3, s3, v2, vcc_lo
	v_ashrrev_i32_e32 v2, 31, v1
	s_lshl_b32 s6, s14, 4
	v_mul_lo_u16 v103, v103, 7
	s_ashr_i32 s7, s6, 31
	v_ashrrev_i32_e32 v4, 31, v3
	v_lshlrev_b64 v[1:2], 2, v[1:2]
	s_lshl_b64 s[6:7], s[6:7], 2
	v_sub_nc_u16 v103, v68, v103
	s_add_u32 s6, s17, s6
	v_lshlrev_b64 v[3:4], 2, v[3:4]
	s_addc_u32 s7, s13, s7
	v_add_co_u32 v1, vcc_lo, s17, v1
	v_add_co_ci_u32_e32 v2, vcc_lo, s13, v2, vcc_lo
	s_delay_alu instid0(VALU_DEP_3) | instskip(NEXT) | instid1(VALU_DEP_4)
	v_add_co_u32 v3, vcc_lo, s17, v3
	v_add_co_ci_u32_e32 v4, vcc_lo, s13, v4, vcc_lo
	s_clause 0x1
	global_load_b32 v5, v[1:2], off
	global_load_b32 v7, v[3:4], off
	s_or_b32 s8, s16, 32
	v_lshlrev_b32_e32 v1, 4, v0
	s_ashr_i32 s9, s8, 4
	s_cmp_lt_i32 s8, s18
	v_xor_b32_e32 v128, 16, v127
	s_cselect_b32 s8, s9, s3
	v_and_b32_e32 v1, 0xf0, v1
	s_ashr_i32 s9, s8, 31
	s_delay_alu instid0(SALU_CYCLE_1)
	s_lshl_b64 s[8:9], s[8:9], 2
	v_cmp_gt_i32_e32 vcc_lo, 32, v128
	s_add_u32 s8, s17, s8
	s_addc_u32 s9, s13, s9
	s_or_b32 s21, s16, 64
	v_add_co_u32 v1, s4, s4, v1
	s_ashr_i32 s22, s21, 4
	s_cmp_lt_i32 s21, s18
	v_add_co_ci_u32_e64 v2, null, s12, 0, s4
	s_cselect_b32 s22, s22, s3
	v_dual_cndmask_b32 v136, v127, v128 :: v_dual_and_b32 v103, 0xff, v103
	s_ashr_i32 s23, s22, 31
	s_delay_alu instid0(SALU_CYCLE_1) | instskip(NEXT) | instid1(VALU_DEP_1)
	s_lshl_b64 s[22:23], s[22:23], 2
	v_lshlrev_b32_e32 v115, 6, v103
	s_add_u32 s22, s17, s22
	s_addc_u32 s23, s13, s23
	s_or_b32 s21, s16, 0x60
	s_delay_alu instid0(SALU_CYCLE_1) | instskip(SKIP_2) | instid1(SALU_CYCLE_1)
	s_ashr_i32 s24, s21, 4
	s_cmp_lt_i32 s21, s18
	s_cselect_b32 s24, s24, s3
	s_ashr_i32 s25, s24, 31
	s_delay_alu instid0(SALU_CYCLE_1) | instskip(NEXT) | instid1(SALU_CYCLE_1)
	s_lshl_b64 s[24:25], s[24:25], 2
	s_add_u32 s24, s17, s24
	s_addc_u32 s25, s13, s25
	s_or_b32 s21, s16, 0x80
	s_delay_alu instid0(SALU_CYCLE_1) | instskip(SKIP_2) | instid1(SALU_CYCLE_1)
	s_ashr_i32 s26, s21, 4
	s_cmp_lt_i32 s21, s18
	s_cselect_b32 s26, s26, s3
	s_ashr_i32 s27, s26, 31
	s_delay_alu instid0(SALU_CYCLE_1) | instskip(NEXT) | instid1(SALU_CYCLE_1)
	s_lshl_b64 s[26:27], s[26:27], 2
	;; [unrolled: 10-line block ×3, first 2 shown]
	s_add_u32 s28, s17, s28
	s_addc_u32 s29, s13, s29
	s_clause 0x5
	s_load_b32 s12, s[6:7], 0x0
	s_load_b32 s4, s[8:9], 0x0
	;; [unrolled: 1-line block ×6, first 2 shown]
	s_or_b32 s21, s16, 0xc0
	s_delay_alu instid0(SALU_CYCLE_1) | instskip(SKIP_2) | instid1(SALU_CYCLE_1)
	s_ashr_i32 s22, s21, 4
	s_cmp_lt_i32 s21, s18
	s_cselect_b32 s22, s22, s3
	s_ashr_i32 s23, s22, 31
	s_delay_alu instid0(SALU_CYCLE_1) | instskip(NEXT) | instid1(SALU_CYCLE_1)
	s_lshl_b64 s[22:23], s[22:23], 2
	s_add_u32 s22, s17, s22
	s_addc_u32 s23, s13, s23
	s_or_b32 s21, s16, 0xe0
	s_delay_alu instid0(SALU_CYCLE_1) | instskip(SKIP_2) | instid1(SALU_CYCLE_1)
	s_ashr_i32 s24, s21, 4
	s_cmp_lt_i32 s21, s18
	s_cselect_b32 s24, s24, s3
	s_ashr_i32 s25, s24, 31
	s_delay_alu instid0(SALU_CYCLE_1)
	s_lshl_b64 s[24:25], s[24:25], 2
	s_waitcnt vmcnt(1)
	v_mad_i64_i32 v[3:4], null, v5, s5, v[1:2]
	s_waitcnt vmcnt(0)
	v_mad_i64_i32 v[5:6], null, v7, s5, v[1:2]
	v_lshlrev_b32_e32 v1, 4, v68
	s_clause 0x7
	global_load_b128 v[71:74], v[3:4], off
	global_load_b128 v[75:78], v[3:4], off offset:256
	global_load_b128 v[79:82], v[5:6], off
	global_load_b128 v[83:86], v[5:6], off offset:256
	global_load_b128 v[87:90], v[3:4], off offset:512
	;; [unrolled: 1-line block ×5, first 2 shown]
	v_lshl_or_b32 v1, v69, 8, v1
	s_load_b32 s3, s[22:23], 0x0
	s_add_u32 s22, s17, s24
	s_addc_u32 s23, s13, s25
	s_add_u32 s10, s10, s15
	s_addc_u32 s11, s11, s20
	v_add_co_u32 v1, s10, s10, v1
	s_delay_alu instid0(VALU_DEP_1) | instskip(SKIP_2) | instid1(VALU_DEP_1)
	v_add_co_ci_u32_e64 v2, null, s11, 0, s10
	s_load_b32 s10, s[22:23], 0x0
	s_waitcnt lgkmcnt(0)
	v_mad_i64_i32 v[3:4], null, s12, s5, v[1:2]
	v_mad_i64_i32 v[9:10], null, s7, s5, v[1:2]
	;; [unrolled: 1-line block ×7, first 2 shown]
	s_clause 0x5
	global_load_b128 v[49:52], v[3:4], off
	global_load_b128 v[53:56], v[3:4], off offset:16
	global_load_b128 v[41:44], v[5:6], off
	global_load_b128 v[45:48], v[5:6], off offset:16
	;; [unrolled: 2-line block ×3, first 2 shown]
	s_mov_b32 s4, 0
	v_mad_i64_i32 v[61:62], null, s10, s5, v[1:2]
	s_clause 0x9
	global_load_b128 v[1:4], v[9:10], off
	global_load_b128 v[5:8], v[9:10], off offset:16
	global_load_b128 v[9:12], v[13:14], off
	global_load_b128 v[13:16], v[13:14], off offset:16
	;; [unrolled: 2-line block ×5, first 2 shown]
	s_mov_b32 s5, s4
	s_mov_b32 s6, s4
	;; [unrolled: 1-line block ×7, first 2 shown]
	v_and_b32_e32 v104, 0xe0, v0
	v_dual_mov_b32 v126, s11 :: v_dual_mov_b32 v123, s8
	v_dual_mov_b32 v125, s10 :: v_dual_mov_b32 v124, s9
	s_delay_alu instid0(VALU_DEP_3)
	v_add_nc_u32_e32 v111, s16, v104
	ds_load_b128 v[103:106], v115
	ds_load_b128 v[107:110], v115 offset:1024
	v_dual_mov_b32 v122, s7 :: v_dual_mov_b32 v121, s6
	v_mov_b32_e32 v120, s5
	v_or_b32_e32 v135, v111, v66
	ds_load_b128 v[111:114], v115 offset:2048
	ds_load_b128 v[115:118], v115 offset:3072
	v_mov_b32_e32 v119, s4
	s_waitcnt vmcnt(0) lgkmcnt(0)
	s_barrier
	v_or_b32_e32 v137, 2, v135
	v_or_b32_e32 v138, 4, v135
	;; [unrolled: 1-line block ×3, first 2 shown]
	v_cmp_gt_i32_e32 vcc_lo, s18, v135
	v_or_b32_e32 v140, 8, v135
	v_cmp_gt_i32_e64 s3, s18, v137
	v_or_b32_e32 v141, 10, v135
	v_cmp_gt_i32_e64 s4, s18, v138
	v_cmp_gt_i32_e64 s5, s18, v139
	v_or_b32_e32 v142, 12, v135
	v_or_b32_e32 v143, 14, v135
	v_cmp_gt_i32_e64 s6, s18, v140
	v_cmp_gt_i32_e64 s7, s18, v141
	v_or_b32_e32 v144, 16, v135
	v_or_b32_e32 v145, 18, v135
	v_cmp_gt_i32_e64 s8, s18, v142
	v_cmp_gt_i32_e64 s9, s18, v143
	buffer_gl0_inv
	v_cmp_gt_i32_e64 s10, s18, v144
	v_cmp_gt_i32_e64 s11, s18, v145
	v_wmma_f32_16x16x16_f16 v[127:134], v[71:78], v[103:110], v[119:126]
	v_wmma_f32_16x16x16_f16 v[119:126], v[79:86], v[103:110], v[119:126]
	v_or_b32_e32 v71, 20, v135
	v_or_b32_e32 v72, 22, v135
	s_delay_alu instid0(VALU_DEP_4)
	v_wmma_f32_16x16x16_f16 v[127:134], v[87:94], v[111:118], v[127:134]
	v_or_b32_e32 v73, 24, v135
	v_wmma_f32_16x16x16_f16 v[119:126], v[95:102], v[111:118], v[119:126]
	v_or_b32_e32 v74, 26, v135
	v_cmp_gt_i32_e64 s12, s18, v71
	v_dual_mul_f32 v83, s19, v128 :: v_dual_mul_f32 v84, s19, v127
	s_delay_alu instid0(VALU_DEP_4) | instskip(SKIP_1) | instid1(VALU_DEP_3)
	v_dual_mul_f32 v81, s19, v130 :: v_dual_mul_f32 v92, s19, v119
	v_mul_f32_e32 v82, s19, v129
	v_cndmask_b32_e64 v83, 0xff7fffff, v83, s3
	s_delay_alu instid0(VALU_DEP_4)
	v_cndmask_b32_e32 v84, 0xff7fffff, v84, vcc_lo
	v_dual_mul_f32 v79, s19, v132 :: v_dual_mul_f32 v90, s19, v121
	v_mul_f32_e32 v80, s19, v131
	v_cndmask_b32_e64 v82, 0xff7fffff, v82, s4
	v_cndmask_b32_e64 v81, 0xff7fffff, v81, s5
	v_max3_f32 v83, v84, 0xff7fffff, v83
	v_dual_mul_f32 v77, s19, v134 :: v_dual_mul_f32 v88, s19, v123
	v_mul_f32_e32 v78, s19, v133
	v_cndmask_b32_e64 v80, 0xff7fffff, v80, s6
	v_cndmask_b32_e64 v79, 0xff7fffff, v79, s7
	v_max3_f32 v81, v83, v82, v81
	v_mul_f32_e32 v91, s19, v120
	v_cndmask_b32_e64 v78, 0xff7fffff, v78, s8
	v_cndmask_b32_e64 v77, 0xff7fffff, v77, s9
	v_mul_f32_e32 v89, s19, v122
	v_max3_f32 v79, v81, v80, v79
	v_cndmask_b32_e64 v80, 0xff7fffff, v92, s10
	v_cndmask_b32_e64 v81, 0xff7fffff, v91, s11
	v_cmp_gt_i32_e64 s13, s18, v72
	v_or_b32_e32 v75, 28, v135
	v_max3_f32 v77, v79, v78, v77
	v_or_b32_e32 v76, 30, v135
	v_mul_f32_e32 v87, s19, v124
	v_cndmask_b32_e64 v71, 0xff7fffff, v90, s12
	v_cndmask_b32_e64 v72, 0xff7fffff, v89, s13
	v_max3_f32 v77, v77, v80, v81
	v_cmp_gt_i32_e64 s15, s18, v73
	v_cmp_gt_i32_e64 s16, s18, v74
	v_dual_mul_f32 v85, s19, v126 :: v_dual_mul_f32 v86, s19, v125
	s_delay_alu instid0(VALU_DEP_4) | instskip(NEXT) | instid1(VALU_DEP_4)
	v_max3_f32 v71, v77, v71, v72
	v_cndmask_b32_e64 v73, 0xff7fffff, v88, s15
	s_delay_alu instid0(VALU_DEP_4) | instskip(SKIP_2) | instid1(VALU_DEP_3)
	v_cndmask_b32_e64 v74, 0xff7fffff, v87, s16
	v_cmp_gt_i32_e64 s17, s18, v75
	v_cmp_gt_i32_e64 s18, s18, v76
	v_max3_f32 v71, v71, v73, v74
	s_delay_alu instid0(VALU_DEP_3) | instskip(NEXT) | instid1(VALU_DEP_3)
	v_cndmask_b32_e64 v72, 0xff7fffff, v86, s17
	v_cndmask_b32_e64 v75, 0xff7fffff, v85, s18
	v_lshlrev_b32_e32 v73, 2, v136
	s_delay_alu instid0(VALU_DEP_2) | instskip(SKIP_3) | instid1(VALU_DEP_1)
	v_max3_f32 v71, v71, v72, v75
	ds_bpermute_b32 v72, v73, v71
	s_waitcnt lgkmcnt(0)
	v_max_f32_e32 v72, v72, v72
	v_max_f32_e32 v71, v71, v72
	s_delay_alu instid0(VALU_DEP_1)
	v_fma_f32 v72, s19, v127, -v71
	v_fma_f32 v74, s19, v128, -v71
	;; [unrolled: 1-line block ×5, first 2 shown]
	v_mul_f32_e32 v72, 0x3fb8aa3b, v72
	v_mul_f32_e32 v74, 0x3fb8aa3b, v74
	v_fma_f32 v80, s19, v133, -v71
	s_delay_alu instid0(VALU_DEP_4) | instskip(NEXT) | instid1(VALU_DEP_4)
	v_dual_mul_f32 v76, 0x3fb8aa3b, v76 :: v_dual_mul_f32 v77, 0x3fb8aa3b, v77
	v_exp_f32_e32 v72, v72
	s_delay_alu instid0(VALU_DEP_3) | instskip(NEXT) | instid1(VALU_DEP_2)
	v_exp_f32_e32 v74, v74
	v_mul_f32_e32 v82, 0x3fb8aa3b, v80
	s_delay_alu instid0(VALU_DEP_2) | instskip(SKIP_1) | instid1(VALU_DEP_1)
	v_exp_f32_e32 v76, v76
	v_exp_f32_e32 v77, v77
	;; [unrolled: 1-line block ×3, first 2 shown]
	v_cndmask_b32_e32 v79, 0, v72, vcc_lo
	v_fma_f32 v72, s19, v132, -v71
	v_mul_f32_e32 v75, 0x3fb8aa3b, v75
	v_cndmask_b32_e64 v78, 0, v74, s3
	s_delay_alu instid0(TRANS32_DEP_3)
	v_cndmask_b32_e64 v80, 0, v76, s5
	v_add_f32_e32 v74, 0, v79
	v_mul_f32_e32 v72, 0x3fb8aa3b, v72
	v_exp_f32_e32 v75, v75
	v_cndmask_b32_e64 v83, 0, v77, s6
	v_cndmask_b32_e64 v85, 0, v84, s8
	v_add_f32_e32 v74, v74, v78
	v_exp_f32_e32 v72, v72
	v_cmp_gt_u32_e64 s3, 16, v70
	s_waitcnt_depctr 0xfff
	v_cndmask_b32_e64 v81, 0, v75, s4
	v_cndmask_b32_e64 v82, 0, v72, s7
	s_delay_alu instid0(VALU_DEP_2) | instskip(NEXT) | instid1(VALU_DEP_1)
	v_add_f32_e32 v74, v74, v81
	v_add_f32_e32 v74, v74, v80
	s_delay_alu instid0(VALU_DEP_1) | instskip(SKIP_4) | instid1(VALU_DEP_4)
	v_add_f32_e32 v72, v74, v83
	v_fma_f32 v75, s19, v134, -v71
	v_fma_f32 v76, s19, v119, -v71
	;; [unrolled: 1-line block ×4, first 2 shown]
	v_dual_add_f32 v72, v72, v82 :: v_dual_mul_f32 v75, 0x3fb8aa3b, v75
	s_delay_alu instid0(VALU_DEP_3) | instskip(SKIP_1) | instid1(VALU_DEP_3)
	v_dual_mul_f32 v76, 0x3fb8aa3b, v76 :: v_dual_mul_f32 v77, 0x3fb8aa3b, v77
	v_fma_f32 v86, s19, v122, -v71
	v_add_f32_e32 v72, v72, v85
	s_delay_alu instid0(VALU_DEP_4) | instskip(NEXT) | instid1(VALU_DEP_3)
	v_exp_f32_e32 v75, v75
	v_exp_f32_e32 v76, v76
	;; [unrolled: 1-line block ×3, first 2 shown]
	v_mul_f32_e32 v86, 0x3fb8aa3b, v86
	s_delay_alu instid0(VALU_DEP_1) | instskip(SKIP_3) | instid1(TRANS32_DEP_3)
	v_exp_f32_e32 v88, v86
	v_cndmask_b32_e64 v84, 0, v75, s9
	v_fma_f32 v75, s19, v123, -v71
	v_mul_f32_e32 v74, 0x3fb8aa3b, v74
	v_cndmask_b32_e64 v87, 0, v76, s10
	v_fma_f32 v76, s19, v124, -v71
	s_delay_alu instid0(VALU_DEP_4) | instskip(NEXT) | instid1(VALU_DEP_4)
	v_dual_add_f32 v72, v72, v84 :: v_dual_mul_f32 v75, 0x3fb8aa3b, v75
	v_exp_f32_e32 v74, v74
	v_cndmask_b32_e64 v86, 0, v77, s11
	v_fma_f32 v77, s19, v125, -v71
	s_delay_alu instid0(VALU_DEP_3) | instskip(SKIP_3) | instid1(VALU_DEP_3)
	v_add_f32_e32 v72, v72, v87
	v_mul_f32_e32 v76, 0x3fb8aa3b, v76
	v_exp_f32_e32 v75, v75
	v_cndmask_b32_e64 v88, 0, v88, s13
	v_add_f32_e32 v72, v72, v86
	s_delay_alu instid0(VALU_DEP_3) | instskip(NEXT) | instid1(TRANS32_DEP_3)
	v_exp_f32_e32 v76, v76
	v_cndmask_b32_e64 v89, 0, v74, s12
	v_mul_f32_e32 v74, 0x3fb8aa3b, v77
	v_fma_f32 v77, s19, v126, -v71
	s_delay_alu instid0(VALU_DEP_3) | instskip(NEXT) | instid1(VALU_DEP_3)
	v_add_f32_e32 v72, v72, v89
	v_exp_f32_e32 v74, v74
	s_delay_alu instid0(TRANS32_DEP_3) | instskip(NEXT) | instid1(VALU_DEP_3)
	v_cndmask_b32_e64 v91, 0, v75, s15
	v_mul_f32_e32 v75, 0x3fb8aa3b, v77
	s_delay_alu instid0(TRANS32_DEP_2) | instskip(SKIP_1) | instid1(VALU_DEP_3)
	v_cndmask_b32_e64 v90, 0, v76, s16
	v_add_f32_e32 v72, v72, v88
	v_exp_f32_e32 v75, v75
	s_delay_alu instid0(VALU_DEP_1) | instskip(NEXT) | instid1(TRANS32_DEP_2)
	v_add_f32_e32 v72, v72, v91
	v_cndmask_b32_e64 v93, 0, v74, s17
	s_delay_alu instid0(VALU_DEP_2) | instskip(SKIP_3) | instid1(VALU_DEP_1)
	v_add_f32_e32 v72, v72, v90
	s_waitcnt_depctr 0xfff
	v_cndmask_b32_e64 v92, 0, v75, s18
	v_add_f32_e32 v72, v72, v93
	v_add_f32_e32 v72, v72, v92
	ds_bpermute_b32 v73, v73, v72
	s_and_saveexec_b32 s4, s3
	s_cbranch_execz .LBB1124_12
; %bb.11:
	v_mul_u32_u24_e32 v70, 0x44, v69
	s_waitcnt lgkmcnt(0)
	v_add_f32_e32 v72, v72, v73
	s_delay_alu instid0(VALU_DEP_2) | instskip(NEXT) | instid1(VALU_DEP_1)
	v_lshl_add_u32 v70, v68, 2, v70
	v_add_nc_u32_e32 v70, 0x4000, v70
	ds_store_2addr_b32 v70, v71, v72 offset1:136
.LBB1124_12:
	s_or_b32 exec_lo, exec_lo, s4
	v_lshlrev_b32_e32 v70, 2, v68
	s_load_b32 s36, s[0:1], 0x94
	s_waitcnt lgkmcnt(0)
	s_barrier
	buffer_gl0_inv
	v_add_nc_u32_e32 v98, 0x4000, v70
	v_cmp_eq_u32_e32 vcc_lo, 1, v69
	v_cmp_eq_u32_e64 s4, 2, v69
	v_cmp_eq_u32_e64 s5, 3, v69
	;; [unrolled: 1-line block ×3, first 2 shown]
	ds_load_2addr_b32 v[70:71], v98 offset1:17
	ds_load_2addr_b32 v[72:73], v98 offset0:34 offset1:51
	ds_load_2addr_b32 v[74:75], v98 offset0:68 offset1:85
	;; [unrolled: 1-line block ×3, first 2 shown]
	v_cmp_eq_u32_e64 s7, 5, v69
	v_cmp_eq_u32_e64 s8, 7, v69
	s_waitcnt lgkmcnt(3)
	v_max3_f32 v76, v70, 0xff7fffff, v71
	s_waitcnt lgkmcnt(2)
	s_delay_alu instid0(VALU_DEP_1) | instskip(SKIP_1) | instid1(VALU_DEP_1)
	v_max3_f32 v76, v76, v72, v73
	s_waitcnt lgkmcnt(1)
	v_max3_f32 v76, v76, v74, v75
	s_waitcnt lgkmcnt(0)
	s_delay_alu instid0(VALU_DEP_1) | instskip(NEXT) | instid1(VALU_DEP_1)
	v_max3_f32 v76, v76, v94, v95
	v_sub_f32_e32 v77, v71, v76
	ds_load_2addr_b32 v[96:97], v98 offset0:136 offset1:153
	v_sub_f32_e32 v74, v74, v76
	v_sub_f32_e32 v70, v70, v76
	;; [unrolled: 1-line block ×3, first 2 shown]
	v_dual_sub_f32 v72, v72, v76 :: v_dual_mul_f32 v77, 0x3fb8aa3b, v77
	s_delay_alu instid0(VALU_DEP_4) | instskip(NEXT) | instid1(VALU_DEP_4)
	v_mul_f32_e32 v103, 0x3fb8aa3b, v74
	v_mul_f32_e32 v99, 0x3fb8aa3b, v70
	ds_load_2addr_b32 v[70:71], v98 offset0:170 offset1:187
	v_dual_mul_f32 v101, 0x3fb8aa3b, v72 :: v_dual_mul_f32 v94, 0x3fb8aa3b, v94
	v_exp_f32_e32 v102, v77
	v_exp_f32_e32 v99, v99
	s_delay_alu instid0(VALU_DEP_1) | instskip(NEXT) | instid1(VALU_DEP_1)
	v_exp_f32_e32 v101, v101
	v_exp_f32_e32 v94, v94
	s_waitcnt lgkmcnt(1)
	s_delay_alu instid0(TRANS32_DEP_3)
	v_fma_f32 v77, v99, v96, 0
	v_sub_f32_e32 v100, v73, v76
	ds_load_2addr_b32 v[72:73], v98 offset0:204 offset1:221
	v_fmac_f32_e32 v77, v102, v97
	v_exp_f32_e32 v97, v103
	s_waitcnt lgkmcnt(1)
	s_delay_alu instid0(VALU_DEP_1)
	v_dual_fmac_f32 v77, v101, v70 :: v_dual_sub_f32 v96, v75, v76
	ds_load_2addr_b32 v[74:75], v98 offset0:238 offset1:255
	v_sub_f32_e32 v70, v95, v76
	s_waitcnt lgkmcnt(0)
	s_barrier
	v_mul_f32_e32 v96, 0x3fb8aa3b, v96
	buffer_gl0_inv
	v_exp_f32_e32 v95, v96
	v_mul_f32_e32 v100, 0x3fb8aa3b, v100
	s_delay_alu instid0(VALU_DEP_1) | instskip(SKIP_3) | instid1(VALU_DEP_2)
	v_exp_f32_e32 v100, v100
	s_waitcnt_depctr 0xfff
	v_dual_fmac_f32 v77, v100, v71 :: v_dual_mul_f32 v70, 0x3fb8aa3b, v70
	v_cndmask_b32_e32 v71, v99, v102, vcc_lo
	v_fmac_f32_e32 v77, v97, v72
	s_delay_alu instid0(VALU_DEP_3) | instskip(NEXT) | instid1(VALU_DEP_1)
	v_exp_f32_e32 v96, v70
	v_fmac_f32_e32 v77, v95, v73
	s_delay_alu instid0(VALU_DEP_1) | instskip(SKIP_2) | instid1(VALU_DEP_1)
	v_fmac_f32_e32 v77, v94, v74
	s_waitcnt_depctr 0xfff
	v_fmac_f32_e32 v77, v96, v75
	v_add_f32_e32 v74, 0x358637bd, v77
	s_delay_alu instid0(VALU_DEP_1) | instskip(SKIP_1) | instid1(VALU_DEP_2)
	v_div_scale_f32 v98, null, v74, v74, 1.0
	v_div_scale_f32 v99, vcc_lo, 1.0, v74, 1.0
	v_rcp_f32_e32 v103, v98
	s_waitcnt_depctr 0xfff
	v_fma_f32 v70, -v98, v103, 1.0
	s_delay_alu instid0(VALU_DEP_1) | instskip(SKIP_2) | instid1(VALU_DEP_2)
	v_fmac_f32_e32 v103, v70, v103
	v_cndmask_b32_e64 v70, v71, v101, s4
	v_cmp_eq_u32_e64 s4, 6, v69
	v_cndmask_b32_e64 v71, v70, v100, s5
	s_delay_alu instid0(VALU_DEP_4) | instskip(NEXT) | instid1(VALU_DEP_2)
	v_dual_mul_f32 v101, v99, v103 :: v_dual_lshlrev_b32 v70, 2, v66
	v_cndmask_b32_e64 v71, v71, v97, s6
	s_delay_alu instid0(VALU_DEP_2) | instskip(NEXT) | instid1(VALU_DEP_3)
	v_or_b32_e32 v72, 1, v70
	v_fma_f32 v100, -v98, v101, v99
	v_cmp_eq_u32_e64 s5, 1, v70
	v_cmp_eq_u32_e64 s6, 2, v70
	v_cndmask_b32_e64 v95, v71, v95, s7
	v_or_b32_e32 v71, 3, v70
	v_fmac_f32_e32 v101, v100, v103
	v_cmp_eq_u32_e64 s10, 1, v72
	v_cmp_eq_u32_e64 s13, 2, v72
	v_cndmask_b32_e64 v94, v95, v94, s4
	v_cmp_eq_u32_e64 s12, 1, v71
	v_fma_f32 v97, -v98, v101, v99
	v_cmp_eq_u32_e64 s17, 2, v71
	v_cmp_eq_u32_e64 s15, 3, v72
	v_cndmask_b32_e64 v94, v94, v96, s8
	v_cmp_eq_u32_e64 s19, 3, v71
	v_div_fmas_f32 v95, v97, v103, v101
	v_cmp_eq_u32_e32 vcc_lo, 3, v70
	v_cmp_eq_u32_e64 s4, 4, v70
	v_cmp_eq_u32_e64 s20, 4, v72
	;; [unrolled: 1-line block ×3, first 2 shown]
	v_div_fixup_f32 v95, v95, v74, 1.0
	v_lshlrev_b32_e32 v73, 6, v68
	v_cmp_eq_u32_e64 s7, 5, v70
	v_cmp_eq_u32_e64 s21, 5, v72
	;; [unrolled: 1-line block ×3, first 2 shown]
	v_mul_f32_e32 v102, v94, v95
	v_lshl_or_b32 v75, v69, 11, v73
	v_or_b32_e32 v69, 2, v70
	v_cmp_eq_u32_e64 s26, 6, v72
	v_cmp_eq_u32_e64 s28, 6, v71
	v_fma_mixlo_f16 v94, v102, v79, 0
	v_fma_mixlo_f16 v95, v102, v81, 0
	;; [unrolled: 1-line block ×8, first 2 shown]
	v_lshl_or_b32 v74, v66, 4, v75
	v_fma_mixhi_f16 v94, v102, v78, 0
	v_fma_mixhi_f16 v95, v102, v80, 0
	;; [unrolled: 1-line block ×8, first 2 shown]
	ds_store_b128 v74, v[94:97]
	ds_store_b128 v74, v[98:101] offset:1024
	s_waitcnt lgkmcnt(0)
	s_barrier
	buffer_gl0_inv
	ds_load_b128 v[78:81], v75
	ds_load_b128 v[82:85], v75 offset:16
	ds_load_b128 v[86:89], v75 offset:1024
	;; [unrolled: 1-line block ×3, first 2 shown]
	v_cmp_eq_u32_e64 s11, 1, v69
	v_cmp_eq_u32_e64 s16, 2, v69
	;; [unrolled: 1-line block ×11, first 2 shown]
	s_waitcnt lgkmcnt(3)
	v_lshrrev_b32_e32 v94, 16, v78
	s_waitcnt lgkmcnt(2)
	v_lshrrev_b32_e32 v98, 16, v82
	;; [unrolled: 2-line block ×4, first 2 shown]
	v_lshrrev_b32_e32 v95, 16, v79
	v_cndmask_b32_e64 v110, v78, v94, s5
	v_cndmask_b32_e64 v111, v82, v98, s5
	;; [unrolled: 1-line block ×8, first 2 shown]
	v_lshrrev_b32_e32 v99, 16, v83
	v_cndmask_b32_e64 v94, v86, v102, s5
	v_cndmask_b32_e64 v98, v90, v106, s5
	;; [unrolled: 1-line block ×15, first 2 shown]
	v_lshrrev_b32_e32 v103, 16, v87
	v_lshrrev_b32_e32 v107, 16, v91
	v_cndmask_b32_e64 v113, v115, v83, s16
	v_cndmask_b32_e64 v82, v94, v87, s6
	;; [unrolled: 1-line block ×7, first 2 shown]
	v_cndmask_b32_e32 v90, v102, v95, vcc_lo
	v_cndmask_b32_e32 v102, v106, v99, vcc_lo
	v_cndmask_b32_e64 v106, v110, v95, s15
	v_cndmask_b32_e64 v110, v111, v99, s15
	;; [unrolled: 1-line block ×4, first 2 shown]
	v_lshrrev_b32_e32 v96, 16, v80
	v_lshrrev_b32_e32 v100, 16, v84
	v_cndmask_b32_e64 v111, v112, v95, s18
	v_cndmask_b32_e64 v112, v113, v99, s18
	v_cndmask_b32_e32 v82, v82, v103, vcc_lo
	v_cndmask_b32_e32 v83, v83, v107, vcc_lo
	v_cndmask_b32_e64 v94, v94, v103, s15
	v_cndmask_b32_e64 v90, v90, v80, s4
	;; [unrolled: 1-line block ×7, first 2 shown]
	v_lshrrev_b32_e32 v104, 16, v88
	v_cndmask_b32_e64 v106, v111, v80, s22
	v_cndmask_b32_e64 v110, v112, v84, s22
	;; [unrolled: 1-line block ×11, first 2 shown]
	v_lshrrev_b32_e32 v97, 16, v81
	v_lshrrev_b32_e32 v101, 16, v85
	v_cndmask_b32_e64 v99, v106, v96, s24
	v_cndmask_b32_e64 v102, v110, v100, s24
	;; [unrolled: 1-line block ×7, first 2 shown]
	v_lshrrev_b32_e32 v105, 16, v89
	v_cndmask_b32_e64 v80, v80, v104, s7
	v_cndmask_b32_e64 v84, v84, v81, s8
	;; [unrolled: 1-line block ×16, first 2 shown]
	v_perm_b32 v81, v79, v78, 0x5040100
	v_perm_b32 v79, v95, v85, 0x5040100
	v_cndmask_b32_e64 v78, v119, v91, s16
	v_cndmask_b32_e64 v85, v117, v91, s13
	;; [unrolled: 1-line block ×3, first 2 shown]
	v_perm_b32 v80, v94, v90, 0x5040100
	v_cndmask_b32_e64 v90, v98, v103, s18
	v_cndmask_b32_e64 v86, v86, v103, s19
	;; [unrolled: 1-line block ×5, first 2 shown]
	v_lshrrev_b32_e32 v108, 16, v92
	v_cndmask_b32_e64 v90, v90, v88, s22
	v_cndmask_b32_e64 v86, v86, v88, s23
	;; [unrolled: 1-line block ×11, first 2 shown]
	v_lshrrev_b32_e32 v109, 16, v93
	v_cndmask_b32_e64 v82, v82, v93, s8
	v_cndmask_b32_e64 v88, v88, v89, s27
	;; [unrolled: 1-line block ×12, first 2 shown]
	v_perm_b32 v78, v84, v83, 0x5040100
	v_perm_b32 v85, v87, v86, 0x5040100
	;; [unrolled: 1-line block ×5, first 2 shown]
	s_mul_i32 s9, s35, 7
	s_mov_b32 s4, exec_lo
	ds_store_b128 v74, v[78:81]
	ds_store_b128 v74, v[82:85] offset:1024
	v_cmpx_gt_u32_e32 7, v0
	s_cbranch_execz .LBB1124_14
; %bb.13:
	s_mul_i32 s5, s9, s34
	s_load_b128 s[16:19], s[0:1], 0x58
	v_add3_u32 v68, s5, s33, v68
	s_delay_alu instid0(VALU_DEP_1) | instskip(NEXT) | instid1(VALU_DEP_1)
	v_mad_u64_u32 v[78:79], null, v68, s36, s[14:15]
	v_ashrrev_i32_e32 v79, 31, v78
	s_delay_alu instid0(VALU_DEP_1) | instskip(SKIP_1) | instid1(VALU_DEP_1)
	v_lshlrev_b64 v[78:79], 2, v[78:79]
	s_waitcnt lgkmcnt(0)
	v_add_co_u32 v80, vcc_lo, s18, v78
	s_delay_alu instid0(VALU_DEP_2)
	v_add_co_ci_u32_e32 v81, vcc_lo, s19, v79, vcc_lo
	v_add_co_u32 v78, vcc_lo, s16, v78
	v_add_co_ci_u32_e32 v79, vcc_lo, s17, v79, vcc_lo
	global_store_b32 v[80:81], v76, off
	global_store_b32 v[78:79], v77, off
.LBB1124_14:
	s_or_b32 exec_lo, exec_lo, s4
	s_waitcnt lgkmcnt(0)
	s_waitcnt_vscnt null, 0x0
	s_barrier
	buffer_gl0_inv
	ds_load_b128 v[84:87], v73
	ds_load_b128 v[88:91], v73 offset:16
	ds_load_b128 v[96:99], v73 offset:2064
	;; [unrolled: 1-line block ×5, first 2 shown]
	v_cmp_eq_u32_e32 vcc_lo, 1, v70
	v_mov_b32_e32 v76, 0
	ds_load_b128 v[112:115], v73 offset:6160
	ds_load_b128 v[108:111], v73 offset:6144
	;; [unrolled: 1-line block ×4, first 2 shown]
	v_cmp_eq_u32_e64 s5, 1, v69
	v_cmp_eq_u32_e64 s4, 1, v72
	;; [unrolled: 1-line block ×3, first 2 shown]
	v_mov_b32_e32 v77, v76
	v_mov_b32_e32 v78, v76
	;; [unrolled: 1-line block ×7, first 2 shown]
	v_cmp_eq_u32_e64 s7, 3, v72
	v_cmp_eq_u32_e64 s8, 7, v72
	s_waitcnt lgkmcnt(8)
	s_delay_alu instid0(VALU_DEP_3)
	v_wmma_f32_16x16x16_f16 v[76:83], v[49:56], v[84:91], v[76:83]
	ds_load_b128 v[53:56], v73 offset:10256
	ds_load_b128 v[49:52], v73 offset:10240
	s_waitcnt lgkmcnt(8)
	v_wmma_f32_16x16x16_f16 v[76:83], v[41:48], v[92:99], v[76:83]
	ds_load_b128 v[45:48], v73 offset:12304
	ds_load_b128 v[41:44], v73 offset:12288
	s_waitcnt lgkmcnt(8)
	;; [unrolled: 4-line block ×3, first 2 shown]
	s_barrier
	buffer_gl0_inv
	v_wmma_f32_16x16x16_f16 v[76:83], v[1:8], v[108:115], v[76:83]
	s_delay_alu instid0(VALU_DEP_1) | instskip(NEXT) | instid1(VALU_DEP_1)
	v_wmma_f32_16x16x16_f16 v[76:83], v[9:16], v[116:123], v[76:83]
	v_wmma_f32_16x16x16_f16 v[76:83], v[17:24], v[49:56], v[76:83]
	s_delay_alu instid0(VALU_DEP_1) | instskip(NEXT) | instid1(VALU_DEP_1)
	v_wmma_f32_16x16x16_f16 v[76:83], v[25:32], v[41:48], v[76:83]
	v_wmma_f32_16x16x16_f16 v[76:83], v[57:64], v[33:40], v[76:83]
	s_delay_alu instid0(VALU_DEP_1) | instskip(NEXT) | instid1(VALU_DEP_2)
	v_cvt_f16_f32_e32 v1, v76
	v_cvt_f16_f32_e32 v2, v77
	s_delay_alu instid0(VALU_DEP_3) | instskip(NEXT) | instid1(VALU_DEP_4)
	v_cvt_f16_f32_e32 v3, v78
	v_cvt_f16_f32_e32 v4, v79
	;; [unrolled: 1-line block ×6, first 2 shown]
	v_pack_b32_f16 v1, v1, v2
	v_pack_b32_f16 v2, v3, v4
	;; [unrolled: 1-line block ×3, first 2 shown]
	s_delay_alu instid0(VALU_DEP_4)
	v_pack_b32_f16 v4, v7, v8
	ds_store_b128 v74, v[1:4]
	s_waitcnt lgkmcnt(0)
	s_barrier
	buffer_gl0_inv
	ds_load_b128 v[1:4], v75
	ds_load_b128 v[5:8], v75 offset:16
	s_waitcnt lgkmcnt(1)
	v_lshrrev_b32_e32 v9, 16, v1
	s_waitcnt lgkmcnt(0)
	v_lshrrev_b32_e32 v13, 16, v5
	v_lshrrev_b32_e32 v10, 16, v2
	;; [unrolled: 1-line block ×4, first 2 shown]
	v_cndmask_b32_e32 v17, v1, v9, vcc_lo
	v_cndmask_b32_e32 v18, v5, v13, vcc_lo
	v_cndmask_b32_e64 v21, v1, v9, s5
	v_cmp_eq_u32_e32 vcc_lo, 1, v71
	v_cndmask_b32_e64 v22, v5, v13, s5
	v_cmp_eq_u32_e64 s5, 2, v70
	v_cndmask_b32_e64 v19, v1, v9, s4
	v_cndmask_b32_e64 v20, v5, v13, s4
	v_cndmask_b32_e32 v1, v1, v9, vcc_lo
	v_cmp_eq_u32_e64 s4, 2, v71
	v_cndmask_b32_e32 v5, v5, v13, vcc_lo
	v_cndmask_b32_e64 v9, v17, v2, s5
	v_cmp_eq_u32_e32 vcc_lo, 3, v70
	v_cndmask_b32_e64 v13, v18, v6, s5
	v_cmp_eq_u32_e64 s5, 2, v69
	v_cndmask_b32_e64 v17, v19, v2, s6
	v_cndmask_b32_e64 v18, v20, v6, s6
	v_cmp_eq_u32_e64 s6, 3, v69
	v_cndmask_b32_e64 v1, v1, v2, s4
	v_cndmask_b32_e64 v19, v21, v2, s5
	;; [unrolled: 1-line block ×4, first 2 shown]
	v_cndmask_b32_e32 v5, v9, v10, vcc_lo
	v_cndmask_b32_e32 v6, v13, v14, vcc_lo
	v_cmp_eq_u32_e32 vcc_lo, 3, v71
	v_cndmask_b32_e64 v9, v17, v10, s7
	v_cndmask_b32_e64 v13, v18, v14, s7
	;; [unrolled: 1-line block ×3, first 2 shown]
	v_cmp_eq_u32_e64 s5, 4, v70
	v_cndmask_b32_e32 v1, v1, v10, vcc_lo
	v_cndmask_b32_e32 v2, v2, v14, vcc_lo
	v_cmp_eq_u32_e32 vcc_lo, 4, v72
	v_lshrrev_b32_e32 v15, 16, v7
	v_lshrrev_b32_e32 v16, 16, v8
	v_cndmask_b32_e64 v17, v19, v10, s6
	v_cmp_eq_u32_e64 s4, 4, v71
	v_cndmask_b32_e64 v5, v5, v3, s5
	v_cndmask_b32_e64 v6, v6, v7, s5
	v_cndmask_b32_e32 v9, v9, v3, vcc_lo
	v_cmp_eq_u32_e64 s5, 5, v72
	v_cndmask_b32_e32 v10, v13, v7, vcc_lo
	v_cmp_eq_u32_e32 vcc_lo, 4, v69
	v_cmp_eq_u32_e64 s6, 5, v70
	v_cndmask_b32_e64 v2, v2, v7, s4
	v_cndmask_b32_e64 v9, v9, v11, s5
	;; [unrolled: 1-line block ×3, first 2 shown]
	v_cndmask_b32_e32 v13, v17, v3, vcc_lo
	v_cmp_eq_u32_e64 s5, 5, v69
	v_cndmask_b32_e32 v14, v18, v7, vcc_lo
	v_cndmask_b32_e64 v1, v1, v3, s4
	v_cmp_eq_u32_e32 vcc_lo, 5, v71
	v_lshrrev_b32_e32 v12, 16, v4
	v_cndmask_b32_e64 v13, v13, v11, s5
	v_cndmask_b32_e64 v3, v14, v15, s5
	v_cmp_eq_u32_e64 s5, 6, v71
	v_cndmask_b32_e32 v1, v1, v11, vcc_lo
	v_cndmask_b32_e64 v5, v5, v11, s6
	v_cmp_eq_u32_e64 s7, 6, v70
	v_cndmask_b32_e64 v6, v6, v15, s6
	v_cmp_eq_u32_e64 s6, 6, v72
	v_cmp_eq_u32_e64 s4, 6, v69
	v_cndmask_b32_e64 v1, v1, v4, s5
	v_cndmask_b32_e32 v2, v2, v15, vcc_lo
	v_cmp_eq_u32_e32 vcc_lo, 7, v71
	v_cndmask_b32_e64 v5, v5, v4, s7
	v_cndmask_b32_e64 v9, v9, v4, s6
	v_cndmask_b32_e64 v6, v6, v8, s7
	v_cmp_eq_u32_e64 s7, 7, v70
	v_cndmask_b32_e32 v1, v1, v12, vcc_lo
	v_cndmask_b32_e64 v7, v13, v4, s4
	v_cndmask_b32_e64 v3, v3, v8, s4
	;; [unrolled: 1-line block ×3, first 2 shown]
	v_cmp_eq_u32_e64 s4, 7, v69
	v_cndmask_b32_e64 v4, v10, v8, s6
	v_cndmask_b32_e64 v5, v5, v12, s7
	;; [unrolled: 1-line block ×3, first 2 shown]
	v_cndmask_b32_e32 v2, v2, v16, vcc_lo
	v_cndmask_b32_e64 v7, v7, v12, s4
	v_cndmask_b32_e64 v3, v3, v16, s4
	;; [unrolled: 1-line block ×4, first 2 shown]
	v_cmp_gt_u32_e32 vcc_lo, 32, v0
	v_perm_b32 v4, v2, v1, 0x5040100
	v_perm_b32 v3, v3, v7, 0x5040100
	;; [unrolled: 1-line block ×4, first 2 shown]
	s_and_b32 s2, vcc_lo, s2
	ds_store_b128 v74, v[1:4]
	s_waitcnt lgkmcnt(0)
	s_barrier
	buffer_gl0_inv
	s_and_saveexec_b32 s4, s2
	s_cbranch_execz .LBB1124_2
; %bb.15:
	s_load_b64 s[4:5], s[0:1], 0x68
	v_lshlrev_b32_e32 v0, 10, v0
	v_add_nc_u32_e32 v2, s33, v66
	v_lshlrev_b32_e32 v3, 4, v67
	s_lshl_b32 s0, s36, 6
	s_delay_alu instid0(SALU_CYCLE_1) | instskip(NEXT) | instid1(VALU_DEP_2)
	s_mul_i32 s1, s0, s34
	v_mul_lo_u32 v1, v2, s0
	s_delay_alu instid0(VALU_DEP_2)
	v_and_or_b32 v0, 0x3800, v0, v3
	v_add_nc_u32_e32 v3, 2, v2
	s_mul_i32 s6, s1, s9
	v_add_nc_u32_e32 v4, 4, v2
	s_ashr_i32 s7, s6, 31
	v_lshl_or_b32 v11, v66, 6, v0
	s_lshl_b64 s[6:7], s[6:7], 1
	v_mul_lo_u32 v15, v3, s0
	v_mul_lo_u32 v17, v4, s0
	v_ashrrev_i32_e32 v2, 31, v1
	ds_load_b128 v[3:6], v11
	ds_load_b128 v[7:10], v11 offset:128
	ds_load_b128 v[11:14], v11 offset:256
	s_waitcnt lgkmcnt(0)
	s_add_u32 s1, s4, s6
	s_addc_u32 s2, s5, s7
	s_lshl_b32 s4, s14, 6
	v_ashrrev_i32_e32 v16, 31, v15
	s_ashr_i32 s5, s4, 31
	v_lshlrev_b64 v[19:20], 1, v[1:2]
	s_lshl_b64 s[4:5], s[4:5], 1
	v_ashrrev_i32_e32 v18, 31, v17
	s_add_u32 s1, s1, s4
	s_addc_u32 s2, s2, s5
	v_add_co_u32 v1, s1, s1, v65
	s_delay_alu instid0(VALU_DEP_1) | instskip(SKIP_1) | instid1(VALU_DEP_3)
	v_add_co_ci_u32_e64 v2, null, s2, 0, s1
	v_lshlrev_b64 v[15:16], 1, v[15:16]
	v_add_co_u32 v19, vcc_lo, v1, v19
	v_lshlrev_b64 v[17:18], 1, v[17:18]
	s_delay_alu instid0(VALU_DEP_4) | instskip(NEXT) | instid1(VALU_DEP_4)
	v_add_co_ci_u32_e32 v20, vcc_lo, v2, v20, vcc_lo
	v_add_co_u32 v15, vcc_lo, v1, v15
	v_add_co_ci_u32_e32 v16, vcc_lo, v2, v16, vcc_lo
	s_delay_alu instid0(VALU_DEP_4)
	v_add_co_u32 v17, vcc_lo, v1, v17
	v_add_co_ci_u32_e32 v18, vcc_lo, v2, v18, vcc_lo
	s_clause 0x2
	global_store_b128 v[19:20], v[3:6], off
	global_store_b128 v[15:16], v[7:10], off
	;; [unrolled: 1-line block ×3, first 2 shown]
	s_and_b32 exec_lo, exec_lo, s3
	s_cbranch_execz .LBB1124_2
; %bb.16:
	ds_load_b128 v[3:6], v0 offset:384
	s_add_i32 s1, s33, 6
	s_delay_alu instid0(SALU_CYCLE_1) | instskip(NEXT) | instid1(SALU_CYCLE_1)
	s_mul_i32 s0, s1, s0
	s_ashr_i32 s1, s0, 31
	s_delay_alu instid0(SALU_CYCLE_1) | instskip(NEXT) | instid1(SALU_CYCLE_1)
	s_lshl_b64 s[0:1], s[0:1], 1
	v_add_co_u32 v0, vcc_lo, v1, s0
	v_add_co_ci_u32_e32 v1, vcc_lo, s1, v2, vcc_lo
	s_waitcnt lgkmcnt(0)
	global_store_b128 v[0:1], v[3:6], off
	s_nop 0
	s_sendmsg sendmsg(MSG_DEALLOC_VGPRS)
	s_endpgm
	.section	.rodata,"a",@progbits
	.p2align	6, 0x0
	.amdhsa_kernel _Z39paged_attention_ll4mi_QKV_mfma16_kernelIDF16_hLN4vllm18Fp8KVCacheDataTypeE1EDF16_Li16ELi64ELi256ELb1ELi7EL8MFMAType0EEvPKT_PKT0_S8_ifPKiSA_SA_iPKfiiiPfSD_PS3_PT2_iSC_SC_
		.amdhsa_group_segment_fixed_size 17472
		.amdhsa_private_segment_fixed_size 0
		.amdhsa_kernarg_size 400
		.amdhsa_user_sgpr_count 13
		.amdhsa_user_sgpr_dispatch_ptr 0
		.amdhsa_user_sgpr_queue_ptr 0
		.amdhsa_user_sgpr_kernarg_segment_ptr 1
		.amdhsa_user_sgpr_dispatch_id 0
		.amdhsa_user_sgpr_private_segment_size 0
		.amdhsa_wavefront_size32 1
		.amdhsa_uses_dynamic_stack 0
		.amdhsa_enable_private_segment 0
		.amdhsa_system_sgpr_workgroup_id_x 1
		.amdhsa_system_sgpr_workgroup_id_y 1
		.amdhsa_system_sgpr_workgroup_id_z 1
		.amdhsa_system_sgpr_workgroup_info 0
		.amdhsa_system_vgpr_workitem_id 0
		.amdhsa_next_free_vgpr 146
		.amdhsa_next_free_sgpr 37
		.amdhsa_reserve_vcc 1
		.amdhsa_float_round_mode_32 0
		.amdhsa_float_round_mode_16_64 0
		.amdhsa_float_denorm_mode_32 3
		.amdhsa_float_denorm_mode_16_64 3
		.amdhsa_dx10_clamp 1
		.amdhsa_ieee_mode 1
		.amdhsa_fp16_overflow 0
		.amdhsa_workgroup_processor_mode 1
		.amdhsa_memory_ordered 1
		.amdhsa_forward_progress 0
		.amdhsa_shared_vgpr_count 0
		.amdhsa_exception_fp_ieee_invalid_op 0
		.amdhsa_exception_fp_denorm_src 0
		.amdhsa_exception_fp_ieee_div_zero 0
		.amdhsa_exception_fp_ieee_overflow 0
		.amdhsa_exception_fp_ieee_underflow 0
		.amdhsa_exception_fp_ieee_inexact 0
		.amdhsa_exception_int_div_zero 0
	.end_amdhsa_kernel
	.section	.text._Z39paged_attention_ll4mi_QKV_mfma16_kernelIDF16_hLN4vllm18Fp8KVCacheDataTypeE1EDF16_Li16ELi64ELi256ELb1ELi7EL8MFMAType0EEvPKT_PKT0_S8_ifPKiSA_SA_iPKfiiiPfSD_PS3_PT2_iSC_SC_,"axG",@progbits,_Z39paged_attention_ll4mi_QKV_mfma16_kernelIDF16_hLN4vllm18Fp8KVCacheDataTypeE1EDF16_Li16ELi64ELi256ELb1ELi7EL8MFMAType0EEvPKT_PKT0_S8_ifPKiSA_SA_iPKfiiiPfSD_PS3_PT2_iSC_SC_,comdat
.Lfunc_end1124:
	.size	_Z39paged_attention_ll4mi_QKV_mfma16_kernelIDF16_hLN4vllm18Fp8KVCacheDataTypeE1EDF16_Li16ELi64ELi256ELb1ELi7EL8MFMAType0EEvPKT_PKT0_S8_ifPKiSA_SA_iPKfiiiPfSD_PS3_PT2_iSC_SC_, .Lfunc_end1124-_Z39paged_attention_ll4mi_QKV_mfma16_kernelIDF16_hLN4vllm18Fp8KVCacheDataTypeE1EDF16_Li16ELi64ELi256ELb1ELi7EL8MFMAType0EEvPKT_PKT0_S8_ifPKiSA_SA_iPKfiiiPfSD_PS3_PT2_iSC_SC_
                                        ; -- End function
	.section	.AMDGPU.csdata,"",@progbits
; Kernel info:
; codeLenInByte = 6532
; NumSgprs: 39
; NumVgprs: 146
; ScratchSize: 0
; MemoryBound: 0
; FloatMode: 240
; IeeeMode: 1
; LDSByteSize: 17472 bytes/workgroup (compile time only)
; SGPRBlocks: 4
; VGPRBlocks: 18
; NumSGPRsForWavesPerEU: 39
; NumVGPRsForWavesPerEU: 146
; Occupancy: 9
; WaveLimiterHint : 1
; COMPUTE_PGM_RSRC2:SCRATCH_EN: 0
; COMPUTE_PGM_RSRC2:USER_SGPR: 13
; COMPUTE_PGM_RSRC2:TRAP_HANDLER: 0
; COMPUTE_PGM_RSRC2:TGID_X_EN: 1
; COMPUTE_PGM_RSRC2:TGID_Y_EN: 1
; COMPUTE_PGM_RSRC2:TGID_Z_EN: 1
; COMPUTE_PGM_RSRC2:TIDIG_COMP_CNT: 0
	.section	.text._Z39paged_attention_ll4mi_QKV_mfma16_kernelIDF16_hLN4vllm18Fp8KVCacheDataTypeE1EDF16_Li16ELi64ELi256ELb1ELi8EL8MFMAType0EEvPKT_PKT0_S8_ifPKiSA_SA_iPKfiiiPfSD_PS3_PT2_iSC_SC_,"axG",@progbits,_Z39paged_attention_ll4mi_QKV_mfma16_kernelIDF16_hLN4vllm18Fp8KVCacheDataTypeE1EDF16_Li16ELi64ELi256ELb1ELi8EL8MFMAType0EEvPKT_PKT0_S8_ifPKiSA_SA_iPKfiiiPfSD_PS3_PT2_iSC_SC_,comdat
	.protected	_Z39paged_attention_ll4mi_QKV_mfma16_kernelIDF16_hLN4vllm18Fp8KVCacheDataTypeE1EDF16_Li16ELi64ELi256ELb1ELi8EL8MFMAType0EEvPKT_PKT0_S8_ifPKiSA_SA_iPKfiiiPfSD_PS3_PT2_iSC_SC_ ; -- Begin function _Z39paged_attention_ll4mi_QKV_mfma16_kernelIDF16_hLN4vllm18Fp8KVCacheDataTypeE1EDF16_Li16ELi64ELi256ELb1ELi8EL8MFMAType0EEvPKT_PKT0_S8_ifPKiSA_SA_iPKfiiiPfSD_PS3_PT2_iSC_SC_
	.globl	_Z39paged_attention_ll4mi_QKV_mfma16_kernelIDF16_hLN4vllm18Fp8KVCacheDataTypeE1EDF16_Li16ELi64ELi256ELb1ELi8EL8MFMAType0EEvPKT_PKT0_S8_ifPKiSA_SA_iPKfiiiPfSD_PS3_PT2_iSC_SC_
	.p2align	8
	.type	_Z39paged_attention_ll4mi_QKV_mfma16_kernelIDF16_hLN4vllm18Fp8KVCacheDataTypeE1EDF16_Li16ELi64ELi256ELb1ELi8EL8MFMAType0EEvPKT_PKT0_S8_ifPKiSA_SA_iPKfiiiPfSD_PS3_PT2_iSC_SC_,@function
_Z39paged_attention_ll4mi_QKV_mfma16_kernelIDF16_hLN4vllm18Fp8KVCacheDataTypeE1EDF16_Li16ELi64ELi256ELb1ELi8EL8MFMAType0EEvPKT_PKT0_S8_ifPKiSA_SA_iPKfiiiPfSD_PS3_PT2_iSC_SC_: ; @_Z39paged_attention_ll4mi_QKV_mfma16_kernelIDF16_hLN4vllm18Fp8KVCacheDataTypeE1EDF16_Li16ELi64ELi256ELb1ELi8EL8MFMAType0EEvPKT_PKT0_S8_ifPKiSA_SA_iPKfiiiPfSD_PS3_PT2_iSC_SC_
; %bb.0:
	s_load_b64 s[2:3], s[0:1], 0x30
	s_mov_b32 s34, s13
	s_waitcnt lgkmcnt(0)
	s_cmp_lg_u64 s[2:3], 0
	s_cselect_b32 s8, -1, 0
	s_ashr_i32 s35, s13, 31
	s_cmp_eq_u64 s[2:3], 0
	s_cbranch_scc1 .LBB1125_3
; %bb.1:
	s_lshl_b64 s[4:5], s[34:35], 2
	s_delay_alu instid0(SALU_CYCLE_1) | instskip(SKIP_4) | instid1(SALU_CYCLE_1)
	s_add_u32 s4, s2, s4
	s_addc_u32 s5, s3, s5
	s_load_b64 s[4:5], s[4:5], 0x0
	s_waitcnt lgkmcnt(0)
	s_sub_i32 s4, s5, s4
	s_cmp_eq_u32 s4, 1
	s_cselect_b32 s4, -1, 0
	s_delay_alu instid0(SALU_CYCLE_1)
	s_and_not1_b32 vcc_lo, exec_lo, s4
	s_cbranch_vccz .LBB1125_4
.LBB1125_2:
	s_endpgm
.LBB1125_3:
.LBB1125_4:
	s_load_b64 s[4:5], s[0:1], 0x28
	s_lshl_b64 s[6:7], s[34:35], 2
	s_waitcnt lgkmcnt(0)
	s_add_u32 s4, s4, s6
	s_addc_u32 s5, s5, s7
	s_lshl_b32 s12, s14, 8
	s_load_b32 s24, s[4:5], 0x0
	s_waitcnt lgkmcnt(0)
	s_cmp_ge_i32 s12, s24
	s_cbranch_scc1 .LBB1125_2
; %bb.5:
	s_clause 0x1
	s_load_b128 s[20:23], s[0:1], 0x8
	s_load_b64 s[4:5], s[0:1], 0x20
	s_and_not1_b32 vcc_lo, exec_lo, s8
	s_cbranch_vccnz .LBB1125_7
; %bb.6:
	s_add_u32 s2, s2, s6
	s_addc_u32 s3, s3, s7
	s_load_b32 s3, s[2:3], 0x0
	s_branch .LBB1125_8
.LBB1125_7:
	s_mov_b32 s3, s34
.LBB1125_8:
	s_load_b128 s[16:19], s[0:1], 0x48
	v_and_b32_e32 v69, 15, v0
	v_cmp_gt_u32_e32 vcc_lo, 0x80, v0
	v_lshrrev_b32_e32 v68, 5, v0
	v_and_b32_e32 v70, 31, v0
	v_and_b32_e32 v66, 1, v0
	v_lshlrev_b32_e32 v1, 3, v69
	v_cmp_gt_u32_e64 s2, 8, v69
	v_bfe_u32 v67, v0, 4, 1
	s_lshl_b32 s31, s15, 3
	s_delay_alu instid0(VALU_DEP_3) | instskip(NEXT) | instid1(VALU_DEP_3)
	v_lshlrev_b32_e32 v65, 1, v1
	s_and_b32 s7, vcc_lo, s2
	s_delay_alu instid0(SALU_CYCLE_1)
	s_and_saveexec_b32 s6, s7
	s_cbranch_execz .LBB1125_10
; %bb.9:
	v_lshl_or_b32 v5, v68, 1, v67
	s_load_b64 s[8:9], s[0:1], 0x0
	s_waitcnt lgkmcnt(0)
	s_mul_hi_i32 s11, s3, s16
	s_mul_i32 s10, s3, s16
	v_lshlrev_b32_e32 v6, 10, v69
	v_or_b32_e32 v1, s31, v5
	s_lshl_b64 s[10:11], s[10:11], 1
	v_lshlrev_b32_e32 v5, 6, v5
	v_lshlrev_b32_e32 v7, 10, v66
	v_and_b32_e32 v6, 0x3800, v6
	v_lshlrev_b32_e32 v1, 6, v1
	s_delay_alu instid0(VALU_DEP_2) | instskip(NEXT) | instid1(VALU_DEP_2)
	v_or3_b32 v5, v6, v7, v5
	v_ashrrev_i32_e32 v2, 31, v1
	s_delay_alu instid0(VALU_DEP_1) | instskip(SKIP_2) | instid1(VALU_DEP_1)
	v_lshlrev_b64 v[1:2], 1, v[1:2]
	s_add_u32 s3, s8, s10
	s_addc_u32 s7, s9, s11
	v_add_co_u32 v1, vcc_lo, s3, v1
	s_delay_alu instid0(VALU_DEP_2) | instskip(NEXT) | instid1(VALU_DEP_2)
	v_add_co_ci_u32_e32 v2, vcc_lo, s7, v2, vcc_lo
	v_add_co_u32 v1, vcc_lo, v1, v65
	s_delay_alu instid0(VALU_DEP_2)
	v_add_co_ci_u32_e32 v2, vcc_lo, 0, v2, vcc_lo
	global_load_b128 v[1:4], v[1:2], off
	s_waitcnt vmcnt(0)
	ds_store_b128 v5, v[1:4]
.LBB1125_10:
	s_or_b32 exec_lo, exec_lo, s6
	v_and_b32_e32 v1, 0xef, v0
	s_waitcnt lgkmcnt(0)
	s_add_i32 s3, s24, 15
	s_clause 0x1
	s_load_b32 s6, s[0:1], 0x38
	s_load_b32 s33, s[0:1], 0x98
	s_ashr_i32 s7, s3, 31
	v_add_nc_u32_e32 v1, s12, v1
	s_lshr_b32 s7, s7, 28
	s_load_b32 s19, s[0:1], 0x1c
	s_add_i32 s3, s3, s7
	s_waitcnt lgkmcnt(0)
	v_ashrrev_i32_e32 v2, 31, v1
	v_or_b32_e32 v3, 16, v1
	s_ashr_i32 s3, s3, 4
	v_cmp_gt_i32_e32 vcc_lo, s24, v1
	s_add_i32 s3, s3, -1
	v_lshrrev_b32_e32 v2, 28, v2
	s_barrier
	buffer_gl0_inv
	s_mul_i32 s27, s15, s18
	v_add_nc_u32_e32 v4, v1, v2
	s_mul_i32 s6, s34, s6
	s_delay_alu instid0(SALU_CYCLE_1) | instskip(NEXT) | instid1(VALU_DEP_1)
	s_ashr_i32 s7, s6, 31
	v_ashrrev_i32_e32 v4, 4, v4
	v_add_nc_u32_e32 v2, v3, v2
	s_lshl_b64 s[6:7], s[6:7], 2
	s_delay_alu instid0(SALU_CYCLE_1) | instskip(NEXT) | instid1(VALU_DEP_2)
	s_add_u32 s26, s4, s6
	v_cndmask_b32_e32 v1, s3, v4, vcc_lo
	s_delay_alu instid0(VALU_DEP_2)
	v_ashrrev_i32_e32 v2, 4, v2
	v_cmp_gt_i32_e32 vcc_lo, s24, v3
	s_addc_u32 s25, s5, s7
	s_ashr_i32 s28, s27, 31
	s_add_u32 s13, s20, s27
	s_addc_u32 s15, s21, s28
	v_cndmask_b32_e32 v3, s3, v2, vcc_lo
	v_ashrrev_i32_e32 v2, 31, v1
	s_lshl_b32 s4, s14, 4
	s_delay_alu instid0(SALU_CYCLE_1) | instskip(NEXT) | instid1(VALU_DEP_2)
	s_ashr_i32 s5, s4, 31
	v_ashrrev_i32_e32 v4, 31, v3
	s_delay_alu instid0(VALU_DEP_2) | instskip(SKIP_1) | instid1(SALU_CYCLE_1)
	v_lshlrev_b64 v[1:2], 2, v[1:2]
	s_lshl_b64 s[4:5], s[4:5], 2
	s_add_u32 s4, s26, s4
	s_delay_alu instid0(VALU_DEP_2) | instskip(SKIP_1) | instid1(VALU_DEP_2)
	v_lshlrev_b64 v[3:4], 2, v[3:4]
	s_addc_u32 s5, s25, s5
	v_add_co_u32 v1, vcc_lo, s26, v1
	v_add_co_ci_u32_e32 v2, vcc_lo, s25, v2, vcc_lo
	s_delay_alu instid0(VALU_DEP_3) | instskip(NEXT) | instid1(VALU_DEP_4)
	v_add_co_u32 v3, vcc_lo, s26, v3
	v_add_co_ci_u32_e32 v4, vcc_lo, s25, v4, vcc_lo
	s_clause 0x1
	global_load_b32 v5, v[1:2], off
	global_load_b32 v7, v[3:4], off
	s_or_b32 s6, s12, 32
	v_lshlrev_b32_e32 v1, 4, v0
	s_ashr_i32 s7, s6, 4
	s_cmp_lt_i32 s6, s24
	s_cselect_b32 s6, s7, s3
	s_delay_alu instid0(VALU_DEP_1) | instskip(SKIP_1) | instid1(SALU_CYCLE_1)
	v_and_b32_e32 v1, 0xf0, v1
	s_ashr_i32 s7, s6, 31
	s_lshl_b64 s[6:7], s[6:7], 2
	s_delay_alu instid0(SALU_CYCLE_1)
	s_add_u32 s6, s26, s6
	s_addc_u32 s7, s25, s7
	s_or_b32 s8, s12, 64
	v_add_co_u32 v1, s13, s13, v1
	s_ashr_i32 s9, s8, 4
	s_cmp_lt_i32 s8, s24
	v_add_co_ci_u32_e64 v2, null, s15, 0, s13
	s_cselect_b32 s8, s9, s3
	s_delay_alu instid0(SALU_CYCLE_1) | instskip(NEXT) | instid1(SALU_CYCLE_1)
	s_ashr_i32 s9, s8, 31
	s_lshl_b64 s[8:9], s[8:9], 2
	s_delay_alu instid0(SALU_CYCLE_1) | instskip(SKIP_2) | instid1(SALU_CYCLE_1)
	s_add_u32 s8, s26, s8
	s_addc_u32 s9, s25, s9
	s_or_b32 s10, s12, 0x60
	s_ashr_i32 s11, s10, 4
	s_cmp_lt_i32 s10, s24
	s_cselect_b32 s10, s11, s3
	s_delay_alu instid0(SALU_CYCLE_1) | instskip(NEXT) | instid1(SALU_CYCLE_1)
	s_ashr_i32 s11, s10, 31
	s_lshl_b64 s[10:11], s[10:11], 2
	s_delay_alu instid0(SALU_CYCLE_1) | instskip(SKIP_2) | instid1(SALU_CYCLE_1)
	s_add_u32 s10, s26, s10
	s_addc_u32 s11, s25, s11
	s_or_b32 s16, s12, 0x80
	s_ashr_i32 s18, s16, 4
	s_cmp_lt_i32 s16, s24
	;; [unrolled: 10-line block ×3, first 2 shown]
	s_cselect_b32 s20, s18, s3
	s_delay_alu instid0(SALU_CYCLE_1) | instskip(NEXT) | instid1(SALU_CYCLE_1)
	s_ashr_i32 s21, s20, 31
	s_lshl_b64 s[20:21], s[20:21], 2
	s_delay_alu instid0(SALU_CYCLE_1)
	s_add_u32 s38, s26, s20
	s_addc_u32 s39, s25, s21
	s_clause 0x5
	s_load_b32 s21, s[4:5], 0x0
	s_load_b32 s13, s[6:7], 0x0
	;; [unrolled: 1-line block ×6, first 2 shown]
	s_or_b32 s7, s12, 0xc0
	s_mov_b32 s4, 0
	s_ashr_i32 s8, s7, 4
	s_cmp_lt_i32 s7, s24
	s_mov_b32 s5, s4
	s_cselect_b32 s10, s8, s3
	s_mov_b32 s6, s4
	s_ashr_i32 s11, s10, 31
	s_mov_b32 s7, s4
	s_lshl_b64 s[36:37], s[10:11], 2
	s_mov_b32 s11, s4
	s_add_u32 s36, s26, s36
	s_addc_u32 s37, s25, s37
	s_or_b32 s29, s12, 0xe0
	s_mov_b32 s8, s4
	s_ashr_i32 s30, s29, 4
	s_mov_b32 s9, s4
	s_mov_b32 s10, s4
	s_cmp_lt_i32 s29, s24
	v_mov_b32_e32 v102, s11
	v_dual_mov_b32 v96, s5 :: v_dual_mov_b32 v101, s10
	v_dual_mov_b32 v100, s9 :: v_dual_mov_b32 v99, s8
	;; [unrolled: 1-line block ×3, first 2 shown]
	v_mov_b32_e32 v95, s4
	s_cselect_b32 s4, s30, s3
	s_delay_alu instid0(SALU_CYCLE_1) | instskip(NEXT) | instid1(SALU_CYCLE_1)
	s_ashr_i32 s5, s4, 31
	s_lshl_b64 s[4:5], s[4:5], 2
	s_delay_alu instid0(SALU_CYCLE_1)
	s_add_u32 s4, s26, s4
	s_addc_u32 s5, s25, s5
	s_add_u32 s6, s22, s27
	s_addc_u32 s7, s23, s28
	s_waitcnt vmcnt(1)
	v_mad_i64_i32 v[3:4], null, v5, s17, v[1:2]
	s_waitcnt vmcnt(0)
	v_mad_i64_i32 v[5:6], null, v7, s17, v[1:2]
	v_and_b32_e32 v1, 7, v0
	v_lshlrev_b32_e32 v2, 4, v69
	s_clause 0x7
	global_load_b128 v[57:60], v[3:4], off
	global_load_b128 v[61:64], v[3:4], off offset:256
	global_load_b128 v[71:74], v[5:6], off
	global_load_b128 v[75:78], v[5:6], off offset:256
	global_load_b128 v[79:82], v[3:4], off offset:512
	;; [unrolled: 1-line block ×5, first 2 shown]
	v_lshlrev_b32_e32 v121, 6, v1
	v_lshl_or_b32 v1, v68, 8, v2
	s_load_b32 s3, s[36:37], 0x0
	ds_load_b128 v[103:106], v121
	ds_load_b128 v[107:110], v121 offset:1024
	s_load_b32 s4, s[4:5], 0x0
	v_add_co_u32 v17, s6, s6, v1
	s_delay_alu instid0(VALU_DEP_1) | instskip(SKIP_1) | instid1(VALU_DEP_1)
	v_add_co_ci_u32_e64 v18, null, s7, 0, s6
	s_waitcnt lgkmcnt(0)
	v_mad_i64_i32 v[1:2], null, s21, s17, v[17:18]
	v_mad_i64_i32 v[3:4], null, s13, s17, v[17:18]
	;; [unrolled: 1-line block ×7, first 2 shown]
	s_clause 0x9
	global_load_b128 v[49:52], v[1:2], off
	global_load_b128 v[53:56], v[1:2], off offset:16
	global_load_b128 v[41:44], v[3:4], off
	global_load_b128 v[45:48], v[3:4], off offset:16
	global_load_b128 v[33:36], v[5:6], off
	global_load_b128 v[37:40], v[5:6], off offset:16
	global_load_b128 v[1:4], v[7:8], off
	global_load_b128 v[5:8], v[7:8], off offset:16
	global_load_b128 v[9:12], v[13:14], off
	global_load_b128 v[13:16], v[13:14], off offset:16
	v_mad_i64_i32 v[119:120], null, s4, s17, v[17:18]
	s_clause 0x3
	global_load_b128 v[17:20], v[21:22], off
	global_load_b128 v[21:24], v[21:22], off offset:16
	global_load_b128 v[25:28], v[29:30], off
	global_load_b128 v[29:32], v[29:30], off offset:16
	s_waitcnt vmcnt(20)
	v_wmma_f32_16x16x16_f16 v[111:118], v[57:64], v[103:110], v[95:102]
	s_clause 0x1
	global_load_b128 v[57:60], v[119:120], off
	global_load_b128 v[61:64], v[119:120], off offset:16
	s_waitcnt vmcnt(20)
	v_wmma_f32_16x16x16_f16 v[95:102], v[71:78], v[103:110], v[95:102]
	ds_load_b128 v[71:74], v121 offset:2048
	ds_load_b128 v[75:78], v121 offset:3072
	v_mbcnt_lo_u32_b32 v104, -1, 0
	s_waitcnt vmcnt(0) lgkmcnt(0)
	s_barrier
	buffer_gl0_inv
	v_xor_b32_e32 v105, 16, v104
	s_delay_alu instid0(VALU_DEP_1) | instskip(SKIP_4) | instid1(VALU_DEP_2)
	v_cmp_gt_i32_e32 vcc_lo, 32, v105
	v_cndmask_b32_e32 v104, v104, v105, vcc_lo
	v_wmma_f32_16x16x16_f16 v[95:102], v[87:94], v[71:78], v[95:102]
	v_and_b32_e32 v103, 0xe0, v0
	v_wmma_f32_16x16x16_f16 v[111:118], v[79:86], v[71:78], v[111:118]
	v_dual_mul_f32 v90, s19, v101 :: v_dual_add_nc_u32 v103, s12, v103
	s_delay_alu instid0(VALU_DEP_2) | instskip(NEXT) | instid1(VALU_DEP_3)
	v_dual_mul_f32 v94, s19, v97 :: v_dual_mul_f32 v87, s19, v112
	v_dual_mul_f32 v88, s19, v111 :: v_dual_mul_f32 v77, s19, v114
	s_delay_alu instid0(VALU_DEP_3) | instskip(SKIP_3) | instid1(VALU_DEP_4)
	v_or_b32_e32 v103, v103, v67
	v_dual_mul_f32 v78, s19, v113 :: v_dual_mul_f32 v75, s19, v116
	v_dual_mul_f32 v76, s19, v115 :: v_dual_mul_f32 v73, s19, v118
	v_mul_f32_e32 v92, s19, v99
	v_or_b32_e32 v105, 2, v103
	v_or_b32_e32 v106, 4, v103
	;; [unrolled: 1-line block ×3, first 2 shown]
	v_cmp_gt_i32_e64 s3, s24, v103
	v_or_b32_e32 v108, 8, v103
	v_cmp_gt_i32_e32 vcc_lo, s24, v105
	v_or_b32_e32 v109, 10, v103
	v_cmp_gt_i32_e64 s4, s24, v106
	v_cndmask_b32_e64 v88, 0xff7fffff, v88, s3
	v_cmp_gt_i32_e64 s5, s24, v107
	v_cndmask_b32_e32 v87, 0xff7fffff, v87, vcc_lo
	v_or_b32_e32 v79, 12, v103
	v_or_b32_e32 v80, 14, v103
	v_cndmask_b32_e64 v78, 0xff7fffff, v78, s4
	v_cndmask_b32_e64 v77, 0xff7fffff, v77, s5
	v_max3_f32 v87, v88, 0xff7fffff, v87
	v_cmp_gt_i32_e64 s6, s24, v108
	v_cmp_gt_i32_e64 s7, s24, v109
	v_or_b32_e32 v81, 16, v103
	v_or_b32_e32 v82, 18, v103
	v_mul_f32_e32 v74, s19, v117
	v_cndmask_b32_e64 v76, 0xff7fffff, v76, s6
	v_cndmask_b32_e64 v75, 0xff7fffff, v75, s7
	v_max3_f32 v77, v87, v78, v77
	v_cmp_gt_i32_e64 s8, s24, v79
	v_cmp_gt_i32_e64 s9, s24, v80
	v_or_b32_e32 v83, 20, v103
	v_or_b32_e32 v84, 22, v103
	;; [unrolled: 1-line block ×6, first 2 shown]
	v_mul_f32_e32 v105, s19, v96
	v_mul_f32_e32 v103, s19, v95
	v_cndmask_b32_e64 v74, 0xff7fffff, v74, s8
	v_cndmask_b32_e64 v73, 0xff7fffff, v73, s9
	v_max3_f32 v75, v77, v76, v75
	v_cmp_gt_i32_e64 s10, s24, v81
	v_cmp_gt_i32_e64 s11, s24, v82
	v_mul_f32_e32 v93, s19, v98
	v_cmp_gt_i32_e64 s12, s24, v83
	v_max3_f32 v73, v75, v74, v73
	v_cndmask_b32_e64 v76, 0xff7fffff, v103, s10
	v_cndmask_b32_e64 v77, 0xff7fffff, v105, s11
	v_cmp_gt_i32_e64 s13, s24, v84
	v_mul_f32_e32 v91, s19, v100
	v_cndmask_b32_e64 v74, 0xff7fffff, v94, s12
	v_cmp_gt_i32_e64 s15, s24, v85
	v_max3_f32 v73, v73, v76, v77
	v_cndmask_b32_e64 v75, 0xff7fffff, v93, s13
	v_cmp_gt_i32_e64 s16, s24, v86
	v_mul_f32_e32 v89, s19, v102
	v_cndmask_b32_e64 v76, 0xff7fffff, v92, s15
	v_cmp_gt_i32_e64 s17, s24, v71
	v_max3_f32 v73, v73, v74, v75
	v_cndmask_b32_e64 v77, 0xff7fffff, v91, s16
	v_cmp_gt_i32_e64 s18, s24, v72
	v_lshlrev_b32_e32 v74, 2, v104
	v_cndmask_b32_e64 v71, 0xff7fffff, v90, s17
	s_delay_alu instid0(VALU_DEP_4) | instskip(NEXT) | instid1(VALU_DEP_4)
	v_max3_f32 v73, v73, v76, v77
	v_cndmask_b32_e64 v72, 0xff7fffff, v89, s18
	s_delay_alu instid0(VALU_DEP_1) | instskip(SKIP_3) | instid1(VALU_DEP_1)
	v_max3_f32 v71, v73, v71, v72
	ds_bpermute_b32 v72, v74, v71
	s_waitcnt lgkmcnt(0)
	v_max_f32_e32 v72, v72, v72
	v_max_f32_e32 v71, v71, v72
	s_delay_alu instid0(VALU_DEP_1)
	v_fma_f32 v72, s19, v111, -v71
	v_fma_f32 v76, s19, v114, -v71
	;; [unrolled: 1-line block ×5, first 2 shown]
	v_mul_f32_e32 v72, 0x3fb8aa3b, v72
	v_mul_f32_e32 v76, 0x3fb8aa3b, v76
	v_fma_f32 v75, s19, v113, -v71
	v_mul_f32_e32 v79, 0x3fb8aa3b, v77
	v_mul_f32_e32 v87, 0x3fb8aa3b, v86
	v_exp_f32_e32 v72, v72
	v_exp_f32_e32 v76, v76
	v_fma_f32 v81, s19, v117, -v71
	v_exp_f32_e32 v82, v79
	v_exp_f32_e32 v87, v87
	v_fma_f32 v84, s19, v96, -v71
	s_delay_alu instid0(VALU_DEP_2) | instskip(SKIP_3) | instid1(TRANS32_DEP_3)
	v_mul_f32_e32 v81, 0x3fb8aa3b, v81
	v_cndmask_b32_e64 v78, 0, v72, s3
	v_fma_f32 v72, s19, v116, -v71
	v_mul_f32_e32 v73, 0x3fb8aa3b, v73
	v_cndmask_b32_e64 v79, 0, v76, s5
	v_fma_f32 v76, s19, v95, -v71
	s_delay_alu instid0(VALU_DEP_4) | instskip(NEXT) | instid1(VALU_DEP_4)
	v_dual_mul_f32 v75, 0x3fb8aa3b, v75 :: v_dual_mul_f32 v72, 0x3fb8aa3b, v72
	v_exp_f32_e32 v73, v73
	v_cndmask_b32_e64 v87, 0, v87, s13
	s_delay_alu instid0(VALU_DEP_3) | instskip(NEXT) | instid1(VALU_DEP_3)
	v_mul_f32_e32 v76, 0x3fb8aa3b, v76
	v_exp_f32_e32 v75, v75
	v_exp_f32_e32 v72, v72
	;; [unrolled: 1-line block ×3, first 2 shown]
	v_cndmask_b32_e64 v82, 0, v82, s6
	v_mul_f32_e32 v85, 0x3fb8aa3b, v84
	v_exp_f32_e32 v76, v76
	s_mov_b32 s3, exec_lo
	v_cndmask_b32_e32 v77, 0, v73, vcc_lo
	v_add_f32_e32 v73, 0, v78
	v_exp_f32_e32 v85, v85
	v_cndmask_b32_e64 v80, 0, v75, s4
	v_fma_f32 v75, s19, v118, -v71
	v_cndmask_b32_e64 v81, 0, v72, s7
	v_add_f32_e32 v73, v73, v77
	v_cndmask_b32_e64 v84, 0, v83, s8
	v_cndmask_b32_e64 v86, 0, v76, s10
	v_mul_f32_e32 v75, 0x3fb8aa3b, v75
	s_delay_alu instid0(VALU_DEP_4) | instskip(NEXT) | instid1(TRANS32_DEP_1)
	v_add_f32_e32 v73, v73, v80
	v_cndmask_b32_e64 v85, 0, v85, s11
	s_delay_alu instid0(VALU_DEP_3) | instskip(NEXT) | instid1(VALU_DEP_2)
	v_exp_f32_e32 v75, v75
	v_add_f32_e32 v73, v73, v79
	s_delay_alu instid0(VALU_DEP_1) | instskip(SKIP_3) | instid1(VALU_DEP_1)
	v_add_f32_e32 v72, v73, v82
	s_waitcnt_depctr 0xfff
	v_cndmask_b32_e64 v83, 0, v75, s9
	v_add_f32_e32 v72, v72, v81
	v_add_f32_e32 v72, v72, v84
	s_delay_alu instid0(VALU_DEP_1) | instskip(NEXT) | instid1(VALU_DEP_1)
	v_add_f32_e32 v72, v72, v83
	v_add_f32_e32 v72, v72, v86
	s_delay_alu instid0(VALU_DEP_1) | instskip(SKIP_4) | instid1(VALU_DEP_4)
	v_add_f32_e32 v72, v72, v85
	v_fma_f32 v73, s19, v97, -v71
	v_fma_f32 v75, s19, v99, -v71
	v_fma_f32 v76, s19, v100, -v71
	v_fma_f32 v89, s19, v101, -v71
	v_mul_f32_e32 v73, 0x3fb8aa3b, v73
	s_delay_alu instid0(VALU_DEP_3) | instskip(NEXT) | instid1(VALU_DEP_2)
	v_dual_mul_f32 v75, 0x3fb8aa3b, v75 :: v_dual_mul_f32 v76, 0x3fb8aa3b, v76
	v_exp_f32_e32 v73, v73
	s_delay_alu instid0(VALU_DEP_1) | instskip(NEXT) | instid1(VALU_DEP_1)
	v_exp_f32_e32 v75, v75
	v_exp_f32_e32 v76, v76
	s_delay_alu instid0(TRANS32_DEP_3)
	v_cndmask_b32_e64 v88, 0, v73, s12
	v_mul_f32_e32 v73, 0x3fb8aa3b, v89
	v_fma_f32 v89, s19, v102, -v71
	s_waitcnt_depctr 0xfff
	v_cndmask_b32_e64 v90, 0, v75, s15
	v_add_f32_e32 v72, v72, v88
	v_exp_f32_e32 v73, v73
	v_mul_f32_e32 v75, 0x3fb8aa3b, v89
	v_cndmask_b32_e64 v89, 0, v76, s16
	s_delay_alu instid0(VALU_DEP_3) | instskip(NEXT) | instid1(VALU_DEP_3)
	v_add_f32_e32 v72, v72, v87
	v_exp_f32_e32 v75, v75
	s_delay_alu instid0(VALU_DEP_1) | instskip(SKIP_4) | instid1(VALU_DEP_2)
	v_add_f32_e32 v72, v72, v90
	s_waitcnt_depctr 0xfff
	v_cndmask_b32_e64 v92, 0, v73, s17
	v_add_f32_e32 v72, v72, v89
	v_cndmask_b32_e64 v91, 0, v75, s18
	v_add_f32_e32 v72, v72, v92
	s_delay_alu instid0(VALU_DEP_1)
	v_add_f32_e32 v72, v72, v91
	ds_bpermute_b32 v73, v74, v72
	v_cmpx_gt_u32_e32 16, v70
	s_cbranch_execz .LBB1125_12
; %bb.11:
	v_mul_u32_u24_e32 v70, 0x44, v68
	s_waitcnt lgkmcnt(0)
	v_add_f32_e32 v72, v72, v73
	s_delay_alu instid0(VALU_DEP_2) | instskip(NEXT) | instid1(VALU_DEP_1)
	v_lshl_add_u32 v70, v69, 2, v70
	v_add_nc_u32_e32 v70, 0x4000, v70
	ds_store_2addr_b32 v70, v71, v72 offset1:136
.LBB1125_12:
	s_or_b32 exec_lo, exec_lo, s3
	v_lshlrev_b32_e32 v70, 2, v69
	s_load_b32 s35, s[0:1], 0x94
	s_waitcnt lgkmcnt(0)
	s_barrier
	buffer_gl0_inv
	v_add_nc_u32_e32 v74, 0x4000, v70
	v_cmp_eq_u32_e32 vcc_lo, 1, v68
	v_cmp_eq_u32_e64 s3, 2, v68
	v_cmp_eq_u32_e64 s4, 3, v68
	;; [unrolled: 1-line block ×3, first 2 shown]
	ds_load_2addr_b32 v[70:71], v74 offset1:17
	ds_load_2addr_b32 v[72:73], v74 offset0:34 offset1:51
	ds_load_2addr_b32 v[93:94], v74 offset0:68 offset1:85
	ds_load_2addr_b32 v[95:96], v74 offset0:102 offset1:119
	v_cmp_eq_u32_e64 s6, 5, v68
	v_cmp_eq_u32_e64 s7, 7, v68
	s_waitcnt lgkmcnt(3)
	v_max3_f32 v75, v70, 0xff7fffff, v71
	s_waitcnt lgkmcnt(2)
	s_delay_alu instid0(VALU_DEP_1) | instskip(SKIP_1) | instid1(VALU_DEP_1)
	v_max3_f32 v75, v75, v72, v73
	s_waitcnt lgkmcnt(1)
	v_max3_f32 v75, v75, v93, v94
	s_waitcnt lgkmcnt(0)
	s_delay_alu instid0(VALU_DEP_1) | instskip(NEXT) | instid1(VALU_DEP_1)
	v_max3_f32 v75, v75, v95, v96
	v_sub_f32_e32 v93, v93, v75
	ds_load_2addr_b32 v[97:98], v74 offset0:136 offset1:153
	v_sub_f32_e32 v70, v70, v75
	v_dual_sub_f32 v100, v73, v75 :: v_dual_mul_f32 v103, 0x3fb8aa3b, v93
	s_delay_alu instid0(VALU_DEP_2) | instskip(SKIP_3) | instid1(VALU_DEP_1)
	v_dual_sub_f32 v76, v71, v75 :: v_dual_mul_f32 v99, 0x3fb8aa3b, v70
	ds_load_2addr_b32 v[70:71], v74 offset0:170 offset1:187
	v_mul_f32_e32 v76, 0x3fb8aa3b, v76
	v_exp_f32_e32 v99, v99
	v_exp_f32_e32 v102, v76
	v_mul_f32_e32 v100, 0x3fb8aa3b, v100
	s_waitcnt lgkmcnt(1)
	s_waitcnt_depctr 0xfff
	v_fma_f32 v76, v99, v97, 0
	v_sub_f32_e32 v97, v94, v75
	v_sub_f32_e32 v72, v72, v75
	v_exp_f32_e32 v100, v100
	ds_load_2addr_b32 v[93:94], v74 offset0:238 offset1:255
	v_dual_fmac_f32 v76, v102, v98 :: v_dual_mul_f32 v101, 0x3fb8aa3b, v72
	ds_load_2addr_b32 v[72:73], v74 offset0:204 offset1:221
	v_dual_sub_f32 v74, v95, v75 :: v_dual_mul_f32 v95, 0x3fb8aa3b, v97
	v_exp_f32_e32 v97, v103
	v_exp_f32_e32 v101, v101
	s_waitcnt lgkmcnt(0)
	s_delay_alu instid0(VALU_DEP_1)
	v_mul_f32_e32 v74, 0x3fb8aa3b, v74
	v_exp_f32_e32 v95, v95
	s_barrier
	buffer_gl0_inv
	v_fmac_f32_e32 v76, v101, v70
	v_sub_f32_e32 v70, v96, v75
	v_exp_f32_e32 v96, v74
	s_delay_alu instid0(VALU_DEP_2) | instskip(NEXT) | instid1(VALU_DEP_2)
	v_fmac_f32_e32 v76, v100, v71
	v_mul_f32_e32 v70, 0x3fb8aa3b, v70
	s_delay_alu instid0(VALU_DEP_2) | instskip(NEXT) | instid1(VALU_DEP_2)
	v_dual_cndmask_b32 v71, v99, v102 :: v_dual_fmac_f32 v76, v97, v72
	v_exp_f32_e32 v98, v70
	v_lshlrev_b32_e32 v72, 6, v69
	s_delay_alu instid0(VALU_DEP_2) | instskip(NEXT) | instid1(VALU_DEP_2)
	v_dual_fmac_f32 v76, v95, v73 :: v_dual_lshlrev_b32 v69, 2, v67
	v_lshl_or_b32 v74, v68, 11, v72
	s_delay_alu instid0(VALU_DEP_2)
	v_cmp_eq_u32_e64 s8, 7, v69
	s_delay_alu instid0(TRANS32_DEP_2) | instid1(VALU_DEP_3)
	v_fmac_f32_e32 v76, v96, v93
	s_waitcnt_depctr 0xfff
	v_fmac_f32_e32 v76, v98, v94
	s_delay_alu instid0(VALU_DEP_1) | instskip(NEXT) | instid1(VALU_DEP_1)
	v_add_f32_e32 v73, 0x358637bd, v76
	v_div_scale_f32 v93, null, v73, v73, 1.0
	v_div_scale_f32 v99, vcc_lo, 1.0, v73, 1.0
	s_delay_alu instid0(VALU_DEP_2) | instskip(SKIP_2) | instid1(VALU_DEP_1)
	v_rcp_f32_e32 v94, v93
	s_waitcnt_depctr 0xfff
	v_fma_f32 v70, -v93, v94, 1.0
	v_fmac_f32_e32 v94, v70, v94
	v_cndmask_b32_e64 v70, v71, v101, s3
	v_cmp_eq_u32_e64 s3, 6, v68
	v_or_b32_e32 v71, 1, v69
	v_or_b32_e32 v68, 2, v69
	v_mul_f32_e32 v101, v99, v94
	v_cndmask_b32_e64 v70, v70, v100, s4
	v_cmp_eq_u32_e64 s4, 1, v69
	v_cmp_eq_u32_e64 s9, 1, v71
	;; [unrolled: 1-line block ×3, first 2 shown]
	v_fma_f32 v100, -v93, v101, v99
	v_cndmask_b32_e64 v70, v70, v97, s5
	v_cmp_eq_u32_e64 s5, 2, v69
	v_cmp_eq_u32_e64 s12, 2, v71
	;; [unrolled: 1-line block ×3, first 2 shown]
	v_fmac_f32_e32 v101, v100, v94
	v_cndmask_b32_e64 v95, v70, v95, s6
	v_or_b32_e32 v70, 3, v69
	v_cmp_eq_u32_e64 s13, 3, v71
	v_cmp_eq_u32_e64 s17, 3, v68
	v_fma_f32 v93, -v93, v101, v99
	v_cndmask_b32_e64 v95, v95, v96, s3
	v_cmp_eq_u32_e64 s11, 1, v70
	v_cmp_eq_u32_e64 s16, 2, v70
	;; [unrolled: 1-line block ×3, first 2 shown]
	v_div_fmas_f32 v93, v93, v94, v101
	v_cndmask_b32_e64 v94, v95, v98, s7
	v_cmp_eq_u32_e32 vcc_lo, 3, v69
	v_cmp_eq_u32_e64 s3, 4, v69
	v_cmp_eq_u32_e64 s19, 4, v71
	v_div_fixup_f32 v93, v93, v73, 1.0
	v_lshl_or_b32 v73, v67, 4, v74
	v_cmp_eq_u32_e64 s22, 4, v70
	v_cmp_eq_u32_e64 s6, 5, v69
	;; [unrolled: 1-line block ×3, first 2 shown]
	v_mul_f32_e32 v101, v94, v93
	v_cmp_eq_u32_e64 s21, 4, v68
	v_cmp_eq_u32_e64 s24, 5, v70
	;; [unrolled: 1-line block ×4, first 2 shown]
	v_fma_mixlo_f16 v93, v101, v78, 0
	v_fma_mixlo_f16 v94, v101, v80, 0
	;; [unrolled: 1-line block ×8, first 2 shown]
	v_fma_mixhi_f16 v93, v101, v77, 0
	v_fma_mixhi_f16 v94, v101, v79, 0
	v_fma_mixhi_f16 v95, v101, v81, 0
	v_fma_mixhi_f16 v96, v101, v83, 0
	v_fma_mixhi_f16 v97, v101, v85, 0
	v_fma_mixhi_f16 v98, v101, v87, 0
	v_fma_mixhi_f16 v99, v101, v89, 0
	v_fma_mixhi_f16 v100, v101, v91, 0
	ds_store_b128 v73, v[93:96]
	ds_store_b128 v73, v[97:100] offset:1024
	s_waitcnt lgkmcnt(0)
	s_barrier
	buffer_gl0_inv
	ds_load_b128 v[77:80], v74
	ds_load_b128 v[81:84], v74 offset:16
	ds_load_b128 v[85:88], v74 offset:1024
	;; [unrolled: 1-line block ×3, first 2 shown]
	v_cmp_eq_u32_e64 s27, 6, v70
	v_cmp_eq_u32_e64 s7, 6, v69
	;; [unrolled: 1-line block ×6, first 2 shown]
	s_waitcnt lgkmcnt(3)
	v_lshrrev_b32_e32 v93, 16, v77
	s_waitcnt lgkmcnt(2)
	v_lshrrev_b32_e32 v97, 16, v81
	;; [unrolled: 2-line block ×4, first 2 shown]
	v_lshrrev_b32_e32 v94, 16, v78
	v_cndmask_b32_e64 v109, v77, v93, s4
	v_cndmask_b32_e64 v110, v81, v97, s4
	;; [unrolled: 1-line block ×8, first 2 shown]
	v_lshrrev_b32_e32 v98, 16, v82
	v_cndmask_b32_e64 v93, v85, v101, s4
	v_cndmask_b32_e64 v97, v89, v105, s4
	v_cndmask_b32_e64 v115, v85, v101, s9
	v_cndmask_b32_e64 v116, v89, v105, s9
	v_cndmask_b32_e64 v117, v85, v101, s10
	v_cndmask_b32_e64 v118, v89, v105, s10
	v_cndmask_b32_e64 v85, v85, v101, s11
	v_cndmask_b32_e64 v89, v89, v105, s11
	v_cndmask_b32_e64 v101, v109, v78, s5
	v_cndmask_b32_e64 v105, v110, v82, s5
	v_cndmask_b32_e64 v109, v111, v78, s12
	v_cndmask_b32_e64 v110, v112, v82, s12
	v_cndmask_b32_e64 v111, v113, v78, s15
	v_cndmask_b32_e64 v77, v77, v78, s16
	v_cndmask_b32_e64 v78, v81, v82, s16
	v_lshrrev_b32_e32 v102, 16, v86
	v_lshrrev_b32_e32 v106, 16, v90
	v_cndmask_b32_e64 v112, v114, v82, s15
	v_cndmask_b32_e64 v81, v93, v86, s5
	;; [unrolled: 1-line block ×7, first 2 shown]
	v_cndmask_b32_e32 v89, v101, v94, vcc_lo
	v_cndmask_b32_e32 v101, v105, v98, vcc_lo
	v_cndmask_b32_e64 v105, v109, v94, s13
	v_cndmask_b32_e64 v109, v110, v98, s13
	v_cndmask_b32_e64 v77, v77, v94, s18
	v_cndmask_b32_e64 v78, v78, v98, s18
	v_lshrrev_b32_e32 v95, 16, v79
	v_lshrrev_b32_e32 v99, 16, v83
	v_cndmask_b32_e64 v110, v111, v94, s17
	v_cndmask_b32_e64 v111, v112, v98, s17
	v_cndmask_b32_e32 v81, v81, v102, vcc_lo
	v_cndmask_b32_e32 v82, v82, v106, vcc_lo
	v_cndmask_b32_e64 v93, v93, v102, s13
	v_cndmask_b32_e64 v89, v89, v79, s3
	;; [unrolled: 1-line block ×7, first 2 shown]
	v_lshrrev_b32_e32 v103, 16, v87
	v_cndmask_b32_e64 v105, v110, v79, s21
	v_cndmask_b32_e64 v109, v111, v83, s21
	;; [unrolled: 1-line block ×11, first 2 shown]
	v_lshrrev_b32_e32 v96, 16, v80
	v_lshrrev_b32_e32 v100, 16, v84
	v_cndmask_b32_e64 v98, v105, v95, s23
	v_cndmask_b32_e64 v101, v109, v99, s23
	;; [unrolled: 1-line block ×7, first 2 shown]
	v_lshrrev_b32_e32 v104, 16, v88
	v_cndmask_b32_e64 v79, v79, v103, s6
	v_cndmask_b32_e64 v83, v83, v80, s7
	;; [unrolled: 1-line block ×16, first 2 shown]
	v_perm_b32 v80, v78, v77, 0x5040100
	v_perm_b32 v78, v94, v84, 0x5040100
	v_cndmask_b32_e64 v77, v118, v90, s15
	v_cndmask_b32_e64 v84, v116, v90, s12
	;; [unrolled: 1-line block ×3, first 2 shown]
	v_perm_b32 v79, v93, v89, 0x5040100
	v_cndmask_b32_e64 v89, v97, v102, s17
	v_cndmask_b32_e64 v85, v85, v102, s18
	;; [unrolled: 1-line block ×5, first 2 shown]
	v_lshrrev_b32_e32 v107, 16, v91
	v_cndmask_b32_e64 v89, v89, v87, s21
	v_cndmask_b32_e64 v85, v85, v87, s22
	;; [unrolled: 1-line block ×11, first 2 shown]
	v_lshrrev_b32_e32 v108, 16, v92
	v_cndmask_b32_e64 v81, v81, v92, s7
	v_cndmask_b32_e64 v87, v87, v88, s26
	;; [unrolled: 1-line block ×12, first 2 shown]
	v_perm_b32 v77, v83, v82, 0x5040100
	v_perm_b32 v84, v86, v85, 0x5040100
	v_perm_b32 v83, v88, v87, 0x5040100
	v_perm_b32 v82, v89, v96, 0x5040100
	v_perm_b32 v81, v81, v95, 0x5040100
	s_lshl_b32 s8, s33, 3
	s_mov_b32 s3, exec_lo
	ds_store_b128 v73, v[77:80]
	ds_store_b128 v73, v[81:84] offset:1024
	v_cmpx_gt_u32_e32 8, v0
	s_cbranch_execz .LBB1125_14
; %bb.13:
	v_or_b32_e32 v77, s31, v0
	s_load_b128 s[4:7], s[0:1], 0x58
	s_delay_alu instid0(VALU_DEP_1) | instskip(NEXT) | instid1(VALU_DEP_1)
	v_mad_u64_u32 v[78:79], null, s8, s34, v[77:78]
	v_mad_u64_u32 v[79:80], null, v78, s35, s[14:15]
	s_delay_alu instid0(VALU_DEP_1) | instskip(NEXT) | instid1(VALU_DEP_1)
	v_ashrrev_i32_e32 v80, 31, v79
	v_lshlrev_b64 v[77:78], 2, v[79:80]
	s_waitcnt lgkmcnt(0)
	s_delay_alu instid0(VALU_DEP_1) | instskip(NEXT) | instid1(VALU_DEP_2)
	v_add_co_u32 v79, vcc_lo, s6, v77
	v_add_co_ci_u32_e32 v80, vcc_lo, s7, v78, vcc_lo
	v_add_co_u32 v77, vcc_lo, s4, v77
	v_add_co_ci_u32_e32 v78, vcc_lo, s5, v78, vcc_lo
	global_store_b32 v[79:80], v75, off
	global_store_b32 v[77:78], v76, off
.LBB1125_14:
	s_or_b32 exec_lo, exec_lo, s3
	s_waitcnt lgkmcnt(0)
	s_waitcnt_vscnt null, 0x0
	s_barrier
	buffer_gl0_inv
	ds_load_b128 v[83:86], v72
	ds_load_b128 v[87:90], v72 offset:16
	ds_load_b128 v[95:98], v72 offset:2064
	;; [unrolled: 1-line block ×5, first 2 shown]
	v_cmp_eq_u32_e32 vcc_lo, 1, v69
	v_mov_b32_e32 v75, 0
	ds_load_b128 v[111:114], v72 offset:6160
	ds_load_b128 v[107:110], v72 offset:6144
	;; [unrolled: 1-line block ×4, first 2 shown]
	v_cmp_eq_u32_e64 s4, 1, v68
	v_cmp_eq_u32_e64 s3, 1, v71
	;; [unrolled: 1-line block ×3, first 2 shown]
	v_mov_b32_e32 v76, v75
	v_mov_b32_e32 v77, v75
	;; [unrolled: 1-line block ×7, first 2 shown]
	v_cmp_eq_u32_e64 s6, 3, v71
	v_cmp_eq_u32_e64 s7, 7, v71
	s_waitcnt lgkmcnt(8)
	s_delay_alu instid0(VALU_DEP_3)
	v_wmma_f32_16x16x16_f16 v[75:82], v[49:56], v[83:90], v[75:82]
	ds_load_b128 v[53:56], v72 offset:10256
	ds_load_b128 v[49:52], v72 offset:10240
	s_waitcnt lgkmcnt(8)
	v_wmma_f32_16x16x16_f16 v[75:82], v[41:48], v[91:98], v[75:82]
	ds_load_b128 v[45:48], v72 offset:12304
	ds_load_b128 v[41:44], v72 offset:12288
	s_waitcnt lgkmcnt(8)
	;; [unrolled: 4-line block ×3, first 2 shown]
	s_barrier
	buffer_gl0_inv
	v_wmma_f32_16x16x16_f16 v[75:82], v[1:8], v[107:114], v[75:82]
	s_delay_alu instid0(VALU_DEP_1) | instskip(NEXT) | instid1(VALU_DEP_1)
	v_wmma_f32_16x16x16_f16 v[75:82], v[9:16], v[115:122], v[75:82]
	v_wmma_f32_16x16x16_f16 v[75:82], v[17:24], v[49:56], v[75:82]
	s_delay_alu instid0(VALU_DEP_1) | instskip(NEXT) | instid1(VALU_DEP_1)
	v_wmma_f32_16x16x16_f16 v[75:82], v[25:32], v[41:48], v[75:82]
	v_wmma_f32_16x16x16_f16 v[75:82], v[57:64], v[33:40], v[75:82]
	s_delay_alu instid0(VALU_DEP_1) | instskip(NEXT) | instid1(VALU_DEP_2)
	v_cvt_f16_f32_e32 v1, v75
	v_cvt_f16_f32_e32 v2, v76
	s_delay_alu instid0(VALU_DEP_3) | instskip(NEXT) | instid1(VALU_DEP_4)
	v_cvt_f16_f32_e32 v3, v77
	v_cvt_f16_f32_e32 v4, v78
	;; [unrolled: 1-line block ×6, first 2 shown]
	v_pack_b32_f16 v1, v1, v2
	v_pack_b32_f16 v2, v3, v4
	;; [unrolled: 1-line block ×3, first 2 shown]
	s_delay_alu instid0(VALU_DEP_4)
	v_pack_b32_f16 v4, v7, v8
	ds_store_b128 v73, v[1:4]
	s_waitcnt lgkmcnt(0)
	s_barrier
	buffer_gl0_inv
	ds_load_b128 v[1:4], v74
	ds_load_b128 v[5:8], v74 offset:16
	s_waitcnt lgkmcnt(1)
	v_lshrrev_b32_e32 v9, 16, v1
	s_waitcnt lgkmcnt(0)
	v_lshrrev_b32_e32 v13, 16, v5
	v_lshrrev_b32_e32 v10, 16, v2
	;; [unrolled: 1-line block ×4, first 2 shown]
	v_cndmask_b32_e32 v17, v1, v9, vcc_lo
	v_cndmask_b32_e32 v18, v5, v13, vcc_lo
	v_cndmask_b32_e64 v21, v1, v9, s4
	v_cmp_eq_u32_e32 vcc_lo, 1, v70
	v_cndmask_b32_e64 v22, v5, v13, s4
	v_cmp_eq_u32_e64 s4, 2, v69
	v_cndmask_b32_e64 v19, v1, v9, s3
	v_cndmask_b32_e64 v20, v5, v13, s3
	v_cndmask_b32_e32 v1, v1, v9, vcc_lo
	v_cmp_eq_u32_e64 s3, 2, v70
	v_cndmask_b32_e32 v5, v5, v13, vcc_lo
	v_cndmask_b32_e64 v9, v17, v2, s4
	v_cmp_eq_u32_e32 vcc_lo, 3, v69
	v_cndmask_b32_e64 v13, v18, v6, s4
	v_cmp_eq_u32_e64 s4, 2, v68
	v_cndmask_b32_e64 v17, v19, v2, s5
	v_cndmask_b32_e64 v18, v20, v6, s5
	v_cmp_eq_u32_e64 s5, 3, v68
	v_cndmask_b32_e64 v1, v1, v2, s3
	v_cndmask_b32_e64 v19, v21, v2, s4
	;; [unrolled: 1-line block ×4, first 2 shown]
	v_cndmask_b32_e32 v5, v9, v10, vcc_lo
	v_cndmask_b32_e32 v6, v13, v14, vcc_lo
	v_cmp_eq_u32_e32 vcc_lo, 3, v70
	v_cndmask_b32_e64 v9, v17, v10, s6
	v_cndmask_b32_e64 v13, v18, v14, s6
	;; [unrolled: 1-line block ×3, first 2 shown]
	v_cmp_eq_u32_e64 s4, 4, v69
	v_cndmask_b32_e32 v1, v1, v10, vcc_lo
	v_cndmask_b32_e32 v2, v2, v14, vcc_lo
	v_cmp_eq_u32_e32 vcc_lo, 4, v71
	v_lshrrev_b32_e32 v15, 16, v7
	v_lshrrev_b32_e32 v16, 16, v8
	v_cndmask_b32_e64 v17, v19, v10, s5
	v_cmp_eq_u32_e64 s3, 4, v70
	v_cndmask_b32_e64 v5, v5, v3, s4
	v_cndmask_b32_e64 v6, v6, v7, s4
	v_cndmask_b32_e32 v9, v9, v3, vcc_lo
	v_cmp_eq_u32_e64 s4, 5, v71
	v_cndmask_b32_e32 v10, v13, v7, vcc_lo
	v_cmp_eq_u32_e32 vcc_lo, 4, v68
	v_cmp_eq_u32_e64 s5, 5, v69
	v_cndmask_b32_e64 v2, v2, v7, s3
	v_cndmask_b32_e64 v9, v9, v11, s4
	;; [unrolled: 1-line block ×3, first 2 shown]
	v_cndmask_b32_e32 v13, v17, v3, vcc_lo
	v_cmp_eq_u32_e64 s4, 5, v68
	v_cndmask_b32_e32 v14, v18, v7, vcc_lo
	v_cndmask_b32_e64 v1, v1, v3, s3
	v_cmp_eq_u32_e32 vcc_lo, 5, v70
	v_lshrrev_b32_e32 v12, 16, v4
	v_cndmask_b32_e64 v13, v13, v11, s4
	v_cndmask_b32_e64 v3, v14, v15, s4
	v_cmp_eq_u32_e64 s4, 6, v70
	v_cndmask_b32_e32 v1, v1, v11, vcc_lo
	v_cndmask_b32_e64 v5, v5, v11, s5
	v_cmp_eq_u32_e64 s6, 6, v69
	v_cndmask_b32_e64 v6, v6, v15, s5
	v_cmp_eq_u32_e64 s5, 6, v71
	v_cmp_eq_u32_e64 s3, 6, v68
	v_cndmask_b32_e64 v1, v1, v4, s4
	v_cndmask_b32_e32 v2, v2, v15, vcc_lo
	v_cmp_eq_u32_e32 vcc_lo, 7, v70
	v_cndmask_b32_e64 v5, v5, v4, s6
	v_cndmask_b32_e64 v9, v9, v4, s5
	;; [unrolled: 1-line block ×3, first 2 shown]
	v_cmp_eq_u32_e64 s6, 7, v69
	v_cndmask_b32_e32 v1, v1, v12, vcc_lo
	v_cndmask_b32_e64 v7, v13, v4, s3
	v_cndmask_b32_e64 v3, v3, v8, s3
	;; [unrolled: 1-line block ×3, first 2 shown]
	v_cmp_eq_u32_e64 s3, 7, v68
	v_cndmask_b32_e64 v4, v10, v8, s5
	v_cndmask_b32_e64 v5, v5, v12, s6
	;; [unrolled: 1-line block ×3, first 2 shown]
	v_cndmask_b32_e32 v2, v2, v16, vcc_lo
	v_cndmask_b32_e64 v7, v7, v12, s3
	v_cndmask_b32_e64 v3, v3, v16, s3
	;; [unrolled: 1-line block ×4, first 2 shown]
	v_cmp_gt_u32_e32 vcc_lo, 32, v0
	v_perm_b32 v4, v2, v1, 0x5040100
	v_perm_b32 v3, v3, v7, 0x5040100
	;; [unrolled: 1-line block ×4, first 2 shown]
	s_and_b32 s2, vcc_lo, s2
	ds_store_b128 v73, v[1:4]
	s_waitcnt lgkmcnt(0)
	s_barrier
	buffer_gl0_inv
	s_and_saveexec_b32 s3, s2
	s_cbranch_execz .LBB1125_2
; %bb.15:
	s_load_b64 s[0:1], s[0:1], 0x68
	s_lshl_b32 s4, s35, 6
	v_or_b32_e32 v2, s31, v67
	s_mul_i32 s2, s4, s34
	v_lshlrev_b32_e32 v1, 10, v0
	s_mul_i32 s2, s2, s8
	v_lshlrev_b32_e32 v3, 4, v66
	v_mul_lo_u32 v0, v2, s4
	s_ashr_i32 s3, s2, 31
	v_lshlrev_b32_e32 v4, 6, v67
	v_and_b32_e32 v1, 0x3800, v1
	v_or_b32_e32 v5, 2, v2
	s_lshl_b64 s[2:3], s[2:3], 1
	v_or_b32_e32 v6, 4, v2
	v_or_b32_e32 v7, 6, v2
	v_or3_b32 v12, v1, v3, v4
	v_ashrrev_i32_e32 v1, 31, v0
	v_mul_lo_u32 v2, v5, s4
	v_mul_lo_u32 v16, v6, s4
	;; [unrolled: 1-line block ×3, first 2 shown]
	s_waitcnt lgkmcnt(0)
	s_add_u32 s2, s0, s2
	s_addc_u32 s3, s1, s3
	s_lshl_b32 s0, s14, 6
	v_lshlrev_b64 v[0:1], 1, v[0:1]
	s_ashr_i32 s1, s0, 31
	v_ashrrev_i32_e32 v3, 31, v2
	s_lshl_b64 s[0:1], s[0:1], 1
	v_ashrrev_i32_e32 v17, 31, v16
	s_add_u32 s0, s2, s0
	s_addc_u32 s1, s3, s1
	v_add_co_u32 v24, s0, s0, v65
	s_delay_alu instid0(VALU_DEP_1) | instskip(SKIP_1) | instid1(VALU_DEP_3)
	v_add_co_ci_u32_e64 v25, null, s1, 0, s0
	v_lshlrev_b64 v[22:23], 1, v[2:3]
	v_add_co_u32 v18, vcc_lo, v24, v0
	s_delay_alu instid0(VALU_DEP_3)
	v_add_co_ci_u32_e32 v19, vcc_lo, v25, v1, vcc_lo
	ds_load_b128 v[0:3], v12
	ds_load_b128 v[4:7], v12 offset:128
	ds_load_b128 v[8:11], v12 offset:256
	;; [unrolled: 1-line block ×3, first 2 shown]
	v_ashrrev_i32_e32 v21, 31, v20
	v_lshlrev_b64 v[16:17], 1, v[16:17]
	v_add_co_u32 v22, vcc_lo, v24, v22
	v_add_co_ci_u32_e32 v23, vcc_lo, v25, v23, vcc_lo
	s_delay_alu instid0(VALU_DEP_4) | instskip(NEXT) | instid1(VALU_DEP_4)
	v_lshlrev_b64 v[20:21], 1, v[20:21]
	v_add_co_u32 v16, vcc_lo, v24, v16
	v_add_co_ci_u32_e32 v17, vcc_lo, v25, v17, vcc_lo
	s_delay_alu instid0(VALU_DEP_3) | instskip(NEXT) | instid1(VALU_DEP_4)
	v_add_co_u32 v20, vcc_lo, v24, v20
	v_add_co_ci_u32_e32 v21, vcc_lo, v25, v21, vcc_lo
	s_waitcnt lgkmcnt(3)
	global_store_b128 v[18:19], v[0:3], off
	s_waitcnt lgkmcnt(2)
	global_store_b128 v[22:23], v[4:7], off
	;; [unrolled: 2-line block ×4, first 2 shown]
	s_nop 0
	s_sendmsg sendmsg(MSG_DEALLOC_VGPRS)
	s_endpgm
	.section	.rodata,"a",@progbits
	.p2align	6, 0x0
	.amdhsa_kernel _Z39paged_attention_ll4mi_QKV_mfma16_kernelIDF16_hLN4vllm18Fp8KVCacheDataTypeE1EDF16_Li16ELi64ELi256ELb1ELi8EL8MFMAType0EEvPKT_PKT0_S8_ifPKiSA_SA_iPKfiiiPfSD_PS3_PT2_iSC_SC_
		.amdhsa_group_segment_fixed_size 17472
		.amdhsa_private_segment_fixed_size 0
		.amdhsa_kernarg_size 400
		.amdhsa_user_sgpr_count 13
		.amdhsa_user_sgpr_dispatch_ptr 0
		.amdhsa_user_sgpr_queue_ptr 0
		.amdhsa_user_sgpr_kernarg_segment_ptr 1
		.amdhsa_user_sgpr_dispatch_id 0
		.amdhsa_user_sgpr_private_segment_size 0
		.amdhsa_wavefront_size32 1
		.amdhsa_uses_dynamic_stack 0
		.amdhsa_enable_private_segment 0
		.amdhsa_system_sgpr_workgroup_id_x 1
		.amdhsa_system_sgpr_workgroup_id_y 1
		.amdhsa_system_sgpr_workgroup_id_z 1
		.amdhsa_system_sgpr_workgroup_info 0
		.amdhsa_system_vgpr_workitem_id 0
		.amdhsa_next_free_vgpr 123
		.amdhsa_next_free_sgpr 40
		.amdhsa_reserve_vcc 1
		.amdhsa_float_round_mode_32 0
		.amdhsa_float_round_mode_16_64 0
		.amdhsa_float_denorm_mode_32 3
		.amdhsa_float_denorm_mode_16_64 3
		.amdhsa_dx10_clamp 1
		.amdhsa_ieee_mode 1
		.amdhsa_fp16_overflow 0
		.amdhsa_workgroup_processor_mode 1
		.amdhsa_memory_ordered 1
		.amdhsa_forward_progress 0
		.amdhsa_shared_vgpr_count 0
		.amdhsa_exception_fp_ieee_invalid_op 0
		.amdhsa_exception_fp_denorm_src 0
		.amdhsa_exception_fp_ieee_div_zero 0
		.amdhsa_exception_fp_ieee_overflow 0
		.amdhsa_exception_fp_ieee_underflow 0
		.amdhsa_exception_fp_ieee_inexact 0
		.amdhsa_exception_int_div_zero 0
	.end_amdhsa_kernel
	.section	.text._Z39paged_attention_ll4mi_QKV_mfma16_kernelIDF16_hLN4vllm18Fp8KVCacheDataTypeE1EDF16_Li16ELi64ELi256ELb1ELi8EL8MFMAType0EEvPKT_PKT0_S8_ifPKiSA_SA_iPKfiiiPfSD_PS3_PT2_iSC_SC_,"axG",@progbits,_Z39paged_attention_ll4mi_QKV_mfma16_kernelIDF16_hLN4vllm18Fp8KVCacheDataTypeE1EDF16_Li16ELi64ELi256ELb1ELi8EL8MFMAType0EEvPKT_PKT0_S8_ifPKiSA_SA_iPKfiiiPfSD_PS3_PT2_iSC_SC_,comdat
.Lfunc_end1125:
	.size	_Z39paged_attention_ll4mi_QKV_mfma16_kernelIDF16_hLN4vllm18Fp8KVCacheDataTypeE1EDF16_Li16ELi64ELi256ELb1ELi8EL8MFMAType0EEvPKT_PKT0_S8_ifPKiSA_SA_iPKfiiiPfSD_PS3_PT2_iSC_SC_, .Lfunc_end1125-_Z39paged_attention_ll4mi_QKV_mfma16_kernelIDF16_hLN4vllm18Fp8KVCacheDataTypeE1EDF16_Li16ELi64ELi256ELb1ELi8EL8MFMAType0EEvPKT_PKT0_S8_ifPKiSA_SA_iPKfiiiPfSD_PS3_PT2_iSC_SC_
                                        ; -- End function
	.section	.AMDGPU.csdata,"",@progbits
; Kernel info:
; codeLenInByte = 6492
; NumSgprs: 42
; NumVgprs: 123
; ScratchSize: 0
; MemoryBound: 0
; FloatMode: 240
; IeeeMode: 1
; LDSByteSize: 17472 bytes/workgroup (compile time only)
; SGPRBlocks: 5
; VGPRBlocks: 15
; NumSGPRsForWavesPerEU: 42
; NumVGPRsForWavesPerEU: 123
; Occupancy: 10
; WaveLimiterHint : 1
; COMPUTE_PGM_RSRC2:SCRATCH_EN: 0
; COMPUTE_PGM_RSRC2:USER_SGPR: 13
; COMPUTE_PGM_RSRC2:TRAP_HANDLER: 0
; COMPUTE_PGM_RSRC2:TGID_X_EN: 1
; COMPUTE_PGM_RSRC2:TGID_Y_EN: 1
; COMPUTE_PGM_RSRC2:TGID_Z_EN: 1
; COMPUTE_PGM_RSRC2:TIDIG_COMP_CNT: 0
	.section	.text._Z39paged_attention_ll4mi_QKV_mfma16_kernelIDF16_hLN4vllm18Fp8KVCacheDataTypeE1EDF16_Li16ELi64ELi256ELb1ELi9EL8MFMAType0EEvPKT_PKT0_S8_ifPKiSA_SA_iPKfiiiPfSD_PS3_PT2_iSC_SC_,"axG",@progbits,_Z39paged_attention_ll4mi_QKV_mfma16_kernelIDF16_hLN4vllm18Fp8KVCacheDataTypeE1EDF16_Li16ELi64ELi256ELb1ELi9EL8MFMAType0EEvPKT_PKT0_S8_ifPKiSA_SA_iPKfiiiPfSD_PS3_PT2_iSC_SC_,comdat
	.protected	_Z39paged_attention_ll4mi_QKV_mfma16_kernelIDF16_hLN4vllm18Fp8KVCacheDataTypeE1EDF16_Li16ELi64ELi256ELb1ELi9EL8MFMAType0EEvPKT_PKT0_S8_ifPKiSA_SA_iPKfiiiPfSD_PS3_PT2_iSC_SC_ ; -- Begin function _Z39paged_attention_ll4mi_QKV_mfma16_kernelIDF16_hLN4vllm18Fp8KVCacheDataTypeE1EDF16_Li16ELi64ELi256ELb1ELi9EL8MFMAType0EEvPKT_PKT0_S8_ifPKiSA_SA_iPKfiiiPfSD_PS3_PT2_iSC_SC_
	.globl	_Z39paged_attention_ll4mi_QKV_mfma16_kernelIDF16_hLN4vllm18Fp8KVCacheDataTypeE1EDF16_Li16ELi64ELi256ELb1ELi9EL8MFMAType0EEvPKT_PKT0_S8_ifPKiSA_SA_iPKfiiiPfSD_PS3_PT2_iSC_SC_
	.p2align	8
	.type	_Z39paged_attention_ll4mi_QKV_mfma16_kernelIDF16_hLN4vllm18Fp8KVCacheDataTypeE1EDF16_Li16ELi64ELi256ELb1ELi9EL8MFMAType0EEvPKT_PKT0_S8_ifPKiSA_SA_iPKfiiiPfSD_PS3_PT2_iSC_SC_,@function
_Z39paged_attention_ll4mi_QKV_mfma16_kernelIDF16_hLN4vllm18Fp8KVCacheDataTypeE1EDF16_Li16ELi64ELi256ELb1ELi9EL8MFMAType0EEvPKT_PKT0_S8_ifPKiSA_SA_iPKfiiiPfSD_PS3_PT2_iSC_SC_: ; @_Z39paged_attention_ll4mi_QKV_mfma16_kernelIDF16_hLN4vllm18Fp8KVCacheDataTypeE1EDF16_Li16ELi64ELi256ELb1ELi9EL8MFMAType0EEvPKT_PKT0_S8_ifPKiSA_SA_iPKfiiiPfSD_PS3_PT2_iSC_SC_
; %bb.0:
	s_load_b64 s[2:3], s[0:1], 0x30
	s_mov_b32 s34, s13
	s_waitcnt lgkmcnt(0)
	s_cmp_lg_u64 s[2:3], 0
	s_cselect_b32 s6, -1, 0
	s_ashr_i32 s35, s13, 31
	s_cmp_eq_u64 s[2:3], 0
	s_cbranch_scc1 .LBB1126_3
; %bb.1:
	s_lshl_b64 s[4:5], s[34:35], 2
	s_delay_alu instid0(SALU_CYCLE_1) | instskip(SKIP_4) | instid1(SALU_CYCLE_1)
	s_add_u32 s4, s2, s4
	s_addc_u32 s5, s3, s5
	s_load_b64 s[4:5], s[4:5], 0x0
	s_waitcnt lgkmcnt(0)
	s_sub_i32 s4, s5, s4
	s_cmp_eq_u32 s4, 1
	s_cselect_b32 s4, -1, 0
	s_delay_alu instid0(SALU_CYCLE_1)
	s_and_not1_b32 vcc_lo, exec_lo, s4
	s_cbranch_vccz .LBB1126_4
.LBB1126_2:
	s_nop 0
	s_sendmsg sendmsg(MSG_DEALLOC_VGPRS)
	s_endpgm
.LBB1126_3:
.LBB1126_4:
	s_load_b64 s[8:9], s[0:1], 0x28
	s_lshl_b64 s[4:5], s[34:35], 2
	s_waitcnt lgkmcnt(0)
	s_add_u32 s8, s8, s4
	s_addc_u32 s9, s9, s5
	s_lshl_b32 s16, s14, 8
	s_load_b32 s18, s[8:9], 0x0
	s_waitcnt lgkmcnt(0)
	s_cmp_ge_i32 s16, s18
	s_cbranch_scc1 .LBB1126_2
; %bb.5:
	s_clause 0x1
	s_load_b128 s[8:11], s[0:1], 0x8
	s_load_b64 s[12:13], s[0:1], 0x20
	s_and_not1_b32 vcc_lo, exec_lo, s6
	s_cbranch_vccnz .LBB1126_7
; %bb.6:
	s_add_u32 s2, s2, s4
	s_addc_u32 s3, s3, s5
	s_load_b32 s3, s[2:3], 0x0
	s_branch .LBB1126_8
.LBB1126_7:
	s_mov_b32 s3, s34
.LBB1126_8:
	s_load_b128 s[4:7], s[0:1], 0x48
	v_lshrrev_b32_e32 v69, 5, v0
	v_bfe_u32 v66, v0, 4, 1
	v_and_b32_e32 v68, 15, v0
	v_and_b32_e32 v70, 31, v0
	;; [unrolled: 1-line block ×3, first 2 shown]
	s_mul_i32 s33, s15, 9
	v_lshl_or_b32 v1, v69, 1, v66
	v_lshlrev_b32_e32 v2, 3, v68
	v_cmp_gt_u32_e64 s2, 8, v68
	s_delay_alu instid0(VALU_DEP_3) | instskip(NEXT) | instid1(VALU_DEP_3)
	v_cmp_gt_u32_e32 vcc_lo, 9, v1
	v_lshlrev_b32_e32 v65, 1, v2
	s_delay_alu instid0(VALU_DEP_3)
	s_and_b32 s17, s2, vcc_lo
	s_waitcnt lgkmcnt(0)
	s_and_saveexec_b32 s7, s17
	s_cbranch_execz .LBB1126_10
; %bb.9:
	s_load_b64 s[20:21], s[0:1], 0x0
	v_add_lshl_u32 v2, v1, s33, 6
	s_mul_hi_i32 s23, s3, s4
	s_mul_i32 s22, s3, s4
	v_lshlrev_b32_e32 v6, 10, v68
	s_lshl_b64 s[22:23], s[22:23], 1
	v_ashrrev_i32_e32 v3, 31, v2
	v_lshlrev_b32_e32 v1, 6, v1
	v_lshlrev_b32_e32 v7, 10, v67
	v_and_b32_e32 v6, 0x3800, v6
	s_delay_alu instid0(VALU_DEP_4) | instskip(NEXT) | instid1(VALU_DEP_2)
	v_lshlrev_b64 v[2:3], 1, v[2:3]
	v_or3_b32 v1, v6, v7, v1
	s_waitcnt lgkmcnt(0)
	s_add_u32 s3, s20, s22
	s_addc_u32 s4, s21, s23
	s_delay_alu instid0(VALU_DEP_2) | instskip(SKIP_1) | instid1(VALU_DEP_2)
	v_add_co_u32 v2, vcc_lo, s3, v2
	v_add_co_ci_u32_e32 v3, vcc_lo, s4, v3, vcc_lo
	v_add_co_u32 v2, vcc_lo, v2, v65
	s_delay_alu instid0(VALU_DEP_2)
	v_add_co_ci_u32_e32 v3, vcc_lo, 0, v3, vcc_lo
	global_load_b128 v[2:5], v[2:3], off
	s_waitcnt vmcnt(0)
	ds_store_b128 v1, v[2:5]
.LBB1126_10:
	s_or_b32 exec_lo, exec_lo, s7
	v_and_b32_e32 v1, 0xef, v0
	s_add_i32 s3, s18, 15
	s_clause 0x1
	s_load_b32 s4, s[0:1], 0x38
	s_load_b32 s35, s[0:1], 0x98
	s_ashr_i32 s7, s3, 31
	v_add_nc_u32_e32 v1, s16, v1
	s_lshr_b32 s7, s7, 28
	s_load_b32 s19, s[0:1], 0x1c
	v_add_nc_u32_e32 v103, -9, v68
	s_add_i32 s3, s3, s7
	v_ashrrev_i32_e32 v2, 31, v1
	v_or_b32_e32 v3, 16, v1
	s_ashr_i32 s3, s3, 4
	v_cmp_gt_i32_e32 vcc_lo, s18, v1
	s_add_i32 s3, s3, -1
	v_lshrrev_b32_e32 v2, 28, v2
	s_waitcnt lgkmcnt(0)
	s_barrier
	buffer_gl0_inv
	s_mul_i32 s15, s15, s6
	v_add_nc_u32_e32 v4, v1, v2
	v_mbcnt_lo_u32_b32 v127, -1, 0
	s_mul_i32 s20, s34, s4
	s_delay_alu instid0(SALU_CYCLE_1) | instskip(NEXT) | instid1(VALU_DEP_2)
	s_ashr_i32 s21, s20, 31
	v_ashrrev_i32_e32 v4, 4, v4
	v_add_nc_u32_e32 v2, v3, v2
	s_lshl_b64 s[20:21], s[20:21], 2
	v_xor_b32_e32 v128, 16, v127
	s_add_u32 s17, s12, s20
	v_cndmask_b32_e32 v1, s3, v4, vcc_lo
	v_ashrrev_i32_e32 v2, 4, v2
	v_cmp_gt_i32_e32 vcc_lo, s18, v3
	s_addc_u32 s13, s13, s21
	s_ashr_i32 s20, s15, 31
	s_add_u32 s4, s8, s15
	s_addc_u32 s12, s9, s20
	v_cndmask_b32_e32 v3, s3, v2, vcc_lo
	v_ashrrev_i32_e32 v2, 31, v1
	s_lshl_b32 s6, s14, 4
	s_delay_alu instid0(SALU_CYCLE_1) | instskip(NEXT) | instid1(VALU_DEP_2)
	s_ashr_i32 s7, s6, 31
	v_ashrrev_i32_e32 v4, 31, v3
	s_delay_alu instid0(VALU_DEP_2) | instskip(SKIP_1) | instid1(SALU_CYCLE_1)
	v_lshlrev_b64 v[1:2], 2, v[1:2]
	s_lshl_b64 s[6:7], s[6:7], 2
	s_add_u32 s6, s17, s6
	s_delay_alu instid0(VALU_DEP_2) | instskip(SKIP_1) | instid1(VALU_DEP_2)
	v_lshlrev_b64 v[3:4], 2, v[3:4]
	s_addc_u32 s7, s13, s7
	v_add_co_u32 v1, vcc_lo, s17, v1
	v_add_co_ci_u32_e32 v2, vcc_lo, s13, v2, vcc_lo
	s_delay_alu instid0(VALU_DEP_3) | instskip(NEXT) | instid1(VALU_DEP_4)
	v_add_co_u32 v3, vcc_lo, s17, v3
	v_add_co_ci_u32_e32 v4, vcc_lo, s13, v4, vcc_lo
	s_clause 0x1
	global_load_b32 v5, v[1:2], off
	global_load_b32 v7, v[3:4], off
	s_or_b32 s8, s16, 32
	v_lshlrev_b32_e32 v1, 4, v0
	s_ashr_i32 s9, s8, 4
	s_cmp_lt_i32 s8, s18
	v_cmp_gt_u32_e32 vcc_lo, 9, v68
	s_cselect_b32 s8, s9, s3
	v_and_b32_e32 v1, 0xf0, v1
	s_ashr_i32 s9, s8, 31
	s_delay_alu instid0(SALU_CYCLE_1)
	s_lshl_b64 s[8:9], s[8:9], 2
	v_cndmask_b32_e32 v103, v103, v68, vcc_lo
	s_add_u32 s8, s17, s8
	s_addc_u32 s9, s13, s9
	s_or_b32 s21, s16, 64
	v_add_co_u32 v1, s4, s4, v1
	s_ashr_i32 s22, s21, 4
	s_cmp_lt_i32 s21, s18
	v_add_co_ci_u32_e64 v2, null, s12, 0, s4
	s_cselect_b32 s22, s22, s3
	v_cmp_gt_i32_e32 vcc_lo, 32, v128
	s_ashr_i32 s23, s22, 31
	v_lshlrev_b32_e32 v115, 6, v103
	s_lshl_b64 s[22:23], s[22:23], 2
	v_cndmask_b32_e32 v136, v127, v128, vcc_lo
	s_add_u32 s22, s17, s22
	s_addc_u32 s23, s13, s23
	s_or_b32 s21, s16, 0x60
	s_delay_alu instid0(SALU_CYCLE_1) | instskip(SKIP_2) | instid1(SALU_CYCLE_1)
	s_ashr_i32 s24, s21, 4
	s_cmp_lt_i32 s21, s18
	s_cselect_b32 s24, s24, s3
	s_ashr_i32 s25, s24, 31
	s_delay_alu instid0(SALU_CYCLE_1) | instskip(NEXT) | instid1(SALU_CYCLE_1)
	s_lshl_b64 s[24:25], s[24:25], 2
	s_add_u32 s24, s17, s24
	s_addc_u32 s25, s13, s25
	s_or_b32 s21, s16, 0x80
	s_delay_alu instid0(SALU_CYCLE_1) | instskip(SKIP_2) | instid1(SALU_CYCLE_1)
	s_ashr_i32 s26, s21, 4
	s_cmp_lt_i32 s21, s18
	s_cselect_b32 s26, s26, s3
	s_ashr_i32 s27, s26, 31
	s_delay_alu instid0(SALU_CYCLE_1) | instskip(NEXT) | instid1(SALU_CYCLE_1)
	s_lshl_b64 s[26:27], s[26:27], 2
	;; [unrolled: 10-line block ×3, first 2 shown]
	s_add_u32 s28, s17, s28
	s_addc_u32 s29, s13, s29
	s_clause 0x5
	s_load_b32 s12, s[6:7], 0x0
	s_load_b32 s4, s[8:9], 0x0
	;; [unrolled: 1-line block ×6, first 2 shown]
	s_or_b32 s21, s16, 0xc0
	s_delay_alu instid0(SALU_CYCLE_1) | instskip(SKIP_2) | instid1(SALU_CYCLE_1)
	s_ashr_i32 s22, s21, 4
	s_cmp_lt_i32 s21, s18
	s_cselect_b32 s22, s22, s3
	s_ashr_i32 s23, s22, 31
	s_delay_alu instid0(SALU_CYCLE_1) | instskip(NEXT) | instid1(SALU_CYCLE_1)
	s_lshl_b64 s[22:23], s[22:23], 2
	s_add_u32 s22, s17, s22
	s_addc_u32 s23, s13, s23
	s_or_b32 s21, s16, 0xe0
	s_delay_alu instid0(SALU_CYCLE_1) | instskip(SKIP_2) | instid1(SALU_CYCLE_1)
	s_ashr_i32 s24, s21, 4
	s_cmp_lt_i32 s21, s18
	s_cselect_b32 s24, s24, s3
	s_ashr_i32 s25, s24, 31
	s_delay_alu instid0(SALU_CYCLE_1)
	s_lshl_b64 s[24:25], s[24:25], 2
	s_waitcnt vmcnt(1)
	v_mad_i64_i32 v[3:4], null, v5, s5, v[1:2]
	s_waitcnt vmcnt(0)
	v_mad_i64_i32 v[5:6], null, v7, s5, v[1:2]
	v_lshlrev_b32_e32 v1, 4, v68
	s_clause 0x7
	global_load_b128 v[71:74], v[3:4], off
	global_load_b128 v[75:78], v[3:4], off offset:256
	global_load_b128 v[79:82], v[5:6], off
	global_load_b128 v[83:86], v[5:6], off offset:256
	global_load_b128 v[87:90], v[3:4], off offset:512
	;; [unrolled: 1-line block ×5, first 2 shown]
	v_lshl_or_b32 v1, v69, 8, v1
	s_load_b32 s3, s[22:23], 0x0
	s_add_u32 s22, s17, s24
	s_addc_u32 s23, s13, s25
	s_add_u32 s10, s10, s15
	s_addc_u32 s11, s11, s20
	v_add_co_u32 v1, s10, s10, v1
	s_delay_alu instid0(VALU_DEP_1) | instskip(SKIP_2) | instid1(VALU_DEP_1)
	v_add_co_ci_u32_e64 v2, null, s11, 0, s10
	s_load_b32 s10, s[22:23], 0x0
	s_waitcnt lgkmcnt(0)
	v_mad_i64_i32 v[3:4], null, s12, s5, v[1:2]
	v_mad_i64_i32 v[9:10], null, s7, s5, v[1:2]
	;; [unrolled: 1-line block ×7, first 2 shown]
	s_clause 0x5
	global_load_b128 v[49:52], v[3:4], off
	global_load_b128 v[53:56], v[3:4], off offset:16
	global_load_b128 v[41:44], v[5:6], off
	global_load_b128 v[45:48], v[5:6], off offset:16
	global_load_b128 v[33:36], v[7:8], off
	global_load_b128 v[37:40], v[7:8], off offset:16
	s_mov_b32 s4, 0
	v_mad_i64_i32 v[61:62], null, s10, s5, v[1:2]
	s_clause 0x9
	global_load_b128 v[1:4], v[9:10], off
	global_load_b128 v[5:8], v[9:10], off offset:16
	global_load_b128 v[9:12], v[13:14], off
	global_load_b128 v[13:16], v[13:14], off offset:16
	;; [unrolled: 2-line block ×5, first 2 shown]
	s_mov_b32 s5, s4
	s_mov_b32 s6, s4
	s_mov_b32 s7, s4
	s_mov_b32 s8, s4
	s_mov_b32 s9, s4
	s_mov_b32 s10, s4
	s_mov_b32 s11, s4
	v_and_b32_e32 v104, 0xe0, v0
	v_dual_mov_b32 v126, s11 :: v_dual_mov_b32 v125, s10
	v_dual_mov_b32 v124, s9 :: v_dual_mov_b32 v123, s8
	s_delay_alu instid0(VALU_DEP_3)
	v_add_nc_u32_e32 v111, s16, v104
	ds_load_b128 v[103:106], v115
	ds_load_b128 v[107:110], v115 offset:1024
	v_dual_mov_b32 v122, s7 :: v_dual_mov_b32 v121, s6
	v_mov_b32_e32 v120, s5
	v_or_b32_e32 v135, v111, v66
	ds_load_b128 v[111:114], v115 offset:2048
	ds_load_b128 v[115:118], v115 offset:3072
	v_mov_b32_e32 v119, s4
	s_waitcnt vmcnt(0) lgkmcnt(0)
	s_barrier
	v_or_b32_e32 v137, 2, v135
	v_or_b32_e32 v138, 4, v135
	;; [unrolled: 1-line block ×3, first 2 shown]
	v_cmp_gt_i32_e32 vcc_lo, s18, v135
	v_or_b32_e32 v140, 8, v135
	v_cmp_gt_i32_e64 s3, s18, v137
	v_or_b32_e32 v141, 10, v135
	v_cmp_gt_i32_e64 s4, s18, v138
	v_cmp_gt_i32_e64 s5, s18, v139
	v_or_b32_e32 v142, 12, v135
	v_or_b32_e32 v143, 14, v135
	v_cmp_gt_i32_e64 s6, s18, v140
	v_cmp_gt_i32_e64 s7, s18, v141
	v_or_b32_e32 v144, 16, v135
	v_or_b32_e32 v145, 18, v135
	v_cmp_gt_i32_e64 s8, s18, v142
	v_cmp_gt_i32_e64 s9, s18, v143
	buffer_gl0_inv
	v_cmp_gt_i32_e64 s10, s18, v144
	v_cmp_gt_i32_e64 s11, s18, v145
	v_wmma_f32_16x16x16_f16 v[127:134], v[71:78], v[103:110], v[119:126]
	v_wmma_f32_16x16x16_f16 v[119:126], v[79:86], v[103:110], v[119:126]
	v_or_b32_e32 v71, 20, v135
	v_or_b32_e32 v72, 22, v135
	s_delay_alu instid0(VALU_DEP_4)
	v_wmma_f32_16x16x16_f16 v[127:134], v[87:94], v[111:118], v[127:134]
	v_or_b32_e32 v73, 24, v135
	v_wmma_f32_16x16x16_f16 v[119:126], v[95:102], v[111:118], v[119:126]
	v_or_b32_e32 v74, 26, v135
	v_cmp_gt_i32_e64 s12, s18, v71
	v_dual_mul_f32 v83, s19, v128 :: v_dual_mul_f32 v84, s19, v127
	v_dual_mul_f32 v81, s19, v130 :: v_dual_mul_f32 v82, s19, v129
	;; [unrolled: 1-line block ×3, first 2 shown]
	s_delay_alu instid0(VALU_DEP_3) | instskip(NEXT) | instid1(VALU_DEP_4)
	v_cndmask_b32_e32 v84, 0xff7fffff, v84, vcc_lo
	v_cndmask_b32_e64 v83, 0xff7fffff, v83, s3
	v_mul_f32_e32 v80, s19, v131
	v_cndmask_b32_e64 v82, 0xff7fffff, v82, s4
	v_cndmask_b32_e64 v81, 0xff7fffff, v81, s5
	v_dual_mul_f32 v77, s19, v134 :: v_dual_mul_f32 v90, s19, v121
	v_max3_f32 v83, v84, 0xff7fffff, v83
	v_mul_f32_e32 v78, s19, v133
	v_cndmask_b32_e64 v80, 0xff7fffff, v80, s6
	v_cndmask_b32_e64 v79, 0xff7fffff, v79, s7
	v_mul_f32_e32 v91, s19, v120
	v_max3_f32 v81, v83, v82, v81
	v_cndmask_b32_e64 v78, 0xff7fffff, v78, s8
	v_cndmask_b32_e64 v77, 0xff7fffff, v77, s9
	v_mul_f32_e32 v89, s19, v122
	v_cmp_gt_i32_e64 s13, s18, v72
	v_max3_f32 v79, v81, v80, v79
	v_cndmask_b32_e64 v80, 0xff7fffff, v92, s10
	v_cndmask_b32_e64 v81, 0xff7fffff, v91, s11
	v_or_b32_e32 v75, 28, v135
	v_or_b32_e32 v76, 30, v135
	v_max3_f32 v77, v79, v78, v77
	v_dual_mul_f32 v87, s19, v124 :: v_dual_mul_f32 v88, s19, v123
	v_cndmask_b32_e64 v71, 0xff7fffff, v90, s12
	v_cndmask_b32_e64 v72, 0xff7fffff, v89, s13
	s_delay_alu instid0(VALU_DEP_4) | instskip(SKIP_3) | instid1(VALU_DEP_4)
	v_max3_f32 v77, v77, v80, v81
	v_cmp_gt_i32_e64 s15, s18, v73
	v_cmp_gt_i32_e64 s16, s18, v74
	v_dual_mul_f32 v85, s19, v126 :: v_dual_mul_f32 v86, s19, v125
	v_max3_f32 v71, v77, v71, v72
	s_delay_alu instid0(VALU_DEP_4) | instskip(NEXT) | instid1(VALU_DEP_4)
	v_cndmask_b32_e64 v73, 0xff7fffff, v88, s15
	v_cndmask_b32_e64 v74, 0xff7fffff, v87, s16
	v_cmp_gt_i32_e64 s17, s18, v75
	v_cmp_gt_i32_e64 s18, s18, v76
	s_delay_alu instid0(VALU_DEP_3) | instskip(NEXT) | instid1(VALU_DEP_3)
	v_max3_f32 v71, v71, v73, v74
	v_cndmask_b32_e64 v72, 0xff7fffff, v86, s17
	s_delay_alu instid0(VALU_DEP_3) | instskip(SKIP_1) | instid1(VALU_DEP_2)
	v_cndmask_b32_e64 v75, 0xff7fffff, v85, s18
	v_lshlrev_b32_e32 v73, 2, v136
	v_max3_f32 v71, v71, v72, v75
	ds_bpermute_b32 v72, v73, v71
	s_waitcnt lgkmcnt(0)
	v_max_f32_e32 v72, v72, v72
	s_delay_alu instid0(VALU_DEP_1) | instskip(NEXT) | instid1(VALU_DEP_1)
	v_max_f32_e32 v71, v71, v72
	v_fma_f32 v72, s19, v127, -v71
	v_fma_f32 v74, s19, v128, -v71
	;; [unrolled: 1-line block ×5, first 2 shown]
	v_mul_f32_e32 v72, 0x3fb8aa3b, v72
	s_delay_alu instid0(VALU_DEP_4) | instskip(NEXT) | instid1(VALU_DEP_4)
	v_dual_mul_f32 v74, 0x3fb8aa3b, v74 :: v_dual_mul_f32 v75, 0x3fb8aa3b, v75
	v_mul_f32_e32 v76, 0x3fb8aa3b, v76
	s_delay_alu instid0(VALU_DEP_4) | instskip(NEXT) | instid1(VALU_DEP_4)
	v_mul_f32_e32 v82, 0x3fb8aa3b, v80
	v_exp_f32_e32 v72, v72
	s_delay_alu instid0(VALU_DEP_3)
	v_exp_f32_e32 v74, v74
	v_exp_f32_e32 v75, v75
	;; [unrolled: 1-line block ×3, first 2 shown]
	v_fma_f32 v77, s19, v131, -v71
	v_exp_f32_e32 v84, v82
	v_cndmask_b32_e32 v79, 0, v72, vcc_lo
	v_cndmask_b32_e64 v78, 0, v74, s3
	s_delay_alu instid0(TRANS32_DEP_3) | instskip(SKIP_1) | instid1(TRANS32_DEP_2)
	v_cndmask_b32_e64 v81, 0, v75, s4
	v_fma_f32 v72, s19, v132, -v71
	v_cndmask_b32_e64 v80, 0, v76, s5
	v_add_f32_e32 v74, 0, v79
	s_delay_alu instid0(TRANS32_DEP_1) | instskip(SKIP_2) | instid1(VALU_DEP_4)
	v_cndmask_b32_e64 v85, 0, v84, s8
	v_cmp_gt_u32_e64 s3, 16, v70
	v_mul_f32_e32 v72, 0x3fb8aa3b, v72
	v_add_f32_e32 v74, v74, v78
	s_delay_alu instid0(VALU_DEP_2) | instskip(NEXT) | instid1(VALU_DEP_1)
	v_exp_f32_e32 v72, v72
	v_add_f32_e32 v74, v74, v81
	s_delay_alu instid0(VALU_DEP_1) | instskip(NEXT) | instid1(VALU_DEP_1)
	v_dual_mul_f32 v77, 0x3fb8aa3b, v77 :: v_dual_add_f32 v74, v74, v80
	v_exp_f32_e32 v77, v77
	s_waitcnt_depctr 0xfff
	v_cndmask_b32_e64 v82, 0, v72, s7
	v_cndmask_b32_e64 v83, 0, v77, s6
	s_delay_alu instid0(VALU_DEP_1) | instskip(SKIP_4) | instid1(VALU_DEP_4)
	v_add_f32_e32 v72, v74, v83
	v_fma_f32 v75, s19, v134, -v71
	v_fma_f32 v76, s19, v119, -v71
	;; [unrolled: 1-line block ×4, first 2 shown]
	v_dual_add_f32 v72, v72, v82 :: v_dual_mul_f32 v75, 0x3fb8aa3b, v75
	s_delay_alu instid0(VALU_DEP_3) | instskip(NEXT) | instid1(VALU_DEP_3)
	v_dual_mul_f32 v76, 0x3fb8aa3b, v76 :: v_dual_mul_f32 v77, 0x3fb8aa3b, v77
	v_mul_f32_e32 v74, 0x3fb8aa3b, v74
	v_fma_f32 v86, s19, v122, -v71
	s_delay_alu instid0(VALU_DEP_4) | instskip(NEXT) | instid1(VALU_DEP_3)
	v_exp_f32_e32 v75, v75
	v_exp_f32_e32 v76, v76
	;; [unrolled: 1-line block ×4, first 2 shown]
	v_mul_f32_e32 v86, 0x3fb8aa3b, v86
	s_delay_alu instid0(VALU_DEP_1)
	v_exp_f32_e32 v88, v86
	v_cndmask_b32_e64 v84, 0, v75, s9
	v_fma_f32 v75, s19, v123, -v71
	v_add_f32_e32 v72, v72, v85
	v_cndmask_b32_e64 v87, 0, v76, s10
	v_fma_f32 v76, s19, v124, -v71
	s_delay_alu instid0(TRANS32_DEP_3) | instskip(NEXT) | instid1(VALU_DEP_4)
	v_cndmask_b32_e64 v86, 0, v77, s11
	v_dual_mul_f32 v75, 0x3fb8aa3b, v75 :: v_dual_add_f32 v72, v72, v84
	v_fma_f32 v77, s19, v125, -v71
	s_delay_alu instid0(VALU_DEP_4) | instskip(SKIP_1) | instid1(VALU_DEP_4)
	v_mul_f32_e32 v76, 0x3fb8aa3b, v76
	v_cndmask_b32_e64 v89, 0, v74, s12
	v_exp_f32_e32 v75, v75
	v_add_f32_e32 v72, v72, v87
	v_mul_f32_e32 v74, 0x3fb8aa3b, v77
	v_exp_f32_e32 v76, v76
	v_cndmask_b32_e64 v88, 0, v88, s13
	v_fma_f32 v77, s19, v126, -v71
	v_add_f32_e32 v72, v72, v86
	v_exp_f32_e32 v74, v74
	s_delay_alu instid0(TRANS32_DEP_3) | instskip(NEXT) | instid1(VALU_DEP_2)
	v_cndmask_b32_e64 v91, 0, v75, s15
	v_add_f32_e32 v72, v72, v89
	v_mul_f32_e32 v75, 0x3fb8aa3b, v77
	s_delay_alu instid0(TRANS32_DEP_2) | instskip(NEXT) | instid1(VALU_DEP_3)
	v_cndmask_b32_e64 v90, 0, v76, s16
	v_add_f32_e32 v72, v72, v88
	s_delay_alu instid0(VALU_DEP_3) | instskip(NEXT) | instid1(TRANS32_DEP_2)
	v_exp_f32_e32 v75, v75
	v_cndmask_b32_e64 v93, 0, v74, s17
	s_delay_alu instid0(VALU_DEP_2) | instskip(NEXT) | instid1(VALU_DEP_1)
	v_add_f32_e32 v72, v72, v91
	v_add_f32_e32 v72, v72, v90
	s_waitcnt_depctr 0xfff
	v_cndmask_b32_e64 v92, 0, v75, s18
	v_add_f32_e32 v72, v72, v93
	s_delay_alu instid0(VALU_DEP_1)
	v_add_f32_e32 v72, v72, v92
	ds_bpermute_b32 v73, v73, v72
	s_and_saveexec_b32 s4, s3
	s_cbranch_execz .LBB1126_12
; %bb.11:
	v_mul_u32_u24_e32 v70, 0x44, v69
	s_waitcnt lgkmcnt(0)
	v_add_f32_e32 v72, v72, v73
	s_delay_alu instid0(VALU_DEP_2) | instskip(NEXT) | instid1(VALU_DEP_1)
	v_lshl_add_u32 v70, v68, 2, v70
	v_add_nc_u32_e32 v70, 0x4000, v70
	ds_store_2addr_b32 v70, v71, v72 offset1:136
.LBB1126_12:
	s_or_b32 exec_lo, exec_lo, s4
	v_lshlrev_b32_e32 v70, 2, v68
	s_load_b32 s36, s[0:1], 0x94
	s_waitcnt lgkmcnt(0)
	s_barrier
	buffer_gl0_inv
	v_add_nc_u32_e32 v98, 0x4000, v70
	v_cmp_eq_u32_e32 vcc_lo, 1, v69
	v_cmp_eq_u32_e64 s4, 2, v69
	v_cmp_eq_u32_e64 s5, 3, v69
	v_cmp_eq_u32_e64 s6, 4, v69
	ds_load_2addr_b32 v[70:71], v98 offset1:17
	ds_load_2addr_b32 v[72:73], v98 offset0:34 offset1:51
	ds_load_2addr_b32 v[74:75], v98 offset0:68 offset1:85
	ds_load_2addr_b32 v[94:95], v98 offset0:102 offset1:119
	v_cmp_eq_u32_e64 s7, 5, v69
	v_cmp_eq_u32_e64 s8, 7, v69
	s_waitcnt lgkmcnt(3)
	v_max3_f32 v76, v70, 0xff7fffff, v71
	s_waitcnt lgkmcnt(2)
	s_delay_alu instid0(VALU_DEP_1) | instskip(SKIP_1) | instid1(VALU_DEP_1)
	v_max3_f32 v76, v76, v72, v73
	s_waitcnt lgkmcnt(1)
	v_max3_f32 v76, v76, v74, v75
	s_waitcnt lgkmcnt(0)
	s_delay_alu instid0(VALU_DEP_1) | instskip(NEXT) | instid1(VALU_DEP_1)
	v_max3_f32 v76, v76, v94, v95
	v_sub_f32_e32 v77, v71, v76
	ds_load_2addr_b32 v[96:97], v98 offset0:136 offset1:153
	v_sub_f32_e32 v74, v74, v76
	v_sub_f32_e32 v70, v70, v76
	;; [unrolled: 1-line block ×3, first 2 shown]
	v_dual_sub_f32 v72, v72, v76 :: v_dual_mul_f32 v77, 0x3fb8aa3b, v77
	s_delay_alu instid0(VALU_DEP_4) | instskip(NEXT) | instid1(VALU_DEP_4)
	v_mul_f32_e32 v103, 0x3fb8aa3b, v74
	v_mul_f32_e32 v99, 0x3fb8aa3b, v70
	ds_load_2addr_b32 v[70:71], v98 offset0:170 offset1:187
	v_dual_mul_f32 v101, 0x3fb8aa3b, v72 :: v_dual_mul_f32 v94, 0x3fb8aa3b, v94
	v_exp_f32_e32 v102, v77
	v_exp_f32_e32 v99, v99
	s_delay_alu instid0(VALU_DEP_1) | instskip(NEXT) | instid1(VALU_DEP_1)
	v_exp_f32_e32 v101, v101
	v_exp_f32_e32 v94, v94
	s_waitcnt lgkmcnt(1)
	s_delay_alu instid0(TRANS32_DEP_3)
	v_fma_f32 v77, v99, v96, 0
	v_sub_f32_e32 v100, v73, v76
	ds_load_2addr_b32 v[72:73], v98 offset0:204 offset1:221
	v_fmac_f32_e32 v77, v102, v97
	v_exp_f32_e32 v97, v103
	s_waitcnt lgkmcnt(1)
	s_delay_alu instid0(VALU_DEP_1)
	v_dual_fmac_f32 v77, v101, v70 :: v_dual_sub_f32 v96, v75, v76
	ds_load_2addr_b32 v[74:75], v98 offset0:238 offset1:255
	v_sub_f32_e32 v70, v95, v76
	s_waitcnt lgkmcnt(0)
	s_barrier
	v_mul_f32_e32 v96, 0x3fb8aa3b, v96
	buffer_gl0_inv
	v_exp_f32_e32 v95, v96
	v_mul_f32_e32 v100, 0x3fb8aa3b, v100
	s_delay_alu instid0(VALU_DEP_1) | instskip(SKIP_3) | instid1(VALU_DEP_2)
	v_exp_f32_e32 v100, v100
	s_waitcnt_depctr 0xfff
	v_dual_fmac_f32 v77, v100, v71 :: v_dual_mul_f32 v70, 0x3fb8aa3b, v70
	v_cndmask_b32_e32 v71, v99, v102, vcc_lo
	v_fmac_f32_e32 v77, v97, v72
	s_delay_alu instid0(VALU_DEP_3) | instskip(NEXT) | instid1(VALU_DEP_1)
	v_exp_f32_e32 v96, v70
	v_fmac_f32_e32 v77, v95, v73
	s_delay_alu instid0(VALU_DEP_1) | instskip(SKIP_2) | instid1(VALU_DEP_1)
	v_fmac_f32_e32 v77, v94, v74
	s_waitcnt_depctr 0xfff
	v_fmac_f32_e32 v77, v96, v75
	v_add_f32_e32 v74, 0x358637bd, v77
	s_delay_alu instid0(VALU_DEP_1) | instskip(SKIP_1) | instid1(VALU_DEP_2)
	v_div_scale_f32 v98, null, v74, v74, 1.0
	v_div_scale_f32 v99, vcc_lo, 1.0, v74, 1.0
	v_rcp_f32_e32 v103, v98
	s_waitcnt_depctr 0xfff
	v_fma_f32 v70, -v98, v103, 1.0
	s_delay_alu instid0(VALU_DEP_1) | instskip(SKIP_2) | instid1(VALU_DEP_2)
	v_fmac_f32_e32 v103, v70, v103
	v_cndmask_b32_e64 v70, v71, v101, s4
	v_cmp_eq_u32_e64 s4, 6, v69
	v_cndmask_b32_e64 v71, v70, v100, s5
	s_delay_alu instid0(VALU_DEP_4) | instskip(NEXT) | instid1(VALU_DEP_2)
	v_dual_mul_f32 v101, v99, v103 :: v_dual_lshlrev_b32 v70, 2, v66
	v_cndmask_b32_e64 v71, v71, v97, s6
	s_delay_alu instid0(VALU_DEP_2) | instskip(NEXT) | instid1(VALU_DEP_3)
	v_or_b32_e32 v72, 1, v70
	v_fma_f32 v100, -v98, v101, v99
	v_cmp_eq_u32_e64 s5, 1, v70
	v_cmp_eq_u32_e64 s6, 2, v70
	v_cndmask_b32_e64 v95, v71, v95, s7
	v_or_b32_e32 v71, 3, v70
	v_fmac_f32_e32 v101, v100, v103
	v_cmp_eq_u32_e64 s10, 1, v72
	v_cmp_eq_u32_e64 s13, 2, v72
	v_cndmask_b32_e64 v94, v95, v94, s4
	v_cmp_eq_u32_e64 s12, 1, v71
	v_fma_f32 v97, -v98, v101, v99
	v_cmp_eq_u32_e64 s17, 2, v71
	v_cmp_eq_u32_e64 s15, 3, v72
	v_cndmask_b32_e64 v94, v94, v96, s8
	v_cmp_eq_u32_e64 s19, 3, v71
	v_div_fmas_f32 v95, v97, v103, v101
	v_cmp_eq_u32_e32 vcc_lo, 3, v70
	v_cmp_eq_u32_e64 s4, 4, v70
	v_cmp_eq_u32_e64 s20, 4, v72
	v_cmp_eq_u32_e64 s23, 4, v71
	v_div_fixup_f32 v95, v95, v74, 1.0
	v_lshlrev_b32_e32 v73, 6, v68
	v_cmp_eq_u32_e64 s7, 5, v70
	v_cmp_eq_u32_e64 s21, 5, v72
	;; [unrolled: 1-line block ×3, first 2 shown]
	v_mul_f32_e32 v102, v94, v95
	v_lshl_or_b32 v75, v69, 11, v73
	v_or_b32_e32 v69, 2, v70
	v_cmp_eq_u32_e64 s26, 6, v72
	v_cmp_eq_u32_e64 s28, 6, v71
	v_fma_mixlo_f16 v94, v102, v79, 0
	v_fma_mixlo_f16 v95, v102, v81, 0
	;; [unrolled: 1-line block ×8, first 2 shown]
	v_lshl_or_b32 v74, v66, 4, v75
	v_fma_mixhi_f16 v94, v102, v78, 0
	v_fma_mixhi_f16 v95, v102, v80, 0
	;; [unrolled: 1-line block ×8, first 2 shown]
	ds_store_b128 v74, v[94:97]
	ds_store_b128 v74, v[98:101] offset:1024
	s_waitcnt lgkmcnt(0)
	s_barrier
	buffer_gl0_inv
	ds_load_b128 v[78:81], v75
	ds_load_b128 v[82:85], v75 offset:16
	ds_load_b128 v[86:89], v75 offset:1024
	;; [unrolled: 1-line block ×3, first 2 shown]
	v_cmp_eq_u32_e64 s11, 1, v69
	v_cmp_eq_u32_e64 s16, 2, v69
	v_cmp_eq_u32_e64 s18, 3, v69
	v_cmp_eq_u32_e64 s22, 4, v69
	v_cmp_eq_u32_e64 s24, 5, v69
	v_cmp_eq_u32_e64 s8, 6, v70
	v_cmp_eq_u32_e64 s27, 6, v69
	v_cmp_eq_u32_e64 s30, 7, v71
	v_cmp_eq_u32_e64 s31, 7, v72
	v_cmp_eq_u32_e64 s9, 7, v70
	v_cmp_eq_u32_e64 s29, 7, v69
	s_waitcnt lgkmcnt(3)
	v_lshrrev_b32_e32 v94, 16, v78
	s_waitcnt lgkmcnt(2)
	v_lshrrev_b32_e32 v98, 16, v82
	;; [unrolled: 2-line block ×4, first 2 shown]
	v_lshrrev_b32_e32 v95, 16, v79
	v_cndmask_b32_e64 v110, v78, v94, s5
	v_cndmask_b32_e64 v111, v82, v98, s5
	;; [unrolled: 1-line block ×8, first 2 shown]
	v_lshrrev_b32_e32 v99, 16, v83
	v_cndmask_b32_e64 v94, v86, v102, s5
	v_cndmask_b32_e64 v98, v90, v106, s5
	;; [unrolled: 1-line block ×15, first 2 shown]
	v_lshrrev_b32_e32 v103, 16, v87
	v_lshrrev_b32_e32 v107, 16, v91
	v_cndmask_b32_e64 v113, v115, v83, s16
	v_cndmask_b32_e64 v82, v94, v87, s6
	;; [unrolled: 1-line block ×7, first 2 shown]
	v_cndmask_b32_e32 v90, v102, v95, vcc_lo
	v_cndmask_b32_e32 v102, v106, v99, vcc_lo
	v_cndmask_b32_e64 v106, v110, v95, s15
	v_cndmask_b32_e64 v110, v111, v99, s15
	;; [unrolled: 1-line block ×4, first 2 shown]
	v_lshrrev_b32_e32 v96, 16, v80
	v_lshrrev_b32_e32 v100, 16, v84
	v_cndmask_b32_e64 v111, v112, v95, s18
	v_cndmask_b32_e64 v112, v113, v99, s18
	v_cndmask_b32_e32 v82, v82, v103, vcc_lo
	v_cndmask_b32_e32 v83, v83, v107, vcc_lo
	v_cndmask_b32_e64 v94, v94, v103, s15
	v_cndmask_b32_e64 v90, v90, v80, s4
	;; [unrolled: 1-line block ×7, first 2 shown]
	v_lshrrev_b32_e32 v104, 16, v88
	v_cndmask_b32_e64 v106, v111, v80, s22
	v_cndmask_b32_e64 v110, v112, v84, s22
	;; [unrolled: 1-line block ×11, first 2 shown]
	v_lshrrev_b32_e32 v97, 16, v81
	v_lshrrev_b32_e32 v101, 16, v85
	v_cndmask_b32_e64 v99, v106, v96, s24
	v_cndmask_b32_e64 v102, v110, v100, s24
	;; [unrolled: 1-line block ×7, first 2 shown]
	v_lshrrev_b32_e32 v105, 16, v89
	v_cndmask_b32_e64 v80, v80, v104, s7
	v_cndmask_b32_e64 v84, v84, v81, s8
	;; [unrolled: 1-line block ×16, first 2 shown]
	v_perm_b32 v81, v79, v78, 0x5040100
	v_perm_b32 v79, v95, v85, 0x5040100
	v_cndmask_b32_e64 v78, v119, v91, s16
	v_cndmask_b32_e64 v85, v117, v91, s13
	;; [unrolled: 1-line block ×3, first 2 shown]
	v_perm_b32 v80, v94, v90, 0x5040100
	v_cndmask_b32_e64 v90, v98, v103, s18
	v_cndmask_b32_e64 v86, v86, v103, s19
	;; [unrolled: 1-line block ×5, first 2 shown]
	v_lshrrev_b32_e32 v108, 16, v92
	v_cndmask_b32_e64 v90, v90, v88, s22
	v_cndmask_b32_e64 v86, v86, v88, s23
	;; [unrolled: 1-line block ×11, first 2 shown]
	v_lshrrev_b32_e32 v109, 16, v93
	v_cndmask_b32_e64 v82, v82, v93, s8
	v_cndmask_b32_e64 v88, v88, v89, s27
	v_cndmask_b32_e64 v86, v86, v89, s28
	v_cndmask_b32_e64 v87, v87, v93, s28
	v_cndmask_b32_e64 v78, v78, v93, s27
	v_cndmask_b32_e64 v85, v85, v93, s26
	v_cndmask_b32_e64 v88, v88, v105, s29
	v_cndmask_b32_e64 v86, v86, v105, s30
	v_cndmask_b32_e64 v87, v87, v109, s30
	v_cndmask_b32_e64 v89, v78, v109, s29
	v_cndmask_b32_e64 v90, v85, v109, s31
	v_cndmask_b32_e64 v82, v82, v109, s9
	v_perm_b32 v78, v84, v83, 0x5040100
	v_perm_b32 v85, v87, v86, 0x5040100
	;; [unrolled: 1-line block ×5, first 2 shown]
	s_mul_i32 s9, s35, 9
	s_mov_b32 s4, exec_lo
	ds_store_b128 v74, v[78:81]
	ds_store_b128 v74, v[82:85] offset:1024
	v_cmpx_gt_u32_e32 9, v0
	s_cbranch_execz .LBB1126_14
; %bb.13:
	s_mul_i32 s5, s9, s34
	s_load_b128 s[16:19], s[0:1], 0x58
	v_add3_u32 v68, s5, s33, v68
	s_delay_alu instid0(VALU_DEP_1) | instskip(NEXT) | instid1(VALU_DEP_1)
	v_mad_u64_u32 v[78:79], null, v68, s36, s[14:15]
	v_ashrrev_i32_e32 v79, 31, v78
	s_delay_alu instid0(VALU_DEP_1) | instskip(SKIP_1) | instid1(VALU_DEP_1)
	v_lshlrev_b64 v[78:79], 2, v[78:79]
	s_waitcnt lgkmcnt(0)
	v_add_co_u32 v80, vcc_lo, s18, v78
	s_delay_alu instid0(VALU_DEP_2)
	v_add_co_ci_u32_e32 v81, vcc_lo, s19, v79, vcc_lo
	v_add_co_u32 v78, vcc_lo, s16, v78
	v_add_co_ci_u32_e32 v79, vcc_lo, s17, v79, vcc_lo
	global_store_b32 v[80:81], v76, off
	global_store_b32 v[78:79], v77, off
.LBB1126_14:
	s_or_b32 exec_lo, exec_lo, s4
	s_waitcnt lgkmcnt(0)
	s_waitcnt_vscnt null, 0x0
	s_barrier
	buffer_gl0_inv
	ds_load_b128 v[84:87], v73
	ds_load_b128 v[88:91], v73 offset:16
	ds_load_b128 v[96:99], v73 offset:2064
	;; [unrolled: 1-line block ×5, first 2 shown]
	v_cmp_eq_u32_e32 vcc_lo, 1, v70
	v_mov_b32_e32 v76, 0
	ds_load_b128 v[112:115], v73 offset:6160
	ds_load_b128 v[108:111], v73 offset:6144
	;; [unrolled: 1-line block ×4, first 2 shown]
	v_cmp_eq_u32_e64 s5, 1, v69
	v_cmp_eq_u32_e64 s4, 1, v72
	;; [unrolled: 1-line block ×3, first 2 shown]
	v_mov_b32_e32 v77, v76
	v_mov_b32_e32 v78, v76
	v_mov_b32_e32 v79, v76
	v_mov_b32_e32 v80, v76
	v_mov_b32_e32 v81, v76
	v_mov_b32_e32 v82, v76
	v_mov_b32_e32 v83, v76
	v_cmp_eq_u32_e64 s7, 3, v72
	v_cmp_eq_u32_e64 s8, 7, v72
	s_waitcnt lgkmcnt(8)
	s_delay_alu instid0(VALU_DEP_3)
	v_wmma_f32_16x16x16_f16 v[76:83], v[49:56], v[84:91], v[76:83]
	ds_load_b128 v[53:56], v73 offset:10256
	ds_load_b128 v[49:52], v73 offset:10240
	s_waitcnt lgkmcnt(8)
	v_wmma_f32_16x16x16_f16 v[76:83], v[41:48], v[92:99], v[76:83]
	ds_load_b128 v[45:48], v73 offset:12304
	ds_load_b128 v[41:44], v73 offset:12288
	s_waitcnt lgkmcnt(8)
	;; [unrolled: 4-line block ×3, first 2 shown]
	s_barrier
	buffer_gl0_inv
	v_wmma_f32_16x16x16_f16 v[76:83], v[1:8], v[108:115], v[76:83]
	s_delay_alu instid0(VALU_DEP_1) | instskip(NEXT) | instid1(VALU_DEP_1)
	v_wmma_f32_16x16x16_f16 v[76:83], v[9:16], v[116:123], v[76:83]
	v_wmma_f32_16x16x16_f16 v[76:83], v[17:24], v[49:56], v[76:83]
	s_delay_alu instid0(VALU_DEP_1) | instskip(NEXT) | instid1(VALU_DEP_1)
	v_wmma_f32_16x16x16_f16 v[76:83], v[25:32], v[41:48], v[76:83]
	v_wmma_f32_16x16x16_f16 v[76:83], v[57:64], v[33:40], v[76:83]
	s_delay_alu instid0(VALU_DEP_1) | instskip(NEXT) | instid1(VALU_DEP_2)
	v_cvt_f16_f32_e32 v1, v76
	v_cvt_f16_f32_e32 v2, v77
	s_delay_alu instid0(VALU_DEP_3) | instskip(NEXT) | instid1(VALU_DEP_4)
	v_cvt_f16_f32_e32 v3, v78
	v_cvt_f16_f32_e32 v4, v79
	;; [unrolled: 1-line block ×6, first 2 shown]
	v_pack_b32_f16 v1, v1, v2
	v_pack_b32_f16 v2, v3, v4
	;; [unrolled: 1-line block ×3, first 2 shown]
	s_delay_alu instid0(VALU_DEP_4)
	v_pack_b32_f16 v4, v7, v8
	ds_store_b128 v74, v[1:4]
	s_waitcnt lgkmcnt(0)
	s_barrier
	buffer_gl0_inv
	ds_load_b128 v[1:4], v75
	ds_load_b128 v[5:8], v75 offset:16
	s_waitcnt lgkmcnt(1)
	v_lshrrev_b32_e32 v9, 16, v1
	s_waitcnt lgkmcnt(0)
	v_lshrrev_b32_e32 v13, 16, v5
	v_lshrrev_b32_e32 v10, 16, v2
	;; [unrolled: 1-line block ×4, first 2 shown]
	v_cndmask_b32_e32 v17, v1, v9, vcc_lo
	v_cndmask_b32_e32 v18, v5, v13, vcc_lo
	v_cndmask_b32_e64 v21, v1, v9, s5
	v_cmp_eq_u32_e32 vcc_lo, 1, v71
	v_cndmask_b32_e64 v22, v5, v13, s5
	v_cmp_eq_u32_e64 s5, 2, v70
	v_cndmask_b32_e64 v19, v1, v9, s4
	v_cndmask_b32_e64 v20, v5, v13, s4
	v_cndmask_b32_e32 v1, v1, v9, vcc_lo
	v_cmp_eq_u32_e64 s4, 2, v71
	v_cndmask_b32_e32 v5, v5, v13, vcc_lo
	v_cndmask_b32_e64 v9, v17, v2, s5
	v_cmp_eq_u32_e32 vcc_lo, 3, v70
	v_cndmask_b32_e64 v13, v18, v6, s5
	v_cmp_eq_u32_e64 s5, 2, v69
	v_cndmask_b32_e64 v17, v19, v2, s6
	v_cndmask_b32_e64 v18, v20, v6, s6
	v_cmp_eq_u32_e64 s6, 3, v69
	v_cndmask_b32_e64 v1, v1, v2, s4
	v_cndmask_b32_e64 v19, v21, v2, s5
	;; [unrolled: 1-line block ×4, first 2 shown]
	v_cndmask_b32_e32 v5, v9, v10, vcc_lo
	v_cndmask_b32_e32 v6, v13, v14, vcc_lo
	v_cmp_eq_u32_e32 vcc_lo, 3, v71
	v_cndmask_b32_e64 v9, v17, v10, s7
	v_cndmask_b32_e64 v13, v18, v14, s7
	;; [unrolled: 1-line block ×3, first 2 shown]
	v_cmp_eq_u32_e64 s5, 4, v70
	v_cndmask_b32_e32 v1, v1, v10, vcc_lo
	v_cndmask_b32_e32 v2, v2, v14, vcc_lo
	v_cmp_eq_u32_e32 vcc_lo, 4, v72
	v_lshrrev_b32_e32 v15, 16, v7
	v_lshrrev_b32_e32 v16, 16, v8
	v_cndmask_b32_e64 v17, v19, v10, s6
	v_cmp_eq_u32_e64 s4, 4, v71
	v_cndmask_b32_e64 v5, v5, v3, s5
	v_cndmask_b32_e64 v6, v6, v7, s5
	v_cndmask_b32_e32 v9, v9, v3, vcc_lo
	v_cmp_eq_u32_e64 s5, 5, v72
	v_cndmask_b32_e32 v10, v13, v7, vcc_lo
	v_cmp_eq_u32_e32 vcc_lo, 4, v69
	v_cmp_eq_u32_e64 s6, 5, v70
	v_cndmask_b32_e64 v2, v2, v7, s4
	v_cndmask_b32_e64 v9, v9, v11, s5
	;; [unrolled: 1-line block ×3, first 2 shown]
	v_cndmask_b32_e32 v13, v17, v3, vcc_lo
	v_cmp_eq_u32_e64 s5, 5, v69
	v_cndmask_b32_e32 v14, v18, v7, vcc_lo
	v_cndmask_b32_e64 v1, v1, v3, s4
	v_cmp_eq_u32_e32 vcc_lo, 5, v71
	v_lshrrev_b32_e32 v12, 16, v4
	v_cndmask_b32_e64 v13, v13, v11, s5
	v_cndmask_b32_e64 v3, v14, v15, s5
	v_cmp_eq_u32_e64 s5, 6, v71
	v_cndmask_b32_e32 v1, v1, v11, vcc_lo
	v_cndmask_b32_e64 v5, v5, v11, s6
	v_cmp_eq_u32_e64 s7, 6, v70
	v_cndmask_b32_e64 v6, v6, v15, s6
	v_cmp_eq_u32_e64 s6, 6, v72
	v_cmp_eq_u32_e64 s4, 6, v69
	v_cndmask_b32_e64 v1, v1, v4, s5
	v_cndmask_b32_e32 v2, v2, v15, vcc_lo
	v_cmp_eq_u32_e32 vcc_lo, 7, v71
	v_cndmask_b32_e64 v5, v5, v4, s7
	v_cndmask_b32_e64 v9, v9, v4, s6
	;; [unrolled: 1-line block ×3, first 2 shown]
	v_cmp_eq_u32_e64 s7, 7, v70
	v_cndmask_b32_e32 v1, v1, v12, vcc_lo
	v_cndmask_b32_e64 v7, v13, v4, s4
	v_cndmask_b32_e64 v3, v3, v8, s4
	;; [unrolled: 1-line block ×3, first 2 shown]
	v_cmp_eq_u32_e64 s4, 7, v69
	v_cndmask_b32_e64 v4, v10, v8, s6
	v_cndmask_b32_e64 v5, v5, v12, s7
	;; [unrolled: 1-line block ×3, first 2 shown]
	v_cndmask_b32_e32 v2, v2, v16, vcc_lo
	v_cndmask_b32_e64 v7, v7, v12, s4
	v_cndmask_b32_e64 v3, v3, v16, s4
	;; [unrolled: 1-line block ×4, first 2 shown]
	v_cmp_gt_u32_e32 vcc_lo, 32, v0
	v_perm_b32 v4, v2, v1, 0x5040100
	v_perm_b32 v3, v3, v7, 0x5040100
	;; [unrolled: 1-line block ×4, first 2 shown]
	s_and_b32 s2, vcc_lo, s2
	ds_store_b128 v74, v[1:4]
	s_waitcnt lgkmcnt(0)
	s_barrier
	buffer_gl0_inv
	s_and_saveexec_b32 s4, s2
	s_cbranch_execz .LBB1126_2
; %bb.15:
	s_load_b64 s[4:5], s[0:1], 0x68
	v_lshlrev_b32_e32 v0, 10, v0
	v_lshlrev_b32_e32 v1, 4, v67
	s_lshl_b32 s0, s36, 6
	v_add_nc_u32_e32 v2, s33, v66
	s_mul_i32 s1, s0, s34
	s_delay_alu instid0(SALU_CYCLE_1) | instskip(SKIP_1) | instid1(VALU_DEP_2)
	s_mul_i32 s6, s1, s9
	v_and_or_b32 v0, 0x3800, v0, v1
	v_mul_lo_u32 v1, v2, s0
	s_ashr_i32 s7, s6, 31
	v_add_nc_u32_e32 v3, 2, v2
	s_lshl_b64 s[6:7], s[6:7], 1
	v_add_nc_u32_e32 v4, 4, v2
	v_add_nc_u32_e32 v5, 6, v2
	v_lshl_or_b32 v15, v66, 6, v0
	v_mul_lo_u32 v3, v3, s0
	v_ashrrev_i32_e32 v2, 31, v1
	v_mul_lo_u32 v19, v4, s0
	v_mul_lo_u32 v21, v5, s0
	s_waitcnt lgkmcnt(0)
	s_add_u32 s1, s4, s6
	s_addc_u32 s2, s5, s7
	s_lshl_b32 s4, s14, 6
	v_lshlrev_b64 v[5:6], 1, v[1:2]
	s_ashr_i32 s5, s4, 31
	v_ashrrev_i32_e32 v4, 31, v3
	s_lshl_b64 s[4:5], s[4:5], 1
	v_ashrrev_i32_e32 v20, 31, v19
	s_add_u32 s1, s1, s4
	s_addc_u32 s2, s2, s5
	v_add_co_u32 v1, s1, s1, v65
	s_delay_alu instid0(VALU_DEP_1) | instskip(SKIP_1) | instid1(VALU_DEP_3)
	v_add_co_ci_u32_e64 v2, null, s2, 0, s1
	v_lshlrev_b64 v[25:26], 1, v[3:4]
	v_add_co_u32 v23, vcc_lo, v1, v5
	s_delay_alu instid0(VALU_DEP_3)
	v_add_co_ci_u32_e32 v24, vcc_lo, v2, v6, vcc_lo
	ds_load_b128 v[3:6], v15
	ds_load_b128 v[7:10], v15 offset:128
	ds_load_b128 v[11:14], v15 offset:256
	;; [unrolled: 1-line block ×3, first 2 shown]
	v_ashrrev_i32_e32 v22, 31, v21
	v_lshlrev_b64 v[19:20], 1, v[19:20]
	v_add_co_u32 v25, vcc_lo, v1, v25
	v_add_co_ci_u32_e32 v26, vcc_lo, v2, v26, vcc_lo
	s_delay_alu instid0(VALU_DEP_4) | instskip(NEXT) | instid1(VALU_DEP_4)
	v_lshlrev_b64 v[21:22], 1, v[21:22]
	v_add_co_u32 v19, vcc_lo, v1, v19
	v_add_co_ci_u32_e32 v20, vcc_lo, v2, v20, vcc_lo
	s_delay_alu instid0(VALU_DEP_3) | instskip(NEXT) | instid1(VALU_DEP_4)
	v_add_co_u32 v21, vcc_lo, v1, v21
	v_add_co_ci_u32_e32 v22, vcc_lo, v2, v22, vcc_lo
	s_waitcnt lgkmcnt(3)
	global_store_b128 v[23:24], v[3:6], off
	s_waitcnt lgkmcnt(2)
	global_store_b128 v[25:26], v[7:10], off
	;; [unrolled: 2-line block ×4, first 2 shown]
	s_and_b32 exec_lo, exec_lo, s3
	s_cbranch_execz .LBB1126_2
; %bb.16:
	ds_load_b128 v[3:6], v0 offset:512
	s_add_i32 s1, s33, 8
	s_delay_alu instid0(SALU_CYCLE_1) | instskip(NEXT) | instid1(SALU_CYCLE_1)
	s_mul_i32 s0, s1, s0
	s_ashr_i32 s1, s0, 31
	s_delay_alu instid0(SALU_CYCLE_1) | instskip(NEXT) | instid1(SALU_CYCLE_1)
	s_lshl_b64 s[0:1], s[0:1], 1
	v_add_co_u32 v0, vcc_lo, v1, s0
	v_add_co_ci_u32_e32 v1, vcc_lo, s1, v2, vcc_lo
	s_waitcnt lgkmcnt(0)
	global_store_b128 v[0:1], v[3:6], off
	s_nop 0
	s_sendmsg sendmsg(MSG_DEALLOC_VGPRS)
	s_endpgm
	.section	.rodata,"a",@progbits
	.p2align	6, 0x0
	.amdhsa_kernel _Z39paged_attention_ll4mi_QKV_mfma16_kernelIDF16_hLN4vllm18Fp8KVCacheDataTypeE1EDF16_Li16ELi64ELi256ELb1ELi9EL8MFMAType0EEvPKT_PKT0_S8_ifPKiSA_SA_iPKfiiiPfSD_PS3_PT2_iSC_SC_
		.amdhsa_group_segment_fixed_size 17472
		.amdhsa_private_segment_fixed_size 0
		.amdhsa_kernarg_size 400
		.amdhsa_user_sgpr_count 13
		.amdhsa_user_sgpr_dispatch_ptr 0
		.amdhsa_user_sgpr_queue_ptr 0
		.amdhsa_user_sgpr_kernarg_segment_ptr 1
		.amdhsa_user_sgpr_dispatch_id 0
		.amdhsa_user_sgpr_private_segment_size 0
		.amdhsa_wavefront_size32 1
		.amdhsa_uses_dynamic_stack 0
		.amdhsa_enable_private_segment 0
		.amdhsa_system_sgpr_workgroup_id_x 1
		.amdhsa_system_sgpr_workgroup_id_y 1
		.amdhsa_system_sgpr_workgroup_id_z 1
		.amdhsa_system_sgpr_workgroup_info 0
		.amdhsa_system_vgpr_workitem_id 0
		.amdhsa_next_free_vgpr 146
		.amdhsa_next_free_sgpr 37
		.amdhsa_reserve_vcc 1
		.amdhsa_float_round_mode_32 0
		.amdhsa_float_round_mode_16_64 0
		.amdhsa_float_denorm_mode_32 3
		.amdhsa_float_denorm_mode_16_64 3
		.amdhsa_dx10_clamp 1
		.amdhsa_ieee_mode 1
		.amdhsa_fp16_overflow 0
		.amdhsa_workgroup_processor_mode 1
		.amdhsa_memory_ordered 1
		.amdhsa_forward_progress 0
		.amdhsa_shared_vgpr_count 0
		.amdhsa_exception_fp_ieee_invalid_op 0
		.amdhsa_exception_fp_denorm_src 0
		.amdhsa_exception_fp_ieee_div_zero 0
		.amdhsa_exception_fp_ieee_overflow 0
		.amdhsa_exception_fp_ieee_underflow 0
		.amdhsa_exception_fp_ieee_inexact 0
		.amdhsa_exception_int_div_zero 0
	.end_amdhsa_kernel
	.section	.text._Z39paged_attention_ll4mi_QKV_mfma16_kernelIDF16_hLN4vllm18Fp8KVCacheDataTypeE1EDF16_Li16ELi64ELi256ELb1ELi9EL8MFMAType0EEvPKT_PKT0_S8_ifPKiSA_SA_iPKfiiiPfSD_PS3_PT2_iSC_SC_,"axG",@progbits,_Z39paged_attention_ll4mi_QKV_mfma16_kernelIDF16_hLN4vllm18Fp8KVCacheDataTypeE1EDF16_Li16ELi64ELi256ELb1ELi9EL8MFMAType0EEvPKT_PKT0_S8_ifPKiSA_SA_iPKfiiiPfSD_PS3_PT2_iSC_SC_,comdat
.Lfunc_end1126:
	.size	_Z39paged_attention_ll4mi_QKV_mfma16_kernelIDF16_hLN4vllm18Fp8KVCacheDataTypeE1EDF16_Li16ELi64ELi256ELb1ELi9EL8MFMAType0EEvPKT_PKT0_S8_ifPKiSA_SA_iPKfiiiPfSD_PS3_PT2_iSC_SC_, .Lfunc_end1126-_Z39paged_attention_ll4mi_QKV_mfma16_kernelIDF16_hLN4vllm18Fp8KVCacheDataTypeE1EDF16_Li16ELi64ELi256ELb1ELi9EL8MFMAType0EEvPKT_PKT0_S8_ifPKiSA_SA_iPKfiiiPfSD_PS3_PT2_iSC_SC_
                                        ; -- End function
	.section	.AMDGPU.csdata,"",@progbits
; Kernel info:
; codeLenInByte = 6576
; NumSgprs: 39
; NumVgprs: 146
; ScratchSize: 0
; MemoryBound: 0
; FloatMode: 240
; IeeeMode: 1
; LDSByteSize: 17472 bytes/workgroup (compile time only)
; SGPRBlocks: 4
; VGPRBlocks: 18
; NumSGPRsForWavesPerEU: 39
; NumVGPRsForWavesPerEU: 146
; Occupancy: 9
; WaveLimiterHint : 1
; COMPUTE_PGM_RSRC2:SCRATCH_EN: 0
; COMPUTE_PGM_RSRC2:USER_SGPR: 13
; COMPUTE_PGM_RSRC2:TRAP_HANDLER: 0
; COMPUTE_PGM_RSRC2:TGID_X_EN: 1
; COMPUTE_PGM_RSRC2:TGID_Y_EN: 1
; COMPUTE_PGM_RSRC2:TGID_Z_EN: 1
; COMPUTE_PGM_RSRC2:TIDIG_COMP_CNT: 0
	.section	.text._Z39paged_attention_ll4mi_QKV_mfma16_kernelIDF16_hLN4vllm18Fp8KVCacheDataTypeE1EDF16_Li16ELi64ELi256ELb1ELi10EL8MFMAType0EEvPKT_PKT0_S8_ifPKiSA_SA_iPKfiiiPfSD_PS3_PT2_iSC_SC_,"axG",@progbits,_Z39paged_attention_ll4mi_QKV_mfma16_kernelIDF16_hLN4vllm18Fp8KVCacheDataTypeE1EDF16_Li16ELi64ELi256ELb1ELi10EL8MFMAType0EEvPKT_PKT0_S8_ifPKiSA_SA_iPKfiiiPfSD_PS3_PT2_iSC_SC_,comdat
	.protected	_Z39paged_attention_ll4mi_QKV_mfma16_kernelIDF16_hLN4vllm18Fp8KVCacheDataTypeE1EDF16_Li16ELi64ELi256ELb1ELi10EL8MFMAType0EEvPKT_PKT0_S8_ifPKiSA_SA_iPKfiiiPfSD_PS3_PT2_iSC_SC_ ; -- Begin function _Z39paged_attention_ll4mi_QKV_mfma16_kernelIDF16_hLN4vllm18Fp8KVCacheDataTypeE1EDF16_Li16ELi64ELi256ELb1ELi10EL8MFMAType0EEvPKT_PKT0_S8_ifPKiSA_SA_iPKfiiiPfSD_PS3_PT2_iSC_SC_
	.globl	_Z39paged_attention_ll4mi_QKV_mfma16_kernelIDF16_hLN4vllm18Fp8KVCacheDataTypeE1EDF16_Li16ELi64ELi256ELb1ELi10EL8MFMAType0EEvPKT_PKT0_S8_ifPKiSA_SA_iPKfiiiPfSD_PS3_PT2_iSC_SC_
	.p2align	8
	.type	_Z39paged_attention_ll4mi_QKV_mfma16_kernelIDF16_hLN4vllm18Fp8KVCacheDataTypeE1EDF16_Li16ELi64ELi256ELb1ELi10EL8MFMAType0EEvPKT_PKT0_S8_ifPKiSA_SA_iPKfiiiPfSD_PS3_PT2_iSC_SC_,@function
_Z39paged_attention_ll4mi_QKV_mfma16_kernelIDF16_hLN4vllm18Fp8KVCacheDataTypeE1EDF16_Li16ELi64ELi256ELb1ELi10EL8MFMAType0EEvPKT_PKT0_S8_ifPKiSA_SA_iPKfiiiPfSD_PS3_PT2_iSC_SC_: ; @_Z39paged_attention_ll4mi_QKV_mfma16_kernelIDF16_hLN4vllm18Fp8KVCacheDataTypeE1EDF16_Li16ELi64ELi256ELb1ELi10EL8MFMAType0EEvPKT_PKT0_S8_ifPKiSA_SA_iPKfiiiPfSD_PS3_PT2_iSC_SC_
; %bb.0:
	s_load_b64 s[2:3], s[0:1], 0x30
	s_mov_b32 s34, s13
	s_waitcnt lgkmcnt(0)
	s_cmp_lg_u64 s[2:3], 0
	s_cselect_b32 s6, -1, 0
	s_ashr_i32 s35, s13, 31
	s_cmp_eq_u64 s[2:3], 0
	s_cbranch_scc1 .LBB1127_3
; %bb.1:
	s_lshl_b64 s[4:5], s[34:35], 2
	s_delay_alu instid0(SALU_CYCLE_1) | instskip(SKIP_4) | instid1(SALU_CYCLE_1)
	s_add_u32 s4, s2, s4
	s_addc_u32 s5, s3, s5
	s_load_b64 s[4:5], s[4:5], 0x0
	s_waitcnt lgkmcnt(0)
	s_sub_i32 s4, s5, s4
	s_cmp_eq_u32 s4, 1
	s_cselect_b32 s4, -1, 0
	s_delay_alu instid0(SALU_CYCLE_1)
	s_and_not1_b32 vcc_lo, exec_lo, s4
	s_cbranch_vccz .LBB1127_4
.LBB1127_2:
	s_endpgm
.LBB1127_3:
.LBB1127_4:
	s_load_b64 s[8:9], s[0:1], 0x28
	s_lshl_b64 s[4:5], s[34:35], 2
	s_waitcnt lgkmcnt(0)
	s_add_u32 s8, s8, s4
	s_addc_u32 s9, s9, s5
	s_lshl_b32 s16, s14, 8
	s_load_b32 s18, s[8:9], 0x0
	s_waitcnt lgkmcnt(0)
	s_cmp_ge_i32 s16, s18
	s_cbranch_scc1 .LBB1127_2
; %bb.5:
	s_clause 0x1
	s_load_b128 s[8:11], s[0:1], 0x8
	s_load_b64 s[12:13], s[0:1], 0x20
	s_and_not1_b32 vcc_lo, exec_lo, s6
	s_cbranch_vccnz .LBB1127_7
; %bb.6:
	s_add_u32 s2, s2, s4
	s_addc_u32 s3, s3, s5
	s_load_b32 s3, s[2:3], 0x0
	s_branch .LBB1127_8
.LBB1127_7:
	s_mov_b32 s3, s34
.LBB1127_8:
	s_load_b128 s[4:7], s[0:1], 0x48
	v_and_b32_e32 v68, 15, v0
	v_cmp_gt_u32_e32 vcc_lo, 0xa0, v0
	v_lshrrev_b32_e32 v69, 5, v0
	v_and_b32_e32 v70, 31, v0
	v_and_b32_e32 v67, 1, v0
	v_lshlrev_b32_e32 v1, 3, v68
	v_cmp_gt_u32_e64 s2, 8, v68
	v_bfe_u32 v66, v0, 4, 1
	s_mul_i32 s31, s15, 10
	s_delay_alu instid0(VALU_DEP_3) | instskip(NEXT) | instid1(VALU_DEP_3)
	v_lshlrev_b32_e32 v65, 1, v1
	s_and_b32 s17, vcc_lo, s2
	s_waitcnt lgkmcnt(0)
	s_and_saveexec_b32 s7, s17
	s_cbranch_execz .LBB1127_10
; %bb.9:
	s_load_b64 s[20:21], s[0:1], 0x0
	v_lshl_or_b32 v5, v69, 1, v66
	s_mul_hi_i32 s23, s3, s4
	s_mul_i32 s22, s3, s4
	v_lshlrev_b32_e32 v6, 10, v68
	s_lshl_b64 s[22:23], s[22:23], 1
	v_add_lshl_u32 v1, v5, s31, 6
	v_lshlrev_b32_e32 v5, 6, v5
	v_lshlrev_b32_e32 v7, 10, v67
	v_and_b32_e32 v6, 0x3800, v6
	s_delay_alu instid0(VALU_DEP_4) | instskip(NEXT) | instid1(VALU_DEP_2)
	v_ashrrev_i32_e32 v2, 31, v1
	v_or3_b32 v5, v6, v7, v5
	s_delay_alu instid0(VALU_DEP_2) | instskip(SKIP_3) | instid1(VALU_DEP_1)
	v_lshlrev_b64 v[1:2], 1, v[1:2]
	s_waitcnt lgkmcnt(0)
	s_add_u32 s3, s20, s22
	s_addc_u32 s4, s21, s23
	v_add_co_u32 v1, vcc_lo, s3, v1
	s_delay_alu instid0(VALU_DEP_2) | instskip(NEXT) | instid1(VALU_DEP_2)
	v_add_co_ci_u32_e32 v2, vcc_lo, s4, v2, vcc_lo
	v_add_co_u32 v1, vcc_lo, v1, v65
	s_delay_alu instid0(VALU_DEP_2)
	v_add_co_ci_u32_e32 v2, vcc_lo, 0, v2, vcc_lo
	global_load_b128 v[1:4], v[1:2], off
	s_waitcnt vmcnt(0)
	ds_store_b128 v5, v[1:4]
.LBB1127_10:
	s_or_b32 exec_lo, exec_lo, s7
	v_and_b32_e32 v1, 0xef, v0
	s_add_i32 s3, s18, 15
	s_clause 0x1
	s_load_b32 s4, s[0:1], 0x38
	s_load_b32 s33, s[0:1], 0x98
	s_ashr_i32 s7, s3, 31
	v_add_nc_u32_e32 v1, s16, v1
	s_lshr_b32 s7, s7, 28
	s_load_b32 s19, s[0:1], 0x1c
	v_add_nc_u32_e32 v103, -10, v68
	s_add_i32 s3, s3, s7
	v_ashrrev_i32_e32 v2, 31, v1
	v_or_b32_e32 v3, 16, v1
	s_ashr_i32 s3, s3, 4
	v_cmp_gt_i32_e32 vcc_lo, s18, v1
	s_add_i32 s3, s3, -1
	v_lshrrev_b32_e32 v2, 28, v2
	s_waitcnt lgkmcnt(0)
	s_barrier
	buffer_gl0_inv
	s_mul_i32 s15, s15, s6
	v_add_nc_u32_e32 v4, v1, v2
	v_mbcnt_lo_u32_b32 v127, -1, 0
	s_mul_i32 s20, s34, s4
	s_delay_alu instid0(SALU_CYCLE_1) | instskip(NEXT) | instid1(VALU_DEP_2)
	s_ashr_i32 s21, s20, 31
	v_ashrrev_i32_e32 v4, 4, v4
	v_add_nc_u32_e32 v2, v3, v2
	s_lshl_b64 s[20:21], s[20:21], 2
	v_xor_b32_e32 v128, 16, v127
	s_add_u32 s17, s12, s20
	v_cndmask_b32_e32 v1, s3, v4, vcc_lo
	v_ashrrev_i32_e32 v2, 4, v2
	v_cmp_gt_i32_e32 vcc_lo, s18, v3
	s_addc_u32 s13, s13, s21
	s_ashr_i32 s20, s15, 31
	s_add_u32 s4, s8, s15
	s_addc_u32 s12, s9, s20
	v_cndmask_b32_e32 v3, s3, v2, vcc_lo
	v_ashrrev_i32_e32 v2, 31, v1
	s_lshl_b32 s6, s14, 4
	s_delay_alu instid0(SALU_CYCLE_1) | instskip(NEXT) | instid1(VALU_DEP_2)
	s_ashr_i32 s7, s6, 31
	v_ashrrev_i32_e32 v4, 31, v3
	s_delay_alu instid0(VALU_DEP_2) | instskip(SKIP_1) | instid1(SALU_CYCLE_1)
	v_lshlrev_b64 v[1:2], 2, v[1:2]
	s_lshl_b64 s[6:7], s[6:7], 2
	s_add_u32 s6, s17, s6
	s_delay_alu instid0(VALU_DEP_2) | instskip(SKIP_1) | instid1(VALU_DEP_2)
	v_lshlrev_b64 v[3:4], 2, v[3:4]
	s_addc_u32 s7, s13, s7
	v_add_co_u32 v1, vcc_lo, s17, v1
	v_add_co_ci_u32_e32 v2, vcc_lo, s13, v2, vcc_lo
	s_delay_alu instid0(VALU_DEP_3) | instskip(NEXT) | instid1(VALU_DEP_4)
	v_add_co_u32 v3, vcc_lo, s17, v3
	v_add_co_ci_u32_e32 v4, vcc_lo, s13, v4, vcc_lo
	s_clause 0x1
	global_load_b32 v5, v[1:2], off
	global_load_b32 v7, v[3:4], off
	s_or_b32 s8, s16, 32
	v_lshlrev_b32_e32 v1, 4, v0
	s_ashr_i32 s9, s8, 4
	s_cmp_lt_i32 s8, s18
	v_cmp_gt_u32_e32 vcc_lo, 10, v68
	s_cselect_b32 s8, s9, s3
	v_and_b32_e32 v1, 0xf0, v1
	s_ashr_i32 s9, s8, 31
	s_delay_alu instid0(SALU_CYCLE_1)
	s_lshl_b64 s[8:9], s[8:9], 2
	v_cndmask_b32_e32 v103, v103, v68, vcc_lo
	s_add_u32 s8, s17, s8
	s_addc_u32 s9, s13, s9
	s_or_b32 s21, s16, 64
	v_add_co_u32 v1, s4, s4, v1
	s_ashr_i32 s22, s21, 4
	s_cmp_lt_i32 s21, s18
	v_add_co_ci_u32_e64 v2, null, s12, 0, s4
	s_cselect_b32 s22, s22, s3
	v_cmp_gt_i32_e32 vcc_lo, 32, v128
	s_ashr_i32 s23, s22, 31
	v_lshlrev_b32_e32 v115, 6, v103
	s_lshl_b64 s[22:23], s[22:23], 2
	v_cndmask_b32_e32 v136, v127, v128, vcc_lo
	s_add_u32 s22, s17, s22
	s_addc_u32 s23, s13, s23
	s_or_b32 s21, s16, 0x60
	s_delay_alu instid0(SALU_CYCLE_1) | instskip(SKIP_2) | instid1(SALU_CYCLE_1)
	s_ashr_i32 s24, s21, 4
	s_cmp_lt_i32 s21, s18
	s_cselect_b32 s24, s24, s3
	s_ashr_i32 s25, s24, 31
	s_delay_alu instid0(SALU_CYCLE_1) | instskip(NEXT) | instid1(SALU_CYCLE_1)
	s_lshl_b64 s[24:25], s[24:25], 2
	s_add_u32 s24, s17, s24
	s_addc_u32 s25, s13, s25
	s_or_b32 s21, s16, 0x80
	s_delay_alu instid0(SALU_CYCLE_1) | instskip(SKIP_2) | instid1(SALU_CYCLE_1)
	s_ashr_i32 s26, s21, 4
	s_cmp_lt_i32 s21, s18
	s_cselect_b32 s26, s26, s3
	s_ashr_i32 s27, s26, 31
	s_delay_alu instid0(SALU_CYCLE_1) | instskip(NEXT) | instid1(SALU_CYCLE_1)
	s_lshl_b64 s[26:27], s[26:27], 2
	;; [unrolled: 10-line block ×3, first 2 shown]
	s_add_u32 s28, s17, s28
	s_addc_u32 s29, s13, s29
	s_clause 0x5
	s_load_b32 s12, s[6:7], 0x0
	s_load_b32 s4, s[8:9], 0x0
	;; [unrolled: 1-line block ×6, first 2 shown]
	s_or_b32 s21, s16, 0xc0
	s_delay_alu instid0(SALU_CYCLE_1) | instskip(SKIP_2) | instid1(SALU_CYCLE_1)
	s_ashr_i32 s22, s21, 4
	s_cmp_lt_i32 s21, s18
	s_cselect_b32 s22, s22, s3
	s_ashr_i32 s23, s22, 31
	s_delay_alu instid0(SALU_CYCLE_1) | instskip(NEXT) | instid1(SALU_CYCLE_1)
	s_lshl_b64 s[22:23], s[22:23], 2
	s_add_u32 s22, s17, s22
	s_addc_u32 s23, s13, s23
	s_or_b32 s21, s16, 0xe0
	s_delay_alu instid0(SALU_CYCLE_1) | instskip(SKIP_2) | instid1(SALU_CYCLE_1)
	s_ashr_i32 s24, s21, 4
	s_cmp_lt_i32 s21, s18
	s_cselect_b32 s24, s24, s3
	s_ashr_i32 s25, s24, 31
	s_delay_alu instid0(SALU_CYCLE_1)
	s_lshl_b64 s[24:25], s[24:25], 2
	s_waitcnt vmcnt(1)
	v_mad_i64_i32 v[3:4], null, v5, s5, v[1:2]
	s_waitcnt vmcnt(0)
	v_mad_i64_i32 v[5:6], null, v7, s5, v[1:2]
	v_lshlrev_b32_e32 v1, 4, v68
	s_clause 0x7
	global_load_b128 v[71:74], v[3:4], off
	global_load_b128 v[75:78], v[3:4], off offset:256
	global_load_b128 v[79:82], v[5:6], off
	global_load_b128 v[83:86], v[5:6], off offset:256
	global_load_b128 v[87:90], v[3:4], off offset:512
	;; [unrolled: 1-line block ×5, first 2 shown]
	v_lshl_or_b32 v1, v69, 8, v1
	s_load_b32 s3, s[22:23], 0x0
	s_add_u32 s22, s17, s24
	s_addc_u32 s23, s13, s25
	s_add_u32 s10, s10, s15
	s_addc_u32 s11, s11, s20
	v_add_co_u32 v1, s10, s10, v1
	s_delay_alu instid0(VALU_DEP_1) | instskip(SKIP_2) | instid1(VALU_DEP_1)
	v_add_co_ci_u32_e64 v2, null, s11, 0, s10
	s_load_b32 s10, s[22:23], 0x0
	s_waitcnt lgkmcnt(0)
	v_mad_i64_i32 v[3:4], null, s12, s5, v[1:2]
	v_mad_i64_i32 v[9:10], null, s7, s5, v[1:2]
	;; [unrolled: 1-line block ×7, first 2 shown]
	s_clause 0x5
	global_load_b128 v[49:52], v[3:4], off
	global_load_b128 v[53:56], v[3:4], off offset:16
	global_load_b128 v[41:44], v[5:6], off
	global_load_b128 v[45:48], v[5:6], off offset:16
	;; [unrolled: 2-line block ×3, first 2 shown]
	s_mov_b32 s4, 0
	v_mad_i64_i32 v[61:62], null, s10, s5, v[1:2]
	s_clause 0x9
	global_load_b128 v[1:4], v[9:10], off
	global_load_b128 v[5:8], v[9:10], off offset:16
	global_load_b128 v[9:12], v[13:14], off
	global_load_b128 v[13:16], v[13:14], off offset:16
	;; [unrolled: 2-line block ×5, first 2 shown]
	s_mov_b32 s5, s4
	s_mov_b32 s6, s4
	;; [unrolled: 1-line block ×7, first 2 shown]
	v_and_b32_e32 v104, 0xe0, v0
	v_dual_mov_b32 v126, s11 :: v_dual_mov_b32 v125, s10
	v_dual_mov_b32 v124, s9 :: v_dual_mov_b32 v123, s8
	s_delay_alu instid0(VALU_DEP_3)
	v_add_nc_u32_e32 v111, s16, v104
	ds_load_b128 v[103:106], v115
	ds_load_b128 v[107:110], v115 offset:1024
	v_dual_mov_b32 v122, s7 :: v_dual_mov_b32 v121, s6
	v_mov_b32_e32 v120, s5
	v_or_b32_e32 v135, v111, v66
	ds_load_b128 v[111:114], v115 offset:2048
	ds_load_b128 v[115:118], v115 offset:3072
	v_mov_b32_e32 v119, s4
	s_waitcnt vmcnt(0) lgkmcnt(0)
	s_barrier
	v_or_b32_e32 v137, 2, v135
	v_or_b32_e32 v138, 4, v135
	v_or_b32_e32 v139, 6, v135
	v_cmp_gt_i32_e32 vcc_lo, s18, v135
	v_or_b32_e32 v140, 8, v135
	v_cmp_gt_i32_e64 s3, s18, v137
	v_or_b32_e32 v141, 10, v135
	v_cmp_gt_i32_e64 s4, s18, v138
	v_cmp_gt_i32_e64 s5, s18, v139
	v_or_b32_e32 v142, 12, v135
	v_or_b32_e32 v143, 14, v135
	v_cmp_gt_i32_e64 s6, s18, v140
	v_cmp_gt_i32_e64 s7, s18, v141
	v_or_b32_e32 v144, 16, v135
	v_or_b32_e32 v145, 18, v135
	v_cmp_gt_i32_e64 s8, s18, v142
	v_cmp_gt_i32_e64 s9, s18, v143
	buffer_gl0_inv
	v_cmp_gt_i32_e64 s10, s18, v144
	v_cmp_gt_i32_e64 s11, s18, v145
	v_wmma_f32_16x16x16_f16 v[127:134], v[71:78], v[103:110], v[119:126]
	v_wmma_f32_16x16x16_f16 v[119:126], v[79:86], v[103:110], v[119:126]
	v_or_b32_e32 v71, 20, v135
	v_or_b32_e32 v72, 22, v135
	s_delay_alu instid0(VALU_DEP_4)
	v_wmma_f32_16x16x16_f16 v[127:134], v[87:94], v[111:118], v[127:134]
	v_or_b32_e32 v73, 24, v135
	v_wmma_f32_16x16x16_f16 v[119:126], v[95:102], v[111:118], v[119:126]
	v_or_b32_e32 v74, 26, v135
	v_cmp_gt_i32_e64 s12, s18, v71
	v_dual_mul_f32 v83, s19, v128 :: v_dual_mul_f32 v84, s19, v127
	v_dual_mul_f32 v81, s19, v130 :: v_dual_mul_f32 v82, s19, v129
	;; [unrolled: 1-line block ×3, first 2 shown]
	s_delay_alu instid0(VALU_DEP_3) | instskip(NEXT) | instid1(VALU_DEP_4)
	v_cndmask_b32_e32 v84, 0xff7fffff, v84, vcc_lo
	v_cndmask_b32_e64 v83, 0xff7fffff, v83, s3
	v_mul_f32_e32 v80, s19, v131
	v_cndmask_b32_e64 v82, 0xff7fffff, v82, s4
	v_cndmask_b32_e64 v81, 0xff7fffff, v81, s5
	v_dual_mul_f32 v77, s19, v134 :: v_dual_mul_f32 v90, s19, v121
	v_max3_f32 v83, v84, 0xff7fffff, v83
	v_mul_f32_e32 v78, s19, v133
	v_cndmask_b32_e64 v80, 0xff7fffff, v80, s6
	v_cndmask_b32_e64 v79, 0xff7fffff, v79, s7
	v_mul_f32_e32 v91, s19, v120
	v_max3_f32 v81, v83, v82, v81
	v_cndmask_b32_e64 v78, 0xff7fffff, v78, s8
	v_cndmask_b32_e64 v77, 0xff7fffff, v77, s9
	v_mul_f32_e32 v89, s19, v122
	v_cmp_gt_i32_e64 s13, s18, v72
	v_max3_f32 v79, v81, v80, v79
	v_cndmask_b32_e64 v80, 0xff7fffff, v92, s10
	v_cndmask_b32_e64 v81, 0xff7fffff, v91, s11
	v_or_b32_e32 v75, 28, v135
	v_or_b32_e32 v76, 30, v135
	v_max3_f32 v77, v79, v78, v77
	v_dual_mul_f32 v87, s19, v124 :: v_dual_mul_f32 v88, s19, v123
	v_cndmask_b32_e64 v71, 0xff7fffff, v90, s12
	v_cndmask_b32_e64 v72, 0xff7fffff, v89, s13
	s_delay_alu instid0(VALU_DEP_4) | instskip(SKIP_3) | instid1(VALU_DEP_4)
	v_max3_f32 v77, v77, v80, v81
	v_cmp_gt_i32_e64 s15, s18, v73
	v_cmp_gt_i32_e64 s16, s18, v74
	v_dual_mul_f32 v85, s19, v126 :: v_dual_mul_f32 v86, s19, v125
	v_max3_f32 v71, v77, v71, v72
	s_delay_alu instid0(VALU_DEP_4) | instskip(NEXT) | instid1(VALU_DEP_4)
	v_cndmask_b32_e64 v73, 0xff7fffff, v88, s15
	v_cndmask_b32_e64 v74, 0xff7fffff, v87, s16
	v_cmp_gt_i32_e64 s17, s18, v75
	v_cmp_gt_i32_e64 s18, s18, v76
	s_delay_alu instid0(VALU_DEP_3) | instskip(NEXT) | instid1(VALU_DEP_3)
	v_max3_f32 v71, v71, v73, v74
	v_cndmask_b32_e64 v72, 0xff7fffff, v86, s17
	s_delay_alu instid0(VALU_DEP_3) | instskip(SKIP_1) | instid1(VALU_DEP_2)
	v_cndmask_b32_e64 v75, 0xff7fffff, v85, s18
	v_lshlrev_b32_e32 v73, 2, v136
	v_max3_f32 v71, v71, v72, v75
	ds_bpermute_b32 v72, v73, v71
	s_waitcnt lgkmcnt(0)
	v_max_f32_e32 v72, v72, v72
	s_delay_alu instid0(VALU_DEP_1) | instskip(NEXT) | instid1(VALU_DEP_1)
	v_max_f32_e32 v71, v71, v72
	v_fma_f32 v72, s19, v127, -v71
	v_fma_f32 v74, s19, v128, -v71
	;; [unrolled: 1-line block ×5, first 2 shown]
	v_mul_f32_e32 v72, 0x3fb8aa3b, v72
	s_delay_alu instid0(VALU_DEP_4) | instskip(NEXT) | instid1(VALU_DEP_4)
	v_dual_mul_f32 v74, 0x3fb8aa3b, v74 :: v_dual_mul_f32 v75, 0x3fb8aa3b, v75
	v_mul_f32_e32 v76, 0x3fb8aa3b, v76
	s_delay_alu instid0(VALU_DEP_4) | instskip(NEXT) | instid1(VALU_DEP_4)
	v_mul_f32_e32 v82, 0x3fb8aa3b, v80
	v_exp_f32_e32 v72, v72
	s_delay_alu instid0(VALU_DEP_3)
	v_exp_f32_e32 v74, v74
	v_exp_f32_e32 v75, v75
	;; [unrolled: 1-line block ×3, first 2 shown]
	v_fma_f32 v77, s19, v131, -v71
	v_exp_f32_e32 v84, v82
	v_cndmask_b32_e32 v79, 0, v72, vcc_lo
	v_cndmask_b32_e64 v78, 0, v74, s3
	s_delay_alu instid0(TRANS32_DEP_3) | instskip(SKIP_1) | instid1(TRANS32_DEP_2)
	v_cndmask_b32_e64 v81, 0, v75, s4
	v_fma_f32 v72, s19, v132, -v71
	v_cndmask_b32_e64 v80, 0, v76, s5
	v_add_f32_e32 v74, 0, v79
	s_delay_alu instid0(TRANS32_DEP_1) | instskip(SKIP_2) | instid1(VALU_DEP_3)
	v_cndmask_b32_e64 v85, 0, v84, s8
	s_mov_b32 s3, exec_lo
	v_mul_f32_e32 v72, 0x3fb8aa3b, v72
	v_add_f32_e32 v74, v74, v78
	s_delay_alu instid0(VALU_DEP_2) | instskip(NEXT) | instid1(VALU_DEP_1)
	v_exp_f32_e32 v72, v72
	v_add_f32_e32 v74, v74, v81
	s_delay_alu instid0(VALU_DEP_1) | instskip(NEXT) | instid1(VALU_DEP_1)
	v_dual_mul_f32 v77, 0x3fb8aa3b, v77 :: v_dual_add_f32 v74, v74, v80
	v_exp_f32_e32 v77, v77
	s_waitcnt_depctr 0xfff
	v_cndmask_b32_e64 v82, 0, v72, s7
	v_cndmask_b32_e64 v83, 0, v77, s6
	s_delay_alu instid0(VALU_DEP_1) | instskip(SKIP_4) | instid1(VALU_DEP_4)
	v_add_f32_e32 v72, v74, v83
	v_fma_f32 v75, s19, v134, -v71
	v_fma_f32 v76, s19, v119, -v71
	;; [unrolled: 1-line block ×4, first 2 shown]
	v_dual_add_f32 v72, v72, v82 :: v_dual_mul_f32 v75, 0x3fb8aa3b, v75
	s_delay_alu instid0(VALU_DEP_3) | instskip(NEXT) | instid1(VALU_DEP_3)
	v_dual_mul_f32 v76, 0x3fb8aa3b, v76 :: v_dual_mul_f32 v77, 0x3fb8aa3b, v77
	v_mul_f32_e32 v74, 0x3fb8aa3b, v74
	v_fma_f32 v86, s19, v122, -v71
	s_delay_alu instid0(VALU_DEP_4) | instskip(NEXT) | instid1(VALU_DEP_3)
	v_exp_f32_e32 v75, v75
	v_exp_f32_e32 v76, v76
	;; [unrolled: 1-line block ×4, first 2 shown]
	v_mul_f32_e32 v86, 0x3fb8aa3b, v86
	s_delay_alu instid0(VALU_DEP_1)
	v_exp_f32_e32 v88, v86
	v_cndmask_b32_e64 v84, 0, v75, s9
	v_fma_f32 v75, s19, v123, -v71
	v_add_f32_e32 v72, v72, v85
	v_cndmask_b32_e64 v87, 0, v76, s10
	v_fma_f32 v76, s19, v124, -v71
	s_delay_alu instid0(TRANS32_DEP_3) | instskip(NEXT) | instid1(VALU_DEP_4)
	v_cndmask_b32_e64 v86, 0, v77, s11
	v_dual_mul_f32 v75, 0x3fb8aa3b, v75 :: v_dual_add_f32 v72, v72, v84
	v_fma_f32 v77, s19, v125, -v71
	s_delay_alu instid0(VALU_DEP_4) | instskip(SKIP_1) | instid1(VALU_DEP_4)
	v_mul_f32_e32 v76, 0x3fb8aa3b, v76
	v_cndmask_b32_e64 v89, 0, v74, s12
	v_exp_f32_e32 v75, v75
	v_add_f32_e32 v72, v72, v87
	v_mul_f32_e32 v74, 0x3fb8aa3b, v77
	v_exp_f32_e32 v76, v76
	v_cndmask_b32_e64 v88, 0, v88, s13
	v_fma_f32 v77, s19, v126, -v71
	v_add_f32_e32 v72, v72, v86
	v_exp_f32_e32 v74, v74
	s_delay_alu instid0(TRANS32_DEP_3) | instskip(NEXT) | instid1(VALU_DEP_2)
	v_cndmask_b32_e64 v91, 0, v75, s15
	v_add_f32_e32 v72, v72, v89
	v_mul_f32_e32 v75, 0x3fb8aa3b, v77
	s_delay_alu instid0(TRANS32_DEP_2) | instskip(NEXT) | instid1(VALU_DEP_3)
	v_cndmask_b32_e64 v90, 0, v76, s16
	v_add_f32_e32 v72, v72, v88
	s_delay_alu instid0(VALU_DEP_3) | instskip(NEXT) | instid1(TRANS32_DEP_2)
	v_exp_f32_e32 v75, v75
	v_cndmask_b32_e64 v93, 0, v74, s17
	s_delay_alu instid0(VALU_DEP_2) | instskip(NEXT) | instid1(VALU_DEP_1)
	v_add_f32_e32 v72, v72, v91
	v_add_f32_e32 v72, v72, v90
	s_waitcnt_depctr 0xfff
	v_cndmask_b32_e64 v92, 0, v75, s18
	v_add_f32_e32 v72, v72, v93
	s_delay_alu instid0(VALU_DEP_1)
	v_add_f32_e32 v72, v72, v92
	ds_bpermute_b32 v73, v73, v72
	v_cmpx_gt_u32_e32 16, v70
	s_cbranch_execz .LBB1127_12
; %bb.11:
	v_mul_u32_u24_e32 v70, 0x44, v69
	s_waitcnt lgkmcnt(0)
	v_add_f32_e32 v72, v72, v73
	s_delay_alu instid0(VALU_DEP_2) | instskip(NEXT) | instid1(VALU_DEP_1)
	v_lshl_add_u32 v70, v68, 2, v70
	v_add_nc_u32_e32 v70, 0x4000, v70
	ds_store_2addr_b32 v70, v71, v72 offset1:136
.LBB1127_12:
	s_or_b32 exec_lo, exec_lo, s3
	v_lshlrev_b32_e32 v70, 2, v68
	s_load_b32 s35, s[0:1], 0x94
	s_waitcnt lgkmcnt(0)
	s_barrier
	buffer_gl0_inv
	v_add_nc_u32_e32 v98, 0x4000, v70
	v_cmp_eq_u32_e32 vcc_lo, 1, v69
	v_cmp_eq_u32_e64 s3, 2, v69
	v_cmp_eq_u32_e64 s4, 3, v69
	;; [unrolled: 1-line block ×3, first 2 shown]
	ds_load_2addr_b32 v[70:71], v98 offset1:17
	ds_load_2addr_b32 v[72:73], v98 offset0:34 offset1:51
	ds_load_2addr_b32 v[74:75], v98 offset0:68 offset1:85
	;; [unrolled: 1-line block ×3, first 2 shown]
	v_cmp_eq_u32_e64 s6, 5, v69
	v_cmp_eq_u32_e64 s7, 7, v69
	s_waitcnt lgkmcnt(3)
	v_max3_f32 v76, v70, 0xff7fffff, v71
	s_waitcnt lgkmcnt(2)
	s_delay_alu instid0(VALU_DEP_1) | instskip(SKIP_1) | instid1(VALU_DEP_1)
	v_max3_f32 v76, v76, v72, v73
	s_waitcnt lgkmcnt(1)
	v_max3_f32 v76, v76, v74, v75
	s_waitcnt lgkmcnt(0)
	s_delay_alu instid0(VALU_DEP_1) | instskip(NEXT) | instid1(VALU_DEP_1)
	v_max3_f32 v76, v76, v94, v95
	v_sub_f32_e32 v77, v71, v76
	ds_load_2addr_b32 v[96:97], v98 offset0:136 offset1:153
	v_sub_f32_e32 v74, v74, v76
	v_sub_f32_e32 v70, v70, v76
	;; [unrolled: 1-line block ×3, first 2 shown]
	v_dual_sub_f32 v72, v72, v76 :: v_dual_mul_f32 v77, 0x3fb8aa3b, v77
	s_delay_alu instid0(VALU_DEP_4) | instskip(NEXT) | instid1(VALU_DEP_4)
	v_mul_f32_e32 v103, 0x3fb8aa3b, v74
	v_mul_f32_e32 v99, 0x3fb8aa3b, v70
	ds_load_2addr_b32 v[70:71], v98 offset0:170 offset1:187
	v_dual_mul_f32 v101, 0x3fb8aa3b, v72 :: v_dual_mul_f32 v94, 0x3fb8aa3b, v94
	v_exp_f32_e32 v102, v77
	v_exp_f32_e32 v99, v99
	s_delay_alu instid0(VALU_DEP_1) | instskip(NEXT) | instid1(VALU_DEP_1)
	v_exp_f32_e32 v101, v101
	v_exp_f32_e32 v94, v94
	s_waitcnt lgkmcnt(1)
	s_delay_alu instid0(TRANS32_DEP_3)
	v_fma_f32 v77, v99, v96, 0
	v_sub_f32_e32 v100, v73, v76
	ds_load_2addr_b32 v[72:73], v98 offset0:204 offset1:221
	v_fmac_f32_e32 v77, v102, v97
	v_exp_f32_e32 v97, v103
	s_waitcnt lgkmcnt(1)
	s_delay_alu instid0(VALU_DEP_1)
	v_dual_fmac_f32 v77, v101, v70 :: v_dual_sub_f32 v96, v75, v76
	ds_load_2addr_b32 v[74:75], v98 offset0:238 offset1:255
	v_sub_f32_e32 v70, v95, v76
	s_waitcnt lgkmcnt(0)
	s_barrier
	v_mul_f32_e32 v96, 0x3fb8aa3b, v96
	buffer_gl0_inv
	v_exp_f32_e32 v95, v96
	v_mul_f32_e32 v100, 0x3fb8aa3b, v100
	s_delay_alu instid0(VALU_DEP_1) | instskip(SKIP_3) | instid1(VALU_DEP_2)
	v_exp_f32_e32 v100, v100
	s_waitcnt_depctr 0xfff
	v_dual_fmac_f32 v77, v100, v71 :: v_dual_mul_f32 v70, 0x3fb8aa3b, v70
	v_cndmask_b32_e32 v71, v99, v102, vcc_lo
	v_fmac_f32_e32 v77, v97, v72
	s_delay_alu instid0(VALU_DEP_3) | instskip(NEXT) | instid1(VALU_DEP_1)
	v_exp_f32_e32 v96, v70
	v_fmac_f32_e32 v77, v95, v73
	s_delay_alu instid0(VALU_DEP_1) | instskip(SKIP_2) | instid1(VALU_DEP_1)
	v_fmac_f32_e32 v77, v94, v74
	s_waitcnt_depctr 0xfff
	v_fmac_f32_e32 v77, v96, v75
	v_add_f32_e32 v74, 0x358637bd, v77
	s_delay_alu instid0(VALU_DEP_1) | instskip(SKIP_1) | instid1(VALU_DEP_2)
	v_div_scale_f32 v98, null, v74, v74, 1.0
	v_div_scale_f32 v99, vcc_lo, 1.0, v74, 1.0
	v_rcp_f32_e32 v103, v98
	s_waitcnt_depctr 0xfff
	v_fma_f32 v70, -v98, v103, 1.0
	s_delay_alu instid0(VALU_DEP_1) | instskip(SKIP_2) | instid1(VALU_DEP_2)
	v_fmac_f32_e32 v103, v70, v103
	v_cndmask_b32_e64 v70, v71, v101, s3
	v_cmp_eq_u32_e64 s3, 6, v69
	v_cndmask_b32_e64 v71, v70, v100, s4
	s_delay_alu instid0(VALU_DEP_4) | instskip(NEXT) | instid1(VALU_DEP_2)
	v_dual_mul_f32 v101, v99, v103 :: v_dual_lshlrev_b32 v70, 2, v66
	v_cndmask_b32_e64 v71, v71, v97, s5
	s_delay_alu instid0(VALU_DEP_2) | instskip(NEXT) | instid1(VALU_DEP_3)
	v_or_b32_e32 v72, 1, v70
	v_fma_f32 v100, -v98, v101, v99
	v_cmp_eq_u32_e64 s4, 1, v70
	v_cmp_eq_u32_e64 s5, 2, v70
	v_cndmask_b32_e64 v95, v71, v95, s6
	v_or_b32_e32 v71, 3, v70
	v_fmac_f32_e32 v101, v100, v103
	v_cmp_eq_u32_e64 s9, 1, v72
	v_cmp_eq_u32_e64 s12, 2, v72
	v_cndmask_b32_e64 v94, v95, v94, s3
	v_cmp_eq_u32_e64 s11, 1, v71
	v_fma_f32 v97, -v98, v101, v99
	v_cmp_eq_u32_e64 s16, 2, v71
	v_cmp_eq_u32_e64 s13, 3, v72
	v_cndmask_b32_e64 v94, v94, v96, s7
	v_cmp_eq_u32_e64 s18, 3, v71
	v_div_fmas_f32 v95, v97, v103, v101
	v_cmp_eq_u32_e32 vcc_lo, 3, v70
	v_cmp_eq_u32_e64 s3, 4, v70
	v_cmp_eq_u32_e64 s19, 4, v72
	;; [unrolled: 1-line block ×3, first 2 shown]
	v_div_fixup_f32 v95, v95, v74, 1.0
	v_lshlrev_b32_e32 v73, 6, v68
	v_cmp_eq_u32_e64 s6, 5, v70
	v_cmp_eq_u32_e64 s20, 5, v72
	;; [unrolled: 1-line block ×3, first 2 shown]
	v_mul_f32_e32 v102, v94, v95
	v_lshl_or_b32 v75, v69, 11, v73
	v_or_b32_e32 v69, 2, v70
	v_cmp_eq_u32_e64 s25, 6, v72
	v_cmp_eq_u32_e64 s27, 6, v71
	v_fma_mixlo_f16 v94, v102, v79, 0
	v_fma_mixlo_f16 v95, v102, v81, 0
	;; [unrolled: 1-line block ×8, first 2 shown]
	v_lshl_or_b32 v74, v66, 4, v75
	v_fma_mixhi_f16 v94, v102, v78, 0
	v_fma_mixhi_f16 v95, v102, v80, 0
	;; [unrolled: 1-line block ×8, first 2 shown]
	ds_store_b128 v74, v[94:97]
	ds_store_b128 v74, v[98:101] offset:1024
	s_waitcnt lgkmcnt(0)
	s_barrier
	buffer_gl0_inv
	ds_load_b128 v[78:81], v75
	ds_load_b128 v[82:85], v75 offset:16
	ds_load_b128 v[86:89], v75 offset:1024
	;; [unrolled: 1-line block ×3, first 2 shown]
	v_cmp_eq_u32_e64 s10, 1, v69
	v_cmp_eq_u32_e64 s15, 2, v69
	;; [unrolled: 1-line block ×11, first 2 shown]
	s_waitcnt lgkmcnt(3)
	v_lshrrev_b32_e32 v94, 16, v78
	s_waitcnt lgkmcnt(2)
	v_lshrrev_b32_e32 v98, 16, v82
	;; [unrolled: 2-line block ×4, first 2 shown]
	v_lshrrev_b32_e32 v95, 16, v79
	v_cndmask_b32_e64 v110, v78, v94, s4
	v_cndmask_b32_e64 v111, v82, v98, s4
	;; [unrolled: 1-line block ×8, first 2 shown]
	v_lshrrev_b32_e32 v99, 16, v83
	v_cndmask_b32_e64 v94, v86, v102, s4
	v_cndmask_b32_e64 v98, v90, v106, s4
	;; [unrolled: 1-line block ×15, first 2 shown]
	v_lshrrev_b32_e32 v103, 16, v87
	v_lshrrev_b32_e32 v107, 16, v91
	v_cndmask_b32_e64 v113, v115, v83, s15
	v_cndmask_b32_e64 v82, v94, v87, s5
	;; [unrolled: 1-line block ×7, first 2 shown]
	v_cndmask_b32_e32 v90, v102, v95, vcc_lo
	v_cndmask_b32_e32 v102, v106, v99, vcc_lo
	v_cndmask_b32_e64 v106, v110, v95, s13
	v_cndmask_b32_e64 v110, v111, v99, s13
	;; [unrolled: 1-line block ×4, first 2 shown]
	v_lshrrev_b32_e32 v96, 16, v80
	v_lshrrev_b32_e32 v100, 16, v84
	v_cndmask_b32_e64 v111, v112, v95, s17
	v_cndmask_b32_e64 v112, v113, v99, s17
	v_cndmask_b32_e32 v82, v82, v103, vcc_lo
	v_cndmask_b32_e32 v83, v83, v107, vcc_lo
	v_cndmask_b32_e64 v94, v94, v103, s13
	v_cndmask_b32_e64 v90, v90, v80, s3
	;; [unrolled: 1-line block ×7, first 2 shown]
	v_lshrrev_b32_e32 v104, 16, v88
	v_cndmask_b32_e64 v106, v111, v80, s21
	v_cndmask_b32_e64 v110, v112, v84, s21
	;; [unrolled: 1-line block ×11, first 2 shown]
	v_lshrrev_b32_e32 v97, 16, v81
	v_lshrrev_b32_e32 v101, 16, v85
	v_cndmask_b32_e64 v99, v106, v96, s23
	v_cndmask_b32_e64 v102, v110, v100, s23
	v_cndmask_b32_e64 v83, v83, v104, s20
	v_cndmask_b32_e64 v94, v94, v81, s25
	v_cndmask_b32_e64 v95, v95, v85, s25
	v_cndmask_b32_e64 v78, v78, v81, s27
	v_cndmask_b32_e64 v79, v79, v85, s27
	v_lshrrev_b32_e32 v105, 16, v89
	v_cndmask_b32_e64 v80, v80, v104, s6
	v_cndmask_b32_e64 v84, v84, v81, s7
	;; [unrolled: 1-line block ×16, first 2 shown]
	v_perm_b32 v81, v79, v78, 0x5040100
	v_perm_b32 v79, v95, v85, 0x5040100
	v_cndmask_b32_e64 v78, v119, v91, s15
	v_cndmask_b32_e64 v85, v117, v91, s12
	v_cndmask_b32_e64 v96, v80, v105, s8
	v_perm_b32 v80, v94, v90, 0x5040100
	v_cndmask_b32_e64 v90, v98, v103, s17
	v_cndmask_b32_e64 v86, v86, v103, s18
	v_cndmask_b32_e64 v87, v87, v107, s18
	v_cndmask_b32_e64 v78, v78, v107, s17
	v_cndmask_b32_e64 v85, v85, v107, s13
	v_lshrrev_b32_e32 v108, 16, v92
	v_cndmask_b32_e64 v90, v90, v88, s21
	v_cndmask_b32_e64 v86, v86, v88, s22
	v_cndmask_b32_e64 v87, v87, v92, s22
	v_cndmask_b32_e64 v78, v78, v92, s21
	v_cndmask_b32_e64 v85, v85, v92, s19
	v_cndmask_b32_e64 v82, v82, v108, s6
	v_cndmask_b32_e64 v88, v90, v104, s23
	v_cndmask_b32_e64 v86, v86, v104, s24
	v_cndmask_b32_e64 v87, v87, v108, s24
	v_cndmask_b32_e64 v78, v78, v108, s23
	v_cndmask_b32_e64 v85, v85, v108, s20
	v_lshrrev_b32_e32 v109, 16, v93
	v_cndmask_b32_e64 v82, v82, v93, s7
	v_cndmask_b32_e64 v88, v88, v89, s26
	v_cndmask_b32_e64 v86, v86, v89, s27
	v_cndmask_b32_e64 v87, v87, v93, s27
	v_cndmask_b32_e64 v78, v78, v93, s26
	v_cndmask_b32_e64 v85, v85, v93, s25
	v_cndmask_b32_e64 v88, v88, v105, s28
	v_cndmask_b32_e64 v86, v86, v105, s29
	v_cndmask_b32_e64 v87, v87, v109, s29
	v_cndmask_b32_e64 v89, v78, v109, s28
	v_cndmask_b32_e64 v90, v85, v109, s30
	v_cndmask_b32_e64 v82, v82, v109, s8
	v_perm_b32 v78, v84, v83, 0x5040100
	v_perm_b32 v85, v87, v86, 0x5040100
	;; [unrolled: 1-line block ×5, first 2 shown]
	s_mul_i32 s8, s33, 10
	s_mov_b32 s3, exec_lo
	ds_store_b128 v74, v[78:81]
	ds_store_b128 v74, v[82:85] offset:1024
	v_cmpx_gt_u32_e32 10, v0
	s_cbranch_execz .LBB1127_14
; %bb.13:
	s_mul_i32 s4, s8, s34
	s_delay_alu instid0(SALU_CYCLE_1) | instskip(SKIP_1) | instid1(VALU_DEP_1)
	v_add3_u32 v68, s4, s31, v68
	s_load_b128 s[4:7], s[0:1], 0x58
	v_mad_u64_u32 v[78:79], null, v68, s35, s[14:15]
	s_delay_alu instid0(VALU_DEP_1) | instskip(NEXT) | instid1(VALU_DEP_1)
	v_ashrrev_i32_e32 v79, 31, v78
	v_lshlrev_b64 v[78:79], 2, v[78:79]
	s_waitcnt lgkmcnt(0)
	s_delay_alu instid0(VALU_DEP_1) | instskip(NEXT) | instid1(VALU_DEP_2)
	v_add_co_u32 v80, vcc_lo, s6, v78
	v_add_co_ci_u32_e32 v81, vcc_lo, s7, v79, vcc_lo
	v_add_co_u32 v78, vcc_lo, s4, v78
	v_add_co_ci_u32_e32 v79, vcc_lo, s5, v79, vcc_lo
	global_store_b32 v[80:81], v76, off
	global_store_b32 v[78:79], v77, off
.LBB1127_14:
	s_or_b32 exec_lo, exec_lo, s3
	s_waitcnt lgkmcnt(0)
	s_waitcnt_vscnt null, 0x0
	s_barrier
	buffer_gl0_inv
	ds_load_b128 v[84:87], v73
	ds_load_b128 v[88:91], v73 offset:16
	ds_load_b128 v[96:99], v73 offset:2064
	;; [unrolled: 1-line block ×5, first 2 shown]
	v_cmp_eq_u32_e32 vcc_lo, 1, v70
	v_mov_b32_e32 v76, 0
	ds_load_b128 v[112:115], v73 offset:6160
	ds_load_b128 v[108:111], v73 offset:6144
	;; [unrolled: 1-line block ×4, first 2 shown]
	v_cmp_eq_u32_e64 s4, 1, v69
	v_cmp_eq_u32_e64 s3, 1, v72
	v_cmp_eq_u32_e64 s5, 2, v72
	v_mov_b32_e32 v77, v76
	v_mov_b32_e32 v78, v76
	;; [unrolled: 1-line block ×7, first 2 shown]
	v_cmp_eq_u32_e64 s6, 3, v72
	v_cmp_eq_u32_e64 s7, 7, v72
	s_waitcnt lgkmcnt(8)
	s_delay_alu instid0(VALU_DEP_3)
	v_wmma_f32_16x16x16_f16 v[76:83], v[49:56], v[84:91], v[76:83]
	ds_load_b128 v[53:56], v73 offset:10256
	ds_load_b128 v[49:52], v73 offset:10240
	s_waitcnt lgkmcnt(8)
	v_wmma_f32_16x16x16_f16 v[76:83], v[41:48], v[92:99], v[76:83]
	ds_load_b128 v[45:48], v73 offset:12304
	ds_load_b128 v[41:44], v73 offset:12288
	s_waitcnt lgkmcnt(8)
	;; [unrolled: 4-line block ×3, first 2 shown]
	s_barrier
	buffer_gl0_inv
	v_wmma_f32_16x16x16_f16 v[76:83], v[1:8], v[108:115], v[76:83]
	s_delay_alu instid0(VALU_DEP_1) | instskip(NEXT) | instid1(VALU_DEP_1)
	v_wmma_f32_16x16x16_f16 v[76:83], v[9:16], v[116:123], v[76:83]
	v_wmma_f32_16x16x16_f16 v[76:83], v[17:24], v[49:56], v[76:83]
	s_delay_alu instid0(VALU_DEP_1) | instskip(NEXT) | instid1(VALU_DEP_1)
	v_wmma_f32_16x16x16_f16 v[76:83], v[25:32], v[41:48], v[76:83]
	v_wmma_f32_16x16x16_f16 v[76:83], v[57:64], v[33:40], v[76:83]
	s_delay_alu instid0(VALU_DEP_1) | instskip(NEXT) | instid1(VALU_DEP_2)
	v_cvt_f16_f32_e32 v1, v76
	v_cvt_f16_f32_e32 v2, v77
	s_delay_alu instid0(VALU_DEP_3) | instskip(NEXT) | instid1(VALU_DEP_4)
	v_cvt_f16_f32_e32 v3, v78
	v_cvt_f16_f32_e32 v4, v79
	;; [unrolled: 1-line block ×6, first 2 shown]
	v_pack_b32_f16 v1, v1, v2
	v_pack_b32_f16 v2, v3, v4
	;; [unrolled: 1-line block ×3, first 2 shown]
	s_delay_alu instid0(VALU_DEP_4)
	v_pack_b32_f16 v4, v7, v8
	ds_store_b128 v74, v[1:4]
	s_waitcnt lgkmcnt(0)
	s_barrier
	buffer_gl0_inv
	ds_load_b128 v[1:4], v75
	ds_load_b128 v[5:8], v75 offset:16
	s_waitcnt lgkmcnt(1)
	v_lshrrev_b32_e32 v9, 16, v1
	s_waitcnt lgkmcnt(0)
	v_lshrrev_b32_e32 v13, 16, v5
	v_lshrrev_b32_e32 v10, 16, v2
	;; [unrolled: 1-line block ×4, first 2 shown]
	v_cndmask_b32_e32 v17, v1, v9, vcc_lo
	v_cndmask_b32_e32 v18, v5, v13, vcc_lo
	v_cndmask_b32_e64 v21, v1, v9, s4
	v_cmp_eq_u32_e32 vcc_lo, 1, v71
	v_cndmask_b32_e64 v22, v5, v13, s4
	v_cmp_eq_u32_e64 s4, 2, v70
	v_cndmask_b32_e64 v19, v1, v9, s3
	v_cndmask_b32_e64 v20, v5, v13, s3
	v_cndmask_b32_e32 v1, v1, v9, vcc_lo
	v_cmp_eq_u32_e64 s3, 2, v71
	v_cndmask_b32_e32 v5, v5, v13, vcc_lo
	v_cndmask_b32_e64 v9, v17, v2, s4
	v_cmp_eq_u32_e32 vcc_lo, 3, v70
	v_cndmask_b32_e64 v13, v18, v6, s4
	v_cmp_eq_u32_e64 s4, 2, v69
	v_cndmask_b32_e64 v17, v19, v2, s5
	v_cndmask_b32_e64 v18, v20, v6, s5
	v_cmp_eq_u32_e64 s5, 3, v69
	v_cndmask_b32_e64 v1, v1, v2, s3
	v_cndmask_b32_e64 v19, v21, v2, s4
	;; [unrolled: 1-line block ×4, first 2 shown]
	v_cndmask_b32_e32 v5, v9, v10, vcc_lo
	v_cndmask_b32_e32 v6, v13, v14, vcc_lo
	v_cmp_eq_u32_e32 vcc_lo, 3, v71
	v_cndmask_b32_e64 v9, v17, v10, s6
	v_cndmask_b32_e64 v13, v18, v14, s6
	;; [unrolled: 1-line block ×3, first 2 shown]
	v_cmp_eq_u32_e64 s4, 4, v70
	v_cndmask_b32_e32 v1, v1, v10, vcc_lo
	v_cndmask_b32_e32 v2, v2, v14, vcc_lo
	v_cmp_eq_u32_e32 vcc_lo, 4, v72
	v_lshrrev_b32_e32 v15, 16, v7
	v_lshrrev_b32_e32 v16, 16, v8
	v_cndmask_b32_e64 v17, v19, v10, s5
	v_cmp_eq_u32_e64 s3, 4, v71
	v_cndmask_b32_e64 v5, v5, v3, s4
	v_cndmask_b32_e64 v6, v6, v7, s4
	v_cndmask_b32_e32 v9, v9, v3, vcc_lo
	v_cmp_eq_u32_e64 s4, 5, v72
	v_cndmask_b32_e32 v10, v13, v7, vcc_lo
	v_cmp_eq_u32_e32 vcc_lo, 4, v69
	v_cmp_eq_u32_e64 s5, 5, v70
	v_cndmask_b32_e64 v2, v2, v7, s3
	v_cndmask_b32_e64 v9, v9, v11, s4
	;; [unrolled: 1-line block ×3, first 2 shown]
	v_cndmask_b32_e32 v13, v17, v3, vcc_lo
	v_cmp_eq_u32_e64 s4, 5, v69
	v_cndmask_b32_e32 v14, v18, v7, vcc_lo
	v_cndmask_b32_e64 v1, v1, v3, s3
	v_cmp_eq_u32_e32 vcc_lo, 5, v71
	v_lshrrev_b32_e32 v12, 16, v4
	v_cndmask_b32_e64 v13, v13, v11, s4
	v_cndmask_b32_e64 v3, v14, v15, s4
	v_cmp_eq_u32_e64 s4, 6, v71
	v_cndmask_b32_e32 v1, v1, v11, vcc_lo
	v_cndmask_b32_e64 v5, v5, v11, s5
	v_cmp_eq_u32_e64 s6, 6, v70
	v_cndmask_b32_e64 v6, v6, v15, s5
	v_cmp_eq_u32_e64 s5, 6, v72
	v_cmp_eq_u32_e64 s3, 6, v69
	v_cndmask_b32_e64 v1, v1, v4, s4
	v_cndmask_b32_e32 v2, v2, v15, vcc_lo
	v_cmp_eq_u32_e32 vcc_lo, 7, v71
	v_cndmask_b32_e64 v5, v5, v4, s6
	v_cndmask_b32_e64 v9, v9, v4, s5
	;; [unrolled: 1-line block ×3, first 2 shown]
	v_cmp_eq_u32_e64 s6, 7, v70
	v_cndmask_b32_e32 v1, v1, v12, vcc_lo
	v_cndmask_b32_e64 v7, v13, v4, s3
	v_cndmask_b32_e64 v3, v3, v8, s3
	;; [unrolled: 1-line block ×3, first 2 shown]
	v_cmp_eq_u32_e64 s3, 7, v69
	v_cndmask_b32_e64 v4, v10, v8, s5
	v_cndmask_b32_e64 v5, v5, v12, s6
	v_cndmask_b32_e64 v9, v9, v12, s7
	v_cndmask_b32_e32 v2, v2, v16, vcc_lo
	v_cndmask_b32_e64 v7, v7, v12, s3
	v_cndmask_b32_e64 v3, v3, v16, s3
	;; [unrolled: 1-line block ×4, first 2 shown]
	v_cmp_gt_u32_e32 vcc_lo, 32, v0
	v_perm_b32 v4, v2, v1, 0x5040100
	v_perm_b32 v3, v3, v7, 0x5040100
	;; [unrolled: 1-line block ×4, first 2 shown]
	s_and_b32 s2, vcc_lo, s2
	ds_store_b128 v74, v[1:4]
	s_waitcnt lgkmcnt(0)
	s_barrier
	buffer_gl0_inv
	s_and_saveexec_b32 s3, s2
	s_cbranch_execz .LBB1127_2
; %bb.15:
	s_load_b64 s[0:1], s[0:1], 0x68
	s_lshl_b32 s4, s35, 6
	v_or_b32_e32 v2, s31, v66
	s_mul_i32 s2, s4, s34
	v_lshlrev_b32_e32 v0, 10, v0
	s_mul_i32 s2, s2, s8
	v_lshlrev_b32_e32 v1, 4, v67
	s_ashr_i32 s3, s2, 31
	v_mul_lo_u32 v20, v2, s4
	s_lshl_b64 s[2:3], s[2:3], 1
	v_lshlrev_b32_e32 v3, 6, v66
	v_and_b32_e32 v0, 0x3800, v0
	s_delay_alu instid0(VALU_DEP_1) | instskip(NEXT) | instid1(VALU_DEP_4)
	v_or3_b32 v16, v0, v1, v3
	v_ashrrev_i32_e32 v21, 31, v20
	ds_load_b128 v[0:3], v16
	ds_load_b128 v[4:7], v16 offset:128
	s_waitcnt lgkmcnt(0)
	s_add_u32 s2, s0, s2
	s_addc_u32 s3, s1, s3
	s_lshl_b32 s0, s14, 6
	ds_load_b128 v[8:11], v16 offset:256
	ds_load_b128 v[12:15], v16 offset:384
	;; [unrolled: 1-line block ×3, first 2 shown]
	s_ashr_i32 s1, s0, 31
	s_delay_alu instid0(SALU_CYCLE_1) | instskip(NEXT) | instid1(SALU_CYCLE_1)
	s_lshl_b64 s[0:1], s[0:1], 1
	s_add_u32 s0, s2, s0
	s_addc_u32 s1, s3, s1
	s_lshl_b32 s2, s35, 7
	v_add_co_u32 v30, s0, s0, v65
	v_add_nc_u32_e32 v22, s2, v20
	v_lshlrev_b64 v[20:21], 1, v[20:21]
	v_add_co_ci_u32_e64 v31, null, s1, 0, s0
	s_delay_alu instid0(VALU_DEP_3) | instskip(SKIP_1) | instid1(VALU_DEP_4)
	v_add_nc_u32_e32 v24, s2, v22
	v_ashrrev_i32_e32 v23, 31, v22
	v_add_co_u32 v20, vcc_lo, v30, v20
	s_delay_alu instid0(VALU_DEP_4) | instskip(NEXT) | instid1(VALU_DEP_4)
	v_add_co_ci_u32_e32 v21, vcc_lo, v31, v21, vcc_lo
	v_add_nc_u32_e32 v26, s2, v24
	v_ashrrev_i32_e32 v25, 31, v24
	v_lshlrev_b64 v[22:23], 1, v[22:23]
	s_delay_alu instid0(VALU_DEP_3) | instskip(SKIP_1) | instid1(VALU_DEP_4)
	v_add_nc_u32_e32 v28, s2, v26
	v_ashrrev_i32_e32 v27, 31, v26
	v_lshlrev_b64 v[24:25], 1, v[24:25]
	s_delay_alu instid0(VALU_DEP_4) | instskip(NEXT) | instid1(VALU_DEP_4)
	v_add_co_u32 v22, vcc_lo, v30, v22
	v_ashrrev_i32_e32 v29, 31, v28
	s_delay_alu instid0(VALU_DEP_4) | instskip(SKIP_2) | instid1(VALU_DEP_4)
	v_lshlrev_b64 v[26:27], 1, v[26:27]
	v_add_co_ci_u32_e32 v23, vcc_lo, v31, v23, vcc_lo
	v_add_co_u32 v24, vcc_lo, v30, v24
	v_lshlrev_b64 v[28:29], 1, v[28:29]
	v_add_co_ci_u32_e32 v25, vcc_lo, v31, v25, vcc_lo
	v_add_co_u32 v26, vcc_lo, v30, v26
	v_add_co_ci_u32_e32 v27, vcc_lo, v31, v27, vcc_lo
	s_delay_alu instid0(VALU_DEP_4)
	v_add_co_u32 v28, vcc_lo, v30, v28
	v_add_co_ci_u32_e32 v29, vcc_lo, v31, v29, vcc_lo
	s_clause 0x1
	global_store_b128 v[20:21], v[0:3], off
	global_store_b128 v[22:23], v[4:7], off
	s_waitcnt lgkmcnt(2)
	global_store_b128 v[24:25], v[8:11], off
	s_waitcnt lgkmcnt(1)
	;; [unrolled: 2-line block ×3, first 2 shown]
	global_store_b128 v[28:29], v[16:19], off
	s_nop 0
	s_sendmsg sendmsg(MSG_DEALLOC_VGPRS)
	s_endpgm
	.section	.rodata,"a",@progbits
	.p2align	6, 0x0
	.amdhsa_kernel _Z39paged_attention_ll4mi_QKV_mfma16_kernelIDF16_hLN4vllm18Fp8KVCacheDataTypeE1EDF16_Li16ELi64ELi256ELb1ELi10EL8MFMAType0EEvPKT_PKT0_S8_ifPKiSA_SA_iPKfiiiPfSD_PS3_PT2_iSC_SC_
		.amdhsa_group_segment_fixed_size 17472
		.amdhsa_private_segment_fixed_size 0
		.amdhsa_kernarg_size 400
		.amdhsa_user_sgpr_count 13
		.amdhsa_user_sgpr_dispatch_ptr 0
		.amdhsa_user_sgpr_queue_ptr 0
		.amdhsa_user_sgpr_kernarg_segment_ptr 1
		.amdhsa_user_sgpr_dispatch_id 0
		.amdhsa_user_sgpr_private_segment_size 0
		.amdhsa_wavefront_size32 1
		.amdhsa_uses_dynamic_stack 0
		.amdhsa_enable_private_segment 0
		.amdhsa_system_sgpr_workgroup_id_x 1
		.amdhsa_system_sgpr_workgroup_id_y 1
		.amdhsa_system_sgpr_workgroup_id_z 1
		.amdhsa_system_sgpr_workgroup_info 0
		.amdhsa_system_vgpr_workitem_id 0
		.amdhsa_next_free_vgpr 146
		.amdhsa_next_free_sgpr 36
		.amdhsa_reserve_vcc 1
		.amdhsa_float_round_mode_32 0
		.amdhsa_float_round_mode_16_64 0
		.amdhsa_float_denorm_mode_32 3
		.amdhsa_float_denorm_mode_16_64 3
		.amdhsa_dx10_clamp 1
		.amdhsa_ieee_mode 1
		.amdhsa_fp16_overflow 0
		.amdhsa_workgroup_processor_mode 1
		.amdhsa_memory_ordered 1
		.amdhsa_forward_progress 0
		.amdhsa_shared_vgpr_count 0
		.amdhsa_exception_fp_ieee_invalid_op 0
		.amdhsa_exception_fp_denorm_src 0
		.amdhsa_exception_fp_ieee_div_zero 0
		.amdhsa_exception_fp_ieee_overflow 0
		.amdhsa_exception_fp_ieee_underflow 0
		.amdhsa_exception_fp_ieee_inexact 0
		.amdhsa_exception_int_div_zero 0
	.end_amdhsa_kernel
	.section	.text._Z39paged_attention_ll4mi_QKV_mfma16_kernelIDF16_hLN4vllm18Fp8KVCacheDataTypeE1EDF16_Li16ELi64ELi256ELb1ELi10EL8MFMAType0EEvPKT_PKT0_S8_ifPKiSA_SA_iPKfiiiPfSD_PS3_PT2_iSC_SC_,"axG",@progbits,_Z39paged_attention_ll4mi_QKV_mfma16_kernelIDF16_hLN4vllm18Fp8KVCacheDataTypeE1EDF16_Li16ELi64ELi256ELb1ELi10EL8MFMAType0EEvPKT_PKT0_S8_ifPKiSA_SA_iPKfiiiPfSD_PS3_PT2_iSC_SC_,comdat
.Lfunc_end1127:
	.size	_Z39paged_attention_ll4mi_QKV_mfma16_kernelIDF16_hLN4vllm18Fp8KVCacheDataTypeE1EDF16_Li16ELi64ELi256ELb1ELi10EL8MFMAType0EEvPKT_PKT0_S8_ifPKiSA_SA_iPKfiiiPfSD_PS3_PT2_iSC_SC_, .Lfunc_end1127-_Z39paged_attention_ll4mi_QKV_mfma16_kernelIDF16_hLN4vllm18Fp8KVCacheDataTypeE1EDF16_Li16ELi64ELi256ELb1ELi10EL8MFMAType0EEvPKT_PKT0_S8_ifPKiSA_SA_iPKfiiiPfSD_PS3_PT2_iSC_SC_
                                        ; -- End function
	.section	.AMDGPU.csdata,"",@progbits
; Kernel info:
; codeLenInByte = 6540
; NumSgprs: 38
; NumVgprs: 146
; ScratchSize: 0
; MemoryBound: 0
; FloatMode: 240
; IeeeMode: 1
; LDSByteSize: 17472 bytes/workgroup (compile time only)
; SGPRBlocks: 4
; VGPRBlocks: 18
; NumSGPRsForWavesPerEU: 38
; NumVGPRsForWavesPerEU: 146
; Occupancy: 9
; WaveLimiterHint : 1
; COMPUTE_PGM_RSRC2:SCRATCH_EN: 0
; COMPUTE_PGM_RSRC2:USER_SGPR: 13
; COMPUTE_PGM_RSRC2:TRAP_HANDLER: 0
; COMPUTE_PGM_RSRC2:TGID_X_EN: 1
; COMPUTE_PGM_RSRC2:TGID_Y_EN: 1
; COMPUTE_PGM_RSRC2:TGID_Z_EN: 1
; COMPUTE_PGM_RSRC2:TIDIG_COMP_CNT: 0
	.section	.text._Z39paged_attention_ll4mi_QKV_mfma16_kernelIDF16_hLN4vllm18Fp8KVCacheDataTypeE1EDF16_Li16ELi64ELi256ELb1ELi11EL8MFMAType0EEvPKT_PKT0_S8_ifPKiSA_SA_iPKfiiiPfSD_PS3_PT2_iSC_SC_,"axG",@progbits,_Z39paged_attention_ll4mi_QKV_mfma16_kernelIDF16_hLN4vllm18Fp8KVCacheDataTypeE1EDF16_Li16ELi64ELi256ELb1ELi11EL8MFMAType0EEvPKT_PKT0_S8_ifPKiSA_SA_iPKfiiiPfSD_PS3_PT2_iSC_SC_,comdat
	.protected	_Z39paged_attention_ll4mi_QKV_mfma16_kernelIDF16_hLN4vllm18Fp8KVCacheDataTypeE1EDF16_Li16ELi64ELi256ELb1ELi11EL8MFMAType0EEvPKT_PKT0_S8_ifPKiSA_SA_iPKfiiiPfSD_PS3_PT2_iSC_SC_ ; -- Begin function _Z39paged_attention_ll4mi_QKV_mfma16_kernelIDF16_hLN4vllm18Fp8KVCacheDataTypeE1EDF16_Li16ELi64ELi256ELb1ELi11EL8MFMAType0EEvPKT_PKT0_S8_ifPKiSA_SA_iPKfiiiPfSD_PS3_PT2_iSC_SC_
	.globl	_Z39paged_attention_ll4mi_QKV_mfma16_kernelIDF16_hLN4vllm18Fp8KVCacheDataTypeE1EDF16_Li16ELi64ELi256ELb1ELi11EL8MFMAType0EEvPKT_PKT0_S8_ifPKiSA_SA_iPKfiiiPfSD_PS3_PT2_iSC_SC_
	.p2align	8
	.type	_Z39paged_attention_ll4mi_QKV_mfma16_kernelIDF16_hLN4vllm18Fp8KVCacheDataTypeE1EDF16_Li16ELi64ELi256ELb1ELi11EL8MFMAType0EEvPKT_PKT0_S8_ifPKiSA_SA_iPKfiiiPfSD_PS3_PT2_iSC_SC_,@function
_Z39paged_attention_ll4mi_QKV_mfma16_kernelIDF16_hLN4vllm18Fp8KVCacheDataTypeE1EDF16_Li16ELi64ELi256ELb1ELi11EL8MFMAType0EEvPKT_PKT0_S8_ifPKiSA_SA_iPKfiiiPfSD_PS3_PT2_iSC_SC_: ; @_Z39paged_attention_ll4mi_QKV_mfma16_kernelIDF16_hLN4vllm18Fp8KVCacheDataTypeE1EDF16_Li16ELi64ELi256ELb1ELi11EL8MFMAType0EEvPKT_PKT0_S8_ifPKiSA_SA_iPKfiiiPfSD_PS3_PT2_iSC_SC_
; %bb.0:
	s_load_b64 s[2:3], s[0:1], 0x30
	s_mov_b32 s34, s13
	s_waitcnt lgkmcnt(0)
	s_cmp_lg_u64 s[2:3], 0
	s_cselect_b32 s6, -1, 0
	s_ashr_i32 s35, s13, 31
	s_cmp_eq_u64 s[2:3], 0
	s_cbranch_scc1 .LBB1128_3
; %bb.1:
	s_lshl_b64 s[4:5], s[34:35], 2
	s_delay_alu instid0(SALU_CYCLE_1) | instskip(SKIP_4) | instid1(SALU_CYCLE_1)
	s_add_u32 s4, s2, s4
	s_addc_u32 s5, s3, s5
	s_load_b64 s[4:5], s[4:5], 0x0
	s_waitcnt lgkmcnt(0)
	s_sub_i32 s4, s5, s4
	s_cmp_eq_u32 s4, 1
	s_cselect_b32 s4, -1, 0
	s_delay_alu instid0(SALU_CYCLE_1)
	s_and_not1_b32 vcc_lo, exec_lo, s4
	s_cbranch_vccz .LBB1128_4
.LBB1128_2:
	s_nop 0
	s_sendmsg sendmsg(MSG_DEALLOC_VGPRS)
	s_endpgm
.LBB1128_3:
.LBB1128_4:
	s_load_b64 s[8:9], s[0:1], 0x28
	s_lshl_b64 s[4:5], s[34:35], 2
	s_waitcnt lgkmcnt(0)
	s_add_u32 s8, s8, s4
	s_addc_u32 s9, s9, s5
	s_lshl_b32 s16, s14, 8
	s_load_b32 s18, s[8:9], 0x0
	s_waitcnt lgkmcnt(0)
	s_cmp_ge_i32 s16, s18
	s_cbranch_scc1 .LBB1128_2
; %bb.5:
	s_clause 0x1
	s_load_b128 s[8:11], s[0:1], 0x8
	s_load_b64 s[12:13], s[0:1], 0x20
	s_and_not1_b32 vcc_lo, exec_lo, s6
	s_cbranch_vccnz .LBB1128_7
; %bb.6:
	s_add_u32 s2, s2, s4
	s_addc_u32 s3, s3, s5
	s_load_b32 s3, s[2:3], 0x0
	s_branch .LBB1128_8
.LBB1128_7:
	s_mov_b32 s3, s34
.LBB1128_8:
	s_load_b128 s[4:7], s[0:1], 0x48
	v_lshrrev_b32_e32 v69, 5, v0
	v_bfe_u32 v66, v0, 4, 1
	v_and_b32_e32 v68, 15, v0
	v_and_b32_e32 v70, 31, v0
	;; [unrolled: 1-line block ×3, first 2 shown]
	s_mul_i32 s33, s15, 11
	v_lshl_or_b32 v1, v69, 1, v66
	v_lshlrev_b32_e32 v2, 3, v68
	v_cmp_gt_u32_e64 s2, 8, v68
	s_delay_alu instid0(VALU_DEP_3) | instskip(NEXT) | instid1(VALU_DEP_3)
	v_cmp_gt_u32_e32 vcc_lo, 11, v1
	v_lshlrev_b32_e32 v65, 1, v2
	s_delay_alu instid0(VALU_DEP_3)
	s_and_b32 s17, s2, vcc_lo
	s_waitcnt lgkmcnt(0)
	s_and_saveexec_b32 s7, s17
	s_cbranch_execz .LBB1128_10
; %bb.9:
	s_load_b64 s[20:21], s[0:1], 0x0
	v_add_lshl_u32 v2, v1, s33, 6
	s_mul_hi_i32 s23, s3, s4
	s_mul_i32 s22, s3, s4
	v_lshlrev_b32_e32 v6, 10, v68
	s_lshl_b64 s[22:23], s[22:23], 1
	v_ashrrev_i32_e32 v3, 31, v2
	v_lshlrev_b32_e32 v1, 6, v1
	v_lshlrev_b32_e32 v7, 10, v67
	v_and_b32_e32 v6, 0x3800, v6
	s_delay_alu instid0(VALU_DEP_4) | instskip(NEXT) | instid1(VALU_DEP_2)
	v_lshlrev_b64 v[2:3], 1, v[2:3]
	v_or3_b32 v1, v6, v7, v1
	s_waitcnt lgkmcnt(0)
	s_add_u32 s3, s20, s22
	s_addc_u32 s4, s21, s23
	s_delay_alu instid0(VALU_DEP_2) | instskip(SKIP_1) | instid1(VALU_DEP_2)
	v_add_co_u32 v2, vcc_lo, s3, v2
	v_add_co_ci_u32_e32 v3, vcc_lo, s4, v3, vcc_lo
	v_add_co_u32 v2, vcc_lo, v2, v65
	s_delay_alu instid0(VALU_DEP_2)
	v_add_co_ci_u32_e32 v3, vcc_lo, 0, v3, vcc_lo
	global_load_b128 v[2:5], v[2:3], off
	s_waitcnt vmcnt(0)
	ds_store_b128 v1, v[2:5]
.LBB1128_10:
	s_or_b32 exec_lo, exec_lo, s7
	v_and_b32_e32 v1, 0xef, v0
	s_add_i32 s3, s18, 15
	s_clause 0x1
	s_load_b32 s4, s[0:1], 0x38
	s_load_b32 s35, s[0:1], 0x98
	s_ashr_i32 s7, s3, 31
	v_add_nc_u32_e32 v1, s16, v1
	s_lshr_b32 s7, s7, 28
	s_load_b32 s19, s[0:1], 0x1c
	v_add_nc_u32_e32 v103, -11, v68
	s_add_i32 s3, s3, s7
	v_ashrrev_i32_e32 v2, 31, v1
	v_or_b32_e32 v3, 16, v1
	s_ashr_i32 s3, s3, 4
	v_cmp_gt_i32_e32 vcc_lo, s18, v1
	s_add_i32 s3, s3, -1
	v_lshrrev_b32_e32 v2, 28, v2
	s_waitcnt lgkmcnt(0)
	s_barrier
	buffer_gl0_inv
	s_mul_i32 s15, s15, s6
	v_add_nc_u32_e32 v4, v1, v2
	v_mbcnt_lo_u32_b32 v127, -1, 0
	s_mul_i32 s20, s34, s4
	s_delay_alu instid0(SALU_CYCLE_1) | instskip(NEXT) | instid1(VALU_DEP_2)
	s_ashr_i32 s21, s20, 31
	v_ashrrev_i32_e32 v4, 4, v4
	v_add_nc_u32_e32 v2, v3, v2
	s_lshl_b64 s[20:21], s[20:21], 2
	v_xor_b32_e32 v128, 16, v127
	s_add_u32 s17, s12, s20
	v_cndmask_b32_e32 v1, s3, v4, vcc_lo
	v_ashrrev_i32_e32 v2, 4, v2
	v_cmp_gt_i32_e32 vcc_lo, s18, v3
	s_addc_u32 s13, s13, s21
	s_ashr_i32 s20, s15, 31
	s_add_u32 s4, s8, s15
	s_addc_u32 s12, s9, s20
	v_cndmask_b32_e32 v3, s3, v2, vcc_lo
	v_ashrrev_i32_e32 v2, 31, v1
	s_lshl_b32 s6, s14, 4
	s_delay_alu instid0(SALU_CYCLE_1) | instskip(NEXT) | instid1(VALU_DEP_2)
	s_ashr_i32 s7, s6, 31
	v_ashrrev_i32_e32 v4, 31, v3
	s_delay_alu instid0(VALU_DEP_2) | instskip(SKIP_1) | instid1(SALU_CYCLE_1)
	v_lshlrev_b64 v[1:2], 2, v[1:2]
	s_lshl_b64 s[6:7], s[6:7], 2
	s_add_u32 s6, s17, s6
	s_delay_alu instid0(VALU_DEP_2) | instskip(SKIP_1) | instid1(VALU_DEP_2)
	v_lshlrev_b64 v[3:4], 2, v[3:4]
	s_addc_u32 s7, s13, s7
	v_add_co_u32 v1, vcc_lo, s17, v1
	v_add_co_ci_u32_e32 v2, vcc_lo, s13, v2, vcc_lo
	s_delay_alu instid0(VALU_DEP_3) | instskip(NEXT) | instid1(VALU_DEP_4)
	v_add_co_u32 v3, vcc_lo, s17, v3
	v_add_co_ci_u32_e32 v4, vcc_lo, s13, v4, vcc_lo
	s_clause 0x1
	global_load_b32 v5, v[1:2], off
	global_load_b32 v7, v[3:4], off
	s_or_b32 s8, s16, 32
	v_lshlrev_b32_e32 v1, 4, v0
	s_ashr_i32 s9, s8, 4
	s_cmp_lt_i32 s8, s18
	v_cmp_gt_u32_e32 vcc_lo, 11, v68
	s_cselect_b32 s8, s9, s3
	v_and_b32_e32 v1, 0xf0, v1
	s_ashr_i32 s9, s8, 31
	s_delay_alu instid0(SALU_CYCLE_1)
	s_lshl_b64 s[8:9], s[8:9], 2
	v_cndmask_b32_e32 v103, v103, v68, vcc_lo
	s_add_u32 s8, s17, s8
	s_addc_u32 s9, s13, s9
	s_or_b32 s21, s16, 64
	v_add_co_u32 v1, s4, s4, v1
	s_ashr_i32 s22, s21, 4
	s_cmp_lt_i32 s21, s18
	v_add_co_ci_u32_e64 v2, null, s12, 0, s4
	s_cselect_b32 s22, s22, s3
	v_cmp_gt_i32_e32 vcc_lo, 32, v128
	s_ashr_i32 s23, s22, 31
	v_lshlrev_b32_e32 v115, 6, v103
	s_lshl_b64 s[22:23], s[22:23], 2
	v_cndmask_b32_e32 v136, v127, v128, vcc_lo
	s_add_u32 s22, s17, s22
	s_addc_u32 s23, s13, s23
	s_or_b32 s21, s16, 0x60
	s_delay_alu instid0(SALU_CYCLE_1) | instskip(SKIP_2) | instid1(SALU_CYCLE_1)
	s_ashr_i32 s24, s21, 4
	s_cmp_lt_i32 s21, s18
	s_cselect_b32 s24, s24, s3
	s_ashr_i32 s25, s24, 31
	s_delay_alu instid0(SALU_CYCLE_1) | instskip(NEXT) | instid1(SALU_CYCLE_1)
	s_lshl_b64 s[24:25], s[24:25], 2
	s_add_u32 s24, s17, s24
	s_addc_u32 s25, s13, s25
	s_or_b32 s21, s16, 0x80
	s_delay_alu instid0(SALU_CYCLE_1) | instskip(SKIP_2) | instid1(SALU_CYCLE_1)
	s_ashr_i32 s26, s21, 4
	s_cmp_lt_i32 s21, s18
	s_cselect_b32 s26, s26, s3
	s_ashr_i32 s27, s26, 31
	s_delay_alu instid0(SALU_CYCLE_1) | instskip(NEXT) | instid1(SALU_CYCLE_1)
	s_lshl_b64 s[26:27], s[26:27], 2
	;; [unrolled: 10-line block ×3, first 2 shown]
	s_add_u32 s28, s17, s28
	s_addc_u32 s29, s13, s29
	s_clause 0x5
	s_load_b32 s12, s[6:7], 0x0
	s_load_b32 s4, s[8:9], 0x0
	;; [unrolled: 1-line block ×6, first 2 shown]
	s_or_b32 s21, s16, 0xc0
	s_delay_alu instid0(SALU_CYCLE_1) | instskip(SKIP_2) | instid1(SALU_CYCLE_1)
	s_ashr_i32 s22, s21, 4
	s_cmp_lt_i32 s21, s18
	s_cselect_b32 s22, s22, s3
	s_ashr_i32 s23, s22, 31
	s_delay_alu instid0(SALU_CYCLE_1) | instskip(NEXT) | instid1(SALU_CYCLE_1)
	s_lshl_b64 s[22:23], s[22:23], 2
	s_add_u32 s22, s17, s22
	s_addc_u32 s23, s13, s23
	s_or_b32 s21, s16, 0xe0
	s_delay_alu instid0(SALU_CYCLE_1) | instskip(SKIP_2) | instid1(SALU_CYCLE_1)
	s_ashr_i32 s24, s21, 4
	s_cmp_lt_i32 s21, s18
	s_cselect_b32 s24, s24, s3
	s_ashr_i32 s25, s24, 31
	s_delay_alu instid0(SALU_CYCLE_1)
	s_lshl_b64 s[24:25], s[24:25], 2
	s_waitcnt vmcnt(1)
	v_mad_i64_i32 v[3:4], null, v5, s5, v[1:2]
	s_waitcnt vmcnt(0)
	v_mad_i64_i32 v[5:6], null, v7, s5, v[1:2]
	v_lshlrev_b32_e32 v1, 4, v68
	s_clause 0x7
	global_load_b128 v[71:74], v[3:4], off
	global_load_b128 v[75:78], v[3:4], off offset:256
	global_load_b128 v[79:82], v[5:6], off
	global_load_b128 v[83:86], v[5:6], off offset:256
	global_load_b128 v[87:90], v[3:4], off offset:512
	;; [unrolled: 1-line block ×5, first 2 shown]
	v_lshl_or_b32 v1, v69, 8, v1
	s_load_b32 s3, s[22:23], 0x0
	s_add_u32 s22, s17, s24
	s_addc_u32 s23, s13, s25
	s_add_u32 s10, s10, s15
	s_addc_u32 s11, s11, s20
	v_add_co_u32 v1, s10, s10, v1
	s_delay_alu instid0(VALU_DEP_1) | instskip(SKIP_2) | instid1(VALU_DEP_1)
	v_add_co_ci_u32_e64 v2, null, s11, 0, s10
	s_load_b32 s10, s[22:23], 0x0
	s_waitcnt lgkmcnt(0)
	v_mad_i64_i32 v[3:4], null, s12, s5, v[1:2]
	v_mad_i64_i32 v[9:10], null, s7, s5, v[1:2]
	;; [unrolled: 1-line block ×7, first 2 shown]
	s_clause 0x5
	global_load_b128 v[49:52], v[3:4], off
	global_load_b128 v[53:56], v[3:4], off offset:16
	global_load_b128 v[41:44], v[5:6], off
	global_load_b128 v[45:48], v[5:6], off offset:16
	;; [unrolled: 2-line block ×3, first 2 shown]
	s_mov_b32 s4, 0
	v_mad_i64_i32 v[61:62], null, s10, s5, v[1:2]
	s_clause 0x9
	global_load_b128 v[1:4], v[9:10], off
	global_load_b128 v[5:8], v[9:10], off offset:16
	global_load_b128 v[9:12], v[13:14], off
	global_load_b128 v[13:16], v[13:14], off offset:16
	;; [unrolled: 2-line block ×5, first 2 shown]
	s_mov_b32 s5, s4
	s_mov_b32 s6, s4
	;; [unrolled: 1-line block ×7, first 2 shown]
	v_and_b32_e32 v104, 0xe0, v0
	v_dual_mov_b32 v126, s11 :: v_dual_mov_b32 v125, s10
	v_dual_mov_b32 v124, s9 :: v_dual_mov_b32 v123, s8
	s_delay_alu instid0(VALU_DEP_3)
	v_add_nc_u32_e32 v111, s16, v104
	ds_load_b128 v[103:106], v115
	ds_load_b128 v[107:110], v115 offset:1024
	v_dual_mov_b32 v122, s7 :: v_dual_mov_b32 v121, s6
	v_mov_b32_e32 v120, s5
	v_or_b32_e32 v135, v111, v66
	ds_load_b128 v[111:114], v115 offset:2048
	ds_load_b128 v[115:118], v115 offset:3072
	v_mov_b32_e32 v119, s4
	s_waitcnt vmcnt(0) lgkmcnt(0)
	s_barrier
	v_or_b32_e32 v137, 2, v135
	v_or_b32_e32 v138, 4, v135
	;; [unrolled: 1-line block ×3, first 2 shown]
	v_cmp_gt_i32_e32 vcc_lo, s18, v135
	v_or_b32_e32 v140, 8, v135
	v_cmp_gt_i32_e64 s3, s18, v137
	v_or_b32_e32 v141, 10, v135
	v_cmp_gt_i32_e64 s4, s18, v138
	v_cmp_gt_i32_e64 s5, s18, v139
	v_or_b32_e32 v142, 12, v135
	v_or_b32_e32 v143, 14, v135
	v_cmp_gt_i32_e64 s6, s18, v140
	v_cmp_gt_i32_e64 s7, s18, v141
	v_or_b32_e32 v144, 16, v135
	v_or_b32_e32 v145, 18, v135
	v_cmp_gt_i32_e64 s8, s18, v142
	v_cmp_gt_i32_e64 s9, s18, v143
	buffer_gl0_inv
	v_cmp_gt_i32_e64 s10, s18, v144
	v_cmp_gt_i32_e64 s11, s18, v145
	v_wmma_f32_16x16x16_f16 v[127:134], v[71:78], v[103:110], v[119:126]
	v_wmma_f32_16x16x16_f16 v[119:126], v[79:86], v[103:110], v[119:126]
	v_or_b32_e32 v71, 20, v135
	v_or_b32_e32 v72, 22, v135
	s_delay_alu instid0(VALU_DEP_4)
	v_wmma_f32_16x16x16_f16 v[127:134], v[87:94], v[111:118], v[127:134]
	v_or_b32_e32 v73, 24, v135
	v_wmma_f32_16x16x16_f16 v[119:126], v[95:102], v[111:118], v[119:126]
	v_or_b32_e32 v74, 26, v135
	v_cmp_gt_i32_e64 s12, s18, v71
	v_dual_mul_f32 v83, s19, v128 :: v_dual_mul_f32 v84, s19, v127
	v_dual_mul_f32 v81, s19, v130 :: v_dual_mul_f32 v82, s19, v129
	;; [unrolled: 1-line block ×3, first 2 shown]
	s_delay_alu instid0(VALU_DEP_3) | instskip(NEXT) | instid1(VALU_DEP_4)
	v_cndmask_b32_e32 v84, 0xff7fffff, v84, vcc_lo
	v_cndmask_b32_e64 v83, 0xff7fffff, v83, s3
	v_mul_f32_e32 v80, s19, v131
	v_cndmask_b32_e64 v82, 0xff7fffff, v82, s4
	v_cndmask_b32_e64 v81, 0xff7fffff, v81, s5
	v_dual_mul_f32 v77, s19, v134 :: v_dual_mul_f32 v90, s19, v121
	v_max3_f32 v83, v84, 0xff7fffff, v83
	v_mul_f32_e32 v78, s19, v133
	v_cndmask_b32_e64 v80, 0xff7fffff, v80, s6
	v_cndmask_b32_e64 v79, 0xff7fffff, v79, s7
	v_mul_f32_e32 v91, s19, v120
	v_max3_f32 v81, v83, v82, v81
	v_cndmask_b32_e64 v78, 0xff7fffff, v78, s8
	v_cndmask_b32_e64 v77, 0xff7fffff, v77, s9
	v_mul_f32_e32 v89, s19, v122
	v_cmp_gt_i32_e64 s13, s18, v72
	v_max3_f32 v79, v81, v80, v79
	v_cndmask_b32_e64 v80, 0xff7fffff, v92, s10
	v_cndmask_b32_e64 v81, 0xff7fffff, v91, s11
	v_or_b32_e32 v75, 28, v135
	v_or_b32_e32 v76, 30, v135
	v_max3_f32 v77, v79, v78, v77
	v_dual_mul_f32 v87, s19, v124 :: v_dual_mul_f32 v88, s19, v123
	v_cndmask_b32_e64 v71, 0xff7fffff, v90, s12
	v_cndmask_b32_e64 v72, 0xff7fffff, v89, s13
	s_delay_alu instid0(VALU_DEP_4) | instskip(SKIP_3) | instid1(VALU_DEP_4)
	v_max3_f32 v77, v77, v80, v81
	v_cmp_gt_i32_e64 s15, s18, v73
	v_cmp_gt_i32_e64 s16, s18, v74
	v_dual_mul_f32 v85, s19, v126 :: v_dual_mul_f32 v86, s19, v125
	v_max3_f32 v71, v77, v71, v72
	s_delay_alu instid0(VALU_DEP_4) | instskip(NEXT) | instid1(VALU_DEP_4)
	v_cndmask_b32_e64 v73, 0xff7fffff, v88, s15
	v_cndmask_b32_e64 v74, 0xff7fffff, v87, s16
	v_cmp_gt_i32_e64 s17, s18, v75
	v_cmp_gt_i32_e64 s18, s18, v76
	s_delay_alu instid0(VALU_DEP_3) | instskip(NEXT) | instid1(VALU_DEP_3)
	v_max3_f32 v71, v71, v73, v74
	v_cndmask_b32_e64 v72, 0xff7fffff, v86, s17
	s_delay_alu instid0(VALU_DEP_3) | instskip(SKIP_1) | instid1(VALU_DEP_2)
	v_cndmask_b32_e64 v75, 0xff7fffff, v85, s18
	v_lshlrev_b32_e32 v73, 2, v136
	v_max3_f32 v71, v71, v72, v75
	ds_bpermute_b32 v72, v73, v71
	s_waitcnt lgkmcnt(0)
	v_max_f32_e32 v72, v72, v72
	s_delay_alu instid0(VALU_DEP_1) | instskip(NEXT) | instid1(VALU_DEP_1)
	v_max_f32_e32 v71, v71, v72
	v_fma_f32 v72, s19, v127, -v71
	v_fma_f32 v74, s19, v128, -v71
	;; [unrolled: 1-line block ×5, first 2 shown]
	v_mul_f32_e32 v72, 0x3fb8aa3b, v72
	s_delay_alu instid0(VALU_DEP_4) | instskip(NEXT) | instid1(VALU_DEP_4)
	v_dual_mul_f32 v74, 0x3fb8aa3b, v74 :: v_dual_mul_f32 v75, 0x3fb8aa3b, v75
	v_mul_f32_e32 v76, 0x3fb8aa3b, v76
	s_delay_alu instid0(VALU_DEP_4) | instskip(NEXT) | instid1(VALU_DEP_4)
	v_mul_f32_e32 v82, 0x3fb8aa3b, v80
	v_exp_f32_e32 v72, v72
	s_delay_alu instid0(VALU_DEP_3)
	v_exp_f32_e32 v74, v74
	v_exp_f32_e32 v75, v75
	;; [unrolled: 1-line block ×3, first 2 shown]
	v_fma_f32 v77, s19, v131, -v71
	v_exp_f32_e32 v84, v82
	v_cndmask_b32_e32 v79, 0, v72, vcc_lo
	v_cndmask_b32_e64 v78, 0, v74, s3
	s_delay_alu instid0(TRANS32_DEP_3) | instskip(SKIP_1) | instid1(TRANS32_DEP_2)
	v_cndmask_b32_e64 v81, 0, v75, s4
	v_fma_f32 v72, s19, v132, -v71
	v_cndmask_b32_e64 v80, 0, v76, s5
	v_add_f32_e32 v74, 0, v79
	s_delay_alu instid0(TRANS32_DEP_1) | instskip(SKIP_2) | instid1(VALU_DEP_4)
	v_cndmask_b32_e64 v85, 0, v84, s8
	v_cmp_gt_u32_e64 s3, 16, v70
	v_mul_f32_e32 v72, 0x3fb8aa3b, v72
	v_add_f32_e32 v74, v74, v78
	s_delay_alu instid0(VALU_DEP_2) | instskip(NEXT) | instid1(VALU_DEP_1)
	v_exp_f32_e32 v72, v72
	v_add_f32_e32 v74, v74, v81
	s_delay_alu instid0(VALU_DEP_1) | instskip(NEXT) | instid1(VALU_DEP_1)
	v_dual_mul_f32 v77, 0x3fb8aa3b, v77 :: v_dual_add_f32 v74, v74, v80
	v_exp_f32_e32 v77, v77
	s_waitcnt_depctr 0xfff
	v_cndmask_b32_e64 v82, 0, v72, s7
	v_cndmask_b32_e64 v83, 0, v77, s6
	s_delay_alu instid0(VALU_DEP_1) | instskip(SKIP_4) | instid1(VALU_DEP_4)
	v_add_f32_e32 v72, v74, v83
	v_fma_f32 v75, s19, v134, -v71
	v_fma_f32 v76, s19, v119, -v71
	;; [unrolled: 1-line block ×4, first 2 shown]
	v_dual_add_f32 v72, v72, v82 :: v_dual_mul_f32 v75, 0x3fb8aa3b, v75
	s_delay_alu instid0(VALU_DEP_3) | instskip(NEXT) | instid1(VALU_DEP_3)
	v_dual_mul_f32 v76, 0x3fb8aa3b, v76 :: v_dual_mul_f32 v77, 0x3fb8aa3b, v77
	v_mul_f32_e32 v74, 0x3fb8aa3b, v74
	v_fma_f32 v86, s19, v122, -v71
	s_delay_alu instid0(VALU_DEP_4) | instskip(NEXT) | instid1(VALU_DEP_3)
	v_exp_f32_e32 v75, v75
	v_exp_f32_e32 v76, v76
	;; [unrolled: 1-line block ×4, first 2 shown]
	v_mul_f32_e32 v86, 0x3fb8aa3b, v86
	s_delay_alu instid0(VALU_DEP_1)
	v_exp_f32_e32 v88, v86
	v_cndmask_b32_e64 v84, 0, v75, s9
	v_fma_f32 v75, s19, v123, -v71
	v_add_f32_e32 v72, v72, v85
	v_cndmask_b32_e64 v87, 0, v76, s10
	v_fma_f32 v76, s19, v124, -v71
	s_delay_alu instid0(TRANS32_DEP_3) | instskip(NEXT) | instid1(VALU_DEP_4)
	v_cndmask_b32_e64 v86, 0, v77, s11
	v_dual_mul_f32 v75, 0x3fb8aa3b, v75 :: v_dual_add_f32 v72, v72, v84
	v_fma_f32 v77, s19, v125, -v71
	s_delay_alu instid0(VALU_DEP_4) | instskip(SKIP_1) | instid1(VALU_DEP_4)
	v_mul_f32_e32 v76, 0x3fb8aa3b, v76
	v_cndmask_b32_e64 v89, 0, v74, s12
	v_exp_f32_e32 v75, v75
	v_add_f32_e32 v72, v72, v87
	v_mul_f32_e32 v74, 0x3fb8aa3b, v77
	v_exp_f32_e32 v76, v76
	v_cndmask_b32_e64 v88, 0, v88, s13
	v_fma_f32 v77, s19, v126, -v71
	v_add_f32_e32 v72, v72, v86
	v_exp_f32_e32 v74, v74
	s_delay_alu instid0(TRANS32_DEP_3) | instskip(NEXT) | instid1(VALU_DEP_2)
	v_cndmask_b32_e64 v91, 0, v75, s15
	v_add_f32_e32 v72, v72, v89
	v_mul_f32_e32 v75, 0x3fb8aa3b, v77
	s_delay_alu instid0(TRANS32_DEP_2) | instskip(NEXT) | instid1(VALU_DEP_3)
	v_cndmask_b32_e64 v90, 0, v76, s16
	v_add_f32_e32 v72, v72, v88
	s_delay_alu instid0(VALU_DEP_3) | instskip(NEXT) | instid1(TRANS32_DEP_2)
	v_exp_f32_e32 v75, v75
	v_cndmask_b32_e64 v93, 0, v74, s17
	s_delay_alu instid0(VALU_DEP_2) | instskip(NEXT) | instid1(VALU_DEP_1)
	v_add_f32_e32 v72, v72, v91
	v_add_f32_e32 v72, v72, v90
	s_waitcnt_depctr 0xfff
	v_cndmask_b32_e64 v92, 0, v75, s18
	v_add_f32_e32 v72, v72, v93
	s_delay_alu instid0(VALU_DEP_1)
	v_add_f32_e32 v72, v72, v92
	ds_bpermute_b32 v73, v73, v72
	s_and_saveexec_b32 s4, s3
	s_cbranch_execz .LBB1128_12
; %bb.11:
	v_mul_u32_u24_e32 v70, 0x44, v69
	s_waitcnt lgkmcnt(0)
	v_add_f32_e32 v72, v72, v73
	s_delay_alu instid0(VALU_DEP_2) | instskip(NEXT) | instid1(VALU_DEP_1)
	v_lshl_add_u32 v70, v68, 2, v70
	v_add_nc_u32_e32 v70, 0x4000, v70
	ds_store_2addr_b32 v70, v71, v72 offset1:136
.LBB1128_12:
	s_or_b32 exec_lo, exec_lo, s4
	v_lshlrev_b32_e32 v70, 2, v68
	s_load_b32 s36, s[0:1], 0x94
	s_waitcnt lgkmcnt(0)
	s_barrier
	buffer_gl0_inv
	v_add_nc_u32_e32 v98, 0x4000, v70
	v_cmp_eq_u32_e32 vcc_lo, 1, v69
	v_cmp_eq_u32_e64 s4, 2, v69
	v_cmp_eq_u32_e64 s5, 3, v69
	;; [unrolled: 1-line block ×3, first 2 shown]
	ds_load_2addr_b32 v[70:71], v98 offset1:17
	ds_load_2addr_b32 v[72:73], v98 offset0:34 offset1:51
	ds_load_2addr_b32 v[74:75], v98 offset0:68 offset1:85
	;; [unrolled: 1-line block ×3, first 2 shown]
	v_cmp_eq_u32_e64 s7, 5, v69
	v_cmp_eq_u32_e64 s8, 7, v69
	s_waitcnt lgkmcnt(3)
	v_max3_f32 v76, v70, 0xff7fffff, v71
	s_waitcnt lgkmcnt(2)
	s_delay_alu instid0(VALU_DEP_1) | instskip(SKIP_1) | instid1(VALU_DEP_1)
	v_max3_f32 v76, v76, v72, v73
	s_waitcnt lgkmcnt(1)
	v_max3_f32 v76, v76, v74, v75
	s_waitcnt lgkmcnt(0)
	s_delay_alu instid0(VALU_DEP_1) | instskip(NEXT) | instid1(VALU_DEP_1)
	v_max3_f32 v76, v76, v94, v95
	v_sub_f32_e32 v77, v71, v76
	ds_load_2addr_b32 v[96:97], v98 offset0:136 offset1:153
	v_sub_f32_e32 v74, v74, v76
	v_sub_f32_e32 v70, v70, v76
	;; [unrolled: 1-line block ×3, first 2 shown]
	v_dual_sub_f32 v72, v72, v76 :: v_dual_mul_f32 v77, 0x3fb8aa3b, v77
	s_delay_alu instid0(VALU_DEP_4) | instskip(NEXT) | instid1(VALU_DEP_4)
	v_mul_f32_e32 v103, 0x3fb8aa3b, v74
	v_mul_f32_e32 v99, 0x3fb8aa3b, v70
	ds_load_2addr_b32 v[70:71], v98 offset0:170 offset1:187
	v_dual_mul_f32 v101, 0x3fb8aa3b, v72 :: v_dual_mul_f32 v94, 0x3fb8aa3b, v94
	v_exp_f32_e32 v102, v77
	v_exp_f32_e32 v99, v99
	s_delay_alu instid0(VALU_DEP_1) | instskip(NEXT) | instid1(VALU_DEP_1)
	v_exp_f32_e32 v101, v101
	v_exp_f32_e32 v94, v94
	s_waitcnt lgkmcnt(1)
	s_delay_alu instid0(TRANS32_DEP_3)
	v_fma_f32 v77, v99, v96, 0
	v_sub_f32_e32 v100, v73, v76
	ds_load_2addr_b32 v[72:73], v98 offset0:204 offset1:221
	v_fmac_f32_e32 v77, v102, v97
	v_exp_f32_e32 v97, v103
	s_waitcnt lgkmcnt(1)
	s_delay_alu instid0(VALU_DEP_1)
	v_dual_fmac_f32 v77, v101, v70 :: v_dual_sub_f32 v96, v75, v76
	ds_load_2addr_b32 v[74:75], v98 offset0:238 offset1:255
	v_sub_f32_e32 v70, v95, v76
	s_waitcnt lgkmcnt(0)
	s_barrier
	v_mul_f32_e32 v96, 0x3fb8aa3b, v96
	buffer_gl0_inv
	v_exp_f32_e32 v95, v96
	v_mul_f32_e32 v100, 0x3fb8aa3b, v100
	s_delay_alu instid0(VALU_DEP_1) | instskip(SKIP_3) | instid1(VALU_DEP_2)
	v_exp_f32_e32 v100, v100
	s_waitcnt_depctr 0xfff
	v_dual_fmac_f32 v77, v100, v71 :: v_dual_mul_f32 v70, 0x3fb8aa3b, v70
	v_cndmask_b32_e32 v71, v99, v102, vcc_lo
	v_fmac_f32_e32 v77, v97, v72
	s_delay_alu instid0(VALU_DEP_3) | instskip(NEXT) | instid1(VALU_DEP_1)
	v_exp_f32_e32 v96, v70
	v_fmac_f32_e32 v77, v95, v73
	s_delay_alu instid0(VALU_DEP_1) | instskip(SKIP_2) | instid1(VALU_DEP_1)
	v_fmac_f32_e32 v77, v94, v74
	s_waitcnt_depctr 0xfff
	v_fmac_f32_e32 v77, v96, v75
	v_add_f32_e32 v74, 0x358637bd, v77
	s_delay_alu instid0(VALU_DEP_1) | instskip(SKIP_1) | instid1(VALU_DEP_2)
	v_div_scale_f32 v98, null, v74, v74, 1.0
	v_div_scale_f32 v99, vcc_lo, 1.0, v74, 1.0
	v_rcp_f32_e32 v103, v98
	s_waitcnt_depctr 0xfff
	v_fma_f32 v70, -v98, v103, 1.0
	s_delay_alu instid0(VALU_DEP_1) | instskip(SKIP_2) | instid1(VALU_DEP_2)
	v_fmac_f32_e32 v103, v70, v103
	v_cndmask_b32_e64 v70, v71, v101, s4
	v_cmp_eq_u32_e64 s4, 6, v69
	v_cndmask_b32_e64 v71, v70, v100, s5
	s_delay_alu instid0(VALU_DEP_4) | instskip(NEXT) | instid1(VALU_DEP_2)
	v_dual_mul_f32 v101, v99, v103 :: v_dual_lshlrev_b32 v70, 2, v66
	v_cndmask_b32_e64 v71, v71, v97, s6
	s_delay_alu instid0(VALU_DEP_2) | instskip(NEXT) | instid1(VALU_DEP_3)
	v_or_b32_e32 v72, 1, v70
	v_fma_f32 v100, -v98, v101, v99
	v_cmp_eq_u32_e64 s5, 1, v70
	v_cmp_eq_u32_e64 s6, 2, v70
	v_cndmask_b32_e64 v95, v71, v95, s7
	v_or_b32_e32 v71, 3, v70
	v_fmac_f32_e32 v101, v100, v103
	v_cmp_eq_u32_e64 s10, 1, v72
	v_cmp_eq_u32_e64 s13, 2, v72
	v_cndmask_b32_e64 v94, v95, v94, s4
	v_cmp_eq_u32_e64 s12, 1, v71
	v_fma_f32 v97, -v98, v101, v99
	v_cmp_eq_u32_e64 s17, 2, v71
	v_cmp_eq_u32_e64 s15, 3, v72
	v_cndmask_b32_e64 v94, v94, v96, s8
	v_cmp_eq_u32_e64 s19, 3, v71
	v_div_fmas_f32 v95, v97, v103, v101
	v_cmp_eq_u32_e32 vcc_lo, 3, v70
	v_cmp_eq_u32_e64 s4, 4, v70
	v_cmp_eq_u32_e64 s20, 4, v72
	;; [unrolled: 1-line block ×3, first 2 shown]
	v_div_fixup_f32 v95, v95, v74, 1.0
	v_lshlrev_b32_e32 v73, 6, v68
	v_cmp_eq_u32_e64 s7, 5, v70
	v_cmp_eq_u32_e64 s21, 5, v72
	;; [unrolled: 1-line block ×3, first 2 shown]
	v_mul_f32_e32 v102, v94, v95
	v_lshl_or_b32 v75, v69, 11, v73
	v_or_b32_e32 v69, 2, v70
	v_cmp_eq_u32_e64 s26, 6, v72
	v_cmp_eq_u32_e64 s28, 6, v71
	v_fma_mixlo_f16 v94, v102, v79, 0
	v_fma_mixlo_f16 v95, v102, v81, 0
	;; [unrolled: 1-line block ×8, first 2 shown]
	v_lshl_or_b32 v74, v66, 4, v75
	v_fma_mixhi_f16 v94, v102, v78, 0
	v_fma_mixhi_f16 v95, v102, v80, 0
	;; [unrolled: 1-line block ×8, first 2 shown]
	ds_store_b128 v74, v[94:97]
	ds_store_b128 v74, v[98:101] offset:1024
	s_waitcnt lgkmcnt(0)
	s_barrier
	buffer_gl0_inv
	ds_load_b128 v[78:81], v75
	ds_load_b128 v[82:85], v75 offset:16
	ds_load_b128 v[86:89], v75 offset:1024
	;; [unrolled: 1-line block ×3, first 2 shown]
	v_cmp_eq_u32_e64 s11, 1, v69
	v_cmp_eq_u32_e64 s16, 2, v69
	v_cmp_eq_u32_e64 s18, 3, v69
	v_cmp_eq_u32_e64 s22, 4, v69
	v_cmp_eq_u32_e64 s24, 5, v69
	v_cmp_eq_u32_e64 s8, 6, v70
	v_cmp_eq_u32_e64 s27, 6, v69
	v_cmp_eq_u32_e64 s30, 7, v71
	v_cmp_eq_u32_e64 s31, 7, v72
	v_cmp_eq_u32_e64 s9, 7, v70
	v_cmp_eq_u32_e64 s29, 7, v69
	s_waitcnt lgkmcnt(3)
	v_lshrrev_b32_e32 v94, 16, v78
	s_waitcnt lgkmcnt(2)
	v_lshrrev_b32_e32 v98, 16, v82
	;; [unrolled: 2-line block ×4, first 2 shown]
	v_lshrrev_b32_e32 v95, 16, v79
	v_cndmask_b32_e64 v110, v78, v94, s5
	v_cndmask_b32_e64 v111, v82, v98, s5
	;; [unrolled: 1-line block ×8, first 2 shown]
	v_lshrrev_b32_e32 v99, 16, v83
	v_cndmask_b32_e64 v94, v86, v102, s5
	v_cndmask_b32_e64 v98, v90, v106, s5
	;; [unrolled: 1-line block ×15, first 2 shown]
	v_lshrrev_b32_e32 v103, 16, v87
	v_lshrrev_b32_e32 v107, 16, v91
	v_cndmask_b32_e64 v113, v115, v83, s16
	v_cndmask_b32_e64 v82, v94, v87, s6
	;; [unrolled: 1-line block ×7, first 2 shown]
	v_cndmask_b32_e32 v90, v102, v95, vcc_lo
	v_cndmask_b32_e32 v102, v106, v99, vcc_lo
	v_cndmask_b32_e64 v106, v110, v95, s15
	v_cndmask_b32_e64 v110, v111, v99, s15
	;; [unrolled: 1-line block ×4, first 2 shown]
	v_lshrrev_b32_e32 v96, 16, v80
	v_lshrrev_b32_e32 v100, 16, v84
	v_cndmask_b32_e64 v111, v112, v95, s18
	v_cndmask_b32_e64 v112, v113, v99, s18
	v_cndmask_b32_e32 v82, v82, v103, vcc_lo
	v_cndmask_b32_e32 v83, v83, v107, vcc_lo
	v_cndmask_b32_e64 v94, v94, v103, s15
	v_cndmask_b32_e64 v90, v90, v80, s4
	;; [unrolled: 1-line block ×7, first 2 shown]
	v_lshrrev_b32_e32 v104, 16, v88
	v_cndmask_b32_e64 v106, v111, v80, s22
	v_cndmask_b32_e64 v110, v112, v84, s22
	;; [unrolled: 1-line block ×11, first 2 shown]
	v_lshrrev_b32_e32 v97, 16, v81
	v_lshrrev_b32_e32 v101, 16, v85
	v_cndmask_b32_e64 v99, v106, v96, s24
	v_cndmask_b32_e64 v102, v110, v100, s24
	;; [unrolled: 1-line block ×7, first 2 shown]
	v_lshrrev_b32_e32 v105, 16, v89
	v_cndmask_b32_e64 v80, v80, v104, s7
	v_cndmask_b32_e64 v84, v84, v81, s8
	;; [unrolled: 1-line block ×16, first 2 shown]
	v_perm_b32 v81, v79, v78, 0x5040100
	v_perm_b32 v79, v95, v85, 0x5040100
	v_cndmask_b32_e64 v78, v119, v91, s16
	v_cndmask_b32_e64 v85, v117, v91, s13
	;; [unrolled: 1-line block ×3, first 2 shown]
	v_perm_b32 v80, v94, v90, 0x5040100
	v_cndmask_b32_e64 v90, v98, v103, s18
	v_cndmask_b32_e64 v86, v86, v103, s19
	;; [unrolled: 1-line block ×5, first 2 shown]
	v_lshrrev_b32_e32 v108, 16, v92
	v_cndmask_b32_e64 v90, v90, v88, s22
	v_cndmask_b32_e64 v86, v86, v88, s23
	;; [unrolled: 1-line block ×11, first 2 shown]
	v_lshrrev_b32_e32 v109, 16, v93
	v_cndmask_b32_e64 v82, v82, v93, s8
	v_cndmask_b32_e64 v88, v88, v89, s27
	;; [unrolled: 1-line block ×12, first 2 shown]
	v_perm_b32 v78, v84, v83, 0x5040100
	v_perm_b32 v85, v87, v86, 0x5040100
	;; [unrolled: 1-line block ×5, first 2 shown]
	s_mul_i32 s9, s35, 11
	s_mov_b32 s4, exec_lo
	ds_store_b128 v74, v[78:81]
	ds_store_b128 v74, v[82:85] offset:1024
	v_cmpx_gt_u32_e32 11, v0
	s_cbranch_execz .LBB1128_14
; %bb.13:
	s_mul_i32 s5, s9, s34
	s_load_b128 s[16:19], s[0:1], 0x58
	v_add3_u32 v68, s5, s33, v68
	s_delay_alu instid0(VALU_DEP_1) | instskip(NEXT) | instid1(VALU_DEP_1)
	v_mad_u64_u32 v[78:79], null, v68, s36, s[14:15]
	v_ashrrev_i32_e32 v79, 31, v78
	s_delay_alu instid0(VALU_DEP_1) | instskip(SKIP_1) | instid1(VALU_DEP_1)
	v_lshlrev_b64 v[78:79], 2, v[78:79]
	s_waitcnt lgkmcnt(0)
	v_add_co_u32 v80, vcc_lo, s18, v78
	s_delay_alu instid0(VALU_DEP_2)
	v_add_co_ci_u32_e32 v81, vcc_lo, s19, v79, vcc_lo
	v_add_co_u32 v78, vcc_lo, s16, v78
	v_add_co_ci_u32_e32 v79, vcc_lo, s17, v79, vcc_lo
	global_store_b32 v[80:81], v76, off
	global_store_b32 v[78:79], v77, off
.LBB1128_14:
	s_or_b32 exec_lo, exec_lo, s4
	s_waitcnt lgkmcnt(0)
	s_waitcnt_vscnt null, 0x0
	s_barrier
	buffer_gl0_inv
	ds_load_b128 v[84:87], v73
	ds_load_b128 v[88:91], v73 offset:16
	ds_load_b128 v[96:99], v73 offset:2064
	;; [unrolled: 1-line block ×5, first 2 shown]
	v_cmp_eq_u32_e32 vcc_lo, 1, v70
	v_mov_b32_e32 v76, 0
	ds_load_b128 v[112:115], v73 offset:6160
	ds_load_b128 v[108:111], v73 offset:6144
	;; [unrolled: 1-line block ×4, first 2 shown]
	v_cmp_eq_u32_e64 s5, 1, v69
	v_cmp_eq_u32_e64 s4, 1, v72
	;; [unrolled: 1-line block ×3, first 2 shown]
	v_mov_b32_e32 v77, v76
	v_mov_b32_e32 v78, v76
	;; [unrolled: 1-line block ×7, first 2 shown]
	v_cmp_eq_u32_e64 s7, 3, v72
	v_cmp_eq_u32_e64 s8, 7, v72
	s_waitcnt lgkmcnt(8)
	s_delay_alu instid0(VALU_DEP_3)
	v_wmma_f32_16x16x16_f16 v[76:83], v[49:56], v[84:91], v[76:83]
	ds_load_b128 v[53:56], v73 offset:10256
	ds_load_b128 v[49:52], v73 offset:10240
	s_waitcnt lgkmcnt(8)
	v_wmma_f32_16x16x16_f16 v[76:83], v[41:48], v[92:99], v[76:83]
	ds_load_b128 v[45:48], v73 offset:12304
	ds_load_b128 v[41:44], v73 offset:12288
	s_waitcnt lgkmcnt(8)
	;; [unrolled: 4-line block ×3, first 2 shown]
	s_barrier
	buffer_gl0_inv
	v_wmma_f32_16x16x16_f16 v[76:83], v[1:8], v[108:115], v[76:83]
	s_delay_alu instid0(VALU_DEP_1) | instskip(NEXT) | instid1(VALU_DEP_1)
	v_wmma_f32_16x16x16_f16 v[76:83], v[9:16], v[116:123], v[76:83]
	v_wmma_f32_16x16x16_f16 v[76:83], v[17:24], v[49:56], v[76:83]
	s_delay_alu instid0(VALU_DEP_1) | instskip(NEXT) | instid1(VALU_DEP_1)
	v_wmma_f32_16x16x16_f16 v[76:83], v[25:32], v[41:48], v[76:83]
	v_wmma_f32_16x16x16_f16 v[76:83], v[57:64], v[33:40], v[76:83]
	s_delay_alu instid0(VALU_DEP_1) | instskip(NEXT) | instid1(VALU_DEP_2)
	v_cvt_f16_f32_e32 v1, v76
	v_cvt_f16_f32_e32 v2, v77
	s_delay_alu instid0(VALU_DEP_3) | instskip(NEXT) | instid1(VALU_DEP_4)
	v_cvt_f16_f32_e32 v3, v78
	v_cvt_f16_f32_e32 v4, v79
	;; [unrolled: 1-line block ×6, first 2 shown]
	v_pack_b32_f16 v1, v1, v2
	v_pack_b32_f16 v2, v3, v4
	;; [unrolled: 1-line block ×3, first 2 shown]
	s_delay_alu instid0(VALU_DEP_4)
	v_pack_b32_f16 v4, v7, v8
	ds_store_b128 v74, v[1:4]
	s_waitcnt lgkmcnt(0)
	s_barrier
	buffer_gl0_inv
	ds_load_b128 v[1:4], v75
	ds_load_b128 v[5:8], v75 offset:16
	s_waitcnt lgkmcnt(1)
	v_lshrrev_b32_e32 v9, 16, v1
	s_waitcnt lgkmcnt(0)
	v_lshrrev_b32_e32 v13, 16, v5
	v_lshrrev_b32_e32 v10, 16, v2
	;; [unrolled: 1-line block ×4, first 2 shown]
	v_cndmask_b32_e32 v17, v1, v9, vcc_lo
	v_cndmask_b32_e32 v18, v5, v13, vcc_lo
	v_cndmask_b32_e64 v21, v1, v9, s5
	v_cmp_eq_u32_e32 vcc_lo, 1, v71
	v_cndmask_b32_e64 v22, v5, v13, s5
	v_cmp_eq_u32_e64 s5, 2, v70
	v_cndmask_b32_e64 v19, v1, v9, s4
	v_cndmask_b32_e64 v20, v5, v13, s4
	v_cndmask_b32_e32 v1, v1, v9, vcc_lo
	v_cmp_eq_u32_e64 s4, 2, v71
	v_cndmask_b32_e32 v5, v5, v13, vcc_lo
	v_cndmask_b32_e64 v9, v17, v2, s5
	v_cmp_eq_u32_e32 vcc_lo, 3, v70
	v_cndmask_b32_e64 v13, v18, v6, s5
	v_cmp_eq_u32_e64 s5, 2, v69
	v_cndmask_b32_e64 v17, v19, v2, s6
	v_cndmask_b32_e64 v18, v20, v6, s6
	v_cmp_eq_u32_e64 s6, 3, v69
	v_cndmask_b32_e64 v1, v1, v2, s4
	v_cndmask_b32_e64 v19, v21, v2, s5
	;; [unrolled: 1-line block ×4, first 2 shown]
	v_cndmask_b32_e32 v5, v9, v10, vcc_lo
	v_cndmask_b32_e32 v6, v13, v14, vcc_lo
	v_cmp_eq_u32_e32 vcc_lo, 3, v71
	v_cndmask_b32_e64 v9, v17, v10, s7
	v_cndmask_b32_e64 v13, v18, v14, s7
	;; [unrolled: 1-line block ×3, first 2 shown]
	v_cmp_eq_u32_e64 s5, 4, v70
	v_cndmask_b32_e32 v1, v1, v10, vcc_lo
	v_cndmask_b32_e32 v2, v2, v14, vcc_lo
	v_cmp_eq_u32_e32 vcc_lo, 4, v72
	v_lshrrev_b32_e32 v15, 16, v7
	v_lshrrev_b32_e32 v16, 16, v8
	v_cndmask_b32_e64 v17, v19, v10, s6
	v_cmp_eq_u32_e64 s4, 4, v71
	v_cndmask_b32_e64 v5, v5, v3, s5
	v_cndmask_b32_e64 v6, v6, v7, s5
	v_cndmask_b32_e32 v9, v9, v3, vcc_lo
	v_cmp_eq_u32_e64 s5, 5, v72
	v_cndmask_b32_e32 v10, v13, v7, vcc_lo
	v_cmp_eq_u32_e32 vcc_lo, 4, v69
	v_cmp_eq_u32_e64 s6, 5, v70
	v_cndmask_b32_e64 v2, v2, v7, s4
	v_cndmask_b32_e64 v9, v9, v11, s5
	;; [unrolled: 1-line block ×3, first 2 shown]
	v_cndmask_b32_e32 v13, v17, v3, vcc_lo
	v_cmp_eq_u32_e64 s5, 5, v69
	v_cndmask_b32_e32 v14, v18, v7, vcc_lo
	v_cndmask_b32_e64 v1, v1, v3, s4
	v_cmp_eq_u32_e32 vcc_lo, 5, v71
	v_lshrrev_b32_e32 v12, 16, v4
	v_cndmask_b32_e64 v13, v13, v11, s5
	v_cndmask_b32_e64 v3, v14, v15, s5
	v_cmp_eq_u32_e64 s5, 6, v71
	v_cndmask_b32_e32 v1, v1, v11, vcc_lo
	v_cndmask_b32_e64 v5, v5, v11, s6
	v_cmp_eq_u32_e64 s7, 6, v70
	v_cndmask_b32_e64 v6, v6, v15, s6
	v_cmp_eq_u32_e64 s6, 6, v72
	v_cmp_eq_u32_e64 s4, 6, v69
	v_cndmask_b32_e64 v1, v1, v4, s5
	v_cndmask_b32_e32 v2, v2, v15, vcc_lo
	v_cmp_eq_u32_e32 vcc_lo, 7, v71
	v_cndmask_b32_e64 v5, v5, v4, s7
	v_cndmask_b32_e64 v9, v9, v4, s6
	;; [unrolled: 1-line block ×3, first 2 shown]
	v_cmp_eq_u32_e64 s7, 7, v70
	v_cndmask_b32_e32 v1, v1, v12, vcc_lo
	v_cndmask_b32_e64 v7, v13, v4, s4
	v_cndmask_b32_e64 v3, v3, v8, s4
	;; [unrolled: 1-line block ×3, first 2 shown]
	v_cmp_eq_u32_e64 s4, 7, v69
	v_cndmask_b32_e64 v4, v10, v8, s6
	v_cndmask_b32_e64 v5, v5, v12, s7
	;; [unrolled: 1-line block ×3, first 2 shown]
	v_cndmask_b32_e32 v2, v2, v16, vcc_lo
	v_cndmask_b32_e64 v7, v7, v12, s4
	v_cndmask_b32_e64 v3, v3, v16, s4
	;; [unrolled: 1-line block ×4, first 2 shown]
	v_cmp_gt_u32_e32 vcc_lo, 32, v0
	v_perm_b32 v4, v2, v1, 0x5040100
	v_perm_b32 v3, v3, v7, 0x5040100
	;; [unrolled: 1-line block ×4, first 2 shown]
	s_and_b32 s2, vcc_lo, s2
	ds_store_b128 v74, v[1:4]
	s_waitcnt lgkmcnt(0)
	s_barrier
	buffer_gl0_inv
	s_and_saveexec_b32 s4, s2
	s_cbranch_execz .LBB1128_2
; %bb.15:
	s_load_b64 s[4:5], s[0:1], 0x68
	v_lshlrev_b32_e32 v0, 10, v0
	v_lshlrev_b32_e32 v1, 4, v67
	s_lshl_b32 s0, s36, 6
	v_add_nc_u32_e32 v7, s33, v66
	s_mul_i32 s1, s0, s34
	s_delay_alu instid0(SALU_CYCLE_1) | instskip(SKIP_1) | instid1(VALU_DEP_2)
	s_mul_i32 s6, s1, s9
	v_and_or_b32 v0, 0x3800, v0, v1
	v_mul_lo_u32 v1, v7, s0
	v_add_nc_u32_e32 v2, 2, v7
	s_ashr_i32 s7, s6, 31
	v_add_nc_u32_e32 v4, 4, v7
	s_lshl_b64 s[6:7], s[6:7], 1
	v_add_nc_u32_e32 v8, 6, v7
	v_mul_lo_u32 v3, v2, s0
	v_lshl_or_b32 v19, v66, 6, v0
	v_ashrrev_i32_e32 v2, 31, v1
	v_mul_lo_u32 v11, v4, s0
	v_mul_lo_u32 v25, v8, s0
	s_waitcnt lgkmcnt(0)
	s_add_u32 s1, s4, s6
	s_addc_u32 s2, s5, s7
	s_lshl_b32 s4, s14, 6
	v_lshlrev_b64 v[5:6], 1, v[1:2]
	s_ashr_i32 s5, s4, 31
	v_ashrrev_i32_e32 v4, 31, v3
	s_lshl_b64 s[4:5], s[4:5], 1
	v_ashrrev_i32_e32 v12, 31, v11
	s_add_u32 s1, s1, s4
	s_addc_u32 s2, s2, s5
	v_add_co_u32 v1, s1, s1, v65
	s_delay_alu instid0(VALU_DEP_1) | instskip(SKIP_1) | instid1(VALU_DEP_3)
	v_add_co_ci_u32_e64 v2, null, s2, 0, s1
	v_lshlrev_b64 v[3:4], 1, v[3:4]
	v_add_co_u32 v23, vcc_lo, v1, v5
	v_add_nc_u32_e32 v5, 8, v7
	s_delay_alu instid0(VALU_DEP_4) | instskip(NEXT) | instid1(VALU_DEP_4)
	v_add_co_ci_u32_e32 v24, vcc_lo, v2, v6, vcc_lo
	v_add_co_u32 v27, vcc_lo, v1, v3
	s_delay_alu instid0(VALU_DEP_3)
	v_mul_lo_u32 v29, v5, s0
	v_add_co_ci_u32_e32 v28, vcc_lo, v2, v4, vcc_lo
	ds_load_b128 v[3:6], v19
	ds_load_b128 v[7:10], v19 offset:128
	v_lshlrev_b64 v[31:32], 1, v[11:12]
	ds_load_b128 v[11:14], v19 offset:256
	ds_load_b128 v[15:18], v19 offset:384
	;; [unrolled: 1-line block ×3, first 2 shown]
	v_ashrrev_i32_e32 v26, 31, v25
	v_ashrrev_i32_e32 v30, 31, v29
	v_add_co_u32 v31, vcc_lo, v1, v31
	s_delay_alu instid0(VALU_DEP_3) | instskip(NEXT) | instid1(VALU_DEP_3)
	v_lshlrev_b64 v[25:26], 1, v[25:26]
	v_lshlrev_b64 v[29:30], 1, v[29:30]
	v_add_co_ci_u32_e32 v32, vcc_lo, v2, v32, vcc_lo
	s_delay_alu instid0(VALU_DEP_3) | instskip(NEXT) | instid1(VALU_DEP_4)
	v_add_co_u32 v25, vcc_lo, v1, v25
	v_add_co_ci_u32_e32 v26, vcc_lo, v2, v26, vcc_lo
	s_delay_alu instid0(VALU_DEP_4)
	v_add_co_u32 v29, vcc_lo, v1, v29
	v_add_co_ci_u32_e32 v30, vcc_lo, v2, v30, vcc_lo
	s_waitcnt lgkmcnt(4)
	global_store_b128 v[23:24], v[3:6], off
	s_waitcnt lgkmcnt(3)
	global_store_b128 v[27:28], v[7:10], off
	;; [unrolled: 2-line block ×5, first 2 shown]
	s_and_b32 exec_lo, exec_lo, s3
	s_cbranch_execz .LBB1128_2
; %bb.16:
	ds_load_b128 v[3:6], v0 offset:640
	s_add_i32 s1, s33, 10
	s_delay_alu instid0(SALU_CYCLE_1) | instskip(NEXT) | instid1(SALU_CYCLE_1)
	s_mul_i32 s0, s1, s0
	s_ashr_i32 s1, s0, 31
	s_delay_alu instid0(SALU_CYCLE_1) | instskip(NEXT) | instid1(SALU_CYCLE_1)
	s_lshl_b64 s[0:1], s[0:1], 1
	v_add_co_u32 v0, vcc_lo, v1, s0
	v_add_co_ci_u32_e32 v1, vcc_lo, s1, v2, vcc_lo
	s_waitcnt lgkmcnt(0)
	global_store_b128 v[0:1], v[3:6], off
	s_nop 0
	s_sendmsg sendmsg(MSG_DEALLOC_VGPRS)
	s_endpgm
	.section	.rodata,"a",@progbits
	.p2align	6, 0x0
	.amdhsa_kernel _Z39paged_attention_ll4mi_QKV_mfma16_kernelIDF16_hLN4vllm18Fp8KVCacheDataTypeE1EDF16_Li16ELi64ELi256ELb1ELi11EL8MFMAType0EEvPKT_PKT0_S8_ifPKiSA_SA_iPKfiiiPfSD_PS3_PT2_iSC_SC_
		.amdhsa_group_segment_fixed_size 17472
		.amdhsa_private_segment_fixed_size 0
		.amdhsa_kernarg_size 400
		.amdhsa_user_sgpr_count 13
		.amdhsa_user_sgpr_dispatch_ptr 0
		.amdhsa_user_sgpr_queue_ptr 0
		.amdhsa_user_sgpr_kernarg_segment_ptr 1
		.amdhsa_user_sgpr_dispatch_id 0
		.amdhsa_user_sgpr_private_segment_size 0
		.amdhsa_wavefront_size32 1
		.amdhsa_uses_dynamic_stack 0
		.amdhsa_enable_private_segment 0
		.amdhsa_system_sgpr_workgroup_id_x 1
		.amdhsa_system_sgpr_workgroup_id_y 1
		.amdhsa_system_sgpr_workgroup_id_z 1
		.amdhsa_system_sgpr_workgroup_info 0
		.amdhsa_system_vgpr_workitem_id 0
		.amdhsa_next_free_vgpr 146
		.amdhsa_next_free_sgpr 37
		.amdhsa_reserve_vcc 1
		.amdhsa_float_round_mode_32 0
		.amdhsa_float_round_mode_16_64 0
		.amdhsa_float_denorm_mode_32 3
		.amdhsa_float_denorm_mode_16_64 3
		.amdhsa_dx10_clamp 1
		.amdhsa_ieee_mode 1
		.amdhsa_fp16_overflow 0
		.amdhsa_workgroup_processor_mode 1
		.amdhsa_memory_ordered 1
		.amdhsa_forward_progress 0
		.amdhsa_shared_vgpr_count 0
		.amdhsa_exception_fp_ieee_invalid_op 0
		.amdhsa_exception_fp_denorm_src 0
		.amdhsa_exception_fp_ieee_div_zero 0
		.amdhsa_exception_fp_ieee_overflow 0
		.amdhsa_exception_fp_ieee_underflow 0
		.amdhsa_exception_fp_ieee_inexact 0
		.amdhsa_exception_int_div_zero 0
	.end_amdhsa_kernel
	.section	.text._Z39paged_attention_ll4mi_QKV_mfma16_kernelIDF16_hLN4vllm18Fp8KVCacheDataTypeE1EDF16_Li16ELi64ELi256ELb1ELi11EL8MFMAType0EEvPKT_PKT0_S8_ifPKiSA_SA_iPKfiiiPfSD_PS3_PT2_iSC_SC_,"axG",@progbits,_Z39paged_attention_ll4mi_QKV_mfma16_kernelIDF16_hLN4vllm18Fp8KVCacheDataTypeE1EDF16_Li16ELi64ELi256ELb1ELi11EL8MFMAType0EEvPKT_PKT0_S8_ifPKiSA_SA_iPKfiiiPfSD_PS3_PT2_iSC_SC_,comdat
.Lfunc_end1128:
	.size	_Z39paged_attention_ll4mi_QKV_mfma16_kernelIDF16_hLN4vllm18Fp8KVCacheDataTypeE1EDF16_Li16ELi64ELi256ELb1ELi11EL8MFMAType0EEvPKT_PKT0_S8_ifPKiSA_SA_iPKfiiiPfSD_PS3_PT2_iSC_SC_, .Lfunc_end1128-_Z39paged_attention_ll4mi_QKV_mfma16_kernelIDF16_hLN4vllm18Fp8KVCacheDataTypeE1EDF16_Li16ELi64ELi256ELb1ELi11EL8MFMAType0EEvPKT_PKT0_S8_ifPKiSA_SA_iPKfiiiPfSD_PS3_PT2_iSC_SC_
                                        ; -- End function
	.section	.AMDGPU.csdata,"",@progbits
; Kernel info:
; codeLenInByte = 6640
; NumSgprs: 39
; NumVgprs: 146
; ScratchSize: 0
; MemoryBound: 0
; FloatMode: 240
; IeeeMode: 1
; LDSByteSize: 17472 bytes/workgroup (compile time only)
; SGPRBlocks: 4
; VGPRBlocks: 18
; NumSGPRsForWavesPerEU: 39
; NumVGPRsForWavesPerEU: 146
; Occupancy: 9
; WaveLimiterHint : 1
; COMPUTE_PGM_RSRC2:SCRATCH_EN: 0
; COMPUTE_PGM_RSRC2:USER_SGPR: 13
; COMPUTE_PGM_RSRC2:TRAP_HANDLER: 0
; COMPUTE_PGM_RSRC2:TGID_X_EN: 1
; COMPUTE_PGM_RSRC2:TGID_Y_EN: 1
; COMPUTE_PGM_RSRC2:TGID_Z_EN: 1
; COMPUTE_PGM_RSRC2:TIDIG_COMP_CNT: 0
	.section	.text._Z39paged_attention_ll4mi_QKV_mfma16_kernelIDF16_hLN4vllm18Fp8KVCacheDataTypeE1EDF16_Li16ELi64ELi256ELb1ELi12EL8MFMAType0EEvPKT_PKT0_S8_ifPKiSA_SA_iPKfiiiPfSD_PS3_PT2_iSC_SC_,"axG",@progbits,_Z39paged_attention_ll4mi_QKV_mfma16_kernelIDF16_hLN4vllm18Fp8KVCacheDataTypeE1EDF16_Li16ELi64ELi256ELb1ELi12EL8MFMAType0EEvPKT_PKT0_S8_ifPKiSA_SA_iPKfiiiPfSD_PS3_PT2_iSC_SC_,comdat
	.protected	_Z39paged_attention_ll4mi_QKV_mfma16_kernelIDF16_hLN4vllm18Fp8KVCacheDataTypeE1EDF16_Li16ELi64ELi256ELb1ELi12EL8MFMAType0EEvPKT_PKT0_S8_ifPKiSA_SA_iPKfiiiPfSD_PS3_PT2_iSC_SC_ ; -- Begin function _Z39paged_attention_ll4mi_QKV_mfma16_kernelIDF16_hLN4vllm18Fp8KVCacheDataTypeE1EDF16_Li16ELi64ELi256ELb1ELi12EL8MFMAType0EEvPKT_PKT0_S8_ifPKiSA_SA_iPKfiiiPfSD_PS3_PT2_iSC_SC_
	.globl	_Z39paged_attention_ll4mi_QKV_mfma16_kernelIDF16_hLN4vllm18Fp8KVCacheDataTypeE1EDF16_Li16ELi64ELi256ELb1ELi12EL8MFMAType0EEvPKT_PKT0_S8_ifPKiSA_SA_iPKfiiiPfSD_PS3_PT2_iSC_SC_
	.p2align	8
	.type	_Z39paged_attention_ll4mi_QKV_mfma16_kernelIDF16_hLN4vllm18Fp8KVCacheDataTypeE1EDF16_Li16ELi64ELi256ELb1ELi12EL8MFMAType0EEvPKT_PKT0_S8_ifPKiSA_SA_iPKfiiiPfSD_PS3_PT2_iSC_SC_,@function
_Z39paged_attention_ll4mi_QKV_mfma16_kernelIDF16_hLN4vllm18Fp8KVCacheDataTypeE1EDF16_Li16ELi64ELi256ELb1ELi12EL8MFMAType0EEvPKT_PKT0_S8_ifPKiSA_SA_iPKfiiiPfSD_PS3_PT2_iSC_SC_: ; @_Z39paged_attention_ll4mi_QKV_mfma16_kernelIDF16_hLN4vllm18Fp8KVCacheDataTypeE1EDF16_Li16ELi64ELi256ELb1ELi12EL8MFMAType0EEvPKT_PKT0_S8_ifPKiSA_SA_iPKfiiiPfSD_PS3_PT2_iSC_SC_
; %bb.0:
	s_load_b64 s[2:3], s[0:1], 0x30
	s_mov_b32 s34, s13
	s_waitcnt lgkmcnt(0)
	s_cmp_lg_u64 s[2:3], 0
	s_cselect_b32 s6, -1, 0
	s_ashr_i32 s35, s13, 31
	s_cmp_eq_u64 s[2:3], 0
	s_cbranch_scc1 .LBB1129_3
; %bb.1:
	s_lshl_b64 s[4:5], s[34:35], 2
	s_delay_alu instid0(SALU_CYCLE_1) | instskip(SKIP_4) | instid1(SALU_CYCLE_1)
	s_add_u32 s4, s2, s4
	s_addc_u32 s5, s3, s5
	s_load_b64 s[4:5], s[4:5], 0x0
	s_waitcnt lgkmcnt(0)
	s_sub_i32 s4, s5, s4
	s_cmp_eq_u32 s4, 1
	s_cselect_b32 s4, -1, 0
	s_delay_alu instid0(SALU_CYCLE_1)
	s_and_not1_b32 vcc_lo, exec_lo, s4
	s_cbranch_vccz .LBB1129_4
.LBB1129_2:
	s_endpgm
.LBB1129_3:
.LBB1129_4:
	s_load_b64 s[8:9], s[0:1], 0x28
	s_lshl_b64 s[4:5], s[34:35], 2
	s_waitcnt lgkmcnt(0)
	s_add_u32 s8, s8, s4
	s_addc_u32 s9, s9, s5
	s_lshl_b32 s16, s14, 8
	s_load_b32 s18, s[8:9], 0x0
	s_waitcnt lgkmcnt(0)
	s_cmp_ge_i32 s16, s18
	s_cbranch_scc1 .LBB1129_2
; %bb.5:
	s_clause 0x1
	s_load_b128 s[8:11], s[0:1], 0x8
	s_load_b64 s[12:13], s[0:1], 0x20
	s_and_not1_b32 vcc_lo, exec_lo, s6
	s_cbranch_vccnz .LBB1129_7
; %bb.6:
	s_add_u32 s2, s2, s4
	s_addc_u32 s3, s3, s5
	s_load_b32 s3, s[2:3], 0x0
	s_branch .LBB1129_8
.LBB1129_7:
	s_mov_b32 s3, s34
.LBB1129_8:
	s_load_b128 s[4:7], s[0:1], 0x48
	v_and_b32_e32 v68, 15, v0
	v_cmp_gt_u32_e32 vcc_lo, 0xc0, v0
	v_lshrrev_b32_e32 v69, 5, v0
	v_and_b32_e32 v70, 31, v0
	v_and_b32_e32 v67, 1, v0
	v_lshlrev_b32_e32 v1, 3, v68
	v_cmp_gt_u32_e64 s2, 8, v68
	v_bfe_u32 v66, v0, 4, 1
	s_mul_i32 s31, s15, 12
	s_delay_alu instid0(VALU_DEP_3) | instskip(NEXT) | instid1(VALU_DEP_3)
	v_lshlrev_b32_e32 v65, 1, v1
	s_and_b32 s17, vcc_lo, s2
	s_waitcnt lgkmcnt(0)
	s_and_saveexec_b32 s7, s17
	s_cbranch_execz .LBB1129_10
; %bb.9:
	s_load_b64 s[20:21], s[0:1], 0x0
	v_lshl_or_b32 v5, v69, 1, v66
	s_mul_hi_i32 s23, s3, s4
	s_mul_i32 s22, s3, s4
	v_lshlrev_b32_e32 v6, 10, v68
	s_lshl_b64 s[22:23], s[22:23], 1
	v_add_lshl_u32 v1, v5, s31, 6
	v_lshlrev_b32_e32 v5, 6, v5
	v_lshlrev_b32_e32 v7, 10, v67
	v_and_b32_e32 v6, 0x3800, v6
	s_delay_alu instid0(VALU_DEP_4) | instskip(NEXT) | instid1(VALU_DEP_2)
	v_ashrrev_i32_e32 v2, 31, v1
	v_or3_b32 v5, v6, v7, v5
	s_delay_alu instid0(VALU_DEP_2) | instskip(SKIP_3) | instid1(VALU_DEP_1)
	v_lshlrev_b64 v[1:2], 1, v[1:2]
	s_waitcnt lgkmcnt(0)
	s_add_u32 s3, s20, s22
	s_addc_u32 s4, s21, s23
	v_add_co_u32 v1, vcc_lo, s3, v1
	s_delay_alu instid0(VALU_DEP_2) | instskip(NEXT) | instid1(VALU_DEP_2)
	v_add_co_ci_u32_e32 v2, vcc_lo, s4, v2, vcc_lo
	v_add_co_u32 v1, vcc_lo, v1, v65
	s_delay_alu instid0(VALU_DEP_2)
	v_add_co_ci_u32_e32 v2, vcc_lo, 0, v2, vcc_lo
	global_load_b128 v[1:4], v[1:2], off
	s_waitcnt vmcnt(0)
	ds_store_b128 v5, v[1:4]
.LBB1129_10:
	s_or_b32 exec_lo, exec_lo, s7
	v_and_b32_e32 v1, 0xef, v0
	s_add_i32 s3, s18, 15
	s_clause 0x1
	s_load_b32 s4, s[0:1], 0x38
	s_load_b32 s33, s[0:1], 0x98
	s_ashr_i32 s7, s3, 31
	v_add_nc_u32_e32 v1, s16, v1
	s_lshr_b32 s7, s7, 28
	s_load_b32 s19, s[0:1], 0x1c
	v_add_nc_u32_e32 v103, -12, v68
	s_add_i32 s3, s3, s7
	v_ashrrev_i32_e32 v2, 31, v1
	v_or_b32_e32 v3, 16, v1
	s_ashr_i32 s3, s3, 4
	v_cmp_gt_i32_e32 vcc_lo, s18, v1
	s_add_i32 s3, s3, -1
	v_lshrrev_b32_e32 v2, 28, v2
	s_waitcnt lgkmcnt(0)
	s_barrier
	buffer_gl0_inv
	s_mul_i32 s15, s15, s6
	v_add_nc_u32_e32 v4, v1, v2
	v_mbcnt_lo_u32_b32 v127, -1, 0
	s_mul_i32 s20, s34, s4
	s_delay_alu instid0(SALU_CYCLE_1) | instskip(NEXT) | instid1(VALU_DEP_2)
	s_ashr_i32 s21, s20, 31
	v_ashrrev_i32_e32 v4, 4, v4
	v_add_nc_u32_e32 v2, v3, v2
	s_lshl_b64 s[20:21], s[20:21], 2
	v_xor_b32_e32 v128, 16, v127
	s_add_u32 s17, s12, s20
	v_cndmask_b32_e32 v1, s3, v4, vcc_lo
	v_ashrrev_i32_e32 v2, 4, v2
	v_cmp_gt_i32_e32 vcc_lo, s18, v3
	s_addc_u32 s13, s13, s21
	s_ashr_i32 s20, s15, 31
	s_add_u32 s4, s8, s15
	s_addc_u32 s12, s9, s20
	v_cndmask_b32_e32 v3, s3, v2, vcc_lo
	v_ashrrev_i32_e32 v2, 31, v1
	s_lshl_b32 s6, s14, 4
	s_delay_alu instid0(SALU_CYCLE_1) | instskip(NEXT) | instid1(VALU_DEP_2)
	s_ashr_i32 s7, s6, 31
	v_ashrrev_i32_e32 v4, 31, v3
	s_delay_alu instid0(VALU_DEP_2) | instskip(SKIP_1) | instid1(SALU_CYCLE_1)
	v_lshlrev_b64 v[1:2], 2, v[1:2]
	s_lshl_b64 s[6:7], s[6:7], 2
	s_add_u32 s6, s17, s6
	s_delay_alu instid0(VALU_DEP_2) | instskip(SKIP_1) | instid1(VALU_DEP_2)
	v_lshlrev_b64 v[3:4], 2, v[3:4]
	s_addc_u32 s7, s13, s7
	v_add_co_u32 v1, vcc_lo, s17, v1
	v_add_co_ci_u32_e32 v2, vcc_lo, s13, v2, vcc_lo
	s_delay_alu instid0(VALU_DEP_3) | instskip(NEXT) | instid1(VALU_DEP_4)
	v_add_co_u32 v3, vcc_lo, s17, v3
	v_add_co_ci_u32_e32 v4, vcc_lo, s13, v4, vcc_lo
	s_clause 0x1
	global_load_b32 v5, v[1:2], off
	global_load_b32 v7, v[3:4], off
	s_or_b32 s8, s16, 32
	v_lshlrev_b32_e32 v1, 4, v0
	s_ashr_i32 s9, s8, 4
	s_cmp_lt_i32 s8, s18
	v_cmp_gt_u32_e32 vcc_lo, 12, v68
	s_cselect_b32 s8, s9, s3
	v_and_b32_e32 v1, 0xf0, v1
	s_ashr_i32 s9, s8, 31
	s_delay_alu instid0(SALU_CYCLE_1)
	s_lshl_b64 s[8:9], s[8:9], 2
	v_cndmask_b32_e32 v103, v103, v68, vcc_lo
	s_add_u32 s8, s17, s8
	s_addc_u32 s9, s13, s9
	s_or_b32 s21, s16, 64
	v_add_co_u32 v1, s4, s4, v1
	s_ashr_i32 s22, s21, 4
	s_cmp_lt_i32 s21, s18
	v_add_co_ci_u32_e64 v2, null, s12, 0, s4
	s_cselect_b32 s22, s22, s3
	v_cmp_gt_i32_e32 vcc_lo, 32, v128
	s_ashr_i32 s23, s22, 31
	v_lshlrev_b32_e32 v115, 6, v103
	s_lshl_b64 s[22:23], s[22:23], 2
	v_cndmask_b32_e32 v136, v127, v128, vcc_lo
	s_add_u32 s22, s17, s22
	s_addc_u32 s23, s13, s23
	s_or_b32 s21, s16, 0x60
	s_delay_alu instid0(SALU_CYCLE_1) | instskip(SKIP_2) | instid1(SALU_CYCLE_1)
	s_ashr_i32 s24, s21, 4
	s_cmp_lt_i32 s21, s18
	s_cselect_b32 s24, s24, s3
	s_ashr_i32 s25, s24, 31
	s_delay_alu instid0(SALU_CYCLE_1) | instskip(NEXT) | instid1(SALU_CYCLE_1)
	s_lshl_b64 s[24:25], s[24:25], 2
	s_add_u32 s24, s17, s24
	s_addc_u32 s25, s13, s25
	s_or_b32 s21, s16, 0x80
	s_delay_alu instid0(SALU_CYCLE_1) | instskip(SKIP_2) | instid1(SALU_CYCLE_1)
	s_ashr_i32 s26, s21, 4
	s_cmp_lt_i32 s21, s18
	s_cselect_b32 s26, s26, s3
	s_ashr_i32 s27, s26, 31
	s_delay_alu instid0(SALU_CYCLE_1) | instskip(NEXT) | instid1(SALU_CYCLE_1)
	s_lshl_b64 s[26:27], s[26:27], 2
	;; [unrolled: 10-line block ×3, first 2 shown]
	s_add_u32 s28, s17, s28
	s_addc_u32 s29, s13, s29
	s_clause 0x5
	s_load_b32 s12, s[6:7], 0x0
	s_load_b32 s4, s[8:9], 0x0
	;; [unrolled: 1-line block ×6, first 2 shown]
	s_or_b32 s21, s16, 0xc0
	s_delay_alu instid0(SALU_CYCLE_1) | instskip(SKIP_2) | instid1(SALU_CYCLE_1)
	s_ashr_i32 s22, s21, 4
	s_cmp_lt_i32 s21, s18
	s_cselect_b32 s22, s22, s3
	s_ashr_i32 s23, s22, 31
	s_delay_alu instid0(SALU_CYCLE_1) | instskip(NEXT) | instid1(SALU_CYCLE_1)
	s_lshl_b64 s[22:23], s[22:23], 2
	s_add_u32 s22, s17, s22
	s_addc_u32 s23, s13, s23
	s_or_b32 s21, s16, 0xe0
	s_delay_alu instid0(SALU_CYCLE_1) | instskip(SKIP_2) | instid1(SALU_CYCLE_1)
	s_ashr_i32 s24, s21, 4
	s_cmp_lt_i32 s21, s18
	s_cselect_b32 s24, s24, s3
	s_ashr_i32 s25, s24, 31
	s_delay_alu instid0(SALU_CYCLE_1)
	s_lshl_b64 s[24:25], s[24:25], 2
	s_waitcnt vmcnt(1)
	v_mad_i64_i32 v[3:4], null, v5, s5, v[1:2]
	s_waitcnt vmcnt(0)
	v_mad_i64_i32 v[5:6], null, v7, s5, v[1:2]
	v_lshlrev_b32_e32 v1, 4, v68
	s_clause 0x7
	global_load_b128 v[71:74], v[3:4], off
	global_load_b128 v[75:78], v[3:4], off offset:256
	global_load_b128 v[79:82], v[5:6], off
	global_load_b128 v[83:86], v[5:6], off offset:256
	global_load_b128 v[87:90], v[3:4], off offset:512
	;; [unrolled: 1-line block ×5, first 2 shown]
	v_lshl_or_b32 v1, v69, 8, v1
	s_load_b32 s3, s[22:23], 0x0
	s_add_u32 s22, s17, s24
	s_addc_u32 s23, s13, s25
	s_add_u32 s10, s10, s15
	s_addc_u32 s11, s11, s20
	v_add_co_u32 v1, s10, s10, v1
	s_delay_alu instid0(VALU_DEP_1) | instskip(SKIP_2) | instid1(VALU_DEP_1)
	v_add_co_ci_u32_e64 v2, null, s11, 0, s10
	s_load_b32 s10, s[22:23], 0x0
	s_waitcnt lgkmcnt(0)
	v_mad_i64_i32 v[3:4], null, s12, s5, v[1:2]
	v_mad_i64_i32 v[9:10], null, s7, s5, v[1:2]
	;; [unrolled: 1-line block ×7, first 2 shown]
	s_clause 0x5
	global_load_b128 v[49:52], v[3:4], off
	global_load_b128 v[53:56], v[3:4], off offset:16
	global_load_b128 v[41:44], v[5:6], off
	global_load_b128 v[45:48], v[5:6], off offset:16
	;; [unrolled: 2-line block ×3, first 2 shown]
	s_mov_b32 s4, 0
	v_mad_i64_i32 v[61:62], null, s10, s5, v[1:2]
	s_clause 0x9
	global_load_b128 v[1:4], v[9:10], off
	global_load_b128 v[5:8], v[9:10], off offset:16
	global_load_b128 v[9:12], v[13:14], off
	global_load_b128 v[13:16], v[13:14], off offset:16
	;; [unrolled: 2-line block ×5, first 2 shown]
	s_mov_b32 s5, s4
	s_mov_b32 s6, s4
	;; [unrolled: 1-line block ×7, first 2 shown]
	v_and_b32_e32 v104, 0xe0, v0
	v_dual_mov_b32 v126, s11 :: v_dual_mov_b32 v125, s10
	v_dual_mov_b32 v124, s9 :: v_dual_mov_b32 v123, s8
	s_delay_alu instid0(VALU_DEP_3)
	v_add_nc_u32_e32 v111, s16, v104
	ds_load_b128 v[103:106], v115
	ds_load_b128 v[107:110], v115 offset:1024
	v_dual_mov_b32 v122, s7 :: v_dual_mov_b32 v121, s6
	v_mov_b32_e32 v120, s5
	v_or_b32_e32 v135, v111, v66
	ds_load_b128 v[111:114], v115 offset:2048
	ds_load_b128 v[115:118], v115 offset:3072
	v_mov_b32_e32 v119, s4
	s_waitcnt vmcnt(0) lgkmcnt(0)
	s_barrier
	v_or_b32_e32 v137, 2, v135
	v_or_b32_e32 v138, 4, v135
	;; [unrolled: 1-line block ×3, first 2 shown]
	v_cmp_gt_i32_e32 vcc_lo, s18, v135
	v_or_b32_e32 v140, 8, v135
	v_cmp_gt_i32_e64 s3, s18, v137
	v_or_b32_e32 v141, 10, v135
	v_cmp_gt_i32_e64 s4, s18, v138
	v_cmp_gt_i32_e64 s5, s18, v139
	v_or_b32_e32 v142, 12, v135
	v_or_b32_e32 v143, 14, v135
	v_cmp_gt_i32_e64 s6, s18, v140
	v_cmp_gt_i32_e64 s7, s18, v141
	v_or_b32_e32 v144, 16, v135
	v_or_b32_e32 v145, 18, v135
	v_cmp_gt_i32_e64 s8, s18, v142
	v_cmp_gt_i32_e64 s9, s18, v143
	buffer_gl0_inv
	v_cmp_gt_i32_e64 s10, s18, v144
	v_cmp_gt_i32_e64 s11, s18, v145
	v_wmma_f32_16x16x16_f16 v[127:134], v[71:78], v[103:110], v[119:126]
	v_wmma_f32_16x16x16_f16 v[119:126], v[79:86], v[103:110], v[119:126]
	v_or_b32_e32 v71, 20, v135
	v_or_b32_e32 v72, 22, v135
	s_delay_alu instid0(VALU_DEP_4)
	v_wmma_f32_16x16x16_f16 v[127:134], v[87:94], v[111:118], v[127:134]
	v_or_b32_e32 v73, 24, v135
	v_wmma_f32_16x16x16_f16 v[119:126], v[95:102], v[111:118], v[119:126]
	v_or_b32_e32 v74, 26, v135
	v_cmp_gt_i32_e64 s12, s18, v71
	v_dual_mul_f32 v83, s19, v128 :: v_dual_mul_f32 v84, s19, v127
	v_dual_mul_f32 v81, s19, v130 :: v_dual_mul_f32 v82, s19, v129
	;; [unrolled: 1-line block ×3, first 2 shown]
	s_delay_alu instid0(VALU_DEP_3) | instskip(NEXT) | instid1(VALU_DEP_4)
	v_cndmask_b32_e32 v84, 0xff7fffff, v84, vcc_lo
	v_cndmask_b32_e64 v83, 0xff7fffff, v83, s3
	v_mul_f32_e32 v80, s19, v131
	v_cndmask_b32_e64 v82, 0xff7fffff, v82, s4
	v_cndmask_b32_e64 v81, 0xff7fffff, v81, s5
	v_dual_mul_f32 v77, s19, v134 :: v_dual_mul_f32 v90, s19, v121
	v_max3_f32 v83, v84, 0xff7fffff, v83
	v_mul_f32_e32 v78, s19, v133
	v_cndmask_b32_e64 v80, 0xff7fffff, v80, s6
	v_cndmask_b32_e64 v79, 0xff7fffff, v79, s7
	v_mul_f32_e32 v91, s19, v120
	v_max3_f32 v81, v83, v82, v81
	v_cndmask_b32_e64 v78, 0xff7fffff, v78, s8
	v_cndmask_b32_e64 v77, 0xff7fffff, v77, s9
	v_mul_f32_e32 v89, s19, v122
	v_cmp_gt_i32_e64 s13, s18, v72
	v_max3_f32 v79, v81, v80, v79
	v_cndmask_b32_e64 v80, 0xff7fffff, v92, s10
	v_cndmask_b32_e64 v81, 0xff7fffff, v91, s11
	v_or_b32_e32 v75, 28, v135
	v_or_b32_e32 v76, 30, v135
	v_max3_f32 v77, v79, v78, v77
	v_dual_mul_f32 v87, s19, v124 :: v_dual_mul_f32 v88, s19, v123
	v_cndmask_b32_e64 v71, 0xff7fffff, v90, s12
	v_cndmask_b32_e64 v72, 0xff7fffff, v89, s13
	s_delay_alu instid0(VALU_DEP_4) | instskip(SKIP_3) | instid1(VALU_DEP_4)
	v_max3_f32 v77, v77, v80, v81
	v_cmp_gt_i32_e64 s15, s18, v73
	v_cmp_gt_i32_e64 s16, s18, v74
	v_dual_mul_f32 v85, s19, v126 :: v_dual_mul_f32 v86, s19, v125
	v_max3_f32 v71, v77, v71, v72
	s_delay_alu instid0(VALU_DEP_4) | instskip(NEXT) | instid1(VALU_DEP_4)
	v_cndmask_b32_e64 v73, 0xff7fffff, v88, s15
	v_cndmask_b32_e64 v74, 0xff7fffff, v87, s16
	v_cmp_gt_i32_e64 s17, s18, v75
	v_cmp_gt_i32_e64 s18, s18, v76
	s_delay_alu instid0(VALU_DEP_3) | instskip(NEXT) | instid1(VALU_DEP_3)
	v_max3_f32 v71, v71, v73, v74
	v_cndmask_b32_e64 v72, 0xff7fffff, v86, s17
	s_delay_alu instid0(VALU_DEP_3) | instskip(SKIP_1) | instid1(VALU_DEP_2)
	v_cndmask_b32_e64 v75, 0xff7fffff, v85, s18
	v_lshlrev_b32_e32 v73, 2, v136
	v_max3_f32 v71, v71, v72, v75
	ds_bpermute_b32 v72, v73, v71
	s_waitcnt lgkmcnt(0)
	v_max_f32_e32 v72, v72, v72
	s_delay_alu instid0(VALU_DEP_1) | instskip(NEXT) | instid1(VALU_DEP_1)
	v_max_f32_e32 v71, v71, v72
	v_fma_f32 v72, s19, v127, -v71
	v_fma_f32 v74, s19, v128, -v71
	;; [unrolled: 1-line block ×5, first 2 shown]
	v_mul_f32_e32 v72, 0x3fb8aa3b, v72
	s_delay_alu instid0(VALU_DEP_4) | instskip(NEXT) | instid1(VALU_DEP_4)
	v_dual_mul_f32 v74, 0x3fb8aa3b, v74 :: v_dual_mul_f32 v75, 0x3fb8aa3b, v75
	v_mul_f32_e32 v76, 0x3fb8aa3b, v76
	s_delay_alu instid0(VALU_DEP_4) | instskip(NEXT) | instid1(VALU_DEP_4)
	v_mul_f32_e32 v82, 0x3fb8aa3b, v80
	v_exp_f32_e32 v72, v72
	s_delay_alu instid0(VALU_DEP_3)
	v_exp_f32_e32 v74, v74
	v_exp_f32_e32 v75, v75
	;; [unrolled: 1-line block ×3, first 2 shown]
	v_fma_f32 v77, s19, v131, -v71
	v_exp_f32_e32 v84, v82
	v_cndmask_b32_e32 v79, 0, v72, vcc_lo
	v_cndmask_b32_e64 v78, 0, v74, s3
	s_delay_alu instid0(TRANS32_DEP_3) | instskip(SKIP_1) | instid1(TRANS32_DEP_2)
	v_cndmask_b32_e64 v81, 0, v75, s4
	v_fma_f32 v72, s19, v132, -v71
	v_cndmask_b32_e64 v80, 0, v76, s5
	v_add_f32_e32 v74, 0, v79
	s_delay_alu instid0(TRANS32_DEP_1) | instskip(SKIP_2) | instid1(VALU_DEP_3)
	v_cndmask_b32_e64 v85, 0, v84, s8
	s_mov_b32 s3, exec_lo
	v_mul_f32_e32 v72, 0x3fb8aa3b, v72
	v_add_f32_e32 v74, v74, v78
	s_delay_alu instid0(VALU_DEP_2) | instskip(NEXT) | instid1(VALU_DEP_1)
	v_exp_f32_e32 v72, v72
	v_add_f32_e32 v74, v74, v81
	s_delay_alu instid0(VALU_DEP_1) | instskip(NEXT) | instid1(VALU_DEP_1)
	v_dual_mul_f32 v77, 0x3fb8aa3b, v77 :: v_dual_add_f32 v74, v74, v80
	v_exp_f32_e32 v77, v77
	s_waitcnt_depctr 0xfff
	v_cndmask_b32_e64 v82, 0, v72, s7
	v_cndmask_b32_e64 v83, 0, v77, s6
	s_delay_alu instid0(VALU_DEP_1) | instskip(SKIP_4) | instid1(VALU_DEP_4)
	v_add_f32_e32 v72, v74, v83
	v_fma_f32 v75, s19, v134, -v71
	v_fma_f32 v76, s19, v119, -v71
	v_fma_f32 v77, s19, v120, -v71
	v_fma_f32 v74, s19, v121, -v71
	v_dual_add_f32 v72, v72, v82 :: v_dual_mul_f32 v75, 0x3fb8aa3b, v75
	s_delay_alu instid0(VALU_DEP_3) | instskip(NEXT) | instid1(VALU_DEP_3)
	v_dual_mul_f32 v76, 0x3fb8aa3b, v76 :: v_dual_mul_f32 v77, 0x3fb8aa3b, v77
	v_mul_f32_e32 v74, 0x3fb8aa3b, v74
	v_fma_f32 v86, s19, v122, -v71
	s_delay_alu instid0(VALU_DEP_4) | instskip(NEXT) | instid1(VALU_DEP_3)
	v_exp_f32_e32 v75, v75
	v_exp_f32_e32 v76, v76
	;; [unrolled: 1-line block ×4, first 2 shown]
	v_mul_f32_e32 v86, 0x3fb8aa3b, v86
	s_delay_alu instid0(VALU_DEP_1)
	v_exp_f32_e32 v88, v86
	v_cndmask_b32_e64 v84, 0, v75, s9
	v_fma_f32 v75, s19, v123, -v71
	v_add_f32_e32 v72, v72, v85
	v_cndmask_b32_e64 v87, 0, v76, s10
	v_fma_f32 v76, s19, v124, -v71
	s_delay_alu instid0(TRANS32_DEP_3) | instskip(NEXT) | instid1(VALU_DEP_4)
	v_cndmask_b32_e64 v86, 0, v77, s11
	v_dual_mul_f32 v75, 0x3fb8aa3b, v75 :: v_dual_add_f32 v72, v72, v84
	v_fma_f32 v77, s19, v125, -v71
	s_delay_alu instid0(VALU_DEP_4) | instskip(SKIP_1) | instid1(VALU_DEP_4)
	v_mul_f32_e32 v76, 0x3fb8aa3b, v76
	v_cndmask_b32_e64 v89, 0, v74, s12
	v_exp_f32_e32 v75, v75
	v_add_f32_e32 v72, v72, v87
	v_mul_f32_e32 v74, 0x3fb8aa3b, v77
	v_exp_f32_e32 v76, v76
	v_cndmask_b32_e64 v88, 0, v88, s13
	v_fma_f32 v77, s19, v126, -v71
	v_add_f32_e32 v72, v72, v86
	v_exp_f32_e32 v74, v74
	s_delay_alu instid0(TRANS32_DEP_3) | instskip(NEXT) | instid1(VALU_DEP_2)
	v_cndmask_b32_e64 v91, 0, v75, s15
	v_add_f32_e32 v72, v72, v89
	v_mul_f32_e32 v75, 0x3fb8aa3b, v77
	s_delay_alu instid0(TRANS32_DEP_2) | instskip(NEXT) | instid1(VALU_DEP_3)
	v_cndmask_b32_e64 v90, 0, v76, s16
	v_add_f32_e32 v72, v72, v88
	s_delay_alu instid0(VALU_DEP_3) | instskip(NEXT) | instid1(TRANS32_DEP_2)
	v_exp_f32_e32 v75, v75
	v_cndmask_b32_e64 v93, 0, v74, s17
	s_delay_alu instid0(VALU_DEP_2) | instskip(NEXT) | instid1(VALU_DEP_1)
	v_add_f32_e32 v72, v72, v91
	v_add_f32_e32 v72, v72, v90
	s_waitcnt_depctr 0xfff
	v_cndmask_b32_e64 v92, 0, v75, s18
	v_add_f32_e32 v72, v72, v93
	s_delay_alu instid0(VALU_DEP_1)
	v_add_f32_e32 v72, v72, v92
	ds_bpermute_b32 v73, v73, v72
	v_cmpx_gt_u32_e32 16, v70
	s_cbranch_execz .LBB1129_12
; %bb.11:
	v_mul_u32_u24_e32 v70, 0x44, v69
	s_waitcnt lgkmcnt(0)
	v_add_f32_e32 v72, v72, v73
	s_delay_alu instid0(VALU_DEP_2) | instskip(NEXT) | instid1(VALU_DEP_1)
	v_lshl_add_u32 v70, v68, 2, v70
	v_add_nc_u32_e32 v70, 0x4000, v70
	ds_store_2addr_b32 v70, v71, v72 offset1:136
.LBB1129_12:
	s_or_b32 exec_lo, exec_lo, s3
	v_lshlrev_b32_e32 v70, 2, v68
	s_load_b32 s35, s[0:1], 0x94
	s_waitcnt lgkmcnt(0)
	s_barrier
	buffer_gl0_inv
	v_add_nc_u32_e32 v98, 0x4000, v70
	v_cmp_eq_u32_e32 vcc_lo, 1, v69
	v_cmp_eq_u32_e64 s3, 2, v69
	v_cmp_eq_u32_e64 s4, 3, v69
	;; [unrolled: 1-line block ×3, first 2 shown]
	ds_load_2addr_b32 v[70:71], v98 offset1:17
	ds_load_2addr_b32 v[72:73], v98 offset0:34 offset1:51
	ds_load_2addr_b32 v[74:75], v98 offset0:68 offset1:85
	;; [unrolled: 1-line block ×3, first 2 shown]
	v_cmp_eq_u32_e64 s6, 5, v69
	v_cmp_eq_u32_e64 s7, 7, v69
	s_waitcnt lgkmcnt(3)
	v_max3_f32 v76, v70, 0xff7fffff, v71
	s_waitcnt lgkmcnt(2)
	s_delay_alu instid0(VALU_DEP_1) | instskip(SKIP_1) | instid1(VALU_DEP_1)
	v_max3_f32 v76, v76, v72, v73
	s_waitcnt lgkmcnt(1)
	v_max3_f32 v76, v76, v74, v75
	s_waitcnt lgkmcnt(0)
	s_delay_alu instid0(VALU_DEP_1) | instskip(NEXT) | instid1(VALU_DEP_1)
	v_max3_f32 v76, v76, v94, v95
	v_sub_f32_e32 v77, v71, v76
	ds_load_2addr_b32 v[96:97], v98 offset0:136 offset1:153
	v_sub_f32_e32 v74, v74, v76
	v_sub_f32_e32 v70, v70, v76
	v_sub_f32_e32 v94, v94, v76
	v_dual_sub_f32 v72, v72, v76 :: v_dual_mul_f32 v77, 0x3fb8aa3b, v77
	s_delay_alu instid0(VALU_DEP_4) | instskip(NEXT) | instid1(VALU_DEP_4)
	v_mul_f32_e32 v103, 0x3fb8aa3b, v74
	v_mul_f32_e32 v99, 0x3fb8aa3b, v70
	ds_load_2addr_b32 v[70:71], v98 offset0:170 offset1:187
	v_dual_mul_f32 v101, 0x3fb8aa3b, v72 :: v_dual_mul_f32 v94, 0x3fb8aa3b, v94
	v_exp_f32_e32 v102, v77
	v_exp_f32_e32 v99, v99
	s_delay_alu instid0(VALU_DEP_1) | instskip(NEXT) | instid1(VALU_DEP_1)
	v_exp_f32_e32 v101, v101
	v_exp_f32_e32 v94, v94
	s_waitcnt lgkmcnt(1)
	s_delay_alu instid0(TRANS32_DEP_3)
	v_fma_f32 v77, v99, v96, 0
	v_sub_f32_e32 v100, v73, v76
	ds_load_2addr_b32 v[72:73], v98 offset0:204 offset1:221
	v_fmac_f32_e32 v77, v102, v97
	v_exp_f32_e32 v97, v103
	s_waitcnt lgkmcnt(1)
	s_delay_alu instid0(VALU_DEP_1)
	v_dual_fmac_f32 v77, v101, v70 :: v_dual_sub_f32 v96, v75, v76
	ds_load_2addr_b32 v[74:75], v98 offset0:238 offset1:255
	v_sub_f32_e32 v70, v95, v76
	s_waitcnt lgkmcnt(0)
	s_barrier
	v_mul_f32_e32 v96, 0x3fb8aa3b, v96
	buffer_gl0_inv
	v_exp_f32_e32 v95, v96
	v_mul_f32_e32 v100, 0x3fb8aa3b, v100
	s_delay_alu instid0(VALU_DEP_1) | instskip(SKIP_3) | instid1(VALU_DEP_2)
	v_exp_f32_e32 v100, v100
	s_waitcnt_depctr 0xfff
	v_dual_fmac_f32 v77, v100, v71 :: v_dual_mul_f32 v70, 0x3fb8aa3b, v70
	v_cndmask_b32_e32 v71, v99, v102, vcc_lo
	v_fmac_f32_e32 v77, v97, v72
	s_delay_alu instid0(VALU_DEP_3) | instskip(NEXT) | instid1(VALU_DEP_1)
	v_exp_f32_e32 v96, v70
	v_fmac_f32_e32 v77, v95, v73
	s_delay_alu instid0(VALU_DEP_1) | instskip(SKIP_2) | instid1(VALU_DEP_1)
	v_fmac_f32_e32 v77, v94, v74
	s_waitcnt_depctr 0xfff
	v_fmac_f32_e32 v77, v96, v75
	v_add_f32_e32 v74, 0x358637bd, v77
	s_delay_alu instid0(VALU_DEP_1) | instskip(SKIP_1) | instid1(VALU_DEP_2)
	v_div_scale_f32 v98, null, v74, v74, 1.0
	v_div_scale_f32 v99, vcc_lo, 1.0, v74, 1.0
	v_rcp_f32_e32 v103, v98
	s_waitcnt_depctr 0xfff
	v_fma_f32 v70, -v98, v103, 1.0
	s_delay_alu instid0(VALU_DEP_1) | instskip(SKIP_2) | instid1(VALU_DEP_2)
	v_fmac_f32_e32 v103, v70, v103
	v_cndmask_b32_e64 v70, v71, v101, s3
	v_cmp_eq_u32_e64 s3, 6, v69
	v_cndmask_b32_e64 v71, v70, v100, s4
	s_delay_alu instid0(VALU_DEP_4) | instskip(NEXT) | instid1(VALU_DEP_2)
	v_dual_mul_f32 v101, v99, v103 :: v_dual_lshlrev_b32 v70, 2, v66
	v_cndmask_b32_e64 v71, v71, v97, s5
	s_delay_alu instid0(VALU_DEP_2) | instskip(NEXT) | instid1(VALU_DEP_3)
	v_or_b32_e32 v72, 1, v70
	v_fma_f32 v100, -v98, v101, v99
	v_cmp_eq_u32_e64 s4, 1, v70
	v_cmp_eq_u32_e64 s5, 2, v70
	v_cndmask_b32_e64 v95, v71, v95, s6
	v_or_b32_e32 v71, 3, v70
	v_fmac_f32_e32 v101, v100, v103
	v_cmp_eq_u32_e64 s9, 1, v72
	v_cmp_eq_u32_e64 s12, 2, v72
	v_cndmask_b32_e64 v94, v95, v94, s3
	v_cmp_eq_u32_e64 s11, 1, v71
	v_fma_f32 v97, -v98, v101, v99
	v_cmp_eq_u32_e64 s16, 2, v71
	v_cmp_eq_u32_e64 s13, 3, v72
	v_cndmask_b32_e64 v94, v94, v96, s7
	v_cmp_eq_u32_e64 s18, 3, v71
	v_div_fmas_f32 v95, v97, v103, v101
	v_cmp_eq_u32_e32 vcc_lo, 3, v70
	v_cmp_eq_u32_e64 s3, 4, v70
	v_cmp_eq_u32_e64 s19, 4, v72
	;; [unrolled: 1-line block ×3, first 2 shown]
	v_div_fixup_f32 v95, v95, v74, 1.0
	v_lshlrev_b32_e32 v73, 6, v68
	v_cmp_eq_u32_e64 s6, 5, v70
	v_cmp_eq_u32_e64 s20, 5, v72
	;; [unrolled: 1-line block ×3, first 2 shown]
	v_mul_f32_e32 v102, v94, v95
	v_lshl_or_b32 v75, v69, 11, v73
	v_or_b32_e32 v69, 2, v70
	v_cmp_eq_u32_e64 s25, 6, v72
	v_cmp_eq_u32_e64 s27, 6, v71
	v_fma_mixlo_f16 v94, v102, v79, 0
	v_fma_mixlo_f16 v95, v102, v81, 0
	v_fma_mixlo_f16 v96, v102, v83, 0
	v_fma_mixlo_f16 v97, v102, v85, 0
	v_fma_mixlo_f16 v98, v102, v87, 0
	v_fma_mixlo_f16 v99, v102, v89, 0
	v_fma_mixlo_f16 v100, v102, v91, 0
	v_fma_mixlo_f16 v101, v102, v93, 0
	v_lshl_or_b32 v74, v66, 4, v75
	v_fma_mixhi_f16 v94, v102, v78, 0
	v_fma_mixhi_f16 v95, v102, v80, 0
	;; [unrolled: 1-line block ×8, first 2 shown]
	ds_store_b128 v74, v[94:97]
	ds_store_b128 v74, v[98:101] offset:1024
	s_waitcnt lgkmcnt(0)
	s_barrier
	buffer_gl0_inv
	ds_load_b128 v[78:81], v75
	ds_load_b128 v[82:85], v75 offset:16
	ds_load_b128 v[86:89], v75 offset:1024
	;; [unrolled: 1-line block ×3, first 2 shown]
	v_cmp_eq_u32_e64 s10, 1, v69
	v_cmp_eq_u32_e64 s15, 2, v69
	;; [unrolled: 1-line block ×11, first 2 shown]
	s_waitcnt lgkmcnt(3)
	v_lshrrev_b32_e32 v94, 16, v78
	s_waitcnt lgkmcnt(2)
	v_lshrrev_b32_e32 v98, 16, v82
	;; [unrolled: 2-line block ×4, first 2 shown]
	v_lshrrev_b32_e32 v95, 16, v79
	v_cndmask_b32_e64 v110, v78, v94, s4
	v_cndmask_b32_e64 v111, v82, v98, s4
	;; [unrolled: 1-line block ×8, first 2 shown]
	v_lshrrev_b32_e32 v99, 16, v83
	v_cndmask_b32_e64 v94, v86, v102, s4
	v_cndmask_b32_e64 v98, v90, v106, s4
	;; [unrolled: 1-line block ×15, first 2 shown]
	v_lshrrev_b32_e32 v103, 16, v87
	v_lshrrev_b32_e32 v107, 16, v91
	v_cndmask_b32_e64 v113, v115, v83, s15
	v_cndmask_b32_e64 v82, v94, v87, s5
	;; [unrolled: 1-line block ×7, first 2 shown]
	v_cndmask_b32_e32 v90, v102, v95, vcc_lo
	v_cndmask_b32_e32 v102, v106, v99, vcc_lo
	v_cndmask_b32_e64 v106, v110, v95, s13
	v_cndmask_b32_e64 v110, v111, v99, s13
	;; [unrolled: 1-line block ×4, first 2 shown]
	v_lshrrev_b32_e32 v96, 16, v80
	v_lshrrev_b32_e32 v100, 16, v84
	v_cndmask_b32_e64 v111, v112, v95, s17
	v_cndmask_b32_e64 v112, v113, v99, s17
	v_cndmask_b32_e32 v82, v82, v103, vcc_lo
	v_cndmask_b32_e32 v83, v83, v107, vcc_lo
	v_cndmask_b32_e64 v94, v94, v103, s13
	v_cndmask_b32_e64 v90, v90, v80, s3
	v_cndmask_b32_e64 v95, v102, v84, s3
	v_cndmask_b32_e64 v99, v106, v80, s19
	v_cndmask_b32_e64 v102, v110, v84, s19
	v_cndmask_b32_e64 v78, v78, v80, s22
	v_cndmask_b32_e64 v79, v79, v84, s22
	v_lshrrev_b32_e32 v104, 16, v88
	v_cndmask_b32_e64 v106, v111, v80, s21
	v_cndmask_b32_e64 v110, v112, v84, s21
	v_cndmask_b32_e64 v80, v82, v88, s3
	v_cndmask_b32_e64 v82, v83, v92, s3
	v_cndmask_b32_e64 v83, v94, v88, s19
	v_cndmask_b32_e64 v84, v90, v96, s6
	v_cndmask_b32_e64 v90, v95, v100, s6
	v_cndmask_b32_e64 v94, v99, v96, s20
	v_cndmask_b32_e64 v95, v102, v100, s20
	v_cndmask_b32_e64 v78, v78, v96, s24
	v_cndmask_b32_e64 v79, v79, v100, s24
	v_lshrrev_b32_e32 v97, 16, v81
	v_lshrrev_b32_e32 v101, 16, v85
	v_cndmask_b32_e64 v99, v106, v96, s23
	v_cndmask_b32_e64 v102, v110, v100, s23
	v_cndmask_b32_e64 v83, v83, v104, s20
	v_cndmask_b32_e64 v94, v94, v81, s25
	v_cndmask_b32_e64 v95, v95, v85, s25
	v_cndmask_b32_e64 v78, v78, v81, s27
	v_cndmask_b32_e64 v79, v79, v85, s27
	v_lshrrev_b32_e32 v105, 16, v89
	v_cndmask_b32_e64 v80, v80, v104, s6
	v_cndmask_b32_e64 v84, v84, v81, s7
	;; [unrolled: 1-line block ×16, first 2 shown]
	v_perm_b32 v81, v79, v78, 0x5040100
	v_perm_b32 v79, v95, v85, 0x5040100
	v_cndmask_b32_e64 v78, v119, v91, s15
	v_cndmask_b32_e64 v85, v117, v91, s12
	;; [unrolled: 1-line block ×3, first 2 shown]
	v_perm_b32 v80, v94, v90, 0x5040100
	v_cndmask_b32_e64 v90, v98, v103, s17
	v_cndmask_b32_e64 v86, v86, v103, s18
	v_cndmask_b32_e64 v87, v87, v107, s18
	v_cndmask_b32_e64 v78, v78, v107, s17
	v_cndmask_b32_e64 v85, v85, v107, s13
	v_lshrrev_b32_e32 v108, 16, v92
	v_cndmask_b32_e64 v90, v90, v88, s21
	v_cndmask_b32_e64 v86, v86, v88, s22
	;; [unrolled: 1-line block ×11, first 2 shown]
	v_lshrrev_b32_e32 v109, 16, v93
	v_cndmask_b32_e64 v82, v82, v93, s7
	v_cndmask_b32_e64 v88, v88, v89, s26
	;; [unrolled: 1-line block ×12, first 2 shown]
	v_perm_b32 v78, v84, v83, 0x5040100
	v_perm_b32 v85, v87, v86, 0x5040100
	;; [unrolled: 1-line block ×5, first 2 shown]
	s_mul_i32 s8, s33, 12
	s_mov_b32 s3, exec_lo
	ds_store_b128 v74, v[78:81]
	ds_store_b128 v74, v[82:85] offset:1024
	v_cmpx_gt_u32_e32 12, v0
	s_cbranch_execz .LBB1129_14
; %bb.13:
	s_mul_i32 s4, s8, s34
	s_delay_alu instid0(SALU_CYCLE_1) | instskip(SKIP_1) | instid1(VALU_DEP_1)
	v_add3_u32 v68, s4, s31, v68
	s_load_b128 s[4:7], s[0:1], 0x58
	v_mad_u64_u32 v[78:79], null, v68, s35, s[14:15]
	s_delay_alu instid0(VALU_DEP_1) | instskip(NEXT) | instid1(VALU_DEP_1)
	v_ashrrev_i32_e32 v79, 31, v78
	v_lshlrev_b64 v[78:79], 2, v[78:79]
	s_waitcnt lgkmcnt(0)
	s_delay_alu instid0(VALU_DEP_1) | instskip(NEXT) | instid1(VALU_DEP_2)
	v_add_co_u32 v80, vcc_lo, s6, v78
	v_add_co_ci_u32_e32 v81, vcc_lo, s7, v79, vcc_lo
	v_add_co_u32 v78, vcc_lo, s4, v78
	v_add_co_ci_u32_e32 v79, vcc_lo, s5, v79, vcc_lo
	global_store_b32 v[80:81], v76, off
	global_store_b32 v[78:79], v77, off
.LBB1129_14:
	s_or_b32 exec_lo, exec_lo, s3
	s_waitcnt lgkmcnt(0)
	s_waitcnt_vscnt null, 0x0
	s_barrier
	buffer_gl0_inv
	ds_load_b128 v[84:87], v73
	ds_load_b128 v[88:91], v73 offset:16
	ds_load_b128 v[96:99], v73 offset:2064
	;; [unrolled: 1-line block ×5, first 2 shown]
	v_cmp_eq_u32_e32 vcc_lo, 1, v70
	v_mov_b32_e32 v76, 0
	ds_load_b128 v[112:115], v73 offset:6160
	ds_load_b128 v[108:111], v73 offset:6144
	;; [unrolled: 1-line block ×4, first 2 shown]
	v_cmp_eq_u32_e64 s4, 1, v69
	v_cmp_eq_u32_e64 s3, 1, v72
	;; [unrolled: 1-line block ×3, first 2 shown]
	v_mov_b32_e32 v77, v76
	v_mov_b32_e32 v78, v76
	;; [unrolled: 1-line block ×7, first 2 shown]
	v_cmp_eq_u32_e64 s6, 3, v72
	v_cmp_eq_u32_e64 s7, 7, v72
	s_waitcnt lgkmcnt(8)
	s_delay_alu instid0(VALU_DEP_3)
	v_wmma_f32_16x16x16_f16 v[76:83], v[49:56], v[84:91], v[76:83]
	ds_load_b128 v[53:56], v73 offset:10256
	ds_load_b128 v[49:52], v73 offset:10240
	s_waitcnt lgkmcnt(8)
	v_wmma_f32_16x16x16_f16 v[76:83], v[41:48], v[92:99], v[76:83]
	ds_load_b128 v[45:48], v73 offset:12304
	ds_load_b128 v[41:44], v73 offset:12288
	s_waitcnt lgkmcnt(8)
	;; [unrolled: 4-line block ×3, first 2 shown]
	s_barrier
	buffer_gl0_inv
	v_wmma_f32_16x16x16_f16 v[76:83], v[1:8], v[108:115], v[76:83]
	s_delay_alu instid0(VALU_DEP_1) | instskip(NEXT) | instid1(VALU_DEP_1)
	v_wmma_f32_16x16x16_f16 v[76:83], v[9:16], v[116:123], v[76:83]
	v_wmma_f32_16x16x16_f16 v[76:83], v[17:24], v[49:56], v[76:83]
	s_delay_alu instid0(VALU_DEP_1) | instskip(NEXT) | instid1(VALU_DEP_1)
	v_wmma_f32_16x16x16_f16 v[76:83], v[25:32], v[41:48], v[76:83]
	v_wmma_f32_16x16x16_f16 v[76:83], v[57:64], v[33:40], v[76:83]
	s_delay_alu instid0(VALU_DEP_1) | instskip(NEXT) | instid1(VALU_DEP_2)
	v_cvt_f16_f32_e32 v1, v76
	v_cvt_f16_f32_e32 v2, v77
	s_delay_alu instid0(VALU_DEP_3) | instskip(NEXT) | instid1(VALU_DEP_4)
	v_cvt_f16_f32_e32 v3, v78
	v_cvt_f16_f32_e32 v4, v79
	;; [unrolled: 1-line block ×6, first 2 shown]
	v_pack_b32_f16 v1, v1, v2
	v_pack_b32_f16 v2, v3, v4
	;; [unrolled: 1-line block ×3, first 2 shown]
	s_delay_alu instid0(VALU_DEP_4)
	v_pack_b32_f16 v4, v7, v8
	ds_store_b128 v74, v[1:4]
	s_waitcnt lgkmcnt(0)
	s_barrier
	buffer_gl0_inv
	ds_load_b128 v[1:4], v75
	ds_load_b128 v[5:8], v75 offset:16
	s_waitcnt lgkmcnt(1)
	v_lshrrev_b32_e32 v9, 16, v1
	s_waitcnt lgkmcnt(0)
	v_lshrrev_b32_e32 v13, 16, v5
	v_lshrrev_b32_e32 v10, 16, v2
	;; [unrolled: 1-line block ×4, first 2 shown]
	v_cndmask_b32_e32 v17, v1, v9, vcc_lo
	v_cndmask_b32_e32 v18, v5, v13, vcc_lo
	v_cndmask_b32_e64 v21, v1, v9, s4
	v_cmp_eq_u32_e32 vcc_lo, 1, v71
	v_cndmask_b32_e64 v22, v5, v13, s4
	v_cmp_eq_u32_e64 s4, 2, v70
	v_cndmask_b32_e64 v19, v1, v9, s3
	v_cndmask_b32_e64 v20, v5, v13, s3
	v_cndmask_b32_e32 v1, v1, v9, vcc_lo
	v_cmp_eq_u32_e64 s3, 2, v71
	v_cndmask_b32_e32 v5, v5, v13, vcc_lo
	v_cndmask_b32_e64 v9, v17, v2, s4
	v_cmp_eq_u32_e32 vcc_lo, 3, v70
	v_cndmask_b32_e64 v13, v18, v6, s4
	v_cmp_eq_u32_e64 s4, 2, v69
	v_cndmask_b32_e64 v17, v19, v2, s5
	v_cndmask_b32_e64 v18, v20, v6, s5
	v_cmp_eq_u32_e64 s5, 3, v69
	v_cndmask_b32_e64 v1, v1, v2, s3
	v_cndmask_b32_e64 v19, v21, v2, s4
	;; [unrolled: 1-line block ×4, first 2 shown]
	v_cndmask_b32_e32 v5, v9, v10, vcc_lo
	v_cndmask_b32_e32 v6, v13, v14, vcc_lo
	v_cmp_eq_u32_e32 vcc_lo, 3, v71
	v_cndmask_b32_e64 v9, v17, v10, s6
	v_cndmask_b32_e64 v13, v18, v14, s6
	;; [unrolled: 1-line block ×3, first 2 shown]
	v_cmp_eq_u32_e64 s4, 4, v70
	v_cndmask_b32_e32 v1, v1, v10, vcc_lo
	v_cndmask_b32_e32 v2, v2, v14, vcc_lo
	v_cmp_eq_u32_e32 vcc_lo, 4, v72
	v_lshrrev_b32_e32 v15, 16, v7
	v_lshrrev_b32_e32 v16, 16, v8
	v_cndmask_b32_e64 v17, v19, v10, s5
	v_cmp_eq_u32_e64 s3, 4, v71
	v_cndmask_b32_e64 v5, v5, v3, s4
	v_cndmask_b32_e64 v6, v6, v7, s4
	v_cndmask_b32_e32 v9, v9, v3, vcc_lo
	v_cmp_eq_u32_e64 s4, 5, v72
	v_cndmask_b32_e32 v10, v13, v7, vcc_lo
	v_cmp_eq_u32_e32 vcc_lo, 4, v69
	v_cmp_eq_u32_e64 s5, 5, v70
	v_cndmask_b32_e64 v2, v2, v7, s3
	v_cndmask_b32_e64 v9, v9, v11, s4
	;; [unrolled: 1-line block ×3, first 2 shown]
	v_cndmask_b32_e32 v13, v17, v3, vcc_lo
	v_cmp_eq_u32_e64 s4, 5, v69
	v_cndmask_b32_e32 v14, v18, v7, vcc_lo
	v_cndmask_b32_e64 v1, v1, v3, s3
	v_cmp_eq_u32_e32 vcc_lo, 5, v71
	v_lshrrev_b32_e32 v12, 16, v4
	v_cndmask_b32_e64 v13, v13, v11, s4
	v_cndmask_b32_e64 v3, v14, v15, s4
	v_cmp_eq_u32_e64 s4, 6, v71
	v_cndmask_b32_e32 v1, v1, v11, vcc_lo
	v_cndmask_b32_e64 v5, v5, v11, s5
	v_cmp_eq_u32_e64 s6, 6, v70
	v_cndmask_b32_e64 v6, v6, v15, s5
	v_cmp_eq_u32_e64 s5, 6, v72
	v_cmp_eq_u32_e64 s3, 6, v69
	v_cndmask_b32_e64 v1, v1, v4, s4
	v_cndmask_b32_e32 v2, v2, v15, vcc_lo
	v_cmp_eq_u32_e32 vcc_lo, 7, v71
	v_cndmask_b32_e64 v5, v5, v4, s6
	v_cndmask_b32_e64 v9, v9, v4, s5
	v_cndmask_b32_e64 v6, v6, v8, s6
	v_cmp_eq_u32_e64 s6, 7, v70
	v_cndmask_b32_e32 v1, v1, v12, vcc_lo
	v_cndmask_b32_e64 v7, v13, v4, s3
	v_cndmask_b32_e64 v3, v3, v8, s3
	;; [unrolled: 1-line block ×3, first 2 shown]
	v_cmp_eq_u32_e64 s3, 7, v69
	v_cndmask_b32_e64 v4, v10, v8, s5
	v_cndmask_b32_e64 v5, v5, v12, s6
	;; [unrolled: 1-line block ×3, first 2 shown]
	v_cndmask_b32_e32 v2, v2, v16, vcc_lo
	v_cndmask_b32_e64 v7, v7, v12, s3
	v_cndmask_b32_e64 v3, v3, v16, s3
	;; [unrolled: 1-line block ×4, first 2 shown]
	v_cmp_gt_u32_e32 vcc_lo, 32, v0
	v_perm_b32 v4, v2, v1, 0x5040100
	v_perm_b32 v3, v3, v7, 0x5040100
	;; [unrolled: 1-line block ×4, first 2 shown]
	s_and_b32 s2, vcc_lo, s2
	ds_store_b128 v74, v[1:4]
	s_waitcnt lgkmcnt(0)
	s_barrier
	buffer_gl0_inv
	s_and_saveexec_b32 s3, s2
	s_cbranch_execz .LBB1129_2
; %bb.15:
	s_load_b64 s[0:1], s[0:1], 0x68
	v_lshlrev_b32_e32 v0, 10, v0
	s_lshl_b32 s4, s35, 6
	v_or_b32_e32 v3, s31, v66
	s_mul_i32 s2, s4, s34
	v_lshlrev_b32_e32 v1, 4, v67
	s_mul_i32 s2, s2, s8
	v_lshlrev_b32_e32 v2, 6, v66
	v_and_b32_e32 v0, 0x3800, v0
	s_ashr_i32 s3, s2, 31
	v_mul_lo_u32 v4, v3, s4
	s_lshl_b64 s[2:3], s[2:3], 1
	s_delay_alu instid0(VALU_DEP_2) | instskip(NEXT) | instid1(VALU_DEP_2)
	v_or3_b32 v16, v0, v1, v2
	v_ashrrev_i32_e32 v5, 31, v4
	ds_load_b128 v[0:3], v16
	s_waitcnt lgkmcnt(0)
	s_add_u32 s2, s0, s2
	s_addc_u32 s3, s1, s3
	s_lshl_b32 s0, s14, 6
	v_lshlrev_b64 v[5:6], 1, v[4:5]
	s_ashr_i32 s1, s0, 31
	s_delay_alu instid0(SALU_CYCLE_1) | instskip(NEXT) | instid1(SALU_CYCLE_1)
	s_lshl_b64 s[0:1], s[0:1], 1
	s_add_u32 s0, s2, s0
	s_addc_u32 s1, s3, s1
	s_lshl_b32 s2, s35, 7
	v_add_co_u32 v30, s0, s0, v65
	v_add_nc_u32_e32 v8, s2, v4
	v_add_co_ci_u32_e64 v31, null, s1, 0, s0
	s_delay_alu instid0(VALU_DEP_3) | instskip(NEXT) | instid1(VALU_DEP_3)
	v_add_co_u32 v12, vcc_lo, v30, v5
	v_add_nc_u32_e32 v10, s2, v8
	v_ashrrev_i32_e32 v9, 31, v8
	s_delay_alu instid0(VALU_DEP_4)
	v_add_co_ci_u32_e32 v13, vcc_lo, v31, v6, vcc_lo
	ds_load_b128 v[4:7], v16 offset:128
	v_ashrrev_i32_e32 v11, 31, v10
	v_lshlrev_b64 v[8:9], 1, v[8:9]
	v_add_nc_u32_e32 v14, s2, v10
	global_store_b128 v[12:13], v[0:3], off
	v_lshlrev_b64 v[0:1], 1, v[10:11]
	v_ashrrev_i32_e32 v15, 31, v14
	v_add_co_u32 v22, vcc_lo, v30, v8
	v_add_nc_u32_e32 v20, s2, v14
	v_add_co_ci_u32_e32 v23, vcc_lo, v31, v9, vcc_lo
	v_add_co_u32 v26, vcc_lo, v30, v0
	v_lshlrev_b64 v[24:25], 1, v[14:15]
	v_add_co_ci_u32_e32 v27, vcc_lo, v31, v1, vcc_lo
	ds_load_b128 v[0:3], v16 offset:256
	ds_load_b128 v[8:11], v16 offset:384
	;; [unrolled: 1-line block ×4, first 2 shown]
	v_add_nc_u32_e32 v28, s2, v20
	v_ashrrev_i32_e32 v21, 31, v20
	v_add_co_u32 v24, vcc_lo, v30, v24
	v_add_co_ci_u32_e32 v25, vcc_lo, v31, v25, vcc_lo
	s_delay_alu instid0(VALU_DEP_4) | instskip(NEXT) | instid1(VALU_DEP_4)
	v_ashrrev_i32_e32 v29, 31, v28
	v_lshlrev_b64 v[20:21], 1, v[20:21]
	s_delay_alu instid0(VALU_DEP_2) | instskip(NEXT) | instid1(VALU_DEP_2)
	v_lshlrev_b64 v[28:29], 1, v[28:29]
	v_add_co_u32 v20, vcc_lo, v30, v20
	s_delay_alu instid0(VALU_DEP_3) | instskip(NEXT) | instid1(VALU_DEP_3)
	v_add_co_ci_u32_e32 v21, vcc_lo, v31, v21, vcc_lo
	v_add_co_u32 v28, vcc_lo, v30, v28
	s_delay_alu instid0(VALU_DEP_4)
	v_add_co_ci_u32_e32 v29, vcc_lo, v31, v29, vcc_lo
	s_waitcnt lgkmcnt(4)
	global_store_b128 v[22:23], v[4:7], off
	s_waitcnt lgkmcnt(3)
	global_store_b128 v[26:27], v[0:3], off
	;; [unrolled: 2-line block ×5, first 2 shown]
	s_nop 0
	s_sendmsg sendmsg(MSG_DEALLOC_VGPRS)
	s_endpgm
	.section	.rodata,"a",@progbits
	.p2align	6, 0x0
	.amdhsa_kernel _Z39paged_attention_ll4mi_QKV_mfma16_kernelIDF16_hLN4vllm18Fp8KVCacheDataTypeE1EDF16_Li16ELi64ELi256ELb1ELi12EL8MFMAType0EEvPKT_PKT0_S8_ifPKiSA_SA_iPKfiiiPfSD_PS3_PT2_iSC_SC_
		.amdhsa_group_segment_fixed_size 17472
		.amdhsa_private_segment_fixed_size 0
		.amdhsa_kernarg_size 400
		.amdhsa_user_sgpr_count 13
		.amdhsa_user_sgpr_dispatch_ptr 0
		.amdhsa_user_sgpr_queue_ptr 0
		.amdhsa_user_sgpr_kernarg_segment_ptr 1
		.amdhsa_user_sgpr_dispatch_id 0
		.amdhsa_user_sgpr_private_segment_size 0
		.amdhsa_wavefront_size32 1
		.amdhsa_uses_dynamic_stack 0
		.amdhsa_enable_private_segment 0
		.amdhsa_system_sgpr_workgroup_id_x 1
		.amdhsa_system_sgpr_workgroup_id_y 1
		.amdhsa_system_sgpr_workgroup_id_z 1
		.amdhsa_system_sgpr_workgroup_info 0
		.amdhsa_system_vgpr_workitem_id 0
		.amdhsa_next_free_vgpr 146
		.amdhsa_next_free_sgpr 36
		.amdhsa_reserve_vcc 1
		.amdhsa_float_round_mode_32 0
		.amdhsa_float_round_mode_16_64 0
		.amdhsa_float_denorm_mode_32 3
		.amdhsa_float_denorm_mode_16_64 3
		.amdhsa_dx10_clamp 1
		.amdhsa_ieee_mode 1
		.amdhsa_fp16_overflow 0
		.amdhsa_workgroup_processor_mode 1
		.amdhsa_memory_ordered 1
		.amdhsa_forward_progress 0
		.amdhsa_shared_vgpr_count 0
		.amdhsa_exception_fp_ieee_invalid_op 0
		.amdhsa_exception_fp_denorm_src 0
		.amdhsa_exception_fp_ieee_div_zero 0
		.amdhsa_exception_fp_ieee_overflow 0
		.amdhsa_exception_fp_ieee_underflow 0
		.amdhsa_exception_fp_ieee_inexact 0
		.amdhsa_exception_int_div_zero 0
	.end_amdhsa_kernel
	.section	.text._Z39paged_attention_ll4mi_QKV_mfma16_kernelIDF16_hLN4vllm18Fp8KVCacheDataTypeE1EDF16_Li16ELi64ELi256ELb1ELi12EL8MFMAType0EEvPKT_PKT0_S8_ifPKiSA_SA_iPKfiiiPfSD_PS3_PT2_iSC_SC_,"axG",@progbits,_Z39paged_attention_ll4mi_QKV_mfma16_kernelIDF16_hLN4vllm18Fp8KVCacheDataTypeE1EDF16_Li16ELi64ELi256ELb1ELi12EL8MFMAType0EEvPKT_PKT0_S8_ifPKiSA_SA_iPKfiiiPfSD_PS3_PT2_iSC_SC_,comdat
.Lfunc_end1129:
	.size	_Z39paged_attention_ll4mi_QKV_mfma16_kernelIDF16_hLN4vllm18Fp8KVCacheDataTypeE1EDF16_Li16ELi64ELi256ELb1ELi12EL8MFMAType0EEvPKT_PKT0_S8_ifPKiSA_SA_iPKfiiiPfSD_PS3_PT2_iSC_SC_, .Lfunc_end1129-_Z39paged_attention_ll4mi_QKV_mfma16_kernelIDF16_hLN4vllm18Fp8KVCacheDataTypeE1EDF16_Li16ELi64ELi256ELb1ELi12EL8MFMAType0EEvPKT_PKT0_S8_ifPKiSA_SA_iPKfiiiPfSD_PS3_PT2_iSC_SC_
                                        ; -- End function
	.section	.AMDGPU.csdata,"",@progbits
; Kernel info:
; codeLenInByte = 6588
; NumSgprs: 38
; NumVgprs: 146
; ScratchSize: 0
; MemoryBound: 0
; FloatMode: 240
; IeeeMode: 1
; LDSByteSize: 17472 bytes/workgroup (compile time only)
; SGPRBlocks: 4
; VGPRBlocks: 18
; NumSGPRsForWavesPerEU: 38
; NumVGPRsForWavesPerEU: 146
; Occupancy: 9
; WaveLimiterHint : 1
; COMPUTE_PGM_RSRC2:SCRATCH_EN: 0
; COMPUTE_PGM_RSRC2:USER_SGPR: 13
; COMPUTE_PGM_RSRC2:TRAP_HANDLER: 0
; COMPUTE_PGM_RSRC2:TGID_X_EN: 1
; COMPUTE_PGM_RSRC2:TGID_Y_EN: 1
; COMPUTE_PGM_RSRC2:TGID_Z_EN: 1
; COMPUTE_PGM_RSRC2:TIDIG_COMP_CNT: 0
	.section	.text._Z39paged_attention_ll4mi_QKV_mfma16_kernelIDF16_hLN4vllm18Fp8KVCacheDataTypeE1EDF16_Li16ELi64ELi256ELb1ELi13EL8MFMAType0EEvPKT_PKT0_S8_ifPKiSA_SA_iPKfiiiPfSD_PS3_PT2_iSC_SC_,"axG",@progbits,_Z39paged_attention_ll4mi_QKV_mfma16_kernelIDF16_hLN4vllm18Fp8KVCacheDataTypeE1EDF16_Li16ELi64ELi256ELb1ELi13EL8MFMAType0EEvPKT_PKT0_S8_ifPKiSA_SA_iPKfiiiPfSD_PS3_PT2_iSC_SC_,comdat
	.protected	_Z39paged_attention_ll4mi_QKV_mfma16_kernelIDF16_hLN4vllm18Fp8KVCacheDataTypeE1EDF16_Li16ELi64ELi256ELb1ELi13EL8MFMAType0EEvPKT_PKT0_S8_ifPKiSA_SA_iPKfiiiPfSD_PS3_PT2_iSC_SC_ ; -- Begin function _Z39paged_attention_ll4mi_QKV_mfma16_kernelIDF16_hLN4vllm18Fp8KVCacheDataTypeE1EDF16_Li16ELi64ELi256ELb1ELi13EL8MFMAType0EEvPKT_PKT0_S8_ifPKiSA_SA_iPKfiiiPfSD_PS3_PT2_iSC_SC_
	.globl	_Z39paged_attention_ll4mi_QKV_mfma16_kernelIDF16_hLN4vllm18Fp8KVCacheDataTypeE1EDF16_Li16ELi64ELi256ELb1ELi13EL8MFMAType0EEvPKT_PKT0_S8_ifPKiSA_SA_iPKfiiiPfSD_PS3_PT2_iSC_SC_
	.p2align	8
	.type	_Z39paged_attention_ll4mi_QKV_mfma16_kernelIDF16_hLN4vllm18Fp8KVCacheDataTypeE1EDF16_Li16ELi64ELi256ELb1ELi13EL8MFMAType0EEvPKT_PKT0_S8_ifPKiSA_SA_iPKfiiiPfSD_PS3_PT2_iSC_SC_,@function
_Z39paged_attention_ll4mi_QKV_mfma16_kernelIDF16_hLN4vllm18Fp8KVCacheDataTypeE1EDF16_Li16ELi64ELi256ELb1ELi13EL8MFMAType0EEvPKT_PKT0_S8_ifPKiSA_SA_iPKfiiiPfSD_PS3_PT2_iSC_SC_: ; @_Z39paged_attention_ll4mi_QKV_mfma16_kernelIDF16_hLN4vllm18Fp8KVCacheDataTypeE1EDF16_Li16ELi64ELi256ELb1ELi13EL8MFMAType0EEvPKT_PKT0_S8_ifPKiSA_SA_iPKfiiiPfSD_PS3_PT2_iSC_SC_
; %bb.0:
	s_load_b64 s[2:3], s[0:1], 0x30
	s_mov_b32 s34, s13
	s_waitcnt lgkmcnt(0)
	s_cmp_lg_u64 s[2:3], 0
	s_cselect_b32 s6, -1, 0
	s_ashr_i32 s35, s13, 31
	s_cmp_eq_u64 s[2:3], 0
	s_cbranch_scc1 .LBB1130_3
; %bb.1:
	s_lshl_b64 s[4:5], s[34:35], 2
	s_delay_alu instid0(SALU_CYCLE_1) | instskip(SKIP_4) | instid1(SALU_CYCLE_1)
	s_add_u32 s4, s2, s4
	s_addc_u32 s5, s3, s5
	s_load_b64 s[4:5], s[4:5], 0x0
	s_waitcnt lgkmcnt(0)
	s_sub_i32 s4, s5, s4
	s_cmp_eq_u32 s4, 1
	s_cselect_b32 s4, -1, 0
	s_delay_alu instid0(SALU_CYCLE_1)
	s_and_not1_b32 vcc_lo, exec_lo, s4
	s_cbranch_vccz .LBB1130_4
.LBB1130_2:
	s_nop 0
	s_sendmsg sendmsg(MSG_DEALLOC_VGPRS)
	s_endpgm
.LBB1130_3:
.LBB1130_4:
	s_load_b64 s[8:9], s[0:1], 0x28
	s_lshl_b64 s[4:5], s[34:35], 2
	s_waitcnt lgkmcnt(0)
	s_add_u32 s8, s8, s4
	s_addc_u32 s9, s9, s5
	s_lshl_b32 s16, s14, 8
	s_load_b32 s18, s[8:9], 0x0
	s_waitcnt lgkmcnt(0)
	s_cmp_ge_i32 s16, s18
	s_cbranch_scc1 .LBB1130_2
; %bb.5:
	s_clause 0x1
	s_load_b128 s[8:11], s[0:1], 0x8
	s_load_b64 s[12:13], s[0:1], 0x20
	s_and_not1_b32 vcc_lo, exec_lo, s6
	s_cbranch_vccnz .LBB1130_7
; %bb.6:
	s_add_u32 s2, s2, s4
	s_addc_u32 s3, s3, s5
	s_load_b32 s3, s[2:3], 0x0
	s_branch .LBB1130_8
.LBB1130_7:
	s_mov_b32 s3, s34
.LBB1130_8:
	s_load_b128 s[4:7], s[0:1], 0x48
	v_lshrrev_b32_e32 v69, 5, v0
	v_bfe_u32 v66, v0, 4, 1
	v_and_b32_e32 v68, 15, v0
	v_and_b32_e32 v70, 31, v0
	v_and_b32_e32 v67, 1, v0
	s_mul_i32 s33, s15, 13
	v_lshl_or_b32 v1, v69, 1, v66
	v_lshlrev_b32_e32 v2, 3, v68
	v_cmp_gt_u32_e64 s2, 8, v68
	s_delay_alu instid0(VALU_DEP_3) | instskip(NEXT) | instid1(VALU_DEP_3)
	v_cmp_gt_u32_e32 vcc_lo, 13, v1
	v_lshlrev_b32_e32 v65, 1, v2
	s_delay_alu instid0(VALU_DEP_3)
	s_and_b32 s17, s2, vcc_lo
	s_waitcnt lgkmcnt(0)
	s_and_saveexec_b32 s7, s17
	s_cbranch_execz .LBB1130_10
; %bb.9:
	s_load_b64 s[20:21], s[0:1], 0x0
	v_add_lshl_u32 v2, v1, s33, 6
	s_mul_hi_i32 s23, s3, s4
	s_mul_i32 s22, s3, s4
	v_lshlrev_b32_e32 v6, 10, v68
	s_lshl_b64 s[22:23], s[22:23], 1
	v_ashrrev_i32_e32 v3, 31, v2
	v_lshlrev_b32_e32 v1, 6, v1
	v_lshlrev_b32_e32 v7, 10, v67
	v_and_b32_e32 v6, 0x3800, v6
	s_delay_alu instid0(VALU_DEP_4) | instskip(NEXT) | instid1(VALU_DEP_2)
	v_lshlrev_b64 v[2:3], 1, v[2:3]
	v_or3_b32 v1, v6, v7, v1
	s_waitcnt lgkmcnt(0)
	s_add_u32 s3, s20, s22
	s_addc_u32 s4, s21, s23
	s_delay_alu instid0(VALU_DEP_2) | instskip(SKIP_1) | instid1(VALU_DEP_2)
	v_add_co_u32 v2, vcc_lo, s3, v2
	v_add_co_ci_u32_e32 v3, vcc_lo, s4, v3, vcc_lo
	v_add_co_u32 v2, vcc_lo, v2, v65
	s_delay_alu instid0(VALU_DEP_2)
	v_add_co_ci_u32_e32 v3, vcc_lo, 0, v3, vcc_lo
	global_load_b128 v[2:5], v[2:3], off
	s_waitcnt vmcnt(0)
	ds_store_b128 v1, v[2:5]
.LBB1130_10:
	s_or_b32 exec_lo, exec_lo, s7
	v_and_b32_e32 v1, 0xef, v0
	s_add_i32 s3, s18, 15
	s_clause 0x1
	s_load_b32 s4, s[0:1], 0x38
	s_load_b32 s35, s[0:1], 0x98
	s_ashr_i32 s7, s3, 31
	v_add_nc_u32_e32 v1, s16, v1
	s_lshr_b32 s7, s7, 28
	s_load_b32 s19, s[0:1], 0x1c
	v_add_nc_u32_e32 v103, -13, v68
	s_add_i32 s3, s3, s7
	v_ashrrev_i32_e32 v2, 31, v1
	v_or_b32_e32 v3, 16, v1
	s_ashr_i32 s3, s3, 4
	v_cmp_gt_i32_e32 vcc_lo, s18, v1
	s_add_i32 s3, s3, -1
	v_lshrrev_b32_e32 v2, 28, v2
	s_waitcnt lgkmcnt(0)
	s_barrier
	buffer_gl0_inv
	s_mul_i32 s15, s15, s6
	v_add_nc_u32_e32 v4, v1, v2
	v_mbcnt_lo_u32_b32 v127, -1, 0
	s_mul_i32 s20, s34, s4
	s_delay_alu instid0(SALU_CYCLE_1) | instskip(NEXT) | instid1(VALU_DEP_2)
	s_ashr_i32 s21, s20, 31
	v_ashrrev_i32_e32 v4, 4, v4
	v_add_nc_u32_e32 v2, v3, v2
	s_lshl_b64 s[20:21], s[20:21], 2
	v_xor_b32_e32 v128, 16, v127
	s_add_u32 s17, s12, s20
	v_cndmask_b32_e32 v1, s3, v4, vcc_lo
	v_ashrrev_i32_e32 v2, 4, v2
	v_cmp_gt_i32_e32 vcc_lo, s18, v3
	s_addc_u32 s13, s13, s21
	s_ashr_i32 s20, s15, 31
	s_add_u32 s4, s8, s15
	s_addc_u32 s12, s9, s20
	v_cndmask_b32_e32 v3, s3, v2, vcc_lo
	v_ashrrev_i32_e32 v2, 31, v1
	s_lshl_b32 s6, s14, 4
	s_delay_alu instid0(SALU_CYCLE_1) | instskip(NEXT) | instid1(VALU_DEP_2)
	s_ashr_i32 s7, s6, 31
	v_ashrrev_i32_e32 v4, 31, v3
	s_delay_alu instid0(VALU_DEP_2) | instskip(SKIP_1) | instid1(SALU_CYCLE_1)
	v_lshlrev_b64 v[1:2], 2, v[1:2]
	s_lshl_b64 s[6:7], s[6:7], 2
	s_add_u32 s6, s17, s6
	s_delay_alu instid0(VALU_DEP_2) | instskip(SKIP_1) | instid1(VALU_DEP_2)
	v_lshlrev_b64 v[3:4], 2, v[3:4]
	s_addc_u32 s7, s13, s7
	v_add_co_u32 v1, vcc_lo, s17, v1
	v_add_co_ci_u32_e32 v2, vcc_lo, s13, v2, vcc_lo
	s_delay_alu instid0(VALU_DEP_3) | instskip(NEXT) | instid1(VALU_DEP_4)
	v_add_co_u32 v3, vcc_lo, s17, v3
	v_add_co_ci_u32_e32 v4, vcc_lo, s13, v4, vcc_lo
	s_clause 0x1
	global_load_b32 v5, v[1:2], off
	global_load_b32 v7, v[3:4], off
	s_or_b32 s8, s16, 32
	v_lshlrev_b32_e32 v1, 4, v0
	s_ashr_i32 s9, s8, 4
	s_cmp_lt_i32 s8, s18
	v_cmp_gt_u32_e32 vcc_lo, 13, v68
	s_cselect_b32 s8, s9, s3
	v_and_b32_e32 v1, 0xf0, v1
	s_ashr_i32 s9, s8, 31
	s_delay_alu instid0(SALU_CYCLE_1)
	s_lshl_b64 s[8:9], s[8:9], 2
	v_cndmask_b32_e32 v103, v103, v68, vcc_lo
	s_add_u32 s8, s17, s8
	s_addc_u32 s9, s13, s9
	s_or_b32 s21, s16, 64
	v_add_co_u32 v1, s4, s4, v1
	s_ashr_i32 s22, s21, 4
	s_cmp_lt_i32 s21, s18
	v_add_co_ci_u32_e64 v2, null, s12, 0, s4
	s_cselect_b32 s22, s22, s3
	v_cmp_gt_i32_e32 vcc_lo, 32, v128
	s_ashr_i32 s23, s22, 31
	v_lshlrev_b32_e32 v115, 6, v103
	s_lshl_b64 s[22:23], s[22:23], 2
	v_cndmask_b32_e32 v136, v127, v128, vcc_lo
	s_add_u32 s22, s17, s22
	s_addc_u32 s23, s13, s23
	s_or_b32 s21, s16, 0x60
	s_delay_alu instid0(SALU_CYCLE_1) | instskip(SKIP_2) | instid1(SALU_CYCLE_1)
	s_ashr_i32 s24, s21, 4
	s_cmp_lt_i32 s21, s18
	s_cselect_b32 s24, s24, s3
	s_ashr_i32 s25, s24, 31
	s_delay_alu instid0(SALU_CYCLE_1) | instskip(NEXT) | instid1(SALU_CYCLE_1)
	s_lshl_b64 s[24:25], s[24:25], 2
	s_add_u32 s24, s17, s24
	s_addc_u32 s25, s13, s25
	s_or_b32 s21, s16, 0x80
	s_delay_alu instid0(SALU_CYCLE_1) | instskip(SKIP_2) | instid1(SALU_CYCLE_1)
	s_ashr_i32 s26, s21, 4
	s_cmp_lt_i32 s21, s18
	s_cselect_b32 s26, s26, s3
	s_ashr_i32 s27, s26, 31
	s_delay_alu instid0(SALU_CYCLE_1) | instskip(NEXT) | instid1(SALU_CYCLE_1)
	s_lshl_b64 s[26:27], s[26:27], 2
	;; [unrolled: 10-line block ×3, first 2 shown]
	s_add_u32 s28, s17, s28
	s_addc_u32 s29, s13, s29
	s_clause 0x5
	s_load_b32 s12, s[6:7], 0x0
	s_load_b32 s4, s[8:9], 0x0
	;; [unrolled: 1-line block ×6, first 2 shown]
	s_or_b32 s21, s16, 0xc0
	s_delay_alu instid0(SALU_CYCLE_1) | instskip(SKIP_2) | instid1(SALU_CYCLE_1)
	s_ashr_i32 s22, s21, 4
	s_cmp_lt_i32 s21, s18
	s_cselect_b32 s22, s22, s3
	s_ashr_i32 s23, s22, 31
	s_delay_alu instid0(SALU_CYCLE_1) | instskip(NEXT) | instid1(SALU_CYCLE_1)
	s_lshl_b64 s[22:23], s[22:23], 2
	s_add_u32 s22, s17, s22
	s_addc_u32 s23, s13, s23
	s_or_b32 s21, s16, 0xe0
	s_delay_alu instid0(SALU_CYCLE_1) | instskip(SKIP_2) | instid1(SALU_CYCLE_1)
	s_ashr_i32 s24, s21, 4
	s_cmp_lt_i32 s21, s18
	s_cselect_b32 s24, s24, s3
	s_ashr_i32 s25, s24, 31
	s_delay_alu instid0(SALU_CYCLE_1)
	s_lshl_b64 s[24:25], s[24:25], 2
	s_waitcnt vmcnt(1)
	v_mad_i64_i32 v[3:4], null, v5, s5, v[1:2]
	s_waitcnt vmcnt(0)
	v_mad_i64_i32 v[5:6], null, v7, s5, v[1:2]
	v_lshlrev_b32_e32 v1, 4, v68
	s_clause 0x7
	global_load_b128 v[71:74], v[3:4], off
	global_load_b128 v[75:78], v[3:4], off offset:256
	global_load_b128 v[79:82], v[5:6], off
	global_load_b128 v[83:86], v[5:6], off offset:256
	global_load_b128 v[87:90], v[3:4], off offset:512
	;; [unrolled: 1-line block ×5, first 2 shown]
	v_lshl_or_b32 v1, v69, 8, v1
	s_load_b32 s3, s[22:23], 0x0
	s_add_u32 s22, s17, s24
	s_addc_u32 s23, s13, s25
	s_add_u32 s10, s10, s15
	s_addc_u32 s11, s11, s20
	v_add_co_u32 v1, s10, s10, v1
	s_delay_alu instid0(VALU_DEP_1) | instskip(SKIP_2) | instid1(VALU_DEP_1)
	v_add_co_ci_u32_e64 v2, null, s11, 0, s10
	s_load_b32 s10, s[22:23], 0x0
	s_waitcnt lgkmcnt(0)
	v_mad_i64_i32 v[3:4], null, s12, s5, v[1:2]
	v_mad_i64_i32 v[9:10], null, s7, s5, v[1:2]
	;; [unrolled: 1-line block ×7, first 2 shown]
	s_clause 0x5
	global_load_b128 v[49:52], v[3:4], off
	global_load_b128 v[53:56], v[3:4], off offset:16
	global_load_b128 v[41:44], v[5:6], off
	global_load_b128 v[45:48], v[5:6], off offset:16
	;; [unrolled: 2-line block ×3, first 2 shown]
	s_mov_b32 s4, 0
	v_mad_i64_i32 v[61:62], null, s10, s5, v[1:2]
	s_clause 0x9
	global_load_b128 v[1:4], v[9:10], off
	global_load_b128 v[5:8], v[9:10], off offset:16
	global_load_b128 v[9:12], v[13:14], off
	global_load_b128 v[13:16], v[13:14], off offset:16
	;; [unrolled: 2-line block ×5, first 2 shown]
	s_mov_b32 s5, s4
	s_mov_b32 s6, s4
	;; [unrolled: 1-line block ×7, first 2 shown]
	v_and_b32_e32 v104, 0xe0, v0
	v_dual_mov_b32 v126, s11 :: v_dual_mov_b32 v125, s10
	v_dual_mov_b32 v124, s9 :: v_dual_mov_b32 v123, s8
	s_delay_alu instid0(VALU_DEP_3)
	v_add_nc_u32_e32 v111, s16, v104
	ds_load_b128 v[103:106], v115
	ds_load_b128 v[107:110], v115 offset:1024
	v_dual_mov_b32 v122, s7 :: v_dual_mov_b32 v121, s6
	v_mov_b32_e32 v120, s5
	v_or_b32_e32 v135, v111, v66
	ds_load_b128 v[111:114], v115 offset:2048
	ds_load_b128 v[115:118], v115 offset:3072
	v_mov_b32_e32 v119, s4
	s_waitcnt vmcnt(0) lgkmcnt(0)
	s_barrier
	v_or_b32_e32 v137, 2, v135
	v_or_b32_e32 v138, 4, v135
	;; [unrolled: 1-line block ×3, first 2 shown]
	v_cmp_gt_i32_e32 vcc_lo, s18, v135
	v_or_b32_e32 v140, 8, v135
	v_cmp_gt_i32_e64 s3, s18, v137
	v_or_b32_e32 v141, 10, v135
	v_cmp_gt_i32_e64 s4, s18, v138
	v_cmp_gt_i32_e64 s5, s18, v139
	v_or_b32_e32 v142, 12, v135
	v_or_b32_e32 v143, 14, v135
	v_cmp_gt_i32_e64 s6, s18, v140
	v_cmp_gt_i32_e64 s7, s18, v141
	v_or_b32_e32 v144, 16, v135
	v_or_b32_e32 v145, 18, v135
	v_cmp_gt_i32_e64 s8, s18, v142
	v_cmp_gt_i32_e64 s9, s18, v143
	buffer_gl0_inv
	v_cmp_gt_i32_e64 s10, s18, v144
	v_cmp_gt_i32_e64 s11, s18, v145
	v_wmma_f32_16x16x16_f16 v[127:134], v[71:78], v[103:110], v[119:126]
	v_wmma_f32_16x16x16_f16 v[119:126], v[79:86], v[103:110], v[119:126]
	v_or_b32_e32 v71, 20, v135
	v_or_b32_e32 v72, 22, v135
	s_delay_alu instid0(VALU_DEP_4)
	v_wmma_f32_16x16x16_f16 v[127:134], v[87:94], v[111:118], v[127:134]
	v_or_b32_e32 v73, 24, v135
	v_wmma_f32_16x16x16_f16 v[119:126], v[95:102], v[111:118], v[119:126]
	v_or_b32_e32 v74, 26, v135
	v_cmp_gt_i32_e64 s12, s18, v71
	v_dual_mul_f32 v83, s19, v128 :: v_dual_mul_f32 v84, s19, v127
	v_dual_mul_f32 v81, s19, v130 :: v_dual_mul_f32 v82, s19, v129
	;; [unrolled: 1-line block ×3, first 2 shown]
	s_delay_alu instid0(VALU_DEP_3) | instskip(NEXT) | instid1(VALU_DEP_4)
	v_cndmask_b32_e32 v84, 0xff7fffff, v84, vcc_lo
	v_cndmask_b32_e64 v83, 0xff7fffff, v83, s3
	v_mul_f32_e32 v80, s19, v131
	v_cndmask_b32_e64 v82, 0xff7fffff, v82, s4
	v_cndmask_b32_e64 v81, 0xff7fffff, v81, s5
	v_dual_mul_f32 v77, s19, v134 :: v_dual_mul_f32 v90, s19, v121
	v_max3_f32 v83, v84, 0xff7fffff, v83
	v_mul_f32_e32 v78, s19, v133
	v_cndmask_b32_e64 v80, 0xff7fffff, v80, s6
	v_cndmask_b32_e64 v79, 0xff7fffff, v79, s7
	v_mul_f32_e32 v91, s19, v120
	v_max3_f32 v81, v83, v82, v81
	v_cndmask_b32_e64 v78, 0xff7fffff, v78, s8
	v_cndmask_b32_e64 v77, 0xff7fffff, v77, s9
	v_mul_f32_e32 v89, s19, v122
	v_cmp_gt_i32_e64 s13, s18, v72
	v_max3_f32 v79, v81, v80, v79
	v_cndmask_b32_e64 v80, 0xff7fffff, v92, s10
	v_cndmask_b32_e64 v81, 0xff7fffff, v91, s11
	v_or_b32_e32 v75, 28, v135
	v_or_b32_e32 v76, 30, v135
	v_max3_f32 v77, v79, v78, v77
	v_dual_mul_f32 v87, s19, v124 :: v_dual_mul_f32 v88, s19, v123
	v_cndmask_b32_e64 v71, 0xff7fffff, v90, s12
	v_cndmask_b32_e64 v72, 0xff7fffff, v89, s13
	s_delay_alu instid0(VALU_DEP_4) | instskip(SKIP_3) | instid1(VALU_DEP_4)
	v_max3_f32 v77, v77, v80, v81
	v_cmp_gt_i32_e64 s15, s18, v73
	v_cmp_gt_i32_e64 s16, s18, v74
	v_dual_mul_f32 v85, s19, v126 :: v_dual_mul_f32 v86, s19, v125
	v_max3_f32 v71, v77, v71, v72
	s_delay_alu instid0(VALU_DEP_4) | instskip(NEXT) | instid1(VALU_DEP_4)
	v_cndmask_b32_e64 v73, 0xff7fffff, v88, s15
	v_cndmask_b32_e64 v74, 0xff7fffff, v87, s16
	v_cmp_gt_i32_e64 s17, s18, v75
	v_cmp_gt_i32_e64 s18, s18, v76
	s_delay_alu instid0(VALU_DEP_3) | instskip(NEXT) | instid1(VALU_DEP_3)
	v_max3_f32 v71, v71, v73, v74
	v_cndmask_b32_e64 v72, 0xff7fffff, v86, s17
	s_delay_alu instid0(VALU_DEP_3) | instskip(SKIP_1) | instid1(VALU_DEP_2)
	v_cndmask_b32_e64 v75, 0xff7fffff, v85, s18
	v_lshlrev_b32_e32 v73, 2, v136
	v_max3_f32 v71, v71, v72, v75
	ds_bpermute_b32 v72, v73, v71
	s_waitcnt lgkmcnt(0)
	v_max_f32_e32 v72, v72, v72
	s_delay_alu instid0(VALU_DEP_1) | instskip(NEXT) | instid1(VALU_DEP_1)
	v_max_f32_e32 v71, v71, v72
	v_fma_f32 v72, s19, v127, -v71
	v_fma_f32 v74, s19, v128, -v71
	;; [unrolled: 1-line block ×5, first 2 shown]
	v_mul_f32_e32 v72, 0x3fb8aa3b, v72
	s_delay_alu instid0(VALU_DEP_4) | instskip(NEXT) | instid1(VALU_DEP_4)
	v_dual_mul_f32 v74, 0x3fb8aa3b, v74 :: v_dual_mul_f32 v75, 0x3fb8aa3b, v75
	v_mul_f32_e32 v76, 0x3fb8aa3b, v76
	s_delay_alu instid0(VALU_DEP_4) | instskip(NEXT) | instid1(VALU_DEP_4)
	v_mul_f32_e32 v82, 0x3fb8aa3b, v80
	v_exp_f32_e32 v72, v72
	s_delay_alu instid0(VALU_DEP_3)
	v_exp_f32_e32 v74, v74
	v_exp_f32_e32 v75, v75
	v_exp_f32_e32 v76, v76
	v_fma_f32 v77, s19, v131, -v71
	v_exp_f32_e32 v84, v82
	v_cndmask_b32_e32 v79, 0, v72, vcc_lo
	v_cndmask_b32_e64 v78, 0, v74, s3
	s_delay_alu instid0(TRANS32_DEP_3) | instskip(SKIP_1) | instid1(TRANS32_DEP_2)
	v_cndmask_b32_e64 v81, 0, v75, s4
	v_fma_f32 v72, s19, v132, -v71
	v_cndmask_b32_e64 v80, 0, v76, s5
	v_add_f32_e32 v74, 0, v79
	s_delay_alu instid0(TRANS32_DEP_1) | instskip(SKIP_2) | instid1(VALU_DEP_4)
	v_cndmask_b32_e64 v85, 0, v84, s8
	v_cmp_gt_u32_e64 s3, 16, v70
	v_mul_f32_e32 v72, 0x3fb8aa3b, v72
	v_add_f32_e32 v74, v74, v78
	s_delay_alu instid0(VALU_DEP_2) | instskip(NEXT) | instid1(VALU_DEP_1)
	v_exp_f32_e32 v72, v72
	v_add_f32_e32 v74, v74, v81
	s_delay_alu instid0(VALU_DEP_1) | instskip(NEXT) | instid1(VALU_DEP_1)
	v_dual_mul_f32 v77, 0x3fb8aa3b, v77 :: v_dual_add_f32 v74, v74, v80
	v_exp_f32_e32 v77, v77
	s_waitcnt_depctr 0xfff
	v_cndmask_b32_e64 v82, 0, v72, s7
	v_cndmask_b32_e64 v83, 0, v77, s6
	s_delay_alu instid0(VALU_DEP_1) | instskip(SKIP_4) | instid1(VALU_DEP_4)
	v_add_f32_e32 v72, v74, v83
	v_fma_f32 v75, s19, v134, -v71
	v_fma_f32 v76, s19, v119, -v71
	;; [unrolled: 1-line block ×4, first 2 shown]
	v_dual_add_f32 v72, v72, v82 :: v_dual_mul_f32 v75, 0x3fb8aa3b, v75
	s_delay_alu instid0(VALU_DEP_3) | instskip(NEXT) | instid1(VALU_DEP_3)
	v_dual_mul_f32 v76, 0x3fb8aa3b, v76 :: v_dual_mul_f32 v77, 0x3fb8aa3b, v77
	v_mul_f32_e32 v74, 0x3fb8aa3b, v74
	v_fma_f32 v86, s19, v122, -v71
	s_delay_alu instid0(VALU_DEP_4) | instskip(NEXT) | instid1(VALU_DEP_3)
	v_exp_f32_e32 v75, v75
	v_exp_f32_e32 v76, v76
	;; [unrolled: 1-line block ×4, first 2 shown]
	v_mul_f32_e32 v86, 0x3fb8aa3b, v86
	s_delay_alu instid0(VALU_DEP_1)
	v_exp_f32_e32 v88, v86
	v_cndmask_b32_e64 v84, 0, v75, s9
	v_fma_f32 v75, s19, v123, -v71
	v_add_f32_e32 v72, v72, v85
	v_cndmask_b32_e64 v87, 0, v76, s10
	v_fma_f32 v76, s19, v124, -v71
	s_delay_alu instid0(TRANS32_DEP_3) | instskip(NEXT) | instid1(VALU_DEP_4)
	v_cndmask_b32_e64 v86, 0, v77, s11
	v_dual_mul_f32 v75, 0x3fb8aa3b, v75 :: v_dual_add_f32 v72, v72, v84
	v_fma_f32 v77, s19, v125, -v71
	s_delay_alu instid0(VALU_DEP_4) | instskip(SKIP_1) | instid1(VALU_DEP_4)
	v_mul_f32_e32 v76, 0x3fb8aa3b, v76
	v_cndmask_b32_e64 v89, 0, v74, s12
	v_exp_f32_e32 v75, v75
	v_add_f32_e32 v72, v72, v87
	v_mul_f32_e32 v74, 0x3fb8aa3b, v77
	v_exp_f32_e32 v76, v76
	v_cndmask_b32_e64 v88, 0, v88, s13
	v_fma_f32 v77, s19, v126, -v71
	v_add_f32_e32 v72, v72, v86
	v_exp_f32_e32 v74, v74
	s_delay_alu instid0(TRANS32_DEP_3) | instskip(NEXT) | instid1(VALU_DEP_2)
	v_cndmask_b32_e64 v91, 0, v75, s15
	v_add_f32_e32 v72, v72, v89
	v_mul_f32_e32 v75, 0x3fb8aa3b, v77
	s_delay_alu instid0(TRANS32_DEP_2) | instskip(NEXT) | instid1(VALU_DEP_3)
	v_cndmask_b32_e64 v90, 0, v76, s16
	v_add_f32_e32 v72, v72, v88
	s_delay_alu instid0(VALU_DEP_3) | instskip(NEXT) | instid1(TRANS32_DEP_2)
	v_exp_f32_e32 v75, v75
	v_cndmask_b32_e64 v93, 0, v74, s17
	s_delay_alu instid0(VALU_DEP_2) | instskip(NEXT) | instid1(VALU_DEP_1)
	v_add_f32_e32 v72, v72, v91
	v_add_f32_e32 v72, v72, v90
	s_waitcnt_depctr 0xfff
	v_cndmask_b32_e64 v92, 0, v75, s18
	v_add_f32_e32 v72, v72, v93
	s_delay_alu instid0(VALU_DEP_1)
	v_add_f32_e32 v72, v72, v92
	ds_bpermute_b32 v73, v73, v72
	s_and_saveexec_b32 s4, s3
	s_cbranch_execz .LBB1130_12
; %bb.11:
	v_mul_u32_u24_e32 v70, 0x44, v69
	s_waitcnt lgkmcnt(0)
	v_add_f32_e32 v72, v72, v73
	s_delay_alu instid0(VALU_DEP_2) | instskip(NEXT) | instid1(VALU_DEP_1)
	v_lshl_add_u32 v70, v68, 2, v70
	v_add_nc_u32_e32 v70, 0x4000, v70
	ds_store_2addr_b32 v70, v71, v72 offset1:136
.LBB1130_12:
	s_or_b32 exec_lo, exec_lo, s4
	v_lshlrev_b32_e32 v70, 2, v68
	s_load_b32 s36, s[0:1], 0x94
	s_waitcnt lgkmcnt(0)
	s_barrier
	buffer_gl0_inv
	v_add_nc_u32_e32 v98, 0x4000, v70
	v_cmp_eq_u32_e32 vcc_lo, 1, v69
	v_cmp_eq_u32_e64 s4, 2, v69
	v_cmp_eq_u32_e64 s5, 3, v69
	;; [unrolled: 1-line block ×3, first 2 shown]
	ds_load_2addr_b32 v[70:71], v98 offset1:17
	ds_load_2addr_b32 v[72:73], v98 offset0:34 offset1:51
	ds_load_2addr_b32 v[74:75], v98 offset0:68 offset1:85
	;; [unrolled: 1-line block ×3, first 2 shown]
	v_cmp_eq_u32_e64 s7, 5, v69
	v_cmp_eq_u32_e64 s8, 7, v69
	s_waitcnt lgkmcnt(3)
	v_max3_f32 v76, v70, 0xff7fffff, v71
	s_waitcnt lgkmcnt(2)
	s_delay_alu instid0(VALU_DEP_1) | instskip(SKIP_1) | instid1(VALU_DEP_1)
	v_max3_f32 v76, v76, v72, v73
	s_waitcnt lgkmcnt(1)
	v_max3_f32 v76, v76, v74, v75
	s_waitcnt lgkmcnt(0)
	s_delay_alu instid0(VALU_DEP_1) | instskip(NEXT) | instid1(VALU_DEP_1)
	v_max3_f32 v76, v76, v94, v95
	v_sub_f32_e32 v77, v71, v76
	ds_load_2addr_b32 v[96:97], v98 offset0:136 offset1:153
	v_sub_f32_e32 v74, v74, v76
	v_sub_f32_e32 v70, v70, v76
	;; [unrolled: 1-line block ×3, first 2 shown]
	v_dual_sub_f32 v72, v72, v76 :: v_dual_mul_f32 v77, 0x3fb8aa3b, v77
	s_delay_alu instid0(VALU_DEP_4) | instskip(NEXT) | instid1(VALU_DEP_4)
	v_mul_f32_e32 v103, 0x3fb8aa3b, v74
	v_mul_f32_e32 v99, 0x3fb8aa3b, v70
	ds_load_2addr_b32 v[70:71], v98 offset0:170 offset1:187
	v_dual_mul_f32 v101, 0x3fb8aa3b, v72 :: v_dual_mul_f32 v94, 0x3fb8aa3b, v94
	v_exp_f32_e32 v102, v77
	v_exp_f32_e32 v99, v99
	s_delay_alu instid0(VALU_DEP_1) | instskip(NEXT) | instid1(VALU_DEP_1)
	v_exp_f32_e32 v101, v101
	v_exp_f32_e32 v94, v94
	s_waitcnt lgkmcnt(1)
	s_delay_alu instid0(TRANS32_DEP_3)
	v_fma_f32 v77, v99, v96, 0
	v_sub_f32_e32 v100, v73, v76
	ds_load_2addr_b32 v[72:73], v98 offset0:204 offset1:221
	v_fmac_f32_e32 v77, v102, v97
	v_exp_f32_e32 v97, v103
	s_waitcnt lgkmcnt(1)
	s_delay_alu instid0(VALU_DEP_1)
	v_dual_fmac_f32 v77, v101, v70 :: v_dual_sub_f32 v96, v75, v76
	ds_load_2addr_b32 v[74:75], v98 offset0:238 offset1:255
	v_sub_f32_e32 v70, v95, v76
	s_waitcnt lgkmcnt(0)
	s_barrier
	v_mul_f32_e32 v96, 0x3fb8aa3b, v96
	buffer_gl0_inv
	v_exp_f32_e32 v95, v96
	v_mul_f32_e32 v100, 0x3fb8aa3b, v100
	s_delay_alu instid0(VALU_DEP_1) | instskip(SKIP_3) | instid1(VALU_DEP_2)
	v_exp_f32_e32 v100, v100
	s_waitcnt_depctr 0xfff
	v_dual_fmac_f32 v77, v100, v71 :: v_dual_mul_f32 v70, 0x3fb8aa3b, v70
	v_cndmask_b32_e32 v71, v99, v102, vcc_lo
	v_fmac_f32_e32 v77, v97, v72
	s_delay_alu instid0(VALU_DEP_3) | instskip(NEXT) | instid1(VALU_DEP_1)
	v_exp_f32_e32 v96, v70
	v_fmac_f32_e32 v77, v95, v73
	s_delay_alu instid0(VALU_DEP_1) | instskip(SKIP_2) | instid1(VALU_DEP_1)
	v_fmac_f32_e32 v77, v94, v74
	s_waitcnt_depctr 0xfff
	v_fmac_f32_e32 v77, v96, v75
	v_add_f32_e32 v74, 0x358637bd, v77
	s_delay_alu instid0(VALU_DEP_1) | instskip(SKIP_1) | instid1(VALU_DEP_2)
	v_div_scale_f32 v98, null, v74, v74, 1.0
	v_div_scale_f32 v99, vcc_lo, 1.0, v74, 1.0
	v_rcp_f32_e32 v103, v98
	s_waitcnt_depctr 0xfff
	v_fma_f32 v70, -v98, v103, 1.0
	s_delay_alu instid0(VALU_DEP_1) | instskip(SKIP_2) | instid1(VALU_DEP_2)
	v_fmac_f32_e32 v103, v70, v103
	v_cndmask_b32_e64 v70, v71, v101, s4
	v_cmp_eq_u32_e64 s4, 6, v69
	v_cndmask_b32_e64 v71, v70, v100, s5
	s_delay_alu instid0(VALU_DEP_4) | instskip(NEXT) | instid1(VALU_DEP_2)
	v_dual_mul_f32 v101, v99, v103 :: v_dual_lshlrev_b32 v70, 2, v66
	v_cndmask_b32_e64 v71, v71, v97, s6
	s_delay_alu instid0(VALU_DEP_2) | instskip(NEXT) | instid1(VALU_DEP_3)
	v_or_b32_e32 v72, 1, v70
	v_fma_f32 v100, -v98, v101, v99
	v_cmp_eq_u32_e64 s5, 1, v70
	v_cmp_eq_u32_e64 s6, 2, v70
	v_cndmask_b32_e64 v95, v71, v95, s7
	v_or_b32_e32 v71, 3, v70
	v_fmac_f32_e32 v101, v100, v103
	v_cmp_eq_u32_e64 s10, 1, v72
	v_cmp_eq_u32_e64 s13, 2, v72
	v_cndmask_b32_e64 v94, v95, v94, s4
	v_cmp_eq_u32_e64 s12, 1, v71
	v_fma_f32 v97, -v98, v101, v99
	v_cmp_eq_u32_e64 s17, 2, v71
	v_cmp_eq_u32_e64 s15, 3, v72
	v_cndmask_b32_e64 v94, v94, v96, s8
	v_cmp_eq_u32_e64 s19, 3, v71
	v_div_fmas_f32 v95, v97, v103, v101
	v_cmp_eq_u32_e32 vcc_lo, 3, v70
	v_cmp_eq_u32_e64 s4, 4, v70
	v_cmp_eq_u32_e64 s20, 4, v72
	;; [unrolled: 1-line block ×3, first 2 shown]
	v_div_fixup_f32 v95, v95, v74, 1.0
	v_lshlrev_b32_e32 v73, 6, v68
	v_cmp_eq_u32_e64 s7, 5, v70
	v_cmp_eq_u32_e64 s21, 5, v72
	;; [unrolled: 1-line block ×3, first 2 shown]
	v_mul_f32_e32 v102, v94, v95
	v_lshl_or_b32 v75, v69, 11, v73
	v_or_b32_e32 v69, 2, v70
	v_cmp_eq_u32_e64 s26, 6, v72
	v_cmp_eq_u32_e64 s28, 6, v71
	v_fma_mixlo_f16 v94, v102, v79, 0
	v_fma_mixlo_f16 v95, v102, v81, 0
	;; [unrolled: 1-line block ×8, first 2 shown]
	v_lshl_or_b32 v74, v66, 4, v75
	v_fma_mixhi_f16 v94, v102, v78, 0
	v_fma_mixhi_f16 v95, v102, v80, 0
	;; [unrolled: 1-line block ×8, first 2 shown]
	ds_store_b128 v74, v[94:97]
	ds_store_b128 v74, v[98:101] offset:1024
	s_waitcnt lgkmcnt(0)
	s_barrier
	buffer_gl0_inv
	ds_load_b128 v[78:81], v75
	ds_load_b128 v[82:85], v75 offset:16
	ds_load_b128 v[86:89], v75 offset:1024
	;; [unrolled: 1-line block ×3, first 2 shown]
	v_cmp_eq_u32_e64 s11, 1, v69
	v_cmp_eq_u32_e64 s16, 2, v69
	;; [unrolled: 1-line block ×11, first 2 shown]
	s_waitcnt lgkmcnt(3)
	v_lshrrev_b32_e32 v94, 16, v78
	s_waitcnt lgkmcnt(2)
	v_lshrrev_b32_e32 v98, 16, v82
	;; [unrolled: 2-line block ×4, first 2 shown]
	v_lshrrev_b32_e32 v95, 16, v79
	v_cndmask_b32_e64 v110, v78, v94, s5
	v_cndmask_b32_e64 v111, v82, v98, s5
	;; [unrolled: 1-line block ×8, first 2 shown]
	v_lshrrev_b32_e32 v99, 16, v83
	v_cndmask_b32_e64 v94, v86, v102, s5
	v_cndmask_b32_e64 v98, v90, v106, s5
	;; [unrolled: 1-line block ×15, first 2 shown]
	v_lshrrev_b32_e32 v103, 16, v87
	v_lshrrev_b32_e32 v107, 16, v91
	v_cndmask_b32_e64 v113, v115, v83, s16
	v_cndmask_b32_e64 v82, v94, v87, s6
	v_cndmask_b32_e64 v83, v98, v91, s6
	v_cndmask_b32_e64 v94, v116, v87, s13
	v_cndmask_b32_e64 v98, v118, v87, s16
	v_cndmask_b32_e64 v86, v86, v87, s17
	v_cndmask_b32_e64 v87, v90, v91, s17
	v_cndmask_b32_e32 v90, v102, v95, vcc_lo
	v_cndmask_b32_e32 v102, v106, v99, vcc_lo
	v_cndmask_b32_e64 v106, v110, v95, s15
	v_cndmask_b32_e64 v110, v111, v99, s15
	;; [unrolled: 1-line block ×4, first 2 shown]
	v_lshrrev_b32_e32 v96, 16, v80
	v_lshrrev_b32_e32 v100, 16, v84
	v_cndmask_b32_e64 v111, v112, v95, s18
	v_cndmask_b32_e64 v112, v113, v99, s18
	v_cndmask_b32_e32 v82, v82, v103, vcc_lo
	v_cndmask_b32_e32 v83, v83, v107, vcc_lo
	v_cndmask_b32_e64 v94, v94, v103, s15
	v_cndmask_b32_e64 v90, v90, v80, s4
	v_cndmask_b32_e64 v95, v102, v84, s4
	v_cndmask_b32_e64 v99, v106, v80, s20
	v_cndmask_b32_e64 v102, v110, v84, s20
	v_cndmask_b32_e64 v78, v78, v80, s23
	v_cndmask_b32_e64 v79, v79, v84, s23
	v_lshrrev_b32_e32 v104, 16, v88
	v_cndmask_b32_e64 v106, v111, v80, s22
	v_cndmask_b32_e64 v110, v112, v84, s22
	;; [unrolled: 1-line block ×11, first 2 shown]
	v_lshrrev_b32_e32 v97, 16, v81
	v_lshrrev_b32_e32 v101, 16, v85
	v_cndmask_b32_e64 v99, v106, v96, s24
	v_cndmask_b32_e64 v102, v110, v100, s24
	;; [unrolled: 1-line block ×7, first 2 shown]
	v_lshrrev_b32_e32 v105, 16, v89
	v_cndmask_b32_e64 v80, v80, v104, s7
	v_cndmask_b32_e64 v84, v84, v81, s8
	;; [unrolled: 1-line block ×16, first 2 shown]
	v_perm_b32 v81, v79, v78, 0x5040100
	v_perm_b32 v79, v95, v85, 0x5040100
	v_cndmask_b32_e64 v78, v119, v91, s16
	v_cndmask_b32_e64 v85, v117, v91, s13
	;; [unrolled: 1-line block ×3, first 2 shown]
	v_perm_b32 v80, v94, v90, 0x5040100
	v_cndmask_b32_e64 v90, v98, v103, s18
	v_cndmask_b32_e64 v86, v86, v103, s19
	;; [unrolled: 1-line block ×5, first 2 shown]
	v_lshrrev_b32_e32 v108, 16, v92
	v_cndmask_b32_e64 v90, v90, v88, s22
	v_cndmask_b32_e64 v86, v86, v88, s23
	;; [unrolled: 1-line block ×11, first 2 shown]
	v_lshrrev_b32_e32 v109, 16, v93
	v_cndmask_b32_e64 v82, v82, v93, s8
	v_cndmask_b32_e64 v88, v88, v89, s27
	;; [unrolled: 1-line block ×12, first 2 shown]
	v_perm_b32 v78, v84, v83, 0x5040100
	v_perm_b32 v85, v87, v86, 0x5040100
	;; [unrolled: 1-line block ×5, first 2 shown]
	s_mul_i32 s9, s35, 13
	s_mov_b32 s4, exec_lo
	ds_store_b128 v74, v[78:81]
	ds_store_b128 v74, v[82:85] offset:1024
	v_cmpx_gt_u32_e32 13, v0
	s_cbranch_execz .LBB1130_14
; %bb.13:
	s_mul_i32 s5, s9, s34
	s_load_b128 s[16:19], s[0:1], 0x58
	v_add3_u32 v68, s5, s33, v68
	s_delay_alu instid0(VALU_DEP_1) | instskip(NEXT) | instid1(VALU_DEP_1)
	v_mad_u64_u32 v[78:79], null, v68, s36, s[14:15]
	v_ashrrev_i32_e32 v79, 31, v78
	s_delay_alu instid0(VALU_DEP_1) | instskip(SKIP_1) | instid1(VALU_DEP_1)
	v_lshlrev_b64 v[78:79], 2, v[78:79]
	s_waitcnt lgkmcnt(0)
	v_add_co_u32 v80, vcc_lo, s18, v78
	s_delay_alu instid0(VALU_DEP_2)
	v_add_co_ci_u32_e32 v81, vcc_lo, s19, v79, vcc_lo
	v_add_co_u32 v78, vcc_lo, s16, v78
	v_add_co_ci_u32_e32 v79, vcc_lo, s17, v79, vcc_lo
	global_store_b32 v[80:81], v76, off
	global_store_b32 v[78:79], v77, off
.LBB1130_14:
	s_or_b32 exec_lo, exec_lo, s4
	s_waitcnt lgkmcnt(0)
	s_waitcnt_vscnt null, 0x0
	s_barrier
	buffer_gl0_inv
	ds_load_b128 v[84:87], v73
	ds_load_b128 v[88:91], v73 offset:16
	ds_load_b128 v[96:99], v73 offset:2064
	;; [unrolled: 1-line block ×5, first 2 shown]
	v_cmp_eq_u32_e32 vcc_lo, 1, v70
	v_mov_b32_e32 v76, 0
	ds_load_b128 v[112:115], v73 offset:6160
	ds_load_b128 v[108:111], v73 offset:6144
	;; [unrolled: 1-line block ×4, first 2 shown]
	v_cmp_eq_u32_e64 s5, 1, v69
	v_cmp_eq_u32_e64 s4, 1, v72
	;; [unrolled: 1-line block ×3, first 2 shown]
	v_mov_b32_e32 v77, v76
	v_mov_b32_e32 v78, v76
	;; [unrolled: 1-line block ×7, first 2 shown]
	v_cmp_eq_u32_e64 s7, 3, v72
	v_cmp_eq_u32_e64 s8, 7, v72
	s_waitcnt lgkmcnt(8)
	s_delay_alu instid0(VALU_DEP_3)
	v_wmma_f32_16x16x16_f16 v[76:83], v[49:56], v[84:91], v[76:83]
	ds_load_b128 v[53:56], v73 offset:10256
	ds_load_b128 v[49:52], v73 offset:10240
	s_waitcnt lgkmcnt(8)
	v_wmma_f32_16x16x16_f16 v[76:83], v[41:48], v[92:99], v[76:83]
	ds_load_b128 v[45:48], v73 offset:12304
	ds_load_b128 v[41:44], v73 offset:12288
	s_waitcnt lgkmcnt(8)
	;; [unrolled: 4-line block ×3, first 2 shown]
	s_barrier
	buffer_gl0_inv
	v_wmma_f32_16x16x16_f16 v[76:83], v[1:8], v[108:115], v[76:83]
	s_delay_alu instid0(VALU_DEP_1) | instskip(NEXT) | instid1(VALU_DEP_1)
	v_wmma_f32_16x16x16_f16 v[76:83], v[9:16], v[116:123], v[76:83]
	v_wmma_f32_16x16x16_f16 v[76:83], v[17:24], v[49:56], v[76:83]
	s_delay_alu instid0(VALU_DEP_1) | instskip(NEXT) | instid1(VALU_DEP_1)
	v_wmma_f32_16x16x16_f16 v[76:83], v[25:32], v[41:48], v[76:83]
	v_wmma_f32_16x16x16_f16 v[76:83], v[57:64], v[33:40], v[76:83]
	s_delay_alu instid0(VALU_DEP_1) | instskip(NEXT) | instid1(VALU_DEP_2)
	v_cvt_f16_f32_e32 v1, v76
	v_cvt_f16_f32_e32 v2, v77
	s_delay_alu instid0(VALU_DEP_3) | instskip(NEXT) | instid1(VALU_DEP_4)
	v_cvt_f16_f32_e32 v3, v78
	v_cvt_f16_f32_e32 v4, v79
	;; [unrolled: 1-line block ×6, first 2 shown]
	v_pack_b32_f16 v1, v1, v2
	v_pack_b32_f16 v2, v3, v4
	v_pack_b32_f16 v3, v5, v6
	s_delay_alu instid0(VALU_DEP_4)
	v_pack_b32_f16 v4, v7, v8
	ds_store_b128 v74, v[1:4]
	s_waitcnt lgkmcnt(0)
	s_barrier
	buffer_gl0_inv
	ds_load_b128 v[1:4], v75
	ds_load_b128 v[5:8], v75 offset:16
	s_waitcnt lgkmcnt(1)
	v_lshrrev_b32_e32 v9, 16, v1
	s_waitcnt lgkmcnt(0)
	v_lshrrev_b32_e32 v13, 16, v5
	v_lshrrev_b32_e32 v10, 16, v2
	;; [unrolled: 1-line block ×4, first 2 shown]
	v_cndmask_b32_e32 v17, v1, v9, vcc_lo
	v_cndmask_b32_e32 v18, v5, v13, vcc_lo
	v_cndmask_b32_e64 v21, v1, v9, s5
	v_cmp_eq_u32_e32 vcc_lo, 1, v71
	v_cndmask_b32_e64 v22, v5, v13, s5
	v_cmp_eq_u32_e64 s5, 2, v70
	v_cndmask_b32_e64 v19, v1, v9, s4
	v_cndmask_b32_e64 v20, v5, v13, s4
	v_cndmask_b32_e32 v1, v1, v9, vcc_lo
	v_cmp_eq_u32_e64 s4, 2, v71
	v_cndmask_b32_e32 v5, v5, v13, vcc_lo
	v_cndmask_b32_e64 v9, v17, v2, s5
	v_cmp_eq_u32_e32 vcc_lo, 3, v70
	v_cndmask_b32_e64 v13, v18, v6, s5
	v_cmp_eq_u32_e64 s5, 2, v69
	v_cndmask_b32_e64 v17, v19, v2, s6
	v_cndmask_b32_e64 v18, v20, v6, s6
	v_cmp_eq_u32_e64 s6, 3, v69
	v_cndmask_b32_e64 v1, v1, v2, s4
	v_cndmask_b32_e64 v19, v21, v2, s5
	;; [unrolled: 1-line block ×4, first 2 shown]
	v_cndmask_b32_e32 v5, v9, v10, vcc_lo
	v_cndmask_b32_e32 v6, v13, v14, vcc_lo
	v_cmp_eq_u32_e32 vcc_lo, 3, v71
	v_cndmask_b32_e64 v9, v17, v10, s7
	v_cndmask_b32_e64 v13, v18, v14, s7
	;; [unrolled: 1-line block ×3, first 2 shown]
	v_cmp_eq_u32_e64 s5, 4, v70
	v_cndmask_b32_e32 v1, v1, v10, vcc_lo
	v_cndmask_b32_e32 v2, v2, v14, vcc_lo
	v_cmp_eq_u32_e32 vcc_lo, 4, v72
	v_lshrrev_b32_e32 v15, 16, v7
	v_lshrrev_b32_e32 v16, 16, v8
	v_cndmask_b32_e64 v17, v19, v10, s6
	v_cmp_eq_u32_e64 s4, 4, v71
	v_cndmask_b32_e64 v5, v5, v3, s5
	v_cndmask_b32_e64 v6, v6, v7, s5
	v_cndmask_b32_e32 v9, v9, v3, vcc_lo
	v_cmp_eq_u32_e64 s5, 5, v72
	v_cndmask_b32_e32 v10, v13, v7, vcc_lo
	v_cmp_eq_u32_e32 vcc_lo, 4, v69
	v_cmp_eq_u32_e64 s6, 5, v70
	v_cndmask_b32_e64 v2, v2, v7, s4
	v_cndmask_b32_e64 v9, v9, v11, s5
	;; [unrolled: 1-line block ×3, first 2 shown]
	v_cndmask_b32_e32 v13, v17, v3, vcc_lo
	v_cmp_eq_u32_e64 s5, 5, v69
	v_cndmask_b32_e32 v14, v18, v7, vcc_lo
	v_cndmask_b32_e64 v1, v1, v3, s4
	v_cmp_eq_u32_e32 vcc_lo, 5, v71
	v_lshrrev_b32_e32 v12, 16, v4
	v_cndmask_b32_e64 v13, v13, v11, s5
	v_cndmask_b32_e64 v3, v14, v15, s5
	v_cmp_eq_u32_e64 s5, 6, v71
	v_cndmask_b32_e32 v1, v1, v11, vcc_lo
	v_cndmask_b32_e64 v5, v5, v11, s6
	v_cmp_eq_u32_e64 s7, 6, v70
	v_cndmask_b32_e64 v6, v6, v15, s6
	v_cmp_eq_u32_e64 s6, 6, v72
	v_cmp_eq_u32_e64 s4, 6, v69
	v_cndmask_b32_e64 v1, v1, v4, s5
	v_cndmask_b32_e32 v2, v2, v15, vcc_lo
	v_cmp_eq_u32_e32 vcc_lo, 7, v71
	v_cndmask_b32_e64 v5, v5, v4, s7
	v_cndmask_b32_e64 v9, v9, v4, s6
	;; [unrolled: 1-line block ×3, first 2 shown]
	v_cmp_eq_u32_e64 s7, 7, v70
	v_cndmask_b32_e32 v1, v1, v12, vcc_lo
	v_cndmask_b32_e64 v7, v13, v4, s4
	v_cndmask_b32_e64 v3, v3, v8, s4
	;; [unrolled: 1-line block ×3, first 2 shown]
	v_cmp_eq_u32_e64 s4, 7, v69
	v_cndmask_b32_e64 v4, v10, v8, s6
	v_cndmask_b32_e64 v5, v5, v12, s7
	;; [unrolled: 1-line block ×3, first 2 shown]
	v_cndmask_b32_e32 v2, v2, v16, vcc_lo
	v_cndmask_b32_e64 v7, v7, v12, s4
	v_cndmask_b32_e64 v3, v3, v16, s4
	;; [unrolled: 1-line block ×4, first 2 shown]
	v_cmp_gt_u32_e32 vcc_lo, 32, v0
	v_perm_b32 v4, v2, v1, 0x5040100
	v_perm_b32 v3, v3, v7, 0x5040100
	;; [unrolled: 1-line block ×4, first 2 shown]
	s_and_b32 s2, vcc_lo, s2
	ds_store_b128 v74, v[1:4]
	s_waitcnt lgkmcnt(0)
	s_barrier
	buffer_gl0_inv
	s_and_saveexec_b32 s4, s2
	s_cbranch_execz .LBB1130_2
; %bb.15:
	s_load_b64 s[4:5], s[0:1], 0x68
	v_lshlrev_b32_e32 v0, 10, v0
	v_lshlrev_b32_e32 v1, 4, v67
	s_lshl_b32 s0, s36, 6
	v_add_nc_u32_e32 v18, s33, v66
	s_mul_i32 s1, s0, s34
	s_delay_alu instid0(VALU_DEP_2) | instskip(SKIP_1) | instid1(VALU_DEP_2)
	v_and_or_b32 v0, 0x3800, v0, v1
	s_mul_i32 s6, s1, s9
	v_mul_lo_u32 v1, v18, s0
	s_ashr_i32 s7, s6, 31
	v_add_nc_u32_e32 v2, 2, v18
	v_lshl_or_b32 v19, v66, 6, v0
	s_lshl_b64 s[6:7], s[6:7], 1
	v_add_nc_u32_e32 v8, 4, v18
	v_add_nc_u32_e32 v15, 6, v18
	v_mul_lo_u32 v7, v2, s0
	ds_load_b128 v[3:6], v19
	v_ashrrev_i32_e32 v2, 31, v1
	v_mul_lo_u32 v11, v8, s0
	s_waitcnt lgkmcnt(0)
	s_add_u32 s1, s4, s6
	s_addc_u32 s2, s5, s7
	s_lshl_b32 s4, s14, 6
	v_lshlrev_b64 v[9:10], 1, v[1:2]
	s_ashr_i32 s5, s4, 31
	v_ashrrev_i32_e32 v8, 31, v7
	s_lshl_b64 s[4:5], s[4:5], 1
	v_ashrrev_i32_e32 v12, 31, v11
	s_add_u32 s1, s1, s4
	s_addc_u32 s2, s2, s5
	v_add_co_u32 v1, s1, s1, v65
	s_delay_alu instid0(VALU_DEP_1) | instskip(SKIP_1) | instid1(VALU_DEP_3)
	v_add_co_ci_u32_e64 v2, null, s2, 0, s1
	v_mul_lo_u32 v15, v15, s0
	v_add_co_u32 v13, vcc_lo, v1, v9
	s_delay_alu instid0(VALU_DEP_3)
	v_add_co_ci_u32_e32 v14, vcc_lo, v2, v10, vcc_lo
	v_lshlrev_b64 v[16:17], 1, v[7:8]
	ds_load_b128 v[7:10], v19 offset:128
	global_store_b128 v[13:14], v[3:6], off
	v_add_nc_u32_e32 v5, 8, v18
	v_lshlrev_b64 v[3:4], 1, v[11:12]
	v_add_co_u32 v23, vcc_lo, v1, v16
	v_ashrrev_i32_e32 v16, 31, v15
	s_delay_alu instid0(VALU_DEP_4) | instskip(SKIP_3) | instid1(VALU_DEP_3)
	v_mul_lo_u32 v25, v5, s0
	v_add_nc_u32_e32 v5, 10, v18
	v_add_co_ci_u32_e32 v24, vcc_lo, v2, v17, vcc_lo
	v_add_co_u32 v27, vcc_lo, v1, v3
	v_mul_lo_u32 v29, v5, s0
	v_add_co_ci_u32_e32 v28, vcc_lo, v2, v4, vcc_lo
	v_lshlrev_b64 v[31:32], 1, v[15:16]
	ds_load_b128 v[3:6], v19 offset:256
	ds_load_b128 v[11:14], v19 offset:384
	ds_load_b128 v[15:18], v19 offset:512
	ds_load_b128 v[19:22], v19 offset:640
	v_ashrrev_i32_e32 v26, 31, v25
	v_ashrrev_i32_e32 v30, 31, v29
	v_add_co_u32 v31, vcc_lo, v1, v31
	s_delay_alu instid0(VALU_DEP_3) | instskip(SKIP_1) | instid1(VALU_DEP_4)
	v_lshlrev_b64 v[25:26], 1, v[25:26]
	v_add_co_ci_u32_e32 v32, vcc_lo, v2, v32, vcc_lo
	v_lshlrev_b64 v[29:30], 1, v[29:30]
	s_delay_alu instid0(VALU_DEP_3) | instskip(NEXT) | instid1(VALU_DEP_4)
	v_add_co_u32 v25, vcc_lo, v1, v25
	v_add_co_ci_u32_e32 v26, vcc_lo, v2, v26, vcc_lo
	s_delay_alu instid0(VALU_DEP_3) | instskip(NEXT) | instid1(VALU_DEP_4)
	v_add_co_u32 v29, vcc_lo, v1, v29
	v_add_co_ci_u32_e32 v30, vcc_lo, v2, v30, vcc_lo
	s_waitcnt lgkmcnt(4)
	global_store_b128 v[23:24], v[7:10], off
	s_waitcnt lgkmcnt(3)
	global_store_b128 v[27:28], v[3:6], off
	s_waitcnt lgkmcnt(2)
	global_store_b128 v[31:32], v[11:14], off
	s_waitcnt lgkmcnt(1)
	global_store_b128 v[25:26], v[15:18], off
	s_waitcnt lgkmcnt(0)
	global_store_b128 v[29:30], v[19:22], off
	s_and_b32 exec_lo, exec_lo, s3
	s_cbranch_execz .LBB1130_2
; %bb.16:
	ds_load_b128 v[3:6], v0 offset:768
	s_add_i32 s1, s33, 12
	s_delay_alu instid0(SALU_CYCLE_1) | instskip(NEXT) | instid1(SALU_CYCLE_1)
	s_mul_i32 s0, s1, s0
	s_ashr_i32 s1, s0, 31
	s_delay_alu instid0(SALU_CYCLE_1) | instskip(NEXT) | instid1(SALU_CYCLE_1)
	s_lshl_b64 s[0:1], s[0:1], 1
	v_add_co_u32 v0, vcc_lo, v1, s0
	v_add_co_ci_u32_e32 v1, vcc_lo, s1, v2, vcc_lo
	s_waitcnt lgkmcnt(0)
	global_store_b128 v[0:1], v[3:6], off
	s_nop 0
	s_sendmsg sendmsg(MSG_DEALLOC_VGPRS)
	s_endpgm
	.section	.rodata,"a",@progbits
	.p2align	6, 0x0
	.amdhsa_kernel _Z39paged_attention_ll4mi_QKV_mfma16_kernelIDF16_hLN4vllm18Fp8KVCacheDataTypeE1EDF16_Li16ELi64ELi256ELb1ELi13EL8MFMAType0EEvPKT_PKT0_S8_ifPKiSA_SA_iPKfiiiPfSD_PS3_PT2_iSC_SC_
		.amdhsa_group_segment_fixed_size 17472
		.amdhsa_private_segment_fixed_size 0
		.amdhsa_kernarg_size 400
		.amdhsa_user_sgpr_count 13
		.amdhsa_user_sgpr_dispatch_ptr 0
		.amdhsa_user_sgpr_queue_ptr 0
		.amdhsa_user_sgpr_kernarg_segment_ptr 1
		.amdhsa_user_sgpr_dispatch_id 0
		.amdhsa_user_sgpr_private_segment_size 0
		.amdhsa_wavefront_size32 1
		.amdhsa_uses_dynamic_stack 0
		.amdhsa_enable_private_segment 0
		.amdhsa_system_sgpr_workgroup_id_x 1
		.amdhsa_system_sgpr_workgroup_id_y 1
		.amdhsa_system_sgpr_workgroup_id_z 1
		.amdhsa_system_sgpr_workgroup_info 0
		.amdhsa_system_vgpr_workitem_id 0
		.amdhsa_next_free_vgpr 146
		.amdhsa_next_free_sgpr 37
		.amdhsa_reserve_vcc 1
		.amdhsa_float_round_mode_32 0
		.amdhsa_float_round_mode_16_64 0
		.amdhsa_float_denorm_mode_32 3
		.amdhsa_float_denorm_mode_16_64 3
		.amdhsa_dx10_clamp 1
		.amdhsa_ieee_mode 1
		.amdhsa_fp16_overflow 0
		.amdhsa_workgroup_processor_mode 1
		.amdhsa_memory_ordered 1
		.amdhsa_forward_progress 0
		.amdhsa_shared_vgpr_count 0
		.amdhsa_exception_fp_ieee_invalid_op 0
		.amdhsa_exception_fp_denorm_src 0
		.amdhsa_exception_fp_ieee_div_zero 0
		.amdhsa_exception_fp_ieee_overflow 0
		.amdhsa_exception_fp_ieee_underflow 0
		.amdhsa_exception_fp_ieee_inexact 0
		.amdhsa_exception_int_div_zero 0
	.end_amdhsa_kernel
	.section	.text._Z39paged_attention_ll4mi_QKV_mfma16_kernelIDF16_hLN4vllm18Fp8KVCacheDataTypeE1EDF16_Li16ELi64ELi256ELb1ELi13EL8MFMAType0EEvPKT_PKT0_S8_ifPKiSA_SA_iPKfiiiPfSD_PS3_PT2_iSC_SC_,"axG",@progbits,_Z39paged_attention_ll4mi_QKV_mfma16_kernelIDF16_hLN4vllm18Fp8KVCacheDataTypeE1EDF16_Li16ELi64ELi256ELb1ELi13EL8MFMAType0EEvPKT_PKT0_S8_ifPKiSA_SA_iPKfiiiPfSD_PS3_PT2_iSC_SC_,comdat
.Lfunc_end1130:
	.size	_Z39paged_attention_ll4mi_QKV_mfma16_kernelIDF16_hLN4vllm18Fp8KVCacheDataTypeE1EDF16_Li16ELi64ELi256ELb1ELi13EL8MFMAType0EEvPKT_PKT0_S8_ifPKiSA_SA_iPKfiiiPfSD_PS3_PT2_iSC_SC_, .Lfunc_end1130-_Z39paged_attention_ll4mi_QKV_mfma16_kernelIDF16_hLN4vllm18Fp8KVCacheDataTypeE1EDF16_Li16ELi64ELi256ELb1ELi13EL8MFMAType0EEvPKT_PKT0_S8_ifPKiSA_SA_iPKfiiiPfSD_PS3_PT2_iSC_SC_
                                        ; -- End function
	.section	.AMDGPU.csdata,"",@progbits
; Kernel info:
; codeLenInByte = 6692
; NumSgprs: 39
; NumVgprs: 146
; ScratchSize: 0
; MemoryBound: 0
; FloatMode: 240
; IeeeMode: 1
; LDSByteSize: 17472 bytes/workgroup (compile time only)
; SGPRBlocks: 4
; VGPRBlocks: 18
; NumSGPRsForWavesPerEU: 39
; NumVGPRsForWavesPerEU: 146
; Occupancy: 9
; WaveLimiterHint : 1
; COMPUTE_PGM_RSRC2:SCRATCH_EN: 0
; COMPUTE_PGM_RSRC2:USER_SGPR: 13
; COMPUTE_PGM_RSRC2:TRAP_HANDLER: 0
; COMPUTE_PGM_RSRC2:TGID_X_EN: 1
; COMPUTE_PGM_RSRC2:TGID_Y_EN: 1
; COMPUTE_PGM_RSRC2:TGID_Z_EN: 1
; COMPUTE_PGM_RSRC2:TIDIG_COMP_CNT: 0
	.section	.text._Z39paged_attention_ll4mi_QKV_mfma16_kernelIDF16_hLN4vllm18Fp8KVCacheDataTypeE1EDF16_Li16ELi64ELi256ELb1ELi14EL8MFMAType0EEvPKT_PKT0_S8_ifPKiSA_SA_iPKfiiiPfSD_PS3_PT2_iSC_SC_,"axG",@progbits,_Z39paged_attention_ll4mi_QKV_mfma16_kernelIDF16_hLN4vllm18Fp8KVCacheDataTypeE1EDF16_Li16ELi64ELi256ELb1ELi14EL8MFMAType0EEvPKT_PKT0_S8_ifPKiSA_SA_iPKfiiiPfSD_PS3_PT2_iSC_SC_,comdat
	.protected	_Z39paged_attention_ll4mi_QKV_mfma16_kernelIDF16_hLN4vllm18Fp8KVCacheDataTypeE1EDF16_Li16ELi64ELi256ELb1ELi14EL8MFMAType0EEvPKT_PKT0_S8_ifPKiSA_SA_iPKfiiiPfSD_PS3_PT2_iSC_SC_ ; -- Begin function _Z39paged_attention_ll4mi_QKV_mfma16_kernelIDF16_hLN4vllm18Fp8KVCacheDataTypeE1EDF16_Li16ELi64ELi256ELb1ELi14EL8MFMAType0EEvPKT_PKT0_S8_ifPKiSA_SA_iPKfiiiPfSD_PS3_PT2_iSC_SC_
	.globl	_Z39paged_attention_ll4mi_QKV_mfma16_kernelIDF16_hLN4vllm18Fp8KVCacheDataTypeE1EDF16_Li16ELi64ELi256ELb1ELi14EL8MFMAType0EEvPKT_PKT0_S8_ifPKiSA_SA_iPKfiiiPfSD_PS3_PT2_iSC_SC_
	.p2align	8
	.type	_Z39paged_attention_ll4mi_QKV_mfma16_kernelIDF16_hLN4vllm18Fp8KVCacheDataTypeE1EDF16_Li16ELi64ELi256ELb1ELi14EL8MFMAType0EEvPKT_PKT0_S8_ifPKiSA_SA_iPKfiiiPfSD_PS3_PT2_iSC_SC_,@function
_Z39paged_attention_ll4mi_QKV_mfma16_kernelIDF16_hLN4vllm18Fp8KVCacheDataTypeE1EDF16_Li16ELi64ELi256ELb1ELi14EL8MFMAType0EEvPKT_PKT0_S8_ifPKiSA_SA_iPKfiiiPfSD_PS3_PT2_iSC_SC_: ; @_Z39paged_attention_ll4mi_QKV_mfma16_kernelIDF16_hLN4vllm18Fp8KVCacheDataTypeE1EDF16_Li16ELi64ELi256ELb1ELi14EL8MFMAType0EEvPKT_PKT0_S8_ifPKiSA_SA_iPKfiiiPfSD_PS3_PT2_iSC_SC_
; %bb.0:
	s_load_b64 s[2:3], s[0:1], 0x30
	s_mov_b32 s34, s13
	s_waitcnt lgkmcnt(0)
	s_cmp_lg_u64 s[2:3], 0
	s_cselect_b32 s6, -1, 0
	s_ashr_i32 s35, s13, 31
	s_cmp_eq_u64 s[2:3], 0
	s_cbranch_scc1 .LBB1131_3
; %bb.1:
	s_lshl_b64 s[4:5], s[34:35], 2
	s_delay_alu instid0(SALU_CYCLE_1) | instskip(SKIP_4) | instid1(SALU_CYCLE_1)
	s_add_u32 s4, s2, s4
	s_addc_u32 s5, s3, s5
	s_load_b64 s[4:5], s[4:5], 0x0
	s_waitcnt lgkmcnt(0)
	s_sub_i32 s4, s5, s4
	s_cmp_eq_u32 s4, 1
	s_cselect_b32 s4, -1, 0
	s_delay_alu instid0(SALU_CYCLE_1)
	s_and_not1_b32 vcc_lo, exec_lo, s4
	s_cbranch_vccz .LBB1131_4
.LBB1131_2:
	s_endpgm
.LBB1131_3:
.LBB1131_4:
	s_load_b64 s[8:9], s[0:1], 0x28
	s_lshl_b64 s[4:5], s[34:35], 2
	s_waitcnt lgkmcnt(0)
	s_add_u32 s8, s8, s4
	s_addc_u32 s9, s9, s5
	s_lshl_b32 s16, s14, 8
	s_load_b32 s18, s[8:9], 0x0
	s_waitcnt lgkmcnt(0)
	s_cmp_ge_i32 s16, s18
	s_cbranch_scc1 .LBB1131_2
; %bb.5:
	s_clause 0x1
	s_load_b128 s[8:11], s[0:1], 0x8
	s_load_b64 s[12:13], s[0:1], 0x20
	s_and_not1_b32 vcc_lo, exec_lo, s6
	s_cbranch_vccnz .LBB1131_7
; %bb.6:
	s_add_u32 s2, s2, s4
	s_addc_u32 s3, s3, s5
	s_load_b32 s3, s[2:3], 0x0
	s_branch .LBB1131_8
.LBB1131_7:
	s_mov_b32 s3, s34
.LBB1131_8:
	s_load_b128 s[4:7], s[0:1], 0x48
	v_and_b32_e32 v68, 15, v0
	v_cmp_gt_u32_e32 vcc_lo, 0xe0, v0
	v_lshrrev_b32_e32 v69, 5, v0
	v_and_b32_e32 v70, 31, v0
	v_and_b32_e32 v67, 1, v0
	v_lshlrev_b32_e32 v1, 3, v68
	v_cmp_gt_u32_e64 s2, 8, v68
	v_bfe_u32 v66, v0, 4, 1
	s_mul_i32 s31, s15, 14
	s_delay_alu instid0(VALU_DEP_3) | instskip(NEXT) | instid1(VALU_DEP_3)
	v_lshlrev_b32_e32 v65, 1, v1
	s_and_b32 s17, vcc_lo, s2
	s_waitcnt lgkmcnt(0)
	s_and_saveexec_b32 s7, s17
	s_cbranch_execz .LBB1131_10
; %bb.9:
	s_load_b64 s[20:21], s[0:1], 0x0
	v_lshl_or_b32 v5, v69, 1, v66
	s_mul_hi_i32 s23, s3, s4
	s_mul_i32 s22, s3, s4
	v_lshlrev_b32_e32 v6, 10, v68
	s_lshl_b64 s[22:23], s[22:23], 1
	v_add_lshl_u32 v1, v5, s31, 6
	v_lshlrev_b32_e32 v5, 6, v5
	v_lshlrev_b32_e32 v7, 10, v67
	v_and_b32_e32 v6, 0x3800, v6
	s_delay_alu instid0(VALU_DEP_4) | instskip(NEXT) | instid1(VALU_DEP_2)
	v_ashrrev_i32_e32 v2, 31, v1
	v_or3_b32 v5, v6, v7, v5
	s_delay_alu instid0(VALU_DEP_2) | instskip(SKIP_3) | instid1(VALU_DEP_1)
	v_lshlrev_b64 v[1:2], 1, v[1:2]
	s_waitcnt lgkmcnt(0)
	s_add_u32 s3, s20, s22
	s_addc_u32 s4, s21, s23
	v_add_co_u32 v1, vcc_lo, s3, v1
	s_delay_alu instid0(VALU_DEP_2) | instskip(NEXT) | instid1(VALU_DEP_2)
	v_add_co_ci_u32_e32 v2, vcc_lo, s4, v2, vcc_lo
	v_add_co_u32 v1, vcc_lo, v1, v65
	s_delay_alu instid0(VALU_DEP_2)
	v_add_co_ci_u32_e32 v2, vcc_lo, 0, v2, vcc_lo
	global_load_b128 v[1:4], v[1:2], off
	s_waitcnt vmcnt(0)
	ds_store_b128 v5, v[1:4]
.LBB1131_10:
	s_or_b32 exec_lo, exec_lo, s7
	v_and_b32_e32 v1, 0xef, v0
	s_add_i32 s3, s18, 15
	s_clause 0x1
	s_load_b32 s4, s[0:1], 0x38
	s_load_b32 s33, s[0:1], 0x98
	s_ashr_i32 s7, s3, 31
	v_add_nc_u32_e32 v1, s16, v1
	s_lshr_b32 s7, s7, 28
	s_load_b32 s19, s[0:1], 0x1c
	v_add_nc_u32_e32 v103, -14, v68
	s_add_i32 s3, s3, s7
	v_ashrrev_i32_e32 v2, 31, v1
	v_or_b32_e32 v3, 16, v1
	s_ashr_i32 s3, s3, 4
	v_cmp_gt_i32_e32 vcc_lo, s18, v1
	s_add_i32 s3, s3, -1
	v_lshrrev_b32_e32 v2, 28, v2
	s_waitcnt lgkmcnt(0)
	s_barrier
	buffer_gl0_inv
	s_mul_i32 s15, s15, s6
	v_add_nc_u32_e32 v4, v1, v2
	v_mbcnt_lo_u32_b32 v127, -1, 0
	s_mul_i32 s20, s34, s4
	s_delay_alu instid0(SALU_CYCLE_1) | instskip(NEXT) | instid1(VALU_DEP_2)
	s_ashr_i32 s21, s20, 31
	v_ashrrev_i32_e32 v4, 4, v4
	v_add_nc_u32_e32 v2, v3, v2
	s_lshl_b64 s[20:21], s[20:21], 2
	v_xor_b32_e32 v128, 16, v127
	s_add_u32 s17, s12, s20
	v_cndmask_b32_e32 v1, s3, v4, vcc_lo
	v_ashrrev_i32_e32 v2, 4, v2
	v_cmp_gt_i32_e32 vcc_lo, s18, v3
	s_addc_u32 s13, s13, s21
	s_ashr_i32 s20, s15, 31
	s_add_u32 s4, s8, s15
	s_addc_u32 s12, s9, s20
	v_cndmask_b32_e32 v3, s3, v2, vcc_lo
	v_ashrrev_i32_e32 v2, 31, v1
	s_lshl_b32 s6, s14, 4
	s_delay_alu instid0(SALU_CYCLE_1) | instskip(NEXT) | instid1(VALU_DEP_2)
	s_ashr_i32 s7, s6, 31
	v_ashrrev_i32_e32 v4, 31, v3
	s_delay_alu instid0(VALU_DEP_2) | instskip(SKIP_1) | instid1(SALU_CYCLE_1)
	v_lshlrev_b64 v[1:2], 2, v[1:2]
	s_lshl_b64 s[6:7], s[6:7], 2
	s_add_u32 s6, s17, s6
	s_delay_alu instid0(VALU_DEP_2) | instskip(SKIP_1) | instid1(VALU_DEP_2)
	v_lshlrev_b64 v[3:4], 2, v[3:4]
	s_addc_u32 s7, s13, s7
	v_add_co_u32 v1, vcc_lo, s17, v1
	v_add_co_ci_u32_e32 v2, vcc_lo, s13, v2, vcc_lo
	s_delay_alu instid0(VALU_DEP_3) | instskip(NEXT) | instid1(VALU_DEP_4)
	v_add_co_u32 v3, vcc_lo, s17, v3
	v_add_co_ci_u32_e32 v4, vcc_lo, s13, v4, vcc_lo
	s_clause 0x1
	global_load_b32 v5, v[1:2], off
	global_load_b32 v7, v[3:4], off
	s_or_b32 s8, s16, 32
	v_lshlrev_b32_e32 v1, 4, v0
	s_ashr_i32 s9, s8, 4
	s_cmp_lt_i32 s8, s18
	v_cmp_gt_u32_e32 vcc_lo, 14, v68
	s_cselect_b32 s8, s9, s3
	v_and_b32_e32 v1, 0xf0, v1
	s_ashr_i32 s9, s8, 31
	s_delay_alu instid0(SALU_CYCLE_1)
	s_lshl_b64 s[8:9], s[8:9], 2
	v_cndmask_b32_e32 v103, v103, v68, vcc_lo
	s_add_u32 s8, s17, s8
	s_addc_u32 s9, s13, s9
	s_or_b32 s21, s16, 64
	v_add_co_u32 v1, s4, s4, v1
	s_ashr_i32 s22, s21, 4
	s_cmp_lt_i32 s21, s18
	v_add_co_ci_u32_e64 v2, null, s12, 0, s4
	s_cselect_b32 s22, s22, s3
	v_cmp_gt_i32_e32 vcc_lo, 32, v128
	s_ashr_i32 s23, s22, 31
	v_lshlrev_b32_e32 v115, 6, v103
	s_lshl_b64 s[22:23], s[22:23], 2
	v_cndmask_b32_e32 v136, v127, v128, vcc_lo
	s_add_u32 s22, s17, s22
	s_addc_u32 s23, s13, s23
	s_or_b32 s21, s16, 0x60
	s_delay_alu instid0(SALU_CYCLE_1) | instskip(SKIP_2) | instid1(SALU_CYCLE_1)
	s_ashr_i32 s24, s21, 4
	s_cmp_lt_i32 s21, s18
	s_cselect_b32 s24, s24, s3
	s_ashr_i32 s25, s24, 31
	s_delay_alu instid0(SALU_CYCLE_1) | instskip(NEXT) | instid1(SALU_CYCLE_1)
	s_lshl_b64 s[24:25], s[24:25], 2
	s_add_u32 s24, s17, s24
	s_addc_u32 s25, s13, s25
	s_or_b32 s21, s16, 0x80
	s_delay_alu instid0(SALU_CYCLE_1) | instskip(SKIP_2) | instid1(SALU_CYCLE_1)
	s_ashr_i32 s26, s21, 4
	s_cmp_lt_i32 s21, s18
	s_cselect_b32 s26, s26, s3
	s_ashr_i32 s27, s26, 31
	s_delay_alu instid0(SALU_CYCLE_1) | instskip(NEXT) | instid1(SALU_CYCLE_1)
	s_lshl_b64 s[26:27], s[26:27], 2
	;; [unrolled: 10-line block ×3, first 2 shown]
	s_add_u32 s28, s17, s28
	s_addc_u32 s29, s13, s29
	s_clause 0x5
	s_load_b32 s12, s[6:7], 0x0
	s_load_b32 s4, s[8:9], 0x0
	;; [unrolled: 1-line block ×6, first 2 shown]
	s_or_b32 s21, s16, 0xc0
	s_delay_alu instid0(SALU_CYCLE_1) | instskip(SKIP_2) | instid1(SALU_CYCLE_1)
	s_ashr_i32 s22, s21, 4
	s_cmp_lt_i32 s21, s18
	s_cselect_b32 s22, s22, s3
	s_ashr_i32 s23, s22, 31
	s_delay_alu instid0(SALU_CYCLE_1) | instskip(NEXT) | instid1(SALU_CYCLE_1)
	s_lshl_b64 s[22:23], s[22:23], 2
	s_add_u32 s22, s17, s22
	s_addc_u32 s23, s13, s23
	s_or_b32 s21, s16, 0xe0
	s_delay_alu instid0(SALU_CYCLE_1) | instskip(SKIP_2) | instid1(SALU_CYCLE_1)
	s_ashr_i32 s24, s21, 4
	s_cmp_lt_i32 s21, s18
	s_cselect_b32 s24, s24, s3
	s_ashr_i32 s25, s24, 31
	s_delay_alu instid0(SALU_CYCLE_1)
	s_lshl_b64 s[24:25], s[24:25], 2
	s_waitcnt vmcnt(1)
	v_mad_i64_i32 v[3:4], null, v5, s5, v[1:2]
	s_waitcnt vmcnt(0)
	v_mad_i64_i32 v[5:6], null, v7, s5, v[1:2]
	v_lshlrev_b32_e32 v1, 4, v68
	s_clause 0x7
	global_load_b128 v[71:74], v[3:4], off
	global_load_b128 v[75:78], v[3:4], off offset:256
	global_load_b128 v[79:82], v[5:6], off
	global_load_b128 v[83:86], v[5:6], off offset:256
	global_load_b128 v[87:90], v[3:4], off offset:512
	;; [unrolled: 1-line block ×5, first 2 shown]
	v_lshl_or_b32 v1, v69, 8, v1
	s_load_b32 s3, s[22:23], 0x0
	s_add_u32 s22, s17, s24
	s_addc_u32 s23, s13, s25
	s_add_u32 s10, s10, s15
	s_addc_u32 s11, s11, s20
	v_add_co_u32 v1, s10, s10, v1
	s_delay_alu instid0(VALU_DEP_1) | instskip(SKIP_2) | instid1(VALU_DEP_1)
	v_add_co_ci_u32_e64 v2, null, s11, 0, s10
	s_load_b32 s10, s[22:23], 0x0
	s_waitcnt lgkmcnt(0)
	v_mad_i64_i32 v[3:4], null, s12, s5, v[1:2]
	v_mad_i64_i32 v[9:10], null, s7, s5, v[1:2]
	;; [unrolled: 1-line block ×7, first 2 shown]
	s_clause 0x5
	global_load_b128 v[49:52], v[3:4], off
	global_load_b128 v[53:56], v[3:4], off offset:16
	global_load_b128 v[41:44], v[5:6], off
	global_load_b128 v[45:48], v[5:6], off offset:16
	;; [unrolled: 2-line block ×3, first 2 shown]
	s_mov_b32 s4, 0
	v_mad_i64_i32 v[61:62], null, s10, s5, v[1:2]
	s_clause 0x9
	global_load_b128 v[1:4], v[9:10], off
	global_load_b128 v[5:8], v[9:10], off offset:16
	global_load_b128 v[9:12], v[13:14], off
	global_load_b128 v[13:16], v[13:14], off offset:16
	global_load_b128 v[17:20], v[21:22], off
	global_load_b128 v[21:24], v[21:22], off offset:16
	global_load_b128 v[25:28], v[29:30], off
	global_load_b128 v[29:32], v[29:30], off offset:16
	global_load_b128 v[57:60], v[61:62], off
	global_load_b128 v[61:64], v[61:62], off offset:16
	s_mov_b32 s5, s4
	s_mov_b32 s6, s4
	s_mov_b32 s7, s4
	s_mov_b32 s8, s4
	s_mov_b32 s9, s4
	s_mov_b32 s10, s4
	s_mov_b32 s11, s4
	v_and_b32_e32 v104, 0xe0, v0
	v_dual_mov_b32 v126, s11 :: v_dual_mov_b32 v125, s10
	v_dual_mov_b32 v124, s9 :: v_dual_mov_b32 v123, s8
	s_delay_alu instid0(VALU_DEP_3)
	v_add_nc_u32_e32 v111, s16, v104
	ds_load_b128 v[103:106], v115
	ds_load_b128 v[107:110], v115 offset:1024
	v_dual_mov_b32 v122, s7 :: v_dual_mov_b32 v121, s6
	v_mov_b32_e32 v120, s5
	v_or_b32_e32 v135, v111, v66
	ds_load_b128 v[111:114], v115 offset:2048
	ds_load_b128 v[115:118], v115 offset:3072
	v_mov_b32_e32 v119, s4
	s_waitcnt vmcnt(0) lgkmcnt(0)
	s_barrier
	v_or_b32_e32 v137, 2, v135
	v_or_b32_e32 v138, 4, v135
	;; [unrolled: 1-line block ×3, first 2 shown]
	v_cmp_gt_i32_e32 vcc_lo, s18, v135
	v_or_b32_e32 v140, 8, v135
	v_cmp_gt_i32_e64 s3, s18, v137
	v_or_b32_e32 v141, 10, v135
	v_cmp_gt_i32_e64 s4, s18, v138
	v_cmp_gt_i32_e64 s5, s18, v139
	v_or_b32_e32 v142, 12, v135
	v_or_b32_e32 v143, 14, v135
	v_cmp_gt_i32_e64 s6, s18, v140
	v_cmp_gt_i32_e64 s7, s18, v141
	v_or_b32_e32 v144, 16, v135
	v_or_b32_e32 v145, 18, v135
	v_cmp_gt_i32_e64 s8, s18, v142
	v_cmp_gt_i32_e64 s9, s18, v143
	buffer_gl0_inv
	v_cmp_gt_i32_e64 s10, s18, v144
	v_cmp_gt_i32_e64 s11, s18, v145
	v_wmma_f32_16x16x16_f16 v[127:134], v[71:78], v[103:110], v[119:126]
	v_wmma_f32_16x16x16_f16 v[119:126], v[79:86], v[103:110], v[119:126]
	v_or_b32_e32 v71, 20, v135
	v_or_b32_e32 v72, 22, v135
	s_delay_alu instid0(VALU_DEP_4)
	v_wmma_f32_16x16x16_f16 v[127:134], v[87:94], v[111:118], v[127:134]
	v_or_b32_e32 v73, 24, v135
	v_wmma_f32_16x16x16_f16 v[119:126], v[95:102], v[111:118], v[119:126]
	v_or_b32_e32 v74, 26, v135
	v_cmp_gt_i32_e64 s12, s18, v71
	v_dual_mul_f32 v83, s19, v128 :: v_dual_mul_f32 v84, s19, v127
	v_dual_mul_f32 v81, s19, v130 :: v_dual_mul_f32 v82, s19, v129
	;; [unrolled: 1-line block ×3, first 2 shown]
	s_delay_alu instid0(VALU_DEP_3) | instskip(NEXT) | instid1(VALU_DEP_4)
	v_cndmask_b32_e32 v84, 0xff7fffff, v84, vcc_lo
	v_cndmask_b32_e64 v83, 0xff7fffff, v83, s3
	v_mul_f32_e32 v80, s19, v131
	v_cndmask_b32_e64 v82, 0xff7fffff, v82, s4
	v_cndmask_b32_e64 v81, 0xff7fffff, v81, s5
	v_dual_mul_f32 v77, s19, v134 :: v_dual_mul_f32 v90, s19, v121
	v_max3_f32 v83, v84, 0xff7fffff, v83
	v_mul_f32_e32 v78, s19, v133
	v_cndmask_b32_e64 v80, 0xff7fffff, v80, s6
	v_cndmask_b32_e64 v79, 0xff7fffff, v79, s7
	v_mul_f32_e32 v91, s19, v120
	v_max3_f32 v81, v83, v82, v81
	v_cndmask_b32_e64 v78, 0xff7fffff, v78, s8
	v_cndmask_b32_e64 v77, 0xff7fffff, v77, s9
	v_mul_f32_e32 v89, s19, v122
	v_cmp_gt_i32_e64 s13, s18, v72
	v_max3_f32 v79, v81, v80, v79
	v_cndmask_b32_e64 v80, 0xff7fffff, v92, s10
	v_cndmask_b32_e64 v81, 0xff7fffff, v91, s11
	v_or_b32_e32 v75, 28, v135
	v_or_b32_e32 v76, 30, v135
	v_max3_f32 v77, v79, v78, v77
	v_dual_mul_f32 v87, s19, v124 :: v_dual_mul_f32 v88, s19, v123
	v_cndmask_b32_e64 v71, 0xff7fffff, v90, s12
	v_cndmask_b32_e64 v72, 0xff7fffff, v89, s13
	s_delay_alu instid0(VALU_DEP_4) | instskip(SKIP_3) | instid1(VALU_DEP_4)
	v_max3_f32 v77, v77, v80, v81
	v_cmp_gt_i32_e64 s15, s18, v73
	v_cmp_gt_i32_e64 s16, s18, v74
	v_dual_mul_f32 v85, s19, v126 :: v_dual_mul_f32 v86, s19, v125
	v_max3_f32 v71, v77, v71, v72
	s_delay_alu instid0(VALU_DEP_4) | instskip(NEXT) | instid1(VALU_DEP_4)
	v_cndmask_b32_e64 v73, 0xff7fffff, v88, s15
	v_cndmask_b32_e64 v74, 0xff7fffff, v87, s16
	v_cmp_gt_i32_e64 s17, s18, v75
	v_cmp_gt_i32_e64 s18, s18, v76
	s_delay_alu instid0(VALU_DEP_3) | instskip(NEXT) | instid1(VALU_DEP_3)
	v_max3_f32 v71, v71, v73, v74
	v_cndmask_b32_e64 v72, 0xff7fffff, v86, s17
	s_delay_alu instid0(VALU_DEP_3) | instskip(SKIP_1) | instid1(VALU_DEP_2)
	v_cndmask_b32_e64 v75, 0xff7fffff, v85, s18
	v_lshlrev_b32_e32 v73, 2, v136
	v_max3_f32 v71, v71, v72, v75
	ds_bpermute_b32 v72, v73, v71
	s_waitcnt lgkmcnt(0)
	v_max_f32_e32 v72, v72, v72
	s_delay_alu instid0(VALU_DEP_1) | instskip(NEXT) | instid1(VALU_DEP_1)
	v_max_f32_e32 v71, v71, v72
	v_fma_f32 v72, s19, v127, -v71
	v_fma_f32 v74, s19, v128, -v71
	;; [unrolled: 1-line block ×5, first 2 shown]
	v_mul_f32_e32 v72, 0x3fb8aa3b, v72
	s_delay_alu instid0(VALU_DEP_4) | instskip(NEXT) | instid1(VALU_DEP_4)
	v_dual_mul_f32 v74, 0x3fb8aa3b, v74 :: v_dual_mul_f32 v75, 0x3fb8aa3b, v75
	v_mul_f32_e32 v76, 0x3fb8aa3b, v76
	s_delay_alu instid0(VALU_DEP_4) | instskip(NEXT) | instid1(VALU_DEP_4)
	v_mul_f32_e32 v82, 0x3fb8aa3b, v80
	v_exp_f32_e32 v72, v72
	s_delay_alu instid0(VALU_DEP_3)
	v_exp_f32_e32 v74, v74
	v_exp_f32_e32 v75, v75
	v_exp_f32_e32 v76, v76
	v_fma_f32 v77, s19, v131, -v71
	v_exp_f32_e32 v84, v82
	v_cndmask_b32_e32 v79, 0, v72, vcc_lo
	v_cndmask_b32_e64 v78, 0, v74, s3
	s_delay_alu instid0(TRANS32_DEP_3) | instskip(SKIP_1) | instid1(TRANS32_DEP_2)
	v_cndmask_b32_e64 v81, 0, v75, s4
	v_fma_f32 v72, s19, v132, -v71
	v_cndmask_b32_e64 v80, 0, v76, s5
	v_add_f32_e32 v74, 0, v79
	s_delay_alu instid0(TRANS32_DEP_1) | instskip(SKIP_2) | instid1(VALU_DEP_3)
	v_cndmask_b32_e64 v85, 0, v84, s8
	s_mov_b32 s3, exec_lo
	v_mul_f32_e32 v72, 0x3fb8aa3b, v72
	v_add_f32_e32 v74, v74, v78
	s_delay_alu instid0(VALU_DEP_2) | instskip(NEXT) | instid1(VALU_DEP_1)
	v_exp_f32_e32 v72, v72
	v_add_f32_e32 v74, v74, v81
	s_delay_alu instid0(VALU_DEP_1) | instskip(NEXT) | instid1(VALU_DEP_1)
	v_dual_mul_f32 v77, 0x3fb8aa3b, v77 :: v_dual_add_f32 v74, v74, v80
	v_exp_f32_e32 v77, v77
	s_waitcnt_depctr 0xfff
	v_cndmask_b32_e64 v82, 0, v72, s7
	v_cndmask_b32_e64 v83, 0, v77, s6
	s_delay_alu instid0(VALU_DEP_1) | instskip(SKIP_4) | instid1(VALU_DEP_4)
	v_add_f32_e32 v72, v74, v83
	v_fma_f32 v75, s19, v134, -v71
	v_fma_f32 v76, s19, v119, -v71
	;; [unrolled: 1-line block ×4, first 2 shown]
	v_dual_add_f32 v72, v72, v82 :: v_dual_mul_f32 v75, 0x3fb8aa3b, v75
	s_delay_alu instid0(VALU_DEP_3) | instskip(NEXT) | instid1(VALU_DEP_3)
	v_dual_mul_f32 v76, 0x3fb8aa3b, v76 :: v_dual_mul_f32 v77, 0x3fb8aa3b, v77
	v_mul_f32_e32 v74, 0x3fb8aa3b, v74
	v_fma_f32 v86, s19, v122, -v71
	s_delay_alu instid0(VALU_DEP_4) | instskip(NEXT) | instid1(VALU_DEP_3)
	v_exp_f32_e32 v75, v75
	v_exp_f32_e32 v76, v76
	;; [unrolled: 1-line block ×4, first 2 shown]
	v_mul_f32_e32 v86, 0x3fb8aa3b, v86
	s_delay_alu instid0(VALU_DEP_1)
	v_exp_f32_e32 v88, v86
	v_cndmask_b32_e64 v84, 0, v75, s9
	v_fma_f32 v75, s19, v123, -v71
	v_add_f32_e32 v72, v72, v85
	v_cndmask_b32_e64 v87, 0, v76, s10
	v_fma_f32 v76, s19, v124, -v71
	s_delay_alu instid0(TRANS32_DEP_3) | instskip(NEXT) | instid1(VALU_DEP_4)
	v_cndmask_b32_e64 v86, 0, v77, s11
	v_dual_mul_f32 v75, 0x3fb8aa3b, v75 :: v_dual_add_f32 v72, v72, v84
	v_fma_f32 v77, s19, v125, -v71
	s_delay_alu instid0(VALU_DEP_4) | instskip(SKIP_1) | instid1(VALU_DEP_4)
	v_mul_f32_e32 v76, 0x3fb8aa3b, v76
	v_cndmask_b32_e64 v89, 0, v74, s12
	v_exp_f32_e32 v75, v75
	v_add_f32_e32 v72, v72, v87
	v_mul_f32_e32 v74, 0x3fb8aa3b, v77
	v_exp_f32_e32 v76, v76
	v_cndmask_b32_e64 v88, 0, v88, s13
	v_fma_f32 v77, s19, v126, -v71
	v_add_f32_e32 v72, v72, v86
	v_exp_f32_e32 v74, v74
	s_delay_alu instid0(TRANS32_DEP_3) | instskip(NEXT) | instid1(VALU_DEP_2)
	v_cndmask_b32_e64 v91, 0, v75, s15
	v_add_f32_e32 v72, v72, v89
	v_mul_f32_e32 v75, 0x3fb8aa3b, v77
	s_delay_alu instid0(TRANS32_DEP_2) | instskip(NEXT) | instid1(VALU_DEP_3)
	v_cndmask_b32_e64 v90, 0, v76, s16
	v_add_f32_e32 v72, v72, v88
	s_delay_alu instid0(VALU_DEP_3) | instskip(NEXT) | instid1(TRANS32_DEP_2)
	v_exp_f32_e32 v75, v75
	v_cndmask_b32_e64 v93, 0, v74, s17
	s_delay_alu instid0(VALU_DEP_2) | instskip(NEXT) | instid1(VALU_DEP_1)
	v_add_f32_e32 v72, v72, v91
	v_add_f32_e32 v72, v72, v90
	s_waitcnt_depctr 0xfff
	v_cndmask_b32_e64 v92, 0, v75, s18
	v_add_f32_e32 v72, v72, v93
	s_delay_alu instid0(VALU_DEP_1)
	v_add_f32_e32 v72, v72, v92
	ds_bpermute_b32 v73, v73, v72
	v_cmpx_gt_u32_e32 16, v70
	s_cbranch_execz .LBB1131_12
; %bb.11:
	v_mul_u32_u24_e32 v70, 0x44, v69
	s_waitcnt lgkmcnt(0)
	v_add_f32_e32 v72, v72, v73
	s_delay_alu instid0(VALU_DEP_2) | instskip(NEXT) | instid1(VALU_DEP_1)
	v_lshl_add_u32 v70, v68, 2, v70
	v_add_nc_u32_e32 v70, 0x4000, v70
	ds_store_2addr_b32 v70, v71, v72 offset1:136
.LBB1131_12:
	s_or_b32 exec_lo, exec_lo, s3
	v_lshlrev_b32_e32 v70, 2, v68
	s_load_b32 s35, s[0:1], 0x94
	s_waitcnt lgkmcnt(0)
	s_barrier
	buffer_gl0_inv
	v_add_nc_u32_e32 v98, 0x4000, v70
	v_cmp_eq_u32_e32 vcc_lo, 1, v69
	v_cmp_eq_u32_e64 s3, 2, v69
	v_cmp_eq_u32_e64 s4, 3, v69
	;; [unrolled: 1-line block ×3, first 2 shown]
	ds_load_2addr_b32 v[70:71], v98 offset1:17
	ds_load_2addr_b32 v[72:73], v98 offset0:34 offset1:51
	ds_load_2addr_b32 v[74:75], v98 offset0:68 offset1:85
	;; [unrolled: 1-line block ×3, first 2 shown]
	v_cmp_eq_u32_e64 s6, 5, v69
	v_cmp_eq_u32_e64 s7, 7, v69
	s_waitcnt lgkmcnt(3)
	v_max3_f32 v76, v70, 0xff7fffff, v71
	s_waitcnt lgkmcnt(2)
	s_delay_alu instid0(VALU_DEP_1) | instskip(SKIP_1) | instid1(VALU_DEP_1)
	v_max3_f32 v76, v76, v72, v73
	s_waitcnt lgkmcnt(1)
	v_max3_f32 v76, v76, v74, v75
	s_waitcnt lgkmcnt(0)
	s_delay_alu instid0(VALU_DEP_1) | instskip(NEXT) | instid1(VALU_DEP_1)
	v_max3_f32 v76, v76, v94, v95
	v_sub_f32_e32 v77, v71, v76
	ds_load_2addr_b32 v[96:97], v98 offset0:136 offset1:153
	v_sub_f32_e32 v74, v74, v76
	v_sub_f32_e32 v70, v70, v76
	;; [unrolled: 1-line block ×3, first 2 shown]
	v_dual_sub_f32 v72, v72, v76 :: v_dual_mul_f32 v77, 0x3fb8aa3b, v77
	s_delay_alu instid0(VALU_DEP_4) | instskip(NEXT) | instid1(VALU_DEP_4)
	v_mul_f32_e32 v103, 0x3fb8aa3b, v74
	v_mul_f32_e32 v99, 0x3fb8aa3b, v70
	ds_load_2addr_b32 v[70:71], v98 offset0:170 offset1:187
	v_dual_mul_f32 v101, 0x3fb8aa3b, v72 :: v_dual_mul_f32 v94, 0x3fb8aa3b, v94
	v_exp_f32_e32 v102, v77
	v_exp_f32_e32 v99, v99
	s_delay_alu instid0(VALU_DEP_1) | instskip(NEXT) | instid1(VALU_DEP_1)
	v_exp_f32_e32 v101, v101
	v_exp_f32_e32 v94, v94
	s_waitcnt lgkmcnt(1)
	s_delay_alu instid0(TRANS32_DEP_3)
	v_fma_f32 v77, v99, v96, 0
	v_sub_f32_e32 v100, v73, v76
	ds_load_2addr_b32 v[72:73], v98 offset0:204 offset1:221
	v_fmac_f32_e32 v77, v102, v97
	v_exp_f32_e32 v97, v103
	s_waitcnt lgkmcnt(1)
	s_delay_alu instid0(VALU_DEP_1)
	v_dual_fmac_f32 v77, v101, v70 :: v_dual_sub_f32 v96, v75, v76
	ds_load_2addr_b32 v[74:75], v98 offset0:238 offset1:255
	v_sub_f32_e32 v70, v95, v76
	s_waitcnt lgkmcnt(0)
	s_barrier
	v_mul_f32_e32 v96, 0x3fb8aa3b, v96
	buffer_gl0_inv
	v_exp_f32_e32 v95, v96
	v_mul_f32_e32 v100, 0x3fb8aa3b, v100
	s_delay_alu instid0(VALU_DEP_1) | instskip(SKIP_3) | instid1(VALU_DEP_2)
	v_exp_f32_e32 v100, v100
	s_waitcnt_depctr 0xfff
	v_dual_fmac_f32 v77, v100, v71 :: v_dual_mul_f32 v70, 0x3fb8aa3b, v70
	v_cndmask_b32_e32 v71, v99, v102, vcc_lo
	v_fmac_f32_e32 v77, v97, v72
	s_delay_alu instid0(VALU_DEP_3) | instskip(NEXT) | instid1(VALU_DEP_1)
	v_exp_f32_e32 v96, v70
	v_fmac_f32_e32 v77, v95, v73
	s_delay_alu instid0(VALU_DEP_1) | instskip(SKIP_2) | instid1(VALU_DEP_1)
	v_fmac_f32_e32 v77, v94, v74
	s_waitcnt_depctr 0xfff
	v_fmac_f32_e32 v77, v96, v75
	v_add_f32_e32 v74, 0x358637bd, v77
	s_delay_alu instid0(VALU_DEP_1) | instskip(SKIP_1) | instid1(VALU_DEP_2)
	v_div_scale_f32 v98, null, v74, v74, 1.0
	v_div_scale_f32 v99, vcc_lo, 1.0, v74, 1.0
	v_rcp_f32_e32 v103, v98
	s_waitcnt_depctr 0xfff
	v_fma_f32 v70, -v98, v103, 1.0
	s_delay_alu instid0(VALU_DEP_1) | instskip(SKIP_2) | instid1(VALU_DEP_2)
	v_fmac_f32_e32 v103, v70, v103
	v_cndmask_b32_e64 v70, v71, v101, s3
	v_cmp_eq_u32_e64 s3, 6, v69
	v_cndmask_b32_e64 v71, v70, v100, s4
	s_delay_alu instid0(VALU_DEP_4) | instskip(NEXT) | instid1(VALU_DEP_2)
	v_dual_mul_f32 v101, v99, v103 :: v_dual_lshlrev_b32 v70, 2, v66
	v_cndmask_b32_e64 v71, v71, v97, s5
	s_delay_alu instid0(VALU_DEP_2) | instskip(NEXT) | instid1(VALU_DEP_3)
	v_or_b32_e32 v72, 1, v70
	v_fma_f32 v100, -v98, v101, v99
	v_cmp_eq_u32_e64 s4, 1, v70
	v_cmp_eq_u32_e64 s5, 2, v70
	v_cndmask_b32_e64 v95, v71, v95, s6
	v_or_b32_e32 v71, 3, v70
	v_fmac_f32_e32 v101, v100, v103
	v_cmp_eq_u32_e64 s9, 1, v72
	v_cmp_eq_u32_e64 s12, 2, v72
	v_cndmask_b32_e64 v94, v95, v94, s3
	v_cmp_eq_u32_e64 s11, 1, v71
	v_fma_f32 v97, -v98, v101, v99
	v_cmp_eq_u32_e64 s16, 2, v71
	v_cmp_eq_u32_e64 s13, 3, v72
	v_cndmask_b32_e64 v94, v94, v96, s7
	v_cmp_eq_u32_e64 s18, 3, v71
	v_div_fmas_f32 v95, v97, v103, v101
	v_cmp_eq_u32_e32 vcc_lo, 3, v70
	v_cmp_eq_u32_e64 s3, 4, v70
	v_cmp_eq_u32_e64 s19, 4, v72
	;; [unrolled: 1-line block ×3, first 2 shown]
	v_div_fixup_f32 v95, v95, v74, 1.0
	v_lshlrev_b32_e32 v73, 6, v68
	v_cmp_eq_u32_e64 s6, 5, v70
	v_cmp_eq_u32_e64 s20, 5, v72
	;; [unrolled: 1-line block ×3, first 2 shown]
	v_mul_f32_e32 v102, v94, v95
	v_lshl_or_b32 v75, v69, 11, v73
	v_or_b32_e32 v69, 2, v70
	v_cmp_eq_u32_e64 s25, 6, v72
	v_cmp_eq_u32_e64 s27, 6, v71
	v_fma_mixlo_f16 v94, v102, v79, 0
	v_fma_mixlo_f16 v95, v102, v81, 0
	;; [unrolled: 1-line block ×8, first 2 shown]
	v_lshl_or_b32 v74, v66, 4, v75
	v_fma_mixhi_f16 v94, v102, v78, 0
	v_fma_mixhi_f16 v95, v102, v80, 0
	;; [unrolled: 1-line block ×8, first 2 shown]
	ds_store_b128 v74, v[94:97]
	ds_store_b128 v74, v[98:101] offset:1024
	s_waitcnt lgkmcnt(0)
	s_barrier
	buffer_gl0_inv
	ds_load_b128 v[78:81], v75
	ds_load_b128 v[82:85], v75 offset:16
	ds_load_b128 v[86:89], v75 offset:1024
	;; [unrolled: 1-line block ×3, first 2 shown]
	v_cmp_eq_u32_e64 s10, 1, v69
	v_cmp_eq_u32_e64 s15, 2, v69
	;; [unrolled: 1-line block ×11, first 2 shown]
	s_waitcnt lgkmcnt(3)
	v_lshrrev_b32_e32 v94, 16, v78
	s_waitcnt lgkmcnt(2)
	v_lshrrev_b32_e32 v98, 16, v82
	;; [unrolled: 2-line block ×4, first 2 shown]
	v_lshrrev_b32_e32 v95, 16, v79
	v_cndmask_b32_e64 v110, v78, v94, s4
	v_cndmask_b32_e64 v111, v82, v98, s4
	;; [unrolled: 1-line block ×8, first 2 shown]
	v_lshrrev_b32_e32 v99, 16, v83
	v_cndmask_b32_e64 v94, v86, v102, s4
	v_cndmask_b32_e64 v98, v90, v106, s4
	;; [unrolled: 1-line block ×15, first 2 shown]
	v_lshrrev_b32_e32 v103, 16, v87
	v_lshrrev_b32_e32 v107, 16, v91
	v_cndmask_b32_e64 v113, v115, v83, s15
	v_cndmask_b32_e64 v82, v94, v87, s5
	;; [unrolled: 1-line block ×7, first 2 shown]
	v_cndmask_b32_e32 v90, v102, v95, vcc_lo
	v_cndmask_b32_e32 v102, v106, v99, vcc_lo
	v_cndmask_b32_e64 v106, v110, v95, s13
	v_cndmask_b32_e64 v110, v111, v99, s13
	;; [unrolled: 1-line block ×4, first 2 shown]
	v_lshrrev_b32_e32 v96, 16, v80
	v_lshrrev_b32_e32 v100, 16, v84
	v_cndmask_b32_e64 v111, v112, v95, s17
	v_cndmask_b32_e64 v112, v113, v99, s17
	v_cndmask_b32_e32 v82, v82, v103, vcc_lo
	v_cndmask_b32_e32 v83, v83, v107, vcc_lo
	v_cndmask_b32_e64 v94, v94, v103, s13
	v_cndmask_b32_e64 v90, v90, v80, s3
	;; [unrolled: 1-line block ×7, first 2 shown]
	v_lshrrev_b32_e32 v104, 16, v88
	v_cndmask_b32_e64 v106, v111, v80, s21
	v_cndmask_b32_e64 v110, v112, v84, s21
	;; [unrolled: 1-line block ×11, first 2 shown]
	v_lshrrev_b32_e32 v97, 16, v81
	v_lshrrev_b32_e32 v101, 16, v85
	v_cndmask_b32_e64 v99, v106, v96, s23
	v_cndmask_b32_e64 v102, v110, v100, s23
	;; [unrolled: 1-line block ×7, first 2 shown]
	v_lshrrev_b32_e32 v105, 16, v89
	v_cndmask_b32_e64 v80, v80, v104, s6
	v_cndmask_b32_e64 v84, v84, v81, s7
	;; [unrolled: 1-line block ×16, first 2 shown]
	v_perm_b32 v81, v79, v78, 0x5040100
	v_perm_b32 v79, v95, v85, 0x5040100
	v_cndmask_b32_e64 v78, v119, v91, s15
	v_cndmask_b32_e64 v85, v117, v91, s12
	;; [unrolled: 1-line block ×3, first 2 shown]
	v_perm_b32 v80, v94, v90, 0x5040100
	v_cndmask_b32_e64 v90, v98, v103, s17
	v_cndmask_b32_e64 v86, v86, v103, s18
	;; [unrolled: 1-line block ×5, first 2 shown]
	v_lshrrev_b32_e32 v108, 16, v92
	v_cndmask_b32_e64 v90, v90, v88, s21
	v_cndmask_b32_e64 v86, v86, v88, s22
	;; [unrolled: 1-line block ×11, first 2 shown]
	v_lshrrev_b32_e32 v109, 16, v93
	v_cndmask_b32_e64 v82, v82, v93, s7
	v_cndmask_b32_e64 v88, v88, v89, s26
	;; [unrolled: 1-line block ×12, first 2 shown]
	v_perm_b32 v78, v84, v83, 0x5040100
	v_perm_b32 v85, v87, v86, 0x5040100
	;; [unrolled: 1-line block ×5, first 2 shown]
	s_mul_i32 s8, s33, 14
	s_mov_b32 s3, exec_lo
	ds_store_b128 v74, v[78:81]
	ds_store_b128 v74, v[82:85] offset:1024
	v_cmpx_gt_u32_e32 14, v0
	s_cbranch_execz .LBB1131_14
; %bb.13:
	s_mul_i32 s4, s8, s34
	s_delay_alu instid0(SALU_CYCLE_1) | instskip(SKIP_1) | instid1(VALU_DEP_1)
	v_add3_u32 v68, s4, s31, v68
	s_load_b128 s[4:7], s[0:1], 0x58
	v_mad_u64_u32 v[78:79], null, v68, s35, s[14:15]
	s_delay_alu instid0(VALU_DEP_1) | instskip(NEXT) | instid1(VALU_DEP_1)
	v_ashrrev_i32_e32 v79, 31, v78
	v_lshlrev_b64 v[78:79], 2, v[78:79]
	s_waitcnt lgkmcnt(0)
	s_delay_alu instid0(VALU_DEP_1) | instskip(NEXT) | instid1(VALU_DEP_2)
	v_add_co_u32 v80, vcc_lo, s6, v78
	v_add_co_ci_u32_e32 v81, vcc_lo, s7, v79, vcc_lo
	v_add_co_u32 v78, vcc_lo, s4, v78
	v_add_co_ci_u32_e32 v79, vcc_lo, s5, v79, vcc_lo
	global_store_b32 v[80:81], v76, off
	global_store_b32 v[78:79], v77, off
.LBB1131_14:
	s_or_b32 exec_lo, exec_lo, s3
	s_waitcnt lgkmcnt(0)
	s_waitcnt_vscnt null, 0x0
	s_barrier
	buffer_gl0_inv
	ds_load_b128 v[84:87], v73
	ds_load_b128 v[88:91], v73 offset:16
	ds_load_b128 v[96:99], v73 offset:2064
	;; [unrolled: 1-line block ×5, first 2 shown]
	v_cmp_eq_u32_e32 vcc_lo, 1, v70
	v_mov_b32_e32 v76, 0
	ds_load_b128 v[112:115], v73 offset:6160
	ds_load_b128 v[108:111], v73 offset:6144
	;; [unrolled: 1-line block ×4, first 2 shown]
	v_cmp_eq_u32_e64 s4, 1, v69
	v_cmp_eq_u32_e64 s3, 1, v72
	v_cmp_eq_u32_e64 s5, 2, v72
	v_mov_b32_e32 v77, v76
	v_mov_b32_e32 v78, v76
	;; [unrolled: 1-line block ×7, first 2 shown]
	v_cmp_eq_u32_e64 s6, 3, v72
	v_cmp_eq_u32_e64 s7, 7, v72
	s_waitcnt lgkmcnt(8)
	s_delay_alu instid0(VALU_DEP_3)
	v_wmma_f32_16x16x16_f16 v[76:83], v[49:56], v[84:91], v[76:83]
	ds_load_b128 v[53:56], v73 offset:10256
	ds_load_b128 v[49:52], v73 offset:10240
	s_waitcnt lgkmcnt(8)
	v_wmma_f32_16x16x16_f16 v[76:83], v[41:48], v[92:99], v[76:83]
	ds_load_b128 v[45:48], v73 offset:12304
	ds_load_b128 v[41:44], v73 offset:12288
	s_waitcnt lgkmcnt(8)
	v_wmma_f32_16x16x16_f16 v[76:83], v[33:40], v[100:107], v[76:83]
	ds_load_b128 v[37:40], v73 offset:14352
	ds_load_b128 v[33:36], v73 offset:14336
	s_waitcnt lgkmcnt(0)
	s_barrier
	buffer_gl0_inv
	v_wmma_f32_16x16x16_f16 v[76:83], v[1:8], v[108:115], v[76:83]
	s_delay_alu instid0(VALU_DEP_1) | instskip(NEXT) | instid1(VALU_DEP_1)
	v_wmma_f32_16x16x16_f16 v[76:83], v[9:16], v[116:123], v[76:83]
	v_wmma_f32_16x16x16_f16 v[76:83], v[17:24], v[49:56], v[76:83]
	s_delay_alu instid0(VALU_DEP_1) | instskip(NEXT) | instid1(VALU_DEP_1)
	v_wmma_f32_16x16x16_f16 v[76:83], v[25:32], v[41:48], v[76:83]
	v_wmma_f32_16x16x16_f16 v[76:83], v[57:64], v[33:40], v[76:83]
	s_delay_alu instid0(VALU_DEP_1) | instskip(NEXT) | instid1(VALU_DEP_2)
	v_cvt_f16_f32_e32 v1, v76
	v_cvt_f16_f32_e32 v2, v77
	s_delay_alu instid0(VALU_DEP_3) | instskip(NEXT) | instid1(VALU_DEP_4)
	v_cvt_f16_f32_e32 v3, v78
	v_cvt_f16_f32_e32 v4, v79
	;; [unrolled: 1-line block ×6, first 2 shown]
	v_pack_b32_f16 v1, v1, v2
	v_pack_b32_f16 v2, v3, v4
	;; [unrolled: 1-line block ×3, first 2 shown]
	s_delay_alu instid0(VALU_DEP_4)
	v_pack_b32_f16 v4, v7, v8
	ds_store_b128 v74, v[1:4]
	s_waitcnt lgkmcnt(0)
	s_barrier
	buffer_gl0_inv
	ds_load_b128 v[1:4], v75
	ds_load_b128 v[5:8], v75 offset:16
	s_waitcnt lgkmcnt(1)
	v_lshrrev_b32_e32 v9, 16, v1
	s_waitcnt lgkmcnt(0)
	v_lshrrev_b32_e32 v13, 16, v5
	v_lshrrev_b32_e32 v10, 16, v2
	;; [unrolled: 1-line block ×4, first 2 shown]
	v_cndmask_b32_e32 v17, v1, v9, vcc_lo
	v_cndmask_b32_e32 v18, v5, v13, vcc_lo
	v_cndmask_b32_e64 v21, v1, v9, s4
	v_cmp_eq_u32_e32 vcc_lo, 1, v71
	v_cndmask_b32_e64 v22, v5, v13, s4
	v_cmp_eq_u32_e64 s4, 2, v70
	v_cndmask_b32_e64 v19, v1, v9, s3
	v_cndmask_b32_e64 v20, v5, v13, s3
	v_cndmask_b32_e32 v1, v1, v9, vcc_lo
	v_cmp_eq_u32_e64 s3, 2, v71
	v_cndmask_b32_e32 v5, v5, v13, vcc_lo
	v_cndmask_b32_e64 v9, v17, v2, s4
	v_cmp_eq_u32_e32 vcc_lo, 3, v70
	v_cndmask_b32_e64 v13, v18, v6, s4
	v_cmp_eq_u32_e64 s4, 2, v69
	v_cndmask_b32_e64 v17, v19, v2, s5
	v_cndmask_b32_e64 v18, v20, v6, s5
	v_cmp_eq_u32_e64 s5, 3, v69
	v_cndmask_b32_e64 v1, v1, v2, s3
	v_cndmask_b32_e64 v19, v21, v2, s4
	;; [unrolled: 1-line block ×4, first 2 shown]
	v_cndmask_b32_e32 v5, v9, v10, vcc_lo
	v_cndmask_b32_e32 v6, v13, v14, vcc_lo
	v_cmp_eq_u32_e32 vcc_lo, 3, v71
	v_cndmask_b32_e64 v9, v17, v10, s6
	v_cndmask_b32_e64 v13, v18, v14, s6
	;; [unrolled: 1-line block ×3, first 2 shown]
	v_cmp_eq_u32_e64 s4, 4, v70
	v_cndmask_b32_e32 v1, v1, v10, vcc_lo
	v_cndmask_b32_e32 v2, v2, v14, vcc_lo
	v_cmp_eq_u32_e32 vcc_lo, 4, v72
	v_lshrrev_b32_e32 v15, 16, v7
	v_lshrrev_b32_e32 v16, 16, v8
	v_cndmask_b32_e64 v17, v19, v10, s5
	v_cmp_eq_u32_e64 s3, 4, v71
	v_cndmask_b32_e64 v5, v5, v3, s4
	v_cndmask_b32_e64 v6, v6, v7, s4
	v_cndmask_b32_e32 v9, v9, v3, vcc_lo
	v_cmp_eq_u32_e64 s4, 5, v72
	v_cndmask_b32_e32 v10, v13, v7, vcc_lo
	v_cmp_eq_u32_e32 vcc_lo, 4, v69
	v_cmp_eq_u32_e64 s5, 5, v70
	v_cndmask_b32_e64 v2, v2, v7, s3
	v_cndmask_b32_e64 v9, v9, v11, s4
	;; [unrolled: 1-line block ×3, first 2 shown]
	v_cndmask_b32_e32 v13, v17, v3, vcc_lo
	v_cmp_eq_u32_e64 s4, 5, v69
	v_cndmask_b32_e32 v14, v18, v7, vcc_lo
	v_cndmask_b32_e64 v1, v1, v3, s3
	v_cmp_eq_u32_e32 vcc_lo, 5, v71
	v_lshrrev_b32_e32 v12, 16, v4
	v_cndmask_b32_e64 v13, v13, v11, s4
	v_cndmask_b32_e64 v3, v14, v15, s4
	v_cmp_eq_u32_e64 s4, 6, v71
	v_cndmask_b32_e32 v1, v1, v11, vcc_lo
	v_cndmask_b32_e64 v5, v5, v11, s5
	v_cmp_eq_u32_e64 s6, 6, v70
	v_cndmask_b32_e64 v6, v6, v15, s5
	v_cmp_eq_u32_e64 s5, 6, v72
	v_cmp_eq_u32_e64 s3, 6, v69
	v_cndmask_b32_e64 v1, v1, v4, s4
	v_cndmask_b32_e32 v2, v2, v15, vcc_lo
	v_cmp_eq_u32_e32 vcc_lo, 7, v71
	v_cndmask_b32_e64 v5, v5, v4, s6
	v_cndmask_b32_e64 v9, v9, v4, s5
	;; [unrolled: 1-line block ×3, first 2 shown]
	v_cmp_eq_u32_e64 s6, 7, v70
	v_cndmask_b32_e32 v1, v1, v12, vcc_lo
	v_cndmask_b32_e64 v7, v13, v4, s3
	v_cndmask_b32_e64 v3, v3, v8, s3
	;; [unrolled: 1-line block ×3, first 2 shown]
	v_cmp_eq_u32_e64 s3, 7, v69
	v_cndmask_b32_e64 v4, v10, v8, s5
	v_cndmask_b32_e64 v5, v5, v12, s6
	;; [unrolled: 1-line block ×3, first 2 shown]
	v_cndmask_b32_e32 v2, v2, v16, vcc_lo
	v_cndmask_b32_e64 v7, v7, v12, s3
	v_cndmask_b32_e64 v3, v3, v16, s3
	;; [unrolled: 1-line block ×4, first 2 shown]
	v_cmp_gt_u32_e32 vcc_lo, 32, v0
	v_perm_b32 v4, v2, v1, 0x5040100
	v_perm_b32 v3, v3, v7, 0x5040100
	;; [unrolled: 1-line block ×4, first 2 shown]
	s_and_b32 s2, vcc_lo, s2
	ds_store_b128 v74, v[1:4]
	s_waitcnt lgkmcnt(0)
	s_barrier
	buffer_gl0_inv
	s_and_saveexec_b32 s3, s2
	s_cbranch_execz .LBB1131_2
; %bb.15:
	s_load_b64 s[0:1], s[0:1], 0x68
	v_lshlrev_b32_e32 v0, 10, v0
	s_lshl_b32 s4, s35, 6
	v_or_b32_e32 v3, s31, v66
	s_mul_i32 s2, s4, s34
	v_lshlrev_b32_e32 v1, 4, v67
	v_lshlrev_b32_e32 v2, 6, v66
	v_and_b32_e32 v0, 0x3800, v0
	s_mul_i32 s2, s2, s8
	v_mul_lo_u32 v8, v3, s4
	s_ashr_i32 s3, s2, 31
	s_delay_alu instid0(SALU_CYCLE_1)
	s_lshl_b64 s[2:3], s[2:3], 1
	v_or3_b32 v16, v0, v1, v2
	ds_load_b128 v[0:3], v16
	ds_load_b128 v[4:7], v16 offset:128
	v_ashrrev_i32_e32 v9, 31, v8
	s_waitcnt lgkmcnt(0)
	s_add_u32 s2, s0, s2
	s_addc_u32 s3, s1, s3
	s_lshl_b32 s0, s14, 6
	s_delay_alu instid0(SALU_CYCLE_1) | instskip(SKIP_2) | instid1(SALU_CYCLE_1)
	s_ashr_i32 s1, s0, 31
	v_lshlrev_b64 v[9:10], 1, v[8:9]
	s_lshl_b64 s[0:1], s[0:1], 1
	s_add_u32 s0, s2, s0
	s_addc_u32 s1, s3, s1
	s_lshl_b32 s2, s35, 7
	v_add_co_u32 v30, s0, s0, v65
	v_add_nc_u32_e32 v11, s2, v8
	v_add_co_ci_u32_e64 v31, null, s1, 0, s0
	s_delay_alu instid0(VALU_DEP_3) | instskip(NEXT) | instid1(VALU_DEP_3)
	v_add_co_u32 v9, vcc_lo, v30, v9
	v_add_nc_u32_e32 v8, s2, v11
	s_delay_alu instid0(VALU_DEP_3) | instskip(SKIP_1) | instid1(VALU_DEP_3)
	v_add_co_ci_u32_e32 v10, vcc_lo, v31, v10, vcc_lo
	v_ashrrev_i32_e32 v12, 31, v11
	v_add_nc_u32_e32 v13, s2, v8
	global_store_b128 v[9:10], v[0:3], off
	v_ashrrev_i32_e32 v9, 31, v8
	v_lshlrev_b64 v[11:12], 1, v[11:12]
	v_ashrrev_i32_e32 v14, 31, v13
	v_add_nc_u32_e32 v10, s2, v13
	s_delay_alu instid0(VALU_DEP_4) | instskip(NEXT) | instid1(VALU_DEP_4)
	v_lshlrev_b64 v[2:3], 1, v[8:9]
	v_add_co_u32 v0, vcc_lo, v30, v11
	s_delay_alu instid0(VALU_DEP_4)
	v_lshlrev_b64 v[8:9], 1, v[13:14]
	v_add_co_ci_u32_e32 v1, vcc_lo, v31, v12, vcc_lo
	v_ashrrev_i32_e32 v11, 31, v10
	v_add_co_u32 v22, vcc_lo, v30, v2
	v_add_nc_u32_e32 v20, s2, v10
	v_add_co_ci_u32_e32 v23, vcc_lo, v31, v3, vcc_lo
	v_add_co_u32 v24, vcc_lo, v30, v8
	global_store_b128 v[0:1], v[4:7], off
	v_add_co_ci_u32_e32 v25, vcc_lo, v31, v9, vcc_lo
	ds_load_b128 v[0:3], v16 offset:256
	ds_load_b128 v[4:7], v16 offset:384
	v_lshlrev_b64 v[26:27], 1, v[10:11]
	ds_load_b128 v[8:11], v16 offset:512
	ds_load_b128 v[12:15], v16 offset:640
	;; [unrolled: 1-line block ×3, first 2 shown]
	v_add_nc_u32_e32 v28, s2, v20
	v_ashrrev_i32_e32 v21, 31, v20
	v_add_co_u32 v26, vcc_lo, v30, v26
	s_delay_alu instid0(VALU_DEP_3) | instskip(NEXT) | instid1(VALU_DEP_3)
	v_ashrrev_i32_e32 v29, 31, v28
	v_lshlrev_b64 v[20:21], 1, v[20:21]
	v_add_co_ci_u32_e32 v27, vcc_lo, v31, v27, vcc_lo
	s_delay_alu instid0(VALU_DEP_3) | instskip(NEXT) | instid1(VALU_DEP_3)
	v_lshlrev_b64 v[28:29], 1, v[28:29]
	v_add_co_u32 v20, vcc_lo, v30, v20
	s_delay_alu instid0(VALU_DEP_4) | instskip(NEXT) | instid1(VALU_DEP_3)
	v_add_co_ci_u32_e32 v21, vcc_lo, v31, v21, vcc_lo
	v_add_co_u32 v28, vcc_lo, v30, v28
	s_delay_alu instid0(VALU_DEP_4)
	v_add_co_ci_u32_e32 v29, vcc_lo, v31, v29, vcc_lo
	s_waitcnt lgkmcnt(4)
	global_store_b128 v[22:23], v[0:3], off
	s_waitcnt lgkmcnt(3)
	global_store_b128 v[24:25], v[4:7], off
	;; [unrolled: 2-line block ×5, first 2 shown]
	s_nop 0
	s_sendmsg sendmsg(MSG_DEALLOC_VGPRS)
	s_endpgm
	.section	.rodata,"a",@progbits
	.p2align	6, 0x0
	.amdhsa_kernel _Z39paged_attention_ll4mi_QKV_mfma16_kernelIDF16_hLN4vllm18Fp8KVCacheDataTypeE1EDF16_Li16ELi64ELi256ELb1ELi14EL8MFMAType0EEvPKT_PKT0_S8_ifPKiSA_SA_iPKfiiiPfSD_PS3_PT2_iSC_SC_
		.amdhsa_group_segment_fixed_size 17472
		.amdhsa_private_segment_fixed_size 0
		.amdhsa_kernarg_size 400
		.amdhsa_user_sgpr_count 13
		.amdhsa_user_sgpr_dispatch_ptr 0
		.amdhsa_user_sgpr_queue_ptr 0
		.amdhsa_user_sgpr_kernarg_segment_ptr 1
		.amdhsa_user_sgpr_dispatch_id 0
		.amdhsa_user_sgpr_private_segment_size 0
		.amdhsa_wavefront_size32 1
		.amdhsa_uses_dynamic_stack 0
		.amdhsa_enable_private_segment 0
		.amdhsa_system_sgpr_workgroup_id_x 1
		.amdhsa_system_sgpr_workgroup_id_y 1
		.amdhsa_system_sgpr_workgroup_id_z 1
		.amdhsa_system_sgpr_workgroup_info 0
		.amdhsa_system_vgpr_workitem_id 0
		.amdhsa_next_free_vgpr 146
		.amdhsa_next_free_sgpr 36
		.amdhsa_reserve_vcc 1
		.amdhsa_float_round_mode_32 0
		.amdhsa_float_round_mode_16_64 0
		.amdhsa_float_denorm_mode_32 3
		.amdhsa_float_denorm_mode_16_64 3
		.amdhsa_dx10_clamp 1
		.amdhsa_ieee_mode 1
		.amdhsa_fp16_overflow 0
		.amdhsa_workgroup_processor_mode 1
		.amdhsa_memory_ordered 1
		.amdhsa_forward_progress 0
		.amdhsa_shared_vgpr_count 0
		.amdhsa_exception_fp_ieee_invalid_op 0
		.amdhsa_exception_fp_denorm_src 0
		.amdhsa_exception_fp_ieee_div_zero 0
		.amdhsa_exception_fp_ieee_overflow 0
		.amdhsa_exception_fp_ieee_underflow 0
		.amdhsa_exception_fp_ieee_inexact 0
		.amdhsa_exception_int_div_zero 0
	.end_amdhsa_kernel
	.section	.text._Z39paged_attention_ll4mi_QKV_mfma16_kernelIDF16_hLN4vllm18Fp8KVCacheDataTypeE1EDF16_Li16ELi64ELi256ELb1ELi14EL8MFMAType0EEvPKT_PKT0_S8_ifPKiSA_SA_iPKfiiiPfSD_PS3_PT2_iSC_SC_,"axG",@progbits,_Z39paged_attention_ll4mi_QKV_mfma16_kernelIDF16_hLN4vllm18Fp8KVCacheDataTypeE1EDF16_Li16ELi64ELi256ELb1ELi14EL8MFMAType0EEvPKT_PKT0_S8_ifPKiSA_SA_iPKfiiiPfSD_PS3_PT2_iSC_SC_,comdat
.Lfunc_end1131:
	.size	_Z39paged_attention_ll4mi_QKV_mfma16_kernelIDF16_hLN4vllm18Fp8KVCacheDataTypeE1EDF16_Li16ELi64ELi256ELb1ELi14EL8MFMAType0EEvPKT_PKT0_S8_ifPKiSA_SA_iPKfiiiPfSD_PS3_PT2_iSC_SC_, .Lfunc_end1131-_Z39paged_attention_ll4mi_QKV_mfma16_kernelIDF16_hLN4vllm18Fp8KVCacheDataTypeE1EDF16_Li16ELi64ELi256ELb1ELi14EL8MFMAType0EEvPKT_PKT0_S8_ifPKiSA_SA_iPKfiiiPfSD_PS3_PT2_iSC_SC_
                                        ; -- End function
	.section	.AMDGPU.csdata,"",@progbits
; Kernel info:
; codeLenInByte = 6640
; NumSgprs: 38
; NumVgprs: 146
; ScratchSize: 0
; MemoryBound: 0
; FloatMode: 240
; IeeeMode: 1
; LDSByteSize: 17472 bytes/workgroup (compile time only)
; SGPRBlocks: 4
; VGPRBlocks: 18
; NumSGPRsForWavesPerEU: 38
; NumVGPRsForWavesPerEU: 146
; Occupancy: 9
; WaveLimiterHint : 1
; COMPUTE_PGM_RSRC2:SCRATCH_EN: 0
; COMPUTE_PGM_RSRC2:USER_SGPR: 13
; COMPUTE_PGM_RSRC2:TRAP_HANDLER: 0
; COMPUTE_PGM_RSRC2:TGID_X_EN: 1
; COMPUTE_PGM_RSRC2:TGID_Y_EN: 1
; COMPUTE_PGM_RSRC2:TGID_Z_EN: 1
; COMPUTE_PGM_RSRC2:TIDIG_COMP_CNT: 0
	.section	.text._Z39paged_attention_ll4mi_QKV_mfma16_kernelIDF16_hLN4vllm18Fp8KVCacheDataTypeE1EDF16_Li16ELi64ELi256ELb1ELi15EL8MFMAType0EEvPKT_PKT0_S8_ifPKiSA_SA_iPKfiiiPfSD_PS3_PT2_iSC_SC_,"axG",@progbits,_Z39paged_attention_ll4mi_QKV_mfma16_kernelIDF16_hLN4vllm18Fp8KVCacheDataTypeE1EDF16_Li16ELi64ELi256ELb1ELi15EL8MFMAType0EEvPKT_PKT0_S8_ifPKiSA_SA_iPKfiiiPfSD_PS3_PT2_iSC_SC_,comdat
	.protected	_Z39paged_attention_ll4mi_QKV_mfma16_kernelIDF16_hLN4vllm18Fp8KVCacheDataTypeE1EDF16_Li16ELi64ELi256ELb1ELi15EL8MFMAType0EEvPKT_PKT0_S8_ifPKiSA_SA_iPKfiiiPfSD_PS3_PT2_iSC_SC_ ; -- Begin function _Z39paged_attention_ll4mi_QKV_mfma16_kernelIDF16_hLN4vllm18Fp8KVCacheDataTypeE1EDF16_Li16ELi64ELi256ELb1ELi15EL8MFMAType0EEvPKT_PKT0_S8_ifPKiSA_SA_iPKfiiiPfSD_PS3_PT2_iSC_SC_
	.globl	_Z39paged_attention_ll4mi_QKV_mfma16_kernelIDF16_hLN4vllm18Fp8KVCacheDataTypeE1EDF16_Li16ELi64ELi256ELb1ELi15EL8MFMAType0EEvPKT_PKT0_S8_ifPKiSA_SA_iPKfiiiPfSD_PS3_PT2_iSC_SC_
	.p2align	8
	.type	_Z39paged_attention_ll4mi_QKV_mfma16_kernelIDF16_hLN4vllm18Fp8KVCacheDataTypeE1EDF16_Li16ELi64ELi256ELb1ELi15EL8MFMAType0EEvPKT_PKT0_S8_ifPKiSA_SA_iPKfiiiPfSD_PS3_PT2_iSC_SC_,@function
_Z39paged_attention_ll4mi_QKV_mfma16_kernelIDF16_hLN4vllm18Fp8KVCacheDataTypeE1EDF16_Li16ELi64ELi256ELb1ELi15EL8MFMAType0EEvPKT_PKT0_S8_ifPKiSA_SA_iPKfiiiPfSD_PS3_PT2_iSC_SC_: ; @_Z39paged_attention_ll4mi_QKV_mfma16_kernelIDF16_hLN4vllm18Fp8KVCacheDataTypeE1EDF16_Li16ELi64ELi256ELb1ELi15EL8MFMAType0EEvPKT_PKT0_S8_ifPKiSA_SA_iPKfiiiPfSD_PS3_PT2_iSC_SC_
; %bb.0:
	s_load_b64 s[2:3], s[0:1], 0x30
	s_mov_b32 s34, s13
	s_waitcnt lgkmcnt(0)
	s_cmp_lg_u64 s[2:3], 0
	s_cselect_b32 s6, -1, 0
	s_ashr_i32 s35, s13, 31
	s_cmp_eq_u64 s[2:3], 0
	s_cbranch_scc1 .LBB1132_3
; %bb.1:
	s_lshl_b64 s[4:5], s[34:35], 2
	s_delay_alu instid0(SALU_CYCLE_1) | instskip(SKIP_4) | instid1(SALU_CYCLE_1)
	s_add_u32 s4, s2, s4
	s_addc_u32 s5, s3, s5
	s_load_b64 s[4:5], s[4:5], 0x0
	s_waitcnt lgkmcnt(0)
	s_sub_i32 s4, s5, s4
	s_cmp_eq_u32 s4, 1
	s_cselect_b32 s4, -1, 0
	s_delay_alu instid0(SALU_CYCLE_1)
	s_and_not1_b32 vcc_lo, exec_lo, s4
	s_cbranch_vccz .LBB1132_4
.LBB1132_2:
	s_nop 0
	s_sendmsg sendmsg(MSG_DEALLOC_VGPRS)
	s_endpgm
.LBB1132_3:
.LBB1132_4:
	s_load_b64 s[8:9], s[0:1], 0x28
	s_lshl_b64 s[4:5], s[34:35], 2
	s_waitcnt lgkmcnt(0)
	s_add_u32 s8, s8, s4
	s_addc_u32 s9, s9, s5
	s_lshl_b32 s16, s14, 8
	s_load_b32 s18, s[8:9], 0x0
	s_waitcnt lgkmcnt(0)
	s_cmp_ge_i32 s16, s18
	s_cbranch_scc1 .LBB1132_2
; %bb.5:
	s_clause 0x1
	s_load_b128 s[8:11], s[0:1], 0x8
	s_load_b64 s[12:13], s[0:1], 0x20
	s_and_not1_b32 vcc_lo, exec_lo, s6
	s_cbranch_vccnz .LBB1132_7
; %bb.6:
	s_add_u32 s2, s2, s4
	s_addc_u32 s3, s3, s5
	s_load_b32 s3, s[2:3], 0x0
	s_branch .LBB1132_8
.LBB1132_7:
	s_mov_b32 s3, s34
.LBB1132_8:
	s_load_b128 s[4:7], s[0:1], 0x48
	v_lshrrev_b32_e32 v69, 5, v0
	v_bfe_u32 v66, v0, 4, 1
	v_and_b32_e32 v68, 15, v0
	v_and_b32_e32 v70, 31, v0
	;; [unrolled: 1-line block ×3, first 2 shown]
	s_mul_i32 s33, s15, 15
	v_lshl_or_b32 v1, v69, 1, v66
	v_lshlrev_b32_e32 v2, 3, v68
	v_cmp_gt_u32_e64 s2, 8, v68
	s_delay_alu instid0(VALU_DEP_3) | instskip(NEXT) | instid1(VALU_DEP_3)
	v_cmp_gt_u32_e32 vcc_lo, 15, v1
	v_lshlrev_b32_e32 v65, 1, v2
	s_delay_alu instid0(VALU_DEP_3)
	s_and_b32 s17, s2, vcc_lo
	s_waitcnt lgkmcnt(0)
	s_and_saveexec_b32 s7, s17
	s_cbranch_execz .LBB1132_10
; %bb.9:
	s_load_b64 s[20:21], s[0:1], 0x0
	v_add_lshl_u32 v2, v1, s33, 6
	s_mul_hi_i32 s23, s3, s4
	s_mul_i32 s22, s3, s4
	v_lshlrev_b32_e32 v6, 10, v68
	s_lshl_b64 s[22:23], s[22:23], 1
	v_ashrrev_i32_e32 v3, 31, v2
	v_lshlrev_b32_e32 v1, 6, v1
	v_lshlrev_b32_e32 v7, 10, v67
	v_and_b32_e32 v6, 0x3800, v6
	s_delay_alu instid0(VALU_DEP_4) | instskip(NEXT) | instid1(VALU_DEP_2)
	v_lshlrev_b64 v[2:3], 1, v[2:3]
	v_or3_b32 v1, v6, v7, v1
	s_waitcnt lgkmcnt(0)
	s_add_u32 s3, s20, s22
	s_addc_u32 s4, s21, s23
	s_delay_alu instid0(VALU_DEP_2) | instskip(SKIP_1) | instid1(VALU_DEP_2)
	v_add_co_u32 v2, vcc_lo, s3, v2
	v_add_co_ci_u32_e32 v3, vcc_lo, s4, v3, vcc_lo
	v_add_co_u32 v2, vcc_lo, v2, v65
	s_delay_alu instid0(VALU_DEP_2)
	v_add_co_ci_u32_e32 v3, vcc_lo, 0, v3, vcc_lo
	global_load_b128 v[2:5], v[2:3], off
	s_waitcnt vmcnt(0)
	ds_store_b128 v1, v[2:5]
.LBB1132_10:
	s_or_b32 exec_lo, exec_lo, s7
	v_and_b32_e32 v1, 0xef, v0
	s_add_i32 s3, s18, 15
	s_clause 0x1
	s_load_b32 s4, s[0:1], 0x38
	s_load_b32 s35, s[0:1], 0x98
	s_ashr_i32 s7, s3, 31
	v_add_nc_u32_e32 v1, s16, v1
	s_lshr_b32 s7, s7, 28
	s_load_b32 s19, s[0:1], 0x1c
	s_add_i32 s3, s3, s7
	s_waitcnt lgkmcnt(0)
	v_ashrrev_i32_e32 v2, 31, v1
	v_or_b32_e32 v3, 16, v1
	s_ashr_i32 s3, s3, 4
	v_cmp_gt_i32_e32 vcc_lo, s18, v1
	s_add_i32 s3, s3, -1
	v_lshrrev_b32_e32 v2, 28, v2
	s_barrier
	buffer_gl0_inv
	s_mul_i32 s15, s15, s6
	v_mbcnt_lo_u32_b32 v127, -1, 0
	v_add_nc_u32_e32 v4, v1, v2
	s_mul_i32 s20, s34, s4
	s_delay_alu instid0(SALU_CYCLE_1) | instskip(NEXT) | instid1(VALU_DEP_1)
	s_ashr_i32 s21, s20, 31
	v_ashrrev_i32_e32 v4, 4, v4
	v_add_nc_u32_e32 v2, v3, v2
	s_lshl_b64 s[20:21], s[20:21], 2
	v_xor_b32_e32 v128, 16, v127
	s_add_u32 s17, s12, s20
	v_cndmask_b32_e32 v1, s3, v4, vcc_lo
	v_ashrrev_i32_e32 v2, 4, v2
	v_cmp_gt_i32_e32 vcc_lo, s18, v3
	s_addc_u32 s13, s13, s21
	s_ashr_i32 s20, s15, 31
	s_add_u32 s4, s8, s15
	s_addc_u32 s12, s9, s20
	v_cndmask_b32_e32 v3, s3, v2, vcc_lo
	v_ashrrev_i32_e32 v2, 31, v1
	s_lshl_b32 s6, s14, 4
	s_delay_alu instid0(SALU_CYCLE_1) | instskip(NEXT) | instid1(VALU_DEP_2)
	s_ashr_i32 s7, s6, 31
	v_ashrrev_i32_e32 v4, 31, v3
	s_delay_alu instid0(VALU_DEP_2) | instskip(SKIP_1) | instid1(SALU_CYCLE_1)
	v_lshlrev_b64 v[1:2], 2, v[1:2]
	s_lshl_b64 s[6:7], s[6:7], 2
	s_add_u32 s6, s17, s6
	s_delay_alu instid0(VALU_DEP_2) | instskip(SKIP_1) | instid1(VALU_DEP_2)
	v_lshlrev_b64 v[3:4], 2, v[3:4]
	s_addc_u32 s7, s13, s7
	v_add_co_u32 v1, vcc_lo, s17, v1
	v_add_co_ci_u32_e32 v2, vcc_lo, s13, v2, vcc_lo
	s_delay_alu instid0(VALU_DEP_3) | instskip(NEXT) | instid1(VALU_DEP_4)
	v_add_co_u32 v3, vcc_lo, s17, v3
	v_add_co_ci_u32_e32 v4, vcc_lo, s13, v4, vcc_lo
	s_clause 0x1
	global_load_b32 v5, v[1:2], off
	global_load_b32 v7, v[3:4], off
	s_or_b32 s8, s16, 32
	v_lshlrev_b32_e32 v1, 4, v0
	s_ashr_i32 s9, s8, 4
	s_cmp_lt_i32 s8, s18
	v_cmp_ne_u32_e32 vcc_lo, 15, v68
	s_cselect_b32 s8, s9, s3
	v_and_b32_e32 v1, 0xf0, v1
	s_ashr_i32 s9, s8, 31
	s_delay_alu instid0(SALU_CYCLE_1)
	s_lshl_b64 s[8:9], s[8:9], 2
	v_cndmask_b32_e32 v103, 0, v68, vcc_lo
	s_add_u32 s8, s17, s8
	s_addc_u32 s9, s13, s9
	s_or_b32 s21, s16, 64
	v_add_co_u32 v1, s4, s4, v1
	s_ashr_i32 s22, s21, 4
	s_cmp_lt_i32 s21, s18
	v_add_co_ci_u32_e64 v2, null, s12, 0, s4
	s_cselect_b32 s22, s22, s3
	v_cmp_gt_i32_e32 vcc_lo, 32, v128
	s_ashr_i32 s23, s22, 31
	v_lshlrev_b32_e32 v115, 6, v103
	s_lshl_b64 s[22:23], s[22:23], 2
	v_cndmask_b32_e32 v136, v127, v128, vcc_lo
	s_add_u32 s22, s17, s22
	s_addc_u32 s23, s13, s23
	s_or_b32 s21, s16, 0x60
	s_delay_alu instid0(SALU_CYCLE_1) | instskip(SKIP_2) | instid1(SALU_CYCLE_1)
	s_ashr_i32 s24, s21, 4
	s_cmp_lt_i32 s21, s18
	s_cselect_b32 s24, s24, s3
	s_ashr_i32 s25, s24, 31
	s_delay_alu instid0(SALU_CYCLE_1) | instskip(NEXT) | instid1(SALU_CYCLE_1)
	s_lshl_b64 s[24:25], s[24:25], 2
	s_add_u32 s24, s17, s24
	s_addc_u32 s25, s13, s25
	s_or_b32 s21, s16, 0x80
	s_delay_alu instid0(SALU_CYCLE_1) | instskip(SKIP_2) | instid1(SALU_CYCLE_1)
	s_ashr_i32 s26, s21, 4
	s_cmp_lt_i32 s21, s18
	s_cselect_b32 s26, s26, s3
	s_ashr_i32 s27, s26, 31
	s_delay_alu instid0(SALU_CYCLE_1) | instskip(NEXT) | instid1(SALU_CYCLE_1)
	s_lshl_b64 s[26:27], s[26:27], 2
	;; [unrolled: 10-line block ×3, first 2 shown]
	s_add_u32 s28, s17, s28
	s_addc_u32 s29, s13, s29
	s_clause 0x5
	s_load_b32 s12, s[6:7], 0x0
	s_load_b32 s4, s[8:9], 0x0
	;; [unrolled: 1-line block ×6, first 2 shown]
	s_or_b32 s21, s16, 0xc0
	s_delay_alu instid0(SALU_CYCLE_1) | instskip(SKIP_2) | instid1(SALU_CYCLE_1)
	s_ashr_i32 s22, s21, 4
	s_cmp_lt_i32 s21, s18
	s_cselect_b32 s22, s22, s3
	s_ashr_i32 s23, s22, 31
	s_delay_alu instid0(SALU_CYCLE_1) | instskip(NEXT) | instid1(SALU_CYCLE_1)
	s_lshl_b64 s[22:23], s[22:23], 2
	s_add_u32 s22, s17, s22
	s_addc_u32 s23, s13, s23
	s_or_b32 s21, s16, 0xe0
	s_delay_alu instid0(SALU_CYCLE_1) | instskip(SKIP_2) | instid1(SALU_CYCLE_1)
	s_ashr_i32 s24, s21, 4
	s_cmp_lt_i32 s21, s18
	s_cselect_b32 s24, s24, s3
	s_ashr_i32 s25, s24, 31
	s_delay_alu instid0(SALU_CYCLE_1)
	s_lshl_b64 s[24:25], s[24:25], 2
	s_waitcnt vmcnt(1)
	v_mad_i64_i32 v[3:4], null, v5, s5, v[1:2]
	s_waitcnt vmcnt(0)
	v_mad_i64_i32 v[5:6], null, v7, s5, v[1:2]
	v_lshlrev_b32_e32 v1, 4, v68
	s_clause 0x7
	global_load_b128 v[71:74], v[3:4], off
	global_load_b128 v[75:78], v[3:4], off offset:256
	global_load_b128 v[79:82], v[5:6], off
	global_load_b128 v[83:86], v[5:6], off offset:256
	global_load_b128 v[87:90], v[3:4], off offset:512
	global_load_b128 v[91:94], v[3:4], off offset:768
	global_load_b128 v[95:98], v[5:6], off offset:512
	global_load_b128 v[99:102], v[5:6], off offset:768
	v_lshl_or_b32 v1, v69, 8, v1
	s_load_b32 s3, s[22:23], 0x0
	s_add_u32 s22, s17, s24
	s_addc_u32 s23, s13, s25
	s_add_u32 s10, s10, s15
	s_addc_u32 s11, s11, s20
	v_add_co_u32 v1, s10, s10, v1
	s_delay_alu instid0(VALU_DEP_1) | instskip(SKIP_2) | instid1(VALU_DEP_1)
	v_add_co_ci_u32_e64 v2, null, s11, 0, s10
	s_load_b32 s10, s[22:23], 0x0
	s_waitcnt lgkmcnt(0)
	v_mad_i64_i32 v[3:4], null, s12, s5, v[1:2]
	v_mad_i64_i32 v[9:10], null, s7, s5, v[1:2]
	;; [unrolled: 1-line block ×7, first 2 shown]
	s_clause 0x5
	global_load_b128 v[49:52], v[3:4], off
	global_load_b128 v[53:56], v[3:4], off offset:16
	global_load_b128 v[41:44], v[5:6], off
	global_load_b128 v[45:48], v[5:6], off offset:16
	;; [unrolled: 2-line block ×3, first 2 shown]
	s_mov_b32 s4, 0
	v_mad_i64_i32 v[61:62], null, s10, s5, v[1:2]
	s_clause 0x9
	global_load_b128 v[1:4], v[9:10], off
	global_load_b128 v[5:8], v[9:10], off offset:16
	global_load_b128 v[9:12], v[13:14], off
	global_load_b128 v[13:16], v[13:14], off offset:16
	;; [unrolled: 2-line block ×5, first 2 shown]
	s_mov_b32 s5, s4
	s_mov_b32 s6, s4
	;; [unrolled: 1-line block ×7, first 2 shown]
	v_and_b32_e32 v104, 0xe0, v0
	v_dual_mov_b32 v126, s11 :: v_dual_mov_b32 v125, s10
	v_dual_mov_b32 v124, s9 :: v_dual_mov_b32 v123, s8
	s_delay_alu instid0(VALU_DEP_3)
	v_add_nc_u32_e32 v111, s16, v104
	ds_load_b128 v[103:106], v115
	ds_load_b128 v[107:110], v115 offset:1024
	v_dual_mov_b32 v122, s7 :: v_dual_mov_b32 v121, s6
	v_mov_b32_e32 v120, s5
	v_or_b32_e32 v135, v111, v66
	ds_load_b128 v[111:114], v115 offset:2048
	ds_load_b128 v[115:118], v115 offset:3072
	v_mov_b32_e32 v119, s4
	s_waitcnt vmcnt(0) lgkmcnt(0)
	s_barrier
	v_or_b32_e32 v137, 2, v135
	v_or_b32_e32 v138, 4, v135
	;; [unrolled: 1-line block ×3, first 2 shown]
	v_cmp_gt_i32_e32 vcc_lo, s18, v135
	v_or_b32_e32 v140, 8, v135
	v_cmp_gt_i32_e64 s3, s18, v137
	v_or_b32_e32 v141, 10, v135
	v_cmp_gt_i32_e64 s4, s18, v138
	v_cmp_gt_i32_e64 s5, s18, v139
	v_or_b32_e32 v142, 12, v135
	v_or_b32_e32 v143, 14, v135
	v_cmp_gt_i32_e64 s6, s18, v140
	v_cmp_gt_i32_e64 s7, s18, v141
	v_or_b32_e32 v144, 16, v135
	v_or_b32_e32 v145, 18, v135
	v_cmp_gt_i32_e64 s8, s18, v142
	v_cmp_gt_i32_e64 s9, s18, v143
	buffer_gl0_inv
	v_cmp_gt_i32_e64 s10, s18, v144
	v_cmp_gt_i32_e64 s11, s18, v145
	v_wmma_f32_16x16x16_f16 v[127:134], v[71:78], v[103:110], v[119:126]
	v_wmma_f32_16x16x16_f16 v[119:126], v[79:86], v[103:110], v[119:126]
	v_or_b32_e32 v71, 20, v135
	v_or_b32_e32 v72, 22, v135
	s_delay_alu instid0(VALU_DEP_4)
	v_wmma_f32_16x16x16_f16 v[127:134], v[87:94], v[111:118], v[127:134]
	v_or_b32_e32 v73, 24, v135
	v_wmma_f32_16x16x16_f16 v[119:126], v[95:102], v[111:118], v[119:126]
	v_or_b32_e32 v74, 26, v135
	v_cmp_gt_i32_e64 s12, s18, v71
	v_dual_mul_f32 v83, s19, v128 :: v_dual_mul_f32 v84, s19, v127
	s_delay_alu instid0(VALU_DEP_4) | instskip(SKIP_1) | instid1(VALU_DEP_3)
	v_dual_mul_f32 v81, s19, v130 :: v_dual_mul_f32 v92, s19, v119
	v_mul_f32_e32 v82, s19, v129
	v_cndmask_b32_e64 v83, 0xff7fffff, v83, s3
	s_delay_alu instid0(VALU_DEP_4)
	v_cndmask_b32_e32 v84, 0xff7fffff, v84, vcc_lo
	v_dual_mul_f32 v79, s19, v132 :: v_dual_mul_f32 v90, s19, v121
	v_mul_f32_e32 v80, s19, v131
	v_cndmask_b32_e64 v82, 0xff7fffff, v82, s4
	v_cndmask_b32_e64 v81, 0xff7fffff, v81, s5
	v_max3_f32 v83, v84, 0xff7fffff, v83
	v_dual_mul_f32 v77, s19, v134 :: v_dual_mul_f32 v88, s19, v123
	v_mul_f32_e32 v78, s19, v133
	v_cndmask_b32_e64 v80, 0xff7fffff, v80, s6
	v_cndmask_b32_e64 v79, 0xff7fffff, v79, s7
	v_max3_f32 v81, v83, v82, v81
	v_mul_f32_e32 v91, s19, v120
	v_cndmask_b32_e64 v78, 0xff7fffff, v78, s8
	v_cndmask_b32_e64 v77, 0xff7fffff, v77, s9
	v_mul_f32_e32 v89, s19, v122
	v_max3_f32 v79, v81, v80, v79
	v_cndmask_b32_e64 v80, 0xff7fffff, v92, s10
	v_cndmask_b32_e64 v81, 0xff7fffff, v91, s11
	v_cmp_gt_i32_e64 s13, s18, v72
	v_or_b32_e32 v75, 28, v135
	v_max3_f32 v77, v79, v78, v77
	v_or_b32_e32 v76, 30, v135
	v_mul_f32_e32 v87, s19, v124
	v_cndmask_b32_e64 v71, 0xff7fffff, v90, s12
	v_cndmask_b32_e64 v72, 0xff7fffff, v89, s13
	v_max3_f32 v77, v77, v80, v81
	v_cmp_gt_i32_e64 s15, s18, v73
	v_cmp_gt_i32_e64 s16, s18, v74
	v_dual_mul_f32 v85, s19, v126 :: v_dual_mul_f32 v86, s19, v125
	s_delay_alu instid0(VALU_DEP_4) | instskip(NEXT) | instid1(VALU_DEP_4)
	v_max3_f32 v71, v77, v71, v72
	v_cndmask_b32_e64 v73, 0xff7fffff, v88, s15
	s_delay_alu instid0(VALU_DEP_4) | instskip(SKIP_2) | instid1(VALU_DEP_3)
	v_cndmask_b32_e64 v74, 0xff7fffff, v87, s16
	v_cmp_gt_i32_e64 s17, s18, v75
	v_cmp_gt_i32_e64 s18, s18, v76
	v_max3_f32 v71, v71, v73, v74
	s_delay_alu instid0(VALU_DEP_3) | instskip(NEXT) | instid1(VALU_DEP_3)
	v_cndmask_b32_e64 v72, 0xff7fffff, v86, s17
	v_cndmask_b32_e64 v75, 0xff7fffff, v85, s18
	v_lshlrev_b32_e32 v73, 2, v136
	s_delay_alu instid0(VALU_DEP_2) | instskip(SKIP_3) | instid1(VALU_DEP_1)
	v_max3_f32 v71, v71, v72, v75
	ds_bpermute_b32 v72, v73, v71
	s_waitcnt lgkmcnt(0)
	v_max_f32_e32 v72, v72, v72
	v_max_f32_e32 v71, v71, v72
	s_delay_alu instid0(VALU_DEP_1)
	v_fma_f32 v72, s19, v127, -v71
	v_fma_f32 v74, s19, v128, -v71
	;; [unrolled: 1-line block ×5, first 2 shown]
	v_mul_f32_e32 v72, 0x3fb8aa3b, v72
	v_mul_f32_e32 v74, 0x3fb8aa3b, v74
	v_fma_f32 v80, s19, v133, -v71
	s_delay_alu instid0(VALU_DEP_4) | instskip(NEXT) | instid1(VALU_DEP_4)
	v_dual_mul_f32 v76, 0x3fb8aa3b, v76 :: v_dual_mul_f32 v77, 0x3fb8aa3b, v77
	v_exp_f32_e32 v72, v72
	s_delay_alu instid0(VALU_DEP_3) | instskip(NEXT) | instid1(VALU_DEP_2)
	v_exp_f32_e32 v74, v74
	v_mul_f32_e32 v82, 0x3fb8aa3b, v80
	s_delay_alu instid0(VALU_DEP_2) | instskip(SKIP_1) | instid1(VALU_DEP_1)
	v_exp_f32_e32 v76, v76
	v_exp_f32_e32 v77, v77
	;; [unrolled: 1-line block ×3, first 2 shown]
	v_cndmask_b32_e32 v79, 0, v72, vcc_lo
	v_fma_f32 v72, s19, v132, -v71
	v_mul_f32_e32 v75, 0x3fb8aa3b, v75
	v_cndmask_b32_e64 v78, 0, v74, s3
	s_delay_alu instid0(TRANS32_DEP_3)
	v_cndmask_b32_e64 v80, 0, v76, s5
	v_add_f32_e32 v74, 0, v79
	v_mul_f32_e32 v72, 0x3fb8aa3b, v72
	v_exp_f32_e32 v75, v75
	v_cndmask_b32_e64 v83, 0, v77, s6
	v_cndmask_b32_e64 v85, 0, v84, s8
	v_add_f32_e32 v74, v74, v78
	v_exp_f32_e32 v72, v72
	v_cmp_gt_u32_e64 s3, 16, v70
	s_waitcnt_depctr 0xfff
	v_cndmask_b32_e64 v81, 0, v75, s4
	v_cndmask_b32_e64 v82, 0, v72, s7
	s_delay_alu instid0(VALU_DEP_2) | instskip(NEXT) | instid1(VALU_DEP_1)
	v_add_f32_e32 v74, v74, v81
	v_add_f32_e32 v74, v74, v80
	s_delay_alu instid0(VALU_DEP_1) | instskip(SKIP_4) | instid1(VALU_DEP_4)
	v_add_f32_e32 v72, v74, v83
	v_fma_f32 v75, s19, v134, -v71
	v_fma_f32 v76, s19, v119, -v71
	v_fma_f32 v77, s19, v120, -v71
	v_fma_f32 v74, s19, v121, -v71
	v_dual_add_f32 v72, v72, v82 :: v_dual_mul_f32 v75, 0x3fb8aa3b, v75
	s_delay_alu instid0(VALU_DEP_3) | instskip(SKIP_1) | instid1(VALU_DEP_3)
	v_dual_mul_f32 v76, 0x3fb8aa3b, v76 :: v_dual_mul_f32 v77, 0x3fb8aa3b, v77
	v_fma_f32 v86, s19, v122, -v71
	v_add_f32_e32 v72, v72, v85
	s_delay_alu instid0(VALU_DEP_4) | instskip(NEXT) | instid1(VALU_DEP_3)
	v_exp_f32_e32 v75, v75
	v_exp_f32_e32 v76, v76
	;; [unrolled: 1-line block ×3, first 2 shown]
	v_mul_f32_e32 v86, 0x3fb8aa3b, v86
	s_delay_alu instid0(VALU_DEP_1) | instskip(SKIP_3) | instid1(TRANS32_DEP_3)
	v_exp_f32_e32 v88, v86
	v_cndmask_b32_e64 v84, 0, v75, s9
	v_fma_f32 v75, s19, v123, -v71
	v_mul_f32_e32 v74, 0x3fb8aa3b, v74
	v_cndmask_b32_e64 v87, 0, v76, s10
	v_fma_f32 v76, s19, v124, -v71
	s_delay_alu instid0(VALU_DEP_4) | instskip(NEXT) | instid1(VALU_DEP_4)
	v_dual_add_f32 v72, v72, v84 :: v_dual_mul_f32 v75, 0x3fb8aa3b, v75
	v_exp_f32_e32 v74, v74
	v_cndmask_b32_e64 v86, 0, v77, s11
	v_fma_f32 v77, s19, v125, -v71
	s_delay_alu instid0(VALU_DEP_3) | instskip(SKIP_3) | instid1(VALU_DEP_3)
	v_add_f32_e32 v72, v72, v87
	v_mul_f32_e32 v76, 0x3fb8aa3b, v76
	v_exp_f32_e32 v75, v75
	v_cndmask_b32_e64 v88, 0, v88, s13
	v_add_f32_e32 v72, v72, v86
	s_delay_alu instid0(VALU_DEP_3) | instskip(NEXT) | instid1(TRANS32_DEP_3)
	v_exp_f32_e32 v76, v76
	v_cndmask_b32_e64 v89, 0, v74, s12
	v_mul_f32_e32 v74, 0x3fb8aa3b, v77
	v_fma_f32 v77, s19, v126, -v71
	s_delay_alu instid0(VALU_DEP_3) | instskip(NEXT) | instid1(VALU_DEP_3)
	v_add_f32_e32 v72, v72, v89
	v_exp_f32_e32 v74, v74
	s_delay_alu instid0(TRANS32_DEP_3) | instskip(NEXT) | instid1(VALU_DEP_3)
	v_cndmask_b32_e64 v91, 0, v75, s15
	v_mul_f32_e32 v75, 0x3fb8aa3b, v77
	s_delay_alu instid0(TRANS32_DEP_2) | instskip(SKIP_1) | instid1(VALU_DEP_3)
	v_cndmask_b32_e64 v90, 0, v76, s16
	v_add_f32_e32 v72, v72, v88
	v_exp_f32_e32 v75, v75
	s_delay_alu instid0(VALU_DEP_1) | instskip(NEXT) | instid1(TRANS32_DEP_2)
	v_add_f32_e32 v72, v72, v91
	v_cndmask_b32_e64 v93, 0, v74, s17
	s_delay_alu instid0(VALU_DEP_2) | instskip(SKIP_3) | instid1(VALU_DEP_1)
	v_add_f32_e32 v72, v72, v90
	s_waitcnt_depctr 0xfff
	v_cndmask_b32_e64 v92, 0, v75, s18
	v_add_f32_e32 v72, v72, v93
	v_add_f32_e32 v72, v72, v92
	ds_bpermute_b32 v73, v73, v72
	s_and_saveexec_b32 s4, s3
	s_cbranch_execz .LBB1132_12
; %bb.11:
	v_mul_u32_u24_e32 v70, 0x44, v69
	s_waitcnt lgkmcnt(0)
	v_add_f32_e32 v72, v72, v73
	s_delay_alu instid0(VALU_DEP_2) | instskip(NEXT) | instid1(VALU_DEP_1)
	v_lshl_add_u32 v70, v68, 2, v70
	v_add_nc_u32_e32 v70, 0x4000, v70
	ds_store_2addr_b32 v70, v71, v72 offset1:136
.LBB1132_12:
	s_or_b32 exec_lo, exec_lo, s4
	v_lshlrev_b32_e32 v70, 2, v68
	s_load_b32 s36, s[0:1], 0x94
	s_waitcnt lgkmcnt(0)
	s_barrier
	buffer_gl0_inv
	v_add_nc_u32_e32 v98, 0x4000, v70
	v_cmp_eq_u32_e32 vcc_lo, 1, v69
	v_cmp_eq_u32_e64 s4, 2, v69
	v_cmp_eq_u32_e64 s5, 3, v69
	;; [unrolled: 1-line block ×3, first 2 shown]
	ds_load_2addr_b32 v[70:71], v98 offset1:17
	ds_load_2addr_b32 v[72:73], v98 offset0:34 offset1:51
	ds_load_2addr_b32 v[74:75], v98 offset0:68 offset1:85
	ds_load_2addr_b32 v[94:95], v98 offset0:102 offset1:119
	v_cmp_eq_u32_e64 s7, 5, v69
	v_cmp_eq_u32_e64 s8, 7, v69
	s_waitcnt lgkmcnt(3)
	v_max3_f32 v76, v70, 0xff7fffff, v71
	s_waitcnt lgkmcnt(2)
	s_delay_alu instid0(VALU_DEP_1) | instskip(SKIP_1) | instid1(VALU_DEP_1)
	v_max3_f32 v76, v76, v72, v73
	s_waitcnt lgkmcnt(1)
	v_max3_f32 v76, v76, v74, v75
	s_waitcnt lgkmcnt(0)
	s_delay_alu instid0(VALU_DEP_1) | instskip(NEXT) | instid1(VALU_DEP_1)
	v_max3_f32 v76, v76, v94, v95
	v_sub_f32_e32 v77, v71, v76
	ds_load_2addr_b32 v[96:97], v98 offset0:136 offset1:153
	v_sub_f32_e32 v74, v74, v76
	v_sub_f32_e32 v70, v70, v76
	v_sub_f32_e32 v94, v94, v76
	v_dual_sub_f32 v72, v72, v76 :: v_dual_mul_f32 v77, 0x3fb8aa3b, v77
	s_delay_alu instid0(VALU_DEP_4) | instskip(NEXT) | instid1(VALU_DEP_4)
	v_mul_f32_e32 v103, 0x3fb8aa3b, v74
	v_mul_f32_e32 v99, 0x3fb8aa3b, v70
	ds_load_2addr_b32 v[70:71], v98 offset0:170 offset1:187
	v_dual_mul_f32 v101, 0x3fb8aa3b, v72 :: v_dual_mul_f32 v94, 0x3fb8aa3b, v94
	v_exp_f32_e32 v102, v77
	v_exp_f32_e32 v99, v99
	s_delay_alu instid0(VALU_DEP_1) | instskip(NEXT) | instid1(VALU_DEP_1)
	v_exp_f32_e32 v101, v101
	v_exp_f32_e32 v94, v94
	s_waitcnt lgkmcnt(1)
	s_delay_alu instid0(TRANS32_DEP_3)
	v_fma_f32 v77, v99, v96, 0
	v_sub_f32_e32 v100, v73, v76
	ds_load_2addr_b32 v[72:73], v98 offset0:204 offset1:221
	v_fmac_f32_e32 v77, v102, v97
	v_exp_f32_e32 v97, v103
	s_waitcnt lgkmcnt(1)
	s_delay_alu instid0(VALU_DEP_1)
	v_dual_fmac_f32 v77, v101, v70 :: v_dual_sub_f32 v96, v75, v76
	ds_load_2addr_b32 v[74:75], v98 offset0:238 offset1:255
	v_sub_f32_e32 v70, v95, v76
	s_waitcnt lgkmcnt(0)
	s_barrier
	v_mul_f32_e32 v96, 0x3fb8aa3b, v96
	buffer_gl0_inv
	v_exp_f32_e32 v95, v96
	v_mul_f32_e32 v100, 0x3fb8aa3b, v100
	s_delay_alu instid0(VALU_DEP_1) | instskip(SKIP_3) | instid1(VALU_DEP_2)
	v_exp_f32_e32 v100, v100
	s_waitcnt_depctr 0xfff
	v_dual_fmac_f32 v77, v100, v71 :: v_dual_mul_f32 v70, 0x3fb8aa3b, v70
	v_cndmask_b32_e32 v71, v99, v102, vcc_lo
	v_fmac_f32_e32 v77, v97, v72
	s_delay_alu instid0(VALU_DEP_3) | instskip(NEXT) | instid1(VALU_DEP_1)
	v_exp_f32_e32 v96, v70
	v_fmac_f32_e32 v77, v95, v73
	s_delay_alu instid0(VALU_DEP_1) | instskip(SKIP_2) | instid1(VALU_DEP_1)
	v_fmac_f32_e32 v77, v94, v74
	s_waitcnt_depctr 0xfff
	v_fmac_f32_e32 v77, v96, v75
	v_add_f32_e32 v74, 0x358637bd, v77
	s_delay_alu instid0(VALU_DEP_1) | instskip(SKIP_1) | instid1(VALU_DEP_2)
	v_div_scale_f32 v98, null, v74, v74, 1.0
	v_div_scale_f32 v99, vcc_lo, 1.0, v74, 1.0
	v_rcp_f32_e32 v103, v98
	s_waitcnt_depctr 0xfff
	v_fma_f32 v70, -v98, v103, 1.0
	s_delay_alu instid0(VALU_DEP_1) | instskip(SKIP_2) | instid1(VALU_DEP_2)
	v_fmac_f32_e32 v103, v70, v103
	v_cndmask_b32_e64 v70, v71, v101, s4
	v_cmp_eq_u32_e64 s4, 6, v69
	v_cndmask_b32_e64 v71, v70, v100, s5
	s_delay_alu instid0(VALU_DEP_4) | instskip(NEXT) | instid1(VALU_DEP_2)
	v_dual_mul_f32 v101, v99, v103 :: v_dual_lshlrev_b32 v70, 2, v66
	v_cndmask_b32_e64 v71, v71, v97, s6
	s_delay_alu instid0(VALU_DEP_2) | instskip(NEXT) | instid1(VALU_DEP_3)
	v_or_b32_e32 v72, 1, v70
	v_fma_f32 v100, -v98, v101, v99
	v_cmp_eq_u32_e64 s5, 1, v70
	v_cmp_eq_u32_e64 s6, 2, v70
	v_cndmask_b32_e64 v95, v71, v95, s7
	v_or_b32_e32 v71, 3, v70
	v_fmac_f32_e32 v101, v100, v103
	v_cmp_eq_u32_e64 s10, 1, v72
	v_cmp_eq_u32_e64 s13, 2, v72
	v_cndmask_b32_e64 v94, v95, v94, s4
	v_cmp_eq_u32_e64 s12, 1, v71
	v_fma_f32 v97, -v98, v101, v99
	v_cmp_eq_u32_e64 s17, 2, v71
	v_cmp_eq_u32_e64 s15, 3, v72
	v_cndmask_b32_e64 v94, v94, v96, s8
	v_cmp_eq_u32_e64 s19, 3, v71
	v_div_fmas_f32 v95, v97, v103, v101
	v_cmp_eq_u32_e32 vcc_lo, 3, v70
	v_cmp_eq_u32_e64 s4, 4, v70
	v_cmp_eq_u32_e64 s20, 4, v72
	;; [unrolled: 1-line block ×3, first 2 shown]
	v_div_fixup_f32 v95, v95, v74, 1.0
	v_lshlrev_b32_e32 v73, 6, v68
	v_cmp_eq_u32_e64 s7, 5, v70
	v_cmp_eq_u32_e64 s21, 5, v72
	;; [unrolled: 1-line block ×3, first 2 shown]
	v_mul_f32_e32 v102, v94, v95
	v_lshl_or_b32 v75, v69, 11, v73
	v_or_b32_e32 v69, 2, v70
	v_cmp_eq_u32_e64 s26, 6, v72
	v_cmp_eq_u32_e64 s28, 6, v71
	v_fma_mixlo_f16 v94, v102, v79, 0
	v_fma_mixlo_f16 v95, v102, v81, 0
	;; [unrolled: 1-line block ×8, first 2 shown]
	v_lshl_or_b32 v74, v66, 4, v75
	v_fma_mixhi_f16 v94, v102, v78, 0
	v_fma_mixhi_f16 v95, v102, v80, 0
	;; [unrolled: 1-line block ×8, first 2 shown]
	ds_store_b128 v74, v[94:97]
	ds_store_b128 v74, v[98:101] offset:1024
	s_waitcnt lgkmcnt(0)
	s_barrier
	buffer_gl0_inv
	ds_load_b128 v[78:81], v75
	ds_load_b128 v[82:85], v75 offset:16
	ds_load_b128 v[86:89], v75 offset:1024
	;; [unrolled: 1-line block ×3, first 2 shown]
	v_cmp_eq_u32_e64 s11, 1, v69
	v_cmp_eq_u32_e64 s16, 2, v69
	;; [unrolled: 1-line block ×11, first 2 shown]
	s_waitcnt lgkmcnt(3)
	v_lshrrev_b32_e32 v94, 16, v78
	s_waitcnt lgkmcnt(2)
	v_lshrrev_b32_e32 v98, 16, v82
	;; [unrolled: 2-line block ×4, first 2 shown]
	v_lshrrev_b32_e32 v95, 16, v79
	v_cndmask_b32_e64 v110, v78, v94, s5
	v_cndmask_b32_e64 v111, v82, v98, s5
	;; [unrolled: 1-line block ×8, first 2 shown]
	v_lshrrev_b32_e32 v99, 16, v83
	v_cndmask_b32_e64 v94, v86, v102, s5
	v_cndmask_b32_e64 v98, v90, v106, s5
	;; [unrolled: 1-line block ×15, first 2 shown]
	v_lshrrev_b32_e32 v103, 16, v87
	v_lshrrev_b32_e32 v107, 16, v91
	v_cndmask_b32_e64 v113, v115, v83, s16
	v_cndmask_b32_e64 v82, v94, v87, s6
	;; [unrolled: 1-line block ×7, first 2 shown]
	v_cndmask_b32_e32 v90, v102, v95, vcc_lo
	v_cndmask_b32_e32 v102, v106, v99, vcc_lo
	v_cndmask_b32_e64 v106, v110, v95, s15
	v_cndmask_b32_e64 v110, v111, v99, s15
	v_cndmask_b32_e64 v78, v78, v95, s19
	v_cndmask_b32_e64 v79, v79, v99, s19
	v_lshrrev_b32_e32 v96, 16, v80
	v_lshrrev_b32_e32 v100, 16, v84
	v_cndmask_b32_e64 v111, v112, v95, s18
	v_cndmask_b32_e64 v112, v113, v99, s18
	v_cndmask_b32_e32 v82, v82, v103, vcc_lo
	v_cndmask_b32_e32 v83, v83, v107, vcc_lo
	v_cndmask_b32_e64 v94, v94, v103, s15
	v_cndmask_b32_e64 v90, v90, v80, s4
	;; [unrolled: 1-line block ×7, first 2 shown]
	v_lshrrev_b32_e32 v104, 16, v88
	v_cndmask_b32_e64 v106, v111, v80, s22
	v_cndmask_b32_e64 v110, v112, v84, s22
	;; [unrolled: 1-line block ×11, first 2 shown]
	v_lshrrev_b32_e32 v97, 16, v81
	v_lshrrev_b32_e32 v101, 16, v85
	v_cndmask_b32_e64 v99, v106, v96, s24
	v_cndmask_b32_e64 v102, v110, v100, s24
	;; [unrolled: 1-line block ×7, first 2 shown]
	v_lshrrev_b32_e32 v105, 16, v89
	v_cndmask_b32_e64 v80, v80, v104, s7
	v_cndmask_b32_e64 v84, v84, v81, s8
	;; [unrolled: 1-line block ×16, first 2 shown]
	v_perm_b32 v81, v79, v78, 0x5040100
	v_perm_b32 v79, v95, v85, 0x5040100
	v_cndmask_b32_e64 v78, v119, v91, s16
	v_cndmask_b32_e64 v85, v117, v91, s13
	;; [unrolled: 1-line block ×3, first 2 shown]
	v_perm_b32 v80, v94, v90, 0x5040100
	v_cndmask_b32_e64 v90, v98, v103, s18
	v_cndmask_b32_e64 v86, v86, v103, s19
	v_cndmask_b32_e64 v87, v87, v107, s19
	v_cndmask_b32_e64 v78, v78, v107, s18
	v_cndmask_b32_e64 v85, v85, v107, s15
	v_lshrrev_b32_e32 v108, 16, v92
	v_cndmask_b32_e64 v90, v90, v88, s22
	v_cndmask_b32_e64 v86, v86, v88, s23
	;; [unrolled: 1-line block ×11, first 2 shown]
	v_lshrrev_b32_e32 v109, 16, v93
	v_cndmask_b32_e64 v82, v82, v93, s8
	v_cndmask_b32_e64 v88, v88, v89, s27
	;; [unrolled: 1-line block ×12, first 2 shown]
	v_perm_b32 v78, v84, v83, 0x5040100
	v_perm_b32 v85, v87, v86, 0x5040100
	;; [unrolled: 1-line block ×5, first 2 shown]
	s_mul_i32 s9, s35, 15
	s_mov_b32 s4, exec_lo
	ds_store_b128 v74, v[78:81]
	ds_store_b128 v74, v[82:85] offset:1024
	v_cmpx_gt_u32_e32 15, v0
	s_cbranch_execz .LBB1132_14
; %bb.13:
	s_mul_i32 s5, s9, s34
	s_load_b128 s[16:19], s[0:1], 0x58
	v_add3_u32 v68, s5, s33, v68
	s_delay_alu instid0(VALU_DEP_1) | instskip(NEXT) | instid1(VALU_DEP_1)
	v_mad_u64_u32 v[78:79], null, v68, s36, s[14:15]
	v_ashrrev_i32_e32 v79, 31, v78
	s_delay_alu instid0(VALU_DEP_1) | instskip(SKIP_1) | instid1(VALU_DEP_1)
	v_lshlrev_b64 v[78:79], 2, v[78:79]
	s_waitcnt lgkmcnt(0)
	v_add_co_u32 v80, vcc_lo, s18, v78
	s_delay_alu instid0(VALU_DEP_2)
	v_add_co_ci_u32_e32 v81, vcc_lo, s19, v79, vcc_lo
	v_add_co_u32 v78, vcc_lo, s16, v78
	v_add_co_ci_u32_e32 v79, vcc_lo, s17, v79, vcc_lo
	global_store_b32 v[80:81], v76, off
	global_store_b32 v[78:79], v77, off
.LBB1132_14:
	s_or_b32 exec_lo, exec_lo, s4
	s_waitcnt lgkmcnt(0)
	s_waitcnt_vscnt null, 0x0
	s_barrier
	buffer_gl0_inv
	ds_load_b128 v[84:87], v73
	ds_load_b128 v[88:91], v73 offset:16
	ds_load_b128 v[96:99], v73 offset:2064
	;; [unrolled: 1-line block ×5, first 2 shown]
	v_cmp_eq_u32_e32 vcc_lo, 1, v70
	v_mov_b32_e32 v76, 0
	ds_load_b128 v[112:115], v73 offset:6160
	ds_load_b128 v[108:111], v73 offset:6144
	;; [unrolled: 1-line block ×4, first 2 shown]
	v_cmp_eq_u32_e64 s5, 1, v69
	v_cmp_eq_u32_e64 s4, 1, v72
	;; [unrolled: 1-line block ×3, first 2 shown]
	v_mov_b32_e32 v77, v76
	v_mov_b32_e32 v78, v76
	v_mov_b32_e32 v79, v76
	v_mov_b32_e32 v80, v76
	v_mov_b32_e32 v81, v76
	v_mov_b32_e32 v82, v76
	v_mov_b32_e32 v83, v76
	v_cmp_eq_u32_e64 s7, 3, v72
	v_cmp_eq_u32_e64 s8, 7, v72
	s_waitcnt lgkmcnt(8)
	s_delay_alu instid0(VALU_DEP_3)
	v_wmma_f32_16x16x16_f16 v[76:83], v[49:56], v[84:91], v[76:83]
	ds_load_b128 v[53:56], v73 offset:10256
	ds_load_b128 v[49:52], v73 offset:10240
	s_waitcnt lgkmcnt(8)
	v_wmma_f32_16x16x16_f16 v[76:83], v[41:48], v[92:99], v[76:83]
	ds_load_b128 v[45:48], v73 offset:12304
	ds_load_b128 v[41:44], v73 offset:12288
	s_waitcnt lgkmcnt(8)
	;; [unrolled: 4-line block ×3, first 2 shown]
	s_barrier
	buffer_gl0_inv
	v_wmma_f32_16x16x16_f16 v[76:83], v[1:8], v[108:115], v[76:83]
	s_delay_alu instid0(VALU_DEP_1) | instskip(NEXT) | instid1(VALU_DEP_1)
	v_wmma_f32_16x16x16_f16 v[76:83], v[9:16], v[116:123], v[76:83]
	v_wmma_f32_16x16x16_f16 v[76:83], v[17:24], v[49:56], v[76:83]
	s_delay_alu instid0(VALU_DEP_1) | instskip(NEXT) | instid1(VALU_DEP_1)
	v_wmma_f32_16x16x16_f16 v[76:83], v[25:32], v[41:48], v[76:83]
	v_wmma_f32_16x16x16_f16 v[76:83], v[57:64], v[33:40], v[76:83]
	s_delay_alu instid0(VALU_DEP_1) | instskip(NEXT) | instid1(VALU_DEP_2)
	v_cvt_f16_f32_e32 v1, v76
	v_cvt_f16_f32_e32 v2, v77
	s_delay_alu instid0(VALU_DEP_3) | instskip(NEXT) | instid1(VALU_DEP_4)
	v_cvt_f16_f32_e32 v3, v78
	v_cvt_f16_f32_e32 v4, v79
	v_cvt_f16_f32_e32 v5, v80
	v_cvt_f16_f32_e32 v6, v81
	v_cvt_f16_f32_e32 v7, v82
	v_cvt_f16_f32_e32 v8, v83
	v_pack_b32_f16 v1, v1, v2
	v_pack_b32_f16 v2, v3, v4
	;; [unrolled: 1-line block ×3, first 2 shown]
	s_delay_alu instid0(VALU_DEP_4)
	v_pack_b32_f16 v4, v7, v8
	ds_store_b128 v74, v[1:4]
	s_waitcnt lgkmcnt(0)
	s_barrier
	buffer_gl0_inv
	ds_load_b128 v[1:4], v75
	ds_load_b128 v[5:8], v75 offset:16
	s_waitcnt lgkmcnt(1)
	v_lshrrev_b32_e32 v9, 16, v1
	s_waitcnt lgkmcnt(0)
	v_lshrrev_b32_e32 v13, 16, v5
	v_lshrrev_b32_e32 v10, 16, v2
	;; [unrolled: 1-line block ×4, first 2 shown]
	v_cndmask_b32_e32 v17, v1, v9, vcc_lo
	v_cndmask_b32_e32 v18, v5, v13, vcc_lo
	v_cndmask_b32_e64 v21, v1, v9, s5
	v_cmp_eq_u32_e32 vcc_lo, 1, v71
	v_cndmask_b32_e64 v22, v5, v13, s5
	v_cmp_eq_u32_e64 s5, 2, v70
	v_cndmask_b32_e64 v19, v1, v9, s4
	v_cndmask_b32_e64 v20, v5, v13, s4
	v_cndmask_b32_e32 v1, v1, v9, vcc_lo
	v_cmp_eq_u32_e64 s4, 2, v71
	v_cndmask_b32_e32 v5, v5, v13, vcc_lo
	v_cndmask_b32_e64 v9, v17, v2, s5
	v_cmp_eq_u32_e32 vcc_lo, 3, v70
	v_cndmask_b32_e64 v13, v18, v6, s5
	v_cmp_eq_u32_e64 s5, 2, v69
	v_cndmask_b32_e64 v17, v19, v2, s6
	v_cndmask_b32_e64 v18, v20, v6, s6
	v_cmp_eq_u32_e64 s6, 3, v69
	v_cndmask_b32_e64 v1, v1, v2, s4
	v_cndmask_b32_e64 v19, v21, v2, s5
	;; [unrolled: 1-line block ×4, first 2 shown]
	v_cndmask_b32_e32 v5, v9, v10, vcc_lo
	v_cndmask_b32_e32 v6, v13, v14, vcc_lo
	v_cmp_eq_u32_e32 vcc_lo, 3, v71
	v_cndmask_b32_e64 v9, v17, v10, s7
	v_cndmask_b32_e64 v13, v18, v14, s7
	;; [unrolled: 1-line block ×3, first 2 shown]
	v_cmp_eq_u32_e64 s5, 4, v70
	v_cndmask_b32_e32 v1, v1, v10, vcc_lo
	v_cndmask_b32_e32 v2, v2, v14, vcc_lo
	v_cmp_eq_u32_e32 vcc_lo, 4, v72
	v_lshrrev_b32_e32 v15, 16, v7
	v_lshrrev_b32_e32 v16, 16, v8
	v_cndmask_b32_e64 v17, v19, v10, s6
	v_cmp_eq_u32_e64 s4, 4, v71
	v_cndmask_b32_e64 v5, v5, v3, s5
	v_cndmask_b32_e64 v6, v6, v7, s5
	v_cndmask_b32_e32 v9, v9, v3, vcc_lo
	v_cmp_eq_u32_e64 s5, 5, v72
	v_cndmask_b32_e32 v10, v13, v7, vcc_lo
	v_cmp_eq_u32_e32 vcc_lo, 4, v69
	v_cmp_eq_u32_e64 s6, 5, v70
	v_cndmask_b32_e64 v2, v2, v7, s4
	v_cndmask_b32_e64 v9, v9, v11, s5
	;; [unrolled: 1-line block ×3, first 2 shown]
	v_cndmask_b32_e32 v13, v17, v3, vcc_lo
	v_cmp_eq_u32_e64 s5, 5, v69
	v_cndmask_b32_e32 v14, v18, v7, vcc_lo
	v_cndmask_b32_e64 v1, v1, v3, s4
	v_cmp_eq_u32_e32 vcc_lo, 5, v71
	v_lshrrev_b32_e32 v12, 16, v4
	v_cndmask_b32_e64 v13, v13, v11, s5
	v_cndmask_b32_e64 v3, v14, v15, s5
	v_cmp_eq_u32_e64 s5, 6, v71
	v_cndmask_b32_e32 v1, v1, v11, vcc_lo
	v_cndmask_b32_e64 v5, v5, v11, s6
	v_cmp_eq_u32_e64 s7, 6, v70
	v_cndmask_b32_e64 v6, v6, v15, s6
	v_cmp_eq_u32_e64 s6, 6, v72
	v_cmp_eq_u32_e64 s4, 6, v69
	v_cndmask_b32_e64 v1, v1, v4, s5
	v_cndmask_b32_e32 v2, v2, v15, vcc_lo
	v_cmp_eq_u32_e32 vcc_lo, 7, v71
	v_cndmask_b32_e64 v5, v5, v4, s7
	v_cndmask_b32_e64 v9, v9, v4, s6
	;; [unrolled: 1-line block ×3, first 2 shown]
	v_cmp_eq_u32_e64 s7, 7, v70
	v_cndmask_b32_e32 v1, v1, v12, vcc_lo
	v_cndmask_b32_e64 v7, v13, v4, s4
	v_cndmask_b32_e64 v3, v3, v8, s4
	;; [unrolled: 1-line block ×3, first 2 shown]
	v_cmp_eq_u32_e64 s4, 7, v69
	v_cndmask_b32_e64 v4, v10, v8, s6
	v_cndmask_b32_e64 v5, v5, v12, s7
	;; [unrolled: 1-line block ×3, first 2 shown]
	v_cndmask_b32_e32 v2, v2, v16, vcc_lo
	v_cndmask_b32_e64 v7, v7, v12, s4
	v_cndmask_b32_e64 v3, v3, v16, s4
	v_cndmask_b32_e64 v8, v4, v16, s8
	v_cndmask_b32_e64 v6, v6, v16, s7
	v_cmp_gt_u32_e32 vcc_lo, 32, v0
	v_perm_b32 v4, v2, v1, 0x5040100
	v_perm_b32 v3, v3, v7, 0x5040100
	;; [unrolled: 1-line block ×4, first 2 shown]
	s_and_b32 s2, vcc_lo, s2
	ds_store_b128 v74, v[1:4]
	s_waitcnt lgkmcnt(0)
	s_barrier
	buffer_gl0_inv
	s_and_saveexec_b32 s4, s2
	s_cbranch_execz .LBB1132_2
; %bb.15:
	s_load_b64 s[4:5], s[0:1], 0x68
	v_add_nc_u32_e32 v20, s33, v66
	v_lshlrev_b32_e32 v0, 10, v0
	v_lshlrev_b32_e32 v1, 4, v67
	s_lshl_b32 s0, s36, 6
	s_delay_alu instid0(SALU_CYCLE_1)
	s_mul_i32 s1, s0, s34
	v_add_nc_u32_e32 v2, 2, v20
	s_mul_i32 s6, s1, s9
	v_and_or_b32 v0, 0x3800, v0, v1
	v_mul_lo_u32 v1, v20, s0
	s_ashr_i32 s7, s6, 31
	v_mul_lo_u32 v11, v2, s0
	s_lshl_b64 s[6:7], s[6:7], 1
	v_add_nc_u32_e32 v3, 4, v20
	v_lshl_or_b32 v21, v66, 6, v0
	v_add_nc_u32_e32 v16, 6, v20
	v_ashrrev_i32_e32 v2, 31, v1
	s_delay_alu instid0(VALU_DEP_4)
	v_mul_lo_u32 v13, v3, s0
	s_waitcnt lgkmcnt(0)
	s_add_u32 s1, s4, s6
	s_addc_u32 s2, s5, s7
	s_lshl_b32 s4, s14, 6
	ds_load_b128 v[3:6], v21
	ds_load_b128 v[7:10], v21 offset:128
	s_ashr_i32 s5, s4, 31
	v_ashrrev_i32_e32 v12, 31, v11
	s_lshl_b64 s[4:5], s[4:5], 1
	v_lshlrev_b64 v[14:15], 1, v[1:2]
	s_add_u32 s1, s1, s4
	s_addc_u32 s2, s2, s5
	v_add_co_u32 v1, s1, s1, v65
	s_delay_alu instid0(VALU_DEP_1) | instskip(SKIP_1) | instid1(VALU_DEP_3)
	v_add_co_ci_u32_e64 v2, null, s2, 0, s1
	v_lshlrev_b64 v[11:12], 1, v[11:12]
	v_add_co_u32 v18, vcc_lo, v1, v14
	v_mul_lo_u32 v16, v16, s0
	s_delay_alu instid0(VALU_DEP_4) | instskip(NEXT) | instid1(VALU_DEP_4)
	v_add_co_ci_u32_e32 v19, vcc_lo, v2, v15, vcc_lo
	v_add_co_u32 v11, vcc_lo, v1, v11
	v_ashrrev_i32_e32 v14, 31, v13
	v_add_co_ci_u32_e32 v12, vcc_lo, v2, v12, vcc_lo
	v_add_nc_u32_e32 v15, 8, v20
	v_ashrrev_i32_e32 v17, 31, v16
	s_waitcnt lgkmcnt(1)
	global_store_b128 v[18:19], v[3:6], off
	v_lshlrev_b64 v[3:4], 1, v[13:14]
	s_waitcnt lgkmcnt(0)
	global_store_b128 v[11:12], v[7:10], off
	v_mul_lo_u32 v11, v15, s0
	v_add_nc_u32_e32 v7, 10, v20
	v_lshlrev_b64 v[5:6], 1, v[16:17]
	v_add_co_u32 v23, vcc_lo, v1, v3
	v_add_nc_u32_e32 v3, 12, v20
	s_delay_alu instid0(VALU_DEP_4)
	v_mul_lo_u32 v25, v7, s0
	v_ashrrev_i32_e32 v12, 31, v11
	v_add_co_ci_u32_e32 v24, vcc_lo, v2, v4, vcc_lo
	v_add_co_u32 v27, vcc_lo, v1, v5
	v_mul_lo_u32 v29, v3, s0
	v_add_co_ci_u32_e32 v28, vcc_lo, v2, v6, vcc_lo
	ds_load_b128 v[3:6], v21 offset:256
	ds_load_b128 v[7:10], v21 offset:384
	v_lshlrev_b64 v[31:32], 1, v[11:12]
	ds_load_b128 v[11:14], v21 offset:512
	ds_load_b128 v[15:18], v21 offset:640
	;; [unrolled: 1-line block ×3, first 2 shown]
	v_ashrrev_i32_e32 v26, 31, v25
	v_ashrrev_i32_e32 v30, 31, v29
	v_add_co_u32 v31, vcc_lo, v1, v31
	s_delay_alu instid0(VALU_DEP_3) | instskip(NEXT) | instid1(VALU_DEP_3)
	v_lshlrev_b64 v[25:26], 1, v[25:26]
	v_lshlrev_b64 v[29:30], 1, v[29:30]
	v_add_co_ci_u32_e32 v32, vcc_lo, v2, v32, vcc_lo
	s_delay_alu instid0(VALU_DEP_3) | instskip(NEXT) | instid1(VALU_DEP_4)
	v_add_co_u32 v25, vcc_lo, v1, v25
	v_add_co_ci_u32_e32 v26, vcc_lo, v2, v26, vcc_lo
	s_delay_alu instid0(VALU_DEP_4)
	v_add_co_u32 v29, vcc_lo, v1, v29
	v_add_co_ci_u32_e32 v30, vcc_lo, v2, v30, vcc_lo
	s_waitcnt lgkmcnt(4)
	global_store_b128 v[23:24], v[3:6], off
	s_waitcnt lgkmcnt(3)
	global_store_b128 v[27:28], v[7:10], off
	;; [unrolled: 2-line block ×5, first 2 shown]
	s_and_b32 exec_lo, exec_lo, s3
	s_cbranch_execz .LBB1132_2
; %bb.16:
	ds_load_b128 v[3:6], v0 offset:896
	s_add_i32 s1, s33, 14
	s_delay_alu instid0(SALU_CYCLE_1) | instskip(NEXT) | instid1(SALU_CYCLE_1)
	s_mul_i32 s0, s1, s0
	s_ashr_i32 s1, s0, 31
	s_delay_alu instid0(SALU_CYCLE_1) | instskip(NEXT) | instid1(SALU_CYCLE_1)
	s_lshl_b64 s[0:1], s[0:1], 1
	v_add_co_u32 v0, vcc_lo, v1, s0
	v_add_co_ci_u32_e32 v1, vcc_lo, s1, v2, vcc_lo
	s_waitcnt lgkmcnt(0)
	global_store_b128 v[0:1], v[3:6], off
	s_nop 0
	s_sendmsg sendmsg(MSG_DEALLOC_VGPRS)
	s_endpgm
	.section	.rodata,"a",@progbits
	.p2align	6, 0x0
	.amdhsa_kernel _Z39paged_attention_ll4mi_QKV_mfma16_kernelIDF16_hLN4vllm18Fp8KVCacheDataTypeE1EDF16_Li16ELi64ELi256ELb1ELi15EL8MFMAType0EEvPKT_PKT0_S8_ifPKiSA_SA_iPKfiiiPfSD_PS3_PT2_iSC_SC_
		.amdhsa_group_segment_fixed_size 17472
		.amdhsa_private_segment_fixed_size 0
		.amdhsa_kernarg_size 400
		.amdhsa_user_sgpr_count 13
		.amdhsa_user_sgpr_dispatch_ptr 0
		.amdhsa_user_sgpr_queue_ptr 0
		.amdhsa_user_sgpr_kernarg_segment_ptr 1
		.amdhsa_user_sgpr_dispatch_id 0
		.amdhsa_user_sgpr_private_segment_size 0
		.amdhsa_wavefront_size32 1
		.amdhsa_uses_dynamic_stack 0
		.amdhsa_enable_private_segment 0
		.amdhsa_system_sgpr_workgroup_id_x 1
		.amdhsa_system_sgpr_workgroup_id_y 1
		.amdhsa_system_sgpr_workgroup_id_z 1
		.amdhsa_system_sgpr_workgroup_info 0
		.amdhsa_system_vgpr_workitem_id 0
		.amdhsa_next_free_vgpr 146
		.amdhsa_next_free_sgpr 37
		.amdhsa_reserve_vcc 1
		.amdhsa_float_round_mode_32 0
		.amdhsa_float_round_mode_16_64 0
		.amdhsa_float_denorm_mode_32 3
		.amdhsa_float_denorm_mode_16_64 3
		.amdhsa_dx10_clamp 1
		.amdhsa_ieee_mode 1
		.amdhsa_fp16_overflow 0
		.amdhsa_workgroup_processor_mode 1
		.amdhsa_memory_ordered 1
		.amdhsa_forward_progress 0
		.amdhsa_shared_vgpr_count 0
		.amdhsa_exception_fp_ieee_invalid_op 0
		.amdhsa_exception_fp_denorm_src 0
		.amdhsa_exception_fp_ieee_div_zero 0
		.amdhsa_exception_fp_ieee_overflow 0
		.amdhsa_exception_fp_ieee_underflow 0
		.amdhsa_exception_fp_ieee_inexact 0
		.amdhsa_exception_int_div_zero 0
	.end_amdhsa_kernel
	.section	.text._Z39paged_attention_ll4mi_QKV_mfma16_kernelIDF16_hLN4vllm18Fp8KVCacheDataTypeE1EDF16_Li16ELi64ELi256ELb1ELi15EL8MFMAType0EEvPKT_PKT0_S8_ifPKiSA_SA_iPKfiiiPfSD_PS3_PT2_iSC_SC_,"axG",@progbits,_Z39paged_attention_ll4mi_QKV_mfma16_kernelIDF16_hLN4vllm18Fp8KVCacheDataTypeE1EDF16_Li16ELi64ELi256ELb1ELi15EL8MFMAType0EEvPKT_PKT0_S8_ifPKiSA_SA_iPKfiiiPfSD_PS3_PT2_iSC_SC_,comdat
.Lfunc_end1132:
	.size	_Z39paged_attention_ll4mi_QKV_mfma16_kernelIDF16_hLN4vllm18Fp8KVCacheDataTypeE1EDF16_Li16ELi64ELi256ELb1ELi15EL8MFMAType0EEvPKT_PKT0_S8_ifPKiSA_SA_iPKfiiiPfSD_PS3_PT2_iSC_SC_, .Lfunc_end1132-_Z39paged_attention_ll4mi_QKV_mfma16_kernelIDF16_hLN4vllm18Fp8KVCacheDataTypeE1EDF16_Li16ELi64ELi256ELb1ELi15EL8MFMAType0EEvPKT_PKT0_S8_ifPKiSA_SA_iPKfiiiPfSD_PS3_PT2_iSC_SC_
                                        ; -- End function
	.section	.AMDGPU.csdata,"",@progbits
; Kernel info:
; codeLenInByte = 6752
; NumSgprs: 39
; NumVgprs: 146
; ScratchSize: 0
; MemoryBound: 0
; FloatMode: 240
; IeeeMode: 1
; LDSByteSize: 17472 bytes/workgroup (compile time only)
; SGPRBlocks: 4
; VGPRBlocks: 18
; NumSGPRsForWavesPerEU: 39
; NumVGPRsForWavesPerEU: 146
; Occupancy: 9
; WaveLimiterHint : 1
; COMPUTE_PGM_RSRC2:SCRATCH_EN: 0
; COMPUTE_PGM_RSRC2:USER_SGPR: 13
; COMPUTE_PGM_RSRC2:TRAP_HANDLER: 0
; COMPUTE_PGM_RSRC2:TGID_X_EN: 1
; COMPUTE_PGM_RSRC2:TGID_Y_EN: 1
; COMPUTE_PGM_RSRC2:TGID_Z_EN: 1
; COMPUTE_PGM_RSRC2:TIDIG_COMP_CNT: 0
	.section	.text._Z39paged_attention_ll4mi_QKV_mfma16_kernelIDF16_hLN4vllm18Fp8KVCacheDataTypeE1EDF16_Li16ELi64ELi256ELb1ELi16EL8MFMAType0EEvPKT_PKT0_S8_ifPKiSA_SA_iPKfiiiPfSD_PS3_PT2_iSC_SC_,"axG",@progbits,_Z39paged_attention_ll4mi_QKV_mfma16_kernelIDF16_hLN4vllm18Fp8KVCacheDataTypeE1EDF16_Li16ELi64ELi256ELb1ELi16EL8MFMAType0EEvPKT_PKT0_S8_ifPKiSA_SA_iPKfiiiPfSD_PS3_PT2_iSC_SC_,comdat
	.protected	_Z39paged_attention_ll4mi_QKV_mfma16_kernelIDF16_hLN4vllm18Fp8KVCacheDataTypeE1EDF16_Li16ELi64ELi256ELb1ELi16EL8MFMAType0EEvPKT_PKT0_S8_ifPKiSA_SA_iPKfiiiPfSD_PS3_PT2_iSC_SC_ ; -- Begin function _Z39paged_attention_ll4mi_QKV_mfma16_kernelIDF16_hLN4vllm18Fp8KVCacheDataTypeE1EDF16_Li16ELi64ELi256ELb1ELi16EL8MFMAType0EEvPKT_PKT0_S8_ifPKiSA_SA_iPKfiiiPfSD_PS3_PT2_iSC_SC_
	.globl	_Z39paged_attention_ll4mi_QKV_mfma16_kernelIDF16_hLN4vllm18Fp8KVCacheDataTypeE1EDF16_Li16ELi64ELi256ELb1ELi16EL8MFMAType0EEvPKT_PKT0_S8_ifPKiSA_SA_iPKfiiiPfSD_PS3_PT2_iSC_SC_
	.p2align	8
	.type	_Z39paged_attention_ll4mi_QKV_mfma16_kernelIDF16_hLN4vllm18Fp8KVCacheDataTypeE1EDF16_Li16ELi64ELi256ELb1ELi16EL8MFMAType0EEvPKT_PKT0_S8_ifPKiSA_SA_iPKfiiiPfSD_PS3_PT2_iSC_SC_,@function
_Z39paged_attention_ll4mi_QKV_mfma16_kernelIDF16_hLN4vllm18Fp8KVCacheDataTypeE1EDF16_Li16ELi64ELi256ELb1ELi16EL8MFMAType0EEvPKT_PKT0_S8_ifPKiSA_SA_iPKfiiiPfSD_PS3_PT2_iSC_SC_: ; @_Z39paged_attention_ll4mi_QKV_mfma16_kernelIDF16_hLN4vllm18Fp8KVCacheDataTypeE1EDF16_Li16ELi64ELi256ELb1ELi16EL8MFMAType0EEvPKT_PKT0_S8_ifPKiSA_SA_iPKfiiiPfSD_PS3_PT2_iSC_SC_
; %bb.0:
	s_load_b64 s[2:3], s[0:1], 0x30
	s_mov_b32 s34, s13
	s_waitcnt lgkmcnt(0)
	s_cmp_lg_u64 s[2:3], 0
	s_cselect_b32 s8, -1, 0
	s_ashr_i32 s35, s13, 31
	s_cmp_eq_u64 s[2:3], 0
	s_cbranch_scc1 .LBB1133_3
; %bb.1:
	s_lshl_b64 s[4:5], s[34:35], 2
	s_delay_alu instid0(SALU_CYCLE_1) | instskip(SKIP_4) | instid1(SALU_CYCLE_1)
	s_add_u32 s4, s2, s4
	s_addc_u32 s5, s3, s5
	s_load_b64 s[4:5], s[4:5], 0x0
	s_waitcnt lgkmcnt(0)
	s_sub_i32 s4, s5, s4
	s_cmp_eq_u32 s4, 1
	s_cselect_b32 s4, -1, 0
	s_delay_alu instid0(SALU_CYCLE_1)
	s_and_not1_b32 vcc_lo, exec_lo, s4
	s_cbranch_vccz .LBB1133_4
.LBB1133_2:
	s_endpgm
.LBB1133_3:
.LBB1133_4:
	s_load_b64 s[4:5], s[0:1], 0x28
	s_lshl_b64 s[6:7], s[34:35], 2
	s_waitcnt lgkmcnt(0)
	s_add_u32 s4, s4, s6
	s_addc_u32 s5, s5, s7
	s_lshl_b32 s12, s14, 8
	s_load_b32 s24, s[4:5], 0x0
	s_waitcnt lgkmcnt(0)
	s_cmp_ge_i32 s12, s24
	s_cbranch_scc1 .LBB1133_2
; %bb.5:
	s_clause 0x1
	s_load_b128 s[20:23], s[0:1], 0x8
	s_load_b64 s[4:5], s[0:1], 0x20
	s_and_not1_b32 vcc_lo, exec_lo, s8
	s_cbranch_vccnz .LBB1133_7
; %bb.6:
	s_add_u32 s2, s2, s6
	s_addc_u32 s3, s3, s7
	s_load_b32 s3, s[2:3], 0x0
	s_branch .LBB1133_8
.LBB1133_7:
	s_mov_b32 s3, s34
.LBB1133_8:
	s_load_b128 s[16:19], s[0:1], 0x48
	v_and_b32_e32 v70, 15, v0
	v_cmp_gt_u32_e32 vcc_lo, 0x100, v0
	v_lshrrev_b32_e32 v69, 5, v0
	v_and_b32_e32 v71, 31, v0
	v_and_b32_e32 v67, 1, v0
	v_lshlrev_b32_e32 v1, 3, v70
	v_cmp_gt_u32_e64 s2, 8, v70
	v_bfe_u32 v66, v0, 4, 1
	s_lshl_b32 s31, s15, 4
	s_delay_alu instid0(VALU_DEP_3) | instskip(NEXT) | instid1(VALU_DEP_3)
	v_lshlrev_b32_e32 v65, 1, v1
	s_and_b32 s7, vcc_lo, s2
	s_delay_alu instid0(SALU_CYCLE_1)
	s_and_saveexec_b32 s6, s7
	s_cbranch_execz .LBB1133_10
; %bb.9:
	v_lshl_or_b32 v5, v69, 1, v66
	s_load_b64 s[8:9], s[0:1], 0x0
	s_waitcnt lgkmcnt(0)
	s_mul_hi_i32 s11, s3, s16
	s_mul_i32 s10, s3, s16
	v_lshlrev_b32_e32 v6, 10, v70
	v_or_b32_e32 v1, s31, v5
	s_lshl_b64 s[10:11], s[10:11], 1
	v_lshlrev_b32_e32 v5, 6, v5
	v_lshlrev_b32_e32 v7, 10, v67
	v_and_b32_e32 v6, 0x3800, v6
	v_lshlrev_b32_e32 v1, 6, v1
	s_delay_alu instid0(VALU_DEP_2) | instskip(NEXT) | instid1(VALU_DEP_2)
	v_or3_b32 v5, v6, v7, v5
	v_ashrrev_i32_e32 v2, 31, v1
	s_delay_alu instid0(VALU_DEP_1) | instskip(SKIP_2) | instid1(VALU_DEP_1)
	v_lshlrev_b64 v[1:2], 1, v[1:2]
	s_add_u32 s3, s8, s10
	s_addc_u32 s7, s9, s11
	v_add_co_u32 v1, vcc_lo, s3, v1
	s_delay_alu instid0(VALU_DEP_2) | instskip(NEXT) | instid1(VALU_DEP_2)
	v_add_co_ci_u32_e32 v2, vcc_lo, s7, v2, vcc_lo
	v_add_co_u32 v1, vcc_lo, v1, v65
	s_delay_alu instid0(VALU_DEP_2)
	v_add_co_ci_u32_e32 v2, vcc_lo, 0, v2, vcc_lo
	global_load_b128 v[1:4], v[1:2], off
	s_waitcnt vmcnt(0)
	ds_store_b128 v5, v[1:4]
.LBB1133_10:
	s_or_b32 exec_lo, exec_lo, s6
	v_and_b32_e32 v1, 0xef, v0
	s_waitcnt lgkmcnt(0)
	s_add_i32 s3, s24, 15
	s_clause 0x1
	s_load_b32 s6, s[0:1], 0x38
	s_load_b32 s33, s[0:1], 0x98
	s_ashr_i32 s7, s3, 31
	v_add_nc_u32_e32 v1, s12, v1
	s_lshr_b32 s7, s7, 28
	s_load_b32 s19, s[0:1], 0x1c
	s_add_i32 s3, s3, s7
	s_waitcnt lgkmcnt(0)
	v_ashrrev_i32_e32 v2, 31, v1
	v_or_b32_e32 v3, 16, v1
	s_ashr_i32 s3, s3, 4
	v_cmp_gt_i32_e32 vcc_lo, s24, v1
	s_add_i32 s3, s3, -1
	v_lshrrev_b32_e32 v2, 28, v2
	s_barrier
	buffer_gl0_inv
	s_mul_i32 s27, s15, s18
	v_add_nc_u32_e32 v4, v1, v2
	s_mul_i32 s6, s34, s6
	s_delay_alu instid0(SALU_CYCLE_1) | instskip(NEXT) | instid1(VALU_DEP_1)
	s_ashr_i32 s7, s6, 31
	v_ashrrev_i32_e32 v4, 4, v4
	v_add_nc_u32_e32 v2, v3, v2
	s_lshl_b64 s[6:7], s[6:7], 2
	s_delay_alu instid0(SALU_CYCLE_1) | instskip(NEXT) | instid1(VALU_DEP_2)
	s_add_u32 s26, s4, s6
	v_cndmask_b32_e32 v1, s3, v4, vcc_lo
	s_delay_alu instid0(VALU_DEP_2)
	v_ashrrev_i32_e32 v2, 4, v2
	v_cmp_gt_i32_e32 vcc_lo, s24, v3
	s_addc_u32 s25, s5, s7
	s_ashr_i32 s28, s27, 31
	s_add_u32 s13, s20, s27
	s_addc_u32 s15, s21, s28
	v_cndmask_b32_e32 v3, s3, v2, vcc_lo
	v_ashrrev_i32_e32 v2, 31, v1
	s_lshl_b32 s4, s14, 4
	s_delay_alu instid0(SALU_CYCLE_1) | instskip(NEXT) | instid1(VALU_DEP_2)
	s_ashr_i32 s5, s4, 31
	v_ashrrev_i32_e32 v4, 31, v3
	s_delay_alu instid0(VALU_DEP_2) | instskip(SKIP_1) | instid1(SALU_CYCLE_1)
	v_lshlrev_b64 v[1:2], 2, v[1:2]
	s_lshl_b64 s[4:5], s[4:5], 2
	s_add_u32 s4, s26, s4
	s_delay_alu instid0(VALU_DEP_2) | instskip(SKIP_1) | instid1(VALU_DEP_2)
	v_lshlrev_b64 v[3:4], 2, v[3:4]
	s_addc_u32 s5, s25, s5
	v_add_co_u32 v1, vcc_lo, s26, v1
	v_add_co_ci_u32_e32 v2, vcc_lo, s25, v2, vcc_lo
	s_delay_alu instid0(VALU_DEP_3) | instskip(NEXT) | instid1(VALU_DEP_4)
	v_add_co_u32 v3, vcc_lo, s26, v3
	v_add_co_ci_u32_e32 v4, vcc_lo, s25, v4, vcc_lo
	s_clause 0x1
	global_load_b32 v5, v[1:2], off
	global_load_b32 v7, v[3:4], off
	s_or_b32 s6, s12, 32
	v_lshlrev_b32_e32 v1, 4, v0
	s_ashr_i32 s7, s6, 4
	s_cmp_lt_i32 s6, s24
	s_cselect_b32 s6, s7, s3
	s_delay_alu instid0(VALU_DEP_1) | instskip(SKIP_1) | instid1(SALU_CYCLE_1)
	v_and_b32_e32 v1, 0xf0, v1
	s_ashr_i32 s7, s6, 31
	s_lshl_b64 s[6:7], s[6:7], 2
	s_delay_alu instid0(SALU_CYCLE_1)
	s_add_u32 s6, s26, s6
	s_addc_u32 s7, s25, s7
	s_or_b32 s8, s12, 64
	v_add_co_u32 v1, s13, s13, v1
	s_ashr_i32 s9, s8, 4
	s_cmp_lt_i32 s8, s24
	v_add_co_ci_u32_e64 v2, null, s15, 0, s13
	s_cselect_b32 s8, s9, s3
	s_delay_alu instid0(SALU_CYCLE_1) | instskip(NEXT) | instid1(SALU_CYCLE_1)
	s_ashr_i32 s9, s8, 31
	s_lshl_b64 s[8:9], s[8:9], 2
	s_delay_alu instid0(SALU_CYCLE_1) | instskip(SKIP_2) | instid1(SALU_CYCLE_1)
	s_add_u32 s8, s26, s8
	s_addc_u32 s9, s25, s9
	s_or_b32 s10, s12, 0x60
	s_ashr_i32 s11, s10, 4
	s_cmp_lt_i32 s10, s24
	s_cselect_b32 s10, s11, s3
	s_delay_alu instid0(SALU_CYCLE_1) | instskip(NEXT) | instid1(SALU_CYCLE_1)
	s_ashr_i32 s11, s10, 31
	s_lshl_b64 s[10:11], s[10:11], 2
	s_delay_alu instid0(SALU_CYCLE_1) | instskip(SKIP_2) | instid1(SALU_CYCLE_1)
	s_add_u32 s10, s26, s10
	s_addc_u32 s11, s25, s11
	s_or_b32 s16, s12, 0x80
	s_ashr_i32 s18, s16, 4
	s_cmp_lt_i32 s16, s24
	;; [unrolled: 10-line block ×3, first 2 shown]
	s_cselect_b32 s20, s18, s3
	s_delay_alu instid0(SALU_CYCLE_1) | instskip(NEXT) | instid1(SALU_CYCLE_1)
	s_ashr_i32 s21, s20, 31
	s_lshl_b64 s[20:21], s[20:21], 2
	s_delay_alu instid0(SALU_CYCLE_1)
	s_add_u32 s38, s26, s20
	s_addc_u32 s39, s25, s21
	s_clause 0x5
	s_load_b32 s21, s[4:5], 0x0
	s_load_b32 s13, s[6:7], 0x0
	;; [unrolled: 1-line block ×6, first 2 shown]
	s_or_b32 s6, s12, 0xc0
	s_mov_b32 s4, 0
	s_ashr_i32 s7, s6, 4
	s_cmp_lt_i32 s6, s24
	s_mov_b32 s5, s4
	s_cselect_b32 s10, s7, s3
	s_mov_b32 s6, s4
	s_ashr_i32 s11, s10, 31
	s_mov_b32 s7, s4
	s_lshl_b64 s[10:11], s[10:11], 2
	s_mov_b32 s8, s4
	s_add_u32 s36, s26, s10
	s_addc_u32 s37, s25, s11
	s_or_b32 s11, s12, 0xe0
	s_mov_b32 s9, s4
	s_ashr_i32 s29, s11, 4
	s_cmp_lt_i32 s11, s24
	s_mov_b32 s11, s4
	s_cselect_b32 s38, s29, s3
	s_mov_b32 s10, s4
	s_ashr_i32 s39, s38, 31
	v_dual_mov_b32 v103, s11 :: v_dual_mov_b32 v96, s4
	v_dual_mov_b32 v101, s9 :: v_dual_lshlrev_b32 v68, 6, v70
	v_mov_b32_e32 v102, s10
	v_dual_mov_b32 v100, s8 :: v_dual_mov_b32 v99, s7
	v_dual_mov_b32 v98, s6 :: v_dual_mov_b32 v97, s5
	s_lshl_b64 s[4:5], s[38:39], 2
	s_delay_alu instid0(SALU_CYCLE_1)
	s_add_u32 s4, s26, s4
	s_addc_u32 s5, s25, s5
	s_add_u32 s6, s22, s27
	s_addc_u32 s7, s23, s28
	s_waitcnt vmcnt(1)
	v_mad_i64_i32 v[3:4], null, v5, s17, v[1:2]
	s_waitcnt vmcnt(0)
	v_mad_i64_i32 v[5:6], null, v7, s17, v[1:2]
	v_lshlrev_b32_e32 v1, 4, v70
	s_clause 0x7
	global_load_b128 v[57:60], v[3:4], off
	global_load_b128 v[61:64], v[3:4], off offset:256
	global_load_b128 v[72:75], v[5:6], off
	global_load_b128 v[76:79], v[5:6], off offset:256
	global_load_b128 v[80:83], v[3:4], off offset:512
	;; [unrolled: 1-line block ×5, first 2 shown]
	v_lshl_or_b32 v1, v69, 8, v1
	s_load_b32 s3, s[36:37], 0x0
	ds_load_b128 v[104:107], v68
	ds_load_b128 v[108:111], v68 offset:1024
	s_load_b32 s4, s[4:5], 0x0
	v_add_co_u32 v17, s6, s6, v1
	s_delay_alu instid0(VALU_DEP_1) | instskip(SKIP_1) | instid1(VALU_DEP_1)
	v_add_co_ci_u32_e64 v18, null, s7, 0, s6
	s_waitcnt lgkmcnt(0)
	v_mad_i64_i32 v[1:2], null, s21, s17, v[17:18]
	v_mad_i64_i32 v[3:4], null, s13, s17, v[17:18]
	;; [unrolled: 1-line block ×7, first 2 shown]
	s_clause 0x9
	global_load_b128 v[49:52], v[1:2], off
	global_load_b128 v[53:56], v[1:2], off offset:16
	global_load_b128 v[41:44], v[3:4], off
	global_load_b128 v[45:48], v[3:4], off offset:16
	;; [unrolled: 2-line block ×5, first 2 shown]
	v_mad_i64_i32 v[120:121], null, s4, s17, v[17:18]
	s_clause 0x3
	global_load_b128 v[17:20], v[21:22], off
	global_load_b128 v[21:24], v[21:22], off offset:16
	global_load_b128 v[25:28], v[29:30], off
	global_load_b128 v[29:32], v[29:30], off offset:16
	s_waitcnt vmcnt(20)
	v_wmma_f32_16x16x16_f16 v[112:119], v[57:64], v[104:111], v[96:103]
	s_clause 0x1
	global_load_b128 v[57:60], v[120:121], off
	global_load_b128 v[61:64], v[120:121], off offset:16
	s_waitcnt vmcnt(20)
	v_wmma_f32_16x16x16_f16 v[96:103], v[72:79], v[104:111], v[96:103]
	ds_load_b128 v[72:75], v68 offset:2048
	ds_load_b128 v[76:79], v68 offset:3072
	v_and_b32_e32 v104, 0xe0, v0
	v_mbcnt_lo_u32_b32 v105, -1, 0
	s_waitcnt vmcnt(0) lgkmcnt(0)
	s_barrier
	buffer_gl0_inv
	v_add_nc_u32_e32 v104, s12, v104
	v_xor_b32_e32 v106, 16, v105
	s_delay_alu instid0(VALU_DEP_2) | instskip(NEXT) | instid1(VALU_DEP_2)
	v_or_b32_e32 v104, v104, v66
	v_cmp_gt_i32_e32 vcc_lo, 32, v106
	s_delay_alu instid0(VALU_DEP_2)
	v_or_b32_e32 v107, 4, v104
	v_or_b32_e32 v108, 6, v104
	v_cmp_gt_i32_e64 s3, s24, v104
	v_or_b32_e32 v109, 8, v104
	v_wmma_f32_16x16x16_f16 v[112:119], v[80:87], v[72:79], v[112:119]
	v_cndmask_b32_e32 v105, v105, v106, vcc_lo
	v_or_b32_e32 v106, 2, v104
	v_wmma_f32_16x16x16_f16 v[96:103], v[88:95], v[72:79], v[96:103]
	v_or_b32_e32 v80, 10, v104
	v_dual_mul_f32 v90, s19, v112 :: v_dual_mul_f32 v89, s19, v113
	s_delay_alu instid0(VALU_DEP_4) | instskip(NEXT) | instid1(VALU_DEP_4)
	v_cmp_gt_i32_e32 vcc_lo, s24, v106
	v_dual_mul_f32 v94, s19, v100 :: v_dual_mul_f32 v77, s19, v117
	v_dual_mul_f32 v88, s19, v114 :: v_dual_mul_f32 v79, s19, v115
	v_mul_f32_e32 v92, s19, v102
	v_cndmask_b32_e64 v90, 0xff7fffff, v90, s3
	v_cndmask_b32_e32 v89, 0xff7fffff, v89, vcc_lo
	v_cmp_gt_i32_e64 s4, s24, v107
	v_cmp_gt_i32_e64 s5, s24, v108
	v_or_b32_e32 v81, 12, v104
	v_or_b32_e32 v82, 14, v104
	v_mul_f32_e32 v78, s19, v116
	v_cndmask_b32_e64 v88, 0xff7fffff, v88, s4
	v_cndmask_b32_e64 v79, 0xff7fffff, v79, s5
	v_max3_f32 v89, v90, 0xff7fffff, v89
	v_cmp_gt_i32_e64 s6, s24, v109
	v_cmp_gt_i32_e64 s7, s24, v80
	v_or_b32_e32 v83, 16, v104
	v_or_b32_e32 v84, 18, v104
	v_dual_mul_f32 v75, s19, v119 :: v_dual_mul_f32 v76, s19, v118
	v_cndmask_b32_e64 v78, 0xff7fffff, v78, s6
	v_cndmask_b32_e64 v77, 0xff7fffff, v77, s7
	v_max3_f32 v79, v89, v88, v79
	v_cmp_gt_i32_e64 s8, s24, v81
	v_cmp_gt_i32_e64 s9, s24, v82
	v_or_b32_e32 v85, 20, v104
	v_or_b32_e32 v86, 22, v104
	;; [unrolled: 1-line block ×6, first 2 shown]
	v_dual_mul_f32 v95, s19, v99 :: v_dual_mul_f32 v104, s19, v97
	v_mul_f32_e32 v107, s19, v96
	v_cndmask_b32_e64 v76, 0xff7fffff, v76, s8
	v_cndmask_b32_e64 v75, 0xff7fffff, v75, s9
	v_max3_f32 v77, v79, v78, v77
	v_cmp_gt_i32_e64 s10, s24, v83
	v_cmp_gt_i32_e64 s11, s24, v84
	v_dual_mul_f32 v91, s19, v103 :: v_dual_mul_f32 v106, s19, v98
	s_delay_alu instid0(VALU_DEP_4) | instskip(NEXT) | instid1(VALU_DEP_4)
	v_max3_f32 v75, v77, v76, v75
	v_cndmask_b32_e64 v78, 0xff7fffff, v107, s10
	s_delay_alu instid0(VALU_DEP_4)
	v_cndmask_b32_e64 v79, 0xff7fffff, v104, s11
	v_cmp_gt_i32_e64 s12, s24, v85
	v_cmp_gt_i32_e64 s13, s24, v86
	v_mul_f32_e32 v93, s19, v101
	v_cmp_gt_i32_e64 s15, s24, v87
	v_max3_f32 v75, v75, v78, v79
	v_cndmask_b32_e64 v76, 0xff7fffff, v106, s12
	v_cndmask_b32_e64 v77, 0xff7fffff, v95, s13
	v_cmp_gt_i32_e64 s16, s24, v72
	v_cndmask_b32_e64 v78, 0xff7fffff, v94, s15
	v_cmp_gt_i32_e64 s17, s24, v73
	v_cmp_gt_i32_e64 s18, s24, v74
	v_max3_f32 v75, v75, v76, v77
	v_cndmask_b32_e64 v72, 0xff7fffff, v93, s16
	s_delay_alu instid0(VALU_DEP_4) | instskip(NEXT) | instid1(VALU_DEP_4)
	v_cndmask_b32_e64 v73, 0xff7fffff, v92, s17
	v_cndmask_b32_e64 v74, 0xff7fffff, v91, s18
	s_delay_alu instid0(VALU_DEP_3) | instskip(SKIP_1) | instid1(VALU_DEP_2)
	v_max3_f32 v72, v75, v78, v72
	v_lshlrev_b32_e32 v75, 2, v105
	v_max3_f32 v72, v72, v73, v74
	ds_bpermute_b32 v73, v75, v72
	s_waitcnt lgkmcnt(0)
	v_max_f32_e32 v73, v73, v73
	s_delay_alu instid0(VALU_DEP_1) | instskip(NEXT) | instid1(VALU_DEP_1)
	v_max_f32_e32 v72, v72, v73
	v_fma_f32 v76, s19, v114, -v72
	v_fma_f32 v73, s19, v112, -v72
	;; [unrolled: 1-line block ×5, first 2 shown]
	v_mul_f32_e32 v76, 0x3fb8aa3b, v76
	v_fma_f32 v82, s19, v118, -v72
	s_delay_alu instid0(VALU_DEP_4) | instskip(SKIP_1) | instid1(VALU_DEP_4)
	v_dual_mul_f32 v79, 0x3fb8aa3b, v79 :: v_dual_mul_f32 v74, 0x3fb8aa3b, v74
	v_fma_f32 v86, s19, v99, -v72
	v_exp_f32_e32 v76, v76
	s_delay_alu instid0(VALU_DEP_3) | instskip(NEXT) | instid1(VALU_DEP_3)
	v_mul_f32_e32 v82, 0x3fb8aa3b, v82
	v_exp_f32_e32 v83, v79
	v_exp_f32_e32 v74, v74
	v_mul_f32_e32 v88, 0x3fb8aa3b, v86
	v_fma_f32 v91, s19, v103, -v72
	v_exp_f32_e32 v84, v82
	v_fma_f32 v89, s19, v101, -v72
	s_delay_alu instid0(VALU_DEP_3)
	v_exp_f32_e32 v90, v88
	v_cndmask_b32_e64 v80, 0, v76, s4
	v_mul_f32_e32 v73, 0x3fb8aa3b, v73
	v_fma_f32 v76, s19, v119, -v72
	v_mul_f32_e32 v77, 0x3fb8aa3b, v77
	v_cndmask_b32_e64 v82, 0, v83, s6
	v_fma_f32 v83, s19, v97, -v72
	v_exp_f32_e32 v73, v73
	v_mul_f32_e32 v76, 0x3fb8aa3b, v76
	v_exp_f32_e32 v81, v77
	v_cndmask_b32_e64 v84, 0, v84, s8
	v_mul_f32_e32 v83, 0x3fb8aa3b, v83
	v_mul_f32_e32 v89, 0x3fb8aa3b, v89
	v_exp_f32_e32 v76, v76
	s_delay_alu instid0(VALU_DEP_2) | instskip(SKIP_2) | instid1(TRANS32_DEP_3)
	v_exp_f32_e32 v87, v83
	v_cndmask_b32_e64 v78, 0, v73, s3
	v_fma_f32 v73, s19, v117, -v72
	v_cndmask_b32_e64 v79, 0, v81, s5
	v_cndmask_b32_e32 v77, 0, v74, vcc_lo
	v_fma_f32 v81, s19, v96, -v72
	s_delay_alu instid0(VALU_DEP_4) | instskip(NEXT) | instid1(TRANS32_DEP_2)
	v_dual_add_f32 v74, 0, v78 :: v_dual_mul_f32 v73, 0x3fb8aa3b, v73
	v_cndmask_b32_e64 v83, 0, v76, s9
	v_fma_f32 v76, s19, v100, -v72
	s_delay_alu instid0(VALU_DEP_4) | instskip(NEXT) | instid1(VALU_DEP_4)
	v_mul_f32_e32 v85, 0x3fb8aa3b, v81
	v_add_f32_e32 v74, v74, v77
	v_exp_f32_e32 v73, v73
	v_exp_f32_e32 v89, v89
	v_mul_f32_e32 v76, 0x3fb8aa3b, v76
	v_exp_f32_e32 v85, v85
	v_add_f32_e32 v74, v74, v80
	s_mov_b32 s3, exec_lo
	s_delay_alu instid0(VALU_DEP_2) | instskip(NEXT) | instid1(VALU_DEP_1)
	v_exp_f32_e32 v76, v76
	v_add_f32_e32 v74, v74, v79
	v_cndmask_b32_e64 v81, 0, v73, s7
	s_delay_alu instid0(TRANS32_DEP_3)
	v_cndmask_b32_e64 v89, 0, v89, s16
	s_waitcnt_depctr 0xfff
	v_cndmask_b32_e64 v86, 0, v85, s10
	v_cndmask_b32_e64 v85, 0, v87, s11
	v_fma_f32 v87, s19, v102, -v72
	v_add_f32_e32 v73, v74, v82
	v_fma_f32 v74, s19, v98, -v72
	s_delay_alu instid0(VALU_DEP_1) | instskip(NEXT) | instid1(VALU_DEP_1)
	v_mul_f32_e32 v74, 0x3fb8aa3b, v74
	v_exp_f32_e32 v74, v74
	s_waitcnt_depctr 0xfff
	v_cndmask_b32_e64 v88, 0, v74, s12
	v_dual_mul_f32 v74, 0x3fb8aa3b, v87 :: v_dual_add_f32 v73, v73, v81
	v_cndmask_b32_e64 v87, 0, v90, s13
	v_cndmask_b32_e64 v90, 0, v76, s15
	v_mul_f32_e32 v76, 0x3fb8aa3b, v91
	s_delay_alu instid0(VALU_DEP_4) | instskip(SKIP_1) | instid1(VALU_DEP_2)
	v_exp_f32_e32 v74, v74
	v_add_f32_e32 v73, v73, v84
	v_exp_f32_e32 v76, v76
	s_delay_alu instid0(VALU_DEP_1) | instskip(SKIP_4) | instid1(VALU_DEP_2)
	v_add_f32_e32 v73, v73, v83
	s_waitcnt_depctr 0xfff
	v_cndmask_b32_e64 v92, 0, v74, s17
	v_add_f32_e32 v73, v73, v86
	v_cndmask_b32_e64 v91, 0, v76, s18
	v_add_f32_e32 v73, v73, v85
	s_delay_alu instid0(VALU_DEP_1) | instskip(NEXT) | instid1(VALU_DEP_1)
	v_add_f32_e32 v73, v73, v88
	v_add_f32_e32 v73, v73, v87
	s_delay_alu instid0(VALU_DEP_1) | instskip(NEXT) | instid1(VALU_DEP_1)
	v_add_f32_e32 v73, v73, v90
	;; [unrolled: 3-line block ×3, first 2 shown]
	v_add_f32_e32 v73, v73, v91
	ds_bpermute_b32 v74, v75, v73
	v_cmpx_gt_u32_e32 16, v71
	s_cbranch_execz .LBB1133_12
; %bb.11:
	v_mul_u32_u24_e32 v71, 0x44, v69
	s_waitcnt lgkmcnt(0)
	v_add_f32_e32 v73, v73, v74
	s_delay_alu instid0(VALU_DEP_2) | instskip(NEXT) | instid1(VALU_DEP_1)
	v_lshl_add_u32 v71, v70, 2, v71
	v_add_nc_u32_e32 v71, 0x4000, v71
	ds_store_2addr_b32 v71, v72, v73 offset1:136
.LBB1133_12:
	s_or_b32 exec_lo, exec_lo, s3
	v_lshlrev_b32_e32 v70, 2, v70
	s_load_b32 s35, s[0:1], 0x94
	s_waitcnt lgkmcnt(0)
	s_barrier
	buffer_gl0_inv
	v_add_nc_u32_e32 v74, 0x4000, v70
	v_cmp_eq_u32_e32 vcc_lo, 1, v69
	v_cmp_eq_u32_e64 s3, 2, v69
	v_cmp_eq_u32_e64 s4, 3, v69
	;; [unrolled: 1-line block ×3, first 2 shown]
	ds_load_2addr_b32 v[70:71], v74 offset1:17
	ds_load_2addr_b32 v[72:73], v74 offset0:34 offset1:51
	ds_load_2addr_b32 v[93:94], v74 offset0:68 offset1:85
	;; [unrolled: 1-line block ×3, first 2 shown]
	v_cmp_eq_u32_e64 s6, 7, v69
	s_waitcnt lgkmcnt(3)
	v_max3_f32 v75, v70, 0xff7fffff, v71
	s_waitcnt lgkmcnt(2)
	s_delay_alu instid0(VALU_DEP_1) | instskip(SKIP_1) | instid1(VALU_DEP_1)
	v_max3_f32 v75, v75, v72, v73
	s_waitcnt lgkmcnt(1)
	v_max3_f32 v75, v75, v93, v94
	s_waitcnt lgkmcnt(0)
	s_delay_alu instid0(VALU_DEP_1) | instskip(NEXT) | instid1(VALU_DEP_1)
	v_max3_f32 v75, v75, v95, v96
	v_sub_f32_e32 v93, v93, v75
	ds_load_2addr_b32 v[97:98], v74 offset0:136 offset1:153
	v_sub_f32_e32 v70, v70, v75
	v_dual_sub_f32 v100, v73, v75 :: v_dual_mul_f32 v103, 0x3fb8aa3b, v93
	s_delay_alu instid0(VALU_DEP_2) | instskip(SKIP_3) | instid1(VALU_DEP_1)
	v_dual_sub_f32 v76, v71, v75 :: v_dual_mul_f32 v99, 0x3fb8aa3b, v70
	ds_load_2addr_b32 v[70:71], v74 offset0:170 offset1:187
	v_mul_f32_e32 v76, 0x3fb8aa3b, v76
	v_exp_f32_e32 v99, v99
	v_exp_f32_e32 v102, v76
	v_mul_f32_e32 v100, 0x3fb8aa3b, v100
	s_waitcnt lgkmcnt(1)
	s_waitcnt_depctr 0xfff
	v_fma_f32 v76, v99, v97, 0
	v_sub_f32_e32 v97, v94, v75
	v_sub_f32_e32 v72, v72, v75
	v_exp_f32_e32 v100, v100
	ds_load_2addr_b32 v[93:94], v74 offset0:238 offset1:255
	v_dual_fmac_f32 v76, v102, v98 :: v_dual_mul_f32 v101, 0x3fb8aa3b, v72
	ds_load_2addr_b32 v[72:73], v74 offset0:204 offset1:221
	v_dual_sub_f32 v74, v95, v75 :: v_dual_mul_f32 v95, 0x3fb8aa3b, v97
	v_exp_f32_e32 v97, v103
	v_exp_f32_e32 v101, v101
	s_waitcnt lgkmcnt(0)
	s_delay_alu instid0(VALU_DEP_1)
	v_mul_f32_e32 v74, 0x3fb8aa3b, v74
	v_exp_f32_e32 v95, v95
	s_barrier
	buffer_gl0_inv
	v_fmac_f32_e32 v76, v101, v70
	v_sub_f32_e32 v70, v96, v75
	v_exp_f32_e32 v96, v74
	s_delay_alu instid0(VALU_DEP_2) | instskip(NEXT) | instid1(VALU_DEP_2)
	v_fmac_f32_e32 v76, v100, v71
	v_mul_f32_e32 v70, 0x3fb8aa3b, v70
	s_delay_alu instid0(VALU_DEP_2) | instskip(NEXT) | instid1(VALU_DEP_2)
	v_dual_cndmask_b32 v71, v99, v102 :: v_dual_fmac_f32 v76, v97, v72
	v_exp_f32_e32 v98, v70
	s_delay_alu instid0(VALU_DEP_1) | instskip(SKIP_2) | instid1(VALU_DEP_1)
	v_fmac_f32_e32 v76, v95, v73
	s_waitcnt_depctr 0xfff
	v_fmac_f32_e32 v76, v96, v93
	v_fmac_f32_e32 v76, v98, v94
	s_delay_alu instid0(VALU_DEP_1) | instskip(NEXT) | instid1(VALU_DEP_1)
	v_add_f32_e32 v93, 0x358637bd, v76
	v_div_scale_f32 v94, null, v93, v93, 1.0
	v_div_scale_f32 v99, vcc_lo, 1.0, v93, 1.0
	s_delay_alu instid0(VALU_DEP_2) | instskip(SKIP_2) | instid1(VALU_DEP_1)
	v_rcp_f32_e32 v103, v94
	s_waitcnt_depctr 0xfff
	v_fma_f32 v70, -v94, v103, 1.0
	v_fmac_f32_e32 v103, v70, v103
	v_cndmask_b32_e64 v70, v71, v101, s3
	v_cmp_eq_u32_e64 s3, 4, v69
	v_lshlrev_b32_e32 v71, 2, v66
	s_delay_alu instid0(VALU_DEP_4) | instskip(NEXT) | instid1(VALU_DEP_4)
	v_mul_f32_e32 v101, v99, v103
	v_cndmask_b32_e64 v72, v70, v100, s4
	v_cmp_eq_u32_e64 s4, 6, v69
	v_lshl_or_b32 v70, v69, 11, v68
	v_or_b32_e32 v74, 1, v71
	v_fma_f32 v73, -v94, v101, v99
	v_cndmask_b32_e64 v72, v72, v97, s3
	v_cmp_eq_u32_e64 s3, 1, v71
	v_lshl_or_b32 v69, v66, 4, v70
	v_cmp_eq_u32_e64 s9, 1, v74
	v_fmac_f32_e32 v101, v73, v103
	v_cndmask_b32_e64 v95, v72, v95, s5
	v_or_b32_e32 v72, 2, v71
	v_or_b32_e32 v73, 3, v71
	v_cmp_eq_u32_e64 s12, 2, v74
	v_fma_f32 v94, -v94, v101, v99
	v_cndmask_b32_e64 v95, v95, v96, s4
	v_cmp_eq_u32_e64 s10, 1, v72
	v_cmp_eq_u32_e64 s11, 1, v73
	;; [unrolled: 1-line block ×3, first 2 shown]
	v_div_fmas_f32 v94, v94, v103, v101
	v_cndmask_b32_e64 v95, v95, v98, s6
	v_cmp_eq_u32_e32 vcc_lo, 2, v71
	v_cmp_eq_u32_e64 s16, 2, v73
	v_cmp_eq_u32_e64 s18, 3, v73
	v_div_fixup_f32 v93, v94, v93, 1.0
	v_cmp_eq_u32_e64 s4, 3, v71
	v_cmp_eq_u32_e64 s13, 3, v74
	v_cmp_eq_u32_e64 s17, 3, v72
	v_cmp_eq_u32_e64 s22, 4, v73
	v_mul_f32_e32 v101, v95, v93
	v_cmp_eq_u32_e64 s5, 4, v71
	v_cmp_eq_u32_e64 s19, 4, v74
	;; [unrolled: 1-line block ×4, first 2 shown]
	v_fma_mixlo_f16 v93, v101, v78, 0
	v_fma_mixlo_f16 v94, v101, v80, 0
	;; [unrolled: 1-line block ×8, first 2 shown]
	v_fma_mixhi_f16 v93, v101, v77, 0
	v_fma_mixhi_f16 v94, v101, v79, 0
	;; [unrolled: 1-line block ×8, first 2 shown]
	ds_store_b128 v69, v[93:96]
	ds_store_b128 v69, v[97:100] offset:1024
	s_waitcnt lgkmcnt(0)
	s_barrier
	buffer_gl0_inv
	ds_load_b128 v[77:80], v70
	ds_load_b128 v[81:84], v70 offset:16
	ds_load_b128 v[85:88], v70 offset:1024
	;; [unrolled: 1-line block ×3, first 2 shown]
	v_cmp_eq_u32_e64 s6, 5, v71
	v_cmp_eq_u32_e64 s20, 5, v74
	;; [unrolled: 1-line block ×11, first 2 shown]
	s_waitcnt lgkmcnt(3)
	v_lshrrev_b32_e32 v93, 16, v77
	s_waitcnt lgkmcnt(2)
	v_lshrrev_b32_e32 v97, 16, v81
	;; [unrolled: 2-line block ×4, first 2 shown]
	v_lshrrev_b32_e32 v94, 16, v78
	v_cndmask_b32_e64 v109, v77, v93, s3
	v_cndmask_b32_e64 v110, v81, v97, s3
	v_cndmask_b32_e64 v111, v77, v93, s9
	v_cndmask_b32_e64 v112, v81, v97, s9
	v_cndmask_b32_e64 v113, v77, v93, s10
	v_cndmask_b32_e64 v114, v81, v97, s10
	v_cndmask_b32_e64 v77, v77, v93, s11
	v_cndmask_b32_e64 v81, v81, v97, s11
	v_lshrrev_b32_e32 v98, 16, v82
	v_cndmask_b32_e64 v93, v85, v101, s3
	v_cndmask_b32_e64 v97, v89, v105, s3
	;; [unrolled: 1-line block ×5, first 2 shown]
	v_cndmask_b32_e32 v101, v109, v78, vcc_lo
	v_cndmask_b32_e64 v109, v111, v78, s12
	v_cndmask_b32_e64 v111, v113, v78, s15
	;; [unrolled: 1-line block ×4, first 2 shown]
	v_lshrrev_b32_e32 v102, 16, v86
	v_lshrrev_b32_e32 v106, 16, v90
	v_cndmask_b32_e64 v116, v89, v105, s9
	v_cndmask_b32_e64 v118, v89, v105, s10
	v_cndmask_b32_e64 v89, v89, v105, s11
	v_cndmask_b32_e32 v105, v110, v82, vcc_lo
	v_cndmask_b32_e64 v110, v112, v82, s12
	v_cndmask_b32_e64 v112, v114, v82, s15
	v_cndmask_b32_e32 v81, v93, v86, vcc_lo
	v_cndmask_b32_e32 v82, v97, v90, vcc_lo
	v_cndmask_b32_e64 v93, v115, v86, s12
	v_cndmask_b32_e64 v77, v77, v94, s18
	;; [unrolled: 1-line block ×3, first 2 shown]
	v_lshrrev_b32_e32 v95, 16, v79
	v_lshrrev_b32_e32 v99, 16, v83
	v_cndmask_b32_e64 v97, v117, v86, s15
	v_cndmask_b32_e64 v85, v85, v86, s16
	;; [unrolled: 1-line block ×14, first 2 shown]
	v_lshrrev_b32_e32 v103, 16, v87
	v_cndmask_b32_e64 v89, v89, v79, s5
	v_cndmask_b32_e64 v94, v101, v83, s5
	;; [unrolled: 1-line block ×11, first 2 shown]
	v_lshrrev_b32_e32 v96, 16, v80
	v_lshrrev_b32_e32 v100, 16, v84
	v_cndmask_b32_e64 v83, v89, v95, s6
	v_cndmask_b32_e64 v89, v94, v99, s6
	v_cndmask_b32_e64 v93, v98, v95, s20
	v_cndmask_b32_e64 v94, v101, v99, s20
	v_cndmask_b32_e64 v98, v105, v95, s23
	v_cndmask_b32_e64 v101, v109, v99, s23
	v_cndmask_b32_e64 v82, v82, v103, s20
	v_cndmask_b32_e64 v77, v77, v80, s27
	v_cndmask_b32_e64 v78, v78, v84, s27
	v_lshrrev_b32_e32 v104, 16, v88
	v_cndmask_b32_e64 v79, v79, v103, s6
	v_cndmask_b32_e64 v83, v83, v80, s7
	;; [unrolled: 1-line block ×19, first 2 shown]
	v_perm_b32 v80, v78, v77, 0x5040100
	v_cndmask_b32_e64 v77, v116, v90, s12
	v_cndmask_b32_e64 v95, v79, v104, s8
	v_perm_b32 v79, v93, v89, 0x5040100
	v_perm_b32 v78, v94, v84, 0x5040100
	v_cndmask_b32_e64 v84, v97, v102, s17
	v_cndmask_b32_e64 v85, v85, v102, s18
	;; [unrolled: 1-line block ×5, first 2 shown]
	v_lshrrev_b32_e32 v107, 16, v91
	v_cndmask_b32_e64 v84, v84, v87, s21
	v_cndmask_b32_e64 v85, v85, v87, s22
	;; [unrolled: 1-line block ×11, first 2 shown]
	v_lshrrev_b32_e32 v108, 16, v92
	v_cndmask_b32_e64 v81, v81, v92, s7
	v_cndmask_b32_e64 v84, v84, v88, s26
	;; [unrolled: 1-line block ×12, first 2 shown]
	v_perm_b32 v77, v83, v82, 0x5040100
	v_perm_b32 v84, v85, v84, 0x5040100
	;; [unrolled: 1-line block ×5, first 2 shown]
	s_lshl_b32 s8, s33, 4
	s_mov_b32 s3, exec_lo
	ds_store_b128 v69, v[77:80]
	ds_store_b128 v69, v[81:84] offset:1024
	v_cmpx_gt_u32_e32 16, v0
	s_cbranch_execz .LBB1133_14
; %bb.13:
	v_or_b32_e32 v77, s31, v0
	s_load_b128 s[4:7], s[0:1], 0x58
	s_delay_alu instid0(VALU_DEP_1) | instskip(NEXT) | instid1(VALU_DEP_1)
	v_mad_u64_u32 v[78:79], null, s8, s34, v[77:78]
	v_mad_u64_u32 v[79:80], null, v78, s35, s[14:15]
	s_delay_alu instid0(VALU_DEP_1) | instskip(NEXT) | instid1(VALU_DEP_1)
	v_ashrrev_i32_e32 v80, 31, v79
	v_lshlrev_b64 v[77:78], 2, v[79:80]
	s_waitcnt lgkmcnt(0)
	s_delay_alu instid0(VALU_DEP_1) | instskip(NEXT) | instid1(VALU_DEP_2)
	v_add_co_u32 v79, vcc_lo, s6, v77
	v_add_co_ci_u32_e32 v80, vcc_lo, s7, v78, vcc_lo
	v_add_co_u32 v77, vcc_lo, s4, v77
	v_add_co_ci_u32_e32 v78, vcc_lo, s5, v78, vcc_lo
	global_store_b32 v[79:80], v75, off
	global_store_b32 v[77:78], v76, off
.LBB1133_14:
	s_or_b32 exec_lo, exec_lo, s3
	s_waitcnt lgkmcnt(0)
	s_waitcnt_vscnt null, 0x0
	s_barrier
	buffer_gl0_inv
	ds_load_b128 v[83:86], v68
	ds_load_b128 v[87:90], v68 offset:16
	ds_load_b128 v[95:98], v68 offset:2064
	;; [unrolled: 1-line block ×5, first 2 shown]
	v_cmp_eq_u32_e32 vcc_lo, 1, v71
	v_mov_b32_e32 v75, 0
	ds_load_b128 v[111:114], v68 offset:6160
	ds_load_b128 v[107:110], v68 offset:6144
	;; [unrolled: 1-line block ×4, first 2 shown]
	v_cmp_eq_u32_e64 s4, 1, v72
	v_cmp_eq_u32_e64 s3, 1, v74
	;; [unrolled: 1-line block ×3, first 2 shown]
	v_mov_b32_e32 v76, v75
	v_mov_b32_e32 v77, v75
	;; [unrolled: 1-line block ×7, first 2 shown]
	v_cmp_eq_u32_e64 s6, 3, v74
	v_cmp_eq_u32_e64 s7, 7, v74
	s_waitcnt lgkmcnt(8)
	s_delay_alu instid0(VALU_DEP_3)
	v_wmma_f32_16x16x16_f16 v[75:82], v[49:56], v[83:90], v[75:82]
	ds_load_b128 v[53:56], v68 offset:10256
	ds_load_b128 v[49:52], v68 offset:10240
	s_waitcnt lgkmcnt(8)
	v_wmma_f32_16x16x16_f16 v[75:82], v[41:48], v[91:98], v[75:82]
	ds_load_b128 v[45:48], v68 offset:12304
	ds_load_b128 v[41:44], v68 offset:12288
	s_waitcnt lgkmcnt(8)
	;; [unrolled: 4-line block ×3, first 2 shown]
	s_barrier
	buffer_gl0_inv
	v_wmma_f32_16x16x16_f16 v[75:82], v[1:8], v[107:114], v[75:82]
	s_delay_alu instid0(VALU_DEP_1) | instskip(NEXT) | instid1(VALU_DEP_1)
	v_wmma_f32_16x16x16_f16 v[75:82], v[9:16], v[115:122], v[75:82]
	v_wmma_f32_16x16x16_f16 v[75:82], v[17:24], v[49:56], v[75:82]
	s_delay_alu instid0(VALU_DEP_1) | instskip(NEXT) | instid1(VALU_DEP_1)
	v_wmma_f32_16x16x16_f16 v[75:82], v[25:32], v[41:48], v[75:82]
	v_wmma_f32_16x16x16_f16 v[75:82], v[57:64], v[33:40], v[75:82]
	s_delay_alu instid0(VALU_DEP_1) | instskip(NEXT) | instid1(VALU_DEP_2)
	v_cvt_f16_f32_e32 v1, v75
	v_cvt_f16_f32_e32 v2, v76
	s_delay_alu instid0(VALU_DEP_3) | instskip(NEXT) | instid1(VALU_DEP_4)
	v_cvt_f16_f32_e32 v3, v77
	v_cvt_f16_f32_e32 v4, v78
	;; [unrolled: 1-line block ×6, first 2 shown]
	v_pack_b32_f16 v1, v1, v2
	v_pack_b32_f16 v2, v3, v4
	;; [unrolled: 1-line block ×3, first 2 shown]
	s_delay_alu instid0(VALU_DEP_4)
	v_pack_b32_f16 v4, v7, v8
	ds_store_b128 v69, v[1:4]
	s_waitcnt lgkmcnt(0)
	s_barrier
	buffer_gl0_inv
	ds_load_b128 v[1:4], v70
	ds_load_b128 v[5:8], v70 offset:16
	s_waitcnt lgkmcnt(1)
	v_lshrrev_b32_e32 v9, 16, v1
	s_waitcnt lgkmcnt(0)
	v_lshrrev_b32_e32 v13, 16, v5
	v_lshrrev_b32_e32 v10, 16, v2
	;; [unrolled: 1-line block ×4, first 2 shown]
	v_cndmask_b32_e32 v17, v1, v9, vcc_lo
	v_cndmask_b32_e32 v18, v5, v13, vcc_lo
	v_cndmask_b32_e64 v21, v1, v9, s4
	v_cmp_eq_u32_e32 vcc_lo, 1, v73
	v_cndmask_b32_e64 v22, v5, v13, s4
	v_cmp_eq_u32_e64 s4, 2, v71
	v_cndmask_b32_e64 v19, v1, v9, s3
	v_cndmask_b32_e64 v20, v5, v13, s3
	v_cndmask_b32_e32 v1, v1, v9, vcc_lo
	v_cmp_eq_u32_e64 s3, 2, v73
	v_cndmask_b32_e32 v5, v5, v13, vcc_lo
	v_cndmask_b32_e64 v9, v17, v2, s4
	v_cmp_eq_u32_e32 vcc_lo, 3, v71
	v_cndmask_b32_e64 v13, v18, v6, s4
	v_cmp_eq_u32_e64 s4, 2, v72
	v_cndmask_b32_e64 v17, v19, v2, s5
	v_cndmask_b32_e64 v18, v20, v6, s5
	v_cmp_eq_u32_e64 s5, 3, v72
	v_cndmask_b32_e64 v1, v1, v2, s3
	v_cndmask_b32_e64 v19, v21, v2, s4
	;; [unrolled: 1-line block ×4, first 2 shown]
	v_cndmask_b32_e32 v5, v9, v10, vcc_lo
	v_cndmask_b32_e32 v6, v13, v14, vcc_lo
	v_cmp_eq_u32_e32 vcc_lo, 3, v73
	v_cndmask_b32_e64 v9, v17, v10, s6
	v_cndmask_b32_e64 v13, v18, v14, s6
	;; [unrolled: 1-line block ×3, first 2 shown]
	v_cmp_eq_u32_e64 s4, 4, v71
	v_cndmask_b32_e32 v1, v1, v10, vcc_lo
	v_cndmask_b32_e32 v2, v2, v14, vcc_lo
	v_cmp_eq_u32_e32 vcc_lo, 4, v74
	v_lshrrev_b32_e32 v15, 16, v7
	v_lshrrev_b32_e32 v16, 16, v8
	v_cndmask_b32_e64 v17, v19, v10, s5
	v_cmp_eq_u32_e64 s3, 4, v73
	v_cndmask_b32_e64 v5, v5, v3, s4
	v_cndmask_b32_e64 v6, v6, v7, s4
	v_cndmask_b32_e32 v9, v9, v3, vcc_lo
	v_cmp_eq_u32_e64 s4, 5, v74
	v_cndmask_b32_e32 v10, v13, v7, vcc_lo
	v_cmp_eq_u32_e32 vcc_lo, 4, v72
	v_cmp_eq_u32_e64 s5, 5, v71
	v_cndmask_b32_e64 v2, v2, v7, s3
	v_cndmask_b32_e64 v9, v9, v11, s4
	;; [unrolled: 1-line block ×3, first 2 shown]
	v_cndmask_b32_e32 v13, v17, v3, vcc_lo
	v_cmp_eq_u32_e64 s4, 5, v72
	v_cndmask_b32_e32 v14, v18, v7, vcc_lo
	v_cndmask_b32_e64 v1, v1, v3, s3
	v_cmp_eq_u32_e32 vcc_lo, 5, v73
	v_lshrrev_b32_e32 v12, 16, v4
	v_cndmask_b32_e64 v13, v13, v11, s4
	v_cndmask_b32_e64 v3, v14, v15, s4
	v_cmp_eq_u32_e64 s4, 6, v73
	v_cndmask_b32_e32 v1, v1, v11, vcc_lo
	v_cndmask_b32_e64 v5, v5, v11, s5
	v_cmp_eq_u32_e64 s6, 6, v71
	v_cndmask_b32_e64 v6, v6, v15, s5
	v_cmp_eq_u32_e64 s5, 6, v74
	v_cmp_eq_u32_e64 s3, 6, v72
	v_cndmask_b32_e64 v1, v1, v4, s4
	v_cndmask_b32_e32 v2, v2, v15, vcc_lo
	v_cmp_eq_u32_e32 vcc_lo, 7, v73
	v_cndmask_b32_e64 v5, v5, v4, s6
	v_cndmask_b32_e64 v9, v9, v4, s5
	;; [unrolled: 1-line block ×3, first 2 shown]
	v_cmp_eq_u32_e64 s6, 7, v71
	v_cndmask_b32_e32 v1, v1, v12, vcc_lo
	v_cndmask_b32_e64 v7, v13, v4, s3
	v_cndmask_b32_e64 v3, v3, v8, s3
	;; [unrolled: 1-line block ×3, first 2 shown]
	v_cmp_eq_u32_e64 s3, 7, v72
	v_cndmask_b32_e64 v4, v10, v8, s5
	v_cndmask_b32_e64 v5, v5, v12, s6
	;; [unrolled: 1-line block ×3, first 2 shown]
	v_cndmask_b32_e32 v2, v2, v16, vcc_lo
	v_cndmask_b32_e64 v7, v7, v12, s3
	v_cndmask_b32_e64 v3, v3, v16, s3
	;; [unrolled: 1-line block ×4, first 2 shown]
	v_cmp_gt_u32_e32 vcc_lo, 32, v0
	v_perm_b32 v4, v2, v1, 0x5040100
	v_perm_b32 v3, v3, v7, 0x5040100
	;; [unrolled: 1-line block ×4, first 2 shown]
	s_and_b32 s2, vcc_lo, s2
	ds_store_b128 v69, v[1:4]
	s_waitcnt lgkmcnt(0)
	s_barrier
	buffer_gl0_inv
	s_and_saveexec_b32 s3, s2
	s_cbranch_execz .LBB1133_2
; %bb.15:
	s_load_b64 s[0:1], s[0:1], 0x68
	v_lshlrev_b32_e32 v0, 10, v0
	s_lshl_b32 s4, s35, 6
	v_or_b32_e32 v23, s31, v66
	s_mul_i32 s2, s4, s34
	v_lshlrev_b32_e32 v1, 4, v67
	v_lshlrev_b32_e32 v2, 6, v66
	s_mul_i32 s2, s2, s8
	v_and_b32_e32 v0, 0x3800, v0
	v_mul_lo_u32 v8, v23, s4
	s_ashr_i32 s3, s2, 31
	v_or_b32_e32 v3, 2, v23
	s_lshl_b64 s[2:3], s[2:3], 1
	v_or3_b32 v27, v0, v1, v2
	v_or_b32_e32 v11, 4, v23
	v_or_b32_e32 v18, 6, v23
	v_mul_lo_u32 v10, v3, s4
	v_ashrrev_i32_e32 v9, 31, v8
	ds_load_b128 v[0:3], v27
	ds_load_b128 v[4:7], v27 offset:128
	v_mul_lo_u32 v12, v11, s4
	s_waitcnt lgkmcnt(0)
	s_add_u32 s2, s0, s2
	s_addc_u32 s3, s1, s3
	s_lshl_b32 s0, s14, 6
	v_lshlrev_b64 v[8:9], 1, v[8:9]
	s_ashr_i32 s1, s0, 31
	v_ashrrev_i32_e32 v11, 31, v10
	s_lshl_b64 s[0:1], s[0:1], 1
	v_ashrrev_i32_e32 v13, 31, v12
	s_add_u32 s0, s2, s0
	s_addc_u32 s1, s3, s1
	v_add_co_u32 v30, s0, s0, v65
	s_delay_alu instid0(VALU_DEP_1) | instskip(SKIP_1) | instid1(VALU_DEP_3)
	v_add_co_ci_u32_e64 v31, null, s1, 0, s0
	v_lshlrev_b64 v[16:17], 1, v[10:11]
	v_add_co_u32 v14, vcc_lo, v30, v8
	s_delay_alu instid0(VALU_DEP_3)
	v_add_co_ci_u32_e32 v15, vcc_lo, v31, v9, vcc_lo
	ds_load_b128 v[8:11], v27 offset:256
	v_mul_lo_u32 v18, v18, s4
	v_or_b32_e32 v19, 8, v23
	v_add_co_u32 v16, vcc_lo, v30, v16
	global_store_b128 v[14:15], v[0:3], off
	v_lshlrev_b64 v[0:1], 1, v[12:13]
	v_add_co_ci_u32_e32 v17, vcc_lo, v31, v17, vcc_lo
	v_mul_lo_u32 v12, v19, s4
	v_ashrrev_i32_e32 v19, 31, v18
	v_or_b32_e32 v14, 10, v23
	global_store_b128 v[16:17], v[4:7], off
	v_add_co_u32 v4, vcc_lo, v30, v0
	v_add_co_ci_u32_e32 v5, vcc_lo, v31, v1, vcc_lo
	ds_load_b128 v[0:3], v27 offset:384
	v_ashrrev_i32_e32 v13, 31, v12
	v_lshlrev_b64 v[6:7], 1, v[18:19]
	v_mul_lo_u32 v14, v14, s4
	s_waitcnt lgkmcnt(1)
	global_store_b128 v[4:5], v[8:11], off
	v_or_b32_e32 v8, 12, v23
	v_lshlrev_b64 v[4:5], 1, v[12:13]
	v_add_co_u32 v20, vcc_lo, v30, v6
	v_or_b32_e32 v6, 14, v23
	v_ashrrev_i32_e32 v15, 31, v14
	v_mul_lo_u32 v22, v8, s4
	v_add_co_ci_u32_e32 v21, vcc_lo, v31, v7, vcc_lo
	v_add_co_u32 v24, vcc_lo, v30, v4
	v_mul_lo_u32 v26, v6, s4
	v_add_co_ci_u32_e32 v25, vcc_lo, v31, v5, vcc_lo
	v_lshlrev_b64 v[28:29], 1, v[14:15]
	ds_load_b128 v[4:7], v27 offset:512
	ds_load_b128 v[8:11], v27 offset:640
	;; [unrolled: 1-line block ×4, first 2 shown]
	v_ashrrev_i32_e32 v23, 31, v22
	v_ashrrev_i32_e32 v27, 31, v26
	v_add_co_u32 v28, vcc_lo, v30, v28
	s_delay_alu instid0(VALU_DEP_3) | instskip(SKIP_1) | instid1(VALU_DEP_4)
	v_lshlrev_b64 v[22:23], 1, v[22:23]
	v_add_co_ci_u32_e32 v29, vcc_lo, v31, v29, vcc_lo
	v_lshlrev_b64 v[26:27], 1, v[26:27]
	s_delay_alu instid0(VALU_DEP_3) | instskip(NEXT) | instid1(VALU_DEP_4)
	v_add_co_u32 v22, vcc_lo, v30, v22
	v_add_co_ci_u32_e32 v23, vcc_lo, v31, v23, vcc_lo
	s_delay_alu instid0(VALU_DEP_3) | instskip(NEXT) | instid1(VALU_DEP_4)
	v_add_co_u32 v26, vcc_lo, v30, v26
	v_add_co_ci_u32_e32 v27, vcc_lo, v31, v27, vcc_lo
	s_waitcnt lgkmcnt(4)
	global_store_b128 v[20:21], v[0:3], off
	s_waitcnt lgkmcnt(3)
	global_store_b128 v[24:25], v[4:7], off
	;; [unrolled: 2-line block ×5, first 2 shown]
	s_nop 0
	s_sendmsg sendmsg(MSG_DEALLOC_VGPRS)
	s_endpgm
	.section	.rodata,"a",@progbits
	.p2align	6, 0x0
	.amdhsa_kernel _Z39paged_attention_ll4mi_QKV_mfma16_kernelIDF16_hLN4vllm18Fp8KVCacheDataTypeE1EDF16_Li16ELi64ELi256ELb1ELi16EL8MFMAType0EEvPKT_PKT0_S8_ifPKiSA_SA_iPKfiiiPfSD_PS3_PT2_iSC_SC_
		.amdhsa_group_segment_fixed_size 17472
		.amdhsa_private_segment_fixed_size 0
		.amdhsa_kernarg_size 400
		.amdhsa_user_sgpr_count 13
		.amdhsa_user_sgpr_dispatch_ptr 0
		.amdhsa_user_sgpr_queue_ptr 0
		.amdhsa_user_sgpr_kernarg_segment_ptr 1
		.amdhsa_user_sgpr_dispatch_id 0
		.amdhsa_user_sgpr_private_segment_size 0
		.amdhsa_wavefront_size32 1
		.amdhsa_uses_dynamic_stack 0
		.amdhsa_enable_private_segment 0
		.amdhsa_system_sgpr_workgroup_id_x 1
		.amdhsa_system_sgpr_workgroup_id_y 1
		.amdhsa_system_sgpr_workgroup_id_z 1
		.amdhsa_system_sgpr_workgroup_info 0
		.amdhsa_system_vgpr_workitem_id 0
		.amdhsa_next_free_vgpr 123
		.amdhsa_next_free_sgpr 40
		.amdhsa_reserve_vcc 1
		.amdhsa_float_round_mode_32 0
		.amdhsa_float_round_mode_16_64 0
		.amdhsa_float_denorm_mode_32 3
		.amdhsa_float_denorm_mode_16_64 3
		.amdhsa_dx10_clamp 1
		.amdhsa_ieee_mode 1
		.amdhsa_fp16_overflow 0
		.amdhsa_workgroup_processor_mode 1
		.amdhsa_memory_ordered 1
		.amdhsa_forward_progress 0
		.amdhsa_shared_vgpr_count 0
		.amdhsa_exception_fp_ieee_invalid_op 0
		.amdhsa_exception_fp_denorm_src 0
		.amdhsa_exception_fp_ieee_div_zero 0
		.amdhsa_exception_fp_ieee_overflow 0
		.amdhsa_exception_fp_ieee_underflow 0
		.amdhsa_exception_fp_ieee_inexact 0
		.amdhsa_exception_int_div_zero 0
	.end_amdhsa_kernel
	.section	.text._Z39paged_attention_ll4mi_QKV_mfma16_kernelIDF16_hLN4vllm18Fp8KVCacheDataTypeE1EDF16_Li16ELi64ELi256ELb1ELi16EL8MFMAType0EEvPKT_PKT0_S8_ifPKiSA_SA_iPKfiiiPfSD_PS3_PT2_iSC_SC_,"axG",@progbits,_Z39paged_attention_ll4mi_QKV_mfma16_kernelIDF16_hLN4vllm18Fp8KVCacheDataTypeE1EDF16_Li16ELi64ELi256ELb1ELi16EL8MFMAType0EEvPKT_PKT0_S8_ifPKiSA_SA_iPKfiiiPfSD_PS3_PT2_iSC_SC_,comdat
.Lfunc_end1133:
	.size	_Z39paged_attention_ll4mi_QKV_mfma16_kernelIDF16_hLN4vllm18Fp8KVCacheDataTypeE1EDF16_Li16ELi64ELi256ELb1ELi16EL8MFMAType0EEvPKT_PKT0_S8_ifPKiSA_SA_iPKfiiiPfSD_PS3_PT2_iSC_SC_, .Lfunc_end1133-_Z39paged_attention_ll4mi_QKV_mfma16_kernelIDF16_hLN4vllm18Fp8KVCacheDataTypeE1EDF16_Li16ELi64ELi256ELb1ELi16EL8MFMAType0EEvPKT_PKT0_S8_ifPKiSA_SA_iPKfiiiPfSD_PS3_PT2_iSC_SC_
                                        ; -- End function
	.section	.AMDGPU.csdata,"",@progbits
; Kernel info:
; codeLenInByte = 6708
; NumSgprs: 42
; NumVgprs: 123
; ScratchSize: 0
; MemoryBound: 0
; FloatMode: 240
; IeeeMode: 1
; LDSByteSize: 17472 bytes/workgroup (compile time only)
; SGPRBlocks: 5
; VGPRBlocks: 15
; NumSGPRsForWavesPerEU: 42
; NumVGPRsForWavesPerEU: 123
; Occupancy: 10
; WaveLimiterHint : 1
; COMPUTE_PGM_RSRC2:SCRATCH_EN: 0
; COMPUTE_PGM_RSRC2:USER_SGPR: 13
; COMPUTE_PGM_RSRC2:TRAP_HANDLER: 0
; COMPUTE_PGM_RSRC2:TGID_X_EN: 1
; COMPUTE_PGM_RSRC2:TGID_Y_EN: 1
; COMPUTE_PGM_RSRC2:TGID_Z_EN: 1
; COMPUTE_PGM_RSRC2:TIDIG_COMP_CNT: 0
	.section	.text._Z39paged_attention_ll4mi_QKV_mfma16_kernelIDF16_hLN4vllm18Fp8KVCacheDataTypeE1EDF16_Li16ELi64ELi256ELb1ELi1EL8MFMAType0EEvPKT_PKT0_S8_ifPKiSA_SA_iPKfiiiPfSD_PS3_PT2_iSC_SC_,"axG",@progbits,_Z39paged_attention_ll4mi_QKV_mfma16_kernelIDF16_hLN4vllm18Fp8KVCacheDataTypeE1EDF16_Li16ELi64ELi256ELb1ELi1EL8MFMAType0EEvPKT_PKT0_S8_ifPKiSA_SA_iPKfiiiPfSD_PS3_PT2_iSC_SC_,comdat
	.protected	_Z39paged_attention_ll4mi_QKV_mfma16_kernelIDF16_hLN4vllm18Fp8KVCacheDataTypeE1EDF16_Li16ELi64ELi256ELb1ELi1EL8MFMAType0EEvPKT_PKT0_S8_ifPKiSA_SA_iPKfiiiPfSD_PS3_PT2_iSC_SC_ ; -- Begin function _Z39paged_attention_ll4mi_QKV_mfma16_kernelIDF16_hLN4vllm18Fp8KVCacheDataTypeE1EDF16_Li16ELi64ELi256ELb1ELi1EL8MFMAType0EEvPKT_PKT0_S8_ifPKiSA_SA_iPKfiiiPfSD_PS3_PT2_iSC_SC_
	.globl	_Z39paged_attention_ll4mi_QKV_mfma16_kernelIDF16_hLN4vllm18Fp8KVCacheDataTypeE1EDF16_Li16ELi64ELi256ELb1ELi1EL8MFMAType0EEvPKT_PKT0_S8_ifPKiSA_SA_iPKfiiiPfSD_PS3_PT2_iSC_SC_
	.p2align	8
	.type	_Z39paged_attention_ll4mi_QKV_mfma16_kernelIDF16_hLN4vllm18Fp8KVCacheDataTypeE1EDF16_Li16ELi64ELi256ELb1ELi1EL8MFMAType0EEvPKT_PKT0_S8_ifPKiSA_SA_iPKfiiiPfSD_PS3_PT2_iSC_SC_,@function
_Z39paged_attention_ll4mi_QKV_mfma16_kernelIDF16_hLN4vllm18Fp8KVCacheDataTypeE1EDF16_Li16ELi64ELi256ELb1ELi1EL8MFMAType0EEvPKT_PKT0_S8_ifPKiSA_SA_iPKfiiiPfSD_PS3_PT2_iSC_SC_: ; @_Z39paged_attention_ll4mi_QKV_mfma16_kernelIDF16_hLN4vllm18Fp8KVCacheDataTypeE1EDF16_Li16ELi64ELi256ELb1ELi1EL8MFMAType0EEvPKT_PKT0_S8_ifPKiSA_SA_iPKfiiiPfSD_PS3_PT2_iSC_SC_
; %bb.0:
	s_load_b64 s[4:5], s[0:1], 0x30
	s_mov_b32 s34, s13
	s_waitcnt lgkmcnt(0)
	s_cmp_lg_u64 s[4:5], 0
	s_cselect_b32 s6, -1, 0
	s_ashr_i32 s35, s13, 31
	s_cmp_eq_u64 s[4:5], 0
	s_cbranch_scc1 .LBB1134_3
; %bb.1:
	s_lshl_b64 s[2:3], s[34:35], 2
	s_delay_alu instid0(SALU_CYCLE_1) | instskip(SKIP_4) | instid1(SALU_CYCLE_1)
	s_add_u32 s2, s4, s2
	s_addc_u32 s3, s5, s3
	s_load_b64 s[2:3], s[2:3], 0x0
	s_waitcnt lgkmcnt(0)
	s_sub_i32 s2, s3, s2
	s_cmp_eq_u32 s2, 1
	s_cselect_b32 s2, -1, 0
	s_delay_alu instid0(SALU_CYCLE_1)
	s_and_not1_b32 vcc_lo, exec_lo, s2
	s_cbranch_vccz .LBB1134_4
.LBB1134_2:
	s_endpgm
.LBB1134_3:
.LBB1134_4:
	s_load_b64 s[2:3], s[0:1], 0x28
	s_lshl_b64 s[8:9], s[34:35], 2
	s_waitcnt lgkmcnt(0)
	s_add_u32 s2, s2, s8
	s_addc_u32 s3, s3, s9
	s_lshl_b32 s12, s14, 8
	s_load_b32 s33, s[2:3], 0x0
	s_waitcnt lgkmcnt(0)
	s_cmp_ge_i32 s12, s33
	s_cbranch_scc1 .LBB1134_2
; %bb.5:
	s_clause 0x1
	s_load_b128 s[28:31], s[0:1], 0x8
	s_load_b64 s[2:3], s[0:1], 0x20
	s_and_not1_b32 vcc_lo, exec_lo, s6
	s_mov_b64 s[6:7], s[34:35]
	s_cbranch_vccnz .LBB1134_7
; %bb.6:
	s_add_u32 s4, s4, s8
	s_addc_u32 s5, s5, s9
	s_load_b32 s6, s[4:5], 0x0
.LBB1134_7:
	s_load_b128 s[24:27], s[0:1], 0x48
	v_and_b32_e32 v73, 15, v0
	s_mov_b32 s13, exec_lo
                                        ; implicit-def: $sgpr16
                                        ; implicit-def: $sgpr4
	s_delay_alu instid0(VALU_DEP_1)
	v_cmpx_eq_u32_e32 0, v73
	s_cbranch_execz .LBB1134_9
; %bb.8:
	s_load_b64 s[4:5], s[0:1], 0x0
	s_waitcnt lgkmcnt(0)
	s_mul_hi_i32 s7, s6, s24
	s_mul_i32 s6, s6, s24
	s_delay_alu instid0(SALU_CYCLE_1) | instskip(NEXT) | instid1(SALU_CYCLE_1)
	s_lshl_b64 s[6:7], s[6:7], 1
	s_add_u32 s6, s4, s6
	s_addc_u32 s7, s5, s7
	s_lshl_b32 s4, s15, 6
	s_delay_alu instid0(SALU_CYCLE_1) | instskip(NEXT) | instid1(SALU_CYCLE_1)
	s_ashr_i32 s5, s4, 31
	s_lshl_b64 s[4:5], s[4:5], 1
	s_delay_alu instid0(SALU_CYCLE_1)
	s_add_u32 s4, s6, s4
	s_addc_u32 s5, s7, s5
	s_clause 0x1
	s_load_b256 s[16:23], s[4:5], 0x0
	s_load_b256 s[4:11], s[4:5], 0x40
.LBB1134_9:
	s_or_b32 exec_lo, exec_lo, s13
	v_and_b32_e32 v1, 0xef, v0
	s_waitcnt lgkmcnt(0)
	v_dual_mov_b32 v115, s23 :: v_dual_mov_b32 v114, s22
	s_add_i32 s13, s33, 15
	s_load_b32 s27, s[0:1], 0x38
	v_dual_mov_b32 v112, s20 :: v_dual_add_nc_u32 v1, s12, v1
	s_ashr_i32 s24, s13, 31
	v_lshrrev_b32_e32 v66, 5, v0
	s_lshr_b32 s24, s24, 28
	s_delay_alu instid0(VALU_DEP_2)
	v_ashrrev_i32_e32 v2, 31, v1
	v_or_b32_e32 v3, 16, v1
	s_add_i32 s13, s13, s24
	v_cmp_gt_i32_e32 vcc_lo, s33, v1
	s_ashr_i32 s13, s13, 4
	v_lshrrev_b32_e32 v2, 28, v2
	s_add_i32 s13, s13, -1
	s_load_b32 s24, s[0:1], 0x1c
	v_and_b32_e32 v65, 0xe0, v0
	s_delay_alu instid0(VALU_DEP_2)
	v_dual_mov_b32 v111, s19 :: v_dual_add_nc_u32 v4, v1, v2
	v_mov_b32_e32 v113, s21
	v_mov_b32_e32 v109, s17
	v_mbcnt_lo_u32_b32 v67, -1, 0
	s_waitcnt lgkmcnt(0)
	s_mul_i32 s36, s34, s27
	v_ashrrev_i32_e32 v4, 4, v4
	v_add_nc_u32_e32 v2, v3, v2
	s_ashr_i32 s37, s36, 31
	v_bfe_u32 v75, v0, 4, 1
	s_lshl_b64 s[36:37], s[36:37], 2
	v_cndmask_b32_e32 v1, s13, v4, vcc_lo
	v_ashrrev_i32_e32 v2, 4, v2
	v_cmp_gt_i32_e32 vcc_lo, s33, v3
	s_add_u32 s36, s2, s36
	s_addc_u32 s35, s3, s37
	v_lshlrev_b32_e32 v74, 4, v73
	s_mul_i32 s37, s15, s26
	v_cndmask_b32_e32 v3, s13, v2, vcc_lo
	v_ashrrev_i32_e32 v2, 31, v1
	s_ashr_i32 s38, s37, 31
	s_add_u32 s39, s28, s37
	s_addc_u32 s46, s29, s38
	v_ashrrev_i32_e32 v4, 31, v3
	v_lshlrev_b64 v[1:2], 2, v[1:2]
	s_lshl_b32 s2, s14, 4
	v_xor_b32_e32 v68, 16, v67
	s_ashr_i32 s3, s2, 31
	v_lshlrev_b64 v[3:4], 2, v[3:4]
	s_lshl_b64 s[2:3], s[2:3], 2
	v_add_co_u32 v1, vcc_lo, s36, v1
	v_add_co_ci_u32_e32 v2, vcc_lo, s35, v2, vcc_lo
	s_delay_alu instid0(VALU_DEP_3) | instskip(NEXT) | instid1(VALU_DEP_4)
	v_add_co_u32 v3, vcc_lo, s36, v3
	v_add_co_ci_u32_e32 v4, vcc_lo, s35, v4, vcc_lo
	s_clause 0x1
	global_load_b32 v5, v[1:2], off
	global_load_b32 v7, v[3:4], off
	s_add_u32 s2, s36, s2
	s_addc_u32 s3, s35, s3
	s_or_b32 s26, s12, 32
	v_dual_mov_b32 v110, s18 :: v_dual_lshlrev_b32 v1, 4, v0
	s_ashr_i32 s27, s26, 4
	s_cmp_lt_i32 s26, s33
	v_mov_b32_e32 v108, s16
	s_cselect_b32 s26, s27, s13
	v_and_b32_e32 v1, 0xf0, v1
	s_ashr_i32 s27, s26, 31
	v_cmp_gt_i32_e32 vcc_lo, 32, v68
	s_lshl_b64 s[26:27], s[26:27], 2
	s_delay_alu instid0(SALU_CYCLE_1)
	s_add_u32 s26, s36, s26
	s_addc_u32 s27, s35, s27
	s_or_b32 s28, s12, 64
	v_add_co_u32 v1, s39, s39, v1
	s_ashr_i32 s29, s28, 4
	s_cmp_lt_i32 s28, s33
	v_add_co_ci_u32_e64 v2, null, s46, 0, s39
	s_cselect_b32 s28, s29, s13
	s_delay_alu instid0(SALU_CYCLE_1) | instskip(NEXT) | instid1(SALU_CYCLE_1)
	s_ashr_i32 s29, s28, 31
	s_lshl_b64 s[28:29], s[28:29], 2
	s_delay_alu instid0(SALU_CYCLE_1) | instskip(SKIP_2) | instid1(SALU_CYCLE_1)
	s_add_u32 s40, s36, s28
	s_addc_u32 s41, s35, s29
	s_or_b32 s28, s12, 0x60
	s_ashr_i32 s29, s28, 4
	s_cmp_lt_i32 s28, s33
	s_cselect_b32 s28, s29, s13
	s_delay_alu instid0(SALU_CYCLE_1) | instskip(NEXT) | instid1(SALU_CYCLE_1)
	s_ashr_i32 s29, s28, 31
	s_lshl_b64 s[28:29], s[28:29], 2
	s_delay_alu instid0(SALU_CYCLE_1) | instskip(SKIP_2) | instid1(SALU_CYCLE_1)
	s_add_u32 s42, s36, s28
	s_addc_u32 s43, s35, s29
	s_or_b32 s28, s12, 0x80
	s_ashr_i32 s29, s28, 4
	s_cmp_lt_i32 s28, s33
	;; [unrolled: 10-line block ×3, first 2 shown]
	s_cselect_b32 s28, s29, s13
	s_delay_alu instid0(SALU_CYCLE_1) | instskip(NEXT) | instid1(SALU_CYCLE_1)
	s_ashr_i32 s29, s28, 31
	s_lshl_b64 s[28:29], s[28:29], 2
	s_delay_alu instid0(SALU_CYCLE_1)
	s_add_u32 s46, s36, s28
	s_addc_u32 s47, s35, s29
	s_clause 0x5
	s_load_b32 s29, s[2:3], 0x0
	s_load_b32 s2, s[26:27], 0x0
	s_load_b32 s3, s[40:41], 0x0
	s_load_b32 s26, s[42:43], 0x0
	s_load_b32 s27, s[44:45], 0x0
	s_load_b32 s28, s[46:47], 0x0
	s_or_b32 s39, s12, 0xc0
	s_delay_alu instid0(SALU_CYCLE_1) | instskip(SKIP_2) | instid1(SALU_CYCLE_1)
	s_ashr_i32 s40, s39, 4
	s_cmp_lt_i32 s39, s33
	s_cselect_b32 s40, s40, s13
	s_ashr_i32 s41, s40, 31
	s_delay_alu instid0(SALU_CYCLE_1) | instskip(NEXT) | instid1(SALU_CYCLE_1)
	s_lshl_b64 s[40:41], s[40:41], 2
	s_add_u32 s40, s36, s40
	s_addc_u32 s41, s35, s41
	s_or_b32 s39, s12, 0xe0
	s_delay_alu instid0(SALU_CYCLE_1) | instskip(SKIP_2) | instid1(SALU_CYCLE_1)
	s_ashr_i32 s42, s39, 4
	s_cmp_lt_i32 s39, s33
	s_cselect_b32 s42, s42, s13
	s_ashr_i32 s43, s42, 31
	s_delay_alu instid0(SALU_CYCLE_1)
	s_lshl_b64 s[42:43], s[42:43], 2
	s_waitcnt vmcnt(1)
	v_mad_i64_i32 v[3:4], null, v5, s25, v[1:2]
	s_waitcnt vmcnt(0)
	v_mad_i64_i32 v[5:6], null, v7, s25, v[1:2]
	v_lshl_or_b32 v1, v66, 8, v74
	s_clause 0x7
	global_load_b128 v[76:79], v[3:4], off
	global_load_b128 v[80:83], v[3:4], off offset:256
	global_load_b128 v[84:87], v[5:6], off
	global_load_b128 v[88:91], v[5:6], off offset:256
	global_load_b128 v[92:95], v[3:4], off offset:512
	;; [unrolled: 1-line block ×5, first 2 shown]
	s_load_b32 s13, s[40:41], 0x0
	s_add_u32 s40, s36, s42
	s_addc_u32 s41, s35, s43
	s_add_u32 s30, s30, s37
	s_addc_u32 s31, s31, s38
	v_add_co_u32 v1, s30, s30, v1
	s_delay_alu instid0(VALU_DEP_1) | instskip(SKIP_3) | instid1(VALU_DEP_1)
	v_add_co_ci_u32_e64 v2, null, s31, 0, s30
	s_load_b32 s30, s[40:41], 0x0
	s_mov_b32 s36, 0
	s_waitcnt lgkmcnt(0)
	v_mad_i64_i32 v[3:4], null, s29, s25, v[1:2]
	v_mad_i64_i32 v[9:10], null, s26, s25, v[1:2]
	;; [unrolled: 1-line block ×7, first 2 shown]
	s_clause 0x5
	global_load_b128 v[49:52], v[3:4], off
	global_load_b128 v[53:56], v[3:4], off offset:16
	global_load_b128 v[41:44], v[5:6], off
	global_load_b128 v[45:48], v[5:6], off offset:16
	;; [unrolled: 2-line block ×3, first 2 shown]
	s_mov_b32 s43, s36
	s_mov_b32 s37, s36
	v_mad_i64_i32 v[61:62], null, s30, s25, v[1:2]
	s_clause 0x9
	global_load_b128 v[1:4], v[9:10], off
	global_load_b128 v[5:8], v[9:10], off offset:16
	global_load_b128 v[9:12], v[13:14], off
	global_load_b128 v[13:16], v[13:14], off offset:16
	;; [unrolled: 2-line block ×5, first 2 shown]
	s_mov_b32 s38, s36
	s_mov_b32 s39, s36
	;; [unrolled: 1-line block ×5, first 2 shown]
	v_mov_b32_e32 v123, s11
	v_mov_b32_e32 v131, s43
	v_dual_mov_b32 v121, s9 :: v_dual_mov_b32 v126, s38
	v_dual_mov_b32 v119, s7 :: v_dual_mov_b32 v124, s36
	v_dual_mov_b32 v116, s4 :: v_dual_add_nc_u32 v65, s12, v65
	v_dual_mov_b32 v130, s42 :: v_dual_mov_b32 v129, s41
	v_dual_mov_b32 v128, s40 :: v_dual_mov_b32 v127, s39
	;; [unrolled: 1-line block ×3, first 2 shown]
	v_mov_b32_e32 v120, s8
	v_dual_mov_b32 v118, s6 :: v_dual_mov_b32 v117, s5
	v_or_b32_e32 v65, v65, v75
	s_waitcnt vmcnt(0)
	s_barrier
	buffer_gl0_inv
	v_or_b32_e32 v69, 4, v65
	v_or_b32_e32 v70, 6, v65
	;; [unrolled: 1-line block ×8, first 2 shown]
	v_cmp_gt_i32_e64 s3, s33, v69
	v_cmp_gt_i32_e64 s4, s33, v70
	v_cmp_gt_i32_e64 s5, s33, v71
	v_cmp_gt_i32_e64 s6, s33, v72
	v_cmp_gt_i32_e64 s7, s33, v140
	v_cmp_gt_i32_e64 s8, s33, v141
	v_cmp_gt_i32_e64 s9, s33, v142
	v_cmp_gt_i32_e64 s10, s33, v143
	v_wmma_f32_16x16x16_f16 v[132:139], v[76:83], v[108:115], v[124:131]
	v_wmma_f32_16x16x16_f16 v[124:131], v[84:91], v[108:115], v[124:131]
	v_or_b32_e32 v76, 20, v65
	v_or_b32_e32 v77, 22, v65
	s_delay_alu instid0(VALU_DEP_4)
	v_wmma_f32_16x16x16_f16 v[132:139], v[92:99], v[116:123], v[132:139]
	v_or_b32_e32 v78, 24, v65
	v_or_b32_e32 v79, 26, v65
	;; [unrolled: 1-line block ×4, first 2 shown]
	v_mul_f32_e32 v82, s24, v139
	v_wmma_f32_16x16x16_f16 v[124:131], v[100:107], v[116:123], v[124:131]
	v_cndmask_b32_e32 v67, v67, v68, vcc_lo
	v_or_b32_e32 v68, 2, v65
	v_dual_mul_f32 v88, s24, v133 :: v_dual_mul_f32 v89, s24, v132
	v_cmp_gt_i32_e32 vcc_lo, s33, v65
	v_mul_f32_e32 v86, s24, v135
	s_delay_alu instid0(VALU_DEP_4) | instskip(SKIP_3) | instid1(VALU_DEP_4)
	v_cmp_gt_i32_e64 s2, s33, v68
	v_dual_mul_f32 v92, s24, v129 :: v_dual_mul_f32 v87, s24, v134
	v_cndmask_b32_e32 v65, 0xff7fffff, v89, vcc_lo
	v_mul_f32_e32 v84, s24, v137
	v_cndmask_b32_e64 v68, 0xff7fffff, v88, s2
	v_dual_mul_f32 v85, s24, v136 :: v_dual_mul_f32 v96, s24, v125
	v_cndmask_b32_e64 v69, 0xff7fffff, v87, s3
	v_cndmask_b32_e64 v70, 0xff7fffff, v86, s4
	s_delay_alu instid0(VALU_DEP_4) | instskip(SKIP_3) | instid1(VALU_DEP_4)
	v_max3_f32 v65, v65, 0xff7fffff, v68
	v_dual_mul_f32 v83, s24, v138 :: v_dual_mul_f32 v94, s24, v127
	v_cndmask_b32_e64 v68, 0xff7fffff, v85, s5
	v_cndmask_b32_e64 v71, 0xff7fffff, v84, s6
	v_max3_f32 v65, v65, v69, v70
	v_mul_f32_e32 v97, s24, v124
	v_cndmask_b32_e64 v69, 0xff7fffff, v83, s7
	v_cndmask_b32_e64 v70, 0xff7fffff, v82, s8
	v_mul_f32_e32 v95, s24, v126
	v_max3_f32 v65, v65, v68, v71
	v_cndmask_b32_e64 v68, 0xff7fffff, v97, s9
	v_cndmask_b32_e64 v71, 0xff7fffff, v96, s10
	v_cmp_gt_i32_e64 s11, s33, v76
	v_cmp_gt_i32_e64 s12, s33, v77
	v_max3_f32 v65, v65, v69, v70
	v_mul_f32_e32 v93, s24, v128
	v_cmp_gt_i32_e64 s13, s33, v78
	v_cndmask_b32_e64 v69, 0xff7fffff, v95, s11
	v_cndmask_b32_e64 v70, 0xff7fffff, v94, s12
	v_max3_f32 v65, v65, v68, v71
	v_cmp_gt_i32_e64 s16, s33, v79
	v_dual_mul_f32 v90, s24, v131 :: v_dual_mul_f32 v91, s24, v130
	v_cndmask_b32_e64 v68, 0xff7fffff, v93, s13
	s_delay_alu instid0(VALU_DEP_4) | instskip(NEXT) | instid1(VALU_DEP_4)
	v_max3_f32 v65, v65, v69, v70
	v_cndmask_b32_e64 v71, 0xff7fffff, v92, s16
	v_cmp_gt_i32_e64 s17, s33, v80
	v_cmp_gt_i32_e64 s18, s33, v81
	s_delay_alu instid0(VALU_DEP_3) | instskip(NEXT) | instid1(VALU_DEP_3)
	v_max3_f32 v65, v65, v68, v71
	v_cndmask_b32_e64 v69, 0xff7fffff, v91, s17
	s_delay_alu instid0(VALU_DEP_3) | instskip(SKIP_1) | instid1(VALU_DEP_2)
	v_cndmask_b32_e64 v70, 0xff7fffff, v90, s18
	v_lshlrev_b32_e32 v68, 2, v67
	v_max3_f32 v65, v65, v69, v70
	ds_bpermute_b32 v67, v68, v65
	s_waitcnt lgkmcnt(0)
	v_max_f32_e32 v67, v67, v67
	s_delay_alu instid0(VALU_DEP_1) | instskip(NEXT) | instid1(VALU_DEP_1)
	v_max_f32_e32 v65, v65, v67
	v_fma_f32 v71, s24, v135, -v65
	v_fma_f32 v67, s24, v132, -v65
	;; [unrolled: 1-line block ×5, first 2 shown]
	v_mul_f32_e32 v71, 0x3fb8aa3b, v71
	s_delay_alu instid0(VALU_DEP_3) | instskip(NEXT) | instid1(VALU_DEP_3)
	v_dual_mul_f32 v67, 0x3fb8aa3b, v67 :: v_dual_mul_f32 v70, 0x3fb8aa3b, v70
	v_mul_f32_e32 v72, 0x3fb8aa3b, v72
	s_delay_alu instid0(VALU_DEP_3) | instskip(NEXT) | instid1(VALU_DEP_2)
	v_exp_f32_e32 v71, v71
	v_exp_f32_e32 v67, v67
	s_delay_alu instid0(VALU_DEP_2) | instskip(NEXT) | instid1(VALU_DEP_1)
	v_exp_f32_e32 v76, v70
	v_exp_f32_e32 v79, v72
	v_cndmask_b32_e64 v71, 0, v71, s4
	s_delay_alu instid0(TRANS32_DEP_3)
	v_dual_mul_f32 v69, 0x3fb8aa3b, v69 :: v_dual_cndmask_b32 v70, 0, v67
	v_fma_f32 v67, s24, v137, -v65
	s_waitcnt_depctr 0xfff
	v_cndmask_b32_e64 v72, 0, v76, s3
	v_cndmask_b32_e64 v84, 0, v79, s5
	v_exp_f32_e32 v69, v69
	v_add_f32_e32 v77, 0, v70
	v_mul_f32_e32 v67, 0x3fb8aa3b, v67
	s_mov_b32 s3, exec_lo
	s_delay_alu instid0(VALU_DEP_1) | instskip(SKIP_2) | instid1(VALU_DEP_1)
	v_exp_f32_e32 v67, v67
	s_waitcnt_depctr 0xfff
	v_cndmask_b32_e64 v69, 0, v69, s2
	v_add_f32_e32 v76, v77, v69
	v_cndmask_b32_e64 v83, 0, v67, s6
	s_delay_alu instid0(VALU_DEP_2) | instskip(NEXT) | instid1(VALU_DEP_1)
	v_add_f32_e32 v76, v76, v72
	v_add_f32_e32 v76, v76, v71
	s_delay_alu instid0(VALU_DEP_1) | instskip(SKIP_1) | instid1(VALU_DEP_1)
	v_add_f32_e32 v67, v76, v84
	v_fma_f32 v76, s24, v126, -v65
	v_dual_add_f32 v67, v67, v83 :: v_dual_mul_f32 v76, 0x3fb8aa3b, v76
	v_fma_f32 v78, s24, v138, -v65
	v_fma_f32 v77, s24, v139, -v65
	;; [unrolled: 1-line block ×4, first 2 shown]
	v_exp_f32_e32 v76, v76
	s_delay_alu instid0(VALU_DEP_3) | instskip(NEXT) | instid1(VALU_DEP_2)
	v_dual_mul_f32 v78, 0x3fb8aa3b, v78 :: v_dual_mul_f32 v77, 0x3fb8aa3b, v77
	v_dual_mul_f32 v80, 0x3fb8aa3b, v80 :: v_dual_mul_f32 v79, 0x3fb8aa3b, v79
	s_delay_alu instid0(VALU_DEP_2) | instskip(NEXT) | instid1(VALU_DEP_2)
	v_exp_f32_e32 v78, v78
	v_exp_f32_e32 v77, v77
	s_delay_alu instid0(VALU_DEP_1) | instskip(NEXT) | instid1(VALU_DEP_1)
	v_exp_f32_e32 v80, v80
	v_exp_f32_e32 v79, v79
	v_cndmask_b32_e64 v90, 0, v76, s11
	v_cndmask_b32_e64 v86, 0, v78, s7
	v_fma_f32 v78, s24, v127, -v65
	s_delay_alu instid0(TRANS32_DEP_3) | instskip(SKIP_1) | instid1(TRANS32_DEP_2)
	v_cndmask_b32_e64 v85, 0, v77, s8
	v_fma_f32 v77, s24, v128, -v65
	v_cndmask_b32_e64 v88, 0, v80, s9
	v_add_f32_e32 v67, v67, v86
	v_mul_f32_e32 v78, 0x3fb8aa3b, v78
	v_fma_f32 v80, s24, v129, -v65
	v_mul_f32_e32 v77, 0x3fb8aa3b, v77
	v_cndmask_b32_e64 v87, 0, v79, s10
	v_add_f32_e32 v67, v67, v85
	v_exp_f32_e32 v78, v78
	v_fma_f32 v79, s24, v130, -v65
	v_mul_f32_e32 v80, 0x3fb8aa3b, v80
	v_exp_f32_e32 v77, v77
	s_delay_alu instid0(VALU_DEP_2) | instskip(NEXT) | instid1(VALU_DEP_2)
	v_dual_add_f32 v67, v67, v88 :: v_dual_mul_f32 v76, 0x3fb8aa3b, v79
	v_exp_f32_e32 v79, v80
	s_delay_alu instid0(VALU_DEP_1) | instskip(NEXT) | instid1(TRANS32_DEP_3)
	v_add_f32_e32 v67, v67, v87
	v_cndmask_b32_e64 v89, 0, v78, s12
	v_fma_f32 v78, s24, v131, -v65
	v_exp_f32_e32 v76, v76
	s_delay_alu instid0(TRANS32_DEP_3) | instskip(SKIP_1) | instid1(VALU_DEP_3)
	v_cndmask_b32_e64 v92, 0, v77, s13
	v_add_f32_e32 v67, v67, v90
	v_mul_f32_e32 v77, 0x3fb8aa3b, v78
	s_delay_alu instid0(TRANS32_DEP_2) | instskip(NEXT) | instid1(VALU_DEP_3)
	v_cndmask_b32_e64 v91, 0, v79, s16
	v_add_f32_e32 v67, v67, v89
	s_delay_alu instid0(VALU_DEP_3) | instskip(NEXT) | instid1(TRANS32_DEP_2)
	v_exp_f32_e32 v77, v77
	v_cndmask_b32_e64 v94, 0, v76, s17
	v_and_b32_e32 v76, 31, v0
	s_delay_alu instid0(VALU_DEP_3) | instskip(NEXT) | instid1(VALU_DEP_2)
	v_add_f32_e32 v67, v67, v92
	v_cmp_lt_u32_e64 s2, 15, v76
	s_delay_alu instid0(VALU_DEP_2) | instskip(SKIP_3) | instid1(VALU_DEP_1)
	v_add_f32_e32 v67, v67, v91
	s_waitcnt_depctr 0xfff
	v_cndmask_b32_e64 v93, 0, v77, s18
	v_add_f32_e32 v67, v67, v94
	v_add_f32_e32 v67, v67, v93
	ds_bpermute_b32 v68, v68, v67
	v_cmpx_gt_u32_e32 16, v76
	s_cbranch_execz .LBB1134_11
; %bb.10:
	v_mul_u32_u24_e32 v76, 0x44, v66
	s_waitcnt lgkmcnt(0)
	v_add_f32_e32 v67, v67, v68
	s_delay_alu instid0(VALU_DEP_2) | instskip(NEXT) | instid1(VALU_DEP_1)
	v_lshl_add_u32 v76, v73, 2, v76
	v_add_nc_u32_e32 v68, 0x4000, v76
	ds_store_2addr_b32 v68, v65, v67 offset1:136
.LBB1134_11:
	s_or_b32 exec_lo, exec_lo, s3
	v_lshlrev_b32_e32 v65, 2, v73
	s_load_b64 s[36:37], s[0:1], 0x94
	s_waitcnt lgkmcnt(0)
	s_barrier
	buffer_gl0_inv
	v_add_nc_u32_e32 v65, 0x4000, v65
	v_cmp_eq_u32_e32 vcc_lo, 1, v66
	v_cmp_eq_u32_e64 s3, 2, v66
	v_cmp_eq_u32_e64 s5, 3, v66
	;; [unrolled: 1-line block ×3, first 2 shown]
	ds_load_2addr_b32 v[76:77], v65 offset1:17
	ds_load_2addr_b32 v[78:79], v65 offset0:34 offset1:51
	ds_load_2addr_b32 v[80:81], v65 offset0:68 offset1:85
	;; [unrolled: 1-line block ×3, first 2 shown]
	v_cmp_eq_u32_e64 s7, 5, v66
	v_cmp_eq_u32_e64 s4, 6, v66
	s_waitcnt lgkmcnt(3)
	v_max3_f32 v67, v76, 0xff7fffff, v77
	s_waitcnt lgkmcnt(2)
	s_delay_alu instid0(VALU_DEP_1) | instskip(SKIP_1) | instid1(VALU_DEP_1)
	v_max3_f32 v67, v67, v78, v79
	s_waitcnt lgkmcnt(1)
	v_max3_f32 v67, v67, v80, v81
	s_waitcnt lgkmcnt(0)
	s_delay_alu instid0(VALU_DEP_1) | instskip(NEXT) | instid1(VALU_DEP_1)
	v_max3_f32 v67, v67, v95, v96
	v_sub_f32_e32 v82, v77, v67
	ds_load_2addr_b32 v[97:98], v65 offset0:136 offset1:153
	v_sub_f32_e32 v68, v76, v67
	ds_load_2addr_b32 v[76:77], v65 offset0:170 offset1:187
	v_sub_f32_e32 v80, v80, v67
	v_mul_f32_e32 v82, 0x3fb8aa3b, v82
	v_mul_f32_e32 v68, 0x3fb8aa3b, v68
	s_delay_alu instid0(VALU_DEP_3) | instskip(NEXT) | instid1(VALU_DEP_2)
	v_mul_f32_e32 v102, 0x3fb8aa3b, v80
	v_exp_f32_e32 v99, v68
	v_sub_f32_e32 v68, v79, v67
	s_delay_alu instid0(VALU_DEP_1) | instskip(NEXT) | instid1(VALU_DEP_1)
	v_dual_sub_f32 v78, v78, v67 :: v_dual_mul_f32 v101, 0x3fb8aa3b, v68
	v_mul_f32_e32 v100, 0x3fb8aa3b, v78
	ds_load_2addr_b32 v[78:79], v65 offset0:204 offset1:221
	s_waitcnt lgkmcnt(2)
	v_fma_f32 v68, v99, v97, 0
	v_sub_f32_e32 v97, v81, v67
	ds_load_2addr_b32 v[80:81], v65 offset0:238 offset1:255
	v_sub_f32_e32 v65, v95, v67
	v_exp_f32_e32 v82, v82
	v_exp_f32_e32 v101, v101
	v_mul_f32_e32 v95, 0x3fb8aa3b, v97
	v_exp_f32_e32 v97, v102
	v_mul_f32_e32 v65, 0x3fb8aa3b, v65
	v_exp_f32_e32 v100, v100
	s_waitcnt lgkmcnt(0)
	v_exp_f32_e32 v95, v95
	s_barrier
	buffer_gl0_inv
	v_fmac_f32_e32 v68, v82, v98
	s_delay_alu instid0(VALU_DEP_1) | instskip(SKIP_2) | instid1(VALU_DEP_2)
	v_fmac_f32_e32 v68, v100, v76
	v_sub_f32_e32 v76, v96, v67
	v_exp_f32_e32 v96, v65
	v_fmac_f32_e32 v68, v101, v77
	s_delay_alu instid0(VALU_DEP_2) | instskip(NEXT) | instid1(VALU_DEP_2)
	v_mul_f32_e32 v76, 0x3fb8aa3b, v76
	v_fmac_f32_e32 v68, v97, v78
	s_delay_alu instid0(VALU_DEP_2) | instskip(SKIP_1) | instid1(VALU_DEP_2)
	v_exp_f32_e32 v98, v76
	v_cndmask_b32_e32 v76, v99, v82, vcc_lo
	v_fmac_f32_e32 v68, v95, v79
	s_delay_alu instid0(TRANS32_DEP_2) | instid1(VALU_DEP_1)
	v_fmac_f32_e32 v68, v96, v80
	v_lshlrev_b32_e32 v80, 6, v73
	s_waitcnt_depctr 0xfff
	v_fmac_f32_e32 v68, v98, v81
	v_lshl_or_b32 v82, v66, 11, v80
	s_delay_alu instid0(VALU_DEP_2) | instskip(NEXT) | instid1(VALU_DEP_1)
	v_add_f32_e32 v81, 0x358637bd, v68
	v_div_scale_f32 v102, null, v81, v81, 1.0
	v_div_scale_f32 v99, vcc_lo, 1.0, v81, 1.0
	s_delay_alu instid0(VALU_DEP_2) | instskip(SKIP_2) | instid1(VALU_DEP_1)
	v_rcp_f32_e32 v103, v102
	s_waitcnt_depctr 0xfff
	v_fma_f32 v65, -v102, v103, 1.0
	v_fmac_f32_e32 v103, v65, v103
	v_cndmask_b32_e64 v65, v76, v100, s3
	v_cmp_eq_u32_e64 s3, 7, v66
	v_lshlrev_b32_e32 v76, 2, v75
	s_delay_alu instid0(VALU_DEP_4) | instskip(NEXT) | instid1(VALU_DEP_4)
	v_mul_f32_e32 v100, v99, v103
	v_cndmask_b32_e64 v77, v65, v101, s5
	v_mov_b32_e32 v65, 0
	s_delay_alu instid0(VALU_DEP_4)
	v_or_b32_e32 v79, 1, v76
	v_cmp_eq_u32_e64 s5, 1, v76
	v_fma_f32 v78, -v102, v100, v99
	v_cndmask_b32_e64 v97, v77, v97, s6
	v_or_b32_e32 v77, 2, v76
	v_cmp_eq_u32_e64 s9, 1, v79
	v_cmp_eq_u32_e64 s6, 2, v76
	v_fmac_f32_e32 v100, v78, v103
	v_cndmask_b32_e64 v66, v97, v95, s7
	v_or_b32_e32 v78, 3, v76
	v_cmp_eq_u32_e64 s10, 1, v77
	v_cmp_eq_u32_e64 s12, 2, v79
	v_fma_f32 v95, -v102, v100, v99
	v_cndmask_b32_e64 v66, v66, v96, s4
	v_cmp_eq_u32_e64 s11, 1, v78
	v_cmp_eq_u32_e64 s17, 2, v78
	;; [unrolled: 1-line block ×3, first 2 shown]
	v_div_fmas_f32 v95, v95, v103, v100
	v_cndmask_b32_e64 v66, v66, v98, s3
	v_cmp_eq_u32_e32 vcc_lo, 3, v76
	v_cmp_eq_u32_e64 s16, 2, v77
	v_cmp_eq_u32_e64 s19, 3, v78
	v_div_fixup_f32 v95, v95, v81, 1.0
	v_lshl_or_b32 v81, v75, 4, v82
	v_cmp_eq_u32_e64 s4, 4, v76
	v_cmp_eq_u32_e64 s18, 3, v77
	;; [unrolled: 1-line block ×3, first 2 shown]
	v_mul_f32_e32 v66, v66, v95
	v_cmp_eq_u32_e64 s23, 4, v78
	v_cmp_eq_u32_e64 s7, 5, v76
	;; [unrolled: 1-line block ×4, first 2 shown]
	v_fma_mixlo_f16 v95, v66, v70, 0
	v_fma_mixlo_f16 v96, v66, v72, 0
	;; [unrolled: 1-line block ×8, first 2 shown]
	v_fma_mixhi_f16 v95, v66, v69, 0
	v_fma_mixhi_f16 v96, v66, v71, 0
	v_fma_mixhi_f16 v97, v66, v83, 0
	v_fma_mixhi_f16 v98, v66, v85, 0
	v_fma_mixhi_f16 v99, v66, v87, 0
	v_fma_mixhi_f16 v100, v66, v89, 0
	v_fma_mixhi_f16 v101, v66, v91, 0
	v_fma_mixhi_f16 v102, v66, v93, 0
	ds_store_b128 v81, v[95:98]
	ds_store_b128 v81, v[99:102] offset:1024
	s_waitcnt lgkmcnt(0)
	s_barrier
	buffer_gl0_inv
	ds_load_b128 v[69:72], v82
	ds_load_b128 v[83:86], v82 offset:16
	ds_load_b128 v[87:90], v82 offset:1024
	;; [unrolled: 1-line block ×3, first 2 shown]
	v_cmp_eq_u32_e64 s25, 5, v78
	v_cmp_eq_u32_e64 s3, 6, v76
	;; [unrolled: 1-line block ×10, first 2 shown]
	s_waitcnt lgkmcnt(3)
	v_lshrrev_b32_e32 v66, 16, v69
	s_waitcnt lgkmcnt(2)
	v_lshrrev_b32_e32 v98, 16, v83
	;; [unrolled: 2-line block ×4, first 2 shown]
	v_lshrrev_b32_e32 v95, 16, v70
	v_cndmask_b32_e64 v110, v69, v66, s5
	v_cndmask_b32_e64 v111, v83, v98, s5
	;; [unrolled: 1-line block ×7, first 2 shown]
	v_lshrrev_b32_e32 v99, 16, v84
	v_cndmask_b32_e64 v115, v83, v98, s10
	v_cndmask_b32_e64 v83, v87, v102, s5
	v_cndmask_b32_e64 v98, v91, v106, s5
	v_cndmask_b32_e64 v116, v87, v102, s9
	v_cndmask_b32_e64 v117, v91, v106, s9
	v_cndmask_b32_e64 v118, v87, v102, s10
	v_cndmask_b32_e64 v119, v91, v106, s10
	v_cndmask_b32_e64 v87, v87, v102, s11
	v_cndmask_b32_e64 v91, v91, v106, s11
	v_cndmask_b32_e64 v102, v110, v70, s6
	v_cndmask_b32_e64 v106, v111, v84, s6
	v_cndmask_b32_e64 v110, v112, v70, s12
	v_cndmask_b32_e64 v111, v113, v84, s12
	v_cndmask_b32_e64 v66, v66, v70, s17
	v_cndmask_b32_e64 v69, v69, v84, s17
	v_lshrrev_b32_e32 v103, 16, v88
	v_lshrrev_b32_e32 v107, 16, v92
	v_cndmask_b32_e64 v112, v114, v70, s16
	v_cndmask_b32_e64 v113, v115, v84, s16
	;; [unrolled: 1-line block ×7, first 2 shown]
	v_cndmask_b32_e32 v88, v102, v95, vcc_lo
	v_cndmask_b32_e32 v102, v106, v99, vcc_lo
	v_cndmask_b32_e64 v106, v110, v95, s13
	v_cndmask_b32_e64 v110, v111, v99, s13
	v_cndmask_b32_e64 v66, v66, v95, s19
	v_cndmask_b32_e64 v69, v69, v99, s19
	v_lshrrev_b32_e32 v96, 16, v71
	v_lshrrev_b32_e32 v100, 16, v85
	v_cndmask_b32_e64 v111, v112, v95, s18
	v_cndmask_b32_e64 v112, v113, v99, s18
	v_cndmask_b32_e32 v70, v70, v103, vcc_lo
	v_cndmask_b32_e32 v83, v83, v107, vcc_lo
	v_cndmask_b32_e64 v84, v84, v103, s13
	v_cndmask_b32_e64 v88, v88, v71, s4
	;; [unrolled: 1-line block ×7, first 2 shown]
	v_lshrrev_b32_e32 v104, 16, v89
	v_lshrrev_b32_e32 v108, 16, v93
	v_cndmask_b32_e64 v106, v111, v71, s22
	v_cndmask_b32_e64 v110, v112, v85, s22
	;; [unrolled: 1-line block ×11, first 2 shown]
	v_lshrrev_b32_e32 v97, 16, v72
	v_lshrrev_b32_e32 v101, 16, v86
	v_cndmask_b32_e64 v99, v106, v96, s24
	v_cndmask_b32_e64 v102, v110, v100, s24
	;; [unrolled: 1-line block ×11, first 2 shown]
	v_lshrrev_b32_e32 v105, 16, v90
	v_cndmask_b32_e64 v96, v99, v72, s27
	v_cndmask_b32_e64 v99, v102, v86, s27
	;; [unrolled: 1-line block ×14, first 2 shown]
	v_perm_b32 v72, v69, v66, 0x5040100
	v_perm_b32 v70, v95, v85, 0x5040100
	v_cndmask_b32_e64 v66, v91, v92, s17
	v_cndmask_b32_e64 v69, v119, v92, s16
	;; [unrolled: 1-line block ×4, first 2 shown]
	v_perm_b32 v71, v96, v88, 0x5040100
	v_cndmask_b32_e64 v88, v98, v103, s18
	v_cndmask_b32_e64 v87, v87, v103, s19
	;; [unrolled: 1-line block ×15, first 2 shown]
	v_lshrrev_b32_e32 v109, 16, v94
	v_cndmask_b32_e64 v88, v88, v90, s27
	v_cndmask_b32_e64 v87, v87, v90, s28
	;; [unrolled: 1-line block ×11, first 2 shown]
	v_perm_b32 v69, v84, v83, 0x5040100
	v_perm_b32 v86, v66, v87, 0x5040100
	;; [unrolled: 1-line block ×5, first 2 shown]
	s_mov_b32 s3, exec_lo
	ds_store_b128 v81, v[69:72]
	ds_store_b128 v81, v[83:86] offset:1024
	v_cmpx_eq_u32_e32 0, v0
	s_cbranch_execz .LBB1134_13
; %bb.12:
	s_load_b128 s[4:7], s[0:1], 0x58
	s_mul_i32 s8, s37, s34
	s_delay_alu instid0(SALU_CYCLE_1) | instskip(NEXT) | instid1(SALU_CYCLE_1)
	s_add_i32 s8, s8, s15
	s_mul_i32 s8, s8, s36
	s_delay_alu instid0(SALU_CYCLE_1) | instskip(NEXT) | instid1(SALU_CYCLE_1)
	s_add_i32 s8, s8, s14
	s_ashr_i32 s9, s8, 31
	s_delay_alu instid0(SALU_CYCLE_1)
	s_lshl_b64 s[8:9], s[8:9], 2
	s_waitcnt lgkmcnt(0)
	s_add_u32 s6, s6, s8
	s_addc_u32 s7, s7, s9
	s_add_u32 s4, s4, s8
	s_addc_u32 s5, s5, s9
	s_clause 0x1
	global_store_b32 v65, v67, s[6:7]
	global_store_b32 v65, v68, s[4:5]
.LBB1134_13:
	s_or_b32 exec_lo, exec_lo, s3
	s_waitcnt lgkmcnt(0)
	s_waitcnt_vscnt null, 0x0
	s_barrier
	buffer_gl0_inv
	ds_load_b128 v[83:86], v80
	ds_load_b128 v[87:90], v80 offset:16
	ds_load_b128 v[95:98], v80 offset:2064
	;; [unrolled: 1-line block ×5, first 2 shown]
	v_mov_b32_e32 v66, v65
	v_mov_b32_e32 v67, v65
	;; [unrolled: 1-line block ×7, first 2 shown]
	ds_load_b128 v[111:114], v80 offset:6160
	ds_load_b128 v[107:110], v80 offset:6144
	ds_load_b128 v[119:122], v80 offset:8208
	ds_load_b128 v[115:118], v80 offset:8192
	v_cmp_eq_u32_e32 vcc_lo, 1, v76
	v_cmp_eq_u32_e64 s3, 1, v79
	v_cmp_eq_u32_e64 s4, 1, v78
	;; [unrolled: 1-line block ×5, first 2 shown]
	s_waitcnt lgkmcnt(8)
	v_wmma_f32_16x16x16_f16 v[65:72], v[49:56], v[83:90], v[65:72]
	ds_load_b128 v[53:56], v80 offset:10256
	ds_load_b128 v[49:52], v80 offset:10240
	s_waitcnt lgkmcnt(8)
	v_wmma_f32_16x16x16_f16 v[65:72], v[41:48], v[91:98], v[65:72]
	ds_load_b128 v[45:48], v80 offset:12304
	ds_load_b128 v[41:44], v80 offset:12288
	;; [unrolled: 4-line block ×3, first 2 shown]
	s_waitcnt lgkmcnt(0)
	s_barrier
	buffer_gl0_inv
	v_wmma_f32_16x16x16_f16 v[65:72], v[1:8], v[107:114], v[65:72]
	s_delay_alu instid0(VALU_DEP_1) | instskip(NEXT) | instid1(VALU_DEP_1)
	v_wmma_f32_16x16x16_f16 v[65:72], v[9:16], v[115:122], v[65:72]
	v_wmma_f32_16x16x16_f16 v[65:72], v[17:24], v[49:56], v[65:72]
	s_delay_alu instid0(VALU_DEP_1) | instskip(NEXT) | instid1(VALU_DEP_1)
	v_wmma_f32_16x16x16_f16 v[65:72], v[25:32], v[41:48], v[65:72]
	v_wmma_f32_16x16x16_f16 v[65:72], v[57:64], v[33:40], v[65:72]
	s_delay_alu instid0(VALU_DEP_1) | instskip(NEXT) | instid1(VALU_DEP_2)
	v_cvt_f16_f32_e32 v1, v65
	v_cvt_f16_f32_e32 v2, v66
	s_delay_alu instid0(VALU_DEP_3) | instskip(NEXT) | instid1(VALU_DEP_4)
	v_cvt_f16_f32_e32 v3, v67
	v_cvt_f16_f32_e32 v4, v68
	;; [unrolled: 1-line block ×6, first 2 shown]
	v_pack_b32_f16 v1, v1, v2
	v_pack_b32_f16 v2, v3, v4
	;; [unrolled: 1-line block ×3, first 2 shown]
	s_delay_alu instid0(VALU_DEP_4)
	v_pack_b32_f16 v4, v7, v8
	ds_store_b128 v81, v[1:4]
	s_waitcnt lgkmcnt(0)
	s_barrier
	buffer_gl0_inv
	ds_load_b128 v[1:4], v82
	ds_load_b128 v[5:8], v82 offset:16
	s_waitcnt lgkmcnt(1)
	v_lshrrev_b32_e32 v9, 16, v1
	s_waitcnt lgkmcnt(0)
	v_lshrrev_b32_e32 v13, 16, v5
	v_lshrrev_b32_e32 v16, 16, v8
	v_lshrrev_b32_e32 v10, 16, v2
	v_lshrrev_b32_e32 v14, 16, v6
	v_cndmask_b32_e32 v17, v1, v9, vcc_lo
	v_cndmask_b32_e32 v18, v5, v13, vcc_lo
	v_cmp_eq_u32_e32 vcc_lo, 1, v77
	v_cndmask_b32_e64 v19, v1, v9, s3
	v_cndmask_b32_e64 v20, v5, v13, s3
	v_cmp_eq_u32_e64 s3, 2, v77
	v_lshrrev_b32_e32 v11, 16, v3
	v_cndmask_b32_e32 v21, v1, v9, vcc_lo
	v_cndmask_b32_e32 v22, v5, v13, vcc_lo
	v_cndmask_b32_e64 v1, v1, v9, s4
	v_cmp_eq_u32_e32 vcc_lo, 2, v78
	v_cndmask_b32_e64 v5, v5, v13, s4
	v_cmp_eq_u32_e64 s4, 2, v79
	v_cndmask_b32_e64 v9, v17, v2, s5
	v_cndmask_b32_e64 v13, v18, v6, s5
	v_cmp_eq_u32_e64 s5, 3, v79
	v_cndmask_b32_e32 v1, v1, v2, vcc_lo
	v_cndmask_b32_e64 v17, v19, v2, s4
	v_cndmask_b32_e64 v18, v20, v6, s4
	;; [unrolled: 1-line block ×4, first 2 shown]
	v_cndmask_b32_e32 v2, v5, v6, vcc_lo
	v_cmp_eq_u32_e32 vcc_lo, 3, v77
	v_cmp_eq_u32_e64 s4, 3, v78
	v_cndmask_b32_e64 v5, v9, v10, s6
	v_cndmask_b32_e64 v6, v13, v14, s6
	;; [unrolled: 1-line block ×4, first 2 shown]
	v_cndmask_b32_e32 v17, v19, v10, vcc_lo
	v_cmp_eq_u32_e64 s3, 4, v77
	v_cndmask_b32_e32 v18, v20, v14, vcc_lo
	v_cndmask_b32_e64 v1, v1, v10, s4
	v_cmp_eq_u32_e32 vcc_lo, 4, v78
	v_cmp_eq_u32_e64 s5, 4, v76
	v_cndmask_b32_e64 v2, v2, v14, s4
	v_cmp_eq_u32_e64 s4, 4, v79
	v_lshrrev_b32_e32 v15, 16, v7
	v_cmp_eq_u32_e64 s6, 5, v76
	v_cndmask_b32_e64 v5, v5, v3, s5
	v_cndmask_b32_e64 v6, v6, v7, s5
	;; [unrolled: 1-line block ×6, first 2 shown]
	v_cmp_eq_u32_e64 s4, 5, v77
	v_cndmask_b32_e32 v1, v1, v3, vcc_lo
	v_cndmask_b32_e32 v2, v2, v7, vcc_lo
	v_cmp_eq_u32_e32 vcc_lo, 5, v78
	v_cmp_eq_u32_e64 s5, 5, v79
	v_cndmask_b32_e64 v5, v5, v11, s6
	v_cmp_eq_u32_e64 s3, 6, v76
	v_cndmask_b32_e64 v6, v6, v15, s6
	v_cndmask_b32_e64 v13, v13, v11, s4
	;; [unrolled: 1-line block ×3, first 2 shown]
	v_cndmask_b32_e32 v1, v1, v11, vcc_lo
	v_cmp_eq_u32_e64 s4, 6, v78
	v_cndmask_b32_e32 v2, v2, v15, vcc_lo
	v_cndmask_b32_e64 v9, v9, v11, s5
	v_cndmask_b32_e64 v10, v10, v15, s5
	v_cmp_eq_u32_e64 s5, 6, v79
	v_lshrrev_b32_e32 v12, 16, v4
	v_cndmask_b32_e64 v5, v5, v4, s3
	v_cndmask_b32_e64 v6, v6, v8, s3
	v_cmp_eq_u32_e64 s3, 7, v76
	v_cndmask_b32_e64 v1, v1, v4, s4
	v_cmp_eq_u32_e32 vcc_lo, 7, v78
	v_cndmask_b32_e64 v2, v2, v8, s4
	v_cndmask_b32_e64 v9, v9, v4, s5
	v_cmp_eq_u32_e64 s6, 7, v79
	v_cndmask_b32_e64 v7, v13, v4, s7
	v_cndmask_b32_e64 v3, v3, v8, s7
	v_cndmask_b32_e32 v2, v2, v16, vcc_lo
	v_cmp_eq_u32_e64 s4, 7, v77
	v_cndmask_b32_e64 v4, v10, v8, s5
	v_cndmask_b32_e64 v5, v5, v12, s3
	v_cndmask_b32_e32 v1, v1, v12, vcc_lo
	v_cndmask_b32_e64 v6, v6, v16, s3
	v_cmp_lt_u32_e32 vcc_lo, 31, v0
	v_cmp_lt_u32_e64 s3, 7, v73
	v_cndmask_b32_e64 v9, v9, v12, s6
	v_cndmask_b32_e64 v7, v7, v12, s4
	;; [unrolled: 1-line block ×4, first 2 shown]
	s_or_b32 s3, vcc_lo, s3
	v_perm_b32 v4, v2, v1, 0x5040100
	v_perm_b32 v1, v6, v5, 0x5040100
	;; [unrolled: 1-line block ×4, first 2 shown]
	s_or_b32 s2, s2, s3
	s_delay_alu instid0(SALU_CYCLE_1)
	s_xor_b32 s2, s2, -1
	ds_store_b128 v81, v[1:4]
	s_waitcnt lgkmcnt(0)
	s_barrier
	buffer_gl0_inv
	s_and_saveexec_b32 s3, s2
	s_cbranch_execz .LBB1134_2
; %bb.14:
	s_load_b64 s[0:1], s[0:1], 0x68
	v_lshlrev_b32_e32 v1, 10, v0
	v_and_b32_e32 v0, 1, v0
	v_lshlrev_b32_e32 v2, 6, v75
	s_lshl_b32 s4, s36, 6
	s_delay_alu instid0(VALU_DEP_3) | instskip(NEXT) | instid1(VALU_DEP_3)
	v_and_b32_e32 v1, 0x3800, v1
	v_lshlrev_b32_e32 v0, 4, v0
	s_mul_i32 s2, s4, s34
	s_delay_alu instid0(SALU_CYCLE_1) | instskip(NEXT) | instid1(VALU_DEP_1)
	s_mul_i32 s2, s2, s37
	v_or3_b32 v0, v1, v2, v0
	s_ashr_i32 s3, s2, 31
	s_delay_alu instid0(SALU_CYCLE_1)
	s_lshl_b64 s[2:3], s[2:3], 1
	ds_load_b128 v[0:3], v0
	s_waitcnt lgkmcnt(0)
	s_add_u32 s5, s0, s2
	s_addc_u32 s3, s1, s3
	s_lshl_b32 s0, s14, 6
	s_mul_i32 s2, s4, s15
	s_ashr_i32 s1, s0, 31
	s_delay_alu instid0(SALU_CYCLE_1) | instskip(NEXT) | instid1(SALU_CYCLE_1)
	s_lshl_b64 s[0:1], s[0:1], 1
	s_add_u32 s4, s5, s0
	s_addc_u32 s5, s3, s1
	s_ashr_i32 s3, s2, 31
	s_delay_alu instid0(SALU_CYCLE_1) | instskip(NEXT) | instid1(SALU_CYCLE_1)
	s_lshl_b64 s[0:1], s[2:3], 1
	s_add_u32 s0, s4, s0
	s_addc_u32 s1, s5, s1
	global_store_b128 v74, v[0:3], s[0:1]
	s_nop 0
	s_sendmsg sendmsg(MSG_DEALLOC_VGPRS)
	s_endpgm
	.section	.rodata,"a",@progbits
	.p2align	6, 0x0
	.amdhsa_kernel _Z39paged_attention_ll4mi_QKV_mfma16_kernelIDF16_hLN4vllm18Fp8KVCacheDataTypeE1EDF16_Li16ELi64ELi256ELb1ELi1EL8MFMAType0EEvPKT_PKT0_S8_ifPKiSA_SA_iPKfiiiPfSD_PS3_PT2_iSC_SC_
		.amdhsa_group_segment_fixed_size 17472
		.amdhsa_private_segment_fixed_size 0
		.amdhsa_kernarg_size 400
		.amdhsa_user_sgpr_count 13
		.amdhsa_user_sgpr_dispatch_ptr 0
		.amdhsa_user_sgpr_queue_ptr 0
		.amdhsa_user_sgpr_kernarg_segment_ptr 1
		.amdhsa_user_sgpr_dispatch_id 0
		.amdhsa_user_sgpr_private_segment_size 0
		.amdhsa_wavefront_size32 1
		.amdhsa_uses_dynamic_stack 0
		.amdhsa_enable_private_segment 0
		.amdhsa_system_sgpr_workgroup_id_x 1
		.amdhsa_system_sgpr_workgroup_id_y 1
		.amdhsa_system_sgpr_workgroup_id_z 1
		.amdhsa_system_sgpr_workgroup_info 0
		.amdhsa_system_vgpr_workitem_id 0
		.amdhsa_next_free_vgpr 144
		.amdhsa_next_free_sgpr 48
		.amdhsa_reserve_vcc 1
		.amdhsa_float_round_mode_32 0
		.amdhsa_float_round_mode_16_64 0
		.amdhsa_float_denorm_mode_32 3
		.amdhsa_float_denorm_mode_16_64 3
		.amdhsa_dx10_clamp 1
		.amdhsa_ieee_mode 1
		.amdhsa_fp16_overflow 0
		.amdhsa_workgroup_processor_mode 1
		.amdhsa_memory_ordered 1
		.amdhsa_forward_progress 0
		.amdhsa_shared_vgpr_count 0
		.amdhsa_exception_fp_ieee_invalid_op 0
		.amdhsa_exception_fp_denorm_src 0
		.amdhsa_exception_fp_ieee_div_zero 0
		.amdhsa_exception_fp_ieee_overflow 0
		.amdhsa_exception_fp_ieee_underflow 0
		.amdhsa_exception_fp_ieee_inexact 0
		.amdhsa_exception_int_div_zero 0
	.end_amdhsa_kernel
	.section	.text._Z39paged_attention_ll4mi_QKV_mfma16_kernelIDF16_hLN4vllm18Fp8KVCacheDataTypeE1EDF16_Li16ELi64ELi256ELb1ELi1EL8MFMAType0EEvPKT_PKT0_S8_ifPKiSA_SA_iPKfiiiPfSD_PS3_PT2_iSC_SC_,"axG",@progbits,_Z39paged_attention_ll4mi_QKV_mfma16_kernelIDF16_hLN4vllm18Fp8KVCacheDataTypeE1EDF16_Li16ELi64ELi256ELb1ELi1EL8MFMAType0EEvPKT_PKT0_S8_ifPKiSA_SA_iPKfiiiPfSD_PS3_PT2_iSC_SC_,comdat
.Lfunc_end1134:
	.size	_Z39paged_attention_ll4mi_QKV_mfma16_kernelIDF16_hLN4vllm18Fp8KVCacheDataTypeE1EDF16_Li16ELi64ELi256ELb1ELi1EL8MFMAType0EEvPKT_PKT0_S8_ifPKiSA_SA_iPKfiiiPfSD_PS3_PT2_iSC_SC_, .Lfunc_end1134-_Z39paged_attention_ll4mi_QKV_mfma16_kernelIDF16_hLN4vllm18Fp8KVCacheDataTypeE1EDF16_Li16ELi64ELi256ELb1ELi1EL8MFMAType0EEvPKT_PKT0_S8_ifPKiSA_SA_iPKfiiiPfSD_PS3_PT2_iSC_SC_
                                        ; -- End function
	.section	.AMDGPU.csdata,"",@progbits
; Kernel info:
; codeLenInByte = 6204
; NumSgprs: 50
; NumVgprs: 144
; ScratchSize: 0
; MemoryBound: 1
; FloatMode: 240
; IeeeMode: 1
; LDSByteSize: 17472 bytes/workgroup (compile time only)
; SGPRBlocks: 6
; VGPRBlocks: 17
; NumSGPRsForWavesPerEU: 50
; NumVGPRsForWavesPerEU: 144
; Occupancy: 10
; WaveLimiterHint : 1
; COMPUTE_PGM_RSRC2:SCRATCH_EN: 0
; COMPUTE_PGM_RSRC2:USER_SGPR: 13
; COMPUTE_PGM_RSRC2:TRAP_HANDLER: 0
; COMPUTE_PGM_RSRC2:TGID_X_EN: 1
; COMPUTE_PGM_RSRC2:TGID_Y_EN: 1
; COMPUTE_PGM_RSRC2:TGID_Z_EN: 1
; COMPUTE_PGM_RSRC2:TIDIG_COMP_CNT: 0
	.section	.text._Z39paged_attention_ll4mi_QKV_mfma16_kernelIDF16_hLN4vllm18Fp8KVCacheDataTypeE1EDF16_Li16ELi64ELi256ELb1ELi2EL8MFMAType0EEvPKT_PKT0_S8_ifPKiSA_SA_iPKfiiiPfSD_PS3_PT2_iSC_SC_,"axG",@progbits,_Z39paged_attention_ll4mi_QKV_mfma16_kernelIDF16_hLN4vllm18Fp8KVCacheDataTypeE1EDF16_Li16ELi64ELi256ELb1ELi2EL8MFMAType0EEvPKT_PKT0_S8_ifPKiSA_SA_iPKfiiiPfSD_PS3_PT2_iSC_SC_,comdat
	.protected	_Z39paged_attention_ll4mi_QKV_mfma16_kernelIDF16_hLN4vllm18Fp8KVCacheDataTypeE1EDF16_Li16ELi64ELi256ELb1ELi2EL8MFMAType0EEvPKT_PKT0_S8_ifPKiSA_SA_iPKfiiiPfSD_PS3_PT2_iSC_SC_ ; -- Begin function _Z39paged_attention_ll4mi_QKV_mfma16_kernelIDF16_hLN4vllm18Fp8KVCacheDataTypeE1EDF16_Li16ELi64ELi256ELb1ELi2EL8MFMAType0EEvPKT_PKT0_S8_ifPKiSA_SA_iPKfiiiPfSD_PS3_PT2_iSC_SC_
	.globl	_Z39paged_attention_ll4mi_QKV_mfma16_kernelIDF16_hLN4vllm18Fp8KVCacheDataTypeE1EDF16_Li16ELi64ELi256ELb1ELi2EL8MFMAType0EEvPKT_PKT0_S8_ifPKiSA_SA_iPKfiiiPfSD_PS3_PT2_iSC_SC_
	.p2align	8
	.type	_Z39paged_attention_ll4mi_QKV_mfma16_kernelIDF16_hLN4vllm18Fp8KVCacheDataTypeE1EDF16_Li16ELi64ELi256ELb1ELi2EL8MFMAType0EEvPKT_PKT0_S8_ifPKiSA_SA_iPKfiiiPfSD_PS3_PT2_iSC_SC_,@function
_Z39paged_attention_ll4mi_QKV_mfma16_kernelIDF16_hLN4vllm18Fp8KVCacheDataTypeE1EDF16_Li16ELi64ELi256ELb1ELi2EL8MFMAType0EEvPKT_PKT0_S8_ifPKiSA_SA_iPKfiiiPfSD_PS3_PT2_iSC_SC_: ; @_Z39paged_attention_ll4mi_QKV_mfma16_kernelIDF16_hLN4vllm18Fp8KVCacheDataTypeE1EDF16_Li16ELi64ELi256ELb1ELi2EL8MFMAType0EEvPKT_PKT0_S8_ifPKiSA_SA_iPKfiiiPfSD_PS3_PT2_iSC_SC_
; %bb.0:
	s_load_b64 s[2:3], s[0:1], 0x30
	s_mov_b32 s30, s13
	s_waitcnt lgkmcnt(0)
	s_cmp_lg_u64 s[2:3], 0
	s_cselect_b32 s6, -1, 0
	s_ashr_i32 s31, s13, 31
	s_cmp_eq_u64 s[2:3], 0
	s_cbranch_scc1 .LBB1135_3
; %bb.1:
	s_lshl_b64 s[4:5], s[30:31], 2
	s_delay_alu instid0(SALU_CYCLE_1) | instskip(SKIP_4) | instid1(SALU_CYCLE_1)
	s_add_u32 s4, s2, s4
	s_addc_u32 s5, s3, s5
	s_load_b64 s[4:5], s[4:5], 0x0
	s_waitcnt lgkmcnt(0)
	s_sub_i32 s4, s5, s4
	s_cmp_eq_u32 s4, 1
	s_cselect_b32 s4, -1, 0
	s_delay_alu instid0(SALU_CYCLE_1)
	s_and_not1_b32 vcc_lo, exec_lo, s4
	s_cbranch_vccz .LBB1135_4
.LBB1135_2:
	s_endpgm
.LBB1135_3:
.LBB1135_4:
	s_load_b64 s[8:9], s[0:1], 0x28
	s_lshl_b64 s[4:5], s[30:31], 2
	s_waitcnt lgkmcnt(0)
	s_add_u32 s8, s8, s4
	s_addc_u32 s9, s9, s5
	s_lshl_b32 s16, s14, 8
	s_load_b32 s17, s[8:9], 0x0
	s_waitcnt lgkmcnt(0)
	s_cmp_ge_i32 s16, s17
	s_cbranch_scc1 .LBB1135_2
; %bb.5:
	s_clause 0x1
	s_load_b128 s[8:11], s[0:1], 0x8
	s_load_b64 s[12:13], s[0:1], 0x20
	s_and_not1_b32 vcc_lo, exec_lo, s6
	s_cbranch_vccnz .LBB1135_7
; %bb.6:
	s_add_u32 s2, s2, s4
	s_addc_u32 s3, s3, s5
	s_load_b32 s3, s[2:3], 0x0
	s_branch .LBB1135_8
.LBB1135_7:
	s_mov_b32 s3, s30
.LBB1135_8:
	s_load_b128 s[4:7], s[0:1], 0x48
	v_and_b32_e32 v70, 15, v0
	v_bfe_u32 v69, v0, 4, 1
	s_lshl_b32 s33, s15, 1
	v_cmp_gt_u32_e32 vcc_lo, 32, v0
	v_and_b32_e32 v71, 31, v0
	v_lshlrev_b32_e32 v1, 3, v70
	v_cmp_gt_u32_e64 s2, 8, v70
	v_and_b32_e32 v68, 1, v0
	v_or_b32_e32 v67, s33, v69
	v_lshlrev_b32_e32 v66, 6, v69
	v_lshlrev_b32_e32 v65, 1, v1
	s_and_b32 s31, vcc_lo, s2
	s_delay_alu instid0(SALU_CYCLE_1)
	s_and_saveexec_b32 s2, s31
	s_cbranch_execz .LBB1135_10
; %bb.9:
	s_load_b64 s[18:19], s[0:1], 0x0
	v_lshlrev_b32_e32 v1, 6, v67
	s_waitcnt lgkmcnt(0)
	s_mul_hi_i32 s21, s3, s4
	s_mul_i32 s20, s3, s4
	v_lshlrev_b32_e32 v5, 10, v70
	s_lshl_b64 s[20:21], s[20:21], 1
	v_ashrrev_i32_e32 v2, 31, v1
	v_lshlrev_b32_e32 v6, 10, v68
	s_delay_alu instid0(VALU_DEP_3) | instskip(NEXT) | instid1(VALU_DEP_3)
	v_and_b32_e32 v5, 0x3800, v5
	v_lshlrev_b64 v[1:2], 1, v[1:2]
	s_delay_alu instid0(VALU_DEP_2) | instskip(SKIP_2) | instid1(VALU_DEP_2)
	v_or3_b32 v5, v5, v6, v66
	s_add_u32 s3, s18, s20
	s_addc_u32 s4, s19, s21
	v_add_co_u32 v1, vcc_lo, s3, v1
	s_delay_alu instid0(VALU_DEP_3) | instskip(NEXT) | instid1(VALU_DEP_2)
	v_add_co_ci_u32_e32 v2, vcc_lo, s4, v2, vcc_lo
	v_add_co_u32 v1, vcc_lo, v1, v65
	s_delay_alu instid0(VALU_DEP_2)
	v_add_co_ci_u32_e32 v2, vcc_lo, 0, v2, vcc_lo
	global_load_b128 v[1:4], v[1:2], off
	s_waitcnt vmcnt(0)
	ds_store_b128 v5, v[1:4]
.LBB1135_10:
	s_or_b32 exec_lo, exec_lo, s2
	v_and_b32_e32 v1, 0xef, v0
	s_add_i32 s2, s17, 15
	s_waitcnt lgkmcnt(0)
	s_clause 0x1
	s_load_b32 s3, s[0:1], 0x38
	s_load_b32 s34, s[0:1], 0x98
	s_ashr_i32 s4, s2, 31
	v_add_nc_u32_e32 v1, s16, v1
	s_lshr_b32 s4, s4, 28
	s_load_b32 s18, s[0:1], 0x1c
	s_add_i32 s2, s2, s4
	s_waitcnt lgkmcnt(0)
	v_ashrrev_i32_e32 v2, 31, v1
	v_or_b32_e32 v3, 16, v1
	s_ashr_i32 s2, s2, 4
	v_cmp_gt_i32_e32 vcc_lo, s17, v1
	s_add_i32 s2, s2, -1
	v_lshrrev_b32_e32 v2, 28, v2
	s_barrier
	buffer_gl0_inv
	s_mul_i32 s15, s15, s6
	v_lshrrev_b32_e32 v72, 5, v0
	v_add_nc_u32_e32 v4, v1, v2
	v_mbcnt_lo_u32_b32 v129, -1, 0
	s_mul_i32 s20, s30, s3
	v_and_b32_e32 v105, 0xe0, v0
	s_ashr_i32 s21, s20, 31
	v_ashrrev_i32_e32 v4, 4, v4
	v_add_nc_u32_e32 v2, v3, v2
	s_lshl_b64 s[20:21], s[20:21], 2
	v_xor_b32_e32 v130, 16, v129
	s_add_u32 s19, s12, s20
	v_cndmask_b32_e32 v1, s2, v4, vcc_lo
	v_ashrrev_i32_e32 v2, 4, v2
	v_cmp_gt_i32_e32 vcc_lo, s17, v3
	s_addc_u32 s12, s13, s21
	s_ashr_i32 s13, s15, 31
	s_add_u32 s3, s8, s15
	s_addc_u32 s4, s9, s13
	v_cndmask_b32_e32 v3, s2, v2, vcc_lo
	v_ashrrev_i32_e32 v2, 31, v1
	s_lshl_b32 s6, s14, 4
	v_add_nc_u32_e32 v121, s16, v105
	s_ashr_i32 s7, s6, 31
	v_ashrrev_i32_e32 v4, 31, v3
	v_lshlrev_b64 v[1:2], 2, v[1:2]
	s_lshl_b64 s[6:7], s[6:7], 2
	v_or_b32_e32 v137, v121, v69
	s_add_u32 s6, s19, s6
	v_lshlrev_b64 v[3:4], 2, v[3:4]
	s_addc_u32 s7, s12, s7
	v_add_co_u32 v1, vcc_lo, s19, v1
	v_add_co_ci_u32_e32 v2, vcc_lo, s12, v2, vcc_lo
	s_delay_alu instid0(VALU_DEP_3) | instskip(NEXT) | instid1(VALU_DEP_4)
	v_add_co_u32 v3, vcc_lo, s19, v3
	v_add_co_ci_u32_e32 v4, vcc_lo, s12, v4, vcc_lo
	s_clause 0x1
	global_load_b32 v5, v[1:2], off
	global_load_b32 v7, v[3:4], off
	s_or_b32 s8, s16, 32
	v_lshlrev_b32_e32 v1, 4, v0
	s_ashr_i32 s9, s8, 4
	s_cmp_lt_i32 s8, s17
	v_cmp_gt_i32_e32 vcc_lo, 32, v130
	s_cselect_b32 s8, s9, s2
	v_and_b32_e32 v1, 0xf0, v1
	s_ashr_i32 s9, s8, 31
	v_dual_cndmask_b32 v138, v129, v130 :: v_dual_lshlrev_b32 v117, 6, v68
	s_lshl_b64 s[8:9], s[8:9], 2
	s_delay_alu instid0(VALU_DEP_2)
	v_add_co_u32 v1, s3, s3, v1
	s_add_u32 s20, s19, s8
	s_addc_u32 s21, s12, s9
	s_or_b32 s8, s16, 64
	v_add_co_ci_u32_e64 v2, null, s4, 0, s3
	s_ashr_i32 s9, s8, 4
	s_cmp_lt_i32 s8, s17
	v_or_b32_e32 v139, 2, v137
	s_cselect_b32 s8, s9, s2
	v_or_b32_e32 v140, 4, v137
	s_ashr_i32 s9, s8, 31
	v_or_b32_e32 v141, 6, v137
	s_lshl_b64 s[8:9], s[8:9], 2
	v_cmp_gt_i32_e32 vcc_lo, s17, v137
	s_add_u32 s22, s19, s8
	s_addc_u32 s23, s12, s9
	s_or_b32 s8, s16, 0x60
	v_or_b32_e32 v142, 8, v137
	s_ashr_i32 s9, s8, 4
	s_cmp_lt_i32 s8, s17
	v_or_b32_e32 v143, 10, v137
	s_cselect_b32 s8, s9, s2
	v_or_b32_e32 v144, 12, v137
	s_ashr_i32 s9, s8, 31
	v_or_b32_e32 v145, 14, v137
	s_lshl_b64 s[8:9], s[8:9], 2
	v_or_b32_e32 v146, 16, v137
	s_add_u32 s24, s19, s8
	s_addc_u32 s25, s12, s9
	s_or_b32 s8, s16, 0x80
	v_or_b32_e32 v147, 18, v137
	s_ashr_i32 s9, s8, 4
	s_cmp_lt_i32 s8, s17
	s_cselect_b32 s8, s9, s2
	s_delay_alu instid0(SALU_CYCLE_1) | instskip(NEXT) | instid1(SALU_CYCLE_1)
	s_ashr_i32 s9, s8, 31
	s_lshl_b64 s[8:9], s[8:9], 2
	s_delay_alu instid0(SALU_CYCLE_1) | instskip(SKIP_2) | instid1(SALU_CYCLE_1)
	s_add_u32 s26, s19, s8
	s_addc_u32 s27, s12, s9
	s_or_b32 s8, s16, 0xa0
	s_ashr_i32 s9, s8, 4
	s_cmp_lt_i32 s8, s17
	s_cselect_b32 s8, s9, s2
	s_delay_alu instid0(SALU_CYCLE_1) | instskip(NEXT) | instid1(SALU_CYCLE_1)
	s_ashr_i32 s9, s8, 31
	s_lshl_b64 s[8:9], s[8:9], 2
	s_delay_alu instid0(SALU_CYCLE_1)
	s_add_u32 s28, s19, s8
	s_addc_u32 s29, s12, s9
	s_clause 0x5
	s_load_b32 s9, s[6:7], 0x0
	s_load_b32 s3, s[20:21], 0x0
	;; [unrolled: 1-line block ×6, first 2 shown]
	s_or_b32 s20, s16, 0xc0
	s_delay_alu instid0(SALU_CYCLE_1) | instskip(SKIP_2) | instid1(SALU_CYCLE_1)
	s_ashr_i32 s21, s20, 4
	s_cmp_lt_i32 s20, s17
	s_cselect_b32 s20, s21, s2
	s_ashr_i32 s21, s20, 31
	s_delay_alu instid0(SALU_CYCLE_1) | instskip(NEXT) | instid1(SALU_CYCLE_1)
	s_lshl_b64 s[20:21], s[20:21], 2
	s_add_u32 s20, s19, s20
	s_addc_u32 s21, s12, s21
	s_or_b32 s22, s16, 0xe0
	s_delay_alu instid0(SALU_CYCLE_1) | instskip(SKIP_2) | instid1(SALU_CYCLE_1)
	s_ashr_i32 s23, s22, 4
	s_cmp_lt_i32 s22, s17
	s_cselect_b32 s22, s23, s2
	s_ashr_i32 s23, s22, 31
	s_delay_alu instid0(SALU_CYCLE_1)
	s_lshl_b64 s[22:23], s[22:23], 2
	s_waitcnt vmcnt(1)
	v_mad_i64_i32 v[3:4], null, v5, s5, v[1:2]
	s_waitcnt vmcnt(0)
	v_mad_i64_i32 v[5:6], null, v7, s5, v[1:2]
	v_lshlrev_b32_e32 v1, 4, v70
	s_clause 0x7
	global_load_b128 v[73:76], v[3:4], off
	global_load_b128 v[77:80], v[3:4], off offset:256
	global_load_b128 v[81:84], v[5:6], off
	global_load_b128 v[85:88], v[5:6], off offset:256
	global_load_b128 v[89:92], v[3:4], off offset:512
	;; [unrolled: 1-line block ×5, first 2 shown]
	v_lshl_or_b32 v1, v72, 8, v1
	s_load_b32 s2, s[20:21], 0x0
	s_add_u32 s20, s19, s22
	s_addc_u32 s21, s12, s23
	s_add_u32 s10, s10, s15
	s_addc_u32 s11, s11, s13
	v_add_co_u32 v1, s10, s10, v1
	s_delay_alu instid0(VALU_DEP_1) | instskip(SKIP_2) | instid1(VALU_DEP_1)
	v_add_co_ci_u32_e64 v2, null, s11, 0, s10
	s_load_b32 s10, s[20:21], 0x0
	s_waitcnt lgkmcnt(0)
	v_mad_i64_i32 v[3:4], null, s9, s5, v[1:2]
	v_mad_i64_i32 v[9:10], null, s6, s5, v[1:2]
	;; [unrolled: 1-line block ×7, first 2 shown]
	s_clause 0x5
	global_load_b128 v[49:52], v[3:4], off
	global_load_b128 v[53:56], v[3:4], off offset:16
	global_load_b128 v[41:44], v[5:6], off
	global_load_b128 v[45:48], v[5:6], off offset:16
	;; [unrolled: 2-line block ×3, first 2 shown]
	s_mov_b32 s4, 0
	v_cmp_gt_i32_e64 s2, s17, v139
	v_mad_i64_i32 v[61:62], null, s10, s5, v[1:2]
	s_clause 0x9
	global_load_b128 v[1:4], v[9:10], off
	global_load_b128 v[5:8], v[9:10], off offset:16
	global_load_b128 v[9:12], v[13:14], off
	global_load_b128 v[13:16], v[13:14], off offset:16
	;; [unrolled: 2-line block ×5, first 2 shown]
	ds_load_b128 v[105:108], v117
	ds_load_b128 v[109:112], v117 offset:1024
	ds_load_b128 v[113:116], v117 offset:2048
	;; [unrolled: 1-line block ×3, first 2 shown]
	s_mov_b32 s11, s4
	s_mov_b32 s5, s4
	s_mov_b32 s6, s4
	s_mov_b32 s7, s4
	s_mov_b32 s8, s4
	s_mov_b32 s9, s4
	s_mov_b32 s10, s4
	s_delay_alu instid0(SALU_CYCLE_1)
	v_dual_mov_b32 v128, s11 :: v_dual_mov_b32 v127, s10
	v_dual_mov_b32 v126, s9 :: v_dual_mov_b32 v125, s8
	;; [unrolled: 1-line block ×4, first 2 shown]
	v_cmp_gt_i32_e64 s3, s17, v140
	v_cmp_gt_i32_e64 s4, s17, v141
	;; [unrolled: 1-line block ×8, first 2 shown]
	s_waitcnt vmcnt(0) lgkmcnt(0)
	s_barrier
	buffer_gl0_inv
	v_wmma_f32_16x16x16_f16 v[129:136], v[73:80], v[105:112], v[121:128]
	v_wmma_f32_16x16x16_f16 v[121:128], v[81:88], v[105:112], v[121:128]
	v_or_b32_e32 v73, 20, v137
	v_or_b32_e32 v74, 22, v137
	s_delay_alu instid0(VALU_DEP_4)
	v_wmma_f32_16x16x16_f16 v[129:136], v[89:96], v[113:120], v[129:136]
	v_or_b32_e32 v75, 24, v137
	v_wmma_f32_16x16x16_f16 v[121:128], v[97:104], v[113:120], v[121:128]
	v_or_b32_e32 v76, 26, v137
	v_cmp_gt_i32_e64 s11, s17, v73
	v_dual_mul_f32 v85, s18, v130 :: v_dual_mul_f32 v86, s18, v129
	v_dual_mul_f32 v83, s18, v132 :: v_dual_mul_f32 v84, s18, v131
	v_dual_mul_f32 v81, s18, v134 :: v_dual_mul_f32 v94, s18, v121
	s_delay_alu instid0(VALU_DEP_3) | instskip(NEXT) | instid1(VALU_DEP_4)
	v_cndmask_b32_e32 v86, 0xff7fffff, v86, vcc_lo
	v_cndmask_b32_e64 v85, 0xff7fffff, v85, s2
	v_mul_f32_e32 v82, s18, v133
	v_cndmask_b32_e64 v84, 0xff7fffff, v84, s3
	v_cndmask_b32_e64 v83, 0xff7fffff, v83, s4
	v_dual_mul_f32 v79, s18, v136 :: v_dual_mul_f32 v92, s18, v123
	v_max3_f32 v85, v86, 0xff7fffff, v85
	v_mul_f32_e32 v80, s18, v135
	v_cndmask_b32_e64 v82, 0xff7fffff, v82, s5
	v_cndmask_b32_e64 v81, 0xff7fffff, v81, s6
	v_mul_f32_e32 v93, s18, v122
	v_max3_f32 v83, v85, v84, v83
	v_cndmask_b32_e64 v80, 0xff7fffff, v80, s7
	v_cndmask_b32_e64 v79, 0xff7fffff, v79, s8
	v_mul_f32_e32 v91, s18, v124
	v_cmp_gt_i32_e64 s12, s17, v74
	v_max3_f32 v81, v83, v82, v81
	v_cndmask_b32_e64 v82, 0xff7fffff, v94, s9
	v_cndmask_b32_e64 v83, 0xff7fffff, v93, s10
	v_or_b32_e32 v77, 28, v137
	v_or_b32_e32 v78, 30, v137
	v_max3_f32 v79, v81, v80, v79
	v_dual_mul_f32 v89, s18, v126 :: v_dual_mul_f32 v90, s18, v125
	v_cndmask_b32_e64 v73, 0xff7fffff, v92, s11
	v_cndmask_b32_e64 v74, 0xff7fffff, v91, s12
	s_delay_alu instid0(VALU_DEP_4) | instskip(SKIP_3) | instid1(VALU_DEP_4)
	v_max3_f32 v79, v79, v82, v83
	v_cmp_gt_i32_e64 s13, s17, v75
	v_cmp_gt_i32_e64 s15, s17, v76
	v_dual_mul_f32 v87, s18, v128 :: v_dual_mul_f32 v88, s18, v127
	v_max3_f32 v73, v79, v73, v74
	s_delay_alu instid0(VALU_DEP_4) | instskip(NEXT) | instid1(VALU_DEP_4)
	v_cndmask_b32_e64 v75, 0xff7fffff, v90, s13
	v_cndmask_b32_e64 v76, 0xff7fffff, v89, s15
	v_cmp_gt_i32_e64 s16, s17, v77
	v_cmp_gt_i32_e64 s17, s17, v78
	s_delay_alu instid0(VALU_DEP_3) | instskip(NEXT) | instid1(VALU_DEP_3)
	v_max3_f32 v73, v73, v75, v76
	v_cndmask_b32_e64 v74, 0xff7fffff, v88, s16
	s_delay_alu instid0(VALU_DEP_3) | instskip(SKIP_1) | instid1(VALU_DEP_2)
	v_cndmask_b32_e64 v77, 0xff7fffff, v87, s17
	v_lshlrev_b32_e32 v75, 2, v138
	v_max3_f32 v73, v73, v74, v77
	ds_bpermute_b32 v74, v75, v73
	s_waitcnt lgkmcnt(0)
	v_max_f32_e32 v74, v74, v74
	s_delay_alu instid0(VALU_DEP_1) | instskip(NEXT) | instid1(VALU_DEP_1)
	v_max_f32_e32 v73, v73, v74
	v_fma_f32 v74, s18, v129, -v73
	v_fma_f32 v76, s18, v130, -v73
	;; [unrolled: 1-line block ×5, first 2 shown]
	v_mul_f32_e32 v74, 0x3fb8aa3b, v74
	v_mul_f32_e32 v76, 0x3fb8aa3b, v76
	v_fma_f32 v83, s18, v135, -v73
	v_mul_f32_e32 v78, 0x3fb8aa3b, v78
	v_mul_f32_e32 v80, 0x3fb8aa3b, v80
	v_exp_f32_e32 v74, v74
	v_exp_f32_e32 v76, v76
	v_mul_f32_e32 v83, 0x3fb8aa3b, v83
	v_exp_f32_e32 v82, v78
	v_exp_f32_e32 v84, v80
	s_delay_alu instid0(VALU_DEP_1) | instskip(SKIP_4) | instid1(TRANS32_DEP_3)
	v_exp_f32_e32 v85, v83
	v_cndmask_b32_e32 v79, 0, v74, vcc_lo
	v_fma_f32 v74, s18, v134, -v73
	v_mul_f32_e32 v77, 0x3fb8aa3b, v77
	v_cndmask_b32_e64 v78, 0, v76, s2
	v_cndmask_b32_e64 v80, 0, v82, s4
	v_add_f32_e32 v76, 0, v79
	v_mul_f32_e32 v74, 0x3fb8aa3b, v74
	v_exp_f32_e32 v77, v77
	v_fma_f32 v82, s18, v121, -v73
	v_cndmask_b32_e64 v83, 0, v84, s5
	v_add_f32_e32 v76, v76, v78
	v_exp_f32_e32 v74, v74
	s_mov_b32 s2, exec_lo
	v_mul_f32_e32 v86, 0x3fb8aa3b, v82
	v_cndmask_b32_e64 v85, 0, v85, s7
	s_delay_alu instid0(TRANS32_DEP_2) | instskip(SKIP_3) | instid1(VALU_DEP_1)
	v_cndmask_b32_e64 v81, 0, v77, s3
	s_waitcnt_depctr 0xfff
	v_cndmask_b32_e64 v82, 0, v74, s6
	v_add_f32_e32 v76, v76, v81
	v_add_f32_e32 v76, v76, v80
	s_delay_alu instid0(VALU_DEP_1) | instskip(SKIP_4) | instid1(VALU_DEP_4)
	v_add_f32_e32 v74, v76, v83
	v_fma_f32 v77, s18, v136, -v73
	v_fma_f32 v84, s18, v122, -v73
	;; [unrolled: 1-line block ×4, first 2 shown]
	v_dual_add_f32 v74, v74, v82 :: v_dual_mul_f32 v77, 0x3fb8aa3b, v77
	s_delay_alu instid0(VALU_DEP_4) | instskip(SKIP_1) | instid1(VALU_DEP_4)
	v_mul_f32_e32 v84, 0x3fb8aa3b, v84
	v_fma_f32 v92, s18, v128, -v73
	v_mul_f32_e32 v89, 0x3fb8aa3b, v87
	v_exp_f32_e32 v86, v86
	v_exp_f32_e32 v77, v77
	;; [unrolled: 1-line block ×3, first 2 shown]
	v_add_f32_e32 v74, v74, v85
	v_exp_f32_e32 v91, v89
	v_fma_f32 v90, s18, v126, -v73
	v_cndmask_b32_e64 v87, 0, v86, s9
	s_delay_alu instid0(TRANS32_DEP_3) | instskip(SKIP_2) | instid1(TRANS32_DEP_2)
	v_cndmask_b32_e64 v84, 0, v77, s8
	v_fma_f32 v77, s18, v125, -v73
	v_mul_f32_e32 v76, 0x3fb8aa3b, v76
	v_cndmask_b32_e64 v86, 0, v88, s10
	v_fma_f32 v88, s18, v127, -v73
	s_delay_alu instid0(VALU_DEP_4) | instskip(NEXT) | instid1(VALU_DEP_4)
	v_dual_mul_f32 v90, 0x3fb8aa3b, v90 :: v_dual_mul_f32 v77, 0x3fb8aa3b, v77
	v_exp_f32_e32 v76, v76
	s_delay_alu instid0(VALU_DEP_1) | instskip(NEXT) | instid1(VALU_DEP_1)
	v_exp_f32_e32 v90, v90
	v_exp_f32_e32 v77, v77
	s_delay_alu instid0(TRANS32_DEP_3)
	v_cndmask_b32_e64 v89, 0, v76, s11
	v_mul_f32_e32 v76, 0x3fb8aa3b, v88
	v_cndmask_b32_e64 v88, 0, v91, s12
	s_waitcnt_depctr 0xfff
	v_cndmask_b32_e64 v90, 0, v90, s15
	v_cndmask_b32_e64 v91, 0, v77, s13
	v_mul_f32_e32 v77, 0x3fb8aa3b, v92
	v_add_f32_e32 v74, v74, v84
	v_exp_f32_e32 v76, v76
	s_delay_alu instid0(VALU_DEP_2) | instskip(NEXT) | instid1(VALU_DEP_1)
	v_exp_f32_e32 v77, v77
	v_add_f32_e32 v74, v74, v87
	s_delay_alu instid0(VALU_DEP_1) | instskip(SKIP_4) | instid1(VALU_DEP_1)
	v_add_f32_e32 v74, v74, v86
	s_waitcnt_depctr 0xfff
	v_cndmask_b32_e64 v93, 0, v76, s16
	v_cndmask_b32_e64 v92, 0, v77, s17
	v_add_f32_e32 v74, v74, v89
	v_add_f32_e32 v74, v74, v88
	s_delay_alu instid0(VALU_DEP_1) | instskip(NEXT) | instid1(VALU_DEP_1)
	v_add_f32_e32 v74, v74, v91
	v_add_f32_e32 v74, v74, v90
	s_delay_alu instid0(VALU_DEP_1) | instskip(NEXT) | instid1(VALU_DEP_1)
	v_add_f32_e32 v74, v74, v93
	v_add_f32_e32 v74, v74, v92
	ds_bpermute_b32 v75, v75, v74
	v_cmpx_gt_u32_e32 16, v71
	s_cbranch_execz .LBB1135_12
; %bb.11:
	v_mul_u32_u24_e32 v71, 0x44, v72
	s_waitcnt lgkmcnt(0)
	v_add_f32_e32 v74, v74, v75
	s_delay_alu instid0(VALU_DEP_2) | instskip(NEXT) | instid1(VALU_DEP_1)
	v_lshl_add_u32 v71, v70, 2, v71
	v_add_nc_u32_e32 v71, 0x4000, v71
	ds_store_2addr_b32 v71, v73, v74 offset1:136
.LBB1135_12:
	s_or_b32 exec_lo, exec_lo, s2
	v_lshlrev_b32_e32 v71, 2, v70
	s_load_b32 s35, s[0:1], 0x94
	s_waitcnt lgkmcnt(0)
	s_barrier
	buffer_gl0_inv
	v_add_nc_u32_e32 v71, 0x4000, v71
	v_cmp_eq_u32_e32 vcc_lo, 1, v72
	v_cmp_eq_u32_e64 s2, 2, v72
	v_cmp_eq_u32_e64 s3, 3, v72
	;; [unrolled: 1-line block ×3, first 2 shown]
	ds_load_2addr_b32 v[73:74], v71 offset1:17
	ds_load_2addr_b32 v[94:95], v71 offset0:34 offset1:51
	ds_load_2addr_b32 v[96:97], v71 offset0:68 offset1:85
	;; [unrolled: 1-line block ×3, first 2 shown]
	v_cmp_eq_u32_e64 s5, 5, v72
	v_cmp_eq_u32_e64 s6, 7, v72
	s_waitcnt lgkmcnt(3)
	v_max3_f32 v75, v73, 0xff7fffff, v74
	s_waitcnt lgkmcnt(2)
	s_delay_alu instid0(VALU_DEP_1) | instskip(SKIP_1) | instid1(VALU_DEP_1)
	v_max3_f32 v75, v75, v94, v95
	s_waitcnt lgkmcnt(1)
	v_max3_f32 v75, v75, v96, v97
	s_waitcnt lgkmcnt(0)
	s_delay_alu instid0(VALU_DEP_1) | instskip(NEXT) | instid1(VALU_DEP_1)
	v_max3_f32 v76, v75, v98, v99
	v_sub_f32_e32 v96, v96, v76
	ds_load_2addr_b32 v[100:101], v71 offset0:136 offset1:153
	v_sub_f32_e32 v73, v73, v76
	v_sub_f32_e32 v75, v74, v76
	;; [unrolled: 1-line block ×3, first 2 shown]
	v_mul_f32_e32 v105, 0x3fb8aa3b, v96
	s_delay_alu instid0(VALU_DEP_4)
	v_mul_f32_e32 v77, 0x3fb8aa3b, v73
	ds_load_2addr_b32 v[73:74], v71 offset0:170 offset1:187
	v_mul_f32_e32 v103, 0x3fb8aa3b, v94
	v_exp_f32_e32 v102, v77
	v_sub_f32_e32 v77, v95, v76
	ds_load_2addr_b32 v[94:95], v71 offset0:204 offset1:221
	v_exp_f32_e32 v103, v103
	v_mul_f32_e32 v104, 0x3fb8aa3b, v77
	s_waitcnt lgkmcnt(2)
	v_fma_f32 v77, v102, v100, 0
	v_dual_sub_f32 v100, v97, v76 :: v_dual_mul_f32 v75, 0x3fb8aa3b, v75
	ds_load_2addr_b32 v[96:97], v71 offset0:238 offset1:255
	v_sub_f32_e32 v71, v98, v76
	v_exp_f32_e32 v104, v104
	v_mul_f32_e32 v98, 0x3fb8aa3b, v100
	v_exp_f32_e32 v75, v75
	v_exp_f32_e32 v100, v105
	v_mul_f32_e32 v71, 0x3fb8aa3b, v71
	s_waitcnt lgkmcnt(0)
	v_exp_f32_e32 v98, v98
	s_barrier
	buffer_gl0_inv
	v_fmac_f32_e32 v77, v75, v101
	s_delay_alu instid0(VALU_DEP_1) | instskip(SKIP_2) | instid1(VALU_DEP_2)
	v_fmac_f32_e32 v77, v103, v73
	v_sub_f32_e32 v73, v99, v76
	v_exp_f32_e32 v99, v71
	v_fmac_f32_e32 v77, v104, v74
	s_delay_alu instid0(VALU_DEP_2) | instskip(NEXT) | instid1(VALU_DEP_2)
	v_dual_mul_f32 v73, 0x3fb8aa3b, v73 :: v_dual_lshlrev_b32 v74, 6, v70
	v_dual_fmac_f32 v77, v100, v94 :: v_dual_lshlrev_b32 v70, 2, v69
	s_delay_alu instid0(VALU_DEP_2) | instskip(SKIP_1) | instid1(VALU_DEP_3)
	v_exp_f32_e32 v94, v73
	v_cndmask_b32_e32 v73, v102, v75, vcc_lo
	v_lshl_or_b32 v75, v72, 11, v74
	s_delay_alu instid0(VALU_DEP_3) | instskip(SKIP_1) | instid1(VALU_DEP_3)
	v_cmp_eq_u32_e64 s7, 7, v70
	v_fmac_f32_e32 v77, v98, v95
	v_lshl_or_b32 v69, v69, 4, v75
	s_delay_alu instid0(VALU_DEP_2)
	v_fmac_f32_e32 v77, v99, v96
	s_delay_alu instid0(TRANS32_DEP_1) | instid1(VALU_DEP_1)
	v_fmac_f32_e32 v77, v94, v97
	s_delay_alu instid0(VALU_DEP_1) | instskip(NEXT) | instid1(VALU_DEP_1)
	v_add_f32_e32 v95, 0x358637bd, v77
	v_div_scale_f32 v96, null, v95, v95, 1.0
	v_div_scale_f32 v101, vcc_lo, 1.0, v95, 1.0
	s_delay_alu instid0(VALU_DEP_2) | instskip(SKIP_2) | instid1(VALU_DEP_1)
	v_rcp_f32_e32 v97, v96
	s_waitcnt_depctr 0xfff
	v_fma_f32 v71, -v96, v97, 1.0
	v_fmac_f32_e32 v97, v71, v97
	v_cndmask_b32_e64 v71, v73, v103, s2
	v_cmp_eq_u32_e64 s2, 6, v72
	v_or_b32_e32 v73, 1, v70
	v_or_b32_e32 v72, 3, v70
	v_mul_f32_e32 v102, v101, v97
	v_cndmask_b32_e64 v71, v71, v104, s3
	v_cmp_eq_u32_e64 s3, 1, v70
	v_cmp_eq_u32_e64 s8, 1, v73
	;; [unrolled: 1-line block ×3, first 2 shown]
	v_fma_f32 v103, -v96, v102, v101
	v_cndmask_b32_e64 v100, v71, v100, s4
	v_or_b32_e32 v71, 2, v70
	v_cmp_eq_u32_e64 s4, 2, v70
	v_cmp_eq_u32_e64 s11, 2, v73
	v_fmac_f32_e32 v102, v103, v97
	v_cndmask_b32_e64 v98, v100, v98, s5
	v_cmp_eq_u32_e64 s9, 1, v71
	v_cmp_eq_u32_e64 s13, 2, v71
	;; [unrolled: 1-line block ×3, first 2 shown]
	v_fma_f32 v96, -v96, v102, v101
	v_cndmask_b32_e64 v98, v98, v99, s2
	v_cmp_eq_u32_e64 s12, 3, v73
	v_cmp_eq_u32_e64 s17, 3, v72
	;; [unrolled: 1-line block ×3, first 2 shown]
	v_div_fmas_f32 v96, v96, v97, v102
	v_cndmask_b32_e64 v94, v98, v94, s6
	v_cmp_eq_u32_e32 vcc_lo, 3, v70
	v_cmp_eq_u32_e64 s16, 3, v71
	v_cmp_eq_u32_e64 s18, 4, v73
	v_div_fixup_f32 v95, v96, v95, 1.0
	v_cmp_eq_u32_e64 s21, 4, v72
	v_cmp_eq_u32_e64 s5, 5, v70
	;; [unrolled: 1-line block ×4, first 2 shown]
	v_mul_f32_e32 v102, v94, v95
	v_cmp_eq_u32_e64 s23, 5, v72
	v_cmp_eq_u32_e64 s22, 5, v71
	;; [unrolled: 1-line block ×4, first 2 shown]
	v_fma_mixlo_f16 v94, v102, v79, 0
	v_fma_mixlo_f16 v95, v102, v81, 0
	;; [unrolled: 1-line block ×8, first 2 shown]
	v_fma_mixhi_f16 v94, v102, v78, 0
	v_fma_mixhi_f16 v95, v102, v80, 0
	v_fma_mixhi_f16 v96, v102, v82, 0
	v_fma_mixhi_f16 v97, v102, v84, 0
	v_fma_mixhi_f16 v98, v102, v86, 0
	v_fma_mixhi_f16 v99, v102, v88, 0
	v_fma_mixhi_f16 v100, v102, v90, 0
	v_fma_mixhi_f16 v101, v102, v92, 0
	ds_store_b128 v69, v[94:97]
	ds_store_b128 v69, v[98:101] offset:1024
	s_waitcnt lgkmcnt(0)
	s_barrier
	buffer_gl0_inv
	ds_load_b128 v[78:81], v75
	ds_load_b128 v[82:85], v75 offset:16
	ds_load_b128 v[86:89], v75 offset:1024
	;; [unrolled: 1-line block ×3, first 2 shown]
	v_cmp_eq_u32_e64 s6, 6, v70
	v_cmp_eq_u32_e64 s25, 6, v71
	;; [unrolled: 1-line block ×5, first 2 shown]
	s_waitcnt lgkmcnt(3)
	v_lshrrev_b32_e32 v94, 16, v78
	s_waitcnt lgkmcnt(2)
	v_lshrrev_b32_e32 v98, 16, v82
	;; [unrolled: 2-line block ×4, first 2 shown]
	v_lshrrev_b32_e32 v95, 16, v79
	v_cndmask_b32_e64 v110, v78, v94, s3
	v_cndmask_b32_e64 v111, v82, v98, s3
	;; [unrolled: 1-line block ×8, first 2 shown]
	v_lshrrev_b32_e32 v99, 16, v83
	v_cndmask_b32_e64 v94, v86, v102, s3
	v_cndmask_b32_e64 v98, v90, v106, s3
	;; [unrolled: 1-line block ×15, first 2 shown]
	v_lshrrev_b32_e32 v103, 16, v87
	v_lshrrev_b32_e32 v107, 16, v91
	v_cndmask_b32_e64 v113, v115, v83, s13
	v_cndmask_b32_e64 v82, v94, v87, s4
	;; [unrolled: 1-line block ×7, first 2 shown]
	v_cndmask_b32_e32 v90, v102, v95, vcc_lo
	v_cndmask_b32_e32 v102, v106, v99, vcc_lo
	v_cndmask_b32_e64 v106, v110, v95, s12
	v_cndmask_b32_e64 v110, v111, v99, s12
	;; [unrolled: 1-line block ×4, first 2 shown]
	v_lshrrev_b32_e32 v96, 16, v80
	v_lshrrev_b32_e32 v100, 16, v84
	v_cndmask_b32_e64 v111, v112, v95, s16
	v_cndmask_b32_e64 v112, v113, v99, s16
	v_cndmask_b32_e32 v82, v82, v103, vcc_lo
	v_cndmask_b32_e32 v83, v83, v107, vcc_lo
	v_cndmask_b32_e64 v94, v94, v103, s12
	v_cndmask_b32_e64 v90, v90, v80, s2
	v_cndmask_b32_e64 v95, v102, v84, s2
	v_cndmask_b32_e64 v99, v106, v80, s18
	v_cndmask_b32_e64 v102, v110, v84, s18
	v_cndmask_b32_e64 v78, v78, v80, s21
	v_cndmask_b32_e64 v79, v79, v84, s21
	v_lshrrev_b32_e32 v104, 16, v88
	v_cndmask_b32_e64 v106, v111, v80, s20
	v_cndmask_b32_e64 v110, v112, v84, s20
	;; [unrolled: 1-line block ×11, first 2 shown]
	v_lshrrev_b32_e32 v97, 16, v81
	v_lshrrev_b32_e32 v101, 16, v85
	v_cndmask_b32_e64 v99, v106, v96, s22
	v_cndmask_b32_e64 v102, v110, v100, s22
	;; [unrolled: 1-line block ×7, first 2 shown]
	v_lshrrev_b32_e32 v105, 16, v89
	v_cndmask_b32_e64 v80, v80, v104, s5
	v_cndmask_b32_e64 v84, v84, v81, s6
	;; [unrolled: 1-line block ×16, first 2 shown]
	v_perm_b32 v81, v79, v78, 0x5040100
	v_perm_b32 v79, v95, v85, 0x5040100
	v_cndmask_b32_e64 v78, v119, v91, s13
	v_cndmask_b32_e64 v85, v117, v91, s11
	;; [unrolled: 1-line block ×3, first 2 shown]
	v_perm_b32 v80, v94, v90, 0x5040100
	v_cndmask_b32_e64 v90, v98, v103, s16
	v_cndmask_b32_e64 v86, v86, v103, s17
	;; [unrolled: 1-line block ×5, first 2 shown]
	v_lshrrev_b32_e32 v108, 16, v92
	v_cndmask_b32_e64 v90, v90, v88, s20
	v_cndmask_b32_e64 v86, v86, v88, s21
	;; [unrolled: 1-line block ×11, first 2 shown]
	v_lshrrev_b32_e32 v109, 16, v93
	v_cndmask_b32_e64 v82, v82, v93, s6
	v_cndmask_b32_e64 v88, v88, v89, s25
	;; [unrolled: 1-line block ×12, first 2 shown]
	v_perm_b32 v78, v84, v83, 0x5040100
	v_perm_b32 v85, v87, v86, 0x5040100
	;; [unrolled: 1-line block ×5, first 2 shown]
	s_lshl_b32 s7, s34, 1
	s_mov_b32 s2, exec_lo
	ds_store_b128 v69, v[78:81]
	ds_store_b128 v69, v[82:85] offset:1024
	v_cmpx_gt_u32_e32 2, v0
	s_cbranch_execz .LBB1135_14
; %bb.13:
	v_or_b32_e32 v78, s33, v0
	s_load_b128 s[8:11], s[0:1], 0x58
	s_delay_alu instid0(VALU_DEP_1) | instskip(NEXT) | instid1(VALU_DEP_1)
	v_mad_u64_u32 v[79:80], null, s7, s30, v[78:79]
	v_mad_u64_u32 v[80:81], null, v79, s35, s[14:15]
	s_delay_alu instid0(VALU_DEP_1) | instskip(NEXT) | instid1(VALU_DEP_1)
	v_ashrrev_i32_e32 v81, 31, v80
	v_lshlrev_b64 v[78:79], 2, v[80:81]
	s_waitcnt lgkmcnt(0)
	s_delay_alu instid0(VALU_DEP_1) | instskip(NEXT) | instid1(VALU_DEP_2)
	v_add_co_u32 v80, vcc_lo, s10, v78
	v_add_co_ci_u32_e32 v81, vcc_lo, s11, v79, vcc_lo
	v_add_co_u32 v78, vcc_lo, s8, v78
	v_add_co_ci_u32_e32 v79, vcc_lo, s9, v79, vcc_lo
	global_store_b32 v[80:81], v76, off
	global_store_b32 v[78:79], v77, off
.LBB1135_14:
	s_or_b32 exec_lo, exec_lo, s2
	s_waitcnt lgkmcnt(0)
	s_waitcnt_vscnt null, 0x0
	s_barrier
	buffer_gl0_inv
	ds_load_b128 v[84:87], v74
	ds_load_b128 v[88:91], v74 offset:16
	ds_load_b128 v[96:99], v74 offset:2064
	;; [unrolled: 1-line block ×5, first 2 shown]
	v_cmp_eq_u32_e32 vcc_lo, 1, v70
	v_mov_b32_e32 v76, 0
	ds_load_b128 v[112:115], v74 offset:6160
	ds_load_b128 v[108:111], v74 offset:6144
	ds_load_b128 v[120:123], v74 offset:8208
	ds_load_b128 v[116:119], v74 offset:8192
	v_cmp_eq_u32_e64 s3, 1, v71
	v_cmp_eq_u32_e64 s2, 1, v73
	;; [unrolled: 1-line block ×3, first 2 shown]
	v_mov_b32_e32 v77, v76
	v_mov_b32_e32 v78, v76
	;; [unrolled: 1-line block ×7, first 2 shown]
	v_cmp_eq_u32_e64 s5, 3, v73
	v_cmp_eq_u32_e64 s6, 7, v73
	s_waitcnt lgkmcnt(8)
	s_delay_alu instid0(VALU_DEP_3)
	v_wmma_f32_16x16x16_f16 v[76:83], v[49:56], v[84:91], v[76:83]
	ds_load_b128 v[53:56], v74 offset:10256
	ds_load_b128 v[49:52], v74 offset:10240
	s_waitcnt lgkmcnt(8)
	v_wmma_f32_16x16x16_f16 v[76:83], v[41:48], v[92:99], v[76:83]
	ds_load_b128 v[45:48], v74 offset:12304
	ds_load_b128 v[41:44], v74 offset:12288
	s_waitcnt lgkmcnt(8)
	;; [unrolled: 4-line block ×3, first 2 shown]
	s_barrier
	buffer_gl0_inv
	v_wmma_f32_16x16x16_f16 v[76:83], v[1:8], v[108:115], v[76:83]
	s_delay_alu instid0(VALU_DEP_1) | instskip(NEXT) | instid1(VALU_DEP_1)
	v_wmma_f32_16x16x16_f16 v[76:83], v[9:16], v[116:123], v[76:83]
	v_wmma_f32_16x16x16_f16 v[76:83], v[17:24], v[49:56], v[76:83]
	s_delay_alu instid0(VALU_DEP_1) | instskip(NEXT) | instid1(VALU_DEP_1)
	v_wmma_f32_16x16x16_f16 v[76:83], v[25:32], v[41:48], v[76:83]
	v_wmma_f32_16x16x16_f16 v[76:83], v[57:64], v[33:40], v[76:83]
	s_delay_alu instid0(VALU_DEP_1) | instskip(NEXT) | instid1(VALU_DEP_2)
	v_cvt_f16_f32_e32 v1, v76
	v_cvt_f16_f32_e32 v2, v77
	s_delay_alu instid0(VALU_DEP_3) | instskip(NEXT) | instid1(VALU_DEP_4)
	v_cvt_f16_f32_e32 v3, v78
	v_cvt_f16_f32_e32 v4, v79
	v_cvt_f16_f32_e32 v5, v80
	v_cvt_f16_f32_e32 v6, v81
	v_cvt_f16_f32_e32 v7, v82
	v_cvt_f16_f32_e32 v8, v83
	v_pack_b32_f16 v1, v1, v2
	v_pack_b32_f16 v2, v3, v4
	;; [unrolled: 1-line block ×3, first 2 shown]
	s_delay_alu instid0(VALU_DEP_4)
	v_pack_b32_f16 v4, v7, v8
	ds_store_b128 v69, v[1:4]
	s_waitcnt lgkmcnt(0)
	s_barrier
	buffer_gl0_inv
	ds_load_b128 v[1:4], v75
	ds_load_b128 v[5:8], v75 offset:16
	s_waitcnt lgkmcnt(1)
	v_lshrrev_b32_e32 v9, 16, v1
	s_waitcnt lgkmcnt(0)
	v_lshrrev_b32_e32 v13, 16, v5
	v_lshrrev_b32_e32 v10, 16, v2
	;; [unrolled: 1-line block ×4, first 2 shown]
	v_cndmask_b32_e32 v17, v1, v9, vcc_lo
	v_cndmask_b32_e32 v18, v5, v13, vcc_lo
	v_cndmask_b32_e64 v21, v1, v9, s3
	v_cmp_eq_u32_e32 vcc_lo, 1, v72
	v_cndmask_b32_e64 v22, v5, v13, s3
	v_cmp_eq_u32_e64 s3, 2, v70
	v_cndmask_b32_e64 v19, v1, v9, s2
	v_cndmask_b32_e64 v20, v5, v13, s2
	v_cndmask_b32_e32 v1, v1, v9, vcc_lo
	v_cmp_eq_u32_e64 s2, 2, v72
	v_cndmask_b32_e32 v5, v5, v13, vcc_lo
	v_cndmask_b32_e64 v9, v17, v2, s3
	v_cmp_eq_u32_e32 vcc_lo, 3, v70
	v_cndmask_b32_e64 v13, v18, v6, s3
	v_cmp_eq_u32_e64 s3, 2, v71
	v_cndmask_b32_e64 v17, v19, v2, s4
	v_cndmask_b32_e64 v18, v20, v6, s4
	v_cmp_eq_u32_e64 s4, 3, v71
	v_cndmask_b32_e64 v1, v1, v2, s2
	v_cndmask_b32_e64 v19, v21, v2, s3
	;; [unrolled: 1-line block ×4, first 2 shown]
	v_cndmask_b32_e32 v5, v9, v10, vcc_lo
	v_cndmask_b32_e32 v6, v13, v14, vcc_lo
	v_cmp_eq_u32_e32 vcc_lo, 3, v72
	v_cndmask_b32_e64 v9, v17, v10, s5
	v_cndmask_b32_e64 v13, v18, v14, s5
	;; [unrolled: 1-line block ×3, first 2 shown]
	v_cmp_eq_u32_e64 s3, 4, v70
	v_cndmask_b32_e32 v1, v1, v10, vcc_lo
	v_cndmask_b32_e32 v2, v2, v14, vcc_lo
	v_cmp_eq_u32_e32 vcc_lo, 4, v73
	v_lshrrev_b32_e32 v15, 16, v7
	v_lshrrev_b32_e32 v16, 16, v8
	v_cndmask_b32_e64 v17, v19, v10, s4
	v_cmp_eq_u32_e64 s2, 4, v72
	v_cndmask_b32_e64 v5, v5, v3, s3
	v_cndmask_b32_e64 v6, v6, v7, s3
	v_cndmask_b32_e32 v9, v9, v3, vcc_lo
	v_cmp_eq_u32_e64 s3, 5, v73
	v_cndmask_b32_e32 v10, v13, v7, vcc_lo
	v_cmp_eq_u32_e32 vcc_lo, 4, v71
	v_cmp_eq_u32_e64 s4, 5, v70
	v_cndmask_b32_e64 v2, v2, v7, s2
	v_cndmask_b32_e64 v9, v9, v11, s3
	;; [unrolled: 1-line block ×3, first 2 shown]
	v_cndmask_b32_e32 v13, v17, v3, vcc_lo
	v_cmp_eq_u32_e64 s3, 5, v71
	v_cndmask_b32_e32 v14, v18, v7, vcc_lo
	v_cndmask_b32_e64 v1, v1, v3, s2
	v_cmp_eq_u32_e32 vcc_lo, 5, v72
	v_lshrrev_b32_e32 v12, 16, v4
	v_cndmask_b32_e64 v13, v13, v11, s3
	v_cndmask_b32_e64 v3, v14, v15, s3
	v_cmp_eq_u32_e64 s3, 6, v72
	v_cndmask_b32_e32 v1, v1, v11, vcc_lo
	v_cndmask_b32_e64 v5, v5, v11, s4
	v_cmp_eq_u32_e64 s5, 6, v70
	v_cndmask_b32_e64 v6, v6, v15, s4
	v_cmp_eq_u32_e64 s4, 6, v73
	v_cmp_eq_u32_e64 s2, 6, v71
	v_cndmask_b32_e64 v1, v1, v4, s3
	v_cndmask_b32_e32 v2, v2, v15, vcc_lo
	v_cmp_eq_u32_e32 vcc_lo, 7, v72
	v_cndmask_b32_e64 v5, v5, v4, s5
	v_cndmask_b32_e64 v9, v9, v4, s4
	;; [unrolled: 1-line block ×3, first 2 shown]
	v_cmp_eq_u32_e64 s5, 7, v70
	v_cndmask_b32_e32 v1, v1, v12, vcc_lo
	v_cndmask_b32_e64 v7, v13, v4, s2
	v_cndmask_b32_e64 v3, v3, v8, s2
	;; [unrolled: 1-line block ×3, first 2 shown]
	v_cmp_eq_u32_e64 s2, 7, v71
	v_cndmask_b32_e64 v4, v10, v8, s4
	v_cndmask_b32_e64 v5, v5, v12, s5
	;; [unrolled: 1-line block ×3, first 2 shown]
	v_cndmask_b32_e32 v2, v2, v16, vcc_lo
	v_cndmask_b32_e64 v7, v7, v12, s2
	v_cndmask_b32_e64 v3, v3, v16, s2
	;; [unrolled: 1-line block ×4, first 2 shown]
	v_perm_b32 v4, v2, v1, 0x5040100
	s_delay_alu instid0(VALU_DEP_4) | instskip(NEXT) | instid1(VALU_DEP_4)
	v_perm_b32 v3, v3, v7, 0x5040100
	v_perm_b32 v2, v8, v9, 0x5040100
	s_delay_alu instid0(VALU_DEP_4)
	v_perm_b32 v1, v6, v5, 0x5040100
	ds_store_b128 v69, v[1:4]
	s_waitcnt lgkmcnt(0)
	s_barrier
	buffer_gl0_inv
	s_and_saveexec_b32 s2, s31
	s_cbranch_execz .LBB1135_2
; %bb.15:
	s_load_b64 s[0:1], s[0:1], 0x68
	v_lshlrev_b32_e32 v0, 10, v0
	s_lshl_b32 s2, s35, 6
	v_lshlrev_b32_e32 v1, 4, v68
	v_mul_lo_u32 v4, s2, v67
	s_mul_i32 s3, s2, s30
	v_and_b32_e32 v0, 0x3800, v0
	s_mul_i32 s2, s3, s7
	s_delay_alu instid0(SALU_CYCLE_1) | instskip(NEXT) | instid1(VALU_DEP_1)
	s_ashr_i32 s3, s2, 31
	v_or3_b32 v0, v0, v66, v1
	s_lshl_b64 s[2:3], s[2:3], 1
	s_delay_alu instid0(VALU_DEP_3)
	v_ashrrev_i32_e32 v5, 31, v4
	ds_load_b128 v[0:3], v0
	v_lshlrev_b64 v[4:5], 1, v[4:5]
	s_waitcnt lgkmcnt(0)
	s_add_u32 s2, s0, s2
	s_addc_u32 s3, s1, s3
	s_lshl_b32 s0, s14, 6
	s_delay_alu instid0(SALU_CYCLE_1) | instskip(NEXT) | instid1(SALU_CYCLE_1)
	s_ashr_i32 s1, s0, 31
	s_lshl_b64 s[0:1], s[0:1], 1
	s_delay_alu instid0(SALU_CYCLE_1) | instskip(SKIP_3) | instid1(VALU_DEP_2)
	s_add_u32 s0, s2, s0
	s_addc_u32 s1, s3, s1
	v_add_co_u32 v4, vcc_lo, s0, v4
	v_add_co_ci_u32_e32 v5, vcc_lo, s1, v5, vcc_lo
	v_add_co_u32 v4, vcc_lo, v4, v65
	s_delay_alu instid0(VALU_DEP_2)
	v_add_co_ci_u32_e32 v5, vcc_lo, 0, v5, vcc_lo
	global_store_b128 v[4:5], v[0:3], off
	s_nop 0
	s_sendmsg sendmsg(MSG_DEALLOC_VGPRS)
	s_endpgm
	.section	.rodata,"a",@progbits
	.p2align	6, 0x0
	.amdhsa_kernel _Z39paged_attention_ll4mi_QKV_mfma16_kernelIDF16_hLN4vllm18Fp8KVCacheDataTypeE1EDF16_Li16ELi64ELi256ELb1ELi2EL8MFMAType0EEvPKT_PKT0_S8_ifPKiSA_SA_iPKfiiiPfSD_PS3_PT2_iSC_SC_
		.amdhsa_group_segment_fixed_size 17472
		.amdhsa_private_segment_fixed_size 0
		.amdhsa_kernarg_size 400
		.amdhsa_user_sgpr_count 13
		.amdhsa_user_sgpr_dispatch_ptr 0
		.amdhsa_user_sgpr_queue_ptr 0
		.amdhsa_user_sgpr_kernarg_segment_ptr 1
		.amdhsa_user_sgpr_dispatch_id 0
		.amdhsa_user_sgpr_private_segment_size 0
		.amdhsa_wavefront_size32 1
		.amdhsa_uses_dynamic_stack 0
		.amdhsa_enable_private_segment 0
		.amdhsa_system_sgpr_workgroup_id_x 1
		.amdhsa_system_sgpr_workgroup_id_y 1
		.amdhsa_system_sgpr_workgroup_id_z 1
		.amdhsa_system_sgpr_workgroup_info 0
		.amdhsa_system_vgpr_workitem_id 0
		.amdhsa_next_free_vgpr 148
		.amdhsa_next_free_sgpr 36
		.amdhsa_reserve_vcc 1
		.amdhsa_float_round_mode_32 0
		.amdhsa_float_round_mode_16_64 0
		.amdhsa_float_denorm_mode_32 3
		.amdhsa_float_denorm_mode_16_64 3
		.amdhsa_dx10_clamp 1
		.amdhsa_ieee_mode 1
		.amdhsa_fp16_overflow 0
		.amdhsa_workgroup_processor_mode 1
		.amdhsa_memory_ordered 1
		.amdhsa_forward_progress 0
		.amdhsa_shared_vgpr_count 0
		.amdhsa_exception_fp_ieee_invalid_op 0
		.amdhsa_exception_fp_denorm_src 0
		.amdhsa_exception_fp_ieee_div_zero 0
		.amdhsa_exception_fp_ieee_overflow 0
		.amdhsa_exception_fp_ieee_underflow 0
		.amdhsa_exception_fp_ieee_inexact 0
		.amdhsa_exception_int_div_zero 0
	.end_amdhsa_kernel
	.section	.text._Z39paged_attention_ll4mi_QKV_mfma16_kernelIDF16_hLN4vllm18Fp8KVCacheDataTypeE1EDF16_Li16ELi64ELi256ELb1ELi2EL8MFMAType0EEvPKT_PKT0_S8_ifPKiSA_SA_iPKfiiiPfSD_PS3_PT2_iSC_SC_,"axG",@progbits,_Z39paged_attention_ll4mi_QKV_mfma16_kernelIDF16_hLN4vllm18Fp8KVCacheDataTypeE1EDF16_Li16ELi64ELi256ELb1ELi2EL8MFMAType0EEvPKT_PKT0_S8_ifPKiSA_SA_iPKfiiiPfSD_PS3_PT2_iSC_SC_,comdat
.Lfunc_end1135:
	.size	_Z39paged_attention_ll4mi_QKV_mfma16_kernelIDF16_hLN4vllm18Fp8KVCacheDataTypeE1EDF16_Li16ELi64ELi256ELb1ELi2EL8MFMAType0EEvPKT_PKT0_S8_ifPKiSA_SA_iPKfiiiPfSD_PS3_PT2_iSC_SC_, .Lfunc_end1135-_Z39paged_attention_ll4mi_QKV_mfma16_kernelIDF16_hLN4vllm18Fp8KVCacheDataTypeE1EDF16_Li16ELi64ELi256ELb1ELi2EL8MFMAType0EEvPKT_PKT0_S8_ifPKiSA_SA_iPKfiiiPfSD_PS3_PT2_iSC_SC_
                                        ; -- End function
	.section	.AMDGPU.csdata,"",@progbits
; Kernel info:
; codeLenInByte = 6240
; NumSgprs: 38
; NumVgprs: 148
; ScratchSize: 0
; MemoryBound: 0
; FloatMode: 240
; IeeeMode: 1
; LDSByteSize: 17472 bytes/workgroup (compile time only)
; SGPRBlocks: 4
; VGPRBlocks: 18
; NumSGPRsForWavesPerEU: 38
; NumVGPRsForWavesPerEU: 148
; Occupancy: 9
; WaveLimiterHint : 1
; COMPUTE_PGM_RSRC2:SCRATCH_EN: 0
; COMPUTE_PGM_RSRC2:USER_SGPR: 13
; COMPUTE_PGM_RSRC2:TRAP_HANDLER: 0
; COMPUTE_PGM_RSRC2:TGID_X_EN: 1
; COMPUTE_PGM_RSRC2:TGID_Y_EN: 1
; COMPUTE_PGM_RSRC2:TGID_Z_EN: 1
; COMPUTE_PGM_RSRC2:TIDIG_COMP_CNT: 0
	.section	.text._Z39paged_attention_ll4mi_QKV_mfma16_kernelIDF16_hLN4vllm18Fp8KVCacheDataTypeE1EDF16_Li16ELi64ELi256ELb1ELi3EL8MFMAType0EEvPKT_PKT0_S8_ifPKiSA_SA_iPKfiiiPfSD_PS3_PT2_iSC_SC_,"axG",@progbits,_Z39paged_attention_ll4mi_QKV_mfma16_kernelIDF16_hLN4vllm18Fp8KVCacheDataTypeE1EDF16_Li16ELi64ELi256ELb1ELi3EL8MFMAType0EEvPKT_PKT0_S8_ifPKiSA_SA_iPKfiiiPfSD_PS3_PT2_iSC_SC_,comdat
	.protected	_Z39paged_attention_ll4mi_QKV_mfma16_kernelIDF16_hLN4vllm18Fp8KVCacheDataTypeE1EDF16_Li16ELi64ELi256ELb1ELi3EL8MFMAType0EEvPKT_PKT0_S8_ifPKiSA_SA_iPKfiiiPfSD_PS3_PT2_iSC_SC_ ; -- Begin function _Z39paged_attention_ll4mi_QKV_mfma16_kernelIDF16_hLN4vllm18Fp8KVCacheDataTypeE1EDF16_Li16ELi64ELi256ELb1ELi3EL8MFMAType0EEvPKT_PKT0_S8_ifPKiSA_SA_iPKfiiiPfSD_PS3_PT2_iSC_SC_
	.globl	_Z39paged_attention_ll4mi_QKV_mfma16_kernelIDF16_hLN4vllm18Fp8KVCacheDataTypeE1EDF16_Li16ELi64ELi256ELb1ELi3EL8MFMAType0EEvPKT_PKT0_S8_ifPKiSA_SA_iPKfiiiPfSD_PS3_PT2_iSC_SC_
	.p2align	8
	.type	_Z39paged_attention_ll4mi_QKV_mfma16_kernelIDF16_hLN4vllm18Fp8KVCacheDataTypeE1EDF16_Li16ELi64ELi256ELb1ELi3EL8MFMAType0EEvPKT_PKT0_S8_ifPKiSA_SA_iPKfiiiPfSD_PS3_PT2_iSC_SC_,@function
_Z39paged_attention_ll4mi_QKV_mfma16_kernelIDF16_hLN4vllm18Fp8KVCacheDataTypeE1EDF16_Li16ELi64ELi256ELb1ELi3EL8MFMAType0EEvPKT_PKT0_S8_ifPKiSA_SA_iPKfiiiPfSD_PS3_PT2_iSC_SC_: ; @_Z39paged_attention_ll4mi_QKV_mfma16_kernelIDF16_hLN4vllm18Fp8KVCacheDataTypeE1EDF16_Li16ELi64ELi256ELb1ELi3EL8MFMAType0EEvPKT_PKT0_S8_ifPKiSA_SA_iPKfiiiPfSD_PS3_PT2_iSC_SC_
; %bb.0:
	s_load_b64 s[2:3], s[0:1], 0x30
	s_mov_b32 s34, s13
	s_waitcnt lgkmcnt(0)
	s_cmp_lg_u64 s[2:3], 0
	s_cselect_b32 s6, -1, 0
	s_ashr_i32 s35, s13, 31
	s_cmp_eq_u64 s[2:3], 0
	s_cbranch_scc1 .LBB1136_3
; %bb.1:
	s_lshl_b64 s[4:5], s[34:35], 2
	s_delay_alu instid0(SALU_CYCLE_1) | instskip(SKIP_4) | instid1(SALU_CYCLE_1)
	s_add_u32 s4, s2, s4
	s_addc_u32 s5, s3, s5
	s_load_b64 s[4:5], s[4:5], 0x0
	s_waitcnt lgkmcnt(0)
	s_sub_i32 s4, s5, s4
	s_cmp_eq_u32 s4, 1
	s_cselect_b32 s4, -1, 0
	s_delay_alu instid0(SALU_CYCLE_1)
	s_and_not1_b32 vcc_lo, exec_lo, s4
	s_cbranch_vccz .LBB1136_4
.LBB1136_2:
	s_nop 0
	s_sendmsg sendmsg(MSG_DEALLOC_VGPRS)
	s_endpgm
.LBB1136_3:
.LBB1136_4:
	s_load_b64 s[8:9], s[0:1], 0x28
	s_lshl_b64 s[4:5], s[34:35], 2
	s_waitcnt lgkmcnt(0)
	s_add_u32 s8, s8, s4
	s_addc_u32 s9, s9, s5
	s_lshl_b32 s16, s14, 8
	s_load_b32 s18, s[8:9], 0x0
	s_waitcnt lgkmcnt(0)
	s_cmp_ge_i32 s16, s18
	s_cbranch_scc1 .LBB1136_2
; %bb.5:
	s_clause 0x1
	s_load_b128 s[8:11], s[0:1], 0x8
	s_load_b64 s[12:13], s[0:1], 0x20
	s_and_not1_b32 vcc_lo, exec_lo, s6
	s_cbranch_vccnz .LBB1136_7
; %bb.6:
	s_add_u32 s2, s2, s4
	s_addc_u32 s3, s3, s5
	s_load_b32 s3, s[2:3], 0x0
	s_branch .LBB1136_8
.LBB1136_7:
	s_mov_b32 s3, s34
.LBB1136_8:
	s_load_b128 s[4:7], s[0:1], 0x48
	v_lshrrev_b32_e32 v69, 5, v0
	v_bfe_u32 v66, v0, 4, 1
	v_and_b32_e32 v68, 15, v0
	v_and_b32_e32 v70, 31, v0
	;; [unrolled: 1-line block ×3, first 2 shown]
	s_mul_i32 s33, s15, 3
	v_lshl_or_b32 v1, v69, 1, v66
	v_lshlrev_b32_e32 v2, 3, v68
	v_cmp_gt_u32_e64 s2, 8, v68
	s_delay_alu instid0(VALU_DEP_3) | instskip(NEXT) | instid1(VALU_DEP_3)
	v_cmp_gt_u32_e32 vcc_lo, 3, v1
	v_lshlrev_b32_e32 v65, 1, v2
	s_delay_alu instid0(VALU_DEP_3)
	s_and_b32 s17, s2, vcc_lo
	s_waitcnt lgkmcnt(0)
	s_and_saveexec_b32 s7, s17
	s_cbranch_execz .LBB1136_10
; %bb.9:
	s_load_b64 s[20:21], s[0:1], 0x0
	v_add_lshl_u32 v2, v1, s33, 6
	s_mul_hi_i32 s23, s3, s4
	s_mul_i32 s22, s3, s4
	v_lshlrev_b32_e32 v6, 10, v68
	s_lshl_b64 s[22:23], s[22:23], 1
	v_ashrrev_i32_e32 v3, 31, v2
	v_lshlrev_b32_e32 v1, 6, v1
	v_lshlrev_b32_e32 v7, 10, v67
	v_and_b32_e32 v6, 0x3800, v6
	s_delay_alu instid0(VALU_DEP_4) | instskip(NEXT) | instid1(VALU_DEP_2)
	v_lshlrev_b64 v[2:3], 1, v[2:3]
	v_or3_b32 v1, v6, v7, v1
	s_waitcnt lgkmcnt(0)
	s_add_u32 s3, s20, s22
	s_addc_u32 s4, s21, s23
	s_delay_alu instid0(VALU_DEP_2) | instskip(SKIP_1) | instid1(VALU_DEP_2)
	v_add_co_u32 v2, vcc_lo, s3, v2
	v_add_co_ci_u32_e32 v3, vcc_lo, s4, v3, vcc_lo
	v_add_co_u32 v2, vcc_lo, v2, v65
	s_delay_alu instid0(VALU_DEP_2)
	v_add_co_ci_u32_e32 v3, vcc_lo, 0, v3, vcc_lo
	global_load_b128 v[2:5], v[2:3], off
	s_waitcnt vmcnt(0)
	ds_store_b128 v1, v[2:5]
.LBB1136_10:
	s_or_b32 exec_lo, exec_lo, s7
	v_and_b32_e32 v1, 0xef, v0
	s_add_i32 s3, s18, 15
	s_clause 0x1
	s_load_b32 s4, s[0:1], 0x38
	s_load_b32 s35, s[0:1], 0x98
	s_ashr_i32 s7, s3, 31
	v_add_nc_u32_e32 v1, s16, v1
	s_lshr_b32 s7, s7, 28
	s_load_b32 s19, s[0:1], 0x1c
	s_add_i32 s3, s3, s7
	s_waitcnt lgkmcnt(0)
	v_ashrrev_i32_e32 v2, 31, v1
	v_or_b32_e32 v3, 16, v1
	s_ashr_i32 s3, s3, 4
	v_cmp_gt_i32_e32 vcc_lo, s18, v1
	s_add_i32 s3, s3, -1
	v_lshrrev_b32_e32 v2, 28, v2
	s_barrier
	buffer_gl0_inv
	s_mul_i32 s15, s15, s6
	v_mul_lo_u16 v103, 0x56, v68
	v_add_nc_u32_e32 v4, v1, v2
	v_mbcnt_lo_u32_b32 v127, -1, 0
	s_mul_i32 s20, s34, s4
	s_delay_alu instid0(SALU_CYCLE_1) | instskip(NEXT) | instid1(VALU_DEP_2)
	s_ashr_i32 s21, s20, 31
	v_ashrrev_i32_e32 v4, 4, v4
	v_add_nc_u32_e32 v2, v3, v2
	s_lshl_b64 s[20:21], s[20:21], 2
	v_lshrrev_b16 v103, 8, v103
	s_add_u32 s17, s12, s20
	v_cndmask_b32_e32 v1, s3, v4, vcc_lo
	v_ashrrev_i32_e32 v2, 4, v2
	v_cmp_gt_i32_e32 vcc_lo, s18, v3
	s_addc_u32 s13, s13, s21
	s_ashr_i32 s20, s15, 31
	s_add_u32 s4, s8, s15
	s_addc_u32 s12, s9, s20
	v_cndmask_b32_e32 v3, s3, v2, vcc_lo
	v_ashrrev_i32_e32 v2, 31, v1
	s_lshl_b32 s6, s14, 4
	v_mul_lo_u16 v103, v103, 3
	s_ashr_i32 s7, s6, 31
	v_ashrrev_i32_e32 v4, 31, v3
	v_lshlrev_b64 v[1:2], 2, v[1:2]
	s_lshl_b64 s[6:7], s[6:7], 2
	v_sub_nc_u16 v103, v68, v103
	s_add_u32 s6, s17, s6
	v_lshlrev_b64 v[3:4], 2, v[3:4]
	s_addc_u32 s7, s13, s7
	v_add_co_u32 v1, vcc_lo, s17, v1
	v_add_co_ci_u32_e32 v2, vcc_lo, s13, v2, vcc_lo
	s_delay_alu instid0(VALU_DEP_3) | instskip(NEXT) | instid1(VALU_DEP_4)
	v_add_co_u32 v3, vcc_lo, s17, v3
	v_add_co_ci_u32_e32 v4, vcc_lo, s13, v4, vcc_lo
	s_clause 0x1
	global_load_b32 v5, v[1:2], off
	global_load_b32 v7, v[3:4], off
	s_or_b32 s8, s16, 32
	v_lshlrev_b32_e32 v1, 4, v0
	s_ashr_i32 s9, s8, 4
	s_cmp_lt_i32 s8, s18
	v_xor_b32_e32 v128, 16, v127
	s_cselect_b32 s8, s9, s3
	v_and_b32_e32 v1, 0xf0, v1
	s_ashr_i32 s9, s8, 31
	s_delay_alu instid0(SALU_CYCLE_1)
	s_lshl_b64 s[8:9], s[8:9], 2
	v_cmp_gt_i32_e32 vcc_lo, 32, v128
	s_add_u32 s8, s17, s8
	s_addc_u32 s9, s13, s9
	s_or_b32 s21, s16, 64
	v_add_co_u32 v1, s4, s4, v1
	s_ashr_i32 s22, s21, 4
	s_cmp_lt_i32 s21, s18
	v_add_co_ci_u32_e64 v2, null, s12, 0, s4
	s_cselect_b32 s22, s22, s3
	v_dual_cndmask_b32 v136, v127, v128 :: v_dual_and_b32 v103, 0xff, v103
	s_ashr_i32 s23, s22, 31
	s_delay_alu instid0(SALU_CYCLE_1) | instskip(NEXT) | instid1(VALU_DEP_1)
	s_lshl_b64 s[22:23], s[22:23], 2
	v_lshlrev_b32_e32 v115, 6, v103
	s_add_u32 s22, s17, s22
	s_addc_u32 s23, s13, s23
	s_or_b32 s21, s16, 0x60
	s_delay_alu instid0(SALU_CYCLE_1) | instskip(SKIP_2) | instid1(SALU_CYCLE_1)
	s_ashr_i32 s24, s21, 4
	s_cmp_lt_i32 s21, s18
	s_cselect_b32 s24, s24, s3
	s_ashr_i32 s25, s24, 31
	s_delay_alu instid0(SALU_CYCLE_1) | instskip(NEXT) | instid1(SALU_CYCLE_1)
	s_lshl_b64 s[24:25], s[24:25], 2
	s_add_u32 s24, s17, s24
	s_addc_u32 s25, s13, s25
	s_or_b32 s21, s16, 0x80
	s_delay_alu instid0(SALU_CYCLE_1) | instskip(SKIP_2) | instid1(SALU_CYCLE_1)
	s_ashr_i32 s26, s21, 4
	s_cmp_lt_i32 s21, s18
	s_cselect_b32 s26, s26, s3
	s_ashr_i32 s27, s26, 31
	s_delay_alu instid0(SALU_CYCLE_1) | instskip(NEXT) | instid1(SALU_CYCLE_1)
	s_lshl_b64 s[26:27], s[26:27], 2
	;; [unrolled: 10-line block ×3, first 2 shown]
	s_add_u32 s28, s17, s28
	s_addc_u32 s29, s13, s29
	s_clause 0x5
	s_load_b32 s12, s[6:7], 0x0
	s_load_b32 s4, s[8:9], 0x0
	;; [unrolled: 1-line block ×6, first 2 shown]
	s_or_b32 s21, s16, 0xc0
	s_delay_alu instid0(SALU_CYCLE_1) | instskip(SKIP_2) | instid1(SALU_CYCLE_1)
	s_ashr_i32 s22, s21, 4
	s_cmp_lt_i32 s21, s18
	s_cselect_b32 s22, s22, s3
	s_ashr_i32 s23, s22, 31
	s_delay_alu instid0(SALU_CYCLE_1) | instskip(NEXT) | instid1(SALU_CYCLE_1)
	s_lshl_b64 s[22:23], s[22:23], 2
	s_add_u32 s22, s17, s22
	s_addc_u32 s23, s13, s23
	s_or_b32 s21, s16, 0xe0
	s_delay_alu instid0(SALU_CYCLE_1) | instskip(SKIP_2) | instid1(SALU_CYCLE_1)
	s_ashr_i32 s24, s21, 4
	s_cmp_lt_i32 s21, s18
	s_cselect_b32 s24, s24, s3
	s_ashr_i32 s25, s24, 31
	s_delay_alu instid0(SALU_CYCLE_1)
	s_lshl_b64 s[24:25], s[24:25], 2
	s_waitcnt vmcnt(1)
	v_mad_i64_i32 v[3:4], null, v5, s5, v[1:2]
	s_waitcnt vmcnt(0)
	v_mad_i64_i32 v[5:6], null, v7, s5, v[1:2]
	v_lshlrev_b32_e32 v1, 4, v68
	s_clause 0x7
	global_load_b128 v[71:74], v[3:4], off
	global_load_b128 v[75:78], v[3:4], off offset:256
	global_load_b128 v[79:82], v[5:6], off
	global_load_b128 v[83:86], v[5:6], off offset:256
	global_load_b128 v[87:90], v[3:4], off offset:512
	global_load_b128 v[91:94], v[3:4], off offset:768
	global_load_b128 v[95:98], v[5:6], off offset:512
	global_load_b128 v[99:102], v[5:6], off offset:768
	v_lshl_or_b32 v1, v69, 8, v1
	s_load_b32 s3, s[22:23], 0x0
	s_add_u32 s22, s17, s24
	s_addc_u32 s23, s13, s25
	s_add_u32 s10, s10, s15
	s_addc_u32 s11, s11, s20
	v_add_co_u32 v1, s10, s10, v1
	s_delay_alu instid0(VALU_DEP_1) | instskip(SKIP_2) | instid1(VALU_DEP_1)
	v_add_co_ci_u32_e64 v2, null, s11, 0, s10
	s_load_b32 s10, s[22:23], 0x0
	s_waitcnt lgkmcnt(0)
	v_mad_i64_i32 v[3:4], null, s12, s5, v[1:2]
	v_mad_i64_i32 v[9:10], null, s7, s5, v[1:2]
	;; [unrolled: 1-line block ×7, first 2 shown]
	s_clause 0x5
	global_load_b128 v[49:52], v[3:4], off
	global_load_b128 v[53:56], v[3:4], off offset:16
	global_load_b128 v[41:44], v[5:6], off
	global_load_b128 v[45:48], v[5:6], off offset:16
	;; [unrolled: 2-line block ×3, first 2 shown]
	s_mov_b32 s4, 0
	v_mad_i64_i32 v[61:62], null, s10, s5, v[1:2]
	s_clause 0x9
	global_load_b128 v[1:4], v[9:10], off
	global_load_b128 v[5:8], v[9:10], off offset:16
	global_load_b128 v[9:12], v[13:14], off
	global_load_b128 v[13:16], v[13:14], off offset:16
	;; [unrolled: 2-line block ×5, first 2 shown]
	s_mov_b32 s5, s4
	s_mov_b32 s6, s4
	;; [unrolled: 1-line block ×7, first 2 shown]
	v_and_b32_e32 v104, 0xe0, v0
	v_dual_mov_b32 v126, s11 :: v_dual_mov_b32 v123, s8
	v_dual_mov_b32 v125, s10 :: v_dual_mov_b32 v124, s9
	s_delay_alu instid0(VALU_DEP_3)
	v_add_nc_u32_e32 v111, s16, v104
	ds_load_b128 v[103:106], v115
	ds_load_b128 v[107:110], v115 offset:1024
	v_dual_mov_b32 v122, s7 :: v_dual_mov_b32 v121, s6
	v_mov_b32_e32 v120, s5
	v_or_b32_e32 v135, v111, v66
	ds_load_b128 v[111:114], v115 offset:2048
	ds_load_b128 v[115:118], v115 offset:3072
	v_mov_b32_e32 v119, s4
	s_waitcnt vmcnt(0) lgkmcnt(0)
	s_barrier
	v_or_b32_e32 v137, 2, v135
	v_or_b32_e32 v138, 4, v135
	;; [unrolled: 1-line block ×3, first 2 shown]
	v_cmp_gt_i32_e32 vcc_lo, s18, v135
	v_or_b32_e32 v140, 8, v135
	v_cmp_gt_i32_e64 s3, s18, v137
	v_or_b32_e32 v141, 10, v135
	v_cmp_gt_i32_e64 s4, s18, v138
	v_cmp_gt_i32_e64 s5, s18, v139
	v_or_b32_e32 v142, 12, v135
	v_or_b32_e32 v143, 14, v135
	v_cmp_gt_i32_e64 s6, s18, v140
	v_cmp_gt_i32_e64 s7, s18, v141
	v_or_b32_e32 v144, 16, v135
	v_or_b32_e32 v145, 18, v135
	v_cmp_gt_i32_e64 s8, s18, v142
	v_cmp_gt_i32_e64 s9, s18, v143
	buffer_gl0_inv
	v_cmp_gt_i32_e64 s10, s18, v144
	v_cmp_gt_i32_e64 s11, s18, v145
	v_wmma_f32_16x16x16_f16 v[127:134], v[71:78], v[103:110], v[119:126]
	v_wmma_f32_16x16x16_f16 v[119:126], v[79:86], v[103:110], v[119:126]
	v_or_b32_e32 v71, 20, v135
	v_or_b32_e32 v72, 22, v135
	s_delay_alu instid0(VALU_DEP_4)
	v_wmma_f32_16x16x16_f16 v[127:134], v[87:94], v[111:118], v[127:134]
	v_or_b32_e32 v73, 24, v135
	v_wmma_f32_16x16x16_f16 v[119:126], v[95:102], v[111:118], v[119:126]
	v_or_b32_e32 v74, 26, v135
	v_cmp_gt_i32_e64 s12, s18, v71
	v_dual_mul_f32 v83, s19, v128 :: v_dual_mul_f32 v84, s19, v127
	s_delay_alu instid0(VALU_DEP_4) | instskip(SKIP_1) | instid1(VALU_DEP_3)
	v_dual_mul_f32 v81, s19, v130 :: v_dual_mul_f32 v92, s19, v119
	v_mul_f32_e32 v82, s19, v129
	v_cndmask_b32_e64 v83, 0xff7fffff, v83, s3
	s_delay_alu instid0(VALU_DEP_4)
	v_cndmask_b32_e32 v84, 0xff7fffff, v84, vcc_lo
	v_dual_mul_f32 v79, s19, v132 :: v_dual_mul_f32 v90, s19, v121
	v_mul_f32_e32 v80, s19, v131
	v_cndmask_b32_e64 v82, 0xff7fffff, v82, s4
	v_cndmask_b32_e64 v81, 0xff7fffff, v81, s5
	v_max3_f32 v83, v84, 0xff7fffff, v83
	v_dual_mul_f32 v77, s19, v134 :: v_dual_mul_f32 v88, s19, v123
	v_mul_f32_e32 v78, s19, v133
	v_cndmask_b32_e64 v80, 0xff7fffff, v80, s6
	v_cndmask_b32_e64 v79, 0xff7fffff, v79, s7
	v_max3_f32 v81, v83, v82, v81
	v_mul_f32_e32 v91, s19, v120
	v_cndmask_b32_e64 v78, 0xff7fffff, v78, s8
	v_cndmask_b32_e64 v77, 0xff7fffff, v77, s9
	v_mul_f32_e32 v89, s19, v122
	v_max3_f32 v79, v81, v80, v79
	v_cndmask_b32_e64 v80, 0xff7fffff, v92, s10
	v_cndmask_b32_e64 v81, 0xff7fffff, v91, s11
	v_cmp_gt_i32_e64 s13, s18, v72
	v_or_b32_e32 v75, 28, v135
	v_max3_f32 v77, v79, v78, v77
	v_or_b32_e32 v76, 30, v135
	v_mul_f32_e32 v87, s19, v124
	v_cndmask_b32_e64 v71, 0xff7fffff, v90, s12
	v_cndmask_b32_e64 v72, 0xff7fffff, v89, s13
	v_max3_f32 v77, v77, v80, v81
	v_cmp_gt_i32_e64 s15, s18, v73
	v_cmp_gt_i32_e64 s16, s18, v74
	v_dual_mul_f32 v85, s19, v126 :: v_dual_mul_f32 v86, s19, v125
	s_delay_alu instid0(VALU_DEP_4) | instskip(NEXT) | instid1(VALU_DEP_4)
	v_max3_f32 v71, v77, v71, v72
	v_cndmask_b32_e64 v73, 0xff7fffff, v88, s15
	s_delay_alu instid0(VALU_DEP_4) | instskip(SKIP_2) | instid1(VALU_DEP_3)
	v_cndmask_b32_e64 v74, 0xff7fffff, v87, s16
	v_cmp_gt_i32_e64 s17, s18, v75
	v_cmp_gt_i32_e64 s18, s18, v76
	v_max3_f32 v71, v71, v73, v74
	s_delay_alu instid0(VALU_DEP_3) | instskip(NEXT) | instid1(VALU_DEP_3)
	v_cndmask_b32_e64 v72, 0xff7fffff, v86, s17
	v_cndmask_b32_e64 v75, 0xff7fffff, v85, s18
	v_lshlrev_b32_e32 v73, 2, v136
	s_delay_alu instid0(VALU_DEP_2) | instskip(SKIP_3) | instid1(VALU_DEP_1)
	v_max3_f32 v71, v71, v72, v75
	ds_bpermute_b32 v72, v73, v71
	s_waitcnt lgkmcnt(0)
	v_max_f32_e32 v72, v72, v72
	v_max_f32_e32 v71, v71, v72
	s_delay_alu instid0(VALU_DEP_1)
	v_fma_f32 v72, s19, v127, -v71
	v_fma_f32 v74, s19, v128, -v71
	;; [unrolled: 1-line block ×5, first 2 shown]
	v_mul_f32_e32 v72, 0x3fb8aa3b, v72
	v_mul_f32_e32 v74, 0x3fb8aa3b, v74
	v_fma_f32 v80, s19, v133, -v71
	s_delay_alu instid0(VALU_DEP_4) | instskip(NEXT) | instid1(VALU_DEP_4)
	v_dual_mul_f32 v76, 0x3fb8aa3b, v76 :: v_dual_mul_f32 v77, 0x3fb8aa3b, v77
	v_exp_f32_e32 v72, v72
	s_delay_alu instid0(VALU_DEP_3) | instskip(NEXT) | instid1(VALU_DEP_2)
	v_exp_f32_e32 v74, v74
	v_mul_f32_e32 v82, 0x3fb8aa3b, v80
	s_delay_alu instid0(VALU_DEP_2) | instskip(SKIP_1) | instid1(VALU_DEP_1)
	v_exp_f32_e32 v76, v76
	v_exp_f32_e32 v77, v77
	;; [unrolled: 1-line block ×3, first 2 shown]
	v_cndmask_b32_e32 v79, 0, v72, vcc_lo
	v_fma_f32 v72, s19, v132, -v71
	v_mul_f32_e32 v75, 0x3fb8aa3b, v75
	v_cndmask_b32_e64 v78, 0, v74, s3
	s_delay_alu instid0(TRANS32_DEP_3)
	v_cndmask_b32_e64 v80, 0, v76, s5
	v_add_f32_e32 v74, 0, v79
	v_mul_f32_e32 v72, 0x3fb8aa3b, v72
	v_exp_f32_e32 v75, v75
	v_cndmask_b32_e64 v83, 0, v77, s6
	v_cndmask_b32_e64 v85, 0, v84, s8
	v_add_f32_e32 v74, v74, v78
	v_exp_f32_e32 v72, v72
	v_cmp_gt_u32_e64 s3, 16, v70
	s_waitcnt_depctr 0xfff
	v_cndmask_b32_e64 v81, 0, v75, s4
	v_cndmask_b32_e64 v82, 0, v72, s7
	s_delay_alu instid0(VALU_DEP_2) | instskip(NEXT) | instid1(VALU_DEP_1)
	v_add_f32_e32 v74, v74, v81
	v_add_f32_e32 v74, v74, v80
	s_delay_alu instid0(VALU_DEP_1) | instskip(SKIP_4) | instid1(VALU_DEP_4)
	v_add_f32_e32 v72, v74, v83
	v_fma_f32 v75, s19, v134, -v71
	v_fma_f32 v76, s19, v119, -v71
	;; [unrolled: 1-line block ×4, first 2 shown]
	v_dual_add_f32 v72, v72, v82 :: v_dual_mul_f32 v75, 0x3fb8aa3b, v75
	s_delay_alu instid0(VALU_DEP_3) | instskip(SKIP_1) | instid1(VALU_DEP_3)
	v_dual_mul_f32 v76, 0x3fb8aa3b, v76 :: v_dual_mul_f32 v77, 0x3fb8aa3b, v77
	v_fma_f32 v86, s19, v122, -v71
	v_add_f32_e32 v72, v72, v85
	s_delay_alu instid0(VALU_DEP_4) | instskip(NEXT) | instid1(VALU_DEP_3)
	v_exp_f32_e32 v75, v75
	v_exp_f32_e32 v76, v76
	;; [unrolled: 1-line block ×3, first 2 shown]
	v_mul_f32_e32 v86, 0x3fb8aa3b, v86
	s_delay_alu instid0(VALU_DEP_1) | instskip(SKIP_3) | instid1(TRANS32_DEP_3)
	v_exp_f32_e32 v88, v86
	v_cndmask_b32_e64 v84, 0, v75, s9
	v_fma_f32 v75, s19, v123, -v71
	v_mul_f32_e32 v74, 0x3fb8aa3b, v74
	v_cndmask_b32_e64 v87, 0, v76, s10
	v_fma_f32 v76, s19, v124, -v71
	s_delay_alu instid0(VALU_DEP_4) | instskip(NEXT) | instid1(VALU_DEP_4)
	v_dual_add_f32 v72, v72, v84 :: v_dual_mul_f32 v75, 0x3fb8aa3b, v75
	v_exp_f32_e32 v74, v74
	v_cndmask_b32_e64 v86, 0, v77, s11
	v_fma_f32 v77, s19, v125, -v71
	s_delay_alu instid0(VALU_DEP_3) | instskip(SKIP_3) | instid1(VALU_DEP_3)
	v_add_f32_e32 v72, v72, v87
	v_mul_f32_e32 v76, 0x3fb8aa3b, v76
	v_exp_f32_e32 v75, v75
	v_cndmask_b32_e64 v88, 0, v88, s13
	v_add_f32_e32 v72, v72, v86
	s_delay_alu instid0(VALU_DEP_3) | instskip(NEXT) | instid1(TRANS32_DEP_3)
	v_exp_f32_e32 v76, v76
	v_cndmask_b32_e64 v89, 0, v74, s12
	v_mul_f32_e32 v74, 0x3fb8aa3b, v77
	v_fma_f32 v77, s19, v126, -v71
	s_delay_alu instid0(VALU_DEP_3) | instskip(NEXT) | instid1(VALU_DEP_3)
	v_add_f32_e32 v72, v72, v89
	v_exp_f32_e32 v74, v74
	s_delay_alu instid0(TRANS32_DEP_3) | instskip(NEXT) | instid1(VALU_DEP_3)
	v_cndmask_b32_e64 v91, 0, v75, s15
	v_mul_f32_e32 v75, 0x3fb8aa3b, v77
	s_delay_alu instid0(TRANS32_DEP_2) | instskip(SKIP_1) | instid1(VALU_DEP_3)
	v_cndmask_b32_e64 v90, 0, v76, s16
	v_add_f32_e32 v72, v72, v88
	v_exp_f32_e32 v75, v75
	s_delay_alu instid0(VALU_DEP_1) | instskip(NEXT) | instid1(TRANS32_DEP_2)
	v_add_f32_e32 v72, v72, v91
	v_cndmask_b32_e64 v93, 0, v74, s17
	s_delay_alu instid0(VALU_DEP_2) | instskip(SKIP_3) | instid1(VALU_DEP_1)
	v_add_f32_e32 v72, v72, v90
	s_waitcnt_depctr 0xfff
	v_cndmask_b32_e64 v92, 0, v75, s18
	v_add_f32_e32 v72, v72, v93
	v_add_f32_e32 v72, v72, v92
	ds_bpermute_b32 v73, v73, v72
	s_and_saveexec_b32 s4, s3
	s_cbranch_execz .LBB1136_12
; %bb.11:
	v_mul_u32_u24_e32 v70, 0x44, v69
	s_waitcnt lgkmcnt(0)
	v_add_f32_e32 v72, v72, v73
	s_delay_alu instid0(VALU_DEP_2) | instskip(NEXT) | instid1(VALU_DEP_1)
	v_lshl_add_u32 v70, v68, 2, v70
	v_add_nc_u32_e32 v70, 0x4000, v70
	ds_store_2addr_b32 v70, v71, v72 offset1:136
.LBB1136_12:
	s_or_b32 exec_lo, exec_lo, s4
	v_lshlrev_b32_e32 v70, 2, v68
	s_load_b32 s36, s[0:1], 0x94
	s_waitcnt lgkmcnt(0)
	s_barrier
	buffer_gl0_inv
	v_add_nc_u32_e32 v98, 0x4000, v70
	v_cmp_eq_u32_e32 vcc_lo, 1, v69
	v_cmp_eq_u32_e64 s4, 2, v69
	v_cmp_eq_u32_e64 s5, 3, v69
	;; [unrolled: 1-line block ×3, first 2 shown]
	ds_load_2addr_b32 v[70:71], v98 offset1:17
	ds_load_2addr_b32 v[72:73], v98 offset0:34 offset1:51
	ds_load_2addr_b32 v[74:75], v98 offset0:68 offset1:85
	;; [unrolled: 1-line block ×3, first 2 shown]
	v_cmp_eq_u32_e64 s7, 5, v69
	v_cmp_eq_u32_e64 s8, 7, v69
	s_waitcnt lgkmcnt(3)
	v_max3_f32 v76, v70, 0xff7fffff, v71
	s_waitcnt lgkmcnt(2)
	s_delay_alu instid0(VALU_DEP_1) | instskip(SKIP_1) | instid1(VALU_DEP_1)
	v_max3_f32 v76, v76, v72, v73
	s_waitcnt lgkmcnt(1)
	v_max3_f32 v76, v76, v74, v75
	s_waitcnt lgkmcnt(0)
	s_delay_alu instid0(VALU_DEP_1) | instskip(NEXT) | instid1(VALU_DEP_1)
	v_max3_f32 v76, v76, v94, v95
	v_sub_f32_e32 v77, v71, v76
	ds_load_2addr_b32 v[96:97], v98 offset0:136 offset1:153
	v_sub_f32_e32 v74, v74, v76
	v_sub_f32_e32 v70, v70, v76
	;; [unrolled: 1-line block ×3, first 2 shown]
	v_dual_sub_f32 v72, v72, v76 :: v_dual_mul_f32 v77, 0x3fb8aa3b, v77
	s_delay_alu instid0(VALU_DEP_4) | instskip(NEXT) | instid1(VALU_DEP_4)
	v_mul_f32_e32 v103, 0x3fb8aa3b, v74
	v_mul_f32_e32 v99, 0x3fb8aa3b, v70
	ds_load_2addr_b32 v[70:71], v98 offset0:170 offset1:187
	v_dual_mul_f32 v101, 0x3fb8aa3b, v72 :: v_dual_mul_f32 v94, 0x3fb8aa3b, v94
	v_exp_f32_e32 v102, v77
	v_exp_f32_e32 v99, v99
	s_delay_alu instid0(VALU_DEP_1) | instskip(NEXT) | instid1(VALU_DEP_1)
	v_exp_f32_e32 v101, v101
	v_exp_f32_e32 v94, v94
	s_waitcnt lgkmcnt(1)
	s_delay_alu instid0(TRANS32_DEP_3)
	v_fma_f32 v77, v99, v96, 0
	v_sub_f32_e32 v100, v73, v76
	ds_load_2addr_b32 v[72:73], v98 offset0:204 offset1:221
	v_fmac_f32_e32 v77, v102, v97
	v_exp_f32_e32 v97, v103
	s_waitcnt lgkmcnt(1)
	s_delay_alu instid0(VALU_DEP_1)
	v_dual_fmac_f32 v77, v101, v70 :: v_dual_sub_f32 v96, v75, v76
	ds_load_2addr_b32 v[74:75], v98 offset0:238 offset1:255
	v_sub_f32_e32 v70, v95, v76
	s_waitcnt lgkmcnt(0)
	s_barrier
	v_mul_f32_e32 v96, 0x3fb8aa3b, v96
	buffer_gl0_inv
	v_exp_f32_e32 v95, v96
	v_mul_f32_e32 v100, 0x3fb8aa3b, v100
	s_delay_alu instid0(VALU_DEP_1) | instskip(SKIP_3) | instid1(VALU_DEP_2)
	v_exp_f32_e32 v100, v100
	s_waitcnt_depctr 0xfff
	v_dual_fmac_f32 v77, v100, v71 :: v_dual_mul_f32 v70, 0x3fb8aa3b, v70
	v_cndmask_b32_e32 v71, v99, v102, vcc_lo
	v_fmac_f32_e32 v77, v97, v72
	s_delay_alu instid0(VALU_DEP_3) | instskip(NEXT) | instid1(VALU_DEP_1)
	v_exp_f32_e32 v96, v70
	v_fmac_f32_e32 v77, v95, v73
	s_delay_alu instid0(VALU_DEP_1) | instskip(SKIP_2) | instid1(VALU_DEP_1)
	v_fmac_f32_e32 v77, v94, v74
	s_waitcnt_depctr 0xfff
	v_fmac_f32_e32 v77, v96, v75
	v_add_f32_e32 v74, 0x358637bd, v77
	s_delay_alu instid0(VALU_DEP_1) | instskip(SKIP_1) | instid1(VALU_DEP_2)
	v_div_scale_f32 v98, null, v74, v74, 1.0
	v_div_scale_f32 v99, vcc_lo, 1.0, v74, 1.0
	v_rcp_f32_e32 v103, v98
	s_waitcnt_depctr 0xfff
	v_fma_f32 v70, -v98, v103, 1.0
	s_delay_alu instid0(VALU_DEP_1) | instskip(SKIP_2) | instid1(VALU_DEP_2)
	v_fmac_f32_e32 v103, v70, v103
	v_cndmask_b32_e64 v70, v71, v101, s4
	v_cmp_eq_u32_e64 s4, 6, v69
	v_cndmask_b32_e64 v71, v70, v100, s5
	s_delay_alu instid0(VALU_DEP_4) | instskip(NEXT) | instid1(VALU_DEP_2)
	v_dual_mul_f32 v101, v99, v103 :: v_dual_lshlrev_b32 v70, 2, v66
	v_cndmask_b32_e64 v71, v71, v97, s6
	s_delay_alu instid0(VALU_DEP_2) | instskip(NEXT) | instid1(VALU_DEP_3)
	v_or_b32_e32 v72, 1, v70
	v_fma_f32 v100, -v98, v101, v99
	v_cmp_eq_u32_e64 s5, 1, v70
	v_cmp_eq_u32_e64 s6, 2, v70
	v_cndmask_b32_e64 v95, v71, v95, s7
	v_or_b32_e32 v71, 3, v70
	v_fmac_f32_e32 v101, v100, v103
	v_cmp_eq_u32_e64 s10, 1, v72
	v_cmp_eq_u32_e64 s13, 2, v72
	v_cndmask_b32_e64 v94, v95, v94, s4
	v_cmp_eq_u32_e64 s12, 1, v71
	v_fma_f32 v97, -v98, v101, v99
	v_cmp_eq_u32_e64 s17, 2, v71
	v_cmp_eq_u32_e64 s15, 3, v72
	v_cndmask_b32_e64 v94, v94, v96, s8
	v_cmp_eq_u32_e64 s19, 3, v71
	v_div_fmas_f32 v95, v97, v103, v101
	v_cmp_eq_u32_e32 vcc_lo, 3, v70
	v_cmp_eq_u32_e64 s4, 4, v70
	v_cmp_eq_u32_e64 s20, 4, v72
	;; [unrolled: 1-line block ×3, first 2 shown]
	v_div_fixup_f32 v95, v95, v74, 1.0
	v_lshlrev_b32_e32 v73, 6, v68
	v_cmp_eq_u32_e64 s7, 5, v70
	v_cmp_eq_u32_e64 s21, 5, v72
	v_cmp_eq_u32_e64 s25, 5, v71
	v_mul_f32_e32 v102, v94, v95
	v_lshl_or_b32 v75, v69, 11, v73
	v_or_b32_e32 v69, 2, v70
	v_cmp_eq_u32_e64 s26, 6, v72
	v_cmp_eq_u32_e64 s28, 6, v71
	v_fma_mixlo_f16 v94, v102, v79, 0
	v_fma_mixlo_f16 v95, v102, v81, 0
	;; [unrolled: 1-line block ×8, first 2 shown]
	v_lshl_or_b32 v74, v66, 4, v75
	v_fma_mixhi_f16 v94, v102, v78, 0
	v_fma_mixhi_f16 v95, v102, v80, 0
	;; [unrolled: 1-line block ×8, first 2 shown]
	ds_store_b128 v74, v[94:97]
	ds_store_b128 v74, v[98:101] offset:1024
	s_waitcnt lgkmcnt(0)
	s_barrier
	buffer_gl0_inv
	ds_load_b128 v[78:81], v75
	ds_load_b128 v[82:85], v75 offset:16
	ds_load_b128 v[86:89], v75 offset:1024
	;; [unrolled: 1-line block ×3, first 2 shown]
	v_cmp_eq_u32_e64 s11, 1, v69
	v_cmp_eq_u32_e64 s16, 2, v69
	;; [unrolled: 1-line block ×11, first 2 shown]
	s_waitcnt lgkmcnt(3)
	v_lshrrev_b32_e32 v94, 16, v78
	s_waitcnt lgkmcnt(2)
	v_lshrrev_b32_e32 v98, 16, v82
	;; [unrolled: 2-line block ×4, first 2 shown]
	v_lshrrev_b32_e32 v95, 16, v79
	v_cndmask_b32_e64 v110, v78, v94, s5
	v_cndmask_b32_e64 v111, v82, v98, s5
	;; [unrolled: 1-line block ×8, first 2 shown]
	v_lshrrev_b32_e32 v99, 16, v83
	v_cndmask_b32_e64 v94, v86, v102, s5
	v_cndmask_b32_e64 v98, v90, v106, s5
	;; [unrolled: 1-line block ×15, first 2 shown]
	v_lshrrev_b32_e32 v103, 16, v87
	v_lshrrev_b32_e32 v107, 16, v91
	v_cndmask_b32_e64 v113, v115, v83, s16
	v_cndmask_b32_e64 v82, v94, v87, s6
	;; [unrolled: 1-line block ×7, first 2 shown]
	v_cndmask_b32_e32 v90, v102, v95, vcc_lo
	v_cndmask_b32_e32 v102, v106, v99, vcc_lo
	v_cndmask_b32_e64 v106, v110, v95, s15
	v_cndmask_b32_e64 v110, v111, v99, s15
	;; [unrolled: 1-line block ×4, first 2 shown]
	v_lshrrev_b32_e32 v96, 16, v80
	v_lshrrev_b32_e32 v100, 16, v84
	v_cndmask_b32_e64 v111, v112, v95, s18
	v_cndmask_b32_e64 v112, v113, v99, s18
	v_cndmask_b32_e32 v82, v82, v103, vcc_lo
	v_cndmask_b32_e32 v83, v83, v107, vcc_lo
	v_cndmask_b32_e64 v94, v94, v103, s15
	v_cndmask_b32_e64 v90, v90, v80, s4
	;; [unrolled: 1-line block ×7, first 2 shown]
	v_lshrrev_b32_e32 v104, 16, v88
	v_cndmask_b32_e64 v106, v111, v80, s22
	v_cndmask_b32_e64 v110, v112, v84, s22
	;; [unrolled: 1-line block ×11, first 2 shown]
	v_lshrrev_b32_e32 v97, 16, v81
	v_lshrrev_b32_e32 v101, 16, v85
	v_cndmask_b32_e64 v99, v106, v96, s24
	v_cndmask_b32_e64 v102, v110, v100, s24
	;; [unrolled: 1-line block ×7, first 2 shown]
	v_lshrrev_b32_e32 v105, 16, v89
	v_cndmask_b32_e64 v80, v80, v104, s7
	v_cndmask_b32_e64 v84, v84, v81, s8
	;; [unrolled: 1-line block ×16, first 2 shown]
	v_perm_b32 v81, v79, v78, 0x5040100
	v_perm_b32 v79, v95, v85, 0x5040100
	v_cndmask_b32_e64 v78, v119, v91, s16
	v_cndmask_b32_e64 v85, v117, v91, s13
	;; [unrolled: 1-line block ×3, first 2 shown]
	v_perm_b32 v80, v94, v90, 0x5040100
	v_cndmask_b32_e64 v90, v98, v103, s18
	v_cndmask_b32_e64 v86, v86, v103, s19
	;; [unrolled: 1-line block ×5, first 2 shown]
	v_lshrrev_b32_e32 v108, 16, v92
	v_cndmask_b32_e64 v90, v90, v88, s22
	v_cndmask_b32_e64 v86, v86, v88, s23
	;; [unrolled: 1-line block ×11, first 2 shown]
	v_lshrrev_b32_e32 v109, 16, v93
	v_cndmask_b32_e64 v82, v82, v93, s8
	v_cndmask_b32_e64 v88, v88, v89, s27
	;; [unrolled: 1-line block ×12, first 2 shown]
	v_perm_b32 v78, v84, v83, 0x5040100
	v_perm_b32 v85, v87, v86, 0x5040100
	;; [unrolled: 1-line block ×5, first 2 shown]
	s_mul_i32 s9, s35, 3
	s_mov_b32 s4, exec_lo
	ds_store_b128 v74, v[78:81]
	ds_store_b128 v74, v[82:85] offset:1024
	v_cmpx_gt_u32_e32 3, v0
	s_cbranch_execz .LBB1136_14
; %bb.13:
	s_mul_i32 s5, s9, s34
	s_load_b128 s[16:19], s[0:1], 0x58
	v_add3_u32 v68, s5, s33, v68
	s_delay_alu instid0(VALU_DEP_1) | instskip(NEXT) | instid1(VALU_DEP_1)
	v_mad_u64_u32 v[78:79], null, v68, s36, s[14:15]
	v_ashrrev_i32_e32 v79, 31, v78
	s_delay_alu instid0(VALU_DEP_1) | instskip(SKIP_1) | instid1(VALU_DEP_1)
	v_lshlrev_b64 v[78:79], 2, v[78:79]
	s_waitcnt lgkmcnt(0)
	v_add_co_u32 v80, vcc_lo, s18, v78
	s_delay_alu instid0(VALU_DEP_2)
	v_add_co_ci_u32_e32 v81, vcc_lo, s19, v79, vcc_lo
	v_add_co_u32 v78, vcc_lo, s16, v78
	v_add_co_ci_u32_e32 v79, vcc_lo, s17, v79, vcc_lo
	global_store_b32 v[80:81], v76, off
	global_store_b32 v[78:79], v77, off
.LBB1136_14:
	s_or_b32 exec_lo, exec_lo, s4
	s_waitcnt lgkmcnt(0)
	s_waitcnt_vscnt null, 0x0
	s_barrier
	buffer_gl0_inv
	ds_load_b128 v[84:87], v73
	ds_load_b128 v[88:91], v73 offset:16
	ds_load_b128 v[96:99], v73 offset:2064
	;; [unrolled: 1-line block ×5, first 2 shown]
	v_cmp_eq_u32_e32 vcc_lo, 1, v70
	v_mov_b32_e32 v76, 0
	ds_load_b128 v[112:115], v73 offset:6160
	ds_load_b128 v[108:111], v73 offset:6144
	;; [unrolled: 1-line block ×4, first 2 shown]
	v_cmp_eq_u32_e64 s5, 1, v69
	v_cmp_eq_u32_e64 s4, 1, v72
	;; [unrolled: 1-line block ×3, first 2 shown]
	v_mov_b32_e32 v77, v76
	v_mov_b32_e32 v78, v76
	;; [unrolled: 1-line block ×7, first 2 shown]
	v_cmp_eq_u32_e64 s7, 3, v72
	v_cmp_eq_u32_e64 s8, 7, v72
	s_waitcnt lgkmcnt(8)
	s_delay_alu instid0(VALU_DEP_3)
	v_wmma_f32_16x16x16_f16 v[76:83], v[49:56], v[84:91], v[76:83]
	ds_load_b128 v[53:56], v73 offset:10256
	ds_load_b128 v[49:52], v73 offset:10240
	s_waitcnt lgkmcnt(8)
	v_wmma_f32_16x16x16_f16 v[76:83], v[41:48], v[92:99], v[76:83]
	ds_load_b128 v[45:48], v73 offset:12304
	ds_load_b128 v[41:44], v73 offset:12288
	s_waitcnt lgkmcnt(8)
	;; [unrolled: 4-line block ×3, first 2 shown]
	s_barrier
	buffer_gl0_inv
	v_wmma_f32_16x16x16_f16 v[76:83], v[1:8], v[108:115], v[76:83]
	s_delay_alu instid0(VALU_DEP_1) | instskip(NEXT) | instid1(VALU_DEP_1)
	v_wmma_f32_16x16x16_f16 v[76:83], v[9:16], v[116:123], v[76:83]
	v_wmma_f32_16x16x16_f16 v[76:83], v[17:24], v[49:56], v[76:83]
	s_delay_alu instid0(VALU_DEP_1) | instskip(NEXT) | instid1(VALU_DEP_1)
	v_wmma_f32_16x16x16_f16 v[76:83], v[25:32], v[41:48], v[76:83]
	v_wmma_f32_16x16x16_f16 v[76:83], v[57:64], v[33:40], v[76:83]
	s_delay_alu instid0(VALU_DEP_1) | instskip(NEXT) | instid1(VALU_DEP_2)
	v_cvt_f16_f32_e32 v1, v76
	v_cvt_f16_f32_e32 v2, v77
	s_delay_alu instid0(VALU_DEP_3) | instskip(NEXT) | instid1(VALU_DEP_4)
	v_cvt_f16_f32_e32 v3, v78
	v_cvt_f16_f32_e32 v4, v79
	;; [unrolled: 1-line block ×6, first 2 shown]
	v_pack_b32_f16 v1, v1, v2
	v_pack_b32_f16 v2, v3, v4
	;; [unrolled: 1-line block ×3, first 2 shown]
	s_delay_alu instid0(VALU_DEP_4)
	v_pack_b32_f16 v4, v7, v8
	ds_store_b128 v74, v[1:4]
	s_waitcnt lgkmcnt(0)
	s_barrier
	buffer_gl0_inv
	ds_load_b128 v[1:4], v75
	ds_load_b128 v[5:8], v75 offset:16
	s_waitcnt lgkmcnt(1)
	v_lshrrev_b32_e32 v9, 16, v1
	s_waitcnt lgkmcnt(0)
	v_lshrrev_b32_e32 v13, 16, v5
	v_lshrrev_b32_e32 v10, 16, v2
	;; [unrolled: 1-line block ×4, first 2 shown]
	v_cndmask_b32_e32 v17, v1, v9, vcc_lo
	v_cndmask_b32_e32 v18, v5, v13, vcc_lo
	v_cndmask_b32_e64 v21, v1, v9, s5
	v_cmp_eq_u32_e32 vcc_lo, 1, v71
	v_cndmask_b32_e64 v22, v5, v13, s5
	v_cmp_eq_u32_e64 s5, 2, v70
	v_cndmask_b32_e64 v19, v1, v9, s4
	v_cndmask_b32_e64 v20, v5, v13, s4
	v_cndmask_b32_e32 v1, v1, v9, vcc_lo
	v_cmp_eq_u32_e64 s4, 2, v71
	v_cndmask_b32_e32 v5, v5, v13, vcc_lo
	v_cndmask_b32_e64 v9, v17, v2, s5
	v_cmp_eq_u32_e32 vcc_lo, 3, v70
	v_cndmask_b32_e64 v13, v18, v6, s5
	v_cmp_eq_u32_e64 s5, 2, v69
	v_cndmask_b32_e64 v17, v19, v2, s6
	v_cndmask_b32_e64 v18, v20, v6, s6
	v_cmp_eq_u32_e64 s6, 3, v69
	v_cndmask_b32_e64 v1, v1, v2, s4
	v_cndmask_b32_e64 v19, v21, v2, s5
	;; [unrolled: 1-line block ×4, first 2 shown]
	v_cndmask_b32_e32 v5, v9, v10, vcc_lo
	v_cndmask_b32_e32 v6, v13, v14, vcc_lo
	v_cmp_eq_u32_e32 vcc_lo, 3, v71
	v_cndmask_b32_e64 v9, v17, v10, s7
	v_cndmask_b32_e64 v13, v18, v14, s7
	;; [unrolled: 1-line block ×3, first 2 shown]
	v_cmp_eq_u32_e64 s5, 4, v70
	v_cndmask_b32_e32 v1, v1, v10, vcc_lo
	v_cndmask_b32_e32 v2, v2, v14, vcc_lo
	v_cmp_eq_u32_e32 vcc_lo, 4, v72
	v_lshrrev_b32_e32 v15, 16, v7
	v_lshrrev_b32_e32 v16, 16, v8
	v_cndmask_b32_e64 v17, v19, v10, s6
	v_cmp_eq_u32_e64 s4, 4, v71
	v_cndmask_b32_e64 v5, v5, v3, s5
	v_cndmask_b32_e64 v6, v6, v7, s5
	v_cndmask_b32_e32 v9, v9, v3, vcc_lo
	v_cmp_eq_u32_e64 s5, 5, v72
	v_cndmask_b32_e32 v10, v13, v7, vcc_lo
	v_cmp_eq_u32_e32 vcc_lo, 4, v69
	v_cmp_eq_u32_e64 s6, 5, v70
	v_cndmask_b32_e64 v2, v2, v7, s4
	v_cndmask_b32_e64 v9, v9, v11, s5
	;; [unrolled: 1-line block ×3, first 2 shown]
	v_cndmask_b32_e32 v13, v17, v3, vcc_lo
	v_cmp_eq_u32_e64 s5, 5, v69
	v_cndmask_b32_e32 v14, v18, v7, vcc_lo
	v_cndmask_b32_e64 v1, v1, v3, s4
	v_cmp_eq_u32_e32 vcc_lo, 5, v71
	v_lshrrev_b32_e32 v12, 16, v4
	v_cndmask_b32_e64 v13, v13, v11, s5
	v_cndmask_b32_e64 v3, v14, v15, s5
	v_cmp_eq_u32_e64 s5, 6, v71
	v_cndmask_b32_e32 v1, v1, v11, vcc_lo
	v_cndmask_b32_e64 v5, v5, v11, s6
	v_cmp_eq_u32_e64 s7, 6, v70
	v_cndmask_b32_e64 v6, v6, v15, s6
	v_cmp_eq_u32_e64 s6, 6, v72
	v_cmp_eq_u32_e64 s4, 6, v69
	v_cndmask_b32_e64 v1, v1, v4, s5
	v_cndmask_b32_e32 v2, v2, v15, vcc_lo
	v_cmp_eq_u32_e32 vcc_lo, 7, v71
	v_cndmask_b32_e64 v5, v5, v4, s7
	v_cndmask_b32_e64 v9, v9, v4, s6
	;; [unrolled: 1-line block ×3, first 2 shown]
	v_cmp_eq_u32_e64 s7, 7, v70
	v_cndmask_b32_e32 v1, v1, v12, vcc_lo
	v_cndmask_b32_e64 v7, v13, v4, s4
	v_cndmask_b32_e64 v3, v3, v8, s4
	v_cndmask_b32_e64 v2, v2, v8, s5
	v_cmp_eq_u32_e64 s4, 7, v69
	v_cndmask_b32_e64 v4, v10, v8, s6
	v_cndmask_b32_e64 v5, v5, v12, s7
	;; [unrolled: 1-line block ×3, first 2 shown]
	v_cndmask_b32_e32 v2, v2, v16, vcc_lo
	v_cndmask_b32_e64 v7, v7, v12, s4
	v_cndmask_b32_e64 v3, v3, v16, s4
	;; [unrolled: 1-line block ×4, first 2 shown]
	v_cmp_gt_u32_e32 vcc_lo, 32, v0
	v_perm_b32 v4, v2, v1, 0x5040100
	v_perm_b32 v3, v3, v7, 0x5040100
	;; [unrolled: 1-line block ×4, first 2 shown]
	s_and_b32 s2, vcc_lo, s2
	ds_store_b128 v74, v[1:4]
	s_waitcnt lgkmcnt(0)
	s_barrier
	buffer_gl0_inv
	s_and_saveexec_b32 s4, s2
	s_cbranch_execz .LBB1136_2
; %bb.15:
	s_load_b64 s[4:5], s[0:1], 0x68
	v_lshlrev_b32_e32 v0, 10, v0
	v_lshlrev_b32_e32 v2, 4, v67
	v_add_nc_u32_e32 v1, s33, v66
	s_lshl_b32 s0, s36, 6
	s_delay_alu instid0(SALU_CYCLE_1) | instskip(NEXT) | instid1(VALU_DEP_2)
	s_mul_i32 s1, s0, s34
	v_and_or_b32 v0, 0x3800, v0, v2
	s_mul_i32 s6, s1, s9
	v_mul_lo_u32 v1, v1, s0
	s_ashr_i32 s7, s6, 31
	s_delay_alu instid0(VALU_DEP_2) | instskip(SKIP_1) | instid1(VALU_DEP_2)
	v_lshl_or_b32 v3, v66, 6, v0
	s_lshl_b64 s[6:7], s[6:7], 1
	v_ashrrev_i32_e32 v2, 31, v1
	ds_load_b128 v[3:6], v3
	s_waitcnt lgkmcnt(0)
	s_add_u32 s1, s4, s6
	s_addc_u32 s2, s5, s7
	s_lshl_b32 s4, s14, 6
	v_lshlrev_b64 v[7:8], 1, v[1:2]
	s_ashr_i32 s5, s4, 31
	s_delay_alu instid0(SALU_CYCLE_1) | instskip(NEXT) | instid1(SALU_CYCLE_1)
	s_lshl_b64 s[4:5], s[4:5], 1
	s_add_u32 s1, s1, s4
	s_addc_u32 s2, s2, s5
	v_add_co_u32 v1, s1, s1, v65
	s_delay_alu instid0(VALU_DEP_1) | instskip(NEXT) | instid1(VALU_DEP_2)
	v_add_co_ci_u32_e64 v2, null, s2, 0, s1
	v_add_co_u32 v7, vcc_lo, v1, v7
	s_delay_alu instid0(VALU_DEP_2)
	v_add_co_ci_u32_e32 v8, vcc_lo, v2, v8, vcc_lo
	global_store_b128 v[7:8], v[3:6], off
	s_and_b32 exec_lo, exec_lo, s3
	s_cbranch_execz .LBB1136_2
; %bb.16:
	ds_load_b128 v[3:6], v0 offset:128
	s_add_i32 s1, s33, 2
	s_delay_alu instid0(SALU_CYCLE_1) | instskip(NEXT) | instid1(SALU_CYCLE_1)
	s_mul_i32 s0, s1, s0
	s_ashr_i32 s1, s0, 31
	s_delay_alu instid0(SALU_CYCLE_1) | instskip(NEXT) | instid1(SALU_CYCLE_1)
	s_lshl_b64 s[0:1], s[0:1], 1
	v_add_co_u32 v0, vcc_lo, v1, s0
	v_add_co_ci_u32_e32 v1, vcc_lo, s1, v2, vcc_lo
	s_waitcnt lgkmcnt(0)
	global_store_b128 v[0:1], v[3:6], off
	s_nop 0
	s_sendmsg sendmsg(MSG_DEALLOC_VGPRS)
	s_endpgm
	.section	.rodata,"a",@progbits
	.p2align	6, 0x0
	.amdhsa_kernel _Z39paged_attention_ll4mi_QKV_mfma16_kernelIDF16_hLN4vllm18Fp8KVCacheDataTypeE1EDF16_Li16ELi64ELi256ELb1ELi3EL8MFMAType0EEvPKT_PKT0_S8_ifPKiSA_SA_iPKfiiiPfSD_PS3_PT2_iSC_SC_
		.amdhsa_group_segment_fixed_size 17472
		.amdhsa_private_segment_fixed_size 0
		.amdhsa_kernarg_size 400
		.amdhsa_user_sgpr_count 13
		.amdhsa_user_sgpr_dispatch_ptr 0
		.amdhsa_user_sgpr_queue_ptr 0
		.amdhsa_user_sgpr_kernarg_segment_ptr 1
		.amdhsa_user_sgpr_dispatch_id 0
		.amdhsa_user_sgpr_private_segment_size 0
		.amdhsa_wavefront_size32 1
		.amdhsa_uses_dynamic_stack 0
		.amdhsa_enable_private_segment 0
		.amdhsa_system_sgpr_workgroup_id_x 1
		.amdhsa_system_sgpr_workgroup_id_y 1
		.amdhsa_system_sgpr_workgroup_id_z 1
		.amdhsa_system_sgpr_workgroup_info 0
		.amdhsa_system_vgpr_workitem_id 0
		.amdhsa_next_free_vgpr 146
		.amdhsa_next_free_sgpr 37
		.amdhsa_reserve_vcc 1
		.amdhsa_float_round_mode_32 0
		.amdhsa_float_round_mode_16_64 0
		.amdhsa_float_denorm_mode_32 3
		.amdhsa_float_denorm_mode_16_64 3
		.amdhsa_dx10_clamp 1
		.amdhsa_ieee_mode 1
		.amdhsa_fp16_overflow 0
		.amdhsa_workgroup_processor_mode 1
		.amdhsa_memory_ordered 1
		.amdhsa_forward_progress 0
		.amdhsa_shared_vgpr_count 0
		.amdhsa_exception_fp_ieee_invalid_op 0
		.amdhsa_exception_fp_denorm_src 0
		.amdhsa_exception_fp_ieee_div_zero 0
		.amdhsa_exception_fp_ieee_overflow 0
		.amdhsa_exception_fp_ieee_underflow 0
		.amdhsa_exception_fp_ieee_inexact 0
		.amdhsa_exception_int_div_zero 0
	.end_amdhsa_kernel
	.section	.text._Z39paged_attention_ll4mi_QKV_mfma16_kernelIDF16_hLN4vllm18Fp8KVCacheDataTypeE1EDF16_Li16ELi64ELi256ELb1ELi3EL8MFMAType0EEvPKT_PKT0_S8_ifPKiSA_SA_iPKfiiiPfSD_PS3_PT2_iSC_SC_,"axG",@progbits,_Z39paged_attention_ll4mi_QKV_mfma16_kernelIDF16_hLN4vllm18Fp8KVCacheDataTypeE1EDF16_Li16ELi64ELi256ELb1ELi3EL8MFMAType0EEvPKT_PKT0_S8_ifPKiSA_SA_iPKfiiiPfSD_PS3_PT2_iSC_SC_,comdat
.Lfunc_end1136:
	.size	_Z39paged_attention_ll4mi_QKV_mfma16_kernelIDF16_hLN4vllm18Fp8KVCacheDataTypeE1EDF16_Li16ELi64ELi256ELb1ELi3EL8MFMAType0EEvPKT_PKT0_S8_ifPKiSA_SA_iPKfiiiPfSD_PS3_PT2_iSC_SC_, .Lfunc_end1136-_Z39paged_attention_ll4mi_QKV_mfma16_kernelIDF16_hLN4vllm18Fp8KVCacheDataTypeE1EDF16_Li16ELi64ELi256ELb1ELi3EL8MFMAType0EEvPKT_PKT0_S8_ifPKiSA_SA_iPKfiiiPfSD_PS3_PT2_iSC_SC_
                                        ; -- End function
	.section	.AMDGPU.csdata,"",@progbits
; Kernel info:
; codeLenInByte = 6428
; NumSgprs: 39
; NumVgprs: 146
; ScratchSize: 0
; MemoryBound: 0
; FloatMode: 240
; IeeeMode: 1
; LDSByteSize: 17472 bytes/workgroup (compile time only)
; SGPRBlocks: 4
; VGPRBlocks: 18
; NumSGPRsForWavesPerEU: 39
; NumVGPRsForWavesPerEU: 146
; Occupancy: 9
; WaveLimiterHint : 1
; COMPUTE_PGM_RSRC2:SCRATCH_EN: 0
; COMPUTE_PGM_RSRC2:USER_SGPR: 13
; COMPUTE_PGM_RSRC2:TRAP_HANDLER: 0
; COMPUTE_PGM_RSRC2:TGID_X_EN: 1
; COMPUTE_PGM_RSRC2:TGID_Y_EN: 1
; COMPUTE_PGM_RSRC2:TGID_Z_EN: 1
; COMPUTE_PGM_RSRC2:TIDIG_COMP_CNT: 0
	.section	.text._Z39paged_attention_ll4mi_QKV_mfma16_kernelIDF16_hLN4vllm18Fp8KVCacheDataTypeE1EDF16_Li16ELi64ELi256ELb1ELi4EL8MFMAType0EEvPKT_PKT0_S8_ifPKiSA_SA_iPKfiiiPfSD_PS3_PT2_iSC_SC_,"axG",@progbits,_Z39paged_attention_ll4mi_QKV_mfma16_kernelIDF16_hLN4vllm18Fp8KVCacheDataTypeE1EDF16_Li16ELi64ELi256ELb1ELi4EL8MFMAType0EEvPKT_PKT0_S8_ifPKiSA_SA_iPKfiiiPfSD_PS3_PT2_iSC_SC_,comdat
	.protected	_Z39paged_attention_ll4mi_QKV_mfma16_kernelIDF16_hLN4vllm18Fp8KVCacheDataTypeE1EDF16_Li16ELi64ELi256ELb1ELi4EL8MFMAType0EEvPKT_PKT0_S8_ifPKiSA_SA_iPKfiiiPfSD_PS3_PT2_iSC_SC_ ; -- Begin function _Z39paged_attention_ll4mi_QKV_mfma16_kernelIDF16_hLN4vllm18Fp8KVCacheDataTypeE1EDF16_Li16ELi64ELi256ELb1ELi4EL8MFMAType0EEvPKT_PKT0_S8_ifPKiSA_SA_iPKfiiiPfSD_PS3_PT2_iSC_SC_
	.globl	_Z39paged_attention_ll4mi_QKV_mfma16_kernelIDF16_hLN4vllm18Fp8KVCacheDataTypeE1EDF16_Li16ELi64ELi256ELb1ELi4EL8MFMAType0EEvPKT_PKT0_S8_ifPKiSA_SA_iPKfiiiPfSD_PS3_PT2_iSC_SC_
	.p2align	8
	.type	_Z39paged_attention_ll4mi_QKV_mfma16_kernelIDF16_hLN4vllm18Fp8KVCacheDataTypeE1EDF16_Li16ELi64ELi256ELb1ELi4EL8MFMAType0EEvPKT_PKT0_S8_ifPKiSA_SA_iPKfiiiPfSD_PS3_PT2_iSC_SC_,@function
_Z39paged_attention_ll4mi_QKV_mfma16_kernelIDF16_hLN4vllm18Fp8KVCacheDataTypeE1EDF16_Li16ELi64ELi256ELb1ELi4EL8MFMAType0EEvPKT_PKT0_S8_ifPKiSA_SA_iPKfiiiPfSD_PS3_PT2_iSC_SC_: ; @_Z39paged_attention_ll4mi_QKV_mfma16_kernelIDF16_hLN4vllm18Fp8KVCacheDataTypeE1EDF16_Li16ELi64ELi256ELb1ELi4EL8MFMAType0EEvPKT_PKT0_S8_ifPKiSA_SA_iPKfiiiPfSD_PS3_PT2_iSC_SC_
; %bb.0:
	s_load_b64 s[2:3], s[0:1], 0x30
	s_mov_b32 s34, s13
	s_waitcnt lgkmcnt(0)
	s_cmp_lg_u64 s[2:3], 0
	s_cselect_b32 s8, -1, 0
	s_ashr_i32 s35, s13, 31
	s_cmp_eq_u64 s[2:3], 0
	s_cbranch_scc1 .LBB1137_3
; %bb.1:
	s_lshl_b64 s[4:5], s[34:35], 2
	s_delay_alu instid0(SALU_CYCLE_1) | instskip(SKIP_4) | instid1(SALU_CYCLE_1)
	s_add_u32 s4, s2, s4
	s_addc_u32 s5, s3, s5
	s_load_b64 s[4:5], s[4:5], 0x0
	s_waitcnt lgkmcnt(0)
	s_sub_i32 s4, s5, s4
	s_cmp_eq_u32 s4, 1
	s_cselect_b32 s4, -1, 0
	s_delay_alu instid0(SALU_CYCLE_1)
	s_and_not1_b32 vcc_lo, exec_lo, s4
	s_cbranch_vccz .LBB1137_4
.LBB1137_2:
	s_endpgm
.LBB1137_3:
.LBB1137_4:
	s_load_b64 s[4:5], s[0:1], 0x28
	s_lshl_b64 s[6:7], s[34:35], 2
	s_waitcnt lgkmcnt(0)
	s_add_u32 s4, s4, s6
	s_addc_u32 s5, s5, s7
	s_lshl_b32 s12, s14, 8
	s_load_b32 s24, s[4:5], 0x0
	s_waitcnt lgkmcnt(0)
	s_cmp_ge_i32 s12, s24
	s_cbranch_scc1 .LBB1137_2
; %bb.5:
	s_clause 0x1
	s_load_b128 s[20:23], s[0:1], 0x8
	s_load_b64 s[4:5], s[0:1], 0x20
	s_and_not1_b32 vcc_lo, exec_lo, s8
	s_cbranch_vccnz .LBB1137_7
; %bb.6:
	s_add_u32 s2, s2, s6
	s_addc_u32 s3, s3, s7
	s_load_b32 s3, s[2:3], 0x0
	s_branch .LBB1137_8
.LBB1137_7:
	s_mov_b32 s3, s34
.LBB1137_8:
	s_load_b128 s[16:19], s[0:1], 0x48
	v_and_b32_e32 v69, 15, v0
	v_cmp_gt_u32_e32 vcc_lo, 64, v0
	v_lshrrev_b32_e32 v68, 5, v0
	v_and_b32_e32 v70, 31, v0
	v_and_b32_e32 v66, 1, v0
	v_lshlrev_b32_e32 v1, 3, v69
	v_cmp_gt_u32_e64 s2, 8, v69
	v_bfe_u32 v67, v0, 4, 1
	s_lshl_b32 s31, s15, 2
	s_delay_alu instid0(VALU_DEP_3) | instskip(NEXT) | instid1(VALU_DEP_3)
	v_lshlrev_b32_e32 v65, 1, v1
	s_and_b32 s7, vcc_lo, s2
	s_delay_alu instid0(SALU_CYCLE_1)
	s_and_saveexec_b32 s6, s7
	s_cbranch_execz .LBB1137_10
; %bb.9:
	v_lshl_or_b32 v5, v68, 1, v67
	s_load_b64 s[8:9], s[0:1], 0x0
	s_waitcnt lgkmcnt(0)
	s_mul_hi_i32 s11, s3, s16
	s_mul_i32 s10, s3, s16
	v_lshlrev_b32_e32 v6, 10, v69
	v_or_b32_e32 v1, s31, v5
	s_lshl_b64 s[10:11], s[10:11], 1
	v_lshlrev_b32_e32 v5, 6, v5
	v_lshlrev_b32_e32 v7, 10, v66
	v_and_b32_e32 v6, 0x3800, v6
	v_lshlrev_b32_e32 v1, 6, v1
	s_delay_alu instid0(VALU_DEP_2) | instskip(NEXT) | instid1(VALU_DEP_2)
	v_or3_b32 v5, v6, v7, v5
	v_ashrrev_i32_e32 v2, 31, v1
	s_delay_alu instid0(VALU_DEP_1) | instskip(SKIP_2) | instid1(VALU_DEP_1)
	v_lshlrev_b64 v[1:2], 1, v[1:2]
	s_add_u32 s3, s8, s10
	s_addc_u32 s7, s9, s11
	v_add_co_u32 v1, vcc_lo, s3, v1
	s_delay_alu instid0(VALU_DEP_2) | instskip(NEXT) | instid1(VALU_DEP_2)
	v_add_co_ci_u32_e32 v2, vcc_lo, s7, v2, vcc_lo
	v_add_co_u32 v1, vcc_lo, v1, v65
	s_delay_alu instid0(VALU_DEP_2)
	v_add_co_ci_u32_e32 v2, vcc_lo, 0, v2, vcc_lo
	global_load_b128 v[1:4], v[1:2], off
	s_waitcnt vmcnt(0)
	ds_store_b128 v5, v[1:4]
.LBB1137_10:
	s_or_b32 exec_lo, exec_lo, s6
	v_and_b32_e32 v1, 0xef, v0
	s_waitcnt lgkmcnt(0)
	s_add_i32 s3, s24, 15
	s_clause 0x1
	s_load_b32 s6, s[0:1], 0x38
	s_load_b32 s33, s[0:1], 0x98
	s_ashr_i32 s7, s3, 31
	v_add_nc_u32_e32 v1, s12, v1
	s_lshr_b32 s7, s7, 28
	s_load_b32 s19, s[0:1], 0x1c
	s_add_i32 s3, s3, s7
	s_waitcnt lgkmcnt(0)
	v_ashrrev_i32_e32 v2, 31, v1
	v_or_b32_e32 v3, 16, v1
	s_ashr_i32 s3, s3, 4
	v_cmp_gt_i32_e32 vcc_lo, s24, v1
	s_add_i32 s3, s3, -1
	v_lshrrev_b32_e32 v2, 28, v2
	s_barrier
	buffer_gl0_inv
	s_mul_i32 s27, s15, s18
	v_add_nc_u32_e32 v4, v1, v2
	s_mul_i32 s6, s34, s6
	s_delay_alu instid0(SALU_CYCLE_1) | instskip(NEXT) | instid1(VALU_DEP_1)
	s_ashr_i32 s7, s6, 31
	v_ashrrev_i32_e32 v4, 4, v4
	v_add_nc_u32_e32 v2, v3, v2
	s_lshl_b64 s[6:7], s[6:7], 2
	s_delay_alu instid0(SALU_CYCLE_1) | instskip(NEXT) | instid1(VALU_DEP_2)
	s_add_u32 s26, s4, s6
	v_cndmask_b32_e32 v1, s3, v4, vcc_lo
	s_delay_alu instid0(VALU_DEP_2)
	v_ashrrev_i32_e32 v2, 4, v2
	v_cmp_gt_i32_e32 vcc_lo, s24, v3
	s_addc_u32 s25, s5, s7
	s_ashr_i32 s28, s27, 31
	s_add_u32 s13, s20, s27
	s_addc_u32 s15, s21, s28
	v_cndmask_b32_e32 v3, s3, v2, vcc_lo
	v_ashrrev_i32_e32 v2, 31, v1
	s_lshl_b32 s4, s14, 4
	s_delay_alu instid0(SALU_CYCLE_1) | instskip(NEXT) | instid1(VALU_DEP_2)
	s_ashr_i32 s5, s4, 31
	v_ashrrev_i32_e32 v4, 31, v3
	s_delay_alu instid0(VALU_DEP_2) | instskip(SKIP_1) | instid1(SALU_CYCLE_1)
	v_lshlrev_b64 v[1:2], 2, v[1:2]
	s_lshl_b64 s[4:5], s[4:5], 2
	s_add_u32 s4, s26, s4
	s_delay_alu instid0(VALU_DEP_2) | instskip(SKIP_1) | instid1(VALU_DEP_2)
	v_lshlrev_b64 v[3:4], 2, v[3:4]
	s_addc_u32 s5, s25, s5
	v_add_co_u32 v1, vcc_lo, s26, v1
	v_add_co_ci_u32_e32 v2, vcc_lo, s25, v2, vcc_lo
	s_delay_alu instid0(VALU_DEP_3) | instskip(NEXT) | instid1(VALU_DEP_4)
	v_add_co_u32 v3, vcc_lo, s26, v3
	v_add_co_ci_u32_e32 v4, vcc_lo, s25, v4, vcc_lo
	s_clause 0x1
	global_load_b32 v5, v[1:2], off
	global_load_b32 v7, v[3:4], off
	s_or_b32 s6, s12, 32
	v_lshlrev_b32_e32 v1, 4, v0
	s_ashr_i32 s7, s6, 4
	s_cmp_lt_i32 s6, s24
	s_cselect_b32 s6, s7, s3
	s_delay_alu instid0(VALU_DEP_1) | instskip(SKIP_1) | instid1(SALU_CYCLE_1)
	v_and_b32_e32 v1, 0xf0, v1
	s_ashr_i32 s7, s6, 31
	s_lshl_b64 s[6:7], s[6:7], 2
	s_delay_alu instid0(SALU_CYCLE_1)
	s_add_u32 s6, s26, s6
	s_addc_u32 s7, s25, s7
	s_or_b32 s8, s12, 64
	v_add_co_u32 v1, s13, s13, v1
	s_ashr_i32 s9, s8, 4
	s_cmp_lt_i32 s8, s24
	v_add_co_ci_u32_e64 v2, null, s15, 0, s13
	s_cselect_b32 s8, s9, s3
	s_delay_alu instid0(SALU_CYCLE_1) | instskip(NEXT) | instid1(SALU_CYCLE_1)
	s_ashr_i32 s9, s8, 31
	s_lshl_b64 s[8:9], s[8:9], 2
	s_delay_alu instid0(SALU_CYCLE_1) | instskip(SKIP_2) | instid1(SALU_CYCLE_1)
	s_add_u32 s8, s26, s8
	s_addc_u32 s9, s25, s9
	s_or_b32 s10, s12, 0x60
	s_ashr_i32 s11, s10, 4
	s_cmp_lt_i32 s10, s24
	s_cselect_b32 s10, s11, s3
	s_delay_alu instid0(SALU_CYCLE_1) | instskip(NEXT) | instid1(SALU_CYCLE_1)
	s_ashr_i32 s11, s10, 31
	s_lshl_b64 s[10:11], s[10:11], 2
	s_delay_alu instid0(SALU_CYCLE_1) | instskip(SKIP_2) | instid1(SALU_CYCLE_1)
	s_add_u32 s10, s26, s10
	s_addc_u32 s11, s25, s11
	s_or_b32 s16, s12, 0x80
	s_ashr_i32 s18, s16, 4
	s_cmp_lt_i32 s16, s24
	;; [unrolled: 10-line block ×3, first 2 shown]
	s_cselect_b32 s20, s18, s3
	s_delay_alu instid0(SALU_CYCLE_1) | instskip(NEXT) | instid1(SALU_CYCLE_1)
	s_ashr_i32 s21, s20, 31
	s_lshl_b64 s[20:21], s[20:21], 2
	s_delay_alu instid0(SALU_CYCLE_1)
	s_add_u32 s38, s26, s20
	s_addc_u32 s39, s25, s21
	s_clause 0x5
	s_load_b32 s21, s[4:5], 0x0
	s_load_b32 s13, s[6:7], 0x0
	;; [unrolled: 1-line block ×6, first 2 shown]
	s_or_b32 s7, s12, 0xc0
	s_mov_b32 s4, 0
	s_ashr_i32 s8, s7, 4
	s_cmp_lt_i32 s7, s24
	s_mov_b32 s5, s4
	s_cselect_b32 s10, s8, s3
	s_mov_b32 s6, s4
	s_ashr_i32 s11, s10, 31
	s_mov_b32 s7, s4
	s_lshl_b64 s[36:37], s[10:11], 2
	s_mov_b32 s11, s4
	s_add_u32 s36, s26, s36
	s_addc_u32 s37, s25, s37
	s_or_b32 s29, s12, 0xe0
	s_mov_b32 s8, s4
	s_ashr_i32 s30, s29, 4
	s_mov_b32 s9, s4
	s_mov_b32 s10, s4
	s_cmp_lt_i32 s29, s24
	v_mov_b32_e32 v102, s11
	v_dual_mov_b32 v96, s5 :: v_dual_mov_b32 v101, s10
	v_dual_mov_b32 v100, s9 :: v_dual_mov_b32 v99, s8
	;; [unrolled: 1-line block ×3, first 2 shown]
	v_mov_b32_e32 v95, s4
	s_cselect_b32 s4, s30, s3
	s_delay_alu instid0(SALU_CYCLE_1) | instskip(NEXT) | instid1(SALU_CYCLE_1)
	s_ashr_i32 s5, s4, 31
	s_lshl_b64 s[4:5], s[4:5], 2
	s_delay_alu instid0(SALU_CYCLE_1)
	s_add_u32 s4, s26, s4
	s_addc_u32 s5, s25, s5
	s_add_u32 s6, s22, s27
	s_addc_u32 s7, s23, s28
	s_waitcnt vmcnt(1)
	v_mad_i64_i32 v[3:4], null, v5, s17, v[1:2]
	s_waitcnt vmcnt(0)
	v_mad_i64_i32 v[5:6], null, v7, s17, v[1:2]
	v_and_b32_e32 v1, 3, v0
	v_lshlrev_b32_e32 v2, 4, v69
	s_clause 0x7
	global_load_b128 v[57:60], v[3:4], off
	global_load_b128 v[61:64], v[3:4], off offset:256
	global_load_b128 v[71:74], v[5:6], off
	global_load_b128 v[75:78], v[5:6], off offset:256
	global_load_b128 v[79:82], v[3:4], off offset:512
	global_load_b128 v[83:86], v[3:4], off offset:768
	global_load_b128 v[87:90], v[5:6], off offset:512
	global_load_b128 v[91:94], v[5:6], off offset:768
	v_lshlrev_b32_e32 v121, 6, v1
	v_lshl_or_b32 v1, v68, 8, v2
	s_load_b32 s3, s[36:37], 0x0
	ds_load_b128 v[103:106], v121
	ds_load_b128 v[107:110], v121 offset:1024
	s_load_b32 s4, s[4:5], 0x0
	v_add_co_u32 v17, s6, s6, v1
	s_delay_alu instid0(VALU_DEP_1) | instskip(SKIP_1) | instid1(VALU_DEP_1)
	v_add_co_ci_u32_e64 v18, null, s7, 0, s6
	s_waitcnt lgkmcnt(0)
	v_mad_i64_i32 v[1:2], null, s21, s17, v[17:18]
	v_mad_i64_i32 v[3:4], null, s13, s17, v[17:18]
	;; [unrolled: 1-line block ×7, first 2 shown]
	s_clause 0x9
	global_load_b128 v[49:52], v[1:2], off
	global_load_b128 v[53:56], v[1:2], off offset:16
	global_load_b128 v[41:44], v[3:4], off
	global_load_b128 v[45:48], v[3:4], off offset:16
	;; [unrolled: 2-line block ×5, first 2 shown]
	v_mad_i64_i32 v[119:120], null, s4, s17, v[17:18]
	s_clause 0x3
	global_load_b128 v[17:20], v[21:22], off
	global_load_b128 v[21:24], v[21:22], off offset:16
	global_load_b128 v[25:28], v[29:30], off
	global_load_b128 v[29:32], v[29:30], off offset:16
	s_waitcnt vmcnt(20)
	v_wmma_f32_16x16x16_f16 v[111:118], v[57:64], v[103:110], v[95:102]
	s_clause 0x1
	global_load_b128 v[57:60], v[119:120], off
	global_load_b128 v[61:64], v[119:120], off offset:16
	s_waitcnt vmcnt(20)
	v_wmma_f32_16x16x16_f16 v[95:102], v[71:78], v[103:110], v[95:102]
	ds_load_b128 v[71:74], v121 offset:2048
	ds_load_b128 v[75:78], v121 offset:3072
	v_mbcnt_lo_u32_b32 v104, -1, 0
	s_waitcnt vmcnt(0) lgkmcnt(0)
	s_barrier
	buffer_gl0_inv
	v_xor_b32_e32 v105, 16, v104
	s_delay_alu instid0(VALU_DEP_1) | instskip(SKIP_4) | instid1(VALU_DEP_2)
	v_cmp_gt_i32_e32 vcc_lo, 32, v105
	v_cndmask_b32_e32 v104, v104, v105, vcc_lo
	v_wmma_f32_16x16x16_f16 v[95:102], v[87:94], v[71:78], v[95:102]
	v_and_b32_e32 v103, 0xe0, v0
	v_wmma_f32_16x16x16_f16 v[111:118], v[79:86], v[71:78], v[111:118]
	v_dual_mul_f32 v90, s19, v101 :: v_dual_add_nc_u32 v103, s12, v103
	s_delay_alu instid0(VALU_DEP_2) | instskip(NEXT) | instid1(VALU_DEP_3)
	v_dual_mul_f32 v94, s19, v97 :: v_dual_mul_f32 v87, s19, v112
	v_dual_mul_f32 v88, s19, v111 :: v_dual_mul_f32 v77, s19, v114
	s_delay_alu instid0(VALU_DEP_3) | instskip(SKIP_3) | instid1(VALU_DEP_4)
	v_or_b32_e32 v103, v103, v67
	v_dual_mul_f32 v78, s19, v113 :: v_dual_mul_f32 v75, s19, v116
	v_dual_mul_f32 v76, s19, v115 :: v_dual_mul_f32 v73, s19, v118
	v_mul_f32_e32 v92, s19, v99
	v_or_b32_e32 v105, 2, v103
	v_or_b32_e32 v106, 4, v103
	;; [unrolled: 1-line block ×3, first 2 shown]
	v_cmp_gt_i32_e64 s3, s24, v103
	v_or_b32_e32 v108, 8, v103
	v_cmp_gt_i32_e32 vcc_lo, s24, v105
	v_or_b32_e32 v109, 10, v103
	v_cmp_gt_i32_e64 s4, s24, v106
	v_cndmask_b32_e64 v88, 0xff7fffff, v88, s3
	v_cmp_gt_i32_e64 s5, s24, v107
	v_cndmask_b32_e32 v87, 0xff7fffff, v87, vcc_lo
	v_or_b32_e32 v79, 12, v103
	v_or_b32_e32 v80, 14, v103
	v_cndmask_b32_e64 v78, 0xff7fffff, v78, s4
	v_cndmask_b32_e64 v77, 0xff7fffff, v77, s5
	v_max3_f32 v87, v88, 0xff7fffff, v87
	v_cmp_gt_i32_e64 s6, s24, v108
	v_cmp_gt_i32_e64 s7, s24, v109
	v_or_b32_e32 v81, 16, v103
	v_or_b32_e32 v82, 18, v103
	v_mul_f32_e32 v74, s19, v117
	v_cndmask_b32_e64 v76, 0xff7fffff, v76, s6
	v_cndmask_b32_e64 v75, 0xff7fffff, v75, s7
	v_max3_f32 v77, v87, v78, v77
	v_cmp_gt_i32_e64 s8, s24, v79
	v_cmp_gt_i32_e64 s9, s24, v80
	v_or_b32_e32 v83, 20, v103
	v_or_b32_e32 v84, 22, v103
	;; [unrolled: 1-line block ×6, first 2 shown]
	v_mul_f32_e32 v105, s19, v96
	v_mul_f32_e32 v103, s19, v95
	v_cndmask_b32_e64 v74, 0xff7fffff, v74, s8
	v_cndmask_b32_e64 v73, 0xff7fffff, v73, s9
	v_max3_f32 v75, v77, v76, v75
	v_cmp_gt_i32_e64 s10, s24, v81
	v_cmp_gt_i32_e64 s11, s24, v82
	v_mul_f32_e32 v93, s19, v98
	v_cmp_gt_i32_e64 s12, s24, v83
	v_max3_f32 v73, v75, v74, v73
	v_cndmask_b32_e64 v76, 0xff7fffff, v103, s10
	v_cndmask_b32_e64 v77, 0xff7fffff, v105, s11
	v_cmp_gt_i32_e64 s13, s24, v84
	v_mul_f32_e32 v91, s19, v100
	v_cndmask_b32_e64 v74, 0xff7fffff, v94, s12
	v_cmp_gt_i32_e64 s15, s24, v85
	v_max3_f32 v73, v73, v76, v77
	v_cndmask_b32_e64 v75, 0xff7fffff, v93, s13
	v_cmp_gt_i32_e64 s16, s24, v86
	v_mul_f32_e32 v89, s19, v102
	v_cndmask_b32_e64 v76, 0xff7fffff, v92, s15
	v_cmp_gt_i32_e64 s17, s24, v71
	v_max3_f32 v73, v73, v74, v75
	v_cndmask_b32_e64 v77, 0xff7fffff, v91, s16
	v_cmp_gt_i32_e64 s18, s24, v72
	v_lshlrev_b32_e32 v74, 2, v104
	v_cndmask_b32_e64 v71, 0xff7fffff, v90, s17
	s_delay_alu instid0(VALU_DEP_4) | instskip(NEXT) | instid1(VALU_DEP_4)
	v_max3_f32 v73, v73, v76, v77
	v_cndmask_b32_e64 v72, 0xff7fffff, v89, s18
	s_delay_alu instid0(VALU_DEP_1) | instskip(SKIP_3) | instid1(VALU_DEP_1)
	v_max3_f32 v71, v73, v71, v72
	ds_bpermute_b32 v72, v74, v71
	s_waitcnt lgkmcnt(0)
	v_max_f32_e32 v72, v72, v72
	v_max_f32_e32 v71, v71, v72
	s_delay_alu instid0(VALU_DEP_1)
	v_fma_f32 v72, s19, v111, -v71
	v_fma_f32 v76, s19, v114, -v71
	;; [unrolled: 1-line block ×5, first 2 shown]
	v_mul_f32_e32 v72, 0x3fb8aa3b, v72
	v_mul_f32_e32 v76, 0x3fb8aa3b, v76
	v_fma_f32 v75, s19, v113, -v71
	v_mul_f32_e32 v79, 0x3fb8aa3b, v77
	v_mul_f32_e32 v87, 0x3fb8aa3b, v86
	v_exp_f32_e32 v72, v72
	v_exp_f32_e32 v76, v76
	v_fma_f32 v81, s19, v117, -v71
	v_exp_f32_e32 v82, v79
	v_exp_f32_e32 v87, v87
	v_fma_f32 v84, s19, v96, -v71
	s_delay_alu instid0(VALU_DEP_2) | instskip(SKIP_3) | instid1(TRANS32_DEP_3)
	v_mul_f32_e32 v81, 0x3fb8aa3b, v81
	v_cndmask_b32_e64 v78, 0, v72, s3
	v_fma_f32 v72, s19, v116, -v71
	v_mul_f32_e32 v73, 0x3fb8aa3b, v73
	v_cndmask_b32_e64 v79, 0, v76, s5
	v_fma_f32 v76, s19, v95, -v71
	s_delay_alu instid0(VALU_DEP_4) | instskip(NEXT) | instid1(VALU_DEP_4)
	v_dual_mul_f32 v75, 0x3fb8aa3b, v75 :: v_dual_mul_f32 v72, 0x3fb8aa3b, v72
	v_exp_f32_e32 v73, v73
	v_cndmask_b32_e64 v87, 0, v87, s13
	s_delay_alu instid0(VALU_DEP_3) | instskip(NEXT) | instid1(VALU_DEP_3)
	v_mul_f32_e32 v76, 0x3fb8aa3b, v76
	v_exp_f32_e32 v75, v75
	v_exp_f32_e32 v72, v72
	;; [unrolled: 1-line block ×3, first 2 shown]
	v_cndmask_b32_e64 v82, 0, v82, s6
	v_mul_f32_e32 v85, 0x3fb8aa3b, v84
	v_exp_f32_e32 v76, v76
	s_mov_b32 s3, exec_lo
	v_cndmask_b32_e32 v77, 0, v73, vcc_lo
	v_add_f32_e32 v73, 0, v78
	v_exp_f32_e32 v85, v85
	v_cndmask_b32_e64 v80, 0, v75, s4
	v_fma_f32 v75, s19, v118, -v71
	v_cndmask_b32_e64 v81, 0, v72, s7
	v_add_f32_e32 v73, v73, v77
	v_cndmask_b32_e64 v84, 0, v83, s8
	v_cndmask_b32_e64 v86, 0, v76, s10
	v_mul_f32_e32 v75, 0x3fb8aa3b, v75
	s_delay_alu instid0(VALU_DEP_4) | instskip(NEXT) | instid1(TRANS32_DEP_1)
	v_add_f32_e32 v73, v73, v80
	v_cndmask_b32_e64 v85, 0, v85, s11
	s_delay_alu instid0(VALU_DEP_3) | instskip(NEXT) | instid1(VALU_DEP_2)
	v_exp_f32_e32 v75, v75
	v_add_f32_e32 v73, v73, v79
	s_delay_alu instid0(VALU_DEP_1) | instskip(SKIP_3) | instid1(VALU_DEP_1)
	v_add_f32_e32 v72, v73, v82
	s_waitcnt_depctr 0xfff
	v_cndmask_b32_e64 v83, 0, v75, s9
	v_add_f32_e32 v72, v72, v81
	v_add_f32_e32 v72, v72, v84
	s_delay_alu instid0(VALU_DEP_1) | instskip(NEXT) | instid1(VALU_DEP_1)
	v_add_f32_e32 v72, v72, v83
	v_add_f32_e32 v72, v72, v86
	s_delay_alu instid0(VALU_DEP_1) | instskip(SKIP_4) | instid1(VALU_DEP_4)
	v_add_f32_e32 v72, v72, v85
	v_fma_f32 v73, s19, v97, -v71
	v_fma_f32 v75, s19, v99, -v71
	;; [unrolled: 1-line block ×4, first 2 shown]
	v_mul_f32_e32 v73, 0x3fb8aa3b, v73
	s_delay_alu instid0(VALU_DEP_3) | instskip(NEXT) | instid1(VALU_DEP_2)
	v_dual_mul_f32 v75, 0x3fb8aa3b, v75 :: v_dual_mul_f32 v76, 0x3fb8aa3b, v76
	v_exp_f32_e32 v73, v73
	s_delay_alu instid0(VALU_DEP_1) | instskip(NEXT) | instid1(VALU_DEP_1)
	v_exp_f32_e32 v75, v75
	v_exp_f32_e32 v76, v76
	s_delay_alu instid0(TRANS32_DEP_3)
	v_cndmask_b32_e64 v88, 0, v73, s12
	v_mul_f32_e32 v73, 0x3fb8aa3b, v89
	v_fma_f32 v89, s19, v102, -v71
	s_waitcnt_depctr 0xfff
	v_cndmask_b32_e64 v90, 0, v75, s15
	v_add_f32_e32 v72, v72, v88
	v_exp_f32_e32 v73, v73
	v_mul_f32_e32 v75, 0x3fb8aa3b, v89
	v_cndmask_b32_e64 v89, 0, v76, s16
	s_delay_alu instid0(VALU_DEP_3) | instskip(NEXT) | instid1(VALU_DEP_3)
	v_add_f32_e32 v72, v72, v87
	v_exp_f32_e32 v75, v75
	s_delay_alu instid0(VALU_DEP_1) | instskip(SKIP_4) | instid1(VALU_DEP_2)
	v_add_f32_e32 v72, v72, v90
	s_waitcnt_depctr 0xfff
	v_cndmask_b32_e64 v92, 0, v73, s17
	v_add_f32_e32 v72, v72, v89
	v_cndmask_b32_e64 v91, 0, v75, s18
	v_add_f32_e32 v72, v72, v92
	s_delay_alu instid0(VALU_DEP_1)
	v_add_f32_e32 v72, v72, v91
	ds_bpermute_b32 v73, v74, v72
	v_cmpx_gt_u32_e32 16, v70
	s_cbranch_execz .LBB1137_12
; %bb.11:
	v_mul_u32_u24_e32 v70, 0x44, v68
	s_waitcnt lgkmcnt(0)
	v_add_f32_e32 v72, v72, v73
	s_delay_alu instid0(VALU_DEP_2) | instskip(NEXT) | instid1(VALU_DEP_1)
	v_lshl_add_u32 v70, v69, 2, v70
	v_add_nc_u32_e32 v70, 0x4000, v70
	ds_store_2addr_b32 v70, v71, v72 offset1:136
.LBB1137_12:
	s_or_b32 exec_lo, exec_lo, s3
	v_lshlrev_b32_e32 v70, 2, v69
	s_load_b32 s35, s[0:1], 0x94
	s_waitcnt lgkmcnt(0)
	s_barrier
	buffer_gl0_inv
	v_add_nc_u32_e32 v74, 0x4000, v70
	v_cmp_eq_u32_e32 vcc_lo, 1, v68
	v_cmp_eq_u32_e64 s3, 2, v68
	v_cmp_eq_u32_e64 s4, 3, v68
	;; [unrolled: 1-line block ×3, first 2 shown]
	ds_load_2addr_b32 v[70:71], v74 offset1:17
	ds_load_2addr_b32 v[72:73], v74 offset0:34 offset1:51
	ds_load_2addr_b32 v[93:94], v74 offset0:68 offset1:85
	;; [unrolled: 1-line block ×3, first 2 shown]
	v_cmp_eq_u32_e64 s6, 5, v68
	v_cmp_eq_u32_e64 s7, 7, v68
	s_waitcnt lgkmcnt(3)
	v_max3_f32 v75, v70, 0xff7fffff, v71
	s_waitcnt lgkmcnt(2)
	s_delay_alu instid0(VALU_DEP_1) | instskip(SKIP_1) | instid1(VALU_DEP_1)
	v_max3_f32 v75, v75, v72, v73
	s_waitcnt lgkmcnt(1)
	v_max3_f32 v75, v75, v93, v94
	s_waitcnt lgkmcnt(0)
	s_delay_alu instid0(VALU_DEP_1) | instskip(NEXT) | instid1(VALU_DEP_1)
	v_max3_f32 v75, v75, v95, v96
	v_sub_f32_e32 v93, v93, v75
	ds_load_2addr_b32 v[97:98], v74 offset0:136 offset1:153
	v_sub_f32_e32 v70, v70, v75
	v_dual_sub_f32 v100, v73, v75 :: v_dual_mul_f32 v103, 0x3fb8aa3b, v93
	s_delay_alu instid0(VALU_DEP_2) | instskip(SKIP_3) | instid1(VALU_DEP_1)
	v_dual_sub_f32 v76, v71, v75 :: v_dual_mul_f32 v99, 0x3fb8aa3b, v70
	ds_load_2addr_b32 v[70:71], v74 offset0:170 offset1:187
	v_mul_f32_e32 v76, 0x3fb8aa3b, v76
	v_exp_f32_e32 v99, v99
	v_exp_f32_e32 v102, v76
	v_mul_f32_e32 v100, 0x3fb8aa3b, v100
	s_waitcnt lgkmcnt(1)
	s_waitcnt_depctr 0xfff
	v_fma_f32 v76, v99, v97, 0
	v_sub_f32_e32 v97, v94, v75
	v_sub_f32_e32 v72, v72, v75
	v_exp_f32_e32 v100, v100
	ds_load_2addr_b32 v[93:94], v74 offset0:238 offset1:255
	v_dual_fmac_f32 v76, v102, v98 :: v_dual_mul_f32 v101, 0x3fb8aa3b, v72
	ds_load_2addr_b32 v[72:73], v74 offset0:204 offset1:221
	v_dual_sub_f32 v74, v95, v75 :: v_dual_mul_f32 v95, 0x3fb8aa3b, v97
	v_exp_f32_e32 v97, v103
	v_exp_f32_e32 v101, v101
	s_waitcnt lgkmcnt(0)
	s_delay_alu instid0(VALU_DEP_1)
	v_mul_f32_e32 v74, 0x3fb8aa3b, v74
	v_exp_f32_e32 v95, v95
	s_barrier
	buffer_gl0_inv
	v_fmac_f32_e32 v76, v101, v70
	v_sub_f32_e32 v70, v96, v75
	v_exp_f32_e32 v96, v74
	s_delay_alu instid0(VALU_DEP_2) | instskip(NEXT) | instid1(VALU_DEP_2)
	v_fmac_f32_e32 v76, v100, v71
	v_mul_f32_e32 v70, 0x3fb8aa3b, v70
	s_delay_alu instid0(VALU_DEP_2) | instskip(NEXT) | instid1(VALU_DEP_2)
	v_dual_cndmask_b32 v71, v99, v102 :: v_dual_fmac_f32 v76, v97, v72
	v_exp_f32_e32 v98, v70
	v_lshlrev_b32_e32 v72, 6, v69
	s_delay_alu instid0(VALU_DEP_2) | instskip(NEXT) | instid1(VALU_DEP_2)
	v_dual_fmac_f32 v76, v95, v73 :: v_dual_lshlrev_b32 v69, 2, v67
	v_lshl_or_b32 v74, v68, 11, v72
	s_delay_alu instid0(VALU_DEP_2)
	v_cmp_eq_u32_e64 s8, 7, v69
	s_delay_alu instid0(TRANS32_DEP_2) | instid1(VALU_DEP_3)
	v_fmac_f32_e32 v76, v96, v93
	s_waitcnt_depctr 0xfff
	v_fmac_f32_e32 v76, v98, v94
	s_delay_alu instid0(VALU_DEP_1) | instskip(NEXT) | instid1(VALU_DEP_1)
	v_add_f32_e32 v73, 0x358637bd, v76
	v_div_scale_f32 v93, null, v73, v73, 1.0
	v_div_scale_f32 v99, vcc_lo, 1.0, v73, 1.0
	s_delay_alu instid0(VALU_DEP_2) | instskip(SKIP_2) | instid1(VALU_DEP_1)
	v_rcp_f32_e32 v94, v93
	s_waitcnt_depctr 0xfff
	v_fma_f32 v70, -v93, v94, 1.0
	v_fmac_f32_e32 v94, v70, v94
	v_cndmask_b32_e64 v70, v71, v101, s3
	v_cmp_eq_u32_e64 s3, 6, v68
	v_or_b32_e32 v71, 1, v69
	v_or_b32_e32 v68, 2, v69
	v_mul_f32_e32 v101, v99, v94
	v_cndmask_b32_e64 v70, v70, v100, s4
	v_cmp_eq_u32_e64 s4, 1, v69
	v_cmp_eq_u32_e64 s9, 1, v71
	;; [unrolled: 1-line block ×3, first 2 shown]
	v_fma_f32 v100, -v93, v101, v99
	v_cndmask_b32_e64 v70, v70, v97, s5
	v_cmp_eq_u32_e64 s5, 2, v69
	v_cmp_eq_u32_e64 s12, 2, v71
	;; [unrolled: 1-line block ×3, first 2 shown]
	v_fmac_f32_e32 v101, v100, v94
	v_cndmask_b32_e64 v95, v70, v95, s6
	v_or_b32_e32 v70, 3, v69
	v_cmp_eq_u32_e64 s13, 3, v71
	v_cmp_eq_u32_e64 s17, 3, v68
	v_fma_f32 v93, -v93, v101, v99
	v_cndmask_b32_e64 v95, v95, v96, s3
	v_cmp_eq_u32_e64 s11, 1, v70
	v_cmp_eq_u32_e64 s16, 2, v70
	;; [unrolled: 1-line block ×3, first 2 shown]
	v_div_fmas_f32 v93, v93, v94, v101
	v_cndmask_b32_e64 v94, v95, v98, s7
	v_cmp_eq_u32_e32 vcc_lo, 3, v69
	v_cmp_eq_u32_e64 s3, 4, v69
	v_cmp_eq_u32_e64 s19, 4, v71
	v_div_fixup_f32 v93, v93, v73, 1.0
	v_lshl_or_b32 v73, v67, 4, v74
	v_cmp_eq_u32_e64 s22, 4, v70
	v_cmp_eq_u32_e64 s6, 5, v69
	;; [unrolled: 1-line block ×3, first 2 shown]
	v_mul_f32_e32 v101, v94, v93
	v_cmp_eq_u32_e64 s21, 4, v68
	v_cmp_eq_u32_e64 s24, 5, v70
	;; [unrolled: 1-line block ×4, first 2 shown]
	v_fma_mixlo_f16 v93, v101, v78, 0
	v_fma_mixlo_f16 v94, v101, v80, 0
	;; [unrolled: 1-line block ×8, first 2 shown]
	v_fma_mixhi_f16 v93, v101, v77, 0
	v_fma_mixhi_f16 v94, v101, v79, 0
	;; [unrolled: 1-line block ×8, first 2 shown]
	ds_store_b128 v73, v[93:96]
	ds_store_b128 v73, v[97:100] offset:1024
	s_waitcnt lgkmcnt(0)
	s_barrier
	buffer_gl0_inv
	ds_load_b128 v[77:80], v74
	ds_load_b128 v[81:84], v74 offset:16
	ds_load_b128 v[85:88], v74 offset:1024
	ds_load_b128 v[89:92], v74 offset:1040
	v_cmp_eq_u32_e64 s27, 6, v70
	v_cmp_eq_u32_e64 s7, 6, v69
	;; [unrolled: 1-line block ×6, first 2 shown]
	s_waitcnt lgkmcnt(3)
	v_lshrrev_b32_e32 v93, 16, v77
	s_waitcnt lgkmcnt(2)
	v_lshrrev_b32_e32 v97, 16, v81
	s_waitcnt lgkmcnt(1)
	v_lshrrev_b32_e32 v101, 16, v85
	s_waitcnt lgkmcnt(0)
	v_lshrrev_b32_e32 v105, 16, v89
	v_lshrrev_b32_e32 v94, 16, v78
	v_cndmask_b32_e64 v109, v77, v93, s4
	v_cndmask_b32_e64 v110, v81, v97, s4
	;; [unrolled: 1-line block ×8, first 2 shown]
	v_lshrrev_b32_e32 v98, 16, v82
	v_cndmask_b32_e64 v93, v85, v101, s4
	v_cndmask_b32_e64 v97, v89, v105, s4
	;; [unrolled: 1-line block ×15, first 2 shown]
	v_lshrrev_b32_e32 v102, 16, v86
	v_lshrrev_b32_e32 v106, 16, v90
	v_cndmask_b32_e64 v112, v114, v82, s15
	v_cndmask_b32_e64 v81, v93, v86, s5
	;; [unrolled: 1-line block ×7, first 2 shown]
	v_cndmask_b32_e32 v89, v101, v94, vcc_lo
	v_cndmask_b32_e32 v101, v105, v98, vcc_lo
	v_cndmask_b32_e64 v105, v109, v94, s13
	v_cndmask_b32_e64 v109, v110, v98, s13
	;; [unrolled: 1-line block ×4, first 2 shown]
	v_lshrrev_b32_e32 v95, 16, v79
	v_lshrrev_b32_e32 v99, 16, v83
	v_cndmask_b32_e64 v110, v111, v94, s17
	v_cndmask_b32_e64 v111, v112, v98, s17
	v_cndmask_b32_e32 v81, v81, v102, vcc_lo
	v_cndmask_b32_e32 v82, v82, v106, vcc_lo
	v_cndmask_b32_e64 v93, v93, v102, s13
	v_cndmask_b32_e64 v89, v89, v79, s3
	;; [unrolled: 1-line block ×7, first 2 shown]
	v_lshrrev_b32_e32 v103, 16, v87
	v_cndmask_b32_e64 v105, v110, v79, s21
	v_cndmask_b32_e64 v109, v111, v83, s21
	;; [unrolled: 1-line block ×11, first 2 shown]
	v_lshrrev_b32_e32 v96, 16, v80
	v_lshrrev_b32_e32 v100, 16, v84
	v_cndmask_b32_e64 v98, v105, v95, s23
	v_cndmask_b32_e64 v101, v109, v99, s23
	v_cndmask_b32_e64 v82, v82, v103, s20
	v_cndmask_b32_e64 v93, v93, v80, s25
	v_cndmask_b32_e64 v94, v94, v84, s25
	v_cndmask_b32_e64 v77, v77, v80, s27
	v_cndmask_b32_e64 v78, v78, v84, s27
	v_lshrrev_b32_e32 v104, 16, v88
	v_cndmask_b32_e64 v79, v79, v103, s6
	v_cndmask_b32_e64 v83, v83, v80, s7
	;; [unrolled: 1-line block ×16, first 2 shown]
	v_perm_b32 v80, v78, v77, 0x5040100
	v_perm_b32 v78, v94, v84, 0x5040100
	v_cndmask_b32_e64 v77, v118, v90, s15
	v_cndmask_b32_e64 v84, v116, v90, s12
	;; [unrolled: 1-line block ×3, first 2 shown]
	v_perm_b32 v79, v93, v89, 0x5040100
	v_cndmask_b32_e64 v89, v97, v102, s17
	v_cndmask_b32_e64 v85, v85, v102, s18
	;; [unrolled: 1-line block ×5, first 2 shown]
	v_lshrrev_b32_e32 v107, 16, v91
	v_cndmask_b32_e64 v89, v89, v87, s21
	v_cndmask_b32_e64 v85, v85, v87, s22
	v_cndmask_b32_e64 v86, v86, v91, s22
	v_cndmask_b32_e64 v77, v77, v91, s21
	v_cndmask_b32_e64 v84, v84, v91, s19
	v_cndmask_b32_e64 v81, v81, v107, s6
	v_cndmask_b32_e64 v87, v89, v103, s23
	v_cndmask_b32_e64 v85, v85, v103, s24
	v_cndmask_b32_e64 v86, v86, v107, s24
	v_cndmask_b32_e64 v77, v77, v107, s23
	v_cndmask_b32_e64 v84, v84, v107, s20
	v_lshrrev_b32_e32 v108, 16, v92
	v_cndmask_b32_e64 v81, v81, v92, s7
	v_cndmask_b32_e64 v87, v87, v88, s26
	;; [unrolled: 1-line block ×12, first 2 shown]
	v_perm_b32 v77, v83, v82, 0x5040100
	v_perm_b32 v84, v86, v85, 0x5040100
	v_perm_b32 v83, v88, v87, 0x5040100
	v_perm_b32 v82, v89, v96, 0x5040100
	v_perm_b32 v81, v81, v95, 0x5040100
	s_lshl_b32 s8, s33, 2
	s_mov_b32 s3, exec_lo
	ds_store_b128 v73, v[77:80]
	ds_store_b128 v73, v[81:84] offset:1024
	v_cmpx_gt_u32_e32 4, v0
	s_cbranch_execz .LBB1137_14
; %bb.13:
	v_or_b32_e32 v77, s31, v0
	s_load_b128 s[4:7], s[0:1], 0x58
	s_delay_alu instid0(VALU_DEP_1) | instskip(NEXT) | instid1(VALU_DEP_1)
	v_mad_u64_u32 v[78:79], null, s8, s34, v[77:78]
	v_mad_u64_u32 v[79:80], null, v78, s35, s[14:15]
	s_delay_alu instid0(VALU_DEP_1) | instskip(NEXT) | instid1(VALU_DEP_1)
	v_ashrrev_i32_e32 v80, 31, v79
	v_lshlrev_b64 v[77:78], 2, v[79:80]
	s_waitcnt lgkmcnt(0)
	s_delay_alu instid0(VALU_DEP_1) | instskip(NEXT) | instid1(VALU_DEP_2)
	v_add_co_u32 v79, vcc_lo, s6, v77
	v_add_co_ci_u32_e32 v80, vcc_lo, s7, v78, vcc_lo
	v_add_co_u32 v77, vcc_lo, s4, v77
	v_add_co_ci_u32_e32 v78, vcc_lo, s5, v78, vcc_lo
	global_store_b32 v[79:80], v75, off
	global_store_b32 v[77:78], v76, off
.LBB1137_14:
	s_or_b32 exec_lo, exec_lo, s3
	s_waitcnt lgkmcnt(0)
	s_waitcnt_vscnt null, 0x0
	s_barrier
	buffer_gl0_inv
	ds_load_b128 v[83:86], v72
	ds_load_b128 v[87:90], v72 offset:16
	ds_load_b128 v[95:98], v72 offset:2064
	;; [unrolled: 1-line block ×5, first 2 shown]
	v_cmp_eq_u32_e32 vcc_lo, 1, v69
	v_mov_b32_e32 v75, 0
	ds_load_b128 v[111:114], v72 offset:6160
	ds_load_b128 v[107:110], v72 offset:6144
	ds_load_b128 v[119:122], v72 offset:8208
	ds_load_b128 v[115:118], v72 offset:8192
	v_cmp_eq_u32_e64 s4, 1, v68
	v_cmp_eq_u32_e64 s3, 1, v71
	;; [unrolled: 1-line block ×3, first 2 shown]
	v_mov_b32_e32 v76, v75
	v_mov_b32_e32 v77, v75
	v_mov_b32_e32 v78, v75
	v_mov_b32_e32 v79, v75
	v_mov_b32_e32 v80, v75
	v_mov_b32_e32 v81, v75
	v_mov_b32_e32 v82, v75
	v_cmp_eq_u32_e64 s6, 3, v71
	v_cmp_eq_u32_e64 s7, 7, v71
	s_waitcnt lgkmcnt(8)
	s_delay_alu instid0(VALU_DEP_3)
	v_wmma_f32_16x16x16_f16 v[75:82], v[49:56], v[83:90], v[75:82]
	ds_load_b128 v[53:56], v72 offset:10256
	ds_load_b128 v[49:52], v72 offset:10240
	s_waitcnt lgkmcnt(8)
	v_wmma_f32_16x16x16_f16 v[75:82], v[41:48], v[91:98], v[75:82]
	ds_load_b128 v[45:48], v72 offset:12304
	ds_load_b128 v[41:44], v72 offset:12288
	s_waitcnt lgkmcnt(8)
	;; [unrolled: 4-line block ×3, first 2 shown]
	s_barrier
	buffer_gl0_inv
	v_wmma_f32_16x16x16_f16 v[75:82], v[1:8], v[107:114], v[75:82]
	s_delay_alu instid0(VALU_DEP_1) | instskip(NEXT) | instid1(VALU_DEP_1)
	v_wmma_f32_16x16x16_f16 v[75:82], v[9:16], v[115:122], v[75:82]
	v_wmma_f32_16x16x16_f16 v[75:82], v[17:24], v[49:56], v[75:82]
	s_delay_alu instid0(VALU_DEP_1) | instskip(NEXT) | instid1(VALU_DEP_1)
	v_wmma_f32_16x16x16_f16 v[75:82], v[25:32], v[41:48], v[75:82]
	v_wmma_f32_16x16x16_f16 v[75:82], v[57:64], v[33:40], v[75:82]
	s_delay_alu instid0(VALU_DEP_1) | instskip(NEXT) | instid1(VALU_DEP_2)
	v_cvt_f16_f32_e32 v1, v75
	v_cvt_f16_f32_e32 v2, v76
	s_delay_alu instid0(VALU_DEP_3) | instskip(NEXT) | instid1(VALU_DEP_4)
	v_cvt_f16_f32_e32 v3, v77
	v_cvt_f16_f32_e32 v4, v78
	;; [unrolled: 1-line block ×6, first 2 shown]
	v_pack_b32_f16 v1, v1, v2
	v_pack_b32_f16 v2, v3, v4
	;; [unrolled: 1-line block ×3, first 2 shown]
	s_delay_alu instid0(VALU_DEP_4)
	v_pack_b32_f16 v4, v7, v8
	ds_store_b128 v73, v[1:4]
	s_waitcnt lgkmcnt(0)
	s_barrier
	buffer_gl0_inv
	ds_load_b128 v[1:4], v74
	ds_load_b128 v[5:8], v74 offset:16
	s_waitcnt lgkmcnt(1)
	v_lshrrev_b32_e32 v9, 16, v1
	s_waitcnt lgkmcnt(0)
	v_lshrrev_b32_e32 v13, 16, v5
	v_lshrrev_b32_e32 v10, 16, v2
	;; [unrolled: 1-line block ×4, first 2 shown]
	v_cndmask_b32_e32 v17, v1, v9, vcc_lo
	v_cndmask_b32_e32 v18, v5, v13, vcc_lo
	v_cndmask_b32_e64 v21, v1, v9, s4
	v_cmp_eq_u32_e32 vcc_lo, 1, v70
	v_cndmask_b32_e64 v22, v5, v13, s4
	v_cmp_eq_u32_e64 s4, 2, v69
	v_cndmask_b32_e64 v19, v1, v9, s3
	v_cndmask_b32_e64 v20, v5, v13, s3
	v_cndmask_b32_e32 v1, v1, v9, vcc_lo
	v_cmp_eq_u32_e64 s3, 2, v70
	v_cndmask_b32_e32 v5, v5, v13, vcc_lo
	v_cndmask_b32_e64 v9, v17, v2, s4
	v_cmp_eq_u32_e32 vcc_lo, 3, v69
	v_cndmask_b32_e64 v13, v18, v6, s4
	v_cmp_eq_u32_e64 s4, 2, v68
	v_cndmask_b32_e64 v17, v19, v2, s5
	v_cndmask_b32_e64 v18, v20, v6, s5
	v_cmp_eq_u32_e64 s5, 3, v68
	v_cndmask_b32_e64 v1, v1, v2, s3
	v_cndmask_b32_e64 v19, v21, v2, s4
	;; [unrolled: 1-line block ×4, first 2 shown]
	v_cndmask_b32_e32 v5, v9, v10, vcc_lo
	v_cndmask_b32_e32 v6, v13, v14, vcc_lo
	v_cmp_eq_u32_e32 vcc_lo, 3, v70
	v_cndmask_b32_e64 v9, v17, v10, s6
	v_cndmask_b32_e64 v13, v18, v14, s6
	;; [unrolled: 1-line block ×3, first 2 shown]
	v_cmp_eq_u32_e64 s4, 4, v69
	v_cndmask_b32_e32 v1, v1, v10, vcc_lo
	v_cndmask_b32_e32 v2, v2, v14, vcc_lo
	v_cmp_eq_u32_e32 vcc_lo, 4, v71
	v_lshrrev_b32_e32 v15, 16, v7
	v_lshrrev_b32_e32 v16, 16, v8
	v_cndmask_b32_e64 v17, v19, v10, s5
	v_cmp_eq_u32_e64 s3, 4, v70
	v_cndmask_b32_e64 v5, v5, v3, s4
	v_cndmask_b32_e64 v6, v6, v7, s4
	v_cndmask_b32_e32 v9, v9, v3, vcc_lo
	v_cmp_eq_u32_e64 s4, 5, v71
	v_cndmask_b32_e32 v10, v13, v7, vcc_lo
	v_cmp_eq_u32_e32 vcc_lo, 4, v68
	v_cmp_eq_u32_e64 s5, 5, v69
	v_cndmask_b32_e64 v2, v2, v7, s3
	v_cndmask_b32_e64 v9, v9, v11, s4
	;; [unrolled: 1-line block ×3, first 2 shown]
	v_cndmask_b32_e32 v13, v17, v3, vcc_lo
	v_cmp_eq_u32_e64 s4, 5, v68
	v_cndmask_b32_e32 v14, v18, v7, vcc_lo
	v_cndmask_b32_e64 v1, v1, v3, s3
	v_cmp_eq_u32_e32 vcc_lo, 5, v70
	v_lshrrev_b32_e32 v12, 16, v4
	v_cndmask_b32_e64 v13, v13, v11, s4
	v_cndmask_b32_e64 v3, v14, v15, s4
	v_cmp_eq_u32_e64 s4, 6, v70
	v_cndmask_b32_e32 v1, v1, v11, vcc_lo
	v_cndmask_b32_e64 v5, v5, v11, s5
	v_cmp_eq_u32_e64 s6, 6, v69
	v_cndmask_b32_e64 v6, v6, v15, s5
	v_cmp_eq_u32_e64 s5, 6, v71
	v_cmp_eq_u32_e64 s3, 6, v68
	v_cndmask_b32_e64 v1, v1, v4, s4
	v_cndmask_b32_e32 v2, v2, v15, vcc_lo
	v_cmp_eq_u32_e32 vcc_lo, 7, v70
	v_cndmask_b32_e64 v5, v5, v4, s6
	v_cndmask_b32_e64 v9, v9, v4, s5
	;; [unrolled: 1-line block ×3, first 2 shown]
	v_cmp_eq_u32_e64 s6, 7, v69
	v_cndmask_b32_e32 v1, v1, v12, vcc_lo
	v_cndmask_b32_e64 v7, v13, v4, s3
	v_cndmask_b32_e64 v3, v3, v8, s3
	;; [unrolled: 1-line block ×3, first 2 shown]
	v_cmp_eq_u32_e64 s3, 7, v68
	v_cndmask_b32_e64 v4, v10, v8, s5
	v_cndmask_b32_e64 v5, v5, v12, s6
	;; [unrolled: 1-line block ×3, first 2 shown]
	v_cndmask_b32_e32 v2, v2, v16, vcc_lo
	v_cndmask_b32_e64 v7, v7, v12, s3
	v_cndmask_b32_e64 v3, v3, v16, s3
	;; [unrolled: 1-line block ×4, first 2 shown]
	v_cmp_gt_u32_e32 vcc_lo, 32, v0
	v_perm_b32 v4, v2, v1, 0x5040100
	v_perm_b32 v3, v3, v7, 0x5040100
	;; [unrolled: 1-line block ×4, first 2 shown]
	s_and_b32 s2, vcc_lo, s2
	ds_store_b128 v73, v[1:4]
	s_waitcnt lgkmcnt(0)
	s_barrier
	buffer_gl0_inv
	s_and_saveexec_b32 s3, s2
	s_cbranch_execz .LBB1137_2
; %bb.15:
	s_load_b64 s[0:1], s[0:1], 0x68
	v_lshlrev_b32_e32 v0, 10, v0
	v_or_b32_e32 v1, s31, v67
	s_lshl_b32 s4, s35, 6
	v_lshlrev_b32_e32 v2, 4, v66
	s_mul_i32 s2, s4, s34
	v_lshlrev_b32_e32 v3, 6, v67
	v_mul_lo_u32 v8, v1, s4
	v_and_b32_e32 v0, 0x3800, v0
	v_or_b32_e32 v1, 2, v1
	s_mul_i32 s2, s2, s8
	s_delay_alu instid0(SALU_CYCLE_1) | instskip(NEXT) | instid1(VALU_DEP_2)
	s_ashr_i32 s3, s2, 31
	v_or3_b32 v4, v0, v2, v3
	s_lshl_b64 s[2:3], s[2:3], 1
	v_mul_lo_u32 v10, v1, s4
	v_ashrrev_i32_e32 v9, 31, v8
	ds_load_b128 v[0:3], v4
	ds_load_b128 v[4:7], v4 offset:128
	s_waitcnt lgkmcnt(0)
	s_add_u32 s2, s0, s2
	s_addc_u32 s3, s1, s3
	s_lshl_b32 s0, s14, 6
	v_ashrrev_i32_e32 v11, 31, v10
	s_ashr_i32 s1, s0, 31
	v_lshlrev_b64 v[8:9], 1, v[8:9]
	s_lshl_b64 s[0:1], s[0:1], 1
	s_delay_alu instid0(SALU_CYCLE_1) | instskip(SKIP_2) | instid1(VALU_DEP_1)
	s_add_u32 s0, s2, s0
	s_addc_u32 s1, s3, s1
	v_add_co_u32 v12, s0, s0, v65
	v_add_co_ci_u32_e64 v13, null, s1, 0, s0
	v_lshlrev_b64 v[10:11], 1, v[10:11]
	s_delay_alu instid0(VALU_DEP_3) | instskip(NEXT) | instid1(VALU_DEP_3)
	v_add_co_u32 v8, vcc_lo, v12, v8
	v_add_co_ci_u32_e32 v9, vcc_lo, v13, v9, vcc_lo
	s_delay_alu instid0(VALU_DEP_3) | instskip(NEXT) | instid1(VALU_DEP_4)
	v_add_co_u32 v10, vcc_lo, v12, v10
	v_add_co_ci_u32_e32 v11, vcc_lo, v13, v11, vcc_lo
	s_clause 0x1
	global_store_b128 v[8:9], v[0:3], off
	global_store_b128 v[10:11], v[4:7], off
	s_nop 0
	s_sendmsg sendmsg(MSG_DEALLOC_VGPRS)
	s_endpgm
	.section	.rodata,"a",@progbits
	.p2align	6, 0x0
	.amdhsa_kernel _Z39paged_attention_ll4mi_QKV_mfma16_kernelIDF16_hLN4vllm18Fp8KVCacheDataTypeE1EDF16_Li16ELi64ELi256ELb1ELi4EL8MFMAType0EEvPKT_PKT0_S8_ifPKiSA_SA_iPKfiiiPfSD_PS3_PT2_iSC_SC_
		.amdhsa_group_segment_fixed_size 17472
		.amdhsa_private_segment_fixed_size 0
		.amdhsa_kernarg_size 400
		.amdhsa_user_sgpr_count 13
		.amdhsa_user_sgpr_dispatch_ptr 0
		.amdhsa_user_sgpr_queue_ptr 0
		.amdhsa_user_sgpr_kernarg_segment_ptr 1
		.amdhsa_user_sgpr_dispatch_id 0
		.amdhsa_user_sgpr_private_segment_size 0
		.amdhsa_wavefront_size32 1
		.amdhsa_uses_dynamic_stack 0
		.amdhsa_enable_private_segment 0
		.amdhsa_system_sgpr_workgroup_id_x 1
		.amdhsa_system_sgpr_workgroup_id_y 1
		.amdhsa_system_sgpr_workgroup_id_z 1
		.amdhsa_system_sgpr_workgroup_info 0
		.amdhsa_system_vgpr_workitem_id 0
		.amdhsa_next_free_vgpr 123
		.amdhsa_next_free_sgpr 40
		.amdhsa_reserve_vcc 1
		.amdhsa_float_round_mode_32 0
		.amdhsa_float_round_mode_16_64 0
		.amdhsa_float_denorm_mode_32 3
		.amdhsa_float_denorm_mode_16_64 3
		.amdhsa_dx10_clamp 1
		.amdhsa_ieee_mode 1
		.amdhsa_fp16_overflow 0
		.amdhsa_workgroup_processor_mode 1
		.amdhsa_memory_ordered 1
		.amdhsa_forward_progress 0
		.amdhsa_shared_vgpr_count 0
		.amdhsa_exception_fp_ieee_invalid_op 0
		.amdhsa_exception_fp_denorm_src 0
		.amdhsa_exception_fp_ieee_div_zero 0
		.amdhsa_exception_fp_ieee_overflow 0
		.amdhsa_exception_fp_ieee_underflow 0
		.amdhsa_exception_fp_ieee_inexact 0
		.amdhsa_exception_int_div_zero 0
	.end_amdhsa_kernel
	.section	.text._Z39paged_attention_ll4mi_QKV_mfma16_kernelIDF16_hLN4vllm18Fp8KVCacheDataTypeE1EDF16_Li16ELi64ELi256ELb1ELi4EL8MFMAType0EEvPKT_PKT0_S8_ifPKiSA_SA_iPKfiiiPfSD_PS3_PT2_iSC_SC_,"axG",@progbits,_Z39paged_attention_ll4mi_QKV_mfma16_kernelIDF16_hLN4vllm18Fp8KVCacheDataTypeE1EDF16_Li16ELi64ELi256ELb1ELi4EL8MFMAType0EEvPKT_PKT0_S8_ifPKiSA_SA_iPKfiiiPfSD_PS3_PT2_iSC_SC_,comdat
.Lfunc_end1137:
	.size	_Z39paged_attention_ll4mi_QKV_mfma16_kernelIDF16_hLN4vllm18Fp8KVCacheDataTypeE1EDF16_Li16ELi64ELi256ELb1ELi4EL8MFMAType0EEvPKT_PKT0_S8_ifPKiSA_SA_iPKfiiiPfSD_PS3_PT2_iSC_SC_, .Lfunc_end1137-_Z39paged_attention_ll4mi_QKV_mfma16_kernelIDF16_hLN4vllm18Fp8KVCacheDataTypeE1EDF16_Li16ELi64ELi256ELb1ELi4EL8MFMAType0EEvPKT_PKT0_S8_ifPKiSA_SA_iPKfiiiPfSD_PS3_PT2_iSC_SC_
                                        ; -- End function
	.section	.AMDGPU.csdata,"",@progbits
; Kernel info:
; codeLenInByte = 6372
; NumSgprs: 42
; NumVgprs: 123
; ScratchSize: 0
; MemoryBound: 0
; FloatMode: 240
; IeeeMode: 1
; LDSByteSize: 17472 bytes/workgroup (compile time only)
; SGPRBlocks: 5
; VGPRBlocks: 15
; NumSGPRsForWavesPerEU: 42
; NumVGPRsForWavesPerEU: 123
; Occupancy: 10
; WaveLimiterHint : 1
; COMPUTE_PGM_RSRC2:SCRATCH_EN: 0
; COMPUTE_PGM_RSRC2:USER_SGPR: 13
; COMPUTE_PGM_RSRC2:TRAP_HANDLER: 0
; COMPUTE_PGM_RSRC2:TGID_X_EN: 1
; COMPUTE_PGM_RSRC2:TGID_Y_EN: 1
; COMPUTE_PGM_RSRC2:TGID_Z_EN: 1
; COMPUTE_PGM_RSRC2:TIDIG_COMP_CNT: 0
	.section	.text._Z39paged_attention_ll4mi_QKV_mfma16_kernelIDF16_hLN4vllm18Fp8KVCacheDataTypeE1EDF16_Li16ELi64ELi256ELb0ELi5EL8MFMAType0EEvPKT_PKT0_S8_ifPKiSA_SA_iPKfiiiPfSD_PS3_PT2_iSC_SC_,"axG",@progbits,_Z39paged_attention_ll4mi_QKV_mfma16_kernelIDF16_hLN4vllm18Fp8KVCacheDataTypeE1EDF16_Li16ELi64ELi256ELb0ELi5EL8MFMAType0EEvPKT_PKT0_S8_ifPKiSA_SA_iPKfiiiPfSD_PS3_PT2_iSC_SC_,comdat
	.protected	_Z39paged_attention_ll4mi_QKV_mfma16_kernelIDF16_hLN4vllm18Fp8KVCacheDataTypeE1EDF16_Li16ELi64ELi256ELb0ELi5EL8MFMAType0EEvPKT_PKT0_S8_ifPKiSA_SA_iPKfiiiPfSD_PS3_PT2_iSC_SC_ ; -- Begin function _Z39paged_attention_ll4mi_QKV_mfma16_kernelIDF16_hLN4vllm18Fp8KVCacheDataTypeE1EDF16_Li16ELi64ELi256ELb0ELi5EL8MFMAType0EEvPKT_PKT0_S8_ifPKiSA_SA_iPKfiiiPfSD_PS3_PT2_iSC_SC_
	.globl	_Z39paged_attention_ll4mi_QKV_mfma16_kernelIDF16_hLN4vllm18Fp8KVCacheDataTypeE1EDF16_Li16ELi64ELi256ELb0ELi5EL8MFMAType0EEvPKT_PKT0_S8_ifPKiSA_SA_iPKfiiiPfSD_PS3_PT2_iSC_SC_
	.p2align	8
	.type	_Z39paged_attention_ll4mi_QKV_mfma16_kernelIDF16_hLN4vllm18Fp8KVCacheDataTypeE1EDF16_Li16ELi64ELi256ELb0ELi5EL8MFMAType0EEvPKT_PKT0_S8_ifPKiSA_SA_iPKfiiiPfSD_PS3_PT2_iSC_SC_,@function
_Z39paged_attention_ll4mi_QKV_mfma16_kernelIDF16_hLN4vllm18Fp8KVCacheDataTypeE1EDF16_Li16ELi64ELi256ELb0ELi5EL8MFMAType0EEvPKT_PKT0_S8_ifPKiSA_SA_iPKfiiiPfSD_PS3_PT2_iSC_SC_: ; @_Z39paged_attention_ll4mi_QKV_mfma16_kernelIDF16_hLN4vllm18Fp8KVCacheDataTypeE1EDF16_Li16ELi64ELi256ELb0ELi5EL8MFMAType0EEvPKT_PKT0_S8_ifPKiSA_SA_iPKfiiiPfSD_PS3_PT2_iSC_SC_
; %bb.0:
	s_load_b64 s[2:3], s[0:1], 0x30
	s_mov_b32 s34, s13
	s_waitcnt lgkmcnt(0)
	s_cmp_lg_u64 s[2:3], 0
	s_cselect_b32 s6, -1, 0
	s_ashr_i32 s35, s13, 31
	s_cmp_eq_u64 s[2:3], 0
	s_cbranch_scc1 .LBB1138_3
; %bb.1:
	s_lshl_b64 s[4:5], s[34:35], 2
	s_delay_alu instid0(SALU_CYCLE_1) | instskip(SKIP_4) | instid1(SALU_CYCLE_1)
	s_add_u32 s4, s2, s4
	s_addc_u32 s5, s3, s5
	s_load_b64 s[4:5], s[4:5], 0x0
	s_waitcnt lgkmcnt(0)
	s_sub_i32 s4, s5, s4
	s_cmp_eq_u32 s4, 1
	s_cselect_b32 s4, -1, 0
	s_delay_alu instid0(SALU_CYCLE_1)
	s_and_not1_b32 vcc_lo, exec_lo, s4
	s_cbranch_vccz .LBB1138_4
.LBB1138_2:
	s_nop 0
	s_sendmsg sendmsg(MSG_DEALLOC_VGPRS)
	s_endpgm
.LBB1138_3:
.LBB1138_4:
	s_load_b64 s[8:9], s[0:1], 0x28
	s_lshl_b64 s[4:5], s[34:35], 2
	s_waitcnt lgkmcnt(0)
	s_add_u32 s8, s8, s4
	s_addc_u32 s9, s9, s5
	s_lshl_b32 s16, s14, 8
	s_load_b32 s18, s[8:9], 0x0
	s_waitcnt lgkmcnt(0)
	s_cmp_ge_i32 s16, s18
	s_cbranch_scc1 .LBB1138_2
; %bb.5:
	s_clause 0x1
	s_load_b128 s[8:11], s[0:1], 0x8
	s_load_b64 s[12:13], s[0:1], 0x20
	s_and_not1_b32 vcc_lo, exec_lo, s6
	s_cbranch_vccnz .LBB1138_7
; %bb.6:
	s_add_u32 s2, s2, s4
	s_addc_u32 s3, s3, s5
	s_load_b32 s3, s[2:3], 0x0
	s_branch .LBB1138_8
.LBB1138_7:
	s_mov_b32 s3, s34
.LBB1138_8:
	s_load_b128 s[4:7], s[0:1], 0x48
	v_lshrrev_b32_e32 v69, 5, v0
	v_bfe_u32 v66, v0, 4, 1
	v_and_b32_e32 v68, 15, v0
	v_and_b32_e32 v70, 31, v0
	;; [unrolled: 1-line block ×3, first 2 shown]
	s_mul_i32 s33, s15, 5
	v_lshl_or_b32 v1, v69, 1, v66
	v_lshlrev_b32_e32 v2, 3, v68
	v_cmp_gt_u32_e64 s2, 8, v68
	s_delay_alu instid0(VALU_DEP_3) | instskip(NEXT) | instid1(VALU_DEP_3)
	v_cmp_gt_u32_e32 vcc_lo, 5, v1
	v_lshlrev_b32_e32 v65, 1, v2
	s_delay_alu instid0(VALU_DEP_3)
	s_and_b32 s17, s2, vcc_lo
	s_waitcnt lgkmcnt(0)
	s_and_saveexec_b32 s7, s17
	s_cbranch_execz .LBB1138_10
; %bb.9:
	s_load_b64 s[20:21], s[0:1], 0x0
	v_add_lshl_u32 v2, v1, s33, 6
	s_mul_hi_i32 s23, s3, s4
	s_mul_i32 s22, s3, s4
	v_lshlrev_b32_e32 v6, 10, v68
	s_lshl_b64 s[22:23], s[22:23], 1
	v_ashrrev_i32_e32 v3, 31, v2
	v_lshlrev_b32_e32 v1, 6, v1
	v_lshlrev_b32_e32 v7, 10, v67
	v_and_b32_e32 v6, 0x3800, v6
	s_delay_alu instid0(VALU_DEP_4) | instskip(NEXT) | instid1(VALU_DEP_2)
	v_lshlrev_b64 v[2:3], 1, v[2:3]
	v_or3_b32 v1, v6, v7, v1
	s_waitcnt lgkmcnt(0)
	s_add_u32 s3, s20, s22
	s_addc_u32 s4, s21, s23
	s_delay_alu instid0(VALU_DEP_2) | instskip(SKIP_1) | instid1(VALU_DEP_2)
	v_add_co_u32 v2, vcc_lo, s3, v2
	v_add_co_ci_u32_e32 v3, vcc_lo, s4, v3, vcc_lo
	v_add_co_u32 v2, vcc_lo, v2, v65
	s_delay_alu instid0(VALU_DEP_2)
	v_add_co_ci_u32_e32 v3, vcc_lo, 0, v3, vcc_lo
	global_load_b128 v[2:5], v[2:3], off
	s_waitcnt vmcnt(0)
	ds_store_b128 v1, v[2:5]
.LBB1138_10:
	s_or_b32 exec_lo, exec_lo, s7
	v_and_b32_e32 v1, 0xef, v0
	s_add_i32 s3, s18, 15
	s_clause 0x1
	s_load_b32 s4, s[0:1], 0x38
	s_load_b32 s35, s[0:1], 0x98
	s_ashr_i32 s7, s3, 31
	v_add_nc_u32_e32 v1, s16, v1
	s_lshr_b32 s7, s7, 28
	s_load_b32 s19, s[0:1], 0x1c
	s_add_i32 s3, s3, s7
	s_waitcnt lgkmcnt(0)
	v_ashrrev_i32_e32 v2, 31, v1
	v_or_b32_e32 v3, 16, v1
	s_ashr_i32 s3, s3, 4
	v_cmp_gt_i32_e32 vcc_lo, s18, v1
	s_add_i32 s3, s3, -1
	v_lshrrev_b32_e32 v2, 28, v2
	s_barrier
	buffer_gl0_inv
	s_mul_i32 s15, s15, s6
	v_mul_lo_u16 v103, v68, 52
	v_add_nc_u32_e32 v4, v1, v2
	v_mbcnt_lo_u32_b32 v127, -1, 0
	s_mul_i32 s20, s34, s4
	s_delay_alu instid0(SALU_CYCLE_1) | instskip(NEXT) | instid1(VALU_DEP_2)
	s_ashr_i32 s21, s20, 31
	v_ashrrev_i32_e32 v4, 4, v4
	v_add_nc_u32_e32 v2, v3, v2
	s_lshl_b64 s[20:21], s[20:21], 2
	v_lshrrev_b16 v103, 8, v103
	s_add_u32 s17, s12, s20
	v_cndmask_b32_e32 v1, s3, v4, vcc_lo
	v_ashrrev_i32_e32 v2, 4, v2
	v_cmp_gt_i32_e32 vcc_lo, s18, v3
	s_addc_u32 s13, s13, s21
	s_ashr_i32 s20, s15, 31
	s_add_u32 s4, s8, s15
	s_addc_u32 s12, s9, s20
	v_cndmask_b32_e32 v3, s3, v2, vcc_lo
	v_ashrrev_i32_e32 v2, 31, v1
	s_lshl_b32 s6, s14, 4
	v_mul_lo_u16 v103, v103, 5
	s_ashr_i32 s7, s6, 31
	v_ashrrev_i32_e32 v4, 31, v3
	v_lshlrev_b64 v[1:2], 2, v[1:2]
	s_lshl_b64 s[6:7], s[6:7], 2
	v_sub_nc_u16 v103, v68, v103
	s_add_u32 s6, s17, s6
	v_lshlrev_b64 v[3:4], 2, v[3:4]
	s_addc_u32 s7, s13, s7
	v_add_co_u32 v1, vcc_lo, s17, v1
	v_add_co_ci_u32_e32 v2, vcc_lo, s13, v2, vcc_lo
	s_delay_alu instid0(VALU_DEP_3) | instskip(NEXT) | instid1(VALU_DEP_4)
	v_add_co_u32 v3, vcc_lo, s17, v3
	v_add_co_ci_u32_e32 v4, vcc_lo, s13, v4, vcc_lo
	s_clause 0x1
	global_load_b32 v5, v[1:2], off
	global_load_b32 v7, v[3:4], off
	s_or_b32 s8, s16, 32
	v_lshlrev_b32_e32 v1, 4, v0
	s_ashr_i32 s9, s8, 4
	s_cmp_lt_i32 s8, s18
	v_xor_b32_e32 v128, 16, v127
	s_cselect_b32 s8, s9, s3
	v_and_b32_e32 v1, 0xf0, v1
	s_ashr_i32 s9, s8, 31
	s_delay_alu instid0(SALU_CYCLE_1)
	s_lshl_b64 s[8:9], s[8:9], 2
	v_cmp_gt_i32_e32 vcc_lo, 32, v128
	s_add_u32 s8, s17, s8
	s_addc_u32 s9, s13, s9
	s_or_b32 s21, s16, 64
	v_add_co_u32 v1, s4, s4, v1
	s_ashr_i32 s22, s21, 4
	s_cmp_lt_i32 s21, s18
	v_add_co_ci_u32_e64 v2, null, s12, 0, s4
	s_cselect_b32 s22, s22, s3
	v_dual_cndmask_b32 v136, v127, v128 :: v_dual_and_b32 v103, 0xff, v103
	s_ashr_i32 s23, s22, 31
	s_delay_alu instid0(SALU_CYCLE_1) | instskip(NEXT) | instid1(VALU_DEP_1)
	s_lshl_b64 s[22:23], s[22:23], 2
	v_lshlrev_b32_e32 v115, 6, v103
	s_add_u32 s22, s17, s22
	s_addc_u32 s23, s13, s23
	s_or_b32 s21, s16, 0x60
	s_delay_alu instid0(SALU_CYCLE_1) | instskip(SKIP_2) | instid1(SALU_CYCLE_1)
	s_ashr_i32 s24, s21, 4
	s_cmp_lt_i32 s21, s18
	s_cselect_b32 s24, s24, s3
	s_ashr_i32 s25, s24, 31
	s_delay_alu instid0(SALU_CYCLE_1) | instskip(NEXT) | instid1(SALU_CYCLE_1)
	s_lshl_b64 s[24:25], s[24:25], 2
	s_add_u32 s24, s17, s24
	s_addc_u32 s25, s13, s25
	s_or_b32 s21, s16, 0x80
	s_delay_alu instid0(SALU_CYCLE_1) | instskip(SKIP_2) | instid1(SALU_CYCLE_1)
	s_ashr_i32 s26, s21, 4
	s_cmp_lt_i32 s21, s18
	s_cselect_b32 s26, s26, s3
	s_ashr_i32 s27, s26, 31
	s_delay_alu instid0(SALU_CYCLE_1) | instskip(NEXT) | instid1(SALU_CYCLE_1)
	s_lshl_b64 s[26:27], s[26:27], 2
	;; [unrolled: 10-line block ×3, first 2 shown]
	s_add_u32 s28, s17, s28
	s_addc_u32 s29, s13, s29
	s_clause 0x5
	s_load_b32 s12, s[6:7], 0x0
	s_load_b32 s4, s[8:9], 0x0
	;; [unrolled: 1-line block ×6, first 2 shown]
	s_or_b32 s21, s16, 0xc0
	s_delay_alu instid0(SALU_CYCLE_1) | instskip(SKIP_2) | instid1(SALU_CYCLE_1)
	s_ashr_i32 s22, s21, 4
	s_cmp_lt_i32 s21, s18
	s_cselect_b32 s22, s22, s3
	s_ashr_i32 s23, s22, 31
	s_delay_alu instid0(SALU_CYCLE_1) | instskip(NEXT) | instid1(SALU_CYCLE_1)
	s_lshl_b64 s[22:23], s[22:23], 2
	s_add_u32 s22, s17, s22
	s_addc_u32 s23, s13, s23
	s_or_b32 s21, s16, 0xe0
	s_delay_alu instid0(SALU_CYCLE_1) | instskip(SKIP_2) | instid1(SALU_CYCLE_1)
	s_ashr_i32 s24, s21, 4
	s_cmp_lt_i32 s21, s18
	s_cselect_b32 s24, s24, s3
	s_ashr_i32 s25, s24, 31
	s_delay_alu instid0(SALU_CYCLE_1)
	s_lshl_b64 s[24:25], s[24:25], 2
	s_waitcnt vmcnt(1)
	v_mad_i64_i32 v[3:4], null, v5, s5, v[1:2]
	s_waitcnt vmcnt(0)
	v_mad_i64_i32 v[5:6], null, v7, s5, v[1:2]
	v_lshlrev_b32_e32 v1, 4, v68
	s_clause 0x7
	global_load_b128 v[71:74], v[3:4], off
	global_load_b128 v[75:78], v[3:4], off offset:256
	global_load_b128 v[79:82], v[5:6], off
	global_load_b128 v[83:86], v[5:6], off offset:256
	global_load_b128 v[87:90], v[3:4], off offset:512
	;; [unrolled: 1-line block ×5, first 2 shown]
	v_lshl_or_b32 v1, v69, 8, v1
	s_load_b32 s3, s[22:23], 0x0
	s_add_u32 s22, s17, s24
	s_addc_u32 s23, s13, s25
	s_add_u32 s10, s10, s15
	s_addc_u32 s11, s11, s20
	v_add_co_u32 v1, s10, s10, v1
	s_delay_alu instid0(VALU_DEP_1) | instskip(SKIP_2) | instid1(VALU_DEP_1)
	v_add_co_ci_u32_e64 v2, null, s11, 0, s10
	s_load_b32 s10, s[22:23], 0x0
	s_waitcnt lgkmcnt(0)
	v_mad_i64_i32 v[3:4], null, s12, s5, v[1:2]
	v_mad_i64_i32 v[9:10], null, s7, s5, v[1:2]
	;; [unrolled: 1-line block ×7, first 2 shown]
	s_clause 0x5
	global_load_b128 v[49:52], v[3:4], off
	global_load_b128 v[53:56], v[3:4], off offset:16
	global_load_b128 v[41:44], v[5:6], off
	global_load_b128 v[45:48], v[5:6], off offset:16
	;; [unrolled: 2-line block ×3, first 2 shown]
	s_mov_b32 s4, 0
	v_mad_i64_i32 v[61:62], null, s10, s5, v[1:2]
	s_clause 0x9
	global_load_b128 v[1:4], v[9:10], off
	global_load_b128 v[5:8], v[9:10], off offset:16
	global_load_b128 v[9:12], v[13:14], off
	global_load_b128 v[13:16], v[13:14], off offset:16
	;; [unrolled: 2-line block ×5, first 2 shown]
	s_mov_b32 s5, s4
	s_mov_b32 s6, s4
	;; [unrolled: 1-line block ×7, first 2 shown]
	v_and_b32_e32 v104, 0xe0, v0
	v_dual_mov_b32 v126, s11 :: v_dual_mov_b32 v123, s8
	v_dual_mov_b32 v125, s10 :: v_dual_mov_b32 v124, s9
	s_delay_alu instid0(VALU_DEP_3)
	v_add_nc_u32_e32 v111, s16, v104
	ds_load_b128 v[103:106], v115
	ds_load_b128 v[107:110], v115 offset:1024
	v_dual_mov_b32 v122, s7 :: v_dual_mov_b32 v121, s6
	v_mov_b32_e32 v120, s5
	v_or_b32_e32 v135, v111, v66
	ds_load_b128 v[111:114], v115 offset:2048
	ds_load_b128 v[115:118], v115 offset:3072
	v_mov_b32_e32 v119, s4
	s_waitcnt vmcnt(0) lgkmcnt(0)
	s_barrier
	v_or_b32_e32 v137, 2, v135
	v_or_b32_e32 v138, 4, v135
	;; [unrolled: 1-line block ×3, first 2 shown]
	v_cmp_gt_i32_e32 vcc_lo, s18, v135
	v_or_b32_e32 v140, 8, v135
	v_cmp_gt_i32_e64 s3, s18, v137
	v_or_b32_e32 v141, 10, v135
	v_cmp_gt_i32_e64 s4, s18, v138
	v_cmp_gt_i32_e64 s5, s18, v139
	v_or_b32_e32 v142, 12, v135
	v_or_b32_e32 v143, 14, v135
	v_cmp_gt_i32_e64 s6, s18, v140
	v_cmp_gt_i32_e64 s7, s18, v141
	v_or_b32_e32 v144, 16, v135
	v_or_b32_e32 v145, 18, v135
	v_cmp_gt_i32_e64 s8, s18, v142
	v_cmp_gt_i32_e64 s9, s18, v143
	buffer_gl0_inv
	v_cmp_gt_i32_e64 s10, s18, v144
	v_cmp_gt_i32_e64 s11, s18, v145
	v_wmma_f32_16x16x16_f16 v[127:134], v[71:78], v[103:110], v[119:126]
	v_wmma_f32_16x16x16_f16 v[119:126], v[79:86], v[103:110], v[119:126]
	v_or_b32_e32 v71, 20, v135
	v_or_b32_e32 v72, 22, v135
	s_delay_alu instid0(VALU_DEP_4)
	v_wmma_f32_16x16x16_f16 v[127:134], v[87:94], v[111:118], v[127:134]
	v_or_b32_e32 v73, 24, v135
	v_wmma_f32_16x16x16_f16 v[119:126], v[95:102], v[111:118], v[119:126]
	v_or_b32_e32 v74, 26, v135
	v_cmp_gt_i32_e64 s12, s18, v71
	v_dual_mul_f32 v83, s19, v128 :: v_dual_mul_f32 v84, s19, v127
	s_delay_alu instid0(VALU_DEP_4) | instskip(SKIP_1) | instid1(VALU_DEP_3)
	v_dual_mul_f32 v81, s19, v130 :: v_dual_mul_f32 v92, s19, v119
	v_mul_f32_e32 v82, s19, v129
	v_cndmask_b32_e64 v83, 0xff7fffff, v83, s3
	s_delay_alu instid0(VALU_DEP_4)
	v_cndmask_b32_e32 v84, 0xff7fffff, v84, vcc_lo
	v_dual_mul_f32 v79, s19, v132 :: v_dual_mul_f32 v90, s19, v121
	v_mul_f32_e32 v80, s19, v131
	v_cndmask_b32_e64 v82, 0xff7fffff, v82, s4
	v_cndmask_b32_e64 v81, 0xff7fffff, v81, s5
	v_max3_f32 v83, v84, 0xff7fffff, v83
	v_dual_mul_f32 v77, s19, v134 :: v_dual_mul_f32 v88, s19, v123
	v_mul_f32_e32 v78, s19, v133
	v_cndmask_b32_e64 v80, 0xff7fffff, v80, s6
	v_cndmask_b32_e64 v79, 0xff7fffff, v79, s7
	v_max3_f32 v81, v83, v82, v81
	v_mul_f32_e32 v91, s19, v120
	v_cndmask_b32_e64 v78, 0xff7fffff, v78, s8
	v_cndmask_b32_e64 v77, 0xff7fffff, v77, s9
	v_mul_f32_e32 v89, s19, v122
	v_max3_f32 v79, v81, v80, v79
	v_cndmask_b32_e64 v80, 0xff7fffff, v92, s10
	v_cndmask_b32_e64 v81, 0xff7fffff, v91, s11
	v_cmp_gt_i32_e64 s13, s18, v72
	v_or_b32_e32 v75, 28, v135
	v_max3_f32 v77, v79, v78, v77
	v_or_b32_e32 v76, 30, v135
	v_mul_f32_e32 v87, s19, v124
	v_cndmask_b32_e64 v71, 0xff7fffff, v90, s12
	v_cndmask_b32_e64 v72, 0xff7fffff, v89, s13
	v_max3_f32 v77, v77, v80, v81
	v_cmp_gt_i32_e64 s15, s18, v73
	v_cmp_gt_i32_e64 s16, s18, v74
	v_dual_mul_f32 v85, s19, v126 :: v_dual_mul_f32 v86, s19, v125
	s_delay_alu instid0(VALU_DEP_4) | instskip(NEXT) | instid1(VALU_DEP_4)
	v_max3_f32 v71, v77, v71, v72
	v_cndmask_b32_e64 v73, 0xff7fffff, v88, s15
	s_delay_alu instid0(VALU_DEP_4) | instskip(SKIP_2) | instid1(VALU_DEP_3)
	v_cndmask_b32_e64 v74, 0xff7fffff, v87, s16
	v_cmp_gt_i32_e64 s17, s18, v75
	v_cmp_gt_i32_e64 s18, s18, v76
	v_max3_f32 v71, v71, v73, v74
	s_delay_alu instid0(VALU_DEP_3) | instskip(NEXT) | instid1(VALU_DEP_3)
	v_cndmask_b32_e64 v72, 0xff7fffff, v86, s17
	v_cndmask_b32_e64 v75, 0xff7fffff, v85, s18
	v_lshlrev_b32_e32 v73, 2, v136
	s_delay_alu instid0(VALU_DEP_2) | instskip(SKIP_3) | instid1(VALU_DEP_1)
	v_max3_f32 v71, v71, v72, v75
	ds_bpermute_b32 v72, v73, v71
	s_waitcnt lgkmcnt(0)
	v_max_f32_e32 v72, v72, v72
	v_max_f32_e32 v71, v71, v72
	s_delay_alu instid0(VALU_DEP_1)
	v_fma_f32 v72, s19, v127, -v71
	v_fma_f32 v74, s19, v128, -v71
	;; [unrolled: 1-line block ×5, first 2 shown]
	v_mul_f32_e32 v72, 0x3fb8aa3b, v72
	v_mul_f32_e32 v74, 0x3fb8aa3b, v74
	v_fma_f32 v80, s19, v133, -v71
	s_delay_alu instid0(VALU_DEP_4) | instskip(NEXT) | instid1(VALU_DEP_4)
	v_dual_mul_f32 v76, 0x3fb8aa3b, v76 :: v_dual_mul_f32 v77, 0x3fb8aa3b, v77
	v_exp_f32_e32 v72, v72
	s_delay_alu instid0(VALU_DEP_3) | instskip(NEXT) | instid1(VALU_DEP_2)
	v_exp_f32_e32 v74, v74
	v_mul_f32_e32 v82, 0x3fb8aa3b, v80
	s_delay_alu instid0(VALU_DEP_2) | instskip(SKIP_1) | instid1(VALU_DEP_1)
	v_exp_f32_e32 v76, v76
	v_exp_f32_e32 v77, v77
	;; [unrolled: 1-line block ×3, first 2 shown]
	v_cndmask_b32_e32 v79, 0, v72, vcc_lo
	v_fma_f32 v72, s19, v132, -v71
	v_mul_f32_e32 v75, 0x3fb8aa3b, v75
	v_cndmask_b32_e64 v78, 0, v74, s3
	s_delay_alu instid0(TRANS32_DEP_3)
	v_cndmask_b32_e64 v80, 0, v76, s5
	v_add_f32_e32 v74, 0, v79
	v_mul_f32_e32 v72, 0x3fb8aa3b, v72
	v_exp_f32_e32 v75, v75
	v_cndmask_b32_e64 v83, 0, v77, s6
	v_cndmask_b32_e64 v85, 0, v84, s8
	v_add_f32_e32 v74, v74, v78
	v_exp_f32_e32 v72, v72
	v_cmp_gt_u32_e64 s3, 16, v70
	s_waitcnt_depctr 0xfff
	v_cndmask_b32_e64 v81, 0, v75, s4
	v_cndmask_b32_e64 v82, 0, v72, s7
	s_delay_alu instid0(VALU_DEP_2) | instskip(NEXT) | instid1(VALU_DEP_1)
	v_add_f32_e32 v74, v74, v81
	v_add_f32_e32 v74, v74, v80
	s_delay_alu instid0(VALU_DEP_1) | instskip(SKIP_4) | instid1(VALU_DEP_4)
	v_add_f32_e32 v72, v74, v83
	v_fma_f32 v75, s19, v134, -v71
	v_fma_f32 v76, s19, v119, -v71
	;; [unrolled: 1-line block ×4, first 2 shown]
	v_dual_add_f32 v72, v72, v82 :: v_dual_mul_f32 v75, 0x3fb8aa3b, v75
	s_delay_alu instid0(VALU_DEP_3) | instskip(SKIP_1) | instid1(VALU_DEP_3)
	v_dual_mul_f32 v76, 0x3fb8aa3b, v76 :: v_dual_mul_f32 v77, 0x3fb8aa3b, v77
	v_fma_f32 v86, s19, v122, -v71
	v_add_f32_e32 v72, v72, v85
	s_delay_alu instid0(VALU_DEP_4) | instskip(NEXT) | instid1(VALU_DEP_3)
	v_exp_f32_e32 v75, v75
	v_exp_f32_e32 v76, v76
	;; [unrolled: 1-line block ×3, first 2 shown]
	v_mul_f32_e32 v86, 0x3fb8aa3b, v86
	s_delay_alu instid0(VALU_DEP_1) | instskip(SKIP_3) | instid1(TRANS32_DEP_3)
	v_exp_f32_e32 v88, v86
	v_cndmask_b32_e64 v84, 0, v75, s9
	v_fma_f32 v75, s19, v123, -v71
	v_mul_f32_e32 v74, 0x3fb8aa3b, v74
	v_cndmask_b32_e64 v87, 0, v76, s10
	v_fma_f32 v76, s19, v124, -v71
	s_delay_alu instid0(VALU_DEP_4) | instskip(NEXT) | instid1(VALU_DEP_4)
	v_dual_add_f32 v72, v72, v84 :: v_dual_mul_f32 v75, 0x3fb8aa3b, v75
	v_exp_f32_e32 v74, v74
	v_cndmask_b32_e64 v86, 0, v77, s11
	v_fma_f32 v77, s19, v125, -v71
	s_delay_alu instid0(VALU_DEP_3) | instskip(SKIP_3) | instid1(VALU_DEP_3)
	v_add_f32_e32 v72, v72, v87
	v_mul_f32_e32 v76, 0x3fb8aa3b, v76
	v_exp_f32_e32 v75, v75
	v_cndmask_b32_e64 v88, 0, v88, s13
	v_add_f32_e32 v72, v72, v86
	s_delay_alu instid0(VALU_DEP_3) | instskip(NEXT) | instid1(TRANS32_DEP_3)
	v_exp_f32_e32 v76, v76
	v_cndmask_b32_e64 v89, 0, v74, s12
	v_mul_f32_e32 v74, 0x3fb8aa3b, v77
	v_fma_f32 v77, s19, v126, -v71
	s_delay_alu instid0(VALU_DEP_3) | instskip(NEXT) | instid1(VALU_DEP_3)
	v_add_f32_e32 v72, v72, v89
	v_exp_f32_e32 v74, v74
	s_delay_alu instid0(TRANS32_DEP_3) | instskip(NEXT) | instid1(VALU_DEP_3)
	v_cndmask_b32_e64 v91, 0, v75, s15
	v_mul_f32_e32 v75, 0x3fb8aa3b, v77
	s_delay_alu instid0(TRANS32_DEP_2) | instskip(SKIP_1) | instid1(VALU_DEP_3)
	v_cndmask_b32_e64 v90, 0, v76, s16
	v_add_f32_e32 v72, v72, v88
	v_exp_f32_e32 v75, v75
	s_delay_alu instid0(VALU_DEP_1) | instskip(NEXT) | instid1(TRANS32_DEP_2)
	v_add_f32_e32 v72, v72, v91
	v_cndmask_b32_e64 v93, 0, v74, s17
	s_delay_alu instid0(VALU_DEP_2) | instskip(SKIP_3) | instid1(VALU_DEP_1)
	v_add_f32_e32 v72, v72, v90
	s_waitcnt_depctr 0xfff
	v_cndmask_b32_e64 v92, 0, v75, s18
	v_add_f32_e32 v72, v72, v93
	v_add_f32_e32 v72, v72, v92
	ds_bpermute_b32 v73, v73, v72
	s_and_saveexec_b32 s4, s3
	s_cbranch_execz .LBB1138_12
; %bb.11:
	v_mul_u32_u24_e32 v70, 0x44, v69
	s_waitcnt lgkmcnt(0)
	v_add_f32_e32 v72, v72, v73
	s_delay_alu instid0(VALU_DEP_2) | instskip(NEXT) | instid1(VALU_DEP_1)
	v_lshl_add_u32 v70, v68, 2, v70
	v_add_nc_u32_e32 v70, 0x4000, v70
	ds_store_2addr_b32 v70, v71, v72 offset1:136
.LBB1138_12:
	s_or_b32 exec_lo, exec_lo, s4
	v_lshlrev_b32_e32 v70, 2, v68
	s_load_b32 s36, s[0:1], 0x94
	s_waitcnt lgkmcnt(0)
	s_barrier
	buffer_gl0_inv
	v_add_nc_u32_e32 v98, 0x4000, v70
	v_cmp_eq_u32_e32 vcc_lo, 1, v69
	v_cmp_eq_u32_e64 s4, 2, v69
	v_cmp_eq_u32_e64 s5, 3, v69
	;; [unrolled: 1-line block ×3, first 2 shown]
	ds_load_2addr_b32 v[70:71], v98 offset1:17
	ds_load_2addr_b32 v[72:73], v98 offset0:34 offset1:51
	ds_load_2addr_b32 v[74:75], v98 offset0:68 offset1:85
	;; [unrolled: 1-line block ×3, first 2 shown]
	v_cmp_eq_u32_e64 s7, 5, v69
	v_cmp_eq_u32_e64 s8, 7, v69
	s_waitcnt lgkmcnt(3)
	v_max3_f32 v76, v70, 0xff7fffff, v71
	s_waitcnt lgkmcnt(2)
	s_delay_alu instid0(VALU_DEP_1) | instskip(SKIP_1) | instid1(VALU_DEP_1)
	v_max3_f32 v76, v76, v72, v73
	s_waitcnt lgkmcnt(1)
	v_max3_f32 v76, v76, v74, v75
	s_waitcnt lgkmcnt(0)
	s_delay_alu instid0(VALU_DEP_1) | instskip(NEXT) | instid1(VALU_DEP_1)
	v_max3_f32 v76, v76, v94, v95
	v_sub_f32_e32 v77, v71, v76
	ds_load_2addr_b32 v[96:97], v98 offset0:136 offset1:153
	v_sub_f32_e32 v74, v74, v76
	v_sub_f32_e32 v70, v70, v76
	;; [unrolled: 1-line block ×3, first 2 shown]
	v_dual_sub_f32 v72, v72, v76 :: v_dual_mul_f32 v77, 0x3fb8aa3b, v77
	s_delay_alu instid0(VALU_DEP_4) | instskip(NEXT) | instid1(VALU_DEP_4)
	v_mul_f32_e32 v103, 0x3fb8aa3b, v74
	v_mul_f32_e32 v99, 0x3fb8aa3b, v70
	ds_load_2addr_b32 v[70:71], v98 offset0:170 offset1:187
	v_dual_mul_f32 v101, 0x3fb8aa3b, v72 :: v_dual_mul_f32 v94, 0x3fb8aa3b, v94
	v_exp_f32_e32 v102, v77
	v_exp_f32_e32 v99, v99
	s_delay_alu instid0(VALU_DEP_1) | instskip(NEXT) | instid1(VALU_DEP_1)
	v_exp_f32_e32 v101, v101
	v_exp_f32_e32 v94, v94
	s_waitcnt lgkmcnt(1)
	s_delay_alu instid0(TRANS32_DEP_3)
	v_fma_f32 v77, v99, v96, 0
	v_sub_f32_e32 v100, v73, v76
	ds_load_2addr_b32 v[72:73], v98 offset0:204 offset1:221
	v_fmac_f32_e32 v77, v102, v97
	v_exp_f32_e32 v97, v103
	s_waitcnt lgkmcnt(1)
	s_delay_alu instid0(VALU_DEP_1)
	v_dual_fmac_f32 v77, v101, v70 :: v_dual_sub_f32 v96, v75, v76
	ds_load_2addr_b32 v[74:75], v98 offset0:238 offset1:255
	v_sub_f32_e32 v70, v95, v76
	s_waitcnt lgkmcnt(0)
	s_barrier
	v_mul_f32_e32 v96, 0x3fb8aa3b, v96
	buffer_gl0_inv
	v_exp_f32_e32 v95, v96
	v_mul_f32_e32 v100, 0x3fb8aa3b, v100
	s_delay_alu instid0(VALU_DEP_1) | instskip(SKIP_3) | instid1(VALU_DEP_2)
	v_exp_f32_e32 v100, v100
	s_waitcnt_depctr 0xfff
	v_dual_fmac_f32 v77, v100, v71 :: v_dual_mul_f32 v70, 0x3fb8aa3b, v70
	v_cndmask_b32_e32 v71, v99, v102, vcc_lo
	v_fmac_f32_e32 v77, v97, v72
	s_delay_alu instid0(VALU_DEP_3) | instskip(NEXT) | instid1(VALU_DEP_1)
	v_exp_f32_e32 v96, v70
	v_fmac_f32_e32 v77, v95, v73
	s_delay_alu instid0(VALU_DEP_1) | instskip(SKIP_2) | instid1(VALU_DEP_1)
	v_fmac_f32_e32 v77, v94, v74
	s_waitcnt_depctr 0xfff
	v_fmac_f32_e32 v77, v96, v75
	v_add_f32_e32 v74, 0x358637bd, v77
	s_delay_alu instid0(VALU_DEP_1) | instskip(SKIP_1) | instid1(VALU_DEP_2)
	v_div_scale_f32 v98, null, v74, v74, 1.0
	v_div_scale_f32 v99, vcc_lo, 1.0, v74, 1.0
	v_rcp_f32_e32 v103, v98
	s_waitcnt_depctr 0xfff
	v_fma_f32 v70, -v98, v103, 1.0
	s_delay_alu instid0(VALU_DEP_1) | instskip(SKIP_2) | instid1(VALU_DEP_2)
	v_fmac_f32_e32 v103, v70, v103
	v_cndmask_b32_e64 v70, v71, v101, s4
	v_cmp_eq_u32_e64 s4, 6, v69
	v_cndmask_b32_e64 v71, v70, v100, s5
	s_delay_alu instid0(VALU_DEP_4) | instskip(NEXT) | instid1(VALU_DEP_2)
	v_dual_mul_f32 v101, v99, v103 :: v_dual_lshlrev_b32 v70, 2, v66
	v_cndmask_b32_e64 v71, v71, v97, s6
	s_delay_alu instid0(VALU_DEP_2) | instskip(NEXT) | instid1(VALU_DEP_3)
	v_or_b32_e32 v72, 1, v70
	v_fma_f32 v100, -v98, v101, v99
	v_cmp_eq_u32_e64 s5, 1, v70
	v_cmp_eq_u32_e64 s6, 2, v70
	v_cndmask_b32_e64 v95, v71, v95, s7
	v_or_b32_e32 v71, 3, v70
	v_fmac_f32_e32 v101, v100, v103
	v_cmp_eq_u32_e64 s10, 1, v72
	v_cmp_eq_u32_e64 s13, 2, v72
	v_cndmask_b32_e64 v94, v95, v94, s4
	v_cmp_eq_u32_e64 s12, 1, v71
	v_fma_f32 v97, -v98, v101, v99
	v_cmp_eq_u32_e64 s17, 2, v71
	v_cmp_eq_u32_e64 s15, 3, v72
	v_cndmask_b32_e64 v94, v94, v96, s8
	v_cmp_eq_u32_e64 s19, 3, v71
	v_div_fmas_f32 v95, v97, v103, v101
	v_cmp_eq_u32_e32 vcc_lo, 3, v70
	v_cmp_eq_u32_e64 s4, 4, v70
	v_cmp_eq_u32_e64 s20, 4, v72
	;; [unrolled: 1-line block ×3, first 2 shown]
	v_div_fixup_f32 v95, v95, v74, 1.0
	v_lshlrev_b32_e32 v73, 6, v68
	v_cmp_eq_u32_e64 s7, 5, v70
	v_cmp_eq_u32_e64 s21, 5, v72
	;; [unrolled: 1-line block ×3, first 2 shown]
	v_mul_f32_e32 v102, v94, v95
	v_lshl_or_b32 v75, v69, 11, v73
	v_or_b32_e32 v69, 2, v70
	v_cmp_eq_u32_e64 s26, 6, v72
	v_cmp_eq_u32_e64 s28, 6, v71
	v_fma_mixlo_f16 v94, v102, v79, 0
	v_fma_mixlo_f16 v95, v102, v81, 0
	;; [unrolled: 1-line block ×8, first 2 shown]
	v_lshl_or_b32 v74, v66, 4, v75
	v_fma_mixhi_f16 v94, v102, v78, 0
	v_fma_mixhi_f16 v95, v102, v80, 0
	;; [unrolled: 1-line block ×8, first 2 shown]
	ds_store_b128 v74, v[94:97]
	ds_store_b128 v74, v[98:101] offset:1024
	s_waitcnt lgkmcnt(0)
	s_barrier
	buffer_gl0_inv
	ds_load_b128 v[78:81], v75
	ds_load_b128 v[82:85], v75 offset:16
	ds_load_b128 v[86:89], v75 offset:1024
	;; [unrolled: 1-line block ×3, first 2 shown]
	v_cmp_eq_u32_e64 s11, 1, v69
	v_cmp_eq_u32_e64 s16, 2, v69
	;; [unrolled: 1-line block ×11, first 2 shown]
	s_waitcnt lgkmcnt(3)
	v_lshrrev_b32_e32 v94, 16, v78
	s_waitcnt lgkmcnt(2)
	v_lshrrev_b32_e32 v98, 16, v82
	;; [unrolled: 2-line block ×4, first 2 shown]
	v_lshrrev_b32_e32 v95, 16, v79
	v_cndmask_b32_e64 v110, v78, v94, s5
	v_cndmask_b32_e64 v111, v82, v98, s5
	;; [unrolled: 1-line block ×8, first 2 shown]
	v_lshrrev_b32_e32 v99, 16, v83
	v_cndmask_b32_e64 v94, v86, v102, s5
	v_cndmask_b32_e64 v98, v90, v106, s5
	;; [unrolled: 1-line block ×15, first 2 shown]
	v_lshrrev_b32_e32 v103, 16, v87
	v_lshrrev_b32_e32 v107, 16, v91
	v_cndmask_b32_e64 v113, v115, v83, s16
	v_cndmask_b32_e64 v82, v94, v87, s6
	;; [unrolled: 1-line block ×7, first 2 shown]
	v_cndmask_b32_e32 v90, v102, v95, vcc_lo
	v_cndmask_b32_e32 v102, v106, v99, vcc_lo
	v_cndmask_b32_e64 v106, v110, v95, s15
	v_cndmask_b32_e64 v110, v111, v99, s15
	;; [unrolled: 1-line block ×4, first 2 shown]
	v_lshrrev_b32_e32 v96, 16, v80
	v_lshrrev_b32_e32 v100, 16, v84
	v_cndmask_b32_e64 v111, v112, v95, s18
	v_cndmask_b32_e64 v112, v113, v99, s18
	v_cndmask_b32_e32 v82, v82, v103, vcc_lo
	v_cndmask_b32_e32 v83, v83, v107, vcc_lo
	v_cndmask_b32_e64 v94, v94, v103, s15
	v_cndmask_b32_e64 v90, v90, v80, s4
	;; [unrolled: 1-line block ×7, first 2 shown]
	v_lshrrev_b32_e32 v104, 16, v88
	v_cndmask_b32_e64 v106, v111, v80, s22
	v_cndmask_b32_e64 v110, v112, v84, s22
	v_cndmask_b32_e64 v80, v82, v88, s4
	v_cndmask_b32_e64 v82, v83, v92, s4
	v_cndmask_b32_e64 v83, v94, v88, s20
	v_cndmask_b32_e64 v84, v90, v96, s7
	v_cndmask_b32_e64 v90, v95, v100, s7
	v_cndmask_b32_e64 v94, v99, v96, s21
	v_cndmask_b32_e64 v95, v102, v100, s21
	v_cndmask_b32_e64 v78, v78, v96, s25
	v_cndmask_b32_e64 v79, v79, v100, s25
	v_lshrrev_b32_e32 v97, 16, v81
	v_lshrrev_b32_e32 v101, 16, v85
	v_cndmask_b32_e64 v99, v106, v96, s24
	v_cndmask_b32_e64 v102, v110, v100, s24
	;; [unrolled: 1-line block ×7, first 2 shown]
	v_lshrrev_b32_e32 v105, 16, v89
	v_cndmask_b32_e64 v80, v80, v104, s7
	v_cndmask_b32_e64 v84, v84, v81, s8
	;; [unrolled: 1-line block ×16, first 2 shown]
	v_perm_b32 v81, v79, v78, 0x5040100
	v_perm_b32 v79, v95, v85, 0x5040100
	v_cndmask_b32_e64 v78, v119, v91, s16
	v_cndmask_b32_e64 v85, v117, v91, s13
	;; [unrolled: 1-line block ×3, first 2 shown]
	v_perm_b32 v80, v94, v90, 0x5040100
	v_cndmask_b32_e64 v90, v98, v103, s18
	v_cndmask_b32_e64 v86, v86, v103, s19
	;; [unrolled: 1-line block ×5, first 2 shown]
	v_lshrrev_b32_e32 v108, 16, v92
	v_cndmask_b32_e64 v90, v90, v88, s22
	v_cndmask_b32_e64 v86, v86, v88, s23
	v_cndmask_b32_e64 v87, v87, v92, s23
	v_cndmask_b32_e64 v78, v78, v92, s22
	v_cndmask_b32_e64 v85, v85, v92, s20
	v_cndmask_b32_e64 v82, v82, v108, s7
	v_cndmask_b32_e64 v88, v90, v104, s24
	v_cndmask_b32_e64 v86, v86, v104, s25
	v_cndmask_b32_e64 v87, v87, v108, s25
	v_cndmask_b32_e64 v78, v78, v108, s24
	v_cndmask_b32_e64 v85, v85, v108, s21
	v_lshrrev_b32_e32 v109, 16, v93
	v_cndmask_b32_e64 v82, v82, v93, s8
	v_cndmask_b32_e64 v88, v88, v89, s27
	;; [unrolled: 1-line block ×12, first 2 shown]
	v_perm_b32 v78, v84, v83, 0x5040100
	v_perm_b32 v85, v87, v86, 0x5040100
	;; [unrolled: 1-line block ×5, first 2 shown]
	s_mul_i32 s9, s35, 5
	s_mov_b32 s4, exec_lo
	ds_store_b128 v74, v[78:81]
	ds_store_b128 v74, v[82:85] offset:1024
	v_cmpx_gt_u32_e32 5, v0
	s_cbranch_execz .LBB1138_14
; %bb.13:
	s_mul_i32 s5, s9, s34
	s_load_b128 s[16:19], s[0:1], 0x58
	v_add3_u32 v68, s5, s33, v68
	s_delay_alu instid0(VALU_DEP_1) | instskip(NEXT) | instid1(VALU_DEP_1)
	v_mad_u64_u32 v[78:79], null, v68, s36, s[14:15]
	v_ashrrev_i32_e32 v79, 31, v78
	s_delay_alu instid0(VALU_DEP_1) | instskip(SKIP_1) | instid1(VALU_DEP_1)
	v_lshlrev_b64 v[78:79], 2, v[78:79]
	s_waitcnt lgkmcnt(0)
	v_add_co_u32 v80, vcc_lo, s18, v78
	s_delay_alu instid0(VALU_DEP_2)
	v_add_co_ci_u32_e32 v81, vcc_lo, s19, v79, vcc_lo
	v_add_co_u32 v78, vcc_lo, s16, v78
	v_add_co_ci_u32_e32 v79, vcc_lo, s17, v79, vcc_lo
	global_store_b32 v[80:81], v76, off
	global_store_b32 v[78:79], v77, off
.LBB1138_14:
	s_or_b32 exec_lo, exec_lo, s4
	s_waitcnt lgkmcnt(0)
	s_waitcnt_vscnt null, 0x0
	s_barrier
	buffer_gl0_inv
	ds_load_b128 v[84:87], v73
	ds_load_b128 v[88:91], v73 offset:16
	ds_load_b128 v[96:99], v73 offset:2064
	;; [unrolled: 1-line block ×5, first 2 shown]
	v_cmp_eq_u32_e32 vcc_lo, 1, v70
	v_mov_b32_e32 v76, 0
	ds_load_b128 v[112:115], v73 offset:6160
	ds_load_b128 v[108:111], v73 offset:6144
	;; [unrolled: 1-line block ×4, first 2 shown]
	v_cmp_eq_u32_e64 s5, 1, v69
	v_cmp_eq_u32_e64 s4, 1, v72
	;; [unrolled: 1-line block ×3, first 2 shown]
	v_mov_b32_e32 v77, v76
	v_mov_b32_e32 v78, v76
	v_mov_b32_e32 v79, v76
	v_mov_b32_e32 v80, v76
	v_mov_b32_e32 v81, v76
	v_mov_b32_e32 v82, v76
	v_mov_b32_e32 v83, v76
	v_cmp_eq_u32_e64 s7, 3, v72
	v_cmp_eq_u32_e64 s8, 7, v72
	s_waitcnt lgkmcnt(8)
	s_delay_alu instid0(VALU_DEP_3)
	v_wmma_f32_16x16x16_f16 v[76:83], v[49:56], v[84:91], v[76:83]
	ds_load_b128 v[53:56], v73 offset:10256
	ds_load_b128 v[49:52], v73 offset:10240
	s_waitcnt lgkmcnt(8)
	v_wmma_f32_16x16x16_f16 v[76:83], v[41:48], v[92:99], v[76:83]
	ds_load_b128 v[45:48], v73 offset:12304
	ds_load_b128 v[41:44], v73 offset:12288
	s_waitcnt lgkmcnt(8)
	v_wmma_f32_16x16x16_f16 v[76:83], v[33:40], v[100:107], v[76:83]
	ds_load_b128 v[37:40], v73 offset:14352
	ds_load_b128 v[33:36], v73 offset:14336
	s_waitcnt lgkmcnt(0)
	s_barrier
	buffer_gl0_inv
	v_wmma_f32_16x16x16_f16 v[76:83], v[1:8], v[108:115], v[76:83]
	s_delay_alu instid0(VALU_DEP_1) | instskip(NEXT) | instid1(VALU_DEP_1)
	v_wmma_f32_16x16x16_f16 v[76:83], v[9:16], v[116:123], v[76:83]
	v_wmma_f32_16x16x16_f16 v[76:83], v[17:24], v[49:56], v[76:83]
	s_delay_alu instid0(VALU_DEP_1) | instskip(NEXT) | instid1(VALU_DEP_1)
	v_wmma_f32_16x16x16_f16 v[76:83], v[25:32], v[41:48], v[76:83]
	v_wmma_f32_16x16x16_f16 v[76:83], v[57:64], v[33:40], v[76:83]
	s_delay_alu instid0(VALU_DEP_1) | instskip(NEXT) | instid1(VALU_DEP_2)
	v_cvt_f16_f32_e32 v1, v76
	v_cvt_f16_f32_e32 v2, v77
	s_delay_alu instid0(VALU_DEP_3) | instskip(NEXT) | instid1(VALU_DEP_4)
	v_cvt_f16_f32_e32 v3, v78
	v_cvt_f16_f32_e32 v4, v79
	;; [unrolled: 1-line block ×6, first 2 shown]
	v_pack_b32_f16 v1, v1, v2
	v_pack_b32_f16 v2, v3, v4
	;; [unrolled: 1-line block ×3, first 2 shown]
	s_delay_alu instid0(VALU_DEP_4)
	v_pack_b32_f16 v4, v7, v8
	ds_store_b128 v74, v[1:4]
	s_waitcnt lgkmcnt(0)
	s_barrier
	buffer_gl0_inv
	ds_load_b128 v[1:4], v75
	ds_load_b128 v[5:8], v75 offset:16
	s_waitcnt lgkmcnt(1)
	v_lshrrev_b32_e32 v9, 16, v1
	s_waitcnt lgkmcnt(0)
	v_lshrrev_b32_e32 v13, 16, v5
	v_lshrrev_b32_e32 v10, 16, v2
	v_lshrrev_b32_e32 v14, 16, v6
	v_lshrrev_b32_e32 v11, 16, v3
	v_cndmask_b32_e32 v17, v1, v9, vcc_lo
	v_cndmask_b32_e32 v18, v5, v13, vcc_lo
	v_cndmask_b32_e64 v21, v1, v9, s5
	v_cmp_eq_u32_e32 vcc_lo, 1, v71
	v_cndmask_b32_e64 v22, v5, v13, s5
	v_cmp_eq_u32_e64 s5, 2, v70
	v_cndmask_b32_e64 v19, v1, v9, s4
	v_cndmask_b32_e64 v20, v5, v13, s4
	v_cndmask_b32_e32 v1, v1, v9, vcc_lo
	v_cmp_eq_u32_e64 s4, 2, v71
	v_cndmask_b32_e32 v5, v5, v13, vcc_lo
	v_cndmask_b32_e64 v9, v17, v2, s5
	v_cmp_eq_u32_e32 vcc_lo, 3, v70
	v_cndmask_b32_e64 v13, v18, v6, s5
	v_cmp_eq_u32_e64 s5, 2, v69
	v_cndmask_b32_e64 v17, v19, v2, s6
	v_cndmask_b32_e64 v18, v20, v6, s6
	v_cmp_eq_u32_e64 s6, 3, v69
	v_cndmask_b32_e64 v1, v1, v2, s4
	v_cndmask_b32_e64 v19, v21, v2, s5
	;; [unrolled: 1-line block ×4, first 2 shown]
	v_cndmask_b32_e32 v5, v9, v10, vcc_lo
	v_cndmask_b32_e32 v6, v13, v14, vcc_lo
	v_cmp_eq_u32_e32 vcc_lo, 3, v71
	v_cndmask_b32_e64 v9, v17, v10, s7
	v_cndmask_b32_e64 v13, v18, v14, s7
	;; [unrolled: 1-line block ×3, first 2 shown]
	v_cmp_eq_u32_e64 s5, 4, v70
	v_cndmask_b32_e32 v1, v1, v10, vcc_lo
	v_cndmask_b32_e32 v2, v2, v14, vcc_lo
	v_cmp_eq_u32_e32 vcc_lo, 4, v72
	v_lshrrev_b32_e32 v15, 16, v7
	v_lshrrev_b32_e32 v16, 16, v8
	v_cndmask_b32_e64 v17, v19, v10, s6
	v_cmp_eq_u32_e64 s4, 4, v71
	v_cndmask_b32_e64 v5, v5, v3, s5
	v_cndmask_b32_e64 v6, v6, v7, s5
	v_cndmask_b32_e32 v9, v9, v3, vcc_lo
	v_cmp_eq_u32_e64 s5, 5, v72
	v_cndmask_b32_e32 v10, v13, v7, vcc_lo
	v_cmp_eq_u32_e32 vcc_lo, 4, v69
	v_cmp_eq_u32_e64 s6, 5, v70
	v_cndmask_b32_e64 v2, v2, v7, s4
	v_cndmask_b32_e64 v9, v9, v11, s5
	;; [unrolled: 1-line block ×3, first 2 shown]
	v_cndmask_b32_e32 v13, v17, v3, vcc_lo
	v_cmp_eq_u32_e64 s5, 5, v69
	v_cndmask_b32_e32 v14, v18, v7, vcc_lo
	v_cndmask_b32_e64 v1, v1, v3, s4
	v_cmp_eq_u32_e32 vcc_lo, 5, v71
	v_lshrrev_b32_e32 v12, 16, v4
	v_cndmask_b32_e64 v13, v13, v11, s5
	v_cndmask_b32_e64 v3, v14, v15, s5
	v_cmp_eq_u32_e64 s5, 6, v71
	v_cndmask_b32_e32 v1, v1, v11, vcc_lo
	v_cndmask_b32_e64 v5, v5, v11, s6
	v_cmp_eq_u32_e64 s7, 6, v70
	v_cndmask_b32_e64 v6, v6, v15, s6
	v_cmp_eq_u32_e64 s6, 6, v72
	v_cmp_eq_u32_e64 s4, 6, v69
	v_cndmask_b32_e64 v1, v1, v4, s5
	v_cndmask_b32_e32 v2, v2, v15, vcc_lo
	v_cmp_eq_u32_e32 vcc_lo, 7, v71
	v_cndmask_b32_e64 v5, v5, v4, s7
	v_cndmask_b32_e64 v9, v9, v4, s6
	;; [unrolled: 1-line block ×3, first 2 shown]
	v_cmp_eq_u32_e64 s7, 7, v70
	v_cndmask_b32_e32 v1, v1, v12, vcc_lo
	v_cndmask_b32_e64 v7, v13, v4, s4
	v_cndmask_b32_e64 v3, v3, v8, s4
	;; [unrolled: 1-line block ×3, first 2 shown]
	v_cmp_eq_u32_e64 s4, 7, v69
	v_cndmask_b32_e64 v4, v10, v8, s6
	v_cndmask_b32_e64 v5, v5, v12, s7
	;; [unrolled: 1-line block ×3, first 2 shown]
	v_cndmask_b32_e32 v2, v2, v16, vcc_lo
	v_cndmask_b32_e64 v7, v7, v12, s4
	v_cndmask_b32_e64 v3, v3, v16, s4
	v_cndmask_b32_e64 v8, v4, v16, s8
	v_cndmask_b32_e64 v6, v6, v16, s7
	v_cmp_gt_u32_e32 vcc_lo, 32, v0
	v_perm_b32 v4, v2, v1, 0x5040100
	v_perm_b32 v3, v3, v7, 0x5040100
	;; [unrolled: 1-line block ×4, first 2 shown]
	s_and_b32 s2, vcc_lo, s2
	ds_store_b128 v74, v[1:4]
	s_waitcnt lgkmcnt(0)
	s_barrier
	buffer_gl0_inv
	s_and_saveexec_b32 s4, s2
	s_cbranch_execz .LBB1138_2
; %bb.15:
	s_load_b64 s[4:5], s[0:1], 0x68
	v_lshlrev_b32_e32 v0, 10, v0
	v_add_nc_u32_e32 v2, s33, v66
	v_lshlrev_b32_e32 v3, 4, v67
	s_lshl_b32 s0, s36, 6
	s_delay_alu instid0(SALU_CYCLE_1) | instskip(NEXT) | instid1(VALU_DEP_2)
	s_mul_i32 s1, s0, s34
	v_mul_lo_u32 v1, v2, s0
	s_delay_alu instid0(VALU_DEP_2) | instskip(SKIP_2) | instid1(SALU_CYCLE_1)
	v_and_or_b32 v0, 0x3800, v0, v3
	v_add_nc_u32_e32 v2, 2, v2
	s_mul_i32 s6, s1, s9
	s_ashr_i32 s7, s6, 31
	s_delay_alu instid0(VALU_DEP_2)
	v_lshl_or_b32 v7, v66, 6, v0
	s_lshl_b64 s[6:7], s[6:7], 1
	v_mul_lo_u32 v11, v2, s0
	v_ashrrev_i32_e32 v2, 31, v1
	ds_load_b128 v[3:6], v7
	ds_load_b128 v[7:10], v7 offset:128
	s_waitcnt lgkmcnt(0)
	s_add_u32 s1, s4, s6
	s_addc_u32 s2, s5, s7
	s_lshl_b32 s4, s14, 6
	v_ashrrev_i32_e32 v12, 31, v11
	s_ashr_i32 s5, s4, 31
	v_lshlrev_b64 v[13:14], 1, v[1:2]
	s_lshl_b64 s[4:5], s[4:5], 1
	s_delay_alu instid0(SALU_CYCLE_1) | instskip(SKIP_2) | instid1(VALU_DEP_1)
	s_add_u32 s1, s1, s4
	s_addc_u32 s2, s2, s5
	v_add_co_u32 v1, s1, s1, v65
	v_add_co_ci_u32_e64 v2, null, s2, 0, s1
	v_lshlrev_b64 v[11:12], 1, v[11:12]
	s_delay_alu instid0(VALU_DEP_3) | instskip(NEXT) | instid1(VALU_DEP_3)
	v_add_co_u32 v13, vcc_lo, v1, v13
	v_add_co_ci_u32_e32 v14, vcc_lo, v2, v14, vcc_lo
	s_delay_alu instid0(VALU_DEP_3) | instskip(NEXT) | instid1(VALU_DEP_4)
	v_add_co_u32 v11, vcc_lo, v1, v11
	v_add_co_ci_u32_e32 v12, vcc_lo, v2, v12, vcc_lo
	s_clause 0x1
	global_store_b128 v[13:14], v[3:6], off
	global_store_b128 v[11:12], v[7:10], off
	s_and_b32 exec_lo, exec_lo, s3
	s_cbranch_execz .LBB1138_2
; %bb.16:
	ds_load_b128 v[3:6], v0 offset:256
	s_add_i32 s1, s33, 4
	s_delay_alu instid0(SALU_CYCLE_1) | instskip(NEXT) | instid1(SALU_CYCLE_1)
	s_mul_i32 s0, s1, s0
	s_ashr_i32 s1, s0, 31
	s_delay_alu instid0(SALU_CYCLE_1) | instskip(NEXT) | instid1(SALU_CYCLE_1)
	s_lshl_b64 s[0:1], s[0:1], 1
	v_add_co_u32 v0, vcc_lo, v1, s0
	v_add_co_ci_u32_e32 v1, vcc_lo, s1, v2, vcc_lo
	s_waitcnt lgkmcnt(0)
	global_store_b128 v[0:1], v[3:6], off
	s_nop 0
	s_sendmsg sendmsg(MSG_DEALLOC_VGPRS)
	s_endpgm
	.section	.rodata,"a",@progbits
	.p2align	6, 0x0
	.amdhsa_kernel _Z39paged_attention_ll4mi_QKV_mfma16_kernelIDF16_hLN4vllm18Fp8KVCacheDataTypeE1EDF16_Li16ELi64ELi256ELb0ELi5EL8MFMAType0EEvPKT_PKT0_S8_ifPKiSA_SA_iPKfiiiPfSD_PS3_PT2_iSC_SC_
		.amdhsa_group_segment_fixed_size 17472
		.amdhsa_private_segment_fixed_size 0
		.amdhsa_kernarg_size 400
		.amdhsa_user_sgpr_count 13
		.amdhsa_user_sgpr_dispatch_ptr 0
		.amdhsa_user_sgpr_queue_ptr 0
		.amdhsa_user_sgpr_kernarg_segment_ptr 1
		.amdhsa_user_sgpr_dispatch_id 0
		.amdhsa_user_sgpr_private_segment_size 0
		.amdhsa_wavefront_size32 1
		.amdhsa_uses_dynamic_stack 0
		.amdhsa_enable_private_segment 0
		.amdhsa_system_sgpr_workgroup_id_x 1
		.amdhsa_system_sgpr_workgroup_id_y 1
		.amdhsa_system_sgpr_workgroup_id_z 1
		.amdhsa_system_sgpr_workgroup_info 0
		.amdhsa_system_vgpr_workitem_id 0
		.amdhsa_next_free_vgpr 146
		.amdhsa_next_free_sgpr 37
		.amdhsa_reserve_vcc 1
		.amdhsa_float_round_mode_32 0
		.amdhsa_float_round_mode_16_64 0
		.amdhsa_float_denorm_mode_32 3
		.amdhsa_float_denorm_mode_16_64 3
		.amdhsa_dx10_clamp 1
		.amdhsa_ieee_mode 1
		.amdhsa_fp16_overflow 0
		.amdhsa_workgroup_processor_mode 1
		.amdhsa_memory_ordered 1
		.amdhsa_forward_progress 0
		.amdhsa_shared_vgpr_count 0
		.amdhsa_exception_fp_ieee_invalid_op 0
		.amdhsa_exception_fp_denorm_src 0
		.amdhsa_exception_fp_ieee_div_zero 0
		.amdhsa_exception_fp_ieee_overflow 0
		.amdhsa_exception_fp_ieee_underflow 0
		.amdhsa_exception_fp_ieee_inexact 0
		.amdhsa_exception_int_div_zero 0
	.end_amdhsa_kernel
	.section	.text._Z39paged_attention_ll4mi_QKV_mfma16_kernelIDF16_hLN4vllm18Fp8KVCacheDataTypeE1EDF16_Li16ELi64ELi256ELb0ELi5EL8MFMAType0EEvPKT_PKT0_S8_ifPKiSA_SA_iPKfiiiPfSD_PS3_PT2_iSC_SC_,"axG",@progbits,_Z39paged_attention_ll4mi_QKV_mfma16_kernelIDF16_hLN4vllm18Fp8KVCacheDataTypeE1EDF16_Li16ELi64ELi256ELb0ELi5EL8MFMAType0EEvPKT_PKT0_S8_ifPKiSA_SA_iPKfiiiPfSD_PS3_PT2_iSC_SC_,comdat
.Lfunc_end1138:
	.size	_Z39paged_attention_ll4mi_QKV_mfma16_kernelIDF16_hLN4vllm18Fp8KVCacheDataTypeE1EDF16_Li16ELi64ELi256ELb0ELi5EL8MFMAType0EEvPKT_PKT0_S8_ifPKiSA_SA_iPKfiiiPfSD_PS3_PT2_iSC_SC_, .Lfunc_end1138-_Z39paged_attention_ll4mi_QKV_mfma16_kernelIDF16_hLN4vllm18Fp8KVCacheDataTypeE1EDF16_Li16ELi64ELi256ELb0ELi5EL8MFMAType0EEvPKT_PKT0_S8_ifPKiSA_SA_iPKfiiiPfSD_PS3_PT2_iSC_SC_
                                        ; -- End function
	.section	.AMDGPU.csdata,"",@progbits
; Kernel info:
; codeLenInByte = 6484
; NumSgprs: 39
; NumVgprs: 146
; ScratchSize: 0
; MemoryBound: 0
; FloatMode: 240
; IeeeMode: 1
; LDSByteSize: 17472 bytes/workgroup (compile time only)
; SGPRBlocks: 4
; VGPRBlocks: 18
; NumSGPRsForWavesPerEU: 39
; NumVGPRsForWavesPerEU: 146
; Occupancy: 9
; WaveLimiterHint : 1
; COMPUTE_PGM_RSRC2:SCRATCH_EN: 0
; COMPUTE_PGM_RSRC2:USER_SGPR: 13
; COMPUTE_PGM_RSRC2:TRAP_HANDLER: 0
; COMPUTE_PGM_RSRC2:TGID_X_EN: 1
; COMPUTE_PGM_RSRC2:TGID_Y_EN: 1
; COMPUTE_PGM_RSRC2:TGID_Z_EN: 1
; COMPUTE_PGM_RSRC2:TIDIG_COMP_CNT: 0
	.section	.text._Z39paged_attention_ll4mi_QKV_mfma16_kernelIDF16_hLN4vllm18Fp8KVCacheDataTypeE1EDF16_Li16ELi64ELi256ELb0ELi6EL8MFMAType0EEvPKT_PKT0_S8_ifPKiSA_SA_iPKfiiiPfSD_PS3_PT2_iSC_SC_,"axG",@progbits,_Z39paged_attention_ll4mi_QKV_mfma16_kernelIDF16_hLN4vllm18Fp8KVCacheDataTypeE1EDF16_Li16ELi64ELi256ELb0ELi6EL8MFMAType0EEvPKT_PKT0_S8_ifPKiSA_SA_iPKfiiiPfSD_PS3_PT2_iSC_SC_,comdat
	.protected	_Z39paged_attention_ll4mi_QKV_mfma16_kernelIDF16_hLN4vllm18Fp8KVCacheDataTypeE1EDF16_Li16ELi64ELi256ELb0ELi6EL8MFMAType0EEvPKT_PKT0_S8_ifPKiSA_SA_iPKfiiiPfSD_PS3_PT2_iSC_SC_ ; -- Begin function _Z39paged_attention_ll4mi_QKV_mfma16_kernelIDF16_hLN4vllm18Fp8KVCacheDataTypeE1EDF16_Li16ELi64ELi256ELb0ELi6EL8MFMAType0EEvPKT_PKT0_S8_ifPKiSA_SA_iPKfiiiPfSD_PS3_PT2_iSC_SC_
	.globl	_Z39paged_attention_ll4mi_QKV_mfma16_kernelIDF16_hLN4vllm18Fp8KVCacheDataTypeE1EDF16_Li16ELi64ELi256ELb0ELi6EL8MFMAType0EEvPKT_PKT0_S8_ifPKiSA_SA_iPKfiiiPfSD_PS3_PT2_iSC_SC_
	.p2align	8
	.type	_Z39paged_attention_ll4mi_QKV_mfma16_kernelIDF16_hLN4vllm18Fp8KVCacheDataTypeE1EDF16_Li16ELi64ELi256ELb0ELi6EL8MFMAType0EEvPKT_PKT0_S8_ifPKiSA_SA_iPKfiiiPfSD_PS3_PT2_iSC_SC_,@function
_Z39paged_attention_ll4mi_QKV_mfma16_kernelIDF16_hLN4vllm18Fp8KVCacheDataTypeE1EDF16_Li16ELi64ELi256ELb0ELi6EL8MFMAType0EEvPKT_PKT0_S8_ifPKiSA_SA_iPKfiiiPfSD_PS3_PT2_iSC_SC_: ; @_Z39paged_attention_ll4mi_QKV_mfma16_kernelIDF16_hLN4vllm18Fp8KVCacheDataTypeE1EDF16_Li16ELi64ELi256ELb0ELi6EL8MFMAType0EEvPKT_PKT0_S8_ifPKiSA_SA_iPKfiiiPfSD_PS3_PT2_iSC_SC_
; %bb.0:
	s_load_b64 s[2:3], s[0:1], 0x30
	s_mov_b32 s34, s13
	s_waitcnt lgkmcnt(0)
	s_cmp_lg_u64 s[2:3], 0
	s_cselect_b32 s6, -1, 0
	s_ashr_i32 s35, s13, 31
	s_cmp_eq_u64 s[2:3], 0
	s_cbranch_scc1 .LBB1139_3
; %bb.1:
	s_lshl_b64 s[4:5], s[34:35], 2
	s_delay_alu instid0(SALU_CYCLE_1) | instskip(SKIP_4) | instid1(SALU_CYCLE_1)
	s_add_u32 s4, s2, s4
	s_addc_u32 s5, s3, s5
	s_load_b64 s[4:5], s[4:5], 0x0
	s_waitcnt lgkmcnt(0)
	s_sub_i32 s4, s5, s4
	s_cmp_eq_u32 s4, 1
	s_cselect_b32 s4, -1, 0
	s_delay_alu instid0(SALU_CYCLE_1)
	s_and_not1_b32 vcc_lo, exec_lo, s4
	s_cbranch_vccz .LBB1139_4
.LBB1139_2:
	s_endpgm
.LBB1139_3:
.LBB1139_4:
	s_load_b64 s[8:9], s[0:1], 0x28
	s_lshl_b64 s[4:5], s[34:35], 2
	s_waitcnt lgkmcnt(0)
	s_add_u32 s8, s8, s4
	s_addc_u32 s9, s9, s5
	s_lshl_b32 s16, s14, 8
	s_load_b32 s18, s[8:9], 0x0
	s_waitcnt lgkmcnt(0)
	s_cmp_ge_i32 s16, s18
	s_cbranch_scc1 .LBB1139_2
; %bb.5:
	s_clause 0x1
	s_load_b128 s[8:11], s[0:1], 0x8
	s_load_b64 s[12:13], s[0:1], 0x20
	s_and_not1_b32 vcc_lo, exec_lo, s6
	s_cbranch_vccnz .LBB1139_7
; %bb.6:
	s_add_u32 s2, s2, s4
	s_addc_u32 s3, s3, s5
	s_load_b32 s3, s[2:3], 0x0
	s_branch .LBB1139_8
.LBB1139_7:
	s_mov_b32 s3, s34
.LBB1139_8:
	s_load_b128 s[4:7], s[0:1], 0x48
	v_and_b32_e32 v68, 15, v0
	v_cmp_gt_u32_e32 vcc_lo, 0x60, v0
	v_lshrrev_b32_e32 v69, 5, v0
	v_and_b32_e32 v70, 31, v0
	v_and_b32_e32 v67, 1, v0
	v_lshlrev_b32_e32 v1, 3, v68
	v_cmp_gt_u32_e64 s2, 8, v68
	v_bfe_u32 v66, v0, 4, 1
	s_mul_i32 s31, s15, 6
	s_delay_alu instid0(VALU_DEP_3) | instskip(NEXT) | instid1(VALU_DEP_3)
	v_lshlrev_b32_e32 v65, 1, v1
	s_and_b32 s17, vcc_lo, s2
	s_waitcnt lgkmcnt(0)
	s_and_saveexec_b32 s7, s17
	s_cbranch_execz .LBB1139_10
; %bb.9:
	s_load_b64 s[20:21], s[0:1], 0x0
	v_lshl_or_b32 v5, v69, 1, v66
	s_mul_hi_i32 s23, s3, s4
	s_mul_i32 s22, s3, s4
	v_lshlrev_b32_e32 v6, 10, v68
	s_lshl_b64 s[22:23], s[22:23], 1
	v_add_lshl_u32 v1, v5, s31, 6
	v_lshlrev_b32_e32 v5, 6, v5
	v_lshlrev_b32_e32 v7, 10, v67
	v_and_b32_e32 v6, 0x3800, v6
	s_delay_alu instid0(VALU_DEP_4) | instskip(NEXT) | instid1(VALU_DEP_2)
	v_ashrrev_i32_e32 v2, 31, v1
	v_or3_b32 v5, v6, v7, v5
	s_delay_alu instid0(VALU_DEP_2) | instskip(SKIP_3) | instid1(VALU_DEP_1)
	v_lshlrev_b64 v[1:2], 1, v[1:2]
	s_waitcnt lgkmcnt(0)
	s_add_u32 s3, s20, s22
	s_addc_u32 s4, s21, s23
	v_add_co_u32 v1, vcc_lo, s3, v1
	s_delay_alu instid0(VALU_DEP_2) | instskip(NEXT) | instid1(VALU_DEP_2)
	v_add_co_ci_u32_e32 v2, vcc_lo, s4, v2, vcc_lo
	v_add_co_u32 v1, vcc_lo, v1, v65
	s_delay_alu instid0(VALU_DEP_2)
	v_add_co_ci_u32_e32 v2, vcc_lo, 0, v2, vcc_lo
	global_load_b128 v[1:4], v[1:2], off
	s_waitcnt vmcnt(0)
	ds_store_b128 v5, v[1:4]
.LBB1139_10:
	s_or_b32 exec_lo, exec_lo, s7
	v_and_b32_e32 v1, 0xef, v0
	s_add_i32 s3, s18, 15
	s_clause 0x1
	s_load_b32 s4, s[0:1], 0x38
	s_load_b32 s33, s[0:1], 0x98
	s_ashr_i32 s7, s3, 31
	v_add_nc_u32_e32 v1, s16, v1
	s_lshr_b32 s7, s7, 28
	s_load_b32 s19, s[0:1], 0x1c
	s_add_i32 s3, s3, s7
	s_waitcnt lgkmcnt(0)
	v_ashrrev_i32_e32 v2, 31, v1
	v_or_b32_e32 v3, 16, v1
	s_ashr_i32 s3, s3, 4
	v_cmp_gt_i32_e32 vcc_lo, s18, v1
	s_add_i32 s3, s3, -1
	v_lshrrev_b32_e32 v2, 28, v2
	s_barrier
	buffer_gl0_inv
	s_mul_i32 s15, s15, s6
	v_mul_lo_u16 v103, v68, 43
	v_add_nc_u32_e32 v4, v1, v2
	v_mbcnt_lo_u32_b32 v127, -1, 0
	s_mul_i32 s20, s34, s4
	s_delay_alu instid0(SALU_CYCLE_1) | instskip(NEXT) | instid1(VALU_DEP_2)
	s_ashr_i32 s21, s20, 31
	v_ashrrev_i32_e32 v4, 4, v4
	v_add_nc_u32_e32 v2, v3, v2
	s_lshl_b64 s[20:21], s[20:21], 2
	v_lshrrev_b16 v103, 8, v103
	s_add_u32 s17, s12, s20
	v_cndmask_b32_e32 v1, s3, v4, vcc_lo
	v_ashrrev_i32_e32 v2, 4, v2
	v_cmp_gt_i32_e32 vcc_lo, s18, v3
	s_addc_u32 s13, s13, s21
	s_ashr_i32 s20, s15, 31
	s_add_u32 s4, s8, s15
	s_addc_u32 s12, s9, s20
	v_cndmask_b32_e32 v3, s3, v2, vcc_lo
	v_ashrrev_i32_e32 v2, 31, v1
	s_lshl_b32 s6, s14, 4
	v_mul_lo_u16 v103, v103, 6
	s_ashr_i32 s7, s6, 31
	v_ashrrev_i32_e32 v4, 31, v3
	v_lshlrev_b64 v[1:2], 2, v[1:2]
	s_lshl_b64 s[6:7], s[6:7], 2
	v_sub_nc_u16 v103, v68, v103
	s_add_u32 s6, s17, s6
	v_lshlrev_b64 v[3:4], 2, v[3:4]
	s_addc_u32 s7, s13, s7
	v_add_co_u32 v1, vcc_lo, s17, v1
	v_add_co_ci_u32_e32 v2, vcc_lo, s13, v2, vcc_lo
	s_delay_alu instid0(VALU_DEP_3) | instskip(NEXT) | instid1(VALU_DEP_4)
	v_add_co_u32 v3, vcc_lo, s17, v3
	v_add_co_ci_u32_e32 v4, vcc_lo, s13, v4, vcc_lo
	s_clause 0x1
	global_load_b32 v5, v[1:2], off
	global_load_b32 v7, v[3:4], off
	s_or_b32 s8, s16, 32
	v_lshlrev_b32_e32 v1, 4, v0
	s_ashr_i32 s9, s8, 4
	s_cmp_lt_i32 s8, s18
	v_xor_b32_e32 v128, 16, v127
	s_cselect_b32 s8, s9, s3
	v_and_b32_e32 v1, 0xf0, v1
	s_ashr_i32 s9, s8, 31
	s_delay_alu instid0(SALU_CYCLE_1)
	s_lshl_b64 s[8:9], s[8:9], 2
	v_cmp_gt_i32_e32 vcc_lo, 32, v128
	s_add_u32 s8, s17, s8
	s_addc_u32 s9, s13, s9
	s_or_b32 s21, s16, 64
	v_add_co_u32 v1, s4, s4, v1
	s_ashr_i32 s22, s21, 4
	s_cmp_lt_i32 s21, s18
	v_add_co_ci_u32_e64 v2, null, s12, 0, s4
	s_cselect_b32 s22, s22, s3
	v_dual_cndmask_b32 v136, v127, v128 :: v_dual_and_b32 v103, 0xff, v103
	s_ashr_i32 s23, s22, 31
	s_delay_alu instid0(SALU_CYCLE_1) | instskip(NEXT) | instid1(VALU_DEP_1)
	s_lshl_b64 s[22:23], s[22:23], 2
	v_lshlrev_b32_e32 v115, 6, v103
	s_add_u32 s22, s17, s22
	s_addc_u32 s23, s13, s23
	s_or_b32 s21, s16, 0x60
	s_delay_alu instid0(SALU_CYCLE_1) | instskip(SKIP_2) | instid1(SALU_CYCLE_1)
	s_ashr_i32 s24, s21, 4
	s_cmp_lt_i32 s21, s18
	s_cselect_b32 s24, s24, s3
	s_ashr_i32 s25, s24, 31
	s_delay_alu instid0(SALU_CYCLE_1) | instskip(NEXT) | instid1(SALU_CYCLE_1)
	s_lshl_b64 s[24:25], s[24:25], 2
	s_add_u32 s24, s17, s24
	s_addc_u32 s25, s13, s25
	s_or_b32 s21, s16, 0x80
	s_delay_alu instid0(SALU_CYCLE_1) | instskip(SKIP_2) | instid1(SALU_CYCLE_1)
	s_ashr_i32 s26, s21, 4
	s_cmp_lt_i32 s21, s18
	s_cselect_b32 s26, s26, s3
	s_ashr_i32 s27, s26, 31
	s_delay_alu instid0(SALU_CYCLE_1) | instskip(NEXT) | instid1(SALU_CYCLE_1)
	s_lshl_b64 s[26:27], s[26:27], 2
	;; [unrolled: 10-line block ×3, first 2 shown]
	s_add_u32 s28, s17, s28
	s_addc_u32 s29, s13, s29
	s_clause 0x5
	s_load_b32 s12, s[6:7], 0x0
	s_load_b32 s4, s[8:9], 0x0
	;; [unrolled: 1-line block ×6, first 2 shown]
	s_or_b32 s21, s16, 0xc0
	s_delay_alu instid0(SALU_CYCLE_1) | instskip(SKIP_2) | instid1(SALU_CYCLE_1)
	s_ashr_i32 s22, s21, 4
	s_cmp_lt_i32 s21, s18
	s_cselect_b32 s22, s22, s3
	s_ashr_i32 s23, s22, 31
	s_delay_alu instid0(SALU_CYCLE_1) | instskip(NEXT) | instid1(SALU_CYCLE_1)
	s_lshl_b64 s[22:23], s[22:23], 2
	s_add_u32 s22, s17, s22
	s_addc_u32 s23, s13, s23
	s_or_b32 s21, s16, 0xe0
	s_delay_alu instid0(SALU_CYCLE_1) | instskip(SKIP_2) | instid1(SALU_CYCLE_1)
	s_ashr_i32 s24, s21, 4
	s_cmp_lt_i32 s21, s18
	s_cselect_b32 s24, s24, s3
	s_ashr_i32 s25, s24, 31
	s_delay_alu instid0(SALU_CYCLE_1)
	s_lshl_b64 s[24:25], s[24:25], 2
	s_waitcnt vmcnt(1)
	v_mad_i64_i32 v[3:4], null, v5, s5, v[1:2]
	s_waitcnt vmcnt(0)
	v_mad_i64_i32 v[5:6], null, v7, s5, v[1:2]
	v_lshlrev_b32_e32 v1, 4, v68
	s_clause 0x7
	global_load_b128 v[71:74], v[3:4], off
	global_load_b128 v[75:78], v[3:4], off offset:256
	global_load_b128 v[79:82], v[5:6], off
	global_load_b128 v[83:86], v[5:6], off offset:256
	global_load_b128 v[87:90], v[3:4], off offset:512
	;; [unrolled: 1-line block ×5, first 2 shown]
	v_lshl_or_b32 v1, v69, 8, v1
	s_load_b32 s3, s[22:23], 0x0
	s_add_u32 s22, s17, s24
	s_addc_u32 s23, s13, s25
	s_add_u32 s10, s10, s15
	s_addc_u32 s11, s11, s20
	v_add_co_u32 v1, s10, s10, v1
	s_delay_alu instid0(VALU_DEP_1) | instskip(SKIP_2) | instid1(VALU_DEP_1)
	v_add_co_ci_u32_e64 v2, null, s11, 0, s10
	s_load_b32 s10, s[22:23], 0x0
	s_waitcnt lgkmcnt(0)
	v_mad_i64_i32 v[3:4], null, s12, s5, v[1:2]
	v_mad_i64_i32 v[9:10], null, s7, s5, v[1:2]
	;; [unrolled: 1-line block ×7, first 2 shown]
	s_clause 0x5
	global_load_b128 v[49:52], v[3:4], off
	global_load_b128 v[53:56], v[3:4], off offset:16
	global_load_b128 v[41:44], v[5:6], off
	global_load_b128 v[45:48], v[5:6], off offset:16
	;; [unrolled: 2-line block ×3, first 2 shown]
	s_mov_b32 s4, 0
	v_mad_i64_i32 v[61:62], null, s10, s5, v[1:2]
	s_clause 0x9
	global_load_b128 v[1:4], v[9:10], off
	global_load_b128 v[5:8], v[9:10], off offset:16
	global_load_b128 v[9:12], v[13:14], off
	global_load_b128 v[13:16], v[13:14], off offset:16
	global_load_b128 v[17:20], v[21:22], off
	global_load_b128 v[21:24], v[21:22], off offset:16
	global_load_b128 v[25:28], v[29:30], off
	global_load_b128 v[29:32], v[29:30], off offset:16
	global_load_b128 v[57:60], v[61:62], off
	global_load_b128 v[61:64], v[61:62], off offset:16
	s_mov_b32 s5, s4
	s_mov_b32 s6, s4
	;; [unrolled: 1-line block ×7, first 2 shown]
	v_and_b32_e32 v104, 0xe0, v0
	v_dual_mov_b32 v126, s11 :: v_dual_mov_b32 v123, s8
	v_dual_mov_b32 v125, s10 :: v_dual_mov_b32 v124, s9
	s_delay_alu instid0(VALU_DEP_3)
	v_add_nc_u32_e32 v111, s16, v104
	ds_load_b128 v[103:106], v115
	ds_load_b128 v[107:110], v115 offset:1024
	v_dual_mov_b32 v122, s7 :: v_dual_mov_b32 v121, s6
	v_mov_b32_e32 v120, s5
	v_or_b32_e32 v135, v111, v66
	ds_load_b128 v[111:114], v115 offset:2048
	ds_load_b128 v[115:118], v115 offset:3072
	v_mov_b32_e32 v119, s4
	s_waitcnt vmcnt(0) lgkmcnt(0)
	s_barrier
	v_or_b32_e32 v137, 2, v135
	v_or_b32_e32 v138, 4, v135
	;; [unrolled: 1-line block ×3, first 2 shown]
	v_cmp_gt_i32_e32 vcc_lo, s18, v135
	v_or_b32_e32 v140, 8, v135
	v_cmp_gt_i32_e64 s3, s18, v137
	v_or_b32_e32 v141, 10, v135
	v_cmp_gt_i32_e64 s4, s18, v138
	v_cmp_gt_i32_e64 s5, s18, v139
	v_or_b32_e32 v142, 12, v135
	v_or_b32_e32 v143, 14, v135
	v_cmp_gt_i32_e64 s6, s18, v140
	v_cmp_gt_i32_e64 s7, s18, v141
	v_or_b32_e32 v144, 16, v135
	v_or_b32_e32 v145, 18, v135
	v_cmp_gt_i32_e64 s8, s18, v142
	v_cmp_gt_i32_e64 s9, s18, v143
	buffer_gl0_inv
	v_cmp_gt_i32_e64 s10, s18, v144
	v_cmp_gt_i32_e64 s11, s18, v145
	v_wmma_f32_16x16x16_f16 v[127:134], v[71:78], v[103:110], v[119:126]
	v_wmma_f32_16x16x16_f16 v[119:126], v[79:86], v[103:110], v[119:126]
	v_or_b32_e32 v71, 20, v135
	v_or_b32_e32 v72, 22, v135
	s_delay_alu instid0(VALU_DEP_4)
	v_wmma_f32_16x16x16_f16 v[127:134], v[87:94], v[111:118], v[127:134]
	v_or_b32_e32 v73, 24, v135
	v_wmma_f32_16x16x16_f16 v[119:126], v[95:102], v[111:118], v[119:126]
	v_or_b32_e32 v74, 26, v135
	v_cmp_gt_i32_e64 s12, s18, v71
	v_dual_mul_f32 v83, s19, v128 :: v_dual_mul_f32 v84, s19, v127
	s_delay_alu instid0(VALU_DEP_4) | instskip(SKIP_1) | instid1(VALU_DEP_3)
	v_dual_mul_f32 v81, s19, v130 :: v_dual_mul_f32 v92, s19, v119
	v_mul_f32_e32 v82, s19, v129
	v_cndmask_b32_e64 v83, 0xff7fffff, v83, s3
	s_delay_alu instid0(VALU_DEP_4)
	v_cndmask_b32_e32 v84, 0xff7fffff, v84, vcc_lo
	v_dual_mul_f32 v79, s19, v132 :: v_dual_mul_f32 v90, s19, v121
	v_mul_f32_e32 v80, s19, v131
	v_cndmask_b32_e64 v82, 0xff7fffff, v82, s4
	v_cndmask_b32_e64 v81, 0xff7fffff, v81, s5
	v_max3_f32 v83, v84, 0xff7fffff, v83
	v_dual_mul_f32 v77, s19, v134 :: v_dual_mul_f32 v88, s19, v123
	v_mul_f32_e32 v78, s19, v133
	v_cndmask_b32_e64 v80, 0xff7fffff, v80, s6
	v_cndmask_b32_e64 v79, 0xff7fffff, v79, s7
	v_max3_f32 v81, v83, v82, v81
	v_mul_f32_e32 v91, s19, v120
	v_cndmask_b32_e64 v78, 0xff7fffff, v78, s8
	v_cndmask_b32_e64 v77, 0xff7fffff, v77, s9
	v_mul_f32_e32 v89, s19, v122
	v_max3_f32 v79, v81, v80, v79
	v_cndmask_b32_e64 v80, 0xff7fffff, v92, s10
	v_cndmask_b32_e64 v81, 0xff7fffff, v91, s11
	v_cmp_gt_i32_e64 s13, s18, v72
	v_or_b32_e32 v75, 28, v135
	v_max3_f32 v77, v79, v78, v77
	v_or_b32_e32 v76, 30, v135
	v_mul_f32_e32 v87, s19, v124
	v_cndmask_b32_e64 v71, 0xff7fffff, v90, s12
	v_cndmask_b32_e64 v72, 0xff7fffff, v89, s13
	v_max3_f32 v77, v77, v80, v81
	v_cmp_gt_i32_e64 s15, s18, v73
	v_cmp_gt_i32_e64 s16, s18, v74
	v_dual_mul_f32 v85, s19, v126 :: v_dual_mul_f32 v86, s19, v125
	s_delay_alu instid0(VALU_DEP_4) | instskip(NEXT) | instid1(VALU_DEP_4)
	v_max3_f32 v71, v77, v71, v72
	v_cndmask_b32_e64 v73, 0xff7fffff, v88, s15
	s_delay_alu instid0(VALU_DEP_4) | instskip(SKIP_2) | instid1(VALU_DEP_3)
	v_cndmask_b32_e64 v74, 0xff7fffff, v87, s16
	v_cmp_gt_i32_e64 s17, s18, v75
	v_cmp_gt_i32_e64 s18, s18, v76
	v_max3_f32 v71, v71, v73, v74
	s_delay_alu instid0(VALU_DEP_3) | instskip(NEXT) | instid1(VALU_DEP_3)
	v_cndmask_b32_e64 v72, 0xff7fffff, v86, s17
	v_cndmask_b32_e64 v75, 0xff7fffff, v85, s18
	v_lshlrev_b32_e32 v73, 2, v136
	s_delay_alu instid0(VALU_DEP_2) | instskip(SKIP_3) | instid1(VALU_DEP_1)
	v_max3_f32 v71, v71, v72, v75
	ds_bpermute_b32 v72, v73, v71
	s_waitcnt lgkmcnt(0)
	v_max_f32_e32 v72, v72, v72
	v_max_f32_e32 v71, v71, v72
	s_delay_alu instid0(VALU_DEP_1)
	v_fma_f32 v72, s19, v127, -v71
	v_fma_f32 v74, s19, v128, -v71
	;; [unrolled: 1-line block ×5, first 2 shown]
	v_mul_f32_e32 v72, 0x3fb8aa3b, v72
	v_mul_f32_e32 v74, 0x3fb8aa3b, v74
	v_fma_f32 v80, s19, v133, -v71
	s_delay_alu instid0(VALU_DEP_4) | instskip(NEXT) | instid1(VALU_DEP_4)
	v_dual_mul_f32 v76, 0x3fb8aa3b, v76 :: v_dual_mul_f32 v77, 0x3fb8aa3b, v77
	v_exp_f32_e32 v72, v72
	s_delay_alu instid0(VALU_DEP_3) | instskip(NEXT) | instid1(VALU_DEP_2)
	v_exp_f32_e32 v74, v74
	v_mul_f32_e32 v82, 0x3fb8aa3b, v80
	s_delay_alu instid0(VALU_DEP_2) | instskip(SKIP_1) | instid1(VALU_DEP_1)
	v_exp_f32_e32 v76, v76
	v_exp_f32_e32 v77, v77
	;; [unrolled: 1-line block ×3, first 2 shown]
	v_cndmask_b32_e32 v79, 0, v72, vcc_lo
	v_fma_f32 v72, s19, v132, -v71
	v_mul_f32_e32 v75, 0x3fb8aa3b, v75
	v_cndmask_b32_e64 v78, 0, v74, s3
	s_delay_alu instid0(TRANS32_DEP_3)
	v_cndmask_b32_e64 v80, 0, v76, s5
	v_add_f32_e32 v74, 0, v79
	v_mul_f32_e32 v72, 0x3fb8aa3b, v72
	v_exp_f32_e32 v75, v75
	v_cndmask_b32_e64 v83, 0, v77, s6
	v_cndmask_b32_e64 v85, 0, v84, s8
	v_add_f32_e32 v74, v74, v78
	v_exp_f32_e32 v72, v72
	s_mov_b32 s3, exec_lo
	s_waitcnt_depctr 0xfff
	v_cndmask_b32_e64 v81, 0, v75, s4
	v_cndmask_b32_e64 v82, 0, v72, s7
	s_delay_alu instid0(VALU_DEP_2) | instskip(NEXT) | instid1(VALU_DEP_1)
	v_add_f32_e32 v74, v74, v81
	v_add_f32_e32 v74, v74, v80
	s_delay_alu instid0(VALU_DEP_1) | instskip(SKIP_4) | instid1(VALU_DEP_4)
	v_add_f32_e32 v72, v74, v83
	v_fma_f32 v75, s19, v134, -v71
	v_fma_f32 v76, s19, v119, -v71
	;; [unrolled: 1-line block ×4, first 2 shown]
	v_dual_add_f32 v72, v72, v82 :: v_dual_mul_f32 v75, 0x3fb8aa3b, v75
	s_delay_alu instid0(VALU_DEP_3) | instskip(SKIP_1) | instid1(VALU_DEP_3)
	v_dual_mul_f32 v76, 0x3fb8aa3b, v76 :: v_dual_mul_f32 v77, 0x3fb8aa3b, v77
	v_fma_f32 v86, s19, v122, -v71
	v_add_f32_e32 v72, v72, v85
	s_delay_alu instid0(VALU_DEP_4) | instskip(NEXT) | instid1(VALU_DEP_3)
	v_exp_f32_e32 v75, v75
	v_exp_f32_e32 v76, v76
	;; [unrolled: 1-line block ×3, first 2 shown]
	v_mul_f32_e32 v86, 0x3fb8aa3b, v86
	s_delay_alu instid0(VALU_DEP_1) | instskip(SKIP_3) | instid1(TRANS32_DEP_3)
	v_exp_f32_e32 v88, v86
	v_cndmask_b32_e64 v84, 0, v75, s9
	v_fma_f32 v75, s19, v123, -v71
	v_mul_f32_e32 v74, 0x3fb8aa3b, v74
	v_cndmask_b32_e64 v87, 0, v76, s10
	v_fma_f32 v76, s19, v124, -v71
	s_delay_alu instid0(VALU_DEP_4) | instskip(NEXT) | instid1(VALU_DEP_4)
	v_dual_add_f32 v72, v72, v84 :: v_dual_mul_f32 v75, 0x3fb8aa3b, v75
	v_exp_f32_e32 v74, v74
	v_cndmask_b32_e64 v86, 0, v77, s11
	v_fma_f32 v77, s19, v125, -v71
	s_delay_alu instid0(VALU_DEP_3) | instskip(SKIP_3) | instid1(VALU_DEP_3)
	v_add_f32_e32 v72, v72, v87
	v_mul_f32_e32 v76, 0x3fb8aa3b, v76
	v_exp_f32_e32 v75, v75
	v_cndmask_b32_e64 v88, 0, v88, s13
	v_add_f32_e32 v72, v72, v86
	s_delay_alu instid0(VALU_DEP_3) | instskip(NEXT) | instid1(TRANS32_DEP_3)
	v_exp_f32_e32 v76, v76
	v_cndmask_b32_e64 v89, 0, v74, s12
	v_mul_f32_e32 v74, 0x3fb8aa3b, v77
	v_fma_f32 v77, s19, v126, -v71
	s_delay_alu instid0(VALU_DEP_3) | instskip(NEXT) | instid1(VALU_DEP_3)
	v_add_f32_e32 v72, v72, v89
	v_exp_f32_e32 v74, v74
	s_delay_alu instid0(TRANS32_DEP_3) | instskip(NEXT) | instid1(VALU_DEP_3)
	v_cndmask_b32_e64 v91, 0, v75, s15
	v_mul_f32_e32 v75, 0x3fb8aa3b, v77
	s_delay_alu instid0(TRANS32_DEP_2) | instskip(SKIP_1) | instid1(VALU_DEP_3)
	v_cndmask_b32_e64 v90, 0, v76, s16
	v_add_f32_e32 v72, v72, v88
	v_exp_f32_e32 v75, v75
	s_delay_alu instid0(VALU_DEP_1) | instskip(NEXT) | instid1(TRANS32_DEP_2)
	v_add_f32_e32 v72, v72, v91
	v_cndmask_b32_e64 v93, 0, v74, s17
	s_delay_alu instid0(VALU_DEP_2) | instskip(SKIP_3) | instid1(VALU_DEP_1)
	v_add_f32_e32 v72, v72, v90
	s_waitcnt_depctr 0xfff
	v_cndmask_b32_e64 v92, 0, v75, s18
	v_add_f32_e32 v72, v72, v93
	v_add_f32_e32 v72, v72, v92
	ds_bpermute_b32 v73, v73, v72
	v_cmpx_gt_u32_e32 16, v70
	s_cbranch_execz .LBB1139_12
; %bb.11:
	v_mul_u32_u24_e32 v70, 0x44, v69
	s_waitcnt lgkmcnt(0)
	v_add_f32_e32 v72, v72, v73
	s_delay_alu instid0(VALU_DEP_2) | instskip(NEXT) | instid1(VALU_DEP_1)
	v_lshl_add_u32 v70, v68, 2, v70
	v_add_nc_u32_e32 v70, 0x4000, v70
	ds_store_2addr_b32 v70, v71, v72 offset1:136
.LBB1139_12:
	s_or_b32 exec_lo, exec_lo, s3
	v_lshlrev_b32_e32 v70, 2, v68
	s_load_b32 s35, s[0:1], 0x94
	s_waitcnt lgkmcnt(0)
	s_barrier
	buffer_gl0_inv
	v_add_nc_u32_e32 v98, 0x4000, v70
	v_cmp_eq_u32_e32 vcc_lo, 1, v69
	v_cmp_eq_u32_e64 s3, 2, v69
	v_cmp_eq_u32_e64 s4, 3, v69
	;; [unrolled: 1-line block ×3, first 2 shown]
	ds_load_2addr_b32 v[70:71], v98 offset1:17
	ds_load_2addr_b32 v[72:73], v98 offset0:34 offset1:51
	ds_load_2addr_b32 v[74:75], v98 offset0:68 offset1:85
	;; [unrolled: 1-line block ×3, first 2 shown]
	v_cmp_eq_u32_e64 s6, 5, v69
	v_cmp_eq_u32_e64 s7, 7, v69
	s_waitcnt lgkmcnt(3)
	v_max3_f32 v76, v70, 0xff7fffff, v71
	s_waitcnt lgkmcnt(2)
	s_delay_alu instid0(VALU_DEP_1) | instskip(SKIP_1) | instid1(VALU_DEP_1)
	v_max3_f32 v76, v76, v72, v73
	s_waitcnt lgkmcnt(1)
	v_max3_f32 v76, v76, v74, v75
	s_waitcnt lgkmcnt(0)
	s_delay_alu instid0(VALU_DEP_1) | instskip(NEXT) | instid1(VALU_DEP_1)
	v_max3_f32 v76, v76, v94, v95
	v_sub_f32_e32 v77, v71, v76
	ds_load_2addr_b32 v[96:97], v98 offset0:136 offset1:153
	v_sub_f32_e32 v74, v74, v76
	v_sub_f32_e32 v70, v70, v76
	;; [unrolled: 1-line block ×3, first 2 shown]
	v_dual_sub_f32 v72, v72, v76 :: v_dual_mul_f32 v77, 0x3fb8aa3b, v77
	s_delay_alu instid0(VALU_DEP_4) | instskip(NEXT) | instid1(VALU_DEP_4)
	v_mul_f32_e32 v103, 0x3fb8aa3b, v74
	v_mul_f32_e32 v99, 0x3fb8aa3b, v70
	ds_load_2addr_b32 v[70:71], v98 offset0:170 offset1:187
	v_dual_mul_f32 v101, 0x3fb8aa3b, v72 :: v_dual_mul_f32 v94, 0x3fb8aa3b, v94
	v_exp_f32_e32 v102, v77
	v_exp_f32_e32 v99, v99
	s_delay_alu instid0(VALU_DEP_1) | instskip(NEXT) | instid1(VALU_DEP_1)
	v_exp_f32_e32 v101, v101
	v_exp_f32_e32 v94, v94
	s_waitcnt lgkmcnt(1)
	s_delay_alu instid0(TRANS32_DEP_3)
	v_fma_f32 v77, v99, v96, 0
	v_sub_f32_e32 v100, v73, v76
	ds_load_2addr_b32 v[72:73], v98 offset0:204 offset1:221
	v_fmac_f32_e32 v77, v102, v97
	v_exp_f32_e32 v97, v103
	s_waitcnt lgkmcnt(1)
	s_delay_alu instid0(VALU_DEP_1)
	v_dual_fmac_f32 v77, v101, v70 :: v_dual_sub_f32 v96, v75, v76
	ds_load_2addr_b32 v[74:75], v98 offset0:238 offset1:255
	v_sub_f32_e32 v70, v95, v76
	s_waitcnt lgkmcnt(0)
	s_barrier
	v_mul_f32_e32 v96, 0x3fb8aa3b, v96
	buffer_gl0_inv
	v_exp_f32_e32 v95, v96
	v_mul_f32_e32 v100, 0x3fb8aa3b, v100
	s_delay_alu instid0(VALU_DEP_1) | instskip(SKIP_3) | instid1(VALU_DEP_2)
	v_exp_f32_e32 v100, v100
	s_waitcnt_depctr 0xfff
	v_dual_fmac_f32 v77, v100, v71 :: v_dual_mul_f32 v70, 0x3fb8aa3b, v70
	v_cndmask_b32_e32 v71, v99, v102, vcc_lo
	v_fmac_f32_e32 v77, v97, v72
	s_delay_alu instid0(VALU_DEP_3) | instskip(NEXT) | instid1(VALU_DEP_1)
	v_exp_f32_e32 v96, v70
	v_fmac_f32_e32 v77, v95, v73
	s_delay_alu instid0(VALU_DEP_1) | instskip(SKIP_2) | instid1(VALU_DEP_1)
	v_fmac_f32_e32 v77, v94, v74
	s_waitcnt_depctr 0xfff
	v_fmac_f32_e32 v77, v96, v75
	v_add_f32_e32 v74, 0x358637bd, v77
	s_delay_alu instid0(VALU_DEP_1) | instskip(SKIP_1) | instid1(VALU_DEP_2)
	v_div_scale_f32 v98, null, v74, v74, 1.0
	v_div_scale_f32 v99, vcc_lo, 1.0, v74, 1.0
	v_rcp_f32_e32 v103, v98
	s_waitcnt_depctr 0xfff
	v_fma_f32 v70, -v98, v103, 1.0
	s_delay_alu instid0(VALU_DEP_1) | instskip(SKIP_2) | instid1(VALU_DEP_2)
	v_fmac_f32_e32 v103, v70, v103
	v_cndmask_b32_e64 v70, v71, v101, s3
	v_cmp_eq_u32_e64 s3, 6, v69
	v_cndmask_b32_e64 v71, v70, v100, s4
	s_delay_alu instid0(VALU_DEP_4) | instskip(NEXT) | instid1(VALU_DEP_2)
	v_dual_mul_f32 v101, v99, v103 :: v_dual_lshlrev_b32 v70, 2, v66
	v_cndmask_b32_e64 v71, v71, v97, s5
	s_delay_alu instid0(VALU_DEP_2) | instskip(NEXT) | instid1(VALU_DEP_3)
	v_or_b32_e32 v72, 1, v70
	v_fma_f32 v100, -v98, v101, v99
	v_cmp_eq_u32_e64 s4, 1, v70
	v_cmp_eq_u32_e64 s5, 2, v70
	v_cndmask_b32_e64 v95, v71, v95, s6
	v_or_b32_e32 v71, 3, v70
	v_fmac_f32_e32 v101, v100, v103
	v_cmp_eq_u32_e64 s9, 1, v72
	v_cmp_eq_u32_e64 s12, 2, v72
	v_cndmask_b32_e64 v94, v95, v94, s3
	v_cmp_eq_u32_e64 s11, 1, v71
	v_fma_f32 v97, -v98, v101, v99
	v_cmp_eq_u32_e64 s16, 2, v71
	v_cmp_eq_u32_e64 s13, 3, v72
	v_cndmask_b32_e64 v94, v94, v96, s7
	v_cmp_eq_u32_e64 s18, 3, v71
	v_div_fmas_f32 v95, v97, v103, v101
	v_cmp_eq_u32_e32 vcc_lo, 3, v70
	v_cmp_eq_u32_e64 s3, 4, v70
	v_cmp_eq_u32_e64 s19, 4, v72
	;; [unrolled: 1-line block ×3, first 2 shown]
	v_div_fixup_f32 v95, v95, v74, 1.0
	v_lshlrev_b32_e32 v73, 6, v68
	v_cmp_eq_u32_e64 s6, 5, v70
	v_cmp_eq_u32_e64 s20, 5, v72
	;; [unrolled: 1-line block ×3, first 2 shown]
	v_mul_f32_e32 v102, v94, v95
	v_lshl_or_b32 v75, v69, 11, v73
	v_or_b32_e32 v69, 2, v70
	v_cmp_eq_u32_e64 s25, 6, v72
	v_cmp_eq_u32_e64 s27, 6, v71
	v_fma_mixlo_f16 v94, v102, v79, 0
	v_fma_mixlo_f16 v95, v102, v81, 0
	;; [unrolled: 1-line block ×8, first 2 shown]
	v_lshl_or_b32 v74, v66, 4, v75
	v_fma_mixhi_f16 v94, v102, v78, 0
	v_fma_mixhi_f16 v95, v102, v80, 0
	;; [unrolled: 1-line block ×8, first 2 shown]
	ds_store_b128 v74, v[94:97]
	ds_store_b128 v74, v[98:101] offset:1024
	s_waitcnt lgkmcnt(0)
	s_barrier
	buffer_gl0_inv
	ds_load_b128 v[78:81], v75
	ds_load_b128 v[82:85], v75 offset:16
	ds_load_b128 v[86:89], v75 offset:1024
	;; [unrolled: 1-line block ×3, first 2 shown]
	v_cmp_eq_u32_e64 s10, 1, v69
	v_cmp_eq_u32_e64 s15, 2, v69
	;; [unrolled: 1-line block ×11, first 2 shown]
	s_waitcnt lgkmcnt(3)
	v_lshrrev_b32_e32 v94, 16, v78
	s_waitcnt lgkmcnt(2)
	v_lshrrev_b32_e32 v98, 16, v82
	;; [unrolled: 2-line block ×4, first 2 shown]
	v_lshrrev_b32_e32 v95, 16, v79
	v_cndmask_b32_e64 v110, v78, v94, s4
	v_cndmask_b32_e64 v111, v82, v98, s4
	;; [unrolled: 1-line block ×8, first 2 shown]
	v_lshrrev_b32_e32 v99, 16, v83
	v_cndmask_b32_e64 v94, v86, v102, s4
	v_cndmask_b32_e64 v98, v90, v106, s4
	;; [unrolled: 1-line block ×15, first 2 shown]
	v_lshrrev_b32_e32 v103, 16, v87
	v_lshrrev_b32_e32 v107, 16, v91
	v_cndmask_b32_e64 v113, v115, v83, s15
	v_cndmask_b32_e64 v82, v94, v87, s5
	;; [unrolled: 1-line block ×7, first 2 shown]
	v_cndmask_b32_e32 v90, v102, v95, vcc_lo
	v_cndmask_b32_e32 v102, v106, v99, vcc_lo
	v_cndmask_b32_e64 v106, v110, v95, s13
	v_cndmask_b32_e64 v110, v111, v99, s13
	;; [unrolled: 1-line block ×4, first 2 shown]
	v_lshrrev_b32_e32 v96, 16, v80
	v_lshrrev_b32_e32 v100, 16, v84
	v_cndmask_b32_e64 v111, v112, v95, s17
	v_cndmask_b32_e64 v112, v113, v99, s17
	v_cndmask_b32_e32 v82, v82, v103, vcc_lo
	v_cndmask_b32_e32 v83, v83, v107, vcc_lo
	v_cndmask_b32_e64 v94, v94, v103, s13
	v_cndmask_b32_e64 v90, v90, v80, s3
	;; [unrolled: 1-line block ×7, first 2 shown]
	v_lshrrev_b32_e32 v104, 16, v88
	v_cndmask_b32_e64 v106, v111, v80, s21
	v_cndmask_b32_e64 v110, v112, v84, s21
	;; [unrolled: 1-line block ×11, first 2 shown]
	v_lshrrev_b32_e32 v97, 16, v81
	v_lshrrev_b32_e32 v101, 16, v85
	v_cndmask_b32_e64 v99, v106, v96, s23
	v_cndmask_b32_e64 v102, v110, v100, s23
	;; [unrolled: 1-line block ×7, first 2 shown]
	v_lshrrev_b32_e32 v105, 16, v89
	v_cndmask_b32_e64 v80, v80, v104, s6
	v_cndmask_b32_e64 v84, v84, v81, s7
	;; [unrolled: 1-line block ×16, first 2 shown]
	v_perm_b32 v81, v79, v78, 0x5040100
	v_perm_b32 v79, v95, v85, 0x5040100
	v_cndmask_b32_e64 v78, v119, v91, s15
	v_cndmask_b32_e64 v85, v117, v91, s12
	;; [unrolled: 1-line block ×3, first 2 shown]
	v_perm_b32 v80, v94, v90, 0x5040100
	v_cndmask_b32_e64 v90, v98, v103, s17
	v_cndmask_b32_e64 v86, v86, v103, s18
	;; [unrolled: 1-line block ×5, first 2 shown]
	v_lshrrev_b32_e32 v108, 16, v92
	v_cndmask_b32_e64 v90, v90, v88, s21
	v_cndmask_b32_e64 v86, v86, v88, s22
	;; [unrolled: 1-line block ×11, first 2 shown]
	v_lshrrev_b32_e32 v109, 16, v93
	v_cndmask_b32_e64 v82, v82, v93, s7
	v_cndmask_b32_e64 v88, v88, v89, s26
	;; [unrolled: 1-line block ×12, first 2 shown]
	v_perm_b32 v78, v84, v83, 0x5040100
	v_perm_b32 v85, v87, v86, 0x5040100
	;; [unrolled: 1-line block ×5, first 2 shown]
	s_mul_i32 s8, s33, 6
	s_mov_b32 s3, exec_lo
	ds_store_b128 v74, v[78:81]
	ds_store_b128 v74, v[82:85] offset:1024
	v_cmpx_gt_u32_e32 6, v0
	s_cbranch_execz .LBB1139_14
; %bb.13:
	s_mul_i32 s4, s8, s34
	s_delay_alu instid0(SALU_CYCLE_1) | instskip(SKIP_1) | instid1(VALU_DEP_1)
	v_add3_u32 v68, s4, s31, v68
	s_load_b128 s[4:7], s[0:1], 0x58
	v_mad_u64_u32 v[78:79], null, v68, s35, s[14:15]
	s_delay_alu instid0(VALU_DEP_1) | instskip(NEXT) | instid1(VALU_DEP_1)
	v_ashrrev_i32_e32 v79, 31, v78
	v_lshlrev_b64 v[78:79], 2, v[78:79]
	s_waitcnt lgkmcnt(0)
	s_delay_alu instid0(VALU_DEP_1) | instskip(NEXT) | instid1(VALU_DEP_2)
	v_add_co_u32 v80, vcc_lo, s6, v78
	v_add_co_ci_u32_e32 v81, vcc_lo, s7, v79, vcc_lo
	v_add_co_u32 v78, vcc_lo, s4, v78
	v_add_co_ci_u32_e32 v79, vcc_lo, s5, v79, vcc_lo
	global_store_b32 v[80:81], v76, off
	global_store_b32 v[78:79], v77, off
.LBB1139_14:
	s_or_b32 exec_lo, exec_lo, s3
	s_waitcnt lgkmcnt(0)
	s_waitcnt_vscnt null, 0x0
	s_barrier
	buffer_gl0_inv
	ds_load_b128 v[84:87], v73
	ds_load_b128 v[88:91], v73 offset:16
	ds_load_b128 v[96:99], v73 offset:2064
	;; [unrolled: 1-line block ×5, first 2 shown]
	v_cmp_eq_u32_e32 vcc_lo, 1, v70
	v_mov_b32_e32 v76, 0
	ds_load_b128 v[112:115], v73 offset:6160
	ds_load_b128 v[108:111], v73 offset:6144
	;; [unrolled: 1-line block ×4, first 2 shown]
	v_cmp_eq_u32_e64 s4, 1, v69
	v_cmp_eq_u32_e64 s3, 1, v72
	;; [unrolled: 1-line block ×3, first 2 shown]
	v_mov_b32_e32 v77, v76
	v_mov_b32_e32 v78, v76
	;; [unrolled: 1-line block ×7, first 2 shown]
	v_cmp_eq_u32_e64 s6, 3, v72
	v_cmp_eq_u32_e64 s7, 7, v72
	s_waitcnt lgkmcnt(8)
	s_delay_alu instid0(VALU_DEP_3)
	v_wmma_f32_16x16x16_f16 v[76:83], v[49:56], v[84:91], v[76:83]
	ds_load_b128 v[53:56], v73 offset:10256
	ds_load_b128 v[49:52], v73 offset:10240
	s_waitcnt lgkmcnt(8)
	v_wmma_f32_16x16x16_f16 v[76:83], v[41:48], v[92:99], v[76:83]
	ds_load_b128 v[45:48], v73 offset:12304
	ds_load_b128 v[41:44], v73 offset:12288
	s_waitcnt lgkmcnt(8)
	;; [unrolled: 4-line block ×3, first 2 shown]
	s_barrier
	buffer_gl0_inv
	v_wmma_f32_16x16x16_f16 v[76:83], v[1:8], v[108:115], v[76:83]
	s_delay_alu instid0(VALU_DEP_1) | instskip(NEXT) | instid1(VALU_DEP_1)
	v_wmma_f32_16x16x16_f16 v[76:83], v[9:16], v[116:123], v[76:83]
	v_wmma_f32_16x16x16_f16 v[76:83], v[17:24], v[49:56], v[76:83]
	s_delay_alu instid0(VALU_DEP_1) | instskip(NEXT) | instid1(VALU_DEP_1)
	v_wmma_f32_16x16x16_f16 v[76:83], v[25:32], v[41:48], v[76:83]
	v_wmma_f32_16x16x16_f16 v[76:83], v[57:64], v[33:40], v[76:83]
	s_delay_alu instid0(VALU_DEP_1) | instskip(NEXT) | instid1(VALU_DEP_2)
	v_cvt_f16_f32_e32 v1, v76
	v_cvt_f16_f32_e32 v2, v77
	s_delay_alu instid0(VALU_DEP_3) | instskip(NEXT) | instid1(VALU_DEP_4)
	v_cvt_f16_f32_e32 v3, v78
	v_cvt_f16_f32_e32 v4, v79
	;; [unrolled: 1-line block ×6, first 2 shown]
	v_pack_b32_f16 v1, v1, v2
	v_pack_b32_f16 v2, v3, v4
	;; [unrolled: 1-line block ×3, first 2 shown]
	s_delay_alu instid0(VALU_DEP_4)
	v_pack_b32_f16 v4, v7, v8
	ds_store_b128 v74, v[1:4]
	s_waitcnt lgkmcnt(0)
	s_barrier
	buffer_gl0_inv
	ds_load_b128 v[1:4], v75
	ds_load_b128 v[5:8], v75 offset:16
	s_waitcnt lgkmcnt(1)
	v_lshrrev_b32_e32 v9, 16, v1
	s_waitcnt lgkmcnt(0)
	v_lshrrev_b32_e32 v13, 16, v5
	v_lshrrev_b32_e32 v10, 16, v2
	;; [unrolled: 1-line block ×4, first 2 shown]
	v_cndmask_b32_e32 v17, v1, v9, vcc_lo
	v_cndmask_b32_e32 v18, v5, v13, vcc_lo
	v_cndmask_b32_e64 v21, v1, v9, s4
	v_cmp_eq_u32_e32 vcc_lo, 1, v71
	v_cndmask_b32_e64 v22, v5, v13, s4
	v_cmp_eq_u32_e64 s4, 2, v70
	v_cndmask_b32_e64 v19, v1, v9, s3
	v_cndmask_b32_e64 v20, v5, v13, s3
	v_cndmask_b32_e32 v1, v1, v9, vcc_lo
	v_cmp_eq_u32_e64 s3, 2, v71
	v_cndmask_b32_e32 v5, v5, v13, vcc_lo
	v_cndmask_b32_e64 v9, v17, v2, s4
	v_cmp_eq_u32_e32 vcc_lo, 3, v70
	v_cndmask_b32_e64 v13, v18, v6, s4
	v_cmp_eq_u32_e64 s4, 2, v69
	v_cndmask_b32_e64 v17, v19, v2, s5
	v_cndmask_b32_e64 v18, v20, v6, s5
	v_cmp_eq_u32_e64 s5, 3, v69
	v_cndmask_b32_e64 v1, v1, v2, s3
	v_cndmask_b32_e64 v19, v21, v2, s4
	;; [unrolled: 1-line block ×4, first 2 shown]
	v_cndmask_b32_e32 v5, v9, v10, vcc_lo
	v_cndmask_b32_e32 v6, v13, v14, vcc_lo
	v_cmp_eq_u32_e32 vcc_lo, 3, v71
	v_cndmask_b32_e64 v9, v17, v10, s6
	v_cndmask_b32_e64 v13, v18, v14, s6
	;; [unrolled: 1-line block ×3, first 2 shown]
	v_cmp_eq_u32_e64 s4, 4, v70
	v_cndmask_b32_e32 v1, v1, v10, vcc_lo
	v_cndmask_b32_e32 v2, v2, v14, vcc_lo
	v_cmp_eq_u32_e32 vcc_lo, 4, v72
	v_lshrrev_b32_e32 v15, 16, v7
	v_lshrrev_b32_e32 v16, 16, v8
	v_cndmask_b32_e64 v17, v19, v10, s5
	v_cmp_eq_u32_e64 s3, 4, v71
	v_cndmask_b32_e64 v5, v5, v3, s4
	v_cndmask_b32_e64 v6, v6, v7, s4
	v_cndmask_b32_e32 v9, v9, v3, vcc_lo
	v_cmp_eq_u32_e64 s4, 5, v72
	v_cndmask_b32_e32 v10, v13, v7, vcc_lo
	v_cmp_eq_u32_e32 vcc_lo, 4, v69
	v_cmp_eq_u32_e64 s5, 5, v70
	v_cndmask_b32_e64 v2, v2, v7, s3
	v_cndmask_b32_e64 v9, v9, v11, s4
	v_cndmask_b32_e64 v10, v10, v15, s4
	v_cndmask_b32_e32 v13, v17, v3, vcc_lo
	v_cmp_eq_u32_e64 s4, 5, v69
	v_cndmask_b32_e32 v14, v18, v7, vcc_lo
	v_cndmask_b32_e64 v1, v1, v3, s3
	v_cmp_eq_u32_e32 vcc_lo, 5, v71
	v_lshrrev_b32_e32 v12, 16, v4
	v_cndmask_b32_e64 v13, v13, v11, s4
	v_cndmask_b32_e64 v3, v14, v15, s4
	v_cmp_eq_u32_e64 s4, 6, v71
	v_cndmask_b32_e32 v1, v1, v11, vcc_lo
	v_cndmask_b32_e64 v5, v5, v11, s5
	v_cmp_eq_u32_e64 s6, 6, v70
	v_cndmask_b32_e64 v6, v6, v15, s5
	v_cmp_eq_u32_e64 s5, 6, v72
	v_cmp_eq_u32_e64 s3, 6, v69
	v_cndmask_b32_e64 v1, v1, v4, s4
	v_cndmask_b32_e32 v2, v2, v15, vcc_lo
	v_cmp_eq_u32_e32 vcc_lo, 7, v71
	v_cndmask_b32_e64 v5, v5, v4, s6
	v_cndmask_b32_e64 v9, v9, v4, s5
	;; [unrolled: 1-line block ×3, first 2 shown]
	v_cmp_eq_u32_e64 s6, 7, v70
	v_cndmask_b32_e32 v1, v1, v12, vcc_lo
	v_cndmask_b32_e64 v7, v13, v4, s3
	v_cndmask_b32_e64 v3, v3, v8, s3
	;; [unrolled: 1-line block ×3, first 2 shown]
	v_cmp_eq_u32_e64 s3, 7, v69
	v_cndmask_b32_e64 v4, v10, v8, s5
	v_cndmask_b32_e64 v5, v5, v12, s6
	;; [unrolled: 1-line block ×3, first 2 shown]
	v_cndmask_b32_e32 v2, v2, v16, vcc_lo
	v_cndmask_b32_e64 v7, v7, v12, s3
	v_cndmask_b32_e64 v3, v3, v16, s3
	;; [unrolled: 1-line block ×4, first 2 shown]
	v_cmp_gt_u32_e32 vcc_lo, 32, v0
	v_perm_b32 v4, v2, v1, 0x5040100
	v_perm_b32 v3, v3, v7, 0x5040100
	v_perm_b32 v2, v8, v9, 0x5040100
	v_perm_b32 v1, v6, v5, 0x5040100
	s_and_b32 s2, vcc_lo, s2
	ds_store_b128 v74, v[1:4]
	s_waitcnt lgkmcnt(0)
	s_barrier
	buffer_gl0_inv
	s_and_saveexec_b32 s3, s2
	s_cbranch_execz .LBB1139_2
; %bb.15:
	s_load_b64 s[0:1], s[0:1], 0x68
	s_lshl_b32 s4, s35, 6
	v_or_b32_e32 v3, s31, v66
	s_mul_i32 s2, s4, s34
	v_lshlrev_b32_e32 v0, 10, v0
	s_mul_i32 s2, s2, s8
	v_lshlrev_b32_e32 v1, 4, v67
	s_ashr_i32 s3, s2, 31
	v_mul_lo_u32 v12, v3, s4
	s_lshl_b64 s[2:3], s[2:3], 1
	v_lshlrev_b32_e32 v2, 6, v66
	v_and_b32_e32 v0, 0x3800, v0
	s_delay_alu instid0(VALU_DEP_1) | instskip(NEXT) | instid1(VALU_DEP_4)
	v_or3_b32 v8, v0, v1, v2
	v_ashrrev_i32_e32 v13, 31, v12
	ds_load_b128 v[0:3], v8
	ds_load_b128 v[4:7], v8 offset:128
	ds_load_b128 v[8:11], v8 offset:256
	s_waitcnt lgkmcnt(0)
	s_add_u32 s2, s0, s2
	s_addc_u32 s3, s1, s3
	s_lshl_b32 s0, s14, 6
	s_delay_alu instid0(SALU_CYCLE_1) | instskip(NEXT) | instid1(SALU_CYCLE_1)
	s_ashr_i32 s1, s0, 31
	s_lshl_b64 s[0:1], s[0:1], 1
	s_delay_alu instid0(SALU_CYCLE_1)
	s_add_u32 s0, s2, s0
	s_addc_u32 s1, s3, s1
	s_lshl_b32 s2, s35, 7
	v_add_co_u32 v18, s0, s0, v65
	v_add_nc_u32_e32 v14, s2, v12
	v_lshlrev_b64 v[12:13], 1, v[12:13]
	v_add_co_ci_u32_e64 v19, null, s1, 0, s0
	s_delay_alu instid0(VALU_DEP_3) | instskip(SKIP_1) | instid1(VALU_DEP_4)
	v_add_nc_u32_e32 v16, s2, v14
	v_ashrrev_i32_e32 v15, 31, v14
	v_add_co_u32 v12, vcc_lo, v18, v12
	s_delay_alu instid0(VALU_DEP_4) | instskip(NEXT) | instid1(VALU_DEP_4)
	v_add_co_ci_u32_e32 v13, vcc_lo, v19, v13, vcc_lo
	v_ashrrev_i32_e32 v17, 31, v16
	s_delay_alu instid0(VALU_DEP_4) | instskip(NEXT) | instid1(VALU_DEP_2)
	v_lshlrev_b64 v[14:15], 1, v[14:15]
	v_lshlrev_b64 v[16:17], 1, v[16:17]
	s_delay_alu instid0(VALU_DEP_2) | instskip(NEXT) | instid1(VALU_DEP_3)
	v_add_co_u32 v14, vcc_lo, v18, v14
	v_add_co_ci_u32_e32 v15, vcc_lo, v19, v15, vcc_lo
	s_delay_alu instid0(VALU_DEP_3) | instskip(NEXT) | instid1(VALU_DEP_4)
	v_add_co_u32 v16, vcc_lo, v18, v16
	v_add_co_ci_u32_e32 v17, vcc_lo, v19, v17, vcc_lo
	s_clause 0x2
	global_store_b128 v[12:13], v[0:3], off
	global_store_b128 v[14:15], v[4:7], off
	;; [unrolled: 1-line block ×3, first 2 shown]
	s_nop 0
	s_sendmsg sendmsg(MSG_DEALLOC_VGPRS)
	s_endpgm
	.section	.rodata,"a",@progbits
	.p2align	6, 0x0
	.amdhsa_kernel _Z39paged_attention_ll4mi_QKV_mfma16_kernelIDF16_hLN4vllm18Fp8KVCacheDataTypeE1EDF16_Li16ELi64ELi256ELb0ELi6EL8MFMAType0EEvPKT_PKT0_S8_ifPKiSA_SA_iPKfiiiPfSD_PS3_PT2_iSC_SC_
		.amdhsa_group_segment_fixed_size 17472
		.amdhsa_private_segment_fixed_size 0
		.amdhsa_kernarg_size 400
		.amdhsa_user_sgpr_count 13
		.amdhsa_user_sgpr_dispatch_ptr 0
		.amdhsa_user_sgpr_queue_ptr 0
		.amdhsa_user_sgpr_kernarg_segment_ptr 1
		.amdhsa_user_sgpr_dispatch_id 0
		.amdhsa_user_sgpr_private_segment_size 0
		.amdhsa_wavefront_size32 1
		.amdhsa_uses_dynamic_stack 0
		.amdhsa_enable_private_segment 0
		.amdhsa_system_sgpr_workgroup_id_x 1
		.amdhsa_system_sgpr_workgroup_id_y 1
		.amdhsa_system_sgpr_workgroup_id_z 1
		.amdhsa_system_sgpr_workgroup_info 0
		.amdhsa_system_vgpr_workitem_id 0
		.amdhsa_next_free_vgpr 146
		.amdhsa_next_free_sgpr 36
		.amdhsa_reserve_vcc 1
		.amdhsa_float_round_mode_32 0
		.amdhsa_float_round_mode_16_64 0
		.amdhsa_float_denorm_mode_32 3
		.amdhsa_float_denorm_mode_16_64 3
		.amdhsa_dx10_clamp 1
		.amdhsa_ieee_mode 1
		.amdhsa_fp16_overflow 0
		.amdhsa_workgroup_processor_mode 1
		.amdhsa_memory_ordered 1
		.amdhsa_forward_progress 0
		.amdhsa_shared_vgpr_count 0
		.amdhsa_exception_fp_ieee_invalid_op 0
		.amdhsa_exception_fp_denorm_src 0
		.amdhsa_exception_fp_ieee_div_zero 0
		.amdhsa_exception_fp_ieee_overflow 0
		.amdhsa_exception_fp_ieee_underflow 0
		.amdhsa_exception_fp_ieee_inexact 0
		.amdhsa_exception_int_div_zero 0
	.end_amdhsa_kernel
	.section	.text._Z39paged_attention_ll4mi_QKV_mfma16_kernelIDF16_hLN4vllm18Fp8KVCacheDataTypeE1EDF16_Li16ELi64ELi256ELb0ELi6EL8MFMAType0EEvPKT_PKT0_S8_ifPKiSA_SA_iPKfiiiPfSD_PS3_PT2_iSC_SC_,"axG",@progbits,_Z39paged_attention_ll4mi_QKV_mfma16_kernelIDF16_hLN4vllm18Fp8KVCacheDataTypeE1EDF16_Li16ELi64ELi256ELb0ELi6EL8MFMAType0EEvPKT_PKT0_S8_ifPKiSA_SA_iPKfiiiPfSD_PS3_PT2_iSC_SC_,comdat
.Lfunc_end1139:
	.size	_Z39paged_attention_ll4mi_QKV_mfma16_kernelIDF16_hLN4vllm18Fp8KVCacheDataTypeE1EDF16_Li16ELi64ELi256ELb0ELi6EL8MFMAType0EEvPKT_PKT0_S8_ifPKiSA_SA_iPKfiiiPfSD_PS3_PT2_iSC_SC_, .Lfunc_end1139-_Z39paged_attention_ll4mi_QKV_mfma16_kernelIDF16_hLN4vllm18Fp8KVCacheDataTypeE1EDF16_Li16ELi64ELi256ELb0ELi6EL8MFMAType0EEvPKT_PKT0_S8_ifPKiSA_SA_iPKfiiiPfSD_PS3_PT2_iSC_SC_
                                        ; -- End function
	.section	.AMDGPU.csdata,"",@progbits
; Kernel info:
; codeLenInByte = 6460
; NumSgprs: 38
; NumVgprs: 146
; ScratchSize: 0
; MemoryBound: 0
; FloatMode: 240
; IeeeMode: 1
; LDSByteSize: 17472 bytes/workgroup (compile time only)
; SGPRBlocks: 4
; VGPRBlocks: 18
; NumSGPRsForWavesPerEU: 38
; NumVGPRsForWavesPerEU: 146
; Occupancy: 9
; WaveLimiterHint : 1
; COMPUTE_PGM_RSRC2:SCRATCH_EN: 0
; COMPUTE_PGM_RSRC2:USER_SGPR: 13
; COMPUTE_PGM_RSRC2:TRAP_HANDLER: 0
; COMPUTE_PGM_RSRC2:TGID_X_EN: 1
; COMPUTE_PGM_RSRC2:TGID_Y_EN: 1
; COMPUTE_PGM_RSRC2:TGID_Z_EN: 1
; COMPUTE_PGM_RSRC2:TIDIG_COMP_CNT: 0
	.section	.text._Z39paged_attention_ll4mi_QKV_mfma16_kernelIDF16_hLN4vllm18Fp8KVCacheDataTypeE1EDF16_Li16ELi64ELi256ELb0ELi7EL8MFMAType0EEvPKT_PKT0_S8_ifPKiSA_SA_iPKfiiiPfSD_PS3_PT2_iSC_SC_,"axG",@progbits,_Z39paged_attention_ll4mi_QKV_mfma16_kernelIDF16_hLN4vllm18Fp8KVCacheDataTypeE1EDF16_Li16ELi64ELi256ELb0ELi7EL8MFMAType0EEvPKT_PKT0_S8_ifPKiSA_SA_iPKfiiiPfSD_PS3_PT2_iSC_SC_,comdat
	.protected	_Z39paged_attention_ll4mi_QKV_mfma16_kernelIDF16_hLN4vllm18Fp8KVCacheDataTypeE1EDF16_Li16ELi64ELi256ELb0ELi7EL8MFMAType0EEvPKT_PKT0_S8_ifPKiSA_SA_iPKfiiiPfSD_PS3_PT2_iSC_SC_ ; -- Begin function _Z39paged_attention_ll4mi_QKV_mfma16_kernelIDF16_hLN4vllm18Fp8KVCacheDataTypeE1EDF16_Li16ELi64ELi256ELb0ELi7EL8MFMAType0EEvPKT_PKT0_S8_ifPKiSA_SA_iPKfiiiPfSD_PS3_PT2_iSC_SC_
	.globl	_Z39paged_attention_ll4mi_QKV_mfma16_kernelIDF16_hLN4vllm18Fp8KVCacheDataTypeE1EDF16_Li16ELi64ELi256ELb0ELi7EL8MFMAType0EEvPKT_PKT0_S8_ifPKiSA_SA_iPKfiiiPfSD_PS3_PT2_iSC_SC_
	.p2align	8
	.type	_Z39paged_attention_ll4mi_QKV_mfma16_kernelIDF16_hLN4vllm18Fp8KVCacheDataTypeE1EDF16_Li16ELi64ELi256ELb0ELi7EL8MFMAType0EEvPKT_PKT0_S8_ifPKiSA_SA_iPKfiiiPfSD_PS3_PT2_iSC_SC_,@function
_Z39paged_attention_ll4mi_QKV_mfma16_kernelIDF16_hLN4vllm18Fp8KVCacheDataTypeE1EDF16_Li16ELi64ELi256ELb0ELi7EL8MFMAType0EEvPKT_PKT0_S8_ifPKiSA_SA_iPKfiiiPfSD_PS3_PT2_iSC_SC_: ; @_Z39paged_attention_ll4mi_QKV_mfma16_kernelIDF16_hLN4vllm18Fp8KVCacheDataTypeE1EDF16_Li16ELi64ELi256ELb0ELi7EL8MFMAType0EEvPKT_PKT0_S8_ifPKiSA_SA_iPKfiiiPfSD_PS3_PT2_iSC_SC_
; %bb.0:
	s_load_b64 s[2:3], s[0:1], 0x30
	s_mov_b32 s34, s13
	s_waitcnt lgkmcnt(0)
	s_cmp_lg_u64 s[2:3], 0
	s_cselect_b32 s6, -1, 0
	s_ashr_i32 s35, s13, 31
	s_cmp_eq_u64 s[2:3], 0
	s_cbranch_scc1 .LBB1140_3
; %bb.1:
	s_lshl_b64 s[4:5], s[34:35], 2
	s_delay_alu instid0(SALU_CYCLE_1) | instskip(SKIP_4) | instid1(SALU_CYCLE_1)
	s_add_u32 s4, s2, s4
	s_addc_u32 s5, s3, s5
	s_load_b64 s[4:5], s[4:5], 0x0
	s_waitcnt lgkmcnt(0)
	s_sub_i32 s4, s5, s4
	s_cmp_eq_u32 s4, 1
	s_cselect_b32 s4, -1, 0
	s_delay_alu instid0(SALU_CYCLE_1)
	s_and_not1_b32 vcc_lo, exec_lo, s4
	s_cbranch_vccz .LBB1140_4
.LBB1140_2:
	s_nop 0
	s_sendmsg sendmsg(MSG_DEALLOC_VGPRS)
	s_endpgm
.LBB1140_3:
.LBB1140_4:
	s_load_b64 s[8:9], s[0:1], 0x28
	s_lshl_b64 s[4:5], s[34:35], 2
	s_waitcnt lgkmcnt(0)
	s_add_u32 s8, s8, s4
	s_addc_u32 s9, s9, s5
	s_lshl_b32 s16, s14, 8
	s_load_b32 s18, s[8:9], 0x0
	s_waitcnt lgkmcnt(0)
	s_cmp_ge_i32 s16, s18
	s_cbranch_scc1 .LBB1140_2
; %bb.5:
	s_clause 0x1
	s_load_b128 s[8:11], s[0:1], 0x8
	s_load_b64 s[12:13], s[0:1], 0x20
	s_and_not1_b32 vcc_lo, exec_lo, s6
	s_cbranch_vccnz .LBB1140_7
; %bb.6:
	s_add_u32 s2, s2, s4
	s_addc_u32 s3, s3, s5
	s_load_b32 s3, s[2:3], 0x0
	s_branch .LBB1140_8
.LBB1140_7:
	s_mov_b32 s3, s34
.LBB1140_8:
	s_load_b128 s[4:7], s[0:1], 0x48
	v_lshrrev_b32_e32 v69, 5, v0
	v_bfe_u32 v66, v0, 4, 1
	v_and_b32_e32 v68, 15, v0
	v_and_b32_e32 v70, 31, v0
	;; [unrolled: 1-line block ×3, first 2 shown]
	s_mul_i32 s33, s15, 7
	v_lshl_or_b32 v1, v69, 1, v66
	v_lshlrev_b32_e32 v2, 3, v68
	v_cmp_gt_u32_e64 s2, 8, v68
	s_delay_alu instid0(VALU_DEP_3) | instskip(NEXT) | instid1(VALU_DEP_3)
	v_cmp_gt_u32_e32 vcc_lo, 7, v1
	v_lshlrev_b32_e32 v65, 1, v2
	s_delay_alu instid0(VALU_DEP_3)
	s_and_b32 s17, s2, vcc_lo
	s_waitcnt lgkmcnt(0)
	s_and_saveexec_b32 s7, s17
	s_cbranch_execz .LBB1140_10
; %bb.9:
	s_load_b64 s[20:21], s[0:1], 0x0
	v_add_lshl_u32 v2, v1, s33, 6
	s_mul_hi_i32 s23, s3, s4
	s_mul_i32 s22, s3, s4
	v_lshlrev_b32_e32 v6, 10, v68
	s_lshl_b64 s[22:23], s[22:23], 1
	v_ashrrev_i32_e32 v3, 31, v2
	v_lshlrev_b32_e32 v1, 6, v1
	v_lshlrev_b32_e32 v7, 10, v67
	v_and_b32_e32 v6, 0x3800, v6
	s_delay_alu instid0(VALU_DEP_4) | instskip(NEXT) | instid1(VALU_DEP_2)
	v_lshlrev_b64 v[2:3], 1, v[2:3]
	v_or3_b32 v1, v6, v7, v1
	s_waitcnt lgkmcnt(0)
	s_add_u32 s3, s20, s22
	s_addc_u32 s4, s21, s23
	s_delay_alu instid0(VALU_DEP_2) | instskip(SKIP_1) | instid1(VALU_DEP_2)
	v_add_co_u32 v2, vcc_lo, s3, v2
	v_add_co_ci_u32_e32 v3, vcc_lo, s4, v3, vcc_lo
	v_add_co_u32 v2, vcc_lo, v2, v65
	s_delay_alu instid0(VALU_DEP_2)
	v_add_co_ci_u32_e32 v3, vcc_lo, 0, v3, vcc_lo
	global_load_b128 v[2:5], v[2:3], off
	s_waitcnt vmcnt(0)
	ds_store_b128 v1, v[2:5]
.LBB1140_10:
	s_or_b32 exec_lo, exec_lo, s7
	v_and_b32_e32 v1, 0xef, v0
	s_add_i32 s3, s18, 15
	s_clause 0x1
	s_load_b32 s4, s[0:1], 0x38
	s_load_b32 s35, s[0:1], 0x98
	s_ashr_i32 s7, s3, 31
	v_add_nc_u32_e32 v1, s16, v1
	s_lshr_b32 s7, s7, 28
	s_load_b32 s19, s[0:1], 0x1c
	s_add_i32 s3, s3, s7
	s_waitcnt lgkmcnt(0)
	v_ashrrev_i32_e32 v2, 31, v1
	v_or_b32_e32 v3, 16, v1
	s_ashr_i32 s3, s3, 4
	v_cmp_gt_i32_e32 vcc_lo, s18, v1
	s_add_i32 s3, s3, -1
	v_lshrrev_b32_e32 v2, 28, v2
	s_barrier
	buffer_gl0_inv
	s_mul_i32 s15, s15, s6
	v_mul_lo_u16 v103, v68, 37
	v_add_nc_u32_e32 v4, v1, v2
	v_mbcnt_lo_u32_b32 v127, -1, 0
	s_mul_i32 s20, s34, s4
	s_delay_alu instid0(SALU_CYCLE_1) | instskip(NEXT) | instid1(VALU_DEP_2)
	s_ashr_i32 s21, s20, 31
	v_ashrrev_i32_e32 v4, 4, v4
	v_add_nc_u32_e32 v2, v3, v2
	s_lshl_b64 s[20:21], s[20:21], 2
	v_lshrrev_b16 v103, 8, v103
	s_add_u32 s17, s12, s20
	v_cndmask_b32_e32 v1, s3, v4, vcc_lo
	v_ashrrev_i32_e32 v2, 4, v2
	v_cmp_gt_i32_e32 vcc_lo, s18, v3
	s_addc_u32 s13, s13, s21
	s_ashr_i32 s20, s15, 31
	s_add_u32 s4, s8, s15
	s_addc_u32 s12, s9, s20
	v_cndmask_b32_e32 v3, s3, v2, vcc_lo
	v_ashrrev_i32_e32 v2, 31, v1
	s_lshl_b32 s6, s14, 4
	v_mul_lo_u16 v103, v103, 7
	s_ashr_i32 s7, s6, 31
	v_ashrrev_i32_e32 v4, 31, v3
	v_lshlrev_b64 v[1:2], 2, v[1:2]
	s_lshl_b64 s[6:7], s[6:7], 2
	v_sub_nc_u16 v103, v68, v103
	s_add_u32 s6, s17, s6
	v_lshlrev_b64 v[3:4], 2, v[3:4]
	s_addc_u32 s7, s13, s7
	v_add_co_u32 v1, vcc_lo, s17, v1
	v_add_co_ci_u32_e32 v2, vcc_lo, s13, v2, vcc_lo
	s_delay_alu instid0(VALU_DEP_3) | instskip(NEXT) | instid1(VALU_DEP_4)
	v_add_co_u32 v3, vcc_lo, s17, v3
	v_add_co_ci_u32_e32 v4, vcc_lo, s13, v4, vcc_lo
	s_clause 0x1
	global_load_b32 v5, v[1:2], off
	global_load_b32 v7, v[3:4], off
	s_or_b32 s8, s16, 32
	v_lshlrev_b32_e32 v1, 4, v0
	s_ashr_i32 s9, s8, 4
	s_cmp_lt_i32 s8, s18
	v_xor_b32_e32 v128, 16, v127
	s_cselect_b32 s8, s9, s3
	v_and_b32_e32 v1, 0xf0, v1
	s_ashr_i32 s9, s8, 31
	s_delay_alu instid0(SALU_CYCLE_1)
	s_lshl_b64 s[8:9], s[8:9], 2
	v_cmp_gt_i32_e32 vcc_lo, 32, v128
	s_add_u32 s8, s17, s8
	s_addc_u32 s9, s13, s9
	s_or_b32 s21, s16, 64
	v_add_co_u32 v1, s4, s4, v1
	s_ashr_i32 s22, s21, 4
	s_cmp_lt_i32 s21, s18
	v_add_co_ci_u32_e64 v2, null, s12, 0, s4
	s_cselect_b32 s22, s22, s3
	v_dual_cndmask_b32 v136, v127, v128 :: v_dual_and_b32 v103, 0xff, v103
	s_ashr_i32 s23, s22, 31
	s_delay_alu instid0(SALU_CYCLE_1) | instskip(NEXT) | instid1(VALU_DEP_1)
	s_lshl_b64 s[22:23], s[22:23], 2
	v_lshlrev_b32_e32 v115, 6, v103
	s_add_u32 s22, s17, s22
	s_addc_u32 s23, s13, s23
	s_or_b32 s21, s16, 0x60
	s_delay_alu instid0(SALU_CYCLE_1) | instskip(SKIP_2) | instid1(SALU_CYCLE_1)
	s_ashr_i32 s24, s21, 4
	s_cmp_lt_i32 s21, s18
	s_cselect_b32 s24, s24, s3
	s_ashr_i32 s25, s24, 31
	s_delay_alu instid0(SALU_CYCLE_1) | instskip(NEXT) | instid1(SALU_CYCLE_1)
	s_lshl_b64 s[24:25], s[24:25], 2
	s_add_u32 s24, s17, s24
	s_addc_u32 s25, s13, s25
	s_or_b32 s21, s16, 0x80
	s_delay_alu instid0(SALU_CYCLE_1) | instskip(SKIP_2) | instid1(SALU_CYCLE_1)
	s_ashr_i32 s26, s21, 4
	s_cmp_lt_i32 s21, s18
	s_cselect_b32 s26, s26, s3
	s_ashr_i32 s27, s26, 31
	s_delay_alu instid0(SALU_CYCLE_1) | instskip(NEXT) | instid1(SALU_CYCLE_1)
	s_lshl_b64 s[26:27], s[26:27], 2
	;; [unrolled: 10-line block ×3, first 2 shown]
	s_add_u32 s28, s17, s28
	s_addc_u32 s29, s13, s29
	s_clause 0x5
	s_load_b32 s12, s[6:7], 0x0
	s_load_b32 s4, s[8:9], 0x0
	;; [unrolled: 1-line block ×6, first 2 shown]
	s_or_b32 s21, s16, 0xc0
	s_delay_alu instid0(SALU_CYCLE_1) | instskip(SKIP_2) | instid1(SALU_CYCLE_1)
	s_ashr_i32 s22, s21, 4
	s_cmp_lt_i32 s21, s18
	s_cselect_b32 s22, s22, s3
	s_ashr_i32 s23, s22, 31
	s_delay_alu instid0(SALU_CYCLE_1) | instskip(NEXT) | instid1(SALU_CYCLE_1)
	s_lshl_b64 s[22:23], s[22:23], 2
	s_add_u32 s22, s17, s22
	s_addc_u32 s23, s13, s23
	s_or_b32 s21, s16, 0xe0
	s_delay_alu instid0(SALU_CYCLE_1) | instskip(SKIP_2) | instid1(SALU_CYCLE_1)
	s_ashr_i32 s24, s21, 4
	s_cmp_lt_i32 s21, s18
	s_cselect_b32 s24, s24, s3
	s_ashr_i32 s25, s24, 31
	s_delay_alu instid0(SALU_CYCLE_1)
	s_lshl_b64 s[24:25], s[24:25], 2
	s_waitcnt vmcnt(1)
	v_mad_i64_i32 v[3:4], null, v5, s5, v[1:2]
	s_waitcnt vmcnt(0)
	v_mad_i64_i32 v[5:6], null, v7, s5, v[1:2]
	v_lshlrev_b32_e32 v1, 4, v68
	s_clause 0x7
	global_load_b128 v[71:74], v[3:4], off
	global_load_b128 v[75:78], v[3:4], off offset:256
	global_load_b128 v[79:82], v[5:6], off
	global_load_b128 v[83:86], v[5:6], off offset:256
	global_load_b128 v[87:90], v[3:4], off offset:512
	global_load_b128 v[91:94], v[3:4], off offset:768
	global_load_b128 v[95:98], v[5:6], off offset:512
	global_load_b128 v[99:102], v[5:6], off offset:768
	v_lshl_or_b32 v1, v69, 8, v1
	s_load_b32 s3, s[22:23], 0x0
	s_add_u32 s22, s17, s24
	s_addc_u32 s23, s13, s25
	s_add_u32 s10, s10, s15
	s_addc_u32 s11, s11, s20
	v_add_co_u32 v1, s10, s10, v1
	s_delay_alu instid0(VALU_DEP_1) | instskip(SKIP_2) | instid1(VALU_DEP_1)
	v_add_co_ci_u32_e64 v2, null, s11, 0, s10
	s_load_b32 s10, s[22:23], 0x0
	s_waitcnt lgkmcnt(0)
	v_mad_i64_i32 v[3:4], null, s12, s5, v[1:2]
	v_mad_i64_i32 v[9:10], null, s7, s5, v[1:2]
	;; [unrolled: 1-line block ×7, first 2 shown]
	s_clause 0x5
	global_load_b128 v[49:52], v[3:4], off
	global_load_b128 v[53:56], v[3:4], off offset:16
	global_load_b128 v[41:44], v[5:6], off
	global_load_b128 v[45:48], v[5:6], off offset:16
	;; [unrolled: 2-line block ×3, first 2 shown]
	s_mov_b32 s4, 0
	v_mad_i64_i32 v[61:62], null, s10, s5, v[1:2]
	s_clause 0x9
	global_load_b128 v[1:4], v[9:10], off
	global_load_b128 v[5:8], v[9:10], off offset:16
	global_load_b128 v[9:12], v[13:14], off
	global_load_b128 v[13:16], v[13:14], off offset:16
	;; [unrolled: 2-line block ×5, first 2 shown]
	s_mov_b32 s5, s4
	s_mov_b32 s6, s4
	;; [unrolled: 1-line block ×7, first 2 shown]
	v_and_b32_e32 v104, 0xe0, v0
	v_dual_mov_b32 v126, s11 :: v_dual_mov_b32 v123, s8
	v_dual_mov_b32 v125, s10 :: v_dual_mov_b32 v124, s9
	s_delay_alu instid0(VALU_DEP_3)
	v_add_nc_u32_e32 v111, s16, v104
	ds_load_b128 v[103:106], v115
	ds_load_b128 v[107:110], v115 offset:1024
	v_dual_mov_b32 v122, s7 :: v_dual_mov_b32 v121, s6
	v_mov_b32_e32 v120, s5
	v_or_b32_e32 v135, v111, v66
	ds_load_b128 v[111:114], v115 offset:2048
	ds_load_b128 v[115:118], v115 offset:3072
	v_mov_b32_e32 v119, s4
	s_waitcnt vmcnt(0) lgkmcnt(0)
	s_barrier
	v_or_b32_e32 v137, 2, v135
	v_or_b32_e32 v138, 4, v135
	v_or_b32_e32 v139, 6, v135
	v_cmp_gt_i32_e32 vcc_lo, s18, v135
	v_or_b32_e32 v140, 8, v135
	v_cmp_gt_i32_e64 s3, s18, v137
	v_or_b32_e32 v141, 10, v135
	v_cmp_gt_i32_e64 s4, s18, v138
	v_cmp_gt_i32_e64 s5, s18, v139
	v_or_b32_e32 v142, 12, v135
	v_or_b32_e32 v143, 14, v135
	v_cmp_gt_i32_e64 s6, s18, v140
	v_cmp_gt_i32_e64 s7, s18, v141
	v_or_b32_e32 v144, 16, v135
	v_or_b32_e32 v145, 18, v135
	v_cmp_gt_i32_e64 s8, s18, v142
	v_cmp_gt_i32_e64 s9, s18, v143
	buffer_gl0_inv
	v_cmp_gt_i32_e64 s10, s18, v144
	v_cmp_gt_i32_e64 s11, s18, v145
	v_wmma_f32_16x16x16_f16 v[127:134], v[71:78], v[103:110], v[119:126]
	v_wmma_f32_16x16x16_f16 v[119:126], v[79:86], v[103:110], v[119:126]
	v_or_b32_e32 v71, 20, v135
	v_or_b32_e32 v72, 22, v135
	s_delay_alu instid0(VALU_DEP_4)
	v_wmma_f32_16x16x16_f16 v[127:134], v[87:94], v[111:118], v[127:134]
	v_or_b32_e32 v73, 24, v135
	v_wmma_f32_16x16x16_f16 v[119:126], v[95:102], v[111:118], v[119:126]
	v_or_b32_e32 v74, 26, v135
	v_cmp_gt_i32_e64 s12, s18, v71
	v_dual_mul_f32 v83, s19, v128 :: v_dual_mul_f32 v84, s19, v127
	s_delay_alu instid0(VALU_DEP_4) | instskip(SKIP_1) | instid1(VALU_DEP_3)
	v_dual_mul_f32 v81, s19, v130 :: v_dual_mul_f32 v92, s19, v119
	v_mul_f32_e32 v82, s19, v129
	v_cndmask_b32_e64 v83, 0xff7fffff, v83, s3
	s_delay_alu instid0(VALU_DEP_4)
	v_cndmask_b32_e32 v84, 0xff7fffff, v84, vcc_lo
	v_dual_mul_f32 v79, s19, v132 :: v_dual_mul_f32 v90, s19, v121
	v_mul_f32_e32 v80, s19, v131
	v_cndmask_b32_e64 v82, 0xff7fffff, v82, s4
	v_cndmask_b32_e64 v81, 0xff7fffff, v81, s5
	v_max3_f32 v83, v84, 0xff7fffff, v83
	v_dual_mul_f32 v77, s19, v134 :: v_dual_mul_f32 v88, s19, v123
	v_mul_f32_e32 v78, s19, v133
	v_cndmask_b32_e64 v80, 0xff7fffff, v80, s6
	v_cndmask_b32_e64 v79, 0xff7fffff, v79, s7
	v_max3_f32 v81, v83, v82, v81
	v_mul_f32_e32 v91, s19, v120
	v_cndmask_b32_e64 v78, 0xff7fffff, v78, s8
	v_cndmask_b32_e64 v77, 0xff7fffff, v77, s9
	v_mul_f32_e32 v89, s19, v122
	v_max3_f32 v79, v81, v80, v79
	v_cndmask_b32_e64 v80, 0xff7fffff, v92, s10
	v_cndmask_b32_e64 v81, 0xff7fffff, v91, s11
	v_cmp_gt_i32_e64 s13, s18, v72
	v_or_b32_e32 v75, 28, v135
	v_max3_f32 v77, v79, v78, v77
	v_or_b32_e32 v76, 30, v135
	v_mul_f32_e32 v87, s19, v124
	v_cndmask_b32_e64 v71, 0xff7fffff, v90, s12
	v_cndmask_b32_e64 v72, 0xff7fffff, v89, s13
	v_max3_f32 v77, v77, v80, v81
	v_cmp_gt_i32_e64 s15, s18, v73
	v_cmp_gt_i32_e64 s16, s18, v74
	v_dual_mul_f32 v85, s19, v126 :: v_dual_mul_f32 v86, s19, v125
	s_delay_alu instid0(VALU_DEP_4) | instskip(NEXT) | instid1(VALU_DEP_4)
	v_max3_f32 v71, v77, v71, v72
	v_cndmask_b32_e64 v73, 0xff7fffff, v88, s15
	s_delay_alu instid0(VALU_DEP_4) | instskip(SKIP_2) | instid1(VALU_DEP_3)
	v_cndmask_b32_e64 v74, 0xff7fffff, v87, s16
	v_cmp_gt_i32_e64 s17, s18, v75
	v_cmp_gt_i32_e64 s18, s18, v76
	v_max3_f32 v71, v71, v73, v74
	s_delay_alu instid0(VALU_DEP_3) | instskip(NEXT) | instid1(VALU_DEP_3)
	v_cndmask_b32_e64 v72, 0xff7fffff, v86, s17
	v_cndmask_b32_e64 v75, 0xff7fffff, v85, s18
	v_lshlrev_b32_e32 v73, 2, v136
	s_delay_alu instid0(VALU_DEP_2) | instskip(SKIP_3) | instid1(VALU_DEP_1)
	v_max3_f32 v71, v71, v72, v75
	ds_bpermute_b32 v72, v73, v71
	s_waitcnt lgkmcnt(0)
	v_max_f32_e32 v72, v72, v72
	v_max_f32_e32 v71, v71, v72
	s_delay_alu instid0(VALU_DEP_1)
	v_fma_f32 v72, s19, v127, -v71
	v_fma_f32 v74, s19, v128, -v71
	;; [unrolled: 1-line block ×5, first 2 shown]
	v_mul_f32_e32 v72, 0x3fb8aa3b, v72
	v_mul_f32_e32 v74, 0x3fb8aa3b, v74
	v_fma_f32 v80, s19, v133, -v71
	s_delay_alu instid0(VALU_DEP_4) | instskip(NEXT) | instid1(VALU_DEP_4)
	v_dual_mul_f32 v76, 0x3fb8aa3b, v76 :: v_dual_mul_f32 v77, 0x3fb8aa3b, v77
	v_exp_f32_e32 v72, v72
	s_delay_alu instid0(VALU_DEP_3) | instskip(NEXT) | instid1(VALU_DEP_2)
	v_exp_f32_e32 v74, v74
	v_mul_f32_e32 v82, 0x3fb8aa3b, v80
	s_delay_alu instid0(VALU_DEP_2) | instskip(SKIP_1) | instid1(VALU_DEP_1)
	v_exp_f32_e32 v76, v76
	v_exp_f32_e32 v77, v77
	v_exp_f32_e32 v84, v82
	v_cndmask_b32_e32 v79, 0, v72, vcc_lo
	v_fma_f32 v72, s19, v132, -v71
	v_mul_f32_e32 v75, 0x3fb8aa3b, v75
	v_cndmask_b32_e64 v78, 0, v74, s3
	s_delay_alu instid0(TRANS32_DEP_3)
	v_cndmask_b32_e64 v80, 0, v76, s5
	v_add_f32_e32 v74, 0, v79
	v_mul_f32_e32 v72, 0x3fb8aa3b, v72
	v_exp_f32_e32 v75, v75
	v_cndmask_b32_e64 v83, 0, v77, s6
	v_cndmask_b32_e64 v85, 0, v84, s8
	v_add_f32_e32 v74, v74, v78
	v_exp_f32_e32 v72, v72
	v_cmp_gt_u32_e64 s3, 16, v70
	s_waitcnt_depctr 0xfff
	v_cndmask_b32_e64 v81, 0, v75, s4
	v_cndmask_b32_e64 v82, 0, v72, s7
	s_delay_alu instid0(VALU_DEP_2) | instskip(NEXT) | instid1(VALU_DEP_1)
	v_add_f32_e32 v74, v74, v81
	v_add_f32_e32 v74, v74, v80
	s_delay_alu instid0(VALU_DEP_1) | instskip(SKIP_4) | instid1(VALU_DEP_4)
	v_add_f32_e32 v72, v74, v83
	v_fma_f32 v75, s19, v134, -v71
	v_fma_f32 v76, s19, v119, -v71
	;; [unrolled: 1-line block ×4, first 2 shown]
	v_dual_add_f32 v72, v72, v82 :: v_dual_mul_f32 v75, 0x3fb8aa3b, v75
	s_delay_alu instid0(VALU_DEP_3) | instskip(SKIP_1) | instid1(VALU_DEP_3)
	v_dual_mul_f32 v76, 0x3fb8aa3b, v76 :: v_dual_mul_f32 v77, 0x3fb8aa3b, v77
	v_fma_f32 v86, s19, v122, -v71
	v_add_f32_e32 v72, v72, v85
	s_delay_alu instid0(VALU_DEP_4) | instskip(NEXT) | instid1(VALU_DEP_3)
	v_exp_f32_e32 v75, v75
	v_exp_f32_e32 v76, v76
	;; [unrolled: 1-line block ×3, first 2 shown]
	v_mul_f32_e32 v86, 0x3fb8aa3b, v86
	s_delay_alu instid0(VALU_DEP_1) | instskip(SKIP_3) | instid1(TRANS32_DEP_3)
	v_exp_f32_e32 v88, v86
	v_cndmask_b32_e64 v84, 0, v75, s9
	v_fma_f32 v75, s19, v123, -v71
	v_mul_f32_e32 v74, 0x3fb8aa3b, v74
	v_cndmask_b32_e64 v87, 0, v76, s10
	v_fma_f32 v76, s19, v124, -v71
	s_delay_alu instid0(VALU_DEP_4) | instskip(NEXT) | instid1(VALU_DEP_4)
	v_dual_add_f32 v72, v72, v84 :: v_dual_mul_f32 v75, 0x3fb8aa3b, v75
	v_exp_f32_e32 v74, v74
	v_cndmask_b32_e64 v86, 0, v77, s11
	v_fma_f32 v77, s19, v125, -v71
	s_delay_alu instid0(VALU_DEP_3) | instskip(SKIP_3) | instid1(VALU_DEP_3)
	v_add_f32_e32 v72, v72, v87
	v_mul_f32_e32 v76, 0x3fb8aa3b, v76
	v_exp_f32_e32 v75, v75
	v_cndmask_b32_e64 v88, 0, v88, s13
	v_add_f32_e32 v72, v72, v86
	s_delay_alu instid0(VALU_DEP_3) | instskip(NEXT) | instid1(TRANS32_DEP_3)
	v_exp_f32_e32 v76, v76
	v_cndmask_b32_e64 v89, 0, v74, s12
	v_mul_f32_e32 v74, 0x3fb8aa3b, v77
	v_fma_f32 v77, s19, v126, -v71
	s_delay_alu instid0(VALU_DEP_3) | instskip(NEXT) | instid1(VALU_DEP_3)
	v_add_f32_e32 v72, v72, v89
	v_exp_f32_e32 v74, v74
	s_delay_alu instid0(TRANS32_DEP_3) | instskip(NEXT) | instid1(VALU_DEP_3)
	v_cndmask_b32_e64 v91, 0, v75, s15
	v_mul_f32_e32 v75, 0x3fb8aa3b, v77
	s_delay_alu instid0(TRANS32_DEP_2) | instskip(SKIP_1) | instid1(VALU_DEP_3)
	v_cndmask_b32_e64 v90, 0, v76, s16
	v_add_f32_e32 v72, v72, v88
	v_exp_f32_e32 v75, v75
	s_delay_alu instid0(VALU_DEP_1) | instskip(NEXT) | instid1(TRANS32_DEP_2)
	v_add_f32_e32 v72, v72, v91
	v_cndmask_b32_e64 v93, 0, v74, s17
	s_delay_alu instid0(VALU_DEP_2) | instskip(SKIP_3) | instid1(VALU_DEP_1)
	v_add_f32_e32 v72, v72, v90
	s_waitcnt_depctr 0xfff
	v_cndmask_b32_e64 v92, 0, v75, s18
	v_add_f32_e32 v72, v72, v93
	v_add_f32_e32 v72, v72, v92
	ds_bpermute_b32 v73, v73, v72
	s_and_saveexec_b32 s4, s3
	s_cbranch_execz .LBB1140_12
; %bb.11:
	v_mul_u32_u24_e32 v70, 0x44, v69
	s_waitcnt lgkmcnt(0)
	v_add_f32_e32 v72, v72, v73
	s_delay_alu instid0(VALU_DEP_2) | instskip(NEXT) | instid1(VALU_DEP_1)
	v_lshl_add_u32 v70, v68, 2, v70
	v_add_nc_u32_e32 v70, 0x4000, v70
	ds_store_2addr_b32 v70, v71, v72 offset1:136
.LBB1140_12:
	s_or_b32 exec_lo, exec_lo, s4
	v_lshlrev_b32_e32 v70, 2, v68
	s_load_b32 s36, s[0:1], 0x94
	s_waitcnt lgkmcnt(0)
	s_barrier
	buffer_gl0_inv
	v_add_nc_u32_e32 v98, 0x4000, v70
	v_cmp_eq_u32_e32 vcc_lo, 1, v69
	v_cmp_eq_u32_e64 s4, 2, v69
	v_cmp_eq_u32_e64 s5, 3, v69
	v_cmp_eq_u32_e64 s6, 4, v69
	ds_load_2addr_b32 v[70:71], v98 offset1:17
	ds_load_2addr_b32 v[72:73], v98 offset0:34 offset1:51
	ds_load_2addr_b32 v[74:75], v98 offset0:68 offset1:85
	;; [unrolled: 1-line block ×3, first 2 shown]
	v_cmp_eq_u32_e64 s7, 5, v69
	v_cmp_eq_u32_e64 s8, 7, v69
	s_waitcnt lgkmcnt(3)
	v_max3_f32 v76, v70, 0xff7fffff, v71
	s_waitcnt lgkmcnt(2)
	s_delay_alu instid0(VALU_DEP_1) | instskip(SKIP_1) | instid1(VALU_DEP_1)
	v_max3_f32 v76, v76, v72, v73
	s_waitcnt lgkmcnt(1)
	v_max3_f32 v76, v76, v74, v75
	s_waitcnt lgkmcnt(0)
	s_delay_alu instid0(VALU_DEP_1) | instskip(NEXT) | instid1(VALU_DEP_1)
	v_max3_f32 v76, v76, v94, v95
	v_sub_f32_e32 v77, v71, v76
	ds_load_2addr_b32 v[96:97], v98 offset0:136 offset1:153
	v_sub_f32_e32 v74, v74, v76
	v_sub_f32_e32 v70, v70, v76
	;; [unrolled: 1-line block ×3, first 2 shown]
	v_dual_sub_f32 v72, v72, v76 :: v_dual_mul_f32 v77, 0x3fb8aa3b, v77
	s_delay_alu instid0(VALU_DEP_4) | instskip(NEXT) | instid1(VALU_DEP_4)
	v_mul_f32_e32 v103, 0x3fb8aa3b, v74
	v_mul_f32_e32 v99, 0x3fb8aa3b, v70
	ds_load_2addr_b32 v[70:71], v98 offset0:170 offset1:187
	v_dual_mul_f32 v101, 0x3fb8aa3b, v72 :: v_dual_mul_f32 v94, 0x3fb8aa3b, v94
	v_exp_f32_e32 v102, v77
	v_exp_f32_e32 v99, v99
	s_delay_alu instid0(VALU_DEP_1) | instskip(NEXT) | instid1(VALU_DEP_1)
	v_exp_f32_e32 v101, v101
	v_exp_f32_e32 v94, v94
	s_waitcnt lgkmcnt(1)
	s_delay_alu instid0(TRANS32_DEP_3)
	v_fma_f32 v77, v99, v96, 0
	v_sub_f32_e32 v100, v73, v76
	ds_load_2addr_b32 v[72:73], v98 offset0:204 offset1:221
	v_fmac_f32_e32 v77, v102, v97
	v_exp_f32_e32 v97, v103
	s_waitcnt lgkmcnt(1)
	s_delay_alu instid0(VALU_DEP_1)
	v_dual_fmac_f32 v77, v101, v70 :: v_dual_sub_f32 v96, v75, v76
	ds_load_2addr_b32 v[74:75], v98 offset0:238 offset1:255
	v_sub_f32_e32 v70, v95, v76
	s_waitcnt lgkmcnt(0)
	s_barrier
	v_mul_f32_e32 v96, 0x3fb8aa3b, v96
	buffer_gl0_inv
	v_exp_f32_e32 v95, v96
	v_mul_f32_e32 v100, 0x3fb8aa3b, v100
	s_delay_alu instid0(VALU_DEP_1) | instskip(SKIP_3) | instid1(VALU_DEP_2)
	v_exp_f32_e32 v100, v100
	s_waitcnt_depctr 0xfff
	v_dual_fmac_f32 v77, v100, v71 :: v_dual_mul_f32 v70, 0x3fb8aa3b, v70
	v_cndmask_b32_e32 v71, v99, v102, vcc_lo
	v_fmac_f32_e32 v77, v97, v72
	s_delay_alu instid0(VALU_DEP_3) | instskip(NEXT) | instid1(VALU_DEP_1)
	v_exp_f32_e32 v96, v70
	v_fmac_f32_e32 v77, v95, v73
	s_delay_alu instid0(VALU_DEP_1) | instskip(SKIP_2) | instid1(VALU_DEP_1)
	v_fmac_f32_e32 v77, v94, v74
	s_waitcnt_depctr 0xfff
	v_fmac_f32_e32 v77, v96, v75
	v_add_f32_e32 v74, 0x358637bd, v77
	s_delay_alu instid0(VALU_DEP_1) | instskip(SKIP_1) | instid1(VALU_DEP_2)
	v_div_scale_f32 v98, null, v74, v74, 1.0
	v_div_scale_f32 v99, vcc_lo, 1.0, v74, 1.0
	v_rcp_f32_e32 v103, v98
	s_waitcnt_depctr 0xfff
	v_fma_f32 v70, -v98, v103, 1.0
	s_delay_alu instid0(VALU_DEP_1) | instskip(SKIP_2) | instid1(VALU_DEP_2)
	v_fmac_f32_e32 v103, v70, v103
	v_cndmask_b32_e64 v70, v71, v101, s4
	v_cmp_eq_u32_e64 s4, 6, v69
	v_cndmask_b32_e64 v71, v70, v100, s5
	s_delay_alu instid0(VALU_DEP_4) | instskip(NEXT) | instid1(VALU_DEP_2)
	v_dual_mul_f32 v101, v99, v103 :: v_dual_lshlrev_b32 v70, 2, v66
	v_cndmask_b32_e64 v71, v71, v97, s6
	s_delay_alu instid0(VALU_DEP_2) | instskip(NEXT) | instid1(VALU_DEP_3)
	v_or_b32_e32 v72, 1, v70
	v_fma_f32 v100, -v98, v101, v99
	v_cmp_eq_u32_e64 s5, 1, v70
	v_cmp_eq_u32_e64 s6, 2, v70
	v_cndmask_b32_e64 v95, v71, v95, s7
	v_or_b32_e32 v71, 3, v70
	v_fmac_f32_e32 v101, v100, v103
	v_cmp_eq_u32_e64 s10, 1, v72
	v_cmp_eq_u32_e64 s13, 2, v72
	v_cndmask_b32_e64 v94, v95, v94, s4
	v_cmp_eq_u32_e64 s12, 1, v71
	v_fma_f32 v97, -v98, v101, v99
	v_cmp_eq_u32_e64 s17, 2, v71
	v_cmp_eq_u32_e64 s15, 3, v72
	v_cndmask_b32_e64 v94, v94, v96, s8
	v_cmp_eq_u32_e64 s19, 3, v71
	v_div_fmas_f32 v95, v97, v103, v101
	v_cmp_eq_u32_e32 vcc_lo, 3, v70
	v_cmp_eq_u32_e64 s4, 4, v70
	v_cmp_eq_u32_e64 s20, 4, v72
	;; [unrolled: 1-line block ×3, first 2 shown]
	v_div_fixup_f32 v95, v95, v74, 1.0
	v_lshlrev_b32_e32 v73, 6, v68
	v_cmp_eq_u32_e64 s7, 5, v70
	v_cmp_eq_u32_e64 s21, 5, v72
	;; [unrolled: 1-line block ×3, first 2 shown]
	v_mul_f32_e32 v102, v94, v95
	v_lshl_or_b32 v75, v69, 11, v73
	v_or_b32_e32 v69, 2, v70
	v_cmp_eq_u32_e64 s26, 6, v72
	v_cmp_eq_u32_e64 s28, 6, v71
	v_fma_mixlo_f16 v94, v102, v79, 0
	v_fma_mixlo_f16 v95, v102, v81, 0
	;; [unrolled: 1-line block ×8, first 2 shown]
	v_lshl_or_b32 v74, v66, 4, v75
	v_fma_mixhi_f16 v94, v102, v78, 0
	v_fma_mixhi_f16 v95, v102, v80, 0
	;; [unrolled: 1-line block ×8, first 2 shown]
	ds_store_b128 v74, v[94:97]
	ds_store_b128 v74, v[98:101] offset:1024
	s_waitcnt lgkmcnt(0)
	s_barrier
	buffer_gl0_inv
	ds_load_b128 v[78:81], v75
	ds_load_b128 v[82:85], v75 offset:16
	ds_load_b128 v[86:89], v75 offset:1024
	;; [unrolled: 1-line block ×3, first 2 shown]
	v_cmp_eq_u32_e64 s11, 1, v69
	v_cmp_eq_u32_e64 s16, 2, v69
	v_cmp_eq_u32_e64 s18, 3, v69
	v_cmp_eq_u32_e64 s22, 4, v69
	v_cmp_eq_u32_e64 s24, 5, v69
	v_cmp_eq_u32_e64 s8, 6, v70
	v_cmp_eq_u32_e64 s27, 6, v69
	v_cmp_eq_u32_e64 s30, 7, v71
	v_cmp_eq_u32_e64 s31, 7, v72
	v_cmp_eq_u32_e64 s9, 7, v70
	v_cmp_eq_u32_e64 s29, 7, v69
	s_waitcnt lgkmcnt(3)
	v_lshrrev_b32_e32 v94, 16, v78
	s_waitcnt lgkmcnt(2)
	v_lshrrev_b32_e32 v98, 16, v82
	;; [unrolled: 2-line block ×4, first 2 shown]
	v_lshrrev_b32_e32 v95, 16, v79
	v_cndmask_b32_e64 v110, v78, v94, s5
	v_cndmask_b32_e64 v111, v82, v98, s5
	;; [unrolled: 1-line block ×8, first 2 shown]
	v_lshrrev_b32_e32 v99, 16, v83
	v_cndmask_b32_e64 v94, v86, v102, s5
	v_cndmask_b32_e64 v98, v90, v106, s5
	;; [unrolled: 1-line block ×15, first 2 shown]
	v_lshrrev_b32_e32 v103, 16, v87
	v_lshrrev_b32_e32 v107, 16, v91
	v_cndmask_b32_e64 v113, v115, v83, s16
	v_cndmask_b32_e64 v82, v94, v87, s6
	;; [unrolled: 1-line block ×7, first 2 shown]
	v_cndmask_b32_e32 v90, v102, v95, vcc_lo
	v_cndmask_b32_e32 v102, v106, v99, vcc_lo
	v_cndmask_b32_e64 v106, v110, v95, s15
	v_cndmask_b32_e64 v110, v111, v99, s15
	;; [unrolled: 1-line block ×4, first 2 shown]
	v_lshrrev_b32_e32 v96, 16, v80
	v_lshrrev_b32_e32 v100, 16, v84
	v_cndmask_b32_e64 v111, v112, v95, s18
	v_cndmask_b32_e64 v112, v113, v99, s18
	v_cndmask_b32_e32 v82, v82, v103, vcc_lo
	v_cndmask_b32_e32 v83, v83, v107, vcc_lo
	v_cndmask_b32_e64 v94, v94, v103, s15
	v_cndmask_b32_e64 v90, v90, v80, s4
	;; [unrolled: 1-line block ×7, first 2 shown]
	v_lshrrev_b32_e32 v104, 16, v88
	v_cndmask_b32_e64 v106, v111, v80, s22
	v_cndmask_b32_e64 v110, v112, v84, s22
	;; [unrolled: 1-line block ×11, first 2 shown]
	v_lshrrev_b32_e32 v97, 16, v81
	v_lshrrev_b32_e32 v101, 16, v85
	v_cndmask_b32_e64 v99, v106, v96, s24
	v_cndmask_b32_e64 v102, v110, v100, s24
	;; [unrolled: 1-line block ×7, first 2 shown]
	v_lshrrev_b32_e32 v105, 16, v89
	v_cndmask_b32_e64 v80, v80, v104, s7
	v_cndmask_b32_e64 v84, v84, v81, s8
	;; [unrolled: 1-line block ×16, first 2 shown]
	v_perm_b32 v81, v79, v78, 0x5040100
	v_perm_b32 v79, v95, v85, 0x5040100
	v_cndmask_b32_e64 v78, v119, v91, s16
	v_cndmask_b32_e64 v85, v117, v91, s13
	;; [unrolled: 1-line block ×3, first 2 shown]
	v_perm_b32 v80, v94, v90, 0x5040100
	v_cndmask_b32_e64 v90, v98, v103, s18
	v_cndmask_b32_e64 v86, v86, v103, s19
	v_cndmask_b32_e64 v87, v87, v107, s19
	v_cndmask_b32_e64 v78, v78, v107, s18
	v_cndmask_b32_e64 v85, v85, v107, s15
	v_lshrrev_b32_e32 v108, 16, v92
	v_cndmask_b32_e64 v90, v90, v88, s22
	v_cndmask_b32_e64 v86, v86, v88, s23
	;; [unrolled: 1-line block ×11, first 2 shown]
	v_lshrrev_b32_e32 v109, 16, v93
	v_cndmask_b32_e64 v82, v82, v93, s8
	v_cndmask_b32_e64 v88, v88, v89, s27
	;; [unrolled: 1-line block ×12, first 2 shown]
	v_perm_b32 v78, v84, v83, 0x5040100
	v_perm_b32 v85, v87, v86, 0x5040100
	v_perm_b32 v84, v89, v88, 0x5040100
	v_perm_b32 v83, v90, v97, 0x5040100
	v_perm_b32 v82, v82, v96, 0x5040100
	s_mul_i32 s9, s35, 7
	s_mov_b32 s4, exec_lo
	ds_store_b128 v74, v[78:81]
	ds_store_b128 v74, v[82:85] offset:1024
	v_cmpx_gt_u32_e32 7, v0
	s_cbranch_execz .LBB1140_14
; %bb.13:
	s_mul_i32 s5, s9, s34
	s_load_b128 s[16:19], s[0:1], 0x58
	v_add3_u32 v68, s5, s33, v68
	s_delay_alu instid0(VALU_DEP_1) | instskip(NEXT) | instid1(VALU_DEP_1)
	v_mad_u64_u32 v[78:79], null, v68, s36, s[14:15]
	v_ashrrev_i32_e32 v79, 31, v78
	s_delay_alu instid0(VALU_DEP_1) | instskip(SKIP_1) | instid1(VALU_DEP_1)
	v_lshlrev_b64 v[78:79], 2, v[78:79]
	s_waitcnt lgkmcnt(0)
	v_add_co_u32 v80, vcc_lo, s18, v78
	s_delay_alu instid0(VALU_DEP_2)
	v_add_co_ci_u32_e32 v81, vcc_lo, s19, v79, vcc_lo
	v_add_co_u32 v78, vcc_lo, s16, v78
	v_add_co_ci_u32_e32 v79, vcc_lo, s17, v79, vcc_lo
	global_store_b32 v[80:81], v76, off
	global_store_b32 v[78:79], v77, off
.LBB1140_14:
	s_or_b32 exec_lo, exec_lo, s4
	s_waitcnt lgkmcnt(0)
	s_waitcnt_vscnt null, 0x0
	s_barrier
	buffer_gl0_inv
	ds_load_b128 v[84:87], v73
	ds_load_b128 v[88:91], v73 offset:16
	ds_load_b128 v[96:99], v73 offset:2064
	;; [unrolled: 1-line block ×5, first 2 shown]
	v_cmp_eq_u32_e32 vcc_lo, 1, v70
	v_mov_b32_e32 v76, 0
	ds_load_b128 v[112:115], v73 offset:6160
	ds_load_b128 v[108:111], v73 offset:6144
	;; [unrolled: 1-line block ×4, first 2 shown]
	v_cmp_eq_u32_e64 s5, 1, v69
	v_cmp_eq_u32_e64 s4, 1, v72
	;; [unrolled: 1-line block ×3, first 2 shown]
	v_mov_b32_e32 v77, v76
	v_mov_b32_e32 v78, v76
	;; [unrolled: 1-line block ×7, first 2 shown]
	v_cmp_eq_u32_e64 s7, 3, v72
	v_cmp_eq_u32_e64 s8, 7, v72
	s_waitcnt lgkmcnt(8)
	s_delay_alu instid0(VALU_DEP_3)
	v_wmma_f32_16x16x16_f16 v[76:83], v[49:56], v[84:91], v[76:83]
	ds_load_b128 v[53:56], v73 offset:10256
	ds_load_b128 v[49:52], v73 offset:10240
	s_waitcnt lgkmcnt(8)
	v_wmma_f32_16x16x16_f16 v[76:83], v[41:48], v[92:99], v[76:83]
	ds_load_b128 v[45:48], v73 offset:12304
	ds_load_b128 v[41:44], v73 offset:12288
	s_waitcnt lgkmcnt(8)
	;; [unrolled: 4-line block ×3, first 2 shown]
	s_barrier
	buffer_gl0_inv
	v_wmma_f32_16x16x16_f16 v[76:83], v[1:8], v[108:115], v[76:83]
	s_delay_alu instid0(VALU_DEP_1) | instskip(NEXT) | instid1(VALU_DEP_1)
	v_wmma_f32_16x16x16_f16 v[76:83], v[9:16], v[116:123], v[76:83]
	v_wmma_f32_16x16x16_f16 v[76:83], v[17:24], v[49:56], v[76:83]
	s_delay_alu instid0(VALU_DEP_1) | instskip(NEXT) | instid1(VALU_DEP_1)
	v_wmma_f32_16x16x16_f16 v[76:83], v[25:32], v[41:48], v[76:83]
	v_wmma_f32_16x16x16_f16 v[76:83], v[57:64], v[33:40], v[76:83]
	s_delay_alu instid0(VALU_DEP_1) | instskip(NEXT) | instid1(VALU_DEP_2)
	v_cvt_f16_f32_e32 v1, v76
	v_cvt_f16_f32_e32 v2, v77
	s_delay_alu instid0(VALU_DEP_3) | instskip(NEXT) | instid1(VALU_DEP_4)
	v_cvt_f16_f32_e32 v3, v78
	v_cvt_f16_f32_e32 v4, v79
	;; [unrolled: 1-line block ×6, first 2 shown]
	v_pack_b32_f16 v1, v1, v2
	v_pack_b32_f16 v2, v3, v4
	;; [unrolled: 1-line block ×3, first 2 shown]
	s_delay_alu instid0(VALU_DEP_4)
	v_pack_b32_f16 v4, v7, v8
	ds_store_b128 v74, v[1:4]
	s_waitcnt lgkmcnt(0)
	s_barrier
	buffer_gl0_inv
	ds_load_b128 v[1:4], v75
	ds_load_b128 v[5:8], v75 offset:16
	s_waitcnt lgkmcnt(1)
	v_lshrrev_b32_e32 v9, 16, v1
	s_waitcnt lgkmcnt(0)
	v_lshrrev_b32_e32 v13, 16, v5
	v_lshrrev_b32_e32 v10, 16, v2
	v_lshrrev_b32_e32 v14, 16, v6
	v_lshrrev_b32_e32 v11, 16, v3
	v_cndmask_b32_e32 v17, v1, v9, vcc_lo
	v_cndmask_b32_e32 v18, v5, v13, vcc_lo
	v_cndmask_b32_e64 v21, v1, v9, s5
	v_cmp_eq_u32_e32 vcc_lo, 1, v71
	v_cndmask_b32_e64 v22, v5, v13, s5
	v_cmp_eq_u32_e64 s5, 2, v70
	v_cndmask_b32_e64 v19, v1, v9, s4
	v_cndmask_b32_e64 v20, v5, v13, s4
	v_cndmask_b32_e32 v1, v1, v9, vcc_lo
	v_cmp_eq_u32_e64 s4, 2, v71
	v_cndmask_b32_e32 v5, v5, v13, vcc_lo
	v_cndmask_b32_e64 v9, v17, v2, s5
	v_cmp_eq_u32_e32 vcc_lo, 3, v70
	v_cndmask_b32_e64 v13, v18, v6, s5
	v_cmp_eq_u32_e64 s5, 2, v69
	v_cndmask_b32_e64 v17, v19, v2, s6
	v_cndmask_b32_e64 v18, v20, v6, s6
	v_cmp_eq_u32_e64 s6, 3, v69
	v_cndmask_b32_e64 v1, v1, v2, s4
	v_cndmask_b32_e64 v19, v21, v2, s5
	;; [unrolled: 1-line block ×4, first 2 shown]
	v_cndmask_b32_e32 v5, v9, v10, vcc_lo
	v_cndmask_b32_e32 v6, v13, v14, vcc_lo
	v_cmp_eq_u32_e32 vcc_lo, 3, v71
	v_cndmask_b32_e64 v9, v17, v10, s7
	v_cndmask_b32_e64 v13, v18, v14, s7
	;; [unrolled: 1-line block ×3, first 2 shown]
	v_cmp_eq_u32_e64 s5, 4, v70
	v_cndmask_b32_e32 v1, v1, v10, vcc_lo
	v_cndmask_b32_e32 v2, v2, v14, vcc_lo
	v_cmp_eq_u32_e32 vcc_lo, 4, v72
	v_lshrrev_b32_e32 v15, 16, v7
	v_lshrrev_b32_e32 v16, 16, v8
	v_cndmask_b32_e64 v17, v19, v10, s6
	v_cmp_eq_u32_e64 s4, 4, v71
	v_cndmask_b32_e64 v5, v5, v3, s5
	v_cndmask_b32_e64 v6, v6, v7, s5
	v_cndmask_b32_e32 v9, v9, v3, vcc_lo
	v_cmp_eq_u32_e64 s5, 5, v72
	v_cndmask_b32_e32 v10, v13, v7, vcc_lo
	v_cmp_eq_u32_e32 vcc_lo, 4, v69
	v_cmp_eq_u32_e64 s6, 5, v70
	v_cndmask_b32_e64 v2, v2, v7, s4
	v_cndmask_b32_e64 v9, v9, v11, s5
	;; [unrolled: 1-line block ×3, first 2 shown]
	v_cndmask_b32_e32 v13, v17, v3, vcc_lo
	v_cmp_eq_u32_e64 s5, 5, v69
	v_cndmask_b32_e32 v14, v18, v7, vcc_lo
	v_cndmask_b32_e64 v1, v1, v3, s4
	v_cmp_eq_u32_e32 vcc_lo, 5, v71
	v_lshrrev_b32_e32 v12, 16, v4
	v_cndmask_b32_e64 v13, v13, v11, s5
	v_cndmask_b32_e64 v3, v14, v15, s5
	v_cmp_eq_u32_e64 s5, 6, v71
	v_cndmask_b32_e32 v1, v1, v11, vcc_lo
	v_cndmask_b32_e64 v5, v5, v11, s6
	v_cmp_eq_u32_e64 s7, 6, v70
	v_cndmask_b32_e64 v6, v6, v15, s6
	v_cmp_eq_u32_e64 s6, 6, v72
	v_cmp_eq_u32_e64 s4, 6, v69
	v_cndmask_b32_e64 v1, v1, v4, s5
	v_cndmask_b32_e32 v2, v2, v15, vcc_lo
	v_cmp_eq_u32_e32 vcc_lo, 7, v71
	v_cndmask_b32_e64 v5, v5, v4, s7
	v_cndmask_b32_e64 v9, v9, v4, s6
	v_cndmask_b32_e64 v6, v6, v8, s7
	v_cmp_eq_u32_e64 s7, 7, v70
	v_cndmask_b32_e32 v1, v1, v12, vcc_lo
	v_cndmask_b32_e64 v7, v13, v4, s4
	v_cndmask_b32_e64 v3, v3, v8, s4
	;; [unrolled: 1-line block ×3, first 2 shown]
	v_cmp_eq_u32_e64 s4, 7, v69
	v_cndmask_b32_e64 v4, v10, v8, s6
	v_cndmask_b32_e64 v5, v5, v12, s7
	;; [unrolled: 1-line block ×3, first 2 shown]
	v_cndmask_b32_e32 v2, v2, v16, vcc_lo
	v_cndmask_b32_e64 v7, v7, v12, s4
	v_cndmask_b32_e64 v3, v3, v16, s4
	;; [unrolled: 1-line block ×4, first 2 shown]
	v_cmp_gt_u32_e32 vcc_lo, 32, v0
	v_perm_b32 v4, v2, v1, 0x5040100
	v_perm_b32 v3, v3, v7, 0x5040100
	;; [unrolled: 1-line block ×4, first 2 shown]
	s_and_b32 s2, vcc_lo, s2
	ds_store_b128 v74, v[1:4]
	s_waitcnt lgkmcnt(0)
	s_barrier
	buffer_gl0_inv
	s_and_saveexec_b32 s4, s2
	s_cbranch_execz .LBB1140_2
; %bb.15:
	s_load_b64 s[4:5], s[0:1], 0x68
	v_lshlrev_b32_e32 v0, 10, v0
	v_add_nc_u32_e32 v2, s33, v66
	v_lshlrev_b32_e32 v3, 4, v67
	s_lshl_b32 s0, s36, 6
	s_delay_alu instid0(SALU_CYCLE_1) | instskip(NEXT) | instid1(VALU_DEP_2)
	s_mul_i32 s1, s0, s34
	v_mul_lo_u32 v1, v2, s0
	s_delay_alu instid0(VALU_DEP_2)
	v_and_or_b32 v0, 0x3800, v0, v3
	v_add_nc_u32_e32 v3, 2, v2
	s_mul_i32 s6, s1, s9
	v_add_nc_u32_e32 v4, 4, v2
	s_ashr_i32 s7, s6, 31
	v_lshl_or_b32 v11, v66, 6, v0
	s_lshl_b64 s[6:7], s[6:7], 1
	v_mul_lo_u32 v15, v3, s0
	v_mul_lo_u32 v17, v4, s0
	v_ashrrev_i32_e32 v2, 31, v1
	ds_load_b128 v[3:6], v11
	ds_load_b128 v[7:10], v11 offset:128
	ds_load_b128 v[11:14], v11 offset:256
	s_waitcnt lgkmcnt(0)
	s_add_u32 s1, s4, s6
	s_addc_u32 s2, s5, s7
	s_lshl_b32 s4, s14, 6
	v_ashrrev_i32_e32 v16, 31, v15
	s_ashr_i32 s5, s4, 31
	v_lshlrev_b64 v[19:20], 1, v[1:2]
	s_lshl_b64 s[4:5], s[4:5], 1
	v_ashrrev_i32_e32 v18, 31, v17
	s_add_u32 s1, s1, s4
	s_addc_u32 s2, s2, s5
	v_add_co_u32 v1, s1, s1, v65
	s_delay_alu instid0(VALU_DEP_1) | instskip(SKIP_1) | instid1(VALU_DEP_3)
	v_add_co_ci_u32_e64 v2, null, s2, 0, s1
	v_lshlrev_b64 v[15:16], 1, v[15:16]
	v_add_co_u32 v19, vcc_lo, v1, v19
	v_lshlrev_b64 v[17:18], 1, v[17:18]
	s_delay_alu instid0(VALU_DEP_4) | instskip(NEXT) | instid1(VALU_DEP_4)
	v_add_co_ci_u32_e32 v20, vcc_lo, v2, v20, vcc_lo
	v_add_co_u32 v15, vcc_lo, v1, v15
	v_add_co_ci_u32_e32 v16, vcc_lo, v2, v16, vcc_lo
	s_delay_alu instid0(VALU_DEP_4)
	v_add_co_u32 v17, vcc_lo, v1, v17
	v_add_co_ci_u32_e32 v18, vcc_lo, v2, v18, vcc_lo
	s_clause 0x2
	global_store_b128 v[19:20], v[3:6], off
	global_store_b128 v[15:16], v[7:10], off
	global_store_b128 v[17:18], v[11:14], off
	s_and_b32 exec_lo, exec_lo, s3
	s_cbranch_execz .LBB1140_2
; %bb.16:
	ds_load_b128 v[3:6], v0 offset:384
	s_add_i32 s1, s33, 6
	s_delay_alu instid0(SALU_CYCLE_1) | instskip(NEXT) | instid1(SALU_CYCLE_1)
	s_mul_i32 s0, s1, s0
	s_ashr_i32 s1, s0, 31
	s_delay_alu instid0(SALU_CYCLE_1) | instskip(NEXT) | instid1(SALU_CYCLE_1)
	s_lshl_b64 s[0:1], s[0:1], 1
	v_add_co_u32 v0, vcc_lo, v1, s0
	v_add_co_ci_u32_e32 v1, vcc_lo, s1, v2, vcc_lo
	s_waitcnt lgkmcnt(0)
	global_store_b128 v[0:1], v[3:6], off
	s_nop 0
	s_sendmsg sendmsg(MSG_DEALLOC_VGPRS)
	s_endpgm
	.section	.rodata,"a",@progbits
	.p2align	6, 0x0
	.amdhsa_kernel _Z39paged_attention_ll4mi_QKV_mfma16_kernelIDF16_hLN4vllm18Fp8KVCacheDataTypeE1EDF16_Li16ELi64ELi256ELb0ELi7EL8MFMAType0EEvPKT_PKT0_S8_ifPKiSA_SA_iPKfiiiPfSD_PS3_PT2_iSC_SC_
		.amdhsa_group_segment_fixed_size 17472
		.amdhsa_private_segment_fixed_size 0
		.amdhsa_kernarg_size 400
		.amdhsa_user_sgpr_count 13
		.amdhsa_user_sgpr_dispatch_ptr 0
		.amdhsa_user_sgpr_queue_ptr 0
		.amdhsa_user_sgpr_kernarg_segment_ptr 1
		.amdhsa_user_sgpr_dispatch_id 0
		.amdhsa_user_sgpr_private_segment_size 0
		.amdhsa_wavefront_size32 1
		.amdhsa_uses_dynamic_stack 0
		.amdhsa_enable_private_segment 0
		.amdhsa_system_sgpr_workgroup_id_x 1
		.amdhsa_system_sgpr_workgroup_id_y 1
		.amdhsa_system_sgpr_workgroup_id_z 1
		.amdhsa_system_sgpr_workgroup_info 0
		.amdhsa_system_vgpr_workitem_id 0
		.amdhsa_next_free_vgpr 146
		.amdhsa_next_free_sgpr 37
		.amdhsa_reserve_vcc 1
		.amdhsa_float_round_mode_32 0
		.amdhsa_float_round_mode_16_64 0
		.amdhsa_float_denorm_mode_32 3
		.amdhsa_float_denorm_mode_16_64 3
		.amdhsa_dx10_clamp 1
		.amdhsa_ieee_mode 1
		.amdhsa_fp16_overflow 0
		.amdhsa_workgroup_processor_mode 1
		.amdhsa_memory_ordered 1
		.amdhsa_forward_progress 0
		.amdhsa_shared_vgpr_count 0
		.amdhsa_exception_fp_ieee_invalid_op 0
		.amdhsa_exception_fp_denorm_src 0
		.amdhsa_exception_fp_ieee_div_zero 0
		.amdhsa_exception_fp_ieee_overflow 0
		.amdhsa_exception_fp_ieee_underflow 0
		.amdhsa_exception_fp_ieee_inexact 0
		.amdhsa_exception_int_div_zero 0
	.end_amdhsa_kernel
	.section	.text._Z39paged_attention_ll4mi_QKV_mfma16_kernelIDF16_hLN4vllm18Fp8KVCacheDataTypeE1EDF16_Li16ELi64ELi256ELb0ELi7EL8MFMAType0EEvPKT_PKT0_S8_ifPKiSA_SA_iPKfiiiPfSD_PS3_PT2_iSC_SC_,"axG",@progbits,_Z39paged_attention_ll4mi_QKV_mfma16_kernelIDF16_hLN4vllm18Fp8KVCacheDataTypeE1EDF16_Li16ELi64ELi256ELb0ELi7EL8MFMAType0EEvPKT_PKT0_S8_ifPKiSA_SA_iPKfiiiPfSD_PS3_PT2_iSC_SC_,comdat
.Lfunc_end1140:
	.size	_Z39paged_attention_ll4mi_QKV_mfma16_kernelIDF16_hLN4vllm18Fp8KVCacheDataTypeE1EDF16_Li16ELi64ELi256ELb0ELi7EL8MFMAType0EEvPKT_PKT0_S8_ifPKiSA_SA_iPKfiiiPfSD_PS3_PT2_iSC_SC_, .Lfunc_end1140-_Z39paged_attention_ll4mi_QKV_mfma16_kernelIDF16_hLN4vllm18Fp8KVCacheDataTypeE1EDF16_Li16ELi64ELi256ELb0ELi7EL8MFMAType0EEvPKT_PKT0_S8_ifPKiSA_SA_iPKfiiiPfSD_PS3_PT2_iSC_SC_
                                        ; -- End function
	.section	.AMDGPU.csdata,"",@progbits
; Kernel info:
; codeLenInByte = 6532
; NumSgprs: 39
; NumVgprs: 146
; ScratchSize: 0
; MemoryBound: 0
; FloatMode: 240
; IeeeMode: 1
; LDSByteSize: 17472 bytes/workgroup (compile time only)
; SGPRBlocks: 4
; VGPRBlocks: 18
; NumSGPRsForWavesPerEU: 39
; NumVGPRsForWavesPerEU: 146
; Occupancy: 9
; WaveLimiterHint : 1
; COMPUTE_PGM_RSRC2:SCRATCH_EN: 0
; COMPUTE_PGM_RSRC2:USER_SGPR: 13
; COMPUTE_PGM_RSRC2:TRAP_HANDLER: 0
; COMPUTE_PGM_RSRC2:TGID_X_EN: 1
; COMPUTE_PGM_RSRC2:TGID_Y_EN: 1
; COMPUTE_PGM_RSRC2:TGID_Z_EN: 1
; COMPUTE_PGM_RSRC2:TIDIG_COMP_CNT: 0
	.section	.text._Z39paged_attention_ll4mi_QKV_mfma16_kernelIDF16_hLN4vllm18Fp8KVCacheDataTypeE1EDF16_Li16ELi64ELi256ELb0ELi8EL8MFMAType0EEvPKT_PKT0_S8_ifPKiSA_SA_iPKfiiiPfSD_PS3_PT2_iSC_SC_,"axG",@progbits,_Z39paged_attention_ll4mi_QKV_mfma16_kernelIDF16_hLN4vllm18Fp8KVCacheDataTypeE1EDF16_Li16ELi64ELi256ELb0ELi8EL8MFMAType0EEvPKT_PKT0_S8_ifPKiSA_SA_iPKfiiiPfSD_PS3_PT2_iSC_SC_,comdat
	.protected	_Z39paged_attention_ll4mi_QKV_mfma16_kernelIDF16_hLN4vllm18Fp8KVCacheDataTypeE1EDF16_Li16ELi64ELi256ELb0ELi8EL8MFMAType0EEvPKT_PKT0_S8_ifPKiSA_SA_iPKfiiiPfSD_PS3_PT2_iSC_SC_ ; -- Begin function _Z39paged_attention_ll4mi_QKV_mfma16_kernelIDF16_hLN4vllm18Fp8KVCacheDataTypeE1EDF16_Li16ELi64ELi256ELb0ELi8EL8MFMAType0EEvPKT_PKT0_S8_ifPKiSA_SA_iPKfiiiPfSD_PS3_PT2_iSC_SC_
	.globl	_Z39paged_attention_ll4mi_QKV_mfma16_kernelIDF16_hLN4vllm18Fp8KVCacheDataTypeE1EDF16_Li16ELi64ELi256ELb0ELi8EL8MFMAType0EEvPKT_PKT0_S8_ifPKiSA_SA_iPKfiiiPfSD_PS3_PT2_iSC_SC_
	.p2align	8
	.type	_Z39paged_attention_ll4mi_QKV_mfma16_kernelIDF16_hLN4vllm18Fp8KVCacheDataTypeE1EDF16_Li16ELi64ELi256ELb0ELi8EL8MFMAType0EEvPKT_PKT0_S8_ifPKiSA_SA_iPKfiiiPfSD_PS3_PT2_iSC_SC_,@function
_Z39paged_attention_ll4mi_QKV_mfma16_kernelIDF16_hLN4vllm18Fp8KVCacheDataTypeE1EDF16_Li16ELi64ELi256ELb0ELi8EL8MFMAType0EEvPKT_PKT0_S8_ifPKiSA_SA_iPKfiiiPfSD_PS3_PT2_iSC_SC_: ; @_Z39paged_attention_ll4mi_QKV_mfma16_kernelIDF16_hLN4vllm18Fp8KVCacheDataTypeE1EDF16_Li16ELi64ELi256ELb0ELi8EL8MFMAType0EEvPKT_PKT0_S8_ifPKiSA_SA_iPKfiiiPfSD_PS3_PT2_iSC_SC_
; %bb.0:
	s_load_b64 s[2:3], s[0:1], 0x30
	s_mov_b32 s34, s13
	s_waitcnt lgkmcnt(0)
	s_cmp_lg_u64 s[2:3], 0
	s_cselect_b32 s8, -1, 0
	s_ashr_i32 s35, s13, 31
	s_cmp_eq_u64 s[2:3], 0
	s_cbranch_scc1 .LBB1141_3
; %bb.1:
	s_lshl_b64 s[4:5], s[34:35], 2
	s_delay_alu instid0(SALU_CYCLE_1) | instskip(SKIP_4) | instid1(SALU_CYCLE_1)
	s_add_u32 s4, s2, s4
	s_addc_u32 s5, s3, s5
	s_load_b64 s[4:5], s[4:5], 0x0
	s_waitcnt lgkmcnt(0)
	s_sub_i32 s4, s5, s4
	s_cmp_eq_u32 s4, 1
	s_cselect_b32 s4, -1, 0
	s_delay_alu instid0(SALU_CYCLE_1)
	s_and_not1_b32 vcc_lo, exec_lo, s4
	s_cbranch_vccz .LBB1141_4
.LBB1141_2:
	s_endpgm
.LBB1141_3:
.LBB1141_4:
	s_load_b64 s[4:5], s[0:1], 0x28
	s_lshl_b64 s[6:7], s[34:35], 2
	s_waitcnt lgkmcnt(0)
	s_add_u32 s4, s4, s6
	s_addc_u32 s5, s5, s7
	s_lshl_b32 s12, s14, 8
	s_load_b32 s24, s[4:5], 0x0
	s_waitcnt lgkmcnt(0)
	s_cmp_ge_i32 s12, s24
	s_cbranch_scc1 .LBB1141_2
; %bb.5:
	s_clause 0x1
	s_load_b128 s[20:23], s[0:1], 0x8
	s_load_b64 s[4:5], s[0:1], 0x20
	s_and_not1_b32 vcc_lo, exec_lo, s8
	s_cbranch_vccnz .LBB1141_7
; %bb.6:
	s_add_u32 s2, s2, s6
	s_addc_u32 s3, s3, s7
	s_load_b32 s3, s[2:3], 0x0
	s_branch .LBB1141_8
.LBB1141_7:
	s_mov_b32 s3, s34
.LBB1141_8:
	s_load_b128 s[16:19], s[0:1], 0x48
	v_and_b32_e32 v69, 15, v0
	v_cmp_gt_u32_e32 vcc_lo, 0x80, v0
	v_lshrrev_b32_e32 v68, 5, v0
	v_and_b32_e32 v70, 31, v0
	v_and_b32_e32 v66, 1, v0
	v_lshlrev_b32_e32 v1, 3, v69
	v_cmp_gt_u32_e64 s2, 8, v69
	v_bfe_u32 v67, v0, 4, 1
	s_lshl_b32 s31, s15, 3
	s_delay_alu instid0(VALU_DEP_3) | instskip(NEXT) | instid1(VALU_DEP_3)
	v_lshlrev_b32_e32 v65, 1, v1
	s_and_b32 s7, vcc_lo, s2
	s_delay_alu instid0(SALU_CYCLE_1)
	s_and_saveexec_b32 s6, s7
	s_cbranch_execz .LBB1141_10
; %bb.9:
	v_lshl_or_b32 v5, v68, 1, v67
	s_load_b64 s[8:9], s[0:1], 0x0
	s_waitcnt lgkmcnt(0)
	s_mul_hi_i32 s11, s3, s16
	s_mul_i32 s10, s3, s16
	v_lshlrev_b32_e32 v6, 10, v69
	v_or_b32_e32 v1, s31, v5
	s_lshl_b64 s[10:11], s[10:11], 1
	v_lshlrev_b32_e32 v5, 6, v5
	v_lshlrev_b32_e32 v7, 10, v66
	v_and_b32_e32 v6, 0x3800, v6
	v_lshlrev_b32_e32 v1, 6, v1
	s_delay_alu instid0(VALU_DEP_2) | instskip(NEXT) | instid1(VALU_DEP_2)
	v_or3_b32 v5, v6, v7, v5
	v_ashrrev_i32_e32 v2, 31, v1
	s_delay_alu instid0(VALU_DEP_1) | instskip(SKIP_2) | instid1(VALU_DEP_1)
	v_lshlrev_b64 v[1:2], 1, v[1:2]
	s_add_u32 s3, s8, s10
	s_addc_u32 s7, s9, s11
	v_add_co_u32 v1, vcc_lo, s3, v1
	s_delay_alu instid0(VALU_DEP_2) | instskip(NEXT) | instid1(VALU_DEP_2)
	v_add_co_ci_u32_e32 v2, vcc_lo, s7, v2, vcc_lo
	v_add_co_u32 v1, vcc_lo, v1, v65
	s_delay_alu instid0(VALU_DEP_2)
	v_add_co_ci_u32_e32 v2, vcc_lo, 0, v2, vcc_lo
	global_load_b128 v[1:4], v[1:2], off
	s_waitcnt vmcnt(0)
	ds_store_b128 v5, v[1:4]
.LBB1141_10:
	s_or_b32 exec_lo, exec_lo, s6
	v_and_b32_e32 v1, 0xef, v0
	s_waitcnt lgkmcnt(0)
	s_add_i32 s3, s24, 15
	s_clause 0x1
	s_load_b32 s6, s[0:1], 0x38
	s_load_b32 s33, s[0:1], 0x98
	s_ashr_i32 s7, s3, 31
	v_add_nc_u32_e32 v1, s12, v1
	s_lshr_b32 s7, s7, 28
	s_load_b32 s19, s[0:1], 0x1c
	s_add_i32 s3, s3, s7
	s_waitcnt lgkmcnt(0)
	v_ashrrev_i32_e32 v2, 31, v1
	v_or_b32_e32 v3, 16, v1
	s_ashr_i32 s3, s3, 4
	v_cmp_gt_i32_e32 vcc_lo, s24, v1
	s_add_i32 s3, s3, -1
	v_lshrrev_b32_e32 v2, 28, v2
	s_barrier
	buffer_gl0_inv
	s_mul_i32 s27, s15, s18
	v_add_nc_u32_e32 v4, v1, v2
	s_mul_i32 s6, s34, s6
	s_delay_alu instid0(SALU_CYCLE_1) | instskip(NEXT) | instid1(VALU_DEP_1)
	s_ashr_i32 s7, s6, 31
	v_ashrrev_i32_e32 v4, 4, v4
	v_add_nc_u32_e32 v2, v3, v2
	s_lshl_b64 s[6:7], s[6:7], 2
	s_delay_alu instid0(SALU_CYCLE_1) | instskip(NEXT) | instid1(VALU_DEP_2)
	s_add_u32 s26, s4, s6
	v_cndmask_b32_e32 v1, s3, v4, vcc_lo
	s_delay_alu instid0(VALU_DEP_2)
	v_ashrrev_i32_e32 v2, 4, v2
	v_cmp_gt_i32_e32 vcc_lo, s24, v3
	s_addc_u32 s25, s5, s7
	s_ashr_i32 s28, s27, 31
	s_add_u32 s13, s20, s27
	s_addc_u32 s15, s21, s28
	v_cndmask_b32_e32 v3, s3, v2, vcc_lo
	v_ashrrev_i32_e32 v2, 31, v1
	s_lshl_b32 s4, s14, 4
	s_delay_alu instid0(SALU_CYCLE_1) | instskip(NEXT) | instid1(VALU_DEP_2)
	s_ashr_i32 s5, s4, 31
	v_ashrrev_i32_e32 v4, 31, v3
	s_delay_alu instid0(VALU_DEP_2) | instskip(SKIP_1) | instid1(SALU_CYCLE_1)
	v_lshlrev_b64 v[1:2], 2, v[1:2]
	s_lshl_b64 s[4:5], s[4:5], 2
	s_add_u32 s4, s26, s4
	s_delay_alu instid0(VALU_DEP_2) | instskip(SKIP_1) | instid1(VALU_DEP_2)
	v_lshlrev_b64 v[3:4], 2, v[3:4]
	s_addc_u32 s5, s25, s5
	v_add_co_u32 v1, vcc_lo, s26, v1
	v_add_co_ci_u32_e32 v2, vcc_lo, s25, v2, vcc_lo
	s_delay_alu instid0(VALU_DEP_3) | instskip(NEXT) | instid1(VALU_DEP_4)
	v_add_co_u32 v3, vcc_lo, s26, v3
	v_add_co_ci_u32_e32 v4, vcc_lo, s25, v4, vcc_lo
	s_clause 0x1
	global_load_b32 v5, v[1:2], off
	global_load_b32 v7, v[3:4], off
	s_or_b32 s6, s12, 32
	v_lshlrev_b32_e32 v1, 4, v0
	s_ashr_i32 s7, s6, 4
	s_cmp_lt_i32 s6, s24
	s_cselect_b32 s6, s7, s3
	s_delay_alu instid0(VALU_DEP_1) | instskip(SKIP_1) | instid1(SALU_CYCLE_1)
	v_and_b32_e32 v1, 0xf0, v1
	s_ashr_i32 s7, s6, 31
	s_lshl_b64 s[6:7], s[6:7], 2
	s_delay_alu instid0(SALU_CYCLE_1)
	s_add_u32 s6, s26, s6
	s_addc_u32 s7, s25, s7
	s_or_b32 s8, s12, 64
	v_add_co_u32 v1, s13, s13, v1
	s_ashr_i32 s9, s8, 4
	s_cmp_lt_i32 s8, s24
	v_add_co_ci_u32_e64 v2, null, s15, 0, s13
	s_cselect_b32 s8, s9, s3
	s_delay_alu instid0(SALU_CYCLE_1) | instskip(NEXT) | instid1(SALU_CYCLE_1)
	s_ashr_i32 s9, s8, 31
	s_lshl_b64 s[8:9], s[8:9], 2
	s_delay_alu instid0(SALU_CYCLE_1) | instskip(SKIP_2) | instid1(SALU_CYCLE_1)
	s_add_u32 s8, s26, s8
	s_addc_u32 s9, s25, s9
	s_or_b32 s10, s12, 0x60
	s_ashr_i32 s11, s10, 4
	s_cmp_lt_i32 s10, s24
	s_cselect_b32 s10, s11, s3
	s_delay_alu instid0(SALU_CYCLE_1) | instskip(NEXT) | instid1(SALU_CYCLE_1)
	s_ashr_i32 s11, s10, 31
	s_lshl_b64 s[10:11], s[10:11], 2
	s_delay_alu instid0(SALU_CYCLE_1) | instskip(SKIP_2) | instid1(SALU_CYCLE_1)
	s_add_u32 s10, s26, s10
	s_addc_u32 s11, s25, s11
	s_or_b32 s16, s12, 0x80
	s_ashr_i32 s18, s16, 4
	s_cmp_lt_i32 s16, s24
	;; [unrolled: 10-line block ×3, first 2 shown]
	s_cselect_b32 s20, s18, s3
	s_delay_alu instid0(SALU_CYCLE_1) | instskip(NEXT) | instid1(SALU_CYCLE_1)
	s_ashr_i32 s21, s20, 31
	s_lshl_b64 s[20:21], s[20:21], 2
	s_delay_alu instid0(SALU_CYCLE_1)
	s_add_u32 s38, s26, s20
	s_addc_u32 s39, s25, s21
	s_clause 0x5
	s_load_b32 s21, s[4:5], 0x0
	s_load_b32 s13, s[6:7], 0x0
	s_load_b32 s15, s[8:9], 0x0
	s_load_b32 s16, s[10:11], 0x0
	s_load_b32 s18, s[36:37], 0x0
	s_load_b32 s20, s[38:39], 0x0
	s_or_b32 s7, s12, 0xc0
	s_mov_b32 s4, 0
	s_ashr_i32 s8, s7, 4
	s_cmp_lt_i32 s7, s24
	s_mov_b32 s5, s4
	s_cselect_b32 s10, s8, s3
	s_mov_b32 s6, s4
	s_ashr_i32 s11, s10, 31
	s_mov_b32 s7, s4
	s_lshl_b64 s[36:37], s[10:11], 2
	s_mov_b32 s11, s4
	s_add_u32 s36, s26, s36
	s_addc_u32 s37, s25, s37
	s_or_b32 s29, s12, 0xe0
	s_mov_b32 s8, s4
	s_ashr_i32 s30, s29, 4
	s_mov_b32 s9, s4
	s_mov_b32 s10, s4
	s_cmp_lt_i32 s29, s24
	v_mov_b32_e32 v102, s11
	v_dual_mov_b32 v96, s5 :: v_dual_mov_b32 v101, s10
	v_dual_mov_b32 v100, s9 :: v_dual_mov_b32 v99, s8
	;; [unrolled: 1-line block ×3, first 2 shown]
	v_mov_b32_e32 v95, s4
	s_cselect_b32 s4, s30, s3
	s_delay_alu instid0(SALU_CYCLE_1) | instskip(NEXT) | instid1(SALU_CYCLE_1)
	s_ashr_i32 s5, s4, 31
	s_lshl_b64 s[4:5], s[4:5], 2
	s_delay_alu instid0(SALU_CYCLE_1)
	s_add_u32 s4, s26, s4
	s_addc_u32 s5, s25, s5
	s_add_u32 s6, s22, s27
	s_addc_u32 s7, s23, s28
	s_waitcnt vmcnt(1)
	v_mad_i64_i32 v[3:4], null, v5, s17, v[1:2]
	s_waitcnt vmcnt(0)
	v_mad_i64_i32 v[5:6], null, v7, s17, v[1:2]
	v_and_b32_e32 v1, 7, v0
	v_lshlrev_b32_e32 v2, 4, v69
	s_clause 0x7
	global_load_b128 v[57:60], v[3:4], off
	global_load_b128 v[61:64], v[3:4], off offset:256
	global_load_b128 v[71:74], v[5:6], off
	global_load_b128 v[75:78], v[5:6], off offset:256
	global_load_b128 v[79:82], v[3:4], off offset:512
	;; [unrolled: 1-line block ×5, first 2 shown]
	v_lshlrev_b32_e32 v121, 6, v1
	v_lshl_or_b32 v1, v68, 8, v2
	s_load_b32 s3, s[36:37], 0x0
	ds_load_b128 v[103:106], v121
	ds_load_b128 v[107:110], v121 offset:1024
	s_load_b32 s4, s[4:5], 0x0
	v_add_co_u32 v17, s6, s6, v1
	s_delay_alu instid0(VALU_DEP_1) | instskip(SKIP_1) | instid1(VALU_DEP_1)
	v_add_co_ci_u32_e64 v18, null, s7, 0, s6
	s_waitcnt lgkmcnt(0)
	v_mad_i64_i32 v[1:2], null, s21, s17, v[17:18]
	v_mad_i64_i32 v[3:4], null, s13, s17, v[17:18]
	;; [unrolled: 1-line block ×7, first 2 shown]
	s_clause 0x9
	global_load_b128 v[49:52], v[1:2], off
	global_load_b128 v[53:56], v[1:2], off offset:16
	global_load_b128 v[41:44], v[3:4], off
	global_load_b128 v[45:48], v[3:4], off offset:16
	;; [unrolled: 2-line block ×5, first 2 shown]
	v_mad_i64_i32 v[119:120], null, s4, s17, v[17:18]
	s_clause 0x3
	global_load_b128 v[17:20], v[21:22], off
	global_load_b128 v[21:24], v[21:22], off offset:16
	global_load_b128 v[25:28], v[29:30], off
	global_load_b128 v[29:32], v[29:30], off offset:16
	s_waitcnt vmcnt(20)
	v_wmma_f32_16x16x16_f16 v[111:118], v[57:64], v[103:110], v[95:102]
	s_clause 0x1
	global_load_b128 v[57:60], v[119:120], off
	global_load_b128 v[61:64], v[119:120], off offset:16
	s_waitcnt vmcnt(20)
	v_wmma_f32_16x16x16_f16 v[95:102], v[71:78], v[103:110], v[95:102]
	ds_load_b128 v[71:74], v121 offset:2048
	ds_load_b128 v[75:78], v121 offset:3072
	v_mbcnt_lo_u32_b32 v104, -1, 0
	s_waitcnt vmcnt(0) lgkmcnt(0)
	s_barrier
	buffer_gl0_inv
	v_xor_b32_e32 v105, 16, v104
	s_delay_alu instid0(VALU_DEP_1) | instskip(SKIP_4) | instid1(VALU_DEP_2)
	v_cmp_gt_i32_e32 vcc_lo, 32, v105
	v_cndmask_b32_e32 v104, v104, v105, vcc_lo
	v_wmma_f32_16x16x16_f16 v[95:102], v[87:94], v[71:78], v[95:102]
	v_and_b32_e32 v103, 0xe0, v0
	v_wmma_f32_16x16x16_f16 v[111:118], v[79:86], v[71:78], v[111:118]
	v_dual_mul_f32 v90, s19, v101 :: v_dual_add_nc_u32 v103, s12, v103
	s_delay_alu instid0(VALU_DEP_2) | instskip(NEXT) | instid1(VALU_DEP_3)
	v_dual_mul_f32 v94, s19, v97 :: v_dual_mul_f32 v87, s19, v112
	v_dual_mul_f32 v88, s19, v111 :: v_dual_mul_f32 v77, s19, v114
	s_delay_alu instid0(VALU_DEP_3) | instskip(SKIP_3) | instid1(VALU_DEP_4)
	v_or_b32_e32 v103, v103, v67
	v_dual_mul_f32 v78, s19, v113 :: v_dual_mul_f32 v75, s19, v116
	v_dual_mul_f32 v76, s19, v115 :: v_dual_mul_f32 v73, s19, v118
	v_mul_f32_e32 v92, s19, v99
	v_or_b32_e32 v105, 2, v103
	v_or_b32_e32 v106, 4, v103
	;; [unrolled: 1-line block ×3, first 2 shown]
	v_cmp_gt_i32_e64 s3, s24, v103
	v_or_b32_e32 v108, 8, v103
	v_cmp_gt_i32_e32 vcc_lo, s24, v105
	v_or_b32_e32 v109, 10, v103
	v_cmp_gt_i32_e64 s4, s24, v106
	v_cndmask_b32_e64 v88, 0xff7fffff, v88, s3
	v_cmp_gt_i32_e64 s5, s24, v107
	v_cndmask_b32_e32 v87, 0xff7fffff, v87, vcc_lo
	v_or_b32_e32 v79, 12, v103
	v_or_b32_e32 v80, 14, v103
	v_cndmask_b32_e64 v78, 0xff7fffff, v78, s4
	v_cndmask_b32_e64 v77, 0xff7fffff, v77, s5
	v_max3_f32 v87, v88, 0xff7fffff, v87
	v_cmp_gt_i32_e64 s6, s24, v108
	v_cmp_gt_i32_e64 s7, s24, v109
	v_or_b32_e32 v81, 16, v103
	v_or_b32_e32 v82, 18, v103
	v_mul_f32_e32 v74, s19, v117
	v_cndmask_b32_e64 v76, 0xff7fffff, v76, s6
	v_cndmask_b32_e64 v75, 0xff7fffff, v75, s7
	v_max3_f32 v77, v87, v78, v77
	v_cmp_gt_i32_e64 s8, s24, v79
	v_cmp_gt_i32_e64 s9, s24, v80
	v_or_b32_e32 v83, 20, v103
	v_or_b32_e32 v84, 22, v103
	;; [unrolled: 1-line block ×6, first 2 shown]
	v_mul_f32_e32 v105, s19, v96
	v_mul_f32_e32 v103, s19, v95
	v_cndmask_b32_e64 v74, 0xff7fffff, v74, s8
	v_cndmask_b32_e64 v73, 0xff7fffff, v73, s9
	v_max3_f32 v75, v77, v76, v75
	v_cmp_gt_i32_e64 s10, s24, v81
	v_cmp_gt_i32_e64 s11, s24, v82
	v_mul_f32_e32 v93, s19, v98
	v_cmp_gt_i32_e64 s12, s24, v83
	v_max3_f32 v73, v75, v74, v73
	v_cndmask_b32_e64 v76, 0xff7fffff, v103, s10
	v_cndmask_b32_e64 v77, 0xff7fffff, v105, s11
	v_cmp_gt_i32_e64 s13, s24, v84
	v_mul_f32_e32 v91, s19, v100
	v_cndmask_b32_e64 v74, 0xff7fffff, v94, s12
	v_cmp_gt_i32_e64 s15, s24, v85
	v_max3_f32 v73, v73, v76, v77
	v_cndmask_b32_e64 v75, 0xff7fffff, v93, s13
	v_cmp_gt_i32_e64 s16, s24, v86
	v_mul_f32_e32 v89, s19, v102
	v_cndmask_b32_e64 v76, 0xff7fffff, v92, s15
	v_cmp_gt_i32_e64 s17, s24, v71
	v_max3_f32 v73, v73, v74, v75
	v_cndmask_b32_e64 v77, 0xff7fffff, v91, s16
	v_cmp_gt_i32_e64 s18, s24, v72
	v_lshlrev_b32_e32 v74, 2, v104
	v_cndmask_b32_e64 v71, 0xff7fffff, v90, s17
	s_delay_alu instid0(VALU_DEP_4) | instskip(NEXT) | instid1(VALU_DEP_4)
	v_max3_f32 v73, v73, v76, v77
	v_cndmask_b32_e64 v72, 0xff7fffff, v89, s18
	s_delay_alu instid0(VALU_DEP_1) | instskip(SKIP_3) | instid1(VALU_DEP_1)
	v_max3_f32 v71, v73, v71, v72
	ds_bpermute_b32 v72, v74, v71
	s_waitcnt lgkmcnt(0)
	v_max_f32_e32 v72, v72, v72
	v_max_f32_e32 v71, v71, v72
	s_delay_alu instid0(VALU_DEP_1)
	v_fma_f32 v72, s19, v111, -v71
	v_fma_f32 v76, s19, v114, -v71
	;; [unrolled: 1-line block ×5, first 2 shown]
	v_mul_f32_e32 v72, 0x3fb8aa3b, v72
	v_mul_f32_e32 v76, 0x3fb8aa3b, v76
	v_fma_f32 v75, s19, v113, -v71
	v_mul_f32_e32 v79, 0x3fb8aa3b, v77
	v_mul_f32_e32 v87, 0x3fb8aa3b, v86
	v_exp_f32_e32 v72, v72
	v_exp_f32_e32 v76, v76
	v_fma_f32 v81, s19, v117, -v71
	v_exp_f32_e32 v82, v79
	v_exp_f32_e32 v87, v87
	v_fma_f32 v84, s19, v96, -v71
	s_delay_alu instid0(VALU_DEP_2) | instskip(SKIP_3) | instid1(TRANS32_DEP_3)
	v_mul_f32_e32 v81, 0x3fb8aa3b, v81
	v_cndmask_b32_e64 v78, 0, v72, s3
	v_fma_f32 v72, s19, v116, -v71
	v_mul_f32_e32 v73, 0x3fb8aa3b, v73
	v_cndmask_b32_e64 v79, 0, v76, s5
	v_fma_f32 v76, s19, v95, -v71
	s_delay_alu instid0(VALU_DEP_4) | instskip(NEXT) | instid1(VALU_DEP_4)
	v_dual_mul_f32 v75, 0x3fb8aa3b, v75 :: v_dual_mul_f32 v72, 0x3fb8aa3b, v72
	v_exp_f32_e32 v73, v73
	v_cndmask_b32_e64 v87, 0, v87, s13
	s_delay_alu instid0(VALU_DEP_3) | instskip(NEXT) | instid1(VALU_DEP_3)
	v_mul_f32_e32 v76, 0x3fb8aa3b, v76
	v_exp_f32_e32 v75, v75
	v_exp_f32_e32 v72, v72
	;; [unrolled: 1-line block ×3, first 2 shown]
	v_cndmask_b32_e64 v82, 0, v82, s6
	v_mul_f32_e32 v85, 0x3fb8aa3b, v84
	v_exp_f32_e32 v76, v76
	s_mov_b32 s3, exec_lo
	v_cndmask_b32_e32 v77, 0, v73, vcc_lo
	v_add_f32_e32 v73, 0, v78
	v_exp_f32_e32 v85, v85
	v_cndmask_b32_e64 v80, 0, v75, s4
	v_fma_f32 v75, s19, v118, -v71
	v_cndmask_b32_e64 v81, 0, v72, s7
	v_add_f32_e32 v73, v73, v77
	v_cndmask_b32_e64 v84, 0, v83, s8
	v_cndmask_b32_e64 v86, 0, v76, s10
	v_mul_f32_e32 v75, 0x3fb8aa3b, v75
	s_delay_alu instid0(VALU_DEP_4) | instskip(NEXT) | instid1(TRANS32_DEP_1)
	v_add_f32_e32 v73, v73, v80
	v_cndmask_b32_e64 v85, 0, v85, s11
	s_delay_alu instid0(VALU_DEP_3) | instskip(NEXT) | instid1(VALU_DEP_2)
	v_exp_f32_e32 v75, v75
	v_add_f32_e32 v73, v73, v79
	s_delay_alu instid0(VALU_DEP_1) | instskip(SKIP_3) | instid1(VALU_DEP_1)
	v_add_f32_e32 v72, v73, v82
	s_waitcnt_depctr 0xfff
	v_cndmask_b32_e64 v83, 0, v75, s9
	v_add_f32_e32 v72, v72, v81
	v_add_f32_e32 v72, v72, v84
	s_delay_alu instid0(VALU_DEP_1) | instskip(NEXT) | instid1(VALU_DEP_1)
	v_add_f32_e32 v72, v72, v83
	v_add_f32_e32 v72, v72, v86
	s_delay_alu instid0(VALU_DEP_1) | instskip(SKIP_4) | instid1(VALU_DEP_4)
	v_add_f32_e32 v72, v72, v85
	v_fma_f32 v73, s19, v97, -v71
	v_fma_f32 v75, s19, v99, -v71
	;; [unrolled: 1-line block ×4, first 2 shown]
	v_mul_f32_e32 v73, 0x3fb8aa3b, v73
	s_delay_alu instid0(VALU_DEP_3) | instskip(NEXT) | instid1(VALU_DEP_2)
	v_dual_mul_f32 v75, 0x3fb8aa3b, v75 :: v_dual_mul_f32 v76, 0x3fb8aa3b, v76
	v_exp_f32_e32 v73, v73
	s_delay_alu instid0(VALU_DEP_1) | instskip(NEXT) | instid1(VALU_DEP_1)
	v_exp_f32_e32 v75, v75
	v_exp_f32_e32 v76, v76
	s_delay_alu instid0(TRANS32_DEP_3)
	v_cndmask_b32_e64 v88, 0, v73, s12
	v_mul_f32_e32 v73, 0x3fb8aa3b, v89
	v_fma_f32 v89, s19, v102, -v71
	s_waitcnt_depctr 0xfff
	v_cndmask_b32_e64 v90, 0, v75, s15
	v_add_f32_e32 v72, v72, v88
	v_exp_f32_e32 v73, v73
	v_mul_f32_e32 v75, 0x3fb8aa3b, v89
	v_cndmask_b32_e64 v89, 0, v76, s16
	s_delay_alu instid0(VALU_DEP_3) | instskip(NEXT) | instid1(VALU_DEP_3)
	v_add_f32_e32 v72, v72, v87
	v_exp_f32_e32 v75, v75
	s_delay_alu instid0(VALU_DEP_1) | instskip(SKIP_4) | instid1(VALU_DEP_2)
	v_add_f32_e32 v72, v72, v90
	s_waitcnt_depctr 0xfff
	v_cndmask_b32_e64 v92, 0, v73, s17
	v_add_f32_e32 v72, v72, v89
	v_cndmask_b32_e64 v91, 0, v75, s18
	v_add_f32_e32 v72, v72, v92
	s_delay_alu instid0(VALU_DEP_1)
	v_add_f32_e32 v72, v72, v91
	ds_bpermute_b32 v73, v74, v72
	v_cmpx_gt_u32_e32 16, v70
	s_cbranch_execz .LBB1141_12
; %bb.11:
	v_mul_u32_u24_e32 v70, 0x44, v68
	s_waitcnt lgkmcnt(0)
	v_add_f32_e32 v72, v72, v73
	s_delay_alu instid0(VALU_DEP_2) | instskip(NEXT) | instid1(VALU_DEP_1)
	v_lshl_add_u32 v70, v69, 2, v70
	v_add_nc_u32_e32 v70, 0x4000, v70
	ds_store_2addr_b32 v70, v71, v72 offset1:136
.LBB1141_12:
	s_or_b32 exec_lo, exec_lo, s3
	v_lshlrev_b32_e32 v70, 2, v69
	s_load_b32 s35, s[0:1], 0x94
	s_waitcnt lgkmcnt(0)
	s_barrier
	buffer_gl0_inv
	v_add_nc_u32_e32 v74, 0x4000, v70
	v_cmp_eq_u32_e32 vcc_lo, 1, v68
	v_cmp_eq_u32_e64 s3, 2, v68
	v_cmp_eq_u32_e64 s4, 3, v68
	;; [unrolled: 1-line block ×3, first 2 shown]
	ds_load_2addr_b32 v[70:71], v74 offset1:17
	ds_load_2addr_b32 v[72:73], v74 offset0:34 offset1:51
	ds_load_2addr_b32 v[93:94], v74 offset0:68 offset1:85
	;; [unrolled: 1-line block ×3, first 2 shown]
	v_cmp_eq_u32_e64 s6, 5, v68
	v_cmp_eq_u32_e64 s7, 7, v68
	s_waitcnt lgkmcnt(3)
	v_max3_f32 v75, v70, 0xff7fffff, v71
	s_waitcnt lgkmcnt(2)
	s_delay_alu instid0(VALU_DEP_1) | instskip(SKIP_1) | instid1(VALU_DEP_1)
	v_max3_f32 v75, v75, v72, v73
	s_waitcnt lgkmcnt(1)
	v_max3_f32 v75, v75, v93, v94
	s_waitcnt lgkmcnt(0)
	s_delay_alu instid0(VALU_DEP_1) | instskip(NEXT) | instid1(VALU_DEP_1)
	v_max3_f32 v75, v75, v95, v96
	v_sub_f32_e32 v93, v93, v75
	ds_load_2addr_b32 v[97:98], v74 offset0:136 offset1:153
	v_sub_f32_e32 v70, v70, v75
	v_dual_sub_f32 v100, v73, v75 :: v_dual_mul_f32 v103, 0x3fb8aa3b, v93
	s_delay_alu instid0(VALU_DEP_2) | instskip(SKIP_3) | instid1(VALU_DEP_1)
	v_dual_sub_f32 v76, v71, v75 :: v_dual_mul_f32 v99, 0x3fb8aa3b, v70
	ds_load_2addr_b32 v[70:71], v74 offset0:170 offset1:187
	v_mul_f32_e32 v76, 0x3fb8aa3b, v76
	v_exp_f32_e32 v99, v99
	v_exp_f32_e32 v102, v76
	v_mul_f32_e32 v100, 0x3fb8aa3b, v100
	s_waitcnt lgkmcnt(1)
	s_waitcnt_depctr 0xfff
	v_fma_f32 v76, v99, v97, 0
	v_sub_f32_e32 v97, v94, v75
	v_sub_f32_e32 v72, v72, v75
	v_exp_f32_e32 v100, v100
	ds_load_2addr_b32 v[93:94], v74 offset0:238 offset1:255
	v_dual_fmac_f32 v76, v102, v98 :: v_dual_mul_f32 v101, 0x3fb8aa3b, v72
	ds_load_2addr_b32 v[72:73], v74 offset0:204 offset1:221
	v_dual_sub_f32 v74, v95, v75 :: v_dual_mul_f32 v95, 0x3fb8aa3b, v97
	v_exp_f32_e32 v97, v103
	v_exp_f32_e32 v101, v101
	s_waitcnt lgkmcnt(0)
	s_delay_alu instid0(VALU_DEP_1)
	v_mul_f32_e32 v74, 0x3fb8aa3b, v74
	v_exp_f32_e32 v95, v95
	s_barrier
	buffer_gl0_inv
	v_fmac_f32_e32 v76, v101, v70
	v_sub_f32_e32 v70, v96, v75
	v_exp_f32_e32 v96, v74
	s_delay_alu instid0(VALU_DEP_2) | instskip(NEXT) | instid1(VALU_DEP_2)
	v_fmac_f32_e32 v76, v100, v71
	v_mul_f32_e32 v70, 0x3fb8aa3b, v70
	s_delay_alu instid0(VALU_DEP_2) | instskip(NEXT) | instid1(VALU_DEP_2)
	v_dual_cndmask_b32 v71, v99, v102 :: v_dual_fmac_f32 v76, v97, v72
	v_exp_f32_e32 v98, v70
	v_lshlrev_b32_e32 v72, 6, v69
	s_delay_alu instid0(VALU_DEP_2) | instskip(NEXT) | instid1(VALU_DEP_2)
	v_dual_fmac_f32 v76, v95, v73 :: v_dual_lshlrev_b32 v69, 2, v67
	v_lshl_or_b32 v74, v68, 11, v72
	s_delay_alu instid0(VALU_DEP_2)
	v_cmp_eq_u32_e64 s8, 7, v69
	s_delay_alu instid0(TRANS32_DEP_2) | instid1(VALU_DEP_3)
	v_fmac_f32_e32 v76, v96, v93
	s_waitcnt_depctr 0xfff
	v_fmac_f32_e32 v76, v98, v94
	s_delay_alu instid0(VALU_DEP_1) | instskip(NEXT) | instid1(VALU_DEP_1)
	v_add_f32_e32 v73, 0x358637bd, v76
	v_div_scale_f32 v93, null, v73, v73, 1.0
	v_div_scale_f32 v99, vcc_lo, 1.0, v73, 1.0
	s_delay_alu instid0(VALU_DEP_2) | instskip(SKIP_2) | instid1(VALU_DEP_1)
	v_rcp_f32_e32 v94, v93
	s_waitcnt_depctr 0xfff
	v_fma_f32 v70, -v93, v94, 1.0
	v_fmac_f32_e32 v94, v70, v94
	v_cndmask_b32_e64 v70, v71, v101, s3
	v_cmp_eq_u32_e64 s3, 6, v68
	v_or_b32_e32 v71, 1, v69
	v_or_b32_e32 v68, 2, v69
	v_mul_f32_e32 v101, v99, v94
	v_cndmask_b32_e64 v70, v70, v100, s4
	v_cmp_eq_u32_e64 s4, 1, v69
	v_cmp_eq_u32_e64 s9, 1, v71
	;; [unrolled: 1-line block ×3, first 2 shown]
	v_fma_f32 v100, -v93, v101, v99
	v_cndmask_b32_e64 v70, v70, v97, s5
	v_cmp_eq_u32_e64 s5, 2, v69
	v_cmp_eq_u32_e64 s12, 2, v71
	;; [unrolled: 1-line block ×3, first 2 shown]
	v_fmac_f32_e32 v101, v100, v94
	v_cndmask_b32_e64 v95, v70, v95, s6
	v_or_b32_e32 v70, 3, v69
	v_cmp_eq_u32_e64 s13, 3, v71
	v_cmp_eq_u32_e64 s17, 3, v68
	v_fma_f32 v93, -v93, v101, v99
	v_cndmask_b32_e64 v95, v95, v96, s3
	v_cmp_eq_u32_e64 s11, 1, v70
	v_cmp_eq_u32_e64 s16, 2, v70
	;; [unrolled: 1-line block ×3, first 2 shown]
	v_div_fmas_f32 v93, v93, v94, v101
	v_cndmask_b32_e64 v94, v95, v98, s7
	v_cmp_eq_u32_e32 vcc_lo, 3, v69
	v_cmp_eq_u32_e64 s3, 4, v69
	v_cmp_eq_u32_e64 s19, 4, v71
	v_div_fixup_f32 v93, v93, v73, 1.0
	v_lshl_or_b32 v73, v67, 4, v74
	v_cmp_eq_u32_e64 s22, 4, v70
	v_cmp_eq_u32_e64 s6, 5, v69
	;; [unrolled: 1-line block ×3, first 2 shown]
	v_mul_f32_e32 v101, v94, v93
	v_cmp_eq_u32_e64 s21, 4, v68
	v_cmp_eq_u32_e64 s24, 5, v70
	;; [unrolled: 1-line block ×4, first 2 shown]
	v_fma_mixlo_f16 v93, v101, v78, 0
	v_fma_mixlo_f16 v94, v101, v80, 0
	;; [unrolled: 1-line block ×8, first 2 shown]
	v_fma_mixhi_f16 v93, v101, v77, 0
	v_fma_mixhi_f16 v94, v101, v79, 0
	;; [unrolled: 1-line block ×8, first 2 shown]
	ds_store_b128 v73, v[93:96]
	ds_store_b128 v73, v[97:100] offset:1024
	s_waitcnt lgkmcnt(0)
	s_barrier
	buffer_gl0_inv
	ds_load_b128 v[77:80], v74
	ds_load_b128 v[81:84], v74 offset:16
	ds_load_b128 v[85:88], v74 offset:1024
	;; [unrolled: 1-line block ×3, first 2 shown]
	v_cmp_eq_u32_e64 s27, 6, v70
	v_cmp_eq_u32_e64 s7, 6, v69
	;; [unrolled: 1-line block ×6, first 2 shown]
	s_waitcnt lgkmcnt(3)
	v_lshrrev_b32_e32 v93, 16, v77
	s_waitcnt lgkmcnt(2)
	v_lshrrev_b32_e32 v97, 16, v81
	;; [unrolled: 2-line block ×4, first 2 shown]
	v_lshrrev_b32_e32 v94, 16, v78
	v_cndmask_b32_e64 v109, v77, v93, s4
	v_cndmask_b32_e64 v110, v81, v97, s4
	v_cndmask_b32_e64 v111, v77, v93, s9
	v_cndmask_b32_e64 v112, v81, v97, s9
	v_cndmask_b32_e64 v113, v77, v93, s10
	v_cndmask_b32_e64 v114, v81, v97, s10
	v_cndmask_b32_e64 v77, v77, v93, s11
	v_cndmask_b32_e64 v81, v81, v97, s11
	v_lshrrev_b32_e32 v98, 16, v82
	v_cndmask_b32_e64 v93, v85, v101, s4
	v_cndmask_b32_e64 v97, v89, v105, s4
	;; [unrolled: 1-line block ×15, first 2 shown]
	v_lshrrev_b32_e32 v102, 16, v86
	v_lshrrev_b32_e32 v106, 16, v90
	v_cndmask_b32_e64 v112, v114, v82, s15
	v_cndmask_b32_e64 v81, v93, v86, s5
	;; [unrolled: 1-line block ×7, first 2 shown]
	v_cndmask_b32_e32 v89, v101, v94, vcc_lo
	v_cndmask_b32_e32 v101, v105, v98, vcc_lo
	v_cndmask_b32_e64 v105, v109, v94, s13
	v_cndmask_b32_e64 v109, v110, v98, s13
	;; [unrolled: 1-line block ×4, first 2 shown]
	v_lshrrev_b32_e32 v95, 16, v79
	v_lshrrev_b32_e32 v99, 16, v83
	v_cndmask_b32_e64 v110, v111, v94, s17
	v_cndmask_b32_e64 v111, v112, v98, s17
	v_cndmask_b32_e32 v81, v81, v102, vcc_lo
	v_cndmask_b32_e32 v82, v82, v106, vcc_lo
	v_cndmask_b32_e64 v93, v93, v102, s13
	v_cndmask_b32_e64 v89, v89, v79, s3
	;; [unrolled: 1-line block ×7, first 2 shown]
	v_lshrrev_b32_e32 v103, 16, v87
	v_cndmask_b32_e64 v105, v110, v79, s21
	v_cndmask_b32_e64 v109, v111, v83, s21
	;; [unrolled: 1-line block ×11, first 2 shown]
	v_lshrrev_b32_e32 v96, 16, v80
	v_lshrrev_b32_e32 v100, 16, v84
	v_cndmask_b32_e64 v98, v105, v95, s23
	v_cndmask_b32_e64 v101, v109, v99, s23
	;; [unrolled: 1-line block ×7, first 2 shown]
	v_lshrrev_b32_e32 v104, 16, v88
	v_cndmask_b32_e64 v79, v79, v103, s6
	v_cndmask_b32_e64 v83, v83, v80, s7
	;; [unrolled: 1-line block ×16, first 2 shown]
	v_perm_b32 v80, v78, v77, 0x5040100
	v_perm_b32 v78, v94, v84, 0x5040100
	v_cndmask_b32_e64 v77, v118, v90, s15
	v_cndmask_b32_e64 v84, v116, v90, s12
	;; [unrolled: 1-line block ×3, first 2 shown]
	v_perm_b32 v79, v93, v89, 0x5040100
	v_cndmask_b32_e64 v89, v97, v102, s17
	v_cndmask_b32_e64 v85, v85, v102, s18
	;; [unrolled: 1-line block ×5, first 2 shown]
	v_lshrrev_b32_e32 v107, 16, v91
	v_cndmask_b32_e64 v89, v89, v87, s21
	v_cndmask_b32_e64 v85, v85, v87, s22
	v_cndmask_b32_e64 v86, v86, v91, s22
	v_cndmask_b32_e64 v77, v77, v91, s21
	v_cndmask_b32_e64 v84, v84, v91, s19
	v_cndmask_b32_e64 v81, v81, v107, s6
	v_cndmask_b32_e64 v87, v89, v103, s23
	v_cndmask_b32_e64 v85, v85, v103, s24
	v_cndmask_b32_e64 v86, v86, v107, s24
	v_cndmask_b32_e64 v77, v77, v107, s23
	v_cndmask_b32_e64 v84, v84, v107, s20
	v_lshrrev_b32_e32 v108, 16, v92
	v_cndmask_b32_e64 v81, v81, v92, s7
	v_cndmask_b32_e64 v87, v87, v88, s26
	;; [unrolled: 1-line block ×12, first 2 shown]
	v_perm_b32 v77, v83, v82, 0x5040100
	v_perm_b32 v84, v86, v85, 0x5040100
	;; [unrolled: 1-line block ×5, first 2 shown]
	s_lshl_b32 s8, s33, 3
	s_mov_b32 s3, exec_lo
	ds_store_b128 v73, v[77:80]
	ds_store_b128 v73, v[81:84] offset:1024
	v_cmpx_gt_u32_e32 8, v0
	s_cbranch_execz .LBB1141_14
; %bb.13:
	v_or_b32_e32 v77, s31, v0
	s_load_b128 s[4:7], s[0:1], 0x58
	s_delay_alu instid0(VALU_DEP_1) | instskip(NEXT) | instid1(VALU_DEP_1)
	v_mad_u64_u32 v[78:79], null, s8, s34, v[77:78]
	v_mad_u64_u32 v[79:80], null, v78, s35, s[14:15]
	s_delay_alu instid0(VALU_DEP_1) | instskip(NEXT) | instid1(VALU_DEP_1)
	v_ashrrev_i32_e32 v80, 31, v79
	v_lshlrev_b64 v[77:78], 2, v[79:80]
	s_waitcnt lgkmcnt(0)
	s_delay_alu instid0(VALU_DEP_1) | instskip(NEXT) | instid1(VALU_DEP_2)
	v_add_co_u32 v79, vcc_lo, s6, v77
	v_add_co_ci_u32_e32 v80, vcc_lo, s7, v78, vcc_lo
	v_add_co_u32 v77, vcc_lo, s4, v77
	v_add_co_ci_u32_e32 v78, vcc_lo, s5, v78, vcc_lo
	global_store_b32 v[79:80], v75, off
	global_store_b32 v[77:78], v76, off
.LBB1141_14:
	s_or_b32 exec_lo, exec_lo, s3
	s_waitcnt lgkmcnt(0)
	s_waitcnt_vscnt null, 0x0
	s_barrier
	buffer_gl0_inv
	ds_load_b128 v[83:86], v72
	ds_load_b128 v[87:90], v72 offset:16
	ds_load_b128 v[95:98], v72 offset:2064
	;; [unrolled: 1-line block ×5, first 2 shown]
	v_cmp_eq_u32_e32 vcc_lo, 1, v69
	v_mov_b32_e32 v75, 0
	ds_load_b128 v[111:114], v72 offset:6160
	ds_load_b128 v[107:110], v72 offset:6144
	;; [unrolled: 1-line block ×4, first 2 shown]
	v_cmp_eq_u32_e64 s4, 1, v68
	v_cmp_eq_u32_e64 s3, 1, v71
	;; [unrolled: 1-line block ×3, first 2 shown]
	v_mov_b32_e32 v76, v75
	v_mov_b32_e32 v77, v75
	;; [unrolled: 1-line block ×7, first 2 shown]
	v_cmp_eq_u32_e64 s6, 3, v71
	v_cmp_eq_u32_e64 s7, 7, v71
	s_waitcnt lgkmcnt(8)
	s_delay_alu instid0(VALU_DEP_3)
	v_wmma_f32_16x16x16_f16 v[75:82], v[49:56], v[83:90], v[75:82]
	ds_load_b128 v[53:56], v72 offset:10256
	ds_load_b128 v[49:52], v72 offset:10240
	s_waitcnt lgkmcnt(8)
	v_wmma_f32_16x16x16_f16 v[75:82], v[41:48], v[91:98], v[75:82]
	ds_load_b128 v[45:48], v72 offset:12304
	ds_load_b128 v[41:44], v72 offset:12288
	s_waitcnt lgkmcnt(8)
	;; [unrolled: 4-line block ×3, first 2 shown]
	s_barrier
	buffer_gl0_inv
	v_wmma_f32_16x16x16_f16 v[75:82], v[1:8], v[107:114], v[75:82]
	s_delay_alu instid0(VALU_DEP_1) | instskip(NEXT) | instid1(VALU_DEP_1)
	v_wmma_f32_16x16x16_f16 v[75:82], v[9:16], v[115:122], v[75:82]
	v_wmma_f32_16x16x16_f16 v[75:82], v[17:24], v[49:56], v[75:82]
	s_delay_alu instid0(VALU_DEP_1) | instskip(NEXT) | instid1(VALU_DEP_1)
	v_wmma_f32_16x16x16_f16 v[75:82], v[25:32], v[41:48], v[75:82]
	v_wmma_f32_16x16x16_f16 v[75:82], v[57:64], v[33:40], v[75:82]
	s_delay_alu instid0(VALU_DEP_1) | instskip(NEXT) | instid1(VALU_DEP_2)
	v_cvt_f16_f32_e32 v1, v75
	v_cvt_f16_f32_e32 v2, v76
	s_delay_alu instid0(VALU_DEP_3) | instskip(NEXT) | instid1(VALU_DEP_4)
	v_cvt_f16_f32_e32 v3, v77
	v_cvt_f16_f32_e32 v4, v78
	;; [unrolled: 1-line block ×6, first 2 shown]
	v_pack_b32_f16 v1, v1, v2
	v_pack_b32_f16 v2, v3, v4
	;; [unrolled: 1-line block ×3, first 2 shown]
	s_delay_alu instid0(VALU_DEP_4)
	v_pack_b32_f16 v4, v7, v8
	ds_store_b128 v73, v[1:4]
	s_waitcnt lgkmcnt(0)
	s_barrier
	buffer_gl0_inv
	ds_load_b128 v[1:4], v74
	ds_load_b128 v[5:8], v74 offset:16
	s_waitcnt lgkmcnt(1)
	v_lshrrev_b32_e32 v9, 16, v1
	s_waitcnt lgkmcnt(0)
	v_lshrrev_b32_e32 v13, 16, v5
	v_lshrrev_b32_e32 v10, 16, v2
	;; [unrolled: 1-line block ×4, first 2 shown]
	v_cndmask_b32_e32 v17, v1, v9, vcc_lo
	v_cndmask_b32_e32 v18, v5, v13, vcc_lo
	v_cndmask_b32_e64 v21, v1, v9, s4
	v_cmp_eq_u32_e32 vcc_lo, 1, v70
	v_cndmask_b32_e64 v22, v5, v13, s4
	v_cmp_eq_u32_e64 s4, 2, v69
	v_cndmask_b32_e64 v19, v1, v9, s3
	v_cndmask_b32_e64 v20, v5, v13, s3
	v_cndmask_b32_e32 v1, v1, v9, vcc_lo
	v_cmp_eq_u32_e64 s3, 2, v70
	v_cndmask_b32_e32 v5, v5, v13, vcc_lo
	v_cndmask_b32_e64 v9, v17, v2, s4
	v_cmp_eq_u32_e32 vcc_lo, 3, v69
	v_cndmask_b32_e64 v13, v18, v6, s4
	v_cmp_eq_u32_e64 s4, 2, v68
	v_cndmask_b32_e64 v17, v19, v2, s5
	v_cndmask_b32_e64 v18, v20, v6, s5
	v_cmp_eq_u32_e64 s5, 3, v68
	v_cndmask_b32_e64 v1, v1, v2, s3
	v_cndmask_b32_e64 v19, v21, v2, s4
	;; [unrolled: 1-line block ×4, first 2 shown]
	v_cndmask_b32_e32 v5, v9, v10, vcc_lo
	v_cndmask_b32_e32 v6, v13, v14, vcc_lo
	v_cmp_eq_u32_e32 vcc_lo, 3, v70
	v_cndmask_b32_e64 v9, v17, v10, s6
	v_cndmask_b32_e64 v13, v18, v14, s6
	;; [unrolled: 1-line block ×3, first 2 shown]
	v_cmp_eq_u32_e64 s4, 4, v69
	v_cndmask_b32_e32 v1, v1, v10, vcc_lo
	v_cndmask_b32_e32 v2, v2, v14, vcc_lo
	v_cmp_eq_u32_e32 vcc_lo, 4, v71
	v_lshrrev_b32_e32 v15, 16, v7
	v_lshrrev_b32_e32 v16, 16, v8
	v_cndmask_b32_e64 v17, v19, v10, s5
	v_cmp_eq_u32_e64 s3, 4, v70
	v_cndmask_b32_e64 v5, v5, v3, s4
	v_cndmask_b32_e64 v6, v6, v7, s4
	v_cndmask_b32_e32 v9, v9, v3, vcc_lo
	v_cmp_eq_u32_e64 s4, 5, v71
	v_cndmask_b32_e32 v10, v13, v7, vcc_lo
	v_cmp_eq_u32_e32 vcc_lo, 4, v68
	v_cmp_eq_u32_e64 s5, 5, v69
	v_cndmask_b32_e64 v2, v2, v7, s3
	v_cndmask_b32_e64 v9, v9, v11, s4
	;; [unrolled: 1-line block ×3, first 2 shown]
	v_cndmask_b32_e32 v13, v17, v3, vcc_lo
	v_cmp_eq_u32_e64 s4, 5, v68
	v_cndmask_b32_e32 v14, v18, v7, vcc_lo
	v_cndmask_b32_e64 v1, v1, v3, s3
	v_cmp_eq_u32_e32 vcc_lo, 5, v70
	v_lshrrev_b32_e32 v12, 16, v4
	v_cndmask_b32_e64 v13, v13, v11, s4
	v_cndmask_b32_e64 v3, v14, v15, s4
	v_cmp_eq_u32_e64 s4, 6, v70
	v_cndmask_b32_e32 v1, v1, v11, vcc_lo
	v_cndmask_b32_e64 v5, v5, v11, s5
	v_cmp_eq_u32_e64 s6, 6, v69
	v_cndmask_b32_e64 v6, v6, v15, s5
	v_cmp_eq_u32_e64 s5, 6, v71
	v_cmp_eq_u32_e64 s3, 6, v68
	v_cndmask_b32_e64 v1, v1, v4, s4
	v_cndmask_b32_e32 v2, v2, v15, vcc_lo
	v_cmp_eq_u32_e32 vcc_lo, 7, v70
	v_cndmask_b32_e64 v5, v5, v4, s6
	v_cndmask_b32_e64 v9, v9, v4, s5
	;; [unrolled: 1-line block ×3, first 2 shown]
	v_cmp_eq_u32_e64 s6, 7, v69
	v_cndmask_b32_e32 v1, v1, v12, vcc_lo
	v_cndmask_b32_e64 v7, v13, v4, s3
	v_cndmask_b32_e64 v3, v3, v8, s3
	;; [unrolled: 1-line block ×3, first 2 shown]
	v_cmp_eq_u32_e64 s3, 7, v68
	v_cndmask_b32_e64 v4, v10, v8, s5
	v_cndmask_b32_e64 v5, v5, v12, s6
	;; [unrolled: 1-line block ×3, first 2 shown]
	v_cndmask_b32_e32 v2, v2, v16, vcc_lo
	v_cndmask_b32_e64 v7, v7, v12, s3
	v_cndmask_b32_e64 v3, v3, v16, s3
	;; [unrolled: 1-line block ×4, first 2 shown]
	v_cmp_gt_u32_e32 vcc_lo, 32, v0
	v_perm_b32 v4, v2, v1, 0x5040100
	v_perm_b32 v3, v3, v7, 0x5040100
	v_perm_b32 v2, v8, v9, 0x5040100
	v_perm_b32 v1, v6, v5, 0x5040100
	s_and_b32 s2, vcc_lo, s2
	ds_store_b128 v73, v[1:4]
	s_waitcnt lgkmcnt(0)
	s_barrier
	buffer_gl0_inv
	s_and_saveexec_b32 s3, s2
	s_cbranch_execz .LBB1141_2
; %bb.15:
	s_load_b64 s[0:1], s[0:1], 0x68
	s_lshl_b32 s4, s35, 6
	v_or_b32_e32 v2, s31, v67
	s_mul_i32 s2, s4, s34
	v_lshlrev_b32_e32 v1, 10, v0
	s_mul_i32 s2, s2, s8
	v_lshlrev_b32_e32 v3, 4, v66
	v_mul_lo_u32 v0, v2, s4
	s_ashr_i32 s3, s2, 31
	v_lshlrev_b32_e32 v4, 6, v67
	v_and_b32_e32 v1, 0x3800, v1
	v_or_b32_e32 v5, 2, v2
	s_lshl_b64 s[2:3], s[2:3], 1
	v_or_b32_e32 v6, 4, v2
	v_or_b32_e32 v7, 6, v2
	v_or3_b32 v12, v1, v3, v4
	v_ashrrev_i32_e32 v1, 31, v0
	v_mul_lo_u32 v2, v5, s4
	v_mul_lo_u32 v16, v6, s4
	;; [unrolled: 1-line block ×3, first 2 shown]
	s_waitcnt lgkmcnt(0)
	s_add_u32 s2, s0, s2
	s_addc_u32 s3, s1, s3
	s_lshl_b32 s0, s14, 6
	v_lshlrev_b64 v[0:1], 1, v[0:1]
	s_ashr_i32 s1, s0, 31
	v_ashrrev_i32_e32 v3, 31, v2
	s_lshl_b64 s[0:1], s[0:1], 1
	v_ashrrev_i32_e32 v17, 31, v16
	s_add_u32 s0, s2, s0
	s_addc_u32 s1, s3, s1
	v_add_co_u32 v24, s0, s0, v65
	s_delay_alu instid0(VALU_DEP_1) | instskip(SKIP_1) | instid1(VALU_DEP_3)
	v_add_co_ci_u32_e64 v25, null, s1, 0, s0
	v_lshlrev_b64 v[22:23], 1, v[2:3]
	v_add_co_u32 v18, vcc_lo, v24, v0
	s_delay_alu instid0(VALU_DEP_3)
	v_add_co_ci_u32_e32 v19, vcc_lo, v25, v1, vcc_lo
	ds_load_b128 v[0:3], v12
	ds_load_b128 v[4:7], v12 offset:128
	ds_load_b128 v[8:11], v12 offset:256
	ds_load_b128 v[12:15], v12 offset:384
	v_ashrrev_i32_e32 v21, 31, v20
	v_lshlrev_b64 v[16:17], 1, v[16:17]
	v_add_co_u32 v22, vcc_lo, v24, v22
	v_add_co_ci_u32_e32 v23, vcc_lo, v25, v23, vcc_lo
	s_delay_alu instid0(VALU_DEP_4) | instskip(NEXT) | instid1(VALU_DEP_4)
	v_lshlrev_b64 v[20:21], 1, v[20:21]
	v_add_co_u32 v16, vcc_lo, v24, v16
	v_add_co_ci_u32_e32 v17, vcc_lo, v25, v17, vcc_lo
	s_delay_alu instid0(VALU_DEP_3) | instskip(NEXT) | instid1(VALU_DEP_4)
	v_add_co_u32 v20, vcc_lo, v24, v20
	v_add_co_ci_u32_e32 v21, vcc_lo, v25, v21, vcc_lo
	s_waitcnt lgkmcnt(3)
	global_store_b128 v[18:19], v[0:3], off
	s_waitcnt lgkmcnt(2)
	global_store_b128 v[22:23], v[4:7], off
	;; [unrolled: 2-line block ×4, first 2 shown]
	s_nop 0
	s_sendmsg sendmsg(MSG_DEALLOC_VGPRS)
	s_endpgm
	.section	.rodata,"a",@progbits
	.p2align	6, 0x0
	.amdhsa_kernel _Z39paged_attention_ll4mi_QKV_mfma16_kernelIDF16_hLN4vllm18Fp8KVCacheDataTypeE1EDF16_Li16ELi64ELi256ELb0ELi8EL8MFMAType0EEvPKT_PKT0_S8_ifPKiSA_SA_iPKfiiiPfSD_PS3_PT2_iSC_SC_
		.amdhsa_group_segment_fixed_size 17472
		.amdhsa_private_segment_fixed_size 0
		.amdhsa_kernarg_size 400
		.amdhsa_user_sgpr_count 13
		.amdhsa_user_sgpr_dispatch_ptr 0
		.amdhsa_user_sgpr_queue_ptr 0
		.amdhsa_user_sgpr_kernarg_segment_ptr 1
		.amdhsa_user_sgpr_dispatch_id 0
		.amdhsa_user_sgpr_private_segment_size 0
		.amdhsa_wavefront_size32 1
		.amdhsa_uses_dynamic_stack 0
		.amdhsa_enable_private_segment 0
		.amdhsa_system_sgpr_workgroup_id_x 1
		.amdhsa_system_sgpr_workgroup_id_y 1
		.amdhsa_system_sgpr_workgroup_id_z 1
		.amdhsa_system_sgpr_workgroup_info 0
		.amdhsa_system_vgpr_workitem_id 0
		.amdhsa_next_free_vgpr 123
		.amdhsa_next_free_sgpr 40
		.amdhsa_reserve_vcc 1
		.amdhsa_float_round_mode_32 0
		.amdhsa_float_round_mode_16_64 0
		.amdhsa_float_denorm_mode_32 3
		.amdhsa_float_denorm_mode_16_64 3
		.amdhsa_dx10_clamp 1
		.amdhsa_ieee_mode 1
		.amdhsa_fp16_overflow 0
		.amdhsa_workgroup_processor_mode 1
		.amdhsa_memory_ordered 1
		.amdhsa_forward_progress 0
		.amdhsa_shared_vgpr_count 0
		.amdhsa_exception_fp_ieee_invalid_op 0
		.amdhsa_exception_fp_denorm_src 0
		.amdhsa_exception_fp_ieee_div_zero 0
		.amdhsa_exception_fp_ieee_overflow 0
		.amdhsa_exception_fp_ieee_underflow 0
		.amdhsa_exception_fp_ieee_inexact 0
		.amdhsa_exception_int_div_zero 0
	.end_amdhsa_kernel
	.section	.text._Z39paged_attention_ll4mi_QKV_mfma16_kernelIDF16_hLN4vllm18Fp8KVCacheDataTypeE1EDF16_Li16ELi64ELi256ELb0ELi8EL8MFMAType0EEvPKT_PKT0_S8_ifPKiSA_SA_iPKfiiiPfSD_PS3_PT2_iSC_SC_,"axG",@progbits,_Z39paged_attention_ll4mi_QKV_mfma16_kernelIDF16_hLN4vllm18Fp8KVCacheDataTypeE1EDF16_Li16ELi64ELi256ELb0ELi8EL8MFMAType0EEvPKT_PKT0_S8_ifPKiSA_SA_iPKfiiiPfSD_PS3_PT2_iSC_SC_,comdat
.Lfunc_end1141:
	.size	_Z39paged_attention_ll4mi_QKV_mfma16_kernelIDF16_hLN4vllm18Fp8KVCacheDataTypeE1EDF16_Li16ELi64ELi256ELb0ELi8EL8MFMAType0EEvPKT_PKT0_S8_ifPKiSA_SA_iPKfiiiPfSD_PS3_PT2_iSC_SC_, .Lfunc_end1141-_Z39paged_attention_ll4mi_QKV_mfma16_kernelIDF16_hLN4vllm18Fp8KVCacheDataTypeE1EDF16_Li16ELi64ELi256ELb0ELi8EL8MFMAType0EEvPKT_PKT0_S8_ifPKiSA_SA_iPKfiiiPfSD_PS3_PT2_iSC_SC_
                                        ; -- End function
	.section	.AMDGPU.csdata,"",@progbits
; Kernel info:
; codeLenInByte = 6492
; NumSgprs: 42
; NumVgprs: 123
; ScratchSize: 0
; MemoryBound: 0
; FloatMode: 240
; IeeeMode: 1
; LDSByteSize: 17472 bytes/workgroup (compile time only)
; SGPRBlocks: 5
; VGPRBlocks: 15
; NumSGPRsForWavesPerEU: 42
; NumVGPRsForWavesPerEU: 123
; Occupancy: 10
; WaveLimiterHint : 1
; COMPUTE_PGM_RSRC2:SCRATCH_EN: 0
; COMPUTE_PGM_RSRC2:USER_SGPR: 13
; COMPUTE_PGM_RSRC2:TRAP_HANDLER: 0
; COMPUTE_PGM_RSRC2:TGID_X_EN: 1
; COMPUTE_PGM_RSRC2:TGID_Y_EN: 1
; COMPUTE_PGM_RSRC2:TGID_Z_EN: 1
; COMPUTE_PGM_RSRC2:TIDIG_COMP_CNT: 0
	.section	.text._Z39paged_attention_ll4mi_QKV_mfma16_kernelIDF16_hLN4vllm18Fp8KVCacheDataTypeE1EDF16_Li16ELi64ELi256ELb0ELi9EL8MFMAType0EEvPKT_PKT0_S8_ifPKiSA_SA_iPKfiiiPfSD_PS3_PT2_iSC_SC_,"axG",@progbits,_Z39paged_attention_ll4mi_QKV_mfma16_kernelIDF16_hLN4vllm18Fp8KVCacheDataTypeE1EDF16_Li16ELi64ELi256ELb0ELi9EL8MFMAType0EEvPKT_PKT0_S8_ifPKiSA_SA_iPKfiiiPfSD_PS3_PT2_iSC_SC_,comdat
	.protected	_Z39paged_attention_ll4mi_QKV_mfma16_kernelIDF16_hLN4vllm18Fp8KVCacheDataTypeE1EDF16_Li16ELi64ELi256ELb0ELi9EL8MFMAType0EEvPKT_PKT0_S8_ifPKiSA_SA_iPKfiiiPfSD_PS3_PT2_iSC_SC_ ; -- Begin function _Z39paged_attention_ll4mi_QKV_mfma16_kernelIDF16_hLN4vllm18Fp8KVCacheDataTypeE1EDF16_Li16ELi64ELi256ELb0ELi9EL8MFMAType0EEvPKT_PKT0_S8_ifPKiSA_SA_iPKfiiiPfSD_PS3_PT2_iSC_SC_
	.globl	_Z39paged_attention_ll4mi_QKV_mfma16_kernelIDF16_hLN4vllm18Fp8KVCacheDataTypeE1EDF16_Li16ELi64ELi256ELb0ELi9EL8MFMAType0EEvPKT_PKT0_S8_ifPKiSA_SA_iPKfiiiPfSD_PS3_PT2_iSC_SC_
	.p2align	8
	.type	_Z39paged_attention_ll4mi_QKV_mfma16_kernelIDF16_hLN4vllm18Fp8KVCacheDataTypeE1EDF16_Li16ELi64ELi256ELb0ELi9EL8MFMAType0EEvPKT_PKT0_S8_ifPKiSA_SA_iPKfiiiPfSD_PS3_PT2_iSC_SC_,@function
_Z39paged_attention_ll4mi_QKV_mfma16_kernelIDF16_hLN4vllm18Fp8KVCacheDataTypeE1EDF16_Li16ELi64ELi256ELb0ELi9EL8MFMAType0EEvPKT_PKT0_S8_ifPKiSA_SA_iPKfiiiPfSD_PS3_PT2_iSC_SC_: ; @_Z39paged_attention_ll4mi_QKV_mfma16_kernelIDF16_hLN4vllm18Fp8KVCacheDataTypeE1EDF16_Li16ELi64ELi256ELb0ELi9EL8MFMAType0EEvPKT_PKT0_S8_ifPKiSA_SA_iPKfiiiPfSD_PS3_PT2_iSC_SC_
; %bb.0:
	s_load_b64 s[2:3], s[0:1], 0x30
	s_mov_b32 s34, s13
	s_waitcnt lgkmcnt(0)
	s_cmp_lg_u64 s[2:3], 0
	s_cselect_b32 s6, -1, 0
	s_ashr_i32 s35, s13, 31
	s_cmp_eq_u64 s[2:3], 0
	s_cbranch_scc1 .LBB1142_3
; %bb.1:
	s_lshl_b64 s[4:5], s[34:35], 2
	s_delay_alu instid0(SALU_CYCLE_1) | instskip(SKIP_4) | instid1(SALU_CYCLE_1)
	s_add_u32 s4, s2, s4
	s_addc_u32 s5, s3, s5
	s_load_b64 s[4:5], s[4:5], 0x0
	s_waitcnt lgkmcnt(0)
	s_sub_i32 s4, s5, s4
	s_cmp_eq_u32 s4, 1
	s_cselect_b32 s4, -1, 0
	s_delay_alu instid0(SALU_CYCLE_1)
	s_and_not1_b32 vcc_lo, exec_lo, s4
	s_cbranch_vccz .LBB1142_4
.LBB1142_2:
	s_nop 0
	s_sendmsg sendmsg(MSG_DEALLOC_VGPRS)
	s_endpgm
.LBB1142_3:
.LBB1142_4:
	s_load_b64 s[8:9], s[0:1], 0x28
	s_lshl_b64 s[4:5], s[34:35], 2
	s_waitcnt lgkmcnt(0)
	s_add_u32 s8, s8, s4
	s_addc_u32 s9, s9, s5
	s_lshl_b32 s16, s14, 8
	s_load_b32 s18, s[8:9], 0x0
	s_waitcnt lgkmcnt(0)
	s_cmp_ge_i32 s16, s18
	s_cbranch_scc1 .LBB1142_2
; %bb.5:
	s_clause 0x1
	s_load_b128 s[8:11], s[0:1], 0x8
	s_load_b64 s[12:13], s[0:1], 0x20
	s_and_not1_b32 vcc_lo, exec_lo, s6
	s_cbranch_vccnz .LBB1142_7
; %bb.6:
	s_add_u32 s2, s2, s4
	s_addc_u32 s3, s3, s5
	s_load_b32 s3, s[2:3], 0x0
	s_branch .LBB1142_8
.LBB1142_7:
	s_mov_b32 s3, s34
.LBB1142_8:
	s_load_b128 s[4:7], s[0:1], 0x48
	v_lshrrev_b32_e32 v69, 5, v0
	v_bfe_u32 v66, v0, 4, 1
	v_and_b32_e32 v68, 15, v0
	v_and_b32_e32 v70, 31, v0
	;; [unrolled: 1-line block ×3, first 2 shown]
	s_mul_i32 s33, s15, 9
	v_lshl_or_b32 v1, v69, 1, v66
	v_lshlrev_b32_e32 v2, 3, v68
	v_cmp_gt_u32_e64 s2, 8, v68
	s_delay_alu instid0(VALU_DEP_3) | instskip(NEXT) | instid1(VALU_DEP_3)
	v_cmp_gt_u32_e32 vcc_lo, 9, v1
	v_lshlrev_b32_e32 v65, 1, v2
	s_delay_alu instid0(VALU_DEP_3)
	s_and_b32 s17, s2, vcc_lo
	s_waitcnt lgkmcnt(0)
	s_and_saveexec_b32 s7, s17
	s_cbranch_execz .LBB1142_10
; %bb.9:
	s_load_b64 s[20:21], s[0:1], 0x0
	v_add_lshl_u32 v2, v1, s33, 6
	s_mul_hi_i32 s23, s3, s4
	s_mul_i32 s22, s3, s4
	v_lshlrev_b32_e32 v6, 10, v68
	s_lshl_b64 s[22:23], s[22:23], 1
	v_ashrrev_i32_e32 v3, 31, v2
	v_lshlrev_b32_e32 v1, 6, v1
	v_lshlrev_b32_e32 v7, 10, v67
	v_and_b32_e32 v6, 0x3800, v6
	s_delay_alu instid0(VALU_DEP_4) | instskip(NEXT) | instid1(VALU_DEP_2)
	v_lshlrev_b64 v[2:3], 1, v[2:3]
	v_or3_b32 v1, v6, v7, v1
	s_waitcnt lgkmcnt(0)
	s_add_u32 s3, s20, s22
	s_addc_u32 s4, s21, s23
	s_delay_alu instid0(VALU_DEP_2) | instskip(SKIP_1) | instid1(VALU_DEP_2)
	v_add_co_u32 v2, vcc_lo, s3, v2
	v_add_co_ci_u32_e32 v3, vcc_lo, s4, v3, vcc_lo
	v_add_co_u32 v2, vcc_lo, v2, v65
	s_delay_alu instid0(VALU_DEP_2)
	v_add_co_ci_u32_e32 v3, vcc_lo, 0, v3, vcc_lo
	global_load_b128 v[2:5], v[2:3], off
	s_waitcnt vmcnt(0)
	ds_store_b128 v1, v[2:5]
.LBB1142_10:
	s_or_b32 exec_lo, exec_lo, s7
	v_and_b32_e32 v1, 0xef, v0
	s_add_i32 s3, s18, 15
	s_clause 0x1
	s_load_b32 s4, s[0:1], 0x38
	s_load_b32 s35, s[0:1], 0x98
	s_ashr_i32 s7, s3, 31
	v_add_nc_u32_e32 v1, s16, v1
	s_lshr_b32 s7, s7, 28
	s_load_b32 s19, s[0:1], 0x1c
	v_add_nc_u32_e32 v103, -9, v68
	s_add_i32 s3, s3, s7
	v_ashrrev_i32_e32 v2, 31, v1
	v_or_b32_e32 v3, 16, v1
	s_ashr_i32 s3, s3, 4
	v_cmp_gt_i32_e32 vcc_lo, s18, v1
	s_add_i32 s3, s3, -1
	v_lshrrev_b32_e32 v2, 28, v2
	s_waitcnt lgkmcnt(0)
	s_barrier
	buffer_gl0_inv
	s_mul_i32 s15, s15, s6
	v_add_nc_u32_e32 v4, v1, v2
	v_mbcnt_lo_u32_b32 v127, -1, 0
	s_mul_i32 s20, s34, s4
	s_delay_alu instid0(SALU_CYCLE_1) | instskip(NEXT) | instid1(VALU_DEP_2)
	s_ashr_i32 s21, s20, 31
	v_ashrrev_i32_e32 v4, 4, v4
	v_add_nc_u32_e32 v2, v3, v2
	s_lshl_b64 s[20:21], s[20:21], 2
	v_xor_b32_e32 v128, 16, v127
	s_add_u32 s17, s12, s20
	v_cndmask_b32_e32 v1, s3, v4, vcc_lo
	v_ashrrev_i32_e32 v2, 4, v2
	v_cmp_gt_i32_e32 vcc_lo, s18, v3
	s_addc_u32 s13, s13, s21
	s_ashr_i32 s20, s15, 31
	s_add_u32 s4, s8, s15
	s_addc_u32 s12, s9, s20
	v_cndmask_b32_e32 v3, s3, v2, vcc_lo
	v_ashrrev_i32_e32 v2, 31, v1
	s_lshl_b32 s6, s14, 4
	s_delay_alu instid0(SALU_CYCLE_1) | instskip(NEXT) | instid1(VALU_DEP_2)
	s_ashr_i32 s7, s6, 31
	v_ashrrev_i32_e32 v4, 31, v3
	s_delay_alu instid0(VALU_DEP_2) | instskip(SKIP_1) | instid1(SALU_CYCLE_1)
	v_lshlrev_b64 v[1:2], 2, v[1:2]
	s_lshl_b64 s[6:7], s[6:7], 2
	s_add_u32 s6, s17, s6
	s_delay_alu instid0(VALU_DEP_2) | instskip(SKIP_1) | instid1(VALU_DEP_2)
	v_lshlrev_b64 v[3:4], 2, v[3:4]
	s_addc_u32 s7, s13, s7
	v_add_co_u32 v1, vcc_lo, s17, v1
	v_add_co_ci_u32_e32 v2, vcc_lo, s13, v2, vcc_lo
	s_delay_alu instid0(VALU_DEP_3) | instskip(NEXT) | instid1(VALU_DEP_4)
	v_add_co_u32 v3, vcc_lo, s17, v3
	v_add_co_ci_u32_e32 v4, vcc_lo, s13, v4, vcc_lo
	s_clause 0x1
	global_load_b32 v5, v[1:2], off
	global_load_b32 v7, v[3:4], off
	s_or_b32 s8, s16, 32
	v_lshlrev_b32_e32 v1, 4, v0
	s_ashr_i32 s9, s8, 4
	s_cmp_lt_i32 s8, s18
	v_cmp_gt_u32_e32 vcc_lo, 9, v68
	s_cselect_b32 s8, s9, s3
	v_and_b32_e32 v1, 0xf0, v1
	s_ashr_i32 s9, s8, 31
	s_delay_alu instid0(SALU_CYCLE_1)
	s_lshl_b64 s[8:9], s[8:9], 2
	v_cndmask_b32_e32 v103, v103, v68, vcc_lo
	s_add_u32 s8, s17, s8
	s_addc_u32 s9, s13, s9
	s_or_b32 s21, s16, 64
	v_add_co_u32 v1, s4, s4, v1
	s_ashr_i32 s22, s21, 4
	s_cmp_lt_i32 s21, s18
	v_add_co_ci_u32_e64 v2, null, s12, 0, s4
	s_cselect_b32 s22, s22, s3
	v_cmp_gt_i32_e32 vcc_lo, 32, v128
	s_ashr_i32 s23, s22, 31
	v_lshlrev_b32_e32 v115, 6, v103
	s_lshl_b64 s[22:23], s[22:23], 2
	v_cndmask_b32_e32 v136, v127, v128, vcc_lo
	s_add_u32 s22, s17, s22
	s_addc_u32 s23, s13, s23
	s_or_b32 s21, s16, 0x60
	s_delay_alu instid0(SALU_CYCLE_1) | instskip(SKIP_2) | instid1(SALU_CYCLE_1)
	s_ashr_i32 s24, s21, 4
	s_cmp_lt_i32 s21, s18
	s_cselect_b32 s24, s24, s3
	s_ashr_i32 s25, s24, 31
	s_delay_alu instid0(SALU_CYCLE_1) | instskip(NEXT) | instid1(SALU_CYCLE_1)
	s_lshl_b64 s[24:25], s[24:25], 2
	s_add_u32 s24, s17, s24
	s_addc_u32 s25, s13, s25
	s_or_b32 s21, s16, 0x80
	s_delay_alu instid0(SALU_CYCLE_1) | instskip(SKIP_2) | instid1(SALU_CYCLE_1)
	s_ashr_i32 s26, s21, 4
	s_cmp_lt_i32 s21, s18
	s_cselect_b32 s26, s26, s3
	s_ashr_i32 s27, s26, 31
	s_delay_alu instid0(SALU_CYCLE_1) | instskip(NEXT) | instid1(SALU_CYCLE_1)
	s_lshl_b64 s[26:27], s[26:27], 2
	;; [unrolled: 10-line block ×3, first 2 shown]
	s_add_u32 s28, s17, s28
	s_addc_u32 s29, s13, s29
	s_clause 0x5
	s_load_b32 s12, s[6:7], 0x0
	s_load_b32 s4, s[8:9], 0x0
	;; [unrolled: 1-line block ×6, first 2 shown]
	s_or_b32 s21, s16, 0xc0
	s_delay_alu instid0(SALU_CYCLE_1) | instskip(SKIP_2) | instid1(SALU_CYCLE_1)
	s_ashr_i32 s22, s21, 4
	s_cmp_lt_i32 s21, s18
	s_cselect_b32 s22, s22, s3
	s_ashr_i32 s23, s22, 31
	s_delay_alu instid0(SALU_CYCLE_1) | instskip(NEXT) | instid1(SALU_CYCLE_1)
	s_lshl_b64 s[22:23], s[22:23], 2
	s_add_u32 s22, s17, s22
	s_addc_u32 s23, s13, s23
	s_or_b32 s21, s16, 0xe0
	s_delay_alu instid0(SALU_CYCLE_1) | instskip(SKIP_2) | instid1(SALU_CYCLE_1)
	s_ashr_i32 s24, s21, 4
	s_cmp_lt_i32 s21, s18
	s_cselect_b32 s24, s24, s3
	s_ashr_i32 s25, s24, 31
	s_delay_alu instid0(SALU_CYCLE_1)
	s_lshl_b64 s[24:25], s[24:25], 2
	s_waitcnt vmcnt(1)
	v_mad_i64_i32 v[3:4], null, v5, s5, v[1:2]
	s_waitcnt vmcnt(0)
	v_mad_i64_i32 v[5:6], null, v7, s5, v[1:2]
	v_lshlrev_b32_e32 v1, 4, v68
	s_clause 0x7
	global_load_b128 v[71:74], v[3:4], off
	global_load_b128 v[75:78], v[3:4], off offset:256
	global_load_b128 v[79:82], v[5:6], off
	global_load_b128 v[83:86], v[5:6], off offset:256
	global_load_b128 v[87:90], v[3:4], off offset:512
	;; [unrolled: 1-line block ×5, first 2 shown]
	v_lshl_or_b32 v1, v69, 8, v1
	s_load_b32 s3, s[22:23], 0x0
	s_add_u32 s22, s17, s24
	s_addc_u32 s23, s13, s25
	s_add_u32 s10, s10, s15
	s_addc_u32 s11, s11, s20
	v_add_co_u32 v1, s10, s10, v1
	s_delay_alu instid0(VALU_DEP_1) | instskip(SKIP_2) | instid1(VALU_DEP_1)
	v_add_co_ci_u32_e64 v2, null, s11, 0, s10
	s_load_b32 s10, s[22:23], 0x0
	s_waitcnt lgkmcnt(0)
	v_mad_i64_i32 v[3:4], null, s12, s5, v[1:2]
	v_mad_i64_i32 v[9:10], null, s7, s5, v[1:2]
	;; [unrolled: 1-line block ×7, first 2 shown]
	s_clause 0x5
	global_load_b128 v[49:52], v[3:4], off
	global_load_b128 v[53:56], v[3:4], off offset:16
	global_load_b128 v[41:44], v[5:6], off
	global_load_b128 v[45:48], v[5:6], off offset:16
	;; [unrolled: 2-line block ×3, first 2 shown]
	s_mov_b32 s4, 0
	v_mad_i64_i32 v[61:62], null, s10, s5, v[1:2]
	s_clause 0x9
	global_load_b128 v[1:4], v[9:10], off
	global_load_b128 v[5:8], v[9:10], off offset:16
	global_load_b128 v[9:12], v[13:14], off
	global_load_b128 v[13:16], v[13:14], off offset:16
	;; [unrolled: 2-line block ×5, first 2 shown]
	s_mov_b32 s5, s4
	s_mov_b32 s6, s4
	;; [unrolled: 1-line block ×7, first 2 shown]
	v_and_b32_e32 v104, 0xe0, v0
	v_dual_mov_b32 v126, s11 :: v_dual_mov_b32 v125, s10
	v_dual_mov_b32 v124, s9 :: v_dual_mov_b32 v123, s8
	s_delay_alu instid0(VALU_DEP_3)
	v_add_nc_u32_e32 v111, s16, v104
	ds_load_b128 v[103:106], v115
	ds_load_b128 v[107:110], v115 offset:1024
	v_dual_mov_b32 v122, s7 :: v_dual_mov_b32 v121, s6
	v_mov_b32_e32 v120, s5
	v_or_b32_e32 v135, v111, v66
	ds_load_b128 v[111:114], v115 offset:2048
	ds_load_b128 v[115:118], v115 offset:3072
	v_mov_b32_e32 v119, s4
	s_waitcnt vmcnt(0) lgkmcnt(0)
	s_barrier
	v_or_b32_e32 v137, 2, v135
	v_or_b32_e32 v138, 4, v135
	;; [unrolled: 1-line block ×3, first 2 shown]
	v_cmp_gt_i32_e32 vcc_lo, s18, v135
	v_or_b32_e32 v140, 8, v135
	v_cmp_gt_i32_e64 s3, s18, v137
	v_or_b32_e32 v141, 10, v135
	v_cmp_gt_i32_e64 s4, s18, v138
	v_cmp_gt_i32_e64 s5, s18, v139
	v_or_b32_e32 v142, 12, v135
	v_or_b32_e32 v143, 14, v135
	v_cmp_gt_i32_e64 s6, s18, v140
	v_cmp_gt_i32_e64 s7, s18, v141
	v_or_b32_e32 v144, 16, v135
	v_or_b32_e32 v145, 18, v135
	v_cmp_gt_i32_e64 s8, s18, v142
	v_cmp_gt_i32_e64 s9, s18, v143
	buffer_gl0_inv
	v_cmp_gt_i32_e64 s10, s18, v144
	v_cmp_gt_i32_e64 s11, s18, v145
	v_wmma_f32_16x16x16_f16 v[127:134], v[71:78], v[103:110], v[119:126]
	v_wmma_f32_16x16x16_f16 v[119:126], v[79:86], v[103:110], v[119:126]
	v_or_b32_e32 v71, 20, v135
	v_or_b32_e32 v72, 22, v135
	s_delay_alu instid0(VALU_DEP_4)
	v_wmma_f32_16x16x16_f16 v[127:134], v[87:94], v[111:118], v[127:134]
	v_or_b32_e32 v73, 24, v135
	v_wmma_f32_16x16x16_f16 v[119:126], v[95:102], v[111:118], v[119:126]
	v_or_b32_e32 v74, 26, v135
	v_cmp_gt_i32_e64 s12, s18, v71
	v_dual_mul_f32 v83, s19, v128 :: v_dual_mul_f32 v84, s19, v127
	v_dual_mul_f32 v81, s19, v130 :: v_dual_mul_f32 v82, s19, v129
	;; [unrolled: 1-line block ×3, first 2 shown]
	s_delay_alu instid0(VALU_DEP_3) | instskip(NEXT) | instid1(VALU_DEP_4)
	v_cndmask_b32_e32 v84, 0xff7fffff, v84, vcc_lo
	v_cndmask_b32_e64 v83, 0xff7fffff, v83, s3
	v_mul_f32_e32 v80, s19, v131
	v_cndmask_b32_e64 v82, 0xff7fffff, v82, s4
	v_cndmask_b32_e64 v81, 0xff7fffff, v81, s5
	v_dual_mul_f32 v77, s19, v134 :: v_dual_mul_f32 v90, s19, v121
	v_max3_f32 v83, v84, 0xff7fffff, v83
	v_mul_f32_e32 v78, s19, v133
	v_cndmask_b32_e64 v80, 0xff7fffff, v80, s6
	v_cndmask_b32_e64 v79, 0xff7fffff, v79, s7
	v_mul_f32_e32 v91, s19, v120
	v_max3_f32 v81, v83, v82, v81
	v_cndmask_b32_e64 v78, 0xff7fffff, v78, s8
	v_cndmask_b32_e64 v77, 0xff7fffff, v77, s9
	v_mul_f32_e32 v89, s19, v122
	v_cmp_gt_i32_e64 s13, s18, v72
	v_max3_f32 v79, v81, v80, v79
	v_cndmask_b32_e64 v80, 0xff7fffff, v92, s10
	v_cndmask_b32_e64 v81, 0xff7fffff, v91, s11
	v_or_b32_e32 v75, 28, v135
	v_or_b32_e32 v76, 30, v135
	v_max3_f32 v77, v79, v78, v77
	v_dual_mul_f32 v87, s19, v124 :: v_dual_mul_f32 v88, s19, v123
	v_cndmask_b32_e64 v71, 0xff7fffff, v90, s12
	v_cndmask_b32_e64 v72, 0xff7fffff, v89, s13
	s_delay_alu instid0(VALU_DEP_4) | instskip(SKIP_3) | instid1(VALU_DEP_4)
	v_max3_f32 v77, v77, v80, v81
	v_cmp_gt_i32_e64 s15, s18, v73
	v_cmp_gt_i32_e64 s16, s18, v74
	v_dual_mul_f32 v85, s19, v126 :: v_dual_mul_f32 v86, s19, v125
	v_max3_f32 v71, v77, v71, v72
	s_delay_alu instid0(VALU_DEP_4) | instskip(NEXT) | instid1(VALU_DEP_4)
	v_cndmask_b32_e64 v73, 0xff7fffff, v88, s15
	v_cndmask_b32_e64 v74, 0xff7fffff, v87, s16
	v_cmp_gt_i32_e64 s17, s18, v75
	v_cmp_gt_i32_e64 s18, s18, v76
	s_delay_alu instid0(VALU_DEP_3) | instskip(NEXT) | instid1(VALU_DEP_3)
	v_max3_f32 v71, v71, v73, v74
	v_cndmask_b32_e64 v72, 0xff7fffff, v86, s17
	s_delay_alu instid0(VALU_DEP_3) | instskip(SKIP_1) | instid1(VALU_DEP_2)
	v_cndmask_b32_e64 v75, 0xff7fffff, v85, s18
	v_lshlrev_b32_e32 v73, 2, v136
	v_max3_f32 v71, v71, v72, v75
	ds_bpermute_b32 v72, v73, v71
	s_waitcnt lgkmcnt(0)
	v_max_f32_e32 v72, v72, v72
	s_delay_alu instid0(VALU_DEP_1) | instskip(NEXT) | instid1(VALU_DEP_1)
	v_max_f32_e32 v71, v71, v72
	v_fma_f32 v72, s19, v127, -v71
	v_fma_f32 v74, s19, v128, -v71
	;; [unrolled: 1-line block ×5, first 2 shown]
	v_mul_f32_e32 v72, 0x3fb8aa3b, v72
	s_delay_alu instid0(VALU_DEP_4) | instskip(NEXT) | instid1(VALU_DEP_4)
	v_dual_mul_f32 v74, 0x3fb8aa3b, v74 :: v_dual_mul_f32 v75, 0x3fb8aa3b, v75
	v_mul_f32_e32 v76, 0x3fb8aa3b, v76
	s_delay_alu instid0(VALU_DEP_4) | instskip(NEXT) | instid1(VALU_DEP_4)
	v_mul_f32_e32 v82, 0x3fb8aa3b, v80
	v_exp_f32_e32 v72, v72
	s_delay_alu instid0(VALU_DEP_3)
	v_exp_f32_e32 v74, v74
	v_exp_f32_e32 v75, v75
	;; [unrolled: 1-line block ×3, first 2 shown]
	v_fma_f32 v77, s19, v131, -v71
	v_exp_f32_e32 v84, v82
	v_cndmask_b32_e32 v79, 0, v72, vcc_lo
	v_cndmask_b32_e64 v78, 0, v74, s3
	s_delay_alu instid0(TRANS32_DEP_3) | instskip(SKIP_1) | instid1(TRANS32_DEP_2)
	v_cndmask_b32_e64 v81, 0, v75, s4
	v_fma_f32 v72, s19, v132, -v71
	v_cndmask_b32_e64 v80, 0, v76, s5
	v_add_f32_e32 v74, 0, v79
	s_delay_alu instid0(TRANS32_DEP_1) | instskip(SKIP_2) | instid1(VALU_DEP_4)
	v_cndmask_b32_e64 v85, 0, v84, s8
	v_cmp_gt_u32_e64 s3, 16, v70
	v_mul_f32_e32 v72, 0x3fb8aa3b, v72
	v_add_f32_e32 v74, v74, v78
	s_delay_alu instid0(VALU_DEP_2) | instskip(NEXT) | instid1(VALU_DEP_1)
	v_exp_f32_e32 v72, v72
	v_add_f32_e32 v74, v74, v81
	s_delay_alu instid0(VALU_DEP_1) | instskip(NEXT) | instid1(VALU_DEP_1)
	v_dual_mul_f32 v77, 0x3fb8aa3b, v77 :: v_dual_add_f32 v74, v74, v80
	v_exp_f32_e32 v77, v77
	s_waitcnt_depctr 0xfff
	v_cndmask_b32_e64 v82, 0, v72, s7
	v_cndmask_b32_e64 v83, 0, v77, s6
	s_delay_alu instid0(VALU_DEP_1) | instskip(SKIP_4) | instid1(VALU_DEP_4)
	v_add_f32_e32 v72, v74, v83
	v_fma_f32 v75, s19, v134, -v71
	v_fma_f32 v76, s19, v119, -v71
	;; [unrolled: 1-line block ×4, first 2 shown]
	v_dual_add_f32 v72, v72, v82 :: v_dual_mul_f32 v75, 0x3fb8aa3b, v75
	s_delay_alu instid0(VALU_DEP_3) | instskip(NEXT) | instid1(VALU_DEP_3)
	v_dual_mul_f32 v76, 0x3fb8aa3b, v76 :: v_dual_mul_f32 v77, 0x3fb8aa3b, v77
	v_mul_f32_e32 v74, 0x3fb8aa3b, v74
	v_fma_f32 v86, s19, v122, -v71
	s_delay_alu instid0(VALU_DEP_4) | instskip(NEXT) | instid1(VALU_DEP_3)
	v_exp_f32_e32 v75, v75
	v_exp_f32_e32 v76, v76
	v_exp_f32_e32 v77, v77
	v_exp_f32_e32 v74, v74
	v_mul_f32_e32 v86, 0x3fb8aa3b, v86
	s_delay_alu instid0(VALU_DEP_1)
	v_exp_f32_e32 v88, v86
	v_cndmask_b32_e64 v84, 0, v75, s9
	v_fma_f32 v75, s19, v123, -v71
	v_add_f32_e32 v72, v72, v85
	v_cndmask_b32_e64 v87, 0, v76, s10
	v_fma_f32 v76, s19, v124, -v71
	s_delay_alu instid0(TRANS32_DEP_3) | instskip(NEXT) | instid1(VALU_DEP_4)
	v_cndmask_b32_e64 v86, 0, v77, s11
	v_dual_mul_f32 v75, 0x3fb8aa3b, v75 :: v_dual_add_f32 v72, v72, v84
	v_fma_f32 v77, s19, v125, -v71
	s_delay_alu instid0(VALU_DEP_4) | instskip(SKIP_1) | instid1(VALU_DEP_4)
	v_mul_f32_e32 v76, 0x3fb8aa3b, v76
	v_cndmask_b32_e64 v89, 0, v74, s12
	v_exp_f32_e32 v75, v75
	v_add_f32_e32 v72, v72, v87
	v_mul_f32_e32 v74, 0x3fb8aa3b, v77
	v_exp_f32_e32 v76, v76
	v_cndmask_b32_e64 v88, 0, v88, s13
	v_fma_f32 v77, s19, v126, -v71
	v_add_f32_e32 v72, v72, v86
	v_exp_f32_e32 v74, v74
	s_delay_alu instid0(TRANS32_DEP_3) | instskip(NEXT) | instid1(VALU_DEP_2)
	v_cndmask_b32_e64 v91, 0, v75, s15
	v_add_f32_e32 v72, v72, v89
	v_mul_f32_e32 v75, 0x3fb8aa3b, v77
	s_delay_alu instid0(TRANS32_DEP_2) | instskip(NEXT) | instid1(VALU_DEP_3)
	v_cndmask_b32_e64 v90, 0, v76, s16
	v_add_f32_e32 v72, v72, v88
	s_delay_alu instid0(VALU_DEP_3) | instskip(NEXT) | instid1(TRANS32_DEP_2)
	v_exp_f32_e32 v75, v75
	v_cndmask_b32_e64 v93, 0, v74, s17
	s_delay_alu instid0(VALU_DEP_2) | instskip(NEXT) | instid1(VALU_DEP_1)
	v_add_f32_e32 v72, v72, v91
	v_add_f32_e32 v72, v72, v90
	s_waitcnt_depctr 0xfff
	v_cndmask_b32_e64 v92, 0, v75, s18
	v_add_f32_e32 v72, v72, v93
	s_delay_alu instid0(VALU_DEP_1)
	v_add_f32_e32 v72, v72, v92
	ds_bpermute_b32 v73, v73, v72
	s_and_saveexec_b32 s4, s3
	s_cbranch_execz .LBB1142_12
; %bb.11:
	v_mul_u32_u24_e32 v70, 0x44, v69
	s_waitcnt lgkmcnt(0)
	v_add_f32_e32 v72, v72, v73
	s_delay_alu instid0(VALU_DEP_2) | instskip(NEXT) | instid1(VALU_DEP_1)
	v_lshl_add_u32 v70, v68, 2, v70
	v_add_nc_u32_e32 v70, 0x4000, v70
	ds_store_2addr_b32 v70, v71, v72 offset1:136
.LBB1142_12:
	s_or_b32 exec_lo, exec_lo, s4
	v_lshlrev_b32_e32 v70, 2, v68
	s_load_b32 s36, s[0:1], 0x94
	s_waitcnt lgkmcnt(0)
	s_barrier
	buffer_gl0_inv
	v_add_nc_u32_e32 v98, 0x4000, v70
	v_cmp_eq_u32_e32 vcc_lo, 1, v69
	v_cmp_eq_u32_e64 s4, 2, v69
	v_cmp_eq_u32_e64 s5, 3, v69
	;; [unrolled: 1-line block ×3, first 2 shown]
	ds_load_2addr_b32 v[70:71], v98 offset1:17
	ds_load_2addr_b32 v[72:73], v98 offset0:34 offset1:51
	ds_load_2addr_b32 v[74:75], v98 offset0:68 offset1:85
	;; [unrolled: 1-line block ×3, first 2 shown]
	v_cmp_eq_u32_e64 s7, 5, v69
	v_cmp_eq_u32_e64 s8, 7, v69
	s_waitcnt lgkmcnt(3)
	v_max3_f32 v76, v70, 0xff7fffff, v71
	s_waitcnt lgkmcnt(2)
	s_delay_alu instid0(VALU_DEP_1) | instskip(SKIP_1) | instid1(VALU_DEP_1)
	v_max3_f32 v76, v76, v72, v73
	s_waitcnt lgkmcnt(1)
	v_max3_f32 v76, v76, v74, v75
	s_waitcnt lgkmcnt(0)
	s_delay_alu instid0(VALU_DEP_1) | instskip(NEXT) | instid1(VALU_DEP_1)
	v_max3_f32 v76, v76, v94, v95
	v_sub_f32_e32 v77, v71, v76
	ds_load_2addr_b32 v[96:97], v98 offset0:136 offset1:153
	v_sub_f32_e32 v74, v74, v76
	v_sub_f32_e32 v70, v70, v76
	;; [unrolled: 1-line block ×3, first 2 shown]
	v_dual_sub_f32 v72, v72, v76 :: v_dual_mul_f32 v77, 0x3fb8aa3b, v77
	s_delay_alu instid0(VALU_DEP_4) | instskip(NEXT) | instid1(VALU_DEP_4)
	v_mul_f32_e32 v103, 0x3fb8aa3b, v74
	v_mul_f32_e32 v99, 0x3fb8aa3b, v70
	ds_load_2addr_b32 v[70:71], v98 offset0:170 offset1:187
	v_dual_mul_f32 v101, 0x3fb8aa3b, v72 :: v_dual_mul_f32 v94, 0x3fb8aa3b, v94
	v_exp_f32_e32 v102, v77
	v_exp_f32_e32 v99, v99
	s_delay_alu instid0(VALU_DEP_1) | instskip(NEXT) | instid1(VALU_DEP_1)
	v_exp_f32_e32 v101, v101
	v_exp_f32_e32 v94, v94
	s_waitcnt lgkmcnt(1)
	s_delay_alu instid0(TRANS32_DEP_3)
	v_fma_f32 v77, v99, v96, 0
	v_sub_f32_e32 v100, v73, v76
	ds_load_2addr_b32 v[72:73], v98 offset0:204 offset1:221
	v_fmac_f32_e32 v77, v102, v97
	v_exp_f32_e32 v97, v103
	s_waitcnt lgkmcnt(1)
	s_delay_alu instid0(VALU_DEP_1)
	v_dual_fmac_f32 v77, v101, v70 :: v_dual_sub_f32 v96, v75, v76
	ds_load_2addr_b32 v[74:75], v98 offset0:238 offset1:255
	v_sub_f32_e32 v70, v95, v76
	s_waitcnt lgkmcnt(0)
	s_barrier
	v_mul_f32_e32 v96, 0x3fb8aa3b, v96
	buffer_gl0_inv
	v_exp_f32_e32 v95, v96
	v_mul_f32_e32 v100, 0x3fb8aa3b, v100
	s_delay_alu instid0(VALU_DEP_1) | instskip(SKIP_3) | instid1(VALU_DEP_2)
	v_exp_f32_e32 v100, v100
	s_waitcnt_depctr 0xfff
	v_dual_fmac_f32 v77, v100, v71 :: v_dual_mul_f32 v70, 0x3fb8aa3b, v70
	v_cndmask_b32_e32 v71, v99, v102, vcc_lo
	v_fmac_f32_e32 v77, v97, v72
	s_delay_alu instid0(VALU_DEP_3) | instskip(NEXT) | instid1(VALU_DEP_1)
	v_exp_f32_e32 v96, v70
	v_fmac_f32_e32 v77, v95, v73
	s_delay_alu instid0(VALU_DEP_1) | instskip(SKIP_2) | instid1(VALU_DEP_1)
	v_fmac_f32_e32 v77, v94, v74
	s_waitcnt_depctr 0xfff
	v_fmac_f32_e32 v77, v96, v75
	v_add_f32_e32 v74, 0x358637bd, v77
	s_delay_alu instid0(VALU_DEP_1) | instskip(SKIP_1) | instid1(VALU_DEP_2)
	v_div_scale_f32 v98, null, v74, v74, 1.0
	v_div_scale_f32 v99, vcc_lo, 1.0, v74, 1.0
	v_rcp_f32_e32 v103, v98
	s_waitcnt_depctr 0xfff
	v_fma_f32 v70, -v98, v103, 1.0
	s_delay_alu instid0(VALU_DEP_1) | instskip(SKIP_2) | instid1(VALU_DEP_2)
	v_fmac_f32_e32 v103, v70, v103
	v_cndmask_b32_e64 v70, v71, v101, s4
	v_cmp_eq_u32_e64 s4, 6, v69
	v_cndmask_b32_e64 v71, v70, v100, s5
	s_delay_alu instid0(VALU_DEP_4) | instskip(NEXT) | instid1(VALU_DEP_2)
	v_dual_mul_f32 v101, v99, v103 :: v_dual_lshlrev_b32 v70, 2, v66
	v_cndmask_b32_e64 v71, v71, v97, s6
	s_delay_alu instid0(VALU_DEP_2) | instskip(NEXT) | instid1(VALU_DEP_3)
	v_or_b32_e32 v72, 1, v70
	v_fma_f32 v100, -v98, v101, v99
	v_cmp_eq_u32_e64 s5, 1, v70
	v_cmp_eq_u32_e64 s6, 2, v70
	v_cndmask_b32_e64 v95, v71, v95, s7
	v_or_b32_e32 v71, 3, v70
	v_fmac_f32_e32 v101, v100, v103
	v_cmp_eq_u32_e64 s10, 1, v72
	v_cmp_eq_u32_e64 s13, 2, v72
	v_cndmask_b32_e64 v94, v95, v94, s4
	v_cmp_eq_u32_e64 s12, 1, v71
	v_fma_f32 v97, -v98, v101, v99
	v_cmp_eq_u32_e64 s17, 2, v71
	v_cmp_eq_u32_e64 s15, 3, v72
	v_cndmask_b32_e64 v94, v94, v96, s8
	v_cmp_eq_u32_e64 s19, 3, v71
	v_div_fmas_f32 v95, v97, v103, v101
	v_cmp_eq_u32_e32 vcc_lo, 3, v70
	v_cmp_eq_u32_e64 s4, 4, v70
	v_cmp_eq_u32_e64 s20, 4, v72
	;; [unrolled: 1-line block ×3, first 2 shown]
	v_div_fixup_f32 v95, v95, v74, 1.0
	v_lshlrev_b32_e32 v73, 6, v68
	v_cmp_eq_u32_e64 s7, 5, v70
	v_cmp_eq_u32_e64 s21, 5, v72
	;; [unrolled: 1-line block ×3, first 2 shown]
	v_mul_f32_e32 v102, v94, v95
	v_lshl_or_b32 v75, v69, 11, v73
	v_or_b32_e32 v69, 2, v70
	v_cmp_eq_u32_e64 s26, 6, v72
	v_cmp_eq_u32_e64 s28, 6, v71
	v_fma_mixlo_f16 v94, v102, v79, 0
	v_fma_mixlo_f16 v95, v102, v81, 0
	;; [unrolled: 1-line block ×8, first 2 shown]
	v_lshl_or_b32 v74, v66, 4, v75
	v_fma_mixhi_f16 v94, v102, v78, 0
	v_fma_mixhi_f16 v95, v102, v80, 0
	;; [unrolled: 1-line block ×8, first 2 shown]
	ds_store_b128 v74, v[94:97]
	ds_store_b128 v74, v[98:101] offset:1024
	s_waitcnt lgkmcnt(0)
	s_barrier
	buffer_gl0_inv
	ds_load_b128 v[78:81], v75
	ds_load_b128 v[82:85], v75 offset:16
	ds_load_b128 v[86:89], v75 offset:1024
	;; [unrolled: 1-line block ×3, first 2 shown]
	v_cmp_eq_u32_e64 s11, 1, v69
	v_cmp_eq_u32_e64 s16, 2, v69
	;; [unrolled: 1-line block ×11, first 2 shown]
	s_waitcnt lgkmcnt(3)
	v_lshrrev_b32_e32 v94, 16, v78
	s_waitcnt lgkmcnt(2)
	v_lshrrev_b32_e32 v98, 16, v82
	;; [unrolled: 2-line block ×4, first 2 shown]
	v_lshrrev_b32_e32 v95, 16, v79
	v_cndmask_b32_e64 v110, v78, v94, s5
	v_cndmask_b32_e64 v111, v82, v98, s5
	;; [unrolled: 1-line block ×8, first 2 shown]
	v_lshrrev_b32_e32 v99, 16, v83
	v_cndmask_b32_e64 v94, v86, v102, s5
	v_cndmask_b32_e64 v98, v90, v106, s5
	;; [unrolled: 1-line block ×15, first 2 shown]
	v_lshrrev_b32_e32 v103, 16, v87
	v_lshrrev_b32_e32 v107, 16, v91
	v_cndmask_b32_e64 v113, v115, v83, s16
	v_cndmask_b32_e64 v82, v94, v87, s6
	;; [unrolled: 1-line block ×7, first 2 shown]
	v_cndmask_b32_e32 v90, v102, v95, vcc_lo
	v_cndmask_b32_e32 v102, v106, v99, vcc_lo
	v_cndmask_b32_e64 v106, v110, v95, s15
	v_cndmask_b32_e64 v110, v111, v99, s15
	;; [unrolled: 1-line block ×4, first 2 shown]
	v_lshrrev_b32_e32 v96, 16, v80
	v_lshrrev_b32_e32 v100, 16, v84
	v_cndmask_b32_e64 v111, v112, v95, s18
	v_cndmask_b32_e64 v112, v113, v99, s18
	v_cndmask_b32_e32 v82, v82, v103, vcc_lo
	v_cndmask_b32_e32 v83, v83, v107, vcc_lo
	v_cndmask_b32_e64 v94, v94, v103, s15
	v_cndmask_b32_e64 v90, v90, v80, s4
	;; [unrolled: 1-line block ×7, first 2 shown]
	v_lshrrev_b32_e32 v104, 16, v88
	v_cndmask_b32_e64 v106, v111, v80, s22
	v_cndmask_b32_e64 v110, v112, v84, s22
	;; [unrolled: 1-line block ×11, first 2 shown]
	v_lshrrev_b32_e32 v97, 16, v81
	v_lshrrev_b32_e32 v101, 16, v85
	v_cndmask_b32_e64 v99, v106, v96, s24
	v_cndmask_b32_e64 v102, v110, v100, s24
	;; [unrolled: 1-line block ×7, first 2 shown]
	v_lshrrev_b32_e32 v105, 16, v89
	v_cndmask_b32_e64 v80, v80, v104, s7
	v_cndmask_b32_e64 v84, v84, v81, s8
	;; [unrolled: 1-line block ×16, first 2 shown]
	v_perm_b32 v81, v79, v78, 0x5040100
	v_perm_b32 v79, v95, v85, 0x5040100
	v_cndmask_b32_e64 v78, v119, v91, s16
	v_cndmask_b32_e64 v85, v117, v91, s13
	;; [unrolled: 1-line block ×3, first 2 shown]
	v_perm_b32 v80, v94, v90, 0x5040100
	v_cndmask_b32_e64 v90, v98, v103, s18
	v_cndmask_b32_e64 v86, v86, v103, s19
	;; [unrolled: 1-line block ×5, first 2 shown]
	v_lshrrev_b32_e32 v108, 16, v92
	v_cndmask_b32_e64 v90, v90, v88, s22
	v_cndmask_b32_e64 v86, v86, v88, s23
	;; [unrolled: 1-line block ×11, first 2 shown]
	v_lshrrev_b32_e32 v109, 16, v93
	v_cndmask_b32_e64 v82, v82, v93, s8
	v_cndmask_b32_e64 v88, v88, v89, s27
	v_cndmask_b32_e64 v86, v86, v89, s28
	v_cndmask_b32_e64 v87, v87, v93, s28
	v_cndmask_b32_e64 v78, v78, v93, s27
	v_cndmask_b32_e64 v85, v85, v93, s26
	v_cndmask_b32_e64 v88, v88, v105, s29
	v_cndmask_b32_e64 v86, v86, v105, s30
	v_cndmask_b32_e64 v87, v87, v109, s30
	v_cndmask_b32_e64 v89, v78, v109, s29
	v_cndmask_b32_e64 v90, v85, v109, s31
	v_cndmask_b32_e64 v82, v82, v109, s9
	v_perm_b32 v78, v84, v83, 0x5040100
	v_perm_b32 v85, v87, v86, 0x5040100
	;; [unrolled: 1-line block ×5, first 2 shown]
	s_mul_i32 s9, s35, 9
	s_mov_b32 s4, exec_lo
	ds_store_b128 v74, v[78:81]
	ds_store_b128 v74, v[82:85] offset:1024
	v_cmpx_gt_u32_e32 9, v0
	s_cbranch_execz .LBB1142_14
; %bb.13:
	s_mul_i32 s5, s9, s34
	s_load_b128 s[16:19], s[0:1], 0x58
	v_add3_u32 v68, s5, s33, v68
	s_delay_alu instid0(VALU_DEP_1) | instskip(NEXT) | instid1(VALU_DEP_1)
	v_mad_u64_u32 v[78:79], null, v68, s36, s[14:15]
	v_ashrrev_i32_e32 v79, 31, v78
	s_delay_alu instid0(VALU_DEP_1) | instskip(SKIP_1) | instid1(VALU_DEP_1)
	v_lshlrev_b64 v[78:79], 2, v[78:79]
	s_waitcnt lgkmcnt(0)
	v_add_co_u32 v80, vcc_lo, s18, v78
	s_delay_alu instid0(VALU_DEP_2)
	v_add_co_ci_u32_e32 v81, vcc_lo, s19, v79, vcc_lo
	v_add_co_u32 v78, vcc_lo, s16, v78
	v_add_co_ci_u32_e32 v79, vcc_lo, s17, v79, vcc_lo
	global_store_b32 v[80:81], v76, off
	global_store_b32 v[78:79], v77, off
.LBB1142_14:
	s_or_b32 exec_lo, exec_lo, s4
	s_waitcnt lgkmcnt(0)
	s_waitcnt_vscnt null, 0x0
	s_barrier
	buffer_gl0_inv
	ds_load_b128 v[84:87], v73
	ds_load_b128 v[88:91], v73 offset:16
	ds_load_b128 v[96:99], v73 offset:2064
	;; [unrolled: 1-line block ×5, first 2 shown]
	v_cmp_eq_u32_e32 vcc_lo, 1, v70
	v_mov_b32_e32 v76, 0
	ds_load_b128 v[112:115], v73 offset:6160
	ds_load_b128 v[108:111], v73 offset:6144
	;; [unrolled: 1-line block ×4, first 2 shown]
	v_cmp_eq_u32_e64 s5, 1, v69
	v_cmp_eq_u32_e64 s4, 1, v72
	;; [unrolled: 1-line block ×3, first 2 shown]
	v_mov_b32_e32 v77, v76
	v_mov_b32_e32 v78, v76
	v_mov_b32_e32 v79, v76
	v_mov_b32_e32 v80, v76
	v_mov_b32_e32 v81, v76
	v_mov_b32_e32 v82, v76
	v_mov_b32_e32 v83, v76
	v_cmp_eq_u32_e64 s7, 3, v72
	v_cmp_eq_u32_e64 s8, 7, v72
	s_waitcnt lgkmcnt(8)
	s_delay_alu instid0(VALU_DEP_3)
	v_wmma_f32_16x16x16_f16 v[76:83], v[49:56], v[84:91], v[76:83]
	ds_load_b128 v[53:56], v73 offset:10256
	ds_load_b128 v[49:52], v73 offset:10240
	s_waitcnt lgkmcnt(8)
	v_wmma_f32_16x16x16_f16 v[76:83], v[41:48], v[92:99], v[76:83]
	ds_load_b128 v[45:48], v73 offset:12304
	ds_load_b128 v[41:44], v73 offset:12288
	s_waitcnt lgkmcnt(8)
	;; [unrolled: 4-line block ×3, first 2 shown]
	s_barrier
	buffer_gl0_inv
	v_wmma_f32_16x16x16_f16 v[76:83], v[1:8], v[108:115], v[76:83]
	s_delay_alu instid0(VALU_DEP_1) | instskip(NEXT) | instid1(VALU_DEP_1)
	v_wmma_f32_16x16x16_f16 v[76:83], v[9:16], v[116:123], v[76:83]
	v_wmma_f32_16x16x16_f16 v[76:83], v[17:24], v[49:56], v[76:83]
	s_delay_alu instid0(VALU_DEP_1) | instskip(NEXT) | instid1(VALU_DEP_1)
	v_wmma_f32_16x16x16_f16 v[76:83], v[25:32], v[41:48], v[76:83]
	v_wmma_f32_16x16x16_f16 v[76:83], v[57:64], v[33:40], v[76:83]
	s_delay_alu instid0(VALU_DEP_1) | instskip(NEXT) | instid1(VALU_DEP_2)
	v_cvt_f16_f32_e32 v1, v76
	v_cvt_f16_f32_e32 v2, v77
	s_delay_alu instid0(VALU_DEP_3) | instskip(NEXT) | instid1(VALU_DEP_4)
	v_cvt_f16_f32_e32 v3, v78
	v_cvt_f16_f32_e32 v4, v79
	;; [unrolled: 1-line block ×6, first 2 shown]
	v_pack_b32_f16 v1, v1, v2
	v_pack_b32_f16 v2, v3, v4
	;; [unrolled: 1-line block ×3, first 2 shown]
	s_delay_alu instid0(VALU_DEP_4)
	v_pack_b32_f16 v4, v7, v8
	ds_store_b128 v74, v[1:4]
	s_waitcnt lgkmcnt(0)
	s_barrier
	buffer_gl0_inv
	ds_load_b128 v[1:4], v75
	ds_load_b128 v[5:8], v75 offset:16
	s_waitcnt lgkmcnt(1)
	v_lshrrev_b32_e32 v9, 16, v1
	s_waitcnt lgkmcnt(0)
	v_lshrrev_b32_e32 v13, 16, v5
	v_lshrrev_b32_e32 v10, 16, v2
	;; [unrolled: 1-line block ×4, first 2 shown]
	v_cndmask_b32_e32 v17, v1, v9, vcc_lo
	v_cndmask_b32_e32 v18, v5, v13, vcc_lo
	v_cndmask_b32_e64 v21, v1, v9, s5
	v_cmp_eq_u32_e32 vcc_lo, 1, v71
	v_cndmask_b32_e64 v22, v5, v13, s5
	v_cmp_eq_u32_e64 s5, 2, v70
	v_cndmask_b32_e64 v19, v1, v9, s4
	v_cndmask_b32_e64 v20, v5, v13, s4
	v_cndmask_b32_e32 v1, v1, v9, vcc_lo
	v_cmp_eq_u32_e64 s4, 2, v71
	v_cndmask_b32_e32 v5, v5, v13, vcc_lo
	v_cndmask_b32_e64 v9, v17, v2, s5
	v_cmp_eq_u32_e32 vcc_lo, 3, v70
	v_cndmask_b32_e64 v13, v18, v6, s5
	v_cmp_eq_u32_e64 s5, 2, v69
	v_cndmask_b32_e64 v17, v19, v2, s6
	v_cndmask_b32_e64 v18, v20, v6, s6
	v_cmp_eq_u32_e64 s6, 3, v69
	v_cndmask_b32_e64 v1, v1, v2, s4
	v_cndmask_b32_e64 v19, v21, v2, s5
	;; [unrolled: 1-line block ×4, first 2 shown]
	v_cndmask_b32_e32 v5, v9, v10, vcc_lo
	v_cndmask_b32_e32 v6, v13, v14, vcc_lo
	v_cmp_eq_u32_e32 vcc_lo, 3, v71
	v_cndmask_b32_e64 v9, v17, v10, s7
	v_cndmask_b32_e64 v13, v18, v14, s7
	;; [unrolled: 1-line block ×3, first 2 shown]
	v_cmp_eq_u32_e64 s5, 4, v70
	v_cndmask_b32_e32 v1, v1, v10, vcc_lo
	v_cndmask_b32_e32 v2, v2, v14, vcc_lo
	v_cmp_eq_u32_e32 vcc_lo, 4, v72
	v_lshrrev_b32_e32 v15, 16, v7
	v_lshrrev_b32_e32 v16, 16, v8
	v_cndmask_b32_e64 v17, v19, v10, s6
	v_cmp_eq_u32_e64 s4, 4, v71
	v_cndmask_b32_e64 v5, v5, v3, s5
	v_cndmask_b32_e64 v6, v6, v7, s5
	v_cndmask_b32_e32 v9, v9, v3, vcc_lo
	v_cmp_eq_u32_e64 s5, 5, v72
	v_cndmask_b32_e32 v10, v13, v7, vcc_lo
	v_cmp_eq_u32_e32 vcc_lo, 4, v69
	v_cmp_eq_u32_e64 s6, 5, v70
	v_cndmask_b32_e64 v2, v2, v7, s4
	v_cndmask_b32_e64 v9, v9, v11, s5
	;; [unrolled: 1-line block ×3, first 2 shown]
	v_cndmask_b32_e32 v13, v17, v3, vcc_lo
	v_cmp_eq_u32_e64 s5, 5, v69
	v_cndmask_b32_e32 v14, v18, v7, vcc_lo
	v_cndmask_b32_e64 v1, v1, v3, s4
	v_cmp_eq_u32_e32 vcc_lo, 5, v71
	v_lshrrev_b32_e32 v12, 16, v4
	v_cndmask_b32_e64 v13, v13, v11, s5
	v_cndmask_b32_e64 v3, v14, v15, s5
	v_cmp_eq_u32_e64 s5, 6, v71
	v_cndmask_b32_e32 v1, v1, v11, vcc_lo
	v_cndmask_b32_e64 v5, v5, v11, s6
	v_cmp_eq_u32_e64 s7, 6, v70
	v_cndmask_b32_e64 v6, v6, v15, s6
	v_cmp_eq_u32_e64 s6, 6, v72
	v_cmp_eq_u32_e64 s4, 6, v69
	v_cndmask_b32_e64 v1, v1, v4, s5
	v_cndmask_b32_e32 v2, v2, v15, vcc_lo
	v_cmp_eq_u32_e32 vcc_lo, 7, v71
	v_cndmask_b32_e64 v5, v5, v4, s7
	v_cndmask_b32_e64 v9, v9, v4, s6
	v_cndmask_b32_e64 v6, v6, v8, s7
	v_cmp_eq_u32_e64 s7, 7, v70
	v_cndmask_b32_e32 v1, v1, v12, vcc_lo
	v_cndmask_b32_e64 v7, v13, v4, s4
	v_cndmask_b32_e64 v3, v3, v8, s4
	;; [unrolled: 1-line block ×3, first 2 shown]
	v_cmp_eq_u32_e64 s4, 7, v69
	v_cndmask_b32_e64 v4, v10, v8, s6
	v_cndmask_b32_e64 v5, v5, v12, s7
	;; [unrolled: 1-line block ×3, first 2 shown]
	v_cndmask_b32_e32 v2, v2, v16, vcc_lo
	v_cndmask_b32_e64 v7, v7, v12, s4
	v_cndmask_b32_e64 v3, v3, v16, s4
	;; [unrolled: 1-line block ×4, first 2 shown]
	v_cmp_gt_u32_e32 vcc_lo, 32, v0
	v_perm_b32 v4, v2, v1, 0x5040100
	v_perm_b32 v3, v3, v7, 0x5040100
	;; [unrolled: 1-line block ×4, first 2 shown]
	s_and_b32 s2, vcc_lo, s2
	ds_store_b128 v74, v[1:4]
	s_waitcnt lgkmcnt(0)
	s_barrier
	buffer_gl0_inv
	s_and_saveexec_b32 s4, s2
	s_cbranch_execz .LBB1142_2
; %bb.15:
	s_load_b64 s[4:5], s[0:1], 0x68
	v_lshlrev_b32_e32 v0, 10, v0
	v_lshlrev_b32_e32 v1, 4, v67
	s_lshl_b32 s0, s36, 6
	v_add_nc_u32_e32 v2, s33, v66
	s_mul_i32 s1, s0, s34
	s_delay_alu instid0(SALU_CYCLE_1) | instskip(SKIP_1) | instid1(VALU_DEP_2)
	s_mul_i32 s6, s1, s9
	v_and_or_b32 v0, 0x3800, v0, v1
	v_mul_lo_u32 v1, v2, s0
	s_ashr_i32 s7, s6, 31
	v_add_nc_u32_e32 v3, 2, v2
	s_lshl_b64 s[6:7], s[6:7], 1
	v_add_nc_u32_e32 v4, 4, v2
	v_add_nc_u32_e32 v5, 6, v2
	v_lshl_or_b32 v15, v66, 6, v0
	v_mul_lo_u32 v3, v3, s0
	v_ashrrev_i32_e32 v2, 31, v1
	v_mul_lo_u32 v19, v4, s0
	v_mul_lo_u32 v21, v5, s0
	s_waitcnt lgkmcnt(0)
	s_add_u32 s1, s4, s6
	s_addc_u32 s2, s5, s7
	s_lshl_b32 s4, s14, 6
	v_lshlrev_b64 v[5:6], 1, v[1:2]
	s_ashr_i32 s5, s4, 31
	v_ashrrev_i32_e32 v4, 31, v3
	s_lshl_b64 s[4:5], s[4:5], 1
	v_ashrrev_i32_e32 v20, 31, v19
	s_add_u32 s1, s1, s4
	s_addc_u32 s2, s2, s5
	v_add_co_u32 v1, s1, s1, v65
	s_delay_alu instid0(VALU_DEP_1) | instskip(SKIP_1) | instid1(VALU_DEP_3)
	v_add_co_ci_u32_e64 v2, null, s2, 0, s1
	v_lshlrev_b64 v[25:26], 1, v[3:4]
	v_add_co_u32 v23, vcc_lo, v1, v5
	s_delay_alu instid0(VALU_DEP_3)
	v_add_co_ci_u32_e32 v24, vcc_lo, v2, v6, vcc_lo
	ds_load_b128 v[3:6], v15
	ds_load_b128 v[7:10], v15 offset:128
	ds_load_b128 v[11:14], v15 offset:256
	;; [unrolled: 1-line block ×3, first 2 shown]
	v_ashrrev_i32_e32 v22, 31, v21
	v_lshlrev_b64 v[19:20], 1, v[19:20]
	v_add_co_u32 v25, vcc_lo, v1, v25
	v_add_co_ci_u32_e32 v26, vcc_lo, v2, v26, vcc_lo
	s_delay_alu instid0(VALU_DEP_4) | instskip(NEXT) | instid1(VALU_DEP_4)
	v_lshlrev_b64 v[21:22], 1, v[21:22]
	v_add_co_u32 v19, vcc_lo, v1, v19
	v_add_co_ci_u32_e32 v20, vcc_lo, v2, v20, vcc_lo
	s_delay_alu instid0(VALU_DEP_3) | instskip(NEXT) | instid1(VALU_DEP_4)
	v_add_co_u32 v21, vcc_lo, v1, v21
	v_add_co_ci_u32_e32 v22, vcc_lo, v2, v22, vcc_lo
	s_waitcnt lgkmcnt(3)
	global_store_b128 v[23:24], v[3:6], off
	s_waitcnt lgkmcnt(2)
	global_store_b128 v[25:26], v[7:10], off
	s_waitcnt lgkmcnt(1)
	global_store_b128 v[19:20], v[11:14], off
	s_waitcnt lgkmcnt(0)
	global_store_b128 v[21:22], v[15:18], off
	s_and_b32 exec_lo, exec_lo, s3
	s_cbranch_execz .LBB1142_2
; %bb.16:
	ds_load_b128 v[3:6], v0 offset:512
	s_add_i32 s1, s33, 8
	s_delay_alu instid0(SALU_CYCLE_1) | instskip(NEXT) | instid1(SALU_CYCLE_1)
	s_mul_i32 s0, s1, s0
	s_ashr_i32 s1, s0, 31
	s_delay_alu instid0(SALU_CYCLE_1) | instskip(NEXT) | instid1(SALU_CYCLE_1)
	s_lshl_b64 s[0:1], s[0:1], 1
	v_add_co_u32 v0, vcc_lo, v1, s0
	v_add_co_ci_u32_e32 v1, vcc_lo, s1, v2, vcc_lo
	s_waitcnt lgkmcnt(0)
	global_store_b128 v[0:1], v[3:6], off
	s_nop 0
	s_sendmsg sendmsg(MSG_DEALLOC_VGPRS)
	s_endpgm
	.section	.rodata,"a",@progbits
	.p2align	6, 0x0
	.amdhsa_kernel _Z39paged_attention_ll4mi_QKV_mfma16_kernelIDF16_hLN4vllm18Fp8KVCacheDataTypeE1EDF16_Li16ELi64ELi256ELb0ELi9EL8MFMAType0EEvPKT_PKT0_S8_ifPKiSA_SA_iPKfiiiPfSD_PS3_PT2_iSC_SC_
		.amdhsa_group_segment_fixed_size 17472
		.amdhsa_private_segment_fixed_size 0
		.amdhsa_kernarg_size 400
		.amdhsa_user_sgpr_count 13
		.amdhsa_user_sgpr_dispatch_ptr 0
		.amdhsa_user_sgpr_queue_ptr 0
		.amdhsa_user_sgpr_kernarg_segment_ptr 1
		.amdhsa_user_sgpr_dispatch_id 0
		.amdhsa_user_sgpr_private_segment_size 0
		.amdhsa_wavefront_size32 1
		.amdhsa_uses_dynamic_stack 0
		.amdhsa_enable_private_segment 0
		.amdhsa_system_sgpr_workgroup_id_x 1
		.amdhsa_system_sgpr_workgroup_id_y 1
		.amdhsa_system_sgpr_workgroup_id_z 1
		.amdhsa_system_sgpr_workgroup_info 0
		.amdhsa_system_vgpr_workitem_id 0
		.amdhsa_next_free_vgpr 146
		.amdhsa_next_free_sgpr 37
		.amdhsa_reserve_vcc 1
		.amdhsa_float_round_mode_32 0
		.amdhsa_float_round_mode_16_64 0
		.amdhsa_float_denorm_mode_32 3
		.amdhsa_float_denorm_mode_16_64 3
		.amdhsa_dx10_clamp 1
		.amdhsa_ieee_mode 1
		.amdhsa_fp16_overflow 0
		.amdhsa_workgroup_processor_mode 1
		.amdhsa_memory_ordered 1
		.amdhsa_forward_progress 0
		.amdhsa_shared_vgpr_count 0
		.amdhsa_exception_fp_ieee_invalid_op 0
		.amdhsa_exception_fp_denorm_src 0
		.amdhsa_exception_fp_ieee_div_zero 0
		.amdhsa_exception_fp_ieee_overflow 0
		.amdhsa_exception_fp_ieee_underflow 0
		.amdhsa_exception_fp_ieee_inexact 0
		.amdhsa_exception_int_div_zero 0
	.end_amdhsa_kernel
	.section	.text._Z39paged_attention_ll4mi_QKV_mfma16_kernelIDF16_hLN4vllm18Fp8KVCacheDataTypeE1EDF16_Li16ELi64ELi256ELb0ELi9EL8MFMAType0EEvPKT_PKT0_S8_ifPKiSA_SA_iPKfiiiPfSD_PS3_PT2_iSC_SC_,"axG",@progbits,_Z39paged_attention_ll4mi_QKV_mfma16_kernelIDF16_hLN4vllm18Fp8KVCacheDataTypeE1EDF16_Li16ELi64ELi256ELb0ELi9EL8MFMAType0EEvPKT_PKT0_S8_ifPKiSA_SA_iPKfiiiPfSD_PS3_PT2_iSC_SC_,comdat
.Lfunc_end1142:
	.size	_Z39paged_attention_ll4mi_QKV_mfma16_kernelIDF16_hLN4vllm18Fp8KVCacheDataTypeE1EDF16_Li16ELi64ELi256ELb0ELi9EL8MFMAType0EEvPKT_PKT0_S8_ifPKiSA_SA_iPKfiiiPfSD_PS3_PT2_iSC_SC_, .Lfunc_end1142-_Z39paged_attention_ll4mi_QKV_mfma16_kernelIDF16_hLN4vllm18Fp8KVCacheDataTypeE1EDF16_Li16ELi64ELi256ELb0ELi9EL8MFMAType0EEvPKT_PKT0_S8_ifPKiSA_SA_iPKfiiiPfSD_PS3_PT2_iSC_SC_
                                        ; -- End function
	.section	.AMDGPU.csdata,"",@progbits
; Kernel info:
; codeLenInByte = 6576
; NumSgprs: 39
; NumVgprs: 146
; ScratchSize: 0
; MemoryBound: 0
; FloatMode: 240
; IeeeMode: 1
; LDSByteSize: 17472 bytes/workgroup (compile time only)
; SGPRBlocks: 4
; VGPRBlocks: 18
; NumSGPRsForWavesPerEU: 39
; NumVGPRsForWavesPerEU: 146
; Occupancy: 9
; WaveLimiterHint : 1
; COMPUTE_PGM_RSRC2:SCRATCH_EN: 0
; COMPUTE_PGM_RSRC2:USER_SGPR: 13
; COMPUTE_PGM_RSRC2:TRAP_HANDLER: 0
; COMPUTE_PGM_RSRC2:TGID_X_EN: 1
; COMPUTE_PGM_RSRC2:TGID_Y_EN: 1
; COMPUTE_PGM_RSRC2:TGID_Z_EN: 1
; COMPUTE_PGM_RSRC2:TIDIG_COMP_CNT: 0
	.section	.text._Z39paged_attention_ll4mi_QKV_mfma16_kernelIDF16_hLN4vllm18Fp8KVCacheDataTypeE1EDF16_Li16ELi64ELi256ELb0ELi10EL8MFMAType0EEvPKT_PKT0_S8_ifPKiSA_SA_iPKfiiiPfSD_PS3_PT2_iSC_SC_,"axG",@progbits,_Z39paged_attention_ll4mi_QKV_mfma16_kernelIDF16_hLN4vllm18Fp8KVCacheDataTypeE1EDF16_Li16ELi64ELi256ELb0ELi10EL8MFMAType0EEvPKT_PKT0_S8_ifPKiSA_SA_iPKfiiiPfSD_PS3_PT2_iSC_SC_,comdat
	.protected	_Z39paged_attention_ll4mi_QKV_mfma16_kernelIDF16_hLN4vllm18Fp8KVCacheDataTypeE1EDF16_Li16ELi64ELi256ELb0ELi10EL8MFMAType0EEvPKT_PKT0_S8_ifPKiSA_SA_iPKfiiiPfSD_PS3_PT2_iSC_SC_ ; -- Begin function _Z39paged_attention_ll4mi_QKV_mfma16_kernelIDF16_hLN4vllm18Fp8KVCacheDataTypeE1EDF16_Li16ELi64ELi256ELb0ELi10EL8MFMAType0EEvPKT_PKT0_S8_ifPKiSA_SA_iPKfiiiPfSD_PS3_PT2_iSC_SC_
	.globl	_Z39paged_attention_ll4mi_QKV_mfma16_kernelIDF16_hLN4vllm18Fp8KVCacheDataTypeE1EDF16_Li16ELi64ELi256ELb0ELi10EL8MFMAType0EEvPKT_PKT0_S8_ifPKiSA_SA_iPKfiiiPfSD_PS3_PT2_iSC_SC_
	.p2align	8
	.type	_Z39paged_attention_ll4mi_QKV_mfma16_kernelIDF16_hLN4vllm18Fp8KVCacheDataTypeE1EDF16_Li16ELi64ELi256ELb0ELi10EL8MFMAType0EEvPKT_PKT0_S8_ifPKiSA_SA_iPKfiiiPfSD_PS3_PT2_iSC_SC_,@function
_Z39paged_attention_ll4mi_QKV_mfma16_kernelIDF16_hLN4vllm18Fp8KVCacheDataTypeE1EDF16_Li16ELi64ELi256ELb0ELi10EL8MFMAType0EEvPKT_PKT0_S8_ifPKiSA_SA_iPKfiiiPfSD_PS3_PT2_iSC_SC_: ; @_Z39paged_attention_ll4mi_QKV_mfma16_kernelIDF16_hLN4vllm18Fp8KVCacheDataTypeE1EDF16_Li16ELi64ELi256ELb0ELi10EL8MFMAType0EEvPKT_PKT0_S8_ifPKiSA_SA_iPKfiiiPfSD_PS3_PT2_iSC_SC_
; %bb.0:
	s_load_b64 s[2:3], s[0:1], 0x30
	s_mov_b32 s34, s13
	s_waitcnt lgkmcnt(0)
	s_cmp_lg_u64 s[2:3], 0
	s_cselect_b32 s6, -1, 0
	s_ashr_i32 s35, s13, 31
	s_cmp_eq_u64 s[2:3], 0
	s_cbranch_scc1 .LBB1143_3
; %bb.1:
	s_lshl_b64 s[4:5], s[34:35], 2
	s_delay_alu instid0(SALU_CYCLE_1) | instskip(SKIP_4) | instid1(SALU_CYCLE_1)
	s_add_u32 s4, s2, s4
	s_addc_u32 s5, s3, s5
	s_load_b64 s[4:5], s[4:5], 0x0
	s_waitcnt lgkmcnt(0)
	s_sub_i32 s4, s5, s4
	s_cmp_eq_u32 s4, 1
	s_cselect_b32 s4, -1, 0
	s_delay_alu instid0(SALU_CYCLE_1)
	s_and_not1_b32 vcc_lo, exec_lo, s4
	s_cbranch_vccz .LBB1143_4
.LBB1143_2:
	s_endpgm
.LBB1143_3:
.LBB1143_4:
	s_load_b64 s[8:9], s[0:1], 0x28
	s_lshl_b64 s[4:5], s[34:35], 2
	s_waitcnt lgkmcnt(0)
	s_add_u32 s8, s8, s4
	s_addc_u32 s9, s9, s5
	s_lshl_b32 s16, s14, 8
	s_load_b32 s18, s[8:9], 0x0
	s_waitcnt lgkmcnt(0)
	s_cmp_ge_i32 s16, s18
	s_cbranch_scc1 .LBB1143_2
; %bb.5:
	s_clause 0x1
	s_load_b128 s[8:11], s[0:1], 0x8
	s_load_b64 s[12:13], s[0:1], 0x20
	s_and_not1_b32 vcc_lo, exec_lo, s6
	s_cbranch_vccnz .LBB1143_7
; %bb.6:
	s_add_u32 s2, s2, s4
	s_addc_u32 s3, s3, s5
	s_load_b32 s3, s[2:3], 0x0
	s_branch .LBB1143_8
.LBB1143_7:
	s_mov_b32 s3, s34
.LBB1143_8:
	s_load_b128 s[4:7], s[0:1], 0x48
	v_and_b32_e32 v68, 15, v0
	v_cmp_gt_u32_e32 vcc_lo, 0xa0, v0
	v_lshrrev_b32_e32 v69, 5, v0
	v_and_b32_e32 v70, 31, v0
	v_and_b32_e32 v67, 1, v0
	v_lshlrev_b32_e32 v1, 3, v68
	v_cmp_gt_u32_e64 s2, 8, v68
	v_bfe_u32 v66, v0, 4, 1
	s_mul_i32 s31, s15, 10
	s_delay_alu instid0(VALU_DEP_3) | instskip(NEXT) | instid1(VALU_DEP_3)
	v_lshlrev_b32_e32 v65, 1, v1
	s_and_b32 s17, vcc_lo, s2
	s_waitcnt lgkmcnt(0)
	s_and_saveexec_b32 s7, s17
	s_cbranch_execz .LBB1143_10
; %bb.9:
	s_load_b64 s[20:21], s[0:1], 0x0
	v_lshl_or_b32 v5, v69, 1, v66
	s_mul_hi_i32 s23, s3, s4
	s_mul_i32 s22, s3, s4
	v_lshlrev_b32_e32 v6, 10, v68
	s_lshl_b64 s[22:23], s[22:23], 1
	v_add_lshl_u32 v1, v5, s31, 6
	v_lshlrev_b32_e32 v5, 6, v5
	v_lshlrev_b32_e32 v7, 10, v67
	v_and_b32_e32 v6, 0x3800, v6
	s_delay_alu instid0(VALU_DEP_4) | instskip(NEXT) | instid1(VALU_DEP_2)
	v_ashrrev_i32_e32 v2, 31, v1
	v_or3_b32 v5, v6, v7, v5
	s_delay_alu instid0(VALU_DEP_2) | instskip(SKIP_3) | instid1(VALU_DEP_1)
	v_lshlrev_b64 v[1:2], 1, v[1:2]
	s_waitcnt lgkmcnt(0)
	s_add_u32 s3, s20, s22
	s_addc_u32 s4, s21, s23
	v_add_co_u32 v1, vcc_lo, s3, v1
	s_delay_alu instid0(VALU_DEP_2) | instskip(NEXT) | instid1(VALU_DEP_2)
	v_add_co_ci_u32_e32 v2, vcc_lo, s4, v2, vcc_lo
	v_add_co_u32 v1, vcc_lo, v1, v65
	s_delay_alu instid0(VALU_DEP_2)
	v_add_co_ci_u32_e32 v2, vcc_lo, 0, v2, vcc_lo
	global_load_b128 v[1:4], v[1:2], off
	s_waitcnt vmcnt(0)
	ds_store_b128 v5, v[1:4]
.LBB1143_10:
	s_or_b32 exec_lo, exec_lo, s7
	v_and_b32_e32 v1, 0xef, v0
	s_add_i32 s3, s18, 15
	s_clause 0x1
	s_load_b32 s4, s[0:1], 0x38
	s_load_b32 s33, s[0:1], 0x98
	s_ashr_i32 s7, s3, 31
	v_add_nc_u32_e32 v1, s16, v1
	s_lshr_b32 s7, s7, 28
	s_load_b32 s19, s[0:1], 0x1c
	v_add_nc_u32_e32 v103, -10, v68
	s_add_i32 s3, s3, s7
	v_ashrrev_i32_e32 v2, 31, v1
	v_or_b32_e32 v3, 16, v1
	s_ashr_i32 s3, s3, 4
	v_cmp_gt_i32_e32 vcc_lo, s18, v1
	s_add_i32 s3, s3, -1
	v_lshrrev_b32_e32 v2, 28, v2
	s_waitcnt lgkmcnt(0)
	s_barrier
	buffer_gl0_inv
	s_mul_i32 s15, s15, s6
	v_add_nc_u32_e32 v4, v1, v2
	v_mbcnt_lo_u32_b32 v127, -1, 0
	s_mul_i32 s20, s34, s4
	s_delay_alu instid0(SALU_CYCLE_1) | instskip(NEXT) | instid1(VALU_DEP_2)
	s_ashr_i32 s21, s20, 31
	v_ashrrev_i32_e32 v4, 4, v4
	v_add_nc_u32_e32 v2, v3, v2
	s_lshl_b64 s[20:21], s[20:21], 2
	v_xor_b32_e32 v128, 16, v127
	s_add_u32 s17, s12, s20
	v_cndmask_b32_e32 v1, s3, v4, vcc_lo
	v_ashrrev_i32_e32 v2, 4, v2
	v_cmp_gt_i32_e32 vcc_lo, s18, v3
	s_addc_u32 s13, s13, s21
	s_ashr_i32 s20, s15, 31
	s_add_u32 s4, s8, s15
	s_addc_u32 s12, s9, s20
	v_cndmask_b32_e32 v3, s3, v2, vcc_lo
	v_ashrrev_i32_e32 v2, 31, v1
	s_lshl_b32 s6, s14, 4
	s_delay_alu instid0(SALU_CYCLE_1) | instskip(NEXT) | instid1(VALU_DEP_2)
	s_ashr_i32 s7, s6, 31
	v_ashrrev_i32_e32 v4, 31, v3
	s_delay_alu instid0(VALU_DEP_2) | instskip(SKIP_1) | instid1(SALU_CYCLE_1)
	v_lshlrev_b64 v[1:2], 2, v[1:2]
	s_lshl_b64 s[6:7], s[6:7], 2
	s_add_u32 s6, s17, s6
	s_delay_alu instid0(VALU_DEP_2) | instskip(SKIP_1) | instid1(VALU_DEP_2)
	v_lshlrev_b64 v[3:4], 2, v[3:4]
	s_addc_u32 s7, s13, s7
	v_add_co_u32 v1, vcc_lo, s17, v1
	v_add_co_ci_u32_e32 v2, vcc_lo, s13, v2, vcc_lo
	s_delay_alu instid0(VALU_DEP_3) | instskip(NEXT) | instid1(VALU_DEP_4)
	v_add_co_u32 v3, vcc_lo, s17, v3
	v_add_co_ci_u32_e32 v4, vcc_lo, s13, v4, vcc_lo
	s_clause 0x1
	global_load_b32 v5, v[1:2], off
	global_load_b32 v7, v[3:4], off
	s_or_b32 s8, s16, 32
	v_lshlrev_b32_e32 v1, 4, v0
	s_ashr_i32 s9, s8, 4
	s_cmp_lt_i32 s8, s18
	v_cmp_gt_u32_e32 vcc_lo, 10, v68
	s_cselect_b32 s8, s9, s3
	v_and_b32_e32 v1, 0xf0, v1
	s_ashr_i32 s9, s8, 31
	s_delay_alu instid0(SALU_CYCLE_1)
	s_lshl_b64 s[8:9], s[8:9], 2
	v_cndmask_b32_e32 v103, v103, v68, vcc_lo
	s_add_u32 s8, s17, s8
	s_addc_u32 s9, s13, s9
	s_or_b32 s21, s16, 64
	v_add_co_u32 v1, s4, s4, v1
	s_ashr_i32 s22, s21, 4
	s_cmp_lt_i32 s21, s18
	v_add_co_ci_u32_e64 v2, null, s12, 0, s4
	s_cselect_b32 s22, s22, s3
	v_cmp_gt_i32_e32 vcc_lo, 32, v128
	s_ashr_i32 s23, s22, 31
	v_lshlrev_b32_e32 v115, 6, v103
	s_lshl_b64 s[22:23], s[22:23], 2
	v_cndmask_b32_e32 v136, v127, v128, vcc_lo
	s_add_u32 s22, s17, s22
	s_addc_u32 s23, s13, s23
	s_or_b32 s21, s16, 0x60
	s_delay_alu instid0(SALU_CYCLE_1) | instskip(SKIP_2) | instid1(SALU_CYCLE_1)
	s_ashr_i32 s24, s21, 4
	s_cmp_lt_i32 s21, s18
	s_cselect_b32 s24, s24, s3
	s_ashr_i32 s25, s24, 31
	s_delay_alu instid0(SALU_CYCLE_1) | instskip(NEXT) | instid1(SALU_CYCLE_1)
	s_lshl_b64 s[24:25], s[24:25], 2
	s_add_u32 s24, s17, s24
	s_addc_u32 s25, s13, s25
	s_or_b32 s21, s16, 0x80
	s_delay_alu instid0(SALU_CYCLE_1) | instskip(SKIP_2) | instid1(SALU_CYCLE_1)
	s_ashr_i32 s26, s21, 4
	s_cmp_lt_i32 s21, s18
	s_cselect_b32 s26, s26, s3
	s_ashr_i32 s27, s26, 31
	s_delay_alu instid0(SALU_CYCLE_1) | instskip(NEXT) | instid1(SALU_CYCLE_1)
	s_lshl_b64 s[26:27], s[26:27], 2
	s_add_u32 s26, s17, s26
	s_addc_u32 s27, s13, s27
	s_or_b32 s21, s16, 0xa0
	s_delay_alu instid0(SALU_CYCLE_1) | instskip(SKIP_2) | instid1(SALU_CYCLE_1)
	s_ashr_i32 s28, s21, 4
	s_cmp_lt_i32 s21, s18
	s_cselect_b32 s28, s28, s3
	s_ashr_i32 s29, s28, 31
	s_delay_alu instid0(SALU_CYCLE_1) | instskip(NEXT) | instid1(SALU_CYCLE_1)
	s_lshl_b64 s[28:29], s[28:29], 2
	s_add_u32 s28, s17, s28
	s_addc_u32 s29, s13, s29
	s_clause 0x5
	s_load_b32 s12, s[6:7], 0x0
	s_load_b32 s4, s[8:9], 0x0
	;; [unrolled: 1-line block ×6, first 2 shown]
	s_or_b32 s21, s16, 0xc0
	s_delay_alu instid0(SALU_CYCLE_1) | instskip(SKIP_2) | instid1(SALU_CYCLE_1)
	s_ashr_i32 s22, s21, 4
	s_cmp_lt_i32 s21, s18
	s_cselect_b32 s22, s22, s3
	s_ashr_i32 s23, s22, 31
	s_delay_alu instid0(SALU_CYCLE_1) | instskip(NEXT) | instid1(SALU_CYCLE_1)
	s_lshl_b64 s[22:23], s[22:23], 2
	s_add_u32 s22, s17, s22
	s_addc_u32 s23, s13, s23
	s_or_b32 s21, s16, 0xe0
	s_delay_alu instid0(SALU_CYCLE_1) | instskip(SKIP_2) | instid1(SALU_CYCLE_1)
	s_ashr_i32 s24, s21, 4
	s_cmp_lt_i32 s21, s18
	s_cselect_b32 s24, s24, s3
	s_ashr_i32 s25, s24, 31
	s_delay_alu instid0(SALU_CYCLE_1)
	s_lshl_b64 s[24:25], s[24:25], 2
	s_waitcnt vmcnt(1)
	v_mad_i64_i32 v[3:4], null, v5, s5, v[1:2]
	s_waitcnt vmcnt(0)
	v_mad_i64_i32 v[5:6], null, v7, s5, v[1:2]
	v_lshlrev_b32_e32 v1, 4, v68
	s_clause 0x7
	global_load_b128 v[71:74], v[3:4], off
	global_load_b128 v[75:78], v[3:4], off offset:256
	global_load_b128 v[79:82], v[5:6], off
	global_load_b128 v[83:86], v[5:6], off offset:256
	global_load_b128 v[87:90], v[3:4], off offset:512
	;; [unrolled: 1-line block ×5, first 2 shown]
	v_lshl_or_b32 v1, v69, 8, v1
	s_load_b32 s3, s[22:23], 0x0
	s_add_u32 s22, s17, s24
	s_addc_u32 s23, s13, s25
	s_add_u32 s10, s10, s15
	s_addc_u32 s11, s11, s20
	v_add_co_u32 v1, s10, s10, v1
	s_delay_alu instid0(VALU_DEP_1) | instskip(SKIP_2) | instid1(VALU_DEP_1)
	v_add_co_ci_u32_e64 v2, null, s11, 0, s10
	s_load_b32 s10, s[22:23], 0x0
	s_waitcnt lgkmcnt(0)
	v_mad_i64_i32 v[3:4], null, s12, s5, v[1:2]
	v_mad_i64_i32 v[9:10], null, s7, s5, v[1:2]
	v_mad_i64_i32 v[5:6], null, s4, s5, v[1:2]
	v_mad_i64_i32 v[13:14], null, s8, s5, v[1:2]
	v_mad_i64_i32 v[7:8], null, s6, s5, v[1:2]
	v_mad_i64_i32 v[21:22], null, s9, s5, v[1:2]
	v_mad_i64_i32 v[29:30], null, s3, s5, v[1:2]
	s_clause 0x5
	global_load_b128 v[49:52], v[3:4], off
	global_load_b128 v[53:56], v[3:4], off offset:16
	global_load_b128 v[41:44], v[5:6], off
	global_load_b128 v[45:48], v[5:6], off offset:16
	;; [unrolled: 2-line block ×3, first 2 shown]
	s_mov_b32 s4, 0
	v_mad_i64_i32 v[61:62], null, s10, s5, v[1:2]
	s_clause 0x9
	global_load_b128 v[1:4], v[9:10], off
	global_load_b128 v[5:8], v[9:10], off offset:16
	global_load_b128 v[9:12], v[13:14], off
	global_load_b128 v[13:16], v[13:14], off offset:16
	;; [unrolled: 2-line block ×5, first 2 shown]
	s_mov_b32 s5, s4
	s_mov_b32 s6, s4
	;; [unrolled: 1-line block ×7, first 2 shown]
	v_and_b32_e32 v104, 0xe0, v0
	v_dual_mov_b32 v126, s11 :: v_dual_mov_b32 v125, s10
	v_dual_mov_b32 v124, s9 :: v_dual_mov_b32 v123, s8
	s_delay_alu instid0(VALU_DEP_3)
	v_add_nc_u32_e32 v111, s16, v104
	ds_load_b128 v[103:106], v115
	ds_load_b128 v[107:110], v115 offset:1024
	v_dual_mov_b32 v122, s7 :: v_dual_mov_b32 v121, s6
	v_mov_b32_e32 v120, s5
	v_or_b32_e32 v135, v111, v66
	ds_load_b128 v[111:114], v115 offset:2048
	ds_load_b128 v[115:118], v115 offset:3072
	v_mov_b32_e32 v119, s4
	s_waitcnt vmcnt(0) lgkmcnt(0)
	s_barrier
	v_or_b32_e32 v137, 2, v135
	v_or_b32_e32 v138, 4, v135
	;; [unrolled: 1-line block ×3, first 2 shown]
	v_cmp_gt_i32_e32 vcc_lo, s18, v135
	v_or_b32_e32 v140, 8, v135
	v_cmp_gt_i32_e64 s3, s18, v137
	v_or_b32_e32 v141, 10, v135
	v_cmp_gt_i32_e64 s4, s18, v138
	v_cmp_gt_i32_e64 s5, s18, v139
	v_or_b32_e32 v142, 12, v135
	v_or_b32_e32 v143, 14, v135
	v_cmp_gt_i32_e64 s6, s18, v140
	v_cmp_gt_i32_e64 s7, s18, v141
	v_or_b32_e32 v144, 16, v135
	v_or_b32_e32 v145, 18, v135
	v_cmp_gt_i32_e64 s8, s18, v142
	v_cmp_gt_i32_e64 s9, s18, v143
	buffer_gl0_inv
	v_cmp_gt_i32_e64 s10, s18, v144
	v_cmp_gt_i32_e64 s11, s18, v145
	v_wmma_f32_16x16x16_f16 v[127:134], v[71:78], v[103:110], v[119:126]
	v_wmma_f32_16x16x16_f16 v[119:126], v[79:86], v[103:110], v[119:126]
	v_or_b32_e32 v71, 20, v135
	v_or_b32_e32 v72, 22, v135
	s_delay_alu instid0(VALU_DEP_4)
	v_wmma_f32_16x16x16_f16 v[127:134], v[87:94], v[111:118], v[127:134]
	v_or_b32_e32 v73, 24, v135
	v_wmma_f32_16x16x16_f16 v[119:126], v[95:102], v[111:118], v[119:126]
	v_or_b32_e32 v74, 26, v135
	v_cmp_gt_i32_e64 s12, s18, v71
	v_dual_mul_f32 v83, s19, v128 :: v_dual_mul_f32 v84, s19, v127
	v_dual_mul_f32 v81, s19, v130 :: v_dual_mul_f32 v82, s19, v129
	;; [unrolled: 1-line block ×3, first 2 shown]
	s_delay_alu instid0(VALU_DEP_3) | instskip(NEXT) | instid1(VALU_DEP_4)
	v_cndmask_b32_e32 v84, 0xff7fffff, v84, vcc_lo
	v_cndmask_b32_e64 v83, 0xff7fffff, v83, s3
	v_mul_f32_e32 v80, s19, v131
	v_cndmask_b32_e64 v82, 0xff7fffff, v82, s4
	v_cndmask_b32_e64 v81, 0xff7fffff, v81, s5
	v_dual_mul_f32 v77, s19, v134 :: v_dual_mul_f32 v90, s19, v121
	v_max3_f32 v83, v84, 0xff7fffff, v83
	v_mul_f32_e32 v78, s19, v133
	v_cndmask_b32_e64 v80, 0xff7fffff, v80, s6
	v_cndmask_b32_e64 v79, 0xff7fffff, v79, s7
	v_mul_f32_e32 v91, s19, v120
	v_max3_f32 v81, v83, v82, v81
	v_cndmask_b32_e64 v78, 0xff7fffff, v78, s8
	v_cndmask_b32_e64 v77, 0xff7fffff, v77, s9
	v_mul_f32_e32 v89, s19, v122
	v_cmp_gt_i32_e64 s13, s18, v72
	v_max3_f32 v79, v81, v80, v79
	v_cndmask_b32_e64 v80, 0xff7fffff, v92, s10
	v_cndmask_b32_e64 v81, 0xff7fffff, v91, s11
	v_or_b32_e32 v75, 28, v135
	v_or_b32_e32 v76, 30, v135
	v_max3_f32 v77, v79, v78, v77
	v_dual_mul_f32 v87, s19, v124 :: v_dual_mul_f32 v88, s19, v123
	v_cndmask_b32_e64 v71, 0xff7fffff, v90, s12
	v_cndmask_b32_e64 v72, 0xff7fffff, v89, s13
	s_delay_alu instid0(VALU_DEP_4) | instskip(SKIP_3) | instid1(VALU_DEP_4)
	v_max3_f32 v77, v77, v80, v81
	v_cmp_gt_i32_e64 s15, s18, v73
	v_cmp_gt_i32_e64 s16, s18, v74
	v_dual_mul_f32 v85, s19, v126 :: v_dual_mul_f32 v86, s19, v125
	v_max3_f32 v71, v77, v71, v72
	s_delay_alu instid0(VALU_DEP_4) | instskip(NEXT) | instid1(VALU_DEP_4)
	v_cndmask_b32_e64 v73, 0xff7fffff, v88, s15
	v_cndmask_b32_e64 v74, 0xff7fffff, v87, s16
	v_cmp_gt_i32_e64 s17, s18, v75
	v_cmp_gt_i32_e64 s18, s18, v76
	s_delay_alu instid0(VALU_DEP_3) | instskip(NEXT) | instid1(VALU_DEP_3)
	v_max3_f32 v71, v71, v73, v74
	v_cndmask_b32_e64 v72, 0xff7fffff, v86, s17
	s_delay_alu instid0(VALU_DEP_3) | instskip(SKIP_1) | instid1(VALU_DEP_2)
	v_cndmask_b32_e64 v75, 0xff7fffff, v85, s18
	v_lshlrev_b32_e32 v73, 2, v136
	v_max3_f32 v71, v71, v72, v75
	ds_bpermute_b32 v72, v73, v71
	s_waitcnt lgkmcnt(0)
	v_max_f32_e32 v72, v72, v72
	s_delay_alu instid0(VALU_DEP_1) | instskip(NEXT) | instid1(VALU_DEP_1)
	v_max_f32_e32 v71, v71, v72
	v_fma_f32 v72, s19, v127, -v71
	v_fma_f32 v74, s19, v128, -v71
	;; [unrolled: 1-line block ×5, first 2 shown]
	v_mul_f32_e32 v72, 0x3fb8aa3b, v72
	s_delay_alu instid0(VALU_DEP_4) | instskip(NEXT) | instid1(VALU_DEP_4)
	v_dual_mul_f32 v74, 0x3fb8aa3b, v74 :: v_dual_mul_f32 v75, 0x3fb8aa3b, v75
	v_mul_f32_e32 v76, 0x3fb8aa3b, v76
	s_delay_alu instid0(VALU_DEP_4) | instskip(NEXT) | instid1(VALU_DEP_4)
	v_mul_f32_e32 v82, 0x3fb8aa3b, v80
	v_exp_f32_e32 v72, v72
	s_delay_alu instid0(VALU_DEP_3)
	v_exp_f32_e32 v74, v74
	v_exp_f32_e32 v75, v75
	;; [unrolled: 1-line block ×3, first 2 shown]
	v_fma_f32 v77, s19, v131, -v71
	v_exp_f32_e32 v84, v82
	v_cndmask_b32_e32 v79, 0, v72, vcc_lo
	v_cndmask_b32_e64 v78, 0, v74, s3
	s_delay_alu instid0(TRANS32_DEP_3) | instskip(SKIP_1) | instid1(TRANS32_DEP_2)
	v_cndmask_b32_e64 v81, 0, v75, s4
	v_fma_f32 v72, s19, v132, -v71
	v_cndmask_b32_e64 v80, 0, v76, s5
	v_add_f32_e32 v74, 0, v79
	s_delay_alu instid0(TRANS32_DEP_1) | instskip(SKIP_2) | instid1(VALU_DEP_3)
	v_cndmask_b32_e64 v85, 0, v84, s8
	s_mov_b32 s3, exec_lo
	v_mul_f32_e32 v72, 0x3fb8aa3b, v72
	v_add_f32_e32 v74, v74, v78
	s_delay_alu instid0(VALU_DEP_2) | instskip(NEXT) | instid1(VALU_DEP_1)
	v_exp_f32_e32 v72, v72
	v_add_f32_e32 v74, v74, v81
	s_delay_alu instid0(VALU_DEP_1) | instskip(NEXT) | instid1(VALU_DEP_1)
	v_dual_mul_f32 v77, 0x3fb8aa3b, v77 :: v_dual_add_f32 v74, v74, v80
	v_exp_f32_e32 v77, v77
	s_waitcnt_depctr 0xfff
	v_cndmask_b32_e64 v82, 0, v72, s7
	v_cndmask_b32_e64 v83, 0, v77, s6
	s_delay_alu instid0(VALU_DEP_1) | instskip(SKIP_4) | instid1(VALU_DEP_4)
	v_add_f32_e32 v72, v74, v83
	v_fma_f32 v75, s19, v134, -v71
	v_fma_f32 v76, s19, v119, -v71
	;; [unrolled: 1-line block ×4, first 2 shown]
	v_dual_add_f32 v72, v72, v82 :: v_dual_mul_f32 v75, 0x3fb8aa3b, v75
	s_delay_alu instid0(VALU_DEP_3) | instskip(NEXT) | instid1(VALU_DEP_3)
	v_dual_mul_f32 v76, 0x3fb8aa3b, v76 :: v_dual_mul_f32 v77, 0x3fb8aa3b, v77
	v_mul_f32_e32 v74, 0x3fb8aa3b, v74
	v_fma_f32 v86, s19, v122, -v71
	s_delay_alu instid0(VALU_DEP_4) | instskip(NEXT) | instid1(VALU_DEP_3)
	v_exp_f32_e32 v75, v75
	v_exp_f32_e32 v76, v76
	;; [unrolled: 1-line block ×4, first 2 shown]
	v_mul_f32_e32 v86, 0x3fb8aa3b, v86
	s_delay_alu instid0(VALU_DEP_1)
	v_exp_f32_e32 v88, v86
	v_cndmask_b32_e64 v84, 0, v75, s9
	v_fma_f32 v75, s19, v123, -v71
	v_add_f32_e32 v72, v72, v85
	v_cndmask_b32_e64 v87, 0, v76, s10
	v_fma_f32 v76, s19, v124, -v71
	s_delay_alu instid0(TRANS32_DEP_3) | instskip(NEXT) | instid1(VALU_DEP_4)
	v_cndmask_b32_e64 v86, 0, v77, s11
	v_dual_mul_f32 v75, 0x3fb8aa3b, v75 :: v_dual_add_f32 v72, v72, v84
	v_fma_f32 v77, s19, v125, -v71
	s_delay_alu instid0(VALU_DEP_4) | instskip(SKIP_1) | instid1(VALU_DEP_4)
	v_mul_f32_e32 v76, 0x3fb8aa3b, v76
	v_cndmask_b32_e64 v89, 0, v74, s12
	v_exp_f32_e32 v75, v75
	v_add_f32_e32 v72, v72, v87
	v_mul_f32_e32 v74, 0x3fb8aa3b, v77
	v_exp_f32_e32 v76, v76
	v_cndmask_b32_e64 v88, 0, v88, s13
	v_fma_f32 v77, s19, v126, -v71
	v_add_f32_e32 v72, v72, v86
	v_exp_f32_e32 v74, v74
	s_delay_alu instid0(TRANS32_DEP_3) | instskip(NEXT) | instid1(VALU_DEP_2)
	v_cndmask_b32_e64 v91, 0, v75, s15
	v_add_f32_e32 v72, v72, v89
	v_mul_f32_e32 v75, 0x3fb8aa3b, v77
	s_delay_alu instid0(TRANS32_DEP_2) | instskip(NEXT) | instid1(VALU_DEP_3)
	v_cndmask_b32_e64 v90, 0, v76, s16
	v_add_f32_e32 v72, v72, v88
	s_delay_alu instid0(VALU_DEP_3) | instskip(NEXT) | instid1(TRANS32_DEP_2)
	v_exp_f32_e32 v75, v75
	v_cndmask_b32_e64 v93, 0, v74, s17
	s_delay_alu instid0(VALU_DEP_2) | instskip(NEXT) | instid1(VALU_DEP_1)
	v_add_f32_e32 v72, v72, v91
	v_add_f32_e32 v72, v72, v90
	s_waitcnt_depctr 0xfff
	v_cndmask_b32_e64 v92, 0, v75, s18
	v_add_f32_e32 v72, v72, v93
	s_delay_alu instid0(VALU_DEP_1)
	v_add_f32_e32 v72, v72, v92
	ds_bpermute_b32 v73, v73, v72
	v_cmpx_gt_u32_e32 16, v70
	s_cbranch_execz .LBB1143_12
; %bb.11:
	v_mul_u32_u24_e32 v70, 0x44, v69
	s_waitcnt lgkmcnt(0)
	v_add_f32_e32 v72, v72, v73
	s_delay_alu instid0(VALU_DEP_2) | instskip(NEXT) | instid1(VALU_DEP_1)
	v_lshl_add_u32 v70, v68, 2, v70
	v_add_nc_u32_e32 v70, 0x4000, v70
	ds_store_2addr_b32 v70, v71, v72 offset1:136
.LBB1143_12:
	s_or_b32 exec_lo, exec_lo, s3
	v_lshlrev_b32_e32 v70, 2, v68
	s_load_b32 s35, s[0:1], 0x94
	s_waitcnt lgkmcnt(0)
	s_barrier
	buffer_gl0_inv
	v_add_nc_u32_e32 v98, 0x4000, v70
	v_cmp_eq_u32_e32 vcc_lo, 1, v69
	v_cmp_eq_u32_e64 s3, 2, v69
	v_cmp_eq_u32_e64 s4, 3, v69
	;; [unrolled: 1-line block ×3, first 2 shown]
	ds_load_2addr_b32 v[70:71], v98 offset1:17
	ds_load_2addr_b32 v[72:73], v98 offset0:34 offset1:51
	ds_load_2addr_b32 v[74:75], v98 offset0:68 offset1:85
	;; [unrolled: 1-line block ×3, first 2 shown]
	v_cmp_eq_u32_e64 s6, 5, v69
	v_cmp_eq_u32_e64 s7, 7, v69
	s_waitcnt lgkmcnt(3)
	v_max3_f32 v76, v70, 0xff7fffff, v71
	s_waitcnt lgkmcnt(2)
	s_delay_alu instid0(VALU_DEP_1) | instskip(SKIP_1) | instid1(VALU_DEP_1)
	v_max3_f32 v76, v76, v72, v73
	s_waitcnt lgkmcnt(1)
	v_max3_f32 v76, v76, v74, v75
	s_waitcnt lgkmcnt(0)
	s_delay_alu instid0(VALU_DEP_1) | instskip(NEXT) | instid1(VALU_DEP_1)
	v_max3_f32 v76, v76, v94, v95
	v_sub_f32_e32 v77, v71, v76
	ds_load_2addr_b32 v[96:97], v98 offset0:136 offset1:153
	v_sub_f32_e32 v74, v74, v76
	v_sub_f32_e32 v70, v70, v76
	v_sub_f32_e32 v94, v94, v76
	v_dual_sub_f32 v72, v72, v76 :: v_dual_mul_f32 v77, 0x3fb8aa3b, v77
	s_delay_alu instid0(VALU_DEP_4) | instskip(NEXT) | instid1(VALU_DEP_4)
	v_mul_f32_e32 v103, 0x3fb8aa3b, v74
	v_mul_f32_e32 v99, 0x3fb8aa3b, v70
	ds_load_2addr_b32 v[70:71], v98 offset0:170 offset1:187
	v_dual_mul_f32 v101, 0x3fb8aa3b, v72 :: v_dual_mul_f32 v94, 0x3fb8aa3b, v94
	v_exp_f32_e32 v102, v77
	v_exp_f32_e32 v99, v99
	s_delay_alu instid0(VALU_DEP_1) | instskip(NEXT) | instid1(VALU_DEP_1)
	v_exp_f32_e32 v101, v101
	v_exp_f32_e32 v94, v94
	s_waitcnt lgkmcnt(1)
	s_delay_alu instid0(TRANS32_DEP_3)
	v_fma_f32 v77, v99, v96, 0
	v_sub_f32_e32 v100, v73, v76
	ds_load_2addr_b32 v[72:73], v98 offset0:204 offset1:221
	v_fmac_f32_e32 v77, v102, v97
	v_exp_f32_e32 v97, v103
	s_waitcnt lgkmcnt(1)
	s_delay_alu instid0(VALU_DEP_1)
	v_dual_fmac_f32 v77, v101, v70 :: v_dual_sub_f32 v96, v75, v76
	ds_load_2addr_b32 v[74:75], v98 offset0:238 offset1:255
	v_sub_f32_e32 v70, v95, v76
	s_waitcnt lgkmcnt(0)
	s_barrier
	v_mul_f32_e32 v96, 0x3fb8aa3b, v96
	buffer_gl0_inv
	v_exp_f32_e32 v95, v96
	v_mul_f32_e32 v100, 0x3fb8aa3b, v100
	s_delay_alu instid0(VALU_DEP_1) | instskip(SKIP_3) | instid1(VALU_DEP_2)
	v_exp_f32_e32 v100, v100
	s_waitcnt_depctr 0xfff
	v_dual_fmac_f32 v77, v100, v71 :: v_dual_mul_f32 v70, 0x3fb8aa3b, v70
	v_cndmask_b32_e32 v71, v99, v102, vcc_lo
	v_fmac_f32_e32 v77, v97, v72
	s_delay_alu instid0(VALU_DEP_3) | instskip(NEXT) | instid1(VALU_DEP_1)
	v_exp_f32_e32 v96, v70
	v_fmac_f32_e32 v77, v95, v73
	s_delay_alu instid0(VALU_DEP_1) | instskip(SKIP_2) | instid1(VALU_DEP_1)
	v_fmac_f32_e32 v77, v94, v74
	s_waitcnt_depctr 0xfff
	v_fmac_f32_e32 v77, v96, v75
	v_add_f32_e32 v74, 0x358637bd, v77
	s_delay_alu instid0(VALU_DEP_1) | instskip(SKIP_1) | instid1(VALU_DEP_2)
	v_div_scale_f32 v98, null, v74, v74, 1.0
	v_div_scale_f32 v99, vcc_lo, 1.0, v74, 1.0
	v_rcp_f32_e32 v103, v98
	s_waitcnt_depctr 0xfff
	v_fma_f32 v70, -v98, v103, 1.0
	s_delay_alu instid0(VALU_DEP_1) | instskip(SKIP_2) | instid1(VALU_DEP_2)
	v_fmac_f32_e32 v103, v70, v103
	v_cndmask_b32_e64 v70, v71, v101, s3
	v_cmp_eq_u32_e64 s3, 6, v69
	v_cndmask_b32_e64 v71, v70, v100, s4
	s_delay_alu instid0(VALU_DEP_4) | instskip(NEXT) | instid1(VALU_DEP_2)
	v_dual_mul_f32 v101, v99, v103 :: v_dual_lshlrev_b32 v70, 2, v66
	v_cndmask_b32_e64 v71, v71, v97, s5
	s_delay_alu instid0(VALU_DEP_2) | instskip(NEXT) | instid1(VALU_DEP_3)
	v_or_b32_e32 v72, 1, v70
	v_fma_f32 v100, -v98, v101, v99
	v_cmp_eq_u32_e64 s4, 1, v70
	v_cmp_eq_u32_e64 s5, 2, v70
	v_cndmask_b32_e64 v95, v71, v95, s6
	v_or_b32_e32 v71, 3, v70
	v_fmac_f32_e32 v101, v100, v103
	v_cmp_eq_u32_e64 s9, 1, v72
	v_cmp_eq_u32_e64 s12, 2, v72
	v_cndmask_b32_e64 v94, v95, v94, s3
	v_cmp_eq_u32_e64 s11, 1, v71
	v_fma_f32 v97, -v98, v101, v99
	v_cmp_eq_u32_e64 s16, 2, v71
	v_cmp_eq_u32_e64 s13, 3, v72
	v_cndmask_b32_e64 v94, v94, v96, s7
	v_cmp_eq_u32_e64 s18, 3, v71
	v_div_fmas_f32 v95, v97, v103, v101
	v_cmp_eq_u32_e32 vcc_lo, 3, v70
	v_cmp_eq_u32_e64 s3, 4, v70
	v_cmp_eq_u32_e64 s19, 4, v72
	;; [unrolled: 1-line block ×3, first 2 shown]
	v_div_fixup_f32 v95, v95, v74, 1.0
	v_lshlrev_b32_e32 v73, 6, v68
	v_cmp_eq_u32_e64 s6, 5, v70
	v_cmp_eq_u32_e64 s20, 5, v72
	;; [unrolled: 1-line block ×3, first 2 shown]
	v_mul_f32_e32 v102, v94, v95
	v_lshl_or_b32 v75, v69, 11, v73
	v_or_b32_e32 v69, 2, v70
	v_cmp_eq_u32_e64 s25, 6, v72
	v_cmp_eq_u32_e64 s27, 6, v71
	v_fma_mixlo_f16 v94, v102, v79, 0
	v_fma_mixlo_f16 v95, v102, v81, 0
	;; [unrolled: 1-line block ×8, first 2 shown]
	v_lshl_or_b32 v74, v66, 4, v75
	v_fma_mixhi_f16 v94, v102, v78, 0
	v_fma_mixhi_f16 v95, v102, v80, 0
	;; [unrolled: 1-line block ×8, first 2 shown]
	ds_store_b128 v74, v[94:97]
	ds_store_b128 v74, v[98:101] offset:1024
	s_waitcnt lgkmcnt(0)
	s_barrier
	buffer_gl0_inv
	ds_load_b128 v[78:81], v75
	ds_load_b128 v[82:85], v75 offset:16
	ds_load_b128 v[86:89], v75 offset:1024
	;; [unrolled: 1-line block ×3, first 2 shown]
	v_cmp_eq_u32_e64 s10, 1, v69
	v_cmp_eq_u32_e64 s15, 2, v69
	;; [unrolled: 1-line block ×11, first 2 shown]
	s_waitcnt lgkmcnt(3)
	v_lshrrev_b32_e32 v94, 16, v78
	s_waitcnt lgkmcnt(2)
	v_lshrrev_b32_e32 v98, 16, v82
	;; [unrolled: 2-line block ×4, first 2 shown]
	v_lshrrev_b32_e32 v95, 16, v79
	v_cndmask_b32_e64 v110, v78, v94, s4
	v_cndmask_b32_e64 v111, v82, v98, s4
	;; [unrolled: 1-line block ×8, first 2 shown]
	v_lshrrev_b32_e32 v99, 16, v83
	v_cndmask_b32_e64 v94, v86, v102, s4
	v_cndmask_b32_e64 v98, v90, v106, s4
	;; [unrolled: 1-line block ×15, first 2 shown]
	v_lshrrev_b32_e32 v103, 16, v87
	v_lshrrev_b32_e32 v107, 16, v91
	v_cndmask_b32_e64 v113, v115, v83, s15
	v_cndmask_b32_e64 v82, v94, v87, s5
	;; [unrolled: 1-line block ×7, first 2 shown]
	v_cndmask_b32_e32 v90, v102, v95, vcc_lo
	v_cndmask_b32_e32 v102, v106, v99, vcc_lo
	v_cndmask_b32_e64 v106, v110, v95, s13
	v_cndmask_b32_e64 v110, v111, v99, s13
	;; [unrolled: 1-line block ×4, first 2 shown]
	v_lshrrev_b32_e32 v96, 16, v80
	v_lshrrev_b32_e32 v100, 16, v84
	v_cndmask_b32_e64 v111, v112, v95, s17
	v_cndmask_b32_e64 v112, v113, v99, s17
	v_cndmask_b32_e32 v82, v82, v103, vcc_lo
	v_cndmask_b32_e32 v83, v83, v107, vcc_lo
	v_cndmask_b32_e64 v94, v94, v103, s13
	v_cndmask_b32_e64 v90, v90, v80, s3
	;; [unrolled: 1-line block ×7, first 2 shown]
	v_lshrrev_b32_e32 v104, 16, v88
	v_cndmask_b32_e64 v106, v111, v80, s21
	v_cndmask_b32_e64 v110, v112, v84, s21
	;; [unrolled: 1-line block ×11, first 2 shown]
	v_lshrrev_b32_e32 v97, 16, v81
	v_lshrrev_b32_e32 v101, 16, v85
	v_cndmask_b32_e64 v99, v106, v96, s23
	v_cndmask_b32_e64 v102, v110, v100, s23
	;; [unrolled: 1-line block ×7, first 2 shown]
	v_lshrrev_b32_e32 v105, 16, v89
	v_cndmask_b32_e64 v80, v80, v104, s6
	v_cndmask_b32_e64 v84, v84, v81, s7
	;; [unrolled: 1-line block ×16, first 2 shown]
	v_perm_b32 v81, v79, v78, 0x5040100
	v_perm_b32 v79, v95, v85, 0x5040100
	v_cndmask_b32_e64 v78, v119, v91, s15
	v_cndmask_b32_e64 v85, v117, v91, s12
	;; [unrolled: 1-line block ×3, first 2 shown]
	v_perm_b32 v80, v94, v90, 0x5040100
	v_cndmask_b32_e64 v90, v98, v103, s17
	v_cndmask_b32_e64 v86, v86, v103, s18
	;; [unrolled: 1-line block ×5, first 2 shown]
	v_lshrrev_b32_e32 v108, 16, v92
	v_cndmask_b32_e64 v90, v90, v88, s21
	v_cndmask_b32_e64 v86, v86, v88, s22
	;; [unrolled: 1-line block ×11, first 2 shown]
	v_lshrrev_b32_e32 v109, 16, v93
	v_cndmask_b32_e64 v82, v82, v93, s7
	v_cndmask_b32_e64 v88, v88, v89, s26
	;; [unrolled: 1-line block ×12, first 2 shown]
	v_perm_b32 v78, v84, v83, 0x5040100
	v_perm_b32 v85, v87, v86, 0x5040100
	;; [unrolled: 1-line block ×5, first 2 shown]
	s_mul_i32 s8, s33, 10
	s_mov_b32 s3, exec_lo
	ds_store_b128 v74, v[78:81]
	ds_store_b128 v74, v[82:85] offset:1024
	v_cmpx_gt_u32_e32 10, v0
	s_cbranch_execz .LBB1143_14
; %bb.13:
	s_mul_i32 s4, s8, s34
	s_delay_alu instid0(SALU_CYCLE_1) | instskip(SKIP_1) | instid1(VALU_DEP_1)
	v_add3_u32 v68, s4, s31, v68
	s_load_b128 s[4:7], s[0:1], 0x58
	v_mad_u64_u32 v[78:79], null, v68, s35, s[14:15]
	s_delay_alu instid0(VALU_DEP_1) | instskip(NEXT) | instid1(VALU_DEP_1)
	v_ashrrev_i32_e32 v79, 31, v78
	v_lshlrev_b64 v[78:79], 2, v[78:79]
	s_waitcnt lgkmcnt(0)
	s_delay_alu instid0(VALU_DEP_1) | instskip(NEXT) | instid1(VALU_DEP_2)
	v_add_co_u32 v80, vcc_lo, s6, v78
	v_add_co_ci_u32_e32 v81, vcc_lo, s7, v79, vcc_lo
	v_add_co_u32 v78, vcc_lo, s4, v78
	v_add_co_ci_u32_e32 v79, vcc_lo, s5, v79, vcc_lo
	global_store_b32 v[80:81], v76, off
	global_store_b32 v[78:79], v77, off
.LBB1143_14:
	s_or_b32 exec_lo, exec_lo, s3
	s_waitcnt lgkmcnt(0)
	s_waitcnt_vscnt null, 0x0
	s_barrier
	buffer_gl0_inv
	ds_load_b128 v[84:87], v73
	ds_load_b128 v[88:91], v73 offset:16
	ds_load_b128 v[96:99], v73 offset:2064
	;; [unrolled: 1-line block ×5, first 2 shown]
	v_cmp_eq_u32_e32 vcc_lo, 1, v70
	v_mov_b32_e32 v76, 0
	ds_load_b128 v[112:115], v73 offset:6160
	ds_load_b128 v[108:111], v73 offset:6144
	;; [unrolled: 1-line block ×4, first 2 shown]
	v_cmp_eq_u32_e64 s4, 1, v69
	v_cmp_eq_u32_e64 s3, 1, v72
	;; [unrolled: 1-line block ×3, first 2 shown]
	v_mov_b32_e32 v77, v76
	v_mov_b32_e32 v78, v76
	;; [unrolled: 1-line block ×7, first 2 shown]
	v_cmp_eq_u32_e64 s6, 3, v72
	v_cmp_eq_u32_e64 s7, 7, v72
	s_waitcnt lgkmcnt(8)
	s_delay_alu instid0(VALU_DEP_3)
	v_wmma_f32_16x16x16_f16 v[76:83], v[49:56], v[84:91], v[76:83]
	ds_load_b128 v[53:56], v73 offset:10256
	ds_load_b128 v[49:52], v73 offset:10240
	s_waitcnt lgkmcnt(8)
	v_wmma_f32_16x16x16_f16 v[76:83], v[41:48], v[92:99], v[76:83]
	ds_load_b128 v[45:48], v73 offset:12304
	ds_load_b128 v[41:44], v73 offset:12288
	s_waitcnt lgkmcnt(8)
	;; [unrolled: 4-line block ×3, first 2 shown]
	s_barrier
	buffer_gl0_inv
	v_wmma_f32_16x16x16_f16 v[76:83], v[1:8], v[108:115], v[76:83]
	s_delay_alu instid0(VALU_DEP_1) | instskip(NEXT) | instid1(VALU_DEP_1)
	v_wmma_f32_16x16x16_f16 v[76:83], v[9:16], v[116:123], v[76:83]
	v_wmma_f32_16x16x16_f16 v[76:83], v[17:24], v[49:56], v[76:83]
	s_delay_alu instid0(VALU_DEP_1) | instskip(NEXT) | instid1(VALU_DEP_1)
	v_wmma_f32_16x16x16_f16 v[76:83], v[25:32], v[41:48], v[76:83]
	v_wmma_f32_16x16x16_f16 v[76:83], v[57:64], v[33:40], v[76:83]
	s_delay_alu instid0(VALU_DEP_1) | instskip(NEXT) | instid1(VALU_DEP_2)
	v_cvt_f16_f32_e32 v1, v76
	v_cvt_f16_f32_e32 v2, v77
	s_delay_alu instid0(VALU_DEP_3) | instskip(NEXT) | instid1(VALU_DEP_4)
	v_cvt_f16_f32_e32 v3, v78
	v_cvt_f16_f32_e32 v4, v79
	;; [unrolled: 1-line block ×6, first 2 shown]
	v_pack_b32_f16 v1, v1, v2
	v_pack_b32_f16 v2, v3, v4
	;; [unrolled: 1-line block ×3, first 2 shown]
	s_delay_alu instid0(VALU_DEP_4)
	v_pack_b32_f16 v4, v7, v8
	ds_store_b128 v74, v[1:4]
	s_waitcnt lgkmcnt(0)
	s_barrier
	buffer_gl0_inv
	ds_load_b128 v[1:4], v75
	ds_load_b128 v[5:8], v75 offset:16
	s_waitcnt lgkmcnt(1)
	v_lshrrev_b32_e32 v9, 16, v1
	s_waitcnt lgkmcnt(0)
	v_lshrrev_b32_e32 v13, 16, v5
	v_lshrrev_b32_e32 v10, 16, v2
	;; [unrolled: 1-line block ×4, first 2 shown]
	v_cndmask_b32_e32 v17, v1, v9, vcc_lo
	v_cndmask_b32_e32 v18, v5, v13, vcc_lo
	v_cndmask_b32_e64 v21, v1, v9, s4
	v_cmp_eq_u32_e32 vcc_lo, 1, v71
	v_cndmask_b32_e64 v22, v5, v13, s4
	v_cmp_eq_u32_e64 s4, 2, v70
	v_cndmask_b32_e64 v19, v1, v9, s3
	v_cndmask_b32_e64 v20, v5, v13, s3
	v_cndmask_b32_e32 v1, v1, v9, vcc_lo
	v_cmp_eq_u32_e64 s3, 2, v71
	v_cndmask_b32_e32 v5, v5, v13, vcc_lo
	v_cndmask_b32_e64 v9, v17, v2, s4
	v_cmp_eq_u32_e32 vcc_lo, 3, v70
	v_cndmask_b32_e64 v13, v18, v6, s4
	v_cmp_eq_u32_e64 s4, 2, v69
	v_cndmask_b32_e64 v17, v19, v2, s5
	v_cndmask_b32_e64 v18, v20, v6, s5
	v_cmp_eq_u32_e64 s5, 3, v69
	v_cndmask_b32_e64 v1, v1, v2, s3
	v_cndmask_b32_e64 v19, v21, v2, s4
	v_cndmask_b32_e64 v20, v22, v6, s4
	v_cndmask_b32_e64 v2, v5, v6, s3
	v_cndmask_b32_e32 v5, v9, v10, vcc_lo
	v_cndmask_b32_e32 v6, v13, v14, vcc_lo
	v_cmp_eq_u32_e32 vcc_lo, 3, v71
	v_cndmask_b32_e64 v9, v17, v10, s6
	v_cndmask_b32_e64 v13, v18, v14, s6
	;; [unrolled: 1-line block ×3, first 2 shown]
	v_cmp_eq_u32_e64 s4, 4, v70
	v_cndmask_b32_e32 v1, v1, v10, vcc_lo
	v_cndmask_b32_e32 v2, v2, v14, vcc_lo
	v_cmp_eq_u32_e32 vcc_lo, 4, v72
	v_lshrrev_b32_e32 v15, 16, v7
	v_lshrrev_b32_e32 v16, 16, v8
	v_cndmask_b32_e64 v17, v19, v10, s5
	v_cmp_eq_u32_e64 s3, 4, v71
	v_cndmask_b32_e64 v5, v5, v3, s4
	v_cndmask_b32_e64 v6, v6, v7, s4
	v_cndmask_b32_e32 v9, v9, v3, vcc_lo
	v_cmp_eq_u32_e64 s4, 5, v72
	v_cndmask_b32_e32 v10, v13, v7, vcc_lo
	v_cmp_eq_u32_e32 vcc_lo, 4, v69
	v_cmp_eq_u32_e64 s5, 5, v70
	v_cndmask_b32_e64 v2, v2, v7, s3
	v_cndmask_b32_e64 v9, v9, v11, s4
	;; [unrolled: 1-line block ×3, first 2 shown]
	v_cndmask_b32_e32 v13, v17, v3, vcc_lo
	v_cmp_eq_u32_e64 s4, 5, v69
	v_cndmask_b32_e32 v14, v18, v7, vcc_lo
	v_cndmask_b32_e64 v1, v1, v3, s3
	v_cmp_eq_u32_e32 vcc_lo, 5, v71
	v_lshrrev_b32_e32 v12, 16, v4
	v_cndmask_b32_e64 v13, v13, v11, s4
	v_cndmask_b32_e64 v3, v14, v15, s4
	v_cmp_eq_u32_e64 s4, 6, v71
	v_cndmask_b32_e32 v1, v1, v11, vcc_lo
	v_cndmask_b32_e64 v5, v5, v11, s5
	v_cmp_eq_u32_e64 s6, 6, v70
	v_cndmask_b32_e64 v6, v6, v15, s5
	v_cmp_eq_u32_e64 s5, 6, v72
	v_cmp_eq_u32_e64 s3, 6, v69
	v_cndmask_b32_e64 v1, v1, v4, s4
	v_cndmask_b32_e32 v2, v2, v15, vcc_lo
	v_cmp_eq_u32_e32 vcc_lo, 7, v71
	v_cndmask_b32_e64 v5, v5, v4, s6
	v_cndmask_b32_e64 v9, v9, v4, s5
	;; [unrolled: 1-line block ×3, first 2 shown]
	v_cmp_eq_u32_e64 s6, 7, v70
	v_cndmask_b32_e32 v1, v1, v12, vcc_lo
	v_cndmask_b32_e64 v7, v13, v4, s3
	v_cndmask_b32_e64 v3, v3, v8, s3
	;; [unrolled: 1-line block ×3, first 2 shown]
	v_cmp_eq_u32_e64 s3, 7, v69
	v_cndmask_b32_e64 v4, v10, v8, s5
	v_cndmask_b32_e64 v5, v5, v12, s6
	;; [unrolled: 1-line block ×3, first 2 shown]
	v_cndmask_b32_e32 v2, v2, v16, vcc_lo
	v_cndmask_b32_e64 v7, v7, v12, s3
	v_cndmask_b32_e64 v3, v3, v16, s3
	;; [unrolled: 1-line block ×4, first 2 shown]
	v_cmp_gt_u32_e32 vcc_lo, 32, v0
	v_perm_b32 v4, v2, v1, 0x5040100
	v_perm_b32 v3, v3, v7, 0x5040100
	;; [unrolled: 1-line block ×4, first 2 shown]
	s_and_b32 s2, vcc_lo, s2
	ds_store_b128 v74, v[1:4]
	s_waitcnt lgkmcnt(0)
	s_barrier
	buffer_gl0_inv
	s_and_saveexec_b32 s3, s2
	s_cbranch_execz .LBB1143_2
; %bb.15:
	s_load_b64 s[0:1], s[0:1], 0x68
	s_lshl_b32 s4, s35, 6
	v_or_b32_e32 v2, s31, v66
	s_mul_i32 s2, s4, s34
	v_lshlrev_b32_e32 v0, 10, v0
	s_mul_i32 s2, s2, s8
	v_lshlrev_b32_e32 v1, 4, v67
	s_ashr_i32 s3, s2, 31
	v_mul_lo_u32 v20, v2, s4
	s_lshl_b64 s[2:3], s[2:3], 1
	v_lshlrev_b32_e32 v3, 6, v66
	v_and_b32_e32 v0, 0x3800, v0
	s_delay_alu instid0(VALU_DEP_1) | instskip(NEXT) | instid1(VALU_DEP_4)
	v_or3_b32 v16, v0, v1, v3
	v_ashrrev_i32_e32 v21, 31, v20
	ds_load_b128 v[0:3], v16
	ds_load_b128 v[4:7], v16 offset:128
	s_waitcnt lgkmcnt(0)
	s_add_u32 s2, s0, s2
	s_addc_u32 s3, s1, s3
	s_lshl_b32 s0, s14, 6
	ds_load_b128 v[8:11], v16 offset:256
	ds_load_b128 v[12:15], v16 offset:384
	;; [unrolled: 1-line block ×3, first 2 shown]
	s_ashr_i32 s1, s0, 31
	s_delay_alu instid0(SALU_CYCLE_1) | instskip(NEXT) | instid1(SALU_CYCLE_1)
	s_lshl_b64 s[0:1], s[0:1], 1
	s_add_u32 s0, s2, s0
	s_addc_u32 s1, s3, s1
	s_lshl_b32 s2, s35, 7
	v_add_co_u32 v30, s0, s0, v65
	v_add_nc_u32_e32 v22, s2, v20
	v_lshlrev_b64 v[20:21], 1, v[20:21]
	v_add_co_ci_u32_e64 v31, null, s1, 0, s0
	s_delay_alu instid0(VALU_DEP_3) | instskip(SKIP_1) | instid1(VALU_DEP_4)
	v_add_nc_u32_e32 v24, s2, v22
	v_ashrrev_i32_e32 v23, 31, v22
	v_add_co_u32 v20, vcc_lo, v30, v20
	s_delay_alu instid0(VALU_DEP_4) | instskip(NEXT) | instid1(VALU_DEP_4)
	v_add_co_ci_u32_e32 v21, vcc_lo, v31, v21, vcc_lo
	v_add_nc_u32_e32 v26, s2, v24
	v_ashrrev_i32_e32 v25, 31, v24
	v_lshlrev_b64 v[22:23], 1, v[22:23]
	s_delay_alu instid0(VALU_DEP_3) | instskip(SKIP_1) | instid1(VALU_DEP_4)
	v_add_nc_u32_e32 v28, s2, v26
	v_ashrrev_i32_e32 v27, 31, v26
	v_lshlrev_b64 v[24:25], 1, v[24:25]
	s_delay_alu instid0(VALU_DEP_4) | instskip(NEXT) | instid1(VALU_DEP_4)
	v_add_co_u32 v22, vcc_lo, v30, v22
	v_ashrrev_i32_e32 v29, 31, v28
	s_delay_alu instid0(VALU_DEP_4) | instskip(SKIP_2) | instid1(VALU_DEP_4)
	v_lshlrev_b64 v[26:27], 1, v[26:27]
	v_add_co_ci_u32_e32 v23, vcc_lo, v31, v23, vcc_lo
	v_add_co_u32 v24, vcc_lo, v30, v24
	v_lshlrev_b64 v[28:29], 1, v[28:29]
	v_add_co_ci_u32_e32 v25, vcc_lo, v31, v25, vcc_lo
	v_add_co_u32 v26, vcc_lo, v30, v26
	v_add_co_ci_u32_e32 v27, vcc_lo, v31, v27, vcc_lo
	s_delay_alu instid0(VALU_DEP_4)
	v_add_co_u32 v28, vcc_lo, v30, v28
	v_add_co_ci_u32_e32 v29, vcc_lo, v31, v29, vcc_lo
	s_clause 0x1
	global_store_b128 v[20:21], v[0:3], off
	global_store_b128 v[22:23], v[4:7], off
	s_waitcnt lgkmcnt(2)
	global_store_b128 v[24:25], v[8:11], off
	s_waitcnt lgkmcnt(1)
	global_store_b128 v[26:27], v[12:15], off
	s_waitcnt lgkmcnt(0)
	global_store_b128 v[28:29], v[16:19], off
	s_nop 0
	s_sendmsg sendmsg(MSG_DEALLOC_VGPRS)
	s_endpgm
	.section	.rodata,"a",@progbits
	.p2align	6, 0x0
	.amdhsa_kernel _Z39paged_attention_ll4mi_QKV_mfma16_kernelIDF16_hLN4vllm18Fp8KVCacheDataTypeE1EDF16_Li16ELi64ELi256ELb0ELi10EL8MFMAType0EEvPKT_PKT0_S8_ifPKiSA_SA_iPKfiiiPfSD_PS3_PT2_iSC_SC_
		.amdhsa_group_segment_fixed_size 17472
		.amdhsa_private_segment_fixed_size 0
		.amdhsa_kernarg_size 400
		.amdhsa_user_sgpr_count 13
		.amdhsa_user_sgpr_dispatch_ptr 0
		.amdhsa_user_sgpr_queue_ptr 0
		.amdhsa_user_sgpr_kernarg_segment_ptr 1
		.amdhsa_user_sgpr_dispatch_id 0
		.amdhsa_user_sgpr_private_segment_size 0
		.amdhsa_wavefront_size32 1
		.amdhsa_uses_dynamic_stack 0
		.amdhsa_enable_private_segment 0
		.amdhsa_system_sgpr_workgroup_id_x 1
		.amdhsa_system_sgpr_workgroup_id_y 1
		.amdhsa_system_sgpr_workgroup_id_z 1
		.amdhsa_system_sgpr_workgroup_info 0
		.amdhsa_system_vgpr_workitem_id 0
		.amdhsa_next_free_vgpr 146
		.amdhsa_next_free_sgpr 36
		.amdhsa_reserve_vcc 1
		.amdhsa_float_round_mode_32 0
		.amdhsa_float_round_mode_16_64 0
		.amdhsa_float_denorm_mode_32 3
		.amdhsa_float_denorm_mode_16_64 3
		.amdhsa_dx10_clamp 1
		.amdhsa_ieee_mode 1
		.amdhsa_fp16_overflow 0
		.amdhsa_workgroup_processor_mode 1
		.amdhsa_memory_ordered 1
		.amdhsa_forward_progress 0
		.amdhsa_shared_vgpr_count 0
		.amdhsa_exception_fp_ieee_invalid_op 0
		.amdhsa_exception_fp_denorm_src 0
		.amdhsa_exception_fp_ieee_div_zero 0
		.amdhsa_exception_fp_ieee_overflow 0
		.amdhsa_exception_fp_ieee_underflow 0
		.amdhsa_exception_fp_ieee_inexact 0
		.amdhsa_exception_int_div_zero 0
	.end_amdhsa_kernel
	.section	.text._Z39paged_attention_ll4mi_QKV_mfma16_kernelIDF16_hLN4vllm18Fp8KVCacheDataTypeE1EDF16_Li16ELi64ELi256ELb0ELi10EL8MFMAType0EEvPKT_PKT0_S8_ifPKiSA_SA_iPKfiiiPfSD_PS3_PT2_iSC_SC_,"axG",@progbits,_Z39paged_attention_ll4mi_QKV_mfma16_kernelIDF16_hLN4vllm18Fp8KVCacheDataTypeE1EDF16_Li16ELi64ELi256ELb0ELi10EL8MFMAType0EEvPKT_PKT0_S8_ifPKiSA_SA_iPKfiiiPfSD_PS3_PT2_iSC_SC_,comdat
.Lfunc_end1143:
	.size	_Z39paged_attention_ll4mi_QKV_mfma16_kernelIDF16_hLN4vllm18Fp8KVCacheDataTypeE1EDF16_Li16ELi64ELi256ELb0ELi10EL8MFMAType0EEvPKT_PKT0_S8_ifPKiSA_SA_iPKfiiiPfSD_PS3_PT2_iSC_SC_, .Lfunc_end1143-_Z39paged_attention_ll4mi_QKV_mfma16_kernelIDF16_hLN4vllm18Fp8KVCacheDataTypeE1EDF16_Li16ELi64ELi256ELb0ELi10EL8MFMAType0EEvPKT_PKT0_S8_ifPKiSA_SA_iPKfiiiPfSD_PS3_PT2_iSC_SC_
                                        ; -- End function
	.section	.AMDGPU.csdata,"",@progbits
; Kernel info:
; codeLenInByte = 6540
; NumSgprs: 38
; NumVgprs: 146
; ScratchSize: 0
; MemoryBound: 0
; FloatMode: 240
; IeeeMode: 1
; LDSByteSize: 17472 bytes/workgroup (compile time only)
; SGPRBlocks: 4
; VGPRBlocks: 18
; NumSGPRsForWavesPerEU: 38
; NumVGPRsForWavesPerEU: 146
; Occupancy: 9
; WaveLimiterHint : 1
; COMPUTE_PGM_RSRC2:SCRATCH_EN: 0
; COMPUTE_PGM_RSRC2:USER_SGPR: 13
; COMPUTE_PGM_RSRC2:TRAP_HANDLER: 0
; COMPUTE_PGM_RSRC2:TGID_X_EN: 1
; COMPUTE_PGM_RSRC2:TGID_Y_EN: 1
; COMPUTE_PGM_RSRC2:TGID_Z_EN: 1
; COMPUTE_PGM_RSRC2:TIDIG_COMP_CNT: 0
	.section	.text._Z39paged_attention_ll4mi_QKV_mfma16_kernelIDF16_hLN4vllm18Fp8KVCacheDataTypeE1EDF16_Li16ELi64ELi256ELb0ELi11EL8MFMAType0EEvPKT_PKT0_S8_ifPKiSA_SA_iPKfiiiPfSD_PS3_PT2_iSC_SC_,"axG",@progbits,_Z39paged_attention_ll4mi_QKV_mfma16_kernelIDF16_hLN4vllm18Fp8KVCacheDataTypeE1EDF16_Li16ELi64ELi256ELb0ELi11EL8MFMAType0EEvPKT_PKT0_S8_ifPKiSA_SA_iPKfiiiPfSD_PS3_PT2_iSC_SC_,comdat
	.protected	_Z39paged_attention_ll4mi_QKV_mfma16_kernelIDF16_hLN4vllm18Fp8KVCacheDataTypeE1EDF16_Li16ELi64ELi256ELb0ELi11EL8MFMAType0EEvPKT_PKT0_S8_ifPKiSA_SA_iPKfiiiPfSD_PS3_PT2_iSC_SC_ ; -- Begin function _Z39paged_attention_ll4mi_QKV_mfma16_kernelIDF16_hLN4vllm18Fp8KVCacheDataTypeE1EDF16_Li16ELi64ELi256ELb0ELi11EL8MFMAType0EEvPKT_PKT0_S8_ifPKiSA_SA_iPKfiiiPfSD_PS3_PT2_iSC_SC_
	.globl	_Z39paged_attention_ll4mi_QKV_mfma16_kernelIDF16_hLN4vllm18Fp8KVCacheDataTypeE1EDF16_Li16ELi64ELi256ELb0ELi11EL8MFMAType0EEvPKT_PKT0_S8_ifPKiSA_SA_iPKfiiiPfSD_PS3_PT2_iSC_SC_
	.p2align	8
	.type	_Z39paged_attention_ll4mi_QKV_mfma16_kernelIDF16_hLN4vllm18Fp8KVCacheDataTypeE1EDF16_Li16ELi64ELi256ELb0ELi11EL8MFMAType0EEvPKT_PKT0_S8_ifPKiSA_SA_iPKfiiiPfSD_PS3_PT2_iSC_SC_,@function
_Z39paged_attention_ll4mi_QKV_mfma16_kernelIDF16_hLN4vllm18Fp8KVCacheDataTypeE1EDF16_Li16ELi64ELi256ELb0ELi11EL8MFMAType0EEvPKT_PKT0_S8_ifPKiSA_SA_iPKfiiiPfSD_PS3_PT2_iSC_SC_: ; @_Z39paged_attention_ll4mi_QKV_mfma16_kernelIDF16_hLN4vllm18Fp8KVCacheDataTypeE1EDF16_Li16ELi64ELi256ELb0ELi11EL8MFMAType0EEvPKT_PKT0_S8_ifPKiSA_SA_iPKfiiiPfSD_PS3_PT2_iSC_SC_
; %bb.0:
	s_load_b64 s[2:3], s[0:1], 0x30
	s_mov_b32 s34, s13
	s_waitcnt lgkmcnt(0)
	s_cmp_lg_u64 s[2:3], 0
	s_cselect_b32 s6, -1, 0
	s_ashr_i32 s35, s13, 31
	s_cmp_eq_u64 s[2:3], 0
	s_cbranch_scc1 .LBB1144_3
; %bb.1:
	s_lshl_b64 s[4:5], s[34:35], 2
	s_delay_alu instid0(SALU_CYCLE_1) | instskip(SKIP_4) | instid1(SALU_CYCLE_1)
	s_add_u32 s4, s2, s4
	s_addc_u32 s5, s3, s5
	s_load_b64 s[4:5], s[4:5], 0x0
	s_waitcnt lgkmcnt(0)
	s_sub_i32 s4, s5, s4
	s_cmp_eq_u32 s4, 1
	s_cselect_b32 s4, -1, 0
	s_delay_alu instid0(SALU_CYCLE_1)
	s_and_not1_b32 vcc_lo, exec_lo, s4
	s_cbranch_vccz .LBB1144_4
.LBB1144_2:
	s_nop 0
	s_sendmsg sendmsg(MSG_DEALLOC_VGPRS)
	s_endpgm
.LBB1144_3:
.LBB1144_4:
	s_load_b64 s[8:9], s[0:1], 0x28
	s_lshl_b64 s[4:5], s[34:35], 2
	s_waitcnt lgkmcnt(0)
	s_add_u32 s8, s8, s4
	s_addc_u32 s9, s9, s5
	s_lshl_b32 s16, s14, 8
	s_load_b32 s18, s[8:9], 0x0
	s_waitcnt lgkmcnt(0)
	s_cmp_ge_i32 s16, s18
	s_cbranch_scc1 .LBB1144_2
; %bb.5:
	s_clause 0x1
	s_load_b128 s[8:11], s[0:1], 0x8
	s_load_b64 s[12:13], s[0:1], 0x20
	s_and_not1_b32 vcc_lo, exec_lo, s6
	s_cbranch_vccnz .LBB1144_7
; %bb.6:
	s_add_u32 s2, s2, s4
	s_addc_u32 s3, s3, s5
	s_load_b32 s3, s[2:3], 0x0
	s_branch .LBB1144_8
.LBB1144_7:
	s_mov_b32 s3, s34
.LBB1144_8:
	s_load_b128 s[4:7], s[0:1], 0x48
	v_lshrrev_b32_e32 v69, 5, v0
	v_bfe_u32 v66, v0, 4, 1
	v_and_b32_e32 v68, 15, v0
	v_and_b32_e32 v70, 31, v0
	;; [unrolled: 1-line block ×3, first 2 shown]
	s_mul_i32 s33, s15, 11
	v_lshl_or_b32 v1, v69, 1, v66
	v_lshlrev_b32_e32 v2, 3, v68
	v_cmp_gt_u32_e64 s2, 8, v68
	s_delay_alu instid0(VALU_DEP_3) | instskip(NEXT) | instid1(VALU_DEP_3)
	v_cmp_gt_u32_e32 vcc_lo, 11, v1
	v_lshlrev_b32_e32 v65, 1, v2
	s_delay_alu instid0(VALU_DEP_3)
	s_and_b32 s17, s2, vcc_lo
	s_waitcnt lgkmcnt(0)
	s_and_saveexec_b32 s7, s17
	s_cbranch_execz .LBB1144_10
; %bb.9:
	s_load_b64 s[20:21], s[0:1], 0x0
	v_add_lshl_u32 v2, v1, s33, 6
	s_mul_hi_i32 s23, s3, s4
	s_mul_i32 s22, s3, s4
	v_lshlrev_b32_e32 v6, 10, v68
	s_lshl_b64 s[22:23], s[22:23], 1
	v_ashrrev_i32_e32 v3, 31, v2
	v_lshlrev_b32_e32 v1, 6, v1
	v_lshlrev_b32_e32 v7, 10, v67
	v_and_b32_e32 v6, 0x3800, v6
	s_delay_alu instid0(VALU_DEP_4) | instskip(NEXT) | instid1(VALU_DEP_2)
	v_lshlrev_b64 v[2:3], 1, v[2:3]
	v_or3_b32 v1, v6, v7, v1
	s_waitcnt lgkmcnt(0)
	s_add_u32 s3, s20, s22
	s_addc_u32 s4, s21, s23
	s_delay_alu instid0(VALU_DEP_2) | instskip(SKIP_1) | instid1(VALU_DEP_2)
	v_add_co_u32 v2, vcc_lo, s3, v2
	v_add_co_ci_u32_e32 v3, vcc_lo, s4, v3, vcc_lo
	v_add_co_u32 v2, vcc_lo, v2, v65
	s_delay_alu instid0(VALU_DEP_2)
	v_add_co_ci_u32_e32 v3, vcc_lo, 0, v3, vcc_lo
	global_load_b128 v[2:5], v[2:3], off
	s_waitcnt vmcnt(0)
	ds_store_b128 v1, v[2:5]
.LBB1144_10:
	s_or_b32 exec_lo, exec_lo, s7
	v_and_b32_e32 v1, 0xef, v0
	s_add_i32 s3, s18, 15
	s_clause 0x1
	s_load_b32 s4, s[0:1], 0x38
	s_load_b32 s35, s[0:1], 0x98
	s_ashr_i32 s7, s3, 31
	v_add_nc_u32_e32 v1, s16, v1
	s_lshr_b32 s7, s7, 28
	s_load_b32 s19, s[0:1], 0x1c
	v_add_nc_u32_e32 v103, -11, v68
	s_add_i32 s3, s3, s7
	v_ashrrev_i32_e32 v2, 31, v1
	v_or_b32_e32 v3, 16, v1
	s_ashr_i32 s3, s3, 4
	v_cmp_gt_i32_e32 vcc_lo, s18, v1
	s_add_i32 s3, s3, -1
	v_lshrrev_b32_e32 v2, 28, v2
	s_waitcnt lgkmcnt(0)
	s_barrier
	buffer_gl0_inv
	s_mul_i32 s15, s15, s6
	v_add_nc_u32_e32 v4, v1, v2
	v_mbcnt_lo_u32_b32 v127, -1, 0
	s_mul_i32 s20, s34, s4
	s_delay_alu instid0(SALU_CYCLE_1) | instskip(NEXT) | instid1(VALU_DEP_2)
	s_ashr_i32 s21, s20, 31
	v_ashrrev_i32_e32 v4, 4, v4
	v_add_nc_u32_e32 v2, v3, v2
	s_lshl_b64 s[20:21], s[20:21], 2
	v_xor_b32_e32 v128, 16, v127
	s_add_u32 s17, s12, s20
	v_cndmask_b32_e32 v1, s3, v4, vcc_lo
	v_ashrrev_i32_e32 v2, 4, v2
	v_cmp_gt_i32_e32 vcc_lo, s18, v3
	s_addc_u32 s13, s13, s21
	s_ashr_i32 s20, s15, 31
	s_add_u32 s4, s8, s15
	s_addc_u32 s12, s9, s20
	v_cndmask_b32_e32 v3, s3, v2, vcc_lo
	v_ashrrev_i32_e32 v2, 31, v1
	s_lshl_b32 s6, s14, 4
	s_delay_alu instid0(SALU_CYCLE_1) | instskip(NEXT) | instid1(VALU_DEP_2)
	s_ashr_i32 s7, s6, 31
	v_ashrrev_i32_e32 v4, 31, v3
	s_delay_alu instid0(VALU_DEP_2) | instskip(SKIP_1) | instid1(SALU_CYCLE_1)
	v_lshlrev_b64 v[1:2], 2, v[1:2]
	s_lshl_b64 s[6:7], s[6:7], 2
	s_add_u32 s6, s17, s6
	s_delay_alu instid0(VALU_DEP_2) | instskip(SKIP_1) | instid1(VALU_DEP_2)
	v_lshlrev_b64 v[3:4], 2, v[3:4]
	s_addc_u32 s7, s13, s7
	v_add_co_u32 v1, vcc_lo, s17, v1
	v_add_co_ci_u32_e32 v2, vcc_lo, s13, v2, vcc_lo
	s_delay_alu instid0(VALU_DEP_3) | instskip(NEXT) | instid1(VALU_DEP_4)
	v_add_co_u32 v3, vcc_lo, s17, v3
	v_add_co_ci_u32_e32 v4, vcc_lo, s13, v4, vcc_lo
	s_clause 0x1
	global_load_b32 v5, v[1:2], off
	global_load_b32 v7, v[3:4], off
	s_or_b32 s8, s16, 32
	v_lshlrev_b32_e32 v1, 4, v0
	s_ashr_i32 s9, s8, 4
	s_cmp_lt_i32 s8, s18
	v_cmp_gt_u32_e32 vcc_lo, 11, v68
	s_cselect_b32 s8, s9, s3
	v_and_b32_e32 v1, 0xf0, v1
	s_ashr_i32 s9, s8, 31
	s_delay_alu instid0(SALU_CYCLE_1)
	s_lshl_b64 s[8:9], s[8:9], 2
	v_cndmask_b32_e32 v103, v103, v68, vcc_lo
	s_add_u32 s8, s17, s8
	s_addc_u32 s9, s13, s9
	s_or_b32 s21, s16, 64
	v_add_co_u32 v1, s4, s4, v1
	s_ashr_i32 s22, s21, 4
	s_cmp_lt_i32 s21, s18
	v_add_co_ci_u32_e64 v2, null, s12, 0, s4
	s_cselect_b32 s22, s22, s3
	v_cmp_gt_i32_e32 vcc_lo, 32, v128
	s_ashr_i32 s23, s22, 31
	v_lshlrev_b32_e32 v115, 6, v103
	s_lshl_b64 s[22:23], s[22:23], 2
	v_cndmask_b32_e32 v136, v127, v128, vcc_lo
	s_add_u32 s22, s17, s22
	s_addc_u32 s23, s13, s23
	s_or_b32 s21, s16, 0x60
	s_delay_alu instid0(SALU_CYCLE_1) | instskip(SKIP_2) | instid1(SALU_CYCLE_1)
	s_ashr_i32 s24, s21, 4
	s_cmp_lt_i32 s21, s18
	s_cselect_b32 s24, s24, s3
	s_ashr_i32 s25, s24, 31
	s_delay_alu instid0(SALU_CYCLE_1) | instskip(NEXT) | instid1(SALU_CYCLE_1)
	s_lshl_b64 s[24:25], s[24:25], 2
	s_add_u32 s24, s17, s24
	s_addc_u32 s25, s13, s25
	s_or_b32 s21, s16, 0x80
	s_delay_alu instid0(SALU_CYCLE_1) | instskip(SKIP_2) | instid1(SALU_CYCLE_1)
	s_ashr_i32 s26, s21, 4
	s_cmp_lt_i32 s21, s18
	s_cselect_b32 s26, s26, s3
	s_ashr_i32 s27, s26, 31
	s_delay_alu instid0(SALU_CYCLE_1) | instskip(NEXT) | instid1(SALU_CYCLE_1)
	s_lshl_b64 s[26:27], s[26:27], 2
	;; [unrolled: 10-line block ×3, first 2 shown]
	s_add_u32 s28, s17, s28
	s_addc_u32 s29, s13, s29
	s_clause 0x5
	s_load_b32 s12, s[6:7], 0x0
	s_load_b32 s4, s[8:9], 0x0
	s_load_b32 s6, s[22:23], 0x0
	s_load_b32 s7, s[24:25], 0x0
	s_load_b32 s8, s[26:27], 0x0
	s_load_b32 s9, s[28:29], 0x0
	s_or_b32 s21, s16, 0xc0
	s_delay_alu instid0(SALU_CYCLE_1) | instskip(SKIP_2) | instid1(SALU_CYCLE_1)
	s_ashr_i32 s22, s21, 4
	s_cmp_lt_i32 s21, s18
	s_cselect_b32 s22, s22, s3
	s_ashr_i32 s23, s22, 31
	s_delay_alu instid0(SALU_CYCLE_1) | instskip(NEXT) | instid1(SALU_CYCLE_1)
	s_lshl_b64 s[22:23], s[22:23], 2
	s_add_u32 s22, s17, s22
	s_addc_u32 s23, s13, s23
	s_or_b32 s21, s16, 0xe0
	s_delay_alu instid0(SALU_CYCLE_1) | instskip(SKIP_2) | instid1(SALU_CYCLE_1)
	s_ashr_i32 s24, s21, 4
	s_cmp_lt_i32 s21, s18
	s_cselect_b32 s24, s24, s3
	s_ashr_i32 s25, s24, 31
	s_delay_alu instid0(SALU_CYCLE_1)
	s_lshl_b64 s[24:25], s[24:25], 2
	s_waitcnt vmcnt(1)
	v_mad_i64_i32 v[3:4], null, v5, s5, v[1:2]
	s_waitcnt vmcnt(0)
	v_mad_i64_i32 v[5:6], null, v7, s5, v[1:2]
	v_lshlrev_b32_e32 v1, 4, v68
	s_clause 0x7
	global_load_b128 v[71:74], v[3:4], off
	global_load_b128 v[75:78], v[3:4], off offset:256
	global_load_b128 v[79:82], v[5:6], off
	global_load_b128 v[83:86], v[5:6], off offset:256
	global_load_b128 v[87:90], v[3:4], off offset:512
	;; [unrolled: 1-line block ×5, first 2 shown]
	v_lshl_or_b32 v1, v69, 8, v1
	s_load_b32 s3, s[22:23], 0x0
	s_add_u32 s22, s17, s24
	s_addc_u32 s23, s13, s25
	s_add_u32 s10, s10, s15
	s_addc_u32 s11, s11, s20
	v_add_co_u32 v1, s10, s10, v1
	s_delay_alu instid0(VALU_DEP_1) | instskip(SKIP_2) | instid1(VALU_DEP_1)
	v_add_co_ci_u32_e64 v2, null, s11, 0, s10
	s_load_b32 s10, s[22:23], 0x0
	s_waitcnt lgkmcnt(0)
	v_mad_i64_i32 v[3:4], null, s12, s5, v[1:2]
	v_mad_i64_i32 v[9:10], null, s7, s5, v[1:2]
	;; [unrolled: 1-line block ×7, first 2 shown]
	s_clause 0x5
	global_load_b128 v[49:52], v[3:4], off
	global_load_b128 v[53:56], v[3:4], off offset:16
	global_load_b128 v[41:44], v[5:6], off
	global_load_b128 v[45:48], v[5:6], off offset:16
	;; [unrolled: 2-line block ×3, first 2 shown]
	s_mov_b32 s4, 0
	v_mad_i64_i32 v[61:62], null, s10, s5, v[1:2]
	s_clause 0x9
	global_load_b128 v[1:4], v[9:10], off
	global_load_b128 v[5:8], v[9:10], off offset:16
	global_load_b128 v[9:12], v[13:14], off
	global_load_b128 v[13:16], v[13:14], off offset:16
	;; [unrolled: 2-line block ×5, first 2 shown]
	s_mov_b32 s5, s4
	s_mov_b32 s6, s4
	;; [unrolled: 1-line block ×7, first 2 shown]
	v_and_b32_e32 v104, 0xe0, v0
	v_dual_mov_b32 v126, s11 :: v_dual_mov_b32 v125, s10
	v_dual_mov_b32 v124, s9 :: v_dual_mov_b32 v123, s8
	s_delay_alu instid0(VALU_DEP_3)
	v_add_nc_u32_e32 v111, s16, v104
	ds_load_b128 v[103:106], v115
	ds_load_b128 v[107:110], v115 offset:1024
	v_dual_mov_b32 v122, s7 :: v_dual_mov_b32 v121, s6
	v_mov_b32_e32 v120, s5
	v_or_b32_e32 v135, v111, v66
	ds_load_b128 v[111:114], v115 offset:2048
	ds_load_b128 v[115:118], v115 offset:3072
	v_mov_b32_e32 v119, s4
	s_waitcnt vmcnt(0) lgkmcnt(0)
	s_barrier
	v_or_b32_e32 v137, 2, v135
	v_or_b32_e32 v138, 4, v135
	;; [unrolled: 1-line block ×3, first 2 shown]
	v_cmp_gt_i32_e32 vcc_lo, s18, v135
	v_or_b32_e32 v140, 8, v135
	v_cmp_gt_i32_e64 s3, s18, v137
	v_or_b32_e32 v141, 10, v135
	v_cmp_gt_i32_e64 s4, s18, v138
	v_cmp_gt_i32_e64 s5, s18, v139
	v_or_b32_e32 v142, 12, v135
	v_or_b32_e32 v143, 14, v135
	v_cmp_gt_i32_e64 s6, s18, v140
	v_cmp_gt_i32_e64 s7, s18, v141
	v_or_b32_e32 v144, 16, v135
	v_or_b32_e32 v145, 18, v135
	v_cmp_gt_i32_e64 s8, s18, v142
	v_cmp_gt_i32_e64 s9, s18, v143
	buffer_gl0_inv
	v_cmp_gt_i32_e64 s10, s18, v144
	v_cmp_gt_i32_e64 s11, s18, v145
	v_wmma_f32_16x16x16_f16 v[127:134], v[71:78], v[103:110], v[119:126]
	v_wmma_f32_16x16x16_f16 v[119:126], v[79:86], v[103:110], v[119:126]
	v_or_b32_e32 v71, 20, v135
	v_or_b32_e32 v72, 22, v135
	s_delay_alu instid0(VALU_DEP_4)
	v_wmma_f32_16x16x16_f16 v[127:134], v[87:94], v[111:118], v[127:134]
	v_or_b32_e32 v73, 24, v135
	v_wmma_f32_16x16x16_f16 v[119:126], v[95:102], v[111:118], v[119:126]
	v_or_b32_e32 v74, 26, v135
	v_cmp_gt_i32_e64 s12, s18, v71
	v_dual_mul_f32 v83, s19, v128 :: v_dual_mul_f32 v84, s19, v127
	v_dual_mul_f32 v81, s19, v130 :: v_dual_mul_f32 v82, s19, v129
	;; [unrolled: 1-line block ×3, first 2 shown]
	s_delay_alu instid0(VALU_DEP_3) | instskip(NEXT) | instid1(VALU_DEP_4)
	v_cndmask_b32_e32 v84, 0xff7fffff, v84, vcc_lo
	v_cndmask_b32_e64 v83, 0xff7fffff, v83, s3
	v_mul_f32_e32 v80, s19, v131
	v_cndmask_b32_e64 v82, 0xff7fffff, v82, s4
	v_cndmask_b32_e64 v81, 0xff7fffff, v81, s5
	v_dual_mul_f32 v77, s19, v134 :: v_dual_mul_f32 v90, s19, v121
	v_max3_f32 v83, v84, 0xff7fffff, v83
	v_mul_f32_e32 v78, s19, v133
	v_cndmask_b32_e64 v80, 0xff7fffff, v80, s6
	v_cndmask_b32_e64 v79, 0xff7fffff, v79, s7
	v_mul_f32_e32 v91, s19, v120
	v_max3_f32 v81, v83, v82, v81
	v_cndmask_b32_e64 v78, 0xff7fffff, v78, s8
	v_cndmask_b32_e64 v77, 0xff7fffff, v77, s9
	v_mul_f32_e32 v89, s19, v122
	v_cmp_gt_i32_e64 s13, s18, v72
	v_max3_f32 v79, v81, v80, v79
	v_cndmask_b32_e64 v80, 0xff7fffff, v92, s10
	v_cndmask_b32_e64 v81, 0xff7fffff, v91, s11
	v_or_b32_e32 v75, 28, v135
	v_or_b32_e32 v76, 30, v135
	v_max3_f32 v77, v79, v78, v77
	v_dual_mul_f32 v87, s19, v124 :: v_dual_mul_f32 v88, s19, v123
	v_cndmask_b32_e64 v71, 0xff7fffff, v90, s12
	v_cndmask_b32_e64 v72, 0xff7fffff, v89, s13
	s_delay_alu instid0(VALU_DEP_4) | instskip(SKIP_3) | instid1(VALU_DEP_4)
	v_max3_f32 v77, v77, v80, v81
	v_cmp_gt_i32_e64 s15, s18, v73
	v_cmp_gt_i32_e64 s16, s18, v74
	v_dual_mul_f32 v85, s19, v126 :: v_dual_mul_f32 v86, s19, v125
	v_max3_f32 v71, v77, v71, v72
	s_delay_alu instid0(VALU_DEP_4) | instskip(NEXT) | instid1(VALU_DEP_4)
	v_cndmask_b32_e64 v73, 0xff7fffff, v88, s15
	v_cndmask_b32_e64 v74, 0xff7fffff, v87, s16
	v_cmp_gt_i32_e64 s17, s18, v75
	v_cmp_gt_i32_e64 s18, s18, v76
	s_delay_alu instid0(VALU_DEP_3) | instskip(NEXT) | instid1(VALU_DEP_3)
	v_max3_f32 v71, v71, v73, v74
	v_cndmask_b32_e64 v72, 0xff7fffff, v86, s17
	s_delay_alu instid0(VALU_DEP_3) | instskip(SKIP_1) | instid1(VALU_DEP_2)
	v_cndmask_b32_e64 v75, 0xff7fffff, v85, s18
	v_lshlrev_b32_e32 v73, 2, v136
	v_max3_f32 v71, v71, v72, v75
	ds_bpermute_b32 v72, v73, v71
	s_waitcnt lgkmcnt(0)
	v_max_f32_e32 v72, v72, v72
	s_delay_alu instid0(VALU_DEP_1) | instskip(NEXT) | instid1(VALU_DEP_1)
	v_max_f32_e32 v71, v71, v72
	v_fma_f32 v72, s19, v127, -v71
	v_fma_f32 v74, s19, v128, -v71
	;; [unrolled: 1-line block ×5, first 2 shown]
	v_mul_f32_e32 v72, 0x3fb8aa3b, v72
	s_delay_alu instid0(VALU_DEP_4) | instskip(NEXT) | instid1(VALU_DEP_4)
	v_dual_mul_f32 v74, 0x3fb8aa3b, v74 :: v_dual_mul_f32 v75, 0x3fb8aa3b, v75
	v_mul_f32_e32 v76, 0x3fb8aa3b, v76
	s_delay_alu instid0(VALU_DEP_4) | instskip(NEXT) | instid1(VALU_DEP_4)
	v_mul_f32_e32 v82, 0x3fb8aa3b, v80
	v_exp_f32_e32 v72, v72
	s_delay_alu instid0(VALU_DEP_3)
	v_exp_f32_e32 v74, v74
	v_exp_f32_e32 v75, v75
	;; [unrolled: 1-line block ×3, first 2 shown]
	v_fma_f32 v77, s19, v131, -v71
	v_exp_f32_e32 v84, v82
	v_cndmask_b32_e32 v79, 0, v72, vcc_lo
	v_cndmask_b32_e64 v78, 0, v74, s3
	s_delay_alu instid0(TRANS32_DEP_3) | instskip(SKIP_1) | instid1(TRANS32_DEP_2)
	v_cndmask_b32_e64 v81, 0, v75, s4
	v_fma_f32 v72, s19, v132, -v71
	v_cndmask_b32_e64 v80, 0, v76, s5
	v_add_f32_e32 v74, 0, v79
	s_delay_alu instid0(TRANS32_DEP_1) | instskip(SKIP_2) | instid1(VALU_DEP_4)
	v_cndmask_b32_e64 v85, 0, v84, s8
	v_cmp_gt_u32_e64 s3, 16, v70
	v_mul_f32_e32 v72, 0x3fb8aa3b, v72
	v_add_f32_e32 v74, v74, v78
	s_delay_alu instid0(VALU_DEP_2) | instskip(NEXT) | instid1(VALU_DEP_1)
	v_exp_f32_e32 v72, v72
	v_add_f32_e32 v74, v74, v81
	s_delay_alu instid0(VALU_DEP_1) | instskip(NEXT) | instid1(VALU_DEP_1)
	v_dual_mul_f32 v77, 0x3fb8aa3b, v77 :: v_dual_add_f32 v74, v74, v80
	v_exp_f32_e32 v77, v77
	s_waitcnt_depctr 0xfff
	v_cndmask_b32_e64 v82, 0, v72, s7
	v_cndmask_b32_e64 v83, 0, v77, s6
	s_delay_alu instid0(VALU_DEP_1) | instskip(SKIP_4) | instid1(VALU_DEP_4)
	v_add_f32_e32 v72, v74, v83
	v_fma_f32 v75, s19, v134, -v71
	v_fma_f32 v76, s19, v119, -v71
	;; [unrolled: 1-line block ×4, first 2 shown]
	v_dual_add_f32 v72, v72, v82 :: v_dual_mul_f32 v75, 0x3fb8aa3b, v75
	s_delay_alu instid0(VALU_DEP_3) | instskip(NEXT) | instid1(VALU_DEP_3)
	v_dual_mul_f32 v76, 0x3fb8aa3b, v76 :: v_dual_mul_f32 v77, 0x3fb8aa3b, v77
	v_mul_f32_e32 v74, 0x3fb8aa3b, v74
	v_fma_f32 v86, s19, v122, -v71
	s_delay_alu instid0(VALU_DEP_4) | instskip(NEXT) | instid1(VALU_DEP_3)
	v_exp_f32_e32 v75, v75
	v_exp_f32_e32 v76, v76
	;; [unrolled: 1-line block ×4, first 2 shown]
	v_mul_f32_e32 v86, 0x3fb8aa3b, v86
	s_delay_alu instid0(VALU_DEP_1)
	v_exp_f32_e32 v88, v86
	v_cndmask_b32_e64 v84, 0, v75, s9
	v_fma_f32 v75, s19, v123, -v71
	v_add_f32_e32 v72, v72, v85
	v_cndmask_b32_e64 v87, 0, v76, s10
	v_fma_f32 v76, s19, v124, -v71
	s_delay_alu instid0(TRANS32_DEP_3) | instskip(NEXT) | instid1(VALU_DEP_4)
	v_cndmask_b32_e64 v86, 0, v77, s11
	v_dual_mul_f32 v75, 0x3fb8aa3b, v75 :: v_dual_add_f32 v72, v72, v84
	v_fma_f32 v77, s19, v125, -v71
	s_delay_alu instid0(VALU_DEP_4) | instskip(SKIP_1) | instid1(VALU_DEP_4)
	v_mul_f32_e32 v76, 0x3fb8aa3b, v76
	v_cndmask_b32_e64 v89, 0, v74, s12
	v_exp_f32_e32 v75, v75
	v_add_f32_e32 v72, v72, v87
	v_mul_f32_e32 v74, 0x3fb8aa3b, v77
	v_exp_f32_e32 v76, v76
	v_cndmask_b32_e64 v88, 0, v88, s13
	v_fma_f32 v77, s19, v126, -v71
	v_add_f32_e32 v72, v72, v86
	v_exp_f32_e32 v74, v74
	s_delay_alu instid0(TRANS32_DEP_3) | instskip(NEXT) | instid1(VALU_DEP_2)
	v_cndmask_b32_e64 v91, 0, v75, s15
	v_add_f32_e32 v72, v72, v89
	v_mul_f32_e32 v75, 0x3fb8aa3b, v77
	s_delay_alu instid0(TRANS32_DEP_2) | instskip(NEXT) | instid1(VALU_DEP_3)
	v_cndmask_b32_e64 v90, 0, v76, s16
	v_add_f32_e32 v72, v72, v88
	s_delay_alu instid0(VALU_DEP_3) | instskip(NEXT) | instid1(TRANS32_DEP_2)
	v_exp_f32_e32 v75, v75
	v_cndmask_b32_e64 v93, 0, v74, s17
	s_delay_alu instid0(VALU_DEP_2) | instskip(NEXT) | instid1(VALU_DEP_1)
	v_add_f32_e32 v72, v72, v91
	v_add_f32_e32 v72, v72, v90
	s_waitcnt_depctr 0xfff
	v_cndmask_b32_e64 v92, 0, v75, s18
	v_add_f32_e32 v72, v72, v93
	s_delay_alu instid0(VALU_DEP_1)
	v_add_f32_e32 v72, v72, v92
	ds_bpermute_b32 v73, v73, v72
	s_and_saveexec_b32 s4, s3
	s_cbranch_execz .LBB1144_12
; %bb.11:
	v_mul_u32_u24_e32 v70, 0x44, v69
	s_waitcnt lgkmcnt(0)
	v_add_f32_e32 v72, v72, v73
	s_delay_alu instid0(VALU_DEP_2) | instskip(NEXT) | instid1(VALU_DEP_1)
	v_lshl_add_u32 v70, v68, 2, v70
	v_add_nc_u32_e32 v70, 0x4000, v70
	ds_store_2addr_b32 v70, v71, v72 offset1:136
.LBB1144_12:
	s_or_b32 exec_lo, exec_lo, s4
	v_lshlrev_b32_e32 v70, 2, v68
	s_load_b32 s36, s[0:1], 0x94
	s_waitcnt lgkmcnt(0)
	s_barrier
	buffer_gl0_inv
	v_add_nc_u32_e32 v98, 0x4000, v70
	v_cmp_eq_u32_e32 vcc_lo, 1, v69
	v_cmp_eq_u32_e64 s4, 2, v69
	v_cmp_eq_u32_e64 s5, 3, v69
	;; [unrolled: 1-line block ×3, first 2 shown]
	ds_load_2addr_b32 v[70:71], v98 offset1:17
	ds_load_2addr_b32 v[72:73], v98 offset0:34 offset1:51
	ds_load_2addr_b32 v[74:75], v98 offset0:68 offset1:85
	;; [unrolled: 1-line block ×3, first 2 shown]
	v_cmp_eq_u32_e64 s7, 5, v69
	v_cmp_eq_u32_e64 s8, 7, v69
	s_waitcnt lgkmcnt(3)
	v_max3_f32 v76, v70, 0xff7fffff, v71
	s_waitcnt lgkmcnt(2)
	s_delay_alu instid0(VALU_DEP_1) | instskip(SKIP_1) | instid1(VALU_DEP_1)
	v_max3_f32 v76, v76, v72, v73
	s_waitcnt lgkmcnt(1)
	v_max3_f32 v76, v76, v74, v75
	s_waitcnt lgkmcnt(0)
	s_delay_alu instid0(VALU_DEP_1) | instskip(NEXT) | instid1(VALU_DEP_1)
	v_max3_f32 v76, v76, v94, v95
	v_sub_f32_e32 v77, v71, v76
	ds_load_2addr_b32 v[96:97], v98 offset0:136 offset1:153
	v_sub_f32_e32 v74, v74, v76
	v_sub_f32_e32 v70, v70, v76
	;; [unrolled: 1-line block ×3, first 2 shown]
	v_dual_sub_f32 v72, v72, v76 :: v_dual_mul_f32 v77, 0x3fb8aa3b, v77
	s_delay_alu instid0(VALU_DEP_4) | instskip(NEXT) | instid1(VALU_DEP_4)
	v_mul_f32_e32 v103, 0x3fb8aa3b, v74
	v_mul_f32_e32 v99, 0x3fb8aa3b, v70
	ds_load_2addr_b32 v[70:71], v98 offset0:170 offset1:187
	v_dual_mul_f32 v101, 0x3fb8aa3b, v72 :: v_dual_mul_f32 v94, 0x3fb8aa3b, v94
	v_exp_f32_e32 v102, v77
	v_exp_f32_e32 v99, v99
	s_delay_alu instid0(VALU_DEP_1) | instskip(NEXT) | instid1(VALU_DEP_1)
	v_exp_f32_e32 v101, v101
	v_exp_f32_e32 v94, v94
	s_waitcnt lgkmcnt(1)
	s_delay_alu instid0(TRANS32_DEP_3)
	v_fma_f32 v77, v99, v96, 0
	v_sub_f32_e32 v100, v73, v76
	ds_load_2addr_b32 v[72:73], v98 offset0:204 offset1:221
	v_fmac_f32_e32 v77, v102, v97
	v_exp_f32_e32 v97, v103
	s_waitcnt lgkmcnt(1)
	s_delay_alu instid0(VALU_DEP_1)
	v_dual_fmac_f32 v77, v101, v70 :: v_dual_sub_f32 v96, v75, v76
	ds_load_2addr_b32 v[74:75], v98 offset0:238 offset1:255
	v_sub_f32_e32 v70, v95, v76
	s_waitcnt lgkmcnt(0)
	s_barrier
	v_mul_f32_e32 v96, 0x3fb8aa3b, v96
	buffer_gl0_inv
	v_exp_f32_e32 v95, v96
	v_mul_f32_e32 v100, 0x3fb8aa3b, v100
	s_delay_alu instid0(VALU_DEP_1) | instskip(SKIP_3) | instid1(VALU_DEP_2)
	v_exp_f32_e32 v100, v100
	s_waitcnt_depctr 0xfff
	v_dual_fmac_f32 v77, v100, v71 :: v_dual_mul_f32 v70, 0x3fb8aa3b, v70
	v_cndmask_b32_e32 v71, v99, v102, vcc_lo
	v_fmac_f32_e32 v77, v97, v72
	s_delay_alu instid0(VALU_DEP_3) | instskip(NEXT) | instid1(VALU_DEP_1)
	v_exp_f32_e32 v96, v70
	v_fmac_f32_e32 v77, v95, v73
	s_delay_alu instid0(VALU_DEP_1) | instskip(SKIP_2) | instid1(VALU_DEP_1)
	v_fmac_f32_e32 v77, v94, v74
	s_waitcnt_depctr 0xfff
	v_fmac_f32_e32 v77, v96, v75
	v_add_f32_e32 v74, 0x358637bd, v77
	s_delay_alu instid0(VALU_DEP_1) | instskip(SKIP_1) | instid1(VALU_DEP_2)
	v_div_scale_f32 v98, null, v74, v74, 1.0
	v_div_scale_f32 v99, vcc_lo, 1.0, v74, 1.0
	v_rcp_f32_e32 v103, v98
	s_waitcnt_depctr 0xfff
	v_fma_f32 v70, -v98, v103, 1.0
	s_delay_alu instid0(VALU_DEP_1) | instskip(SKIP_2) | instid1(VALU_DEP_2)
	v_fmac_f32_e32 v103, v70, v103
	v_cndmask_b32_e64 v70, v71, v101, s4
	v_cmp_eq_u32_e64 s4, 6, v69
	v_cndmask_b32_e64 v71, v70, v100, s5
	s_delay_alu instid0(VALU_DEP_4) | instskip(NEXT) | instid1(VALU_DEP_2)
	v_dual_mul_f32 v101, v99, v103 :: v_dual_lshlrev_b32 v70, 2, v66
	v_cndmask_b32_e64 v71, v71, v97, s6
	s_delay_alu instid0(VALU_DEP_2) | instskip(NEXT) | instid1(VALU_DEP_3)
	v_or_b32_e32 v72, 1, v70
	v_fma_f32 v100, -v98, v101, v99
	v_cmp_eq_u32_e64 s5, 1, v70
	v_cmp_eq_u32_e64 s6, 2, v70
	v_cndmask_b32_e64 v95, v71, v95, s7
	v_or_b32_e32 v71, 3, v70
	v_fmac_f32_e32 v101, v100, v103
	v_cmp_eq_u32_e64 s10, 1, v72
	v_cmp_eq_u32_e64 s13, 2, v72
	v_cndmask_b32_e64 v94, v95, v94, s4
	v_cmp_eq_u32_e64 s12, 1, v71
	v_fma_f32 v97, -v98, v101, v99
	v_cmp_eq_u32_e64 s17, 2, v71
	v_cmp_eq_u32_e64 s15, 3, v72
	v_cndmask_b32_e64 v94, v94, v96, s8
	v_cmp_eq_u32_e64 s19, 3, v71
	v_div_fmas_f32 v95, v97, v103, v101
	v_cmp_eq_u32_e32 vcc_lo, 3, v70
	v_cmp_eq_u32_e64 s4, 4, v70
	v_cmp_eq_u32_e64 s20, 4, v72
	;; [unrolled: 1-line block ×3, first 2 shown]
	v_div_fixup_f32 v95, v95, v74, 1.0
	v_lshlrev_b32_e32 v73, 6, v68
	v_cmp_eq_u32_e64 s7, 5, v70
	v_cmp_eq_u32_e64 s21, 5, v72
	v_cmp_eq_u32_e64 s25, 5, v71
	v_mul_f32_e32 v102, v94, v95
	v_lshl_or_b32 v75, v69, 11, v73
	v_or_b32_e32 v69, 2, v70
	v_cmp_eq_u32_e64 s26, 6, v72
	v_cmp_eq_u32_e64 s28, 6, v71
	v_fma_mixlo_f16 v94, v102, v79, 0
	v_fma_mixlo_f16 v95, v102, v81, 0
	;; [unrolled: 1-line block ×8, first 2 shown]
	v_lshl_or_b32 v74, v66, 4, v75
	v_fma_mixhi_f16 v94, v102, v78, 0
	v_fma_mixhi_f16 v95, v102, v80, 0
	;; [unrolled: 1-line block ×8, first 2 shown]
	ds_store_b128 v74, v[94:97]
	ds_store_b128 v74, v[98:101] offset:1024
	s_waitcnt lgkmcnt(0)
	s_barrier
	buffer_gl0_inv
	ds_load_b128 v[78:81], v75
	ds_load_b128 v[82:85], v75 offset:16
	ds_load_b128 v[86:89], v75 offset:1024
	;; [unrolled: 1-line block ×3, first 2 shown]
	v_cmp_eq_u32_e64 s11, 1, v69
	v_cmp_eq_u32_e64 s16, 2, v69
	;; [unrolled: 1-line block ×11, first 2 shown]
	s_waitcnt lgkmcnt(3)
	v_lshrrev_b32_e32 v94, 16, v78
	s_waitcnt lgkmcnt(2)
	v_lshrrev_b32_e32 v98, 16, v82
	;; [unrolled: 2-line block ×4, first 2 shown]
	v_lshrrev_b32_e32 v95, 16, v79
	v_cndmask_b32_e64 v110, v78, v94, s5
	v_cndmask_b32_e64 v111, v82, v98, s5
	;; [unrolled: 1-line block ×8, first 2 shown]
	v_lshrrev_b32_e32 v99, 16, v83
	v_cndmask_b32_e64 v94, v86, v102, s5
	v_cndmask_b32_e64 v98, v90, v106, s5
	;; [unrolled: 1-line block ×15, first 2 shown]
	v_lshrrev_b32_e32 v103, 16, v87
	v_lshrrev_b32_e32 v107, 16, v91
	v_cndmask_b32_e64 v113, v115, v83, s16
	v_cndmask_b32_e64 v82, v94, v87, s6
	;; [unrolled: 1-line block ×7, first 2 shown]
	v_cndmask_b32_e32 v90, v102, v95, vcc_lo
	v_cndmask_b32_e32 v102, v106, v99, vcc_lo
	v_cndmask_b32_e64 v106, v110, v95, s15
	v_cndmask_b32_e64 v110, v111, v99, s15
	;; [unrolled: 1-line block ×4, first 2 shown]
	v_lshrrev_b32_e32 v96, 16, v80
	v_lshrrev_b32_e32 v100, 16, v84
	v_cndmask_b32_e64 v111, v112, v95, s18
	v_cndmask_b32_e64 v112, v113, v99, s18
	v_cndmask_b32_e32 v82, v82, v103, vcc_lo
	v_cndmask_b32_e32 v83, v83, v107, vcc_lo
	v_cndmask_b32_e64 v94, v94, v103, s15
	v_cndmask_b32_e64 v90, v90, v80, s4
	;; [unrolled: 1-line block ×7, first 2 shown]
	v_lshrrev_b32_e32 v104, 16, v88
	v_cndmask_b32_e64 v106, v111, v80, s22
	v_cndmask_b32_e64 v110, v112, v84, s22
	;; [unrolled: 1-line block ×11, first 2 shown]
	v_lshrrev_b32_e32 v97, 16, v81
	v_lshrrev_b32_e32 v101, 16, v85
	v_cndmask_b32_e64 v99, v106, v96, s24
	v_cndmask_b32_e64 v102, v110, v100, s24
	;; [unrolled: 1-line block ×7, first 2 shown]
	v_lshrrev_b32_e32 v105, 16, v89
	v_cndmask_b32_e64 v80, v80, v104, s7
	v_cndmask_b32_e64 v84, v84, v81, s8
	;; [unrolled: 1-line block ×16, first 2 shown]
	v_perm_b32 v81, v79, v78, 0x5040100
	v_perm_b32 v79, v95, v85, 0x5040100
	v_cndmask_b32_e64 v78, v119, v91, s16
	v_cndmask_b32_e64 v85, v117, v91, s13
	;; [unrolled: 1-line block ×3, first 2 shown]
	v_perm_b32 v80, v94, v90, 0x5040100
	v_cndmask_b32_e64 v90, v98, v103, s18
	v_cndmask_b32_e64 v86, v86, v103, s19
	;; [unrolled: 1-line block ×5, first 2 shown]
	v_lshrrev_b32_e32 v108, 16, v92
	v_cndmask_b32_e64 v90, v90, v88, s22
	v_cndmask_b32_e64 v86, v86, v88, s23
	;; [unrolled: 1-line block ×11, first 2 shown]
	v_lshrrev_b32_e32 v109, 16, v93
	v_cndmask_b32_e64 v82, v82, v93, s8
	v_cndmask_b32_e64 v88, v88, v89, s27
	;; [unrolled: 1-line block ×12, first 2 shown]
	v_perm_b32 v78, v84, v83, 0x5040100
	v_perm_b32 v85, v87, v86, 0x5040100
	;; [unrolled: 1-line block ×5, first 2 shown]
	s_mul_i32 s9, s35, 11
	s_mov_b32 s4, exec_lo
	ds_store_b128 v74, v[78:81]
	ds_store_b128 v74, v[82:85] offset:1024
	v_cmpx_gt_u32_e32 11, v0
	s_cbranch_execz .LBB1144_14
; %bb.13:
	s_mul_i32 s5, s9, s34
	s_load_b128 s[16:19], s[0:1], 0x58
	v_add3_u32 v68, s5, s33, v68
	s_delay_alu instid0(VALU_DEP_1) | instskip(NEXT) | instid1(VALU_DEP_1)
	v_mad_u64_u32 v[78:79], null, v68, s36, s[14:15]
	v_ashrrev_i32_e32 v79, 31, v78
	s_delay_alu instid0(VALU_DEP_1) | instskip(SKIP_1) | instid1(VALU_DEP_1)
	v_lshlrev_b64 v[78:79], 2, v[78:79]
	s_waitcnt lgkmcnt(0)
	v_add_co_u32 v80, vcc_lo, s18, v78
	s_delay_alu instid0(VALU_DEP_2)
	v_add_co_ci_u32_e32 v81, vcc_lo, s19, v79, vcc_lo
	v_add_co_u32 v78, vcc_lo, s16, v78
	v_add_co_ci_u32_e32 v79, vcc_lo, s17, v79, vcc_lo
	global_store_b32 v[80:81], v76, off
	global_store_b32 v[78:79], v77, off
.LBB1144_14:
	s_or_b32 exec_lo, exec_lo, s4
	s_waitcnt lgkmcnt(0)
	s_waitcnt_vscnt null, 0x0
	s_barrier
	buffer_gl0_inv
	ds_load_b128 v[84:87], v73
	ds_load_b128 v[88:91], v73 offset:16
	ds_load_b128 v[96:99], v73 offset:2064
	;; [unrolled: 1-line block ×5, first 2 shown]
	v_cmp_eq_u32_e32 vcc_lo, 1, v70
	v_mov_b32_e32 v76, 0
	ds_load_b128 v[112:115], v73 offset:6160
	ds_load_b128 v[108:111], v73 offset:6144
	;; [unrolled: 1-line block ×4, first 2 shown]
	v_cmp_eq_u32_e64 s5, 1, v69
	v_cmp_eq_u32_e64 s4, 1, v72
	;; [unrolled: 1-line block ×3, first 2 shown]
	v_mov_b32_e32 v77, v76
	v_mov_b32_e32 v78, v76
	;; [unrolled: 1-line block ×7, first 2 shown]
	v_cmp_eq_u32_e64 s7, 3, v72
	v_cmp_eq_u32_e64 s8, 7, v72
	s_waitcnt lgkmcnt(8)
	s_delay_alu instid0(VALU_DEP_3)
	v_wmma_f32_16x16x16_f16 v[76:83], v[49:56], v[84:91], v[76:83]
	ds_load_b128 v[53:56], v73 offset:10256
	ds_load_b128 v[49:52], v73 offset:10240
	s_waitcnt lgkmcnt(8)
	v_wmma_f32_16x16x16_f16 v[76:83], v[41:48], v[92:99], v[76:83]
	ds_load_b128 v[45:48], v73 offset:12304
	ds_load_b128 v[41:44], v73 offset:12288
	s_waitcnt lgkmcnt(8)
	;; [unrolled: 4-line block ×3, first 2 shown]
	s_barrier
	buffer_gl0_inv
	v_wmma_f32_16x16x16_f16 v[76:83], v[1:8], v[108:115], v[76:83]
	s_delay_alu instid0(VALU_DEP_1) | instskip(NEXT) | instid1(VALU_DEP_1)
	v_wmma_f32_16x16x16_f16 v[76:83], v[9:16], v[116:123], v[76:83]
	v_wmma_f32_16x16x16_f16 v[76:83], v[17:24], v[49:56], v[76:83]
	s_delay_alu instid0(VALU_DEP_1) | instskip(NEXT) | instid1(VALU_DEP_1)
	v_wmma_f32_16x16x16_f16 v[76:83], v[25:32], v[41:48], v[76:83]
	v_wmma_f32_16x16x16_f16 v[76:83], v[57:64], v[33:40], v[76:83]
	s_delay_alu instid0(VALU_DEP_1) | instskip(NEXT) | instid1(VALU_DEP_2)
	v_cvt_f16_f32_e32 v1, v76
	v_cvt_f16_f32_e32 v2, v77
	s_delay_alu instid0(VALU_DEP_3) | instskip(NEXT) | instid1(VALU_DEP_4)
	v_cvt_f16_f32_e32 v3, v78
	v_cvt_f16_f32_e32 v4, v79
	;; [unrolled: 1-line block ×6, first 2 shown]
	v_pack_b32_f16 v1, v1, v2
	v_pack_b32_f16 v2, v3, v4
	;; [unrolled: 1-line block ×3, first 2 shown]
	s_delay_alu instid0(VALU_DEP_4)
	v_pack_b32_f16 v4, v7, v8
	ds_store_b128 v74, v[1:4]
	s_waitcnt lgkmcnt(0)
	s_barrier
	buffer_gl0_inv
	ds_load_b128 v[1:4], v75
	ds_load_b128 v[5:8], v75 offset:16
	s_waitcnt lgkmcnt(1)
	v_lshrrev_b32_e32 v9, 16, v1
	s_waitcnt lgkmcnt(0)
	v_lshrrev_b32_e32 v13, 16, v5
	v_lshrrev_b32_e32 v10, 16, v2
	;; [unrolled: 1-line block ×4, first 2 shown]
	v_cndmask_b32_e32 v17, v1, v9, vcc_lo
	v_cndmask_b32_e32 v18, v5, v13, vcc_lo
	v_cndmask_b32_e64 v21, v1, v9, s5
	v_cmp_eq_u32_e32 vcc_lo, 1, v71
	v_cndmask_b32_e64 v22, v5, v13, s5
	v_cmp_eq_u32_e64 s5, 2, v70
	v_cndmask_b32_e64 v19, v1, v9, s4
	v_cndmask_b32_e64 v20, v5, v13, s4
	v_cndmask_b32_e32 v1, v1, v9, vcc_lo
	v_cmp_eq_u32_e64 s4, 2, v71
	v_cndmask_b32_e32 v5, v5, v13, vcc_lo
	v_cndmask_b32_e64 v9, v17, v2, s5
	v_cmp_eq_u32_e32 vcc_lo, 3, v70
	v_cndmask_b32_e64 v13, v18, v6, s5
	v_cmp_eq_u32_e64 s5, 2, v69
	v_cndmask_b32_e64 v17, v19, v2, s6
	v_cndmask_b32_e64 v18, v20, v6, s6
	v_cmp_eq_u32_e64 s6, 3, v69
	v_cndmask_b32_e64 v1, v1, v2, s4
	v_cndmask_b32_e64 v19, v21, v2, s5
	;; [unrolled: 1-line block ×4, first 2 shown]
	v_cndmask_b32_e32 v5, v9, v10, vcc_lo
	v_cndmask_b32_e32 v6, v13, v14, vcc_lo
	v_cmp_eq_u32_e32 vcc_lo, 3, v71
	v_cndmask_b32_e64 v9, v17, v10, s7
	v_cndmask_b32_e64 v13, v18, v14, s7
	;; [unrolled: 1-line block ×3, first 2 shown]
	v_cmp_eq_u32_e64 s5, 4, v70
	v_cndmask_b32_e32 v1, v1, v10, vcc_lo
	v_cndmask_b32_e32 v2, v2, v14, vcc_lo
	v_cmp_eq_u32_e32 vcc_lo, 4, v72
	v_lshrrev_b32_e32 v15, 16, v7
	v_lshrrev_b32_e32 v16, 16, v8
	v_cndmask_b32_e64 v17, v19, v10, s6
	v_cmp_eq_u32_e64 s4, 4, v71
	v_cndmask_b32_e64 v5, v5, v3, s5
	v_cndmask_b32_e64 v6, v6, v7, s5
	v_cndmask_b32_e32 v9, v9, v3, vcc_lo
	v_cmp_eq_u32_e64 s5, 5, v72
	v_cndmask_b32_e32 v10, v13, v7, vcc_lo
	v_cmp_eq_u32_e32 vcc_lo, 4, v69
	v_cmp_eq_u32_e64 s6, 5, v70
	v_cndmask_b32_e64 v2, v2, v7, s4
	v_cndmask_b32_e64 v9, v9, v11, s5
	;; [unrolled: 1-line block ×3, first 2 shown]
	v_cndmask_b32_e32 v13, v17, v3, vcc_lo
	v_cmp_eq_u32_e64 s5, 5, v69
	v_cndmask_b32_e32 v14, v18, v7, vcc_lo
	v_cndmask_b32_e64 v1, v1, v3, s4
	v_cmp_eq_u32_e32 vcc_lo, 5, v71
	v_lshrrev_b32_e32 v12, 16, v4
	v_cndmask_b32_e64 v13, v13, v11, s5
	v_cndmask_b32_e64 v3, v14, v15, s5
	v_cmp_eq_u32_e64 s5, 6, v71
	v_cndmask_b32_e32 v1, v1, v11, vcc_lo
	v_cndmask_b32_e64 v5, v5, v11, s6
	v_cmp_eq_u32_e64 s7, 6, v70
	v_cndmask_b32_e64 v6, v6, v15, s6
	v_cmp_eq_u32_e64 s6, 6, v72
	v_cmp_eq_u32_e64 s4, 6, v69
	v_cndmask_b32_e64 v1, v1, v4, s5
	v_cndmask_b32_e32 v2, v2, v15, vcc_lo
	v_cmp_eq_u32_e32 vcc_lo, 7, v71
	v_cndmask_b32_e64 v5, v5, v4, s7
	v_cndmask_b32_e64 v9, v9, v4, s6
	;; [unrolled: 1-line block ×3, first 2 shown]
	v_cmp_eq_u32_e64 s7, 7, v70
	v_cndmask_b32_e32 v1, v1, v12, vcc_lo
	v_cndmask_b32_e64 v7, v13, v4, s4
	v_cndmask_b32_e64 v3, v3, v8, s4
	;; [unrolled: 1-line block ×3, first 2 shown]
	v_cmp_eq_u32_e64 s4, 7, v69
	v_cndmask_b32_e64 v4, v10, v8, s6
	v_cndmask_b32_e64 v5, v5, v12, s7
	;; [unrolled: 1-line block ×3, first 2 shown]
	v_cndmask_b32_e32 v2, v2, v16, vcc_lo
	v_cndmask_b32_e64 v7, v7, v12, s4
	v_cndmask_b32_e64 v3, v3, v16, s4
	;; [unrolled: 1-line block ×4, first 2 shown]
	v_cmp_gt_u32_e32 vcc_lo, 32, v0
	v_perm_b32 v4, v2, v1, 0x5040100
	v_perm_b32 v3, v3, v7, 0x5040100
	;; [unrolled: 1-line block ×4, first 2 shown]
	s_and_b32 s2, vcc_lo, s2
	ds_store_b128 v74, v[1:4]
	s_waitcnt lgkmcnt(0)
	s_barrier
	buffer_gl0_inv
	s_and_saveexec_b32 s4, s2
	s_cbranch_execz .LBB1144_2
; %bb.15:
	s_load_b64 s[4:5], s[0:1], 0x68
	v_lshlrev_b32_e32 v0, 10, v0
	v_lshlrev_b32_e32 v1, 4, v67
	s_lshl_b32 s0, s36, 6
	v_add_nc_u32_e32 v7, s33, v66
	s_mul_i32 s1, s0, s34
	s_delay_alu instid0(SALU_CYCLE_1) | instskip(SKIP_1) | instid1(VALU_DEP_2)
	s_mul_i32 s6, s1, s9
	v_and_or_b32 v0, 0x3800, v0, v1
	v_mul_lo_u32 v1, v7, s0
	v_add_nc_u32_e32 v2, 2, v7
	s_ashr_i32 s7, s6, 31
	v_add_nc_u32_e32 v4, 4, v7
	s_lshl_b64 s[6:7], s[6:7], 1
	v_add_nc_u32_e32 v8, 6, v7
	v_mul_lo_u32 v3, v2, s0
	v_lshl_or_b32 v19, v66, 6, v0
	v_ashrrev_i32_e32 v2, 31, v1
	v_mul_lo_u32 v11, v4, s0
	v_mul_lo_u32 v25, v8, s0
	s_waitcnt lgkmcnt(0)
	s_add_u32 s1, s4, s6
	s_addc_u32 s2, s5, s7
	s_lshl_b32 s4, s14, 6
	v_lshlrev_b64 v[5:6], 1, v[1:2]
	s_ashr_i32 s5, s4, 31
	v_ashrrev_i32_e32 v4, 31, v3
	s_lshl_b64 s[4:5], s[4:5], 1
	v_ashrrev_i32_e32 v12, 31, v11
	s_add_u32 s1, s1, s4
	s_addc_u32 s2, s2, s5
	v_add_co_u32 v1, s1, s1, v65
	s_delay_alu instid0(VALU_DEP_1) | instskip(SKIP_1) | instid1(VALU_DEP_3)
	v_add_co_ci_u32_e64 v2, null, s2, 0, s1
	v_lshlrev_b64 v[3:4], 1, v[3:4]
	v_add_co_u32 v23, vcc_lo, v1, v5
	v_add_nc_u32_e32 v5, 8, v7
	s_delay_alu instid0(VALU_DEP_4) | instskip(NEXT) | instid1(VALU_DEP_4)
	v_add_co_ci_u32_e32 v24, vcc_lo, v2, v6, vcc_lo
	v_add_co_u32 v27, vcc_lo, v1, v3
	s_delay_alu instid0(VALU_DEP_3)
	v_mul_lo_u32 v29, v5, s0
	v_add_co_ci_u32_e32 v28, vcc_lo, v2, v4, vcc_lo
	ds_load_b128 v[3:6], v19
	ds_load_b128 v[7:10], v19 offset:128
	v_lshlrev_b64 v[31:32], 1, v[11:12]
	ds_load_b128 v[11:14], v19 offset:256
	ds_load_b128 v[15:18], v19 offset:384
	;; [unrolled: 1-line block ×3, first 2 shown]
	v_ashrrev_i32_e32 v26, 31, v25
	v_ashrrev_i32_e32 v30, 31, v29
	v_add_co_u32 v31, vcc_lo, v1, v31
	s_delay_alu instid0(VALU_DEP_3) | instskip(NEXT) | instid1(VALU_DEP_3)
	v_lshlrev_b64 v[25:26], 1, v[25:26]
	v_lshlrev_b64 v[29:30], 1, v[29:30]
	v_add_co_ci_u32_e32 v32, vcc_lo, v2, v32, vcc_lo
	s_delay_alu instid0(VALU_DEP_3) | instskip(NEXT) | instid1(VALU_DEP_4)
	v_add_co_u32 v25, vcc_lo, v1, v25
	v_add_co_ci_u32_e32 v26, vcc_lo, v2, v26, vcc_lo
	s_delay_alu instid0(VALU_DEP_4)
	v_add_co_u32 v29, vcc_lo, v1, v29
	v_add_co_ci_u32_e32 v30, vcc_lo, v2, v30, vcc_lo
	s_waitcnt lgkmcnt(4)
	global_store_b128 v[23:24], v[3:6], off
	s_waitcnt lgkmcnt(3)
	global_store_b128 v[27:28], v[7:10], off
	;; [unrolled: 2-line block ×5, first 2 shown]
	s_and_b32 exec_lo, exec_lo, s3
	s_cbranch_execz .LBB1144_2
; %bb.16:
	ds_load_b128 v[3:6], v0 offset:640
	s_add_i32 s1, s33, 10
	s_delay_alu instid0(SALU_CYCLE_1) | instskip(NEXT) | instid1(SALU_CYCLE_1)
	s_mul_i32 s0, s1, s0
	s_ashr_i32 s1, s0, 31
	s_delay_alu instid0(SALU_CYCLE_1) | instskip(NEXT) | instid1(SALU_CYCLE_1)
	s_lshl_b64 s[0:1], s[0:1], 1
	v_add_co_u32 v0, vcc_lo, v1, s0
	v_add_co_ci_u32_e32 v1, vcc_lo, s1, v2, vcc_lo
	s_waitcnt lgkmcnt(0)
	global_store_b128 v[0:1], v[3:6], off
	s_nop 0
	s_sendmsg sendmsg(MSG_DEALLOC_VGPRS)
	s_endpgm
	.section	.rodata,"a",@progbits
	.p2align	6, 0x0
	.amdhsa_kernel _Z39paged_attention_ll4mi_QKV_mfma16_kernelIDF16_hLN4vllm18Fp8KVCacheDataTypeE1EDF16_Li16ELi64ELi256ELb0ELi11EL8MFMAType0EEvPKT_PKT0_S8_ifPKiSA_SA_iPKfiiiPfSD_PS3_PT2_iSC_SC_
		.amdhsa_group_segment_fixed_size 17472
		.amdhsa_private_segment_fixed_size 0
		.amdhsa_kernarg_size 400
		.amdhsa_user_sgpr_count 13
		.amdhsa_user_sgpr_dispatch_ptr 0
		.amdhsa_user_sgpr_queue_ptr 0
		.amdhsa_user_sgpr_kernarg_segment_ptr 1
		.amdhsa_user_sgpr_dispatch_id 0
		.amdhsa_user_sgpr_private_segment_size 0
		.amdhsa_wavefront_size32 1
		.amdhsa_uses_dynamic_stack 0
		.amdhsa_enable_private_segment 0
		.amdhsa_system_sgpr_workgroup_id_x 1
		.amdhsa_system_sgpr_workgroup_id_y 1
		.amdhsa_system_sgpr_workgroup_id_z 1
		.amdhsa_system_sgpr_workgroup_info 0
		.amdhsa_system_vgpr_workitem_id 0
		.amdhsa_next_free_vgpr 146
		.amdhsa_next_free_sgpr 37
		.amdhsa_reserve_vcc 1
		.amdhsa_float_round_mode_32 0
		.amdhsa_float_round_mode_16_64 0
		.amdhsa_float_denorm_mode_32 3
		.amdhsa_float_denorm_mode_16_64 3
		.amdhsa_dx10_clamp 1
		.amdhsa_ieee_mode 1
		.amdhsa_fp16_overflow 0
		.amdhsa_workgroup_processor_mode 1
		.amdhsa_memory_ordered 1
		.amdhsa_forward_progress 0
		.amdhsa_shared_vgpr_count 0
		.amdhsa_exception_fp_ieee_invalid_op 0
		.amdhsa_exception_fp_denorm_src 0
		.amdhsa_exception_fp_ieee_div_zero 0
		.amdhsa_exception_fp_ieee_overflow 0
		.amdhsa_exception_fp_ieee_underflow 0
		.amdhsa_exception_fp_ieee_inexact 0
		.amdhsa_exception_int_div_zero 0
	.end_amdhsa_kernel
	.section	.text._Z39paged_attention_ll4mi_QKV_mfma16_kernelIDF16_hLN4vllm18Fp8KVCacheDataTypeE1EDF16_Li16ELi64ELi256ELb0ELi11EL8MFMAType0EEvPKT_PKT0_S8_ifPKiSA_SA_iPKfiiiPfSD_PS3_PT2_iSC_SC_,"axG",@progbits,_Z39paged_attention_ll4mi_QKV_mfma16_kernelIDF16_hLN4vllm18Fp8KVCacheDataTypeE1EDF16_Li16ELi64ELi256ELb0ELi11EL8MFMAType0EEvPKT_PKT0_S8_ifPKiSA_SA_iPKfiiiPfSD_PS3_PT2_iSC_SC_,comdat
.Lfunc_end1144:
	.size	_Z39paged_attention_ll4mi_QKV_mfma16_kernelIDF16_hLN4vllm18Fp8KVCacheDataTypeE1EDF16_Li16ELi64ELi256ELb0ELi11EL8MFMAType0EEvPKT_PKT0_S8_ifPKiSA_SA_iPKfiiiPfSD_PS3_PT2_iSC_SC_, .Lfunc_end1144-_Z39paged_attention_ll4mi_QKV_mfma16_kernelIDF16_hLN4vllm18Fp8KVCacheDataTypeE1EDF16_Li16ELi64ELi256ELb0ELi11EL8MFMAType0EEvPKT_PKT0_S8_ifPKiSA_SA_iPKfiiiPfSD_PS3_PT2_iSC_SC_
                                        ; -- End function
	.section	.AMDGPU.csdata,"",@progbits
; Kernel info:
; codeLenInByte = 6640
; NumSgprs: 39
; NumVgprs: 146
; ScratchSize: 0
; MemoryBound: 0
; FloatMode: 240
; IeeeMode: 1
; LDSByteSize: 17472 bytes/workgroup (compile time only)
; SGPRBlocks: 4
; VGPRBlocks: 18
; NumSGPRsForWavesPerEU: 39
; NumVGPRsForWavesPerEU: 146
; Occupancy: 9
; WaveLimiterHint : 1
; COMPUTE_PGM_RSRC2:SCRATCH_EN: 0
; COMPUTE_PGM_RSRC2:USER_SGPR: 13
; COMPUTE_PGM_RSRC2:TRAP_HANDLER: 0
; COMPUTE_PGM_RSRC2:TGID_X_EN: 1
; COMPUTE_PGM_RSRC2:TGID_Y_EN: 1
; COMPUTE_PGM_RSRC2:TGID_Z_EN: 1
; COMPUTE_PGM_RSRC2:TIDIG_COMP_CNT: 0
	.section	.text._Z39paged_attention_ll4mi_QKV_mfma16_kernelIDF16_hLN4vllm18Fp8KVCacheDataTypeE1EDF16_Li16ELi64ELi256ELb0ELi12EL8MFMAType0EEvPKT_PKT0_S8_ifPKiSA_SA_iPKfiiiPfSD_PS3_PT2_iSC_SC_,"axG",@progbits,_Z39paged_attention_ll4mi_QKV_mfma16_kernelIDF16_hLN4vllm18Fp8KVCacheDataTypeE1EDF16_Li16ELi64ELi256ELb0ELi12EL8MFMAType0EEvPKT_PKT0_S8_ifPKiSA_SA_iPKfiiiPfSD_PS3_PT2_iSC_SC_,comdat
	.protected	_Z39paged_attention_ll4mi_QKV_mfma16_kernelIDF16_hLN4vllm18Fp8KVCacheDataTypeE1EDF16_Li16ELi64ELi256ELb0ELi12EL8MFMAType0EEvPKT_PKT0_S8_ifPKiSA_SA_iPKfiiiPfSD_PS3_PT2_iSC_SC_ ; -- Begin function _Z39paged_attention_ll4mi_QKV_mfma16_kernelIDF16_hLN4vllm18Fp8KVCacheDataTypeE1EDF16_Li16ELi64ELi256ELb0ELi12EL8MFMAType0EEvPKT_PKT0_S8_ifPKiSA_SA_iPKfiiiPfSD_PS3_PT2_iSC_SC_
	.globl	_Z39paged_attention_ll4mi_QKV_mfma16_kernelIDF16_hLN4vllm18Fp8KVCacheDataTypeE1EDF16_Li16ELi64ELi256ELb0ELi12EL8MFMAType0EEvPKT_PKT0_S8_ifPKiSA_SA_iPKfiiiPfSD_PS3_PT2_iSC_SC_
	.p2align	8
	.type	_Z39paged_attention_ll4mi_QKV_mfma16_kernelIDF16_hLN4vllm18Fp8KVCacheDataTypeE1EDF16_Li16ELi64ELi256ELb0ELi12EL8MFMAType0EEvPKT_PKT0_S8_ifPKiSA_SA_iPKfiiiPfSD_PS3_PT2_iSC_SC_,@function
_Z39paged_attention_ll4mi_QKV_mfma16_kernelIDF16_hLN4vllm18Fp8KVCacheDataTypeE1EDF16_Li16ELi64ELi256ELb0ELi12EL8MFMAType0EEvPKT_PKT0_S8_ifPKiSA_SA_iPKfiiiPfSD_PS3_PT2_iSC_SC_: ; @_Z39paged_attention_ll4mi_QKV_mfma16_kernelIDF16_hLN4vllm18Fp8KVCacheDataTypeE1EDF16_Li16ELi64ELi256ELb0ELi12EL8MFMAType0EEvPKT_PKT0_S8_ifPKiSA_SA_iPKfiiiPfSD_PS3_PT2_iSC_SC_
; %bb.0:
	s_load_b64 s[2:3], s[0:1], 0x30
	s_mov_b32 s34, s13
	s_waitcnt lgkmcnt(0)
	s_cmp_lg_u64 s[2:3], 0
	s_cselect_b32 s6, -1, 0
	s_ashr_i32 s35, s13, 31
	s_cmp_eq_u64 s[2:3], 0
	s_cbranch_scc1 .LBB1145_3
; %bb.1:
	s_lshl_b64 s[4:5], s[34:35], 2
	s_delay_alu instid0(SALU_CYCLE_1) | instskip(SKIP_4) | instid1(SALU_CYCLE_1)
	s_add_u32 s4, s2, s4
	s_addc_u32 s5, s3, s5
	s_load_b64 s[4:5], s[4:5], 0x0
	s_waitcnt lgkmcnt(0)
	s_sub_i32 s4, s5, s4
	s_cmp_eq_u32 s4, 1
	s_cselect_b32 s4, -1, 0
	s_delay_alu instid0(SALU_CYCLE_1)
	s_and_not1_b32 vcc_lo, exec_lo, s4
	s_cbranch_vccz .LBB1145_4
.LBB1145_2:
	s_endpgm
.LBB1145_3:
.LBB1145_4:
	s_load_b64 s[8:9], s[0:1], 0x28
	s_lshl_b64 s[4:5], s[34:35], 2
	s_waitcnt lgkmcnt(0)
	s_add_u32 s8, s8, s4
	s_addc_u32 s9, s9, s5
	s_lshl_b32 s16, s14, 8
	s_load_b32 s18, s[8:9], 0x0
	s_waitcnt lgkmcnt(0)
	s_cmp_ge_i32 s16, s18
	s_cbranch_scc1 .LBB1145_2
; %bb.5:
	s_clause 0x1
	s_load_b128 s[8:11], s[0:1], 0x8
	s_load_b64 s[12:13], s[0:1], 0x20
	s_and_not1_b32 vcc_lo, exec_lo, s6
	s_cbranch_vccnz .LBB1145_7
; %bb.6:
	s_add_u32 s2, s2, s4
	s_addc_u32 s3, s3, s5
	s_load_b32 s3, s[2:3], 0x0
	s_branch .LBB1145_8
.LBB1145_7:
	s_mov_b32 s3, s34
.LBB1145_8:
	s_load_b128 s[4:7], s[0:1], 0x48
	v_and_b32_e32 v68, 15, v0
	v_cmp_gt_u32_e32 vcc_lo, 0xc0, v0
	v_lshrrev_b32_e32 v69, 5, v0
	v_and_b32_e32 v70, 31, v0
	v_and_b32_e32 v67, 1, v0
	v_lshlrev_b32_e32 v1, 3, v68
	v_cmp_gt_u32_e64 s2, 8, v68
	v_bfe_u32 v66, v0, 4, 1
	s_mul_i32 s31, s15, 12
	s_delay_alu instid0(VALU_DEP_3) | instskip(NEXT) | instid1(VALU_DEP_3)
	v_lshlrev_b32_e32 v65, 1, v1
	s_and_b32 s17, vcc_lo, s2
	s_waitcnt lgkmcnt(0)
	s_and_saveexec_b32 s7, s17
	s_cbranch_execz .LBB1145_10
; %bb.9:
	s_load_b64 s[20:21], s[0:1], 0x0
	v_lshl_or_b32 v5, v69, 1, v66
	s_mul_hi_i32 s23, s3, s4
	s_mul_i32 s22, s3, s4
	v_lshlrev_b32_e32 v6, 10, v68
	s_lshl_b64 s[22:23], s[22:23], 1
	v_add_lshl_u32 v1, v5, s31, 6
	v_lshlrev_b32_e32 v5, 6, v5
	v_lshlrev_b32_e32 v7, 10, v67
	v_and_b32_e32 v6, 0x3800, v6
	s_delay_alu instid0(VALU_DEP_4) | instskip(NEXT) | instid1(VALU_DEP_2)
	v_ashrrev_i32_e32 v2, 31, v1
	v_or3_b32 v5, v6, v7, v5
	s_delay_alu instid0(VALU_DEP_2) | instskip(SKIP_3) | instid1(VALU_DEP_1)
	v_lshlrev_b64 v[1:2], 1, v[1:2]
	s_waitcnt lgkmcnt(0)
	s_add_u32 s3, s20, s22
	s_addc_u32 s4, s21, s23
	v_add_co_u32 v1, vcc_lo, s3, v1
	s_delay_alu instid0(VALU_DEP_2) | instskip(NEXT) | instid1(VALU_DEP_2)
	v_add_co_ci_u32_e32 v2, vcc_lo, s4, v2, vcc_lo
	v_add_co_u32 v1, vcc_lo, v1, v65
	s_delay_alu instid0(VALU_DEP_2)
	v_add_co_ci_u32_e32 v2, vcc_lo, 0, v2, vcc_lo
	global_load_b128 v[1:4], v[1:2], off
	s_waitcnt vmcnt(0)
	ds_store_b128 v5, v[1:4]
.LBB1145_10:
	s_or_b32 exec_lo, exec_lo, s7
	v_and_b32_e32 v1, 0xef, v0
	s_add_i32 s3, s18, 15
	s_clause 0x1
	s_load_b32 s4, s[0:1], 0x38
	s_load_b32 s33, s[0:1], 0x98
	s_ashr_i32 s7, s3, 31
	v_add_nc_u32_e32 v1, s16, v1
	s_lshr_b32 s7, s7, 28
	s_load_b32 s19, s[0:1], 0x1c
	v_add_nc_u32_e32 v103, -12, v68
	s_add_i32 s3, s3, s7
	v_ashrrev_i32_e32 v2, 31, v1
	v_or_b32_e32 v3, 16, v1
	s_ashr_i32 s3, s3, 4
	v_cmp_gt_i32_e32 vcc_lo, s18, v1
	s_add_i32 s3, s3, -1
	v_lshrrev_b32_e32 v2, 28, v2
	s_waitcnt lgkmcnt(0)
	s_barrier
	buffer_gl0_inv
	s_mul_i32 s15, s15, s6
	v_add_nc_u32_e32 v4, v1, v2
	v_mbcnt_lo_u32_b32 v127, -1, 0
	s_mul_i32 s20, s34, s4
	s_delay_alu instid0(SALU_CYCLE_1) | instskip(NEXT) | instid1(VALU_DEP_2)
	s_ashr_i32 s21, s20, 31
	v_ashrrev_i32_e32 v4, 4, v4
	v_add_nc_u32_e32 v2, v3, v2
	s_lshl_b64 s[20:21], s[20:21], 2
	v_xor_b32_e32 v128, 16, v127
	s_add_u32 s17, s12, s20
	v_cndmask_b32_e32 v1, s3, v4, vcc_lo
	v_ashrrev_i32_e32 v2, 4, v2
	v_cmp_gt_i32_e32 vcc_lo, s18, v3
	s_addc_u32 s13, s13, s21
	s_ashr_i32 s20, s15, 31
	s_add_u32 s4, s8, s15
	s_addc_u32 s12, s9, s20
	v_cndmask_b32_e32 v3, s3, v2, vcc_lo
	v_ashrrev_i32_e32 v2, 31, v1
	s_lshl_b32 s6, s14, 4
	s_delay_alu instid0(SALU_CYCLE_1) | instskip(NEXT) | instid1(VALU_DEP_2)
	s_ashr_i32 s7, s6, 31
	v_ashrrev_i32_e32 v4, 31, v3
	s_delay_alu instid0(VALU_DEP_2) | instskip(SKIP_1) | instid1(SALU_CYCLE_1)
	v_lshlrev_b64 v[1:2], 2, v[1:2]
	s_lshl_b64 s[6:7], s[6:7], 2
	s_add_u32 s6, s17, s6
	s_delay_alu instid0(VALU_DEP_2) | instskip(SKIP_1) | instid1(VALU_DEP_2)
	v_lshlrev_b64 v[3:4], 2, v[3:4]
	s_addc_u32 s7, s13, s7
	v_add_co_u32 v1, vcc_lo, s17, v1
	v_add_co_ci_u32_e32 v2, vcc_lo, s13, v2, vcc_lo
	s_delay_alu instid0(VALU_DEP_3) | instskip(NEXT) | instid1(VALU_DEP_4)
	v_add_co_u32 v3, vcc_lo, s17, v3
	v_add_co_ci_u32_e32 v4, vcc_lo, s13, v4, vcc_lo
	s_clause 0x1
	global_load_b32 v5, v[1:2], off
	global_load_b32 v7, v[3:4], off
	s_or_b32 s8, s16, 32
	v_lshlrev_b32_e32 v1, 4, v0
	s_ashr_i32 s9, s8, 4
	s_cmp_lt_i32 s8, s18
	v_cmp_gt_u32_e32 vcc_lo, 12, v68
	s_cselect_b32 s8, s9, s3
	v_and_b32_e32 v1, 0xf0, v1
	s_ashr_i32 s9, s8, 31
	s_delay_alu instid0(SALU_CYCLE_1)
	s_lshl_b64 s[8:9], s[8:9], 2
	v_cndmask_b32_e32 v103, v103, v68, vcc_lo
	s_add_u32 s8, s17, s8
	s_addc_u32 s9, s13, s9
	s_or_b32 s21, s16, 64
	v_add_co_u32 v1, s4, s4, v1
	s_ashr_i32 s22, s21, 4
	s_cmp_lt_i32 s21, s18
	v_add_co_ci_u32_e64 v2, null, s12, 0, s4
	s_cselect_b32 s22, s22, s3
	v_cmp_gt_i32_e32 vcc_lo, 32, v128
	s_ashr_i32 s23, s22, 31
	v_lshlrev_b32_e32 v115, 6, v103
	s_lshl_b64 s[22:23], s[22:23], 2
	v_cndmask_b32_e32 v136, v127, v128, vcc_lo
	s_add_u32 s22, s17, s22
	s_addc_u32 s23, s13, s23
	s_or_b32 s21, s16, 0x60
	s_delay_alu instid0(SALU_CYCLE_1) | instskip(SKIP_2) | instid1(SALU_CYCLE_1)
	s_ashr_i32 s24, s21, 4
	s_cmp_lt_i32 s21, s18
	s_cselect_b32 s24, s24, s3
	s_ashr_i32 s25, s24, 31
	s_delay_alu instid0(SALU_CYCLE_1) | instskip(NEXT) | instid1(SALU_CYCLE_1)
	s_lshl_b64 s[24:25], s[24:25], 2
	s_add_u32 s24, s17, s24
	s_addc_u32 s25, s13, s25
	s_or_b32 s21, s16, 0x80
	s_delay_alu instid0(SALU_CYCLE_1) | instskip(SKIP_2) | instid1(SALU_CYCLE_1)
	s_ashr_i32 s26, s21, 4
	s_cmp_lt_i32 s21, s18
	s_cselect_b32 s26, s26, s3
	s_ashr_i32 s27, s26, 31
	s_delay_alu instid0(SALU_CYCLE_1) | instskip(NEXT) | instid1(SALU_CYCLE_1)
	s_lshl_b64 s[26:27], s[26:27], 2
	;; [unrolled: 10-line block ×3, first 2 shown]
	s_add_u32 s28, s17, s28
	s_addc_u32 s29, s13, s29
	s_clause 0x5
	s_load_b32 s12, s[6:7], 0x0
	s_load_b32 s4, s[8:9], 0x0
	;; [unrolled: 1-line block ×6, first 2 shown]
	s_or_b32 s21, s16, 0xc0
	s_delay_alu instid0(SALU_CYCLE_1) | instskip(SKIP_2) | instid1(SALU_CYCLE_1)
	s_ashr_i32 s22, s21, 4
	s_cmp_lt_i32 s21, s18
	s_cselect_b32 s22, s22, s3
	s_ashr_i32 s23, s22, 31
	s_delay_alu instid0(SALU_CYCLE_1) | instskip(NEXT) | instid1(SALU_CYCLE_1)
	s_lshl_b64 s[22:23], s[22:23], 2
	s_add_u32 s22, s17, s22
	s_addc_u32 s23, s13, s23
	s_or_b32 s21, s16, 0xe0
	s_delay_alu instid0(SALU_CYCLE_1) | instskip(SKIP_2) | instid1(SALU_CYCLE_1)
	s_ashr_i32 s24, s21, 4
	s_cmp_lt_i32 s21, s18
	s_cselect_b32 s24, s24, s3
	s_ashr_i32 s25, s24, 31
	s_delay_alu instid0(SALU_CYCLE_1)
	s_lshl_b64 s[24:25], s[24:25], 2
	s_waitcnt vmcnt(1)
	v_mad_i64_i32 v[3:4], null, v5, s5, v[1:2]
	s_waitcnt vmcnt(0)
	v_mad_i64_i32 v[5:6], null, v7, s5, v[1:2]
	v_lshlrev_b32_e32 v1, 4, v68
	s_clause 0x7
	global_load_b128 v[71:74], v[3:4], off
	global_load_b128 v[75:78], v[3:4], off offset:256
	global_load_b128 v[79:82], v[5:6], off
	global_load_b128 v[83:86], v[5:6], off offset:256
	global_load_b128 v[87:90], v[3:4], off offset:512
	;; [unrolled: 1-line block ×5, first 2 shown]
	v_lshl_or_b32 v1, v69, 8, v1
	s_load_b32 s3, s[22:23], 0x0
	s_add_u32 s22, s17, s24
	s_addc_u32 s23, s13, s25
	s_add_u32 s10, s10, s15
	s_addc_u32 s11, s11, s20
	v_add_co_u32 v1, s10, s10, v1
	s_delay_alu instid0(VALU_DEP_1) | instskip(SKIP_2) | instid1(VALU_DEP_1)
	v_add_co_ci_u32_e64 v2, null, s11, 0, s10
	s_load_b32 s10, s[22:23], 0x0
	s_waitcnt lgkmcnt(0)
	v_mad_i64_i32 v[3:4], null, s12, s5, v[1:2]
	v_mad_i64_i32 v[9:10], null, s7, s5, v[1:2]
	;; [unrolled: 1-line block ×7, first 2 shown]
	s_clause 0x5
	global_load_b128 v[49:52], v[3:4], off
	global_load_b128 v[53:56], v[3:4], off offset:16
	global_load_b128 v[41:44], v[5:6], off
	global_load_b128 v[45:48], v[5:6], off offset:16
	;; [unrolled: 2-line block ×3, first 2 shown]
	s_mov_b32 s4, 0
	v_mad_i64_i32 v[61:62], null, s10, s5, v[1:2]
	s_clause 0x9
	global_load_b128 v[1:4], v[9:10], off
	global_load_b128 v[5:8], v[9:10], off offset:16
	global_load_b128 v[9:12], v[13:14], off
	global_load_b128 v[13:16], v[13:14], off offset:16
	;; [unrolled: 2-line block ×5, first 2 shown]
	s_mov_b32 s5, s4
	s_mov_b32 s6, s4
	;; [unrolled: 1-line block ×7, first 2 shown]
	v_and_b32_e32 v104, 0xe0, v0
	v_dual_mov_b32 v126, s11 :: v_dual_mov_b32 v125, s10
	v_dual_mov_b32 v124, s9 :: v_dual_mov_b32 v123, s8
	s_delay_alu instid0(VALU_DEP_3)
	v_add_nc_u32_e32 v111, s16, v104
	ds_load_b128 v[103:106], v115
	ds_load_b128 v[107:110], v115 offset:1024
	v_dual_mov_b32 v122, s7 :: v_dual_mov_b32 v121, s6
	v_mov_b32_e32 v120, s5
	v_or_b32_e32 v135, v111, v66
	ds_load_b128 v[111:114], v115 offset:2048
	ds_load_b128 v[115:118], v115 offset:3072
	v_mov_b32_e32 v119, s4
	s_waitcnt vmcnt(0) lgkmcnt(0)
	s_barrier
	v_or_b32_e32 v137, 2, v135
	v_or_b32_e32 v138, 4, v135
	v_or_b32_e32 v139, 6, v135
	v_cmp_gt_i32_e32 vcc_lo, s18, v135
	v_or_b32_e32 v140, 8, v135
	v_cmp_gt_i32_e64 s3, s18, v137
	v_or_b32_e32 v141, 10, v135
	v_cmp_gt_i32_e64 s4, s18, v138
	v_cmp_gt_i32_e64 s5, s18, v139
	v_or_b32_e32 v142, 12, v135
	v_or_b32_e32 v143, 14, v135
	v_cmp_gt_i32_e64 s6, s18, v140
	v_cmp_gt_i32_e64 s7, s18, v141
	v_or_b32_e32 v144, 16, v135
	v_or_b32_e32 v145, 18, v135
	v_cmp_gt_i32_e64 s8, s18, v142
	v_cmp_gt_i32_e64 s9, s18, v143
	buffer_gl0_inv
	v_cmp_gt_i32_e64 s10, s18, v144
	v_cmp_gt_i32_e64 s11, s18, v145
	v_wmma_f32_16x16x16_f16 v[127:134], v[71:78], v[103:110], v[119:126]
	v_wmma_f32_16x16x16_f16 v[119:126], v[79:86], v[103:110], v[119:126]
	v_or_b32_e32 v71, 20, v135
	v_or_b32_e32 v72, 22, v135
	s_delay_alu instid0(VALU_DEP_4)
	v_wmma_f32_16x16x16_f16 v[127:134], v[87:94], v[111:118], v[127:134]
	v_or_b32_e32 v73, 24, v135
	v_wmma_f32_16x16x16_f16 v[119:126], v[95:102], v[111:118], v[119:126]
	v_or_b32_e32 v74, 26, v135
	v_cmp_gt_i32_e64 s12, s18, v71
	v_dual_mul_f32 v83, s19, v128 :: v_dual_mul_f32 v84, s19, v127
	v_dual_mul_f32 v81, s19, v130 :: v_dual_mul_f32 v82, s19, v129
	;; [unrolled: 1-line block ×3, first 2 shown]
	s_delay_alu instid0(VALU_DEP_3) | instskip(NEXT) | instid1(VALU_DEP_4)
	v_cndmask_b32_e32 v84, 0xff7fffff, v84, vcc_lo
	v_cndmask_b32_e64 v83, 0xff7fffff, v83, s3
	v_mul_f32_e32 v80, s19, v131
	v_cndmask_b32_e64 v82, 0xff7fffff, v82, s4
	v_cndmask_b32_e64 v81, 0xff7fffff, v81, s5
	v_dual_mul_f32 v77, s19, v134 :: v_dual_mul_f32 v90, s19, v121
	v_max3_f32 v83, v84, 0xff7fffff, v83
	v_mul_f32_e32 v78, s19, v133
	v_cndmask_b32_e64 v80, 0xff7fffff, v80, s6
	v_cndmask_b32_e64 v79, 0xff7fffff, v79, s7
	v_mul_f32_e32 v91, s19, v120
	v_max3_f32 v81, v83, v82, v81
	v_cndmask_b32_e64 v78, 0xff7fffff, v78, s8
	v_cndmask_b32_e64 v77, 0xff7fffff, v77, s9
	v_mul_f32_e32 v89, s19, v122
	v_cmp_gt_i32_e64 s13, s18, v72
	v_max3_f32 v79, v81, v80, v79
	v_cndmask_b32_e64 v80, 0xff7fffff, v92, s10
	v_cndmask_b32_e64 v81, 0xff7fffff, v91, s11
	v_or_b32_e32 v75, 28, v135
	v_or_b32_e32 v76, 30, v135
	v_max3_f32 v77, v79, v78, v77
	v_dual_mul_f32 v87, s19, v124 :: v_dual_mul_f32 v88, s19, v123
	v_cndmask_b32_e64 v71, 0xff7fffff, v90, s12
	v_cndmask_b32_e64 v72, 0xff7fffff, v89, s13
	s_delay_alu instid0(VALU_DEP_4) | instskip(SKIP_3) | instid1(VALU_DEP_4)
	v_max3_f32 v77, v77, v80, v81
	v_cmp_gt_i32_e64 s15, s18, v73
	v_cmp_gt_i32_e64 s16, s18, v74
	v_dual_mul_f32 v85, s19, v126 :: v_dual_mul_f32 v86, s19, v125
	v_max3_f32 v71, v77, v71, v72
	s_delay_alu instid0(VALU_DEP_4) | instskip(NEXT) | instid1(VALU_DEP_4)
	v_cndmask_b32_e64 v73, 0xff7fffff, v88, s15
	v_cndmask_b32_e64 v74, 0xff7fffff, v87, s16
	v_cmp_gt_i32_e64 s17, s18, v75
	v_cmp_gt_i32_e64 s18, s18, v76
	s_delay_alu instid0(VALU_DEP_3) | instskip(NEXT) | instid1(VALU_DEP_3)
	v_max3_f32 v71, v71, v73, v74
	v_cndmask_b32_e64 v72, 0xff7fffff, v86, s17
	s_delay_alu instid0(VALU_DEP_3) | instskip(SKIP_1) | instid1(VALU_DEP_2)
	v_cndmask_b32_e64 v75, 0xff7fffff, v85, s18
	v_lshlrev_b32_e32 v73, 2, v136
	v_max3_f32 v71, v71, v72, v75
	ds_bpermute_b32 v72, v73, v71
	s_waitcnt lgkmcnt(0)
	v_max_f32_e32 v72, v72, v72
	s_delay_alu instid0(VALU_DEP_1) | instskip(NEXT) | instid1(VALU_DEP_1)
	v_max_f32_e32 v71, v71, v72
	v_fma_f32 v72, s19, v127, -v71
	v_fma_f32 v74, s19, v128, -v71
	;; [unrolled: 1-line block ×5, first 2 shown]
	v_mul_f32_e32 v72, 0x3fb8aa3b, v72
	s_delay_alu instid0(VALU_DEP_4) | instskip(NEXT) | instid1(VALU_DEP_4)
	v_dual_mul_f32 v74, 0x3fb8aa3b, v74 :: v_dual_mul_f32 v75, 0x3fb8aa3b, v75
	v_mul_f32_e32 v76, 0x3fb8aa3b, v76
	s_delay_alu instid0(VALU_DEP_4) | instskip(NEXT) | instid1(VALU_DEP_4)
	v_mul_f32_e32 v82, 0x3fb8aa3b, v80
	v_exp_f32_e32 v72, v72
	s_delay_alu instid0(VALU_DEP_3)
	v_exp_f32_e32 v74, v74
	v_exp_f32_e32 v75, v75
	;; [unrolled: 1-line block ×3, first 2 shown]
	v_fma_f32 v77, s19, v131, -v71
	v_exp_f32_e32 v84, v82
	v_cndmask_b32_e32 v79, 0, v72, vcc_lo
	v_cndmask_b32_e64 v78, 0, v74, s3
	s_delay_alu instid0(TRANS32_DEP_3) | instskip(SKIP_1) | instid1(TRANS32_DEP_2)
	v_cndmask_b32_e64 v81, 0, v75, s4
	v_fma_f32 v72, s19, v132, -v71
	v_cndmask_b32_e64 v80, 0, v76, s5
	v_add_f32_e32 v74, 0, v79
	s_delay_alu instid0(TRANS32_DEP_1) | instskip(SKIP_2) | instid1(VALU_DEP_3)
	v_cndmask_b32_e64 v85, 0, v84, s8
	s_mov_b32 s3, exec_lo
	v_mul_f32_e32 v72, 0x3fb8aa3b, v72
	v_add_f32_e32 v74, v74, v78
	s_delay_alu instid0(VALU_DEP_2) | instskip(NEXT) | instid1(VALU_DEP_1)
	v_exp_f32_e32 v72, v72
	v_add_f32_e32 v74, v74, v81
	s_delay_alu instid0(VALU_DEP_1) | instskip(NEXT) | instid1(VALU_DEP_1)
	v_dual_mul_f32 v77, 0x3fb8aa3b, v77 :: v_dual_add_f32 v74, v74, v80
	v_exp_f32_e32 v77, v77
	s_waitcnt_depctr 0xfff
	v_cndmask_b32_e64 v82, 0, v72, s7
	v_cndmask_b32_e64 v83, 0, v77, s6
	s_delay_alu instid0(VALU_DEP_1) | instskip(SKIP_4) | instid1(VALU_DEP_4)
	v_add_f32_e32 v72, v74, v83
	v_fma_f32 v75, s19, v134, -v71
	v_fma_f32 v76, s19, v119, -v71
	;; [unrolled: 1-line block ×4, first 2 shown]
	v_dual_add_f32 v72, v72, v82 :: v_dual_mul_f32 v75, 0x3fb8aa3b, v75
	s_delay_alu instid0(VALU_DEP_3) | instskip(NEXT) | instid1(VALU_DEP_3)
	v_dual_mul_f32 v76, 0x3fb8aa3b, v76 :: v_dual_mul_f32 v77, 0x3fb8aa3b, v77
	v_mul_f32_e32 v74, 0x3fb8aa3b, v74
	v_fma_f32 v86, s19, v122, -v71
	s_delay_alu instid0(VALU_DEP_4) | instskip(NEXT) | instid1(VALU_DEP_3)
	v_exp_f32_e32 v75, v75
	v_exp_f32_e32 v76, v76
	;; [unrolled: 1-line block ×4, first 2 shown]
	v_mul_f32_e32 v86, 0x3fb8aa3b, v86
	s_delay_alu instid0(VALU_DEP_1)
	v_exp_f32_e32 v88, v86
	v_cndmask_b32_e64 v84, 0, v75, s9
	v_fma_f32 v75, s19, v123, -v71
	v_add_f32_e32 v72, v72, v85
	v_cndmask_b32_e64 v87, 0, v76, s10
	v_fma_f32 v76, s19, v124, -v71
	s_delay_alu instid0(TRANS32_DEP_3) | instskip(NEXT) | instid1(VALU_DEP_4)
	v_cndmask_b32_e64 v86, 0, v77, s11
	v_dual_mul_f32 v75, 0x3fb8aa3b, v75 :: v_dual_add_f32 v72, v72, v84
	v_fma_f32 v77, s19, v125, -v71
	s_delay_alu instid0(VALU_DEP_4) | instskip(SKIP_1) | instid1(VALU_DEP_4)
	v_mul_f32_e32 v76, 0x3fb8aa3b, v76
	v_cndmask_b32_e64 v89, 0, v74, s12
	v_exp_f32_e32 v75, v75
	v_add_f32_e32 v72, v72, v87
	v_mul_f32_e32 v74, 0x3fb8aa3b, v77
	v_exp_f32_e32 v76, v76
	v_cndmask_b32_e64 v88, 0, v88, s13
	v_fma_f32 v77, s19, v126, -v71
	v_add_f32_e32 v72, v72, v86
	v_exp_f32_e32 v74, v74
	s_delay_alu instid0(TRANS32_DEP_3) | instskip(NEXT) | instid1(VALU_DEP_2)
	v_cndmask_b32_e64 v91, 0, v75, s15
	v_add_f32_e32 v72, v72, v89
	v_mul_f32_e32 v75, 0x3fb8aa3b, v77
	s_delay_alu instid0(TRANS32_DEP_2) | instskip(NEXT) | instid1(VALU_DEP_3)
	v_cndmask_b32_e64 v90, 0, v76, s16
	v_add_f32_e32 v72, v72, v88
	s_delay_alu instid0(VALU_DEP_3) | instskip(NEXT) | instid1(TRANS32_DEP_2)
	v_exp_f32_e32 v75, v75
	v_cndmask_b32_e64 v93, 0, v74, s17
	s_delay_alu instid0(VALU_DEP_2) | instskip(NEXT) | instid1(VALU_DEP_1)
	v_add_f32_e32 v72, v72, v91
	v_add_f32_e32 v72, v72, v90
	s_waitcnt_depctr 0xfff
	v_cndmask_b32_e64 v92, 0, v75, s18
	v_add_f32_e32 v72, v72, v93
	s_delay_alu instid0(VALU_DEP_1)
	v_add_f32_e32 v72, v72, v92
	ds_bpermute_b32 v73, v73, v72
	v_cmpx_gt_u32_e32 16, v70
	s_cbranch_execz .LBB1145_12
; %bb.11:
	v_mul_u32_u24_e32 v70, 0x44, v69
	s_waitcnt lgkmcnt(0)
	v_add_f32_e32 v72, v72, v73
	s_delay_alu instid0(VALU_DEP_2) | instskip(NEXT) | instid1(VALU_DEP_1)
	v_lshl_add_u32 v70, v68, 2, v70
	v_add_nc_u32_e32 v70, 0x4000, v70
	ds_store_2addr_b32 v70, v71, v72 offset1:136
.LBB1145_12:
	s_or_b32 exec_lo, exec_lo, s3
	v_lshlrev_b32_e32 v70, 2, v68
	s_load_b32 s35, s[0:1], 0x94
	s_waitcnt lgkmcnt(0)
	s_barrier
	buffer_gl0_inv
	v_add_nc_u32_e32 v98, 0x4000, v70
	v_cmp_eq_u32_e32 vcc_lo, 1, v69
	v_cmp_eq_u32_e64 s3, 2, v69
	v_cmp_eq_u32_e64 s4, 3, v69
	;; [unrolled: 1-line block ×3, first 2 shown]
	ds_load_2addr_b32 v[70:71], v98 offset1:17
	ds_load_2addr_b32 v[72:73], v98 offset0:34 offset1:51
	ds_load_2addr_b32 v[74:75], v98 offset0:68 offset1:85
	;; [unrolled: 1-line block ×3, first 2 shown]
	v_cmp_eq_u32_e64 s6, 5, v69
	v_cmp_eq_u32_e64 s7, 7, v69
	s_waitcnt lgkmcnt(3)
	v_max3_f32 v76, v70, 0xff7fffff, v71
	s_waitcnt lgkmcnt(2)
	s_delay_alu instid0(VALU_DEP_1) | instskip(SKIP_1) | instid1(VALU_DEP_1)
	v_max3_f32 v76, v76, v72, v73
	s_waitcnt lgkmcnt(1)
	v_max3_f32 v76, v76, v74, v75
	s_waitcnt lgkmcnt(0)
	s_delay_alu instid0(VALU_DEP_1) | instskip(NEXT) | instid1(VALU_DEP_1)
	v_max3_f32 v76, v76, v94, v95
	v_sub_f32_e32 v77, v71, v76
	ds_load_2addr_b32 v[96:97], v98 offset0:136 offset1:153
	v_sub_f32_e32 v74, v74, v76
	v_sub_f32_e32 v70, v70, v76
	;; [unrolled: 1-line block ×3, first 2 shown]
	v_dual_sub_f32 v72, v72, v76 :: v_dual_mul_f32 v77, 0x3fb8aa3b, v77
	s_delay_alu instid0(VALU_DEP_4) | instskip(NEXT) | instid1(VALU_DEP_4)
	v_mul_f32_e32 v103, 0x3fb8aa3b, v74
	v_mul_f32_e32 v99, 0x3fb8aa3b, v70
	ds_load_2addr_b32 v[70:71], v98 offset0:170 offset1:187
	v_dual_mul_f32 v101, 0x3fb8aa3b, v72 :: v_dual_mul_f32 v94, 0x3fb8aa3b, v94
	v_exp_f32_e32 v102, v77
	v_exp_f32_e32 v99, v99
	s_delay_alu instid0(VALU_DEP_1) | instskip(NEXT) | instid1(VALU_DEP_1)
	v_exp_f32_e32 v101, v101
	v_exp_f32_e32 v94, v94
	s_waitcnt lgkmcnt(1)
	s_delay_alu instid0(TRANS32_DEP_3)
	v_fma_f32 v77, v99, v96, 0
	v_sub_f32_e32 v100, v73, v76
	ds_load_2addr_b32 v[72:73], v98 offset0:204 offset1:221
	v_fmac_f32_e32 v77, v102, v97
	v_exp_f32_e32 v97, v103
	s_waitcnt lgkmcnt(1)
	s_delay_alu instid0(VALU_DEP_1)
	v_dual_fmac_f32 v77, v101, v70 :: v_dual_sub_f32 v96, v75, v76
	ds_load_2addr_b32 v[74:75], v98 offset0:238 offset1:255
	v_sub_f32_e32 v70, v95, v76
	s_waitcnt lgkmcnt(0)
	s_barrier
	v_mul_f32_e32 v96, 0x3fb8aa3b, v96
	buffer_gl0_inv
	v_exp_f32_e32 v95, v96
	v_mul_f32_e32 v100, 0x3fb8aa3b, v100
	s_delay_alu instid0(VALU_DEP_1) | instskip(SKIP_3) | instid1(VALU_DEP_2)
	v_exp_f32_e32 v100, v100
	s_waitcnt_depctr 0xfff
	v_dual_fmac_f32 v77, v100, v71 :: v_dual_mul_f32 v70, 0x3fb8aa3b, v70
	v_cndmask_b32_e32 v71, v99, v102, vcc_lo
	v_fmac_f32_e32 v77, v97, v72
	s_delay_alu instid0(VALU_DEP_3) | instskip(NEXT) | instid1(VALU_DEP_1)
	v_exp_f32_e32 v96, v70
	v_fmac_f32_e32 v77, v95, v73
	s_delay_alu instid0(VALU_DEP_1) | instskip(SKIP_2) | instid1(VALU_DEP_1)
	v_fmac_f32_e32 v77, v94, v74
	s_waitcnt_depctr 0xfff
	v_fmac_f32_e32 v77, v96, v75
	v_add_f32_e32 v74, 0x358637bd, v77
	s_delay_alu instid0(VALU_DEP_1) | instskip(SKIP_1) | instid1(VALU_DEP_2)
	v_div_scale_f32 v98, null, v74, v74, 1.0
	v_div_scale_f32 v99, vcc_lo, 1.0, v74, 1.0
	v_rcp_f32_e32 v103, v98
	s_waitcnt_depctr 0xfff
	v_fma_f32 v70, -v98, v103, 1.0
	s_delay_alu instid0(VALU_DEP_1) | instskip(SKIP_2) | instid1(VALU_DEP_2)
	v_fmac_f32_e32 v103, v70, v103
	v_cndmask_b32_e64 v70, v71, v101, s3
	v_cmp_eq_u32_e64 s3, 6, v69
	v_cndmask_b32_e64 v71, v70, v100, s4
	s_delay_alu instid0(VALU_DEP_4) | instskip(NEXT) | instid1(VALU_DEP_2)
	v_dual_mul_f32 v101, v99, v103 :: v_dual_lshlrev_b32 v70, 2, v66
	v_cndmask_b32_e64 v71, v71, v97, s5
	s_delay_alu instid0(VALU_DEP_2) | instskip(NEXT) | instid1(VALU_DEP_3)
	v_or_b32_e32 v72, 1, v70
	v_fma_f32 v100, -v98, v101, v99
	v_cmp_eq_u32_e64 s4, 1, v70
	v_cmp_eq_u32_e64 s5, 2, v70
	v_cndmask_b32_e64 v95, v71, v95, s6
	v_or_b32_e32 v71, 3, v70
	v_fmac_f32_e32 v101, v100, v103
	v_cmp_eq_u32_e64 s9, 1, v72
	v_cmp_eq_u32_e64 s12, 2, v72
	v_cndmask_b32_e64 v94, v95, v94, s3
	v_cmp_eq_u32_e64 s11, 1, v71
	v_fma_f32 v97, -v98, v101, v99
	v_cmp_eq_u32_e64 s16, 2, v71
	v_cmp_eq_u32_e64 s13, 3, v72
	v_cndmask_b32_e64 v94, v94, v96, s7
	v_cmp_eq_u32_e64 s18, 3, v71
	v_div_fmas_f32 v95, v97, v103, v101
	v_cmp_eq_u32_e32 vcc_lo, 3, v70
	v_cmp_eq_u32_e64 s3, 4, v70
	v_cmp_eq_u32_e64 s19, 4, v72
	;; [unrolled: 1-line block ×3, first 2 shown]
	v_div_fixup_f32 v95, v95, v74, 1.0
	v_lshlrev_b32_e32 v73, 6, v68
	v_cmp_eq_u32_e64 s6, 5, v70
	v_cmp_eq_u32_e64 s20, 5, v72
	;; [unrolled: 1-line block ×3, first 2 shown]
	v_mul_f32_e32 v102, v94, v95
	v_lshl_or_b32 v75, v69, 11, v73
	v_or_b32_e32 v69, 2, v70
	v_cmp_eq_u32_e64 s25, 6, v72
	v_cmp_eq_u32_e64 s27, 6, v71
	v_fma_mixlo_f16 v94, v102, v79, 0
	v_fma_mixlo_f16 v95, v102, v81, 0
	;; [unrolled: 1-line block ×8, first 2 shown]
	v_lshl_or_b32 v74, v66, 4, v75
	v_fma_mixhi_f16 v94, v102, v78, 0
	v_fma_mixhi_f16 v95, v102, v80, 0
	;; [unrolled: 1-line block ×8, first 2 shown]
	ds_store_b128 v74, v[94:97]
	ds_store_b128 v74, v[98:101] offset:1024
	s_waitcnt lgkmcnt(0)
	s_barrier
	buffer_gl0_inv
	ds_load_b128 v[78:81], v75
	ds_load_b128 v[82:85], v75 offset:16
	ds_load_b128 v[86:89], v75 offset:1024
	;; [unrolled: 1-line block ×3, first 2 shown]
	v_cmp_eq_u32_e64 s10, 1, v69
	v_cmp_eq_u32_e64 s15, 2, v69
	;; [unrolled: 1-line block ×11, first 2 shown]
	s_waitcnt lgkmcnt(3)
	v_lshrrev_b32_e32 v94, 16, v78
	s_waitcnt lgkmcnt(2)
	v_lshrrev_b32_e32 v98, 16, v82
	;; [unrolled: 2-line block ×4, first 2 shown]
	v_lshrrev_b32_e32 v95, 16, v79
	v_cndmask_b32_e64 v110, v78, v94, s4
	v_cndmask_b32_e64 v111, v82, v98, s4
	;; [unrolled: 1-line block ×8, first 2 shown]
	v_lshrrev_b32_e32 v99, 16, v83
	v_cndmask_b32_e64 v94, v86, v102, s4
	v_cndmask_b32_e64 v98, v90, v106, s4
	;; [unrolled: 1-line block ×15, first 2 shown]
	v_lshrrev_b32_e32 v103, 16, v87
	v_lshrrev_b32_e32 v107, 16, v91
	v_cndmask_b32_e64 v113, v115, v83, s15
	v_cndmask_b32_e64 v82, v94, v87, s5
	;; [unrolled: 1-line block ×7, first 2 shown]
	v_cndmask_b32_e32 v90, v102, v95, vcc_lo
	v_cndmask_b32_e32 v102, v106, v99, vcc_lo
	v_cndmask_b32_e64 v106, v110, v95, s13
	v_cndmask_b32_e64 v110, v111, v99, s13
	;; [unrolled: 1-line block ×4, first 2 shown]
	v_lshrrev_b32_e32 v96, 16, v80
	v_lshrrev_b32_e32 v100, 16, v84
	v_cndmask_b32_e64 v111, v112, v95, s17
	v_cndmask_b32_e64 v112, v113, v99, s17
	v_cndmask_b32_e32 v82, v82, v103, vcc_lo
	v_cndmask_b32_e32 v83, v83, v107, vcc_lo
	v_cndmask_b32_e64 v94, v94, v103, s13
	v_cndmask_b32_e64 v90, v90, v80, s3
	;; [unrolled: 1-line block ×7, first 2 shown]
	v_lshrrev_b32_e32 v104, 16, v88
	v_cndmask_b32_e64 v106, v111, v80, s21
	v_cndmask_b32_e64 v110, v112, v84, s21
	v_cndmask_b32_e64 v80, v82, v88, s3
	v_cndmask_b32_e64 v82, v83, v92, s3
	v_cndmask_b32_e64 v83, v94, v88, s19
	v_cndmask_b32_e64 v84, v90, v96, s6
	v_cndmask_b32_e64 v90, v95, v100, s6
	v_cndmask_b32_e64 v94, v99, v96, s20
	v_cndmask_b32_e64 v95, v102, v100, s20
	v_cndmask_b32_e64 v78, v78, v96, s24
	v_cndmask_b32_e64 v79, v79, v100, s24
	v_lshrrev_b32_e32 v97, 16, v81
	v_lshrrev_b32_e32 v101, 16, v85
	v_cndmask_b32_e64 v99, v106, v96, s23
	v_cndmask_b32_e64 v102, v110, v100, s23
	;; [unrolled: 1-line block ×7, first 2 shown]
	v_lshrrev_b32_e32 v105, 16, v89
	v_cndmask_b32_e64 v80, v80, v104, s6
	v_cndmask_b32_e64 v84, v84, v81, s7
	;; [unrolled: 1-line block ×16, first 2 shown]
	v_perm_b32 v81, v79, v78, 0x5040100
	v_perm_b32 v79, v95, v85, 0x5040100
	v_cndmask_b32_e64 v78, v119, v91, s15
	v_cndmask_b32_e64 v85, v117, v91, s12
	v_cndmask_b32_e64 v96, v80, v105, s8
	v_perm_b32 v80, v94, v90, 0x5040100
	v_cndmask_b32_e64 v90, v98, v103, s17
	v_cndmask_b32_e64 v86, v86, v103, s18
	;; [unrolled: 1-line block ×5, first 2 shown]
	v_lshrrev_b32_e32 v108, 16, v92
	v_cndmask_b32_e64 v90, v90, v88, s21
	v_cndmask_b32_e64 v86, v86, v88, s22
	;; [unrolled: 1-line block ×11, first 2 shown]
	v_lshrrev_b32_e32 v109, 16, v93
	v_cndmask_b32_e64 v82, v82, v93, s7
	v_cndmask_b32_e64 v88, v88, v89, s26
	v_cndmask_b32_e64 v86, v86, v89, s27
	v_cndmask_b32_e64 v87, v87, v93, s27
	v_cndmask_b32_e64 v78, v78, v93, s26
	v_cndmask_b32_e64 v85, v85, v93, s25
	v_cndmask_b32_e64 v88, v88, v105, s28
	v_cndmask_b32_e64 v86, v86, v105, s29
	v_cndmask_b32_e64 v87, v87, v109, s29
	v_cndmask_b32_e64 v89, v78, v109, s28
	v_cndmask_b32_e64 v90, v85, v109, s30
	v_cndmask_b32_e64 v82, v82, v109, s8
	v_perm_b32 v78, v84, v83, 0x5040100
	v_perm_b32 v85, v87, v86, 0x5040100
	;; [unrolled: 1-line block ×5, first 2 shown]
	s_mul_i32 s8, s33, 12
	s_mov_b32 s3, exec_lo
	ds_store_b128 v74, v[78:81]
	ds_store_b128 v74, v[82:85] offset:1024
	v_cmpx_gt_u32_e32 12, v0
	s_cbranch_execz .LBB1145_14
; %bb.13:
	s_mul_i32 s4, s8, s34
	s_delay_alu instid0(SALU_CYCLE_1) | instskip(SKIP_1) | instid1(VALU_DEP_1)
	v_add3_u32 v68, s4, s31, v68
	s_load_b128 s[4:7], s[0:1], 0x58
	v_mad_u64_u32 v[78:79], null, v68, s35, s[14:15]
	s_delay_alu instid0(VALU_DEP_1) | instskip(NEXT) | instid1(VALU_DEP_1)
	v_ashrrev_i32_e32 v79, 31, v78
	v_lshlrev_b64 v[78:79], 2, v[78:79]
	s_waitcnt lgkmcnt(0)
	s_delay_alu instid0(VALU_DEP_1) | instskip(NEXT) | instid1(VALU_DEP_2)
	v_add_co_u32 v80, vcc_lo, s6, v78
	v_add_co_ci_u32_e32 v81, vcc_lo, s7, v79, vcc_lo
	v_add_co_u32 v78, vcc_lo, s4, v78
	v_add_co_ci_u32_e32 v79, vcc_lo, s5, v79, vcc_lo
	global_store_b32 v[80:81], v76, off
	global_store_b32 v[78:79], v77, off
.LBB1145_14:
	s_or_b32 exec_lo, exec_lo, s3
	s_waitcnt lgkmcnt(0)
	s_waitcnt_vscnt null, 0x0
	s_barrier
	buffer_gl0_inv
	ds_load_b128 v[84:87], v73
	ds_load_b128 v[88:91], v73 offset:16
	ds_load_b128 v[96:99], v73 offset:2064
	;; [unrolled: 1-line block ×5, first 2 shown]
	v_cmp_eq_u32_e32 vcc_lo, 1, v70
	v_mov_b32_e32 v76, 0
	ds_load_b128 v[112:115], v73 offset:6160
	ds_load_b128 v[108:111], v73 offset:6144
	;; [unrolled: 1-line block ×4, first 2 shown]
	v_cmp_eq_u32_e64 s4, 1, v69
	v_cmp_eq_u32_e64 s3, 1, v72
	;; [unrolled: 1-line block ×3, first 2 shown]
	v_mov_b32_e32 v77, v76
	v_mov_b32_e32 v78, v76
	;; [unrolled: 1-line block ×7, first 2 shown]
	v_cmp_eq_u32_e64 s6, 3, v72
	v_cmp_eq_u32_e64 s7, 7, v72
	s_waitcnt lgkmcnt(8)
	s_delay_alu instid0(VALU_DEP_3)
	v_wmma_f32_16x16x16_f16 v[76:83], v[49:56], v[84:91], v[76:83]
	ds_load_b128 v[53:56], v73 offset:10256
	ds_load_b128 v[49:52], v73 offset:10240
	s_waitcnt lgkmcnt(8)
	v_wmma_f32_16x16x16_f16 v[76:83], v[41:48], v[92:99], v[76:83]
	ds_load_b128 v[45:48], v73 offset:12304
	ds_load_b128 v[41:44], v73 offset:12288
	s_waitcnt lgkmcnt(8)
	;; [unrolled: 4-line block ×3, first 2 shown]
	s_barrier
	buffer_gl0_inv
	v_wmma_f32_16x16x16_f16 v[76:83], v[1:8], v[108:115], v[76:83]
	s_delay_alu instid0(VALU_DEP_1) | instskip(NEXT) | instid1(VALU_DEP_1)
	v_wmma_f32_16x16x16_f16 v[76:83], v[9:16], v[116:123], v[76:83]
	v_wmma_f32_16x16x16_f16 v[76:83], v[17:24], v[49:56], v[76:83]
	s_delay_alu instid0(VALU_DEP_1) | instskip(NEXT) | instid1(VALU_DEP_1)
	v_wmma_f32_16x16x16_f16 v[76:83], v[25:32], v[41:48], v[76:83]
	v_wmma_f32_16x16x16_f16 v[76:83], v[57:64], v[33:40], v[76:83]
	s_delay_alu instid0(VALU_DEP_1) | instskip(NEXT) | instid1(VALU_DEP_2)
	v_cvt_f16_f32_e32 v1, v76
	v_cvt_f16_f32_e32 v2, v77
	s_delay_alu instid0(VALU_DEP_3) | instskip(NEXT) | instid1(VALU_DEP_4)
	v_cvt_f16_f32_e32 v3, v78
	v_cvt_f16_f32_e32 v4, v79
	;; [unrolled: 1-line block ×6, first 2 shown]
	v_pack_b32_f16 v1, v1, v2
	v_pack_b32_f16 v2, v3, v4
	;; [unrolled: 1-line block ×3, first 2 shown]
	s_delay_alu instid0(VALU_DEP_4)
	v_pack_b32_f16 v4, v7, v8
	ds_store_b128 v74, v[1:4]
	s_waitcnt lgkmcnt(0)
	s_barrier
	buffer_gl0_inv
	ds_load_b128 v[1:4], v75
	ds_load_b128 v[5:8], v75 offset:16
	s_waitcnt lgkmcnt(1)
	v_lshrrev_b32_e32 v9, 16, v1
	s_waitcnt lgkmcnt(0)
	v_lshrrev_b32_e32 v13, 16, v5
	v_lshrrev_b32_e32 v10, 16, v2
	;; [unrolled: 1-line block ×4, first 2 shown]
	v_cndmask_b32_e32 v17, v1, v9, vcc_lo
	v_cndmask_b32_e32 v18, v5, v13, vcc_lo
	v_cndmask_b32_e64 v21, v1, v9, s4
	v_cmp_eq_u32_e32 vcc_lo, 1, v71
	v_cndmask_b32_e64 v22, v5, v13, s4
	v_cmp_eq_u32_e64 s4, 2, v70
	v_cndmask_b32_e64 v19, v1, v9, s3
	v_cndmask_b32_e64 v20, v5, v13, s3
	v_cndmask_b32_e32 v1, v1, v9, vcc_lo
	v_cmp_eq_u32_e64 s3, 2, v71
	v_cndmask_b32_e32 v5, v5, v13, vcc_lo
	v_cndmask_b32_e64 v9, v17, v2, s4
	v_cmp_eq_u32_e32 vcc_lo, 3, v70
	v_cndmask_b32_e64 v13, v18, v6, s4
	v_cmp_eq_u32_e64 s4, 2, v69
	v_cndmask_b32_e64 v17, v19, v2, s5
	v_cndmask_b32_e64 v18, v20, v6, s5
	v_cmp_eq_u32_e64 s5, 3, v69
	v_cndmask_b32_e64 v1, v1, v2, s3
	v_cndmask_b32_e64 v19, v21, v2, s4
	;; [unrolled: 1-line block ×4, first 2 shown]
	v_cndmask_b32_e32 v5, v9, v10, vcc_lo
	v_cndmask_b32_e32 v6, v13, v14, vcc_lo
	v_cmp_eq_u32_e32 vcc_lo, 3, v71
	v_cndmask_b32_e64 v9, v17, v10, s6
	v_cndmask_b32_e64 v13, v18, v14, s6
	;; [unrolled: 1-line block ×3, first 2 shown]
	v_cmp_eq_u32_e64 s4, 4, v70
	v_cndmask_b32_e32 v1, v1, v10, vcc_lo
	v_cndmask_b32_e32 v2, v2, v14, vcc_lo
	v_cmp_eq_u32_e32 vcc_lo, 4, v72
	v_lshrrev_b32_e32 v15, 16, v7
	v_lshrrev_b32_e32 v16, 16, v8
	v_cndmask_b32_e64 v17, v19, v10, s5
	v_cmp_eq_u32_e64 s3, 4, v71
	v_cndmask_b32_e64 v5, v5, v3, s4
	v_cndmask_b32_e64 v6, v6, v7, s4
	v_cndmask_b32_e32 v9, v9, v3, vcc_lo
	v_cmp_eq_u32_e64 s4, 5, v72
	v_cndmask_b32_e32 v10, v13, v7, vcc_lo
	v_cmp_eq_u32_e32 vcc_lo, 4, v69
	v_cmp_eq_u32_e64 s5, 5, v70
	v_cndmask_b32_e64 v2, v2, v7, s3
	v_cndmask_b32_e64 v9, v9, v11, s4
	;; [unrolled: 1-line block ×3, first 2 shown]
	v_cndmask_b32_e32 v13, v17, v3, vcc_lo
	v_cmp_eq_u32_e64 s4, 5, v69
	v_cndmask_b32_e32 v14, v18, v7, vcc_lo
	v_cndmask_b32_e64 v1, v1, v3, s3
	v_cmp_eq_u32_e32 vcc_lo, 5, v71
	v_lshrrev_b32_e32 v12, 16, v4
	v_cndmask_b32_e64 v13, v13, v11, s4
	v_cndmask_b32_e64 v3, v14, v15, s4
	v_cmp_eq_u32_e64 s4, 6, v71
	v_cndmask_b32_e32 v1, v1, v11, vcc_lo
	v_cndmask_b32_e64 v5, v5, v11, s5
	v_cmp_eq_u32_e64 s6, 6, v70
	v_cndmask_b32_e64 v6, v6, v15, s5
	v_cmp_eq_u32_e64 s5, 6, v72
	v_cmp_eq_u32_e64 s3, 6, v69
	v_cndmask_b32_e64 v1, v1, v4, s4
	v_cndmask_b32_e32 v2, v2, v15, vcc_lo
	v_cmp_eq_u32_e32 vcc_lo, 7, v71
	v_cndmask_b32_e64 v5, v5, v4, s6
	v_cndmask_b32_e64 v9, v9, v4, s5
	;; [unrolled: 1-line block ×3, first 2 shown]
	v_cmp_eq_u32_e64 s6, 7, v70
	v_cndmask_b32_e32 v1, v1, v12, vcc_lo
	v_cndmask_b32_e64 v7, v13, v4, s3
	v_cndmask_b32_e64 v3, v3, v8, s3
	;; [unrolled: 1-line block ×3, first 2 shown]
	v_cmp_eq_u32_e64 s3, 7, v69
	v_cndmask_b32_e64 v4, v10, v8, s5
	v_cndmask_b32_e64 v5, v5, v12, s6
	;; [unrolled: 1-line block ×3, first 2 shown]
	v_cndmask_b32_e32 v2, v2, v16, vcc_lo
	v_cndmask_b32_e64 v7, v7, v12, s3
	v_cndmask_b32_e64 v3, v3, v16, s3
	v_cndmask_b32_e64 v8, v4, v16, s7
	v_cndmask_b32_e64 v6, v6, v16, s6
	v_cmp_gt_u32_e32 vcc_lo, 32, v0
	v_perm_b32 v4, v2, v1, 0x5040100
	v_perm_b32 v3, v3, v7, 0x5040100
	;; [unrolled: 1-line block ×4, first 2 shown]
	s_and_b32 s2, vcc_lo, s2
	ds_store_b128 v74, v[1:4]
	s_waitcnt lgkmcnt(0)
	s_barrier
	buffer_gl0_inv
	s_and_saveexec_b32 s3, s2
	s_cbranch_execz .LBB1145_2
; %bb.15:
	s_load_b64 s[0:1], s[0:1], 0x68
	v_lshlrev_b32_e32 v0, 10, v0
	s_lshl_b32 s4, s35, 6
	v_or_b32_e32 v3, s31, v66
	s_mul_i32 s2, s4, s34
	v_lshlrev_b32_e32 v1, 4, v67
	s_mul_i32 s2, s2, s8
	v_lshlrev_b32_e32 v2, 6, v66
	v_and_b32_e32 v0, 0x3800, v0
	s_ashr_i32 s3, s2, 31
	v_mul_lo_u32 v4, v3, s4
	s_lshl_b64 s[2:3], s[2:3], 1
	s_delay_alu instid0(VALU_DEP_2) | instskip(NEXT) | instid1(VALU_DEP_2)
	v_or3_b32 v16, v0, v1, v2
	v_ashrrev_i32_e32 v5, 31, v4
	ds_load_b128 v[0:3], v16
	s_waitcnt lgkmcnt(0)
	s_add_u32 s2, s0, s2
	s_addc_u32 s3, s1, s3
	s_lshl_b32 s0, s14, 6
	v_lshlrev_b64 v[5:6], 1, v[4:5]
	s_ashr_i32 s1, s0, 31
	s_delay_alu instid0(SALU_CYCLE_1) | instskip(NEXT) | instid1(SALU_CYCLE_1)
	s_lshl_b64 s[0:1], s[0:1], 1
	s_add_u32 s0, s2, s0
	s_addc_u32 s1, s3, s1
	s_lshl_b32 s2, s35, 7
	v_add_co_u32 v30, s0, s0, v65
	v_add_nc_u32_e32 v8, s2, v4
	v_add_co_ci_u32_e64 v31, null, s1, 0, s0
	s_delay_alu instid0(VALU_DEP_3) | instskip(NEXT) | instid1(VALU_DEP_3)
	v_add_co_u32 v12, vcc_lo, v30, v5
	v_add_nc_u32_e32 v10, s2, v8
	v_ashrrev_i32_e32 v9, 31, v8
	s_delay_alu instid0(VALU_DEP_4)
	v_add_co_ci_u32_e32 v13, vcc_lo, v31, v6, vcc_lo
	ds_load_b128 v[4:7], v16 offset:128
	v_ashrrev_i32_e32 v11, 31, v10
	v_lshlrev_b64 v[8:9], 1, v[8:9]
	v_add_nc_u32_e32 v14, s2, v10
	global_store_b128 v[12:13], v[0:3], off
	v_lshlrev_b64 v[0:1], 1, v[10:11]
	v_ashrrev_i32_e32 v15, 31, v14
	v_add_co_u32 v22, vcc_lo, v30, v8
	v_add_nc_u32_e32 v20, s2, v14
	v_add_co_ci_u32_e32 v23, vcc_lo, v31, v9, vcc_lo
	v_add_co_u32 v26, vcc_lo, v30, v0
	v_lshlrev_b64 v[24:25], 1, v[14:15]
	v_add_co_ci_u32_e32 v27, vcc_lo, v31, v1, vcc_lo
	ds_load_b128 v[0:3], v16 offset:256
	ds_load_b128 v[8:11], v16 offset:384
	;; [unrolled: 1-line block ×4, first 2 shown]
	v_add_nc_u32_e32 v28, s2, v20
	v_ashrrev_i32_e32 v21, 31, v20
	v_add_co_u32 v24, vcc_lo, v30, v24
	v_add_co_ci_u32_e32 v25, vcc_lo, v31, v25, vcc_lo
	s_delay_alu instid0(VALU_DEP_4) | instskip(NEXT) | instid1(VALU_DEP_4)
	v_ashrrev_i32_e32 v29, 31, v28
	v_lshlrev_b64 v[20:21], 1, v[20:21]
	s_delay_alu instid0(VALU_DEP_2) | instskip(NEXT) | instid1(VALU_DEP_2)
	v_lshlrev_b64 v[28:29], 1, v[28:29]
	v_add_co_u32 v20, vcc_lo, v30, v20
	s_delay_alu instid0(VALU_DEP_3) | instskip(NEXT) | instid1(VALU_DEP_3)
	v_add_co_ci_u32_e32 v21, vcc_lo, v31, v21, vcc_lo
	v_add_co_u32 v28, vcc_lo, v30, v28
	s_delay_alu instid0(VALU_DEP_4)
	v_add_co_ci_u32_e32 v29, vcc_lo, v31, v29, vcc_lo
	s_waitcnt lgkmcnt(4)
	global_store_b128 v[22:23], v[4:7], off
	s_waitcnt lgkmcnt(3)
	global_store_b128 v[26:27], v[0:3], off
	;; [unrolled: 2-line block ×5, first 2 shown]
	s_nop 0
	s_sendmsg sendmsg(MSG_DEALLOC_VGPRS)
	s_endpgm
	.section	.rodata,"a",@progbits
	.p2align	6, 0x0
	.amdhsa_kernel _Z39paged_attention_ll4mi_QKV_mfma16_kernelIDF16_hLN4vllm18Fp8KVCacheDataTypeE1EDF16_Li16ELi64ELi256ELb0ELi12EL8MFMAType0EEvPKT_PKT0_S8_ifPKiSA_SA_iPKfiiiPfSD_PS3_PT2_iSC_SC_
		.amdhsa_group_segment_fixed_size 17472
		.amdhsa_private_segment_fixed_size 0
		.amdhsa_kernarg_size 400
		.amdhsa_user_sgpr_count 13
		.amdhsa_user_sgpr_dispatch_ptr 0
		.amdhsa_user_sgpr_queue_ptr 0
		.amdhsa_user_sgpr_kernarg_segment_ptr 1
		.amdhsa_user_sgpr_dispatch_id 0
		.amdhsa_user_sgpr_private_segment_size 0
		.amdhsa_wavefront_size32 1
		.amdhsa_uses_dynamic_stack 0
		.amdhsa_enable_private_segment 0
		.amdhsa_system_sgpr_workgroup_id_x 1
		.amdhsa_system_sgpr_workgroup_id_y 1
		.amdhsa_system_sgpr_workgroup_id_z 1
		.amdhsa_system_sgpr_workgroup_info 0
		.amdhsa_system_vgpr_workitem_id 0
		.amdhsa_next_free_vgpr 146
		.amdhsa_next_free_sgpr 36
		.amdhsa_reserve_vcc 1
		.amdhsa_float_round_mode_32 0
		.amdhsa_float_round_mode_16_64 0
		.amdhsa_float_denorm_mode_32 3
		.amdhsa_float_denorm_mode_16_64 3
		.amdhsa_dx10_clamp 1
		.amdhsa_ieee_mode 1
		.amdhsa_fp16_overflow 0
		.amdhsa_workgroup_processor_mode 1
		.amdhsa_memory_ordered 1
		.amdhsa_forward_progress 0
		.amdhsa_shared_vgpr_count 0
		.amdhsa_exception_fp_ieee_invalid_op 0
		.amdhsa_exception_fp_denorm_src 0
		.amdhsa_exception_fp_ieee_div_zero 0
		.amdhsa_exception_fp_ieee_overflow 0
		.amdhsa_exception_fp_ieee_underflow 0
		.amdhsa_exception_fp_ieee_inexact 0
		.amdhsa_exception_int_div_zero 0
	.end_amdhsa_kernel
	.section	.text._Z39paged_attention_ll4mi_QKV_mfma16_kernelIDF16_hLN4vllm18Fp8KVCacheDataTypeE1EDF16_Li16ELi64ELi256ELb0ELi12EL8MFMAType0EEvPKT_PKT0_S8_ifPKiSA_SA_iPKfiiiPfSD_PS3_PT2_iSC_SC_,"axG",@progbits,_Z39paged_attention_ll4mi_QKV_mfma16_kernelIDF16_hLN4vllm18Fp8KVCacheDataTypeE1EDF16_Li16ELi64ELi256ELb0ELi12EL8MFMAType0EEvPKT_PKT0_S8_ifPKiSA_SA_iPKfiiiPfSD_PS3_PT2_iSC_SC_,comdat
.Lfunc_end1145:
	.size	_Z39paged_attention_ll4mi_QKV_mfma16_kernelIDF16_hLN4vllm18Fp8KVCacheDataTypeE1EDF16_Li16ELi64ELi256ELb0ELi12EL8MFMAType0EEvPKT_PKT0_S8_ifPKiSA_SA_iPKfiiiPfSD_PS3_PT2_iSC_SC_, .Lfunc_end1145-_Z39paged_attention_ll4mi_QKV_mfma16_kernelIDF16_hLN4vllm18Fp8KVCacheDataTypeE1EDF16_Li16ELi64ELi256ELb0ELi12EL8MFMAType0EEvPKT_PKT0_S8_ifPKiSA_SA_iPKfiiiPfSD_PS3_PT2_iSC_SC_
                                        ; -- End function
	.section	.AMDGPU.csdata,"",@progbits
; Kernel info:
; codeLenInByte = 6588
; NumSgprs: 38
; NumVgprs: 146
; ScratchSize: 0
; MemoryBound: 0
; FloatMode: 240
; IeeeMode: 1
; LDSByteSize: 17472 bytes/workgroup (compile time only)
; SGPRBlocks: 4
; VGPRBlocks: 18
; NumSGPRsForWavesPerEU: 38
; NumVGPRsForWavesPerEU: 146
; Occupancy: 9
; WaveLimiterHint : 1
; COMPUTE_PGM_RSRC2:SCRATCH_EN: 0
; COMPUTE_PGM_RSRC2:USER_SGPR: 13
; COMPUTE_PGM_RSRC2:TRAP_HANDLER: 0
; COMPUTE_PGM_RSRC2:TGID_X_EN: 1
; COMPUTE_PGM_RSRC2:TGID_Y_EN: 1
; COMPUTE_PGM_RSRC2:TGID_Z_EN: 1
; COMPUTE_PGM_RSRC2:TIDIG_COMP_CNT: 0
	.section	.text._Z39paged_attention_ll4mi_QKV_mfma16_kernelIDF16_hLN4vllm18Fp8KVCacheDataTypeE1EDF16_Li16ELi64ELi256ELb0ELi13EL8MFMAType0EEvPKT_PKT0_S8_ifPKiSA_SA_iPKfiiiPfSD_PS3_PT2_iSC_SC_,"axG",@progbits,_Z39paged_attention_ll4mi_QKV_mfma16_kernelIDF16_hLN4vllm18Fp8KVCacheDataTypeE1EDF16_Li16ELi64ELi256ELb0ELi13EL8MFMAType0EEvPKT_PKT0_S8_ifPKiSA_SA_iPKfiiiPfSD_PS3_PT2_iSC_SC_,comdat
	.protected	_Z39paged_attention_ll4mi_QKV_mfma16_kernelIDF16_hLN4vllm18Fp8KVCacheDataTypeE1EDF16_Li16ELi64ELi256ELb0ELi13EL8MFMAType0EEvPKT_PKT0_S8_ifPKiSA_SA_iPKfiiiPfSD_PS3_PT2_iSC_SC_ ; -- Begin function _Z39paged_attention_ll4mi_QKV_mfma16_kernelIDF16_hLN4vllm18Fp8KVCacheDataTypeE1EDF16_Li16ELi64ELi256ELb0ELi13EL8MFMAType0EEvPKT_PKT0_S8_ifPKiSA_SA_iPKfiiiPfSD_PS3_PT2_iSC_SC_
	.globl	_Z39paged_attention_ll4mi_QKV_mfma16_kernelIDF16_hLN4vllm18Fp8KVCacheDataTypeE1EDF16_Li16ELi64ELi256ELb0ELi13EL8MFMAType0EEvPKT_PKT0_S8_ifPKiSA_SA_iPKfiiiPfSD_PS3_PT2_iSC_SC_
	.p2align	8
	.type	_Z39paged_attention_ll4mi_QKV_mfma16_kernelIDF16_hLN4vllm18Fp8KVCacheDataTypeE1EDF16_Li16ELi64ELi256ELb0ELi13EL8MFMAType0EEvPKT_PKT0_S8_ifPKiSA_SA_iPKfiiiPfSD_PS3_PT2_iSC_SC_,@function
_Z39paged_attention_ll4mi_QKV_mfma16_kernelIDF16_hLN4vllm18Fp8KVCacheDataTypeE1EDF16_Li16ELi64ELi256ELb0ELi13EL8MFMAType0EEvPKT_PKT0_S8_ifPKiSA_SA_iPKfiiiPfSD_PS3_PT2_iSC_SC_: ; @_Z39paged_attention_ll4mi_QKV_mfma16_kernelIDF16_hLN4vllm18Fp8KVCacheDataTypeE1EDF16_Li16ELi64ELi256ELb0ELi13EL8MFMAType0EEvPKT_PKT0_S8_ifPKiSA_SA_iPKfiiiPfSD_PS3_PT2_iSC_SC_
; %bb.0:
	s_load_b64 s[2:3], s[0:1], 0x30
	s_mov_b32 s34, s13
	s_waitcnt lgkmcnt(0)
	s_cmp_lg_u64 s[2:3], 0
	s_cselect_b32 s6, -1, 0
	s_ashr_i32 s35, s13, 31
	s_cmp_eq_u64 s[2:3], 0
	s_cbranch_scc1 .LBB1146_3
; %bb.1:
	s_lshl_b64 s[4:5], s[34:35], 2
	s_delay_alu instid0(SALU_CYCLE_1) | instskip(SKIP_4) | instid1(SALU_CYCLE_1)
	s_add_u32 s4, s2, s4
	s_addc_u32 s5, s3, s5
	s_load_b64 s[4:5], s[4:5], 0x0
	s_waitcnt lgkmcnt(0)
	s_sub_i32 s4, s5, s4
	s_cmp_eq_u32 s4, 1
	s_cselect_b32 s4, -1, 0
	s_delay_alu instid0(SALU_CYCLE_1)
	s_and_not1_b32 vcc_lo, exec_lo, s4
	s_cbranch_vccz .LBB1146_4
.LBB1146_2:
	s_nop 0
	s_sendmsg sendmsg(MSG_DEALLOC_VGPRS)
	s_endpgm
.LBB1146_3:
.LBB1146_4:
	s_load_b64 s[8:9], s[0:1], 0x28
	s_lshl_b64 s[4:5], s[34:35], 2
	s_waitcnt lgkmcnt(0)
	s_add_u32 s8, s8, s4
	s_addc_u32 s9, s9, s5
	s_lshl_b32 s16, s14, 8
	s_load_b32 s18, s[8:9], 0x0
	s_waitcnt lgkmcnt(0)
	s_cmp_ge_i32 s16, s18
	s_cbranch_scc1 .LBB1146_2
; %bb.5:
	s_clause 0x1
	s_load_b128 s[8:11], s[0:1], 0x8
	s_load_b64 s[12:13], s[0:1], 0x20
	s_and_not1_b32 vcc_lo, exec_lo, s6
	s_cbranch_vccnz .LBB1146_7
; %bb.6:
	s_add_u32 s2, s2, s4
	s_addc_u32 s3, s3, s5
	s_load_b32 s3, s[2:3], 0x0
	s_branch .LBB1146_8
.LBB1146_7:
	s_mov_b32 s3, s34
.LBB1146_8:
	s_load_b128 s[4:7], s[0:1], 0x48
	v_lshrrev_b32_e32 v69, 5, v0
	v_bfe_u32 v66, v0, 4, 1
	v_and_b32_e32 v68, 15, v0
	v_and_b32_e32 v70, 31, v0
	;; [unrolled: 1-line block ×3, first 2 shown]
	s_mul_i32 s33, s15, 13
	v_lshl_or_b32 v1, v69, 1, v66
	v_lshlrev_b32_e32 v2, 3, v68
	v_cmp_gt_u32_e64 s2, 8, v68
	s_delay_alu instid0(VALU_DEP_3) | instskip(NEXT) | instid1(VALU_DEP_3)
	v_cmp_gt_u32_e32 vcc_lo, 13, v1
	v_lshlrev_b32_e32 v65, 1, v2
	s_delay_alu instid0(VALU_DEP_3)
	s_and_b32 s17, s2, vcc_lo
	s_waitcnt lgkmcnt(0)
	s_and_saveexec_b32 s7, s17
	s_cbranch_execz .LBB1146_10
; %bb.9:
	s_load_b64 s[20:21], s[0:1], 0x0
	v_add_lshl_u32 v2, v1, s33, 6
	s_mul_hi_i32 s23, s3, s4
	s_mul_i32 s22, s3, s4
	v_lshlrev_b32_e32 v6, 10, v68
	s_lshl_b64 s[22:23], s[22:23], 1
	v_ashrrev_i32_e32 v3, 31, v2
	v_lshlrev_b32_e32 v1, 6, v1
	v_lshlrev_b32_e32 v7, 10, v67
	v_and_b32_e32 v6, 0x3800, v6
	s_delay_alu instid0(VALU_DEP_4) | instskip(NEXT) | instid1(VALU_DEP_2)
	v_lshlrev_b64 v[2:3], 1, v[2:3]
	v_or3_b32 v1, v6, v7, v1
	s_waitcnt lgkmcnt(0)
	s_add_u32 s3, s20, s22
	s_addc_u32 s4, s21, s23
	s_delay_alu instid0(VALU_DEP_2) | instskip(SKIP_1) | instid1(VALU_DEP_2)
	v_add_co_u32 v2, vcc_lo, s3, v2
	v_add_co_ci_u32_e32 v3, vcc_lo, s4, v3, vcc_lo
	v_add_co_u32 v2, vcc_lo, v2, v65
	s_delay_alu instid0(VALU_DEP_2)
	v_add_co_ci_u32_e32 v3, vcc_lo, 0, v3, vcc_lo
	global_load_b128 v[2:5], v[2:3], off
	s_waitcnt vmcnt(0)
	ds_store_b128 v1, v[2:5]
.LBB1146_10:
	s_or_b32 exec_lo, exec_lo, s7
	v_and_b32_e32 v1, 0xef, v0
	s_add_i32 s3, s18, 15
	s_clause 0x1
	s_load_b32 s4, s[0:1], 0x38
	s_load_b32 s35, s[0:1], 0x98
	s_ashr_i32 s7, s3, 31
	v_add_nc_u32_e32 v1, s16, v1
	s_lshr_b32 s7, s7, 28
	s_load_b32 s19, s[0:1], 0x1c
	v_add_nc_u32_e32 v103, -13, v68
	s_add_i32 s3, s3, s7
	v_ashrrev_i32_e32 v2, 31, v1
	v_or_b32_e32 v3, 16, v1
	s_ashr_i32 s3, s3, 4
	v_cmp_gt_i32_e32 vcc_lo, s18, v1
	s_add_i32 s3, s3, -1
	v_lshrrev_b32_e32 v2, 28, v2
	s_waitcnt lgkmcnt(0)
	s_barrier
	buffer_gl0_inv
	s_mul_i32 s15, s15, s6
	v_add_nc_u32_e32 v4, v1, v2
	v_mbcnt_lo_u32_b32 v127, -1, 0
	s_mul_i32 s20, s34, s4
	s_delay_alu instid0(SALU_CYCLE_1) | instskip(NEXT) | instid1(VALU_DEP_2)
	s_ashr_i32 s21, s20, 31
	v_ashrrev_i32_e32 v4, 4, v4
	v_add_nc_u32_e32 v2, v3, v2
	s_lshl_b64 s[20:21], s[20:21], 2
	v_xor_b32_e32 v128, 16, v127
	s_add_u32 s17, s12, s20
	v_cndmask_b32_e32 v1, s3, v4, vcc_lo
	v_ashrrev_i32_e32 v2, 4, v2
	v_cmp_gt_i32_e32 vcc_lo, s18, v3
	s_addc_u32 s13, s13, s21
	s_ashr_i32 s20, s15, 31
	s_add_u32 s4, s8, s15
	s_addc_u32 s12, s9, s20
	v_cndmask_b32_e32 v3, s3, v2, vcc_lo
	v_ashrrev_i32_e32 v2, 31, v1
	s_lshl_b32 s6, s14, 4
	s_delay_alu instid0(SALU_CYCLE_1) | instskip(NEXT) | instid1(VALU_DEP_2)
	s_ashr_i32 s7, s6, 31
	v_ashrrev_i32_e32 v4, 31, v3
	s_delay_alu instid0(VALU_DEP_2) | instskip(SKIP_1) | instid1(SALU_CYCLE_1)
	v_lshlrev_b64 v[1:2], 2, v[1:2]
	s_lshl_b64 s[6:7], s[6:7], 2
	s_add_u32 s6, s17, s6
	s_delay_alu instid0(VALU_DEP_2) | instskip(SKIP_1) | instid1(VALU_DEP_2)
	v_lshlrev_b64 v[3:4], 2, v[3:4]
	s_addc_u32 s7, s13, s7
	v_add_co_u32 v1, vcc_lo, s17, v1
	v_add_co_ci_u32_e32 v2, vcc_lo, s13, v2, vcc_lo
	s_delay_alu instid0(VALU_DEP_3) | instskip(NEXT) | instid1(VALU_DEP_4)
	v_add_co_u32 v3, vcc_lo, s17, v3
	v_add_co_ci_u32_e32 v4, vcc_lo, s13, v4, vcc_lo
	s_clause 0x1
	global_load_b32 v5, v[1:2], off
	global_load_b32 v7, v[3:4], off
	s_or_b32 s8, s16, 32
	v_lshlrev_b32_e32 v1, 4, v0
	s_ashr_i32 s9, s8, 4
	s_cmp_lt_i32 s8, s18
	v_cmp_gt_u32_e32 vcc_lo, 13, v68
	s_cselect_b32 s8, s9, s3
	v_and_b32_e32 v1, 0xf0, v1
	s_ashr_i32 s9, s8, 31
	s_delay_alu instid0(SALU_CYCLE_1)
	s_lshl_b64 s[8:9], s[8:9], 2
	v_cndmask_b32_e32 v103, v103, v68, vcc_lo
	s_add_u32 s8, s17, s8
	s_addc_u32 s9, s13, s9
	s_or_b32 s21, s16, 64
	v_add_co_u32 v1, s4, s4, v1
	s_ashr_i32 s22, s21, 4
	s_cmp_lt_i32 s21, s18
	v_add_co_ci_u32_e64 v2, null, s12, 0, s4
	s_cselect_b32 s22, s22, s3
	v_cmp_gt_i32_e32 vcc_lo, 32, v128
	s_ashr_i32 s23, s22, 31
	v_lshlrev_b32_e32 v115, 6, v103
	s_lshl_b64 s[22:23], s[22:23], 2
	v_cndmask_b32_e32 v136, v127, v128, vcc_lo
	s_add_u32 s22, s17, s22
	s_addc_u32 s23, s13, s23
	s_or_b32 s21, s16, 0x60
	s_delay_alu instid0(SALU_CYCLE_1) | instskip(SKIP_2) | instid1(SALU_CYCLE_1)
	s_ashr_i32 s24, s21, 4
	s_cmp_lt_i32 s21, s18
	s_cselect_b32 s24, s24, s3
	s_ashr_i32 s25, s24, 31
	s_delay_alu instid0(SALU_CYCLE_1) | instskip(NEXT) | instid1(SALU_CYCLE_1)
	s_lshl_b64 s[24:25], s[24:25], 2
	s_add_u32 s24, s17, s24
	s_addc_u32 s25, s13, s25
	s_or_b32 s21, s16, 0x80
	s_delay_alu instid0(SALU_CYCLE_1) | instskip(SKIP_2) | instid1(SALU_CYCLE_1)
	s_ashr_i32 s26, s21, 4
	s_cmp_lt_i32 s21, s18
	s_cselect_b32 s26, s26, s3
	s_ashr_i32 s27, s26, 31
	s_delay_alu instid0(SALU_CYCLE_1) | instskip(NEXT) | instid1(SALU_CYCLE_1)
	s_lshl_b64 s[26:27], s[26:27], 2
	;; [unrolled: 10-line block ×3, first 2 shown]
	s_add_u32 s28, s17, s28
	s_addc_u32 s29, s13, s29
	s_clause 0x5
	s_load_b32 s12, s[6:7], 0x0
	s_load_b32 s4, s[8:9], 0x0
	;; [unrolled: 1-line block ×6, first 2 shown]
	s_or_b32 s21, s16, 0xc0
	s_delay_alu instid0(SALU_CYCLE_1) | instskip(SKIP_2) | instid1(SALU_CYCLE_1)
	s_ashr_i32 s22, s21, 4
	s_cmp_lt_i32 s21, s18
	s_cselect_b32 s22, s22, s3
	s_ashr_i32 s23, s22, 31
	s_delay_alu instid0(SALU_CYCLE_1) | instskip(NEXT) | instid1(SALU_CYCLE_1)
	s_lshl_b64 s[22:23], s[22:23], 2
	s_add_u32 s22, s17, s22
	s_addc_u32 s23, s13, s23
	s_or_b32 s21, s16, 0xe0
	s_delay_alu instid0(SALU_CYCLE_1) | instskip(SKIP_2) | instid1(SALU_CYCLE_1)
	s_ashr_i32 s24, s21, 4
	s_cmp_lt_i32 s21, s18
	s_cselect_b32 s24, s24, s3
	s_ashr_i32 s25, s24, 31
	s_delay_alu instid0(SALU_CYCLE_1)
	s_lshl_b64 s[24:25], s[24:25], 2
	s_waitcnt vmcnt(1)
	v_mad_i64_i32 v[3:4], null, v5, s5, v[1:2]
	s_waitcnt vmcnt(0)
	v_mad_i64_i32 v[5:6], null, v7, s5, v[1:2]
	v_lshlrev_b32_e32 v1, 4, v68
	s_clause 0x7
	global_load_b128 v[71:74], v[3:4], off
	global_load_b128 v[75:78], v[3:4], off offset:256
	global_load_b128 v[79:82], v[5:6], off
	global_load_b128 v[83:86], v[5:6], off offset:256
	global_load_b128 v[87:90], v[3:4], off offset:512
	global_load_b128 v[91:94], v[3:4], off offset:768
	global_load_b128 v[95:98], v[5:6], off offset:512
	global_load_b128 v[99:102], v[5:6], off offset:768
	v_lshl_or_b32 v1, v69, 8, v1
	s_load_b32 s3, s[22:23], 0x0
	s_add_u32 s22, s17, s24
	s_addc_u32 s23, s13, s25
	s_add_u32 s10, s10, s15
	s_addc_u32 s11, s11, s20
	v_add_co_u32 v1, s10, s10, v1
	s_delay_alu instid0(VALU_DEP_1) | instskip(SKIP_2) | instid1(VALU_DEP_1)
	v_add_co_ci_u32_e64 v2, null, s11, 0, s10
	s_load_b32 s10, s[22:23], 0x0
	s_waitcnt lgkmcnt(0)
	v_mad_i64_i32 v[3:4], null, s12, s5, v[1:2]
	v_mad_i64_i32 v[9:10], null, s7, s5, v[1:2]
	;; [unrolled: 1-line block ×7, first 2 shown]
	s_clause 0x5
	global_load_b128 v[49:52], v[3:4], off
	global_load_b128 v[53:56], v[3:4], off offset:16
	global_load_b128 v[41:44], v[5:6], off
	global_load_b128 v[45:48], v[5:6], off offset:16
	global_load_b128 v[33:36], v[7:8], off
	global_load_b128 v[37:40], v[7:8], off offset:16
	s_mov_b32 s4, 0
	v_mad_i64_i32 v[61:62], null, s10, s5, v[1:2]
	s_clause 0x9
	global_load_b128 v[1:4], v[9:10], off
	global_load_b128 v[5:8], v[9:10], off offset:16
	global_load_b128 v[9:12], v[13:14], off
	global_load_b128 v[13:16], v[13:14], off offset:16
	;; [unrolled: 2-line block ×5, first 2 shown]
	s_mov_b32 s5, s4
	s_mov_b32 s6, s4
	;; [unrolled: 1-line block ×7, first 2 shown]
	v_and_b32_e32 v104, 0xe0, v0
	v_dual_mov_b32 v126, s11 :: v_dual_mov_b32 v125, s10
	v_dual_mov_b32 v124, s9 :: v_dual_mov_b32 v123, s8
	s_delay_alu instid0(VALU_DEP_3)
	v_add_nc_u32_e32 v111, s16, v104
	ds_load_b128 v[103:106], v115
	ds_load_b128 v[107:110], v115 offset:1024
	v_dual_mov_b32 v122, s7 :: v_dual_mov_b32 v121, s6
	v_mov_b32_e32 v120, s5
	v_or_b32_e32 v135, v111, v66
	ds_load_b128 v[111:114], v115 offset:2048
	ds_load_b128 v[115:118], v115 offset:3072
	v_mov_b32_e32 v119, s4
	s_waitcnt vmcnt(0) lgkmcnt(0)
	s_barrier
	v_or_b32_e32 v137, 2, v135
	v_or_b32_e32 v138, 4, v135
	;; [unrolled: 1-line block ×3, first 2 shown]
	v_cmp_gt_i32_e32 vcc_lo, s18, v135
	v_or_b32_e32 v140, 8, v135
	v_cmp_gt_i32_e64 s3, s18, v137
	v_or_b32_e32 v141, 10, v135
	v_cmp_gt_i32_e64 s4, s18, v138
	v_cmp_gt_i32_e64 s5, s18, v139
	v_or_b32_e32 v142, 12, v135
	v_or_b32_e32 v143, 14, v135
	v_cmp_gt_i32_e64 s6, s18, v140
	v_cmp_gt_i32_e64 s7, s18, v141
	v_or_b32_e32 v144, 16, v135
	v_or_b32_e32 v145, 18, v135
	v_cmp_gt_i32_e64 s8, s18, v142
	v_cmp_gt_i32_e64 s9, s18, v143
	buffer_gl0_inv
	v_cmp_gt_i32_e64 s10, s18, v144
	v_cmp_gt_i32_e64 s11, s18, v145
	v_wmma_f32_16x16x16_f16 v[127:134], v[71:78], v[103:110], v[119:126]
	v_wmma_f32_16x16x16_f16 v[119:126], v[79:86], v[103:110], v[119:126]
	v_or_b32_e32 v71, 20, v135
	v_or_b32_e32 v72, 22, v135
	s_delay_alu instid0(VALU_DEP_4)
	v_wmma_f32_16x16x16_f16 v[127:134], v[87:94], v[111:118], v[127:134]
	v_or_b32_e32 v73, 24, v135
	v_wmma_f32_16x16x16_f16 v[119:126], v[95:102], v[111:118], v[119:126]
	v_or_b32_e32 v74, 26, v135
	v_cmp_gt_i32_e64 s12, s18, v71
	v_dual_mul_f32 v83, s19, v128 :: v_dual_mul_f32 v84, s19, v127
	v_dual_mul_f32 v81, s19, v130 :: v_dual_mul_f32 v82, s19, v129
	;; [unrolled: 1-line block ×3, first 2 shown]
	s_delay_alu instid0(VALU_DEP_3) | instskip(NEXT) | instid1(VALU_DEP_4)
	v_cndmask_b32_e32 v84, 0xff7fffff, v84, vcc_lo
	v_cndmask_b32_e64 v83, 0xff7fffff, v83, s3
	v_mul_f32_e32 v80, s19, v131
	v_cndmask_b32_e64 v82, 0xff7fffff, v82, s4
	v_cndmask_b32_e64 v81, 0xff7fffff, v81, s5
	v_dual_mul_f32 v77, s19, v134 :: v_dual_mul_f32 v90, s19, v121
	v_max3_f32 v83, v84, 0xff7fffff, v83
	v_mul_f32_e32 v78, s19, v133
	v_cndmask_b32_e64 v80, 0xff7fffff, v80, s6
	v_cndmask_b32_e64 v79, 0xff7fffff, v79, s7
	v_mul_f32_e32 v91, s19, v120
	v_max3_f32 v81, v83, v82, v81
	v_cndmask_b32_e64 v78, 0xff7fffff, v78, s8
	v_cndmask_b32_e64 v77, 0xff7fffff, v77, s9
	v_mul_f32_e32 v89, s19, v122
	v_cmp_gt_i32_e64 s13, s18, v72
	v_max3_f32 v79, v81, v80, v79
	v_cndmask_b32_e64 v80, 0xff7fffff, v92, s10
	v_cndmask_b32_e64 v81, 0xff7fffff, v91, s11
	v_or_b32_e32 v75, 28, v135
	v_or_b32_e32 v76, 30, v135
	v_max3_f32 v77, v79, v78, v77
	v_dual_mul_f32 v87, s19, v124 :: v_dual_mul_f32 v88, s19, v123
	v_cndmask_b32_e64 v71, 0xff7fffff, v90, s12
	v_cndmask_b32_e64 v72, 0xff7fffff, v89, s13
	s_delay_alu instid0(VALU_DEP_4) | instskip(SKIP_3) | instid1(VALU_DEP_4)
	v_max3_f32 v77, v77, v80, v81
	v_cmp_gt_i32_e64 s15, s18, v73
	v_cmp_gt_i32_e64 s16, s18, v74
	v_dual_mul_f32 v85, s19, v126 :: v_dual_mul_f32 v86, s19, v125
	v_max3_f32 v71, v77, v71, v72
	s_delay_alu instid0(VALU_DEP_4) | instskip(NEXT) | instid1(VALU_DEP_4)
	v_cndmask_b32_e64 v73, 0xff7fffff, v88, s15
	v_cndmask_b32_e64 v74, 0xff7fffff, v87, s16
	v_cmp_gt_i32_e64 s17, s18, v75
	v_cmp_gt_i32_e64 s18, s18, v76
	s_delay_alu instid0(VALU_DEP_3) | instskip(NEXT) | instid1(VALU_DEP_3)
	v_max3_f32 v71, v71, v73, v74
	v_cndmask_b32_e64 v72, 0xff7fffff, v86, s17
	s_delay_alu instid0(VALU_DEP_3) | instskip(SKIP_1) | instid1(VALU_DEP_2)
	v_cndmask_b32_e64 v75, 0xff7fffff, v85, s18
	v_lshlrev_b32_e32 v73, 2, v136
	v_max3_f32 v71, v71, v72, v75
	ds_bpermute_b32 v72, v73, v71
	s_waitcnt lgkmcnt(0)
	v_max_f32_e32 v72, v72, v72
	s_delay_alu instid0(VALU_DEP_1) | instskip(NEXT) | instid1(VALU_DEP_1)
	v_max_f32_e32 v71, v71, v72
	v_fma_f32 v72, s19, v127, -v71
	v_fma_f32 v74, s19, v128, -v71
	;; [unrolled: 1-line block ×5, first 2 shown]
	v_mul_f32_e32 v72, 0x3fb8aa3b, v72
	s_delay_alu instid0(VALU_DEP_4) | instskip(NEXT) | instid1(VALU_DEP_4)
	v_dual_mul_f32 v74, 0x3fb8aa3b, v74 :: v_dual_mul_f32 v75, 0x3fb8aa3b, v75
	v_mul_f32_e32 v76, 0x3fb8aa3b, v76
	s_delay_alu instid0(VALU_DEP_4) | instskip(NEXT) | instid1(VALU_DEP_4)
	v_mul_f32_e32 v82, 0x3fb8aa3b, v80
	v_exp_f32_e32 v72, v72
	s_delay_alu instid0(VALU_DEP_3)
	v_exp_f32_e32 v74, v74
	v_exp_f32_e32 v75, v75
	;; [unrolled: 1-line block ×3, first 2 shown]
	v_fma_f32 v77, s19, v131, -v71
	v_exp_f32_e32 v84, v82
	v_cndmask_b32_e32 v79, 0, v72, vcc_lo
	v_cndmask_b32_e64 v78, 0, v74, s3
	s_delay_alu instid0(TRANS32_DEP_3) | instskip(SKIP_1) | instid1(TRANS32_DEP_2)
	v_cndmask_b32_e64 v81, 0, v75, s4
	v_fma_f32 v72, s19, v132, -v71
	v_cndmask_b32_e64 v80, 0, v76, s5
	v_add_f32_e32 v74, 0, v79
	s_delay_alu instid0(TRANS32_DEP_1) | instskip(SKIP_2) | instid1(VALU_DEP_4)
	v_cndmask_b32_e64 v85, 0, v84, s8
	v_cmp_gt_u32_e64 s3, 16, v70
	v_mul_f32_e32 v72, 0x3fb8aa3b, v72
	v_add_f32_e32 v74, v74, v78
	s_delay_alu instid0(VALU_DEP_2) | instskip(NEXT) | instid1(VALU_DEP_1)
	v_exp_f32_e32 v72, v72
	v_add_f32_e32 v74, v74, v81
	s_delay_alu instid0(VALU_DEP_1) | instskip(NEXT) | instid1(VALU_DEP_1)
	v_dual_mul_f32 v77, 0x3fb8aa3b, v77 :: v_dual_add_f32 v74, v74, v80
	v_exp_f32_e32 v77, v77
	s_waitcnt_depctr 0xfff
	v_cndmask_b32_e64 v82, 0, v72, s7
	v_cndmask_b32_e64 v83, 0, v77, s6
	s_delay_alu instid0(VALU_DEP_1) | instskip(SKIP_4) | instid1(VALU_DEP_4)
	v_add_f32_e32 v72, v74, v83
	v_fma_f32 v75, s19, v134, -v71
	v_fma_f32 v76, s19, v119, -v71
	;; [unrolled: 1-line block ×4, first 2 shown]
	v_dual_add_f32 v72, v72, v82 :: v_dual_mul_f32 v75, 0x3fb8aa3b, v75
	s_delay_alu instid0(VALU_DEP_3) | instskip(NEXT) | instid1(VALU_DEP_3)
	v_dual_mul_f32 v76, 0x3fb8aa3b, v76 :: v_dual_mul_f32 v77, 0x3fb8aa3b, v77
	v_mul_f32_e32 v74, 0x3fb8aa3b, v74
	v_fma_f32 v86, s19, v122, -v71
	s_delay_alu instid0(VALU_DEP_4) | instskip(NEXT) | instid1(VALU_DEP_3)
	v_exp_f32_e32 v75, v75
	v_exp_f32_e32 v76, v76
	;; [unrolled: 1-line block ×4, first 2 shown]
	v_mul_f32_e32 v86, 0x3fb8aa3b, v86
	s_delay_alu instid0(VALU_DEP_1)
	v_exp_f32_e32 v88, v86
	v_cndmask_b32_e64 v84, 0, v75, s9
	v_fma_f32 v75, s19, v123, -v71
	v_add_f32_e32 v72, v72, v85
	v_cndmask_b32_e64 v87, 0, v76, s10
	v_fma_f32 v76, s19, v124, -v71
	s_delay_alu instid0(TRANS32_DEP_3) | instskip(NEXT) | instid1(VALU_DEP_4)
	v_cndmask_b32_e64 v86, 0, v77, s11
	v_dual_mul_f32 v75, 0x3fb8aa3b, v75 :: v_dual_add_f32 v72, v72, v84
	v_fma_f32 v77, s19, v125, -v71
	s_delay_alu instid0(VALU_DEP_4) | instskip(SKIP_1) | instid1(VALU_DEP_4)
	v_mul_f32_e32 v76, 0x3fb8aa3b, v76
	v_cndmask_b32_e64 v89, 0, v74, s12
	v_exp_f32_e32 v75, v75
	v_add_f32_e32 v72, v72, v87
	v_mul_f32_e32 v74, 0x3fb8aa3b, v77
	v_exp_f32_e32 v76, v76
	v_cndmask_b32_e64 v88, 0, v88, s13
	v_fma_f32 v77, s19, v126, -v71
	v_add_f32_e32 v72, v72, v86
	v_exp_f32_e32 v74, v74
	s_delay_alu instid0(TRANS32_DEP_3) | instskip(NEXT) | instid1(VALU_DEP_2)
	v_cndmask_b32_e64 v91, 0, v75, s15
	v_add_f32_e32 v72, v72, v89
	v_mul_f32_e32 v75, 0x3fb8aa3b, v77
	s_delay_alu instid0(TRANS32_DEP_2) | instskip(NEXT) | instid1(VALU_DEP_3)
	v_cndmask_b32_e64 v90, 0, v76, s16
	v_add_f32_e32 v72, v72, v88
	s_delay_alu instid0(VALU_DEP_3) | instskip(NEXT) | instid1(TRANS32_DEP_2)
	v_exp_f32_e32 v75, v75
	v_cndmask_b32_e64 v93, 0, v74, s17
	s_delay_alu instid0(VALU_DEP_2) | instskip(NEXT) | instid1(VALU_DEP_1)
	v_add_f32_e32 v72, v72, v91
	v_add_f32_e32 v72, v72, v90
	s_waitcnt_depctr 0xfff
	v_cndmask_b32_e64 v92, 0, v75, s18
	v_add_f32_e32 v72, v72, v93
	s_delay_alu instid0(VALU_DEP_1)
	v_add_f32_e32 v72, v72, v92
	ds_bpermute_b32 v73, v73, v72
	s_and_saveexec_b32 s4, s3
	s_cbranch_execz .LBB1146_12
; %bb.11:
	v_mul_u32_u24_e32 v70, 0x44, v69
	s_waitcnt lgkmcnt(0)
	v_add_f32_e32 v72, v72, v73
	s_delay_alu instid0(VALU_DEP_2) | instskip(NEXT) | instid1(VALU_DEP_1)
	v_lshl_add_u32 v70, v68, 2, v70
	v_add_nc_u32_e32 v70, 0x4000, v70
	ds_store_2addr_b32 v70, v71, v72 offset1:136
.LBB1146_12:
	s_or_b32 exec_lo, exec_lo, s4
	v_lshlrev_b32_e32 v70, 2, v68
	s_load_b32 s36, s[0:1], 0x94
	s_waitcnt lgkmcnt(0)
	s_barrier
	buffer_gl0_inv
	v_add_nc_u32_e32 v98, 0x4000, v70
	v_cmp_eq_u32_e32 vcc_lo, 1, v69
	v_cmp_eq_u32_e64 s4, 2, v69
	v_cmp_eq_u32_e64 s5, 3, v69
	;; [unrolled: 1-line block ×3, first 2 shown]
	ds_load_2addr_b32 v[70:71], v98 offset1:17
	ds_load_2addr_b32 v[72:73], v98 offset0:34 offset1:51
	ds_load_2addr_b32 v[74:75], v98 offset0:68 offset1:85
	;; [unrolled: 1-line block ×3, first 2 shown]
	v_cmp_eq_u32_e64 s7, 5, v69
	v_cmp_eq_u32_e64 s8, 7, v69
	s_waitcnt lgkmcnt(3)
	v_max3_f32 v76, v70, 0xff7fffff, v71
	s_waitcnt lgkmcnt(2)
	s_delay_alu instid0(VALU_DEP_1) | instskip(SKIP_1) | instid1(VALU_DEP_1)
	v_max3_f32 v76, v76, v72, v73
	s_waitcnt lgkmcnt(1)
	v_max3_f32 v76, v76, v74, v75
	s_waitcnt lgkmcnt(0)
	s_delay_alu instid0(VALU_DEP_1) | instskip(NEXT) | instid1(VALU_DEP_1)
	v_max3_f32 v76, v76, v94, v95
	v_sub_f32_e32 v77, v71, v76
	ds_load_2addr_b32 v[96:97], v98 offset0:136 offset1:153
	v_sub_f32_e32 v74, v74, v76
	v_sub_f32_e32 v70, v70, v76
	;; [unrolled: 1-line block ×3, first 2 shown]
	v_dual_sub_f32 v72, v72, v76 :: v_dual_mul_f32 v77, 0x3fb8aa3b, v77
	s_delay_alu instid0(VALU_DEP_4) | instskip(NEXT) | instid1(VALU_DEP_4)
	v_mul_f32_e32 v103, 0x3fb8aa3b, v74
	v_mul_f32_e32 v99, 0x3fb8aa3b, v70
	ds_load_2addr_b32 v[70:71], v98 offset0:170 offset1:187
	v_dual_mul_f32 v101, 0x3fb8aa3b, v72 :: v_dual_mul_f32 v94, 0x3fb8aa3b, v94
	v_exp_f32_e32 v102, v77
	v_exp_f32_e32 v99, v99
	s_delay_alu instid0(VALU_DEP_1) | instskip(NEXT) | instid1(VALU_DEP_1)
	v_exp_f32_e32 v101, v101
	v_exp_f32_e32 v94, v94
	s_waitcnt lgkmcnt(1)
	s_delay_alu instid0(TRANS32_DEP_3)
	v_fma_f32 v77, v99, v96, 0
	v_sub_f32_e32 v100, v73, v76
	ds_load_2addr_b32 v[72:73], v98 offset0:204 offset1:221
	v_fmac_f32_e32 v77, v102, v97
	v_exp_f32_e32 v97, v103
	s_waitcnt lgkmcnt(1)
	s_delay_alu instid0(VALU_DEP_1)
	v_dual_fmac_f32 v77, v101, v70 :: v_dual_sub_f32 v96, v75, v76
	ds_load_2addr_b32 v[74:75], v98 offset0:238 offset1:255
	v_sub_f32_e32 v70, v95, v76
	s_waitcnt lgkmcnt(0)
	s_barrier
	v_mul_f32_e32 v96, 0x3fb8aa3b, v96
	buffer_gl0_inv
	v_exp_f32_e32 v95, v96
	v_mul_f32_e32 v100, 0x3fb8aa3b, v100
	s_delay_alu instid0(VALU_DEP_1) | instskip(SKIP_3) | instid1(VALU_DEP_2)
	v_exp_f32_e32 v100, v100
	s_waitcnt_depctr 0xfff
	v_dual_fmac_f32 v77, v100, v71 :: v_dual_mul_f32 v70, 0x3fb8aa3b, v70
	v_cndmask_b32_e32 v71, v99, v102, vcc_lo
	v_fmac_f32_e32 v77, v97, v72
	s_delay_alu instid0(VALU_DEP_3) | instskip(NEXT) | instid1(VALU_DEP_1)
	v_exp_f32_e32 v96, v70
	v_fmac_f32_e32 v77, v95, v73
	s_delay_alu instid0(VALU_DEP_1) | instskip(SKIP_2) | instid1(VALU_DEP_1)
	v_fmac_f32_e32 v77, v94, v74
	s_waitcnt_depctr 0xfff
	v_fmac_f32_e32 v77, v96, v75
	v_add_f32_e32 v74, 0x358637bd, v77
	s_delay_alu instid0(VALU_DEP_1) | instskip(SKIP_1) | instid1(VALU_DEP_2)
	v_div_scale_f32 v98, null, v74, v74, 1.0
	v_div_scale_f32 v99, vcc_lo, 1.0, v74, 1.0
	v_rcp_f32_e32 v103, v98
	s_waitcnt_depctr 0xfff
	v_fma_f32 v70, -v98, v103, 1.0
	s_delay_alu instid0(VALU_DEP_1) | instskip(SKIP_2) | instid1(VALU_DEP_2)
	v_fmac_f32_e32 v103, v70, v103
	v_cndmask_b32_e64 v70, v71, v101, s4
	v_cmp_eq_u32_e64 s4, 6, v69
	v_cndmask_b32_e64 v71, v70, v100, s5
	s_delay_alu instid0(VALU_DEP_4) | instskip(NEXT) | instid1(VALU_DEP_2)
	v_dual_mul_f32 v101, v99, v103 :: v_dual_lshlrev_b32 v70, 2, v66
	v_cndmask_b32_e64 v71, v71, v97, s6
	s_delay_alu instid0(VALU_DEP_2) | instskip(NEXT) | instid1(VALU_DEP_3)
	v_or_b32_e32 v72, 1, v70
	v_fma_f32 v100, -v98, v101, v99
	v_cmp_eq_u32_e64 s5, 1, v70
	v_cmp_eq_u32_e64 s6, 2, v70
	v_cndmask_b32_e64 v95, v71, v95, s7
	v_or_b32_e32 v71, 3, v70
	v_fmac_f32_e32 v101, v100, v103
	v_cmp_eq_u32_e64 s10, 1, v72
	v_cmp_eq_u32_e64 s13, 2, v72
	v_cndmask_b32_e64 v94, v95, v94, s4
	v_cmp_eq_u32_e64 s12, 1, v71
	v_fma_f32 v97, -v98, v101, v99
	v_cmp_eq_u32_e64 s17, 2, v71
	v_cmp_eq_u32_e64 s15, 3, v72
	v_cndmask_b32_e64 v94, v94, v96, s8
	v_cmp_eq_u32_e64 s19, 3, v71
	v_div_fmas_f32 v95, v97, v103, v101
	v_cmp_eq_u32_e32 vcc_lo, 3, v70
	v_cmp_eq_u32_e64 s4, 4, v70
	v_cmp_eq_u32_e64 s20, 4, v72
	;; [unrolled: 1-line block ×3, first 2 shown]
	v_div_fixup_f32 v95, v95, v74, 1.0
	v_lshlrev_b32_e32 v73, 6, v68
	v_cmp_eq_u32_e64 s7, 5, v70
	v_cmp_eq_u32_e64 s21, 5, v72
	;; [unrolled: 1-line block ×3, first 2 shown]
	v_mul_f32_e32 v102, v94, v95
	v_lshl_or_b32 v75, v69, 11, v73
	v_or_b32_e32 v69, 2, v70
	v_cmp_eq_u32_e64 s26, 6, v72
	v_cmp_eq_u32_e64 s28, 6, v71
	v_fma_mixlo_f16 v94, v102, v79, 0
	v_fma_mixlo_f16 v95, v102, v81, 0
	;; [unrolled: 1-line block ×8, first 2 shown]
	v_lshl_or_b32 v74, v66, 4, v75
	v_fma_mixhi_f16 v94, v102, v78, 0
	v_fma_mixhi_f16 v95, v102, v80, 0
	;; [unrolled: 1-line block ×8, first 2 shown]
	ds_store_b128 v74, v[94:97]
	ds_store_b128 v74, v[98:101] offset:1024
	s_waitcnt lgkmcnt(0)
	s_barrier
	buffer_gl0_inv
	ds_load_b128 v[78:81], v75
	ds_load_b128 v[82:85], v75 offset:16
	ds_load_b128 v[86:89], v75 offset:1024
	;; [unrolled: 1-line block ×3, first 2 shown]
	v_cmp_eq_u32_e64 s11, 1, v69
	v_cmp_eq_u32_e64 s16, 2, v69
	;; [unrolled: 1-line block ×11, first 2 shown]
	s_waitcnt lgkmcnt(3)
	v_lshrrev_b32_e32 v94, 16, v78
	s_waitcnt lgkmcnt(2)
	v_lshrrev_b32_e32 v98, 16, v82
	;; [unrolled: 2-line block ×4, first 2 shown]
	v_lshrrev_b32_e32 v95, 16, v79
	v_cndmask_b32_e64 v110, v78, v94, s5
	v_cndmask_b32_e64 v111, v82, v98, s5
	;; [unrolled: 1-line block ×8, first 2 shown]
	v_lshrrev_b32_e32 v99, 16, v83
	v_cndmask_b32_e64 v94, v86, v102, s5
	v_cndmask_b32_e64 v98, v90, v106, s5
	;; [unrolled: 1-line block ×15, first 2 shown]
	v_lshrrev_b32_e32 v103, 16, v87
	v_lshrrev_b32_e32 v107, 16, v91
	v_cndmask_b32_e64 v113, v115, v83, s16
	v_cndmask_b32_e64 v82, v94, v87, s6
	;; [unrolled: 1-line block ×7, first 2 shown]
	v_cndmask_b32_e32 v90, v102, v95, vcc_lo
	v_cndmask_b32_e32 v102, v106, v99, vcc_lo
	v_cndmask_b32_e64 v106, v110, v95, s15
	v_cndmask_b32_e64 v110, v111, v99, s15
	;; [unrolled: 1-line block ×4, first 2 shown]
	v_lshrrev_b32_e32 v96, 16, v80
	v_lshrrev_b32_e32 v100, 16, v84
	v_cndmask_b32_e64 v111, v112, v95, s18
	v_cndmask_b32_e64 v112, v113, v99, s18
	v_cndmask_b32_e32 v82, v82, v103, vcc_lo
	v_cndmask_b32_e32 v83, v83, v107, vcc_lo
	v_cndmask_b32_e64 v94, v94, v103, s15
	v_cndmask_b32_e64 v90, v90, v80, s4
	;; [unrolled: 1-line block ×7, first 2 shown]
	v_lshrrev_b32_e32 v104, 16, v88
	v_cndmask_b32_e64 v106, v111, v80, s22
	v_cndmask_b32_e64 v110, v112, v84, s22
	;; [unrolled: 1-line block ×11, first 2 shown]
	v_lshrrev_b32_e32 v97, 16, v81
	v_lshrrev_b32_e32 v101, 16, v85
	v_cndmask_b32_e64 v99, v106, v96, s24
	v_cndmask_b32_e64 v102, v110, v100, s24
	v_cndmask_b32_e64 v83, v83, v104, s21
	v_cndmask_b32_e64 v94, v94, v81, s26
	v_cndmask_b32_e64 v95, v95, v85, s26
	v_cndmask_b32_e64 v78, v78, v81, s28
	v_cndmask_b32_e64 v79, v79, v85, s28
	v_lshrrev_b32_e32 v105, 16, v89
	v_cndmask_b32_e64 v80, v80, v104, s7
	v_cndmask_b32_e64 v84, v84, v81, s8
	;; [unrolled: 1-line block ×16, first 2 shown]
	v_perm_b32 v81, v79, v78, 0x5040100
	v_perm_b32 v79, v95, v85, 0x5040100
	v_cndmask_b32_e64 v78, v119, v91, s16
	v_cndmask_b32_e64 v85, v117, v91, s13
	;; [unrolled: 1-line block ×3, first 2 shown]
	v_perm_b32 v80, v94, v90, 0x5040100
	v_cndmask_b32_e64 v90, v98, v103, s18
	v_cndmask_b32_e64 v86, v86, v103, s19
	;; [unrolled: 1-line block ×5, first 2 shown]
	v_lshrrev_b32_e32 v108, 16, v92
	v_cndmask_b32_e64 v90, v90, v88, s22
	v_cndmask_b32_e64 v86, v86, v88, s23
	;; [unrolled: 1-line block ×11, first 2 shown]
	v_lshrrev_b32_e32 v109, 16, v93
	v_cndmask_b32_e64 v82, v82, v93, s8
	v_cndmask_b32_e64 v88, v88, v89, s27
	;; [unrolled: 1-line block ×12, first 2 shown]
	v_perm_b32 v78, v84, v83, 0x5040100
	v_perm_b32 v85, v87, v86, 0x5040100
	;; [unrolled: 1-line block ×5, first 2 shown]
	s_mul_i32 s9, s35, 13
	s_mov_b32 s4, exec_lo
	ds_store_b128 v74, v[78:81]
	ds_store_b128 v74, v[82:85] offset:1024
	v_cmpx_gt_u32_e32 13, v0
	s_cbranch_execz .LBB1146_14
; %bb.13:
	s_mul_i32 s5, s9, s34
	s_load_b128 s[16:19], s[0:1], 0x58
	v_add3_u32 v68, s5, s33, v68
	s_delay_alu instid0(VALU_DEP_1) | instskip(NEXT) | instid1(VALU_DEP_1)
	v_mad_u64_u32 v[78:79], null, v68, s36, s[14:15]
	v_ashrrev_i32_e32 v79, 31, v78
	s_delay_alu instid0(VALU_DEP_1) | instskip(SKIP_1) | instid1(VALU_DEP_1)
	v_lshlrev_b64 v[78:79], 2, v[78:79]
	s_waitcnt lgkmcnt(0)
	v_add_co_u32 v80, vcc_lo, s18, v78
	s_delay_alu instid0(VALU_DEP_2)
	v_add_co_ci_u32_e32 v81, vcc_lo, s19, v79, vcc_lo
	v_add_co_u32 v78, vcc_lo, s16, v78
	v_add_co_ci_u32_e32 v79, vcc_lo, s17, v79, vcc_lo
	global_store_b32 v[80:81], v76, off
	global_store_b32 v[78:79], v77, off
.LBB1146_14:
	s_or_b32 exec_lo, exec_lo, s4
	s_waitcnt lgkmcnt(0)
	s_waitcnt_vscnt null, 0x0
	s_barrier
	buffer_gl0_inv
	ds_load_b128 v[84:87], v73
	ds_load_b128 v[88:91], v73 offset:16
	ds_load_b128 v[96:99], v73 offset:2064
	;; [unrolled: 1-line block ×5, first 2 shown]
	v_cmp_eq_u32_e32 vcc_lo, 1, v70
	v_mov_b32_e32 v76, 0
	ds_load_b128 v[112:115], v73 offset:6160
	ds_load_b128 v[108:111], v73 offset:6144
	;; [unrolled: 1-line block ×4, first 2 shown]
	v_cmp_eq_u32_e64 s5, 1, v69
	v_cmp_eq_u32_e64 s4, 1, v72
	;; [unrolled: 1-line block ×3, first 2 shown]
	v_mov_b32_e32 v77, v76
	v_mov_b32_e32 v78, v76
	;; [unrolled: 1-line block ×7, first 2 shown]
	v_cmp_eq_u32_e64 s7, 3, v72
	v_cmp_eq_u32_e64 s8, 7, v72
	s_waitcnt lgkmcnt(8)
	s_delay_alu instid0(VALU_DEP_3)
	v_wmma_f32_16x16x16_f16 v[76:83], v[49:56], v[84:91], v[76:83]
	ds_load_b128 v[53:56], v73 offset:10256
	ds_load_b128 v[49:52], v73 offset:10240
	s_waitcnt lgkmcnt(8)
	v_wmma_f32_16x16x16_f16 v[76:83], v[41:48], v[92:99], v[76:83]
	ds_load_b128 v[45:48], v73 offset:12304
	ds_load_b128 v[41:44], v73 offset:12288
	s_waitcnt lgkmcnt(8)
	v_wmma_f32_16x16x16_f16 v[76:83], v[33:40], v[100:107], v[76:83]
	ds_load_b128 v[37:40], v73 offset:14352
	ds_load_b128 v[33:36], v73 offset:14336
	s_waitcnt lgkmcnt(0)
	s_barrier
	buffer_gl0_inv
	v_wmma_f32_16x16x16_f16 v[76:83], v[1:8], v[108:115], v[76:83]
	s_delay_alu instid0(VALU_DEP_1) | instskip(NEXT) | instid1(VALU_DEP_1)
	v_wmma_f32_16x16x16_f16 v[76:83], v[9:16], v[116:123], v[76:83]
	v_wmma_f32_16x16x16_f16 v[76:83], v[17:24], v[49:56], v[76:83]
	s_delay_alu instid0(VALU_DEP_1) | instskip(NEXT) | instid1(VALU_DEP_1)
	v_wmma_f32_16x16x16_f16 v[76:83], v[25:32], v[41:48], v[76:83]
	v_wmma_f32_16x16x16_f16 v[76:83], v[57:64], v[33:40], v[76:83]
	s_delay_alu instid0(VALU_DEP_1) | instskip(NEXT) | instid1(VALU_DEP_2)
	v_cvt_f16_f32_e32 v1, v76
	v_cvt_f16_f32_e32 v2, v77
	s_delay_alu instid0(VALU_DEP_3) | instskip(NEXT) | instid1(VALU_DEP_4)
	v_cvt_f16_f32_e32 v3, v78
	v_cvt_f16_f32_e32 v4, v79
	;; [unrolled: 1-line block ×6, first 2 shown]
	v_pack_b32_f16 v1, v1, v2
	v_pack_b32_f16 v2, v3, v4
	;; [unrolled: 1-line block ×3, first 2 shown]
	s_delay_alu instid0(VALU_DEP_4)
	v_pack_b32_f16 v4, v7, v8
	ds_store_b128 v74, v[1:4]
	s_waitcnt lgkmcnt(0)
	s_barrier
	buffer_gl0_inv
	ds_load_b128 v[1:4], v75
	ds_load_b128 v[5:8], v75 offset:16
	s_waitcnt lgkmcnt(1)
	v_lshrrev_b32_e32 v9, 16, v1
	s_waitcnt lgkmcnt(0)
	v_lshrrev_b32_e32 v13, 16, v5
	v_lshrrev_b32_e32 v10, 16, v2
	;; [unrolled: 1-line block ×4, first 2 shown]
	v_cndmask_b32_e32 v17, v1, v9, vcc_lo
	v_cndmask_b32_e32 v18, v5, v13, vcc_lo
	v_cndmask_b32_e64 v21, v1, v9, s5
	v_cmp_eq_u32_e32 vcc_lo, 1, v71
	v_cndmask_b32_e64 v22, v5, v13, s5
	v_cmp_eq_u32_e64 s5, 2, v70
	v_cndmask_b32_e64 v19, v1, v9, s4
	v_cndmask_b32_e64 v20, v5, v13, s4
	v_cndmask_b32_e32 v1, v1, v9, vcc_lo
	v_cmp_eq_u32_e64 s4, 2, v71
	v_cndmask_b32_e32 v5, v5, v13, vcc_lo
	v_cndmask_b32_e64 v9, v17, v2, s5
	v_cmp_eq_u32_e32 vcc_lo, 3, v70
	v_cndmask_b32_e64 v13, v18, v6, s5
	v_cmp_eq_u32_e64 s5, 2, v69
	v_cndmask_b32_e64 v17, v19, v2, s6
	v_cndmask_b32_e64 v18, v20, v6, s6
	v_cmp_eq_u32_e64 s6, 3, v69
	v_cndmask_b32_e64 v1, v1, v2, s4
	v_cndmask_b32_e64 v19, v21, v2, s5
	;; [unrolled: 1-line block ×4, first 2 shown]
	v_cndmask_b32_e32 v5, v9, v10, vcc_lo
	v_cndmask_b32_e32 v6, v13, v14, vcc_lo
	v_cmp_eq_u32_e32 vcc_lo, 3, v71
	v_cndmask_b32_e64 v9, v17, v10, s7
	v_cndmask_b32_e64 v13, v18, v14, s7
	;; [unrolled: 1-line block ×3, first 2 shown]
	v_cmp_eq_u32_e64 s5, 4, v70
	v_cndmask_b32_e32 v1, v1, v10, vcc_lo
	v_cndmask_b32_e32 v2, v2, v14, vcc_lo
	v_cmp_eq_u32_e32 vcc_lo, 4, v72
	v_lshrrev_b32_e32 v15, 16, v7
	v_lshrrev_b32_e32 v16, 16, v8
	v_cndmask_b32_e64 v17, v19, v10, s6
	v_cmp_eq_u32_e64 s4, 4, v71
	v_cndmask_b32_e64 v5, v5, v3, s5
	v_cndmask_b32_e64 v6, v6, v7, s5
	v_cndmask_b32_e32 v9, v9, v3, vcc_lo
	v_cmp_eq_u32_e64 s5, 5, v72
	v_cndmask_b32_e32 v10, v13, v7, vcc_lo
	v_cmp_eq_u32_e32 vcc_lo, 4, v69
	v_cmp_eq_u32_e64 s6, 5, v70
	v_cndmask_b32_e64 v2, v2, v7, s4
	v_cndmask_b32_e64 v9, v9, v11, s5
	;; [unrolled: 1-line block ×3, first 2 shown]
	v_cndmask_b32_e32 v13, v17, v3, vcc_lo
	v_cmp_eq_u32_e64 s5, 5, v69
	v_cndmask_b32_e32 v14, v18, v7, vcc_lo
	v_cndmask_b32_e64 v1, v1, v3, s4
	v_cmp_eq_u32_e32 vcc_lo, 5, v71
	v_lshrrev_b32_e32 v12, 16, v4
	v_cndmask_b32_e64 v13, v13, v11, s5
	v_cndmask_b32_e64 v3, v14, v15, s5
	v_cmp_eq_u32_e64 s5, 6, v71
	v_cndmask_b32_e32 v1, v1, v11, vcc_lo
	v_cndmask_b32_e64 v5, v5, v11, s6
	v_cmp_eq_u32_e64 s7, 6, v70
	v_cndmask_b32_e64 v6, v6, v15, s6
	v_cmp_eq_u32_e64 s6, 6, v72
	v_cmp_eq_u32_e64 s4, 6, v69
	v_cndmask_b32_e64 v1, v1, v4, s5
	v_cndmask_b32_e32 v2, v2, v15, vcc_lo
	v_cmp_eq_u32_e32 vcc_lo, 7, v71
	v_cndmask_b32_e64 v5, v5, v4, s7
	v_cndmask_b32_e64 v9, v9, v4, s6
	;; [unrolled: 1-line block ×3, first 2 shown]
	v_cmp_eq_u32_e64 s7, 7, v70
	v_cndmask_b32_e32 v1, v1, v12, vcc_lo
	v_cndmask_b32_e64 v7, v13, v4, s4
	v_cndmask_b32_e64 v3, v3, v8, s4
	;; [unrolled: 1-line block ×3, first 2 shown]
	v_cmp_eq_u32_e64 s4, 7, v69
	v_cndmask_b32_e64 v4, v10, v8, s6
	v_cndmask_b32_e64 v5, v5, v12, s7
	;; [unrolled: 1-line block ×3, first 2 shown]
	v_cndmask_b32_e32 v2, v2, v16, vcc_lo
	v_cndmask_b32_e64 v7, v7, v12, s4
	v_cndmask_b32_e64 v3, v3, v16, s4
	;; [unrolled: 1-line block ×4, first 2 shown]
	v_cmp_gt_u32_e32 vcc_lo, 32, v0
	v_perm_b32 v4, v2, v1, 0x5040100
	v_perm_b32 v3, v3, v7, 0x5040100
	;; [unrolled: 1-line block ×4, first 2 shown]
	s_and_b32 s2, vcc_lo, s2
	ds_store_b128 v74, v[1:4]
	s_waitcnt lgkmcnt(0)
	s_barrier
	buffer_gl0_inv
	s_and_saveexec_b32 s4, s2
	s_cbranch_execz .LBB1146_2
; %bb.15:
	s_load_b64 s[4:5], s[0:1], 0x68
	v_lshlrev_b32_e32 v0, 10, v0
	v_lshlrev_b32_e32 v1, 4, v67
	s_lshl_b32 s0, s36, 6
	v_add_nc_u32_e32 v18, s33, v66
	s_mul_i32 s1, s0, s34
	s_delay_alu instid0(VALU_DEP_2) | instskip(SKIP_1) | instid1(VALU_DEP_2)
	v_and_or_b32 v0, 0x3800, v0, v1
	s_mul_i32 s6, s1, s9
	v_mul_lo_u32 v1, v18, s0
	s_ashr_i32 s7, s6, 31
	v_add_nc_u32_e32 v2, 2, v18
	v_lshl_or_b32 v19, v66, 6, v0
	s_lshl_b64 s[6:7], s[6:7], 1
	v_add_nc_u32_e32 v8, 4, v18
	v_add_nc_u32_e32 v15, 6, v18
	v_mul_lo_u32 v7, v2, s0
	ds_load_b128 v[3:6], v19
	v_ashrrev_i32_e32 v2, 31, v1
	v_mul_lo_u32 v11, v8, s0
	s_waitcnt lgkmcnt(0)
	s_add_u32 s1, s4, s6
	s_addc_u32 s2, s5, s7
	s_lshl_b32 s4, s14, 6
	v_lshlrev_b64 v[9:10], 1, v[1:2]
	s_ashr_i32 s5, s4, 31
	v_ashrrev_i32_e32 v8, 31, v7
	s_lshl_b64 s[4:5], s[4:5], 1
	v_ashrrev_i32_e32 v12, 31, v11
	s_add_u32 s1, s1, s4
	s_addc_u32 s2, s2, s5
	v_add_co_u32 v1, s1, s1, v65
	s_delay_alu instid0(VALU_DEP_1) | instskip(SKIP_1) | instid1(VALU_DEP_3)
	v_add_co_ci_u32_e64 v2, null, s2, 0, s1
	v_mul_lo_u32 v15, v15, s0
	v_add_co_u32 v13, vcc_lo, v1, v9
	s_delay_alu instid0(VALU_DEP_3)
	v_add_co_ci_u32_e32 v14, vcc_lo, v2, v10, vcc_lo
	v_lshlrev_b64 v[16:17], 1, v[7:8]
	ds_load_b128 v[7:10], v19 offset:128
	global_store_b128 v[13:14], v[3:6], off
	v_add_nc_u32_e32 v5, 8, v18
	v_lshlrev_b64 v[3:4], 1, v[11:12]
	v_add_co_u32 v23, vcc_lo, v1, v16
	v_ashrrev_i32_e32 v16, 31, v15
	s_delay_alu instid0(VALU_DEP_4) | instskip(SKIP_3) | instid1(VALU_DEP_3)
	v_mul_lo_u32 v25, v5, s0
	v_add_nc_u32_e32 v5, 10, v18
	v_add_co_ci_u32_e32 v24, vcc_lo, v2, v17, vcc_lo
	v_add_co_u32 v27, vcc_lo, v1, v3
	v_mul_lo_u32 v29, v5, s0
	v_add_co_ci_u32_e32 v28, vcc_lo, v2, v4, vcc_lo
	v_lshlrev_b64 v[31:32], 1, v[15:16]
	ds_load_b128 v[3:6], v19 offset:256
	ds_load_b128 v[11:14], v19 offset:384
	;; [unrolled: 1-line block ×4, first 2 shown]
	v_ashrrev_i32_e32 v26, 31, v25
	v_ashrrev_i32_e32 v30, 31, v29
	v_add_co_u32 v31, vcc_lo, v1, v31
	s_delay_alu instid0(VALU_DEP_3) | instskip(SKIP_1) | instid1(VALU_DEP_4)
	v_lshlrev_b64 v[25:26], 1, v[25:26]
	v_add_co_ci_u32_e32 v32, vcc_lo, v2, v32, vcc_lo
	v_lshlrev_b64 v[29:30], 1, v[29:30]
	s_delay_alu instid0(VALU_DEP_3) | instskip(NEXT) | instid1(VALU_DEP_4)
	v_add_co_u32 v25, vcc_lo, v1, v25
	v_add_co_ci_u32_e32 v26, vcc_lo, v2, v26, vcc_lo
	s_delay_alu instid0(VALU_DEP_3) | instskip(NEXT) | instid1(VALU_DEP_4)
	v_add_co_u32 v29, vcc_lo, v1, v29
	v_add_co_ci_u32_e32 v30, vcc_lo, v2, v30, vcc_lo
	s_waitcnt lgkmcnt(4)
	global_store_b128 v[23:24], v[7:10], off
	s_waitcnt lgkmcnt(3)
	global_store_b128 v[27:28], v[3:6], off
	;; [unrolled: 2-line block ×5, first 2 shown]
	s_and_b32 exec_lo, exec_lo, s3
	s_cbranch_execz .LBB1146_2
; %bb.16:
	ds_load_b128 v[3:6], v0 offset:768
	s_add_i32 s1, s33, 12
	s_delay_alu instid0(SALU_CYCLE_1) | instskip(NEXT) | instid1(SALU_CYCLE_1)
	s_mul_i32 s0, s1, s0
	s_ashr_i32 s1, s0, 31
	s_delay_alu instid0(SALU_CYCLE_1) | instskip(NEXT) | instid1(SALU_CYCLE_1)
	s_lshl_b64 s[0:1], s[0:1], 1
	v_add_co_u32 v0, vcc_lo, v1, s0
	v_add_co_ci_u32_e32 v1, vcc_lo, s1, v2, vcc_lo
	s_waitcnt lgkmcnt(0)
	global_store_b128 v[0:1], v[3:6], off
	s_nop 0
	s_sendmsg sendmsg(MSG_DEALLOC_VGPRS)
	s_endpgm
	.section	.rodata,"a",@progbits
	.p2align	6, 0x0
	.amdhsa_kernel _Z39paged_attention_ll4mi_QKV_mfma16_kernelIDF16_hLN4vllm18Fp8KVCacheDataTypeE1EDF16_Li16ELi64ELi256ELb0ELi13EL8MFMAType0EEvPKT_PKT0_S8_ifPKiSA_SA_iPKfiiiPfSD_PS3_PT2_iSC_SC_
		.amdhsa_group_segment_fixed_size 17472
		.amdhsa_private_segment_fixed_size 0
		.amdhsa_kernarg_size 400
		.amdhsa_user_sgpr_count 13
		.amdhsa_user_sgpr_dispatch_ptr 0
		.amdhsa_user_sgpr_queue_ptr 0
		.amdhsa_user_sgpr_kernarg_segment_ptr 1
		.amdhsa_user_sgpr_dispatch_id 0
		.amdhsa_user_sgpr_private_segment_size 0
		.amdhsa_wavefront_size32 1
		.amdhsa_uses_dynamic_stack 0
		.amdhsa_enable_private_segment 0
		.amdhsa_system_sgpr_workgroup_id_x 1
		.amdhsa_system_sgpr_workgroup_id_y 1
		.amdhsa_system_sgpr_workgroup_id_z 1
		.amdhsa_system_sgpr_workgroup_info 0
		.amdhsa_system_vgpr_workitem_id 0
		.amdhsa_next_free_vgpr 146
		.amdhsa_next_free_sgpr 37
		.amdhsa_reserve_vcc 1
		.amdhsa_float_round_mode_32 0
		.amdhsa_float_round_mode_16_64 0
		.amdhsa_float_denorm_mode_32 3
		.amdhsa_float_denorm_mode_16_64 3
		.amdhsa_dx10_clamp 1
		.amdhsa_ieee_mode 1
		.amdhsa_fp16_overflow 0
		.amdhsa_workgroup_processor_mode 1
		.amdhsa_memory_ordered 1
		.amdhsa_forward_progress 0
		.amdhsa_shared_vgpr_count 0
		.amdhsa_exception_fp_ieee_invalid_op 0
		.amdhsa_exception_fp_denorm_src 0
		.amdhsa_exception_fp_ieee_div_zero 0
		.amdhsa_exception_fp_ieee_overflow 0
		.amdhsa_exception_fp_ieee_underflow 0
		.amdhsa_exception_fp_ieee_inexact 0
		.amdhsa_exception_int_div_zero 0
	.end_amdhsa_kernel
	.section	.text._Z39paged_attention_ll4mi_QKV_mfma16_kernelIDF16_hLN4vllm18Fp8KVCacheDataTypeE1EDF16_Li16ELi64ELi256ELb0ELi13EL8MFMAType0EEvPKT_PKT0_S8_ifPKiSA_SA_iPKfiiiPfSD_PS3_PT2_iSC_SC_,"axG",@progbits,_Z39paged_attention_ll4mi_QKV_mfma16_kernelIDF16_hLN4vllm18Fp8KVCacheDataTypeE1EDF16_Li16ELi64ELi256ELb0ELi13EL8MFMAType0EEvPKT_PKT0_S8_ifPKiSA_SA_iPKfiiiPfSD_PS3_PT2_iSC_SC_,comdat
.Lfunc_end1146:
	.size	_Z39paged_attention_ll4mi_QKV_mfma16_kernelIDF16_hLN4vllm18Fp8KVCacheDataTypeE1EDF16_Li16ELi64ELi256ELb0ELi13EL8MFMAType0EEvPKT_PKT0_S8_ifPKiSA_SA_iPKfiiiPfSD_PS3_PT2_iSC_SC_, .Lfunc_end1146-_Z39paged_attention_ll4mi_QKV_mfma16_kernelIDF16_hLN4vllm18Fp8KVCacheDataTypeE1EDF16_Li16ELi64ELi256ELb0ELi13EL8MFMAType0EEvPKT_PKT0_S8_ifPKiSA_SA_iPKfiiiPfSD_PS3_PT2_iSC_SC_
                                        ; -- End function
	.section	.AMDGPU.csdata,"",@progbits
; Kernel info:
; codeLenInByte = 6692
; NumSgprs: 39
; NumVgprs: 146
; ScratchSize: 0
; MemoryBound: 0
; FloatMode: 240
; IeeeMode: 1
; LDSByteSize: 17472 bytes/workgroup (compile time only)
; SGPRBlocks: 4
; VGPRBlocks: 18
; NumSGPRsForWavesPerEU: 39
; NumVGPRsForWavesPerEU: 146
; Occupancy: 9
; WaveLimiterHint : 1
; COMPUTE_PGM_RSRC2:SCRATCH_EN: 0
; COMPUTE_PGM_RSRC2:USER_SGPR: 13
; COMPUTE_PGM_RSRC2:TRAP_HANDLER: 0
; COMPUTE_PGM_RSRC2:TGID_X_EN: 1
; COMPUTE_PGM_RSRC2:TGID_Y_EN: 1
; COMPUTE_PGM_RSRC2:TGID_Z_EN: 1
; COMPUTE_PGM_RSRC2:TIDIG_COMP_CNT: 0
	.section	.text._Z39paged_attention_ll4mi_QKV_mfma16_kernelIDF16_hLN4vllm18Fp8KVCacheDataTypeE1EDF16_Li16ELi64ELi256ELb0ELi14EL8MFMAType0EEvPKT_PKT0_S8_ifPKiSA_SA_iPKfiiiPfSD_PS3_PT2_iSC_SC_,"axG",@progbits,_Z39paged_attention_ll4mi_QKV_mfma16_kernelIDF16_hLN4vllm18Fp8KVCacheDataTypeE1EDF16_Li16ELi64ELi256ELb0ELi14EL8MFMAType0EEvPKT_PKT0_S8_ifPKiSA_SA_iPKfiiiPfSD_PS3_PT2_iSC_SC_,comdat
	.protected	_Z39paged_attention_ll4mi_QKV_mfma16_kernelIDF16_hLN4vllm18Fp8KVCacheDataTypeE1EDF16_Li16ELi64ELi256ELb0ELi14EL8MFMAType0EEvPKT_PKT0_S8_ifPKiSA_SA_iPKfiiiPfSD_PS3_PT2_iSC_SC_ ; -- Begin function _Z39paged_attention_ll4mi_QKV_mfma16_kernelIDF16_hLN4vllm18Fp8KVCacheDataTypeE1EDF16_Li16ELi64ELi256ELb0ELi14EL8MFMAType0EEvPKT_PKT0_S8_ifPKiSA_SA_iPKfiiiPfSD_PS3_PT2_iSC_SC_
	.globl	_Z39paged_attention_ll4mi_QKV_mfma16_kernelIDF16_hLN4vllm18Fp8KVCacheDataTypeE1EDF16_Li16ELi64ELi256ELb0ELi14EL8MFMAType0EEvPKT_PKT0_S8_ifPKiSA_SA_iPKfiiiPfSD_PS3_PT2_iSC_SC_
	.p2align	8
	.type	_Z39paged_attention_ll4mi_QKV_mfma16_kernelIDF16_hLN4vllm18Fp8KVCacheDataTypeE1EDF16_Li16ELi64ELi256ELb0ELi14EL8MFMAType0EEvPKT_PKT0_S8_ifPKiSA_SA_iPKfiiiPfSD_PS3_PT2_iSC_SC_,@function
_Z39paged_attention_ll4mi_QKV_mfma16_kernelIDF16_hLN4vllm18Fp8KVCacheDataTypeE1EDF16_Li16ELi64ELi256ELb0ELi14EL8MFMAType0EEvPKT_PKT0_S8_ifPKiSA_SA_iPKfiiiPfSD_PS3_PT2_iSC_SC_: ; @_Z39paged_attention_ll4mi_QKV_mfma16_kernelIDF16_hLN4vllm18Fp8KVCacheDataTypeE1EDF16_Li16ELi64ELi256ELb0ELi14EL8MFMAType0EEvPKT_PKT0_S8_ifPKiSA_SA_iPKfiiiPfSD_PS3_PT2_iSC_SC_
; %bb.0:
	s_load_b64 s[2:3], s[0:1], 0x30
	s_mov_b32 s34, s13
	s_waitcnt lgkmcnt(0)
	s_cmp_lg_u64 s[2:3], 0
	s_cselect_b32 s6, -1, 0
	s_ashr_i32 s35, s13, 31
	s_cmp_eq_u64 s[2:3], 0
	s_cbranch_scc1 .LBB1147_3
; %bb.1:
	s_lshl_b64 s[4:5], s[34:35], 2
	s_delay_alu instid0(SALU_CYCLE_1) | instskip(SKIP_4) | instid1(SALU_CYCLE_1)
	s_add_u32 s4, s2, s4
	s_addc_u32 s5, s3, s5
	s_load_b64 s[4:5], s[4:5], 0x0
	s_waitcnt lgkmcnt(0)
	s_sub_i32 s4, s5, s4
	s_cmp_eq_u32 s4, 1
	s_cselect_b32 s4, -1, 0
	s_delay_alu instid0(SALU_CYCLE_1)
	s_and_not1_b32 vcc_lo, exec_lo, s4
	s_cbranch_vccz .LBB1147_4
.LBB1147_2:
	s_endpgm
.LBB1147_3:
.LBB1147_4:
	s_load_b64 s[8:9], s[0:1], 0x28
	s_lshl_b64 s[4:5], s[34:35], 2
	s_waitcnt lgkmcnt(0)
	s_add_u32 s8, s8, s4
	s_addc_u32 s9, s9, s5
	s_lshl_b32 s16, s14, 8
	s_load_b32 s18, s[8:9], 0x0
	s_waitcnt lgkmcnt(0)
	s_cmp_ge_i32 s16, s18
	s_cbranch_scc1 .LBB1147_2
; %bb.5:
	s_clause 0x1
	s_load_b128 s[8:11], s[0:1], 0x8
	s_load_b64 s[12:13], s[0:1], 0x20
	s_and_not1_b32 vcc_lo, exec_lo, s6
	s_cbranch_vccnz .LBB1147_7
; %bb.6:
	s_add_u32 s2, s2, s4
	s_addc_u32 s3, s3, s5
	s_load_b32 s3, s[2:3], 0x0
	s_branch .LBB1147_8
.LBB1147_7:
	s_mov_b32 s3, s34
.LBB1147_8:
	s_load_b128 s[4:7], s[0:1], 0x48
	v_and_b32_e32 v68, 15, v0
	v_cmp_gt_u32_e32 vcc_lo, 0xe0, v0
	v_lshrrev_b32_e32 v69, 5, v0
	v_and_b32_e32 v70, 31, v0
	v_and_b32_e32 v67, 1, v0
	v_lshlrev_b32_e32 v1, 3, v68
	v_cmp_gt_u32_e64 s2, 8, v68
	v_bfe_u32 v66, v0, 4, 1
	s_mul_i32 s31, s15, 14
	s_delay_alu instid0(VALU_DEP_3) | instskip(NEXT) | instid1(VALU_DEP_3)
	v_lshlrev_b32_e32 v65, 1, v1
	s_and_b32 s17, vcc_lo, s2
	s_waitcnt lgkmcnt(0)
	s_and_saveexec_b32 s7, s17
	s_cbranch_execz .LBB1147_10
; %bb.9:
	s_load_b64 s[20:21], s[0:1], 0x0
	v_lshl_or_b32 v5, v69, 1, v66
	s_mul_hi_i32 s23, s3, s4
	s_mul_i32 s22, s3, s4
	v_lshlrev_b32_e32 v6, 10, v68
	s_lshl_b64 s[22:23], s[22:23], 1
	v_add_lshl_u32 v1, v5, s31, 6
	v_lshlrev_b32_e32 v5, 6, v5
	v_lshlrev_b32_e32 v7, 10, v67
	v_and_b32_e32 v6, 0x3800, v6
	s_delay_alu instid0(VALU_DEP_4) | instskip(NEXT) | instid1(VALU_DEP_2)
	v_ashrrev_i32_e32 v2, 31, v1
	v_or3_b32 v5, v6, v7, v5
	s_delay_alu instid0(VALU_DEP_2) | instskip(SKIP_3) | instid1(VALU_DEP_1)
	v_lshlrev_b64 v[1:2], 1, v[1:2]
	s_waitcnt lgkmcnt(0)
	s_add_u32 s3, s20, s22
	s_addc_u32 s4, s21, s23
	v_add_co_u32 v1, vcc_lo, s3, v1
	s_delay_alu instid0(VALU_DEP_2) | instskip(NEXT) | instid1(VALU_DEP_2)
	v_add_co_ci_u32_e32 v2, vcc_lo, s4, v2, vcc_lo
	v_add_co_u32 v1, vcc_lo, v1, v65
	s_delay_alu instid0(VALU_DEP_2)
	v_add_co_ci_u32_e32 v2, vcc_lo, 0, v2, vcc_lo
	global_load_b128 v[1:4], v[1:2], off
	s_waitcnt vmcnt(0)
	ds_store_b128 v5, v[1:4]
.LBB1147_10:
	s_or_b32 exec_lo, exec_lo, s7
	v_and_b32_e32 v1, 0xef, v0
	s_add_i32 s3, s18, 15
	s_clause 0x1
	s_load_b32 s4, s[0:1], 0x38
	s_load_b32 s33, s[0:1], 0x98
	s_ashr_i32 s7, s3, 31
	v_add_nc_u32_e32 v1, s16, v1
	s_lshr_b32 s7, s7, 28
	s_load_b32 s19, s[0:1], 0x1c
	v_add_nc_u32_e32 v103, -14, v68
	s_add_i32 s3, s3, s7
	v_ashrrev_i32_e32 v2, 31, v1
	v_or_b32_e32 v3, 16, v1
	s_ashr_i32 s3, s3, 4
	v_cmp_gt_i32_e32 vcc_lo, s18, v1
	s_add_i32 s3, s3, -1
	v_lshrrev_b32_e32 v2, 28, v2
	s_waitcnt lgkmcnt(0)
	s_barrier
	buffer_gl0_inv
	s_mul_i32 s15, s15, s6
	v_add_nc_u32_e32 v4, v1, v2
	v_mbcnt_lo_u32_b32 v127, -1, 0
	s_mul_i32 s20, s34, s4
	s_delay_alu instid0(SALU_CYCLE_1) | instskip(NEXT) | instid1(VALU_DEP_2)
	s_ashr_i32 s21, s20, 31
	v_ashrrev_i32_e32 v4, 4, v4
	v_add_nc_u32_e32 v2, v3, v2
	s_lshl_b64 s[20:21], s[20:21], 2
	v_xor_b32_e32 v128, 16, v127
	s_add_u32 s17, s12, s20
	v_cndmask_b32_e32 v1, s3, v4, vcc_lo
	v_ashrrev_i32_e32 v2, 4, v2
	v_cmp_gt_i32_e32 vcc_lo, s18, v3
	s_addc_u32 s13, s13, s21
	s_ashr_i32 s20, s15, 31
	s_add_u32 s4, s8, s15
	s_addc_u32 s12, s9, s20
	v_cndmask_b32_e32 v3, s3, v2, vcc_lo
	v_ashrrev_i32_e32 v2, 31, v1
	s_lshl_b32 s6, s14, 4
	s_delay_alu instid0(SALU_CYCLE_1) | instskip(NEXT) | instid1(VALU_DEP_2)
	s_ashr_i32 s7, s6, 31
	v_ashrrev_i32_e32 v4, 31, v3
	s_delay_alu instid0(VALU_DEP_2) | instskip(SKIP_1) | instid1(SALU_CYCLE_1)
	v_lshlrev_b64 v[1:2], 2, v[1:2]
	s_lshl_b64 s[6:7], s[6:7], 2
	s_add_u32 s6, s17, s6
	s_delay_alu instid0(VALU_DEP_2) | instskip(SKIP_1) | instid1(VALU_DEP_2)
	v_lshlrev_b64 v[3:4], 2, v[3:4]
	s_addc_u32 s7, s13, s7
	v_add_co_u32 v1, vcc_lo, s17, v1
	v_add_co_ci_u32_e32 v2, vcc_lo, s13, v2, vcc_lo
	s_delay_alu instid0(VALU_DEP_3) | instskip(NEXT) | instid1(VALU_DEP_4)
	v_add_co_u32 v3, vcc_lo, s17, v3
	v_add_co_ci_u32_e32 v4, vcc_lo, s13, v4, vcc_lo
	s_clause 0x1
	global_load_b32 v5, v[1:2], off
	global_load_b32 v7, v[3:4], off
	s_or_b32 s8, s16, 32
	v_lshlrev_b32_e32 v1, 4, v0
	s_ashr_i32 s9, s8, 4
	s_cmp_lt_i32 s8, s18
	v_cmp_gt_u32_e32 vcc_lo, 14, v68
	s_cselect_b32 s8, s9, s3
	v_and_b32_e32 v1, 0xf0, v1
	s_ashr_i32 s9, s8, 31
	s_delay_alu instid0(SALU_CYCLE_1)
	s_lshl_b64 s[8:9], s[8:9], 2
	v_cndmask_b32_e32 v103, v103, v68, vcc_lo
	s_add_u32 s8, s17, s8
	s_addc_u32 s9, s13, s9
	s_or_b32 s21, s16, 64
	v_add_co_u32 v1, s4, s4, v1
	s_ashr_i32 s22, s21, 4
	s_cmp_lt_i32 s21, s18
	v_add_co_ci_u32_e64 v2, null, s12, 0, s4
	s_cselect_b32 s22, s22, s3
	v_cmp_gt_i32_e32 vcc_lo, 32, v128
	s_ashr_i32 s23, s22, 31
	v_lshlrev_b32_e32 v115, 6, v103
	s_lshl_b64 s[22:23], s[22:23], 2
	v_cndmask_b32_e32 v136, v127, v128, vcc_lo
	s_add_u32 s22, s17, s22
	s_addc_u32 s23, s13, s23
	s_or_b32 s21, s16, 0x60
	s_delay_alu instid0(SALU_CYCLE_1) | instskip(SKIP_2) | instid1(SALU_CYCLE_1)
	s_ashr_i32 s24, s21, 4
	s_cmp_lt_i32 s21, s18
	s_cselect_b32 s24, s24, s3
	s_ashr_i32 s25, s24, 31
	s_delay_alu instid0(SALU_CYCLE_1) | instskip(NEXT) | instid1(SALU_CYCLE_1)
	s_lshl_b64 s[24:25], s[24:25], 2
	s_add_u32 s24, s17, s24
	s_addc_u32 s25, s13, s25
	s_or_b32 s21, s16, 0x80
	s_delay_alu instid0(SALU_CYCLE_1) | instskip(SKIP_2) | instid1(SALU_CYCLE_1)
	s_ashr_i32 s26, s21, 4
	s_cmp_lt_i32 s21, s18
	s_cselect_b32 s26, s26, s3
	s_ashr_i32 s27, s26, 31
	s_delay_alu instid0(SALU_CYCLE_1) | instskip(NEXT) | instid1(SALU_CYCLE_1)
	s_lshl_b64 s[26:27], s[26:27], 2
	;; [unrolled: 10-line block ×3, first 2 shown]
	s_add_u32 s28, s17, s28
	s_addc_u32 s29, s13, s29
	s_clause 0x5
	s_load_b32 s12, s[6:7], 0x0
	s_load_b32 s4, s[8:9], 0x0
	;; [unrolled: 1-line block ×6, first 2 shown]
	s_or_b32 s21, s16, 0xc0
	s_delay_alu instid0(SALU_CYCLE_1) | instskip(SKIP_2) | instid1(SALU_CYCLE_1)
	s_ashr_i32 s22, s21, 4
	s_cmp_lt_i32 s21, s18
	s_cselect_b32 s22, s22, s3
	s_ashr_i32 s23, s22, 31
	s_delay_alu instid0(SALU_CYCLE_1) | instskip(NEXT) | instid1(SALU_CYCLE_1)
	s_lshl_b64 s[22:23], s[22:23], 2
	s_add_u32 s22, s17, s22
	s_addc_u32 s23, s13, s23
	s_or_b32 s21, s16, 0xe0
	s_delay_alu instid0(SALU_CYCLE_1) | instskip(SKIP_2) | instid1(SALU_CYCLE_1)
	s_ashr_i32 s24, s21, 4
	s_cmp_lt_i32 s21, s18
	s_cselect_b32 s24, s24, s3
	s_ashr_i32 s25, s24, 31
	s_delay_alu instid0(SALU_CYCLE_1)
	s_lshl_b64 s[24:25], s[24:25], 2
	s_waitcnt vmcnt(1)
	v_mad_i64_i32 v[3:4], null, v5, s5, v[1:2]
	s_waitcnt vmcnt(0)
	v_mad_i64_i32 v[5:6], null, v7, s5, v[1:2]
	v_lshlrev_b32_e32 v1, 4, v68
	s_clause 0x7
	global_load_b128 v[71:74], v[3:4], off
	global_load_b128 v[75:78], v[3:4], off offset:256
	global_load_b128 v[79:82], v[5:6], off
	global_load_b128 v[83:86], v[5:6], off offset:256
	global_load_b128 v[87:90], v[3:4], off offset:512
	;; [unrolled: 1-line block ×5, first 2 shown]
	v_lshl_or_b32 v1, v69, 8, v1
	s_load_b32 s3, s[22:23], 0x0
	s_add_u32 s22, s17, s24
	s_addc_u32 s23, s13, s25
	s_add_u32 s10, s10, s15
	s_addc_u32 s11, s11, s20
	v_add_co_u32 v1, s10, s10, v1
	s_delay_alu instid0(VALU_DEP_1) | instskip(SKIP_2) | instid1(VALU_DEP_1)
	v_add_co_ci_u32_e64 v2, null, s11, 0, s10
	s_load_b32 s10, s[22:23], 0x0
	s_waitcnt lgkmcnt(0)
	v_mad_i64_i32 v[3:4], null, s12, s5, v[1:2]
	v_mad_i64_i32 v[9:10], null, s7, s5, v[1:2]
	;; [unrolled: 1-line block ×7, first 2 shown]
	s_clause 0x5
	global_load_b128 v[49:52], v[3:4], off
	global_load_b128 v[53:56], v[3:4], off offset:16
	global_load_b128 v[41:44], v[5:6], off
	global_load_b128 v[45:48], v[5:6], off offset:16
	;; [unrolled: 2-line block ×3, first 2 shown]
	s_mov_b32 s4, 0
	v_mad_i64_i32 v[61:62], null, s10, s5, v[1:2]
	s_clause 0x9
	global_load_b128 v[1:4], v[9:10], off
	global_load_b128 v[5:8], v[9:10], off offset:16
	global_load_b128 v[9:12], v[13:14], off
	global_load_b128 v[13:16], v[13:14], off offset:16
	;; [unrolled: 2-line block ×5, first 2 shown]
	s_mov_b32 s5, s4
	s_mov_b32 s6, s4
	s_mov_b32 s7, s4
	s_mov_b32 s8, s4
	s_mov_b32 s9, s4
	s_mov_b32 s10, s4
	s_mov_b32 s11, s4
	v_and_b32_e32 v104, 0xe0, v0
	v_dual_mov_b32 v126, s11 :: v_dual_mov_b32 v125, s10
	v_dual_mov_b32 v124, s9 :: v_dual_mov_b32 v123, s8
	s_delay_alu instid0(VALU_DEP_3)
	v_add_nc_u32_e32 v111, s16, v104
	ds_load_b128 v[103:106], v115
	ds_load_b128 v[107:110], v115 offset:1024
	v_dual_mov_b32 v122, s7 :: v_dual_mov_b32 v121, s6
	v_mov_b32_e32 v120, s5
	v_or_b32_e32 v135, v111, v66
	ds_load_b128 v[111:114], v115 offset:2048
	ds_load_b128 v[115:118], v115 offset:3072
	v_mov_b32_e32 v119, s4
	s_waitcnt vmcnt(0) lgkmcnt(0)
	s_barrier
	v_or_b32_e32 v137, 2, v135
	v_or_b32_e32 v138, 4, v135
	;; [unrolled: 1-line block ×3, first 2 shown]
	v_cmp_gt_i32_e32 vcc_lo, s18, v135
	v_or_b32_e32 v140, 8, v135
	v_cmp_gt_i32_e64 s3, s18, v137
	v_or_b32_e32 v141, 10, v135
	v_cmp_gt_i32_e64 s4, s18, v138
	v_cmp_gt_i32_e64 s5, s18, v139
	v_or_b32_e32 v142, 12, v135
	v_or_b32_e32 v143, 14, v135
	v_cmp_gt_i32_e64 s6, s18, v140
	v_cmp_gt_i32_e64 s7, s18, v141
	v_or_b32_e32 v144, 16, v135
	v_or_b32_e32 v145, 18, v135
	v_cmp_gt_i32_e64 s8, s18, v142
	v_cmp_gt_i32_e64 s9, s18, v143
	buffer_gl0_inv
	v_cmp_gt_i32_e64 s10, s18, v144
	v_cmp_gt_i32_e64 s11, s18, v145
	v_wmma_f32_16x16x16_f16 v[127:134], v[71:78], v[103:110], v[119:126]
	v_wmma_f32_16x16x16_f16 v[119:126], v[79:86], v[103:110], v[119:126]
	v_or_b32_e32 v71, 20, v135
	v_or_b32_e32 v72, 22, v135
	s_delay_alu instid0(VALU_DEP_4)
	v_wmma_f32_16x16x16_f16 v[127:134], v[87:94], v[111:118], v[127:134]
	v_or_b32_e32 v73, 24, v135
	v_wmma_f32_16x16x16_f16 v[119:126], v[95:102], v[111:118], v[119:126]
	v_or_b32_e32 v74, 26, v135
	v_cmp_gt_i32_e64 s12, s18, v71
	v_dual_mul_f32 v83, s19, v128 :: v_dual_mul_f32 v84, s19, v127
	v_dual_mul_f32 v81, s19, v130 :: v_dual_mul_f32 v82, s19, v129
	v_dual_mul_f32 v79, s19, v132 :: v_dual_mul_f32 v92, s19, v119
	s_delay_alu instid0(VALU_DEP_3) | instskip(NEXT) | instid1(VALU_DEP_4)
	v_cndmask_b32_e32 v84, 0xff7fffff, v84, vcc_lo
	v_cndmask_b32_e64 v83, 0xff7fffff, v83, s3
	v_mul_f32_e32 v80, s19, v131
	v_cndmask_b32_e64 v82, 0xff7fffff, v82, s4
	v_cndmask_b32_e64 v81, 0xff7fffff, v81, s5
	v_dual_mul_f32 v77, s19, v134 :: v_dual_mul_f32 v90, s19, v121
	v_max3_f32 v83, v84, 0xff7fffff, v83
	v_mul_f32_e32 v78, s19, v133
	v_cndmask_b32_e64 v80, 0xff7fffff, v80, s6
	v_cndmask_b32_e64 v79, 0xff7fffff, v79, s7
	v_mul_f32_e32 v91, s19, v120
	v_max3_f32 v81, v83, v82, v81
	v_cndmask_b32_e64 v78, 0xff7fffff, v78, s8
	v_cndmask_b32_e64 v77, 0xff7fffff, v77, s9
	v_mul_f32_e32 v89, s19, v122
	v_cmp_gt_i32_e64 s13, s18, v72
	v_max3_f32 v79, v81, v80, v79
	v_cndmask_b32_e64 v80, 0xff7fffff, v92, s10
	v_cndmask_b32_e64 v81, 0xff7fffff, v91, s11
	v_or_b32_e32 v75, 28, v135
	v_or_b32_e32 v76, 30, v135
	v_max3_f32 v77, v79, v78, v77
	v_dual_mul_f32 v87, s19, v124 :: v_dual_mul_f32 v88, s19, v123
	v_cndmask_b32_e64 v71, 0xff7fffff, v90, s12
	v_cndmask_b32_e64 v72, 0xff7fffff, v89, s13
	s_delay_alu instid0(VALU_DEP_4) | instskip(SKIP_3) | instid1(VALU_DEP_4)
	v_max3_f32 v77, v77, v80, v81
	v_cmp_gt_i32_e64 s15, s18, v73
	v_cmp_gt_i32_e64 s16, s18, v74
	v_dual_mul_f32 v85, s19, v126 :: v_dual_mul_f32 v86, s19, v125
	v_max3_f32 v71, v77, v71, v72
	s_delay_alu instid0(VALU_DEP_4) | instskip(NEXT) | instid1(VALU_DEP_4)
	v_cndmask_b32_e64 v73, 0xff7fffff, v88, s15
	v_cndmask_b32_e64 v74, 0xff7fffff, v87, s16
	v_cmp_gt_i32_e64 s17, s18, v75
	v_cmp_gt_i32_e64 s18, s18, v76
	s_delay_alu instid0(VALU_DEP_3) | instskip(NEXT) | instid1(VALU_DEP_3)
	v_max3_f32 v71, v71, v73, v74
	v_cndmask_b32_e64 v72, 0xff7fffff, v86, s17
	s_delay_alu instid0(VALU_DEP_3) | instskip(SKIP_1) | instid1(VALU_DEP_2)
	v_cndmask_b32_e64 v75, 0xff7fffff, v85, s18
	v_lshlrev_b32_e32 v73, 2, v136
	v_max3_f32 v71, v71, v72, v75
	ds_bpermute_b32 v72, v73, v71
	s_waitcnt lgkmcnt(0)
	v_max_f32_e32 v72, v72, v72
	s_delay_alu instid0(VALU_DEP_1) | instskip(NEXT) | instid1(VALU_DEP_1)
	v_max_f32_e32 v71, v71, v72
	v_fma_f32 v72, s19, v127, -v71
	v_fma_f32 v74, s19, v128, -v71
	;; [unrolled: 1-line block ×5, first 2 shown]
	v_mul_f32_e32 v72, 0x3fb8aa3b, v72
	s_delay_alu instid0(VALU_DEP_4) | instskip(NEXT) | instid1(VALU_DEP_4)
	v_dual_mul_f32 v74, 0x3fb8aa3b, v74 :: v_dual_mul_f32 v75, 0x3fb8aa3b, v75
	v_mul_f32_e32 v76, 0x3fb8aa3b, v76
	s_delay_alu instid0(VALU_DEP_4) | instskip(NEXT) | instid1(VALU_DEP_4)
	v_mul_f32_e32 v82, 0x3fb8aa3b, v80
	v_exp_f32_e32 v72, v72
	s_delay_alu instid0(VALU_DEP_3)
	v_exp_f32_e32 v74, v74
	v_exp_f32_e32 v75, v75
	;; [unrolled: 1-line block ×3, first 2 shown]
	v_fma_f32 v77, s19, v131, -v71
	v_exp_f32_e32 v84, v82
	v_cndmask_b32_e32 v79, 0, v72, vcc_lo
	v_cndmask_b32_e64 v78, 0, v74, s3
	s_delay_alu instid0(TRANS32_DEP_3) | instskip(SKIP_1) | instid1(TRANS32_DEP_2)
	v_cndmask_b32_e64 v81, 0, v75, s4
	v_fma_f32 v72, s19, v132, -v71
	v_cndmask_b32_e64 v80, 0, v76, s5
	v_add_f32_e32 v74, 0, v79
	s_delay_alu instid0(TRANS32_DEP_1) | instskip(SKIP_2) | instid1(VALU_DEP_3)
	v_cndmask_b32_e64 v85, 0, v84, s8
	s_mov_b32 s3, exec_lo
	v_mul_f32_e32 v72, 0x3fb8aa3b, v72
	v_add_f32_e32 v74, v74, v78
	s_delay_alu instid0(VALU_DEP_2) | instskip(NEXT) | instid1(VALU_DEP_1)
	v_exp_f32_e32 v72, v72
	v_add_f32_e32 v74, v74, v81
	s_delay_alu instid0(VALU_DEP_1) | instskip(NEXT) | instid1(VALU_DEP_1)
	v_dual_mul_f32 v77, 0x3fb8aa3b, v77 :: v_dual_add_f32 v74, v74, v80
	v_exp_f32_e32 v77, v77
	s_waitcnt_depctr 0xfff
	v_cndmask_b32_e64 v82, 0, v72, s7
	v_cndmask_b32_e64 v83, 0, v77, s6
	s_delay_alu instid0(VALU_DEP_1) | instskip(SKIP_4) | instid1(VALU_DEP_4)
	v_add_f32_e32 v72, v74, v83
	v_fma_f32 v75, s19, v134, -v71
	v_fma_f32 v76, s19, v119, -v71
	v_fma_f32 v77, s19, v120, -v71
	v_fma_f32 v74, s19, v121, -v71
	v_dual_add_f32 v72, v72, v82 :: v_dual_mul_f32 v75, 0x3fb8aa3b, v75
	s_delay_alu instid0(VALU_DEP_3) | instskip(NEXT) | instid1(VALU_DEP_3)
	v_dual_mul_f32 v76, 0x3fb8aa3b, v76 :: v_dual_mul_f32 v77, 0x3fb8aa3b, v77
	v_mul_f32_e32 v74, 0x3fb8aa3b, v74
	v_fma_f32 v86, s19, v122, -v71
	s_delay_alu instid0(VALU_DEP_4) | instskip(NEXT) | instid1(VALU_DEP_3)
	v_exp_f32_e32 v75, v75
	v_exp_f32_e32 v76, v76
	;; [unrolled: 1-line block ×4, first 2 shown]
	v_mul_f32_e32 v86, 0x3fb8aa3b, v86
	s_delay_alu instid0(VALU_DEP_1)
	v_exp_f32_e32 v88, v86
	v_cndmask_b32_e64 v84, 0, v75, s9
	v_fma_f32 v75, s19, v123, -v71
	v_add_f32_e32 v72, v72, v85
	v_cndmask_b32_e64 v87, 0, v76, s10
	v_fma_f32 v76, s19, v124, -v71
	s_delay_alu instid0(TRANS32_DEP_3) | instskip(NEXT) | instid1(VALU_DEP_4)
	v_cndmask_b32_e64 v86, 0, v77, s11
	v_dual_mul_f32 v75, 0x3fb8aa3b, v75 :: v_dual_add_f32 v72, v72, v84
	v_fma_f32 v77, s19, v125, -v71
	s_delay_alu instid0(VALU_DEP_4) | instskip(SKIP_1) | instid1(VALU_DEP_4)
	v_mul_f32_e32 v76, 0x3fb8aa3b, v76
	v_cndmask_b32_e64 v89, 0, v74, s12
	v_exp_f32_e32 v75, v75
	v_add_f32_e32 v72, v72, v87
	v_mul_f32_e32 v74, 0x3fb8aa3b, v77
	v_exp_f32_e32 v76, v76
	v_cndmask_b32_e64 v88, 0, v88, s13
	v_fma_f32 v77, s19, v126, -v71
	v_add_f32_e32 v72, v72, v86
	v_exp_f32_e32 v74, v74
	s_delay_alu instid0(TRANS32_DEP_3) | instskip(NEXT) | instid1(VALU_DEP_2)
	v_cndmask_b32_e64 v91, 0, v75, s15
	v_add_f32_e32 v72, v72, v89
	v_mul_f32_e32 v75, 0x3fb8aa3b, v77
	s_delay_alu instid0(TRANS32_DEP_2) | instskip(NEXT) | instid1(VALU_DEP_3)
	v_cndmask_b32_e64 v90, 0, v76, s16
	v_add_f32_e32 v72, v72, v88
	s_delay_alu instid0(VALU_DEP_3) | instskip(NEXT) | instid1(TRANS32_DEP_2)
	v_exp_f32_e32 v75, v75
	v_cndmask_b32_e64 v93, 0, v74, s17
	s_delay_alu instid0(VALU_DEP_2) | instskip(NEXT) | instid1(VALU_DEP_1)
	v_add_f32_e32 v72, v72, v91
	v_add_f32_e32 v72, v72, v90
	s_waitcnt_depctr 0xfff
	v_cndmask_b32_e64 v92, 0, v75, s18
	v_add_f32_e32 v72, v72, v93
	s_delay_alu instid0(VALU_DEP_1)
	v_add_f32_e32 v72, v72, v92
	ds_bpermute_b32 v73, v73, v72
	v_cmpx_gt_u32_e32 16, v70
	s_cbranch_execz .LBB1147_12
; %bb.11:
	v_mul_u32_u24_e32 v70, 0x44, v69
	s_waitcnt lgkmcnt(0)
	v_add_f32_e32 v72, v72, v73
	s_delay_alu instid0(VALU_DEP_2) | instskip(NEXT) | instid1(VALU_DEP_1)
	v_lshl_add_u32 v70, v68, 2, v70
	v_add_nc_u32_e32 v70, 0x4000, v70
	ds_store_2addr_b32 v70, v71, v72 offset1:136
.LBB1147_12:
	s_or_b32 exec_lo, exec_lo, s3
	v_lshlrev_b32_e32 v70, 2, v68
	s_load_b32 s35, s[0:1], 0x94
	s_waitcnt lgkmcnt(0)
	s_barrier
	buffer_gl0_inv
	v_add_nc_u32_e32 v98, 0x4000, v70
	v_cmp_eq_u32_e32 vcc_lo, 1, v69
	v_cmp_eq_u32_e64 s3, 2, v69
	v_cmp_eq_u32_e64 s4, 3, v69
	;; [unrolled: 1-line block ×3, first 2 shown]
	ds_load_2addr_b32 v[70:71], v98 offset1:17
	ds_load_2addr_b32 v[72:73], v98 offset0:34 offset1:51
	ds_load_2addr_b32 v[74:75], v98 offset0:68 offset1:85
	;; [unrolled: 1-line block ×3, first 2 shown]
	v_cmp_eq_u32_e64 s6, 5, v69
	v_cmp_eq_u32_e64 s7, 7, v69
	s_waitcnt lgkmcnt(3)
	v_max3_f32 v76, v70, 0xff7fffff, v71
	s_waitcnt lgkmcnt(2)
	s_delay_alu instid0(VALU_DEP_1) | instskip(SKIP_1) | instid1(VALU_DEP_1)
	v_max3_f32 v76, v76, v72, v73
	s_waitcnt lgkmcnt(1)
	v_max3_f32 v76, v76, v74, v75
	s_waitcnt lgkmcnt(0)
	s_delay_alu instid0(VALU_DEP_1) | instskip(NEXT) | instid1(VALU_DEP_1)
	v_max3_f32 v76, v76, v94, v95
	v_sub_f32_e32 v77, v71, v76
	ds_load_2addr_b32 v[96:97], v98 offset0:136 offset1:153
	v_sub_f32_e32 v74, v74, v76
	v_sub_f32_e32 v70, v70, v76
	;; [unrolled: 1-line block ×3, first 2 shown]
	v_dual_sub_f32 v72, v72, v76 :: v_dual_mul_f32 v77, 0x3fb8aa3b, v77
	s_delay_alu instid0(VALU_DEP_4) | instskip(NEXT) | instid1(VALU_DEP_4)
	v_mul_f32_e32 v103, 0x3fb8aa3b, v74
	v_mul_f32_e32 v99, 0x3fb8aa3b, v70
	ds_load_2addr_b32 v[70:71], v98 offset0:170 offset1:187
	v_dual_mul_f32 v101, 0x3fb8aa3b, v72 :: v_dual_mul_f32 v94, 0x3fb8aa3b, v94
	v_exp_f32_e32 v102, v77
	v_exp_f32_e32 v99, v99
	s_delay_alu instid0(VALU_DEP_1) | instskip(NEXT) | instid1(VALU_DEP_1)
	v_exp_f32_e32 v101, v101
	v_exp_f32_e32 v94, v94
	s_waitcnt lgkmcnt(1)
	s_delay_alu instid0(TRANS32_DEP_3)
	v_fma_f32 v77, v99, v96, 0
	v_sub_f32_e32 v100, v73, v76
	ds_load_2addr_b32 v[72:73], v98 offset0:204 offset1:221
	v_fmac_f32_e32 v77, v102, v97
	v_exp_f32_e32 v97, v103
	s_waitcnt lgkmcnt(1)
	s_delay_alu instid0(VALU_DEP_1)
	v_dual_fmac_f32 v77, v101, v70 :: v_dual_sub_f32 v96, v75, v76
	ds_load_2addr_b32 v[74:75], v98 offset0:238 offset1:255
	v_sub_f32_e32 v70, v95, v76
	s_waitcnt lgkmcnt(0)
	s_barrier
	v_mul_f32_e32 v96, 0x3fb8aa3b, v96
	buffer_gl0_inv
	v_exp_f32_e32 v95, v96
	v_mul_f32_e32 v100, 0x3fb8aa3b, v100
	s_delay_alu instid0(VALU_DEP_1) | instskip(SKIP_3) | instid1(VALU_DEP_2)
	v_exp_f32_e32 v100, v100
	s_waitcnt_depctr 0xfff
	v_dual_fmac_f32 v77, v100, v71 :: v_dual_mul_f32 v70, 0x3fb8aa3b, v70
	v_cndmask_b32_e32 v71, v99, v102, vcc_lo
	v_fmac_f32_e32 v77, v97, v72
	s_delay_alu instid0(VALU_DEP_3) | instskip(NEXT) | instid1(VALU_DEP_1)
	v_exp_f32_e32 v96, v70
	v_fmac_f32_e32 v77, v95, v73
	s_delay_alu instid0(VALU_DEP_1) | instskip(SKIP_2) | instid1(VALU_DEP_1)
	v_fmac_f32_e32 v77, v94, v74
	s_waitcnt_depctr 0xfff
	v_fmac_f32_e32 v77, v96, v75
	v_add_f32_e32 v74, 0x358637bd, v77
	s_delay_alu instid0(VALU_DEP_1) | instskip(SKIP_1) | instid1(VALU_DEP_2)
	v_div_scale_f32 v98, null, v74, v74, 1.0
	v_div_scale_f32 v99, vcc_lo, 1.0, v74, 1.0
	v_rcp_f32_e32 v103, v98
	s_waitcnt_depctr 0xfff
	v_fma_f32 v70, -v98, v103, 1.0
	s_delay_alu instid0(VALU_DEP_1) | instskip(SKIP_2) | instid1(VALU_DEP_2)
	v_fmac_f32_e32 v103, v70, v103
	v_cndmask_b32_e64 v70, v71, v101, s3
	v_cmp_eq_u32_e64 s3, 6, v69
	v_cndmask_b32_e64 v71, v70, v100, s4
	s_delay_alu instid0(VALU_DEP_4) | instskip(NEXT) | instid1(VALU_DEP_2)
	v_dual_mul_f32 v101, v99, v103 :: v_dual_lshlrev_b32 v70, 2, v66
	v_cndmask_b32_e64 v71, v71, v97, s5
	s_delay_alu instid0(VALU_DEP_2) | instskip(NEXT) | instid1(VALU_DEP_3)
	v_or_b32_e32 v72, 1, v70
	v_fma_f32 v100, -v98, v101, v99
	v_cmp_eq_u32_e64 s4, 1, v70
	v_cmp_eq_u32_e64 s5, 2, v70
	v_cndmask_b32_e64 v95, v71, v95, s6
	v_or_b32_e32 v71, 3, v70
	v_fmac_f32_e32 v101, v100, v103
	v_cmp_eq_u32_e64 s9, 1, v72
	v_cmp_eq_u32_e64 s12, 2, v72
	v_cndmask_b32_e64 v94, v95, v94, s3
	v_cmp_eq_u32_e64 s11, 1, v71
	v_fma_f32 v97, -v98, v101, v99
	v_cmp_eq_u32_e64 s16, 2, v71
	v_cmp_eq_u32_e64 s13, 3, v72
	v_cndmask_b32_e64 v94, v94, v96, s7
	v_cmp_eq_u32_e64 s18, 3, v71
	v_div_fmas_f32 v95, v97, v103, v101
	v_cmp_eq_u32_e32 vcc_lo, 3, v70
	v_cmp_eq_u32_e64 s3, 4, v70
	v_cmp_eq_u32_e64 s19, 4, v72
	;; [unrolled: 1-line block ×3, first 2 shown]
	v_div_fixup_f32 v95, v95, v74, 1.0
	v_lshlrev_b32_e32 v73, 6, v68
	v_cmp_eq_u32_e64 s6, 5, v70
	v_cmp_eq_u32_e64 s20, 5, v72
	;; [unrolled: 1-line block ×3, first 2 shown]
	v_mul_f32_e32 v102, v94, v95
	v_lshl_or_b32 v75, v69, 11, v73
	v_or_b32_e32 v69, 2, v70
	v_cmp_eq_u32_e64 s25, 6, v72
	v_cmp_eq_u32_e64 s27, 6, v71
	v_fma_mixlo_f16 v94, v102, v79, 0
	v_fma_mixlo_f16 v95, v102, v81, 0
	;; [unrolled: 1-line block ×8, first 2 shown]
	v_lshl_or_b32 v74, v66, 4, v75
	v_fma_mixhi_f16 v94, v102, v78, 0
	v_fma_mixhi_f16 v95, v102, v80, 0
	;; [unrolled: 1-line block ×8, first 2 shown]
	ds_store_b128 v74, v[94:97]
	ds_store_b128 v74, v[98:101] offset:1024
	s_waitcnt lgkmcnt(0)
	s_barrier
	buffer_gl0_inv
	ds_load_b128 v[78:81], v75
	ds_load_b128 v[82:85], v75 offset:16
	ds_load_b128 v[86:89], v75 offset:1024
	;; [unrolled: 1-line block ×3, first 2 shown]
	v_cmp_eq_u32_e64 s10, 1, v69
	v_cmp_eq_u32_e64 s15, 2, v69
	;; [unrolled: 1-line block ×11, first 2 shown]
	s_waitcnt lgkmcnt(3)
	v_lshrrev_b32_e32 v94, 16, v78
	s_waitcnt lgkmcnt(2)
	v_lshrrev_b32_e32 v98, 16, v82
	;; [unrolled: 2-line block ×4, first 2 shown]
	v_lshrrev_b32_e32 v95, 16, v79
	v_cndmask_b32_e64 v110, v78, v94, s4
	v_cndmask_b32_e64 v111, v82, v98, s4
	;; [unrolled: 1-line block ×8, first 2 shown]
	v_lshrrev_b32_e32 v99, 16, v83
	v_cndmask_b32_e64 v94, v86, v102, s4
	v_cndmask_b32_e64 v98, v90, v106, s4
	;; [unrolled: 1-line block ×15, first 2 shown]
	v_lshrrev_b32_e32 v103, 16, v87
	v_lshrrev_b32_e32 v107, 16, v91
	v_cndmask_b32_e64 v113, v115, v83, s15
	v_cndmask_b32_e64 v82, v94, v87, s5
	;; [unrolled: 1-line block ×7, first 2 shown]
	v_cndmask_b32_e32 v90, v102, v95, vcc_lo
	v_cndmask_b32_e32 v102, v106, v99, vcc_lo
	v_cndmask_b32_e64 v106, v110, v95, s13
	v_cndmask_b32_e64 v110, v111, v99, s13
	;; [unrolled: 1-line block ×4, first 2 shown]
	v_lshrrev_b32_e32 v96, 16, v80
	v_lshrrev_b32_e32 v100, 16, v84
	v_cndmask_b32_e64 v111, v112, v95, s17
	v_cndmask_b32_e64 v112, v113, v99, s17
	v_cndmask_b32_e32 v82, v82, v103, vcc_lo
	v_cndmask_b32_e32 v83, v83, v107, vcc_lo
	v_cndmask_b32_e64 v94, v94, v103, s13
	v_cndmask_b32_e64 v90, v90, v80, s3
	;; [unrolled: 1-line block ×7, first 2 shown]
	v_lshrrev_b32_e32 v104, 16, v88
	v_cndmask_b32_e64 v106, v111, v80, s21
	v_cndmask_b32_e64 v110, v112, v84, s21
	;; [unrolled: 1-line block ×11, first 2 shown]
	v_lshrrev_b32_e32 v97, 16, v81
	v_lshrrev_b32_e32 v101, 16, v85
	v_cndmask_b32_e64 v99, v106, v96, s23
	v_cndmask_b32_e64 v102, v110, v100, s23
	;; [unrolled: 1-line block ×7, first 2 shown]
	v_lshrrev_b32_e32 v105, 16, v89
	v_cndmask_b32_e64 v80, v80, v104, s6
	v_cndmask_b32_e64 v84, v84, v81, s7
	;; [unrolled: 1-line block ×16, first 2 shown]
	v_perm_b32 v81, v79, v78, 0x5040100
	v_perm_b32 v79, v95, v85, 0x5040100
	v_cndmask_b32_e64 v78, v119, v91, s15
	v_cndmask_b32_e64 v85, v117, v91, s12
	v_cndmask_b32_e64 v96, v80, v105, s8
	v_perm_b32 v80, v94, v90, 0x5040100
	v_cndmask_b32_e64 v90, v98, v103, s17
	v_cndmask_b32_e64 v86, v86, v103, s18
	;; [unrolled: 1-line block ×5, first 2 shown]
	v_lshrrev_b32_e32 v108, 16, v92
	v_cndmask_b32_e64 v90, v90, v88, s21
	v_cndmask_b32_e64 v86, v86, v88, s22
	;; [unrolled: 1-line block ×11, first 2 shown]
	v_lshrrev_b32_e32 v109, 16, v93
	v_cndmask_b32_e64 v82, v82, v93, s7
	v_cndmask_b32_e64 v88, v88, v89, s26
	;; [unrolled: 1-line block ×12, first 2 shown]
	v_perm_b32 v78, v84, v83, 0x5040100
	v_perm_b32 v85, v87, v86, 0x5040100
	;; [unrolled: 1-line block ×5, first 2 shown]
	s_mul_i32 s8, s33, 14
	s_mov_b32 s3, exec_lo
	ds_store_b128 v74, v[78:81]
	ds_store_b128 v74, v[82:85] offset:1024
	v_cmpx_gt_u32_e32 14, v0
	s_cbranch_execz .LBB1147_14
; %bb.13:
	s_mul_i32 s4, s8, s34
	s_delay_alu instid0(SALU_CYCLE_1) | instskip(SKIP_1) | instid1(VALU_DEP_1)
	v_add3_u32 v68, s4, s31, v68
	s_load_b128 s[4:7], s[0:1], 0x58
	v_mad_u64_u32 v[78:79], null, v68, s35, s[14:15]
	s_delay_alu instid0(VALU_DEP_1) | instskip(NEXT) | instid1(VALU_DEP_1)
	v_ashrrev_i32_e32 v79, 31, v78
	v_lshlrev_b64 v[78:79], 2, v[78:79]
	s_waitcnt lgkmcnt(0)
	s_delay_alu instid0(VALU_DEP_1) | instskip(NEXT) | instid1(VALU_DEP_2)
	v_add_co_u32 v80, vcc_lo, s6, v78
	v_add_co_ci_u32_e32 v81, vcc_lo, s7, v79, vcc_lo
	v_add_co_u32 v78, vcc_lo, s4, v78
	v_add_co_ci_u32_e32 v79, vcc_lo, s5, v79, vcc_lo
	global_store_b32 v[80:81], v76, off
	global_store_b32 v[78:79], v77, off
.LBB1147_14:
	s_or_b32 exec_lo, exec_lo, s3
	s_waitcnt lgkmcnt(0)
	s_waitcnt_vscnt null, 0x0
	s_barrier
	buffer_gl0_inv
	ds_load_b128 v[84:87], v73
	ds_load_b128 v[88:91], v73 offset:16
	ds_load_b128 v[96:99], v73 offset:2064
	;; [unrolled: 1-line block ×5, first 2 shown]
	v_cmp_eq_u32_e32 vcc_lo, 1, v70
	v_mov_b32_e32 v76, 0
	ds_load_b128 v[112:115], v73 offset:6160
	ds_load_b128 v[108:111], v73 offset:6144
	;; [unrolled: 1-line block ×4, first 2 shown]
	v_cmp_eq_u32_e64 s4, 1, v69
	v_cmp_eq_u32_e64 s3, 1, v72
	;; [unrolled: 1-line block ×3, first 2 shown]
	v_mov_b32_e32 v77, v76
	v_mov_b32_e32 v78, v76
	;; [unrolled: 1-line block ×7, first 2 shown]
	v_cmp_eq_u32_e64 s6, 3, v72
	v_cmp_eq_u32_e64 s7, 7, v72
	s_waitcnt lgkmcnt(8)
	s_delay_alu instid0(VALU_DEP_3)
	v_wmma_f32_16x16x16_f16 v[76:83], v[49:56], v[84:91], v[76:83]
	ds_load_b128 v[53:56], v73 offset:10256
	ds_load_b128 v[49:52], v73 offset:10240
	s_waitcnt lgkmcnt(8)
	v_wmma_f32_16x16x16_f16 v[76:83], v[41:48], v[92:99], v[76:83]
	ds_load_b128 v[45:48], v73 offset:12304
	ds_load_b128 v[41:44], v73 offset:12288
	s_waitcnt lgkmcnt(8)
	;; [unrolled: 4-line block ×3, first 2 shown]
	s_barrier
	buffer_gl0_inv
	v_wmma_f32_16x16x16_f16 v[76:83], v[1:8], v[108:115], v[76:83]
	s_delay_alu instid0(VALU_DEP_1) | instskip(NEXT) | instid1(VALU_DEP_1)
	v_wmma_f32_16x16x16_f16 v[76:83], v[9:16], v[116:123], v[76:83]
	v_wmma_f32_16x16x16_f16 v[76:83], v[17:24], v[49:56], v[76:83]
	s_delay_alu instid0(VALU_DEP_1) | instskip(NEXT) | instid1(VALU_DEP_1)
	v_wmma_f32_16x16x16_f16 v[76:83], v[25:32], v[41:48], v[76:83]
	v_wmma_f32_16x16x16_f16 v[76:83], v[57:64], v[33:40], v[76:83]
	s_delay_alu instid0(VALU_DEP_1) | instskip(NEXT) | instid1(VALU_DEP_2)
	v_cvt_f16_f32_e32 v1, v76
	v_cvt_f16_f32_e32 v2, v77
	s_delay_alu instid0(VALU_DEP_3) | instskip(NEXT) | instid1(VALU_DEP_4)
	v_cvt_f16_f32_e32 v3, v78
	v_cvt_f16_f32_e32 v4, v79
	;; [unrolled: 1-line block ×6, first 2 shown]
	v_pack_b32_f16 v1, v1, v2
	v_pack_b32_f16 v2, v3, v4
	;; [unrolled: 1-line block ×3, first 2 shown]
	s_delay_alu instid0(VALU_DEP_4)
	v_pack_b32_f16 v4, v7, v8
	ds_store_b128 v74, v[1:4]
	s_waitcnt lgkmcnt(0)
	s_barrier
	buffer_gl0_inv
	ds_load_b128 v[1:4], v75
	ds_load_b128 v[5:8], v75 offset:16
	s_waitcnt lgkmcnt(1)
	v_lshrrev_b32_e32 v9, 16, v1
	s_waitcnt lgkmcnt(0)
	v_lshrrev_b32_e32 v13, 16, v5
	v_lshrrev_b32_e32 v10, 16, v2
	;; [unrolled: 1-line block ×4, first 2 shown]
	v_cndmask_b32_e32 v17, v1, v9, vcc_lo
	v_cndmask_b32_e32 v18, v5, v13, vcc_lo
	v_cndmask_b32_e64 v21, v1, v9, s4
	v_cmp_eq_u32_e32 vcc_lo, 1, v71
	v_cndmask_b32_e64 v22, v5, v13, s4
	v_cmp_eq_u32_e64 s4, 2, v70
	v_cndmask_b32_e64 v19, v1, v9, s3
	v_cndmask_b32_e64 v20, v5, v13, s3
	v_cndmask_b32_e32 v1, v1, v9, vcc_lo
	v_cmp_eq_u32_e64 s3, 2, v71
	v_cndmask_b32_e32 v5, v5, v13, vcc_lo
	v_cndmask_b32_e64 v9, v17, v2, s4
	v_cmp_eq_u32_e32 vcc_lo, 3, v70
	v_cndmask_b32_e64 v13, v18, v6, s4
	v_cmp_eq_u32_e64 s4, 2, v69
	v_cndmask_b32_e64 v17, v19, v2, s5
	v_cndmask_b32_e64 v18, v20, v6, s5
	v_cmp_eq_u32_e64 s5, 3, v69
	v_cndmask_b32_e64 v1, v1, v2, s3
	v_cndmask_b32_e64 v19, v21, v2, s4
	;; [unrolled: 1-line block ×4, first 2 shown]
	v_cndmask_b32_e32 v5, v9, v10, vcc_lo
	v_cndmask_b32_e32 v6, v13, v14, vcc_lo
	v_cmp_eq_u32_e32 vcc_lo, 3, v71
	v_cndmask_b32_e64 v9, v17, v10, s6
	v_cndmask_b32_e64 v13, v18, v14, s6
	;; [unrolled: 1-line block ×3, first 2 shown]
	v_cmp_eq_u32_e64 s4, 4, v70
	v_cndmask_b32_e32 v1, v1, v10, vcc_lo
	v_cndmask_b32_e32 v2, v2, v14, vcc_lo
	v_cmp_eq_u32_e32 vcc_lo, 4, v72
	v_lshrrev_b32_e32 v15, 16, v7
	v_lshrrev_b32_e32 v16, 16, v8
	v_cndmask_b32_e64 v17, v19, v10, s5
	v_cmp_eq_u32_e64 s3, 4, v71
	v_cndmask_b32_e64 v5, v5, v3, s4
	v_cndmask_b32_e64 v6, v6, v7, s4
	v_cndmask_b32_e32 v9, v9, v3, vcc_lo
	v_cmp_eq_u32_e64 s4, 5, v72
	v_cndmask_b32_e32 v10, v13, v7, vcc_lo
	v_cmp_eq_u32_e32 vcc_lo, 4, v69
	v_cmp_eq_u32_e64 s5, 5, v70
	v_cndmask_b32_e64 v2, v2, v7, s3
	v_cndmask_b32_e64 v9, v9, v11, s4
	;; [unrolled: 1-line block ×3, first 2 shown]
	v_cndmask_b32_e32 v13, v17, v3, vcc_lo
	v_cmp_eq_u32_e64 s4, 5, v69
	v_cndmask_b32_e32 v14, v18, v7, vcc_lo
	v_cndmask_b32_e64 v1, v1, v3, s3
	v_cmp_eq_u32_e32 vcc_lo, 5, v71
	v_lshrrev_b32_e32 v12, 16, v4
	v_cndmask_b32_e64 v13, v13, v11, s4
	v_cndmask_b32_e64 v3, v14, v15, s4
	v_cmp_eq_u32_e64 s4, 6, v71
	v_cndmask_b32_e32 v1, v1, v11, vcc_lo
	v_cndmask_b32_e64 v5, v5, v11, s5
	v_cmp_eq_u32_e64 s6, 6, v70
	v_cndmask_b32_e64 v6, v6, v15, s5
	v_cmp_eq_u32_e64 s5, 6, v72
	v_cmp_eq_u32_e64 s3, 6, v69
	v_cndmask_b32_e64 v1, v1, v4, s4
	v_cndmask_b32_e32 v2, v2, v15, vcc_lo
	v_cmp_eq_u32_e32 vcc_lo, 7, v71
	v_cndmask_b32_e64 v5, v5, v4, s6
	v_cndmask_b32_e64 v9, v9, v4, s5
	;; [unrolled: 1-line block ×3, first 2 shown]
	v_cmp_eq_u32_e64 s6, 7, v70
	v_cndmask_b32_e32 v1, v1, v12, vcc_lo
	v_cndmask_b32_e64 v7, v13, v4, s3
	v_cndmask_b32_e64 v3, v3, v8, s3
	;; [unrolled: 1-line block ×3, first 2 shown]
	v_cmp_eq_u32_e64 s3, 7, v69
	v_cndmask_b32_e64 v4, v10, v8, s5
	v_cndmask_b32_e64 v5, v5, v12, s6
	;; [unrolled: 1-line block ×3, first 2 shown]
	v_cndmask_b32_e32 v2, v2, v16, vcc_lo
	v_cndmask_b32_e64 v7, v7, v12, s3
	v_cndmask_b32_e64 v3, v3, v16, s3
	;; [unrolled: 1-line block ×4, first 2 shown]
	v_cmp_gt_u32_e32 vcc_lo, 32, v0
	v_perm_b32 v4, v2, v1, 0x5040100
	v_perm_b32 v3, v3, v7, 0x5040100
	;; [unrolled: 1-line block ×4, first 2 shown]
	s_and_b32 s2, vcc_lo, s2
	ds_store_b128 v74, v[1:4]
	s_waitcnt lgkmcnt(0)
	s_barrier
	buffer_gl0_inv
	s_and_saveexec_b32 s3, s2
	s_cbranch_execz .LBB1147_2
; %bb.15:
	s_load_b64 s[0:1], s[0:1], 0x68
	v_lshlrev_b32_e32 v0, 10, v0
	s_lshl_b32 s4, s35, 6
	v_or_b32_e32 v3, s31, v66
	s_mul_i32 s2, s4, s34
	v_lshlrev_b32_e32 v1, 4, v67
	v_lshlrev_b32_e32 v2, 6, v66
	v_and_b32_e32 v0, 0x3800, v0
	s_mul_i32 s2, s2, s8
	v_mul_lo_u32 v8, v3, s4
	s_ashr_i32 s3, s2, 31
	s_delay_alu instid0(SALU_CYCLE_1)
	s_lshl_b64 s[2:3], s[2:3], 1
	v_or3_b32 v16, v0, v1, v2
	ds_load_b128 v[0:3], v16
	ds_load_b128 v[4:7], v16 offset:128
	v_ashrrev_i32_e32 v9, 31, v8
	s_waitcnt lgkmcnt(0)
	s_add_u32 s2, s0, s2
	s_addc_u32 s3, s1, s3
	s_lshl_b32 s0, s14, 6
	s_delay_alu instid0(SALU_CYCLE_1) | instskip(SKIP_2) | instid1(SALU_CYCLE_1)
	s_ashr_i32 s1, s0, 31
	v_lshlrev_b64 v[9:10], 1, v[8:9]
	s_lshl_b64 s[0:1], s[0:1], 1
	s_add_u32 s0, s2, s0
	s_addc_u32 s1, s3, s1
	s_lshl_b32 s2, s35, 7
	v_add_co_u32 v30, s0, s0, v65
	v_add_nc_u32_e32 v11, s2, v8
	v_add_co_ci_u32_e64 v31, null, s1, 0, s0
	s_delay_alu instid0(VALU_DEP_3) | instskip(NEXT) | instid1(VALU_DEP_3)
	v_add_co_u32 v9, vcc_lo, v30, v9
	v_add_nc_u32_e32 v8, s2, v11
	s_delay_alu instid0(VALU_DEP_3) | instskip(SKIP_1) | instid1(VALU_DEP_3)
	v_add_co_ci_u32_e32 v10, vcc_lo, v31, v10, vcc_lo
	v_ashrrev_i32_e32 v12, 31, v11
	v_add_nc_u32_e32 v13, s2, v8
	global_store_b128 v[9:10], v[0:3], off
	v_ashrrev_i32_e32 v9, 31, v8
	v_lshlrev_b64 v[11:12], 1, v[11:12]
	v_ashrrev_i32_e32 v14, 31, v13
	v_add_nc_u32_e32 v10, s2, v13
	s_delay_alu instid0(VALU_DEP_4) | instskip(NEXT) | instid1(VALU_DEP_4)
	v_lshlrev_b64 v[2:3], 1, v[8:9]
	v_add_co_u32 v0, vcc_lo, v30, v11
	s_delay_alu instid0(VALU_DEP_4)
	v_lshlrev_b64 v[8:9], 1, v[13:14]
	v_add_co_ci_u32_e32 v1, vcc_lo, v31, v12, vcc_lo
	v_ashrrev_i32_e32 v11, 31, v10
	v_add_co_u32 v22, vcc_lo, v30, v2
	v_add_nc_u32_e32 v20, s2, v10
	v_add_co_ci_u32_e32 v23, vcc_lo, v31, v3, vcc_lo
	v_add_co_u32 v24, vcc_lo, v30, v8
	global_store_b128 v[0:1], v[4:7], off
	v_add_co_ci_u32_e32 v25, vcc_lo, v31, v9, vcc_lo
	ds_load_b128 v[0:3], v16 offset:256
	ds_load_b128 v[4:7], v16 offset:384
	v_lshlrev_b64 v[26:27], 1, v[10:11]
	ds_load_b128 v[8:11], v16 offset:512
	ds_load_b128 v[12:15], v16 offset:640
	;; [unrolled: 1-line block ×3, first 2 shown]
	v_add_nc_u32_e32 v28, s2, v20
	v_ashrrev_i32_e32 v21, 31, v20
	v_add_co_u32 v26, vcc_lo, v30, v26
	s_delay_alu instid0(VALU_DEP_3) | instskip(NEXT) | instid1(VALU_DEP_3)
	v_ashrrev_i32_e32 v29, 31, v28
	v_lshlrev_b64 v[20:21], 1, v[20:21]
	v_add_co_ci_u32_e32 v27, vcc_lo, v31, v27, vcc_lo
	s_delay_alu instid0(VALU_DEP_3) | instskip(NEXT) | instid1(VALU_DEP_3)
	v_lshlrev_b64 v[28:29], 1, v[28:29]
	v_add_co_u32 v20, vcc_lo, v30, v20
	s_delay_alu instid0(VALU_DEP_4) | instskip(NEXT) | instid1(VALU_DEP_3)
	v_add_co_ci_u32_e32 v21, vcc_lo, v31, v21, vcc_lo
	v_add_co_u32 v28, vcc_lo, v30, v28
	s_delay_alu instid0(VALU_DEP_4)
	v_add_co_ci_u32_e32 v29, vcc_lo, v31, v29, vcc_lo
	s_waitcnt lgkmcnt(4)
	global_store_b128 v[22:23], v[0:3], off
	s_waitcnt lgkmcnt(3)
	global_store_b128 v[24:25], v[4:7], off
	;; [unrolled: 2-line block ×5, first 2 shown]
	s_nop 0
	s_sendmsg sendmsg(MSG_DEALLOC_VGPRS)
	s_endpgm
	.section	.rodata,"a",@progbits
	.p2align	6, 0x0
	.amdhsa_kernel _Z39paged_attention_ll4mi_QKV_mfma16_kernelIDF16_hLN4vllm18Fp8KVCacheDataTypeE1EDF16_Li16ELi64ELi256ELb0ELi14EL8MFMAType0EEvPKT_PKT0_S8_ifPKiSA_SA_iPKfiiiPfSD_PS3_PT2_iSC_SC_
		.amdhsa_group_segment_fixed_size 17472
		.amdhsa_private_segment_fixed_size 0
		.amdhsa_kernarg_size 400
		.amdhsa_user_sgpr_count 13
		.amdhsa_user_sgpr_dispatch_ptr 0
		.amdhsa_user_sgpr_queue_ptr 0
		.amdhsa_user_sgpr_kernarg_segment_ptr 1
		.amdhsa_user_sgpr_dispatch_id 0
		.amdhsa_user_sgpr_private_segment_size 0
		.amdhsa_wavefront_size32 1
		.amdhsa_uses_dynamic_stack 0
		.amdhsa_enable_private_segment 0
		.amdhsa_system_sgpr_workgroup_id_x 1
		.amdhsa_system_sgpr_workgroup_id_y 1
		.amdhsa_system_sgpr_workgroup_id_z 1
		.amdhsa_system_sgpr_workgroup_info 0
		.amdhsa_system_vgpr_workitem_id 0
		.amdhsa_next_free_vgpr 146
		.amdhsa_next_free_sgpr 36
		.amdhsa_reserve_vcc 1
		.amdhsa_float_round_mode_32 0
		.amdhsa_float_round_mode_16_64 0
		.amdhsa_float_denorm_mode_32 3
		.amdhsa_float_denorm_mode_16_64 3
		.amdhsa_dx10_clamp 1
		.amdhsa_ieee_mode 1
		.amdhsa_fp16_overflow 0
		.amdhsa_workgroup_processor_mode 1
		.amdhsa_memory_ordered 1
		.amdhsa_forward_progress 0
		.amdhsa_shared_vgpr_count 0
		.amdhsa_exception_fp_ieee_invalid_op 0
		.amdhsa_exception_fp_denorm_src 0
		.amdhsa_exception_fp_ieee_div_zero 0
		.amdhsa_exception_fp_ieee_overflow 0
		.amdhsa_exception_fp_ieee_underflow 0
		.amdhsa_exception_fp_ieee_inexact 0
		.amdhsa_exception_int_div_zero 0
	.end_amdhsa_kernel
	.section	.text._Z39paged_attention_ll4mi_QKV_mfma16_kernelIDF16_hLN4vllm18Fp8KVCacheDataTypeE1EDF16_Li16ELi64ELi256ELb0ELi14EL8MFMAType0EEvPKT_PKT0_S8_ifPKiSA_SA_iPKfiiiPfSD_PS3_PT2_iSC_SC_,"axG",@progbits,_Z39paged_attention_ll4mi_QKV_mfma16_kernelIDF16_hLN4vllm18Fp8KVCacheDataTypeE1EDF16_Li16ELi64ELi256ELb0ELi14EL8MFMAType0EEvPKT_PKT0_S8_ifPKiSA_SA_iPKfiiiPfSD_PS3_PT2_iSC_SC_,comdat
.Lfunc_end1147:
	.size	_Z39paged_attention_ll4mi_QKV_mfma16_kernelIDF16_hLN4vllm18Fp8KVCacheDataTypeE1EDF16_Li16ELi64ELi256ELb0ELi14EL8MFMAType0EEvPKT_PKT0_S8_ifPKiSA_SA_iPKfiiiPfSD_PS3_PT2_iSC_SC_, .Lfunc_end1147-_Z39paged_attention_ll4mi_QKV_mfma16_kernelIDF16_hLN4vllm18Fp8KVCacheDataTypeE1EDF16_Li16ELi64ELi256ELb0ELi14EL8MFMAType0EEvPKT_PKT0_S8_ifPKiSA_SA_iPKfiiiPfSD_PS3_PT2_iSC_SC_
                                        ; -- End function
	.section	.AMDGPU.csdata,"",@progbits
; Kernel info:
; codeLenInByte = 6640
; NumSgprs: 38
; NumVgprs: 146
; ScratchSize: 0
; MemoryBound: 0
; FloatMode: 240
; IeeeMode: 1
; LDSByteSize: 17472 bytes/workgroup (compile time only)
; SGPRBlocks: 4
; VGPRBlocks: 18
; NumSGPRsForWavesPerEU: 38
; NumVGPRsForWavesPerEU: 146
; Occupancy: 9
; WaveLimiterHint : 1
; COMPUTE_PGM_RSRC2:SCRATCH_EN: 0
; COMPUTE_PGM_RSRC2:USER_SGPR: 13
; COMPUTE_PGM_RSRC2:TRAP_HANDLER: 0
; COMPUTE_PGM_RSRC2:TGID_X_EN: 1
; COMPUTE_PGM_RSRC2:TGID_Y_EN: 1
; COMPUTE_PGM_RSRC2:TGID_Z_EN: 1
; COMPUTE_PGM_RSRC2:TIDIG_COMP_CNT: 0
	.section	.text._Z39paged_attention_ll4mi_QKV_mfma16_kernelIDF16_hLN4vllm18Fp8KVCacheDataTypeE1EDF16_Li16ELi64ELi256ELb0ELi15EL8MFMAType0EEvPKT_PKT0_S8_ifPKiSA_SA_iPKfiiiPfSD_PS3_PT2_iSC_SC_,"axG",@progbits,_Z39paged_attention_ll4mi_QKV_mfma16_kernelIDF16_hLN4vllm18Fp8KVCacheDataTypeE1EDF16_Li16ELi64ELi256ELb0ELi15EL8MFMAType0EEvPKT_PKT0_S8_ifPKiSA_SA_iPKfiiiPfSD_PS3_PT2_iSC_SC_,comdat
	.protected	_Z39paged_attention_ll4mi_QKV_mfma16_kernelIDF16_hLN4vllm18Fp8KVCacheDataTypeE1EDF16_Li16ELi64ELi256ELb0ELi15EL8MFMAType0EEvPKT_PKT0_S8_ifPKiSA_SA_iPKfiiiPfSD_PS3_PT2_iSC_SC_ ; -- Begin function _Z39paged_attention_ll4mi_QKV_mfma16_kernelIDF16_hLN4vllm18Fp8KVCacheDataTypeE1EDF16_Li16ELi64ELi256ELb0ELi15EL8MFMAType0EEvPKT_PKT0_S8_ifPKiSA_SA_iPKfiiiPfSD_PS3_PT2_iSC_SC_
	.globl	_Z39paged_attention_ll4mi_QKV_mfma16_kernelIDF16_hLN4vllm18Fp8KVCacheDataTypeE1EDF16_Li16ELi64ELi256ELb0ELi15EL8MFMAType0EEvPKT_PKT0_S8_ifPKiSA_SA_iPKfiiiPfSD_PS3_PT2_iSC_SC_
	.p2align	8
	.type	_Z39paged_attention_ll4mi_QKV_mfma16_kernelIDF16_hLN4vllm18Fp8KVCacheDataTypeE1EDF16_Li16ELi64ELi256ELb0ELi15EL8MFMAType0EEvPKT_PKT0_S8_ifPKiSA_SA_iPKfiiiPfSD_PS3_PT2_iSC_SC_,@function
_Z39paged_attention_ll4mi_QKV_mfma16_kernelIDF16_hLN4vllm18Fp8KVCacheDataTypeE1EDF16_Li16ELi64ELi256ELb0ELi15EL8MFMAType0EEvPKT_PKT0_S8_ifPKiSA_SA_iPKfiiiPfSD_PS3_PT2_iSC_SC_: ; @_Z39paged_attention_ll4mi_QKV_mfma16_kernelIDF16_hLN4vllm18Fp8KVCacheDataTypeE1EDF16_Li16ELi64ELi256ELb0ELi15EL8MFMAType0EEvPKT_PKT0_S8_ifPKiSA_SA_iPKfiiiPfSD_PS3_PT2_iSC_SC_
; %bb.0:
	s_load_b64 s[2:3], s[0:1], 0x30
	s_mov_b32 s34, s13
	s_waitcnt lgkmcnt(0)
	s_cmp_lg_u64 s[2:3], 0
	s_cselect_b32 s6, -1, 0
	s_ashr_i32 s35, s13, 31
	s_cmp_eq_u64 s[2:3], 0
	s_cbranch_scc1 .LBB1148_3
; %bb.1:
	s_lshl_b64 s[4:5], s[34:35], 2
	s_delay_alu instid0(SALU_CYCLE_1) | instskip(SKIP_4) | instid1(SALU_CYCLE_1)
	s_add_u32 s4, s2, s4
	s_addc_u32 s5, s3, s5
	s_load_b64 s[4:5], s[4:5], 0x0
	s_waitcnt lgkmcnt(0)
	s_sub_i32 s4, s5, s4
	s_cmp_eq_u32 s4, 1
	s_cselect_b32 s4, -1, 0
	s_delay_alu instid0(SALU_CYCLE_1)
	s_and_not1_b32 vcc_lo, exec_lo, s4
	s_cbranch_vccz .LBB1148_4
.LBB1148_2:
	s_nop 0
	s_sendmsg sendmsg(MSG_DEALLOC_VGPRS)
	s_endpgm
.LBB1148_3:
.LBB1148_4:
	s_load_b64 s[8:9], s[0:1], 0x28
	s_lshl_b64 s[4:5], s[34:35], 2
	s_waitcnt lgkmcnt(0)
	s_add_u32 s8, s8, s4
	s_addc_u32 s9, s9, s5
	s_lshl_b32 s16, s14, 8
	s_load_b32 s18, s[8:9], 0x0
	s_waitcnt lgkmcnt(0)
	s_cmp_ge_i32 s16, s18
	s_cbranch_scc1 .LBB1148_2
; %bb.5:
	s_clause 0x1
	s_load_b128 s[8:11], s[0:1], 0x8
	s_load_b64 s[12:13], s[0:1], 0x20
	s_and_not1_b32 vcc_lo, exec_lo, s6
	s_cbranch_vccnz .LBB1148_7
; %bb.6:
	s_add_u32 s2, s2, s4
	s_addc_u32 s3, s3, s5
	s_load_b32 s3, s[2:3], 0x0
	s_branch .LBB1148_8
.LBB1148_7:
	s_mov_b32 s3, s34
.LBB1148_8:
	s_load_b128 s[4:7], s[0:1], 0x48
	v_lshrrev_b32_e32 v69, 5, v0
	v_bfe_u32 v66, v0, 4, 1
	v_and_b32_e32 v68, 15, v0
	v_and_b32_e32 v70, 31, v0
	;; [unrolled: 1-line block ×3, first 2 shown]
	s_mul_i32 s33, s15, 15
	v_lshl_or_b32 v1, v69, 1, v66
	v_lshlrev_b32_e32 v2, 3, v68
	v_cmp_gt_u32_e64 s2, 8, v68
	s_delay_alu instid0(VALU_DEP_3) | instskip(NEXT) | instid1(VALU_DEP_3)
	v_cmp_gt_u32_e32 vcc_lo, 15, v1
	v_lshlrev_b32_e32 v65, 1, v2
	s_delay_alu instid0(VALU_DEP_3)
	s_and_b32 s17, s2, vcc_lo
	s_waitcnt lgkmcnt(0)
	s_and_saveexec_b32 s7, s17
	s_cbranch_execz .LBB1148_10
; %bb.9:
	s_load_b64 s[20:21], s[0:1], 0x0
	v_add_lshl_u32 v2, v1, s33, 6
	s_mul_hi_i32 s23, s3, s4
	s_mul_i32 s22, s3, s4
	v_lshlrev_b32_e32 v6, 10, v68
	s_lshl_b64 s[22:23], s[22:23], 1
	v_ashrrev_i32_e32 v3, 31, v2
	v_lshlrev_b32_e32 v1, 6, v1
	v_lshlrev_b32_e32 v7, 10, v67
	v_and_b32_e32 v6, 0x3800, v6
	s_delay_alu instid0(VALU_DEP_4) | instskip(NEXT) | instid1(VALU_DEP_2)
	v_lshlrev_b64 v[2:3], 1, v[2:3]
	v_or3_b32 v1, v6, v7, v1
	s_waitcnt lgkmcnt(0)
	s_add_u32 s3, s20, s22
	s_addc_u32 s4, s21, s23
	s_delay_alu instid0(VALU_DEP_2) | instskip(SKIP_1) | instid1(VALU_DEP_2)
	v_add_co_u32 v2, vcc_lo, s3, v2
	v_add_co_ci_u32_e32 v3, vcc_lo, s4, v3, vcc_lo
	v_add_co_u32 v2, vcc_lo, v2, v65
	s_delay_alu instid0(VALU_DEP_2)
	v_add_co_ci_u32_e32 v3, vcc_lo, 0, v3, vcc_lo
	global_load_b128 v[2:5], v[2:3], off
	s_waitcnt vmcnt(0)
	ds_store_b128 v1, v[2:5]
.LBB1148_10:
	s_or_b32 exec_lo, exec_lo, s7
	v_and_b32_e32 v1, 0xef, v0
	s_add_i32 s3, s18, 15
	s_clause 0x1
	s_load_b32 s4, s[0:1], 0x38
	s_load_b32 s35, s[0:1], 0x98
	s_ashr_i32 s7, s3, 31
	v_add_nc_u32_e32 v1, s16, v1
	s_lshr_b32 s7, s7, 28
	s_load_b32 s19, s[0:1], 0x1c
	s_add_i32 s3, s3, s7
	s_waitcnt lgkmcnt(0)
	v_ashrrev_i32_e32 v2, 31, v1
	v_or_b32_e32 v3, 16, v1
	s_ashr_i32 s3, s3, 4
	v_cmp_gt_i32_e32 vcc_lo, s18, v1
	s_add_i32 s3, s3, -1
	v_lshrrev_b32_e32 v2, 28, v2
	s_barrier
	buffer_gl0_inv
	s_mul_i32 s15, s15, s6
	v_mbcnt_lo_u32_b32 v127, -1, 0
	v_add_nc_u32_e32 v4, v1, v2
	s_mul_i32 s20, s34, s4
	s_delay_alu instid0(SALU_CYCLE_1) | instskip(NEXT) | instid1(VALU_DEP_1)
	s_ashr_i32 s21, s20, 31
	v_ashrrev_i32_e32 v4, 4, v4
	v_add_nc_u32_e32 v2, v3, v2
	s_lshl_b64 s[20:21], s[20:21], 2
	v_xor_b32_e32 v128, 16, v127
	s_add_u32 s17, s12, s20
	v_cndmask_b32_e32 v1, s3, v4, vcc_lo
	v_ashrrev_i32_e32 v2, 4, v2
	v_cmp_gt_i32_e32 vcc_lo, s18, v3
	s_addc_u32 s13, s13, s21
	s_ashr_i32 s20, s15, 31
	s_add_u32 s4, s8, s15
	s_addc_u32 s12, s9, s20
	v_cndmask_b32_e32 v3, s3, v2, vcc_lo
	v_ashrrev_i32_e32 v2, 31, v1
	s_lshl_b32 s6, s14, 4
	s_delay_alu instid0(SALU_CYCLE_1) | instskip(NEXT) | instid1(VALU_DEP_2)
	s_ashr_i32 s7, s6, 31
	v_ashrrev_i32_e32 v4, 31, v3
	s_delay_alu instid0(VALU_DEP_2) | instskip(SKIP_1) | instid1(SALU_CYCLE_1)
	v_lshlrev_b64 v[1:2], 2, v[1:2]
	s_lshl_b64 s[6:7], s[6:7], 2
	s_add_u32 s6, s17, s6
	s_delay_alu instid0(VALU_DEP_2) | instskip(SKIP_1) | instid1(VALU_DEP_2)
	v_lshlrev_b64 v[3:4], 2, v[3:4]
	s_addc_u32 s7, s13, s7
	v_add_co_u32 v1, vcc_lo, s17, v1
	v_add_co_ci_u32_e32 v2, vcc_lo, s13, v2, vcc_lo
	s_delay_alu instid0(VALU_DEP_3) | instskip(NEXT) | instid1(VALU_DEP_4)
	v_add_co_u32 v3, vcc_lo, s17, v3
	v_add_co_ci_u32_e32 v4, vcc_lo, s13, v4, vcc_lo
	s_clause 0x1
	global_load_b32 v5, v[1:2], off
	global_load_b32 v7, v[3:4], off
	s_or_b32 s8, s16, 32
	v_lshlrev_b32_e32 v1, 4, v0
	s_ashr_i32 s9, s8, 4
	s_cmp_lt_i32 s8, s18
	v_cmp_ne_u32_e32 vcc_lo, 15, v68
	s_cselect_b32 s8, s9, s3
	v_and_b32_e32 v1, 0xf0, v1
	s_ashr_i32 s9, s8, 31
	s_delay_alu instid0(SALU_CYCLE_1)
	s_lshl_b64 s[8:9], s[8:9], 2
	v_cndmask_b32_e32 v103, 0, v68, vcc_lo
	s_add_u32 s8, s17, s8
	s_addc_u32 s9, s13, s9
	s_or_b32 s21, s16, 64
	v_add_co_u32 v1, s4, s4, v1
	s_ashr_i32 s22, s21, 4
	s_cmp_lt_i32 s21, s18
	v_add_co_ci_u32_e64 v2, null, s12, 0, s4
	s_cselect_b32 s22, s22, s3
	v_cmp_gt_i32_e32 vcc_lo, 32, v128
	s_ashr_i32 s23, s22, 31
	v_lshlrev_b32_e32 v115, 6, v103
	s_lshl_b64 s[22:23], s[22:23], 2
	v_cndmask_b32_e32 v136, v127, v128, vcc_lo
	s_add_u32 s22, s17, s22
	s_addc_u32 s23, s13, s23
	s_or_b32 s21, s16, 0x60
	s_delay_alu instid0(SALU_CYCLE_1) | instskip(SKIP_2) | instid1(SALU_CYCLE_1)
	s_ashr_i32 s24, s21, 4
	s_cmp_lt_i32 s21, s18
	s_cselect_b32 s24, s24, s3
	s_ashr_i32 s25, s24, 31
	s_delay_alu instid0(SALU_CYCLE_1) | instskip(NEXT) | instid1(SALU_CYCLE_1)
	s_lshl_b64 s[24:25], s[24:25], 2
	s_add_u32 s24, s17, s24
	s_addc_u32 s25, s13, s25
	s_or_b32 s21, s16, 0x80
	s_delay_alu instid0(SALU_CYCLE_1) | instskip(SKIP_2) | instid1(SALU_CYCLE_1)
	s_ashr_i32 s26, s21, 4
	s_cmp_lt_i32 s21, s18
	s_cselect_b32 s26, s26, s3
	s_ashr_i32 s27, s26, 31
	s_delay_alu instid0(SALU_CYCLE_1) | instskip(NEXT) | instid1(SALU_CYCLE_1)
	s_lshl_b64 s[26:27], s[26:27], 2
	;; [unrolled: 10-line block ×3, first 2 shown]
	s_add_u32 s28, s17, s28
	s_addc_u32 s29, s13, s29
	s_clause 0x5
	s_load_b32 s12, s[6:7], 0x0
	s_load_b32 s4, s[8:9], 0x0
	;; [unrolled: 1-line block ×6, first 2 shown]
	s_or_b32 s21, s16, 0xc0
	s_delay_alu instid0(SALU_CYCLE_1) | instskip(SKIP_2) | instid1(SALU_CYCLE_1)
	s_ashr_i32 s22, s21, 4
	s_cmp_lt_i32 s21, s18
	s_cselect_b32 s22, s22, s3
	s_ashr_i32 s23, s22, 31
	s_delay_alu instid0(SALU_CYCLE_1) | instskip(NEXT) | instid1(SALU_CYCLE_1)
	s_lshl_b64 s[22:23], s[22:23], 2
	s_add_u32 s22, s17, s22
	s_addc_u32 s23, s13, s23
	s_or_b32 s21, s16, 0xe0
	s_delay_alu instid0(SALU_CYCLE_1) | instskip(SKIP_2) | instid1(SALU_CYCLE_1)
	s_ashr_i32 s24, s21, 4
	s_cmp_lt_i32 s21, s18
	s_cselect_b32 s24, s24, s3
	s_ashr_i32 s25, s24, 31
	s_delay_alu instid0(SALU_CYCLE_1)
	s_lshl_b64 s[24:25], s[24:25], 2
	s_waitcnt vmcnt(1)
	v_mad_i64_i32 v[3:4], null, v5, s5, v[1:2]
	s_waitcnt vmcnt(0)
	v_mad_i64_i32 v[5:6], null, v7, s5, v[1:2]
	v_lshlrev_b32_e32 v1, 4, v68
	s_clause 0x7
	global_load_b128 v[71:74], v[3:4], off
	global_load_b128 v[75:78], v[3:4], off offset:256
	global_load_b128 v[79:82], v[5:6], off
	global_load_b128 v[83:86], v[5:6], off offset:256
	global_load_b128 v[87:90], v[3:4], off offset:512
	;; [unrolled: 1-line block ×5, first 2 shown]
	v_lshl_or_b32 v1, v69, 8, v1
	s_load_b32 s3, s[22:23], 0x0
	s_add_u32 s22, s17, s24
	s_addc_u32 s23, s13, s25
	s_add_u32 s10, s10, s15
	s_addc_u32 s11, s11, s20
	v_add_co_u32 v1, s10, s10, v1
	s_delay_alu instid0(VALU_DEP_1) | instskip(SKIP_2) | instid1(VALU_DEP_1)
	v_add_co_ci_u32_e64 v2, null, s11, 0, s10
	s_load_b32 s10, s[22:23], 0x0
	s_waitcnt lgkmcnt(0)
	v_mad_i64_i32 v[3:4], null, s12, s5, v[1:2]
	v_mad_i64_i32 v[9:10], null, s7, s5, v[1:2]
	;; [unrolled: 1-line block ×7, first 2 shown]
	s_clause 0x5
	global_load_b128 v[49:52], v[3:4], off
	global_load_b128 v[53:56], v[3:4], off offset:16
	global_load_b128 v[41:44], v[5:6], off
	global_load_b128 v[45:48], v[5:6], off offset:16
	;; [unrolled: 2-line block ×3, first 2 shown]
	s_mov_b32 s4, 0
	v_mad_i64_i32 v[61:62], null, s10, s5, v[1:2]
	s_clause 0x9
	global_load_b128 v[1:4], v[9:10], off
	global_load_b128 v[5:8], v[9:10], off offset:16
	global_load_b128 v[9:12], v[13:14], off
	global_load_b128 v[13:16], v[13:14], off offset:16
	;; [unrolled: 2-line block ×5, first 2 shown]
	s_mov_b32 s5, s4
	s_mov_b32 s6, s4
	;; [unrolled: 1-line block ×7, first 2 shown]
	v_and_b32_e32 v104, 0xe0, v0
	v_dual_mov_b32 v126, s11 :: v_dual_mov_b32 v125, s10
	v_dual_mov_b32 v124, s9 :: v_dual_mov_b32 v123, s8
	s_delay_alu instid0(VALU_DEP_3)
	v_add_nc_u32_e32 v111, s16, v104
	ds_load_b128 v[103:106], v115
	ds_load_b128 v[107:110], v115 offset:1024
	v_dual_mov_b32 v122, s7 :: v_dual_mov_b32 v121, s6
	v_mov_b32_e32 v120, s5
	v_or_b32_e32 v135, v111, v66
	ds_load_b128 v[111:114], v115 offset:2048
	ds_load_b128 v[115:118], v115 offset:3072
	v_mov_b32_e32 v119, s4
	s_waitcnt vmcnt(0) lgkmcnt(0)
	s_barrier
	v_or_b32_e32 v137, 2, v135
	v_or_b32_e32 v138, 4, v135
	v_or_b32_e32 v139, 6, v135
	v_cmp_gt_i32_e32 vcc_lo, s18, v135
	v_or_b32_e32 v140, 8, v135
	v_cmp_gt_i32_e64 s3, s18, v137
	v_or_b32_e32 v141, 10, v135
	v_cmp_gt_i32_e64 s4, s18, v138
	v_cmp_gt_i32_e64 s5, s18, v139
	v_or_b32_e32 v142, 12, v135
	v_or_b32_e32 v143, 14, v135
	v_cmp_gt_i32_e64 s6, s18, v140
	v_cmp_gt_i32_e64 s7, s18, v141
	v_or_b32_e32 v144, 16, v135
	v_or_b32_e32 v145, 18, v135
	v_cmp_gt_i32_e64 s8, s18, v142
	v_cmp_gt_i32_e64 s9, s18, v143
	buffer_gl0_inv
	v_cmp_gt_i32_e64 s10, s18, v144
	v_cmp_gt_i32_e64 s11, s18, v145
	v_wmma_f32_16x16x16_f16 v[127:134], v[71:78], v[103:110], v[119:126]
	v_wmma_f32_16x16x16_f16 v[119:126], v[79:86], v[103:110], v[119:126]
	v_or_b32_e32 v71, 20, v135
	v_or_b32_e32 v72, 22, v135
	s_delay_alu instid0(VALU_DEP_4)
	v_wmma_f32_16x16x16_f16 v[127:134], v[87:94], v[111:118], v[127:134]
	v_or_b32_e32 v73, 24, v135
	v_wmma_f32_16x16x16_f16 v[119:126], v[95:102], v[111:118], v[119:126]
	v_or_b32_e32 v74, 26, v135
	v_cmp_gt_i32_e64 s12, s18, v71
	v_dual_mul_f32 v83, s19, v128 :: v_dual_mul_f32 v84, s19, v127
	s_delay_alu instid0(VALU_DEP_4) | instskip(SKIP_1) | instid1(VALU_DEP_3)
	v_dual_mul_f32 v81, s19, v130 :: v_dual_mul_f32 v92, s19, v119
	v_mul_f32_e32 v82, s19, v129
	v_cndmask_b32_e64 v83, 0xff7fffff, v83, s3
	s_delay_alu instid0(VALU_DEP_4)
	v_cndmask_b32_e32 v84, 0xff7fffff, v84, vcc_lo
	v_dual_mul_f32 v79, s19, v132 :: v_dual_mul_f32 v90, s19, v121
	v_mul_f32_e32 v80, s19, v131
	v_cndmask_b32_e64 v82, 0xff7fffff, v82, s4
	v_cndmask_b32_e64 v81, 0xff7fffff, v81, s5
	v_max3_f32 v83, v84, 0xff7fffff, v83
	v_dual_mul_f32 v77, s19, v134 :: v_dual_mul_f32 v88, s19, v123
	v_mul_f32_e32 v78, s19, v133
	v_cndmask_b32_e64 v80, 0xff7fffff, v80, s6
	v_cndmask_b32_e64 v79, 0xff7fffff, v79, s7
	v_max3_f32 v81, v83, v82, v81
	v_mul_f32_e32 v91, s19, v120
	v_cndmask_b32_e64 v78, 0xff7fffff, v78, s8
	v_cndmask_b32_e64 v77, 0xff7fffff, v77, s9
	v_mul_f32_e32 v89, s19, v122
	v_max3_f32 v79, v81, v80, v79
	v_cndmask_b32_e64 v80, 0xff7fffff, v92, s10
	v_cndmask_b32_e64 v81, 0xff7fffff, v91, s11
	v_cmp_gt_i32_e64 s13, s18, v72
	v_or_b32_e32 v75, 28, v135
	v_max3_f32 v77, v79, v78, v77
	v_or_b32_e32 v76, 30, v135
	v_mul_f32_e32 v87, s19, v124
	v_cndmask_b32_e64 v71, 0xff7fffff, v90, s12
	v_cndmask_b32_e64 v72, 0xff7fffff, v89, s13
	v_max3_f32 v77, v77, v80, v81
	v_cmp_gt_i32_e64 s15, s18, v73
	v_cmp_gt_i32_e64 s16, s18, v74
	v_dual_mul_f32 v85, s19, v126 :: v_dual_mul_f32 v86, s19, v125
	s_delay_alu instid0(VALU_DEP_4) | instskip(NEXT) | instid1(VALU_DEP_4)
	v_max3_f32 v71, v77, v71, v72
	v_cndmask_b32_e64 v73, 0xff7fffff, v88, s15
	s_delay_alu instid0(VALU_DEP_4) | instskip(SKIP_2) | instid1(VALU_DEP_3)
	v_cndmask_b32_e64 v74, 0xff7fffff, v87, s16
	v_cmp_gt_i32_e64 s17, s18, v75
	v_cmp_gt_i32_e64 s18, s18, v76
	v_max3_f32 v71, v71, v73, v74
	s_delay_alu instid0(VALU_DEP_3) | instskip(NEXT) | instid1(VALU_DEP_3)
	v_cndmask_b32_e64 v72, 0xff7fffff, v86, s17
	v_cndmask_b32_e64 v75, 0xff7fffff, v85, s18
	v_lshlrev_b32_e32 v73, 2, v136
	s_delay_alu instid0(VALU_DEP_2) | instskip(SKIP_3) | instid1(VALU_DEP_1)
	v_max3_f32 v71, v71, v72, v75
	ds_bpermute_b32 v72, v73, v71
	s_waitcnt lgkmcnt(0)
	v_max_f32_e32 v72, v72, v72
	v_max_f32_e32 v71, v71, v72
	s_delay_alu instid0(VALU_DEP_1)
	v_fma_f32 v72, s19, v127, -v71
	v_fma_f32 v74, s19, v128, -v71
	;; [unrolled: 1-line block ×5, first 2 shown]
	v_mul_f32_e32 v72, 0x3fb8aa3b, v72
	v_mul_f32_e32 v74, 0x3fb8aa3b, v74
	v_fma_f32 v80, s19, v133, -v71
	s_delay_alu instid0(VALU_DEP_4) | instskip(NEXT) | instid1(VALU_DEP_4)
	v_dual_mul_f32 v76, 0x3fb8aa3b, v76 :: v_dual_mul_f32 v77, 0x3fb8aa3b, v77
	v_exp_f32_e32 v72, v72
	s_delay_alu instid0(VALU_DEP_3) | instskip(NEXT) | instid1(VALU_DEP_2)
	v_exp_f32_e32 v74, v74
	v_mul_f32_e32 v82, 0x3fb8aa3b, v80
	s_delay_alu instid0(VALU_DEP_2) | instskip(SKIP_1) | instid1(VALU_DEP_1)
	v_exp_f32_e32 v76, v76
	v_exp_f32_e32 v77, v77
	;; [unrolled: 1-line block ×3, first 2 shown]
	v_cndmask_b32_e32 v79, 0, v72, vcc_lo
	v_fma_f32 v72, s19, v132, -v71
	v_mul_f32_e32 v75, 0x3fb8aa3b, v75
	v_cndmask_b32_e64 v78, 0, v74, s3
	s_delay_alu instid0(TRANS32_DEP_3)
	v_cndmask_b32_e64 v80, 0, v76, s5
	v_add_f32_e32 v74, 0, v79
	v_mul_f32_e32 v72, 0x3fb8aa3b, v72
	v_exp_f32_e32 v75, v75
	v_cndmask_b32_e64 v83, 0, v77, s6
	v_cndmask_b32_e64 v85, 0, v84, s8
	v_add_f32_e32 v74, v74, v78
	v_exp_f32_e32 v72, v72
	v_cmp_gt_u32_e64 s3, 16, v70
	s_waitcnt_depctr 0xfff
	v_cndmask_b32_e64 v81, 0, v75, s4
	v_cndmask_b32_e64 v82, 0, v72, s7
	s_delay_alu instid0(VALU_DEP_2) | instskip(NEXT) | instid1(VALU_DEP_1)
	v_add_f32_e32 v74, v74, v81
	v_add_f32_e32 v74, v74, v80
	s_delay_alu instid0(VALU_DEP_1) | instskip(SKIP_4) | instid1(VALU_DEP_4)
	v_add_f32_e32 v72, v74, v83
	v_fma_f32 v75, s19, v134, -v71
	v_fma_f32 v76, s19, v119, -v71
	;; [unrolled: 1-line block ×4, first 2 shown]
	v_dual_add_f32 v72, v72, v82 :: v_dual_mul_f32 v75, 0x3fb8aa3b, v75
	s_delay_alu instid0(VALU_DEP_3) | instskip(SKIP_1) | instid1(VALU_DEP_3)
	v_dual_mul_f32 v76, 0x3fb8aa3b, v76 :: v_dual_mul_f32 v77, 0x3fb8aa3b, v77
	v_fma_f32 v86, s19, v122, -v71
	v_add_f32_e32 v72, v72, v85
	s_delay_alu instid0(VALU_DEP_4) | instskip(NEXT) | instid1(VALU_DEP_3)
	v_exp_f32_e32 v75, v75
	v_exp_f32_e32 v76, v76
	;; [unrolled: 1-line block ×3, first 2 shown]
	v_mul_f32_e32 v86, 0x3fb8aa3b, v86
	s_delay_alu instid0(VALU_DEP_1) | instskip(SKIP_3) | instid1(TRANS32_DEP_3)
	v_exp_f32_e32 v88, v86
	v_cndmask_b32_e64 v84, 0, v75, s9
	v_fma_f32 v75, s19, v123, -v71
	v_mul_f32_e32 v74, 0x3fb8aa3b, v74
	v_cndmask_b32_e64 v87, 0, v76, s10
	v_fma_f32 v76, s19, v124, -v71
	s_delay_alu instid0(VALU_DEP_4) | instskip(NEXT) | instid1(VALU_DEP_4)
	v_dual_add_f32 v72, v72, v84 :: v_dual_mul_f32 v75, 0x3fb8aa3b, v75
	v_exp_f32_e32 v74, v74
	v_cndmask_b32_e64 v86, 0, v77, s11
	v_fma_f32 v77, s19, v125, -v71
	s_delay_alu instid0(VALU_DEP_3) | instskip(SKIP_3) | instid1(VALU_DEP_3)
	v_add_f32_e32 v72, v72, v87
	v_mul_f32_e32 v76, 0x3fb8aa3b, v76
	v_exp_f32_e32 v75, v75
	v_cndmask_b32_e64 v88, 0, v88, s13
	v_add_f32_e32 v72, v72, v86
	s_delay_alu instid0(VALU_DEP_3) | instskip(NEXT) | instid1(TRANS32_DEP_3)
	v_exp_f32_e32 v76, v76
	v_cndmask_b32_e64 v89, 0, v74, s12
	v_mul_f32_e32 v74, 0x3fb8aa3b, v77
	v_fma_f32 v77, s19, v126, -v71
	s_delay_alu instid0(VALU_DEP_3) | instskip(NEXT) | instid1(VALU_DEP_3)
	v_add_f32_e32 v72, v72, v89
	v_exp_f32_e32 v74, v74
	s_delay_alu instid0(TRANS32_DEP_3) | instskip(NEXT) | instid1(VALU_DEP_3)
	v_cndmask_b32_e64 v91, 0, v75, s15
	v_mul_f32_e32 v75, 0x3fb8aa3b, v77
	s_delay_alu instid0(TRANS32_DEP_2) | instskip(SKIP_1) | instid1(VALU_DEP_3)
	v_cndmask_b32_e64 v90, 0, v76, s16
	v_add_f32_e32 v72, v72, v88
	v_exp_f32_e32 v75, v75
	s_delay_alu instid0(VALU_DEP_1) | instskip(NEXT) | instid1(TRANS32_DEP_2)
	v_add_f32_e32 v72, v72, v91
	v_cndmask_b32_e64 v93, 0, v74, s17
	s_delay_alu instid0(VALU_DEP_2) | instskip(SKIP_3) | instid1(VALU_DEP_1)
	v_add_f32_e32 v72, v72, v90
	s_waitcnt_depctr 0xfff
	v_cndmask_b32_e64 v92, 0, v75, s18
	v_add_f32_e32 v72, v72, v93
	v_add_f32_e32 v72, v72, v92
	ds_bpermute_b32 v73, v73, v72
	s_and_saveexec_b32 s4, s3
	s_cbranch_execz .LBB1148_12
; %bb.11:
	v_mul_u32_u24_e32 v70, 0x44, v69
	s_waitcnt lgkmcnt(0)
	v_add_f32_e32 v72, v72, v73
	s_delay_alu instid0(VALU_DEP_2) | instskip(NEXT) | instid1(VALU_DEP_1)
	v_lshl_add_u32 v70, v68, 2, v70
	v_add_nc_u32_e32 v70, 0x4000, v70
	ds_store_2addr_b32 v70, v71, v72 offset1:136
.LBB1148_12:
	s_or_b32 exec_lo, exec_lo, s4
	v_lshlrev_b32_e32 v70, 2, v68
	s_load_b32 s36, s[0:1], 0x94
	s_waitcnt lgkmcnt(0)
	s_barrier
	buffer_gl0_inv
	v_add_nc_u32_e32 v98, 0x4000, v70
	v_cmp_eq_u32_e32 vcc_lo, 1, v69
	v_cmp_eq_u32_e64 s4, 2, v69
	v_cmp_eq_u32_e64 s5, 3, v69
	;; [unrolled: 1-line block ×3, first 2 shown]
	ds_load_2addr_b32 v[70:71], v98 offset1:17
	ds_load_2addr_b32 v[72:73], v98 offset0:34 offset1:51
	ds_load_2addr_b32 v[74:75], v98 offset0:68 offset1:85
	;; [unrolled: 1-line block ×3, first 2 shown]
	v_cmp_eq_u32_e64 s7, 5, v69
	v_cmp_eq_u32_e64 s8, 7, v69
	s_waitcnt lgkmcnt(3)
	v_max3_f32 v76, v70, 0xff7fffff, v71
	s_waitcnt lgkmcnt(2)
	s_delay_alu instid0(VALU_DEP_1) | instskip(SKIP_1) | instid1(VALU_DEP_1)
	v_max3_f32 v76, v76, v72, v73
	s_waitcnt lgkmcnt(1)
	v_max3_f32 v76, v76, v74, v75
	s_waitcnt lgkmcnt(0)
	s_delay_alu instid0(VALU_DEP_1) | instskip(NEXT) | instid1(VALU_DEP_1)
	v_max3_f32 v76, v76, v94, v95
	v_sub_f32_e32 v77, v71, v76
	ds_load_2addr_b32 v[96:97], v98 offset0:136 offset1:153
	v_sub_f32_e32 v74, v74, v76
	v_sub_f32_e32 v70, v70, v76
	;; [unrolled: 1-line block ×3, first 2 shown]
	v_dual_sub_f32 v72, v72, v76 :: v_dual_mul_f32 v77, 0x3fb8aa3b, v77
	s_delay_alu instid0(VALU_DEP_4) | instskip(NEXT) | instid1(VALU_DEP_4)
	v_mul_f32_e32 v103, 0x3fb8aa3b, v74
	v_mul_f32_e32 v99, 0x3fb8aa3b, v70
	ds_load_2addr_b32 v[70:71], v98 offset0:170 offset1:187
	v_dual_mul_f32 v101, 0x3fb8aa3b, v72 :: v_dual_mul_f32 v94, 0x3fb8aa3b, v94
	v_exp_f32_e32 v102, v77
	v_exp_f32_e32 v99, v99
	s_delay_alu instid0(VALU_DEP_1) | instskip(NEXT) | instid1(VALU_DEP_1)
	v_exp_f32_e32 v101, v101
	v_exp_f32_e32 v94, v94
	s_waitcnt lgkmcnt(1)
	s_delay_alu instid0(TRANS32_DEP_3)
	v_fma_f32 v77, v99, v96, 0
	v_sub_f32_e32 v100, v73, v76
	ds_load_2addr_b32 v[72:73], v98 offset0:204 offset1:221
	v_fmac_f32_e32 v77, v102, v97
	v_exp_f32_e32 v97, v103
	s_waitcnt lgkmcnt(1)
	s_delay_alu instid0(VALU_DEP_1)
	v_dual_fmac_f32 v77, v101, v70 :: v_dual_sub_f32 v96, v75, v76
	ds_load_2addr_b32 v[74:75], v98 offset0:238 offset1:255
	v_sub_f32_e32 v70, v95, v76
	s_waitcnt lgkmcnt(0)
	s_barrier
	v_mul_f32_e32 v96, 0x3fb8aa3b, v96
	buffer_gl0_inv
	v_exp_f32_e32 v95, v96
	v_mul_f32_e32 v100, 0x3fb8aa3b, v100
	s_delay_alu instid0(VALU_DEP_1) | instskip(SKIP_3) | instid1(VALU_DEP_2)
	v_exp_f32_e32 v100, v100
	s_waitcnt_depctr 0xfff
	v_dual_fmac_f32 v77, v100, v71 :: v_dual_mul_f32 v70, 0x3fb8aa3b, v70
	v_cndmask_b32_e32 v71, v99, v102, vcc_lo
	v_fmac_f32_e32 v77, v97, v72
	s_delay_alu instid0(VALU_DEP_3) | instskip(NEXT) | instid1(VALU_DEP_1)
	v_exp_f32_e32 v96, v70
	v_fmac_f32_e32 v77, v95, v73
	s_delay_alu instid0(VALU_DEP_1) | instskip(SKIP_2) | instid1(VALU_DEP_1)
	v_fmac_f32_e32 v77, v94, v74
	s_waitcnt_depctr 0xfff
	v_fmac_f32_e32 v77, v96, v75
	v_add_f32_e32 v74, 0x358637bd, v77
	s_delay_alu instid0(VALU_DEP_1) | instskip(SKIP_1) | instid1(VALU_DEP_2)
	v_div_scale_f32 v98, null, v74, v74, 1.0
	v_div_scale_f32 v99, vcc_lo, 1.0, v74, 1.0
	v_rcp_f32_e32 v103, v98
	s_waitcnt_depctr 0xfff
	v_fma_f32 v70, -v98, v103, 1.0
	s_delay_alu instid0(VALU_DEP_1) | instskip(SKIP_2) | instid1(VALU_DEP_2)
	v_fmac_f32_e32 v103, v70, v103
	v_cndmask_b32_e64 v70, v71, v101, s4
	v_cmp_eq_u32_e64 s4, 6, v69
	v_cndmask_b32_e64 v71, v70, v100, s5
	s_delay_alu instid0(VALU_DEP_4) | instskip(NEXT) | instid1(VALU_DEP_2)
	v_dual_mul_f32 v101, v99, v103 :: v_dual_lshlrev_b32 v70, 2, v66
	v_cndmask_b32_e64 v71, v71, v97, s6
	s_delay_alu instid0(VALU_DEP_2) | instskip(NEXT) | instid1(VALU_DEP_3)
	v_or_b32_e32 v72, 1, v70
	v_fma_f32 v100, -v98, v101, v99
	v_cmp_eq_u32_e64 s5, 1, v70
	v_cmp_eq_u32_e64 s6, 2, v70
	v_cndmask_b32_e64 v95, v71, v95, s7
	v_or_b32_e32 v71, 3, v70
	v_fmac_f32_e32 v101, v100, v103
	v_cmp_eq_u32_e64 s10, 1, v72
	v_cmp_eq_u32_e64 s13, 2, v72
	v_cndmask_b32_e64 v94, v95, v94, s4
	v_cmp_eq_u32_e64 s12, 1, v71
	v_fma_f32 v97, -v98, v101, v99
	v_cmp_eq_u32_e64 s17, 2, v71
	v_cmp_eq_u32_e64 s15, 3, v72
	v_cndmask_b32_e64 v94, v94, v96, s8
	v_cmp_eq_u32_e64 s19, 3, v71
	v_div_fmas_f32 v95, v97, v103, v101
	v_cmp_eq_u32_e32 vcc_lo, 3, v70
	v_cmp_eq_u32_e64 s4, 4, v70
	v_cmp_eq_u32_e64 s20, 4, v72
	;; [unrolled: 1-line block ×3, first 2 shown]
	v_div_fixup_f32 v95, v95, v74, 1.0
	v_lshlrev_b32_e32 v73, 6, v68
	v_cmp_eq_u32_e64 s7, 5, v70
	v_cmp_eq_u32_e64 s21, 5, v72
	;; [unrolled: 1-line block ×3, first 2 shown]
	v_mul_f32_e32 v102, v94, v95
	v_lshl_or_b32 v75, v69, 11, v73
	v_or_b32_e32 v69, 2, v70
	v_cmp_eq_u32_e64 s26, 6, v72
	v_cmp_eq_u32_e64 s28, 6, v71
	v_fma_mixlo_f16 v94, v102, v79, 0
	v_fma_mixlo_f16 v95, v102, v81, 0
	v_fma_mixlo_f16 v96, v102, v83, 0
	v_fma_mixlo_f16 v97, v102, v85, 0
	v_fma_mixlo_f16 v98, v102, v87, 0
	v_fma_mixlo_f16 v99, v102, v89, 0
	v_fma_mixlo_f16 v100, v102, v91, 0
	v_fma_mixlo_f16 v101, v102, v93, 0
	v_lshl_or_b32 v74, v66, 4, v75
	v_fma_mixhi_f16 v94, v102, v78, 0
	v_fma_mixhi_f16 v95, v102, v80, 0
	;; [unrolled: 1-line block ×8, first 2 shown]
	ds_store_b128 v74, v[94:97]
	ds_store_b128 v74, v[98:101] offset:1024
	s_waitcnt lgkmcnt(0)
	s_barrier
	buffer_gl0_inv
	ds_load_b128 v[78:81], v75
	ds_load_b128 v[82:85], v75 offset:16
	ds_load_b128 v[86:89], v75 offset:1024
	;; [unrolled: 1-line block ×3, first 2 shown]
	v_cmp_eq_u32_e64 s11, 1, v69
	v_cmp_eq_u32_e64 s16, 2, v69
	;; [unrolled: 1-line block ×11, first 2 shown]
	s_waitcnt lgkmcnt(3)
	v_lshrrev_b32_e32 v94, 16, v78
	s_waitcnt lgkmcnt(2)
	v_lshrrev_b32_e32 v98, 16, v82
	;; [unrolled: 2-line block ×4, first 2 shown]
	v_lshrrev_b32_e32 v95, 16, v79
	v_cndmask_b32_e64 v110, v78, v94, s5
	v_cndmask_b32_e64 v111, v82, v98, s5
	;; [unrolled: 1-line block ×8, first 2 shown]
	v_lshrrev_b32_e32 v99, 16, v83
	v_cndmask_b32_e64 v94, v86, v102, s5
	v_cndmask_b32_e64 v98, v90, v106, s5
	;; [unrolled: 1-line block ×15, first 2 shown]
	v_lshrrev_b32_e32 v103, 16, v87
	v_lshrrev_b32_e32 v107, 16, v91
	v_cndmask_b32_e64 v113, v115, v83, s16
	v_cndmask_b32_e64 v82, v94, v87, s6
	;; [unrolled: 1-line block ×7, first 2 shown]
	v_cndmask_b32_e32 v90, v102, v95, vcc_lo
	v_cndmask_b32_e32 v102, v106, v99, vcc_lo
	v_cndmask_b32_e64 v106, v110, v95, s15
	v_cndmask_b32_e64 v110, v111, v99, s15
	;; [unrolled: 1-line block ×4, first 2 shown]
	v_lshrrev_b32_e32 v96, 16, v80
	v_lshrrev_b32_e32 v100, 16, v84
	v_cndmask_b32_e64 v111, v112, v95, s18
	v_cndmask_b32_e64 v112, v113, v99, s18
	v_cndmask_b32_e32 v82, v82, v103, vcc_lo
	v_cndmask_b32_e32 v83, v83, v107, vcc_lo
	v_cndmask_b32_e64 v94, v94, v103, s15
	v_cndmask_b32_e64 v90, v90, v80, s4
	v_cndmask_b32_e64 v95, v102, v84, s4
	v_cndmask_b32_e64 v99, v106, v80, s20
	v_cndmask_b32_e64 v102, v110, v84, s20
	v_cndmask_b32_e64 v78, v78, v80, s23
	v_cndmask_b32_e64 v79, v79, v84, s23
	v_lshrrev_b32_e32 v104, 16, v88
	v_cndmask_b32_e64 v106, v111, v80, s22
	v_cndmask_b32_e64 v110, v112, v84, s22
	;; [unrolled: 1-line block ×11, first 2 shown]
	v_lshrrev_b32_e32 v97, 16, v81
	v_lshrrev_b32_e32 v101, 16, v85
	v_cndmask_b32_e64 v99, v106, v96, s24
	v_cndmask_b32_e64 v102, v110, v100, s24
	;; [unrolled: 1-line block ×7, first 2 shown]
	v_lshrrev_b32_e32 v105, 16, v89
	v_cndmask_b32_e64 v80, v80, v104, s7
	v_cndmask_b32_e64 v84, v84, v81, s8
	;; [unrolled: 1-line block ×16, first 2 shown]
	v_perm_b32 v81, v79, v78, 0x5040100
	v_perm_b32 v79, v95, v85, 0x5040100
	v_cndmask_b32_e64 v78, v119, v91, s16
	v_cndmask_b32_e64 v85, v117, v91, s13
	;; [unrolled: 1-line block ×3, first 2 shown]
	v_perm_b32 v80, v94, v90, 0x5040100
	v_cndmask_b32_e64 v90, v98, v103, s18
	v_cndmask_b32_e64 v86, v86, v103, s19
	;; [unrolled: 1-line block ×5, first 2 shown]
	v_lshrrev_b32_e32 v108, 16, v92
	v_cndmask_b32_e64 v90, v90, v88, s22
	v_cndmask_b32_e64 v86, v86, v88, s23
	;; [unrolled: 1-line block ×11, first 2 shown]
	v_lshrrev_b32_e32 v109, 16, v93
	v_cndmask_b32_e64 v82, v82, v93, s8
	v_cndmask_b32_e64 v88, v88, v89, s27
	;; [unrolled: 1-line block ×12, first 2 shown]
	v_perm_b32 v78, v84, v83, 0x5040100
	v_perm_b32 v85, v87, v86, 0x5040100
	;; [unrolled: 1-line block ×5, first 2 shown]
	s_mul_i32 s9, s35, 15
	s_mov_b32 s4, exec_lo
	ds_store_b128 v74, v[78:81]
	ds_store_b128 v74, v[82:85] offset:1024
	v_cmpx_gt_u32_e32 15, v0
	s_cbranch_execz .LBB1148_14
; %bb.13:
	s_mul_i32 s5, s9, s34
	s_load_b128 s[16:19], s[0:1], 0x58
	v_add3_u32 v68, s5, s33, v68
	s_delay_alu instid0(VALU_DEP_1) | instskip(NEXT) | instid1(VALU_DEP_1)
	v_mad_u64_u32 v[78:79], null, v68, s36, s[14:15]
	v_ashrrev_i32_e32 v79, 31, v78
	s_delay_alu instid0(VALU_DEP_1) | instskip(SKIP_1) | instid1(VALU_DEP_1)
	v_lshlrev_b64 v[78:79], 2, v[78:79]
	s_waitcnt lgkmcnt(0)
	v_add_co_u32 v80, vcc_lo, s18, v78
	s_delay_alu instid0(VALU_DEP_2)
	v_add_co_ci_u32_e32 v81, vcc_lo, s19, v79, vcc_lo
	v_add_co_u32 v78, vcc_lo, s16, v78
	v_add_co_ci_u32_e32 v79, vcc_lo, s17, v79, vcc_lo
	global_store_b32 v[80:81], v76, off
	global_store_b32 v[78:79], v77, off
.LBB1148_14:
	s_or_b32 exec_lo, exec_lo, s4
	s_waitcnt lgkmcnt(0)
	s_waitcnt_vscnt null, 0x0
	s_barrier
	buffer_gl0_inv
	ds_load_b128 v[84:87], v73
	ds_load_b128 v[88:91], v73 offset:16
	ds_load_b128 v[96:99], v73 offset:2064
	;; [unrolled: 1-line block ×5, first 2 shown]
	v_cmp_eq_u32_e32 vcc_lo, 1, v70
	v_mov_b32_e32 v76, 0
	ds_load_b128 v[112:115], v73 offset:6160
	ds_load_b128 v[108:111], v73 offset:6144
	;; [unrolled: 1-line block ×4, first 2 shown]
	v_cmp_eq_u32_e64 s5, 1, v69
	v_cmp_eq_u32_e64 s4, 1, v72
	;; [unrolled: 1-line block ×3, first 2 shown]
	v_mov_b32_e32 v77, v76
	v_mov_b32_e32 v78, v76
	;; [unrolled: 1-line block ×7, first 2 shown]
	v_cmp_eq_u32_e64 s7, 3, v72
	v_cmp_eq_u32_e64 s8, 7, v72
	s_waitcnt lgkmcnt(8)
	s_delay_alu instid0(VALU_DEP_3)
	v_wmma_f32_16x16x16_f16 v[76:83], v[49:56], v[84:91], v[76:83]
	ds_load_b128 v[53:56], v73 offset:10256
	ds_load_b128 v[49:52], v73 offset:10240
	s_waitcnt lgkmcnt(8)
	v_wmma_f32_16x16x16_f16 v[76:83], v[41:48], v[92:99], v[76:83]
	ds_load_b128 v[45:48], v73 offset:12304
	ds_load_b128 v[41:44], v73 offset:12288
	s_waitcnt lgkmcnt(8)
	;; [unrolled: 4-line block ×3, first 2 shown]
	s_barrier
	buffer_gl0_inv
	v_wmma_f32_16x16x16_f16 v[76:83], v[1:8], v[108:115], v[76:83]
	s_delay_alu instid0(VALU_DEP_1) | instskip(NEXT) | instid1(VALU_DEP_1)
	v_wmma_f32_16x16x16_f16 v[76:83], v[9:16], v[116:123], v[76:83]
	v_wmma_f32_16x16x16_f16 v[76:83], v[17:24], v[49:56], v[76:83]
	s_delay_alu instid0(VALU_DEP_1) | instskip(NEXT) | instid1(VALU_DEP_1)
	v_wmma_f32_16x16x16_f16 v[76:83], v[25:32], v[41:48], v[76:83]
	v_wmma_f32_16x16x16_f16 v[76:83], v[57:64], v[33:40], v[76:83]
	s_delay_alu instid0(VALU_DEP_1) | instskip(NEXT) | instid1(VALU_DEP_2)
	v_cvt_f16_f32_e32 v1, v76
	v_cvt_f16_f32_e32 v2, v77
	s_delay_alu instid0(VALU_DEP_3) | instskip(NEXT) | instid1(VALU_DEP_4)
	v_cvt_f16_f32_e32 v3, v78
	v_cvt_f16_f32_e32 v4, v79
	;; [unrolled: 1-line block ×6, first 2 shown]
	v_pack_b32_f16 v1, v1, v2
	v_pack_b32_f16 v2, v3, v4
	;; [unrolled: 1-line block ×3, first 2 shown]
	s_delay_alu instid0(VALU_DEP_4)
	v_pack_b32_f16 v4, v7, v8
	ds_store_b128 v74, v[1:4]
	s_waitcnt lgkmcnt(0)
	s_barrier
	buffer_gl0_inv
	ds_load_b128 v[1:4], v75
	ds_load_b128 v[5:8], v75 offset:16
	s_waitcnt lgkmcnt(1)
	v_lshrrev_b32_e32 v9, 16, v1
	s_waitcnt lgkmcnt(0)
	v_lshrrev_b32_e32 v13, 16, v5
	v_lshrrev_b32_e32 v10, 16, v2
	;; [unrolled: 1-line block ×4, first 2 shown]
	v_cndmask_b32_e32 v17, v1, v9, vcc_lo
	v_cndmask_b32_e32 v18, v5, v13, vcc_lo
	v_cndmask_b32_e64 v21, v1, v9, s5
	v_cmp_eq_u32_e32 vcc_lo, 1, v71
	v_cndmask_b32_e64 v22, v5, v13, s5
	v_cmp_eq_u32_e64 s5, 2, v70
	v_cndmask_b32_e64 v19, v1, v9, s4
	v_cndmask_b32_e64 v20, v5, v13, s4
	v_cndmask_b32_e32 v1, v1, v9, vcc_lo
	v_cmp_eq_u32_e64 s4, 2, v71
	v_cndmask_b32_e32 v5, v5, v13, vcc_lo
	v_cndmask_b32_e64 v9, v17, v2, s5
	v_cmp_eq_u32_e32 vcc_lo, 3, v70
	v_cndmask_b32_e64 v13, v18, v6, s5
	v_cmp_eq_u32_e64 s5, 2, v69
	v_cndmask_b32_e64 v17, v19, v2, s6
	v_cndmask_b32_e64 v18, v20, v6, s6
	v_cmp_eq_u32_e64 s6, 3, v69
	v_cndmask_b32_e64 v1, v1, v2, s4
	v_cndmask_b32_e64 v19, v21, v2, s5
	;; [unrolled: 1-line block ×4, first 2 shown]
	v_cndmask_b32_e32 v5, v9, v10, vcc_lo
	v_cndmask_b32_e32 v6, v13, v14, vcc_lo
	v_cmp_eq_u32_e32 vcc_lo, 3, v71
	v_cndmask_b32_e64 v9, v17, v10, s7
	v_cndmask_b32_e64 v13, v18, v14, s7
	;; [unrolled: 1-line block ×3, first 2 shown]
	v_cmp_eq_u32_e64 s5, 4, v70
	v_cndmask_b32_e32 v1, v1, v10, vcc_lo
	v_cndmask_b32_e32 v2, v2, v14, vcc_lo
	v_cmp_eq_u32_e32 vcc_lo, 4, v72
	v_lshrrev_b32_e32 v15, 16, v7
	v_lshrrev_b32_e32 v16, 16, v8
	v_cndmask_b32_e64 v17, v19, v10, s6
	v_cmp_eq_u32_e64 s4, 4, v71
	v_cndmask_b32_e64 v5, v5, v3, s5
	v_cndmask_b32_e64 v6, v6, v7, s5
	v_cndmask_b32_e32 v9, v9, v3, vcc_lo
	v_cmp_eq_u32_e64 s5, 5, v72
	v_cndmask_b32_e32 v10, v13, v7, vcc_lo
	v_cmp_eq_u32_e32 vcc_lo, 4, v69
	v_cmp_eq_u32_e64 s6, 5, v70
	v_cndmask_b32_e64 v2, v2, v7, s4
	v_cndmask_b32_e64 v9, v9, v11, s5
	v_cndmask_b32_e64 v10, v10, v15, s5
	v_cndmask_b32_e32 v13, v17, v3, vcc_lo
	v_cmp_eq_u32_e64 s5, 5, v69
	v_cndmask_b32_e32 v14, v18, v7, vcc_lo
	v_cndmask_b32_e64 v1, v1, v3, s4
	v_cmp_eq_u32_e32 vcc_lo, 5, v71
	v_lshrrev_b32_e32 v12, 16, v4
	v_cndmask_b32_e64 v13, v13, v11, s5
	v_cndmask_b32_e64 v3, v14, v15, s5
	v_cmp_eq_u32_e64 s5, 6, v71
	v_cndmask_b32_e32 v1, v1, v11, vcc_lo
	v_cndmask_b32_e64 v5, v5, v11, s6
	v_cmp_eq_u32_e64 s7, 6, v70
	v_cndmask_b32_e64 v6, v6, v15, s6
	v_cmp_eq_u32_e64 s6, 6, v72
	v_cmp_eq_u32_e64 s4, 6, v69
	v_cndmask_b32_e64 v1, v1, v4, s5
	v_cndmask_b32_e32 v2, v2, v15, vcc_lo
	v_cmp_eq_u32_e32 vcc_lo, 7, v71
	v_cndmask_b32_e64 v5, v5, v4, s7
	v_cndmask_b32_e64 v9, v9, v4, s6
	;; [unrolled: 1-line block ×3, first 2 shown]
	v_cmp_eq_u32_e64 s7, 7, v70
	v_cndmask_b32_e32 v1, v1, v12, vcc_lo
	v_cndmask_b32_e64 v7, v13, v4, s4
	v_cndmask_b32_e64 v3, v3, v8, s4
	;; [unrolled: 1-line block ×3, first 2 shown]
	v_cmp_eq_u32_e64 s4, 7, v69
	v_cndmask_b32_e64 v4, v10, v8, s6
	v_cndmask_b32_e64 v5, v5, v12, s7
	;; [unrolled: 1-line block ×3, first 2 shown]
	v_cndmask_b32_e32 v2, v2, v16, vcc_lo
	v_cndmask_b32_e64 v7, v7, v12, s4
	v_cndmask_b32_e64 v3, v3, v16, s4
	;; [unrolled: 1-line block ×4, first 2 shown]
	v_cmp_gt_u32_e32 vcc_lo, 32, v0
	v_perm_b32 v4, v2, v1, 0x5040100
	v_perm_b32 v3, v3, v7, 0x5040100
	;; [unrolled: 1-line block ×4, first 2 shown]
	s_and_b32 s2, vcc_lo, s2
	ds_store_b128 v74, v[1:4]
	s_waitcnt lgkmcnt(0)
	s_barrier
	buffer_gl0_inv
	s_and_saveexec_b32 s4, s2
	s_cbranch_execz .LBB1148_2
; %bb.15:
	s_load_b64 s[4:5], s[0:1], 0x68
	v_add_nc_u32_e32 v20, s33, v66
	v_lshlrev_b32_e32 v0, 10, v0
	v_lshlrev_b32_e32 v1, 4, v67
	s_lshl_b32 s0, s36, 6
	s_delay_alu instid0(SALU_CYCLE_1)
	s_mul_i32 s1, s0, s34
	v_add_nc_u32_e32 v2, 2, v20
	s_mul_i32 s6, s1, s9
	v_and_or_b32 v0, 0x3800, v0, v1
	v_mul_lo_u32 v1, v20, s0
	s_ashr_i32 s7, s6, 31
	v_mul_lo_u32 v11, v2, s0
	s_lshl_b64 s[6:7], s[6:7], 1
	v_add_nc_u32_e32 v3, 4, v20
	v_lshl_or_b32 v21, v66, 6, v0
	v_add_nc_u32_e32 v16, 6, v20
	v_ashrrev_i32_e32 v2, 31, v1
	s_delay_alu instid0(VALU_DEP_4)
	v_mul_lo_u32 v13, v3, s0
	s_waitcnt lgkmcnt(0)
	s_add_u32 s1, s4, s6
	s_addc_u32 s2, s5, s7
	s_lshl_b32 s4, s14, 6
	ds_load_b128 v[3:6], v21
	ds_load_b128 v[7:10], v21 offset:128
	s_ashr_i32 s5, s4, 31
	v_ashrrev_i32_e32 v12, 31, v11
	s_lshl_b64 s[4:5], s[4:5], 1
	v_lshlrev_b64 v[14:15], 1, v[1:2]
	s_add_u32 s1, s1, s4
	s_addc_u32 s2, s2, s5
	v_add_co_u32 v1, s1, s1, v65
	s_delay_alu instid0(VALU_DEP_1) | instskip(SKIP_1) | instid1(VALU_DEP_3)
	v_add_co_ci_u32_e64 v2, null, s2, 0, s1
	v_lshlrev_b64 v[11:12], 1, v[11:12]
	v_add_co_u32 v18, vcc_lo, v1, v14
	v_mul_lo_u32 v16, v16, s0
	s_delay_alu instid0(VALU_DEP_4) | instskip(NEXT) | instid1(VALU_DEP_4)
	v_add_co_ci_u32_e32 v19, vcc_lo, v2, v15, vcc_lo
	v_add_co_u32 v11, vcc_lo, v1, v11
	v_ashrrev_i32_e32 v14, 31, v13
	v_add_co_ci_u32_e32 v12, vcc_lo, v2, v12, vcc_lo
	v_add_nc_u32_e32 v15, 8, v20
	v_ashrrev_i32_e32 v17, 31, v16
	s_waitcnt lgkmcnt(1)
	global_store_b128 v[18:19], v[3:6], off
	v_lshlrev_b64 v[3:4], 1, v[13:14]
	s_waitcnt lgkmcnt(0)
	global_store_b128 v[11:12], v[7:10], off
	v_mul_lo_u32 v11, v15, s0
	v_add_nc_u32_e32 v7, 10, v20
	v_lshlrev_b64 v[5:6], 1, v[16:17]
	v_add_co_u32 v23, vcc_lo, v1, v3
	v_add_nc_u32_e32 v3, 12, v20
	s_delay_alu instid0(VALU_DEP_4)
	v_mul_lo_u32 v25, v7, s0
	v_ashrrev_i32_e32 v12, 31, v11
	v_add_co_ci_u32_e32 v24, vcc_lo, v2, v4, vcc_lo
	v_add_co_u32 v27, vcc_lo, v1, v5
	v_mul_lo_u32 v29, v3, s0
	v_add_co_ci_u32_e32 v28, vcc_lo, v2, v6, vcc_lo
	ds_load_b128 v[3:6], v21 offset:256
	ds_load_b128 v[7:10], v21 offset:384
	v_lshlrev_b64 v[31:32], 1, v[11:12]
	ds_load_b128 v[11:14], v21 offset:512
	ds_load_b128 v[15:18], v21 offset:640
	;; [unrolled: 1-line block ×3, first 2 shown]
	v_ashrrev_i32_e32 v26, 31, v25
	v_ashrrev_i32_e32 v30, 31, v29
	v_add_co_u32 v31, vcc_lo, v1, v31
	s_delay_alu instid0(VALU_DEP_3) | instskip(NEXT) | instid1(VALU_DEP_3)
	v_lshlrev_b64 v[25:26], 1, v[25:26]
	v_lshlrev_b64 v[29:30], 1, v[29:30]
	v_add_co_ci_u32_e32 v32, vcc_lo, v2, v32, vcc_lo
	s_delay_alu instid0(VALU_DEP_3) | instskip(NEXT) | instid1(VALU_DEP_4)
	v_add_co_u32 v25, vcc_lo, v1, v25
	v_add_co_ci_u32_e32 v26, vcc_lo, v2, v26, vcc_lo
	s_delay_alu instid0(VALU_DEP_4)
	v_add_co_u32 v29, vcc_lo, v1, v29
	v_add_co_ci_u32_e32 v30, vcc_lo, v2, v30, vcc_lo
	s_waitcnt lgkmcnt(4)
	global_store_b128 v[23:24], v[3:6], off
	s_waitcnt lgkmcnt(3)
	global_store_b128 v[27:28], v[7:10], off
	;; [unrolled: 2-line block ×5, first 2 shown]
	s_and_b32 exec_lo, exec_lo, s3
	s_cbranch_execz .LBB1148_2
; %bb.16:
	ds_load_b128 v[3:6], v0 offset:896
	s_add_i32 s1, s33, 14
	s_delay_alu instid0(SALU_CYCLE_1) | instskip(NEXT) | instid1(SALU_CYCLE_1)
	s_mul_i32 s0, s1, s0
	s_ashr_i32 s1, s0, 31
	s_delay_alu instid0(SALU_CYCLE_1) | instskip(NEXT) | instid1(SALU_CYCLE_1)
	s_lshl_b64 s[0:1], s[0:1], 1
	v_add_co_u32 v0, vcc_lo, v1, s0
	v_add_co_ci_u32_e32 v1, vcc_lo, s1, v2, vcc_lo
	s_waitcnt lgkmcnt(0)
	global_store_b128 v[0:1], v[3:6], off
	s_nop 0
	s_sendmsg sendmsg(MSG_DEALLOC_VGPRS)
	s_endpgm
	.section	.rodata,"a",@progbits
	.p2align	6, 0x0
	.amdhsa_kernel _Z39paged_attention_ll4mi_QKV_mfma16_kernelIDF16_hLN4vllm18Fp8KVCacheDataTypeE1EDF16_Li16ELi64ELi256ELb0ELi15EL8MFMAType0EEvPKT_PKT0_S8_ifPKiSA_SA_iPKfiiiPfSD_PS3_PT2_iSC_SC_
		.amdhsa_group_segment_fixed_size 17472
		.amdhsa_private_segment_fixed_size 0
		.amdhsa_kernarg_size 400
		.amdhsa_user_sgpr_count 13
		.amdhsa_user_sgpr_dispatch_ptr 0
		.amdhsa_user_sgpr_queue_ptr 0
		.amdhsa_user_sgpr_kernarg_segment_ptr 1
		.amdhsa_user_sgpr_dispatch_id 0
		.amdhsa_user_sgpr_private_segment_size 0
		.amdhsa_wavefront_size32 1
		.amdhsa_uses_dynamic_stack 0
		.amdhsa_enable_private_segment 0
		.amdhsa_system_sgpr_workgroup_id_x 1
		.amdhsa_system_sgpr_workgroup_id_y 1
		.amdhsa_system_sgpr_workgroup_id_z 1
		.amdhsa_system_sgpr_workgroup_info 0
		.amdhsa_system_vgpr_workitem_id 0
		.amdhsa_next_free_vgpr 146
		.amdhsa_next_free_sgpr 37
		.amdhsa_reserve_vcc 1
		.amdhsa_float_round_mode_32 0
		.amdhsa_float_round_mode_16_64 0
		.amdhsa_float_denorm_mode_32 3
		.amdhsa_float_denorm_mode_16_64 3
		.amdhsa_dx10_clamp 1
		.amdhsa_ieee_mode 1
		.amdhsa_fp16_overflow 0
		.amdhsa_workgroup_processor_mode 1
		.amdhsa_memory_ordered 1
		.amdhsa_forward_progress 0
		.amdhsa_shared_vgpr_count 0
		.amdhsa_exception_fp_ieee_invalid_op 0
		.amdhsa_exception_fp_denorm_src 0
		.amdhsa_exception_fp_ieee_div_zero 0
		.amdhsa_exception_fp_ieee_overflow 0
		.amdhsa_exception_fp_ieee_underflow 0
		.amdhsa_exception_fp_ieee_inexact 0
		.amdhsa_exception_int_div_zero 0
	.end_amdhsa_kernel
	.section	.text._Z39paged_attention_ll4mi_QKV_mfma16_kernelIDF16_hLN4vllm18Fp8KVCacheDataTypeE1EDF16_Li16ELi64ELi256ELb0ELi15EL8MFMAType0EEvPKT_PKT0_S8_ifPKiSA_SA_iPKfiiiPfSD_PS3_PT2_iSC_SC_,"axG",@progbits,_Z39paged_attention_ll4mi_QKV_mfma16_kernelIDF16_hLN4vllm18Fp8KVCacheDataTypeE1EDF16_Li16ELi64ELi256ELb0ELi15EL8MFMAType0EEvPKT_PKT0_S8_ifPKiSA_SA_iPKfiiiPfSD_PS3_PT2_iSC_SC_,comdat
.Lfunc_end1148:
	.size	_Z39paged_attention_ll4mi_QKV_mfma16_kernelIDF16_hLN4vllm18Fp8KVCacheDataTypeE1EDF16_Li16ELi64ELi256ELb0ELi15EL8MFMAType0EEvPKT_PKT0_S8_ifPKiSA_SA_iPKfiiiPfSD_PS3_PT2_iSC_SC_, .Lfunc_end1148-_Z39paged_attention_ll4mi_QKV_mfma16_kernelIDF16_hLN4vllm18Fp8KVCacheDataTypeE1EDF16_Li16ELi64ELi256ELb0ELi15EL8MFMAType0EEvPKT_PKT0_S8_ifPKiSA_SA_iPKfiiiPfSD_PS3_PT2_iSC_SC_
                                        ; -- End function
	.section	.AMDGPU.csdata,"",@progbits
; Kernel info:
; codeLenInByte = 6752
; NumSgprs: 39
; NumVgprs: 146
; ScratchSize: 0
; MemoryBound: 0
; FloatMode: 240
; IeeeMode: 1
; LDSByteSize: 17472 bytes/workgroup (compile time only)
; SGPRBlocks: 4
; VGPRBlocks: 18
; NumSGPRsForWavesPerEU: 39
; NumVGPRsForWavesPerEU: 146
; Occupancy: 9
; WaveLimiterHint : 1
; COMPUTE_PGM_RSRC2:SCRATCH_EN: 0
; COMPUTE_PGM_RSRC2:USER_SGPR: 13
; COMPUTE_PGM_RSRC2:TRAP_HANDLER: 0
; COMPUTE_PGM_RSRC2:TGID_X_EN: 1
; COMPUTE_PGM_RSRC2:TGID_Y_EN: 1
; COMPUTE_PGM_RSRC2:TGID_Z_EN: 1
; COMPUTE_PGM_RSRC2:TIDIG_COMP_CNT: 0
	.section	.text._Z39paged_attention_ll4mi_QKV_mfma16_kernelIDF16_hLN4vllm18Fp8KVCacheDataTypeE1EDF16_Li16ELi64ELi256ELb0ELi16EL8MFMAType0EEvPKT_PKT0_S8_ifPKiSA_SA_iPKfiiiPfSD_PS3_PT2_iSC_SC_,"axG",@progbits,_Z39paged_attention_ll4mi_QKV_mfma16_kernelIDF16_hLN4vllm18Fp8KVCacheDataTypeE1EDF16_Li16ELi64ELi256ELb0ELi16EL8MFMAType0EEvPKT_PKT0_S8_ifPKiSA_SA_iPKfiiiPfSD_PS3_PT2_iSC_SC_,comdat
	.protected	_Z39paged_attention_ll4mi_QKV_mfma16_kernelIDF16_hLN4vllm18Fp8KVCacheDataTypeE1EDF16_Li16ELi64ELi256ELb0ELi16EL8MFMAType0EEvPKT_PKT0_S8_ifPKiSA_SA_iPKfiiiPfSD_PS3_PT2_iSC_SC_ ; -- Begin function _Z39paged_attention_ll4mi_QKV_mfma16_kernelIDF16_hLN4vllm18Fp8KVCacheDataTypeE1EDF16_Li16ELi64ELi256ELb0ELi16EL8MFMAType0EEvPKT_PKT0_S8_ifPKiSA_SA_iPKfiiiPfSD_PS3_PT2_iSC_SC_
	.globl	_Z39paged_attention_ll4mi_QKV_mfma16_kernelIDF16_hLN4vllm18Fp8KVCacheDataTypeE1EDF16_Li16ELi64ELi256ELb0ELi16EL8MFMAType0EEvPKT_PKT0_S8_ifPKiSA_SA_iPKfiiiPfSD_PS3_PT2_iSC_SC_
	.p2align	8
	.type	_Z39paged_attention_ll4mi_QKV_mfma16_kernelIDF16_hLN4vllm18Fp8KVCacheDataTypeE1EDF16_Li16ELi64ELi256ELb0ELi16EL8MFMAType0EEvPKT_PKT0_S8_ifPKiSA_SA_iPKfiiiPfSD_PS3_PT2_iSC_SC_,@function
_Z39paged_attention_ll4mi_QKV_mfma16_kernelIDF16_hLN4vllm18Fp8KVCacheDataTypeE1EDF16_Li16ELi64ELi256ELb0ELi16EL8MFMAType0EEvPKT_PKT0_S8_ifPKiSA_SA_iPKfiiiPfSD_PS3_PT2_iSC_SC_: ; @_Z39paged_attention_ll4mi_QKV_mfma16_kernelIDF16_hLN4vllm18Fp8KVCacheDataTypeE1EDF16_Li16ELi64ELi256ELb0ELi16EL8MFMAType0EEvPKT_PKT0_S8_ifPKiSA_SA_iPKfiiiPfSD_PS3_PT2_iSC_SC_
; %bb.0:
	s_load_b64 s[2:3], s[0:1], 0x30
	s_mov_b32 s34, s13
	s_waitcnt lgkmcnt(0)
	s_cmp_lg_u64 s[2:3], 0
	s_cselect_b32 s8, -1, 0
	s_ashr_i32 s35, s13, 31
	s_cmp_eq_u64 s[2:3], 0
	s_cbranch_scc1 .LBB1149_3
; %bb.1:
	s_lshl_b64 s[4:5], s[34:35], 2
	s_delay_alu instid0(SALU_CYCLE_1) | instskip(SKIP_4) | instid1(SALU_CYCLE_1)
	s_add_u32 s4, s2, s4
	s_addc_u32 s5, s3, s5
	s_load_b64 s[4:5], s[4:5], 0x0
	s_waitcnt lgkmcnt(0)
	s_sub_i32 s4, s5, s4
	s_cmp_eq_u32 s4, 1
	s_cselect_b32 s4, -1, 0
	s_delay_alu instid0(SALU_CYCLE_1)
	s_and_not1_b32 vcc_lo, exec_lo, s4
	s_cbranch_vccz .LBB1149_4
.LBB1149_2:
	s_endpgm
.LBB1149_3:
.LBB1149_4:
	s_load_b64 s[4:5], s[0:1], 0x28
	s_lshl_b64 s[6:7], s[34:35], 2
	s_waitcnt lgkmcnt(0)
	s_add_u32 s4, s4, s6
	s_addc_u32 s5, s5, s7
	s_lshl_b32 s12, s14, 8
	s_load_b32 s24, s[4:5], 0x0
	s_waitcnt lgkmcnt(0)
	s_cmp_ge_i32 s12, s24
	s_cbranch_scc1 .LBB1149_2
; %bb.5:
	s_clause 0x1
	s_load_b128 s[20:23], s[0:1], 0x8
	s_load_b64 s[4:5], s[0:1], 0x20
	s_and_not1_b32 vcc_lo, exec_lo, s8
	s_cbranch_vccnz .LBB1149_7
; %bb.6:
	s_add_u32 s2, s2, s6
	s_addc_u32 s3, s3, s7
	s_load_b32 s3, s[2:3], 0x0
	s_branch .LBB1149_8
.LBB1149_7:
	s_mov_b32 s3, s34
.LBB1149_8:
	s_load_b128 s[16:19], s[0:1], 0x48
	v_and_b32_e32 v70, 15, v0
	v_cmp_gt_u32_e32 vcc_lo, 0x100, v0
	v_lshrrev_b32_e32 v69, 5, v0
	v_and_b32_e32 v71, 31, v0
	v_and_b32_e32 v67, 1, v0
	v_lshlrev_b32_e32 v1, 3, v70
	v_cmp_gt_u32_e64 s2, 8, v70
	v_bfe_u32 v66, v0, 4, 1
	s_lshl_b32 s31, s15, 4
	s_delay_alu instid0(VALU_DEP_3) | instskip(NEXT) | instid1(VALU_DEP_3)
	v_lshlrev_b32_e32 v65, 1, v1
	s_and_b32 s7, vcc_lo, s2
	s_delay_alu instid0(SALU_CYCLE_1)
	s_and_saveexec_b32 s6, s7
	s_cbranch_execz .LBB1149_10
; %bb.9:
	v_lshl_or_b32 v5, v69, 1, v66
	s_load_b64 s[8:9], s[0:1], 0x0
	s_waitcnt lgkmcnt(0)
	s_mul_hi_i32 s11, s3, s16
	s_mul_i32 s10, s3, s16
	v_lshlrev_b32_e32 v6, 10, v70
	v_or_b32_e32 v1, s31, v5
	s_lshl_b64 s[10:11], s[10:11], 1
	v_lshlrev_b32_e32 v5, 6, v5
	v_lshlrev_b32_e32 v7, 10, v67
	v_and_b32_e32 v6, 0x3800, v6
	v_lshlrev_b32_e32 v1, 6, v1
	s_delay_alu instid0(VALU_DEP_2) | instskip(NEXT) | instid1(VALU_DEP_2)
	v_or3_b32 v5, v6, v7, v5
	v_ashrrev_i32_e32 v2, 31, v1
	s_delay_alu instid0(VALU_DEP_1) | instskip(SKIP_2) | instid1(VALU_DEP_1)
	v_lshlrev_b64 v[1:2], 1, v[1:2]
	s_add_u32 s3, s8, s10
	s_addc_u32 s7, s9, s11
	v_add_co_u32 v1, vcc_lo, s3, v1
	s_delay_alu instid0(VALU_DEP_2) | instskip(NEXT) | instid1(VALU_DEP_2)
	v_add_co_ci_u32_e32 v2, vcc_lo, s7, v2, vcc_lo
	v_add_co_u32 v1, vcc_lo, v1, v65
	s_delay_alu instid0(VALU_DEP_2)
	v_add_co_ci_u32_e32 v2, vcc_lo, 0, v2, vcc_lo
	global_load_b128 v[1:4], v[1:2], off
	s_waitcnt vmcnt(0)
	ds_store_b128 v5, v[1:4]
.LBB1149_10:
	s_or_b32 exec_lo, exec_lo, s6
	v_and_b32_e32 v1, 0xef, v0
	s_waitcnt lgkmcnt(0)
	s_add_i32 s3, s24, 15
	s_clause 0x1
	s_load_b32 s6, s[0:1], 0x38
	s_load_b32 s33, s[0:1], 0x98
	s_ashr_i32 s7, s3, 31
	v_add_nc_u32_e32 v1, s12, v1
	s_lshr_b32 s7, s7, 28
	s_load_b32 s19, s[0:1], 0x1c
	s_add_i32 s3, s3, s7
	s_waitcnt lgkmcnt(0)
	v_ashrrev_i32_e32 v2, 31, v1
	v_or_b32_e32 v3, 16, v1
	s_ashr_i32 s3, s3, 4
	v_cmp_gt_i32_e32 vcc_lo, s24, v1
	s_add_i32 s3, s3, -1
	v_lshrrev_b32_e32 v2, 28, v2
	s_barrier
	buffer_gl0_inv
	s_mul_i32 s27, s15, s18
	v_add_nc_u32_e32 v4, v1, v2
	s_mul_i32 s6, s34, s6
	s_delay_alu instid0(SALU_CYCLE_1) | instskip(NEXT) | instid1(VALU_DEP_1)
	s_ashr_i32 s7, s6, 31
	v_ashrrev_i32_e32 v4, 4, v4
	v_add_nc_u32_e32 v2, v3, v2
	s_lshl_b64 s[6:7], s[6:7], 2
	s_delay_alu instid0(SALU_CYCLE_1) | instskip(NEXT) | instid1(VALU_DEP_2)
	s_add_u32 s26, s4, s6
	v_cndmask_b32_e32 v1, s3, v4, vcc_lo
	s_delay_alu instid0(VALU_DEP_2)
	v_ashrrev_i32_e32 v2, 4, v2
	v_cmp_gt_i32_e32 vcc_lo, s24, v3
	s_addc_u32 s25, s5, s7
	s_ashr_i32 s28, s27, 31
	s_add_u32 s13, s20, s27
	s_addc_u32 s15, s21, s28
	v_cndmask_b32_e32 v3, s3, v2, vcc_lo
	v_ashrrev_i32_e32 v2, 31, v1
	s_lshl_b32 s4, s14, 4
	s_delay_alu instid0(SALU_CYCLE_1) | instskip(NEXT) | instid1(VALU_DEP_2)
	s_ashr_i32 s5, s4, 31
	v_ashrrev_i32_e32 v4, 31, v3
	s_delay_alu instid0(VALU_DEP_2) | instskip(SKIP_1) | instid1(SALU_CYCLE_1)
	v_lshlrev_b64 v[1:2], 2, v[1:2]
	s_lshl_b64 s[4:5], s[4:5], 2
	s_add_u32 s4, s26, s4
	s_delay_alu instid0(VALU_DEP_2) | instskip(SKIP_1) | instid1(VALU_DEP_2)
	v_lshlrev_b64 v[3:4], 2, v[3:4]
	s_addc_u32 s5, s25, s5
	v_add_co_u32 v1, vcc_lo, s26, v1
	v_add_co_ci_u32_e32 v2, vcc_lo, s25, v2, vcc_lo
	s_delay_alu instid0(VALU_DEP_3) | instskip(NEXT) | instid1(VALU_DEP_4)
	v_add_co_u32 v3, vcc_lo, s26, v3
	v_add_co_ci_u32_e32 v4, vcc_lo, s25, v4, vcc_lo
	s_clause 0x1
	global_load_b32 v5, v[1:2], off
	global_load_b32 v7, v[3:4], off
	s_or_b32 s6, s12, 32
	v_lshlrev_b32_e32 v1, 4, v0
	s_ashr_i32 s7, s6, 4
	s_cmp_lt_i32 s6, s24
	s_cselect_b32 s6, s7, s3
	s_delay_alu instid0(VALU_DEP_1) | instskip(SKIP_1) | instid1(SALU_CYCLE_1)
	v_and_b32_e32 v1, 0xf0, v1
	s_ashr_i32 s7, s6, 31
	s_lshl_b64 s[6:7], s[6:7], 2
	s_delay_alu instid0(SALU_CYCLE_1)
	s_add_u32 s6, s26, s6
	s_addc_u32 s7, s25, s7
	s_or_b32 s8, s12, 64
	v_add_co_u32 v1, s13, s13, v1
	s_ashr_i32 s9, s8, 4
	s_cmp_lt_i32 s8, s24
	v_add_co_ci_u32_e64 v2, null, s15, 0, s13
	s_cselect_b32 s8, s9, s3
	s_delay_alu instid0(SALU_CYCLE_1) | instskip(NEXT) | instid1(SALU_CYCLE_1)
	s_ashr_i32 s9, s8, 31
	s_lshl_b64 s[8:9], s[8:9], 2
	s_delay_alu instid0(SALU_CYCLE_1) | instskip(SKIP_2) | instid1(SALU_CYCLE_1)
	s_add_u32 s8, s26, s8
	s_addc_u32 s9, s25, s9
	s_or_b32 s10, s12, 0x60
	s_ashr_i32 s11, s10, 4
	s_cmp_lt_i32 s10, s24
	s_cselect_b32 s10, s11, s3
	s_delay_alu instid0(SALU_CYCLE_1) | instskip(NEXT) | instid1(SALU_CYCLE_1)
	s_ashr_i32 s11, s10, 31
	s_lshl_b64 s[10:11], s[10:11], 2
	s_delay_alu instid0(SALU_CYCLE_1) | instskip(SKIP_2) | instid1(SALU_CYCLE_1)
	s_add_u32 s10, s26, s10
	s_addc_u32 s11, s25, s11
	s_or_b32 s16, s12, 0x80
	s_ashr_i32 s18, s16, 4
	s_cmp_lt_i32 s16, s24
	;; [unrolled: 10-line block ×3, first 2 shown]
	s_cselect_b32 s20, s18, s3
	s_delay_alu instid0(SALU_CYCLE_1) | instskip(NEXT) | instid1(SALU_CYCLE_1)
	s_ashr_i32 s21, s20, 31
	s_lshl_b64 s[20:21], s[20:21], 2
	s_delay_alu instid0(SALU_CYCLE_1)
	s_add_u32 s38, s26, s20
	s_addc_u32 s39, s25, s21
	s_clause 0x5
	s_load_b32 s21, s[4:5], 0x0
	s_load_b32 s13, s[6:7], 0x0
	;; [unrolled: 1-line block ×6, first 2 shown]
	s_or_b32 s6, s12, 0xc0
	s_mov_b32 s4, 0
	s_ashr_i32 s7, s6, 4
	s_cmp_lt_i32 s6, s24
	s_mov_b32 s5, s4
	s_cselect_b32 s10, s7, s3
	s_mov_b32 s6, s4
	s_ashr_i32 s11, s10, 31
	s_mov_b32 s7, s4
	s_lshl_b64 s[10:11], s[10:11], 2
	s_mov_b32 s8, s4
	s_add_u32 s36, s26, s10
	s_addc_u32 s37, s25, s11
	s_or_b32 s11, s12, 0xe0
	s_mov_b32 s9, s4
	s_ashr_i32 s29, s11, 4
	s_cmp_lt_i32 s11, s24
	s_mov_b32 s11, s4
	s_cselect_b32 s38, s29, s3
	s_mov_b32 s10, s4
	s_ashr_i32 s39, s38, 31
	v_dual_mov_b32 v103, s11 :: v_dual_mov_b32 v96, s4
	v_dual_mov_b32 v101, s9 :: v_dual_lshlrev_b32 v68, 6, v70
	v_mov_b32_e32 v102, s10
	v_dual_mov_b32 v100, s8 :: v_dual_mov_b32 v99, s7
	v_dual_mov_b32 v98, s6 :: v_dual_mov_b32 v97, s5
	s_lshl_b64 s[4:5], s[38:39], 2
	s_delay_alu instid0(SALU_CYCLE_1)
	s_add_u32 s4, s26, s4
	s_addc_u32 s5, s25, s5
	s_add_u32 s6, s22, s27
	s_addc_u32 s7, s23, s28
	s_waitcnt vmcnt(1)
	v_mad_i64_i32 v[3:4], null, v5, s17, v[1:2]
	s_waitcnt vmcnt(0)
	v_mad_i64_i32 v[5:6], null, v7, s17, v[1:2]
	v_lshlrev_b32_e32 v1, 4, v70
	s_clause 0x7
	global_load_b128 v[57:60], v[3:4], off
	global_load_b128 v[61:64], v[3:4], off offset:256
	global_load_b128 v[72:75], v[5:6], off
	global_load_b128 v[76:79], v[5:6], off offset:256
	global_load_b128 v[80:83], v[3:4], off offset:512
	;; [unrolled: 1-line block ×5, first 2 shown]
	v_lshl_or_b32 v1, v69, 8, v1
	s_load_b32 s3, s[36:37], 0x0
	ds_load_b128 v[104:107], v68
	ds_load_b128 v[108:111], v68 offset:1024
	s_load_b32 s4, s[4:5], 0x0
	v_add_co_u32 v17, s6, s6, v1
	s_delay_alu instid0(VALU_DEP_1) | instskip(SKIP_1) | instid1(VALU_DEP_1)
	v_add_co_ci_u32_e64 v18, null, s7, 0, s6
	s_waitcnt lgkmcnt(0)
	v_mad_i64_i32 v[1:2], null, s21, s17, v[17:18]
	v_mad_i64_i32 v[3:4], null, s13, s17, v[17:18]
	v_mad_i64_i32 v[5:6], null, s15, s17, v[17:18]
	v_mad_i64_i32 v[7:8], null, s16, s17, v[17:18]
	v_mad_i64_i32 v[21:22], null, s20, s17, v[17:18]
	v_mad_i64_i32 v[13:14], null, s18, s17, v[17:18]
	v_mad_i64_i32 v[29:30], null, s3, s17, v[17:18]
	s_clause 0x9
	global_load_b128 v[49:52], v[1:2], off
	global_load_b128 v[53:56], v[1:2], off offset:16
	global_load_b128 v[41:44], v[3:4], off
	global_load_b128 v[45:48], v[3:4], off offset:16
	global_load_b128 v[33:36], v[5:6], off
	global_load_b128 v[37:40], v[5:6], off offset:16
	global_load_b128 v[1:4], v[7:8], off
	global_load_b128 v[5:8], v[7:8], off offset:16
	global_load_b128 v[9:12], v[13:14], off
	global_load_b128 v[13:16], v[13:14], off offset:16
	v_mad_i64_i32 v[120:121], null, s4, s17, v[17:18]
	s_clause 0x3
	global_load_b128 v[17:20], v[21:22], off
	global_load_b128 v[21:24], v[21:22], off offset:16
	global_load_b128 v[25:28], v[29:30], off
	global_load_b128 v[29:32], v[29:30], off offset:16
	s_waitcnt vmcnt(20)
	v_wmma_f32_16x16x16_f16 v[112:119], v[57:64], v[104:111], v[96:103]
	s_clause 0x1
	global_load_b128 v[57:60], v[120:121], off
	global_load_b128 v[61:64], v[120:121], off offset:16
	s_waitcnt vmcnt(20)
	v_wmma_f32_16x16x16_f16 v[96:103], v[72:79], v[104:111], v[96:103]
	ds_load_b128 v[72:75], v68 offset:2048
	ds_load_b128 v[76:79], v68 offset:3072
	v_and_b32_e32 v104, 0xe0, v0
	v_mbcnt_lo_u32_b32 v105, -1, 0
	s_waitcnt vmcnt(0) lgkmcnt(0)
	s_barrier
	buffer_gl0_inv
	v_add_nc_u32_e32 v104, s12, v104
	v_xor_b32_e32 v106, 16, v105
	s_delay_alu instid0(VALU_DEP_2) | instskip(NEXT) | instid1(VALU_DEP_2)
	v_or_b32_e32 v104, v104, v66
	v_cmp_gt_i32_e32 vcc_lo, 32, v106
	s_delay_alu instid0(VALU_DEP_2)
	v_or_b32_e32 v107, 4, v104
	v_or_b32_e32 v108, 6, v104
	v_cmp_gt_i32_e64 s3, s24, v104
	v_or_b32_e32 v109, 8, v104
	v_wmma_f32_16x16x16_f16 v[112:119], v[80:87], v[72:79], v[112:119]
	v_cndmask_b32_e32 v105, v105, v106, vcc_lo
	v_or_b32_e32 v106, 2, v104
	v_wmma_f32_16x16x16_f16 v[96:103], v[88:95], v[72:79], v[96:103]
	v_or_b32_e32 v80, 10, v104
	v_dual_mul_f32 v90, s19, v112 :: v_dual_mul_f32 v89, s19, v113
	s_delay_alu instid0(VALU_DEP_4) | instskip(NEXT) | instid1(VALU_DEP_4)
	v_cmp_gt_i32_e32 vcc_lo, s24, v106
	v_dual_mul_f32 v94, s19, v100 :: v_dual_mul_f32 v77, s19, v117
	v_dual_mul_f32 v88, s19, v114 :: v_dual_mul_f32 v79, s19, v115
	v_mul_f32_e32 v92, s19, v102
	v_cndmask_b32_e64 v90, 0xff7fffff, v90, s3
	v_cndmask_b32_e32 v89, 0xff7fffff, v89, vcc_lo
	v_cmp_gt_i32_e64 s4, s24, v107
	v_cmp_gt_i32_e64 s5, s24, v108
	v_or_b32_e32 v81, 12, v104
	v_or_b32_e32 v82, 14, v104
	v_mul_f32_e32 v78, s19, v116
	v_cndmask_b32_e64 v88, 0xff7fffff, v88, s4
	v_cndmask_b32_e64 v79, 0xff7fffff, v79, s5
	v_max3_f32 v89, v90, 0xff7fffff, v89
	v_cmp_gt_i32_e64 s6, s24, v109
	v_cmp_gt_i32_e64 s7, s24, v80
	v_or_b32_e32 v83, 16, v104
	v_or_b32_e32 v84, 18, v104
	v_dual_mul_f32 v75, s19, v119 :: v_dual_mul_f32 v76, s19, v118
	v_cndmask_b32_e64 v78, 0xff7fffff, v78, s6
	v_cndmask_b32_e64 v77, 0xff7fffff, v77, s7
	v_max3_f32 v79, v89, v88, v79
	v_cmp_gt_i32_e64 s8, s24, v81
	v_cmp_gt_i32_e64 s9, s24, v82
	v_or_b32_e32 v85, 20, v104
	v_or_b32_e32 v86, 22, v104
	;; [unrolled: 1-line block ×6, first 2 shown]
	v_dual_mul_f32 v95, s19, v99 :: v_dual_mul_f32 v104, s19, v97
	v_mul_f32_e32 v107, s19, v96
	v_cndmask_b32_e64 v76, 0xff7fffff, v76, s8
	v_cndmask_b32_e64 v75, 0xff7fffff, v75, s9
	v_max3_f32 v77, v79, v78, v77
	v_cmp_gt_i32_e64 s10, s24, v83
	v_cmp_gt_i32_e64 s11, s24, v84
	v_dual_mul_f32 v91, s19, v103 :: v_dual_mul_f32 v106, s19, v98
	s_delay_alu instid0(VALU_DEP_4) | instskip(NEXT) | instid1(VALU_DEP_4)
	v_max3_f32 v75, v77, v76, v75
	v_cndmask_b32_e64 v78, 0xff7fffff, v107, s10
	s_delay_alu instid0(VALU_DEP_4)
	v_cndmask_b32_e64 v79, 0xff7fffff, v104, s11
	v_cmp_gt_i32_e64 s12, s24, v85
	v_cmp_gt_i32_e64 s13, s24, v86
	v_mul_f32_e32 v93, s19, v101
	v_cmp_gt_i32_e64 s15, s24, v87
	v_max3_f32 v75, v75, v78, v79
	v_cndmask_b32_e64 v76, 0xff7fffff, v106, s12
	v_cndmask_b32_e64 v77, 0xff7fffff, v95, s13
	v_cmp_gt_i32_e64 s16, s24, v72
	v_cndmask_b32_e64 v78, 0xff7fffff, v94, s15
	v_cmp_gt_i32_e64 s17, s24, v73
	v_cmp_gt_i32_e64 s18, s24, v74
	v_max3_f32 v75, v75, v76, v77
	v_cndmask_b32_e64 v72, 0xff7fffff, v93, s16
	s_delay_alu instid0(VALU_DEP_4) | instskip(NEXT) | instid1(VALU_DEP_4)
	v_cndmask_b32_e64 v73, 0xff7fffff, v92, s17
	v_cndmask_b32_e64 v74, 0xff7fffff, v91, s18
	s_delay_alu instid0(VALU_DEP_3) | instskip(SKIP_1) | instid1(VALU_DEP_2)
	v_max3_f32 v72, v75, v78, v72
	v_lshlrev_b32_e32 v75, 2, v105
	v_max3_f32 v72, v72, v73, v74
	ds_bpermute_b32 v73, v75, v72
	s_waitcnt lgkmcnt(0)
	v_max_f32_e32 v73, v73, v73
	s_delay_alu instid0(VALU_DEP_1) | instskip(NEXT) | instid1(VALU_DEP_1)
	v_max_f32_e32 v72, v72, v73
	v_fma_f32 v76, s19, v114, -v72
	v_fma_f32 v73, s19, v112, -v72
	;; [unrolled: 1-line block ×5, first 2 shown]
	v_mul_f32_e32 v76, 0x3fb8aa3b, v76
	v_fma_f32 v82, s19, v118, -v72
	s_delay_alu instid0(VALU_DEP_4) | instskip(SKIP_1) | instid1(VALU_DEP_4)
	v_dual_mul_f32 v79, 0x3fb8aa3b, v79 :: v_dual_mul_f32 v74, 0x3fb8aa3b, v74
	v_fma_f32 v86, s19, v99, -v72
	v_exp_f32_e32 v76, v76
	s_delay_alu instid0(VALU_DEP_3) | instskip(NEXT) | instid1(VALU_DEP_3)
	v_mul_f32_e32 v82, 0x3fb8aa3b, v82
	v_exp_f32_e32 v83, v79
	v_exp_f32_e32 v74, v74
	v_mul_f32_e32 v88, 0x3fb8aa3b, v86
	v_fma_f32 v91, s19, v103, -v72
	v_exp_f32_e32 v84, v82
	v_fma_f32 v89, s19, v101, -v72
	s_delay_alu instid0(VALU_DEP_3)
	v_exp_f32_e32 v90, v88
	v_cndmask_b32_e64 v80, 0, v76, s4
	v_mul_f32_e32 v73, 0x3fb8aa3b, v73
	v_fma_f32 v76, s19, v119, -v72
	v_mul_f32_e32 v77, 0x3fb8aa3b, v77
	v_cndmask_b32_e64 v82, 0, v83, s6
	v_fma_f32 v83, s19, v97, -v72
	v_exp_f32_e32 v73, v73
	v_mul_f32_e32 v76, 0x3fb8aa3b, v76
	v_exp_f32_e32 v81, v77
	v_cndmask_b32_e64 v84, 0, v84, s8
	v_mul_f32_e32 v83, 0x3fb8aa3b, v83
	v_mul_f32_e32 v89, 0x3fb8aa3b, v89
	v_exp_f32_e32 v76, v76
	s_delay_alu instid0(VALU_DEP_2) | instskip(SKIP_2) | instid1(TRANS32_DEP_3)
	v_exp_f32_e32 v87, v83
	v_cndmask_b32_e64 v78, 0, v73, s3
	v_fma_f32 v73, s19, v117, -v72
	v_cndmask_b32_e64 v79, 0, v81, s5
	v_cndmask_b32_e32 v77, 0, v74, vcc_lo
	v_fma_f32 v81, s19, v96, -v72
	s_delay_alu instid0(VALU_DEP_4) | instskip(NEXT) | instid1(TRANS32_DEP_2)
	v_dual_add_f32 v74, 0, v78 :: v_dual_mul_f32 v73, 0x3fb8aa3b, v73
	v_cndmask_b32_e64 v83, 0, v76, s9
	v_fma_f32 v76, s19, v100, -v72
	s_delay_alu instid0(VALU_DEP_4) | instskip(NEXT) | instid1(VALU_DEP_4)
	v_mul_f32_e32 v85, 0x3fb8aa3b, v81
	v_add_f32_e32 v74, v74, v77
	v_exp_f32_e32 v73, v73
	v_exp_f32_e32 v89, v89
	v_mul_f32_e32 v76, 0x3fb8aa3b, v76
	v_exp_f32_e32 v85, v85
	v_add_f32_e32 v74, v74, v80
	s_mov_b32 s3, exec_lo
	s_delay_alu instid0(VALU_DEP_2) | instskip(NEXT) | instid1(VALU_DEP_1)
	v_exp_f32_e32 v76, v76
	v_add_f32_e32 v74, v74, v79
	v_cndmask_b32_e64 v81, 0, v73, s7
	s_delay_alu instid0(TRANS32_DEP_3)
	v_cndmask_b32_e64 v89, 0, v89, s16
	s_waitcnt_depctr 0xfff
	v_cndmask_b32_e64 v86, 0, v85, s10
	v_cndmask_b32_e64 v85, 0, v87, s11
	v_fma_f32 v87, s19, v102, -v72
	v_add_f32_e32 v73, v74, v82
	v_fma_f32 v74, s19, v98, -v72
	s_delay_alu instid0(VALU_DEP_1) | instskip(NEXT) | instid1(VALU_DEP_1)
	v_mul_f32_e32 v74, 0x3fb8aa3b, v74
	v_exp_f32_e32 v74, v74
	s_waitcnt_depctr 0xfff
	v_cndmask_b32_e64 v88, 0, v74, s12
	v_dual_mul_f32 v74, 0x3fb8aa3b, v87 :: v_dual_add_f32 v73, v73, v81
	v_cndmask_b32_e64 v87, 0, v90, s13
	v_cndmask_b32_e64 v90, 0, v76, s15
	v_mul_f32_e32 v76, 0x3fb8aa3b, v91
	s_delay_alu instid0(VALU_DEP_4) | instskip(SKIP_1) | instid1(VALU_DEP_2)
	v_exp_f32_e32 v74, v74
	v_add_f32_e32 v73, v73, v84
	v_exp_f32_e32 v76, v76
	s_delay_alu instid0(VALU_DEP_1) | instskip(SKIP_4) | instid1(VALU_DEP_2)
	v_add_f32_e32 v73, v73, v83
	s_waitcnt_depctr 0xfff
	v_cndmask_b32_e64 v92, 0, v74, s17
	v_add_f32_e32 v73, v73, v86
	v_cndmask_b32_e64 v91, 0, v76, s18
	v_add_f32_e32 v73, v73, v85
	s_delay_alu instid0(VALU_DEP_1) | instskip(NEXT) | instid1(VALU_DEP_1)
	v_add_f32_e32 v73, v73, v88
	v_add_f32_e32 v73, v73, v87
	s_delay_alu instid0(VALU_DEP_1) | instskip(NEXT) | instid1(VALU_DEP_1)
	v_add_f32_e32 v73, v73, v90
	;; [unrolled: 3-line block ×3, first 2 shown]
	v_add_f32_e32 v73, v73, v91
	ds_bpermute_b32 v74, v75, v73
	v_cmpx_gt_u32_e32 16, v71
	s_cbranch_execz .LBB1149_12
; %bb.11:
	v_mul_u32_u24_e32 v71, 0x44, v69
	s_waitcnt lgkmcnt(0)
	v_add_f32_e32 v73, v73, v74
	s_delay_alu instid0(VALU_DEP_2) | instskip(NEXT) | instid1(VALU_DEP_1)
	v_lshl_add_u32 v71, v70, 2, v71
	v_add_nc_u32_e32 v71, 0x4000, v71
	ds_store_2addr_b32 v71, v72, v73 offset1:136
.LBB1149_12:
	s_or_b32 exec_lo, exec_lo, s3
	v_lshlrev_b32_e32 v70, 2, v70
	s_load_b32 s35, s[0:1], 0x94
	s_waitcnt lgkmcnt(0)
	s_barrier
	buffer_gl0_inv
	v_add_nc_u32_e32 v74, 0x4000, v70
	v_cmp_eq_u32_e32 vcc_lo, 1, v69
	v_cmp_eq_u32_e64 s3, 2, v69
	v_cmp_eq_u32_e64 s4, 3, v69
	;; [unrolled: 1-line block ×3, first 2 shown]
	ds_load_2addr_b32 v[70:71], v74 offset1:17
	ds_load_2addr_b32 v[72:73], v74 offset0:34 offset1:51
	ds_load_2addr_b32 v[93:94], v74 offset0:68 offset1:85
	;; [unrolled: 1-line block ×3, first 2 shown]
	v_cmp_eq_u32_e64 s6, 7, v69
	s_waitcnt lgkmcnt(3)
	v_max3_f32 v75, v70, 0xff7fffff, v71
	s_waitcnt lgkmcnt(2)
	s_delay_alu instid0(VALU_DEP_1) | instskip(SKIP_1) | instid1(VALU_DEP_1)
	v_max3_f32 v75, v75, v72, v73
	s_waitcnt lgkmcnt(1)
	v_max3_f32 v75, v75, v93, v94
	s_waitcnt lgkmcnt(0)
	s_delay_alu instid0(VALU_DEP_1) | instskip(NEXT) | instid1(VALU_DEP_1)
	v_max3_f32 v75, v75, v95, v96
	v_sub_f32_e32 v93, v93, v75
	ds_load_2addr_b32 v[97:98], v74 offset0:136 offset1:153
	v_sub_f32_e32 v70, v70, v75
	v_dual_sub_f32 v100, v73, v75 :: v_dual_mul_f32 v103, 0x3fb8aa3b, v93
	s_delay_alu instid0(VALU_DEP_2) | instskip(SKIP_3) | instid1(VALU_DEP_1)
	v_dual_sub_f32 v76, v71, v75 :: v_dual_mul_f32 v99, 0x3fb8aa3b, v70
	ds_load_2addr_b32 v[70:71], v74 offset0:170 offset1:187
	v_mul_f32_e32 v76, 0x3fb8aa3b, v76
	v_exp_f32_e32 v99, v99
	v_exp_f32_e32 v102, v76
	v_mul_f32_e32 v100, 0x3fb8aa3b, v100
	s_waitcnt lgkmcnt(1)
	s_waitcnt_depctr 0xfff
	v_fma_f32 v76, v99, v97, 0
	v_sub_f32_e32 v97, v94, v75
	v_sub_f32_e32 v72, v72, v75
	v_exp_f32_e32 v100, v100
	ds_load_2addr_b32 v[93:94], v74 offset0:238 offset1:255
	v_dual_fmac_f32 v76, v102, v98 :: v_dual_mul_f32 v101, 0x3fb8aa3b, v72
	ds_load_2addr_b32 v[72:73], v74 offset0:204 offset1:221
	v_dual_sub_f32 v74, v95, v75 :: v_dual_mul_f32 v95, 0x3fb8aa3b, v97
	v_exp_f32_e32 v97, v103
	v_exp_f32_e32 v101, v101
	s_waitcnt lgkmcnt(0)
	s_delay_alu instid0(VALU_DEP_1)
	v_mul_f32_e32 v74, 0x3fb8aa3b, v74
	v_exp_f32_e32 v95, v95
	s_barrier
	buffer_gl0_inv
	v_fmac_f32_e32 v76, v101, v70
	v_sub_f32_e32 v70, v96, v75
	v_exp_f32_e32 v96, v74
	s_delay_alu instid0(VALU_DEP_2) | instskip(NEXT) | instid1(VALU_DEP_2)
	v_fmac_f32_e32 v76, v100, v71
	v_mul_f32_e32 v70, 0x3fb8aa3b, v70
	s_delay_alu instid0(VALU_DEP_2) | instskip(NEXT) | instid1(VALU_DEP_2)
	v_dual_cndmask_b32 v71, v99, v102 :: v_dual_fmac_f32 v76, v97, v72
	v_exp_f32_e32 v98, v70
	s_delay_alu instid0(VALU_DEP_1) | instskip(SKIP_2) | instid1(VALU_DEP_1)
	v_fmac_f32_e32 v76, v95, v73
	s_waitcnt_depctr 0xfff
	v_fmac_f32_e32 v76, v96, v93
	v_fmac_f32_e32 v76, v98, v94
	s_delay_alu instid0(VALU_DEP_1) | instskip(NEXT) | instid1(VALU_DEP_1)
	v_add_f32_e32 v93, 0x358637bd, v76
	v_div_scale_f32 v94, null, v93, v93, 1.0
	v_div_scale_f32 v99, vcc_lo, 1.0, v93, 1.0
	s_delay_alu instid0(VALU_DEP_2) | instskip(SKIP_2) | instid1(VALU_DEP_1)
	v_rcp_f32_e32 v103, v94
	s_waitcnt_depctr 0xfff
	v_fma_f32 v70, -v94, v103, 1.0
	v_fmac_f32_e32 v103, v70, v103
	v_cndmask_b32_e64 v70, v71, v101, s3
	v_cmp_eq_u32_e64 s3, 4, v69
	v_lshlrev_b32_e32 v71, 2, v66
	s_delay_alu instid0(VALU_DEP_4) | instskip(NEXT) | instid1(VALU_DEP_4)
	v_mul_f32_e32 v101, v99, v103
	v_cndmask_b32_e64 v72, v70, v100, s4
	v_cmp_eq_u32_e64 s4, 6, v69
	v_lshl_or_b32 v70, v69, 11, v68
	v_or_b32_e32 v74, 1, v71
	v_fma_f32 v73, -v94, v101, v99
	v_cndmask_b32_e64 v72, v72, v97, s3
	v_cmp_eq_u32_e64 s3, 1, v71
	v_lshl_or_b32 v69, v66, 4, v70
	v_cmp_eq_u32_e64 s9, 1, v74
	v_fmac_f32_e32 v101, v73, v103
	v_cndmask_b32_e64 v95, v72, v95, s5
	v_or_b32_e32 v72, 2, v71
	v_or_b32_e32 v73, 3, v71
	v_cmp_eq_u32_e64 s12, 2, v74
	v_fma_f32 v94, -v94, v101, v99
	v_cndmask_b32_e64 v95, v95, v96, s4
	v_cmp_eq_u32_e64 s10, 1, v72
	v_cmp_eq_u32_e64 s11, 1, v73
	;; [unrolled: 1-line block ×3, first 2 shown]
	v_div_fmas_f32 v94, v94, v103, v101
	v_cndmask_b32_e64 v95, v95, v98, s6
	v_cmp_eq_u32_e32 vcc_lo, 2, v71
	v_cmp_eq_u32_e64 s16, 2, v73
	v_cmp_eq_u32_e64 s18, 3, v73
	v_div_fixup_f32 v93, v94, v93, 1.0
	v_cmp_eq_u32_e64 s4, 3, v71
	v_cmp_eq_u32_e64 s13, 3, v74
	;; [unrolled: 1-line block ×4, first 2 shown]
	v_mul_f32_e32 v101, v95, v93
	v_cmp_eq_u32_e64 s5, 4, v71
	v_cmp_eq_u32_e64 s19, 4, v74
	;; [unrolled: 1-line block ×4, first 2 shown]
	v_fma_mixlo_f16 v93, v101, v78, 0
	v_fma_mixlo_f16 v94, v101, v80, 0
	;; [unrolled: 1-line block ×8, first 2 shown]
	v_fma_mixhi_f16 v93, v101, v77, 0
	v_fma_mixhi_f16 v94, v101, v79, 0
	;; [unrolled: 1-line block ×8, first 2 shown]
	ds_store_b128 v69, v[93:96]
	ds_store_b128 v69, v[97:100] offset:1024
	s_waitcnt lgkmcnt(0)
	s_barrier
	buffer_gl0_inv
	ds_load_b128 v[77:80], v70
	ds_load_b128 v[81:84], v70 offset:16
	ds_load_b128 v[85:88], v70 offset:1024
	;; [unrolled: 1-line block ×3, first 2 shown]
	v_cmp_eq_u32_e64 s6, 5, v71
	v_cmp_eq_u32_e64 s20, 5, v74
	;; [unrolled: 1-line block ×11, first 2 shown]
	s_waitcnt lgkmcnt(3)
	v_lshrrev_b32_e32 v93, 16, v77
	s_waitcnt lgkmcnt(2)
	v_lshrrev_b32_e32 v97, 16, v81
	;; [unrolled: 2-line block ×4, first 2 shown]
	v_lshrrev_b32_e32 v94, 16, v78
	v_cndmask_b32_e64 v109, v77, v93, s3
	v_cndmask_b32_e64 v110, v81, v97, s3
	;; [unrolled: 1-line block ×8, first 2 shown]
	v_lshrrev_b32_e32 v98, 16, v82
	v_cndmask_b32_e64 v93, v85, v101, s3
	v_cndmask_b32_e64 v97, v89, v105, s3
	;; [unrolled: 1-line block ×5, first 2 shown]
	v_cndmask_b32_e32 v101, v109, v78, vcc_lo
	v_cndmask_b32_e64 v109, v111, v78, s12
	v_cndmask_b32_e64 v111, v113, v78, s15
	;; [unrolled: 1-line block ×4, first 2 shown]
	v_lshrrev_b32_e32 v102, 16, v86
	v_lshrrev_b32_e32 v106, 16, v90
	v_cndmask_b32_e64 v116, v89, v105, s9
	v_cndmask_b32_e64 v118, v89, v105, s10
	;; [unrolled: 1-line block ×3, first 2 shown]
	v_cndmask_b32_e32 v105, v110, v82, vcc_lo
	v_cndmask_b32_e64 v110, v112, v82, s12
	v_cndmask_b32_e64 v112, v114, v82, s15
	v_cndmask_b32_e32 v81, v93, v86, vcc_lo
	v_cndmask_b32_e32 v82, v97, v90, vcc_lo
	v_cndmask_b32_e64 v93, v115, v86, s12
	v_cndmask_b32_e64 v77, v77, v94, s18
	;; [unrolled: 1-line block ×3, first 2 shown]
	v_lshrrev_b32_e32 v95, 16, v79
	v_lshrrev_b32_e32 v99, 16, v83
	v_cndmask_b32_e64 v97, v117, v86, s15
	v_cndmask_b32_e64 v85, v85, v86, s16
	;; [unrolled: 1-line block ×14, first 2 shown]
	v_lshrrev_b32_e32 v103, 16, v87
	v_cndmask_b32_e64 v89, v89, v79, s5
	v_cndmask_b32_e64 v94, v101, v83, s5
	;; [unrolled: 1-line block ×11, first 2 shown]
	v_lshrrev_b32_e32 v96, 16, v80
	v_lshrrev_b32_e32 v100, 16, v84
	v_cndmask_b32_e64 v83, v89, v95, s6
	v_cndmask_b32_e64 v89, v94, v99, s6
	;; [unrolled: 1-line block ×9, first 2 shown]
	v_lshrrev_b32_e32 v104, 16, v88
	v_cndmask_b32_e64 v79, v79, v103, s6
	v_cndmask_b32_e64 v83, v83, v80, s7
	;; [unrolled: 1-line block ×19, first 2 shown]
	v_perm_b32 v80, v78, v77, 0x5040100
	v_cndmask_b32_e64 v77, v116, v90, s12
	v_cndmask_b32_e64 v95, v79, v104, s8
	v_perm_b32 v79, v93, v89, 0x5040100
	v_perm_b32 v78, v94, v84, 0x5040100
	v_cndmask_b32_e64 v84, v97, v102, s17
	v_cndmask_b32_e64 v85, v85, v102, s18
	;; [unrolled: 1-line block ×5, first 2 shown]
	v_lshrrev_b32_e32 v107, 16, v91
	v_cndmask_b32_e64 v84, v84, v87, s21
	v_cndmask_b32_e64 v85, v85, v87, s22
	;; [unrolled: 1-line block ×11, first 2 shown]
	v_lshrrev_b32_e32 v108, 16, v92
	v_cndmask_b32_e64 v81, v81, v92, s7
	v_cndmask_b32_e64 v84, v84, v88, s26
	;; [unrolled: 1-line block ×12, first 2 shown]
	v_perm_b32 v77, v83, v82, 0x5040100
	v_perm_b32 v84, v85, v84, 0x5040100
	;; [unrolled: 1-line block ×5, first 2 shown]
	s_lshl_b32 s8, s33, 4
	s_mov_b32 s3, exec_lo
	ds_store_b128 v69, v[77:80]
	ds_store_b128 v69, v[81:84] offset:1024
	v_cmpx_gt_u32_e32 16, v0
	s_cbranch_execz .LBB1149_14
; %bb.13:
	v_or_b32_e32 v77, s31, v0
	s_load_b128 s[4:7], s[0:1], 0x58
	s_delay_alu instid0(VALU_DEP_1) | instskip(NEXT) | instid1(VALU_DEP_1)
	v_mad_u64_u32 v[78:79], null, s8, s34, v[77:78]
	v_mad_u64_u32 v[79:80], null, v78, s35, s[14:15]
	s_delay_alu instid0(VALU_DEP_1) | instskip(NEXT) | instid1(VALU_DEP_1)
	v_ashrrev_i32_e32 v80, 31, v79
	v_lshlrev_b64 v[77:78], 2, v[79:80]
	s_waitcnt lgkmcnt(0)
	s_delay_alu instid0(VALU_DEP_1) | instskip(NEXT) | instid1(VALU_DEP_2)
	v_add_co_u32 v79, vcc_lo, s6, v77
	v_add_co_ci_u32_e32 v80, vcc_lo, s7, v78, vcc_lo
	v_add_co_u32 v77, vcc_lo, s4, v77
	v_add_co_ci_u32_e32 v78, vcc_lo, s5, v78, vcc_lo
	global_store_b32 v[79:80], v75, off
	global_store_b32 v[77:78], v76, off
.LBB1149_14:
	s_or_b32 exec_lo, exec_lo, s3
	s_waitcnt lgkmcnt(0)
	s_waitcnt_vscnt null, 0x0
	s_barrier
	buffer_gl0_inv
	ds_load_b128 v[83:86], v68
	ds_load_b128 v[87:90], v68 offset:16
	ds_load_b128 v[95:98], v68 offset:2064
	;; [unrolled: 1-line block ×5, first 2 shown]
	v_cmp_eq_u32_e32 vcc_lo, 1, v71
	v_mov_b32_e32 v75, 0
	ds_load_b128 v[111:114], v68 offset:6160
	ds_load_b128 v[107:110], v68 offset:6144
	;; [unrolled: 1-line block ×4, first 2 shown]
	v_cmp_eq_u32_e64 s4, 1, v72
	v_cmp_eq_u32_e64 s3, 1, v74
	;; [unrolled: 1-line block ×3, first 2 shown]
	v_mov_b32_e32 v76, v75
	v_mov_b32_e32 v77, v75
	v_mov_b32_e32 v78, v75
	v_mov_b32_e32 v79, v75
	v_mov_b32_e32 v80, v75
	v_mov_b32_e32 v81, v75
	v_mov_b32_e32 v82, v75
	v_cmp_eq_u32_e64 s6, 3, v74
	v_cmp_eq_u32_e64 s7, 7, v74
	s_waitcnt lgkmcnt(8)
	s_delay_alu instid0(VALU_DEP_3)
	v_wmma_f32_16x16x16_f16 v[75:82], v[49:56], v[83:90], v[75:82]
	ds_load_b128 v[53:56], v68 offset:10256
	ds_load_b128 v[49:52], v68 offset:10240
	s_waitcnt lgkmcnt(8)
	v_wmma_f32_16x16x16_f16 v[75:82], v[41:48], v[91:98], v[75:82]
	ds_load_b128 v[45:48], v68 offset:12304
	ds_load_b128 v[41:44], v68 offset:12288
	s_waitcnt lgkmcnt(8)
	;; [unrolled: 4-line block ×3, first 2 shown]
	s_barrier
	buffer_gl0_inv
	v_wmma_f32_16x16x16_f16 v[75:82], v[1:8], v[107:114], v[75:82]
	s_delay_alu instid0(VALU_DEP_1) | instskip(NEXT) | instid1(VALU_DEP_1)
	v_wmma_f32_16x16x16_f16 v[75:82], v[9:16], v[115:122], v[75:82]
	v_wmma_f32_16x16x16_f16 v[75:82], v[17:24], v[49:56], v[75:82]
	s_delay_alu instid0(VALU_DEP_1) | instskip(NEXT) | instid1(VALU_DEP_1)
	v_wmma_f32_16x16x16_f16 v[75:82], v[25:32], v[41:48], v[75:82]
	v_wmma_f32_16x16x16_f16 v[75:82], v[57:64], v[33:40], v[75:82]
	s_delay_alu instid0(VALU_DEP_1) | instskip(NEXT) | instid1(VALU_DEP_2)
	v_cvt_f16_f32_e32 v1, v75
	v_cvt_f16_f32_e32 v2, v76
	s_delay_alu instid0(VALU_DEP_3) | instskip(NEXT) | instid1(VALU_DEP_4)
	v_cvt_f16_f32_e32 v3, v77
	v_cvt_f16_f32_e32 v4, v78
	;; [unrolled: 1-line block ×6, first 2 shown]
	v_pack_b32_f16 v1, v1, v2
	v_pack_b32_f16 v2, v3, v4
	;; [unrolled: 1-line block ×3, first 2 shown]
	s_delay_alu instid0(VALU_DEP_4)
	v_pack_b32_f16 v4, v7, v8
	ds_store_b128 v69, v[1:4]
	s_waitcnt lgkmcnt(0)
	s_barrier
	buffer_gl0_inv
	ds_load_b128 v[1:4], v70
	ds_load_b128 v[5:8], v70 offset:16
	s_waitcnt lgkmcnt(1)
	v_lshrrev_b32_e32 v9, 16, v1
	s_waitcnt lgkmcnt(0)
	v_lshrrev_b32_e32 v13, 16, v5
	v_lshrrev_b32_e32 v10, 16, v2
	;; [unrolled: 1-line block ×4, first 2 shown]
	v_cndmask_b32_e32 v17, v1, v9, vcc_lo
	v_cndmask_b32_e32 v18, v5, v13, vcc_lo
	v_cndmask_b32_e64 v21, v1, v9, s4
	v_cmp_eq_u32_e32 vcc_lo, 1, v73
	v_cndmask_b32_e64 v22, v5, v13, s4
	v_cmp_eq_u32_e64 s4, 2, v71
	v_cndmask_b32_e64 v19, v1, v9, s3
	v_cndmask_b32_e64 v20, v5, v13, s3
	v_cndmask_b32_e32 v1, v1, v9, vcc_lo
	v_cmp_eq_u32_e64 s3, 2, v73
	v_cndmask_b32_e32 v5, v5, v13, vcc_lo
	v_cndmask_b32_e64 v9, v17, v2, s4
	v_cmp_eq_u32_e32 vcc_lo, 3, v71
	v_cndmask_b32_e64 v13, v18, v6, s4
	v_cmp_eq_u32_e64 s4, 2, v72
	v_cndmask_b32_e64 v17, v19, v2, s5
	v_cndmask_b32_e64 v18, v20, v6, s5
	v_cmp_eq_u32_e64 s5, 3, v72
	v_cndmask_b32_e64 v1, v1, v2, s3
	v_cndmask_b32_e64 v19, v21, v2, s4
	;; [unrolled: 1-line block ×4, first 2 shown]
	v_cndmask_b32_e32 v5, v9, v10, vcc_lo
	v_cndmask_b32_e32 v6, v13, v14, vcc_lo
	v_cmp_eq_u32_e32 vcc_lo, 3, v73
	v_cndmask_b32_e64 v9, v17, v10, s6
	v_cndmask_b32_e64 v13, v18, v14, s6
	;; [unrolled: 1-line block ×3, first 2 shown]
	v_cmp_eq_u32_e64 s4, 4, v71
	v_cndmask_b32_e32 v1, v1, v10, vcc_lo
	v_cndmask_b32_e32 v2, v2, v14, vcc_lo
	v_cmp_eq_u32_e32 vcc_lo, 4, v74
	v_lshrrev_b32_e32 v15, 16, v7
	v_lshrrev_b32_e32 v16, 16, v8
	v_cndmask_b32_e64 v17, v19, v10, s5
	v_cmp_eq_u32_e64 s3, 4, v73
	v_cndmask_b32_e64 v5, v5, v3, s4
	v_cndmask_b32_e64 v6, v6, v7, s4
	v_cndmask_b32_e32 v9, v9, v3, vcc_lo
	v_cmp_eq_u32_e64 s4, 5, v74
	v_cndmask_b32_e32 v10, v13, v7, vcc_lo
	v_cmp_eq_u32_e32 vcc_lo, 4, v72
	v_cmp_eq_u32_e64 s5, 5, v71
	v_cndmask_b32_e64 v2, v2, v7, s3
	v_cndmask_b32_e64 v9, v9, v11, s4
	v_cndmask_b32_e64 v10, v10, v15, s4
	v_cndmask_b32_e32 v13, v17, v3, vcc_lo
	v_cmp_eq_u32_e64 s4, 5, v72
	v_cndmask_b32_e32 v14, v18, v7, vcc_lo
	v_cndmask_b32_e64 v1, v1, v3, s3
	v_cmp_eq_u32_e32 vcc_lo, 5, v73
	v_lshrrev_b32_e32 v12, 16, v4
	v_cndmask_b32_e64 v13, v13, v11, s4
	v_cndmask_b32_e64 v3, v14, v15, s4
	v_cmp_eq_u32_e64 s4, 6, v73
	v_cndmask_b32_e32 v1, v1, v11, vcc_lo
	v_cndmask_b32_e64 v5, v5, v11, s5
	v_cmp_eq_u32_e64 s6, 6, v71
	v_cndmask_b32_e64 v6, v6, v15, s5
	v_cmp_eq_u32_e64 s5, 6, v74
	v_cmp_eq_u32_e64 s3, 6, v72
	v_cndmask_b32_e64 v1, v1, v4, s4
	v_cndmask_b32_e32 v2, v2, v15, vcc_lo
	v_cmp_eq_u32_e32 vcc_lo, 7, v73
	v_cndmask_b32_e64 v5, v5, v4, s6
	v_cndmask_b32_e64 v9, v9, v4, s5
	;; [unrolled: 1-line block ×3, first 2 shown]
	v_cmp_eq_u32_e64 s6, 7, v71
	v_cndmask_b32_e32 v1, v1, v12, vcc_lo
	v_cndmask_b32_e64 v7, v13, v4, s3
	v_cndmask_b32_e64 v3, v3, v8, s3
	;; [unrolled: 1-line block ×3, first 2 shown]
	v_cmp_eq_u32_e64 s3, 7, v72
	v_cndmask_b32_e64 v4, v10, v8, s5
	v_cndmask_b32_e64 v5, v5, v12, s6
	;; [unrolled: 1-line block ×3, first 2 shown]
	v_cndmask_b32_e32 v2, v2, v16, vcc_lo
	v_cndmask_b32_e64 v7, v7, v12, s3
	v_cndmask_b32_e64 v3, v3, v16, s3
	;; [unrolled: 1-line block ×4, first 2 shown]
	v_cmp_gt_u32_e32 vcc_lo, 32, v0
	v_perm_b32 v4, v2, v1, 0x5040100
	v_perm_b32 v3, v3, v7, 0x5040100
	v_perm_b32 v2, v8, v9, 0x5040100
	v_perm_b32 v1, v6, v5, 0x5040100
	s_and_b32 s2, vcc_lo, s2
	ds_store_b128 v69, v[1:4]
	s_waitcnt lgkmcnt(0)
	s_barrier
	buffer_gl0_inv
	s_and_saveexec_b32 s3, s2
	s_cbranch_execz .LBB1149_2
; %bb.15:
	s_load_b64 s[0:1], s[0:1], 0x68
	v_lshlrev_b32_e32 v0, 10, v0
	s_lshl_b32 s4, s35, 6
	v_or_b32_e32 v23, s31, v66
	s_mul_i32 s2, s4, s34
	v_lshlrev_b32_e32 v1, 4, v67
	v_lshlrev_b32_e32 v2, 6, v66
	s_mul_i32 s2, s2, s8
	v_and_b32_e32 v0, 0x3800, v0
	v_mul_lo_u32 v8, v23, s4
	s_ashr_i32 s3, s2, 31
	v_or_b32_e32 v3, 2, v23
	s_lshl_b64 s[2:3], s[2:3], 1
	v_or3_b32 v27, v0, v1, v2
	v_or_b32_e32 v11, 4, v23
	v_or_b32_e32 v18, 6, v23
	v_mul_lo_u32 v10, v3, s4
	v_ashrrev_i32_e32 v9, 31, v8
	ds_load_b128 v[0:3], v27
	ds_load_b128 v[4:7], v27 offset:128
	v_mul_lo_u32 v12, v11, s4
	s_waitcnt lgkmcnt(0)
	s_add_u32 s2, s0, s2
	s_addc_u32 s3, s1, s3
	s_lshl_b32 s0, s14, 6
	v_lshlrev_b64 v[8:9], 1, v[8:9]
	s_ashr_i32 s1, s0, 31
	v_ashrrev_i32_e32 v11, 31, v10
	s_lshl_b64 s[0:1], s[0:1], 1
	v_ashrrev_i32_e32 v13, 31, v12
	s_add_u32 s0, s2, s0
	s_addc_u32 s1, s3, s1
	v_add_co_u32 v30, s0, s0, v65
	s_delay_alu instid0(VALU_DEP_1) | instskip(SKIP_1) | instid1(VALU_DEP_3)
	v_add_co_ci_u32_e64 v31, null, s1, 0, s0
	v_lshlrev_b64 v[16:17], 1, v[10:11]
	v_add_co_u32 v14, vcc_lo, v30, v8
	s_delay_alu instid0(VALU_DEP_3)
	v_add_co_ci_u32_e32 v15, vcc_lo, v31, v9, vcc_lo
	ds_load_b128 v[8:11], v27 offset:256
	v_mul_lo_u32 v18, v18, s4
	v_or_b32_e32 v19, 8, v23
	v_add_co_u32 v16, vcc_lo, v30, v16
	global_store_b128 v[14:15], v[0:3], off
	v_lshlrev_b64 v[0:1], 1, v[12:13]
	v_add_co_ci_u32_e32 v17, vcc_lo, v31, v17, vcc_lo
	v_mul_lo_u32 v12, v19, s4
	v_ashrrev_i32_e32 v19, 31, v18
	v_or_b32_e32 v14, 10, v23
	global_store_b128 v[16:17], v[4:7], off
	v_add_co_u32 v4, vcc_lo, v30, v0
	v_add_co_ci_u32_e32 v5, vcc_lo, v31, v1, vcc_lo
	ds_load_b128 v[0:3], v27 offset:384
	v_ashrrev_i32_e32 v13, 31, v12
	v_lshlrev_b64 v[6:7], 1, v[18:19]
	v_mul_lo_u32 v14, v14, s4
	s_waitcnt lgkmcnt(1)
	global_store_b128 v[4:5], v[8:11], off
	v_or_b32_e32 v8, 12, v23
	v_lshlrev_b64 v[4:5], 1, v[12:13]
	v_add_co_u32 v20, vcc_lo, v30, v6
	v_or_b32_e32 v6, 14, v23
	v_ashrrev_i32_e32 v15, 31, v14
	v_mul_lo_u32 v22, v8, s4
	v_add_co_ci_u32_e32 v21, vcc_lo, v31, v7, vcc_lo
	v_add_co_u32 v24, vcc_lo, v30, v4
	v_mul_lo_u32 v26, v6, s4
	v_add_co_ci_u32_e32 v25, vcc_lo, v31, v5, vcc_lo
	v_lshlrev_b64 v[28:29], 1, v[14:15]
	ds_load_b128 v[4:7], v27 offset:512
	ds_load_b128 v[8:11], v27 offset:640
	;; [unrolled: 1-line block ×4, first 2 shown]
	v_ashrrev_i32_e32 v23, 31, v22
	v_ashrrev_i32_e32 v27, 31, v26
	v_add_co_u32 v28, vcc_lo, v30, v28
	s_delay_alu instid0(VALU_DEP_3) | instskip(SKIP_1) | instid1(VALU_DEP_4)
	v_lshlrev_b64 v[22:23], 1, v[22:23]
	v_add_co_ci_u32_e32 v29, vcc_lo, v31, v29, vcc_lo
	v_lshlrev_b64 v[26:27], 1, v[26:27]
	s_delay_alu instid0(VALU_DEP_3) | instskip(NEXT) | instid1(VALU_DEP_4)
	v_add_co_u32 v22, vcc_lo, v30, v22
	v_add_co_ci_u32_e32 v23, vcc_lo, v31, v23, vcc_lo
	s_delay_alu instid0(VALU_DEP_3) | instskip(NEXT) | instid1(VALU_DEP_4)
	v_add_co_u32 v26, vcc_lo, v30, v26
	v_add_co_ci_u32_e32 v27, vcc_lo, v31, v27, vcc_lo
	s_waitcnt lgkmcnt(4)
	global_store_b128 v[20:21], v[0:3], off
	s_waitcnt lgkmcnt(3)
	global_store_b128 v[24:25], v[4:7], off
	;; [unrolled: 2-line block ×5, first 2 shown]
	s_nop 0
	s_sendmsg sendmsg(MSG_DEALLOC_VGPRS)
	s_endpgm
	.section	.rodata,"a",@progbits
	.p2align	6, 0x0
	.amdhsa_kernel _Z39paged_attention_ll4mi_QKV_mfma16_kernelIDF16_hLN4vllm18Fp8KVCacheDataTypeE1EDF16_Li16ELi64ELi256ELb0ELi16EL8MFMAType0EEvPKT_PKT0_S8_ifPKiSA_SA_iPKfiiiPfSD_PS3_PT2_iSC_SC_
		.amdhsa_group_segment_fixed_size 17472
		.amdhsa_private_segment_fixed_size 0
		.amdhsa_kernarg_size 400
		.amdhsa_user_sgpr_count 13
		.amdhsa_user_sgpr_dispatch_ptr 0
		.amdhsa_user_sgpr_queue_ptr 0
		.amdhsa_user_sgpr_kernarg_segment_ptr 1
		.amdhsa_user_sgpr_dispatch_id 0
		.amdhsa_user_sgpr_private_segment_size 0
		.amdhsa_wavefront_size32 1
		.amdhsa_uses_dynamic_stack 0
		.amdhsa_enable_private_segment 0
		.amdhsa_system_sgpr_workgroup_id_x 1
		.amdhsa_system_sgpr_workgroup_id_y 1
		.amdhsa_system_sgpr_workgroup_id_z 1
		.amdhsa_system_sgpr_workgroup_info 0
		.amdhsa_system_vgpr_workitem_id 0
		.amdhsa_next_free_vgpr 123
		.amdhsa_next_free_sgpr 40
		.amdhsa_reserve_vcc 1
		.amdhsa_float_round_mode_32 0
		.amdhsa_float_round_mode_16_64 0
		.amdhsa_float_denorm_mode_32 3
		.amdhsa_float_denorm_mode_16_64 3
		.amdhsa_dx10_clamp 1
		.amdhsa_ieee_mode 1
		.amdhsa_fp16_overflow 0
		.amdhsa_workgroup_processor_mode 1
		.amdhsa_memory_ordered 1
		.amdhsa_forward_progress 0
		.amdhsa_shared_vgpr_count 0
		.amdhsa_exception_fp_ieee_invalid_op 0
		.amdhsa_exception_fp_denorm_src 0
		.amdhsa_exception_fp_ieee_div_zero 0
		.amdhsa_exception_fp_ieee_overflow 0
		.amdhsa_exception_fp_ieee_underflow 0
		.amdhsa_exception_fp_ieee_inexact 0
		.amdhsa_exception_int_div_zero 0
	.end_amdhsa_kernel
	.section	.text._Z39paged_attention_ll4mi_QKV_mfma16_kernelIDF16_hLN4vllm18Fp8KVCacheDataTypeE1EDF16_Li16ELi64ELi256ELb0ELi16EL8MFMAType0EEvPKT_PKT0_S8_ifPKiSA_SA_iPKfiiiPfSD_PS3_PT2_iSC_SC_,"axG",@progbits,_Z39paged_attention_ll4mi_QKV_mfma16_kernelIDF16_hLN4vllm18Fp8KVCacheDataTypeE1EDF16_Li16ELi64ELi256ELb0ELi16EL8MFMAType0EEvPKT_PKT0_S8_ifPKiSA_SA_iPKfiiiPfSD_PS3_PT2_iSC_SC_,comdat
.Lfunc_end1149:
	.size	_Z39paged_attention_ll4mi_QKV_mfma16_kernelIDF16_hLN4vllm18Fp8KVCacheDataTypeE1EDF16_Li16ELi64ELi256ELb0ELi16EL8MFMAType0EEvPKT_PKT0_S8_ifPKiSA_SA_iPKfiiiPfSD_PS3_PT2_iSC_SC_, .Lfunc_end1149-_Z39paged_attention_ll4mi_QKV_mfma16_kernelIDF16_hLN4vllm18Fp8KVCacheDataTypeE1EDF16_Li16ELi64ELi256ELb0ELi16EL8MFMAType0EEvPKT_PKT0_S8_ifPKiSA_SA_iPKfiiiPfSD_PS3_PT2_iSC_SC_
                                        ; -- End function
	.section	.AMDGPU.csdata,"",@progbits
; Kernel info:
; codeLenInByte = 6708
; NumSgprs: 42
; NumVgprs: 123
; ScratchSize: 0
; MemoryBound: 0
; FloatMode: 240
; IeeeMode: 1
; LDSByteSize: 17472 bytes/workgroup (compile time only)
; SGPRBlocks: 5
; VGPRBlocks: 15
; NumSGPRsForWavesPerEU: 42
; NumVGPRsForWavesPerEU: 123
; Occupancy: 10
; WaveLimiterHint : 1
; COMPUTE_PGM_RSRC2:SCRATCH_EN: 0
; COMPUTE_PGM_RSRC2:USER_SGPR: 13
; COMPUTE_PGM_RSRC2:TRAP_HANDLER: 0
; COMPUTE_PGM_RSRC2:TGID_X_EN: 1
; COMPUTE_PGM_RSRC2:TGID_Y_EN: 1
; COMPUTE_PGM_RSRC2:TGID_Z_EN: 1
; COMPUTE_PGM_RSRC2:TIDIG_COMP_CNT: 0
	.section	.text._Z39paged_attention_ll4mi_QKV_mfma16_kernelIDF16_hLN4vllm18Fp8KVCacheDataTypeE1EDF16_Li16ELi64ELi256ELb0ELi1EL8MFMAType0EEvPKT_PKT0_S8_ifPKiSA_SA_iPKfiiiPfSD_PS3_PT2_iSC_SC_,"axG",@progbits,_Z39paged_attention_ll4mi_QKV_mfma16_kernelIDF16_hLN4vllm18Fp8KVCacheDataTypeE1EDF16_Li16ELi64ELi256ELb0ELi1EL8MFMAType0EEvPKT_PKT0_S8_ifPKiSA_SA_iPKfiiiPfSD_PS3_PT2_iSC_SC_,comdat
	.protected	_Z39paged_attention_ll4mi_QKV_mfma16_kernelIDF16_hLN4vllm18Fp8KVCacheDataTypeE1EDF16_Li16ELi64ELi256ELb0ELi1EL8MFMAType0EEvPKT_PKT0_S8_ifPKiSA_SA_iPKfiiiPfSD_PS3_PT2_iSC_SC_ ; -- Begin function _Z39paged_attention_ll4mi_QKV_mfma16_kernelIDF16_hLN4vllm18Fp8KVCacheDataTypeE1EDF16_Li16ELi64ELi256ELb0ELi1EL8MFMAType0EEvPKT_PKT0_S8_ifPKiSA_SA_iPKfiiiPfSD_PS3_PT2_iSC_SC_
	.globl	_Z39paged_attention_ll4mi_QKV_mfma16_kernelIDF16_hLN4vllm18Fp8KVCacheDataTypeE1EDF16_Li16ELi64ELi256ELb0ELi1EL8MFMAType0EEvPKT_PKT0_S8_ifPKiSA_SA_iPKfiiiPfSD_PS3_PT2_iSC_SC_
	.p2align	8
	.type	_Z39paged_attention_ll4mi_QKV_mfma16_kernelIDF16_hLN4vllm18Fp8KVCacheDataTypeE1EDF16_Li16ELi64ELi256ELb0ELi1EL8MFMAType0EEvPKT_PKT0_S8_ifPKiSA_SA_iPKfiiiPfSD_PS3_PT2_iSC_SC_,@function
_Z39paged_attention_ll4mi_QKV_mfma16_kernelIDF16_hLN4vllm18Fp8KVCacheDataTypeE1EDF16_Li16ELi64ELi256ELb0ELi1EL8MFMAType0EEvPKT_PKT0_S8_ifPKiSA_SA_iPKfiiiPfSD_PS3_PT2_iSC_SC_: ; @_Z39paged_attention_ll4mi_QKV_mfma16_kernelIDF16_hLN4vllm18Fp8KVCacheDataTypeE1EDF16_Li16ELi64ELi256ELb0ELi1EL8MFMAType0EEvPKT_PKT0_S8_ifPKiSA_SA_iPKfiiiPfSD_PS3_PT2_iSC_SC_
; %bb.0:
	s_load_b64 s[4:5], s[0:1], 0x30
	s_mov_b32 s34, s13
	s_waitcnt lgkmcnt(0)
	s_cmp_lg_u64 s[4:5], 0
	s_cselect_b32 s6, -1, 0
	s_ashr_i32 s35, s13, 31
	s_cmp_eq_u64 s[4:5], 0
	s_cbranch_scc1 .LBB1150_3
; %bb.1:
	s_lshl_b64 s[2:3], s[34:35], 2
	s_delay_alu instid0(SALU_CYCLE_1) | instskip(SKIP_4) | instid1(SALU_CYCLE_1)
	s_add_u32 s2, s4, s2
	s_addc_u32 s3, s5, s3
	s_load_b64 s[2:3], s[2:3], 0x0
	s_waitcnt lgkmcnt(0)
	s_sub_i32 s2, s3, s2
	s_cmp_eq_u32 s2, 1
	s_cselect_b32 s2, -1, 0
	s_delay_alu instid0(SALU_CYCLE_1)
	s_and_not1_b32 vcc_lo, exec_lo, s2
	s_cbranch_vccz .LBB1150_4
.LBB1150_2:
	s_endpgm
.LBB1150_3:
.LBB1150_4:
	s_load_b64 s[2:3], s[0:1], 0x28
	s_lshl_b64 s[8:9], s[34:35], 2
	s_waitcnt lgkmcnt(0)
	s_add_u32 s2, s2, s8
	s_addc_u32 s3, s3, s9
	s_lshl_b32 s12, s14, 8
	s_load_b32 s33, s[2:3], 0x0
	s_waitcnt lgkmcnt(0)
	s_cmp_ge_i32 s12, s33
	s_cbranch_scc1 .LBB1150_2
; %bb.5:
	s_clause 0x1
	s_load_b128 s[28:31], s[0:1], 0x8
	s_load_b64 s[2:3], s[0:1], 0x20
	s_and_not1_b32 vcc_lo, exec_lo, s6
	s_mov_b64 s[6:7], s[34:35]
	s_cbranch_vccnz .LBB1150_7
; %bb.6:
	s_add_u32 s4, s4, s8
	s_addc_u32 s5, s5, s9
	s_load_b32 s6, s[4:5], 0x0
.LBB1150_7:
	s_load_b128 s[24:27], s[0:1], 0x48
	v_and_b32_e32 v73, 15, v0
	s_mov_b32 s13, exec_lo
                                        ; implicit-def: $sgpr16
                                        ; implicit-def: $sgpr4
	s_delay_alu instid0(VALU_DEP_1)
	v_cmpx_eq_u32_e32 0, v73
	s_cbranch_execz .LBB1150_9
; %bb.8:
	s_load_b64 s[4:5], s[0:1], 0x0
	s_waitcnt lgkmcnt(0)
	s_mul_hi_i32 s7, s6, s24
	s_mul_i32 s6, s6, s24
	s_delay_alu instid0(SALU_CYCLE_1) | instskip(NEXT) | instid1(SALU_CYCLE_1)
	s_lshl_b64 s[6:7], s[6:7], 1
	s_add_u32 s6, s4, s6
	s_addc_u32 s7, s5, s7
	s_lshl_b32 s4, s15, 6
	s_delay_alu instid0(SALU_CYCLE_1) | instskip(NEXT) | instid1(SALU_CYCLE_1)
	s_ashr_i32 s5, s4, 31
	s_lshl_b64 s[4:5], s[4:5], 1
	s_delay_alu instid0(SALU_CYCLE_1)
	s_add_u32 s4, s6, s4
	s_addc_u32 s5, s7, s5
	s_clause 0x1
	s_load_b256 s[16:23], s[4:5], 0x0
	s_load_b256 s[4:11], s[4:5], 0x40
.LBB1150_9:
	s_or_b32 exec_lo, exec_lo, s13
	v_and_b32_e32 v1, 0xef, v0
	s_waitcnt lgkmcnt(0)
	v_dual_mov_b32 v115, s23 :: v_dual_mov_b32 v114, s22
	s_add_i32 s13, s33, 15
	s_load_b32 s27, s[0:1], 0x38
	v_dual_mov_b32 v112, s20 :: v_dual_add_nc_u32 v1, s12, v1
	s_ashr_i32 s24, s13, 31
	v_lshrrev_b32_e32 v66, 5, v0
	s_lshr_b32 s24, s24, 28
	s_delay_alu instid0(VALU_DEP_2)
	v_ashrrev_i32_e32 v2, 31, v1
	v_or_b32_e32 v3, 16, v1
	s_add_i32 s13, s13, s24
	v_cmp_gt_i32_e32 vcc_lo, s33, v1
	s_ashr_i32 s13, s13, 4
	v_lshrrev_b32_e32 v2, 28, v2
	s_add_i32 s13, s13, -1
	s_load_b32 s24, s[0:1], 0x1c
	v_and_b32_e32 v65, 0xe0, v0
	s_delay_alu instid0(VALU_DEP_2)
	v_dual_mov_b32 v111, s19 :: v_dual_add_nc_u32 v4, v1, v2
	v_mov_b32_e32 v113, s21
	v_mov_b32_e32 v109, s17
	v_mbcnt_lo_u32_b32 v67, -1, 0
	s_waitcnt lgkmcnt(0)
	s_mul_i32 s36, s34, s27
	v_ashrrev_i32_e32 v4, 4, v4
	v_add_nc_u32_e32 v2, v3, v2
	s_ashr_i32 s37, s36, 31
	v_bfe_u32 v75, v0, 4, 1
	s_lshl_b64 s[36:37], s[36:37], 2
	v_cndmask_b32_e32 v1, s13, v4, vcc_lo
	v_ashrrev_i32_e32 v2, 4, v2
	v_cmp_gt_i32_e32 vcc_lo, s33, v3
	s_add_u32 s36, s2, s36
	s_addc_u32 s35, s3, s37
	v_lshlrev_b32_e32 v74, 4, v73
	s_mul_i32 s37, s15, s26
	v_cndmask_b32_e32 v3, s13, v2, vcc_lo
	v_ashrrev_i32_e32 v2, 31, v1
	s_ashr_i32 s38, s37, 31
	s_add_u32 s39, s28, s37
	s_addc_u32 s46, s29, s38
	v_ashrrev_i32_e32 v4, 31, v3
	v_lshlrev_b64 v[1:2], 2, v[1:2]
	s_lshl_b32 s2, s14, 4
	v_xor_b32_e32 v68, 16, v67
	s_ashr_i32 s3, s2, 31
	v_lshlrev_b64 v[3:4], 2, v[3:4]
	s_lshl_b64 s[2:3], s[2:3], 2
	v_add_co_u32 v1, vcc_lo, s36, v1
	v_add_co_ci_u32_e32 v2, vcc_lo, s35, v2, vcc_lo
	s_delay_alu instid0(VALU_DEP_3) | instskip(NEXT) | instid1(VALU_DEP_4)
	v_add_co_u32 v3, vcc_lo, s36, v3
	v_add_co_ci_u32_e32 v4, vcc_lo, s35, v4, vcc_lo
	s_clause 0x1
	global_load_b32 v5, v[1:2], off
	global_load_b32 v7, v[3:4], off
	s_add_u32 s2, s36, s2
	s_addc_u32 s3, s35, s3
	s_or_b32 s26, s12, 32
	v_dual_mov_b32 v110, s18 :: v_dual_lshlrev_b32 v1, 4, v0
	s_ashr_i32 s27, s26, 4
	s_cmp_lt_i32 s26, s33
	v_mov_b32_e32 v108, s16
	s_cselect_b32 s26, s27, s13
	v_and_b32_e32 v1, 0xf0, v1
	s_ashr_i32 s27, s26, 31
	v_cmp_gt_i32_e32 vcc_lo, 32, v68
	s_lshl_b64 s[26:27], s[26:27], 2
	s_delay_alu instid0(SALU_CYCLE_1)
	s_add_u32 s26, s36, s26
	s_addc_u32 s27, s35, s27
	s_or_b32 s28, s12, 64
	v_add_co_u32 v1, s39, s39, v1
	s_ashr_i32 s29, s28, 4
	s_cmp_lt_i32 s28, s33
	v_add_co_ci_u32_e64 v2, null, s46, 0, s39
	s_cselect_b32 s28, s29, s13
	s_delay_alu instid0(SALU_CYCLE_1) | instskip(NEXT) | instid1(SALU_CYCLE_1)
	s_ashr_i32 s29, s28, 31
	s_lshl_b64 s[28:29], s[28:29], 2
	s_delay_alu instid0(SALU_CYCLE_1) | instskip(SKIP_2) | instid1(SALU_CYCLE_1)
	s_add_u32 s40, s36, s28
	s_addc_u32 s41, s35, s29
	s_or_b32 s28, s12, 0x60
	s_ashr_i32 s29, s28, 4
	s_cmp_lt_i32 s28, s33
	s_cselect_b32 s28, s29, s13
	s_delay_alu instid0(SALU_CYCLE_1) | instskip(NEXT) | instid1(SALU_CYCLE_1)
	s_ashr_i32 s29, s28, 31
	s_lshl_b64 s[28:29], s[28:29], 2
	s_delay_alu instid0(SALU_CYCLE_1) | instskip(SKIP_2) | instid1(SALU_CYCLE_1)
	s_add_u32 s42, s36, s28
	s_addc_u32 s43, s35, s29
	s_or_b32 s28, s12, 0x80
	s_ashr_i32 s29, s28, 4
	s_cmp_lt_i32 s28, s33
	;; [unrolled: 10-line block ×3, first 2 shown]
	s_cselect_b32 s28, s29, s13
	s_delay_alu instid0(SALU_CYCLE_1) | instskip(NEXT) | instid1(SALU_CYCLE_1)
	s_ashr_i32 s29, s28, 31
	s_lshl_b64 s[28:29], s[28:29], 2
	s_delay_alu instid0(SALU_CYCLE_1)
	s_add_u32 s46, s36, s28
	s_addc_u32 s47, s35, s29
	s_clause 0x5
	s_load_b32 s29, s[2:3], 0x0
	s_load_b32 s2, s[26:27], 0x0
	;; [unrolled: 1-line block ×6, first 2 shown]
	s_or_b32 s39, s12, 0xc0
	s_delay_alu instid0(SALU_CYCLE_1) | instskip(SKIP_2) | instid1(SALU_CYCLE_1)
	s_ashr_i32 s40, s39, 4
	s_cmp_lt_i32 s39, s33
	s_cselect_b32 s40, s40, s13
	s_ashr_i32 s41, s40, 31
	s_delay_alu instid0(SALU_CYCLE_1) | instskip(NEXT) | instid1(SALU_CYCLE_1)
	s_lshl_b64 s[40:41], s[40:41], 2
	s_add_u32 s40, s36, s40
	s_addc_u32 s41, s35, s41
	s_or_b32 s39, s12, 0xe0
	s_delay_alu instid0(SALU_CYCLE_1) | instskip(SKIP_2) | instid1(SALU_CYCLE_1)
	s_ashr_i32 s42, s39, 4
	s_cmp_lt_i32 s39, s33
	s_cselect_b32 s42, s42, s13
	s_ashr_i32 s43, s42, 31
	s_delay_alu instid0(SALU_CYCLE_1)
	s_lshl_b64 s[42:43], s[42:43], 2
	s_waitcnt vmcnt(1)
	v_mad_i64_i32 v[3:4], null, v5, s25, v[1:2]
	s_waitcnt vmcnt(0)
	v_mad_i64_i32 v[5:6], null, v7, s25, v[1:2]
	v_lshl_or_b32 v1, v66, 8, v74
	s_clause 0x7
	global_load_b128 v[76:79], v[3:4], off
	global_load_b128 v[80:83], v[3:4], off offset:256
	global_load_b128 v[84:87], v[5:6], off
	global_load_b128 v[88:91], v[5:6], off offset:256
	global_load_b128 v[92:95], v[3:4], off offset:512
	;; [unrolled: 1-line block ×5, first 2 shown]
	s_load_b32 s13, s[40:41], 0x0
	s_add_u32 s40, s36, s42
	s_addc_u32 s41, s35, s43
	s_add_u32 s30, s30, s37
	s_addc_u32 s31, s31, s38
	v_add_co_u32 v1, s30, s30, v1
	s_delay_alu instid0(VALU_DEP_1) | instskip(SKIP_3) | instid1(VALU_DEP_1)
	v_add_co_ci_u32_e64 v2, null, s31, 0, s30
	s_load_b32 s30, s[40:41], 0x0
	s_mov_b32 s36, 0
	s_waitcnt lgkmcnt(0)
	v_mad_i64_i32 v[3:4], null, s29, s25, v[1:2]
	v_mad_i64_i32 v[9:10], null, s26, s25, v[1:2]
	;; [unrolled: 1-line block ×7, first 2 shown]
	s_clause 0x5
	global_load_b128 v[49:52], v[3:4], off
	global_load_b128 v[53:56], v[3:4], off offset:16
	global_load_b128 v[41:44], v[5:6], off
	global_load_b128 v[45:48], v[5:6], off offset:16
	global_load_b128 v[33:36], v[7:8], off
	global_load_b128 v[37:40], v[7:8], off offset:16
	s_mov_b32 s43, s36
	s_mov_b32 s37, s36
	v_mad_i64_i32 v[61:62], null, s30, s25, v[1:2]
	s_clause 0x9
	global_load_b128 v[1:4], v[9:10], off
	global_load_b128 v[5:8], v[9:10], off offset:16
	global_load_b128 v[9:12], v[13:14], off
	global_load_b128 v[13:16], v[13:14], off offset:16
	;; [unrolled: 2-line block ×5, first 2 shown]
	s_mov_b32 s38, s36
	s_mov_b32 s39, s36
	;; [unrolled: 1-line block ×5, first 2 shown]
	v_mov_b32_e32 v123, s11
	v_mov_b32_e32 v131, s43
	v_dual_mov_b32 v121, s9 :: v_dual_mov_b32 v126, s38
	v_dual_mov_b32 v119, s7 :: v_dual_mov_b32 v124, s36
	v_dual_mov_b32 v116, s4 :: v_dual_add_nc_u32 v65, s12, v65
	v_dual_mov_b32 v130, s42 :: v_dual_mov_b32 v129, s41
	v_dual_mov_b32 v128, s40 :: v_dual_mov_b32 v127, s39
	;; [unrolled: 1-line block ×3, first 2 shown]
	v_mov_b32_e32 v120, s8
	v_dual_mov_b32 v118, s6 :: v_dual_mov_b32 v117, s5
	v_or_b32_e32 v65, v65, v75
	s_waitcnt vmcnt(0)
	s_barrier
	buffer_gl0_inv
	v_or_b32_e32 v69, 4, v65
	v_or_b32_e32 v70, 6, v65
	;; [unrolled: 1-line block ×8, first 2 shown]
	v_cmp_gt_i32_e64 s3, s33, v69
	v_cmp_gt_i32_e64 s4, s33, v70
	;; [unrolled: 1-line block ×8, first 2 shown]
	v_wmma_f32_16x16x16_f16 v[132:139], v[76:83], v[108:115], v[124:131]
	v_wmma_f32_16x16x16_f16 v[124:131], v[84:91], v[108:115], v[124:131]
	v_or_b32_e32 v76, 20, v65
	v_or_b32_e32 v77, 22, v65
	s_delay_alu instid0(VALU_DEP_4)
	v_wmma_f32_16x16x16_f16 v[132:139], v[92:99], v[116:123], v[132:139]
	v_or_b32_e32 v78, 24, v65
	v_or_b32_e32 v79, 26, v65
	;; [unrolled: 1-line block ×4, first 2 shown]
	v_mul_f32_e32 v82, s24, v139
	v_wmma_f32_16x16x16_f16 v[124:131], v[100:107], v[116:123], v[124:131]
	v_cndmask_b32_e32 v67, v67, v68, vcc_lo
	v_or_b32_e32 v68, 2, v65
	v_dual_mul_f32 v88, s24, v133 :: v_dual_mul_f32 v89, s24, v132
	v_cmp_gt_i32_e32 vcc_lo, s33, v65
	v_mul_f32_e32 v86, s24, v135
	s_delay_alu instid0(VALU_DEP_4) | instskip(SKIP_3) | instid1(VALU_DEP_4)
	v_cmp_gt_i32_e64 s2, s33, v68
	v_dual_mul_f32 v92, s24, v129 :: v_dual_mul_f32 v87, s24, v134
	v_cndmask_b32_e32 v65, 0xff7fffff, v89, vcc_lo
	v_mul_f32_e32 v84, s24, v137
	v_cndmask_b32_e64 v68, 0xff7fffff, v88, s2
	v_dual_mul_f32 v85, s24, v136 :: v_dual_mul_f32 v96, s24, v125
	v_cndmask_b32_e64 v69, 0xff7fffff, v87, s3
	v_cndmask_b32_e64 v70, 0xff7fffff, v86, s4
	s_delay_alu instid0(VALU_DEP_4) | instskip(SKIP_3) | instid1(VALU_DEP_4)
	v_max3_f32 v65, v65, 0xff7fffff, v68
	v_dual_mul_f32 v83, s24, v138 :: v_dual_mul_f32 v94, s24, v127
	v_cndmask_b32_e64 v68, 0xff7fffff, v85, s5
	v_cndmask_b32_e64 v71, 0xff7fffff, v84, s6
	v_max3_f32 v65, v65, v69, v70
	v_mul_f32_e32 v97, s24, v124
	v_cndmask_b32_e64 v69, 0xff7fffff, v83, s7
	v_cndmask_b32_e64 v70, 0xff7fffff, v82, s8
	v_mul_f32_e32 v95, s24, v126
	v_max3_f32 v65, v65, v68, v71
	v_cndmask_b32_e64 v68, 0xff7fffff, v97, s9
	v_cndmask_b32_e64 v71, 0xff7fffff, v96, s10
	v_cmp_gt_i32_e64 s11, s33, v76
	v_cmp_gt_i32_e64 s12, s33, v77
	v_max3_f32 v65, v65, v69, v70
	v_mul_f32_e32 v93, s24, v128
	v_cmp_gt_i32_e64 s13, s33, v78
	v_cndmask_b32_e64 v69, 0xff7fffff, v95, s11
	v_cndmask_b32_e64 v70, 0xff7fffff, v94, s12
	v_max3_f32 v65, v65, v68, v71
	v_cmp_gt_i32_e64 s16, s33, v79
	v_dual_mul_f32 v90, s24, v131 :: v_dual_mul_f32 v91, s24, v130
	v_cndmask_b32_e64 v68, 0xff7fffff, v93, s13
	s_delay_alu instid0(VALU_DEP_4) | instskip(NEXT) | instid1(VALU_DEP_4)
	v_max3_f32 v65, v65, v69, v70
	v_cndmask_b32_e64 v71, 0xff7fffff, v92, s16
	v_cmp_gt_i32_e64 s17, s33, v80
	v_cmp_gt_i32_e64 s18, s33, v81
	s_delay_alu instid0(VALU_DEP_3) | instskip(NEXT) | instid1(VALU_DEP_3)
	v_max3_f32 v65, v65, v68, v71
	v_cndmask_b32_e64 v69, 0xff7fffff, v91, s17
	s_delay_alu instid0(VALU_DEP_3) | instskip(SKIP_1) | instid1(VALU_DEP_2)
	v_cndmask_b32_e64 v70, 0xff7fffff, v90, s18
	v_lshlrev_b32_e32 v68, 2, v67
	v_max3_f32 v65, v65, v69, v70
	ds_bpermute_b32 v67, v68, v65
	s_waitcnt lgkmcnt(0)
	v_max_f32_e32 v67, v67, v67
	s_delay_alu instid0(VALU_DEP_1) | instskip(NEXT) | instid1(VALU_DEP_1)
	v_max_f32_e32 v65, v65, v67
	v_fma_f32 v71, s24, v135, -v65
	v_fma_f32 v67, s24, v132, -v65
	;; [unrolled: 1-line block ×5, first 2 shown]
	v_mul_f32_e32 v71, 0x3fb8aa3b, v71
	s_delay_alu instid0(VALU_DEP_3) | instskip(NEXT) | instid1(VALU_DEP_3)
	v_dual_mul_f32 v67, 0x3fb8aa3b, v67 :: v_dual_mul_f32 v70, 0x3fb8aa3b, v70
	v_mul_f32_e32 v72, 0x3fb8aa3b, v72
	s_delay_alu instid0(VALU_DEP_3) | instskip(NEXT) | instid1(VALU_DEP_2)
	v_exp_f32_e32 v71, v71
	v_exp_f32_e32 v67, v67
	s_delay_alu instid0(VALU_DEP_2) | instskip(NEXT) | instid1(VALU_DEP_1)
	v_exp_f32_e32 v76, v70
	v_exp_f32_e32 v79, v72
	v_cndmask_b32_e64 v71, 0, v71, s4
	s_delay_alu instid0(TRANS32_DEP_3)
	v_dual_mul_f32 v69, 0x3fb8aa3b, v69 :: v_dual_cndmask_b32 v70, 0, v67
	v_fma_f32 v67, s24, v137, -v65
	s_waitcnt_depctr 0xfff
	v_cndmask_b32_e64 v72, 0, v76, s3
	v_cndmask_b32_e64 v84, 0, v79, s5
	v_exp_f32_e32 v69, v69
	v_add_f32_e32 v77, 0, v70
	v_mul_f32_e32 v67, 0x3fb8aa3b, v67
	s_mov_b32 s3, exec_lo
	s_delay_alu instid0(VALU_DEP_1) | instskip(SKIP_2) | instid1(VALU_DEP_1)
	v_exp_f32_e32 v67, v67
	s_waitcnt_depctr 0xfff
	v_cndmask_b32_e64 v69, 0, v69, s2
	v_add_f32_e32 v76, v77, v69
	v_cndmask_b32_e64 v83, 0, v67, s6
	s_delay_alu instid0(VALU_DEP_2) | instskip(NEXT) | instid1(VALU_DEP_1)
	v_add_f32_e32 v76, v76, v72
	v_add_f32_e32 v76, v76, v71
	s_delay_alu instid0(VALU_DEP_1) | instskip(SKIP_1) | instid1(VALU_DEP_1)
	v_add_f32_e32 v67, v76, v84
	v_fma_f32 v76, s24, v126, -v65
	v_dual_add_f32 v67, v67, v83 :: v_dual_mul_f32 v76, 0x3fb8aa3b, v76
	v_fma_f32 v78, s24, v138, -v65
	v_fma_f32 v77, s24, v139, -v65
	;; [unrolled: 1-line block ×4, first 2 shown]
	v_exp_f32_e32 v76, v76
	s_delay_alu instid0(VALU_DEP_3) | instskip(NEXT) | instid1(VALU_DEP_2)
	v_dual_mul_f32 v78, 0x3fb8aa3b, v78 :: v_dual_mul_f32 v77, 0x3fb8aa3b, v77
	v_dual_mul_f32 v80, 0x3fb8aa3b, v80 :: v_dual_mul_f32 v79, 0x3fb8aa3b, v79
	s_delay_alu instid0(VALU_DEP_2) | instskip(NEXT) | instid1(VALU_DEP_2)
	v_exp_f32_e32 v78, v78
	v_exp_f32_e32 v77, v77
	s_delay_alu instid0(VALU_DEP_1) | instskip(NEXT) | instid1(VALU_DEP_1)
	v_exp_f32_e32 v80, v80
	v_exp_f32_e32 v79, v79
	v_cndmask_b32_e64 v90, 0, v76, s11
	v_cndmask_b32_e64 v86, 0, v78, s7
	v_fma_f32 v78, s24, v127, -v65
	s_delay_alu instid0(TRANS32_DEP_3) | instskip(SKIP_1) | instid1(TRANS32_DEP_2)
	v_cndmask_b32_e64 v85, 0, v77, s8
	v_fma_f32 v77, s24, v128, -v65
	v_cndmask_b32_e64 v88, 0, v80, s9
	v_add_f32_e32 v67, v67, v86
	v_mul_f32_e32 v78, 0x3fb8aa3b, v78
	v_fma_f32 v80, s24, v129, -v65
	v_mul_f32_e32 v77, 0x3fb8aa3b, v77
	v_cndmask_b32_e64 v87, 0, v79, s10
	v_add_f32_e32 v67, v67, v85
	v_exp_f32_e32 v78, v78
	v_fma_f32 v79, s24, v130, -v65
	v_mul_f32_e32 v80, 0x3fb8aa3b, v80
	v_exp_f32_e32 v77, v77
	s_delay_alu instid0(VALU_DEP_2) | instskip(NEXT) | instid1(VALU_DEP_2)
	v_dual_add_f32 v67, v67, v88 :: v_dual_mul_f32 v76, 0x3fb8aa3b, v79
	v_exp_f32_e32 v79, v80
	s_delay_alu instid0(VALU_DEP_1) | instskip(NEXT) | instid1(TRANS32_DEP_3)
	v_add_f32_e32 v67, v67, v87
	v_cndmask_b32_e64 v89, 0, v78, s12
	v_fma_f32 v78, s24, v131, -v65
	v_exp_f32_e32 v76, v76
	s_delay_alu instid0(TRANS32_DEP_3) | instskip(SKIP_1) | instid1(VALU_DEP_3)
	v_cndmask_b32_e64 v92, 0, v77, s13
	v_add_f32_e32 v67, v67, v90
	v_mul_f32_e32 v77, 0x3fb8aa3b, v78
	s_delay_alu instid0(TRANS32_DEP_2) | instskip(NEXT) | instid1(VALU_DEP_3)
	v_cndmask_b32_e64 v91, 0, v79, s16
	v_add_f32_e32 v67, v67, v89
	s_delay_alu instid0(VALU_DEP_3) | instskip(NEXT) | instid1(TRANS32_DEP_2)
	v_exp_f32_e32 v77, v77
	v_cndmask_b32_e64 v94, 0, v76, s17
	v_and_b32_e32 v76, 31, v0
	s_delay_alu instid0(VALU_DEP_3) | instskip(NEXT) | instid1(VALU_DEP_2)
	v_add_f32_e32 v67, v67, v92
	v_cmp_lt_u32_e64 s2, 15, v76
	s_delay_alu instid0(VALU_DEP_2) | instskip(SKIP_3) | instid1(VALU_DEP_1)
	v_add_f32_e32 v67, v67, v91
	s_waitcnt_depctr 0xfff
	v_cndmask_b32_e64 v93, 0, v77, s18
	v_add_f32_e32 v67, v67, v94
	v_add_f32_e32 v67, v67, v93
	ds_bpermute_b32 v68, v68, v67
	v_cmpx_gt_u32_e32 16, v76
	s_cbranch_execz .LBB1150_11
; %bb.10:
	v_mul_u32_u24_e32 v76, 0x44, v66
	s_waitcnt lgkmcnt(0)
	v_add_f32_e32 v67, v67, v68
	s_delay_alu instid0(VALU_DEP_2) | instskip(NEXT) | instid1(VALU_DEP_1)
	v_lshl_add_u32 v76, v73, 2, v76
	v_add_nc_u32_e32 v68, 0x4000, v76
	ds_store_2addr_b32 v68, v65, v67 offset1:136
.LBB1150_11:
	s_or_b32 exec_lo, exec_lo, s3
	v_lshlrev_b32_e32 v65, 2, v73
	s_load_b64 s[36:37], s[0:1], 0x94
	s_waitcnt lgkmcnt(0)
	s_barrier
	buffer_gl0_inv
	v_add_nc_u32_e32 v65, 0x4000, v65
	v_cmp_eq_u32_e32 vcc_lo, 1, v66
	v_cmp_eq_u32_e64 s3, 2, v66
	v_cmp_eq_u32_e64 s5, 3, v66
	v_cmp_eq_u32_e64 s6, 4, v66
	ds_load_2addr_b32 v[76:77], v65 offset1:17
	ds_load_2addr_b32 v[78:79], v65 offset0:34 offset1:51
	ds_load_2addr_b32 v[80:81], v65 offset0:68 offset1:85
	;; [unrolled: 1-line block ×3, first 2 shown]
	v_cmp_eq_u32_e64 s7, 5, v66
	v_cmp_eq_u32_e64 s4, 6, v66
	s_waitcnt lgkmcnt(3)
	v_max3_f32 v67, v76, 0xff7fffff, v77
	s_waitcnt lgkmcnt(2)
	s_delay_alu instid0(VALU_DEP_1) | instskip(SKIP_1) | instid1(VALU_DEP_1)
	v_max3_f32 v67, v67, v78, v79
	s_waitcnt lgkmcnt(1)
	v_max3_f32 v67, v67, v80, v81
	s_waitcnt lgkmcnt(0)
	s_delay_alu instid0(VALU_DEP_1) | instskip(NEXT) | instid1(VALU_DEP_1)
	v_max3_f32 v67, v67, v95, v96
	v_sub_f32_e32 v82, v77, v67
	ds_load_2addr_b32 v[97:98], v65 offset0:136 offset1:153
	v_sub_f32_e32 v68, v76, v67
	ds_load_2addr_b32 v[76:77], v65 offset0:170 offset1:187
	v_sub_f32_e32 v80, v80, v67
	v_mul_f32_e32 v82, 0x3fb8aa3b, v82
	v_mul_f32_e32 v68, 0x3fb8aa3b, v68
	s_delay_alu instid0(VALU_DEP_3) | instskip(NEXT) | instid1(VALU_DEP_2)
	v_mul_f32_e32 v102, 0x3fb8aa3b, v80
	v_exp_f32_e32 v99, v68
	v_sub_f32_e32 v68, v79, v67
	s_delay_alu instid0(VALU_DEP_1) | instskip(NEXT) | instid1(VALU_DEP_1)
	v_dual_sub_f32 v78, v78, v67 :: v_dual_mul_f32 v101, 0x3fb8aa3b, v68
	v_mul_f32_e32 v100, 0x3fb8aa3b, v78
	ds_load_2addr_b32 v[78:79], v65 offset0:204 offset1:221
	s_waitcnt lgkmcnt(2)
	v_fma_f32 v68, v99, v97, 0
	v_sub_f32_e32 v97, v81, v67
	ds_load_2addr_b32 v[80:81], v65 offset0:238 offset1:255
	v_sub_f32_e32 v65, v95, v67
	v_exp_f32_e32 v82, v82
	v_exp_f32_e32 v101, v101
	v_mul_f32_e32 v95, 0x3fb8aa3b, v97
	v_exp_f32_e32 v97, v102
	v_mul_f32_e32 v65, 0x3fb8aa3b, v65
	v_exp_f32_e32 v100, v100
	s_waitcnt lgkmcnt(0)
	v_exp_f32_e32 v95, v95
	s_barrier
	buffer_gl0_inv
	v_fmac_f32_e32 v68, v82, v98
	s_delay_alu instid0(VALU_DEP_1) | instskip(SKIP_2) | instid1(VALU_DEP_2)
	v_fmac_f32_e32 v68, v100, v76
	v_sub_f32_e32 v76, v96, v67
	v_exp_f32_e32 v96, v65
	v_fmac_f32_e32 v68, v101, v77
	s_delay_alu instid0(VALU_DEP_2) | instskip(NEXT) | instid1(VALU_DEP_2)
	v_mul_f32_e32 v76, 0x3fb8aa3b, v76
	v_fmac_f32_e32 v68, v97, v78
	s_delay_alu instid0(VALU_DEP_2) | instskip(SKIP_1) | instid1(VALU_DEP_2)
	v_exp_f32_e32 v98, v76
	v_cndmask_b32_e32 v76, v99, v82, vcc_lo
	v_fmac_f32_e32 v68, v95, v79
	s_delay_alu instid0(TRANS32_DEP_2) | instid1(VALU_DEP_1)
	v_fmac_f32_e32 v68, v96, v80
	v_lshlrev_b32_e32 v80, 6, v73
	s_waitcnt_depctr 0xfff
	v_fmac_f32_e32 v68, v98, v81
	v_lshl_or_b32 v82, v66, 11, v80
	s_delay_alu instid0(VALU_DEP_2) | instskip(NEXT) | instid1(VALU_DEP_1)
	v_add_f32_e32 v81, 0x358637bd, v68
	v_div_scale_f32 v102, null, v81, v81, 1.0
	v_div_scale_f32 v99, vcc_lo, 1.0, v81, 1.0
	s_delay_alu instid0(VALU_DEP_2) | instskip(SKIP_2) | instid1(VALU_DEP_1)
	v_rcp_f32_e32 v103, v102
	s_waitcnt_depctr 0xfff
	v_fma_f32 v65, -v102, v103, 1.0
	v_fmac_f32_e32 v103, v65, v103
	v_cndmask_b32_e64 v65, v76, v100, s3
	v_cmp_eq_u32_e64 s3, 7, v66
	v_lshlrev_b32_e32 v76, 2, v75
	s_delay_alu instid0(VALU_DEP_4) | instskip(NEXT) | instid1(VALU_DEP_4)
	v_mul_f32_e32 v100, v99, v103
	v_cndmask_b32_e64 v77, v65, v101, s5
	v_mov_b32_e32 v65, 0
	s_delay_alu instid0(VALU_DEP_4)
	v_or_b32_e32 v79, 1, v76
	v_cmp_eq_u32_e64 s5, 1, v76
	v_fma_f32 v78, -v102, v100, v99
	v_cndmask_b32_e64 v97, v77, v97, s6
	v_or_b32_e32 v77, 2, v76
	v_cmp_eq_u32_e64 s9, 1, v79
	v_cmp_eq_u32_e64 s6, 2, v76
	v_fmac_f32_e32 v100, v78, v103
	v_cndmask_b32_e64 v66, v97, v95, s7
	v_or_b32_e32 v78, 3, v76
	v_cmp_eq_u32_e64 s10, 1, v77
	v_cmp_eq_u32_e64 s12, 2, v79
	v_fma_f32 v95, -v102, v100, v99
	v_cndmask_b32_e64 v66, v66, v96, s4
	v_cmp_eq_u32_e64 s11, 1, v78
	v_cmp_eq_u32_e64 s17, 2, v78
	;; [unrolled: 1-line block ×3, first 2 shown]
	v_div_fmas_f32 v95, v95, v103, v100
	v_cndmask_b32_e64 v66, v66, v98, s3
	v_cmp_eq_u32_e32 vcc_lo, 3, v76
	v_cmp_eq_u32_e64 s16, 2, v77
	v_cmp_eq_u32_e64 s19, 3, v78
	v_div_fixup_f32 v95, v95, v81, 1.0
	v_lshl_or_b32 v81, v75, 4, v82
	v_cmp_eq_u32_e64 s4, 4, v76
	v_cmp_eq_u32_e64 s18, 3, v77
	;; [unrolled: 1-line block ×3, first 2 shown]
	v_mul_f32_e32 v66, v66, v95
	v_cmp_eq_u32_e64 s23, 4, v78
	v_cmp_eq_u32_e64 s7, 5, v76
	;; [unrolled: 1-line block ×4, first 2 shown]
	v_fma_mixlo_f16 v95, v66, v70, 0
	v_fma_mixlo_f16 v96, v66, v72, 0
	;; [unrolled: 1-line block ×8, first 2 shown]
	v_fma_mixhi_f16 v95, v66, v69, 0
	v_fma_mixhi_f16 v96, v66, v71, 0
	v_fma_mixhi_f16 v97, v66, v83, 0
	v_fma_mixhi_f16 v98, v66, v85, 0
	v_fma_mixhi_f16 v99, v66, v87, 0
	v_fma_mixhi_f16 v100, v66, v89, 0
	v_fma_mixhi_f16 v101, v66, v91, 0
	v_fma_mixhi_f16 v102, v66, v93, 0
	ds_store_b128 v81, v[95:98]
	ds_store_b128 v81, v[99:102] offset:1024
	s_waitcnt lgkmcnt(0)
	s_barrier
	buffer_gl0_inv
	ds_load_b128 v[69:72], v82
	ds_load_b128 v[83:86], v82 offset:16
	ds_load_b128 v[87:90], v82 offset:1024
	;; [unrolled: 1-line block ×3, first 2 shown]
	v_cmp_eq_u32_e64 s25, 5, v78
	v_cmp_eq_u32_e64 s3, 6, v76
	;; [unrolled: 1-line block ×10, first 2 shown]
	s_waitcnt lgkmcnt(3)
	v_lshrrev_b32_e32 v66, 16, v69
	s_waitcnt lgkmcnt(2)
	v_lshrrev_b32_e32 v98, 16, v83
	;; [unrolled: 2-line block ×4, first 2 shown]
	v_lshrrev_b32_e32 v95, 16, v70
	v_cndmask_b32_e64 v110, v69, v66, s5
	v_cndmask_b32_e64 v111, v83, v98, s5
	;; [unrolled: 1-line block ×7, first 2 shown]
	v_lshrrev_b32_e32 v99, 16, v84
	v_cndmask_b32_e64 v115, v83, v98, s10
	v_cndmask_b32_e64 v83, v87, v102, s5
	;; [unrolled: 1-line block ×15, first 2 shown]
	v_lshrrev_b32_e32 v103, 16, v88
	v_lshrrev_b32_e32 v107, 16, v92
	v_cndmask_b32_e64 v112, v114, v70, s16
	v_cndmask_b32_e64 v113, v115, v84, s16
	;; [unrolled: 1-line block ×7, first 2 shown]
	v_cndmask_b32_e32 v88, v102, v95, vcc_lo
	v_cndmask_b32_e32 v102, v106, v99, vcc_lo
	v_cndmask_b32_e64 v106, v110, v95, s13
	v_cndmask_b32_e64 v110, v111, v99, s13
	;; [unrolled: 1-line block ×4, first 2 shown]
	v_lshrrev_b32_e32 v96, 16, v71
	v_lshrrev_b32_e32 v100, 16, v85
	v_cndmask_b32_e64 v111, v112, v95, s18
	v_cndmask_b32_e64 v112, v113, v99, s18
	v_cndmask_b32_e32 v70, v70, v103, vcc_lo
	v_cndmask_b32_e32 v83, v83, v107, vcc_lo
	v_cndmask_b32_e64 v84, v84, v103, s13
	v_cndmask_b32_e64 v88, v88, v71, s4
	;; [unrolled: 1-line block ×7, first 2 shown]
	v_lshrrev_b32_e32 v104, 16, v89
	v_lshrrev_b32_e32 v108, 16, v93
	v_cndmask_b32_e64 v106, v111, v71, s22
	v_cndmask_b32_e64 v110, v112, v85, s22
	;; [unrolled: 1-line block ×11, first 2 shown]
	v_lshrrev_b32_e32 v97, 16, v72
	v_lshrrev_b32_e32 v101, 16, v86
	v_cndmask_b32_e64 v99, v106, v96, s24
	v_cndmask_b32_e64 v102, v110, v100, s24
	v_cndmask_b32_e64 v70, v70, v104, s7
	v_cndmask_b32_e64 v71, v71, v108, s7
	v_cndmask_b32_e64 v83, v83, v104, s21
	v_cndmask_b32_e64 v84, v84, v72, s3
	v_cndmask_b32_e64 v85, v85, v86, s3
	v_cndmask_b32_e64 v88, v88, v72, s26
	v_cndmask_b32_e64 v95, v95, v86, s26
	v_cndmask_b32_e64 v66, v66, v72, s28
	v_cndmask_b32_e64 v69, v69, v86, s28
	v_lshrrev_b32_e32 v105, 16, v90
	v_cndmask_b32_e64 v96, v99, v72, s27
	v_cndmask_b32_e64 v99, v102, v86, s27
	v_cndmask_b32_e64 v70, v70, v90, s3
	v_cndmask_b32_e64 v86, v71, v94, s3
	v_cndmask_b32_e64 v71, v83, v90, s26
	v_cndmask_b32_e64 v83, v84, v97, s8
	v_cndmask_b32_e64 v84, v85, v101, s8
	v_cndmask_b32_e64 v85, v88, v97, s31
	v_cndmask_b32_e64 v66, v66, v97, s30
	v_cndmask_b32_e64 v69, v69, v101, s30
	v_cndmask_b32_e64 v95, v95, v101, s31
	v_cndmask_b32_e64 v88, v96, v97, s29
	v_cndmask_b32_e64 v96, v99, v101, s29
	v_cndmask_b32_e64 v97, v70, v105, s8
	v_perm_b32 v72, v69, v66, 0x5040100
	v_perm_b32 v70, v95, v85, 0x5040100
	v_cndmask_b32_e64 v66, v91, v92, s17
	v_cndmask_b32_e64 v69, v119, v92, s16
	;; [unrolled: 1-line block ×4, first 2 shown]
	v_perm_b32 v71, v96, v88, 0x5040100
	v_cndmask_b32_e64 v88, v98, v103, s18
	v_cndmask_b32_e64 v87, v87, v103, s19
	;; [unrolled: 1-line block ×15, first 2 shown]
	v_lshrrev_b32_e32 v109, 16, v94
	v_cndmask_b32_e64 v88, v88, v90, s27
	v_cndmask_b32_e64 v87, v87, v90, s28
	;; [unrolled: 1-line block ×11, first 2 shown]
	v_perm_b32 v69, v84, v83, 0x5040100
	v_perm_b32 v86, v66, v87, 0x5040100
	;; [unrolled: 1-line block ×5, first 2 shown]
	s_mov_b32 s3, exec_lo
	ds_store_b128 v81, v[69:72]
	ds_store_b128 v81, v[83:86] offset:1024
	v_cmpx_eq_u32_e32 0, v0
	s_cbranch_execz .LBB1150_13
; %bb.12:
	s_load_b128 s[4:7], s[0:1], 0x58
	s_mul_i32 s8, s37, s34
	s_delay_alu instid0(SALU_CYCLE_1) | instskip(NEXT) | instid1(SALU_CYCLE_1)
	s_add_i32 s8, s8, s15
	s_mul_i32 s8, s8, s36
	s_delay_alu instid0(SALU_CYCLE_1) | instskip(NEXT) | instid1(SALU_CYCLE_1)
	s_add_i32 s8, s8, s14
	s_ashr_i32 s9, s8, 31
	s_delay_alu instid0(SALU_CYCLE_1)
	s_lshl_b64 s[8:9], s[8:9], 2
	s_waitcnt lgkmcnt(0)
	s_add_u32 s6, s6, s8
	s_addc_u32 s7, s7, s9
	s_add_u32 s4, s4, s8
	s_addc_u32 s5, s5, s9
	s_clause 0x1
	global_store_b32 v65, v67, s[6:7]
	global_store_b32 v65, v68, s[4:5]
.LBB1150_13:
	s_or_b32 exec_lo, exec_lo, s3
	s_waitcnt lgkmcnt(0)
	s_waitcnt_vscnt null, 0x0
	s_barrier
	buffer_gl0_inv
	ds_load_b128 v[83:86], v80
	ds_load_b128 v[87:90], v80 offset:16
	ds_load_b128 v[95:98], v80 offset:2064
	;; [unrolled: 1-line block ×5, first 2 shown]
	v_mov_b32_e32 v66, v65
	v_mov_b32_e32 v67, v65
	;; [unrolled: 1-line block ×7, first 2 shown]
	ds_load_b128 v[111:114], v80 offset:6160
	ds_load_b128 v[107:110], v80 offset:6144
	;; [unrolled: 1-line block ×4, first 2 shown]
	v_cmp_eq_u32_e32 vcc_lo, 1, v76
	v_cmp_eq_u32_e64 s3, 1, v79
	v_cmp_eq_u32_e64 s4, 1, v78
	;; [unrolled: 1-line block ×5, first 2 shown]
	s_waitcnt lgkmcnt(8)
	v_wmma_f32_16x16x16_f16 v[65:72], v[49:56], v[83:90], v[65:72]
	ds_load_b128 v[53:56], v80 offset:10256
	ds_load_b128 v[49:52], v80 offset:10240
	s_waitcnt lgkmcnt(8)
	v_wmma_f32_16x16x16_f16 v[65:72], v[41:48], v[91:98], v[65:72]
	ds_load_b128 v[45:48], v80 offset:12304
	ds_load_b128 v[41:44], v80 offset:12288
	;; [unrolled: 4-line block ×3, first 2 shown]
	s_waitcnt lgkmcnt(0)
	s_barrier
	buffer_gl0_inv
	v_wmma_f32_16x16x16_f16 v[65:72], v[1:8], v[107:114], v[65:72]
	s_delay_alu instid0(VALU_DEP_1) | instskip(NEXT) | instid1(VALU_DEP_1)
	v_wmma_f32_16x16x16_f16 v[65:72], v[9:16], v[115:122], v[65:72]
	v_wmma_f32_16x16x16_f16 v[65:72], v[17:24], v[49:56], v[65:72]
	s_delay_alu instid0(VALU_DEP_1) | instskip(NEXT) | instid1(VALU_DEP_1)
	v_wmma_f32_16x16x16_f16 v[65:72], v[25:32], v[41:48], v[65:72]
	v_wmma_f32_16x16x16_f16 v[65:72], v[57:64], v[33:40], v[65:72]
	s_delay_alu instid0(VALU_DEP_1) | instskip(NEXT) | instid1(VALU_DEP_2)
	v_cvt_f16_f32_e32 v1, v65
	v_cvt_f16_f32_e32 v2, v66
	s_delay_alu instid0(VALU_DEP_3) | instskip(NEXT) | instid1(VALU_DEP_4)
	v_cvt_f16_f32_e32 v3, v67
	v_cvt_f16_f32_e32 v4, v68
	;; [unrolled: 1-line block ×6, first 2 shown]
	v_pack_b32_f16 v1, v1, v2
	v_pack_b32_f16 v2, v3, v4
	;; [unrolled: 1-line block ×3, first 2 shown]
	s_delay_alu instid0(VALU_DEP_4)
	v_pack_b32_f16 v4, v7, v8
	ds_store_b128 v81, v[1:4]
	s_waitcnt lgkmcnt(0)
	s_barrier
	buffer_gl0_inv
	ds_load_b128 v[1:4], v82
	ds_load_b128 v[5:8], v82 offset:16
	s_waitcnt lgkmcnt(1)
	v_lshrrev_b32_e32 v9, 16, v1
	s_waitcnt lgkmcnt(0)
	v_lshrrev_b32_e32 v13, 16, v5
	v_lshrrev_b32_e32 v16, 16, v8
	;; [unrolled: 1-line block ×4, first 2 shown]
	v_cndmask_b32_e32 v17, v1, v9, vcc_lo
	v_cndmask_b32_e32 v18, v5, v13, vcc_lo
	v_cmp_eq_u32_e32 vcc_lo, 1, v77
	v_cndmask_b32_e64 v19, v1, v9, s3
	v_cndmask_b32_e64 v20, v5, v13, s3
	v_cmp_eq_u32_e64 s3, 2, v77
	v_lshrrev_b32_e32 v11, 16, v3
	v_cndmask_b32_e32 v21, v1, v9, vcc_lo
	v_cndmask_b32_e32 v22, v5, v13, vcc_lo
	v_cndmask_b32_e64 v1, v1, v9, s4
	v_cmp_eq_u32_e32 vcc_lo, 2, v78
	v_cndmask_b32_e64 v5, v5, v13, s4
	v_cmp_eq_u32_e64 s4, 2, v79
	v_cndmask_b32_e64 v9, v17, v2, s5
	v_cndmask_b32_e64 v13, v18, v6, s5
	v_cmp_eq_u32_e64 s5, 3, v79
	v_cndmask_b32_e32 v1, v1, v2, vcc_lo
	v_cndmask_b32_e64 v17, v19, v2, s4
	v_cndmask_b32_e64 v18, v20, v6, s4
	;; [unrolled: 1-line block ×4, first 2 shown]
	v_cndmask_b32_e32 v2, v5, v6, vcc_lo
	v_cmp_eq_u32_e32 vcc_lo, 3, v77
	v_cmp_eq_u32_e64 s4, 3, v78
	v_cndmask_b32_e64 v5, v9, v10, s6
	v_cndmask_b32_e64 v6, v13, v14, s6
	;; [unrolled: 1-line block ×4, first 2 shown]
	v_cndmask_b32_e32 v17, v19, v10, vcc_lo
	v_cmp_eq_u32_e64 s3, 4, v77
	v_cndmask_b32_e32 v18, v20, v14, vcc_lo
	v_cndmask_b32_e64 v1, v1, v10, s4
	v_cmp_eq_u32_e32 vcc_lo, 4, v78
	v_cmp_eq_u32_e64 s5, 4, v76
	v_cndmask_b32_e64 v2, v2, v14, s4
	v_cmp_eq_u32_e64 s4, 4, v79
	v_lshrrev_b32_e32 v15, 16, v7
	v_cmp_eq_u32_e64 s6, 5, v76
	v_cndmask_b32_e64 v5, v5, v3, s5
	v_cndmask_b32_e64 v6, v6, v7, s5
	;; [unrolled: 1-line block ×6, first 2 shown]
	v_cmp_eq_u32_e64 s4, 5, v77
	v_cndmask_b32_e32 v1, v1, v3, vcc_lo
	v_cndmask_b32_e32 v2, v2, v7, vcc_lo
	v_cmp_eq_u32_e32 vcc_lo, 5, v78
	v_cmp_eq_u32_e64 s5, 5, v79
	v_cndmask_b32_e64 v5, v5, v11, s6
	v_cmp_eq_u32_e64 s3, 6, v76
	v_cndmask_b32_e64 v6, v6, v15, s6
	v_cndmask_b32_e64 v13, v13, v11, s4
	;; [unrolled: 1-line block ×3, first 2 shown]
	v_cndmask_b32_e32 v1, v1, v11, vcc_lo
	v_cmp_eq_u32_e64 s4, 6, v78
	v_cndmask_b32_e32 v2, v2, v15, vcc_lo
	v_cndmask_b32_e64 v9, v9, v11, s5
	v_cndmask_b32_e64 v10, v10, v15, s5
	v_cmp_eq_u32_e64 s5, 6, v79
	v_lshrrev_b32_e32 v12, 16, v4
	v_cndmask_b32_e64 v5, v5, v4, s3
	v_cndmask_b32_e64 v6, v6, v8, s3
	v_cmp_eq_u32_e64 s3, 7, v76
	v_cndmask_b32_e64 v1, v1, v4, s4
	v_cmp_eq_u32_e32 vcc_lo, 7, v78
	v_cndmask_b32_e64 v2, v2, v8, s4
	v_cndmask_b32_e64 v9, v9, v4, s5
	v_cmp_eq_u32_e64 s6, 7, v79
	v_cndmask_b32_e64 v7, v13, v4, s7
	v_cndmask_b32_e64 v3, v3, v8, s7
	v_cndmask_b32_e32 v2, v2, v16, vcc_lo
	v_cmp_eq_u32_e64 s4, 7, v77
	v_cndmask_b32_e64 v4, v10, v8, s5
	v_cndmask_b32_e64 v5, v5, v12, s3
	v_cndmask_b32_e32 v1, v1, v12, vcc_lo
	v_cndmask_b32_e64 v6, v6, v16, s3
	v_cmp_lt_u32_e32 vcc_lo, 31, v0
	v_cmp_lt_u32_e64 s3, 7, v73
	v_cndmask_b32_e64 v9, v9, v12, s6
	v_cndmask_b32_e64 v7, v7, v12, s4
	;; [unrolled: 1-line block ×4, first 2 shown]
	s_or_b32 s3, vcc_lo, s3
	v_perm_b32 v4, v2, v1, 0x5040100
	v_perm_b32 v1, v6, v5, 0x5040100
	;; [unrolled: 1-line block ×4, first 2 shown]
	s_or_b32 s2, s2, s3
	s_delay_alu instid0(SALU_CYCLE_1)
	s_xor_b32 s2, s2, -1
	ds_store_b128 v81, v[1:4]
	s_waitcnt lgkmcnt(0)
	s_barrier
	buffer_gl0_inv
	s_and_saveexec_b32 s3, s2
	s_cbranch_execz .LBB1150_2
; %bb.14:
	s_load_b64 s[0:1], s[0:1], 0x68
	v_lshlrev_b32_e32 v1, 10, v0
	v_and_b32_e32 v0, 1, v0
	v_lshlrev_b32_e32 v2, 6, v75
	s_lshl_b32 s4, s36, 6
	s_delay_alu instid0(VALU_DEP_3) | instskip(NEXT) | instid1(VALU_DEP_3)
	v_and_b32_e32 v1, 0x3800, v1
	v_lshlrev_b32_e32 v0, 4, v0
	s_mul_i32 s2, s4, s34
	s_delay_alu instid0(SALU_CYCLE_1) | instskip(NEXT) | instid1(VALU_DEP_1)
	s_mul_i32 s2, s2, s37
	v_or3_b32 v0, v1, v2, v0
	s_ashr_i32 s3, s2, 31
	s_delay_alu instid0(SALU_CYCLE_1)
	s_lshl_b64 s[2:3], s[2:3], 1
	ds_load_b128 v[0:3], v0
	s_waitcnt lgkmcnt(0)
	s_add_u32 s5, s0, s2
	s_addc_u32 s3, s1, s3
	s_lshl_b32 s0, s14, 6
	s_mul_i32 s2, s4, s15
	s_ashr_i32 s1, s0, 31
	s_delay_alu instid0(SALU_CYCLE_1) | instskip(NEXT) | instid1(SALU_CYCLE_1)
	s_lshl_b64 s[0:1], s[0:1], 1
	s_add_u32 s4, s5, s0
	s_addc_u32 s5, s3, s1
	s_ashr_i32 s3, s2, 31
	s_delay_alu instid0(SALU_CYCLE_1) | instskip(NEXT) | instid1(SALU_CYCLE_1)
	s_lshl_b64 s[0:1], s[2:3], 1
	s_add_u32 s0, s4, s0
	s_addc_u32 s1, s5, s1
	global_store_b128 v74, v[0:3], s[0:1]
	s_nop 0
	s_sendmsg sendmsg(MSG_DEALLOC_VGPRS)
	s_endpgm
	.section	.rodata,"a",@progbits
	.p2align	6, 0x0
	.amdhsa_kernel _Z39paged_attention_ll4mi_QKV_mfma16_kernelIDF16_hLN4vllm18Fp8KVCacheDataTypeE1EDF16_Li16ELi64ELi256ELb0ELi1EL8MFMAType0EEvPKT_PKT0_S8_ifPKiSA_SA_iPKfiiiPfSD_PS3_PT2_iSC_SC_
		.amdhsa_group_segment_fixed_size 17472
		.amdhsa_private_segment_fixed_size 0
		.amdhsa_kernarg_size 400
		.amdhsa_user_sgpr_count 13
		.amdhsa_user_sgpr_dispatch_ptr 0
		.amdhsa_user_sgpr_queue_ptr 0
		.amdhsa_user_sgpr_kernarg_segment_ptr 1
		.amdhsa_user_sgpr_dispatch_id 0
		.amdhsa_user_sgpr_private_segment_size 0
		.amdhsa_wavefront_size32 1
		.amdhsa_uses_dynamic_stack 0
		.amdhsa_enable_private_segment 0
		.amdhsa_system_sgpr_workgroup_id_x 1
		.amdhsa_system_sgpr_workgroup_id_y 1
		.amdhsa_system_sgpr_workgroup_id_z 1
		.amdhsa_system_sgpr_workgroup_info 0
		.amdhsa_system_vgpr_workitem_id 0
		.amdhsa_next_free_vgpr 144
		.amdhsa_next_free_sgpr 48
		.amdhsa_reserve_vcc 1
		.amdhsa_float_round_mode_32 0
		.amdhsa_float_round_mode_16_64 0
		.amdhsa_float_denorm_mode_32 3
		.amdhsa_float_denorm_mode_16_64 3
		.amdhsa_dx10_clamp 1
		.amdhsa_ieee_mode 1
		.amdhsa_fp16_overflow 0
		.amdhsa_workgroup_processor_mode 1
		.amdhsa_memory_ordered 1
		.amdhsa_forward_progress 0
		.amdhsa_shared_vgpr_count 0
		.amdhsa_exception_fp_ieee_invalid_op 0
		.amdhsa_exception_fp_denorm_src 0
		.amdhsa_exception_fp_ieee_div_zero 0
		.amdhsa_exception_fp_ieee_overflow 0
		.amdhsa_exception_fp_ieee_underflow 0
		.amdhsa_exception_fp_ieee_inexact 0
		.amdhsa_exception_int_div_zero 0
	.end_amdhsa_kernel
	.section	.text._Z39paged_attention_ll4mi_QKV_mfma16_kernelIDF16_hLN4vllm18Fp8KVCacheDataTypeE1EDF16_Li16ELi64ELi256ELb0ELi1EL8MFMAType0EEvPKT_PKT0_S8_ifPKiSA_SA_iPKfiiiPfSD_PS3_PT2_iSC_SC_,"axG",@progbits,_Z39paged_attention_ll4mi_QKV_mfma16_kernelIDF16_hLN4vllm18Fp8KVCacheDataTypeE1EDF16_Li16ELi64ELi256ELb0ELi1EL8MFMAType0EEvPKT_PKT0_S8_ifPKiSA_SA_iPKfiiiPfSD_PS3_PT2_iSC_SC_,comdat
.Lfunc_end1150:
	.size	_Z39paged_attention_ll4mi_QKV_mfma16_kernelIDF16_hLN4vllm18Fp8KVCacheDataTypeE1EDF16_Li16ELi64ELi256ELb0ELi1EL8MFMAType0EEvPKT_PKT0_S8_ifPKiSA_SA_iPKfiiiPfSD_PS3_PT2_iSC_SC_, .Lfunc_end1150-_Z39paged_attention_ll4mi_QKV_mfma16_kernelIDF16_hLN4vllm18Fp8KVCacheDataTypeE1EDF16_Li16ELi64ELi256ELb0ELi1EL8MFMAType0EEvPKT_PKT0_S8_ifPKiSA_SA_iPKfiiiPfSD_PS3_PT2_iSC_SC_
                                        ; -- End function
	.section	.AMDGPU.csdata,"",@progbits
; Kernel info:
; codeLenInByte = 6204
; NumSgprs: 50
; NumVgprs: 144
; ScratchSize: 0
; MemoryBound: 1
; FloatMode: 240
; IeeeMode: 1
; LDSByteSize: 17472 bytes/workgroup (compile time only)
; SGPRBlocks: 6
; VGPRBlocks: 17
; NumSGPRsForWavesPerEU: 50
; NumVGPRsForWavesPerEU: 144
; Occupancy: 10
; WaveLimiterHint : 1
; COMPUTE_PGM_RSRC2:SCRATCH_EN: 0
; COMPUTE_PGM_RSRC2:USER_SGPR: 13
; COMPUTE_PGM_RSRC2:TRAP_HANDLER: 0
; COMPUTE_PGM_RSRC2:TGID_X_EN: 1
; COMPUTE_PGM_RSRC2:TGID_Y_EN: 1
; COMPUTE_PGM_RSRC2:TGID_Z_EN: 1
; COMPUTE_PGM_RSRC2:TIDIG_COMP_CNT: 0
	.section	.text._Z39paged_attention_ll4mi_QKV_mfma16_kernelIDF16_hLN4vllm18Fp8KVCacheDataTypeE1EDF16_Li16ELi64ELi256ELb0ELi2EL8MFMAType0EEvPKT_PKT0_S8_ifPKiSA_SA_iPKfiiiPfSD_PS3_PT2_iSC_SC_,"axG",@progbits,_Z39paged_attention_ll4mi_QKV_mfma16_kernelIDF16_hLN4vllm18Fp8KVCacheDataTypeE1EDF16_Li16ELi64ELi256ELb0ELi2EL8MFMAType0EEvPKT_PKT0_S8_ifPKiSA_SA_iPKfiiiPfSD_PS3_PT2_iSC_SC_,comdat
	.protected	_Z39paged_attention_ll4mi_QKV_mfma16_kernelIDF16_hLN4vllm18Fp8KVCacheDataTypeE1EDF16_Li16ELi64ELi256ELb0ELi2EL8MFMAType0EEvPKT_PKT0_S8_ifPKiSA_SA_iPKfiiiPfSD_PS3_PT2_iSC_SC_ ; -- Begin function _Z39paged_attention_ll4mi_QKV_mfma16_kernelIDF16_hLN4vllm18Fp8KVCacheDataTypeE1EDF16_Li16ELi64ELi256ELb0ELi2EL8MFMAType0EEvPKT_PKT0_S8_ifPKiSA_SA_iPKfiiiPfSD_PS3_PT2_iSC_SC_
	.globl	_Z39paged_attention_ll4mi_QKV_mfma16_kernelIDF16_hLN4vllm18Fp8KVCacheDataTypeE1EDF16_Li16ELi64ELi256ELb0ELi2EL8MFMAType0EEvPKT_PKT0_S8_ifPKiSA_SA_iPKfiiiPfSD_PS3_PT2_iSC_SC_
	.p2align	8
	.type	_Z39paged_attention_ll4mi_QKV_mfma16_kernelIDF16_hLN4vllm18Fp8KVCacheDataTypeE1EDF16_Li16ELi64ELi256ELb0ELi2EL8MFMAType0EEvPKT_PKT0_S8_ifPKiSA_SA_iPKfiiiPfSD_PS3_PT2_iSC_SC_,@function
_Z39paged_attention_ll4mi_QKV_mfma16_kernelIDF16_hLN4vllm18Fp8KVCacheDataTypeE1EDF16_Li16ELi64ELi256ELb0ELi2EL8MFMAType0EEvPKT_PKT0_S8_ifPKiSA_SA_iPKfiiiPfSD_PS3_PT2_iSC_SC_: ; @_Z39paged_attention_ll4mi_QKV_mfma16_kernelIDF16_hLN4vllm18Fp8KVCacheDataTypeE1EDF16_Li16ELi64ELi256ELb0ELi2EL8MFMAType0EEvPKT_PKT0_S8_ifPKiSA_SA_iPKfiiiPfSD_PS3_PT2_iSC_SC_
; %bb.0:
	s_load_b64 s[2:3], s[0:1], 0x30
	s_mov_b32 s30, s13
	s_waitcnt lgkmcnt(0)
	s_cmp_lg_u64 s[2:3], 0
	s_cselect_b32 s6, -1, 0
	s_ashr_i32 s31, s13, 31
	s_cmp_eq_u64 s[2:3], 0
	s_cbranch_scc1 .LBB1151_3
; %bb.1:
	s_lshl_b64 s[4:5], s[30:31], 2
	s_delay_alu instid0(SALU_CYCLE_1) | instskip(SKIP_4) | instid1(SALU_CYCLE_1)
	s_add_u32 s4, s2, s4
	s_addc_u32 s5, s3, s5
	s_load_b64 s[4:5], s[4:5], 0x0
	s_waitcnt lgkmcnt(0)
	s_sub_i32 s4, s5, s4
	s_cmp_eq_u32 s4, 1
	s_cselect_b32 s4, -1, 0
	s_delay_alu instid0(SALU_CYCLE_1)
	s_and_not1_b32 vcc_lo, exec_lo, s4
	s_cbranch_vccz .LBB1151_4
.LBB1151_2:
	s_endpgm
.LBB1151_3:
.LBB1151_4:
	s_load_b64 s[8:9], s[0:1], 0x28
	s_lshl_b64 s[4:5], s[30:31], 2
	s_waitcnt lgkmcnt(0)
	s_add_u32 s8, s8, s4
	s_addc_u32 s9, s9, s5
	s_lshl_b32 s16, s14, 8
	s_load_b32 s17, s[8:9], 0x0
	s_waitcnt lgkmcnt(0)
	s_cmp_ge_i32 s16, s17
	s_cbranch_scc1 .LBB1151_2
; %bb.5:
	s_clause 0x1
	s_load_b128 s[8:11], s[0:1], 0x8
	s_load_b64 s[12:13], s[0:1], 0x20
	s_and_not1_b32 vcc_lo, exec_lo, s6
	s_cbranch_vccnz .LBB1151_7
; %bb.6:
	s_add_u32 s2, s2, s4
	s_addc_u32 s3, s3, s5
	s_load_b32 s3, s[2:3], 0x0
	s_branch .LBB1151_8
.LBB1151_7:
	s_mov_b32 s3, s30
.LBB1151_8:
	s_load_b128 s[4:7], s[0:1], 0x48
	v_and_b32_e32 v70, 15, v0
	v_bfe_u32 v69, v0, 4, 1
	s_lshl_b32 s33, s15, 1
	v_cmp_gt_u32_e32 vcc_lo, 32, v0
	v_and_b32_e32 v71, 31, v0
	v_lshlrev_b32_e32 v1, 3, v70
	v_cmp_gt_u32_e64 s2, 8, v70
	v_and_b32_e32 v68, 1, v0
	v_or_b32_e32 v67, s33, v69
	v_lshlrev_b32_e32 v66, 6, v69
	v_lshlrev_b32_e32 v65, 1, v1
	s_and_b32 s31, vcc_lo, s2
	s_delay_alu instid0(SALU_CYCLE_1)
	s_and_saveexec_b32 s2, s31
	s_cbranch_execz .LBB1151_10
; %bb.9:
	s_load_b64 s[18:19], s[0:1], 0x0
	v_lshlrev_b32_e32 v1, 6, v67
	s_waitcnt lgkmcnt(0)
	s_mul_hi_i32 s21, s3, s4
	s_mul_i32 s20, s3, s4
	v_lshlrev_b32_e32 v5, 10, v70
	s_lshl_b64 s[20:21], s[20:21], 1
	v_ashrrev_i32_e32 v2, 31, v1
	v_lshlrev_b32_e32 v6, 10, v68
	s_delay_alu instid0(VALU_DEP_3) | instskip(NEXT) | instid1(VALU_DEP_3)
	v_and_b32_e32 v5, 0x3800, v5
	v_lshlrev_b64 v[1:2], 1, v[1:2]
	s_delay_alu instid0(VALU_DEP_2) | instskip(SKIP_2) | instid1(VALU_DEP_2)
	v_or3_b32 v5, v5, v6, v66
	s_add_u32 s3, s18, s20
	s_addc_u32 s4, s19, s21
	v_add_co_u32 v1, vcc_lo, s3, v1
	s_delay_alu instid0(VALU_DEP_3) | instskip(NEXT) | instid1(VALU_DEP_2)
	v_add_co_ci_u32_e32 v2, vcc_lo, s4, v2, vcc_lo
	v_add_co_u32 v1, vcc_lo, v1, v65
	s_delay_alu instid0(VALU_DEP_2)
	v_add_co_ci_u32_e32 v2, vcc_lo, 0, v2, vcc_lo
	global_load_b128 v[1:4], v[1:2], off
	s_waitcnt vmcnt(0)
	ds_store_b128 v5, v[1:4]
.LBB1151_10:
	s_or_b32 exec_lo, exec_lo, s2
	v_and_b32_e32 v1, 0xef, v0
	s_add_i32 s2, s17, 15
	s_waitcnt lgkmcnt(0)
	s_clause 0x1
	s_load_b32 s3, s[0:1], 0x38
	s_load_b32 s34, s[0:1], 0x98
	s_ashr_i32 s4, s2, 31
	v_add_nc_u32_e32 v1, s16, v1
	s_lshr_b32 s4, s4, 28
	s_load_b32 s18, s[0:1], 0x1c
	s_add_i32 s2, s2, s4
	s_waitcnt lgkmcnt(0)
	v_ashrrev_i32_e32 v2, 31, v1
	v_or_b32_e32 v3, 16, v1
	s_ashr_i32 s2, s2, 4
	v_cmp_gt_i32_e32 vcc_lo, s17, v1
	s_add_i32 s2, s2, -1
	v_lshrrev_b32_e32 v2, 28, v2
	s_barrier
	buffer_gl0_inv
	s_mul_i32 s15, s15, s6
	v_lshrrev_b32_e32 v72, 5, v0
	v_add_nc_u32_e32 v4, v1, v2
	v_mbcnt_lo_u32_b32 v129, -1, 0
	s_mul_i32 s20, s30, s3
	v_and_b32_e32 v105, 0xe0, v0
	s_ashr_i32 s21, s20, 31
	v_ashrrev_i32_e32 v4, 4, v4
	v_add_nc_u32_e32 v2, v3, v2
	s_lshl_b64 s[20:21], s[20:21], 2
	v_xor_b32_e32 v130, 16, v129
	s_add_u32 s19, s12, s20
	v_cndmask_b32_e32 v1, s2, v4, vcc_lo
	v_ashrrev_i32_e32 v2, 4, v2
	v_cmp_gt_i32_e32 vcc_lo, s17, v3
	s_addc_u32 s12, s13, s21
	s_ashr_i32 s13, s15, 31
	s_add_u32 s3, s8, s15
	s_addc_u32 s4, s9, s13
	v_cndmask_b32_e32 v3, s2, v2, vcc_lo
	v_ashrrev_i32_e32 v2, 31, v1
	s_lshl_b32 s6, s14, 4
	v_add_nc_u32_e32 v121, s16, v105
	s_ashr_i32 s7, s6, 31
	v_ashrrev_i32_e32 v4, 31, v3
	v_lshlrev_b64 v[1:2], 2, v[1:2]
	s_lshl_b64 s[6:7], s[6:7], 2
	v_or_b32_e32 v137, v121, v69
	s_add_u32 s6, s19, s6
	v_lshlrev_b64 v[3:4], 2, v[3:4]
	s_addc_u32 s7, s12, s7
	v_add_co_u32 v1, vcc_lo, s19, v1
	v_add_co_ci_u32_e32 v2, vcc_lo, s12, v2, vcc_lo
	s_delay_alu instid0(VALU_DEP_3) | instskip(NEXT) | instid1(VALU_DEP_4)
	v_add_co_u32 v3, vcc_lo, s19, v3
	v_add_co_ci_u32_e32 v4, vcc_lo, s12, v4, vcc_lo
	s_clause 0x1
	global_load_b32 v5, v[1:2], off
	global_load_b32 v7, v[3:4], off
	s_or_b32 s8, s16, 32
	v_lshlrev_b32_e32 v1, 4, v0
	s_ashr_i32 s9, s8, 4
	s_cmp_lt_i32 s8, s17
	v_cmp_gt_i32_e32 vcc_lo, 32, v130
	s_cselect_b32 s8, s9, s2
	v_and_b32_e32 v1, 0xf0, v1
	s_ashr_i32 s9, s8, 31
	v_dual_cndmask_b32 v138, v129, v130 :: v_dual_lshlrev_b32 v117, 6, v68
	s_lshl_b64 s[8:9], s[8:9], 2
	s_delay_alu instid0(VALU_DEP_2)
	v_add_co_u32 v1, s3, s3, v1
	s_add_u32 s20, s19, s8
	s_addc_u32 s21, s12, s9
	s_or_b32 s8, s16, 64
	v_add_co_ci_u32_e64 v2, null, s4, 0, s3
	s_ashr_i32 s9, s8, 4
	s_cmp_lt_i32 s8, s17
	v_or_b32_e32 v139, 2, v137
	s_cselect_b32 s8, s9, s2
	v_or_b32_e32 v140, 4, v137
	s_ashr_i32 s9, s8, 31
	v_or_b32_e32 v141, 6, v137
	s_lshl_b64 s[8:9], s[8:9], 2
	v_cmp_gt_i32_e32 vcc_lo, s17, v137
	s_add_u32 s22, s19, s8
	s_addc_u32 s23, s12, s9
	s_or_b32 s8, s16, 0x60
	v_or_b32_e32 v142, 8, v137
	s_ashr_i32 s9, s8, 4
	s_cmp_lt_i32 s8, s17
	v_or_b32_e32 v143, 10, v137
	s_cselect_b32 s8, s9, s2
	v_or_b32_e32 v144, 12, v137
	s_ashr_i32 s9, s8, 31
	v_or_b32_e32 v145, 14, v137
	s_lshl_b64 s[8:9], s[8:9], 2
	v_or_b32_e32 v146, 16, v137
	s_add_u32 s24, s19, s8
	s_addc_u32 s25, s12, s9
	s_or_b32 s8, s16, 0x80
	v_or_b32_e32 v147, 18, v137
	s_ashr_i32 s9, s8, 4
	s_cmp_lt_i32 s8, s17
	s_cselect_b32 s8, s9, s2
	s_delay_alu instid0(SALU_CYCLE_1) | instskip(NEXT) | instid1(SALU_CYCLE_1)
	s_ashr_i32 s9, s8, 31
	s_lshl_b64 s[8:9], s[8:9], 2
	s_delay_alu instid0(SALU_CYCLE_1) | instskip(SKIP_2) | instid1(SALU_CYCLE_1)
	s_add_u32 s26, s19, s8
	s_addc_u32 s27, s12, s9
	s_or_b32 s8, s16, 0xa0
	s_ashr_i32 s9, s8, 4
	s_cmp_lt_i32 s8, s17
	s_cselect_b32 s8, s9, s2
	s_delay_alu instid0(SALU_CYCLE_1) | instskip(NEXT) | instid1(SALU_CYCLE_1)
	s_ashr_i32 s9, s8, 31
	s_lshl_b64 s[8:9], s[8:9], 2
	s_delay_alu instid0(SALU_CYCLE_1)
	s_add_u32 s28, s19, s8
	s_addc_u32 s29, s12, s9
	s_clause 0x5
	s_load_b32 s9, s[6:7], 0x0
	s_load_b32 s3, s[20:21], 0x0
	;; [unrolled: 1-line block ×6, first 2 shown]
	s_or_b32 s20, s16, 0xc0
	s_delay_alu instid0(SALU_CYCLE_1) | instskip(SKIP_2) | instid1(SALU_CYCLE_1)
	s_ashr_i32 s21, s20, 4
	s_cmp_lt_i32 s20, s17
	s_cselect_b32 s20, s21, s2
	s_ashr_i32 s21, s20, 31
	s_delay_alu instid0(SALU_CYCLE_1) | instskip(NEXT) | instid1(SALU_CYCLE_1)
	s_lshl_b64 s[20:21], s[20:21], 2
	s_add_u32 s20, s19, s20
	s_addc_u32 s21, s12, s21
	s_or_b32 s22, s16, 0xe0
	s_delay_alu instid0(SALU_CYCLE_1) | instskip(SKIP_2) | instid1(SALU_CYCLE_1)
	s_ashr_i32 s23, s22, 4
	s_cmp_lt_i32 s22, s17
	s_cselect_b32 s22, s23, s2
	s_ashr_i32 s23, s22, 31
	s_delay_alu instid0(SALU_CYCLE_1)
	s_lshl_b64 s[22:23], s[22:23], 2
	s_waitcnt vmcnt(1)
	v_mad_i64_i32 v[3:4], null, v5, s5, v[1:2]
	s_waitcnt vmcnt(0)
	v_mad_i64_i32 v[5:6], null, v7, s5, v[1:2]
	v_lshlrev_b32_e32 v1, 4, v70
	s_clause 0x7
	global_load_b128 v[73:76], v[3:4], off
	global_load_b128 v[77:80], v[3:4], off offset:256
	global_load_b128 v[81:84], v[5:6], off
	global_load_b128 v[85:88], v[5:6], off offset:256
	global_load_b128 v[89:92], v[3:4], off offset:512
	;; [unrolled: 1-line block ×5, first 2 shown]
	v_lshl_or_b32 v1, v72, 8, v1
	s_load_b32 s2, s[20:21], 0x0
	s_add_u32 s20, s19, s22
	s_addc_u32 s21, s12, s23
	s_add_u32 s10, s10, s15
	s_addc_u32 s11, s11, s13
	v_add_co_u32 v1, s10, s10, v1
	s_delay_alu instid0(VALU_DEP_1) | instskip(SKIP_2) | instid1(VALU_DEP_1)
	v_add_co_ci_u32_e64 v2, null, s11, 0, s10
	s_load_b32 s10, s[20:21], 0x0
	s_waitcnt lgkmcnt(0)
	v_mad_i64_i32 v[3:4], null, s9, s5, v[1:2]
	v_mad_i64_i32 v[9:10], null, s6, s5, v[1:2]
	;; [unrolled: 1-line block ×7, first 2 shown]
	s_clause 0x5
	global_load_b128 v[49:52], v[3:4], off
	global_load_b128 v[53:56], v[3:4], off offset:16
	global_load_b128 v[41:44], v[5:6], off
	global_load_b128 v[45:48], v[5:6], off offset:16
	;; [unrolled: 2-line block ×3, first 2 shown]
	s_mov_b32 s4, 0
	v_cmp_gt_i32_e64 s2, s17, v139
	v_mad_i64_i32 v[61:62], null, s10, s5, v[1:2]
	s_clause 0x9
	global_load_b128 v[1:4], v[9:10], off
	global_load_b128 v[5:8], v[9:10], off offset:16
	global_load_b128 v[9:12], v[13:14], off
	global_load_b128 v[13:16], v[13:14], off offset:16
	;; [unrolled: 2-line block ×5, first 2 shown]
	ds_load_b128 v[105:108], v117
	ds_load_b128 v[109:112], v117 offset:1024
	ds_load_b128 v[113:116], v117 offset:2048
	ds_load_b128 v[117:120], v117 offset:3072
	s_mov_b32 s11, s4
	s_mov_b32 s5, s4
	;; [unrolled: 1-line block ×7, first 2 shown]
	s_delay_alu instid0(SALU_CYCLE_1)
	v_dual_mov_b32 v128, s11 :: v_dual_mov_b32 v127, s10
	v_dual_mov_b32 v126, s9 :: v_dual_mov_b32 v125, s8
	;; [unrolled: 1-line block ×4, first 2 shown]
	v_cmp_gt_i32_e64 s3, s17, v140
	v_cmp_gt_i32_e64 s4, s17, v141
	v_cmp_gt_i32_e64 s5, s17, v142
	v_cmp_gt_i32_e64 s6, s17, v143
	v_cmp_gt_i32_e64 s7, s17, v144
	v_cmp_gt_i32_e64 s8, s17, v145
	v_cmp_gt_i32_e64 s9, s17, v146
	v_cmp_gt_i32_e64 s10, s17, v147
	s_waitcnt vmcnt(0) lgkmcnt(0)
	s_barrier
	buffer_gl0_inv
	v_wmma_f32_16x16x16_f16 v[129:136], v[73:80], v[105:112], v[121:128]
	v_wmma_f32_16x16x16_f16 v[121:128], v[81:88], v[105:112], v[121:128]
	v_or_b32_e32 v73, 20, v137
	v_or_b32_e32 v74, 22, v137
	s_delay_alu instid0(VALU_DEP_4)
	v_wmma_f32_16x16x16_f16 v[129:136], v[89:96], v[113:120], v[129:136]
	v_or_b32_e32 v75, 24, v137
	v_wmma_f32_16x16x16_f16 v[121:128], v[97:104], v[113:120], v[121:128]
	v_or_b32_e32 v76, 26, v137
	v_cmp_gt_i32_e64 s11, s17, v73
	v_dual_mul_f32 v85, s18, v130 :: v_dual_mul_f32 v86, s18, v129
	v_dual_mul_f32 v83, s18, v132 :: v_dual_mul_f32 v84, s18, v131
	;; [unrolled: 1-line block ×3, first 2 shown]
	s_delay_alu instid0(VALU_DEP_3) | instskip(NEXT) | instid1(VALU_DEP_4)
	v_cndmask_b32_e32 v86, 0xff7fffff, v86, vcc_lo
	v_cndmask_b32_e64 v85, 0xff7fffff, v85, s2
	v_mul_f32_e32 v82, s18, v133
	v_cndmask_b32_e64 v84, 0xff7fffff, v84, s3
	v_cndmask_b32_e64 v83, 0xff7fffff, v83, s4
	v_dual_mul_f32 v79, s18, v136 :: v_dual_mul_f32 v92, s18, v123
	v_max3_f32 v85, v86, 0xff7fffff, v85
	v_mul_f32_e32 v80, s18, v135
	v_cndmask_b32_e64 v82, 0xff7fffff, v82, s5
	v_cndmask_b32_e64 v81, 0xff7fffff, v81, s6
	v_mul_f32_e32 v93, s18, v122
	v_max3_f32 v83, v85, v84, v83
	v_cndmask_b32_e64 v80, 0xff7fffff, v80, s7
	v_cndmask_b32_e64 v79, 0xff7fffff, v79, s8
	v_mul_f32_e32 v91, s18, v124
	v_cmp_gt_i32_e64 s12, s17, v74
	v_max3_f32 v81, v83, v82, v81
	v_cndmask_b32_e64 v82, 0xff7fffff, v94, s9
	v_cndmask_b32_e64 v83, 0xff7fffff, v93, s10
	v_or_b32_e32 v77, 28, v137
	v_or_b32_e32 v78, 30, v137
	v_max3_f32 v79, v81, v80, v79
	v_dual_mul_f32 v89, s18, v126 :: v_dual_mul_f32 v90, s18, v125
	v_cndmask_b32_e64 v73, 0xff7fffff, v92, s11
	v_cndmask_b32_e64 v74, 0xff7fffff, v91, s12
	s_delay_alu instid0(VALU_DEP_4) | instskip(SKIP_3) | instid1(VALU_DEP_4)
	v_max3_f32 v79, v79, v82, v83
	v_cmp_gt_i32_e64 s13, s17, v75
	v_cmp_gt_i32_e64 s15, s17, v76
	v_dual_mul_f32 v87, s18, v128 :: v_dual_mul_f32 v88, s18, v127
	v_max3_f32 v73, v79, v73, v74
	s_delay_alu instid0(VALU_DEP_4) | instskip(NEXT) | instid1(VALU_DEP_4)
	v_cndmask_b32_e64 v75, 0xff7fffff, v90, s13
	v_cndmask_b32_e64 v76, 0xff7fffff, v89, s15
	v_cmp_gt_i32_e64 s16, s17, v77
	v_cmp_gt_i32_e64 s17, s17, v78
	s_delay_alu instid0(VALU_DEP_3) | instskip(NEXT) | instid1(VALU_DEP_3)
	v_max3_f32 v73, v73, v75, v76
	v_cndmask_b32_e64 v74, 0xff7fffff, v88, s16
	s_delay_alu instid0(VALU_DEP_3) | instskip(SKIP_1) | instid1(VALU_DEP_2)
	v_cndmask_b32_e64 v77, 0xff7fffff, v87, s17
	v_lshlrev_b32_e32 v75, 2, v138
	v_max3_f32 v73, v73, v74, v77
	ds_bpermute_b32 v74, v75, v73
	s_waitcnt lgkmcnt(0)
	v_max_f32_e32 v74, v74, v74
	s_delay_alu instid0(VALU_DEP_1) | instskip(NEXT) | instid1(VALU_DEP_1)
	v_max_f32_e32 v73, v73, v74
	v_fma_f32 v74, s18, v129, -v73
	v_fma_f32 v76, s18, v130, -v73
	;; [unrolled: 1-line block ×5, first 2 shown]
	v_mul_f32_e32 v74, 0x3fb8aa3b, v74
	v_mul_f32_e32 v76, 0x3fb8aa3b, v76
	v_fma_f32 v83, s18, v135, -v73
	v_mul_f32_e32 v78, 0x3fb8aa3b, v78
	v_mul_f32_e32 v80, 0x3fb8aa3b, v80
	v_exp_f32_e32 v74, v74
	v_exp_f32_e32 v76, v76
	v_mul_f32_e32 v83, 0x3fb8aa3b, v83
	v_exp_f32_e32 v82, v78
	v_exp_f32_e32 v84, v80
	s_delay_alu instid0(VALU_DEP_1) | instskip(SKIP_4) | instid1(TRANS32_DEP_3)
	v_exp_f32_e32 v85, v83
	v_cndmask_b32_e32 v79, 0, v74, vcc_lo
	v_fma_f32 v74, s18, v134, -v73
	v_mul_f32_e32 v77, 0x3fb8aa3b, v77
	v_cndmask_b32_e64 v78, 0, v76, s2
	v_cndmask_b32_e64 v80, 0, v82, s4
	v_add_f32_e32 v76, 0, v79
	v_mul_f32_e32 v74, 0x3fb8aa3b, v74
	v_exp_f32_e32 v77, v77
	v_fma_f32 v82, s18, v121, -v73
	v_cndmask_b32_e64 v83, 0, v84, s5
	v_add_f32_e32 v76, v76, v78
	v_exp_f32_e32 v74, v74
	s_mov_b32 s2, exec_lo
	v_mul_f32_e32 v86, 0x3fb8aa3b, v82
	v_cndmask_b32_e64 v85, 0, v85, s7
	s_delay_alu instid0(TRANS32_DEP_2) | instskip(SKIP_3) | instid1(VALU_DEP_1)
	v_cndmask_b32_e64 v81, 0, v77, s3
	s_waitcnt_depctr 0xfff
	v_cndmask_b32_e64 v82, 0, v74, s6
	v_add_f32_e32 v76, v76, v81
	v_add_f32_e32 v76, v76, v80
	s_delay_alu instid0(VALU_DEP_1) | instskip(SKIP_4) | instid1(VALU_DEP_4)
	v_add_f32_e32 v74, v76, v83
	v_fma_f32 v77, s18, v136, -v73
	v_fma_f32 v84, s18, v122, -v73
	;; [unrolled: 1-line block ×4, first 2 shown]
	v_dual_add_f32 v74, v74, v82 :: v_dual_mul_f32 v77, 0x3fb8aa3b, v77
	s_delay_alu instid0(VALU_DEP_4) | instskip(SKIP_1) | instid1(VALU_DEP_4)
	v_mul_f32_e32 v84, 0x3fb8aa3b, v84
	v_fma_f32 v92, s18, v128, -v73
	v_mul_f32_e32 v89, 0x3fb8aa3b, v87
	v_exp_f32_e32 v86, v86
	v_exp_f32_e32 v77, v77
	;; [unrolled: 1-line block ×3, first 2 shown]
	v_add_f32_e32 v74, v74, v85
	v_exp_f32_e32 v91, v89
	v_fma_f32 v90, s18, v126, -v73
	v_cndmask_b32_e64 v87, 0, v86, s9
	s_delay_alu instid0(TRANS32_DEP_3) | instskip(SKIP_2) | instid1(TRANS32_DEP_2)
	v_cndmask_b32_e64 v84, 0, v77, s8
	v_fma_f32 v77, s18, v125, -v73
	v_mul_f32_e32 v76, 0x3fb8aa3b, v76
	v_cndmask_b32_e64 v86, 0, v88, s10
	v_fma_f32 v88, s18, v127, -v73
	s_delay_alu instid0(VALU_DEP_4) | instskip(NEXT) | instid1(VALU_DEP_4)
	v_dual_mul_f32 v90, 0x3fb8aa3b, v90 :: v_dual_mul_f32 v77, 0x3fb8aa3b, v77
	v_exp_f32_e32 v76, v76
	s_delay_alu instid0(VALU_DEP_1) | instskip(NEXT) | instid1(VALU_DEP_1)
	v_exp_f32_e32 v90, v90
	v_exp_f32_e32 v77, v77
	s_delay_alu instid0(TRANS32_DEP_3)
	v_cndmask_b32_e64 v89, 0, v76, s11
	v_mul_f32_e32 v76, 0x3fb8aa3b, v88
	v_cndmask_b32_e64 v88, 0, v91, s12
	s_waitcnt_depctr 0xfff
	v_cndmask_b32_e64 v90, 0, v90, s15
	v_cndmask_b32_e64 v91, 0, v77, s13
	v_mul_f32_e32 v77, 0x3fb8aa3b, v92
	v_add_f32_e32 v74, v74, v84
	v_exp_f32_e32 v76, v76
	s_delay_alu instid0(VALU_DEP_2) | instskip(NEXT) | instid1(VALU_DEP_1)
	v_exp_f32_e32 v77, v77
	v_add_f32_e32 v74, v74, v87
	s_delay_alu instid0(VALU_DEP_1) | instskip(SKIP_4) | instid1(VALU_DEP_1)
	v_add_f32_e32 v74, v74, v86
	s_waitcnt_depctr 0xfff
	v_cndmask_b32_e64 v93, 0, v76, s16
	v_cndmask_b32_e64 v92, 0, v77, s17
	v_add_f32_e32 v74, v74, v89
	v_add_f32_e32 v74, v74, v88
	s_delay_alu instid0(VALU_DEP_1) | instskip(NEXT) | instid1(VALU_DEP_1)
	v_add_f32_e32 v74, v74, v91
	v_add_f32_e32 v74, v74, v90
	s_delay_alu instid0(VALU_DEP_1) | instskip(NEXT) | instid1(VALU_DEP_1)
	v_add_f32_e32 v74, v74, v93
	v_add_f32_e32 v74, v74, v92
	ds_bpermute_b32 v75, v75, v74
	v_cmpx_gt_u32_e32 16, v71
	s_cbranch_execz .LBB1151_12
; %bb.11:
	v_mul_u32_u24_e32 v71, 0x44, v72
	s_waitcnt lgkmcnt(0)
	v_add_f32_e32 v74, v74, v75
	s_delay_alu instid0(VALU_DEP_2) | instskip(NEXT) | instid1(VALU_DEP_1)
	v_lshl_add_u32 v71, v70, 2, v71
	v_add_nc_u32_e32 v71, 0x4000, v71
	ds_store_2addr_b32 v71, v73, v74 offset1:136
.LBB1151_12:
	s_or_b32 exec_lo, exec_lo, s2
	v_lshlrev_b32_e32 v71, 2, v70
	s_load_b32 s35, s[0:1], 0x94
	s_waitcnt lgkmcnt(0)
	s_barrier
	buffer_gl0_inv
	v_add_nc_u32_e32 v71, 0x4000, v71
	v_cmp_eq_u32_e32 vcc_lo, 1, v72
	v_cmp_eq_u32_e64 s2, 2, v72
	v_cmp_eq_u32_e64 s3, 3, v72
	;; [unrolled: 1-line block ×3, first 2 shown]
	ds_load_2addr_b32 v[73:74], v71 offset1:17
	ds_load_2addr_b32 v[94:95], v71 offset0:34 offset1:51
	ds_load_2addr_b32 v[96:97], v71 offset0:68 offset1:85
	;; [unrolled: 1-line block ×3, first 2 shown]
	v_cmp_eq_u32_e64 s5, 5, v72
	v_cmp_eq_u32_e64 s6, 7, v72
	s_waitcnt lgkmcnt(3)
	v_max3_f32 v75, v73, 0xff7fffff, v74
	s_waitcnt lgkmcnt(2)
	s_delay_alu instid0(VALU_DEP_1) | instskip(SKIP_1) | instid1(VALU_DEP_1)
	v_max3_f32 v75, v75, v94, v95
	s_waitcnt lgkmcnt(1)
	v_max3_f32 v75, v75, v96, v97
	s_waitcnt lgkmcnt(0)
	s_delay_alu instid0(VALU_DEP_1) | instskip(NEXT) | instid1(VALU_DEP_1)
	v_max3_f32 v76, v75, v98, v99
	v_sub_f32_e32 v96, v96, v76
	ds_load_2addr_b32 v[100:101], v71 offset0:136 offset1:153
	v_sub_f32_e32 v73, v73, v76
	v_sub_f32_e32 v75, v74, v76
	;; [unrolled: 1-line block ×3, first 2 shown]
	v_mul_f32_e32 v105, 0x3fb8aa3b, v96
	s_delay_alu instid0(VALU_DEP_4)
	v_mul_f32_e32 v77, 0x3fb8aa3b, v73
	ds_load_2addr_b32 v[73:74], v71 offset0:170 offset1:187
	v_mul_f32_e32 v103, 0x3fb8aa3b, v94
	v_exp_f32_e32 v102, v77
	v_sub_f32_e32 v77, v95, v76
	ds_load_2addr_b32 v[94:95], v71 offset0:204 offset1:221
	v_exp_f32_e32 v103, v103
	v_mul_f32_e32 v104, 0x3fb8aa3b, v77
	s_waitcnt lgkmcnt(2)
	v_fma_f32 v77, v102, v100, 0
	v_dual_sub_f32 v100, v97, v76 :: v_dual_mul_f32 v75, 0x3fb8aa3b, v75
	ds_load_2addr_b32 v[96:97], v71 offset0:238 offset1:255
	v_sub_f32_e32 v71, v98, v76
	v_exp_f32_e32 v104, v104
	v_mul_f32_e32 v98, 0x3fb8aa3b, v100
	v_exp_f32_e32 v75, v75
	v_exp_f32_e32 v100, v105
	v_mul_f32_e32 v71, 0x3fb8aa3b, v71
	s_waitcnt lgkmcnt(0)
	v_exp_f32_e32 v98, v98
	s_barrier
	buffer_gl0_inv
	v_fmac_f32_e32 v77, v75, v101
	s_delay_alu instid0(VALU_DEP_1) | instskip(SKIP_2) | instid1(VALU_DEP_2)
	v_fmac_f32_e32 v77, v103, v73
	v_sub_f32_e32 v73, v99, v76
	v_exp_f32_e32 v99, v71
	v_fmac_f32_e32 v77, v104, v74
	s_delay_alu instid0(VALU_DEP_2) | instskip(NEXT) | instid1(VALU_DEP_2)
	v_dual_mul_f32 v73, 0x3fb8aa3b, v73 :: v_dual_lshlrev_b32 v74, 6, v70
	v_dual_fmac_f32 v77, v100, v94 :: v_dual_lshlrev_b32 v70, 2, v69
	s_delay_alu instid0(VALU_DEP_2) | instskip(SKIP_1) | instid1(VALU_DEP_3)
	v_exp_f32_e32 v94, v73
	v_cndmask_b32_e32 v73, v102, v75, vcc_lo
	v_lshl_or_b32 v75, v72, 11, v74
	s_delay_alu instid0(VALU_DEP_3) | instskip(SKIP_1) | instid1(VALU_DEP_3)
	v_cmp_eq_u32_e64 s7, 7, v70
	v_fmac_f32_e32 v77, v98, v95
	v_lshl_or_b32 v69, v69, 4, v75
	s_delay_alu instid0(VALU_DEP_2)
	v_fmac_f32_e32 v77, v99, v96
	s_delay_alu instid0(TRANS32_DEP_1) | instid1(VALU_DEP_1)
	v_fmac_f32_e32 v77, v94, v97
	s_delay_alu instid0(VALU_DEP_1) | instskip(NEXT) | instid1(VALU_DEP_1)
	v_add_f32_e32 v95, 0x358637bd, v77
	v_div_scale_f32 v96, null, v95, v95, 1.0
	v_div_scale_f32 v101, vcc_lo, 1.0, v95, 1.0
	s_delay_alu instid0(VALU_DEP_2) | instskip(SKIP_2) | instid1(VALU_DEP_1)
	v_rcp_f32_e32 v97, v96
	s_waitcnt_depctr 0xfff
	v_fma_f32 v71, -v96, v97, 1.0
	v_fmac_f32_e32 v97, v71, v97
	v_cndmask_b32_e64 v71, v73, v103, s2
	v_cmp_eq_u32_e64 s2, 6, v72
	v_or_b32_e32 v73, 1, v70
	v_or_b32_e32 v72, 3, v70
	v_mul_f32_e32 v102, v101, v97
	v_cndmask_b32_e64 v71, v71, v104, s3
	v_cmp_eq_u32_e64 s3, 1, v70
	v_cmp_eq_u32_e64 s8, 1, v73
	v_cmp_eq_u32_e64 s10, 1, v72
	v_fma_f32 v103, -v96, v102, v101
	v_cndmask_b32_e64 v100, v71, v100, s4
	v_or_b32_e32 v71, 2, v70
	v_cmp_eq_u32_e64 s4, 2, v70
	v_cmp_eq_u32_e64 s11, 2, v73
	v_fmac_f32_e32 v102, v103, v97
	v_cndmask_b32_e64 v98, v100, v98, s5
	v_cmp_eq_u32_e64 s9, 1, v71
	v_cmp_eq_u32_e64 s13, 2, v71
	;; [unrolled: 1-line block ×3, first 2 shown]
	v_fma_f32 v96, -v96, v102, v101
	v_cndmask_b32_e64 v98, v98, v99, s2
	v_cmp_eq_u32_e64 s12, 3, v73
	v_cmp_eq_u32_e64 s17, 3, v72
	;; [unrolled: 1-line block ×3, first 2 shown]
	v_div_fmas_f32 v96, v96, v97, v102
	v_cndmask_b32_e64 v94, v98, v94, s6
	v_cmp_eq_u32_e32 vcc_lo, 3, v70
	v_cmp_eq_u32_e64 s16, 3, v71
	v_cmp_eq_u32_e64 s18, 4, v73
	v_div_fixup_f32 v95, v96, v95, 1.0
	v_cmp_eq_u32_e64 s21, 4, v72
	v_cmp_eq_u32_e64 s5, 5, v70
	;; [unrolled: 1-line block ×4, first 2 shown]
	v_mul_f32_e32 v102, v94, v95
	v_cmp_eq_u32_e64 s23, 5, v72
	v_cmp_eq_u32_e64 s22, 5, v71
	;; [unrolled: 1-line block ×4, first 2 shown]
	v_fma_mixlo_f16 v94, v102, v79, 0
	v_fma_mixlo_f16 v95, v102, v81, 0
	;; [unrolled: 1-line block ×8, first 2 shown]
	v_fma_mixhi_f16 v94, v102, v78, 0
	v_fma_mixhi_f16 v95, v102, v80, 0
	;; [unrolled: 1-line block ×8, first 2 shown]
	ds_store_b128 v69, v[94:97]
	ds_store_b128 v69, v[98:101] offset:1024
	s_waitcnt lgkmcnt(0)
	s_barrier
	buffer_gl0_inv
	ds_load_b128 v[78:81], v75
	ds_load_b128 v[82:85], v75 offset:16
	ds_load_b128 v[86:89], v75 offset:1024
	;; [unrolled: 1-line block ×3, first 2 shown]
	v_cmp_eq_u32_e64 s6, 6, v70
	v_cmp_eq_u32_e64 s25, 6, v71
	;; [unrolled: 1-line block ×5, first 2 shown]
	s_waitcnt lgkmcnt(3)
	v_lshrrev_b32_e32 v94, 16, v78
	s_waitcnt lgkmcnt(2)
	v_lshrrev_b32_e32 v98, 16, v82
	;; [unrolled: 2-line block ×4, first 2 shown]
	v_lshrrev_b32_e32 v95, 16, v79
	v_cndmask_b32_e64 v110, v78, v94, s3
	v_cndmask_b32_e64 v111, v82, v98, s3
	;; [unrolled: 1-line block ×8, first 2 shown]
	v_lshrrev_b32_e32 v99, 16, v83
	v_cndmask_b32_e64 v94, v86, v102, s3
	v_cndmask_b32_e64 v98, v90, v106, s3
	;; [unrolled: 1-line block ×15, first 2 shown]
	v_lshrrev_b32_e32 v103, 16, v87
	v_lshrrev_b32_e32 v107, 16, v91
	v_cndmask_b32_e64 v113, v115, v83, s13
	v_cndmask_b32_e64 v82, v94, v87, s4
	;; [unrolled: 1-line block ×7, first 2 shown]
	v_cndmask_b32_e32 v90, v102, v95, vcc_lo
	v_cndmask_b32_e32 v102, v106, v99, vcc_lo
	v_cndmask_b32_e64 v106, v110, v95, s12
	v_cndmask_b32_e64 v110, v111, v99, s12
	;; [unrolled: 1-line block ×4, first 2 shown]
	v_lshrrev_b32_e32 v96, 16, v80
	v_lshrrev_b32_e32 v100, 16, v84
	v_cndmask_b32_e64 v111, v112, v95, s16
	v_cndmask_b32_e64 v112, v113, v99, s16
	v_cndmask_b32_e32 v82, v82, v103, vcc_lo
	v_cndmask_b32_e32 v83, v83, v107, vcc_lo
	v_cndmask_b32_e64 v94, v94, v103, s12
	v_cndmask_b32_e64 v90, v90, v80, s2
	;; [unrolled: 1-line block ×7, first 2 shown]
	v_lshrrev_b32_e32 v104, 16, v88
	v_cndmask_b32_e64 v106, v111, v80, s20
	v_cndmask_b32_e64 v110, v112, v84, s20
	;; [unrolled: 1-line block ×11, first 2 shown]
	v_lshrrev_b32_e32 v97, 16, v81
	v_lshrrev_b32_e32 v101, 16, v85
	v_cndmask_b32_e64 v99, v106, v96, s22
	v_cndmask_b32_e64 v102, v110, v100, s22
	;; [unrolled: 1-line block ×7, first 2 shown]
	v_lshrrev_b32_e32 v105, 16, v89
	v_cndmask_b32_e64 v80, v80, v104, s5
	v_cndmask_b32_e64 v84, v84, v81, s6
	;; [unrolled: 1-line block ×16, first 2 shown]
	v_perm_b32 v81, v79, v78, 0x5040100
	v_perm_b32 v79, v95, v85, 0x5040100
	v_cndmask_b32_e64 v78, v119, v91, s13
	v_cndmask_b32_e64 v85, v117, v91, s11
	;; [unrolled: 1-line block ×3, first 2 shown]
	v_perm_b32 v80, v94, v90, 0x5040100
	v_cndmask_b32_e64 v90, v98, v103, s16
	v_cndmask_b32_e64 v86, v86, v103, s17
	;; [unrolled: 1-line block ×5, first 2 shown]
	v_lshrrev_b32_e32 v108, 16, v92
	v_cndmask_b32_e64 v90, v90, v88, s20
	v_cndmask_b32_e64 v86, v86, v88, s21
	;; [unrolled: 1-line block ×11, first 2 shown]
	v_lshrrev_b32_e32 v109, 16, v93
	v_cndmask_b32_e64 v82, v82, v93, s6
	v_cndmask_b32_e64 v88, v88, v89, s25
	;; [unrolled: 1-line block ×12, first 2 shown]
	v_perm_b32 v78, v84, v83, 0x5040100
	v_perm_b32 v85, v87, v86, 0x5040100
	;; [unrolled: 1-line block ×5, first 2 shown]
	s_lshl_b32 s7, s34, 1
	s_mov_b32 s2, exec_lo
	ds_store_b128 v69, v[78:81]
	ds_store_b128 v69, v[82:85] offset:1024
	v_cmpx_gt_u32_e32 2, v0
	s_cbranch_execz .LBB1151_14
; %bb.13:
	v_or_b32_e32 v78, s33, v0
	s_load_b128 s[8:11], s[0:1], 0x58
	s_delay_alu instid0(VALU_DEP_1) | instskip(NEXT) | instid1(VALU_DEP_1)
	v_mad_u64_u32 v[79:80], null, s7, s30, v[78:79]
	v_mad_u64_u32 v[80:81], null, v79, s35, s[14:15]
	s_delay_alu instid0(VALU_DEP_1) | instskip(NEXT) | instid1(VALU_DEP_1)
	v_ashrrev_i32_e32 v81, 31, v80
	v_lshlrev_b64 v[78:79], 2, v[80:81]
	s_waitcnt lgkmcnt(0)
	s_delay_alu instid0(VALU_DEP_1) | instskip(NEXT) | instid1(VALU_DEP_2)
	v_add_co_u32 v80, vcc_lo, s10, v78
	v_add_co_ci_u32_e32 v81, vcc_lo, s11, v79, vcc_lo
	v_add_co_u32 v78, vcc_lo, s8, v78
	v_add_co_ci_u32_e32 v79, vcc_lo, s9, v79, vcc_lo
	global_store_b32 v[80:81], v76, off
	global_store_b32 v[78:79], v77, off
.LBB1151_14:
	s_or_b32 exec_lo, exec_lo, s2
	s_waitcnt lgkmcnt(0)
	s_waitcnt_vscnt null, 0x0
	s_barrier
	buffer_gl0_inv
	ds_load_b128 v[84:87], v74
	ds_load_b128 v[88:91], v74 offset:16
	ds_load_b128 v[96:99], v74 offset:2064
	;; [unrolled: 1-line block ×5, first 2 shown]
	v_cmp_eq_u32_e32 vcc_lo, 1, v70
	v_mov_b32_e32 v76, 0
	ds_load_b128 v[112:115], v74 offset:6160
	ds_load_b128 v[108:111], v74 offset:6144
	;; [unrolled: 1-line block ×4, first 2 shown]
	v_cmp_eq_u32_e64 s3, 1, v71
	v_cmp_eq_u32_e64 s2, 1, v73
	;; [unrolled: 1-line block ×3, first 2 shown]
	v_mov_b32_e32 v77, v76
	v_mov_b32_e32 v78, v76
	;; [unrolled: 1-line block ×7, first 2 shown]
	v_cmp_eq_u32_e64 s5, 3, v73
	v_cmp_eq_u32_e64 s6, 7, v73
	s_waitcnt lgkmcnt(8)
	s_delay_alu instid0(VALU_DEP_3)
	v_wmma_f32_16x16x16_f16 v[76:83], v[49:56], v[84:91], v[76:83]
	ds_load_b128 v[53:56], v74 offset:10256
	ds_load_b128 v[49:52], v74 offset:10240
	s_waitcnt lgkmcnt(8)
	v_wmma_f32_16x16x16_f16 v[76:83], v[41:48], v[92:99], v[76:83]
	ds_load_b128 v[45:48], v74 offset:12304
	ds_load_b128 v[41:44], v74 offset:12288
	s_waitcnt lgkmcnt(8)
	;; [unrolled: 4-line block ×3, first 2 shown]
	s_barrier
	buffer_gl0_inv
	v_wmma_f32_16x16x16_f16 v[76:83], v[1:8], v[108:115], v[76:83]
	s_delay_alu instid0(VALU_DEP_1) | instskip(NEXT) | instid1(VALU_DEP_1)
	v_wmma_f32_16x16x16_f16 v[76:83], v[9:16], v[116:123], v[76:83]
	v_wmma_f32_16x16x16_f16 v[76:83], v[17:24], v[49:56], v[76:83]
	s_delay_alu instid0(VALU_DEP_1) | instskip(NEXT) | instid1(VALU_DEP_1)
	v_wmma_f32_16x16x16_f16 v[76:83], v[25:32], v[41:48], v[76:83]
	v_wmma_f32_16x16x16_f16 v[76:83], v[57:64], v[33:40], v[76:83]
	s_delay_alu instid0(VALU_DEP_1) | instskip(NEXT) | instid1(VALU_DEP_2)
	v_cvt_f16_f32_e32 v1, v76
	v_cvt_f16_f32_e32 v2, v77
	s_delay_alu instid0(VALU_DEP_3) | instskip(NEXT) | instid1(VALU_DEP_4)
	v_cvt_f16_f32_e32 v3, v78
	v_cvt_f16_f32_e32 v4, v79
	;; [unrolled: 1-line block ×6, first 2 shown]
	v_pack_b32_f16 v1, v1, v2
	v_pack_b32_f16 v2, v3, v4
	;; [unrolled: 1-line block ×3, first 2 shown]
	s_delay_alu instid0(VALU_DEP_4)
	v_pack_b32_f16 v4, v7, v8
	ds_store_b128 v69, v[1:4]
	s_waitcnt lgkmcnt(0)
	s_barrier
	buffer_gl0_inv
	ds_load_b128 v[1:4], v75
	ds_load_b128 v[5:8], v75 offset:16
	s_waitcnt lgkmcnt(1)
	v_lshrrev_b32_e32 v9, 16, v1
	s_waitcnt lgkmcnt(0)
	v_lshrrev_b32_e32 v13, 16, v5
	v_lshrrev_b32_e32 v10, 16, v2
	;; [unrolled: 1-line block ×4, first 2 shown]
	v_cndmask_b32_e32 v17, v1, v9, vcc_lo
	v_cndmask_b32_e32 v18, v5, v13, vcc_lo
	v_cndmask_b32_e64 v21, v1, v9, s3
	v_cmp_eq_u32_e32 vcc_lo, 1, v72
	v_cndmask_b32_e64 v22, v5, v13, s3
	v_cmp_eq_u32_e64 s3, 2, v70
	v_cndmask_b32_e64 v19, v1, v9, s2
	v_cndmask_b32_e64 v20, v5, v13, s2
	v_cndmask_b32_e32 v1, v1, v9, vcc_lo
	v_cmp_eq_u32_e64 s2, 2, v72
	v_cndmask_b32_e32 v5, v5, v13, vcc_lo
	v_cndmask_b32_e64 v9, v17, v2, s3
	v_cmp_eq_u32_e32 vcc_lo, 3, v70
	v_cndmask_b32_e64 v13, v18, v6, s3
	v_cmp_eq_u32_e64 s3, 2, v71
	v_cndmask_b32_e64 v17, v19, v2, s4
	v_cndmask_b32_e64 v18, v20, v6, s4
	v_cmp_eq_u32_e64 s4, 3, v71
	v_cndmask_b32_e64 v1, v1, v2, s2
	v_cndmask_b32_e64 v19, v21, v2, s3
	;; [unrolled: 1-line block ×4, first 2 shown]
	v_cndmask_b32_e32 v5, v9, v10, vcc_lo
	v_cndmask_b32_e32 v6, v13, v14, vcc_lo
	v_cmp_eq_u32_e32 vcc_lo, 3, v72
	v_cndmask_b32_e64 v9, v17, v10, s5
	v_cndmask_b32_e64 v13, v18, v14, s5
	;; [unrolled: 1-line block ×3, first 2 shown]
	v_cmp_eq_u32_e64 s3, 4, v70
	v_cndmask_b32_e32 v1, v1, v10, vcc_lo
	v_cndmask_b32_e32 v2, v2, v14, vcc_lo
	v_cmp_eq_u32_e32 vcc_lo, 4, v73
	v_lshrrev_b32_e32 v15, 16, v7
	v_lshrrev_b32_e32 v16, 16, v8
	v_cndmask_b32_e64 v17, v19, v10, s4
	v_cmp_eq_u32_e64 s2, 4, v72
	v_cndmask_b32_e64 v5, v5, v3, s3
	v_cndmask_b32_e64 v6, v6, v7, s3
	v_cndmask_b32_e32 v9, v9, v3, vcc_lo
	v_cmp_eq_u32_e64 s3, 5, v73
	v_cndmask_b32_e32 v10, v13, v7, vcc_lo
	v_cmp_eq_u32_e32 vcc_lo, 4, v71
	v_cmp_eq_u32_e64 s4, 5, v70
	v_cndmask_b32_e64 v2, v2, v7, s2
	v_cndmask_b32_e64 v9, v9, v11, s3
	;; [unrolled: 1-line block ×3, first 2 shown]
	v_cndmask_b32_e32 v13, v17, v3, vcc_lo
	v_cmp_eq_u32_e64 s3, 5, v71
	v_cndmask_b32_e32 v14, v18, v7, vcc_lo
	v_cndmask_b32_e64 v1, v1, v3, s2
	v_cmp_eq_u32_e32 vcc_lo, 5, v72
	v_lshrrev_b32_e32 v12, 16, v4
	v_cndmask_b32_e64 v13, v13, v11, s3
	v_cndmask_b32_e64 v3, v14, v15, s3
	v_cmp_eq_u32_e64 s3, 6, v72
	v_cndmask_b32_e32 v1, v1, v11, vcc_lo
	v_cndmask_b32_e64 v5, v5, v11, s4
	v_cmp_eq_u32_e64 s5, 6, v70
	v_cndmask_b32_e64 v6, v6, v15, s4
	v_cmp_eq_u32_e64 s4, 6, v73
	v_cmp_eq_u32_e64 s2, 6, v71
	v_cndmask_b32_e64 v1, v1, v4, s3
	v_cndmask_b32_e32 v2, v2, v15, vcc_lo
	v_cmp_eq_u32_e32 vcc_lo, 7, v72
	v_cndmask_b32_e64 v5, v5, v4, s5
	v_cndmask_b32_e64 v9, v9, v4, s4
	v_cndmask_b32_e64 v6, v6, v8, s5
	v_cmp_eq_u32_e64 s5, 7, v70
	v_cndmask_b32_e32 v1, v1, v12, vcc_lo
	v_cndmask_b32_e64 v7, v13, v4, s2
	v_cndmask_b32_e64 v3, v3, v8, s2
	;; [unrolled: 1-line block ×3, first 2 shown]
	v_cmp_eq_u32_e64 s2, 7, v71
	v_cndmask_b32_e64 v4, v10, v8, s4
	v_cndmask_b32_e64 v5, v5, v12, s5
	;; [unrolled: 1-line block ×3, first 2 shown]
	v_cndmask_b32_e32 v2, v2, v16, vcc_lo
	v_cndmask_b32_e64 v7, v7, v12, s2
	v_cndmask_b32_e64 v3, v3, v16, s2
	v_cndmask_b32_e64 v8, v4, v16, s6
	v_cndmask_b32_e64 v6, v6, v16, s5
	v_perm_b32 v4, v2, v1, 0x5040100
	s_delay_alu instid0(VALU_DEP_4) | instskip(NEXT) | instid1(VALU_DEP_4)
	v_perm_b32 v3, v3, v7, 0x5040100
	v_perm_b32 v2, v8, v9, 0x5040100
	s_delay_alu instid0(VALU_DEP_4)
	v_perm_b32 v1, v6, v5, 0x5040100
	ds_store_b128 v69, v[1:4]
	s_waitcnt lgkmcnt(0)
	s_barrier
	buffer_gl0_inv
	s_and_saveexec_b32 s2, s31
	s_cbranch_execz .LBB1151_2
; %bb.15:
	s_load_b64 s[0:1], s[0:1], 0x68
	v_lshlrev_b32_e32 v0, 10, v0
	s_lshl_b32 s2, s35, 6
	v_lshlrev_b32_e32 v1, 4, v68
	v_mul_lo_u32 v4, s2, v67
	s_mul_i32 s3, s2, s30
	v_and_b32_e32 v0, 0x3800, v0
	s_mul_i32 s2, s3, s7
	s_delay_alu instid0(SALU_CYCLE_1) | instskip(NEXT) | instid1(VALU_DEP_1)
	s_ashr_i32 s3, s2, 31
	v_or3_b32 v0, v0, v66, v1
	s_lshl_b64 s[2:3], s[2:3], 1
	s_delay_alu instid0(VALU_DEP_3)
	v_ashrrev_i32_e32 v5, 31, v4
	ds_load_b128 v[0:3], v0
	v_lshlrev_b64 v[4:5], 1, v[4:5]
	s_waitcnt lgkmcnt(0)
	s_add_u32 s2, s0, s2
	s_addc_u32 s3, s1, s3
	s_lshl_b32 s0, s14, 6
	s_delay_alu instid0(SALU_CYCLE_1) | instskip(NEXT) | instid1(SALU_CYCLE_1)
	s_ashr_i32 s1, s0, 31
	s_lshl_b64 s[0:1], s[0:1], 1
	s_delay_alu instid0(SALU_CYCLE_1) | instskip(SKIP_3) | instid1(VALU_DEP_2)
	s_add_u32 s0, s2, s0
	s_addc_u32 s1, s3, s1
	v_add_co_u32 v4, vcc_lo, s0, v4
	v_add_co_ci_u32_e32 v5, vcc_lo, s1, v5, vcc_lo
	v_add_co_u32 v4, vcc_lo, v4, v65
	s_delay_alu instid0(VALU_DEP_2)
	v_add_co_ci_u32_e32 v5, vcc_lo, 0, v5, vcc_lo
	global_store_b128 v[4:5], v[0:3], off
	s_nop 0
	s_sendmsg sendmsg(MSG_DEALLOC_VGPRS)
	s_endpgm
	.section	.rodata,"a",@progbits
	.p2align	6, 0x0
	.amdhsa_kernel _Z39paged_attention_ll4mi_QKV_mfma16_kernelIDF16_hLN4vllm18Fp8KVCacheDataTypeE1EDF16_Li16ELi64ELi256ELb0ELi2EL8MFMAType0EEvPKT_PKT0_S8_ifPKiSA_SA_iPKfiiiPfSD_PS3_PT2_iSC_SC_
		.amdhsa_group_segment_fixed_size 17472
		.amdhsa_private_segment_fixed_size 0
		.amdhsa_kernarg_size 400
		.amdhsa_user_sgpr_count 13
		.amdhsa_user_sgpr_dispatch_ptr 0
		.amdhsa_user_sgpr_queue_ptr 0
		.amdhsa_user_sgpr_kernarg_segment_ptr 1
		.amdhsa_user_sgpr_dispatch_id 0
		.amdhsa_user_sgpr_private_segment_size 0
		.amdhsa_wavefront_size32 1
		.amdhsa_uses_dynamic_stack 0
		.amdhsa_enable_private_segment 0
		.amdhsa_system_sgpr_workgroup_id_x 1
		.amdhsa_system_sgpr_workgroup_id_y 1
		.amdhsa_system_sgpr_workgroup_id_z 1
		.amdhsa_system_sgpr_workgroup_info 0
		.amdhsa_system_vgpr_workitem_id 0
		.amdhsa_next_free_vgpr 148
		.amdhsa_next_free_sgpr 36
		.amdhsa_reserve_vcc 1
		.amdhsa_float_round_mode_32 0
		.amdhsa_float_round_mode_16_64 0
		.amdhsa_float_denorm_mode_32 3
		.amdhsa_float_denorm_mode_16_64 3
		.amdhsa_dx10_clamp 1
		.amdhsa_ieee_mode 1
		.amdhsa_fp16_overflow 0
		.amdhsa_workgroup_processor_mode 1
		.amdhsa_memory_ordered 1
		.amdhsa_forward_progress 0
		.amdhsa_shared_vgpr_count 0
		.amdhsa_exception_fp_ieee_invalid_op 0
		.amdhsa_exception_fp_denorm_src 0
		.amdhsa_exception_fp_ieee_div_zero 0
		.amdhsa_exception_fp_ieee_overflow 0
		.amdhsa_exception_fp_ieee_underflow 0
		.amdhsa_exception_fp_ieee_inexact 0
		.amdhsa_exception_int_div_zero 0
	.end_amdhsa_kernel
	.section	.text._Z39paged_attention_ll4mi_QKV_mfma16_kernelIDF16_hLN4vllm18Fp8KVCacheDataTypeE1EDF16_Li16ELi64ELi256ELb0ELi2EL8MFMAType0EEvPKT_PKT0_S8_ifPKiSA_SA_iPKfiiiPfSD_PS3_PT2_iSC_SC_,"axG",@progbits,_Z39paged_attention_ll4mi_QKV_mfma16_kernelIDF16_hLN4vllm18Fp8KVCacheDataTypeE1EDF16_Li16ELi64ELi256ELb0ELi2EL8MFMAType0EEvPKT_PKT0_S8_ifPKiSA_SA_iPKfiiiPfSD_PS3_PT2_iSC_SC_,comdat
.Lfunc_end1151:
	.size	_Z39paged_attention_ll4mi_QKV_mfma16_kernelIDF16_hLN4vllm18Fp8KVCacheDataTypeE1EDF16_Li16ELi64ELi256ELb0ELi2EL8MFMAType0EEvPKT_PKT0_S8_ifPKiSA_SA_iPKfiiiPfSD_PS3_PT2_iSC_SC_, .Lfunc_end1151-_Z39paged_attention_ll4mi_QKV_mfma16_kernelIDF16_hLN4vllm18Fp8KVCacheDataTypeE1EDF16_Li16ELi64ELi256ELb0ELi2EL8MFMAType0EEvPKT_PKT0_S8_ifPKiSA_SA_iPKfiiiPfSD_PS3_PT2_iSC_SC_
                                        ; -- End function
	.section	.AMDGPU.csdata,"",@progbits
; Kernel info:
; codeLenInByte = 6240
; NumSgprs: 38
; NumVgprs: 148
; ScratchSize: 0
; MemoryBound: 0
; FloatMode: 240
; IeeeMode: 1
; LDSByteSize: 17472 bytes/workgroup (compile time only)
; SGPRBlocks: 4
; VGPRBlocks: 18
; NumSGPRsForWavesPerEU: 38
; NumVGPRsForWavesPerEU: 148
; Occupancy: 9
; WaveLimiterHint : 1
; COMPUTE_PGM_RSRC2:SCRATCH_EN: 0
; COMPUTE_PGM_RSRC2:USER_SGPR: 13
; COMPUTE_PGM_RSRC2:TRAP_HANDLER: 0
; COMPUTE_PGM_RSRC2:TGID_X_EN: 1
; COMPUTE_PGM_RSRC2:TGID_Y_EN: 1
; COMPUTE_PGM_RSRC2:TGID_Z_EN: 1
; COMPUTE_PGM_RSRC2:TIDIG_COMP_CNT: 0
	.section	.text._Z39paged_attention_ll4mi_QKV_mfma16_kernelIDF16_hLN4vllm18Fp8KVCacheDataTypeE1EDF16_Li16ELi64ELi256ELb0ELi3EL8MFMAType0EEvPKT_PKT0_S8_ifPKiSA_SA_iPKfiiiPfSD_PS3_PT2_iSC_SC_,"axG",@progbits,_Z39paged_attention_ll4mi_QKV_mfma16_kernelIDF16_hLN4vllm18Fp8KVCacheDataTypeE1EDF16_Li16ELi64ELi256ELb0ELi3EL8MFMAType0EEvPKT_PKT0_S8_ifPKiSA_SA_iPKfiiiPfSD_PS3_PT2_iSC_SC_,comdat
	.protected	_Z39paged_attention_ll4mi_QKV_mfma16_kernelIDF16_hLN4vllm18Fp8KVCacheDataTypeE1EDF16_Li16ELi64ELi256ELb0ELi3EL8MFMAType0EEvPKT_PKT0_S8_ifPKiSA_SA_iPKfiiiPfSD_PS3_PT2_iSC_SC_ ; -- Begin function _Z39paged_attention_ll4mi_QKV_mfma16_kernelIDF16_hLN4vllm18Fp8KVCacheDataTypeE1EDF16_Li16ELi64ELi256ELb0ELi3EL8MFMAType0EEvPKT_PKT0_S8_ifPKiSA_SA_iPKfiiiPfSD_PS3_PT2_iSC_SC_
	.globl	_Z39paged_attention_ll4mi_QKV_mfma16_kernelIDF16_hLN4vllm18Fp8KVCacheDataTypeE1EDF16_Li16ELi64ELi256ELb0ELi3EL8MFMAType0EEvPKT_PKT0_S8_ifPKiSA_SA_iPKfiiiPfSD_PS3_PT2_iSC_SC_
	.p2align	8
	.type	_Z39paged_attention_ll4mi_QKV_mfma16_kernelIDF16_hLN4vllm18Fp8KVCacheDataTypeE1EDF16_Li16ELi64ELi256ELb0ELi3EL8MFMAType0EEvPKT_PKT0_S8_ifPKiSA_SA_iPKfiiiPfSD_PS3_PT2_iSC_SC_,@function
_Z39paged_attention_ll4mi_QKV_mfma16_kernelIDF16_hLN4vllm18Fp8KVCacheDataTypeE1EDF16_Li16ELi64ELi256ELb0ELi3EL8MFMAType0EEvPKT_PKT0_S8_ifPKiSA_SA_iPKfiiiPfSD_PS3_PT2_iSC_SC_: ; @_Z39paged_attention_ll4mi_QKV_mfma16_kernelIDF16_hLN4vllm18Fp8KVCacheDataTypeE1EDF16_Li16ELi64ELi256ELb0ELi3EL8MFMAType0EEvPKT_PKT0_S8_ifPKiSA_SA_iPKfiiiPfSD_PS3_PT2_iSC_SC_
; %bb.0:
	s_load_b64 s[2:3], s[0:1], 0x30
	s_mov_b32 s34, s13
	s_waitcnt lgkmcnt(0)
	s_cmp_lg_u64 s[2:3], 0
	s_cselect_b32 s6, -1, 0
	s_ashr_i32 s35, s13, 31
	s_cmp_eq_u64 s[2:3], 0
	s_cbranch_scc1 .LBB1152_3
; %bb.1:
	s_lshl_b64 s[4:5], s[34:35], 2
	s_delay_alu instid0(SALU_CYCLE_1) | instskip(SKIP_4) | instid1(SALU_CYCLE_1)
	s_add_u32 s4, s2, s4
	s_addc_u32 s5, s3, s5
	s_load_b64 s[4:5], s[4:5], 0x0
	s_waitcnt lgkmcnt(0)
	s_sub_i32 s4, s5, s4
	s_cmp_eq_u32 s4, 1
	s_cselect_b32 s4, -1, 0
	s_delay_alu instid0(SALU_CYCLE_1)
	s_and_not1_b32 vcc_lo, exec_lo, s4
	s_cbranch_vccz .LBB1152_4
.LBB1152_2:
	s_nop 0
	s_sendmsg sendmsg(MSG_DEALLOC_VGPRS)
	s_endpgm
.LBB1152_3:
.LBB1152_4:
	s_load_b64 s[8:9], s[0:1], 0x28
	s_lshl_b64 s[4:5], s[34:35], 2
	s_waitcnt lgkmcnt(0)
	s_add_u32 s8, s8, s4
	s_addc_u32 s9, s9, s5
	s_lshl_b32 s16, s14, 8
	s_load_b32 s18, s[8:9], 0x0
	s_waitcnt lgkmcnt(0)
	s_cmp_ge_i32 s16, s18
	s_cbranch_scc1 .LBB1152_2
; %bb.5:
	s_clause 0x1
	s_load_b128 s[8:11], s[0:1], 0x8
	s_load_b64 s[12:13], s[0:1], 0x20
	s_and_not1_b32 vcc_lo, exec_lo, s6
	s_cbranch_vccnz .LBB1152_7
; %bb.6:
	s_add_u32 s2, s2, s4
	s_addc_u32 s3, s3, s5
	s_load_b32 s3, s[2:3], 0x0
	s_branch .LBB1152_8
.LBB1152_7:
	s_mov_b32 s3, s34
.LBB1152_8:
	s_load_b128 s[4:7], s[0:1], 0x48
	v_lshrrev_b32_e32 v69, 5, v0
	v_bfe_u32 v66, v0, 4, 1
	v_and_b32_e32 v68, 15, v0
	v_and_b32_e32 v70, 31, v0
	;; [unrolled: 1-line block ×3, first 2 shown]
	s_mul_i32 s33, s15, 3
	v_lshl_or_b32 v1, v69, 1, v66
	v_lshlrev_b32_e32 v2, 3, v68
	v_cmp_gt_u32_e64 s2, 8, v68
	s_delay_alu instid0(VALU_DEP_3) | instskip(NEXT) | instid1(VALU_DEP_3)
	v_cmp_gt_u32_e32 vcc_lo, 3, v1
	v_lshlrev_b32_e32 v65, 1, v2
	s_delay_alu instid0(VALU_DEP_3)
	s_and_b32 s17, s2, vcc_lo
	s_waitcnt lgkmcnt(0)
	s_and_saveexec_b32 s7, s17
	s_cbranch_execz .LBB1152_10
; %bb.9:
	s_load_b64 s[20:21], s[0:1], 0x0
	v_add_lshl_u32 v2, v1, s33, 6
	s_mul_hi_i32 s23, s3, s4
	s_mul_i32 s22, s3, s4
	v_lshlrev_b32_e32 v6, 10, v68
	s_lshl_b64 s[22:23], s[22:23], 1
	v_ashrrev_i32_e32 v3, 31, v2
	v_lshlrev_b32_e32 v1, 6, v1
	v_lshlrev_b32_e32 v7, 10, v67
	v_and_b32_e32 v6, 0x3800, v6
	s_delay_alu instid0(VALU_DEP_4) | instskip(NEXT) | instid1(VALU_DEP_2)
	v_lshlrev_b64 v[2:3], 1, v[2:3]
	v_or3_b32 v1, v6, v7, v1
	s_waitcnt lgkmcnt(0)
	s_add_u32 s3, s20, s22
	s_addc_u32 s4, s21, s23
	s_delay_alu instid0(VALU_DEP_2) | instskip(SKIP_1) | instid1(VALU_DEP_2)
	v_add_co_u32 v2, vcc_lo, s3, v2
	v_add_co_ci_u32_e32 v3, vcc_lo, s4, v3, vcc_lo
	v_add_co_u32 v2, vcc_lo, v2, v65
	s_delay_alu instid0(VALU_DEP_2)
	v_add_co_ci_u32_e32 v3, vcc_lo, 0, v3, vcc_lo
	global_load_b128 v[2:5], v[2:3], off
	s_waitcnt vmcnt(0)
	ds_store_b128 v1, v[2:5]
.LBB1152_10:
	s_or_b32 exec_lo, exec_lo, s7
	v_and_b32_e32 v1, 0xef, v0
	s_add_i32 s3, s18, 15
	s_clause 0x1
	s_load_b32 s4, s[0:1], 0x38
	s_load_b32 s35, s[0:1], 0x98
	s_ashr_i32 s7, s3, 31
	v_add_nc_u32_e32 v1, s16, v1
	s_lshr_b32 s7, s7, 28
	s_load_b32 s19, s[0:1], 0x1c
	s_add_i32 s3, s3, s7
	s_waitcnt lgkmcnt(0)
	v_ashrrev_i32_e32 v2, 31, v1
	v_or_b32_e32 v3, 16, v1
	s_ashr_i32 s3, s3, 4
	v_cmp_gt_i32_e32 vcc_lo, s18, v1
	s_add_i32 s3, s3, -1
	v_lshrrev_b32_e32 v2, 28, v2
	s_barrier
	buffer_gl0_inv
	s_mul_i32 s15, s15, s6
	v_mul_lo_u16 v103, 0x56, v68
	v_add_nc_u32_e32 v4, v1, v2
	v_mbcnt_lo_u32_b32 v127, -1, 0
	s_mul_i32 s20, s34, s4
	s_delay_alu instid0(SALU_CYCLE_1) | instskip(NEXT) | instid1(VALU_DEP_2)
	s_ashr_i32 s21, s20, 31
	v_ashrrev_i32_e32 v4, 4, v4
	v_add_nc_u32_e32 v2, v3, v2
	s_lshl_b64 s[20:21], s[20:21], 2
	v_lshrrev_b16 v103, 8, v103
	s_add_u32 s17, s12, s20
	v_cndmask_b32_e32 v1, s3, v4, vcc_lo
	v_ashrrev_i32_e32 v2, 4, v2
	v_cmp_gt_i32_e32 vcc_lo, s18, v3
	s_addc_u32 s13, s13, s21
	s_ashr_i32 s20, s15, 31
	s_add_u32 s4, s8, s15
	s_addc_u32 s12, s9, s20
	v_cndmask_b32_e32 v3, s3, v2, vcc_lo
	v_ashrrev_i32_e32 v2, 31, v1
	s_lshl_b32 s6, s14, 4
	v_mul_lo_u16 v103, v103, 3
	s_ashr_i32 s7, s6, 31
	v_ashrrev_i32_e32 v4, 31, v3
	v_lshlrev_b64 v[1:2], 2, v[1:2]
	s_lshl_b64 s[6:7], s[6:7], 2
	v_sub_nc_u16 v103, v68, v103
	s_add_u32 s6, s17, s6
	v_lshlrev_b64 v[3:4], 2, v[3:4]
	s_addc_u32 s7, s13, s7
	v_add_co_u32 v1, vcc_lo, s17, v1
	v_add_co_ci_u32_e32 v2, vcc_lo, s13, v2, vcc_lo
	s_delay_alu instid0(VALU_DEP_3) | instskip(NEXT) | instid1(VALU_DEP_4)
	v_add_co_u32 v3, vcc_lo, s17, v3
	v_add_co_ci_u32_e32 v4, vcc_lo, s13, v4, vcc_lo
	s_clause 0x1
	global_load_b32 v5, v[1:2], off
	global_load_b32 v7, v[3:4], off
	s_or_b32 s8, s16, 32
	v_lshlrev_b32_e32 v1, 4, v0
	s_ashr_i32 s9, s8, 4
	s_cmp_lt_i32 s8, s18
	v_xor_b32_e32 v128, 16, v127
	s_cselect_b32 s8, s9, s3
	v_and_b32_e32 v1, 0xf0, v1
	s_ashr_i32 s9, s8, 31
	s_delay_alu instid0(SALU_CYCLE_1)
	s_lshl_b64 s[8:9], s[8:9], 2
	v_cmp_gt_i32_e32 vcc_lo, 32, v128
	s_add_u32 s8, s17, s8
	s_addc_u32 s9, s13, s9
	s_or_b32 s21, s16, 64
	v_add_co_u32 v1, s4, s4, v1
	s_ashr_i32 s22, s21, 4
	s_cmp_lt_i32 s21, s18
	v_add_co_ci_u32_e64 v2, null, s12, 0, s4
	s_cselect_b32 s22, s22, s3
	v_dual_cndmask_b32 v136, v127, v128 :: v_dual_and_b32 v103, 0xff, v103
	s_ashr_i32 s23, s22, 31
	s_delay_alu instid0(SALU_CYCLE_1) | instskip(NEXT) | instid1(VALU_DEP_1)
	s_lshl_b64 s[22:23], s[22:23], 2
	v_lshlrev_b32_e32 v115, 6, v103
	s_add_u32 s22, s17, s22
	s_addc_u32 s23, s13, s23
	s_or_b32 s21, s16, 0x60
	s_delay_alu instid0(SALU_CYCLE_1) | instskip(SKIP_2) | instid1(SALU_CYCLE_1)
	s_ashr_i32 s24, s21, 4
	s_cmp_lt_i32 s21, s18
	s_cselect_b32 s24, s24, s3
	s_ashr_i32 s25, s24, 31
	s_delay_alu instid0(SALU_CYCLE_1) | instskip(NEXT) | instid1(SALU_CYCLE_1)
	s_lshl_b64 s[24:25], s[24:25], 2
	s_add_u32 s24, s17, s24
	s_addc_u32 s25, s13, s25
	s_or_b32 s21, s16, 0x80
	s_delay_alu instid0(SALU_CYCLE_1) | instskip(SKIP_2) | instid1(SALU_CYCLE_1)
	s_ashr_i32 s26, s21, 4
	s_cmp_lt_i32 s21, s18
	s_cselect_b32 s26, s26, s3
	s_ashr_i32 s27, s26, 31
	s_delay_alu instid0(SALU_CYCLE_1) | instskip(NEXT) | instid1(SALU_CYCLE_1)
	s_lshl_b64 s[26:27], s[26:27], 2
	;; [unrolled: 10-line block ×3, first 2 shown]
	s_add_u32 s28, s17, s28
	s_addc_u32 s29, s13, s29
	s_clause 0x5
	s_load_b32 s12, s[6:7], 0x0
	s_load_b32 s4, s[8:9], 0x0
	;; [unrolled: 1-line block ×6, first 2 shown]
	s_or_b32 s21, s16, 0xc0
	s_delay_alu instid0(SALU_CYCLE_1) | instskip(SKIP_2) | instid1(SALU_CYCLE_1)
	s_ashr_i32 s22, s21, 4
	s_cmp_lt_i32 s21, s18
	s_cselect_b32 s22, s22, s3
	s_ashr_i32 s23, s22, 31
	s_delay_alu instid0(SALU_CYCLE_1) | instskip(NEXT) | instid1(SALU_CYCLE_1)
	s_lshl_b64 s[22:23], s[22:23], 2
	s_add_u32 s22, s17, s22
	s_addc_u32 s23, s13, s23
	s_or_b32 s21, s16, 0xe0
	s_delay_alu instid0(SALU_CYCLE_1) | instskip(SKIP_2) | instid1(SALU_CYCLE_1)
	s_ashr_i32 s24, s21, 4
	s_cmp_lt_i32 s21, s18
	s_cselect_b32 s24, s24, s3
	s_ashr_i32 s25, s24, 31
	s_delay_alu instid0(SALU_CYCLE_1)
	s_lshl_b64 s[24:25], s[24:25], 2
	s_waitcnt vmcnt(1)
	v_mad_i64_i32 v[3:4], null, v5, s5, v[1:2]
	s_waitcnt vmcnt(0)
	v_mad_i64_i32 v[5:6], null, v7, s5, v[1:2]
	v_lshlrev_b32_e32 v1, 4, v68
	s_clause 0x7
	global_load_b128 v[71:74], v[3:4], off
	global_load_b128 v[75:78], v[3:4], off offset:256
	global_load_b128 v[79:82], v[5:6], off
	global_load_b128 v[83:86], v[5:6], off offset:256
	global_load_b128 v[87:90], v[3:4], off offset:512
	;; [unrolled: 1-line block ×5, first 2 shown]
	v_lshl_or_b32 v1, v69, 8, v1
	s_load_b32 s3, s[22:23], 0x0
	s_add_u32 s22, s17, s24
	s_addc_u32 s23, s13, s25
	s_add_u32 s10, s10, s15
	s_addc_u32 s11, s11, s20
	v_add_co_u32 v1, s10, s10, v1
	s_delay_alu instid0(VALU_DEP_1) | instskip(SKIP_2) | instid1(VALU_DEP_1)
	v_add_co_ci_u32_e64 v2, null, s11, 0, s10
	s_load_b32 s10, s[22:23], 0x0
	s_waitcnt lgkmcnt(0)
	v_mad_i64_i32 v[3:4], null, s12, s5, v[1:2]
	v_mad_i64_i32 v[9:10], null, s7, s5, v[1:2]
	;; [unrolled: 1-line block ×7, first 2 shown]
	s_clause 0x5
	global_load_b128 v[49:52], v[3:4], off
	global_load_b128 v[53:56], v[3:4], off offset:16
	global_load_b128 v[41:44], v[5:6], off
	global_load_b128 v[45:48], v[5:6], off offset:16
	;; [unrolled: 2-line block ×3, first 2 shown]
	s_mov_b32 s4, 0
	v_mad_i64_i32 v[61:62], null, s10, s5, v[1:2]
	s_clause 0x9
	global_load_b128 v[1:4], v[9:10], off
	global_load_b128 v[5:8], v[9:10], off offset:16
	global_load_b128 v[9:12], v[13:14], off
	global_load_b128 v[13:16], v[13:14], off offset:16
	;; [unrolled: 2-line block ×5, first 2 shown]
	s_mov_b32 s5, s4
	s_mov_b32 s6, s4
	s_mov_b32 s7, s4
	s_mov_b32 s8, s4
	s_mov_b32 s9, s4
	s_mov_b32 s10, s4
	s_mov_b32 s11, s4
	v_and_b32_e32 v104, 0xe0, v0
	v_dual_mov_b32 v126, s11 :: v_dual_mov_b32 v123, s8
	v_dual_mov_b32 v125, s10 :: v_dual_mov_b32 v124, s9
	s_delay_alu instid0(VALU_DEP_3)
	v_add_nc_u32_e32 v111, s16, v104
	ds_load_b128 v[103:106], v115
	ds_load_b128 v[107:110], v115 offset:1024
	v_dual_mov_b32 v122, s7 :: v_dual_mov_b32 v121, s6
	v_mov_b32_e32 v120, s5
	v_or_b32_e32 v135, v111, v66
	ds_load_b128 v[111:114], v115 offset:2048
	ds_load_b128 v[115:118], v115 offset:3072
	v_mov_b32_e32 v119, s4
	s_waitcnt vmcnt(0) lgkmcnt(0)
	s_barrier
	v_or_b32_e32 v137, 2, v135
	v_or_b32_e32 v138, 4, v135
	;; [unrolled: 1-line block ×3, first 2 shown]
	v_cmp_gt_i32_e32 vcc_lo, s18, v135
	v_or_b32_e32 v140, 8, v135
	v_cmp_gt_i32_e64 s3, s18, v137
	v_or_b32_e32 v141, 10, v135
	v_cmp_gt_i32_e64 s4, s18, v138
	v_cmp_gt_i32_e64 s5, s18, v139
	v_or_b32_e32 v142, 12, v135
	v_or_b32_e32 v143, 14, v135
	v_cmp_gt_i32_e64 s6, s18, v140
	v_cmp_gt_i32_e64 s7, s18, v141
	v_or_b32_e32 v144, 16, v135
	v_or_b32_e32 v145, 18, v135
	v_cmp_gt_i32_e64 s8, s18, v142
	v_cmp_gt_i32_e64 s9, s18, v143
	buffer_gl0_inv
	v_cmp_gt_i32_e64 s10, s18, v144
	v_cmp_gt_i32_e64 s11, s18, v145
	v_wmma_f32_16x16x16_f16 v[127:134], v[71:78], v[103:110], v[119:126]
	v_wmma_f32_16x16x16_f16 v[119:126], v[79:86], v[103:110], v[119:126]
	v_or_b32_e32 v71, 20, v135
	v_or_b32_e32 v72, 22, v135
	s_delay_alu instid0(VALU_DEP_4)
	v_wmma_f32_16x16x16_f16 v[127:134], v[87:94], v[111:118], v[127:134]
	v_or_b32_e32 v73, 24, v135
	v_wmma_f32_16x16x16_f16 v[119:126], v[95:102], v[111:118], v[119:126]
	v_or_b32_e32 v74, 26, v135
	v_cmp_gt_i32_e64 s12, s18, v71
	v_dual_mul_f32 v83, s19, v128 :: v_dual_mul_f32 v84, s19, v127
	s_delay_alu instid0(VALU_DEP_4) | instskip(SKIP_1) | instid1(VALU_DEP_3)
	v_dual_mul_f32 v81, s19, v130 :: v_dual_mul_f32 v92, s19, v119
	v_mul_f32_e32 v82, s19, v129
	v_cndmask_b32_e64 v83, 0xff7fffff, v83, s3
	s_delay_alu instid0(VALU_DEP_4)
	v_cndmask_b32_e32 v84, 0xff7fffff, v84, vcc_lo
	v_dual_mul_f32 v79, s19, v132 :: v_dual_mul_f32 v90, s19, v121
	v_mul_f32_e32 v80, s19, v131
	v_cndmask_b32_e64 v82, 0xff7fffff, v82, s4
	v_cndmask_b32_e64 v81, 0xff7fffff, v81, s5
	v_max3_f32 v83, v84, 0xff7fffff, v83
	v_dual_mul_f32 v77, s19, v134 :: v_dual_mul_f32 v88, s19, v123
	v_mul_f32_e32 v78, s19, v133
	v_cndmask_b32_e64 v80, 0xff7fffff, v80, s6
	v_cndmask_b32_e64 v79, 0xff7fffff, v79, s7
	v_max3_f32 v81, v83, v82, v81
	v_mul_f32_e32 v91, s19, v120
	v_cndmask_b32_e64 v78, 0xff7fffff, v78, s8
	v_cndmask_b32_e64 v77, 0xff7fffff, v77, s9
	v_mul_f32_e32 v89, s19, v122
	v_max3_f32 v79, v81, v80, v79
	v_cndmask_b32_e64 v80, 0xff7fffff, v92, s10
	v_cndmask_b32_e64 v81, 0xff7fffff, v91, s11
	v_cmp_gt_i32_e64 s13, s18, v72
	v_or_b32_e32 v75, 28, v135
	v_max3_f32 v77, v79, v78, v77
	v_or_b32_e32 v76, 30, v135
	v_mul_f32_e32 v87, s19, v124
	v_cndmask_b32_e64 v71, 0xff7fffff, v90, s12
	v_cndmask_b32_e64 v72, 0xff7fffff, v89, s13
	v_max3_f32 v77, v77, v80, v81
	v_cmp_gt_i32_e64 s15, s18, v73
	v_cmp_gt_i32_e64 s16, s18, v74
	v_dual_mul_f32 v85, s19, v126 :: v_dual_mul_f32 v86, s19, v125
	s_delay_alu instid0(VALU_DEP_4) | instskip(NEXT) | instid1(VALU_DEP_4)
	v_max3_f32 v71, v77, v71, v72
	v_cndmask_b32_e64 v73, 0xff7fffff, v88, s15
	s_delay_alu instid0(VALU_DEP_4) | instskip(SKIP_2) | instid1(VALU_DEP_3)
	v_cndmask_b32_e64 v74, 0xff7fffff, v87, s16
	v_cmp_gt_i32_e64 s17, s18, v75
	v_cmp_gt_i32_e64 s18, s18, v76
	v_max3_f32 v71, v71, v73, v74
	s_delay_alu instid0(VALU_DEP_3) | instskip(NEXT) | instid1(VALU_DEP_3)
	v_cndmask_b32_e64 v72, 0xff7fffff, v86, s17
	v_cndmask_b32_e64 v75, 0xff7fffff, v85, s18
	v_lshlrev_b32_e32 v73, 2, v136
	s_delay_alu instid0(VALU_DEP_2) | instskip(SKIP_3) | instid1(VALU_DEP_1)
	v_max3_f32 v71, v71, v72, v75
	ds_bpermute_b32 v72, v73, v71
	s_waitcnt lgkmcnt(0)
	v_max_f32_e32 v72, v72, v72
	v_max_f32_e32 v71, v71, v72
	s_delay_alu instid0(VALU_DEP_1)
	v_fma_f32 v72, s19, v127, -v71
	v_fma_f32 v74, s19, v128, -v71
	;; [unrolled: 1-line block ×5, first 2 shown]
	v_mul_f32_e32 v72, 0x3fb8aa3b, v72
	v_mul_f32_e32 v74, 0x3fb8aa3b, v74
	v_fma_f32 v80, s19, v133, -v71
	s_delay_alu instid0(VALU_DEP_4) | instskip(NEXT) | instid1(VALU_DEP_4)
	v_dual_mul_f32 v76, 0x3fb8aa3b, v76 :: v_dual_mul_f32 v77, 0x3fb8aa3b, v77
	v_exp_f32_e32 v72, v72
	s_delay_alu instid0(VALU_DEP_3) | instskip(NEXT) | instid1(VALU_DEP_2)
	v_exp_f32_e32 v74, v74
	v_mul_f32_e32 v82, 0x3fb8aa3b, v80
	s_delay_alu instid0(VALU_DEP_2) | instskip(SKIP_1) | instid1(VALU_DEP_1)
	v_exp_f32_e32 v76, v76
	v_exp_f32_e32 v77, v77
	;; [unrolled: 1-line block ×3, first 2 shown]
	v_cndmask_b32_e32 v79, 0, v72, vcc_lo
	v_fma_f32 v72, s19, v132, -v71
	v_mul_f32_e32 v75, 0x3fb8aa3b, v75
	v_cndmask_b32_e64 v78, 0, v74, s3
	s_delay_alu instid0(TRANS32_DEP_3)
	v_cndmask_b32_e64 v80, 0, v76, s5
	v_add_f32_e32 v74, 0, v79
	v_mul_f32_e32 v72, 0x3fb8aa3b, v72
	v_exp_f32_e32 v75, v75
	v_cndmask_b32_e64 v83, 0, v77, s6
	v_cndmask_b32_e64 v85, 0, v84, s8
	v_add_f32_e32 v74, v74, v78
	v_exp_f32_e32 v72, v72
	v_cmp_gt_u32_e64 s3, 16, v70
	s_waitcnt_depctr 0xfff
	v_cndmask_b32_e64 v81, 0, v75, s4
	v_cndmask_b32_e64 v82, 0, v72, s7
	s_delay_alu instid0(VALU_DEP_2) | instskip(NEXT) | instid1(VALU_DEP_1)
	v_add_f32_e32 v74, v74, v81
	v_add_f32_e32 v74, v74, v80
	s_delay_alu instid0(VALU_DEP_1) | instskip(SKIP_4) | instid1(VALU_DEP_4)
	v_add_f32_e32 v72, v74, v83
	v_fma_f32 v75, s19, v134, -v71
	v_fma_f32 v76, s19, v119, -v71
	;; [unrolled: 1-line block ×4, first 2 shown]
	v_dual_add_f32 v72, v72, v82 :: v_dual_mul_f32 v75, 0x3fb8aa3b, v75
	s_delay_alu instid0(VALU_DEP_3) | instskip(SKIP_1) | instid1(VALU_DEP_3)
	v_dual_mul_f32 v76, 0x3fb8aa3b, v76 :: v_dual_mul_f32 v77, 0x3fb8aa3b, v77
	v_fma_f32 v86, s19, v122, -v71
	v_add_f32_e32 v72, v72, v85
	s_delay_alu instid0(VALU_DEP_4) | instskip(NEXT) | instid1(VALU_DEP_3)
	v_exp_f32_e32 v75, v75
	v_exp_f32_e32 v76, v76
	;; [unrolled: 1-line block ×3, first 2 shown]
	v_mul_f32_e32 v86, 0x3fb8aa3b, v86
	s_delay_alu instid0(VALU_DEP_1) | instskip(SKIP_3) | instid1(TRANS32_DEP_3)
	v_exp_f32_e32 v88, v86
	v_cndmask_b32_e64 v84, 0, v75, s9
	v_fma_f32 v75, s19, v123, -v71
	v_mul_f32_e32 v74, 0x3fb8aa3b, v74
	v_cndmask_b32_e64 v87, 0, v76, s10
	v_fma_f32 v76, s19, v124, -v71
	s_delay_alu instid0(VALU_DEP_4) | instskip(NEXT) | instid1(VALU_DEP_4)
	v_dual_add_f32 v72, v72, v84 :: v_dual_mul_f32 v75, 0x3fb8aa3b, v75
	v_exp_f32_e32 v74, v74
	v_cndmask_b32_e64 v86, 0, v77, s11
	v_fma_f32 v77, s19, v125, -v71
	s_delay_alu instid0(VALU_DEP_3) | instskip(SKIP_3) | instid1(VALU_DEP_3)
	v_add_f32_e32 v72, v72, v87
	v_mul_f32_e32 v76, 0x3fb8aa3b, v76
	v_exp_f32_e32 v75, v75
	v_cndmask_b32_e64 v88, 0, v88, s13
	v_add_f32_e32 v72, v72, v86
	s_delay_alu instid0(VALU_DEP_3) | instskip(NEXT) | instid1(TRANS32_DEP_3)
	v_exp_f32_e32 v76, v76
	v_cndmask_b32_e64 v89, 0, v74, s12
	v_mul_f32_e32 v74, 0x3fb8aa3b, v77
	v_fma_f32 v77, s19, v126, -v71
	s_delay_alu instid0(VALU_DEP_3) | instskip(NEXT) | instid1(VALU_DEP_3)
	v_add_f32_e32 v72, v72, v89
	v_exp_f32_e32 v74, v74
	s_delay_alu instid0(TRANS32_DEP_3) | instskip(NEXT) | instid1(VALU_DEP_3)
	v_cndmask_b32_e64 v91, 0, v75, s15
	v_mul_f32_e32 v75, 0x3fb8aa3b, v77
	s_delay_alu instid0(TRANS32_DEP_2) | instskip(SKIP_1) | instid1(VALU_DEP_3)
	v_cndmask_b32_e64 v90, 0, v76, s16
	v_add_f32_e32 v72, v72, v88
	v_exp_f32_e32 v75, v75
	s_delay_alu instid0(VALU_DEP_1) | instskip(NEXT) | instid1(TRANS32_DEP_2)
	v_add_f32_e32 v72, v72, v91
	v_cndmask_b32_e64 v93, 0, v74, s17
	s_delay_alu instid0(VALU_DEP_2) | instskip(SKIP_3) | instid1(VALU_DEP_1)
	v_add_f32_e32 v72, v72, v90
	s_waitcnt_depctr 0xfff
	v_cndmask_b32_e64 v92, 0, v75, s18
	v_add_f32_e32 v72, v72, v93
	v_add_f32_e32 v72, v72, v92
	ds_bpermute_b32 v73, v73, v72
	s_and_saveexec_b32 s4, s3
	s_cbranch_execz .LBB1152_12
; %bb.11:
	v_mul_u32_u24_e32 v70, 0x44, v69
	s_waitcnt lgkmcnt(0)
	v_add_f32_e32 v72, v72, v73
	s_delay_alu instid0(VALU_DEP_2) | instskip(NEXT) | instid1(VALU_DEP_1)
	v_lshl_add_u32 v70, v68, 2, v70
	v_add_nc_u32_e32 v70, 0x4000, v70
	ds_store_2addr_b32 v70, v71, v72 offset1:136
.LBB1152_12:
	s_or_b32 exec_lo, exec_lo, s4
	v_lshlrev_b32_e32 v70, 2, v68
	s_load_b32 s36, s[0:1], 0x94
	s_waitcnt lgkmcnt(0)
	s_barrier
	buffer_gl0_inv
	v_add_nc_u32_e32 v98, 0x4000, v70
	v_cmp_eq_u32_e32 vcc_lo, 1, v69
	v_cmp_eq_u32_e64 s4, 2, v69
	v_cmp_eq_u32_e64 s5, 3, v69
	;; [unrolled: 1-line block ×3, first 2 shown]
	ds_load_2addr_b32 v[70:71], v98 offset1:17
	ds_load_2addr_b32 v[72:73], v98 offset0:34 offset1:51
	ds_load_2addr_b32 v[74:75], v98 offset0:68 offset1:85
	;; [unrolled: 1-line block ×3, first 2 shown]
	v_cmp_eq_u32_e64 s7, 5, v69
	v_cmp_eq_u32_e64 s8, 7, v69
	s_waitcnt lgkmcnt(3)
	v_max3_f32 v76, v70, 0xff7fffff, v71
	s_waitcnt lgkmcnt(2)
	s_delay_alu instid0(VALU_DEP_1) | instskip(SKIP_1) | instid1(VALU_DEP_1)
	v_max3_f32 v76, v76, v72, v73
	s_waitcnt lgkmcnt(1)
	v_max3_f32 v76, v76, v74, v75
	s_waitcnt lgkmcnt(0)
	s_delay_alu instid0(VALU_DEP_1) | instskip(NEXT) | instid1(VALU_DEP_1)
	v_max3_f32 v76, v76, v94, v95
	v_sub_f32_e32 v77, v71, v76
	ds_load_2addr_b32 v[96:97], v98 offset0:136 offset1:153
	v_sub_f32_e32 v74, v74, v76
	v_sub_f32_e32 v70, v70, v76
	;; [unrolled: 1-line block ×3, first 2 shown]
	v_dual_sub_f32 v72, v72, v76 :: v_dual_mul_f32 v77, 0x3fb8aa3b, v77
	s_delay_alu instid0(VALU_DEP_4) | instskip(NEXT) | instid1(VALU_DEP_4)
	v_mul_f32_e32 v103, 0x3fb8aa3b, v74
	v_mul_f32_e32 v99, 0x3fb8aa3b, v70
	ds_load_2addr_b32 v[70:71], v98 offset0:170 offset1:187
	v_dual_mul_f32 v101, 0x3fb8aa3b, v72 :: v_dual_mul_f32 v94, 0x3fb8aa3b, v94
	v_exp_f32_e32 v102, v77
	v_exp_f32_e32 v99, v99
	s_delay_alu instid0(VALU_DEP_1) | instskip(NEXT) | instid1(VALU_DEP_1)
	v_exp_f32_e32 v101, v101
	v_exp_f32_e32 v94, v94
	s_waitcnt lgkmcnt(1)
	s_delay_alu instid0(TRANS32_DEP_3)
	v_fma_f32 v77, v99, v96, 0
	v_sub_f32_e32 v100, v73, v76
	ds_load_2addr_b32 v[72:73], v98 offset0:204 offset1:221
	v_fmac_f32_e32 v77, v102, v97
	v_exp_f32_e32 v97, v103
	s_waitcnt lgkmcnt(1)
	s_delay_alu instid0(VALU_DEP_1)
	v_dual_fmac_f32 v77, v101, v70 :: v_dual_sub_f32 v96, v75, v76
	ds_load_2addr_b32 v[74:75], v98 offset0:238 offset1:255
	v_sub_f32_e32 v70, v95, v76
	s_waitcnt lgkmcnt(0)
	s_barrier
	v_mul_f32_e32 v96, 0x3fb8aa3b, v96
	buffer_gl0_inv
	v_exp_f32_e32 v95, v96
	v_mul_f32_e32 v100, 0x3fb8aa3b, v100
	s_delay_alu instid0(VALU_DEP_1) | instskip(SKIP_3) | instid1(VALU_DEP_2)
	v_exp_f32_e32 v100, v100
	s_waitcnt_depctr 0xfff
	v_dual_fmac_f32 v77, v100, v71 :: v_dual_mul_f32 v70, 0x3fb8aa3b, v70
	v_cndmask_b32_e32 v71, v99, v102, vcc_lo
	v_fmac_f32_e32 v77, v97, v72
	s_delay_alu instid0(VALU_DEP_3) | instskip(NEXT) | instid1(VALU_DEP_1)
	v_exp_f32_e32 v96, v70
	v_fmac_f32_e32 v77, v95, v73
	s_delay_alu instid0(VALU_DEP_1) | instskip(SKIP_2) | instid1(VALU_DEP_1)
	v_fmac_f32_e32 v77, v94, v74
	s_waitcnt_depctr 0xfff
	v_fmac_f32_e32 v77, v96, v75
	v_add_f32_e32 v74, 0x358637bd, v77
	s_delay_alu instid0(VALU_DEP_1) | instskip(SKIP_1) | instid1(VALU_DEP_2)
	v_div_scale_f32 v98, null, v74, v74, 1.0
	v_div_scale_f32 v99, vcc_lo, 1.0, v74, 1.0
	v_rcp_f32_e32 v103, v98
	s_waitcnt_depctr 0xfff
	v_fma_f32 v70, -v98, v103, 1.0
	s_delay_alu instid0(VALU_DEP_1) | instskip(SKIP_2) | instid1(VALU_DEP_2)
	v_fmac_f32_e32 v103, v70, v103
	v_cndmask_b32_e64 v70, v71, v101, s4
	v_cmp_eq_u32_e64 s4, 6, v69
	v_cndmask_b32_e64 v71, v70, v100, s5
	s_delay_alu instid0(VALU_DEP_4) | instskip(NEXT) | instid1(VALU_DEP_2)
	v_dual_mul_f32 v101, v99, v103 :: v_dual_lshlrev_b32 v70, 2, v66
	v_cndmask_b32_e64 v71, v71, v97, s6
	s_delay_alu instid0(VALU_DEP_2) | instskip(NEXT) | instid1(VALU_DEP_3)
	v_or_b32_e32 v72, 1, v70
	v_fma_f32 v100, -v98, v101, v99
	v_cmp_eq_u32_e64 s5, 1, v70
	v_cmp_eq_u32_e64 s6, 2, v70
	v_cndmask_b32_e64 v95, v71, v95, s7
	v_or_b32_e32 v71, 3, v70
	v_fmac_f32_e32 v101, v100, v103
	v_cmp_eq_u32_e64 s10, 1, v72
	v_cmp_eq_u32_e64 s13, 2, v72
	v_cndmask_b32_e64 v94, v95, v94, s4
	v_cmp_eq_u32_e64 s12, 1, v71
	v_fma_f32 v97, -v98, v101, v99
	v_cmp_eq_u32_e64 s17, 2, v71
	v_cmp_eq_u32_e64 s15, 3, v72
	v_cndmask_b32_e64 v94, v94, v96, s8
	v_cmp_eq_u32_e64 s19, 3, v71
	v_div_fmas_f32 v95, v97, v103, v101
	v_cmp_eq_u32_e32 vcc_lo, 3, v70
	v_cmp_eq_u32_e64 s4, 4, v70
	v_cmp_eq_u32_e64 s20, 4, v72
	;; [unrolled: 1-line block ×3, first 2 shown]
	v_div_fixup_f32 v95, v95, v74, 1.0
	v_lshlrev_b32_e32 v73, 6, v68
	v_cmp_eq_u32_e64 s7, 5, v70
	v_cmp_eq_u32_e64 s21, 5, v72
	;; [unrolled: 1-line block ×3, first 2 shown]
	v_mul_f32_e32 v102, v94, v95
	v_lshl_or_b32 v75, v69, 11, v73
	v_or_b32_e32 v69, 2, v70
	v_cmp_eq_u32_e64 s26, 6, v72
	v_cmp_eq_u32_e64 s28, 6, v71
	v_fma_mixlo_f16 v94, v102, v79, 0
	v_fma_mixlo_f16 v95, v102, v81, 0
	;; [unrolled: 1-line block ×8, first 2 shown]
	v_lshl_or_b32 v74, v66, 4, v75
	v_fma_mixhi_f16 v94, v102, v78, 0
	v_fma_mixhi_f16 v95, v102, v80, 0
	;; [unrolled: 1-line block ×8, first 2 shown]
	ds_store_b128 v74, v[94:97]
	ds_store_b128 v74, v[98:101] offset:1024
	s_waitcnt lgkmcnt(0)
	s_barrier
	buffer_gl0_inv
	ds_load_b128 v[78:81], v75
	ds_load_b128 v[82:85], v75 offset:16
	ds_load_b128 v[86:89], v75 offset:1024
	;; [unrolled: 1-line block ×3, first 2 shown]
	v_cmp_eq_u32_e64 s11, 1, v69
	v_cmp_eq_u32_e64 s16, 2, v69
	;; [unrolled: 1-line block ×11, first 2 shown]
	s_waitcnt lgkmcnt(3)
	v_lshrrev_b32_e32 v94, 16, v78
	s_waitcnt lgkmcnt(2)
	v_lshrrev_b32_e32 v98, 16, v82
	;; [unrolled: 2-line block ×4, first 2 shown]
	v_lshrrev_b32_e32 v95, 16, v79
	v_cndmask_b32_e64 v110, v78, v94, s5
	v_cndmask_b32_e64 v111, v82, v98, s5
	;; [unrolled: 1-line block ×8, first 2 shown]
	v_lshrrev_b32_e32 v99, 16, v83
	v_cndmask_b32_e64 v94, v86, v102, s5
	v_cndmask_b32_e64 v98, v90, v106, s5
	;; [unrolled: 1-line block ×15, first 2 shown]
	v_lshrrev_b32_e32 v103, 16, v87
	v_lshrrev_b32_e32 v107, 16, v91
	v_cndmask_b32_e64 v113, v115, v83, s16
	v_cndmask_b32_e64 v82, v94, v87, s6
	;; [unrolled: 1-line block ×7, first 2 shown]
	v_cndmask_b32_e32 v90, v102, v95, vcc_lo
	v_cndmask_b32_e32 v102, v106, v99, vcc_lo
	v_cndmask_b32_e64 v106, v110, v95, s15
	v_cndmask_b32_e64 v110, v111, v99, s15
	;; [unrolled: 1-line block ×4, first 2 shown]
	v_lshrrev_b32_e32 v96, 16, v80
	v_lshrrev_b32_e32 v100, 16, v84
	v_cndmask_b32_e64 v111, v112, v95, s18
	v_cndmask_b32_e64 v112, v113, v99, s18
	v_cndmask_b32_e32 v82, v82, v103, vcc_lo
	v_cndmask_b32_e32 v83, v83, v107, vcc_lo
	v_cndmask_b32_e64 v94, v94, v103, s15
	v_cndmask_b32_e64 v90, v90, v80, s4
	;; [unrolled: 1-line block ×7, first 2 shown]
	v_lshrrev_b32_e32 v104, 16, v88
	v_cndmask_b32_e64 v106, v111, v80, s22
	v_cndmask_b32_e64 v110, v112, v84, s22
	;; [unrolled: 1-line block ×11, first 2 shown]
	v_lshrrev_b32_e32 v97, 16, v81
	v_lshrrev_b32_e32 v101, 16, v85
	v_cndmask_b32_e64 v99, v106, v96, s24
	v_cndmask_b32_e64 v102, v110, v100, s24
	;; [unrolled: 1-line block ×7, first 2 shown]
	v_lshrrev_b32_e32 v105, 16, v89
	v_cndmask_b32_e64 v80, v80, v104, s7
	v_cndmask_b32_e64 v84, v84, v81, s8
	;; [unrolled: 1-line block ×16, first 2 shown]
	v_perm_b32 v81, v79, v78, 0x5040100
	v_perm_b32 v79, v95, v85, 0x5040100
	v_cndmask_b32_e64 v78, v119, v91, s16
	v_cndmask_b32_e64 v85, v117, v91, s13
	;; [unrolled: 1-line block ×3, first 2 shown]
	v_perm_b32 v80, v94, v90, 0x5040100
	v_cndmask_b32_e64 v90, v98, v103, s18
	v_cndmask_b32_e64 v86, v86, v103, s19
	v_cndmask_b32_e64 v87, v87, v107, s19
	v_cndmask_b32_e64 v78, v78, v107, s18
	v_cndmask_b32_e64 v85, v85, v107, s15
	v_lshrrev_b32_e32 v108, 16, v92
	v_cndmask_b32_e64 v90, v90, v88, s22
	v_cndmask_b32_e64 v86, v86, v88, s23
	v_cndmask_b32_e64 v87, v87, v92, s23
	v_cndmask_b32_e64 v78, v78, v92, s22
	v_cndmask_b32_e64 v85, v85, v92, s20
	v_cndmask_b32_e64 v82, v82, v108, s7
	v_cndmask_b32_e64 v88, v90, v104, s24
	v_cndmask_b32_e64 v86, v86, v104, s25
	v_cndmask_b32_e64 v87, v87, v108, s25
	v_cndmask_b32_e64 v78, v78, v108, s24
	v_cndmask_b32_e64 v85, v85, v108, s21
	v_lshrrev_b32_e32 v109, 16, v93
	v_cndmask_b32_e64 v82, v82, v93, s8
	v_cndmask_b32_e64 v88, v88, v89, s27
	;; [unrolled: 1-line block ×12, first 2 shown]
	v_perm_b32 v78, v84, v83, 0x5040100
	v_perm_b32 v85, v87, v86, 0x5040100
	;; [unrolled: 1-line block ×5, first 2 shown]
	s_mul_i32 s9, s35, 3
	s_mov_b32 s4, exec_lo
	ds_store_b128 v74, v[78:81]
	ds_store_b128 v74, v[82:85] offset:1024
	v_cmpx_gt_u32_e32 3, v0
	s_cbranch_execz .LBB1152_14
; %bb.13:
	s_mul_i32 s5, s9, s34
	s_load_b128 s[16:19], s[0:1], 0x58
	v_add3_u32 v68, s5, s33, v68
	s_delay_alu instid0(VALU_DEP_1) | instskip(NEXT) | instid1(VALU_DEP_1)
	v_mad_u64_u32 v[78:79], null, v68, s36, s[14:15]
	v_ashrrev_i32_e32 v79, 31, v78
	s_delay_alu instid0(VALU_DEP_1) | instskip(SKIP_1) | instid1(VALU_DEP_1)
	v_lshlrev_b64 v[78:79], 2, v[78:79]
	s_waitcnt lgkmcnt(0)
	v_add_co_u32 v80, vcc_lo, s18, v78
	s_delay_alu instid0(VALU_DEP_2)
	v_add_co_ci_u32_e32 v81, vcc_lo, s19, v79, vcc_lo
	v_add_co_u32 v78, vcc_lo, s16, v78
	v_add_co_ci_u32_e32 v79, vcc_lo, s17, v79, vcc_lo
	global_store_b32 v[80:81], v76, off
	global_store_b32 v[78:79], v77, off
.LBB1152_14:
	s_or_b32 exec_lo, exec_lo, s4
	s_waitcnt lgkmcnt(0)
	s_waitcnt_vscnt null, 0x0
	s_barrier
	buffer_gl0_inv
	ds_load_b128 v[84:87], v73
	ds_load_b128 v[88:91], v73 offset:16
	ds_load_b128 v[96:99], v73 offset:2064
	;; [unrolled: 1-line block ×5, first 2 shown]
	v_cmp_eq_u32_e32 vcc_lo, 1, v70
	v_mov_b32_e32 v76, 0
	ds_load_b128 v[112:115], v73 offset:6160
	ds_load_b128 v[108:111], v73 offset:6144
	;; [unrolled: 1-line block ×4, first 2 shown]
	v_cmp_eq_u32_e64 s5, 1, v69
	v_cmp_eq_u32_e64 s4, 1, v72
	;; [unrolled: 1-line block ×3, first 2 shown]
	v_mov_b32_e32 v77, v76
	v_mov_b32_e32 v78, v76
	;; [unrolled: 1-line block ×7, first 2 shown]
	v_cmp_eq_u32_e64 s7, 3, v72
	v_cmp_eq_u32_e64 s8, 7, v72
	s_waitcnt lgkmcnt(8)
	s_delay_alu instid0(VALU_DEP_3)
	v_wmma_f32_16x16x16_f16 v[76:83], v[49:56], v[84:91], v[76:83]
	ds_load_b128 v[53:56], v73 offset:10256
	ds_load_b128 v[49:52], v73 offset:10240
	s_waitcnt lgkmcnt(8)
	v_wmma_f32_16x16x16_f16 v[76:83], v[41:48], v[92:99], v[76:83]
	ds_load_b128 v[45:48], v73 offset:12304
	ds_load_b128 v[41:44], v73 offset:12288
	s_waitcnt lgkmcnt(8)
	;; [unrolled: 4-line block ×3, first 2 shown]
	s_barrier
	buffer_gl0_inv
	v_wmma_f32_16x16x16_f16 v[76:83], v[1:8], v[108:115], v[76:83]
	s_delay_alu instid0(VALU_DEP_1) | instskip(NEXT) | instid1(VALU_DEP_1)
	v_wmma_f32_16x16x16_f16 v[76:83], v[9:16], v[116:123], v[76:83]
	v_wmma_f32_16x16x16_f16 v[76:83], v[17:24], v[49:56], v[76:83]
	s_delay_alu instid0(VALU_DEP_1) | instskip(NEXT) | instid1(VALU_DEP_1)
	v_wmma_f32_16x16x16_f16 v[76:83], v[25:32], v[41:48], v[76:83]
	v_wmma_f32_16x16x16_f16 v[76:83], v[57:64], v[33:40], v[76:83]
	s_delay_alu instid0(VALU_DEP_1) | instskip(NEXT) | instid1(VALU_DEP_2)
	v_cvt_f16_f32_e32 v1, v76
	v_cvt_f16_f32_e32 v2, v77
	s_delay_alu instid0(VALU_DEP_3) | instskip(NEXT) | instid1(VALU_DEP_4)
	v_cvt_f16_f32_e32 v3, v78
	v_cvt_f16_f32_e32 v4, v79
	;; [unrolled: 1-line block ×6, first 2 shown]
	v_pack_b32_f16 v1, v1, v2
	v_pack_b32_f16 v2, v3, v4
	;; [unrolled: 1-line block ×3, first 2 shown]
	s_delay_alu instid0(VALU_DEP_4)
	v_pack_b32_f16 v4, v7, v8
	ds_store_b128 v74, v[1:4]
	s_waitcnt lgkmcnt(0)
	s_barrier
	buffer_gl0_inv
	ds_load_b128 v[1:4], v75
	ds_load_b128 v[5:8], v75 offset:16
	s_waitcnt lgkmcnt(1)
	v_lshrrev_b32_e32 v9, 16, v1
	s_waitcnt lgkmcnt(0)
	v_lshrrev_b32_e32 v13, 16, v5
	v_lshrrev_b32_e32 v10, 16, v2
	;; [unrolled: 1-line block ×4, first 2 shown]
	v_cndmask_b32_e32 v17, v1, v9, vcc_lo
	v_cndmask_b32_e32 v18, v5, v13, vcc_lo
	v_cndmask_b32_e64 v21, v1, v9, s5
	v_cmp_eq_u32_e32 vcc_lo, 1, v71
	v_cndmask_b32_e64 v22, v5, v13, s5
	v_cmp_eq_u32_e64 s5, 2, v70
	v_cndmask_b32_e64 v19, v1, v9, s4
	v_cndmask_b32_e64 v20, v5, v13, s4
	v_cndmask_b32_e32 v1, v1, v9, vcc_lo
	v_cmp_eq_u32_e64 s4, 2, v71
	v_cndmask_b32_e32 v5, v5, v13, vcc_lo
	v_cndmask_b32_e64 v9, v17, v2, s5
	v_cmp_eq_u32_e32 vcc_lo, 3, v70
	v_cndmask_b32_e64 v13, v18, v6, s5
	v_cmp_eq_u32_e64 s5, 2, v69
	v_cndmask_b32_e64 v17, v19, v2, s6
	v_cndmask_b32_e64 v18, v20, v6, s6
	v_cmp_eq_u32_e64 s6, 3, v69
	v_cndmask_b32_e64 v1, v1, v2, s4
	v_cndmask_b32_e64 v19, v21, v2, s5
	;; [unrolled: 1-line block ×4, first 2 shown]
	v_cndmask_b32_e32 v5, v9, v10, vcc_lo
	v_cndmask_b32_e32 v6, v13, v14, vcc_lo
	v_cmp_eq_u32_e32 vcc_lo, 3, v71
	v_cndmask_b32_e64 v9, v17, v10, s7
	v_cndmask_b32_e64 v13, v18, v14, s7
	;; [unrolled: 1-line block ×3, first 2 shown]
	v_cmp_eq_u32_e64 s5, 4, v70
	v_cndmask_b32_e32 v1, v1, v10, vcc_lo
	v_cndmask_b32_e32 v2, v2, v14, vcc_lo
	v_cmp_eq_u32_e32 vcc_lo, 4, v72
	v_lshrrev_b32_e32 v15, 16, v7
	v_lshrrev_b32_e32 v16, 16, v8
	v_cndmask_b32_e64 v17, v19, v10, s6
	v_cmp_eq_u32_e64 s4, 4, v71
	v_cndmask_b32_e64 v5, v5, v3, s5
	v_cndmask_b32_e64 v6, v6, v7, s5
	v_cndmask_b32_e32 v9, v9, v3, vcc_lo
	v_cmp_eq_u32_e64 s5, 5, v72
	v_cndmask_b32_e32 v10, v13, v7, vcc_lo
	v_cmp_eq_u32_e32 vcc_lo, 4, v69
	v_cmp_eq_u32_e64 s6, 5, v70
	v_cndmask_b32_e64 v2, v2, v7, s4
	v_cndmask_b32_e64 v9, v9, v11, s5
	;; [unrolled: 1-line block ×3, first 2 shown]
	v_cndmask_b32_e32 v13, v17, v3, vcc_lo
	v_cmp_eq_u32_e64 s5, 5, v69
	v_cndmask_b32_e32 v14, v18, v7, vcc_lo
	v_cndmask_b32_e64 v1, v1, v3, s4
	v_cmp_eq_u32_e32 vcc_lo, 5, v71
	v_lshrrev_b32_e32 v12, 16, v4
	v_cndmask_b32_e64 v13, v13, v11, s5
	v_cndmask_b32_e64 v3, v14, v15, s5
	v_cmp_eq_u32_e64 s5, 6, v71
	v_cndmask_b32_e32 v1, v1, v11, vcc_lo
	v_cndmask_b32_e64 v5, v5, v11, s6
	v_cmp_eq_u32_e64 s7, 6, v70
	v_cndmask_b32_e64 v6, v6, v15, s6
	v_cmp_eq_u32_e64 s6, 6, v72
	v_cmp_eq_u32_e64 s4, 6, v69
	v_cndmask_b32_e64 v1, v1, v4, s5
	v_cndmask_b32_e32 v2, v2, v15, vcc_lo
	v_cmp_eq_u32_e32 vcc_lo, 7, v71
	v_cndmask_b32_e64 v5, v5, v4, s7
	v_cndmask_b32_e64 v9, v9, v4, s6
	;; [unrolled: 1-line block ×3, first 2 shown]
	v_cmp_eq_u32_e64 s7, 7, v70
	v_cndmask_b32_e32 v1, v1, v12, vcc_lo
	v_cndmask_b32_e64 v7, v13, v4, s4
	v_cndmask_b32_e64 v3, v3, v8, s4
	;; [unrolled: 1-line block ×3, first 2 shown]
	v_cmp_eq_u32_e64 s4, 7, v69
	v_cndmask_b32_e64 v4, v10, v8, s6
	v_cndmask_b32_e64 v5, v5, v12, s7
	;; [unrolled: 1-line block ×3, first 2 shown]
	v_cndmask_b32_e32 v2, v2, v16, vcc_lo
	v_cndmask_b32_e64 v7, v7, v12, s4
	v_cndmask_b32_e64 v3, v3, v16, s4
	;; [unrolled: 1-line block ×4, first 2 shown]
	v_cmp_gt_u32_e32 vcc_lo, 32, v0
	v_perm_b32 v4, v2, v1, 0x5040100
	v_perm_b32 v3, v3, v7, 0x5040100
	;; [unrolled: 1-line block ×4, first 2 shown]
	s_and_b32 s2, vcc_lo, s2
	ds_store_b128 v74, v[1:4]
	s_waitcnt lgkmcnt(0)
	s_barrier
	buffer_gl0_inv
	s_and_saveexec_b32 s4, s2
	s_cbranch_execz .LBB1152_2
; %bb.15:
	s_load_b64 s[4:5], s[0:1], 0x68
	v_lshlrev_b32_e32 v0, 10, v0
	v_lshlrev_b32_e32 v2, 4, v67
	v_add_nc_u32_e32 v1, s33, v66
	s_lshl_b32 s0, s36, 6
	s_delay_alu instid0(SALU_CYCLE_1) | instskip(NEXT) | instid1(VALU_DEP_2)
	s_mul_i32 s1, s0, s34
	v_and_or_b32 v0, 0x3800, v0, v2
	s_mul_i32 s6, s1, s9
	v_mul_lo_u32 v1, v1, s0
	s_ashr_i32 s7, s6, 31
	s_delay_alu instid0(VALU_DEP_2) | instskip(SKIP_1) | instid1(VALU_DEP_2)
	v_lshl_or_b32 v3, v66, 6, v0
	s_lshl_b64 s[6:7], s[6:7], 1
	v_ashrrev_i32_e32 v2, 31, v1
	ds_load_b128 v[3:6], v3
	s_waitcnt lgkmcnt(0)
	s_add_u32 s1, s4, s6
	s_addc_u32 s2, s5, s7
	s_lshl_b32 s4, s14, 6
	v_lshlrev_b64 v[7:8], 1, v[1:2]
	s_ashr_i32 s5, s4, 31
	s_delay_alu instid0(SALU_CYCLE_1) | instskip(NEXT) | instid1(SALU_CYCLE_1)
	s_lshl_b64 s[4:5], s[4:5], 1
	s_add_u32 s1, s1, s4
	s_addc_u32 s2, s2, s5
	v_add_co_u32 v1, s1, s1, v65
	s_delay_alu instid0(VALU_DEP_1) | instskip(NEXT) | instid1(VALU_DEP_2)
	v_add_co_ci_u32_e64 v2, null, s2, 0, s1
	v_add_co_u32 v7, vcc_lo, v1, v7
	s_delay_alu instid0(VALU_DEP_2)
	v_add_co_ci_u32_e32 v8, vcc_lo, v2, v8, vcc_lo
	global_store_b128 v[7:8], v[3:6], off
	s_and_b32 exec_lo, exec_lo, s3
	s_cbranch_execz .LBB1152_2
; %bb.16:
	ds_load_b128 v[3:6], v0 offset:128
	s_add_i32 s1, s33, 2
	s_delay_alu instid0(SALU_CYCLE_1) | instskip(NEXT) | instid1(SALU_CYCLE_1)
	s_mul_i32 s0, s1, s0
	s_ashr_i32 s1, s0, 31
	s_delay_alu instid0(SALU_CYCLE_1) | instskip(NEXT) | instid1(SALU_CYCLE_1)
	s_lshl_b64 s[0:1], s[0:1], 1
	v_add_co_u32 v0, vcc_lo, v1, s0
	v_add_co_ci_u32_e32 v1, vcc_lo, s1, v2, vcc_lo
	s_waitcnt lgkmcnt(0)
	global_store_b128 v[0:1], v[3:6], off
	s_nop 0
	s_sendmsg sendmsg(MSG_DEALLOC_VGPRS)
	s_endpgm
	.section	.rodata,"a",@progbits
	.p2align	6, 0x0
	.amdhsa_kernel _Z39paged_attention_ll4mi_QKV_mfma16_kernelIDF16_hLN4vllm18Fp8KVCacheDataTypeE1EDF16_Li16ELi64ELi256ELb0ELi3EL8MFMAType0EEvPKT_PKT0_S8_ifPKiSA_SA_iPKfiiiPfSD_PS3_PT2_iSC_SC_
		.amdhsa_group_segment_fixed_size 17472
		.amdhsa_private_segment_fixed_size 0
		.amdhsa_kernarg_size 400
		.amdhsa_user_sgpr_count 13
		.amdhsa_user_sgpr_dispatch_ptr 0
		.amdhsa_user_sgpr_queue_ptr 0
		.amdhsa_user_sgpr_kernarg_segment_ptr 1
		.amdhsa_user_sgpr_dispatch_id 0
		.amdhsa_user_sgpr_private_segment_size 0
		.amdhsa_wavefront_size32 1
		.amdhsa_uses_dynamic_stack 0
		.amdhsa_enable_private_segment 0
		.amdhsa_system_sgpr_workgroup_id_x 1
		.amdhsa_system_sgpr_workgroup_id_y 1
		.amdhsa_system_sgpr_workgroup_id_z 1
		.amdhsa_system_sgpr_workgroup_info 0
		.amdhsa_system_vgpr_workitem_id 0
		.amdhsa_next_free_vgpr 146
		.amdhsa_next_free_sgpr 37
		.amdhsa_reserve_vcc 1
		.amdhsa_float_round_mode_32 0
		.amdhsa_float_round_mode_16_64 0
		.amdhsa_float_denorm_mode_32 3
		.amdhsa_float_denorm_mode_16_64 3
		.amdhsa_dx10_clamp 1
		.amdhsa_ieee_mode 1
		.amdhsa_fp16_overflow 0
		.amdhsa_workgroup_processor_mode 1
		.amdhsa_memory_ordered 1
		.amdhsa_forward_progress 0
		.amdhsa_shared_vgpr_count 0
		.amdhsa_exception_fp_ieee_invalid_op 0
		.amdhsa_exception_fp_denorm_src 0
		.amdhsa_exception_fp_ieee_div_zero 0
		.amdhsa_exception_fp_ieee_overflow 0
		.amdhsa_exception_fp_ieee_underflow 0
		.amdhsa_exception_fp_ieee_inexact 0
		.amdhsa_exception_int_div_zero 0
	.end_amdhsa_kernel
	.section	.text._Z39paged_attention_ll4mi_QKV_mfma16_kernelIDF16_hLN4vllm18Fp8KVCacheDataTypeE1EDF16_Li16ELi64ELi256ELb0ELi3EL8MFMAType0EEvPKT_PKT0_S8_ifPKiSA_SA_iPKfiiiPfSD_PS3_PT2_iSC_SC_,"axG",@progbits,_Z39paged_attention_ll4mi_QKV_mfma16_kernelIDF16_hLN4vllm18Fp8KVCacheDataTypeE1EDF16_Li16ELi64ELi256ELb0ELi3EL8MFMAType0EEvPKT_PKT0_S8_ifPKiSA_SA_iPKfiiiPfSD_PS3_PT2_iSC_SC_,comdat
.Lfunc_end1152:
	.size	_Z39paged_attention_ll4mi_QKV_mfma16_kernelIDF16_hLN4vllm18Fp8KVCacheDataTypeE1EDF16_Li16ELi64ELi256ELb0ELi3EL8MFMAType0EEvPKT_PKT0_S8_ifPKiSA_SA_iPKfiiiPfSD_PS3_PT2_iSC_SC_, .Lfunc_end1152-_Z39paged_attention_ll4mi_QKV_mfma16_kernelIDF16_hLN4vllm18Fp8KVCacheDataTypeE1EDF16_Li16ELi64ELi256ELb0ELi3EL8MFMAType0EEvPKT_PKT0_S8_ifPKiSA_SA_iPKfiiiPfSD_PS3_PT2_iSC_SC_
                                        ; -- End function
	.section	.AMDGPU.csdata,"",@progbits
; Kernel info:
; codeLenInByte = 6428
; NumSgprs: 39
; NumVgprs: 146
; ScratchSize: 0
; MemoryBound: 0
; FloatMode: 240
; IeeeMode: 1
; LDSByteSize: 17472 bytes/workgroup (compile time only)
; SGPRBlocks: 4
; VGPRBlocks: 18
; NumSGPRsForWavesPerEU: 39
; NumVGPRsForWavesPerEU: 146
; Occupancy: 9
; WaveLimiterHint : 1
; COMPUTE_PGM_RSRC2:SCRATCH_EN: 0
; COMPUTE_PGM_RSRC2:USER_SGPR: 13
; COMPUTE_PGM_RSRC2:TRAP_HANDLER: 0
; COMPUTE_PGM_RSRC2:TGID_X_EN: 1
; COMPUTE_PGM_RSRC2:TGID_Y_EN: 1
; COMPUTE_PGM_RSRC2:TGID_Z_EN: 1
; COMPUTE_PGM_RSRC2:TIDIG_COMP_CNT: 0
	.section	.text._Z39paged_attention_ll4mi_QKV_mfma16_kernelIDF16_hLN4vllm18Fp8KVCacheDataTypeE1EDF16_Li16ELi64ELi256ELb0ELi4EL8MFMAType0EEvPKT_PKT0_S8_ifPKiSA_SA_iPKfiiiPfSD_PS3_PT2_iSC_SC_,"axG",@progbits,_Z39paged_attention_ll4mi_QKV_mfma16_kernelIDF16_hLN4vllm18Fp8KVCacheDataTypeE1EDF16_Li16ELi64ELi256ELb0ELi4EL8MFMAType0EEvPKT_PKT0_S8_ifPKiSA_SA_iPKfiiiPfSD_PS3_PT2_iSC_SC_,comdat
	.protected	_Z39paged_attention_ll4mi_QKV_mfma16_kernelIDF16_hLN4vllm18Fp8KVCacheDataTypeE1EDF16_Li16ELi64ELi256ELb0ELi4EL8MFMAType0EEvPKT_PKT0_S8_ifPKiSA_SA_iPKfiiiPfSD_PS3_PT2_iSC_SC_ ; -- Begin function _Z39paged_attention_ll4mi_QKV_mfma16_kernelIDF16_hLN4vllm18Fp8KVCacheDataTypeE1EDF16_Li16ELi64ELi256ELb0ELi4EL8MFMAType0EEvPKT_PKT0_S8_ifPKiSA_SA_iPKfiiiPfSD_PS3_PT2_iSC_SC_
	.globl	_Z39paged_attention_ll4mi_QKV_mfma16_kernelIDF16_hLN4vllm18Fp8KVCacheDataTypeE1EDF16_Li16ELi64ELi256ELb0ELi4EL8MFMAType0EEvPKT_PKT0_S8_ifPKiSA_SA_iPKfiiiPfSD_PS3_PT2_iSC_SC_
	.p2align	8
	.type	_Z39paged_attention_ll4mi_QKV_mfma16_kernelIDF16_hLN4vllm18Fp8KVCacheDataTypeE1EDF16_Li16ELi64ELi256ELb0ELi4EL8MFMAType0EEvPKT_PKT0_S8_ifPKiSA_SA_iPKfiiiPfSD_PS3_PT2_iSC_SC_,@function
_Z39paged_attention_ll4mi_QKV_mfma16_kernelIDF16_hLN4vllm18Fp8KVCacheDataTypeE1EDF16_Li16ELi64ELi256ELb0ELi4EL8MFMAType0EEvPKT_PKT0_S8_ifPKiSA_SA_iPKfiiiPfSD_PS3_PT2_iSC_SC_: ; @_Z39paged_attention_ll4mi_QKV_mfma16_kernelIDF16_hLN4vllm18Fp8KVCacheDataTypeE1EDF16_Li16ELi64ELi256ELb0ELi4EL8MFMAType0EEvPKT_PKT0_S8_ifPKiSA_SA_iPKfiiiPfSD_PS3_PT2_iSC_SC_
; %bb.0:
	s_load_b64 s[2:3], s[0:1], 0x30
	s_mov_b32 s34, s13
	s_waitcnt lgkmcnt(0)
	s_cmp_lg_u64 s[2:3], 0
	s_cselect_b32 s8, -1, 0
	s_ashr_i32 s35, s13, 31
	s_cmp_eq_u64 s[2:3], 0
	s_cbranch_scc1 .LBB1153_3
; %bb.1:
	s_lshl_b64 s[4:5], s[34:35], 2
	s_delay_alu instid0(SALU_CYCLE_1) | instskip(SKIP_4) | instid1(SALU_CYCLE_1)
	s_add_u32 s4, s2, s4
	s_addc_u32 s5, s3, s5
	s_load_b64 s[4:5], s[4:5], 0x0
	s_waitcnt lgkmcnt(0)
	s_sub_i32 s4, s5, s4
	s_cmp_eq_u32 s4, 1
	s_cselect_b32 s4, -1, 0
	s_delay_alu instid0(SALU_CYCLE_1)
	s_and_not1_b32 vcc_lo, exec_lo, s4
	s_cbranch_vccz .LBB1153_4
.LBB1153_2:
	s_endpgm
.LBB1153_3:
.LBB1153_4:
	s_load_b64 s[4:5], s[0:1], 0x28
	s_lshl_b64 s[6:7], s[34:35], 2
	s_waitcnt lgkmcnt(0)
	s_add_u32 s4, s4, s6
	s_addc_u32 s5, s5, s7
	s_lshl_b32 s12, s14, 8
	s_load_b32 s24, s[4:5], 0x0
	s_waitcnt lgkmcnt(0)
	s_cmp_ge_i32 s12, s24
	s_cbranch_scc1 .LBB1153_2
; %bb.5:
	s_clause 0x1
	s_load_b128 s[20:23], s[0:1], 0x8
	s_load_b64 s[4:5], s[0:1], 0x20
	s_and_not1_b32 vcc_lo, exec_lo, s8
	s_cbranch_vccnz .LBB1153_7
; %bb.6:
	s_add_u32 s2, s2, s6
	s_addc_u32 s3, s3, s7
	s_load_b32 s3, s[2:3], 0x0
	s_branch .LBB1153_8
.LBB1153_7:
	s_mov_b32 s3, s34
.LBB1153_8:
	s_load_b128 s[16:19], s[0:1], 0x48
	v_and_b32_e32 v69, 15, v0
	v_cmp_gt_u32_e32 vcc_lo, 64, v0
	v_lshrrev_b32_e32 v68, 5, v0
	v_and_b32_e32 v70, 31, v0
	v_and_b32_e32 v66, 1, v0
	v_lshlrev_b32_e32 v1, 3, v69
	v_cmp_gt_u32_e64 s2, 8, v69
	v_bfe_u32 v67, v0, 4, 1
	s_lshl_b32 s31, s15, 2
	s_delay_alu instid0(VALU_DEP_3) | instskip(NEXT) | instid1(VALU_DEP_3)
	v_lshlrev_b32_e32 v65, 1, v1
	s_and_b32 s7, vcc_lo, s2
	s_delay_alu instid0(SALU_CYCLE_1)
	s_and_saveexec_b32 s6, s7
	s_cbranch_execz .LBB1153_10
; %bb.9:
	v_lshl_or_b32 v5, v68, 1, v67
	s_load_b64 s[8:9], s[0:1], 0x0
	s_waitcnt lgkmcnt(0)
	s_mul_hi_i32 s11, s3, s16
	s_mul_i32 s10, s3, s16
	v_lshlrev_b32_e32 v6, 10, v69
	v_or_b32_e32 v1, s31, v5
	s_lshl_b64 s[10:11], s[10:11], 1
	v_lshlrev_b32_e32 v5, 6, v5
	v_lshlrev_b32_e32 v7, 10, v66
	v_and_b32_e32 v6, 0x3800, v6
	v_lshlrev_b32_e32 v1, 6, v1
	s_delay_alu instid0(VALU_DEP_2) | instskip(NEXT) | instid1(VALU_DEP_2)
	v_or3_b32 v5, v6, v7, v5
	v_ashrrev_i32_e32 v2, 31, v1
	s_delay_alu instid0(VALU_DEP_1) | instskip(SKIP_2) | instid1(VALU_DEP_1)
	v_lshlrev_b64 v[1:2], 1, v[1:2]
	s_add_u32 s3, s8, s10
	s_addc_u32 s7, s9, s11
	v_add_co_u32 v1, vcc_lo, s3, v1
	s_delay_alu instid0(VALU_DEP_2) | instskip(NEXT) | instid1(VALU_DEP_2)
	v_add_co_ci_u32_e32 v2, vcc_lo, s7, v2, vcc_lo
	v_add_co_u32 v1, vcc_lo, v1, v65
	s_delay_alu instid0(VALU_DEP_2)
	v_add_co_ci_u32_e32 v2, vcc_lo, 0, v2, vcc_lo
	global_load_b128 v[1:4], v[1:2], off
	s_waitcnt vmcnt(0)
	ds_store_b128 v5, v[1:4]
.LBB1153_10:
	s_or_b32 exec_lo, exec_lo, s6
	v_and_b32_e32 v1, 0xef, v0
	s_waitcnt lgkmcnt(0)
	s_add_i32 s3, s24, 15
	s_clause 0x1
	s_load_b32 s6, s[0:1], 0x38
	s_load_b32 s33, s[0:1], 0x98
	s_ashr_i32 s7, s3, 31
	v_add_nc_u32_e32 v1, s12, v1
	s_lshr_b32 s7, s7, 28
	s_load_b32 s19, s[0:1], 0x1c
	s_add_i32 s3, s3, s7
	s_waitcnt lgkmcnt(0)
	v_ashrrev_i32_e32 v2, 31, v1
	v_or_b32_e32 v3, 16, v1
	s_ashr_i32 s3, s3, 4
	v_cmp_gt_i32_e32 vcc_lo, s24, v1
	s_add_i32 s3, s3, -1
	v_lshrrev_b32_e32 v2, 28, v2
	s_barrier
	buffer_gl0_inv
	s_mul_i32 s27, s15, s18
	v_add_nc_u32_e32 v4, v1, v2
	s_mul_i32 s6, s34, s6
	s_delay_alu instid0(SALU_CYCLE_1) | instskip(NEXT) | instid1(VALU_DEP_1)
	s_ashr_i32 s7, s6, 31
	v_ashrrev_i32_e32 v4, 4, v4
	v_add_nc_u32_e32 v2, v3, v2
	s_lshl_b64 s[6:7], s[6:7], 2
	s_delay_alu instid0(SALU_CYCLE_1) | instskip(NEXT) | instid1(VALU_DEP_2)
	s_add_u32 s26, s4, s6
	v_cndmask_b32_e32 v1, s3, v4, vcc_lo
	s_delay_alu instid0(VALU_DEP_2)
	v_ashrrev_i32_e32 v2, 4, v2
	v_cmp_gt_i32_e32 vcc_lo, s24, v3
	s_addc_u32 s25, s5, s7
	s_ashr_i32 s28, s27, 31
	s_add_u32 s13, s20, s27
	s_addc_u32 s15, s21, s28
	v_cndmask_b32_e32 v3, s3, v2, vcc_lo
	v_ashrrev_i32_e32 v2, 31, v1
	s_lshl_b32 s4, s14, 4
	s_delay_alu instid0(SALU_CYCLE_1) | instskip(NEXT) | instid1(VALU_DEP_2)
	s_ashr_i32 s5, s4, 31
	v_ashrrev_i32_e32 v4, 31, v3
	s_delay_alu instid0(VALU_DEP_2) | instskip(SKIP_1) | instid1(SALU_CYCLE_1)
	v_lshlrev_b64 v[1:2], 2, v[1:2]
	s_lshl_b64 s[4:5], s[4:5], 2
	s_add_u32 s4, s26, s4
	s_delay_alu instid0(VALU_DEP_2) | instskip(SKIP_1) | instid1(VALU_DEP_2)
	v_lshlrev_b64 v[3:4], 2, v[3:4]
	s_addc_u32 s5, s25, s5
	v_add_co_u32 v1, vcc_lo, s26, v1
	v_add_co_ci_u32_e32 v2, vcc_lo, s25, v2, vcc_lo
	s_delay_alu instid0(VALU_DEP_3) | instskip(NEXT) | instid1(VALU_DEP_4)
	v_add_co_u32 v3, vcc_lo, s26, v3
	v_add_co_ci_u32_e32 v4, vcc_lo, s25, v4, vcc_lo
	s_clause 0x1
	global_load_b32 v5, v[1:2], off
	global_load_b32 v7, v[3:4], off
	s_or_b32 s6, s12, 32
	v_lshlrev_b32_e32 v1, 4, v0
	s_ashr_i32 s7, s6, 4
	s_cmp_lt_i32 s6, s24
	s_cselect_b32 s6, s7, s3
	s_delay_alu instid0(VALU_DEP_1) | instskip(SKIP_1) | instid1(SALU_CYCLE_1)
	v_and_b32_e32 v1, 0xf0, v1
	s_ashr_i32 s7, s6, 31
	s_lshl_b64 s[6:7], s[6:7], 2
	s_delay_alu instid0(SALU_CYCLE_1)
	s_add_u32 s6, s26, s6
	s_addc_u32 s7, s25, s7
	s_or_b32 s8, s12, 64
	v_add_co_u32 v1, s13, s13, v1
	s_ashr_i32 s9, s8, 4
	s_cmp_lt_i32 s8, s24
	v_add_co_ci_u32_e64 v2, null, s15, 0, s13
	s_cselect_b32 s8, s9, s3
	s_delay_alu instid0(SALU_CYCLE_1) | instskip(NEXT) | instid1(SALU_CYCLE_1)
	s_ashr_i32 s9, s8, 31
	s_lshl_b64 s[8:9], s[8:9], 2
	s_delay_alu instid0(SALU_CYCLE_1) | instskip(SKIP_2) | instid1(SALU_CYCLE_1)
	s_add_u32 s8, s26, s8
	s_addc_u32 s9, s25, s9
	s_or_b32 s10, s12, 0x60
	s_ashr_i32 s11, s10, 4
	s_cmp_lt_i32 s10, s24
	s_cselect_b32 s10, s11, s3
	s_delay_alu instid0(SALU_CYCLE_1) | instskip(NEXT) | instid1(SALU_CYCLE_1)
	s_ashr_i32 s11, s10, 31
	s_lshl_b64 s[10:11], s[10:11], 2
	s_delay_alu instid0(SALU_CYCLE_1) | instskip(SKIP_2) | instid1(SALU_CYCLE_1)
	s_add_u32 s10, s26, s10
	s_addc_u32 s11, s25, s11
	s_or_b32 s16, s12, 0x80
	s_ashr_i32 s18, s16, 4
	s_cmp_lt_i32 s16, s24
	;; [unrolled: 10-line block ×3, first 2 shown]
	s_cselect_b32 s20, s18, s3
	s_delay_alu instid0(SALU_CYCLE_1) | instskip(NEXT) | instid1(SALU_CYCLE_1)
	s_ashr_i32 s21, s20, 31
	s_lshl_b64 s[20:21], s[20:21], 2
	s_delay_alu instid0(SALU_CYCLE_1)
	s_add_u32 s38, s26, s20
	s_addc_u32 s39, s25, s21
	s_clause 0x5
	s_load_b32 s21, s[4:5], 0x0
	s_load_b32 s13, s[6:7], 0x0
	;; [unrolled: 1-line block ×6, first 2 shown]
	s_or_b32 s7, s12, 0xc0
	s_mov_b32 s4, 0
	s_ashr_i32 s8, s7, 4
	s_cmp_lt_i32 s7, s24
	s_mov_b32 s5, s4
	s_cselect_b32 s10, s8, s3
	s_mov_b32 s6, s4
	s_ashr_i32 s11, s10, 31
	s_mov_b32 s7, s4
	s_lshl_b64 s[36:37], s[10:11], 2
	s_mov_b32 s11, s4
	s_add_u32 s36, s26, s36
	s_addc_u32 s37, s25, s37
	s_or_b32 s29, s12, 0xe0
	s_mov_b32 s8, s4
	s_ashr_i32 s30, s29, 4
	s_mov_b32 s9, s4
	s_mov_b32 s10, s4
	s_cmp_lt_i32 s29, s24
	v_mov_b32_e32 v102, s11
	v_dual_mov_b32 v96, s5 :: v_dual_mov_b32 v101, s10
	v_dual_mov_b32 v100, s9 :: v_dual_mov_b32 v99, s8
	;; [unrolled: 1-line block ×3, first 2 shown]
	v_mov_b32_e32 v95, s4
	s_cselect_b32 s4, s30, s3
	s_delay_alu instid0(SALU_CYCLE_1) | instskip(NEXT) | instid1(SALU_CYCLE_1)
	s_ashr_i32 s5, s4, 31
	s_lshl_b64 s[4:5], s[4:5], 2
	s_delay_alu instid0(SALU_CYCLE_1)
	s_add_u32 s4, s26, s4
	s_addc_u32 s5, s25, s5
	s_add_u32 s6, s22, s27
	s_addc_u32 s7, s23, s28
	s_waitcnt vmcnt(1)
	v_mad_i64_i32 v[3:4], null, v5, s17, v[1:2]
	s_waitcnt vmcnt(0)
	v_mad_i64_i32 v[5:6], null, v7, s17, v[1:2]
	v_and_b32_e32 v1, 3, v0
	v_lshlrev_b32_e32 v2, 4, v69
	s_clause 0x7
	global_load_b128 v[57:60], v[3:4], off
	global_load_b128 v[61:64], v[3:4], off offset:256
	global_load_b128 v[71:74], v[5:6], off
	global_load_b128 v[75:78], v[5:6], off offset:256
	global_load_b128 v[79:82], v[3:4], off offset:512
	;; [unrolled: 1-line block ×5, first 2 shown]
	v_lshlrev_b32_e32 v121, 6, v1
	v_lshl_or_b32 v1, v68, 8, v2
	s_load_b32 s3, s[36:37], 0x0
	ds_load_b128 v[103:106], v121
	ds_load_b128 v[107:110], v121 offset:1024
	s_load_b32 s4, s[4:5], 0x0
	v_add_co_u32 v17, s6, s6, v1
	s_delay_alu instid0(VALU_DEP_1) | instskip(SKIP_1) | instid1(VALU_DEP_1)
	v_add_co_ci_u32_e64 v18, null, s7, 0, s6
	s_waitcnt lgkmcnt(0)
	v_mad_i64_i32 v[1:2], null, s21, s17, v[17:18]
	v_mad_i64_i32 v[3:4], null, s13, s17, v[17:18]
	;; [unrolled: 1-line block ×7, first 2 shown]
	s_clause 0x9
	global_load_b128 v[49:52], v[1:2], off
	global_load_b128 v[53:56], v[1:2], off offset:16
	global_load_b128 v[41:44], v[3:4], off
	global_load_b128 v[45:48], v[3:4], off offset:16
	;; [unrolled: 2-line block ×5, first 2 shown]
	v_mad_i64_i32 v[119:120], null, s4, s17, v[17:18]
	s_clause 0x3
	global_load_b128 v[17:20], v[21:22], off
	global_load_b128 v[21:24], v[21:22], off offset:16
	global_load_b128 v[25:28], v[29:30], off
	global_load_b128 v[29:32], v[29:30], off offset:16
	s_waitcnt vmcnt(20)
	v_wmma_f32_16x16x16_f16 v[111:118], v[57:64], v[103:110], v[95:102]
	s_clause 0x1
	global_load_b128 v[57:60], v[119:120], off
	global_load_b128 v[61:64], v[119:120], off offset:16
	s_waitcnt vmcnt(20)
	v_wmma_f32_16x16x16_f16 v[95:102], v[71:78], v[103:110], v[95:102]
	ds_load_b128 v[71:74], v121 offset:2048
	ds_load_b128 v[75:78], v121 offset:3072
	v_mbcnt_lo_u32_b32 v104, -1, 0
	s_waitcnt vmcnt(0) lgkmcnt(0)
	s_barrier
	buffer_gl0_inv
	v_xor_b32_e32 v105, 16, v104
	s_delay_alu instid0(VALU_DEP_1) | instskip(SKIP_4) | instid1(VALU_DEP_2)
	v_cmp_gt_i32_e32 vcc_lo, 32, v105
	v_cndmask_b32_e32 v104, v104, v105, vcc_lo
	v_wmma_f32_16x16x16_f16 v[95:102], v[87:94], v[71:78], v[95:102]
	v_and_b32_e32 v103, 0xe0, v0
	v_wmma_f32_16x16x16_f16 v[111:118], v[79:86], v[71:78], v[111:118]
	v_dual_mul_f32 v90, s19, v101 :: v_dual_add_nc_u32 v103, s12, v103
	s_delay_alu instid0(VALU_DEP_2) | instskip(NEXT) | instid1(VALU_DEP_3)
	v_dual_mul_f32 v94, s19, v97 :: v_dual_mul_f32 v87, s19, v112
	v_dual_mul_f32 v88, s19, v111 :: v_dual_mul_f32 v77, s19, v114
	s_delay_alu instid0(VALU_DEP_3) | instskip(SKIP_3) | instid1(VALU_DEP_4)
	v_or_b32_e32 v103, v103, v67
	v_dual_mul_f32 v78, s19, v113 :: v_dual_mul_f32 v75, s19, v116
	v_dual_mul_f32 v76, s19, v115 :: v_dual_mul_f32 v73, s19, v118
	v_mul_f32_e32 v92, s19, v99
	v_or_b32_e32 v105, 2, v103
	v_or_b32_e32 v106, 4, v103
	v_or_b32_e32 v107, 6, v103
	v_cmp_gt_i32_e64 s3, s24, v103
	v_or_b32_e32 v108, 8, v103
	v_cmp_gt_i32_e32 vcc_lo, s24, v105
	v_or_b32_e32 v109, 10, v103
	v_cmp_gt_i32_e64 s4, s24, v106
	v_cndmask_b32_e64 v88, 0xff7fffff, v88, s3
	v_cmp_gt_i32_e64 s5, s24, v107
	v_cndmask_b32_e32 v87, 0xff7fffff, v87, vcc_lo
	v_or_b32_e32 v79, 12, v103
	v_or_b32_e32 v80, 14, v103
	v_cndmask_b32_e64 v78, 0xff7fffff, v78, s4
	v_cndmask_b32_e64 v77, 0xff7fffff, v77, s5
	v_max3_f32 v87, v88, 0xff7fffff, v87
	v_cmp_gt_i32_e64 s6, s24, v108
	v_cmp_gt_i32_e64 s7, s24, v109
	v_or_b32_e32 v81, 16, v103
	v_or_b32_e32 v82, 18, v103
	v_mul_f32_e32 v74, s19, v117
	v_cndmask_b32_e64 v76, 0xff7fffff, v76, s6
	v_cndmask_b32_e64 v75, 0xff7fffff, v75, s7
	v_max3_f32 v77, v87, v78, v77
	v_cmp_gt_i32_e64 s8, s24, v79
	v_cmp_gt_i32_e64 s9, s24, v80
	v_or_b32_e32 v83, 20, v103
	v_or_b32_e32 v84, 22, v103
	;; [unrolled: 1-line block ×6, first 2 shown]
	v_mul_f32_e32 v105, s19, v96
	v_mul_f32_e32 v103, s19, v95
	v_cndmask_b32_e64 v74, 0xff7fffff, v74, s8
	v_cndmask_b32_e64 v73, 0xff7fffff, v73, s9
	v_max3_f32 v75, v77, v76, v75
	v_cmp_gt_i32_e64 s10, s24, v81
	v_cmp_gt_i32_e64 s11, s24, v82
	v_mul_f32_e32 v93, s19, v98
	v_cmp_gt_i32_e64 s12, s24, v83
	v_max3_f32 v73, v75, v74, v73
	v_cndmask_b32_e64 v76, 0xff7fffff, v103, s10
	v_cndmask_b32_e64 v77, 0xff7fffff, v105, s11
	v_cmp_gt_i32_e64 s13, s24, v84
	v_mul_f32_e32 v91, s19, v100
	v_cndmask_b32_e64 v74, 0xff7fffff, v94, s12
	v_cmp_gt_i32_e64 s15, s24, v85
	v_max3_f32 v73, v73, v76, v77
	v_cndmask_b32_e64 v75, 0xff7fffff, v93, s13
	v_cmp_gt_i32_e64 s16, s24, v86
	v_mul_f32_e32 v89, s19, v102
	v_cndmask_b32_e64 v76, 0xff7fffff, v92, s15
	v_cmp_gt_i32_e64 s17, s24, v71
	v_max3_f32 v73, v73, v74, v75
	v_cndmask_b32_e64 v77, 0xff7fffff, v91, s16
	v_cmp_gt_i32_e64 s18, s24, v72
	v_lshlrev_b32_e32 v74, 2, v104
	v_cndmask_b32_e64 v71, 0xff7fffff, v90, s17
	s_delay_alu instid0(VALU_DEP_4) | instskip(NEXT) | instid1(VALU_DEP_4)
	v_max3_f32 v73, v73, v76, v77
	v_cndmask_b32_e64 v72, 0xff7fffff, v89, s18
	s_delay_alu instid0(VALU_DEP_1) | instskip(SKIP_3) | instid1(VALU_DEP_1)
	v_max3_f32 v71, v73, v71, v72
	ds_bpermute_b32 v72, v74, v71
	s_waitcnt lgkmcnt(0)
	v_max_f32_e32 v72, v72, v72
	v_max_f32_e32 v71, v71, v72
	s_delay_alu instid0(VALU_DEP_1)
	v_fma_f32 v72, s19, v111, -v71
	v_fma_f32 v76, s19, v114, -v71
	;; [unrolled: 1-line block ×5, first 2 shown]
	v_mul_f32_e32 v72, 0x3fb8aa3b, v72
	v_mul_f32_e32 v76, 0x3fb8aa3b, v76
	v_fma_f32 v75, s19, v113, -v71
	v_mul_f32_e32 v79, 0x3fb8aa3b, v77
	v_mul_f32_e32 v87, 0x3fb8aa3b, v86
	v_exp_f32_e32 v72, v72
	v_exp_f32_e32 v76, v76
	v_fma_f32 v81, s19, v117, -v71
	v_exp_f32_e32 v82, v79
	v_exp_f32_e32 v87, v87
	v_fma_f32 v84, s19, v96, -v71
	s_delay_alu instid0(VALU_DEP_2) | instskip(SKIP_3) | instid1(TRANS32_DEP_3)
	v_mul_f32_e32 v81, 0x3fb8aa3b, v81
	v_cndmask_b32_e64 v78, 0, v72, s3
	v_fma_f32 v72, s19, v116, -v71
	v_mul_f32_e32 v73, 0x3fb8aa3b, v73
	v_cndmask_b32_e64 v79, 0, v76, s5
	v_fma_f32 v76, s19, v95, -v71
	s_delay_alu instid0(VALU_DEP_4) | instskip(NEXT) | instid1(VALU_DEP_4)
	v_dual_mul_f32 v75, 0x3fb8aa3b, v75 :: v_dual_mul_f32 v72, 0x3fb8aa3b, v72
	v_exp_f32_e32 v73, v73
	v_cndmask_b32_e64 v87, 0, v87, s13
	s_delay_alu instid0(VALU_DEP_3) | instskip(NEXT) | instid1(VALU_DEP_3)
	v_mul_f32_e32 v76, 0x3fb8aa3b, v76
	v_exp_f32_e32 v75, v75
	v_exp_f32_e32 v72, v72
	;; [unrolled: 1-line block ×3, first 2 shown]
	v_cndmask_b32_e64 v82, 0, v82, s6
	v_mul_f32_e32 v85, 0x3fb8aa3b, v84
	v_exp_f32_e32 v76, v76
	s_mov_b32 s3, exec_lo
	v_cndmask_b32_e32 v77, 0, v73, vcc_lo
	v_add_f32_e32 v73, 0, v78
	v_exp_f32_e32 v85, v85
	v_cndmask_b32_e64 v80, 0, v75, s4
	v_fma_f32 v75, s19, v118, -v71
	v_cndmask_b32_e64 v81, 0, v72, s7
	v_add_f32_e32 v73, v73, v77
	v_cndmask_b32_e64 v84, 0, v83, s8
	v_cndmask_b32_e64 v86, 0, v76, s10
	v_mul_f32_e32 v75, 0x3fb8aa3b, v75
	s_delay_alu instid0(VALU_DEP_4) | instskip(NEXT) | instid1(TRANS32_DEP_1)
	v_add_f32_e32 v73, v73, v80
	v_cndmask_b32_e64 v85, 0, v85, s11
	s_delay_alu instid0(VALU_DEP_3) | instskip(NEXT) | instid1(VALU_DEP_2)
	v_exp_f32_e32 v75, v75
	v_add_f32_e32 v73, v73, v79
	s_delay_alu instid0(VALU_DEP_1) | instskip(SKIP_3) | instid1(VALU_DEP_1)
	v_add_f32_e32 v72, v73, v82
	s_waitcnt_depctr 0xfff
	v_cndmask_b32_e64 v83, 0, v75, s9
	v_add_f32_e32 v72, v72, v81
	v_add_f32_e32 v72, v72, v84
	s_delay_alu instid0(VALU_DEP_1) | instskip(NEXT) | instid1(VALU_DEP_1)
	v_add_f32_e32 v72, v72, v83
	v_add_f32_e32 v72, v72, v86
	s_delay_alu instid0(VALU_DEP_1) | instskip(SKIP_4) | instid1(VALU_DEP_4)
	v_add_f32_e32 v72, v72, v85
	v_fma_f32 v73, s19, v97, -v71
	v_fma_f32 v75, s19, v99, -v71
	;; [unrolled: 1-line block ×4, first 2 shown]
	v_mul_f32_e32 v73, 0x3fb8aa3b, v73
	s_delay_alu instid0(VALU_DEP_3) | instskip(NEXT) | instid1(VALU_DEP_2)
	v_dual_mul_f32 v75, 0x3fb8aa3b, v75 :: v_dual_mul_f32 v76, 0x3fb8aa3b, v76
	v_exp_f32_e32 v73, v73
	s_delay_alu instid0(VALU_DEP_1) | instskip(NEXT) | instid1(VALU_DEP_1)
	v_exp_f32_e32 v75, v75
	v_exp_f32_e32 v76, v76
	s_delay_alu instid0(TRANS32_DEP_3)
	v_cndmask_b32_e64 v88, 0, v73, s12
	v_mul_f32_e32 v73, 0x3fb8aa3b, v89
	v_fma_f32 v89, s19, v102, -v71
	s_waitcnt_depctr 0xfff
	v_cndmask_b32_e64 v90, 0, v75, s15
	v_add_f32_e32 v72, v72, v88
	v_exp_f32_e32 v73, v73
	v_mul_f32_e32 v75, 0x3fb8aa3b, v89
	v_cndmask_b32_e64 v89, 0, v76, s16
	s_delay_alu instid0(VALU_DEP_3) | instskip(NEXT) | instid1(VALU_DEP_3)
	v_add_f32_e32 v72, v72, v87
	v_exp_f32_e32 v75, v75
	s_delay_alu instid0(VALU_DEP_1) | instskip(SKIP_4) | instid1(VALU_DEP_2)
	v_add_f32_e32 v72, v72, v90
	s_waitcnt_depctr 0xfff
	v_cndmask_b32_e64 v92, 0, v73, s17
	v_add_f32_e32 v72, v72, v89
	v_cndmask_b32_e64 v91, 0, v75, s18
	v_add_f32_e32 v72, v72, v92
	s_delay_alu instid0(VALU_DEP_1)
	v_add_f32_e32 v72, v72, v91
	ds_bpermute_b32 v73, v74, v72
	v_cmpx_gt_u32_e32 16, v70
	s_cbranch_execz .LBB1153_12
; %bb.11:
	v_mul_u32_u24_e32 v70, 0x44, v68
	s_waitcnt lgkmcnt(0)
	v_add_f32_e32 v72, v72, v73
	s_delay_alu instid0(VALU_DEP_2) | instskip(NEXT) | instid1(VALU_DEP_1)
	v_lshl_add_u32 v70, v69, 2, v70
	v_add_nc_u32_e32 v70, 0x4000, v70
	ds_store_2addr_b32 v70, v71, v72 offset1:136
.LBB1153_12:
	s_or_b32 exec_lo, exec_lo, s3
	v_lshlrev_b32_e32 v70, 2, v69
	s_load_b32 s35, s[0:1], 0x94
	s_waitcnt lgkmcnt(0)
	s_barrier
	buffer_gl0_inv
	v_add_nc_u32_e32 v74, 0x4000, v70
	v_cmp_eq_u32_e32 vcc_lo, 1, v68
	v_cmp_eq_u32_e64 s3, 2, v68
	v_cmp_eq_u32_e64 s4, 3, v68
	;; [unrolled: 1-line block ×3, first 2 shown]
	ds_load_2addr_b32 v[70:71], v74 offset1:17
	ds_load_2addr_b32 v[72:73], v74 offset0:34 offset1:51
	ds_load_2addr_b32 v[93:94], v74 offset0:68 offset1:85
	;; [unrolled: 1-line block ×3, first 2 shown]
	v_cmp_eq_u32_e64 s6, 5, v68
	v_cmp_eq_u32_e64 s7, 7, v68
	s_waitcnt lgkmcnt(3)
	v_max3_f32 v75, v70, 0xff7fffff, v71
	s_waitcnt lgkmcnt(2)
	s_delay_alu instid0(VALU_DEP_1) | instskip(SKIP_1) | instid1(VALU_DEP_1)
	v_max3_f32 v75, v75, v72, v73
	s_waitcnt lgkmcnt(1)
	v_max3_f32 v75, v75, v93, v94
	s_waitcnt lgkmcnt(0)
	s_delay_alu instid0(VALU_DEP_1) | instskip(NEXT) | instid1(VALU_DEP_1)
	v_max3_f32 v75, v75, v95, v96
	v_sub_f32_e32 v93, v93, v75
	ds_load_2addr_b32 v[97:98], v74 offset0:136 offset1:153
	v_sub_f32_e32 v70, v70, v75
	v_dual_sub_f32 v100, v73, v75 :: v_dual_mul_f32 v103, 0x3fb8aa3b, v93
	s_delay_alu instid0(VALU_DEP_2) | instskip(SKIP_3) | instid1(VALU_DEP_1)
	v_dual_sub_f32 v76, v71, v75 :: v_dual_mul_f32 v99, 0x3fb8aa3b, v70
	ds_load_2addr_b32 v[70:71], v74 offset0:170 offset1:187
	v_mul_f32_e32 v76, 0x3fb8aa3b, v76
	v_exp_f32_e32 v99, v99
	v_exp_f32_e32 v102, v76
	v_mul_f32_e32 v100, 0x3fb8aa3b, v100
	s_waitcnt lgkmcnt(1)
	s_waitcnt_depctr 0xfff
	v_fma_f32 v76, v99, v97, 0
	v_sub_f32_e32 v97, v94, v75
	v_sub_f32_e32 v72, v72, v75
	v_exp_f32_e32 v100, v100
	ds_load_2addr_b32 v[93:94], v74 offset0:238 offset1:255
	v_dual_fmac_f32 v76, v102, v98 :: v_dual_mul_f32 v101, 0x3fb8aa3b, v72
	ds_load_2addr_b32 v[72:73], v74 offset0:204 offset1:221
	v_dual_sub_f32 v74, v95, v75 :: v_dual_mul_f32 v95, 0x3fb8aa3b, v97
	v_exp_f32_e32 v97, v103
	v_exp_f32_e32 v101, v101
	s_waitcnt lgkmcnt(0)
	s_delay_alu instid0(VALU_DEP_1)
	v_mul_f32_e32 v74, 0x3fb8aa3b, v74
	v_exp_f32_e32 v95, v95
	s_barrier
	buffer_gl0_inv
	v_fmac_f32_e32 v76, v101, v70
	v_sub_f32_e32 v70, v96, v75
	v_exp_f32_e32 v96, v74
	s_delay_alu instid0(VALU_DEP_2) | instskip(NEXT) | instid1(VALU_DEP_2)
	v_fmac_f32_e32 v76, v100, v71
	v_mul_f32_e32 v70, 0x3fb8aa3b, v70
	s_delay_alu instid0(VALU_DEP_2) | instskip(NEXT) | instid1(VALU_DEP_2)
	v_dual_cndmask_b32 v71, v99, v102 :: v_dual_fmac_f32 v76, v97, v72
	v_exp_f32_e32 v98, v70
	v_lshlrev_b32_e32 v72, 6, v69
	s_delay_alu instid0(VALU_DEP_2) | instskip(NEXT) | instid1(VALU_DEP_2)
	v_dual_fmac_f32 v76, v95, v73 :: v_dual_lshlrev_b32 v69, 2, v67
	v_lshl_or_b32 v74, v68, 11, v72
	s_delay_alu instid0(VALU_DEP_2)
	v_cmp_eq_u32_e64 s8, 7, v69
	s_delay_alu instid0(TRANS32_DEP_2) | instid1(VALU_DEP_3)
	v_fmac_f32_e32 v76, v96, v93
	s_waitcnt_depctr 0xfff
	v_fmac_f32_e32 v76, v98, v94
	s_delay_alu instid0(VALU_DEP_1) | instskip(NEXT) | instid1(VALU_DEP_1)
	v_add_f32_e32 v73, 0x358637bd, v76
	v_div_scale_f32 v93, null, v73, v73, 1.0
	v_div_scale_f32 v99, vcc_lo, 1.0, v73, 1.0
	s_delay_alu instid0(VALU_DEP_2) | instskip(SKIP_2) | instid1(VALU_DEP_1)
	v_rcp_f32_e32 v94, v93
	s_waitcnt_depctr 0xfff
	v_fma_f32 v70, -v93, v94, 1.0
	v_fmac_f32_e32 v94, v70, v94
	v_cndmask_b32_e64 v70, v71, v101, s3
	v_cmp_eq_u32_e64 s3, 6, v68
	v_or_b32_e32 v71, 1, v69
	v_or_b32_e32 v68, 2, v69
	v_mul_f32_e32 v101, v99, v94
	v_cndmask_b32_e64 v70, v70, v100, s4
	v_cmp_eq_u32_e64 s4, 1, v69
	v_cmp_eq_u32_e64 s9, 1, v71
	v_cmp_eq_u32_e64 s10, 1, v68
	v_fma_f32 v100, -v93, v101, v99
	v_cndmask_b32_e64 v70, v70, v97, s5
	v_cmp_eq_u32_e64 s5, 2, v69
	v_cmp_eq_u32_e64 s12, 2, v71
	;; [unrolled: 1-line block ×3, first 2 shown]
	v_fmac_f32_e32 v101, v100, v94
	v_cndmask_b32_e64 v95, v70, v95, s6
	v_or_b32_e32 v70, 3, v69
	v_cmp_eq_u32_e64 s13, 3, v71
	v_cmp_eq_u32_e64 s17, 3, v68
	v_fma_f32 v93, -v93, v101, v99
	v_cndmask_b32_e64 v95, v95, v96, s3
	v_cmp_eq_u32_e64 s11, 1, v70
	v_cmp_eq_u32_e64 s16, 2, v70
	;; [unrolled: 1-line block ×3, first 2 shown]
	v_div_fmas_f32 v93, v93, v94, v101
	v_cndmask_b32_e64 v94, v95, v98, s7
	v_cmp_eq_u32_e32 vcc_lo, 3, v69
	v_cmp_eq_u32_e64 s3, 4, v69
	v_cmp_eq_u32_e64 s19, 4, v71
	v_div_fixup_f32 v93, v93, v73, 1.0
	v_lshl_or_b32 v73, v67, 4, v74
	v_cmp_eq_u32_e64 s22, 4, v70
	v_cmp_eq_u32_e64 s6, 5, v69
	v_cmp_eq_u32_e64 s20, 5, v71
	v_mul_f32_e32 v101, v94, v93
	v_cmp_eq_u32_e64 s21, 4, v68
	v_cmp_eq_u32_e64 s24, 5, v70
	;; [unrolled: 1-line block ×4, first 2 shown]
	v_fma_mixlo_f16 v93, v101, v78, 0
	v_fma_mixlo_f16 v94, v101, v80, 0
	;; [unrolled: 1-line block ×8, first 2 shown]
	v_fma_mixhi_f16 v93, v101, v77, 0
	v_fma_mixhi_f16 v94, v101, v79, 0
	;; [unrolled: 1-line block ×8, first 2 shown]
	ds_store_b128 v73, v[93:96]
	ds_store_b128 v73, v[97:100] offset:1024
	s_waitcnt lgkmcnt(0)
	s_barrier
	buffer_gl0_inv
	ds_load_b128 v[77:80], v74
	ds_load_b128 v[81:84], v74 offset:16
	ds_load_b128 v[85:88], v74 offset:1024
	;; [unrolled: 1-line block ×3, first 2 shown]
	v_cmp_eq_u32_e64 s27, 6, v70
	v_cmp_eq_u32_e64 s7, 6, v69
	;; [unrolled: 1-line block ×6, first 2 shown]
	s_waitcnt lgkmcnt(3)
	v_lshrrev_b32_e32 v93, 16, v77
	s_waitcnt lgkmcnt(2)
	v_lshrrev_b32_e32 v97, 16, v81
	s_waitcnt lgkmcnt(1)
	v_lshrrev_b32_e32 v101, 16, v85
	s_waitcnt lgkmcnt(0)
	v_lshrrev_b32_e32 v105, 16, v89
	v_lshrrev_b32_e32 v94, 16, v78
	v_cndmask_b32_e64 v109, v77, v93, s4
	v_cndmask_b32_e64 v110, v81, v97, s4
	;; [unrolled: 1-line block ×8, first 2 shown]
	v_lshrrev_b32_e32 v98, 16, v82
	v_cndmask_b32_e64 v93, v85, v101, s4
	v_cndmask_b32_e64 v97, v89, v105, s4
	;; [unrolled: 1-line block ×15, first 2 shown]
	v_lshrrev_b32_e32 v102, 16, v86
	v_lshrrev_b32_e32 v106, 16, v90
	v_cndmask_b32_e64 v112, v114, v82, s15
	v_cndmask_b32_e64 v81, v93, v86, s5
	;; [unrolled: 1-line block ×7, first 2 shown]
	v_cndmask_b32_e32 v89, v101, v94, vcc_lo
	v_cndmask_b32_e32 v101, v105, v98, vcc_lo
	v_cndmask_b32_e64 v105, v109, v94, s13
	v_cndmask_b32_e64 v109, v110, v98, s13
	;; [unrolled: 1-line block ×4, first 2 shown]
	v_lshrrev_b32_e32 v95, 16, v79
	v_lshrrev_b32_e32 v99, 16, v83
	v_cndmask_b32_e64 v110, v111, v94, s17
	v_cndmask_b32_e64 v111, v112, v98, s17
	v_cndmask_b32_e32 v81, v81, v102, vcc_lo
	v_cndmask_b32_e32 v82, v82, v106, vcc_lo
	v_cndmask_b32_e64 v93, v93, v102, s13
	v_cndmask_b32_e64 v89, v89, v79, s3
	;; [unrolled: 1-line block ×7, first 2 shown]
	v_lshrrev_b32_e32 v103, 16, v87
	v_cndmask_b32_e64 v105, v110, v79, s21
	v_cndmask_b32_e64 v109, v111, v83, s21
	;; [unrolled: 1-line block ×11, first 2 shown]
	v_lshrrev_b32_e32 v96, 16, v80
	v_lshrrev_b32_e32 v100, 16, v84
	v_cndmask_b32_e64 v98, v105, v95, s23
	v_cndmask_b32_e64 v101, v109, v99, s23
	;; [unrolled: 1-line block ×7, first 2 shown]
	v_lshrrev_b32_e32 v104, 16, v88
	v_cndmask_b32_e64 v79, v79, v103, s6
	v_cndmask_b32_e64 v83, v83, v80, s7
	;; [unrolled: 1-line block ×16, first 2 shown]
	v_perm_b32 v80, v78, v77, 0x5040100
	v_perm_b32 v78, v94, v84, 0x5040100
	v_cndmask_b32_e64 v77, v118, v90, s15
	v_cndmask_b32_e64 v84, v116, v90, s12
	;; [unrolled: 1-line block ×3, first 2 shown]
	v_perm_b32 v79, v93, v89, 0x5040100
	v_cndmask_b32_e64 v89, v97, v102, s17
	v_cndmask_b32_e64 v85, v85, v102, s18
	;; [unrolled: 1-line block ×5, first 2 shown]
	v_lshrrev_b32_e32 v107, 16, v91
	v_cndmask_b32_e64 v89, v89, v87, s21
	v_cndmask_b32_e64 v85, v85, v87, s22
	;; [unrolled: 1-line block ×11, first 2 shown]
	v_lshrrev_b32_e32 v108, 16, v92
	v_cndmask_b32_e64 v81, v81, v92, s7
	v_cndmask_b32_e64 v87, v87, v88, s26
	v_cndmask_b32_e64 v85, v85, v88, s27
	v_cndmask_b32_e64 v86, v86, v92, s27
	v_cndmask_b32_e64 v77, v77, v92, s26
	v_cndmask_b32_e64 v84, v84, v92, s25
	v_cndmask_b32_e64 v87, v87, v104, s28
	v_cndmask_b32_e64 v85, v85, v104, s29
	v_cndmask_b32_e64 v86, v86, v108, s29
	v_cndmask_b32_e64 v88, v77, v108, s28
	v_cndmask_b32_e64 v89, v84, v108, s30
	v_cndmask_b32_e64 v81, v81, v108, s8
	v_perm_b32 v77, v83, v82, 0x5040100
	v_perm_b32 v84, v86, v85, 0x5040100
	;; [unrolled: 1-line block ×5, first 2 shown]
	s_lshl_b32 s8, s33, 2
	s_mov_b32 s3, exec_lo
	ds_store_b128 v73, v[77:80]
	ds_store_b128 v73, v[81:84] offset:1024
	v_cmpx_gt_u32_e32 4, v0
	s_cbranch_execz .LBB1153_14
; %bb.13:
	v_or_b32_e32 v77, s31, v0
	s_load_b128 s[4:7], s[0:1], 0x58
	s_delay_alu instid0(VALU_DEP_1) | instskip(NEXT) | instid1(VALU_DEP_1)
	v_mad_u64_u32 v[78:79], null, s8, s34, v[77:78]
	v_mad_u64_u32 v[79:80], null, v78, s35, s[14:15]
	s_delay_alu instid0(VALU_DEP_1) | instskip(NEXT) | instid1(VALU_DEP_1)
	v_ashrrev_i32_e32 v80, 31, v79
	v_lshlrev_b64 v[77:78], 2, v[79:80]
	s_waitcnt lgkmcnt(0)
	s_delay_alu instid0(VALU_DEP_1) | instskip(NEXT) | instid1(VALU_DEP_2)
	v_add_co_u32 v79, vcc_lo, s6, v77
	v_add_co_ci_u32_e32 v80, vcc_lo, s7, v78, vcc_lo
	v_add_co_u32 v77, vcc_lo, s4, v77
	v_add_co_ci_u32_e32 v78, vcc_lo, s5, v78, vcc_lo
	global_store_b32 v[79:80], v75, off
	global_store_b32 v[77:78], v76, off
.LBB1153_14:
	s_or_b32 exec_lo, exec_lo, s3
	s_waitcnt lgkmcnt(0)
	s_waitcnt_vscnt null, 0x0
	s_barrier
	buffer_gl0_inv
	ds_load_b128 v[83:86], v72
	ds_load_b128 v[87:90], v72 offset:16
	ds_load_b128 v[95:98], v72 offset:2064
	ds_load_b128 v[91:94], v72 offset:2048
	ds_load_b128 v[103:106], v72 offset:4112
	ds_load_b128 v[99:102], v72 offset:4096
	v_cmp_eq_u32_e32 vcc_lo, 1, v69
	v_mov_b32_e32 v75, 0
	ds_load_b128 v[111:114], v72 offset:6160
	ds_load_b128 v[107:110], v72 offset:6144
	ds_load_b128 v[119:122], v72 offset:8208
	ds_load_b128 v[115:118], v72 offset:8192
	v_cmp_eq_u32_e64 s4, 1, v68
	v_cmp_eq_u32_e64 s3, 1, v71
	;; [unrolled: 1-line block ×3, first 2 shown]
	v_mov_b32_e32 v76, v75
	v_mov_b32_e32 v77, v75
	;; [unrolled: 1-line block ×7, first 2 shown]
	v_cmp_eq_u32_e64 s6, 3, v71
	v_cmp_eq_u32_e64 s7, 7, v71
	s_waitcnt lgkmcnt(8)
	s_delay_alu instid0(VALU_DEP_3)
	v_wmma_f32_16x16x16_f16 v[75:82], v[49:56], v[83:90], v[75:82]
	ds_load_b128 v[53:56], v72 offset:10256
	ds_load_b128 v[49:52], v72 offset:10240
	s_waitcnt lgkmcnt(8)
	v_wmma_f32_16x16x16_f16 v[75:82], v[41:48], v[91:98], v[75:82]
	ds_load_b128 v[45:48], v72 offset:12304
	ds_load_b128 v[41:44], v72 offset:12288
	s_waitcnt lgkmcnt(8)
	;; [unrolled: 4-line block ×3, first 2 shown]
	s_barrier
	buffer_gl0_inv
	v_wmma_f32_16x16x16_f16 v[75:82], v[1:8], v[107:114], v[75:82]
	s_delay_alu instid0(VALU_DEP_1) | instskip(NEXT) | instid1(VALU_DEP_1)
	v_wmma_f32_16x16x16_f16 v[75:82], v[9:16], v[115:122], v[75:82]
	v_wmma_f32_16x16x16_f16 v[75:82], v[17:24], v[49:56], v[75:82]
	s_delay_alu instid0(VALU_DEP_1) | instskip(NEXT) | instid1(VALU_DEP_1)
	v_wmma_f32_16x16x16_f16 v[75:82], v[25:32], v[41:48], v[75:82]
	v_wmma_f32_16x16x16_f16 v[75:82], v[57:64], v[33:40], v[75:82]
	s_delay_alu instid0(VALU_DEP_1) | instskip(NEXT) | instid1(VALU_DEP_2)
	v_cvt_f16_f32_e32 v1, v75
	v_cvt_f16_f32_e32 v2, v76
	s_delay_alu instid0(VALU_DEP_3) | instskip(NEXT) | instid1(VALU_DEP_4)
	v_cvt_f16_f32_e32 v3, v77
	v_cvt_f16_f32_e32 v4, v78
	;; [unrolled: 1-line block ×6, first 2 shown]
	v_pack_b32_f16 v1, v1, v2
	v_pack_b32_f16 v2, v3, v4
	;; [unrolled: 1-line block ×3, first 2 shown]
	s_delay_alu instid0(VALU_DEP_4)
	v_pack_b32_f16 v4, v7, v8
	ds_store_b128 v73, v[1:4]
	s_waitcnt lgkmcnt(0)
	s_barrier
	buffer_gl0_inv
	ds_load_b128 v[1:4], v74
	ds_load_b128 v[5:8], v74 offset:16
	s_waitcnt lgkmcnt(1)
	v_lshrrev_b32_e32 v9, 16, v1
	s_waitcnt lgkmcnt(0)
	v_lshrrev_b32_e32 v13, 16, v5
	v_lshrrev_b32_e32 v10, 16, v2
	;; [unrolled: 1-line block ×4, first 2 shown]
	v_cndmask_b32_e32 v17, v1, v9, vcc_lo
	v_cndmask_b32_e32 v18, v5, v13, vcc_lo
	v_cndmask_b32_e64 v21, v1, v9, s4
	v_cmp_eq_u32_e32 vcc_lo, 1, v70
	v_cndmask_b32_e64 v22, v5, v13, s4
	v_cmp_eq_u32_e64 s4, 2, v69
	v_cndmask_b32_e64 v19, v1, v9, s3
	v_cndmask_b32_e64 v20, v5, v13, s3
	v_cndmask_b32_e32 v1, v1, v9, vcc_lo
	v_cmp_eq_u32_e64 s3, 2, v70
	v_cndmask_b32_e32 v5, v5, v13, vcc_lo
	v_cndmask_b32_e64 v9, v17, v2, s4
	v_cmp_eq_u32_e32 vcc_lo, 3, v69
	v_cndmask_b32_e64 v13, v18, v6, s4
	v_cmp_eq_u32_e64 s4, 2, v68
	v_cndmask_b32_e64 v17, v19, v2, s5
	v_cndmask_b32_e64 v18, v20, v6, s5
	v_cmp_eq_u32_e64 s5, 3, v68
	v_cndmask_b32_e64 v1, v1, v2, s3
	v_cndmask_b32_e64 v19, v21, v2, s4
	;; [unrolled: 1-line block ×4, first 2 shown]
	v_cndmask_b32_e32 v5, v9, v10, vcc_lo
	v_cndmask_b32_e32 v6, v13, v14, vcc_lo
	v_cmp_eq_u32_e32 vcc_lo, 3, v70
	v_cndmask_b32_e64 v9, v17, v10, s6
	v_cndmask_b32_e64 v13, v18, v14, s6
	;; [unrolled: 1-line block ×3, first 2 shown]
	v_cmp_eq_u32_e64 s4, 4, v69
	v_cndmask_b32_e32 v1, v1, v10, vcc_lo
	v_cndmask_b32_e32 v2, v2, v14, vcc_lo
	v_cmp_eq_u32_e32 vcc_lo, 4, v71
	v_lshrrev_b32_e32 v15, 16, v7
	v_lshrrev_b32_e32 v16, 16, v8
	v_cndmask_b32_e64 v17, v19, v10, s5
	v_cmp_eq_u32_e64 s3, 4, v70
	v_cndmask_b32_e64 v5, v5, v3, s4
	v_cndmask_b32_e64 v6, v6, v7, s4
	v_cndmask_b32_e32 v9, v9, v3, vcc_lo
	v_cmp_eq_u32_e64 s4, 5, v71
	v_cndmask_b32_e32 v10, v13, v7, vcc_lo
	v_cmp_eq_u32_e32 vcc_lo, 4, v68
	v_cmp_eq_u32_e64 s5, 5, v69
	v_cndmask_b32_e64 v2, v2, v7, s3
	v_cndmask_b32_e64 v9, v9, v11, s4
	;; [unrolled: 1-line block ×3, first 2 shown]
	v_cndmask_b32_e32 v13, v17, v3, vcc_lo
	v_cmp_eq_u32_e64 s4, 5, v68
	v_cndmask_b32_e32 v14, v18, v7, vcc_lo
	v_cndmask_b32_e64 v1, v1, v3, s3
	v_cmp_eq_u32_e32 vcc_lo, 5, v70
	v_lshrrev_b32_e32 v12, 16, v4
	v_cndmask_b32_e64 v13, v13, v11, s4
	v_cndmask_b32_e64 v3, v14, v15, s4
	v_cmp_eq_u32_e64 s4, 6, v70
	v_cndmask_b32_e32 v1, v1, v11, vcc_lo
	v_cndmask_b32_e64 v5, v5, v11, s5
	v_cmp_eq_u32_e64 s6, 6, v69
	v_cndmask_b32_e64 v6, v6, v15, s5
	v_cmp_eq_u32_e64 s5, 6, v71
	v_cmp_eq_u32_e64 s3, 6, v68
	v_cndmask_b32_e64 v1, v1, v4, s4
	v_cndmask_b32_e32 v2, v2, v15, vcc_lo
	v_cmp_eq_u32_e32 vcc_lo, 7, v70
	v_cndmask_b32_e64 v5, v5, v4, s6
	v_cndmask_b32_e64 v9, v9, v4, s5
	;; [unrolled: 1-line block ×3, first 2 shown]
	v_cmp_eq_u32_e64 s6, 7, v69
	v_cndmask_b32_e32 v1, v1, v12, vcc_lo
	v_cndmask_b32_e64 v7, v13, v4, s3
	v_cndmask_b32_e64 v3, v3, v8, s3
	;; [unrolled: 1-line block ×3, first 2 shown]
	v_cmp_eq_u32_e64 s3, 7, v68
	v_cndmask_b32_e64 v4, v10, v8, s5
	v_cndmask_b32_e64 v5, v5, v12, s6
	;; [unrolled: 1-line block ×3, first 2 shown]
	v_cndmask_b32_e32 v2, v2, v16, vcc_lo
	v_cndmask_b32_e64 v7, v7, v12, s3
	v_cndmask_b32_e64 v3, v3, v16, s3
	;; [unrolled: 1-line block ×4, first 2 shown]
	v_cmp_gt_u32_e32 vcc_lo, 32, v0
	v_perm_b32 v4, v2, v1, 0x5040100
	v_perm_b32 v3, v3, v7, 0x5040100
	;; [unrolled: 1-line block ×4, first 2 shown]
	s_and_b32 s2, vcc_lo, s2
	ds_store_b128 v73, v[1:4]
	s_waitcnt lgkmcnt(0)
	s_barrier
	buffer_gl0_inv
	s_and_saveexec_b32 s3, s2
	s_cbranch_execz .LBB1153_2
; %bb.15:
	s_load_b64 s[0:1], s[0:1], 0x68
	v_lshlrev_b32_e32 v0, 10, v0
	v_or_b32_e32 v1, s31, v67
	s_lshl_b32 s4, s35, 6
	v_lshlrev_b32_e32 v2, 4, v66
	s_mul_i32 s2, s4, s34
	v_lshlrev_b32_e32 v3, 6, v67
	v_mul_lo_u32 v8, v1, s4
	v_and_b32_e32 v0, 0x3800, v0
	v_or_b32_e32 v1, 2, v1
	s_mul_i32 s2, s2, s8
	s_delay_alu instid0(SALU_CYCLE_1) | instskip(NEXT) | instid1(VALU_DEP_2)
	s_ashr_i32 s3, s2, 31
	v_or3_b32 v4, v0, v2, v3
	s_lshl_b64 s[2:3], s[2:3], 1
	v_mul_lo_u32 v10, v1, s4
	v_ashrrev_i32_e32 v9, 31, v8
	ds_load_b128 v[0:3], v4
	ds_load_b128 v[4:7], v4 offset:128
	s_waitcnt lgkmcnt(0)
	s_add_u32 s2, s0, s2
	s_addc_u32 s3, s1, s3
	s_lshl_b32 s0, s14, 6
	v_ashrrev_i32_e32 v11, 31, v10
	s_ashr_i32 s1, s0, 31
	v_lshlrev_b64 v[8:9], 1, v[8:9]
	s_lshl_b64 s[0:1], s[0:1], 1
	s_delay_alu instid0(SALU_CYCLE_1) | instskip(SKIP_2) | instid1(VALU_DEP_1)
	s_add_u32 s0, s2, s0
	s_addc_u32 s1, s3, s1
	v_add_co_u32 v12, s0, s0, v65
	v_add_co_ci_u32_e64 v13, null, s1, 0, s0
	v_lshlrev_b64 v[10:11], 1, v[10:11]
	s_delay_alu instid0(VALU_DEP_3) | instskip(NEXT) | instid1(VALU_DEP_3)
	v_add_co_u32 v8, vcc_lo, v12, v8
	v_add_co_ci_u32_e32 v9, vcc_lo, v13, v9, vcc_lo
	s_delay_alu instid0(VALU_DEP_3) | instskip(NEXT) | instid1(VALU_DEP_4)
	v_add_co_u32 v10, vcc_lo, v12, v10
	v_add_co_ci_u32_e32 v11, vcc_lo, v13, v11, vcc_lo
	s_clause 0x1
	global_store_b128 v[8:9], v[0:3], off
	global_store_b128 v[10:11], v[4:7], off
	s_nop 0
	s_sendmsg sendmsg(MSG_DEALLOC_VGPRS)
	s_endpgm
	.section	.rodata,"a",@progbits
	.p2align	6, 0x0
	.amdhsa_kernel _Z39paged_attention_ll4mi_QKV_mfma16_kernelIDF16_hLN4vllm18Fp8KVCacheDataTypeE1EDF16_Li16ELi64ELi256ELb0ELi4EL8MFMAType0EEvPKT_PKT0_S8_ifPKiSA_SA_iPKfiiiPfSD_PS3_PT2_iSC_SC_
		.amdhsa_group_segment_fixed_size 17472
		.amdhsa_private_segment_fixed_size 0
		.amdhsa_kernarg_size 400
		.amdhsa_user_sgpr_count 13
		.amdhsa_user_sgpr_dispatch_ptr 0
		.amdhsa_user_sgpr_queue_ptr 0
		.amdhsa_user_sgpr_kernarg_segment_ptr 1
		.amdhsa_user_sgpr_dispatch_id 0
		.amdhsa_user_sgpr_private_segment_size 0
		.amdhsa_wavefront_size32 1
		.amdhsa_uses_dynamic_stack 0
		.amdhsa_enable_private_segment 0
		.amdhsa_system_sgpr_workgroup_id_x 1
		.amdhsa_system_sgpr_workgroup_id_y 1
		.amdhsa_system_sgpr_workgroup_id_z 1
		.amdhsa_system_sgpr_workgroup_info 0
		.amdhsa_system_vgpr_workitem_id 0
		.amdhsa_next_free_vgpr 123
		.amdhsa_next_free_sgpr 40
		.amdhsa_reserve_vcc 1
		.amdhsa_float_round_mode_32 0
		.amdhsa_float_round_mode_16_64 0
		.amdhsa_float_denorm_mode_32 3
		.amdhsa_float_denorm_mode_16_64 3
		.amdhsa_dx10_clamp 1
		.amdhsa_ieee_mode 1
		.amdhsa_fp16_overflow 0
		.amdhsa_workgroup_processor_mode 1
		.amdhsa_memory_ordered 1
		.amdhsa_forward_progress 0
		.amdhsa_shared_vgpr_count 0
		.amdhsa_exception_fp_ieee_invalid_op 0
		.amdhsa_exception_fp_denorm_src 0
		.amdhsa_exception_fp_ieee_div_zero 0
		.amdhsa_exception_fp_ieee_overflow 0
		.amdhsa_exception_fp_ieee_underflow 0
		.amdhsa_exception_fp_ieee_inexact 0
		.amdhsa_exception_int_div_zero 0
	.end_amdhsa_kernel
	.section	.text._Z39paged_attention_ll4mi_QKV_mfma16_kernelIDF16_hLN4vllm18Fp8KVCacheDataTypeE1EDF16_Li16ELi64ELi256ELb0ELi4EL8MFMAType0EEvPKT_PKT0_S8_ifPKiSA_SA_iPKfiiiPfSD_PS3_PT2_iSC_SC_,"axG",@progbits,_Z39paged_attention_ll4mi_QKV_mfma16_kernelIDF16_hLN4vllm18Fp8KVCacheDataTypeE1EDF16_Li16ELi64ELi256ELb0ELi4EL8MFMAType0EEvPKT_PKT0_S8_ifPKiSA_SA_iPKfiiiPfSD_PS3_PT2_iSC_SC_,comdat
.Lfunc_end1153:
	.size	_Z39paged_attention_ll4mi_QKV_mfma16_kernelIDF16_hLN4vllm18Fp8KVCacheDataTypeE1EDF16_Li16ELi64ELi256ELb0ELi4EL8MFMAType0EEvPKT_PKT0_S8_ifPKiSA_SA_iPKfiiiPfSD_PS3_PT2_iSC_SC_, .Lfunc_end1153-_Z39paged_attention_ll4mi_QKV_mfma16_kernelIDF16_hLN4vllm18Fp8KVCacheDataTypeE1EDF16_Li16ELi64ELi256ELb0ELi4EL8MFMAType0EEvPKT_PKT0_S8_ifPKiSA_SA_iPKfiiiPfSD_PS3_PT2_iSC_SC_
                                        ; -- End function
	.section	.AMDGPU.csdata,"",@progbits
; Kernel info:
; codeLenInByte = 6372
; NumSgprs: 42
; NumVgprs: 123
; ScratchSize: 0
; MemoryBound: 0
; FloatMode: 240
; IeeeMode: 1
; LDSByteSize: 17472 bytes/workgroup (compile time only)
; SGPRBlocks: 5
; VGPRBlocks: 15
; NumSGPRsForWavesPerEU: 42
; NumVGPRsForWavesPerEU: 123
; Occupancy: 10
; WaveLimiterHint : 1
; COMPUTE_PGM_RSRC2:SCRATCH_EN: 0
; COMPUTE_PGM_RSRC2:USER_SGPR: 13
; COMPUTE_PGM_RSRC2:TRAP_HANDLER: 0
; COMPUTE_PGM_RSRC2:TGID_X_EN: 1
; COMPUTE_PGM_RSRC2:TGID_Y_EN: 1
; COMPUTE_PGM_RSRC2:TGID_Z_EN: 1
; COMPUTE_PGM_RSRC2:TIDIG_COMP_CNT: 0
	.section	.text._Z39paged_attention_ll4mi_QKV_mfma16_kernelIDF16_hLN4vllm18Fp8KVCacheDataTypeE1EhLi32ELi64ELi256ELb1ELi5EL8MFMAType0EEvPKT_PKT0_S8_ifPKiSA_SA_iPKfiiiPfSD_PS3_PT2_iSC_SC_,"axG",@progbits,_Z39paged_attention_ll4mi_QKV_mfma16_kernelIDF16_hLN4vllm18Fp8KVCacheDataTypeE1EhLi32ELi64ELi256ELb1ELi5EL8MFMAType0EEvPKT_PKT0_S8_ifPKiSA_SA_iPKfiiiPfSD_PS3_PT2_iSC_SC_,comdat
	.protected	_Z39paged_attention_ll4mi_QKV_mfma16_kernelIDF16_hLN4vllm18Fp8KVCacheDataTypeE1EhLi32ELi64ELi256ELb1ELi5EL8MFMAType0EEvPKT_PKT0_S8_ifPKiSA_SA_iPKfiiiPfSD_PS3_PT2_iSC_SC_ ; -- Begin function _Z39paged_attention_ll4mi_QKV_mfma16_kernelIDF16_hLN4vllm18Fp8KVCacheDataTypeE1EhLi32ELi64ELi256ELb1ELi5EL8MFMAType0EEvPKT_PKT0_S8_ifPKiSA_SA_iPKfiiiPfSD_PS3_PT2_iSC_SC_
	.globl	_Z39paged_attention_ll4mi_QKV_mfma16_kernelIDF16_hLN4vllm18Fp8KVCacheDataTypeE1EhLi32ELi64ELi256ELb1ELi5EL8MFMAType0EEvPKT_PKT0_S8_ifPKiSA_SA_iPKfiiiPfSD_PS3_PT2_iSC_SC_
	.p2align	8
	.type	_Z39paged_attention_ll4mi_QKV_mfma16_kernelIDF16_hLN4vllm18Fp8KVCacheDataTypeE1EhLi32ELi64ELi256ELb1ELi5EL8MFMAType0EEvPKT_PKT0_S8_ifPKiSA_SA_iPKfiiiPfSD_PS3_PT2_iSC_SC_,@function
_Z39paged_attention_ll4mi_QKV_mfma16_kernelIDF16_hLN4vllm18Fp8KVCacheDataTypeE1EhLi32ELi64ELi256ELb1ELi5EL8MFMAType0EEvPKT_PKT0_S8_ifPKiSA_SA_iPKfiiiPfSD_PS3_PT2_iSC_SC_: ; @_Z39paged_attention_ll4mi_QKV_mfma16_kernelIDF16_hLN4vllm18Fp8KVCacheDataTypeE1EhLi32ELi64ELi256ELb1ELi5EL8MFMAType0EEvPKT_PKT0_S8_ifPKiSA_SA_iPKfiiiPfSD_PS3_PT2_iSC_SC_
; %bb.0:
	s_load_b64 s[2:3], s[0:1], 0x30
	s_mov_b32 s34, s13
	s_waitcnt lgkmcnt(0)
	s_cmp_lg_u64 s[2:3], 0
	s_cselect_b32 s6, -1, 0
	s_ashr_i32 s35, s13, 31
	s_cmp_eq_u64 s[2:3], 0
	s_cbranch_scc1 .LBB1154_3
; %bb.1:
	s_lshl_b64 s[4:5], s[34:35], 2
	s_delay_alu instid0(SALU_CYCLE_1) | instskip(SKIP_4) | instid1(SALU_CYCLE_1)
	s_add_u32 s4, s2, s4
	s_addc_u32 s5, s3, s5
	s_load_b64 s[4:5], s[4:5], 0x0
	s_waitcnt lgkmcnt(0)
	s_sub_i32 s4, s5, s4
	s_cmp_eq_u32 s4, 1
	s_cselect_b32 s4, -1, 0
	s_delay_alu instid0(SALU_CYCLE_1)
	s_and_not1_b32 vcc_lo, exec_lo, s4
	s_cbranch_vccz .LBB1154_4
.LBB1154_2:
	s_nop 0
	s_sendmsg sendmsg(MSG_DEALLOC_VGPRS)
	s_endpgm
.LBB1154_3:
.LBB1154_4:
	s_load_b64 s[8:9], s[0:1], 0x28
	s_lshl_b64 s[4:5], s[34:35], 2
	s_waitcnt lgkmcnt(0)
	s_add_u32 s8, s8, s4
	s_addc_u32 s9, s9, s5
	s_lshl_b32 s16, s14, 8
	s_load_b32 s18, s[8:9], 0x0
	s_waitcnt lgkmcnt(0)
	s_cmp_ge_i32 s16, s18
	s_cbranch_scc1 .LBB1154_2
; %bb.5:
	s_clause 0x1
	s_load_b128 s[8:11], s[0:1], 0x8
	s_load_b64 s[12:13], s[0:1], 0x20
	s_and_not1_b32 vcc_lo, exec_lo, s6
	s_cbranch_vccnz .LBB1154_7
; %bb.6:
	s_add_u32 s2, s2, s4
	s_addc_u32 s3, s3, s5
	s_load_b32 s3, s[2:3], 0x0
	s_branch .LBB1154_8
.LBB1154_7:
	s_mov_b32 s3, s34
.LBB1154_8:
	s_load_b128 s[4:7], s[0:1], 0x48
	v_lshrrev_b32_e32 v69, 5, v0
	v_bfe_u32 v66, v0, 4, 1
	v_and_b32_e32 v68, 15, v0
	v_and_b32_e32 v70, 31, v0
	;; [unrolled: 1-line block ×3, first 2 shown]
	s_mul_i32 s33, s15, 5
	v_lshl_or_b32 v1, v69, 1, v66
	v_lshlrev_b32_e32 v2, 3, v68
	v_cmp_gt_u32_e64 s2, 8, v68
	s_delay_alu instid0(VALU_DEP_3) | instskip(NEXT) | instid1(VALU_DEP_3)
	v_cmp_gt_u32_e32 vcc_lo, 5, v1
	v_lshlrev_b32_e32 v65, 1, v2
	s_delay_alu instid0(VALU_DEP_3)
	s_and_b32 s17, s2, vcc_lo
	s_waitcnt lgkmcnt(0)
	s_and_saveexec_b32 s7, s17
	s_cbranch_execz .LBB1154_10
; %bb.9:
	s_load_b64 s[20:21], s[0:1], 0x0
	v_add_lshl_u32 v2, v1, s33, 6
	s_mul_hi_i32 s23, s3, s4
	s_mul_i32 s22, s3, s4
	v_lshlrev_b32_e32 v6, 10, v68
	s_lshl_b64 s[22:23], s[22:23], 1
	v_ashrrev_i32_e32 v3, 31, v2
	v_lshlrev_b32_e32 v1, 6, v1
	v_lshlrev_b32_e32 v7, 10, v67
	v_and_b32_e32 v6, 0x3800, v6
	s_delay_alu instid0(VALU_DEP_4) | instskip(NEXT) | instid1(VALU_DEP_2)
	v_lshlrev_b64 v[2:3], 1, v[2:3]
	v_or3_b32 v1, v6, v7, v1
	s_waitcnt lgkmcnt(0)
	s_add_u32 s3, s20, s22
	s_addc_u32 s4, s21, s23
	s_delay_alu instid0(VALU_DEP_2) | instskip(SKIP_1) | instid1(VALU_DEP_2)
	v_add_co_u32 v2, vcc_lo, s3, v2
	v_add_co_ci_u32_e32 v3, vcc_lo, s4, v3, vcc_lo
	v_add_co_u32 v2, vcc_lo, v2, v65
	s_delay_alu instid0(VALU_DEP_2)
	v_add_co_ci_u32_e32 v3, vcc_lo, 0, v3, vcc_lo
	global_load_b128 v[2:5], v[2:3], off
	s_waitcnt vmcnt(0)
	ds_store_b128 v1, v[2:5]
.LBB1154_10:
	s_or_b32 exec_lo, exec_lo, s7
	v_and_b32_e32 v1, 0xef, v0
	s_add_i32 s3, s18, 31
	s_clause 0x1
	s_load_b32 s4, s[0:1], 0x38
	s_load_b32 s35, s[0:1], 0x98
	s_ashr_i32 s7, s3, 31
	v_add_nc_u32_e32 v1, s16, v1
	s_lshr_b32 s7, s7, 27
	s_load_b32 s19, s[0:1], 0x1c
	s_add_i32 s3, s3, s7
	s_waitcnt lgkmcnt(0)
	v_ashrrev_i32_e32 v2, 31, v1
	v_or_b32_e32 v3, 16, v1
	s_ashr_i32 s3, s3, 5
	v_cmp_gt_i32_e32 vcc_lo, s18, v1
	s_add_i32 s3, s3, -1
	v_lshrrev_b32_e32 v2, 27, v2
	s_barrier
	buffer_gl0_inv
	s_mul_i32 s15, s15, s6
	v_mul_lo_u16 v103, v68, 52
	v_add_nc_u32_e32 v4, v1, v2
	v_mbcnt_lo_u32_b32 v127, -1, 0
	s_mul_i32 s20, s34, s4
	s_delay_alu instid0(SALU_CYCLE_1) | instskip(NEXT) | instid1(VALU_DEP_2)
	s_ashr_i32 s21, s20, 31
	v_ashrrev_i32_e32 v4, 5, v4
	v_add_nc_u32_e32 v2, v3, v2
	s_lshl_b64 s[20:21], s[20:21], 2
	v_lshrrev_b16 v103, 8, v103
	s_add_u32 s17, s12, s20
	v_cndmask_b32_e32 v1, s3, v4, vcc_lo
	v_ashrrev_i32_e32 v2, 5, v2
	v_cmp_gt_i32_e32 vcc_lo, s18, v3
	s_addc_u32 s13, s13, s21
	s_ashr_i32 s20, s15, 31
	s_add_u32 s22, s8, s15
	s_addc_u32 s23, s9, s20
	v_cndmask_b32_e32 v3, s3, v2, vcc_lo
	v_ashrrev_i32_e32 v2, 31, v1
	s_lshl_b32 s6, s14, 3
	v_mul_lo_u16 v103, v103, 5
	s_ashr_i32 s7, s6, 31
	v_ashrrev_i32_e32 v4, 31, v3
	v_lshlrev_b64 v[1:2], 2, v[1:2]
	s_lshl_b64 s[6:7], s[6:7], 2
	v_sub_nc_u16 v103, v68, v103
	s_add_u32 s6, s17, s6
	v_lshlrev_b64 v[3:4], 2, v[3:4]
	s_addc_u32 s7, s13, s7
	v_add_co_u32 v1, vcc_lo, s17, v1
	v_add_co_ci_u32_e32 v2, vcc_lo, s13, v2, vcc_lo
	s_delay_alu instid0(VALU_DEP_3) | instskip(NEXT) | instid1(VALU_DEP_4)
	v_add_co_u32 v3, vcc_lo, s17, v3
	v_add_co_ci_u32_e32 v4, vcc_lo, s13, v4, vcc_lo
	s_clause 0x1
	global_load_b32 v5, v[1:2], off
	global_load_b32 v6, v[3:4], off
	s_or_b32 s4, s16, 32
	v_xor_b32_e32 v128, 16, v127
	s_ashr_i32 s8, s4, 5
	s_cmp_lt_i32 s4, s18
	s_cselect_b32 s8, s8, s3
	s_delay_alu instid0(SALU_CYCLE_1) | instskip(NEXT) | instid1(SALU_CYCLE_1)
	s_ashr_i32 s9, s8, 31
	s_lshl_b64 s[8:9], s[8:9], 2
	s_delay_alu instid0(SALU_CYCLE_1) | instskip(SKIP_2) | instid1(SALU_CYCLE_1)
	s_add_u32 s8, s17, s8
	s_addc_u32 s9, s13, s9
	s_or_b32 s4, s16, 64
	s_ashr_i32 s12, s4, 5
	s_cmp_lt_i32 s4, s18
	s_cselect_b32 s24, s12, s3
	s_delay_alu instid0(SALU_CYCLE_1) | instskip(NEXT) | instid1(SALU_CYCLE_1)
	s_ashr_i32 s25, s24, 31
	s_lshl_b64 s[24:25], s[24:25], 2
	s_delay_alu instid0(SALU_CYCLE_1) | instskip(SKIP_2) | instid1(SALU_CYCLE_1)
	s_add_u32 s24, s17, s24
	s_addc_u32 s25, s13, s25
	s_or_b32 s4, s16, 0x60
	;; [unrolled: 10-line block ×4, first 2 shown]
	s_ashr_i32 s12, s4, 5
	s_cmp_lt_i32 s4, s18
	s_cselect_b32 s30, s12, s3
	s_delay_alu instid0(SALU_CYCLE_1) | instskip(NEXT) | instid1(SALU_CYCLE_1)
	s_ashr_i32 s31, s30, 31
	s_lshl_b64 s[30:31], s[30:31], 2
	s_delay_alu instid0(SALU_CYCLE_1)
	s_add_u32 s30, s17, s30
	s_addc_u32 s31, s13, s31
	s_clause 0x5
	s_load_b32 s12, s[6:7], 0x0
	s_load_b32 s4, s[8:9], 0x0
	;; [unrolled: 1-line block ×6, first 2 shown]
	s_or_b32 s21, s16, 0xc0
	s_waitcnt vmcnt(1)
	v_mad_i64_i32 v[1:2], null, v5, s5, s[22:23]
	v_lshlrev_b32_e32 v5, 4, v68
	s_waitcnt vmcnt(0)
	v_mad_i64_i32 v[3:4], null, v6, s5, s[22:23]
	s_ashr_i32 s22, s21, 5
	s_cmp_lt_i32 s21, s18
	s_delay_alu instid0(VALU_DEP_3) | instskip(NEXT) | instid1(VALU_DEP_4)
	v_add_co_u32 v1, vcc_lo, v1, v5
	v_add_co_ci_u32_e32 v2, vcc_lo, 0, v2, vcc_lo
	s_delay_alu instid0(VALU_DEP_3) | instskip(NEXT) | instid1(VALU_DEP_4)
	v_add_co_u32 v3, vcc_lo, v3, v5
	v_add_co_ci_u32_e32 v4, vcc_lo, 0, v4, vcc_lo
	s_clause 0x7
	global_load_b128 v[71:74], v[1:2], off
	global_load_b128 v[75:78], v[1:2], off offset:512
	global_load_b128 v[79:82], v[3:4], off offset:256
	;; [unrolled: 1-line block ×7, first 2 shown]
	s_cselect_b32 s22, s22, s3
	v_lshlrev_b32_e32 v1, 5, v68
	s_ashr_i32 s23, s22, 31
	v_cmp_gt_i32_e32 vcc_lo, 32, v128
	s_lshl_b64 s[22:23], s[22:23], 2
	v_and_b32_e32 v103, 0xff, v103
	s_add_u32 s22, s17, s22
	s_addc_u32 s23, s13, s23
	v_cndmask_b32_e32 v136, v127, v128, vcc_lo
	s_or_b32 s21, s16, 0xe0
	v_lshl_or_b32 v1, v69, 9, v1
	s_ashr_i32 s24, s21, 5
	s_cmp_lt_i32 s21, s18
	v_lshlrev_b32_e32 v115, 6, v103
	s_cselect_b32 s24, s24, s3
	s_load_b32 s3, s[22:23], 0x0
	s_ashr_i32 s25, s24, 31
	s_delay_alu instid0(SALU_CYCLE_1) | instskip(NEXT) | instid1(SALU_CYCLE_1)
	s_lshl_b64 s[24:25], s[24:25], 2
	s_add_u32 s22, s17, s24
	s_addc_u32 s23, s13, s25
	s_add_u32 s10, s10, s15
	s_addc_u32 s11, s11, s20
	v_add_co_u32 v1, s10, s10, v1
	s_delay_alu instid0(VALU_DEP_1) | instskip(SKIP_2) | instid1(VALU_DEP_1)
	v_add_co_ci_u32_e64 v2, null, s11, 0, s10
	s_load_b32 s10, s[22:23], 0x0
	s_waitcnt lgkmcnt(0)
	v_mad_i64_i32 v[3:4], null, s12, s5, v[1:2]
	v_mad_i64_i32 v[9:10], null, s7, s5, v[1:2]
	;; [unrolled: 1-line block ×7, first 2 shown]
	s_clause 0x5
	global_load_b128 v[49:52], v[3:4], off
	global_load_b128 v[53:56], v[3:4], off offset:16
	global_load_b128 v[41:44], v[5:6], off
	global_load_b128 v[45:48], v[5:6], off offset:16
	;; [unrolled: 2-line block ×3, first 2 shown]
	s_mov_b32 s4, 0
	v_mad_i64_i32 v[61:62], null, s10, s5, v[1:2]
	s_clause 0x9
	global_load_b128 v[1:4], v[9:10], off
	global_load_b128 v[5:8], v[9:10], off offset:16
	global_load_b128 v[9:12], v[13:14], off
	global_load_b128 v[13:16], v[13:14], off offset:16
	;; [unrolled: 2-line block ×5, first 2 shown]
	s_mov_b32 s5, s4
	s_mov_b32 s6, s4
	;; [unrolled: 1-line block ×7, first 2 shown]
	v_and_b32_e32 v104, 0xe0, v0
	v_dual_mov_b32 v126, s11 :: v_dual_mov_b32 v123, s8
	v_dual_mov_b32 v125, s10 :: v_dual_mov_b32 v124, s9
	s_delay_alu instid0(VALU_DEP_3)
	v_add_nc_u32_e32 v111, s16, v104
	ds_load_b128 v[103:106], v115
	ds_load_b128 v[107:110], v115 offset:1024
	v_dual_mov_b32 v122, s7 :: v_dual_mov_b32 v121, s6
	v_mov_b32_e32 v120, s5
	v_or_b32_e32 v135, v111, v66
	ds_load_b128 v[111:114], v115 offset:2048
	ds_load_b128 v[115:118], v115 offset:3072
	v_mov_b32_e32 v119, s4
	s_waitcnt vmcnt(0) lgkmcnt(0)
	s_barrier
	v_or_b32_e32 v137, 2, v135
	v_or_b32_e32 v138, 4, v135
	;; [unrolled: 1-line block ×3, first 2 shown]
	v_cmp_gt_i32_e32 vcc_lo, s18, v135
	v_or_b32_e32 v140, 8, v135
	v_cmp_gt_i32_e64 s3, s18, v137
	v_or_b32_e32 v141, 10, v135
	v_cmp_gt_i32_e64 s4, s18, v138
	v_cmp_gt_i32_e64 s5, s18, v139
	v_or_b32_e32 v142, 12, v135
	v_or_b32_e32 v143, 14, v135
	v_cmp_gt_i32_e64 s6, s18, v140
	v_cmp_gt_i32_e64 s7, s18, v141
	v_or_b32_e32 v144, 16, v135
	v_or_b32_e32 v145, 18, v135
	v_cmp_gt_i32_e64 s8, s18, v142
	v_cmp_gt_i32_e64 s9, s18, v143
	buffer_gl0_inv
	v_cmp_gt_i32_e64 s10, s18, v144
	v_cmp_gt_i32_e64 s11, s18, v145
	v_wmma_f32_16x16x16_f16 v[127:134], v[71:78], v[103:110], v[119:126]
	v_wmma_f32_16x16x16_f16 v[119:126], v[79:86], v[103:110], v[119:126]
	v_or_b32_e32 v71, 20, v135
	v_or_b32_e32 v72, 22, v135
	s_delay_alu instid0(VALU_DEP_4)
	v_wmma_f32_16x16x16_f16 v[127:134], v[87:94], v[111:118], v[127:134]
	v_or_b32_e32 v73, 24, v135
	v_wmma_f32_16x16x16_f16 v[119:126], v[95:102], v[111:118], v[119:126]
	v_or_b32_e32 v74, 26, v135
	v_cmp_gt_i32_e64 s12, s18, v71
	v_dual_mul_f32 v84, s19, v127 :: v_dual_mul_f32 v83, s19, v128
	s_delay_alu instid0(VALU_DEP_4) | instskip(SKIP_2) | instid1(VALU_DEP_4)
	v_dual_mul_f32 v92, s19, v119 :: v_dual_mul_f32 v81, s19, v130
	v_mul_f32_e32 v90, s19, v121
	v_mul_f32_e32 v82, s19, v129
	v_cndmask_b32_e32 v84, 0xff7fffff, v84, vcc_lo
	v_cndmask_b32_e64 v83, 0xff7fffff, v83, s3
	v_dual_mul_f32 v79, s19, v132 :: v_dual_mul_f32 v88, s19, v123
	v_mul_f32_e32 v80, s19, v131
	v_cndmask_b32_e64 v82, 0xff7fffff, v82, s4
	v_cndmask_b32_e64 v81, 0xff7fffff, v81, s5
	v_max3_f32 v83, v84, 0xff7fffff, v83
	v_dual_mul_f32 v77, s19, v134 :: v_dual_mul_f32 v86, s19, v125
	v_mul_f32_e32 v78, s19, v133
	v_cndmask_b32_e64 v80, 0xff7fffff, v80, s6
	v_cndmask_b32_e64 v79, 0xff7fffff, v79, s7
	v_max3_f32 v81, v83, v82, v81
	v_mul_f32_e32 v91, s19, v120
	v_cndmask_b32_e64 v78, 0xff7fffff, v78, s8
	v_cndmask_b32_e64 v77, 0xff7fffff, v77, s9
	v_mul_f32_e32 v89, s19, v122
	v_max3_f32 v79, v81, v80, v79
	v_cndmask_b32_e64 v80, 0xff7fffff, v92, s10
	v_cndmask_b32_e64 v81, 0xff7fffff, v91, s11
	v_cmp_gt_i32_e64 s13, s18, v72
	v_or_b32_e32 v75, 28, v135
	v_max3_f32 v77, v79, v78, v77
	v_or_b32_e32 v76, 30, v135
	v_mul_f32_e32 v87, s19, v124
	v_cndmask_b32_e64 v71, 0xff7fffff, v90, s12
	v_cndmask_b32_e64 v72, 0xff7fffff, v89, s13
	v_max3_f32 v77, v77, v80, v81
	v_cmp_gt_i32_e64 s15, s18, v73
	v_cmp_gt_i32_e64 s16, s18, v74
	v_mul_f32_e32 v85, s19, v126
	v_cmp_gt_i32_e64 s17, s18, v75
	v_max3_f32 v71, v77, v71, v72
	v_cndmask_b32_e64 v73, 0xff7fffff, v88, s15
	v_cndmask_b32_e64 v74, 0xff7fffff, v87, s16
	v_cmp_gt_i32_e64 s18, s18, v76
	v_cndmask_b32_e64 v72, 0xff7fffff, v86, s17
	s_delay_alu instid0(VALU_DEP_3) | instskip(NEXT) | instid1(VALU_DEP_3)
	v_max3_f32 v71, v71, v73, v74
	v_cndmask_b32_e64 v75, 0xff7fffff, v85, s18
	v_lshlrev_b32_e32 v73, 2, v136
	s_delay_alu instid0(VALU_DEP_2) | instskip(SKIP_3) | instid1(VALU_DEP_1)
	v_max3_f32 v71, v71, v72, v75
	ds_bpermute_b32 v72, v73, v71
	s_waitcnt lgkmcnt(0)
	v_max_f32_e32 v72, v72, v72
	v_max_f32_e32 v71, v71, v72
	s_delay_alu instid0(VALU_DEP_1) | instskip(SKIP_2) | instid1(VALU_DEP_3)
	v_fma_f32 v72, s19, v127, -v71
	v_fma_f32 v74, s19, v128, -v71
	;; [unrolled: 1-line block ×3, first 2 shown]
	v_mul_f32_e32 v72, 0x3fb8aa3b, v72
	s_delay_alu instid0(VALU_DEP_2) | instskip(NEXT) | instid1(VALU_DEP_2)
	v_dual_mul_f32 v74, 0x3fb8aa3b, v74 :: v_dual_mul_f32 v75, 0x3fb8aa3b, v75
	v_exp_f32_e32 v72, v72
	s_delay_alu instid0(VALU_DEP_1) | instskip(NEXT) | instid1(VALU_DEP_1)
	v_exp_f32_e32 v74, v74
	v_exp_f32_e32 v75, v75
	s_delay_alu instid0(TRANS32_DEP_3)
	v_cndmask_b32_e32 v79, 0, v72, vcc_lo
	s_waitcnt_depctr 0xfff
	v_cndmask_b32_e64 v78, 0, v74, s3
	v_cndmask_b32_e64 v81, 0, v75, s4
	v_cmp_gt_u32_e64 s3, 16, v70
	v_add_f32_e32 v74, 0, v79
	s_delay_alu instid0(VALU_DEP_1) | instskip(NEXT) | instid1(VALU_DEP_1)
	v_add_f32_e32 v74, v74, v78
	v_add_f32_e32 v74, v74, v81
	v_fma_f32 v76, s19, v130, -v71
	v_fma_f32 v77, s19, v131, -v71
	;; [unrolled: 1-line block ×5, first 2 shown]
	s_delay_alu instid0(VALU_DEP_4) | instskip(NEXT) | instid1(VALU_DEP_4)
	v_dual_mul_f32 v76, 0x3fb8aa3b, v76 :: v_dual_mul_f32 v77, 0x3fb8aa3b, v77
	v_mul_f32_e32 v72, 0x3fb8aa3b, v72
	s_delay_alu instid0(VALU_DEP_4) | instskip(SKIP_1) | instid1(VALU_DEP_4)
	v_mul_f32_e32 v82, 0x3fb8aa3b, v80
	v_fma_f32 v86, s19, v122, -v71
	v_exp_f32_e32 v76, v76
	v_exp_f32_e32 v77, v77
	;; [unrolled: 1-line block ×4, first 2 shown]
	v_mul_f32_e32 v86, 0x3fb8aa3b, v86
	s_delay_alu instid0(VALU_DEP_1)
	v_exp_f32_e32 v88, v86
	v_cndmask_b32_e64 v80, 0, v76, s5
	v_mul_f32_e32 v75, 0x3fb8aa3b, v75
	v_fma_f32 v76, s19, v119, -v71
	v_cndmask_b32_e64 v83, 0, v77, s6
	v_fma_f32 v77, s19, v120, -v71
	v_add_f32_e32 v74, v74, v80
	v_exp_f32_e32 v75, v75
	v_mul_f32_e32 v76, 0x3fb8aa3b, v76
	v_cndmask_b32_e64 v82, 0, v72, s7
	s_delay_alu instid0(VALU_DEP_3) | instskip(SKIP_1) | instid1(VALU_DEP_4)
	v_dual_mul_f32 v77, 0x3fb8aa3b, v77 :: v_dual_add_f32 v72, v74, v83
	v_fma_f32 v74, s19, v121, -v71
	v_exp_f32_e32 v76, v76
	v_cndmask_b32_e64 v85, 0, v84, s8
	s_delay_alu instid0(VALU_DEP_3) | instskip(SKIP_1) | instid1(TRANS32_DEP_3)
	v_exp_f32_e32 v77, v77
	v_cndmask_b32_e64 v88, 0, v88, s13
	v_cndmask_b32_e64 v84, 0, v75, s9
	v_fma_f32 v75, s19, v123, -v71
	v_add_f32_e32 v72, v72, v82
	s_delay_alu instid0(VALU_DEP_2) | instskip(NEXT) | instid1(VALU_DEP_2)
	v_dual_mul_f32 v74, 0x3fb8aa3b, v74 :: v_dual_mul_f32 v75, 0x3fb8aa3b, v75
	v_add_f32_e32 v72, v72, v85
	s_delay_alu instid0(VALU_DEP_2)
	v_exp_f32_e32 v74, v74
	v_cndmask_b32_e64 v87, 0, v76, s10
	v_fma_f32 v76, s19, v124, -v71
	v_cndmask_b32_e64 v86, 0, v77, s11
	v_add_f32_e32 v72, v72, v84
	v_fma_f32 v77, s19, v125, -v71
	v_exp_f32_e32 v75, v75
	v_mul_f32_e32 v76, 0x3fb8aa3b, v76
	s_delay_alu instid0(VALU_DEP_3) | instskip(NEXT) | instid1(TRANS32_DEP_2)
	v_add_f32_e32 v72, v72, v87
	v_cndmask_b32_e64 v89, 0, v74, s12
	v_mul_f32_e32 v74, 0x3fb8aa3b, v77
	s_delay_alu instid0(VALU_DEP_4) | instskip(SKIP_2) | instid1(VALU_DEP_3)
	v_exp_f32_e32 v76, v76
	v_fma_f32 v77, s19, v126, -v71
	v_add_f32_e32 v72, v72, v86
	v_exp_f32_e32 v74, v74
	s_delay_alu instid0(TRANS32_DEP_3) | instskip(NEXT) | instid1(VALU_DEP_3)
	v_cndmask_b32_e64 v91, 0, v75, s15
	v_mul_f32_e32 v75, 0x3fb8aa3b, v77
	s_delay_alu instid0(VALU_DEP_3) | instskip(NEXT) | instid1(TRANS32_DEP_2)
	v_add_f32_e32 v72, v72, v89
	v_cndmask_b32_e64 v90, 0, v76, s16
	s_delay_alu instid0(VALU_DEP_3) | instskip(NEXT) | instid1(VALU_DEP_2)
	v_exp_f32_e32 v75, v75
	v_add_f32_e32 v72, v72, v88
	s_delay_alu instid0(TRANS32_DEP_2) | instskip(NEXT) | instid1(VALU_DEP_2)
	v_cndmask_b32_e64 v93, 0, v74, s17
	v_add_f32_e32 v72, v72, v91
	s_waitcnt_depctr 0xfff
	v_cndmask_b32_e64 v92, 0, v75, s18
	v_add_f32_e32 v72, v72, v90
	s_delay_alu instid0(VALU_DEP_1) | instskip(NEXT) | instid1(VALU_DEP_1)
	v_add_f32_e32 v72, v72, v93
	v_add_f32_e32 v72, v72, v92
	ds_bpermute_b32 v73, v73, v72
	s_and_saveexec_b32 s4, s3
	s_cbranch_execz .LBB1154_12
; %bb.11:
	v_mul_u32_u24_e32 v70, 0x44, v69
	s_waitcnt lgkmcnt(0)
	v_add_f32_e32 v72, v72, v73
	s_delay_alu instid0(VALU_DEP_2) | instskip(NEXT) | instid1(VALU_DEP_1)
	v_lshl_add_u32 v70, v68, 2, v70
	v_add_nc_u32_e32 v70, 0x4000, v70
	ds_store_2addr_b32 v70, v71, v72 offset1:136
.LBB1154_12:
	s_or_b32 exec_lo, exec_lo, s4
	v_lshlrev_b32_e32 v70, 2, v68
	s_load_b32 s36, s[0:1], 0x94
	s_waitcnt lgkmcnt(0)
	s_barrier
	buffer_gl0_inv
	v_add_nc_u32_e32 v98, 0x4000, v70
	v_cmp_eq_u32_e32 vcc_lo, 1, v69
	v_cmp_eq_u32_e64 s4, 2, v69
	v_cmp_eq_u32_e64 s5, 3, v69
	;; [unrolled: 1-line block ×3, first 2 shown]
	ds_load_2addr_b32 v[70:71], v98 offset1:17
	ds_load_2addr_b32 v[72:73], v98 offset0:34 offset1:51
	ds_load_2addr_b32 v[74:75], v98 offset0:68 offset1:85
	ds_load_2addr_b32 v[94:95], v98 offset0:102 offset1:119
	v_cmp_eq_u32_e64 s7, 5, v69
	v_cmp_eq_u32_e64 s8, 7, v69
	s_waitcnt lgkmcnt(3)
	v_max3_f32 v76, v70, 0xff7fffff, v71
	s_waitcnt lgkmcnt(2)
	s_delay_alu instid0(VALU_DEP_1) | instskip(SKIP_1) | instid1(VALU_DEP_1)
	v_max3_f32 v76, v76, v72, v73
	s_waitcnt lgkmcnt(1)
	v_max3_f32 v76, v76, v74, v75
	s_waitcnt lgkmcnt(0)
	s_delay_alu instid0(VALU_DEP_1) | instskip(NEXT) | instid1(VALU_DEP_1)
	v_max3_f32 v76, v76, v94, v95
	v_sub_f32_e32 v77, v71, v76
	ds_load_2addr_b32 v[96:97], v98 offset0:136 offset1:153
	v_sub_f32_e32 v74, v74, v76
	v_sub_f32_e32 v70, v70, v76
	;; [unrolled: 1-line block ×3, first 2 shown]
	v_dual_sub_f32 v72, v72, v76 :: v_dual_mul_f32 v77, 0x3fb8aa3b, v77
	s_delay_alu instid0(VALU_DEP_4) | instskip(NEXT) | instid1(VALU_DEP_4)
	v_mul_f32_e32 v103, 0x3fb8aa3b, v74
	v_mul_f32_e32 v99, 0x3fb8aa3b, v70
	ds_load_2addr_b32 v[70:71], v98 offset0:170 offset1:187
	v_dual_mul_f32 v101, 0x3fb8aa3b, v72 :: v_dual_mul_f32 v94, 0x3fb8aa3b, v94
	v_exp_f32_e32 v102, v77
	v_exp_f32_e32 v99, v99
	s_delay_alu instid0(VALU_DEP_1) | instskip(NEXT) | instid1(VALU_DEP_1)
	v_exp_f32_e32 v101, v101
	v_exp_f32_e32 v94, v94
	s_waitcnt lgkmcnt(1)
	s_delay_alu instid0(TRANS32_DEP_3)
	v_fma_f32 v77, v99, v96, 0
	v_sub_f32_e32 v100, v73, v76
	ds_load_2addr_b32 v[72:73], v98 offset0:204 offset1:221
	v_fmac_f32_e32 v77, v102, v97
	v_exp_f32_e32 v97, v103
	s_waitcnt lgkmcnt(1)
	s_delay_alu instid0(VALU_DEP_1)
	v_dual_fmac_f32 v77, v101, v70 :: v_dual_sub_f32 v96, v75, v76
	ds_load_2addr_b32 v[74:75], v98 offset0:238 offset1:255
	v_sub_f32_e32 v70, v95, v76
	s_waitcnt lgkmcnt(0)
	s_barrier
	v_mul_f32_e32 v96, 0x3fb8aa3b, v96
	buffer_gl0_inv
	v_exp_f32_e32 v95, v96
	v_mul_f32_e32 v100, 0x3fb8aa3b, v100
	s_delay_alu instid0(VALU_DEP_1) | instskip(SKIP_3) | instid1(VALU_DEP_2)
	v_exp_f32_e32 v100, v100
	s_waitcnt_depctr 0xfff
	v_dual_fmac_f32 v77, v100, v71 :: v_dual_mul_f32 v70, 0x3fb8aa3b, v70
	v_cndmask_b32_e32 v71, v99, v102, vcc_lo
	v_fmac_f32_e32 v77, v97, v72
	s_delay_alu instid0(VALU_DEP_3) | instskip(NEXT) | instid1(VALU_DEP_1)
	v_exp_f32_e32 v96, v70
	v_fmac_f32_e32 v77, v95, v73
	s_delay_alu instid0(VALU_DEP_1) | instskip(SKIP_2) | instid1(VALU_DEP_1)
	v_fmac_f32_e32 v77, v94, v74
	s_waitcnt_depctr 0xfff
	v_fmac_f32_e32 v77, v96, v75
	v_add_f32_e32 v74, 0x358637bd, v77
	s_delay_alu instid0(VALU_DEP_1) | instskip(SKIP_1) | instid1(VALU_DEP_2)
	v_div_scale_f32 v98, null, v74, v74, 1.0
	v_div_scale_f32 v99, vcc_lo, 1.0, v74, 1.0
	v_rcp_f32_e32 v103, v98
	s_waitcnt_depctr 0xfff
	v_fma_f32 v70, -v98, v103, 1.0
	s_delay_alu instid0(VALU_DEP_1) | instskip(SKIP_2) | instid1(VALU_DEP_2)
	v_fmac_f32_e32 v103, v70, v103
	v_cndmask_b32_e64 v70, v71, v101, s4
	v_cmp_eq_u32_e64 s4, 6, v69
	v_cndmask_b32_e64 v71, v70, v100, s5
	s_delay_alu instid0(VALU_DEP_4) | instskip(NEXT) | instid1(VALU_DEP_2)
	v_dual_mul_f32 v101, v99, v103 :: v_dual_lshlrev_b32 v70, 2, v66
	v_cndmask_b32_e64 v71, v71, v97, s6
	s_delay_alu instid0(VALU_DEP_2) | instskip(NEXT) | instid1(VALU_DEP_3)
	v_or_b32_e32 v72, 1, v70
	v_fma_f32 v100, -v98, v101, v99
	v_cmp_eq_u32_e64 s5, 1, v70
	v_cmp_eq_u32_e64 s6, 2, v70
	v_cndmask_b32_e64 v95, v71, v95, s7
	v_or_b32_e32 v71, 3, v70
	v_fmac_f32_e32 v101, v100, v103
	v_cmp_eq_u32_e64 s10, 1, v72
	v_cmp_eq_u32_e64 s13, 2, v72
	v_cndmask_b32_e64 v94, v95, v94, s4
	v_cmp_eq_u32_e64 s12, 1, v71
	v_fma_f32 v97, -v98, v101, v99
	v_cmp_eq_u32_e64 s17, 2, v71
	v_cmp_eq_u32_e64 s15, 3, v72
	v_cndmask_b32_e64 v94, v94, v96, s8
	v_cmp_eq_u32_e64 s19, 3, v71
	v_div_fmas_f32 v95, v97, v103, v101
	v_cmp_eq_u32_e32 vcc_lo, 3, v70
	v_cmp_eq_u32_e64 s4, 4, v70
	v_cmp_eq_u32_e64 s20, 4, v72
	;; [unrolled: 1-line block ×3, first 2 shown]
	v_div_fixup_f32 v95, v95, v74, 1.0
	v_lshlrev_b32_e32 v73, 6, v68
	v_cmp_eq_u32_e64 s7, 5, v70
	v_cmp_eq_u32_e64 s21, 5, v72
	;; [unrolled: 1-line block ×3, first 2 shown]
	v_mul_f32_e32 v102, v94, v95
	v_lshl_or_b32 v75, v69, 11, v73
	v_or_b32_e32 v69, 2, v70
	v_cmp_eq_u32_e64 s26, 6, v72
	v_cmp_eq_u32_e64 s28, 6, v71
	v_fma_mixlo_f16 v94, v102, v79, 0
	v_fma_mixlo_f16 v95, v102, v81, 0
	;; [unrolled: 1-line block ×8, first 2 shown]
	v_lshl_or_b32 v74, v66, 4, v75
	v_fma_mixhi_f16 v94, v102, v78, 0
	v_fma_mixhi_f16 v95, v102, v80, 0
	;; [unrolled: 1-line block ×8, first 2 shown]
	ds_store_b128 v74, v[94:97]
	ds_store_b128 v74, v[98:101] offset:1024
	s_waitcnt lgkmcnt(0)
	s_barrier
	buffer_gl0_inv
	ds_load_b128 v[78:81], v75
	ds_load_b128 v[82:85], v75 offset:16
	ds_load_b128 v[86:89], v75 offset:1024
	;; [unrolled: 1-line block ×3, first 2 shown]
	v_cmp_eq_u32_e64 s11, 1, v69
	v_cmp_eq_u32_e64 s16, 2, v69
	;; [unrolled: 1-line block ×11, first 2 shown]
	s_waitcnt lgkmcnt(3)
	v_lshrrev_b32_e32 v94, 16, v78
	s_waitcnt lgkmcnt(2)
	v_lshrrev_b32_e32 v98, 16, v82
	;; [unrolled: 2-line block ×4, first 2 shown]
	v_lshrrev_b32_e32 v95, 16, v79
	v_cndmask_b32_e64 v110, v78, v94, s5
	v_cndmask_b32_e64 v111, v82, v98, s5
	;; [unrolled: 1-line block ×8, first 2 shown]
	v_lshrrev_b32_e32 v99, 16, v83
	v_cndmask_b32_e64 v94, v86, v102, s5
	v_cndmask_b32_e64 v98, v90, v106, s5
	;; [unrolled: 1-line block ×15, first 2 shown]
	v_lshrrev_b32_e32 v103, 16, v87
	v_lshrrev_b32_e32 v107, 16, v91
	v_cndmask_b32_e64 v113, v115, v83, s16
	v_cndmask_b32_e64 v82, v94, v87, s6
	;; [unrolled: 1-line block ×7, first 2 shown]
	v_cndmask_b32_e32 v90, v102, v95, vcc_lo
	v_cndmask_b32_e32 v102, v106, v99, vcc_lo
	v_cndmask_b32_e64 v106, v110, v95, s15
	v_cndmask_b32_e64 v110, v111, v99, s15
	;; [unrolled: 1-line block ×4, first 2 shown]
	v_lshrrev_b32_e32 v96, 16, v80
	v_lshrrev_b32_e32 v100, 16, v84
	v_cndmask_b32_e64 v111, v112, v95, s18
	v_cndmask_b32_e64 v112, v113, v99, s18
	v_cndmask_b32_e32 v82, v82, v103, vcc_lo
	v_cndmask_b32_e32 v83, v83, v107, vcc_lo
	v_cndmask_b32_e64 v94, v94, v103, s15
	v_cndmask_b32_e64 v90, v90, v80, s4
	;; [unrolled: 1-line block ×7, first 2 shown]
	v_lshrrev_b32_e32 v104, 16, v88
	v_cndmask_b32_e64 v106, v111, v80, s22
	v_cndmask_b32_e64 v110, v112, v84, s22
	;; [unrolled: 1-line block ×11, first 2 shown]
	v_lshrrev_b32_e32 v97, 16, v81
	v_lshrrev_b32_e32 v101, 16, v85
	v_cndmask_b32_e64 v99, v106, v96, s24
	v_cndmask_b32_e64 v102, v110, v100, s24
	;; [unrolled: 1-line block ×7, first 2 shown]
	v_lshrrev_b32_e32 v105, 16, v89
	v_cndmask_b32_e64 v80, v80, v104, s7
	v_cndmask_b32_e64 v84, v84, v81, s8
	;; [unrolled: 1-line block ×16, first 2 shown]
	v_perm_b32 v81, v79, v78, 0x5040100
	v_perm_b32 v79, v95, v85, 0x5040100
	v_cndmask_b32_e64 v78, v119, v91, s16
	v_cndmask_b32_e64 v85, v117, v91, s13
	;; [unrolled: 1-line block ×3, first 2 shown]
	v_perm_b32 v80, v94, v90, 0x5040100
	v_cndmask_b32_e64 v90, v98, v103, s18
	v_cndmask_b32_e64 v86, v86, v103, s19
	;; [unrolled: 1-line block ×5, first 2 shown]
	v_lshrrev_b32_e32 v108, 16, v92
	v_cndmask_b32_e64 v90, v90, v88, s22
	v_cndmask_b32_e64 v86, v86, v88, s23
	;; [unrolled: 1-line block ×11, first 2 shown]
	v_lshrrev_b32_e32 v109, 16, v93
	v_cndmask_b32_e64 v82, v82, v93, s8
	v_cndmask_b32_e64 v88, v88, v89, s27
	v_cndmask_b32_e64 v86, v86, v89, s28
	v_cndmask_b32_e64 v87, v87, v93, s28
	v_cndmask_b32_e64 v78, v78, v93, s27
	v_cndmask_b32_e64 v85, v85, v93, s26
	v_cndmask_b32_e64 v88, v88, v105, s29
	v_cndmask_b32_e64 v86, v86, v105, s30
	v_cndmask_b32_e64 v87, v87, v109, s30
	v_cndmask_b32_e64 v89, v78, v109, s29
	v_cndmask_b32_e64 v90, v85, v109, s31
	v_cndmask_b32_e64 v82, v82, v109, s9
	v_perm_b32 v78, v84, v83, 0x5040100
	v_perm_b32 v85, v87, v86, 0x5040100
	;; [unrolled: 1-line block ×5, first 2 shown]
	s_mul_i32 s9, s35, 5
	s_mov_b32 s4, exec_lo
	ds_store_b128 v74, v[78:81]
	ds_store_b128 v74, v[82:85] offset:1024
	v_cmpx_gt_u32_e32 5, v0
	s_cbranch_execz .LBB1154_14
; %bb.13:
	s_mul_i32 s5, s9, s34
	s_load_b128 s[16:19], s[0:1], 0x58
	v_add3_u32 v68, s5, s33, v68
	s_delay_alu instid0(VALU_DEP_1) | instskip(NEXT) | instid1(VALU_DEP_1)
	v_mad_u64_u32 v[78:79], null, v68, s36, s[14:15]
	v_ashrrev_i32_e32 v79, 31, v78
	s_delay_alu instid0(VALU_DEP_1) | instskip(SKIP_1) | instid1(VALU_DEP_1)
	v_lshlrev_b64 v[78:79], 2, v[78:79]
	s_waitcnt lgkmcnt(0)
	v_add_co_u32 v80, vcc_lo, s18, v78
	s_delay_alu instid0(VALU_DEP_2)
	v_add_co_ci_u32_e32 v81, vcc_lo, s19, v79, vcc_lo
	v_add_co_u32 v78, vcc_lo, s16, v78
	v_add_co_ci_u32_e32 v79, vcc_lo, s17, v79, vcc_lo
	global_store_b32 v[80:81], v76, off
	global_store_b32 v[78:79], v77, off
.LBB1154_14:
	s_or_b32 exec_lo, exec_lo, s4
	s_waitcnt lgkmcnt(0)
	s_waitcnt_vscnt null, 0x0
	s_barrier
	buffer_gl0_inv
	ds_load_b128 v[84:87], v73
	ds_load_b128 v[88:91], v73 offset:16
	ds_load_b128 v[96:99], v73 offset:2064
	ds_load_b128 v[92:95], v73 offset:2048
	ds_load_b128 v[104:107], v73 offset:4112
	ds_load_b128 v[100:103], v73 offset:4096
	v_cmp_eq_u32_e32 vcc_lo, 1, v70
	v_mov_b32_e32 v76, 0
	ds_load_b128 v[112:115], v73 offset:6160
	ds_load_b128 v[108:111], v73 offset:6144
	;; [unrolled: 1-line block ×4, first 2 shown]
	v_cmp_eq_u32_e64 s5, 1, v69
	v_cmp_eq_u32_e64 s4, 1, v72
	;; [unrolled: 1-line block ×3, first 2 shown]
	v_mov_b32_e32 v77, v76
	v_mov_b32_e32 v78, v76
	;; [unrolled: 1-line block ×7, first 2 shown]
	v_cmp_eq_u32_e64 s7, 3, v72
	v_cmp_eq_u32_e64 s8, 7, v72
	s_waitcnt lgkmcnt(8)
	s_delay_alu instid0(VALU_DEP_3)
	v_wmma_f32_16x16x16_f16 v[76:83], v[49:56], v[84:91], v[76:83]
	ds_load_b128 v[53:56], v73 offset:10256
	ds_load_b128 v[49:52], v73 offset:10240
	s_waitcnt lgkmcnt(8)
	v_wmma_f32_16x16x16_f16 v[76:83], v[41:48], v[92:99], v[76:83]
	ds_load_b128 v[45:48], v73 offset:12304
	ds_load_b128 v[41:44], v73 offset:12288
	s_waitcnt lgkmcnt(8)
	;; [unrolled: 4-line block ×3, first 2 shown]
	s_barrier
	buffer_gl0_inv
	v_wmma_f32_16x16x16_f16 v[76:83], v[1:8], v[108:115], v[76:83]
	s_delay_alu instid0(VALU_DEP_1) | instskip(NEXT) | instid1(VALU_DEP_1)
	v_wmma_f32_16x16x16_f16 v[76:83], v[9:16], v[116:123], v[76:83]
	v_wmma_f32_16x16x16_f16 v[76:83], v[17:24], v[49:56], v[76:83]
	s_delay_alu instid0(VALU_DEP_1) | instskip(NEXT) | instid1(VALU_DEP_1)
	v_wmma_f32_16x16x16_f16 v[76:83], v[25:32], v[41:48], v[76:83]
	v_wmma_f32_16x16x16_f16 v[76:83], v[57:64], v[33:40], v[76:83]
	s_delay_alu instid0(VALU_DEP_1) | instskip(NEXT) | instid1(VALU_DEP_2)
	v_cvt_f16_f32_e32 v1, v76
	v_cvt_f16_f32_e32 v2, v77
	s_delay_alu instid0(VALU_DEP_3) | instskip(NEXT) | instid1(VALU_DEP_4)
	v_cvt_f16_f32_e32 v3, v78
	v_cvt_f16_f32_e32 v4, v79
	v_cvt_f16_f32_e32 v5, v80
	v_cvt_f16_f32_e32 v6, v81
	v_cvt_f16_f32_e32 v7, v82
	v_cvt_f16_f32_e32 v8, v83
	v_pack_b32_f16 v1, v1, v2
	v_pack_b32_f16 v2, v3, v4
	;; [unrolled: 1-line block ×3, first 2 shown]
	s_delay_alu instid0(VALU_DEP_4)
	v_pack_b32_f16 v4, v7, v8
	ds_store_b128 v74, v[1:4]
	s_waitcnt lgkmcnt(0)
	s_barrier
	buffer_gl0_inv
	ds_load_b128 v[1:4], v75
	ds_load_b128 v[5:8], v75 offset:16
	s_waitcnt lgkmcnt(1)
	v_lshrrev_b32_e32 v9, 16, v1
	s_waitcnt lgkmcnt(0)
	v_lshrrev_b32_e32 v13, 16, v5
	v_lshrrev_b32_e32 v10, 16, v2
	;; [unrolled: 1-line block ×4, first 2 shown]
	v_cndmask_b32_e32 v17, v1, v9, vcc_lo
	v_cndmask_b32_e32 v18, v5, v13, vcc_lo
	v_cndmask_b32_e64 v21, v1, v9, s5
	v_cmp_eq_u32_e32 vcc_lo, 1, v71
	v_cndmask_b32_e64 v22, v5, v13, s5
	v_cmp_eq_u32_e64 s5, 2, v70
	v_cndmask_b32_e64 v19, v1, v9, s4
	v_cndmask_b32_e64 v20, v5, v13, s4
	v_cndmask_b32_e32 v1, v1, v9, vcc_lo
	v_cmp_eq_u32_e64 s4, 2, v71
	v_cndmask_b32_e32 v5, v5, v13, vcc_lo
	v_cndmask_b32_e64 v9, v17, v2, s5
	v_cmp_eq_u32_e32 vcc_lo, 3, v70
	v_cndmask_b32_e64 v13, v18, v6, s5
	v_cmp_eq_u32_e64 s5, 2, v69
	v_cndmask_b32_e64 v17, v19, v2, s6
	v_cndmask_b32_e64 v18, v20, v6, s6
	v_cmp_eq_u32_e64 s6, 3, v69
	v_cndmask_b32_e64 v1, v1, v2, s4
	v_cndmask_b32_e64 v19, v21, v2, s5
	;; [unrolled: 1-line block ×4, first 2 shown]
	v_cndmask_b32_e32 v5, v9, v10, vcc_lo
	v_cndmask_b32_e32 v6, v13, v14, vcc_lo
	v_cmp_eq_u32_e32 vcc_lo, 3, v71
	v_cndmask_b32_e64 v9, v17, v10, s7
	v_cndmask_b32_e64 v13, v18, v14, s7
	;; [unrolled: 1-line block ×3, first 2 shown]
	v_cmp_eq_u32_e64 s5, 4, v70
	v_cndmask_b32_e32 v1, v1, v10, vcc_lo
	v_cndmask_b32_e32 v2, v2, v14, vcc_lo
	v_cmp_eq_u32_e32 vcc_lo, 4, v72
	v_lshrrev_b32_e32 v15, 16, v7
	v_lshrrev_b32_e32 v16, 16, v8
	v_cndmask_b32_e64 v17, v19, v10, s6
	v_cmp_eq_u32_e64 s4, 4, v71
	v_cndmask_b32_e64 v5, v5, v3, s5
	v_cndmask_b32_e64 v6, v6, v7, s5
	v_cndmask_b32_e32 v9, v9, v3, vcc_lo
	v_cmp_eq_u32_e64 s5, 5, v72
	v_cndmask_b32_e32 v10, v13, v7, vcc_lo
	v_cmp_eq_u32_e32 vcc_lo, 4, v69
	v_cmp_eq_u32_e64 s6, 5, v70
	v_cndmask_b32_e64 v2, v2, v7, s4
	v_cndmask_b32_e64 v9, v9, v11, s5
	;; [unrolled: 1-line block ×3, first 2 shown]
	v_cndmask_b32_e32 v13, v17, v3, vcc_lo
	v_cmp_eq_u32_e64 s5, 5, v69
	v_cndmask_b32_e32 v14, v18, v7, vcc_lo
	v_cndmask_b32_e64 v1, v1, v3, s4
	v_cmp_eq_u32_e32 vcc_lo, 5, v71
	v_lshrrev_b32_e32 v12, 16, v4
	v_cndmask_b32_e64 v13, v13, v11, s5
	v_cndmask_b32_e64 v3, v14, v15, s5
	v_cmp_eq_u32_e64 s5, 6, v71
	v_cndmask_b32_e32 v1, v1, v11, vcc_lo
	v_cndmask_b32_e64 v5, v5, v11, s6
	v_cmp_eq_u32_e64 s7, 6, v70
	v_cndmask_b32_e64 v6, v6, v15, s6
	v_cmp_eq_u32_e64 s6, 6, v72
	v_cmp_eq_u32_e64 s4, 6, v69
	v_cndmask_b32_e64 v1, v1, v4, s5
	v_cndmask_b32_e32 v2, v2, v15, vcc_lo
	v_cmp_eq_u32_e32 vcc_lo, 7, v71
	v_cndmask_b32_e64 v5, v5, v4, s7
	v_cndmask_b32_e64 v9, v9, v4, s6
	;; [unrolled: 1-line block ×3, first 2 shown]
	v_cmp_eq_u32_e64 s7, 7, v70
	v_cndmask_b32_e32 v1, v1, v12, vcc_lo
	v_cndmask_b32_e64 v7, v13, v4, s4
	v_cndmask_b32_e64 v3, v3, v8, s4
	;; [unrolled: 1-line block ×3, first 2 shown]
	v_cmp_eq_u32_e64 s4, 7, v69
	v_cndmask_b32_e64 v4, v10, v8, s6
	v_cndmask_b32_e64 v5, v5, v12, s7
	;; [unrolled: 1-line block ×3, first 2 shown]
	v_cndmask_b32_e32 v2, v2, v16, vcc_lo
	v_cndmask_b32_e64 v7, v7, v12, s4
	v_cndmask_b32_e64 v3, v3, v16, s4
	;; [unrolled: 1-line block ×4, first 2 shown]
	v_cmp_gt_u32_e32 vcc_lo, 32, v0
	v_perm_b32 v4, v2, v1, 0x5040100
	v_perm_b32 v3, v3, v7, 0x5040100
	v_perm_b32 v2, v8, v9, 0x5040100
	v_perm_b32 v1, v6, v5, 0x5040100
	s_and_b32 s2, vcc_lo, s2
	ds_store_b128 v74, v[1:4]
	s_waitcnt lgkmcnt(0)
	s_barrier
	buffer_gl0_inv
	s_and_saveexec_b32 s4, s2
	s_cbranch_execz .LBB1154_2
; %bb.15:
	s_load_b64 s[4:5], s[0:1], 0x68
	v_lshlrev_b32_e32 v0, 10, v0
	v_add_nc_u32_e32 v2, s33, v66
	v_lshlrev_b32_e32 v3, 4, v67
	s_lshl_b32 s0, s36, 6
	s_delay_alu instid0(SALU_CYCLE_1) | instskip(NEXT) | instid1(VALU_DEP_2)
	s_mul_i32 s1, s0, s34
	v_mul_lo_u32 v1, v2, s0
	s_delay_alu instid0(VALU_DEP_2) | instskip(SKIP_2) | instid1(SALU_CYCLE_1)
	v_and_or_b32 v0, 0x3800, v0, v3
	v_add_nc_u32_e32 v2, 2, v2
	s_mul_i32 s6, s1, s9
	s_ashr_i32 s7, s6, 31
	s_delay_alu instid0(VALU_DEP_2)
	v_lshl_or_b32 v7, v66, 6, v0
	s_lshl_b64 s[6:7], s[6:7], 1
	v_mul_lo_u32 v11, v2, s0
	v_ashrrev_i32_e32 v2, 31, v1
	ds_load_b128 v[3:6], v7
	ds_load_b128 v[7:10], v7 offset:128
	s_waitcnt lgkmcnt(0)
	s_add_u32 s1, s4, s6
	s_addc_u32 s2, s5, s7
	s_lshl_b32 s4, s14, 6
	v_ashrrev_i32_e32 v12, 31, v11
	s_ashr_i32 s5, s4, 31
	v_lshlrev_b64 v[13:14], 1, v[1:2]
	s_lshl_b64 s[4:5], s[4:5], 1
	s_delay_alu instid0(SALU_CYCLE_1) | instskip(SKIP_2) | instid1(VALU_DEP_1)
	s_add_u32 s1, s1, s4
	s_addc_u32 s2, s2, s5
	v_add_co_u32 v1, s1, s1, v65
	v_add_co_ci_u32_e64 v2, null, s2, 0, s1
	v_lshlrev_b64 v[11:12], 1, v[11:12]
	s_delay_alu instid0(VALU_DEP_3) | instskip(NEXT) | instid1(VALU_DEP_3)
	v_add_co_u32 v13, vcc_lo, v1, v13
	v_add_co_ci_u32_e32 v14, vcc_lo, v2, v14, vcc_lo
	s_delay_alu instid0(VALU_DEP_3) | instskip(NEXT) | instid1(VALU_DEP_4)
	v_add_co_u32 v11, vcc_lo, v1, v11
	v_add_co_ci_u32_e32 v12, vcc_lo, v2, v12, vcc_lo
	s_clause 0x1
	global_store_b128 v[13:14], v[3:6], off
	global_store_b128 v[11:12], v[7:10], off
	s_and_b32 exec_lo, exec_lo, s3
	s_cbranch_execz .LBB1154_2
; %bb.16:
	ds_load_b128 v[3:6], v0 offset:256
	s_add_i32 s1, s33, 4
	s_delay_alu instid0(SALU_CYCLE_1) | instskip(NEXT) | instid1(SALU_CYCLE_1)
	s_mul_i32 s0, s1, s0
	s_ashr_i32 s1, s0, 31
	s_delay_alu instid0(SALU_CYCLE_1) | instskip(NEXT) | instid1(SALU_CYCLE_1)
	s_lshl_b64 s[0:1], s[0:1], 1
	v_add_co_u32 v0, vcc_lo, v1, s0
	v_add_co_ci_u32_e32 v1, vcc_lo, s1, v2, vcc_lo
	s_waitcnt lgkmcnt(0)
	global_store_b128 v[0:1], v[3:6], off
	s_nop 0
	s_sendmsg sendmsg(MSG_DEALLOC_VGPRS)
	s_endpgm
	.section	.rodata,"a",@progbits
	.p2align	6, 0x0
	.amdhsa_kernel _Z39paged_attention_ll4mi_QKV_mfma16_kernelIDF16_hLN4vllm18Fp8KVCacheDataTypeE1EhLi32ELi64ELi256ELb1ELi5EL8MFMAType0EEvPKT_PKT0_S8_ifPKiSA_SA_iPKfiiiPfSD_PS3_PT2_iSC_SC_
		.amdhsa_group_segment_fixed_size 17472
		.amdhsa_private_segment_fixed_size 0
		.amdhsa_kernarg_size 400
		.amdhsa_user_sgpr_count 13
		.amdhsa_user_sgpr_dispatch_ptr 0
		.amdhsa_user_sgpr_queue_ptr 0
		.amdhsa_user_sgpr_kernarg_segment_ptr 1
		.amdhsa_user_sgpr_dispatch_id 0
		.amdhsa_user_sgpr_private_segment_size 0
		.amdhsa_wavefront_size32 1
		.amdhsa_uses_dynamic_stack 0
		.amdhsa_enable_private_segment 0
		.amdhsa_system_sgpr_workgroup_id_x 1
		.amdhsa_system_sgpr_workgroup_id_y 1
		.amdhsa_system_sgpr_workgroup_id_z 1
		.amdhsa_system_sgpr_workgroup_info 0
		.amdhsa_system_vgpr_workitem_id 0
		.amdhsa_next_free_vgpr 146
		.amdhsa_next_free_sgpr 37
		.amdhsa_reserve_vcc 1
		.amdhsa_float_round_mode_32 0
		.amdhsa_float_round_mode_16_64 0
		.amdhsa_float_denorm_mode_32 3
		.amdhsa_float_denorm_mode_16_64 3
		.amdhsa_dx10_clamp 1
		.amdhsa_ieee_mode 1
		.amdhsa_fp16_overflow 0
		.amdhsa_workgroup_processor_mode 1
		.amdhsa_memory_ordered 1
		.amdhsa_forward_progress 0
		.amdhsa_shared_vgpr_count 0
		.amdhsa_exception_fp_ieee_invalid_op 0
		.amdhsa_exception_fp_denorm_src 0
		.amdhsa_exception_fp_ieee_div_zero 0
		.amdhsa_exception_fp_ieee_overflow 0
		.amdhsa_exception_fp_ieee_underflow 0
		.amdhsa_exception_fp_ieee_inexact 0
		.amdhsa_exception_int_div_zero 0
	.end_amdhsa_kernel
	.section	.text._Z39paged_attention_ll4mi_QKV_mfma16_kernelIDF16_hLN4vllm18Fp8KVCacheDataTypeE1EhLi32ELi64ELi256ELb1ELi5EL8MFMAType0EEvPKT_PKT0_S8_ifPKiSA_SA_iPKfiiiPfSD_PS3_PT2_iSC_SC_,"axG",@progbits,_Z39paged_attention_ll4mi_QKV_mfma16_kernelIDF16_hLN4vllm18Fp8KVCacheDataTypeE1EhLi32ELi64ELi256ELb1ELi5EL8MFMAType0EEvPKT_PKT0_S8_ifPKiSA_SA_iPKfiiiPfSD_PS3_PT2_iSC_SC_,comdat
.Lfunc_end1154:
	.size	_Z39paged_attention_ll4mi_QKV_mfma16_kernelIDF16_hLN4vllm18Fp8KVCacheDataTypeE1EhLi32ELi64ELi256ELb1ELi5EL8MFMAType0EEvPKT_PKT0_S8_ifPKiSA_SA_iPKfiiiPfSD_PS3_PT2_iSC_SC_, .Lfunc_end1154-_Z39paged_attention_ll4mi_QKV_mfma16_kernelIDF16_hLN4vllm18Fp8KVCacheDataTypeE1EhLi32ELi64ELi256ELb1ELi5EL8MFMAType0EEvPKT_PKT0_S8_ifPKiSA_SA_iPKfiiiPfSD_PS3_PT2_iSC_SC_
                                        ; -- End function
	.section	.AMDGPU.csdata,"",@progbits
; Kernel info:
; codeLenInByte = 6476
; NumSgprs: 39
; NumVgprs: 146
; ScratchSize: 0
; MemoryBound: 0
; FloatMode: 240
; IeeeMode: 1
; LDSByteSize: 17472 bytes/workgroup (compile time only)
; SGPRBlocks: 4
; VGPRBlocks: 18
; NumSGPRsForWavesPerEU: 39
; NumVGPRsForWavesPerEU: 146
; Occupancy: 9
; WaveLimiterHint : 1
; COMPUTE_PGM_RSRC2:SCRATCH_EN: 0
; COMPUTE_PGM_RSRC2:USER_SGPR: 13
; COMPUTE_PGM_RSRC2:TRAP_HANDLER: 0
; COMPUTE_PGM_RSRC2:TGID_X_EN: 1
; COMPUTE_PGM_RSRC2:TGID_Y_EN: 1
; COMPUTE_PGM_RSRC2:TGID_Z_EN: 1
; COMPUTE_PGM_RSRC2:TIDIG_COMP_CNT: 0
	.section	.text._Z39paged_attention_ll4mi_QKV_mfma16_kernelIDF16_hLN4vllm18Fp8KVCacheDataTypeE1EhLi32ELi64ELi256ELb1ELi6EL8MFMAType0EEvPKT_PKT0_S8_ifPKiSA_SA_iPKfiiiPfSD_PS3_PT2_iSC_SC_,"axG",@progbits,_Z39paged_attention_ll4mi_QKV_mfma16_kernelIDF16_hLN4vllm18Fp8KVCacheDataTypeE1EhLi32ELi64ELi256ELb1ELi6EL8MFMAType0EEvPKT_PKT0_S8_ifPKiSA_SA_iPKfiiiPfSD_PS3_PT2_iSC_SC_,comdat
	.protected	_Z39paged_attention_ll4mi_QKV_mfma16_kernelIDF16_hLN4vllm18Fp8KVCacheDataTypeE1EhLi32ELi64ELi256ELb1ELi6EL8MFMAType0EEvPKT_PKT0_S8_ifPKiSA_SA_iPKfiiiPfSD_PS3_PT2_iSC_SC_ ; -- Begin function _Z39paged_attention_ll4mi_QKV_mfma16_kernelIDF16_hLN4vllm18Fp8KVCacheDataTypeE1EhLi32ELi64ELi256ELb1ELi6EL8MFMAType0EEvPKT_PKT0_S8_ifPKiSA_SA_iPKfiiiPfSD_PS3_PT2_iSC_SC_
	.globl	_Z39paged_attention_ll4mi_QKV_mfma16_kernelIDF16_hLN4vllm18Fp8KVCacheDataTypeE1EhLi32ELi64ELi256ELb1ELi6EL8MFMAType0EEvPKT_PKT0_S8_ifPKiSA_SA_iPKfiiiPfSD_PS3_PT2_iSC_SC_
	.p2align	8
	.type	_Z39paged_attention_ll4mi_QKV_mfma16_kernelIDF16_hLN4vllm18Fp8KVCacheDataTypeE1EhLi32ELi64ELi256ELb1ELi6EL8MFMAType0EEvPKT_PKT0_S8_ifPKiSA_SA_iPKfiiiPfSD_PS3_PT2_iSC_SC_,@function
_Z39paged_attention_ll4mi_QKV_mfma16_kernelIDF16_hLN4vllm18Fp8KVCacheDataTypeE1EhLi32ELi64ELi256ELb1ELi6EL8MFMAType0EEvPKT_PKT0_S8_ifPKiSA_SA_iPKfiiiPfSD_PS3_PT2_iSC_SC_: ; @_Z39paged_attention_ll4mi_QKV_mfma16_kernelIDF16_hLN4vllm18Fp8KVCacheDataTypeE1EhLi32ELi64ELi256ELb1ELi6EL8MFMAType0EEvPKT_PKT0_S8_ifPKiSA_SA_iPKfiiiPfSD_PS3_PT2_iSC_SC_
; %bb.0:
	s_load_b64 s[2:3], s[0:1], 0x30
	s_mov_b32 s34, s13
	s_waitcnt lgkmcnt(0)
	s_cmp_lg_u64 s[2:3], 0
	s_cselect_b32 s6, -1, 0
	s_ashr_i32 s35, s13, 31
	s_cmp_eq_u64 s[2:3], 0
	s_cbranch_scc1 .LBB1155_3
; %bb.1:
	s_lshl_b64 s[4:5], s[34:35], 2
	s_delay_alu instid0(SALU_CYCLE_1) | instskip(SKIP_4) | instid1(SALU_CYCLE_1)
	s_add_u32 s4, s2, s4
	s_addc_u32 s5, s3, s5
	s_load_b64 s[4:5], s[4:5], 0x0
	s_waitcnt lgkmcnt(0)
	s_sub_i32 s4, s5, s4
	s_cmp_eq_u32 s4, 1
	s_cselect_b32 s4, -1, 0
	s_delay_alu instid0(SALU_CYCLE_1)
	s_and_not1_b32 vcc_lo, exec_lo, s4
	s_cbranch_vccz .LBB1155_4
.LBB1155_2:
	s_endpgm
.LBB1155_3:
.LBB1155_4:
	s_load_b64 s[8:9], s[0:1], 0x28
	s_lshl_b64 s[4:5], s[34:35], 2
	s_waitcnt lgkmcnt(0)
	s_add_u32 s8, s8, s4
	s_addc_u32 s9, s9, s5
	s_lshl_b32 s16, s14, 8
	s_load_b32 s18, s[8:9], 0x0
	s_waitcnt lgkmcnt(0)
	s_cmp_ge_i32 s16, s18
	s_cbranch_scc1 .LBB1155_2
; %bb.5:
	s_clause 0x1
	s_load_b128 s[8:11], s[0:1], 0x8
	s_load_b64 s[12:13], s[0:1], 0x20
	s_and_not1_b32 vcc_lo, exec_lo, s6
	s_cbranch_vccnz .LBB1155_7
; %bb.6:
	s_add_u32 s2, s2, s4
	s_addc_u32 s3, s3, s5
	s_load_b32 s3, s[2:3], 0x0
	s_branch .LBB1155_8
.LBB1155_7:
	s_mov_b32 s3, s34
.LBB1155_8:
	s_load_b128 s[4:7], s[0:1], 0x48
	v_and_b32_e32 v68, 15, v0
	v_cmp_gt_u32_e32 vcc_lo, 0x60, v0
	v_lshrrev_b32_e32 v69, 5, v0
	v_and_b32_e32 v70, 31, v0
	v_and_b32_e32 v67, 1, v0
	v_lshlrev_b32_e32 v1, 3, v68
	v_cmp_gt_u32_e64 s2, 8, v68
	v_bfe_u32 v66, v0, 4, 1
	s_mul_i32 s31, s15, 6
	s_delay_alu instid0(VALU_DEP_3) | instskip(NEXT) | instid1(VALU_DEP_3)
	v_lshlrev_b32_e32 v65, 1, v1
	s_and_b32 s17, vcc_lo, s2
	s_waitcnt lgkmcnt(0)
	s_and_saveexec_b32 s7, s17
	s_cbranch_execz .LBB1155_10
; %bb.9:
	s_load_b64 s[20:21], s[0:1], 0x0
	v_lshl_or_b32 v5, v69, 1, v66
	s_mul_hi_i32 s23, s3, s4
	s_mul_i32 s22, s3, s4
	v_lshlrev_b32_e32 v6, 10, v68
	s_lshl_b64 s[22:23], s[22:23], 1
	v_add_lshl_u32 v1, v5, s31, 6
	v_lshlrev_b32_e32 v5, 6, v5
	v_lshlrev_b32_e32 v7, 10, v67
	v_and_b32_e32 v6, 0x3800, v6
	s_delay_alu instid0(VALU_DEP_4) | instskip(NEXT) | instid1(VALU_DEP_2)
	v_ashrrev_i32_e32 v2, 31, v1
	v_or3_b32 v5, v6, v7, v5
	s_delay_alu instid0(VALU_DEP_2) | instskip(SKIP_3) | instid1(VALU_DEP_1)
	v_lshlrev_b64 v[1:2], 1, v[1:2]
	s_waitcnt lgkmcnt(0)
	s_add_u32 s3, s20, s22
	s_addc_u32 s4, s21, s23
	v_add_co_u32 v1, vcc_lo, s3, v1
	s_delay_alu instid0(VALU_DEP_2) | instskip(NEXT) | instid1(VALU_DEP_2)
	v_add_co_ci_u32_e32 v2, vcc_lo, s4, v2, vcc_lo
	v_add_co_u32 v1, vcc_lo, v1, v65
	s_delay_alu instid0(VALU_DEP_2)
	v_add_co_ci_u32_e32 v2, vcc_lo, 0, v2, vcc_lo
	global_load_b128 v[1:4], v[1:2], off
	s_waitcnt vmcnt(0)
	ds_store_b128 v5, v[1:4]
.LBB1155_10:
	s_or_b32 exec_lo, exec_lo, s7
	v_and_b32_e32 v1, 0xef, v0
	s_add_i32 s3, s18, 31
	s_clause 0x1
	s_load_b32 s4, s[0:1], 0x38
	s_load_b32 s33, s[0:1], 0x98
	s_ashr_i32 s7, s3, 31
	v_add_nc_u32_e32 v1, s16, v1
	s_lshr_b32 s7, s7, 27
	s_load_b32 s19, s[0:1], 0x1c
	s_add_i32 s3, s3, s7
	s_waitcnt lgkmcnt(0)
	v_ashrrev_i32_e32 v2, 31, v1
	v_or_b32_e32 v3, 16, v1
	s_ashr_i32 s3, s3, 5
	v_cmp_gt_i32_e32 vcc_lo, s18, v1
	s_add_i32 s3, s3, -1
	v_lshrrev_b32_e32 v2, 27, v2
	s_barrier
	buffer_gl0_inv
	s_mul_i32 s15, s15, s6
	v_mul_lo_u16 v103, v68, 43
	v_add_nc_u32_e32 v4, v1, v2
	v_mbcnt_lo_u32_b32 v127, -1, 0
	s_mul_i32 s20, s34, s4
	s_delay_alu instid0(SALU_CYCLE_1) | instskip(NEXT) | instid1(VALU_DEP_2)
	s_ashr_i32 s21, s20, 31
	v_ashrrev_i32_e32 v4, 5, v4
	v_add_nc_u32_e32 v2, v3, v2
	s_lshl_b64 s[20:21], s[20:21], 2
	v_lshrrev_b16 v103, 8, v103
	s_add_u32 s17, s12, s20
	v_cndmask_b32_e32 v1, s3, v4, vcc_lo
	v_ashrrev_i32_e32 v2, 5, v2
	v_cmp_gt_i32_e32 vcc_lo, s18, v3
	s_addc_u32 s13, s13, s21
	s_ashr_i32 s20, s15, 31
	s_add_u32 s22, s8, s15
	s_addc_u32 s23, s9, s20
	v_cndmask_b32_e32 v3, s3, v2, vcc_lo
	v_ashrrev_i32_e32 v2, 31, v1
	s_lshl_b32 s6, s14, 3
	v_mul_lo_u16 v103, v103, 6
	s_ashr_i32 s7, s6, 31
	v_ashrrev_i32_e32 v4, 31, v3
	v_lshlrev_b64 v[1:2], 2, v[1:2]
	s_lshl_b64 s[6:7], s[6:7], 2
	v_sub_nc_u16 v103, v68, v103
	s_add_u32 s6, s17, s6
	v_lshlrev_b64 v[3:4], 2, v[3:4]
	s_addc_u32 s7, s13, s7
	v_add_co_u32 v1, vcc_lo, s17, v1
	v_add_co_ci_u32_e32 v2, vcc_lo, s13, v2, vcc_lo
	s_delay_alu instid0(VALU_DEP_3) | instskip(NEXT) | instid1(VALU_DEP_4)
	v_add_co_u32 v3, vcc_lo, s17, v3
	v_add_co_ci_u32_e32 v4, vcc_lo, s13, v4, vcc_lo
	s_clause 0x1
	global_load_b32 v5, v[1:2], off
	global_load_b32 v6, v[3:4], off
	s_or_b32 s4, s16, 32
	v_xor_b32_e32 v128, 16, v127
	s_ashr_i32 s8, s4, 5
	s_cmp_lt_i32 s4, s18
	s_cselect_b32 s8, s8, s3
	s_delay_alu instid0(SALU_CYCLE_1) | instskip(NEXT) | instid1(SALU_CYCLE_1)
	s_ashr_i32 s9, s8, 31
	s_lshl_b64 s[8:9], s[8:9], 2
	s_delay_alu instid0(SALU_CYCLE_1) | instskip(SKIP_2) | instid1(SALU_CYCLE_1)
	s_add_u32 s8, s17, s8
	s_addc_u32 s9, s13, s9
	s_or_b32 s4, s16, 64
	s_ashr_i32 s12, s4, 5
	s_cmp_lt_i32 s4, s18
	s_cselect_b32 s24, s12, s3
	s_delay_alu instid0(SALU_CYCLE_1) | instskip(NEXT) | instid1(SALU_CYCLE_1)
	s_ashr_i32 s25, s24, 31
	s_lshl_b64 s[24:25], s[24:25], 2
	s_delay_alu instid0(SALU_CYCLE_1) | instskip(SKIP_2) | instid1(SALU_CYCLE_1)
	s_add_u32 s24, s17, s24
	s_addc_u32 s25, s13, s25
	s_or_b32 s4, s16, 0x60
	;; [unrolled: 10-line block ×4, first 2 shown]
	s_ashr_i32 s12, s4, 5
	s_cmp_lt_i32 s4, s18
	s_cselect_b32 s36, s12, s3
	s_delay_alu instid0(SALU_CYCLE_1) | instskip(NEXT) | instid1(SALU_CYCLE_1)
	s_ashr_i32 s37, s36, 31
	s_lshl_b64 s[36:37], s[36:37], 2
	s_delay_alu instid0(SALU_CYCLE_1)
	s_add_u32 s36, s17, s36
	s_addc_u32 s37, s13, s37
	s_clause 0x5
	s_load_b32 s12, s[6:7], 0x0
	s_load_b32 s4, s[8:9], 0x0
	s_load_b32 s6, s[24:25], 0x0
	s_load_b32 s7, s[26:27], 0x0
	s_load_b32 s8, s[28:29], 0x0
	s_load_b32 s9, s[36:37], 0x0
	s_or_b32 s21, s16, 0xc0
	s_waitcnt vmcnt(1)
	v_mad_i64_i32 v[1:2], null, v5, s5, s[22:23]
	v_lshlrev_b32_e32 v5, 4, v68
	s_waitcnt vmcnt(0)
	v_mad_i64_i32 v[3:4], null, v6, s5, s[22:23]
	s_ashr_i32 s22, s21, 5
	s_cmp_lt_i32 s21, s18
	s_delay_alu instid0(VALU_DEP_3) | instskip(NEXT) | instid1(VALU_DEP_4)
	v_add_co_u32 v1, vcc_lo, v1, v5
	v_add_co_ci_u32_e32 v2, vcc_lo, 0, v2, vcc_lo
	s_delay_alu instid0(VALU_DEP_3) | instskip(NEXT) | instid1(VALU_DEP_4)
	v_add_co_u32 v3, vcc_lo, v3, v5
	v_add_co_ci_u32_e32 v4, vcc_lo, 0, v4, vcc_lo
	s_clause 0x7
	global_load_b128 v[71:74], v[1:2], off
	global_load_b128 v[75:78], v[1:2], off offset:512
	global_load_b128 v[79:82], v[3:4], off offset:256
	global_load_b128 v[83:86], v[3:4], off offset:768
	global_load_b128 v[87:90], v[1:2], off offset:1024
	global_load_b128 v[91:94], v[1:2], off offset:1536
	global_load_b128 v[95:98], v[3:4], off offset:1280
	global_load_b128 v[99:102], v[3:4], off offset:1792
	s_cselect_b32 s22, s22, s3
	v_lshlrev_b32_e32 v1, 5, v68
	s_ashr_i32 s23, s22, 31
	v_cmp_gt_i32_e32 vcc_lo, 32, v128
	s_lshl_b64 s[22:23], s[22:23], 2
	v_and_b32_e32 v103, 0xff, v103
	s_add_u32 s22, s17, s22
	s_addc_u32 s23, s13, s23
	v_cndmask_b32_e32 v136, v127, v128, vcc_lo
	s_or_b32 s21, s16, 0xe0
	v_lshl_or_b32 v1, v69, 9, v1
	s_ashr_i32 s24, s21, 5
	s_cmp_lt_i32 s21, s18
	v_lshlrev_b32_e32 v115, 6, v103
	s_cselect_b32 s24, s24, s3
	s_load_b32 s3, s[22:23], 0x0
	s_ashr_i32 s25, s24, 31
	s_delay_alu instid0(SALU_CYCLE_1) | instskip(NEXT) | instid1(SALU_CYCLE_1)
	s_lshl_b64 s[24:25], s[24:25], 2
	s_add_u32 s22, s17, s24
	s_addc_u32 s23, s13, s25
	s_add_u32 s10, s10, s15
	s_addc_u32 s11, s11, s20
	v_add_co_u32 v1, s10, s10, v1
	s_delay_alu instid0(VALU_DEP_1) | instskip(SKIP_2) | instid1(VALU_DEP_1)
	v_add_co_ci_u32_e64 v2, null, s11, 0, s10
	s_load_b32 s10, s[22:23], 0x0
	s_waitcnt lgkmcnt(0)
	v_mad_i64_i32 v[3:4], null, s12, s5, v[1:2]
	v_mad_i64_i32 v[9:10], null, s7, s5, v[1:2]
	;; [unrolled: 1-line block ×7, first 2 shown]
	s_clause 0x5
	global_load_b128 v[49:52], v[3:4], off
	global_load_b128 v[53:56], v[3:4], off offset:16
	global_load_b128 v[41:44], v[5:6], off
	global_load_b128 v[45:48], v[5:6], off offset:16
	;; [unrolled: 2-line block ×3, first 2 shown]
	s_mov_b32 s4, 0
	v_mad_i64_i32 v[61:62], null, s10, s5, v[1:2]
	s_clause 0x9
	global_load_b128 v[1:4], v[9:10], off
	global_load_b128 v[5:8], v[9:10], off offset:16
	global_load_b128 v[9:12], v[13:14], off
	global_load_b128 v[13:16], v[13:14], off offset:16
	global_load_b128 v[17:20], v[21:22], off
	global_load_b128 v[21:24], v[21:22], off offset:16
	global_load_b128 v[25:28], v[29:30], off
	global_load_b128 v[29:32], v[29:30], off offset:16
	global_load_b128 v[57:60], v[61:62], off
	global_load_b128 v[61:64], v[61:62], off offset:16
	s_mov_b32 s5, s4
	s_mov_b32 s6, s4
	;; [unrolled: 1-line block ×7, first 2 shown]
	v_and_b32_e32 v104, 0xe0, v0
	v_dual_mov_b32 v126, s11 :: v_dual_mov_b32 v123, s8
	v_dual_mov_b32 v125, s10 :: v_dual_mov_b32 v124, s9
	s_delay_alu instid0(VALU_DEP_3)
	v_add_nc_u32_e32 v111, s16, v104
	ds_load_b128 v[103:106], v115
	ds_load_b128 v[107:110], v115 offset:1024
	v_dual_mov_b32 v122, s7 :: v_dual_mov_b32 v121, s6
	v_mov_b32_e32 v120, s5
	v_or_b32_e32 v135, v111, v66
	ds_load_b128 v[111:114], v115 offset:2048
	ds_load_b128 v[115:118], v115 offset:3072
	v_mov_b32_e32 v119, s4
	s_waitcnt vmcnt(0) lgkmcnt(0)
	s_barrier
	v_or_b32_e32 v137, 2, v135
	v_or_b32_e32 v138, 4, v135
	;; [unrolled: 1-line block ×3, first 2 shown]
	v_cmp_gt_i32_e32 vcc_lo, s18, v135
	v_or_b32_e32 v140, 8, v135
	v_cmp_gt_i32_e64 s3, s18, v137
	v_or_b32_e32 v141, 10, v135
	v_cmp_gt_i32_e64 s4, s18, v138
	v_cmp_gt_i32_e64 s5, s18, v139
	v_or_b32_e32 v142, 12, v135
	v_or_b32_e32 v143, 14, v135
	v_cmp_gt_i32_e64 s6, s18, v140
	v_cmp_gt_i32_e64 s7, s18, v141
	v_or_b32_e32 v144, 16, v135
	v_or_b32_e32 v145, 18, v135
	v_cmp_gt_i32_e64 s8, s18, v142
	v_cmp_gt_i32_e64 s9, s18, v143
	buffer_gl0_inv
	v_cmp_gt_i32_e64 s10, s18, v144
	v_cmp_gt_i32_e64 s11, s18, v145
	v_wmma_f32_16x16x16_f16 v[127:134], v[71:78], v[103:110], v[119:126]
	v_wmma_f32_16x16x16_f16 v[119:126], v[79:86], v[103:110], v[119:126]
	v_or_b32_e32 v71, 20, v135
	v_or_b32_e32 v72, 22, v135
	s_delay_alu instid0(VALU_DEP_4)
	v_wmma_f32_16x16x16_f16 v[127:134], v[87:94], v[111:118], v[127:134]
	v_or_b32_e32 v73, 24, v135
	v_wmma_f32_16x16x16_f16 v[119:126], v[95:102], v[111:118], v[119:126]
	v_or_b32_e32 v74, 26, v135
	v_cmp_gt_i32_e64 s12, s18, v71
	v_dual_mul_f32 v84, s19, v127 :: v_dual_mul_f32 v83, s19, v128
	s_delay_alu instid0(VALU_DEP_4) | instskip(SKIP_2) | instid1(VALU_DEP_4)
	v_dual_mul_f32 v92, s19, v119 :: v_dual_mul_f32 v81, s19, v130
	v_mul_f32_e32 v90, s19, v121
	v_mul_f32_e32 v82, s19, v129
	v_cndmask_b32_e32 v84, 0xff7fffff, v84, vcc_lo
	v_cndmask_b32_e64 v83, 0xff7fffff, v83, s3
	v_dual_mul_f32 v79, s19, v132 :: v_dual_mul_f32 v88, s19, v123
	v_mul_f32_e32 v80, s19, v131
	v_cndmask_b32_e64 v82, 0xff7fffff, v82, s4
	v_cndmask_b32_e64 v81, 0xff7fffff, v81, s5
	v_max3_f32 v83, v84, 0xff7fffff, v83
	v_dual_mul_f32 v77, s19, v134 :: v_dual_mul_f32 v86, s19, v125
	v_mul_f32_e32 v78, s19, v133
	v_cndmask_b32_e64 v80, 0xff7fffff, v80, s6
	v_cndmask_b32_e64 v79, 0xff7fffff, v79, s7
	v_max3_f32 v81, v83, v82, v81
	v_mul_f32_e32 v91, s19, v120
	v_cndmask_b32_e64 v78, 0xff7fffff, v78, s8
	v_cndmask_b32_e64 v77, 0xff7fffff, v77, s9
	v_mul_f32_e32 v89, s19, v122
	v_max3_f32 v79, v81, v80, v79
	v_cndmask_b32_e64 v80, 0xff7fffff, v92, s10
	v_cndmask_b32_e64 v81, 0xff7fffff, v91, s11
	v_cmp_gt_i32_e64 s13, s18, v72
	v_or_b32_e32 v75, 28, v135
	v_max3_f32 v77, v79, v78, v77
	v_or_b32_e32 v76, 30, v135
	v_mul_f32_e32 v87, s19, v124
	v_cndmask_b32_e64 v71, 0xff7fffff, v90, s12
	v_cndmask_b32_e64 v72, 0xff7fffff, v89, s13
	v_max3_f32 v77, v77, v80, v81
	v_cmp_gt_i32_e64 s15, s18, v73
	v_cmp_gt_i32_e64 s16, s18, v74
	v_mul_f32_e32 v85, s19, v126
	v_cmp_gt_i32_e64 s17, s18, v75
	v_max3_f32 v71, v77, v71, v72
	v_cndmask_b32_e64 v73, 0xff7fffff, v88, s15
	v_cndmask_b32_e64 v74, 0xff7fffff, v87, s16
	v_cmp_gt_i32_e64 s18, s18, v76
	v_cndmask_b32_e64 v72, 0xff7fffff, v86, s17
	s_delay_alu instid0(VALU_DEP_3) | instskip(NEXT) | instid1(VALU_DEP_3)
	v_max3_f32 v71, v71, v73, v74
	v_cndmask_b32_e64 v75, 0xff7fffff, v85, s18
	v_lshlrev_b32_e32 v73, 2, v136
	s_delay_alu instid0(VALU_DEP_2) | instskip(SKIP_3) | instid1(VALU_DEP_1)
	v_max3_f32 v71, v71, v72, v75
	ds_bpermute_b32 v72, v73, v71
	s_waitcnt lgkmcnt(0)
	v_max_f32_e32 v72, v72, v72
	v_max_f32_e32 v71, v71, v72
	s_delay_alu instid0(VALU_DEP_1) | instskip(SKIP_2) | instid1(VALU_DEP_3)
	v_fma_f32 v72, s19, v127, -v71
	v_fma_f32 v74, s19, v128, -v71
	;; [unrolled: 1-line block ×3, first 2 shown]
	v_mul_f32_e32 v72, 0x3fb8aa3b, v72
	s_delay_alu instid0(VALU_DEP_2) | instskip(NEXT) | instid1(VALU_DEP_2)
	v_dual_mul_f32 v74, 0x3fb8aa3b, v74 :: v_dual_mul_f32 v75, 0x3fb8aa3b, v75
	v_exp_f32_e32 v72, v72
	s_delay_alu instid0(VALU_DEP_1) | instskip(NEXT) | instid1(VALU_DEP_1)
	v_exp_f32_e32 v74, v74
	v_exp_f32_e32 v75, v75
	s_delay_alu instid0(TRANS32_DEP_3)
	v_cndmask_b32_e32 v79, 0, v72, vcc_lo
	s_waitcnt_depctr 0xfff
	v_cndmask_b32_e64 v78, 0, v74, s3
	v_cndmask_b32_e64 v81, 0, v75, s4
	s_mov_b32 s3, exec_lo
	v_add_f32_e32 v74, 0, v79
	s_delay_alu instid0(VALU_DEP_1) | instskip(NEXT) | instid1(VALU_DEP_1)
	v_add_f32_e32 v74, v74, v78
	v_add_f32_e32 v74, v74, v81
	v_fma_f32 v76, s19, v130, -v71
	v_fma_f32 v77, s19, v131, -v71
	;; [unrolled: 1-line block ×5, first 2 shown]
	s_delay_alu instid0(VALU_DEP_4) | instskip(NEXT) | instid1(VALU_DEP_4)
	v_dual_mul_f32 v76, 0x3fb8aa3b, v76 :: v_dual_mul_f32 v77, 0x3fb8aa3b, v77
	v_mul_f32_e32 v72, 0x3fb8aa3b, v72
	s_delay_alu instid0(VALU_DEP_4) | instskip(SKIP_1) | instid1(VALU_DEP_4)
	v_mul_f32_e32 v82, 0x3fb8aa3b, v80
	v_fma_f32 v86, s19, v122, -v71
	v_exp_f32_e32 v76, v76
	v_exp_f32_e32 v77, v77
	;; [unrolled: 1-line block ×4, first 2 shown]
	v_mul_f32_e32 v86, 0x3fb8aa3b, v86
	s_delay_alu instid0(VALU_DEP_1)
	v_exp_f32_e32 v88, v86
	v_cndmask_b32_e64 v80, 0, v76, s5
	v_mul_f32_e32 v75, 0x3fb8aa3b, v75
	v_fma_f32 v76, s19, v119, -v71
	v_cndmask_b32_e64 v83, 0, v77, s6
	v_fma_f32 v77, s19, v120, -v71
	v_add_f32_e32 v74, v74, v80
	v_exp_f32_e32 v75, v75
	v_mul_f32_e32 v76, 0x3fb8aa3b, v76
	v_cndmask_b32_e64 v82, 0, v72, s7
	s_delay_alu instid0(VALU_DEP_3) | instskip(SKIP_1) | instid1(VALU_DEP_4)
	v_dual_mul_f32 v77, 0x3fb8aa3b, v77 :: v_dual_add_f32 v72, v74, v83
	v_fma_f32 v74, s19, v121, -v71
	v_exp_f32_e32 v76, v76
	v_cndmask_b32_e64 v85, 0, v84, s8
	s_delay_alu instid0(VALU_DEP_3) | instskip(SKIP_1) | instid1(TRANS32_DEP_3)
	v_exp_f32_e32 v77, v77
	v_cndmask_b32_e64 v88, 0, v88, s13
	v_cndmask_b32_e64 v84, 0, v75, s9
	v_fma_f32 v75, s19, v123, -v71
	v_add_f32_e32 v72, v72, v82
	s_delay_alu instid0(VALU_DEP_2) | instskip(NEXT) | instid1(VALU_DEP_2)
	v_dual_mul_f32 v74, 0x3fb8aa3b, v74 :: v_dual_mul_f32 v75, 0x3fb8aa3b, v75
	v_add_f32_e32 v72, v72, v85
	s_delay_alu instid0(VALU_DEP_2)
	v_exp_f32_e32 v74, v74
	v_cndmask_b32_e64 v87, 0, v76, s10
	v_fma_f32 v76, s19, v124, -v71
	v_cndmask_b32_e64 v86, 0, v77, s11
	v_add_f32_e32 v72, v72, v84
	v_fma_f32 v77, s19, v125, -v71
	v_exp_f32_e32 v75, v75
	v_mul_f32_e32 v76, 0x3fb8aa3b, v76
	s_delay_alu instid0(VALU_DEP_3) | instskip(NEXT) | instid1(TRANS32_DEP_2)
	v_add_f32_e32 v72, v72, v87
	v_cndmask_b32_e64 v89, 0, v74, s12
	v_mul_f32_e32 v74, 0x3fb8aa3b, v77
	s_delay_alu instid0(VALU_DEP_4) | instskip(SKIP_2) | instid1(VALU_DEP_3)
	v_exp_f32_e32 v76, v76
	v_fma_f32 v77, s19, v126, -v71
	v_add_f32_e32 v72, v72, v86
	v_exp_f32_e32 v74, v74
	s_delay_alu instid0(TRANS32_DEP_3) | instskip(NEXT) | instid1(VALU_DEP_3)
	v_cndmask_b32_e64 v91, 0, v75, s15
	v_mul_f32_e32 v75, 0x3fb8aa3b, v77
	s_delay_alu instid0(VALU_DEP_3) | instskip(NEXT) | instid1(TRANS32_DEP_2)
	v_add_f32_e32 v72, v72, v89
	v_cndmask_b32_e64 v90, 0, v76, s16
	s_delay_alu instid0(VALU_DEP_3) | instskip(NEXT) | instid1(VALU_DEP_2)
	v_exp_f32_e32 v75, v75
	v_add_f32_e32 v72, v72, v88
	s_delay_alu instid0(TRANS32_DEP_2) | instskip(NEXT) | instid1(VALU_DEP_2)
	v_cndmask_b32_e64 v93, 0, v74, s17
	v_add_f32_e32 v72, v72, v91
	s_waitcnt_depctr 0xfff
	v_cndmask_b32_e64 v92, 0, v75, s18
	v_add_f32_e32 v72, v72, v90
	s_delay_alu instid0(VALU_DEP_1) | instskip(NEXT) | instid1(VALU_DEP_1)
	v_add_f32_e32 v72, v72, v93
	v_add_f32_e32 v72, v72, v92
	ds_bpermute_b32 v73, v73, v72
	v_cmpx_gt_u32_e32 16, v70
	s_cbranch_execz .LBB1155_12
; %bb.11:
	v_mul_u32_u24_e32 v70, 0x44, v69
	s_waitcnt lgkmcnt(0)
	v_add_f32_e32 v72, v72, v73
	s_delay_alu instid0(VALU_DEP_2) | instskip(NEXT) | instid1(VALU_DEP_1)
	v_lshl_add_u32 v70, v68, 2, v70
	v_add_nc_u32_e32 v70, 0x4000, v70
	ds_store_2addr_b32 v70, v71, v72 offset1:136
.LBB1155_12:
	s_or_b32 exec_lo, exec_lo, s3
	v_lshlrev_b32_e32 v70, 2, v68
	s_load_b32 s35, s[0:1], 0x94
	s_waitcnt lgkmcnt(0)
	s_barrier
	buffer_gl0_inv
	v_add_nc_u32_e32 v98, 0x4000, v70
	v_cmp_eq_u32_e32 vcc_lo, 1, v69
	v_cmp_eq_u32_e64 s3, 2, v69
	v_cmp_eq_u32_e64 s4, 3, v69
	;; [unrolled: 1-line block ×3, first 2 shown]
	ds_load_2addr_b32 v[70:71], v98 offset1:17
	ds_load_2addr_b32 v[72:73], v98 offset0:34 offset1:51
	ds_load_2addr_b32 v[74:75], v98 offset0:68 offset1:85
	;; [unrolled: 1-line block ×3, first 2 shown]
	v_cmp_eq_u32_e64 s6, 5, v69
	v_cmp_eq_u32_e64 s7, 7, v69
	s_waitcnt lgkmcnt(3)
	v_max3_f32 v76, v70, 0xff7fffff, v71
	s_waitcnt lgkmcnt(2)
	s_delay_alu instid0(VALU_DEP_1) | instskip(SKIP_1) | instid1(VALU_DEP_1)
	v_max3_f32 v76, v76, v72, v73
	s_waitcnt lgkmcnt(1)
	v_max3_f32 v76, v76, v74, v75
	s_waitcnt lgkmcnt(0)
	s_delay_alu instid0(VALU_DEP_1) | instskip(NEXT) | instid1(VALU_DEP_1)
	v_max3_f32 v76, v76, v94, v95
	v_sub_f32_e32 v77, v71, v76
	ds_load_2addr_b32 v[96:97], v98 offset0:136 offset1:153
	v_sub_f32_e32 v74, v74, v76
	v_sub_f32_e32 v70, v70, v76
	;; [unrolled: 1-line block ×3, first 2 shown]
	v_dual_sub_f32 v72, v72, v76 :: v_dual_mul_f32 v77, 0x3fb8aa3b, v77
	s_delay_alu instid0(VALU_DEP_4) | instskip(NEXT) | instid1(VALU_DEP_4)
	v_mul_f32_e32 v103, 0x3fb8aa3b, v74
	v_mul_f32_e32 v99, 0x3fb8aa3b, v70
	ds_load_2addr_b32 v[70:71], v98 offset0:170 offset1:187
	v_dual_mul_f32 v101, 0x3fb8aa3b, v72 :: v_dual_mul_f32 v94, 0x3fb8aa3b, v94
	v_exp_f32_e32 v102, v77
	v_exp_f32_e32 v99, v99
	s_delay_alu instid0(VALU_DEP_1) | instskip(NEXT) | instid1(VALU_DEP_1)
	v_exp_f32_e32 v101, v101
	v_exp_f32_e32 v94, v94
	s_waitcnt lgkmcnt(1)
	s_delay_alu instid0(TRANS32_DEP_3)
	v_fma_f32 v77, v99, v96, 0
	v_sub_f32_e32 v100, v73, v76
	ds_load_2addr_b32 v[72:73], v98 offset0:204 offset1:221
	v_fmac_f32_e32 v77, v102, v97
	v_exp_f32_e32 v97, v103
	s_waitcnt lgkmcnt(1)
	s_delay_alu instid0(VALU_DEP_1)
	v_dual_fmac_f32 v77, v101, v70 :: v_dual_sub_f32 v96, v75, v76
	ds_load_2addr_b32 v[74:75], v98 offset0:238 offset1:255
	v_sub_f32_e32 v70, v95, v76
	s_waitcnt lgkmcnt(0)
	s_barrier
	v_mul_f32_e32 v96, 0x3fb8aa3b, v96
	buffer_gl0_inv
	v_exp_f32_e32 v95, v96
	v_mul_f32_e32 v100, 0x3fb8aa3b, v100
	s_delay_alu instid0(VALU_DEP_1) | instskip(SKIP_3) | instid1(VALU_DEP_2)
	v_exp_f32_e32 v100, v100
	s_waitcnt_depctr 0xfff
	v_dual_fmac_f32 v77, v100, v71 :: v_dual_mul_f32 v70, 0x3fb8aa3b, v70
	v_cndmask_b32_e32 v71, v99, v102, vcc_lo
	v_fmac_f32_e32 v77, v97, v72
	s_delay_alu instid0(VALU_DEP_3) | instskip(NEXT) | instid1(VALU_DEP_1)
	v_exp_f32_e32 v96, v70
	v_fmac_f32_e32 v77, v95, v73
	s_delay_alu instid0(VALU_DEP_1) | instskip(SKIP_2) | instid1(VALU_DEP_1)
	v_fmac_f32_e32 v77, v94, v74
	s_waitcnt_depctr 0xfff
	v_fmac_f32_e32 v77, v96, v75
	v_add_f32_e32 v74, 0x358637bd, v77
	s_delay_alu instid0(VALU_DEP_1) | instskip(SKIP_1) | instid1(VALU_DEP_2)
	v_div_scale_f32 v98, null, v74, v74, 1.0
	v_div_scale_f32 v99, vcc_lo, 1.0, v74, 1.0
	v_rcp_f32_e32 v103, v98
	s_waitcnt_depctr 0xfff
	v_fma_f32 v70, -v98, v103, 1.0
	s_delay_alu instid0(VALU_DEP_1) | instskip(SKIP_2) | instid1(VALU_DEP_2)
	v_fmac_f32_e32 v103, v70, v103
	v_cndmask_b32_e64 v70, v71, v101, s3
	v_cmp_eq_u32_e64 s3, 6, v69
	v_cndmask_b32_e64 v71, v70, v100, s4
	s_delay_alu instid0(VALU_DEP_4) | instskip(NEXT) | instid1(VALU_DEP_2)
	v_dual_mul_f32 v101, v99, v103 :: v_dual_lshlrev_b32 v70, 2, v66
	v_cndmask_b32_e64 v71, v71, v97, s5
	s_delay_alu instid0(VALU_DEP_2) | instskip(NEXT) | instid1(VALU_DEP_3)
	v_or_b32_e32 v72, 1, v70
	v_fma_f32 v100, -v98, v101, v99
	v_cmp_eq_u32_e64 s4, 1, v70
	v_cmp_eq_u32_e64 s5, 2, v70
	v_cndmask_b32_e64 v95, v71, v95, s6
	v_or_b32_e32 v71, 3, v70
	v_fmac_f32_e32 v101, v100, v103
	v_cmp_eq_u32_e64 s9, 1, v72
	v_cmp_eq_u32_e64 s12, 2, v72
	v_cndmask_b32_e64 v94, v95, v94, s3
	v_cmp_eq_u32_e64 s11, 1, v71
	v_fma_f32 v97, -v98, v101, v99
	v_cmp_eq_u32_e64 s16, 2, v71
	v_cmp_eq_u32_e64 s13, 3, v72
	v_cndmask_b32_e64 v94, v94, v96, s7
	v_cmp_eq_u32_e64 s18, 3, v71
	v_div_fmas_f32 v95, v97, v103, v101
	v_cmp_eq_u32_e32 vcc_lo, 3, v70
	v_cmp_eq_u32_e64 s3, 4, v70
	v_cmp_eq_u32_e64 s19, 4, v72
	v_cmp_eq_u32_e64 s22, 4, v71
	v_div_fixup_f32 v95, v95, v74, 1.0
	v_lshlrev_b32_e32 v73, 6, v68
	v_cmp_eq_u32_e64 s6, 5, v70
	v_cmp_eq_u32_e64 s20, 5, v72
	;; [unrolled: 1-line block ×3, first 2 shown]
	v_mul_f32_e32 v102, v94, v95
	v_lshl_or_b32 v75, v69, 11, v73
	v_or_b32_e32 v69, 2, v70
	v_cmp_eq_u32_e64 s25, 6, v72
	v_cmp_eq_u32_e64 s27, 6, v71
	v_fma_mixlo_f16 v94, v102, v79, 0
	v_fma_mixlo_f16 v95, v102, v81, 0
	;; [unrolled: 1-line block ×8, first 2 shown]
	v_lshl_or_b32 v74, v66, 4, v75
	v_fma_mixhi_f16 v94, v102, v78, 0
	v_fma_mixhi_f16 v95, v102, v80, 0
	;; [unrolled: 1-line block ×8, first 2 shown]
	ds_store_b128 v74, v[94:97]
	ds_store_b128 v74, v[98:101] offset:1024
	s_waitcnt lgkmcnt(0)
	s_barrier
	buffer_gl0_inv
	ds_load_b128 v[78:81], v75
	ds_load_b128 v[82:85], v75 offset:16
	ds_load_b128 v[86:89], v75 offset:1024
	;; [unrolled: 1-line block ×3, first 2 shown]
	v_cmp_eq_u32_e64 s10, 1, v69
	v_cmp_eq_u32_e64 s15, 2, v69
	;; [unrolled: 1-line block ×11, first 2 shown]
	s_waitcnt lgkmcnt(3)
	v_lshrrev_b32_e32 v94, 16, v78
	s_waitcnt lgkmcnt(2)
	v_lshrrev_b32_e32 v98, 16, v82
	s_waitcnt lgkmcnt(1)
	v_lshrrev_b32_e32 v102, 16, v86
	s_waitcnt lgkmcnt(0)
	v_lshrrev_b32_e32 v106, 16, v90
	v_lshrrev_b32_e32 v95, 16, v79
	v_cndmask_b32_e64 v110, v78, v94, s4
	v_cndmask_b32_e64 v111, v82, v98, s4
	v_cndmask_b32_e64 v112, v78, v94, s9
	v_cndmask_b32_e64 v113, v82, v98, s9
	v_cndmask_b32_e64 v114, v78, v94, s10
	v_cndmask_b32_e64 v115, v82, v98, s10
	v_cndmask_b32_e64 v78, v78, v94, s11
	v_cndmask_b32_e64 v82, v82, v98, s11
	v_lshrrev_b32_e32 v99, 16, v83
	v_cndmask_b32_e64 v94, v86, v102, s4
	v_cndmask_b32_e64 v98, v90, v106, s4
	;; [unrolled: 1-line block ×15, first 2 shown]
	v_lshrrev_b32_e32 v103, 16, v87
	v_lshrrev_b32_e32 v107, 16, v91
	v_cndmask_b32_e64 v113, v115, v83, s15
	v_cndmask_b32_e64 v82, v94, v87, s5
	;; [unrolled: 1-line block ×7, first 2 shown]
	v_cndmask_b32_e32 v90, v102, v95, vcc_lo
	v_cndmask_b32_e32 v102, v106, v99, vcc_lo
	v_cndmask_b32_e64 v106, v110, v95, s13
	v_cndmask_b32_e64 v110, v111, v99, s13
	;; [unrolled: 1-line block ×4, first 2 shown]
	v_lshrrev_b32_e32 v96, 16, v80
	v_lshrrev_b32_e32 v100, 16, v84
	v_cndmask_b32_e64 v111, v112, v95, s17
	v_cndmask_b32_e64 v112, v113, v99, s17
	v_cndmask_b32_e32 v82, v82, v103, vcc_lo
	v_cndmask_b32_e32 v83, v83, v107, vcc_lo
	v_cndmask_b32_e64 v94, v94, v103, s13
	v_cndmask_b32_e64 v90, v90, v80, s3
	;; [unrolled: 1-line block ×7, first 2 shown]
	v_lshrrev_b32_e32 v104, 16, v88
	v_cndmask_b32_e64 v106, v111, v80, s21
	v_cndmask_b32_e64 v110, v112, v84, s21
	;; [unrolled: 1-line block ×11, first 2 shown]
	v_lshrrev_b32_e32 v97, 16, v81
	v_lshrrev_b32_e32 v101, 16, v85
	v_cndmask_b32_e64 v99, v106, v96, s23
	v_cndmask_b32_e64 v102, v110, v100, s23
	;; [unrolled: 1-line block ×7, first 2 shown]
	v_lshrrev_b32_e32 v105, 16, v89
	v_cndmask_b32_e64 v80, v80, v104, s6
	v_cndmask_b32_e64 v84, v84, v81, s7
	;; [unrolled: 1-line block ×16, first 2 shown]
	v_perm_b32 v81, v79, v78, 0x5040100
	v_perm_b32 v79, v95, v85, 0x5040100
	v_cndmask_b32_e64 v78, v119, v91, s15
	v_cndmask_b32_e64 v85, v117, v91, s12
	;; [unrolled: 1-line block ×3, first 2 shown]
	v_perm_b32 v80, v94, v90, 0x5040100
	v_cndmask_b32_e64 v90, v98, v103, s17
	v_cndmask_b32_e64 v86, v86, v103, s18
	;; [unrolled: 1-line block ×5, first 2 shown]
	v_lshrrev_b32_e32 v108, 16, v92
	v_cndmask_b32_e64 v90, v90, v88, s21
	v_cndmask_b32_e64 v86, v86, v88, s22
	;; [unrolled: 1-line block ×11, first 2 shown]
	v_lshrrev_b32_e32 v109, 16, v93
	v_cndmask_b32_e64 v82, v82, v93, s7
	v_cndmask_b32_e64 v88, v88, v89, s26
	;; [unrolled: 1-line block ×12, first 2 shown]
	v_perm_b32 v78, v84, v83, 0x5040100
	v_perm_b32 v85, v87, v86, 0x5040100
	;; [unrolled: 1-line block ×5, first 2 shown]
	s_mul_i32 s8, s33, 6
	s_mov_b32 s3, exec_lo
	ds_store_b128 v74, v[78:81]
	ds_store_b128 v74, v[82:85] offset:1024
	v_cmpx_gt_u32_e32 6, v0
	s_cbranch_execz .LBB1155_14
; %bb.13:
	s_mul_i32 s4, s8, s34
	s_delay_alu instid0(SALU_CYCLE_1) | instskip(SKIP_1) | instid1(VALU_DEP_1)
	v_add3_u32 v68, s4, s31, v68
	s_load_b128 s[4:7], s[0:1], 0x58
	v_mad_u64_u32 v[78:79], null, v68, s35, s[14:15]
	s_delay_alu instid0(VALU_DEP_1) | instskip(NEXT) | instid1(VALU_DEP_1)
	v_ashrrev_i32_e32 v79, 31, v78
	v_lshlrev_b64 v[78:79], 2, v[78:79]
	s_waitcnt lgkmcnt(0)
	s_delay_alu instid0(VALU_DEP_1) | instskip(NEXT) | instid1(VALU_DEP_2)
	v_add_co_u32 v80, vcc_lo, s6, v78
	v_add_co_ci_u32_e32 v81, vcc_lo, s7, v79, vcc_lo
	v_add_co_u32 v78, vcc_lo, s4, v78
	v_add_co_ci_u32_e32 v79, vcc_lo, s5, v79, vcc_lo
	global_store_b32 v[80:81], v76, off
	global_store_b32 v[78:79], v77, off
.LBB1155_14:
	s_or_b32 exec_lo, exec_lo, s3
	s_waitcnt lgkmcnt(0)
	s_waitcnt_vscnt null, 0x0
	s_barrier
	buffer_gl0_inv
	ds_load_b128 v[84:87], v73
	ds_load_b128 v[88:91], v73 offset:16
	ds_load_b128 v[96:99], v73 offset:2064
	;; [unrolled: 1-line block ×5, first 2 shown]
	v_cmp_eq_u32_e32 vcc_lo, 1, v70
	v_mov_b32_e32 v76, 0
	ds_load_b128 v[112:115], v73 offset:6160
	ds_load_b128 v[108:111], v73 offset:6144
	;; [unrolled: 1-line block ×4, first 2 shown]
	v_cmp_eq_u32_e64 s4, 1, v69
	v_cmp_eq_u32_e64 s3, 1, v72
	;; [unrolled: 1-line block ×3, first 2 shown]
	v_mov_b32_e32 v77, v76
	v_mov_b32_e32 v78, v76
	;; [unrolled: 1-line block ×7, first 2 shown]
	v_cmp_eq_u32_e64 s6, 3, v72
	v_cmp_eq_u32_e64 s7, 7, v72
	s_waitcnt lgkmcnt(8)
	s_delay_alu instid0(VALU_DEP_3)
	v_wmma_f32_16x16x16_f16 v[76:83], v[49:56], v[84:91], v[76:83]
	ds_load_b128 v[53:56], v73 offset:10256
	ds_load_b128 v[49:52], v73 offset:10240
	s_waitcnt lgkmcnt(8)
	v_wmma_f32_16x16x16_f16 v[76:83], v[41:48], v[92:99], v[76:83]
	ds_load_b128 v[45:48], v73 offset:12304
	ds_load_b128 v[41:44], v73 offset:12288
	s_waitcnt lgkmcnt(8)
	;; [unrolled: 4-line block ×3, first 2 shown]
	s_barrier
	buffer_gl0_inv
	v_wmma_f32_16x16x16_f16 v[76:83], v[1:8], v[108:115], v[76:83]
	s_delay_alu instid0(VALU_DEP_1) | instskip(NEXT) | instid1(VALU_DEP_1)
	v_wmma_f32_16x16x16_f16 v[76:83], v[9:16], v[116:123], v[76:83]
	v_wmma_f32_16x16x16_f16 v[76:83], v[17:24], v[49:56], v[76:83]
	s_delay_alu instid0(VALU_DEP_1) | instskip(NEXT) | instid1(VALU_DEP_1)
	v_wmma_f32_16x16x16_f16 v[76:83], v[25:32], v[41:48], v[76:83]
	v_wmma_f32_16x16x16_f16 v[76:83], v[57:64], v[33:40], v[76:83]
	s_delay_alu instid0(VALU_DEP_1) | instskip(NEXT) | instid1(VALU_DEP_2)
	v_cvt_f16_f32_e32 v1, v76
	v_cvt_f16_f32_e32 v2, v77
	s_delay_alu instid0(VALU_DEP_3) | instskip(NEXT) | instid1(VALU_DEP_4)
	v_cvt_f16_f32_e32 v3, v78
	v_cvt_f16_f32_e32 v4, v79
	;; [unrolled: 1-line block ×6, first 2 shown]
	v_pack_b32_f16 v1, v1, v2
	v_pack_b32_f16 v2, v3, v4
	;; [unrolled: 1-line block ×3, first 2 shown]
	s_delay_alu instid0(VALU_DEP_4)
	v_pack_b32_f16 v4, v7, v8
	ds_store_b128 v74, v[1:4]
	s_waitcnt lgkmcnt(0)
	s_barrier
	buffer_gl0_inv
	ds_load_b128 v[1:4], v75
	ds_load_b128 v[5:8], v75 offset:16
	s_waitcnt lgkmcnt(1)
	v_lshrrev_b32_e32 v9, 16, v1
	s_waitcnt lgkmcnt(0)
	v_lshrrev_b32_e32 v13, 16, v5
	v_lshrrev_b32_e32 v10, 16, v2
	;; [unrolled: 1-line block ×4, first 2 shown]
	v_cndmask_b32_e32 v17, v1, v9, vcc_lo
	v_cndmask_b32_e32 v18, v5, v13, vcc_lo
	v_cndmask_b32_e64 v21, v1, v9, s4
	v_cmp_eq_u32_e32 vcc_lo, 1, v71
	v_cndmask_b32_e64 v22, v5, v13, s4
	v_cmp_eq_u32_e64 s4, 2, v70
	v_cndmask_b32_e64 v19, v1, v9, s3
	v_cndmask_b32_e64 v20, v5, v13, s3
	v_cndmask_b32_e32 v1, v1, v9, vcc_lo
	v_cmp_eq_u32_e64 s3, 2, v71
	v_cndmask_b32_e32 v5, v5, v13, vcc_lo
	v_cndmask_b32_e64 v9, v17, v2, s4
	v_cmp_eq_u32_e32 vcc_lo, 3, v70
	v_cndmask_b32_e64 v13, v18, v6, s4
	v_cmp_eq_u32_e64 s4, 2, v69
	v_cndmask_b32_e64 v17, v19, v2, s5
	v_cndmask_b32_e64 v18, v20, v6, s5
	v_cmp_eq_u32_e64 s5, 3, v69
	v_cndmask_b32_e64 v1, v1, v2, s3
	v_cndmask_b32_e64 v19, v21, v2, s4
	;; [unrolled: 1-line block ×4, first 2 shown]
	v_cndmask_b32_e32 v5, v9, v10, vcc_lo
	v_cndmask_b32_e32 v6, v13, v14, vcc_lo
	v_cmp_eq_u32_e32 vcc_lo, 3, v71
	v_cndmask_b32_e64 v9, v17, v10, s6
	v_cndmask_b32_e64 v13, v18, v14, s6
	;; [unrolled: 1-line block ×3, first 2 shown]
	v_cmp_eq_u32_e64 s4, 4, v70
	v_cndmask_b32_e32 v1, v1, v10, vcc_lo
	v_cndmask_b32_e32 v2, v2, v14, vcc_lo
	v_cmp_eq_u32_e32 vcc_lo, 4, v72
	v_lshrrev_b32_e32 v15, 16, v7
	v_lshrrev_b32_e32 v16, 16, v8
	v_cndmask_b32_e64 v17, v19, v10, s5
	v_cmp_eq_u32_e64 s3, 4, v71
	v_cndmask_b32_e64 v5, v5, v3, s4
	v_cndmask_b32_e64 v6, v6, v7, s4
	v_cndmask_b32_e32 v9, v9, v3, vcc_lo
	v_cmp_eq_u32_e64 s4, 5, v72
	v_cndmask_b32_e32 v10, v13, v7, vcc_lo
	v_cmp_eq_u32_e32 vcc_lo, 4, v69
	v_cmp_eq_u32_e64 s5, 5, v70
	v_cndmask_b32_e64 v2, v2, v7, s3
	v_cndmask_b32_e64 v9, v9, v11, s4
	;; [unrolled: 1-line block ×3, first 2 shown]
	v_cndmask_b32_e32 v13, v17, v3, vcc_lo
	v_cmp_eq_u32_e64 s4, 5, v69
	v_cndmask_b32_e32 v14, v18, v7, vcc_lo
	v_cndmask_b32_e64 v1, v1, v3, s3
	v_cmp_eq_u32_e32 vcc_lo, 5, v71
	v_lshrrev_b32_e32 v12, 16, v4
	v_cndmask_b32_e64 v13, v13, v11, s4
	v_cndmask_b32_e64 v3, v14, v15, s4
	v_cmp_eq_u32_e64 s4, 6, v71
	v_cndmask_b32_e32 v1, v1, v11, vcc_lo
	v_cndmask_b32_e64 v5, v5, v11, s5
	v_cmp_eq_u32_e64 s6, 6, v70
	v_cndmask_b32_e64 v6, v6, v15, s5
	v_cmp_eq_u32_e64 s5, 6, v72
	v_cmp_eq_u32_e64 s3, 6, v69
	v_cndmask_b32_e64 v1, v1, v4, s4
	v_cndmask_b32_e32 v2, v2, v15, vcc_lo
	v_cmp_eq_u32_e32 vcc_lo, 7, v71
	v_cndmask_b32_e64 v5, v5, v4, s6
	v_cndmask_b32_e64 v9, v9, v4, s5
	;; [unrolled: 1-line block ×3, first 2 shown]
	v_cmp_eq_u32_e64 s6, 7, v70
	v_cndmask_b32_e32 v1, v1, v12, vcc_lo
	v_cndmask_b32_e64 v7, v13, v4, s3
	v_cndmask_b32_e64 v3, v3, v8, s3
	;; [unrolled: 1-line block ×3, first 2 shown]
	v_cmp_eq_u32_e64 s3, 7, v69
	v_cndmask_b32_e64 v4, v10, v8, s5
	v_cndmask_b32_e64 v5, v5, v12, s6
	;; [unrolled: 1-line block ×3, first 2 shown]
	v_cndmask_b32_e32 v2, v2, v16, vcc_lo
	v_cndmask_b32_e64 v7, v7, v12, s3
	v_cndmask_b32_e64 v3, v3, v16, s3
	;; [unrolled: 1-line block ×4, first 2 shown]
	v_cmp_gt_u32_e32 vcc_lo, 32, v0
	v_perm_b32 v4, v2, v1, 0x5040100
	v_perm_b32 v3, v3, v7, 0x5040100
	;; [unrolled: 1-line block ×4, first 2 shown]
	s_and_b32 s2, vcc_lo, s2
	ds_store_b128 v74, v[1:4]
	s_waitcnt lgkmcnt(0)
	s_barrier
	buffer_gl0_inv
	s_and_saveexec_b32 s3, s2
	s_cbranch_execz .LBB1155_2
; %bb.15:
	s_load_b64 s[0:1], s[0:1], 0x68
	s_lshl_b32 s4, s35, 6
	v_or_b32_e32 v3, s31, v66
	s_mul_i32 s2, s4, s34
	v_lshlrev_b32_e32 v0, 10, v0
	s_mul_i32 s2, s2, s8
	v_lshlrev_b32_e32 v1, 4, v67
	s_ashr_i32 s3, s2, 31
	v_mul_lo_u32 v12, v3, s4
	s_lshl_b64 s[2:3], s[2:3], 1
	v_lshlrev_b32_e32 v2, 6, v66
	v_and_b32_e32 v0, 0x3800, v0
	s_delay_alu instid0(VALU_DEP_1) | instskip(NEXT) | instid1(VALU_DEP_4)
	v_or3_b32 v8, v0, v1, v2
	v_ashrrev_i32_e32 v13, 31, v12
	ds_load_b128 v[0:3], v8
	ds_load_b128 v[4:7], v8 offset:128
	ds_load_b128 v[8:11], v8 offset:256
	s_waitcnt lgkmcnt(0)
	s_add_u32 s2, s0, s2
	s_addc_u32 s3, s1, s3
	s_lshl_b32 s0, s14, 6
	s_delay_alu instid0(SALU_CYCLE_1) | instskip(NEXT) | instid1(SALU_CYCLE_1)
	s_ashr_i32 s1, s0, 31
	s_lshl_b64 s[0:1], s[0:1], 1
	s_delay_alu instid0(SALU_CYCLE_1)
	s_add_u32 s0, s2, s0
	s_addc_u32 s1, s3, s1
	s_lshl_b32 s2, s35, 7
	v_add_co_u32 v18, s0, s0, v65
	v_add_nc_u32_e32 v14, s2, v12
	v_lshlrev_b64 v[12:13], 1, v[12:13]
	v_add_co_ci_u32_e64 v19, null, s1, 0, s0
	s_delay_alu instid0(VALU_DEP_3) | instskip(SKIP_1) | instid1(VALU_DEP_4)
	v_add_nc_u32_e32 v16, s2, v14
	v_ashrrev_i32_e32 v15, 31, v14
	v_add_co_u32 v12, vcc_lo, v18, v12
	s_delay_alu instid0(VALU_DEP_4) | instskip(NEXT) | instid1(VALU_DEP_4)
	v_add_co_ci_u32_e32 v13, vcc_lo, v19, v13, vcc_lo
	v_ashrrev_i32_e32 v17, 31, v16
	s_delay_alu instid0(VALU_DEP_4) | instskip(NEXT) | instid1(VALU_DEP_2)
	v_lshlrev_b64 v[14:15], 1, v[14:15]
	v_lshlrev_b64 v[16:17], 1, v[16:17]
	s_delay_alu instid0(VALU_DEP_2) | instskip(NEXT) | instid1(VALU_DEP_3)
	v_add_co_u32 v14, vcc_lo, v18, v14
	v_add_co_ci_u32_e32 v15, vcc_lo, v19, v15, vcc_lo
	s_delay_alu instid0(VALU_DEP_3) | instskip(NEXT) | instid1(VALU_DEP_4)
	v_add_co_u32 v16, vcc_lo, v18, v16
	v_add_co_ci_u32_e32 v17, vcc_lo, v19, v17, vcc_lo
	s_clause 0x2
	global_store_b128 v[12:13], v[0:3], off
	global_store_b128 v[14:15], v[4:7], off
	;; [unrolled: 1-line block ×3, first 2 shown]
	s_nop 0
	s_sendmsg sendmsg(MSG_DEALLOC_VGPRS)
	s_endpgm
	.section	.rodata,"a",@progbits
	.p2align	6, 0x0
	.amdhsa_kernel _Z39paged_attention_ll4mi_QKV_mfma16_kernelIDF16_hLN4vllm18Fp8KVCacheDataTypeE1EhLi32ELi64ELi256ELb1ELi6EL8MFMAType0EEvPKT_PKT0_S8_ifPKiSA_SA_iPKfiiiPfSD_PS3_PT2_iSC_SC_
		.amdhsa_group_segment_fixed_size 17472
		.amdhsa_private_segment_fixed_size 0
		.amdhsa_kernarg_size 400
		.amdhsa_user_sgpr_count 13
		.amdhsa_user_sgpr_dispatch_ptr 0
		.amdhsa_user_sgpr_queue_ptr 0
		.amdhsa_user_sgpr_kernarg_segment_ptr 1
		.amdhsa_user_sgpr_dispatch_id 0
		.amdhsa_user_sgpr_private_segment_size 0
		.amdhsa_wavefront_size32 1
		.amdhsa_uses_dynamic_stack 0
		.amdhsa_enable_private_segment 0
		.amdhsa_system_sgpr_workgroup_id_x 1
		.amdhsa_system_sgpr_workgroup_id_y 1
		.amdhsa_system_sgpr_workgroup_id_z 1
		.amdhsa_system_sgpr_workgroup_info 0
		.amdhsa_system_vgpr_workitem_id 0
		.amdhsa_next_free_vgpr 146
		.amdhsa_next_free_sgpr 38
		.amdhsa_reserve_vcc 1
		.amdhsa_float_round_mode_32 0
		.amdhsa_float_round_mode_16_64 0
		.amdhsa_float_denorm_mode_32 3
		.amdhsa_float_denorm_mode_16_64 3
		.amdhsa_dx10_clamp 1
		.amdhsa_ieee_mode 1
		.amdhsa_fp16_overflow 0
		.amdhsa_workgroup_processor_mode 1
		.amdhsa_memory_ordered 1
		.amdhsa_forward_progress 0
		.amdhsa_shared_vgpr_count 0
		.amdhsa_exception_fp_ieee_invalid_op 0
		.amdhsa_exception_fp_denorm_src 0
		.amdhsa_exception_fp_ieee_div_zero 0
		.amdhsa_exception_fp_ieee_overflow 0
		.amdhsa_exception_fp_ieee_underflow 0
		.amdhsa_exception_fp_ieee_inexact 0
		.amdhsa_exception_int_div_zero 0
	.end_amdhsa_kernel
	.section	.text._Z39paged_attention_ll4mi_QKV_mfma16_kernelIDF16_hLN4vllm18Fp8KVCacheDataTypeE1EhLi32ELi64ELi256ELb1ELi6EL8MFMAType0EEvPKT_PKT0_S8_ifPKiSA_SA_iPKfiiiPfSD_PS3_PT2_iSC_SC_,"axG",@progbits,_Z39paged_attention_ll4mi_QKV_mfma16_kernelIDF16_hLN4vllm18Fp8KVCacheDataTypeE1EhLi32ELi64ELi256ELb1ELi6EL8MFMAType0EEvPKT_PKT0_S8_ifPKiSA_SA_iPKfiiiPfSD_PS3_PT2_iSC_SC_,comdat
.Lfunc_end1155:
	.size	_Z39paged_attention_ll4mi_QKV_mfma16_kernelIDF16_hLN4vllm18Fp8KVCacheDataTypeE1EhLi32ELi64ELi256ELb1ELi6EL8MFMAType0EEvPKT_PKT0_S8_ifPKiSA_SA_iPKfiiiPfSD_PS3_PT2_iSC_SC_, .Lfunc_end1155-_Z39paged_attention_ll4mi_QKV_mfma16_kernelIDF16_hLN4vllm18Fp8KVCacheDataTypeE1EhLi32ELi64ELi256ELb1ELi6EL8MFMAType0EEvPKT_PKT0_S8_ifPKiSA_SA_iPKfiiiPfSD_PS3_PT2_iSC_SC_
                                        ; -- End function
	.section	.AMDGPU.csdata,"",@progbits
; Kernel info:
; codeLenInByte = 6452
; NumSgprs: 40
; NumVgprs: 146
; ScratchSize: 0
; MemoryBound: 0
; FloatMode: 240
; IeeeMode: 1
; LDSByteSize: 17472 bytes/workgroup (compile time only)
; SGPRBlocks: 4
; VGPRBlocks: 18
; NumSGPRsForWavesPerEU: 40
; NumVGPRsForWavesPerEU: 146
; Occupancy: 9
; WaveLimiterHint : 1
; COMPUTE_PGM_RSRC2:SCRATCH_EN: 0
; COMPUTE_PGM_RSRC2:USER_SGPR: 13
; COMPUTE_PGM_RSRC2:TRAP_HANDLER: 0
; COMPUTE_PGM_RSRC2:TGID_X_EN: 1
; COMPUTE_PGM_RSRC2:TGID_Y_EN: 1
; COMPUTE_PGM_RSRC2:TGID_Z_EN: 1
; COMPUTE_PGM_RSRC2:TIDIG_COMP_CNT: 0
	.section	.text._Z39paged_attention_ll4mi_QKV_mfma16_kernelIDF16_hLN4vllm18Fp8KVCacheDataTypeE1EhLi32ELi64ELi256ELb1ELi7EL8MFMAType0EEvPKT_PKT0_S8_ifPKiSA_SA_iPKfiiiPfSD_PS3_PT2_iSC_SC_,"axG",@progbits,_Z39paged_attention_ll4mi_QKV_mfma16_kernelIDF16_hLN4vllm18Fp8KVCacheDataTypeE1EhLi32ELi64ELi256ELb1ELi7EL8MFMAType0EEvPKT_PKT0_S8_ifPKiSA_SA_iPKfiiiPfSD_PS3_PT2_iSC_SC_,comdat
	.protected	_Z39paged_attention_ll4mi_QKV_mfma16_kernelIDF16_hLN4vllm18Fp8KVCacheDataTypeE1EhLi32ELi64ELi256ELb1ELi7EL8MFMAType0EEvPKT_PKT0_S8_ifPKiSA_SA_iPKfiiiPfSD_PS3_PT2_iSC_SC_ ; -- Begin function _Z39paged_attention_ll4mi_QKV_mfma16_kernelIDF16_hLN4vllm18Fp8KVCacheDataTypeE1EhLi32ELi64ELi256ELb1ELi7EL8MFMAType0EEvPKT_PKT0_S8_ifPKiSA_SA_iPKfiiiPfSD_PS3_PT2_iSC_SC_
	.globl	_Z39paged_attention_ll4mi_QKV_mfma16_kernelIDF16_hLN4vllm18Fp8KVCacheDataTypeE1EhLi32ELi64ELi256ELb1ELi7EL8MFMAType0EEvPKT_PKT0_S8_ifPKiSA_SA_iPKfiiiPfSD_PS3_PT2_iSC_SC_
	.p2align	8
	.type	_Z39paged_attention_ll4mi_QKV_mfma16_kernelIDF16_hLN4vllm18Fp8KVCacheDataTypeE1EhLi32ELi64ELi256ELb1ELi7EL8MFMAType0EEvPKT_PKT0_S8_ifPKiSA_SA_iPKfiiiPfSD_PS3_PT2_iSC_SC_,@function
_Z39paged_attention_ll4mi_QKV_mfma16_kernelIDF16_hLN4vllm18Fp8KVCacheDataTypeE1EhLi32ELi64ELi256ELb1ELi7EL8MFMAType0EEvPKT_PKT0_S8_ifPKiSA_SA_iPKfiiiPfSD_PS3_PT2_iSC_SC_: ; @_Z39paged_attention_ll4mi_QKV_mfma16_kernelIDF16_hLN4vllm18Fp8KVCacheDataTypeE1EhLi32ELi64ELi256ELb1ELi7EL8MFMAType0EEvPKT_PKT0_S8_ifPKiSA_SA_iPKfiiiPfSD_PS3_PT2_iSC_SC_
; %bb.0:
	s_load_b64 s[2:3], s[0:1], 0x30
	s_mov_b32 s34, s13
	s_waitcnt lgkmcnt(0)
	s_cmp_lg_u64 s[2:3], 0
	s_cselect_b32 s6, -1, 0
	s_ashr_i32 s35, s13, 31
	s_cmp_eq_u64 s[2:3], 0
	s_cbranch_scc1 .LBB1156_3
; %bb.1:
	s_lshl_b64 s[4:5], s[34:35], 2
	s_delay_alu instid0(SALU_CYCLE_1) | instskip(SKIP_4) | instid1(SALU_CYCLE_1)
	s_add_u32 s4, s2, s4
	s_addc_u32 s5, s3, s5
	s_load_b64 s[4:5], s[4:5], 0x0
	s_waitcnt lgkmcnt(0)
	s_sub_i32 s4, s5, s4
	s_cmp_eq_u32 s4, 1
	s_cselect_b32 s4, -1, 0
	s_delay_alu instid0(SALU_CYCLE_1)
	s_and_not1_b32 vcc_lo, exec_lo, s4
	s_cbranch_vccz .LBB1156_4
.LBB1156_2:
	s_nop 0
	s_sendmsg sendmsg(MSG_DEALLOC_VGPRS)
	s_endpgm
.LBB1156_3:
.LBB1156_4:
	s_load_b64 s[8:9], s[0:1], 0x28
	s_lshl_b64 s[4:5], s[34:35], 2
	s_waitcnt lgkmcnt(0)
	s_add_u32 s8, s8, s4
	s_addc_u32 s9, s9, s5
	s_lshl_b32 s16, s14, 8
	s_load_b32 s18, s[8:9], 0x0
	s_waitcnt lgkmcnt(0)
	s_cmp_ge_i32 s16, s18
	s_cbranch_scc1 .LBB1156_2
; %bb.5:
	s_clause 0x1
	s_load_b128 s[8:11], s[0:1], 0x8
	s_load_b64 s[12:13], s[0:1], 0x20
	s_and_not1_b32 vcc_lo, exec_lo, s6
	s_cbranch_vccnz .LBB1156_7
; %bb.6:
	s_add_u32 s2, s2, s4
	s_addc_u32 s3, s3, s5
	s_load_b32 s3, s[2:3], 0x0
	s_branch .LBB1156_8
.LBB1156_7:
	s_mov_b32 s3, s34
.LBB1156_8:
	s_load_b128 s[4:7], s[0:1], 0x48
	v_lshrrev_b32_e32 v69, 5, v0
	v_bfe_u32 v66, v0, 4, 1
	v_and_b32_e32 v68, 15, v0
	v_and_b32_e32 v70, 31, v0
	;; [unrolled: 1-line block ×3, first 2 shown]
	s_mul_i32 s33, s15, 7
	v_lshl_or_b32 v1, v69, 1, v66
	v_lshlrev_b32_e32 v2, 3, v68
	v_cmp_gt_u32_e64 s2, 8, v68
	s_delay_alu instid0(VALU_DEP_3) | instskip(NEXT) | instid1(VALU_DEP_3)
	v_cmp_gt_u32_e32 vcc_lo, 7, v1
	v_lshlrev_b32_e32 v65, 1, v2
	s_delay_alu instid0(VALU_DEP_3)
	s_and_b32 s17, s2, vcc_lo
	s_waitcnt lgkmcnt(0)
	s_and_saveexec_b32 s7, s17
	s_cbranch_execz .LBB1156_10
; %bb.9:
	s_load_b64 s[20:21], s[0:1], 0x0
	v_add_lshl_u32 v2, v1, s33, 6
	s_mul_hi_i32 s23, s3, s4
	s_mul_i32 s22, s3, s4
	v_lshlrev_b32_e32 v6, 10, v68
	s_lshl_b64 s[22:23], s[22:23], 1
	v_ashrrev_i32_e32 v3, 31, v2
	v_lshlrev_b32_e32 v1, 6, v1
	v_lshlrev_b32_e32 v7, 10, v67
	v_and_b32_e32 v6, 0x3800, v6
	s_delay_alu instid0(VALU_DEP_4) | instskip(NEXT) | instid1(VALU_DEP_2)
	v_lshlrev_b64 v[2:3], 1, v[2:3]
	v_or3_b32 v1, v6, v7, v1
	s_waitcnt lgkmcnt(0)
	s_add_u32 s3, s20, s22
	s_addc_u32 s4, s21, s23
	s_delay_alu instid0(VALU_DEP_2) | instskip(SKIP_1) | instid1(VALU_DEP_2)
	v_add_co_u32 v2, vcc_lo, s3, v2
	v_add_co_ci_u32_e32 v3, vcc_lo, s4, v3, vcc_lo
	v_add_co_u32 v2, vcc_lo, v2, v65
	s_delay_alu instid0(VALU_DEP_2)
	v_add_co_ci_u32_e32 v3, vcc_lo, 0, v3, vcc_lo
	global_load_b128 v[2:5], v[2:3], off
	s_waitcnt vmcnt(0)
	ds_store_b128 v1, v[2:5]
.LBB1156_10:
	s_or_b32 exec_lo, exec_lo, s7
	v_and_b32_e32 v1, 0xef, v0
	s_add_i32 s3, s18, 31
	s_clause 0x1
	s_load_b32 s4, s[0:1], 0x38
	s_load_b32 s35, s[0:1], 0x98
	s_ashr_i32 s7, s3, 31
	v_add_nc_u32_e32 v1, s16, v1
	s_lshr_b32 s7, s7, 27
	s_load_b32 s19, s[0:1], 0x1c
	s_add_i32 s3, s3, s7
	s_waitcnt lgkmcnt(0)
	v_ashrrev_i32_e32 v2, 31, v1
	v_or_b32_e32 v3, 16, v1
	s_ashr_i32 s3, s3, 5
	v_cmp_gt_i32_e32 vcc_lo, s18, v1
	s_add_i32 s3, s3, -1
	v_lshrrev_b32_e32 v2, 27, v2
	s_barrier
	buffer_gl0_inv
	s_mul_i32 s15, s15, s6
	v_mul_lo_u16 v103, v68, 37
	v_add_nc_u32_e32 v4, v1, v2
	v_mbcnt_lo_u32_b32 v127, -1, 0
	s_mul_i32 s20, s34, s4
	s_delay_alu instid0(SALU_CYCLE_1) | instskip(NEXT) | instid1(VALU_DEP_2)
	s_ashr_i32 s21, s20, 31
	v_ashrrev_i32_e32 v4, 5, v4
	v_add_nc_u32_e32 v2, v3, v2
	s_lshl_b64 s[20:21], s[20:21], 2
	v_lshrrev_b16 v103, 8, v103
	s_add_u32 s17, s12, s20
	v_cndmask_b32_e32 v1, s3, v4, vcc_lo
	v_ashrrev_i32_e32 v2, 5, v2
	v_cmp_gt_i32_e32 vcc_lo, s18, v3
	s_addc_u32 s13, s13, s21
	s_ashr_i32 s20, s15, 31
	s_add_u32 s22, s8, s15
	s_addc_u32 s23, s9, s20
	v_cndmask_b32_e32 v3, s3, v2, vcc_lo
	v_ashrrev_i32_e32 v2, 31, v1
	s_lshl_b32 s6, s14, 3
	v_mul_lo_u16 v103, v103, 7
	s_ashr_i32 s7, s6, 31
	v_ashrrev_i32_e32 v4, 31, v3
	v_lshlrev_b64 v[1:2], 2, v[1:2]
	s_lshl_b64 s[6:7], s[6:7], 2
	v_sub_nc_u16 v103, v68, v103
	s_add_u32 s6, s17, s6
	v_lshlrev_b64 v[3:4], 2, v[3:4]
	s_addc_u32 s7, s13, s7
	v_add_co_u32 v1, vcc_lo, s17, v1
	v_add_co_ci_u32_e32 v2, vcc_lo, s13, v2, vcc_lo
	s_delay_alu instid0(VALU_DEP_3) | instskip(NEXT) | instid1(VALU_DEP_4)
	v_add_co_u32 v3, vcc_lo, s17, v3
	v_add_co_ci_u32_e32 v4, vcc_lo, s13, v4, vcc_lo
	s_clause 0x1
	global_load_b32 v5, v[1:2], off
	global_load_b32 v6, v[3:4], off
	s_or_b32 s4, s16, 32
	v_xor_b32_e32 v128, 16, v127
	s_ashr_i32 s8, s4, 5
	s_cmp_lt_i32 s4, s18
	s_cselect_b32 s8, s8, s3
	s_delay_alu instid0(SALU_CYCLE_1) | instskip(NEXT) | instid1(SALU_CYCLE_1)
	s_ashr_i32 s9, s8, 31
	s_lshl_b64 s[8:9], s[8:9], 2
	s_delay_alu instid0(SALU_CYCLE_1) | instskip(SKIP_2) | instid1(SALU_CYCLE_1)
	s_add_u32 s8, s17, s8
	s_addc_u32 s9, s13, s9
	s_or_b32 s4, s16, 64
	s_ashr_i32 s12, s4, 5
	s_cmp_lt_i32 s4, s18
	s_cselect_b32 s24, s12, s3
	s_delay_alu instid0(SALU_CYCLE_1) | instskip(NEXT) | instid1(SALU_CYCLE_1)
	s_ashr_i32 s25, s24, 31
	s_lshl_b64 s[24:25], s[24:25], 2
	s_delay_alu instid0(SALU_CYCLE_1) | instskip(SKIP_2) | instid1(SALU_CYCLE_1)
	s_add_u32 s24, s17, s24
	s_addc_u32 s25, s13, s25
	s_or_b32 s4, s16, 0x60
	;; [unrolled: 10-line block ×4, first 2 shown]
	s_ashr_i32 s12, s4, 5
	s_cmp_lt_i32 s4, s18
	s_cselect_b32 s30, s12, s3
	s_delay_alu instid0(SALU_CYCLE_1) | instskip(NEXT) | instid1(SALU_CYCLE_1)
	s_ashr_i32 s31, s30, 31
	s_lshl_b64 s[30:31], s[30:31], 2
	s_delay_alu instid0(SALU_CYCLE_1)
	s_add_u32 s30, s17, s30
	s_addc_u32 s31, s13, s31
	s_clause 0x5
	s_load_b32 s12, s[6:7], 0x0
	s_load_b32 s4, s[8:9], 0x0
	;; [unrolled: 1-line block ×6, first 2 shown]
	s_or_b32 s21, s16, 0xc0
	s_waitcnt vmcnt(1)
	v_mad_i64_i32 v[1:2], null, v5, s5, s[22:23]
	v_lshlrev_b32_e32 v5, 4, v68
	s_waitcnt vmcnt(0)
	v_mad_i64_i32 v[3:4], null, v6, s5, s[22:23]
	s_ashr_i32 s22, s21, 5
	s_cmp_lt_i32 s21, s18
	s_delay_alu instid0(VALU_DEP_3) | instskip(NEXT) | instid1(VALU_DEP_4)
	v_add_co_u32 v1, vcc_lo, v1, v5
	v_add_co_ci_u32_e32 v2, vcc_lo, 0, v2, vcc_lo
	s_delay_alu instid0(VALU_DEP_3) | instskip(NEXT) | instid1(VALU_DEP_4)
	v_add_co_u32 v3, vcc_lo, v3, v5
	v_add_co_ci_u32_e32 v4, vcc_lo, 0, v4, vcc_lo
	s_clause 0x7
	global_load_b128 v[71:74], v[1:2], off
	global_load_b128 v[75:78], v[1:2], off offset:512
	global_load_b128 v[79:82], v[3:4], off offset:256
	;; [unrolled: 1-line block ×7, first 2 shown]
	s_cselect_b32 s22, s22, s3
	v_lshlrev_b32_e32 v1, 5, v68
	s_ashr_i32 s23, s22, 31
	v_cmp_gt_i32_e32 vcc_lo, 32, v128
	s_lshl_b64 s[22:23], s[22:23], 2
	v_and_b32_e32 v103, 0xff, v103
	s_add_u32 s22, s17, s22
	s_addc_u32 s23, s13, s23
	v_cndmask_b32_e32 v136, v127, v128, vcc_lo
	s_or_b32 s21, s16, 0xe0
	v_lshl_or_b32 v1, v69, 9, v1
	s_ashr_i32 s24, s21, 5
	s_cmp_lt_i32 s21, s18
	v_lshlrev_b32_e32 v115, 6, v103
	s_cselect_b32 s24, s24, s3
	s_load_b32 s3, s[22:23], 0x0
	s_ashr_i32 s25, s24, 31
	s_delay_alu instid0(SALU_CYCLE_1) | instskip(NEXT) | instid1(SALU_CYCLE_1)
	s_lshl_b64 s[24:25], s[24:25], 2
	s_add_u32 s22, s17, s24
	s_addc_u32 s23, s13, s25
	s_add_u32 s10, s10, s15
	s_addc_u32 s11, s11, s20
	v_add_co_u32 v1, s10, s10, v1
	s_delay_alu instid0(VALU_DEP_1) | instskip(SKIP_2) | instid1(VALU_DEP_1)
	v_add_co_ci_u32_e64 v2, null, s11, 0, s10
	s_load_b32 s10, s[22:23], 0x0
	s_waitcnt lgkmcnt(0)
	v_mad_i64_i32 v[3:4], null, s12, s5, v[1:2]
	v_mad_i64_i32 v[9:10], null, s7, s5, v[1:2]
	;; [unrolled: 1-line block ×7, first 2 shown]
	s_clause 0x5
	global_load_b128 v[49:52], v[3:4], off
	global_load_b128 v[53:56], v[3:4], off offset:16
	global_load_b128 v[41:44], v[5:6], off
	global_load_b128 v[45:48], v[5:6], off offset:16
	;; [unrolled: 2-line block ×3, first 2 shown]
	s_mov_b32 s4, 0
	v_mad_i64_i32 v[61:62], null, s10, s5, v[1:2]
	s_clause 0x9
	global_load_b128 v[1:4], v[9:10], off
	global_load_b128 v[5:8], v[9:10], off offset:16
	global_load_b128 v[9:12], v[13:14], off
	global_load_b128 v[13:16], v[13:14], off offset:16
	;; [unrolled: 2-line block ×5, first 2 shown]
	s_mov_b32 s5, s4
	s_mov_b32 s6, s4
	;; [unrolled: 1-line block ×7, first 2 shown]
	v_and_b32_e32 v104, 0xe0, v0
	v_dual_mov_b32 v126, s11 :: v_dual_mov_b32 v123, s8
	v_dual_mov_b32 v125, s10 :: v_dual_mov_b32 v124, s9
	s_delay_alu instid0(VALU_DEP_3)
	v_add_nc_u32_e32 v111, s16, v104
	ds_load_b128 v[103:106], v115
	ds_load_b128 v[107:110], v115 offset:1024
	v_dual_mov_b32 v122, s7 :: v_dual_mov_b32 v121, s6
	v_mov_b32_e32 v120, s5
	v_or_b32_e32 v135, v111, v66
	ds_load_b128 v[111:114], v115 offset:2048
	ds_load_b128 v[115:118], v115 offset:3072
	v_mov_b32_e32 v119, s4
	s_waitcnt vmcnt(0) lgkmcnt(0)
	s_barrier
	v_or_b32_e32 v137, 2, v135
	v_or_b32_e32 v138, 4, v135
	;; [unrolled: 1-line block ×3, first 2 shown]
	v_cmp_gt_i32_e32 vcc_lo, s18, v135
	v_or_b32_e32 v140, 8, v135
	v_cmp_gt_i32_e64 s3, s18, v137
	v_or_b32_e32 v141, 10, v135
	v_cmp_gt_i32_e64 s4, s18, v138
	v_cmp_gt_i32_e64 s5, s18, v139
	v_or_b32_e32 v142, 12, v135
	v_or_b32_e32 v143, 14, v135
	v_cmp_gt_i32_e64 s6, s18, v140
	v_cmp_gt_i32_e64 s7, s18, v141
	v_or_b32_e32 v144, 16, v135
	v_or_b32_e32 v145, 18, v135
	v_cmp_gt_i32_e64 s8, s18, v142
	v_cmp_gt_i32_e64 s9, s18, v143
	buffer_gl0_inv
	v_cmp_gt_i32_e64 s10, s18, v144
	v_cmp_gt_i32_e64 s11, s18, v145
	v_wmma_f32_16x16x16_f16 v[127:134], v[71:78], v[103:110], v[119:126]
	v_wmma_f32_16x16x16_f16 v[119:126], v[79:86], v[103:110], v[119:126]
	v_or_b32_e32 v71, 20, v135
	v_or_b32_e32 v72, 22, v135
	s_delay_alu instid0(VALU_DEP_4)
	v_wmma_f32_16x16x16_f16 v[127:134], v[87:94], v[111:118], v[127:134]
	v_or_b32_e32 v73, 24, v135
	v_wmma_f32_16x16x16_f16 v[119:126], v[95:102], v[111:118], v[119:126]
	v_or_b32_e32 v74, 26, v135
	v_cmp_gt_i32_e64 s12, s18, v71
	v_dual_mul_f32 v84, s19, v127 :: v_dual_mul_f32 v83, s19, v128
	s_delay_alu instid0(VALU_DEP_4) | instskip(SKIP_2) | instid1(VALU_DEP_4)
	v_dual_mul_f32 v92, s19, v119 :: v_dual_mul_f32 v81, s19, v130
	v_mul_f32_e32 v90, s19, v121
	v_mul_f32_e32 v82, s19, v129
	v_cndmask_b32_e32 v84, 0xff7fffff, v84, vcc_lo
	v_cndmask_b32_e64 v83, 0xff7fffff, v83, s3
	v_dual_mul_f32 v79, s19, v132 :: v_dual_mul_f32 v88, s19, v123
	v_mul_f32_e32 v80, s19, v131
	v_cndmask_b32_e64 v82, 0xff7fffff, v82, s4
	v_cndmask_b32_e64 v81, 0xff7fffff, v81, s5
	v_max3_f32 v83, v84, 0xff7fffff, v83
	v_dual_mul_f32 v77, s19, v134 :: v_dual_mul_f32 v86, s19, v125
	v_mul_f32_e32 v78, s19, v133
	v_cndmask_b32_e64 v80, 0xff7fffff, v80, s6
	v_cndmask_b32_e64 v79, 0xff7fffff, v79, s7
	v_max3_f32 v81, v83, v82, v81
	v_mul_f32_e32 v91, s19, v120
	v_cndmask_b32_e64 v78, 0xff7fffff, v78, s8
	v_cndmask_b32_e64 v77, 0xff7fffff, v77, s9
	v_mul_f32_e32 v89, s19, v122
	v_max3_f32 v79, v81, v80, v79
	v_cndmask_b32_e64 v80, 0xff7fffff, v92, s10
	v_cndmask_b32_e64 v81, 0xff7fffff, v91, s11
	v_cmp_gt_i32_e64 s13, s18, v72
	v_or_b32_e32 v75, 28, v135
	v_max3_f32 v77, v79, v78, v77
	v_or_b32_e32 v76, 30, v135
	v_mul_f32_e32 v87, s19, v124
	v_cndmask_b32_e64 v71, 0xff7fffff, v90, s12
	v_cndmask_b32_e64 v72, 0xff7fffff, v89, s13
	v_max3_f32 v77, v77, v80, v81
	v_cmp_gt_i32_e64 s15, s18, v73
	v_cmp_gt_i32_e64 s16, s18, v74
	v_mul_f32_e32 v85, s19, v126
	v_cmp_gt_i32_e64 s17, s18, v75
	v_max3_f32 v71, v77, v71, v72
	v_cndmask_b32_e64 v73, 0xff7fffff, v88, s15
	v_cndmask_b32_e64 v74, 0xff7fffff, v87, s16
	v_cmp_gt_i32_e64 s18, s18, v76
	v_cndmask_b32_e64 v72, 0xff7fffff, v86, s17
	s_delay_alu instid0(VALU_DEP_3) | instskip(NEXT) | instid1(VALU_DEP_3)
	v_max3_f32 v71, v71, v73, v74
	v_cndmask_b32_e64 v75, 0xff7fffff, v85, s18
	v_lshlrev_b32_e32 v73, 2, v136
	s_delay_alu instid0(VALU_DEP_2) | instskip(SKIP_3) | instid1(VALU_DEP_1)
	v_max3_f32 v71, v71, v72, v75
	ds_bpermute_b32 v72, v73, v71
	s_waitcnt lgkmcnt(0)
	v_max_f32_e32 v72, v72, v72
	v_max_f32_e32 v71, v71, v72
	s_delay_alu instid0(VALU_DEP_1) | instskip(SKIP_2) | instid1(VALU_DEP_3)
	v_fma_f32 v72, s19, v127, -v71
	v_fma_f32 v74, s19, v128, -v71
	;; [unrolled: 1-line block ×3, first 2 shown]
	v_mul_f32_e32 v72, 0x3fb8aa3b, v72
	s_delay_alu instid0(VALU_DEP_2) | instskip(NEXT) | instid1(VALU_DEP_2)
	v_dual_mul_f32 v74, 0x3fb8aa3b, v74 :: v_dual_mul_f32 v75, 0x3fb8aa3b, v75
	v_exp_f32_e32 v72, v72
	s_delay_alu instid0(VALU_DEP_1) | instskip(NEXT) | instid1(VALU_DEP_1)
	v_exp_f32_e32 v74, v74
	v_exp_f32_e32 v75, v75
	s_delay_alu instid0(TRANS32_DEP_3)
	v_cndmask_b32_e32 v79, 0, v72, vcc_lo
	s_waitcnt_depctr 0xfff
	v_cndmask_b32_e64 v78, 0, v74, s3
	v_cndmask_b32_e64 v81, 0, v75, s4
	v_cmp_gt_u32_e64 s3, 16, v70
	v_add_f32_e32 v74, 0, v79
	s_delay_alu instid0(VALU_DEP_1) | instskip(NEXT) | instid1(VALU_DEP_1)
	v_add_f32_e32 v74, v74, v78
	v_add_f32_e32 v74, v74, v81
	v_fma_f32 v76, s19, v130, -v71
	v_fma_f32 v77, s19, v131, -v71
	;; [unrolled: 1-line block ×5, first 2 shown]
	s_delay_alu instid0(VALU_DEP_4) | instskip(NEXT) | instid1(VALU_DEP_4)
	v_dual_mul_f32 v76, 0x3fb8aa3b, v76 :: v_dual_mul_f32 v77, 0x3fb8aa3b, v77
	v_mul_f32_e32 v72, 0x3fb8aa3b, v72
	s_delay_alu instid0(VALU_DEP_4) | instskip(SKIP_1) | instid1(VALU_DEP_4)
	v_mul_f32_e32 v82, 0x3fb8aa3b, v80
	v_fma_f32 v86, s19, v122, -v71
	v_exp_f32_e32 v76, v76
	v_exp_f32_e32 v77, v77
	;; [unrolled: 1-line block ×4, first 2 shown]
	v_mul_f32_e32 v86, 0x3fb8aa3b, v86
	s_delay_alu instid0(VALU_DEP_1)
	v_exp_f32_e32 v88, v86
	v_cndmask_b32_e64 v80, 0, v76, s5
	v_mul_f32_e32 v75, 0x3fb8aa3b, v75
	v_fma_f32 v76, s19, v119, -v71
	v_cndmask_b32_e64 v83, 0, v77, s6
	v_fma_f32 v77, s19, v120, -v71
	v_add_f32_e32 v74, v74, v80
	v_exp_f32_e32 v75, v75
	v_mul_f32_e32 v76, 0x3fb8aa3b, v76
	v_cndmask_b32_e64 v82, 0, v72, s7
	s_delay_alu instid0(VALU_DEP_3) | instskip(SKIP_1) | instid1(VALU_DEP_4)
	v_dual_mul_f32 v77, 0x3fb8aa3b, v77 :: v_dual_add_f32 v72, v74, v83
	v_fma_f32 v74, s19, v121, -v71
	v_exp_f32_e32 v76, v76
	v_cndmask_b32_e64 v85, 0, v84, s8
	s_delay_alu instid0(VALU_DEP_3) | instskip(SKIP_1) | instid1(TRANS32_DEP_3)
	v_exp_f32_e32 v77, v77
	v_cndmask_b32_e64 v88, 0, v88, s13
	v_cndmask_b32_e64 v84, 0, v75, s9
	v_fma_f32 v75, s19, v123, -v71
	v_add_f32_e32 v72, v72, v82
	s_delay_alu instid0(VALU_DEP_2) | instskip(NEXT) | instid1(VALU_DEP_2)
	v_dual_mul_f32 v74, 0x3fb8aa3b, v74 :: v_dual_mul_f32 v75, 0x3fb8aa3b, v75
	v_add_f32_e32 v72, v72, v85
	s_delay_alu instid0(VALU_DEP_2)
	v_exp_f32_e32 v74, v74
	v_cndmask_b32_e64 v87, 0, v76, s10
	v_fma_f32 v76, s19, v124, -v71
	v_cndmask_b32_e64 v86, 0, v77, s11
	v_add_f32_e32 v72, v72, v84
	v_fma_f32 v77, s19, v125, -v71
	v_exp_f32_e32 v75, v75
	v_mul_f32_e32 v76, 0x3fb8aa3b, v76
	s_delay_alu instid0(VALU_DEP_3) | instskip(NEXT) | instid1(TRANS32_DEP_2)
	v_add_f32_e32 v72, v72, v87
	v_cndmask_b32_e64 v89, 0, v74, s12
	v_mul_f32_e32 v74, 0x3fb8aa3b, v77
	s_delay_alu instid0(VALU_DEP_4) | instskip(SKIP_2) | instid1(VALU_DEP_3)
	v_exp_f32_e32 v76, v76
	v_fma_f32 v77, s19, v126, -v71
	v_add_f32_e32 v72, v72, v86
	v_exp_f32_e32 v74, v74
	s_delay_alu instid0(TRANS32_DEP_3) | instskip(NEXT) | instid1(VALU_DEP_3)
	v_cndmask_b32_e64 v91, 0, v75, s15
	v_mul_f32_e32 v75, 0x3fb8aa3b, v77
	s_delay_alu instid0(VALU_DEP_3) | instskip(NEXT) | instid1(TRANS32_DEP_2)
	v_add_f32_e32 v72, v72, v89
	v_cndmask_b32_e64 v90, 0, v76, s16
	s_delay_alu instid0(VALU_DEP_3) | instskip(NEXT) | instid1(VALU_DEP_2)
	v_exp_f32_e32 v75, v75
	v_add_f32_e32 v72, v72, v88
	s_delay_alu instid0(TRANS32_DEP_2) | instskip(NEXT) | instid1(VALU_DEP_2)
	v_cndmask_b32_e64 v93, 0, v74, s17
	v_add_f32_e32 v72, v72, v91
	s_waitcnt_depctr 0xfff
	v_cndmask_b32_e64 v92, 0, v75, s18
	v_add_f32_e32 v72, v72, v90
	s_delay_alu instid0(VALU_DEP_1) | instskip(NEXT) | instid1(VALU_DEP_1)
	v_add_f32_e32 v72, v72, v93
	v_add_f32_e32 v72, v72, v92
	ds_bpermute_b32 v73, v73, v72
	s_and_saveexec_b32 s4, s3
	s_cbranch_execz .LBB1156_12
; %bb.11:
	v_mul_u32_u24_e32 v70, 0x44, v69
	s_waitcnt lgkmcnt(0)
	v_add_f32_e32 v72, v72, v73
	s_delay_alu instid0(VALU_DEP_2) | instskip(NEXT) | instid1(VALU_DEP_1)
	v_lshl_add_u32 v70, v68, 2, v70
	v_add_nc_u32_e32 v70, 0x4000, v70
	ds_store_2addr_b32 v70, v71, v72 offset1:136
.LBB1156_12:
	s_or_b32 exec_lo, exec_lo, s4
	v_lshlrev_b32_e32 v70, 2, v68
	s_load_b32 s36, s[0:1], 0x94
	s_waitcnt lgkmcnt(0)
	s_barrier
	buffer_gl0_inv
	v_add_nc_u32_e32 v98, 0x4000, v70
	v_cmp_eq_u32_e32 vcc_lo, 1, v69
	v_cmp_eq_u32_e64 s4, 2, v69
	v_cmp_eq_u32_e64 s5, 3, v69
	;; [unrolled: 1-line block ×3, first 2 shown]
	ds_load_2addr_b32 v[70:71], v98 offset1:17
	ds_load_2addr_b32 v[72:73], v98 offset0:34 offset1:51
	ds_load_2addr_b32 v[74:75], v98 offset0:68 offset1:85
	;; [unrolled: 1-line block ×3, first 2 shown]
	v_cmp_eq_u32_e64 s7, 5, v69
	v_cmp_eq_u32_e64 s8, 7, v69
	s_waitcnt lgkmcnt(3)
	v_max3_f32 v76, v70, 0xff7fffff, v71
	s_waitcnt lgkmcnt(2)
	s_delay_alu instid0(VALU_DEP_1) | instskip(SKIP_1) | instid1(VALU_DEP_1)
	v_max3_f32 v76, v76, v72, v73
	s_waitcnt lgkmcnt(1)
	v_max3_f32 v76, v76, v74, v75
	s_waitcnt lgkmcnt(0)
	s_delay_alu instid0(VALU_DEP_1) | instskip(NEXT) | instid1(VALU_DEP_1)
	v_max3_f32 v76, v76, v94, v95
	v_sub_f32_e32 v77, v71, v76
	ds_load_2addr_b32 v[96:97], v98 offset0:136 offset1:153
	v_sub_f32_e32 v74, v74, v76
	v_sub_f32_e32 v70, v70, v76
	;; [unrolled: 1-line block ×3, first 2 shown]
	v_dual_sub_f32 v72, v72, v76 :: v_dual_mul_f32 v77, 0x3fb8aa3b, v77
	s_delay_alu instid0(VALU_DEP_4) | instskip(NEXT) | instid1(VALU_DEP_4)
	v_mul_f32_e32 v103, 0x3fb8aa3b, v74
	v_mul_f32_e32 v99, 0x3fb8aa3b, v70
	ds_load_2addr_b32 v[70:71], v98 offset0:170 offset1:187
	v_dual_mul_f32 v101, 0x3fb8aa3b, v72 :: v_dual_mul_f32 v94, 0x3fb8aa3b, v94
	v_exp_f32_e32 v102, v77
	v_exp_f32_e32 v99, v99
	s_delay_alu instid0(VALU_DEP_1) | instskip(NEXT) | instid1(VALU_DEP_1)
	v_exp_f32_e32 v101, v101
	v_exp_f32_e32 v94, v94
	s_waitcnt lgkmcnt(1)
	s_delay_alu instid0(TRANS32_DEP_3)
	v_fma_f32 v77, v99, v96, 0
	v_sub_f32_e32 v100, v73, v76
	ds_load_2addr_b32 v[72:73], v98 offset0:204 offset1:221
	v_fmac_f32_e32 v77, v102, v97
	v_exp_f32_e32 v97, v103
	s_waitcnt lgkmcnt(1)
	s_delay_alu instid0(VALU_DEP_1)
	v_dual_fmac_f32 v77, v101, v70 :: v_dual_sub_f32 v96, v75, v76
	ds_load_2addr_b32 v[74:75], v98 offset0:238 offset1:255
	v_sub_f32_e32 v70, v95, v76
	s_waitcnt lgkmcnt(0)
	s_barrier
	v_mul_f32_e32 v96, 0x3fb8aa3b, v96
	buffer_gl0_inv
	v_exp_f32_e32 v95, v96
	v_mul_f32_e32 v100, 0x3fb8aa3b, v100
	s_delay_alu instid0(VALU_DEP_1) | instskip(SKIP_3) | instid1(VALU_DEP_2)
	v_exp_f32_e32 v100, v100
	s_waitcnt_depctr 0xfff
	v_dual_fmac_f32 v77, v100, v71 :: v_dual_mul_f32 v70, 0x3fb8aa3b, v70
	v_cndmask_b32_e32 v71, v99, v102, vcc_lo
	v_fmac_f32_e32 v77, v97, v72
	s_delay_alu instid0(VALU_DEP_3) | instskip(NEXT) | instid1(VALU_DEP_1)
	v_exp_f32_e32 v96, v70
	v_fmac_f32_e32 v77, v95, v73
	s_delay_alu instid0(VALU_DEP_1) | instskip(SKIP_2) | instid1(VALU_DEP_1)
	v_fmac_f32_e32 v77, v94, v74
	s_waitcnt_depctr 0xfff
	v_fmac_f32_e32 v77, v96, v75
	v_add_f32_e32 v74, 0x358637bd, v77
	s_delay_alu instid0(VALU_DEP_1) | instskip(SKIP_1) | instid1(VALU_DEP_2)
	v_div_scale_f32 v98, null, v74, v74, 1.0
	v_div_scale_f32 v99, vcc_lo, 1.0, v74, 1.0
	v_rcp_f32_e32 v103, v98
	s_waitcnt_depctr 0xfff
	v_fma_f32 v70, -v98, v103, 1.0
	s_delay_alu instid0(VALU_DEP_1) | instskip(SKIP_2) | instid1(VALU_DEP_2)
	v_fmac_f32_e32 v103, v70, v103
	v_cndmask_b32_e64 v70, v71, v101, s4
	v_cmp_eq_u32_e64 s4, 6, v69
	v_cndmask_b32_e64 v71, v70, v100, s5
	s_delay_alu instid0(VALU_DEP_4) | instskip(NEXT) | instid1(VALU_DEP_2)
	v_dual_mul_f32 v101, v99, v103 :: v_dual_lshlrev_b32 v70, 2, v66
	v_cndmask_b32_e64 v71, v71, v97, s6
	s_delay_alu instid0(VALU_DEP_2) | instskip(NEXT) | instid1(VALU_DEP_3)
	v_or_b32_e32 v72, 1, v70
	v_fma_f32 v100, -v98, v101, v99
	v_cmp_eq_u32_e64 s5, 1, v70
	v_cmp_eq_u32_e64 s6, 2, v70
	v_cndmask_b32_e64 v95, v71, v95, s7
	v_or_b32_e32 v71, 3, v70
	v_fmac_f32_e32 v101, v100, v103
	v_cmp_eq_u32_e64 s10, 1, v72
	v_cmp_eq_u32_e64 s13, 2, v72
	v_cndmask_b32_e64 v94, v95, v94, s4
	v_cmp_eq_u32_e64 s12, 1, v71
	v_fma_f32 v97, -v98, v101, v99
	v_cmp_eq_u32_e64 s17, 2, v71
	v_cmp_eq_u32_e64 s15, 3, v72
	v_cndmask_b32_e64 v94, v94, v96, s8
	v_cmp_eq_u32_e64 s19, 3, v71
	v_div_fmas_f32 v95, v97, v103, v101
	v_cmp_eq_u32_e32 vcc_lo, 3, v70
	v_cmp_eq_u32_e64 s4, 4, v70
	v_cmp_eq_u32_e64 s20, 4, v72
	;; [unrolled: 1-line block ×3, first 2 shown]
	v_div_fixup_f32 v95, v95, v74, 1.0
	v_lshlrev_b32_e32 v73, 6, v68
	v_cmp_eq_u32_e64 s7, 5, v70
	v_cmp_eq_u32_e64 s21, 5, v72
	;; [unrolled: 1-line block ×3, first 2 shown]
	v_mul_f32_e32 v102, v94, v95
	v_lshl_or_b32 v75, v69, 11, v73
	v_or_b32_e32 v69, 2, v70
	v_cmp_eq_u32_e64 s26, 6, v72
	v_cmp_eq_u32_e64 s28, 6, v71
	v_fma_mixlo_f16 v94, v102, v79, 0
	v_fma_mixlo_f16 v95, v102, v81, 0
	;; [unrolled: 1-line block ×8, first 2 shown]
	v_lshl_or_b32 v74, v66, 4, v75
	v_fma_mixhi_f16 v94, v102, v78, 0
	v_fma_mixhi_f16 v95, v102, v80, 0
	;; [unrolled: 1-line block ×8, first 2 shown]
	ds_store_b128 v74, v[94:97]
	ds_store_b128 v74, v[98:101] offset:1024
	s_waitcnt lgkmcnt(0)
	s_barrier
	buffer_gl0_inv
	ds_load_b128 v[78:81], v75
	ds_load_b128 v[82:85], v75 offset:16
	ds_load_b128 v[86:89], v75 offset:1024
	;; [unrolled: 1-line block ×3, first 2 shown]
	v_cmp_eq_u32_e64 s11, 1, v69
	v_cmp_eq_u32_e64 s16, 2, v69
	;; [unrolled: 1-line block ×11, first 2 shown]
	s_waitcnt lgkmcnt(3)
	v_lshrrev_b32_e32 v94, 16, v78
	s_waitcnt lgkmcnt(2)
	v_lshrrev_b32_e32 v98, 16, v82
	;; [unrolled: 2-line block ×4, first 2 shown]
	v_lshrrev_b32_e32 v95, 16, v79
	v_cndmask_b32_e64 v110, v78, v94, s5
	v_cndmask_b32_e64 v111, v82, v98, s5
	;; [unrolled: 1-line block ×8, first 2 shown]
	v_lshrrev_b32_e32 v99, 16, v83
	v_cndmask_b32_e64 v94, v86, v102, s5
	v_cndmask_b32_e64 v98, v90, v106, s5
	;; [unrolled: 1-line block ×15, first 2 shown]
	v_lshrrev_b32_e32 v103, 16, v87
	v_lshrrev_b32_e32 v107, 16, v91
	v_cndmask_b32_e64 v113, v115, v83, s16
	v_cndmask_b32_e64 v82, v94, v87, s6
	;; [unrolled: 1-line block ×7, first 2 shown]
	v_cndmask_b32_e32 v90, v102, v95, vcc_lo
	v_cndmask_b32_e32 v102, v106, v99, vcc_lo
	v_cndmask_b32_e64 v106, v110, v95, s15
	v_cndmask_b32_e64 v110, v111, v99, s15
	;; [unrolled: 1-line block ×4, first 2 shown]
	v_lshrrev_b32_e32 v96, 16, v80
	v_lshrrev_b32_e32 v100, 16, v84
	v_cndmask_b32_e64 v111, v112, v95, s18
	v_cndmask_b32_e64 v112, v113, v99, s18
	v_cndmask_b32_e32 v82, v82, v103, vcc_lo
	v_cndmask_b32_e32 v83, v83, v107, vcc_lo
	v_cndmask_b32_e64 v94, v94, v103, s15
	v_cndmask_b32_e64 v90, v90, v80, s4
	;; [unrolled: 1-line block ×7, first 2 shown]
	v_lshrrev_b32_e32 v104, 16, v88
	v_cndmask_b32_e64 v106, v111, v80, s22
	v_cndmask_b32_e64 v110, v112, v84, s22
	;; [unrolled: 1-line block ×11, first 2 shown]
	v_lshrrev_b32_e32 v97, 16, v81
	v_lshrrev_b32_e32 v101, 16, v85
	v_cndmask_b32_e64 v99, v106, v96, s24
	v_cndmask_b32_e64 v102, v110, v100, s24
	;; [unrolled: 1-line block ×7, first 2 shown]
	v_lshrrev_b32_e32 v105, 16, v89
	v_cndmask_b32_e64 v80, v80, v104, s7
	v_cndmask_b32_e64 v84, v84, v81, s8
	;; [unrolled: 1-line block ×16, first 2 shown]
	v_perm_b32 v81, v79, v78, 0x5040100
	v_perm_b32 v79, v95, v85, 0x5040100
	v_cndmask_b32_e64 v78, v119, v91, s16
	v_cndmask_b32_e64 v85, v117, v91, s13
	;; [unrolled: 1-line block ×3, first 2 shown]
	v_perm_b32 v80, v94, v90, 0x5040100
	v_cndmask_b32_e64 v90, v98, v103, s18
	v_cndmask_b32_e64 v86, v86, v103, s19
	;; [unrolled: 1-line block ×5, first 2 shown]
	v_lshrrev_b32_e32 v108, 16, v92
	v_cndmask_b32_e64 v90, v90, v88, s22
	v_cndmask_b32_e64 v86, v86, v88, s23
	;; [unrolled: 1-line block ×11, first 2 shown]
	v_lshrrev_b32_e32 v109, 16, v93
	v_cndmask_b32_e64 v82, v82, v93, s8
	v_cndmask_b32_e64 v88, v88, v89, s27
	;; [unrolled: 1-line block ×12, first 2 shown]
	v_perm_b32 v78, v84, v83, 0x5040100
	v_perm_b32 v85, v87, v86, 0x5040100
	;; [unrolled: 1-line block ×5, first 2 shown]
	s_mul_i32 s9, s35, 7
	s_mov_b32 s4, exec_lo
	ds_store_b128 v74, v[78:81]
	ds_store_b128 v74, v[82:85] offset:1024
	v_cmpx_gt_u32_e32 7, v0
	s_cbranch_execz .LBB1156_14
; %bb.13:
	s_mul_i32 s5, s9, s34
	s_load_b128 s[16:19], s[0:1], 0x58
	v_add3_u32 v68, s5, s33, v68
	s_delay_alu instid0(VALU_DEP_1) | instskip(NEXT) | instid1(VALU_DEP_1)
	v_mad_u64_u32 v[78:79], null, v68, s36, s[14:15]
	v_ashrrev_i32_e32 v79, 31, v78
	s_delay_alu instid0(VALU_DEP_1) | instskip(SKIP_1) | instid1(VALU_DEP_1)
	v_lshlrev_b64 v[78:79], 2, v[78:79]
	s_waitcnt lgkmcnt(0)
	v_add_co_u32 v80, vcc_lo, s18, v78
	s_delay_alu instid0(VALU_DEP_2)
	v_add_co_ci_u32_e32 v81, vcc_lo, s19, v79, vcc_lo
	v_add_co_u32 v78, vcc_lo, s16, v78
	v_add_co_ci_u32_e32 v79, vcc_lo, s17, v79, vcc_lo
	global_store_b32 v[80:81], v76, off
	global_store_b32 v[78:79], v77, off
.LBB1156_14:
	s_or_b32 exec_lo, exec_lo, s4
	s_waitcnt lgkmcnt(0)
	s_waitcnt_vscnt null, 0x0
	s_barrier
	buffer_gl0_inv
	ds_load_b128 v[84:87], v73
	ds_load_b128 v[88:91], v73 offset:16
	ds_load_b128 v[96:99], v73 offset:2064
	ds_load_b128 v[92:95], v73 offset:2048
	ds_load_b128 v[104:107], v73 offset:4112
	ds_load_b128 v[100:103], v73 offset:4096
	v_cmp_eq_u32_e32 vcc_lo, 1, v70
	v_mov_b32_e32 v76, 0
	ds_load_b128 v[112:115], v73 offset:6160
	ds_load_b128 v[108:111], v73 offset:6144
	;; [unrolled: 1-line block ×4, first 2 shown]
	v_cmp_eq_u32_e64 s5, 1, v69
	v_cmp_eq_u32_e64 s4, 1, v72
	;; [unrolled: 1-line block ×3, first 2 shown]
	v_mov_b32_e32 v77, v76
	v_mov_b32_e32 v78, v76
	;; [unrolled: 1-line block ×7, first 2 shown]
	v_cmp_eq_u32_e64 s7, 3, v72
	v_cmp_eq_u32_e64 s8, 7, v72
	s_waitcnt lgkmcnt(8)
	s_delay_alu instid0(VALU_DEP_3)
	v_wmma_f32_16x16x16_f16 v[76:83], v[49:56], v[84:91], v[76:83]
	ds_load_b128 v[53:56], v73 offset:10256
	ds_load_b128 v[49:52], v73 offset:10240
	s_waitcnt lgkmcnt(8)
	v_wmma_f32_16x16x16_f16 v[76:83], v[41:48], v[92:99], v[76:83]
	ds_load_b128 v[45:48], v73 offset:12304
	ds_load_b128 v[41:44], v73 offset:12288
	s_waitcnt lgkmcnt(8)
	;; [unrolled: 4-line block ×3, first 2 shown]
	s_barrier
	buffer_gl0_inv
	v_wmma_f32_16x16x16_f16 v[76:83], v[1:8], v[108:115], v[76:83]
	s_delay_alu instid0(VALU_DEP_1) | instskip(NEXT) | instid1(VALU_DEP_1)
	v_wmma_f32_16x16x16_f16 v[76:83], v[9:16], v[116:123], v[76:83]
	v_wmma_f32_16x16x16_f16 v[76:83], v[17:24], v[49:56], v[76:83]
	s_delay_alu instid0(VALU_DEP_1) | instskip(NEXT) | instid1(VALU_DEP_1)
	v_wmma_f32_16x16x16_f16 v[76:83], v[25:32], v[41:48], v[76:83]
	v_wmma_f32_16x16x16_f16 v[76:83], v[57:64], v[33:40], v[76:83]
	s_delay_alu instid0(VALU_DEP_1) | instskip(NEXT) | instid1(VALU_DEP_2)
	v_cvt_f16_f32_e32 v1, v76
	v_cvt_f16_f32_e32 v2, v77
	s_delay_alu instid0(VALU_DEP_3) | instskip(NEXT) | instid1(VALU_DEP_4)
	v_cvt_f16_f32_e32 v3, v78
	v_cvt_f16_f32_e32 v4, v79
	;; [unrolled: 1-line block ×6, first 2 shown]
	v_pack_b32_f16 v1, v1, v2
	v_pack_b32_f16 v2, v3, v4
	;; [unrolled: 1-line block ×3, first 2 shown]
	s_delay_alu instid0(VALU_DEP_4)
	v_pack_b32_f16 v4, v7, v8
	ds_store_b128 v74, v[1:4]
	s_waitcnt lgkmcnt(0)
	s_barrier
	buffer_gl0_inv
	ds_load_b128 v[1:4], v75
	ds_load_b128 v[5:8], v75 offset:16
	s_waitcnt lgkmcnt(1)
	v_lshrrev_b32_e32 v9, 16, v1
	s_waitcnt lgkmcnt(0)
	v_lshrrev_b32_e32 v13, 16, v5
	v_lshrrev_b32_e32 v10, 16, v2
	;; [unrolled: 1-line block ×4, first 2 shown]
	v_cndmask_b32_e32 v17, v1, v9, vcc_lo
	v_cndmask_b32_e32 v18, v5, v13, vcc_lo
	v_cndmask_b32_e64 v21, v1, v9, s5
	v_cmp_eq_u32_e32 vcc_lo, 1, v71
	v_cndmask_b32_e64 v22, v5, v13, s5
	v_cmp_eq_u32_e64 s5, 2, v70
	v_cndmask_b32_e64 v19, v1, v9, s4
	v_cndmask_b32_e64 v20, v5, v13, s4
	v_cndmask_b32_e32 v1, v1, v9, vcc_lo
	v_cmp_eq_u32_e64 s4, 2, v71
	v_cndmask_b32_e32 v5, v5, v13, vcc_lo
	v_cndmask_b32_e64 v9, v17, v2, s5
	v_cmp_eq_u32_e32 vcc_lo, 3, v70
	v_cndmask_b32_e64 v13, v18, v6, s5
	v_cmp_eq_u32_e64 s5, 2, v69
	v_cndmask_b32_e64 v17, v19, v2, s6
	v_cndmask_b32_e64 v18, v20, v6, s6
	v_cmp_eq_u32_e64 s6, 3, v69
	v_cndmask_b32_e64 v1, v1, v2, s4
	v_cndmask_b32_e64 v19, v21, v2, s5
	;; [unrolled: 1-line block ×4, first 2 shown]
	v_cndmask_b32_e32 v5, v9, v10, vcc_lo
	v_cndmask_b32_e32 v6, v13, v14, vcc_lo
	v_cmp_eq_u32_e32 vcc_lo, 3, v71
	v_cndmask_b32_e64 v9, v17, v10, s7
	v_cndmask_b32_e64 v13, v18, v14, s7
	;; [unrolled: 1-line block ×3, first 2 shown]
	v_cmp_eq_u32_e64 s5, 4, v70
	v_cndmask_b32_e32 v1, v1, v10, vcc_lo
	v_cndmask_b32_e32 v2, v2, v14, vcc_lo
	v_cmp_eq_u32_e32 vcc_lo, 4, v72
	v_lshrrev_b32_e32 v15, 16, v7
	v_lshrrev_b32_e32 v16, 16, v8
	v_cndmask_b32_e64 v17, v19, v10, s6
	v_cmp_eq_u32_e64 s4, 4, v71
	v_cndmask_b32_e64 v5, v5, v3, s5
	v_cndmask_b32_e64 v6, v6, v7, s5
	v_cndmask_b32_e32 v9, v9, v3, vcc_lo
	v_cmp_eq_u32_e64 s5, 5, v72
	v_cndmask_b32_e32 v10, v13, v7, vcc_lo
	v_cmp_eq_u32_e32 vcc_lo, 4, v69
	v_cmp_eq_u32_e64 s6, 5, v70
	v_cndmask_b32_e64 v2, v2, v7, s4
	v_cndmask_b32_e64 v9, v9, v11, s5
	v_cndmask_b32_e64 v10, v10, v15, s5
	v_cndmask_b32_e32 v13, v17, v3, vcc_lo
	v_cmp_eq_u32_e64 s5, 5, v69
	v_cndmask_b32_e32 v14, v18, v7, vcc_lo
	v_cndmask_b32_e64 v1, v1, v3, s4
	v_cmp_eq_u32_e32 vcc_lo, 5, v71
	v_lshrrev_b32_e32 v12, 16, v4
	v_cndmask_b32_e64 v13, v13, v11, s5
	v_cndmask_b32_e64 v3, v14, v15, s5
	v_cmp_eq_u32_e64 s5, 6, v71
	v_cndmask_b32_e32 v1, v1, v11, vcc_lo
	v_cndmask_b32_e64 v5, v5, v11, s6
	v_cmp_eq_u32_e64 s7, 6, v70
	v_cndmask_b32_e64 v6, v6, v15, s6
	v_cmp_eq_u32_e64 s6, 6, v72
	v_cmp_eq_u32_e64 s4, 6, v69
	v_cndmask_b32_e64 v1, v1, v4, s5
	v_cndmask_b32_e32 v2, v2, v15, vcc_lo
	v_cmp_eq_u32_e32 vcc_lo, 7, v71
	v_cndmask_b32_e64 v5, v5, v4, s7
	v_cndmask_b32_e64 v9, v9, v4, s6
	;; [unrolled: 1-line block ×3, first 2 shown]
	v_cmp_eq_u32_e64 s7, 7, v70
	v_cndmask_b32_e32 v1, v1, v12, vcc_lo
	v_cndmask_b32_e64 v7, v13, v4, s4
	v_cndmask_b32_e64 v3, v3, v8, s4
	;; [unrolled: 1-line block ×3, first 2 shown]
	v_cmp_eq_u32_e64 s4, 7, v69
	v_cndmask_b32_e64 v4, v10, v8, s6
	v_cndmask_b32_e64 v5, v5, v12, s7
	;; [unrolled: 1-line block ×3, first 2 shown]
	v_cndmask_b32_e32 v2, v2, v16, vcc_lo
	v_cndmask_b32_e64 v7, v7, v12, s4
	v_cndmask_b32_e64 v3, v3, v16, s4
	;; [unrolled: 1-line block ×4, first 2 shown]
	v_cmp_gt_u32_e32 vcc_lo, 32, v0
	v_perm_b32 v4, v2, v1, 0x5040100
	v_perm_b32 v3, v3, v7, 0x5040100
	;; [unrolled: 1-line block ×4, first 2 shown]
	s_and_b32 s2, vcc_lo, s2
	ds_store_b128 v74, v[1:4]
	s_waitcnt lgkmcnt(0)
	s_barrier
	buffer_gl0_inv
	s_and_saveexec_b32 s4, s2
	s_cbranch_execz .LBB1156_2
; %bb.15:
	s_load_b64 s[4:5], s[0:1], 0x68
	v_lshlrev_b32_e32 v0, 10, v0
	v_add_nc_u32_e32 v2, s33, v66
	v_lshlrev_b32_e32 v3, 4, v67
	s_lshl_b32 s0, s36, 6
	s_delay_alu instid0(SALU_CYCLE_1) | instskip(NEXT) | instid1(VALU_DEP_2)
	s_mul_i32 s1, s0, s34
	v_mul_lo_u32 v1, v2, s0
	s_delay_alu instid0(VALU_DEP_2)
	v_and_or_b32 v0, 0x3800, v0, v3
	v_add_nc_u32_e32 v3, 2, v2
	s_mul_i32 s6, s1, s9
	v_add_nc_u32_e32 v4, 4, v2
	s_ashr_i32 s7, s6, 31
	v_lshl_or_b32 v11, v66, 6, v0
	s_lshl_b64 s[6:7], s[6:7], 1
	v_mul_lo_u32 v15, v3, s0
	v_mul_lo_u32 v17, v4, s0
	v_ashrrev_i32_e32 v2, 31, v1
	ds_load_b128 v[3:6], v11
	ds_load_b128 v[7:10], v11 offset:128
	ds_load_b128 v[11:14], v11 offset:256
	s_waitcnt lgkmcnt(0)
	s_add_u32 s1, s4, s6
	s_addc_u32 s2, s5, s7
	s_lshl_b32 s4, s14, 6
	v_ashrrev_i32_e32 v16, 31, v15
	s_ashr_i32 s5, s4, 31
	v_lshlrev_b64 v[19:20], 1, v[1:2]
	s_lshl_b64 s[4:5], s[4:5], 1
	v_ashrrev_i32_e32 v18, 31, v17
	s_add_u32 s1, s1, s4
	s_addc_u32 s2, s2, s5
	v_add_co_u32 v1, s1, s1, v65
	s_delay_alu instid0(VALU_DEP_1) | instskip(SKIP_1) | instid1(VALU_DEP_3)
	v_add_co_ci_u32_e64 v2, null, s2, 0, s1
	v_lshlrev_b64 v[15:16], 1, v[15:16]
	v_add_co_u32 v19, vcc_lo, v1, v19
	v_lshlrev_b64 v[17:18], 1, v[17:18]
	s_delay_alu instid0(VALU_DEP_4) | instskip(NEXT) | instid1(VALU_DEP_4)
	v_add_co_ci_u32_e32 v20, vcc_lo, v2, v20, vcc_lo
	v_add_co_u32 v15, vcc_lo, v1, v15
	v_add_co_ci_u32_e32 v16, vcc_lo, v2, v16, vcc_lo
	s_delay_alu instid0(VALU_DEP_4)
	v_add_co_u32 v17, vcc_lo, v1, v17
	v_add_co_ci_u32_e32 v18, vcc_lo, v2, v18, vcc_lo
	s_clause 0x2
	global_store_b128 v[19:20], v[3:6], off
	global_store_b128 v[15:16], v[7:10], off
	;; [unrolled: 1-line block ×3, first 2 shown]
	s_and_b32 exec_lo, exec_lo, s3
	s_cbranch_execz .LBB1156_2
; %bb.16:
	ds_load_b128 v[3:6], v0 offset:384
	s_add_i32 s1, s33, 6
	s_delay_alu instid0(SALU_CYCLE_1) | instskip(NEXT) | instid1(SALU_CYCLE_1)
	s_mul_i32 s0, s1, s0
	s_ashr_i32 s1, s0, 31
	s_delay_alu instid0(SALU_CYCLE_1) | instskip(NEXT) | instid1(SALU_CYCLE_1)
	s_lshl_b64 s[0:1], s[0:1], 1
	v_add_co_u32 v0, vcc_lo, v1, s0
	v_add_co_ci_u32_e32 v1, vcc_lo, s1, v2, vcc_lo
	s_waitcnt lgkmcnt(0)
	global_store_b128 v[0:1], v[3:6], off
	s_nop 0
	s_sendmsg sendmsg(MSG_DEALLOC_VGPRS)
	s_endpgm
	.section	.rodata,"a",@progbits
	.p2align	6, 0x0
	.amdhsa_kernel _Z39paged_attention_ll4mi_QKV_mfma16_kernelIDF16_hLN4vllm18Fp8KVCacheDataTypeE1EhLi32ELi64ELi256ELb1ELi7EL8MFMAType0EEvPKT_PKT0_S8_ifPKiSA_SA_iPKfiiiPfSD_PS3_PT2_iSC_SC_
		.amdhsa_group_segment_fixed_size 17472
		.amdhsa_private_segment_fixed_size 0
		.amdhsa_kernarg_size 400
		.amdhsa_user_sgpr_count 13
		.amdhsa_user_sgpr_dispatch_ptr 0
		.amdhsa_user_sgpr_queue_ptr 0
		.amdhsa_user_sgpr_kernarg_segment_ptr 1
		.amdhsa_user_sgpr_dispatch_id 0
		.amdhsa_user_sgpr_private_segment_size 0
		.amdhsa_wavefront_size32 1
		.amdhsa_uses_dynamic_stack 0
		.amdhsa_enable_private_segment 0
		.amdhsa_system_sgpr_workgroup_id_x 1
		.amdhsa_system_sgpr_workgroup_id_y 1
		.amdhsa_system_sgpr_workgroup_id_z 1
		.amdhsa_system_sgpr_workgroup_info 0
		.amdhsa_system_vgpr_workitem_id 0
		.amdhsa_next_free_vgpr 146
		.amdhsa_next_free_sgpr 37
		.amdhsa_reserve_vcc 1
		.amdhsa_float_round_mode_32 0
		.amdhsa_float_round_mode_16_64 0
		.amdhsa_float_denorm_mode_32 3
		.amdhsa_float_denorm_mode_16_64 3
		.amdhsa_dx10_clamp 1
		.amdhsa_ieee_mode 1
		.amdhsa_fp16_overflow 0
		.amdhsa_workgroup_processor_mode 1
		.amdhsa_memory_ordered 1
		.amdhsa_forward_progress 0
		.amdhsa_shared_vgpr_count 0
		.amdhsa_exception_fp_ieee_invalid_op 0
		.amdhsa_exception_fp_denorm_src 0
		.amdhsa_exception_fp_ieee_div_zero 0
		.amdhsa_exception_fp_ieee_overflow 0
		.amdhsa_exception_fp_ieee_underflow 0
		.amdhsa_exception_fp_ieee_inexact 0
		.amdhsa_exception_int_div_zero 0
	.end_amdhsa_kernel
	.section	.text._Z39paged_attention_ll4mi_QKV_mfma16_kernelIDF16_hLN4vllm18Fp8KVCacheDataTypeE1EhLi32ELi64ELi256ELb1ELi7EL8MFMAType0EEvPKT_PKT0_S8_ifPKiSA_SA_iPKfiiiPfSD_PS3_PT2_iSC_SC_,"axG",@progbits,_Z39paged_attention_ll4mi_QKV_mfma16_kernelIDF16_hLN4vllm18Fp8KVCacheDataTypeE1EhLi32ELi64ELi256ELb1ELi7EL8MFMAType0EEvPKT_PKT0_S8_ifPKiSA_SA_iPKfiiiPfSD_PS3_PT2_iSC_SC_,comdat
.Lfunc_end1156:
	.size	_Z39paged_attention_ll4mi_QKV_mfma16_kernelIDF16_hLN4vllm18Fp8KVCacheDataTypeE1EhLi32ELi64ELi256ELb1ELi7EL8MFMAType0EEvPKT_PKT0_S8_ifPKiSA_SA_iPKfiiiPfSD_PS3_PT2_iSC_SC_, .Lfunc_end1156-_Z39paged_attention_ll4mi_QKV_mfma16_kernelIDF16_hLN4vllm18Fp8KVCacheDataTypeE1EhLi32ELi64ELi256ELb1ELi7EL8MFMAType0EEvPKT_PKT0_S8_ifPKiSA_SA_iPKfiiiPfSD_PS3_PT2_iSC_SC_
                                        ; -- End function
	.section	.AMDGPU.csdata,"",@progbits
; Kernel info:
; codeLenInByte = 6524
; NumSgprs: 39
; NumVgprs: 146
; ScratchSize: 0
; MemoryBound: 0
; FloatMode: 240
; IeeeMode: 1
; LDSByteSize: 17472 bytes/workgroup (compile time only)
; SGPRBlocks: 4
; VGPRBlocks: 18
; NumSGPRsForWavesPerEU: 39
; NumVGPRsForWavesPerEU: 146
; Occupancy: 9
; WaveLimiterHint : 1
; COMPUTE_PGM_RSRC2:SCRATCH_EN: 0
; COMPUTE_PGM_RSRC2:USER_SGPR: 13
; COMPUTE_PGM_RSRC2:TRAP_HANDLER: 0
; COMPUTE_PGM_RSRC2:TGID_X_EN: 1
; COMPUTE_PGM_RSRC2:TGID_Y_EN: 1
; COMPUTE_PGM_RSRC2:TGID_Z_EN: 1
; COMPUTE_PGM_RSRC2:TIDIG_COMP_CNT: 0
	.section	.text._Z39paged_attention_ll4mi_QKV_mfma16_kernelIDF16_hLN4vllm18Fp8KVCacheDataTypeE1EhLi32ELi64ELi256ELb1ELi8EL8MFMAType0EEvPKT_PKT0_S8_ifPKiSA_SA_iPKfiiiPfSD_PS3_PT2_iSC_SC_,"axG",@progbits,_Z39paged_attention_ll4mi_QKV_mfma16_kernelIDF16_hLN4vllm18Fp8KVCacheDataTypeE1EhLi32ELi64ELi256ELb1ELi8EL8MFMAType0EEvPKT_PKT0_S8_ifPKiSA_SA_iPKfiiiPfSD_PS3_PT2_iSC_SC_,comdat
	.protected	_Z39paged_attention_ll4mi_QKV_mfma16_kernelIDF16_hLN4vllm18Fp8KVCacheDataTypeE1EhLi32ELi64ELi256ELb1ELi8EL8MFMAType0EEvPKT_PKT0_S8_ifPKiSA_SA_iPKfiiiPfSD_PS3_PT2_iSC_SC_ ; -- Begin function _Z39paged_attention_ll4mi_QKV_mfma16_kernelIDF16_hLN4vllm18Fp8KVCacheDataTypeE1EhLi32ELi64ELi256ELb1ELi8EL8MFMAType0EEvPKT_PKT0_S8_ifPKiSA_SA_iPKfiiiPfSD_PS3_PT2_iSC_SC_
	.globl	_Z39paged_attention_ll4mi_QKV_mfma16_kernelIDF16_hLN4vllm18Fp8KVCacheDataTypeE1EhLi32ELi64ELi256ELb1ELi8EL8MFMAType0EEvPKT_PKT0_S8_ifPKiSA_SA_iPKfiiiPfSD_PS3_PT2_iSC_SC_
	.p2align	8
	.type	_Z39paged_attention_ll4mi_QKV_mfma16_kernelIDF16_hLN4vllm18Fp8KVCacheDataTypeE1EhLi32ELi64ELi256ELb1ELi8EL8MFMAType0EEvPKT_PKT0_S8_ifPKiSA_SA_iPKfiiiPfSD_PS3_PT2_iSC_SC_,@function
_Z39paged_attention_ll4mi_QKV_mfma16_kernelIDF16_hLN4vllm18Fp8KVCacheDataTypeE1EhLi32ELi64ELi256ELb1ELi8EL8MFMAType0EEvPKT_PKT0_S8_ifPKiSA_SA_iPKfiiiPfSD_PS3_PT2_iSC_SC_: ; @_Z39paged_attention_ll4mi_QKV_mfma16_kernelIDF16_hLN4vllm18Fp8KVCacheDataTypeE1EhLi32ELi64ELi256ELb1ELi8EL8MFMAType0EEvPKT_PKT0_S8_ifPKiSA_SA_iPKfiiiPfSD_PS3_PT2_iSC_SC_
; %bb.0:
	s_load_b64 s[2:3], s[0:1], 0x30
	s_mov_b32 s34, s13
	s_waitcnt lgkmcnt(0)
	s_cmp_lg_u64 s[2:3], 0
	s_cselect_b32 s8, -1, 0
	s_ashr_i32 s35, s13, 31
	s_cmp_eq_u64 s[2:3], 0
	s_cbranch_scc1 .LBB1157_3
; %bb.1:
	s_lshl_b64 s[4:5], s[34:35], 2
	s_delay_alu instid0(SALU_CYCLE_1) | instskip(SKIP_4) | instid1(SALU_CYCLE_1)
	s_add_u32 s4, s2, s4
	s_addc_u32 s5, s3, s5
	s_load_b64 s[4:5], s[4:5], 0x0
	s_waitcnt lgkmcnt(0)
	s_sub_i32 s4, s5, s4
	s_cmp_eq_u32 s4, 1
	s_cselect_b32 s4, -1, 0
	s_delay_alu instid0(SALU_CYCLE_1)
	s_and_not1_b32 vcc_lo, exec_lo, s4
	s_cbranch_vccz .LBB1157_4
.LBB1157_2:
	s_endpgm
.LBB1157_3:
.LBB1157_4:
	s_load_b64 s[4:5], s[0:1], 0x28
	s_lshl_b64 s[6:7], s[34:35], 2
	s_waitcnt lgkmcnt(0)
	s_add_u32 s4, s4, s6
	s_addc_u32 s5, s5, s7
	s_lshl_b32 s12, s14, 8
	s_load_b32 s24, s[4:5], 0x0
	s_waitcnt lgkmcnt(0)
	s_cmp_ge_i32 s12, s24
	s_cbranch_scc1 .LBB1157_2
; %bb.5:
	s_clause 0x1
	s_load_b128 s[20:23], s[0:1], 0x8
	s_load_b64 s[4:5], s[0:1], 0x20
	s_and_not1_b32 vcc_lo, exec_lo, s8
	s_cbranch_vccnz .LBB1157_7
; %bb.6:
	s_add_u32 s2, s2, s6
	s_addc_u32 s3, s3, s7
	s_load_b32 s3, s[2:3], 0x0
	s_branch .LBB1157_8
.LBB1157_7:
	s_mov_b32 s3, s34
.LBB1157_8:
	s_load_b128 s[16:19], s[0:1], 0x48
	v_and_b32_e32 v69, 15, v0
	v_cmp_gt_u32_e32 vcc_lo, 0x80, v0
	v_lshrrev_b32_e32 v68, 5, v0
	v_and_b32_e32 v70, 31, v0
	v_and_b32_e32 v66, 1, v0
	v_lshlrev_b32_e32 v1, 3, v69
	v_cmp_gt_u32_e64 s2, 8, v69
	v_bfe_u32 v67, v0, 4, 1
	s_lshl_b32 s31, s15, 3
	s_delay_alu instid0(VALU_DEP_3) | instskip(NEXT) | instid1(VALU_DEP_3)
	v_lshlrev_b32_e32 v65, 1, v1
	s_and_b32 s7, vcc_lo, s2
	s_delay_alu instid0(SALU_CYCLE_1)
	s_and_saveexec_b32 s6, s7
	s_cbranch_execz .LBB1157_10
; %bb.9:
	v_lshl_or_b32 v5, v68, 1, v67
	s_load_b64 s[8:9], s[0:1], 0x0
	s_waitcnt lgkmcnt(0)
	s_mul_hi_i32 s11, s3, s16
	s_mul_i32 s10, s3, s16
	v_lshlrev_b32_e32 v6, 10, v69
	v_or_b32_e32 v1, s31, v5
	s_lshl_b64 s[10:11], s[10:11], 1
	v_lshlrev_b32_e32 v5, 6, v5
	v_lshlrev_b32_e32 v7, 10, v66
	v_and_b32_e32 v6, 0x3800, v6
	v_lshlrev_b32_e32 v1, 6, v1
	s_delay_alu instid0(VALU_DEP_2) | instskip(NEXT) | instid1(VALU_DEP_2)
	v_or3_b32 v5, v6, v7, v5
	v_ashrrev_i32_e32 v2, 31, v1
	s_delay_alu instid0(VALU_DEP_1) | instskip(SKIP_2) | instid1(VALU_DEP_1)
	v_lshlrev_b64 v[1:2], 1, v[1:2]
	s_add_u32 s3, s8, s10
	s_addc_u32 s7, s9, s11
	v_add_co_u32 v1, vcc_lo, s3, v1
	s_delay_alu instid0(VALU_DEP_2) | instskip(NEXT) | instid1(VALU_DEP_2)
	v_add_co_ci_u32_e32 v2, vcc_lo, s7, v2, vcc_lo
	v_add_co_u32 v1, vcc_lo, v1, v65
	s_delay_alu instid0(VALU_DEP_2)
	v_add_co_ci_u32_e32 v2, vcc_lo, 0, v2, vcc_lo
	global_load_b128 v[1:4], v[1:2], off
	s_waitcnt vmcnt(0)
	ds_store_b128 v5, v[1:4]
.LBB1157_10:
	s_or_b32 exec_lo, exec_lo, s6
	v_and_b32_e32 v1, 0xef, v0
	s_waitcnt lgkmcnt(0)
	s_add_i32 s3, s24, 31
	s_clause 0x1
	s_load_b32 s6, s[0:1], 0x38
	s_load_b32 s33, s[0:1], 0x98
	s_ashr_i32 s7, s3, 31
	v_add_nc_u32_e32 v1, s12, v1
	s_lshr_b32 s7, s7, 27
	s_load_b32 s19, s[0:1], 0x1c
	s_add_i32 s3, s3, s7
	s_waitcnt lgkmcnt(0)
	v_ashrrev_i32_e32 v2, 31, v1
	v_or_b32_e32 v3, 16, v1
	s_ashr_i32 s3, s3, 5
	v_cmp_gt_i32_e32 vcc_lo, s24, v1
	s_add_i32 s3, s3, -1
	v_lshrrev_b32_e32 v2, 27, v2
	s_barrier
	buffer_gl0_inv
	s_mul_i32 s27, s15, s18
	v_add_nc_u32_e32 v4, v1, v2
	s_mul_i32 s6, s34, s6
	s_delay_alu instid0(SALU_CYCLE_1) | instskip(NEXT) | instid1(VALU_DEP_1)
	s_ashr_i32 s7, s6, 31
	v_ashrrev_i32_e32 v4, 5, v4
	v_add_nc_u32_e32 v2, v3, v2
	s_lshl_b64 s[6:7], s[6:7], 2
	s_delay_alu instid0(SALU_CYCLE_1) | instskip(NEXT) | instid1(VALU_DEP_2)
	s_add_u32 s26, s4, s6
	v_cndmask_b32_e32 v1, s3, v4, vcc_lo
	s_delay_alu instid0(VALU_DEP_2)
	v_ashrrev_i32_e32 v2, 5, v2
	v_cmp_gt_i32_e32 vcc_lo, s24, v3
	s_addc_u32 s25, s5, s7
	s_ashr_i32 s28, s27, 31
	s_add_u32 s4, s20, s27
	s_addc_u32 s5, s21, s28
	v_cndmask_b32_e32 v3, s3, v2, vcc_lo
	v_ashrrev_i32_e32 v2, 31, v1
	s_lshl_b32 s6, s14, 3
	s_delay_alu instid0(SALU_CYCLE_1) | instskip(NEXT) | instid1(VALU_DEP_2)
	s_ashr_i32 s7, s6, 31
	v_ashrrev_i32_e32 v4, 31, v3
	s_delay_alu instid0(VALU_DEP_2) | instskip(SKIP_1) | instid1(SALU_CYCLE_1)
	v_lshlrev_b64 v[1:2], 2, v[1:2]
	s_lshl_b64 s[6:7], s[6:7], 2
	s_add_u32 s6, s26, s6
	s_delay_alu instid0(VALU_DEP_2) | instskip(SKIP_1) | instid1(VALU_DEP_2)
	v_lshlrev_b64 v[3:4], 2, v[3:4]
	s_addc_u32 s7, s25, s7
	v_add_co_u32 v1, vcc_lo, s26, v1
	v_add_co_ci_u32_e32 v2, vcc_lo, s25, v2, vcc_lo
	s_delay_alu instid0(VALU_DEP_3) | instskip(NEXT) | instid1(VALU_DEP_4)
	v_add_co_u32 v3, vcc_lo, s26, v3
	v_add_co_ci_u32_e32 v4, vcc_lo, s25, v4, vcc_lo
	s_clause 0x1
	global_load_b32 v5, v[1:2], off
	global_load_b32 v6, v[3:4], off
	s_or_b32 s8, s12, 32
	s_delay_alu instid0(SALU_CYCLE_1) | instskip(SKIP_2) | instid1(SALU_CYCLE_1)
	s_ashr_i32 s9, s8, 5
	s_cmp_lt_i32 s8, s24
	s_cselect_b32 s8, s9, s3
	s_ashr_i32 s9, s8, 31
	s_delay_alu instid0(SALU_CYCLE_1) | instskip(NEXT) | instid1(SALU_CYCLE_1)
	s_lshl_b64 s[8:9], s[8:9], 2
	s_add_u32 s8, s26, s8
	s_addc_u32 s9, s25, s9
	s_or_b32 s10, s12, 64
	s_delay_alu instid0(SALU_CYCLE_1) | instskip(SKIP_2) | instid1(SALU_CYCLE_1)
	s_ashr_i32 s11, s10, 5
	s_cmp_lt_i32 s10, s24
	s_cselect_b32 s10, s11, s3
	s_ashr_i32 s11, s10, 31
	s_delay_alu instid0(SALU_CYCLE_1) | instskip(NEXT) | instid1(SALU_CYCLE_1)
	s_lshl_b64 s[10:11], s[10:11], 2
	s_add_u32 s10, s26, s10
	s_addc_u32 s11, s25, s11
	;; [unrolled: 10-line block ×5, first 2 shown]
	s_clause 0x5
	s_load_b32 s21, s[6:7], 0x0
	s_load_b32 s13, s[8:9], 0x0
	;; [unrolled: 1-line block ×6, first 2 shown]
	s_or_b32 s7, s12, 0xc0
	s_delay_alu instid0(SALU_CYCLE_1) | instskip(SKIP_2) | instid1(SALU_CYCLE_1)
	s_ashr_i32 s8, s7, 5
	s_cmp_lt_i32 s7, s24
	s_cselect_b32 s10, s8, s3
	s_ashr_i32 s11, s10, 31
	s_delay_alu instid0(SALU_CYCLE_1) | instskip(NEXT) | instid1(SALU_CYCLE_1)
	s_lshl_b64 s[36:37], s[10:11], 2
	s_add_u32 s36, s26, s36
	s_addc_u32 s37, s25, s37
	s_or_b32 s29, s12, 0xe0
	s_delay_alu instid0(SALU_CYCLE_1)
	s_ashr_i32 s30, s29, 5
	s_cmp_lt_i32 s29, s24
	s_waitcnt vmcnt(1)
	v_mad_i64_i32 v[1:2], null, v5, s17, s[4:5]
	s_waitcnt vmcnt(0)
	v_mad_i64_i32 v[3:4], null, v6, s17, s[4:5]
	s_mov_b32 s4, 0
	s_delay_alu instid0(SALU_CYCLE_1)
	s_mov_b32 s5, s4
	s_mov_b32 s6, s4
	;; [unrolled: 1-line block ×7, first 2 shown]
	s_delay_alu instid0(SALU_CYCLE_1) | instskip(SKIP_2) | instid1(VALU_DEP_3)
	v_dual_mov_b32 v102, s11 :: v_dual_lshlrev_b32 v5, 4, v69
	v_dual_mov_b32 v98, s7 :: v_dual_mov_b32 v101, s10
	v_mov_b32_e32 v100, s9
	v_add_co_u32 v1, vcc_lo, v1, v5
	v_add_co_ci_u32_e32 v2, vcc_lo, 0, v2, vcc_lo
	v_add_co_u32 v3, vcc_lo, v3, v5
	v_add_co_ci_u32_e32 v4, vcc_lo, 0, v4, vcc_lo
	s_clause 0x7
	global_load_b128 v[57:60], v[1:2], off
	global_load_b128 v[61:64], v[1:2], off offset:512
	global_load_b128 v[71:74], v[3:4], off offset:256
	;; [unrolled: 1-line block ×7, first 2 shown]
	v_dual_mov_b32 v96, s5 :: v_dual_and_b32 v1, 7, v0
	v_mov_b32_e32 v99, s8
	v_mov_b32_e32 v97, s6
	v_mov_b32_e32 v95, s4
	s_cselect_b32 s4, s30, s3
	v_lshlrev_b32_e32 v2, 5, v69
	s_ashr_i32 s5, s4, 31
	v_lshlrev_b32_e32 v121, 6, v1
	s_lshl_b64 s[4:5], s[4:5], 2
	s_load_b32 s3, s[36:37], 0x0
	s_add_u32 s4, s26, s4
	s_addc_u32 s5, s25, s5
	v_lshl_or_b32 v1, v68, 9, v2
	ds_load_b128 v[103:106], v121
	ds_load_b128 v[107:110], v121 offset:1024
	s_load_b32 s4, s[4:5], 0x0
	s_add_u32 s6, s22, s27
	s_addc_u32 s7, s23, s28
	v_add_co_u32 v17, s6, s6, v1
	s_delay_alu instid0(VALU_DEP_1) | instskip(SKIP_1) | instid1(VALU_DEP_1)
	v_add_co_ci_u32_e64 v18, null, s7, 0, s6
	s_waitcnt lgkmcnt(0)
	v_mad_i64_i32 v[1:2], null, s21, s17, v[17:18]
	v_mad_i64_i32 v[3:4], null, s13, s17, v[17:18]
	;; [unrolled: 1-line block ×7, first 2 shown]
	s_clause 0x9
	global_load_b128 v[49:52], v[1:2], off
	global_load_b128 v[53:56], v[1:2], off offset:16
	global_load_b128 v[41:44], v[3:4], off
	global_load_b128 v[45:48], v[3:4], off offset:16
	;; [unrolled: 2-line block ×5, first 2 shown]
	v_mad_i64_i32 v[119:120], null, s4, s17, v[17:18]
	s_clause 0x3
	global_load_b128 v[17:20], v[21:22], off
	global_load_b128 v[21:24], v[21:22], off offset:16
	global_load_b128 v[25:28], v[29:30], off
	global_load_b128 v[29:32], v[29:30], off offset:16
	s_waitcnt vmcnt(20)
	v_wmma_f32_16x16x16_f16 v[111:118], v[57:64], v[103:110], v[95:102]
	s_clause 0x1
	global_load_b128 v[57:60], v[119:120], off
	global_load_b128 v[61:64], v[119:120], off offset:16
	s_waitcnt vmcnt(20)
	v_wmma_f32_16x16x16_f16 v[95:102], v[71:78], v[103:110], v[95:102]
	ds_load_b128 v[71:74], v121 offset:2048
	ds_load_b128 v[75:78], v121 offset:3072
	v_mbcnt_lo_u32_b32 v104, -1, 0
	s_waitcnt vmcnt(0) lgkmcnt(0)
	s_barrier
	buffer_gl0_inv
	v_xor_b32_e32 v105, 16, v104
	s_delay_alu instid0(VALU_DEP_1) | instskip(SKIP_4) | instid1(VALU_DEP_2)
	v_cmp_gt_i32_e32 vcc_lo, 32, v105
	v_cndmask_b32_e32 v104, v104, v105, vcc_lo
	v_wmma_f32_16x16x16_f16 v[111:118], v[79:86], v[71:78], v[111:118]
	v_and_b32_e32 v103, 0xe0, v0
	v_wmma_f32_16x16x16_f16 v[95:102], v[87:94], v[71:78], v[95:102]
	v_dual_mul_f32 v78, s19, v113 :: v_dual_add_nc_u32 v103, s12, v103
	s_delay_alu instid0(VALU_DEP_2) | instskip(SKIP_1) | instid1(VALU_DEP_3)
	v_dual_mul_f32 v90, s19, v101 :: v_dual_mul_f32 v87, s19, v112
	v_dual_mul_f32 v88, s19, v111 :: v_dual_mul_f32 v77, s19, v114
	v_or_b32_e32 v103, v103, v67
	v_dual_mul_f32 v75, s19, v116 :: v_dual_mul_f32 v94, s19, v97
	v_dual_mul_f32 v76, s19, v115 :: v_dual_mul_f32 v73, s19, v118
	v_mul_f32_e32 v92, s19, v99
	s_delay_alu instid0(VALU_DEP_4)
	v_or_b32_e32 v105, 2, v103
	v_or_b32_e32 v106, 4, v103
	;; [unrolled: 1-line block ×3, first 2 shown]
	v_cmp_gt_i32_e64 s3, s24, v103
	v_or_b32_e32 v108, 8, v103
	v_cmp_gt_i32_e32 vcc_lo, s24, v105
	v_or_b32_e32 v109, 10, v103
	v_cmp_gt_i32_e64 s4, s24, v106
	v_cndmask_b32_e64 v88, 0xff7fffff, v88, s3
	v_cmp_gt_i32_e64 s5, s24, v107
	v_cndmask_b32_e32 v87, 0xff7fffff, v87, vcc_lo
	v_or_b32_e32 v79, 12, v103
	v_or_b32_e32 v80, 14, v103
	v_cndmask_b32_e64 v78, 0xff7fffff, v78, s4
	v_cndmask_b32_e64 v77, 0xff7fffff, v77, s5
	v_max3_f32 v87, v88, 0xff7fffff, v87
	v_cmp_gt_i32_e64 s6, s24, v108
	v_cmp_gt_i32_e64 s7, s24, v109
	v_or_b32_e32 v81, 16, v103
	v_or_b32_e32 v82, 18, v103
	v_mul_f32_e32 v74, s19, v117
	v_cndmask_b32_e64 v76, 0xff7fffff, v76, s6
	v_cndmask_b32_e64 v75, 0xff7fffff, v75, s7
	v_max3_f32 v77, v87, v78, v77
	v_cmp_gt_i32_e64 s8, s24, v79
	v_cmp_gt_i32_e64 s9, s24, v80
	v_or_b32_e32 v83, 20, v103
	v_or_b32_e32 v84, 22, v103
	;; [unrolled: 1-line block ×6, first 2 shown]
	v_mul_f32_e32 v105, s19, v96
	v_mul_f32_e32 v103, s19, v95
	v_cndmask_b32_e64 v74, 0xff7fffff, v74, s8
	v_cndmask_b32_e64 v73, 0xff7fffff, v73, s9
	v_max3_f32 v75, v77, v76, v75
	v_cmp_gt_i32_e64 s10, s24, v81
	v_cmp_gt_i32_e64 s11, s24, v82
	v_mul_f32_e32 v93, s19, v98
	v_cmp_gt_i32_e64 s12, s24, v83
	v_max3_f32 v73, v75, v74, v73
	v_cndmask_b32_e64 v76, 0xff7fffff, v103, s10
	v_cndmask_b32_e64 v77, 0xff7fffff, v105, s11
	v_cmp_gt_i32_e64 s13, s24, v84
	v_mul_f32_e32 v91, s19, v100
	v_cndmask_b32_e64 v74, 0xff7fffff, v94, s12
	v_cmp_gt_i32_e64 s15, s24, v85
	v_max3_f32 v73, v73, v76, v77
	v_cndmask_b32_e64 v75, 0xff7fffff, v93, s13
	v_cmp_gt_i32_e64 s16, s24, v86
	v_mul_f32_e32 v89, s19, v102
	v_cndmask_b32_e64 v76, 0xff7fffff, v92, s15
	v_cmp_gt_i32_e64 s17, s24, v71
	v_max3_f32 v73, v73, v74, v75
	v_cndmask_b32_e64 v77, 0xff7fffff, v91, s16
	v_cmp_gt_i32_e64 s18, s24, v72
	v_lshlrev_b32_e32 v74, 2, v104
	v_cndmask_b32_e64 v71, 0xff7fffff, v90, s17
	s_delay_alu instid0(VALU_DEP_4) | instskip(NEXT) | instid1(VALU_DEP_4)
	v_max3_f32 v73, v73, v76, v77
	v_cndmask_b32_e64 v72, 0xff7fffff, v89, s18
	s_delay_alu instid0(VALU_DEP_1) | instskip(SKIP_3) | instid1(VALU_DEP_1)
	v_max3_f32 v71, v73, v71, v72
	ds_bpermute_b32 v72, v74, v71
	s_waitcnt lgkmcnt(0)
	v_max_f32_e32 v72, v72, v72
	v_max_f32_e32 v71, v71, v72
	s_delay_alu instid0(VALU_DEP_1)
	v_fma_f32 v72, s19, v111, -v71
	v_fma_f32 v76, s19, v114, -v71
	v_fma_f32 v73, s19, v112, -v71
	v_fma_f32 v77, s19, v115, -v71
	v_fma_f32 v84, s19, v96, -v71
	v_mul_f32_e32 v72, 0x3fb8aa3b, v72
	v_mul_f32_e32 v76, 0x3fb8aa3b, v76
	v_fma_f32 v75, s19, v113, -v71
	v_mul_f32_e32 v79, 0x3fb8aa3b, v77
	v_mul_f32_e32 v85, 0x3fb8aa3b, v84
	v_exp_f32_e32 v72, v72
	v_exp_f32_e32 v76, v76
	v_fma_f32 v86, s19, v98, -v71
	v_exp_f32_e32 v82, v79
	v_exp_f32_e32 v85, v85
	v_fma_f32 v81, s19, v117, -v71
	s_delay_alu instid0(VALU_DEP_2) | instskip(SKIP_3) | instid1(TRANS32_DEP_3)
	v_mul_f32_e32 v87, 0x3fb8aa3b, v86
	v_cndmask_b32_e64 v78, 0, v72, s3
	v_fma_f32 v72, s19, v116, -v71
	v_mul_f32_e32 v73, 0x3fb8aa3b, v73
	v_cndmask_b32_e64 v79, 0, v76, s5
	v_fma_f32 v76, s19, v95, -v71
	s_delay_alu instid0(VALU_DEP_4) | instskip(NEXT) | instid1(VALU_DEP_4)
	v_dual_mul_f32 v75, 0x3fb8aa3b, v75 :: v_dual_mul_f32 v72, 0x3fb8aa3b, v72
	v_exp_f32_e32 v73, v73
	v_exp_f32_e32 v87, v87
	s_delay_alu instid0(VALU_DEP_2) | instskip(NEXT) | instid1(VALU_DEP_2)
	v_mul_f32_e32 v76, 0x3fb8aa3b, v76
	v_exp_f32_e32 v75, v75
	v_cndmask_b32_e64 v85, 0, v85, s11
	v_mul_f32_e32 v81, 0x3fb8aa3b, v81
	v_exp_f32_e32 v72, v72
	v_cndmask_b32_e64 v82, 0, v82, s6
	v_exp_f32_e32 v76, v76
	s_mov_b32 s3, exec_lo
	v_cndmask_b32_e32 v77, 0, v73, vcc_lo
	v_add_f32_e32 v73, 0, v78
	v_cndmask_b32_e64 v87, 0, v87, s13
	v_cndmask_b32_e64 v80, 0, v75, s4
	v_fma_f32 v75, s19, v118, -v71
	v_exp_f32_e32 v83, v81
	v_add_f32_e32 v73, v73, v77
	v_cndmask_b32_e64 v81, 0, v72, s7
	v_cndmask_b32_e64 v86, 0, v76, s10
	v_mul_f32_e32 v75, 0x3fb8aa3b, v75
	s_delay_alu instid0(VALU_DEP_4) | instskip(NEXT) | instid1(VALU_DEP_2)
	v_add_f32_e32 v73, v73, v80
	v_exp_f32_e32 v75, v75
	s_delay_alu instid0(TRANS32_DEP_2) | instskip(NEXT) | instid1(VALU_DEP_2)
	v_cndmask_b32_e64 v84, 0, v83, s8
	v_add_f32_e32 v73, v73, v79
	s_delay_alu instid0(VALU_DEP_1) | instskip(SKIP_3) | instid1(VALU_DEP_1)
	v_add_f32_e32 v72, v73, v82
	s_waitcnt_depctr 0xfff
	v_cndmask_b32_e64 v83, 0, v75, s9
	v_add_f32_e32 v72, v72, v81
	v_add_f32_e32 v72, v72, v84
	s_delay_alu instid0(VALU_DEP_1) | instskip(NEXT) | instid1(VALU_DEP_1)
	v_add_f32_e32 v72, v72, v83
	v_add_f32_e32 v72, v72, v86
	v_fma_f32 v73, s19, v97, -v71
	v_fma_f32 v75, s19, v99, -v71
	;; [unrolled: 1-line block ×4, first 2 shown]
	v_add_f32_e32 v72, v72, v85
	v_mul_f32_e32 v73, 0x3fb8aa3b, v73
	s_delay_alu instid0(VALU_DEP_4) | instskip(NEXT) | instid1(VALU_DEP_2)
	v_dual_mul_f32 v75, 0x3fb8aa3b, v75 :: v_dual_mul_f32 v76, 0x3fb8aa3b, v76
	v_exp_f32_e32 v73, v73
	s_delay_alu instid0(VALU_DEP_1) | instskip(NEXT) | instid1(VALU_DEP_1)
	v_exp_f32_e32 v75, v75
	v_exp_f32_e32 v76, v76
	s_delay_alu instid0(TRANS32_DEP_3)
	v_cndmask_b32_e64 v88, 0, v73, s12
	v_mul_f32_e32 v73, 0x3fb8aa3b, v89
	v_fma_f32 v89, s19, v102, -v71
	s_waitcnt_depctr 0xfff
	v_cndmask_b32_e64 v90, 0, v75, s15
	v_add_f32_e32 v72, v72, v88
	v_exp_f32_e32 v73, v73
	v_mul_f32_e32 v75, 0x3fb8aa3b, v89
	v_cndmask_b32_e64 v89, 0, v76, s16
	s_delay_alu instid0(VALU_DEP_3) | instskip(NEXT) | instid1(VALU_DEP_3)
	v_add_f32_e32 v72, v72, v87
	v_exp_f32_e32 v75, v75
	s_delay_alu instid0(VALU_DEP_1) | instskip(SKIP_4) | instid1(VALU_DEP_2)
	v_add_f32_e32 v72, v72, v90
	s_waitcnt_depctr 0xfff
	v_cndmask_b32_e64 v92, 0, v73, s17
	v_add_f32_e32 v72, v72, v89
	v_cndmask_b32_e64 v91, 0, v75, s18
	v_add_f32_e32 v72, v72, v92
	s_delay_alu instid0(VALU_DEP_1)
	v_add_f32_e32 v72, v72, v91
	ds_bpermute_b32 v73, v74, v72
	v_cmpx_gt_u32_e32 16, v70
	s_cbranch_execz .LBB1157_12
; %bb.11:
	v_mul_u32_u24_e32 v70, 0x44, v68
	s_waitcnt lgkmcnt(0)
	v_add_f32_e32 v72, v72, v73
	s_delay_alu instid0(VALU_DEP_2) | instskip(NEXT) | instid1(VALU_DEP_1)
	v_lshl_add_u32 v70, v69, 2, v70
	v_add_nc_u32_e32 v70, 0x4000, v70
	ds_store_2addr_b32 v70, v71, v72 offset1:136
.LBB1157_12:
	s_or_b32 exec_lo, exec_lo, s3
	v_lshlrev_b32_e32 v70, 2, v69
	s_load_b32 s35, s[0:1], 0x94
	s_waitcnt lgkmcnt(0)
	s_barrier
	buffer_gl0_inv
	v_add_nc_u32_e32 v74, 0x4000, v70
	v_cmp_eq_u32_e32 vcc_lo, 1, v68
	v_cmp_eq_u32_e64 s3, 2, v68
	v_cmp_eq_u32_e64 s4, 3, v68
	;; [unrolled: 1-line block ×3, first 2 shown]
	ds_load_2addr_b32 v[70:71], v74 offset1:17
	ds_load_2addr_b32 v[72:73], v74 offset0:34 offset1:51
	ds_load_2addr_b32 v[93:94], v74 offset0:68 offset1:85
	;; [unrolled: 1-line block ×3, first 2 shown]
	v_cmp_eq_u32_e64 s6, 5, v68
	v_cmp_eq_u32_e64 s7, 7, v68
	s_waitcnt lgkmcnt(3)
	v_max3_f32 v75, v70, 0xff7fffff, v71
	s_waitcnt lgkmcnt(2)
	s_delay_alu instid0(VALU_DEP_1) | instskip(SKIP_1) | instid1(VALU_DEP_1)
	v_max3_f32 v75, v75, v72, v73
	s_waitcnt lgkmcnt(1)
	v_max3_f32 v75, v75, v93, v94
	s_waitcnt lgkmcnt(0)
	s_delay_alu instid0(VALU_DEP_1) | instskip(NEXT) | instid1(VALU_DEP_1)
	v_max3_f32 v75, v75, v95, v96
	v_sub_f32_e32 v93, v93, v75
	ds_load_2addr_b32 v[97:98], v74 offset0:136 offset1:153
	v_sub_f32_e32 v70, v70, v75
	v_dual_sub_f32 v100, v73, v75 :: v_dual_mul_f32 v103, 0x3fb8aa3b, v93
	s_delay_alu instid0(VALU_DEP_2) | instskip(SKIP_3) | instid1(VALU_DEP_1)
	v_dual_sub_f32 v76, v71, v75 :: v_dual_mul_f32 v99, 0x3fb8aa3b, v70
	ds_load_2addr_b32 v[70:71], v74 offset0:170 offset1:187
	v_mul_f32_e32 v76, 0x3fb8aa3b, v76
	v_exp_f32_e32 v99, v99
	v_exp_f32_e32 v102, v76
	v_mul_f32_e32 v100, 0x3fb8aa3b, v100
	s_waitcnt lgkmcnt(1)
	s_waitcnt_depctr 0xfff
	v_fma_f32 v76, v99, v97, 0
	v_sub_f32_e32 v97, v94, v75
	v_sub_f32_e32 v72, v72, v75
	v_exp_f32_e32 v100, v100
	ds_load_2addr_b32 v[93:94], v74 offset0:238 offset1:255
	v_dual_fmac_f32 v76, v102, v98 :: v_dual_mul_f32 v101, 0x3fb8aa3b, v72
	ds_load_2addr_b32 v[72:73], v74 offset0:204 offset1:221
	v_dual_sub_f32 v74, v95, v75 :: v_dual_mul_f32 v95, 0x3fb8aa3b, v97
	v_exp_f32_e32 v97, v103
	v_exp_f32_e32 v101, v101
	s_waitcnt lgkmcnt(0)
	s_delay_alu instid0(VALU_DEP_1)
	v_mul_f32_e32 v74, 0x3fb8aa3b, v74
	v_exp_f32_e32 v95, v95
	s_barrier
	buffer_gl0_inv
	v_fmac_f32_e32 v76, v101, v70
	v_sub_f32_e32 v70, v96, v75
	v_exp_f32_e32 v96, v74
	s_delay_alu instid0(VALU_DEP_2) | instskip(NEXT) | instid1(VALU_DEP_2)
	v_fmac_f32_e32 v76, v100, v71
	v_mul_f32_e32 v70, 0x3fb8aa3b, v70
	s_delay_alu instid0(VALU_DEP_2) | instskip(NEXT) | instid1(VALU_DEP_2)
	v_dual_cndmask_b32 v71, v99, v102 :: v_dual_fmac_f32 v76, v97, v72
	v_exp_f32_e32 v98, v70
	v_lshlrev_b32_e32 v72, 6, v69
	s_delay_alu instid0(VALU_DEP_2) | instskip(NEXT) | instid1(VALU_DEP_2)
	v_dual_fmac_f32 v76, v95, v73 :: v_dual_lshlrev_b32 v69, 2, v67
	v_lshl_or_b32 v74, v68, 11, v72
	s_delay_alu instid0(VALU_DEP_2)
	v_cmp_eq_u32_e64 s8, 7, v69
	s_delay_alu instid0(TRANS32_DEP_2) | instid1(VALU_DEP_3)
	v_fmac_f32_e32 v76, v96, v93
	s_waitcnt_depctr 0xfff
	v_fmac_f32_e32 v76, v98, v94
	s_delay_alu instid0(VALU_DEP_1) | instskip(NEXT) | instid1(VALU_DEP_1)
	v_add_f32_e32 v73, 0x358637bd, v76
	v_div_scale_f32 v93, null, v73, v73, 1.0
	v_div_scale_f32 v99, vcc_lo, 1.0, v73, 1.0
	s_delay_alu instid0(VALU_DEP_2) | instskip(SKIP_2) | instid1(VALU_DEP_1)
	v_rcp_f32_e32 v94, v93
	s_waitcnt_depctr 0xfff
	v_fma_f32 v70, -v93, v94, 1.0
	v_fmac_f32_e32 v94, v70, v94
	v_cndmask_b32_e64 v70, v71, v101, s3
	v_cmp_eq_u32_e64 s3, 6, v68
	v_or_b32_e32 v71, 1, v69
	v_or_b32_e32 v68, 2, v69
	v_mul_f32_e32 v101, v99, v94
	v_cndmask_b32_e64 v70, v70, v100, s4
	v_cmp_eq_u32_e64 s4, 1, v69
	v_cmp_eq_u32_e64 s9, 1, v71
	;; [unrolled: 1-line block ×3, first 2 shown]
	v_fma_f32 v100, -v93, v101, v99
	v_cndmask_b32_e64 v70, v70, v97, s5
	v_cmp_eq_u32_e64 s5, 2, v69
	v_cmp_eq_u32_e64 s12, 2, v71
	;; [unrolled: 1-line block ×3, first 2 shown]
	v_fmac_f32_e32 v101, v100, v94
	v_cndmask_b32_e64 v95, v70, v95, s6
	v_or_b32_e32 v70, 3, v69
	v_cmp_eq_u32_e64 s13, 3, v71
	v_cmp_eq_u32_e64 s17, 3, v68
	v_fma_f32 v93, -v93, v101, v99
	v_cndmask_b32_e64 v95, v95, v96, s3
	v_cmp_eq_u32_e64 s11, 1, v70
	v_cmp_eq_u32_e64 s16, 2, v70
	;; [unrolled: 1-line block ×3, first 2 shown]
	v_div_fmas_f32 v93, v93, v94, v101
	v_cndmask_b32_e64 v94, v95, v98, s7
	v_cmp_eq_u32_e32 vcc_lo, 3, v69
	v_cmp_eq_u32_e64 s3, 4, v69
	v_cmp_eq_u32_e64 s19, 4, v71
	v_div_fixup_f32 v93, v93, v73, 1.0
	v_lshl_or_b32 v73, v67, 4, v74
	v_cmp_eq_u32_e64 s22, 4, v70
	v_cmp_eq_u32_e64 s6, 5, v69
	;; [unrolled: 1-line block ×3, first 2 shown]
	v_mul_f32_e32 v101, v94, v93
	v_cmp_eq_u32_e64 s21, 4, v68
	v_cmp_eq_u32_e64 s24, 5, v70
	;; [unrolled: 1-line block ×4, first 2 shown]
	v_fma_mixlo_f16 v93, v101, v78, 0
	v_fma_mixlo_f16 v94, v101, v80, 0
	;; [unrolled: 1-line block ×8, first 2 shown]
	v_fma_mixhi_f16 v93, v101, v77, 0
	v_fma_mixhi_f16 v94, v101, v79, 0
	;; [unrolled: 1-line block ×8, first 2 shown]
	ds_store_b128 v73, v[93:96]
	ds_store_b128 v73, v[97:100] offset:1024
	s_waitcnt lgkmcnt(0)
	s_barrier
	buffer_gl0_inv
	ds_load_b128 v[77:80], v74
	ds_load_b128 v[81:84], v74 offset:16
	ds_load_b128 v[85:88], v74 offset:1024
	;; [unrolled: 1-line block ×3, first 2 shown]
	v_cmp_eq_u32_e64 s27, 6, v70
	v_cmp_eq_u32_e64 s7, 6, v69
	v_cmp_eq_u32_e64 s26, 6, v68
	v_cmp_eq_u32_e64 s29, 7, v70
	v_cmp_eq_u32_e64 s30, 7, v71
	v_cmp_eq_u32_e64 s28, 7, v68
	s_waitcnt lgkmcnt(3)
	v_lshrrev_b32_e32 v93, 16, v77
	s_waitcnt lgkmcnt(2)
	v_lshrrev_b32_e32 v97, 16, v81
	;; [unrolled: 2-line block ×4, first 2 shown]
	v_lshrrev_b32_e32 v94, 16, v78
	v_cndmask_b32_e64 v109, v77, v93, s4
	v_cndmask_b32_e64 v110, v81, v97, s4
	;; [unrolled: 1-line block ×8, first 2 shown]
	v_lshrrev_b32_e32 v98, 16, v82
	v_cndmask_b32_e64 v93, v85, v101, s4
	v_cndmask_b32_e64 v97, v89, v105, s4
	;; [unrolled: 1-line block ×15, first 2 shown]
	v_lshrrev_b32_e32 v102, 16, v86
	v_lshrrev_b32_e32 v106, 16, v90
	v_cndmask_b32_e64 v112, v114, v82, s15
	v_cndmask_b32_e64 v81, v93, v86, s5
	;; [unrolled: 1-line block ×7, first 2 shown]
	v_cndmask_b32_e32 v89, v101, v94, vcc_lo
	v_cndmask_b32_e32 v101, v105, v98, vcc_lo
	v_cndmask_b32_e64 v105, v109, v94, s13
	v_cndmask_b32_e64 v109, v110, v98, s13
	;; [unrolled: 1-line block ×4, first 2 shown]
	v_lshrrev_b32_e32 v95, 16, v79
	v_lshrrev_b32_e32 v99, 16, v83
	v_cndmask_b32_e64 v110, v111, v94, s17
	v_cndmask_b32_e64 v111, v112, v98, s17
	v_cndmask_b32_e32 v81, v81, v102, vcc_lo
	v_cndmask_b32_e32 v82, v82, v106, vcc_lo
	v_cndmask_b32_e64 v93, v93, v102, s13
	v_cndmask_b32_e64 v89, v89, v79, s3
	v_cndmask_b32_e64 v94, v101, v83, s3
	v_cndmask_b32_e64 v98, v105, v79, s19
	v_cndmask_b32_e64 v101, v109, v83, s19
	v_cndmask_b32_e64 v77, v77, v79, s22
	v_cndmask_b32_e64 v78, v78, v83, s22
	v_lshrrev_b32_e32 v103, 16, v87
	v_cndmask_b32_e64 v105, v110, v79, s21
	v_cndmask_b32_e64 v109, v111, v83, s21
	;; [unrolled: 1-line block ×11, first 2 shown]
	v_lshrrev_b32_e32 v96, 16, v80
	v_lshrrev_b32_e32 v100, 16, v84
	v_cndmask_b32_e64 v98, v105, v95, s23
	v_cndmask_b32_e64 v101, v109, v99, s23
	;; [unrolled: 1-line block ×7, first 2 shown]
	v_lshrrev_b32_e32 v104, 16, v88
	v_cndmask_b32_e64 v79, v79, v103, s6
	v_cndmask_b32_e64 v83, v83, v80, s7
	;; [unrolled: 1-line block ×16, first 2 shown]
	v_perm_b32 v80, v78, v77, 0x5040100
	v_perm_b32 v78, v94, v84, 0x5040100
	v_cndmask_b32_e64 v77, v118, v90, s15
	v_cndmask_b32_e64 v84, v116, v90, s12
	;; [unrolled: 1-line block ×3, first 2 shown]
	v_perm_b32 v79, v93, v89, 0x5040100
	v_cndmask_b32_e64 v89, v97, v102, s17
	v_cndmask_b32_e64 v85, v85, v102, s18
	;; [unrolled: 1-line block ×5, first 2 shown]
	v_lshrrev_b32_e32 v107, 16, v91
	v_cndmask_b32_e64 v89, v89, v87, s21
	v_cndmask_b32_e64 v85, v85, v87, s22
	;; [unrolled: 1-line block ×11, first 2 shown]
	v_lshrrev_b32_e32 v108, 16, v92
	v_cndmask_b32_e64 v81, v81, v92, s7
	v_cndmask_b32_e64 v87, v87, v88, s26
	v_cndmask_b32_e64 v85, v85, v88, s27
	v_cndmask_b32_e64 v86, v86, v92, s27
	v_cndmask_b32_e64 v77, v77, v92, s26
	v_cndmask_b32_e64 v84, v84, v92, s25
	v_cndmask_b32_e64 v87, v87, v104, s28
	v_cndmask_b32_e64 v85, v85, v104, s29
	v_cndmask_b32_e64 v86, v86, v108, s29
	v_cndmask_b32_e64 v88, v77, v108, s28
	v_cndmask_b32_e64 v89, v84, v108, s30
	v_cndmask_b32_e64 v81, v81, v108, s8
	v_perm_b32 v77, v83, v82, 0x5040100
	v_perm_b32 v84, v86, v85, 0x5040100
	;; [unrolled: 1-line block ×5, first 2 shown]
	s_lshl_b32 s8, s33, 3
	s_mov_b32 s3, exec_lo
	ds_store_b128 v73, v[77:80]
	ds_store_b128 v73, v[81:84] offset:1024
	v_cmpx_gt_u32_e32 8, v0
	s_cbranch_execz .LBB1157_14
; %bb.13:
	v_or_b32_e32 v77, s31, v0
	s_load_b128 s[4:7], s[0:1], 0x58
	s_delay_alu instid0(VALU_DEP_1) | instskip(NEXT) | instid1(VALU_DEP_1)
	v_mad_u64_u32 v[78:79], null, s8, s34, v[77:78]
	v_mad_u64_u32 v[79:80], null, v78, s35, s[14:15]
	s_delay_alu instid0(VALU_DEP_1) | instskip(NEXT) | instid1(VALU_DEP_1)
	v_ashrrev_i32_e32 v80, 31, v79
	v_lshlrev_b64 v[77:78], 2, v[79:80]
	s_waitcnt lgkmcnt(0)
	s_delay_alu instid0(VALU_DEP_1) | instskip(NEXT) | instid1(VALU_DEP_2)
	v_add_co_u32 v79, vcc_lo, s6, v77
	v_add_co_ci_u32_e32 v80, vcc_lo, s7, v78, vcc_lo
	v_add_co_u32 v77, vcc_lo, s4, v77
	v_add_co_ci_u32_e32 v78, vcc_lo, s5, v78, vcc_lo
	global_store_b32 v[79:80], v75, off
	global_store_b32 v[77:78], v76, off
.LBB1157_14:
	s_or_b32 exec_lo, exec_lo, s3
	s_waitcnt lgkmcnt(0)
	s_waitcnt_vscnt null, 0x0
	s_barrier
	buffer_gl0_inv
	ds_load_b128 v[83:86], v72
	ds_load_b128 v[87:90], v72 offset:16
	ds_load_b128 v[95:98], v72 offset:2064
	;; [unrolled: 1-line block ×5, first 2 shown]
	v_cmp_eq_u32_e32 vcc_lo, 1, v69
	v_mov_b32_e32 v75, 0
	ds_load_b128 v[111:114], v72 offset:6160
	ds_load_b128 v[107:110], v72 offset:6144
	;; [unrolled: 1-line block ×4, first 2 shown]
	v_cmp_eq_u32_e64 s4, 1, v68
	v_cmp_eq_u32_e64 s3, 1, v71
	;; [unrolled: 1-line block ×3, first 2 shown]
	v_mov_b32_e32 v76, v75
	v_mov_b32_e32 v77, v75
	;; [unrolled: 1-line block ×7, first 2 shown]
	v_cmp_eq_u32_e64 s6, 3, v71
	v_cmp_eq_u32_e64 s7, 7, v71
	s_waitcnt lgkmcnt(8)
	s_delay_alu instid0(VALU_DEP_3)
	v_wmma_f32_16x16x16_f16 v[75:82], v[49:56], v[83:90], v[75:82]
	ds_load_b128 v[53:56], v72 offset:10256
	ds_load_b128 v[49:52], v72 offset:10240
	s_waitcnt lgkmcnt(8)
	v_wmma_f32_16x16x16_f16 v[75:82], v[41:48], v[91:98], v[75:82]
	ds_load_b128 v[45:48], v72 offset:12304
	ds_load_b128 v[41:44], v72 offset:12288
	s_waitcnt lgkmcnt(8)
	;; [unrolled: 4-line block ×3, first 2 shown]
	s_barrier
	buffer_gl0_inv
	v_wmma_f32_16x16x16_f16 v[75:82], v[1:8], v[107:114], v[75:82]
	s_delay_alu instid0(VALU_DEP_1) | instskip(NEXT) | instid1(VALU_DEP_1)
	v_wmma_f32_16x16x16_f16 v[75:82], v[9:16], v[115:122], v[75:82]
	v_wmma_f32_16x16x16_f16 v[75:82], v[17:24], v[49:56], v[75:82]
	s_delay_alu instid0(VALU_DEP_1) | instskip(NEXT) | instid1(VALU_DEP_1)
	v_wmma_f32_16x16x16_f16 v[75:82], v[25:32], v[41:48], v[75:82]
	v_wmma_f32_16x16x16_f16 v[75:82], v[57:64], v[33:40], v[75:82]
	s_delay_alu instid0(VALU_DEP_1) | instskip(NEXT) | instid1(VALU_DEP_2)
	v_cvt_f16_f32_e32 v1, v75
	v_cvt_f16_f32_e32 v2, v76
	s_delay_alu instid0(VALU_DEP_3) | instskip(NEXT) | instid1(VALU_DEP_4)
	v_cvt_f16_f32_e32 v3, v77
	v_cvt_f16_f32_e32 v4, v78
	;; [unrolled: 1-line block ×6, first 2 shown]
	v_pack_b32_f16 v1, v1, v2
	v_pack_b32_f16 v2, v3, v4
	;; [unrolled: 1-line block ×3, first 2 shown]
	s_delay_alu instid0(VALU_DEP_4)
	v_pack_b32_f16 v4, v7, v8
	ds_store_b128 v73, v[1:4]
	s_waitcnt lgkmcnt(0)
	s_barrier
	buffer_gl0_inv
	ds_load_b128 v[1:4], v74
	ds_load_b128 v[5:8], v74 offset:16
	s_waitcnt lgkmcnt(1)
	v_lshrrev_b32_e32 v9, 16, v1
	s_waitcnt lgkmcnt(0)
	v_lshrrev_b32_e32 v13, 16, v5
	v_lshrrev_b32_e32 v10, 16, v2
	;; [unrolled: 1-line block ×4, first 2 shown]
	v_cndmask_b32_e32 v17, v1, v9, vcc_lo
	v_cndmask_b32_e32 v18, v5, v13, vcc_lo
	v_cndmask_b32_e64 v21, v1, v9, s4
	v_cmp_eq_u32_e32 vcc_lo, 1, v70
	v_cndmask_b32_e64 v22, v5, v13, s4
	v_cmp_eq_u32_e64 s4, 2, v69
	v_cndmask_b32_e64 v19, v1, v9, s3
	v_cndmask_b32_e64 v20, v5, v13, s3
	v_cndmask_b32_e32 v1, v1, v9, vcc_lo
	v_cmp_eq_u32_e64 s3, 2, v70
	v_cndmask_b32_e32 v5, v5, v13, vcc_lo
	v_cndmask_b32_e64 v9, v17, v2, s4
	v_cmp_eq_u32_e32 vcc_lo, 3, v69
	v_cndmask_b32_e64 v13, v18, v6, s4
	v_cmp_eq_u32_e64 s4, 2, v68
	v_cndmask_b32_e64 v17, v19, v2, s5
	v_cndmask_b32_e64 v18, v20, v6, s5
	v_cmp_eq_u32_e64 s5, 3, v68
	v_cndmask_b32_e64 v1, v1, v2, s3
	v_cndmask_b32_e64 v19, v21, v2, s4
	;; [unrolled: 1-line block ×4, first 2 shown]
	v_cndmask_b32_e32 v5, v9, v10, vcc_lo
	v_cndmask_b32_e32 v6, v13, v14, vcc_lo
	v_cmp_eq_u32_e32 vcc_lo, 3, v70
	v_cndmask_b32_e64 v9, v17, v10, s6
	v_cndmask_b32_e64 v13, v18, v14, s6
	;; [unrolled: 1-line block ×3, first 2 shown]
	v_cmp_eq_u32_e64 s4, 4, v69
	v_cndmask_b32_e32 v1, v1, v10, vcc_lo
	v_cndmask_b32_e32 v2, v2, v14, vcc_lo
	v_cmp_eq_u32_e32 vcc_lo, 4, v71
	v_lshrrev_b32_e32 v15, 16, v7
	v_lshrrev_b32_e32 v16, 16, v8
	v_cndmask_b32_e64 v17, v19, v10, s5
	v_cmp_eq_u32_e64 s3, 4, v70
	v_cndmask_b32_e64 v5, v5, v3, s4
	v_cndmask_b32_e64 v6, v6, v7, s4
	v_cndmask_b32_e32 v9, v9, v3, vcc_lo
	v_cmp_eq_u32_e64 s4, 5, v71
	v_cndmask_b32_e32 v10, v13, v7, vcc_lo
	v_cmp_eq_u32_e32 vcc_lo, 4, v68
	v_cmp_eq_u32_e64 s5, 5, v69
	v_cndmask_b32_e64 v2, v2, v7, s3
	v_cndmask_b32_e64 v9, v9, v11, s4
	;; [unrolled: 1-line block ×3, first 2 shown]
	v_cndmask_b32_e32 v13, v17, v3, vcc_lo
	v_cmp_eq_u32_e64 s4, 5, v68
	v_cndmask_b32_e32 v14, v18, v7, vcc_lo
	v_cndmask_b32_e64 v1, v1, v3, s3
	v_cmp_eq_u32_e32 vcc_lo, 5, v70
	v_lshrrev_b32_e32 v12, 16, v4
	v_cndmask_b32_e64 v13, v13, v11, s4
	v_cndmask_b32_e64 v3, v14, v15, s4
	v_cmp_eq_u32_e64 s4, 6, v70
	v_cndmask_b32_e32 v1, v1, v11, vcc_lo
	v_cndmask_b32_e64 v5, v5, v11, s5
	v_cmp_eq_u32_e64 s6, 6, v69
	v_cndmask_b32_e64 v6, v6, v15, s5
	v_cmp_eq_u32_e64 s5, 6, v71
	v_cmp_eq_u32_e64 s3, 6, v68
	v_cndmask_b32_e64 v1, v1, v4, s4
	v_cndmask_b32_e32 v2, v2, v15, vcc_lo
	v_cmp_eq_u32_e32 vcc_lo, 7, v70
	v_cndmask_b32_e64 v5, v5, v4, s6
	v_cndmask_b32_e64 v9, v9, v4, s5
	v_cndmask_b32_e64 v6, v6, v8, s6
	v_cmp_eq_u32_e64 s6, 7, v69
	v_cndmask_b32_e32 v1, v1, v12, vcc_lo
	v_cndmask_b32_e64 v7, v13, v4, s3
	v_cndmask_b32_e64 v3, v3, v8, s3
	;; [unrolled: 1-line block ×3, first 2 shown]
	v_cmp_eq_u32_e64 s3, 7, v68
	v_cndmask_b32_e64 v4, v10, v8, s5
	v_cndmask_b32_e64 v5, v5, v12, s6
	;; [unrolled: 1-line block ×3, first 2 shown]
	v_cndmask_b32_e32 v2, v2, v16, vcc_lo
	v_cndmask_b32_e64 v7, v7, v12, s3
	v_cndmask_b32_e64 v3, v3, v16, s3
	;; [unrolled: 1-line block ×4, first 2 shown]
	v_cmp_gt_u32_e32 vcc_lo, 32, v0
	v_perm_b32 v4, v2, v1, 0x5040100
	v_perm_b32 v3, v3, v7, 0x5040100
	;; [unrolled: 1-line block ×4, first 2 shown]
	s_and_b32 s2, vcc_lo, s2
	ds_store_b128 v73, v[1:4]
	s_waitcnt lgkmcnt(0)
	s_barrier
	buffer_gl0_inv
	s_and_saveexec_b32 s3, s2
	s_cbranch_execz .LBB1157_2
; %bb.15:
	s_load_b64 s[0:1], s[0:1], 0x68
	s_lshl_b32 s4, s35, 6
	v_or_b32_e32 v2, s31, v67
	s_mul_i32 s2, s4, s34
	v_lshlrev_b32_e32 v1, 10, v0
	s_mul_i32 s2, s2, s8
	v_lshlrev_b32_e32 v3, 4, v66
	v_mul_lo_u32 v0, v2, s4
	s_ashr_i32 s3, s2, 31
	v_lshlrev_b32_e32 v4, 6, v67
	v_and_b32_e32 v1, 0x3800, v1
	v_or_b32_e32 v5, 2, v2
	s_lshl_b64 s[2:3], s[2:3], 1
	v_or_b32_e32 v6, 4, v2
	v_or_b32_e32 v7, 6, v2
	v_or3_b32 v12, v1, v3, v4
	v_ashrrev_i32_e32 v1, 31, v0
	v_mul_lo_u32 v2, v5, s4
	v_mul_lo_u32 v16, v6, s4
	;; [unrolled: 1-line block ×3, first 2 shown]
	s_waitcnt lgkmcnt(0)
	s_add_u32 s2, s0, s2
	s_addc_u32 s3, s1, s3
	s_lshl_b32 s0, s14, 6
	v_lshlrev_b64 v[0:1], 1, v[0:1]
	s_ashr_i32 s1, s0, 31
	v_ashrrev_i32_e32 v3, 31, v2
	s_lshl_b64 s[0:1], s[0:1], 1
	v_ashrrev_i32_e32 v17, 31, v16
	s_add_u32 s0, s2, s0
	s_addc_u32 s1, s3, s1
	v_add_co_u32 v24, s0, s0, v65
	s_delay_alu instid0(VALU_DEP_1) | instskip(SKIP_1) | instid1(VALU_DEP_3)
	v_add_co_ci_u32_e64 v25, null, s1, 0, s0
	v_lshlrev_b64 v[22:23], 1, v[2:3]
	v_add_co_u32 v18, vcc_lo, v24, v0
	s_delay_alu instid0(VALU_DEP_3)
	v_add_co_ci_u32_e32 v19, vcc_lo, v25, v1, vcc_lo
	ds_load_b128 v[0:3], v12
	ds_load_b128 v[4:7], v12 offset:128
	ds_load_b128 v[8:11], v12 offset:256
	;; [unrolled: 1-line block ×3, first 2 shown]
	v_ashrrev_i32_e32 v21, 31, v20
	v_lshlrev_b64 v[16:17], 1, v[16:17]
	v_add_co_u32 v22, vcc_lo, v24, v22
	v_add_co_ci_u32_e32 v23, vcc_lo, v25, v23, vcc_lo
	s_delay_alu instid0(VALU_DEP_4) | instskip(NEXT) | instid1(VALU_DEP_4)
	v_lshlrev_b64 v[20:21], 1, v[20:21]
	v_add_co_u32 v16, vcc_lo, v24, v16
	v_add_co_ci_u32_e32 v17, vcc_lo, v25, v17, vcc_lo
	s_delay_alu instid0(VALU_DEP_3) | instskip(NEXT) | instid1(VALU_DEP_4)
	v_add_co_u32 v20, vcc_lo, v24, v20
	v_add_co_ci_u32_e32 v21, vcc_lo, v25, v21, vcc_lo
	s_waitcnt lgkmcnt(3)
	global_store_b128 v[18:19], v[0:3], off
	s_waitcnt lgkmcnt(2)
	global_store_b128 v[22:23], v[4:7], off
	;; [unrolled: 2-line block ×4, first 2 shown]
	s_nop 0
	s_sendmsg sendmsg(MSG_DEALLOC_VGPRS)
	s_endpgm
	.section	.rodata,"a",@progbits
	.p2align	6, 0x0
	.amdhsa_kernel _Z39paged_attention_ll4mi_QKV_mfma16_kernelIDF16_hLN4vllm18Fp8KVCacheDataTypeE1EhLi32ELi64ELi256ELb1ELi8EL8MFMAType0EEvPKT_PKT0_S8_ifPKiSA_SA_iPKfiiiPfSD_PS3_PT2_iSC_SC_
		.amdhsa_group_segment_fixed_size 17472
		.amdhsa_private_segment_fixed_size 0
		.amdhsa_kernarg_size 400
		.amdhsa_user_sgpr_count 13
		.amdhsa_user_sgpr_dispatch_ptr 0
		.amdhsa_user_sgpr_queue_ptr 0
		.amdhsa_user_sgpr_kernarg_segment_ptr 1
		.amdhsa_user_sgpr_dispatch_id 0
		.amdhsa_user_sgpr_private_segment_size 0
		.amdhsa_wavefront_size32 1
		.amdhsa_uses_dynamic_stack 0
		.amdhsa_enable_private_segment 0
		.amdhsa_system_sgpr_workgroup_id_x 1
		.amdhsa_system_sgpr_workgroup_id_y 1
		.amdhsa_system_sgpr_workgroup_id_z 1
		.amdhsa_system_sgpr_workgroup_info 0
		.amdhsa_system_vgpr_workitem_id 0
		.amdhsa_next_free_vgpr 123
		.amdhsa_next_free_sgpr 42
		.amdhsa_reserve_vcc 1
		.amdhsa_float_round_mode_32 0
		.amdhsa_float_round_mode_16_64 0
		.amdhsa_float_denorm_mode_32 3
		.amdhsa_float_denorm_mode_16_64 3
		.amdhsa_dx10_clamp 1
		.amdhsa_ieee_mode 1
		.amdhsa_fp16_overflow 0
		.amdhsa_workgroup_processor_mode 1
		.amdhsa_memory_ordered 1
		.amdhsa_forward_progress 0
		.amdhsa_shared_vgpr_count 0
		.amdhsa_exception_fp_ieee_invalid_op 0
		.amdhsa_exception_fp_denorm_src 0
		.amdhsa_exception_fp_ieee_div_zero 0
		.amdhsa_exception_fp_ieee_overflow 0
		.amdhsa_exception_fp_ieee_underflow 0
		.amdhsa_exception_fp_ieee_inexact 0
		.amdhsa_exception_int_div_zero 0
	.end_amdhsa_kernel
	.section	.text._Z39paged_attention_ll4mi_QKV_mfma16_kernelIDF16_hLN4vllm18Fp8KVCacheDataTypeE1EhLi32ELi64ELi256ELb1ELi8EL8MFMAType0EEvPKT_PKT0_S8_ifPKiSA_SA_iPKfiiiPfSD_PS3_PT2_iSC_SC_,"axG",@progbits,_Z39paged_attention_ll4mi_QKV_mfma16_kernelIDF16_hLN4vllm18Fp8KVCacheDataTypeE1EhLi32ELi64ELi256ELb1ELi8EL8MFMAType0EEvPKT_PKT0_S8_ifPKiSA_SA_iPKfiiiPfSD_PS3_PT2_iSC_SC_,comdat
.Lfunc_end1157:
	.size	_Z39paged_attention_ll4mi_QKV_mfma16_kernelIDF16_hLN4vllm18Fp8KVCacheDataTypeE1EhLi32ELi64ELi256ELb1ELi8EL8MFMAType0EEvPKT_PKT0_S8_ifPKiSA_SA_iPKfiiiPfSD_PS3_PT2_iSC_SC_, .Lfunc_end1157-_Z39paged_attention_ll4mi_QKV_mfma16_kernelIDF16_hLN4vllm18Fp8KVCacheDataTypeE1EhLi32ELi64ELi256ELb1ELi8EL8MFMAType0EEvPKT_PKT0_S8_ifPKiSA_SA_iPKfiiiPfSD_PS3_PT2_iSC_SC_
                                        ; -- End function
	.section	.AMDGPU.csdata,"",@progbits
; Kernel info:
; codeLenInByte = 6500
; NumSgprs: 44
; NumVgprs: 123
; ScratchSize: 0
; MemoryBound: 0
; FloatMode: 240
; IeeeMode: 1
; LDSByteSize: 17472 bytes/workgroup (compile time only)
; SGPRBlocks: 5
; VGPRBlocks: 15
; NumSGPRsForWavesPerEU: 44
; NumVGPRsForWavesPerEU: 123
; Occupancy: 10
; WaveLimiterHint : 1
; COMPUTE_PGM_RSRC2:SCRATCH_EN: 0
; COMPUTE_PGM_RSRC2:USER_SGPR: 13
; COMPUTE_PGM_RSRC2:TRAP_HANDLER: 0
; COMPUTE_PGM_RSRC2:TGID_X_EN: 1
; COMPUTE_PGM_RSRC2:TGID_Y_EN: 1
; COMPUTE_PGM_RSRC2:TGID_Z_EN: 1
; COMPUTE_PGM_RSRC2:TIDIG_COMP_CNT: 0
	.section	.text._Z39paged_attention_ll4mi_QKV_mfma16_kernelIDF16_hLN4vllm18Fp8KVCacheDataTypeE1EhLi32ELi64ELi256ELb1ELi9EL8MFMAType0EEvPKT_PKT0_S8_ifPKiSA_SA_iPKfiiiPfSD_PS3_PT2_iSC_SC_,"axG",@progbits,_Z39paged_attention_ll4mi_QKV_mfma16_kernelIDF16_hLN4vllm18Fp8KVCacheDataTypeE1EhLi32ELi64ELi256ELb1ELi9EL8MFMAType0EEvPKT_PKT0_S8_ifPKiSA_SA_iPKfiiiPfSD_PS3_PT2_iSC_SC_,comdat
	.protected	_Z39paged_attention_ll4mi_QKV_mfma16_kernelIDF16_hLN4vllm18Fp8KVCacheDataTypeE1EhLi32ELi64ELi256ELb1ELi9EL8MFMAType0EEvPKT_PKT0_S8_ifPKiSA_SA_iPKfiiiPfSD_PS3_PT2_iSC_SC_ ; -- Begin function _Z39paged_attention_ll4mi_QKV_mfma16_kernelIDF16_hLN4vllm18Fp8KVCacheDataTypeE1EhLi32ELi64ELi256ELb1ELi9EL8MFMAType0EEvPKT_PKT0_S8_ifPKiSA_SA_iPKfiiiPfSD_PS3_PT2_iSC_SC_
	.globl	_Z39paged_attention_ll4mi_QKV_mfma16_kernelIDF16_hLN4vllm18Fp8KVCacheDataTypeE1EhLi32ELi64ELi256ELb1ELi9EL8MFMAType0EEvPKT_PKT0_S8_ifPKiSA_SA_iPKfiiiPfSD_PS3_PT2_iSC_SC_
	.p2align	8
	.type	_Z39paged_attention_ll4mi_QKV_mfma16_kernelIDF16_hLN4vllm18Fp8KVCacheDataTypeE1EhLi32ELi64ELi256ELb1ELi9EL8MFMAType0EEvPKT_PKT0_S8_ifPKiSA_SA_iPKfiiiPfSD_PS3_PT2_iSC_SC_,@function
_Z39paged_attention_ll4mi_QKV_mfma16_kernelIDF16_hLN4vllm18Fp8KVCacheDataTypeE1EhLi32ELi64ELi256ELb1ELi9EL8MFMAType0EEvPKT_PKT0_S8_ifPKiSA_SA_iPKfiiiPfSD_PS3_PT2_iSC_SC_: ; @_Z39paged_attention_ll4mi_QKV_mfma16_kernelIDF16_hLN4vllm18Fp8KVCacheDataTypeE1EhLi32ELi64ELi256ELb1ELi9EL8MFMAType0EEvPKT_PKT0_S8_ifPKiSA_SA_iPKfiiiPfSD_PS3_PT2_iSC_SC_
; %bb.0:
	s_load_b64 s[2:3], s[0:1], 0x30
	s_mov_b32 s34, s13
	s_waitcnt lgkmcnt(0)
	s_cmp_lg_u64 s[2:3], 0
	s_cselect_b32 s6, -1, 0
	s_ashr_i32 s35, s13, 31
	s_cmp_eq_u64 s[2:3], 0
	s_cbranch_scc1 .LBB1158_3
; %bb.1:
	s_lshl_b64 s[4:5], s[34:35], 2
	s_delay_alu instid0(SALU_CYCLE_1) | instskip(SKIP_4) | instid1(SALU_CYCLE_1)
	s_add_u32 s4, s2, s4
	s_addc_u32 s5, s3, s5
	s_load_b64 s[4:5], s[4:5], 0x0
	s_waitcnt lgkmcnt(0)
	s_sub_i32 s4, s5, s4
	s_cmp_eq_u32 s4, 1
	s_cselect_b32 s4, -1, 0
	s_delay_alu instid0(SALU_CYCLE_1)
	s_and_not1_b32 vcc_lo, exec_lo, s4
	s_cbranch_vccz .LBB1158_4
.LBB1158_2:
	s_nop 0
	s_sendmsg sendmsg(MSG_DEALLOC_VGPRS)
	s_endpgm
.LBB1158_3:
.LBB1158_4:
	s_load_b64 s[8:9], s[0:1], 0x28
	s_lshl_b64 s[4:5], s[34:35], 2
	s_waitcnt lgkmcnt(0)
	s_add_u32 s8, s8, s4
	s_addc_u32 s9, s9, s5
	s_lshl_b32 s16, s14, 8
	s_load_b32 s18, s[8:9], 0x0
	s_waitcnt lgkmcnt(0)
	s_cmp_ge_i32 s16, s18
	s_cbranch_scc1 .LBB1158_2
; %bb.5:
	s_clause 0x1
	s_load_b128 s[8:11], s[0:1], 0x8
	s_load_b64 s[12:13], s[0:1], 0x20
	s_and_not1_b32 vcc_lo, exec_lo, s6
	s_cbranch_vccnz .LBB1158_7
; %bb.6:
	s_add_u32 s2, s2, s4
	s_addc_u32 s3, s3, s5
	s_load_b32 s3, s[2:3], 0x0
	s_branch .LBB1158_8
.LBB1158_7:
	s_mov_b32 s3, s34
.LBB1158_8:
	s_load_b128 s[4:7], s[0:1], 0x48
	v_lshrrev_b32_e32 v69, 5, v0
	v_bfe_u32 v66, v0, 4, 1
	v_and_b32_e32 v68, 15, v0
	v_and_b32_e32 v70, 31, v0
	;; [unrolled: 1-line block ×3, first 2 shown]
	s_mul_i32 s33, s15, 9
	v_lshl_or_b32 v1, v69, 1, v66
	v_lshlrev_b32_e32 v2, 3, v68
	v_cmp_gt_u32_e64 s2, 8, v68
	s_delay_alu instid0(VALU_DEP_3) | instskip(NEXT) | instid1(VALU_DEP_3)
	v_cmp_gt_u32_e32 vcc_lo, 9, v1
	v_lshlrev_b32_e32 v65, 1, v2
	s_delay_alu instid0(VALU_DEP_3)
	s_and_b32 s17, s2, vcc_lo
	s_waitcnt lgkmcnt(0)
	s_and_saveexec_b32 s7, s17
	s_cbranch_execz .LBB1158_10
; %bb.9:
	s_load_b64 s[20:21], s[0:1], 0x0
	v_add_lshl_u32 v2, v1, s33, 6
	s_mul_hi_i32 s23, s3, s4
	s_mul_i32 s22, s3, s4
	v_lshlrev_b32_e32 v6, 10, v68
	s_lshl_b64 s[22:23], s[22:23], 1
	v_ashrrev_i32_e32 v3, 31, v2
	v_lshlrev_b32_e32 v1, 6, v1
	v_lshlrev_b32_e32 v7, 10, v67
	v_and_b32_e32 v6, 0x3800, v6
	s_delay_alu instid0(VALU_DEP_4) | instskip(NEXT) | instid1(VALU_DEP_2)
	v_lshlrev_b64 v[2:3], 1, v[2:3]
	v_or3_b32 v1, v6, v7, v1
	s_waitcnt lgkmcnt(0)
	s_add_u32 s3, s20, s22
	s_addc_u32 s4, s21, s23
	s_delay_alu instid0(VALU_DEP_2) | instskip(SKIP_1) | instid1(VALU_DEP_2)
	v_add_co_u32 v2, vcc_lo, s3, v2
	v_add_co_ci_u32_e32 v3, vcc_lo, s4, v3, vcc_lo
	v_add_co_u32 v2, vcc_lo, v2, v65
	s_delay_alu instid0(VALU_DEP_2)
	v_add_co_ci_u32_e32 v3, vcc_lo, 0, v3, vcc_lo
	global_load_b128 v[2:5], v[2:3], off
	s_waitcnt vmcnt(0)
	ds_store_b128 v1, v[2:5]
.LBB1158_10:
	s_or_b32 exec_lo, exec_lo, s7
	v_and_b32_e32 v1, 0xef, v0
	s_add_i32 s3, s18, 31
	s_clause 0x1
	s_load_b32 s4, s[0:1], 0x38
	s_load_b32 s35, s[0:1], 0x98
	s_ashr_i32 s7, s3, 31
	v_add_nc_u32_e32 v1, s16, v1
	s_lshr_b32 s7, s7, 27
	s_load_b32 s19, s[0:1], 0x1c
	v_add_nc_u32_e32 v103, -9, v68
	s_add_i32 s3, s3, s7
	v_ashrrev_i32_e32 v2, 31, v1
	v_or_b32_e32 v3, 16, v1
	s_ashr_i32 s3, s3, 5
	v_cmp_gt_i32_e32 vcc_lo, s18, v1
	s_add_i32 s3, s3, -1
	v_lshrrev_b32_e32 v2, 27, v2
	s_waitcnt lgkmcnt(0)
	s_barrier
	buffer_gl0_inv
	s_mul_i32 s15, s15, s6
	v_add_nc_u32_e32 v4, v1, v2
	v_mbcnt_lo_u32_b32 v127, -1, 0
	s_mul_i32 s20, s34, s4
	s_delay_alu instid0(SALU_CYCLE_1) | instskip(NEXT) | instid1(VALU_DEP_2)
	s_ashr_i32 s21, s20, 31
	v_ashrrev_i32_e32 v4, 5, v4
	v_add_nc_u32_e32 v2, v3, v2
	s_lshl_b64 s[20:21], s[20:21], 2
	v_xor_b32_e32 v128, 16, v127
	s_add_u32 s17, s12, s20
	v_cndmask_b32_e32 v1, s3, v4, vcc_lo
	v_ashrrev_i32_e32 v2, 5, v2
	v_cmp_gt_i32_e32 vcc_lo, s18, v3
	s_addc_u32 s13, s13, s21
	s_ashr_i32 s20, s15, 31
	s_add_u32 s22, s8, s15
	s_addc_u32 s23, s9, s20
	v_cndmask_b32_e32 v3, s3, v2, vcc_lo
	v_ashrrev_i32_e32 v2, 31, v1
	s_lshl_b32 s6, s14, 3
	s_delay_alu instid0(SALU_CYCLE_1) | instskip(NEXT) | instid1(VALU_DEP_2)
	s_ashr_i32 s7, s6, 31
	v_ashrrev_i32_e32 v4, 31, v3
	s_delay_alu instid0(VALU_DEP_2) | instskip(SKIP_1) | instid1(SALU_CYCLE_1)
	v_lshlrev_b64 v[1:2], 2, v[1:2]
	s_lshl_b64 s[6:7], s[6:7], 2
	s_add_u32 s6, s17, s6
	s_delay_alu instid0(VALU_DEP_2) | instskip(SKIP_1) | instid1(VALU_DEP_2)
	v_lshlrev_b64 v[3:4], 2, v[3:4]
	s_addc_u32 s7, s13, s7
	v_add_co_u32 v1, vcc_lo, s17, v1
	v_add_co_ci_u32_e32 v2, vcc_lo, s13, v2, vcc_lo
	s_delay_alu instid0(VALU_DEP_3) | instskip(NEXT) | instid1(VALU_DEP_4)
	v_add_co_u32 v3, vcc_lo, s17, v3
	v_add_co_ci_u32_e32 v4, vcc_lo, s13, v4, vcc_lo
	s_clause 0x1
	global_load_b32 v5, v[1:2], off
	global_load_b32 v6, v[3:4], off
	s_or_b32 s4, s16, 32
	s_delay_alu instid0(SALU_CYCLE_1) | instskip(SKIP_2) | instid1(SALU_CYCLE_1)
	s_ashr_i32 s8, s4, 5
	s_cmp_lt_i32 s4, s18
	s_cselect_b32 s8, s8, s3
	s_ashr_i32 s9, s8, 31
	s_delay_alu instid0(SALU_CYCLE_1) | instskip(NEXT) | instid1(SALU_CYCLE_1)
	s_lshl_b64 s[8:9], s[8:9], 2
	s_add_u32 s8, s17, s8
	s_addc_u32 s9, s13, s9
	s_or_b32 s4, s16, 64
	s_delay_alu instid0(SALU_CYCLE_1) | instskip(SKIP_2) | instid1(SALU_CYCLE_1)
	s_ashr_i32 s12, s4, 5
	s_cmp_lt_i32 s4, s18
	s_cselect_b32 s24, s12, s3
	s_ashr_i32 s25, s24, 31
	s_delay_alu instid0(SALU_CYCLE_1) | instskip(NEXT) | instid1(SALU_CYCLE_1)
	s_lshl_b64 s[24:25], s[24:25], 2
	s_add_u32 s24, s17, s24
	s_addc_u32 s25, s13, s25
	;; [unrolled: 10-line block ×5, first 2 shown]
	s_clause 0x5
	s_load_b32 s12, s[6:7], 0x0
	s_load_b32 s4, s[8:9], 0x0
	;; [unrolled: 1-line block ×6, first 2 shown]
	s_or_b32 s21, s16, 0xc0
	s_waitcnt vmcnt(1)
	v_mad_i64_i32 v[1:2], null, v5, s5, s[22:23]
	v_lshlrev_b32_e32 v5, 4, v68
	s_waitcnt vmcnt(0)
	v_mad_i64_i32 v[3:4], null, v6, s5, s[22:23]
	s_ashr_i32 s22, s21, 5
	s_cmp_lt_i32 s21, s18
	s_delay_alu instid0(VALU_DEP_3) | instskip(NEXT) | instid1(VALU_DEP_4)
	v_add_co_u32 v1, vcc_lo, v1, v5
	v_add_co_ci_u32_e32 v2, vcc_lo, 0, v2, vcc_lo
	s_delay_alu instid0(VALU_DEP_3) | instskip(NEXT) | instid1(VALU_DEP_4)
	v_add_co_u32 v3, vcc_lo, v3, v5
	v_add_co_ci_u32_e32 v4, vcc_lo, 0, v4, vcc_lo
	s_clause 0x7
	global_load_b128 v[71:74], v[1:2], off
	global_load_b128 v[75:78], v[1:2], off offset:512
	global_load_b128 v[79:82], v[3:4], off offset:256
	;; [unrolled: 1-line block ×7, first 2 shown]
	s_cselect_b32 s22, s22, s3
	v_lshlrev_b32_e32 v1, 5, v68
	s_ashr_i32 s23, s22, 31
	v_cmp_gt_u32_e32 vcc_lo, 9, v68
	s_lshl_b64 s[22:23], s[22:23], 2
	s_delay_alu instid0(SALU_CYCLE_1)
	s_add_u32 s22, s17, s22
	s_addc_u32 s23, s13, s23
	s_or_b32 s21, s16, 0xe0
	v_lshl_or_b32 v1, v69, 9, v1
	s_ashr_i32 s24, s21, 5
	s_cmp_lt_i32 s21, s18
	v_cndmask_b32_e32 v103, v103, v68, vcc_lo
	s_cselect_b32 s24, s24, s3
	s_load_b32 s3, s[22:23], 0x0
	s_ashr_i32 s25, s24, 31
	v_cmp_gt_i32_e32 vcc_lo, 32, v128
	s_lshl_b64 s[24:25], s[24:25], 2
	v_lshlrev_b32_e32 v115, 6, v103
	s_add_u32 s22, s17, s24
	s_addc_u32 s23, s13, s25
	v_cndmask_b32_e32 v136, v127, v128, vcc_lo
	s_add_u32 s10, s10, s15
	s_addc_u32 s11, s11, s20
	v_add_co_u32 v1, s10, s10, v1
	s_delay_alu instid0(VALU_DEP_1) | instskip(SKIP_2) | instid1(VALU_DEP_1)
	v_add_co_ci_u32_e64 v2, null, s11, 0, s10
	s_load_b32 s10, s[22:23], 0x0
	s_waitcnt lgkmcnt(0)
	v_mad_i64_i32 v[3:4], null, s12, s5, v[1:2]
	v_mad_i64_i32 v[9:10], null, s7, s5, v[1:2]
	;; [unrolled: 1-line block ×7, first 2 shown]
	s_clause 0x5
	global_load_b128 v[49:52], v[3:4], off
	global_load_b128 v[53:56], v[3:4], off offset:16
	global_load_b128 v[41:44], v[5:6], off
	global_load_b128 v[45:48], v[5:6], off offset:16
	;; [unrolled: 2-line block ×3, first 2 shown]
	s_mov_b32 s4, 0
	v_mad_i64_i32 v[61:62], null, s10, s5, v[1:2]
	s_clause 0x9
	global_load_b128 v[1:4], v[9:10], off
	global_load_b128 v[5:8], v[9:10], off offset:16
	global_load_b128 v[9:12], v[13:14], off
	global_load_b128 v[13:16], v[13:14], off offset:16
	;; [unrolled: 2-line block ×5, first 2 shown]
	s_mov_b32 s5, s4
	s_mov_b32 s6, s4
	;; [unrolled: 1-line block ×7, first 2 shown]
	v_and_b32_e32 v104, 0xe0, v0
	v_dual_mov_b32 v126, s11 :: v_dual_mov_b32 v125, s10
	v_dual_mov_b32 v124, s9 :: v_dual_mov_b32 v123, s8
	s_delay_alu instid0(VALU_DEP_3)
	v_add_nc_u32_e32 v111, s16, v104
	ds_load_b128 v[103:106], v115
	ds_load_b128 v[107:110], v115 offset:1024
	v_dual_mov_b32 v122, s7 :: v_dual_mov_b32 v121, s6
	v_mov_b32_e32 v120, s5
	v_or_b32_e32 v135, v111, v66
	ds_load_b128 v[111:114], v115 offset:2048
	ds_load_b128 v[115:118], v115 offset:3072
	v_mov_b32_e32 v119, s4
	s_waitcnt vmcnt(0) lgkmcnt(0)
	s_barrier
	v_or_b32_e32 v137, 2, v135
	v_or_b32_e32 v138, 4, v135
	;; [unrolled: 1-line block ×3, first 2 shown]
	v_cmp_gt_i32_e32 vcc_lo, s18, v135
	v_or_b32_e32 v140, 8, v135
	v_cmp_gt_i32_e64 s3, s18, v137
	v_or_b32_e32 v141, 10, v135
	v_cmp_gt_i32_e64 s4, s18, v138
	v_cmp_gt_i32_e64 s5, s18, v139
	v_or_b32_e32 v142, 12, v135
	v_or_b32_e32 v143, 14, v135
	v_cmp_gt_i32_e64 s6, s18, v140
	v_cmp_gt_i32_e64 s7, s18, v141
	v_or_b32_e32 v144, 16, v135
	v_or_b32_e32 v145, 18, v135
	v_cmp_gt_i32_e64 s8, s18, v142
	v_cmp_gt_i32_e64 s9, s18, v143
	buffer_gl0_inv
	v_cmp_gt_i32_e64 s10, s18, v144
	v_cmp_gt_i32_e64 s11, s18, v145
	v_wmma_f32_16x16x16_f16 v[127:134], v[71:78], v[103:110], v[119:126]
	v_wmma_f32_16x16x16_f16 v[119:126], v[79:86], v[103:110], v[119:126]
	v_or_b32_e32 v71, 20, v135
	v_or_b32_e32 v72, 22, v135
	s_delay_alu instid0(VALU_DEP_4)
	v_wmma_f32_16x16x16_f16 v[127:134], v[87:94], v[111:118], v[127:134]
	v_or_b32_e32 v73, 24, v135
	v_wmma_f32_16x16x16_f16 v[119:126], v[95:102], v[111:118], v[119:126]
	v_or_b32_e32 v74, 26, v135
	v_cmp_gt_i32_e64 s12, s18, v71
	v_dual_mul_f32 v83, s19, v128 :: v_dual_mul_f32 v84, s19, v127
	s_delay_alu instid0(VALU_DEP_4) | instskip(SKIP_1) | instid1(VALU_DEP_3)
	v_dual_mul_f32 v81, s19, v130 :: v_dual_mul_f32 v92, s19, v119
	v_mul_f32_e32 v82, s19, v129
	v_cndmask_b32_e64 v83, 0xff7fffff, v83, s3
	s_delay_alu instid0(VALU_DEP_4)
	v_cndmask_b32_e32 v84, 0xff7fffff, v84, vcc_lo
	v_dual_mul_f32 v79, s19, v132 :: v_dual_mul_f32 v90, s19, v121
	v_mul_f32_e32 v80, s19, v131
	v_cndmask_b32_e64 v82, 0xff7fffff, v82, s4
	v_cndmask_b32_e64 v81, 0xff7fffff, v81, s5
	v_max3_f32 v83, v84, 0xff7fffff, v83
	v_dual_mul_f32 v77, s19, v134 :: v_dual_mul_f32 v88, s19, v123
	v_mul_f32_e32 v78, s19, v133
	v_cndmask_b32_e64 v80, 0xff7fffff, v80, s6
	v_cndmask_b32_e64 v79, 0xff7fffff, v79, s7
	v_max3_f32 v81, v83, v82, v81
	v_mul_f32_e32 v91, s19, v120
	v_cndmask_b32_e64 v78, 0xff7fffff, v78, s8
	v_cndmask_b32_e64 v77, 0xff7fffff, v77, s9
	v_mul_f32_e32 v89, s19, v122
	v_max3_f32 v79, v81, v80, v79
	v_cndmask_b32_e64 v80, 0xff7fffff, v92, s10
	v_cndmask_b32_e64 v81, 0xff7fffff, v91, s11
	v_cmp_gt_i32_e64 s13, s18, v72
	v_or_b32_e32 v75, 28, v135
	v_max3_f32 v77, v79, v78, v77
	v_or_b32_e32 v76, 30, v135
	v_mul_f32_e32 v87, s19, v124
	v_cndmask_b32_e64 v71, 0xff7fffff, v90, s12
	v_cndmask_b32_e64 v72, 0xff7fffff, v89, s13
	v_max3_f32 v77, v77, v80, v81
	v_cmp_gt_i32_e64 s15, s18, v73
	v_cmp_gt_i32_e64 s16, s18, v74
	v_dual_mul_f32 v85, s19, v126 :: v_dual_mul_f32 v86, s19, v125
	s_delay_alu instid0(VALU_DEP_4) | instskip(NEXT) | instid1(VALU_DEP_4)
	v_max3_f32 v71, v77, v71, v72
	v_cndmask_b32_e64 v73, 0xff7fffff, v88, s15
	s_delay_alu instid0(VALU_DEP_4) | instskip(SKIP_2) | instid1(VALU_DEP_3)
	v_cndmask_b32_e64 v74, 0xff7fffff, v87, s16
	v_cmp_gt_i32_e64 s17, s18, v75
	v_cmp_gt_i32_e64 s18, s18, v76
	v_max3_f32 v71, v71, v73, v74
	s_delay_alu instid0(VALU_DEP_3) | instskip(NEXT) | instid1(VALU_DEP_3)
	v_cndmask_b32_e64 v72, 0xff7fffff, v86, s17
	v_cndmask_b32_e64 v75, 0xff7fffff, v85, s18
	v_lshlrev_b32_e32 v73, 2, v136
	s_delay_alu instid0(VALU_DEP_2) | instskip(SKIP_3) | instid1(VALU_DEP_1)
	v_max3_f32 v71, v71, v72, v75
	ds_bpermute_b32 v72, v73, v71
	s_waitcnt lgkmcnt(0)
	v_max_f32_e32 v72, v72, v72
	v_max_f32_e32 v71, v71, v72
	s_delay_alu instid0(VALU_DEP_1)
	v_fma_f32 v72, s19, v127, -v71
	v_fma_f32 v74, s19, v128, -v71
	;; [unrolled: 1-line block ×5, first 2 shown]
	v_mul_f32_e32 v72, 0x3fb8aa3b, v72
	v_mul_f32_e32 v74, 0x3fb8aa3b, v74
	v_fma_f32 v80, s19, v133, -v71
	s_delay_alu instid0(VALU_DEP_4) | instskip(NEXT) | instid1(VALU_DEP_4)
	v_dual_mul_f32 v76, 0x3fb8aa3b, v76 :: v_dual_mul_f32 v77, 0x3fb8aa3b, v77
	v_exp_f32_e32 v72, v72
	s_delay_alu instid0(VALU_DEP_3) | instskip(NEXT) | instid1(VALU_DEP_2)
	v_exp_f32_e32 v74, v74
	v_mul_f32_e32 v82, 0x3fb8aa3b, v80
	s_delay_alu instid0(VALU_DEP_2) | instskip(SKIP_1) | instid1(VALU_DEP_1)
	v_exp_f32_e32 v76, v76
	v_exp_f32_e32 v77, v77
	;; [unrolled: 1-line block ×3, first 2 shown]
	v_cndmask_b32_e32 v79, 0, v72, vcc_lo
	v_fma_f32 v72, s19, v132, -v71
	v_mul_f32_e32 v75, 0x3fb8aa3b, v75
	v_cndmask_b32_e64 v78, 0, v74, s3
	s_delay_alu instid0(TRANS32_DEP_3)
	v_cndmask_b32_e64 v80, 0, v76, s5
	v_add_f32_e32 v74, 0, v79
	v_mul_f32_e32 v72, 0x3fb8aa3b, v72
	v_exp_f32_e32 v75, v75
	v_cndmask_b32_e64 v83, 0, v77, s6
	v_cndmask_b32_e64 v85, 0, v84, s8
	v_add_f32_e32 v74, v74, v78
	v_exp_f32_e32 v72, v72
	v_cmp_gt_u32_e64 s3, 16, v70
	s_waitcnt_depctr 0xfff
	v_cndmask_b32_e64 v81, 0, v75, s4
	v_cndmask_b32_e64 v82, 0, v72, s7
	s_delay_alu instid0(VALU_DEP_2) | instskip(NEXT) | instid1(VALU_DEP_1)
	v_add_f32_e32 v74, v74, v81
	v_add_f32_e32 v74, v74, v80
	s_delay_alu instid0(VALU_DEP_1) | instskip(SKIP_4) | instid1(VALU_DEP_4)
	v_add_f32_e32 v72, v74, v83
	v_fma_f32 v75, s19, v134, -v71
	v_fma_f32 v76, s19, v119, -v71
	;; [unrolled: 1-line block ×4, first 2 shown]
	v_dual_add_f32 v72, v72, v82 :: v_dual_mul_f32 v75, 0x3fb8aa3b, v75
	s_delay_alu instid0(VALU_DEP_3) | instskip(SKIP_1) | instid1(VALU_DEP_3)
	v_dual_mul_f32 v76, 0x3fb8aa3b, v76 :: v_dual_mul_f32 v77, 0x3fb8aa3b, v77
	v_fma_f32 v86, s19, v122, -v71
	v_add_f32_e32 v72, v72, v85
	s_delay_alu instid0(VALU_DEP_4) | instskip(NEXT) | instid1(VALU_DEP_3)
	v_exp_f32_e32 v75, v75
	v_exp_f32_e32 v76, v76
	;; [unrolled: 1-line block ×3, first 2 shown]
	v_mul_f32_e32 v86, 0x3fb8aa3b, v86
	s_delay_alu instid0(VALU_DEP_1) | instskip(SKIP_3) | instid1(TRANS32_DEP_3)
	v_exp_f32_e32 v88, v86
	v_cndmask_b32_e64 v84, 0, v75, s9
	v_fma_f32 v75, s19, v123, -v71
	v_mul_f32_e32 v74, 0x3fb8aa3b, v74
	v_cndmask_b32_e64 v87, 0, v76, s10
	v_fma_f32 v76, s19, v124, -v71
	s_delay_alu instid0(VALU_DEP_4) | instskip(NEXT) | instid1(VALU_DEP_4)
	v_dual_add_f32 v72, v72, v84 :: v_dual_mul_f32 v75, 0x3fb8aa3b, v75
	v_exp_f32_e32 v74, v74
	v_cndmask_b32_e64 v86, 0, v77, s11
	v_fma_f32 v77, s19, v125, -v71
	s_delay_alu instid0(VALU_DEP_3) | instskip(SKIP_3) | instid1(VALU_DEP_3)
	v_add_f32_e32 v72, v72, v87
	v_mul_f32_e32 v76, 0x3fb8aa3b, v76
	v_exp_f32_e32 v75, v75
	v_cndmask_b32_e64 v88, 0, v88, s13
	v_add_f32_e32 v72, v72, v86
	s_delay_alu instid0(VALU_DEP_3) | instskip(NEXT) | instid1(TRANS32_DEP_3)
	v_exp_f32_e32 v76, v76
	v_cndmask_b32_e64 v89, 0, v74, s12
	v_mul_f32_e32 v74, 0x3fb8aa3b, v77
	v_fma_f32 v77, s19, v126, -v71
	s_delay_alu instid0(VALU_DEP_3) | instskip(NEXT) | instid1(VALU_DEP_3)
	v_add_f32_e32 v72, v72, v89
	v_exp_f32_e32 v74, v74
	s_delay_alu instid0(TRANS32_DEP_3) | instskip(NEXT) | instid1(VALU_DEP_3)
	v_cndmask_b32_e64 v91, 0, v75, s15
	v_mul_f32_e32 v75, 0x3fb8aa3b, v77
	s_delay_alu instid0(TRANS32_DEP_2) | instskip(SKIP_1) | instid1(VALU_DEP_3)
	v_cndmask_b32_e64 v90, 0, v76, s16
	v_add_f32_e32 v72, v72, v88
	v_exp_f32_e32 v75, v75
	s_delay_alu instid0(VALU_DEP_1) | instskip(NEXT) | instid1(TRANS32_DEP_2)
	v_add_f32_e32 v72, v72, v91
	v_cndmask_b32_e64 v93, 0, v74, s17
	s_delay_alu instid0(VALU_DEP_2) | instskip(SKIP_3) | instid1(VALU_DEP_1)
	v_add_f32_e32 v72, v72, v90
	s_waitcnt_depctr 0xfff
	v_cndmask_b32_e64 v92, 0, v75, s18
	v_add_f32_e32 v72, v72, v93
	v_add_f32_e32 v72, v72, v92
	ds_bpermute_b32 v73, v73, v72
	s_and_saveexec_b32 s4, s3
	s_cbranch_execz .LBB1158_12
; %bb.11:
	v_mul_u32_u24_e32 v70, 0x44, v69
	s_waitcnt lgkmcnt(0)
	v_add_f32_e32 v72, v72, v73
	s_delay_alu instid0(VALU_DEP_2) | instskip(NEXT) | instid1(VALU_DEP_1)
	v_lshl_add_u32 v70, v68, 2, v70
	v_add_nc_u32_e32 v70, 0x4000, v70
	ds_store_2addr_b32 v70, v71, v72 offset1:136
.LBB1158_12:
	s_or_b32 exec_lo, exec_lo, s4
	v_lshlrev_b32_e32 v70, 2, v68
	s_load_b32 s36, s[0:1], 0x94
	s_waitcnt lgkmcnt(0)
	s_barrier
	buffer_gl0_inv
	v_add_nc_u32_e32 v98, 0x4000, v70
	v_cmp_eq_u32_e32 vcc_lo, 1, v69
	v_cmp_eq_u32_e64 s4, 2, v69
	v_cmp_eq_u32_e64 s5, 3, v69
	v_cmp_eq_u32_e64 s6, 4, v69
	ds_load_2addr_b32 v[70:71], v98 offset1:17
	ds_load_2addr_b32 v[72:73], v98 offset0:34 offset1:51
	ds_load_2addr_b32 v[74:75], v98 offset0:68 offset1:85
	;; [unrolled: 1-line block ×3, first 2 shown]
	v_cmp_eq_u32_e64 s7, 5, v69
	v_cmp_eq_u32_e64 s8, 7, v69
	s_waitcnt lgkmcnt(3)
	v_max3_f32 v76, v70, 0xff7fffff, v71
	s_waitcnt lgkmcnt(2)
	s_delay_alu instid0(VALU_DEP_1) | instskip(SKIP_1) | instid1(VALU_DEP_1)
	v_max3_f32 v76, v76, v72, v73
	s_waitcnt lgkmcnt(1)
	v_max3_f32 v76, v76, v74, v75
	s_waitcnt lgkmcnt(0)
	s_delay_alu instid0(VALU_DEP_1) | instskip(NEXT) | instid1(VALU_DEP_1)
	v_max3_f32 v76, v76, v94, v95
	v_sub_f32_e32 v77, v71, v76
	ds_load_2addr_b32 v[96:97], v98 offset0:136 offset1:153
	v_sub_f32_e32 v74, v74, v76
	v_sub_f32_e32 v70, v70, v76
	;; [unrolled: 1-line block ×3, first 2 shown]
	v_dual_sub_f32 v72, v72, v76 :: v_dual_mul_f32 v77, 0x3fb8aa3b, v77
	s_delay_alu instid0(VALU_DEP_4) | instskip(NEXT) | instid1(VALU_DEP_4)
	v_mul_f32_e32 v103, 0x3fb8aa3b, v74
	v_mul_f32_e32 v99, 0x3fb8aa3b, v70
	ds_load_2addr_b32 v[70:71], v98 offset0:170 offset1:187
	v_dual_mul_f32 v101, 0x3fb8aa3b, v72 :: v_dual_mul_f32 v94, 0x3fb8aa3b, v94
	v_exp_f32_e32 v102, v77
	v_exp_f32_e32 v99, v99
	s_delay_alu instid0(VALU_DEP_1) | instskip(NEXT) | instid1(VALU_DEP_1)
	v_exp_f32_e32 v101, v101
	v_exp_f32_e32 v94, v94
	s_waitcnt lgkmcnt(1)
	s_delay_alu instid0(TRANS32_DEP_3)
	v_fma_f32 v77, v99, v96, 0
	v_sub_f32_e32 v100, v73, v76
	ds_load_2addr_b32 v[72:73], v98 offset0:204 offset1:221
	v_fmac_f32_e32 v77, v102, v97
	v_exp_f32_e32 v97, v103
	s_waitcnt lgkmcnt(1)
	s_delay_alu instid0(VALU_DEP_1)
	v_dual_fmac_f32 v77, v101, v70 :: v_dual_sub_f32 v96, v75, v76
	ds_load_2addr_b32 v[74:75], v98 offset0:238 offset1:255
	v_sub_f32_e32 v70, v95, v76
	s_waitcnt lgkmcnt(0)
	s_barrier
	v_mul_f32_e32 v96, 0x3fb8aa3b, v96
	buffer_gl0_inv
	v_exp_f32_e32 v95, v96
	v_mul_f32_e32 v100, 0x3fb8aa3b, v100
	s_delay_alu instid0(VALU_DEP_1) | instskip(SKIP_3) | instid1(VALU_DEP_2)
	v_exp_f32_e32 v100, v100
	s_waitcnt_depctr 0xfff
	v_dual_fmac_f32 v77, v100, v71 :: v_dual_mul_f32 v70, 0x3fb8aa3b, v70
	v_cndmask_b32_e32 v71, v99, v102, vcc_lo
	v_fmac_f32_e32 v77, v97, v72
	s_delay_alu instid0(VALU_DEP_3) | instskip(NEXT) | instid1(VALU_DEP_1)
	v_exp_f32_e32 v96, v70
	v_fmac_f32_e32 v77, v95, v73
	s_delay_alu instid0(VALU_DEP_1) | instskip(SKIP_2) | instid1(VALU_DEP_1)
	v_fmac_f32_e32 v77, v94, v74
	s_waitcnt_depctr 0xfff
	v_fmac_f32_e32 v77, v96, v75
	v_add_f32_e32 v74, 0x358637bd, v77
	s_delay_alu instid0(VALU_DEP_1) | instskip(SKIP_1) | instid1(VALU_DEP_2)
	v_div_scale_f32 v98, null, v74, v74, 1.0
	v_div_scale_f32 v99, vcc_lo, 1.0, v74, 1.0
	v_rcp_f32_e32 v103, v98
	s_waitcnt_depctr 0xfff
	v_fma_f32 v70, -v98, v103, 1.0
	s_delay_alu instid0(VALU_DEP_1) | instskip(SKIP_2) | instid1(VALU_DEP_2)
	v_fmac_f32_e32 v103, v70, v103
	v_cndmask_b32_e64 v70, v71, v101, s4
	v_cmp_eq_u32_e64 s4, 6, v69
	v_cndmask_b32_e64 v71, v70, v100, s5
	s_delay_alu instid0(VALU_DEP_4) | instskip(NEXT) | instid1(VALU_DEP_2)
	v_dual_mul_f32 v101, v99, v103 :: v_dual_lshlrev_b32 v70, 2, v66
	v_cndmask_b32_e64 v71, v71, v97, s6
	s_delay_alu instid0(VALU_DEP_2) | instskip(NEXT) | instid1(VALU_DEP_3)
	v_or_b32_e32 v72, 1, v70
	v_fma_f32 v100, -v98, v101, v99
	v_cmp_eq_u32_e64 s5, 1, v70
	v_cmp_eq_u32_e64 s6, 2, v70
	v_cndmask_b32_e64 v95, v71, v95, s7
	v_or_b32_e32 v71, 3, v70
	v_fmac_f32_e32 v101, v100, v103
	v_cmp_eq_u32_e64 s10, 1, v72
	v_cmp_eq_u32_e64 s13, 2, v72
	v_cndmask_b32_e64 v94, v95, v94, s4
	v_cmp_eq_u32_e64 s12, 1, v71
	v_fma_f32 v97, -v98, v101, v99
	v_cmp_eq_u32_e64 s17, 2, v71
	v_cmp_eq_u32_e64 s15, 3, v72
	v_cndmask_b32_e64 v94, v94, v96, s8
	v_cmp_eq_u32_e64 s19, 3, v71
	v_div_fmas_f32 v95, v97, v103, v101
	v_cmp_eq_u32_e32 vcc_lo, 3, v70
	v_cmp_eq_u32_e64 s4, 4, v70
	v_cmp_eq_u32_e64 s20, 4, v72
	;; [unrolled: 1-line block ×3, first 2 shown]
	v_div_fixup_f32 v95, v95, v74, 1.0
	v_lshlrev_b32_e32 v73, 6, v68
	v_cmp_eq_u32_e64 s7, 5, v70
	v_cmp_eq_u32_e64 s21, 5, v72
	;; [unrolled: 1-line block ×3, first 2 shown]
	v_mul_f32_e32 v102, v94, v95
	v_lshl_or_b32 v75, v69, 11, v73
	v_or_b32_e32 v69, 2, v70
	v_cmp_eq_u32_e64 s26, 6, v72
	v_cmp_eq_u32_e64 s28, 6, v71
	v_fma_mixlo_f16 v94, v102, v79, 0
	v_fma_mixlo_f16 v95, v102, v81, 0
	;; [unrolled: 1-line block ×8, first 2 shown]
	v_lshl_or_b32 v74, v66, 4, v75
	v_fma_mixhi_f16 v94, v102, v78, 0
	v_fma_mixhi_f16 v95, v102, v80, 0
	;; [unrolled: 1-line block ×8, first 2 shown]
	ds_store_b128 v74, v[94:97]
	ds_store_b128 v74, v[98:101] offset:1024
	s_waitcnt lgkmcnt(0)
	s_barrier
	buffer_gl0_inv
	ds_load_b128 v[78:81], v75
	ds_load_b128 v[82:85], v75 offset:16
	ds_load_b128 v[86:89], v75 offset:1024
	;; [unrolled: 1-line block ×3, first 2 shown]
	v_cmp_eq_u32_e64 s11, 1, v69
	v_cmp_eq_u32_e64 s16, 2, v69
	;; [unrolled: 1-line block ×11, first 2 shown]
	s_waitcnt lgkmcnt(3)
	v_lshrrev_b32_e32 v94, 16, v78
	s_waitcnt lgkmcnt(2)
	v_lshrrev_b32_e32 v98, 16, v82
	;; [unrolled: 2-line block ×4, first 2 shown]
	v_lshrrev_b32_e32 v95, 16, v79
	v_cndmask_b32_e64 v110, v78, v94, s5
	v_cndmask_b32_e64 v111, v82, v98, s5
	;; [unrolled: 1-line block ×8, first 2 shown]
	v_lshrrev_b32_e32 v99, 16, v83
	v_cndmask_b32_e64 v94, v86, v102, s5
	v_cndmask_b32_e64 v98, v90, v106, s5
	;; [unrolled: 1-line block ×15, first 2 shown]
	v_lshrrev_b32_e32 v103, 16, v87
	v_lshrrev_b32_e32 v107, 16, v91
	v_cndmask_b32_e64 v113, v115, v83, s16
	v_cndmask_b32_e64 v82, v94, v87, s6
	;; [unrolled: 1-line block ×7, first 2 shown]
	v_cndmask_b32_e32 v90, v102, v95, vcc_lo
	v_cndmask_b32_e32 v102, v106, v99, vcc_lo
	v_cndmask_b32_e64 v106, v110, v95, s15
	v_cndmask_b32_e64 v110, v111, v99, s15
	;; [unrolled: 1-line block ×4, first 2 shown]
	v_lshrrev_b32_e32 v96, 16, v80
	v_lshrrev_b32_e32 v100, 16, v84
	v_cndmask_b32_e64 v111, v112, v95, s18
	v_cndmask_b32_e64 v112, v113, v99, s18
	v_cndmask_b32_e32 v82, v82, v103, vcc_lo
	v_cndmask_b32_e32 v83, v83, v107, vcc_lo
	v_cndmask_b32_e64 v94, v94, v103, s15
	v_cndmask_b32_e64 v90, v90, v80, s4
	;; [unrolled: 1-line block ×7, first 2 shown]
	v_lshrrev_b32_e32 v104, 16, v88
	v_cndmask_b32_e64 v106, v111, v80, s22
	v_cndmask_b32_e64 v110, v112, v84, s22
	;; [unrolled: 1-line block ×11, first 2 shown]
	v_lshrrev_b32_e32 v97, 16, v81
	v_lshrrev_b32_e32 v101, 16, v85
	v_cndmask_b32_e64 v99, v106, v96, s24
	v_cndmask_b32_e64 v102, v110, v100, s24
	;; [unrolled: 1-line block ×7, first 2 shown]
	v_lshrrev_b32_e32 v105, 16, v89
	v_cndmask_b32_e64 v80, v80, v104, s7
	v_cndmask_b32_e64 v84, v84, v81, s8
	;; [unrolled: 1-line block ×16, first 2 shown]
	v_perm_b32 v81, v79, v78, 0x5040100
	v_perm_b32 v79, v95, v85, 0x5040100
	v_cndmask_b32_e64 v78, v119, v91, s16
	v_cndmask_b32_e64 v85, v117, v91, s13
	;; [unrolled: 1-line block ×3, first 2 shown]
	v_perm_b32 v80, v94, v90, 0x5040100
	v_cndmask_b32_e64 v90, v98, v103, s18
	v_cndmask_b32_e64 v86, v86, v103, s19
	;; [unrolled: 1-line block ×5, first 2 shown]
	v_lshrrev_b32_e32 v108, 16, v92
	v_cndmask_b32_e64 v90, v90, v88, s22
	v_cndmask_b32_e64 v86, v86, v88, s23
	;; [unrolled: 1-line block ×11, first 2 shown]
	v_lshrrev_b32_e32 v109, 16, v93
	v_cndmask_b32_e64 v82, v82, v93, s8
	v_cndmask_b32_e64 v88, v88, v89, s27
	;; [unrolled: 1-line block ×12, first 2 shown]
	v_perm_b32 v78, v84, v83, 0x5040100
	v_perm_b32 v85, v87, v86, 0x5040100
	;; [unrolled: 1-line block ×5, first 2 shown]
	s_mul_i32 s9, s35, 9
	s_mov_b32 s4, exec_lo
	ds_store_b128 v74, v[78:81]
	ds_store_b128 v74, v[82:85] offset:1024
	v_cmpx_gt_u32_e32 9, v0
	s_cbranch_execz .LBB1158_14
; %bb.13:
	s_mul_i32 s5, s9, s34
	s_load_b128 s[16:19], s[0:1], 0x58
	v_add3_u32 v68, s5, s33, v68
	s_delay_alu instid0(VALU_DEP_1) | instskip(NEXT) | instid1(VALU_DEP_1)
	v_mad_u64_u32 v[78:79], null, v68, s36, s[14:15]
	v_ashrrev_i32_e32 v79, 31, v78
	s_delay_alu instid0(VALU_DEP_1) | instskip(SKIP_1) | instid1(VALU_DEP_1)
	v_lshlrev_b64 v[78:79], 2, v[78:79]
	s_waitcnt lgkmcnt(0)
	v_add_co_u32 v80, vcc_lo, s18, v78
	s_delay_alu instid0(VALU_DEP_2)
	v_add_co_ci_u32_e32 v81, vcc_lo, s19, v79, vcc_lo
	v_add_co_u32 v78, vcc_lo, s16, v78
	v_add_co_ci_u32_e32 v79, vcc_lo, s17, v79, vcc_lo
	global_store_b32 v[80:81], v76, off
	global_store_b32 v[78:79], v77, off
.LBB1158_14:
	s_or_b32 exec_lo, exec_lo, s4
	s_waitcnt lgkmcnt(0)
	s_waitcnt_vscnt null, 0x0
	s_barrier
	buffer_gl0_inv
	ds_load_b128 v[84:87], v73
	ds_load_b128 v[88:91], v73 offset:16
	ds_load_b128 v[96:99], v73 offset:2064
	;; [unrolled: 1-line block ×5, first 2 shown]
	v_cmp_eq_u32_e32 vcc_lo, 1, v70
	v_mov_b32_e32 v76, 0
	ds_load_b128 v[112:115], v73 offset:6160
	ds_load_b128 v[108:111], v73 offset:6144
	;; [unrolled: 1-line block ×4, first 2 shown]
	v_cmp_eq_u32_e64 s5, 1, v69
	v_cmp_eq_u32_e64 s4, 1, v72
	;; [unrolled: 1-line block ×3, first 2 shown]
	v_mov_b32_e32 v77, v76
	v_mov_b32_e32 v78, v76
	;; [unrolled: 1-line block ×7, first 2 shown]
	v_cmp_eq_u32_e64 s7, 3, v72
	v_cmp_eq_u32_e64 s8, 7, v72
	s_waitcnt lgkmcnt(8)
	s_delay_alu instid0(VALU_DEP_3)
	v_wmma_f32_16x16x16_f16 v[76:83], v[49:56], v[84:91], v[76:83]
	ds_load_b128 v[53:56], v73 offset:10256
	ds_load_b128 v[49:52], v73 offset:10240
	s_waitcnt lgkmcnt(8)
	v_wmma_f32_16x16x16_f16 v[76:83], v[41:48], v[92:99], v[76:83]
	ds_load_b128 v[45:48], v73 offset:12304
	ds_load_b128 v[41:44], v73 offset:12288
	s_waitcnt lgkmcnt(8)
	;; [unrolled: 4-line block ×3, first 2 shown]
	s_barrier
	buffer_gl0_inv
	v_wmma_f32_16x16x16_f16 v[76:83], v[1:8], v[108:115], v[76:83]
	s_delay_alu instid0(VALU_DEP_1) | instskip(NEXT) | instid1(VALU_DEP_1)
	v_wmma_f32_16x16x16_f16 v[76:83], v[9:16], v[116:123], v[76:83]
	v_wmma_f32_16x16x16_f16 v[76:83], v[17:24], v[49:56], v[76:83]
	s_delay_alu instid0(VALU_DEP_1) | instskip(NEXT) | instid1(VALU_DEP_1)
	v_wmma_f32_16x16x16_f16 v[76:83], v[25:32], v[41:48], v[76:83]
	v_wmma_f32_16x16x16_f16 v[76:83], v[57:64], v[33:40], v[76:83]
	s_delay_alu instid0(VALU_DEP_1) | instskip(NEXT) | instid1(VALU_DEP_2)
	v_cvt_f16_f32_e32 v1, v76
	v_cvt_f16_f32_e32 v2, v77
	s_delay_alu instid0(VALU_DEP_3) | instskip(NEXT) | instid1(VALU_DEP_4)
	v_cvt_f16_f32_e32 v3, v78
	v_cvt_f16_f32_e32 v4, v79
	;; [unrolled: 1-line block ×6, first 2 shown]
	v_pack_b32_f16 v1, v1, v2
	v_pack_b32_f16 v2, v3, v4
	;; [unrolled: 1-line block ×3, first 2 shown]
	s_delay_alu instid0(VALU_DEP_4)
	v_pack_b32_f16 v4, v7, v8
	ds_store_b128 v74, v[1:4]
	s_waitcnt lgkmcnt(0)
	s_barrier
	buffer_gl0_inv
	ds_load_b128 v[1:4], v75
	ds_load_b128 v[5:8], v75 offset:16
	s_waitcnt lgkmcnt(1)
	v_lshrrev_b32_e32 v9, 16, v1
	s_waitcnt lgkmcnt(0)
	v_lshrrev_b32_e32 v13, 16, v5
	v_lshrrev_b32_e32 v10, 16, v2
	;; [unrolled: 1-line block ×4, first 2 shown]
	v_cndmask_b32_e32 v17, v1, v9, vcc_lo
	v_cndmask_b32_e32 v18, v5, v13, vcc_lo
	v_cndmask_b32_e64 v21, v1, v9, s5
	v_cmp_eq_u32_e32 vcc_lo, 1, v71
	v_cndmask_b32_e64 v22, v5, v13, s5
	v_cmp_eq_u32_e64 s5, 2, v70
	v_cndmask_b32_e64 v19, v1, v9, s4
	v_cndmask_b32_e64 v20, v5, v13, s4
	v_cndmask_b32_e32 v1, v1, v9, vcc_lo
	v_cmp_eq_u32_e64 s4, 2, v71
	v_cndmask_b32_e32 v5, v5, v13, vcc_lo
	v_cndmask_b32_e64 v9, v17, v2, s5
	v_cmp_eq_u32_e32 vcc_lo, 3, v70
	v_cndmask_b32_e64 v13, v18, v6, s5
	v_cmp_eq_u32_e64 s5, 2, v69
	v_cndmask_b32_e64 v17, v19, v2, s6
	v_cndmask_b32_e64 v18, v20, v6, s6
	v_cmp_eq_u32_e64 s6, 3, v69
	v_cndmask_b32_e64 v1, v1, v2, s4
	v_cndmask_b32_e64 v19, v21, v2, s5
	;; [unrolled: 1-line block ×4, first 2 shown]
	v_cndmask_b32_e32 v5, v9, v10, vcc_lo
	v_cndmask_b32_e32 v6, v13, v14, vcc_lo
	v_cmp_eq_u32_e32 vcc_lo, 3, v71
	v_cndmask_b32_e64 v9, v17, v10, s7
	v_cndmask_b32_e64 v13, v18, v14, s7
	;; [unrolled: 1-line block ×3, first 2 shown]
	v_cmp_eq_u32_e64 s5, 4, v70
	v_cndmask_b32_e32 v1, v1, v10, vcc_lo
	v_cndmask_b32_e32 v2, v2, v14, vcc_lo
	v_cmp_eq_u32_e32 vcc_lo, 4, v72
	v_lshrrev_b32_e32 v15, 16, v7
	v_lshrrev_b32_e32 v16, 16, v8
	v_cndmask_b32_e64 v17, v19, v10, s6
	v_cmp_eq_u32_e64 s4, 4, v71
	v_cndmask_b32_e64 v5, v5, v3, s5
	v_cndmask_b32_e64 v6, v6, v7, s5
	v_cndmask_b32_e32 v9, v9, v3, vcc_lo
	v_cmp_eq_u32_e64 s5, 5, v72
	v_cndmask_b32_e32 v10, v13, v7, vcc_lo
	v_cmp_eq_u32_e32 vcc_lo, 4, v69
	v_cmp_eq_u32_e64 s6, 5, v70
	v_cndmask_b32_e64 v2, v2, v7, s4
	v_cndmask_b32_e64 v9, v9, v11, s5
	;; [unrolled: 1-line block ×3, first 2 shown]
	v_cndmask_b32_e32 v13, v17, v3, vcc_lo
	v_cmp_eq_u32_e64 s5, 5, v69
	v_cndmask_b32_e32 v14, v18, v7, vcc_lo
	v_cndmask_b32_e64 v1, v1, v3, s4
	v_cmp_eq_u32_e32 vcc_lo, 5, v71
	v_lshrrev_b32_e32 v12, 16, v4
	v_cndmask_b32_e64 v13, v13, v11, s5
	v_cndmask_b32_e64 v3, v14, v15, s5
	v_cmp_eq_u32_e64 s5, 6, v71
	v_cndmask_b32_e32 v1, v1, v11, vcc_lo
	v_cndmask_b32_e64 v5, v5, v11, s6
	v_cmp_eq_u32_e64 s7, 6, v70
	v_cndmask_b32_e64 v6, v6, v15, s6
	v_cmp_eq_u32_e64 s6, 6, v72
	v_cmp_eq_u32_e64 s4, 6, v69
	v_cndmask_b32_e64 v1, v1, v4, s5
	v_cndmask_b32_e32 v2, v2, v15, vcc_lo
	v_cmp_eq_u32_e32 vcc_lo, 7, v71
	v_cndmask_b32_e64 v5, v5, v4, s7
	v_cndmask_b32_e64 v9, v9, v4, s6
	;; [unrolled: 1-line block ×3, first 2 shown]
	v_cmp_eq_u32_e64 s7, 7, v70
	v_cndmask_b32_e32 v1, v1, v12, vcc_lo
	v_cndmask_b32_e64 v7, v13, v4, s4
	v_cndmask_b32_e64 v3, v3, v8, s4
	;; [unrolled: 1-line block ×3, first 2 shown]
	v_cmp_eq_u32_e64 s4, 7, v69
	v_cndmask_b32_e64 v4, v10, v8, s6
	v_cndmask_b32_e64 v5, v5, v12, s7
	;; [unrolled: 1-line block ×3, first 2 shown]
	v_cndmask_b32_e32 v2, v2, v16, vcc_lo
	v_cndmask_b32_e64 v7, v7, v12, s4
	v_cndmask_b32_e64 v3, v3, v16, s4
	;; [unrolled: 1-line block ×4, first 2 shown]
	v_cmp_gt_u32_e32 vcc_lo, 32, v0
	v_perm_b32 v4, v2, v1, 0x5040100
	v_perm_b32 v3, v3, v7, 0x5040100
	;; [unrolled: 1-line block ×4, first 2 shown]
	s_and_b32 s2, vcc_lo, s2
	ds_store_b128 v74, v[1:4]
	s_waitcnt lgkmcnt(0)
	s_barrier
	buffer_gl0_inv
	s_and_saveexec_b32 s4, s2
	s_cbranch_execz .LBB1158_2
; %bb.15:
	s_load_b64 s[4:5], s[0:1], 0x68
	v_lshlrev_b32_e32 v0, 10, v0
	v_lshlrev_b32_e32 v1, 4, v67
	s_lshl_b32 s0, s36, 6
	v_add_nc_u32_e32 v2, s33, v66
	s_mul_i32 s1, s0, s34
	s_delay_alu instid0(SALU_CYCLE_1) | instskip(SKIP_1) | instid1(VALU_DEP_2)
	s_mul_i32 s6, s1, s9
	v_and_or_b32 v0, 0x3800, v0, v1
	v_mul_lo_u32 v1, v2, s0
	s_ashr_i32 s7, s6, 31
	v_add_nc_u32_e32 v3, 2, v2
	s_lshl_b64 s[6:7], s[6:7], 1
	v_add_nc_u32_e32 v4, 4, v2
	v_add_nc_u32_e32 v5, 6, v2
	v_lshl_or_b32 v15, v66, 6, v0
	v_mul_lo_u32 v3, v3, s0
	v_ashrrev_i32_e32 v2, 31, v1
	v_mul_lo_u32 v19, v4, s0
	v_mul_lo_u32 v21, v5, s0
	s_waitcnt lgkmcnt(0)
	s_add_u32 s1, s4, s6
	s_addc_u32 s2, s5, s7
	s_lshl_b32 s4, s14, 6
	v_lshlrev_b64 v[5:6], 1, v[1:2]
	s_ashr_i32 s5, s4, 31
	v_ashrrev_i32_e32 v4, 31, v3
	s_lshl_b64 s[4:5], s[4:5], 1
	v_ashrrev_i32_e32 v20, 31, v19
	s_add_u32 s1, s1, s4
	s_addc_u32 s2, s2, s5
	v_add_co_u32 v1, s1, s1, v65
	s_delay_alu instid0(VALU_DEP_1) | instskip(SKIP_1) | instid1(VALU_DEP_3)
	v_add_co_ci_u32_e64 v2, null, s2, 0, s1
	v_lshlrev_b64 v[25:26], 1, v[3:4]
	v_add_co_u32 v23, vcc_lo, v1, v5
	s_delay_alu instid0(VALU_DEP_3)
	v_add_co_ci_u32_e32 v24, vcc_lo, v2, v6, vcc_lo
	ds_load_b128 v[3:6], v15
	ds_load_b128 v[7:10], v15 offset:128
	ds_load_b128 v[11:14], v15 offset:256
	;; [unrolled: 1-line block ×3, first 2 shown]
	v_ashrrev_i32_e32 v22, 31, v21
	v_lshlrev_b64 v[19:20], 1, v[19:20]
	v_add_co_u32 v25, vcc_lo, v1, v25
	v_add_co_ci_u32_e32 v26, vcc_lo, v2, v26, vcc_lo
	s_delay_alu instid0(VALU_DEP_4) | instskip(NEXT) | instid1(VALU_DEP_4)
	v_lshlrev_b64 v[21:22], 1, v[21:22]
	v_add_co_u32 v19, vcc_lo, v1, v19
	v_add_co_ci_u32_e32 v20, vcc_lo, v2, v20, vcc_lo
	s_delay_alu instid0(VALU_DEP_3) | instskip(NEXT) | instid1(VALU_DEP_4)
	v_add_co_u32 v21, vcc_lo, v1, v21
	v_add_co_ci_u32_e32 v22, vcc_lo, v2, v22, vcc_lo
	s_waitcnt lgkmcnt(3)
	global_store_b128 v[23:24], v[3:6], off
	s_waitcnt lgkmcnt(2)
	global_store_b128 v[25:26], v[7:10], off
	;; [unrolled: 2-line block ×4, first 2 shown]
	s_and_b32 exec_lo, exec_lo, s3
	s_cbranch_execz .LBB1158_2
; %bb.16:
	ds_load_b128 v[3:6], v0 offset:512
	s_add_i32 s1, s33, 8
	s_delay_alu instid0(SALU_CYCLE_1) | instskip(NEXT) | instid1(SALU_CYCLE_1)
	s_mul_i32 s0, s1, s0
	s_ashr_i32 s1, s0, 31
	s_delay_alu instid0(SALU_CYCLE_1) | instskip(NEXT) | instid1(SALU_CYCLE_1)
	s_lshl_b64 s[0:1], s[0:1], 1
	v_add_co_u32 v0, vcc_lo, v1, s0
	v_add_co_ci_u32_e32 v1, vcc_lo, s1, v2, vcc_lo
	s_waitcnt lgkmcnt(0)
	global_store_b128 v[0:1], v[3:6], off
	s_nop 0
	s_sendmsg sendmsg(MSG_DEALLOC_VGPRS)
	s_endpgm
	.section	.rodata,"a",@progbits
	.p2align	6, 0x0
	.amdhsa_kernel _Z39paged_attention_ll4mi_QKV_mfma16_kernelIDF16_hLN4vllm18Fp8KVCacheDataTypeE1EhLi32ELi64ELi256ELb1ELi9EL8MFMAType0EEvPKT_PKT0_S8_ifPKiSA_SA_iPKfiiiPfSD_PS3_PT2_iSC_SC_
		.amdhsa_group_segment_fixed_size 17472
		.amdhsa_private_segment_fixed_size 0
		.amdhsa_kernarg_size 400
		.amdhsa_user_sgpr_count 13
		.amdhsa_user_sgpr_dispatch_ptr 0
		.amdhsa_user_sgpr_queue_ptr 0
		.amdhsa_user_sgpr_kernarg_segment_ptr 1
		.amdhsa_user_sgpr_dispatch_id 0
		.amdhsa_user_sgpr_private_segment_size 0
		.amdhsa_wavefront_size32 1
		.amdhsa_uses_dynamic_stack 0
		.amdhsa_enable_private_segment 0
		.amdhsa_system_sgpr_workgroup_id_x 1
		.amdhsa_system_sgpr_workgroup_id_y 1
		.amdhsa_system_sgpr_workgroup_id_z 1
		.amdhsa_system_sgpr_workgroup_info 0
		.amdhsa_system_vgpr_workitem_id 0
		.amdhsa_next_free_vgpr 146
		.amdhsa_next_free_sgpr 37
		.amdhsa_reserve_vcc 1
		.amdhsa_float_round_mode_32 0
		.amdhsa_float_round_mode_16_64 0
		.amdhsa_float_denorm_mode_32 3
		.amdhsa_float_denorm_mode_16_64 3
		.amdhsa_dx10_clamp 1
		.amdhsa_ieee_mode 1
		.amdhsa_fp16_overflow 0
		.amdhsa_workgroup_processor_mode 1
		.amdhsa_memory_ordered 1
		.amdhsa_forward_progress 0
		.amdhsa_shared_vgpr_count 0
		.amdhsa_exception_fp_ieee_invalid_op 0
		.amdhsa_exception_fp_denorm_src 0
		.amdhsa_exception_fp_ieee_div_zero 0
		.amdhsa_exception_fp_ieee_overflow 0
		.amdhsa_exception_fp_ieee_underflow 0
		.amdhsa_exception_fp_ieee_inexact 0
		.amdhsa_exception_int_div_zero 0
	.end_amdhsa_kernel
	.section	.text._Z39paged_attention_ll4mi_QKV_mfma16_kernelIDF16_hLN4vllm18Fp8KVCacheDataTypeE1EhLi32ELi64ELi256ELb1ELi9EL8MFMAType0EEvPKT_PKT0_S8_ifPKiSA_SA_iPKfiiiPfSD_PS3_PT2_iSC_SC_,"axG",@progbits,_Z39paged_attention_ll4mi_QKV_mfma16_kernelIDF16_hLN4vllm18Fp8KVCacheDataTypeE1EhLi32ELi64ELi256ELb1ELi9EL8MFMAType0EEvPKT_PKT0_S8_ifPKiSA_SA_iPKfiiiPfSD_PS3_PT2_iSC_SC_,comdat
.Lfunc_end1158:
	.size	_Z39paged_attention_ll4mi_QKV_mfma16_kernelIDF16_hLN4vllm18Fp8KVCacheDataTypeE1EhLi32ELi64ELi256ELb1ELi9EL8MFMAType0EEvPKT_PKT0_S8_ifPKiSA_SA_iPKfiiiPfSD_PS3_PT2_iSC_SC_, .Lfunc_end1158-_Z39paged_attention_ll4mi_QKV_mfma16_kernelIDF16_hLN4vllm18Fp8KVCacheDataTypeE1EhLi32ELi64ELi256ELb1ELi9EL8MFMAType0EEvPKT_PKT0_S8_ifPKiSA_SA_iPKfiiiPfSD_PS3_PT2_iSC_SC_
                                        ; -- End function
	.section	.AMDGPU.csdata,"",@progbits
; Kernel info:
; codeLenInByte = 6584
; NumSgprs: 39
; NumVgprs: 146
; ScratchSize: 0
; MemoryBound: 0
; FloatMode: 240
; IeeeMode: 1
; LDSByteSize: 17472 bytes/workgroup (compile time only)
; SGPRBlocks: 4
; VGPRBlocks: 18
; NumSGPRsForWavesPerEU: 39
; NumVGPRsForWavesPerEU: 146
; Occupancy: 9
; WaveLimiterHint : 1
; COMPUTE_PGM_RSRC2:SCRATCH_EN: 0
; COMPUTE_PGM_RSRC2:USER_SGPR: 13
; COMPUTE_PGM_RSRC2:TRAP_HANDLER: 0
; COMPUTE_PGM_RSRC2:TGID_X_EN: 1
; COMPUTE_PGM_RSRC2:TGID_Y_EN: 1
; COMPUTE_PGM_RSRC2:TGID_Z_EN: 1
; COMPUTE_PGM_RSRC2:TIDIG_COMP_CNT: 0
	.section	.text._Z39paged_attention_ll4mi_QKV_mfma16_kernelIDF16_hLN4vllm18Fp8KVCacheDataTypeE1EhLi32ELi64ELi256ELb1ELi10EL8MFMAType0EEvPKT_PKT0_S8_ifPKiSA_SA_iPKfiiiPfSD_PS3_PT2_iSC_SC_,"axG",@progbits,_Z39paged_attention_ll4mi_QKV_mfma16_kernelIDF16_hLN4vllm18Fp8KVCacheDataTypeE1EhLi32ELi64ELi256ELb1ELi10EL8MFMAType0EEvPKT_PKT0_S8_ifPKiSA_SA_iPKfiiiPfSD_PS3_PT2_iSC_SC_,comdat
	.protected	_Z39paged_attention_ll4mi_QKV_mfma16_kernelIDF16_hLN4vllm18Fp8KVCacheDataTypeE1EhLi32ELi64ELi256ELb1ELi10EL8MFMAType0EEvPKT_PKT0_S8_ifPKiSA_SA_iPKfiiiPfSD_PS3_PT2_iSC_SC_ ; -- Begin function _Z39paged_attention_ll4mi_QKV_mfma16_kernelIDF16_hLN4vllm18Fp8KVCacheDataTypeE1EhLi32ELi64ELi256ELb1ELi10EL8MFMAType0EEvPKT_PKT0_S8_ifPKiSA_SA_iPKfiiiPfSD_PS3_PT2_iSC_SC_
	.globl	_Z39paged_attention_ll4mi_QKV_mfma16_kernelIDF16_hLN4vllm18Fp8KVCacheDataTypeE1EhLi32ELi64ELi256ELb1ELi10EL8MFMAType0EEvPKT_PKT0_S8_ifPKiSA_SA_iPKfiiiPfSD_PS3_PT2_iSC_SC_
	.p2align	8
	.type	_Z39paged_attention_ll4mi_QKV_mfma16_kernelIDF16_hLN4vllm18Fp8KVCacheDataTypeE1EhLi32ELi64ELi256ELb1ELi10EL8MFMAType0EEvPKT_PKT0_S8_ifPKiSA_SA_iPKfiiiPfSD_PS3_PT2_iSC_SC_,@function
_Z39paged_attention_ll4mi_QKV_mfma16_kernelIDF16_hLN4vllm18Fp8KVCacheDataTypeE1EhLi32ELi64ELi256ELb1ELi10EL8MFMAType0EEvPKT_PKT0_S8_ifPKiSA_SA_iPKfiiiPfSD_PS3_PT2_iSC_SC_: ; @_Z39paged_attention_ll4mi_QKV_mfma16_kernelIDF16_hLN4vllm18Fp8KVCacheDataTypeE1EhLi32ELi64ELi256ELb1ELi10EL8MFMAType0EEvPKT_PKT0_S8_ifPKiSA_SA_iPKfiiiPfSD_PS3_PT2_iSC_SC_
; %bb.0:
	s_load_b64 s[2:3], s[0:1], 0x30
	s_mov_b32 s34, s13
	s_waitcnt lgkmcnt(0)
	s_cmp_lg_u64 s[2:3], 0
	s_cselect_b32 s6, -1, 0
	s_ashr_i32 s35, s13, 31
	s_cmp_eq_u64 s[2:3], 0
	s_cbranch_scc1 .LBB1159_3
; %bb.1:
	s_lshl_b64 s[4:5], s[34:35], 2
	s_delay_alu instid0(SALU_CYCLE_1) | instskip(SKIP_4) | instid1(SALU_CYCLE_1)
	s_add_u32 s4, s2, s4
	s_addc_u32 s5, s3, s5
	s_load_b64 s[4:5], s[4:5], 0x0
	s_waitcnt lgkmcnt(0)
	s_sub_i32 s4, s5, s4
	s_cmp_eq_u32 s4, 1
	s_cselect_b32 s4, -1, 0
	s_delay_alu instid0(SALU_CYCLE_1)
	s_and_not1_b32 vcc_lo, exec_lo, s4
	s_cbranch_vccz .LBB1159_4
.LBB1159_2:
	s_endpgm
.LBB1159_3:
.LBB1159_4:
	s_load_b64 s[8:9], s[0:1], 0x28
	s_lshl_b64 s[4:5], s[34:35], 2
	s_waitcnt lgkmcnt(0)
	s_add_u32 s8, s8, s4
	s_addc_u32 s9, s9, s5
	s_lshl_b32 s16, s14, 8
	s_load_b32 s18, s[8:9], 0x0
	s_waitcnt lgkmcnt(0)
	s_cmp_ge_i32 s16, s18
	s_cbranch_scc1 .LBB1159_2
; %bb.5:
	s_clause 0x1
	s_load_b128 s[8:11], s[0:1], 0x8
	s_load_b64 s[12:13], s[0:1], 0x20
	s_and_not1_b32 vcc_lo, exec_lo, s6
	s_cbranch_vccnz .LBB1159_7
; %bb.6:
	s_add_u32 s2, s2, s4
	s_addc_u32 s3, s3, s5
	s_load_b32 s3, s[2:3], 0x0
	s_branch .LBB1159_8
.LBB1159_7:
	s_mov_b32 s3, s34
.LBB1159_8:
	s_load_b128 s[4:7], s[0:1], 0x48
	v_and_b32_e32 v68, 15, v0
	v_cmp_gt_u32_e32 vcc_lo, 0xa0, v0
	v_lshrrev_b32_e32 v69, 5, v0
	v_and_b32_e32 v70, 31, v0
	v_and_b32_e32 v67, 1, v0
	v_lshlrev_b32_e32 v1, 3, v68
	v_cmp_gt_u32_e64 s2, 8, v68
	v_bfe_u32 v66, v0, 4, 1
	s_mul_i32 s31, s15, 10
	s_delay_alu instid0(VALU_DEP_3) | instskip(NEXT) | instid1(VALU_DEP_3)
	v_lshlrev_b32_e32 v65, 1, v1
	s_and_b32 s17, vcc_lo, s2
	s_waitcnt lgkmcnt(0)
	s_and_saveexec_b32 s7, s17
	s_cbranch_execz .LBB1159_10
; %bb.9:
	s_load_b64 s[20:21], s[0:1], 0x0
	v_lshl_or_b32 v5, v69, 1, v66
	s_mul_hi_i32 s23, s3, s4
	s_mul_i32 s22, s3, s4
	v_lshlrev_b32_e32 v6, 10, v68
	s_lshl_b64 s[22:23], s[22:23], 1
	v_add_lshl_u32 v1, v5, s31, 6
	v_lshlrev_b32_e32 v5, 6, v5
	v_lshlrev_b32_e32 v7, 10, v67
	v_and_b32_e32 v6, 0x3800, v6
	s_delay_alu instid0(VALU_DEP_4) | instskip(NEXT) | instid1(VALU_DEP_2)
	v_ashrrev_i32_e32 v2, 31, v1
	v_or3_b32 v5, v6, v7, v5
	s_delay_alu instid0(VALU_DEP_2) | instskip(SKIP_3) | instid1(VALU_DEP_1)
	v_lshlrev_b64 v[1:2], 1, v[1:2]
	s_waitcnt lgkmcnt(0)
	s_add_u32 s3, s20, s22
	s_addc_u32 s4, s21, s23
	v_add_co_u32 v1, vcc_lo, s3, v1
	s_delay_alu instid0(VALU_DEP_2) | instskip(NEXT) | instid1(VALU_DEP_2)
	v_add_co_ci_u32_e32 v2, vcc_lo, s4, v2, vcc_lo
	v_add_co_u32 v1, vcc_lo, v1, v65
	s_delay_alu instid0(VALU_DEP_2)
	v_add_co_ci_u32_e32 v2, vcc_lo, 0, v2, vcc_lo
	global_load_b128 v[1:4], v[1:2], off
	s_waitcnt vmcnt(0)
	ds_store_b128 v5, v[1:4]
.LBB1159_10:
	s_or_b32 exec_lo, exec_lo, s7
	v_and_b32_e32 v1, 0xef, v0
	s_add_i32 s3, s18, 31
	s_clause 0x1
	s_load_b32 s4, s[0:1], 0x38
	s_load_b32 s33, s[0:1], 0x98
	s_ashr_i32 s7, s3, 31
	v_add_nc_u32_e32 v1, s16, v1
	s_lshr_b32 s7, s7, 27
	s_load_b32 s19, s[0:1], 0x1c
	v_add_nc_u32_e32 v103, -10, v68
	s_add_i32 s3, s3, s7
	v_ashrrev_i32_e32 v2, 31, v1
	v_or_b32_e32 v3, 16, v1
	s_ashr_i32 s3, s3, 5
	v_cmp_gt_i32_e32 vcc_lo, s18, v1
	s_add_i32 s3, s3, -1
	v_lshrrev_b32_e32 v2, 27, v2
	s_waitcnt lgkmcnt(0)
	s_barrier
	buffer_gl0_inv
	s_mul_i32 s15, s15, s6
	v_add_nc_u32_e32 v4, v1, v2
	v_mbcnt_lo_u32_b32 v127, -1, 0
	s_mul_i32 s20, s34, s4
	s_delay_alu instid0(SALU_CYCLE_1) | instskip(NEXT) | instid1(VALU_DEP_2)
	s_ashr_i32 s21, s20, 31
	v_ashrrev_i32_e32 v4, 5, v4
	v_add_nc_u32_e32 v2, v3, v2
	s_lshl_b64 s[20:21], s[20:21], 2
	v_xor_b32_e32 v128, 16, v127
	s_add_u32 s17, s12, s20
	v_cndmask_b32_e32 v1, s3, v4, vcc_lo
	v_ashrrev_i32_e32 v2, 5, v2
	v_cmp_gt_i32_e32 vcc_lo, s18, v3
	s_addc_u32 s13, s13, s21
	s_ashr_i32 s20, s15, 31
	s_add_u32 s22, s8, s15
	s_addc_u32 s23, s9, s20
	v_cndmask_b32_e32 v3, s3, v2, vcc_lo
	v_ashrrev_i32_e32 v2, 31, v1
	s_lshl_b32 s6, s14, 3
	s_delay_alu instid0(SALU_CYCLE_1) | instskip(NEXT) | instid1(VALU_DEP_2)
	s_ashr_i32 s7, s6, 31
	v_ashrrev_i32_e32 v4, 31, v3
	s_delay_alu instid0(VALU_DEP_2) | instskip(SKIP_1) | instid1(SALU_CYCLE_1)
	v_lshlrev_b64 v[1:2], 2, v[1:2]
	s_lshl_b64 s[6:7], s[6:7], 2
	s_add_u32 s6, s17, s6
	s_delay_alu instid0(VALU_DEP_2) | instskip(SKIP_1) | instid1(VALU_DEP_2)
	v_lshlrev_b64 v[3:4], 2, v[3:4]
	s_addc_u32 s7, s13, s7
	v_add_co_u32 v1, vcc_lo, s17, v1
	v_add_co_ci_u32_e32 v2, vcc_lo, s13, v2, vcc_lo
	s_delay_alu instid0(VALU_DEP_3) | instskip(NEXT) | instid1(VALU_DEP_4)
	v_add_co_u32 v3, vcc_lo, s17, v3
	v_add_co_ci_u32_e32 v4, vcc_lo, s13, v4, vcc_lo
	s_clause 0x1
	global_load_b32 v5, v[1:2], off
	global_load_b32 v6, v[3:4], off
	s_or_b32 s4, s16, 32
	s_delay_alu instid0(SALU_CYCLE_1) | instskip(SKIP_2) | instid1(SALU_CYCLE_1)
	s_ashr_i32 s8, s4, 5
	s_cmp_lt_i32 s4, s18
	s_cselect_b32 s8, s8, s3
	s_ashr_i32 s9, s8, 31
	s_delay_alu instid0(SALU_CYCLE_1) | instskip(NEXT) | instid1(SALU_CYCLE_1)
	s_lshl_b64 s[8:9], s[8:9], 2
	s_add_u32 s8, s17, s8
	s_addc_u32 s9, s13, s9
	s_or_b32 s4, s16, 64
	s_delay_alu instid0(SALU_CYCLE_1) | instskip(SKIP_2) | instid1(SALU_CYCLE_1)
	s_ashr_i32 s12, s4, 5
	s_cmp_lt_i32 s4, s18
	s_cselect_b32 s24, s12, s3
	s_ashr_i32 s25, s24, 31
	s_delay_alu instid0(SALU_CYCLE_1) | instskip(NEXT) | instid1(SALU_CYCLE_1)
	s_lshl_b64 s[24:25], s[24:25], 2
	s_add_u32 s24, s17, s24
	s_addc_u32 s25, s13, s25
	;; [unrolled: 10-line block ×5, first 2 shown]
	s_clause 0x5
	s_load_b32 s12, s[6:7], 0x0
	s_load_b32 s4, s[8:9], 0x0
	;; [unrolled: 1-line block ×6, first 2 shown]
	s_or_b32 s21, s16, 0xc0
	s_waitcnt vmcnt(1)
	v_mad_i64_i32 v[1:2], null, v5, s5, s[22:23]
	v_lshlrev_b32_e32 v5, 4, v68
	s_waitcnt vmcnt(0)
	v_mad_i64_i32 v[3:4], null, v6, s5, s[22:23]
	s_ashr_i32 s22, s21, 5
	s_cmp_lt_i32 s21, s18
	s_delay_alu instid0(VALU_DEP_3) | instskip(NEXT) | instid1(VALU_DEP_4)
	v_add_co_u32 v1, vcc_lo, v1, v5
	v_add_co_ci_u32_e32 v2, vcc_lo, 0, v2, vcc_lo
	s_delay_alu instid0(VALU_DEP_3) | instskip(NEXT) | instid1(VALU_DEP_4)
	v_add_co_u32 v3, vcc_lo, v3, v5
	v_add_co_ci_u32_e32 v4, vcc_lo, 0, v4, vcc_lo
	s_clause 0x7
	global_load_b128 v[71:74], v[1:2], off
	global_load_b128 v[75:78], v[1:2], off offset:512
	global_load_b128 v[79:82], v[3:4], off offset:256
	;; [unrolled: 1-line block ×7, first 2 shown]
	s_cselect_b32 s22, s22, s3
	v_lshlrev_b32_e32 v1, 5, v68
	s_ashr_i32 s23, s22, 31
	v_cmp_gt_u32_e32 vcc_lo, 10, v68
	s_lshl_b64 s[22:23], s[22:23], 2
	s_delay_alu instid0(SALU_CYCLE_1)
	s_add_u32 s22, s17, s22
	s_addc_u32 s23, s13, s23
	s_or_b32 s21, s16, 0xe0
	v_lshl_or_b32 v1, v69, 9, v1
	s_ashr_i32 s24, s21, 5
	s_cmp_lt_i32 s21, s18
	v_cndmask_b32_e32 v103, v103, v68, vcc_lo
	s_cselect_b32 s24, s24, s3
	s_load_b32 s3, s[22:23], 0x0
	s_ashr_i32 s25, s24, 31
	v_cmp_gt_i32_e32 vcc_lo, 32, v128
	s_lshl_b64 s[24:25], s[24:25], 2
	v_lshlrev_b32_e32 v115, 6, v103
	s_add_u32 s22, s17, s24
	s_addc_u32 s23, s13, s25
	v_cndmask_b32_e32 v136, v127, v128, vcc_lo
	s_add_u32 s10, s10, s15
	s_addc_u32 s11, s11, s20
	v_add_co_u32 v1, s10, s10, v1
	s_delay_alu instid0(VALU_DEP_1) | instskip(SKIP_2) | instid1(VALU_DEP_1)
	v_add_co_ci_u32_e64 v2, null, s11, 0, s10
	s_load_b32 s10, s[22:23], 0x0
	s_waitcnt lgkmcnt(0)
	v_mad_i64_i32 v[3:4], null, s12, s5, v[1:2]
	v_mad_i64_i32 v[9:10], null, s7, s5, v[1:2]
	;; [unrolled: 1-line block ×7, first 2 shown]
	s_clause 0x5
	global_load_b128 v[49:52], v[3:4], off
	global_load_b128 v[53:56], v[3:4], off offset:16
	global_load_b128 v[41:44], v[5:6], off
	global_load_b128 v[45:48], v[5:6], off offset:16
	global_load_b128 v[33:36], v[7:8], off
	global_load_b128 v[37:40], v[7:8], off offset:16
	s_mov_b32 s4, 0
	v_mad_i64_i32 v[61:62], null, s10, s5, v[1:2]
	s_clause 0x9
	global_load_b128 v[1:4], v[9:10], off
	global_load_b128 v[5:8], v[9:10], off offset:16
	global_load_b128 v[9:12], v[13:14], off
	global_load_b128 v[13:16], v[13:14], off offset:16
	;; [unrolled: 2-line block ×5, first 2 shown]
	s_mov_b32 s5, s4
	s_mov_b32 s6, s4
	;; [unrolled: 1-line block ×7, first 2 shown]
	v_and_b32_e32 v104, 0xe0, v0
	v_dual_mov_b32 v126, s11 :: v_dual_mov_b32 v125, s10
	v_dual_mov_b32 v124, s9 :: v_dual_mov_b32 v123, s8
	s_delay_alu instid0(VALU_DEP_3)
	v_add_nc_u32_e32 v111, s16, v104
	ds_load_b128 v[103:106], v115
	ds_load_b128 v[107:110], v115 offset:1024
	v_dual_mov_b32 v122, s7 :: v_dual_mov_b32 v121, s6
	v_mov_b32_e32 v120, s5
	v_or_b32_e32 v135, v111, v66
	ds_load_b128 v[111:114], v115 offset:2048
	ds_load_b128 v[115:118], v115 offset:3072
	v_mov_b32_e32 v119, s4
	s_waitcnt vmcnt(0) lgkmcnt(0)
	s_barrier
	v_or_b32_e32 v137, 2, v135
	v_or_b32_e32 v138, 4, v135
	;; [unrolled: 1-line block ×3, first 2 shown]
	v_cmp_gt_i32_e32 vcc_lo, s18, v135
	v_or_b32_e32 v140, 8, v135
	v_cmp_gt_i32_e64 s3, s18, v137
	v_or_b32_e32 v141, 10, v135
	v_cmp_gt_i32_e64 s4, s18, v138
	v_cmp_gt_i32_e64 s5, s18, v139
	v_or_b32_e32 v142, 12, v135
	v_or_b32_e32 v143, 14, v135
	v_cmp_gt_i32_e64 s6, s18, v140
	v_cmp_gt_i32_e64 s7, s18, v141
	v_or_b32_e32 v144, 16, v135
	v_or_b32_e32 v145, 18, v135
	v_cmp_gt_i32_e64 s8, s18, v142
	v_cmp_gt_i32_e64 s9, s18, v143
	buffer_gl0_inv
	v_cmp_gt_i32_e64 s10, s18, v144
	v_cmp_gt_i32_e64 s11, s18, v145
	v_wmma_f32_16x16x16_f16 v[127:134], v[71:78], v[103:110], v[119:126]
	v_wmma_f32_16x16x16_f16 v[119:126], v[79:86], v[103:110], v[119:126]
	v_or_b32_e32 v71, 20, v135
	v_or_b32_e32 v72, 22, v135
	s_delay_alu instid0(VALU_DEP_4)
	v_wmma_f32_16x16x16_f16 v[127:134], v[87:94], v[111:118], v[127:134]
	v_or_b32_e32 v73, 24, v135
	v_wmma_f32_16x16x16_f16 v[119:126], v[95:102], v[111:118], v[119:126]
	v_or_b32_e32 v74, 26, v135
	v_cmp_gt_i32_e64 s12, s18, v71
	v_dual_mul_f32 v83, s19, v128 :: v_dual_mul_f32 v84, s19, v127
	s_delay_alu instid0(VALU_DEP_4) | instskip(SKIP_1) | instid1(VALU_DEP_3)
	v_dual_mul_f32 v81, s19, v130 :: v_dual_mul_f32 v92, s19, v119
	v_mul_f32_e32 v82, s19, v129
	v_cndmask_b32_e64 v83, 0xff7fffff, v83, s3
	s_delay_alu instid0(VALU_DEP_4)
	v_cndmask_b32_e32 v84, 0xff7fffff, v84, vcc_lo
	v_dual_mul_f32 v79, s19, v132 :: v_dual_mul_f32 v90, s19, v121
	v_mul_f32_e32 v80, s19, v131
	v_cndmask_b32_e64 v82, 0xff7fffff, v82, s4
	v_cndmask_b32_e64 v81, 0xff7fffff, v81, s5
	v_max3_f32 v83, v84, 0xff7fffff, v83
	v_dual_mul_f32 v77, s19, v134 :: v_dual_mul_f32 v88, s19, v123
	v_mul_f32_e32 v78, s19, v133
	v_cndmask_b32_e64 v80, 0xff7fffff, v80, s6
	v_cndmask_b32_e64 v79, 0xff7fffff, v79, s7
	v_max3_f32 v81, v83, v82, v81
	v_mul_f32_e32 v91, s19, v120
	v_cndmask_b32_e64 v78, 0xff7fffff, v78, s8
	v_cndmask_b32_e64 v77, 0xff7fffff, v77, s9
	v_mul_f32_e32 v89, s19, v122
	v_max3_f32 v79, v81, v80, v79
	v_cndmask_b32_e64 v80, 0xff7fffff, v92, s10
	v_cndmask_b32_e64 v81, 0xff7fffff, v91, s11
	v_cmp_gt_i32_e64 s13, s18, v72
	v_or_b32_e32 v75, 28, v135
	v_max3_f32 v77, v79, v78, v77
	v_or_b32_e32 v76, 30, v135
	v_mul_f32_e32 v87, s19, v124
	v_cndmask_b32_e64 v71, 0xff7fffff, v90, s12
	v_cndmask_b32_e64 v72, 0xff7fffff, v89, s13
	v_max3_f32 v77, v77, v80, v81
	v_cmp_gt_i32_e64 s15, s18, v73
	v_cmp_gt_i32_e64 s16, s18, v74
	v_dual_mul_f32 v85, s19, v126 :: v_dual_mul_f32 v86, s19, v125
	s_delay_alu instid0(VALU_DEP_4) | instskip(NEXT) | instid1(VALU_DEP_4)
	v_max3_f32 v71, v77, v71, v72
	v_cndmask_b32_e64 v73, 0xff7fffff, v88, s15
	s_delay_alu instid0(VALU_DEP_4) | instskip(SKIP_2) | instid1(VALU_DEP_3)
	v_cndmask_b32_e64 v74, 0xff7fffff, v87, s16
	v_cmp_gt_i32_e64 s17, s18, v75
	v_cmp_gt_i32_e64 s18, s18, v76
	v_max3_f32 v71, v71, v73, v74
	s_delay_alu instid0(VALU_DEP_3) | instskip(NEXT) | instid1(VALU_DEP_3)
	v_cndmask_b32_e64 v72, 0xff7fffff, v86, s17
	v_cndmask_b32_e64 v75, 0xff7fffff, v85, s18
	v_lshlrev_b32_e32 v73, 2, v136
	s_delay_alu instid0(VALU_DEP_2) | instskip(SKIP_3) | instid1(VALU_DEP_1)
	v_max3_f32 v71, v71, v72, v75
	ds_bpermute_b32 v72, v73, v71
	s_waitcnt lgkmcnt(0)
	v_max_f32_e32 v72, v72, v72
	v_max_f32_e32 v71, v71, v72
	s_delay_alu instid0(VALU_DEP_1)
	v_fma_f32 v72, s19, v127, -v71
	v_fma_f32 v74, s19, v128, -v71
	;; [unrolled: 1-line block ×5, first 2 shown]
	v_mul_f32_e32 v72, 0x3fb8aa3b, v72
	v_mul_f32_e32 v74, 0x3fb8aa3b, v74
	v_fma_f32 v80, s19, v133, -v71
	s_delay_alu instid0(VALU_DEP_4) | instskip(NEXT) | instid1(VALU_DEP_4)
	v_dual_mul_f32 v76, 0x3fb8aa3b, v76 :: v_dual_mul_f32 v77, 0x3fb8aa3b, v77
	v_exp_f32_e32 v72, v72
	s_delay_alu instid0(VALU_DEP_3) | instskip(NEXT) | instid1(VALU_DEP_2)
	v_exp_f32_e32 v74, v74
	v_mul_f32_e32 v82, 0x3fb8aa3b, v80
	s_delay_alu instid0(VALU_DEP_2) | instskip(SKIP_1) | instid1(VALU_DEP_1)
	v_exp_f32_e32 v76, v76
	v_exp_f32_e32 v77, v77
	;; [unrolled: 1-line block ×3, first 2 shown]
	v_cndmask_b32_e32 v79, 0, v72, vcc_lo
	v_fma_f32 v72, s19, v132, -v71
	v_mul_f32_e32 v75, 0x3fb8aa3b, v75
	v_cndmask_b32_e64 v78, 0, v74, s3
	s_delay_alu instid0(TRANS32_DEP_3)
	v_cndmask_b32_e64 v80, 0, v76, s5
	v_add_f32_e32 v74, 0, v79
	v_mul_f32_e32 v72, 0x3fb8aa3b, v72
	v_exp_f32_e32 v75, v75
	v_cndmask_b32_e64 v83, 0, v77, s6
	v_cndmask_b32_e64 v85, 0, v84, s8
	v_add_f32_e32 v74, v74, v78
	v_exp_f32_e32 v72, v72
	s_mov_b32 s3, exec_lo
	s_waitcnt_depctr 0xfff
	v_cndmask_b32_e64 v81, 0, v75, s4
	v_cndmask_b32_e64 v82, 0, v72, s7
	s_delay_alu instid0(VALU_DEP_2) | instskip(NEXT) | instid1(VALU_DEP_1)
	v_add_f32_e32 v74, v74, v81
	v_add_f32_e32 v74, v74, v80
	s_delay_alu instid0(VALU_DEP_1) | instskip(SKIP_4) | instid1(VALU_DEP_4)
	v_add_f32_e32 v72, v74, v83
	v_fma_f32 v75, s19, v134, -v71
	v_fma_f32 v76, s19, v119, -v71
	;; [unrolled: 1-line block ×4, first 2 shown]
	v_dual_add_f32 v72, v72, v82 :: v_dual_mul_f32 v75, 0x3fb8aa3b, v75
	s_delay_alu instid0(VALU_DEP_3) | instskip(SKIP_1) | instid1(VALU_DEP_3)
	v_dual_mul_f32 v76, 0x3fb8aa3b, v76 :: v_dual_mul_f32 v77, 0x3fb8aa3b, v77
	v_fma_f32 v86, s19, v122, -v71
	v_add_f32_e32 v72, v72, v85
	s_delay_alu instid0(VALU_DEP_4) | instskip(NEXT) | instid1(VALU_DEP_3)
	v_exp_f32_e32 v75, v75
	v_exp_f32_e32 v76, v76
	;; [unrolled: 1-line block ×3, first 2 shown]
	v_mul_f32_e32 v86, 0x3fb8aa3b, v86
	s_delay_alu instid0(VALU_DEP_1) | instskip(SKIP_3) | instid1(TRANS32_DEP_3)
	v_exp_f32_e32 v88, v86
	v_cndmask_b32_e64 v84, 0, v75, s9
	v_fma_f32 v75, s19, v123, -v71
	v_mul_f32_e32 v74, 0x3fb8aa3b, v74
	v_cndmask_b32_e64 v87, 0, v76, s10
	v_fma_f32 v76, s19, v124, -v71
	s_delay_alu instid0(VALU_DEP_4) | instskip(NEXT) | instid1(VALU_DEP_4)
	v_dual_add_f32 v72, v72, v84 :: v_dual_mul_f32 v75, 0x3fb8aa3b, v75
	v_exp_f32_e32 v74, v74
	v_cndmask_b32_e64 v86, 0, v77, s11
	v_fma_f32 v77, s19, v125, -v71
	s_delay_alu instid0(VALU_DEP_3) | instskip(SKIP_3) | instid1(VALU_DEP_3)
	v_add_f32_e32 v72, v72, v87
	v_mul_f32_e32 v76, 0x3fb8aa3b, v76
	v_exp_f32_e32 v75, v75
	v_cndmask_b32_e64 v88, 0, v88, s13
	v_add_f32_e32 v72, v72, v86
	s_delay_alu instid0(VALU_DEP_3) | instskip(NEXT) | instid1(TRANS32_DEP_3)
	v_exp_f32_e32 v76, v76
	v_cndmask_b32_e64 v89, 0, v74, s12
	v_mul_f32_e32 v74, 0x3fb8aa3b, v77
	v_fma_f32 v77, s19, v126, -v71
	s_delay_alu instid0(VALU_DEP_3) | instskip(NEXT) | instid1(VALU_DEP_3)
	v_add_f32_e32 v72, v72, v89
	v_exp_f32_e32 v74, v74
	s_delay_alu instid0(TRANS32_DEP_3) | instskip(NEXT) | instid1(VALU_DEP_3)
	v_cndmask_b32_e64 v91, 0, v75, s15
	v_mul_f32_e32 v75, 0x3fb8aa3b, v77
	s_delay_alu instid0(TRANS32_DEP_2) | instskip(SKIP_1) | instid1(VALU_DEP_3)
	v_cndmask_b32_e64 v90, 0, v76, s16
	v_add_f32_e32 v72, v72, v88
	v_exp_f32_e32 v75, v75
	s_delay_alu instid0(VALU_DEP_1) | instskip(NEXT) | instid1(TRANS32_DEP_2)
	v_add_f32_e32 v72, v72, v91
	v_cndmask_b32_e64 v93, 0, v74, s17
	s_delay_alu instid0(VALU_DEP_2) | instskip(SKIP_3) | instid1(VALU_DEP_1)
	v_add_f32_e32 v72, v72, v90
	s_waitcnt_depctr 0xfff
	v_cndmask_b32_e64 v92, 0, v75, s18
	v_add_f32_e32 v72, v72, v93
	v_add_f32_e32 v72, v72, v92
	ds_bpermute_b32 v73, v73, v72
	v_cmpx_gt_u32_e32 16, v70
	s_cbranch_execz .LBB1159_12
; %bb.11:
	v_mul_u32_u24_e32 v70, 0x44, v69
	s_waitcnt lgkmcnt(0)
	v_add_f32_e32 v72, v72, v73
	s_delay_alu instid0(VALU_DEP_2) | instskip(NEXT) | instid1(VALU_DEP_1)
	v_lshl_add_u32 v70, v68, 2, v70
	v_add_nc_u32_e32 v70, 0x4000, v70
	ds_store_2addr_b32 v70, v71, v72 offset1:136
.LBB1159_12:
	s_or_b32 exec_lo, exec_lo, s3
	v_lshlrev_b32_e32 v70, 2, v68
	s_load_b32 s35, s[0:1], 0x94
	s_waitcnt lgkmcnt(0)
	s_barrier
	buffer_gl0_inv
	v_add_nc_u32_e32 v98, 0x4000, v70
	v_cmp_eq_u32_e32 vcc_lo, 1, v69
	v_cmp_eq_u32_e64 s3, 2, v69
	v_cmp_eq_u32_e64 s4, 3, v69
	;; [unrolled: 1-line block ×3, first 2 shown]
	ds_load_2addr_b32 v[70:71], v98 offset1:17
	ds_load_2addr_b32 v[72:73], v98 offset0:34 offset1:51
	ds_load_2addr_b32 v[74:75], v98 offset0:68 offset1:85
	;; [unrolled: 1-line block ×3, first 2 shown]
	v_cmp_eq_u32_e64 s6, 5, v69
	v_cmp_eq_u32_e64 s7, 7, v69
	s_waitcnt lgkmcnt(3)
	v_max3_f32 v76, v70, 0xff7fffff, v71
	s_waitcnt lgkmcnt(2)
	s_delay_alu instid0(VALU_DEP_1) | instskip(SKIP_1) | instid1(VALU_DEP_1)
	v_max3_f32 v76, v76, v72, v73
	s_waitcnt lgkmcnt(1)
	v_max3_f32 v76, v76, v74, v75
	s_waitcnt lgkmcnt(0)
	s_delay_alu instid0(VALU_DEP_1) | instskip(NEXT) | instid1(VALU_DEP_1)
	v_max3_f32 v76, v76, v94, v95
	v_sub_f32_e32 v77, v71, v76
	ds_load_2addr_b32 v[96:97], v98 offset0:136 offset1:153
	v_sub_f32_e32 v74, v74, v76
	v_sub_f32_e32 v70, v70, v76
	;; [unrolled: 1-line block ×3, first 2 shown]
	v_dual_sub_f32 v72, v72, v76 :: v_dual_mul_f32 v77, 0x3fb8aa3b, v77
	s_delay_alu instid0(VALU_DEP_4) | instskip(NEXT) | instid1(VALU_DEP_4)
	v_mul_f32_e32 v103, 0x3fb8aa3b, v74
	v_mul_f32_e32 v99, 0x3fb8aa3b, v70
	ds_load_2addr_b32 v[70:71], v98 offset0:170 offset1:187
	v_dual_mul_f32 v101, 0x3fb8aa3b, v72 :: v_dual_mul_f32 v94, 0x3fb8aa3b, v94
	v_exp_f32_e32 v102, v77
	v_exp_f32_e32 v99, v99
	s_delay_alu instid0(VALU_DEP_1) | instskip(NEXT) | instid1(VALU_DEP_1)
	v_exp_f32_e32 v101, v101
	v_exp_f32_e32 v94, v94
	s_waitcnt lgkmcnt(1)
	s_delay_alu instid0(TRANS32_DEP_3)
	v_fma_f32 v77, v99, v96, 0
	v_sub_f32_e32 v100, v73, v76
	ds_load_2addr_b32 v[72:73], v98 offset0:204 offset1:221
	v_fmac_f32_e32 v77, v102, v97
	v_exp_f32_e32 v97, v103
	s_waitcnt lgkmcnt(1)
	s_delay_alu instid0(VALU_DEP_1)
	v_dual_fmac_f32 v77, v101, v70 :: v_dual_sub_f32 v96, v75, v76
	ds_load_2addr_b32 v[74:75], v98 offset0:238 offset1:255
	v_sub_f32_e32 v70, v95, v76
	s_waitcnt lgkmcnt(0)
	s_barrier
	v_mul_f32_e32 v96, 0x3fb8aa3b, v96
	buffer_gl0_inv
	v_exp_f32_e32 v95, v96
	v_mul_f32_e32 v100, 0x3fb8aa3b, v100
	s_delay_alu instid0(VALU_DEP_1) | instskip(SKIP_3) | instid1(VALU_DEP_2)
	v_exp_f32_e32 v100, v100
	s_waitcnt_depctr 0xfff
	v_dual_fmac_f32 v77, v100, v71 :: v_dual_mul_f32 v70, 0x3fb8aa3b, v70
	v_cndmask_b32_e32 v71, v99, v102, vcc_lo
	v_fmac_f32_e32 v77, v97, v72
	s_delay_alu instid0(VALU_DEP_3) | instskip(NEXT) | instid1(VALU_DEP_1)
	v_exp_f32_e32 v96, v70
	v_fmac_f32_e32 v77, v95, v73
	s_delay_alu instid0(VALU_DEP_1) | instskip(SKIP_2) | instid1(VALU_DEP_1)
	v_fmac_f32_e32 v77, v94, v74
	s_waitcnt_depctr 0xfff
	v_fmac_f32_e32 v77, v96, v75
	v_add_f32_e32 v74, 0x358637bd, v77
	s_delay_alu instid0(VALU_DEP_1) | instskip(SKIP_1) | instid1(VALU_DEP_2)
	v_div_scale_f32 v98, null, v74, v74, 1.0
	v_div_scale_f32 v99, vcc_lo, 1.0, v74, 1.0
	v_rcp_f32_e32 v103, v98
	s_waitcnt_depctr 0xfff
	v_fma_f32 v70, -v98, v103, 1.0
	s_delay_alu instid0(VALU_DEP_1) | instskip(SKIP_2) | instid1(VALU_DEP_2)
	v_fmac_f32_e32 v103, v70, v103
	v_cndmask_b32_e64 v70, v71, v101, s3
	v_cmp_eq_u32_e64 s3, 6, v69
	v_cndmask_b32_e64 v71, v70, v100, s4
	s_delay_alu instid0(VALU_DEP_4) | instskip(NEXT) | instid1(VALU_DEP_2)
	v_dual_mul_f32 v101, v99, v103 :: v_dual_lshlrev_b32 v70, 2, v66
	v_cndmask_b32_e64 v71, v71, v97, s5
	s_delay_alu instid0(VALU_DEP_2) | instskip(NEXT) | instid1(VALU_DEP_3)
	v_or_b32_e32 v72, 1, v70
	v_fma_f32 v100, -v98, v101, v99
	v_cmp_eq_u32_e64 s4, 1, v70
	v_cmp_eq_u32_e64 s5, 2, v70
	v_cndmask_b32_e64 v95, v71, v95, s6
	v_or_b32_e32 v71, 3, v70
	v_fmac_f32_e32 v101, v100, v103
	v_cmp_eq_u32_e64 s9, 1, v72
	v_cmp_eq_u32_e64 s12, 2, v72
	v_cndmask_b32_e64 v94, v95, v94, s3
	v_cmp_eq_u32_e64 s11, 1, v71
	v_fma_f32 v97, -v98, v101, v99
	v_cmp_eq_u32_e64 s16, 2, v71
	v_cmp_eq_u32_e64 s13, 3, v72
	v_cndmask_b32_e64 v94, v94, v96, s7
	v_cmp_eq_u32_e64 s18, 3, v71
	v_div_fmas_f32 v95, v97, v103, v101
	v_cmp_eq_u32_e32 vcc_lo, 3, v70
	v_cmp_eq_u32_e64 s3, 4, v70
	v_cmp_eq_u32_e64 s19, 4, v72
	;; [unrolled: 1-line block ×3, first 2 shown]
	v_div_fixup_f32 v95, v95, v74, 1.0
	v_lshlrev_b32_e32 v73, 6, v68
	v_cmp_eq_u32_e64 s6, 5, v70
	v_cmp_eq_u32_e64 s20, 5, v72
	;; [unrolled: 1-line block ×3, first 2 shown]
	v_mul_f32_e32 v102, v94, v95
	v_lshl_or_b32 v75, v69, 11, v73
	v_or_b32_e32 v69, 2, v70
	v_cmp_eq_u32_e64 s25, 6, v72
	v_cmp_eq_u32_e64 s27, 6, v71
	v_fma_mixlo_f16 v94, v102, v79, 0
	v_fma_mixlo_f16 v95, v102, v81, 0
	;; [unrolled: 1-line block ×8, first 2 shown]
	v_lshl_or_b32 v74, v66, 4, v75
	v_fma_mixhi_f16 v94, v102, v78, 0
	v_fma_mixhi_f16 v95, v102, v80, 0
	;; [unrolled: 1-line block ×8, first 2 shown]
	ds_store_b128 v74, v[94:97]
	ds_store_b128 v74, v[98:101] offset:1024
	s_waitcnt lgkmcnt(0)
	s_barrier
	buffer_gl0_inv
	ds_load_b128 v[78:81], v75
	ds_load_b128 v[82:85], v75 offset:16
	ds_load_b128 v[86:89], v75 offset:1024
	;; [unrolled: 1-line block ×3, first 2 shown]
	v_cmp_eq_u32_e64 s10, 1, v69
	v_cmp_eq_u32_e64 s15, 2, v69
	;; [unrolled: 1-line block ×11, first 2 shown]
	s_waitcnt lgkmcnt(3)
	v_lshrrev_b32_e32 v94, 16, v78
	s_waitcnt lgkmcnt(2)
	v_lshrrev_b32_e32 v98, 16, v82
	;; [unrolled: 2-line block ×4, first 2 shown]
	v_lshrrev_b32_e32 v95, 16, v79
	v_cndmask_b32_e64 v110, v78, v94, s4
	v_cndmask_b32_e64 v111, v82, v98, s4
	;; [unrolled: 1-line block ×8, first 2 shown]
	v_lshrrev_b32_e32 v99, 16, v83
	v_cndmask_b32_e64 v94, v86, v102, s4
	v_cndmask_b32_e64 v98, v90, v106, s4
	;; [unrolled: 1-line block ×15, first 2 shown]
	v_lshrrev_b32_e32 v103, 16, v87
	v_lshrrev_b32_e32 v107, 16, v91
	v_cndmask_b32_e64 v113, v115, v83, s15
	v_cndmask_b32_e64 v82, v94, v87, s5
	;; [unrolled: 1-line block ×7, first 2 shown]
	v_cndmask_b32_e32 v90, v102, v95, vcc_lo
	v_cndmask_b32_e32 v102, v106, v99, vcc_lo
	v_cndmask_b32_e64 v106, v110, v95, s13
	v_cndmask_b32_e64 v110, v111, v99, s13
	;; [unrolled: 1-line block ×4, first 2 shown]
	v_lshrrev_b32_e32 v96, 16, v80
	v_lshrrev_b32_e32 v100, 16, v84
	v_cndmask_b32_e64 v111, v112, v95, s17
	v_cndmask_b32_e64 v112, v113, v99, s17
	v_cndmask_b32_e32 v82, v82, v103, vcc_lo
	v_cndmask_b32_e32 v83, v83, v107, vcc_lo
	v_cndmask_b32_e64 v94, v94, v103, s13
	v_cndmask_b32_e64 v90, v90, v80, s3
	;; [unrolled: 1-line block ×7, first 2 shown]
	v_lshrrev_b32_e32 v104, 16, v88
	v_cndmask_b32_e64 v106, v111, v80, s21
	v_cndmask_b32_e64 v110, v112, v84, s21
	v_cndmask_b32_e64 v80, v82, v88, s3
	v_cndmask_b32_e64 v82, v83, v92, s3
	v_cndmask_b32_e64 v83, v94, v88, s19
	v_cndmask_b32_e64 v84, v90, v96, s6
	v_cndmask_b32_e64 v90, v95, v100, s6
	v_cndmask_b32_e64 v94, v99, v96, s20
	v_cndmask_b32_e64 v95, v102, v100, s20
	v_cndmask_b32_e64 v78, v78, v96, s24
	v_cndmask_b32_e64 v79, v79, v100, s24
	v_lshrrev_b32_e32 v97, 16, v81
	v_lshrrev_b32_e32 v101, 16, v85
	v_cndmask_b32_e64 v99, v106, v96, s23
	v_cndmask_b32_e64 v102, v110, v100, s23
	;; [unrolled: 1-line block ×7, first 2 shown]
	v_lshrrev_b32_e32 v105, 16, v89
	v_cndmask_b32_e64 v80, v80, v104, s6
	v_cndmask_b32_e64 v84, v84, v81, s7
	;; [unrolled: 1-line block ×16, first 2 shown]
	v_perm_b32 v81, v79, v78, 0x5040100
	v_perm_b32 v79, v95, v85, 0x5040100
	v_cndmask_b32_e64 v78, v119, v91, s15
	v_cndmask_b32_e64 v85, v117, v91, s12
	;; [unrolled: 1-line block ×3, first 2 shown]
	v_perm_b32 v80, v94, v90, 0x5040100
	v_cndmask_b32_e64 v90, v98, v103, s17
	v_cndmask_b32_e64 v86, v86, v103, s18
	;; [unrolled: 1-line block ×5, first 2 shown]
	v_lshrrev_b32_e32 v108, 16, v92
	v_cndmask_b32_e64 v90, v90, v88, s21
	v_cndmask_b32_e64 v86, v86, v88, s22
	;; [unrolled: 1-line block ×11, first 2 shown]
	v_lshrrev_b32_e32 v109, 16, v93
	v_cndmask_b32_e64 v82, v82, v93, s7
	v_cndmask_b32_e64 v88, v88, v89, s26
	;; [unrolled: 1-line block ×12, first 2 shown]
	v_perm_b32 v78, v84, v83, 0x5040100
	v_perm_b32 v85, v87, v86, 0x5040100
	;; [unrolled: 1-line block ×5, first 2 shown]
	s_mul_i32 s8, s33, 10
	s_mov_b32 s3, exec_lo
	ds_store_b128 v74, v[78:81]
	ds_store_b128 v74, v[82:85] offset:1024
	v_cmpx_gt_u32_e32 10, v0
	s_cbranch_execz .LBB1159_14
; %bb.13:
	s_mul_i32 s4, s8, s34
	s_delay_alu instid0(SALU_CYCLE_1) | instskip(SKIP_1) | instid1(VALU_DEP_1)
	v_add3_u32 v68, s4, s31, v68
	s_load_b128 s[4:7], s[0:1], 0x58
	v_mad_u64_u32 v[78:79], null, v68, s35, s[14:15]
	s_delay_alu instid0(VALU_DEP_1) | instskip(NEXT) | instid1(VALU_DEP_1)
	v_ashrrev_i32_e32 v79, 31, v78
	v_lshlrev_b64 v[78:79], 2, v[78:79]
	s_waitcnt lgkmcnt(0)
	s_delay_alu instid0(VALU_DEP_1) | instskip(NEXT) | instid1(VALU_DEP_2)
	v_add_co_u32 v80, vcc_lo, s6, v78
	v_add_co_ci_u32_e32 v81, vcc_lo, s7, v79, vcc_lo
	v_add_co_u32 v78, vcc_lo, s4, v78
	v_add_co_ci_u32_e32 v79, vcc_lo, s5, v79, vcc_lo
	global_store_b32 v[80:81], v76, off
	global_store_b32 v[78:79], v77, off
.LBB1159_14:
	s_or_b32 exec_lo, exec_lo, s3
	s_waitcnt lgkmcnt(0)
	s_waitcnt_vscnt null, 0x0
	s_barrier
	buffer_gl0_inv
	ds_load_b128 v[84:87], v73
	ds_load_b128 v[88:91], v73 offset:16
	ds_load_b128 v[96:99], v73 offset:2064
	;; [unrolled: 1-line block ×5, first 2 shown]
	v_cmp_eq_u32_e32 vcc_lo, 1, v70
	v_mov_b32_e32 v76, 0
	ds_load_b128 v[112:115], v73 offset:6160
	ds_load_b128 v[108:111], v73 offset:6144
	;; [unrolled: 1-line block ×4, first 2 shown]
	v_cmp_eq_u32_e64 s4, 1, v69
	v_cmp_eq_u32_e64 s3, 1, v72
	;; [unrolled: 1-line block ×3, first 2 shown]
	v_mov_b32_e32 v77, v76
	v_mov_b32_e32 v78, v76
	;; [unrolled: 1-line block ×7, first 2 shown]
	v_cmp_eq_u32_e64 s6, 3, v72
	v_cmp_eq_u32_e64 s7, 7, v72
	s_waitcnt lgkmcnt(8)
	s_delay_alu instid0(VALU_DEP_3)
	v_wmma_f32_16x16x16_f16 v[76:83], v[49:56], v[84:91], v[76:83]
	ds_load_b128 v[53:56], v73 offset:10256
	ds_load_b128 v[49:52], v73 offset:10240
	s_waitcnt lgkmcnt(8)
	v_wmma_f32_16x16x16_f16 v[76:83], v[41:48], v[92:99], v[76:83]
	ds_load_b128 v[45:48], v73 offset:12304
	ds_load_b128 v[41:44], v73 offset:12288
	s_waitcnt lgkmcnt(8)
	;; [unrolled: 4-line block ×3, first 2 shown]
	s_barrier
	buffer_gl0_inv
	v_wmma_f32_16x16x16_f16 v[76:83], v[1:8], v[108:115], v[76:83]
	s_delay_alu instid0(VALU_DEP_1) | instskip(NEXT) | instid1(VALU_DEP_1)
	v_wmma_f32_16x16x16_f16 v[76:83], v[9:16], v[116:123], v[76:83]
	v_wmma_f32_16x16x16_f16 v[76:83], v[17:24], v[49:56], v[76:83]
	s_delay_alu instid0(VALU_DEP_1) | instskip(NEXT) | instid1(VALU_DEP_1)
	v_wmma_f32_16x16x16_f16 v[76:83], v[25:32], v[41:48], v[76:83]
	v_wmma_f32_16x16x16_f16 v[76:83], v[57:64], v[33:40], v[76:83]
	s_delay_alu instid0(VALU_DEP_1) | instskip(NEXT) | instid1(VALU_DEP_2)
	v_cvt_f16_f32_e32 v1, v76
	v_cvt_f16_f32_e32 v2, v77
	s_delay_alu instid0(VALU_DEP_3) | instskip(NEXT) | instid1(VALU_DEP_4)
	v_cvt_f16_f32_e32 v3, v78
	v_cvt_f16_f32_e32 v4, v79
	;; [unrolled: 1-line block ×6, first 2 shown]
	v_pack_b32_f16 v1, v1, v2
	v_pack_b32_f16 v2, v3, v4
	;; [unrolled: 1-line block ×3, first 2 shown]
	s_delay_alu instid0(VALU_DEP_4)
	v_pack_b32_f16 v4, v7, v8
	ds_store_b128 v74, v[1:4]
	s_waitcnt lgkmcnt(0)
	s_barrier
	buffer_gl0_inv
	ds_load_b128 v[1:4], v75
	ds_load_b128 v[5:8], v75 offset:16
	s_waitcnt lgkmcnt(1)
	v_lshrrev_b32_e32 v9, 16, v1
	s_waitcnt lgkmcnt(0)
	v_lshrrev_b32_e32 v13, 16, v5
	v_lshrrev_b32_e32 v10, 16, v2
	;; [unrolled: 1-line block ×4, first 2 shown]
	v_cndmask_b32_e32 v17, v1, v9, vcc_lo
	v_cndmask_b32_e32 v18, v5, v13, vcc_lo
	v_cndmask_b32_e64 v21, v1, v9, s4
	v_cmp_eq_u32_e32 vcc_lo, 1, v71
	v_cndmask_b32_e64 v22, v5, v13, s4
	v_cmp_eq_u32_e64 s4, 2, v70
	v_cndmask_b32_e64 v19, v1, v9, s3
	v_cndmask_b32_e64 v20, v5, v13, s3
	v_cndmask_b32_e32 v1, v1, v9, vcc_lo
	v_cmp_eq_u32_e64 s3, 2, v71
	v_cndmask_b32_e32 v5, v5, v13, vcc_lo
	v_cndmask_b32_e64 v9, v17, v2, s4
	v_cmp_eq_u32_e32 vcc_lo, 3, v70
	v_cndmask_b32_e64 v13, v18, v6, s4
	v_cmp_eq_u32_e64 s4, 2, v69
	v_cndmask_b32_e64 v17, v19, v2, s5
	v_cndmask_b32_e64 v18, v20, v6, s5
	v_cmp_eq_u32_e64 s5, 3, v69
	v_cndmask_b32_e64 v1, v1, v2, s3
	v_cndmask_b32_e64 v19, v21, v2, s4
	;; [unrolled: 1-line block ×4, first 2 shown]
	v_cndmask_b32_e32 v5, v9, v10, vcc_lo
	v_cndmask_b32_e32 v6, v13, v14, vcc_lo
	v_cmp_eq_u32_e32 vcc_lo, 3, v71
	v_cndmask_b32_e64 v9, v17, v10, s6
	v_cndmask_b32_e64 v13, v18, v14, s6
	;; [unrolled: 1-line block ×3, first 2 shown]
	v_cmp_eq_u32_e64 s4, 4, v70
	v_cndmask_b32_e32 v1, v1, v10, vcc_lo
	v_cndmask_b32_e32 v2, v2, v14, vcc_lo
	v_cmp_eq_u32_e32 vcc_lo, 4, v72
	v_lshrrev_b32_e32 v15, 16, v7
	v_lshrrev_b32_e32 v16, 16, v8
	v_cndmask_b32_e64 v17, v19, v10, s5
	v_cmp_eq_u32_e64 s3, 4, v71
	v_cndmask_b32_e64 v5, v5, v3, s4
	v_cndmask_b32_e64 v6, v6, v7, s4
	v_cndmask_b32_e32 v9, v9, v3, vcc_lo
	v_cmp_eq_u32_e64 s4, 5, v72
	v_cndmask_b32_e32 v10, v13, v7, vcc_lo
	v_cmp_eq_u32_e32 vcc_lo, 4, v69
	v_cmp_eq_u32_e64 s5, 5, v70
	v_cndmask_b32_e64 v2, v2, v7, s3
	v_cndmask_b32_e64 v9, v9, v11, s4
	;; [unrolled: 1-line block ×3, first 2 shown]
	v_cndmask_b32_e32 v13, v17, v3, vcc_lo
	v_cmp_eq_u32_e64 s4, 5, v69
	v_cndmask_b32_e32 v14, v18, v7, vcc_lo
	v_cndmask_b32_e64 v1, v1, v3, s3
	v_cmp_eq_u32_e32 vcc_lo, 5, v71
	v_lshrrev_b32_e32 v12, 16, v4
	v_cndmask_b32_e64 v13, v13, v11, s4
	v_cndmask_b32_e64 v3, v14, v15, s4
	v_cmp_eq_u32_e64 s4, 6, v71
	v_cndmask_b32_e32 v1, v1, v11, vcc_lo
	v_cndmask_b32_e64 v5, v5, v11, s5
	v_cmp_eq_u32_e64 s6, 6, v70
	v_cndmask_b32_e64 v6, v6, v15, s5
	v_cmp_eq_u32_e64 s5, 6, v72
	v_cmp_eq_u32_e64 s3, 6, v69
	v_cndmask_b32_e64 v1, v1, v4, s4
	v_cndmask_b32_e32 v2, v2, v15, vcc_lo
	v_cmp_eq_u32_e32 vcc_lo, 7, v71
	v_cndmask_b32_e64 v5, v5, v4, s6
	v_cndmask_b32_e64 v9, v9, v4, s5
	;; [unrolled: 1-line block ×3, first 2 shown]
	v_cmp_eq_u32_e64 s6, 7, v70
	v_cndmask_b32_e32 v1, v1, v12, vcc_lo
	v_cndmask_b32_e64 v7, v13, v4, s3
	v_cndmask_b32_e64 v3, v3, v8, s3
	;; [unrolled: 1-line block ×3, first 2 shown]
	v_cmp_eq_u32_e64 s3, 7, v69
	v_cndmask_b32_e64 v4, v10, v8, s5
	v_cndmask_b32_e64 v5, v5, v12, s6
	;; [unrolled: 1-line block ×3, first 2 shown]
	v_cndmask_b32_e32 v2, v2, v16, vcc_lo
	v_cndmask_b32_e64 v7, v7, v12, s3
	v_cndmask_b32_e64 v3, v3, v16, s3
	;; [unrolled: 1-line block ×4, first 2 shown]
	v_cmp_gt_u32_e32 vcc_lo, 32, v0
	v_perm_b32 v4, v2, v1, 0x5040100
	v_perm_b32 v3, v3, v7, 0x5040100
	;; [unrolled: 1-line block ×4, first 2 shown]
	s_and_b32 s2, vcc_lo, s2
	ds_store_b128 v74, v[1:4]
	s_waitcnt lgkmcnt(0)
	s_barrier
	buffer_gl0_inv
	s_and_saveexec_b32 s3, s2
	s_cbranch_execz .LBB1159_2
; %bb.15:
	s_load_b64 s[0:1], s[0:1], 0x68
	s_lshl_b32 s4, s35, 6
	v_or_b32_e32 v2, s31, v66
	s_mul_i32 s2, s4, s34
	v_lshlrev_b32_e32 v0, 10, v0
	s_mul_i32 s2, s2, s8
	v_lshlrev_b32_e32 v1, 4, v67
	s_ashr_i32 s3, s2, 31
	v_mul_lo_u32 v20, v2, s4
	s_lshl_b64 s[2:3], s[2:3], 1
	v_lshlrev_b32_e32 v3, 6, v66
	v_and_b32_e32 v0, 0x3800, v0
	s_delay_alu instid0(VALU_DEP_1) | instskip(NEXT) | instid1(VALU_DEP_4)
	v_or3_b32 v16, v0, v1, v3
	v_ashrrev_i32_e32 v21, 31, v20
	ds_load_b128 v[0:3], v16
	ds_load_b128 v[4:7], v16 offset:128
	s_waitcnt lgkmcnt(0)
	s_add_u32 s2, s0, s2
	s_addc_u32 s3, s1, s3
	s_lshl_b32 s0, s14, 6
	ds_load_b128 v[8:11], v16 offset:256
	ds_load_b128 v[12:15], v16 offset:384
	ds_load_b128 v[16:19], v16 offset:512
	s_ashr_i32 s1, s0, 31
	s_delay_alu instid0(SALU_CYCLE_1) | instskip(NEXT) | instid1(SALU_CYCLE_1)
	s_lshl_b64 s[0:1], s[0:1], 1
	s_add_u32 s0, s2, s0
	s_addc_u32 s1, s3, s1
	s_lshl_b32 s2, s35, 7
	v_add_co_u32 v30, s0, s0, v65
	v_add_nc_u32_e32 v22, s2, v20
	v_lshlrev_b64 v[20:21], 1, v[20:21]
	v_add_co_ci_u32_e64 v31, null, s1, 0, s0
	s_delay_alu instid0(VALU_DEP_3) | instskip(SKIP_1) | instid1(VALU_DEP_4)
	v_add_nc_u32_e32 v24, s2, v22
	v_ashrrev_i32_e32 v23, 31, v22
	v_add_co_u32 v20, vcc_lo, v30, v20
	s_delay_alu instid0(VALU_DEP_4) | instskip(NEXT) | instid1(VALU_DEP_4)
	v_add_co_ci_u32_e32 v21, vcc_lo, v31, v21, vcc_lo
	v_add_nc_u32_e32 v26, s2, v24
	v_ashrrev_i32_e32 v25, 31, v24
	v_lshlrev_b64 v[22:23], 1, v[22:23]
	s_delay_alu instid0(VALU_DEP_3) | instskip(SKIP_1) | instid1(VALU_DEP_4)
	v_add_nc_u32_e32 v28, s2, v26
	v_ashrrev_i32_e32 v27, 31, v26
	v_lshlrev_b64 v[24:25], 1, v[24:25]
	s_delay_alu instid0(VALU_DEP_4) | instskip(NEXT) | instid1(VALU_DEP_4)
	v_add_co_u32 v22, vcc_lo, v30, v22
	v_ashrrev_i32_e32 v29, 31, v28
	s_delay_alu instid0(VALU_DEP_4) | instskip(SKIP_2) | instid1(VALU_DEP_4)
	v_lshlrev_b64 v[26:27], 1, v[26:27]
	v_add_co_ci_u32_e32 v23, vcc_lo, v31, v23, vcc_lo
	v_add_co_u32 v24, vcc_lo, v30, v24
	v_lshlrev_b64 v[28:29], 1, v[28:29]
	v_add_co_ci_u32_e32 v25, vcc_lo, v31, v25, vcc_lo
	v_add_co_u32 v26, vcc_lo, v30, v26
	v_add_co_ci_u32_e32 v27, vcc_lo, v31, v27, vcc_lo
	s_delay_alu instid0(VALU_DEP_4)
	v_add_co_u32 v28, vcc_lo, v30, v28
	v_add_co_ci_u32_e32 v29, vcc_lo, v31, v29, vcc_lo
	s_clause 0x1
	global_store_b128 v[20:21], v[0:3], off
	global_store_b128 v[22:23], v[4:7], off
	s_waitcnt lgkmcnt(2)
	global_store_b128 v[24:25], v[8:11], off
	s_waitcnt lgkmcnt(1)
	;; [unrolled: 2-line block ×3, first 2 shown]
	global_store_b128 v[28:29], v[16:19], off
	s_nop 0
	s_sendmsg sendmsg(MSG_DEALLOC_VGPRS)
	s_endpgm
	.section	.rodata,"a",@progbits
	.p2align	6, 0x0
	.amdhsa_kernel _Z39paged_attention_ll4mi_QKV_mfma16_kernelIDF16_hLN4vllm18Fp8KVCacheDataTypeE1EhLi32ELi64ELi256ELb1ELi10EL8MFMAType0EEvPKT_PKT0_S8_ifPKiSA_SA_iPKfiiiPfSD_PS3_PT2_iSC_SC_
		.amdhsa_group_segment_fixed_size 17472
		.amdhsa_private_segment_fixed_size 0
		.amdhsa_kernarg_size 400
		.amdhsa_user_sgpr_count 13
		.amdhsa_user_sgpr_dispatch_ptr 0
		.amdhsa_user_sgpr_queue_ptr 0
		.amdhsa_user_sgpr_kernarg_segment_ptr 1
		.amdhsa_user_sgpr_dispatch_id 0
		.amdhsa_user_sgpr_private_segment_size 0
		.amdhsa_wavefront_size32 1
		.amdhsa_uses_dynamic_stack 0
		.amdhsa_enable_private_segment 0
		.amdhsa_system_sgpr_workgroup_id_x 1
		.amdhsa_system_sgpr_workgroup_id_y 1
		.amdhsa_system_sgpr_workgroup_id_z 1
		.amdhsa_system_sgpr_workgroup_info 0
		.amdhsa_system_vgpr_workitem_id 0
		.amdhsa_next_free_vgpr 146
		.amdhsa_next_free_sgpr 38
		.amdhsa_reserve_vcc 1
		.amdhsa_float_round_mode_32 0
		.amdhsa_float_round_mode_16_64 0
		.amdhsa_float_denorm_mode_32 3
		.amdhsa_float_denorm_mode_16_64 3
		.amdhsa_dx10_clamp 1
		.amdhsa_ieee_mode 1
		.amdhsa_fp16_overflow 0
		.amdhsa_workgroup_processor_mode 1
		.amdhsa_memory_ordered 1
		.amdhsa_forward_progress 0
		.amdhsa_shared_vgpr_count 0
		.amdhsa_exception_fp_ieee_invalid_op 0
		.amdhsa_exception_fp_denorm_src 0
		.amdhsa_exception_fp_ieee_div_zero 0
		.amdhsa_exception_fp_ieee_overflow 0
		.amdhsa_exception_fp_ieee_underflow 0
		.amdhsa_exception_fp_ieee_inexact 0
		.amdhsa_exception_int_div_zero 0
	.end_amdhsa_kernel
	.section	.text._Z39paged_attention_ll4mi_QKV_mfma16_kernelIDF16_hLN4vllm18Fp8KVCacheDataTypeE1EhLi32ELi64ELi256ELb1ELi10EL8MFMAType0EEvPKT_PKT0_S8_ifPKiSA_SA_iPKfiiiPfSD_PS3_PT2_iSC_SC_,"axG",@progbits,_Z39paged_attention_ll4mi_QKV_mfma16_kernelIDF16_hLN4vllm18Fp8KVCacheDataTypeE1EhLi32ELi64ELi256ELb1ELi10EL8MFMAType0EEvPKT_PKT0_S8_ifPKiSA_SA_iPKfiiiPfSD_PS3_PT2_iSC_SC_,comdat
.Lfunc_end1159:
	.size	_Z39paged_attention_ll4mi_QKV_mfma16_kernelIDF16_hLN4vllm18Fp8KVCacheDataTypeE1EhLi32ELi64ELi256ELb1ELi10EL8MFMAType0EEvPKT_PKT0_S8_ifPKiSA_SA_iPKfiiiPfSD_PS3_PT2_iSC_SC_, .Lfunc_end1159-_Z39paged_attention_ll4mi_QKV_mfma16_kernelIDF16_hLN4vllm18Fp8KVCacheDataTypeE1EhLi32ELi64ELi256ELb1ELi10EL8MFMAType0EEvPKT_PKT0_S8_ifPKiSA_SA_iPKfiiiPfSD_PS3_PT2_iSC_SC_
                                        ; -- End function
	.section	.AMDGPU.csdata,"",@progbits
; Kernel info:
; codeLenInByte = 6548
; NumSgprs: 40
; NumVgprs: 146
; ScratchSize: 0
; MemoryBound: 0
; FloatMode: 240
; IeeeMode: 1
; LDSByteSize: 17472 bytes/workgroup (compile time only)
; SGPRBlocks: 4
; VGPRBlocks: 18
; NumSGPRsForWavesPerEU: 40
; NumVGPRsForWavesPerEU: 146
; Occupancy: 9
; WaveLimiterHint : 1
; COMPUTE_PGM_RSRC2:SCRATCH_EN: 0
; COMPUTE_PGM_RSRC2:USER_SGPR: 13
; COMPUTE_PGM_RSRC2:TRAP_HANDLER: 0
; COMPUTE_PGM_RSRC2:TGID_X_EN: 1
; COMPUTE_PGM_RSRC2:TGID_Y_EN: 1
; COMPUTE_PGM_RSRC2:TGID_Z_EN: 1
; COMPUTE_PGM_RSRC2:TIDIG_COMP_CNT: 0
	.section	.text._Z39paged_attention_ll4mi_QKV_mfma16_kernelIDF16_hLN4vllm18Fp8KVCacheDataTypeE1EhLi32ELi64ELi256ELb1ELi11EL8MFMAType0EEvPKT_PKT0_S8_ifPKiSA_SA_iPKfiiiPfSD_PS3_PT2_iSC_SC_,"axG",@progbits,_Z39paged_attention_ll4mi_QKV_mfma16_kernelIDF16_hLN4vllm18Fp8KVCacheDataTypeE1EhLi32ELi64ELi256ELb1ELi11EL8MFMAType0EEvPKT_PKT0_S8_ifPKiSA_SA_iPKfiiiPfSD_PS3_PT2_iSC_SC_,comdat
	.protected	_Z39paged_attention_ll4mi_QKV_mfma16_kernelIDF16_hLN4vllm18Fp8KVCacheDataTypeE1EhLi32ELi64ELi256ELb1ELi11EL8MFMAType0EEvPKT_PKT0_S8_ifPKiSA_SA_iPKfiiiPfSD_PS3_PT2_iSC_SC_ ; -- Begin function _Z39paged_attention_ll4mi_QKV_mfma16_kernelIDF16_hLN4vllm18Fp8KVCacheDataTypeE1EhLi32ELi64ELi256ELb1ELi11EL8MFMAType0EEvPKT_PKT0_S8_ifPKiSA_SA_iPKfiiiPfSD_PS3_PT2_iSC_SC_
	.globl	_Z39paged_attention_ll4mi_QKV_mfma16_kernelIDF16_hLN4vllm18Fp8KVCacheDataTypeE1EhLi32ELi64ELi256ELb1ELi11EL8MFMAType0EEvPKT_PKT0_S8_ifPKiSA_SA_iPKfiiiPfSD_PS3_PT2_iSC_SC_
	.p2align	8
	.type	_Z39paged_attention_ll4mi_QKV_mfma16_kernelIDF16_hLN4vllm18Fp8KVCacheDataTypeE1EhLi32ELi64ELi256ELb1ELi11EL8MFMAType0EEvPKT_PKT0_S8_ifPKiSA_SA_iPKfiiiPfSD_PS3_PT2_iSC_SC_,@function
_Z39paged_attention_ll4mi_QKV_mfma16_kernelIDF16_hLN4vllm18Fp8KVCacheDataTypeE1EhLi32ELi64ELi256ELb1ELi11EL8MFMAType0EEvPKT_PKT0_S8_ifPKiSA_SA_iPKfiiiPfSD_PS3_PT2_iSC_SC_: ; @_Z39paged_attention_ll4mi_QKV_mfma16_kernelIDF16_hLN4vllm18Fp8KVCacheDataTypeE1EhLi32ELi64ELi256ELb1ELi11EL8MFMAType0EEvPKT_PKT0_S8_ifPKiSA_SA_iPKfiiiPfSD_PS3_PT2_iSC_SC_
; %bb.0:
	s_load_b64 s[2:3], s[0:1], 0x30
	s_mov_b32 s34, s13
	s_waitcnt lgkmcnt(0)
	s_cmp_lg_u64 s[2:3], 0
	s_cselect_b32 s6, -1, 0
	s_ashr_i32 s35, s13, 31
	s_cmp_eq_u64 s[2:3], 0
	s_cbranch_scc1 .LBB1160_3
; %bb.1:
	s_lshl_b64 s[4:5], s[34:35], 2
	s_delay_alu instid0(SALU_CYCLE_1) | instskip(SKIP_4) | instid1(SALU_CYCLE_1)
	s_add_u32 s4, s2, s4
	s_addc_u32 s5, s3, s5
	s_load_b64 s[4:5], s[4:5], 0x0
	s_waitcnt lgkmcnt(0)
	s_sub_i32 s4, s5, s4
	s_cmp_eq_u32 s4, 1
	s_cselect_b32 s4, -1, 0
	s_delay_alu instid0(SALU_CYCLE_1)
	s_and_not1_b32 vcc_lo, exec_lo, s4
	s_cbranch_vccz .LBB1160_4
.LBB1160_2:
	s_nop 0
	s_sendmsg sendmsg(MSG_DEALLOC_VGPRS)
	s_endpgm
.LBB1160_3:
.LBB1160_4:
	s_load_b64 s[8:9], s[0:1], 0x28
	s_lshl_b64 s[4:5], s[34:35], 2
	s_waitcnt lgkmcnt(0)
	s_add_u32 s8, s8, s4
	s_addc_u32 s9, s9, s5
	s_lshl_b32 s16, s14, 8
	s_load_b32 s18, s[8:9], 0x0
	s_waitcnt lgkmcnt(0)
	s_cmp_ge_i32 s16, s18
	s_cbranch_scc1 .LBB1160_2
; %bb.5:
	s_clause 0x1
	s_load_b128 s[8:11], s[0:1], 0x8
	s_load_b64 s[12:13], s[0:1], 0x20
	s_and_not1_b32 vcc_lo, exec_lo, s6
	s_cbranch_vccnz .LBB1160_7
; %bb.6:
	s_add_u32 s2, s2, s4
	s_addc_u32 s3, s3, s5
	s_load_b32 s3, s[2:3], 0x0
	s_branch .LBB1160_8
.LBB1160_7:
	s_mov_b32 s3, s34
.LBB1160_8:
	s_load_b128 s[4:7], s[0:1], 0x48
	v_lshrrev_b32_e32 v69, 5, v0
	v_bfe_u32 v66, v0, 4, 1
	v_and_b32_e32 v68, 15, v0
	v_and_b32_e32 v70, 31, v0
	;; [unrolled: 1-line block ×3, first 2 shown]
	s_mul_i32 s33, s15, 11
	v_lshl_or_b32 v1, v69, 1, v66
	v_lshlrev_b32_e32 v2, 3, v68
	v_cmp_gt_u32_e64 s2, 8, v68
	s_delay_alu instid0(VALU_DEP_3) | instskip(NEXT) | instid1(VALU_DEP_3)
	v_cmp_gt_u32_e32 vcc_lo, 11, v1
	v_lshlrev_b32_e32 v65, 1, v2
	s_delay_alu instid0(VALU_DEP_3)
	s_and_b32 s17, s2, vcc_lo
	s_waitcnt lgkmcnt(0)
	s_and_saveexec_b32 s7, s17
	s_cbranch_execz .LBB1160_10
; %bb.9:
	s_load_b64 s[20:21], s[0:1], 0x0
	v_add_lshl_u32 v2, v1, s33, 6
	s_mul_hi_i32 s23, s3, s4
	s_mul_i32 s22, s3, s4
	v_lshlrev_b32_e32 v6, 10, v68
	s_lshl_b64 s[22:23], s[22:23], 1
	v_ashrrev_i32_e32 v3, 31, v2
	v_lshlrev_b32_e32 v1, 6, v1
	v_lshlrev_b32_e32 v7, 10, v67
	v_and_b32_e32 v6, 0x3800, v6
	s_delay_alu instid0(VALU_DEP_4) | instskip(NEXT) | instid1(VALU_DEP_2)
	v_lshlrev_b64 v[2:3], 1, v[2:3]
	v_or3_b32 v1, v6, v7, v1
	s_waitcnt lgkmcnt(0)
	s_add_u32 s3, s20, s22
	s_addc_u32 s4, s21, s23
	s_delay_alu instid0(VALU_DEP_2) | instskip(SKIP_1) | instid1(VALU_DEP_2)
	v_add_co_u32 v2, vcc_lo, s3, v2
	v_add_co_ci_u32_e32 v3, vcc_lo, s4, v3, vcc_lo
	v_add_co_u32 v2, vcc_lo, v2, v65
	s_delay_alu instid0(VALU_DEP_2)
	v_add_co_ci_u32_e32 v3, vcc_lo, 0, v3, vcc_lo
	global_load_b128 v[2:5], v[2:3], off
	s_waitcnt vmcnt(0)
	ds_store_b128 v1, v[2:5]
.LBB1160_10:
	s_or_b32 exec_lo, exec_lo, s7
	v_and_b32_e32 v1, 0xef, v0
	s_add_i32 s3, s18, 31
	s_clause 0x1
	s_load_b32 s4, s[0:1], 0x38
	s_load_b32 s35, s[0:1], 0x98
	s_ashr_i32 s7, s3, 31
	v_add_nc_u32_e32 v1, s16, v1
	s_lshr_b32 s7, s7, 27
	s_load_b32 s19, s[0:1], 0x1c
	v_add_nc_u32_e32 v103, -11, v68
	s_add_i32 s3, s3, s7
	v_ashrrev_i32_e32 v2, 31, v1
	v_or_b32_e32 v3, 16, v1
	s_ashr_i32 s3, s3, 5
	v_cmp_gt_i32_e32 vcc_lo, s18, v1
	s_add_i32 s3, s3, -1
	v_lshrrev_b32_e32 v2, 27, v2
	s_waitcnt lgkmcnt(0)
	s_barrier
	buffer_gl0_inv
	s_mul_i32 s15, s15, s6
	v_add_nc_u32_e32 v4, v1, v2
	v_mbcnt_lo_u32_b32 v127, -1, 0
	s_mul_i32 s20, s34, s4
	s_delay_alu instid0(SALU_CYCLE_1) | instskip(NEXT) | instid1(VALU_DEP_2)
	s_ashr_i32 s21, s20, 31
	v_ashrrev_i32_e32 v4, 5, v4
	v_add_nc_u32_e32 v2, v3, v2
	s_lshl_b64 s[20:21], s[20:21], 2
	v_xor_b32_e32 v128, 16, v127
	s_add_u32 s17, s12, s20
	v_cndmask_b32_e32 v1, s3, v4, vcc_lo
	v_ashrrev_i32_e32 v2, 5, v2
	v_cmp_gt_i32_e32 vcc_lo, s18, v3
	s_addc_u32 s13, s13, s21
	s_ashr_i32 s20, s15, 31
	s_add_u32 s22, s8, s15
	s_addc_u32 s23, s9, s20
	v_cndmask_b32_e32 v3, s3, v2, vcc_lo
	v_ashrrev_i32_e32 v2, 31, v1
	s_lshl_b32 s6, s14, 3
	s_delay_alu instid0(SALU_CYCLE_1) | instskip(NEXT) | instid1(VALU_DEP_2)
	s_ashr_i32 s7, s6, 31
	v_ashrrev_i32_e32 v4, 31, v3
	s_delay_alu instid0(VALU_DEP_2) | instskip(SKIP_1) | instid1(SALU_CYCLE_1)
	v_lshlrev_b64 v[1:2], 2, v[1:2]
	s_lshl_b64 s[6:7], s[6:7], 2
	s_add_u32 s6, s17, s6
	s_delay_alu instid0(VALU_DEP_2) | instskip(SKIP_1) | instid1(VALU_DEP_2)
	v_lshlrev_b64 v[3:4], 2, v[3:4]
	s_addc_u32 s7, s13, s7
	v_add_co_u32 v1, vcc_lo, s17, v1
	v_add_co_ci_u32_e32 v2, vcc_lo, s13, v2, vcc_lo
	s_delay_alu instid0(VALU_DEP_3) | instskip(NEXT) | instid1(VALU_DEP_4)
	v_add_co_u32 v3, vcc_lo, s17, v3
	v_add_co_ci_u32_e32 v4, vcc_lo, s13, v4, vcc_lo
	s_clause 0x1
	global_load_b32 v5, v[1:2], off
	global_load_b32 v6, v[3:4], off
	s_or_b32 s4, s16, 32
	s_delay_alu instid0(SALU_CYCLE_1) | instskip(SKIP_2) | instid1(SALU_CYCLE_1)
	s_ashr_i32 s8, s4, 5
	s_cmp_lt_i32 s4, s18
	s_cselect_b32 s8, s8, s3
	s_ashr_i32 s9, s8, 31
	s_delay_alu instid0(SALU_CYCLE_1) | instskip(NEXT) | instid1(SALU_CYCLE_1)
	s_lshl_b64 s[8:9], s[8:9], 2
	s_add_u32 s8, s17, s8
	s_addc_u32 s9, s13, s9
	s_or_b32 s4, s16, 64
	s_delay_alu instid0(SALU_CYCLE_1) | instskip(SKIP_2) | instid1(SALU_CYCLE_1)
	s_ashr_i32 s12, s4, 5
	s_cmp_lt_i32 s4, s18
	s_cselect_b32 s24, s12, s3
	s_ashr_i32 s25, s24, 31
	s_delay_alu instid0(SALU_CYCLE_1) | instskip(NEXT) | instid1(SALU_CYCLE_1)
	s_lshl_b64 s[24:25], s[24:25], 2
	s_add_u32 s24, s17, s24
	s_addc_u32 s25, s13, s25
	;; [unrolled: 10-line block ×5, first 2 shown]
	s_clause 0x5
	s_load_b32 s12, s[6:7], 0x0
	s_load_b32 s4, s[8:9], 0x0
	;; [unrolled: 1-line block ×6, first 2 shown]
	s_or_b32 s21, s16, 0xc0
	s_waitcnt vmcnt(1)
	v_mad_i64_i32 v[1:2], null, v5, s5, s[22:23]
	v_lshlrev_b32_e32 v5, 4, v68
	s_waitcnt vmcnt(0)
	v_mad_i64_i32 v[3:4], null, v6, s5, s[22:23]
	s_ashr_i32 s22, s21, 5
	s_cmp_lt_i32 s21, s18
	s_delay_alu instid0(VALU_DEP_3) | instskip(NEXT) | instid1(VALU_DEP_4)
	v_add_co_u32 v1, vcc_lo, v1, v5
	v_add_co_ci_u32_e32 v2, vcc_lo, 0, v2, vcc_lo
	s_delay_alu instid0(VALU_DEP_3) | instskip(NEXT) | instid1(VALU_DEP_4)
	v_add_co_u32 v3, vcc_lo, v3, v5
	v_add_co_ci_u32_e32 v4, vcc_lo, 0, v4, vcc_lo
	s_clause 0x7
	global_load_b128 v[71:74], v[1:2], off
	global_load_b128 v[75:78], v[1:2], off offset:512
	global_load_b128 v[79:82], v[3:4], off offset:256
	;; [unrolled: 1-line block ×7, first 2 shown]
	s_cselect_b32 s22, s22, s3
	v_lshlrev_b32_e32 v1, 5, v68
	s_ashr_i32 s23, s22, 31
	v_cmp_gt_u32_e32 vcc_lo, 11, v68
	s_lshl_b64 s[22:23], s[22:23], 2
	s_delay_alu instid0(SALU_CYCLE_1)
	s_add_u32 s22, s17, s22
	s_addc_u32 s23, s13, s23
	s_or_b32 s21, s16, 0xe0
	v_lshl_or_b32 v1, v69, 9, v1
	s_ashr_i32 s24, s21, 5
	s_cmp_lt_i32 s21, s18
	v_cndmask_b32_e32 v103, v103, v68, vcc_lo
	s_cselect_b32 s24, s24, s3
	s_load_b32 s3, s[22:23], 0x0
	s_ashr_i32 s25, s24, 31
	v_cmp_gt_i32_e32 vcc_lo, 32, v128
	s_lshl_b64 s[24:25], s[24:25], 2
	v_lshlrev_b32_e32 v115, 6, v103
	s_add_u32 s22, s17, s24
	s_addc_u32 s23, s13, s25
	v_cndmask_b32_e32 v136, v127, v128, vcc_lo
	s_add_u32 s10, s10, s15
	s_addc_u32 s11, s11, s20
	v_add_co_u32 v1, s10, s10, v1
	s_delay_alu instid0(VALU_DEP_1) | instskip(SKIP_2) | instid1(VALU_DEP_1)
	v_add_co_ci_u32_e64 v2, null, s11, 0, s10
	s_load_b32 s10, s[22:23], 0x0
	s_waitcnt lgkmcnt(0)
	v_mad_i64_i32 v[3:4], null, s12, s5, v[1:2]
	v_mad_i64_i32 v[9:10], null, s7, s5, v[1:2]
	v_mad_i64_i32 v[5:6], null, s4, s5, v[1:2]
	v_mad_i64_i32 v[13:14], null, s8, s5, v[1:2]
	v_mad_i64_i32 v[7:8], null, s6, s5, v[1:2]
	v_mad_i64_i32 v[21:22], null, s9, s5, v[1:2]
	v_mad_i64_i32 v[29:30], null, s3, s5, v[1:2]
	s_clause 0x5
	global_load_b128 v[49:52], v[3:4], off
	global_load_b128 v[53:56], v[3:4], off offset:16
	global_load_b128 v[41:44], v[5:6], off
	global_load_b128 v[45:48], v[5:6], off offset:16
	;; [unrolled: 2-line block ×3, first 2 shown]
	s_mov_b32 s4, 0
	v_mad_i64_i32 v[61:62], null, s10, s5, v[1:2]
	s_clause 0x9
	global_load_b128 v[1:4], v[9:10], off
	global_load_b128 v[5:8], v[9:10], off offset:16
	global_load_b128 v[9:12], v[13:14], off
	global_load_b128 v[13:16], v[13:14], off offset:16
	;; [unrolled: 2-line block ×5, first 2 shown]
	s_mov_b32 s5, s4
	s_mov_b32 s6, s4
	;; [unrolled: 1-line block ×7, first 2 shown]
	v_and_b32_e32 v104, 0xe0, v0
	v_dual_mov_b32 v126, s11 :: v_dual_mov_b32 v125, s10
	v_dual_mov_b32 v124, s9 :: v_dual_mov_b32 v123, s8
	s_delay_alu instid0(VALU_DEP_3)
	v_add_nc_u32_e32 v111, s16, v104
	ds_load_b128 v[103:106], v115
	ds_load_b128 v[107:110], v115 offset:1024
	v_dual_mov_b32 v122, s7 :: v_dual_mov_b32 v121, s6
	v_mov_b32_e32 v120, s5
	v_or_b32_e32 v135, v111, v66
	ds_load_b128 v[111:114], v115 offset:2048
	ds_load_b128 v[115:118], v115 offset:3072
	v_mov_b32_e32 v119, s4
	s_waitcnt vmcnt(0) lgkmcnt(0)
	s_barrier
	v_or_b32_e32 v137, 2, v135
	v_or_b32_e32 v138, 4, v135
	;; [unrolled: 1-line block ×3, first 2 shown]
	v_cmp_gt_i32_e32 vcc_lo, s18, v135
	v_or_b32_e32 v140, 8, v135
	v_cmp_gt_i32_e64 s3, s18, v137
	v_or_b32_e32 v141, 10, v135
	v_cmp_gt_i32_e64 s4, s18, v138
	v_cmp_gt_i32_e64 s5, s18, v139
	v_or_b32_e32 v142, 12, v135
	v_or_b32_e32 v143, 14, v135
	v_cmp_gt_i32_e64 s6, s18, v140
	v_cmp_gt_i32_e64 s7, s18, v141
	v_or_b32_e32 v144, 16, v135
	v_or_b32_e32 v145, 18, v135
	v_cmp_gt_i32_e64 s8, s18, v142
	v_cmp_gt_i32_e64 s9, s18, v143
	buffer_gl0_inv
	v_cmp_gt_i32_e64 s10, s18, v144
	v_cmp_gt_i32_e64 s11, s18, v145
	v_wmma_f32_16x16x16_f16 v[127:134], v[71:78], v[103:110], v[119:126]
	v_wmma_f32_16x16x16_f16 v[119:126], v[79:86], v[103:110], v[119:126]
	v_or_b32_e32 v71, 20, v135
	v_or_b32_e32 v72, 22, v135
	s_delay_alu instid0(VALU_DEP_4)
	v_wmma_f32_16x16x16_f16 v[127:134], v[87:94], v[111:118], v[127:134]
	v_or_b32_e32 v73, 24, v135
	v_wmma_f32_16x16x16_f16 v[119:126], v[95:102], v[111:118], v[119:126]
	v_or_b32_e32 v74, 26, v135
	v_cmp_gt_i32_e64 s12, s18, v71
	v_dual_mul_f32 v83, s19, v128 :: v_dual_mul_f32 v84, s19, v127
	s_delay_alu instid0(VALU_DEP_4) | instskip(SKIP_1) | instid1(VALU_DEP_3)
	v_dual_mul_f32 v81, s19, v130 :: v_dual_mul_f32 v92, s19, v119
	v_mul_f32_e32 v82, s19, v129
	v_cndmask_b32_e64 v83, 0xff7fffff, v83, s3
	s_delay_alu instid0(VALU_DEP_4)
	v_cndmask_b32_e32 v84, 0xff7fffff, v84, vcc_lo
	v_dual_mul_f32 v79, s19, v132 :: v_dual_mul_f32 v90, s19, v121
	v_mul_f32_e32 v80, s19, v131
	v_cndmask_b32_e64 v82, 0xff7fffff, v82, s4
	v_cndmask_b32_e64 v81, 0xff7fffff, v81, s5
	v_max3_f32 v83, v84, 0xff7fffff, v83
	v_dual_mul_f32 v77, s19, v134 :: v_dual_mul_f32 v88, s19, v123
	v_mul_f32_e32 v78, s19, v133
	v_cndmask_b32_e64 v80, 0xff7fffff, v80, s6
	v_cndmask_b32_e64 v79, 0xff7fffff, v79, s7
	v_max3_f32 v81, v83, v82, v81
	v_mul_f32_e32 v91, s19, v120
	v_cndmask_b32_e64 v78, 0xff7fffff, v78, s8
	v_cndmask_b32_e64 v77, 0xff7fffff, v77, s9
	v_mul_f32_e32 v89, s19, v122
	v_max3_f32 v79, v81, v80, v79
	v_cndmask_b32_e64 v80, 0xff7fffff, v92, s10
	v_cndmask_b32_e64 v81, 0xff7fffff, v91, s11
	v_cmp_gt_i32_e64 s13, s18, v72
	v_or_b32_e32 v75, 28, v135
	v_max3_f32 v77, v79, v78, v77
	v_or_b32_e32 v76, 30, v135
	v_mul_f32_e32 v87, s19, v124
	v_cndmask_b32_e64 v71, 0xff7fffff, v90, s12
	v_cndmask_b32_e64 v72, 0xff7fffff, v89, s13
	v_max3_f32 v77, v77, v80, v81
	v_cmp_gt_i32_e64 s15, s18, v73
	v_cmp_gt_i32_e64 s16, s18, v74
	v_dual_mul_f32 v85, s19, v126 :: v_dual_mul_f32 v86, s19, v125
	s_delay_alu instid0(VALU_DEP_4) | instskip(NEXT) | instid1(VALU_DEP_4)
	v_max3_f32 v71, v77, v71, v72
	v_cndmask_b32_e64 v73, 0xff7fffff, v88, s15
	s_delay_alu instid0(VALU_DEP_4) | instskip(SKIP_2) | instid1(VALU_DEP_3)
	v_cndmask_b32_e64 v74, 0xff7fffff, v87, s16
	v_cmp_gt_i32_e64 s17, s18, v75
	v_cmp_gt_i32_e64 s18, s18, v76
	v_max3_f32 v71, v71, v73, v74
	s_delay_alu instid0(VALU_DEP_3) | instskip(NEXT) | instid1(VALU_DEP_3)
	v_cndmask_b32_e64 v72, 0xff7fffff, v86, s17
	v_cndmask_b32_e64 v75, 0xff7fffff, v85, s18
	v_lshlrev_b32_e32 v73, 2, v136
	s_delay_alu instid0(VALU_DEP_2) | instskip(SKIP_3) | instid1(VALU_DEP_1)
	v_max3_f32 v71, v71, v72, v75
	ds_bpermute_b32 v72, v73, v71
	s_waitcnt lgkmcnt(0)
	v_max_f32_e32 v72, v72, v72
	v_max_f32_e32 v71, v71, v72
	s_delay_alu instid0(VALU_DEP_1)
	v_fma_f32 v72, s19, v127, -v71
	v_fma_f32 v74, s19, v128, -v71
	;; [unrolled: 1-line block ×5, first 2 shown]
	v_mul_f32_e32 v72, 0x3fb8aa3b, v72
	v_mul_f32_e32 v74, 0x3fb8aa3b, v74
	v_fma_f32 v80, s19, v133, -v71
	s_delay_alu instid0(VALU_DEP_4) | instskip(NEXT) | instid1(VALU_DEP_4)
	v_dual_mul_f32 v76, 0x3fb8aa3b, v76 :: v_dual_mul_f32 v77, 0x3fb8aa3b, v77
	v_exp_f32_e32 v72, v72
	s_delay_alu instid0(VALU_DEP_3) | instskip(NEXT) | instid1(VALU_DEP_2)
	v_exp_f32_e32 v74, v74
	v_mul_f32_e32 v82, 0x3fb8aa3b, v80
	s_delay_alu instid0(VALU_DEP_2) | instskip(SKIP_1) | instid1(VALU_DEP_1)
	v_exp_f32_e32 v76, v76
	v_exp_f32_e32 v77, v77
	;; [unrolled: 1-line block ×3, first 2 shown]
	v_cndmask_b32_e32 v79, 0, v72, vcc_lo
	v_fma_f32 v72, s19, v132, -v71
	v_mul_f32_e32 v75, 0x3fb8aa3b, v75
	v_cndmask_b32_e64 v78, 0, v74, s3
	s_delay_alu instid0(TRANS32_DEP_3)
	v_cndmask_b32_e64 v80, 0, v76, s5
	v_add_f32_e32 v74, 0, v79
	v_mul_f32_e32 v72, 0x3fb8aa3b, v72
	v_exp_f32_e32 v75, v75
	v_cndmask_b32_e64 v83, 0, v77, s6
	v_cndmask_b32_e64 v85, 0, v84, s8
	v_add_f32_e32 v74, v74, v78
	v_exp_f32_e32 v72, v72
	v_cmp_gt_u32_e64 s3, 16, v70
	s_waitcnt_depctr 0xfff
	v_cndmask_b32_e64 v81, 0, v75, s4
	v_cndmask_b32_e64 v82, 0, v72, s7
	s_delay_alu instid0(VALU_DEP_2) | instskip(NEXT) | instid1(VALU_DEP_1)
	v_add_f32_e32 v74, v74, v81
	v_add_f32_e32 v74, v74, v80
	s_delay_alu instid0(VALU_DEP_1) | instskip(SKIP_4) | instid1(VALU_DEP_4)
	v_add_f32_e32 v72, v74, v83
	v_fma_f32 v75, s19, v134, -v71
	v_fma_f32 v76, s19, v119, -v71
	;; [unrolled: 1-line block ×4, first 2 shown]
	v_dual_add_f32 v72, v72, v82 :: v_dual_mul_f32 v75, 0x3fb8aa3b, v75
	s_delay_alu instid0(VALU_DEP_3) | instskip(SKIP_1) | instid1(VALU_DEP_3)
	v_dual_mul_f32 v76, 0x3fb8aa3b, v76 :: v_dual_mul_f32 v77, 0x3fb8aa3b, v77
	v_fma_f32 v86, s19, v122, -v71
	v_add_f32_e32 v72, v72, v85
	s_delay_alu instid0(VALU_DEP_4) | instskip(NEXT) | instid1(VALU_DEP_3)
	v_exp_f32_e32 v75, v75
	v_exp_f32_e32 v76, v76
	;; [unrolled: 1-line block ×3, first 2 shown]
	v_mul_f32_e32 v86, 0x3fb8aa3b, v86
	s_delay_alu instid0(VALU_DEP_1) | instskip(SKIP_3) | instid1(TRANS32_DEP_3)
	v_exp_f32_e32 v88, v86
	v_cndmask_b32_e64 v84, 0, v75, s9
	v_fma_f32 v75, s19, v123, -v71
	v_mul_f32_e32 v74, 0x3fb8aa3b, v74
	v_cndmask_b32_e64 v87, 0, v76, s10
	v_fma_f32 v76, s19, v124, -v71
	s_delay_alu instid0(VALU_DEP_4) | instskip(NEXT) | instid1(VALU_DEP_4)
	v_dual_add_f32 v72, v72, v84 :: v_dual_mul_f32 v75, 0x3fb8aa3b, v75
	v_exp_f32_e32 v74, v74
	v_cndmask_b32_e64 v86, 0, v77, s11
	v_fma_f32 v77, s19, v125, -v71
	s_delay_alu instid0(VALU_DEP_3) | instskip(SKIP_3) | instid1(VALU_DEP_3)
	v_add_f32_e32 v72, v72, v87
	v_mul_f32_e32 v76, 0x3fb8aa3b, v76
	v_exp_f32_e32 v75, v75
	v_cndmask_b32_e64 v88, 0, v88, s13
	v_add_f32_e32 v72, v72, v86
	s_delay_alu instid0(VALU_DEP_3) | instskip(NEXT) | instid1(TRANS32_DEP_3)
	v_exp_f32_e32 v76, v76
	v_cndmask_b32_e64 v89, 0, v74, s12
	v_mul_f32_e32 v74, 0x3fb8aa3b, v77
	v_fma_f32 v77, s19, v126, -v71
	s_delay_alu instid0(VALU_DEP_3) | instskip(NEXT) | instid1(VALU_DEP_3)
	v_add_f32_e32 v72, v72, v89
	v_exp_f32_e32 v74, v74
	s_delay_alu instid0(TRANS32_DEP_3) | instskip(NEXT) | instid1(VALU_DEP_3)
	v_cndmask_b32_e64 v91, 0, v75, s15
	v_mul_f32_e32 v75, 0x3fb8aa3b, v77
	s_delay_alu instid0(TRANS32_DEP_2) | instskip(SKIP_1) | instid1(VALU_DEP_3)
	v_cndmask_b32_e64 v90, 0, v76, s16
	v_add_f32_e32 v72, v72, v88
	v_exp_f32_e32 v75, v75
	s_delay_alu instid0(VALU_DEP_1) | instskip(NEXT) | instid1(TRANS32_DEP_2)
	v_add_f32_e32 v72, v72, v91
	v_cndmask_b32_e64 v93, 0, v74, s17
	s_delay_alu instid0(VALU_DEP_2) | instskip(SKIP_3) | instid1(VALU_DEP_1)
	v_add_f32_e32 v72, v72, v90
	s_waitcnt_depctr 0xfff
	v_cndmask_b32_e64 v92, 0, v75, s18
	v_add_f32_e32 v72, v72, v93
	v_add_f32_e32 v72, v72, v92
	ds_bpermute_b32 v73, v73, v72
	s_and_saveexec_b32 s4, s3
	s_cbranch_execz .LBB1160_12
; %bb.11:
	v_mul_u32_u24_e32 v70, 0x44, v69
	s_waitcnt lgkmcnt(0)
	v_add_f32_e32 v72, v72, v73
	s_delay_alu instid0(VALU_DEP_2) | instskip(NEXT) | instid1(VALU_DEP_1)
	v_lshl_add_u32 v70, v68, 2, v70
	v_add_nc_u32_e32 v70, 0x4000, v70
	ds_store_2addr_b32 v70, v71, v72 offset1:136
.LBB1160_12:
	s_or_b32 exec_lo, exec_lo, s4
	v_lshlrev_b32_e32 v70, 2, v68
	s_load_b32 s36, s[0:1], 0x94
	s_waitcnt lgkmcnt(0)
	s_barrier
	buffer_gl0_inv
	v_add_nc_u32_e32 v98, 0x4000, v70
	v_cmp_eq_u32_e32 vcc_lo, 1, v69
	v_cmp_eq_u32_e64 s4, 2, v69
	v_cmp_eq_u32_e64 s5, 3, v69
	;; [unrolled: 1-line block ×3, first 2 shown]
	ds_load_2addr_b32 v[70:71], v98 offset1:17
	ds_load_2addr_b32 v[72:73], v98 offset0:34 offset1:51
	ds_load_2addr_b32 v[74:75], v98 offset0:68 offset1:85
	;; [unrolled: 1-line block ×3, first 2 shown]
	v_cmp_eq_u32_e64 s7, 5, v69
	v_cmp_eq_u32_e64 s8, 7, v69
	s_waitcnt lgkmcnt(3)
	v_max3_f32 v76, v70, 0xff7fffff, v71
	s_waitcnt lgkmcnt(2)
	s_delay_alu instid0(VALU_DEP_1) | instskip(SKIP_1) | instid1(VALU_DEP_1)
	v_max3_f32 v76, v76, v72, v73
	s_waitcnt lgkmcnt(1)
	v_max3_f32 v76, v76, v74, v75
	s_waitcnt lgkmcnt(0)
	s_delay_alu instid0(VALU_DEP_1) | instskip(NEXT) | instid1(VALU_DEP_1)
	v_max3_f32 v76, v76, v94, v95
	v_sub_f32_e32 v77, v71, v76
	ds_load_2addr_b32 v[96:97], v98 offset0:136 offset1:153
	v_sub_f32_e32 v74, v74, v76
	v_sub_f32_e32 v70, v70, v76
	;; [unrolled: 1-line block ×3, first 2 shown]
	v_dual_sub_f32 v72, v72, v76 :: v_dual_mul_f32 v77, 0x3fb8aa3b, v77
	s_delay_alu instid0(VALU_DEP_4) | instskip(NEXT) | instid1(VALU_DEP_4)
	v_mul_f32_e32 v103, 0x3fb8aa3b, v74
	v_mul_f32_e32 v99, 0x3fb8aa3b, v70
	ds_load_2addr_b32 v[70:71], v98 offset0:170 offset1:187
	v_dual_mul_f32 v101, 0x3fb8aa3b, v72 :: v_dual_mul_f32 v94, 0x3fb8aa3b, v94
	v_exp_f32_e32 v102, v77
	v_exp_f32_e32 v99, v99
	s_delay_alu instid0(VALU_DEP_1) | instskip(NEXT) | instid1(VALU_DEP_1)
	v_exp_f32_e32 v101, v101
	v_exp_f32_e32 v94, v94
	s_waitcnt lgkmcnt(1)
	s_delay_alu instid0(TRANS32_DEP_3)
	v_fma_f32 v77, v99, v96, 0
	v_sub_f32_e32 v100, v73, v76
	ds_load_2addr_b32 v[72:73], v98 offset0:204 offset1:221
	v_fmac_f32_e32 v77, v102, v97
	v_exp_f32_e32 v97, v103
	s_waitcnt lgkmcnt(1)
	s_delay_alu instid0(VALU_DEP_1)
	v_dual_fmac_f32 v77, v101, v70 :: v_dual_sub_f32 v96, v75, v76
	ds_load_2addr_b32 v[74:75], v98 offset0:238 offset1:255
	v_sub_f32_e32 v70, v95, v76
	s_waitcnt lgkmcnt(0)
	s_barrier
	v_mul_f32_e32 v96, 0x3fb8aa3b, v96
	buffer_gl0_inv
	v_exp_f32_e32 v95, v96
	v_mul_f32_e32 v100, 0x3fb8aa3b, v100
	s_delay_alu instid0(VALU_DEP_1) | instskip(SKIP_3) | instid1(VALU_DEP_2)
	v_exp_f32_e32 v100, v100
	s_waitcnt_depctr 0xfff
	v_dual_fmac_f32 v77, v100, v71 :: v_dual_mul_f32 v70, 0x3fb8aa3b, v70
	v_cndmask_b32_e32 v71, v99, v102, vcc_lo
	v_fmac_f32_e32 v77, v97, v72
	s_delay_alu instid0(VALU_DEP_3) | instskip(NEXT) | instid1(VALU_DEP_1)
	v_exp_f32_e32 v96, v70
	v_fmac_f32_e32 v77, v95, v73
	s_delay_alu instid0(VALU_DEP_1) | instskip(SKIP_2) | instid1(VALU_DEP_1)
	v_fmac_f32_e32 v77, v94, v74
	s_waitcnt_depctr 0xfff
	v_fmac_f32_e32 v77, v96, v75
	v_add_f32_e32 v74, 0x358637bd, v77
	s_delay_alu instid0(VALU_DEP_1) | instskip(SKIP_1) | instid1(VALU_DEP_2)
	v_div_scale_f32 v98, null, v74, v74, 1.0
	v_div_scale_f32 v99, vcc_lo, 1.0, v74, 1.0
	v_rcp_f32_e32 v103, v98
	s_waitcnt_depctr 0xfff
	v_fma_f32 v70, -v98, v103, 1.0
	s_delay_alu instid0(VALU_DEP_1) | instskip(SKIP_2) | instid1(VALU_DEP_2)
	v_fmac_f32_e32 v103, v70, v103
	v_cndmask_b32_e64 v70, v71, v101, s4
	v_cmp_eq_u32_e64 s4, 6, v69
	v_cndmask_b32_e64 v71, v70, v100, s5
	s_delay_alu instid0(VALU_DEP_4) | instskip(NEXT) | instid1(VALU_DEP_2)
	v_dual_mul_f32 v101, v99, v103 :: v_dual_lshlrev_b32 v70, 2, v66
	v_cndmask_b32_e64 v71, v71, v97, s6
	s_delay_alu instid0(VALU_DEP_2) | instskip(NEXT) | instid1(VALU_DEP_3)
	v_or_b32_e32 v72, 1, v70
	v_fma_f32 v100, -v98, v101, v99
	v_cmp_eq_u32_e64 s5, 1, v70
	v_cmp_eq_u32_e64 s6, 2, v70
	v_cndmask_b32_e64 v95, v71, v95, s7
	v_or_b32_e32 v71, 3, v70
	v_fmac_f32_e32 v101, v100, v103
	v_cmp_eq_u32_e64 s10, 1, v72
	v_cmp_eq_u32_e64 s13, 2, v72
	v_cndmask_b32_e64 v94, v95, v94, s4
	v_cmp_eq_u32_e64 s12, 1, v71
	v_fma_f32 v97, -v98, v101, v99
	v_cmp_eq_u32_e64 s17, 2, v71
	v_cmp_eq_u32_e64 s15, 3, v72
	v_cndmask_b32_e64 v94, v94, v96, s8
	v_cmp_eq_u32_e64 s19, 3, v71
	v_div_fmas_f32 v95, v97, v103, v101
	v_cmp_eq_u32_e32 vcc_lo, 3, v70
	v_cmp_eq_u32_e64 s4, 4, v70
	v_cmp_eq_u32_e64 s20, 4, v72
	;; [unrolled: 1-line block ×3, first 2 shown]
	v_div_fixup_f32 v95, v95, v74, 1.0
	v_lshlrev_b32_e32 v73, 6, v68
	v_cmp_eq_u32_e64 s7, 5, v70
	v_cmp_eq_u32_e64 s21, 5, v72
	;; [unrolled: 1-line block ×3, first 2 shown]
	v_mul_f32_e32 v102, v94, v95
	v_lshl_or_b32 v75, v69, 11, v73
	v_or_b32_e32 v69, 2, v70
	v_cmp_eq_u32_e64 s26, 6, v72
	v_cmp_eq_u32_e64 s28, 6, v71
	v_fma_mixlo_f16 v94, v102, v79, 0
	v_fma_mixlo_f16 v95, v102, v81, 0
	;; [unrolled: 1-line block ×8, first 2 shown]
	v_lshl_or_b32 v74, v66, 4, v75
	v_fma_mixhi_f16 v94, v102, v78, 0
	v_fma_mixhi_f16 v95, v102, v80, 0
	;; [unrolled: 1-line block ×8, first 2 shown]
	ds_store_b128 v74, v[94:97]
	ds_store_b128 v74, v[98:101] offset:1024
	s_waitcnt lgkmcnt(0)
	s_barrier
	buffer_gl0_inv
	ds_load_b128 v[78:81], v75
	ds_load_b128 v[82:85], v75 offset:16
	ds_load_b128 v[86:89], v75 offset:1024
	;; [unrolled: 1-line block ×3, first 2 shown]
	v_cmp_eq_u32_e64 s11, 1, v69
	v_cmp_eq_u32_e64 s16, 2, v69
	;; [unrolled: 1-line block ×11, first 2 shown]
	s_waitcnt lgkmcnt(3)
	v_lshrrev_b32_e32 v94, 16, v78
	s_waitcnt lgkmcnt(2)
	v_lshrrev_b32_e32 v98, 16, v82
	;; [unrolled: 2-line block ×4, first 2 shown]
	v_lshrrev_b32_e32 v95, 16, v79
	v_cndmask_b32_e64 v110, v78, v94, s5
	v_cndmask_b32_e64 v111, v82, v98, s5
	;; [unrolled: 1-line block ×8, first 2 shown]
	v_lshrrev_b32_e32 v99, 16, v83
	v_cndmask_b32_e64 v94, v86, v102, s5
	v_cndmask_b32_e64 v98, v90, v106, s5
	v_cndmask_b32_e64 v116, v86, v102, s10
	v_cndmask_b32_e64 v117, v90, v106, s10
	v_cndmask_b32_e64 v118, v86, v102, s11
	v_cndmask_b32_e64 v119, v90, v106, s11
	v_cndmask_b32_e64 v86, v86, v102, s12
	v_cndmask_b32_e64 v90, v90, v106, s12
	v_cndmask_b32_e64 v102, v110, v79, s6
	v_cndmask_b32_e64 v106, v111, v83, s6
	v_cndmask_b32_e64 v110, v112, v79, s13
	v_cndmask_b32_e64 v111, v113, v83, s13
	v_cndmask_b32_e64 v112, v114, v79, s16
	v_cndmask_b32_e64 v78, v78, v79, s17
	v_cndmask_b32_e64 v79, v82, v83, s17
	v_lshrrev_b32_e32 v103, 16, v87
	v_lshrrev_b32_e32 v107, 16, v91
	v_cndmask_b32_e64 v113, v115, v83, s16
	v_cndmask_b32_e64 v82, v94, v87, s6
	;; [unrolled: 1-line block ×7, first 2 shown]
	v_cndmask_b32_e32 v90, v102, v95, vcc_lo
	v_cndmask_b32_e32 v102, v106, v99, vcc_lo
	v_cndmask_b32_e64 v106, v110, v95, s15
	v_cndmask_b32_e64 v110, v111, v99, s15
	;; [unrolled: 1-line block ×4, first 2 shown]
	v_lshrrev_b32_e32 v96, 16, v80
	v_lshrrev_b32_e32 v100, 16, v84
	v_cndmask_b32_e64 v111, v112, v95, s18
	v_cndmask_b32_e64 v112, v113, v99, s18
	v_cndmask_b32_e32 v82, v82, v103, vcc_lo
	v_cndmask_b32_e32 v83, v83, v107, vcc_lo
	v_cndmask_b32_e64 v94, v94, v103, s15
	v_cndmask_b32_e64 v90, v90, v80, s4
	;; [unrolled: 1-line block ×7, first 2 shown]
	v_lshrrev_b32_e32 v104, 16, v88
	v_cndmask_b32_e64 v106, v111, v80, s22
	v_cndmask_b32_e64 v110, v112, v84, s22
	;; [unrolled: 1-line block ×11, first 2 shown]
	v_lshrrev_b32_e32 v97, 16, v81
	v_lshrrev_b32_e32 v101, 16, v85
	v_cndmask_b32_e64 v99, v106, v96, s24
	v_cndmask_b32_e64 v102, v110, v100, s24
	;; [unrolled: 1-line block ×7, first 2 shown]
	v_lshrrev_b32_e32 v105, 16, v89
	v_cndmask_b32_e64 v80, v80, v104, s7
	v_cndmask_b32_e64 v84, v84, v81, s8
	;; [unrolled: 1-line block ×16, first 2 shown]
	v_perm_b32 v81, v79, v78, 0x5040100
	v_perm_b32 v79, v95, v85, 0x5040100
	v_cndmask_b32_e64 v78, v119, v91, s16
	v_cndmask_b32_e64 v85, v117, v91, s13
	;; [unrolled: 1-line block ×3, first 2 shown]
	v_perm_b32 v80, v94, v90, 0x5040100
	v_cndmask_b32_e64 v90, v98, v103, s18
	v_cndmask_b32_e64 v86, v86, v103, s19
	;; [unrolled: 1-line block ×5, first 2 shown]
	v_lshrrev_b32_e32 v108, 16, v92
	v_cndmask_b32_e64 v90, v90, v88, s22
	v_cndmask_b32_e64 v86, v86, v88, s23
	;; [unrolled: 1-line block ×11, first 2 shown]
	v_lshrrev_b32_e32 v109, 16, v93
	v_cndmask_b32_e64 v82, v82, v93, s8
	v_cndmask_b32_e64 v88, v88, v89, s27
	;; [unrolled: 1-line block ×12, first 2 shown]
	v_perm_b32 v78, v84, v83, 0x5040100
	v_perm_b32 v85, v87, v86, 0x5040100
	;; [unrolled: 1-line block ×5, first 2 shown]
	s_mul_i32 s9, s35, 11
	s_mov_b32 s4, exec_lo
	ds_store_b128 v74, v[78:81]
	ds_store_b128 v74, v[82:85] offset:1024
	v_cmpx_gt_u32_e32 11, v0
	s_cbranch_execz .LBB1160_14
; %bb.13:
	s_mul_i32 s5, s9, s34
	s_load_b128 s[16:19], s[0:1], 0x58
	v_add3_u32 v68, s5, s33, v68
	s_delay_alu instid0(VALU_DEP_1) | instskip(NEXT) | instid1(VALU_DEP_1)
	v_mad_u64_u32 v[78:79], null, v68, s36, s[14:15]
	v_ashrrev_i32_e32 v79, 31, v78
	s_delay_alu instid0(VALU_DEP_1) | instskip(SKIP_1) | instid1(VALU_DEP_1)
	v_lshlrev_b64 v[78:79], 2, v[78:79]
	s_waitcnt lgkmcnt(0)
	v_add_co_u32 v80, vcc_lo, s18, v78
	s_delay_alu instid0(VALU_DEP_2)
	v_add_co_ci_u32_e32 v81, vcc_lo, s19, v79, vcc_lo
	v_add_co_u32 v78, vcc_lo, s16, v78
	v_add_co_ci_u32_e32 v79, vcc_lo, s17, v79, vcc_lo
	global_store_b32 v[80:81], v76, off
	global_store_b32 v[78:79], v77, off
.LBB1160_14:
	s_or_b32 exec_lo, exec_lo, s4
	s_waitcnt lgkmcnt(0)
	s_waitcnt_vscnt null, 0x0
	s_barrier
	buffer_gl0_inv
	ds_load_b128 v[84:87], v73
	ds_load_b128 v[88:91], v73 offset:16
	ds_load_b128 v[96:99], v73 offset:2064
	;; [unrolled: 1-line block ×5, first 2 shown]
	v_cmp_eq_u32_e32 vcc_lo, 1, v70
	v_mov_b32_e32 v76, 0
	ds_load_b128 v[112:115], v73 offset:6160
	ds_load_b128 v[108:111], v73 offset:6144
	ds_load_b128 v[120:123], v73 offset:8208
	ds_load_b128 v[116:119], v73 offset:8192
	v_cmp_eq_u32_e64 s5, 1, v69
	v_cmp_eq_u32_e64 s4, 1, v72
	;; [unrolled: 1-line block ×3, first 2 shown]
	v_mov_b32_e32 v77, v76
	v_mov_b32_e32 v78, v76
	;; [unrolled: 1-line block ×7, first 2 shown]
	v_cmp_eq_u32_e64 s7, 3, v72
	v_cmp_eq_u32_e64 s8, 7, v72
	s_waitcnt lgkmcnt(8)
	s_delay_alu instid0(VALU_DEP_3)
	v_wmma_f32_16x16x16_f16 v[76:83], v[49:56], v[84:91], v[76:83]
	ds_load_b128 v[53:56], v73 offset:10256
	ds_load_b128 v[49:52], v73 offset:10240
	s_waitcnt lgkmcnt(8)
	v_wmma_f32_16x16x16_f16 v[76:83], v[41:48], v[92:99], v[76:83]
	ds_load_b128 v[45:48], v73 offset:12304
	ds_load_b128 v[41:44], v73 offset:12288
	s_waitcnt lgkmcnt(8)
	;; [unrolled: 4-line block ×3, first 2 shown]
	s_barrier
	buffer_gl0_inv
	v_wmma_f32_16x16x16_f16 v[76:83], v[1:8], v[108:115], v[76:83]
	s_delay_alu instid0(VALU_DEP_1) | instskip(NEXT) | instid1(VALU_DEP_1)
	v_wmma_f32_16x16x16_f16 v[76:83], v[9:16], v[116:123], v[76:83]
	v_wmma_f32_16x16x16_f16 v[76:83], v[17:24], v[49:56], v[76:83]
	s_delay_alu instid0(VALU_DEP_1) | instskip(NEXT) | instid1(VALU_DEP_1)
	v_wmma_f32_16x16x16_f16 v[76:83], v[25:32], v[41:48], v[76:83]
	v_wmma_f32_16x16x16_f16 v[76:83], v[57:64], v[33:40], v[76:83]
	s_delay_alu instid0(VALU_DEP_1) | instskip(NEXT) | instid1(VALU_DEP_2)
	v_cvt_f16_f32_e32 v1, v76
	v_cvt_f16_f32_e32 v2, v77
	s_delay_alu instid0(VALU_DEP_3) | instskip(NEXT) | instid1(VALU_DEP_4)
	v_cvt_f16_f32_e32 v3, v78
	v_cvt_f16_f32_e32 v4, v79
	;; [unrolled: 1-line block ×6, first 2 shown]
	v_pack_b32_f16 v1, v1, v2
	v_pack_b32_f16 v2, v3, v4
	;; [unrolled: 1-line block ×3, first 2 shown]
	s_delay_alu instid0(VALU_DEP_4)
	v_pack_b32_f16 v4, v7, v8
	ds_store_b128 v74, v[1:4]
	s_waitcnt lgkmcnt(0)
	s_barrier
	buffer_gl0_inv
	ds_load_b128 v[1:4], v75
	ds_load_b128 v[5:8], v75 offset:16
	s_waitcnt lgkmcnt(1)
	v_lshrrev_b32_e32 v9, 16, v1
	s_waitcnt lgkmcnt(0)
	v_lshrrev_b32_e32 v13, 16, v5
	v_lshrrev_b32_e32 v10, 16, v2
	;; [unrolled: 1-line block ×4, first 2 shown]
	v_cndmask_b32_e32 v17, v1, v9, vcc_lo
	v_cndmask_b32_e32 v18, v5, v13, vcc_lo
	v_cndmask_b32_e64 v21, v1, v9, s5
	v_cmp_eq_u32_e32 vcc_lo, 1, v71
	v_cndmask_b32_e64 v22, v5, v13, s5
	v_cmp_eq_u32_e64 s5, 2, v70
	v_cndmask_b32_e64 v19, v1, v9, s4
	v_cndmask_b32_e64 v20, v5, v13, s4
	v_cndmask_b32_e32 v1, v1, v9, vcc_lo
	v_cmp_eq_u32_e64 s4, 2, v71
	v_cndmask_b32_e32 v5, v5, v13, vcc_lo
	v_cndmask_b32_e64 v9, v17, v2, s5
	v_cmp_eq_u32_e32 vcc_lo, 3, v70
	v_cndmask_b32_e64 v13, v18, v6, s5
	v_cmp_eq_u32_e64 s5, 2, v69
	v_cndmask_b32_e64 v17, v19, v2, s6
	v_cndmask_b32_e64 v18, v20, v6, s6
	v_cmp_eq_u32_e64 s6, 3, v69
	v_cndmask_b32_e64 v1, v1, v2, s4
	v_cndmask_b32_e64 v19, v21, v2, s5
	;; [unrolled: 1-line block ×4, first 2 shown]
	v_cndmask_b32_e32 v5, v9, v10, vcc_lo
	v_cndmask_b32_e32 v6, v13, v14, vcc_lo
	v_cmp_eq_u32_e32 vcc_lo, 3, v71
	v_cndmask_b32_e64 v9, v17, v10, s7
	v_cndmask_b32_e64 v13, v18, v14, s7
	;; [unrolled: 1-line block ×3, first 2 shown]
	v_cmp_eq_u32_e64 s5, 4, v70
	v_cndmask_b32_e32 v1, v1, v10, vcc_lo
	v_cndmask_b32_e32 v2, v2, v14, vcc_lo
	v_cmp_eq_u32_e32 vcc_lo, 4, v72
	v_lshrrev_b32_e32 v15, 16, v7
	v_lshrrev_b32_e32 v16, 16, v8
	v_cndmask_b32_e64 v17, v19, v10, s6
	v_cmp_eq_u32_e64 s4, 4, v71
	v_cndmask_b32_e64 v5, v5, v3, s5
	v_cndmask_b32_e64 v6, v6, v7, s5
	v_cndmask_b32_e32 v9, v9, v3, vcc_lo
	v_cmp_eq_u32_e64 s5, 5, v72
	v_cndmask_b32_e32 v10, v13, v7, vcc_lo
	v_cmp_eq_u32_e32 vcc_lo, 4, v69
	v_cmp_eq_u32_e64 s6, 5, v70
	v_cndmask_b32_e64 v2, v2, v7, s4
	v_cndmask_b32_e64 v9, v9, v11, s5
	;; [unrolled: 1-line block ×3, first 2 shown]
	v_cndmask_b32_e32 v13, v17, v3, vcc_lo
	v_cmp_eq_u32_e64 s5, 5, v69
	v_cndmask_b32_e32 v14, v18, v7, vcc_lo
	v_cndmask_b32_e64 v1, v1, v3, s4
	v_cmp_eq_u32_e32 vcc_lo, 5, v71
	v_lshrrev_b32_e32 v12, 16, v4
	v_cndmask_b32_e64 v13, v13, v11, s5
	v_cndmask_b32_e64 v3, v14, v15, s5
	v_cmp_eq_u32_e64 s5, 6, v71
	v_cndmask_b32_e32 v1, v1, v11, vcc_lo
	v_cndmask_b32_e64 v5, v5, v11, s6
	v_cmp_eq_u32_e64 s7, 6, v70
	v_cndmask_b32_e64 v6, v6, v15, s6
	v_cmp_eq_u32_e64 s6, 6, v72
	v_cmp_eq_u32_e64 s4, 6, v69
	v_cndmask_b32_e64 v1, v1, v4, s5
	v_cndmask_b32_e32 v2, v2, v15, vcc_lo
	v_cmp_eq_u32_e32 vcc_lo, 7, v71
	v_cndmask_b32_e64 v5, v5, v4, s7
	v_cndmask_b32_e64 v9, v9, v4, s6
	;; [unrolled: 1-line block ×3, first 2 shown]
	v_cmp_eq_u32_e64 s7, 7, v70
	v_cndmask_b32_e32 v1, v1, v12, vcc_lo
	v_cndmask_b32_e64 v7, v13, v4, s4
	v_cndmask_b32_e64 v3, v3, v8, s4
	;; [unrolled: 1-line block ×3, first 2 shown]
	v_cmp_eq_u32_e64 s4, 7, v69
	v_cndmask_b32_e64 v4, v10, v8, s6
	v_cndmask_b32_e64 v5, v5, v12, s7
	;; [unrolled: 1-line block ×3, first 2 shown]
	v_cndmask_b32_e32 v2, v2, v16, vcc_lo
	v_cndmask_b32_e64 v7, v7, v12, s4
	v_cndmask_b32_e64 v3, v3, v16, s4
	;; [unrolled: 1-line block ×4, first 2 shown]
	v_cmp_gt_u32_e32 vcc_lo, 32, v0
	v_perm_b32 v4, v2, v1, 0x5040100
	v_perm_b32 v3, v3, v7, 0x5040100
	;; [unrolled: 1-line block ×4, first 2 shown]
	s_and_b32 s2, vcc_lo, s2
	ds_store_b128 v74, v[1:4]
	s_waitcnt lgkmcnt(0)
	s_barrier
	buffer_gl0_inv
	s_and_saveexec_b32 s4, s2
	s_cbranch_execz .LBB1160_2
; %bb.15:
	s_load_b64 s[4:5], s[0:1], 0x68
	v_lshlrev_b32_e32 v0, 10, v0
	v_lshlrev_b32_e32 v1, 4, v67
	s_lshl_b32 s0, s36, 6
	v_add_nc_u32_e32 v7, s33, v66
	s_mul_i32 s1, s0, s34
	s_delay_alu instid0(SALU_CYCLE_1) | instskip(SKIP_1) | instid1(VALU_DEP_2)
	s_mul_i32 s6, s1, s9
	v_and_or_b32 v0, 0x3800, v0, v1
	v_mul_lo_u32 v1, v7, s0
	v_add_nc_u32_e32 v2, 2, v7
	s_ashr_i32 s7, s6, 31
	v_add_nc_u32_e32 v4, 4, v7
	s_lshl_b64 s[6:7], s[6:7], 1
	v_add_nc_u32_e32 v8, 6, v7
	v_mul_lo_u32 v3, v2, s0
	v_lshl_or_b32 v19, v66, 6, v0
	v_ashrrev_i32_e32 v2, 31, v1
	v_mul_lo_u32 v11, v4, s0
	v_mul_lo_u32 v25, v8, s0
	s_waitcnt lgkmcnt(0)
	s_add_u32 s1, s4, s6
	s_addc_u32 s2, s5, s7
	s_lshl_b32 s4, s14, 6
	v_lshlrev_b64 v[5:6], 1, v[1:2]
	s_ashr_i32 s5, s4, 31
	v_ashrrev_i32_e32 v4, 31, v3
	s_lshl_b64 s[4:5], s[4:5], 1
	v_ashrrev_i32_e32 v12, 31, v11
	s_add_u32 s1, s1, s4
	s_addc_u32 s2, s2, s5
	v_add_co_u32 v1, s1, s1, v65
	s_delay_alu instid0(VALU_DEP_1) | instskip(SKIP_1) | instid1(VALU_DEP_3)
	v_add_co_ci_u32_e64 v2, null, s2, 0, s1
	v_lshlrev_b64 v[3:4], 1, v[3:4]
	v_add_co_u32 v23, vcc_lo, v1, v5
	v_add_nc_u32_e32 v5, 8, v7
	s_delay_alu instid0(VALU_DEP_4) | instskip(NEXT) | instid1(VALU_DEP_4)
	v_add_co_ci_u32_e32 v24, vcc_lo, v2, v6, vcc_lo
	v_add_co_u32 v27, vcc_lo, v1, v3
	s_delay_alu instid0(VALU_DEP_3)
	v_mul_lo_u32 v29, v5, s0
	v_add_co_ci_u32_e32 v28, vcc_lo, v2, v4, vcc_lo
	ds_load_b128 v[3:6], v19
	ds_load_b128 v[7:10], v19 offset:128
	v_lshlrev_b64 v[31:32], 1, v[11:12]
	ds_load_b128 v[11:14], v19 offset:256
	ds_load_b128 v[15:18], v19 offset:384
	;; [unrolled: 1-line block ×3, first 2 shown]
	v_ashrrev_i32_e32 v26, 31, v25
	v_ashrrev_i32_e32 v30, 31, v29
	v_add_co_u32 v31, vcc_lo, v1, v31
	s_delay_alu instid0(VALU_DEP_3) | instskip(NEXT) | instid1(VALU_DEP_3)
	v_lshlrev_b64 v[25:26], 1, v[25:26]
	v_lshlrev_b64 v[29:30], 1, v[29:30]
	v_add_co_ci_u32_e32 v32, vcc_lo, v2, v32, vcc_lo
	s_delay_alu instid0(VALU_DEP_3) | instskip(NEXT) | instid1(VALU_DEP_4)
	v_add_co_u32 v25, vcc_lo, v1, v25
	v_add_co_ci_u32_e32 v26, vcc_lo, v2, v26, vcc_lo
	s_delay_alu instid0(VALU_DEP_4)
	v_add_co_u32 v29, vcc_lo, v1, v29
	v_add_co_ci_u32_e32 v30, vcc_lo, v2, v30, vcc_lo
	s_waitcnt lgkmcnt(4)
	global_store_b128 v[23:24], v[3:6], off
	s_waitcnt lgkmcnt(3)
	global_store_b128 v[27:28], v[7:10], off
	;; [unrolled: 2-line block ×5, first 2 shown]
	s_and_b32 exec_lo, exec_lo, s3
	s_cbranch_execz .LBB1160_2
; %bb.16:
	ds_load_b128 v[3:6], v0 offset:640
	s_add_i32 s1, s33, 10
	s_delay_alu instid0(SALU_CYCLE_1) | instskip(NEXT) | instid1(SALU_CYCLE_1)
	s_mul_i32 s0, s1, s0
	s_ashr_i32 s1, s0, 31
	s_delay_alu instid0(SALU_CYCLE_1) | instskip(NEXT) | instid1(SALU_CYCLE_1)
	s_lshl_b64 s[0:1], s[0:1], 1
	v_add_co_u32 v0, vcc_lo, v1, s0
	v_add_co_ci_u32_e32 v1, vcc_lo, s1, v2, vcc_lo
	s_waitcnt lgkmcnt(0)
	global_store_b128 v[0:1], v[3:6], off
	s_nop 0
	s_sendmsg sendmsg(MSG_DEALLOC_VGPRS)
	s_endpgm
	.section	.rodata,"a",@progbits
	.p2align	6, 0x0
	.amdhsa_kernel _Z39paged_attention_ll4mi_QKV_mfma16_kernelIDF16_hLN4vllm18Fp8KVCacheDataTypeE1EhLi32ELi64ELi256ELb1ELi11EL8MFMAType0EEvPKT_PKT0_S8_ifPKiSA_SA_iPKfiiiPfSD_PS3_PT2_iSC_SC_
		.amdhsa_group_segment_fixed_size 17472
		.amdhsa_private_segment_fixed_size 0
		.amdhsa_kernarg_size 400
		.amdhsa_user_sgpr_count 13
		.amdhsa_user_sgpr_dispatch_ptr 0
		.amdhsa_user_sgpr_queue_ptr 0
		.amdhsa_user_sgpr_kernarg_segment_ptr 1
		.amdhsa_user_sgpr_dispatch_id 0
		.amdhsa_user_sgpr_private_segment_size 0
		.amdhsa_wavefront_size32 1
		.amdhsa_uses_dynamic_stack 0
		.amdhsa_enable_private_segment 0
		.amdhsa_system_sgpr_workgroup_id_x 1
		.amdhsa_system_sgpr_workgroup_id_y 1
		.amdhsa_system_sgpr_workgroup_id_z 1
		.amdhsa_system_sgpr_workgroup_info 0
		.amdhsa_system_vgpr_workitem_id 0
		.amdhsa_next_free_vgpr 146
		.amdhsa_next_free_sgpr 37
		.amdhsa_reserve_vcc 1
		.amdhsa_float_round_mode_32 0
		.amdhsa_float_round_mode_16_64 0
		.amdhsa_float_denorm_mode_32 3
		.amdhsa_float_denorm_mode_16_64 3
		.amdhsa_dx10_clamp 1
		.amdhsa_ieee_mode 1
		.amdhsa_fp16_overflow 0
		.amdhsa_workgroup_processor_mode 1
		.amdhsa_memory_ordered 1
		.amdhsa_forward_progress 0
		.amdhsa_shared_vgpr_count 0
		.amdhsa_exception_fp_ieee_invalid_op 0
		.amdhsa_exception_fp_denorm_src 0
		.amdhsa_exception_fp_ieee_div_zero 0
		.amdhsa_exception_fp_ieee_overflow 0
		.amdhsa_exception_fp_ieee_underflow 0
		.amdhsa_exception_fp_ieee_inexact 0
		.amdhsa_exception_int_div_zero 0
	.end_amdhsa_kernel
	.section	.text._Z39paged_attention_ll4mi_QKV_mfma16_kernelIDF16_hLN4vllm18Fp8KVCacheDataTypeE1EhLi32ELi64ELi256ELb1ELi11EL8MFMAType0EEvPKT_PKT0_S8_ifPKiSA_SA_iPKfiiiPfSD_PS3_PT2_iSC_SC_,"axG",@progbits,_Z39paged_attention_ll4mi_QKV_mfma16_kernelIDF16_hLN4vllm18Fp8KVCacheDataTypeE1EhLi32ELi64ELi256ELb1ELi11EL8MFMAType0EEvPKT_PKT0_S8_ifPKiSA_SA_iPKfiiiPfSD_PS3_PT2_iSC_SC_,comdat
.Lfunc_end1160:
	.size	_Z39paged_attention_ll4mi_QKV_mfma16_kernelIDF16_hLN4vllm18Fp8KVCacheDataTypeE1EhLi32ELi64ELi256ELb1ELi11EL8MFMAType0EEvPKT_PKT0_S8_ifPKiSA_SA_iPKfiiiPfSD_PS3_PT2_iSC_SC_, .Lfunc_end1160-_Z39paged_attention_ll4mi_QKV_mfma16_kernelIDF16_hLN4vllm18Fp8KVCacheDataTypeE1EhLi32ELi64ELi256ELb1ELi11EL8MFMAType0EEvPKT_PKT0_S8_ifPKiSA_SA_iPKfiiiPfSD_PS3_PT2_iSC_SC_
                                        ; -- End function
	.section	.AMDGPU.csdata,"",@progbits
; Kernel info:
; codeLenInByte = 6648
; NumSgprs: 39
; NumVgprs: 146
; ScratchSize: 0
; MemoryBound: 0
; FloatMode: 240
; IeeeMode: 1
; LDSByteSize: 17472 bytes/workgroup (compile time only)
; SGPRBlocks: 4
; VGPRBlocks: 18
; NumSGPRsForWavesPerEU: 39
; NumVGPRsForWavesPerEU: 146
; Occupancy: 9
; WaveLimiterHint : 1
; COMPUTE_PGM_RSRC2:SCRATCH_EN: 0
; COMPUTE_PGM_RSRC2:USER_SGPR: 13
; COMPUTE_PGM_RSRC2:TRAP_HANDLER: 0
; COMPUTE_PGM_RSRC2:TGID_X_EN: 1
; COMPUTE_PGM_RSRC2:TGID_Y_EN: 1
; COMPUTE_PGM_RSRC2:TGID_Z_EN: 1
; COMPUTE_PGM_RSRC2:TIDIG_COMP_CNT: 0
	.section	.text._Z39paged_attention_ll4mi_QKV_mfma16_kernelIDF16_hLN4vllm18Fp8KVCacheDataTypeE1EhLi32ELi64ELi256ELb1ELi12EL8MFMAType0EEvPKT_PKT0_S8_ifPKiSA_SA_iPKfiiiPfSD_PS3_PT2_iSC_SC_,"axG",@progbits,_Z39paged_attention_ll4mi_QKV_mfma16_kernelIDF16_hLN4vllm18Fp8KVCacheDataTypeE1EhLi32ELi64ELi256ELb1ELi12EL8MFMAType0EEvPKT_PKT0_S8_ifPKiSA_SA_iPKfiiiPfSD_PS3_PT2_iSC_SC_,comdat
	.protected	_Z39paged_attention_ll4mi_QKV_mfma16_kernelIDF16_hLN4vllm18Fp8KVCacheDataTypeE1EhLi32ELi64ELi256ELb1ELi12EL8MFMAType0EEvPKT_PKT0_S8_ifPKiSA_SA_iPKfiiiPfSD_PS3_PT2_iSC_SC_ ; -- Begin function _Z39paged_attention_ll4mi_QKV_mfma16_kernelIDF16_hLN4vllm18Fp8KVCacheDataTypeE1EhLi32ELi64ELi256ELb1ELi12EL8MFMAType0EEvPKT_PKT0_S8_ifPKiSA_SA_iPKfiiiPfSD_PS3_PT2_iSC_SC_
	.globl	_Z39paged_attention_ll4mi_QKV_mfma16_kernelIDF16_hLN4vllm18Fp8KVCacheDataTypeE1EhLi32ELi64ELi256ELb1ELi12EL8MFMAType0EEvPKT_PKT0_S8_ifPKiSA_SA_iPKfiiiPfSD_PS3_PT2_iSC_SC_
	.p2align	8
	.type	_Z39paged_attention_ll4mi_QKV_mfma16_kernelIDF16_hLN4vllm18Fp8KVCacheDataTypeE1EhLi32ELi64ELi256ELb1ELi12EL8MFMAType0EEvPKT_PKT0_S8_ifPKiSA_SA_iPKfiiiPfSD_PS3_PT2_iSC_SC_,@function
_Z39paged_attention_ll4mi_QKV_mfma16_kernelIDF16_hLN4vllm18Fp8KVCacheDataTypeE1EhLi32ELi64ELi256ELb1ELi12EL8MFMAType0EEvPKT_PKT0_S8_ifPKiSA_SA_iPKfiiiPfSD_PS3_PT2_iSC_SC_: ; @_Z39paged_attention_ll4mi_QKV_mfma16_kernelIDF16_hLN4vllm18Fp8KVCacheDataTypeE1EhLi32ELi64ELi256ELb1ELi12EL8MFMAType0EEvPKT_PKT0_S8_ifPKiSA_SA_iPKfiiiPfSD_PS3_PT2_iSC_SC_
; %bb.0:
	s_load_b64 s[2:3], s[0:1], 0x30
	s_mov_b32 s34, s13
	s_waitcnt lgkmcnt(0)
	s_cmp_lg_u64 s[2:3], 0
	s_cselect_b32 s6, -1, 0
	s_ashr_i32 s35, s13, 31
	s_cmp_eq_u64 s[2:3], 0
	s_cbranch_scc1 .LBB1161_3
; %bb.1:
	s_lshl_b64 s[4:5], s[34:35], 2
	s_delay_alu instid0(SALU_CYCLE_1) | instskip(SKIP_4) | instid1(SALU_CYCLE_1)
	s_add_u32 s4, s2, s4
	s_addc_u32 s5, s3, s5
	s_load_b64 s[4:5], s[4:5], 0x0
	s_waitcnt lgkmcnt(0)
	s_sub_i32 s4, s5, s4
	s_cmp_eq_u32 s4, 1
	s_cselect_b32 s4, -1, 0
	s_delay_alu instid0(SALU_CYCLE_1)
	s_and_not1_b32 vcc_lo, exec_lo, s4
	s_cbranch_vccz .LBB1161_4
.LBB1161_2:
	s_endpgm
.LBB1161_3:
.LBB1161_4:
	s_load_b64 s[8:9], s[0:1], 0x28
	s_lshl_b64 s[4:5], s[34:35], 2
	s_waitcnt lgkmcnt(0)
	s_add_u32 s8, s8, s4
	s_addc_u32 s9, s9, s5
	s_lshl_b32 s16, s14, 8
	s_load_b32 s18, s[8:9], 0x0
	s_waitcnt lgkmcnt(0)
	s_cmp_ge_i32 s16, s18
	s_cbranch_scc1 .LBB1161_2
; %bb.5:
	s_clause 0x1
	s_load_b128 s[8:11], s[0:1], 0x8
	s_load_b64 s[12:13], s[0:1], 0x20
	s_and_not1_b32 vcc_lo, exec_lo, s6
	s_cbranch_vccnz .LBB1161_7
; %bb.6:
	s_add_u32 s2, s2, s4
	s_addc_u32 s3, s3, s5
	s_load_b32 s3, s[2:3], 0x0
	s_branch .LBB1161_8
.LBB1161_7:
	s_mov_b32 s3, s34
.LBB1161_8:
	s_load_b128 s[4:7], s[0:1], 0x48
	v_and_b32_e32 v68, 15, v0
	v_cmp_gt_u32_e32 vcc_lo, 0xc0, v0
	v_lshrrev_b32_e32 v69, 5, v0
	v_and_b32_e32 v70, 31, v0
	v_and_b32_e32 v67, 1, v0
	v_lshlrev_b32_e32 v1, 3, v68
	v_cmp_gt_u32_e64 s2, 8, v68
	v_bfe_u32 v66, v0, 4, 1
	s_mul_i32 s31, s15, 12
	s_delay_alu instid0(VALU_DEP_3) | instskip(NEXT) | instid1(VALU_DEP_3)
	v_lshlrev_b32_e32 v65, 1, v1
	s_and_b32 s17, vcc_lo, s2
	s_waitcnt lgkmcnt(0)
	s_and_saveexec_b32 s7, s17
	s_cbranch_execz .LBB1161_10
; %bb.9:
	s_load_b64 s[20:21], s[0:1], 0x0
	v_lshl_or_b32 v5, v69, 1, v66
	s_mul_hi_i32 s23, s3, s4
	s_mul_i32 s22, s3, s4
	v_lshlrev_b32_e32 v6, 10, v68
	s_lshl_b64 s[22:23], s[22:23], 1
	v_add_lshl_u32 v1, v5, s31, 6
	v_lshlrev_b32_e32 v5, 6, v5
	v_lshlrev_b32_e32 v7, 10, v67
	v_and_b32_e32 v6, 0x3800, v6
	s_delay_alu instid0(VALU_DEP_4) | instskip(NEXT) | instid1(VALU_DEP_2)
	v_ashrrev_i32_e32 v2, 31, v1
	v_or3_b32 v5, v6, v7, v5
	s_delay_alu instid0(VALU_DEP_2) | instskip(SKIP_3) | instid1(VALU_DEP_1)
	v_lshlrev_b64 v[1:2], 1, v[1:2]
	s_waitcnt lgkmcnt(0)
	s_add_u32 s3, s20, s22
	s_addc_u32 s4, s21, s23
	v_add_co_u32 v1, vcc_lo, s3, v1
	s_delay_alu instid0(VALU_DEP_2) | instskip(NEXT) | instid1(VALU_DEP_2)
	v_add_co_ci_u32_e32 v2, vcc_lo, s4, v2, vcc_lo
	v_add_co_u32 v1, vcc_lo, v1, v65
	s_delay_alu instid0(VALU_DEP_2)
	v_add_co_ci_u32_e32 v2, vcc_lo, 0, v2, vcc_lo
	global_load_b128 v[1:4], v[1:2], off
	s_waitcnt vmcnt(0)
	ds_store_b128 v5, v[1:4]
.LBB1161_10:
	s_or_b32 exec_lo, exec_lo, s7
	v_and_b32_e32 v1, 0xef, v0
	s_add_i32 s3, s18, 31
	s_clause 0x1
	s_load_b32 s4, s[0:1], 0x38
	s_load_b32 s33, s[0:1], 0x98
	s_ashr_i32 s7, s3, 31
	v_add_nc_u32_e32 v1, s16, v1
	s_lshr_b32 s7, s7, 27
	s_load_b32 s19, s[0:1], 0x1c
	v_add_nc_u32_e32 v103, -12, v68
	s_add_i32 s3, s3, s7
	v_ashrrev_i32_e32 v2, 31, v1
	v_or_b32_e32 v3, 16, v1
	s_ashr_i32 s3, s3, 5
	v_cmp_gt_i32_e32 vcc_lo, s18, v1
	s_add_i32 s3, s3, -1
	v_lshrrev_b32_e32 v2, 27, v2
	s_waitcnt lgkmcnt(0)
	s_barrier
	buffer_gl0_inv
	s_mul_i32 s15, s15, s6
	v_add_nc_u32_e32 v4, v1, v2
	v_mbcnt_lo_u32_b32 v127, -1, 0
	s_mul_i32 s20, s34, s4
	s_delay_alu instid0(SALU_CYCLE_1) | instskip(NEXT) | instid1(VALU_DEP_2)
	s_ashr_i32 s21, s20, 31
	v_ashrrev_i32_e32 v4, 5, v4
	v_add_nc_u32_e32 v2, v3, v2
	s_lshl_b64 s[20:21], s[20:21], 2
	v_xor_b32_e32 v128, 16, v127
	s_add_u32 s17, s12, s20
	v_cndmask_b32_e32 v1, s3, v4, vcc_lo
	v_ashrrev_i32_e32 v2, 5, v2
	v_cmp_gt_i32_e32 vcc_lo, s18, v3
	s_addc_u32 s13, s13, s21
	s_ashr_i32 s20, s15, 31
	s_add_u32 s22, s8, s15
	s_addc_u32 s23, s9, s20
	v_cndmask_b32_e32 v3, s3, v2, vcc_lo
	v_ashrrev_i32_e32 v2, 31, v1
	s_lshl_b32 s6, s14, 3
	s_delay_alu instid0(SALU_CYCLE_1) | instskip(NEXT) | instid1(VALU_DEP_2)
	s_ashr_i32 s7, s6, 31
	v_ashrrev_i32_e32 v4, 31, v3
	s_delay_alu instid0(VALU_DEP_2) | instskip(SKIP_1) | instid1(SALU_CYCLE_1)
	v_lshlrev_b64 v[1:2], 2, v[1:2]
	s_lshl_b64 s[6:7], s[6:7], 2
	s_add_u32 s6, s17, s6
	s_delay_alu instid0(VALU_DEP_2) | instskip(SKIP_1) | instid1(VALU_DEP_2)
	v_lshlrev_b64 v[3:4], 2, v[3:4]
	s_addc_u32 s7, s13, s7
	v_add_co_u32 v1, vcc_lo, s17, v1
	v_add_co_ci_u32_e32 v2, vcc_lo, s13, v2, vcc_lo
	s_delay_alu instid0(VALU_DEP_3) | instskip(NEXT) | instid1(VALU_DEP_4)
	v_add_co_u32 v3, vcc_lo, s17, v3
	v_add_co_ci_u32_e32 v4, vcc_lo, s13, v4, vcc_lo
	s_clause 0x1
	global_load_b32 v5, v[1:2], off
	global_load_b32 v6, v[3:4], off
	s_or_b32 s4, s16, 32
	s_delay_alu instid0(SALU_CYCLE_1) | instskip(SKIP_2) | instid1(SALU_CYCLE_1)
	s_ashr_i32 s8, s4, 5
	s_cmp_lt_i32 s4, s18
	s_cselect_b32 s8, s8, s3
	s_ashr_i32 s9, s8, 31
	s_delay_alu instid0(SALU_CYCLE_1) | instskip(NEXT) | instid1(SALU_CYCLE_1)
	s_lshl_b64 s[8:9], s[8:9], 2
	s_add_u32 s8, s17, s8
	s_addc_u32 s9, s13, s9
	s_or_b32 s4, s16, 64
	s_delay_alu instid0(SALU_CYCLE_1) | instskip(SKIP_2) | instid1(SALU_CYCLE_1)
	s_ashr_i32 s12, s4, 5
	s_cmp_lt_i32 s4, s18
	s_cselect_b32 s24, s12, s3
	s_ashr_i32 s25, s24, 31
	s_delay_alu instid0(SALU_CYCLE_1) | instskip(NEXT) | instid1(SALU_CYCLE_1)
	s_lshl_b64 s[24:25], s[24:25], 2
	s_add_u32 s24, s17, s24
	s_addc_u32 s25, s13, s25
	;; [unrolled: 10-line block ×5, first 2 shown]
	s_clause 0x5
	s_load_b32 s12, s[6:7], 0x0
	s_load_b32 s4, s[8:9], 0x0
	;; [unrolled: 1-line block ×6, first 2 shown]
	s_or_b32 s21, s16, 0xc0
	s_waitcnt vmcnt(1)
	v_mad_i64_i32 v[1:2], null, v5, s5, s[22:23]
	v_lshlrev_b32_e32 v5, 4, v68
	s_waitcnt vmcnt(0)
	v_mad_i64_i32 v[3:4], null, v6, s5, s[22:23]
	s_ashr_i32 s22, s21, 5
	s_cmp_lt_i32 s21, s18
	s_delay_alu instid0(VALU_DEP_3) | instskip(NEXT) | instid1(VALU_DEP_4)
	v_add_co_u32 v1, vcc_lo, v1, v5
	v_add_co_ci_u32_e32 v2, vcc_lo, 0, v2, vcc_lo
	s_delay_alu instid0(VALU_DEP_3) | instskip(NEXT) | instid1(VALU_DEP_4)
	v_add_co_u32 v3, vcc_lo, v3, v5
	v_add_co_ci_u32_e32 v4, vcc_lo, 0, v4, vcc_lo
	s_clause 0x7
	global_load_b128 v[71:74], v[1:2], off
	global_load_b128 v[75:78], v[1:2], off offset:512
	global_load_b128 v[79:82], v[3:4], off offset:256
	global_load_b128 v[83:86], v[3:4], off offset:768
	global_load_b128 v[87:90], v[1:2], off offset:1024
	global_load_b128 v[91:94], v[1:2], off offset:1536
	global_load_b128 v[95:98], v[3:4], off offset:1280
	global_load_b128 v[99:102], v[3:4], off offset:1792
	s_cselect_b32 s22, s22, s3
	v_lshlrev_b32_e32 v1, 5, v68
	s_ashr_i32 s23, s22, 31
	v_cmp_gt_u32_e32 vcc_lo, 12, v68
	s_lshl_b64 s[22:23], s[22:23], 2
	s_delay_alu instid0(SALU_CYCLE_1)
	s_add_u32 s22, s17, s22
	s_addc_u32 s23, s13, s23
	s_or_b32 s21, s16, 0xe0
	v_lshl_or_b32 v1, v69, 9, v1
	s_ashr_i32 s24, s21, 5
	s_cmp_lt_i32 s21, s18
	v_cndmask_b32_e32 v103, v103, v68, vcc_lo
	s_cselect_b32 s24, s24, s3
	s_load_b32 s3, s[22:23], 0x0
	s_ashr_i32 s25, s24, 31
	v_cmp_gt_i32_e32 vcc_lo, 32, v128
	s_lshl_b64 s[24:25], s[24:25], 2
	v_lshlrev_b32_e32 v115, 6, v103
	s_add_u32 s22, s17, s24
	s_addc_u32 s23, s13, s25
	v_cndmask_b32_e32 v136, v127, v128, vcc_lo
	s_add_u32 s10, s10, s15
	s_addc_u32 s11, s11, s20
	v_add_co_u32 v1, s10, s10, v1
	s_delay_alu instid0(VALU_DEP_1) | instskip(SKIP_2) | instid1(VALU_DEP_1)
	v_add_co_ci_u32_e64 v2, null, s11, 0, s10
	s_load_b32 s10, s[22:23], 0x0
	s_waitcnt lgkmcnt(0)
	v_mad_i64_i32 v[3:4], null, s12, s5, v[1:2]
	v_mad_i64_i32 v[9:10], null, s7, s5, v[1:2]
	;; [unrolled: 1-line block ×7, first 2 shown]
	s_clause 0x5
	global_load_b128 v[49:52], v[3:4], off
	global_load_b128 v[53:56], v[3:4], off offset:16
	global_load_b128 v[41:44], v[5:6], off
	global_load_b128 v[45:48], v[5:6], off offset:16
	global_load_b128 v[33:36], v[7:8], off
	global_load_b128 v[37:40], v[7:8], off offset:16
	s_mov_b32 s4, 0
	v_mad_i64_i32 v[61:62], null, s10, s5, v[1:2]
	s_clause 0x9
	global_load_b128 v[1:4], v[9:10], off
	global_load_b128 v[5:8], v[9:10], off offset:16
	global_load_b128 v[9:12], v[13:14], off
	global_load_b128 v[13:16], v[13:14], off offset:16
	;; [unrolled: 2-line block ×5, first 2 shown]
	s_mov_b32 s5, s4
	s_mov_b32 s6, s4
	;; [unrolled: 1-line block ×7, first 2 shown]
	v_and_b32_e32 v104, 0xe0, v0
	v_dual_mov_b32 v126, s11 :: v_dual_mov_b32 v125, s10
	v_dual_mov_b32 v124, s9 :: v_dual_mov_b32 v123, s8
	s_delay_alu instid0(VALU_DEP_3)
	v_add_nc_u32_e32 v111, s16, v104
	ds_load_b128 v[103:106], v115
	ds_load_b128 v[107:110], v115 offset:1024
	v_dual_mov_b32 v122, s7 :: v_dual_mov_b32 v121, s6
	v_mov_b32_e32 v120, s5
	v_or_b32_e32 v135, v111, v66
	ds_load_b128 v[111:114], v115 offset:2048
	ds_load_b128 v[115:118], v115 offset:3072
	v_mov_b32_e32 v119, s4
	s_waitcnt vmcnt(0) lgkmcnt(0)
	s_barrier
	v_or_b32_e32 v137, 2, v135
	v_or_b32_e32 v138, 4, v135
	;; [unrolled: 1-line block ×3, first 2 shown]
	v_cmp_gt_i32_e32 vcc_lo, s18, v135
	v_or_b32_e32 v140, 8, v135
	v_cmp_gt_i32_e64 s3, s18, v137
	v_or_b32_e32 v141, 10, v135
	v_cmp_gt_i32_e64 s4, s18, v138
	v_cmp_gt_i32_e64 s5, s18, v139
	v_or_b32_e32 v142, 12, v135
	v_or_b32_e32 v143, 14, v135
	v_cmp_gt_i32_e64 s6, s18, v140
	v_cmp_gt_i32_e64 s7, s18, v141
	v_or_b32_e32 v144, 16, v135
	v_or_b32_e32 v145, 18, v135
	v_cmp_gt_i32_e64 s8, s18, v142
	v_cmp_gt_i32_e64 s9, s18, v143
	buffer_gl0_inv
	v_cmp_gt_i32_e64 s10, s18, v144
	v_cmp_gt_i32_e64 s11, s18, v145
	v_wmma_f32_16x16x16_f16 v[127:134], v[71:78], v[103:110], v[119:126]
	v_wmma_f32_16x16x16_f16 v[119:126], v[79:86], v[103:110], v[119:126]
	v_or_b32_e32 v71, 20, v135
	v_or_b32_e32 v72, 22, v135
	s_delay_alu instid0(VALU_DEP_4)
	v_wmma_f32_16x16x16_f16 v[127:134], v[87:94], v[111:118], v[127:134]
	v_or_b32_e32 v73, 24, v135
	v_wmma_f32_16x16x16_f16 v[119:126], v[95:102], v[111:118], v[119:126]
	v_or_b32_e32 v74, 26, v135
	v_cmp_gt_i32_e64 s12, s18, v71
	v_dual_mul_f32 v83, s19, v128 :: v_dual_mul_f32 v84, s19, v127
	s_delay_alu instid0(VALU_DEP_4) | instskip(SKIP_1) | instid1(VALU_DEP_3)
	v_dual_mul_f32 v81, s19, v130 :: v_dual_mul_f32 v92, s19, v119
	v_mul_f32_e32 v82, s19, v129
	v_cndmask_b32_e64 v83, 0xff7fffff, v83, s3
	s_delay_alu instid0(VALU_DEP_4)
	v_cndmask_b32_e32 v84, 0xff7fffff, v84, vcc_lo
	v_dual_mul_f32 v79, s19, v132 :: v_dual_mul_f32 v90, s19, v121
	v_mul_f32_e32 v80, s19, v131
	v_cndmask_b32_e64 v82, 0xff7fffff, v82, s4
	v_cndmask_b32_e64 v81, 0xff7fffff, v81, s5
	v_max3_f32 v83, v84, 0xff7fffff, v83
	v_dual_mul_f32 v77, s19, v134 :: v_dual_mul_f32 v88, s19, v123
	v_mul_f32_e32 v78, s19, v133
	v_cndmask_b32_e64 v80, 0xff7fffff, v80, s6
	v_cndmask_b32_e64 v79, 0xff7fffff, v79, s7
	v_max3_f32 v81, v83, v82, v81
	v_mul_f32_e32 v91, s19, v120
	v_cndmask_b32_e64 v78, 0xff7fffff, v78, s8
	v_cndmask_b32_e64 v77, 0xff7fffff, v77, s9
	v_mul_f32_e32 v89, s19, v122
	v_max3_f32 v79, v81, v80, v79
	v_cndmask_b32_e64 v80, 0xff7fffff, v92, s10
	v_cndmask_b32_e64 v81, 0xff7fffff, v91, s11
	v_cmp_gt_i32_e64 s13, s18, v72
	v_or_b32_e32 v75, 28, v135
	v_max3_f32 v77, v79, v78, v77
	v_or_b32_e32 v76, 30, v135
	v_mul_f32_e32 v87, s19, v124
	v_cndmask_b32_e64 v71, 0xff7fffff, v90, s12
	v_cndmask_b32_e64 v72, 0xff7fffff, v89, s13
	v_max3_f32 v77, v77, v80, v81
	v_cmp_gt_i32_e64 s15, s18, v73
	v_cmp_gt_i32_e64 s16, s18, v74
	v_dual_mul_f32 v85, s19, v126 :: v_dual_mul_f32 v86, s19, v125
	s_delay_alu instid0(VALU_DEP_4) | instskip(NEXT) | instid1(VALU_DEP_4)
	v_max3_f32 v71, v77, v71, v72
	v_cndmask_b32_e64 v73, 0xff7fffff, v88, s15
	s_delay_alu instid0(VALU_DEP_4) | instskip(SKIP_2) | instid1(VALU_DEP_3)
	v_cndmask_b32_e64 v74, 0xff7fffff, v87, s16
	v_cmp_gt_i32_e64 s17, s18, v75
	v_cmp_gt_i32_e64 s18, s18, v76
	v_max3_f32 v71, v71, v73, v74
	s_delay_alu instid0(VALU_DEP_3) | instskip(NEXT) | instid1(VALU_DEP_3)
	v_cndmask_b32_e64 v72, 0xff7fffff, v86, s17
	v_cndmask_b32_e64 v75, 0xff7fffff, v85, s18
	v_lshlrev_b32_e32 v73, 2, v136
	s_delay_alu instid0(VALU_DEP_2) | instskip(SKIP_3) | instid1(VALU_DEP_1)
	v_max3_f32 v71, v71, v72, v75
	ds_bpermute_b32 v72, v73, v71
	s_waitcnt lgkmcnt(0)
	v_max_f32_e32 v72, v72, v72
	v_max_f32_e32 v71, v71, v72
	s_delay_alu instid0(VALU_DEP_1)
	v_fma_f32 v72, s19, v127, -v71
	v_fma_f32 v74, s19, v128, -v71
	;; [unrolled: 1-line block ×5, first 2 shown]
	v_mul_f32_e32 v72, 0x3fb8aa3b, v72
	v_mul_f32_e32 v74, 0x3fb8aa3b, v74
	v_fma_f32 v80, s19, v133, -v71
	s_delay_alu instid0(VALU_DEP_4) | instskip(NEXT) | instid1(VALU_DEP_4)
	v_dual_mul_f32 v76, 0x3fb8aa3b, v76 :: v_dual_mul_f32 v77, 0x3fb8aa3b, v77
	v_exp_f32_e32 v72, v72
	s_delay_alu instid0(VALU_DEP_3) | instskip(NEXT) | instid1(VALU_DEP_2)
	v_exp_f32_e32 v74, v74
	v_mul_f32_e32 v82, 0x3fb8aa3b, v80
	s_delay_alu instid0(VALU_DEP_2) | instskip(SKIP_1) | instid1(VALU_DEP_1)
	v_exp_f32_e32 v76, v76
	v_exp_f32_e32 v77, v77
	;; [unrolled: 1-line block ×3, first 2 shown]
	v_cndmask_b32_e32 v79, 0, v72, vcc_lo
	v_fma_f32 v72, s19, v132, -v71
	v_mul_f32_e32 v75, 0x3fb8aa3b, v75
	v_cndmask_b32_e64 v78, 0, v74, s3
	s_delay_alu instid0(TRANS32_DEP_3)
	v_cndmask_b32_e64 v80, 0, v76, s5
	v_add_f32_e32 v74, 0, v79
	v_mul_f32_e32 v72, 0x3fb8aa3b, v72
	v_exp_f32_e32 v75, v75
	v_cndmask_b32_e64 v83, 0, v77, s6
	v_cndmask_b32_e64 v85, 0, v84, s8
	v_add_f32_e32 v74, v74, v78
	v_exp_f32_e32 v72, v72
	s_mov_b32 s3, exec_lo
	s_waitcnt_depctr 0xfff
	v_cndmask_b32_e64 v81, 0, v75, s4
	v_cndmask_b32_e64 v82, 0, v72, s7
	s_delay_alu instid0(VALU_DEP_2) | instskip(NEXT) | instid1(VALU_DEP_1)
	v_add_f32_e32 v74, v74, v81
	v_add_f32_e32 v74, v74, v80
	s_delay_alu instid0(VALU_DEP_1) | instskip(SKIP_4) | instid1(VALU_DEP_4)
	v_add_f32_e32 v72, v74, v83
	v_fma_f32 v75, s19, v134, -v71
	v_fma_f32 v76, s19, v119, -v71
	;; [unrolled: 1-line block ×4, first 2 shown]
	v_dual_add_f32 v72, v72, v82 :: v_dual_mul_f32 v75, 0x3fb8aa3b, v75
	s_delay_alu instid0(VALU_DEP_3) | instskip(SKIP_1) | instid1(VALU_DEP_3)
	v_dual_mul_f32 v76, 0x3fb8aa3b, v76 :: v_dual_mul_f32 v77, 0x3fb8aa3b, v77
	v_fma_f32 v86, s19, v122, -v71
	v_add_f32_e32 v72, v72, v85
	s_delay_alu instid0(VALU_DEP_4) | instskip(NEXT) | instid1(VALU_DEP_3)
	v_exp_f32_e32 v75, v75
	v_exp_f32_e32 v76, v76
	;; [unrolled: 1-line block ×3, first 2 shown]
	v_mul_f32_e32 v86, 0x3fb8aa3b, v86
	s_delay_alu instid0(VALU_DEP_1) | instskip(SKIP_3) | instid1(TRANS32_DEP_3)
	v_exp_f32_e32 v88, v86
	v_cndmask_b32_e64 v84, 0, v75, s9
	v_fma_f32 v75, s19, v123, -v71
	v_mul_f32_e32 v74, 0x3fb8aa3b, v74
	v_cndmask_b32_e64 v87, 0, v76, s10
	v_fma_f32 v76, s19, v124, -v71
	s_delay_alu instid0(VALU_DEP_4) | instskip(NEXT) | instid1(VALU_DEP_4)
	v_dual_add_f32 v72, v72, v84 :: v_dual_mul_f32 v75, 0x3fb8aa3b, v75
	v_exp_f32_e32 v74, v74
	v_cndmask_b32_e64 v86, 0, v77, s11
	v_fma_f32 v77, s19, v125, -v71
	s_delay_alu instid0(VALU_DEP_3) | instskip(SKIP_3) | instid1(VALU_DEP_3)
	v_add_f32_e32 v72, v72, v87
	v_mul_f32_e32 v76, 0x3fb8aa3b, v76
	v_exp_f32_e32 v75, v75
	v_cndmask_b32_e64 v88, 0, v88, s13
	v_add_f32_e32 v72, v72, v86
	s_delay_alu instid0(VALU_DEP_3) | instskip(NEXT) | instid1(TRANS32_DEP_3)
	v_exp_f32_e32 v76, v76
	v_cndmask_b32_e64 v89, 0, v74, s12
	v_mul_f32_e32 v74, 0x3fb8aa3b, v77
	v_fma_f32 v77, s19, v126, -v71
	s_delay_alu instid0(VALU_DEP_3) | instskip(NEXT) | instid1(VALU_DEP_3)
	v_add_f32_e32 v72, v72, v89
	v_exp_f32_e32 v74, v74
	s_delay_alu instid0(TRANS32_DEP_3) | instskip(NEXT) | instid1(VALU_DEP_3)
	v_cndmask_b32_e64 v91, 0, v75, s15
	v_mul_f32_e32 v75, 0x3fb8aa3b, v77
	s_delay_alu instid0(TRANS32_DEP_2) | instskip(SKIP_1) | instid1(VALU_DEP_3)
	v_cndmask_b32_e64 v90, 0, v76, s16
	v_add_f32_e32 v72, v72, v88
	v_exp_f32_e32 v75, v75
	s_delay_alu instid0(VALU_DEP_1) | instskip(NEXT) | instid1(TRANS32_DEP_2)
	v_add_f32_e32 v72, v72, v91
	v_cndmask_b32_e64 v93, 0, v74, s17
	s_delay_alu instid0(VALU_DEP_2) | instskip(SKIP_3) | instid1(VALU_DEP_1)
	v_add_f32_e32 v72, v72, v90
	s_waitcnt_depctr 0xfff
	v_cndmask_b32_e64 v92, 0, v75, s18
	v_add_f32_e32 v72, v72, v93
	v_add_f32_e32 v72, v72, v92
	ds_bpermute_b32 v73, v73, v72
	v_cmpx_gt_u32_e32 16, v70
	s_cbranch_execz .LBB1161_12
; %bb.11:
	v_mul_u32_u24_e32 v70, 0x44, v69
	s_waitcnt lgkmcnt(0)
	v_add_f32_e32 v72, v72, v73
	s_delay_alu instid0(VALU_DEP_2) | instskip(NEXT) | instid1(VALU_DEP_1)
	v_lshl_add_u32 v70, v68, 2, v70
	v_add_nc_u32_e32 v70, 0x4000, v70
	ds_store_2addr_b32 v70, v71, v72 offset1:136
.LBB1161_12:
	s_or_b32 exec_lo, exec_lo, s3
	v_lshlrev_b32_e32 v70, 2, v68
	s_load_b32 s35, s[0:1], 0x94
	s_waitcnt lgkmcnt(0)
	s_barrier
	buffer_gl0_inv
	v_add_nc_u32_e32 v98, 0x4000, v70
	v_cmp_eq_u32_e32 vcc_lo, 1, v69
	v_cmp_eq_u32_e64 s3, 2, v69
	v_cmp_eq_u32_e64 s4, 3, v69
	;; [unrolled: 1-line block ×3, first 2 shown]
	ds_load_2addr_b32 v[70:71], v98 offset1:17
	ds_load_2addr_b32 v[72:73], v98 offset0:34 offset1:51
	ds_load_2addr_b32 v[74:75], v98 offset0:68 offset1:85
	;; [unrolled: 1-line block ×3, first 2 shown]
	v_cmp_eq_u32_e64 s6, 5, v69
	v_cmp_eq_u32_e64 s7, 7, v69
	s_waitcnt lgkmcnt(3)
	v_max3_f32 v76, v70, 0xff7fffff, v71
	s_waitcnt lgkmcnt(2)
	s_delay_alu instid0(VALU_DEP_1) | instskip(SKIP_1) | instid1(VALU_DEP_1)
	v_max3_f32 v76, v76, v72, v73
	s_waitcnt lgkmcnt(1)
	v_max3_f32 v76, v76, v74, v75
	s_waitcnt lgkmcnt(0)
	s_delay_alu instid0(VALU_DEP_1) | instskip(NEXT) | instid1(VALU_DEP_1)
	v_max3_f32 v76, v76, v94, v95
	v_sub_f32_e32 v77, v71, v76
	ds_load_2addr_b32 v[96:97], v98 offset0:136 offset1:153
	v_sub_f32_e32 v74, v74, v76
	v_sub_f32_e32 v70, v70, v76
	;; [unrolled: 1-line block ×3, first 2 shown]
	v_dual_sub_f32 v72, v72, v76 :: v_dual_mul_f32 v77, 0x3fb8aa3b, v77
	s_delay_alu instid0(VALU_DEP_4) | instskip(NEXT) | instid1(VALU_DEP_4)
	v_mul_f32_e32 v103, 0x3fb8aa3b, v74
	v_mul_f32_e32 v99, 0x3fb8aa3b, v70
	ds_load_2addr_b32 v[70:71], v98 offset0:170 offset1:187
	v_dual_mul_f32 v101, 0x3fb8aa3b, v72 :: v_dual_mul_f32 v94, 0x3fb8aa3b, v94
	v_exp_f32_e32 v102, v77
	v_exp_f32_e32 v99, v99
	s_delay_alu instid0(VALU_DEP_1) | instskip(NEXT) | instid1(VALU_DEP_1)
	v_exp_f32_e32 v101, v101
	v_exp_f32_e32 v94, v94
	s_waitcnt lgkmcnt(1)
	s_delay_alu instid0(TRANS32_DEP_3)
	v_fma_f32 v77, v99, v96, 0
	v_sub_f32_e32 v100, v73, v76
	ds_load_2addr_b32 v[72:73], v98 offset0:204 offset1:221
	v_fmac_f32_e32 v77, v102, v97
	v_exp_f32_e32 v97, v103
	s_waitcnt lgkmcnt(1)
	s_delay_alu instid0(VALU_DEP_1)
	v_dual_fmac_f32 v77, v101, v70 :: v_dual_sub_f32 v96, v75, v76
	ds_load_2addr_b32 v[74:75], v98 offset0:238 offset1:255
	v_sub_f32_e32 v70, v95, v76
	s_waitcnt lgkmcnt(0)
	s_barrier
	v_mul_f32_e32 v96, 0x3fb8aa3b, v96
	buffer_gl0_inv
	v_exp_f32_e32 v95, v96
	v_mul_f32_e32 v100, 0x3fb8aa3b, v100
	s_delay_alu instid0(VALU_DEP_1) | instskip(SKIP_3) | instid1(VALU_DEP_2)
	v_exp_f32_e32 v100, v100
	s_waitcnt_depctr 0xfff
	v_dual_fmac_f32 v77, v100, v71 :: v_dual_mul_f32 v70, 0x3fb8aa3b, v70
	v_cndmask_b32_e32 v71, v99, v102, vcc_lo
	v_fmac_f32_e32 v77, v97, v72
	s_delay_alu instid0(VALU_DEP_3) | instskip(NEXT) | instid1(VALU_DEP_1)
	v_exp_f32_e32 v96, v70
	v_fmac_f32_e32 v77, v95, v73
	s_delay_alu instid0(VALU_DEP_1) | instskip(SKIP_2) | instid1(VALU_DEP_1)
	v_fmac_f32_e32 v77, v94, v74
	s_waitcnt_depctr 0xfff
	v_fmac_f32_e32 v77, v96, v75
	v_add_f32_e32 v74, 0x358637bd, v77
	s_delay_alu instid0(VALU_DEP_1) | instskip(SKIP_1) | instid1(VALU_DEP_2)
	v_div_scale_f32 v98, null, v74, v74, 1.0
	v_div_scale_f32 v99, vcc_lo, 1.0, v74, 1.0
	v_rcp_f32_e32 v103, v98
	s_waitcnt_depctr 0xfff
	v_fma_f32 v70, -v98, v103, 1.0
	s_delay_alu instid0(VALU_DEP_1) | instskip(SKIP_2) | instid1(VALU_DEP_2)
	v_fmac_f32_e32 v103, v70, v103
	v_cndmask_b32_e64 v70, v71, v101, s3
	v_cmp_eq_u32_e64 s3, 6, v69
	v_cndmask_b32_e64 v71, v70, v100, s4
	s_delay_alu instid0(VALU_DEP_4) | instskip(NEXT) | instid1(VALU_DEP_2)
	v_dual_mul_f32 v101, v99, v103 :: v_dual_lshlrev_b32 v70, 2, v66
	v_cndmask_b32_e64 v71, v71, v97, s5
	s_delay_alu instid0(VALU_DEP_2) | instskip(NEXT) | instid1(VALU_DEP_3)
	v_or_b32_e32 v72, 1, v70
	v_fma_f32 v100, -v98, v101, v99
	v_cmp_eq_u32_e64 s4, 1, v70
	v_cmp_eq_u32_e64 s5, 2, v70
	v_cndmask_b32_e64 v95, v71, v95, s6
	v_or_b32_e32 v71, 3, v70
	v_fmac_f32_e32 v101, v100, v103
	v_cmp_eq_u32_e64 s9, 1, v72
	v_cmp_eq_u32_e64 s12, 2, v72
	v_cndmask_b32_e64 v94, v95, v94, s3
	v_cmp_eq_u32_e64 s11, 1, v71
	v_fma_f32 v97, -v98, v101, v99
	v_cmp_eq_u32_e64 s16, 2, v71
	v_cmp_eq_u32_e64 s13, 3, v72
	v_cndmask_b32_e64 v94, v94, v96, s7
	v_cmp_eq_u32_e64 s18, 3, v71
	v_div_fmas_f32 v95, v97, v103, v101
	v_cmp_eq_u32_e32 vcc_lo, 3, v70
	v_cmp_eq_u32_e64 s3, 4, v70
	v_cmp_eq_u32_e64 s19, 4, v72
	;; [unrolled: 1-line block ×3, first 2 shown]
	v_div_fixup_f32 v95, v95, v74, 1.0
	v_lshlrev_b32_e32 v73, 6, v68
	v_cmp_eq_u32_e64 s6, 5, v70
	v_cmp_eq_u32_e64 s20, 5, v72
	v_cmp_eq_u32_e64 s24, 5, v71
	v_mul_f32_e32 v102, v94, v95
	v_lshl_or_b32 v75, v69, 11, v73
	v_or_b32_e32 v69, 2, v70
	v_cmp_eq_u32_e64 s25, 6, v72
	v_cmp_eq_u32_e64 s27, 6, v71
	v_fma_mixlo_f16 v94, v102, v79, 0
	v_fma_mixlo_f16 v95, v102, v81, 0
	;; [unrolled: 1-line block ×8, first 2 shown]
	v_lshl_or_b32 v74, v66, 4, v75
	v_fma_mixhi_f16 v94, v102, v78, 0
	v_fma_mixhi_f16 v95, v102, v80, 0
	;; [unrolled: 1-line block ×8, first 2 shown]
	ds_store_b128 v74, v[94:97]
	ds_store_b128 v74, v[98:101] offset:1024
	s_waitcnt lgkmcnt(0)
	s_barrier
	buffer_gl0_inv
	ds_load_b128 v[78:81], v75
	ds_load_b128 v[82:85], v75 offset:16
	ds_load_b128 v[86:89], v75 offset:1024
	;; [unrolled: 1-line block ×3, first 2 shown]
	v_cmp_eq_u32_e64 s10, 1, v69
	v_cmp_eq_u32_e64 s15, 2, v69
	;; [unrolled: 1-line block ×11, first 2 shown]
	s_waitcnt lgkmcnt(3)
	v_lshrrev_b32_e32 v94, 16, v78
	s_waitcnt lgkmcnt(2)
	v_lshrrev_b32_e32 v98, 16, v82
	;; [unrolled: 2-line block ×4, first 2 shown]
	v_lshrrev_b32_e32 v95, 16, v79
	v_cndmask_b32_e64 v110, v78, v94, s4
	v_cndmask_b32_e64 v111, v82, v98, s4
	;; [unrolled: 1-line block ×8, first 2 shown]
	v_lshrrev_b32_e32 v99, 16, v83
	v_cndmask_b32_e64 v94, v86, v102, s4
	v_cndmask_b32_e64 v98, v90, v106, s4
	;; [unrolled: 1-line block ×15, first 2 shown]
	v_lshrrev_b32_e32 v103, 16, v87
	v_lshrrev_b32_e32 v107, 16, v91
	v_cndmask_b32_e64 v113, v115, v83, s15
	v_cndmask_b32_e64 v82, v94, v87, s5
	;; [unrolled: 1-line block ×7, first 2 shown]
	v_cndmask_b32_e32 v90, v102, v95, vcc_lo
	v_cndmask_b32_e32 v102, v106, v99, vcc_lo
	v_cndmask_b32_e64 v106, v110, v95, s13
	v_cndmask_b32_e64 v110, v111, v99, s13
	v_cndmask_b32_e64 v78, v78, v95, s18
	v_cndmask_b32_e64 v79, v79, v99, s18
	v_lshrrev_b32_e32 v96, 16, v80
	v_lshrrev_b32_e32 v100, 16, v84
	v_cndmask_b32_e64 v111, v112, v95, s17
	v_cndmask_b32_e64 v112, v113, v99, s17
	v_cndmask_b32_e32 v82, v82, v103, vcc_lo
	v_cndmask_b32_e32 v83, v83, v107, vcc_lo
	v_cndmask_b32_e64 v94, v94, v103, s13
	v_cndmask_b32_e64 v90, v90, v80, s3
	;; [unrolled: 1-line block ×7, first 2 shown]
	v_lshrrev_b32_e32 v104, 16, v88
	v_cndmask_b32_e64 v106, v111, v80, s21
	v_cndmask_b32_e64 v110, v112, v84, s21
	;; [unrolled: 1-line block ×11, first 2 shown]
	v_lshrrev_b32_e32 v97, 16, v81
	v_lshrrev_b32_e32 v101, 16, v85
	v_cndmask_b32_e64 v99, v106, v96, s23
	v_cndmask_b32_e64 v102, v110, v100, s23
	;; [unrolled: 1-line block ×7, first 2 shown]
	v_lshrrev_b32_e32 v105, 16, v89
	v_cndmask_b32_e64 v80, v80, v104, s6
	v_cndmask_b32_e64 v84, v84, v81, s7
	;; [unrolled: 1-line block ×16, first 2 shown]
	v_perm_b32 v81, v79, v78, 0x5040100
	v_perm_b32 v79, v95, v85, 0x5040100
	v_cndmask_b32_e64 v78, v119, v91, s15
	v_cndmask_b32_e64 v85, v117, v91, s12
	;; [unrolled: 1-line block ×3, first 2 shown]
	v_perm_b32 v80, v94, v90, 0x5040100
	v_cndmask_b32_e64 v90, v98, v103, s17
	v_cndmask_b32_e64 v86, v86, v103, s18
	;; [unrolled: 1-line block ×5, first 2 shown]
	v_lshrrev_b32_e32 v108, 16, v92
	v_cndmask_b32_e64 v90, v90, v88, s21
	v_cndmask_b32_e64 v86, v86, v88, s22
	;; [unrolled: 1-line block ×11, first 2 shown]
	v_lshrrev_b32_e32 v109, 16, v93
	v_cndmask_b32_e64 v82, v82, v93, s7
	v_cndmask_b32_e64 v88, v88, v89, s26
	v_cndmask_b32_e64 v86, v86, v89, s27
	v_cndmask_b32_e64 v87, v87, v93, s27
	v_cndmask_b32_e64 v78, v78, v93, s26
	v_cndmask_b32_e64 v85, v85, v93, s25
	v_cndmask_b32_e64 v88, v88, v105, s28
	v_cndmask_b32_e64 v86, v86, v105, s29
	v_cndmask_b32_e64 v87, v87, v109, s29
	v_cndmask_b32_e64 v89, v78, v109, s28
	v_cndmask_b32_e64 v90, v85, v109, s30
	v_cndmask_b32_e64 v82, v82, v109, s8
	v_perm_b32 v78, v84, v83, 0x5040100
	v_perm_b32 v85, v87, v86, 0x5040100
	;; [unrolled: 1-line block ×5, first 2 shown]
	s_mul_i32 s8, s33, 12
	s_mov_b32 s3, exec_lo
	ds_store_b128 v74, v[78:81]
	ds_store_b128 v74, v[82:85] offset:1024
	v_cmpx_gt_u32_e32 12, v0
	s_cbranch_execz .LBB1161_14
; %bb.13:
	s_mul_i32 s4, s8, s34
	s_delay_alu instid0(SALU_CYCLE_1) | instskip(SKIP_1) | instid1(VALU_DEP_1)
	v_add3_u32 v68, s4, s31, v68
	s_load_b128 s[4:7], s[0:1], 0x58
	v_mad_u64_u32 v[78:79], null, v68, s35, s[14:15]
	s_delay_alu instid0(VALU_DEP_1) | instskip(NEXT) | instid1(VALU_DEP_1)
	v_ashrrev_i32_e32 v79, 31, v78
	v_lshlrev_b64 v[78:79], 2, v[78:79]
	s_waitcnt lgkmcnt(0)
	s_delay_alu instid0(VALU_DEP_1) | instskip(NEXT) | instid1(VALU_DEP_2)
	v_add_co_u32 v80, vcc_lo, s6, v78
	v_add_co_ci_u32_e32 v81, vcc_lo, s7, v79, vcc_lo
	v_add_co_u32 v78, vcc_lo, s4, v78
	v_add_co_ci_u32_e32 v79, vcc_lo, s5, v79, vcc_lo
	global_store_b32 v[80:81], v76, off
	global_store_b32 v[78:79], v77, off
.LBB1161_14:
	s_or_b32 exec_lo, exec_lo, s3
	s_waitcnt lgkmcnt(0)
	s_waitcnt_vscnt null, 0x0
	s_barrier
	buffer_gl0_inv
	ds_load_b128 v[84:87], v73
	ds_load_b128 v[88:91], v73 offset:16
	ds_load_b128 v[96:99], v73 offset:2064
	;; [unrolled: 1-line block ×5, first 2 shown]
	v_cmp_eq_u32_e32 vcc_lo, 1, v70
	v_mov_b32_e32 v76, 0
	ds_load_b128 v[112:115], v73 offset:6160
	ds_load_b128 v[108:111], v73 offset:6144
	ds_load_b128 v[120:123], v73 offset:8208
	ds_load_b128 v[116:119], v73 offset:8192
	v_cmp_eq_u32_e64 s4, 1, v69
	v_cmp_eq_u32_e64 s3, 1, v72
	;; [unrolled: 1-line block ×3, first 2 shown]
	v_mov_b32_e32 v77, v76
	v_mov_b32_e32 v78, v76
	;; [unrolled: 1-line block ×7, first 2 shown]
	v_cmp_eq_u32_e64 s6, 3, v72
	v_cmp_eq_u32_e64 s7, 7, v72
	s_waitcnt lgkmcnt(8)
	s_delay_alu instid0(VALU_DEP_3)
	v_wmma_f32_16x16x16_f16 v[76:83], v[49:56], v[84:91], v[76:83]
	ds_load_b128 v[53:56], v73 offset:10256
	ds_load_b128 v[49:52], v73 offset:10240
	s_waitcnt lgkmcnt(8)
	v_wmma_f32_16x16x16_f16 v[76:83], v[41:48], v[92:99], v[76:83]
	ds_load_b128 v[45:48], v73 offset:12304
	ds_load_b128 v[41:44], v73 offset:12288
	s_waitcnt lgkmcnt(8)
	;; [unrolled: 4-line block ×3, first 2 shown]
	s_barrier
	buffer_gl0_inv
	v_wmma_f32_16x16x16_f16 v[76:83], v[1:8], v[108:115], v[76:83]
	s_delay_alu instid0(VALU_DEP_1) | instskip(NEXT) | instid1(VALU_DEP_1)
	v_wmma_f32_16x16x16_f16 v[76:83], v[9:16], v[116:123], v[76:83]
	v_wmma_f32_16x16x16_f16 v[76:83], v[17:24], v[49:56], v[76:83]
	s_delay_alu instid0(VALU_DEP_1) | instskip(NEXT) | instid1(VALU_DEP_1)
	v_wmma_f32_16x16x16_f16 v[76:83], v[25:32], v[41:48], v[76:83]
	v_wmma_f32_16x16x16_f16 v[76:83], v[57:64], v[33:40], v[76:83]
	s_delay_alu instid0(VALU_DEP_1) | instskip(NEXT) | instid1(VALU_DEP_2)
	v_cvt_f16_f32_e32 v1, v76
	v_cvt_f16_f32_e32 v2, v77
	s_delay_alu instid0(VALU_DEP_3) | instskip(NEXT) | instid1(VALU_DEP_4)
	v_cvt_f16_f32_e32 v3, v78
	v_cvt_f16_f32_e32 v4, v79
	;; [unrolled: 1-line block ×6, first 2 shown]
	v_pack_b32_f16 v1, v1, v2
	v_pack_b32_f16 v2, v3, v4
	;; [unrolled: 1-line block ×3, first 2 shown]
	s_delay_alu instid0(VALU_DEP_4)
	v_pack_b32_f16 v4, v7, v8
	ds_store_b128 v74, v[1:4]
	s_waitcnt lgkmcnt(0)
	s_barrier
	buffer_gl0_inv
	ds_load_b128 v[1:4], v75
	ds_load_b128 v[5:8], v75 offset:16
	s_waitcnt lgkmcnt(1)
	v_lshrrev_b32_e32 v9, 16, v1
	s_waitcnt lgkmcnt(0)
	v_lshrrev_b32_e32 v13, 16, v5
	v_lshrrev_b32_e32 v10, 16, v2
	;; [unrolled: 1-line block ×4, first 2 shown]
	v_cndmask_b32_e32 v17, v1, v9, vcc_lo
	v_cndmask_b32_e32 v18, v5, v13, vcc_lo
	v_cndmask_b32_e64 v21, v1, v9, s4
	v_cmp_eq_u32_e32 vcc_lo, 1, v71
	v_cndmask_b32_e64 v22, v5, v13, s4
	v_cmp_eq_u32_e64 s4, 2, v70
	v_cndmask_b32_e64 v19, v1, v9, s3
	v_cndmask_b32_e64 v20, v5, v13, s3
	v_cndmask_b32_e32 v1, v1, v9, vcc_lo
	v_cmp_eq_u32_e64 s3, 2, v71
	v_cndmask_b32_e32 v5, v5, v13, vcc_lo
	v_cndmask_b32_e64 v9, v17, v2, s4
	v_cmp_eq_u32_e32 vcc_lo, 3, v70
	v_cndmask_b32_e64 v13, v18, v6, s4
	v_cmp_eq_u32_e64 s4, 2, v69
	v_cndmask_b32_e64 v17, v19, v2, s5
	v_cndmask_b32_e64 v18, v20, v6, s5
	v_cmp_eq_u32_e64 s5, 3, v69
	v_cndmask_b32_e64 v1, v1, v2, s3
	v_cndmask_b32_e64 v19, v21, v2, s4
	;; [unrolled: 1-line block ×4, first 2 shown]
	v_cndmask_b32_e32 v5, v9, v10, vcc_lo
	v_cndmask_b32_e32 v6, v13, v14, vcc_lo
	v_cmp_eq_u32_e32 vcc_lo, 3, v71
	v_cndmask_b32_e64 v9, v17, v10, s6
	v_cndmask_b32_e64 v13, v18, v14, s6
	;; [unrolled: 1-line block ×3, first 2 shown]
	v_cmp_eq_u32_e64 s4, 4, v70
	v_cndmask_b32_e32 v1, v1, v10, vcc_lo
	v_cndmask_b32_e32 v2, v2, v14, vcc_lo
	v_cmp_eq_u32_e32 vcc_lo, 4, v72
	v_lshrrev_b32_e32 v15, 16, v7
	v_lshrrev_b32_e32 v16, 16, v8
	v_cndmask_b32_e64 v17, v19, v10, s5
	v_cmp_eq_u32_e64 s3, 4, v71
	v_cndmask_b32_e64 v5, v5, v3, s4
	v_cndmask_b32_e64 v6, v6, v7, s4
	v_cndmask_b32_e32 v9, v9, v3, vcc_lo
	v_cmp_eq_u32_e64 s4, 5, v72
	v_cndmask_b32_e32 v10, v13, v7, vcc_lo
	v_cmp_eq_u32_e32 vcc_lo, 4, v69
	v_cmp_eq_u32_e64 s5, 5, v70
	v_cndmask_b32_e64 v2, v2, v7, s3
	v_cndmask_b32_e64 v9, v9, v11, s4
	;; [unrolled: 1-line block ×3, first 2 shown]
	v_cndmask_b32_e32 v13, v17, v3, vcc_lo
	v_cmp_eq_u32_e64 s4, 5, v69
	v_cndmask_b32_e32 v14, v18, v7, vcc_lo
	v_cndmask_b32_e64 v1, v1, v3, s3
	v_cmp_eq_u32_e32 vcc_lo, 5, v71
	v_lshrrev_b32_e32 v12, 16, v4
	v_cndmask_b32_e64 v13, v13, v11, s4
	v_cndmask_b32_e64 v3, v14, v15, s4
	v_cmp_eq_u32_e64 s4, 6, v71
	v_cndmask_b32_e32 v1, v1, v11, vcc_lo
	v_cndmask_b32_e64 v5, v5, v11, s5
	v_cmp_eq_u32_e64 s6, 6, v70
	v_cndmask_b32_e64 v6, v6, v15, s5
	v_cmp_eq_u32_e64 s5, 6, v72
	v_cmp_eq_u32_e64 s3, 6, v69
	v_cndmask_b32_e64 v1, v1, v4, s4
	v_cndmask_b32_e32 v2, v2, v15, vcc_lo
	v_cmp_eq_u32_e32 vcc_lo, 7, v71
	v_cndmask_b32_e64 v5, v5, v4, s6
	v_cndmask_b32_e64 v9, v9, v4, s5
	;; [unrolled: 1-line block ×3, first 2 shown]
	v_cmp_eq_u32_e64 s6, 7, v70
	v_cndmask_b32_e32 v1, v1, v12, vcc_lo
	v_cndmask_b32_e64 v7, v13, v4, s3
	v_cndmask_b32_e64 v3, v3, v8, s3
	;; [unrolled: 1-line block ×3, first 2 shown]
	v_cmp_eq_u32_e64 s3, 7, v69
	v_cndmask_b32_e64 v4, v10, v8, s5
	v_cndmask_b32_e64 v5, v5, v12, s6
	;; [unrolled: 1-line block ×3, first 2 shown]
	v_cndmask_b32_e32 v2, v2, v16, vcc_lo
	v_cndmask_b32_e64 v7, v7, v12, s3
	v_cndmask_b32_e64 v3, v3, v16, s3
	;; [unrolled: 1-line block ×4, first 2 shown]
	v_cmp_gt_u32_e32 vcc_lo, 32, v0
	v_perm_b32 v4, v2, v1, 0x5040100
	v_perm_b32 v3, v3, v7, 0x5040100
	;; [unrolled: 1-line block ×4, first 2 shown]
	s_and_b32 s2, vcc_lo, s2
	ds_store_b128 v74, v[1:4]
	s_waitcnt lgkmcnt(0)
	s_barrier
	buffer_gl0_inv
	s_and_saveexec_b32 s3, s2
	s_cbranch_execz .LBB1161_2
; %bb.15:
	s_load_b64 s[0:1], s[0:1], 0x68
	v_lshlrev_b32_e32 v0, 10, v0
	s_lshl_b32 s4, s35, 6
	v_or_b32_e32 v3, s31, v66
	s_mul_i32 s2, s4, s34
	v_lshlrev_b32_e32 v1, 4, v67
	s_mul_i32 s2, s2, s8
	v_lshlrev_b32_e32 v2, 6, v66
	v_and_b32_e32 v0, 0x3800, v0
	s_ashr_i32 s3, s2, 31
	v_mul_lo_u32 v4, v3, s4
	s_lshl_b64 s[2:3], s[2:3], 1
	s_delay_alu instid0(VALU_DEP_2) | instskip(NEXT) | instid1(VALU_DEP_2)
	v_or3_b32 v16, v0, v1, v2
	v_ashrrev_i32_e32 v5, 31, v4
	ds_load_b128 v[0:3], v16
	s_waitcnt lgkmcnt(0)
	s_add_u32 s2, s0, s2
	s_addc_u32 s3, s1, s3
	s_lshl_b32 s0, s14, 6
	v_lshlrev_b64 v[5:6], 1, v[4:5]
	s_ashr_i32 s1, s0, 31
	s_delay_alu instid0(SALU_CYCLE_1) | instskip(NEXT) | instid1(SALU_CYCLE_1)
	s_lshl_b64 s[0:1], s[0:1], 1
	s_add_u32 s0, s2, s0
	s_addc_u32 s1, s3, s1
	s_lshl_b32 s2, s35, 7
	v_add_co_u32 v30, s0, s0, v65
	v_add_nc_u32_e32 v8, s2, v4
	v_add_co_ci_u32_e64 v31, null, s1, 0, s0
	s_delay_alu instid0(VALU_DEP_3) | instskip(NEXT) | instid1(VALU_DEP_3)
	v_add_co_u32 v12, vcc_lo, v30, v5
	v_add_nc_u32_e32 v10, s2, v8
	v_ashrrev_i32_e32 v9, 31, v8
	s_delay_alu instid0(VALU_DEP_4)
	v_add_co_ci_u32_e32 v13, vcc_lo, v31, v6, vcc_lo
	ds_load_b128 v[4:7], v16 offset:128
	v_ashrrev_i32_e32 v11, 31, v10
	v_lshlrev_b64 v[8:9], 1, v[8:9]
	v_add_nc_u32_e32 v14, s2, v10
	global_store_b128 v[12:13], v[0:3], off
	v_lshlrev_b64 v[0:1], 1, v[10:11]
	v_ashrrev_i32_e32 v15, 31, v14
	v_add_co_u32 v22, vcc_lo, v30, v8
	v_add_nc_u32_e32 v20, s2, v14
	v_add_co_ci_u32_e32 v23, vcc_lo, v31, v9, vcc_lo
	v_add_co_u32 v26, vcc_lo, v30, v0
	v_lshlrev_b64 v[24:25], 1, v[14:15]
	v_add_co_ci_u32_e32 v27, vcc_lo, v31, v1, vcc_lo
	ds_load_b128 v[0:3], v16 offset:256
	ds_load_b128 v[8:11], v16 offset:384
	;; [unrolled: 1-line block ×4, first 2 shown]
	v_add_nc_u32_e32 v28, s2, v20
	v_ashrrev_i32_e32 v21, 31, v20
	v_add_co_u32 v24, vcc_lo, v30, v24
	v_add_co_ci_u32_e32 v25, vcc_lo, v31, v25, vcc_lo
	s_delay_alu instid0(VALU_DEP_4) | instskip(NEXT) | instid1(VALU_DEP_4)
	v_ashrrev_i32_e32 v29, 31, v28
	v_lshlrev_b64 v[20:21], 1, v[20:21]
	s_delay_alu instid0(VALU_DEP_2) | instskip(NEXT) | instid1(VALU_DEP_2)
	v_lshlrev_b64 v[28:29], 1, v[28:29]
	v_add_co_u32 v20, vcc_lo, v30, v20
	s_delay_alu instid0(VALU_DEP_3) | instskip(NEXT) | instid1(VALU_DEP_3)
	v_add_co_ci_u32_e32 v21, vcc_lo, v31, v21, vcc_lo
	v_add_co_u32 v28, vcc_lo, v30, v28
	s_delay_alu instid0(VALU_DEP_4)
	v_add_co_ci_u32_e32 v29, vcc_lo, v31, v29, vcc_lo
	s_waitcnt lgkmcnt(4)
	global_store_b128 v[22:23], v[4:7], off
	s_waitcnt lgkmcnt(3)
	global_store_b128 v[26:27], v[0:3], off
	;; [unrolled: 2-line block ×5, first 2 shown]
	s_nop 0
	s_sendmsg sendmsg(MSG_DEALLOC_VGPRS)
	s_endpgm
	.section	.rodata,"a",@progbits
	.p2align	6, 0x0
	.amdhsa_kernel _Z39paged_attention_ll4mi_QKV_mfma16_kernelIDF16_hLN4vllm18Fp8KVCacheDataTypeE1EhLi32ELi64ELi256ELb1ELi12EL8MFMAType0EEvPKT_PKT0_S8_ifPKiSA_SA_iPKfiiiPfSD_PS3_PT2_iSC_SC_
		.amdhsa_group_segment_fixed_size 17472
		.amdhsa_private_segment_fixed_size 0
		.amdhsa_kernarg_size 400
		.amdhsa_user_sgpr_count 13
		.amdhsa_user_sgpr_dispatch_ptr 0
		.amdhsa_user_sgpr_queue_ptr 0
		.amdhsa_user_sgpr_kernarg_segment_ptr 1
		.amdhsa_user_sgpr_dispatch_id 0
		.amdhsa_user_sgpr_private_segment_size 0
		.amdhsa_wavefront_size32 1
		.amdhsa_uses_dynamic_stack 0
		.amdhsa_enable_private_segment 0
		.amdhsa_system_sgpr_workgroup_id_x 1
		.amdhsa_system_sgpr_workgroup_id_y 1
		.amdhsa_system_sgpr_workgroup_id_z 1
		.amdhsa_system_sgpr_workgroup_info 0
		.amdhsa_system_vgpr_workitem_id 0
		.amdhsa_next_free_vgpr 146
		.amdhsa_next_free_sgpr 38
		.amdhsa_reserve_vcc 1
		.amdhsa_float_round_mode_32 0
		.amdhsa_float_round_mode_16_64 0
		.amdhsa_float_denorm_mode_32 3
		.amdhsa_float_denorm_mode_16_64 3
		.amdhsa_dx10_clamp 1
		.amdhsa_ieee_mode 1
		.amdhsa_fp16_overflow 0
		.amdhsa_workgroup_processor_mode 1
		.amdhsa_memory_ordered 1
		.amdhsa_forward_progress 0
		.amdhsa_shared_vgpr_count 0
		.amdhsa_exception_fp_ieee_invalid_op 0
		.amdhsa_exception_fp_denorm_src 0
		.amdhsa_exception_fp_ieee_div_zero 0
		.amdhsa_exception_fp_ieee_overflow 0
		.amdhsa_exception_fp_ieee_underflow 0
		.amdhsa_exception_fp_ieee_inexact 0
		.amdhsa_exception_int_div_zero 0
	.end_amdhsa_kernel
	.section	.text._Z39paged_attention_ll4mi_QKV_mfma16_kernelIDF16_hLN4vllm18Fp8KVCacheDataTypeE1EhLi32ELi64ELi256ELb1ELi12EL8MFMAType0EEvPKT_PKT0_S8_ifPKiSA_SA_iPKfiiiPfSD_PS3_PT2_iSC_SC_,"axG",@progbits,_Z39paged_attention_ll4mi_QKV_mfma16_kernelIDF16_hLN4vllm18Fp8KVCacheDataTypeE1EhLi32ELi64ELi256ELb1ELi12EL8MFMAType0EEvPKT_PKT0_S8_ifPKiSA_SA_iPKfiiiPfSD_PS3_PT2_iSC_SC_,comdat
.Lfunc_end1161:
	.size	_Z39paged_attention_ll4mi_QKV_mfma16_kernelIDF16_hLN4vllm18Fp8KVCacheDataTypeE1EhLi32ELi64ELi256ELb1ELi12EL8MFMAType0EEvPKT_PKT0_S8_ifPKiSA_SA_iPKfiiiPfSD_PS3_PT2_iSC_SC_, .Lfunc_end1161-_Z39paged_attention_ll4mi_QKV_mfma16_kernelIDF16_hLN4vllm18Fp8KVCacheDataTypeE1EhLi32ELi64ELi256ELb1ELi12EL8MFMAType0EEvPKT_PKT0_S8_ifPKiSA_SA_iPKfiiiPfSD_PS3_PT2_iSC_SC_
                                        ; -- End function
	.section	.AMDGPU.csdata,"",@progbits
; Kernel info:
; codeLenInByte = 6596
; NumSgprs: 40
; NumVgprs: 146
; ScratchSize: 0
; MemoryBound: 0
; FloatMode: 240
; IeeeMode: 1
; LDSByteSize: 17472 bytes/workgroup (compile time only)
; SGPRBlocks: 4
; VGPRBlocks: 18
; NumSGPRsForWavesPerEU: 40
; NumVGPRsForWavesPerEU: 146
; Occupancy: 9
; WaveLimiterHint : 1
; COMPUTE_PGM_RSRC2:SCRATCH_EN: 0
; COMPUTE_PGM_RSRC2:USER_SGPR: 13
; COMPUTE_PGM_RSRC2:TRAP_HANDLER: 0
; COMPUTE_PGM_RSRC2:TGID_X_EN: 1
; COMPUTE_PGM_RSRC2:TGID_Y_EN: 1
; COMPUTE_PGM_RSRC2:TGID_Z_EN: 1
; COMPUTE_PGM_RSRC2:TIDIG_COMP_CNT: 0
	.section	.text._Z39paged_attention_ll4mi_QKV_mfma16_kernelIDF16_hLN4vllm18Fp8KVCacheDataTypeE1EhLi32ELi64ELi256ELb1ELi13EL8MFMAType0EEvPKT_PKT0_S8_ifPKiSA_SA_iPKfiiiPfSD_PS3_PT2_iSC_SC_,"axG",@progbits,_Z39paged_attention_ll4mi_QKV_mfma16_kernelIDF16_hLN4vllm18Fp8KVCacheDataTypeE1EhLi32ELi64ELi256ELb1ELi13EL8MFMAType0EEvPKT_PKT0_S8_ifPKiSA_SA_iPKfiiiPfSD_PS3_PT2_iSC_SC_,comdat
	.protected	_Z39paged_attention_ll4mi_QKV_mfma16_kernelIDF16_hLN4vllm18Fp8KVCacheDataTypeE1EhLi32ELi64ELi256ELb1ELi13EL8MFMAType0EEvPKT_PKT0_S8_ifPKiSA_SA_iPKfiiiPfSD_PS3_PT2_iSC_SC_ ; -- Begin function _Z39paged_attention_ll4mi_QKV_mfma16_kernelIDF16_hLN4vllm18Fp8KVCacheDataTypeE1EhLi32ELi64ELi256ELb1ELi13EL8MFMAType0EEvPKT_PKT0_S8_ifPKiSA_SA_iPKfiiiPfSD_PS3_PT2_iSC_SC_
	.globl	_Z39paged_attention_ll4mi_QKV_mfma16_kernelIDF16_hLN4vllm18Fp8KVCacheDataTypeE1EhLi32ELi64ELi256ELb1ELi13EL8MFMAType0EEvPKT_PKT0_S8_ifPKiSA_SA_iPKfiiiPfSD_PS3_PT2_iSC_SC_
	.p2align	8
	.type	_Z39paged_attention_ll4mi_QKV_mfma16_kernelIDF16_hLN4vllm18Fp8KVCacheDataTypeE1EhLi32ELi64ELi256ELb1ELi13EL8MFMAType0EEvPKT_PKT0_S8_ifPKiSA_SA_iPKfiiiPfSD_PS3_PT2_iSC_SC_,@function
_Z39paged_attention_ll4mi_QKV_mfma16_kernelIDF16_hLN4vllm18Fp8KVCacheDataTypeE1EhLi32ELi64ELi256ELb1ELi13EL8MFMAType0EEvPKT_PKT0_S8_ifPKiSA_SA_iPKfiiiPfSD_PS3_PT2_iSC_SC_: ; @_Z39paged_attention_ll4mi_QKV_mfma16_kernelIDF16_hLN4vllm18Fp8KVCacheDataTypeE1EhLi32ELi64ELi256ELb1ELi13EL8MFMAType0EEvPKT_PKT0_S8_ifPKiSA_SA_iPKfiiiPfSD_PS3_PT2_iSC_SC_
; %bb.0:
	s_load_b64 s[2:3], s[0:1], 0x30
	s_mov_b32 s34, s13
	s_waitcnt lgkmcnt(0)
	s_cmp_lg_u64 s[2:3], 0
	s_cselect_b32 s6, -1, 0
	s_ashr_i32 s35, s13, 31
	s_cmp_eq_u64 s[2:3], 0
	s_cbranch_scc1 .LBB1162_3
; %bb.1:
	s_lshl_b64 s[4:5], s[34:35], 2
	s_delay_alu instid0(SALU_CYCLE_1) | instskip(SKIP_4) | instid1(SALU_CYCLE_1)
	s_add_u32 s4, s2, s4
	s_addc_u32 s5, s3, s5
	s_load_b64 s[4:5], s[4:5], 0x0
	s_waitcnt lgkmcnt(0)
	s_sub_i32 s4, s5, s4
	s_cmp_eq_u32 s4, 1
	s_cselect_b32 s4, -1, 0
	s_delay_alu instid0(SALU_CYCLE_1)
	s_and_not1_b32 vcc_lo, exec_lo, s4
	s_cbranch_vccz .LBB1162_4
.LBB1162_2:
	s_nop 0
	s_sendmsg sendmsg(MSG_DEALLOC_VGPRS)
	s_endpgm
.LBB1162_3:
.LBB1162_4:
	s_load_b64 s[8:9], s[0:1], 0x28
	s_lshl_b64 s[4:5], s[34:35], 2
	s_waitcnt lgkmcnt(0)
	s_add_u32 s8, s8, s4
	s_addc_u32 s9, s9, s5
	s_lshl_b32 s16, s14, 8
	s_load_b32 s18, s[8:9], 0x0
	s_waitcnt lgkmcnt(0)
	s_cmp_ge_i32 s16, s18
	s_cbranch_scc1 .LBB1162_2
; %bb.5:
	s_clause 0x1
	s_load_b128 s[8:11], s[0:1], 0x8
	s_load_b64 s[12:13], s[0:1], 0x20
	s_and_not1_b32 vcc_lo, exec_lo, s6
	s_cbranch_vccnz .LBB1162_7
; %bb.6:
	s_add_u32 s2, s2, s4
	s_addc_u32 s3, s3, s5
	s_load_b32 s3, s[2:3], 0x0
	s_branch .LBB1162_8
.LBB1162_7:
	s_mov_b32 s3, s34
.LBB1162_8:
	s_load_b128 s[4:7], s[0:1], 0x48
	v_lshrrev_b32_e32 v69, 5, v0
	v_bfe_u32 v66, v0, 4, 1
	v_and_b32_e32 v68, 15, v0
	v_and_b32_e32 v70, 31, v0
	;; [unrolled: 1-line block ×3, first 2 shown]
	s_mul_i32 s33, s15, 13
	v_lshl_or_b32 v1, v69, 1, v66
	v_lshlrev_b32_e32 v2, 3, v68
	v_cmp_gt_u32_e64 s2, 8, v68
	s_delay_alu instid0(VALU_DEP_3) | instskip(NEXT) | instid1(VALU_DEP_3)
	v_cmp_gt_u32_e32 vcc_lo, 13, v1
	v_lshlrev_b32_e32 v65, 1, v2
	s_delay_alu instid0(VALU_DEP_3)
	s_and_b32 s17, s2, vcc_lo
	s_waitcnt lgkmcnt(0)
	s_and_saveexec_b32 s7, s17
	s_cbranch_execz .LBB1162_10
; %bb.9:
	s_load_b64 s[20:21], s[0:1], 0x0
	v_add_lshl_u32 v2, v1, s33, 6
	s_mul_hi_i32 s23, s3, s4
	s_mul_i32 s22, s3, s4
	v_lshlrev_b32_e32 v6, 10, v68
	s_lshl_b64 s[22:23], s[22:23], 1
	v_ashrrev_i32_e32 v3, 31, v2
	v_lshlrev_b32_e32 v1, 6, v1
	v_lshlrev_b32_e32 v7, 10, v67
	v_and_b32_e32 v6, 0x3800, v6
	s_delay_alu instid0(VALU_DEP_4) | instskip(NEXT) | instid1(VALU_DEP_2)
	v_lshlrev_b64 v[2:3], 1, v[2:3]
	v_or3_b32 v1, v6, v7, v1
	s_waitcnt lgkmcnt(0)
	s_add_u32 s3, s20, s22
	s_addc_u32 s4, s21, s23
	s_delay_alu instid0(VALU_DEP_2) | instskip(SKIP_1) | instid1(VALU_DEP_2)
	v_add_co_u32 v2, vcc_lo, s3, v2
	v_add_co_ci_u32_e32 v3, vcc_lo, s4, v3, vcc_lo
	v_add_co_u32 v2, vcc_lo, v2, v65
	s_delay_alu instid0(VALU_DEP_2)
	v_add_co_ci_u32_e32 v3, vcc_lo, 0, v3, vcc_lo
	global_load_b128 v[2:5], v[2:3], off
	s_waitcnt vmcnt(0)
	ds_store_b128 v1, v[2:5]
.LBB1162_10:
	s_or_b32 exec_lo, exec_lo, s7
	v_and_b32_e32 v1, 0xef, v0
	s_add_i32 s3, s18, 31
	s_clause 0x1
	s_load_b32 s4, s[0:1], 0x38
	s_load_b32 s35, s[0:1], 0x98
	s_ashr_i32 s7, s3, 31
	v_add_nc_u32_e32 v1, s16, v1
	s_lshr_b32 s7, s7, 27
	s_load_b32 s19, s[0:1], 0x1c
	v_add_nc_u32_e32 v103, -13, v68
	s_add_i32 s3, s3, s7
	v_ashrrev_i32_e32 v2, 31, v1
	v_or_b32_e32 v3, 16, v1
	s_ashr_i32 s3, s3, 5
	v_cmp_gt_i32_e32 vcc_lo, s18, v1
	s_add_i32 s3, s3, -1
	v_lshrrev_b32_e32 v2, 27, v2
	s_waitcnt lgkmcnt(0)
	s_barrier
	buffer_gl0_inv
	s_mul_i32 s15, s15, s6
	v_add_nc_u32_e32 v4, v1, v2
	v_mbcnt_lo_u32_b32 v127, -1, 0
	s_mul_i32 s20, s34, s4
	s_delay_alu instid0(SALU_CYCLE_1) | instskip(NEXT) | instid1(VALU_DEP_2)
	s_ashr_i32 s21, s20, 31
	v_ashrrev_i32_e32 v4, 5, v4
	v_add_nc_u32_e32 v2, v3, v2
	s_lshl_b64 s[20:21], s[20:21], 2
	v_xor_b32_e32 v128, 16, v127
	s_add_u32 s17, s12, s20
	v_cndmask_b32_e32 v1, s3, v4, vcc_lo
	v_ashrrev_i32_e32 v2, 5, v2
	v_cmp_gt_i32_e32 vcc_lo, s18, v3
	s_addc_u32 s13, s13, s21
	s_ashr_i32 s20, s15, 31
	s_add_u32 s22, s8, s15
	s_addc_u32 s23, s9, s20
	v_cndmask_b32_e32 v3, s3, v2, vcc_lo
	v_ashrrev_i32_e32 v2, 31, v1
	s_lshl_b32 s6, s14, 3
	s_delay_alu instid0(SALU_CYCLE_1) | instskip(NEXT) | instid1(VALU_DEP_2)
	s_ashr_i32 s7, s6, 31
	v_ashrrev_i32_e32 v4, 31, v3
	s_delay_alu instid0(VALU_DEP_2) | instskip(SKIP_1) | instid1(SALU_CYCLE_1)
	v_lshlrev_b64 v[1:2], 2, v[1:2]
	s_lshl_b64 s[6:7], s[6:7], 2
	s_add_u32 s6, s17, s6
	s_delay_alu instid0(VALU_DEP_2) | instskip(SKIP_1) | instid1(VALU_DEP_2)
	v_lshlrev_b64 v[3:4], 2, v[3:4]
	s_addc_u32 s7, s13, s7
	v_add_co_u32 v1, vcc_lo, s17, v1
	v_add_co_ci_u32_e32 v2, vcc_lo, s13, v2, vcc_lo
	s_delay_alu instid0(VALU_DEP_3) | instskip(NEXT) | instid1(VALU_DEP_4)
	v_add_co_u32 v3, vcc_lo, s17, v3
	v_add_co_ci_u32_e32 v4, vcc_lo, s13, v4, vcc_lo
	s_clause 0x1
	global_load_b32 v5, v[1:2], off
	global_load_b32 v6, v[3:4], off
	s_or_b32 s4, s16, 32
	s_delay_alu instid0(SALU_CYCLE_1) | instskip(SKIP_2) | instid1(SALU_CYCLE_1)
	s_ashr_i32 s8, s4, 5
	s_cmp_lt_i32 s4, s18
	s_cselect_b32 s8, s8, s3
	s_ashr_i32 s9, s8, 31
	s_delay_alu instid0(SALU_CYCLE_1) | instskip(NEXT) | instid1(SALU_CYCLE_1)
	s_lshl_b64 s[8:9], s[8:9], 2
	s_add_u32 s8, s17, s8
	s_addc_u32 s9, s13, s9
	s_or_b32 s4, s16, 64
	s_delay_alu instid0(SALU_CYCLE_1) | instskip(SKIP_2) | instid1(SALU_CYCLE_1)
	s_ashr_i32 s12, s4, 5
	s_cmp_lt_i32 s4, s18
	s_cselect_b32 s24, s12, s3
	s_ashr_i32 s25, s24, 31
	s_delay_alu instid0(SALU_CYCLE_1) | instskip(NEXT) | instid1(SALU_CYCLE_1)
	s_lshl_b64 s[24:25], s[24:25], 2
	s_add_u32 s24, s17, s24
	s_addc_u32 s25, s13, s25
	;; [unrolled: 10-line block ×5, first 2 shown]
	s_clause 0x5
	s_load_b32 s12, s[6:7], 0x0
	s_load_b32 s4, s[8:9], 0x0
	;; [unrolled: 1-line block ×6, first 2 shown]
	s_or_b32 s21, s16, 0xc0
	s_waitcnt vmcnt(1)
	v_mad_i64_i32 v[1:2], null, v5, s5, s[22:23]
	v_lshlrev_b32_e32 v5, 4, v68
	s_waitcnt vmcnt(0)
	v_mad_i64_i32 v[3:4], null, v6, s5, s[22:23]
	s_ashr_i32 s22, s21, 5
	s_cmp_lt_i32 s21, s18
	s_delay_alu instid0(VALU_DEP_3) | instskip(NEXT) | instid1(VALU_DEP_4)
	v_add_co_u32 v1, vcc_lo, v1, v5
	v_add_co_ci_u32_e32 v2, vcc_lo, 0, v2, vcc_lo
	s_delay_alu instid0(VALU_DEP_3) | instskip(NEXT) | instid1(VALU_DEP_4)
	v_add_co_u32 v3, vcc_lo, v3, v5
	v_add_co_ci_u32_e32 v4, vcc_lo, 0, v4, vcc_lo
	s_clause 0x7
	global_load_b128 v[71:74], v[1:2], off
	global_load_b128 v[75:78], v[1:2], off offset:512
	global_load_b128 v[79:82], v[3:4], off offset:256
	;; [unrolled: 1-line block ×7, first 2 shown]
	s_cselect_b32 s22, s22, s3
	v_lshlrev_b32_e32 v1, 5, v68
	s_ashr_i32 s23, s22, 31
	v_cmp_gt_u32_e32 vcc_lo, 13, v68
	s_lshl_b64 s[22:23], s[22:23], 2
	s_delay_alu instid0(SALU_CYCLE_1)
	s_add_u32 s22, s17, s22
	s_addc_u32 s23, s13, s23
	s_or_b32 s21, s16, 0xe0
	v_lshl_or_b32 v1, v69, 9, v1
	s_ashr_i32 s24, s21, 5
	s_cmp_lt_i32 s21, s18
	v_cndmask_b32_e32 v103, v103, v68, vcc_lo
	s_cselect_b32 s24, s24, s3
	s_load_b32 s3, s[22:23], 0x0
	s_ashr_i32 s25, s24, 31
	v_cmp_gt_i32_e32 vcc_lo, 32, v128
	s_lshl_b64 s[24:25], s[24:25], 2
	v_lshlrev_b32_e32 v115, 6, v103
	s_add_u32 s22, s17, s24
	s_addc_u32 s23, s13, s25
	v_cndmask_b32_e32 v136, v127, v128, vcc_lo
	s_add_u32 s10, s10, s15
	s_addc_u32 s11, s11, s20
	v_add_co_u32 v1, s10, s10, v1
	s_delay_alu instid0(VALU_DEP_1) | instskip(SKIP_2) | instid1(VALU_DEP_1)
	v_add_co_ci_u32_e64 v2, null, s11, 0, s10
	s_load_b32 s10, s[22:23], 0x0
	s_waitcnt lgkmcnt(0)
	v_mad_i64_i32 v[3:4], null, s12, s5, v[1:2]
	v_mad_i64_i32 v[9:10], null, s7, s5, v[1:2]
	;; [unrolled: 1-line block ×7, first 2 shown]
	s_clause 0x5
	global_load_b128 v[49:52], v[3:4], off
	global_load_b128 v[53:56], v[3:4], off offset:16
	global_load_b128 v[41:44], v[5:6], off
	global_load_b128 v[45:48], v[5:6], off offset:16
	;; [unrolled: 2-line block ×3, first 2 shown]
	s_mov_b32 s4, 0
	v_mad_i64_i32 v[61:62], null, s10, s5, v[1:2]
	s_clause 0x9
	global_load_b128 v[1:4], v[9:10], off
	global_load_b128 v[5:8], v[9:10], off offset:16
	global_load_b128 v[9:12], v[13:14], off
	global_load_b128 v[13:16], v[13:14], off offset:16
	;; [unrolled: 2-line block ×5, first 2 shown]
	s_mov_b32 s5, s4
	s_mov_b32 s6, s4
	s_mov_b32 s7, s4
	s_mov_b32 s8, s4
	s_mov_b32 s9, s4
	s_mov_b32 s10, s4
	s_mov_b32 s11, s4
	v_and_b32_e32 v104, 0xe0, v0
	v_dual_mov_b32 v126, s11 :: v_dual_mov_b32 v125, s10
	v_dual_mov_b32 v124, s9 :: v_dual_mov_b32 v123, s8
	s_delay_alu instid0(VALU_DEP_3)
	v_add_nc_u32_e32 v111, s16, v104
	ds_load_b128 v[103:106], v115
	ds_load_b128 v[107:110], v115 offset:1024
	v_dual_mov_b32 v122, s7 :: v_dual_mov_b32 v121, s6
	v_mov_b32_e32 v120, s5
	v_or_b32_e32 v135, v111, v66
	ds_load_b128 v[111:114], v115 offset:2048
	ds_load_b128 v[115:118], v115 offset:3072
	v_mov_b32_e32 v119, s4
	s_waitcnt vmcnt(0) lgkmcnt(0)
	s_barrier
	v_or_b32_e32 v137, 2, v135
	v_or_b32_e32 v138, 4, v135
	;; [unrolled: 1-line block ×3, first 2 shown]
	v_cmp_gt_i32_e32 vcc_lo, s18, v135
	v_or_b32_e32 v140, 8, v135
	v_cmp_gt_i32_e64 s3, s18, v137
	v_or_b32_e32 v141, 10, v135
	v_cmp_gt_i32_e64 s4, s18, v138
	v_cmp_gt_i32_e64 s5, s18, v139
	v_or_b32_e32 v142, 12, v135
	v_or_b32_e32 v143, 14, v135
	v_cmp_gt_i32_e64 s6, s18, v140
	v_cmp_gt_i32_e64 s7, s18, v141
	v_or_b32_e32 v144, 16, v135
	v_or_b32_e32 v145, 18, v135
	v_cmp_gt_i32_e64 s8, s18, v142
	v_cmp_gt_i32_e64 s9, s18, v143
	buffer_gl0_inv
	v_cmp_gt_i32_e64 s10, s18, v144
	v_cmp_gt_i32_e64 s11, s18, v145
	v_wmma_f32_16x16x16_f16 v[127:134], v[71:78], v[103:110], v[119:126]
	v_wmma_f32_16x16x16_f16 v[119:126], v[79:86], v[103:110], v[119:126]
	v_or_b32_e32 v71, 20, v135
	v_or_b32_e32 v72, 22, v135
	s_delay_alu instid0(VALU_DEP_4)
	v_wmma_f32_16x16x16_f16 v[127:134], v[87:94], v[111:118], v[127:134]
	v_or_b32_e32 v73, 24, v135
	v_wmma_f32_16x16x16_f16 v[119:126], v[95:102], v[111:118], v[119:126]
	v_or_b32_e32 v74, 26, v135
	v_cmp_gt_i32_e64 s12, s18, v71
	v_dual_mul_f32 v83, s19, v128 :: v_dual_mul_f32 v84, s19, v127
	s_delay_alu instid0(VALU_DEP_4) | instskip(SKIP_1) | instid1(VALU_DEP_3)
	v_dual_mul_f32 v81, s19, v130 :: v_dual_mul_f32 v92, s19, v119
	v_mul_f32_e32 v82, s19, v129
	v_cndmask_b32_e64 v83, 0xff7fffff, v83, s3
	s_delay_alu instid0(VALU_DEP_4)
	v_cndmask_b32_e32 v84, 0xff7fffff, v84, vcc_lo
	v_dual_mul_f32 v79, s19, v132 :: v_dual_mul_f32 v90, s19, v121
	v_mul_f32_e32 v80, s19, v131
	v_cndmask_b32_e64 v82, 0xff7fffff, v82, s4
	v_cndmask_b32_e64 v81, 0xff7fffff, v81, s5
	v_max3_f32 v83, v84, 0xff7fffff, v83
	v_dual_mul_f32 v77, s19, v134 :: v_dual_mul_f32 v88, s19, v123
	v_mul_f32_e32 v78, s19, v133
	v_cndmask_b32_e64 v80, 0xff7fffff, v80, s6
	v_cndmask_b32_e64 v79, 0xff7fffff, v79, s7
	v_max3_f32 v81, v83, v82, v81
	v_mul_f32_e32 v91, s19, v120
	v_cndmask_b32_e64 v78, 0xff7fffff, v78, s8
	v_cndmask_b32_e64 v77, 0xff7fffff, v77, s9
	v_mul_f32_e32 v89, s19, v122
	v_max3_f32 v79, v81, v80, v79
	v_cndmask_b32_e64 v80, 0xff7fffff, v92, s10
	v_cndmask_b32_e64 v81, 0xff7fffff, v91, s11
	v_cmp_gt_i32_e64 s13, s18, v72
	v_or_b32_e32 v75, 28, v135
	v_max3_f32 v77, v79, v78, v77
	v_or_b32_e32 v76, 30, v135
	v_mul_f32_e32 v87, s19, v124
	v_cndmask_b32_e64 v71, 0xff7fffff, v90, s12
	v_cndmask_b32_e64 v72, 0xff7fffff, v89, s13
	v_max3_f32 v77, v77, v80, v81
	v_cmp_gt_i32_e64 s15, s18, v73
	v_cmp_gt_i32_e64 s16, s18, v74
	v_dual_mul_f32 v85, s19, v126 :: v_dual_mul_f32 v86, s19, v125
	s_delay_alu instid0(VALU_DEP_4) | instskip(NEXT) | instid1(VALU_DEP_4)
	v_max3_f32 v71, v77, v71, v72
	v_cndmask_b32_e64 v73, 0xff7fffff, v88, s15
	s_delay_alu instid0(VALU_DEP_4) | instskip(SKIP_2) | instid1(VALU_DEP_3)
	v_cndmask_b32_e64 v74, 0xff7fffff, v87, s16
	v_cmp_gt_i32_e64 s17, s18, v75
	v_cmp_gt_i32_e64 s18, s18, v76
	v_max3_f32 v71, v71, v73, v74
	s_delay_alu instid0(VALU_DEP_3) | instskip(NEXT) | instid1(VALU_DEP_3)
	v_cndmask_b32_e64 v72, 0xff7fffff, v86, s17
	v_cndmask_b32_e64 v75, 0xff7fffff, v85, s18
	v_lshlrev_b32_e32 v73, 2, v136
	s_delay_alu instid0(VALU_DEP_2) | instskip(SKIP_3) | instid1(VALU_DEP_1)
	v_max3_f32 v71, v71, v72, v75
	ds_bpermute_b32 v72, v73, v71
	s_waitcnt lgkmcnt(0)
	v_max_f32_e32 v72, v72, v72
	v_max_f32_e32 v71, v71, v72
	s_delay_alu instid0(VALU_DEP_1)
	v_fma_f32 v72, s19, v127, -v71
	v_fma_f32 v74, s19, v128, -v71
	;; [unrolled: 1-line block ×5, first 2 shown]
	v_mul_f32_e32 v72, 0x3fb8aa3b, v72
	v_mul_f32_e32 v74, 0x3fb8aa3b, v74
	v_fma_f32 v80, s19, v133, -v71
	s_delay_alu instid0(VALU_DEP_4) | instskip(NEXT) | instid1(VALU_DEP_4)
	v_dual_mul_f32 v76, 0x3fb8aa3b, v76 :: v_dual_mul_f32 v77, 0x3fb8aa3b, v77
	v_exp_f32_e32 v72, v72
	s_delay_alu instid0(VALU_DEP_3) | instskip(NEXT) | instid1(VALU_DEP_2)
	v_exp_f32_e32 v74, v74
	v_mul_f32_e32 v82, 0x3fb8aa3b, v80
	s_delay_alu instid0(VALU_DEP_2) | instskip(SKIP_1) | instid1(VALU_DEP_1)
	v_exp_f32_e32 v76, v76
	v_exp_f32_e32 v77, v77
	;; [unrolled: 1-line block ×3, first 2 shown]
	v_cndmask_b32_e32 v79, 0, v72, vcc_lo
	v_fma_f32 v72, s19, v132, -v71
	v_mul_f32_e32 v75, 0x3fb8aa3b, v75
	v_cndmask_b32_e64 v78, 0, v74, s3
	s_delay_alu instid0(TRANS32_DEP_3)
	v_cndmask_b32_e64 v80, 0, v76, s5
	v_add_f32_e32 v74, 0, v79
	v_mul_f32_e32 v72, 0x3fb8aa3b, v72
	v_exp_f32_e32 v75, v75
	v_cndmask_b32_e64 v83, 0, v77, s6
	v_cndmask_b32_e64 v85, 0, v84, s8
	v_add_f32_e32 v74, v74, v78
	v_exp_f32_e32 v72, v72
	v_cmp_gt_u32_e64 s3, 16, v70
	s_waitcnt_depctr 0xfff
	v_cndmask_b32_e64 v81, 0, v75, s4
	v_cndmask_b32_e64 v82, 0, v72, s7
	s_delay_alu instid0(VALU_DEP_2) | instskip(NEXT) | instid1(VALU_DEP_1)
	v_add_f32_e32 v74, v74, v81
	v_add_f32_e32 v74, v74, v80
	s_delay_alu instid0(VALU_DEP_1) | instskip(SKIP_4) | instid1(VALU_DEP_4)
	v_add_f32_e32 v72, v74, v83
	v_fma_f32 v75, s19, v134, -v71
	v_fma_f32 v76, s19, v119, -v71
	;; [unrolled: 1-line block ×4, first 2 shown]
	v_dual_add_f32 v72, v72, v82 :: v_dual_mul_f32 v75, 0x3fb8aa3b, v75
	s_delay_alu instid0(VALU_DEP_3) | instskip(SKIP_1) | instid1(VALU_DEP_3)
	v_dual_mul_f32 v76, 0x3fb8aa3b, v76 :: v_dual_mul_f32 v77, 0x3fb8aa3b, v77
	v_fma_f32 v86, s19, v122, -v71
	v_add_f32_e32 v72, v72, v85
	s_delay_alu instid0(VALU_DEP_4) | instskip(NEXT) | instid1(VALU_DEP_3)
	v_exp_f32_e32 v75, v75
	v_exp_f32_e32 v76, v76
	;; [unrolled: 1-line block ×3, first 2 shown]
	v_mul_f32_e32 v86, 0x3fb8aa3b, v86
	s_delay_alu instid0(VALU_DEP_1) | instskip(SKIP_3) | instid1(TRANS32_DEP_3)
	v_exp_f32_e32 v88, v86
	v_cndmask_b32_e64 v84, 0, v75, s9
	v_fma_f32 v75, s19, v123, -v71
	v_mul_f32_e32 v74, 0x3fb8aa3b, v74
	v_cndmask_b32_e64 v87, 0, v76, s10
	v_fma_f32 v76, s19, v124, -v71
	s_delay_alu instid0(VALU_DEP_4) | instskip(NEXT) | instid1(VALU_DEP_4)
	v_dual_add_f32 v72, v72, v84 :: v_dual_mul_f32 v75, 0x3fb8aa3b, v75
	v_exp_f32_e32 v74, v74
	v_cndmask_b32_e64 v86, 0, v77, s11
	v_fma_f32 v77, s19, v125, -v71
	s_delay_alu instid0(VALU_DEP_3) | instskip(SKIP_3) | instid1(VALU_DEP_3)
	v_add_f32_e32 v72, v72, v87
	v_mul_f32_e32 v76, 0x3fb8aa3b, v76
	v_exp_f32_e32 v75, v75
	v_cndmask_b32_e64 v88, 0, v88, s13
	v_add_f32_e32 v72, v72, v86
	s_delay_alu instid0(VALU_DEP_3) | instskip(NEXT) | instid1(TRANS32_DEP_3)
	v_exp_f32_e32 v76, v76
	v_cndmask_b32_e64 v89, 0, v74, s12
	v_mul_f32_e32 v74, 0x3fb8aa3b, v77
	v_fma_f32 v77, s19, v126, -v71
	s_delay_alu instid0(VALU_DEP_3) | instskip(NEXT) | instid1(VALU_DEP_3)
	v_add_f32_e32 v72, v72, v89
	v_exp_f32_e32 v74, v74
	s_delay_alu instid0(TRANS32_DEP_3) | instskip(NEXT) | instid1(VALU_DEP_3)
	v_cndmask_b32_e64 v91, 0, v75, s15
	v_mul_f32_e32 v75, 0x3fb8aa3b, v77
	s_delay_alu instid0(TRANS32_DEP_2) | instskip(SKIP_1) | instid1(VALU_DEP_3)
	v_cndmask_b32_e64 v90, 0, v76, s16
	v_add_f32_e32 v72, v72, v88
	v_exp_f32_e32 v75, v75
	s_delay_alu instid0(VALU_DEP_1) | instskip(NEXT) | instid1(TRANS32_DEP_2)
	v_add_f32_e32 v72, v72, v91
	v_cndmask_b32_e64 v93, 0, v74, s17
	s_delay_alu instid0(VALU_DEP_2) | instskip(SKIP_3) | instid1(VALU_DEP_1)
	v_add_f32_e32 v72, v72, v90
	s_waitcnt_depctr 0xfff
	v_cndmask_b32_e64 v92, 0, v75, s18
	v_add_f32_e32 v72, v72, v93
	v_add_f32_e32 v72, v72, v92
	ds_bpermute_b32 v73, v73, v72
	s_and_saveexec_b32 s4, s3
	s_cbranch_execz .LBB1162_12
; %bb.11:
	v_mul_u32_u24_e32 v70, 0x44, v69
	s_waitcnt lgkmcnt(0)
	v_add_f32_e32 v72, v72, v73
	s_delay_alu instid0(VALU_DEP_2) | instskip(NEXT) | instid1(VALU_DEP_1)
	v_lshl_add_u32 v70, v68, 2, v70
	v_add_nc_u32_e32 v70, 0x4000, v70
	ds_store_2addr_b32 v70, v71, v72 offset1:136
.LBB1162_12:
	s_or_b32 exec_lo, exec_lo, s4
	v_lshlrev_b32_e32 v70, 2, v68
	s_load_b32 s36, s[0:1], 0x94
	s_waitcnt lgkmcnt(0)
	s_barrier
	buffer_gl0_inv
	v_add_nc_u32_e32 v98, 0x4000, v70
	v_cmp_eq_u32_e32 vcc_lo, 1, v69
	v_cmp_eq_u32_e64 s4, 2, v69
	v_cmp_eq_u32_e64 s5, 3, v69
	;; [unrolled: 1-line block ×3, first 2 shown]
	ds_load_2addr_b32 v[70:71], v98 offset1:17
	ds_load_2addr_b32 v[72:73], v98 offset0:34 offset1:51
	ds_load_2addr_b32 v[74:75], v98 offset0:68 offset1:85
	;; [unrolled: 1-line block ×3, first 2 shown]
	v_cmp_eq_u32_e64 s7, 5, v69
	v_cmp_eq_u32_e64 s8, 7, v69
	s_waitcnt lgkmcnt(3)
	v_max3_f32 v76, v70, 0xff7fffff, v71
	s_waitcnt lgkmcnt(2)
	s_delay_alu instid0(VALU_DEP_1) | instskip(SKIP_1) | instid1(VALU_DEP_1)
	v_max3_f32 v76, v76, v72, v73
	s_waitcnt lgkmcnt(1)
	v_max3_f32 v76, v76, v74, v75
	s_waitcnt lgkmcnt(0)
	s_delay_alu instid0(VALU_DEP_1) | instskip(NEXT) | instid1(VALU_DEP_1)
	v_max3_f32 v76, v76, v94, v95
	v_sub_f32_e32 v77, v71, v76
	ds_load_2addr_b32 v[96:97], v98 offset0:136 offset1:153
	v_sub_f32_e32 v74, v74, v76
	v_sub_f32_e32 v70, v70, v76
	;; [unrolled: 1-line block ×3, first 2 shown]
	v_dual_sub_f32 v72, v72, v76 :: v_dual_mul_f32 v77, 0x3fb8aa3b, v77
	s_delay_alu instid0(VALU_DEP_4) | instskip(NEXT) | instid1(VALU_DEP_4)
	v_mul_f32_e32 v103, 0x3fb8aa3b, v74
	v_mul_f32_e32 v99, 0x3fb8aa3b, v70
	ds_load_2addr_b32 v[70:71], v98 offset0:170 offset1:187
	v_dual_mul_f32 v101, 0x3fb8aa3b, v72 :: v_dual_mul_f32 v94, 0x3fb8aa3b, v94
	v_exp_f32_e32 v102, v77
	v_exp_f32_e32 v99, v99
	s_delay_alu instid0(VALU_DEP_1) | instskip(NEXT) | instid1(VALU_DEP_1)
	v_exp_f32_e32 v101, v101
	v_exp_f32_e32 v94, v94
	s_waitcnt lgkmcnt(1)
	s_delay_alu instid0(TRANS32_DEP_3)
	v_fma_f32 v77, v99, v96, 0
	v_sub_f32_e32 v100, v73, v76
	ds_load_2addr_b32 v[72:73], v98 offset0:204 offset1:221
	v_fmac_f32_e32 v77, v102, v97
	v_exp_f32_e32 v97, v103
	s_waitcnt lgkmcnt(1)
	s_delay_alu instid0(VALU_DEP_1)
	v_dual_fmac_f32 v77, v101, v70 :: v_dual_sub_f32 v96, v75, v76
	ds_load_2addr_b32 v[74:75], v98 offset0:238 offset1:255
	v_sub_f32_e32 v70, v95, v76
	s_waitcnt lgkmcnt(0)
	s_barrier
	v_mul_f32_e32 v96, 0x3fb8aa3b, v96
	buffer_gl0_inv
	v_exp_f32_e32 v95, v96
	v_mul_f32_e32 v100, 0x3fb8aa3b, v100
	s_delay_alu instid0(VALU_DEP_1) | instskip(SKIP_3) | instid1(VALU_DEP_2)
	v_exp_f32_e32 v100, v100
	s_waitcnt_depctr 0xfff
	v_dual_fmac_f32 v77, v100, v71 :: v_dual_mul_f32 v70, 0x3fb8aa3b, v70
	v_cndmask_b32_e32 v71, v99, v102, vcc_lo
	v_fmac_f32_e32 v77, v97, v72
	s_delay_alu instid0(VALU_DEP_3) | instskip(NEXT) | instid1(VALU_DEP_1)
	v_exp_f32_e32 v96, v70
	v_fmac_f32_e32 v77, v95, v73
	s_delay_alu instid0(VALU_DEP_1) | instskip(SKIP_2) | instid1(VALU_DEP_1)
	v_fmac_f32_e32 v77, v94, v74
	s_waitcnt_depctr 0xfff
	v_fmac_f32_e32 v77, v96, v75
	v_add_f32_e32 v74, 0x358637bd, v77
	s_delay_alu instid0(VALU_DEP_1) | instskip(SKIP_1) | instid1(VALU_DEP_2)
	v_div_scale_f32 v98, null, v74, v74, 1.0
	v_div_scale_f32 v99, vcc_lo, 1.0, v74, 1.0
	v_rcp_f32_e32 v103, v98
	s_waitcnt_depctr 0xfff
	v_fma_f32 v70, -v98, v103, 1.0
	s_delay_alu instid0(VALU_DEP_1) | instskip(SKIP_2) | instid1(VALU_DEP_2)
	v_fmac_f32_e32 v103, v70, v103
	v_cndmask_b32_e64 v70, v71, v101, s4
	v_cmp_eq_u32_e64 s4, 6, v69
	v_cndmask_b32_e64 v71, v70, v100, s5
	s_delay_alu instid0(VALU_DEP_4) | instskip(NEXT) | instid1(VALU_DEP_2)
	v_dual_mul_f32 v101, v99, v103 :: v_dual_lshlrev_b32 v70, 2, v66
	v_cndmask_b32_e64 v71, v71, v97, s6
	s_delay_alu instid0(VALU_DEP_2) | instskip(NEXT) | instid1(VALU_DEP_3)
	v_or_b32_e32 v72, 1, v70
	v_fma_f32 v100, -v98, v101, v99
	v_cmp_eq_u32_e64 s5, 1, v70
	v_cmp_eq_u32_e64 s6, 2, v70
	v_cndmask_b32_e64 v95, v71, v95, s7
	v_or_b32_e32 v71, 3, v70
	v_fmac_f32_e32 v101, v100, v103
	v_cmp_eq_u32_e64 s10, 1, v72
	v_cmp_eq_u32_e64 s13, 2, v72
	v_cndmask_b32_e64 v94, v95, v94, s4
	v_cmp_eq_u32_e64 s12, 1, v71
	v_fma_f32 v97, -v98, v101, v99
	v_cmp_eq_u32_e64 s17, 2, v71
	v_cmp_eq_u32_e64 s15, 3, v72
	v_cndmask_b32_e64 v94, v94, v96, s8
	v_cmp_eq_u32_e64 s19, 3, v71
	v_div_fmas_f32 v95, v97, v103, v101
	v_cmp_eq_u32_e32 vcc_lo, 3, v70
	v_cmp_eq_u32_e64 s4, 4, v70
	v_cmp_eq_u32_e64 s20, 4, v72
	v_cmp_eq_u32_e64 s23, 4, v71
	v_div_fixup_f32 v95, v95, v74, 1.0
	v_lshlrev_b32_e32 v73, 6, v68
	v_cmp_eq_u32_e64 s7, 5, v70
	v_cmp_eq_u32_e64 s21, 5, v72
	;; [unrolled: 1-line block ×3, first 2 shown]
	v_mul_f32_e32 v102, v94, v95
	v_lshl_or_b32 v75, v69, 11, v73
	v_or_b32_e32 v69, 2, v70
	v_cmp_eq_u32_e64 s26, 6, v72
	v_cmp_eq_u32_e64 s28, 6, v71
	v_fma_mixlo_f16 v94, v102, v79, 0
	v_fma_mixlo_f16 v95, v102, v81, 0
	;; [unrolled: 1-line block ×8, first 2 shown]
	v_lshl_or_b32 v74, v66, 4, v75
	v_fma_mixhi_f16 v94, v102, v78, 0
	v_fma_mixhi_f16 v95, v102, v80, 0
	;; [unrolled: 1-line block ×8, first 2 shown]
	ds_store_b128 v74, v[94:97]
	ds_store_b128 v74, v[98:101] offset:1024
	s_waitcnt lgkmcnt(0)
	s_barrier
	buffer_gl0_inv
	ds_load_b128 v[78:81], v75
	ds_load_b128 v[82:85], v75 offset:16
	ds_load_b128 v[86:89], v75 offset:1024
	;; [unrolled: 1-line block ×3, first 2 shown]
	v_cmp_eq_u32_e64 s11, 1, v69
	v_cmp_eq_u32_e64 s16, 2, v69
	;; [unrolled: 1-line block ×11, first 2 shown]
	s_waitcnt lgkmcnt(3)
	v_lshrrev_b32_e32 v94, 16, v78
	s_waitcnt lgkmcnt(2)
	v_lshrrev_b32_e32 v98, 16, v82
	;; [unrolled: 2-line block ×4, first 2 shown]
	v_lshrrev_b32_e32 v95, 16, v79
	v_cndmask_b32_e64 v110, v78, v94, s5
	v_cndmask_b32_e64 v111, v82, v98, s5
	;; [unrolled: 1-line block ×8, first 2 shown]
	v_lshrrev_b32_e32 v99, 16, v83
	v_cndmask_b32_e64 v94, v86, v102, s5
	v_cndmask_b32_e64 v98, v90, v106, s5
	;; [unrolled: 1-line block ×15, first 2 shown]
	v_lshrrev_b32_e32 v103, 16, v87
	v_lshrrev_b32_e32 v107, 16, v91
	v_cndmask_b32_e64 v113, v115, v83, s16
	v_cndmask_b32_e64 v82, v94, v87, s6
	;; [unrolled: 1-line block ×7, first 2 shown]
	v_cndmask_b32_e32 v90, v102, v95, vcc_lo
	v_cndmask_b32_e32 v102, v106, v99, vcc_lo
	v_cndmask_b32_e64 v106, v110, v95, s15
	v_cndmask_b32_e64 v110, v111, v99, s15
	;; [unrolled: 1-line block ×4, first 2 shown]
	v_lshrrev_b32_e32 v96, 16, v80
	v_lshrrev_b32_e32 v100, 16, v84
	v_cndmask_b32_e64 v111, v112, v95, s18
	v_cndmask_b32_e64 v112, v113, v99, s18
	v_cndmask_b32_e32 v82, v82, v103, vcc_lo
	v_cndmask_b32_e32 v83, v83, v107, vcc_lo
	v_cndmask_b32_e64 v94, v94, v103, s15
	v_cndmask_b32_e64 v90, v90, v80, s4
	;; [unrolled: 1-line block ×7, first 2 shown]
	v_lshrrev_b32_e32 v104, 16, v88
	v_cndmask_b32_e64 v106, v111, v80, s22
	v_cndmask_b32_e64 v110, v112, v84, s22
	v_cndmask_b32_e64 v80, v82, v88, s4
	v_cndmask_b32_e64 v82, v83, v92, s4
	v_cndmask_b32_e64 v83, v94, v88, s20
	v_cndmask_b32_e64 v84, v90, v96, s7
	v_cndmask_b32_e64 v90, v95, v100, s7
	v_cndmask_b32_e64 v94, v99, v96, s21
	v_cndmask_b32_e64 v95, v102, v100, s21
	v_cndmask_b32_e64 v78, v78, v96, s25
	v_cndmask_b32_e64 v79, v79, v100, s25
	v_lshrrev_b32_e32 v97, 16, v81
	v_lshrrev_b32_e32 v101, 16, v85
	v_cndmask_b32_e64 v99, v106, v96, s24
	v_cndmask_b32_e64 v102, v110, v100, s24
	;; [unrolled: 1-line block ×7, first 2 shown]
	v_lshrrev_b32_e32 v105, 16, v89
	v_cndmask_b32_e64 v80, v80, v104, s7
	v_cndmask_b32_e64 v84, v84, v81, s8
	;; [unrolled: 1-line block ×16, first 2 shown]
	v_perm_b32 v81, v79, v78, 0x5040100
	v_perm_b32 v79, v95, v85, 0x5040100
	v_cndmask_b32_e64 v78, v119, v91, s16
	v_cndmask_b32_e64 v85, v117, v91, s13
	;; [unrolled: 1-line block ×3, first 2 shown]
	v_perm_b32 v80, v94, v90, 0x5040100
	v_cndmask_b32_e64 v90, v98, v103, s18
	v_cndmask_b32_e64 v86, v86, v103, s19
	;; [unrolled: 1-line block ×5, first 2 shown]
	v_lshrrev_b32_e32 v108, 16, v92
	v_cndmask_b32_e64 v90, v90, v88, s22
	v_cndmask_b32_e64 v86, v86, v88, s23
	;; [unrolled: 1-line block ×11, first 2 shown]
	v_lshrrev_b32_e32 v109, 16, v93
	v_cndmask_b32_e64 v82, v82, v93, s8
	v_cndmask_b32_e64 v88, v88, v89, s27
	;; [unrolled: 1-line block ×12, first 2 shown]
	v_perm_b32 v78, v84, v83, 0x5040100
	v_perm_b32 v85, v87, v86, 0x5040100
	;; [unrolled: 1-line block ×5, first 2 shown]
	s_mul_i32 s9, s35, 13
	s_mov_b32 s4, exec_lo
	ds_store_b128 v74, v[78:81]
	ds_store_b128 v74, v[82:85] offset:1024
	v_cmpx_gt_u32_e32 13, v0
	s_cbranch_execz .LBB1162_14
; %bb.13:
	s_mul_i32 s5, s9, s34
	s_load_b128 s[16:19], s[0:1], 0x58
	v_add3_u32 v68, s5, s33, v68
	s_delay_alu instid0(VALU_DEP_1) | instskip(NEXT) | instid1(VALU_DEP_1)
	v_mad_u64_u32 v[78:79], null, v68, s36, s[14:15]
	v_ashrrev_i32_e32 v79, 31, v78
	s_delay_alu instid0(VALU_DEP_1) | instskip(SKIP_1) | instid1(VALU_DEP_1)
	v_lshlrev_b64 v[78:79], 2, v[78:79]
	s_waitcnt lgkmcnt(0)
	v_add_co_u32 v80, vcc_lo, s18, v78
	s_delay_alu instid0(VALU_DEP_2)
	v_add_co_ci_u32_e32 v81, vcc_lo, s19, v79, vcc_lo
	v_add_co_u32 v78, vcc_lo, s16, v78
	v_add_co_ci_u32_e32 v79, vcc_lo, s17, v79, vcc_lo
	global_store_b32 v[80:81], v76, off
	global_store_b32 v[78:79], v77, off
.LBB1162_14:
	s_or_b32 exec_lo, exec_lo, s4
	s_waitcnt lgkmcnt(0)
	s_waitcnt_vscnt null, 0x0
	s_barrier
	buffer_gl0_inv
	ds_load_b128 v[84:87], v73
	ds_load_b128 v[88:91], v73 offset:16
	ds_load_b128 v[96:99], v73 offset:2064
	;; [unrolled: 1-line block ×5, first 2 shown]
	v_cmp_eq_u32_e32 vcc_lo, 1, v70
	v_mov_b32_e32 v76, 0
	ds_load_b128 v[112:115], v73 offset:6160
	ds_load_b128 v[108:111], v73 offset:6144
	;; [unrolled: 1-line block ×4, first 2 shown]
	v_cmp_eq_u32_e64 s5, 1, v69
	v_cmp_eq_u32_e64 s4, 1, v72
	;; [unrolled: 1-line block ×3, first 2 shown]
	v_mov_b32_e32 v77, v76
	v_mov_b32_e32 v78, v76
	;; [unrolled: 1-line block ×7, first 2 shown]
	v_cmp_eq_u32_e64 s7, 3, v72
	v_cmp_eq_u32_e64 s8, 7, v72
	s_waitcnt lgkmcnt(8)
	s_delay_alu instid0(VALU_DEP_3)
	v_wmma_f32_16x16x16_f16 v[76:83], v[49:56], v[84:91], v[76:83]
	ds_load_b128 v[53:56], v73 offset:10256
	ds_load_b128 v[49:52], v73 offset:10240
	s_waitcnt lgkmcnt(8)
	v_wmma_f32_16x16x16_f16 v[76:83], v[41:48], v[92:99], v[76:83]
	ds_load_b128 v[45:48], v73 offset:12304
	ds_load_b128 v[41:44], v73 offset:12288
	s_waitcnt lgkmcnt(8)
	;; [unrolled: 4-line block ×3, first 2 shown]
	s_barrier
	buffer_gl0_inv
	v_wmma_f32_16x16x16_f16 v[76:83], v[1:8], v[108:115], v[76:83]
	s_delay_alu instid0(VALU_DEP_1) | instskip(NEXT) | instid1(VALU_DEP_1)
	v_wmma_f32_16x16x16_f16 v[76:83], v[9:16], v[116:123], v[76:83]
	v_wmma_f32_16x16x16_f16 v[76:83], v[17:24], v[49:56], v[76:83]
	s_delay_alu instid0(VALU_DEP_1) | instskip(NEXT) | instid1(VALU_DEP_1)
	v_wmma_f32_16x16x16_f16 v[76:83], v[25:32], v[41:48], v[76:83]
	v_wmma_f32_16x16x16_f16 v[76:83], v[57:64], v[33:40], v[76:83]
	s_delay_alu instid0(VALU_DEP_1) | instskip(NEXT) | instid1(VALU_DEP_2)
	v_cvt_f16_f32_e32 v1, v76
	v_cvt_f16_f32_e32 v2, v77
	s_delay_alu instid0(VALU_DEP_3) | instskip(NEXT) | instid1(VALU_DEP_4)
	v_cvt_f16_f32_e32 v3, v78
	v_cvt_f16_f32_e32 v4, v79
	;; [unrolled: 1-line block ×6, first 2 shown]
	v_pack_b32_f16 v1, v1, v2
	v_pack_b32_f16 v2, v3, v4
	;; [unrolled: 1-line block ×3, first 2 shown]
	s_delay_alu instid0(VALU_DEP_4)
	v_pack_b32_f16 v4, v7, v8
	ds_store_b128 v74, v[1:4]
	s_waitcnt lgkmcnt(0)
	s_barrier
	buffer_gl0_inv
	ds_load_b128 v[1:4], v75
	ds_load_b128 v[5:8], v75 offset:16
	s_waitcnt lgkmcnt(1)
	v_lshrrev_b32_e32 v9, 16, v1
	s_waitcnt lgkmcnt(0)
	v_lshrrev_b32_e32 v13, 16, v5
	v_lshrrev_b32_e32 v10, 16, v2
	;; [unrolled: 1-line block ×4, first 2 shown]
	v_cndmask_b32_e32 v17, v1, v9, vcc_lo
	v_cndmask_b32_e32 v18, v5, v13, vcc_lo
	v_cndmask_b32_e64 v21, v1, v9, s5
	v_cmp_eq_u32_e32 vcc_lo, 1, v71
	v_cndmask_b32_e64 v22, v5, v13, s5
	v_cmp_eq_u32_e64 s5, 2, v70
	v_cndmask_b32_e64 v19, v1, v9, s4
	v_cndmask_b32_e64 v20, v5, v13, s4
	v_cndmask_b32_e32 v1, v1, v9, vcc_lo
	v_cmp_eq_u32_e64 s4, 2, v71
	v_cndmask_b32_e32 v5, v5, v13, vcc_lo
	v_cndmask_b32_e64 v9, v17, v2, s5
	v_cmp_eq_u32_e32 vcc_lo, 3, v70
	v_cndmask_b32_e64 v13, v18, v6, s5
	v_cmp_eq_u32_e64 s5, 2, v69
	v_cndmask_b32_e64 v17, v19, v2, s6
	v_cndmask_b32_e64 v18, v20, v6, s6
	v_cmp_eq_u32_e64 s6, 3, v69
	v_cndmask_b32_e64 v1, v1, v2, s4
	v_cndmask_b32_e64 v19, v21, v2, s5
	;; [unrolled: 1-line block ×4, first 2 shown]
	v_cndmask_b32_e32 v5, v9, v10, vcc_lo
	v_cndmask_b32_e32 v6, v13, v14, vcc_lo
	v_cmp_eq_u32_e32 vcc_lo, 3, v71
	v_cndmask_b32_e64 v9, v17, v10, s7
	v_cndmask_b32_e64 v13, v18, v14, s7
	;; [unrolled: 1-line block ×3, first 2 shown]
	v_cmp_eq_u32_e64 s5, 4, v70
	v_cndmask_b32_e32 v1, v1, v10, vcc_lo
	v_cndmask_b32_e32 v2, v2, v14, vcc_lo
	v_cmp_eq_u32_e32 vcc_lo, 4, v72
	v_lshrrev_b32_e32 v15, 16, v7
	v_lshrrev_b32_e32 v16, 16, v8
	v_cndmask_b32_e64 v17, v19, v10, s6
	v_cmp_eq_u32_e64 s4, 4, v71
	v_cndmask_b32_e64 v5, v5, v3, s5
	v_cndmask_b32_e64 v6, v6, v7, s5
	v_cndmask_b32_e32 v9, v9, v3, vcc_lo
	v_cmp_eq_u32_e64 s5, 5, v72
	v_cndmask_b32_e32 v10, v13, v7, vcc_lo
	v_cmp_eq_u32_e32 vcc_lo, 4, v69
	v_cmp_eq_u32_e64 s6, 5, v70
	v_cndmask_b32_e64 v2, v2, v7, s4
	v_cndmask_b32_e64 v9, v9, v11, s5
	;; [unrolled: 1-line block ×3, first 2 shown]
	v_cndmask_b32_e32 v13, v17, v3, vcc_lo
	v_cmp_eq_u32_e64 s5, 5, v69
	v_cndmask_b32_e32 v14, v18, v7, vcc_lo
	v_cndmask_b32_e64 v1, v1, v3, s4
	v_cmp_eq_u32_e32 vcc_lo, 5, v71
	v_lshrrev_b32_e32 v12, 16, v4
	v_cndmask_b32_e64 v13, v13, v11, s5
	v_cndmask_b32_e64 v3, v14, v15, s5
	v_cmp_eq_u32_e64 s5, 6, v71
	v_cndmask_b32_e32 v1, v1, v11, vcc_lo
	v_cndmask_b32_e64 v5, v5, v11, s6
	v_cmp_eq_u32_e64 s7, 6, v70
	v_cndmask_b32_e64 v6, v6, v15, s6
	v_cmp_eq_u32_e64 s6, 6, v72
	v_cmp_eq_u32_e64 s4, 6, v69
	v_cndmask_b32_e64 v1, v1, v4, s5
	v_cndmask_b32_e32 v2, v2, v15, vcc_lo
	v_cmp_eq_u32_e32 vcc_lo, 7, v71
	v_cndmask_b32_e64 v5, v5, v4, s7
	v_cndmask_b32_e64 v9, v9, v4, s6
	v_cndmask_b32_e64 v6, v6, v8, s7
	v_cmp_eq_u32_e64 s7, 7, v70
	v_cndmask_b32_e32 v1, v1, v12, vcc_lo
	v_cndmask_b32_e64 v7, v13, v4, s4
	v_cndmask_b32_e64 v3, v3, v8, s4
	;; [unrolled: 1-line block ×3, first 2 shown]
	v_cmp_eq_u32_e64 s4, 7, v69
	v_cndmask_b32_e64 v4, v10, v8, s6
	v_cndmask_b32_e64 v5, v5, v12, s7
	;; [unrolled: 1-line block ×3, first 2 shown]
	v_cndmask_b32_e32 v2, v2, v16, vcc_lo
	v_cndmask_b32_e64 v7, v7, v12, s4
	v_cndmask_b32_e64 v3, v3, v16, s4
	;; [unrolled: 1-line block ×4, first 2 shown]
	v_cmp_gt_u32_e32 vcc_lo, 32, v0
	v_perm_b32 v4, v2, v1, 0x5040100
	v_perm_b32 v3, v3, v7, 0x5040100
	;; [unrolled: 1-line block ×4, first 2 shown]
	s_and_b32 s2, vcc_lo, s2
	ds_store_b128 v74, v[1:4]
	s_waitcnt lgkmcnt(0)
	s_barrier
	buffer_gl0_inv
	s_and_saveexec_b32 s4, s2
	s_cbranch_execz .LBB1162_2
; %bb.15:
	s_load_b64 s[4:5], s[0:1], 0x68
	v_lshlrev_b32_e32 v0, 10, v0
	v_lshlrev_b32_e32 v1, 4, v67
	s_lshl_b32 s0, s36, 6
	v_add_nc_u32_e32 v18, s33, v66
	s_mul_i32 s1, s0, s34
	s_delay_alu instid0(VALU_DEP_2) | instskip(SKIP_1) | instid1(VALU_DEP_2)
	v_and_or_b32 v0, 0x3800, v0, v1
	s_mul_i32 s6, s1, s9
	v_mul_lo_u32 v1, v18, s0
	s_ashr_i32 s7, s6, 31
	v_add_nc_u32_e32 v2, 2, v18
	v_lshl_or_b32 v19, v66, 6, v0
	s_lshl_b64 s[6:7], s[6:7], 1
	v_add_nc_u32_e32 v8, 4, v18
	v_add_nc_u32_e32 v15, 6, v18
	v_mul_lo_u32 v7, v2, s0
	ds_load_b128 v[3:6], v19
	v_ashrrev_i32_e32 v2, 31, v1
	v_mul_lo_u32 v11, v8, s0
	s_waitcnt lgkmcnt(0)
	s_add_u32 s1, s4, s6
	s_addc_u32 s2, s5, s7
	s_lshl_b32 s4, s14, 6
	v_lshlrev_b64 v[9:10], 1, v[1:2]
	s_ashr_i32 s5, s4, 31
	v_ashrrev_i32_e32 v8, 31, v7
	s_lshl_b64 s[4:5], s[4:5], 1
	v_ashrrev_i32_e32 v12, 31, v11
	s_add_u32 s1, s1, s4
	s_addc_u32 s2, s2, s5
	v_add_co_u32 v1, s1, s1, v65
	s_delay_alu instid0(VALU_DEP_1) | instskip(SKIP_1) | instid1(VALU_DEP_3)
	v_add_co_ci_u32_e64 v2, null, s2, 0, s1
	v_mul_lo_u32 v15, v15, s0
	v_add_co_u32 v13, vcc_lo, v1, v9
	s_delay_alu instid0(VALU_DEP_3)
	v_add_co_ci_u32_e32 v14, vcc_lo, v2, v10, vcc_lo
	v_lshlrev_b64 v[16:17], 1, v[7:8]
	ds_load_b128 v[7:10], v19 offset:128
	global_store_b128 v[13:14], v[3:6], off
	v_add_nc_u32_e32 v5, 8, v18
	v_lshlrev_b64 v[3:4], 1, v[11:12]
	v_add_co_u32 v23, vcc_lo, v1, v16
	v_ashrrev_i32_e32 v16, 31, v15
	s_delay_alu instid0(VALU_DEP_4) | instskip(SKIP_3) | instid1(VALU_DEP_3)
	v_mul_lo_u32 v25, v5, s0
	v_add_nc_u32_e32 v5, 10, v18
	v_add_co_ci_u32_e32 v24, vcc_lo, v2, v17, vcc_lo
	v_add_co_u32 v27, vcc_lo, v1, v3
	v_mul_lo_u32 v29, v5, s0
	v_add_co_ci_u32_e32 v28, vcc_lo, v2, v4, vcc_lo
	v_lshlrev_b64 v[31:32], 1, v[15:16]
	ds_load_b128 v[3:6], v19 offset:256
	ds_load_b128 v[11:14], v19 offset:384
	ds_load_b128 v[15:18], v19 offset:512
	ds_load_b128 v[19:22], v19 offset:640
	v_ashrrev_i32_e32 v26, 31, v25
	v_ashrrev_i32_e32 v30, 31, v29
	v_add_co_u32 v31, vcc_lo, v1, v31
	s_delay_alu instid0(VALU_DEP_3) | instskip(SKIP_1) | instid1(VALU_DEP_4)
	v_lshlrev_b64 v[25:26], 1, v[25:26]
	v_add_co_ci_u32_e32 v32, vcc_lo, v2, v32, vcc_lo
	v_lshlrev_b64 v[29:30], 1, v[29:30]
	s_delay_alu instid0(VALU_DEP_3) | instskip(NEXT) | instid1(VALU_DEP_4)
	v_add_co_u32 v25, vcc_lo, v1, v25
	v_add_co_ci_u32_e32 v26, vcc_lo, v2, v26, vcc_lo
	s_delay_alu instid0(VALU_DEP_3) | instskip(NEXT) | instid1(VALU_DEP_4)
	v_add_co_u32 v29, vcc_lo, v1, v29
	v_add_co_ci_u32_e32 v30, vcc_lo, v2, v30, vcc_lo
	s_waitcnt lgkmcnt(4)
	global_store_b128 v[23:24], v[7:10], off
	s_waitcnt lgkmcnt(3)
	global_store_b128 v[27:28], v[3:6], off
	;; [unrolled: 2-line block ×5, first 2 shown]
	s_and_b32 exec_lo, exec_lo, s3
	s_cbranch_execz .LBB1162_2
; %bb.16:
	ds_load_b128 v[3:6], v0 offset:768
	s_add_i32 s1, s33, 12
	s_delay_alu instid0(SALU_CYCLE_1) | instskip(NEXT) | instid1(SALU_CYCLE_1)
	s_mul_i32 s0, s1, s0
	s_ashr_i32 s1, s0, 31
	s_delay_alu instid0(SALU_CYCLE_1) | instskip(NEXT) | instid1(SALU_CYCLE_1)
	s_lshl_b64 s[0:1], s[0:1], 1
	v_add_co_u32 v0, vcc_lo, v1, s0
	v_add_co_ci_u32_e32 v1, vcc_lo, s1, v2, vcc_lo
	s_waitcnt lgkmcnt(0)
	global_store_b128 v[0:1], v[3:6], off
	s_nop 0
	s_sendmsg sendmsg(MSG_DEALLOC_VGPRS)
	s_endpgm
	.section	.rodata,"a",@progbits
	.p2align	6, 0x0
	.amdhsa_kernel _Z39paged_attention_ll4mi_QKV_mfma16_kernelIDF16_hLN4vllm18Fp8KVCacheDataTypeE1EhLi32ELi64ELi256ELb1ELi13EL8MFMAType0EEvPKT_PKT0_S8_ifPKiSA_SA_iPKfiiiPfSD_PS3_PT2_iSC_SC_
		.amdhsa_group_segment_fixed_size 17472
		.amdhsa_private_segment_fixed_size 0
		.amdhsa_kernarg_size 400
		.amdhsa_user_sgpr_count 13
		.amdhsa_user_sgpr_dispatch_ptr 0
		.amdhsa_user_sgpr_queue_ptr 0
		.amdhsa_user_sgpr_kernarg_segment_ptr 1
		.amdhsa_user_sgpr_dispatch_id 0
		.amdhsa_user_sgpr_private_segment_size 0
		.amdhsa_wavefront_size32 1
		.amdhsa_uses_dynamic_stack 0
		.amdhsa_enable_private_segment 0
		.amdhsa_system_sgpr_workgroup_id_x 1
		.amdhsa_system_sgpr_workgroup_id_y 1
		.amdhsa_system_sgpr_workgroup_id_z 1
		.amdhsa_system_sgpr_workgroup_info 0
		.amdhsa_system_vgpr_workitem_id 0
		.amdhsa_next_free_vgpr 146
		.amdhsa_next_free_sgpr 37
		.amdhsa_reserve_vcc 1
		.amdhsa_float_round_mode_32 0
		.amdhsa_float_round_mode_16_64 0
		.amdhsa_float_denorm_mode_32 3
		.amdhsa_float_denorm_mode_16_64 3
		.amdhsa_dx10_clamp 1
		.amdhsa_ieee_mode 1
		.amdhsa_fp16_overflow 0
		.amdhsa_workgroup_processor_mode 1
		.amdhsa_memory_ordered 1
		.amdhsa_forward_progress 0
		.amdhsa_shared_vgpr_count 0
		.amdhsa_exception_fp_ieee_invalid_op 0
		.amdhsa_exception_fp_denorm_src 0
		.amdhsa_exception_fp_ieee_div_zero 0
		.amdhsa_exception_fp_ieee_overflow 0
		.amdhsa_exception_fp_ieee_underflow 0
		.amdhsa_exception_fp_ieee_inexact 0
		.amdhsa_exception_int_div_zero 0
	.end_amdhsa_kernel
	.section	.text._Z39paged_attention_ll4mi_QKV_mfma16_kernelIDF16_hLN4vllm18Fp8KVCacheDataTypeE1EhLi32ELi64ELi256ELb1ELi13EL8MFMAType0EEvPKT_PKT0_S8_ifPKiSA_SA_iPKfiiiPfSD_PS3_PT2_iSC_SC_,"axG",@progbits,_Z39paged_attention_ll4mi_QKV_mfma16_kernelIDF16_hLN4vllm18Fp8KVCacheDataTypeE1EhLi32ELi64ELi256ELb1ELi13EL8MFMAType0EEvPKT_PKT0_S8_ifPKiSA_SA_iPKfiiiPfSD_PS3_PT2_iSC_SC_,comdat
.Lfunc_end1162:
	.size	_Z39paged_attention_ll4mi_QKV_mfma16_kernelIDF16_hLN4vllm18Fp8KVCacheDataTypeE1EhLi32ELi64ELi256ELb1ELi13EL8MFMAType0EEvPKT_PKT0_S8_ifPKiSA_SA_iPKfiiiPfSD_PS3_PT2_iSC_SC_, .Lfunc_end1162-_Z39paged_attention_ll4mi_QKV_mfma16_kernelIDF16_hLN4vllm18Fp8KVCacheDataTypeE1EhLi32ELi64ELi256ELb1ELi13EL8MFMAType0EEvPKT_PKT0_S8_ifPKiSA_SA_iPKfiiiPfSD_PS3_PT2_iSC_SC_
                                        ; -- End function
	.section	.AMDGPU.csdata,"",@progbits
; Kernel info:
; codeLenInByte = 6700
; NumSgprs: 39
; NumVgprs: 146
; ScratchSize: 0
; MemoryBound: 0
; FloatMode: 240
; IeeeMode: 1
; LDSByteSize: 17472 bytes/workgroup (compile time only)
; SGPRBlocks: 4
; VGPRBlocks: 18
; NumSGPRsForWavesPerEU: 39
; NumVGPRsForWavesPerEU: 146
; Occupancy: 9
; WaveLimiterHint : 1
; COMPUTE_PGM_RSRC2:SCRATCH_EN: 0
; COMPUTE_PGM_RSRC2:USER_SGPR: 13
; COMPUTE_PGM_RSRC2:TRAP_HANDLER: 0
; COMPUTE_PGM_RSRC2:TGID_X_EN: 1
; COMPUTE_PGM_RSRC2:TGID_Y_EN: 1
; COMPUTE_PGM_RSRC2:TGID_Z_EN: 1
; COMPUTE_PGM_RSRC2:TIDIG_COMP_CNT: 0
	.section	.text._Z39paged_attention_ll4mi_QKV_mfma16_kernelIDF16_hLN4vllm18Fp8KVCacheDataTypeE1EhLi32ELi64ELi256ELb1ELi14EL8MFMAType0EEvPKT_PKT0_S8_ifPKiSA_SA_iPKfiiiPfSD_PS3_PT2_iSC_SC_,"axG",@progbits,_Z39paged_attention_ll4mi_QKV_mfma16_kernelIDF16_hLN4vllm18Fp8KVCacheDataTypeE1EhLi32ELi64ELi256ELb1ELi14EL8MFMAType0EEvPKT_PKT0_S8_ifPKiSA_SA_iPKfiiiPfSD_PS3_PT2_iSC_SC_,comdat
	.protected	_Z39paged_attention_ll4mi_QKV_mfma16_kernelIDF16_hLN4vllm18Fp8KVCacheDataTypeE1EhLi32ELi64ELi256ELb1ELi14EL8MFMAType0EEvPKT_PKT0_S8_ifPKiSA_SA_iPKfiiiPfSD_PS3_PT2_iSC_SC_ ; -- Begin function _Z39paged_attention_ll4mi_QKV_mfma16_kernelIDF16_hLN4vllm18Fp8KVCacheDataTypeE1EhLi32ELi64ELi256ELb1ELi14EL8MFMAType0EEvPKT_PKT0_S8_ifPKiSA_SA_iPKfiiiPfSD_PS3_PT2_iSC_SC_
	.globl	_Z39paged_attention_ll4mi_QKV_mfma16_kernelIDF16_hLN4vllm18Fp8KVCacheDataTypeE1EhLi32ELi64ELi256ELb1ELi14EL8MFMAType0EEvPKT_PKT0_S8_ifPKiSA_SA_iPKfiiiPfSD_PS3_PT2_iSC_SC_
	.p2align	8
	.type	_Z39paged_attention_ll4mi_QKV_mfma16_kernelIDF16_hLN4vllm18Fp8KVCacheDataTypeE1EhLi32ELi64ELi256ELb1ELi14EL8MFMAType0EEvPKT_PKT0_S8_ifPKiSA_SA_iPKfiiiPfSD_PS3_PT2_iSC_SC_,@function
_Z39paged_attention_ll4mi_QKV_mfma16_kernelIDF16_hLN4vllm18Fp8KVCacheDataTypeE1EhLi32ELi64ELi256ELb1ELi14EL8MFMAType0EEvPKT_PKT0_S8_ifPKiSA_SA_iPKfiiiPfSD_PS3_PT2_iSC_SC_: ; @_Z39paged_attention_ll4mi_QKV_mfma16_kernelIDF16_hLN4vllm18Fp8KVCacheDataTypeE1EhLi32ELi64ELi256ELb1ELi14EL8MFMAType0EEvPKT_PKT0_S8_ifPKiSA_SA_iPKfiiiPfSD_PS3_PT2_iSC_SC_
; %bb.0:
	s_load_b64 s[2:3], s[0:1], 0x30
	s_mov_b32 s34, s13
	s_waitcnt lgkmcnt(0)
	s_cmp_lg_u64 s[2:3], 0
	s_cselect_b32 s6, -1, 0
	s_ashr_i32 s35, s13, 31
	s_cmp_eq_u64 s[2:3], 0
	s_cbranch_scc1 .LBB1163_3
; %bb.1:
	s_lshl_b64 s[4:5], s[34:35], 2
	s_delay_alu instid0(SALU_CYCLE_1) | instskip(SKIP_4) | instid1(SALU_CYCLE_1)
	s_add_u32 s4, s2, s4
	s_addc_u32 s5, s3, s5
	s_load_b64 s[4:5], s[4:5], 0x0
	s_waitcnt lgkmcnt(0)
	s_sub_i32 s4, s5, s4
	s_cmp_eq_u32 s4, 1
	s_cselect_b32 s4, -1, 0
	s_delay_alu instid0(SALU_CYCLE_1)
	s_and_not1_b32 vcc_lo, exec_lo, s4
	s_cbranch_vccz .LBB1163_4
.LBB1163_2:
	s_endpgm
.LBB1163_3:
.LBB1163_4:
	s_load_b64 s[8:9], s[0:1], 0x28
	s_lshl_b64 s[4:5], s[34:35], 2
	s_waitcnt lgkmcnt(0)
	s_add_u32 s8, s8, s4
	s_addc_u32 s9, s9, s5
	s_lshl_b32 s16, s14, 8
	s_load_b32 s18, s[8:9], 0x0
	s_waitcnt lgkmcnt(0)
	s_cmp_ge_i32 s16, s18
	s_cbranch_scc1 .LBB1163_2
; %bb.5:
	s_clause 0x1
	s_load_b128 s[8:11], s[0:1], 0x8
	s_load_b64 s[12:13], s[0:1], 0x20
	s_and_not1_b32 vcc_lo, exec_lo, s6
	s_cbranch_vccnz .LBB1163_7
; %bb.6:
	s_add_u32 s2, s2, s4
	s_addc_u32 s3, s3, s5
	s_load_b32 s3, s[2:3], 0x0
	s_branch .LBB1163_8
.LBB1163_7:
	s_mov_b32 s3, s34
.LBB1163_8:
	s_load_b128 s[4:7], s[0:1], 0x48
	v_and_b32_e32 v68, 15, v0
	v_cmp_gt_u32_e32 vcc_lo, 0xe0, v0
	v_lshrrev_b32_e32 v69, 5, v0
	v_and_b32_e32 v70, 31, v0
	v_and_b32_e32 v67, 1, v0
	v_lshlrev_b32_e32 v1, 3, v68
	v_cmp_gt_u32_e64 s2, 8, v68
	v_bfe_u32 v66, v0, 4, 1
	s_mul_i32 s31, s15, 14
	s_delay_alu instid0(VALU_DEP_3) | instskip(NEXT) | instid1(VALU_DEP_3)
	v_lshlrev_b32_e32 v65, 1, v1
	s_and_b32 s17, vcc_lo, s2
	s_waitcnt lgkmcnt(0)
	s_and_saveexec_b32 s7, s17
	s_cbranch_execz .LBB1163_10
; %bb.9:
	s_load_b64 s[20:21], s[0:1], 0x0
	v_lshl_or_b32 v5, v69, 1, v66
	s_mul_hi_i32 s23, s3, s4
	s_mul_i32 s22, s3, s4
	v_lshlrev_b32_e32 v6, 10, v68
	s_lshl_b64 s[22:23], s[22:23], 1
	v_add_lshl_u32 v1, v5, s31, 6
	v_lshlrev_b32_e32 v5, 6, v5
	v_lshlrev_b32_e32 v7, 10, v67
	v_and_b32_e32 v6, 0x3800, v6
	s_delay_alu instid0(VALU_DEP_4) | instskip(NEXT) | instid1(VALU_DEP_2)
	v_ashrrev_i32_e32 v2, 31, v1
	v_or3_b32 v5, v6, v7, v5
	s_delay_alu instid0(VALU_DEP_2) | instskip(SKIP_3) | instid1(VALU_DEP_1)
	v_lshlrev_b64 v[1:2], 1, v[1:2]
	s_waitcnt lgkmcnt(0)
	s_add_u32 s3, s20, s22
	s_addc_u32 s4, s21, s23
	v_add_co_u32 v1, vcc_lo, s3, v1
	s_delay_alu instid0(VALU_DEP_2) | instskip(NEXT) | instid1(VALU_DEP_2)
	v_add_co_ci_u32_e32 v2, vcc_lo, s4, v2, vcc_lo
	v_add_co_u32 v1, vcc_lo, v1, v65
	s_delay_alu instid0(VALU_DEP_2)
	v_add_co_ci_u32_e32 v2, vcc_lo, 0, v2, vcc_lo
	global_load_b128 v[1:4], v[1:2], off
	s_waitcnt vmcnt(0)
	ds_store_b128 v5, v[1:4]
.LBB1163_10:
	s_or_b32 exec_lo, exec_lo, s7
	v_and_b32_e32 v1, 0xef, v0
	s_add_i32 s3, s18, 31
	s_clause 0x1
	s_load_b32 s4, s[0:1], 0x38
	s_load_b32 s33, s[0:1], 0x98
	s_ashr_i32 s7, s3, 31
	v_add_nc_u32_e32 v1, s16, v1
	s_lshr_b32 s7, s7, 27
	s_load_b32 s19, s[0:1], 0x1c
	v_add_nc_u32_e32 v103, -14, v68
	s_add_i32 s3, s3, s7
	v_ashrrev_i32_e32 v2, 31, v1
	v_or_b32_e32 v3, 16, v1
	s_ashr_i32 s3, s3, 5
	v_cmp_gt_i32_e32 vcc_lo, s18, v1
	s_add_i32 s3, s3, -1
	v_lshrrev_b32_e32 v2, 27, v2
	s_waitcnt lgkmcnt(0)
	s_barrier
	buffer_gl0_inv
	s_mul_i32 s15, s15, s6
	v_add_nc_u32_e32 v4, v1, v2
	v_mbcnt_lo_u32_b32 v127, -1, 0
	s_mul_i32 s20, s34, s4
	s_delay_alu instid0(SALU_CYCLE_1) | instskip(NEXT) | instid1(VALU_DEP_2)
	s_ashr_i32 s21, s20, 31
	v_ashrrev_i32_e32 v4, 5, v4
	v_add_nc_u32_e32 v2, v3, v2
	s_lshl_b64 s[20:21], s[20:21], 2
	v_xor_b32_e32 v128, 16, v127
	s_add_u32 s17, s12, s20
	v_cndmask_b32_e32 v1, s3, v4, vcc_lo
	v_ashrrev_i32_e32 v2, 5, v2
	v_cmp_gt_i32_e32 vcc_lo, s18, v3
	s_addc_u32 s13, s13, s21
	s_ashr_i32 s20, s15, 31
	s_add_u32 s22, s8, s15
	s_addc_u32 s23, s9, s20
	v_cndmask_b32_e32 v3, s3, v2, vcc_lo
	v_ashrrev_i32_e32 v2, 31, v1
	s_lshl_b32 s6, s14, 3
	s_delay_alu instid0(SALU_CYCLE_1) | instskip(NEXT) | instid1(VALU_DEP_2)
	s_ashr_i32 s7, s6, 31
	v_ashrrev_i32_e32 v4, 31, v3
	s_delay_alu instid0(VALU_DEP_2) | instskip(SKIP_1) | instid1(SALU_CYCLE_1)
	v_lshlrev_b64 v[1:2], 2, v[1:2]
	s_lshl_b64 s[6:7], s[6:7], 2
	s_add_u32 s6, s17, s6
	s_delay_alu instid0(VALU_DEP_2) | instskip(SKIP_1) | instid1(VALU_DEP_2)
	v_lshlrev_b64 v[3:4], 2, v[3:4]
	s_addc_u32 s7, s13, s7
	v_add_co_u32 v1, vcc_lo, s17, v1
	v_add_co_ci_u32_e32 v2, vcc_lo, s13, v2, vcc_lo
	s_delay_alu instid0(VALU_DEP_3) | instskip(NEXT) | instid1(VALU_DEP_4)
	v_add_co_u32 v3, vcc_lo, s17, v3
	v_add_co_ci_u32_e32 v4, vcc_lo, s13, v4, vcc_lo
	s_clause 0x1
	global_load_b32 v5, v[1:2], off
	global_load_b32 v6, v[3:4], off
	s_or_b32 s4, s16, 32
	s_delay_alu instid0(SALU_CYCLE_1) | instskip(SKIP_2) | instid1(SALU_CYCLE_1)
	s_ashr_i32 s8, s4, 5
	s_cmp_lt_i32 s4, s18
	s_cselect_b32 s8, s8, s3
	s_ashr_i32 s9, s8, 31
	s_delay_alu instid0(SALU_CYCLE_1) | instskip(NEXT) | instid1(SALU_CYCLE_1)
	s_lshl_b64 s[8:9], s[8:9], 2
	s_add_u32 s8, s17, s8
	s_addc_u32 s9, s13, s9
	s_or_b32 s4, s16, 64
	s_delay_alu instid0(SALU_CYCLE_1) | instskip(SKIP_2) | instid1(SALU_CYCLE_1)
	s_ashr_i32 s12, s4, 5
	s_cmp_lt_i32 s4, s18
	s_cselect_b32 s24, s12, s3
	s_ashr_i32 s25, s24, 31
	s_delay_alu instid0(SALU_CYCLE_1) | instskip(NEXT) | instid1(SALU_CYCLE_1)
	s_lshl_b64 s[24:25], s[24:25], 2
	s_add_u32 s24, s17, s24
	s_addc_u32 s25, s13, s25
	;; [unrolled: 10-line block ×5, first 2 shown]
	s_clause 0x5
	s_load_b32 s12, s[6:7], 0x0
	s_load_b32 s4, s[8:9], 0x0
	;; [unrolled: 1-line block ×6, first 2 shown]
	s_or_b32 s21, s16, 0xc0
	s_waitcnt vmcnt(1)
	v_mad_i64_i32 v[1:2], null, v5, s5, s[22:23]
	v_lshlrev_b32_e32 v5, 4, v68
	s_waitcnt vmcnt(0)
	v_mad_i64_i32 v[3:4], null, v6, s5, s[22:23]
	s_ashr_i32 s22, s21, 5
	s_cmp_lt_i32 s21, s18
	s_delay_alu instid0(VALU_DEP_3) | instskip(NEXT) | instid1(VALU_DEP_4)
	v_add_co_u32 v1, vcc_lo, v1, v5
	v_add_co_ci_u32_e32 v2, vcc_lo, 0, v2, vcc_lo
	s_delay_alu instid0(VALU_DEP_3) | instskip(NEXT) | instid1(VALU_DEP_4)
	v_add_co_u32 v3, vcc_lo, v3, v5
	v_add_co_ci_u32_e32 v4, vcc_lo, 0, v4, vcc_lo
	s_clause 0x7
	global_load_b128 v[71:74], v[1:2], off
	global_load_b128 v[75:78], v[1:2], off offset:512
	global_load_b128 v[79:82], v[3:4], off offset:256
	;; [unrolled: 1-line block ×7, first 2 shown]
	s_cselect_b32 s22, s22, s3
	v_lshlrev_b32_e32 v1, 5, v68
	s_ashr_i32 s23, s22, 31
	v_cmp_gt_u32_e32 vcc_lo, 14, v68
	s_lshl_b64 s[22:23], s[22:23], 2
	s_delay_alu instid0(SALU_CYCLE_1)
	s_add_u32 s22, s17, s22
	s_addc_u32 s23, s13, s23
	s_or_b32 s21, s16, 0xe0
	v_lshl_or_b32 v1, v69, 9, v1
	s_ashr_i32 s24, s21, 5
	s_cmp_lt_i32 s21, s18
	v_cndmask_b32_e32 v103, v103, v68, vcc_lo
	s_cselect_b32 s24, s24, s3
	s_load_b32 s3, s[22:23], 0x0
	s_ashr_i32 s25, s24, 31
	v_cmp_gt_i32_e32 vcc_lo, 32, v128
	s_lshl_b64 s[24:25], s[24:25], 2
	v_lshlrev_b32_e32 v115, 6, v103
	s_add_u32 s22, s17, s24
	s_addc_u32 s23, s13, s25
	v_cndmask_b32_e32 v136, v127, v128, vcc_lo
	s_add_u32 s10, s10, s15
	s_addc_u32 s11, s11, s20
	v_add_co_u32 v1, s10, s10, v1
	s_delay_alu instid0(VALU_DEP_1) | instskip(SKIP_2) | instid1(VALU_DEP_1)
	v_add_co_ci_u32_e64 v2, null, s11, 0, s10
	s_load_b32 s10, s[22:23], 0x0
	s_waitcnt lgkmcnt(0)
	v_mad_i64_i32 v[3:4], null, s12, s5, v[1:2]
	v_mad_i64_i32 v[9:10], null, s7, s5, v[1:2]
	;; [unrolled: 1-line block ×7, first 2 shown]
	s_clause 0x5
	global_load_b128 v[49:52], v[3:4], off
	global_load_b128 v[53:56], v[3:4], off offset:16
	global_load_b128 v[41:44], v[5:6], off
	global_load_b128 v[45:48], v[5:6], off offset:16
	;; [unrolled: 2-line block ×3, first 2 shown]
	s_mov_b32 s4, 0
	v_mad_i64_i32 v[61:62], null, s10, s5, v[1:2]
	s_clause 0x9
	global_load_b128 v[1:4], v[9:10], off
	global_load_b128 v[5:8], v[9:10], off offset:16
	global_load_b128 v[9:12], v[13:14], off
	global_load_b128 v[13:16], v[13:14], off offset:16
	;; [unrolled: 2-line block ×5, first 2 shown]
	s_mov_b32 s5, s4
	s_mov_b32 s6, s4
	;; [unrolled: 1-line block ×7, first 2 shown]
	v_and_b32_e32 v104, 0xe0, v0
	v_dual_mov_b32 v126, s11 :: v_dual_mov_b32 v125, s10
	v_dual_mov_b32 v124, s9 :: v_dual_mov_b32 v123, s8
	s_delay_alu instid0(VALU_DEP_3)
	v_add_nc_u32_e32 v111, s16, v104
	ds_load_b128 v[103:106], v115
	ds_load_b128 v[107:110], v115 offset:1024
	v_dual_mov_b32 v122, s7 :: v_dual_mov_b32 v121, s6
	v_mov_b32_e32 v120, s5
	v_or_b32_e32 v135, v111, v66
	ds_load_b128 v[111:114], v115 offset:2048
	ds_load_b128 v[115:118], v115 offset:3072
	v_mov_b32_e32 v119, s4
	s_waitcnt vmcnt(0) lgkmcnt(0)
	s_barrier
	v_or_b32_e32 v137, 2, v135
	v_or_b32_e32 v138, 4, v135
	;; [unrolled: 1-line block ×3, first 2 shown]
	v_cmp_gt_i32_e32 vcc_lo, s18, v135
	v_or_b32_e32 v140, 8, v135
	v_cmp_gt_i32_e64 s3, s18, v137
	v_or_b32_e32 v141, 10, v135
	v_cmp_gt_i32_e64 s4, s18, v138
	v_cmp_gt_i32_e64 s5, s18, v139
	v_or_b32_e32 v142, 12, v135
	v_or_b32_e32 v143, 14, v135
	v_cmp_gt_i32_e64 s6, s18, v140
	v_cmp_gt_i32_e64 s7, s18, v141
	v_or_b32_e32 v144, 16, v135
	v_or_b32_e32 v145, 18, v135
	v_cmp_gt_i32_e64 s8, s18, v142
	v_cmp_gt_i32_e64 s9, s18, v143
	buffer_gl0_inv
	v_cmp_gt_i32_e64 s10, s18, v144
	v_cmp_gt_i32_e64 s11, s18, v145
	v_wmma_f32_16x16x16_f16 v[127:134], v[71:78], v[103:110], v[119:126]
	v_wmma_f32_16x16x16_f16 v[119:126], v[79:86], v[103:110], v[119:126]
	v_or_b32_e32 v71, 20, v135
	v_or_b32_e32 v72, 22, v135
	s_delay_alu instid0(VALU_DEP_4)
	v_wmma_f32_16x16x16_f16 v[127:134], v[87:94], v[111:118], v[127:134]
	v_or_b32_e32 v73, 24, v135
	v_wmma_f32_16x16x16_f16 v[119:126], v[95:102], v[111:118], v[119:126]
	v_or_b32_e32 v74, 26, v135
	v_cmp_gt_i32_e64 s12, s18, v71
	v_dual_mul_f32 v83, s19, v128 :: v_dual_mul_f32 v84, s19, v127
	s_delay_alu instid0(VALU_DEP_4) | instskip(SKIP_1) | instid1(VALU_DEP_3)
	v_dual_mul_f32 v81, s19, v130 :: v_dual_mul_f32 v92, s19, v119
	v_mul_f32_e32 v82, s19, v129
	v_cndmask_b32_e64 v83, 0xff7fffff, v83, s3
	s_delay_alu instid0(VALU_DEP_4)
	v_cndmask_b32_e32 v84, 0xff7fffff, v84, vcc_lo
	v_dual_mul_f32 v79, s19, v132 :: v_dual_mul_f32 v90, s19, v121
	v_mul_f32_e32 v80, s19, v131
	v_cndmask_b32_e64 v82, 0xff7fffff, v82, s4
	v_cndmask_b32_e64 v81, 0xff7fffff, v81, s5
	v_max3_f32 v83, v84, 0xff7fffff, v83
	v_dual_mul_f32 v77, s19, v134 :: v_dual_mul_f32 v88, s19, v123
	v_mul_f32_e32 v78, s19, v133
	v_cndmask_b32_e64 v80, 0xff7fffff, v80, s6
	v_cndmask_b32_e64 v79, 0xff7fffff, v79, s7
	v_max3_f32 v81, v83, v82, v81
	v_mul_f32_e32 v91, s19, v120
	v_cndmask_b32_e64 v78, 0xff7fffff, v78, s8
	v_cndmask_b32_e64 v77, 0xff7fffff, v77, s9
	v_mul_f32_e32 v89, s19, v122
	v_max3_f32 v79, v81, v80, v79
	v_cndmask_b32_e64 v80, 0xff7fffff, v92, s10
	v_cndmask_b32_e64 v81, 0xff7fffff, v91, s11
	v_cmp_gt_i32_e64 s13, s18, v72
	v_or_b32_e32 v75, 28, v135
	v_max3_f32 v77, v79, v78, v77
	v_or_b32_e32 v76, 30, v135
	v_mul_f32_e32 v87, s19, v124
	v_cndmask_b32_e64 v71, 0xff7fffff, v90, s12
	v_cndmask_b32_e64 v72, 0xff7fffff, v89, s13
	v_max3_f32 v77, v77, v80, v81
	v_cmp_gt_i32_e64 s15, s18, v73
	v_cmp_gt_i32_e64 s16, s18, v74
	v_dual_mul_f32 v85, s19, v126 :: v_dual_mul_f32 v86, s19, v125
	s_delay_alu instid0(VALU_DEP_4) | instskip(NEXT) | instid1(VALU_DEP_4)
	v_max3_f32 v71, v77, v71, v72
	v_cndmask_b32_e64 v73, 0xff7fffff, v88, s15
	s_delay_alu instid0(VALU_DEP_4) | instskip(SKIP_2) | instid1(VALU_DEP_3)
	v_cndmask_b32_e64 v74, 0xff7fffff, v87, s16
	v_cmp_gt_i32_e64 s17, s18, v75
	v_cmp_gt_i32_e64 s18, s18, v76
	v_max3_f32 v71, v71, v73, v74
	s_delay_alu instid0(VALU_DEP_3) | instskip(NEXT) | instid1(VALU_DEP_3)
	v_cndmask_b32_e64 v72, 0xff7fffff, v86, s17
	v_cndmask_b32_e64 v75, 0xff7fffff, v85, s18
	v_lshlrev_b32_e32 v73, 2, v136
	s_delay_alu instid0(VALU_DEP_2) | instskip(SKIP_3) | instid1(VALU_DEP_1)
	v_max3_f32 v71, v71, v72, v75
	ds_bpermute_b32 v72, v73, v71
	s_waitcnt lgkmcnt(0)
	v_max_f32_e32 v72, v72, v72
	v_max_f32_e32 v71, v71, v72
	s_delay_alu instid0(VALU_DEP_1)
	v_fma_f32 v72, s19, v127, -v71
	v_fma_f32 v74, s19, v128, -v71
	;; [unrolled: 1-line block ×5, first 2 shown]
	v_mul_f32_e32 v72, 0x3fb8aa3b, v72
	v_mul_f32_e32 v74, 0x3fb8aa3b, v74
	v_fma_f32 v80, s19, v133, -v71
	s_delay_alu instid0(VALU_DEP_4) | instskip(NEXT) | instid1(VALU_DEP_4)
	v_dual_mul_f32 v76, 0x3fb8aa3b, v76 :: v_dual_mul_f32 v77, 0x3fb8aa3b, v77
	v_exp_f32_e32 v72, v72
	s_delay_alu instid0(VALU_DEP_3) | instskip(NEXT) | instid1(VALU_DEP_2)
	v_exp_f32_e32 v74, v74
	v_mul_f32_e32 v82, 0x3fb8aa3b, v80
	s_delay_alu instid0(VALU_DEP_2) | instskip(SKIP_1) | instid1(VALU_DEP_1)
	v_exp_f32_e32 v76, v76
	v_exp_f32_e32 v77, v77
	;; [unrolled: 1-line block ×3, first 2 shown]
	v_cndmask_b32_e32 v79, 0, v72, vcc_lo
	v_fma_f32 v72, s19, v132, -v71
	v_mul_f32_e32 v75, 0x3fb8aa3b, v75
	v_cndmask_b32_e64 v78, 0, v74, s3
	s_delay_alu instid0(TRANS32_DEP_3)
	v_cndmask_b32_e64 v80, 0, v76, s5
	v_add_f32_e32 v74, 0, v79
	v_mul_f32_e32 v72, 0x3fb8aa3b, v72
	v_exp_f32_e32 v75, v75
	v_cndmask_b32_e64 v83, 0, v77, s6
	v_cndmask_b32_e64 v85, 0, v84, s8
	v_add_f32_e32 v74, v74, v78
	v_exp_f32_e32 v72, v72
	s_mov_b32 s3, exec_lo
	s_waitcnt_depctr 0xfff
	v_cndmask_b32_e64 v81, 0, v75, s4
	v_cndmask_b32_e64 v82, 0, v72, s7
	s_delay_alu instid0(VALU_DEP_2) | instskip(NEXT) | instid1(VALU_DEP_1)
	v_add_f32_e32 v74, v74, v81
	v_add_f32_e32 v74, v74, v80
	s_delay_alu instid0(VALU_DEP_1) | instskip(SKIP_4) | instid1(VALU_DEP_4)
	v_add_f32_e32 v72, v74, v83
	v_fma_f32 v75, s19, v134, -v71
	v_fma_f32 v76, s19, v119, -v71
	;; [unrolled: 1-line block ×4, first 2 shown]
	v_dual_add_f32 v72, v72, v82 :: v_dual_mul_f32 v75, 0x3fb8aa3b, v75
	s_delay_alu instid0(VALU_DEP_3) | instskip(SKIP_1) | instid1(VALU_DEP_3)
	v_dual_mul_f32 v76, 0x3fb8aa3b, v76 :: v_dual_mul_f32 v77, 0x3fb8aa3b, v77
	v_fma_f32 v86, s19, v122, -v71
	v_add_f32_e32 v72, v72, v85
	s_delay_alu instid0(VALU_DEP_4) | instskip(NEXT) | instid1(VALU_DEP_3)
	v_exp_f32_e32 v75, v75
	v_exp_f32_e32 v76, v76
	;; [unrolled: 1-line block ×3, first 2 shown]
	v_mul_f32_e32 v86, 0x3fb8aa3b, v86
	s_delay_alu instid0(VALU_DEP_1) | instskip(SKIP_3) | instid1(TRANS32_DEP_3)
	v_exp_f32_e32 v88, v86
	v_cndmask_b32_e64 v84, 0, v75, s9
	v_fma_f32 v75, s19, v123, -v71
	v_mul_f32_e32 v74, 0x3fb8aa3b, v74
	v_cndmask_b32_e64 v87, 0, v76, s10
	v_fma_f32 v76, s19, v124, -v71
	s_delay_alu instid0(VALU_DEP_4) | instskip(NEXT) | instid1(VALU_DEP_4)
	v_dual_add_f32 v72, v72, v84 :: v_dual_mul_f32 v75, 0x3fb8aa3b, v75
	v_exp_f32_e32 v74, v74
	v_cndmask_b32_e64 v86, 0, v77, s11
	v_fma_f32 v77, s19, v125, -v71
	s_delay_alu instid0(VALU_DEP_3) | instskip(SKIP_3) | instid1(VALU_DEP_3)
	v_add_f32_e32 v72, v72, v87
	v_mul_f32_e32 v76, 0x3fb8aa3b, v76
	v_exp_f32_e32 v75, v75
	v_cndmask_b32_e64 v88, 0, v88, s13
	v_add_f32_e32 v72, v72, v86
	s_delay_alu instid0(VALU_DEP_3) | instskip(NEXT) | instid1(TRANS32_DEP_3)
	v_exp_f32_e32 v76, v76
	v_cndmask_b32_e64 v89, 0, v74, s12
	v_mul_f32_e32 v74, 0x3fb8aa3b, v77
	v_fma_f32 v77, s19, v126, -v71
	s_delay_alu instid0(VALU_DEP_3) | instskip(NEXT) | instid1(VALU_DEP_3)
	v_add_f32_e32 v72, v72, v89
	v_exp_f32_e32 v74, v74
	s_delay_alu instid0(TRANS32_DEP_3) | instskip(NEXT) | instid1(VALU_DEP_3)
	v_cndmask_b32_e64 v91, 0, v75, s15
	v_mul_f32_e32 v75, 0x3fb8aa3b, v77
	s_delay_alu instid0(TRANS32_DEP_2) | instskip(SKIP_1) | instid1(VALU_DEP_3)
	v_cndmask_b32_e64 v90, 0, v76, s16
	v_add_f32_e32 v72, v72, v88
	v_exp_f32_e32 v75, v75
	s_delay_alu instid0(VALU_DEP_1) | instskip(NEXT) | instid1(TRANS32_DEP_2)
	v_add_f32_e32 v72, v72, v91
	v_cndmask_b32_e64 v93, 0, v74, s17
	s_delay_alu instid0(VALU_DEP_2) | instskip(SKIP_3) | instid1(VALU_DEP_1)
	v_add_f32_e32 v72, v72, v90
	s_waitcnt_depctr 0xfff
	v_cndmask_b32_e64 v92, 0, v75, s18
	v_add_f32_e32 v72, v72, v93
	v_add_f32_e32 v72, v72, v92
	ds_bpermute_b32 v73, v73, v72
	v_cmpx_gt_u32_e32 16, v70
	s_cbranch_execz .LBB1163_12
; %bb.11:
	v_mul_u32_u24_e32 v70, 0x44, v69
	s_waitcnt lgkmcnt(0)
	v_add_f32_e32 v72, v72, v73
	s_delay_alu instid0(VALU_DEP_2) | instskip(NEXT) | instid1(VALU_DEP_1)
	v_lshl_add_u32 v70, v68, 2, v70
	v_add_nc_u32_e32 v70, 0x4000, v70
	ds_store_2addr_b32 v70, v71, v72 offset1:136
.LBB1163_12:
	s_or_b32 exec_lo, exec_lo, s3
	v_lshlrev_b32_e32 v70, 2, v68
	s_load_b32 s35, s[0:1], 0x94
	s_waitcnt lgkmcnt(0)
	s_barrier
	buffer_gl0_inv
	v_add_nc_u32_e32 v98, 0x4000, v70
	v_cmp_eq_u32_e32 vcc_lo, 1, v69
	v_cmp_eq_u32_e64 s3, 2, v69
	v_cmp_eq_u32_e64 s4, 3, v69
	;; [unrolled: 1-line block ×3, first 2 shown]
	ds_load_2addr_b32 v[70:71], v98 offset1:17
	ds_load_2addr_b32 v[72:73], v98 offset0:34 offset1:51
	ds_load_2addr_b32 v[74:75], v98 offset0:68 offset1:85
	;; [unrolled: 1-line block ×3, first 2 shown]
	v_cmp_eq_u32_e64 s6, 5, v69
	v_cmp_eq_u32_e64 s7, 7, v69
	s_waitcnt lgkmcnt(3)
	v_max3_f32 v76, v70, 0xff7fffff, v71
	s_waitcnt lgkmcnt(2)
	s_delay_alu instid0(VALU_DEP_1) | instskip(SKIP_1) | instid1(VALU_DEP_1)
	v_max3_f32 v76, v76, v72, v73
	s_waitcnt lgkmcnt(1)
	v_max3_f32 v76, v76, v74, v75
	s_waitcnt lgkmcnt(0)
	s_delay_alu instid0(VALU_DEP_1) | instskip(NEXT) | instid1(VALU_DEP_1)
	v_max3_f32 v76, v76, v94, v95
	v_sub_f32_e32 v77, v71, v76
	ds_load_2addr_b32 v[96:97], v98 offset0:136 offset1:153
	v_sub_f32_e32 v74, v74, v76
	v_sub_f32_e32 v70, v70, v76
	;; [unrolled: 1-line block ×3, first 2 shown]
	v_dual_sub_f32 v72, v72, v76 :: v_dual_mul_f32 v77, 0x3fb8aa3b, v77
	s_delay_alu instid0(VALU_DEP_4) | instskip(NEXT) | instid1(VALU_DEP_4)
	v_mul_f32_e32 v103, 0x3fb8aa3b, v74
	v_mul_f32_e32 v99, 0x3fb8aa3b, v70
	ds_load_2addr_b32 v[70:71], v98 offset0:170 offset1:187
	v_dual_mul_f32 v101, 0x3fb8aa3b, v72 :: v_dual_mul_f32 v94, 0x3fb8aa3b, v94
	v_exp_f32_e32 v102, v77
	v_exp_f32_e32 v99, v99
	s_delay_alu instid0(VALU_DEP_1) | instskip(NEXT) | instid1(VALU_DEP_1)
	v_exp_f32_e32 v101, v101
	v_exp_f32_e32 v94, v94
	s_waitcnt lgkmcnt(1)
	s_delay_alu instid0(TRANS32_DEP_3)
	v_fma_f32 v77, v99, v96, 0
	v_sub_f32_e32 v100, v73, v76
	ds_load_2addr_b32 v[72:73], v98 offset0:204 offset1:221
	v_fmac_f32_e32 v77, v102, v97
	v_exp_f32_e32 v97, v103
	s_waitcnt lgkmcnt(1)
	s_delay_alu instid0(VALU_DEP_1)
	v_dual_fmac_f32 v77, v101, v70 :: v_dual_sub_f32 v96, v75, v76
	ds_load_2addr_b32 v[74:75], v98 offset0:238 offset1:255
	v_sub_f32_e32 v70, v95, v76
	s_waitcnt lgkmcnt(0)
	s_barrier
	v_mul_f32_e32 v96, 0x3fb8aa3b, v96
	buffer_gl0_inv
	v_exp_f32_e32 v95, v96
	v_mul_f32_e32 v100, 0x3fb8aa3b, v100
	s_delay_alu instid0(VALU_DEP_1) | instskip(SKIP_3) | instid1(VALU_DEP_2)
	v_exp_f32_e32 v100, v100
	s_waitcnt_depctr 0xfff
	v_dual_fmac_f32 v77, v100, v71 :: v_dual_mul_f32 v70, 0x3fb8aa3b, v70
	v_cndmask_b32_e32 v71, v99, v102, vcc_lo
	v_fmac_f32_e32 v77, v97, v72
	s_delay_alu instid0(VALU_DEP_3) | instskip(NEXT) | instid1(VALU_DEP_1)
	v_exp_f32_e32 v96, v70
	v_fmac_f32_e32 v77, v95, v73
	s_delay_alu instid0(VALU_DEP_1) | instskip(SKIP_2) | instid1(VALU_DEP_1)
	v_fmac_f32_e32 v77, v94, v74
	s_waitcnt_depctr 0xfff
	v_fmac_f32_e32 v77, v96, v75
	v_add_f32_e32 v74, 0x358637bd, v77
	s_delay_alu instid0(VALU_DEP_1) | instskip(SKIP_1) | instid1(VALU_DEP_2)
	v_div_scale_f32 v98, null, v74, v74, 1.0
	v_div_scale_f32 v99, vcc_lo, 1.0, v74, 1.0
	v_rcp_f32_e32 v103, v98
	s_waitcnt_depctr 0xfff
	v_fma_f32 v70, -v98, v103, 1.0
	s_delay_alu instid0(VALU_DEP_1) | instskip(SKIP_2) | instid1(VALU_DEP_2)
	v_fmac_f32_e32 v103, v70, v103
	v_cndmask_b32_e64 v70, v71, v101, s3
	v_cmp_eq_u32_e64 s3, 6, v69
	v_cndmask_b32_e64 v71, v70, v100, s4
	s_delay_alu instid0(VALU_DEP_4) | instskip(NEXT) | instid1(VALU_DEP_2)
	v_dual_mul_f32 v101, v99, v103 :: v_dual_lshlrev_b32 v70, 2, v66
	v_cndmask_b32_e64 v71, v71, v97, s5
	s_delay_alu instid0(VALU_DEP_2) | instskip(NEXT) | instid1(VALU_DEP_3)
	v_or_b32_e32 v72, 1, v70
	v_fma_f32 v100, -v98, v101, v99
	v_cmp_eq_u32_e64 s4, 1, v70
	v_cmp_eq_u32_e64 s5, 2, v70
	v_cndmask_b32_e64 v95, v71, v95, s6
	v_or_b32_e32 v71, 3, v70
	v_fmac_f32_e32 v101, v100, v103
	v_cmp_eq_u32_e64 s9, 1, v72
	v_cmp_eq_u32_e64 s12, 2, v72
	v_cndmask_b32_e64 v94, v95, v94, s3
	v_cmp_eq_u32_e64 s11, 1, v71
	v_fma_f32 v97, -v98, v101, v99
	v_cmp_eq_u32_e64 s16, 2, v71
	v_cmp_eq_u32_e64 s13, 3, v72
	v_cndmask_b32_e64 v94, v94, v96, s7
	v_cmp_eq_u32_e64 s18, 3, v71
	v_div_fmas_f32 v95, v97, v103, v101
	v_cmp_eq_u32_e32 vcc_lo, 3, v70
	v_cmp_eq_u32_e64 s3, 4, v70
	v_cmp_eq_u32_e64 s19, 4, v72
	v_cmp_eq_u32_e64 s22, 4, v71
	v_div_fixup_f32 v95, v95, v74, 1.0
	v_lshlrev_b32_e32 v73, 6, v68
	v_cmp_eq_u32_e64 s6, 5, v70
	v_cmp_eq_u32_e64 s20, 5, v72
	;; [unrolled: 1-line block ×3, first 2 shown]
	v_mul_f32_e32 v102, v94, v95
	v_lshl_or_b32 v75, v69, 11, v73
	v_or_b32_e32 v69, 2, v70
	v_cmp_eq_u32_e64 s25, 6, v72
	v_cmp_eq_u32_e64 s27, 6, v71
	v_fma_mixlo_f16 v94, v102, v79, 0
	v_fma_mixlo_f16 v95, v102, v81, 0
	;; [unrolled: 1-line block ×8, first 2 shown]
	v_lshl_or_b32 v74, v66, 4, v75
	v_fma_mixhi_f16 v94, v102, v78, 0
	v_fma_mixhi_f16 v95, v102, v80, 0
	;; [unrolled: 1-line block ×8, first 2 shown]
	ds_store_b128 v74, v[94:97]
	ds_store_b128 v74, v[98:101] offset:1024
	s_waitcnt lgkmcnt(0)
	s_barrier
	buffer_gl0_inv
	ds_load_b128 v[78:81], v75
	ds_load_b128 v[82:85], v75 offset:16
	ds_load_b128 v[86:89], v75 offset:1024
	;; [unrolled: 1-line block ×3, first 2 shown]
	v_cmp_eq_u32_e64 s10, 1, v69
	v_cmp_eq_u32_e64 s15, 2, v69
	v_cmp_eq_u32_e64 s17, 3, v69
	v_cmp_eq_u32_e64 s21, 4, v69
	v_cmp_eq_u32_e64 s23, 5, v69
	v_cmp_eq_u32_e64 s7, 6, v70
	v_cmp_eq_u32_e64 s26, 6, v69
	v_cmp_eq_u32_e64 s29, 7, v71
	v_cmp_eq_u32_e64 s30, 7, v72
	v_cmp_eq_u32_e64 s8, 7, v70
	v_cmp_eq_u32_e64 s28, 7, v69
	s_waitcnt lgkmcnt(3)
	v_lshrrev_b32_e32 v94, 16, v78
	s_waitcnt lgkmcnt(2)
	v_lshrrev_b32_e32 v98, 16, v82
	;; [unrolled: 2-line block ×4, first 2 shown]
	v_lshrrev_b32_e32 v95, 16, v79
	v_cndmask_b32_e64 v110, v78, v94, s4
	v_cndmask_b32_e64 v111, v82, v98, s4
	;; [unrolled: 1-line block ×8, first 2 shown]
	v_lshrrev_b32_e32 v99, 16, v83
	v_cndmask_b32_e64 v94, v86, v102, s4
	v_cndmask_b32_e64 v98, v90, v106, s4
	;; [unrolled: 1-line block ×15, first 2 shown]
	v_lshrrev_b32_e32 v103, 16, v87
	v_lshrrev_b32_e32 v107, 16, v91
	v_cndmask_b32_e64 v113, v115, v83, s15
	v_cndmask_b32_e64 v82, v94, v87, s5
	;; [unrolled: 1-line block ×7, first 2 shown]
	v_cndmask_b32_e32 v90, v102, v95, vcc_lo
	v_cndmask_b32_e32 v102, v106, v99, vcc_lo
	v_cndmask_b32_e64 v106, v110, v95, s13
	v_cndmask_b32_e64 v110, v111, v99, s13
	;; [unrolled: 1-line block ×4, first 2 shown]
	v_lshrrev_b32_e32 v96, 16, v80
	v_lshrrev_b32_e32 v100, 16, v84
	v_cndmask_b32_e64 v111, v112, v95, s17
	v_cndmask_b32_e64 v112, v113, v99, s17
	v_cndmask_b32_e32 v82, v82, v103, vcc_lo
	v_cndmask_b32_e32 v83, v83, v107, vcc_lo
	v_cndmask_b32_e64 v94, v94, v103, s13
	v_cndmask_b32_e64 v90, v90, v80, s3
	v_cndmask_b32_e64 v95, v102, v84, s3
	v_cndmask_b32_e64 v99, v106, v80, s19
	v_cndmask_b32_e64 v102, v110, v84, s19
	v_cndmask_b32_e64 v78, v78, v80, s22
	v_cndmask_b32_e64 v79, v79, v84, s22
	v_lshrrev_b32_e32 v104, 16, v88
	v_cndmask_b32_e64 v106, v111, v80, s21
	v_cndmask_b32_e64 v110, v112, v84, s21
	;; [unrolled: 1-line block ×11, first 2 shown]
	v_lshrrev_b32_e32 v97, 16, v81
	v_lshrrev_b32_e32 v101, 16, v85
	v_cndmask_b32_e64 v99, v106, v96, s23
	v_cndmask_b32_e64 v102, v110, v100, s23
	;; [unrolled: 1-line block ×7, first 2 shown]
	v_lshrrev_b32_e32 v105, 16, v89
	v_cndmask_b32_e64 v80, v80, v104, s6
	v_cndmask_b32_e64 v84, v84, v81, s7
	;; [unrolled: 1-line block ×16, first 2 shown]
	v_perm_b32 v81, v79, v78, 0x5040100
	v_perm_b32 v79, v95, v85, 0x5040100
	v_cndmask_b32_e64 v78, v119, v91, s15
	v_cndmask_b32_e64 v85, v117, v91, s12
	;; [unrolled: 1-line block ×3, first 2 shown]
	v_perm_b32 v80, v94, v90, 0x5040100
	v_cndmask_b32_e64 v90, v98, v103, s17
	v_cndmask_b32_e64 v86, v86, v103, s18
	;; [unrolled: 1-line block ×5, first 2 shown]
	v_lshrrev_b32_e32 v108, 16, v92
	v_cndmask_b32_e64 v90, v90, v88, s21
	v_cndmask_b32_e64 v86, v86, v88, s22
	;; [unrolled: 1-line block ×11, first 2 shown]
	v_lshrrev_b32_e32 v109, 16, v93
	v_cndmask_b32_e64 v82, v82, v93, s7
	v_cndmask_b32_e64 v88, v88, v89, s26
	;; [unrolled: 1-line block ×12, first 2 shown]
	v_perm_b32 v78, v84, v83, 0x5040100
	v_perm_b32 v85, v87, v86, 0x5040100
	v_perm_b32 v84, v89, v88, 0x5040100
	v_perm_b32 v83, v90, v97, 0x5040100
	v_perm_b32 v82, v82, v96, 0x5040100
	s_mul_i32 s8, s33, 14
	s_mov_b32 s3, exec_lo
	ds_store_b128 v74, v[78:81]
	ds_store_b128 v74, v[82:85] offset:1024
	v_cmpx_gt_u32_e32 14, v0
	s_cbranch_execz .LBB1163_14
; %bb.13:
	s_mul_i32 s4, s8, s34
	s_delay_alu instid0(SALU_CYCLE_1) | instskip(SKIP_1) | instid1(VALU_DEP_1)
	v_add3_u32 v68, s4, s31, v68
	s_load_b128 s[4:7], s[0:1], 0x58
	v_mad_u64_u32 v[78:79], null, v68, s35, s[14:15]
	s_delay_alu instid0(VALU_DEP_1) | instskip(NEXT) | instid1(VALU_DEP_1)
	v_ashrrev_i32_e32 v79, 31, v78
	v_lshlrev_b64 v[78:79], 2, v[78:79]
	s_waitcnt lgkmcnt(0)
	s_delay_alu instid0(VALU_DEP_1) | instskip(NEXT) | instid1(VALU_DEP_2)
	v_add_co_u32 v80, vcc_lo, s6, v78
	v_add_co_ci_u32_e32 v81, vcc_lo, s7, v79, vcc_lo
	v_add_co_u32 v78, vcc_lo, s4, v78
	v_add_co_ci_u32_e32 v79, vcc_lo, s5, v79, vcc_lo
	global_store_b32 v[80:81], v76, off
	global_store_b32 v[78:79], v77, off
.LBB1163_14:
	s_or_b32 exec_lo, exec_lo, s3
	s_waitcnt lgkmcnt(0)
	s_waitcnt_vscnt null, 0x0
	s_barrier
	buffer_gl0_inv
	ds_load_b128 v[84:87], v73
	ds_load_b128 v[88:91], v73 offset:16
	ds_load_b128 v[96:99], v73 offset:2064
	;; [unrolled: 1-line block ×5, first 2 shown]
	v_cmp_eq_u32_e32 vcc_lo, 1, v70
	v_mov_b32_e32 v76, 0
	ds_load_b128 v[112:115], v73 offset:6160
	ds_load_b128 v[108:111], v73 offset:6144
	;; [unrolled: 1-line block ×4, first 2 shown]
	v_cmp_eq_u32_e64 s4, 1, v69
	v_cmp_eq_u32_e64 s3, 1, v72
	v_cmp_eq_u32_e64 s5, 2, v72
	v_mov_b32_e32 v77, v76
	v_mov_b32_e32 v78, v76
	;; [unrolled: 1-line block ×7, first 2 shown]
	v_cmp_eq_u32_e64 s6, 3, v72
	v_cmp_eq_u32_e64 s7, 7, v72
	s_waitcnt lgkmcnt(8)
	s_delay_alu instid0(VALU_DEP_3)
	v_wmma_f32_16x16x16_f16 v[76:83], v[49:56], v[84:91], v[76:83]
	ds_load_b128 v[53:56], v73 offset:10256
	ds_load_b128 v[49:52], v73 offset:10240
	s_waitcnt lgkmcnt(8)
	v_wmma_f32_16x16x16_f16 v[76:83], v[41:48], v[92:99], v[76:83]
	ds_load_b128 v[45:48], v73 offset:12304
	ds_load_b128 v[41:44], v73 offset:12288
	s_waitcnt lgkmcnt(8)
	;; [unrolled: 4-line block ×3, first 2 shown]
	s_barrier
	buffer_gl0_inv
	v_wmma_f32_16x16x16_f16 v[76:83], v[1:8], v[108:115], v[76:83]
	s_delay_alu instid0(VALU_DEP_1) | instskip(NEXT) | instid1(VALU_DEP_1)
	v_wmma_f32_16x16x16_f16 v[76:83], v[9:16], v[116:123], v[76:83]
	v_wmma_f32_16x16x16_f16 v[76:83], v[17:24], v[49:56], v[76:83]
	s_delay_alu instid0(VALU_DEP_1) | instskip(NEXT) | instid1(VALU_DEP_1)
	v_wmma_f32_16x16x16_f16 v[76:83], v[25:32], v[41:48], v[76:83]
	v_wmma_f32_16x16x16_f16 v[76:83], v[57:64], v[33:40], v[76:83]
	s_delay_alu instid0(VALU_DEP_1) | instskip(NEXT) | instid1(VALU_DEP_2)
	v_cvt_f16_f32_e32 v1, v76
	v_cvt_f16_f32_e32 v2, v77
	s_delay_alu instid0(VALU_DEP_3) | instskip(NEXT) | instid1(VALU_DEP_4)
	v_cvt_f16_f32_e32 v3, v78
	v_cvt_f16_f32_e32 v4, v79
	;; [unrolled: 1-line block ×6, first 2 shown]
	v_pack_b32_f16 v1, v1, v2
	v_pack_b32_f16 v2, v3, v4
	;; [unrolled: 1-line block ×3, first 2 shown]
	s_delay_alu instid0(VALU_DEP_4)
	v_pack_b32_f16 v4, v7, v8
	ds_store_b128 v74, v[1:4]
	s_waitcnt lgkmcnt(0)
	s_barrier
	buffer_gl0_inv
	ds_load_b128 v[1:4], v75
	ds_load_b128 v[5:8], v75 offset:16
	s_waitcnt lgkmcnt(1)
	v_lshrrev_b32_e32 v9, 16, v1
	s_waitcnt lgkmcnt(0)
	v_lshrrev_b32_e32 v13, 16, v5
	v_lshrrev_b32_e32 v10, 16, v2
	v_lshrrev_b32_e32 v14, 16, v6
	v_lshrrev_b32_e32 v11, 16, v3
	v_cndmask_b32_e32 v17, v1, v9, vcc_lo
	v_cndmask_b32_e32 v18, v5, v13, vcc_lo
	v_cndmask_b32_e64 v21, v1, v9, s4
	v_cmp_eq_u32_e32 vcc_lo, 1, v71
	v_cndmask_b32_e64 v22, v5, v13, s4
	v_cmp_eq_u32_e64 s4, 2, v70
	v_cndmask_b32_e64 v19, v1, v9, s3
	v_cndmask_b32_e64 v20, v5, v13, s3
	v_cndmask_b32_e32 v1, v1, v9, vcc_lo
	v_cmp_eq_u32_e64 s3, 2, v71
	v_cndmask_b32_e32 v5, v5, v13, vcc_lo
	v_cndmask_b32_e64 v9, v17, v2, s4
	v_cmp_eq_u32_e32 vcc_lo, 3, v70
	v_cndmask_b32_e64 v13, v18, v6, s4
	v_cmp_eq_u32_e64 s4, 2, v69
	v_cndmask_b32_e64 v17, v19, v2, s5
	v_cndmask_b32_e64 v18, v20, v6, s5
	v_cmp_eq_u32_e64 s5, 3, v69
	v_cndmask_b32_e64 v1, v1, v2, s3
	v_cndmask_b32_e64 v19, v21, v2, s4
	;; [unrolled: 1-line block ×4, first 2 shown]
	v_cndmask_b32_e32 v5, v9, v10, vcc_lo
	v_cndmask_b32_e32 v6, v13, v14, vcc_lo
	v_cmp_eq_u32_e32 vcc_lo, 3, v71
	v_cndmask_b32_e64 v9, v17, v10, s6
	v_cndmask_b32_e64 v13, v18, v14, s6
	;; [unrolled: 1-line block ×3, first 2 shown]
	v_cmp_eq_u32_e64 s4, 4, v70
	v_cndmask_b32_e32 v1, v1, v10, vcc_lo
	v_cndmask_b32_e32 v2, v2, v14, vcc_lo
	v_cmp_eq_u32_e32 vcc_lo, 4, v72
	v_lshrrev_b32_e32 v15, 16, v7
	v_lshrrev_b32_e32 v16, 16, v8
	v_cndmask_b32_e64 v17, v19, v10, s5
	v_cmp_eq_u32_e64 s3, 4, v71
	v_cndmask_b32_e64 v5, v5, v3, s4
	v_cndmask_b32_e64 v6, v6, v7, s4
	v_cndmask_b32_e32 v9, v9, v3, vcc_lo
	v_cmp_eq_u32_e64 s4, 5, v72
	v_cndmask_b32_e32 v10, v13, v7, vcc_lo
	v_cmp_eq_u32_e32 vcc_lo, 4, v69
	v_cmp_eq_u32_e64 s5, 5, v70
	v_cndmask_b32_e64 v2, v2, v7, s3
	v_cndmask_b32_e64 v9, v9, v11, s4
	;; [unrolled: 1-line block ×3, first 2 shown]
	v_cndmask_b32_e32 v13, v17, v3, vcc_lo
	v_cmp_eq_u32_e64 s4, 5, v69
	v_cndmask_b32_e32 v14, v18, v7, vcc_lo
	v_cndmask_b32_e64 v1, v1, v3, s3
	v_cmp_eq_u32_e32 vcc_lo, 5, v71
	v_lshrrev_b32_e32 v12, 16, v4
	v_cndmask_b32_e64 v13, v13, v11, s4
	v_cndmask_b32_e64 v3, v14, v15, s4
	v_cmp_eq_u32_e64 s4, 6, v71
	v_cndmask_b32_e32 v1, v1, v11, vcc_lo
	v_cndmask_b32_e64 v5, v5, v11, s5
	v_cmp_eq_u32_e64 s6, 6, v70
	v_cndmask_b32_e64 v6, v6, v15, s5
	v_cmp_eq_u32_e64 s5, 6, v72
	v_cmp_eq_u32_e64 s3, 6, v69
	v_cndmask_b32_e64 v1, v1, v4, s4
	v_cndmask_b32_e32 v2, v2, v15, vcc_lo
	v_cmp_eq_u32_e32 vcc_lo, 7, v71
	v_cndmask_b32_e64 v5, v5, v4, s6
	v_cndmask_b32_e64 v9, v9, v4, s5
	;; [unrolled: 1-line block ×3, first 2 shown]
	v_cmp_eq_u32_e64 s6, 7, v70
	v_cndmask_b32_e32 v1, v1, v12, vcc_lo
	v_cndmask_b32_e64 v7, v13, v4, s3
	v_cndmask_b32_e64 v3, v3, v8, s3
	;; [unrolled: 1-line block ×3, first 2 shown]
	v_cmp_eq_u32_e64 s3, 7, v69
	v_cndmask_b32_e64 v4, v10, v8, s5
	v_cndmask_b32_e64 v5, v5, v12, s6
	;; [unrolled: 1-line block ×3, first 2 shown]
	v_cndmask_b32_e32 v2, v2, v16, vcc_lo
	v_cndmask_b32_e64 v7, v7, v12, s3
	v_cndmask_b32_e64 v3, v3, v16, s3
	v_cndmask_b32_e64 v8, v4, v16, s7
	v_cndmask_b32_e64 v6, v6, v16, s6
	v_cmp_gt_u32_e32 vcc_lo, 32, v0
	v_perm_b32 v4, v2, v1, 0x5040100
	v_perm_b32 v3, v3, v7, 0x5040100
	;; [unrolled: 1-line block ×4, first 2 shown]
	s_and_b32 s2, vcc_lo, s2
	ds_store_b128 v74, v[1:4]
	s_waitcnt lgkmcnt(0)
	s_barrier
	buffer_gl0_inv
	s_and_saveexec_b32 s3, s2
	s_cbranch_execz .LBB1163_2
; %bb.15:
	s_load_b64 s[0:1], s[0:1], 0x68
	v_lshlrev_b32_e32 v0, 10, v0
	s_lshl_b32 s4, s35, 6
	v_or_b32_e32 v3, s31, v66
	s_mul_i32 s2, s4, s34
	v_lshlrev_b32_e32 v1, 4, v67
	v_lshlrev_b32_e32 v2, 6, v66
	v_and_b32_e32 v0, 0x3800, v0
	s_mul_i32 s2, s2, s8
	v_mul_lo_u32 v8, v3, s4
	s_ashr_i32 s3, s2, 31
	s_delay_alu instid0(SALU_CYCLE_1)
	s_lshl_b64 s[2:3], s[2:3], 1
	v_or3_b32 v16, v0, v1, v2
	ds_load_b128 v[0:3], v16
	ds_load_b128 v[4:7], v16 offset:128
	v_ashrrev_i32_e32 v9, 31, v8
	s_waitcnt lgkmcnt(0)
	s_add_u32 s2, s0, s2
	s_addc_u32 s3, s1, s3
	s_lshl_b32 s0, s14, 6
	s_delay_alu instid0(SALU_CYCLE_1) | instskip(SKIP_2) | instid1(SALU_CYCLE_1)
	s_ashr_i32 s1, s0, 31
	v_lshlrev_b64 v[9:10], 1, v[8:9]
	s_lshl_b64 s[0:1], s[0:1], 1
	s_add_u32 s0, s2, s0
	s_addc_u32 s1, s3, s1
	s_lshl_b32 s2, s35, 7
	v_add_co_u32 v30, s0, s0, v65
	v_add_nc_u32_e32 v11, s2, v8
	v_add_co_ci_u32_e64 v31, null, s1, 0, s0
	s_delay_alu instid0(VALU_DEP_3) | instskip(NEXT) | instid1(VALU_DEP_3)
	v_add_co_u32 v9, vcc_lo, v30, v9
	v_add_nc_u32_e32 v8, s2, v11
	s_delay_alu instid0(VALU_DEP_3) | instskip(SKIP_1) | instid1(VALU_DEP_3)
	v_add_co_ci_u32_e32 v10, vcc_lo, v31, v10, vcc_lo
	v_ashrrev_i32_e32 v12, 31, v11
	v_add_nc_u32_e32 v13, s2, v8
	global_store_b128 v[9:10], v[0:3], off
	v_ashrrev_i32_e32 v9, 31, v8
	v_lshlrev_b64 v[11:12], 1, v[11:12]
	v_ashrrev_i32_e32 v14, 31, v13
	v_add_nc_u32_e32 v10, s2, v13
	s_delay_alu instid0(VALU_DEP_4) | instskip(NEXT) | instid1(VALU_DEP_4)
	v_lshlrev_b64 v[2:3], 1, v[8:9]
	v_add_co_u32 v0, vcc_lo, v30, v11
	s_delay_alu instid0(VALU_DEP_4)
	v_lshlrev_b64 v[8:9], 1, v[13:14]
	v_add_co_ci_u32_e32 v1, vcc_lo, v31, v12, vcc_lo
	v_ashrrev_i32_e32 v11, 31, v10
	v_add_co_u32 v22, vcc_lo, v30, v2
	v_add_nc_u32_e32 v20, s2, v10
	v_add_co_ci_u32_e32 v23, vcc_lo, v31, v3, vcc_lo
	v_add_co_u32 v24, vcc_lo, v30, v8
	global_store_b128 v[0:1], v[4:7], off
	v_add_co_ci_u32_e32 v25, vcc_lo, v31, v9, vcc_lo
	ds_load_b128 v[0:3], v16 offset:256
	ds_load_b128 v[4:7], v16 offset:384
	v_lshlrev_b64 v[26:27], 1, v[10:11]
	ds_load_b128 v[8:11], v16 offset:512
	ds_load_b128 v[12:15], v16 offset:640
	;; [unrolled: 1-line block ×3, first 2 shown]
	v_add_nc_u32_e32 v28, s2, v20
	v_ashrrev_i32_e32 v21, 31, v20
	v_add_co_u32 v26, vcc_lo, v30, v26
	s_delay_alu instid0(VALU_DEP_3) | instskip(NEXT) | instid1(VALU_DEP_3)
	v_ashrrev_i32_e32 v29, 31, v28
	v_lshlrev_b64 v[20:21], 1, v[20:21]
	v_add_co_ci_u32_e32 v27, vcc_lo, v31, v27, vcc_lo
	s_delay_alu instid0(VALU_DEP_3) | instskip(NEXT) | instid1(VALU_DEP_3)
	v_lshlrev_b64 v[28:29], 1, v[28:29]
	v_add_co_u32 v20, vcc_lo, v30, v20
	s_delay_alu instid0(VALU_DEP_4) | instskip(NEXT) | instid1(VALU_DEP_3)
	v_add_co_ci_u32_e32 v21, vcc_lo, v31, v21, vcc_lo
	v_add_co_u32 v28, vcc_lo, v30, v28
	s_delay_alu instid0(VALU_DEP_4)
	v_add_co_ci_u32_e32 v29, vcc_lo, v31, v29, vcc_lo
	s_waitcnt lgkmcnt(4)
	global_store_b128 v[22:23], v[0:3], off
	s_waitcnt lgkmcnt(3)
	global_store_b128 v[24:25], v[4:7], off
	s_waitcnt lgkmcnt(2)
	global_store_b128 v[26:27], v[8:11], off
	s_waitcnt lgkmcnt(1)
	global_store_b128 v[20:21], v[12:15], off
	s_waitcnt lgkmcnt(0)
	global_store_b128 v[28:29], v[16:19], off
	s_nop 0
	s_sendmsg sendmsg(MSG_DEALLOC_VGPRS)
	s_endpgm
	.section	.rodata,"a",@progbits
	.p2align	6, 0x0
	.amdhsa_kernel _Z39paged_attention_ll4mi_QKV_mfma16_kernelIDF16_hLN4vllm18Fp8KVCacheDataTypeE1EhLi32ELi64ELi256ELb1ELi14EL8MFMAType0EEvPKT_PKT0_S8_ifPKiSA_SA_iPKfiiiPfSD_PS3_PT2_iSC_SC_
		.amdhsa_group_segment_fixed_size 17472
		.amdhsa_private_segment_fixed_size 0
		.amdhsa_kernarg_size 400
		.amdhsa_user_sgpr_count 13
		.amdhsa_user_sgpr_dispatch_ptr 0
		.amdhsa_user_sgpr_queue_ptr 0
		.amdhsa_user_sgpr_kernarg_segment_ptr 1
		.amdhsa_user_sgpr_dispatch_id 0
		.amdhsa_user_sgpr_private_segment_size 0
		.amdhsa_wavefront_size32 1
		.amdhsa_uses_dynamic_stack 0
		.amdhsa_enable_private_segment 0
		.amdhsa_system_sgpr_workgroup_id_x 1
		.amdhsa_system_sgpr_workgroup_id_y 1
		.amdhsa_system_sgpr_workgroup_id_z 1
		.amdhsa_system_sgpr_workgroup_info 0
		.amdhsa_system_vgpr_workitem_id 0
		.amdhsa_next_free_vgpr 146
		.amdhsa_next_free_sgpr 38
		.amdhsa_reserve_vcc 1
		.amdhsa_float_round_mode_32 0
		.amdhsa_float_round_mode_16_64 0
		.amdhsa_float_denorm_mode_32 3
		.amdhsa_float_denorm_mode_16_64 3
		.amdhsa_dx10_clamp 1
		.amdhsa_ieee_mode 1
		.amdhsa_fp16_overflow 0
		.amdhsa_workgroup_processor_mode 1
		.amdhsa_memory_ordered 1
		.amdhsa_forward_progress 0
		.amdhsa_shared_vgpr_count 0
		.amdhsa_exception_fp_ieee_invalid_op 0
		.amdhsa_exception_fp_denorm_src 0
		.amdhsa_exception_fp_ieee_div_zero 0
		.amdhsa_exception_fp_ieee_overflow 0
		.amdhsa_exception_fp_ieee_underflow 0
		.amdhsa_exception_fp_ieee_inexact 0
		.amdhsa_exception_int_div_zero 0
	.end_amdhsa_kernel
	.section	.text._Z39paged_attention_ll4mi_QKV_mfma16_kernelIDF16_hLN4vllm18Fp8KVCacheDataTypeE1EhLi32ELi64ELi256ELb1ELi14EL8MFMAType0EEvPKT_PKT0_S8_ifPKiSA_SA_iPKfiiiPfSD_PS3_PT2_iSC_SC_,"axG",@progbits,_Z39paged_attention_ll4mi_QKV_mfma16_kernelIDF16_hLN4vllm18Fp8KVCacheDataTypeE1EhLi32ELi64ELi256ELb1ELi14EL8MFMAType0EEvPKT_PKT0_S8_ifPKiSA_SA_iPKfiiiPfSD_PS3_PT2_iSC_SC_,comdat
.Lfunc_end1163:
	.size	_Z39paged_attention_ll4mi_QKV_mfma16_kernelIDF16_hLN4vllm18Fp8KVCacheDataTypeE1EhLi32ELi64ELi256ELb1ELi14EL8MFMAType0EEvPKT_PKT0_S8_ifPKiSA_SA_iPKfiiiPfSD_PS3_PT2_iSC_SC_, .Lfunc_end1163-_Z39paged_attention_ll4mi_QKV_mfma16_kernelIDF16_hLN4vllm18Fp8KVCacheDataTypeE1EhLi32ELi64ELi256ELb1ELi14EL8MFMAType0EEvPKT_PKT0_S8_ifPKiSA_SA_iPKfiiiPfSD_PS3_PT2_iSC_SC_
                                        ; -- End function
	.section	.AMDGPU.csdata,"",@progbits
; Kernel info:
; codeLenInByte = 6648
; NumSgprs: 40
; NumVgprs: 146
; ScratchSize: 0
; MemoryBound: 0
; FloatMode: 240
; IeeeMode: 1
; LDSByteSize: 17472 bytes/workgroup (compile time only)
; SGPRBlocks: 4
; VGPRBlocks: 18
; NumSGPRsForWavesPerEU: 40
; NumVGPRsForWavesPerEU: 146
; Occupancy: 9
; WaveLimiterHint : 1
; COMPUTE_PGM_RSRC2:SCRATCH_EN: 0
; COMPUTE_PGM_RSRC2:USER_SGPR: 13
; COMPUTE_PGM_RSRC2:TRAP_HANDLER: 0
; COMPUTE_PGM_RSRC2:TGID_X_EN: 1
; COMPUTE_PGM_RSRC2:TGID_Y_EN: 1
; COMPUTE_PGM_RSRC2:TGID_Z_EN: 1
; COMPUTE_PGM_RSRC2:TIDIG_COMP_CNT: 0
	.section	.text._Z39paged_attention_ll4mi_QKV_mfma16_kernelIDF16_hLN4vllm18Fp8KVCacheDataTypeE1EhLi32ELi64ELi256ELb1ELi15EL8MFMAType0EEvPKT_PKT0_S8_ifPKiSA_SA_iPKfiiiPfSD_PS3_PT2_iSC_SC_,"axG",@progbits,_Z39paged_attention_ll4mi_QKV_mfma16_kernelIDF16_hLN4vllm18Fp8KVCacheDataTypeE1EhLi32ELi64ELi256ELb1ELi15EL8MFMAType0EEvPKT_PKT0_S8_ifPKiSA_SA_iPKfiiiPfSD_PS3_PT2_iSC_SC_,comdat
	.protected	_Z39paged_attention_ll4mi_QKV_mfma16_kernelIDF16_hLN4vllm18Fp8KVCacheDataTypeE1EhLi32ELi64ELi256ELb1ELi15EL8MFMAType0EEvPKT_PKT0_S8_ifPKiSA_SA_iPKfiiiPfSD_PS3_PT2_iSC_SC_ ; -- Begin function _Z39paged_attention_ll4mi_QKV_mfma16_kernelIDF16_hLN4vllm18Fp8KVCacheDataTypeE1EhLi32ELi64ELi256ELb1ELi15EL8MFMAType0EEvPKT_PKT0_S8_ifPKiSA_SA_iPKfiiiPfSD_PS3_PT2_iSC_SC_
	.globl	_Z39paged_attention_ll4mi_QKV_mfma16_kernelIDF16_hLN4vllm18Fp8KVCacheDataTypeE1EhLi32ELi64ELi256ELb1ELi15EL8MFMAType0EEvPKT_PKT0_S8_ifPKiSA_SA_iPKfiiiPfSD_PS3_PT2_iSC_SC_
	.p2align	8
	.type	_Z39paged_attention_ll4mi_QKV_mfma16_kernelIDF16_hLN4vllm18Fp8KVCacheDataTypeE1EhLi32ELi64ELi256ELb1ELi15EL8MFMAType0EEvPKT_PKT0_S8_ifPKiSA_SA_iPKfiiiPfSD_PS3_PT2_iSC_SC_,@function
_Z39paged_attention_ll4mi_QKV_mfma16_kernelIDF16_hLN4vllm18Fp8KVCacheDataTypeE1EhLi32ELi64ELi256ELb1ELi15EL8MFMAType0EEvPKT_PKT0_S8_ifPKiSA_SA_iPKfiiiPfSD_PS3_PT2_iSC_SC_: ; @_Z39paged_attention_ll4mi_QKV_mfma16_kernelIDF16_hLN4vllm18Fp8KVCacheDataTypeE1EhLi32ELi64ELi256ELb1ELi15EL8MFMAType0EEvPKT_PKT0_S8_ifPKiSA_SA_iPKfiiiPfSD_PS3_PT2_iSC_SC_
; %bb.0:
	s_load_b64 s[2:3], s[0:1], 0x30
	s_mov_b32 s34, s13
	s_waitcnt lgkmcnt(0)
	s_cmp_lg_u64 s[2:3], 0
	s_cselect_b32 s6, -1, 0
	s_ashr_i32 s35, s13, 31
	s_cmp_eq_u64 s[2:3], 0
	s_cbranch_scc1 .LBB1164_3
; %bb.1:
	s_lshl_b64 s[4:5], s[34:35], 2
	s_delay_alu instid0(SALU_CYCLE_1) | instskip(SKIP_4) | instid1(SALU_CYCLE_1)
	s_add_u32 s4, s2, s4
	s_addc_u32 s5, s3, s5
	s_load_b64 s[4:5], s[4:5], 0x0
	s_waitcnt lgkmcnt(0)
	s_sub_i32 s4, s5, s4
	s_cmp_eq_u32 s4, 1
	s_cselect_b32 s4, -1, 0
	s_delay_alu instid0(SALU_CYCLE_1)
	s_and_not1_b32 vcc_lo, exec_lo, s4
	s_cbranch_vccz .LBB1164_4
.LBB1164_2:
	s_nop 0
	s_sendmsg sendmsg(MSG_DEALLOC_VGPRS)
	s_endpgm
.LBB1164_3:
.LBB1164_4:
	s_load_b64 s[8:9], s[0:1], 0x28
	s_lshl_b64 s[4:5], s[34:35], 2
	s_waitcnt lgkmcnt(0)
	s_add_u32 s8, s8, s4
	s_addc_u32 s9, s9, s5
	s_lshl_b32 s16, s14, 8
	s_load_b32 s18, s[8:9], 0x0
	s_waitcnt lgkmcnt(0)
	s_cmp_ge_i32 s16, s18
	s_cbranch_scc1 .LBB1164_2
; %bb.5:
	s_clause 0x1
	s_load_b128 s[8:11], s[0:1], 0x8
	s_load_b64 s[12:13], s[0:1], 0x20
	s_and_not1_b32 vcc_lo, exec_lo, s6
	s_cbranch_vccnz .LBB1164_7
; %bb.6:
	s_add_u32 s2, s2, s4
	s_addc_u32 s3, s3, s5
	s_load_b32 s3, s[2:3], 0x0
	s_branch .LBB1164_8
.LBB1164_7:
	s_mov_b32 s3, s34
.LBB1164_8:
	s_load_b128 s[4:7], s[0:1], 0x48
	v_lshrrev_b32_e32 v69, 5, v0
	v_bfe_u32 v66, v0, 4, 1
	v_and_b32_e32 v68, 15, v0
	v_and_b32_e32 v70, 31, v0
	;; [unrolled: 1-line block ×3, first 2 shown]
	s_mul_i32 s33, s15, 15
	v_lshl_or_b32 v1, v69, 1, v66
	v_lshlrev_b32_e32 v2, 3, v68
	v_cmp_gt_u32_e64 s2, 8, v68
	s_delay_alu instid0(VALU_DEP_3) | instskip(NEXT) | instid1(VALU_DEP_3)
	v_cmp_gt_u32_e32 vcc_lo, 15, v1
	v_lshlrev_b32_e32 v65, 1, v2
	s_delay_alu instid0(VALU_DEP_3)
	s_and_b32 s17, s2, vcc_lo
	s_waitcnt lgkmcnt(0)
	s_and_saveexec_b32 s7, s17
	s_cbranch_execz .LBB1164_10
; %bb.9:
	s_load_b64 s[20:21], s[0:1], 0x0
	v_add_lshl_u32 v2, v1, s33, 6
	s_mul_hi_i32 s23, s3, s4
	s_mul_i32 s22, s3, s4
	v_lshlrev_b32_e32 v6, 10, v68
	s_lshl_b64 s[22:23], s[22:23], 1
	v_ashrrev_i32_e32 v3, 31, v2
	v_lshlrev_b32_e32 v1, 6, v1
	v_lshlrev_b32_e32 v7, 10, v67
	v_and_b32_e32 v6, 0x3800, v6
	s_delay_alu instid0(VALU_DEP_4) | instskip(NEXT) | instid1(VALU_DEP_2)
	v_lshlrev_b64 v[2:3], 1, v[2:3]
	v_or3_b32 v1, v6, v7, v1
	s_waitcnt lgkmcnt(0)
	s_add_u32 s3, s20, s22
	s_addc_u32 s4, s21, s23
	s_delay_alu instid0(VALU_DEP_2) | instskip(SKIP_1) | instid1(VALU_DEP_2)
	v_add_co_u32 v2, vcc_lo, s3, v2
	v_add_co_ci_u32_e32 v3, vcc_lo, s4, v3, vcc_lo
	v_add_co_u32 v2, vcc_lo, v2, v65
	s_delay_alu instid0(VALU_DEP_2)
	v_add_co_ci_u32_e32 v3, vcc_lo, 0, v3, vcc_lo
	global_load_b128 v[2:5], v[2:3], off
	s_waitcnt vmcnt(0)
	ds_store_b128 v1, v[2:5]
.LBB1164_10:
	s_or_b32 exec_lo, exec_lo, s7
	v_and_b32_e32 v1, 0xef, v0
	s_add_i32 s3, s18, 31
	s_clause 0x1
	s_load_b32 s4, s[0:1], 0x38
	s_load_b32 s35, s[0:1], 0x98
	s_ashr_i32 s7, s3, 31
	v_add_nc_u32_e32 v1, s16, v1
	s_lshr_b32 s7, s7, 27
	s_load_b32 s19, s[0:1], 0x1c
	s_add_i32 s3, s3, s7
	s_waitcnt lgkmcnt(0)
	v_ashrrev_i32_e32 v2, 31, v1
	v_or_b32_e32 v3, 16, v1
	s_ashr_i32 s3, s3, 5
	v_cmp_gt_i32_e32 vcc_lo, s18, v1
	s_add_i32 s3, s3, -1
	v_lshrrev_b32_e32 v2, 27, v2
	s_barrier
	buffer_gl0_inv
	s_mul_i32 s15, s15, s6
	v_mbcnt_lo_u32_b32 v127, -1, 0
	v_add_nc_u32_e32 v4, v1, v2
	s_mul_i32 s20, s34, s4
	s_delay_alu instid0(SALU_CYCLE_1) | instskip(NEXT) | instid1(VALU_DEP_1)
	s_ashr_i32 s21, s20, 31
	v_ashrrev_i32_e32 v4, 5, v4
	v_add_nc_u32_e32 v2, v3, v2
	s_lshl_b64 s[20:21], s[20:21], 2
	v_xor_b32_e32 v128, 16, v127
	s_add_u32 s17, s12, s20
	v_cndmask_b32_e32 v1, s3, v4, vcc_lo
	v_ashrrev_i32_e32 v2, 5, v2
	v_cmp_gt_i32_e32 vcc_lo, s18, v3
	s_addc_u32 s13, s13, s21
	s_ashr_i32 s20, s15, 31
	s_add_u32 s22, s8, s15
	s_addc_u32 s23, s9, s20
	v_cndmask_b32_e32 v3, s3, v2, vcc_lo
	v_ashrrev_i32_e32 v2, 31, v1
	s_lshl_b32 s6, s14, 3
	s_delay_alu instid0(SALU_CYCLE_1) | instskip(NEXT) | instid1(VALU_DEP_2)
	s_ashr_i32 s7, s6, 31
	v_ashrrev_i32_e32 v4, 31, v3
	s_delay_alu instid0(VALU_DEP_2) | instskip(SKIP_1) | instid1(SALU_CYCLE_1)
	v_lshlrev_b64 v[1:2], 2, v[1:2]
	s_lshl_b64 s[6:7], s[6:7], 2
	s_add_u32 s6, s17, s6
	s_delay_alu instid0(VALU_DEP_2) | instskip(SKIP_1) | instid1(VALU_DEP_2)
	v_lshlrev_b64 v[3:4], 2, v[3:4]
	s_addc_u32 s7, s13, s7
	v_add_co_u32 v1, vcc_lo, s17, v1
	v_add_co_ci_u32_e32 v2, vcc_lo, s13, v2, vcc_lo
	s_delay_alu instid0(VALU_DEP_3) | instskip(NEXT) | instid1(VALU_DEP_4)
	v_add_co_u32 v3, vcc_lo, s17, v3
	v_add_co_ci_u32_e32 v4, vcc_lo, s13, v4, vcc_lo
	s_clause 0x1
	global_load_b32 v5, v[1:2], off
	global_load_b32 v6, v[3:4], off
	s_or_b32 s4, s16, 32
	s_delay_alu instid0(SALU_CYCLE_1) | instskip(SKIP_2) | instid1(SALU_CYCLE_1)
	s_ashr_i32 s8, s4, 5
	s_cmp_lt_i32 s4, s18
	s_cselect_b32 s8, s8, s3
	s_ashr_i32 s9, s8, 31
	s_delay_alu instid0(SALU_CYCLE_1) | instskip(NEXT) | instid1(SALU_CYCLE_1)
	s_lshl_b64 s[8:9], s[8:9], 2
	s_add_u32 s8, s17, s8
	s_addc_u32 s9, s13, s9
	s_or_b32 s4, s16, 64
	s_delay_alu instid0(SALU_CYCLE_1) | instskip(SKIP_2) | instid1(SALU_CYCLE_1)
	s_ashr_i32 s12, s4, 5
	s_cmp_lt_i32 s4, s18
	s_cselect_b32 s24, s12, s3
	s_ashr_i32 s25, s24, 31
	s_delay_alu instid0(SALU_CYCLE_1) | instskip(NEXT) | instid1(SALU_CYCLE_1)
	s_lshl_b64 s[24:25], s[24:25], 2
	s_add_u32 s24, s17, s24
	s_addc_u32 s25, s13, s25
	s_or_b32 s4, s16, 0x60
	s_delay_alu instid0(SALU_CYCLE_1) | instskip(SKIP_2) | instid1(SALU_CYCLE_1)
	s_ashr_i32 s12, s4, 5
	s_cmp_lt_i32 s4, s18
	s_cselect_b32 s26, s12, s3
	s_ashr_i32 s27, s26, 31
	s_delay_alu instid0(SALU_CYCLE_1) | instskip(NEXT) | instid1(SALU_CYCLE_1)
	s_lshl_b64 s[26:27], s[26:27], 2
	s_add_u32 s26, s17, s26
	s_addc_u32 s27, s13, s27
	s_or_b32 s4, s16, 0x80
	s_delay_alu instid0(SALU_CYCLE_1) | instskip(SKIP_2) | instid1(SALU_CYCLE_1)
	s_ashr_i32 s12, s4, 5
	s_cmp_lt_i32 s4, s18
	s_cselect_b32 s28, s12, s3
	s_ashr_i32 s29, s28, 31
	s_delay_alu instid0(SALU_CYCLE_1) | instskip(NEXT) | instid1(SALU_CYCLE_1)
	s_lshl_b64 s[28:29], s[28:29], 2
	s_add_u32 s28, s17, s28
	s_addc_u32 s29, s13, s29
	s_or_b32 s4, s16, 0xa0
	s_delay_alu instid0(SALU_CYCLE_1) | instskip(SKIP_2) | instid1(SALU_CYCLE_1)
	s_ashr_i32 s12, s4, 5
	s_cmp_lt_i32 s4, s18
	s_cselect_b32 s30, s12, s3
	s_ashr_i32 s31, s30, 31
	s_delay_alu instid0(SALU_CYCLE_1) | instskip(NEXT) | instid1(SALU_CYCLE_1)
	s_lshl_b64 s[30:31], s[30:31], 2
	s_add_u32 s30, s17, s30
	s_addc_u32 s31, s13, s31
	s_clause 0x5
	s_load_b32 s12, s[6:7], 0x0
	s_load_b32 s4, s[8:9], 0x0
	;; [unrolled: 1-line block ×6, first 2 shown]
	s_or_b32 s21, s16, 0xc0
	s_waitcnt vmcnt(1)
	v_mad_i64_i32 v[1:2], null, v5, s5, s[22:23]
	v_lshlrev_b32_e32 v5, 4, v68
	s_waitcnt vmcnt(0)
	v_mad_i64_i32 v[3:4], null, v6, s5, s[22:23]
	s_ashr_i32 s22, s21, 5
	s_cmp_lt_i32 s21, s18
	s_delay_alu instid0(VALU_DEP_3) | instskip(NEXT) | instid1(VALU_DEP_4)
	v_add_co_u32 v1, vcc_lo, v1, v5
	v_add_co_ci_u32_e32 v2, vcc_lo, 0, v2, vcc_lo
	s_delay_alu instid0(VALU_DEP_3) | instskip(NEXT) | instid1(VALU_DEP_4)
	v_add_co_u32 v3, vcc_lo, v3, v5
	v_add_co_ci_u32_e32 v4, vcc_lo, 0, v4, vcc_lo
	s_clause 0x7
	global_load_b128 v[71:74], v[1:2], off
	global_load_b128 v[75:78], v[1:2], off offset:512
	global_load_b128 v[79:82], v[3:4], off offset:256
	;; [unrolled: 1-line block ×7, first 2 shown]
	s_cselect_b32 s22, s22, s3
	v_lshlrev_b32_e32 v1, 5, v68
	s_ashr_i32 s23, s22, 31
	v_cmp_ne_u32_e32 vcc_lo, 15, v68
	s_lshl_b64 s[22:23], s[22:23], 2
	s_delay_alu instid0(SALU_CYCLE_1)
	s_add_u32 s22, s17, s22
	s_addc_u32 s23, s13, s23
	s_or_b32 s21, s16, 0xe0
	v_lshl_or_b32 v1, v69, 9, v1
	s_ashr_i32 s24, s21, 5
	s_cmp_lt_i32 s21, s18
	v_cndmask_b32_e32 v103, 0, v68, vcc_lo
	s_cselect_b32 s24, s24, s3
	s_load_b32 s3, s[22:23], 0x0
	s_ashr_i32 s25, s24, 31
	v_cmp_gt_i32_e32 vcc_lo, 32, v128
	s_lshl_b64 s[24:25], s[24:25], 2
	v_lshlrev_b32_e32 v115, 6, v103
	s_add_u32 s22, s17, s24
	s_addc_u32 s23, s13, s25
	v_cndmask_b32_e32 v136, v127, v128, vcc_lo
	s_add_u32 s10, s10, s15
	s_addc_u32 s11, s11, s20
	v_add_co_u32 v1, s10, s10, v1
	s_delay_alu instid0(VALU_DEP_1) | instskip(SKIP_2) | instid1(VALU_DEP_1)
	v_add_co_ci_u32_e64 v2, null, s11, 0, s10
	s_load_b32 s10, s[22:23], 0x0
	s_waitcnt lgkmcnt(0)
	v_mad_i64_i32 v[3:4], null, s12, s5, v[1:2]
	v_mad_i64_i32 v[9:10], null, s7, s5, v[1:2]
	;; [unrolled: 1-line block ×7, first 2 shown]
	s_clause 0x5
	global_load_b128 v[49:52], v[3:4], off
	global_load_b128 v[53:56], v[3:4], off offset:16
	global_load_b128 v[41:44], v[5:6], off
	global_load_b128 v[45:48], v[5:6], off offset:16
	global_load_b128 v[33:36], v[7:8], off
	global_load_b128 v[37:40], v[7:8], off offset:16
	s_mov_b32 s4, 0
	v_mad_i64_i32 v[61:62], null, s10, s5, v[1:2]
	s_clause 0x9
	global_load_b128 v[1:4], v[9:10], off
	global_load_b128 v[5:8], v[9:10], off offset:16
	global_load_b128 v[9:12], v[13:14], off
	global_load_b128 v[13:16], v[13:14], off offset:16
	;; [unrolled: 2-line block ×5, first 2 shown]
	s_mov_b32 s5, s4
	s_mov_b32 s6, s4
	;; [unrolled: 1-line block ×7, first 2 shown]
	v_and_b32_e32 v104, 0xe0, v0
	v_dual_mov_b32 v126, s11 :: v_dual_mov_b32 v125, s10
	v_dual_mov_b32 v124, s9 :: v_dual_mov_b32 v123, s8
	s_delay_alu instid0(VALU_DEP_3)
	v_add_nc_u32_e32 v111, s16, v104
	ds_load_b128 v[103:106], v115
	ds_load_b128 v[107:110], v115 offset:1024
	v_dual_mov_b32 v122, s7 :: v_dual_mov_b32 v121, s6
	v_mov_b32_e32 v120, s5
	v_or_b32_e32 v135, v111, v66
	ds_load_b128 v[111:114], v115 offset:2048
	ds_load_b128 v[115:118], v115 offset:3072
	v_mov_b32_e32 v119, s4
	s_waitcnt vmcnt(0) lgkmcnt(0)
	s_barrier
	v_or_b32_e32 v137, 2, v135
	v_or_b32_e32 v138, 4, v135
	;; [unrolled: 1-line block ×3, first 2 shown]
	v_cmp_gt_i32_e32 vcc_lo, s18, v135
	v_or_b32_e32 v140, 8, v135
	v_cmp_gt_i32_e64 s3, s18, v137
	v_or_b32_e32 v141, 10, v135
	v_cmp_gt_i32_e64 s4, s18, v138
	v_cmp_gt_i32_e64 s5, s18, v139
	v_or_b32_e32 v142, 12, v135
	v_or_b32_e32 v143, 14, v135
	v_cmp_gt_i32_e64 s6, s18, v140
	v_cmp_gt_i32_e64 s7, s18, v141
	v_or_b32_e32 v144, 16, v135
	v_or_b32_e32 v145, 18, v135
	v_cmp_gt_i32_e64 s8, s18, v142
	v_cmp_gt_i32_e64 s9, s18, v143
	buffer_gl0_inv
	v_cmp_gt_i32_e64 s10, s18, v144
	v_cmp_gt_i32_e64 s11, s18, v145
	v_wmma_f32_16x16x16_f16 v[127:134], v[71:78], v[103:110], v[119:126]
	v_wmma_f32_16x16x16_f16 v[119:126], v[79:86], v[103:110], v[119:126]
	v_or_b32_e32 v71, 20, v135
	v_or_b32_e32 v72, 22, v135
	s_delay_alu instid0(VALU_DEP_4)
	v_wmma_f32_16x16x16_f16 v[127:134], v[87:94], v[111:118], v[127:134]
	v_or_b32_e32 v73, 24, v135
	v_wmma_f32_16x16x16_f16 v[119:126], v[95:102], v[111:118], v[119:126]
	v_or_b32_e32 v74, 26, v135
	v_cmp_gt_i32_e64 s12, s18, v71
	v_dual_mul_f32 v84, s19, v127 :: v_dual_mul_f32 v83, s19, v128
	s_delay_alu instid0(VALU_DEP_4) | instskip(SKIP_2) | instid1(VALU_DEP_4)
	v_dual_mul_f32 v92, s19, v119 :: v_dual_mul_f32 v81, s19, v130
	v_mul_f32_e32 v90, s19, v121
	v_mul_f32_e32 v82, s19, v129
	v_cndmask_b32_e32 v84, 0xff7fffff, v84, vcc_lo
	v_cndmask_b32_e64 v83, 0xff7fffff, v83, s3
	v_dual_mul_f32 v79, s19, v132 :: v_dual_mul_f32 v88, s19, v123
	v_mul_f32_e32 v80, s19, v131
	v_cndmask_b32_e64 v82, 0xff7fffff, v82, s4
	v_cndmask_b32_e64 v81, 0xff7fffff, v81, s5
	v_max3_f32 v83, v84, 0xff7fffff, v83
	v_dual_mul_f32 v77, s19, v134 :: v_dual_mul_f32 v86, s19, v125
	v_mul_f32_e32 v78, s19, v133
	v_cndmask_b32_e64 v80, 0xff7fffff, v80, s6
	v_cndmask_b32_e64 v79, 0xff7fffff, v79, s7
	v_max3_f32 v81, v83, v82, v81
	v_mul_f32_e32 v91, s19, v120
	v_cndmask_b32_e64 v78, 0xff7fffff, v78, s8
	v_cndmask_b32_e64 v77, 0xff7fffff, v77, s9
	v_mul_f32_e32 v89, s19, v122
	v_max3_f32 v79, v81, v80, v79
	v_cndmask_b32_e64 v80, 0xff7fffff, v92, s10
	v_cndmask_b32_e64 v81, 0xff7fffff, v91, s11
	v_cmp_gt_i32_e64 s13, s18, v72
	v_or_b32_e32 v75, 28, v135
	v_max3_f32 v77, v79, v78, v77
	v_or_b32_e32 v76, 30, v135
	v_mul_f32_e32 v87, s19, v124
	v_cndmask_b32_e64 v71, 0xff7fffff, v90, s12
	v_cndmask_b32_e64 v72, 0xff7fffff, v89, s13
	v_max3_f32 v77, v77, v80, v81
	v_cmp_gt_i32_e64 s15, s18, v73
	v_cmp_gt_i32_e64 s16, s18, v74
	v_mul_f32_e32 v85, s19, v126
	v_cmp_gt_i32_e64 s17, s18, v75
	v_max3_f32 v71, v77, v71, v72
	v_cndmask_b32_e64 v73, 0xff7fffff, v88, s15
	v_cndmask_b32_e64 v74, 0xff7fffff, v87, s16
	v_cmp_gt_i32_e64 s18, s18, v76
	v_cndmask_b32_e64 v72, 0xff7fffff, v86, s17
	s_delay_alu instid0(VALU_DEP_3) | instskip(NEXT) | instid1(VALU_DEP_3)
	v_max3_f32 v71, v71, v73, v74
	v_cndmask_b32_e64 v75, 0xff7fffff, v85, s18
	v_lshlrev_b32_e32 v73, 2, v136
	s_delay_alu instid0(VALU_DEP_2) | instskip(SKIP_3) | instid1(VALU_DEP_1)
	v_max3_f32 v71, v71, v72, v75
	ds_bpermute_b32 v72, v73, v71
	s_waitcnt lgkmcnt(0)
	v_max_f32_e32 v72, v72, v72
	v_max_f32_e32 v71, v71, v72
	s_delay_alu instid0(VALU_DEP_1) | instskip(SKIP_2) | instid1(VALU_DEP_3)
	v_fma_f32 v72, s19, v127, -v71
	v_fma_f32 v74, s19, v128, -v71
	;; [unrolled: 1-line block ×3, first 2 shown]
	v_mul_f32_e32 v72, 0x3fb8aa3b, v72
	s_delay_alu instid0(VALU_DEP_2) | instskip(NEXT) | instid1(VALU_DEP_2)
	v_dual_mul_f32 v74, 0x3fb8aa3b, v74 :: v_dual_mul_f32 v75, 0x3fb8aa3b, v75
	v_exp_f32_e32 v72, v72
	s_delay_alu instid0(VALU_DEP_1) | instskip(NEXT) | instid1(VALU_DEP_1)
	v_exp_f32_e32 v74, v74
	v_exp_f32_e32 v75, v75
	s_delay_alu instid0(TRANS32_DEP_3)
	v_cndmask_b32_e32 v79, 0, v72, vcc_lo
	s_waitcnt_depctr 0xfff
	v_cndmask_b32_e64 v78, 0, v74, s3
	v_cndmask_b32_e64 v81, 0, v75, s4
	v_cmp_gt_u32_e64 s3, 16, v70
	v_add_f32_e32 v74, 0, v79
	s_delay_alu instid0(VALU_DEP_1) | instskip(NEXT) | instid1(VALU_DEP_1)
	v_add_f32_e32 v74, v74, v78
	v_add_f32_e32 v74, v74, v81
	v_fma_f32 v76, s19, v130, -v71
	v_fma_f32 v77, s19, v131, -v71
	;; [unrolled: 1-line block ×5, first 2 shown]
	s_delay_alu instid0(VALU_DEP_4) | instskip(NEXT) | instid1(VALU_DEP_4)
	v_dual_mul_f32 v76, 0x3fb8aa3b, v76 :: v_dual_mul_f32 v77, 0x3fb8aa3b, v77
	v_mul_f32_e32 v72, 0x3fb8aa3b, v72
	s_delay_alu instid0(VALU_DEP_4) | instskip(SKIP_1) | instid1(VALU_DEP_4)
	v_mul_f32_e32 v82, 0x3fb8aa3b, v80
	v_fma_f32 v86, s19, v122, -v71
	v_exp_f32_e32 v76, v76
	v_exp_f32_e32 v77, v77
	;; [unrolled: 1-line block ×4, first 2 shown]
	v_mul_f32_e32 v86, 0x3fb8aa3b, v86
	s_delay_alu instid0(VALU_DEP_1)
	v_exp_f32_e32 v88, v86
	v_cndmask_b32_e64 v80, 0, v76, s5
	v_mul_f32_e32 v75, 0x3fb8aa3b, v75
	v_fma_f32 v76, s19, v119, -v71
	v_cndmask_b32_e64 v83, 0, v77, s6
	v_fma_f32 v77, s19, v120, -v71
	v_add_f32_e32 v74, v74, v80
	v_exp_f32_e32 v75, v75
	v_mul_f32_e32 v76, 0x3fb8aa3b, v76
	v_cndmask_b32_e64 v82, 0, v72, s7
	s_delay_alu instid0(VALU_DEP_3) | instskip(SKIP_1) | instid1(VALU_DEP_4)
	v_dual_mul_f32 v77, 0x3fb8aa3b, v77 :: v_dual_add_f32 v72, v74, v83
	v_fma_f32 v74, s19, v121, -v71
	v_exp_f32_e32 v76, v76
	v_cndmask_b32_e64 v85, 0, v84, s8
	s_delay_alu instid0(VALU_DEP_3) | instskip(SKIP_1) | instid1(TRANS32_DEP_3)
	v_exp_f32_e32 v77, v77
	v_cndmask_b32_e64 v88, 0, v88, s13
	v_cndmask_b32_e64 v84, 0, v75, s9
	v_fma_f32 v75, s19, v123, -v71
	v_add_f32_e32 v72, v72, v82
	s_delay_alu instid0(VALU_DEP_2) | instskip(NEXT) | instid1(VALU_DEP_2)
	v_dual_mul_f32 v74, 0x3fb8aa3b, v74 :: v_dual_mul_f32 v75, 0x3fb8aa3b, v75
	v_add_f32_e32 v72, v72, v85
	s_delay_alu instid0(VALU_DEP_2)
	v_exp_f32_e32 v74, v74
	v_cndmask_b32_e64 v87, 0, v76, s10
	v_fma_f32 v76, s19, v124, -v71
	v_cndmask_b32_e64 v86, 0, v77, s11
	v_add_f32_e32 v72, v72, v84
	v_fma_f32 v77, s19, v125, -v71
	v_exp_f32_e32 v75, v75
	v_mul_f32_e32 v76, 0x3fb8aa3b, v76
	s_delay_alu instid0(VALU_DEP_3) | instskip(NEXT) | instid1(TRANS32_DEP_2)
	v_add_f32_e32 v72, v72, v87
	v_cndmask_b32_e64 v89, 0, v74, s12
	v_mul_f32_e32 v74, 0x3fb8aa3b, v77
	s_delay_alu instid0(VALU_DEP_4) | instskip(SKIP_2) | instid1(VALU_DEP_3)
	v_exp_f32_e32 v76, v76
	v_fma_f32 v77, s19, v126, -v71
	v_add_f32_e32 v72, v72, v86
	v_exp_f32_e32 v74, v74
	s_delay_alu instid0(TRANS32_DEP_3) | instskip(NEXT) | instid1(VALU_DEP_3)
	v_cndmask_b32_e64 v91, 0, v75, s15
	v_mul_f32_e32 v75, 0x3fb8aa3b, v77
	s_delay_alu instid0(VALU_DEP_3) | instskip(NEXT) | instid1(TRANS32_DEP_2)
	v_add_f32_e32 v72, v72, v89
	v_cndmask_b32_e64 v90, 0, v76, s16
	s_delay_alu instid0(VALU_DEP_3) | instskip(NEXT) | instid1(VALU_DEP_2)
	v_exp_f32_e32 v75, v75
	v_add_f32_e32 v72, v72, v88
	s_delay_alu instid0(TRANS32_DEP_2) | instskip(NEXT) | instid1(VALU_DEP_2)
	v_cndmask_b32_e64 v93, 0, v74, s17
	v_add_f32_e32 v72, v72, v91
	s_waitcnt_depctr 0xfff
	v_cndmask_b32_e64 v92, 0, v75, s18
	v_add_f32_e32 v72, v72, v90
	s_delay_alu instid0(VALU_DEP_1) | instskip(NEXT) | instid1(VALU_DEP_1)
	v_add_f32_e32 v72, v72, v93
	v_add_f32_e32 v72, v72, v92
	ds_bpermute_b32 v73, v73, v72
	s_and_saveexec_b32 s4, s3
	s_cbranch_execz .LBB1164_12
; %bb.11:
	v_mul_u32_u24_e32 v70, 0x44, v69
	s_waitcnt lgkmcnt(0)
	v_add_f32_e32 v72, v72, v73
	s_delay_alu instid0(VALU_DEP_2) | instskip(NEXT) | instid1(VALU_DEP_1)
	v_lshl_add_u32 v70, v68, 2, v70
	v_add_nc_u32_e32 v70, 0x4000, v70
	ds_store_2addr_b32 v70, v71, v72 offset1:136
.LBB1164_12:
	s_or_b32 exec_lo, exec_lo, s4
	v_lshlrev_b32_e32 v70, 2, v68
	s_load_b32 s36, s[0:1], 0x94
	s_waitcnt lgkmcnt(0)
	s_barrier
	buffer_gl0_inv
	v_add_nc_u32_e32 v98, 0x4000, v70
	v_cmp_eq_u32_e32 vcc_lo, 1, v69
	v_cmp_eq_u32_e64 s4, 2, v69
	v_cmp_eq_u32_e64 s5, 3, v69
	;; [unrolled: 1-line block ×3, first 2 shown]
	ds_load_2addr_b32 v[70:71], v98 offset1:17
	ds_load_2addr_b32 v[72:73], v98 offset0:34 offset1:51
	ds_load_2addr_b32 v[74:75], v98 offset0:68 offset1:85
	;; [unrolled: 1-line block ×3, first 2 shown]
	v_cmp_eq_u32_e64 s7, 5, v69
	v_cmp_eq_u32_e64 s8, 7, v69
	s_waitcnt lgkmcnt(3)
	v_max3_f32 v76, v70, 0xff7fffff, v71
	s_waitcnt lgkmcnt(2)
	s_delay_alu instid0(VALU_DEP_1) | instskip(SKIP_1) | instid1(VALU_DEP_1)
	v_max3_f32 v76, v76, v72, v73
	s_waitcnt lgkmcnt(1)
	v_max3_f32 v76, v76, v74, v75
	s_waitcnt lgkmcnt(0)
	s_delay_alu instid0(VALU_DEP_1) | instskip(NEXT) | instid1(VALU_DEP_1)
	v_max3_f32 v76, v76, v94, v95
	v_sub_f32_e32 v77, v71, v76
	ds_load_2addr_b32 v[96:97], v98 offset0:136 offset1:153
	v_sub_f32_e32 v74, v74, v76
	v_sub_f32_e32 v70, v70, v76
	;; [unrolled: 1-line block ×3, first 2 shown]
	v_dual_sub_f32 v72, v72, v76 :: v_dual_mul_f32 v77, 0x3fb8aa3b, v77
	s_delay_alu instid0(VALU_DEP_4) | instskip(NEXT) | instid1(VALU_DEP_4)
	v_mul_f32_e32 v103, 0x3fb8aa3b, v74
	v_mul_f32_e32 v99, 0x3fb8aa3b, v70
	ds_load_2addr_b32 v[70:71], v98 offset0:170 offset1:187
	v_dual_mul_f32 v101, 0x3fb8aa3b, v72 :: v_dual_mul_f32 v94, 0x3fb8aa3b, v94
	v_exp_f32_e32 v102, v77
	v_exp_f32_e32 v99, v99
	s_delay_alu instid0(VALU_DEP_1) | instskip(NEXT) | instid1(VALU_DEP_1)
	v_exp_f32_e32 v101, v101
	v_exp_f32_e32 v94, v94
	s_waitcnt lgkmcnt(1)
	s_delay_alu instid0(TRANS32_DEP_3)
	v_fma_f32 v77, v99, v96, 0
	v_sub_f32_e32 v100, v73, v76
	ds_load_2addr_b32 v[72:73], v98 offset0:204 offset1:221
	v_fmac_f32_e32 v77, v102, v97
	v_exp_f32_e32 v97, v103
	s_waitcnt lgkmcnt(1)
	s_delay_alu instid0(VALU_DEP_1)
	v_dual_fmac_f32 v77, v101, v70 :: v_dual_sub_f32 v96, v75, v76
	ds_load_2addr_b32 v[74:75], v98 offset0:238 offset1:255
	v_sub_f32_e32 v70, v95, v76
	s_waitcnt lgkmcnt(0)
	s_barrier
	v_mul_f32_e32 v96, 0x3fb8aa3b, v96
	buffer_gl0_inv
	v_exp_f32_e32 v95, v96
	v_mul_f32_e32 v100, 0x3fb8aa3b, v100
	s_delay_alu instid0(VALU_DEP_1) | instskip(SKIP_3) | instid1(VALU_DEP_2)
	v_exp_f32_e32 v100, v100
	s_waitcnt_depctr 0xfff
	v_dual_fmac_f32 v77, v100, v71 :: v_dual_mul_f32 v70, 0x3fb8aa3b, v70
	v_cndmask_b32_e32 v71, v99, v102, vcc_lo
	v_fmac_f32_e32 v77, v97, v72
	s_delay_alu instid0(VALU_DEP_3) | instskip(NEXT) | instid1(VALU_DEP_1)
	v_exp_f32_e32 v96, v70
	v_fmac_f32_e32 v77, v95, v73
	s_delay_alu instid0(VALU_DEP_1) | instskip(SKIP_2) | instid1(VALU_DEP_1)
	v_fmac_f32_e32 v77, v94, v74
	s_waitcnt_depctr 0xfff
	v_fmac_f32_e32 v77, v96, v75
	v_add_f32_e32 v74, 0x358637bd, v77
	s_delay_alu instid0(VALU_DEP_1) | instskip(SKIP_1) | instid1(VALU_DEP_2)
	v_div_scale_f32 v98, null, v74, v74, 1.0
	v_div_scale_f32 v99, vcc_lo, 1.0, v74, 1.0
	v_rcp_f32_e32 v103, v98
	s_waitcnt_depctr 0xfff
	v_fma_f32 v70, -v98, v103, 1.0
	s_delay_alu instid0(VALU_DEP_1) | instskip(SKIP_2) | instid1(VALU_DEP_2)
	v_fmac_f32_e32 v103, v70, v103
	v_cndmask_b32_e64 v70, v71, v101, s4
	v_cmp_eq_u32_e64 s4, 6, v69
	v_cndmask_b32_e64 v71, v70, v100, s5
	s_delay_alu instid0(VALU_DEP_4) | instskip(NEXT) | instid1(VALU_DEP_2)
	v_dual_mul_f32 v101, v99, v103 :: v_dual_lshlrev_b32 v70, 2, v66
	v_cndmask_b32_e64 v71, v71, v97, s6
	s_delay_alu instid0(VALU_DEP_2) | instskip(NEXT) | instid1(VALU_DEP_3)
	v_or_b32_e32 v72, 1, v70
	v_fma_f32 v100, -v98, v101, v99
	v_cmp_eq_u32_e64 s5, 1, v70
	v_cmp_eq_u32_e64 s6, 2, v70
	v_cndmask_b32_e64 v95, v71, v95, s7
	v_or_b32_e32 v71, 3, v70
	v_fmac_f32_e32 v101, v100, v103
	v_cmp_eq_u32_e64 s10, 1, v72
	v_cmp_eq_u32_e64 s13, 2, v72
	v_cndmask_b32_e64 v94, v95, v94, s4
	v_cmp_eq_u32_e64 s12, 1, v71
	v_fma_f32 v97, -v98, v101, v99
	v_cmp_eq_u32_e64 s17, 2, v71
	v_cmp_eq_u32_e64 s15, 3, v72
	v_cndmask_b32_e64 v94, v94, v96, s8
	v_cmp_eq_u32_e64 s19, 3, v71
	v_div_fmas_f32 v95, v97, v103, v101
	v_cmp_eq_u32_e32 vcc_lo, 3, v70
	v_cmp_eq_u32_e64 s4, 4, v70
	v_cmp_eq_u32_e64 s20, 4, v72
	;; [unrolled: 1-line block ×3, first 2 shown]
	v_div_fixup_f32 v95, v95, v74, 1.0
	v_lshlrev_b32_e32 v73, 6, v68
	v_cmp_eq_u32_e64 s7, 5, v70
	v_cmp_eq_u32_e64 s21, 5, v72
	;; [unrolled: 1-line block ×3, first 2 shown]
	v_mul_f32_e32 v102, v94, v95
	v_lshl_or_b32 v75, v69, 11, v73
	v_or_b32_e32 v69, 2, v70
	v_cmp_eq_u32_e64 s26, 6, v72
	v_cmp_eq_u32_e64 s28, 6, v71
	v_fma_mixlo_f16 v94, v102, v79, 0
	v_fma_mixlo_f16 v95, v102, v81, 0
	;; [unrolled: 1-line block ×8, first 2 shown]
	v_lshl_or_b32 v74, v66, 4, v75
	v_fma_mixhi_f16 v94, v102, v78, 0
	v_fma_mixhi_f16 v95, v102, v80, 0
	;; [unrolled: 1-line block ×8, first 2 shown]
	ds_store_b128 v74, v[94:97]
	ds_store_b128 v74, v[98:101] offset:1024
	s_waitcnt lgkmcnt(0)
	s_barrier
	buffer_gl0_inv
	ds_load_b128 v[78:81], v75
	ds_load_b128 v[82:85], v75 offset:16
	ds_load_b128 v[86:89], v75 offset:1024
	;; [unrolled: 1-line block ×3, first 2 shown]
	v_cmp_eq_u32_e64 s11, 1, v69
	v_cmp_eq_u32_e64 s16, 2, v69
	;; [unrolled: 1-line block ×11, first 2 shown]
	s_waitcnt lgkmcnt(3)
	v_lshrrev_b32_e32 v94, 16, v78
	s_waitcnt lgkmcnt(2)
	v_lshrrev_b32_e32 v98, 16, v82
	s_waitcnt lgkmcnt(1)
	v_lshrrev_b32_e32 v102, 16, v86
	s_waitcnt lgkmcnt(0)
	v_lshrrev_b32_e32 v106, 16, v90
	v_lshrrev_b32_e32 v95, 16, v79
	v_cndmask_b32_e64 v110, v78, v94, s5
	v_cndmask_b32_e64 v111, v82, v98, s5
	;; [unrolled: 1-line block ×8, first 2 shown]
	v_lshrrev_b32_e32 v99, 16, v83
	v_cndmask_b32_e64 v94, v86, v102, s5
	v_cndmask_b32_e64 v98, v90, v106, s5
	;; [unrolled: 1-line block ×15, first 2 shown]
	v_lshrrev_b32_e32 v103, 16, v87
	v_lshrrev_b32_e32 v107, 16, v91
	v_cndmask_b32_e64 v113, v115, v83, s16
	v_cndmask_b32_e64 v82, v94, v87, s6
	;; [unrolled: 1-line block ×7, first 2 shown]
	v_cndmask_b32_e32 v90, v102, v95, vcc_lo
	v_cndmask_b32_e32 v102, v106, v99, vcc_lo
	v_cndmask_b32_e64 v106, v110, v95, s15
	v_cndmask_b32_e64 v110, v111, v99, s15
	;; [unrolled: 1-line block ×4, first 2 shown]
	v_lshrrev_b32_e32 v96, 16, v80
	v_lshrrev_b32_e32 v100, 16, v84
	v_cndmask_b32_e64 v111, v112, v95, s18
	v_cndmask_b32_e64 v112, v113, v99, s18
	v_cndmask_b32_e32 v82, v82, v103, vcc_lo
	v_cndmask_b32_e32 v83, v83, v107, vcc_lo
	v_cndmask_b32_e64 v94, v94, v103, s15
	v_cndmask_b32_e64 v90, v90, v80, s4
	;; [unrolled: 1-line block ×7, first 2 shown]
	v_lshrrev_b32_e32 v104, 16, v88
	v_cndmask_b32_e64 v106, v111, v80, s22
	v_cndmask_b32_e64 v110, v112, v84, s22
	;; [unrolled: 1-line block ×11, first 2 shown]
	v_lshrrev_b32_e32 v97, 16, v81
	v_lshrrev_b32_e32 v101, 16, v85
	v_cndmask_b32_e64 v99, v106, v96, s24
	v_cndmask_b32_e64 v102, v110, v100, s24
	;; [unrolled: 1-line block ×7, first 2 shown]
	v_lshrrev_b32_e32 v105, 16, v89
	v_cndmask_b32_e64 v80, v80, v104, s7
	v_cndmask_b32_e64 v84, v84, v81, s8
	;; [unrolled: 1-line block ×16, first 2 shown]
	v_perm_b32 v81, v79, v78, 0x5040100
	v_perm_b32 v79, v95, v85, 0x5040100
	v_cndmask_b32_e64 v78, v119, v91, s16
	v_cndmask_b32_e64 v85, v117, v91, s13
	;; [unrolled: 1-line block ×3, first 2 shown]
	v_perm_b32 v80, v94, v90, 0x5040100
	v_cndmask_b32_e64 v90, v98, v103, s18
	v_cndmask_b32_e64 v86, v86, v103, s19
	v_cndmask_b32_e64 v87, v87, v107, s19
	v_cndmask_b32_e64 v78, v78, v107, s18
	v_cndmask_b32_e64 v85, v85, v107, s15
	v_lshrrev_b32_e32 v108, 16, v92
	v_cndmask_b32_e64 v90, v90, v88, s22
	v_cndmask_b32_e64 v86, v86, v88, s23
	v_cndmask_b32_e64 v87, v87, v92, s23
	v_cndmask_b32_e64 v78, v78, v92, s22
	v_cndmask_b32_e64 v85, v85, v92, s20
	v_cndmask_b32_e64 v82, v82, v108, s7
	v_cndmask_b32_e64 v88, v90, v104, s24
	v_cndmask_b32_e64 v86, v86, v104, s25
	v_cndmask_b32_e64 v87, v87, v108, s25
	v_cndmask_b32_e64 v78, v78, v108, s24
	v_cndmask_b32_e64 v85, v85, v108, s21
	v_lshrrev_b32_e32 v109, 16, v93
	v_cndmask_b32_e64 v82, v82, v93, s8
	v_cndmask_b32_e64 v88, v88, v89, s27
	;; [unrolled: 1-line block ×12, first 2 shown]
	v_perm_b32 v78, v84, v83, 0x5040100
	v_perm_b32 v85, v87, v86, 0x5040100
	;; [unrolled: 1-line block ×5, first 2 shown]
	s_mul_i32 s9, s35, 15
	s_mov_b32 s4, exec_lo
	ds_store_b128 v74, v[78:81]
	ds_store_b128 v74, v[82:85] offset:1024
	v_cmpx_gt_u32_e32 15, v0
	s_cbranch_execz .LBB1164_14
; %bb.13:
	s_mul_i32 s5, s9, s34
	s_load_b128 s[16:19], s[0:1], 0x58
	v_add3_u32 v68, s5, s33, v68
	s_delay_alu instid0(VALU_DEP_1) | instskip(NEXT) | instid1(VALU_DEP_1)
	v_mad_u64_u32 v[78:79], null, v68, s36, s[14:15]
	v_ashrrev_i32_e32 v79, 31, v78
	s_delay_alu instid0(VALU_DEP_1) | instskip(SKIP_1) | instid1(VALU_DEP_1)
	v_lshlrev_b64 v[78:79], 2, v[78:79]
	s_waitcnt lgkmcnt(0)
	v_add_co_u32 v80, vcc_lo, s18, v78
	s_delay_alu instid0(VALU_DEP_2)
	v_add_co_ci_u32_e32 v81, vcc_lo, s19, v79, vcc_lo
	v_add_co_u32 v78, vcc_lo, s16, v78
	v_add_co_ci_u32_e32 v79, vcc_lo, s17, v79, vcc_lo
	global_store_b32 v[80:81], v76, off
	global_store_b32 v[78:79], v77, off
.LBB1164_14:
	s_or_b32 exec_lo, exec_lo, s4
	s_waitcnt lgkmcnt(0)
	s_waitcnt_vscnt null, 0x0
	s_barrier
	buffer_gl0_inv
	ds_load_b128 v[84:87], v73
	ds_load_b128 v[88:91], v73 offset:16
	ds_load_b128 v[96:99], v73 offset:2064
	;; [unrolled: 1-line block ×5, first 2 shown]
	v_cmp_eq_u32_e32 vcc_lo, 1, v70
	v_mov_b32_e32 v76, 0
	ds_load_b128 v[112:115], v73 offset:6160
	ds_load_b128 v[108:111], v73 offset:6144
	;; [unrolled: 1-line block ×4, first 2 shown]
	v_cmp_eq_u32_e64 s5, 1, v69
	v_cmp_eq_u32_e64 s4, 1, v72
	v_cmp_eq_u32_e64 s6, 2, v72
	v_mov_b32_e32 v77, v76
	v_mov_b32_e32 v78, v76
	;; [unrolled: 1-line block ×7, first 2 shown]
	v_cmp_eq_u32_e64 s7, 3, v72
	v_cmp_eq_u32_e64 s8, 7, v72
	s_waitcnt lgkmcnt(8)
	s_delay_alu instid0(VALU_DEP_3)
	v_wmma_f32_16x16x16_f16 v[76:83], v[49:56], v[84:91], v[76:83]
	ds_load_b128 v[53:56], v73 offset:10256
	ds_load_b128 v[49:52], v73 offset:10240
	s_waitcnt lgkmcnt(8)
	v_wmma_f32_16x16x16_f16 v[76:83], v[41:48], v[92:99], v[76:83]
	ds_load_b128 v[45:48], v73 offset:12304
	ds_load_b128 v[41:44], v73 offset:12288
	s_waitcnt lgkmcnt(8)
	;; [unrolled: 4-line block ×3, first 2 shown]
	s_barrier
	buffer_gl0_inv
	v_wmma_f32_16x16x16_f16 v[76:83], v[1:8], v[108:115], v[76:83]
	s_delay_alu instid0(VALU_DEP_1) | instskip(NEXT) | instid1(VALU_DEP_1)
	v_wmma_f32_16x16x16_f16 v[76:83], v[9:16], v[116:123], v[76:83]
	v_wmma_f32_16x16x16_f16 v[76:83], v[17:24], v[49:56], v[76:83]
	s_delay_alu instid0(VALU_DEP_1) | instskip(NEXT) | instid1(VALU_DEP_1)
	v_wmma_f32_16x16x16_f16 v[76:83], v[25:32], v[41:48], v[76:83]
	v_wmma_f32_16x16x16_f16 v[76:83], v[57:64], v[33:40], v[76:83]
	s_delay_alu instid0(VALU_DEP_1) | instskip(NEXT) | instid1(VALU_DEP_2)
	v_cvt_f16_f32_e32 v1, v76
	v_cvt_f16_f32_e32 v2, v77
	s_delay_alu instid0(VALU_DEP_3) | instskip(NEXT) | instid1(VALU_DEP_4)
	v_cvt_f16_f32_e32 v3, v78
	v_cvt_f16_f32_e32 v4, v79
	;; [unrolled: 1-line block ×6, first 2 shown]
	v_pack_b32_f16 v1, v1, v2
	v_pack_b32_f16 v2, v3, v4
	;; [unrolled: 1-line block ×3, first 2 shown]
	s_delay_alu instid0(VALU_DEP_4)
	v_pack_b32_f16 v4, v7, v8
	ds_store_b128 v74, v[1:4]
	s_waitcnt lgkmcnt(0)
	s_barrier
	buffer_gl0_inv
	ds_load_b128 v[1:4], v75
	ds_load_b128 v[5:8], v75 offset:16
	s_waitcnt lgkmcnt(1)
	v_lshrrev_b32_e32 v9, 16, v1
	s_waitcnt lgkmcnt(0)
	v_lshrrev_b32_e32 v13, 16, v5
	v_lshrrev_b32_e32 v10, 16, v2
	;; [unrolled: 1-line block ×4, first 2 shown]
	v_cndmask_b32_e32 v17, v1, v9, vcc_lo
	v_cndmask_b32_e32 v18, v5, v13, vcc_lo
	v_cndmask_b32_e64 v21, v1, v9, s5
	v_cmp_eq_u32_e32 vcc_lo, 1, v71
	v_cndmask_b32_e64 v22, v5, v13, s5
	v_cmp_eq_u32_e64 s5, 2, v70
	v_cndmask_b32_e64 v19, v1, v9, s4
	v_cndmask_b32_e64 v20, v5, v13, s4
	v_cndmask_b32_e32 v1, v1, v9, vcc_lo
	v_cmp_eq_u32_e64 s4, 2, v71
	v_cndmask_b32_e32 v5, v5, v13, vcc_lo
	v_cndmask_b32_e64 v9, v17, v2, s5
	v_cmp_eq_u32_e32 vcc_lo, 3, v70
	v_cndmask_b32_e64 v13, v18, v6, s5
	v_cmp_eq_u32_e64 s5, 2, v69
	v_cndmask_b32_e64 v17, v19, v2, s6
	v_cndmask_b32_e64 v18, v20, v6, s6
	v_cmp_eq_u32_e64 s6, 3, v69
	v_cndmask_b32_e64 v1, v1, v2, s4
	v_cndmask_b32_e64 v19, v21, v2, s5
	;; [unrolled: 1-line block ×4, first 2 shown]
	v_cndmask_b32_e32 v5, v9, v10, vcc_lo
	v_cndmask_b32_e32 v6, v13, v14, vcc_lo
	v_cmp_eq_u32_e32 vcc_lo, 3, v71
	v_cndmask_b32_e64 v9, v17, v10, s7
	v_cndmask_b32_e64 v13, v18, v14, s7
	;; [unrolled: 1-line block ×3, first 2 shown]
	v_cmp_eq_u32_e64 s5, 4, v70
	v_cndmask_b32_e32 v1, v1, v10, vcc_lo
	v_cndmask_b32_e32 v2, v2, v14, vcc_lo
	v_cmp_eq_u32_e32 vcc_lo, 4, v72
	v_lshrrev_b32_e32 v15, 16, v7
	v_lshrrev_b32_e32 v16, 16, v8
	v_cndmask_b32_e64 v17, v19, v10, s6
	v_cmp_eq_u32_e64 s4, 4, v71
	v_cndmask_b32_e64 v5, v5, v3, s5
	v_cndmask_b32_e64 v6, v6, v7, s5
	v_cndmask_b32_e32 v9, v9, v3, vcc_lo
	v_cmp_eq_u32_e64 s5, 5, v72
	v_cndmask_b32_e32 v10, v13, v7, vcc_lo
	v_cmp_eq_u32_e32 vcc_lo, 4, v69
	v_cmp_eq_u32_e64 s6, 5, v70
	v_cndmask_b32_e64 v2, v2, v7, s4
	v_cndmask_b32_e64 v9, v9, v11, s5
	;; [unrolled: 1-line block ×3, first 2 shown]
	v_cndmask_b32_e32 v13, v17, v3, vcc_lo
	v_cmp_eq_u32_e64 s5, 5, v69
	v_cndmask_b32_e32 v14, v18, v7, vcc_lo
	v_cndmask_b32_e64 v1, v1, v3, s4
	v_cmp_eq_u32_e32 vcc_lo, 5, v71
	v_lshrrev_b32_e32 v12, 16, v4
	v_cndmask_b32_e64 v13, v13, v11, s5
	v_cndmask_b32_e64 v3, v14, v15, s5
	v_cmp_eq_u32_e64 s5, 6, v71
	v_cndmask_b32_e32 v1, v1, v11, vcc_lo
	v_cndmask_b32_e64 v5, v5, v11, s6
	v_cmp_eq_u32_e64 s7, 6, v70
	v_cndmask_b32_e64 v6, v6, v15, s6
	v_cmp_eq_u32_e64 s6, 6, v72
	v_cmp_eq_u32_e64 s4, 6, v69
	v_cndmask_b32_e64 v1, v1, v4, s5
	v_cndmask_b32_e32 v2, v2, v15, vcc_lo
	v_cmp_eq_u32_e32 vcc_lo, 7, v71
	v_cndmask_b32_e64 v5, v5, v4, s7
	v_cndmask_b32_e64 v9, v9, v4, s6
	;; [unrolled: 1-line block ×3, first 2 shown]
	v_cmp_eq_u32_e64 s7, 7, v70
	v_cndmask_b32_e32 v1, v1, v12, vcc_lo
	v_cndmask_b32_e64 v7, v13, v4, s4
	v_cndmask_b32_e64 v3, v3, v8, s4
	;; [unrolled: 1-line block ×3, first 2 shown]
	v_cmp_eq_u32_e64 s4, 7, v69
	v_cndmask_b32_e64 v4, v10, v8, s6
	v_cndmask_b32_e64 v5, v5, v12, s7
	;; [unrolled: 1-line block ×3, first 2 shown]
	v_cndmask_b32_e32 v2, v2, v16, vcc_lo
	v_cndmask_b32_e64 v7, v7, v12, s4
	v_cndmask_b32_e64 v3, v3, v16, s4
	;; [unrolled: 1-line block ×4, first 2 shown]
	v_cmp_gt_u32_e32 vcc_lo, 32, v0
	v_perm_b32 v4, v2, v1, 0x5040100
	v_perm_b32 v3, v3, v7, 0x5040100
	;; [unrolled: 1-line block ×4, first 2 shown]
	s_and_b32 s2, vcc_lo, s2
	ds_store_b128 v74, v[1:4]
	s_waitcnt lgkmcnt(0)
	s_barrier
	buffer_gl0_inv
	s_and_saveexec_b32 s4, s2
	s_cbranch_execz .LBB1164_2
; %bb.15:
	s_load_b64 s[4:5], s[0:1], 0x68
	v_add_nc_u32_e32 v20, s33, v66
	v_lshlrev_b32_e32 v0, 10, v0
	v_lshlrev_b32_e32 v1, 4, v67
	s_lshl_b32 s0, s36, 6
	s_delay_alu instid0(SALU_CYCLE_1)
	s_mul_i32 s1, s0, s34
	v_add_nc_u32_e32 v2, 2, v20
	s_mul_i32 s6, s1, s9
	v_and_or_b32 v0, 0x3800, v0, v1
	v_mul_lo_u32 v1, v20, s0
	s_ashr_i32 s7, s6, 31
	v_mul_lo_u32 v11, v2, s0
	s_lshl_b64 s[6:7], s[6:7], 1
	v_add_nc_u32_e32 v3, 4, v20
	v_lshl_or_b32 v21, v66, 6, v0
	v_add_nc_u32_e32 v16, 6, v20
	v_ashrrev_i32_e32 v2, 31, v1
	s_delay_alu instid0(VALU_DEP_4)
	v_mul_lo_u32 v13, v3, s0
	s_waitcnt lgkmcnt(0)
	s_add_u32 s1, s4, s6
	s_addc_u32 s2, s5, s7
	s_lshl_b32 s4, s14, 6
	ds_load_b128 v[3:6], v21
	ds_load_b128 v[7:10], v21 offset:128
	s_ashr_i32 s5, s4, 31
	v_ashrrev_i32_e32 v12, 31, v11
	s_lshl_b64 s[4:5], s[4:5], 1
	v_lshlrev_b64 v[14:15], 1, v[1:2]
	s_add_u32 s1, s1, s4
	s_addc_u32 s2, s2, s5
	v_add_co_u32 v1, s1, s1, v65
	s_delay_alu instid0(VALU_DEP_1) | instskip(SKIP_1) | instid1(VALU_DEP_3)
	v_add_co_ci_u32_e64 v2, null, s2, 0, s1
	v_lshlrev_b64 v[11:12], 1, v[11:12]
	v_add_co_u32 v18, vcc_lo, v1, v14
	v_mul_lo_u32 v16, v16, s0
	s_delay_alu instid0(VALU_DEP_4) | instskip(NEXT) | instid1(VALU_DEP_4)
	v_add_co_ci_u32_e32 v19, vcc_lo, v2, v15, vcc_lo
	v_add_co_u32 v11, vcc_lo, v1, v11
	v_ashrrev_i32_e32 v14, 31, v13
	v_add_co_ci_u32_e32 v12, vcc_lo, v2, v12, vcc_lo
	v_add_nc_u32_e32 v15, 8, v20
	v_ashrrev_i32_e32 v17, 31, v16
	s_waitcnt lgkmcnt(1)
	global_store_b128 v[18:19], v[3:6], off
	v_lshlrev_b64 v[3:4], 1, v[13:14]
	s_waitcnt lgkmcnt(0)
	global_store_b128 v[11:12], v[7:10], off
	v_mul_lo_u32 v11, v15, s0
	v_add_nc_u32_e32 v7, 10, v20
	v_lshlrev_b64 v[5:6], 1, v[16:17]
	v_add_co_u32 v23, vcc_lo, v1, v3
	v_add_nc_u32_e32 v3, 12, v20
	s_delay_alu instid0(VALU_DEP_4)
	v_mul_lo_u32 v25, v7, s0
	v_ashrrev_i32_e32 v12, 31, v11
	v_add_co_ci_u32_e32 v24, vcc_lo, v2, v4, vcc_lo
	v_add_co_u32 v27, vcc_lo, v1, v5
	v_mul_lo_u32 v29, v3, s0
	v_add_co_ci_u32_e32 v28, vcc_lo, v2, v6, vcc_lo
	ds_load_b128 v[3:6], v21 offset:256
	ds_load_b128 v[7:10], v21 offset:384
	v_lshlrev_b64 v[31:32], 1, v[11:12]
	ds_load_b128 v[11:14], v21 offset:512
	ds_load_b128 v[15:18], v21 offset:640
	;; [unrolled: 1-line block ×3, first 2 shown]
	v_ashrrev_i32_e32 v26, 31, v25
	v_ashrrev_i32_e32 v30, 31, v29
	v_add_co_u32 v31, vcc_lo, v1, v31
	s_delay_alu instid0(VALU_DEP_3) | instskip(NEXT) | instid1(VALU_DEP_3)
	v_lshlrev_b64 v[25:26], 1, v[25:26]
	v_lshlrev_b64 v[29:30], 1, v[29:30]
	v_add_co_ci_u32_e32 v32, vcc_lo, v2, v32, vcc_lo
	s_delay_alu instid0(VALU_DEP_3) | instskip(NEXT) | instid1(VALU_DEP_4)
	v_add_co_u32 v25, vcc_lo, v1, v25
	v_add_co_ci_u32_e32 v26, vcc_lo, v2, v26, vcc_lo
	s_delay_alu instid0(VALU_DEP_4)
	v_add_co_u32 v29, vcc_lo, v1, v29
	v_add_co_ci_u32_e32 v30, vcc_lo, v2, v30, vcc_lo
	s_waitcnt lgkmcnt(4)
	global_store_b128 v[23:24], v[3:6], off
	s_waitcnt lgkmcnt(3)
	global_store_b128 v[27:28], v[7:10], off
	;; [unrolled: 2-line block ×5, first 2 shown]
	s_and_b32 exec_lo, exec_lo, s3
	s_cbranch_execz .LBB1164_2
; %bb.16:
	ds_load_b128 v[3:6], v0 offset:896
	s_add_i32 s1, s33, 14
	s_delay_alu instid0(SALU_CYCLE_1) | instskip(NEXT) | instid1(SALU_CYCLE_1)
	s_mul_i32 s0, s1, s0
	s_ashr_i32 s1, s0, 31
	s_delay_alu instid0(SALU_CYCLE_1) | instskip(NEXT) | instid1(SALU_CYCLE_1)
	s_lshl_b64 s[0:1], s[0:1], 1
	v_add_co_u32 v0, vcc_lo, v1, s0
	v_add_co_ci_u32_e32 v1, vcc_lo, s1, v2, vcc_lo
	s_waitcnt lgkmcnt(0)
	global_store_b128 v[0:1], v[3:6], off
	s_nop 0
	s_sendmsg sendmsg(MSG_DEALLOC_VGPRS)
	s_endpgm
	.section	.rodata,"a",@progbits
	.p2align	6, 0x0
	.amdhsa_kernel _Z39paged_attention_ll4mi_QKV_mfma16_kernelIDF16_hLN4vllm18Fp8KVCacheDataTypeE1EhLi32ELi64ELi256ELb1ELi15EL8MFMAType0EEvPKT_PKT0_S8_ifPKiSA_SA_iPKfiiiPfSD_PS3_PT2_iSC_SC_
		.amdhsa_group_segment_fixed_size 17472
		.amdhsa_private_segment_fixed_size 0
		.amdhsa_kernarg_size 400
		.amdhsa_user_sgpr_count 13
		.amdhsa_user_sgpr_dispatch_ptr 0
		.amdhsa_user_sgpr_queue_ptr 0
		.amdhsa_user_sgpr_kernarg_segment_ptr 1
		.amdhsa_user_sgpr_dispatch_id 0
		.amdhsa_user_sgpr_private_segment_size 0
		.amdhsa_wavefront_size32 1
		.amdhsa_uses_dynamic_stack 0
		.amdhsa_enable_private_segment 0
		.amdhsa_system_sgpr_workgroup_id_x 1
		.amdhsa_system_sgpr_workgroup_id_y 1
		.amdhsa_system_sgpr_workgroup_id_z 1
		.amdhsa_system_sgpr_workgroup_info 0
		.amdhsa_system_vgpr_workitem_id 0
		.amdhsa_next_free_vgpr 146
		.amdhsa_next_free_sgpr 37
		.amdhsa_reserve_vcc 1
		.amdhsa_float_round_mode_32 0
		.amdhsa_float_round_mode_16_64 0
		.amdhsa_float_denorm_mode_32 3
		.amdhsa_float_denorm_mode_16_64 3
		.amdhsa_dx10_clamp 1
		.amdhsa_ieee_mode 1
		.amdhsa_fp16_overflow 0
		.amdhsa_workgroup_processor_mode 1
		.amdhsa_memory_ordered 1
		.amdhsa_forward_progress 0
		.amdhsa_shared_vgpr_count 0
		.amdhsa_exception_fp_ieee_invalid_op 0
		.amdhsa_exception_fp_denorm_src 0
		.amdhsa_exception_fp_ieee_div_zero 0
		.amdhsa_exception_fp_ieee_overflow 0
		.amdhsa_exception_fp_ieee_underflow 0
		.amdhsa_exception_fp_ieee_inexact 0
		.amdhsa_exception_int_div_zero 0
	.end_amdhsa_kernel
	.section	.text._Z39paged_attention_ll4mi_QKV_mfma16_kernelIDF16_hLN4vllm18Fp8KVCacheDataTypeE1EhLi32ELi64ELi256ELb1ELi15EL8MFMAType0EEvPKT_PKT0_S8_ifPKiSA_SA_iPKfiiiPfSD_PS3_PT2_iSC_SC_,"axG",@progbits,_Z39paged_attention_ll4mi_QKV_mfma16_kernelIDF16_hLN4vllm18Fp8KVCacheDataTypeE1EhLi32ELi64ELi256ELb1ELi15EL8MFMAType0EEvPKT_PKT0_S8_ifPKiSA_SA_iPKfiiiPfSD_PS3_PT2_iSC_SC_,comdat
.Lfunc_end1164:
	.size	_Z39paged_attention_ll4mi_QKV_mfma16_kernelIDF16_hLN4vllm18Fp8KVCacheDataTypeE1EhLi32ELi64ELi256ELb1ELi15EL8MFMAType0EEvPKT_PKT0_S8_ifPKiSA_SA_iPKfiiiPfSD_PS3_PT2_iSC_SC_, .Lfunc_end1164-_Z39paged_attention_ll4mi_QKV_mfma16_kernelIDF16_hLN4vllm18Fp8KVCacheDataTypeE1EhLi32ELi64ELi256ELb1ELi15EL8MFMAType0EEvPKT_PKT0_S8_ifPKiSA_SA_iPKfiiiPfSD_PS3_PT2_iSC_SC_
                                        ; -- End function
	.section	.AMDGPU.csdata,"",@progbits
; Kernel info:
; codeLenInByte = 6748
; NumSgprs: 39
; NumVgprs: 146
; ScratchSize: 0
; MemoryBound: 0
; FloatMode: 240
; IeeeMode: 1
; LDSByteSize: 17472 bytes/workgroup (compile time only)
; SGPRBlocks: 4
; VGPRBlocks: 18
; NumSGPRsForWavesPerEU: 39
; NumVGPRsForWavesPerEU: 146
; Occupancy: 9
; WaveLimiterHint : 1
; COMPUTE_PGM_RSRC2:SCRATCH_EN: 0
; COMPUTE_PGM_RSRC2:USER_SGPR: 13
; COMPUTE_PGM_RSRC2:TRAP_HANDLER: 0
; COMPUTE_PGM_RSRC2:TGID_X_EN: 1
; COMPUTE_PGM_RSRC2:TGID_Y_EN: 1
; COMPUTE_PGM_RSRC2:TGID_Z_EN: 1
; COMPUTE_PGM_RSRC2:TIDIG_COMP_CNT: 0
	.section	.text._Z39paged_attention_ll4mi_QKV_mfma16_kernelIDF16_hLN4vllm18Fp8KVCacheDataTypeE1EhLi32ELi64ELi256ELb1ELi16EL8MFMAType0EEvPKT_PKT0_S8_ifPKiSA_SA_iPKfiiiPfSD_PS3_PT2_iSC_SC_,"axG",@progbits,_Z39paged_attention_ll4mi_QKV_mfma16_kernelIDF16_hLN4vllm18Fp8KVCacheDataTypeE1EhLi32ELi64ELi256ELb1ELi16EL8MFMAType0EEvPKT_PKT0_S8_ifPKiSA_SA_iPKfiiiPfSD_PS3_PT2_iSC_SC_,comdat
	.protected	_Z39paged_attention_ll4mi_QKV_mfma16_kernelIDF16_hLN4vllm18Fp8KVCacheDataTypeE1EhLi32ELi64ELi256ELb1ELi16EL8MFMAType0EEvPKT_PKT0_S8_ifPKiSA_SA_iPKfiiiPfSD_PS3_PT2_iSC_SC_ ; -- Begin function _Z39paged_attention_ll4mi_QKV_mfma16_kernelIDF16_hLN4vllm18Fp8KVCacheDataTypeE1EhLi32ELi64ELi256ELb1ELi16EL8MFMAType0EEvPKT_PKT0_S8_ifPKiSA_SA_iPKfiiiPfSD_PS3_PT2_iSC_SC_
	.globl	_Z39paged_attention_ll4mi_QKV_mfma16_kernelIDF16_hLN4vllm18Fp8KVCacheDataTypeE1EhLi32ELi64ELi256ELb1ELi16EL8MFMAType0EEvPKT_PKT0_S8_ifPKiSA_SA_iPKfiiiPfSD_PS3_PT2_iSC_SC_
	.p2align	8
	.type	_Z39paged_attention_ll4mi_QKV_mfma16_kernelIDF16_hLN4vllm18Fp8KVCacheDataTypeE1EhLi32ELi64ELi256ELb1ELi16EL8MFMAType0EEvPKT_PKT0_S8_ifPKiSA_SA_iPKfiiiPfSD_PS3_PT2_iSC_SC_,@function
_Z39paged_attention_ll4mi_QKV_mfma16_kernelIDF16_hLN4vllm18Fp8KVCacheDataTypeE1EhLi32ELi64ELi256ELb1ELi16EL8MFMAType0EEvPKT_PKT0_S8_ifPKiSA_SA_iPKfiiiPfSD_PS3_PT2_iSC_SC_: ; @_Z39paged_attention_ll4mi_QKV_mfma16_kernelIDF16_hLN4vllm18Fp8KVCacheDataTypeE1EhLi32ELi64ELi256ELb1ELi16EL8MFMAType0EEvPKT_PKT0_S8_ifPKiSA_SA_iPKfiiiPfSD_PS3_PT2_iSC_SC_
; %bb.0:
	s_load_b64 s[2:3], s[0:1], 0x30
	s_mov_b32 s34, s13
	s_waitcnt lgkmcnt(0)
	s_cmp_lg_u64 s[2:3], 0
	s_cselect_b32 s8, -1, 0
	s_ashr_i32 s35, s13, 31
	s_cmp_eq_u64 s[2:3], 0
	s_cbranch_scc1 .LBB1165_3
; %bb.1:
	s_lshl_b64 s[4:5], s[34:35], 2
	s_delay_alu instid0(SALU_CYCLE_1) | instskip(SKIP_4) | instid1(SALU_CYCLE_1)
	s_add_u32 s4, s2, s4
	s_addc_u32 s5, s3, s5
	s_load_b64 s[4:5], s[4:5], 0x0
	s_waitcnt lgkmcnt(0)
	s_sub_i32 s4, s5, s4
	s_cmp_eq_u32 s4, 1
	s_cselect_b32 s4, -1, 0
	s_delay_alu instid0(SALU_CYCLE_1)
	s_and_not1_b32 vcc_lo, exec_lo, s4
	s_cbranch_vccz .LBB1165_4
.LBB1165_2:
	s_endpgm
.LBB1165_3:
.LBB1165_4:
	s_load_b64 s[4:5], s[0:1], 0x28
	s_lshl_b64 s[6:7], s[34:35], 2
	s_waitcnt lgkmcnt(0)
	s_add_u32 s4, s4, s6
	s_addc_u32 s5, s5, s7
	s_lshl_b32 s12, s14, 8
	s_load_b32 s24, s[4:5], 0x0
	s_waitcnt lgkmcnt(0)
	s_cmp_ge_i32 s12, s24
	s_cbranch_scc1 .LBB1165_2
; %bb.5:
	s_clause 0x1
	s_load_b128 s[20:23], s[0:1], 0x8
	s_load_b64 s[4:5], s[0:1], 0x20
	s_and_not1_b32 vcc_lo, exec_lo, s8
	s_cbranch_vccnz .LBB1165_7
; %bb.6:
	s_add_u32 s2, s2, s6
	s_addc_u32 s3, s3, s7
	s_load_b32 s3, s[2:3], 0x0
	s_branch .LBB1165_8
.LBB1165_7:
	s_mov_b32 s3, s34
.LBB1165_8:
	s_load_b128 s[16:19], s[0:1], 0x48
	v_and_b32_e32 v70, 15, v0
	v_cmp_gt_u32_e32 vcc_lo, 0x100, v0
	v_lshrrev_b32_e32 v69, 5, v0
	v_and_b32_e32 v71, 31, v0
	v_and_b32_e32 v67, 1, v0
	v_lshlrev_b32_e32 v1, 3, v70
	v_cmp_gt_u32_e64 s2, 8, v70
	v_bfe_u32 v66, v0, 4, 1
	s_lshl_b32 s31, s15, 4
	s_delay_alu instid0(VALU_DEP_3) | instskip(NEXT) | instid1(VALU_DEP_3)
	v_lshlrev_b32_e32 v65, 1, v1
	s_and_b32 s7, vcc_lo, s2
	s_delay_alu instid0(SALU_CYCLE_1)
	s_and_saveexec_b32 s6, s7
	s_cbranch_execz .LBB1165_10
; %bb.9:
	v_lshl_or_b32 v5, v69, 1, v66
	s_load_b64 s[8:9], s[0:1], 0x0
	s_waitcnt lgkmcnt(0)
	s_mul_hi_i32 s11, s3, s16
	s_mul_i32 s10, s3, s16
	v_lshlrev_b32_e32 v6, 10, v70
	v_or_b32_e32 v1, s31, v5
	s_lshl_b64 s[10:11], s[10:11], 1
	v_lshlrev_b32_e32 v5, 6, v5
	v_lshlrev_b32_e32 v7, 10, v67
	v_and_b32_e32 v6, 0x3800, v6
	v_lshlrev_b32_e32 v1, 6, v1
	s_delay_alu instid0(VALU_DEP_2) | instskip(NEXT) | instid1(VALU_DEP_2)
	v_or3_b32 v5, v6, v7, v5
	v_ashrrev_i32_e32 v2, 31, v1
	s_delay_alu instid0(VALU_DEP_1) | instskip(SKIP_2) | instid1(VALU_DEP_1)
	v_lshlrev_b64 v[1:2], 1, v[1:2]
	s_add_u32 s3, s8, s10
	s_addc_u32 s7, s9, s11
	v_add_co_u32 v1, vcc_lo, s3, v1
	s_delay_alu instid0(VALU_DEP_2) | instskip(NEXT) | instid1(VALU_DEP_2)
	v_add_co_ci_u32_e32 v2, vcc_lo, s7, v2, vcc_lo
	v_add_co_u32 v1, vcc_lo, v1, v65
	s_delay_alu instid0(VALU_DEP_2)
	v_add_co_ci_u32_e32 v2, vcc_lo, 0, v2, vcc_lo
	global_load_b128 v[1:4], v[1:2], off
	s_waitcnt vmcnt(0)
	ds_store_b128 v5, v[1:4]
.LBB1165_10:
	s_or_b32 exec_lo, exec_lo, s6
	v_and_b32_e32 v1, 0xef, v0
	s_waitcnt lgkmcnt(0)
	s_add_i32 s3, s24, 31
	s_clause 0x1
	s_load_b32 s6, s[0:1], 0x38
	s_load_b32 s33, s[0:1], 0x98
	s_ashr_i32 s7, s3, 31
	v_add_nc_u32_e32 v1, s12, v1
	s_lshr_b32 s7, s7, 27
	s_load_b32 s19, s[0:1], 0x1c
	s_add_i32 s3, s3, s7
	s_waitcnt lgkmcnt(0)
	v_ashrrev_i32_e32 v2, 31, v1
	v_or_b32_e32 v3, 16, v1
	s_ashr_i32 s3, s3, 5
	v_cmp_gt_i32_e32 vcc_lo, s24, v1
	s_add_i32 s3, s3, -1
	v_lshrrev_b32_e32 v2, 27, v2
	s_barrier
	buffer_gl0_inv
	s_mul_i32 s27, s15, s18
	v_add_nc_u32_e32 v4, v1, v2
	s_mul_i32 s6, s34, s6
	s_delay_alu instid0(SALU_CYCLE_1) | instskip(NEXT) | instid1(VALU_DEP_1)
	s_ashr_i32 s7, s6, 31
	v_ashrrev_i32_e32 v4, 5, v4
	v_add_nc_u32_e32 v2, v3, v2
	s_lshl_b64 s[6:7], s[6:7], 2
	s_delay_alu instid0(SALU_CYCLE_1) | instskip(NEXT) | instid1(VALU_DEP_2)
	s_add_u32 s26, s4, s6
	v_cndmask_b32_e32 v1, s3, v4, vcc_lo
	s_delay_alu instid0(VALU_DEP_2)
	v_ashrrev_i32_e32 v2, 5, v2
	v_cmp_gt_i32_e32 vcc_lo, s24, v3
	s_addc_u32 s25, s5, s7
	s_ashr_i32 s28, s27, 31
	s_add_u32 s4, s20, s27
	s_addc_u32 s5, s21, s28
	v_cndmask_b32_e32 v3, s3, v2, vcc_lo
	v_ashrrev_i32_e32 v2, 31, v1
	s_lshl_b32 s6, s14, 3
	s_delay_alu instid0(SALU_CYCLE_1) | instskip(NEXT) | instid1(VALU_DEP_2)
	s_ashr_i32 s7, s6, 31
	v_ashrrev_i32_e32 v4, 31, v3
	s_delay_alu instid0(VALU_DEP_2) | instskip(SKIP_1) | instid1(SALU_CYCLE_1)
	v_lshlrev_b64 v[1:2], 2, v[1:2]
	s_lshl_b64 s[6:7], s[6:7], 2
	s_add_u32 s6, s26, s6
	s_delay_alu instid0(VALU_DEP_2) | instskip(SKIP_1) | instid1(VALU_DEP_2)
	v_lshlrev_b64 v[3:4], 2, v[3:4]
	s_addc_u32 s7, s25, s7
	v_add_co_u32 v1, vcc_lo, s26, v1
	v_add_co_ci_u32_e32 v2, vcc_lo, s25, v2, vcc_lo
	s_delay_alu instid0(VALU_DEP_3) | instskip(NEXT) | instid1(VALU_DEP_4)
	v_add_co_u32 v3, vcc_lo, s26, v3
	v_add_co_ci_u32_e32 v4, vcc_lo, s25, v4, vcc_lo
	s_clause 0x1
	global_load_b32 v5, v[1:2], off
	global_load_b32 v6, v[3:4], off
	s_or_b32 s8, s12, 32
	s_delay_alu instid0(SALU_CYCLE_1) | instskip(SKIP_2) | instid1(SALU_CYCLE_1)
	s_ashr_i32 s9, s8, 5
	s_cmp_lt_i32 s8, s24
	s_cselect_b32 s8, s9, s3
	s_ashr_i32 s9, s8, 31
	s_delay_alu instid0(SALU_CYCLE_1) | instskip(NEXT) | instid1(SALU_CYCLE_1)
	s_lshl_b64 s[8:9], s[8:9], 2
	s_add_u32 s8, s26, s8
	s_addc_u32 s9, s25, s9
	s_or_b32 s10, s12, 64
	s_delay_alu instid0(SALU_CYCLE_1) | instskip(SKIP_2) | instid1(SALU_CYCLE_1)
	s_ashr_i32 s11, s10, 5
	s_cmp_lt_i32 s10, s24
	s_cselect_b32 s10, s11, s3
	s_ashr_i32 s11, s10, 31
	s_delay_alu instid0(SALU_CYCLE_1) | instskip(NEXT) | instid1(SALU_CYCLE_1)
	s_lshl_b64 s[10:11], s[10:11], 2
	s_add_u32 s10, s26, s10
	s_addc_u32 s11, s25, s11
	s_or_b32 s13, s12, 0x60
	s_delay_alu instid0(SALU_CYCLE_1) | instskip(SKIP_2) | instid1(SALU_CYCLE_1)
	s_ashr_i32 s15, s13, 5
	s_cmp_lt_i32 s13, s24
	s_cselect_b32 s20, s15, s3
	s_ashr_i32 s21, s20, 31
	s_delay_alu instid0(SALU_CYCLE_1) | instskip(NEXT) | instid1(SALU_CYCLE_1)
	s_lshl_b64 s[20:21], s[20:21], 2
	s_add_u32 s36, s26, s20
	s_addc_u32 s37, s25, s21
	s_or_b32 s13, s12, 0x80
	s_delay_alu instid0(SALU_CYCLE_1) | instskip(SKIP_2) | instid1(SALU_CYCLE_1)
	s_ashr_i32 s15, s13, 5
	s_cmp_lt_i32 s13, s24
	s_cselect_b32 s20, s15, s3
	s_ashr_i32 s21, s20, 31
	s_delay_alu instid0(SALU_CYCLE_1) | instskip(NEXT) | instid1(SALU_CYCLE_1)
	s_lshl_b64 s[20:21], s[20:21], 2
	s_add_u32 s38, s26, s20
	s_addc_u32 s39, s25, s21
	s_or_b32 s13, s12, 0xa0
	s_delay_alu instid0(SALU_CYCLE_1) | instskip(SKIP_2) | instid1(SALU_CYCLE_1)
	s_ashr_i32 s15, s13, 5
	s_cmp_lt_i32 s13, s24
	s_cselect_b32 s20, s15, s3
	s_ashr_i32 s21, s20, 31
	s_delay_alu instid0(SALU_CYCLE_1) | instskip(NEXT) | instid1(SALU_CYCLE_1)
	s_lshl_b64 s[20:21], s[20:21], 2
	s_add_u32 s40, s26, s20
	s_addc_u32 s41, s25, s21
	s_clause 0x5
	s_load_b32 s21, s[6:7], 0x0
	s_load_b32 s13, s[8:9], 0x0
	s_load_b32 s15, s[10:11], 0x0
	s_load_b32 s16, s[36:37], 0x0
	s_load_b32 s18, s[38:39], 0x0
	s_load_b32 s20, s[40:41], 0x0
	s_or_b32 s6, s12, 0xc0
	s_delay_alu instid0(SALU_CYCLE_1) | instskip(SKIP_2) | instid1(SALU_CYCLE_1)
	s_ashr_i32 s7, s6, 5
	s_cmp_lt_i32 s6, s24
	s_cselect_b32 s10, s7, s3
	s_ashr_i32 s11, s10, 31
	s_delay_alu instid0(SALU_CYCLE_1) | instskip(NEXT) | instid1(SALU_CYCLE_1)
	s_lshl_b64 s[10:11], s[10:11], 2
	s_add_u32 s36, s26, s10
	s_addc_u32 s37, s25, s11
	s_or_b32 s11, s12, 0xe0
	s_delay_alu instid0(SALU_CYCLE_1) | instskip(SKIP_2) | instid1(SALU_CYCLE_1)
	s_ashr_i32 s29, s11, 5
	s_cmp_lt_i32 s11, s24
	s_cselect_b32 s38, s29, s3
	s_ashr_i32 s39, s38, 31
	s_waitcnt vmcnt(1)
	v_mad_i64_i32 v[1:2], null, v5, s17, s[4:5]
	s_waitcnt vmcnt(0)
	v_mad_i64_i32 v[3:4], null, v6, s17, s[4:5]
	s_mov_b32 s4, 0
	s_delay_alu instid0(SALU_CYCLE_1)
	s_mov_b32 s5, s4
	s_mov_b32 s6, s4
	;; [unrolled: 1-line block ×7, first 2 shown]
	v_lshlrev_b32_e32 v5, 4, v70
	v_dual_mov_b32 v103, s11 :: v_dual_mov_b32 v98, s6
	v_dual_mov_b32 v101, s9 :: v_dual_lshlrev_b32 v68, 6, v70
	s_delay_alu instid0(VALU_DEP_3)
	v_add_co_u32 v1, vcc_lo, v1, v5
	v_add_co_ci_u32_e32 v2, vcc_lo, 0, v2, vcc_lo
	v_add_co_u32 v3, vcc_lo, v3, v5
	v_add_co_ci_u32_e32 v4, vcc_lo, 0, v4, vcc_lo
	s_clause 0x7
	global_load_b128 v[57:60], v[1:2], off
	global_load_b128 v[61:64], v[1:2], off offset:512
	global_load_b128 v[72:75], v[3:4], off offset:256
	;; [unrolled: 1-line block ×7, first 2 shown]
	v_dual_mov_b32 v96, s4 :: v_dual_lshlrev_b32 v1, 5, v70
	v_mov_b32_e32 v102, s10
	v_dual_mov_b32 v100, s8 :: v_dual_mov_b32 v99, s7
	v_mov_b32_e32 v97, s5
	s_lshl_b64 s[4:5], s[38:39], 2
	v_lshl_or_b32 v1, v69, 9, v1
	s_add_u32 s4, s26, s4
	s_addc_u32 s5, s25, s5
	s_load_b32 s3, s[36:37], 0x0
	ds_load_b128 v[104:107], v68
	ds_load_b128 v[108:111], v68 offset:1024
	s_load_b32 s4, s[4:5], 0x0
	s_add_u32 s6, s22, s27
	s_addc_u32 s7, s23, s28
	v_add_co_u32 v17, s6, s6, v1
	s_delay_alu instid0(VALU_DEP_1) | instskip(SKIP_1) | instid1(VALU_DEP_1)
	v_add_co_ci_u32_e64 v18, null, s7, 0, s6
	s_waitcnt lgkmcnt(0)
	v_mad_i64_i32 v[1:2], null, s21, s17, v[17:18]
	v_mad_i64_i32 v[3:4], null, s13, s17, v[17:18]
	;; [unrolled: 1-line block ×7, first 2 shown]
	s_clause 0x9
	global_load_b128 v[49:52], v[1:2], off
	global_load_b128 v[53:56], v[1:2], off offset:16
	global_load_b128 v[41:44], v[3:4], off
	global_load_b128 v[45:48], v[3:4], off offset:16
	;; [unrolled: 2-line block ×5, first 2 shown]
	v_mad_i64_i32 v[120:121], null, s4, s17, v[17:18]
	s_clause 0x3
	global_load_b128 v[17:20], v[21:22], off
	global_load_b128 v[21:24], v[21:22], off offset:16
	global_load_b128 v[25:28], v[29:30], off
	global_load_b128 v[29:32], v[29:30], off offset:16
	s_waitcnt vmcnt(20)
	v_wmma_f32_16x16x16_f16 v[112:119], v[57:64], v[104:111], v[96:103]
	s_clause 0x1
	global_load_b128 v[57:60], v[120:121], off
	global_load_b128 v[61:64], v[120:121], off offset:16
	s_waitcnt vmcnt(20)
	v_wmma_f32_16x16x16_f16 v[96:103], v[72:79], v[104:111], v[96:103]
	ds_load_b128 v[72:75], v68 offset:2048
	ds_load_b128 v[76:79], v68 offset:3072
	v_and_b32_e32 v104, 0xe0, v0
	v_mbcnt_lo_u32_b32 v105, -1, 0
	s_waitcnt vmcnt(0) lgkmcnt(0)
	s_barrier
	buffer_gl0_inv
	v_add_nc_u32_e32 v104, s12, v104
	v_xor_b32_e32 v106, 16, v105
	s_delay_alu instid0(VALU_DEP_2) | instskip(NEXT) | instid1(VALU_DEP_2)
	v_or_b32_e32 v104, v104, v66
	v_cmp_gt_i32_e32 vcc_lo, 32, v106
	s_delay_alu instid0(VALU_DEP_2)
	v_or_b32_e32 v107, 4, v104
	v_or_b32_e32 v108, 6, v104
	v_cmp_gt_i32_e64 s3, s24, v104
	v_or_b32_e32 v109, 8, v104
	v_wmma_f32_16x16x16_f16 v[112:119], v[80:87], v[72:79], v[112:119]
	v_cndmask_b32_e32 v105, v105, v106, vcc_lo
	v_or_b32_e32 v106, 2, v104
	v_wmma_f32_16x16x16_f16 v[96:103], v[88:95], v[72:79], v[96:103]
	v_or_b32_e32 v80, 10, v104
	v_dual_mul_f32 v78, s19, v116 :: v_dual_mul_f32 v79, s19, v115
	v_dual_mul_f32 v90, s19, v112 :: v_dual_mul_f32 v89, s19, v113
	s_delay_alu instid0(VALU_DEP_4) | instskip(SKIP_2) | instid1(VALU_DEP_4)
	v_mul_f32_e32 v92, s19, v102
	v_cmp_gt_i32_e32 vcc_lo, s24, v106
	v_dual_mul_f32 v77, s19, v117 :: v_dual_mul_f32 v88, s19, v114
	v_cndmask_b32_e64 v90, 0xff7fffff, v90, s3
	v_cmp_gt_i32_e64 s4, s24, v107
	v_cndmask_b32_e32 v89, 0xff7fffff, v89, vcc_lo
	v_cmp_gt_i32_e64 s5, s24, v108
	v_or_b32_e32 v81, 12, v104
	v_or_b32_e32 v82, 14, v104
	v_cndmask_b32_e64 v88, 0xff7fffff, v88, s4
	v_max3_f32 v89, v90, 0xff7fffff, v89
	v_cndmask_b32_e64 v79, 0xff7fffff, v79, s5
	v_cmp_gt_i32_e64 s6, s24, v109
	v_cmp_gt_i32_e64 s7, s24, v80
	v_or_b32_e32 v83, 16, v104
	v_or_b32_e32 v84, 18, v104
	v_dual_mul_f32 v75, s19, v119 :: v_dual_mul_f32 v76, s19, v118
	v_cndmask_b32_e64 v78, 0xff7fffff, v78, s6
	v_cndmask_b32_e64 v77, 0xff7fffff, v77, s7
	v_max3_f32 v79, v89, v88, v79
	v_cmp_gt_i32_e64 s8, s24, v81
	v_cmp_gt_i32_e64 s9, s24, v82
	v_or_b32_e32 v85, 20, v104
	v_or_b32_e32 v86, 22, v104
	;; [unrolled: 1-line block ×6, first 2 shown]
	v_dual_mul_f32 v95, s19, v99 :: v_dual_mul_f32 v104, s19, v97
	v_mul_f32_e32 v107, s19, v96
	v_cndmask_b32_e64 v76, 0xff7fffff, v76, s8
	v_cndmask_b32_e64 v75, 0xff7fffff, v75, s9
	v_max3_f32 v77, v79, v78, v77
	v_cmp_gt_i32_e64 s10, s24, v83
	v_cmp_gt_i32_e64 s11, s24, v84
	v_dual_mul_f32 v93, s19, v101 :: v_dual_mul_f32 v106, s19, v98
	s_delay_alu instid0(VALU_DEP_4) | instskip(NEXT) | instid1(VALU_DEP_4)
	v_max3_f32 v75, v77, v76, v75
	v_cndmask_b32_e64 v78, 0xff7fffff, v107, s10
	s_delay_alu instid0(VALU_DEP_4) | instskip(SKIP_3) | instid1(VALU_DEP_4)
	v_cndmask_b32_e64 v79, 0xff7fffff, v104, s11
	v_cmp_gt_i32_e64 s12, s24, v85
	v_cmp_gt_i32_e64 s13, s24, v86
	v_dual_mul_f32 v91, s19, v103 :: v_dual_mul_f32 v94, s19, v100
	v_max3_f32 v75, v75, v78, v79
	s_delay_alu instid0(VALU_DEP_4) | instskip(NEXT) | instid1(VALU_DEP_4)
	v_cndmask_b32_e64 v76, 0xff7fffff, v106, s12
	v_cndmask_b32_e64 v77, 0xff7fffff, v95, s13
	v_cmp_gt_i32_e64 s15, s24, v87
	v_cmp_gt_i32_e64 s16, s24, v72
	;; [unrolled: 1-line block ×4, first 2 shown]
	v_max3_f32 v75, v75, v76, v77
	v_cndmask_b32_e64 v78, 0xff7fffff, v94, s15
	v_cndmask_b32_e64 v72, 0xff7fffff, v93, s16
	;; [unrolled: 1-line block ×4, first 2 shown]
	s_delay_alu instid0(VALU_DEP_3) | instskip(SKIP_1) | instid1(VALU_DEP_2)
	v_max3_f32 v72, v75, v78, v72
	v_lshlrev_b32_e32 v75, 2, v105
	v_max3_f32 v72, v72, v73, v74
	ds_bpermute_b32 v73, v75, v72
	s_waitcnt lgkmcnt(0)
	v_max_f32_e32 v73, v73, v73
	s_delay_alu instid0(VALU_DEP_1) | instskip(NEXT) | instid1(VALU_DEP_1)
	v_max_f32_e32 v72, v72, v73
	v_fma_f32 v76, s19, v114, -v72
	v_fma_f32 v73, s19, v112, -v72
	;; [unrolled: 1-line block ×5, first 2 shown]
	v_mul_f32_e32 v76, 0x3fb8aa3b, v76
	v_fma_f32 v82, s19, v118, -v72
	v_mul_f32_e32 v74, 0x3fb8aa3b, v74
	v_fma_f32 v86, s19, v99, -v72
	v_fma_f32 v91, s19, v103, -v72
	v_exp_f32_e32 v76, v76
	v_mul_f32_e32 v82, 0x3fb8aa3b, v82
	v_exp_f32_e32 v74, v74
	v_mul_f32_e32 v88, 0x3fb8aa3b, v86
	v_fma_f32 v89, s19, v101, -v72
	s_delay_alu instid0(VALU_DEP_3) | instskip(NEXT) | instid1(VALU_DEP_2)
	v_exp_f32_e32 v84, v82
	v_exp_f32_e32 v90, v88
	s_delay_alu instid0(VALU_DEP_1)
	v_mul_f32_e32 v89, 0x3fb8aa3b, v89
	v_cndmask_b32_e64 v80, 0, v76, s4
	v_mul_f32_e32 v73, 0x3fb8aa3b, v73
	v_fma_f32 v76, s19, v119, -v72
	v_mul_f32_e32 v77, 0x3fb8aa3b, v77
	v_exp_f32_e32 v89, v89
	s_delay_alu instid0(VALU_DEP_3) | instskip(NEXT) | instid1(VALU_DEP_2)
	v_exp_f32_e32 v73, v73
	v_mul_f32_e32 v76, 0x3fb8aa3b, v76
	s_delay_alu instid0(VALU_DEP_2) | instskip(SKIP_2) | instid1(VALU_DEP_3)
	v_exp_f32_e32 v81, v77
	v_cndmask_b32_e32 v77, 0, v74, vcc_lo
	v_cndmask_b32_e64 v84, 0, v84, s8
	v_exp_f32_e32 v76, v76
	v_cndmask_b32_e64 v89, 0, v89, s16
	s_delay_alu instid0(TRANS32_DEP_3) | instskip(SKIP_2) | instid1(VALU_DEP_2)
	v_cndmask_b32_e64 v78, 0, v73, s3
	v_fma_f32 v73, s19, v117, -v72
	s_mov_b32 s3, exec_lo
	v_dual_add_f32 v74, 0, v78 :: v_dual_mul_f32 v79, 0x3fb8aa3b, v79
	s_delay_alu instid0(VALU_DEP_2) | instskip(NEXT) | instid1(VALU_DEP_2)
	v_mul_f32_e32 v73, 0x3fb8aa3b, v73
	v_add_f32_e32 v74, v74, v77
	s_delay_alu instid0(VALU_DEP_3) | instskip(NEXT) | instid1(VALU_DEP_2)
	v_exp_f32_e32 v83, v79
	v_exp_f32_e32 v73, v73
	v_cndmask_b32_e64 v79, 0, v81, s5
	v_fma_f32 v81, s19, v96, -v72
	s_delay_alu instid0(VALU_DEP_1) | instskip(NEXT) | instid1(VALU_DEP_1)
	v_dual_add_f32 v74, v74, v80 :: v_dual_mul_f32 v85, 0x3fb8aa3b, v81
	v_add_f32_e32 v74, v74, v79
	s_waitcnt_depctr 0xfff
	v_cndmask_b32_e64 v82, 0, v83, s6
	v_fma_f32 v83, s19, v97, -v72
	v_cndmask_b32_e64 v81, 0, v73, s7
	v_exp_f32_e32 v85, v85
	s_delay_alu instid0(VALU_DEP_2) | instskip(NEXT) | instid1(VALU_DEP_1)
	v_mul_f32_e32 v83, 0x3fb8aa3b, v83
	v_exp_f32_e32 v87, v83
	v_cndmask_b32_e64 v83, 0, v76, s9
	v_fma_f32 v76, s19, v100, -v72
	v_add_f32_e32 v73, v74, v82
	v_fma_f32 v74, s19, v98, -v72
	s_delay_alu instid0(TRANS32_DEP_2) | instskip(NEXT) | instid1(VALU_DEP_4)
	v_cndmask_b32_e64 v86, 0, v85, s10
	v_mul_f32_e32 v76, 0x3fb8aa3b, v76
	s_delay_alu instid0(VALU_DEP_3) | instskip(NEXT) | instid1(TRANS32_DEP_1)
	v_mul_f32_e32 v74, 0x3fb8aa3b, v74
	v_cndmask_b32_e64 v85, 0, v87, s11
	v_fma_f32 v87, s19, v102, -v72
	v_add_f32_e32 v73, v73, v81
	v_exp_f32_e32 v76, v76
	v_exp_f32_e32 v74, v74
	s_waitcnt_depctr 0xfff
	v_cndmask_b32_e64 v88, 0, v74, s12
	v_dual_mul_f32 v74, 0x3fb8aa3b, v87 :: v_dual_add_f32 v73, v73, v84
	v_cndmask_b32_e64 v87, 0, v90, s13
	v_cndmask_b32_e64 v90, 0, v76, s15
	v_mul_f32_e32 v76, 0x3fb8aa3b, v91
	s_delay_alu instid0(VALU_DEP_4) | instskip(SKIP_1) | instid1(VALU_DEP_2)
	v_exp_f32_e32 v74, v74
	v_add_f32_e32 v73, v73, v83
	v_exp_f32_e32 v76, v76
	s_delay_alu instid0(VALU_DEP_1) | instskip(SKIP_4) | instid1(VALU_DEP_2)
	v_add_f32_e32 v73, v73, v86
	s_waitcnt_depctr 0xfff
	v_cndmask_b32_e64 v92, 0, v74, s17
	v_add_f32_e32 v73, v73, v85
	v_cndmask_b32_e64 v91, 0, v76, s18
	v_add_f32_e32 v73, v73, v88
	s_delay_alu instid0(VALU_DEP_1) | instskip(NEXT) | instid1(VALU_DEP_1)
	v_add_f32_e32 v73, v73, v87
	v_add_f32_e32 v73, v73, v90
	s_delay_alu instid0(VALU_DEP_1) | instskip(NEXT) | instid1(VALU_DEP_1)
	v_add_f32_e32 v73, v73, v89
	v_add_f32_e32 v73, v73, v92
	s_delay_alu instid0(VALU_DEP_1)
	v_add_f32_e32 v73, v73, v91
	ds_bpermute_b32 v74, v75, v73
	v_cmpx_gt_u32_e32 16, v71
	s_cbranch_execz .LBB1165_12
; %bb.11:
	v_mul_u32_u24_e32 v71, 0x44, v69
	s_waitcnt lgkmcnt(0)
	v_add_f32_e32 v73, v73, v74
	s_delay_alu instid0(VALU_DEP_2) | instskip(NEXT) | instid1(VALU_DEP_1)
	v_lshl_add_u32 v71, v70, 2, v71
	v_add_nc_u32_e32 v71, 0x4000, v71
	ds_store_2addr_b32 v71, v72, v73 offset1:136
.LBB1165_12:
	s_or_b32 exec_lo, exec_lo, s3
	v_lshlrev_b32_e32 v70, 2, v70
	s_load_b32 s35, s[0:1], 0x94
	s_waitcnt lgkmcnt(0)
	s_barrier
	buffer_gl0_inv
	v_add_nc_u32_e32 v74, 0x4000, v70
	v_cmp_eq_u32_e32 vcc_lo, 1, v69
	v_cmp_eq_u32_e64 s3, 2, v69
	v_cmp_eq_u32_e64 s4, 3, v69
	;; [unrolled: 1-line block ×3, first 2 shown]
	ds_load_2addr_b32 v[70:71], v74 offset1:17
	ds_load_2addr_b32 v[72:73], v74 offset0:34 offset1:51
	ds_load_2addr_b32 v[93:94], v74 offset0:68 offset1:85
	;; [unrolled: 1-line block ×3, first 2 shown]
	v_cmp_eq_u32_e64 s6, 7, v69
	s_waitcnt lgkmcnt(3)
	v_max3_f32 v75, v70, 0xff7fffff, v71
	s_waitcnt lgkmcnt(2)
	s_delay_alu instid0(VALU_DEP_1) | instskip(SKIP_1) | instid1(VALU_DEP_1)
	v_max3_f32 v75, v75, v72, v73
	s_waitcnt lgkmcnt(1)
	v_max3_f32 v75, v75, v93, v94
	s_waitcnt lgkmcnt(0)
	s_delay_alu instid0(VALU_DEP_1) | instskip(NEXT) | instid1(VALU_DEP_1)
	v_max3_f32 v75, v75, v95, v96
	v_sub_f32_e32 v93, v93, v75
	ds_load_2addr_b32 v[97:98], v74 offset0:136 offset1:153
	v_sub_f32_e32 v70, v70, v75
	v_dual_sub_f32 v100, v73, v75 :: v_dual_mul_f32 v103, 0x3fb8aa3b, v93
	s_delay_alu instid0(VALU_DEP_2) | instskip(SKIP_3) | instid1(VALU_DEP_1)
	v_dual_sub_f32 v76, v71, v75 :: v_dual_mul_f32 v99, 0x3fb8aa3b, v70
	ds_load_2addr_b32 v[70:71], v74 offset0:170 offset1:187
	v_mul_f32_e32 v76, 0x3fb8aa3b, v76
	v_exp_f32_e32 v99, v99
	v_exp_f32_e32 v102, v76
	v_mul_f32_e32 v100, 0x3fb8aa3b, v100
	s_waitcnt lgkmcnt(1)
	s_waitcnt_depctr 0xfff
	v_fma_f32 v76, v99, v97, 0
	v_sub_f32_e32 v97, v94, v75
	v_sub_f32_e32 v72, v72, v75
	v_exp_f32_e32 v100, v100
	ds_load_2addr_b32 v[93:94], v74 offset0:238 offset1:255
	v_dual_fmac_f32 v76, v102, v98 :: v_dual_mul_f32 v101, 0x3fb8aa3b, v72
	ds_load_2addr_b32 v[72:73], v74 offset0:204 offset1:221
	v_dual_sub_f32 v74, v95, v75 :: v_dual_mul_f32 v95, 0x3fb8aa3b, v97
	v_exp_f32_e32 v97, v103
	v_exp_f32_e32 v101, v101
	s_waitcnt lgkmcnt(0)
	s_delay_alu instid0(VALU_DEP_1)
	v_mul_f32_e32 v74, 0x3fb8aa3b, v74
	v_exp_f32_e32 v95, v95
	s_barrier
	buffer_gl0_inv
	v_fmac_f32_e32 v76, v101, v70
	v_sub_f32_e32 v70, v96, v75
	v_exp_f32_e32 v96, v74
	s_delay_alu instid0(VALU_DEP_2) | instskip(NEXT) | instid1(VALU_DEP_2)
	v_fmac_f32_e32 v76, v100, v71
	v_mul_f32_e32 v70, 0x3fb8aa3b, v70
	s_delay_alu instid0(VALU_DEP_2) | instskip(NEXT) | instid1(VALU_DEP_2)
	v_dual_cndmask_b32 v71, v99, v102 :: v_dual_fmac_f32 v76, v97, v72
	v_exp_f32_e32 v98, v70
	s_delay_alu instid0(VALU_DEP_1) | instskip(SKIP_2) | instid1(VALU_DEP_1)
	v_fmac_f32_e32 v76, v95, v73
	s_waitcnt_depctr 0xfff
	v_fmac_f32_e32 v76, v96, v93
	v_fmac_f32_e32 v76, v98, v94
	s_delay_alu instid0(VALU_DEP_1) | instskip(NEXT) | instid1(VALU_DEP_1)
	v_add_f32_e32 v93, 0x358637bd, v76
	v_div_scale_f32 v94, null, v93, v93, 1.0
	v_div_scale_f32 v99, vcc_lo, 1.0, v93, 1.0
	s_delay_alu instid0(VALU_DEP_2) | instskip(SKIP_2) | instid1(VALU_DEP_1)
	v_rcp_f32_e32 v103, v94
	s_waitcnt_depctr 0xfff
	v_fma_f32 v70, -v94, v103, 1.0
	v_fmac_f32_e32 v103, v70, v103
	v_cndmask_b32_e64 v70, v71, v101, s3
	v_cmp_eq_u32_e64 s3, 4, v69
	v_lshlrev_b32_e32 v71, 2, v66
	s_delay_alu instid0(VALU_DEP_4) | instskip(NEXT) | instid1(VALU_DEP_4)
	v_mul_f32_e32 v101, v99, v103
	v_cndmask_b32_e64 v72, v70, v100, s4
	v_cmp_eq_u32_e64 s4, 6, v69
	v_lshl_or_b32 v70, v69, 11, v68
	v_or_b32_e32 v74, 1, v71
	v_fma_f32 v73, -v94, v101, v99
	v_cndmask_b32_e64 v72, v72, v97, s3
	v_cmp_eq_u32_e64 s3, 1, v71
	v_lshl_or_b32 v69, v66, 4, v70
	v_cmp_eq_u32_e64 s9, 1, v74
	v_fmac_f32_e32 v101, v73, v103
	v_cndmask_b32_e64 v95, v72, v95, s5
	v_or_b32_e32 v72, 2, v71
	v_or_b32_e32 v73, 3, v71
	v_cmp_eq_u32_e64 s12, 2, v74
	v_fma_f32 v94, -v94, v101, v99
	v_cndmask_b32_e64 v95, v95, v96, s4
	v_cmp_eq_u32_e64 s10, 1, v72
	v_cmp_eq_u32_e64 s11, 1, v73
	;; [unrolled: 1-line block ×3, first 2 shown]
	v_div_fmas_f32 v94, v94, v103, v101
	v_cndmask_b32_e64 v95, v95, v98, s6
	v_cmp_eq_u32_e32 vcc_lo, 2, v71
	v_cmp_eq_u32_e64 s16, 2, v73
	v_cmp_eq_u32_e64 s18, 3, v73
	v_div_fixup_f32 v93, v94, v93, 1.0
	v_cmp_eq_u32_e64 s4, 3, v71
	v_cmp_eq_u32_e64 s13, 3, v74
	;; [unrolled: 1-line block ×4, first 2 shown]
	v_mul_f32_e32 v101, v95, v93
	v_cmp_eq_u32_e64 s5, 4, v71
	v_cmp_eq_u32_e64 s19, 4, v74
	;; [unrolled: 1-line block ×4, first 2 shown]
	v_fma_mixlo_f16 v93, v101, v78, 0
	v_fma_mixlo_f16 v94, v101, v80, 0
	;; [unrolled: 1-line block ×8, first 2 shown]
	v_fma_mixhi_f16 v93, v101, v77, 0
	v_fma_mixhi_f16 v94, v101, v79, 0
	;; [unrolled: 1-line block ×8, first 2 shown]
	ds_store_b128 v69, v[93:96]
	ds_store_b128 v69, v[97:100] offset:1024
	s_waitcnt lgkmcnt(0)
	s_barrier
	buffer_gl0_inv
	ds_load_b128 v[77:80], v70
	ds_load_b128 v[81:84], v70 offset:16
	ds_load_b128 v[85:88], v70 offset:1024
	;; [unrolled: 1-line block ×3, first 2 shown]
	v_cmp_eq_u32_e64 s6, 5, v71
	v_cmp_eq_u32_e64 s20, 5, v74
	;; [unrolled: 1-line block ×11, first 2 shown]
	s_waitcnt lgkmcnt(3)
	v_lshrrev_b32_e32 v93, 16, v77
	s_waitcnt lgkmcnt(2)
	v_lshrrev_b32_e32 v97, 16, v81
	;; [unrolled: 2-line block ×4, first 2 shown]
	v_lshrrev_b32_e32 v94, 16, v78
	v_cndmask_b32_e64 v109, v77, v93, s3
	v_cndmask_b32_e64 v110, v81, v97, s3
	;; [unrolled: 1-line block ×8, first 2 shown]
	v_lshrrev_b32_e32 v98, 16, v82
	v_cndmask_b32_e64 v93, v85, v101, s3
	v_cndmask_b32_e64 v97, v89, v105, s3
	;; [unrolled: 1-line block ×5, first 2 shown]
	v_cndmask_b32_e32 v101, v109, v78, vcc_lo
	v_cndmask_b32_e64 v109, v111, v78, s12
	v_cndmask_b32_e64 v111, v113, v78, s15
	;; [unrolled: 1-line block ×4, first 2 shown]
	v_lshrrev_b32_e32 v102, 16, v86
	v_lshrrev_b32_e32 v106, 16, v90
	v_cndmask_b32_e64 v116, v89, v105, s9
	v_cndmask_b32_e64 v118, v89, v105, s10
	;; [unrolled: 1-line block ×3, first 2 shown]
	v_cndmask_b32_e32 v105, v110, v82, vcc_lo
	v_cndmask_b32_e64 v110, v112, v82, s12
	v_cndmask_b32_e64 v112, v114, v82, s15
	v_cndmask_b32_e32 v81, v93, v86, vcc_lo
	v_cndmask_b32_e32 v82, v97, v90, vcc_lo
	v_cndmask_b32_e64 v93, v115, v86, s12
	v_cndmask_b32_e64 v77, v77, v94, s18
	;; [unrolled: 1-line block ×3, first 2 shown]
	v_lshrrev_b32_e32 v95, 16, v79
	v_lshrrev_b32_e32 v99, 16, v83
	v_cndmask_b32_e64 v97, v117, v86, s15
	v_cndmask_b32_e64 v85, v85, v86, s16
	;; [unrolled: 1-line block ×14, first 2 shown]
	v_lshrrev_b32_e32 v103, 16, v87
	v_cndmask_b32_e64 v89, v89, v79, s5
	v_cndmask_b32_e64 v94, v101, v83, s5
	;; [unrolled: 1-line block ×11, first 2 shown]
	v_lshrrev_b32_e32 v96, 16, v80
	v_lshrrev_b32_e32 v100, 16, v84
	v_cndmask_b32_e64 v83, v89, v95, s6
	v_cndmask_b32_e64 v89, v94, v99, s6
	;; [unrolled: 1-line block ×9, first 2 shown]
	v_lshrrev_b32_e32 v104, 16, v88
	v_cndmask_b32_e64 v79, v79, v103, s6
	v_cndmask_b32_e64 v83, v83, v80, s7
	;; [unrolled: 1-line block ×19, first 2 shown]
	v_perm_b32 v80, v78, v77, 0x5040100
	v_cndmask_b32_e64 v77, v116, v90, s12
	v_cndmask_b32_e64 v95, v79, v104, s8
	v_perm_b32 v79, v93, v89, 0x5040100
	v_perm_b32 v78, v94, v84, 0x5040100
	v_cndmask_b32_e64 v84, v97, v102, s17
	v_cndmask_b32_e64 v85, v85, v102, s18
	;; [unrolled: 1-line block ×5, first 2 shown]
	v_lshrrev_b32_e32 v107, 16, v91
	v_cndmask_b32_e64 v84, v84, v87, s21
	v_cndmask_b32_e64 v85, v85, v87, s22
	;; [unrolled: 1-line block ×11, first 2 shown]
	v_lshrrev_b32_e32 v108, 16, v92
	v_cndmask_b32_e64 v81, v81, v92, s7
	v_cndmask_b32_e64 v84, v84, v88, s26
	;; [unrolled: 1-line block ×12, first 2 shown]
	v_perm_b32 v77, v83, v82, 0x5040100
	v_perm_b32 v84, v85, v84, 0x5040100
	;; [unrolled: 1-line block ×5, first 2 shown]
	s_lshl_b32 s8, s33, 4
	s_mov_b32 s3, exec_lo
	ds_store_b128 v69, v[77:80]
	ds_store_b128 v69, v[81:84] offset:1024
	v_cmpx_gt_u32_e32 16, v0
	s_cbranch_execz .LBB1165_14
; %bb.13:
	v_or_b32_e32 v77, s31, v0
	s_load_b128 s[4:7], s[0:1], 0x58
	s_delay_alu instid0(VALU_DEP_1) | instskip(NEXT) | instid1(VALU_DEP_1)
	v_mad_u64_u32 v[78:79], null, s8, s34, v[77:78]
	v_mad_u64_u32 v[79:80], null, v78, s35, s[14:15]
	s_delay_alu instid0(VALU_DEP_1) | instskip(NEXT) | instid1(VALU_DEP_1)
	v_ashrrev_i32_e32 v80, 31, v79
	v_lshlrev_b64 v[77:78], 2, v[79:80]
	s_waitcnt lgkmcnt(0)
	s_delay_alu instid0(VALU_DEP_1) | instskip(NEXT) | instid1(VALU_DEP_2)
	v_add_co_u32 v79, vcc_lo, s6, v77
	v_add_co_ci_u32_e32 v80, vcc_lo, s7, v78, vcc_lo
	v_add_co_u32 v77, vcc_lo, s4, v77
	v_add_co_ci_u32_e32 v78, vcc_lo, s5, v78, vcc_lo
	global_store_b32 v[79:80], v75, off
	global_store_b32 v[77:78], v76, off
.LBB1165_14:
	s_or_b32 exec_lo, exec_lo, s3
	s_waitcnt lgkmcnt(0)
	s_waitcnt_vscnt null, 0x0
	s_barrier
	buffer_gl0_inv
	ds_load_b128 v[83:86], v68
	ds_load_b128 v[87:90], v68 offset:16
	ds_load_b128 v[95:98], v68 offset:2064
	;; [unrolled: 1-line block ×5, first 2 shown]
	v_cmp_eq_u32_e32 vcc_lo, 1, v71
	v_mov_b32_e32 v75, 0
	ds_load_b128 v[111:114], v68 offset:6160
	ds_load_b128 v[107:110], v68 offset:6144
	ds_load_b128 v[119:122], v68 offset:8208
	ds_load_b128 v[115:118], v68 offset:8192
	v_cmp_eq_u32_e64 s4, 1, v72
	v_cmp_eq_u32_e64 s3, 1, v74
	;; [unrolled: 1-line block ×3, first 2 shown]
	v_mov_b32_e32 v76, v75
	v_mov_b32_e32 v77, v75
	;; [unrolled: 1-line block ×7, first 2 shown]
	v_cmp_eq_u32_e64 s6, 3, v74
	v_cmp_eq_u32_e64 s7, 7, v74
	s_waitcnt lgkmcnt(8)
	s_delay_alu instid0(VALU_DEP_3)
	v_wmma_f32_16x16x16_f16 v[75:82], v[49:56], v[83:90], v[75:82]
	ds_load_b128 v[53:56], v68 offset:10256
	ds_load_b128 v[49:52], v68 offset:10240
	s_waitcnt lgkmcnt(8)
	v_wmma_f32_16x16x16_f16 v[75:82], v[41:48], v[91:98], v[75:82]
	ds_load_b128 v[45:48], v68 offset:12304
	ds_load_b128 v[41:44], v68 offset:12288
	s_waitcnt lgkmcnt(8)
	;; [unrolled: 4-line block ×3, first 2 shown]
	s_barrier
	buffer_gl0_inv
	v_wmma_f32_16x16x16_f16 v[75:82], v[1:8], v[107:114], v[75:82]
	s_delay_alu instid0(VALU_DEP_1) | instskip(NEXT) | instid1(VALU_DEP_1)
	v_wmma_f32_16x16x16_f16 v[75:82], v[9:16], v[115:122], v[75:82]
	v_wmma_f32_16x16x16_f16 v[75:82], v[17:24], v[49:56], v[75:82]
	s_delay_alu instid0(VALU_DEP_1) | instskip(NEXT) | instid1(VALU_DEP_1)
	v_wmma_f32_16x16x16_f16 v[75:82], v[25:32], v[41:48], v[75:82]
	v_wmma_f32_16x16x16_f16 v[75:82], v[57:64], v[33:40], v[75:82]
	s_delay_alu instid0(VALU_DEP_1) | instskip(NEXT) | instid1(VALU_DEP_2)
	v_cvt_f16_f32_e32 v1, v75
	v_cvt_f16_f32_e32 v2, v76
	s_delay_alu instid0(VALU_DEP_3) | instskip(NEXT) | instid1(VALU_DEP_4)
	v_cvt_f16_f32_e32 v3, v77
	v_cvt_f16_f32_e32 v4, v78
	;; [unrolled: 1-line block ×6, first 2 shown]
	v_pack_b32_f16 v1, v1, v2
	v_pack_b32_f16 v2, v3, v4
	;; [unrolled: 1-line block ×3, first 2 shown]
	s_delay_alu instid0(VALU_DEP_4)
	v_pack_b32_f16 v4, v7, v8
	ds_store_b128 v69, v[1:4]
	s_waitcnt lgkmcnt(0)
	s_barrier
	buffer_gl0_inv
	ds_load_b128 v[1:4], v70
	ds_load_b128 v[5:8], v70 offset:16
	s_waitcnt lgkmcnt(1)
	v_lshrrev_b32_e32 v9, 16, v1
	s_waitcnt lgkmcnt(0)
	v_lshrrev_b32_e32 v13, 16, v5
	v_lshrrev_b32_e32 v10, 16, v2
	;; [unrolled: 1-line block ×4, first 2 shown]
	v_cndmask_b32_e32 v17, v1, v9, vcc_lo
	v_cndmask_b32_e32 v18, v5, v13, vcc_lo
	v_cndmask_b32_e64 v21, v1, v9, s4
	v_cmp_eq_u32_e32 vcc_lo, 1, v73
	v_cndmask_b32_e64 v22, v5, v13, s4
	v_cmp_eq_u32_e64 s4, 2, v71
	v_cndmask_b32_e64 v19, v1, v9, s3
	v_cndmask_b32_e64 v20, v5, v13, s3
	v_cndmask_b32_e32 v1, v1, v9, vcc_lo
	v_cmp_eq_u32_e64 s3, 2, v73
	v_cndmask_b32_e32 v5, v5, v13, vcc_lo
	v_cndmask_b32_e64 v9, v17, v2, s4
	v_cmp_eq_u32_e32 vcc_lo, 3, v71
	v_cndmask_b32_e64 v13, v18, v6, s4
	v_cmp_eq_u32_e64 s4, 2, v72
	v_cndmask_b32_e64 v17, v19, v2, s5
	v_cndmask_b32_e64 v18, v20, v6, s5
	v_cmp_eq_u32_e64 s5, 3, v72
	v_cndmask_b32_e64 v1, v1, v2, s3
	v_cndmask_b32_e64 v19, v21, v2, s4
	;; [unrolled: 1-line block ×4, first 2 shown]
	v_cndmask_b32_e32 v5, v9, v10, vcc_lo
	v_cndmask_b32_e32 v6, v13, v14, vcc_lo
	v_cmp_eq_u32_e32 vcc_lo, 3, v73
	v_cndmask_b32_e64 v9, v17, v10, s6
	v_cndmask_b32_e64 v13, v18, v14, s6
	;; [unrolled: 1-line block ×3, first 2 shown]
	v_cmp_eq_u32_e64 s4, 4, v71
	v_cndmask_b32_e32 v1, v1, v10, vcc_lo
	v_cndmask_b32_e32 v2, v2, v14, vcc_lo
	v_cmp_eq_u32_e32 vcc_lo, 4, v74
	v_lshrrev_b32_e32 v15, 16, v7
	v_lshrrev_b32_e32 v16, 16, v8
	v_cndmask_b32_e64 v17, v19, v10, s5
	v_cmp_eq_u32_e64 s3, 4, v73
	v_cndmask_b32_e64 v5, v5, v3, s4
	v_cndmask_b32_e64 v6, v6, v7, s4
	v_cndmask_b32_e32 v9, v9, v3, vcc_lo
	v_cmp_eq_u32_e64 s4, 5, v74
	v_cndmask_b32_e32 v10, v13, v7, vcc_lo
	v_cmp_eq_u32_e32 vcc_lo, 4, v72
	v_cmp_eq_u32_e64 s5, 5, v71
	v_cndmask_b32_e64 v2, v2, v7, s3
	v_cndmask_b32_e64 v9, v9, v11, s4
	;; [unrolled: 1-line block ×3, first 2 shown]
	v_cndmask_b32_e32 v13, v17, v3, vcc_lo
	v_cmp_eq_u32_e64 s4, 5, v72
	v_cndmask_b32_e32 v14, v18, v7, vcc_lo
	v_cndmask_b32_e64 v1, v1, v3, s3
	v_cmp_eq_u32_e32 vcc_lo, 5, v73
	v_lshrrev_b32_e32 v12, 16, v4
	v_cndmask_b32_e64 v13, v13, v11, s4
	v_cndmask_b32_e64 v3, v14, v15, s4
	v_cmp_eq_u32_e64 s4, 6, v73
	v_cndmask_b32_e32 v1, v1, v11, vcc_lo
	v_cndmask_b32_e64 v5, v5, v11, s5
	v_cmp_eq_u32_e64 s6, 6, v71
	v_cndmask_b32_e64 v6, v6, v15, s5
	v_cmp_eq_u32_e64 s5, 6, v74
	v_cmp_eq_u32_e64 s3, 6, v72
	v_cndmask_b32_e64 v1, v1, v4, s4
	v_cndmask_b32_e32 v2, v2, v15, vcc_lo
	v_cmp_eq_u32_e32 vcc_lo, 7, v73
	v_cndmask_b32_e64 v5, v5, v4, s6
	v_cndmask_b32_e64 v9, v9, v4, s5
	;; [unrolled: 1-line block ×3, first 2 shown]
	v_cmp_eq_u32_e64 s6, 7, v71
	v_cndmask_b32_e32 v1, v1, v12, vcc_lo
	v_cndmask_b32_e64 v7, v13, v4, s3
	v_cndmask_b32_e64 v3, v3, v8, s3
	;; [unrolled: 1-line block ×3, first 2 shown]
	v_cmp_eq_u32_e64 s3, 7, v72
	v_cndmask_b32_e64 v4, v10, v8, s5
	v_cndmask_b32_e64 v5, v5, v12, s6
	;; [unrolled: 1-line block ×3, first 2 shown]
	v_cndmask_b32_e32 v2, v2, v16, vcc_lo
	v_cndmask_b32_e64 v7, v7, v12, s3
	v_cndmask_b32_e64 v3, v3, v16, s3
	;; [unrolled: 1-line block ×4, first 2 shown]
	v_cmp_gt_u32_e32 vcc_lo, 32, v0
	v_perm_b32 v4, v2, v1, 0x5040100
	v_perm_b32 v3, v3, v7, 0x5040100
	;; [unrolled: 1-line block ×4, first 2 shown]
	s_and_b32 s2, vcc_lo, s2
	ds_store_b128 v69, v[1:4]
	s_waitcnt lgkmcnt(0)
	s_barrier
	buffer_gl0_inv
	s_and_saveexec_b32 s3, s2
	s_cbranch_execz .LBB1165_2
; %bb.15:
	s_load_b64 s[0:1], s[0:1], 0x68
	v_lshlrev_b32_e32 v0, 10, v0
	s_lshl_b32 s4, s35, 6
	v_or_b32_e32 v23, s31, v66
	s_mul_i32 s2, s4, s34
	v_lshlrev_b32_e32 v1, 4, v67
	v_lshlrev_b32_e32 v2, 6, v66
	s_mul_i32 s2, s2, s8
	v_and_b32_e32 v0, 0x3800, v0
	v_mul_lo_u32 v8, v23, s4
	s_ashr_i32 s3, s2, 31
	v_or_b32_e32 v3, 2, v23
	s_lshl_b64 s[2:3], s[2:3], 1
	v_or3_b32 v27, v0, v1, v2
	v_or_b32_e32 v11, 4, v23
	v_or_b32_e32 v18, 6, v23
	v_mul_lo_u32 v10, v3, s4
	v_ashrrev_i32_e32 v9, 31, v8
	ds_load_b128 v[0:3], v27
	ds_load_b128 v[4:7], v27 offset:128
	v_mul_lo_u32 v12, v11, s4
	s_waitcnt lgkmcnt(0)
	s_add_u32 s2, s0, s2
	s_addc_u32 s3, s1, s3
	s_lshl_b32 s0, s14, 6
	v_lshlrev_b64 v[8:9], 1, v[8:9]
	s_ashr_i32 s1, s0, 31
	v_ashrrev_i32_e32 v11, 31, v10
	s_lshl_b64 s[0:1], s[0:1], 1
	v_ashrrev_i32_e32 v13, 31, v12
	s_add_u32 s0, s2, s0
	s_addc_u32 s1, s3, s1
	v_add_co_u32 v30, s0, s0, v65
	s_delay_alu instid0(VALU_DEP_1) | instskip(SKIP_1) | instid1(VALU_DEP_3)
	v_add_co_ci_u32_e64 v31, null, s1, 0, s0
	v_lshlrev_b64 v[16:17], 1, v[10:11]
	v_add_co_u32 v14, vcc_lo, v30, v8
	s_delay_alu instid0(VALU_DEP_3)
	v_add_co_ci_u32_e32 v15, vcc_lo, v31, v9, vcc_lo
	ds_load_b128 v[8:11], v27 offset:256
	v_mul_lo_u32 v18, v18, s4
	v_or_b32_e32 v19, 8, v23
	v_add_co_u32 v16, vcc_lo, v30, v16
	global_store_b128 v[14:15], v[0:3], off
	v_lshlrev_b64 v[0:1], 1, v[12:13]
	v_add_co_ci_u32_e32 v17, vcc_lo, v31, v17, vcc_lo
	v_mul_lo_u32 v12, v19, s4
	v_ashrrev_i32_e32 v19, 31, v18
	v_or_b32_e32 v14, 10, v23
	global_store_b128 v[16:17], v[4:7], off
	v_add_co_u32 v4, vcc_lo, v30, v0
	v_add_co_ci_u32_e32 v5, vcc_lo, v31, v1, vcc_lo
	ds_load_b128 v[0:3], v27 offset:384
	v_ashrrev_i32_e32 v13, 31, v12
	v_lshlrev_b64 v[6:7], 1, v[18:19]
	v_mul_lo_u32 v14, v14, s4
	s_waitcnt lgkmcnt(1)
	global_store_b128 v[4:5], v[8:11], off
	v_or_b32_e32 v8, 12, v23
	v_lshlrev_b64 v[4:5], 1, v[12:13]
	v_add_co_u32 v20, vcc_lo, v30, v6
	v_or_b32_e32 v6, 14, v23
	v_ashrrev_i32_e32 v15, 31, v14
	v_mul_lo_u32 v22, v8, s4
	v_add_co_ci_u32_e32 v21, vcc_lo, v31, v7, vcc_lo
	v_add_co_u32 v24, vcc_lo, v30, v4
	v_mul_lo_u32 v26, v6, s4
	v_add_co_ci_u32_e32 v25, vcc_lo, v31, v5, vcc_lo
	v_lshlrev_b64 v[28:29], 1, v[14:15]
	ds_load_b128 v[4:7], v27 offset:512
	ds_load_b128 v[8:11], v27 offset:640
	;; [unrolled: 1-line block ×4, first 2 shown]
	v_ashrrev_i32_e32 v23, 31, v22
	v_ashrrev_i32_e32 v27, 31, v26
	v_add_co_u32 v28, vcc_lo, v30, v28
	s_delay_alu instid0(VALU_DEP_3) | instskip(SKIP_1) | instid1(VALU_DEP_4)
	v_lshlrev_b64 v[22:23], 1, v[22:23]
	v_add_co_ci_u32_e32 v29, vcc_lo, v31, v29, vcc_lo
	v_lshlrev_b64 v[26:27], 1, v[26:27]
	s_delay_alu instid0(VALU_DEP_3) | instskip(NEXT) | instid1(VALU_DEP_4)
	v_add_co_u32 v22, vcc_lo, v30, v22
	v_add_co_ci_u32_e32 v23, vcc_lo, v31, v23, vcc_lo
	s_delay_alu instid0(VALU_DEP_3) | instskip(NEXT) | instid1(VALU_DEP_4)
	v_add_co_u32 v26, vcc_lo, v30, v26
	v_add_co_ci_u32_e32 v27, vcc_lo, v31, v27, vcc_lo
	s_waitcnt lgkmcnt(4)
	global_store_b128 v[20:21], v[0:3], off
	s_waitcnt lgkmcnt(3)
	global_store_b128 v[24:25], v[4:7], off
	;; [unrolled: 2-line block ×5, first 2 shown]
	s_nop 0
	s_sendmsg sendmsg(MSG_DEALLOC_VGPRS)
	s_endpgm
	.section	.rodata,"a",@progbits
	.p2align	6, 0x0
	.amdhsa_kernel _Z39paged_attention_ll4mi_QKV_mfma16_kernelIDF16_hLN4vllm18Fp8KVCacheDataTypeE1EhLi32ELi64ELi256ELb1ELi16EL8MFMAType0EEvPKT_PKT0_S8_ifPKiSA_SA_iPKfiiiPfSD_PS3_PT2_iSC_SC_
		.amdhsa_group_segment_fixed_size 17472
		.amdhsa_private_segment_fixed_size 0
		.amdhsa_kernarg_size 400
		.amdhsa_user_sgpr_count 13
		.amdhsa_user_sgpr_dispatch_ptr 0
		.amdhsa_user_sgpr_queue_ptr 0
		.amdhsa_user_sgpr_kernarg_segment_ptr 1
		.amdhsa_user_sgpr_dispatch_id 0
		.amdhsa_user_sgpr_private_segment_size 0
		.amdhsa_wavefront_size32 1
		.amdhsa_uses_dynamic_stack 0
		.amdhsa_enable_private_segment 0
		.amdhsa_system_sgpr_workgroup_id_x 1
		.amdhsa_system_sgpr_workgroup_id_y 1
		.amdhsa_system_sgpr_workgroup_id_z 1
		.amdhsa_system_sgpr_workgroup_info 0
		.amdhsa_system_vgpr_workitem_id 0
		.amdhsa_next_free_vgpr 123
		.amdhsa_next_free_sgpr 42
		.amdhsa_reserve_vcc 1
		.amdhsa_float_round_mode_32 0
		.amdhsa_float_round_mode_16_64 0
		.amdhsa_float_denorm_mode_32 3
		.amdhsa_float_denorm_mode_16_64 3
		.amdhsa_dx10_clamp 1
		.amdhsa_ieee_mode 1
		.amdhsa_fp16_overflow 0
		.amdhsa_workgroup_processor_mode 1
		.amdhsa_memory_ordered 1
		.amdhsa_forward_progress 0
		.amdhsa_shared_vgpr_count 0
		.amdhsa_exception_fp_ieee_invalid_op 0
		.amdhsa_exception_fp_denorm_src 0
		.amdhsa_exception_fp_ieee_div_zero 0
		.amdhsa_exception_fp_ieee_overflow 0
		.amdhsa_exception_fp_ieee_underflow 0
		.amdhsa_exception_fp_ieee_inexact 0
		.amdhsa_exception_int_div_zero 0
	.end_amdhsa_kernel
	.section	.text._Z39paged_attention_ll4mi_QKV_mfma16_kernelIDF16_hLN4vllm18Fp8KVCacheDataTypeE1EhLi32ELi64ELi256ELb1ELi16EL8MFMAType0EEvPKT_PKT0_S8_ifPKiSA_SA_iPKfiiiPfSD_PS3_PT2_iSC_SC_,"axG",@progbits,_Z39paged_attention_ll4mi_QKV_mfma16_kernelIDF16_hLN4vllm18Fp8KVCacheDataTypeE1EhLi32ELi64ELi256ELb1ELi16EL8MFMAType0EEvPKT_PKT0_S8_ifPKiSA_SA_iPKfiiiPfSD_PS3_PT2_iSC_SC_,comdat
.Lfunc_end1165:
	.size	_Z39paged_attention_ll4mi_QKV_mfma16_kernelIDF16_hLN4vllm18Fp8KVCacheDataTypeE1EhLi32ELi64ELi256ELb1ELi16EL8MFMAType0EEvPKT_PKT0_S8_ifPKiSA_SA_iPKfiiiPfSD_PS3_PT2_iSC_SC_, .Lfunc_end1165-_Z39paged_attention_ll4mi_QKV_mfma16_kernelIDF16_hLN4vllm18Fp8KVCacheDataTypeE1EhLi32ELi64ELi256ELb1ELi16EL8MFMAType0EEvPKT_PKT0_S8_ifPKiSA_SA_iPKfiiiPfSD_PS3_PT2_iSC_SC_
                                        ; -- End function
	.section	.AMDGPU.csdata,"",@progbits
; Kernel info:
; codeLenInByte = 6736
; NumSgprs: 44
; NumVgprs: 123
; ScratchSize: 0
; MemoryBound: 0
; FloatMode: 240
; IeeeMode: 1
; LDSByteSize: 17472 bytes/workgroup (compile time only)
; SGPRBlocks: 5
; VGPRBlocks: 15
; NumSGPRsForWavesPerEU: 44
; NumVGPRsForWavesPerEU: 123
; Occupancy: 10
; WaveLimiterHint : 1
; COMPUTE_PGM_RSRC2:SCRATCH_EN: 0
; COMPUTE_PGM_RSRC2:USER_SGPR: 13
; COMPUTE_PGM_RSRC2:TRAP_HANDLER: 0
; COMPUTE_PGM_RSRC2:TGID_X_EN: 1
; COMPUTE_PGM_RSRC2:TGID_Y_EN: 1
; COMPUTE_PGM_RSRC2:TGID_Z_EN: 1
; COMPUTE_PGM_RSRC2:TIDIG_COMP_CNT: 0
	.section	.text._Z39paged_attention_ll4mi_QKV_mfma16_kernelIDF16_hLN4vllm18Fp8KVCacheDataTypeE1EhLi32ELi64ELi256ELb1ELi1EL8MFMAType0EEvPKT_PKT0_S8_ifPKiSA_SA_iPKfiiiPfSD_PS3_PT2_iSC_SC_,"axG",@progbits,_Z39paged_attention_ll4mi_QKV_mfma16_kernelIDF16_hLN4vllm18Fp8KVCacheDataTypeE1EhLi32ELi64ELi256ELb1ELi1EL8MFMAType0EEvPKT_PKT0_S8_ifPKiSA_SA_iPKfiiiPfSD_PS3_PT2_iSC_SC_,comdat
	.protected	_Z39paged_attention_ll4mi_QKV_mfma16_kernelIDF16_hLN4vllm18Fp8KVCacheDataTypeE1EhLi32ELi64ELi256ELb1ELi1EL8MFMAType0EEvPKT_PKT0_S8_ifPKiSA_SA_iPKfiiiPfSD_PS3_PT2_iSC_SC_ ; -- Begin function _Z39paged_attention_ll4mi_QKV_mfma16_kernelIDF16_hLN4vllm18Fp8KVCacheDataTypeE1EhLi32ELi64ELi256ELb1ELi1EL8MFMAType0EEvPKT_PKT0_S8_ifPKiSA_SA_iPKfiiiPfSD_PS3_PT2_iSC_SC_
	.globl	_Z39paged_attention_ll4mi_QKV_mfma16_kernelIDF16_hLN4vllm18Fp8KVCacheDataTypeE1EhLi32ELi64ELi256ELb1ELi1EL8MFMAType0EEvPKT_PKT0_S8_ifPKiSA_SA_iPKfiiiPfSD_PS3_PT2_iSC_SC_
	.p2align	8
	.type	_Z39paged_attention_ll4mi_QKV_mfma16_kernelIDF16_hLN4vllm18Fp8KVCacheDataTypeE1EhLi32ELi64ELi256ELb1ELi1EL8MFMAType0EEvPKT_PKT0_S8_ifPKiSA_SA_iPKfiiiPfSD_PS3_PT2_iSC_SC_,@function
_Z39paged_attention_ll4mi_QKV_mfma16_kernelIDF16_hLN4vllm18Fp8KVCacheDataTypeE1EhLi32ELi64ELi256ELb1ELi1EL8MFMAType0EEvPKT_PKT0_S8_ifPKiSA_SA_iPKfiiiPfSD_PS3_PT2_iSC_SC_: ; @_Z39paged_attention_ll4mi_QKV_mfma16_kernelIDF16_hLN4vllm18Fp8KVCacheDataTypeE1EhLi32ELi64ELi256ELb1ELi1EL8MFMAType0EEvPKT_PKT0_S8_ifPKiSA_SA_iPKfiiiPfSD_PS3_PT2_iSC_SC_
; %bb.0:
	s_load_b64 s[4:5], s[0:1], 0x30
	s_mov_b32 s34, s13
	s_waitcnt lgkmcnt(0)
	s_cmp_lg_u64 s[4:5], 0
	s_cselect_b32 s6, -1, 0
	s_ashr_i32 s35, s13, 31
	s_cmp_eq_u64 s[4:5], 0
	s_cbranch_scc1 .LBB1166_3
; %bb.1:
	s_lshl_b64 s[2:3], s[34:35], 2
	s_delay_alu instid0(SALU_CYCLE_1) | instskip(SKIP_4) | instid1(SALU_CYCLE_1)
	s_add_u32 s2, s4, s2
	s_addc_u32 s3, s5, s3
	s_load_b64 s[2:3], s[2:3], 0x0
	s_waitcnt lgkmcnt(0)
	s_sub_i32 s2, s3, s2
	s_cmp_eq_u32 s2, 1
	s_cselect_b32 s2, -1, 0
	s_delay_alu instid0(SALU_CYCLE_1)
	s_and_not1_b32 vcc_lo, exec_lo, s2
	s_cbranch_vccz .LBB1166_4
.LBB1166_2:
	s_endpgm
.LBB1166_3:
.LBB1166_4:
	s_load_b64 s[2:3], s[0:1], 0x28
	s_lshl_b64 s[8:9], s[34:35], 2
	s_waitcnt lgkmcnt(0)
	s_add_u32 s2, s2, s8
	s_addc_u32 s3, s3, s9
	s_lshl_b32 s12, s14, 8
	s_load_b32 s33, s[2:3], 0x0
	s_waitcnt lgkmcnt(0)
	s_cmp_ge_i32 s12, s33
	s_cbranch_scc1 .LBB1166_2
; %bb.5:
	s_clause 0x1
	s_load_b128 s[28:31], s[0:1], 0x8
	s_load_b64 s[2:3], s[0:1], 0x20
	s_and_not1_b32 vcc_lo, exec_lo, s6
	s_mov_b64 s[6:7], s[34:35]
	s_cbranch_vccnz .LBB1166_7
; %bb.6:
	s_add_u32 s4, s4, s8
	s_addc_u32 s5, s5, s9
	s_load_b32 s6, s[4:5], 0x0
.LBB1166_7:
	s_load_b128 s[24:27], s[0:1], 0x48
	v_and_b32_e32 v73, 15, v0
	s_mov_b32 s13, exec_lo
                                        ; implicit-def: $sgpr16
                                        ; implicit-def: $sgpr4
	s_delay_alu instid0(VALU_DEP_1)
	v_cmpx_eq_u32_e32 0, v73
	s_cbranch_execz .LBB1166_9
; %bb.8:
	s_load_b64 s[4:5], s[0:1], 0x0
	s_waitcnt lgkmcnt(0)
	s_mul_hi_i32 s7, s6, s24
	s_mul_i32 s6, s6, s24
	s_delay_alu instid0(SALU_CYCLE_1) | instskip(NEXT) | instid1(SALU_CYCLE_1)
	s_lshl_b64 s[6:7], s[6:7], 1
	s_add_u32 s6, s4, s6
	s_addc_u32 s7, s5, s7
	s_lshl_b32 s4, s15, 6
	s_delay_alu instid0(SALU_CYCLE_1) | instskip(NEXT) | instid1(SALU_CYCLE_1)
	s_ashr_i32 s5, s4, 31
	s_lshl_b64 s[4:5], s[4:5], 1
	s_delay_alu instid0(SALU_CYCLE_1)
	s_add_u32 s4, s6, s4
	s_addc_u32 s5, s7, s5
	s_clause 0x1
	s_load_b256 s[16:23], s[4:5], 0x0
	s_load_b256 s[4:11], s[4:5], 0x40
.LBB1166_9:
	s_or_b32 exec_lo, exec_lo, s13
	v_and_b32_e32 v1, 0xef, v0
	s_waitcnt lgkmcnt(0)
	v_dual_mov_b32 v115, s23 :: v_dual_mov_b32 v108, s16
	v_mov_b32_e32 v114, s22
	s_add_i32 s13, s33, 31
	v_dual_mov_b32 v112, s20 :: v_dual_add_nc_u32 v1, s12, v1
	s_ashr_i32 s24, s13, 31
	s_load_b32 s27, s[0:1], 0x38
	s_lshr_b32 s24, s24, 27
	s_delay_alu instid0(VALU_DEP_1)
	v_ashrrev_i32_e32 v2, 31, v1
	v_or_b32_e32 v3, 16, v1
	s_add_i32 s13, s13, s24
	s_load_b32 s24, s[0:1], 0x1c
	s_ashr_i32 s13, s13, 5
	v_lshrrev_b32_e32 v2, 27, v2
	s_add_i32 s13, s13, -1
	v_cmp_gt_i32_e32 vcc_lo, s33, v1
	v_lshrrev_b32_e32 v66, 5, v0
	s_delay_alu instid0(VALU_DEP_3)
	v_dual_mov_b32 v111, s19 :: v_dual_add_nc_u32 v4, v1, v2
	v_mov_b32_e32 v113, s21
	v_mov_b32_e32 v109, s17
	v_and_b32_e32 v65, 0xe0, v0
	v_mbcnt_lo_u32_b32 v67, -1, 0
	v_ashrrev_i32_e32 v4, 5, v4
	v_add_nc_u32_e32 v2, v3, v2
	v_bfe_u32 v75, v0, 4, 1
	s_waitcnt lgkmcnt(0)
	s_mul_i32 s36, s34, s27
	v_xor_b32_e32 v68, 16, v67
	v_cndmask_b32_e32 v1, s13, v4, vcc_lo
	v_ashrrev_i32_e32 v2, 5, v2
	v_cmp_gt_i32_e32 vcc_lo, s33, v3
	s_ashr_i32 s37, s36, 31
	v_lshlrev_b32_e32 v74, 4, v73
	s_lshl_b64 s[36:37], s[36:37], 2
	v_mov_b32_e32 v110, s18
	v_cndmask_b32_e32 v3, s13, v2, vcc_lo
	v_ashrrev_i32_e32 v2, 31, v1
	s_add_u32 s36, s2, s36
	s_addc_u32 s35, s3, s37
	s_mul_i32 s37, s15, s26
	v_ashrrev_i32_e32 v4, 31, v3
	v_lshlrev_b64 v[1:2], 2, v[1:2]
	s_ashr_i32 s38, s37, 31
	s_add_u32 s40, s28, s37
	s_addc_u32 s41, s29, s38
	v_lshlrev_b64 v[3:4], 2, v[3:4]
	s_lshl_b32 s2, s14, 3
	v_add_co_u32 v1, vcc_lo, s36, v1
	v_add_co_ci_u32_e32 v2, vcc_lo, s35, v2, vcc_lo
	s_delay_alu instid0(VALU_DEP_3) | instskip(NEXT) | instid1(VALU_DEP_4)
	v_add_co_u32 v3, vcc_lo, s36, v3
	v_add_co_ci_u32_e32 v4, vcc_lo, s35, v4, vcc_lo
	s_clause 0x1
	global_load_b32 v5, v[1:2], off
	global_load_b32 v6, v[3:4], off
	s_ashr_i32 s3, s2, 31
	s_delay_alu instid0(SALU_CYCLE_1) | instskip(NEXT) | instid1(SALU_CYCLE_1)
	s_lshl_b64 s[2:3], s[2:3], 2
	s_add_u32 s2, s36, s2
	s_addc_u32 s3, s35, s3
	s_or_b32 s26, s12, 32
	s_delay_alu instid0(SALU_CYCLE_1) | instskip(SKIP_2) | instid1(SALU_CYCLE_1)
	s_ashr_i32 s27, s26, 5
	s_cmp_lt_i32 s26, s33
	s_cselect_b32 s26, s27, s13
	s_ashr_i32 s27, s26, 31
	s_delay_alu instid0(SALU_CYCLE_1) | instskip(NEXT) | instid1(SALU_CYCLE_1)
	s_lshl_b64 s[26:27], s[26:27], 2
	s_add_u32 s26, s36, s26
	s_addc_u32 s27, s35, s27
	s_or_b32 s28, s12, 64
	s_delay_alu instid0(SALU_CYCLE_1) | instskip(SKIP_2) | instid1(SALU_CYCLE_1)
	s_ashr_i32 s29, s28, 5
	s_cmp_lt_i32 s28, s33
	s_cselect_b32 s28, s29, s13
	;; [unrolled: 10-line block ×5, first 2 shown]
	s_ashr_i32 s29, s28, 31
	s_delay_alu instid0(SALU_CYCLE_1) | instskip(NEXT) | instid1(SALU_CYCLE_1)
	s_lshl_b64 s[28:29], s[28:29], 2
	s_add_u32 s48, s36, s28
	s_addc_u32 s49, s35, s29
	s_clause 0x5
	s_load_b32 s29, s[2:3], 0x0
	s_load_b32 s2, s[26:27], 0x0
	;; [unrolled: 1-line block ×6, first 2 shown]
	s_or_b32 s39, s12, 0xc0
	s_waitcnt vmcnt(1)
	v_mad_i64_i32 v[1:2], null, v5, s25, s[40:41]
	s_waitcnt vmcnt(0)
	v_mad_i64_i32 v[3:4], null, v6, s25, s[40:41]
	s_ashr_i32 s40, s39, 5
	s_cmp_lt_i32 s39, s33
	s_cselect_b32 s40, s40, s13
	s_delay_alu instid0(VALU_DEP_2) | instskip(NEXT) | instid1(VALU_DEP_3)
	v_add_co_u32 v1, vcc_lo, v1, v74
	v_add_co_ci_u32_e32 v2, vcc_lo, 0, v2, vcc_lo
	s_delay_alu instid0(VALU_DEP_3) | instskip(NEXT) | instid1(VALU_DEP_4)
	v_add_co_u32 v3, vcc_lo, v3, v74
	v_add_co_ci_u32_e32 v4, vcc_lo, 0, v4, vcc_lo
	s_clause 0x7
	global_load_b128 v[76:79], v[1:2], off
	global_load_b128 v[80:83], v[1:2], off offset:512
	global_load_b128 v[84:87], v[3:4], off offset:256
	;; [unrolled: 1-line block ×7, first 2 shown]
	s_ashr_i32 s41, s40, 31
	v_lshlrev_b32_e32 v1, 5, v73
	s_lshl_b64 s[40:41], s[40:41], 2
	v_cmp_gt_i32_e32 vcc_lo, 32, v68
	s_add_u32 s40, s36, s40
	s_addc_u32 s41, s35, s41
	s_or_b32 s39, s12, 0xe0
	v_lshl_or_b32 v1, v66, 9, v1
	s_ashr_i32 s42, s39, 5
	s_cmp_lt_i32 s39, s33
	s_cselect_b32 s42, s42, s13
	s_load_b32 s13, s[40:41], 0x0
	s_ashr_i32 s43, s42, 31
	s_delay_alu instid0(SALU_CYCLE_1) | instskip(NEXT) | instid1(SALU_CYCLE_1)
	s_lshl_b64 s[42:43], s[42:43], 2
	s_add_u32 s40, s36, s42
	s_addc_u32 s41, s35, s43
	s_add_u32 s30, s30, s37
	s_addc_u32 s31, s31, s38
	v_add_co_u32 v1, s30, s30, v1
	s_delay_alu instid0(VALU_DEP_1) | instskip(SKIP_3) | instid1(VALU_DEP_1)
	v_add_co_ci_u32_e64 v2, null, s31, 0, s30
	s_load_b32 s30, s[40:41], 0x0
	s_mov_b32 s36, 0
	s_waitcnt lgkmcnt(0)
	v_mad_i64_i32 v[3:4], null, s29, s25, v[1:2]
	v_mad_i64_i32 v[9:10], null, s26, s25, v[1:2]
	v_mad_i64_i32 v[5:6], null, s2, s25, v[1:2]
	v_mad_i64_i32 v[13:14], null, s27, s25, v[1:2]
	v_mad_i64_i32 v[7:8], null, s3, s25, v[1:2]
	v_mad_i64_i32 v[21:22], null, s28, s25, v[1:2]
	v_mad_i64_i32 v[29:30], null, s13, s25, v[1:2]
	s_clause 0x5
	global_load_b128 v[49:52], v[3:4], off
	global_load_b128 v[53:56], v[3:4], off offset:16
	global_load_b128 v[41:44], v[5:6], off
	global_load_b128 v[45:48], v[5:6], off offset:16
	;; [unrolled: 2-line block ×3, first 2 shown]
	s_mov_b32 s43, s36
	s_mov_b32 s37, s36
	v_mad_i64_i32 v[61:62], null, s30, s25, v[1:2]
	s_clause 0x9
	global_load_b128 v[1:4], v[9:10], off
	global_load_b128 v[5:8], v[9:10], off offset:16
	global_load_b128 v[9:12], v[13:14], off
	global_load_b128 v[13:16], v[13:14], off offset:16
	;; [unrolled: 2-line block ×5, first 2 shown]
	s_mov_b32 s38, s36
	s_mov_b32 s39, s36
	;; [unrolled: 1-line block ×5, first 2 shown]
	v_mov_b32_e32 v123, s11
	v_mov_b32_e32 v131, s43
	v_dual_mov_b32 v121, s9 :: v_dual_mov_b32 v128, s40
	v_dual_mov_b32 v119, s7 :: v_dual_mov_b32 v126, s38
	;; [unrolled: 1-line block ×4, first 2 shown]
	v_mov_b32_e32 v127, s39
	v_dual_mov_b32 v125, s37 :: v_dual_mov_b32 v122, s10
	v_mov_b32_e32 v120, s8
	v_dual_mov_b32 v118, s6 :: v_dual_add_nc_u32 v65, s12, v65
	v_mov_b32_e32 v116, s4
	s_waitcnt vmcnt(0)
	s_barrier
	buffer_gl0_inv
	v_or_b32_e32 v65, v65, v75
	s_delay_alu instid0(VALU_DEP_1)
	v_or_b32_e32 v69, 4, v65
	v_or_b32_e32 v70, 6, v65
	;; [unrolled: 1-line block ×8, first 2 shown]
	v_cmp_gt_i32_e64 s3, s33, v69
	v_cmp_gt_i32_e64 s4, s33, v70
	;; [unrolled: 1-line block ×8, first 2 shown]
	v_wmma_f32_16x16x16_f16 v[132:139], v[76:83], v[108:115], v[124:131]
	v_or_b32_e32 v76, 20, v65
	v_or_b32_e32 v77, 22, v65
	;; [unrolled: 1-line block ×3, first 2 shown]
	s_delay_alu instid0(VALU_DEP_4)
	v_wmma_f32_16x16x16_f16 v[132:139], v[92:99], v[116:123], v[132:139]
	v_or_b32_e32 v79, 26, v65
	v_or_b32_e32 v80, 28, v65
	v_or_b32_e32 v81, 30, v65
	v_cmp_gt_i32_e64 s11, s33, v76
	v_mul_f32_e32 v82, s24, v139
	v_wmma_f32_16x16x16_f16 v[124:131], v[84:91], v[108:115], v[124:131]
	v_mul_f32_e32 v88, s24, v133
	v_mul_f32_e32 v86, s24, v135
	;; [unrolled: 1-line block ×3, first 2 shown]
	v_cmp_gt_i32_e64 s12, s33, v77
	v_wmma_f32_16x16x16_f16 v[124:131], v[100:107], v[116:123], v[124:131]
	v_cndmask_b32_e32 v67, v67, v68, vcc_lo
	v_or_b32_e32 v68, 2, v65
	v_cmp_gt_i32_e32 vcc_lo, s33, v65
	s_delay_alu instid0(VALU_DEP_4) | instskip(SKIP_1) | instid1(VALU_DEP_4)
	v_dual_mul_f32 v87, s24, v134 :: v_dual_mul_f32 v96, s24, v125
	v_dual_mul_f32 v90, s24, v131 :: v_dual_mul_f32 v89, s24, v132
	v_cmp_gt_i32_e64 s2, s33, v68
	v_dual_mul_f32 v85, s24, v136 :: v_dual_mul_f32 v94, s24, v127
	s_delay_alu instid0(VALU_DEP_4) | instskip(NEXT) | instid1(VALU_DEP_4)
	v_cndmask_b32_e64 v69, 0xff7fffff, v87, s3
	v_cndmask_b32_e32 v65, 0xff7fffff, v89, vcc_lo
	s_delay_alu instid0(VALU_DEP_4) | instskip(SKIP_3) | instid1(VALU_DEP_4)
	v_cndmask_b32_e64 v68, 0xff7fffff, v88, s2
	v_cndmask_b32_e64 v70, 0xff7fffff, v86, s4
	v_dual_mul_f32 v83, s24, v138 :: v_dual_mul_f32 v92, s24, v129
	v_cndmask_b32_e64 v71, 0xff7fffff, v84, s6
	v_max3_f32 v65, v65, 0xff7fffff, v68
	v_cndmask_b32_e64 v68, 0xff7fffff, v85, s5
	v_mul_f32_e32 v97, s24, v124
	v_mul_f32_e32 v95, s24, v126
	;; [unrolled: 1-line block ×3, first 2 shown]
	v_max3_f32 v65, v65, v69, v70
	v_cndmask_b32_e64 v69, 0xff7fffff, v83, s7
	v_cndmask_b32_e64 v70, 0xff7fffff, v82, s8
	v_cmp_gt_i32_e64 s13, s33, v78
	v_cmp_gt_i32_e64 s16, s33, v79
	v_max3_f32 v65, v65, v68, v71
	v_cndmask_b32_e64 v68, 0xff7fffff, v97, s9
	v_cndmask_b32_e64 v71, 0xff7fffff, v96, s10
	v_mul_f32_e32 v91, s24, v130
	v_cmp_gt_i32_e64 s17, s33, v80
	v_max3_f32 v65, v65, v69, v70
	v_cndmask_b32_e64 v69, 0xff7fffff, v95, s11
	v_cndmask_b32_e64 v70, 0xff7fffff, v94, s12
	v_cmp_gt_i32_e64 s18, s33, v81
	s_delay_alu instid0(VALU_DEP_4) | instskip(SKIP_2) | instid1(VALU_DEP_3)
	v_max3_f32 v65, v65, v68, v71
	v_cndmask_b32_e64 v68, 0xff7fffff, v93, s13
	v_cndmask_b32_e64 v71, 0xff7fffff, v92, s16
	v_max3_f32 v65, v65, v69, v70
	v_cndmask_b32_e64 v69, 0xff7fffff, v91, s17
	v_cndmask_b32_e64 v70, 0xff7fffff, v90, s18
	s_delay_alu instid0(VALU_DEP_3) | instskip(SKIP_1) | instid1(VALU_DEP_2)
	v_max3_f32 v65, v65, v68, v71
	v_lshlrev_b32_e32 v68, 2, v67
	v_max3_f32 v65, v65, v69, v70
	ds_bpermute_b32 v67, v68, v65
	s_waitcnt lgkmcnt(0)
	v_max_f32_e32 v67, v67, v67
	s_delay_alu instid0(VALU_DEP_1) | instskip(NEXT) | instid1(VALU_DEP_1)
	v_max_f32_e32 v65, v65, v67
	v_fma_f32 v80, s24, v124, -v65
	s_delay_alu instid0(VALU_DEP_1)
	v_mul_f32_e32 v80, 0x3fb8aa3b, v80
	v_fma_f32 v78, s24, v138, -v65
	v_fma_f32 v71, s24, v135, -v65
	;; [unrolled: 1-line block ×5, first 2 shown]
	v_mul_f32_e32 v78, 0x3fb8aa3b, v78
	v_exp_f32_e32 v80, v80
	v_mul_f32_e32 v67, 0x3fb8aa3b, v67
	v_fma_f32 v72, s24, v136, -v65
	v_mul_f32_e32 v70, 0x3fb8aa3b, v70
	v_exp_f32_e32 v78, v78
	s_delay_alu instid0(VALU_DEP_3) | instskip(NEXT) | instid1(VALU_DEP_2)
	v_exp_f32_e32 v67, v67
	v_mul_f32_e32 v72, 0x3fb8aa3b, v72
	s_delay_alu instid0(VALU_DEP_2) | instskip(SKIP_2) | instid1(VALU_DEP_3)
	v_exp_f32_e32 v76, v70
	v_cndmask_b32_e64 v88, 0, v80, s9
	v_fma_f32 v80, s24, v129, -v65
	v_exp_f32_e32 v79, v72
	v_cndmask_b32_e64 v86, 0, v78, s7
	v_fma_f32 v78, s24, v127, -v65
	v_mul_f32_e32 v71, 0x3fb8aa3b, v71
	s_delay_alu instid0(TRANS32_DEP_3) | instskip(SKIP_1) | instid1(TRANS32_DEP_2)
	v_cndmask_b32_e32 v70, 0, v67, vcc_lo
	v_fma_f32 v67, s24, v137, -v65
	v_cndmask_b32_e64 v72, 0, v76, s3
	v_mul_f32_e32 v78, 0x3fb8aa3b, v78
	v_exp_f32_e32 v71, v71
	v_dual_add_f32 v77, 0, v70 :: v_dual_mul_f32 v80, 0x3fb8aa3b, v80
	v_mul_f32_e32 v67, 0x3fb8aa3b, v67
	v_cndmask_b32_e64 v84, 0, v79, s5
	v_fma_f32 v79, s24, v125, -v65
	v_exp_f32_e32 v78, v78
	s_mov_b32 s3, exec_lo
	v_exp_f32_e32 v67, v67
	s_delay_alu instid0(TRANS32_DEP_3) | instskip(SKIP_2) | instid1(VALU_DEP_2)
	v_cndmask_b32_e64 v71, 0, v71, s4
	v_mul_f32_e32 v69, 0x3fb8aa3b, v69
	v_mul_f32_e32 v79, 0x3fb8aa3b, v79
	v_exp_f32_e32 v69, v69
	s_delay_alu instid0(VALU_DEP_1) | instskip(NEXT) | instid1(TRANS32_DEP_3)
	v_exp_f32_e32 v79, v79
	v_cndmask_b32_e64 v83, 0, v67, s6
	v_cndmask_b32_e64 v89, 0, v78, s12
	v_fma_f32 v78, s24, v131, -v65
	s_waitcnt_depctr 0xfff
	v_cndmask_b32_e64 v69, 0, v69, s2
	v_cndmask_b32_e64 v87, 0, v79, s10
	v_fma_f32 v79, s24, v130, -v65
	s_delay_alu instid0(VALU_DEP_3) | instskip(SKIP_1) | instid1(VALU_DEP_1)
	v_add_f32_e32 v76, v77, v69
	v_fma_f32 v77, s24, v139, -v65
	v_dual_add_f32 v76, v76, v72 :: v_dual_mul_f32 v77, 0x3fb8aa3b, v77
	s_delay_alu instid0(VALU_DEP_1) | instskip(NEXT) | instid1(VALU_DEP_1)
	v_add_f32_e32 v76, v76, v71
	v_add_f32_e32 v67, v76, v84
	v_fma_f32 v76, s24, v126, -v65
	s_delay_alu instid0(VALU_DEP_1) | instskip(NEXT) | instid1(VALU_DEP_1)
	v_dual_add_f32 v67, v67, v83 :: v_dual_mul_f32 v76, 0x3fb8aa3b, v76
	v_add_f32_e32 v67, v67, v86
	s_delay_alu instid0(VALU_DEP_2)
	v_exp_f32_e32 v76, v76
	s_waitcnt_depctr 0xfff
	v_cndmask_b32_e64 v90, 0, v76, s11
	v_mul_f32_e32 v76, 0x3fb8aa3b, v79
	v_exp_f32_e32 v77, v77
	v_exp_f32_e32 v79, v80
	s_delay_alu instid0(VALU_DEP_1) | instskip(NEXT) | instid1(TRANS32_DEP_3)
	v_exp_f32_e32 v76, v76
	v_cndmask_b32_e64 v85, 0, v77, s8
	v_fma_f32 v77, s24, v128, -v65
	s_waitcnt_depctr 0xfff
	v_cndmask_b32_e64 v91, 0, v79, s16
	v_cndmask_b32_e64 v94, 0, v76, s17
	v_add_f32_e32 v67, v67, v85
	v_dual_mul_f32 v77, 0x3fb8aa3b, v77 :: v_dual_and_b32 v76, 31, v0
	s_delay_alu instid0(VALU_DEP_2) | instskip(NEXT) | instid1(VALU_DEP_2)
	v_add_f32_e32 v67, v67, v88
	v_exp_f32_e32 v77, v77
	s_delay_alu instid0(VALU_DEP_2) | instskip(NEXT) | instid1(VALU_DEP_2)
	v_cmp_lt_u32_e64 s2, 15, v76
	v_add_f32_e32 v67, v67, v87
	s_delay_alu instid0(VALU_DEP_1) | instskip(SKIP_4) | instid1(VALU_DEP_2)
	v_add_f32_e32 v67, v67, v90
	s_waitcnt_depctr 0xfff
	v_cndmask_b32_e64 v92, 0, v77, s13
	v_mul_f32_e32 v77, 0x3fb8aa3b, v78
	v_add_f32_e32 v67, v67, v89
	v_exp_f32_e32 v77, v77
	s_delay_alu instid0(VALU_DEP_1) | instskip(NEXT) | instid1(VALU_DEP_1)
	v_add_f32_e32 v67, v67, v92
	v_add_f32_e32 v67, v67, v91
	s_waitcnt_depctr 0xfff
	v_cndmask_b32_e64 v93, 0, v77, s18
	v_add_f32_e32 v67, v67, v94
	s_delay_alu instid0(VALU_DEP_1)
	v_add_f32_e32 v67, v67, v93
	ds_bpermute_b32 v68, v68, v67
	v_cmpx_gt_u32_e32 16, v76
	s_cbranch_execz .LBB1166_11
; %bb.10:
	v_mul_u32_u24_e32 v76, 0x44, v66
	s_waitcnt lgkmcnt(0)
	v_add_f32_e32 v67, v67, v68
	s_delay_alu instid0(VALU_DEP_2) | instskip(NEXT) | instid1(VALU_DEP_1)
	v_lshl_add_u32 v76, v73, 2, v76
	v_add_nc_u32_e32 v68, 0x4000, v76
	ds_store_2addr_b32 v68, v65, v67 offset1:136
.LBB1166_11:
	s_or_b32 exec_lo, exec_lo, s3
	v_lshlrev_b32_e32 v65, 2, v73
	s_load_b64 s[36:37], s[0:1], 0x94
	s_waitcnt lgkmcnt(0)
	s_barrier
	buffer_gl0_inv
	v_add_nc_u32_e32 v65, 0x4000, v65
	v_cmp_eq_u32_e32 vcc_lo, 1, v66
	v_cmp_eq_u32_e64 s3, 2, v66
	v_cmp_eq_u32_e64 s5, 3, v66
	;; [unrolled: 1-line block ×3, first 2 shown]
	ds_load_2addr_b32 v[76:77], v65 offset1:17
	ds_load_2addr_b32 v[78:79], v65 offset0:34 offset1:51
	ds_load_2addr_b32 v[80:81], v65 offset0:68 offset1:85
	;; [unrolled: 1-line block ×3, first 2 shown]
	v_cmp_eq_u32_e64 s7, 5, v66
	v_cmp_eq_u32_e64 s4, 6, v66
	s_waitcnt lgkmcnt(3)
	v_max3_f32 v67, v76, 0xff7fffff, v77
	s_waitcnt lgkmcnt(2)
	s_delay_alu instid0(VALU_DEP_1) | instskip(SKIP_1) | instid1(VALU_DEP_1)
	v_max3_f32 v67, v67, v78, v79
	s_waitcnt lgkmcnt(1)
	v_max3_f32 v67, v67, v80, v81
	s_waitcnt lgkmcnt(0)
	s_delay_alu instid0(VALU_DEP_1) | instskip(NEXT) | instid1(VALU_DEP_1)
	v_max3_f32 v67, v67, v95, v96
	v_sub_f32_e32 v82, v77, v67
	ds_load_2addr_b32 v[97:98], v65 offset0:136 offset1:153
	v_sub_f32_e32 v68, v76, v67
	ds_load_2addr_b32 v[76:77], v65 offset0:170 offset1:187
	v_sub_f32_e32 v80, v80, v67
	v_mul_f32_e32 v82, 0x3fb8aa3b, v82
	v_mul_f32_e32 v68, 0x3fb8aa3b, v68
	s_delay_alu instid0(VALU_DEP_3) | instskip(NEXT) | instid1(VALU_DEP_2)
	v_mul_f32_e32 v102, 0x3fb8aa3b, v80
	v_exp_f32_e32 v99, v68
	v_sub_f32_e32 v68, v79, v67
	s_delay_alu instid0(VALU_DEP_1) | instskip(NEXT) | instid1(VALU_DEP_1)
	v_dual_sub_f32 v78, v78, v67 :: v_dual_mul_f32 v101, 0x3fb8aa3b, v68
	v_mul_f32_e32 v100, 0x3fb8aa3b, v78
	ds_load_2addr_b32 v[78:79], v65 offset0:204 offset1:221
	s_waitcnt lgkmcnt(2)
	v_fma_f32 v68, v99, v97, 0
	v_sub_f32_e32 v97, v81, v67
	ds_load_2addr_b32 v[80:81], v65 offset0:238 offset1:255
	v_sub_f32_e32 v65, v95, v67
	v_exp_f32_e32 v82, v82
	v_exp_f32_e32 v101, v101
	v_mul_f32_e32 v95, 0x3fb8aa3b, v97
	v_exp_f32_e32 v97, v102
	v_mul_f32_e32 v65, 0x3fb8aa3b, v65
	v_exp_f32_e32 v100, v100
	s_waitcnt lgkmcnt(0)
	v_exp_f32_e32 v95, v95
	s_barrier
	buffer_gl0_inv
	v_fmac_f32_e32 v68, v82, v98
	s_delay_alu instid0(VALU_DEP_1) | instskip(SKIP_2) | instid1(VALU_DEP_2)
	v_fmac_f32_e32 v68, v100, v76
	v_sub_f32_e32 v76, v96, v67
	v_exp_f32_e32 v96, v65
	v_fmac_f32_e32 v68, v101, v77
	s_delay_alu instid0(VALU_DEP_2) | instskip(NEXT) | instid1(VALU_DEP_2)
	v_mul_f32_e32 v76, 0x3fb8aa3b, v76
	v_fmac_f32_e32 v68, v97, v78
	s_delay_alu instid0(VALU_DEP_2) | instskip(SKIP_1) | instid1(VALU_DEP_2)
	v_exp_f32_e32 v98, v76
	v_cndmask_b32_e32 v76, v99, v82, vcc_lo
	v_fmac_f32_e32 v68, v95, v79
	s_delay_alu instid0(TRANS32_DEP_2) | instid1(VALU_DEP_1)
	v_fmac_f32_e32 v68, v96, v80
	v_lshlrev_b32_e32 v80, 6, v73
	s_waitcnt_depctr 0xfff
	v_fmac_f32_e32 v68, v98, v81
	v_lshl_or_b32 v82, v66, 11, v80
	s_delay_alu instid0(VALU_DEP_2) | instskip(NEXT) | instid1(VALU_DEP_1)
	v_add_f32_e32 v81, 0x358637bd, v68
	v_div_scale_f32 v102, null, v81, v81, 1.0
	v_div_scale_f32 v99, vcc_lo, 1.0, v81, 1.0
	s_delay_alu instid0(VALU_DEP_2) | instskip(SKIP_2) | instid1(VALU_DEP_1)
	v_rcp_f32_e32 v103, v102
	s_waitcnt_depctr 0xfff
	v_fma_f32 v65, -v102, v103, 1.0
	v_fmac_f32_e32 v103, v65, v103
	v_cndmask_b32_e64 v65, v76, v100, s3
	v_cmp_eq_u32_e64 s3, 7, v66
	v_lshlrev_b32_e32 v76, 2, v75
	s_delay_alu instid0(VALU_DEP_4) | instskip(NEXT) | instid1(VALU_DEP_4)
	v_mul_f32_e32 v100, v99, v103
	v_cndmask_b32_e64 v77, v65, v101, s5
	v_mov_b32_e32 v65, 0
	s_delay_alu instid0(VALU_DEP_4)
	v_or_b32_e32 v79, 1, v76
	v_cmp_eq_u32_e64 s5, 1, v76
	v_fma_f32 v78, -v102, v100, v99
	v_cndmask_b32_e64 v97, v77, v97, s6
	v_or_b32_e32 v77, 2, v76
	v_cmp_eq_u32_e64 s9, 1, v79
	v_cmp_eq_u32_e64 s6, 2, v76
	v_fmac_f32_e32 v100, v78, v103
	v_cndmask_b32_e64 v66, v97, v95, s7
	v_or_b32_e32 v78, 3, v76
	v_cmp_eq_u32_e64 s10, 1, v77
	v_cmp_eq_u32_e64 s12, 2, v79
	v_fma_f32 v95, -v102, v100, v99
	v_cndmask_b32_e64 v66, v66, v96, s4
	v_cmp_eq_u32_e64 s11, 1, v78
	v_cmp_eq_u32_e64 s17, 2, v78
	;; [unrolled: 1-line block ×3, first 2 shown]
	v_div_fmas_f32 v95, v95, v103, v100
	v_cndmask_b32_e64 v66, v66, v98, s3
	v_cmp_eq_u32_e32 vcc_lo, 3, v76
	v_cmp_eq_u32_e64 s16, 2, v77
	v_cmp_eq_u32_e64 s19, 3, v78
	v_div_fixup_f32 v95, v95, v81, 1.0
	v_lshl_or_b32 v81, v75, 4, v82
	v_cmp_eq_u32_e64 s4, 4, v76
	v_cmp_eq_u32_e64 s18, 3, v77
	v_cmp_eq_u32_e64 s20, 4, v79
	v_mul_f32_e32 v66, v66, v95
	v_cmp_eq_u32_e64 s23, 4, v78
	v_cmp_eq_u32_e64 s7, 5, v76
	;; [unrolled: 1-line block ×4, first 2 shown]
	v_fma_mixlo_f16 v95, v66, v70, 0
	v_fma_mixlo_f16 v96, v66, v72, 0
	;; [unrolled: 1-line block ×8, first 2 shown]
	v_fma_mixhi_f16 v95, v66, v69, 0
	v_fma_mixhi_f16 v96, v66, v71, 0
	;; [unrolled: 1-line block ×8, first 2 shown]
	ds_store_b128 v81, v[95:98]
	ds_store_b128 v81, v[99:102] offset:1024
	s_waitcnt lgkmcnt(0)
	s_barrier
	buffer_gl0_inv
	ds_load_b128 v[69:72], v82
	ds_load_b128 v[83:86], v82 offset:16
	ds_load_b128 v[87:90], v82 offset:1024
	;; [unrolled: 1-line block ×3, first 2 shown]
	v_cmp_eq_u32_e64 s25, 5, v78
	v_cmp_eq_u32_e64 s3, 6, v76
	v_cmp_eq_u32_e64 s24, 5, v77
	v_cmp_eq_u32_e64 s26, 6, v79
	v_cmp_eq_u32_e64 s28, 6, v78
	v_cmp_eq_u32_e64 s8, 7, v76
	v_cmp_eq_u32_e64 s27, 6, v77
	v_cmp_eq_u32_e64 s30, 7, v78
	v_cmp_eq_u32_e64 s31, 7, v79
	v_cmp_eq_u32_e64 s29, 7, v77
	s_waitcnt lgkmcnt(3)
	v_lshrrev_b32_e32 v66, 16, v69
	s_waitcnt lgkmcnt(2)
	v_lshrrev_b32_e32 v98, 16, v83
	;; [unrolled: 2-line block ×4, first 2 shown]
	v_lshrrev_b32_e32 v95, 16, v70
	v_cndmask_b32_e64 v110, v69, v66, s5
	v_cndmask_b32_e64 v111, v83, v98, s5
	;; [unrolled: 1-line block ×7, first 2 shown]
	v_lshrrev_b32_e32 v99, 16, v84
	v_cndmask_b32_e64 v115, v83, v98, s10
	v_cndmask_b32_e64 v83, v87, v102, s5
	;; [unrolled: 1-line block ×15, first 2 shown]
	v_lshrrev_b32_e32 v103, 16, v88
	v_lshrrev_b32_e32 v107, 16, v92
	v_cndmask_b32_e64 v112, v114, v70, s16
	v_cndmask_b32_e64 v113, v115, v84, s16
	;; [unrolled: 1-line block ×7, first 2 shown]
	v_cndmask_b32_e32 v88, v102, v95, vcc_lo
	v_cndmask_b32_e32 v102, v106, v99, vcc_lo
	v_cndmask_b32_e64 v106, v110, v95, s13
	v_cndmask_b32_e64 v110, v111, v99, s13
	;; [unrolled: 1-line block ×4, first 2 shown]
	v_lshrrev_b32_e32 v96, 16, v71
	v_lshrrev_b32_e32 v100, 16, v85
	v_cndmask_b32_e64 v111, v112, v95, s18
	v_cndmask_b32_e64 v112, v113, v99, s18
	v_cndmask_b32_e32 v70, v70, v103, vcc_lo
	v_cndmask_b32_e32 v83, v83, v107, vcc_lo
	v_cndmask_b32_e64 v84, v84, v103, s13
	v_cndmask_b32_e64 v88, v88, v71, s4
	v_cndmask_b32_e64 v95, v102, v85, s4
	v_cndmask_b32_e64 v99, v106, v71, s20
	v_cndmask_b32_e64 v102, v110, v85, s20
	v_cndmask_b32_e64 v66, v66, v71, s23
	v_cndmask_b32_e64 v69, v69, v85, s23
	v_lshrrev_b32_e32 v104, 16, v89
	v_lshrrev_b32_e32 v108, 16, v93
	v_cndmask_b32_e64 v106, v111, v71, s22
	v_cndmask_b32_e64 v110, v112, v85, s22
	;; [unrolled: 1-line block ×11, first 2 shown]
	v_lshrrev_b32_e32 v97, 16, v72
	v_lshrrev_b32_e32 v101, 16, v86
	v_cndmask_b32_e64 v99, v106, v96, s24
	v_cndmask_b32_e64 v102, v110, v100, s24
	;; [unrolled: 1-line block ×11, first 2 shown]
	v_lshrrev_b32_e32 v105, 16, v90
	v_cndmask_b32_e64 v96, v99, v72, s27
	v_cndmask_b32_e64 v99, v102, v86, s27
	;; [unrolled: 1-line block ×14, first 2 shown]
	v_perm_b32 v72, v69, v66, 0x5040100
	v_perm_b32 v70, v95, v85, 0x5040100
	v_cndmask_b32_e64 v66, v91, v92, s17
	v_cndmask_b32_e64 v69, v119, v92, s16
	;; [unrolled: 1-line block ×4, first 2 shown]
	v_perm_b32 v71, v96, v88, 0x5040100
	v_cndmask_b32_e64 v88, v98, v103, s18
	v_cndmask_b32_e64 v87, v87, v103, s19
	;; [unrolled: 1-line block ×15, first 2 shown]
	v_lshrrev_b32_e32 v109, 16, v94
	v_cndmask_b32_e64 v88, v88, v90, s27
	v_cndmask_b32_e64 v87, v87, v90, s28
	;; [unrolled: 1-line block ×11, first 2 shown]
	v_perm_b32 v69, v84, v83, 0x5040100
	v_perm_b32 v86, v66, v87, 0x5040100
	;; [unrolled: 1-line block ×5, first 2 shown]
	s_mov_b32 s3, exec_lo
	ds_store_b128 v81, v[69:72]
	ds_store_b128 v81, v[83:86] offset:1024
	v_cmpx_eq_u32_e32 0, v0
	s_cbranch_execz .LBB1166_13
; %bb.12:
	s_load_b128 s[4:7], s[0:1], 0x58
	s_mul_i32 s8, s37, s34
	s_delay_alu instid0(SALU_CYCLE_1) | instskip(NEXT) | instid1(SALU_CYCLE_1)
	s_add_i32 s8, s8, s15
	s_mul_i32 s8, s8, s36
	s_delay_alu instid0(SALU_CYCLE_1) | instskip(NEXT) | instid1(SALU_CYCLE_1)
	s_add_i32 s8, s8, s14
	s_ashr_i32 s9, s8, 31
	s_delay_alu instid0(SALU_CYCLE_1)
	s_lshl_b64 s[8:9], s[8:9], 2
	s_waitcnt lgkmcnt(0)
	s_add_u32 s6, s6, s8
	s_addc_u32 s7, s7, s9
	s_add_u32 s4, s4, s8
	s_addc_u32 s5, s5, s9
	s_clause 0x1
	global_store_b32 v65, v67, s[6:7]
	global_store_b32 v65, v68, s[4:5]
.LBB1166_13:
	s_or_b32 exec_lo, exec_lo, s3
	s_waitcnt lgkmcnt(0)
	s_waitcnt_vscnt null, 0x0
	s_barrier
	buffer_gl0_inv
	ds_load_b128 v[83:86], v80
	ds_load_b128 v[87:90], v80 offset:16
	ds_load_b128 v[95:98], v80 offset:2064
	;; [unrolled: 1-line block ×5, first 2 shown]
	v_mov_b32_e32 v66, v65
	v_mov_b32_e32 v67, v65
	;; [unrolled: 1-line block ×7, first 2 shown]
	ds_load_b128 v[111:114], v80 offset:6160
	ds_load_b128 v[107:110], v80 offset:6144
	;; [unrolled: 1-line block ×4, first 2 shown]
	v_cmp_eq_u32_e32 vcc_lo, 1, v76
	v_cmp_eq_u32_e64 s3, 1, v79
	v_cmp_eq_u32_e64 s4, 1, v78
	;; [unrolled: 1-line block ×5, first 2 shown]
	s_waitcnt lgkmcnt(8)
	v_wmma_f32_16x16x16_f16 v[65:72], v[49:56], v[83:90], v[65:72]
	ds_load_b128 v[53:56], v80 offset:10256
	ds_load_b128 v[49:52], v80 offset:10240
	s_waitcnt lgkmcnt(8)
	v_wmma_f32_16x16x16_f16 v[65:72], v[41:48], v[91:98], v[65:72]
	ds_load_b128 v[45:48], v80 offset:12304
	ds_load_b128 v[41:44], v80 offset:12288
	;; [unrolled: 4-line block ×3, first 2 shown]
	s_waitcnt lgkmcnt(0)
	s_barrier
	buffer_gl0_inv
	v_wmma_f32_16x16x16_f16 v[65:72], v[1:8], v[107:114], v[65:72]
	s_delay_alu instid0(VALU_DEP_1) | instskip(NEXT) | instid1(VALU_DEP_1)
	v_wmma_f32_16x16x16_f16 v[65:72], v[9:16], v[115:122], v[65:72]
	v_wmma_f32_16x16x16_f16 v[65:72], v[17:24], v[49:56], v[65:72]
	s_delay_alu instid0(VALU_DEP_1) | instskip(NEXT) | instid1(VALU_DEP_1)
	v_wmma_f32_16x16x16_f16 v[65:72], v[25:32], v[41:48], v[65:72]
	v_wmma_f32_16x16x16_f16 v[65:72], v[57:64], v[33:40], v[65:72]
	s_delay_alu instid0(VALU_DEP_1) | instskip(NEXT) | instid1(VALU_DEP_2)
	v_cvt_f16_f32_e32 v1, v65
	v_cvt_f16_f32_e32 v2, v66
	s_delay_alu instid0(VALU_DEP_3) | instskip(NEXT) | instid1(VALU_DEP_4)
	v_cvt_f16_f32_e32 v3, v67
	v_cvt_f16_f32_e32 v4, v68
	;; [unrolled: 1-line block ×6, first 2 shown]
	v_pack_b32_f16 v1, v1, v2
	v_pack_b32_f16 v2, v3, v4
	;; [unrolled: 1-line block ×3, first 2 shown]
	s_delay_alu instid0(VALU_DEP_4)
	v_pack_b32_f16 v4, v7, v8
	ds_store_b128 v81, v[1:4]
	s_waitcnt lgkmcnt(0)
	s_barrier
	buffer_gl0_inv
	ds_load_b128 v[1:4], v82
	ds_load_b128 v[5:8], v82 offset:16
	s_waitcnt lgkmcnt(1)
	v_lshrrev_b32_e32 v9, 16, v1
	s_waitcnt lgkmcnt(0)
	v_lshrrev_b32_e32 v13, 16, v5
	v_lshrrev_b32_e32 v16, 16, v8
	;; [unrolled: 1-line block ×4, first 2 shown]
	v_cndmask_b32_e32 v17, v1, v9, vcc_lo
	v_cndmask_b32_e32 v18, v5, v13, vcc_lo
	v_cmp_eq_u32_e32 vcc_lo, 1, v77
	v_cndmask_b32_e64 v19, v1, v9, s3
	v_cndmask_b32_e64 v20, v5, v13, s3
	v_cmp_eq_u32_e64 s3, 2, v77
	v_lshrrev_b32_e32 v11, 16, v3
	v_cndmask_b32_e32 v21, v1, v9, vcc_lo
	v_cndmask_b32_e32 v22, v5, v13, vcc_lo
	v_cndmask_b32_e64 v1, v1, v9, s4
	v_cmp_eq_u32_e32 vcc_lo, 2, v78
	v_cndmask_b32_e64 v5, v5, v13, s4
	v_cmp_eq_u32_e64 s4, 2, v79
	v_cndmask_b32_e64 v9, v17, v2, s5
	v_cndmask_b32_e64 v13, v18, v6, s5
	v_cmp_eq_u32_e64 s5, 3, v79
	v_cndmask_b32_e32 v1, v1, v2, vcc_lo
	v_cndmask_b32_e64 v17, v19, v2, s4
	v_cndmask_b32_e64 v18, v20, v6, s4
	;; [unrolled: 1-line block ×4, first 2 shown]
	v_cndmask_b32_e32 v2, v5, v6, vcc_lo
	v_cmp_eq_u32_e32 vcc_lo, 3, v77
	v_cmp_eq_u32_e64 s4, 3, v78
	v_cndmask_b32_e64 v5, v9, v10, s6
	v_cndmask_b32_e64 v6, v13, v14, s6
	v_cndmask_b32_e64 v9, v17, v10, s5
	v_cndmask_b32_e64 v13, v18, v14, s5
	v_cndmask_b32_e32 v17, v19, v10, vcc_lo
	v_cmp_eq_u32_e64 s3, 4, v77
	v_cndmask_b32_e32 v18, v20, v14, vcc_lo
	v_cndmask_b32_e64 v1, v1, v10, s4
	v_cmp_eq_u32_e32 vcc_lo, 4, v78
	v_cmp_eq_u32_e64 s5, 4, v76
	v_cndmask_b32_e64 v2, v2, v14, s4
	v_cmp_eq_u32_e64 s4, 4, v79
	v_lshrrev_b32_e32 v15, 16, v7
	v_cmp_eq_u32_e64 s6, 5, v76
	v_cndmask_b32_e64 v5, v5, v3, s5
	v_cndmask_b32_e64 v6, v6, v7, s5
	;; [unrolled: 1-line block ×6, first 2 shown]
	v_cmp_eq_u32_e64 s4, 5, v77
	v_cndmask_b32_e32 v1, v1, v3, vcc_lo
	v_cndmask_b32_e32 v2, v2, v7, vcc_lo
	v_cmp_eq_u32_e32 vcc_lo, 5, v78
	v_cmp_eq_u32_e64 s5, 5, v79
	v_cndmask_b32_e64 v5, v5, v11, s6
	v_cmp_eq_u32_e64 s3, 6, v76
	v_cndmask_b32_e64 v6, v6, v15, s6
	v_cndmask_b32_e64 v13, v13, v11, s4
	;; [unrolled: 1-line block ×3, first 2 shown]
	v_cndmask_b32_e32 v1, v1, v11, vcc_lo
	v_cmp_eq_u32_e64 s4, 6, v78
	v_cndmask_b32_e32 v2, v2, v15, vcc_lo
	v_cndmask_b32_e64 v9, v9, v11, s5
	v_cndmask_b32_e64 v10, v10, v15, s5
	v_cmp_eq_u32_e64 s5, 6, v79
	v_lshrrev_b32_e32 v12, 16, v4
	v_cndmask_b32_e64 v5, v5, v4, s3
	v_cndmask_b32_e64 v6, v6, v8, s3
	v_cmp_eq_u32_e64 s3, 7, v76
	v_cndmask_b32_e64 v1, v1, v4, s4
	v_cmp_eq_u32_e32 vcc_lo, 7, v78
	v_cndmask_b32_e64 v2, v2, v8, s4
	v_cndmask_b32_e64 v9, v9, v4, s5
	v_cmp_eq_u32_e64 s6, 7, v79
	v_cndmask_b32_e64 v7, v13, v4, s7
	v_cndmask_b32_e64 v3, v3, v8, s7
	v_cndmask_b32_e32 v2, v2, v16, vcc_lo
	v_cmp_eq_u32_e64 s4, 7, v77
	v_cndmask_b32_e64 v4, v10, v8, s5
	v_cndmask_b32_e64 v5, v5, v12, s3
	v_cndmask_b32_e32 v1, v1, v12, vcc_lo
	v_cndmask_b32_e64 v6, v6, v16, s3
	v_cmp_lt_u32_e32 vcc_lo, 31, v0
	v_cmp_lt_u32_e64 s3, 7, v73
	v_cndmask_b32_e64 v9, v9, v12, s6
	v_cndmask_b32_e64 v7, v7, v12, s4
	;; [unrolled: 1-line block ×4, first 2 shown]
	s_or_b32 s3, vcc_lo, s3
	v_perm_b32 v4, v2, v1, 0x5040100
	v_perm_b32 v1, v6, v5, 0x5040100
	;; [unrolled: 1-line block ×4, first 2 shown]
	s_or_b32 s2, s2, s3
	s_delay_alu instid0(SALU_CYCLE_1)
	s_xor_b32 s2, s2, -1
	ds_store_b128 v81, v[1:4]
	s_waitcnt lgkmcnt(0)
	s_barrier
	buffer_gl0_inv
	s_and_saveexec_b32 s3, s2
	s_cbranch_execz .LBB1166_2
; %bb.14:
	s_load_b64 s[0:1], s[0:1], 0x68
	v_lshlrev_b32_e32 v1, 10, v0
	v_and_b32_e32 v0, 1, v0
	v_lshlrev_b32_e32 v2, 6, v75
	s_lshl_b32 s4, s36, 6
	s_delay_alu instid0(VALU_DEP_3) | instskip(NEXT) | instid1(VALU_DEP_3)
	v_and_b32_e32 v1, 0x3800, v1
	v_lshlrev_b32_e32 v0, 4, v0
	s_mul_i32 s2, s4, s34
	s_delay_alu instid0(SALU_CYCLE_1) | instskip(NEXT) | instid1(VALU_DEP_1)
	s_mul_i32 s2, s2, s37
	v_or3_b32 v0, v1, v2, v0
	s_ashr_i32 s3, s2, 31
	s_delay_alu instid0(SALU_CYCLE_1)
	s_lshl_b64 s[2:3], s[2:3], 1
	ds_load_b128 v[0:3], v0
	s_waitcnt lgkmcnt(0)
	s_add_u32 s5, s0, s2
	s_addc_u32 s3, s1, s3
	s_lshl_b32 s0, s14, 6
	s_mul_i32 s2, s4, s15
	s_ashr_i32 s1, s0, 31
	s_delay_alu instid0(SALU_CYCLE_1) | instskip(NEXT) | instid1(SALU_CYCLE_1)
	s_lshl_b64 s[0:1], s[0:1], 1
	s_add_u32 s4, s5, s0
	s_addc_u32 s5, s3, s1
	s_ashr_i32 s3, s2, 31
	s_delay_alu instid0(SALU_CYCLE_1) | instskip(NEXT) | instid1(SALU_CYCLE_1)
	s_lshl_b64 s[0:1], s[2:3], 1
	s_add_u32 s0, s4, s0
	s_addc_u32 s1, s5, s1
	global_store_b128 v74, v[0:3], s[0:1]
	s_nop 0
	s_sendmsg sendmsg(MSG_DEALLOC_VGPRS)
	s_endpgm
	.section	.rodata,"a",@progbits
	.p2align	6, 0x0
	.amdhsa_kernel _Z39paged_attention_ll4mi_QKV_mfma16_kernelIDF16_hLN4vllm18Fp8KVCacheDataTypeE1EhLi32ELi64ELi256ELb1ELi1EL8MFMAType0EEvPKT_PKT0_S8_ifPKiSA_SA_iPKfiiiPfSD_PS3_PT2_iSC_SC_
		.amdhsa_group_segment_fixed_size 17472
		.amdhsa_private_segment_fixed_size 0
		.amdhsa_kernarg_size 400
		.amdhsa_user_sgpr_count 13
		.amdhsa_user_sgpr_dispatch_ptr 0
		.amdhsa_user_sgpr_queue_ptr 0
		.amdhsa_user_sgpr_kernarg_segment_ptr 1
		.amdhsa_user_sgpr_dispatch_id 0
		.amdhsa_user_sgpr_private_segment_size 0
		.amdhsa_wavefront_size32 1
		.amdhsa_uses_dynamic_stack 0
		.amdhsa_enable_private_segment 0
		.amdhsa_system_sgpr_workgroup_id_x 1
		.amdhsa_system_sgpr_workgroup_id_y 1
		.amdhsa_system_sgpr_workgroup_id_z 1
		.amdhsa_system_sgpr_workgroup_info 0
		.amdhsa_system_vgpr_workitem_id 0
		.amdhsa_next_free_vgpr 144
		.amdhsa_next_free_sgpr 50
		.amdhsa_reserve_vcc 1
		.amdhsa_float_round_mode_32 0
		.amdhsa_float_round_mode_16_64 0
		.amdhsa_float_denorm_mode_32 3
		.amdhsa_float_denorm_mode_16_64 3
		.amdhsa_dx10_clamp 1
		.amdhsa_ieee_mode 1
		.amdhsa_fp16_overflow 0
		.amdhsa_workgroup_processor_mode 1
		.amdhsa_memory_ordered 1
		.amdhsa_forward_progress 0
		.amdhsa_shared_vgpr_count 0
		.amdhsa_exception_fp_ieee_invalid_op 0
		.amdhsa_exception_fp_denorm_src 0
		.amdhsa_exception_fp_ieee_div_zero 0
		.amdhsa_exception_fp_ieee_overflow 0
		.amdhsa_exception_fp_ieee_underflow 0
		.amdhsa_exception_fp_ieee_inexact 0
		.amdhsa_exception_int_div_zero 0
	.end_amdhsa_kernel
	.section	.text._Z39paged_attention_ll4mi_QKV_mfma16_kernelIDF16_hLN4vllm18Fp8KVCacheDataTypeE1EhLi32ELi64ELi256ELb1ELi1EL8MFMAType0EEvPKT_PKT0_S8_ifPKiSA_SA_iPKfiiiPfSD_PS3_PT2_iSC_SC_,"axG",@progbits,_Z39paged_attention_ll4mi_QKV_mfma16_kernelIDF16_hLN4vllm18Fp8KVCacheDataTypeE1EhLi32ELi64ELi256ELb1ELi1EL8MFMAType0EEvPKT_PKT0_S8_ifPKiSA_SA_iPKfiiiPfSD_PS3_PT2_iSC_SC_,comdat
.Lfunc_end1166:
	.size	_Z39paged_attention_ll4mi_QKV_mfma16_kernelIDF16_hLN4vllm18Fp8KVCacheDataTypeE1EhLi32ELi64ELi256ELb1ELi1EL8MFMAType0EEvPKT_PKT0_S8_ifPKiSA_SA_iPKfiiiPfSD_PS3_PT2_iSC_SC_, .Lfunc_end1166-_Z39paged_attention_ll4mi_QKV_mfma16_kernelIDF16_hLN4vllm18Fp8KVCacheDataTypeE1EhLi32ELi64ELi256ELb1ELi1EL8MFMAType0EEvPKT_PKT0_S8_ifPKiSA_SA_iPKfiiiPfSD_PS3_PT2_iSC_SC_
                                        ; -- End function
	.section	.AMDGPU.csdata,"",@progbits
; Kernel info:
; codeLenInByte = 6224
; NumSgprs: 52
; NumVgprs: 144
; ScratchSize: 0
; MemoryBound: 1
; FloatMode: 240
; IeeeMode: 1
; LDSByteSize: 17472 bytes/workgroup (compile time only)
; SGPRBlocks: 6
; VGPRBlocks: 17
; NumSGPRsForWavesPerEU: 52
; NumVGPRsForWavesPerEU: 144
; Occupancy: 10
; WaveLimiterHint : 1
; COMPUTE_PGM_RSRC2:SCRATCH_EN: 0
; COMPUTE_PGM_RSRC2:USER_SGPR: 13
; COMPUTE_PGM_RSRC2:TRAP_HANDLER: 0
; COMPUTE_PGM_RSRC2:TGID_X_EN: 1
; COMPUTE_PGM_RSRC2:TGID_Y_EN: 1
; COMPUTE_PGM_RSRC2:TGID_Z_EN: 1
; COMPUTE_PGM_RSRC2:TIDIG_COMP_CNT: 0
	.section	.text._Z39paged_attention_ll4mi_QKV_mfma16_kernelIDF16_hLN4vllm18Fp8KVCacheDataTypeE1EhLi32ELi64ELi256ELb1ELi2EL8MFMAType0EEvPKT_PKT0_S8_ifPKiSA_SA_iPKfiiiPfSD_PS3_PT2_iSC_SC_,"axG",@progbits,_Z39paged_attention_ll4mi_QKV_mfma16_kernelIDF16_hLN4vllm18Fp8KVCacheDataTypeE1EhLi32ELi64ELi256ELb1ELi2EL8MFMAType0EEvPKT_PKT0_S8_ifPKiSA_SA_iPKfiiiPfSD_PS3_PT2_iSC_SC_,comdat
	.protected	_Z39paged_attention_ll4mi_QKV_mfma16_kernelIDF16_hLN4vllm18Fp8KVCacheDataTypeE1EhLi32ELi64ELi256ELb1ELi2EL8MFMAType0EEvPKT_PKT0_S8_ifPKiSA_SA_iPKfiiiPfSD_PS3_PT2_iSC_SC_ ; -- Begin function _Z39paged_attention_ll4mi_QKV_mfma16_kernelIDF16_hLN4vllm18Fp8KVCacheDataTypeE1EhLi32ELi64ELi256ELb1ELi2EL8MFMAType0EEvPKT_PKT0_S8_ifPKiSA_SA_iPKfiiiPfSD_PS3_PT2_iSC_SC_
	.globl	_Z39paged_attention_ll4mi_QKV_mfma16_kernelIDF16_hLN4vllm18Fp8KVCacheDataTypeE1EhLi32ELi64ELi256ELb1ELi2EL8MFMAType0EEvPKT_PKT0_S8_ifPKiSA_SA_iPKfiiiPfSD_PS3_PT2_iSC_SC_
	.p2align	8
	.type	_Z39paged_attention_ll4mi_QKV_mfma16_kernelIDF16_hLN4vllm18Fp8KVCacheDataTypeE1EhLi32ELi64ELi256ELb1ELi2EL8MFMAType0EEvPKT_PKT0_S8_ifPKiSA_SA_iPKfiiiPfSD_PS3_PT2_iSC_SC_,@function
_Z39paged_attention_ll4mi_QKV_mfma16_kernelIDF16_hLN4vllm18Fp8KVCacheDataTypeE1EhLi32ELi64ELi256ELb1ELi2EL8MFMAType0EEvPKT_PKT0_S8_ifPKiSA_SA_iPKfiiiPfSD_PS3_PT2_iSC_SC_: ; @_Z39paged_attention_ll4mi_QKV_mfma16_kernelIDF16_hLN4vllm18Fp8KVCacheDataTypeE1EhLi32ELi64ELi256ELb1ELi2EL8MFMAType0EEvPKT_PKT0_S8_ifPKiSA_SA_iPKfiiiPfSD_PS3_PT2_iSC_SC_
; %bb.0:
	s_load_b64 s[2:3], s[0:1], 0x30
	s_mov_b32 s30, s13
	s_waitcnt lgkmcnt(0)
	s_cmp_lg_u64 s[2:3], 0
	s_cselect_b32 s6, -1, 0
	s_ashr_i32 s31, s13, 31
	s_cmp_eq_u64 s[2:3], 0
	s_cbranch_scc1 .LBB1167_3
; %bb.1:
	s_lshl_b64 s[4:5], s[30:31], 2
	s_delay_alu instid0(SALU_CYCLE_1) | instskip(SKIP_4) | instid1(SALU_CYCLE_1)
	s_add_u32 s4, s2, s4
	s_addc_u32 s5, s3, s5
	s_load_b64 s[4:5], s[4:5], 0x0
	s_waitcnt lgkmcnt(0)
	s_sub_i32 s4, s5, s4
	s_cmp_eq_u32 s4, 1
	s_cselect_b32 s4, -1, 0
	s_delay_alu instid0(SALU_CYCLE_1)
	s_and_not1_b32 vcc_lo, exec_lo, s4
	s_cbranch_vccz .LBB1167_4
.LBB1167_2:
	s_endpgm
.LBB1167_3:
.LBB1167_4:
	s_load_b64 s[8:9], s[0:1], 0x28
	s_lshl_b64 s[4:5], s[30:31], 2
	s_waitcnt lgkmcnt(0)
	s_add_u32 s8, s8, s4
	s_addc_u32 s9, s9, s5
	s_lshl_b32 s16, s14, 8
	s_load_b32 s17, s[8:9], 0x0
	s_waitcnt lgkmcnt(0)
	s_cmp_ge_i32 s16, s17
	s_cbranch_scc1 .LBB1167_2
; %bb.5:
	s_clause 0x1
	s_load_b128 s[8:11], s[0:1], 0x8
	s_load_b64 s[12:13], s[0:1], 0x20
	s_and_not1_b32 vcc_lo, exec_lo, s6
	s_cbranch_vccnz .LBB1167_7
; %bb.6:
	s_add_u32 s2, s2, s4
	s_addc_u32 s3, s3, s5
	s_load_b32 s3, s[2:3], 0x0
	s_branch .LBB1167_8
.LBB1167_7:
	s_mov_b32 s3, s30
.LBB1167_8:
	s_load_b128 s[4:7], s[0:1], 0x48
	v_and_b32_e32 v70, 15, v0
	v_bfe_u32 v69, v0, 4, 1
	s_lshl_b32 s33, s15, 1
	v_cmp_gt_u32_e32 vcc_lo, 32, v0
	v_and_b32_e32 v71, 31, v0
	v_lshlrev_b32_e32 v1, 3, v70
	v_cmp_gt_u32_e64 s2, 8, v70
	v_and_b32_e32 v68, 1, v0
	v_or_b32_e32 v67, s33, v69
	v_lshlrev_b32_e32 v66, 6, v69
	v_lshlrev_b32_e32 v65, 1, v1
	s_and_b32 s31, vcc_lo, s2
	s_delay_alu instid0(SALU_CYCLE_1)
	s_and_saveexec_b32 s2, s31
	s_cbranch_execz .LBB1167_10
; %bb.9:
	s_load_b64 s[18:19], s[0:1], 0x0
	v_lshlrev_b32_e32 v1, 6, v67
	s_waitcnt lgkmcnt(0)
	s_mul_hi_i32 s21, s3, s4
	s_mul_i32 s20, s3, s4
	v_lshlrev_b32_e32 v5, 10, v70
	s_lshl_b64 s[20:21], s[20:21], 1
	v_ashrrev_i32_e32 v2, 31, v1
	v_lshlrev_b32_e32 v6, 10, v68
	s_delay_alu instid0(VALU_DEP_3) | instskip(NEXT) | instid1(VALU_DEP_3)
	v_and_b32_e32 v5, 0x3800, v5
	v_lshlrev_b64 v[1:2], 1, v[1:2]
	s_delay_alu instid0(VALU_DEP_2) | instskip(SKIP_2) | instid1(VALU_DEP_2)
	v_or3_b32 v5, v5, v6, v66
	s_add_u32 s3, s18, s20
	s_addc_u32 s4, s19, s21
	v_add_co_u32 v1, vcc_lo, s3, v1
	s_delay_alu instid0(VALU_DEP_3) | instskip(NEXT) | instid1(VALU_DEP_2)
	v_add_co_ci_u32_e32 v2, vcc_lo, s4, v2, vcc_lo
	v_add_co_u32 v1, vcc_lo, v1, v65
	s_delay_alu instid0(VALU_DEP_2)
	v_add_co_ci_u32_e32 v2, vcc_lo, 0, v2, vcc_lo
	global_load_b128 v[1:4], v[1:2], off
	s_waitcnt vmcnt(0)
	ds_store_b128 v5, v[1:4]
.LBB1167_10:
	s_or_b32 exec_lo, exec_lo, s2
	v_and_b32_e32 v1, 0xef, v0
	s_add_i32 s2, s17, 31
	s_waitcnt lgkmcnt(0)
	s_clause 0x1
	s_load_b32 s3, s[0:1], 0x38
	s_load_b32 s34, s[0:1], 0x98
	s_ashr_i32 s4, s2, 31
	v_add_nc_u32_e32 v1, s16, v1
	s_lshr_b32 s4, s4, 27
	s_load_b32 s18, s[0:1], 0x1c
	s_add_i32 s2, s2, s4
	s_waitcnt lgkmcnt(0)
	v_ashrrev_i32_e32 v2, 31, v1
	v_or_b32_e32 v3, 16, v1
	s_ashr_i32 s2, s2, 5
	v_cmp_gt_i32_e32 vcc_lo, s17, v1
	s_add_i32 s2, s2, -1
	v_lshrrev_b32_e32 v2, 27, v2
	s_barrier
	buffer_gl0_inv
	s_mul_i32 s15, s15, s6
	v_lshrrev_b32_e32 v72, 5, v0
	v_add_nc_u32_e32 v4, v1, v2
	v_mbcnt_lo_u32_b32 v129, -1, 0
	s_mul_i32 s20, s30, s3
	v_and_b32_e32 v105, 0xe0, v0
	s_ashr_i32 s21, s20, 31
	v_ashrrev_i32_e32 v4, 5, v4
	v_add_nc_u32_e32 v2, v3, v2
	s_lshl_b64 s[20:21], s[20:21], 2
	v_xor_b32_e32 v130, 16, v129
	s_add_u32 s19, s12, s20
	v_cndmask_b32_e32 v1, s2, v4, vcc_lo
	v_ashrrev_i32_e32 v2, 5, v2
	v_cmp_gt_i32_e32 vcc_lo, s17, v3
	s_addc_u32 s12, s13, s21
	s_ashr_i32 s13, s15, 31
	s_add_u32 s20, s8, s15
	s_addc_u32 s21, s9, s13
	v_cndmask_b32_e32 v3, s2, v2, vcc_lo
	v_ashrrev_i32_e32 v2, 31, v1
	s_lshl_b32 s6, s14, 3
	v_add_nc_u32_e32 v121, s16, v105
	s_ashr_i32 s7, s6, 31
	v_ashrrev_i32_e32 v4, 31, v3
	v_lshlrev_b64 v[1:2], 2, v[1:2]
	s_lshl_b64 s[6:7], s[6:7], 2
	v_or_b32_e32 v137, v121, v69
	s_add_u32 s6, s19, s6
	v_lshlrev_b64 v[3:4], 2, v[3:4]
	s_addc_u32 s7, s12, s7
	v_add_co_u32 v1, vcc_lo, s19, v1
	v_add_co_ci_u32_e32 v2, vcc_lo, s12, v2, vcc_lo
	s_delay_alu instid0(VALU_DEP_3) | instskip(NEXT) | instid1(VALU_DEP_4)
	v_add_co_u32 v3, vcc_lo, s19, v3
	v_add_co_ci_u32_e32 v4, vcc_lo, s12, v4, vcc_lo
	s_clause 0x1
	global_load_b32 v5, v[1:2], off
	global_load_b32 v6, v[3:4], off
	s_or_b32 s3, s16, 32
	v_or_b32_e32 v139, 2, v137
	s_ashr_i32 s4, s3, 5
	s_cmp_lt_i32 s3, s17
	v_or_b32_e32 v140, 4, v137
	s_cselect_b32 s8, s4, s2
	v_or_b32_e32 v141, 6, v137
	s_ashr_i32 s9, s8, 31
	v_or_b32_e32 v142, 8, v137
	s_lshl_b64 s[8:9], s[8:9], 2
	v_or_b32_e32 v143, 10, v137
	s_add_u32 s22, s19, s8
	s_addc_u32 s23, s12, s9
	s_or_b32 s3, s16, 64
	v_or_b32_e32 v144, 12, v137
	s_ashr_i32 s4, s3, 5
	s_cmp_lt_i32 s3, s17
	v_or_b32_e32 v145, 14, v137
	s_cselect_b32 s8, s4, s2
	v_or_b32_e32 v146, 16, v137
	s_ashr_i32 s9, s8, 31
	v_or_b32_e32 v147, 18, v137
	s_lshl_b64 s[8:9], s[8:9], 2
	s_delay_alu instid0(SALU_CYCLE_1) | instskip(SKIP_2) | instid1(SALU_CYCLE_1)
	s_add_u32 s24, s19, s8
	s_addc_u32 s25, s12, s9
	s_or_b32 s3, s16, 0x60
	s_ashr_i32 s4, s3, 5
	s_cmp_lt_i32 s3, s17
	s_cselect_b32 s8, s4, s2
	s_delay_alu instid0(SALU_CYCLE_1) | instskip(NEXT) | instid1(SALU_CYCLE_1)
	s_ashr_i32 s9, s8, 31
	s_lshl_b64 s[8:9], s[8:9], 2
	s_delay_alu instid0(SALU_CYCLE_1) | instskip(SKIP_2) | instid1(SALU_CYCLE_1)
	s_add_u32 s26, s19, s8
	s_addc_u32 s27, s12, s9
	s_or_b32 s3, s16, 0x80
	s_ashr_i32 s4, s3, 5
	s_cmp_lt_i32 s3, s17
	s_cselect_b32 s8, s4, s2
	s_delay_alu instid0(SALU_CYCLE_1) | instskip(NEXT) | instid1(SALU_CYCLE_1)
	s_ashr_i32 s9, s8, 31
	;; [unrolled: 10-line block ×3, first 2 shown]
	s_lshl_b64 s[8:9], s[8:9], 2
	s_delay_alu instid0(SALU_CYCLE_1)
	s_add_u32 s36, s19, s8
	s_addc_u32 s37, s12, s9
	s_clause 0x5
	s_load_b32 s9, s[6:7], 0x0
	s_load_b32 s3, s[22:23], 0x0
	;; [unrolled: 1-line block ×6, first 2 shown]
	s_waitcnt vmcnt(1)
	v_mad_i64_i32 v[1:2], null, v5, s5, s[20:21]
	v_lshlrev_b32_e32 v5, 4, v70
	s_waitcnt vmcnt(0)
	v_mad_i64_i32 v[3:4], null, v6, s5, s[20:21]
	s_or_b32 s20, s16, 0xc0
	s_delay_alu instid0(SALU_CYCLE_1) | instskip(NEXT) | instid1(VALU_DEP_3)
	s_ashr_i32 s21, s20, 5
	v_add_co_u32 v1, vcc_lo, v1, v5
	s_delay_alu instid0(VALU_DEP_4) | instskip(NEXT) | instid1(VALU_DEP_3)
	v_add_co_ci_u32_e32 v2, vcc_lo, 0, v2, vcc_lo
	v_add_co_u32 v3, vcc_lo, v3, v5
	s_delay_alu instid0(VALU_DEP_4)
	v_add_co_ci_u32_e32 v4, vcc_lo, 0, v4, vcc_lo
	s_clause 0x7
	global_load_b128 v[73:76], v[1:2], off
	global_load_b128 v[77:80], v[1:2], off offset:512
	global_load_b128 v[81:84], v[3:4], off offset:256
	;; [unrolled: 1-line block ×7, first 2 shown]
	s_cmp_lt_i32 s20, s17
	v_lshlrev_b32_e32 v1, 5, v70
	s_cselect_b32 s20, s21, s2
	v_cmp_gt_i32_e32 vcc_lo, 32, v130
	s_ashr_i32 s21, s20, 31
	v_lshlrev_b32_e32 v117, 6, v68
	s_lshl_b64 s[20:21], s[20:21], 2
	v_lshl_or_b32 v1, v72, 9, v1
	v_cndmask_b32_e32 v138, v129, v130, vcc_lo
	s_add_u32 s20, s19, s20
	s_addc_u32 s21, s12, s21
	s_or_b32 s22, s16, 0xe0
	v_cmp_gt_i32_e32 vcc_lo, s17, v137
	s_ashr_i32 s23, s22, 5
	s_cmp_lt_i32 s22, s17
	s_cselect_b32 s22, s23, s2
	s_load_b32 s2, s[20:21], 0x0
	s_ashr_i32 s23, s22, 31
	s_delay_alu instid0(SALU_CYCLE_1) | instskip(NEXT) | instid1(SALU_CYCLE_1)
	s_lshl_b64 s[22:23], s[22:23], 2
	s_add_u32 s20, s19, s22
	s_addc_u32 s21, s12, s23
	s_add_u32 s10, s10, s15
	s_addc_u32 s11, s11, s13
	v_add_co_u32 v1, s10, s10, v1
	s_delay_alu instid0(VALU_DEP_1) | instskip(SKIP_2) | instid1(VALU_DEP_1)
	v_add_co_ci_u32_e64 v2, null, s11, 0, s10
	s_load_b32 s10, s[20:21], 0x0
	s_waitcnt lgkmcnt(0)
	v_mad_i64_i32 v[3:4], null, s9, s5, v[1:2]
	v_mad_i64_i32 v[9:10], null, s6, s5, v[1:2]
	;; [unrolled: 1-line block ×7, first 2 shown]
	s_clause 0x5
	global_load_b128 v[49:52], v[3:4], off
	global_load_b128 v[53:56], v[3:4], off offset:16
	global_load_b128 v[41:44], v[5:6], off
	global_load_b128 v[45:48], v[5:6], off offset:16
	;; [unrolled: 2-line block ×3, first 2 shown]
	s_mov_b32 s4, 0
	v_cmp_gt_i32_e64 s2, s17, v139
	v_mad_i64_i32 v[61:62], null, s10, s5, v[1:2]
	s_clause 0x9
	global_load_b128 v[1:4], v[9:10], off
	global_load_b128 v[5:8], v[9:10], off offset:16
	global_load_b128 v[9:12], v[13:14], off
	global_load_b128 v[13:16], v[13:14], off offset:16
	global_load_b128 v[17:20], v[21:22], off
	global_load_b128 v[21:24], v[21:22], off offset:16
	global_load_b128 v[25:28], v[29:30], off
	global_load_b128 v[29:32], v[29:30], off offset:16
	global_load_b128 v[57:60], v[61:62], off
	global_load_b128 v[61:64], v[61:62], off offset:16
	ds_load_b128 v[105:108], v117
	ds_load_b128 v[109:112], v117 offset:1024
	ds_load_b128 v[113:116], v117 offset:2048
	;; [unrolled: 1-line block ×3, first 2 shown]
	s_mov_b32 s11, s4
	s_mov_b32 s5, s4
	;; [unrolled: 1-line block ×7, first 2 shown]
	s_delay_alu instid0(SALU_CYCLE_1)
	v_dual_mov_b32 v128, s11 :: v_dual_mov_b32 v127, s10
	v_dual_mov_b32 v126, s9 :: v_dual_mov_b32 v125, s8
	v_dual_mov_b32 v124, s7 :: v_dual_mov_b32 v123, s6
	v_dual_mov_b32 v122, s5 :: v_dual_mov_b32 v121, s4
	v_cmp_gt_i32_e64 s3, s17, v140
	v_cmp_gt_i32_e64 s4, s17, v141
	;; [unrolled: 1-line block ×8, first 2 shown]
	s_waitcnt vmcnt(0) lgkmcnt(0)
	s_barrier
	buffer_gl0_inv
	v_wmma_f32_16x16x16_f16 v[129:136], v[73:80], v[105:112], v[121:128]
	v_wmma_f32_16x16x16_f16 v[121:128], v[81:88], v[105:112], v[121:128]
	v_or_b32_e32 v73, 20, v137
	v_or_b32_e32 v74, 22, v137
	s_delay_alu instid0(VALU_DEP_4)
	v_wmma_f32_16x16x16_f16 v[129:136], v[89:96], v[113:120], v[129:136]
	v_or_b32_e32 v75, 24, v137
	v_wmma_f32_16x16x16_f16 v[121:128], v[97:104], v[113:120], v[121:128]
	v_or_b32_e32 v76, 26, v137
	v_cmp_gt_i32_e64 s11, s17, v73
	v_dual_mul_f32 v85, s18, v130 :: v_dual_mul_f32 v86, s18, v129
	s_delay_alu instid0(VALU_DEP_4) | instskip(SKIP_1) | instid1(VALU_DEP_3)
	v_dual_mul_f32 v83, s18, v132 :: v_dual_mul_f32 v94, s18, v121
	v_mul_f32_e32 v84, s18, v131
	v_cndmask_b32_e64 v85, 0xff7fffff, v85, s2
	s_delay_alu instid0(VALU_DEP_4)
	v_cndmask_b32_e32 v86, 0xff7fffff, v86, vcc_lo
	v_dual_mul_f32 v81, s18, v134 :: v_dual_mul_f32 v92, s18, v123
	v_mul_f32_e32 v82, s18, v133
	v_cndmask_b32_e64 v84, 0xff7fffff, v84, s3
	v_cndmask_b32_e64 v83, 0xff7fffff, v83, s4
	v_max3_f32 v85, v86, 0xff7fffff, v85
	v_dual_mul_f32 v79, s18, v136 :: v_dual_mul_f32 v90, s18, v125
	v_mul_f32_e32 v80, s18, v135
	v_cndmask_b32_e64 v82, 0xff7fffff, v82, s5
	v_cndmask_b32_e64 v81, 0xff7fffff, v81, s6
	v_max3_f32 v83, v85, v84, v83
	v_mul_f32_e32 v93, s18, v122
	v_cndmask_b32_e64 v80, 0xff7fffff, v80, s7
	v_cndmask_b32_e64 v79, 0xff7fffff, v79, s8
	v_mul_f32_e32 v91, s18, v124
	v_max3_f32 v81, v83, v82, v81
	v_cndmask_b32_e64 v82, 0xff7fffff, v94, s9
	v_cndmask_b32_e64 v83, 0xff7fffff, v93, s10
	v_cmp_gt_i32_e64 s12, s17, v74
	v_or_b32_e32 v77, 28, v137
	v_max3_f32 v79, v81, v80, v79
	v_or_b32_e32 v78, 30, v137
	v_mul_f32_e32 v89, s18, v126
	v_cndmask_b32_e64 v73, 0xff7fffff, v92, s11
	v_cndmask_b32_e64 v74, 0xff7fffff, v91, s12
	v_max3_f32 v79, v79, v82, v83
	v_cmp_gt_i32_e64 s13, s17, v75
	v_cmp_gt_i32_e64 s15, s17, v76
	v_dual_mul_f32 v87, s18, v128 :: v_dual_mul_f32 v88, s18, v127
	s_delay_alu instid0(VALU_DEP_4) | instskip(NEXT) | instid1(VALU_DEP_4)
	v_max3_f32 v73, v79, v73, v74
	v_cndmask_b32_e64 v75, 0xff7fffff, v90, s13
	s_delay_alu instid0(VALU_DEP_4) | instskip(SKIP_2) | instid1(VALU_DEP_3)
	v_cndmask_b32_e64 v76, 0xff7fffff, v89, s15
	v_cmp_gt_i32_e64 s16, s17, v77
	v_cmp_gt_i32_e64 s17, s17, v78
	v_max3_f32 v73, v73, v75, v76
	s_delay_alu instid0(VALU_DEP_3) | instskip(NEXT) | instid1(VALU_DEP_3)
	v_cndmask_b32_e64 v74, 0xff7fffff, v88, s16
	v_cndmask_b32_e64 v77, 0xff7fffff, v87, s17
	v_lshlrev_b32_e32 v75, 2, v138
	s_delay_alu instid0(VALU_DEP_2) | instskip(SKIP_3) | instid1(VALU_DEP_1)
	v_max3_f32 v73, v73, v74, v77
	ds_bpermute_b32 v74, v75, v73
	s_waitcnt lgkmcnt(0)
	v_max_f32_e32 v74, v74, v74
	v_max_f32_e32 v73, v73, v74
	s_delay_alu instid0(VALU_DEP_1)
	v_fma_f32 v74, s18, v129, -v73
	v_fma_f32 v76, s18, v130, -v73
	;; [unrolled: 1-line block ×5, first 2 shown]
	v_mul_f32_e32 v74, 0x3fb8aa3b, v74
	s_delay_alu instid0(VALU_DEP_4) | instskip(NEXT) | instid1(VALU_DEP_4)
	v_dual_mul_f32 v76, 0x3fb8aa3b, v76 :: v_dual_mul_f32 v77, 0x3fb8aa3b, v77
	v_mul_f32_e32 v78, 0x3fb8aa3b, v78
	s_delay_alu instid0(VALU_DEP_4) | instskip(NEXT) | instid1(VALU_DEP_4)
	v_mul_f32_e32 v80, 0x3fb8aa3b, v80
	v_exp_f32_e32 v74, v74
	s_delay_alu instid0(VALU_DEP_3) | instskip(SKIP_4) | instid1(VALU_DEP_1)
	v_exp_f32_e32 v76, v76
	v_exp_f32_e32 v77, v77
	;; [unrolled: 1-line block ×3, first 2 shown]
	v_fma_f32 v83, s18, v135, -v73
	v_exp_f32_e32 v84, v80
	v_mul_f32_e32 v83, 0x3fb8aa3b, v83
	v_cndmask_b32_e32 v79, 0, v74, vcc_lo
	v_fma_f32 v74, s18, v134, -v73
	v_cndmask_b32_e64 v78, 0, v76, s2
	s_delay_alu instid0(TRANS32_DEP_3) | instskip(NEXT) | instid1(TRANS32_DEP_2)
	v_cndmask_b32_e64 v81, 0, v77, s3
	v_cndmask_b32_e64 v80, 0, v82, s4
	v_add_f32_e32 v76, 0, v79
	v_mul_f32_e32 v74, 0x3fb8aa3b, v74
	v_fma_f32 v82, s18, v121, -v73
	v_exp_f32_e32 v85, v83
	v_cndmask_b32_e64 v83, 0, v84, s5
	v_add_f32_e32 v76, v76, v78
	v_exp_f32_e32 v74, v74
	v_mul_f32_e32 v86, 0x3fb8aa3b, v82
	s_mov_b32 s2, exec_lo
	s_delay_alu instid0(VALU_DEP_2) | instskip(SKIP_4) | instid1(VALU_DEP_2)
	v_add_f32_e32 v76, v76, v81
	s_waitcnt_depctr 0xfff
	v_cndmask_b32_e64 v85, 0, v85, s7
	v_add_f32_e32 v76, v76, v80
	v_cndmask_b32_e64 v82, 0, v74, s6
	v_add_f32_e32 v74, v76, v83
	v_fma_f32 v77, s18, v136, -v73
	v_fma_f32 v84, s18, v122, -v73
	;; [unrolled: 1-line block ×5, first 2 shown]
	s_delay_alu instid0(VALU_DEP_4) | instskip(NEXT) | instid1(VALU_DEP_3)
	v_dual_mul_f32 v77, 0x3fb8aa3b, v77 :: v_dual_mul_f32 v84, 0x3fb8aa3b, v84
	v_dual_mul_f32 v76, 0x3fb8aa3b, v76 :: v_dual_mul_f32 v89, 0x3fb8aa3b, v87
	v_exp_f32_e32 v86, v86
	s_delay_alu instid0(VALU_DEP_2) | instskip(NEXT) | instid1(VALU_DEP_2)
	v_exp_f32_e32 v77, v77
	v_exp_f32_e32 v88, v84
	s_delay_alu instid0(VALU_DEP_1)
	v_exp_f32_e32 v76, v76
	v_exp_f32_e32 v91, v89
	v_fma_f32 v90, s18, v126, -v73
	v_cndmask_b32_e64 v87, 0, v86, s9
	v_cndmask_b32_e64 v84, 0, v77, s8
	v_fma_f32 v77, s18, v125, -v73
	v_add_f32_e32 v74, v74, v82
	s_delay_alu instid0(TRANS32_DEP_3) | instskip(SKIP_1) | instid1(TRANS32_DEP_2)
	v_cndmask_b32_e64 v86, 0, v88, s10
	v_fma_f32 v88, s18, v127, -v73
	v_cndmask_b32_e64 v89, 0, v76, s11
	v_mul_f32_e32 v77, 0x3fb8aa3b, v77
	v_add_f32_e32 v74, v74, v85
	v_mul_f32_e32 v90, 0x3fb8aa3b, v90
	v_mul_f32_e32 v76, 0x3fb8aa3b, v88
	v_cndmask_b32_e64 v88, 0, v91, s12
	v_exp_f32_e32 v77, v77
	s_delay_alu instid0(VALU_DEP_3) | instskip(NEXT) | instid1(VALU_DEP_2)
	v_exp_f32_e32 v90, v90
	v_exp_f32_e32 v76, v76
	s_delay_alu instid0(TRANS32_DEP_3)
	v_cndmask_b32_e64 v91, 0, v77, s13
	v_mul_f32_e32 v77, 0x3fb8aa3b, v92
	v_add_f32_e32 v74, v74, v84
	s_waitcnt_depctr 0xfff
	v_cndmask_b32_e64 v90, 0, v90, s15
	v_cndmask_b32_e64 v93, 0, v76, s16
	v_exp_f32_e32 v77, v77
	v_add_f32_e32 v74, v74, v87
	s_delay_alu instid0(VALU_DEP_1) | instskip(SKIP_3) | instid1(VALU_DEP_1)
	v_add_f32_e32 v74, v74, v86
	s_waitcnt_depctr 0xfff
	v_cndmask_b32_e64 v92, 0, v77, s17
	v_add_f32_e32 v74, v74, v89
	v_add_f32_e32 v74, v74, v88
	s_delay_alu instid0(VALU_DEP_1) | instskip(NEXT) | instid1(VALU_DEP_1)
	v_add_f32_e32 v74, v74, v91
	v_add_f32_e32 v74, v74, v90
	s_delay_alu instid0(VALU_DEP_1) | instskip(NEXT) | instid1(VALU_DEP_1)
	v_add_f32_e32 v74, v74, v93
	v_add_f32_e32 v74, v74, v92
	ds_bpermute_b32 v75, v75, v74
	v_cmpx_gt_u32_e32 16, v71
	s_cbranch_execz .LBB1167_12
; %bb.11:
	v_mul_u32_u24_e32 v71, 0x44, v72
	s_waitcnt lgkmcnt(0)
	v_add_f32_e32 v74, v74, v75
	s_delay_alu instid0(VALU_DEP_2) | instskip(NEXT) | instid1(VALU_DEP_1)
	v_lshl_add_u32 v71, v70, 2, v71
	v_add_nc_u32_e32 v71, 0x4000, v71
	ds_store_2addr_b32 v71, v73, v74 offset1:136
.LBB1167_12:
	s_or_b32 exec_lo, exec_lo, s2
	v_lshlrev_b32_e32 v71, 2, v70
	s_load_b32 s35, s[0:1], 0x94
	s_waitcnt lgkmcnt(0)
	s_barrier
	buffer_gl0_inv
	v_add_nc_u32_e32 v71, 0x4000, v71
	v_cmp_eq_u32_e32 vcc_lo, 1, v72
	v_cmp_eq_u32_e64 s2, 2, v72
	v_cmp_eq_u32_e64 s3, 3, v72
	;; [unrolled: 1-line block ×3, first 2 shown]
	ds_load_2addr_b32 v[73:74], v71 offset1:17
	ds_load_2addr_b32 v[94:95], v71 offset0:34 offset1:51
	ds_load_2addr_b32 v[96:97], v71 offset0:68 offset1:85
	;; [unrolled: 1-line block ×3, first 2 shown]
	v_cmp_eq_u32_e64 s5, 5, v72
	v_cmp_eq_u32_e64 s6, 7, v72
	s_waitcnt lgkmcnt(3)
	v_max3_f32 v75, v73, 0xff7fffff, v74
	s_waitcnt lgkmcnt(2)
	s_delay_alu instid0(VALU_DEP_1) | instskip(SKIP_1) | instid1(VALU_DEP_1)
	v_max3_f32 v75, v75, v94, v95
	s_waitcnt lgkmcnt(1)
	v_max3_f32 v75, v75, v96, v97
	s_waitcnt lgkmcnt(0)
	s_delay_alu instid0(VALU_DEP_1) | instskip(NEXT) | instid1(VALU_DEP_1)
	v_max3_f32 v76, v75, v98, v99
	v_sub_f32_e32 v96, v96, v76
	ds_load_2addr_b32 v[100:101], v71 offset0:136 offset1:153
	v_sub_f32_e32 v73, v73, v76
	v_sub_f32_e32 v75, v74, v76
	;; [unrolled: 1-line block ×3, first 2 shown]
	v_mul_f32_e32 v105, 0x3fb8aa3b, v96
	s_delay_alu instid0(VALU_DEP_4)
	v_mul_f32_e32 v77, 0x3fb8aa3b, v73
	ds_load_2addr_b32 v[73:74], v71 offset0:170 offset1:187
	v_mul_f32_e32 v103, 0x3fb8aa3b, v94
	v_exp_f32_e32 v102, v77
	v_sub_f32_e32 v77, v95, v76
	ds_load_2addr_b32 v[94:95], v71 offset0:204 offset1:221
	v_exp_f32_e32 v103, v103
	v_mul_f32_e32 v104, 0x3fb8aa3b, v77
	s_waitcnt lgkmcnt(2)
	v_fma_f32 v77, v102, v100, 0
	v_dual_sub_f32 v100, v97, v76 :: v_dual_mul_f32 v75, 0x3fb8aa3b, v75
	ds_load_2addr_b32 v[96:97], v71 offset0:238 offset1:255
	v_sub_f32_e32 v71, v98, v76
	v_exp_f32_e32 v104, v104
	v_mul_f32_e32 v98, 0x3fb8aa3b, v100
	v_exp_f32_e32 v75, v75
	v_exp_f32_e32 v100, v105
	v_mul_f32_e32 v71, 0x3fb8aa3b, v71
	s_waitcnt lgkmcnt(0)
	v_exp_f32_e32 v98, v98
	s_barrier
	buffer_gl0_inv
	v_fmac_f32_e32 v77, v75, v101
	s_delay_alu instid0(VALU_DEP_1) | instskip(SKIP_2) | instid1(VALU_DEP_2)
	v_fmac_f32_e32 v77, v103, v73
	v_sub_f32_e32 v73, v99, v76
	v_exp_f32_e32 v99, v71
	v_fmac_f32_e32 v77, v104, v74
	s_delay_alu instid0(VALU_DEP_2) | instskip(NEXT) | instid1(VALU_DEP_2)
	v_dual_mul_f32 v73, 0x3fb8aa3b, v73 :: v_dual_lshlrev_b32 v74, 6, v70
	v_dual_fmac_f32 v77, v100, v94 :: v_dual_lshlrev_b32 v70, 2, v69
	s_delay_alu instid0(VALU_DEP_2) | instskip(SKIP_1) | instid1(VALU_DEP_3)
	v_exp_f32_e32 v94, v73
	v_cndmask_b32_e32 v73, v102, v75, vcc_lo
	v_lshl_or_b32 v75, v72, 11, v74
	s_delay_alu instid0(VALU_DEP_3) | instskip(SKIP_1) | instid1(VALU_DEP_3)
	v_cmp_eq_u32_e64 s7, 7, v70
	v_fmac_f32_e32 v77, v98, v95
	v_lshl_or_b32 v69, v69, 4, v75
	s_delay_alu instid0(VALU_DEP_2)
	v_fmac_f32_e32 v77, v99, v96
	s_delay_alu instid0(TRANS32_DEP_1) | instid1(VALU_DEP_1)
	v_fmac_f32_e32 v77, v94, v97
	s_delay_alu instid0(VALU_DEP_1) | instskip(NEXT) | instid1(VALU_DEP_1)
	v_add_f32_e32 v95, 0x358637bd, v77
	v_div_scale_f32 v96, null, v95, v95, 1.0
	v_div_scale_f32 v101, vcc_lo, 1.0, v95, 1.0
	s_delay_alu instid0(VALU_DEP_2) | instskip(SKIP_2) | instid1(VALU_DEP_1)
	v_rcp_f32_e32 v97, v96
	s_waitcnt_depctr 0xfff
	v_fma_f32 v71, -v96, v97, 1.0
	v_fmac_f32_e32 v97, v71, v97
	v_cndmask_b32_e64 v71, v73, v103, s2
	v_cmp_eq_u32_e64 s2, 6, v72
	v_or_b32_e32 v73, 1, v70
	v_or_b32_e32 v72, 3, v70
	v_mul_f32_e32 v102, v101, v97
	v_cndmask_b32_e64 v71, v71, v104, s3
	v_cmp_eq_u32_e64 s3, 1, v70
	v_cmp_eq_u32_e64 s8, 1, v73
	;; [unrolled: 1-line block ×3, first 2 shown]
	v_fma_f32 v103, -v96, v102, v101
	v_cndmask_b32_e64 v100, v71, v100, s4
	v_or_b32_e32 v71, 2, v70
	v_cmp_eq_u32_e64 s4, 2, v70
	v_cmp_eq_u32_e64 s11, 2, v73
	v_fmac_f32_e32 v102, v103, v97
	v_cndmask_b32_e64 v98, v100, v98, s5
	v_cmp_eq_u32_e64 s9, 1, v71
	v_cmp_eq_u32_e64 s13, 2, v71
	;; [unrolled: 1-line block ×3, first 2 shown]
	v_fma_f32 v96, -v96, v102, v101
	v_cndmask_b32_e64 v98, v98, v99, s2
	v_cmp_eq_u32_e64 s12, 3, v73
	v_cmp_eq_u32_e64 s17, 3, v72
	;; [unrolled: 1-line block ×3, first 2 shown]
	v_div_fmas_f32 v96, v96, v97, v102
	v_cndmask_b32_e64 v94, v98, v94, s6
	v_cmp_eq_u32_e32 vcc_lo, 3, v70
	v_cmp_eq_u32_e64 s16, 3, v71
	v_cmp_eq_u32_e64 s18, 4, v73
	v_div_fixup_f32 v95, v96, v95, 1.0
	v_cmp_eq_u32_e64 s21, 4, v72
	v_cmp_eq_u32_e64 s5, 5, v70
	;; [unrolled: 1-line block ×4, first 2 shown]
	v_mul_f32_e32 v102, v94, v95
	v_cmp_eq_u32_e64 s23, 5, v72
	v_cmp_eq_u32_e64 s22, 5, v71
	;; [unrolled: 1-line block ×4, first 2 shown]
	v_fma_mixlo_f16 v94, v102, v79, 0
	v_fma_mixlo_f16 v95, v102, v81, 0
	;; [unrolled: 1-line block ×8, first 2 shown]
	v_fma_mixhi_f16 v94, v102, v78, 0
	v_fma_mixhi_f16 v95, v102, v80, 0
	;; [unrolled: 1-line block ×8, first 2 shown]
	ds_store_b128 v69, v[94:97]
	ds_store_b128 v69, v[98:101] offset:1024
	s_waitcnt lgkmcnt(0)
	s_barrier
	buffer_gl0_inv
	ds_load_b128 v[78:81], v75
	ds_load_b128 v[82:85], v75 offset:16
	ds_load_b128 v[86:89], v75 offset:1024
	;; [unrolled: 1-line block ×3, first 2 shown]
	v_cmp_eq_u32_e64 s6, 6, v70
	v_cmp_eq_u32_e64 s25, 6, v71
	;; [unrolled: 1-line block ×5, first 2 shown]
	s_waitcnt lgkmcnt(3)
	v_lshrrev_b32_e32 v94, 16, v78
	s_waitcnt lgkmcnt(2)
	v_lshrrev_b32_e32 v98, 16, v82
	;; [unrolled: 2-line block ×4, first 2 shown]
	v_lshrrev_b32_e32 v95, 16, v79
	v_cndmask_b32_e64 v110, v78, v94, s3
	v_cndmask_b32_e64 v111, v82, v98, s3
	;; [unrolled: 1-line block ×8, first 2 shown]
	v_lshrrev_b32_e32 v99, 16, v83
	v_cndmask_b32_e64 v94, v86, v102, s3
	v_cndmask_b32_e64 v98, v90, v106, s3
	;; [unrolled: 1-line block ×15, first 2 shown]
	v_lshrrev_b32_e32 v103, 16, v87
	v_lshrrev_b32_e32 v107, 16, v91
	v_cndmask_b32_e64 v113, v115, v83, s13
	v_cndmask_b32_e64 v82, v94, v87, s4
	;; [unrolled: 1-line block ×7, first 2 shown]
	v_cndmask_b32_e32 v90, v102, v95, vcc_lo
	v_cndmask_b32_e32 v102, v106, v99, vcc_lo
	v_cndmask_b32_e64 v106, v110, v95, s12
	v_cndmask_b32_e64 v110, v111, v99, s12
	;; [unrolled: 1-line block ×4, first 2 shown]
	v_lshrrev_b32_e32 v96, 16, v80
	v_lshrrev_b32_e32 v100, 16, v84
	v_cndmask_b32_e64 v111, v112, v95, s16
	v_cndmask_b32_e64 v112, v113, v99, s16
	v_cndmask_b32_e32 v82, v82, v103, vcc_lo
	v_cndmask_b32_e32 v83, v83, v107, vcc_lo
	v_cndmask_b32_e64 v94, v94, v103, s12
	v_cndmask_b32_e64 v90, v90, v80, s2
	;; [unrolled: 1-line block ×7, first 2 shown]
	v_lshrrev_b32_e32 v104, 16, v88
	v_cndmask_b32_e64 v106, v111, v80, s20
	v_cndmask_b32_e64 v110, v112, v84, s20
	v_cndmask_b32_e64 v80, v82, v88, s2
	v_cndmask_b32_e64 v82, v83, v92, s2
	v_cndmask_b32_e64 v83, v94, v88, s18
	v_cndmask_b32_e64 v84, v90, v96, s5
	v_cndmask_b32_e64 v90, v95, v100, s5
	v_cndmask_b32_e64 v94, v99, v96, s19
	v_cndmask_b32_e64 v95, v102, v100, s19
	v_cndmask_b32_e64 v78, v78, v96, s23
	v_cndmask_b32_e64 v79, v79, v100, s23
	v_lshrrev_b32_e32 v97, 16, v81
	v_lshrrev_b32_e32 v101, 16, v85
	v_cndmask_b32_e64 v99, v106, v96, s22
	v_cndmask_b32_e64 v102, v110, v100, s22
	;; [unrolled: 1-line block ×7, first 2 shown]
	v_lshrrev_b32_e32 v105, 16, v89
	v_cndmask_b32_e64 v80, v80, v104, s5
	v_cndmask_b32_e64 v84, v84, v81, s6
	;; [unrolled: 1-line block ×16, first 2 shown]
	v_perm_b32 v81, v79, v78, 0x5040100
	v_perm_b32 v79, v95, v85, 0x5040100
	v_cndmask_b32_e64 v78, v119, v91, s13
	v_cndmask_b32_e64 v85, v117, v91, s11
	;; [unrolled: 1-line block ×3, first 2 shown]
	v_perm_b32 v80, v94, v90, 0x5040100
	v_cndmask_b32_e64 v90, v98, v103, s16
	v_cndmask_b32_e64 v86, v86, v103, s17
	;; [unrolled: 1-line block ×5, first 2 shown]
	v_lshrrev_b32_e32 v108, 16, v92
	v_cndmask_b32_e64 v90, v90, v88, s20
	v_cndmask_b32_e64 v86, v86, v88, s21
	;; [unrolled: 1-line block ×11, first 2 shown]
	v_lshrrev_b32_e32 v109, 16, v93
	v_cndmask_b32_e64 v82, v82, v93, s6
	v_cndmask_b32_e64 v88, v88, v89, s25
	;; [unrolled: 1-line block ×12, first 2 shown]
	v_perm_b32 v78, v84, v83, 0x5040100
	v_perm_b32 v85, v87, v86, 0x5040100
	;; [unrolled: 1-line block ×5, first 2 shown]
	s_lshl_b32 s7, s34, 1
	s_mov_b32 s2, exec_lo
	ds_store_b128 v69, v[78:81]
	ds_store_b128 v69, v[82:85] offset:1024
	v_cmpx_gt_u32_e32 2, v0
	s_cbranch_execz .LBB1167_14
; %bb.13:
	v_or_b32_e32 v78, s33, v0
	s_load_b128 s[8:11], s[0:1], 0x58
	s_delay_alu instid0(VALU_DEP_1) | instskip(NEXT) | instid1(VALU_DEP_1)
	v_mad_u64_u32 v[79:80], null, s7, s30, v[78:79]
	v_mad_u64_u32 v[80:81], null, v79, s35, s[14:15]
	s_delay_alu instid0(VALU_DEP_1) | instskip(NEXT) | instid1(VALU_DEP_1)
	v_ashrrev_i32_e32 v81, 31, v80
	v_lshlrev_b64 v[78:79], 2, v[80:81]
	s_waitcnt lgkmcnt(0)
	s_delay_alu instid0(VALU_DEP_1) | instskip(NEXT) | instid1(VALU_DEP_2)
	v_add_co_u32 v80, vcc_lo, s10, v78
	v_add_co_ci_u32_e32 v81, vcc_lo, s11, v79, vcc_lo
	v_add_co_u32 v78, vcc_lo, s8, v78
	v_add_co_ci_u32_e32 v79, vcc_lo, s9, v79, vcc_lo
	global_store_b32 v[80:81], v76, off
	global_store_b32 v[78:79], v77, off
.LBB1167_14:
	s_or_b32 exec_lo, exec_lo, s2
	s_waitcnt lgkmcnt(0)
	s_waitcnt_vscnt null, 0x0
	s_barrier
	buffer_gl0_inv
	ds_load_b128 v[84:87], v74
	ds_load_b128 v[88:91], v74 offset:16
	ds_load_b128 v[96:99], v74 offset:2064
	ds_load_b128 v[92:95], v74 offset:2048
	ds_load_b128 v[104:107], v74 offset:4112
	ds_load_b128 v[100:103], v74 offset:4096
	v_cmp_eq_u32_e32 vcc_lo, 1, v70
	v_mov_b32_e32 v76, 0
	ds_load_b128 v[112:115], v74 offset:6160
	ds_load_b128 v[108:111], v74 offset:6144
	ds_load_b128 v[120:123], v74 offset:8208
	ds_load_b128 v[116:119], v74 offset:8192
	v_cmp_eq_u32_e64 s3, 1, v71
	v_cmp_eq_u32_e64 s2, 1, v73
	;; [unrolled: 1-line block ×3, first 2 shown]
	v_mov_b32_e32 v77, v76
	v_mov_b32_e32 v78, v76
	v_mov_b32_e32 v79, v76
	v_mov_b32_e32 v80, v76
	v_mov_b32_e32 v81, v76
	v_mov_b32_e32 v82, v76
	v_mov_b32_e32 v83, v76
	v_cmp_eq_u32_e64 s5, 3, v73
	v_cmp_eq_u32_e64 s6, 7, v73
	s_waitcnt lgkmcnt(8)
	s_delay_alu instid0(VALU_DEP_3)
	v_wmma_f32_16x16x16_f16 v[76:83], v[49:56], v[84:91], v[76:83]
	ds_load_b128 v[53:56], v74 offset:10256
	ds_load_b128 v[49:52], v74 offset:10240
	s_waitcnt lgkmcnt(8)
	v_wmma_f32_16x16x16_f16 v[76:83], v[41:48], v[92:99], v[76:83]
	ds_load_b128 v[45:48], v74 offset:12304
	ds_load_b128 v[41:44], v74 offset:12288
	s_waitcnt lgkmcnt(8)
	;; [unrolled: 4-line block ×3, first 2 shown]
	s_barrier
	buffer_gl0_inv
	v_wmma_f32_16x16x16_f16 v[76:83], v[1:8], v[108:115], v[76:83]
	s_delay_alu instid0(VALU_DEP_1) | instskip(NEXT) | instid1(VALU_DEP_1)
	v_wmma_f32_16x16x16_f16 v[76:83], v[9:16], v[116:123], v[76:83]
	v_wmma_f32_16x16x16_f16 v[76:83], v[17:24], v[49:56], v[76:83]
	s_delay_alu instid0(VALU_DEP_1) | instskip(NEXT) | instid1(VALU_DEP_1)
	v_wmma_f32_16x16x16_f16 v[76:83], v[25:32], v[41:48], v[76:83]
	v_wmma_f32_16x16x16_f16 v[76:83], v[57:64], v[33:40], v[76:83]
	s_delay_alu instid0(VALU_DEP_1) | instskip(NEXT) | instid1(VALU_DEP_2)
	v_cvt_f16_f32_e32 v1, v76
	v_cvt_f16_f32_e32 v2, v77
	s_delay_alu instid0(VALU_DEP_3) | instskip(NEXT) | instid1(VALU_DEP_4)
	v_cvt_f16_f32_e32 v3, v78
	v_cvt_f16_f32_e32 v4, v79
	;; [unrolled: 1-line block ×6, first 2 shown]
	v_pack_b32_f16 v1, v1, v2
	v_pack_b32_f16 v2, v3, v4
	;; [unrolled: 1-line block ×3, first 2 shown]
	s_delay_alu instid0(VALU_DEP_4)
	v_pack_b32_f16 v4, v7, v8
	ds_store_b128 v69, v[1:4]
	s_waitcnt lgkmcnt(0)
	s_barrier
	buffer_gl0_inv
	ds_load_b128 v[1:4], v75
	ds_load_b128 v[5:8], v75 offset:16
	s_waitcnt lgkmcnt(1)
	v_lshrrev_b32_e32 v9, 16, v1
	s_waitcnt lgkmcnt(0)
	v_lshrrev_b32_e32 v13, 16, v5
	v_lshrrev_b32_e32 v10, 16, v2
	;; [unrolled: 1-line block ×4, first 2 shown]
	v_cndmask_b32_e32 v17, v1, v9, vcc_lo
	v_cndmask_b32_e32 v18, v5, v13, vcc_lo
	v_cndmask_b32_e64 v21, v1, v9, s3
	v_cmp_eq_u32_e32 vcc_lo, 1, v72
	v_cndmask_b32_e64 v22, v5, v13, s3
	v_cmp_eq_u32_e64 s3, 2, v70
	v_cndmask_b32_e64 v19, v1, v9, s2
	v_cndmask_b32_e64 v20, v5, v13, s2
	v_cndmask_b32_e32 v1, v1, v9, vcc_lo
	v_cmp_eq_u32_e64 s2, 2, v72
	v_cndmask_b32_e32 v5, v5, v13, vcc_lo
	v_cndmask_b32_e64 v9, v17, v2, s3
	v_cmp_eq_u32_e32 vcc_lo, 3, v70
	v_cndmask_b32_e64 v13, v18, v6, s3
	v_cmp_eq_u32_e64 s3, 2, v71
	v_cndmask_b32_e64 v17, v19, v2, s4
	v_cndmask_b32_e64 v18, v20, v6, s4
	v_cmp_eq_u32_e64 s4, 3, v71
	v_cndmask_b32_e64 v1, v1, v2, s2
	v_cndmask_b32_e64 v19, v21, v2, s3
	;; [unrolled: 1-line block ×4, first 2 shown]
	v_cndmask_b32_e32 v5, v9, v10, vcc_lo
	v_cndmask_b32_e32 v6, v13, v14, vcc_lo
	v_cmp_eq_u32_e32 vcc_lo, 3, v72
	v_cndmask_b32_e64 v9, v17, v10, s5
	v_cndmask_b32_e64 v13, v18, v14, s5
	;; [unrolled: 1-line block ×3, first 2 shown]
	v_cmp_eq_u32_e64 s3, 4, v70
	v_cndmask_b32_e32 v1, v1, v10, vcc_lo
	v_cndmask_b32_e32 v2, v2, v14, vcc_lo
	v_cmp_eq_u32_e32 vcc_lo, 4, v73
	v_lshrrev_b32_e32 v15, 16, v7
	v_lshrrev_b32_e32 v16, 16, v8
	v_cndmask_b32_e64 v17, v19, v10, s4
	v_cmp_eq_u32_e64 s2, 4, v72
	v_cndmask_b32_e64 v5, v5, v3, s3
	v_cndmask_b32_e64 v6, v6, v7, s3
	v_cndmask_b32_e32 v9, v9, v3, vcc_lo
	v_cmp_eq_u32_e64 s3, 5, v73
	v_cndmask_b32_e32 v10, v13, v7, vcc_lo
	v_cmp_eq_u32_e32 vcc_lo, 4, v71
	v_cmp_eq_u32_e64 s4, 5, v70
	v_cndmask_b32_e64 v2, v2, v7, s2
	v_cndmask_b32_e64 v9, v9, v11, s3
	;; [unrolled: 1-line block ×3, first 2 shown]
	v_cndmask_b32_e32 v13, v17, v3, vcc_lo
	v_cmp_eq_u32_e64 s3, 5, v71
	v_cndmask_b32_e32 v14, v18, v7, vcc_lo
	v_cndmask_b32_e64 v1, v1, v3, s2
	v_cmp_eq_u32_e32 vcc_lo, 5, v72
	v_lshrrev_b32_e32 v12, 16, v4
	v_cndmask_b32_e64 v13, v13, v11, s3
	v_cndmask_b32_e64 v3, v14, v15, s3
	v_cmp_eq_u32_e64 s3, 6, v72
	v_cndmask_b32_e32 v1, v1, v11, vcc_lo
	v_cndmask_b32_e64 v5, v5, v11, s4
	v_cmp_eq_u32_e64 s5, 6, v70
	v_cndmask_b32_e64 v6, v6, v15, s4
	v_cmp_eq_u32_e64 s4, 6, v73
	v_cmp_eq_u32_e64 s2, 6, v71
	v_cndmask_b32_e64 v1, v1, v4, s3
	v_cndmask_b32_e32 v2, v2, v15, vcc_lo
	v_cmp_eq_u32_e32 vcc_lo, 7, v72
	v_cndmask_b32_e64 v5, v5, v4, s5
	v_cndmask_b32_e64 v9, v9, v4, s4
	;; [unrolled: 1-line block ×3, first 2 shown]
	v_cmp_eq_u32_e64 s5, 7, v70
	v_cndmask_b32_e32 v1, v1, v12, vcc_lo
	v_cndmask_b32_e64 v7, v13, v4, s2
	v_cndmask_b32_e64 v3, v3, v8, s2
	;; [unrolled: 1-line block ×3, first 2 shown]
	v_cmp_eq_u32_e64 s2, 7, v71
	v_cndmask_b32_e64 v4, v10, v8, s4
	v_cndmask_b32_e64 v5, v5, v12, s5
	v_cndmask_b32_e64 v9, v9, v12, s6
	v_cndmask_b32_e32 v2, v2, v16, vcc_lo
	v_cndmask_b32_e64 v7, v7, v12, s2
	v_cndmask_b32_e64 v3, v3, v16, s2
	;; [unrolled: 1-line block ×4, first 2 shown]
	v_perm_b32 v4, v2, v1, 0x5040100
	s_delay_alu instid0(VALU_DEP_4) | instskip(NEXT) | instid1(VALU_DEP_4)
	v_perm_b32 v3, v3, v7, 0x5040100
	v_perm_b32 v2, v8, v9, 0x5040100
	s_delay_alu instid0(VALU_DEP_4)
	v_perm_b32 v1, v6, v5, 0x5040100
	ds_store_b128 v69, v[1:4]
	s_waitcnt lgkmcnt(0)
	s_barrier
	buffer_gl0_inv
	s_and_saveexec_b32 s2, s31
	s_cbranch_execz .LBB1167_2
; %bb.15:
	s_load_b64 s[0:1], s[0:1], 0x68
	v_lshlrev_b32_e32 v0, 10, v0
	s_lshl_b32 s2, s35, 6
	v_lshlrev_b32_e32 v1, 4, v68
	v_mul_lo_u32 v4, s2, v67
	s_mul_i32 s3, s2, s30
	v_and_b32_e32 v0, 0x3800, v0
	s_mul_i32 s2, s3, s7
	s_delay_alu instid0(SALU_CYCLE_1) | instskip(NEXT) | instid1(VALU_DEP_1)
	s_ashr_i32 s3, s2, 31
	v_or3_b32 v0, v0, v66, v1
	s_lshl_b64 s[2:3], s[2:3], 1
	s_delay_alu instid0(VALU_DEP_3)
	v_ashrrev_i32_e32 v5, 31, v4
	ds_load_b128 v[0:3], v0
	v_lshlrev_b64 v[4:5], 1, v[4:5]
	s_waitcnt lgkmcnt(0)
	s_add_u32 s2, s0, s2
	s_addc_u32 s3, s1, s3
	s_lshl_b32 s0, s14, 6
	s_delay_alu instid0(SALU_CYCLE_1) | instskip(NEXT) | instid1(SALU_CYCLE_1)
	s_ashr_i32 s1, s0, 31
	s_lshl_b64 s[0:1], s[0:1], 1
	s_delay_alu instid0(SALU_CYCLE_1) | instskip(SKIP_3) | instid1(VALU_DEP_2)
	s_add_u32 s0, s2, s0
	s_addc_u32 s1, s3, s1
	v_add_co_u32 v4, vcc_lo, s0, v4
	v_add_co_ci_u32_e32 v5, vcc_lo, s1, v5, vcc_lo
	v_add_co_u32 v4, vcc_lo, v4, v65
	s_delay_alu instid0(VALU_DEP_2)
	v_add_co_ci_u32_e32 v5, vcc_lo, 0, v5, vcc_lo
	global_store_b128 v[4:5], v[0:3], off
	s_nop 0
	s_sendmsg sendmsg(MSG_DEALLOC_VGPRS)
	s_endpgm
	.section	.rodata,"a",@progbits
	.p2align	6, 0x0
	.amdhsa_kernel _Z39paged_attention_ll4mi_QKV_mfma16_kernelIDF16_hLN4vllm18Fp8KVCacheDataTypeE1EhLi32ELi64ELi256ELb1ELi2EL8MFMAType0EEvPKT_PKT0_S8_ifPKiSA_SA_iPKfiiiPfSD_PS3_PT2_iSC_SC_
		.amdhsa_group_segment_fixed_size 17472
		.amdhsa_private_segment_fixed_size 0
		.amdhsa_kernarg_size 400
		.amdhsa_user_sgpr_count 13
		.amdhsa_user_sgpr_dispatch_ptr 0
		.amdhsa_user_sgpr_queue_ptr 0
		.amdhsa_user_sgpr_kernarg_segment_ptr 1
		.amdhsa_user_sgpr_dispatch_id 0
		.amdhsa_user_sgpr_private_segment_size 0
		.amdhsa_wavefront_size32 1
		.amdhsa_uses_dynamic_stack 0
		.amdhsa_enable_private_segment 0
		.amdhsa_system_sgpr_workgroup_id_x 1
		.amdhsa_system_sgpr_workgroup_id_y 1
		.amdhsa_system_sgpr_workgroup_id_z 1
		.amdhsa_system_sgpr_workgroup_info 0
		.amdhsa_system_vgpr_workitem_id 0
		.amdhsa_next_free_vgpr 148
		.amdhsa_next_free_sgpr 38
		.amdhsa_reserve_vcc 1
		.amdhsa_float_round_mode_32 0
		.amdhsa_float_round_mode_16_64 0
		.amdhsa_float_denorm_mode_32 3
		.amdhsa_float_denorm_mode_16_64 3
		.amdhsa_dx10_clamp 1
		.amdhsa_ieee_mode 1
		.amdhsa_fp16_overflow 0
		.amdhsa_workgroup_processor_mode 1
		.amdhsa_memory_ordered 1
		.amdhsa_forward_progress 0
		.amdhsa_shared_vgpr_count 0
		.amdhsa_exception_fp_ieee_invalid_op 0
		.amdhsa_exception_fp_denorm_src 0
		.amdhsa_exception_fp_ieee_div_zero 0
		.amdhsa_exception_fp_ieee_overflow 0
		.amdhsa_exception_fp_ieee_underflow 0
		.amdhsa_exception_fp_ieee_inexact 0
		.amdhsa_exception_int_div_zero 0
	.end_amdhsa_kernel
	.section	.text._Z39paged_attention_ll4mi_QKV_mfma16_kernelIDF16_hLN4vllm18Fp8KVCacheDataTypeE1EhLi32ELi64ELi256ELb1ELi2EL8MFMAType0EEvPKT_PKT0_S8_ifPKiSA_SA_iPKfiiiPfSD_PS3_PT2_iSC_SC_,"axG",@progbits,_Z39paged_attention_ll4mi_QKV_mfma16_kernelIDF16_hLN4vllm18Fp8KVCacheDataTypeE1EhLi32ELi64ELi256ELb1ELi2EL8MFMAType0EEvPKT_PKT0_S8_ifPKiSA_SA_iPKfiiiPfSD_PS3_PT2_iSC_SC_,comdat
.Lfunc_end1167:
	.size	_Z39paged_attention_ll4mi_QKV_mfma16_kernelIDF16_hLN4vllm18Fp8KVCacheDataTypeE1EhLi32ELi64ELi256ELb1ELi2EL8MFMAType0EEvPKT_PKT0_S8_ifPKiSA_SA_iPKfiiiPfSD_PS3_PT2_iSC_SC_, .Lfunc_end1167-_Z39paged_attention_ll4mi_QKV_mfma16_kernelIDF16_hLN4vllm18Fp8KVCacheDataTypeE1EhLi32ELi64ELi256ELb1ELi2EL8MFMAType0EEvPKT_PKT0_S8_ifPKiSA_SA_iPKfiiiPfSD_PS3_PT2_iSC_SC_
                                        ; -- End function
	.section	.AMDGPU.csdata,"",@progbits
; Kernel info:
; codeLenInByte = 6252
; NumSgprs: 40
; NumVgprs: 148
; ScratchSize: 0
; MemoryBound: 0
; FloatMode: 240
; IeeeMode: 1
; LDSByteSize: 17472 bytes/workgroup (compile time only)
; SGPRBlocks: 4
; VGPRBlocks: 18
; NumSGPRsForWavesPerEU: 40
; NumVGPRsForWavesPerEU: 148
; Occupancy: 9
; WaveLimiterHint : 1
; COMPUTE_PGM_RSRC2:SCRATCH_EN: 0
; COMPUTE_PGM_RSRC2:USER_SGPR: 13
; COMPUTE_PGM_RSRC2:TRAP_HANDLER: 0
; COMPUTE_PGM_RSRC2:TGID_X_EN: 1
; COMPUTE_PGM_RSRC2:TGID_Y_EN: 1
; COMPUTE_PGM_RSRC2:TGID_Z_EN: 1
; COMPUTE_PGM_RSRC2:TIDIG_COMP_CNT: 0
	.section	.text._Z39paged_attention_ll4mi_QKV_mfma16_kernelIDF16_hLN4vllm18Fp8KVCacheDataTypeE1EhLi32ELi64ELi256ELb1ELi3EL8MFMAType0EEvPKT_PKT0_S8_ifPKiSA_SA_iPKfiiiPfSD_PS3_PT2_iSC_SC_,"axG",@progbits,_Z39paged_attention_ll4mi_QKV_mfma16_kernelIDF16_hLN4vllm18Fp8KVCacheDataTypeE1EhLi32ELi64ELi256ELb1ELi3EL8MFMAType0EEvPKT_PKT0_S8_ifPKiSA_SA_iPKfiiiPfSD_PS3_PT2_iSC_SC_,comdat
	.protected	_Z39paged_attention_ll4mi_QKV_mfma16_kernelIDF16_hLN4vllm18Fp8KVCacheDataTypeE1EhLi32ELi64ELi256ELb1ELi3EL8MFMAType0EEvPKT_PKT0_S8_ifPKiSA_SA_iPKfiiiPfSD_PS3_PT2_iSC_SC_ ; -- Begin function _Z39paged_attention_ll4mi_QKV_mfma16_kernelIDF16_hLN4vllm18Fp8KVCacheDataTypeE1EhLi32ELi64ELi256ELb1ELi3EL8MFMAType0EEvPKT_PKT0_S8_ifPKiSA_SA_iPKfiiiPfSD_PS3_PT2_iSC_SC_
	.globl	_Z39paged_attention_ll4mi_QKV_mfma16_kernelIDF16_hLN4vllm18Fp8KVCacheDataTypeE1EhLi32ELi64ELi256ELb1ELi3EL8MFMAType0EEvPKT_PKT0_S8_ifPKiSA_SA_iPKfiiiPfSD_PS3_PT2_iSC_SC_
	.p2align	8
	.type	_Z39paged_attention_ll4mi_QKV_mfma16_kernelIDF16_hLN4vllm18Fp8KVCacheDataTypeE1EhLi32ELi64ELi256ELb1ELi3EL8MFMAType0EEvPKT_PKT0_S8_ifPKiSA_SA_iPKfiiiPfSD_PS3_PT2_iSC_SC_,@function
_Z39paged_attention_ll4mi_QKV_mfma16_kernelIDF16_hLN4vllm18Fp8KVCacheDataTypeE1EhLi32ELi64ELi256ELb1ELi3EL8MFMAType0EEvPKT_PKT0_S8_ifPKiSA_SA_iPKfiiiPfSD_PS3_PT2_iSC_SC_: ; @_Z39paged_attention_ll4mi_QKV_mfma16_kernelIDF16_hLN4vllm18Fp8KVCacheDataTypeE1EhLi32ELi64ELi256ELb1ELi3EL8MFMAType0EEvPKT_PKT0_S8_ifPKiSA_SA_iPKfiiiPfSD_PS3_PT2_iSC_SC_
; %bb.0:
	s_load_b64 s[2:3], s[0:1], 0x30
	s_mov_b32 s34, s13
	s_waitcnt lgkmcnt(0)
	s_cmp_lg_u64 s[2:3], 0
	s_cselect_b32 s6, -1, 0
	s_ashr_i32 s35, s13, 31
	s_cmp_eq_u64 s[2:3], 0
	s_cbranch_scc1 .LBB1168_3
; %bb.1:
	s_lshl_b64 s[4:5], s[34:35], 2
	s_delay_alu instid0(SALU_CYCLE_1) | instskip(SKIP_4) | instid1(SALU_CYCLE_1)
	s_add_u32 s4, s2, s4
	s_addc_u32 s5, s3, s5
	s_load_b64 s[4:5], s[4:5], 0x0
	s_waitcnt lgkmcnt(0)
	s_sub_i32 s4, s5, s4
	s_cmp_eq_u32 s4, 1
	s_cselect_b32 s4, -1, 0
	s_delay_alu instid0(SALU_CYCLE_1)
	s_and_not1_b32 vcc_lo, exec_lo, s4
	s_cbranch_vccz .LBB1168_4
.LBB1168_2:
	s_nop 0
	s_sendmsg sendmsg(MSG_DEALLOC_VGPRS)
	s_endpgm
.LBB1168_3:
.LBB1168_4:
	s_load_b64 s[8:9], s[0:1], 0x28
	s_lshl_b64 s[4:5], s[34:35], 2
	s_waitcnt lgkmcnt(0)
	s_add_u32 s8, s8, s4
	s_addc_u32 s9, s9, s5
	s_lshl_b32 s16, s14, 8
	s_load_b32 s18, s[8:9], 0x0
	s_waitcnt lgkmcnt(0)
	s_cmp_ge_i32 s16, s18
	s_cbranch_scc1 .LBB1168_2
; %bb.5:
	s_clause 0x1
	s_load_b128 s[8:11], s[0:1], 0x8
	s_load_b64 s[12:13], s[0:1], 0x20
	s_and_not1_b32 vcc_lo, exec_lo, s6
	s_cbranch_vccnz .LBB1168_7
; %bb.6:
	s_add_u32 s2, s2, s4
	s_addc_u32 s3, s3, s5
	s_load_b32 s3, s[2:3], 0x0
	s_branch .LBB1168_8
.LBB1168_7:
	s_mov_b32 s3, s34
.LBB1168_8:
	s_load_b128 s[4:7], s[0:1], 0x48
	v_lshrrev_b32_e32 v69, 5, v0
	v_bfe_u32 v66, v0, 4, 1
	v_and_b32_e32 v68, 15, v0
	v_and_b32_e32 v70, 31, v0
	;; [unrolled: 1-line block ×3, first 2 shown]
	s_mul_i32 s33, s15, 3
	v_lshl_or_b32 v1, v69, 1, v66
	v_lshlrev_b32_e32 v2, 3, v68
	v_cmp_gt_u32_e64 s2, 8, v68
	s_delay_alu instid0(VALU_DEP_3) | instskip(NEXT) | instid1(VALU_DEP_3)
	v_cmp_gt_u32_e32 vcc_lo, 3, v1
	v_lshlrev_b32_e32 v65, 1, v2
	s_delay_alu instid0(VALU_DEP_3)
	s_and_b32 s17, s2, vcc_lo
	s_waitcnt lgkmcnt(0)
	s_and_saveexec_b32 s7, s17
	s_cbranch_execz .LBB1168_10
; %bb.9:
	s_load_b64 s[20:21], s[0:1], 0x0
	v_add_lshl_u32 v2, v1, s33, 6
	s_mul_hi_i32 s23, s3, s4
	s_mul_i32 s22, s3, s4
	v_lshlrev_b32_e32 v6, 10, v68
	s_lshl_b64 s[22:23], s[22:23], 1
	v_ashrrev_i32_e32 v3, 31, v2
	v_lshlrev_b32_e32 v1, 6, v1
	v_lshlrev_b32_e32 v7, 10, v67
	v_and_b32_e32 v6, 0x3800, v6
	s_delay_alu instid0(VALU_DEP_4) | instskip(NEXT) | instid1(VALU_DEP_2)
	v_lshlrev_b64 v[2:3], 1, v[2:3]
	v_or3_b32 v1, v6, v7, v1
	s_waitcnt lgkmcnt(0)
	s_add_u32 s3, s20, s22
	s_addc_u32 s4, s21, s23
	s_delay_alu instid0(VALU_DEP_2) | instskip(SKIP_1) | instid1(VALU_DEP_2)
	v_add_co_u32 v2, vcc_lo, s3, v2
	v_add_co_ci_u32_e32 v3, vcc_lo, s4, v3, vcc_lo
	v_add_co_u32 v2, vcc_lo, v2, v65
	s_delay_alu instid0(VALU_DEP_2)
	v_add_co_ci_u32_e32 v3, vcc_lo, 0, v3, vcc_lo
	global_load_b128 v[2:5], v[2:3], off
	s_waitcnt vmcnt(0)
	ds_store_b128 v1, v[2:5]
.LBB1168_10:
	s_or_b32 exec_lo, exec_lo, s7
	v_and_b32_e32 v1, 0xef, v0
	s_add_i32 s3, s18, 31
	s_clause 0x1
	s_load_b32 s4, s[0:1], 0x38
	s_load_b32 s35, s[0:1], 0x98
	s_ashr_i32 s7, s3, 31
	v_add_nc_u32_e32 v1, s16, v1
	s_lshr_b32 s7, s7, 27
	s_load_b32 s19, s[0:1], 0x1c
	s_add_i32 s3, s3, s7
	s_waitcnt lgkmcnt(0)
	v_ashrrev_i32_e32 v2, 31, v1
	v_or_b32_e32 v3, 16, v1
	s_ashr_i32 s3, s3, 5
	v_cmp_gt_i32_e32 vcc_lo, s18, v1
	s_add_i32 s3, s3, -1
	v_lshrrev_b32_e32 v2, 27, v2
	s_barrier
	buffer_gl0_inv
	s_mul_i32 s15, s15, s6
	v_mul_lo_u16 v103, 0x56, v68
	v_add_nc_u32_e32 v4, v1, v2
	v_mbcnt_lo_u32_b32 v127, -1, 0
	s_mul_i32 s20, s34, s4
	s_delay_alu instid0(SALU_CYCLE_1) | instskip(NEXT) | instid1(VALU_DEP_2)
	s_ashr_i32 s21, s20, 31
	v_ashrrev_i32_e32 v4, 5, v4
	v_add_nc_u32_e32 v2, v3, v2
	s_lshl_b64 s[20:21], s[20:21], 2
	v_lshrrev_b16 v103, 8, v103
	s_add_u32 s17, s12, s20
	v_cndmask_b32_e32 v1, s3, v4, vcc_lo
	v_ashrrev_i32_e32 v2, 5, v2
	v_cmp_gt_i32_e32 vcc_lo, s18, v3
	s_addc_u32 s13, s13, s21
	s_ashr_i32 s20, s15, 31
	s_add_u32 s22, s8, s15
	s_addc_u32 s23, s9, s20
	v_cndmask_b32_e32 v3, s3, v2, vcc_lo
	v_ashrrev_i32_e32 v2, 31, v1
	s_lshl_b32 s6, s14, 3
	v_mul_lo_u16 v103, v103, 3
	s_ashr_i32 s7, s6, 31
	v_ashrrev_i32_e32 v4, 31, v3
	v_lshlrev_b64 v[1:2], 2, v[1:2]
	s_lshl_b64 s[6:7], s[6:7], 2
	v_sub_nc_u16 v103, v68, v103
	s_add_u32 s6, s17, s6
	v_lshlrev_b64 v[3:4], 2, v[3:4]
	s_addc_u32 s7, s13, s7
	v_add_co_u32 v1, vcc_lo, s17, v1
	v_add_co_ci_u32_e32 v2, vcc_lo, s13, v2, vcc_lo
	s_delay_alu instid0(VALU_DEP_3) | instskip(NEXT) | instid1(VALU_DEP_4)
	v_add_co_u32 v3, vcc_lo, s17, v3
	v_add_co_ci_u32_e32 v4, vcc_lo, s13, v4, vcc_lo
	s_clause 0x1
	global_load_b32 v5, v[1:2], off
	global_load_b32 v6, v[3:4], off
	s_or_b32 s4, s16, 32
	v_xor_b32_e32 v128, 16, v127
	s_ashr_i32 s8, s4, 5
	s_cmp_lt_i32 s4, s18
	s_cselect_b32 s8, s8, s3
	s_delay_alu instid0(SALU_CYCLE_1) | instskip(NEXT) | instid1(SALU_CYCLE_1)
	s_ashr_i32 s9, s8, 31
	s_lshl_b64 s[8:9], s[8:9], 2
	s_delay_alu instid0(SALU_CYCLE_1) | instskip(SKIP_2) | instid1(SALU_CYCLE_1)
	s_add_u32 s8, s17, s8
	s_addc_u32 s9, s13, s9
	s_or_b32 s4, s16, 64
	s_ashr_i32 s12, s4, 5
	s_cmp_lt_i32 s4, s18
	s_cselect_b32 s24, s12, s3
	s_delay_alu instid0(SALU_CYCLE_1) | instskip(NEXT) | instid1(SALU_CYCLE_1)
	s_ashr_i32 s25, s24, 31
	s_lshl_b64 s[24:25], s[24:25], 2
	s_delay_alu instid0(SALU_CYCLE_1) | instskip(SKIP_2) | instid1(SALU_CYCLE_1)
	s_add_u32 s24, s17, s24
	s_addc_u32 s25, s13, s25
	s_or_b32 s4, s16, 0x60
	;; [unrolled: 10-line block ×4, first 2 shown]
	s_ashr_i32 s12, s4, 5
	s_cmp_lt_i32 s4, s18
	s_cselect_b32 s30, s12, s3
	s_delay_alu instid0(SALU_CYCLE_1) | instskip(NEXT) | instid1(SALU_CYCLE_1)
	s_ashr_i32 s31, s30, 31
	s_lshl_b64 s[30:31], s[30:31], 2
	s_delay_alu instid0(SALU_CYCLE_1)
	s_add_u32 s30, s17, s30
	s_addc_u32 s31, s13, s31
	s_clause 0x5
	s_load_b32 s12, s[6:7], 0x0
	s_load_b32 s4, s[8:9], 0x0
	;; [unrolled: 1-line block ×6, first 2 shown]
	s_or_b32 s21, s16, 0xc0
	s_waitcnt vmcnt(1)
	v_mad_i64_i32 v[1:2], null, v5, s5, s[22:23]
	v_lshlrev_b32_e32 v5, 4, v68
	s_waitcnt vmcnt(0)
	v_mad_i64_i32 v[3:4], null, v6, s5, s[22:23]
	s_ashr_i32 s22, s21, 5
	s_cmp_lt_i32 s21, s18
	s_delay_alu instid0(VALU_DEP_3) | instskip(NEXT) | instid1(VALU_DEP_4)
	v_add_co_u32 v1, vcc_lo, v1, v5
	v_add_co_ci_u32_e32 v2, vcc_lo, 0, v2, vcc_lo
	s_delay_alu instid0(VALU_DEP_3) | instskip(NEXT) | instid1(VALU_DEP_4)
	v_add_co_u32 v3, vcc_lo, v3, v5
	v_add_co_ci_u32_e32 v4, vcc_lo, 0, v4, vcc_lo
	s_clause 0x7
	global_load_b128 v[71:74], v[1:2], off
	global_load_b128 v[75:78], v[1:2], off offset:512
	global_load_b128 v[79:82], v[3:4], off offset:256
	;; [unrolled: 1-line block ×7, first 2 shown]
	s_cselect_b32 s22, s22, s3
	v_lshlrev_b32_e32 v1, 5, v68
	s_ashr_i32 s23, s22, 31
	v_cmp_gt_i32_e32 vcc_lo, 32, v128
	s_lshl_b64 s[22:23], s[22:23], 2
	v_and_b32_e32 v103, 0xff, v103
	s_add_u32 s22, s17, s22
	s_addc_u32 s23, s13, s23
	v_cndmask_b32_e32 v136, v127, v128, vcc_lo
	s_or_b32 s21, s16, 0xe0
	v_lshl_or_b32 v1, v69, 9, v1
	s_ashr_i32 s24, s21, 5
	s_cmp_lt_i32 s21, s18
	v_lshlrev_b32_e32 v115, 6, v103
	s_cselect_b32 s24, s24, s3
	s_load_b32 s3, s[22:23], 0x0
	s_ashr_i32 s25, s24, 31
	s_delay_alu instid0(SALU_CYCLE_1) | instskip(NEXT) | instid1(SALU_CYCLE_1)
	s_lshl_b64 s[24:25], s[24:25], 2
	s_add_u32 s22, s17, s24
	s_addc_u32 s23, s13, s25
	s_add_u32 s10, s10, s15
	s_addc_u32 s11, s11, s20
	v_add_co_u32 v1, s10, s10, v1
	s_delay_alu instid0(VALU_DEP_1) | instskip(SKIP_2) | instid1(VALU_DEP_1)
	v_add_co_ci_u32_e64 v2, null, s11, 0, s10
	s_load_b32 s10, s[22:23], 0x0
	s_waitcnt lgkmcnt(0)
	v_mad_i64_i32 v[3:4], null, s12, s5, v[1:2]
	v_mad_i64_i32 v[9:10], null, s7, s5, v[1:2]
	;; [unrolled: 1-line block ×7, first 2 shown]
	s_clause 0x5
	global_load_b128 v[49:52], v[3:4], off
	global_load_b128 v[53:56], v[3:4], off offset:16
	global_load_b128 v[41:44], v[5:6], off
	global_load_b128 v[45:48], v[5:6], off offset:16
	;; [unrolled: 2-line block ×3, first 2 shown]
	s_mov_b32 s4, 0
	v_mad_i64_i32 v[61:62], null, s10, s5, v[1:2]
	s_clause 0x9
	global_load_b128 v[1:4], v[9:10], off
	global_load_b128 v[5:8], v[9:10], off offset:16
	global_load_b128 v[9:12], v[13:14], off
	global_load_b128 v[13:16], v[13:14], off offset:16
	;; [unrolled: 2-line block ×5, first 2 shown]
	s_mov_b32 s5, s4
	s_mov_b32 s6, s4
	;; [unrolled: 1-line block ×7, first 2 shown]
	v_and_b32_e32 v104, 0xe0, v0
	v_dual_mov_b32 v126, s11 :: v_dual_mov_b32 v123, s8
	v_dual_mov_b32 v125, s10 :: v_dual_mov_b32 v124, s9
	s_delay_alu instid0(VALU_DEP_3)
	v_add_nc_u32_e32 v111, s16, v104
	ds_load_b128 v[103:106], v115
	ds_load_b128 v[107:110], v115 offset:1024
	v_dual_mov_b32 v122, s7 :: v_dual_mov_b32 v121, s6
	v_mov_b32_e32 v120, s5
	v_or_b32_e32 v135, v111, v66
	ds_load_b128 v[111:114], v115 offset:2048
	ds_load_b128 v[115:118], v115 offset:3072
	v_mov_b32_e32 v119, s4
	s_waitcnt vmcnt(0) lgkmcnt(0)
	s_barrier
	v_or_b32_e32 v137, 2, v135
	v_or_b32_e32 v138, 4, v135
	;; [unrolled: 1-line block ×3, first 2 shown]
	v_cmp_gt_i32_e32 vcc_lo, s18, v135
	v_or_b32_e32 v140, 8, v135
	v_cmp_gt_i32_e64 s3, s18, v137
	v_or_b32_e32 v141, 10, v135
	v_cmp_gt_i32_e64 s4, s18, v138
	v_cmp_gt_i32_e64 s5, s18, v139
	v_or_b32_e32 v142, 12, v135
	v_or_b32_e32 v143, 14, v135
	v_cmp_gt_i32_e64 s6, s18, v140
	v_cmp_gt_i32_e64 s7, s18, v141
	v_or_b32_e32 v144, 16, v135
	v_or_b32_e32 v145, 18, v135
	v_cmp_gt_i32_e64 s8, s18, v142
	v_cmp_gt_i32_e64 s9, s18, v143
	buffer_gl0_inv
	v_cmp_gt_i32_e64 s10, s18, v144
	v_cmp_gt_i32_e64 s11, s18, v145
	v_wmma_f32_16x16x16_f16 v[127:134], v[71:78], v[103:110], v[119:126]
	v_wmma_f32_16x16x16_f16 v[119:126], v[79:86], v[103:110], v[119:126]
	v_or_b32_e32 v71, 20, v135
	v_or_b32_e32 v72, 22, v135
	s_delay_alu instid0(VALU_DEP_4)
	v_wmma_f32_16x16x16_f16 v[127:134], v[87:94], v[111:118], v[127:134]
	v_or_b32_e32 v73, 24, v135
	v_wmma_f32_16x16x16_f16 v[119:126], v[95:102], v[111:118], v[119:126]
	v_or_b32_e32 v74, 26, v135
	v_cmp_gt_i32_e64 s12, s18, v71
	v_dual_mul_f32 v84, s19, v127 :: v_dual_mul_f32 v83, s19, v128
	s_delay_alu instid0(VALU_DEP_4) | instskip(SKIP_2) | instid1(VALU_DEP_4)
	v_dual_mul_f32 v92, s19, v119 :: v_dual_mul_f32 v81, s19, v130
	v_mul_f32_e32 v90, s19, v121
	v_mul_f32_e32 v82, s19, v129
	v_cndmask_b32_e32 v84, 0xff7fffff, v84, vcc_lo
	v_cndmask_b32_e64 v83, 0xff7fffff, v83, s3
	v_dual_mul_f32 v79, s19, v132 :: v_dual_mul_f32 v88, s19, v123
	v_mul_f32_e32 v80, s19, v131
	v_cndmask_b32_e64 v82, 0xff7fffff, v82, s4
	v_cndmask_b32_e64 v81, 0xff7fffff, v81, s5
	v_max3_f32 v83, v84, 0xff7fffff, v83
	v_dual_mul_f32 v77, s19, v134 :: v_dual_mul_f32 v86, s19, v125
	v_mul_f32_e32 v78, s19, v133
	v_cndmask_b32_e64 v80, 0xff7fffff, v80, s6
	v_cndmask_b32_e64 v79, 0xff7fffff, v79, s7
	v_max3_f32 v81, v83, v82, v81
	v_mul_f32_e32 v91, s19, v120
	v_cndmask_b32_e64 v78, 0xff7fffff, v78, s8
	v_cndmask_b32_e64 v77, 0xff7fffff, v77, s9
	v_mul_f32_e32 v89, s19, v122
	v_max3_f32 v79, v81, v80, v79
	v_cndmask_b32_e64 v80, 0xff7fffff, v92, s10
	v_cndmask_b32_e64 v81, 0xff7fffff, v91, s11
	v_cmp_gt_i32_e64 s13, s18, v72
	v_or_b32_e32 v75, 28, v135
	v_max3_f32 v77, v79, v78, v77
	v_or_b32_e32 v76, 30, v135
	v_mul_f32_e32 v87, s19, v124
	v_cndmask_b32_e64 v71, 0xff7fffff, v90, s12
	v_cndmask_b32_e64 v72, 0xff7fffff, v89, s13
	v_max3_f32 v77, v77, v80, v81
	v_cmp_gt_i32_e64 s15, s18, v73
	v_cmp_gt_i32_e64 s16, s18, v74
	v_mul_f32_e32 v85, s19, v126
	v_cmp_gt_i32_e64 s17, s18, v75
	v_max3_f32 v71, v77, v71, v72
	v_cndmask_b32_e64 v73, 0xff7fffff, v88, s15
	v_cndmask_b32_e64 v74, 0xff7fffff, v87, s16
	v_cmp_gt_i32_e64 s18, s18, v76
	v_cndmask_b32_e64 v72, 0xff7fffff, v86, s17
	s_delay_alu instid0(VALU_DEP_3) | instskip(NEXT) | instid1(VALU_DEP_3)
	v_max3_f32 v71, v71, v73, v74
	v_cndmask_b32_e64 v75, 0xff7fffff, v85, s18
	v_lshlrev_b32_e32 v73, 2, v136
	s_delay_alu instid0(VALU_DEP_2) | instskip(SKIP_3) | instid1(VALU_DEP_1)
	v_max3_f32 v71, v71, v72, v75
	ds_bpermute_b32 v72, v73, v71
	s_waitcnt lgkmcnt(0)
	v_max_f32_e32 v72, v72, v72
	v_max_f32_e32 v71, v71, v72
	s_delay_alu instid0(VALU_DEP_1) | instskip(SKIP_2) | instid1(VALU_DEP_3)
	v_fma_f32 v72, s19, v127, -v71
	v_fma_f32 v74, s19, v128, -v71
	;; [unrolled: 1-line block ×3, first 2 shown]
	v_mul_f32_e32 v72, 0x3fb8aa3b, v72
	s_delay_alu instid0(VALU_DEP_2) | instskip(NEXT) | instid1(VALU_DEP_2)
	v_dual_mul_f32 v74, 0x3fb8aa3b, v74 :: v_dual_mul_f32 v75, 0x3fb8aa3b, v75
	v_exp_f32_e32 v72, v72
	s_delay_alu instid0(VALU_DEP_1) | instskip(NEXT) | instid1(VALU_DEP_1)
	v_exp_f32_e32 v74, v74
	v_exp_f32_e32 v75, v75
	s_delay_alu instid0(TRANS32_DEP_3)
	v_cndmask_b32_e32 v79, 0, v72, vcc_lo
	s_waitcnt_depctr 0xfff
	v_cndmask_b32_e64 v78, 0, v74, s3
	v_cndmask_b32_e64 v81, 0, v75, s4
	v_cmp_gt_u32_e64 s3, 16, v70
	v_add_f32_e32 v74, 0, v79
	s_delay_alu instid0(VALU_DEP_1) | instskip(NEXT) | instid1(VALU_DEP_1)
	v_add_f32_e32 v74, v74, v78
	v_add_f32_e32 v74, v74, v81
	v_fma_f32 v76, s19, v130, -v71
	v_fma_f32 v77, s19, v131, -v71
	;; [unrolled: 1-line block ×5, first 2 shown]
	s_delay_alu instid0(VALU_DEP_4) | instskip(NEXT) | instid1(VALU_DEP_4)
	v_dual_mul_f32 v76, 0x3fb8aa3b, v76 :: v_dual_mul_f32 v77, 0x3fb8aa3b, v77
	v_mul_f32_e32 v72, 0x3fb8aa3b, v72
	s_delay_alu instid0(VALU_DEP_4) | instskip(SKIP_1) | instid1(VALU_DEP_4)
	v_mul_f32_e32 v82, 0x3fb8aa3b, v80
	v_fma_f32 v86, s19, v122, -v71
	v_exp_f32_e32 v76, v76
	v_exp_f32_e32 v77, v77
	;; [unrolled: 1-line block ×4, first 2 shown]
	v_mul_f32_e32 v86, 0x3fb8aa3b, v86
	s_delay_alu instid0(VALU_DEP_1)
	v_exp_f32_e32 v88, v86
	v_cndmask_b32_e64 v80, 0, v76, s5
	v_mul_f32_e32 v75, 0x3fb8aa3b, v75
	v_fma_f32 v76, s19, v119, -v71
	v_cndmask_b32_e64 v83, 0, v77, s6
	v_fma_f32 v77, s19, v120, -v71
	v_add_f32_e32 v74, v74, v80
	v_exp_f32_e32 v75, v75
	v_mul_f32_e32 v76, 0x3fb8aa3b, v76
	v_cndmask_b32_e64 v82, 0, v72, s7
	s_delay_alu instid0(VALU_DEP_3) | instskip(SKIP_1) | instid1(VALU_DEP_4)
	v_dual_mul_f32 v77, 0x3fb8aa3b, v77 :: v_dual_add_f32 v72, v74, v83
	v_fma_f32 v74, s19, v121, -v71
	v_exp_f32_e32 v76, v76
	v_cndmask_b32_e64 v85, 0, v84, s8
	s_delay_alu instid0(VALU_DEP_3) | instskip(SKIP_1) | instid1(TRANS32_DEP_3)
	v_exp_f32_e32 v77, v77
	v_cndmask_b32_e64 v88, 0, v88, s13
	v_cndmask_b32_e64 v84, 0, v75, s9
	v_fma_f32 v75, s19, v123, -v71
	v_add_f32_e32 v72, v72, v82
	s_delay_alu instid0(VALU_DEP_2) | instskip(NEXT) | instid1(VALU_DEP_2)
	v_dual_mul_f32 v74, 0x3fb8aa3b, v74 :: v_dual_mul_f32 v75, 0x3fb8aa3b, v75
	v_add_f32_e32 v72, v72, v85
	s_delay_alu instid0(VALU_DEP_2)
	v_exp_f32_e32 v74, v74
	v_cndmask_b32_e64 v87, 0, v76, s10
	v_fma_f32 v76, s19, v124, -v71
	v_cndmask_b32_e64 v86, 0, v77, s11
	v_add_f32_e32 v72, v72, v84
	v_fma_f32 v77, s19, v125, -v71
	v_exp_f32_e32 v75, v75
	v_mul_f32_e32 v76, 0x3fb8aa3b, v76
	s_delay_alu instid0(VALU_DEP_3) | instskip(NEXT) | instid1(TRANS32_DEP_2)
	v_add_f32_e32 v72, v72, v87
	v_cndmask_b32_e64 v89, 0, v74, s12
	v_mul_f32_e32 v74, 0x3fb8aa3b, v77
	s_delay_alu instid0(VALU_DEP_4) | instskip(SKIP_2) | instid1(VALU_DEP_3)
	v_exp_f32_e32 v76, v76
	v_fma_f32 v77, s19, v126, -v71
	v_add_f32_e32 v72, v72, v86
	v_exp_f32_e32 v74, v74
	s_delay_alu instid0(TRANS32_DEP_3) | instskip(NEXT) | instid1(VALU_DEP_3)
	v_cndmask_b32_e64 v91, 0, v75, s15
	v_mul_f32_e32 v75, 0x3fb8aa3b, v77
	s_delay_alu instid0(VALU_DEP_3) | instskip(NEXT) | instid1(TRANS32_DEP_2)
	v_add_f32_e32 v72, v72, v89
	v_cndmask_b32_e64 v90, 0, v76, s16
	s_delay_alu instid0(VALU_DEP_3) | instskip(NEXT) | instid1(VALU_DEP_2)
	v_exp_f32_e32 v75, v75
	v_add_f32_e32 v72, v72, v88
	s_delay_alu instid0(TRANS32_DEP_2) | instskip(NEXT) | instid1(VALU_DEP_2)
	v_cndmask_b32_e64 v93, 0, v74, s17
	v_add_f32_e32 v72, v72, v91
	s_waitcnt_depctr 0xfff
	v_cndmask_b32_e64 v92, 0, v75, s18
	v_add_f32_e32 v72, v72, v90
	s_delay_alu instid0(VALU_DEP_1) | instskip(NEXT) | instid1(VALU_DEP_1)
	v_add_f32_e32 v72, v72, v93
	v_add_f32_e32 v72, v72, v92
	ds_bpermute_b32 v73, v73, v72
	s_and_saveexec_b32 s4, s3
	s_cbranch_execz .LBB1168_12
; %bb.11:
	v_mul_u32_u24_e32 v70, 0x44, v69
	s_waitcnt lgkmcnt(0)
	v_add_f32_e32 v72, v72, v73
	s_delay_alu instid0(VALU_DEP_2) | instskip(NEXT) | instid1(VALU_DEP_1)
	v_lshl_add_u32 v70, v68, 2, v70
	v_add_nc_u32_e32 v70, 0x4000, v70
	ds_store_2addr_b32 v70, v71, v72 offset1:136
.LBB1168_12:
	s_or_b32 exec_lo, exec_lo, s4
	v_lshlrev_b32_e32 v70, 2, v68
	s_load_b32 s36, s[0:1], 0x94
	s_waitcnt lgkmcnt(0)
	s_barrier
	buffer_gl0_inv
	v_add_nc_u32_e32 v98, 0x4000, v70
	v_cmp_eq_u32_e32 vcc_lo, 1, v69
	v_cmp_eq_u32_e64 s4, 2, v69
	v_cmp_eq_u32_e64 s5, 3, v69
	;; [unrolled: 1-line block ×3, first 2 shown]
	ds_load_2addr_b32 v[70:71], v98 offset1:17
	ds_load_2addr_b32 v[72:73], v98 offset0:34 offset1:51
	ds_load_2addr_b32 v[74:75], v98 offset0:68 offset1:85
	;; [unrolled: 1-line block ×3, first 2 shown]
	v_cmp_eq_u32_e64 s7, 5, v69
	v_cmp_eq_u32_e64 s8, 7, v69
	s_waitcnt lgkmcnt(3)
	v_max3_f32 v76, v70, 0xff7fffff, v71
	s_waitcnt lgkmcnt(2)
	s_delay_alu instid0(VALU_DEP_1) | instskip(SKIP_1) | instid1(VALU_DEP_1)
	v_max3_f32 v76, v76, v72, v73
	s_waitcnt lgkmcnt(1)
	v_max3_f32 v76, v76, v74, v75
	s_waitcnt lgkmcnt(0)
	s_delay_alu instid0(VALU_DEP_1) | instskip(NEXT) | instid1(VALU_DEP_1)
	v_max3_f32 v76, v76, v94, v95
	v_sub_f32_e32 v77, v71, v76
	ds_load_2addr_b32 v[96:97], v98 offset0:136 offset1:153
	v_sub_f32_e32 v74, v74, v76
	v_sub_f32_e32 v70, v70, v76
	;; [unrolled: 1-line block ×3, first 2 shown]
	v_dual_sub_f32 v72, v72, v76 :: v_dual_mul_f32 v77, 0x3fb8aa3b, v77
	s_delay_alu instid0(VALU_DEP_4) | instskip(NEXT) | instid1(VALU_DEP_4)
	v_mul_f32_e32 v103, 0x3fb8aa3b, v74
	v_mul_f32_e32 v99, 0x3fb8aa3b, v70
	ds_load_2addr_b32 v[70:71], v98 offset0:170 offset1:187
	v_dual_mul_f32 v101, 0x3fb8aa3b, v72 :: v_dual_mul_f32 v94, 0x3fb8aa3b, v94
	v_exp_f32_e32 v102, v77
	v_exp_f32_e32 v99, v99
	s_delay_alu instid0(VALU_DEP_1) | instskip(NEXT) | instid1(VALU_DEP_1)
	v_exp_f32_e32 v101, v101
	v_exp_f32_e32 v94, v94
	s_waitcnt lgkmcnt(1)
	s_delay_alu instid0(TRANS32_DEP_3)
	v_fma_f32 v77, v99, v96, 0
	v_sub_f32_e32 v100, v73, v76
	ds_load_2addr_b32 v[72:73], v98 offset0:204 offset1:221
	v_fmac_f32_e32 v77, v102, v97
	v_exp_f32_e32 v97, v103
	s_waitcnt lgkmcnt(1)
	s_delay_alu instid0(VALU_DEP_1)
	v_dual_fmac_f32 v77, v101, v70 :: v_dual_sub_f32 v96, v75, v76
	ds_load_2addr_b32 v[74:75], v98 offset0:238 offset1:255
	v_sub_f32_e32 v70, v95, v76
	s_waitcnt lgkmcnt(0)
	s_barrier
	v_mul_f32_e32 v96, 0x3fb8aa3b, v96
	buffer_gl0_inv
	v_exp_f32_e32 v95, v96
	v_mul_f32_e32 v100, 0x3fb8aa3b, v100
	s_delay_alu instid0(VALU_DEP_1) | instskip(SKIP_3) | instid1(VALU_DEP_2)
	v_exp_f32_e32 v100, v100
	s_waitcnt_depctr 0xfff
	v_dual_fmac_f32 v77, v100, v71 :: v_dual_mul_f32 v70, 0x3fb8aa3b, v70
	v_cndmask_b32_e32 v71, v99, v102, vcc_lo
	v_fmac_f32_e32 v77, v97, v72
	s_delay_alu instid0(VALU_DEP_3) | instskip(NEXT) | instid1(VALU_DEP_1)
	v_exp_f32_e32 v96, v70
	v_fmac_f32_e32 v77, v95, v73
	s_delay_alu instid0(VALU_DEP_1) | instskip(SKIP_2) | instid1(VALU_DEP_1)
	v_fmac_f32_e32 v77, v94, v74
	s_waitcnt_depctr 0xfff
	v_fmac_f32_e32 v77, v96, v75
	v_add_f32_e32 v74, 0x358637bd, v77
	s_delay_alu instid0(VALU_DEP_1) | instskip(SKIP_1) | instid1(VALU_DEP_2)
	v_div_scale_f32 v98, null, v74, v74, 1.0
	v_div_scale_f32 v99, vcc_lo, 1.0, v74, 1.0
	v_rcp_f32_e32 v103, v98
	s_waitcnt_depctr 0xfff
	v_fma_f32 v70, -v98, v103, 1.0
	s_delay_alu instid0(VALU_DEP_1) | instskip(SKIP_2) | instid1(VALU_DEP_2)
	v_fmac_f32_e32 v103, v70, v103
	v_cndmask_b32_e64 v70, v71, v101, s4
	v_cmp_eq_u32_e64 s4, 6, v69
	v_cndmask_b32_e64 v71, v70, v100, s5
	s_delay_alu instid0(VALU_DEP_4) | instskip(NEXT) | instid1(VALU_DEP_2)
	v_dual_mul_f32 v101, v99, v103 :: v_dual_lshlrev_b32 v70, 2, v66
	v_cndmask_b32_e64 v71, v71, v97, s6
	s_delay_alu instid0(VALU_DEP_2) | instskip(NEXT) | instid1(VALU_DEP_3)
	v_or_b32_e32 v72, 1, v70
	v_fma_f32 v100, -v98, v101, v99
	v_cmp_eq_u32_e64 s5, 1, v70
	v_cmp_eq_u32_e64 s6, 2, v70
	v_cndmask_b32_e64 v95, v71, v95, s7
	v_or_b32_e32 v71, 3, v70
	v_fmac_f32_e32 v101, v100, v103
	v_cmp_eq_u32_e64 s10, 1, v72
	v_cmp_eq_u32_e64 s13, 2, v72
	v_cndmask_b32_e64 v94, v95, v94, s4
	v_cmp_eq_u32_e64 s12, 1, v71
	v_fma_f32 v97, -v98, v101, v99
	v_cmp_eq_u32_e64 s17, 2, v71
	v_cmp_eq_u32_e64 s15, 3, v72
	v_cndmask_b32_e64 v94, v94, v96, s8
	v_cmp_eq_u32_e64 s19, 3, v71
	v_div_fmas_f32 v95, v97, v103, v101
	v_cmp_eq_u32_e32 vcc_lo, 3, v70
	v_cmp_eq_u32_e64 s4, 4, v70
	v_cmp_eq_u32_e64 s20, 4, v72
	;; [unrolled: 1-line block ×3, first 2 shown]
	v_div_fixup_f32 v95, v95, v74, 1.0
	v_lshlrev_b32_e32 v73, 6, v68
	v_cmp_eq_u32_e64 s7, 5, v70
	v_cmp_eq_u32_e64 s21, 5, v72
	;; [unrolled: 1-line block ×3, first 2 shown]
	v_mul_f32_e32 v102, v94, v95
	v_lshl_or_b32 v75, v69, 11, v73
	v_or_b32_e32 v69, 2, v70
	v_cmp_eq_u32_e64 s26, 6, v72
	v_cmp_eq_u32_e64 s28, 6, v71
	v_fma_mixlo_f16 v94, v102, v79, 0
	v_fma_mixlo_f16 v95, v102, v81, 0
	;; [unrolled: 1-line block ×8, first 2 shown]
	v_lshl_or_b32 v74, v66, 4, v75
	v_fma_mixhi_f16 v94, v102, v78, 0
	v_fma_mixhi_f16 v95, v102, v80, 0
	;; [unrolled: 1-line block ×8, first 2 shown]
	ds_store_b128 v74, v[94:97]
	ds_store_b128 v74, v[98:101] offset:1024
	s_waitcnt lgkmcnt(0)
	s_barrier
	buffer_gl0_inv
	ds_load_b128 v[78:81], v75
	ds_load_b128 v[82:85], v75 offset:16
	ds_load_b128 v[86:89], v75 offset:1024
	;; [unrolled: 1-line block ×3, first 2 shown]
	v_cmp_eq_u32_e64 s11, 1, v69
	v_cmp_eq_u32_e64 s16, 2, v69
	v_cmp_eq_u32_e64 s18, 3, v69
	v_cmp_eq_u32_e64 s22, 4, v69
	v_cmp_eq_u32_e64 s24, 5, v69
	v_cmp_eq_u32_e64 s8, 6, v70
	v_cmp_eq_u32_e64 s27, 6, v69
	v_cmp_eq_u32_e64 s30, 7, v71
	v_cmp_eq_u32_e64 s31, 7, v72
	v_cmp_eq_u32_e64 s9, 7, v70
	v_cmp_eq_u32_e64 s29, 7, v69
	s_waitcnt lgkmcnt(3)
	v_lshrrev_b32_e32 v94, 16, v78
	s_waitcnt lgkmcnt(2)
	v_lshrrev_b32_e32 v98, 16, v82
	;; [unrolled: 2-line block ×4, first 2 shown]
	v_lshrrev_b32_e32 v95, 16, v79
	v_cndmask_b32_e64 v110, v78, v94, s5
	v_cndmask_b32_e64 v111, v82, v98, s5
	;; [unrolled: 1-line block ×8, first 2 shown]
	v_lshrrev_b32_e32 v99, 16, v83
	v_cndmask_b32_e64 v94, v86, v102, s5
	v_cndmask_b32_e64 v98, v90, v106, s5
	;; [unrolled: 1-line block ×15, first 2 shown]
	v_lshrrev_b32_e32 v103, 16, v87
	v_lshrrev_b32_e32 v107, 16, v91
	v_cndmask_b32_e64 v113, v115, v83, s16
	v_cndmask_b32_e64 v82, v94, v87, s6
	;; [unrolled: 1-line block ×7, first 2 shown]
	v_cndmask_b32_e32 v90, v102, v95, vcc_lo
	v_cndmask_b32_e32 v102, v106, v99, vcc_lo
	v_cndmask_b32_e64 v106, v110, v95, s15
	v_cndmask_b32_e64 v110, v111, v99, s15
	;; [unrolled: 1-line block ×4, first 2 shown]
	v_lshrrev_b32_e32 v96, 16, v80
	v_lshrrev_b32_e32 v100, 16, v84
	v_cndmask_b32_e64 v111, v112, v95, s18
	v_cndmask_b32_e64 v112, v113, v99, s18
	v_cndmask_b32_e32 v82, v82, v103, vcc_lo
	v_cndmask_b32_e32 v83, v83, v107, vcc_lo
	v_cndmask_b32_e64 v94, v94, v103, s15
	v_cndmask_b32_e64 v90, v90, v80, s4
	;; [unrolled: 1-line block ×7, first 2 shown]
	v_lshrrev_b32_e32 v104, 16, v88
	v_cndmask_b32_e64 v106, v111, v80, s22
	v_cndmask_b32_e64 v110, v112, v84, s22
	;; [unrolled: 1-line block ×11, first 2 shown]
	v_lshrrev_b32_e32 v97, 16, v81
	v_lshrrev_b32_e32 v101, 16, v85
	v_cndmask_b32_e64 v99, v106, v96, s24
	v_cndmask_b32_e64 v102, v110, v100, s24
	;; [unrolled: 1-line block ×7, first 2 shown]
	v_lshrrev_b32_e32 v105, 16, v89
	v_cndmask_b32_e64 v80, v80, v104, s7
	v_cndmask_b32_e64 v84, v84, v81, s8
	;; [unrolled: 1-line block ×16, first 2 shown]
	v_perm_b32 v81, v79, v78, 0x5040100
	v_perm_b32 v79, v95, v85, 0x5040100
	v_cndmask_b32_e64 v78, v119, v91, s16
	v_cndmask_b32_e64 v85, v117, v91, s13
	;; [unrolled: 1-line block ×3, first 2 shown]
	v_perm_b32 v80, v94, v90, 0x5040100
	v_cndmask_b32_e64 v90, v98, v103, s18
	v_cndmask_b32_e64 v86, v86, v103, s19
	;; [unrolled: 1-line block ×5, first 2 shown]
	v_lshrrev_b32_e32 v108, 16, v92
	v_cndmask_b32_e64 v90, v90, v88, s22
	v_cndmask_b32_e64 v86, v86, v88, s23
	;; [unrolled: 1-line block ×11, first 2 shown]
	v_lshrrev_b32_e32 v109, 16, v93
	v_cndmask_b32_e64 v82, v82, v93, s8
	v_cndmask_b32_e64 v88, v88, v89, s27
	;; [unrolled: 1-line block ×12, first 2 shown]
	v_perm_b32 v78, v84, v83, 0x5040100
	v_perm_b32 v85, v87, v86, 0x5040100
	;; [unrolled: 1-line block ×5, first 2 shown]
	s_mul_i32 s9, s35, 3
	s_mov_b32 s4, exec_lo
	ds_store_b128 v74, v[78:81]
	ds_store_b128 v74, v[82:85] offset:1024
	v_cmpx_gt_u32_e32 3, v0
	s_cbranch_execz .LBB1168_14
; %bb.13:
	s_mul_i32 s5, s9, s34
	s_load_b128 s[16:19], s[0:1], 0x58
	v_add3_u32 v68, s5, s33, v68
	s_delay_alu instid0(VALU_DEP_1) | instskip(NEXT) | instid1(VALU_DEP_1)
	v_mad_u64_u32 v[78:79], null, v68, s36, s[14:15]
	v_ashrrev_i32_e32 v79, 31, v78
	s_delay_alu instid0(VALU_DEP_1) | instskip(SKIP_1) | instid1(VALU_DEP_1)
	v_lshlrev_b64 v[78:79], 2, v[78:79]
	s_waitcnt lgkmcnt(0)
	v_add_co_u32 v80, vcc_lo, s18, v78
	s_delay_alu instid0(VALU_DEP_2)
	v_add_co_ci_u32_e32 v81, vcc_lo, s19, v79, vcc_lo
	v_add_co_u32 v78, vcc_lo, s16, v78
	v_add_co_ci_u32_e32 v79, vcc_lo, s17, v79, vcc_lo
	global_store_b32 v[80:81], v76, off
	global_store_b32 v[78:79], v77, off
.LBB1168_14:
	s_or_b32 exec_lo, exec_lo, s4
	s_waitcnt lgkmcnt(0)
	s_waitcnt_vscnt null, 0x0
	s_barrier
	buffer_gl0_inv
	ds_load_b128 v[84:87], v73
	ds_load_b128 v[88:91], v73 offset:16
	ds_load_b128 v[96:99], v73 offset:2064
	;; [unrolled: 1-line block ×5, first 2 shown]
	v_cmp_eq_u32_e32 vcc_lo, 1, v70
	v_mov_b32_e32 v76, 0
	ds_load_b128 v[112:115], v73 offset:6160
	ds_load_b128 v[108:111], v73 offset:6144
	;; [unrolled: 1-line block ×4, first 2 shown]
	v_cmp_eq_u32_e64 s5, 1, v69
	v_cmp_eq_u32_e64 s4, 1, v72
	v_cmp_eq_u32_e64 s6, 2, v72
	v_mov_b32_e32 v77, v76
	v_mov_b32_e32 v78, v76
	;; [unrolled: 1-line block ×7, first 2 shown]
	v_cmp_eq_u32_e64 s7, 3, v72
	v_cmp_eq_u32_e64 s8, 7, v72
	s_waitcnt lgkmcnt(8)
	s_delay_alu instid0(VALU_DEP_3)
	v_wmma_f32_16x16x16_f16 v[76:83], v[49:56], v[84:91], v[76:83]
	ds_load_b128 v[53:56], v73 offset:10256
	ds_load_b128 v[49:52], v73 offset:10240
	s_waitcnt lgkmcnt(8)
	v_wmma_f32_16x16x16_f16 v[76:83], v[41:48], v[92:99], v[76:83]
	ds_load_b128 v[45:48], v73 offset:12304
	ds_load_b128 v[41:44], v73 offset:12288
	s_waitcnt lgkmcnt(8)
	;; [unrolled: 4-line block ×3, first 2 shown]
	s_barrier
	buffer_gl0_inv
	v_wmma_f32_16x16x16_f16 v[76:83], v[1:8], v[108:115], v[76:83]
	s_delay_alu instid0(VALU_DEP_1) | instskip(NEXT) | instid1(VALU_DEP_1)
	v_wmma_f32_16x16x16_f16 v[76:83], v[9:16], v[116:123], v[76:83]
	v_wmma_f32_16x16x16_f16 v[76:83], v[17:24], v[49:56], v[76:83]
	s_delay_alu instid0(VALU_DEP_1) | instskip(NEXT) | instid1(VALU_DEP_1)
	v_wmma_f32_16x16x16_f16 v[76:83], v[25:32], v[41:48], v[76:83]
	v_wmma_f32_16x16x16_f16 v[76:83], v[57:64], v[33:40], v[76:83]
	s_delay_alu instid0(VALU_DEP_1) | instskip(NEXT) | instid1(VALU_DEP_2)
	v_cvt_f16_f32_e32 v1, v76
	v_cvt_f16_f32_e32 v2, v77
	s_delay_alu instid0(VALU_DEP_3) | instskip(NEXT) | instid1(VALU_DEP_4)
	v_cvt_f16_f32_e32 v3, v78
	v_cvt_f16_f32_e32 v4, v79
	;; [unrolled: 1-line block ×6, first 2 shown]
	v_pack_b32_f16 v1, v1, v2
	v_pack_b32_f16 v2, v3, v4
	;; [unrolled: 1-line block ×3, first 2 shown]
	s_delay_alu instid0(VALU_DEP_4)
	v_pack_b32_f16 v4, v7, v8
	ds_store_b128 v74, v[1:4]
	s_waitcnt lgkmcnt(0)
	s_barrier
	buffer_gl0_inv
	ds_load_b128 v[1:4], v75
	ds_load_b128 v[5:8], v75 offset:16
	s_waitcnt lgkmcnt(1)
	v_lshrrev_b32_e32 v9, 16, v1
	s_waitcnt lgkmcnt(0)
	v_lshrrev_b32_e32 v13, 16, v5
	v_lshrrev_b32_e32 v10, 16, v2
	;; [unrolled: 1-line block ×4, first 2 shown]
	v_cndmask_b32_e32 v17, v1, v9, vcc_lo
	v_cndmask_b32_e32 v18, v5, v13, vcc_lo
	v_cndmask_b32_e64 v21, v1, v9, s5
	v_cmp_eq_u32_e32 vcc_lo, 1, v71
	v_cndmask_b32_e64 v22, v5, v13, s5
	v_cmp_eq_u32_e64 s5, 2, v70
	v_cndmask_b32_e64 v19, v1, v9, s4
	v_cndmask_b32_e64 v20, v5, v13, s4
	v_cndmask_b32_e32 v1, v1, v9, vcc_lo
	v_cmp_eq_u32_e64 s4, 2, v71
	v_cndmask_b32_e32 v5, v5, v13, vcc_lo
	v_cndmask_b32_e64 v9, v17, v2, s5
	v_cmp_eq_u32_e32 vcc_lo, 3, v70
	v_cndmask_b32_e64 v13, v18, v6, s5
	v_cmp_eq_u32_e64 s5, 2, v69
	v_cndmask_b32_e64 v17, v19, v2, s6
	v_cndmask_b32_e64 v18, v20, v6, s6
	v_cmp_eq_u32_e64 s6, 3, v69
	v_cndmask_b32_e64 v1, v1, v2, s4
	v_cndmask_b32_e64 v19, v21, v2, s5
	;; [unrolled: 1-line block ×4, first 2 shown]
	v_cndmask_b32_e32 v5, v9, v10, vcc_lo
	v_cndmask_b32_e32 v6, v13, v14, vcc_lo
	v_cmp_eq_u32_e32 vcc_lo, 3, v71
	v_cndmask_b32_e64 v9, v17, v10, s7
	v_cndmask_b32_e64 v13, v18, v14, s7
	;; [unrolled: 1-line block ×3, first 2 shown]
	v_cmp_eq_u32_e64 s5, 4, v70
	v_cndmask_b32_e32 v1, v1, v10, vcc_lo
	v_cndmask_b32_e32 v2, v2, v14, vcc_lo
	v_cmp_eq_u32_e32 vcc_lo, 4, v72
	v_lshrrev_b32_e32 v15, 16, v7
	v_lshrrev_b32_e32 v16, 16, v8
	v_cndmask_b32_e64 v17, v19, v10, s6
	v_cmp_eq_u32_e64 s4, 4, v71
	v_cndmask_b32_e64 v5, v5, v3, s5
	v_cndmask_b32_e64 v6, v6, v7, s5
	v_cndmask_b32_e32 v9, v9, v3, vcc_lo
	v_cmp_eq_u32_e64 s5, 5, v72
	v_cndmask_b32_e32 v10, v13, v7, vcc_lo
	v_cmp_eq_u32_e32 vcc_lo, 4, v69
	v_cmp_eq_u32_e64 s6, 5, v70
	v_cndmask_b32_e64 v2, v2, v7, s4
	v_cndmask_b32_e64 v9, v9, v11, s5
	;; [unrolled: 1-line block ×3, first 2 shown]
	v_cndmask_b32_e32 v13, v17, v3, vcc_lo
	v_cmp_eq_u32_e64 s5, 5, v69
	v_cndmask_b32_e32 v14, v18, v7, vcc_lo
	v_cndmask_b32_e64 v1, v1, v3, s4
	v_cmp_eq_u32_e32 vcc_lo, 5, v71
	v_lshrrev_b32_e32 v12, 16, v4
	v_cndmask_b32_e64 v13, v13, v11, s5
	v_cndmask_b32_e64 v3, v14, v15, s5
	v_cmp_eq_u32_e64 s5, 6, v71
	v_cndmask_b32_e32 v1, v1, v11, vcc_lo
	v_cndmask_b32_e64 v5, v5, v11, s6
	v_cmp_eq_u32_e64 s7, 6, v70
	v_cndmask_b32_e64 v6, v6, v15, s6
	v_cmp_eq_u32_e64 s6, 6, v72
	v_cmp_eq_u32_e64 s4, 6, v69
	v_cndmask_b32_e64 v1, v1, v4, s5
	v_cndmask_b32_e32 v2, v2, v15, vcc_lo
	v_cmp_eq_u32_e32 vcc_lo, 7, v71
	v_cndmask_b32_e64 v5, v5, v4, s7
	v_cndmask_b32_e64 v9, v9, v4, s6
	;; [unrolled: 1-line block ×3, first 2 shown]
	v_cmp_eq_u32_e64 s7, 7, v70
	v_cndmask_b32_e32 v1, v1, v12, vcc_lo
	v_cndmask_b32_e64 v7, v13, v4, s4
	v_cndmask_b32_e64 v3, v3, v8, s4
	;; [unrolled: 1-line block ×3, first 2 shown]
	v_cmp_eq_u32_e64 s4, 7, v69
	v_cndmask_b32_e64 v4, v10, v8, s6
	v_cndmask_b32_e64 v5, v5, v12, s7
	;; [unrolled: 1-line block ×3, first 2 shown]
	v_cndmask_b32_e32 v2, v2, v16, vcc_lo
	v_cndmask_b32_e64 v7, v7, v12, s4
	v_cndmask_b32_e64 v3, v3, v16, s4
	;; [unrolled: 1-line block ×4, first 2 shown]
	v_cmp_gt_u32_e32 vcc_lo, 32, v0
	v_perm_b32 v4, v2, v1, 0x5040100
	v_perm_b32 v3, v3, v7, 0x5040100
	;; [unrolled: 1-line block ×4, first 2 shown]
	s_and_b32 s2, vcc_lo, s2
	ds_store_b128 v74, v[1:4]
	s_waitcnt lgkmcnt(0)
	s_barrier
	buffer_gl0_inv
	s_and_saveexec_b32 s4, s2
	s_cbranch_execz .LBB1168_2
; %bb.15:
	s_load_b64 s[4:5], s[0:1], 0x68
	v_lshlrev_b32_e32 v0, 10, v0
	v_lshlrev_b32_e32 v2, 4, v67
	v_add_nc_u32_e32 v1, s33, v66
	s_lshl_b32 s0, s36, 6
	s_delay_alu instid0(SALU_CYCLE_1) | instskip(NEXT) | instid1(VALU_DEP_2)
	s_mul_i32 s1, s0, s34
	v_and_or_b32 v0, 0x3800, v0, v2
	s_mul_i32 s6, s1, s9
	v_mul_lo_u32 v1, v1, s0
	s_ashr_i32 s7, s6, 31
	s_delay_alu instid0(VALU_DEP_2) | instskip(SKIP_1) | instid1(VALU_DEP_2)
	v_lshl_or_b32 v3, v66, 6, v0
	s_lshl_b64 s[6:7], s[6:7], 1
	v_ashrrev_i32_e32 v2, 31, v1
	ds_load_b128 v[3:6], v3
	s_waitcnt lgkmcnt(0)
	s_add_u32 s1, s4, s6
	s_addc_u32 s2, s5, s7
	s_lshl_b32 s4, s14, 6
	v_lshlrev_b64 v[7:8], 1, v[1:2]
	s_ashr_i32 s5, s4, 31
	s_delay_alu instid0(SALU_CYCLE_1) | instskip(NEXT) | instid1(SALU_CYCLE_1)
	s_lshl_b64 s[4:5], s[4:5], 1
	s_add_u32 s1, s1, s4
	s_addc_u32 s2, s2, s5
	v_add_co_u32 v1, s1, s1, v65
	s_delay_alu instid0(VALU_DEP_1) | instskip(NEXT) | instid1(VALU_DEP_2)
	v_add_co_ci_u32_e64 v2, null, s2, 0, s1
	v_add_co_u32 v7, vcc_lo, v1, v7
	s_delay_alu instid0(VALU_DEP_2)
	v_add_co_ci_u32_e32 v8, vcc_lo, v2, v8, vcc_lo
	global_store_b128 v[7:8], v[3:6], off
	s_and_b32 exec_lo, exec_lo, s3
	s_cbranch_execz .LBB1168_2
; %bb.16:
	ds_load_b128 v[3:6], v0 offset:128
	s_add_i32 s1, s33, 2
	s_delay_alu instid0(SALU_CYCLE_1) | instskip(NEXT) | instid1(SALU_CYCLE_1)
	s_mul_i32 s0, s1, s0
	s_ashr_i32 s1, s0, 31
	s_delay_alu instid0(SALU_CYCLE_1) | instskip(NEXT) | instid1(SALU_CYCLE_1)
	s_lshl_b64 s[0:1], s[0:1], 1
	v_add_co_u32 v0, vcc_lo, v1, s0
	v_add_co_ci_u32_e32 v1, vcc_lo, s1, v2, vcc_lo
	s_waitcnt lgkmcnt(0)
	global_store_b128 v[0:1], v[3:6], off
	s_nop 0
	s_sendmsg sendmsg(MSG_DEALLOC_VGPRS)
	s_endpgm
	.section	.rodata,"a",@progbits
	.p2align	6, 0x0
	.amdhsa_kernel _Z39paged_attention_ll4mi_QKV_mfma16_kernelIDF16_hLN4vllm18Fp8KVCacheDataTypeE1EhLi32ELi64ELi256ELb1ELi3EL8MFMAType0EEvPKT_PKT0_S8_ifPKiSA_SA_iPKfiiiPfSD_PS3_PT2_iSC_SC_
		.amdhsa_group_segment_fixed_size 17472
		.amdhsa_private_segment_fixed_size 0
		.amdhsa_kernarg_size 400
		.amdhsa_user_sgpr_count 13
		.amdhsa_user_sgpr_dispatch_ptr 0
		.amdhsa_user_sgpr_queue_ptr 0
		.amdhsa_user_sgpr_kernarg_segment_ptr 1
		.amdhsa_user_sgpr_dispatch_id 0
		.amdhsa_user_sgpr_private_segment_size 0
		.amdhsa_wavefront_size32 1
		.amdhsa_uses_dynamic_stack 0
		.amdhsa_enable_private_segment 0
		.amdhsa_system_sgpr_workgroup_id_x 1
		.amdhsa_system_sgpr_workgroup_id_y 1
		.amdhsa_system_sgpr_workgroup_id_z 1
		.amdhsa_system_sgpr_workgroup_info 0
		.amdhsa_system_vgpr_workitem_id 0
		.amdhsa_next_free_vgpr 146
		.amdhsa_next_free_sgpr 37
		.amdhsa_reserve_vcc 1
		.amdhsa_float_round_mode_32 0
		.amdhsa_float_round_mode_16_64 0
		.amdhsa_float_denorm_mode_32 3
		.amdhsa_float_denorm_mode_16_64 3
		.amdhsa_dx10_clamp 1
		.amdhsa_ieee_mode 1
		.amdhsa_fp16_overflow 0
		.amdhsa_workgroup_processor_mode 1
		.amdhsa_memory_ordered 1
		.amdhsa_forward_progress 0
		.amdhsa_shared_vgpr_count 0
		.amdhsa_exception_fp_ieee_invalid_op 0
		.amdhsa_exception_fp_denorm_src 0
		.amdhsa_exception_fp_ieee_div_zero 0
		.amdhsa_exception_fp_ieee_overflow 0
		.amdhsa_exception_fp_ieee_underflow 0
		.amdhsa_exception_fp_ieee_inexact 0
		.amdhsa_exception_int_div_zero 0
	.end_amdhsa_kernel
	.section	.text._Z39paged_attention_ll4mi_QKV_mfma16_kernelIDF16_hLN4vllm18Fp8KVCacheDataTypeE1EhLi32ELi64ELi256ELb1ELi3EL8MFMAType0EEvPKT_PKT0_S8_ifPKiSA_SA_iPKfiiiPfSD_PS3_PT2_iSC_SC_,"axG",@progbits,_Z39paged_attention_ll4mi_QKV_mfma16_kernelIDF16_hLN4vllm18Fp8KVCacheDataTypeE1EhLi32ELi64ELi256ELb1ELi3EL8MFMAType0EEvPKT_PKT0_S8_ifPKiSA_SA_iPKfiiiPfSD_PS3_PT2_iSC_SC_,comdat
.Lfunc_end1168:
	.size	_Z39paged_attention_ll4mi_QKV_mfma16_kernelIDF16_hLN4vllm18Fp8KVCacheDataTypeE1EhLi32ELi64ELi256ELb1ELi3EL8MFMAType0EEvPKT_PKT0_S8_ifPKiSA_SA_iPKfiiiPfSD_PS3_PT2_iSC_SC_, .Lfunc_end1168-_Z39paged_attention_ll4mi_QKV_mfma16_kernelIDF16_hLN4vllm18Fp8KVCacheDataTypeE1EhLi32ELi64ELi256ELb1ELi3EL8MFMAType0EEvPKT_PKT0_S8_ifPKiSA_SA_iPKfiiiPfSD_PS3_PT2_iSC_SC_
                                        ; -- End function
	.section	.AMDGPU.csdata,"",@progbits
; Kernel info:
; codeLenInByte = 6420
; NumSgprs: 39
; NumVgprs: 146
; ScratchSize: 0
; MemoryBound: 0
; FloatMode: 240
; IeeeMode: 1
; LDSByteSize: 17472 bytes/workgroup (compile time only)
; SGPRBlocks: 4
; VGPRBlocks: 18
; NumSGPRsForWavesPerEU: 39
; NumVGPRsForWavesPerEU: 146
; Occupancy: 9
; WaveLimiterHint : 1
; COMPUTE_PGM_RSRC2:SCRATCH_EN: 0
; COMPUTE_PGM_RSRC2:USER_SGPR: 13
; COMPUTE_PGM_RSRC2:TRAP_HANDLER: 0
; COMPUTE_PGM_RSRC2:TGID_X_EN: 1
; COMPUTE_PGM_RSRC2:TGID_Y_EN: 1
; COMPUTE_PGM_RSRC2:TGID_Z_EN: 1
; COMPUTE_PGM_RSRC2:TIDIG_COMP_CNT: 0
	.section	.text._Z39paged_attention_ll4mi_QKV_mfma16_kernelIDF16_hLN4vllm18Fp8KVCacheDataTypeE1EhLi32ELi64ELi256ELb1ELi4EL8MFMAType0EEvPKT_PKT0_S8_ifPKiSA_SA_iPKfiiiPfSD_PS3_PT2_iSC_SC_,"axG",@progbits,_Z39paged_attention_ll4mi_QKV_mfma16_kernelIDF16_hLN4vllm18Fp8KVCacheDataTypeE1EhLi32ELi64ELi256ELb1ELi4EL8MFMAType0EEvPKT_PKT0_S8_ifPKiSA_SA_iPKfiiiPfSD_PS3_PT2_iSC_SC_,comdat
	.protected	_Z39paged_attention_ll4mi_QKV_mfma16_kernelIDF16_hLN4vllm18Fp8KVCacheDataTypeE1EhLi32ELi64ELi256ELb1ELi4EL8MFMAType0EEvPKT_PKT0_S8_ifPKiSA_SA_iPKfiiiPfSD_PS3_PT2_iSC_SC_ ; -- Begin function _Z39paged_attention_ll4mi_QKV_mfma16_kernelIDF16_hLN4vllm18Fp8KVCacheDataTypeE1EhLi32ELi64ELi256ELb1ELi4EL8MFMAType0EEvPKT_PKT0_S8_ifPKiSA_SA_iPKfiiiPfSD_PS3_PT2_iSC_SC_
	.globl	_Z39paged_attention_ll4mi_QKV_mfma16_kernelIDF16_hLN4vllm18Fp8KVCacheDataTypeE1EhLi32ELi64ELi256ELb1ELi4EL8MFMAType0EEvPKT_PKT0_S8_ifPKiSA_SA_iPKfiiiPfSD_PS3_PT2_iSC_SC_
	.p2align	8
	.type	_Z39paged_attention_ll4mi_QKV_mfma16_kernelIDF16_hLN4vllm18Fp8KVCacheDataTypeE1EhLi32ELi64ELi256ELb1ELi4EL8MFMAType0EEvPKT_PKT0_S8_ifPKiSA_SA_iPKfiiiPfSD_PS3_PT2_iSC_SC_,@function
_Z39paged_attention_ll4mi_QKV_mfma16_kernelIDF16_hLN4vllm18Fp8KVCacheDataTypeE1EhLi32ELi64ELi256ELb1ELi4EL8MFMAType0EEvPKT_PKT0_S8_ifPKiSA_SA_iPKfiiiPfSD_PS3_PT2_iSC_SC_: ; @_Z39paged_attention_ll4mi_QKV_mfma16_kernelIDF16_hLN4vllm18Fp8KVCacheDataTypeE1EhLi32ELi64ELi256ELb1ELi4EL8MFMAType0EEvPKT_PKT0_S8_ifPKiSA_SA_iPKfiiiPfSD_PS3_PT2_iSC_SC_
; %bb.0:
	s_load_b64 s[2:3], s[0:1], 0x30
	s_mov_b32 s34, s13
	s_waitcnt lgkmcnt(0)
	s_cmp_lg_u64 s[2:3], 0
	s_cselect_b32 s8, -1, 0
	s_ashr_i32 s35, s13, 31
	s_cmp_eq_u64 s[2:3], 0
	s_cbranch_scc1 .LBB1169_3
; %bb.1:
	s_lshl_b64 s[4:5], s[34:35], 2
	s_delay_alu instid0(SALU_CYCLE_1) | instskip(SKIP_4) | instid1(SALU_CYCLE_1)
	s_add_u32 s4, s2, s4
	s_addc_u32 s5, s3, s5
	s_load_b64 s[4:5], s[4:5], 0x0
	s_waitcnt lgkmcnt(0)
	s_sub_i32 s4, s5, s4
	s_cmp_eq_u32 s4, 1
	s_cselect_b32 s4, -1, 0
	s_delay_alu instid0(SALU_CYCLE_1)
	s_and_not1_b32 vcc_lo, exec_lo, s4
	s_cbranch_vccz .LBB1169_4
.LBB1169_2:
	s_endpgm
.LBB1169_3:
.LBB1169_4:
	s_load_b64 s[4:5], s[0:1], 0x28
	s_lshl_b64 s[6:7], s[34:35], 2
	s_waitcnt lgkmcnt(0)
	s_add_u32 s4, s4, s6
	s_addc_u32 s5, s5, s7
	s_lshl_b32 s12, s14, 8
	s_load_b32 s24, s[4:5], 0x0
	s_waitcnt lgkmcnt(0)
	s_cmp_ge_i32 s12, s24
	s_cbranch_scc1 .LBB1169_2
; %bb.5:
	s_clause 0x1
	s_load_b128 s[20:23], s[0:1], 0x8
	s_load_b64 s[4:5], s[0:1], 0x20
	s_and_not1_b32 vcc_lo, exec_lo, s8
	s_cbranch_vccnz .LBB1169_7
; %bb.6:
	s_add_u32 s2, s2, s6
	s_addc_u32 s3, s3, s7
	s_load_b32 s3, s[2:3], 0x0
	s_branch .LBB1169_8
.LBB1169_7:
	s_mov_b32 s3, s34
.LBB1169_8:
	s_load_b128 s[16:19], s[0:1], 0x48
	v_and_b32_e32 v69, 15, v0
	v_cmp_gt_u32_e32 vcc_lo, 64, v0
	v_lshrrev_b32_e32 v68, 5, v0
	v_and_b32_e32 v70, 31, v0
	v_and_b32_e32 v66, 1, v0
	v_lshlrev_b32_e32 v1, 3, v69
	v_cmp_gt_u32_e64 s2, 8, v69
	v_bfe_u32 v67, v0, 4, 1
	s_lshl_b32 s31, s15, 2
	s_delay_alu instid0(VALU_DEP_3) | instskip(NEXT) | instid1(VALU_DEP_3)
	v_lshlrev_b32_e32 v65, 1, v1
	s_and_b32 s7, vcc_lo, s2
	s_delay_alu instid0(SALU_CYCLE_1)
	s_and_saveexec_b32 s6, s7
	s_cbranch_execz .LBB1169_10
; %bb.9:
	v_lshl_or_b32 v5, v68, 1, v67
	s_load_b64 s[8:9], s[0:1], 0x0
	s_waitcnt lgkmcnt(0)
	s_mul_hi_i32 s11, s3, s16
	s_mul_i32 s10, s3, s16
	v_lshlrev_b32_e32 v6, 10, v69
	v_or_b32_e32 v1, s31, v5
	s_lshl_b64 s[10:11], s[10:11], 1
	v_lshlrev_b32_e32 v5, 6, v5
	v_lshlrev_b32_e32 v7, 10, v66
	v_and_b32_e32 v6, 0x3800, v6
	v_lshlrev_b32_e32 v1, 6, v1
	s_delay_alu instid0(VALU_DEP_2) | instskip(NEXT) | instid1(VALU_DEP_2)
	v_or3_b32 v5, v6, v7, v5
	v_ashrrev_i32_e32 v2, 31, v1
	s_delay_alu instid0(VALU_DEP_1) | instskip(SKIP_2) | instid1(VALU_DEP_1)
	v_lshlrev_b64 v[1:2], 1, v[1:2]
	s_add_u32 s3, s8, s10
	s_addc_u32 s7, s9, s11
	v_add_co_u32 v1, vcc_lo, s3, v1
	s_delay_alu instid0(VALU_DEP_2) | instskip(NEXT) | instid1(VALU_DEP_2)
	v_add_co_ci_u32_e32 v2, vcc_lo, s7, v2, vcc_lo
	v_add_co_u32 v1, vcc_lo, v1, v65
	s_delay_alu instid0(VALU_DEP_2)
	v_add_co_ci_u32_e32 v2, vcc_lo, 0, v2, vcc_lo
	global_load_b128 v[1:4], v[1:2], off
	s_waitcnt vmcnt(0)
	ds_store_b128 v5, v[1:4]
.LBB1169_10:
	s_or_b32 exec_lo, exec_lo, s6
	v_and_b32_e32 v1, 0xef, v0
	s_waitcnt lgkmcnt(0)
	s_add_i32 s3, s24, 31
	s_clause 0x1
	s_load_b32 s6, s[0:1], 0x38
	s_load_b32 s33, s[0:1], 0x98
	s_ashr_i32 s7, s3, 31
	v_add_nc_u32_e32 v1, s12, v1
	s_lshr_b32 s7, s7, 27
	s_load_b32 s19, s[0:1], 0x1c
	s_add_i32 s3, s3, s7
	s_waitcnt lgkmcnt(0)
	v_ashrrev_i32_e32 v2, 31, v1
	v_or_b32_e32 v3, 16, v1
	s_ashr_i32 s3, s3, 5
	v_cmp_gt_i32_e32 vcc_lo, s24, v1
	s_add_i32 s3, s3, -1
	v_lshrrev_b32_e32 v2, 27, v2
	s_barrier
	buffer_gl0_inv
	s_mul_i32 s27, s15, s18
	v_add_nc_u32_e32 v4, v1, v2
	s_mul_i32 s6, s34, s6
	s_delay_alu instid0(SALU_CYCLE_1) | instskip(NEXT) | instid1(VALU_DEP_1)
	s_ashr_i32 s7, s6, 31
	v_ashrrev_i32_e32 v4, 5, v4
	v_add_nc_u32_e32 v2, v3, v2
	s_lshl_b64 s[6:7], s[6:7], 2
	s_delay_alu instid0(SALU_CYCLE_1) | instskip(NEXT) | instid1(VALU_DEP_2)
	s_add_u32 s26, s4, s6
	v_cndmask_b32_e32 v1, s3, v4, vcc_lo
	s_delay_alu instid0(VALU_DEP_2)
	v_ashrrev_i32_e32 v2, 5, v2
	v_cmp_gt_i32_e32 vcc_lo, s24, v3
	s_addc_u32 s25, s5, s7
	s_ashr_i32 s28, s27, 31
	s_add_u32 s4, s20, s27
	s_addc_u32 s5, s21, s28
	v_cndmask_b32_e32 v3, s3, v2, vcc_lo
	v_ashrrev_i32_e32 v2, 31, v1
	s_lshl_b32 s6, s14, 3
	s_delay_alu instid0(SALU_CYCLE_1) | instskip(NEXT) | instid1(VALU_DEP_2)
	s_ashr_i32 s7, s6, 31
	v_ashrrev_i32_e32 v4, 31, v3
	s_delay_alu instid0(VALU_DEP_2) | instskip(SKIP_1) | instid1(SALU_CYCLE_1)
	v_lshlrev_b64 v[1:2], 2, v[1:2]
	s_lshl_b64 s[6:7], s[6:7], 2
	s_add_u32 s6, s26, s6
	s_delay_alu instid0(VALU_DEP_2) | instskip(SKIP_1) | instid1(VALU_DEP_2)
	v_lshlrev_b64 v[3:4], 2, v[3:4]
	s_addc_u32 s7, s25, s7
	v_add_co_u32 v1, vcc_lo, s26, v1
	v_add_co_ci_u32_e32 v2, vcc_lo, s25, v2, vcc_lo
	s_delay_alu instid0(VALU_DEP_3) | instskip(NEXT) | instid1(VALU_DEP_4)
	v_add_co_u32 v3, vcc_lo, s26, v3
	v_add_co_ci_u32_e32 v4, vcc_lo, s25, v4, vcc_lo
	s_clause 0x1
	global_load_b32 v5, v[1:2], off
	global_load_b32 v6, v[3:4], off
	s_or_b32 s8, s12, 32
	s_delay_alu instid0(SALU_CYCLE_1) | instskip(SKIP_2) | instid1(SALU_CYCLE_1)
	s_ashr_i32 s9, s8, 5
	s_cmp_lt_i32 s8, s24
	s_cselect_b32 s8, s9, s3
	s_ashr_i32 s9, s8, 31
	s_delay_alu instid0(SALU_CYCLE_1) | instskip(NEXT) | instid1(SALU_CYCLE_1)
	s_lshl_b64 s[8:9], s[8:9], 2
	s_add_u32 s8, s26, s8
	s_addc_u32 s9, s25, s9
	s_or_b32 s10, s12, 64
	s_delay_alu instid0(SALU_CYCLE_1) | instskip(SKIP_2) | instid1(SALU_CYCLE_1)
	s_ashr_i32 s11, s10, 5
	s_cmp_lt_i32 s10, s24
	s_cselect_b32 s10, s11, s3
	s_ashr_i32 s11, s10, 31
	s_delay_alu instid0(SALU_CYCLE_1) | instskip(NEXT) | instid1(SALU_CYCLE_1)
	s_lshl_b64 s[10:11], s[10:11], 2
	s_add_u32 s10, s26, s10
	s_addc_u32 s11, s25, s11
	s_or_b32 s13, s12, 0x60
	s_delay_alu instid0(SALU_CYCLE_1) | instskip(SKIP_2) | instid1(SALU_CYCLE_1)
	s_ashr_i32 s15, s13, 5
	s_cmp_lt_i32 s13, s24
	s_cselect_b32 s20, s15, s3
	s_ashr_i32 s21, s20, 31
	s_delay_alu instid0(SALU_CYCLE_1) | instskip(NEXT) | instid1(SALU_CYCLE_1)
	s_lshl_b64 s[20:21], s[20:21], 2
	s_add_u32 s36, s26, s20
	s_addc_u32 s37, s25, s21
	s_or_b32 s13, s12, 0x80
	s_delay_alu instid0(SALU_CYCLE_1) | instskip(SKIP_2) | instid1(SALU_CYCLE_1)
	s_ashr_i32 s15, s13, 5
	s_cmp_lt_i32 s13, s24
	s_cselect_b32 s20, s15, s3
	s_ashr_i32 s21, s20, 31
	s_delay_alu instid0(SALU_CYCLE_1) | instskip(NEXT) | instid1(SALU_CYCLE_1)
	s_lshl_b64 s[20:21], s[20:21], 2
	s_add_u32 s38, s26, s20
	s_addc_u32 s39, s25, s21
	s_or_b32 s13, s12, 0xa0
	s_delay_alu instid0(SALU_CYCLE_1) | instskip(SKIP_2) | instid1(SALU_CYCLE_1)
	s_ashr_i32 s15, s13, 5
	s_cmp_lt_i32 s13, s24
	s_cselect_b32 s20, s15, s3
	s_ashr_i32 s21, s20, 31
	s_delay_alu instid0(SALU_CYCLE_1) | instskip(NEXT) | instid1(SALU_CYCLE_1)
	s_lshl_b64 s[20:21], s[20:21], 2
	s_add_u32 s40, s26, s20
	s_addc_u32 s41, s25, s21
	s_clause 0x5
	s_load_b32 s21, s[6:7], 0x0
	s_load_b32 s13, s[8:9], 0x0
	s_load_b32 s15, s[10:11], 0x0
	s_load_b32 s16, s[36:37], 0x0
	s_load_b32 s18, s[38:39], 0x0
	s_load_b32 s20, s[40:41], 0x0
	s_or_b32 s7, s12, 0xc0
	s_delay_alu instid0(SALU_CYCLE_1) | instskip(SKIP_2) | instid1(SALU_CYCLE_1)
	s_ashr_i32 s8, s7, 5
	s_cmp_lt_i32 s7, s24
	s_cselect_b32 s10, s8, s3
	s_ashr_i32 s11, s10, 31
	s_delay_alu instid0(SALU_CYCLE_1) | instskip(NEXT) | instid1(SALU_CYCLE_1)
	s_lshl_b64 s[36:37], s[10:11], 2
	s_add_u32 s36, s26, s36
	s_addc_u32 s37, s25, s37
	s_or_b32 s29, s12, 0xe0
	s_delay_alu instid0(SALU_CYCLE_1)
	s_ashr_i32 s30, s29, 5
	s_cmp_lt_i32 s29, s24
	s_waitcnt vmcnt(1)
	v_mad_i64_i32 v[1:2], null, v5, s17, s[4:5]
	s_waitcnt vmcnt(0)
	v_mad_i64_i32 v[3:4], null, v6, s17, s[4:5]
	s_mov_b32 s4, 0
	s_delay_alu instid0(SALU_CYCLE_1)
	s_mov_b32 s5, s4
	s_mov_b32 s6, s4
	;; [unrolled: 1-line block ×7, first 2 shown]
	s_delay_alu instid0(SALU_CYCLE_1) | instskip(SKIP_2) | instid1(VALU_DEP_3)
	v_dual_mov_b32 v102, s11 :: v_dual_lshlrev_b32 v5, 4, v69
	v_dual_mov_b32 v98, s7 :: v_dual_mov_b32 v101, s10
	v_mov_b32_e32 v100, s9
	v_add_co_u32 v1, vcc_lo, v1, v5
	v_add_co_ci_u32_e32 v2, vcc_lo, 0, v2, vcc_lo
	v_add_co_u32 v3, vcc_lo, v3, v5
	v_add_co_ci_u32_e32 v4, vcc_lo, 0, v4, vcc_lo
	s_clause 0x7
	global_load_b128 v[57:60], v[1:2], off
	global_load_b128 v[61:64], v[1:2], off offset:512
	global_load_b128 v[71:74], v[3:4], off offset:256
	;; [unrolled: 1-line block ×7, first 2 shown]
	v_dual_mov_b32 v96, s5 :: v_dual_and_b32 v1, 3, v0
	v_mov_b32_e32 v99, s8
	v_mov_b32_e32 v97, s6
	;; [unrolled: 1-line block ×3, first 2 shown]
	s_cselect_b32 s4, s30, s3
	v_lshlrev_b32_e32 v2, 5, v69
	s_ashr_i32 s5, s4, 31
	v_lshlrev_b32_e32 v121, 6, v1
	s_lshl_b64 s[4:5], s[4:5], 2
	s_load_b32 s3, s[36:37], 0x0
	s_add_u32 s4, s26, s4
	s_addc_u32 s5, s25, s5
	v_lshl_or_b32 v1, v68, 9, v2
	ds_load_b128 v[103:106], v121
	ds_load_b128 v[107:110], v121 offset:1024
	s_load_b32 s4, s[4:5], 0x0
	s_add_u32 s6, s22, s27
	s_addc_u32 s7, s23, s28
	v_add_co_u32 v17, s6, s6, v1
	s_delay_alu instid0(VALU_DEP_1) | instskip(SKIP_1) | instid1(VALU_DEP_1)
	v_add_co_ci_u32_e64 v18, null, s7, 0, s6
	s_waitcnt lgkmcnt(0)
	v_mad_i64_i32 v[1:2], null, s21, s17, v[17:18]
	v_mad_i64_i32 v[3:4], null, s13, s17, v[17:18]
	;; [unrolled: 1-line block ×7, first 2 shown]
	s_clause 0x9
	global_load_b128 v[49:52], v[1:2], off
	global_load_b128 v[53:56], v[1:2], off offset:16
	global_load_b128 v[41:44], v[3:4], off
	global_load_b128 v[45:48], v[3:4], off offset:16
	global_load_b128 v[33:36], v[5:6], off
	global_load_b128 v[37:40], v[5:6], off offset:16
	global_load_b128 v[1:4], v[7:8], off
	global_load_b128 v[5:8], v[7:8], off offset:16
	global_load_b128 v[9:12], v[13:14], off
	global_load_b128 v[13:16], v[13:14], off offset:16
	v_mad_i64_i32 v[119:120], null, s4, s17, v[17:18]
	s_clause 0x3
	global_load_b128 v[17:20], v[21:22], off
	global_load_b128 v[21:24], v[21:22], off offset:16
	global_load_b128 v[25:28], v[29:30], off
	global_load_b128 v[29:32], v[29:30], off offset:16
	s_waitcnt vmcnt(20)
	v_wmma_f32_16x16x16_f16 v[111:118], v[57:64], v[103:110], v[95:102]
	s_clause 0x1
	global_load_b128 v[57:60], v[119:120], off
	global_load_b128 v[61:64], v[119:120], off offset:16
	s_waitcnt vmcnt(20)
	v_wmma_f32_16x16x16_f16 v[95:102], v[71:78], v[103:110], v[95:102]
	ds_load_b128 v[71:74], v121 offset:2048
	ds_load_b128 v[75:78], v121 offset:3072
	v_mbcnt_lo_u32_b32 v104, -1, 0
	s_waitcnt vmcnt(0) lgkmcnt(0)
	s_barrier
	buffer_gl0_inv
	v_xor_b32_e32 v105, 16, v104
	s_delay_alu instid0(VALU_DEP_1) | instskip(SKIP_4) | instid1(VALU_DEP_2)
	v_cmp_gt_i32_e32 vcc_lo, 32, v105
	v_cndmask_b32_e32 v104, v104, v105, vcc_lo
	v_wmma_f32_16x16x16_f16 v[111:118], v[79:86], v[71:78], v[111:118]
	v_and_b32_e32 v103, 0xe0, v0
	v_wmma_f32_16x16x16_f16 v[95:102], v[87:94], v[71:78], v[95:102]
	v_dual_mul_f32 v78, s19, v113 :: v_dual_add_nc_u32 v103, s12, v103
	s_delay_alu instid0(VALU_DEP_2) | instskip(SKIP_1) | instid1(VALU_DEP_3)
	v_dual_mul_f32 v90, s19, v101 :: v_dual_mul_f32 v87, s19, v112
	v_dual_mul_f32 v88, s19, v111 :: v_dual_mul_f32 v77, s19, v114
	v_or_b32_e32 v103, v103, v67
	v_dual_mul_f32 v75, s19, v116 :: v_dual_mul_f32 v94, s19, v97
	v_dual_mul_f32 v76, s19, v115 :: v_dual_mul_f32 v73, s19, v118
	v_mul_f32_e32 v92, s19, v99
	s_delay_alu instid0(VALU_DEP_4)
	v_or_b32_e32 v105, 2, v103
	v_or_b32_e32 v106, 4, v103
	;; [unrolled: 1-line block ×3, first 2 shown]
	v_cmp_gt_i32_e64 s3, s24, v103
	v_or_b32_e32 v108, 8, v103
	v_cmp_gt_i32_e32 vcc_lo, s24, v105
	v_or_b32_e32 v109, 10, v103
	v_cmp_gt_i32_e64 s4, s24, v106
	v_cndmask_b32_e64 v88, 0xff7fffff, v88, s3
	v_cmp_gt_i32_e64 s5, s24, v107
	v_cndmask_b32_e32 v87, 0xff7fffff, v87, vcc_lo
	v_or_b32_e32 v79, 12, v103
	v_or_b32_e32 v80, 14, v103
	v_cndmask_b32_e64 v78, 0xff7fffff, v78, s4
	v_cndmask_b32_e64 v77, 0xff7fffff, v77, s5
	v_max3_f32 v87, v88, 0xff7fffff, v87
	v_cmp_gt_i32_e64 s6, s24, v108
	v_cmp_gt_i32_e64 s7, s24, v109
	v_or_b32_e32 v81, 16, v103
	v_or_b32_e32 v82, 18, v103
	v_mul_f32_e32 v74, s19, v117
	v_cndmask_b32_e64 v76, 0xff7fffff, v76, s6
	v_cndmask_b32_e64 v75, 0xff7fffff, v75, s7
	v_max3_f32 v77, v87, v78, v77
	v_cmp_gt_i32_e64 s8, s24, v79
	v_cmp_gt_i32_e64 s9, s24, v80
	v_or_b32_e32 v83, 20, v103
	v_or_b32_e32 v84, 22, v103
	;; [unrolled: 1-line block ×6, first 2 shown]
	v_mul_f32_e32 v105, s19, v96
	v_mul_f32_e32 v103, s19, v95
	v_cndmask_b32_e64 v74, 0xff7fffff, v74, s8
	v_cndmask_b32_e64 v73, 0xff7fffff, v73, s9
	v_max3_f32 v75, v77, v76, v75
	v_cmp_gt_i32_e64 s10, s24, v81
	v_cmp_gt_i32_e64 s11, s24, v82
	v_mul_f32_e32 v93, s19, v98
	v_cmp_gt_i32_e64 s12, s24, v83
	v_max3_f32 v73, v75, v74, v73
	v_cndmask_b32_e64 v76, 0xff7fffff, v103, s10
	v_cndmask_b32_e64 v77, 0xff7fffff, v105, s11
	v_cmp_gt_i32_e64 s13, s24, v84
	v_mul_f32_e32 v91, s19, v100
	v_cndmask_b32_e64 v74, 0xff7fffff, v94, s12
	v_cmp_gt_i32_e64 s15, s24, v85
	v_max3_f32 v73, v73, v76, v77
	v_cndmask_b32_e64 v75, 0xff7fffff, v93, s13
	v_cmp_gt_i32_e64 s16, s24, v86
	v_mul_f32_e32 v89, s19, v102
	v_cndmask_b32_e64 v76, 0xff7fffff, v92, s15
	v_cmp_gt_i32_e64 s17, s24, v71
	v_max3_f32 v73, v73, v74, v75
	v_cndmask_b32_e64 v77, 0xff7fffff, v91, s16
	v_cmp_gt_i32_e64 s18, s24, v72
	v_lshlrev_b32_e32 v74, 2, v104
	v_cndmask_b32_e64 v71, 0xff7fffff, v90, s17
	s_delay_alu instid0(VALU_DEP_4) | instskip(NEXT) | instid1(VALU_DEP_4)
	v_max3_f32 v73, v73, v76, v77
	v_cndmask_b32_e64 v72, 0xff7fffff, v89, s18
	s_delay_alu instid0(VALU_DEP_1) | instskip(SKIP_3) | instid1(VALU_DEP_1)
	v_max3_f32 v71, v73, v71, v72
	ds_bpermute_b32 v72, v74, v71
	s_waitcnt lgkmcnt(0)
	v_max_f32_e32 v72, v72, v72
	v_max_f32_e32 v71, v71, v72
	s_delay_alu instid0(VALU_DEP_1)
	v_fma_f32 v72, s19, v111, -v71
	v_fma_f32 v76, s19, v114, -v71
	;; [unrolled: 1-line block ×5, first 2 shown]
	v_mul_f32_e32 v72, 0x3fb8aa3b, v72
	v_mul_f32_e32 v76, 0x3fb8aa3b, v76
	v_fma_f32 v75, s19, v113, -v71
	v_mul_f32_e32 v79, 0x3fb8aa3b, v77
	v_mul_f32_e32 v85, 0x3fb8aa3b, v84
	v_exp_f32_e32 v72, v72
	v_exp_f32_e32 v76, v76
	v_fma_f32 v86, s19, v98, -v71
	v_exp_f32_e32 v82, v79
	v_exp_f32_e32 v85, v85
	v_fma_f32 v81, s19, v117, -v71
	s_delay_alu instid0(VALU_DEP_2) | instskip(SKIP_3) | instid1(TRANS32_DEP_3)
	v_mul_f32_e32 v87, 0x3fb8aa3b, v86
	v_cndmask_b32_e64 v78, 0, v72, s3
	v_fma_f32 v72, s19, v116, -v71
	v_mul_f32_e32 v73, 0x3fb8aa3b, v73
	v_cndmask_b32_e64 v79, 0, v76, s5
	v_fma_f32 v76, s19, v95, -v71
	s_delay_alu instid0(VALU_DEP_4) | instskip(NEXT) | instid1(VALU_DEP_4)
	v_dual_mul_f32 v75, 0x3fb8aa3b, v75 :: v_dual_mul_f32 v72, 0x3fb8aa3b, v72
	v_exp_f32_e32 v73, v73
	v_exp_f32_e32 v87, v87
	s_delay_alu instid0(VALU_DEP_2) | instskip(NEXT) | instid1(VALU_DEP_2)
	v_mul_f32_e32 v76, 0x3fb8aa3b, v76
	v_exp_f32_e32 v75, v75
	v_cndmask_b32_e64 v85, 0, v85, s11
	v_mul_f32_e32 v81, 0x3fb8aa3b, v81
	v_exp_f32_e32 v72, v72
	v_cndmask_b32_e64 v82, 0, v82, s6
	v_exp_f32_e32 v76, v76
	s_mov_b32 s3, exec_lo
	v_cndmask_b32_e32 v77, 0, v73, vcc_lo
	v_add_f32_e32 v73, 0, v78
	v_cndmask_b32_e64 v87, 0, v87, s13
	v_cndmask_b32_e64 v80, 0, v75, s4
	v_fma_f32 v75, s19, v118, -v71
	v_exp_f32_e32 v83, v81
	v_add_f32_e32 v73, v73, v77
	v_cndmask_b32_e64 v81, 0, v72, s7
	v_cndmask_b32_e64 v86, 0, v76, s10
	v_mul_f32_e32 v75, 0x3fb8aa3b, v75
	s_delay_alu instid0(VALU_DEP_4) | instskip(NEXT) | instid1(VALU_DEP_2)
	v_add_f32_e32 v73, v73, v80
	v_exp_f32_e32 v75, v75
	s_delay_alu instid0(TRANS32_DEP_2) | instskip(NEXT) | instid1(VALU_DEP_2)
	v_cndmask_b32_e64 v84, 0, v83, s8
	v_add_f32_e32 v73, v73, v79
	s_delay_alu instid0(VALU_DEP_1) | instskip(SKIP_3) | instid1(VALU_DEP_1)
	v_add_f32_e32 v72, v73, v82
	s_waitcnt_depctr 0xfff
	v_cndmask_b32_e64 v83, 0, v75, s9
	v_add_f32_e32 v72, v72, v81
	v_add_f32_e32 v72, v72, v84
	s_delay_alu instid0(VALU_DEP_1) | instskip(NEXT) | instid1(VALU_DEP_1)
	v_add_f32_e32 v72, v72, v83
	v_add_f32_e32 v72, v72, v86
	v_fma_f32 v73, s19, v97, -v71
	v_fma_f32 v75, s19, v99, -v71
	;; [unrolled: 1-line block ×4, first 2 shown]
	v_add_f32_e32 v72, v72, v85
	v_mul_f32_e32 v73, 0x3fb8aa3b, v73
	s_delay_alu instid0(VALU_DEP_4) | instskip(NEXT) | instid1(VALU_DEP_2)
	v_dual_mul_f32 v75, 0x3fb8aa3b, v75 :: v_dual_mul_f32 v76, 0x3fb8aa3b, v76
	v_exp_f32_e32 v73, v73
	s_delay_alu instid0(VALU_DEP_1) | instskip(NEXT) | instid1(VALU_DEP_1)
	v_exp_f32_e32 v75, v75
	v_exp_f32_e32 v76, v76
	s_delay_alu instid0(TRANS32_DEP_3)
	v_cndmask_b32_e64 v88, 0, v73, s12
	v_mul_f32_e32 v73, 0x3fb8aa3b, v89
	v_fma_f32 v89, s19, v102, -v71
	s_waitcnt_depctr 0xfff
	v_cndmask_b32_e64 v90, 0, v75, s15
	v_add_f32_e32 v72, v72, v88
	v_exp_f32_e32 v73, v73
	v_mul_f32_e32 v75, 0x3fb8aa3b, v89
	v_cndmask_b32_e64 v89, 0, v76, s16
	s_delay_alu instid0(VALU_DEP_3) | instskip(NEXT) | instid1(VALU_DEP_3)
	v_add_f32_e32 v72, v72, v87
	v_exp_f32_e32 v75, v75
	s_delay_alu instid0(VALU_DEP_1) | instskip(SKIP_4) | instid1(VALU_DEP_2)
	v_add_f32_e32 v72, v72, v90
	s_waitcnt_depctr 0xfff
	v_cndmask_b32_e64 v92, 0, v73, s17
	v_add_f32_e32 v72, v72, v89
	v_cndmask_b32_e64 v91, 0, v75, s18
	v_add_f32_e32 v72, v72, v92
	s_delay_alu instid0(VALU_DEP_1)
	v_add_f32_e32 v72, v72, v91
	ds_bpermute_b32 v73, v74, v72
	v_cmpx_gt_u32_e32 16, v70
	s_cbranch_execz .LBB1169_12
; %bb.11:
	v_mul_u32_u24_e32 v70, 0x44, v68
	s_waitcnt lgkmcnt(0)
	v_add_f32_e32 v72, v72, v73
	s_delay_alu instid0(VALU_DEP_2) | instskip(NEXT) | instid1(VALU_DEP_1)
	v_lshl_add_u32 v70, v69, 2, v70
	v_add_nc_u32_e32 v70, 0x4000, v70
	ds_store_2addr_b32 v70, v71, v72 offset1:136
.LBB1169_12:
	s_or_b32 exec_lo, exec_lo, s3
	v_lshlrev_b32_e32 v70, 2, v69
	s_load_b32 s35, s[0:1], 0x94
	s_waitcnt lgkmcnt(0)
	s_barrier
	buffer_gl0_inv
	v_add_nc_u32_e32 v74, 0x4000, v70
	v_cmp_eq_u32_e32 vcc_lo, 1, v68
	v_cmp_eq_u32_e64 s3, 2, v68
	v_cmp_eq_u32_e64 s4, 3, v68
	;; [unrolled: 1-line block ×3, first 2 shown]
	ds_load_2addr_b32 v[70:71], v74 offset1:17
	ds_load_2addr_b32 v[72:73], v74 offset0:34 offset1:51
	ds_load_2addr_b32 v[93:94], v74 offset0:68 offset1:85
	;; [unrolled: 1-line block ×3, first 2 shown]
	v_cmp_eq_u32_e64 s6, 5, v68
	v_cmp_eq_u32_e64 s7, 7, v68
	s_waitcnt lgkmcnt(3)
	v_max3_f32 v75, v70, 0xff7fffff, v71
	s_waitcnt lgkmcnt(2)
	s_delay_alu instid0(VALU_DEP_1) | instskip(SKIP_1) | instid1(VALU_DEP_1)
	v_max3_f32 v75, v75, v72, v73
	s_waitcnt lgkmcnt(1)
	v_max3_f32 v75, v75, v93, v94
	s_waitcnt lgkmcnt(0)
	s_delay_alu instid0(VALU_DEP_1) | instskip(NEXT) | instid1(VALU_DEP_1)
	v_max3_f32 v75, v75, v95, v96
	v_sub_f32_e32 v93, v93, v75
	ds_load_2addr_b32 v[97:98], v74 offset0:136 offset1:153
	v_sub_f32_e32 v70, v70, v75
	v_dual_sub_f32 v100, v73, v75 :: v_dual_mul_f32 v103, 0x3fb8aa3b, v93
	s_delay_alu instid0(VALU_DEP_2) | instskip(SKIP_3) | instid1(VALU_DEP_1)
	v_dual_sub_f32 v76, v71, v75 :: v_dual_mul_f32 v99, 0x3fb8aa3b, v70
	ds_load_2addr_b32 v[70:71], v74 offset0:170 offset1:187
	v_mul_f32_e32 v76, 0x3fb8aa3b, v76
	v_exp_f32_e32 v99, v99
	v_exp_f32_e32 v102, v76
	v_mul_f32_e32 v100, 0x3fb8aa3b, v100
	s_waitcnt lgkmcnt(1)
	s_waitcnt_depctr 0xfff
	v_fma_f32 v76, v99, v97, 0
	v_sub_f32_e32 v97, v94, v75
	v_sub_f32_e32 v72, v72, v75
	v_exp_f32_e32 v100, v100
	ds_load_2addr_b32 v[93:94], v74 offset0:238 offset1:255
	v_dual_fmac_f32 v76, v102, v98 :: v_dual_mul_f32 v101, 0x3fb8aa3b, v72
	ds_load_2addr_b32 v[72:73], v74 offset0:204 offset1:221
	v_dual_sub_f32 v74, v95, v75 :: v_dual_mul_f32 v95, 0x3fb8aa3b, v97
	v_exp_f32_e32 v97, v103
	v_exp_f32_e32 v101, v101
	s_waitcnt lgkmcnt(0)
	s_delay_alu instid0(VALU_DEP_1)
	v_mul_f32_e32 v74, 0x3fb8aa3b, v74
	v_exp_f32_e32 v95, v95
	s_barrier
	buffer_gl0_inv
	v_fmac_f32_e32 v76, v101, v70
	v_sub_f32_e32 v70, v96, v75
	v_exp_f32_e32 v96, v74
	s_delay_alu instid0(VALU_DEP_2) | instskip(NEXT) | instid1(VALU_DEP_2)
	v_fmac_f32_e32 v76, v100, v71
	v_mul_f32_e32 v70, 0x3fb8aa3b, v70
	s_delay_alu instid0(VALU_DEP_2) | instskip(NEXT) | instid1(VALU_DEP_2)
	v_dual_cndmask_b32 v71, v99, v102 :: v_dual_fmac_f32 v76, v97, v72
	v_exp_f32_e32 v98, v70
	v_lshlrev_b32_e32 v72, 6, v69
	s_delay_alu instid0(VALU_DEP_2) | instskip(NEXT) | instid1(VALU_DEP_2)
	v_dual_fmac_f32 v76, v95, v73 :: v_dual_lshlrev_b32 v69, 2, v67
	v_lshl_or_b32 v74, v68, 11, v72
	s_delay_alu instid0(VALU_DEP_2)
	v_cmp_eq_u32_e64 s8, 7, v69
	s_delay_alu instid0(TRANS32_DEP_2) | instid1(VALU_DEP_3)
	v_fmac_f32_e32 v76, v96, v93
	s_waitcnt_depctr 0xfff
	v_fmac_f32_e32 v76, v98, v94
	s_delay_alu instid0(VALU_DEP_1) | instskip(NEXT) | instid1(VALU_DEP_1)
	v_add_f32_e32 v73, 0x358637bd, v76
	v_div_scale_f32 v93, null, v73, v73, 1.0
	v_div_scale_f32 v99, vcc_lo, 1.0, v73, 1.0
	s_delay_alu instid0(VALU_DEP_2) | instskip(SKIP_2) | instid1(VALU_DEP_1)
	v_rcp_f32_e32 v94, v93
	s_waitcnt_depctr 0xfff
	v_fma_f32 v70, -v93, v94, 1.0
	v_fmac_f32_e32 v94, v70, v94
	v_cndmask_b32_e64 v70, v71, v101, s3
	v_cmp_eq_u32_e64 s3, 6, v68
	v_or_b32_e32 v71, 1, v69
	v_or_b32_e32 v68, 2, v69
	v_mul_f32_e32 v101, v99, v94
	v_cndmask_b32_e64 v70, v70, v100, s4
	v_cmp_eq_u32_e64 s4, 1, v69
	v_cmp_eq_u32_e64 s9, 1, v71
	;; [unrolled: 1-line block ×3, first 2 shown]
	v_fma_f32 v100, -v93, v101, v99
	v_cndmask_b32_e64 v70, v70, v97, s5
	v_cmp_eq_u32_e64 s5, 2, v69
	v_cmp_eq_u32_e64 s12, 2, v71
	;; [unrolled: 1-line block ×3, first 2 shown]
	v_fmac_f32_e32 v101, v100, v94
	v_cndmask_b32_e64 v95, v70, v95, s6
	v_or_b32_e32 v70, 3, v69
	v_cmp_eq_u32_e64 s13, 3, v71
	v_cmp_eq_u32_e64 s17, 3, v68
	v_fma_f32 v93, -v93, v101, v99
	v_cndmask_b32_e64 v95, v95, v96, s3
	v_cmp_eq_u32_e64 s11, 1, v70
	v_cmp_eq_u32_e64 s16, 2, v70
	;; [unrolled: 1-line block ×3, first 2 shown]
	v_div_fmas_f32 v93, v93, v94, v101
	v_cndmask_b32_e64 v94, v95, v98, s7
	v_cmp_eq_u32_e32 vcc_lo, 3, v69
	v_cmp_eq_u32_e64 s3, 4, v69
	v_cmp_eq_u32_e64 s19, 4, v71
	v_div_fixup_f32 v93, v93, v73, 1.0
	v_lshl_or_b32 v73, v67, 4, v74
	v_cmp_eq_u32_e64 s22, 4, v70
	v_cmp_eq_u32_e64 s6, 5, v69
	;; [unrolled: 1-line block ×3, first 2 shown]
	v_mul_f32_e32 v101, v94, v93
	v_cmp_eq_u32_e64 s21, 4, v68
	v_cmp_eq_u32_e64 s24, 5, v70
	;; [unrolled: 1-line block ×4, first 2 shown]
	v_fma_mixlo_f16 v93, v101, v78, 0
	v_fma_mixlo_f16 v94, v101, v80, 0
	;; [unrolled: 1-line block ×8, first 2 shown]
	v_fma_mixhi_f16 v93, v101, v77, 0
	v_fma_mixhi_f16 v94, v101, v79, 0
	;; [unrolled: 1-line block ×8, first 2 shown]
	ds_store_b128 v73, v[93:96]
	ds_store_b128 v73, v[97:100] offset:1024
	s_waitcnt lgkmcnt(0)
	s_barrier
	buffer_gl0_inv
	ds_load_b128 v[77:80], v74
	ds_load_b128 v[81:84], v74 offset:16
	ds_load_b128 v[85:88], v74 offset:1024
	;; [unrolled: 1-line block ×3, first 2 shown]
	v_cmp_eq_u32_e64 s27, 6, v70
	v_cmp_eq_u32_e64 s7, 6, v69
	;; [unrolled: 1-line block ×6, first 2 shown]
	s_waitcnt lgkmcnt(3)
	v_lshrrev_b32_e32 v93, 16, v77
	s_waitcnt lgkmcnt(2)
	v_lshrrev_b32_e32 v97, 16, v81
	;; [unrolled: 2-line block ×4, first 2 shown]
	v_lshrrev_b32_e32 v94, 16, v78
	v_cndmask_b32_e64 v109, v77, v93, s4
	v_cndmask_b32_e64 v110, v81, v97, s4
	;; [unrolled: 1-line block ×8, first 2 shown]
	v_lshrrev_b32_e32 v98, 16, v82
	v_cndmask_b32_e64 v93, v85, v101, s4
	v_cndmask_b32_e64 v97, v89, v105, s4
	;; [unrolled: 1-line block ×15, first 2 shown]
	v_lshrrev_b32_e32 v102, 16, v86
	v_lshrrev_b32_e32 v106, 16, v90
	v_cndmask_b32_e64 v112, v114, v82, s15
	v_cndmask_b32_e64 v81, v93, v86, s5
	;; [unrolled: 1-line block ×7, first 2 shown]
	v_cndmask_b32_e32 v89, v101, v94, vcc_lo
	v_cndmask_b32_e32 v101, v105, v98, vcc_lo
	v_cndmask_b32_e64 v105, v109, v94, s13
	v_cndmask_b32_e64 v109, v110, v98, s13
	;; [unrolled: 1-line block ×4, first 2 shown]
	v_lshrrev_b32_e32 v95, 16, v79
	v_lshrrev_b32_e32 v99, 16, v83
	v_cndmask_b32_e64 v110, v111, v94, s17
	v_cndmask_b32_e64 v111, v112, v98, s17
	v_cndmask_b32_e32 v81, v81, v102, vcc_lo
	v_cndmask_b32_e32 v82, v82, v106, vcc_lo
	v_cndmask_b32_e64 v93, v93, v102, s13
	v_cndmask_b32_e64 v89, v89, v79, s3
	;; [unrolled: 1-line block ×7, first 2 shown]
	v_lshrrev_b32_e32 v103, 16, v87
	v_cndmask_b32_e64 v105, v110, v79, s21
	v_cndmask_b32_e64 v109, v111, v83, s21
	;; [unrolled: 1-line block ×11, first 2 shown]
	v_lshrrev_b32_e32 v96, 16, v80
	v_lshrrev_b32_e32 v100, 16, v84
	v_cndmask_b32_e64 v98, v105, v95, s23
	v_cndmask_b32_e64 v101, v109, v99, s23
	;; [unrolled: 1-line block ×7, first 2 shown]
	v_lshrrev_b32_e32 v104, 16, v88
	v_cndmask_b32_e64 v79, v79, v103, s6
	v_cndmask_b32_e64 v83, v83, v80, s7
	;; [unrolled: 1-line block ×16, first 2 shown]
	v_perm_b32 v80, v78, v77, 0x5040100
	v_perm_b32 v78, v94, v84, 0x5040100
	v_cndmask_b32_e64 v77, v118, v90, s15
	v_cndmask_b32_e64 v84, v116, v90, s12
	;; [unrolled: 1-line block ×3, first 2 shown]
	v_perm_b32 v79, v93, v89, 0x5040100
	v_cndmask_b32_e64 v89, v97, v102, s17
	v_cndmask_b32_e64 v85, v85, v102, s18
	v_cndmask_b32_e64 v86, v86, v106, s18
	v_cndmask_b32_e64 v77, v77, v106, s17
	v_cndmask_b32_e64 v84, v84, v106, s13
	v_lshrrev_b32_e32 v107, 16, v91
	v_cndmask_b32_e64 v89, v89, v87, s21
	v_cndmask_b32_e64 v85, v85, v87, s22
	;; [unrolled: 1-line block ×11, first 2 shown]
	v_lshrrev_b32_e32 v108, 16, v92
	v_cndmask_b32_e64 v81, v81, v92, s7
	v_cndmask_b32_e64 v87, v87, v88, s26
	;; [unrolled: 1-line block ×12, first 2 shown]
	v_perm_b32 v77, v83, v82, 0x5040100
	v_perm_b32 v84, v86, v85, 0x5040100
	;; [unrolled: 1-line block ×5, first 2 shown]
	s_lshl_b32 s8, s33, 2
	s_mov_b32 s3, exec_lo
	ds_store_b128 v73, v[77:80]
	ds_store_b128 v73, v[81:84] offset:1024
	v_cmpx_gt_u32_e32 4, v0
	s_cbranch_execz .LBB1169_14
; %bb.13:
	v_or_b32_e32 v77, s31, v0
	s_load_b128 s[4:7], s[0:1], 0x58
	s_delay_alu instid0(VALU_DEP_1) | instskip(NEXT) | instid1(VALU_DEP_1)
	v_mad_u64_u32 v[78:79], null, s8, s34, v[77:78]
	v_mad_u64_u32 v[79:80], null, v78, s35, s[14:15]
	s_delay_alu instid0(VALU_DEP_1) | instskip(NEXT) | instid1(VALU_DEP_1)
	v_ashrrev_i32_e32 v80, 31, v79
	v_lshlrev_b64 v[77:78], 2, v[79:80]
	s_waitcnt lgkmcnt(0)
	s_delay_alu instid0(VALU_DEP_1) | instskip(NEXT) | instid1(VALU_DEP_2)
	v_add_co_u32 v79, vcc_lo, s6, v77
	v_add_co_ci_u32_e32 v80, vcc_lo, s7, v78, vcc_lo
	v_add_co_u32 v77, vcc_lo, s4, v77
	v_add_co_ci_u32_e32 v78, vcc_lo, s5, v78, vcc_lo
	global_store_b32 v[79:80], v75, off
	global_store_b32 v[77:78], v76, off
.LBB1169_14:
	s_or_b32 exec_lo, exec_lo, s3
	s_waitcnt lgkmcnt(0)
	s_waitcnt_vscnt null, 0x0
	s_barrier
	buffer_gl0_inv
	ds_load_b128 v[83:86], v72
	ds_load_b128 v[87:90], v72 offset:16
	ds_load_b128 v[95:98], v72 offset:2064
	;; [unrolled: 1-line block ×5, first 2 shown]
	v_cmp_eq_u32_e32 vcc_lo, 1, v69
	v_mov_b32_e32 v75, 0
	ds_load_b128 v[111:114], v72 offset:6160
	ds_load_b128 v[107:110], v72 offset:6144
	;; [unrolled: 1-line block ×4, first 2 shown]
	v_cmp_eq_u32_e64 s4, 1, v68
	v_cmp_eq_u32_e64 s3, 1, v71
	;; [unrolled: 1-line block ×3, first 2 shown]
	v_mov_b32_e32 v76, v75
	v_mov_b32_e32 v77, v75
	;; [unrolled: 1-line block ×7, first 2 shown]
	v_cmp_eq_u32_e64 s6, 3, v71
	v_cmp_eq_u32_e64 s7, 7, v71
	s_waitcnt lgkmcnt(8)
	s_delay_alu instid0(VALU_DEP_3)
	v_wmma_f32_16x16x16_f16 v[75:82], v[49:56], v[83:90], v[75:82]
	ds_load_b128 v[53:56], v72 offset:10256
	ds_load_b128 v[49:52], v72 offset:10240
	s_waitcnt lgkmcnt(8)
	v_wmma_f32_16x16x16_f16 v[75:82], v[41:48], v[91:98], v[75:82]
	ds_load_b128 v[45:48], v72 offset:12304
	ds_load_b128 v[41:44], v72 offset:12288
	s_waitcnt lgkmcnt(8)
	v_wmma_f32_16x16x16_f16 v[75:82], v[33:40], v[99:106], v[75:82]
	ds_load_b128 v[37:40], v72 offset:14352
	ds_load_b128 v[33:36], v72 offset:14336
	s_waitcnt lgkmcnt(0)
	s_barrier
	buffer_gl0_inv
	v_wmma_f32_16x16x16_f16 v[75:82], v[1:8], v[107:114], v[75:82]
	s_delay_alu instid0(VALU_DEP_1) | instskip(NEXT) | instid1(VALU_DEP_1)
	v_wmma_f32_16x16x16_f16 v[75:82], v[9:16], v[115:122], v[75:82]
	v_wmma_f32_16x16x16_f16 v[75:82], v[17:24], v[49:56], v[75:82]
	s_delay_alu instid0(VALU_DEP_1) | instskip(NEXT) | instid1(VALU_DEP_1)
	v_wmma_f32_16x16x16_f16 v[75:82], v[25:32], v[41:48], v[75:82]
	v_wmma_f32_16x16x16_f16 v[75:82], v[57:64], v[33:40], v[75:82]
	s_delay_alu instid0(VALU_DEP_1) | instskip(NEXT) | instid1(VALU_DEP_2)
	v_cvt_f16_f32_e32 v1, v75
	v_cvt_f16_f32_e32 v2, v76
	s_delay_alu instid0(VALU_DEP_3) | instskip(NEXT) | instid1(VALU_DEP_4)
	v_cvt_f16_f32_e32 v3, v77
	v_cvt_f16_f32_e32 v4, v78
	;; [unrolled: 1-line block ×6, first 2 shown]
	v_pack_b32_f16 v1, v1, v2
	v_pack_b32_f16 v2, v3, v4
	;; [unrolled: 1-line block ×3, first 2 shown]
	s_delay_alu instid0(VALU_DEP_4)
	v_pack_b32_f16 v4, v7, v8
	ds_store_b128 v73, v[1:4]
	s_waitcnt lgkmcnt(0)
	s_barrier
	buffer_gl0_inv
	ds_load_b128 v[1:4], v74
	ds_load_b128 v[5:8], v74 offset:16
	s_waitcnt lgkmcnt(1)
	v_lshrrev_b32_e32 v9, 16, v1
	s_waitcnt lgkmcnt(0)
	v_lshrrev_b32_e32 v13, 16, v5
	v_lshrrev_b32_e32 v10, 16, v2
	;; [unrolled: 1-line block ×4, first 2 shown]
	v_cndmask_b32_e32 v17, v1, v9, vcc_lo
	v_cndmask_b32_e32 v18, v5, v13, vcc_lo
	v_cndmask_b32_e64 v21, v1, v9, s4
	v_cmp_eq_u32_e32 vcc_lo, 1, v70
	v_cndmask_b32_e64 v22, v5, v13, s4
	v_cmp_eq_u32_e64 s4, 2, v69
	v_cndmask_b32_e64 v19, v1, v9, s3
	v_cndmask_b32_e64 v20, v5, v13, s3
	v_cndmask_b32_e32 v1, v1, v9, vcc_lo
	v_cmp_eq_u32_e64 s3, 2, v70
	v_cndmask_b32_e32 v5, v5, v13, vcc_lo
	v_cndmask_b32_e64 v9, v17, v2, s4
	v_cmp_eq_u32_e32 vcc_lo, 3, v69
	v_cndmask_b32_e64 v13, v18, v6, s4
	v_cmp_eq_u32_e64 s4, 2, v68
	v_cndmask_b32_e64 v17, v19, v2, s5
	v_cndmask_b32_e64 v18, v20, v6, s5
	v_cmp_eq_u32_e64 s5, 3, v68
	v_cndmask_b32_e64 v1, v1, v2, s3
	v_cndmask_b32_e64 v19, v21, v2, s4
	;; [unrolled: 1-line block ×4, first 2 shown]
	v_cndmask_b32_e32 v5, v9, v10, vcc_lo
	v_cndmask_b32_e32 v6, v13, v14, vcc_lo
	v_cmp_eq_u32_e32 vcc_lo, 3, v70
	v_cndmask_b32_e64 v9, v17, v10, s6
	v_cndmask_b32_e64 v13, v18, v14, s6
	;; [unrolled: 1-line block ×3, first 2 shown]
	v_cmp_eq_u32_e64 s4, 4, v69
	v_cndmask_b32_e32 v1, v1, v10, vcc_lo
	v_cndmask_b32_e32 v2, v2, v14, vcc_lo
	v_cmp_eq_u32_e32 vcc_lo, 4, v71
	v_lshrrev_b32_e32 v15, 16, v7
	v_lshrrev_b32_e32 v16, 16, v8
	v_cndmask_b32_e64 v17, v19, v10, s5
	v_cmp_eq_u32_e64 s3, 4, v70
	v_cndmask_b32_e64 v5, v5, v3, s4
	v_cndmask_b32_e64 v6, v6, v7, s4
	v_cndmask_b32_e32 v9, v9, v3, vcc_lo
	v_cmp_eq_u32_e64 s4, 5, v71
	v_cndmask_b32_e32 v10, v13, v7, vcc_lo
	v_cmp_eq_u32_e32 vcc_lo, 4, v68
	v_cmp_eq_u32_e64 s5, 5, v69
	v_cndmask_b32_e64 v2, v2, v7, s3
	v_cndmask_b32_e64 v9, v9, v11, s4
	;; [unrolled: 1-line block ×3, first 2 shown]
	v_cndmask_b32_e32 v13, v17, v3, vcc_lo
	v_cmp_eq_u32_e64 s4, 5, v68
	v_cndmask_b32_e32 v14, v18, v7, vcc_lo
	v_cndmask_b32_e64 v1, v1, v3, s3
	v_cmp_eq_u32_e32 vcc_lo, 5, v70
	v_lshrrev_b32_e32 v12, 16, v4
	v_cndmask_b32_e64 v13, v13, v11, s4
	v_cndmask_b32_e64 v3, v14, v15, s4
	v_cmp_eq_u32_e64 s4, 6, v70
	v_cndmask_b32_e32 v1, v1, v11, vcc_lo
	v_cndmask_b32_e64 v5, v5, v11, s5
	v_cmp_eq_u32_e64 s6, 6, v69
	v_cndmask_b32_e64 v6, v6, v15, s5
	v_cmp_eq_u32_e64 s5, 6, v71
	v_cmp_eq_u32_e64 s3, 6, v68
	v_cndmask_b32_e64 v1, v1, v4, s4
	v_cndmask_b32_e32 v2, v2, v15, vcc_lo
	v_cmp_eq_u32_e32 vcc_lo, 7, v70
	v_cndmask_b32_e64 v5, v5, v4, s6
	v_cndmask_b32_e64 v9, v9, v4, s5
	;; [unrolled: 1-line block ×3, first 2 shown]
	v_cmp_eq_u32_e64 s6, 7, v69
	v_cndmask_b32_e32 v1, v1, v12, vcc_lo
	v_cndmask_b32_e64 v7, v13, v4, s3
	v_cndmask_b32_e64 v3, v3, v8, s3
	;; [unrolled: 1-line block ×3, first 2 shown]
	v_cmp_eq_u32_e64 s3, 7, v68
	v_cndmask_b32_e64 v4, v10, v8, s5
	v_cndmask_b32_e64 v5, v5, v12, s6
	v_cndmask_b32_e64 v9, v9, v12, s7
	v_cndmask_b32_e32 v2, v2, v16, vcc_lo
	v_cndmask_b32_e64 v7, v7, v12, s3
	v_cndmask_b32_e64 v3, v3, v16, s3
	;; [unrolled: 1-line block ×4, first 2 shown]
	v_cmp_gt_u32_e32 vcc_lo, 32, v0
	v_perm_b32 v4, v2, v1, 0x5040100
	v_perm_b32 v3, v3, v7, 0x5040100
	;; [unrolled: 1-line block ×4, first 2 shown]
	s_and_b32 s2, vcc_lo, s2
	ds_store_b128 v73, v[1:4]
	s_waitcnt lgkmcnt(0)
	s_barrier
	buffer_gl0_inv
	s_and_saveexec_b32 s3, s2
	s_cbranch_execz .LBB1169_2
; %bb.15:
	s_load_b64 s[0:1], s[0:1], 0x68
	v_lshlrev_b32_e32 v0, 10, v0
	v_or_b32_e32 v1, s31, v67
	s_lshl_b32 s4, s35, 6
	v_lshlrev_b32_e32 v2, 4, v66
	s_mul_i32 s2, s4, s34
	v_lshlrev_b32_e32 v3, 6, v67
	v_mul_lo_u32 v8, v1, s4
	v_and_b32_e32 v0, 0x3800, v0
	v_or_b32_e32 v1, 2, v1
	s_mul_i32 s2, s2, s8
	s_delay_alu instid0(SALU_CYCLE_1) | instskip(NEXT) | instid1(VALU_DEP_2)
	s_ashr_i32 s3, s2, 31
	v_or3_b32 v4, v0, v2, v3
	s_lshl_b64 s[2:3], s[2:3], 1
	v_mul_lo_u32 v10, v1, s4
	v_ashrrev_i32_e32 v9, 31, v8
	ds_load_b128 v[0:3], v4
	ds_load_b128 v[4:7], v4 offset:128
	s_waitcnt lgkmcnt(0)
	s_add_u32 s2, s0, s2
	s_addc_u32 s3, s1, s3
	s_lshl_b32 s0, s14, 6
	v_ashrrev_i32_e32 v11, 31, v10
	s_ashr_i32 s1, s0, 31
	v_lshlrev_b64 v[8:9], 1, v[8:9]
	s_lshl_b64 s[0:1], s[0:1], 1
	s_delay_alu instid0(SALU_CYCLE_1) | instskip(SKIP_2) | instid1(VALU_DEP_1)
	s_add_u32 s0, s2, s0
	s_addc_u32 s1, s3, s1
	v_add_co_u32 v12, s0, s0, v65
	v_add_co_ci_u32_e64 v13, null, s1, 0, s0
	v_lshlrev_b64 v[10:11], 1, v[10:11]
	s_delay_alu instid0(VALU_DEP_3) | instskip(NEXT) | instid1(VALU_DEP_3)
	v_add_co_u32 v8, vcc_lo, v12, v8
	v_add_co_ci_u32_e32 v9, vcc_lo, v13, v9, vcc_lo
	s_delay_alu instid0(VALU_DEP_3) | instskip(NEXT) | instid1(VALU_DEP_4)
	v_add_co_u32 v10, vcc_lo, v12, v10
	v_add_co_ci_u32_e32 v11, vcc_lo, v13, v11, vcc_lo
	s_clause 0x1
	global_store_b128 v[8:9], v[0:3], off
	global_store_b128 v[10:11], v[4:7], off
	s_nop 0
	s_sendmsg sendmsg(MSG_DEALLOC_VGPRS)
	s_endpgm
	.section	.rodata,"a",@progbits
	.p2align	6, 0x0
	.amdhsa_kernel _Z39paged_attention_ll4mi_QKV_mfma16_kernelIDF16_hLN4vllm18Fp8KVCacheDataTypeE1EhLi32ELi64ELi256ELb1ELi4EL8MFMAType0EEvPKT_PKT0_S8_ifPKiSA_SA_iPKfiiiPfSD_PS3_PT2_iSC_SC_
		.amdhsa_group_segment_fixed_size 17472
		.amdhsa_private_segment_fixed_size 0
		.amdhsa_kernarg_size 400
		.amdhsa_user_sgpr_count 13
		.amdhsa_user_sgpr_dispatch_ptr 0
		.amdhsa_user_sgpr_queue_ptr 0
		.amdhsa_user_sgpr_kernarg_segment_ptr 1
		.amdhsa_user_sgpr_dispatch_id 0
		.amdhsa_user_sgpr_private_segment_size 0
		.amdhsa_wavefront_size32 1
		.amdhsa_uses_dynamic_stack 0
		.amdhsa_enable_private_segment 0
		.amdhsa_system_sgpr_workgroup_id_x 1
		.amdhsa_system_sgpr_workgroup_id_y 1
		.amdhsa_system_sgpr_workgroup_id_z 1
		.amdhsa_system_sgpr_workgroup_info 0
		.amdhsa_system_vgpr_workitem_id 0
		.amdhsa_next_free_vgpr 123
		.amdhsa_next_free_sgpr 42
		.amdhsa_reserve_vcc 1
		.amdhsa_float_round_mode_32 0
		.amdhsa_float_round_mode_16_64 0
		.amdhsa_float_denorm_mode_32 3
		.amdhsa_float_denorm_mode_16_64 3
		.amdhsa_dx10_clamp 1
		.amdhsa_ieee_mode 1
		.amdhsa_fp16_overflow 0
		.amdhsa_workgroup_processor_mode 1
		.amdhsa_memory_ordered 1
		.amdhsa_forward_progress 0
		.amdhsa_shared_vgpr_count 0
		.amdhsa_exception_fp_ieee_invalid_op 0
		.amdhsa_exception_fp_denorm_src 0
		.amdhsa_exception_fp_ieee_div_zero 0
		.amdhsa_exception_fp_ieee_overflow 0
		.amdhsa_exception_fp_ieee_underflow 0
		.amdhsa_exception_fp_ieee_inexact 0
		.amdhsa_exception_int_div_zero 0
	.end_amdhsa_kernel
	.section	.text._Z39paged_attention_ll4mi_QKV_mfma16_kernelIDF16_hLN4vllm18Fp8KVCacheDataTypeE1EhLi32ELi64ELi256ELb1ELi4EL8MFMAType0EEvPKT_PKT0_S8_ifPKiSA_SA_iPKfiiiPfSD_PS3_PT2_iSC_SC_,"axG",@progbits,_Z39paged_attention_ll4mi_QKV_mfma16_kernelIDF16_hLN4vllm18Fp8KVCacheDataTypeE1EhLi32ELi64ELi256ELb1ELi4EL8MFMAType0EEvPKT_PKT0_S8_ifPKiSA_SA_iPKfiiiPfSD_PS3_PT2_iSC_SC_,comdat
.Lfunc_end1169:
	.size	_Z39paged_attention_ll4mi_QKV_mfma16_kernelIDF16_hLN4vllm18Fp8KVCacheDataTypeE1EhLi32ELi64ELi256ELb1ELi4EL8MFMAType0EEvPKT_PKT0_S8_ifPKiSA_SA_iPKfiiiPfSD_PS3_PT2_iSC_SC_, .Lfunc_end1169-_Z39paged_attention_ll4mi_QKV_mfma16_kernelIDF16_hLN4vllm18Fp8KVCacheDataTypeE1EhLi32ELi64ELi256ELb1ELi4EL8MFMAType0EEvPKT_PKT0_S8_ifPKiSA_SA_iPKfiiiPfSD_PS3_PT2_iSC_SC_
                                        ; -- End function
	.section	.AMDGPU.csdata,"",@progbits
; Kernel info:
; codeLenInByte = 6380
; NumSgprs: 44
; NumVgprs: 123
; ScratchSize: 0
; MemoryBound: 0
; FloatMode: 240
; IeeeMode: 1
; LDSByteSize: 17472 bytes/workgroup (compile time only)
; SGPRBlocks: 5
; VGPRBlocks: 15
; NumSGPRsForWavesPerEU: 44
; NumVGPRsForWavesPerEU: 123
; Occupancy: 10
; WaveLimiterHint : 1
; COMPUTE_PGM_RSRC2:SCRATCH_EN: 0
; COMPUTE_PGM_RSRC2:USER_SGPR: 13
; COMPUTE_PGM_RSRC2:TRAP_HANDLER: 0
; COMPUTE_PGM_RSRC2:TGID_X_EN: 1
; COMPUTE_PGM_RSRC2:TGID_Y_EN: 1
; COMPUTE_PGM_RSRC2:TGID_Z_EN: 1
; COMPUTE_PGM_RSRC2:TIDIG_COMP_CNT: 0
	.section	.text._Z39paged_attention_ll4mi_QKV_mfma16_kernelIDF16_hLN4vllm18Fp8KVCacheDataTypeE1EhLi32ELi64ELi256ELb0ELi5EL8MFMAType0EEvPKT_PKT0_S8_ifPKiSA_SA_iPKfiiiPfSD_PS3_PT2_iSC_SC_,"axG",@progbits,_Z39paged_attention_ll4mi_QKV_mfma16_kernelIDF16_hLN4vllm18Fp8KVCacheDataTypeE1EhLi32ELi64ELi256ELb0ELi5EL8MFMAType0EEvPKT_PKT0_S8_ifPKiSA_SA_iPKfiiiPfSD_PS3_PT2_iSC_SC_,comdat
	.protected	_Z39paged_attention_ll4mi_QKV_mfma16_kernelIDF16_hLN4vllm18Fp8KVCacheDataTypeE1EhLi32ELi64ELi256ELb0ELi5EL8MFMAType0EEvPKT_PKT0_S8_ifPKiSA_SA_iPKfiiiPfSD_PS3_PT2_iSC_SC_ ; -- Begin function _Z39paged_attention_ll4mi_QKV_mfma16_kernelIDF16_hLN4vllm18Fp8KVCacheDataTypeE1EhLi32ELi64ELi256ELb0ELi5EL8MFMAType0EEvPKT_PKT0_S8_ifPKiSA_SA_iPKfiiiPfSD_PS3_PT2_iSC_SC_
	.globl	_Z39paged_attention_ll4mi_QKV_mfma16_kernelIDF16_hLN4vllm18Fp8KVCacheDataTypeE1EhLi32ELi64ELi256ELb0ELi5EL8MFMAType0EEvPKT_PKT0_S8_ifPKiSA_SA_iPKfiiiPfSD_PS3_PT2_iSC_SC_
	.p2align	8
	.type	_Z39paged_attention_ll4mi_QKV_mfma16_kernelIDF16_hLN4vllm18Fp8KVCacheDataTypeE1EhLi32ELi64ELi256ELb0ELi5EL8MFMAType0EEvPKT_PKT0_S8_ifPKiSA_SA_iPKfiiiPfSD_PS3_PT2_iSC_SC_,@function
_Z39paged_attention_ll4mi_QKV_mfma16_kernelIDF16_hLN4vllm18Fp8KVCacheDataTypeE1EhLi32ELi64ELi256ELb0ELi5EL8MFMAType0EEvPKT_PKT0_S8_ifPKiSA_SA_iPKfiiiPfSD_PS3_PT2_iSC_SC_: ; @_Z39paged_attention_ll4mi_QKV_mfma16_kernelIDF16_hLN4vllm18Fp8KVCacheDataTypeE1EhLi32ELi64ELi256ELb0ELi5EL8MFMAType0EEvPKT_PKT0_S8_ifPKiSA_SA_iPKfiiiPfSD_PS3_PT2_iSC_SC_
; %bb.0:
	s_load_b64 s[2:3], s[0:1], 0x30
	s_mov_b32 s34, s13
	s_waitcnt lgkmcnt(0)
	s_cmp_lg_u64 s[2:3], 0
	s_cselect_b32 s6, -1, 0
	s_ashr_i32 s35, s13, 31
	s_cmp_eq_u64 s[2:3], 0
	s_cbranch_scc1 .LBB1170_3
; %bb.1:
	s_lshl_b64 s[4:5], s[34:35], 2
	s_delay_alu instid0(SALU_CYCLE_1) | instskip(SKIP_4) | instid1(SALU_CYCLE_1)
	s_add_u32 s4, s2, s4
	s_addc_u32 s5, s3, s5
	s_load_b64 s[4:5], s[4:5], 0x0
	s_waitcnt lgkmcnt(0)
	s_sub_i32 s4, s5, s4
	s_cmp_eq_u32 s4, 1
	s_cselect_b32 s4, -1, 0
	s_delay_alu instid0(SALU_CYCLE_1)
	s_and_not1_b32 vcc_lo, exec_lo, s4
	s_cbranch_vccz .LBB1170_4
.LBB1170_2:
	s_nop 0
	s_sendmsg sendmsg(MSG_DEALLOC_VGPRS)
	s_endpgm
.LBB1170_3:
.LBB1170_4:
	s_load_b64 s[8:9], s[0:1], 0x28
	s_lshl_b64 s[4:5], s[34:35], 2
	s_waitcnt lgkmcnt(0)
	s_add_u32 s8, s8, s4
	s_addc_u32 s9, s9, s5
	s_lshl_b32 s16, s14, 8
	s_load_b32 s18, s[8:9], 0x0
	s_waitcnt lgkmcnt(0)
	s_cmp_ge_i32 s16, s18
	s_cbranch_scc1 .LBB1170_2
; %bb.5:
	s_clause 0x1
	s_load_b128 s[8:11], s[0:1], 0x8
	s_load_b64 s[12:13], s[0:1], 0x20
	s_and_not1_b32 vcc_lo, exec_lo, s6
	s_cbranch_vccnz .LBB1170_7
; %bb.6:
	s_add_u32 s2, s2, s4
	s_addc_u32 s3, s3, s5
	s_load_b32 s3, s[2:3], 0x0
	s_branch .LBB1170_8
.LBB1170_7:
	s_mov_b32 s3, s34
.LBB1170_8:
	s_load_b128 s[4:7], s[0:1], 0x48
	v_lshrrev_b32_e32 v69, 5, v0
	v_bfe_u32 v66, v0, 4, 1
	v_and_b32_e32 v68, 15, v0
	v_and_b32_e32 v70, 31, v0
	;; [unrolled: 1-line block ×3, first 2 shown]
	s_mul_i32 s33, s15, 5
	v_lshl_or_b32 v1, v69, 1, v66
	v_lshlrev_b32_e32 v2, 3, v68
	v_cmp_gt_u32_e64 s2, 8, v68
	s_delay_alu instid0(VALU_DEP_3) | instskip(NEXT) | instid1(VALU_DEP_3)
	v_cmp_gt_u32_e32 vcc_lo, 5, v1
	v_lshlrev_b32_e32 v65, 1, v2
	s_delay_alu instid0(VALU_DEP_3)
	s_and_b32 s17, s2, vcc_lo
	s_waitcnt lgkmcnt(0)
	s_and_saveexec_b32 s7, s17
	s_cbranch_execz .LBB1170_10
; %bb.9:
	s_load_b64 s[20:21], s[0:1], 0x0
	v_add_lshl_u32 v2, v1, s33, 6
	s_mul_hi_i32 s23, s3, s4
	s_mul_i32 s22, s3, s4
	v_lshlrev_b32_e32 v6, 10, v68
	s_lshl_b64 s[22:23], s[22:23], 1
	v_ashrrev_i32_e32 v3, 31, v2
	v_lshlrev_b32_e32 v1, 6, v1
	v_lshlrev_b32_e32 v7, 10, v67
	v_and_b32_e32 v6, 0x3800, v6
	s_delay_alu instid0(VALU_DEP_4) | instskip(NEXT) | instid1(VALU_DEP_2)
	v_lshlrev_b64 v[2:3], 1, v[2:3]
	v_or3_b32 v1, v6, v7, v1
	s_waitcnt lgkmcnt(0)
	s_add_u32 s3, s20, s22
	s_addc_u32 s4, s21, s23
	s_delay_alu instid0(VALU_DEP_2) | instskip(SKIP_1) | instid1(VALU_DEP_2)
	v_add_co_u32 v2, vcc_lo, s3, v2
	v_add_co_ci_u32_e32 v3, vcc_lo, s4, v3, vcc_lo
	v_add_co_u32 v2, vcc_lo, v2, v65
	s_delay_alu instid0(VALU_DEP_2)
	v_add_co_ci_u32_e32 v3, vcc_lo, 0, v3, vcc_lo
	global_load_b128 v[2:5], v[2:3], off
	s_waitcnt vmcnt(0)
	ds_store_b128 v1, v[2:5]
.LBB1170_10:
	s_or_b32 exec_lo, exec_lo, s7
	v_and_b32_e32 v1, 0xef, v0
	s_add_i32 s3, s18, 31
	s_clause 0x1
	s_load_b32 s4, s[0:1], 0x38
	s_load_b32 s35, s[0:1], 0x98
	s_ashr_i32 s7, s3, 31
	v_add_nc_u32_e32 v1, s16, v1
	s_lshr_b32 s7, s7, 27
	s_load_b32 s19, s[0:1], 0x1c
	s_add_i32 s3, s3, s7
	s_waitcnt lgkmcnt(0)
	v_ashrrev_i32_e32 v2, 31, v1
	v_or_b32_e32 v3, 16, v1
	s_ashr_i32 s3, s3, 5
	v_cmp_gt_i32_e32 vcc_lo, s18, v1
	s_add_i32 s3, s3, -1
	v_lshrrev_b32_e32 v2, 27, v2
	s_barrier
	buffer_gl0_inv
	s_mul_i32 s15, s15, s6
	v_mul_lo_u16 v103, v68, 52
	v_add_nc_u32_e32 v4, v1, v2
	v_mbcnt_lo_u32_b32 v127, -1, 0
	s_mul_i32 s20, s34, s4
	s_delay_alu instid0(SALU_CYCLE_1) | instskip(NEXT) | instid1(VALU_DEP_2)
	s_ashr_i32 s21, s20, 31
	v_ashrrev_i32_e32 v4, 5, v4
	v_add_nc_u32_e32 v2, v3, v2
	s_lshl_b64 s[20:21], s[20:21], 2
	v_lshrrev_b16 v103, 8, v103
	s_add_u32 s17, s12, s20
	v_cndmask_b32_e32 v1, s3, v4, vcc_lo
	v_ashrrev_i32_e32 v2, 5, v2
	v_cmp_gt_i32_e32 vcc_lo, s18, v3
	s_addc_u32 s13, s13, s21
	s_ashr_i32 s20, s15, 31
	s_add_u32 s22, s8, s15
	s_addc_u32 s23, s9, s20
	v_cndmask_b32_e32 v3, s3, v2, vcc_lo
	v_ashrrev_i32_e32 v2, 31, v1
	s_lshl_b32 s6, s14, 3
	v_mul_lo_u16 v103, v103, 5
	s_ashr_i32 s7, s6, 31
	v_ashrrev_i32_e32 v4, 31, v3
	v_lshlrev_b64 v[1:2], 2, v[1:2]
	s_lshl_b64 s[6:7], s[6:7], 2
	v_sub_nc_u16 v103, v68, v103
	s_add_u32 s6, s17, s6
	v_lshlrev_b64 v[3:4], 2, v[3:4]
	s_addc_u32 s7, s13, s7
	v_add_co_u32 v1, vcc_lo, s17, v1
	v_add_co_ci_u32_e32 v2, vcc_lo, s13, v2, vcc_lo
	s_delay_alu instid0(VALU_DEP_3) | instskip(NEXT) | instid1(VALU_DEP_4)
	v_add_co_u32 v3, vcc_lo, s17, v3
	v_add_co_ci_u32_e32 v4, vcc_lo, s13, v4, vcc_lo
	s_clause 0x1
	global_load_b32 v5, v[1:2], off
	global_load_b32 v6, v[3:4], off
	s_or_b32 s4, s16, 32
	v_xor_b32_e32 v128, 16, v127
	s_ashr_i32 s8, s4, 5
	s_cmp_lt_i32 s4, s18
	s_cselect_b32 s8, s8, s3
	s_delay_alu instid0(SALU_CYCLE_1) | instskip(NEXT) | instid1(SALU_CYCLE_1)
	s_ashr_i32 s9, s8, 31
	s_lshl_b64 s[8:9], s[8:9], 2
	s_delay_alu instid0(SALU_CYCLE_1) | instskip(SKIP_2) | instid1(SALU_CYCLE_1)
	s_add_u32 s8, s17, s8
	s_addc_u32 s9, s13, s9
	s_or_b32 s4, s16, 64
	s_ashr_i32 s12, s4, 5
	s_cmp_lt_i32 s4, s18
	s_cselect_b32 s24, s12, s3
	s_delay_alu instid0(SALU_CYCLE_1) | instskip(NEXT) | instid1(SALU_CYCLE_1)
	s_ashr_i32 s25, s24, 31
	s_lshl_b64 s[24:25], s[24:25], 2
	s_delay_alu instid0(SALU_CYCLE_1) | instskip(SKIP_2) | instid1(SALU_CYCLE_1)
	s_add_u32 s24, s17, s24
	s_addc_u32 s25, s13, s25
	s_or_b32 s4, s16, 0x60
	;; [unrolled: 10-line block ×4, first 2 shown]
	s_ashr_i32 s12, s4, 5
	s_cmp_lt_i32 s4, s18
	s_cselect_b32 s30, s12, s3
	s_delay_alu instid0(SALU_CYCLE_1) | instskip(NEXT) | instid1(SALU_CYCLE_1)
	s_ashr_i32 s31, s30, 31
	s_lshl_b64 s[30:31], s[30:31], 2
	s_delay_alu instid0(SALU_CYCLE_1)
	s_add_u32 s30, s17, s30
	s_addc_u32 s31, s13, s31
	s_clause 0x5
	s_load_b32 s12, s[6:7], 0x0
	s_load_b32 s4, s[8:9], 0x0
	;; [unrolled: 1-line block ×6, first 2 shown]
	s_or_b32 s21, s16, 0xc0
	s_waitcnt vmcnt(1)
	v_mad_i64_i32 v[1:2], null, v5, s5, s[22:23]
	v_lshlrev_b32_e32 v5, 4, v68
	s_waitcnt vmcnt(0)
	v_mad_i64_i32 v[3:4], null, v6, s5, s[22:23]
	s_ashr_i32 s22, s21, 5
	s_cmp_lt_i32 s21, s18
	s_delay_alu instid0(VALU_DEP_3) | instskip(NEXT) | instid1(VALU_DEP_4)
	v_add_co_u32 v1, vcc_lo, v1, v5
	v_add_co_ci_u32_e32 v2, vcc_lo, 0, v2, vcc_lo
	s_delay_alu instid0(VALU_DEP_3) | instskip(NEXT) | instid1(VALU_DEP_4)
	v_add_co_u32 v3, vcc_lo, v3, v5
	v_add_co_ci_u32_e32 v4, vcc_lo, 0, v4, vcc_lo
	s_clause 0x7
	global_load_b128 v[71:74], v[1:2], off
	global_load_b128 v[75:78], v[1:2], off offset:512
	global_load_b128 v[79:82], v[3:4], off offset:256
	;; [unrolled: 1-line block ×7, first 2 shown]
	s_cselect_b32 s22, s22, s3
	v_lshlrev_b32_e32 v1, 5, v68
	s_ashr_i32 s23, s22, 31
	v_cmp_gt_i32_e32 vcc_lo, 32, v128
	s_lshl_b64 s[22:23], s[22:23], 2
	v_and_b32_e32 v103, 0xff, v103
	s_add_u32 s22, s17, s22
	s_addc_u32 s23, s13, s23
	v_cndmask_b32_e32 v136, v127, v128, vcc_lo
	s_or_b32 s21, s16, 0xe0
	v_lshl_or_b32 v1, v69, 9, v1
	s_ashr_i32 s24, s21, 5
	s_cmp_lt_i32 s21, s18
	v_lshlrev_b32_e32 v115, 6, v103
	s_cselect_b32 s24, s24, s3
	s_load_b32 s3, s[22:23], 0x0
	s_ashr_i32 s25, s24, 31
	s_delay_alu instid0(SALU_CYCLE_1) | instskip(NEXT) | instid1(SALU_CYCLE_1)
	s_lshl_b64 s[24:25], s[24:25], 2
	s_add_u32 s22, s17, s24
	s_addc_u32 s23, s13, s25
	s_add_u32 s10, s10, s15
	s_addc_u32 s11, s11, s20
	v_add_co_u32 v1, s10, s10, v1
	s_delay_alu instid0(VALU_DEP_1) | instskip(SKIP_2) | instid1(VALU_DEP_1)
	v_add_co_ci_u32_e64 v2, null, s11, 0, s10
	s_load_b32 s10, s[22:23], 0x0
	s_waitcnt lgkmcnt(0)
	v_mad_i64_i32 v[3:4], null, s12, s5, v[1:2]
	v_mad_i64_i32 v[9:10], null, s7, s5, v[1:2]
	;; [unrolled: 1-line block ×7, first 2 shown]
	s_clause 0x5
	global_load_b128 v[49:52], v[3:4], off
	global_load_b128 v[53:56], v[3:4], off offset:16
	global_load_b128 v[41:44], v[5:6], off
	global_load_b128 v[45:48], v[5:6], off offset:16
	;; [unrolled: 2-line block ×3, first 2 shown]
	s_mov_b32 s4, 0
	v_mad_i64_i32 v[61:62], null, s10, s5, v[1:2]
	s_clause 0x9
	global_load_b128 v[1:4], v[9:10], off
	global_load_b128 v[5:8], v[9:10], off offset:16
	global_load_b128 v[9:12], v[13:14], off
	global_load_b128 v[13:16], v[13:14], off offset:16
	;; [unrolled: 2-line block ×5, first 2 shown]
	s_mov_b32 s5, s4
	s_mov_b32 s6, s4
	;; [unrolled: 1-line block ×7, first 2 shown]
	v_and_b32_e32 v104, 0xe0, v0
	v_dual_mov_b32 v126, s11 :: v_dual_mov_b32 v123, s8
	v_dual_mov_b32 v125, s10 :: v_dual_mov_b32 v124, s9
	s_delay_alu instid0(VALU_DEP_3)
	v_add_nc_u32_e32 v111, s16, v104
	ds_load_b128 v[103:106], v115
	ds_load_b128 v[107:110], v115 offset:1024
	v_dual_mov_b32 v122, s7 :: v_dual_mov_b32 v121, s6
	v_mov_b32_e32 v120, s5
	v_or_b32_e32 v135, v111, v66
	ds_load_b128 v[111:114], v115 offset:2048
	ds_load_b128 v[115:118], v115 offset:3072
	v_mov_b32_e32 v119, s4
	s_waitcnt vmcnt(0) lgkmcnt(0)
	s_barrier
	v_or_b32_e32 v137, 2, v135
	v_or_b32_e32 v138, 4, v135
	;; [unrolled: 1-line block ×3, first 2 shown]
	v_cmp_gt_i32_e32 vcc_lo, s18, v135
	v_or_b32_e32 v140, 8, v135
	v_cmp_gt_i32_e64 s3, s18, v137
	v_or_b32_e32 v141, 10, v135
	v_cmp_gt_i32_e64 s4, s18, v138
	v_cmp_gt_i32_e64 s5, s18, v139
	v_or_b32_e32 v142, 12, v135
	v_or_b32_e32 v143, 14, v135
	v_cmp_gt_i32_e64 s6, s18, v140
	v_cmp_gt_i32_e64 s7, s18, v141
	v_or_b32_e32 v144, 16, v135
	v_or_b32_e32 v145, 18, v135
	v_cmp_gt_i32_e64 s8, s18, v142
	v_cmp_gt_i32_e64 s9, s18, v143
	buffer_gl0_inv
	v_cmp_gt_i32_e64 s10, s18, v144
	v_cmp_gt_i32_e64 s11, s18, v145
	v_wmma_f32_16x16x16_f16 v[127:134], v[71:78], v[103:110], v[119:126]
	v_wmma_f32_16x16x16_f16 v[119:126], v[79:86], v[103:110], v[119:126]
	v_or_b32_e32 v71, 20, v135
	v_or_b32_e32 v72, 22, v135
	s_delay_alu instid0(VALU_DEP_4)
	v_wmma_f32_16x16x16_f16 v[127:134], v[87:94], v[111:118], v[127:134]
	v_or_b32_e32 v73, 24, v135
	v_wmma_f32_16x16x16_f16 v[119:126], v[95:102], v[111:118], v[119:126]
	v_or_b32_e32 v74, 26, v135
	v_cmp_gt_i32_e64 s12, s18, v71
	v_dual_mul_f32 v84, s19, v127 :: v_dual_mul_f32 v83, s19, v128
	s_delay_alu instid0(VALU_DEP_4) | instskip(SKIP_2) | instid1(VALU_DEP_4)
	v_dual_mul_f32 v92, s19, v119 :: v_dual_mul_f32 v81, s19, v130
	v_mul_f32_e32 v90, s19, v121
	v_mul_f32_e32 v82, s19, v129
	v_cndmask_b32_e32 v84, 0xff7fffff, v84, vcc_lo
	v_cndmask_b32_e64 v83, 0xff7fffff, v83, s3
	v_dual_mul_f32 v79, s19, v132 :: v_dual_mul_f32 v88, s19, v123
	v_mul_f32_e32 v80, s19, v131
	v_cndmask_b32_e64 v82, 0xff7fffff, v82, s4
	v_cndmask_b32_e64 v81, 0xff7fffff, v81, s5
	v_max3_f32 v83, v84, 0xff7fffff, v83
	v_dual_mul_f32 v77, s19, v134 :: v_dual_mul_f32 v86, s19, v125
	v_mul_f32_e32 v78, s19, v133
	v_cndmask_b32_e64 v80, 0xff7fffff, v80, s6
	v_cndmask_b32_e64 v79, 0xff7fffff, v79, s7
	v_max3_f32 v81, v83, v82, v81
	v_mul_f32_e32 v91, s19, v120
	v_cndmask_b32_e64 v78, 0xff7fffff, v78, s8
	v_cndmask_b32_e64 v77, 0xff7fffff, v77, s9
	v_mul_f32_e32 v89, s19, v122
	v_max3_f32 v79, v81, v80, v79
	v_cndmask_b32_e64 v80, 0xff7fffff, v92, s10
	v_cndmask_b32_e64 v81, 0xff7fffff, v91, s11
	v_cmp_gt_i32_e64 s13, s18, v72
	v_or_b32_e32 v75, 28, v135
	v_max3_f32 v77, v79, v78, v77
	v_or_b32_e32 v76, 30, v135
	v_mul_f32_e32 v87, s19, v124
	v_cndmask_b32_e64 v71, 0xff7fffff, v90, s12
	v_cndmask_b32_e64 v72, 0xff7fffff, v89, s13
	v_max3_f32 v77, v77, v80, v81
	v_cmp_gt_i32_e64 s15, s18, v73
	v_cmp_gt_i32_e64 s16, s18, v74
	v_mul_f32_e32 v85, s19, v126
	v_cmp_gt_i32_e64 s17, s18, v75
	v_max3_f32 v71, v77, v71, v72
	v_cndmask_b32_e64 v73, 0xff7fffff, v88, s15
	v_cndmask_b32_e64 v74, 0xff7fffff, v87, s16
	v_cmp_gt_i32_e64 s18, s18, v76
	v_cndmask_b32_e64 v72, 0xff7fffff, v86, s17
	s_delay_alu instid0(VALU_DEP_3) | instskip(NEXT) | instid1(VALU_DEP_3)
	v_max3_f32 v71, v71, v73, v74
	v_cndmask_b32_e64 v75, 0xff7fffff, v85, s18
	v_lshlrev_b32_e32 v73, 2, v136
	s_delay_alu instid0(VALU_DEP_2) | instskip(SKIP_3) | instid1(VALU_DEP_1)
	v_max3_f32 v71, v71, v72, v75
	ds_bpermute_b32 v72, v73, v71
	s_waitcnt lgkmcnt(0)
	v_max_f32_e32 v72, v72, v72
	v_max_f32_e32 v71, v71, v72
	s_delay_alu instid0(VALU_DEP_1) | instskip(SKIP_2) | instid1(VALU_DEP_3)
	v_fma_f32 v72, s19, v127, -v71
	v_fma_f32 v74, s19, v128, -v71
	;; [unrolled: 1-line block ×3, first 2 shown]
	v_mul_f32_e32 v72, 0x3fb8aa3b, v72
	s_delay_alu instid0(VALU_DEP_2) | instskip(NEXT) | instid1(VALU_DEP_2)
	v_dual_mul_f32 v74, 0x3fb8aa3b, v74 :: v_dual_mul_f32 v75, 0x3fb8aa3b, v75
	v_exp_f32_e32 v72, v72
	s_delay_alu instid0(VALU_DEP_1) | instskip(NEXT) | instid1(VALU_DEP_1)
	v_exp_f32_e32 v74, v74
	v_exp_f32_e32 v75, v75
	s_delay_alu instid0(TRANS32_DEP_3)
	v_cndmask_b32_e32 v79, 0, v72, vcc_lo
	s_waitcnt_depctr 0xfff
	v_cndmask_b32_e64 v78, 0, v74, s3
	v_cndmask_b32_e64 v81, 0, v75, s4
	v_cmp_gt_u32_e64 s3, 16, v70
	v_add_f32_e32 v74, 0, v79
	s_delay_alu instid0(VALU_DEP_1) | instskip(NEXT) | instid1(VALU_DEP_1)
	v_add_f32_e32 v74, v74, v78
	v_add_f32_e32 v74, v74, v81
	v_fma_f32 v76, s19, v130, -v71
	v_fma_f32 v77, s19, v131, -v71
	;; [unrolled: 1-line block ×5, first 2 shown]
	s_delay_alu instid0(VALU_DEP_4) | instskip(NEXT) | instid1(VALU_DEP_4)
	v_dual_mul_f32 v76, 0x3fb8aa3b, v76 :: v_dual_mul_f32 v77, 0x3fb8aa3b, v77
	v_mul_f32_e32 v72, 0x3fb8aa3b, v72
	s_delay_alu instid0(VALU_DEP_4) | instskip(SKIP_1) | instid1(VALU_DEP_4)
	v_mul_f32_e32 v82, 0x3fb8aa3b, v80
	v_fma_f32 v86, s19, v122, -v71
	v_exp_f32_e32 v76, v76
	v_exp_f32_e32 v77, v77
	;; [unrolled: 1-line block ×4, first 2 shown]
	v_mul_f32_e32 v86, 0x3fb8aa3b, v86
	s_delay_alu instid0(VALU_DEP_1)
	v_exp_f32_e32 v88, v86
	v_cndmask_b32_e64 v80, 0, v76, s5
	v_mul_f32_e32 v75, 0x3fb8aa3b, v75
	v_fma_f32 v76, s19, v119, -v71
	v_cndmask_b32_e64 v83, 0, v77, s6
	v_fma_f32 v77, s19, v120, -v71
	v_add_f32_e32 v74, v74, v80
	v_exp_f32_e32 v75, v75
	v_mul_f32_e32 v76, 0x3fb8aa3b, v76
	v_cndmask_b32_e64 v82, 0, v72, s7
	s_delay_alu instid0(VALU_DEP_3) | instskip(SKIP_1) | instid1(VALU_DEP_4)
	v_dual_mul_f32 v77, 0x3fb8aa3b, v77 :: v_dual_add_f32 v72, v74, v83
	v_fma_f32 v74, s19, v121, -v71
	v_exp_f32_e32 v76, v76
	v_cndmask_b32_e64 v85, 0, v84, s8
	s_delay_alu instid0(VALU_DEP_3) | instskip(SKIP_1) | instid1(TRANS32_DEP_3)
	v_exp_f32_e32 v77, v77
	v_cndmask_b32_e64 v88, 0, v88, s13
	v_cndmask_b32_e64 v84, 0, v75, s9
	v_fma_f32 v75, s19, v123, -v71
	v_add_f32_e32 v72, v72, v82
	s_delay_alu instid0(VALU_DEP_2) | instskip(NEXT) | instid1(VALU_DEP_2)
	v_dual_mul_f32 v74, 0x3fb8aa3b, v74 :: v_dual_mul_f32 v75, 0x3fb8aa3b, v75
	v_add_f32_e32 v72, v72, v85
	s_delay_alu instid0(VALU_DEP_2)
	v_exp_f32_e32 v74, v74
	v_cndmask_b32_e64 v87, 0, v76, s10
	v_fma_f32 v76, s19, v124, -v71
	v_cndmask_b32_e64 v86, 0, v77, s11
	v_add_f32_e32 v72, v72, v84
	v_fma_f32 v77, s19, v125, -v71
	v_exp_f32_e32 v75, v75
	v_mul_f32_e32 v76, 0x3fb8aa3b, v76
	s_delay_alu instid0(VALU_DEP_3) | instskip(NEXT) | instid1(TRANS32_DEP_2)
	v_add_f32_e32 v72, v72, v87
	v_cndmask_b32_e64 v89, 0, v74, s12
	v_mul_f32_e32 v74, 0x3fb8aa3b, v77
	s_delay_alu instid0(VALU_DEP_4) | instskip(SKIP_2) | instid1(VALU_DEP_3)
	v_exp_f32_e32 v76, v76
	v_fma_f32 v77, s19, v126, -v71
	v_add_f32_e32 v72, v72, v86
	v_exp_f32_e32 v74, v74
	s_delay_alu instid0(TRANS32_DEP_3) | instskip(NEXT) | instid1(VALU_DEP_3)
	v_cndmask_b32_e64 v91, 0, v75, s15
	v_mul_f32_e32 v75, 0x3fb8aa3b, v77
	s_delay_alu instid0(VALU_DEP_3) | instskip(NEXT) | instid1(TRANS32_DEP_2)
	v_add_f32_e32 v72, v72, v89
	v_cndmask_b32_e64 v90, 0, v76, s16
	s_delay_alu instid0(VALU_DEP_3) | instskip(NEXT) | instid1(VALU_DEP_2)
	v_exp_f32_e32 v75, v75
	v_add_f32_e32 v72, v72, v88
	s_delay_alu instid0(TRANS32_DEP_2) | instskip(NEXT) | instid1(VALU_DEP_2)
	v_cndmask_b32_e64 v93, 0, v74, s17
	v_add_f32_e32 v72, v72, v91
	s_waitcnt_depctr 0xfff
	v_cndmask_b32_e64 v92, 0, v75, s18
	v_add_f32_e32 v72, v72, v90
	s_delay_alu instid0(VALU_DEP_1) | instskip(NEXT) | instid1(VALU_DEP_1)
	v_add_f32_e32 v72, v72, v93
	v_add_f32_e32 v72, v72, v92
	ds_bpermute_b32 v73, v73, v72
	s_and_saveexec_b32 s4, s3
	s_cbranch_execz .LBB1170_12
; %bb.11:
	v_mul_u32_u24_e32 v70, 0x44, v69
	s_waitcnt lgkmcnt(0)
	v_add_f32_e32 v72, v72, v73
	s_delay_alu instid0(VALU_DEP_2) | instskip(NEXT) | instid1(VALU_DEP_1)
	v_lshl_add_u32 v70, v68, 2, v70
	v_add_nc_u32_e32 v70, 0x4000, v70
	ds_store_2addr_b32 v70, v71, v72 offset1:136
.LBB1170_12:
	s_or_b32 exec_lo, exec_lo, s4
	v_lshlrev_b32_e32 v70, 2, v68
	s_load_b32 s36, s[0:1], 0x94
	s_waitcnt lgkmcnt(0)
	s_barrier
	buffer_gl0_inv
	v_add_nc_u32_e32 v98, 0x4000, v70
	v_cmp_eq_u32_e32 vcc_lo, 1, v69
	v_cmp_eq_u32_e64 s4, 2, v69
	v_cmp_eq_u32_e64 s5, 3, v69
	;; [unrolled: 1-line block ×3, first 2 shown]
	ds_load_2addr_b32 v[70:71], v98 offset1:17
	ds_load_2addr_b32 v[72:73], v98 offset0:34 offset1:51
	ds_load_2addr_b32 v[74:75], v98 offset0:68 offset1:85
	;; [unrolled: 1-line block ×3, first 2 shown]
	v_cmp_eq_u32_e64 s7, 5, v69
	v_cmp_eq_u32_e64 s8, 7, v69
	s_waitcnt lgkmcnt(3)
	v_max3_f32 v76, v70, 0xff7fffff, v71
	s_waitcnt lgkmcnt(2)
	s_delay_alu instid0(VALU_DEP_1) | instskip(SKIP_1) | instid1(VALU_DEP_1)
	v_max3_f32 v76, v76, v72, v73
	s_waitcnt lgkmcnt(1)
	v_max3_f32 v76, v76, v74, v75
	s_waitcnt lgkmcnt(0)
	s_delay_alu instid0(VALU_DEP_1) | instskip(NEXT) | instid1(VALU_DEP_1)
	v_max3_f32 v76, v76, v94, v95
	v_sub_f32_e32 v77, v71, v76
	ds_load_2addr_b32 v[96:97], v98 offset0:136 offset1:153
	v_sub_f32_e32 v74, v74, v76
	v_sub_f32_e32 v70, v70, v76
	;; [unrolled: 1-line block ×3, first 2 shown]
	v_dual_sub_f32 v72, v72, v76 :: v_dual_mul_f32 v77, 0x3fb8aa3b, v77
	s_delay_alu instid0(VALU_DEP_4) | instskip(NEXT) | instid1(VALU_DEP_4)
	v_mul_f32_e32 v103, 0x3fb8aa3b, v74
	v_mul_f32_e32 v99, 0x3fb8aa3b, v70
	ds_load_2addr_b32 v[70:71], v98 offset0:170 offset1:187
	v_dual_mul_f32 v101, 0x3fb8aa3b, v72 :: v_dual_mul_f32 v94, 0x3fb8aa3b, v94
	v_exp_f32_e32 v102, v77
	v_exp_f32_e32 v99, v99
	s_delay_alu instid0(VALU_DEP_1) | instskip(NEXT) | instid1(VALU_DEP_1)
	v_exp_f32_e32 v101, v101
	v_exp_f32_e32 v94, v94
	s_waitcnt lgkmcnt(1)
	s_delay_alu instid0(TRANS32_DEP_3)
	v_fma_f32 v77, v99, v96, 0
	v_sub_f32_e32 v100, v73, v76
	ds_load_2addr_b32 v[72:73], v98 offset0:204 offset1:221
	v_fmac_f32_e32 v77, v102, v97
	v_exp_f32_e32 v97, v103
	s_waitcnt lgkmcnt(1)
	s_delay_alu instid0(VALU_DEP_1)
	v_dual_fmac_f32 v77, v101, v70 :: v_dual_sub_f32 v96, v75, v76
	ds_load_2addr_b32 v[74:75], v98 offset0:238 offset1:255
	v_sub_f32_e32 v70, v95, v76
	s_waitcnt lgkmcnt(0)
	s_barrier
	v_mul_f32_e32 v96, 0x3fb8aa3b, v96
	buffer_gl0_inv
	v_exp_f32_e32 v95, v96
	v_mul_f32_e32 v100, 0x3fb8aa3b, v100
	s_delay_alu instid0(VALU_DEP_1) | instskip(SKIP_3) | instid1(VALU_DEP_2)
	v_exp_f32_e32 v100, v100
	s_waitcnt_depctr 0xfff
	v_dual_fmac_f32 v77, v100, v71 :: v_dual_mul_f32 v70, 0x3fb8aa3b, v70
	v_cndmask_b32_e32 v71, v99, v102, vcc_lo
	v_fmac_f32_e32 v77, v97, v72
	s_delay_alu instid0(VALU_DEP_3) | instskip(NEXT) | instid1(VALU_DEP_1)
	v_exp_f32_e32 v96, v70
	v_fmac_f32_e32 v77, v95, v73
	s_delay_alu instid0(VALU_DEP_1) | instskip(SKIP_2) | instid1(VALU_DEP_1)
	v_fmac_f32_e32 v77, v94, v74
	s_waitcnt_depctr 0xfff
	v_fmac_f32_e32 v77, v96, v75
	v_add_f32_e32 v74, 0x358637bd, v77
	s_delay_alu instid0(VALU_DEP_1) | instskip(SKIP_1) | instid1(VALU_DEP_2)
	v_div_scale_f32 v98, null, v74, v74, 1.0
	v_div_scale_f32 v99, vcc_lo, 1.0, v74, 1.0
	v_rcp_f32_e32 v103, v98
	s_waitcnt_depctr 0xfff
	v_fma_f32 v70, -v98, v103, 1.0
	s_delay_alu instid0(VALU_DEP_1) | instskip(SKIP_2) | instid1(VALU_DEP_2)
	v_fmac_f32_e32 v103, v70, v103
	v_cndmask_b32_e64 v70, v71, v101, s4
	v_cmp_eq_u32_e64 s4, 6, v69
	v_cndmask_b32_e64 v71, v70, v100, s5
	s_delay_alu instid0(VALU_DEP_4) | instskip(NEXT) | instid1(VALU_DEP_2)
	v_dual_mul_f32 v101, v99, v103 :: v_dual_lshlrev_b32 v70, 2, v66
	v_cndmask_b32_e64 v71, v71, v97, s6
	s_delay_alu instid0(VALU_DEP_2) | instskip(NEXT) | instid1(VALU_DEP_3)
	v_or_b32_e32 v72, 1, v70
	v_fma_f32 v100, -v98, v101, v99
	v_cmp_eq_u32_e64 s5, 1, v70
	v_cmp_eq_u32_e64 s6, 2, v70
	v_cndmask_b32_e64 v95, v71, v95, s7
	v_or_b32_e32 v71, 3, v70
	v_fmac_f32_e32 v101, v100, v103
	v_cmp_eq_u32_e64 s10, 1, v72
	v_cmp_eq_u32_e64 s13, 2, v72
	v_cndmask_b32_e64 v94, v95, v94, s4
	v_cmp_eq_u32_e64 s12, 1, v71
	v_fma_f32 v97, -v98, v101, v99
	v_cmp_eq_u32_e64 s17, 2, v71
	v_cmp_eq_u32_e64 s15, 3, v72
	v_cndmask_b32_e64 v94, v94, v96, s8
	v_cmp_eq_u32_e64 s19, 3, v71
	v_div_fmas_f32 v95, v97, v103, v101
	v_cmp_eq_u32_e32 vcc_lo, 3, v70
	v_cmp_eq_u32_e64 s4, 4, v70
	v_cmp_eq_u32_e64 s20, 4, v72
	;; [unrolled: 1-line block ×3, first 2 shown]
	v_div_fixup_f32 v95, v95, v74, 1.0
	v_lshlrev_b32_e32 v73, 6, v68
	v_cmp_eq_u32_e64 s7, 5, v70
	v_cmp_eq_u32_e64 s21, 5, v72
	;; [unrolled: 1-line block ×3, first 2 shown]
	v_mul_f32_e32 v102, v94, v95
	v_lshl_or_b32 v75, v69, 11, v73
	v_or_b32_e32 v69, 2, v70
	v_cmp_eq_u32_e64 s26, 6, v72
	v_cmp_eq_u32_e64 s28, 6, v71
	v_fma_mixlo_f16 v94, v102, v79, 0
	v_fma_mixlo_f16 v95, v102, v81, 0
	;; [unrolled: 1-line block ×8, first 2 shown]
	v_lshl_or_b32 v74, v66, 4, v75
	v_fma_mixhi_f16 v94, v102, v78, 0
	v_fma_mixhi_f16 v95, v102, v80, 0
	;; [unrolled: 1-line block ×8, first 2 shown]
	ds_store_b128 v74, v[94:97]
	ds_store_b128 v74, v[98:101] offset:1024
	s_waitcnt lgkmcnt(0)
	s_barrier
	buffer_gl0_inv
	ds_load_b128 v[78:81], v75
	ds_load_b128 v[82:85], v75 offset:16
	ds_load_b128 v[86:89], v75 offset:1024
	;; [unrolled: 1-line block ×3, first 2 shown]
	v_cmp_eq_u32_e64 s11, 1, v69
	v_cmp_eq_u32_e64 s16, 2, v69
	;; [unrolled: 1-line block ×11, first 2 shown]
	s_waitcnt lgkmcnt(3)
	v_lshrrev_b32_e32 v94, 16, v78
	s_waitcnt lgkmcnt(2)
	v_lshrrev_b32_e32 v98, 16, v82
	;; [unrolled: 2-line block ×4, first 2 shown]
	v_lshrrev_b32_e32 v95, 16, v79
	v_cndmask_b32_e64 v110, v78, v94, s5
	v_cndmask_b32_e64 v111, v82, v98, s5
	;; [unrolled: 1-line block ×8, first 2 shown]
	v_lshrrev_b32_e32 v99, 16, v83
	v_cndmask_b32_e64 v94, v86, v102, s5
	v_cndmask_b32_e64 v98, v90, v106, s5
	;; [unrolled: 1-line block ×15, first 2 shown]
	v_lshrrev_b32_e32 v103, 16, v87
	v_lshrrev_b32_e32 v107, 16, v91
	v_cndmask_b32_e64 v113, v115, v83, s16
	v_cndmask_b32_e64 v82, v94, v87, s6
	;; [unrolled: 1-line block ×7, first 2 shown]
	v_cndmask_b32_e32 v90, v102, v95, vcc_lo
	v_cndmask_b32_e32 v102, v106, v99, vcc_lo
	v_cndmask_b32_e64 v106, v110, v95, s15
	v_cndmask_b32_e64 v110, v111, v99, s15
	v_cndmask_b32_e64 v78, v78, v95, s19
	v_cndmask_b32_e64 v79, v79, v99, s19
	v_lshrrev_b32_e32 v96, 16, v80
	v_lshrrev_b32_e32 v100, 16, v84
	v_cndmask_b32_e64 v111, v112, v95, s18
	v_cndmask_b32_e64 v112, v113, v99, s18
	v_cndmask_b32_e32 v82, v82, v103, vcc_lo
	v_cndmask_b32_e32 v83, v83, v107, vcc_lo
	v_cndmask_b32_e64 v94, v94, v103, s15
	v_cndmask_b32_e64 v90, v90, v80, s4
	;; [unrolled: 1-line block ×7, first 2 shown]
	v_lshrrev_b32_e32 v104, 16, v88
	v_cndmask_b32_e64 v106, v111, v80, s22
	v_cndmask_b32_e64 v110, v112, v84, s22
	;; [unrolled: 1-line block ×11, first 2 shown]
	v_lshrrev_b32_e32 v97, 16, v81
	v_lshrrev_b32_e32 v101, 16, v85
	v_cndmask_b32_e64 v99, v106, v96, s24
	v_cndmask_b32_e64 v102, v110, v100, s24
	;; [unrolled: 1-line block ×7, first 2 shown]
	v_lshrrev_b32_e32 v105, 16, v89
	v_cndmask_b32_e64 v80, v80, v104, s7
	v_cndmask_b32_e64 v84, v84, v81, s8
	;; [unrolled: 1-line block ×16, first 2 shown]
	v_perm_b32 v81, v79, v78, 0x5040100
	v_perm_b32 v79, v95, v85, 0x5040100
	v_cndmask_b32_e64 v78, v119, v91, s16
	v_cndmask_b32_e64 v85, v117, v91, s13
	;; [unrolled: 1-line block ×3, first 2 shown]
	v_perm_b32 v80, v94, v90, 0x5040100
	v_cndmask_b32_e64 v90, v98, v103, s18
	v_cndmask_b32_e64 v86, v86, v103, s19
	;; [unrolled: 1-line block ×5, first 2 shown]
	v_lshrrev_b32_e32 v108, 16, v92
	v_cndmask_b32_e64 v90, v90, v88, s22
	v_cndmask_b32_e64 v86, v86, v88, s23
	;; [unrolled: 1-line block ×11, first 2 shown]
	v_lshrrev_b32_e32 v109, 16, v93
	v_cndmask_b32_e64 v82, v82, v93, s8
	v_cndmask_b32_e64 v88, v88, v89, s27
	;; [unrolled: 1-line block ×12, first 2 shown]
	v_perm_b32 v78, v84, v83, 0x5040100
	v_perm_b32 v85, v87, v86, 0x5040100
	;; [unrolled: 1-line block ×5, first 2 shown]
	s_mul_i32 s9, s35, 5
	s_mov_b32 s4, exec_lo
	ds_store_b128 v74, v[78:81]
	ds_store_b128 v74, v[82:85] offset:1024
	v_cmpx_gt_u32_e32 5, v0
	s_cbranch_execz .LBB1170_14
; %bb.13:
	s_mul_i32 s5, s9, s34
	s_load_b128 s[16:19], s[0:1], 0x58
	v_add3_u32 v68, s5, s33, v68
	s_delay_alu instid0(VALU_DEP_1) | instskip(NEXT) | instid1(VALU_DEP_1)
	v_mad_u64_u32 v[78:79], null, v68, s36, s[14:15]
	v_ashrrev_i32_e32 v79, 31, v78
	s_delay_alu instid0(VALU_DEP_1) | instskip(SKIP_1) | instid1(VALU_DEP_1)
	v_lshlrev_b64 v[78:79], 2, v[78:79]
	s_waitcnt lgkmcnt(0)
	v_add_co_u32 v80, vcc_lo, s18, v78
	s_delay_alu instid0(VALU_DEP_2)
	v_add_co_ci_u32_e32 v81, vcc_lo, s19, v79, vcc_lo
	v_add_co_u32 v78, vcc_lo, s16, v78
	v_add_co_ci_u32_e32 v79, vcc_lo, s17, v79, vcc_lo
	global_store_b32 v[80:81], v76, off
	global_store_b32 v[78:79], v77, off
.LBB1170_14:
	s_or_b32 exec_lo, exec_lo, s4
	s_waitcnt lgkmcnt(0)
	s_waitcnt_vscnt null, 0x0
	s_barrier
	buffer_gl0_inv
	ds_load_b128 v[84:87], v73
	ds_load_b128 v[88:91], v73 offset:16
	ds_load_b128 v[96:99], v73 offset:2064
	;; [unrolled: 1-line block ×5, first 2 shown]
	v_cmp_eq_u32_e32 vcc_lo, 1, v70
	v_mov_b32_e32 v76, 0
	ds_load_b128 v[112:115], v73 offset:6160
	ds_load_b128 v[108:111], v73 offset:6144
	ds_load_b128 v[120:123], v73 offset:8208
	ds_load_b128 v[116:119], v73 offset:8192
	v_cmp_eq_u32_e64 s5, 1, v69
	v_cmp_eq_u32_e64 s4, 1, v72
	;; [unrolled: 1-line block ×3, first 2 shown]
	v_mov_b32_e32 v77, v76
	v_mov_b32_e32 v78, v76
	v_mov_b32_e32 v79, v76
	v_mov_b32_e32 v80, v76
	v_mov_b32_e32 v81, v76
	v_mov_b32_e32 v82, v76
	v_mov_b32_e32 v83, v76
	v_cmp_eq_u32_e64 s7, 3, v72
	v_cmp_eq_u32_e64 s8, 7, v72
	s_waitcnt lgkmcnt(8)
	s_delay_alu instid0(VALU_DEP_3)
	v_wmma_f32_16x16x16_f16 v[76:83], v[49:56], v[84:91], v[76:83]
	ds_load_b128 v[53:56], v73 offset:10256
	ds_load_b128 v[49:52], v73 offset:10240
	s_waitcnt lgkmcnt(8)
	v_wmma_f32_16x16x16_f16 v[76:83], v[41:48], v[92:99], v[76:83]
	ds_load_b128 v[45:48], v73 offset:12304
	ds_load_b128 v[41:44], v73 offset:12288
	s_waitcnt lgkmcnt(8)
	;; [unrolled: 4-line block ×3, first 2 shown]
	s_barrier
	buffer_gl0_inv
	v_wmma_f32_16x16x16_f16 v[76:83], v[1:8], v[108:115], v[76:83]
	s_delay_alu instid0(VALU_DEP_1) | instskip(NEXT) | instid1(VALU_DEP_1)
	v_wmma_f32_16x16x16_f16 v[76:83], v[9:16], v[116:123], v[76:83]
	v_wmma_f32_16x16x16_f16 v[76:83], v[17:24], v[49:56], v[76:83]
	s_delay_alu instid0(VALU_DEP_1) | instskip(NEXT) | instid1(VALU_DEP_1)
	v_wmma_f32_16x16x16_f16 v[76:83], v[25:32], v[41:48], v[76:83]
	v_wmma_f32_16x16x16_f16 v[76:83], v[57:64], v[33:40], v[76:83]
	s_delay_alu instid0(VALU_DEP_1) | instskip(NEXT) | instid1(VALU_DEP_2)
	v_cvt_f16_f32_e32 v1, v76
	v_cvt_f16_f32_e32 v2, v77
	s_delay_alu instid0(VALU_DEP_3) | instskip(NEXT) | instid1(VALU_DEP_4)
	v_cvt_f16_f32_e32 v3, v78
	v_cvt_f16_f32_e32 v4, v79
	;; [unrolled: 1-line block ×6, first 2 shown]
	v_pack_b32_f16 v1, v1, v2
	v_pack_b32_f16 v2, v3, v4
	;; [unrolled: 1-line block ×3, first 2 shown]
	s_delay_alu instid0(VALU_DEP_4)
	v_pack_b32_f16 v4, v7, v8
	ds_store_b128 v74, v[1:4]
	s_waitcnt lgkmcnt(0)
	s_barrier
	buffer_gl0_inv
	ds_load_b128 v[1:4], v75
	ds_load_b128 v[5:8], v75 offset:16
	s_waitcnt lgkmcnt(1)
	v_lshrrev_b32_e32 v9, 16, v1
	s_waitcnt lgkmcnt(0)
	v_lshrrev_b32_e32 v13, 16, v5
	v_lshrrev_b32_e32 v10, 16, v2
	;; [unrolled: 1-line block ×4, first 2 shown]
	v_cndmask_b32_e32 v17, v1, v9, vcc_lo
	v_cndmask_b32_e32 v18, v5, v13, vcc_lo
	v_cndmask_b32_e64 v21, v1, v9, s5
	v_cmp_eq_u32_e32 vcc_lo, 1, v71
	v_cndmask_b32_e64 v22, v5, v13, s5
	v_cmp_eq_u32_e64 s5, 2, v70
	v_cndmask_b32_e64 v19, v1, v9, s4
	v_cndmask_b32_e64 v20, v5, v13, s4
	v_cndmask_b32_e32 v1, v1, v9, vcc_lo
	v_cmp_eq_u32_e64 s4, 2, v71
	v_cndmask_b32_e32 v5, v5, v13, vcc_lo
	v_cndmask_b32_e64 v9, v17, v2, s5
	v_cmp_eq_u32_e32 vcc_lo, 3, v70
	v_cndmask_b32_e64 v13, v18, v6, s5
	v_cmp_eq_u32_e64 s5, 2, v69
	v_cndmask_b32_e64 v17, v19, v2, s6
	v_cndmask_b32_e64 v18, v20, v6, s6
	v_cmp_eq_u32_e64 s6, 3, v69
	v_cndmask_b32_e64 v1, v1, v2, s4
	v_cndmask_b32_e64 v19, v21, v2, s5
	;; [unrolled: 1-line block ×4, first 2 shown]
	v_cndmask_b32_e32 v5, v9, v10, vcc_lo
	v_cndmask_b32_e32 v6, v13, v14, vcc_lo
	v_cmp_eq_u32_e32 vcc_lo, 3, v71
	v_cndmask_b32_e64 v9, v17, v10, s7
	v_cndmask_b32_e64 v13, v18, v14, s7
	;; [unrolled: 1-line block ×3, first 2 shown]
	v_cmp_eq_u32_e64 s5, 4, v70
	v_cndmask_b32_e32 v1, v1, v10, vcc_lo
	v_cndmask_b32_e32 v2, v2, v14, vcc_lo
	v_cmp_eq_u32_e32 vcc_lo, 4, v72
	v_lshrrev_b32_e32 v15, 16, v7
	v_lshrrev_b32_e32 v16, 16, v8
	v_cndmask_b32_e64 v17, v19, v10, s6
	v_cmp_eq_u32_e64 s4, 4, v71
	v_cndmask_b32_e64 v5, v5, v3, s5
	v_cndmask_b32_e64 v6, v6, v7, s5
	v_cndmask_b32_e32 v9, v9, v3, vcc_lo
	v_cmp_eq_u32_e64 s5, 5, v72
	v_cndmask_b32_e32 v10, v13, v7, vcc_lo
	v_cmp_eq_u32_e32 vcc_lo, 4, v69
	v_cmp_eq_u32_e64 s6, 5, v70
	v_cndmask_b32_e64 v2, v2, v7, s4
	v_cndmask_b32_e64 v9, v9, v11, s5
	;; [unrolled: 1-line block ×3, first 2 shown]
	v_cndmask_b32_e32 v13, v17, v3, vcc_lo
	v_cmp_eq_u32_e64 s5, 5, v69
	v_cndmask_b32_e32 v14, v18, v7, vcc_lo
	v_cndmask_b32_e64 v1, v1, v3, s4
	v_cmp_eq_u32_e32 vcc_lo, 5, v71
	v_lshrrev_b32_e32 v12, 16, v4
	v_cndmask_b32_e64 v13, v13, v11, s5
	v_cndmask_b32_e64 v3, v14, v15, s5
	v_cmp_eq_u32_e64 s5, 6, v71
	v_cndmask_b32_e32 v1, v1, v11, vcc_lo
	v_cndmask_b32_e64 v5, v5, v11, s6
	v_cmp_eq_u32_e64 s7, 6, v70
	v_cndmask_b32_e64 v6, v6, v15, s6
	v_cmp_eq_u32_e64 s6, 6, v72
	v_cmp_eq_u32_e64 s4, 6, v69
	v_cndmask_b32_e64 v1, v1, v4, s5
	v_cndmask_b32_e32 v2, v2, v15, vcc_lo
	v_cmp_eq_u32_e32 vcc_lo, 7, v71
	v_cndmask_b32_e64 v5, v5, v4, s7
	v_cndmask_b32_e64 v9, v9, v4, s6
	v_cndmask_b32_e64 v6, v6, v8, s7
	v_cmp_eq_u32_e64 s7, 7, v70
	v_cndmask_b32_e32 v1, v1, v12, vcc_lo
	v_cndmask_b32_e64 v7, v13, v4, s4
	v_cndmask_b32_e64 v3, v3, v8, s4
	;; [unrolled: 1-line block ×3, first 2 shown]
	v_cmp_eq_u32_e64 s4, 7, v69
	v_cndmask_b32_e64 v4, v10, v8, s6
	v_cndmask_b32_e64 v5, v5, v12, s7
	;; [unrolled: 1-line block ×3, first 2 shown]
	v_cndmask_b32_e32 v2, v2, v16, vcc_lo
	v_cndmask_b32_e64 v7, v7, v12, s4
	v_cndmask_b32_e64 v3, v3, v16, s4
	v_cndmask_b32_e64 v8, v4, v16, s8
	v_cndmask_b32_e64 v6, v6, v16, s7
	v_cmp_gt_u32_e32 vcc_lo, 32, v0
	v_perm_b32 v4, v2, v1, 0x5040100
	v_perm_b32 v3, v3, v7, 0x5040100
	;; [unrolled: 1-line block ×4, first 2 shown]
	s_and_b32 s2, vcc_lo, s2
	ds_store_b128 v74, v[1:4]
	s_waitcnt lgkmcnt(0)
	s_barrier
	buffer_gl0_inv
	s_and_saveexec_b32 s4, s2
	s_cbranch_execz .LBB1170_2
; %bb.15:
	s_load_b64 s[4:5], s[0:1], 0x68
	v_lshlrev_b32_e32 v0, 10, v0
	v_add_nc_u32_e32 v2, s33, v66
	v_lshlrev_b32_e32 v3, 4, v67
	s_lshl_b32 s0, s36, 6
	s_delay_alu instid0(SALU_CYCLE_1) | instskip(NEXT) | instid1(VALU_DEP_2)
	s_mul_i32 s1, s0, s34
	v_mul_lo_u32 v1, v2, s0
	s_delay_alu instid0(VALU_DEP_2) | instskip(SKIP_2) | instid1(SALU_CYCLE_1)
	v_and_or_b32 v0, 0x3800, v0, v3
	v_add_nc_u32_e32 v2, 2, v2
	s_mul_i32 s6, s1, s9
	s_ashr_i32 s7, s6, 31
	s_delay_alu instid0(VALU_DEP_2)
	v_lshl_or_b32 v7, v66, 6, v0
	s_lshl_b64 s[6:7], s[6:7], 1
	v_mul_lo_u32 v11, v2, s0
	v_ashrrev_i32_e32 v2, 31, v1
	ds_load_b128 v[3:6], v7
	ds_load_b128 v[7:10], v7 offset:128
	s_waitcnt lgkmcnt(0)
	s_add_u32 s1, s4, s6
	s_addc_u32 s2, s5, s7
	s_lshl_b32 s4, s14, 6
	v_ashrrev_i32_e32 v12, 31, v11
	s_ashr_i32 s5, s4, 31
	v_lshlrev_b64 v[13:14], 1, v[1:2]
	s_lshl_b64 s[4:5], s[4:5], 1
	s_delay_alu instid0(SALU_CYCLE_1) | instskip(SKIP_2) | instid1(VALU_DEP_1)
	s_add_u32 s1, s1, s4
	s_addc_u32 s2, s2, s5
	v_add_co_u32 v1, s1, s1, v65
	v_add_co_ci_u32_e64 v2, null, s2, 0, s1
	v_lshlrev_b64 v[11:12], 1, v[11:12]
	s_delay_alu instid0(VALU_DEP_3) | instskip(NEXT) | instid1(VALU_DEP_3)
	v_add_co_u32 v13, vcc_lo, v1, v13
	v_add_co_ci_u32_e32 v14, vcc_lo, v2, v14, vcc_lo
	s_delay_alu instid0(VALU_DEP_3) | instskip(NEXT) | instid1(VALU_DEP_4)
	v_add_co_u32 v11, vcc_lo, v1, v11
	v_add_co_ci_u32_e32 v12, vcc_lo, v2, v12, vcc_lo
	s_clause 0x1
	global_store_b128 v[13:14], v[3:6], off
	global_store_b128 v[11:12], v[7:10], off
	s_and_b32 exec_lo, exec_lo, s3
	s_cbranch_execz .LBB1170_2
; %bb.16:
	ds_load_b128 v[3:6], v0 offset:256
	s_add_i32 s1, s33, 4
	s_delay_alu instid0(SALU_CYCLE_1) | instskip(NEXT) | instid1(SALU_CYCLE_1)
	s_mul_i32 s0, s1, s0
	s_ashr_i32 s1, s0, 31
	s_delay_alu instid0(SALU_CYCLE_1) | instskip(NEXT) | instid1(SALU_CYCLE_1)
	s_lshl_b64 s[0:1], s[0:1], 1
	v_add_co_u32 v0, vcc_lo, v1, s0
	v_add_co_ci_u32_e32 v1, vcc_lo, s1, v2, vcc_lo
	s_waitcnt lgkmcnt(0)
	global_store_b128 v[0:1], v[3:6], off
	s_nop 0
	s_sendmsg sendmsg(MSG_DEALLOC_VGPRS)
	s_endpgm
	.section	.rodata,"a",@progbits
	.p2align	6, 0x0
	.amdhsa_kernel _Z39paged_attention_ll4mi_QKV_mfma16_kernelIDF16_hLN4vllm18Fp8KVCacheDataTypeE1EhLi32ELi64ELi256ELb0ELi5EL8MFMAType0EEvPKT_PKT0_S8_ifPKiSA_SA_iPKfiiiPfSD_PS3_PT2_iSC_SC_
		.amdhsa_group_segment_fixed_size 17472
		.amdhsa_private_segment_fixed_size 0
		.amdhsa_kernarg_size 400
		.amdhsa_user_sgpr_count 13
		.amdhsa_user_sgpr_dispatch_ptr 0
		.amdhsa_user_sgpr_queue_ptr 0
		.amdhsa_user_sgpr_kernarg_segment_ptr 1
		.amdhsa_user_sgpr_dispatch_id 0
		.amdhsa_user_sgpr_private_segment_size 0
		.amdhsa_wavefront_size32 1
		.amdhsa_uses_dynamic_stack 0
		.amdhsa_enable_private_segment 0
		.amdhsa_system_sgpr_workgroup_id_x 1
		.amdhsa_system_sgpr_workgroup_id_y 1
		.amdhsa_system_sgpr_workgroup_id_z 1
		.amdhsa_system_sgpr_workgroup_info 0
		.amdhsa_system_vgpr_workitem_id 0
		.amdhsa_next_free_vgpr 146
		.amdhsa_next_free_sgpr 37
		.amdhsa_reserve_vcc 1
		.amdhsa_float_round_mode_32 0
		.amdhsa_float_round_mode_16_64 0
		.amdhsa_float_denorm_mode_32 3
		.amdhsa_float_denorm_mode_16_64 3
		.amdhsa_dx10_clamp 1
		.amdhsa_ieee_mode 1
		.amdhsa_fp16_overflow 0
		.amdhsa_workgroup_processor_mode 1
		.amdhsa_memory_ordered 1
		.amdhsa_forward_progress 0
		.amdhsa_shared_vgpr_count 0
		.amdhsa_exception_fp_ieee_invalid_op 0
		.amdhsa_exception_fp_denorm_src 0
		.amdhsa_exception_fp_ieee_div_zero 0
		.amdhsa_exception_fp_ieee_overflow 0
		.amdhsa_exception_fp_ieee_underflow 0
		.amdhsa_exception_fp_ieee_inexact 0
		.amdhsa_exception_int_div_zero 0
	.end_amdhsa_kernel
	.section	.text._Z39paged_attention_ll4mi_QKV_mfma16_kernelIDF16_hLN4vllm18Fp8KVCacheDataTypeE1EhLi32ELi64ELi256ELb0ELi5EL8MFMAType0EEvPKT_PKT0_S8_ifPKiSA_SA_iPKfiiiPfSD_PS3_PT2_iSC_SC_,"axG",@progbits,_Z39paged_attention_ll4mi_QKV_mfma16_kernelIDF16_hLN4vllm18Fp8KVCacheDataTypeE1EhLi32ELi64ELi256ELb0ELi5EL8MFMAType0EEvPKT_PKT0_S8_ifPKiSA_SA_iPKfiiiPfSD_PS3_PT2_iSC_SC_,comdat
.Lfunc_end1170:
	.size	_Z39paged_attention_ll4mi_QKV_mfma16_kernelIDF16_hLN4vllm18Fp8KVCacheDataTypeE1EhLi32ELi64ELi256ELb0ELi5EL8MFMAType0EEvPKT_PKT0_S8_ifPKiSA_SA_iPKfiiiPfSD_PS3_PT2_iSC_SC_, .Lfunc_end1170-_Z39paged_attention_ll4mi_QKV_mfma16_kernelIDF16_hLN4vllm18Fp8KVCacheDataTypeE1EhLi32ELi64ELi256ELb0ELi5EL8MFMAType0EEvPKT_PKT0_S8_ifPKiSA_SA_iPKfiiiPfSD_PS3_PT2_iSC_SC_
                                        ; -- End function
	.section	.AMDGPU.csdata,"",@progbits
; Kernel info:
; codeLenInByte = 6476
; NumSgprs: 39
; NumVgprs: 146
; ScratchSize: 0
; MemoryBound: 0
; FloatMode: 240
; IeeeMode: 1
; LDSByteSize: 17472 bytes/workgroup (compile time only)
; SGPRBlocks: 4
; VGPRBlocks: 18
; NumSGPRsForWavesPerEU: 39
; NumVGPRsForWavesPerEU: 146
; Occupancy: 9
; WaveLimiterHint : 1
; COMPUTE_PGM_RSRC2:SCRATCH_EN: 0
; COMPUTE_PGM_RSRC2:USER_SGPR: 13
; COMPUTE_PGM_RSRC2:TRAP_HANDLER: 0
; COMPUTE_PGM_RSRC2:TGID_X_EN: 1
; COMPUTE_PGM_RSRC2:TGID_Y_EN: 1
; COMPUTE_PGM_RSRC2:TGID_Z_EN: 1
; COMPUTE_PGM_RSRC2:TIDIG_COMP_CNT: 0
	.section	.text._Z39paged_attention_ll4mi_QKV_mfma16_kernelIDF16_hLN4vllm18Fp8KVCacheDataTypeE1EhLi32ELi64ELi256ELb0ELi6EL8MFMAType0EEvPKT_PKT0_S8_ifPKiSA_SA_iPKfiiiPfSD_PS3_PT2_iSC_SC_,"axG",@progbits,_Z39paged_attention_ll4mi_QKV_mfma16_kernelIDF16_hLN4vllm18Fp8KVCacheDataTypeE1EhLi32ELi64ELi256ELb0ELi6EL8MFMAType0EEvPKT_PKT0_S8_ifPKiSA_SA_iPKfiiiPfSD_PS3_PT2_iSC_SC_,comdat
	.protected	_Z39paged_attention_ll4mi_QKV_mfma16_kernelIDF16_hLN4vllm18Fp8KVCacheDataTypeE1EhLi32ELi64ELi256ELb0ELi6EL8MFMAType0EEvPKT_PKT0_S8_ifPKiSA_SA_iPKfiiiPfSD_PS3_PT2_iSC_SC_ ; -- Begin function _Z39paged_attention_ll4mi_QKV_mfma16_kernelIDF16_hLN4vllm18Fp8KVCacheDataTypeE1EhLi32ELi64ELi256ELb0ELi6EL8MFMAType0EEvPKT_PKT0_S8_ifPKiSA_SA_iPKfiiiPfSD_PS3_PT2_iSC_SC_
	.globl	_Z39paged_attention_ll4mi_QKV_mfma16_kernelIDF16_hLN4vllm18Fp8KVCacheDataTypeE1EhLi32ELi64ELi256ELb0ELi6EL8MFMAType0EEvPKT_PKT0_S8_ifPKiSA_SA_iPKfiiiPfSD_PS3_PT2_iSC_SC_
	.p2align	8
	.type	_Z39paged_attention_ll4mi_QKV_mfma16_kernelIDF16_hLN4vllm18Fp8KVCacheDataTypeE1EhLi32ELi64ELi256ELb0ELi6EL8MFMAType0EEvPKT_PKT0_S8_ifPKiSA_SA_iPKfiiiPfSD_PS3_PT2_iSC_SC_,@function
_Z39paged_attention_ll4mi_QKV_mfma16_kernelIDF16_hLN4vllm18Fp8KVCacheDataTypeE1EhLi32ELi64ELi256ELb0ELi6EL8MFMAType0EEvPKT_PKT0_S8_ifPKiSA_SA_iPKfiiiPfSD_PS3_PT2_iSC_SC_: ; @_Z39paged_attention_ll4mi_QKV_mfma16_kernelIDF16_hLN4vllm18Fp8KVCacheDataTypeE1EhLi32ELi64ELi256ELb0ELi6EL8MFMAType0EEvPKT_PKT0_S8_ifPKiSA_SA_iPKfiiiPfSD_PS3_PT2_iSC_SC_
; %bb.0:
	s_load_b64 s[2:3], s[0:1], 0x30
	s_mov_b32 s34, s13
	s_waitcnt lgkmcnt(0)
	s_cmp_lg_u64 s[2:3], 0
	s_cselect_b32 s6, -1, 0
	s_ashr_i32 s35, s13, 31
	s_cmp_eq_u64 s[2:3], 0
	s_cbranch_scc1 .LBB1171_3
; %bb.1:
	s_lshl_b64 s[4:5], s[34:35], 2
	s_delay_alu instid0(SALU_CYCLE_1) | instskip(SKIP_4) | instid1(SALU_CYCLE_1)
	s_add_u32 s4, s2, s4
	s_addc_u32 s5, s3, s5
	s_load_b64 s[4:5], s[4:5], 0x0
	s_waitcnt lgkmcnt(0)
	s_sub_i32 s4, s5, s4
	s_cmp_eq_u32 s4, 1
	s_cselect_b32 s4, -1, 0
	s_delay_alu instid0(SALU_CYCLE_1)
	s_and_not1_b32 vcc_lo, exec_lo, s4
	s_cbranch_vccz .LBB1171_4
.LBB1171_2:
	s_endpgm
.LBB1171_3:
.LBB1171_4:
	s_load_b64 s[8:9], s[0:1], 0x28
	s_lshl_b64 s[4:5], s[34:35], 2
	s_waitcnt lgkmcnt(0)
	s_add_u32 s8, s8, s4
	s_addc_u32 s9, s9, s5
	s_lshl_b32 s16, s14, 8
	s_load_b32 s18, s[8:9], 0x0
	s_waitcnt lgkmcnt(0)
	s_cmp_ge_i32 s16, s18
	s_cbranch_scc1 .LBB1171_2
; %bb.5:
	s_clause 0x1
	s_load_b128 s[8:11], s[0:1], 0x8
	s_load_b64 s[12:13], s[0:1], 0x20
	s_and_not1_b32 vcc_lo, exec_lo, s6
	s_cbranch_vccnz .LBB1171_7
; %bb.6:
	s_add_u32 s2, s2, s4
	s_addc_u32 s3, s3, s5
	s_load_b32 s3, s[2:3], 0x0
	s_branch .LBB1171_8
.LBB1171_7:
	s_mov_b32 s3, s34
.LBB1171_8:
	s_load_b128 s[4:7], s[0:1], 0x48
	v_and_b32_e32 v68, 15, v0
	v_cmp_gt_u32_e32 vcc_lo, 0x60, v0
	v_lshrrev_b32_e32 v69, 5, v0
	v_and_b32_e32 v70, 31, v0
	v_and_b32_e32 v67, 1, v0
	v_lshlrev_b32_e32 v1, 3, v68
	v_cmp_gt_u32_e64 s2, 8, v68
	v_bfe_u32 v66, v0, 4, 1
	s_mul_i32 s31, s15, 6
	s_delay_alu instid0(VALU_DEP_3) | instskip(NEXT) | instid1(VALU_DEP_3)
	v_lshlrev_b32_e32 v65, 1, v1
	s_and_b32 s17, vcc_lo, s2
	s_waitcnt lgkmcnt(0)
	s_and_saveexec_b32 s7, s17
	s_cbranch_execz .LBB1171_10
; %bb.9:
	s_load_b64 s[20:21], s[0:1], 0x0
	v_lshl_or_b32 v5, v69, 1, v66
	s_mul_hi_i32 s23, s3, s4
	s_mul_i32 s22, s3, s4
	v_lshlrev_b32_e32 v6, 10, v68
	s_lshl_b64 s[22:23], s[22:23], 1
	v_add_lshl_u32 v1, v5, s31, 6
	v_lshlrev_b32_e32 v5, 6, v5
	v_lshlrev_b32_e32 v7, 10, v67
	v_and_b32_e32 v6, 0x3800, v6
	s_delay_alu instid0(VALU_DEP_4) | instskip(NEXT) | instid1(VALU_DEP_2)
	v_ashrrev_i32_e32 v2, 31, v1
	v_or3_b32 v5, v6, v7, v5
	s_delay_alu instid0(VALU_DEP_2) | instskip(SKIP_3) | instid1(VALU_DEP_1)
	v_lshlrev_b64 v[1:2], 1, v[1:2]
	s_waitcnt lgkmcnt(0)
	s_add_u32 s3, s20, s22
	s_addc_u32 s4, s21, s23
	v_add_co_u32 v1, vcc_lo, s3, v1
	s_delay_alu instid0(VALU_DEP_2) | instskip(NEXT) | instid1(VALU_DEP_2)
	v_add_co_ci_u32_e32 v2, vcc_lo, s4, v2, vcc_lo
	v_add_co_u32 v1, vcc_lo, v1, v65
	s_delay_alu instid0(VALU_DEP_2)
	v_add_co_ci_u32_e32 v2, vcc_lo, 0, v2, vcc_lo
	global_load_b128 v[1:4], v[1:2], off
	s_waitcnt vmcnt(0)
	ds_store_b128 v5, v[1:4]
.LBB1171_10:
	s_or_b32 exec_lo, exec_lo, s7
	v_and_b32_e32 v1, 0xef, v0
	s_add_i32 s3, s18, 31
	s_clause 0x1
	s_load_b32 s4, s[0:1], 0x38
	s_load_b32 s33, s[0:1], 0x98
	s_ashr_i32 s7, s3, 31
	v_add_nc_u32_e32 v1, s16, v1
	s_lshr_b32 s7, s7, 27
	s_load_b32 s19, s[0:1], 0x1c
	s_add_i32 s3, s3, s7
	s_waitcnt lgkmcnt(0)
	v_ashrrev_i32_e32 v2, 31, v1
	v_or_b32_e32 v3, 16, v1
	s_ashr_i32 s3, s3, 5
	v_cmp_gt_i32_e32 vcc_lo, s18, v1
	s_add_i32 s3, s3, -1
	v_lshrrev_b32_e32 v2, 27, v2
	s_barrier
	buffer_gl0_inv
	s_mul_i32 s15, s15, s6
	v_mul_lo_u16 v103, v68, 43
	v_add_nc_u32_e32 v4, v1, v2
	v_mbcnt_lo_u32_b32 v127, -1, 0
	s_mul_i32 s20, s34, s4
	s_delay_alu instid0(SALU_CYCLE_1) | instskip(NEXT) | instid1(VALU_DEP_2)
	s_ashr_i32 s21, s20, 31
	v_ashrrev_i32_e32 v4, 5, v4
	v_add_nc_u32_e32 v2, v3, v2
	s_lshl_b64 s[20:21], s[20:21], 2
	v_lshrrev_b16 v103, 8, v103
	s_add_u32 s17, s12, s20
	v_cndmask_b32_e32 v1, s3, v4, vcc_lo
	v_ashrrev_i32_e32 v2, 5, v2
	v_cmp_gt_i32_e32 vcc_lo, s18, v3
	s_addc_u32 s13, s13, s21
	s_ashr_i32 s20, s15, 31
	s_add_u32 s22, s8, s15
	s_addc_u32 s23, s9, s20
	v_cndmask_b32_e32 v3, s3, v2, vcc_lo
	v_ashrrev_i32_e32 v2, 31, v1
	s_lshl_b32 s6, s14, 3
	v_mul_lo_u16 v103, v103, 6
	s_ashr_i32 s7, s6, 31
	v_ashrrev_i32_e32 v4, 31, v3
	v_lshlrev_b64 v[1:2], 2, v[1:2]
	s_lshl_b64 s[6:7], s[6:7], 2
	v_sub_nc_u16 v103, v68, v103
	s_add_u32 s6, s17, s6
	v_lshlrev_b64 v[3:4], 2, v[3:4]
	s_addc_u32 s7, s13, s7
	v_add_co_u32 v1, vcc_lo, s17, v1
	v_add_co_ci_u32_e32 v2, vcc_lo, s13, v2, vcc_lo
	s_delay_alu instid0(VALU_DEP_3) | instskip(NEXT) | instid1(VALU_DEP_4)
	v_add_co_u32 v3, vcc_lo, s17, v3
	v_add_co_ci_u32_e32 v4, vcc_lo, s13, v4, vcc_lo
	s_clause 0x1
	global_load_b32 v5, v[1:2], off
	global_load_b32 v6, v[3:4], off
	s_or_b32 s4, s16, 32
	v_xor_b32_e32 v128, 16, v127
	s_ashr_i32 s8, s4, 5
	s_cmp_lt_i32 s4, s18
	s_cselect_b32 s8, s8, s3
	s_delay_alu instid0(SALU_CYCLE_1) | instskip(NEXT) | instid1(SALU_CYCLE_1)
	s_ashr_i32 s9, s8, 31
	s_lshl_b64 s[8:9], s[8:9], 2
	s_delay_alu instid0(SALU_CYCLE_1) | instskip(SKIP_2) | instid1(SALU_CYCLE_1)
	s_add_u32 s8, s17, s8
	s_addc_u32 s9, s13, s9
	s_or_b32 s4, s16, 64
	s_ashr_i32 s12, s4, 5
	s_cmp_lt_i32 s4, s18
	s_cselect_b32 s24, s12, s3
	s_delay_alu instid0(SALU_CYCLE_1) | instskip(NEXT) | instid1(SALU_CYCLE_1)
	s_ashr_i32 s25, s24, 31
	s_lshl_b64 s[24:25], s[24:25], 2
	s_delay_alu instid0(SALU_CYCLE_1) | instskip(SKIP_2) | instid1(SALU_CYCLE_1)
	s_add_u32 s24, s17, s24
	s_addc_u32 s25, s13, s25
	s_or_b32 s4, s16, 0x60
	;; [unrolled: 10-line block ×4, first 2 shown]
	s_ashr_i32 s12, s4, 5
	s_cmp_lt_i32 s4, s18
	s_cselect_b32 s36, s12, s3
	s_delay_alu instid0(SALU_CYCLE_1) | instskip(NEXT) | instid1(SALU_CYCLE_1)
	s_ashr_i32 s37, s36, 31
	s_lshl_b64 s[36:37], s[36:37], 2
	s_delay_alu instid0(SALU_CYCLE_1)
	s_add_u32 s36, s17, s36
	s_addc_u32 s37, s13, s37
	s_clause 0x5
	s_load_b32 s12, s[6:7], 0x0
	s_load_b32 s4, s[8:9], 0x0
	;; [unrolled: 1-line block ×6, first 2 shown]
	s_or_b32 s21, s16, 0xc0
	s_waitcnt vmcnt(1)
	v_mad_i64_i32 v[1:2], null, v5, s5, s[22:23]
	v_lshlrev_b32_e32 v5, 4, v68
	s_waitcnt vmcnt(0)
	v_mad_i64_i32 v[3:4], null, v6, s5, s[22:23]
	s_ashr_i32 s22, s21, 5
	s_cmp_lt_i32 s21, s18
	s_delay_alu instid0(VALU_DEP_3) | instskip(NEXT) | instid1(VALU_DEP_4)
	v_add_co_u32 v1, vcc_lo, v1, v5
	v_add_co_ci_u32_e32 v2, vcc_lo, 0, v2, vcc_lo
	s_delay_alu instid0(VALU_DEP_3) | instskip(NEXT) | instid1(VALU_DEP_4)
	v_add_co_u32 v3, vcc_lo, v3, v5
	v_add_co_ci_u32_e32 v4, vcc_lo, 0, v4, vcc_lo
	s_clause 0x7
	global_load_b128 v[71:74], v[1:2], off
	global_load_b128 v[75:78], v[1:2], off offset:512
	global_load_b128 v[79:82], v[3:4], off offset:256
	;; [unrolled: 1-line block ×7, first 2 shown]
	s_cselect_b32 s22, s22, s3
	v_lshlrev_b32_e32 v1, 5, v68
	s_ashr_i32 s23, s22, 31
	v_cmp_gt_i32_e32 vcc_lo, 32, v128
	s_lshl_b64 s[22:23], s[22:23], 2
	v_and_b32_e32 v103, 0xff, v103
	s_add_u32 s22, s17, s22
	s_addc_u32 s23, s13, s23
	v_cndmask_b32_e32 v136, v127, v128, vcc_lo
	s_or_b32 s21, s16, 0xe0
	v_lshl_or_b32 v1, v69, 9, v1
	s_ashr_i32 s24, s21, 5
	s_cmp_lt_i32 s21, s18
	v_lshlrev_b32_e32 v115, 6, v103
	s_cselect_b32 s24, s24, s3
	s_load_b32 s3, s[22:23], 0x0
	s_ashr_i32 s25, s24, 31
	s_delay_alu instid0(SALU_CYCLE_1) | instskip(NEXT) | instid1(SALU_CYCLE_1)
	s_lshl_b64 s[24:25], s[24:25], 2
	s_add_u32 s22, s17, s24
	s_addc_u32 s23, s13, s25
	s_add_u32 s10, s10, s15
	s_addc_u32 s11, s11, s20
	v_add_co_u32 v1, s10, s10, v1
	s_delay_alu instid0(VALU_DEP_1) | instskip(SKIP_2) | instid1(VALU_DEP_1)
	v_add_co_ci_u32_e64 v2, null, s11, 0, s10
	s_load_b32 s10, s[22:23], 0x0
	s_waitcnt lgkmcnt(0)
	v_mad_i64_i32 v[3:4], null, s12, s5, v[1:2]
	v_mad_i64_i32 v[9:10], null, s7, s5, v[1:2]
	;; [unrolled: 1-line block ×7, first 2 shown]
	s_clause 0x5
	global_load_b128 v[49:52], v[3:4], off
	global_load_b128 v[53:56], v[3:4], off offset:16
	global_load_b128 v[41:44], v[5:6], off
	global_load_b128 v[45:48], v[5:6], off offset:16
	;; [unrolled: 2-line block ×3, first 2 shown]
	s_mov_b32 s4, 0
	v_mad_i64_i32 v[61:62], null, s10, s5, v[1:2]
	s_clause 0x9
	global_load_b128 v[1:4], v[9:10], off
	global_load_b128 v[5:8], v[9:10], off offset:16
	global_load_b128 v[9:12], v[13:14], off
	global_load_b128 v[13:16], v[13:14], off offset:16
	;; [unrolled: 2-line block ×5, first 2 shown]
	s_mov_b32 s5, s4
	s_mov_b32 s6, s4
	;; [unrolled: 1-line block ×7, first 2 shown]
	v_and_b32_e32 v104, 0xe0, v0
	v_dual_mov_b32 v126, s11 :: v_dual_mov_b32 v123, s8
	v_dual_mov_b32 v125, s10 :: v_dual_mov_b32 v124, s9
	s_delay_alu instid0(VALU_DEP_3)
	v_add_nc_u32_e32 v111, s16, v104
	ds_load_b128 v[103:106], v115
	ds_load_b128 v[107:110], v115 offset:1024
	v_dual_mov_b32 v122, s7 :: v_dual_mov_b32 v121, s6
	v_mov_b32_e32 v120, s5
	v_or_b32_e32 v135, v111, v66
	ds_load_b128 v[111:114], v115 offset:2048
	ds_load_b128 v[115:118], v115 offset:3072
	v_mov_b32_e32 v119, s4
	s_waitcnt vmcnt(0) lgkmcnt(0)
	s_barrier
	v_or_b32_e32 v137, 2, v135
	v_or_b32_e32 v138, 4, v135
	;; [unrolled: 1-line block ×3, first 2 shown]
	v_cmp_gt_i32_e32 vcc_lo, s18, v135
	v_or_b32_e32 v140, 8, v135
	v_cmp_gt_i32_e64 s3, s18, v137
	v_or_b32_e32 v141, 10, v135
	v_cmp_gt_i32_e64 s4, s18, v138
	v_cmp_gt_i32_e64 s5, s18, v139
	v_or_b32_e32 v142, 12, v135
	v_or_b32_e32 v143, 14, v135
	v_cmp_gt_i32_e64 s6, s18, v140
	v_cmp_gt_i32_e64 s7, s18, v141
	v_or_b32_e32 v144, 16, v135
	v_or_b32_e32 v145, 18, v135
	v_cmp_gt_i32_e64 s8, s18, v142
	v_cmp_gt_i32_e64 s9, s18, v143
	buffer_gl0_inv
	v_cmp_gt_i32_e64 s10, s18, v144
	v_cmp_gt_i32_e64 s11, s18, v145
	v_wmma_f32_16x16x16_f16 v[127:134], v[71:78], v[103:110], v[119:126]
	v_wmma_f32_16x16x16_f16 v[119:126], v[79:86], v[103:110], v[119:126]
	v_or_b32_e32 v71, 20, v135
	v_or_b32_e32 v72, 22, v135
	s_delay_alu instid0(VALU_DEP_4)
	v_wmma_f32_16x16x16_f16 v[127:134], v[87:94], v[111:118], v[127:134]
	v_or_b32_e32 v73, 24, v135
	v_wmma_f32_16x16x16_f16 v[119:126], v[95:102], v[111:118], v[119:126]
	v_or_b32_e32 v74, 26, v135
	v_cmp_gt_i32_e64 s12, s18, v71
	v_dual_mul_f32 v84, s19, v127 :: v_dual_mul_f32 v83, s19, v128
	s_delay_alu instid0(VALU_DEP_4) | instskip(SKIP_2) | instid1(VALU_DEP_4)
	v_dual_mul_f32 v92, s19, v119 :: v_dual_mul_f32 v81, s19, v130
	v_mul_f32_e32 v90, s19, v121
	v_mul_f32_e32 v82, s19, v129
	v_cndmask_b32_e32 v84, 0xff7fffff, v84, vcc_lo
	v_cndmask_b32_e64 v83, 0xff7fffff, v83, s3
	v_dual_mul_f32 v79, s19, v132 :: v_dual_mul_f32 v88, s19, v123
	v_mul_f32_e32 v80, s19, v131
	v_cndmask_b32_e64 v82, 0xff7fffff, v82, s4
	v_cndmask_b32_e64 v81, 0xff7fffff, v81, s5
	v_max3_f32 v83, v84, 0xff7fffff, v83
	v_dual_mul_f32 v77, s19, v134 :: v_dual_mul_f32 v86, s19, v125
	v_mul_f32_e32 v78, s19, v133
	v_cndmask_b32_e64 v80, 0xff7fffff, v80, s6
	v_cndmask_b32_e64 v79, 0xff7fffff, v79, s7
	v_max3_f32 v81, v83, v82, v81
	v_mul_f32_e32 v91, s19, v120
	v_cndmask_b32_e64 v78, 0xff7fffff, v78, s8
	v_cndmask_b32_e64 v77, 0xff7fffff, v77, s9
	v_mul_f32_e32 v89, s19, v122
	v_max3_f32 v79, v81, v80, v79
	v_cndmask_b32_e64 v80, 0xff7fffff, v92, s10
	v_cndmask_b32_e64 v81, 0xff7fffff, v91, s11
	v_cmp_gt_i32_e64 s13, s18, v72
	v_or_b32_e32 v75, 28, v135
	v_max3_f32 v77, v79, v78, v77
	v_or_b32_e32 v76, 30, v135
	v_mul_f32_e32 v87, s19, v124
	v_cndmask_b32_e64 v71, 0xff7fffff, v90, s12
	v_cndmask_b32_e64 v72, 0xff7fffff, v89, s13
	v_max3_f32 v77, v77, v80, v81
	v_cmp_gt_i32_e64 s15, s18, v73
	v_cmp_gt_i32_e64 s16, s18, v74
	v_mul_f32_e32 v85, s19, v126
	v_cmp_gt_i32_e64 s17, s18, v75
	v_max3_f32 v71, v77, v71, v72
	v_cndmask_b32_e64 v73, 0xff7fffff, v88, s15
	v_cndmask_b32_e64 v74, 0xff7fffff, v87, s16
	v_cmp_gt_i32_e64 s18, s18, v76
	v_cndmask_b32_e64 v72, 0xff7fffff, v86, s17
	s_delay_alu instid0(VALU_DEP_3) | instskip(NEXT) | instid1(VALU_DEP_3)
	v_max3_f32 v71, v71, v73, v74
	v_cndmask_b32_e64 v75, 0xff7fffff, v85, s18
	v_lshlrev_b32_e32 v73, 2, v136
	s_delay_alu instid0(VALU_DEP_2) | instskip(SKIP_3) | instid1(VALU_DEP_1)
	v_max3_f32 v71, v71, v72, v75
	ds_bpermute_b32 v72, v73, v71
	s_waitcnt lgkmcnt(0)
	v_max_f32_e32 v72, v72, v72
	v_max_f32_e32 v71, v71, v72
	s_delay_alu instid0(VALU_DEP_1) | instskip(SKIP_2) | instid1(VALU_DEP_3)
	v_fma_f32 v72, s19, v127, -v71
	v_fma_f32 v74, s19, v128, -v71
	v_fma_f32 v75, s19, v129, -v71
	v_mul_f32_e32 v72, 0x3fb8aa3b, v72
	s_delay_alu instid0(VALU_DEP_2) | instskip(NEXT) | instid1(VALU_DEP_2)
	v_dual_mul_f32 v74, 0x3fb8aa3b, v74 :: v_dual_mul_f32 v75, 0x3fb8aa3b, v75
	v_exp_f32_e32 v72, v72
	s_delay_alu instid0(VALU_DEP_1) | instskip(NEXT) | instid1(VALU_DEP_1)
	v_exp_f32_e32 v74, v74
	v_exp_f32_e32 v75, v75
	s_delay_alu instid0(TRANS32_DEP_3)
	v_cndmask_b32_e32 v79, 0, v72, vcc_lo
	s_waitcnt_depctr 0xfff
	v_cndmask_b32_e64 v78, 0, v74, s3
	v_cndmask_b32_e64 v81, 0, v75, s4
	s_mov_b32 s3, exec_lo
	v_add_f32_e32 v74, 0, v79
	s_delay_alu instid0(VALU_DEP_1) | instskip(NEXT) | instid1(VALU_DEP_1)
	v_add_f32_e32 v74, v74, v78
	v_add_f32_e32 v74, v74, v81
	v_fma_f32 v76, s19, v130, -v71
	v_fma_f32 v77, s19, v131, -v71
	;; [unrolled: 1-line block ×5, first 2 shown]
	s_delay_alu instid0(VALU_DEP_4) | instskip(NEXT) | instid1(VALU_DEP_4)
	v_dual_mul_f32 v76, 0x3fb8aa3b, v76 :: v_dual_mul_f32 v77, 0x3fb8aa3b, v77
	v_mul_f32_e32 v72, 0x3fb8aa3b, v72
	s_delay_alu instid0(VALU_DEP_4) | instskip(SKIP_1) | instid1(VALU_DEP_4)
	v_mul_f32_e32 v82, 0x3fb8aa3b, v80
	v_fma_f32 v86, s19, v122, -v71
	v_exp_f32_e32 v76, v76
	v_exp_f32_e32 v77, v77
	;; [unrolled: 1-line block ×4, first 2 shown]
	v_mul_f32_e32 v86, 0x3fb8aa3b, v86
	s_delay_alu instid0(VALU_DEP_1)
	v_exp_f32_e32 v88, v86
	v_cndmask_b32_e64 v80, 0, v76, s5
	v_mul_f32_e32 v75, 0x3fb8aa3b, v75
	v_fma_f32 v76, s19, v119, -v71
	v_cndmask_b32_e64 v83, 0, v77, s6
	v_fma_f32 v77, s19, v120, -v71
	v_add_f32_e32 v74, v74, v80
	v_exp_f32_e32 v75, v75
	v_mul_f32_e32 v76, 0x3fb8aa3b, v76
	v_cndmask_b32_e64 v82, 0, v72, s7
	s_delay_alu instid0(VALU_DEP_3) | instskip(SKIP_1) | instid1(VALU_DEP_4)
	v_dual_mul_f32 v77, 0x3fb8aa3b, v77 :: v_dual_add_f32 v72, v74, v83
	v_fma_f32 v74, s19, v121, -v71
	v_exp_f32_e32 v76, v76
	v_cndmask_b32_e64 v85, 0, v84, s8
	s_delay_alu instid0(VALU_DEP_3) | instskip(SKIP_1) | instid1(TRANS32_DEP_3)
	v_exp_f32_e32 v77, v77
	v_cndmask_b32_e64 v88, 0, v88, s13
	v_cndmask_b32_e64 v84, 0, v75, s9
	v_fma_f32 v75, s19, v123, -v71
	v_add_f32_e32 v72, v72, v82
	s_delay_alu instid0(VALU_DEP_2) | instskip(NEXT) | instid1(VALU_DEP_2)
	v_dual_mul_f32 v74, 0x3fb8aa3b, v74 :: v_dual_mul_f32 v75, 0x3fb8aa3b, v75
	v_add_f32_e32 v72, v72, v85
	s_delay_alu instid0(VALU_DEP_2)
	v_exp_f32_e32 v74, v74
	v_cndmask_b32_e64 v87, 0, v76, s10
	v_fma_f32 v76, s19, v124, -v71
	v_cndmask_b32_e64 v86, 0, v77, s11
	v_add_f32_e32 v72, v72, v84
	v_fma_f32 v77, s19, v125, -v71
	v_exp_f32_e32 v75, v75
	v_mul_f32_e32 v76, 0x3fb8aa3b, v76
	s_delay_alu instid0(VALU_DEP_3) | instskip(NEXT) | instid1(TRANS32_DEP_2)
	v_add_f32_e32 v72, v72, v87
	v_cndmask_b32_e64 v89, 0, v74, s12
	v_mul_f32_e32 v74, 0x3fb8aa3b, v77
	s_delay_alu instid0(VALU_DEP_4) | instskip(SKIP_2) | instid1(VALU_DEP_3)
	v_exp_f32_e32 v76, v76
	v_fma_f32 v77, s19, v126, -v71
	v_add_f32_e32 v72, v72, v86
	v_exp_f32_e32 v74, v74
	s_delay_alu instid0(TRANS32_DEP_3) | instskip(NEXT) | instid1(VALU_DEP_3)
	v_cndmask_b32_e64 v91, 0, v75, s15
	v_mul_f32_e32 v75, 0x3fb8aa3b, v77
	s_delay_alu instid0(VALU_DEP_3) | instskip(NEXT) | instid1(TRANS32_DEP_2)
	v_add_f32_e32 v72, v72, v89
	v_cndmask_b32_e64 v90, 0, v76, s16
	s_delay_alu instid0(VALU_DEP_3) | instskip(NEXT) | instid1(VALU_DEP_2)
	v_exp_f32_e32 v75, v75
	v_add_f32_e32 v72, v72, v88
	s_delay_alu instid0(TRANS32_DEP_2) | instskip(NEXT) | instid1(VALU_DEP_2)
	v_cndmask_b32_e64 v93, 0, v74, s17
	v_add_f32_e32 v72, v72, v91
	s_waitcnt_depctr 0xfff
	v_cndmask_b32_e64 v92, 0, v75, s18
	v_add_f32_e32 v72, v72, v90
	s_delay_alu instid0(VALU_DEP_1) | instskip(NEXT) | instid1(VALU_DEP_1)
	v_add_f32_e32 v72, v72, v93
	v_add_f32_e32 v72, v72, v92
	ds_bpermute_b32 v73, v73, v72
	v_cmpx_gt_u32_e32 16, v70
	s_cbranch_execz .LBB1171_12
; %bb.11:
	v_mul_u32_u24_e32 v70, 0x44, v69
	s_waitcnt lgkmcnt(0)
	v_add_f32_e32 v72, v72, v73
	s_delay_alu instid0(VALU_DEP_2) | instskip(NEXT) | instid1(VALU_DEP_1)
	v_lshl_add_u32 v70, v68, 2, v70
	v_add_nc_u32_e32 v70, 0x4000, v70
	ds_store_2addr_b32 v70, v71, v72 offset1:136
.LBB1171_12:
	s_or_b32 exec_lo, exec_lo, s3
	v_lshlrev_b32_e32 v70, 2, v68
	s_load_b32 s35, s[0:1], 0x94
	s_waitcnt lgkmcnt(0)
	s_barrier
	buffer_gl0_inv
	v_add_nc_u32_e32 v98, 0x4000, v70
	v_cmp_eq_u32_e32 vcc_lo, 1, v69
	v_cmp_eq_u32_e64 s3, 2, v69
	v_cmp_eq_u32_e64 s4, 3, v69
	;; [unrolled: 1-line block ×3, first 2 shown]
	ds_load_2addr_b32 v[70:71], v98 offset1:17
	ds_load_2addr_b32 v[72:73], v98 offset0:34 offset1:51
	ds_load_2addr_b32 v[74:75], v98 offset0:68 offset1:85
	;; [unrolled: 1-line block ×3, first 2 shown]
	v_cmp_eq_u32_e64 s6, 5, v69
	v_cmp_eq_u32_e64 s7, 7, v69
	s_waitcnt lgkmcnt(3)
	v_max3_f32 v76, v70, 0xff7fffff, v71
	s_waitcnt lgkmcnt(2)
	s_delay_alu instid0(VALU_DEP_1) | instskip(SKIP_1) | instid1(VALU_DEP_1)
	v_max3_f32 v76, v76, v72, v73
	s_waitcnt lgkmcnt(1)
	v_max3_f32 v76, v76, v74, v75
	s_waitcnt lgkmcnt(0)
	s_delay_alu instid0(VALU_DEP_1) | instskip(NEXT) | instid1(VALU_DEP_1)
	v_max3_f32 v76, v76, v94, v95
	v_sub_f32_e32 v77, v71, v76
	ds_load_2addr_b32 v[96:97], v98 offset0:136 offset1:153
	v_sub_f32_e32 v74, v74, v76
	v_sub_f32_e32 v70, v70, v76
	;; [unrolled: 1-line block ×3, first 2 shown]
	v_dual_sub_f32 v72, v72, v76 :: v_dual_mul_f32 v77, 0x3fb8aa3b, v77
	s_delay_alu instid0(VALU_DEP_4) | instskip(NEXT) | instid1(VALU_DEP_4)
	v_mul_f32_e32 v103, 0x3fb8aa3b, v74
	v_mul_f32_e32 v99, 0x3fb8aa3b, v70
	ds_load_2addr_b32 v[70:71], v98 offset0:170 offset1:187
	v_dual_mul_f32 v101, 0x3fb8aa3b, v72 :: v_dual_mul_f32 v94, 0x3fb8aa3b, v94
	v_exp_f32_e32 v102, v77
	v_exp_f32_e32 v99, v99
	s_delay_alu instid0(VALU_DEP_1) | instskip(NEXT) | instid1(VALU_DEP_1)
	v_exp_f32_e32 v101, v101
	v_exp_f32_e32 v94, v94
	s_waitcnt lgkmcnt(1)
	s_delay_alu instid0(TRANS32_DEP_3)
	v_fma_f32 v77, v99, v96, 0
	v_sub_f32_e32 v100, v73, v76
	ds_load_2addr_b32 v[72:73], v98 offset0:204 offset1:221
	v_fmac_f32_e32 v77, v102, v97
	v_exp_f32_e32 v97, v103
	s_waitcnt lgkmcnt(1)
	s_delay_alu instid0(VALU_DEP_1)
	v_dual_fmac_f32 v77, v101, v70 :: v_dual_sub_f32 v96, v75, v76
	ds_load_2addr_b32 v[74:75], v98 offset0:238 offset1:255
	v_sub_f32_e32 v70, v95, v76
	s_waitcnt lgkmcnt(0)
	s_barrier
	v_mul_f32_e32 v96, 0x3fb8aa3b, v96
	buffer_gl0_inv
	v_exp_f32_e32 v95, v96
	v_mul_f32_e32 v100, 0x3fb8aa3b, v100
	s_delay_alu instid0(VALU_DEP_1) | instskip(SKIP_3) | instid1(VALU_DEP_2)
	v_exp_f32_e32 v100, v100
	s_waitcnt_depctr 0xfff
	v_dual_fmac_f32 v77, v100, v71 :: v_dual_mul_f32 v70, 0x3fb8aa3b, v70
	v_cndmask_b32_e32 v71, v99, v102, vcc_lo
	v_fmac_f32_e32 v77, v97, v72
	s_delay_alu instid0(VALU_DEP_3) | instskip(NEXT) | instid1(VALU_DEP_1)
	v_exp_f32_e32 v96, v70
	v_fmac_f32_e32 v77, v95, v73
	s_delay_alu instid0(VALU_DEP_1) | instskip(SKIP_2) | instid1(VALU_DEP_1)
	v_fmac_f32_e32 v77, v94, v74
	s_waitcnt_depctr 0xfff
	v_fmac_f32_e32 v77, v96, v75
	v_add_f32_e32 v74, 0x358637bd, v77
	s_delay_alu instid0(VALU_DEP_1) | instskip(SKIP_1) | instid1(VALU_DEP_2)
	v_div_scale_f32 v98, null, v74, v74, 1.0
	v_div_scale_f32 v99, vcc_lo, 1.0, v74, 1.0
	v_rcp_f32_e32 v103, v98
	s_waitcnt_depctr 0xfff
	v_fma_f32 v70, -v98, v103, 1.0
	s_delay_alu instid0(VALU_DEP_1) | instskip(SKIP_2) | instid1(VALU_DEP_2)
	v_fmac_f32_e32 v103, v70, v103
	v_cndmask_b32_e64 v70, v71, v101, s3
	v_cmp_eq_u32_e64 s3, 6, v69
	v_cndmask_b32_e64 v71, v70, v100, s4
	s_delay_alu instid0(VALU_DEP_4) | instskip(NEXT) | instid1(VALU_DEP_2)
	v_dual_mul_f32 v101, v99, v103 :: v_dual_lshlrev_b32 v70, 2, v66
	v_cndmask_b32_e64 v71, v71, v97, s5
	s_delay_alu instid0(VALU_DEP_2) | instskip(NEXT) | instid1(VALU_DEP_3)
	v_or_b32_e32 v72, 1, v70
	v_fma_f32 v100, -v98, v101, v99
	v_cmp_eq_u32_e64 s4, 1, v70
	v_cmp_eq_u32_e64 s5, 2, v70
	v_cndmask_b32_e64 v95, v71, v95, s6
	v_or_b32_e32 v71, 3, v70
	v_fmac_f32_e32 v101, v100, v103
	v_cmp_eq_u32_e64 s9, 1, v72
	v_cmp_eq_u32_e64 s12, 2, v72
	v_cndmask_b32_e64 v94, v95, v94, s3
	v_cmp_eq_u32_e64 s11, 1, v71
	v_fma_f32 v97, -v98, v101, v99
	v_cmp_eq_u32_e64 s16, 2, v71
	v_cmp_eq_u32_e64 s13, 3, v72
	v_cndmask_b32_e64 v94, v94, v96, s7
	v_cmp_eq_u32_e64 s18, 3, v71
	v_div_fmas_f32 v95, v97, v103, v101
	v_cmp_eq_u32_e32 vcc_lo, 3, v70
	v_cmp_eq_u32_e64 s3, 4, v70
	v_cmp_eq_u32_e64 s19, 4, v72
	;; [unrolled: 1-line block ×3, first 2 shown]
	v_div_fixup_f32 v95, v95, v74, 1.0
	v_lshlrev_b32_e32 v73, 6, v68
	v_cmp_eq_u32_e64 s6, 5, v70
	v_cmp_eq_u32_e64 s20, 5, v72
	;; [unrolled: 1-line block ×3, first 2 shown]
	v_mul_f32_e32 v102, v94, v95
	v_lshl_or_b32 v75, v69, 11, v73
	v_or_b32_e32 v69, 2, v70
	v_cmp_eq_u32_e64 s25, 6, v72
	v_cmp_eq_u32_e64 s27, 6, v71
	v_fma_mixlo_f16 v94, v102, v79, 0
	v_fma_mixlo_f16 v95, v102, v81, 0
	;; [unrolled: 1-line block ×8, first 2 shown]
	v_lshl_or_b32 v74, v66, 4, v75
	v_fma_mixhi_f16 v94, v102, v78, 0
	v_fma_mixhi_f16 v95, v102, v80, 0
	;; [unrolled: 1-line block ×8, first 2 shown]
	ds_store_b128 v74, v[94:97]
	ds_store_b128 v74, v[98:101] offset:1024
	s_waitcnt lgkmcnt(0)
	s_barrier
	buffer_gl0_inv
	ds_load_b128 v[78:81], v75
	ds_load_b128 v[82:85], v75 offset:16
	ds_load_b128 v[86:89], v75 offset:1024
	;; [unrolled: 1-line block ×3, first 2 shown]
	v_cmp_eq_u32_e64 s10, 1, v69
	v_cmp_eq_u32_e64 s15, 2, v69
	v_cmp_eq_u32_e64 s17, 3, v69
	v_cmp_eq_u32_e64 s21, 4, v69
	v_cmp_eq_u32_e64 s23, 5, v69
	v_cmp_eq_u32_e64 s7, 6, v70
	v_cmp_eq_u32_e64 s26, 6, v69
	v_cmp_eq_u32_e64 s29, 7, v71
	v_cmp_eq_u32_e64 s30, 7, v72
	v_cmp_eq_u32_e64 s8, 7, v70
	v_cmp_eq_u32_e64 s28, 7, v69
	s_waitcnt lgkmcnt(3)
	v_lshrrev_b32_e32 v94, 16, v78
	s_waitcnt lgkmcnt(2)
	v_lshrrev_b32_e32 v98, 16, v82
	;; [unrolled: 2-line block ×4, first 2 shown]
	v_lshrrev_b32_e32 v95, 16, v79
	v_cndmask_b32_e64 v110, v78, v94, s4
	v_cndmask_b32_e64 v111, v82, v98, s4
	;; [unrolled: 1-line block ×8, first 2 shown]
	v_lshrrev_b32_e32 v99, 16, v83
	v_cndmask_b32_e64 v94, v86, v102, s4
	v_cndmask_b32_e64 v98, v90, v106, s4
	;; [unrolled: 1-line block ×15, first 2 shown]
	v_lshrrev_b32_e32 v103, 16, v87
	v_lshrrev_b32_e32 v107, 16, v91
	v_cndmask_b32_e64 v113, v115, v83, s15
	v_cndmask_b32_e64 v82, v94, v87, s5
	;; [unrolled: 1-line block ×7, first 2 shown]
	v_cndmask_b32_e32 v90, v102, v95, vcc_lo
	v_cndmask_b32_e32 v102, v106, v99, vcc_lo
	v_cndmask_b32_e64 v106, v110, v95, s13
	v_cndmask_b32_e64 v110, v111, v99, s13
	;; [unrolled: 1-line block ×4, first 2 shown]
	v_lshrrev_b32_e32 v96, 16, v80
	v_lshrrev_b32_e32 v100, 16, v84
	v_cndmask_b32_e64 v111, v112, v95, s17
	v_cndmask_b32_e64 v112, v113, v99, s17
	v_cndmask_b32_e32 v82, v82, v103, vcc_lo
	v_cndmask_b32_e32 v83, v83, v107, vcc_lo
	v_cndmask_b32_e64 v94, v94, v103, s13
	v_cndmask_b32_e64 v90, v90, v80, s3
	;; [unrolled: 1-line block ×7, first 2 shown]
	v_lshrrev_b32_e32 v104, 16, v88
	v_cndmask_b32_e64 v106, v111, v80, s21
	v_cndmask_b32_e64 v110, v112, v84, s21
	;; [unrolled: 1-line block ×11, first 2 shown]
	v_lshrrev_b32_e32 v97, 16, v81
	v_lshrrev_b32_e32 v101, 16, v85
	v_cndmask_b32_e64 v99, v106, v96, s23
	v_cndmask_b32_e64 v102, v110, v100, s23
	;; [unrolled: 1-line block ×7, first 2 shown]
	v_lshrrev_b32_e32 v105, 16, v89
	v_cndmask_b32_e64 v80, v80, v104, s6
	v_cndmask_b32_e64 v84, v84, v81, s7
	;; [unrolled: 1-line block ×16, first 2 shown]
	v_perm_b32 v81, v79, v78, 0x5040100
	v_perm_b32 v79, v95, v85, 0x5040100
	v_cndmask_b32_e64 v78, v119, v91, s15
	v_cndmask_b32_e64 v85, v117, v91, s12
	v_cndmask_b32_e64 v96, v80, v105, s8
	v_perm_b32 v80, v94, v90, 0x5040100
	v_cndmask_b32_e64 v90, v98, v103, s17
	v_cndmask_b32_e64 v86, v86, v103, s18
	;; [unrolled: 1-line block ×5, first 2 shown]
	v_lshrrev_b32_e32 v108, 16, v92
	v_cndmask_b32_e64 v90, v90, v88, s21
	v_cndmask_b32_e64 v86, v86, v88, s22
	;; [unrolled: 1-line block ×11, first 2 shown]
	v_lshrrev_b32_e32 v109, 16, v93
	v_cndmask_b32_e64 v82, v82, v93, s7
	v_cndmask_b32_e64 v88, v88, v89, s26
	;; [unrolled: 1-line block ×12, first 2 shown]
	v_perm_b32 v78, v84, v83, 0x5040100
	v_perm_b32 v85, v87, v86, 0x5040100
	v_perm_b32 v84, v89, v88, 0x5040100
	v_perm_b32 v83, v90, v97, 0x5040100
	v_perm_b32 v82, v82, v96, 0x5040100
	s_mul_i32 s8, s33, 6
	s_mov_b32 s3, exec_lo
	ds_store_b128 v74, v[78:81]
	ds_store_b128 v74, v[82:85] offset:1024
	v_cmpx_gt_u32_e32 6, v0
	s_cbranch_execz .LBB1171_14
; %bb.13:
	s_mul_i32 s4, s8, s34
	s_delay_alu instid0(SALU_CYCLE_1) | instskip(SKIP_1) | instid1(VALU_DEP_1)
	v_add3_u32 v68, s4, s31, v68
	s_load_b128 s[4:7], s[0:1], 0x58
	v_mad_u64_u32 v[78:79], null, v68, s35, s[14:15]
	s_delay_alu instid0(VALU_DEP_1) | instskip(NEXT) | instid1(VALU_DEP_1)
	v_ashrrev_i32_e32 v79, 31, v78
	v_lshlrev_b64 v[78:79], 2, v[78:79]
	s_waitcnt lgkmcnt(0)
	s_delay_alu instid0(VALU_DEP_1) | instskip(NEXT) | instid1(VALU_DEP_2)
	v_add_co_u32 v80, vcc_lo, s6, v78
	v_add_co_ci_u32_e32 v81, vcc_lo, s7, v79, vcc_lo
	v_add_co_u32 v78, vcc_lo, s4, v78
	v_add_co_ci_u32_e32 v79, vcc_lo, s5, v79, vcc_lo
	global_store_b32 v[80:81], v76, off
	global_store_b32 v[78:79], v77, off
.LBB1171_14:
	s_or_b32 exec_lo, exec_lo, s3
	s_waitcnt lgkmcnt(0)
	s_waitcnt_vscnt null, 0x0
	s_barrier
	buffer_gl0_inv
	ds_load_b128 v[84:87], v73
	ds_load_b128 v[88:91], v73 offset:16
	ds_load_b128 v[96:99], v73 offset:2064
	ds_load_b128 v[92:95], v73 offset:2048
	ds_load_b128 v[104:107], v73 offset:4112
	ds_load_b128 v[100:103], v73 offset:4096
	v_cmp_eq_u32_e32 vcc_lo, 1, v70
	v_mov_b32_e32 v76, 0
	ds_load_b128 v[112:115], v73 offset:6160
	ds_load_b128 v[108:111], v73 offset:6144
	;; [unrolled: 1-line block ×4, first 2 shown]
	v_cmp_eq_u32_e64 s4, 1, v69
	v_cmp_eq_u32_e64 s3, 1, v72
	;; [unrolled: 1-line block ×3, first 2 shown]
	v_mov_b32_e32 v77, v76
	v_mov_b32_e32 v78, v76
	;; [unrolled: 1-line block ×7, first 2 shown]
	v_cmp_eq_u32_e64 s6, 3, v72
	v_cmp_eq_u32_e64 s7, 7, v72
	s_waitcnt lgkmcnt(8)
	s_delay_alu instid0(VALU_DEP_3)
	v_wmma_f32_16x16x16_f16 v[76:83], v[49:56], v[84:91], v[76:83]
	ds_load_b128 v[53:56], v73 offset:10256
	ds_load_b128 v[49:52], v73 offset:10240
	s_waitcnt lgkmcnt(8)
	v_wmma_f32_16x16x16_f16 v[76:83], v[41:48], v[92:99], v[76:83]
	ds_load_b128 v[45:48], v73 offset:12304
	ds_load_b128 v[41:44], v73 offset:12288
	s_waitcnt lgkmcnt(8)
	;; [unrolled: 4-line block ×3, first 2 shown]
	s_barrier
	buffer_gl0_inv
	v_wmma_f32_16x16x16_f16 v[76:83], v[1:8], v[108:115], v[76:83]
	s_delay_alu instid0(VALU_DEP_1) | instskip(NEXT) | instid1(VALU_DEP_1)
	v_wmma_f32_16x16x16_f16 v[76:83], v[9:16], v[116:123], v[76:83]
	v_wmma_f32_16x16x16_f16 v[76:83], v[17:24], v[49:56], v[76:83]
	s_delay_alu instid0(VALU_DEP_1) | instskip(NEXT) | instid1(VALU_DEP_1)
	v_wmma_f32_16x16x16_f16 v[76:83], v[25:32], v[41:48], v[76:83]
	v_wmma_f32_16x16x16_f16 v[76:83], v[57:64], v[33:40], v[76:83]
	s_delay_alu instid0(VALU_DEP_1) | instskip(NEXT) | instid1(VALU_DEP_2)
	v_cvt_f16_f32_e32 v1, v76
	v_cvt_f16_f32_e32 v2, v77
	s_delay_alu instid0(VALU_DEP_3) | instskip(NEXT) | instid1(VALU_DEP_4)
	v_cvt_f16_f32_e32 v3, v78
	v_cvt_f16_f32_e32 v4, v79
	;; [unrolled: 1-line block ×6, first 2 shown]
	v_pack_b32_f16 v1, v1, v2
	v_pack_b32_f16 v2, v3, v4
	;; [unrolled: 1-line block ×3, first 2 shown]
	s_delay_alu instid0(VALU_DEP_4)
	v_pack_b32_f16 v4, v7, v8
	ds_store_b128 v74, v[1:4]
	s_waitcnt lgkmcnt(0)
	s_barrier
	buffer_gl0_inv
	ds_load_b128 v[1:4], v75
	ds_load_b128 v[5:8], v75 offset:16
	s_waitcnt lgkmcnt(1)
	v_lshrrev_b32_e32 v9, 16, v1
	s_waitcnt lgkmcnt(0)
	v_lshrrev_b32_e32 v13, 16, v5
	v_lshrrev_b32_e32 v10, 16, v2
	;; [unrolled: 1-line block ×4, first 2 shown]
	v_cndmask_b32_e32 v17, v1, v9, vcc_lo
	v_cndmask_b32_e32 v18, v5, v13, vcc_lo
	v_cndmask_b32_e64 v21, v1, v9, s4
	v_cmp_eq_u32_e32 vcc_lo, 1, v71
	v_cndmask_b32_e64 v22, v5, v13, s4
	v_cmp_eq_u32_e64 s4, 2, v70
	v_cndmask_b32_e64 v19, v1, v9, s3
	v_cndmask_b32_e64 v20, v5, v13, s3
	v_cndmask_b32_e32 v1, v1, v9, vcc_lo
	v_cmp_eq_u32_e64 s3, 2, v71
	v_cndmask_b32_e32 v5, v5, v13, vcc_lo
	v_cndmask_b32_e64 v9, v17, v2, s4
	v_cmp_eq_u32_e32 vcc_lo, 3, v70
	v_cndmask_b32_e64 v13, v18, v6, s4
	v_cmp_eq_u32_e64 s4, 2, v69
	v_cndmask_b32_e64 v17, v19, v2, s5
	v_cndmask_b32_e64 v18, v20, v6, s5
	v_cmp_eq_u32_e64 s5, 3, v69
	v_cndmask_b32_e64 v1, v1, v2, s3
	v_cndmask_b32_e64 v19, v21, v2, s4
	v_cndmask_b32_e64 v20, v22, v6, s4
	v_cndmask_b32_e64 v2, v5, v6, s3
	v_cndmask_b32_e32 v5, v9, v10, vcc_lo
	v_cndmask_b32_e32 v6, v13, v14, vcc_lo
	v_cmp_eq_u32_e32 vcc_lo, 3, v71
	v_cndmask_b32_e64 v9, v17, v10, s6
	v_cndmask_b32_e64 v13, v18, v14, s6
	;; [unrolled: 1-line block ×3, first 2 shown]
	v_cmp_eq_u32_e64 s4, 4, v70
	v_cndmask_b32_e32 v1, v1, v10, vcc_lo
	v_cndmask_b32_e32 v2, v2, v14, vcc_lo
	v_cmp_eq_u32_e32 vcc_lo, 4, v72
	v_lshrrev_b32_e32 v15, 16, v7
	v_lshrrev_b32_e32 v16, 16, v8
	v_cndmask_b32_e64 v17, v19, v10, s5
	v_cmp_eq_u32_e64 s3, 4, v71
	v_cndmask_b32_e64 v5, v5, v3, s4
	v_cndmask_b32_e64 v6, v6, v7, s4
	v_cndmask_b32_e32 v9, v9, v3, vcc_lo
	v_cmp_eq_u32_e64 s4, 5, v72
	v_cndmask_b32_e32 v10, v13, v7, vcc_lo
	v_cmp_eq_u32_e32 vcc_lo, 4, v69
	v_cmp_eq_u32_e64 s5, 5, v70
	v_cndmask_b32_e64 v2, v2, v7, s3
	v_cndmask_b32_e64 v9, v9, v11, s4
	;; [unrolled: 1-line block ×3, first 2 shown]
	v_cndmask_b32_e32 v13, v17, v3, vcc_lo
	v_cmp_eq_u32_e64 s4, 5, v69
	v_cndmask_b32_e32 v14, v18, v7, vcc_lo
	v_cndmask_b32_e64 v1, v1, v3, s3
	v_cmp_eq_u32_e32 vcc_lo, 5, v71
	v_lshrrev_b32_e32 v12, 16, v4
	v_cndmask_b32_e64 v13, v13, v11, s4
	v_cndmask_b32_e64 v3, v14, v15, s4
	v_cmp_eq_u32_e64 s4, 6, v71
	v_cndmask_b32_e32 v1, v1, v11, vcc_lo
	v_cndmask_b32_e64 v5, v5, v11, s5
	v_cmp_eq_u32_e64 s6, 6, v70
	v_cndmask_b32_e64 v6, v6, v15, s5
	v_cmp_eq_u32_e64 s5, 6, v72
	v_cmp_eq_u32_e64 s3, 6, v69
	v_cndmask_b32_e64 v1, v1, v4, s4
	v_cndmask_b32_e32 v2, v2, v15, vcc_lo
	v_cmp_eq_u32_e32 vcc_lo, 7, v71
	v_cndmask_b32_e64 v5, v5, v4, s6
	v_cndmask_b32_e64 v9, v9, v4, s5
	;; [unrolled: 1-line block ×3, first 2 shown]
	v_cmp_eq_u32_e64 s6, 7, v70
	v_cndmask_b32_e32 v1, v1, v12, vcc_lo
	v_cndmask_b32_e64 v7, v13, v4, s3
	v_cndmask_b32_e64 v3, v3, v8, s3
	v_cndmask_b32_e64 v2, v2, v8, s4
	v_cmp_eq_u32_e64 s3, 7, v69
	v_cndmask_b32_e64 v4, v10, v8, s5
	v_cndmask_b32_e64 v5, v5, v12, s6
	;; [unrolled: 1-line block ×3, first 2 shown]
	v_cndmask_b32_e32 v2, v2, v16, vcc_lo
	v_cndmask_b32_e64 v7, v7, v12, s3
	v_cndmask_b32_e64 v3, v3, v16, s3
	;; [unrolled: 1-line block ×4, first 2 shown]
	v_cmp_gt_u32_e32 vcc_lo, 32, v0
	v_perm_b32 v4, v2, v1, 0x5040100
	v_perm_b32 v3, v3, v7, 0x5040100
	;; [unrolled: 1-line block ×4, first 2 shown]
	s_and_b32 s2, vcc_lo, s2
	ds_store_b128 v74, v[1:4]
	s_waitcnt lgkmcnt(0)
	s_barrier
	buffer_gl0_inv
	s_and_saveexec_b32 s3, s2
	s_cbranch_execz .LBB1171_2
; %bb.15:
	s_load_b64 s[0:1], s[0:1], 0x68
	s_lshl_b32 s4, s35, 6
	v_or_b32_e32 v3, s31, v66
	s_mul_i32 s2, s4, s34
	v_lshlrev_b32_e32 v0, 10, v0
	s_mul_i32 s2, s2, s8
	v_lshlrev_b32_e32 v1, 4, v67
	s_ashr_i32 s3, s2, 31
	v_mul_lo_u32 v12, v3, s4
	s_lshl_b64 s[2:3], s[2:3], 1
	v_lshlrev_b32_e32 v2, 6, v66
	v_and_b32_e32 v0, 0x3800, v0
	s_delay_alu instid0(VALU_DEP_1) | instskip(NEXT) | instid1(VALU_DEP_4)
	v_or3_b32 v8, v0, v1, v2
	v_ashrrev_i32_e32 v13, 31, v12
	ds_load_b128 v[0:3], v8
	ds_load_b128 v[4:7], v8 offset:128
	ds_load_b128 v[8:11], v8 offset:256
	s_waitcnt lgkmcnt(0)
	s_add_u32 s2, s0, s2
	s_addc_u32 s3, s1, s3
	s_lshl_b32 s0, s14, 6
	s_delay_alu instid0(SALU_CYCLE_1) | instskip(NEXT) | instid1(SALU_CYCLE_1)
	s_ashr_i32 s1, s0, 31
	s_lshl_b64 s[0:1], s[0:1], 1
	s_delay_alu instid0(SALU_CYCLE_1)
	s_add_u32 s0, s2, s0
	s_addc_u32 s1, s3, s1
	s_lshl_b32 s2, s35, 7
	v_add_co_u32 v18, s0, s0, v65
	v_add_nc_u32_e32 v14, s2, v12
	v_lshlrev_b64 v[12:13], 1, v[12:13]
	v_add_co_ci_u32_e64 v19, null, s1, 0, s0
	s_delay_alu instid0(VALU_DEP_3) | instskip(SKIP_1) | instid1(VALU_DEP_4)
	v_add_nc_u32_e32 v16, s2, v14
	v_ashrrev_i32_e32 v15, 31, v14
	v_add_co_u32 v12, vcc_lo, v18, v12
	s_delay_alu instid0(VALU_DEP_4) | instskip(NEXT) | instid1(VALU_DEP_4)
	v_add_co_ci_u32_e32 v13, vcc_lo, v19, v13, vcc_lo
	v_ashrrev_i32_e32 v17, 31, v16
	s_delay_alu instid0(VALU_DEP_4) | instskip(NEXT) | instid1(VALU_DEP_2)
	v_lshlrev_b64 v[14:15], 1, v[14:15]
	v_lshlrev_b64 v[16:17], 1, v[16:17]
	s_delay_alu instid0(VALU_DEP_2) | instskip(NEXT) | instid1(VALU_DEP_3)
	v_add_co_u32 v14, vcc_lo, v18, v14
	v_add_co_ci_u32_e32 v15, vcc_lo, v19, v15, vcc_lo
	s_delay_alu instid0(VALU_DEP_3) | instskip(NEXT) | instid1(VALU_DEP_4)
	v_add_co_u32 v16, vcc_lo, v18, v16
	v_add_co_ci_u32_e32 v17, vcc_lo, v19, v17, vcc_lo
	s_clause 0x2
	global_store_b128 v[12:13], v[0:3], off
	global_store_b128 v[14:15], v[4:7], off
	;; [unrolled: 1-line block ×3, first 2 shown]
	s_nop 0
	s_sendmsg sendmsg(MSG_DEALLOC_VGPRS)
	s_endpgm
	.section	.rodata,"a",@progbits
	.p2align	6, 0x0
	.amdhsa_kernel _Z39paged_attention_ll4mi_QKV_mfma16_kernelIDF16_hLN4vllm18Fp8KVCacheDataTypeE1EhLi32ELi64ELi256ELb0ELi6EL8MFMAType0EEvPKT_PKT0_S8_ifPKiSA_SA_iPKfiiiPfSD_PS3_PT2_iSC_SC_
		.amdhsa_group_segment_fixed_size 17472
		.amdhsa_private_segment_fixed_size 0
		.amdhsa_kernarg_size 400
		.amdhsa_user_sgpr_count 13
		.amdhsa_user_sgpr_dispatch_ptr 0
		.amdhsa_user_sgpr_queue_ptr 0
		.amdhsa_user_sgpr_kernarg_segment_ptr 1
		.amdhsa_user_sgpr_dispatch_id 0
		.amdhsa_user_sgpr_private_segment_size 0
		.amdhsa_wavefront_size32 1
		.amdhsa_uses_dynamic_stack 0
		.amdhsa_enable_private_segment 0
		.amdhsa_system_sgpr_workgroup_id_x 1
		.amdhsa_system_sgpr_workgroup_id_y 1
		.amdhsa_system_sgpr_workgroup_id_z 1
		.amdhsa_system_sgpr_workgroup_info 0
		.amdhsa_system_vgpr_workitem_id 0
		.amdhsa_next_free_vgpr 146
		.amdhsa_next_free_sgpr 38
		.amdhsa_reserve_vcc 1
		.amdhsa_float_round_mode_32 0
		.amdhsa_float_round_mode_16_64 0
		.amdhsa_float_denorm_mode_32 3
		.amdhsa_float_denorm_mode_16_64 3
		.amdhsa_dx10_clamp 1
		.amdhsa_ieee_mode 1
		.amdhsa_fp16_overflow 0
		.amdhsa_workgroup_processor_mode 1
		.amdhsa_memory_ordered 1
		.amdhsa_forward_progress 0
		.amdhsa_shared_vgpr_count 0
		.amdhsa_exception_fp_ieee_invalid_op 0
		.amdhsa_exception_fp_denorm_src 0
		.amdhsa_exception_fp_ieee_div_zero 0
		.amdhsa_exception_fp_ieee_overflow 0
		.amdhsa_exception_fp_ieee_underflow 0
		.amdhsa_exception_fp_ieee_inexact 0
		.amdhsa_exception_int_div_zero 0
	.end_amdhsa_kernel
	.section	.text._Z39paged_attention_ll4mi_QKV_mfma16_kernelIDF16_hLN4vllm18Fp8KVCacheDataTypeE1EhLi32ELi64ELi256ELb0ELi6EL8MFMAType0EEvPKT_PKT0_S8_ifPKiSA_SA_iPKfiiiPfSD_PS3_PT2_iSC_SC_,"axG",@progbits,_Z39paged_attention_ll4mi_QKV_mfma16_kernelIDF16_hLN4vllm18Fp8KVCacheDataTypeE1EhLi32ELi64ELi256ELb0ELi6EL8MFMAType0EEvPKT_PKT0_S8_ifPKiSA_SA_iPKfiiiPfSD_PS3_PT2_iSC_SC_,comdat
.Lfunc_end1171:
	.size	_Z39paged_attention_ll4mi_QKV_mfma16_kernelIDF16_hLN4vllm18Fp8KVCacheDataTypeE1EhLi32ELi64ELi256ELb0ELi6EL8MFMAType0EEvPKT_PKT0_S8_ifPKiSA_SA_iPKfiiiPfSD_PS3_PT2_iSC_SC_, .Lfunc_end1171-_Z39paged_attention_ll4mi_QKV_mfma16_kernelIDF16_hLN4vllm18Fp8KVCacheDataTypeE1EhLi32ELi64ELi256ELb0ELi6EL8MFMAType0EEvPKT_PKT0_S8_ifPKiSA_SA_iPKfiiiPfSD_PS3_PT2_iSC_SC_
                                        ; -- End function
	.section	.AMDGPU.csdata,"",@progbits
; Kernel info:
; codeLenInByte = 6452
; NumSgprs: 40
; NumVgprs: 146
; ScratchSize: 0
; MemoryBound: 0
; FloatMode: 240
; IeeeMode: 1
; LDSByteSize: 17472 bytes/workgroup (compile time only)
; SGPRBlocks: 4
; VGPRBlocks: 18
; NumSGPRsForWavesPerEU: 40
; NumVGPRsForWavesPerEU: 146
; Occupancy: 9
; WaveLimiterHint : 1
; COMPUTE_PGM_RSRC2:SCRATCH_EN: 0
; COMPUTE_PGM_RSRC2:USER_SGPR: 13
; COMPUTE_PGM_RSRC2:TRAP_HANDLER: 0
; COMPUTE_PGM_RSRC2:TGID_X_EN: 1
; COMPUTE_PGM_RSRC2:TGID_Y_EN: 1
; COMPUTE_PGM_RSRC2:TGID_Z_EN: 1
; COMPUTE_PGM_RSRC2:TIDIG_COMP_CNT: 0
	.section	.text._Z39paged_attention_ll4mi_QKV_mfma16_kernelIDF16_hLN4vllm18Fp8KVCacheDataTypeE1EhLi32ELi64ELi256ELb0ELi7EL8MFMAType0EEvPKT_PKT0_S8_ifPKiSA_SA_iPKfiiiPfSD_PS3_PT2_iSC_SC_,"axG",@progbits,_Z39paged_attention_ll4mi_QKV_mfma16_kernelIDF16_hLN4vllm18Fp8KVCacheDataTypeE1EhLi32ELi64ELi256ELb0ELi7EL8MFMAType0EEvPKT_PKT0_S8_ifPKiSA_SA_iPKfiiiPfSD_PS3_PT2_iSC_SC_,comdat
	.protected	_Z39paged_attention_ll4mi_QKV_mfma16_kernelIDF16_hLN4vllm18Fp8KVCacheDataTypeE1EhLi32ELi64ELi256ELb0ELi7EL8MFMAType0EEvPKT_PKT0_S8_ifPKiSA_SA_iPKfiiiPfSD_PS3_PT2_iSC_SC_ ; -- Begin function _Z39paged_attention_ll4mi_QKV_mfma16_kernelIDF16_hLN4vllm18Fp8KVCacheDataTypeE1EhLi32ELi64ELi256ELb0ELi7EL8MFMAType0EEvPKT_PKT0_S8_ifPKiSA_SA_iPKfiiiPfSD_PS3_PT2_iSC_SC_
	.globl	_Z39paged_attention_ll4mi_QKV_mfma16_kernelIDF16_hLN4vllm18Fp8KVCacheDataTypeE1EhLi32ELi64ELi256ELb0ELi7EL8MFMAType0EEvPKT_PKT0_S8_ifPKiSA_SA_iPKfiiiPfSD_PS3_PT2_iSC_SC_
	.p2align	8
	.type	_Z39paged_attention_ll4mi_QKV_mfma16_kernelIDF16_hLN4vllm18Fp8KVCacheDataTypeE1EhLi32ELi64ELi256ELb0ELi7EL8MFMAType0EEvPKT_PKT0_S8_ifPKiSA_SA_iPKfiiiPfSD_PS3_PT2_iSC_SC_,@function
_Z39paged_attention_ll4mi_QKV_mfma16_kernelIDF16_hLN4vllm18Fp8KVCacheDataTypeE1EhLi32ELi64ELi256ELb0ELi7EL8MFMAType0EEvPKT_PKT0_S8_ifPKiSA_SA_iPKfiiiPfSD_PS3_PT2_iSC_SC_: ; @_Z39paged_attention_ll4mi_QKV_mfma16_kernelIDF16_hLN4vllm18Fp8KVCacheDataTypeE1EhLi32ELi64ELi256ELb0ELi7EL8MFMAType0EEvPKT_PKT0_S8_ifPKiSA_SA_iPKfiiiPfSD_PS3_PT2_iSC_SC_
; %bb.0:
	s_load_b64 s[2:3], s[0:1], 0x30
	s_mov_b32 s34, s13
	s_waitcnt lgkmcnt(0)
	s_cmp_lg_u64 s[2:3], 0
	s_cselect_b32 s6, -1, 0
	s_ashr_i32 s35, s13, 31
	s_cmp_eq_u64 s[2:3], 0
	s_cbranch_scc1 .LBB1172_3
; %bb.1:
	s_lshl_b64 s[4:5], s[34:35], 2
	s_delay_alu instid0(SALU_CYCLE_1) | instskip(SKIP_4) | instid1(SALU_CYCLE_1)
	s_add_u32 s4, s2, s4
	s_addc_u32 s5, s3, s5
	s_load_b64 s[4:5], s[4:5], 0x0
	s_waitcnt lgkmcnt(0)
	s_sub_i32 s4, s5, s4
	s_cmp_eq_u32 s4, 1
	s_cselect_b32 s4, -1, 0
	s_delay_alu instid0(SALU_CYCLE_1)
	s_and_not1_b32 vcc_lo, exec_lo, s4
	s_cbranch_vccz .LBB1172_4
.LBB1172_2:
	s_nop 0
	s_sendmsg sendmsg(MSG_DEALLOC_VGPRS)
	s_endpgm
.LBB1172_3:
.LBB1172_4:
	s_load_b64 s[8:9], s[0:1], 0x28
	s_lshl_b64 s[4:5], s[34:35], 2
	s_waitcnt lgkmcnt(0)
	s_add_u32 s8, s8, s4
	s_addc_u32 s9, s9, s5
	s_lshl_b32 s16, s14, 8
	s_load_b32 s18, s[8:9], 0x0
	s_waitcnt lgkmcnt(0)
	s_cmp_ge_i32 s16, s18
	s_cbranch_scc1 .LBB1172_2
; %bb.5:
	s_clause 0x1
	s_load_b128 s[8:11], s[0:1], 0x8
	s_load_b64 s[12:13], s[0:1], 0x20
	s_and_not1_b32 vcc_lo, exec_lo, s6
	s_cbranch_vccnz .LBB1172_7
; %bb.6:
	s_add_u32 s2, s2, s4
	s_addc_u32 s3, s3, s5
	s_load_b32 s3, s[2:3], 0x0
	s_branch .LBB1172_8
.LBB1172_7:
	s_mov_b32 s3, s34
.LBB1172_8:
	s_load_b128 s[4:7], s[0:1], 0x48
	v_lshrrev_b32_e32 v69, 5, v0
	v_bfe_u32 v66, v0, 4, 1
	v_and_b32_e32 v68, 15, v0
	v_and_b32_e32 v70, 31, v0
	;; [unrolled: 1-line block ×3, first 2 shown]
	s_mul_i32 s33, s15, 7
	v_lshl_or_b32 v1, v69, 1, v66
	v_lshlrev_b32_e32 v2, 3, v68
	v_cmp_gt_u32_e64 s2, 8, v68
	s_delay_alu instid0(VALU_DEP_3) | instskip(NEXT) | instid1(VALU_DEP_3)
	v_cmp_gt_u32_e32 vcc_lo, 7, v1
	v_lshlrev_b32_e32 v65, 1, v2
	s_delay_alu instid0(VALU_DEP_3)
	s_and_b32 s17, s2, vcc_lo
	s_waitcnt lgkmcnt(0)
	s_and_saveexec_b32 s7, s17
	s_cbranch_execz .LBB1172_10
; %bb.9:
	s_load_b64 s[20:21], s[0:1], 0x0
	v_add_lshl_u32 v2, v1, s33, 6
	s_mul_hi_i32 s23, s3, s4
	s_mul_i32 s22, s3, s4
	v_lshlrev_b32_e32 v6, 10, v68
	s_lshl_b64 s[22:23], s[22:23], 1
	v_ashrrev_i32_e32 v3, 31, v2
	v_lshlrev_b32_e32 v1, 6, v1
	v_lshlrev_b32_e32 v7, 10, v67
	v_and_b32_e32 v6, 0x3800, v6
	s_delay_alu instid0(VALU_DEP_4) | instskip(NEXT) | instid1(VALU_DEP_2)
	v_lshlrev_b64 v[2:3], 1, v[2:3]
	v_or3_b32 v1, v6, v7, v1
	s_waitcnt lgkmcnt(0)
	s_add_u32 s3, s20, s22
	s_addc_u32 s4, s21, s23
	s_delay_alu instid0(VALU_DEP_2) | instskip(SKIP_1) | instid1(VALU_DEP_2)
	v_add_co_u32 v2, vcc_lo, s3, v2
	v_add_co_ci_u32_e32 v3, vcc_lo, s4, v3, vcc_lo
	v_add_co_u32 v2, vcc_lo, v2, v65
	s_delay_alu instid0(VALU_DEP_2)
	v_add_co_ci_u32_e32 v3, vcc_lo, 0, v3, vcc_lo
	global_load_b128 v[2:5], v[2:3], off
	s_waitcnt vmcnt(0)
	ds_store_b128 v1, v[2:5]
.LBB1172_10:
	s_or_b32 exec_lo, exec_lo, s7
	v_and_b32_e32 v1, 0xef, v0
	s_add_i32 s3, s18, 31
	s_clause 0x1
	s_load_b32 s4, s[0:1], 0x38
	s_load_b32 s35, s[0:1], 0x98
	s_ashr_i32 s7, s3, 31
	v_add_nc_u32_e32 v1, s16, v1
	s_lshr_b32 s7, s7, 27
	s_load_b32 s19, s[0:1], 0x1c
	s_add_i32 s3, s3, s7
	s_waitcnt lgkmcnt(0)
	v_ashrrev_i32_e32 v2, 31, v1
	v_or_b32_e32 v3, 16, v1
	s_ashr_i32 s3, s3, 5
	v_cmp_gt_i32_e32 vcc_lo, s18, v1
	s_add_i32 s3, s3, -1
	v_lshrrev_b32_e32 v2, 27, v2
	s_barrier
	buffer_gl0_inv
	s_mul_i32 s15, s15, s6
	v_mul_lo_u16 v103, v68, 37
	v_add_nc_u32_e32 v4, v1, v2
	v_mbcnt_lo_u32_b32 v127, -1, 0
	s_mul_i32 s20, s34, s4
	s_delay_alu instid0(SALU_CYCLE_1) | instskip(NEXT) | instid1(VALU_DEP_2)
	s_ashr_i32 s21, s20, 31
	v_ashrrev_i32_e32 v4, 5, v4
	v_add_nc_u32_e32 v2, v3, v2
	s_lshl_b64 s[20:21], s[20:21], 2
	v_lshrrev_b16 v103, 8, v103
	s_add_u32 s17, s12, s20
	v_cndmask_b32_e32 v1, s3, v4, vcc_lo
	v_ashrrev_i32_e32 v2, 5, v2
	v_cmp_gt_i32_e32 vcc_lo, s18, v3
	s_addc_u32 s13, s13, s21
	s_ashr_i32 s20, s15, 31
	s_add_u32 s22, s8, s15
	s_addc_u32 s23, s9, s20
	v_cndmask_b32_e32 v3, s3, v2, vcc_lo
	v_ashrrev_i32_e32 v2, 31, v1
	s_lshl_b32 s6, s14, 3
	v_mul_lo_u16 v103, v103, 7
	s_ashr_i32 s7, s6, 31
	v_ashrrev_i32_e32 v4, 31, v3
	v_lshlrev_b64 v[1:2], 2, v[1:2]
	s_lshl_b64 s[6:7], s[6:7], 2
	v_sub_nc_u16 v103, v68, v103
	s_add_u32 s6, s17, s6
	v_lshlrev_b64 v[3:4], 2, v[3:4]
	s_addc_u32 s7, s13, s7
	v_add_co_u32 v1, vcc_lo, s17, v1
	v_add_co_ci_u32_e32 v2, vcc_lo, s13, v2, vcc_lo
	s_delay_alu instid0(VALU_DEP_3) | instskip(NEXT) | instid1(VALU_DEP_4)
	v_add_co_u32 v3, vcc_lo, s17, v3
	v_add_co_ci_u32_e32 v4, vcc_lo, s13, v4, vcc_lo
	s_clause 0x1
	global_load_b32 v5, v[1:2], off
	global_load_b32 v6, v[3:4], off
	s_or_b32 s4, s16, 32
	v_xor_b32_e32 v128, 16, v127
	s_ashr_i32 s8, s4, 5
	s_cmp_lt_i32 s4, s18
	s_cselect_b32 s8, s8, s3
	s_delay_alu instid0(SALU_CYCLE_1) | instskip(NEXT) | instid1(SALU_CYCLE_1)
	s_ashr_i32 s9, s8, 31
	s_lshl_b64 s[8:9], s[8:9], 2
	s_delay_alu instid0(SALU_CYCLE_1) | instskip(SKIP_2) | instid1(SALU_CYCLE_1)
	s_add_u32 s8, s17, s8
	s_addc_u32 s9, s13, s9
	s_or_b32 s4, s16, 64
	s_ashr_i32 s12, s4, 5
	s_cmp_lt_i32 s4, s18
	s_cselect_b32 s24, s12, s3
	s_delay_alu instid0(SALU_CYCLE_1) | instskip(NEXT) | instid1(SALU_CYCLE_1)
	s_ashr_i32 s25, s24, 31
	s_lshl_b64 s[24:25], s[24:25], 2
	s_delay_alu instid0(SALU_CYCLE_1) | instskip(SKIP_2) | instid1(SALU_CYCLE_1)
	s_add_u32 s24, s17, s24
	s_addc_u32 s25, s13, s25
	s_or_b32 s4, s16, 0x60
	s_ashr_i32 s12, s4, 5
	s_cmp_lt_i32 s4, s18
	s_cselect_b32 s26, s12, s3
	s_delay_alu instid0(SALU_CYCLE_1) | instskip(NEXT) | instid1(SALU_CYCLE_1)
	s_ashr_i32 s27, s26, 31
	s_lshl_b64 s[26:27], s[26:27], 2
	s_delay_alu instid0(SALU_CYCLE_1) | instskip(SKIP_2) | instid1(SALU_CYCLE_1)
	s_add_u32 s26, s17, s26
	s_addc_u32 s27, s13, s27
	s_or_b32 s4, s16, 0x80
	s_ashr_i32 s12, s4, 5
	s_cmp_lt_i32 s4, s18
	s_cselect_b32 s28, s12, s3
	s_delay_alu instid0(SALU_CYCLE_1) | instskip(NEXT) | instid1(SALU_CYCLE_1)
	s_ashr_i32 s29, s28, 31
	s_lshl_b64 s[28:29], s[28:29], 2
	s_delay_alu instid0(SALU_CYCLE_1) | instskip(SKIP_2) | instid1(SALU_CYCLE_1)
	s_add_u32 s28, s17, s28
	s_addc_u32 s29, s13, s29
	s_or_b32 s4, s16, 0xa0
	s_ashr_i32 s12, s4, 5
	s_cmp_lt_i32 s4, s18
	s_cselect_b32 s30, s12, s3
	s_delay_alu instid0(SALU_CYCLE_1) | instskip(NEXT) | instid1(SALU_CYCLE_1)
	s_ashr_i32 s31, s30, 31
	s_lshl_b64 s[30:31], s[30:31], 2
	s_delay_alu instid0(SALU_CYCLE_1)
	s_add_u32 s30, s17, s30
	s_addc_u32 s31, s13, s31
	s_clause 0x5
	s_load_b32 s12, s[6:7], 0x0
	s_load_b32 s4, s[8:9], 0x0
	;; [unrolled: 1-line block ×6, first 2 shown]
	s_or_b32 s21, s16, 0xc0
	s_waitcnt vmcnt(1)
	v_mad_i64_i32 v[1:2], null, v5, s5, s[22:23]
	v_lshlrev_b32_e32 v5, 4, v68
	s_waitcnt vmcnt(0)
	v_mad_i64_i32 v[3:4], null, v6, s5, s[22:23]
	s_ashr_i32 s22, s21, 5
	s_cmp_lt_i32 s21, s18
	s_delay_alu instid0(VALU_DEP_3) | instskip(NEXT) | instid1(VALU_DEP_4)
	v_add_co_u32 v1, vcc_lo, v1, v5
	v_add_co_ci_u32_e32 v2, vcc_lo, 0, v2, vcc_lo
	s_delay_alu instid0(VALU_DEP_3) | instskip(NEXT) | instid1(VALU_DEP_4)
	v_add_co_u32 v3, vcc_lo, v3, v5
	v_add_co_ci_u32_e32 v4, vcc_lo, 0, v4, vcc_lo
	s_clause 0x7
	global_load_b128 v[71:74], v[1:2], off
	global_load_b128 v[75:78], v[1:2], off offset:512
	global_load_b128 v[79:82], v[3:4], off offset:256
	;; [unrolled: 1-line block ×7, first 2 shown]
	s_cselect_b32 s22, s22, s3
	v_lshlrev_b32_e32 v1, 5, v68
	s_ashr_i32 s23, s22, 31
	v_cmp_gt_i32_e32 vcc_lo, 32, v128
	s_lshl_b64 s[22:23], s[22:23], 2
	v_and_b32_e32 v103, 0xff, v103
	s_add_u32 s22, s17, s22
	s_addc_u32 s23, s13, s23
	v_cndmask_b32_e32 v136, v127, v128, vcc_lo
	s_or_b32 s21, s16, 0xe0
	v_lshl_or_b32 v1, v69, 9, v1
	s_ashr_i32 s24, s21, 5
	s_cmp_lt_i32 s21, s18
	v_lshlrev_b32_e32 v115, 6, v103
	s_cselect_b32 s24, s24, s3
	s_load_b32 s3, s[22:23], 0x0
	s_ashr_i32 s25, s24, 31
	s_delay_alu instid0(SALU_CYCLE_1) | instskip(NEXT) | instid1(SALU_CYCLE_1)
	s_lshl_b64 s[24:25], s[24:25], 2
	s_add_u32 s22, s17, s24
	s_addc_u32 s23, s13, s25
	s_add_u32 s10, s10, s15
	s_addc_u32 s11, s11, s20
	v_add_co_u32 v1, s10, s10, v1
	s_delay_alu instid0(VALU_DEP_1) | instskip(SKIP_2) | instid1(VALU_DEP_1)
	v_add_co_ci_u32_e64 v2, null, s11, 0, s10
	s_load_b32 s10, s[22:23], 0x0
	s_waitcnt lgkmcnt(0)
	v_mad_i64_i32 v[3:4], null, s12, s5, v[1:2]
	v_mad_i64_i32 v[9:10], null, s7, s5, v[1:2]
	;; [unrolled: 1-line block ×7, first 2 shown]
	s_clause 0x5
	global_load_b128 v[49:52], v[3:4], off
	global_load_b128 v[53:56], v[3:4], off offset:16
	global_load_b128 v[41:44], v[5:6], off
	global_load_b128 v[45:48], v[5:6], off offset:16
	;; [unrolled: 2-line block ×3, first 2 shown]
	s_mov_b32 s4, 0
	v_mad_i64_i32 v[61:62], null, s10, s5, v[1:2]
	s_clause 0x9
	global_load_b128 v[1:4], v[9:10], off
	global_load_b128 v[5:8], v[9:10], off offset:16
	global_load_b128 v[9:12], v[13:14], off
	global_load_b128 v[13:16], v[13:14], off offset:16
	;; [unrolled: 2-line block ×5, first 2 shown]
	s_mov_b32 s5, s4
	s_mov_b32 s6, s4
	;; [unrolled: 1-line block ×7, first 2 shown]
	v_and_b32_e32 v104, 0xe0, v0
	v_dual_mov_b32 v126, s11 :: v_dual_mov_b32 v123, s8
	v_dual_mov_b32 v125, s10 :: v_dual_mov_b32 v124, s9
	s_delay_alu instid0(VALU_DEP_3)
	v_add_nc_u32_e32 v111, s16, v104
	ds_load_b128 v[103:106], v115
	ds_load_b128 v[107:110], v115 offset:1024
	v_dual_mov_b32 v122, s7 :: v_dual_mov_b32 v121, s6
	v_mov_b32_e32 v120, s5
	v_or_b32_e32 v135, v111, v66
	ds_load_b128 v[111:114], v115 offset:2048
	ds_load_b128 v[115:118], v115 offset:3072
	v_mov_b32_e32 v119, s4
	s_waitcnt vmcnt(0) lgkmcnt(0)
	s_barrier
	v_or_b32_e32 v137, 2, v135
	v_or_b32_e32 v138, 4, v135
	v_or_b32_e32 v139, 6, v135
	v_cmp_gt_i32_e32 vcc_lo, s18, v135
	v_or_b32_e32 v140, 8, v135
	v_cmp_gt_i32_e64 s3, s18, v137
	v_or_b32_e32 v141, 10, v135
	v_cmp_gt_i32_e64 s4, s18, v138
	v_cmp_gt_i32_e64 s5, s18, v139
	v_or_b32_e32 v142, 12, v135
	v_or_b32_e32 v143, 14, v135
	v_cmp_gt_i32_e64 s6, s18, v140
	v_cmp_gt_i32_e64 s7, s18, v141
	v_or_b32_e32 v144, 16, v135
	v_or_b32_e32 v145, 18, v135
	v_cmp_gt_i32_e64 s8, s18, v142
	v_cmp_gt_i32_e64 s9, s18, v143
	buffer_gl0_inv
	v_cmp_gt_i32_e64 s10, s18, v144
	v_cmp_gt_i32_e64 s11, s18, v145
	v_wmma_f32_16x16x16_f16 v[127:134], v[71:78], v[103:110], v[119:126]
	v_wmma_f32_16x16x16_f16 v[119:126], v[79:86], v[103:110], v[119:126]
	v_or_b32_e32 v71, 20, v135
	v_or_b32_e32 v72, 22, v135
	s_delay_alu instid0(VALU_DEP_4)
	v_wmma_f32_16x16x16_f16 v[127:134], v[87:94], v[111:118], v[127:134]
	v_or_b32_e32 v73, 24, v135
	v_wmma_f32_16x16x16_f16 v[119:126], v[95:102], v[111:118], v[119:126]
	v_or_b32_e32 v74, 26, v135
	v_cmp_gt_i32_e64 s12, s18, v71
	v_dual_mul_f32 v84, s19, v127 :: v_dual_mul_f32 v83, s19, v128
	s_delay_alu instid0(VALU_DEP_4) | instskip(SKIP_2) | instid1(VALU_DEP_4)
	v_dual_mul_f32 v92, s19, v119 :: v_dual_mul_f32 v81, s19, v130
	v_mul_f32_e32 v90, s19, v121
	v_mul_f32_e32 v82, s19, v129
	v_cndmask_b32_e32 v84, 0xff7fffff, v84, vcc_lo
	v_cndmask_b32_e64 v83, 0xff7fffff, v83, s3
	v_dual_mul_f32 v79, s19, v132 :: v_dual_mul_f32 v88, s19, v123
	v_mul_f32_e32 v80, s19, v131
	v_cndmask_b32_e64 v82, 0xff7fffff, v82, s4
	v_cndmask_b32_e64 v81, 0xff7fffff, v81, s5
	v_max3_f32 v83, v84, 0xff7fffff, v83
	v_dual_mul_f32 v77, s19, v134 :: v_dual_mul_f32 v86, s19, v125
	v_mul_f32_e32 v78, s19, v133
	v_cndmask_b32_e64 v80, 0xff7fffff, v80, s6
	v_cndmask_b32_e64 v79, 0xff7fffff, v79, s7
	v_max3_f32 v81, v83, v82, v81
	v_mul_f32_e32 v91, s19, v120
	v_cndmask_b32_e64 v78, 0xff7fffff, v78, s8
	v_cndmask_b32_e64 v77, 0xff7fffff, v77, s9
	v_mul_f32_e32 v89, s19, v122
	v_max3_f32 v79, v81, v80, v79
	v_cndmask_b32_e64 v80, 0xff7fffff, v92, s10
	v_cndmask_b32_e64 v81, 0xff7fffff, v91, s11
	v_cmp_gt_i32_e64 s13, s18, v72
	v_or_b32_e32 v75, 28, v135
	v_max3_f32 v77, v79, v78, v77
	v_or_b32_e32 v76, 30, v135
	v_mul_f32_e32 v87, s19, v124
	v_cndmask_b32_e64 v71, 0xff7fffff, v90, s12
	v_cndmask_b32_e64 v72, 0xff7fffff, v89, s13
	v_max3_f32 v77, v77, v80, v81
	v_cmp_gt_i32_e64 s15, s18, v73
	v_cmp_gt_i32_e64 s16, s18, v74
	v_mul_f32_e32 v85, s19, v126
	v_cmp_gt_i32_e64 s17, s18, v75
	v_max3_f32 v71, v77, v71, v72
	v_cndmask_b32_e64 v73, 0xff7fffff, v88, s15
	v_cndmask_b32_e64 v74, 0xff7fffff, v87, s16
	v_cmp_gt_i32_e64 s18, s18, v76
	v_cndmask_b32_e64 v72, 0xff7fffff, v86, s17
	s_delay_alu instid0(VALU_DEP_3) | instskip(NEXT) | instid1(VALU_DEP_3)
	v_max3_f32 v71, v71, v73, v74
	v_cndmask_b32_e64 v75, 0xff7fffff, v85, s18
	v_lshlrev_b32_e32 v73, 2, v136
	s_delay_alu instid0(VALU_DEP_2) | instskip(SKIP_3) | instid1(VALU_DEP_1)
	v_max3_f32 v71, v71, v72, v75
	ds_bpermute_b32 v72, v73, v71
	s_waitcnt lgkmcnt(0)
	v_max_f32_e32 v72, v72, v72
	v_max_f32_e32 v71, v71, v72
	s_delay_alu instid0(VALU_DEP_1) | instskip(SKIP_2) | instid1(VALU_DEP_3)
	v_fma_f32 v72, s19, v127, -v71
	v_fma_f32 v74, s19, v128, -v71
	;; [unrolled: 1-line block ×3, first 2 shown]
	v_mul_f32_e32 v72, 0x3fb8aa3b, v72
	s_delay_alu instid0(VALU_DEP_2) | instskip(NEXT) | instid1(VALU_DEP_2)
	v_dual_mul_f32 v74, 0x3fb8aa3b, v74 :: v_dual_mul_f32 v75, 0x3fb8aa3b, v75
	v_exp_f32_e32 v72, v72
	s_delay_alu instid0(VALU_DEP_1) | instskip(NEXT) | instid1(VALU_DEP_1)
	v_exp_f32_e32 v74, v74
	v_exp_f32_e32 v75, v75
	s_delay_alu instid0(TRANS32_DEP_3)
	v_cndmask_b32_e32 v79, 0, v72, vcc_lo
	s_waitcnt_depctr 0xfff
	v_cndmask_b32_e64 v78, 0, v74, s3
	v_cndmask_b32_e64 v81, 0, v75, s4
	v_cmp_gt_u32_e64 s3, 16, v70
	v_add_f32_e32 v74, 0, v79
	s_delay_alu instid0(VALU_DEP_1) | instskip(NEXT) | instid1(VALU_DEP_1)
	v_add_f32_e32 v74, v74, v78
	v_add_f32_e32 v74, v74, v81
	v_fma_f32 v76, s19, v130, -v71
	v_fma_f32 v77, s19, v131, -v71
	;; [unrolled: 1-line block ×5, first 2 shown]
	s_delay_alu instid0(VALU_DEP_4) | instskip(NEXT) | instid1(VALU_DEP_4)
	v_dual_mul_f32 v76, 0x3fb8aa3b, v76 :: v_dual_mul_f32 v77, 0x3fb8aa3b, v77
	v_mul_f32_e32 v72, 0x3fb8aa3b, v72
	s_delay_alu instid0(VALU_DEP_4) | instskip(SKIP_1) | instid1(VALU_DEP_4)
	v_mul_f32_e32 v82, 0x3fb8aa3b, v80
	v_fma_f32 v86, s19, v122, -v71
	v_exp_f32_e32 v76, v76
	v_exp_f32_e32 v77, v77
	;; [unrolled: 1-line block ×4, first 2 shown]
	v_mul_f32_e32 v86, 0x3fb8aa3b, v86
	s_delay_alu instid0(VALU_DEP_1)
	v_exp_f32_e32 v88, v86
	v_cndmask_b32_e64 v80, 0, v76, s5
	v_mul_f32_e32 v75, 0x3fb8aa3b, v75
	v_fma_f32 v76, s19, v119, -v71
	v_cndmask_b32_e64 v83, 0, v77, s6
	v_fma_f32 v77, s19, v120, -v71
	v_add_f32_e32 v74, v74, v80
	v_exp_f32_e32 v75, v75
	v_mul_f32_e32 v76, 0x3fb8aa3b, v76
	v_cndmask_b32_e64 v82, 0, v72, s7
	s_delay_alu instid0(VALU_DEP_3) | instskip(SKIP_1) | instid1(VALU_DEP_4)
	v_dual_mul_f32 v77, 0x3fb8aa3b, v77 :: v_dual_add_f32 v72, v74, v83
	v_fma_f32 v74, s19, v121, -v71
	v_exp_f32_e32 v76, v76
	v_cndmask_b32_e64 v85, 0, v84, s8
	s_delay_alu instid0(VALU_DEP_3) | instskip(SKIP_1) | instid1(TRANS32_DEP_3)
	v_exp_f32_e32 v77, v77
	v_cndmask_b32_e64 v88, 0, v88, s13
	v_cndmask_b32_e64 v84, 0, v75, s9
	v_fma_f32 v75, s19, v123, -v71
	v_add_f32_e32 v72, v72, v82
	s_delay_alu instid0(VALU_DEP_2) | instskip(NEXT) | instid1(VALU_DEP_2)
	v_dual_mul_f32 v74, 0x3fb8aa3b, v74 :: v_dual_mul_f32 v75, 0x3fb8aa3b, v75
	v_add_f32_e32 v72, v72, v85
	s_delay_alu instid0(VALU_DEP_2)
	v_exp_f32_e32 v74, v74
	v_cndmask_b32_e64 v87, 0, v76, s10
	v_fma_f32 v76, s19, v124, -v71
	v_cndmask_b32_e64 v86, 0, v77, s11
	v_add_f32_e32 v72, v72, v84
	v_fma_f32 v77, s19, v125, -v71
	v_exp_f32_e32 v75, v75
	v_mul_f32_e32 v76, 0x3fb8aa3b, v76
	s_delay_alu instid0(VALU_DEP_3) | instskip(NEXT) | instid1(TRANS32_DEP_2)
	v_add_f32_e32 v72, v72, v87
	v_cndmask_b32_e64 v89, 0, v74, s12
	v_mul_f32_e32 v74, 0x3fb8aa3b, v77
	s_delay_alu instid0(VALU_DEP_4) | instskip(SKIP_2) | instid1(VALU_DEP_3)
	v_exp_f32_e32 v76, v76
	v_fma_f32 v77, s19, v126, -v71
	v_add_f32_e32 v72, v72, v86
	v_exp_f32_e32 v74, v74
	s_delay_alu instid0(TRANS32_DEP_3) | instskip(NEXT) | instid1(VALU_DEP_3)
	v_cndmask_b32_e64 v91, 0, v75, s15
	v_mul_f32_e32 v75, 0x3fb8aa3b, v77
	s_delay_alu instid0(VALU_DEP_3) | instskip(NEXT) | instid1(TRANS32_DEP_2)
	v_add_f32_e32 v72, v72, v89
	v_cndmask_b32_e64 v90, 0, v76, s16
	s_delay_alu instid0(VALU_DEP_3) | instskip(NEXT) | instid1(VALU_DEP_2)
	v_exp_f32_e32 v75, v75
	v_add_f32_e32 v72, v72, v88
	s_delay_alu instid0(TRANS32_DEP_2) | instskip(NEXT) | instid1(VALU_DEP_2)
	v_cndmask_b32_e64 v93, 0, v74, s17
	v_add_f32_e32 v72, v72, v91
	s_waitcnt_depctr 0xfff
	v_cndmask_b32_e64 v92, 0, v75, s18
	v_add_f32_e32 v72, v72, v90
	s_delay_alu instid0(VALU_DEP_1) | instskip(NEXT) | instid1(VALU_DEP_1)
	v_add_f32_e32 v72, v72, v93
	v_add_f32_e32 v72, v72, v92
	ds_bpermute_b32 v73, v73, v72
	s_and_saveexec_b32 s4, s3
	s_cbranch_execz .LBB1172_12
; %bb.11:
	v_mul_u32_u24_e32 v70, 0x44, v69
	s_waitcnt lgkmcnt(0)
	v_add_f32_e32 v72, v72, v73
	s_delay_alu instid0(VALU_DEP_2) | instskip(NEXT) | instid1(VALU_DEP_1)
	v_lshl_add_u32 v70, v68, 2, v70
	v_add_nc_u32_e32 v70, 0x4000, v70
	ds_store_2addr_b32 v70, v71, v72 offset1:136
.LBB1172_12:
	s_or_b32 exec_lo, exec_lo, s4
	v_lshlrev_b32_e32 v70, 2, v68
	s_load_b32 s36, s[0:1], 0x94
	s_waitcnt lgkmcnt(0)
	s_barrier
	buffer_gl0_inv
	v_add_nc_u32_e32 v98, 0x4000, v70
	v_cmp_eq_u32_e32 vcc_lo, 1, v69
	v_cmp_eq_u32_e64 s4, 2, v69
	v_cmp_eq_u32_e64 s5, 3, v69
	;; [unrolled: 1-line block ×3, first 2 shown]
	ds_load_2addr_b32 v[70:71], v98 offset1:17
	ds_load_2addr_b32 v[72:73], v98 offset0:34 offset1:51
	ds_load_2addr_b32 v[74:75], v98 offset0:68 offset1:85
	;; [unrolled: 1-line block ×3, first 2 shown]
	v_cmp_eq_u32_e64 s7, 5, v69
	v_cmp_eq_u32_e64 s8, 7, v69
	s_waitcnt lgkmcnt(3)
	v_max3_f32 v76, v70, 0xff7fffff, v71
	s_waitcnt lgkmcnt(2)
	s_delay_alu instid0(VALU_DEP_1) | instskip(SKIP_1) | instid1(VALU_DEP_1)
	v_max3_f32 v76, v76, v72, v73
	s_waitcnt lgkmcnt(1)
	v_max3_f32 v76, v76, v74, v75
	s_waitcnt lgkmcnt(0)
	s_delay_alu instid0(VALU_DEP_1) | instskip(NEXT) | instid1(VALU_DEP_1)
	v_max3_f32 v76, v76, v94, v95
	v_sub_f32_e32 v77, v71, v76
	ds_load_2addr_b32 v[96:97], v98 offset0:136 offset1:153
	v_sub_f32_e32 v74, v74, v76
	v_sub_f32_e32 v70, v70, v76
	;; [unrolled: 1-line block ×3, first 2 shown]
	v_dual_sub_f32 v72, v72, v76 :: v_dual_mul_f32 v77, 0x3fb8aa3b, v77
	s_delay_alu instid0(VALU_DEP_4) | instskip(NEXT) | instid1(VALU_DEP_4)
	v_mul_f32_e32 v103, 0x3fb8aa3b, v74
	v_mul_f32_e32 v99, 0x3fb8aa3b, v70
	ds_load_2addr_b32 v[70:71], v98 offset0:170 offset1:187
	v_dual_mul_f32 v101, 0x3fb8aa3b, v72 :: v_dual_mul_f32 v94, 0x3fb8aa3b, v94
	v_exp_f32_e32 v102, v77
	v_exp_f32_e32 v99, v99
	s_delay_alu instid0(VALU_DEP_1) | instskip(NEXT) | instid1(VALU_DEP_1)
	v_exp_f32_e32 v101, v101
	v_exp_f32_e32 v94, v94
	s_waitcnt lgkmcnt(1)
	s_delay_alu instid0(TRANS32_DEP_3)
	v_fma_f32 v77, v99, v96, 0
	v_sub_f32_e32 v100, v73, v76
	ds_load_2addr_b32 v[72:73], v98 offset0:204 offset1:221
	v_fmac_f32_e32 v77, v102, v97
	v_exp_f32_e32 v97, v103
	s_waitcnt lgkmcnt(1)
	s_delay_alu instid0(VALU_DEP_1)
	v_dual_fmac_f32 v77, v101, v70 :: v_dual_sub_f32 v96, v75, v76
	ds_load_2addr_b32 v[74:75], v98 offset0:238 offset1:255
	v_sub_f32_e32 v70, v95, v76
	s_waitcnt lgkmcnt(0)
	s_barrier
	v_mul_f32_e32 v96, 0x3fb8aa3b, v96
	buffer_gl0_inv
	v_exp_f32_e32 v95, v96
	v_mul_f32_e32 v100, 0x3fb8aa3b, v100
	s_delay_alu instid0(VALU_DEP_1) | instskip(SKIP_3) | instid1(VALU_DEP_2)
	v_exp_f32_e32 v100, v100
	s_waitcnt_depctr 0xfff
	v_dual_fmac_f32 v77, v100, v71 :: v_dual_mul_f32 v70, 0x3fb8aa3b, v70
	v_cndmask_b32_e32 v71, v99, v102, vcc_lo
	v_fmac_f32_e32 v77, v97, v72
	s_delay_alu instid0(VALU_DEP_3) | instskip(NEXT) | instid1(VALU_DEP_1)
	v_exp_f32_e32 v96, v70
	v_fmac_f32_e32 v77, v95, v73
	s_delay_alu instid0(VALU_DEP_1) | instskip(SKIP_2) | instid1(VALU_DEP_1)
	v_fmac_f32_e32 v77, v94, v74
	s_waitcnt_depctr 0xfff
	v_fmac_f32_e32 v77, v96, v75
	v_add_f32_e32 v74, 0x358637bd, v77
	s_delay_alu instid0(VALU_DEP_1) | instskip(SKIP_1) | instid1(VALU_DEP_2)
	v_div_scale_f32 v98, null, v74, v74, 1.0
	v_div_scale_f32 v99, vcc_lo, 1.0, v74, 1.0
	v_rcp_f32_e32 v103, v98
	s_waitcnt_depctr 0xfff
	v_fma_f32 v70, -v98, v103, 1.0
	s_delay_alu instid0(VALU_DEP_1) | instskip(SKIP_2) | instid1(VALU_DEP_2)
	v_fmac_f32_e32 v103, v70, v103
	v_cndmask_b32_e64 v70, v71, v101, s4
	v_cmp_eq_u32_e64 s4, 6, v69
	v_cndmask_b32_e64 v71, v70, v100, s5
	s_delay_alu instid0(VALU_DEP_4) | instskip(NEXT) | instid1(VALU_DEP_2)
	v_dual_mul_f32 v101, v99, v103 :: v_dual_lshlrev_b32 v70, 2, v66
	v_cndmask_b32_e64 v71, v71, v97, s6
	s_delay_alu instid0(VALU_DEP_2) | instskip(NEXT) | instid1(VALU_DEP_3)
	v_or_b32_e32 v72, 1, v70
	v_fma_f32 v100, -v98, v101, v99
	v_cmp_eq_u32_e64 s5, 1, v70
	v_cmp_eq_u32_e64 s6, 2, v70
	v_cndmask_b32_e64 v95, v71, v95, s7
	v_or_b32_e32 v71, 3, v70
	v_fmac_f32_e32 v101, v100, v103
	v_cmp_eq_u32_e64 s10, 1, v72
	v_cmp_eq_u32_e64 s13, 2, v72
	v_cndmask_b32_e64 v94, v95, v94, s4
	v_cmp_eq_u32_e64 s12, 1, v71
	v_fma_f32 v97, -v98, v101, v99
	v_cmp_eq_u32_e64 s17, 2, v71
	v_cmp_eq_u32_e64 s15, 3, v72
	v_cndmask_b32_e64 v94, v94, v96, s8
	v_cmp_eq_u32_e64 s19, 3, v71
	v_div_fmas_f32 v95, v97, v103, v101
	v_cmp_eq_u32_e32 vcc_lo, 3, v70
	v_cmp_eq_u32_e64 s4, 4, v70
	v_cmp_eq_u32_e64 s20, 4, v72
	;; [unrolled: 1-line block ×3, first 2 shown]
	v_div_fixup_f32 v95, v95, v74, 1.0
	v_lshlrev_b32_e32 v73, 6, v68
	v_cmp_eq_u32_e64 s7, 5, v70
	v_cmp_eq_u32_e64 s21, 5, v72
	;; [unrolled: 1-line block ×3, first 2 shown]
	v_mul_f32_e32 v102, v94, v95
	v_lshl_or_b32 v75, v69, 11, v73
	v_or_b32_e32 v69, 2, v70
	v_cmp_eq_u32_e64 s26, 6, v72
	v_cmp_eq_u32_e64 s28, 6, v71
	v_fma_mixlo_f16 v94, v102, v79, 0
	v_fma_mixlo_f16 v95, v102, v81, 0
	;; [unrolled: 1-line block ×8, first 2 shown]
	v_lshl_or_b32 v74, v66, 4, v75
	v_fma_mixhi_f16 v94, v102, v78, 0
	v_fma_mixhi_f16 v95, v102, v80, 0
	;; [unrolled: 1-line block ×8, first 2 shown]
	ds_store_b128 v74, v[94:97]
	ds_store_b128 v74, v[98:101] offset:1024
	s_waitcnt lgkmcnt(0)
	s_barrier
	buffer_gl0_inv
	ds_load_b128 v[78:81], v75
	ds_load_b128 v[82:85], v75 offset:16
	ds_load_b128 v[86:89], v75 offset:1024
	;; [unrolled: 1-line block ×3, first 2 shown]
	v_cmp_eq_u32_e64 s11, 1, v69
	v_cmp_eq_u32_e64 s16, 2, v69
	;; [unrolled: 1-line block ×11, first 2 shown]
	s_waitcnt lgkmcnt(3)
	v_lshrrev_b32_e32 v94, 16, v78
	s_waitcnt lgkmcnt(2)
	v_lshrrev_b32_e32 v98, 16, v82
	;; [unrolled: 2-line block ×4, first 2 shown]
	v_lshrrev_b32_e32 v95, 16, v79
	v_cndmask_b32_e64 v110, v78, v94, s5
	v_cndmask_b32_e64 v111, v82, v98, s5
	;; [unrolled: 1-line block ×8, first 2 shown]
	v_lshrrev_b32_e32 v99, 16, v83
	v_cndmask_b32_e64 v94, v86, v102, s5
	v_cndmask_b32_e64 v98, v90, v106, s5
	;; [unrolled: 1-line block ×15, first 2 shown]
	v_lshrrev_b32_e32 v103, 16, v87
	v_lshrrev_b32_e32 v107, 16, v91
	v_cndmask_b32_e64 v113, v115, v83, s16
	v_cndmask_b32_e64 v82, v94, v87, s6
	;; [unrolled: 1-line block ×7, first 2 shown]
	v_cndmask_b32_e32 v90, v102, v95, vcc_lo
	v_cndmask_b32_e32 v102, v106, v99, vcc_lo
	v_cndmask_b32_e64 v106, v110, v95, s15
	v_cndmask_b32_e64 v110, v111, v99, s15
	v_cndmask_b32_e64 v78, v78, v95, s19
	v_cndmask_b32_e64 v79, v79, v99, s19
	v_lshrrev_b32_e32 v96, 16, v80
	v_lshrrev_b32_e32 v100, 16, v84
	v_cndmask_b32_e64 v111, v112, v95, s18
	v_cndmask_b32_e64 v112, v113, v99, s18
	v_cndmask_b32_e32 v82, v82, v103, vcc_lo
	v_cndmask_b32_e32 v83, v83, v107, vcc_lo
	v_cndmask_b32_e64 v94, v94, v103, s15
	v_cndmask_b32_e64 v90, v90, v80, s4
	;; [unrolled: 1-line block ×7, first 2 shown]
	v_lshrrev_b32_e32 v104, 16, v88
	v_cndmask_b32_e64 v106, v111, v80, s22
	v_cndmask_b32_e64 v110, v112, v84, s22
	;; [unrolled: 1-line block ×11, first 2 shown]
	v_lshrrev_b32_e32 v97, 16, v81
	v_lshrrev_b32_e32 v101, 16, v85
	v_cndmask_b32_e64 v99, v106, v96, s24
	v_cndmask_b32_e64 v102, v110, v100, s24
	;; [unrolled: 1-line block ×7, first 2 shown]
	v_lshrrev_b32_e32 v105, 16, v89
	v_cndmask_b32_e64 v80, v80, v104, s7
	v_cndmask_b32_e64 v84, v84, v81, s8
	v_cndmask_b32_e64 v90, v90, v85, s8
	v_cndmask_b32_e64 v96, v99, v81, s27
	v_cndmask_b32_e64 v99, v102, v85, s27
	v_cndmask_b32_e64 v81, v83, v89, s26
	v_cndmask_b32_e64 v85, v94, v97, s31
	v_cndmask_b32_e64 v78, v78, v97, s30
	v_cndmask_b32_e64 v79, v79, v101, s30
	v_cndmask_b32_e64 v95, v95, v101, s31
	v_cndmask_b32_e64 v80, v80, v89, s8
	v_cndmask_b32_e64 v83, v84, v97, s9
	v_cndmask_b32_e64 v84, v90, v101, s9
	v_cndmask_b32_e64 v90, v96, v97, s29
	v_cndmask_b32_e64 v94, v99, v101, s29
	v_cndmask_b32_e64 v97, v81, v105, s31
	v_perm_b32 v81, v79, v78, 0x5040100
	v_perm_b32 v79, v95, v85, 0x5040100
	v_cndmask_b32_e64 v78, v119, v91, s16
	v_cndmask_b32_e64 v85, v117, v91, s13
	;; [unrolled: 1-line block ×3, first 2 shown]
	v_perm_b32 v80, v94, v90, 0x5040100
	v_cndmask_b32_e64 v90, v98, v103, s18
	v_cndmask_b32_e64 v86, v86, v103, s19
	;; [unrolled: 1-line block ×5, first 2 shown]
	v_lshrrev_b32_e32 v108, 16, v92
	v_cndmask_b32_e64 v90, v90, v88, s22
	v_cndmask_b32_e64 v86, v86, v88, s23
	;; [unrolled: 1-line block ×11, first 2 shown]
	v_lshrrev_b32_e32 v109, 16, v93
	v_cndmask_b32_e64 v82, v82, v93, s8
	v_cndmask_b32_e64 v88, v88, v89, s27
	;; [unrolled: 1-line block ×12, first 2 shown]
	v_perm_b32 v78, v84, v83, 0x5040100
	v_perm_b32 v85, v87, v86, 0x5040100
	;; [unrolled: 1-line block ×5, first 2 shown]
	s_mul_i32 s9, s35, 7
	s_mov_b32 s4, exec_lo
	ds_store_b128 v74, v[78:81]
	ds_store_b128 v74, v[82:85] offset:1024
	v_cmpx_gt_u32_e32 7, v0
	s_cbranch_execz .LBB1172_14
; %bb.13:
	s_mul_i32 s5, s9, s34
	s_load_b128 s[16:19], s[0:1], 0x58
	v_add3_u32 v68, s5, s33, v68
	s_delay_alu instid0(VALU_DEP_1) | instskip(NEXT) | instid1(VALU_DEP_1)
	v_mad_u64_u32 v[78:79], null, v68, s36, s[14:15]
	v_ashrrev_i32_e32 v79, 31, v78
	s_delay_alu instid0(VALU_DEP_1) | instskip(SKIP_1) | instid1(VALU_DEP_1)
	v_lshlrev_b64 v[78:79], 2, v[78:79]
	s_waitcnt lgkmcnt(0)
	v_add_co_u32 v80, vcc_lo, s18, v78
	s_delay_alu instid0(VALU_DEP_2)
	v_add_co_ci_u32_e32 v81, vcc_lo, s19, v79, vcc_lo
	v_add_co_u32 v78, vcc_lo, s16, v78
	v_add_co_ci_u32_e32 v79, vcc_lo, s17, v79, vcc_lo
	global_store_b32 v[80:81], v76, off
	global_store_b32 v[78:79], v77, off
.LBB1172_14:
	s_or_b32 exec_lo, exec_lo, s4
	s_waitcnt lgkmcnt(0)
	s_waitcnt_vscnt null, 0x0
	s_barrier
	buffer_gl0_inv
	ds_load_b128 v[84:87], v73
	ds_load_b128 v[88:91], v73 offset:16
	ds_load_b128 v[96:99], v73 offset:2064
	;; [unrolled: 1-line block ×5, first 2 shown]
	v_cmp_eq_u32_e32 vcc_lo, 1, v70
	v_mov_b32_e32 v76, 0
	ds_load_b128 v[112:115], v73 offset:6160
	ds_load_b128 v[108:111], v73 offset:6144
	;; [unrolled: 1-line block ×4, first 2 shown]
	v_cmp_eq_u32_e64 s5, 1, v69
	v_cmp_eq_u32_e64 s4, 1, v72
	v_cmp_eq_u32_e64 s6, 2, v72
	v_mov_b32_e32 v77, v76
	v_mov_b32_e32 v78, v76
	v_mov_b32_e32 v79, v76
	v_mov_b32_e32 v80, v76
	v_mov_b32_e32 v81, v76
	v_mov_b32_e32 v82, v76
	v_mov_b32_e32 v83, v76
	v_cmp_eq_u32_e64 s7, 3, v72
	v_cmp_eq_u32_e64 s8, 7, v72
	s_waitcnt lgkmcnt(8)
	s_delay_alu instid0(VALU_DEP_3)
	v_wmma_f32_16x16x16_f16 v[76:83], v[49:56], v[84:91], v[76:83]
	ds_load_b128 v[53:56], v73 offset:10256
	ds_load_b128 v[49:52], v73 offset:10240
	s_waitcnt lgkmcnt(8)
	v_wmma_f32_16x16x16_f16 v[76:83], v[41:48], v[92:99], v[76:83]
	ds_load_b128 v[45:48], v73 offset:12304
	ds_load_b128 v[41:44], v73 offset:12288
	s_waitcnt lgkmcnt(8)
	;; [unrolled: 4-line block ×3, first 2 shown]
	s_barrier
	buffer_gl0_inv
	v_wmma_f32_16x16x16_f16 v[76:83], v[1:8], v[108:115], v[76:83]
	s_delay_alu instid0(VALU_DEP_1) | instskip(NEXT) | instid1(VALU_DEP_1)
	v_wmma_f32_16x16x16_f16 v[76:83], v[9:16], v[116:123], v[76:83]
	v_wmma_f32_16x16x16_f16 v[76:83], v[17:24], v[49:56], v[76:83]
	s_delay_alu instid0(VALU_DEP_1) | instskip(NEXT) | instid1(VALU_DEP_1)
	v_wmma_f32_16x16x16_f16 v[76:83], v[25:32], v[41:48], v[76:83]
	v_wmma_f32_16x16x16_f16 v[76:83], v[57:64], v[33:40], v[76:83]
	s_delay_alu instid0(VALU_DEP_1) | instskip(NEXT) | instid1(VALU_DEP_2)
	v_cvt_f16_f32_e32 v1, v76
	v_cvt_f16_f32_e32 v2, v77
	s_delay_alu instid0(VALU_DEP_3) | instskip(NEXT) | instid1(VALU_DEP_4)
	v_cvt_f16_f32_e32 v3, v78
	v_cvt_f16_f32_e32 v4, v79
	;; [unrolled: 1-line block ×6, first 2 shown]
	v_pack_b32_f16 v1, v1, v2
	v_pack_b32_f16 v2, v3, v4
	;; [unrolled: 1-line block ×3, first 2 shown]
	s_delay_alu instid0(VALU_DEP_4)
	v_pack_b32_f16 v4, v7, v8
	ds_store_b128 v74, v[1:4]
	s_waitcnt lgkmcnt(0)
	s_barrier
	buffer_gl0_inv
	ds_load_b128 v[1:4], v75
	ds_load_b128 v[5:8], v75 offset:16
	s_waitcnt lgkmcnt(1)
	v_lshrrev_b32_e32 v9, 16, v1
	s_waitcnt lgkmcnt(0)
	v_lshrrev_b32_e32 v13, 16, v5
	v_lshrrev_b32_e32 v10, 16, v2
	;; [unrolled: 1-line block ×4, first 2 shown]
	v_cndmask_b32_e32 v17, v1, v9, vcc_lo
	v_cndmask_b32_e32 v18, v5, v13, vcc_lo
	v_cndmask_b32_e64 v21, v1, v9, s5
	v_cmp_eq_u32_e32 vcc_lo, 1, v71
	v_cndmask_b32_e64 v22, v5, v13, s5
	v_cmp_eq_u32_e64 s5, 2, v70
	v_cndmask_b32_e64 v19, v1, v9, s4
	v_cndmask_b32_e64 v20, v5, v13, s4
	v_cndmask_b32_e32 v1, v1, v9, vcc_lo
	v_cmp_eq_u32_e64 s4, 2, v71
	v_cndmask_b32_e32 v5, v5, v13, vcc_lo
	v_cndmask_b32_e64 v9, v17, v2, s5
	v_cmp_eq_u32_e32 vcc_lo, 3, v70
	v_cndmask_b32_e64 v13, v18, v6, s5
	v_cmp_eq_u32_e64 s5, 2, v69
	v_cndmask_b32_e64 v17, v19, v2, s6
	v_cndmask_b32_e64 v18, v20, v6, s6
	v_cmp_eq_u32_e64 s6, 3, v69
	v_cndmask_b32_e64 v1, v1, v2, s4
	v_cndmask_b32_e64 v19, v21, v2, s5
	;; [unrolled: 1-line block ×4, first 2 shown]
	v_cndmask_b32_e32 v5, v9, v10, vcc_lo
	v_cndmask_b32_e32 v6, v13, v14, vcc_lo
	v_cmp_eq_u32_e32 vcc_lo, 3, v71
	v_cndmask_b32_e64 v9, v17, v10, s7
	v_cndmask_b32_e64 v13, v18, v14, s7
	;; [unrolled: 1-line block ×3, first 2 shown]
	v_cmp_eq_u32_e64 s5, 4, v70
	v_cndmask_b32_e32 v1, v1, v10, vcc_lo
	v_cndmask_b32_e32 v2, v2, v14, vcc_lo
	v_cmp_eq_u32_e32 vcc_lo, 4, v72
	v_lshrrev_b32_e32 v15, 16, v7
	v_lshrrev_b32_e32 v16, 16, v8
	v_cndmask_b32_e64 v17, v19, v10, s6
	v_cmp_eq_u32_e64 s4, 4, v71
	v_cndmask_b32_e64 v5, v5, v3, s5
	v_cndmask_b32_e64 v6, v6, v7, s5
	v_cndmask_b32_e32 v9, v9, v3, vcc_lo
	v_cmp_eq_u32_e64 s5, 5, v72
	v_cndmask_b32_e32 v10, v13, v7, vcc_lo
	v_cmp_eq_u32_e32 vcc_lo, 4, v69
	v_cmp_eq_u32_e64 s6, 5, v70
	v_cndmask_b32_e64 v2, v2, v7, s4
	v_cndmask_b32_e64 v9, v9, v11, s5
	;; [unrolled: 1-line block ×3, first 2 shown]
	v_cndmask_b32_e32 v13, v17, v3, vcc_lo
	v_cmp_eq_u32_e64 s5, 5, v69
	v_cndmask_b32_e32 v14, v18, v7, vcc_lo
	v_cndmask_b32_e64 v1, v1, v3, s4
	v_cmp_eq_u32_e32 vcc_lo, 5, v71
	v_lshrrev_b32_e32 v12, 16, v4
	v_cndmask_b32_e64 v13, v13, v11, s5
	v_cndmask_b32_e64 v3, v14, v15, s5
	v_cmp_eq_u32_e64 s5, 6, v71
	v_cndmask_b32_e32 v1, v1, v11, vcc_lo
	v_cndmask_b32_e64 v5, v5, v11, s6
	v_cmp_eq_u32_e64 s7, 6, v70
	v_cndmask_b32_e64 v6, v6, v15, s6
	v_cmp_eq_u32_e64 s6, 6, v72
	v_cmp_eq_u32_e64 s4, 6, v69
	v_cndmask_b32_e64 v1, v1, v4, s5
	v_cndmask_b32_e32 v2, v2, v15, vcc_lo
	v_cmp_eq_u32_e32 vcc_lo, 7, v71
	v_cndmask_b32_e64 v5, v5, v4, s7
	v_cndmask_b32_e64 v9, v9, v4, s6
	;; [unrolled: 1-line block ×3, first 2 shown]
	v_cmp_eq_u32_e64 s7, 7, v70
	v_cndmask_b32_e32 v1, v1, v12, vcc_lo
	v_cndmask_b32_e64 v7, v13, v4, s4
	v_cndmask_b32_e64 v3, v3, v8, s4
	;; [unrolled: 1-line block ×3, first 2 shown]
	v_cmp_eq_u32_e64 s4, 7, v69
	v_cndmask_b32_e64 v4, v10, v8, s6
	v_cndmask_b32_e64 v5, v5, v12, s7
	;; [unrolled: 1-line block ×3, first 2 shown]
	v_cndmask_b32_e32 v2, v2, v16, vcc_lo
	v_cndmask_b32_e64 v7, v7, v12, s4
	v_cndmask_b32_e64 v3, v3, v16, s4
	;; [unrolled: 1-line block ×4, first 2 shown]
	v_cmp_gt_u32_e32 vcc_lo, 32, v0
	v_perm_b32 v4, v2, v1, 0x5040100
	v_perm_b32 v3, v3, v7, 0x5040100
	;; [unrolled: 1-line block ×4, first 2 shown]
	s_and_b32 s2, vcc_lo, s2
	ds_store_b128 v74, v[1:4]
	s_waitcnt lgkmcnt(0)
	s_barrier
	buffer_gl0_inv
	s_and_saveexec_b32 s4, s2
	s_cbranch_execz .LBB1172_2
; %bb.15:
	s_load_b64 s[4:5], s[0:1], 0x68
	v_lshlrev_b32_e32 v0, 10, v0
	v_add_nc_u32_e32 v2, s33, v66
	v_lshlrev_b32_e32 v3, 4, v67
	s_lshl_b32 s0, s36, 6
	s_delay_alu instid0(SALU_CYCLE_1) | instskip(NEXT) | instid1(VALU_DEP_2)
	s_mul_i32 s1, s0, s34
	v_mul_lo_u32 v1, v2, s0
	s_delay_alu instid0(VALU_DEP_2)
	v_and_or_b32 v0, 0x3800, v0, v3
	v_add_nc_u32_e32 v3, 2, v2
	s_mul_i32 s6, s1, s9
	v_add_nc_u32_e32 v4, 4, v2
	s_ashr_i32 s7, s6, 31
	v_lshl_or_b32 v11, v66, 6, v0
	s_lshl_b64 s[6:7], s[6:7], 1
	v_mul_lo_u32 v15, v3, s0
	v_mul_lo_u32 v17, v4, s0
	v_ashrrev_i32_e32 v2, 31, v1
	ds_load_b128 v[3:6], v11
	ds_load_b128 v[7:10], v11 offset:128
	ds_load_b128 v[11:14], v11 offset:256
	s_waitcnt lgkmcnt(0)
	s_add_u32 s1, s4, s6
	s_addc_u32 s2, s5, s7
	s_lshl_b32 s4, s14, 6
	v_ashrrev_i32_e32 v16, 31, v15
	s_ashr_i32 s5, s4, 31
	v_lshlrev_b64 v[19:20], 1, v[1:2]
	s_lshl_b64 s[4:5], s[4:5], 1
	v_ashrrev_i32_e32 v18, 31, v17
	s_add_u32 s1, s1, s4
	s_addc_u32 s2, s2, s5
	v_add_co_u32 v1, s1, s1, v65
	s_delay_alu instid0(VALU_DEP_1) | instskip(SKIP_1) | instid1(VALU_DEP_3)
	v_add_co_ci_u32_e64 v2, null, s2, 0, s1
	v_lshlrev_b64 v[15:16], 1, v[15:16]
	v_add_co_u32 v19, vcc_lo, v1, v19
	v_lshlrev_b64 v[17:18], 1, v[17:18]
	s_delay_alu instid0(VALU_DEP_4) | instskip(NEXT) | instid1(VALU_DEP_4)
	v_add_co_ci_u32_e32 v20, vcc_lo, v2, v20, vcc_lo
	v_add_co_u32 v15, vcc_lo, v1, v15
	v_add_co_ci_u32_e32 v16, vcc_lo, v2, v16, vcc_lo
	s_delay_alu instid0(VALU_DEP_4)
	v_add_co_u32 v17, vcc_lo, v1, v17
	v_add_co_ci_u32_e32 v18, vcc_lo, v2, v18, vcc_lo
	s_clause 0x2
	global_store_b128 v[19:20], v[3:6], off
	global_store_b128 v[15:16], v[7:10], off
	;; [unrolled: 1-line block ×3, first 2 shown]
	s_and_b32 exec_lo, exec_lo, s3
	s_cbranch_execz .LBB1172_2
; %bb.16:
	ds_load_b128 v[3:6], v0 offset:384
	s_add_i32 s1, s33, 6
	s_delay_alu instid0(SALU_CYCLE_1) | instskip(NEXT) | instid1(SALU_CYCLE_1)
	s_mul_i32 s0, s1, s0
	s_ashr_i32 s1, s0, 31
	s_delay_alu instid0(SALU_CYCLE_1) | instskip(NEXT) | instid1(SALU_CYCLE_1)
	s_lshl_b64 s[0:1], s[0:1], 1
	v_add_co_u32 v0, vcc_lo, v1, s0
	v_add_co_ci_u32_e32 v1, vcc_lo, s1, v2, vcc_lo
	s_waitcnt lgkmcnt(0)
	global_store_b128 v[0:1], v[3:6], off
	s_nop 0
	s_sendmsg sendmsg(MSG_DEALLOC_VGPRS)
	s_endpgm
	.section	.rodata,"a",@progbits
	.p2align	6, 0x0
	.amdhsa_kernel _Z39paged_attention_ll4mi_QKV_mfma16_kernelIDF16_hLN4vllm18Fp8KVCacheDataTypeE1EhLi32ELi64ELi256ELb0ELi7EL8MFMAType0EEvPKT_PKT0_S8_ifPKiSA_SA_iPKfiiiPfSD_PS3_PT2_iSC_SC_
		.amdhsa_group_segment_fixed_size 17472
		.amdhsa_private_segment_fixed_size 0
		.amdhsa_kernarg_size 400
		.amdhsa_user_sgpr_count 13
		.amdhsa_user_sgpr_dispatch_ptr 0
		.amdhsa_user_sgpr_queue_ptr 0
		.amdhsa_user_sgpr_kernarg_segment_ptr 1
		.amdhsa_user_sgpr_dispatch_id 0
		.amdhsa_user_sgpr_private_segment_size 0
		.amdhsa_wavefront_size32 1
		.amdhsa_uses_dynamic_stack 0
		.amdhsa_enable_private_segment 0
		.amdhsa_system_sgpr_workgroup_id_x 1
		.amdhsa_system_sgpr_workgroup_id_y 1
		.amdhsa_system_sgpr_workgroup_id_z 1
		.amdhsa_system_sgpr_workgroup_info 0
		.amdhsa_system_vgpr_workitem_id 0
		.amdhsa_next_free_vgpr 146
		.amdhsa_next_free_sgpr 37
		.amdhsa_reserve_vcc 1
		.amdhsa_float_round_mode_32 0
		.amdhsa_float_round_mode_16_64 0
		.amdhsa_float_denorm_mode_32 3
		.amdhsa_float_denorm_mode_16_64 3
		.amdhsa_dx10_clamp 1
		.amdhsa_ieee_mode 1
		.amdhsa_fp16_overflow 0
		.amdhsa_workgroup_processor_mode 1
		.amdhsa_memory_ordered 1
		.amdhsa_forward_progress 0
		.amdhsa_shared_vgpr_count 0
		.amdhsa_exception_fp_ieee_invalid_op 0
		.amdhsa_exception_fp_denorm_src 0
		.amdhsa_exception_fp_ieee_div_zero 0
		.amdhsa_exception_fp_ieee_overflow 0
		.amdhsa_exception_fp_ieee_underflow 0
		.amdhsa_exception_fp_ieee_inexact 0
		.amdhsa_exception_int_div_zero 0
	.end_amdhsa_kernel
	.section	.text._Z39paged_attention_ll4mi_QKV_mfma16_kernelIDF16_hLN4vllm18Fp8KVCacheDataTypeE1EhLi32ELi64ELi256ELb0ELi7EL8MFMAType0EEvPKT_PKT0_S8_ifPKiSA_SA_iPKfiiiPfSD_PS3_PT2_iSC_SC_,"axG",@progbits,_Z39paged_attention_ll4mi_QKV_mfma16_kernelIDF16_hLN4vllm18Fp8KVCacheDataTypeE1EhLi32ELi64ELi256ELb0ELi7EL8MFMAType0EEvPKT_PKT0_S8_ifPKiSA_SA_iPKfiiiPfSD_PS3_PT2_iSC_SC_,comdat
.Lfunc_end1172:
	.size	_Z39paged_attention_ll4mi_QKV_mfma16_kernelIDF16_hLN4vllm18Fp8KVCacheDataTypeE1EhLi32ELi64ELi256ELb0ELi7EL8MFMAType0EEvPKT_PKT0_S8_ifPKiSA_SA_iPKfiiiPfSD_PS3_PT2_iSC_SC_, .Lfunc_end1172-_Z39paged_attention_ll4mi_QKV_mfma16_kernelIDF16_hLN4vllm18Fp8KVCacheDataTypeE1EhLi32ELi64ELi256ELb0ELi7EL8MFMAType0EEvPKT_PKT0_S8_ifPKiSA_SA_iPKfiiiPfSD_PS3_PT2_iSC_SC_
                                        ; -- End function
	.section	.AMDGPU.csdata,"",@progbits
; Kernel info:
; codeLenInByte = 6524
; NumSgprs: 39
; NumVgprs: 146
; ScratchSize: 0
; MemoryBound: 0
; FloatMode: 240
; IeeeMode: 1
; LDSByteSize: 17472 bytes/workgroup (compile time only)
; SGPRBlocks: 4
; VGPRBlocks: 18
; NumSGPRsForWavesPerEU: 39
; NumVGPRsForWavesPerEU: 146
; Occupancy: 9
; WaveLimiterHint : 1
; COMPUTE_PGM_RSRC2:SCRATCH_EN: 0
; COMPUTE_PGM_RSRC2:USER_SGPR: 13
; COMPUTE_PGM_RSRC2:TRAP_HANDLER: 0
; COMPUTE_PGM_RSRC2:TGID_X_EN: 1
; COMPUTE_PGM_RSRC2:TGID_Y_EN: 1
; COMPUTE_PGM_RSRC2:TGID_Z_EN: 1
; COMPUTE_PGM_RSRC2:TIDIG_COMP_CNT: 0
	.section	.text._Z39paged_attention_ll4mi_QKV_mfma16_kernelIDF16_hLN4vllm18Fp8KVCacheDataTypeE1EhLi32ELi64ELi256ELb0ELi8EL8MFMAType0EEvPKT_PKT0_S8_ifPKiSA_SA_iPKfiiiPfSD_PS3_PT2_iSC_SC_,"axG",@progbits,_Z39paged_attention_ll4mi_QKV_mfma16_kernelIDF16_hLN4vllm18Fp8KVCacheDataTypeE1EhLi32ELi64ELi256ELb0ELi8EL8MFMAType0EEvPKT_PKT0_S8_ifPKiSA_SA_iPKfiiiPfSD_PS3_PT2_iSC_SC_,comdat
	.protected	_Z39paged_attention_ll4mi_QKV_mfma16_kernelIDF16_hLN4vllm18Fp8KVCacheDataTypeE1EhLi32ELi64ELi256ELb0ELi8EL8MFMAType0EEvPKT_PKT0_S8_ifPKiSA_SA_iPKfiiiPfSD_PS3_PT2_iSC_SC_ ; -- Begin function _Z39paged_attention_ll4mi_QKV_mfma16_kernelIDF16_hLN4vllm18Fp8KVCacheDataTypeE1EhLi32ELi64ELi256ELb0ELi8EL8MFMAType0EEvPKT_PKT0_S8_ifPKiSA_SA_iPKfiiiPfSD_PS3_PT2_iSC_SC_
	.globl	_Z39paged_attention_ll4mi_QKV_mfma16_kernelIDF16_hLN4vllm18Fp8KVCacheDataTypeE1EhLi32ELi64ELi256ELb0ELi8EL8MFMAType0EEvPKT_PKT0_S8_ifPKiSA_SA_iPKfiiiPfSD_PS3_PT2_iSC_SC_
	.p2align	8
	.type	_Z39paged_attention_ll4mi_QKV_mfma16_kernelIDF16_hLN4vllm18Fp8KVCacheDataTypeE1EhLi32ELi64ELi256ELb0ELi8EL8MFMAType0EEvPKT_PKT0_S8_ifPKiSA_SA_iPKfiiiPfSD_PS3_PT2_iSC_SC_,@function
_Z39paged_attention_ll4mi_QKV_mfma16_kernelIDF16_hLN4vllm18Fp8KVCacheDataTypeE1EhLi32ELi64ELi256ELb0ELi8EL8MFMAType0EEvPKT_PKT0_S8_ifPKiSA_SA_iPKfiiiPfSD_PS3_PT2_iSC_SC_: ; @_Z39paged_attention_ll4mi_QKV_mfma16_kernelIDF16_hLN4vllm18Fp8KVCacheDataTypeE1EhLi32ELi64ELi256ELb0ELi8EL8MFMAType0EEvPKT_PKT0_S8_ifPKiSA_SA_iPKfiiiPfSD_PS3_PT2_iSC_SC_
; %bb.0:
	s_load_b64 s[2:3], s[0:1], 0x30
	s_mov_b32 s34, s13
	s_waitcnt lgkmcnt(0)
	s_cmp_lg_u64 s[2:3], 0
	s_cselect_b32 s8, -1, 0
	s_ashr_i32 s35, s13, 31
	s_cmp_eq_u64 s[2:3], 0
	s_cbranch_scc1 .LBB1173_3
; %bb.1:
	s_lshl_b64 s[4:5], s[34:35], 2
	s_delay_alu instid0(SALU_CYCLE_1) | instskip(SKIP_4) | instid1(SALU_CYCLE_1)
	s_add_u32 s4, s2, s4
	s_addc_u32 s5, s3, s5
	s_load_b64 s[4:5], s[4:5], 0x0
	s_waitcnt lgkmcnt(0)
	s_sub_i32 s4, s5, s4
	s_cmp_eq_u32 s4, 1
	s_cselect_b32 s4, -1, 0
	s_delay_alu instid0(SALU_CYCLE_1)
	s_and_not1_b32 vcc_lo, exec_lo, s4
	s_cbranch_vccz .LBB1173_4
.LBB1173_2:
	s_endpgm
.LBB1173_3:
.LBB1173_4:
	s_load_b64 s[4:5], s[0:1], 0x28
	s_lshl_b64 s[6:7], s[34:35], 2
	s_waitcnt lgkmcnt(0)
	s_add_u32 s4, s4, s6
	s_addc_u32 s5, s5, s7
	s_lshl_b32 s12, s14, 8
	s_load_b32 s24, s[4:5], 0x0
	s_waitcnt lgkmcnt(0)
	s_cmp_ge_i32 s12, s24
	s_cbranch_scc1 .LBB1173_2
; %bb.5:
	s_clause 0x1
	s_load_b128 s[20:23], s[0:1], 0x8
	s_load_b64 s[4:5], s[0:1], 0x20
	s_and_not1_b32 vcc_lo, exec_lo, s8
	s_cbranch_vccnz .LBB1173_7
; %bb.6:
	s_add_u32 s2, s2, s6
	s_addc_u32 s3, s3, s7
	s_load_b32 s3, s[2:3], 0x0
	s_branch .LBB1173_8
.LBB1173_7:
	s_mov_b32 s3, s34
.LBB1173_8:
	s_load_b128 s[16:19], s[0:1], 0x48
	v_and_b32_e32 v69, 15, v0
	v_cmp_gt_u32_e32 vcc_lo, 0x80, v0
	v_lshrrev_b32_e32 v68, 5, v0
	v_and_b32_e32 v70, 31, v0
	v_and_b32_e32 v66, 1, v0
	v_lshlrev_b32_e32 v1, 3, v69
	v_cmp_gt_u32_e64 s2, 8, v69
	v_bfe_u32 v67, v0, 4, 1
	s_lshl_b32 s31, s15, 3
	s_delay_alu instid0(VALU_DEP_3) | instskip(NEXT) | instid1(VALU_DEP_3)
	v_lshlrev_b32_e32 v65, 1, v1
	s_and_b32 s7, vcc_lo, s2
	s_delay_alu instid0(SALU_CYCLE_1)
	s_and_saveexec_b32 s6, s7
	s_cbranch_execz .LBB1173_10
; %bb.9:
	v_lshl_or_b32 v5, v68, 1, v67
	s_load_b64 s[8:9], s[0:1], 0x0
	s_waitcnt lgkmcnt(0)
	s_mul_hi_i32 s11, s3, s16
	s_mul_i32 s10, s3, s16
	v_lshlrev_b32_e32 v6, 10, v69
	v_or_b32_e32 v1, s31, v5
	s_lshl_b64 s[10:11], s[10:11], 1
	v_lshlrev_b32_e32 v5, 6, v5
	v_lshlrev_b32_e32 v7, 10, v66
	v_and_b32_e32 v6, 0x3800, v6
	v_lshlrev_b32_e32 v1, 6, v1
	s_delay_alu instid0(VALU_DEP_2) | instskip(NEXT) | instid1(VALU_DEP_2)
	v_or3_b32 v5, v6, v7, v5
	v_ashrrev_i32_e32 v2, 31, v1
	s_delay_alu instid0(VALU_DEP_1) | instskip(SKIP_2) | instid1(VALU_DEP_1)
	v_lshlrev_b64 v[1:2], 1, v[1:2]
	s_add_u32 s3, s8, s10
	s_addc_u32 s7, s9, s11
	v_add_co_u32 v1, vcc_lo, s3, v1
	s_delay_alu instid0(VALU_DEP_2) | instskip(NEXT) | instid1(VALU_DEP_2)
	v_add_co_ci_u32_e32 v2, vcc_lo, s7, v2, vcc_lo
	v_add_co_u32 v1, vcc_lo, v1, v65
	s_delay_alu instid0(VALU_DEP_2)
	v_add_co_ci_u32_e32 v2, vcc_lo, 0, v2, vcc_lo
	global_load_b128 v[1:4], v[1:2], off
	s_waitcnt vmcnt(0)
	ds_store_b128 v5, v[1:4]
.LBB1173_10:
	s_or_b32 exec_lo, exec_lo, s6
	v_and_b32_e32 v1, 0xef, v0
	s_waitcnt lgkmcnt(0)
	s_add_i32 s3, s24, 31
	s_clause 0x1
	s_load_b32 s6, s[0:1], 0x38
	s_load_b32 s33, s[0:1], 0x98
	s_ashr_i32 s7, s3, 31
	v_add_nc_u32_e32 v1, s12, v1
	s_lshr_b32 s7, s7, 27
	s_load_b32 s19, s[0:1], 0x1c
	s_add_i32 s3, s3, s7
	s_waitcnt lgkmcnt(0)
	v_ashrrev_i32_e32 v2, 31, v1
	v_or_b32_e32 v3, 16, v1
	s_ashr_i32 s3, s3, 5
	v_cmp_gt_i32_e32 vcc_lo, s24, v1
	s_add_i32 s3, s3, -1
	v_lshrrev_b32_e32 v2, 27, v2
	s_barrier
	buffer_gl0_inv
	s_mul_i32 s27, s15, s18
	v_add_nc_u32_e32 v4, v1, v2
	s_mul_i32 s6, s34, s6
	s_delay_alu instid0(SALU_CYCLE_1) | instskip(NEXT) | instid1(VALU_DEP_1)
	s_ashr_i32 s7, s6, 31
	v_ashrrev_i32_e32 v4, 5, v4
	v_add_nc_u32_e32 v2, v3, v2
	s_lshl_b64 s[6:7], s[6:7], 2
	s_delay_alu instid0(SALU_CYCLE_1) | instskip(NEXT) | instid1(VALU_DEP_2)
	s_add_u32 s26, s4, s6
	v_cndmask_b32_e32 v1, s3, v4, vcc_lo
	s_delay_alu instid0(VALU_DEP_2)
	v_ashrrev_i32_e32 v2, 5, v2
	v_cmp_gt_i32_e32 vcc_lo, s24, v3
	s_addc_u32 s25, s5, s7
	s_ashr_i32 s28, s27, 31
	s_add_u32 s4, s20, s27
	s_addc_u32 s5, s21, s28
	v_cndmask_b32_e32 v3, s3, v2, vcc_lo
	v_ashrrev_i32_e32 v2, 31, v1
	s_lshl_b32 s6, s14, 3
	s_delay_alu instid0(SALU_CYCLE_1) | instskip(NEXT) | instid1(VALU_DEP_2)
	s_ashr_i32 s7, s6, 31
	v_ashrrev_i32_e32 v4, 31, v3
	s_delay_alu instid0(VALU_DEP_2) | instskip(SKIP_1) | instid1(SALU_CYCLE_1)
	v_lshlrev_b64 v[1:2], 2, v[1:2]
	s_lshl_b64 s[6:7], s[6:7], 2
	s_add_u32 s6, s26, s6
	s_delay_alu instid0(VALU_DEP_2) | instskip(SKIP_1) | instid1(VALU_DEP_2)
	v_lshlrev_b64 v[3:4], 2, v[3:4]
	s_addc_u32 s7, s25, s7
	v_add_co_u32 v1, vcc_lo, s26, v1
	v_add_co_ci_u32_e32 v2, vcc_lo, s25, v2, vcc_lo
	s_delay_alu instid0(VALU_DEP_3) | instskip(NEXT) | instid1(VALU_DEP_4)
	v_add_co_u32 v3, vcc_lo, s26, v3
	v_add_co_ci_u32_e32 v4, vcc_lo, s25, v4, vcc_lo
	s_clause 0x1
	global_load_b32 v5, v[1:2], off
	global_load_b32 v6, v[3:4], off
	s_or_b32 s8, s12, 32
	s_delay_alu instid0(SALU_CYCLE_1) | instskip(SKIP_2) | instid1(SALU_CYCLE_1)
	s_ashr_i32 s9, s8, 5
	s_cmp_lt_i32 s8, s24
	s_cselect_b32 s8, s9, s3
	s_ashr_i32 s9, s8, 31
	s_delay_alu instid0(SALU_CYCLE_1) | instskip(NEXT) | instid1(SALU_CYCLE_1)
	s_lshl_b64 s[8:9], s[8:9], 2
	s_add_u32 s8, s26, s8
	s_addc_u32 s9, s25, s9
	s_or_b32 s10, s12, 64
	s_delay_alu instid0(SALU_CYCLE_1) | instskip(SKIP_2) | instid1(SALU_CYCLE_1)
	s_ashr_i32 s11, s10, 5
	s_cmp_lt_i32 s10, s24
	s_cselect_b32 s10, s11, s3
	s_ashr_i32 s11, s10, 31
	s_delay_alu instid0(SALU_CYCLE_1) | instskip(NEXT) | instid1(SALU_CYCLE_1)
	s_lshl_b64 s[10:11], s[10:11], 2
	s_add_u32 s10, s26, s10
	s_addc_u32 s11, s25, s11
	;; [unrolled: 10-line block ×5, first 2 shown]
	s_clause 0x5
	s_load_b32 s21, s[6:7], 0x0
	s_load_b32 s13, s[8:9], 0x0
	;; [unrolled: 1-line block ×6, first 2 shown]
	s_or_b32 s7, s12, 0xc0
	s_delay_alu instid0(SALU_CYCLE_1) | instskip(SKIP_2) | instid1(SALU_CYCLE_1)
	s_ashr_i32 s8, s7, 5
	s_cmp_lt_i32 s7, s24
	s_cselect_b32 s10, s8, s3
	s_ashr_i32 s11, s10, 31
	s_delay_alu instid0(SALU_CYCLE_1) | instskip(NEXT) | instid1(SALU_CYCLE_1)
	s_lshl_b64 s[36:37], s[10:11], 2
	s_add_u32 s36, s26, s36
	s_addc_u32 s37, s25, s37
	s_or_b32 s29, s12, 0xe0
	s_delay_alu instid0(SALU_CYCLE_1)
	s_ashr_i32 s30, s29, 5
	s_cmp_lt_i32 s29, s24
	s_waitcnt vmcnt(1)
	v_mad_i64_i32 v[1:2], null, v5, s17, s[4:5]
	s_waitcnt vmcnt(0)
	v_mad_i64_i32 v[3:4], null, v6, s17, s[4:5]
	s_mov_b32 s4, 0
	s_delay_alu instid0(SALU_CYCLE_1)
	s_mov_b32 s5, s4
	s_mov_b32 s6, s4
	;; [unrolled: 1-line block ×7, first 2 shown]
	s_delay_alu instid0(SALU_CYCLE_1) | instskip(SKIP_2) | instid1(VALU_DEP_3)
	v_dual_mov_b32 v102, s11 :: v_dual_lshlrev_b32 v5, 4, v69
	v_dual_mov_b32 v98, s7 :: v_dual_mov_b32 v101, s10
	v_mov_b32_e32 v100, s9
	v_add_co_u32 v1, vcc_lo, v1, v5
	v_add_co_ci_u32_e32 v2, vcc_lo, 0, v2, vcc_lo
	v_add_co_u32 v3, vcc_lo, v3, v5
	v_add_co_ci_u32_e32 v4, vcc_lo, 0, v4, vcc_lo
	s_clause 0x7
	global_load_b128 v[57:60], v[1:2], off
	global_load_b128 v[61:64], v[1:2], off offset:512
	global_load_b128 v[71:74], v[3:4], off offset:256
	;; [unrolled: 1-line block ×7, first 2 shown]
	v_dual_mov_b32 v96, s5 :: v_dual_and_b32 v1, 7, v0
	v_mov_b32_e32 v99, s8
	v_mov_b32_e32 v97, s6
	;; [unrolled: 1-line block ×3, first 2 shown]
	s_cselect_b32 s4, s30, s3
	v_lshlrev_b32_e32 v2, 5, v69
	s_ashr_i32 s5, s4, 31
	v_lshlrev_b32_e32 v121, 6, v1
	s_lshl_b64 s[4:5], s[4:5], 2
	s_load_b32 s3, s[36:37], 0x0
	s_add_u32 s4, s26, s4
	s_addc_u32 s5, s25, s5
	v_lshl_or_b32 v1, v68, 9, v2
	ds_load_b128 v[103:106], v121
	ds_load_b128 v[107:110], v121 offset:1024
	s_load_b32 s4, s[4:5], 0x0
	s_add_u32 s6, s22, s27
	s_addc_u32 s7, s23, s28
	v_add_co_u32 v17, s6, s6, v1
	s_delay_alu instid0(VALU_DEP_1) | instskip(SKIP_1) | instid1(VALU_DEP_1)
	v_add_co_ci_u32_e64 v18, null, s7, 0, s6
	s_waitcnt lgkmcnt(0)
	v_mad_i64_i32 v[1:2], null, s21, s17, v[17:18]
	v_mad_i64_i32 v[3:4], null, s13, s17, v[17:18]
	;; [unrolled: 1-line block ×7, first 2 shown]
	s_clause 0x9
	global_load_b128 v[49:52], v[1:2], off
	global_load_b128 v[53:56], v[1:2], off offset:16
	global_load_b128 v[41:44], v[3:4], off
	global_load_b128 v[45:48], v[3:4], off offset:16
	;; [unrolled: 2-line block ×5, first 2 shown]
	v_mad_i64_i32 v[119:120], null, s4, s17, v[17:18]
	s_clause 0x3
	global_load_b128 v[17:20], v[21:22], off
	global_load_b128 v[21:24], v[21:22], off offset:16
	global_load_b128 v[25:28], v[29:30], off
	global_load_b128 v[29:32], v[29:30], off offset:16
	s_waitcnt vmcnt(20)
	v_wmma_f32_16x16x16_f16 v[111:118], v[57:64], v[103:110], v[95:102]
	s_clause 0x1
	global_load_b128 v[57:60], v[119:120], off
	global_load_b128 v[61:64], v[119:120], off offset:16
	s_waitcnt vmcnt(20)
	v_wmma_f32_16x16x16_f16 v[95:102], v[71:78], v[103:110], v[95:102]
	ds_load_b128 v[71:74], v121 offset:2048
	ds_load_b128 v[75:78], v121 offset:3072
	v_mbcnt_lo_u32_b32 v104, -1, 0
	s_waitcnt vmcnt(0) lgkmcnt(0)
	s_barrier
	buffer_gl0_inv
	v_xor_b32_e32 v105, 16, v104
	s_delay_alu instid0(VALU_DEP_1) | instskip(SKIP_4) | instid1(VALU_DEP_2)
	v_cmp_gt_i32_e32 vcc_lo, 32, v105
	v_cndmask_b32_e32 v104, v104, v105, vcc_lo
	v_wmma_f32_16x16x16_f16 v[111:118], v[79:86], v[71:78], v[111:118]
	v_and_b32_e32 v103, 0xe0, v0
	v_wmma_f32_16x16x16_f16 v[95:102], v[87:94], v[71:78], v[95:102]
	v_dual_mul_f32 v78, s19, v113 :: v_dual_add_nc_u32 v103, s12, v103
	s_delay_alu instid0(VALU_DEP_2) | instskip(SKIP_1) | instid1(VALU_DEP_3)
	v_dual_mul_f32 v90, s19, v101 :: v_dual_mul_f32 v87, s19, v112
	v_dual_mul_f32 v88, s19, v111 :: v_dual_mul_f32 v77, s19, v114
	v_or_b32_e32 v103, v103, v67
	v_dual_mul_f32 v75, s19, v116 :: v_dual_mul_f32 v94, s19, v97
	v_dual_mul_f32 v76, s19, v115 :: v_dual_mul_f32 v73, s19, v118
	v_mul_f32_e32 v92, s19, v99
	s_delay_alu instid0(VALU_DEP_4)
	v_or_b32_e32 v105, 2, v103
	v_or_b32_e32 v106, 4, v103
	;; [unrolled: 1-line block ×3, first 2 shown]
	v_cmp_gt_i32_e64 s3, s24, v103
	v_or_b32_e32 v108, 8, v103
	v_cmp_gt_i32_e32 vcc_lo, s24, v105
	v_or_b32_e32 v109, 10, v103
	v_cmp_gt_i32_e64 s4, s24, v106
	v_cndmask_b32_e64 v88, 0xff7fffff, v88, s3
	v_cmp_gt_i32_e64 s5, s24, v107
	v_cndmask_b32_e32 v87, 0xff7fffff, v87, vcc_lo
	v_or_b32_e32 v79, 12, v103
	v_or_b32_e32 v80, 14, v103
	v_cndmask_b32_e64 v78, 0xff7fffff, v78, s4
	v_cndmask_b32_e64 v77, 0xff7fffff, v77, s5
	v_max3_f32 v87, v88, 0xff7fffff, v87
	v_cmp_gt_i32_e64 s6, s24, v108
	v_cmp_gt_i32_e64 s7, s24, v109
	v_or_b32_e32 v81, 16, v103
	v_or_b32_e32 v82, 18, v103
	v_mul_f32_e32 v74, s19, v117
	v_cndmask_b32_e64 v76, 0xff7fffff, v76, s6
	v_cndmask_b32_e64 v75, 0xff7fffff, v75, s7
	v_max3_f32 v77, v87, v78, v77
	v_cmp_gt_i32_e64 s8, s24, v79
	v_cmp_gt_i32_e64 s9, s24, v80
	v_or_b32_e32 v83, 20, v103
	v_or_b32_e32 v84, 22, v103
	;; [unrolled: 1-line block ×6, first 2 shown]
	v_mul_f32_e32 v105, s19, v96
	v_mul_f32_e32 v103, s19, v95
	v_cndmask_b32_e64 v74, 0xff7fffff, v74, s8
	v_cndmask_b32_e64 v73, 0xff7fffff, v73, s9
	v_max3_f32 v75, v77, v76, v75
	v_cmp_gt_i32_e64 s10, s24, v81
	v_cmp_gt_i32_e64 s11, s24, v82
	v_mul_f32_e32 v93, s19, v98
	v_cmp_gt_i32_e64 s12, s24, v83
	v_max3_f32 v73, v75, v74, v73
	v_cndmask_b32_e64 v76, 0xff7fffff, v103, s10
	v_cndmask_b32_e64 v77, 0xff7fffff, v105, s11
	v_cmp_gt_i32_e64 s13, s24, v84
	v_mul_f32_e32 v91, s19, v100
	v_cndmask_b32_e64 v74, 0xff7fffff, v94, s12
	v_cmp_gt_i32_e64 s15, s24, v85
	v_max3_f32 v73, v73, v76, v77
	v_cndmask_b32_e64 v75, 0xff7fffff, v93, s13
	v_cmp_gt_i32_e64 s16, s24, v86
	v_mul_f32_e32 v89, s19, v102
	v_cndmask_b32_e64 v76, 0xff7fffff, v92, s15
	v_cmp_gt_i32_e64 s17, s24, v71
	v_max3_f32 v73, v73, v74, v75
	v_cndmask_b32_e64 v77, 0xff7fffff, v91, s16
	v_cmp_gt_i32_e64 s18, s24, v72
	v_lshlrev_b32_e32 v74, 2, v104
	v_cndmask_b32_e64 v71, 0xff7fffff, v90, s17
	s_delay_alu instid0(VALU_DEP_4) | instskip(NEXT) | instid1(VALU_DEP_4)
	v_max3_f32 v73, v73, v76, v77
	v_cndmask_b32_e64 v72, 0xff7fffff, v89, s18
	s_delay_alu instid0(VALU_DEP_1) | instskip(SKIP_3) | instid1(VALU_DEP_1)
	v_max3_f32 v71, v73, v71, v72
	ds_bpermute_b32 v72, v74, v71
	s_waitcnt lgkmcnt(0)
	v_max_f32_e32 v72, v72, v72
	v_max_f32_e32 v71, v71, v72
	s_delay_alu instid0(VALU_DEP_1)
	v_fma_f32 v72, s19, v111, -v71
	v_fma_f32 v76, s19, v114, -v71
	v_fma_f32 v73, s19, v112, -v71
	v_fma_f32 v77, s19, v115, -v71
	v_fma_f32 v84, s19, v96, -v71
	v_mul_f32_e32 v72, 0x3fb8aa3b, v72
	v_mul_f32_e32 v76, 0x3fb8aa3b, v76
	v_fma_f32 v75, s19, v113, -v71
	v_mul_f32_e32 v79, 0x3fb8aa3b, v77
	v_mul_f32_e32 v85, 0x3fb8aa3b, v84
	v_exp_f32_e32 v72, v72
	v_exp_f32_e32 v76, v76
	v_fma_f32 v86, s19, v98, -v71
	v_exp_f32_e32 v82, v79
	v_exp_f32_e32 v85, v85
	v_fma_f32 v81, s19, v117, -v71
	s_delay_alu instid0(VALU_DEP_2) | instskip(SKIP_3) | instid1(TRANS32_DEP_3)
	v_mul_f32_e32 v87, 0x3fb8aa3b, v86
	v_cndmask_b32_e64 v78, 0, v72, s3
	v_fma_f32 v72, s19, v116, -v71
	v_mul_f32_e32 v73, 0x3fb8aa3b, v73
	v_cndmask_b32_e64 v79, 0, v76, s5
	v_fma_f32 v76, s19, v95, -v71
	s_delay_alu instid0(VALU_DEP_4) | instskip(NEXT) | instid1(VALU_DEP_4)
	v_dual_mul_f32 v75, 0x3fb8aa3b, v75 :: v_dual_mul_f32 v72, 0x3fb8aa3b, v72
	v_exp_f32_e32 v73, v73
	v_exp_f32_e32 v87, v87
	s_delay_alu instid0(VALU_DEP_2) | instskip(NEXT) | instid1(VALU_DEP_2)
	v_mul_f32_e32 v76, 0x3fb8aa3b, v76
	v_exp_f32_e32 v75, v75
	v_cndmask_b32_e64 v85, 0, v85, s11
	v_mul_f32_e32 v81, 0x3fb8aa3b, v81
	v_exp_f32_e32 v72, v72
	v_cndmask_b32_e64 v82, 0, v82, s6
	v_exp_f32_e32 v76, v76
	s_mov_b32 s3, exec_lo
	v_cndmask_b32_e32 v77, 0, v73, vcc_lo
	v_add_f32_e32 v73, 0, v78
	v_cndmask_b32_e64 v87, 0, v87, s13
	v_cndmask_b32_e64 v80, 0, v75, s4
	v_fma_f32 v75, s19, v118, -v71
	v_exp_f32_e32 v83, v81
	v_add_f32_e32 v73, v73, v77
	v_cndmask_b32_e64 v81, 0, v72, s7
	v_cndmask_b32_e64 v86, 0, v76, s10
	v_mul_f32_e32 v75, 0x3fb8aa3b, v75
	s_delay_alu instid0(VALU_DEP_4) | instskip(NEXT) | instid1(VALU_DEP_2)
	v_add_f32_e32 v73, v73, v80
	v_exp_f32_e32 v75, v75
	s_delay_alu instid0(TRANS32_DEP_2) | instskip(NEXT) | instid1(VALU_DEP_2)
	v_cndmask_b32_e64 v84, 0, v83, s8
	v_add_f32_e32 v73, v73, v79
	s_delay_alu instid0(VALU_DEP_1) | instskip(SKIP_3) | instid1(VALU_DEP_1)
	v_add_f32_e32 v72, v73, v82
	s_waitcnt_depctr 0xfff
	v_cndmask_b32_e64 v83, 0, v75, s9
	v_add_f32_e32 v72, v72, v81
	v_add_f32_e32 v72, v72, v84
	s_delay_alu instid0(VALU_DEP_1) | instskip(NEXT) | instid1(VALU_DEP_1)
	v_add_f32_e32 v72, v72, v83
	v_add_f32_e32 v72, v72, v86
	v_fma_f32 v73, s19, v97, -v71
	v_fma_f32 v75, s19, v99, -v71
	;; [unrolled: 1-line block ×4, first 2 shown]
	v_add_f32_e32 v72, v72, v85
	v_mul_f32_e32 v73, 0x3fb8aa3b, v73
	s_delay_alu instid0(VALU_DEP_4) | instskip(NEXT) | instid1(VALU_DEP_2)
	v_dual_mul_f32 v75, 0x3fb8aa3b, v75 :: v_dual_mul_f32 v76, 0x3fb8aa3b, v76
	v_exp_f32_e32 v73, v73
	s_delay_alu instid0(VALU_DEP_1) | instskip(NEXT) | instid1(VALU_DEP_1)
	v_exp_f32_e32 v75, v75
	v_exp_f32_e32 v76, v76
	s_delay_alu instid0(TRANS32_DEP_3)
	v_cndmask_b32_e64 v88, 0, v73, s12
	v_mul_f32_e32 v73, 0x3fb8aa3b, v89
	v_fma_f32 v89, s19, v102, -v71
	s_waitcnt_depctr 0xfff
	v_cndmask_b32_e64 v90, 0, v75, s15
	v_add_f32_e32 v72, v72, v88
	v_exp_f32_e32 v73, v73
	v_mul_f32_e32 v75, 0x3fb8aa3b, v89
	v_cndmask_b32_e64 v89, 0, v76, s16
	s_delay_alu instid0(VALU_DEP_3) | instskip(NEXT) | instid1(VALU_DEP_3)
	v_add_f32_e32 v72, v72, v87
	v_exp_f32_e32 v75, v75
	s_delay_alu instid0(VALU_DEP_1) | instskip(SKIP_4) | instid1(VALU_DEP_2)
	v_add_f32_e32 v72, v72, v90
	s_waitcnt_depctr 0xfff
	v_cndmask_b32_e64 v92, 0, v73, s17
	v_add_f32_e32 v72, v72, v89
	v_cndmask_b32_e64 v91, 0, v75, s18
	v_add_f32_e32 v72, v72, v92
	s_delay_alu instid0(VALU_DEP_1)
	v_add_f32_e32 v72, v72, v91
	ds_bpermute_b32 v73, v74, v72
	v_cmpx_gt_u32_e32 16, v70
	s_cbranch_execz .LBB1173_12
; %bb.11:
	v_mul_u32_u24_e32 v70, 0x44, v68
	s_waitcnt lgkmcnt(0)
	v_add_f32_e32 v72, v72, v73
	s_delay_alu instid0(VALU_DEP_2) | instskip(NEXT) | instid1(VALU_DEP_1)
	v_lshl_add_u32 v70, v69, 2, v70
	v_add_nc_u32_e32 v70, 0x4000, v70
	ds_store_2addr_b32 v70, v71, v72 offset1:136
.LBB1173_12:
	s_or_b32 exec_lo, exec_lo, s3
	v_lshlrev_b32_e32 v70, 2, v69
	s_load_b32 s35, s[0:1], 0x94
	s_waitcnt lgkmcnt(0)
	s_barrier
	buffer_gl0_inv
	v_add_nc_u32_e32 v74, 0x4000, v70
	v_cmp_eq_u32_e32 vcc_lo, 1, v68
	v_cmp_eq_u32_e64 s3, 2, v68
	v_cmp_eq_u32_e64 s4, 3, v68
	;; [unrolled: 1-line block ×3, first 2 shown]
	ds_load_2addr_b32 v[70:71], v74 offset1:17
	ds_load_2addr_b32 v[72:73], v74 offset0:34 offset1:51
	ds_load_2addr_b32 v[93:94], v74 offset0:68 offset1:85
	;; [unrolled: 1-line block ×3, first 2 shown]
	v_cmp_eq_u32_e64 s6, 5, v68
	v_cmp_eq_u32_e64 s7, 7, v68
	s_waitcnt lgkmcnt(3)
	v_max3_f32 v75, v70, 0xff7fffff, v71
	s_waitcnt lgkmcnt(2)
	s_delay_alu instid0(VALU_DEP_1) | instskip(SKIP_1) | instid1(VALU_DEP_1)
	v_max3_f32 v75, v75, v72, v73
	s_waitcnt lgkmcnt(1)
	v_max3_f32 v75, v75, v93, v94
	s_waitcnt lgkmcnt(0)
	s_delay_alu instid0(VALU_DEP_1) | instskip(NEXT) | instid1(VALU_DEP_1)
	v_max3_f32 v75, v75, v95, v96
	v_sub_f32_e32 v93, v93, v75
	ds_load_2addr_b32 v[97:98], v74 offset0:136 offset1:153
	v_sub_f32_e32 v70, v70, v75
	v_dual_sub_f32 v100, v73, v75 :: v_dual_mul_f32 v103, 0x3fb8aa3b, v93
	s_delay_alu instid0(VALU_DEP_2) | instskip(SKIP_3) | instid1(VALU_DEP_1)
	v_dual_sub_f32 v76, v71, v75 :: v_dual_mul_f32 v99, 0x3fb8aa3b, v70
	ds_load_2addr_b32 v[70:71], v74 offset0:170 offset1:187
	v_mul_f32_e32 v76, 0x3fb8aa3b, v76
	v_exp_f32_e32 v99, v99
	v_exp_f32_e32 v102, v76
	v_mul_f32_e32 v100, 0x3fb8aa3b, v100
	s_waitcnt lgkmcnt(1)
	s_waitcnt_depctr 0xfff
	v_fma_f32 v76, v99, v97, 0
	v_sub_f32_e32 v97, v94, v75
	v_sub_f32_e32 v72, v72, v75
	v_exp_f32_e32 v100, v100
	ds_load_2addr_b32 v[93:94], v74 offset0:238 offset1:255
	v_dual_fmac_f32 v76, v102, v98 :: v_dual_mul_f32 v101, 0x3fb8aa3b, v72
	ds_load_2addr_b32 v[72:73], v74 offset0:204 offset1:221
	v_dual_sub_f32 v74, v95, v75 :: v_dual_mul_f32 v95, 0x3fb8aa3b, v97
	v_exp_f32_e32 v97, v103
	v_exp_f32_e32 v101, v101
	s_waitcnt lgkmcnt(0)
	s_delay_alu instid0(VALU_DEP_1)
	v_mul_f32_e32 v74, 0x3fb8aa3b, v74
	v_exp_f32_e32 v95, v95
	s_barrier
	buffer_gl0_inv
	v_fmac_f32_e32 v76, v101, v70
	v_sub_f32_e32 v70, v96, v75
	v_exp_f32_e32 v96, v74
	s_delay_alu instid0(VALU_DEP_2) | instskip(NEXT) | instid1(VALU_DEP_2)
	v_fmac_f32_e32 v76, v100, v71
	v_mul_f32_e32 v70, 0x3fb8aa3b, v70
	s_delay_alu instid0(VALU_DEP_2) | instskip(NEXT) | instid1(VALU_DEP_2)
	v_dual_cndmask_b32 v71, v99, v102 :: v_dual_fmac_f32 v76, v97, v72
	v_exp_f32_e32 v98, v70
	v_lshlrev_b32_e32 v72, 6, v69
	s_delay_alu instid0(VALU_DEP_2) | instskip(NEXT) | instid1(VALU_DEP_2)
	v_dual_fmac_f32 v76, v95, v73 :: v_dual_lshlrev_b32 v69, 2, v67
	v_lshl_or_b32 v74, v68, 11, v72
	s_delay_alu instid0(VALU_DEP_2)
	v_cmp_eq_u32_e64 s8, 7, v69
	s_delay_alu instid0(TRANS32_DEP_2) | instid1(VALU_DEP_3)
	v_fmac_f32_e32 v76, v96, v93
	s_waitcnt_depctr 0xfff
	v_fmac_f32_e32 v76, v98, v94
	s_delay_alu instid0(VALU_DEP_1) | instskip(NEXT) | instid1(VALU_DEP_1)
	v_add_f32_e32 v73, 0x358637bd, v76
	v_div_scale_f32 v93, null, v73, v73, 1.0
	v_div_scale_f32 v99, vcc_lo, 1.0, v73, 1.0
	s_delay_alu instid0(VALU_DEP_2) | instskip(SKIP_2) | instid1(VALU_DEP_1)
	v_rcp_f32_e32 v94, v93
	s_waitcnt_depctr 0xfff
	v_fma_f32 v70, -v93, v94, 1.0
	v_fmac_f32_e32 v94, v70, v94
	v_cndmask_b32_e64 v70, v71, v101, s3
	v_cmp_eq_u32_e64 s3, 6, v68
	v_or_b32_e32 v71, 1, v69
	v_or_b32_e32 v68, 2, v69
	v_mul_f32_e32 v101, v99, v94
	v_cndmask_b32_e64 v70, v70, v100, s4
	v_cmp_eq_u32_e64 s4, 1, v69
	v_cmp_eq_u32_e64 s9, 1, v71
	v_cmp_eq_u32_e64 s10, 1, v68
	v_fma_f32 v100, -v93, v101, v99
	v_cndmask_b32_e64 v70, v70, v97, s5
	v_cmp_eq_u32_e64 s5, 2, v69
	v_cmp_eq_u32_e64 s12, 2, v71
	;; [unrolled: 1-line block ×3, first 2 shown]
	v_fmac_f32_e32 v101, v100, v94
	v_cndmask_b32_e64 v95, v70, v95, s6
	v_or_b32_e32 v70, 3, v69
	v_cmp_eq_u32_e64 s13, 3, v71
	v_cmp_eq_u32_e64 s17, 3, v68
	v_fma_f32 v93, -v93, v101, v99
	v_cndmask_b32_e64 v95, v95, v96, s3
	v_cmp_eq_u32_e64 s11, 1, v70
	v_cmp_eq_u32_e64 s16, 2, v70
	;; [unrolled: 1-line block ×3, first 2 shown]
	v_div_fmas_f32 v93, v93, v94, v101
	v_cndmask_b32_e64 v94, v95, v98, s7
	v_cmp_eq_u32_e32 vcc_lo, 3, v69
	v_cmp_eq_u32_e64 s3, 4, v69
	v_cmp_eq_u32_e64 s19, 4, v71
	v_div_fixup_f32 v93, v93, v73, 1.0
	v_lshl_or_b32 v73, v67, 4, v74
	v_cmp_eq_u32_e64 s22, 4, v70
	v_cmp_eq_u32_e64 s6, 5, v69
	;; [unrolled: 1-line block ×3, first 2 shown]
	v_mul_f32_e32 v101, v94, v93
	v_cmp_eq_u32_e64 s21, 4, v68
	v_cmp_eq_u32_e64 s24, 5, v70
	;; [unrolled: 1-line block ×4, first 2 shown]
	v_fma_mixlo_f16 v93, v101, v78, 0
	v_fma_mixlo_f16 v94, v101, v80, 0
	;; [unrolled: 1-line block ×8, first 2 shown]
	v_fma_mixhi_f16 v93, v101, v77, 0
	v_fma_mixhi_f16 v94, v101, v79, 0
	;; [unrolled: 1-line block ×8, first 2 shown]
	ds_store_b128 v73, v[93:96]
	ds_store_b128 v73, v[97:100] offset:1024
	s_waitcnt lgkmcnt(0)
	s_barrier
	buffer_gl0_inv
	ds_load_b128 v[77:80], v74
	ds_load_b128 v[81:84], v74 offset:16
	ds_load_b128 v[85:88], v74 offset:1024
	;; [unrolled: 1-line block ×3, first 2 shown]
	v_cmp_eq_u32_e64 s27, 6, v70
	v_cmp_eq_u32_e64 s7, 6, v69
	;; [unrolled: 1-line block ×6, first 2 shown]
	s_waitcnt lgkmcnt(3)
	v_lshrrev_b32_e32 v93, 16, v77
	s_waitcnt lgkmcnt(2)
	v_lshrrev_b32_e32 v97, 16, v81
	;; [unrolled: 2-line block ×4, first 2 shown]
	v_lshrrev_b32_e32 v94, 16, v78
	v_cndmask_b32_e64 v109, v77, v93, s4
	v_cndmask_b32_e64 v110, v81, v97, s4
	;; [unrolled: 1-line block ×8, first 2 shown]
	v_lshrrev_b32_e32 v98, 16, v82
	v_cndmask_b32_e64 v93, v85, v101, s4
	v_cndmask_b32_e64 v97, v89, v105, s4
	;; [unrolled: 1-line block ×15, first 2 shown]
	v_lshrrev_b32_e32 v102, 16, v86
	v_lshrrev_b32_e32 v106, 16, v90
	v_cndmask_b32_e64 v112, v114, v82, s15
	v_cndmask_b32_e64 v81, v93, v86, s5
	;; [unrolled: 1-line block ×7, first 2 shown]
	v_cndmask_b32_e32 v89, v101, v94, vcc_lo
	v_cndmask_b32_e32 v101, v105, v98, vcc_lo
	v_cndmask_b32_e64 v105, v109, v94, s13
	v_cndmask_b32_e64 v109, v110, v98, s13
	;; [unrolled: 1-line block ×4, first 2 shown]
	v_lshrrev_b32_e32 v95, 16, v79
	v_lshrrev_b32_e32 v99, 16, v83
	v_cndmask_b32_e64 v110, v111, v94, s17
	v_cndmask_b32_e64 v111, v112, v98, s17
	v_cndmask_b32_e32 v81, v81, v102, vcc_lo
	v_cndmask_b32_e32 v82, v82, v106, vcc_lo
	v_cndmask_b32_e64 v93, v93, v102, s13
	v_cndmask_b32_e64 v89, v89, v79, s3
	;; [unrolled: 1-line block ×7, first 2 shown]
	v_lshrrev_b32_e32 v103, 16, v87
	v_cndmask_b32_e64 v105, v110, v79, s21
	v_cndmask_b32_e64 v109, v111, v83, s21
	;; [unrolled: 1-line block ×11, first 2 shown]
	v_lshrrev_b32_e32 v96, 16, v80
	v_lshrrev_b32_e32 v100, 16, v84
	v_cndmask_b32_e64 v98, v105, v95, s23
	v_cndmask_b32_e64 v101, v109, v99, s23
	v_cndmask_b32_e64 v82, v82, v103, s20
	v_cndmask_b32_e64 v93, v93, v80, s25
	v_cndmask_b32_e64 v94, v94, v84, s25
	v_cndmask_b32_e64 v77, v77, v80, s27
	v_cndmask_b32_e64 v78, v78, v84, s27
	v_lshrrev_b32_e32 v104, 16, v88
	v_cndmask_b32_e64 v79, v79, v103, s6
	v_cndmask_b32_e64 v83, v83, v80, s7
	;; [unrolled: 1-line block ×16, first 2 shown]
	v_perm_b32 v80, v78, v77, 0x5040100
	v_perm_b32 v78, v94, v84, 0x5040100
	v_cndmask_b32_e64 v77, v118, v90, s15
	v_cndmask_b32_e64 v84, v116, v90, s12
	;; [unrolled: 1-line block ×3, first 2 shown]
	v_perm_b32 v79, v93, v89, 0x5040100
	v_cndmask_b32_e64 v89, v97, v102, s17
	v_cndmask_b32_e64 v85, v85, v102, s18
	;; [unrolled: 1-line block ×5, first 2 shown]
	v_lshrrev_b32_e32 v107, 16, v91
	v_cndmask_b32_e64 v89, v89, v87, s21
	v_cndmask_b32_e64 v85, v85, v87, s22
	;; [unrolled: 1-line block ×11, first 2 shown]
	v_lshrrev_b32_e32 v108, 16, v92
	v_cndmask_b32_e64 v81, v81, v92, s7
	v_cndmask_b32_e64 v87, v87, v88, s26
	;; [unrolled: 1-line block ×12, first 2 shown]
	v_perm_b32 v77, v83, v82, 0x5040100
	v_perm_b32 v84, v86, v85, 0x5040100
	;; [unrolled: 1-line block ×5, first 2 shown]
	s_lshl_b32 s8, s33, 3
	s_mov_b32 s3, exec_lo
	ds_store_b128 v73, v[77:80]
	ds_store_b128 v73, v[81:84] offset:1024
	v_cmpx_gt_u32_e32 8, v0
	s_cbranch_execz .LBB1173_14
; %bb.13:
	v_or_b32_e32 v77, s31, v0
	s_load_b128 s[4:7], s[0:1], 0x58
	s_delay_alu instid0(VALU_DEP_1) | instskip(NEXT) | instid1(VALU_DEP_1)
	v_mad_u64_u32 v[78:79], null, s8, s34, v[77:78]
	v_mad_u64_u32 v[79:80], null, v78, s35, s[14:15]
	s_delay_alu instid0(VALU_DEP_1) | instskip(NEXT) | instid1(VALU_DEP_1)
	v_ashrrev_i32_e32 v80, 31, v79
	v_lshlrev_b64 v[77:78], 2, v[79:80]
	s_waitcnt lgkmcnt(0)
	s_delay_alu instid0(VALU_DEP_1) | instskip(NEXT) | instid1(VALU_DEP_2)
	v_add_co_u32 v79, vcc_lo, s6, v77
	v_add_co_ci_u32_e32 v80, vcc_lo, s7, v78, vcc_lo
	v_add_co_u32 v77, vcc_lo, s4, v77
	v_add_co_ci_u32_e32 v78, vcc_lo, s5, v78, vcc_lo
	global_store_b32 v[79:80], v75, off
	global_store_b32 v[77:78], v76, off
.LBB1173_14:
	s_or_b32 exec_lo, exec_lo, s3
	s_waitcnt lgkmcnt(0)
	s_waitcnt_vscnt null, 0x0
	s_barrier
	buffer_gl0_inv
	ds_load_b128 v[83:86], v72
	ds_load_b128 v[87:90], v72 offset:16
	ds_load_b128 v[95:98], v72 offset:2064
	;; [unrolled: 1-line block ×5, first 2 shown]
	v_cmp_eq_u32_e32 vcc_lo, 1, v69
	v_mov_b32_e32 v75, 0
	ds_load_b128 v[111:114], v72 offset:6160
	ds_load_b128 v[107:110], v72 offset:6144
	;; [unrolled: 1-line block ×4, first 2 shown]
	v_cmp_eq_u32_e64 s4, 1, v68
	v_cmp_eq_u32_e64 s3, 1, v71
	;; [unrolled: 1-line block ×3, first 2 shown]
	v_mov_b32_e32 v76, v75
	v_mov_b32_e32 v77, v75
	;; [unrolled: 1-line block ×7, first 2 shown]
	v_cmp_eq_u32_e64 s6, 3, v71
	v_cmp_eq_u32_e64 s7, 7, v71
	s_waitcnt lgkmcnt(8)
	s_delay_alu instid0(VALU_DEP_3)
	v_wmma_f32_16x16x16_f16 v[75:82], v[49:56], v[83:90], v[75:82]
	ds_load_b128 v[53:56], v72 offset:10256
	ds_load_b128 v[49:52], v72 offset:10240
	s_waitcnt lgkmcnt(8)
	v_wmma_f32_16x16x16_f16 v[75:82], v[41:48], v[91:98], v[75:82]
	ds_load_b128 v[45:48], v72 offset:12304
	ds_load_b128 v[41:44], v72 offset:12288
	s_waitcnt lgkmcnt(8)
	;; [unrolled: 4-line block ×3, first 2 shown]
	s_barrier
	buffer_gl0_inv
	v_wmma_f32_16x16x16_f16 v[75:82], v[1:8], v[107:114], v[75:82]
	s_delay_alu instid0(VALU_DEP_1) | instskip(NEXT) | instid1(VALU_DEP_1)
	v_wmma_f32_16x16x16_f16 v[75:82], v[9:16], v[115:122], v[75:82]
	v_wmma_f32_16x16x16_f16 v[75:82], v[17:24], v[49:56], v[75:82]
	s_delay_alu instid0(VALU_DEP_1) | instskip(NEXT) | instid1(VALU_DEP_1)
	v_wmma_f32_16x16x16_f16 v[75:82], v[25:32], v[41:48], v[75:82]
	v_wmma_f32_16x16x16_f16 v[75:82], v[57:64], v[33:40], v[75:82]
	s_delay_alu instid0(VALU_DEP_1) | instskip(NEXT) | instid1(VALU_DEP_2)
	v_cvt_f16_f32_e32 v1, v75
	v_cvt_f16_f32_e32 v2, v76
	s_delay_alu instid0(VALU_DEP_3) | instskip(NEXT) | instid1(VALU_DEP_4)
	v_cvt_f16_f32_e32 v3, v77
	v_cvt_f16_f32_e32 v4, v78
	;; [unrolled: 1-line block ×6, first 2 shown]
	v_pack_b32_f16 v1, v1, v2
	v_pack_b32_f16 v2, v3, v4
	;; [unrolled: 1-line block ×3, first 2 shown]
	s_delay_alu instid0(VALU_DEP_4)
	v_pack_b32_f16 v4, v7, v8
	ds_store_b128 v73, v[1:4]
	s_waitcnt lgkmcnt(0)
	s_barrier
	buffer_gl0_inv
	ds_load_b128 v[1:4], v74
	ds_load_b128 v[5:8], v74 offset:16
	s_waitcnt lgkmcnt(1)
	v_lshrrev_b32_e32 v9, 16, v1
	s_waitcnt lgkmcnt(0)
	v_lshrrev_b32_e32 v13, 16, v5
	v_lshrrev_b32_e32 v10, 16, v2
	;; [unrolled: 1-line block ×4, first 2 shown]
	v_cndmask_b32_e32 v17, v1, v9, vcc_lo
	v_cndmask_b32_e32 v18, v5, v13, vcc_lo
	v_cndmask_b32_e64 v21, v1, v9, s4
	v_cmp_eq_u32_e32 vcc_lo, 1, v70
	v_cndmask_b32_e64 v22, v5, v13, s4
	v_cmp_eq_u32_e64 s4, 2, v69
	v_cndmask_b32_e64 v19, v1, v9, s3
	v_cndmask_b32_e64 v20, v5, v13, s3
	v_cndmask_b32_e32 v1, v1, v9, vcc_lo
	v_cmp_eq_u32_e64 s3, 2, v70
	v_cndmask_b32_e32 v5, v5, v13, vcc_lo
	v_cndmask_b32_e64 v9, v17, v2, s4
	v_cmp_eq_u32_e32 vcc_lo, 3, v69
	v_cndmask_b32_e64 v13, v18, v6, s4
	v_cmp_eq_u32_e64 s4, 2, v68
	v_cndmask_b32_e64 v17, v19, v2, s5
	v_cndmask_b32_e64 v18, v20, v6, s5
	v_cmp_eq_u32_e64 s5, 3, v68
	v_cndmask_b32_e64 v1, v1, v2, s3
	v_cndmask_b32_e64 v19, v21, v2, s4
	;; [unrolled: 1-line block ×4, first 2 shown]
	v_cndmask_b32_e32 v5, v9, v10, vcc_lo
	v_cndmask_b32_e32 v6, v13, v14, vcc_lo
	v_cmp_eq_u32_e32 vcc_lo, 3, v70
	v_cndmask_b32_e64 v9, v17, v10, s6
	v_cndmask_b32_e64 v13, v18, v14, s6
	;; [unrolled: 1-line block ×3, first 2 shown]
	v_cmp_eq_u32_e64 s4, 4, v69
	v_cndmask_b32_e32 v1, v1, v10, vcc_lo
	v_cndmask_b32_e32 v2, v2, v14, vcc_lo
	v_cmp_eq_u32_e32 vcc_lo, 4, v71
	v_lshrrev_b32_e32 v15, 16, v7
	v_lshrrev_b32_e32 v16, 16, v8
	v_cndmask_b32_e64 v17, v19, v10, s5
	v_cmp_eq_u32_e64 s3, 4, v70
	v_cndmask_b32_e64 v5, v5, v3, s4
	v_cndmask_b32_e64 v6, v6, v7, s4
	v_cndmask_b32_e32 v9, v9, v3, vcc_lo
	v_cmp_eq_u32_e64 s4, 5, v71
	v_cndmask_b32_e32 v10, v13, v7, vcc_lo
	v_cmp_eq_u32_e32 vcc_lo, 4, v68
	v_cmp_eq_u32_e64 s5, 5, v69
	v_cndmask_b32_e64 v2, v2, v7, s3
	v_cndmask_b32_e64 v9, v9, v11, s4
	;; [unrolled: 1-line block ×3, first 2 shown]
	v_cndmask_b32_e32 v13, v17, v3, vcc_lo
	v_cmp_eq_u32_e64 s4, 5, v68
	v_cndmask_b32_e32 v14, v18, v7, vcc_lo
	v_cndmask_b32_e64 v1, v1, v3, s3
	v_cmp_eq_u32_e32 vcc_lo, 5, v70
	v_lshrrev_b32_e32 v12, 16, v4
	v_cndmask_b32_e64 v13, v13, v11, s4
	v_cndmask_b32_e64 v3, v14, v15, s4
	v_cmp_eq_u32_e64 s4, 6, v70
	v_cndmask_b32_e32 v1, v1, v11, vcc_lo
	v_cndmask_b32_e64 v5, v5, v11, s5
	v_cmp_eq_u32_e64 s6, 6, v69
	v_cndmask_b32_e64 v6, v6, v15, s5
	v_cmp_eq_u32_e64 s5, 6, v71
	v_cmp_eq_u32_e64 s3, 6, v68
	v_cndmask_b32_e64 v1, v1, v4, s4
	v_cndmask_b32_e32 v2, v2, v15, vcc_lo
	v_cmp_eq_u32_e32 vcc_lo, 7, v70
	v_cndmask_b32_e64 v5, v5, v4, s6
	v_cndmask_b32_e64 v9, v9, v4, s5
	v_cndmask_b32_e64 v6, v6, v8, s6
	v_cmp_eq_u32_e64 s6, 7, v69
	v_cndmask_b32_e32 v1, v1, v12, vcc_lo
	v_cndmask_b32_e64 v7, v13, v4, s3
	v_cndmask_b32_e64 v3, v3, v8, s3
	;; [unrolled: 1-line block ×3, first 2 shown]
	v_cmp_eq_u32_e64 s3, 7, v68
	v_cndmask_b32_e64 v4, v10, v8, s5
	v_cndmask_b32_e64 v5, v5, v12, s6
	;; [unrolled: 1-line block ×3, first 2 shown]
	v_cndmask_b32_e32 v2, v2, v16, vcc_lo
	v_cndmask_b32_e64 v7, v7, v12, s3
	v_cndmask_b32_e64 v3, v3, v16, s3
	;; [unrolled: 1-line block ×4, first 2 shown]
	v_cmp_gt_u32_e32 vcc_lo, 32, v0
	v_perm_b32 v4, v2, v1, 0x5040100
	v_perm_b32 v3, v3, v7, 0x5040100
	;; [unrolled: 1-line block ×4, first 2 shown]
	s_and_b32 s2, vcc_lo, s2
	ds_store_b128 v73, v[1:4]
	s_waitcnt lgkmcnt(0)
	s_barrier
	buffer_gl0_inv
	s_and_saveexec_b32 s3, s2
	s_cbranch_execz .LBB1173_2
; %bb.15:
	s_load_b64 s[0:1], s[0:1], 0x68
	s_lshl_b32 s4, s35, 6
	v_or_b32_e32 v2, s31, v67
	s_mul_i32 s2, s4, s34
	v_lshlrev_b32_e32 v1, 10, v0
	s_mul_i32 s2, s2, s8
	v_lshlrev_b32_e32 v3, 4, v66
	v_mul_lo_u32 v0, v2, s4
	s_ashr_i32 s3, s2, 31
	v_lshlrev_b32_e32 v4, 6, v67
	v_and_b32_e32 v1, 0x3800, v1
	v_or_b32_e32 v5, 2, v2
	s_lshl_b64 s[2:3], s[2:3], 1
	v_or_b32_e32 v6, 4, v2
	v_or_b32_e32 v7, 6, v2
	v_or3_b32 v12, v1, v3, v4
	v_ashrrev_i32_e32 v1, 31, v0
	v_mul_lo_u32 v2, v5, s4
	v_mul_lo_u32 v16, v6, s4
	;; [unrolled: 1-line block ×3, first 2 shown]
	s_waitcnt lgkmcnt(0)
	s_add_u32 s2, s0, s2
	s_addc_u32 s3, s1, s3
	s_lshl_b32 s0, s14, 6
	v_lshlrev_b64 v[0:1], 1, v[0:1]
	s_ashr_i32 s1, s0, 31
	v_ashrrev_i32_e32 v3, 31, v2
	s_lshl_b64 s[0:1], s[0:1], 1
	v_ashrrev_i32_e32 v17, 31, v16
	s_add_u32 s0, s2, s0
	s_addc_u32 s1, s3, s1
	v_add_co_u32 v24, s0, s0, v65
	s_delay_alu instid0(VALU_DEP_1) | instskip(SKIP_1) | instid1(VALU_DEP_3)
	v_add_co_ci_u32_e64 v25, null, s1, 0, s0
	v_lshlrev_b64 v[22:23], 1, v[2:3]
	v_add_co_u32 v18, vcc_lo, v24, v0
	s_delay_alu instid0(VALU_DEP_3)
	v_add_co_ci_u32_e32 v19, vcc_lo, v25, v1, vcc_lo
	ds_load_b128 v[0:3], v12
	ds_load_b128 v[4:7], v12 offset:128
	ds_load_b128 v[8:11], v12 offset:256
	;; [unrolled: 1-line block ×3, first 2 shown]
	v_ashrrev_i32_e32 v21, 31, v20
	v_lshlrev_b64 v[16:17], 1, v[16:17]
	v_add_co_u32 v22, vcc_lo, v24, v22
	v_add_co_ci_u32_e32 v23, vcc_lo, v25, v23, vcc_lo
	s_delay_alu instid0(VALU_DEP_4) | instskip(NEXT) | instid1(VALU_DEP_4)
	v_lshlrev_b64 v[20:21], 1, v[20:21]
	v_add_co_u32 v16, vcc_lo, v24, v16
	v_add_co_ci_u32_e32 v17, vcc_lo, v25, v17, vcc_lo
	s_delay_alu instid0(VALU_DEP_3) | instskip(NEXT) | instid1(VALU_DEP_4)
	v_add_co_u32 v20, vcc_lo, v24, v20
	v_add_co_ci_u32_e32 v21, vcc_lo, v25, v21, vcc_lo
	s_waitcnt lgkmcnt(3)
	global_store_b128 v[18:19], v[0:3], off
	s_waitcnt lgkmcnt(2)
	global_store_b128 v[22:23], v[4:7], off
	;; [unrolled: 2-line block ×4, first 2 shown]
	s_nop 0
	s_sendmsg sendmsg(MSG_DEALLOC_VGPRS)
	s_endpgm
	.section	.rodata,"a",@progbits
	.p2align	6, 0x0
	.amdhsa_kernel _Z39paged_attention_ll4mi_QKV_mfma16_kernelIDF16_hLN4vllm18Fp8KVCacheDataTypeE1EhLi32ELi64ELi256ELb0ELi8EL8MFMAType0EEvPKT_PKT0_S8_ifPKiSA_SA_iPKfiiiPfSD_PS3_PT2_iSC_SC_
		.amdhsa_group_segment_fixed_size 17472
		.amdhsa_private_segment_fixed_size 0
		.amdhsa_kernarg_size 400
		.amdhsa_user_sgpr_count 13
		.amdhsa_user_sgpr_dispatch_ptr 0
		.amdhsa_user_sgpr_queue_ptr 0
		.amdhsa_user_sgpr_kernarg_segment_ptr 1
		.amdhsa_user_sgpr_dispatch_id 0
		.amdhsa_user_sgpr_private_segment_size 0
		.amdhsa_wavefront_size32 1
		.amdhsa_uses_dynamic_stack 0
		.amdhsa_enable_private_segment 0
		.amdhsa_system_sgpr_workgroup_id_x 1
		.amdhsa_system_sgpr_workgroup_id_y 1
		.amdhsa_system_sgpr_workgroup_id_z 1
		.amdhsa_system_sgpr_workgroup_info 0
		.amdhsa_system_vgpr_workitem_id 0
		.amdhsa_next_free_vgpr 123
		.amdhsa_next_free_sgpr 42
		.amdhsa_reserve_vcc 1
		.amdhsa_float_round_mode_32 0
		.amdhsa_float_round_mode_16_64 0
		.amdhsa_float_denorm_mode_32 3
		.amdhsa_float_denorm_mode_16_64 3
		.amdhsa_dx10_clamp 1
		.amdhsa_ieee_mode 1
		.amdhsa_fp16_overflow 0
		.amdhsa_workgroup_processor_mode 1
		.amdhsa_memory_ordered 1
		.amdhsa_forward_progress 0
		.amdhsa_shared_vgpr_count 0
		.amdhsa_exception_fp_ieee_invalid_op 0
		.amdhsa_exception_fp_denorm_src 0
		.amdhsa_exception_fp_ieee_div_zero 0
		.amdhsa_exception_fp_ieee_overflow 0
		.amdhsa_exception_fp_ieee_underflow 0
		.amdhsa_exception_fp_ieee_inexact 0
		.amdhsa_exception_int_div_zero 0
	.end_amdhsa_kernel
	.section	.text._Z39paged_attention_ll4mi_QKV_mfma16_kernelIDF16_hLN4vllm18Fp8KVCacheDataTypeE1EhLi32ELi64ELi256ELb0ELi8EL8MFMAType0EEvPKT_PKT0_S8_ifPKiSA_SA_iPKfiiiPfSD_PS3_PT2_iSC_SC_,"axG",@progbits,_Z39paged_attention_ll4mi_QKV_mfma16_kernelIDF16_hLN4vllm18Fp8KVCacheDataTypeE1EhLi32ELi64ELi256ELb0ELi8EL8MFMAType0EEvPKT_PKT0_S8_ifPKiSA_SA_iPKfiiiPfSD_PS3_PT2_iSC_SC_,comdat
.Lfunc_end1173:
	.size	_Z39paged_attention_ll4mi_QKV_mfma16_kernelIDF16_hLN4vllm18Fp8KVCacheDataTypeE1EhLi32ELi64ELi256ELb0ELi8EL8MFMAType0EEvPKT_PKT0_S8_ifPKiSA_SA_iPKfiiiPfSD_PS3_PT2_iSC_SC_, .Lfunc_end1173-_Z39paged_attention_ll4mi_QKV_mfma16_kernelIDF16_hLN4vllm18Fp8KVCacheDataTypeE1EhLi32ELi64ELi256ELb0ELi8EL8MFMAType0EEvPKT_PKT0_S8_ifPKiSA_SA_iPKfiiiPfSD_PS3_PT2_iSC_SC_
                                        ; -- End function
	.section	.AMDGPU.csdata,"",@progbits
; Kernel info:
; codeLenInByte = 6500
; NumSgprs: 44
; NumVgprs: 123
; ScratchSize: 0
; MemoryBound: 0
; FloatMode: 240
; IeeeMode: 1
; LDSByteSize: 17472 bytes/workgroup (compile time only)
; SGPRBlocks: 5
; VGPRBlocks: 15
; NumSGPRsForWavesPerEU: 44
; NumVGPRsForWavesPerEU: 123
; Occupancy: 10
; WaveLimiterHint : 1
; COMPUTE_PGM_RSRC2:SCRATCH_EN: 0
; COMPUTE_PGM_RSRC2:USER_SGPR: 13
; COMPUTE_PGM_RSRC2:TRAP_HANDLER: 0
; COMPUTE_PGM_RSRC2:TGID_X_EN: 1
; COMPUTE_PGM_RSRC2:TGID_Y_EN: 1
; COMPUTE_PGM_RSRC2:TGID_Z_EN: 1
; COMPUTE_PGM_RSRC2:TIDIG_COMP_CNT: 0
	.section	.text._Z39paged_attention_ll4mi_QKV_mfma16_kernelIDF16_hLN4vllm18Fp8KVCacheDataTypeE1EhLi32ELi64ELi256ELb0ELi9EL8MFMAType0EEvPKT_PKT0_S8_ifPKiSA_SA_iPKfiiiPfSD_PS3_PT2_iSC_SC_,"axG",@progbits,_Z39paged_attention_ll4mi_QKV_mfma16_kernelIDF16_hLN4vllm18Fp8KVCacheDataTypeE1EhLi32ELi64ELi256ELb0ELi9EL8MFMAType0EEvPKT_PKT0_S8_ifPKiSA_SA_iPKfiiiPfSD_PS3_PT2_iSC_SC_,comdat
	.protected	_Z39paged_attention_ll4mi_QKV_mfma16_kernelIDF16_hLN4vllm18Fp8KVCacheDataTypeE1EhLi32ELi64ELi256ELb0ELi9EL8MFMAType0EEvPKT_PKT0_S8_ifPKiSA_SA_iPKfiiiPfSD_PS3_PT2_iSC_SC_ ; -- Begin function _Z39paged_attention_ll4mi_QKV_mfma16_kernelIDF16_hLN4vllm18Fp8KVCacheDataTypeE1EhLi32ELi64ELi256ELb0ELi9EL8MFMAType0EEvPKT_PKT0_S8_ifPKiSA_SA_iPKfiiiPfSD_PS3_PT2_iSC_SC_
	.globl	_Z39paged_attention_ll4mi_QKV_mfma16_kernelIDF16_hLN4vllm18Fp8KVCacheDataTypeE1EhLi32ELi64ELi256ELb0ELi9EL8MFMAType0EEvPKT_PKT0_S8_ifPKiSA_SA_iPKfiiiPfSD_PS3_PT2_iSC_SC_
	.p2align	8
	.type	_Z39paged_attention_ll4mi_QKV_mfma16_kernelIDF16_hLN4vllm18Fp8KVCacheDataTypeE1EhLi32ELi64ELi256ELb0ELi9EL8MFMAType0EEvPKT_PKT0_S8_ifPKiSA_SA_iPKfiiiPfSD_PS3_PT2_iSC_SC_,@function
_Z39paged_attention_ll4mi_QKV_mfma16_kernelIDF16_hLN4vllm18Fp8KVCacheDataTypeE1EhLi32ELi64ELi256ELb0ELi9EL8MFMAType0EEvPKT_PKT0_S8_ifPKiSA_SA_iPKfiiiPfSD_PS3_PT2_iSC_SC_: ; @_Z39paged_attention_ll4mi_QKV_mfma16_kernelIDF16_hLN4vllm18Fp8KVCacheDataTypeE1EhLi32ELi64ELi256ELb0ELi9EL8MFMAType0EEvPKT_PKT0_S8_ifPKiSA_SA_iPKfiiiPfSD_PS3_PT2_iSC_SC_
; %bb.0:
	s_load_b64 s[2:3], s[0:1], 0x30
	s_mov_b32 s34, s13
	s_waitcnt lgkmcnt(0)
	s_cmp_lg_u64 s[2:3], 0
	s_cselect_b32 s6, -1, 0
	s_ashr_i32 s35, s13, 31
	s_cmp_eq_u64 s[2:3], 0
	s_cbranch_scc1 .LBB1174_3
; %bb.1:
	s_lshl_b64 s[4:5], s[34:35], 2
	s_delay_alu instid0(SALU_CYCLE_1) | instskip(SKIP_4) | instid1(SALU_CYCLE_1)
	s_add_u32 s4, s2, s4
	s_addc_u32 s5, s3, s5
	s_load_b64 s[4:5], s[4:5], 0x0
	s_waitcnt lgkmcnt(0)
	s_sub_i32 s4, s5, s4
	s_cmp_eq_u32 s4, 1
	s_cselect_b32 s4, -1, 0
	s_delay_alu instid0(SALU_CYCLE_1)
	s_and_not1_b32 vcc_lo, exec_lo, s4
	s_cbranch_vccz .LBB1174_4
.LBB1174_2:
	s_nop 0
	s_sendmsg sendmsg(MSG_DEALLOC_VGPRS)
	s_endpgm
.LBB1174_3:
.LBB1174_4:
	s_load_b64 s[8:9], s[0:1], 0x28
	s_lshl_b64 s[4:5], s[34:35], 2
	s_waitcnt lgkmcnt(0)
	s_add_u32 s8, s8, s4
	s_addc_u32 s9, s9, s5
	s_lshl_b32 s16, s14, 8
	s_load_b32 s18, s[8:9], 0x0
	s_waitcnt lgkmcnt(0)
	s_cmp_ge_i32 s16, s18
	s_cbranch_scc1 .LBB1174_2
; %bb.5:
	s_clause 0x1
	s_load_b128 s[8:11], s[0:1], 0x8
	s_load_b64 s[12:13], s[0:1], 0x20
	s_and_not1_b32 vcc_lo, exec_lo, s6
	s_cbranch_vccnz .LBB1174_7
; %bb.6:
	s_add_u32 s2, s2, s4
	s_addc_u32 s3, s3, s5
	s_load_b32 s3, s[2:3], 0x0
	s_branch .LBB1174_8
.LBB1174_7:
	s_mov_b32 s3, s34
.LBB1174_8:
	s_load_b128 s[4:7], s[0:1], 0x48
	v_lshrrev_b32_e32 v69, 5, v0
	v_bfe_u32 v66, v0, 4, 1
	v_and_b32_e32 v68, 15, v0
	v_and_b32_e32 v70, 31, v0
	;; [unrolled: 1-line block ×3, first 2 shown]
	s_mul_i32 s33, s15, 9
	v_lshl_or_b32 v1, v69, 1, v66
	v_lshlrev_b32_e32 v2, 3, v68
	v_cmp_gt_u32_e64 s2, 8, v68
	s_delay_alu instid0(VALU_DEP_3) | instskip(NEXT) | instid1(VALU_DEP_3)
	v_cmp_gt_u32_e32 vcc_lo, 9, v1
	v_lshlrev_b32_e32 v65, 1, v2
	s_delay_alu instid0(VALU_DEP_3)
	s_and_b32 s17, s2, vcc_lo
	s_waitcnt lgkmcnt(0)
	s_and_saveexec_b32 s7, s17
	s_cbranch_execz .LBB1174_10
; %bb.9:
	s_load_b64 s[20:21], s[0:1], 0x0
	v_add_lshl_u32 v2, v1, s33, 6
	s_mul_hi_i32 s23, s3, s4
	s_mul_i32 s22, s3, s4
	v_lshlrev_b32_e32 v6, 10, v68
	s_lshl_b64 s[22:23], s[22:23], 1
	v_ashrrev_i32_e32 v3, 31, v2
	v_lshlrev_b32_e32 v1, 6, v1
	v_lshlrev_b32_e32 v7, 10, v67
	v_and_b32_e32 v6, 0x3800, v6
	s_delay_alu instid0(VALU_DEP_4) | instskip(NEXT) | instid1(VALU_DEP_2)
	v_lshlrev_b64 v[2:3], 1, v[2:3]
	v_or3_b32 v1, v6, v7, v1
	s_waitcnt lgkmcnt(0)
	s_add_u32 s3, s20, s22
	s_addc_u32 s4, s21, s23
	s_delay_alu instid0(VALU_DEP_2) | instskip(SKIP_1) | instid1(VALU_DEP_2)
	v_add_co_u32 v2, vcc_lo, s3, v2
	v_add_co_ci_u32_e32 v3, vcc_lo, s4, v3, vcc_lo
	v_add_co_u32 v2, vcc_lo, v2, v65
	s_delay_alu instid0(VALU_DEP_2)
	v_add_co_ci_u32_e32 v3, vcc_lo, 0, v3, vcc_lo
	global_load_b128 v[2:5], v[2:3], off
	s_waitcnt vmcnt(0)
	ds_store_b128 v1, v[2:5]
.LBB1174_10:
	s_or_b32 exec_lo, exec_lo, s7
	v_and_b32_e32 v1, 0xef, v0
	s_add_i32 s3, s18, 31
	s_clause 0x1
	s_load_b32 s4, s[0:1], 0x38
	s_load_b32 s35, s[0:1], 0x98
	s_ashr_i32 s7, s3, 31
	v_add_nc_u32_e32 v1, s16, v1
	s_lshr_b32 s7, s7, 27
	s_load_b32 s19, s[0:1], 0x1c
	v_add_nc_u32_e32 v103, -9, v68
	s_add_i32 s3, s3, s7
	v_ashrrev_i32_e32 v2, 31, v1
	v_or_b32_e32 v3, 16, v1
	s_ashr_i32 s3, s3, 5
	v_cmp_gt_i32_e32 vcc_lo, s18, v1
	s_add_i32 s3, s3, -1
	v_lshrrev_b32_e32 v2, 27, v2
	s_waitcnt lgkmcnt(0)
	s_barrier
	buffer_gl0_inv
	s_mul_i32 s15, s15, s6
	v_add_nc_u32_e32 v4, v1, v2
	v_mbcnt_lo_u32_b32 v127, -1, 0
	s_mul_i32 s20, s34, s4
	s_delay_alu instid0(SALU_CYCLE_1) | instskip(NEXT) | instid1(VALU_DEP_2)
	s_ashr_i32 s21, s20, 31
	v_ashrrev_i32_e32 v4, 5, v4
	v_add_nc_u32_e32 v2, v3, v2
	s_lshl_b64 s[20:21], s[20:21], 2
	v_xor_b32_e32 v128, 16, v127
	s_add_u32 s17, s12, s20
	v_cndmask_b32_e32 v1, s3, v4, vcc_lo
	v_ashrrev_i32_e32 v2, 5, v2
	v_cmp_gt_i32_e32 vcc_lo, s18, v3
	s_addc_u32 s13, s13, s21
	s_ashr_i32 s20, s15, 31
	s_add_u32 s22, s8, s15
	s_addc_u32 s23, s9, s20
	v_cndmask_b32_e32 v3, s3, v2, vcc_lo
	v_ashrrev_i32_e32 v2, 31, v1
	s_lshl_b32 s6, s14, 3
	s_delay_alu instid0(SALU_CYCLE_1) | instskip(NEXT) | instid1(VALU_DEP_2)
	s_ashr_i32 s7, s6, 31
	v_ashrrev_i32_e32 v4, 31, v3
	s_delay_alu instid0(VALU_DEP_2) | instskip(SKIP_1) | instid1(SALU_CYCLE_1)
	v_lshlrev_b64 v[1:2], 2, v[1:2]
	s_lshl_b64 s[6:7], s[6:7], 2
	s_add_u32 s6, s17, s6
	s_delay_alu instid0(VALU_DEP_2) | instskip(SKIP_1) | instid1(VALU_DEP_2)
	v_lshlrev_b64 v[3:4], 2, v[3:4]
	s_addc_u32 s7, s13, s7
	v_add_co_u32 v1, vcc_lo, s17, v1
	v_add_co_ci_u32_e32 v2, vcc_lo, s13, v2, vcc_lo
	s_delay_alu instid0(VALU_DEP_3) | instskip(NEXT) | instid1(VALU_DEP_4)
	v_add_co_u32 v3, vcc_lo, s17, v3
	v_add_co_ci_u32_e32 v4, vcc_lo, s13, v4, vcc_lo
	s_clause 0x1
	global_load_b32 v5, v[1:2], off
	global_load_b32 v6, v[3:4], off
	s_or_b32 s4, s16, 32
	s_delay_alu instid0(SALU_CYCLE_1) | instskip(SKIP_2) | instid1(SALU_CYCLE_1)
	s_ashr_i32 s8, s4, 5
	s_cmp_lt_i32 s4, s18
	s_cselect_b32 s8, s8, s3
	s_ashr_i32 s9, s8, 31
	s_delay_alu instid0(SALU_CYCLE_1) | instskip(NEXT) | instid1(SALU_CYCLE_1)
	s_lshl_b64 s[8:9], s[8:9], 2
	s_add_u32 s8, s17, s8
	s_addc_u32 s9, s13, s9
	s_or_b32 s4, s16, 64
	s_delay_alu instid0(SALU_CYCLE_1) | instskip(SKIP_2) | instid1(SALU_CYCLE_1)
	s_ashr_i32 s12, s4, 5
	s_cmp_lt_i32 s4, s18
	s_cselect_b32 s24, s12, s3
	s_ashr_i32 s25, s24, 31
	s_delay_alu instid0(SALU_CYCLE_1) | instskip(NEXT) | instid1(SALU_CYCLE_1)
	s_lshl_b64 s[24:25], s[24:25], 2
	s_add_u32 s24, s17, s24
	s_addc_u32 s25, s13, s25
	;; [unrolled: 10-line block ×5, first 2 shown]
	s_clause 0x5
	s_load_b32 s12, s[6:7], 0x0
	s_load_b32 s4, s[8:9], 0x0
	;; [unrolled: 1-line block ×6, first 2 shown]
	s_or_b32 s21, s16, 0xc0
	s_waitcnt vmcnt(1)
	v_mad_i64_i32 v[1:2], null, v5, s5, s[22:23]
	v_lshlrev_b32_e32 v5, 4, v68
	s_waitcnt vmcnt(0)
	v_mad_i64_i32 v[3:4], null, v6, s5, s[22:23]
	s_ashr_i32 s22, s21, 5
	s_cmp_lt_i32 s21, s18
	s_delay_alu instid0(VALU_DEP_3) | instskip(NEXT) | instid1(VALU_DEP_4)
	v_add_co_u32 v1, vcc_lo, v1, v5
	v_add_co_ci_u32_e32 v2, vcc_lo, 0, v2, vcc_lo
	s_delay_alu instid0(VALU_DEP_3) | instskip(NEXT) | instid1(VALU_DEP_4)
	v_add_co_u32 v3, vcc_lo, v3, v5
	v_add_co_ci_u32_e32 v4, vcc_lo, 0, v4, vcc_lo
	s_clause 0x7
	global_load_b128 v[71:74], v[1:2], off
	global_load_b128 v[75:78], v[1:2], off offset:512
	global_load_b128 v[79:82], v[3:4], off offset:256
	global_load_b128 v[83:86], v[3:4], off offset:768
	global_load_b128 v[87:90], v[1:2], off offset:1024
	global_load_b128 v[91:94], v[1:2], off offset:1536
	global_load_b128 v[95:98], v[3:4], off offset:1280
	global_load_b128 v[99:102], v[3:4], off offset:1792
	s_cselect_b32 s22, s22, s3
	v_lshlrev_b32_e32 v1, 5, v68
	s_ashr_i32 s23, s22, 31
	v_cmp_gt_u32_e32 vcc_lo, 9, v68
	s_lshl_b64 s[22:23], s[22:23], 2
	s_delay_alu instid0(SALU_CYCLE_1)
	s_add_u32 s22, s17, s22
	s_addc_u32 s23, s13, s23
	s_or_b32 s21, s16, 0xe0
	v_lshl_or_b32 v1, v69, 9, v1
	s_ashr_i32 s24, s21, 5
	s_cmp_lt_i32 s21, s18
	v_cndmask_b32_e32 v103, v103, v68, vcc_lo
	s_cselect_b32 s24, s24, s3
	s_load_b32 s3, s[22:23], 0x0
	s_ashr_i32 s25, s24, 31
	v_cmp_gt_i32_e32 vcc_lo, 32, v128
	s_lshl_b64 s[24:25], s[24:25], 2
	v_lshlrev_b32_e32 v115, 6, v103
	s_add_u32 s22, s17, s24
	s_addc_u32 s23, s13, s25
	v_cndmask_b32_e32 v136, v127, v128, vcc_lo
	s_add_u32 s10, s10, s15
	s_addc_u32 s11, s11, s20
	v_add_co_u32 v1, s10, s10, v1
	s_delay_alu instid0(VALU_DEP_1) | instskip(SKIP_2) | instid1(VALU_DEP_1)
	v_add_co_ci_u32_e64 v2, null, s11, 0, s10
	s_load_b32 s10, s[22:23], 0x0
	s_waitcnt lgkmcnt(0)
	v_mad_i64_i32 v[3:4], null, s12, s5, v[1:2]
	v_mad_i64_i32 v[9:10], null, s7, s5, v[1:2]
	;; [unrolled: 1-line block ×7, first 2 shown]
	s_clause 0x5
	global_load_b128 v[49:52], v[3:4], off
	global_load_b128 v[53:56], v[3:4], off offset:16
	global_load_b128 v[41:44], v[5:6], off
	global_load_b128 v[45:48], v[5:6], off offset:16
	;; [unrolled: 2-line block ×3, first 2 shown]
	s_mov_b32 s4, 0
	v_mad_i64_i32 v[61:62], null, s10, s5, v[1:2]
	s_clause 0x9
	global_load_b128 v[1:4], v[9:10], off
	global_load_b128 v[5:8], v[9:10], off offset:16
	global_load_b128 v[9:12], v[13:14], off
	global_load_b128 v[13:16], v[13:14], off offset:16
	;; [unrolled: 2-line block ×5, first 2 shown]
	s_mov_b32 s5, s4
	s_mov_b32 s6, s4
	;; [unrolled: 1-line block ×7, first 2 shown]
	v_and_b32_e32 v104, 0xe0, v0
	v_dual_mov_b32 v126, s11 :: v_dual_mov_b32 v125, s10
	v_dual_mov_b32 v124, s9 :: v_dual_mov_b32 v123, s8
	s_delay_alu instid0(VALU_DEP_3)
	v_add_nc_u32_e32 v111, s16, v104
	ds_load_b128 v[103:106], v115
	ds_load_b128 v[107:110], v115 offset:1024
	v_dual_mov_b32 v122, s7 :: v_dual_mov_b32 v121, s6
	v_mov_b32_e32 v120, s5
	v_or_b32_e32 v135, v111, v66
	ds_load_b128 v[111:114], v115 offset:2048
	ds_load_b128 v[115:118], v115 offset:3072
	v_mov_b32_e32 v119, s4
	s_waitcnt vmcnt(0) lgkmcnt(0)
	s_barrier
	v_or_b32_e32 v137, 2, v135
	v_or_b32_e32 v138, 4, v135
	;; [unrolled: 1-line block ×3, first 2 shown]
	v_cmp_gt_i32_e32 vcc_lo, s18, v135
	v_or_b32_e32 v140, 8, v135
	v_cmp_gt_i32_e64 s3, s18, v137
	v_or_b32_e32 v141, 10, v135
	v_cmp_gt_i32_e64 s4, s18, v138
	v_cmp_gt_i32_e64 s5, s18, v139
	v_or_b32_e32 v142, 12, v135
	v_or_b32_e32 v143, 14, v135
	v_cmp_gt_i32_e64 s6, s18, v140
	v_cmp_gt_i32_e64 s7, s18, v141
	v_or_b32_e32 v144, 16, v135
	v_or_b32_e32 v145, 18, v135
	v_cmp_gt_i32_e64 s8, s18, v142
	v_cmp_gt_i32_e64 s9, s18, v143
	buffer_gl0_inv
	v_cmp_gt_i32_e64 s10, s18, v144
	v_cmp_gt_i32_e64 s11, s18, v145
	v_wmma_f32_16x16x16_f16 v[127:134], v[71:78], v[103:110], v[119:126]
	v_wmma_f32_16x16x16_f16 v[119:126], v[79:86], v[103:110], v[119:126]
	v_or_b32_e32 v71, 20, v135
	v_or_b32_e32 v72, 22, v135
	s_delay_alu instid0(VALU_DEP_4)
	v_wmma_f32_16x16x16_f16 v[127:134], v[87:94], v[111:118], v[127:134]
	v_or_b32_e32 v73, 24, v135
	v_wmma_f32_16x16x16_f16 v[119:126], v[95:102], v[111:118], v[119:126]
	v_or_b32_e32 v74, 26, v135
	v_cmp_gt_i32_e64 s12, s18, v71
	v_dual_mul_f32 v83, s19, v128 :: v_dual_mul_f32 v84, s19, v127
	s_delay_alu instid0(VALU_DEP_4) | instskip(SKIP_1) | instid1(VALU_DEP_3)
	v_dual_mul_f32 v81, s19, v130 :: v_dual_mul_f32 v92, s19, v119
	v_mul_f32_e32 v82, s19, v129
	v_cndmask_b32_e64 v83, 0xff7fffff, v83, s3
	s_delay_alu instid0(VALU_DEP_4)
	v_cndmask_b32_e32 v84, 0xff7fffff, v84, vcc_lo
	v_dual_mul_f32 v79, s19, v132 :: v_dual_mul_f32 v90, s19, v121
	v_mul_f32_e32 v80, s19, v131
	v_cndmask_b32_e64 v82, 0xff7fffff, v82, s4
	v_cndmask_b32_e64 v81, 0xff7fffff, v81, s5
	v_max3_f32 v83, v84, 0xff7fffff, v83
	v_dual_mul_f32 v77, s19, v134 :: v_dual_mul_f32 v88, s19, v123
	v_mul_f32_e32 v78, s19, v133
	v_cndmask_b32_e64 v80, 0xff7fffff, v80, s6
	v_cndmask_b32_e64 v79, 0xff7fffff, v79, s7
	v_max3_f32 v81, v83, v82, v81
	v_mul_f32_e32 v91, s19, v120
	v_cndmask_b32_e64 v78, 0xff7fffff, v78, s8
	v_cndmask_b32_e64 v77, 0xff7fffff, v77, s9
	v_mul_f32_e32 v89, s19, v122
	v_max3_f32 v79, v81, v80, v79
	v_cndmask_b32_e64 v80, 0xff7fffff, v92, s10
	v_cndmask_b32_e64 v81, 0xff7fffff, v91, s11
	v_cmp_gt_i32_e64 s13, s18, v72
	v_or_b32_e32 v75, 28, v135
	v_max3_f32 v77, v79, v78, v77
	v_or_b32_e32 v76, 30, v135
	v_mul_f32_e32 v87, s19, v124
	v_cndmask_b32_e64 v71, 0xff7fffff, v90, s12
	v_cndmask_b32_e64 v72, 0xff7fffff, v89, s13
	v_max3_f32 v77, v77, v80, v81
	v_cmp_gt_i32_e64 s15, s18, v73
	v_cmp_gt_i32_e64 s16, s18, v74
	v_dual_mul_f32 v85, s19, v126 :: v_dual_mul_f32 v86, s19, v125
	s_delay_alu instid0(VALU_DEP_4) | instskip(NEXT) | instid1(VALU_DEP_4)
	v_max3_f32 v71, v77, v71, v72
	v_cndmask_b32_e64 v73, 0xff7fffff, v88, s15
	s_delay_alu instid0(VALU_DEP_4) | instskip(SKIP_2) | instid1(VALU_DEP_3)
	v_cndmask_b32_e64 v74, 0xff7fffff, v87, s16
	v_cmp_gt_i32_e64 s17, s18, v75
	v_cmp_gt_i32_e64 s18, s18, v76
	v_max3_f32 v71, v71, v73, v74
	s_delay_alu instid0(VALU_DEP_3) | instskip(NEXT) | instid1(VALU_DEP_3)
	v_cndmask_b32_e64 v72, 0xff7fffff, v86, s17
	v_cndmask_b32_e64 v75, 0xff7fffff, v85, s18
	v_lshlrev_b32_e32 v73, 2, v136
	s_delay_alu instid0(VALU_DEP_2) | instskip(SKIP_3) | instid1(VALU_DEP_1)
	v_max3_f32 v71, v71, v72, v75
	ds_bpermute_b32 v72, v73, v71
	s_waitcnt lgkmcnt(0)
	v_max_f32_e32 v72, v72, v72
	v_max_f32_e32 v71, v71, v72
	s_delay_alu instid0(VALU_DEP_1)
	v_fma_f32 v72, s19, v127, -v71
	v_fma_f32 v74, s19, v128, -v71
	;; [unrolled: 1-line block ×5, first 2 shown]
	v_mul_f32_e32 v72, 0x3fb8aa3b, v72
	v_mul_f32_e32 v74, 0x3fb8aa3b, v74
	v_fma_f32 v80, s19, v133, -v71
	s_delay_alu instid0(VALU_DEP_4) | instskip(NEXT) | instid1(VALU_DEP_4)
	v_dual_mul_f32 v76, 0x3fb8aa3b, v76 :: v_dual_mul_f32 v77, 0x3fb8aa3b, v77
	v_exp_f32_e32 v72, v72
	s_delay_alu instid0(VALU_DEP_3) | instskip(NEXT) | instid1(VALU_DEP_2)
	v_exp_f32_e32 v74, v74
	v_mul_f32_e32 v82, 0x3fb8aa3b, v80
	s_delay_alu instid0(VALU_DEP_2) | instskip(SKIP_1) | instid1(VALU_DEP_1)
	v_exp_f32_e32 v76, v76
	v_exp_f32_e32 v77, v77
	;; [unrolled: 1-line block ×3, first 2 shown]
	v_cndmask_b32_e32 v79, 0, v72, vcc_lo
	v_fma_f32 v72, s19, v132, -v71
	v_mul_f32_e32 v75, 0x3fb8aa3b, v75
	v_cndmask_b32_e64 v78, 0, v74, s3
	s_delay_alu instid0(TRANS32_DEP_3)
	v_cndmask_b32_e64 v80, 0, v76, s5
	v_add_f32_e32 v74, 0, v79
	v_mul_f32_e32 v72, 0x3fb8aa3b, v72
	v_exp_f32_e32 v75, v75
	v_cndmask_b32_e64 v83, 0, v77, s6
	v_cndmask_b32_e64 v85, 0, v84, s8
	v_add_f32_e32 v74, v74, v78
	v_exp_f32_e32 v72, v72
	v_cmp_gt_u32_e64 s3, 16, v70
	s_waitcnt_depctr 0xfff
	v_cndmask_b32_e64 v81, 0, v75, s4
	v_cndmask_b32_e64 v82, 0, v72, s7
	s_delay_alu instid0(VALU_DEP_2) | instskip(NEXT) | instid1(VALU_DEP_1)
	v_add_f32_e32 v74, v74, v81
	v_add_f32_e32 v74, v74, v80
	s_delay_alu instid0(VALU_DEP_1) | instskip(SKIP_4) | instid1(VALU_DEP_4)
	v_add_f32_e32 v72, v74, v83
	v_fma_f32 v75, s19, v134, -v71
	v_fma_f32 v76, s19, v119, -v71
	v_fma_f32 v77, s19, v120, -v71
	v_fma_f32 v74, s19, v121, -v71
	v_dual_add_f32 v72, v72, v82 :: v_dual_mul_f32 v75, 0x3fb8aa3b, v75
	s_delay_alu instid0(VALU_DEP_3) | instskip(SKIP_1) | instid1(VALU_DEP_3)
	v_dual_mul_f32 v76, 0x3fb8aa3b, v76 :: v_dual_mul_f32 v77, 0x3fb8aa3b, v77
	v_fma_f32 v86, s19, v122, -v71
	v_add_f32_e32 v72, v72, v85
	s_delay_alu instid0(VALU_DEP_4) | instskip(NEXT) | instid1(VALU_DEP_3)
	v_exp_f32_e32 v75, v75
	v_exp_f32_e32 v76, v76
	;; [unrolled: 1-line block ×3, first 2 shown]
	v_mul_f32_e32 v86, 0x3fb8aa3b, v86
	s_delay_alu instid0(VALU_DEP_1) | instskip(SKIP_3) | instid1(TRANS32_DEP_3)
	v_exp_f32_e32 v88, v86
	v_cndmask_b32_e64 v84, 0, v75, s9
	v_fma_f32 v75, s19, v123, -v71
	v_mul_f32_e32 v74, 0x3fb8aa3b, v74
	v_cndmask_b32_e64 v87, 0, v76, s10
	v_fma_f32 v76, s19, v124, -v71
	s_delay_alu instid0(VALU_DEP_4) | instskip(NEXT) | instid1(VALU_DEP_4)
	v_dual_add_f32 v72, v72, v84 :: v_dual_mul_f32 v75, 0x3fb8aa3b, v75
	v_exp_f32_e32 v74, v74
	v_cndmask_b32_e64 v86, 0, v77, s11
	v_fma_f32 v77, s19, v125, -v71
	s_delay_alu instid0(VALU_DEP_3) | instskip(SKIP_3) | instid1(VALU_DEP_3)
	v_add_f32_e32 v72, v72, v87
	v_mul_f32_e32 v76, 0x3fb8aa3b, v76
	v_exp_f32_e32 v75, v75
	v_cndmask_b32_e64 v88, 0, v88, s13
	v_add_f32_e32 v72, v72, v86
	s_delay_alu instid0(VALU_DEP_3) | instskip(NEXT) | instid1(TRANS32_DEP_3)
	v_exp_f32_e32 v76, v76
	v_cndmask_b32_e64 v89, 0, v74, s12
	v_mul_f32_e32 v74, 0x3fb8aa3b, v77
	v_fma_f32 v77, s19, v126, -v71
	s_delay_alu instid0(VALU_DEP_3) | instskip(NEXT) | instid1(VALU_DEP_3)
	v_add_f32_e32 v72, v72, v89
	v_exp_f32_e32 v74, v74
	s_delay_alu instid0(TRANS32_DEP_3) | instskip(NEXT) | instid1(VALU_DEP_3)
	v_cndmask_b32_e64 v91, 0, v75, s15
	v_mul_f32_e32 v75, 0x3fb8aa3b, v77
	s_delay_alu instid0(TRANS32_DEP_2) | instskip(SKIP_1) | instid1(VALU_DEP_3)
	v_cndmask_b32_e64 v90, 0, v76, s16
	v_add_f32_e32 v72, v72, v88
	v_exp_f32_e32 v75, v75
	s_delay_alu instid0(VALU_DEP_1) | instskip(NEXT) | instid1(TRANS32_DEP_2)
	v_add_f32_e32 v72, v72, v91
	v_cndmask_b32_e64 v93, 0, v74, s17
	s_delay_alu instid0(VALU_DEP_2) | instskip(SKIP_3) | instid1(VALU_DEP_1)
	v_add_f32_e32 v72, v72, v90
	s_waitcnt_depctr 0xfff
	v_cndmask_b32_e64 v92, 0, v75, s18
	v_add_f32_e32 v72, v72, v93
	v_add_f32_e32 v72, v72, v92
	ds_bpermute_b32 v73, v73, v72
	s_and_saveexec_b32 s4, s3
	s_cbranch_execz .LBB1174_12
; %bb.11:
	v_mul_u32_u24_e32 v70, 0x44, v69
	s_waitcnt lgkmcnt(0)
	v_add_f32_e32 v72, v72, v73
	s_delay_alu instid0(VALU_DEP_2) | instskip(NEXT) | instid1(VALU_DEP_1)
	v_lshl_add_u32 v70, v68, 2, v70
	v_add_nc_u32_e32 v70, 0x4000, v70
	ds_store_2addr_b32 v70, v71, v72 offset1:136
.LBB1174_12:
	s_or_b32 exec_lo, exec_lo, s4
	v_lshlrev_b32_e32 v70, 2, v68
	s_load_b32 s36, s[0:1], 0x94
	s_waitcnt lgkmcnt(0)
	s_barrier
	buffer_gl0_inv
	v_add_nc_u32_e32 v98, 0x4000, v70
	v_cmp_eq_u32_e32 vcc_lo, 1, v69
	v_cmp_eq_u32_e64 s4, 2, v69
	v_cmp_eq_u32_e64 s5, 3, v69
	;; [unrolled: 1-line block ×3, first 2 shown]
	ds_load_2addr_b32 v[70:71], v98 offset1:17
	ds_load_2addr_b32 v[72:73], v98 offset0:34 offset1:51
	ds_load_2addr_b32 v[74:75], v98 offset0:68 offset1:85
	;; [unrolled: 1-line block ×3, first 2 shown]
	v_cmp_eq_u32_e64 s7, 5, v69
	v_cmp_eq_u32_e64 s8, 7, v69
	s_waitcnt lgkmcnt(3)
	v_max3_f32 v76, v70, 0xff7fffff, v71
	s_waitcnt lgkmcnt(2)
	s_delay_alu instid0(VALU_DEP_1) | instskip(SKIP_1) | instid1(VALU_DEP_1)
	v_max3_f32 v76, v76, v72, v73
	s_waitcnt lgkmcnt(1)
	v_max3_f32 v76, v76, v74, v75
	s_waitcnt lgkmcnt(0)
	s_delay_alu instid0(VALU_DEP_1) | instskip(NEXT) | instid1(VALU_DEP_1)
	v_max3_f32 v76, v76, v94, v95
	v_sub_f32_e32 v77, v71, v76
	ds_load_2addr_b32 v[96:97], v98 offset0:136 offset1:153
	v_sub_f32_e32 v74, v74, v76
	v_sub_f32_e32 v70, v70, v76
	;; [unrolled: 1-line block ×3, first 2 shown]
	v_dual_sub_f32 v72, v72, v76 :: v_dual_mul_f32 v77, 0x3fb8aa3b, v77
	s_delay_alu instid0(VALU_DEP_4) | instskip(NEXT) | instid1(VALU_DEP_4)
	v_mul_f32_e32 v103, 0x3fb8aa3b, v74
	v_mul_f32_e32 v99, 0x3fb8aa3b, v70
	ds_load_2addr_b32 v[70:71], v98 offset0:170 offset1:187
	v_dual_mul_f32 v101, 0x3fb8aa3b, v72 :: v_dual_mul_f32 v94, 0x3fb8aa3b, v94
	v_exp_f32_e32 v102, v77
	v_exp_f32_e32 v99, v99
	s_delay_alu instid0(VALU_DEP_1) | instskip(NEXT) | instid1(VALU_DEP_1)
	v_exp_f32_e32 v101, v101
	v_exp_f32_e32 v94, v94
	s_waitcnt lgkmcnt(1)
	s_delay_alu instid0(TRANS32_DEP_3)
	v_fma_f32 v77, v99, v96, 0
	v_sub_f32_e32 v100, v73, v76
	ds_load_2addr_b32 v[72:73], v98 offset0:204 offset1:221
	v_fmac_f32_e32 v77, v102, v97
	v_exp_f32_e32 v97, v103
	s_waitcnt lgkmcnt(1)
	s_delay_alu instid0(VALU_DEP_1)
	v_dual_fmac_f32 v77, v101, v70 :: v_dual_sub_f32 v96, v75, v76
	ds_load_2addr_b32 v[74:75], v98 offset0:238 offset1:255
	v_sub_f32_e32 v70, v95, v76
	s_waitcnt lgkmcnt(0)
	s_barrier
	v_mul_f32_e32 v96, 0x3fb8aa3b, v96
	buffer_gl0_inv
	v_exp_f32_e32 v95, v96
	v_mul_f32_e32 v100, 0x3fb8aa3b, v100
	s_delay_alu instid0(VALU_DEP_1) | instskip(SKIP_3) | instid1(VALU_DEP_2)
	v_exp_f32_e32 v100, v100
	s_waitcnt_depctr 0xfff
	v_dual_fmac_f32 v77, v100, v71 :: v_dual_mul_f32 v70, 0x3fb8aa3b, v70
	v_cndmask_b32_e32 v71, v99, v102, vcc_lo
	v_fmac_f32_e32 v77, v97, v72
	s_delay_alu instid0(VALU_DEP_3) | instskip(NEXT) | instid1(VALU_DEP_1)
	v_exp_f32_e32 v96, v70
	v_fmac_f32_e32 v77, v95, v73
	s_delay_alu instid0(VALU_DEP_1) | instskip(SKIP_2) | instid1(VALU_DEP_1)
	v_fmac_f32_e32 v77, v94, v74
	s_waitcnt_depctr 0xfff
	v_fmac_f32_e32 v77, v96, v75
	v_add_f32_e32 v74, 0x358637bd, v77
	s_delay_alu instid0(VALU_DEP_1) | instskip(SKIP_1) | instid1(VALU_DEP_2)
	v_div_scale_f32 v98, null, v74, v74, 1.0
	v_div_scale_f32 v99, vcc_lo, 1.0, v74, 1.0
	v_rcp_f32_e32 v103, v98
	s_waitcnt_depctr 0xfff
	v_fma_f32 v70, -v98, v103, 1.0
	s_delay_alu instid0(VALU_DEP_1) | instskip(SKIP_2) | instid1(VALU_DEP_2)
	v_fmac_f32_e32 v103, v70, v103
	v_cndmask_b32_e64 v70, v71, v101, s4
	v_cmp_eq_u32_e64 s4, 6, v69
	v_cndmask_b32_e64 v71, v70, v100, s5
	s_delay_alu instid0(VALU_DEP_4) | instskip(NEXT) | instid1(VALU_DEP_2)
	v_dual_mul_f32 v101, v99, v103 :: v_dual_lshlrev_b32 v70, 2, v66
	v_cndmask_b32_e64 v71, v71, v97, s6
	s_delay_alu instid0(VALU_DEP_2) | instskip(NEXT) | instid1(VALU_DEP_3)
	v_or_b32_e32 v72, 1, v70
	v_fma_f32 v100, -v98, v101, v99
	v_cmp_eq_u32_e64 s5, 1, v70
	v_cmp_eq_u32_e64 s6, 2, v70
	v_cndmask_b32_e64 v95, v71, v95, s7
	v_or_b32_e32 v71, 3, v70
	v_fmac_f32_e32 v101, v100, v103
	v_cmp_eq_u32_e64 s10, 1, v72
	v_cmp_eq_u32_e64 s13, 2, v72
	v_cndmask_b32_e64 v94, v95, v94, s4
	v_cmp_eq_u32_e64 s12, 1, v71
	v_fma_f32 v97, -v98, v101, v99
	v_cmp_eq_u32_e64 s17, 2, v71
	v_cmp_eq_u32_e64 s15, 3, v72
	v_cndmask_b32_e64 v94, v94, v96, s8
	v_cmp_eq_u32_e64 s19, 3, v71
	v_div_fmas_f32 v95, v97, v103, v101
	v_cmp_eq_u32_e32 vcc_lo, 3, v70
	v_cmp_eq_u32_e64 s4, 4, v70
	v_cmp_eq_u32_e64 s20, 4, v72
	;; [unrolled: 1-line block ×3, first 2 shown]
	v_div_fixup_f32 v95, v95, v74, 1.0
	v_lshlrev_b32_e32 v73, 6, v68
	v_cmp_eq_u32_e64 s7, 5, v70
	v_cmp_eq_u32_e64 s21, 5, v72
	;; [unrolled: 1-line block ×3, first 2 shown]
	v_mul_f32_e32 v102, v94, v95
	v_lshl_or_b32 v75, v69, 11, v73
	v_or_b32_e32 v69, 2, v70
	v_cmp_eq_u32_e64 s26, 6, v72
	v_cmp_eq_u32_e64 s28, 6, v71
	v_fma_mixlo_f16 v94, v102, v79, 0
	v_fma_mixlo_f16 v95, v102, v81, 0
	v_fma_mixlo_f16 v96, v102, v83, 0
	v_fma_mixlo_f16 v97, v102, v85, 0
	v_fma_mixlo_f16 v98, v102, v87, 0
	v_fma_mixlo_f16 v99, v102, v89, 0
	v_fma_mixlo_f16 v100, v102, v91, 0
	v_fma_mixlo_f16 v101, v102, v93, 0
	v_lshl_or_b32 v74, v66, 4, v75
	v_fma_mixhi_f16 v94, v102, v78, 0
	v_fma_mixhi_f16 v95, v102, v80, 0
	;; [unrolled: 1-line block ×8, first 2 shown]
	ds_store_b128 v74, v[94:97]
	ds_store_b128 v74, v[98:101] offset:1024
	s_waitcnt lgkmcnt(0)
	s_barrier
	buffer_gl0_inv
	ds_load_b128 v[78:81], v75
	ds_load_b128 v[82:85], v75 offset:16
	ds_load_b128 v[86:89], v75 offset:1024
	;; [unrolled: 1-line block ×3, first 2 shown]
	v_cmp_eq_u32_e64 s11, 1, v69
	v_cmp_eq_u32_e64 s16, 2, v69
	;; [unrolled: 1-line block ×11, first 2 shown]
	s_waitcnt lgkmcnt(3)
	v_lshrrev_b32_e32 v94, 16, v78
	s_waitcnt lgkmcnt(2)
	v_lshrrev_b32_e32 v98, 16, v82
	;; [unrolled: 2-line block ×4, first 2 shown]
	v_lshrrev_b32_e32 v95, 16, v79
	v_cndmask_b32_e64 v110, v78, v94, s5
	v_cndmask_b32_e64 v111, v82, v98, s5
	;; [unrolled: 1-line block ×8, first 2 shown]
	v_lshrrev_b32_e32 v99, 16, v83
	v_cndmask_b32_e64 v94, v86, v102, s5
	v_cndmask_b32_e64 v98, v90, v106, s5
	;; [unrolled: 1-line block ×15, first 2 shown]
	v_lshrrev_b32_e32 v103, 16, v87
	v_lshrrev_b32_e32 v107, 16, v91
	v_cndmask_b32_e64 v113, v115, v83, s16
	v_cndmask_b32_e64 v82, v94, v87, s6
	;; [unrolled: 1-line block ×7, first 2 shown]
	v_cndmask_b32_e32 v90, v102, v95, vcc_lo
	v_cndmask_b32_e32 v102, v106, v99, vcc_lo
	v_cndmask_b32_e64 v106, v110, v95, s15
	v_cndmask_b32_e64 v110, v111, v99, s15
	;; [unrolled: 1-line block ×4, first 2 shown]
	v_lshrrev_b32_e32 v96, 16, v80
	v_lshrrev_b32_e32 v100, 16, v84
	v_cndmask_b32_e64 v111, v112, v95, s18
	v_cndmask_b32_e64 v112, v113, v99, s18
	v_cndmask_b32_e32 v82, v82, v103, vcc_lo
	v_cndmask_b32_e32 v83, v83, v107, vcc_lo
	v_cndmask_b32_e64 v94, v94, v103, s15
	v_cndmask_b32_e64 v90, v90, v80, s4
	;; [unrolled: 1-line block ×7, first 2 shown]
	v_lshrrev_b32_e32 v104, 16, v88
	v_cndmask_b32_e64 v106, v111, v80, s22
	v_cndmask_b32_e64 v110, v112, v84, s22
	;; [unrolled: 1-line block ×11, first 2 shown]
	v_lshrrev_b32_e32 v97, 16, v81
	v_lshrrev_b32_e32 v101, 16, v85
	v_cndmask_b32_e64 v99, v106, v96, s24
	v_cndmask_b32_e64 v102, v110, v100, s24
	;; [unrolled: 1-line block ×7, first 2 shown]
	v_lshrrev_b32_e32 v105, 16, v89
	v_cndmask_b32_e64 v80, v80, v104, s7
	v_cndmask_b32_e64 v84, v84, v81, s8
	v_cndmask_b32_e64 v90, v90, v85, s8
	v_cndmask_b32_e64 v96, v99, v81, s27
	v_cndmask_b32_e64 v99, v102, v85, s27
	v_cndmask_b32_e64 v81, v83, v89, s26
	v_cndmask_b32_e64 v85, v94, v97, s31
	v_cndmask_b32_e64 v78, v78, v97, s30
	v_cndmask_b32_e64 v79, v79, v101, s30
	v_cndmask_b32_e64 v95, v95, v101, s31
	v_cndmask_b32_e64 v80, v80, v89, s8
	v_cndmask_b32_e64 v83, v84, v97, s9
	v_cndmask_b32_e64 v84, v90, v101, s9
	v_cndmask_b32_e64 v90, v96, v97, s29
	v_cndmask_b32_e64 v94, v99, v101, s29
	v_cndmask_b32_e64 v97, v81, v105, s31
	v_perm_b32 v81, v79, v78, 0x5040100
	v_perm_b32 v79, v95, v85, 0x5040100
	v_cndmask_b32_e64 v78, v119, v91, s16
	v_cndmask_b32_e64 v85, v117, v91, s13
	;; [unrolled: 1-line block ×3, first 2 shown]
	v_perm_b32 v80, v94, v90, 0x5040100
	v_cndmask_b32_e64 v90, v98, v103, s18
	v_cndmask_b32_e64 v86, v86, v103, s19
	;; [unrolled: 1-line block ×5, first 2 shown]
	v_lshrrev_b32_e32 v108, 16, v92
	v_cndmask_b32_e64 v90, v90, v88, s22
	v_cndmask_b32_e64 v86, v86, v88, s23
	;; [unrolled: 1-line block ×11, first 2 shown]
	v_lshrrev_b32_e32 v109, 16, v93
	v_cndmask_b32_e64 v82, v82, v93, s8
	v_cndmask_b32_e64 v88, v88, v89, s27
	;; [unrolled: 1-line block ×12, first 2 shown]
	v_perm_b32 v78, v84, v83, 0x5040100
	v_perm_b32 v85, v87, v86, 0x5040100
	;; [unrolled: 1-line block ×5, first 2 shown]
	s_mul_i32 s9, s35, 9
	s_mov_b32 s4, exec_lo
	ds_store_b128 v74, v[78:81]
	ds_store_b128 v74, v[82:85] offset:1024
	v_cmpx_gt_u32_e32 9, v0
	s_cbranch_execz .LBB1174_14
; %bb.13:
	s_mul_i32 s5, s9, s34
	s_load_b128 s[16:19], s[0:1], 0x58
	v_add3_u32 v68, s5, s33, v68
	s_delay_alu instid0(VALU_DEP_1) | instskip(NEXT) | instid1(VALU_DEP_1)
	v_mad_u64_u32 v[78:79], null, v68, s36, s[14:15]
	v_ashrrev_i32_e32 v79, 31, v78
	s_delay_alu instid0(VALU_DEP_1) | instskip(SKIP_1) | instid1(VALU_DEP_1)
	v_lshlrev_b64 v[78:79], 2, v[78:79]
	s_waitcnt lgkmcnt(0)
	v_add_co_u32 v80, vcc_lo, s18, v78
	s_delay_alu instid0(VALU_DEP_2)
	v_add_co_ci_u32_e32 v81, vcc_lo, s19, v79, vcc_lo
	v_add_co_u32 v78, vcc_lo, s16, v78
	v_add_co_ci_u32_e32 v79, vcc_lo, s17, v79, vcc_lo
	global_store_b32 v[80:81], v76, off
	global_store_b32 v[78:79], v77, off
.LBB1174_14:
	s_or_b32 exec_lo, exec_lo, s4
	s_waitcnt lgkmcnt(0)
	s_waitcnt_vscnt null, 0x0
	s_barrier
	buffer_gl0_inv
	ds_load_b128 v[84:87], v73
	ds_load_b128 v[88:91], v73 offset:16
	ds_load_b128 v[96:99], v73 offset:2064
	ds_load_b128 v[92:95], v73 offset:2048
	ds_load_b128 v[104:107], v73 offset:4112
	ds_load_b128 v[100:103], v73 offset:4096
	v_cmp_eq_u32_e32 vcc_lo, 1, v70
	v_mov_b32_e32 v76, 0
	ds_load_b128 v[112:115], v73 offset:6160
	ds_load_b128 v[108:111], v73 offset:6144
	;; [unrolled: 1-line block ×4, first 2 shown]
	v_cmp_eq_u32_e64 s5, 1, v69
	v_cmp_eq_u32_e64 s4, 1, v72
	;; [unrolled: 1-line block ×3, first 2 shown]
	v_mov_b32_e32 v77, v76
	v_mov_b32_e32 v78, v76
	;; [unrolled: 1-line block ×7, first 2 shown]
	v_cmp_eq_u32_e64 s7, 3, v72
	v_cmp_eq_u32_e64 s8, 7, v72
	s_waitcnt lgkmcnt(8)
	s_delay_alu instid0(VALU_DEP_3)
	v_wmma_f32_16x16x16_f16 v[76:83], v[49:56], v[84:91], v[76:83]
	ds_load_b128 v[53:56], v73 offset:10256
	ds_load_b128 v[49:52], v73 offset:10240
	s_waitcnt lgkmcnt(8)
	v_wmma_f32_16x16x16_f16 v[76:83], v[41:48], v[92:99], v[76:83]
	ds_load_b128 v[45:48], v73 offset:12304
	ds_load_b128 v[41:44], v73 offset:12288
	s_waitcnt lgkmcnt(8)
	;; [unrolled: 4-line block ×3, first 2 shown]
	s_barrier
	buffer_gl0_inv
	v_wmma_f32_16x16x16_f16 v[76:83], v[1:8], v[108:115], v[76:83]
	s_delay_alu instid0(VALU_DEP_1) | instskip(NEXT) | instid1(VALU_DEP_1)
	v_wmma_f32_16x16x16_f16 v[76:83], v[9:16], v[116:123], v[76:83]
	v_wmma_f32_16x16x16_f16 v[76:83], v[17:24], v[49:56], v[76:83]
	s_delay_alu instid0(VALU_DEP_1) | instskip(NEXT) | instid1(VALU_DEP_1)
	v_wmma_f32_16x16x16_f16 v[76:83], v[25:32], v[41:48], v[76:83]
	v_wmma_f32_16x16x16_f16 v[76:83], v[57:64], v[33:40], v[76:83]
	s_delay_alu instid0(VALU_DEP_1) | instskip(NEXT) | instid1(VALU_DEP_2)
	v_cvt_f16_f32_e32 v1, v76
	v_cvt_f16_f32_e32 v2, v77
	s_delay_alu instid0(VALU_DEP_3) | instskip(NEXT) | instid1(VALU_DEP_4)
	v_cvt_f16_f32_e32 v3, v78
	v_cvt_f16_f32_e32 v4, v79
	;; [unrolled: 1-line block ×6, first 2 shown]
	v_pack_b32_f16 v1, v1, v2
	v_pack_b32_f16 v2, v3, v4
	v_pack_b32_f16 v3, v5, v6
	s_delay_alu instid0(VALU_DEP_4)
	v_pack_b32_f16 v4, v7, v8
	ds_store_b128 v74, v[1:4]
	s_waitcnt lgkmcnt(0)
	s_barrier
	buffer_gl0_inv
	ds_load_b128 v[1:4], v75
	ds_load_b128 v[5:8], v75 offset:16
	s_waitcnt lgkmcnt(1)
	v_lshrrev_b32_e32 v9, 16, v1
	s_waitcnt lgkmcnt(0)
	v_lshrrev_b32_e32 v13, 16, v5
	v_lshrrev_b32_e32 v10, 16, v2
	v_lshrrev_b32_e32 v14, 16, v6
	v_lshrrev_b32_e32 v11, 16, v3
	v_cndmask_b32_e32 v17, v1, v9, vcc_lo
	v_cndmask_b32_e32 v18, v5, v13, vcc_lo
	v_cndmask_b32_e64 v21, v1, v9, s5
	v_cmp_eq_u32_e32 vcc_lo, 1, v71
	v_cndmask_b32_e64 v22, v5, v13, s5
	v_cmp_eq_u32_e64 s5, 2, v70
	v_cndmask_b32_e64 v19, v1, v9, s4
	v_cndmask_b32_e64 v20, v5, v13, s4
	v_cndmask_b32_e32 v1, v1, v9, vcc_lo
	v_cmp_eq_u32_e64 s4, 2, v71
	v_cndmask_b32_e32 v5, v5, v13, vcc_lo
	v_cndmask_b32_e64 v9, v17, v2, s5
	v_cmp_eq_u32_e32 vcc_lo, 3, v70
	v_cndmask_b32_e64 v13, v18, v6, s5
	v_cmp_eq_u32_e64 s5, 2, v69
	v_cndmask_b32_e64 v17, v19, v2, s6
	v_cndmask_b32_e64 v18, v20, v6, s6
	v_cmp_eq_u32_e64 s6, 3, v69
	v_cndmask_b32_e64 v1, v1, v2, s4
	v_cndmask_b32_e64 v19, v21, v2, s5
	;; [unrolled: 1-line block ×4, first 2 shown]
	v_cndmask_b32_e32 v5, v9, v10, vcc_lo
	v_cndmask_b32_e32 v6, v13, v14, vcc_lo
	v_cmp_eq_u32_e32 vcc_lo, 3, v71
	v_cndmask_b32_e64 v9, v17, v10, s7
	v_cndmask_b32_e64 v13, v18, v14, s7
	;; [unrolled: 1-line block ×3, first 2 shown]
	v_cmp_eq_u32_e64 s5, 4, v70
	v_cndmask_b32_e32 v1, v1, v10, vcc_lo
	v_cndmask_b32_e32 v2, v2, v14, vcc_lo
	v_cmp_eq_u32_e32 vcc_lo, 4, v72
	v_lshrrev_b32_e32 v15, 16, v7
	v_lshrrev_b32_e32 v16, 16, v8
	v_cndmask_b32_e64 v17, v19, v10, s6
	v_cmp_eq_u32_e64 s4, 4, v71
	v_cndmask_b32_e64 v5, v5, v3, s5
	v_cndmask_b32_e64 v6, v6, v7, s5
	v_cndmask_b32_e32 v9, v9, v3, vcc_lo
	v_cmp_eq_u32_e64 s5, 5, v72
	v_cndmask_b32_e32 v10, v13, v7, vcc_lo
	v_cmp_eq_u32_e32 vcc_lo, 4, v69
	v_cmp_eq_u32_e64 s6, 5, v70
	v_cndmask_b32_e64 v2, v2, v7, s4
	v_cndmask_b32_e64 v9, v9, v11, s5
	;; [unrolled: 1-line block ×3, first 2 shown]
	v_cndmask_b32_e32 v13, v17, v3, vcc_lo
	v_cmp_eq_u32_e64 s5, 5, v69
	v_cndmask_b32_e32 v14, v18, v7, vcc_lo
	v_cndmask_b32_e64 v1, v1, v3, s4
	v_cmp_eq_u32_e32 vcc_lo, 5, v71
	v_lshrrev_b32_e32 v12, 16, v4
	v_cndmask_b32_e64 v13, v13, v11, s5
	v_cndmask_b32_e64 v3, v14, v15, s5
	v_cmp_eq_u32_e64 s5, 6, v71
	v_cndmask_b32_e32 v1, v1, v11, vcc_lo
	v_cndmask_b32_e64 v5, v5, v11, s6
	v_cmp_eq_u32_e64 s7, 6, v70
	v_cndmask_b32_e64 v6, v6, v15, s6
	v_cmp_eq_u32_e64 s6, 6, v72
	v_cmp_eq_u32_e64 s4, 6, v69
	v_cndmask_b32_e64 v1, v1, v4, s5
	v_cndmask_b32_e32 v2, v2, v15, vcc_lo
	v_cmp_eq_u32_e32 vcc_lo, 7, v71
	v_cndmask_b32_e64 v5, v5, v4, s7
	v_cndmask_b32_e64 v9, v9, v4, s6
	;; [unrolled: 1-line block ×3, first 2 shown]
	v_cmp_eq_u32_e64 s7, 7, v70
	v_cndmask_b32_e32 v1, v1, v12, vcc_lo
	v_cndmask_b32_e64 v7, v13, v4, s4
	v_cndmask_b32_e64 v3, v3, v8, s4
	v_cndmask_b32_e64 v2, v2, v8, s5
	v_cmp_eq_u32_e64 s4, 7, v69
	v_cndmask_b32_e64 v4, v10, v8, s6
	v_cndmask_b32_e64 v5, v5, v12, s7
	;; [unrolled: 1-line block ×3, first 2 shown]
	v_cndmask_b32_e32 v2, v2, v16, vcc_lo
	v_cndmask_b32_e64 v7, v7, v12, s4
	v_cndmask_b32_e64 v3, v3, v16, s4
	;; [unrolled: 1-line block ×4, first 2 shown]
	v_cmp_gt_u32_e32 vcc_lo, 32, v0
	v_perm_b32 v4, v2, v1, 0x5040100
	v_perm_b32 v3, v3, v7, 0x5040100
	;; [unrolled: 1-line block ×4, first 2 shown]
	s_and_b32 s2, vcc_lo, s2
	ds_store_b128 v74, v[1:4]
	s_waitcnt lgkmcnt(0)
	s_barrier
	buffer_gl0_inv
	s_and_saveexec_b32 s4, s2
	s_cbranch_execz .LBB1174_2
; %bb.15:
	s_load_b64 s[4:5], s[0:1], 0x68
	v_lshlrev_b32_e32 v0, 10, v0
	v_lshlrev_b32_e32 v1, 4, v67
	s_lshl_b32 s0, s36, 6
	v_add_nc_u32_e32 v2, s33, v66
	s_mul_i32 s1, s0, s34
	s_delay_alu instid0(SALU_CYCLE_1) | instskip(SKIP_1) | instid1(VALU_DEP_2)
	s_mul_i32 s6, s1, s9
	v_and_or_b32 v0, 0x3800, v0, v1
	v_mul_lo_u32 v1, v2, s0
	s_ashr_i32 s7, s6, 31
	v_add_nc_u32_e32 v3, 2, v2
	s_lshl_b64 s[6:7], s[6:7], 1
	v_add_nc_u32_e32 v4, 4, v2
	v_add_nc_u32_e32 v5, 6, v2
	v_lshl_or_b32 v15, v66, 6, v0
	v_mul_lo_u32 v3, v3, s0
	v_ashrrev_i32_e32 v2, 31, v1
	v_mul_lo_u32 v19, v4, s0
	v_mul_lo_u32 v21, v5, s0
	s_waitcnt lgkmcnt(0)
	s_add_u32 s1, s4, s6
	s_addc_u32 s2, s5, s7
	s_lshl_b32 s4, s14, 6
	v_lshlrev_b64 v[5:6], 1, v[1:2]
	s_ashr_i32 s5, s4, 31
	v_ashrrev_i32_e32 v4, 31, v3
	s_lshl_b64 s[4:5], s[4:5], 1
	v_ashrrev_i32_e32 v20, 31, v19
	s_add_u32 s1, s1, s4
	s_addc_u32 s2, s2, s5
	v_add_co_u32 v1, s1, s1, v65
	s_delay_alu instid0(VALU_DEP_1) | instskip(SKIP_1) | instid1(VALU_DEP_3)
	v_add_co_ci_u32_e64 v2, null, s2, 0, s1
	v_lshlrev_b64 v[25:26], 1, v[3:4]
	v_add_co_u32 v23, vcc_lo, v1, v5
	s_delay_alu instid0(VALU_DEP_3)
	v_add_co_ci_u32_e32 v24, vcc_lo, v2, v6, vcc_lo
	ds_load_b128 v[3:6], v15
	ds_load_b128 v[7:10], v15 offset:128
	ds_load_b128 v[11:14], v15 offset:256
	;; [unrolled: 1-line block ×3, first 2 shown]
	v_ashrrev_i32_e32 v22, 31, v21
	v_lshlrev_b64 v[19:20], 1, v[19:20]
	v_add_co_u32 v25, vcc_lo, v1, v25
	v_add_co_ci_u32_e32 v26, vcc_lo, v2, v26, vcc_lo
	s_delay_alu instid0(VALU_DEP_4) | instskip(NEXT) | instid1(VALU_DEP_4)
	v_lshlrev_b64 v[21:22], 1, v[21:22]
	v_add_co_u32 v19, vcc_lo, v1, v19
	v_add_co_ci_u32_e32 v20, vcc_lo, v2, v20, vcc_lo
	s_delay_alu instid0(VALU_DEP_3) | instskip(NEXT) | instid1(VALU_DEP_4)
	v_add_co_u32 v21, vcc_lo, v1, v21
	v_add_co_ci_u32_e32 v22, vcc_lo, v2, v22, vcc_lo
	s_waitcnt lgkmcnt(3)
	global_store_b128 v[23:24], v[3:6], off
	s_waitcnt lgkmcnt(2)
	global_store_b128 v[25:26], v[7:10], off
	;; [unrolled: 2-line block ×4, first 2 shown]
	s_and_b32 exec_lo, exec_lo, s3
	s_cbranch_execz .LBB1174_2
; %bb.16:
	ds_load_b128 v[3:6], v0 offset:512
	s_add_i32 s1, s33, 8
	s_delay_alu instid0(SALU_CYCLE_1) | instskip(NEXT) | instid1(SALU_CYCLE_1)
	s_mul_i32 s0, s1, s0
	s_ashr_i32 s1, s0, 31
	s_delay_alu instid0(SALU_CYCLE_1) | instskip(NEXT) | instid1(SALU_CYCLE_1)
	s_lshl_b64 s[0:1], s[0:1], 1
	v_add_co_u32 v0, vcc_lo, v1, s0
	v_add_co_ci_u32_e32 v1, vcc_lo, s1, v2, vcc_lo
	s_waitcnt lgkmcnt(0)
	global_store_b128 v[0:1], v[3:6], off
	s_nop 0
	s_sendmsg sendmsg(MSG_DEALLOC_VGPRS)
	s_endpgm
	.section	.rodata,"a",@progbits
	.p2align	6, 0x0
	.amdhsa_kernel _Z39paged_attention_ll4mi_QKV_mfma16_kernelIDF16_hLN4vllm18Fp8KVCacheDataTypeE1EhLi32ELi64ELi256ELb0ELi9EL8MFMAType0EEvPKT_PKT0_S8_ifPKiSA_SA_iPKfiiiPfSD_PS3_PT2_iSC_SC_
		.amdhsa_group_segment_fixed_size 17472
		.amdhsa_private_segment_fixed_size 0
		.amdhsa_kernarg_size 400
		.amdhsa_user_sgpr_count 13
		.amdhsa_user_sgpr_dispatch_ptr 0
		.amdhsa_user_sgpr_queue_ptr 0
		.amdhsa_user_sgpr_kernarg_segment_ptr 1
		.amdhsa_user_sgpr_dispatch_id 0
		.amdhsa_user_sgpr_private_segment_size 0
		.amdhsa_wavefront_size32 1
		.amdhsa_uses_dynamic_stack 0
		.amdhsa_enable_private_segment 0
		.amdhsa_system_sgpr_workgroup_id_x 1
		.amdhsa_system_sgpr_workgroup_id_y 1
		.amdhsa_system_sgpr_workgroup_id_z 1
		.amdhsa_system_sgpr_workgroup_info 0
		.amdhsa_system_vgpr_workitem_id 0
		.amdhsa_next_free_vgpr 146
		.amdhsa_next_free_sgpr 37
		.amdhsa_reserve_vcc 1
		.amdhsa_float_round_mode_32 0
		.amdhsa_float_round_mode_16_64 0
		.amdhsa_float_denorm_mode_32 3
		.amdhsa_float_denorm_mode_16_64 3
		.amdhsa_dx10_clamp 1
		.amdhsa_ieee_mode 1
		.amdhsa_fp16_overflow 0
		.amdhsa_workgroup_processor_mode 1
		.amdhsa_memory_ordered 1
		.amdhsa_forward_progress 0
		.amdhsa_shared_vgpr_count 0
		.amdhsa_exception_fp_ieee_invalid_op 0
		.amdhsa_exception_fp_denorm_src 0
		.amdhsa_exception_fp_ieee_div_zero 0
		.amdhsa_exception_fp_ieee_overflow 0
		.amdhsa_exception_fp_ieee_underflow 0
		.amdhsa_exception_fp_ieee_inexact 0
		.amdhsa_exception_int_div_zero 0
	.end_amdhsa_kernel
	.section	.text._Z39paged_attention_ll4mi_QKV_mfma16_kernelIDF16_hLN4vllm18Fp8KVCacheDataTypeE1EhLi32ELi64ELi256ELb0ELi9EL8MFMAType0EEvPKT_PKT0_S8_ifPKiSA_SA_iPKfiiiPfSD_PS3_PT2_iSC_SC_,"axG",@progbits,_Z39paged_attention_ll4mi_QKV_mfma16_kernelIDF16_hLN4vllm18Fp8KVCacheDataTypeE1EhLi32ELi64ELi256ELb0ELi9EL8MFMAType0EEvPKT_PKT0_S8_ifPKiSA_SA_iPKfiiiPfSD_PS3_PT2_iSC_SC_,comdat
.Lfunc_end1174:
	.size	_Z39paged_attention_ll4mi_QKV_mfma16_kernelIDF16_hLN4vllm18Fp8KVCacheDataTypeE1EhLi32ELi64ELi256ELb0ELi9EL8MFMAType0EEvPKT_PKT0_S8_ifPKiSA_SA_iPKfiiiPfSD_PS3_PT2_iSC_SC_, .Lfunc_end1174-_Z39paged_attention_ll4mi_QKV_mfma16_kernelIDF16_hLN4vllm18Fp8KVCacheDataTypeE1EhLi32ELi64ELi256ELb0ELi9EL8MFMAType0EEvPKT_PKT0_S8_ifPKiSA_SA_iPKfiiiPfSD_PS3_PT2_iSC_SC_
                                        ; -- End function
	.section	.AMDGPU.csdata,"",@progbits
; Kernel info:
; codeLenInByte = 6584
; NumSgprs: 39
; NumVgprs: 146
; ScratchSize: 0
; MemoryBound: 0
; FloatMode: 240
; IeeeMode: 1
; LDSByteSize: 17472 bytes/workgroup (compile time only)
; SGPRBlocks: 4
; VGPRBlocks: 18
; NumSGPRsForWavesPerEU: 39
; NumVGPRsForWavesPerEU: 146
; Occupancy: 9
; WaveLimiterHint : 1
; COMPUTE_PGM_RSRC2:SCRATCH_EN: 0
; COMPUTE_PGM_RSRC2:USER_SGPR: 13
; COMPUTE_PGM_RSRC2:TRAP_HANDLER: 0
; COMPUTE_PGM_RSRC2:TGID_X_EN: 1
; COMPUTE_PGM_RSRC2:TGID_Y_EN: 1
; COMPUTE_PGM_RSRC2:TGID_Z_EN: 1
; COMPUTE_PGM_RSRC2:TIDIG_COMP_CNT: 0
	.section	.text._Z39paged_attention_ll4mi_QKV_mfma16_kernelIDF16_hLN4vllm18Fp8KVCacheDataTypeE1EhLi32ELi64ELi256ELb0ELi10EL8MFMAType0EEvPKT_PKT0_S8_ifPKiSA_SA_iPKfiiiPfSD_PS3_PT2_iSC_SC_,"axG",@progbits,_Z39paged_attention_ll4mi_QKV_mfma16_kernelIDF16_hLN4vllm18Fp8KVCacheDataTypeE1EhLi32ELi64ELi256ELb0ELi10EL8MFMAType0EEvPKT_PKT0_S8_ifPKiSA_SA_iPKfiiiPfSD_PS3_PT2_iSC_SC_,comdat
	.protected	_Z39paged_attention_ll4mi_QKV_mfma16_kernelIDF16_hLN4vllm18Fp8KVCacheDataTypeE1EhLi32ELi64ELi256ELb0ELi10EL8MFMAType0EEvPKT_PKT0_S8_ifPKiSA_SA_iPKfiiiPfSD_PS3_PT2_iSC_SC_ ; -- Begin function _Z39paged_attention_ll4mi_QKV_mfma16_kernelIDF16_hLN4vllm18Fp8KVCacheDataTypeE1EhLi32ELi64ELi256ELb0ELi10EL8MFMAType0EEvPKT_PKT0_S8_ifPKiSA_SA_iPKfiiiPfSD_PS3_PT2_iSC_SC_
	.globl	_Z39paged_attention_ll4mi_QKV_mfma16_kernelIDF16_hLN4vllm18Fp8KVCacheDataTypeE1EhLi32ELi64ELi256ELb0ELi10EL8MFMAType0EEvPKT_PKT0_S8_ifPKiSA_SA_iPKfiiiPfSD_PS3_PT2_iSC_SC_
	.p2align	8
	.type	_Z39paged_attention_ll4mi_QKV_mfma16_kernelIDF16_hLN4vllm18Fp8KVCacheDataTypeE1EhLi32ELi64ELi256ELb0ELi10EL8MFMAType0EEvPKT_PKT0_S8_ifPKiSA_SA_iPKfiiiPfSD_PS3_PT2_iSC_SC_,@function
_Z39paged_attention_ll4mi_QKV_mfma16_kernelIDF16_hLN4vllm18Fp8KVCacheDataTypeE1EhLi32ELi64ELi256ELb0ELi10EL8MFMAType0EEvPKT_PKT0_S8_ifPKiSA_SA_iPKfiiiPfSD_PS3_PT2_iSC_SC_: ; @_Z39paged_attention_ll4mi_QKV_mfma16_kernelIDF16_hLN4vllm18Fp8KVCacheDataTypeE1EhLi32ELi64ELi256ELb0ELi10EL8MFMAType0EEvPKT_PKT0_S8_ifPKiSA_SA_iPKfiiiPfSD_PS3_PT2_iSC_SC_
; %bb.0:
	s_load_b64 s[2:3], s[0:1], 0x30
	s_mov_b32 s34, s13
	s_waitcnt lgkmcnt(0)
	s_cmp_lg_u64 s[2:3], 0
	s_cselect_b32 s6, -1, 0
	s_ashr_i32 s35, s13, 31
	s_cmp_eq_u64 s[2:3], 0
	s_cbranch_scc1 .LBB1175_3
; %bb.1:
	s_lshl_b64 s[4:5], s[34:35], 2
	s_delay_alu instid0(SALU_CYCLE_1) | instskip(SKIP_4) | instid1(SALU_CYCLE_1)
	s_add_u32 s4, s2, s4
	s_addc_u32 s5, s3, s5
	s_load_b64 s[4:5], s[4:5], 0x0
	s_waitcnt lgkmcnt(0)
	s_sub_i32 s4, s5, s4
	s_cmp_eq_u32 s4, 1
	s_cselect_b32 s4, -1, 0
	s_delay_alu instid0(SALU_CYCLE_1)
	s_and_not1_b32 vcc_lo, exec_lo, s4
	s_cbranch_vccz .LBB1175_4
.LBB1175_2:
	s_endpgm
.LBB1175_3:
.LBB1175_4:
	s_load_b64 s[8:9], s[0:1], 0x28
	s_lshl_b64 s[4:5], s[34:35], 2
	s_waitcnt lgkmcnt(0)
	s_add_u32 s8, s8, s4
	s_addc_u32 s9, s9, s5
	s_lshl_b32 s16, s14, 8
	s_load_b32 s18, s[8:9], 0x0
	s_waitcnt lgkmcnt(0)
	s_cmp_ge_i32 s16, s18
	s_cbranch_scc1 .LBB1175_2
; %bb.5:
	s_clause 0x1
	s_load_b128 s[8:11], s[0:1], 0x8
	s_load_b64 s[12:13], s[0:1], 0x20
	s_and_not1_b32 vcc_lo, exec_lo, s6
	s_cbranch_vccnz .LBB1175_7
; %bb.6:
	s_add_u32 s2, s2, s4
	s_addc_u32 s3, s3, s5
	s_load_b32 s3, s[2:3], 0x0
	s_branch .LBB1175_8
.LBB1175_7:
	s_mov_b32 s3, s34
.LBB1175_8:
	s_load_b128 s[4:7], s[0:1], 0x48
	v_and_b32_e32 v68, 15, v0
	v_cmp_gt_u32_e32 vcc_lo, 0xa0, v0
	v_lshrrev_b32_e32 v69, 5, v0
	v_and_b32_e32 v70, 31, v0
	v_and_b32_e32 v67, 1, v0
	v_lshlrev_b32_e32 v1, 3, v68
	v_cmp_gt_u32_e64 s2, 8, v68
	v_bfe_u32 v66, v0, 4, 1
	s_mul_i32 s31, s15, 10
	s_delay_alu instid0(VALU_DEP_3) | instskip(NEXT) | instid1(VALU_DEP_3)
	v_lshlrev_b32_e32 v65, 1, v1
	s_and_b32 s17, vcc_lo, s2
	s_waitcnt lgkmcnt(0)
	s_and_saveexec_b32 s7, s17
	s_cbranch_execz .LBB1175_10
; %bb.9:
	s_load_b64 s[20:21], s[0:1], 0x0
	v_lshl_or_b32 v5, v69, 1, v66
	s_mul_hi_i32 s23, s3, s4
	s_mul_i32 s22, s3, s4
	v_lshlrev_b32_e32 v6, 10, v68
	s_lshl_b64 s[22:23], s[22:23], 1
	v_add_lshl_u32 v1, v5, s31, 6
	v_lshlrev_b32_e32 v5, 6, v5
	v_lshlrev_b32_e32 v7, 10, v67
	v_and_b32_e32 v6, 0x3800, v6
	s_delay_alu instid0(VALU_DEP_4) | instskip(NEXT) | instid1(VALU_DEP_2)
	v_ashrrev_i32_e32 v2, 31, v1
	v_or3_b32 v5, v6, v7, v5
	s_delay_alu instid0(VALU_DEP_2) | instskip(SKIP_3) | instid1(VALU_DEP_1)
	v_lshlrev_b64 v[1:2], 1, v[1:2]
	s_waitcnt lgkmcnt(0)
	s_add_u32 s3, s20, s22
	s_addc_u32 s4, s21, s23
	v_add_co_u32 v1, vcc_lo, s3, v1
	s_delay_alu instid0(VALU_DEP_2) | instskip(NEXT) | instid1(VALU_DEP_2)
	v_add_co_ci_u32_e32 v2, vcc_lo, s4, v2, vcc_lo
	v_add_co_u32 v1, vcc_lo, v1, v65
	s_delay_alu instid0(VALU_DEP_2)
	v_add_co_ci_u32_e32 v2, vcc_lo, 0, v2, vcc_lo
	global_load_b128 v[1:4], v[1:2], off
	s_waitcnt vmcnt(0)
	ds_store_b128 v5, v[1:4]
.LBB1175_10:
	s_or_b32 exec_lo, exec_lo, s7
	v_and_b32_e32 v1, 0xef, v0
	s_add_i32 s3, s18, 31
	s_clause 0x1
	s_load_b32 s4, s[0:1], 0x38
	s_load_b32 s33, s[0:1], 0x98
	s_ashr_i32 s7, s3, 31
	v_add_nc_u32_e32 v1, s16, v1
	s_lshr_b32 s7, s7, 27
	s_load_b32 s19, s[0:1], 0x1c
	v_add_nc_u32_e32 v103, -10, v68
	s_add_i32 s3, s3, s7
	v_ashrrev_i32_e32 v2, 31, v1
	v_or_b32_e32 v3, 16, v1
	s_ashr_i32 s3, s3, 5
	v_cmp_gt_i32_e32 vcc_lo, s18, v1
	s_add_i32 s3, s3, -1
	v_lshrrev_b32_e32 v2, 27, v2
	s_waitcnt lgkmcnt(0)
	s_barrier
	buffer_gl0_inv
	s_mul_i32 s15, s15, s6
	v_add_nc_u32_e32 v4, v1, v2
	v_mbcnt_lo_u32_b32 v127, -1, 0
	s_mul_i32 s20, s34, s4
	s_delay_alu instid0(SALU_CYCLE_1) | instskip(NEXT) | instid1(VALU_DEP_2)
	s_ashr_i32 s21, s20, 31
	v_ashrrev_i32_e32 v4, 5, v4
	v_add_nc_u32_e32 v2, v3, v2
	s_lshl_b64 s[20:21], s[20:21], 2
	v_xor_b32_e32 v128, 16, v127
	s_add_u32 s17, s12, s20
	v_cndmask_b32_e32 v1, s3, v4, vcc_lo
	v_ashrrev_i32_e32 v2, 5, v2
	v_cmp_gt_i32_e32 vcc_lo, s18, v3
	s_addc_u32 s13, s13, s21
	s_ashr_i32 s20, s15, 31
	s_add_u32 s22, s8, s15
	s_addc_u32 s23, s9, s20
	v_cndmask_b32_e32 v3, s3, v2, vcc_lo
	v_ashrrev_i32_e32 v2, 31, v1
	s_lshl_b32 s6, s14, 3
	s_delay_alu instid0(SALU_CYCLE_1) | instskip(NEXT) | instid1(VALU_DEP_2)
	s_ashr_i32 s7, s6, 31
	v_ashrrev_i32_e32 v4, 31, v3
	s_delay_alu instid0(VALU_DEP_2) | instskip(SKIP_1) | instid1(SALU_CYCLE_1)
	v_lshlrev_b64 v[1:2], 2, v[1:2]
	s_lshl_b64 s[6:7], s[6:7], 2
	s_add_u32 s6, s17, s6
	s_delay_alu instid0(VALU_DEP_2) | instskip(SKIP_1) | instid1(VALU_DEP_2)
	v_lshlrev_b64 v[3:4], 2, v[3:4]
	s_addc_u32 s7, s13, s7
	v_add_co_u32 v1, vcc_lo, s17, v1
	v_add_co_ci_u32_e32 v2, vcc_lo, s13, v2, vcc_lo
	s_delay_alu instid0(VALU_DEP_3) | instskip(NEXT) | instid1(VALU_DEP_4)
	v_add_co_u32 v3, vcc_lo, s17, v3
	v_add_co_ci_u32_e32 v4, vcc_lo, s13, v4, vcc_lo
	s_clause 0x1
	global_load_b32 v5, v[1:2], off
	global_load_b32 v6, v[3:4], off
	s_or_b32 s4, s16, 32
	s_delay_alu instid0(SALU_CYCLE_1) | instskip(SKIP_2) | instid1(SALU_CYCLE_1)
	s_ashr_i32 s8, s4, 5
	s_cmp_lt_i32 s4, s18
	s_cselect_b32 s8, s8, s3
	s_ashr_i32 s9, s8, 31
	s_delay_alu instid0(SALU_CYCLE_1) | instskip(NEXT) | instid1(SALU_CYCLE_1)
	s_lshl_b64 s[8:9], s[8:9], 2
	s_add_u32 s8, s17, s8
	s_addc_u32 s9, s13, s9
	s_or_b32 s4, s16, 64
	s_delay_alu instid0(SALU_CYCLE_1) | instskip(SKIP_2) | instid1(SALU_CYCLE_1)
	s_ashr_i32 s12, s4, 5
	s_cmp_lt_i32 s4, s18
	s_cselect_b32 s24, s12, s3
	s_ashr_i32 s25, s24, 31
	s_delay_alu instid0(SALU_CYCLE_1) | instskip(NEXT) | instid1(SALU_CYCLE_1)
	s_lshl_b64 s[24:25], s[24:25], 2
	s_add_u32 s24, s17, s24
	s_addc_u32 s25, s13, s25
	s_or_b32 s4, s16, 0x60
	s_delay_alu instid0(SALU_CYCLE_1) | instskip(SKIP_2) | instid1(SALU_CYCLE_1)
	s_ashr_i32 s12, s4, 5
	s_cmp_lt_i32 s4, s18
	s_cselect_b32 s26, s12, s3
	s_ashr_i32 s27, s26, 31
	s_delay_alu instid0(SALU_CYCLE_1) | instskip(NEXT) | instid1(SALU_CYCLE_1)
	s_lshl_b64 s[26:27], s[26:27], 2
	s_add_u32 s26, s17, s26
	s_addc_u32 s27, s13, s27
	s_or_b32 s4, s16, 0x80
	s_delay_alu instid0(SALU_CYCLE_1) | instskip(SKIP_2) | instid1(SALU_CYCLE_1)
	s_ashr_i32 s12, s4, 5
	s_cmp_lt_i32 s4, s18
	s_cselect_b32 s28, s12, s3
	s_ashr_i32 s29, s28, 31
	s_delay_alu instid0(SALU_CYCLE_1) | instskip(NEXT) | instid1(SALU_CYCLE_1)
	s_lshl_b64 s[28:29], s[28:29], 2
	s_add_u32 s28, s17, s28
	s_addc_u32 s29, s13, s29
	s_or_b32 s4, s16, 0xa0
	s_delay_alu instid0(SALU_CYCLE_1) | instskip(SKIP_2) | instid1(SALU_CYCLE_1)
	s_ashr_i32 s12, s4, 5
	s_cmp_lt_i32 s4, s18
	s_cselect_b32 s36, s12, s3
	s_ashr_i32 s37, s36, 31
	s_delay_alu instid0(SALU_CYCLE_1) | instskip(NEXT) | instid1(SALU_CYCLE_1)
	s_lshl_b64 s[36:37], s[36:37], 2
	s_add_u32 s36, s17, s36
	s_addc_u32 s37, s13, s37
	s_clause 0x5
	s_load_b32 s12, s[6:7], 0x0
	s_load_b32 s4, s[8:9], 0x0
	;; [unrolled: 1-line block ×6, first 2 shown]
	s_or_b32 s21, s16, 0xc0
	s_waitcnt vmcnt(1)
	v_mad_i64_i32 v[1:2], null, v5, s5, s[22:23]
	v_lshlrev_b32_e32 v5, 4, v68
	s_waitcnt vmcnt(0)
	v_mad_i64_i32 v[3:4], null, v6, s5, s[22:23]
	s_ashr_i32 s22, s21, 5
	s_cmp_lt_i32 s21, s18
	s_delay_alu instid0(VALU_DEP_3) | instskip(NEXT) | instid1(VALU_DEP_4)
	v_add_co_u32 v1, vcc_lo, v1, v5
	v_add_co_ci_u32_e32 v2, vcc_lo, 0, v2, vcc_lo
	s_delay_alu instid0(VALU_DEP_3) | instskip(NEXT) | instid1(VALU_DEP_4)
	v_add_co_u32 v3, vcc_lo, v3, v5
	v_add_co_ci_u32_e32 v4, vcc_lo, 0, v4, vcc_lo
	s_clause 0x7
	global_load_b128 v[71:74], v[1:2], off
	global_load_b128 v[75:78], v[1:2], off offset:512
	global_load_b128 v[79:82], v[3:4], off offset:256
	;; [unrolled: 1-line block ×7, first 2 shown]
	s_cselect_b32 s22, s22, s3
	v_lshlrev_b32_e32 v1, 5, v68
	s_ashr_i32 s23, s22, 31
	v_cmp_gt_u32_e32 vcc_lo, 10, v68
	s_lshl_b64 s[22:23], s[22:23], 2
	s_delay_alu instid0(SALU_CYCLE_1)
	s_add_u32 s22, s17, s22
	s_addc_u32 s23, s13, s23
	s_or_b32 s21, s16, 0xe0
	v_lshl_or_b32 v1, v69, 9, v1
	s_ashr_i32 s24, s21, 5
	s_cmp_lt_i32 s21, s18
	v_cndmask_b32_e32 v103, v103, v68, vcc_lo
	s_cselect_b32 s24, s24, s3
	s_load_b32 s3, s[22:23], 0x0
	s_ashr_i32 s25, s24, 31
	v_cmp_gt_i32_e32 vcc_lo, 32, v128
	s_lshl_b64 s[24:25], s[24:25], 2
	v_lshlrev_b32_e32 v115, 6, v103
	s_add_u32 s22, s17, s24
	s_addc_u32 s23, s13, s25
	v_cndmask_b32_e32 v136, v127, v128, vcc_lo
	s_add_u32 s10, s10, s15
	s_addc_u32 s11, s11, s20
	v_add_co_u32 v1, s10, s10, v1
	s_delay_alu instid0(VALU_DEP_1) | instskip(SKIP_2) | instid1(VALU_DEP_1)
	v_add_co_ci_u32_e64 v2, null, s11, 0, s10
	s_load_b32 s10, s[22:23], 0x0
	s_waitcnt lgkmcnt(0)
	v_mad_i64_i32 v[3:4], null, s12, s5, v[1:2]
	v_mad_i64_i32 v[9:10], null, s7, s5, v[1:2]
	;; [unrolled: 1-line block ×7, first 2 shown]
	s_clause 0x5
	global_load_b128 v[49:52], v[3:4], off
	global_load_b128 v[53:56], v[3:4], off offset:16
	global_load_b128 v[41:44], v[5:6], off
	global_load_b128 v[45:48], v[5:6], off offset:16
	;; [unrolled: 2-line block ×3, first 2 shown]
	s_mov_b32 s4, 0
	v_mad_i64_i32 v[61:62], null, s10, s5, v[1:2]
	s_clause 0x9
	global_load_b128 v[1:4], v[9:10], off
	global_load_b128 v[5:8], v[9:10], off offset:16
	global_load_b128 v[9:12], v[13:14], off
	global_load_b128 v[13:16], v[13:14], off offset:16
	;; [unrolled: 2-line block ×5, first 2 shown]
	s_mov_b32 s5, s4
	s_mov_b32 s6, s4
	;; [unrolled: 1-line block ×7, first 2 shown]
	v_and_b32_e32 v104, 0xe0, v0
	v_dual_mov_b32 v126, s11 :: v_dual_mov_b32 v125, s10
	v_dual_mov_b32 v124, s9 :: v_dual_mov_b32 v123, s8
	s_delay_alu instid0(VALU_DEP_3)
	v_add_nc_u32_e32 v111, s16, v104
	ds_load_b128 v[103:106], v115
	ds_load_b128 v[107:110], v115 offset:1024
	v_dual_mov_b32 v122, s7 :: v_dual_mov_b32 v121, s6
	v_mov_b32_e32 v120, s5
	v_or_b32_e32 v135, v111, v66
	ds_load_b128 v[111:114], v115 offset:2048
	ds_load_b128 v[115:118], v115 offset:3072
	v_mov_b32_e32 v119, s4
	s_waitcnt vmcnt(0) lgkmcnt(0)
	s_barrier
	v_or_b32_e32 v137, 2, v135
	v_or_b32_e32 v138, 4, v135
	;; [unrolled: 1-line block ×3, first 2 shown]
	v_cmp_gt_i32_e32 vcc_lo, s18, v135
	v_or_b32_e32 v140, 8, v135
	v_cmp_gt_i32_e64 s3, s18, v137
	v_or_b32_e32 v141, 10, v135
	v_cmp_gt_i32_e64 s4, s18, v138
	v_cmp_gt_i32_e64 s5, s18, v139
	v_or_b32_e32 v142, 12, v135
	v_or_b32_e32 v143, 14, v135
	v_cmp_gt_i32_e64 s6, s18, v140
	v_cmp_gt_i32_e64 s7, s18, v141
	v_or_b32_e32 v144, 16, v135
	v_or_b32_e32 v145, 18, v135
	v_cmp_gt_i32_e64 s8, s18, v142
	v_cmp_gt_i32_e64 s9, s18, v143
	buffer_gl0_inv
	v_cmp_gt_i32_e64 s10, s18, v144
	v_cmp_gt_i32_e64 s11, s18, v145
	v_wmma_f32_16x16x16_f16 v[127:134], v[71:78], v[103:110], v[119:126]
	v_wmma_f32_16x16x16_f16 v[119:126], v[79:86], v[103:110], v[119:126]
	v_or_b32_e32 v71, 20, v135
	v_or_b32_e32 v72, 22, v135
	s_delay_alu instid0(VALU_DEP_4)
	v_wmma_f32_16x16x16_f16 v[127:134], v[87:94], v[111:118], v[127:134]
	v_or_b32_e32 v73, 24, v135
	v_wmma_f32_16x16x16_f16 v[119:126], v[95:102], v[111:118], v[119:126]
	v_or_b32_e32 v74, 26, v135
	v_cmp_gt_i32_e64 s12, s18, v71
	v_dual_mul_f32 v83, s19, v128 :: v_dual_mul_f32 v84, s19, v127
	s_delay_alu instid0(VALU_DEP_4) | instskip(SKIP_1) | instid1(VALU_DEP_3)
	v_dual_mul_f32 v81, s19, v130 :: v_dual_mul_f32 v92, s19, v119
	v_mul_f32_e32 v82, s19, v129
	v_cndmask_b32_e64 v83, 0xff7fffff, v83, s3
	s_delay_alu instid0(VALU_DEP_4)
	v_cndmask_b32_e32 v84, 0xff7fffff, v84, vcc_lo
	v_dual_mul_f32 v79, s19, v132 :: v_dual_mul_f32 v90, s19, v121
	v_mul_f32_e32 v80, s19, v131
	v_cndmask_b32_e64 v82, 0xff7fffff, v82, s4
	v_cndmask_b32_e64 v81, 0xff7fffff, v81, s5
	v_max3_f32 v83, v84, 0xff7fffff, v83
	v_dual_mul_f32 v77, s19, v134 :: v_dual_mul_f32 v88, s19, v123
	v_mul_f32_e32 v78, s19, v133
	v_cndmask_b32_e64 v80, 0xff7fffff, v80, s6
	v_cndmask_b32_e64 v79, 0xff7fffff, v79, s7
	v_max3_f32 v81, v83, v82, v81
	v_mul_f32_e32 v91, s19, v120
	v_cndmask_b32_e64 v78, 0xff7fffff, v78, s8
	v_cndmask_b32_e64 v77, 0xff7fffff, v77, s9
	v_mul_f32_e32 v89, s19, v122
	v_max3_f32 v79, v81, v80, v79
	v_cndmask_b32_e64 v80, 0xff7fffff, v92, s10
	v_cndmask_b32_e64 v81, 0xff7fffff, v91, s11
	v_cmp_gt_i32_e64 s13, s18, v72
	v_or_b32_e32 v75, 28, v135
	v_max3_f32 v77, v79, v78, v77
	v_or_b32_e32 v76, 30, v135
	v_mul_f32_e32 v87, s19, v124
	v_cndmask_b32_e64 v71, 0xff7fffff, v90, s12
	v_cndmask_b32_e64 v72, 0xff7fffff, v89, s13
	v_max3_f32 v77, v77, v80, v81
	v_cmp_gt_i32_e64 s15, s18, v73
	v_cmp_gt_i32_e64 s16, s18, v74
	v_dual_mul_f32 v85, s19, v126 :: v_dual_mul_f32 v86, s19, v125
	s_delay_alu instid0(VALU_DEP_4) | instskip(NEXT) | instid1(VALU_DEP_4)
	v_max3_f32 v71, v77, v71, v72
	v_cndmask_b32_e64 v73, 0xff7fffff, v88, s15
	s_delay_alu instid0(VALU_DEP_4) | instskip(SKIP_2) | instid1(VALU_DEP_3)
	v_cndmask_b32_e64 v74, 0xff7fffff, v87, s16
	v_cmp_gt_i32_e64 s17, s18, v75
	v_cmp_gt_i32_e64 s18, s18, v76
	v_max3_f32 v71, v71, v73, v74
	s_delay_alu instid0(VALU_DEP_3) | instskip(NEXT) | instid1(VALU_DEP_3)
	v_cndmask_b32_e64 v72, 0xff7fffff, v86, s17
	v_cndmask_b32_e64 v75, 0xff7fffff, v85, s18
	v_lshlrev_b32_e32 v73, 2, v136
	s_delay_alu instid0(VALU_DEP_2) | instskip(SKIP_3) | instid1(VALU_DEP_1)
	v_max3_f32 v71, v71, v72, v75
	ds_bpermute_b32 v72, v73, v71
	s_waitcnt lgkmcnt(0)
	v_max_f32_e32 v72, v72, v72
	v_max_f32_e32 v71, v71, v72
	s_delay_alu instid0(VALU_DEP_1)
	v_fma_f32 v72, s19, v127, -v71
	v_fma_f32 v74, s19, v128, -v71
	;; [unrolled: 1-line block ×5, first 2 shown]
	v_mul_f32_e32 v72, 0x3fb8aa3b, v72
	v_mul_f32_e32 v74, 0x3fb8aa3b, v74
	v_fma_f32 v80, s19, v133, -v71
	s_delay_alu instid0(VALU_DEP_4) | instskip(NEXT) | instid1(VALU_DEP_4)
	v_dual_mul_f32 v76, 0x3fb8aa3b, v76 :: v_dual_mul_f32 v77, 0x3fb8aa3b, v77
	v_exp_f32_e32 v72, v72
	s_delay_alu instid0(VALU_DEP_3) | instskip(NEXT) | instid1(VALU_DEP_2)
	v_exp_f32_e32 v74, v74
	v_mul_f32_e32 v82, 0x3fb8aa3b, v80
	s_delay_alu instid0(VALU_DEP_2) | instskip(SKIP_1) | instid1(VALU_DEP_1)
	v_exp_f32_e32 v76, v76
	v_exp_f32_e32 v77, v77
	;; [unrolled: 1-line block ×3, first 2 shown]
	v_cndmask_b32_e32 v79, 0, v72, vcc_lo
	v_fma_f32 v72, s19, v132, -v71
	v_mul_f32_e32 v75, 0x3fb8aa3b, v75
	v_cndmask_b32_e64 v78, 0, v74, s3
	s_delay_alu instid0(TRANS32_DEP_3)
	v_cndmask_b32_e64 v80, 0, v76, s5
	v_add_f32_e32 v74, 0, v79
	v_mul_f32_e32 v72, 0x3fb8aa3b, v72
	v_exp_f32_e32 v75, v75
	v_cndmask_b32_e64 v83, 0, v77, s6
	v_cndmask_b32_e64 v85, 0, v84, s8
	v_add_f32_e32 v74, v74, v78
	v_exp_f32_e32 v72, v72
	s_mov_b32 s3, exec_lo
	s_waitcnt_depctr 0xfff
	v_cndmask_b32_e64 v81, 0, v75, s4
	v_cndmask_b32_e64 v82, 0, v72, s7
	s_delay_alu instid0(VALU_DEP_2) | instskip(NEXT) | instid1(VALU_DEP_1)
	v_add_f32_e32 v74, v74, v81
	v_add_f32_e32 v74, v74, v80
	s_delay_alu instid0(VALU_DEP_1) | instskip(SKIP_4) | instid1(VALU_DEP_4)
	v_add_f32_e32 v72, v74, v83
	v_fma_f32 v75, s19, v134, -v71
	v_fma_f32 v76, s19, v119, -v71
	;; [unrolled: 1-line block ×4, first 2 shown]
	v_dual_add_f32 v72, v72, v82 :: v_dual_mul_f32 v75, 0x3fb8aa3b, v75
	s_delay_alu instid0(VALU_DEP_3) | instskip(SKIP_1) | instid1(VALU_DEP_3)
	v_dual_mul_f32 v76, 0x3fb8aa3b, v76 :: v_dual_mul_f32 v77, 0x3fb8aa3b, v77
	v_fma_f32 v86, s19, v122, -v71
	v_add_f32_e32 v72, v72, v85
	s_delay_alu instid0(VALU_DEP_4) | instskip(NEXT) | instid1(VALU_DEP_3)
	v_exp_f32_e32 v75, v75
	v_exp_f32_e32 v76, v76
	;; [unrolled: 1-line block ×3, first 2 shown]
	v_mul_f32_e32 v86, 0x3fb8aa3b, v86
	s_delay_alu instid0(VALU_DEP_1) | instskip(SKIP_3) | instid1(TRANS32_DEP_3)
	v_exp_f32_e32 v88, v86
	v_cndmask_b32_e64 v84, 0, v75, s9
	v_fma_f32 v75, s19, v123, -v71
	v_mul_f32_e32 v74, 0x3fb8aa3b, v74
	v_cndmask_b32_e64 v87, 0, v76, s10
	v_fma_f32 v76, s19, v124, -v71
	s_delay_alu instid0(VALU_DEP_4) | instskip(NEXT) | instid1(VALU_DEP_4)
	v_dual_add_f32 v72, v72, v84 :: v_dual_mul_f32 v75, 0x3fb8aa3b, v75
	v_exp_f32_e32 v74, v74
	v_cndmask_b32_e64 v86, 0, v77, s11
	v_fma_f32 v77, s19, v125, -v71
	s_delay_alu instid0(VALU_DEP_3) | instskip(SKIP_3) | instid1(VALU_DEP_3)
	v_add_f32_e32 v72, v72, v87
	v_mul_f32_e32 v76, 0x3fb8aa3b, v76
	v_exp_f32_e32 v75, v75
	v_cndmask_b32_e64 v88, 0, v88, s13
	v_add_f32_e32 v72, v72, v86
	s_delay_alu instid0(VALU_DEP_3) | instskip(NEXT) | instid1(TRANS32_DEP_3)
	v_exp_f32_e32 v76, v76
	v_cndmask_b32_e64 v89, 0, v74, s12
	v_mul_f32_e32 v74, 0x3fb8aa3b, v77
	v_fma_f32 v77, s19, v126, -v71
	s_delay_alu instid0(VALU_DEP_3) | instskip(NEXT) | instid1(VALU_DEP_3)
	v_add_f32_e32 v72, v72, v89
	v_exp_f32_e32 v74, v74
	s_delay_alu instid0(TRANS32_DEP_3) | instskip(NEXT) | instid1(VALU_DEP_3)
	v_cndmask_b32_e64 v91, 0, v75, s15
	v_mul_f32_e32 v75, 0x3fb8aa3b, v77
	s_delay_alu instid0(TRANS32_DEP_2) | instskip(SKIP_1) | instid1(VALU_DEP_3)
	v_cndmask_b32_e64 v90, 0, v76, s16
	v_add_f32_e32 v72, v72, v88
	v_exp_f32_e32 v75, v75
	s_delay_alu instid0(VALU_DEP_1) | instskip(NEXT) | instid1(TRANS32_DEP_2)
	v_add_f32_e32 v72, v72, v91
	v_cndmask_b32_e64 v93, 0, v74, s17
	s_delay_alu instid0(VALU_DEP_2) | instskip(SKIP_3) | instid1(VALU_DEP_1)
	v_add_f32_e32 v72, v72, v90
	s_waitcnt_depctr 0xfff
	v_cndmask_b32_e64 v92, 0, v75, s18
	v_add_f32_e32 v72, v72, v93
	v_add_f32_e32 v72, v72, v92
	ds_bpermute_b32 v73, v73, v72
	v_cmpx_gt_u32_e32 16, v70
	s_cbranch_execz .LBB1175_12
; %bb.11:
	v_mul_u32_u24_e32 v70, 0x44, v69
	s_waitcnt lgkmcnt(0)
	v_add_f32_e32 v72, v72, v73
	s_delay_alu instid0(VALU_DEP_2) | instskip(NEXT) | instid1(VALU_DEP_1)
	v_lshl_add_u32 v70, v68, 2, v70
	v_add_nc_u32_e32 v70, 0x4000, v70
	ds_store_2addr_b32 v70, v71, v72 offset1:136
.LBB1175_12:
	s_or_b32 exec_lo, exec_lo, s3
	v_lshlrev_b32_e32 v70, 2, v68
	s_load_b32 s35, s[0:1], 0x94
	s_waitcnt lgkmcnt(0)
	s_barrier
	buffer_gl0_inv
	v_add_nc_u32_e32 v98, 0x4000, v70
	v_cmp_eq_u32_e32 vcc_lo, 1, v69
	v_cmp_eq_u32_e64 s3, 2, v69
	v_cmp_eq_u32_e64 s4, 3, v69
	;; [unrolled: 1-line block ×3, first 2 shown]
	ds_load_2addr_b32 v[70:71], v98 offset1:17
	ds_load_2addr_b32 v[72:73], v98 offset0:34 offset1:51
	ds_load_2addr_b32 v[74:75], v98 offset0:68 offset1:85
	;; [unrolled: 1-line block ×3, first 2 shown]
	v_cmp_eq_u32_e64 s6, 5, v69
	v_cmp_eq_u32_e64 s7, 7, v69
	s_waitcnt lgkmcnt(3)
	v_max3_f32 v76, v70, 0xff7fffff, v71
	s_waitcnt lgkmcnt(2)
	s_delay_alu instid0(VALU_DEP_1) | instskip(SKIP_1) | instid1(VALU_DEP_1)
	v_max3_f32 v76, v76, v72, v73
	s_waitcnt lgkmcnt(1)
	v_max3_f32 v76, v76, v74, v75
	s_waitcnt lgkmcnt(0)
	s_delay_alu instid0(VALU_DEP_1) | instskip(NEXT) | instid1(VALU_DEP_1)
	v_max3_f32 v76, v76, v94, v95
	v_sub_f32_e32 v77, v71, v76
	ds_load_2addr_b32 v[96:97], v98 offset0:136 offset1:153
	v_sub_f32_e32 v74, v74, v76
	v_sub_f32_e32 v70, v70, v76
	;; [unrolled: 1-line block ×3, first 2 shown]
	v_dual_sub_f32 v72, v72, v76 :: v_dual_mul_f32 v77, 0x3fb8aa3b, v77
	s_delay_alu instid0(VALU_DEP_4) | instskip(NEXT) | instid1(VALU_DEP_4)
	v_mul_f32_e32 v103, 0x3fb8aa3b, v74
	v_mul_f32_e32 v99, 0x3fb8aa3b, v70
	ds_load_2addr_b32 v[70:71], v98 offset0:170 offset1:187
	v_dual_mul_f32 v101, 0x3fb8aa3b, v72 :: v_dual_mul_f32 v94, 0x3fb8aa3b, v94
	v_exp_f32_e32 v102, v77
	v_exp_f32_e32 v99, v99
	s_delay_alu instid0(VALU_DEP_1) | instskip(NEXT) | instid1(VALU_DEP_1)
	v_exp_f32_e32 v101, v101
	v_exp_f32_e32 v94, v94
	s_waitcnt lgkmcnt(1)
	s_delay_alu instid0(TRANS32_DEP_3)
	v_fma_f32 v77, v99, v96, 0
	v_sub_f32_e32 v100, v73, v76
	ds_load_2addr_b32 v[72:73], v98 offset0:204 offset1:221
	v_fmac_f32_e32 v77, v102, v97
	v_exp_f32_e32 v97, v103
	s_waitcnt lgkmcnt(1)
	s_delay_alu instid0(VALU_DEP_1)
	v_dual_fmac_f32 v77, v101, v70 :: v_dual_sub_f32 v96, v75, v76
	ds_load_2addr_b32 v[74:75], v98 offset0:238 offset1:255
	v_sub_f32_e32 v70, v95, v76
	s_waitcnt lgkmcnt(0)
	s_barrier
	v_mul_f32_e32 v96, 0x3fb8aa3b, v96
	buffer_gl0_inv
	v_exp_f32_e32 v95, v96
	v_mul_f32_e32 v100, 0x3fb8aa3b, v100
	s_delay_alu instid0(VALU_DEP_1) | instskip(SKIP_3) | instid1(VALU_DEP_2)
	v_exp_f32_e32 v100, v100
	s_waitcnt_depctr 0xfff
	v_dual_fmac_f32 v77, v100, v71 :: v_dual_mul_f32 v70, 0x3fb8aa3b, v70
	v_cndmask_b32_e32 v71, v99, v102, vcc_lo
	v_fmac_f32_e32 v77, v97, v72
	s_delay_alu instid0(VALU_DEP_3) | instskip(NEXT) | instid1(VALU_DEP_1)
	v_exp_f32_e32 v96, v70
	v_fmac_f32_e32 v77, v95, v73
	s_delay_alu instid0(VALU_DEP_1) | instskip(SKIP_2) | instid1(VALU_DEP_1)
	v_fmac_f32_e32 v77, v94, v74
	s_waitcnt_depctr 0xfff
	v_fmac_f32_e32 v77, v96, v75
	v_add_f32_e32 v74, 0x358637bd, v77
	s_delay_alu instid0(VALU_DEP_1) | instskip(SKIP_1) | instid1(VALU_DEP_2)
	v_div_scale_f32 v98, null, v74, v74, 1.0
	v_div_scale_f32 v99, vcc_lo, 1.0, v74, 1.0
	v_rcp_f32_e32 v103, v98
	s_waitcnt_depctr 0xfff
	v_fma_f32 v70, -v98, v103, 1.0
	s_delay_alu instid0(VALU_DEP_1) | instskip(SKIP_2) | instid1(VALU_DEP_2)
	v_fmac_f32_e32 v103, v70, v103
	v_cndmask_b32_e64 v70, v71, v101, s3
	v_cmp_eq_u32_e64 s3, 6, v69
	v_cndmask_b32_e64 v71, v70, v100, s4
	s_delay_alu instid0(VALU_DEP_4) | instskip(NEXT) | instid1(VALU_DEP_2)
	v_dual_mul_f32 v101, v99, v103 :: v_dual_lshlrev_b32 v70, 2, v66
	v_cndmask_b32_e64 v71, v71, v97, s5
	s_delay_alu instid0(VALU_DEP_2) | instskip(NEXT) | instid1(VALU_DEP_3)
	v_or_b32_e32 v72, 1, v70
	v_fma_f32 v100, -v98, v101, v99
	v_cmp_eq_u32_e64 s4, 1, v70
	v_cmp_eq_u32_e64 s5, 2, v70
	v_cndmask_b32_e64 v95, v71, v95, s6
	v_or_b32_e32 v71, 3, v70
	v_fmac_f32_e32 v101, v100, v103
	v_cmp_eq_u32_e64 s9, 1, v72
	v_cmp_eq_u32_e64 s12, 2, v72
	v_cndmask_b32_e64 v94, v95, v94, s3
	v_cmp_eq_u32_e64 s11, 1, v71
	v_fma_f32 v97, -v98, v101, v99
	v_cmp_eq_u32_e64 s16, 2, v71
	v_cmp_eq_u32_e64 s13, 3, v72
	v_cndmask_b32_e64 v94, v94, v96, s7
	v_cmp_eq_u32_e64 s18, 3, v71
	v_div_fmas_f32 v95, v97, v103, v101
	v_cmp_eq_u32_e32 vcc_lo, 3, v70
	v_cmp_eq_u32_e64 s3, 4, v70
	v_cmp_eq_u32_e64 s19, 4, v72
	;; [unrolled: 1-line block ×3, first 2 shown]
	v_div_fixup_f32 v95, v95, v74, 1.0
	v_lshlrev_b32_e32 v73, 6, v68
	v_cmp_eq_u32_e64 s6, 5, v70
	v_cmp_eq_u32_e64 s20, 5, v72
	;; [unrolled: 1-line block ×3, first 2 shown]
	v_mul_f32_e32 v102, v94, v95
	v_lshl_or_b32 v75, v69, 11, v73
	v_or_b32_e32 v69, 2, v70
	v_cmp_eq_u32_e64 s25, 6, v72
	v_cmp_eq_u32_e64 s27, 6, v71
	v_fma_mixlo_f16 v94, v102, v79, 0
	v_fma_mixlo_f16 v95, v102, v81, 0
	;; [unrolled: 1-line block ×8, first 2 shown]
	v_lshl_or_b32 v74, v66, 4, v75
	v_fma_mixhi_f16 v94, v102, v78, 0
	v_fma_mixhi_f16 v95, v102, v80, 0
	;; [unrolled: 1-line block ×8, first 2 shown]
	ds_store_b128 v74, v[94:97]
	ds_store_b128 v74, v[98:101] offset:1024
	s_waitcnt lgkmcnt(0)
	s_barrier
	buffer_gl0_inv
	ds_load_b128 v[78:81], v75
	ds_load_b128 v[82:85], v75 offset:16
	ds_load_b128 v[86:89], v75 offset:1024
	;; [unrolled: 1-line block ×3, first 2 shown]
	v_cmp_eq_u32_e64 s10, 1, v69
	v_cmp_eq_u32_e64 s15, 2, v69
	;; [unrolled: 1-line block ×11, first 2 shown]
	s_waitcnt lgkmcnt(3)
	v_lshrrev_b32_e32 v94, 16, v78
	s_waitcnt lgkmcnt(2)
	v_lshrrev_b32_e32 v98, 16, v82
	;; [unrolled: 2-line block ×4, first 2 shown]
	v_lshrrev_b32_e32 v95, 16, v79
	v_cndmask_b32_e64 v110, v78, v94, s4
	v_cndmask_b32_e64 v111, v82, v98, s4
	;; [unrolled: 1-line block ×8, first 2 shown]
	v_lshrrev_b32_e32 v99, 16, v83
	v_cndmask_b32_e64 v94, v86, v102, s4
	v_cndmask_b32_e64 v98, v90, v106, s4
	v_cndmask_b32_e64 v116, v86, v102, s9
	v_cndmask_b32_e64 v117, v90, v106, s9
	v_cndmask_b32_e64 v118, v86, v102, s10
	v_cndmask_b32_e64 v119, v90, v106, s10
	v_cndmask_b32_e64 v86, v86, v102, s11
	v_cndmask_b32_e64 v90, v90, v106, s11
	v_cndmask_b32_e64 v102, v110, v79, s5
	v_cndmask_b32_e64 v106, v111, v83, s5
	v_cndmask_b32_e64 v110, v112, v79, s12
	v_cndmask_b32_e64 v111, v113, v83, s12
	v_cndmask_b32_e64 v112, v114, v79, s15
	v_cndmask_b32_e64 v78, v78, v79, s16
	v_cndmask_b32_e64 v79, v82, v83, s16
	v_lshrrev_b32_e32 v103, 16, v87
	v_lshrrev_b32_e32 v107, 16, v91
	v_cndmask_b32_e64 v113, v115, v83, s15
	v_cndmask_b32_e64 v82, v94, v87, s5
	;; [unrolled: 1-line block ×7, first 2 shown]
	v_cndmask_b32_e32 v90, v102, v95, vcc_lo
	v_cndmask_b32_e32 v102, v106, v99, vcc_lo
	v_cndmask_b32_e64 v106, v110, v95, s13
	v_cndmask_b32_e64 v110, v111, v99, s13
	;; [unrolled: 1-line block ×4, first 2 shown]
	v_lshrrev_b32_e32 v96, 16, v80
	v_lshrrev_b32_e32 v100, 16, v84
	v_cndmask_b32_e64 v111, v112, v95, s17
	v_cndmask_b32_e64 v112, v113, v99, s17
	v_cndmask_b32_e32 v82, v82, v103, vcc_lo
	v_cndmask_b32_e32 v83, v83, v107, vcc_lo
	v_cndmask_b32_e64 v94, v94, v103, s13
	v_cndmask_b32_e64 v90, v90, v80, s3
	;; [unrolled: 1-line block ×7, first 2 shown]
	v_lshrrev_b32_e32 v104, 16, v88
	v_cndmask_b32_e64 v106, v111, v80, s21
	v_cndmask_b32_e64 v110, v112, v84, s21
	;; [unrolled: 1-line block ×11, first 2 shown]
	v_lshrrev_b32_e32 v97, 16, v81
	v_lshrrev_b32_e32 v101, 16, v85
	v_cndmask_b32_e64 v99, v106, v96, s23
	v_cndmask_b32_e64 v102, v110, v100, s23
	;; [unrolled: 1-line block ×7, first 2 shown]
	v_lshrrev_b32_e32 v105, 16, v89
	v_cndmask_b32_e64 v80, v80, v104, s6
	v_cndmask_b32_e64 v84, v84, v81, s7
	;; [unrolled: 1-line block ×16, first 2 shown]
	v_perm_b32 v81, v79, v78, 0x5040100
	v_perm_b32 v79, v95, v85, 0x5040100
	v_cndmask_b32_e64 v78, v119, v91, s15
	v_cndmask_b32_e64 v85, v117, v91, s12
	;; [unrolled: 1-line block ×3, first 2 shown]
	v_perm_b32 v80, v94, v90, 0x5040100
	v_cndmask_b32_e64 v90, v98, v103, s17
	v_cndmask_b32_e64 v86, v86, v103, s18
	;; [unrolled: 1-line block ×5, first 2 shown]
	v_lshrrev_b32_e32 v108, 16, v92
	v_cndmask_b32_e64 v90, v90, v88, s21
	v_cndmask_b32_e64 v86, v86, v88, s22
	;; [unrolled: 1-line block ×11, first 2 shown]
	v_lshrrev_b32_e32 v109, 16, v93
	v_cndmask_b32_e64 v82, v82, v93, s7
	v_cndmask_b32_e64 v88, v88, v89, s26
	;; [unrolled: 1-line block ×12, first 2 shown]
	v_perm_b32 v78, v84, v83, 0x5040100
	v_perm_b32 v85, v87, v86, 0x5040100
	;; [unrolled: 1-line block ×5, first 2 shown]
	s_mul_i32 s8, s33, 10
	s_mov_b32 s3, exec_lo
	ds_store_b128 v74, v[78:81]
	ds_store_b128 v74, v[82:85] offset:1024
	v_cmpx_gt_u32_e32 10, v0
	s_cbranch_execz .LBB1175_14
; %bb.13:
	s_mul_i32 s4, s8, s34
	s_delay_alu instid0(SALU_CYCLE_1) | instskip(SKIP_1) | instid1(VALU_DEP_1)
	v_add3_u32 v68, s4, s31, v68
	s_load_b128 s[4:7], s[0:1], 0x58
	v_mad_u64_u32 v[78:79], null, v68, s35, s[14:15]
	s_delay_alu instid0(VALU_DEP_1) | instskip(NEXT) | instid1(VALU_DEP_1)
	v_ashrrev_i32_e32 v79, 31, v78
	v_lshlrev_b64 v[78:79], 2, v[78:79]
	s_waitcnt lgkmcnt(0)
	s_delay_alu instid0(VALU_DEP_1) | instskip(NEXT) | instid1(VALU_DEP_2)
	v_add_co_u32 v80, vcc_lo, s6, v78
	v_add_co_ci_u32_e32 v81, vcc_lo, s7, v79, vcc_lo
	v_add_co_u32 v78, vcc_lo, s4, v78
	v_add_co_ci_u32_e32 v79, vcc_lo, s5, v79, vcc_lo
	global_store_b32 v[80:81], v76, off
	global_store_b32 v[78:79], v77, off
.LBB1175_14:
	s_or_b32 exec_lo, exec_lo, s3
	s_waitcnt lgkmcnt(0)
	s_waitcnt_vscnt null, 0x0
	s_barrier
	buffer_gl0_inv
	ds_load_b128 v[84:87], v73
	ds_load_b128 v[88:91], v73 offset:16
	ds_load_b128 v[96:99], v73 offset:2064
	;; [unrolled: 1-line block ×5, first 2 shown]
	v_cmp_eq_u32_e32 vcc_lo, 1, v70
	v_mov_b32_e32 v76, 0
	ds_load_b128 v[112:115], v73 offset:6160
	ds_load_b128 v[108:111], v73 offset:6144
	;; [unrolled: 1-line block ×4, first 2 shown]
	v_cmp_eq_u32_e64 s4, 1, v69
	v_cmp_eq_u32_e64 s3, 1, v72
	;; [unrolled: 1-line block ×3, first 2 shown]
	v_mov_b32_e32 v77, v76
	v_mov_b32_e32 v78, v76
	;; [unrolled: 1-line block ×7, first 2 shown]
	v_cmp_eq_u32_e64 s6, 3, v72
	v_cmp_eq_u32_e64 s7, 7, v72
	s_waitcnt lgkmcnt(8)
	s_delay_alu instid0(VALU_DEP_3)
	v_wmma_f32_16x16x16_f16 v[76:83], v[49:56], v[84:91], v[76:83]
	ds_load_b128 v[53:56], v73 offset:10256
	ds_load_b128 v[49:52], v73 offset:10240
	s_waitcnt lgkmcnt(8)
	v_wmma_f32_16x16x16_f16 v[76:83], v[41:48], v[92:99], v[76:83]
	ds_load_b128 v[45:48], v73 offset:12304
	ds_load_b128 v[41:44], v73 offset:12288
	s_waitcnt lgkmcnt(8)
	;; [unrolled: 4-line block ×3, first 2 shown]
	s_barrier
	buffer_gl0_inv
	v_wmma_f32_16x16x16_f16 v[76:83], v[1:8], v[108:115], v[76:83]
	s_delay_alu instid0(VALU_DEP_1) | instskip(NEXT) | instid1(VALU_DEP_1)
	v_wmma_f32_16x16x16_f16 v[76:83], v[9:16], v[116:123], v[76:83]
	v_wmma_f32_16x16x16_f16 v[76:83], v[17:24], v[49:56], v[76:83]
	s_delay_alu instid0(VALU_DEP_1) | instskip(NEXT) | instid1(VALU_DEP_1)
	v_wmma_f32_16x16x16_f16 v[76:83], v[25:32], v[41:48], v[76:83]
	v_wmma_f32_16x16x16_f16 v[76:83], v[57:64], v[33:40], v[76:83]
	s_delay_alu instid0(VALU_DEP_1) | instskip(NEXT) | instid1(VALU_DEP_2)
	v_cvt_f16_f32_e32 v1, v76
	v_cvt_f16_f32_e32 v2, v77
	s_delay_alu instid0(VALU_DEP_3) | instskip(NEXT) | instid1(VALU_DEP_4)
	v_cvt_f16_f32_e32 v3, v78
	v_cvt_f16_f32_e32 v4, v79
	;; [unrolled: 1-line block ×6, first 2 shown]
	v_pack_b32_f16 v1, v1, v2
	v_pack_b32_f16 v2, v3, v4
	v_pack_b32_f16 v3, v5, v6
	s_delay_alu instid0(VALU_DEP_4)
	v_pack_b32_f16 v4, v7, v8
	ds_store_b128 v74, v[1:4]
	s_waitcnt lgkmcnt(0)
	s_barrier
	buffer_gl0_inv
	ds_load_b128 v[1:4], v75
	ds_load_b128 v[5:8], v75 offset:16
	s_waitcnt lgkmcnt(1)
	v_lshrrev_b32_e32 v9, 16, v1
	s_waitcnt lgkmcnt(0)
	v_lshrrev_b32_e32 v13, 16, v5
	v_lshrrev_b32_e32 v10, 16, v2
	;; [unrolled: 1-line block ×4, first 2 shown]
	v_cndmask_b32_e32 v17, v1, v9, vcc_lo
	v_cndmask_b32_e32 v18, v5, v13, vcc_lo
	v_cndmask_b32_e64 v21, v1, v9, s4
	v_cmp_eq_u32_e32 vcc_lo, 1, v71
	v_cndmask_b32_e64 v22, v5, v13, s4
	v_cmp_eq_u32_e64 s4, 2, v70
	v_cndmask_b32_e64 v19, v1, v9, s3
	v_cndmask_b32_e64 v20, v5, v13, s3
	v_cndmask_b32_e32 v1, v1, v9, vcc_lo
	v_cmp_eq_u32_e64 s3, 2, v71
	v_cndmask_b32_e32 v5, v5, v13, vcc_lo
	v_cndmask_b32_e64 v9, v17, v2, s4
	v_cmp_eq_u32_e32 vcc_lo, 3, v70
	v_cndmask_b32_e64 v13, v18, v6, s4
	v_cmp_eq_u32_e64 s4, 2, v69
	v_cndmask_b32_e64 v17, v19, v2, s5
	v_cndmask_b32_e64 v18, v20, v6, s5
	v_cmp_eq_u32_e64 s5, 3, v69
	v_cndmask_b32_e64 v1, v1, v2, s3
	v_cndmask_b32_e64 v19, v21, v2, s4
	;; [unrolled: 1-line block ×4, first 2 shown]
	v_cndmask_b32_e32 v5, v9, v10, vcc_lo
	v_cndmask_b32_e32 v6, v13, v14, vcc_lo
	v_cmp_eq_u32_e32 vcc_lo, 3, v71
	v_cndmask_b32_e64 v9, v17, v10, s6
	v_cndmask_b32_e64 v13, v18, v14, s6
	v_cndmask_b32_e64 v18, v20, v14, s5
	v_cmp_eq_u32_e64 s4, 4, v70
	v_cndmask_b32_e32 v1, v1, v10, vcc_lo
	v_cndmask_b32_e32 v2, v2, v14, vcc_lo
	v_cmp_eq_u32_e32 vcc_lo, 4, v72
	v_lshrrev_b32_e32 v15, 16, v7
	v_lshrrev_b32_e32 v16, 16, v8
	v_cndmask_b32_e64 v17, v19, v10, s5
	v_cmp_eq_u32_e64 s3, 4, v71
	v_cndmask_b32_e64 v5, v5, v3, s4
	v_cndmask_b32_e64 v6, v6, v7, s4
	v_cndmask_b32_e32 v9, v9, v3, vcc_lo
	v_cmp_eq_u32_e64 s4, 5, v72
	v_cndmask_b32_e32 v10, v13, v7, vcc_lo
	v_cmp_eq_u32_e32 vcc_lo, 4, v69
	v_cmp_eq_u32_e64 s5, 5, v70
	v_cndmask_b32_e64 v2, v2, v7, s3
	v_cndmask_b32_e64 v9, v9, v11, s4
	v_cndmask_b32_e64 v10, v10, v15, s4
	v_cndmask_b32_e32 v13, v17, v3, vcc_lo
	v_cmp_eq_u32_e64 s4, 5, v69
	v_cndmask_b32_e32 v14, v18, v7, vcc_lo
	v_cndmask_b32_e64 v1, v1, v3, s3
	v_cmp_eq_u32_e32 vcc_lo, 5, v71
	v_lshrrev_b32_e32 v12, 16, v4
	v_cndmask_b32_e64 v13, v13, v11, s4
	v_cndmask_b32_e64 v3, v14, v15, s4
	v_cmp_eq_u32_e64 s4, 6, v71
	v_cndmask_b32_e32 v1, v1, v11, vcc_lo
	v_cndmask_b32_e64 v5, v5, v11, s5
	v_cmp_eq_u32_e64 s6, 6, v70
	v_cndmask_b32_e64 v6, v6, v15, s5
	v_cmp_eq_u32_e64 s5, 6, v72
	v_cmp_eq_u32_e64 s3, 6, v69
	v_cndmask_b32_e64 v1, v1, v4, s4
	v_cndmask_b32_e32 v2, v2, v15, vcc_lo
	v_cmp_eq_u32_e32 vcc_lo, 7, v71
	v_cndmask_b32_e64 v5, v5, v4, s6
	v_cndmask_b32_e64 v9, v9, v4, s5
	;; [unrolled: 1-line block ×3, first 2 shown]
	v_cmp_eq_u32_e64 s6, 7, v70
	v_cndmask_b32_e32 v1, v1, v12, vcc_lo
	v_cndmask_b32_e64 v7, v13, v4, s3
	v_cndmask_b32_e64 v3, v3, v8, s3
	;; [unrolled: 1-line block ×3, first 2 shown]
	v_cmp_eq_u32_e64 s3, 7, v69
	v_cndmask_b32_e64 v4, v10, v8, s5
	v_cndmask_b32_e64 v5, v5, v12, s6
	;; [unrolled: 1-line block ×3, first 2 shown]
	v_cndmask_b32_e32 v2, v2, v16, vcc_lo
	v_cndmask_b32_e64 v7, v7, v12, s3
	v_cndmask_b32_e64 v3, v3, v16, s3
	;; [unrolled: 1-line block ×4, first 2 shown]
	v_cmp_gt_u32_e32 vcc_lo, 32, v0
	v_perm_b32 v4, v2, v1, 0x5040100
	v_perm_b32 v3, v3, v7, 0x5040100
	;; [unrolled: 1-line block ×4, first 2 shown]
	s_and_b32 s2, vcc_lo, s2
	ds_store_b128 v74, v[1:4]
	s_waitcnt lgkmcnt(0)
	s_barrier
	buffer_gl0_inv
	s_and_saveexec_b32 s3, s2
	s_cbranch_execz .LBB1175_2
; %bb.15:
	s_load_b64 s[0:1], s[0:1], 0x68
	s_lshl_b32 s4, s35, 6
	v_or_b32_e32 v2, s31, v66
	s_mul_i32 s2, s4, s34
	v_lshlrev_b32_e32 v0, 10, v0
	s_mul_i32 s2, s2, s8
	v_lshlrev_b32_e32 v1, 4, v67
	s_ashr_i32 s3, s2, 31
	v_mul_lo_u32 v20, v2, s4
	s_lshl_b64 s[2:3], s[2:3], 1
	v_lshlrev_b32_e32 v3, 6, v66
	v_and_b32_e32 v0, 0x3800, v0
	s_delay_alu instid0(VALU_DEP_1) | instskip(NEXT) | instid1(VALU_DEP_4)
	v_or3_b32 v16, v0, v1, v3
	v_ashrrev_i32_e32 v21, 31, v20
	ds_load_b128 v[0:3], v16
	ds_load_b128 v[4:7], v16 offset:128
	s_waitcnt lgkmcnt(0)
	s_add_u32 s2, s0, s2
	s_addc_u32 s3, s1, s3
	s_lshl_b32 s0, s14, 6
	ds_load_b128 v[8:11], v16 offset:256
	ds_load_b128 v[12:15], v16 offset:384
	;; [unrolled: 1-line block ×3, first 2 shown]
	s_ashr_i32 s1, s0, 31
	s_delay_alu instid0(SALU_CYCLE_1) | instskip(NEXT) | instid1(SALU_CYCLE_1)
	s_lshl_b64 s[0:1], s[0:1], 1
	s_add_u32 s0, s2, s0
	s_addc_u32 s1, s3, s1
	s_lshl_b32 s2, s35, 7
	v_add_co_u32 v30, s0, s0, v65
	v_add_nc_u32_e32 v22, s2, v20
	v_lshlrev_b64 v[20:21], 1, v[20:21]
	v_add_co_ci_u32_e64 v31, null, s1, 0, s0
	s_delay_alu instid0(VALU_DEP_3) | instskip(SKIP_1) | instid1(VALU_DEP_4)
	v_add_nc_u32_e32 v24, s2, v22
	v_ashrrev_i32_e32 v23, 31, v22
	v_add_co_u32 v20, vcc_lo, v30, v20
	s_delay_alu instid0(VALU_DEP_4) | instskip(NEXT) | instid1(VALU_DEP_4)
	v_add_co_ci_u32_e32 v21, vcc_lo, v31, v21, vcc_lo
	v_add_nc_u32_e32 v26, s2, v24
	v_ashrrev_i32_e32 v25, 31, v24
	v_lshlrev_b64 v[22:23], 1, v[22:23]
	s_delay_alu instid0(VALU_DEP_3) | instskip(SKIP_1) | instid1(VALU_DEP_4)
	v_add_nc_u32_e32 v28, s2, v26
	v_ashrrev_i32_e32 v27, 31, v26
	v_lshlrev_b64 v[24:25], 1, v[24:25]
	s_delay_alu instid0(VALU_DEP_4) | instskip(NEXT) | instid1(VALU_DEP_4)
	v_add_co_u32 v22, vcc_lo, v30, v22
	v_ashrrev_i32_e32 v29, 31, v28
	s_delay_alu instid0(VALU_DEP_4) | instskip(SKIP_2) | instid1(VALU_DEP_4)
	v_lshlrev_b64 v[26:27], 1, v[26:27]
	v_add_co_ci_u32_e32 v23, vcc_lo, v31, v23, vcc_lo
	v_add_co_u32 v24, vcc_lo, v30, v24
	v_lshlrev_b64 v[28:29], 1, v[28:29]
	v_add_co_ci_u32_e32 v25, vcc_lo, v31, v25, vcc_lo
	v_add_co_u32 v26, vcc_lo, v30, v26
	v_add_co_ci_u32_e32 v27, vcc_lo, v31, v27, vcc_lo
	s_delay_alu instid0(VALU_DEP_4)
	v_add_co_u32 v28, vcc_lo, v30, v28
	v_add_co_ci_u32_e32 v29, vcc_lo, v31, v29, vcc_lo
	s_clause 0x1
	global_store_b128 v[20:21], v[0:3], off
	global_store_b128 v[22:23], v[4:7], off
	s_waitcnt lgkmcnt(2)
	global_store_b128 v[24:25], v[8:11], off
	s_waitcnt lgkmcnt(1)
	;; [unrolled: 2-line block ×3, first 2 shown]
	global_store_b128 v[28:29], v[16:19], off
	s_nop 0
	s_sendmsg sendmsg(MSG_DEALLOC_VGPRS)
	s_endpgm
	.section	.rodata,"a",@progbits
	.p2align	6, 0x0
	.amdhsa_kernel _Z39paged_attention_ll4mi_QKV_mfma16_kernelIDF16_hLN4vllm18Fp8KVCacheDataTypeE1EhLi32ELi64ELi256ELb0ELi10EL8MFMAType0EEvPKT_PKT0_S8_ifPKiSA_SA_iPKfiiiPfSD_PS3_PT2_iSC_SC_
		.amdhsa_group_segment_fixed_size 17472
		.amdhsa_private_segment_fixed_size 0
		.amdhsa_kernarg_size 400
		.amdhsa_user_sgpr_count 13
		.amdhsa_user_sgpr_dispatch_ptr 0
		.amdhsa_user_sgpr_queue_ptr 0
		.amdhsa_user_sgpr_kernarg_segment_ptr 1
		.amdhsa_user_sgpr_dispatch_id 0
		.amdhsa_user_sgpr_private_segment_size 0
		.amdhsa_wavefront_size32 1
		.amdhsa_uses_dynamic_stack 0
		.amdhsa_enable_private_segment 0
		.amdhsa_system_sgpr_workgroup_id_x 1
		.amdhsa_system_sgpr_workgroup_id_y 1
		.amdhsa_system_sgpr_workgroup_id_z 1
		.amdhsa_system_sgpr_workgroup_info 0
		.amdhsa_system_vgpr_workitem_id 0
		.amdhsa_next_free_vgpr 146
		.amdhsa_next_free_sgpr 38
		.amdhsa_reserve_vcc 1
		.amdhsa_float_round_mode_32 0
		.amdhsa_float_round_mode_16_64 0
		.amdhsa_float_denorm_mode_32 3
		.amdhsa_float_denorm_mode_16_64 3
		.amdhsa_dx10_clamp 1
		.amdhsa_ieee_mode 1
		.amdhsa_fp16_overflow 0
		.amdhsa_workgroup_processor_mode 1
		.amdhsa_memory_ordered 1
		.amdhsa_forward_progress 0
		.amdhsa_shared_vgpr_count 0
		.amdhsa_exception_fp_ieee_invalid_op 0
		.amdhsa_exception_fp_denorm_src 0
		.amdhsa_exception_fp_ieee_div_zero 0
		.amdhsa_exception_fp_ieee_overflow 0
		.amdhsa_exception_fp_ieee_underflow 0
		.amdhsa_exception_fp_ieee_inexact 0
		.amdhsa_exception_int_div_zero 0
	.end_amdhsa_kernel
	.section	.text._Z39paged_attention_ll4mi_QKV_mfma16_kernelIDF16_hLN4vllm18Fp8KVCacheDataTypeE1EhLi32ELi64ELi256ELb0ELi10EL8MFMAType0EEvPKT_PKT0_S8_ifPKiSA_SA_iPKfiiiPfSD_PS3_PT2_iSC_SC_,"axG",@progbits,_Z39paged_attention_ll4mi_QKV_mfma16_kernelIDF16_hLN4vllm18Fp8KVCacheDataTypeE1EhLi32ELi64ELi256ELb0ELi10EL8MFMAType0EEvPKT_PKT0_S8_ifPKiSA_SA_iPKfiiiPfSD_PS3_PT2_iSC_SC_,comdat
.Lfunc_end1175:
	.size	_Z39paged_attention_ll4mi_QKV_mfma16_kernelIDF16_hLN4vllm18Fp8KVCacheDataTypeE1EhLi32ELi64ELi256ELb0ELi10EL8MFMAType0EEvPKT_PKT0_S8_ifPKiSA_SA_iPKfiiiPfSD_PS3_PT2_iSC_SC_, .Lfunc_end1175-_Z39paged_attention_ll4mi_QKV_mfma16_kernelIDF16_hLN4vllm18Fp8KVCacheDataTypeE1EhLi32ELi64ELi256ELb0ELi10EL8MFMAType0EEvPKT_PKT0_S8_ifPKiSA_SA_iPKfiiiPfSD_PS3_PT2_iSC_SC_
                                        ; -- End function
	.section	.AMDGPU.csdata,"",@progbits
; Kernel info:
; codeLenInByte = 6548
; NumSgprs: 40
; NumVgprs: 146
; ScratchSize: 0
; MemoryBound: 0
; FloatMode: 240
; IeeeMode: 1
; LDSByteSize: 17472 bytes/workgroup (compile time only)
; SGPRBlocks: 4
; VGPRBlocks: 18
; NumSGPRsForWavesPerEU: 40
; NumVGPRsForWavesPerEU: 146
; Occupancy: 9
; WaveLimiterHint : 1
; COMPUTE_PGM_RSRC2:SCRATCH_EN: 0
; COMPUTE_PGM_RSRC2:USER_SGPR: 13
; COMPUTE_PGM_RSRC2:TRAP_HANDLER: 0
; COMPUTE_PGM_RSRC2:TGID_X_EN: 1
; COMPUTE_PGM_RSRC2:TGID_Y_EN: 1
; COMPUTE_PGM_RSRC2:TGID_Z_EN: 1
; COMPUTE_PGM_RSRC2:TIDIG_COMP_CNT: 0
	.section	.text._Z39paged_attention_ll4mi_QKV_mfma16_kernelIDF16_hLN4vllm18Fp8KVCacheDataTypeE1EhLi32ELi64ELi256ELb0ELi11EL8MFMAType0EEvPKT_PKT0_S8_ifPKiSA_SA_iPKfiiiPfSD_PS3_PT2_iSC_SC_,"axG",@progbits,_Z39paged_attention_ll4mi_QKV_mfma16_kernelIDF16_hLN4vllm18Fp8KVCacheDataTypeE1EhLi32ELi64ELi256ELb0ELi11EL8MFMAType0EEvPKT_PKT0_S8_ifPKiSA_SA_iPKfiiiPfSD_PS3_PT2_iSC_SC_,comdat
	.protected	_Z39paged_attention_ll4mi_QKV_mfma16_kernelIDF16_hLN4vllm18Fp8KVCacheDataTypeE1EhLi32ELi64ELi256ELb0ELi11EL8MFMAType0EEvPKT_PKT0_S8_ifPKiSA_SA_iPKfiiiPfSD_PS3_PT2_iSC_SC_ ; -- Begin function _Z39paged_attention_ll4mi_QKV_mfma16_kernelIDF16_hLN4vllm18Fp8KVCacheDataTypeE1EhLi32ELi64ELi256ELb0ELi11EL8MFMAType0EEvPKT_PKT0_S8_ifPKiSA_SA_iPKfiiiPfSD_PS3_PT2_iSC_SC_
	.globl	_Z39paged_attention_ll4mi_QKV_mfma16_kernelIDF16_hLN4vllm18Fp8KVCacheDataTypeE1EhLi32ELi64ELi256ELb0ELi11EL8MFMAType0EEvPKT_PKT0_S8_ifPKiSA_SA_iPKfiiiPfSD_PS3_PT2_iSC_SC_
	.p2align	8
	.type	_Z39paged_attention_ll4mi_QKV_mfma16_kernelIDF16_hLN4vllm18Fp8KVCacheDataTypeE1EhLi32ELi64ELi256ELb0ELi11EL8MFMAType0EEvPKT_PKT0_S8_ifPKiSA_SA_iPKfiiiPfSD_PS3_PT2_iSC_SC_,@function
_Z39paged_attention_ll4mi_QKV_mfma16_kernelIDF16_hLN4vllm18Fp8KVCacheDataTypeE1EhLi32ELi64ELi256ELb0ELi11EL8MFMAType0EEvPKT_PKT0_S8_ifPKiSA_SA_iPKfiiiPfSD_PS3_PT2_iSC_SC_: ; @_Z39paged_attention_ll4mi_QKV_mfma16_kernelIDF16_hLN4vllm18Fp8KVCacheDataTypeE1EhLi32ELi64ELi256ELb0ELi11EL8MFMAType0EEvPKT_PKT0_S8_ifPKiSA_SA_iPKfiiiPfSD_PS3_PT2_iSC_SC_
; %bb.0:
	s_load_b64 s[2:3], s[0:1], 0x30
	s_mov_b32 s34, s13
	s_waitcnt lgkmcnt(0)
	s_cmp_lg_u64 s[2:3], 0
	s_cselect_b32 s6, -1, 0
	s_ashr_i32 s35, s13, 31
	s_cmp_eq_u64 s[2:3], 0
	s_cbranch_scc1 .LBB1176_3
; %bb.1:
	s_lshl_b64 s[4:5], s[34:35], 2
	s_delay_alu instid0(SALU_CYCLE_1) | instskip(SKIP_4) | instid1(SALU_CYCLE_1)
	s_add_u32 s4, s2, s4
	s_addc_u32 s5, s3, s5
	s_load_b64 s[4:5], s[4:5], 0x0
	s_waitcnt lgkmcnt(0)
	s_sub_i32 s4, s5, s4
	s_cmp_eq_u32 s4, 1
	s_cselect_b32 s4, -1, 0
	s_delay_alu instid0(SALU_CYCLE_1)
	s_and_not1_b32 vcc_lo, exec_lo, s4
	s_cbranch_vccz .LBB1176_4
.LBB1176_2:
	s_nop 0
	s_sendmsg sendmsg(MSG_DEALLOC_VGPRS)
	s_endpgm
.LBB1176_3:
.LBB1176_4:
	s_load_b64 s[8:9], s[0:1], 0x28
	s_lshl_b64 s[4:5], s[34:35], 2
	s_waitcnt lgkmcnt(0)
	s_add_u32 s8, s8, s4
	s_addc_u32 s9, s9, s5
	s_lshl_b32 s16, s14, 8
	s_load_b32 s18, s[8:9], 0x0
	s_waitcnt lgkmcnt(0)
	s_cmp_ge_i32 s16, s18
	s_cbranch_scc1 .LBB1176_2
; %bb.5:
	s_clause 0x1
	s_load_b128 s[8:11], s[0:1], 0x8
	s_load_b64 s[12:13], s[0:1], 0x20
	s_and_not1_b32 vcc_lo, exec_lo, s6
	s_cbranch_vccnz .LBB1176_7
; %bb.6:
	s_add_u32 s2, s2, s4
	s_addc_u32 s3, s3, s5
	s_load_b32 s3, s[2:3], 0x0
	s_branch .LBB1176_8
.LBB1176_7:
	s_mov_b32 s3, s34
.LBB1176_8:
	s_load_b128 s[4:7], s[0:1], 0x48
	v_lshrrev_b32_e32 v69, 5, v0
	v_bfe_u32 v66, v0, 4, 1
	v_and_b32_e32 v68, 15, v0
	v_and_b32_e32 v70, 31, v0
	;; [unrolled: 1-line block ×3, first 2 shown]
	s_mul_i32 s33, s15, 11
	v_lshl_or_b32 v1, v69, 1, v66
	v_lshlrev_b32_e32 v2, 3, v68
	v_cmp_gt_u32_e64 s2, 8, v68
	s_delay_alu instid0(VALU_DEP_3) | instskip(NEXT) | instid1(VALU_DEP_3)
	v_cmp_gt_u32_e32 vcc_lo, 11, v1
	v_lshlrev_b32_e32 v65, 1, v2
	s_delay_alu instid0(VALU_DEP_3)
	s_and_b32 s17, s2, vcc_lo
	s_waitcnt lgkmcnt(0)
	s_and_saveexec_b32 s7, s17
	s_cbranch_execz .LBB1176_10
; %bb.9:
	s_load_b64 s[20:21], s[0:1], 0x0
	v_add_lshl_u32 v2, v1, s33, 6
	s_mul_hi_i32 s23, s3, s4
	s_mul_i32 s22, s3, s4
	v_lshlrev_b32_e32 v6, 10, v68
	s_lshl_b64 s[22:23], s[22:23], 1
	v_ashrrev_i32_e32 v3, 31, v2
	v_lshlrev_b32_e32 v1, 6, v1
	v_lshlrev_b32_e32 v7, 10, v67
	v_and_b32_e32 v6, 0x3800, v6
	s_delay_alu instid0(VALU_DEP_4) | instskip(NEXT) | instid1(VALU_DEP_2)
	v_lshlrev_b64 v[2:3], 1, v[2:3]
	v_or3_b32 v1, v6, v7, v1
	s_waitcnt lgkmcnt(0)
	s_add_u32 s3, s20, s22
	s_addc_u32 s4, s21, s23
	s_delay_alu instid0(VALU_DEP_2) | instskip(SKIP_1) | instid1(VALU_DEP_2)
	v_add_co_u32 v2, vcc_lo, s3, v2
	v_add_co_ci_u32_e32 v3, vcc_lo, s4, v3, vcc_lo
	v_add_co_u32 v2, vcc_lo, v2, v65
	s_delay_alu instid0(VALU_DEP_2)
	v_add_co_ci_u32_e32 v3, vcc_lo, 0, v3, vcc_lo
	global_load_b128 v[2:5], v[2:3], off
	s_waitcnt vmcnt(0)
	ds_store_b128 v1, v[2:5]
.LBB1176_10:
	s_or_b32 exec_lo, exec_lo, s7
	v_and_b32_e32 v1, 0xef, v0
	s_add_i32 s3, s18, 31
	s_clause 0x1
	s_load_b32 s4, s[0:1], 0x38
	s_load_b32 s35, s[0:1], 0x98
	s_ashr_i32 s7, s3, 31
	v_add_nc_u32_e32 v1, s16, v1
	s_lshr_b32 s7, s7, 27
	s_load_b32 s19, s[0:1], 0x1c
	v_add_nc_u32_e32 v103, -11, v68
	s_add_i32 s3, s3, s7
	v_ashrrev_i32_e32 v2, 31, v1
	v_or_b32_e32 v3, 16, v1
	s_ashr_i32 s3, s3, 5
	v_cmp_gt_i32_e32 vcc_lo, s18, v1
	s_add_i32 s3, s3, -1
	v_lshrrev_b32_e32 v2, 27, v2
	s_waitcnt lgkmcnt(0)
	s_barrier
	buffer_gl0_inv
	s_mul_i32 s15, s15, s6
	v_add_nc_u32_e32 v4, v1, v2
	v_mbcnt_lo_u32_b32 v127, -1, 0
	s_mul_i32 s20, s34, s4
	s_delay_alu instid0(SALU_CYCLE_1) | instskip(NEXT) | instid1(VALU_DEP_2)
	s_ashr_i32 s21, s20, 31
	v_ashrrev_i32_e32 v4, 5, v4
	v_add_nc_u32_e32 v2, v3, v2
	s_lshl_b64 s[20:21], s[20:21], 2
	v_xor_b32_e32 v128, 16, v127
	s_add_u32 s17, s12, s20
	v_cndmask_b32_e32 v1, s3, v4, vcc_lo
	v_ashrrev_i32_e32 v2, 5, v2
	v_cmp_gt_i32_e32 vcc_lo, s18, v3
	s_addc_u32 s13, s13, s21
	s_ashr_i32 s20, s15, 31
	s_add_u32 s22, s8, s15
	s_addc_u32 s23, s9, s20
	v_cndmask_b32_e32 v3, s3, v2, vcc_lo
	v_ashrrev_i32_e32 v2, 31, v1
	s_lshl_b32 s6, s14, 3
	s_delay_alu instid0(SALU_CYCLE_1) | instskip(NEXT) | instid1(VALU_DEP_2)
	s_ashr_i32 s7, s6, 31
	v_ashrrev_i32_e32 v4, 31, v3
	s_delay_alu instid0(VALU_DEP_2) | instskip(SKIP_1) | instid1(SALU_CYCLE_1)
	v_lshlrev_b64 v[1:2], 2, v[1:2]
	s_lshl_b64 s[6:7], s[6:7], 2
	s_add_u32 s6, s17, s6
	s_delay_alu instid0(VALU_DEP_2) | instskip(SKIP_1) | instid1(VALU_DEP_2)
	v_lshlrev_b64 v[3:4], 2, v[3:4]
	s_addc_u32 s7, s13, s7
	v_add_co_u32 v1, vcc_lo, s17, v1
	v_add_co_ci_u32_e32 v2, vcc_lo, s13, v2, vcc_lo
	s_delay_alu instid0(VALU_DEP_3) | instskip(NEXT) | instid1(VALU_DEP_4)
	v_add_co_u32 v3, vcc_lo, s17, v3
	v_add_co_ci_u32_e32 v4, vcc_lo, s13, v4, vcc_lo
	s_clause 0x1
	global_load_b32 v5, v[1:2], off
	global_load_b32 v6, v[3:4], off
	s_or_b32 s4, s16, 32
	s_delay_alu instid0(SALU_CYCLE_1) | instskip(SKIP_2) | instid1(SALU_CYCLE_1)
	s_ashr_i32 s8, s4, 5
	s_cmp_lt_i32 s4, s18
	s_cselect_b32 s8, s8, s3
	s_ashr_i32 s9, s8, 31
	s_delay_alu instid0(SALU_CYCLE_1) | instskip(NEXT) | instid1(SALU_CYCLE_1)
	s_lshl_b64 s[8:9], s[8:9], 2
	s_add_u32 s8, s17, s8
	s_addc_u32 s9, s13, s9
	s_or_b32 s4, s16, 64
	s_delay_alu instid0(SALU_CYCLE_1) | instskip(SKIP_2) | instid1(SALU_CYCLE_1)
	s_ashr_i32 s12, s4, 5
	s_cmp_lt_i32 s4, s18
	s_cselect_b32 s24, s12, s3
	s_ashr_i32 s25, s24, 31
	s_delay_alu instid0(SALU_CYCLE_1) | instskip(NEXT) | instid1(SALU_CYCLE_1)
	s_lshl_b64 s[24:25], s[24:25], 2
	s_add_u32 s24, s17, s24
	s_addc_u32 s25, s13, s25
	;; [unrolled: 10-line block ×5, first 2 shown]
	s_clause 0x5
	s_load_b32 s12, s[6:7], 0x0
	s_load_b32 s4, s[8:9], 0x0
	;; [unrolled: 1-line block ×6, first 2 shown]
	s_or_b32 s21, s16, 0xc0
	s_waitcnt vmcnt(1)
	v_mad_i64_i32 v[1:2], null, v5, s5, s[22:23]
	v_lshlrev_b32_e32 v5, 4, v68
	s_waitcnt vmcnt(0)
	v_mad_i64_i32 v[3:4], null, v6, s5, s[22:23]
	s_ashr_i32 s22, s21, 5
	s_cmp_lt_i32 s21, s18
	s_delay_alu instid0(VALU_DEP_3) | instskip(NEXT) | instid1(VALU_DEP_4)
	v_add_co_u32 v1, vcc_lo, v1, v5
	v_add_co_ci_u32_e32 v2, vcc_lo, 0, v2, vcc_lo
	s_delay_alu instid0(VALU_DEP_3) | instskip(NEXT) | instid1(VALU_DEP_4)
	v_add_co_u32 v3, vcc_lo, v3, v5
	v_add_co_ci_u32_e32 v4, vcc_lo, 0, v4, vcc_lo
	s_clause 0x7
	global_load_b128 v[71:74], v[1:2], off
	global_load_b128 v[75:78], v[1:2], off offset:512
	global_load_b128 v[79:82], v[3:4], off offset:256
	;; [unrolled: 1-line block ×7, first 2 shown]
	s_cselect_b32 s22, s22, s3
	v_lshlrev_b32_e32 v1, 5, v68
	s_ashr_i32 s23, s22, 31
	v_cmp_gt_u32_e32 vcc_lo, 11, v68
	s_lshl_b64 s[22:23], s[22:23], 2
	s_delay_alu instid0(SALU_CYCLE_1)
	s_add_u32 s22, s17, s22
	s_addc_u32 s23, s13, s23
	s_or_b32 s21, s16, 0xe0
	v_lshl_or_b32 v1, v69, 9, v1
	s_ashr_i32 s24, s21, 5
	s_cmp_lt_i32 s21, s18
	v_cndmask_b32_e32 v103, v103, v68, vcc_lo
	s_cselect_b32 s24, s24, s3
	s_load_b32 s3, s[22:23], 0x0
	s_ashr_i32 s25, s24, 31
	v_cmp_gt_i32_e32 vcc_lo, 32, v128
	s_lshl_b64 s[24:25], s[24:25], 2
	v_lshlrev_b32_e32 v115, 6, v103
	s_add_u32 s22, s17, s24
	s_addc_u32 s23, s13, s25
	v_cndmask_b32_e32 v136, v127, v128, vcc_lo
	s_add_u32 s10, s10, s15
	s_addc_u32 s11, s11, s20
	v_add_co_u32 v1, s10, s10, v1
	s_delay_alu instid0(VALU_DEP_1) | instskip(SKIP_2) | instid1(VALU_DEP_1)
	v_add_co_ci_u32_e64 v2, null, s11, 0, s10
	s_load_b32 s10, s[22:23], 0x0
	s_waitcnt lgkmcnt(0)
	v_mad_i64_i32 v[3:4], null, s12, s5, v[1:2]
	v_mad_i64_i32 v[9:10], null, s7, s5, v[1:2]
	;; [unrolled: 1-line block ×7, first 2 shown]
	s_clause 0x5
	global_load_b128 v[49:52], v[3:4], off
	global_load_b128 v[53:56], v[3:4], off offset:16
	global_load_b128 v[41:44], v[5:6], off
	global_load_b128 v[45:48], v[5:6], off offset:16
	;; [unrolled: 2-line block ×3, first 2 shown]
	s_mov_b32 s4, 0
	v_mad_i64_i32 v[61:62], null, s10, s5, v[1:2]
	s_clause 0x9
	global_load_b128 v[1:4], v[9:10], off
	global_load_b128 v[5:8], v[9:10], off offset:16
	global_load_b128 v[9:12], v[13:14], off
	global_load_b128 v[13:16], v[13:14], off offset:16
	;; [unrolled: 2-line block ×5, first 2 shown]
	s_mov_b32 s5, s4
	s_mov_b32 s6, s4
	;; [unrolled: 1-line block ×7, first 2 shown]
	v_and_b32_e32 v104, 0xe0, v0
	v_dual_mov_b32 v126, s11 :: v_dual_mov_b32 v125, s10
	v_dual_mov_b32 v124, s9 :: v_dual_mov_b32 v123, s8
	s_delay_alu instid0(VALU_DEP_3)
	v_add_nc_u32_e32 v111, s16, v104
	ds_load_b128 v[103:106], v115
	ds_load_b128 v[107:110], v115 offset:1024
	v_dual_mov_b32 v122, s7 :: v_dual_mov_b32 v121, s6
	v_mov_b32_e32 v120, s5
	v_or_b32_e32 v135, v111, v66
	ds_load_b128 v[111:114], v115 offset:2048
	ds_load_b128 v[115:118], v115 offset:3072
	v_mov_b32_e32 v119, s4
	s_waitcnt vmcnt(0) lgkmcnt(0)
	s_barrier
	v_or_b32_e32 v137, 2, v135
	v_or_b32_e32 v138, 4, v135
	;; [unrolled: 1-line block ×3, first 2 shown]
	v_cmp_gt_i32_e32 vcc_lo, s18, v135
	v_or_b32_e32 v140, 8, v135
	v_cmp_gt_i32_e64 s3, s18, v137
	v_or_b32_e32 v141, 10, v135
	v_cmp_gt_i32_e64 s4, s18, v138
	v_cmp_gt_i32_e64 s5, s18, v139
	v_or_b32_e32 v142, 12, v135
	v_or_b32_e32 v143, 14, v135
	v_cmp_gt_i32_e64 s6, s18, v140
	v_cmp_gt_i32_e64 s7, s18, v141
	v_or_b32_e32 v144, 16, v135
	v_or_b32_e32 v145, 18, v135
	v_cmp_gt_i32_e64 s8, s18, v142
	v_cmp_gt_i32_e64 s9, s18, v143
	buffer_gl0_inv
	v_cmp_gt_i32_e64 s10, s18, v144
	v_cmp_gt_i32_e64 s11, s18, v145
	v_wmma_f32_16x16x16_f16 v[127:134], v[71:78], v[103:110], v[119:126]
	v_wmma_f32_16x16x16_f16 v[119:126], v[79:86], v[103:110], v[119:126]
	v_or_b32_e32 v71, 20, v135
	v_or_b32_e32 v72, 22, v135
	s_delay_alu instid0(VALU_DEP_4)
	v_wmma_f32_16x16x16_f16 v[127:134], v[87:94], v[111:118], v[127:134]
	v_or_b32_e32 v73, 24, v135
	v_wmma_f32_16x16x16_f16 v[119:126], v[95:102], v[111:118], v[119:126]
	v_or_b32_e32 v74, 26, v135
	v_cmp_gt_i32_e64 s12, s18, v71
	v_dual_mul_f32 v83, s19, v128 :: v_dual_mul_f32 v84, s19, v127
	s_delay_alu instid0(VALU_DEP_4) | instskip(SKIP_1) | instid1(VALU_DEP_3)
	v_dual_mul_f32 v81, s19, v130 :: v_dual_mul_f32 v92, s19, v119
	v_mul_f32_e32 v82, s19, v129
	v_cndmask_b32_e64 v83, 0xff7fffff, v83, s3
	s_delay_alu instid0(VALU_DEP_4)
	v_cndmask_b32_e32 v84, 0xff7fffff, v84, vcc_lo
	v_dual_mul_f32 v79, s19, v132 :: v_dual_mul_f32 v90, s19, v121
	v_mul_f32_e32 v80, s19, v131
	v_cndmask_b32_e64 v82, 0xff7fffff, v82, s4
	v_cndmask_b32_e64 v81, 0xff7fffff, v81, s5
	v_max3_f32 v83, v84, 0xff7fffff, v83
	v_dual_mul_f32 v77, s19, v134 :: v_dual_mul_f32 v88, s19, v123
	v_mul_f32_e32 v78, s19, v133
	v_cndmask_b32_e64 v80, 0xff7fffff, v80, s6
	v_cndmask_b32_e64 v79, 0xff7fffff, v79, s7
	v_max3_f32 v81, v83, v82, v81
	v_mul_f32_e32 v91, s19, v120
	v_cndmask_b32_e64 v78, 0xff7fffff, v78, s8
	v_cndmask_b32_e64 v77, 0xff7fffff, v77, s9
	v_mul_f32_e32 v89, s19, v122
	v_max3_f32 v79, v81, v80, v79
	v_cndmask_b32_e64 v80, 0xff7fffff, v92, s10
	v_cndmask_b32_e64 v81, 0xff7fffff, v91, s11
	v_cmp_gt_i32_e64 s13, s18, v72
	v_or_b32_e32 v75, 28, v135
	v_max3_f32 v77, v79, v78, v77
	v_or_b32_e32 v76, 30, v135
	v_mul_f32_e32 v87, s19, v124
	v_cndmask_b32_e64 v71, 0xff7fffff, v90, s12
	v_cndmask_b32_e64 v72, 0xff7fffff, v89, s13
	v_max3_f32 v77, v77, v80, v81
	v_cmp_gt_i32_e64 s15, s18, v73
	v_cmp_gt_i32_e64 s16, s18, v74
	v_dual_mul_f32 v85, s19, v126 :: v_dual_mul_f32 v86, s19, v125
	s_delay_alu instid0(VALU_DEP_4) | instskip(NEXT) | instid1(VALU_DEP_4)
	v_max3_f32 v71, v77, v71, v72
	v_cndmask_b32_e64 v73, 0xff7fffff, v88, s15
	s_delay_alu instid0(VALU_DEP_4) | instskip(SKIP_2) | instid1(VALU_DEP_3)
	v_cndmask_b32_e64 v74, 0xff7fffff, v87, s16
	v_cmp_gt_i32_e64 s17, s18, v75
	v_cmp_gt_i32_e64 s18, s18, v76
	v_max3_f32 v71, v71, v73, v74
	s_delay_alu instid0(VALU_DEP_3) | instskip(NEXT) | instid1(VALU_DEP_3)
	v_cndmask_b32_e64 v72, 0xff7fffff, v86, s17
	v_cndmask_b32_e64 v75, 0xff7fffff, v85, s18
	v_lshlrev_b32_e32 v73, 2, v136
	s_delay_alu instid0(VALU_DEP_2) | instskip(SKIP_3) | instid1(VALU_DEP_1)
	v_max3_f32 v71, v71, v72, v75
	ds_bpermute_b32 v72, v73, v71
	s_waitcnt lgkmcnt(0)
	v_max_f32_e32 v72, v72, v72
	v_max_f32_e32 v71, v71, v72
	s_delay_alu instid0(VALU_DEP_1)
	v_fma_f32 v72, s19, v127, -v71
	v_fma_f32 v74, s19, v128, -v71
	;; [unrolled: 1-line block ×5, first 2 shown]
	v_mul_f32_e32 v72, 0x3fb8aa3b, v72
	v_mul_f32_e32 v74, 0x3fb8aa3b, v74
	v_fma_f32 v80, s19, v133, -v71
	s_delay_alu instid0(VALU_DEP_4) | instskip(NEXT) | instid1(VALU_DEP_4)
	v_dual_mul_f32 v76, 0x3fb8aa3b, v76 :: v_dual_mul_f32 v77, 0x3fb8aa3b, v77
	v_exp_f32_e32 v72, v72
	s_delay_alu instid0(VALU_DEP_3) | instskip(NEXT) | instid1(VALU_DEP_2)
	v_exp_f32_e32 v74, v74
	v_mul_f32_e32 v82, 0x3fb8aa3b, v80
	s_delay_alu instid0(VALU_DEP_2) | instskip(SKIP_1) | instid1(VALU_DEP_1)
	v_exp_f32_e32 v76, v76
	v_exp_f32_e32 v77, v77
	;; [unrolled: 1-line block ×3, first 2 shown]
	v_cndmask_b32_e32 v79, 0, v72, vcc_lo
	v_fma_f32 v72, s19, v132, -v71
	v_mul_f32_e32 v75, 0x3fb8aa3b, v75
	v_cndmask_b32_e64 v78, 0, v74, s3
	s_delay_alu instid0(TRANS32_DEP_3)
	v_cndmask_b32_e64 v80, 0, v76, s5
	v_add_f32_e32 v74, 0, v79
	v_mul_f32_e32 v72, 0x3fb8aa3b, v72
	v_exp_f32_e32 v75, v75
	v_cndmask_b32_e64 v83, 0, v77, s6
	v_cndmask_b32_e64 v85, 0, v84, s8
	v_add_f32_e32 v74, v74, v78
	v_exp_f32_e32 v72, v72
	v_cmp_gt_u32_e64 s3, 16, v70
	s_waitcnt_depctr 0xfff
	v_cndmask_b32_e64 v81, 0, v75, s4
	v_cndmask_b32_e64 v82, 0, v72, s7
	s_delay_alu instid0(VALU_DEP_2) | instskip(NEXT) | instid1(VALU_DEP_1)
	v_add_f32_e32 v74, v74, v81
	v_add_f32_e32 v74, v74, v80
	s_delay_alu instid0(VALU_DEP_1) | instskip(SKIP_4) | instid1(VALU_DEP_4)
	v_add_f32_e32 v72, v74, v83
	v_fma_f32 v75, s19, v134, -v71
	v_fma_f32 v76, s19, v119, -v71
	;; [unrolled: 1-line block ×4, first 2 shown]
	v_dual_add_f32 v72, v72, v82 :: v_dual_mul_f32 v75, 0x3fb8aa3b, v75
	s_delay_alu instid0(VALU_DEP_3) | instskip(SKIP_1) | instid1(VALU_DEP_3)
	v_dual_mul_f32 v76, 0x3fb8aa3b, v76 :: v_dual_mul_f32 v77, 0x3fb8aa3b, v77
	v_fma_f32 v86, s19, v122, -v71
	v_add_f32_e32 v72, v72, v85
	s_delay_alu instid0(VALU_DEP_4) | instskip(NEXT) | instid1(VALU_DEP_3)
	v_exp_f32_e32 v75, v75
	v_exp_f32_e32 v76, v76
	;; [unrolled: 1-line block ×3, first 2 shown]
	v_mul_f32_e32 v86, 0x3fb8aa3b, v86
	s_delay_alu instid0(VALU_DEP_1) | instskip(SKIP_3) | instid1(TRANS32_DEP_3)
	v_exp_f32_e32 v88, v86
	v_cndmask_b32_e64 v84, 0, v75, s9
	v_fma_f32 v75, s19, v123, -v71
	v_mul_f32_e32 v74, 0x3fb8aa3b, v74
	v_cndmask_b32_e64 v87, 0, v76, s10
	v_fma_f32 v76, s19, v124, -v71
	s_delay_alu instid0(VALU_DEP_4) | instskip(NEXT) | instid1(VALU_DEP_4)
	v_dual_add_f32 v72, v72, v84 :: v_dual_mul_f32 v75, 0x3fb8aa3b, v75
	v_exp_f32_e32 v74, v74
	v_cndmask_b32_e64 v86, 0, v77, s11
	v_fma_f32 v77, s19, v125, -v71
	s_delay_alu instid0(VALU_DEP_3) | instskip(SKIP_3) | instid1(VALU_DEP_3)
	v_add_f32_e32 v72, v72, v87
	v_mul_f32_e32 v76, 0x3fb8aa3b, v76
	v_exp_f32_e32 v75, v75
	v_cndmask_b32_e64 v88, 0, v88, s13
	v_add_f32_e32 v72, v72, v86
	s_delay_alu instid0(VALU_DEP_3) | instskip(NEXT) | instid1(TRANS32_DEP_3)
	v_exp_f32_e32 v76, v76
	v_cndmask_b32_e64 v89, 0, v74, s12
	v_mul_f32_e32 v74, 0x3fb8aa3b, v77
	v_fma_f32 v77, s19, v126, -v71
	s_delay_alu instid0(VALU_DEP_3) | instskip(NEXT) | instid1(VALU_DEP_3)
	v_add_f32_e32 v72, v72, v89
	v_exp_f32_e32 v74, v74
	s_delay_alu instid0(TRANS32_DEP_3) | instskip(NEXT) | instid1(VALU_DEP_3)
	v_cndmask_b32_e64 v91, 0, v75, s15
	v_mul_f32_e32 v75, 0x3fb8aa3b, v77
	s_delay_alu instid0(TRANS32_DEP_2) | instskip(SKIP_1) | instid1(VALU_DEP_3)
	v_cndmask_b32_e64 v90, 0, v76, s16
	v_add_f32_e32 v72, v72, v88
	v_exp_f32_e32 v75, v75
	s_delay_alu instid0(VALU_DEP_1) | instskip(NEXT) | instid1(TRANS32_DEP_2)
	v_add_f32_e32 v72, v72, v91
	v_cndmask_b32_e64 v93, 0, v74, s17
	s_delay_alu instid0(VALU_DEP_2) | instskip(SKIP_3) | instid1(VALU_DEP_1)
	v_add_f32_e32 v72, v72, v90
	s_waitcnt_depctr 0xfff
	v_cndmask_b32_e64 v92, 0, v75, s18
	v_add_f32_e32 v72, v72, v93
	v_add_f32_e32 v72, v72, v92
	ds_bpermute_b32 v73, v73, v72
	s_and_saveexec_b32 s4, s3
	s_cbranch_execz .LBB1176_12
; %bb.11:
	v_mul_u32_u24_e32 v70, 0x44, v69
	s_waitcnt lgkmcnt(0)
	v_add_f32_e32 v72, v72, v73
	s_delay_alu instid0(VALU_DEP_2) | instskip(NEXT) | instid1(VALU_DEP_1)
	v_lshl_add_u32 v70, v68, 2, v70
	v_add_nc_u32_e32 v70, 0x4000, v70
	ds_store_2addr_b32 v70, v71, v72 offset1:136
.LBB1176_12:
	s_or_b32 exec_lo, exec_lo, s4
	v_lshlrev_b32_e32 v70, 2, v68
	s_load_b32 s36, s[0:1], 0x94
	s_waitcnt lgkmcnt(0)
	s_barrier
	buffer_gl0_inv
	v_add_nc_u32_e32 v98, 0x4000, v70
	v_cmp_eq_u32_e32 vcc_lo, 1, v69
	v_cmp_eq_u32_e64 s4, 2, v69
	v_cmp_eq_u32_e64 s5, 3, v69
	;; [unrolled: 1-line block ×3, first 2 shown]
	ds_load_2addr_b32 v[70:71], v98 offset1:17
	ds_load_2addr_b32 v[72:73], v98 offset0:34 offset1:51
	ds_load_2addr_b32 v[74:75], v98 offset0:68 offset1:85
	ds_load_2addr_b32 v[94:95], v98 offset0:102 offset1:119
	v_cmp_eq_u32_e64 s7, 5, v69
	v_cmp_eq_u32_e64 s8, 7, v69
	s_waitcnt lgkmcnt(3)
	v_max3_f32 v76, v70, 0xff7fffff, v71
	s_waitcnt lgkmcnt(2)
	s_delay_alu instid0(VALU_DEP_1) | instskip(SKIP_1) | instid1(VALU_DEP_1)
	v_max3_f32 v76, v76, v72, v73
	s_waitcnt lgkmcnt(1)
	v_max3_f32 v76, v76, v74, v75
	s_waitcnt lgkmcnt(0)
	s_delay_alu instid0(VALU_DEP_1) | instskip(NEXT) | instid1(VALU_DEP_1)
	v_max3_f32 v76, v76, v94, v95
	v_sub_f32_e32 v77, v71, v76
	ds_load_2addr_b32 v[96:97], v98 offset0:136 offset1:153
	v_sub_f32_e32 v74, v74, v76
	v_sub_f32_e32 v70, v70, v76
	;; [unrolled: 1-line block ×3, first 2 shown]
	v_dual_sub_f32 v72, v72, v76 :: v_dual_mul_f32 v77, 0x3fb8aa3b, v77
	s_delay_alu instid0(VALU_DEP_4) | instskip(NEXT) | instid1(VALU_DEP_4)
	v_mul_f32_e32 v103, 0x3fb8aa3b, v74
	v_mul_f32_e32 v99, 0x3fb8aa3b, v70
	ds_load_2addr_b32 v[70:71], v98 offset0:170 offset1:187
	v_dual_mul_f32 v101, 0x3fb8aa3b, v72 :: v_dual_mul_f32 v94, 0x3fb8aa3b, v94
	v_exp_f32_e32 v102, v77
	v_exp_f32_e32 v99, v99
	s_delay_alu instid0(VALU_DEP_1) | instskip(NEXT) | instid1(VALU_DEP_1)
	v_exp_f32_e32 v101, v101
	v_exp_f32_e32 v94, v94
	s_waitcnt lgkmcnt(1)
	s_delay_alu instid0(TRANS32_DEP_3)
	v_fma_f32 v77, v99, v96, 0
	v_sub_f32_e32 v100, v73, v76
	ds_load_2addr_b32 v[72:73], v98 offset0:204 offset1:221
	v_fmac_f32_e32 v77, v102, v97
	v_exp_f32_e32 v97, v103
	s_waitcnt lgkmcnt(1)
	s_delay_alu instid0(VALU_DEP_1)
	v_dual_fmac_f32 v77, v101, v70 :: v_dual_sub_f32 v96, v75, v76
	ds_load_2addr_b32 v[74:75], v98 offset0:238 offset1:255
	v_sub_f32_e32 v70, v95, v76
	s_waitcnt lgkmcnt(0)
	s_barrier
	v_mul_f32_e32 v96, 0x3fb8aa3b, v96
	buffer_gl0_inv
	v_exp_f32_e32 v95, v96
	v_mul_f32_e32 v100, 0x3fb8aa3b, v100
	s_delay_alu instid0(VALU_DEP_1) | instskip(SKIP_3) | instid1(VALU_DEP_2)
	v_exp_f32_e32 v100, v100
	s_waitcnt_depctr 0xfff
	v_dual_fmac_f32 v77, v100, v71 :: v_dual_mul_f32 v70, 0x3fb8aa3b, v70
	v_cndmask_b32_e32 v71, v99, v102, vcc_lo
	v_fmac_f32_e32 v77, v97, v72
	s_delay_alu instid0(VALU_DEP_3) | instskip(NEXT) | instid1(VALU_DEP_1)
	v_exp_f32_e32 v96, v70
	v_fmac_f32_e32 v77, v95, v73
	s_delay_alu instid0(VALU_DEP_1) | instskip(SKIP_2) | instid1(VALU_DEP_1)
	v_fmac_f32_e32 v77, v94, v74
	s_waitcnt_depctr 0xfff
	v_fmac_f32_e32 v77, v96, v75
	v_add_f32_e32 v74, 0x358637bd, v77
	s_delay_alu instid0(VALU_DEP_1) | instskip(SKIP_1) | instid1(VALU_DEP_2)
	v_div_scale_f32 v98, null, v74, v74, 1.0
	v_div_scale_f32 v99, vcc_lo, 1.0, v74, 1.0
	v_rcp_f32_e32 v103, v98
	s_waitcnt_depctr 0xfff
	v_fma_f32 v70, -v98, v103, 1.0
	s_delay_alu instid0(VALU_DEP_1) | instskip(SKIP_2) | instid1(VALU_DEP_2)
	v_fmac_f32_e32 v103, v70, v103
	v_cndmask_b32_e64 v70, v71, v101, s4
	v_cmp_eq_u32_e64 s4, 6, v69
	v_cndmask_b32_e64 v71, v70, v100, s5
	s_delay_alu instid0(VALU_DEP_4) | instskip(NEXT) | instid1(VALU_DEP_2)
	v_dual_mul_f32 v101, v99, v103 :: v_dual_lshlrev_b32 v70, 2, v66
	v_cndmask_b32_e64 v71, v71, v97, s6
	s_delay_alu instid0(VALU_DEP_2) | instskip(NEXT) | instid1(VALU_DEP_3)
	v_or_b32_e32 v72, 1, v70
	v_fma_f32 v100, -v98, v101, v99
	v_cmp_eq_u32_e64 s5, 1, v70
	v_cmp_eq_u32_e64 s6, 2, v70
	v_cndmask_b32_e64 v95, v71, v95, s7
	v_or_b32_e32 v71, 3, v70
	v_fmac_f32_e32 v101, v100, v103
	v_cmp_eq_u32_e64 s10, 1, v72
	v_cmp_eq_u32_e64 s13, 2, v72
	v_cndmask_b32_e64 v94, v95, v94, s4
	v_cmp_eq_u32_e64 s12, 1, v71
	v_fma_f32 v97, -v98, v101, v99
	v_cmp_eq_u32_e64 s17, 2, v71
	v_cmp_eq_u32_e64 s15, 3, v72
	v_cndmask_b32_e64 v94, v94, v96, s8
	v_cmp_eq_u32_e64 s19, 3, v71
	v_div_fmas_f32 v95, v97, v103, v101
	v_cmp_eq_u32_e32 vcc_lo, 3, v70
	v_cmp_eq_u32_e64 s4, 4, v70
	v_cmp_eq_u32_e64 s20, 4, v72
	;; [unrolled: 1-line block ×3, first 2 shown]
	v_div_fixup_f32 v95, v95, v74, 1.0
	v_lshlrev_b32_e32 v73, 6, v68
	v_cmp_eq_u32_e64 s7, 5, v70
	v_cmp_eq_u32_e64 s21, 5, v72
	v_cmp_eq_u32_e64 s25, 5, v71
	v_mul_f32_e32 v102, v94, v95
	v_lshl_or_b32 v75, v69, 11, v73
	v_or_b32_e32 v69, 2, v70
	v_cmp_eq_u32_e64 s26, 6, v72
	v_cmp_eq_u32_e64 s28, 6, v71
	v_fma_mixlo_f16 v94, v102, v79, 0
	v_fma_mixlo_f16 v95, v102, v81, 0
	;; [unrolled: 1-line block ×8, first 2 shown]
	v_lshl_or_b32 v74, v66, 4, v75
	v_fma_mixhi_f16 v94, v102, v78, 0
	v_fma_mixhi_f16 v95, v102, v80, 0
	;; [unrolled: 1-line block ×8, first 2 shown]
	ds_store_b128 v74, v[94:97]
	ds_store_b128 v74, v[98:101] offset:1024
	s_waitcnt lgkmcnt(0)
	s_barrier
	buffer_gl0_inv
	ds_load_b128 v[78:81], v75
	ds_load_b128 v[82:85], v75 offset:16
	ds_load_b128 v[86:89], v75 offset:1024
	ds_load_b128 v[90:93], v75 offset:1040
	v_cmp_eq_u32_e64 s11, 1, v69
	v_cmp_eq_u32_e64 s16, 2, v69
	;; [unrolled: 1-line block ×11, first 2 shown]
	s_waitcnt lgkmcnt(3)
	v_lshrrev_b32_e32 v94, 16, v78
	s_waitcnt lgkmcnt(2)
	v_lshrrev_b32_e32 v98, 16, v82
	;; [unrolled: 2-line block ×4, first 2 shown]
	v_lshrrev_b32_e32 v95, 16, v79
	v_cndmask_b32_e64 v110, v78, v94, s5
	v_cndmask_b32_e64 v111, v82, v98, s5
	;; [unrolled: 1-line block ×8, first 2 shown]
	v_lshrrev_b32_e32 v99, 16, v83
	v_cndmask_b32_e64 v94, v86, v102, s5
	v_cndmask_b32_e64 v98, v90, v106, s5
	;; [unrolled: 1-line block ×15, first 2 shown]
	v_lshrrev_b32_e32 v103, 16, v87
	v_lshrrev_b32_e32 v107, 16, v91
	v_cndmask_b32_e64 v113, v115, v83, s16
	v_cndmask_b32_e64 v82, v94, v87, s6
	;; [unrolled: 1-line block ×7, first 2 shown]
	v_cndmask_b32_e32 v90, v102, v95, vcc_lo
	v_cndmask_b32_e32 v102, v106, v99, vcc_lo
	v_cndmask_b32_e64 v106, v110, v95, s15
	v_cndmask_b32_e64 v110, v111, v99, s15
	;; [unrolled: 1-line block ×4, first 2 shown]
	v_lshrrev_b32_e32 v96, 16, v80
	v_lshrrev_b32_e32 v100, 16, v84
	v_cndmask_b32_e64 v111, v112, v95, s18
	v_cndmask_b32_e64 v112, v113, v99, s18
	v_cndmask_b32_e32 v82, v82, v103, vcc_lo
	v_cndmask_b32_e32 v83, v83, v107, vcc_lo
	v_cndmask_b32_e64 v94, v94, v103, s15
	v_cndmask_b32_e64 v90, v90, v80, s4
	;; [unrolled: 1-line block ×7, first 2 shown]
	v_lshrrev_b32_e32 v104, 16, v88
	v_cndmask_b32_e64 v106, v111, v80, s22
	v_cndmask_b32_e64 v110, v112, v84, s22
	;; [unrolled: 1-line block ×11, first 2 shown]
	v_lshrrev_b32_e32 v97, 16, v81
	v_lshrrev_b32_e32 v101, 16, v85
	v_cndmask_b32_e64 v99, v106, v96, s24
	v_cndmask_b32_e64 v102, v110, v100, s24
	;; [unrolled: 1-line block ×7, first 2 shown]
	v_lshrrev_b32_e32 v105, 16, v89
	v_cndmask_b32_e64 v80, v80, v104, s7
	v_cndmask_b32_e64 v84, v84, v81, s8
	;; [unrolled: 1-line block ×16, first 2 shown]
	v_perm_b32 v81, v79, v78, 0x5040100
	v_perm_b32 v79, v95, v85, 0x5040100
	v_cndmask_b32_e64 v78, v119, v91, s16
	v_cndmask_b32_e64 v85, v117, v91, s13
	;; [unrolled: 1-line block ×3, first 2 shown]
	v_perm_b32 v80, v94, v90, 0x5040100
	v_cndmask_b32_e64 v90, v98, v103, s18
	v_cndmask_b32_e64 v86, v86, v103, s19
	;; [unrolled: 1-line block ×5, first 2 shown]
	v_lshrrev_b32_e32 v108, 16, v92
	v_cndmask_b32_e64 v90, v90, v88, s22
	v_cndmask_b32_e64 v86, v86, v88, s23
	;; [unrolled: 1-line block ×11, first 2 shown]
	v_lshrrev_b32_e32 v109, 16, v93
	v_cndmask_b32_e64 v82, v82, v93, s8
	v_cndmask_b32_e64 v88, v88, v89, s27
	;; [unrolled: 1-line block ×12, first 2 shown]
	v_perm_b32 v78, v84, v83, 0x5040100
	v_perm_b32 v85, v87, v86, 0x5040100
	v_perm_b32 v84, v89, v88, 0x5040100
	v_perm_b32 v83, v90, v97, 0x5040100
	v_perm_b32 v82, v82, v96, 0x5040100
	s_mul_i32 s9, s35, 11
	s_mov_b32 s4, exec_lo
	ds_store_b128 v74, v[78:81]
	ds_store_b128 v74, v[82:85] offset:1024
	v_cmpx_gt_u32_e32 11, v0
	s_cbranch_execz .LBB1176_14
; %bb.13:
	s_mul_i32 s5, s9, s34
	s_load_b128 s[16:19], s[0:1], 0x58
	v_add3_u32 v68, s5, s33, v68
	s_delay_alu instid0(VALU_DEP_1) | instskip(NEXT) | instid1(VALU_DEP_1)
	v_mad_u64_u32 v[78:79], null, v68, s36, s[14:15]
	v_ashrrev_i32_e32 v79, 31, v78
	s_delay_alu instid0(VALU_DEP_1) | instskip(SKIP_1) | instid1(VALU_DEP_1)
	v_lshlrev_b64 v[78:79], 2, v[78:79]
	s_waitcnt lgkmcnt(0)
	v_add_co_u32 v80, vcc_lo, s18, v78
	s_delay_alu instid0(VALU_DEP_2)
	v_add_co_ci_u32_e32 v81, vcc_lo, s19, v79, vcc_lo
	v_add_co_u32 v78, vcc_lo, s16, v78
	v_add_co_ci_u32_e32 v79, vcc_lo, s17, v79, vcc_lo
	global_store_b32 v[80:81], v76, off
	global_store_b32 v[78:79], v77, off
.LBB1176_14:
	s_or_b32 exec_lo, exec_lo, s4
	s_waitcnt lgkmcnt(0)
	s_waitcnt_vscnt null, 0x0
	s_barrier
	buffer_gl0_inv
	ds_load_b128 v[84:87], v73
	ds_load_b128 v[88:91], v73 offset:16
	ds_load_b128 v[96:99], v73 offset:2064
	;; [unrolled: 1-line block ×5, first 2 shown]
	v_cmp_eq_u32_e32 vcc_lo, 1, v70
	v_mov_b32_e32 v76, 0
	ds_load_b128 v[112:115], v73 offset:6160
	ds_load_b128 v[108:111], v73 offset:6144
	;; [unrolled: 1-line block ×4, first 2 shown]
	v_cmp_eq_u32_e64 s5, 1, v69
	v_cmp_eq_u32_e64 s4, 1, v72
	;; [unrolled: 1-line block ×3, first 2 shown]
	v_mov_b32_e32 v77, v76
	v_mov_b32_e32 v78, v76
	;; [unrolled: 1-line block ×7, first 2 shown]
	v_cmp_eq_u32_e64 s7, 3, v72
	v_cmp_eq_u32_e64 s8, 7, v72
	s_waitcnt lgkmcnt(8)
	s_delay_alu instid0(VALU_DEP_3)
	v_wmma_f32_16x16x16_f16 v[76:83], v[49:56], v[84:91], v[76:83]
	ds_load_b128 v[53:56], v73 offset:10256
	ds_load_b128 v[49:52], v73 offset:10240
	s_waitcnt lgkmcnt(8)
	v_wmma_f32_16x16x16_f16 v[76:83], v[41:48], v[92:99], v[76:83]
	ds_load_b128 v[45:48], v73 offset:12304
	ds_load_b128 v[41:44], v73 offset:12288
	s_waitcnt lgkmcnt(8)
	;; [unrolled: 4-line block ×3, first 2 shown]
	s_barrier
	buffer_gl0_inv
	v_wmma_f32_16x16x16_f16 v[76:83], v[1:8], v[108:115], v[76:83]
	s_delay_alu instid0(VALU_DEP_1) | instskip(NEXT) | instid1(VALU_DEP_1)
	v_wmma_f32_16x16x16_f16 v[76:83], v[9:16], v[116:123], v[76:83]
	v_wmma_f32_16x16x16_f16 v[76:83], v[17:24], v[49:56], v[76:83]
	s_delay_alu instid0(VALU_DEP_1) | instskip(NEXT) | instid1(VALU_DEP_1)
	v_wmma_f32_16x16x16_f16 v[76:83], v[25:32], v[41:48], v[76:83]
	v_wmma_f32_16x16x16_f16 v[76:83], v[57:64], v[33:40], v[76:83]
	s_delay_alu instid0(VALU_DEP_1) | instskip(NEXT) | instid1(VALU_DEP_2)
	v_cvt_f16_f32_e32 v1, v76
	v_cvt_f16_f32_e32 v2, v77
	s_delay_alu instid0(VALU_DEP_3) | instskip(NEXT) | instid1(VALU_DEP_4)
	v_cvt_f16_f32_e32 v3, v78
	v_cvt_f16_f32_e32 v4, v79
	;; [unrolled: 1-line block ×6, first 2 shown]
	v_pack_b32_f16 v1, v1, v2
	v_pack_b32_f16 v2, v3, v4
	;; [unrolled: 1-line block ×3, first 2 shown]
	s_delay_alu instid0(VALU_DEP_4)
	v_pack_b32_f16 v4, v7, v8
	ds_store_b128 v74, v[1:4]
	s_waitcnt lgkmcnt(0)
	s_barrier
	buffer_gl0_inv
	ds_load_b128 v[1:4], v75
	ds_load_b128 v[5:8], v75 offset:16
	s_waitcnt lgkmcnt(1)
	v_lshrrev_b32_e32 v9, 16, v1
	s_waitcnt lgkmcnt(0)
	v_lshrrev_b32_e32 v13, 16, v5
	v_lshrrev_b32_e32 v10, 16, v2
	;; [unrolled: 1-line block ×4, first 2 shown]
	v_cndmask_b32_e32 v17, v1, v9, vcc_lo
	v_cndmask_b32_e32 v18, v5, v13, vcc_lo
	v_cndmask_b32_e64 v21, v1, v9, s5
	v_cmp_eq_u32_e32 vcc_lo, 1, v71
	v_cndmask_b32_e64 v22, v5, v13, s5
	v_cmp_eq_u32_e64 s5, 2, v70
	v_cndmask_b32_e64 v19, v1, v9, s4
	v_cndmask_b32_e64 v20, v5, v13, s4
	v_cndmask_b32_e32 v1, v1, v9, vcc_lo
	v_cmp_eq_u32_e64 s4, 2, v71
	v_cndmask_b32_e32 v5, v5, v13, vcc_lo
	v_cndmask_b32_e64 v9, v17, v2, s5
	v_cmp_eq_u32_e32 vcc_lo, 3, v70
	v_cndmask_b32_e64 v13, v18, v6, s5
	v_cmp_eq_u32_e64 s5, 2, v69
	v_cndmask_b32_e64 v17, v19, v2, s6
	v_cndmask_b32_e64 v18, v20, v6, s6
	v_cmp_eq_u32_e64 s6, 3, v69
	v_cndmask_b32_e64 v1, v1, v2, s4
	v_cndmask_b32_e64 v19, v21, v2, s5
	;; [unrolled: 1-line block ×4, first 2 shown]
	v_cndmask_b32_e32 v5, v9, v10, vcc_lo
	v_cndmask_b32_e32 v6, v13, v14, vcc_lo
	v_cmp_eq_u32_e32 vcc_lo, 3, v71
	v_cndmask_b32_e64 v9, v17, v10, s7
	v_cndmask_b32_e64 v13, v18, v14, s7
	;; [unrolled: 1-line block ×3, first 2 shown]
	v_cmp_eq_u32_e64 s5, 4, v70
	v_cndmask_b32_e32 v1, v1, v10, vcc_lo
	v_cndmask_b32_e32 v2, v2, v14, vcc_lo
	v_cmp_eq_u32_e32 vcc_lo, 4, v72
	v_lshrrev_b32_e32 v15, 16, v7
	v_lshrrev_b32_e32 v16, 16, v8
	v_cndmask_b32_e64 v17, v19, v10, s6
	v_cmp_eq_u32_e64 s4, 4, v71
	v_cndmask_b32_e64 v5, v5, v3, s5
	v_cndmask_b32_e64 v6, v6, v7, s5
	v_cndmask_b32_e32 v9, v9, v3, vcc_lo
	v_cmp_eq_u32_e64 s5, 5, v72
	v_cndmask_b32_e32 v10, v13, v7, vcc_lo
	v_cmp_eq_u32_e32 vcc_lo, 4, v69
	v_cmp_eq_u32_e64 s6, 5, v70
	v_cndmask_b32_e64 v2, v2, v7, s4
	v_cndmask_b32_e64 v9, v9, v11, s5
	;; [unrolled: 1-line block ×3, first 2 shown]
	v_cndmask_b32_e32 v13, v17, v3, vcc_lo
	v_cmp_eq_u32_e64 s5, 5, v69
	v_cndmask_b32_e32 v14, v18, v7, vcc_lo
	v_cndmask_b32_e64 v1, v1, v3, s4
	v_cmp_eq_u32_e32 vcc_lo, 5, v71
	v_lshrrev_b32_e32 v12, 16, v4
	v_cndmask_b32_e64 v13, v13, v11, s5
	v_cndmask_b32_e64 v3, v14, v15, s5
	v_cmp_eq_u32_e64 s5, 6, v71
	v_cndmask_b32_e32 v1, v1, v11, vcc_lo
	v_cndmask_b32_e64 v5, v5, v11, s6
	v_cmp_eq_u32_e64 s7, 6, v70
	v_cndmask_b32_e64 v6, v6, v15, s6
	v_cmp_eq_u32_e64 s6, 6, v72
	v_cmp_eq_u32_e64 s4, 6, v69
	v_cndmask_b32_e64 v1, v1, v4, s5
	v_cndmask_b32_e32 v2, v2, v15, vcc_lo
	v_cmp_eq_u32_e32 vcc_lo, 7, v71
	v_cndmask_b32_e64 v5, v5, v4, s7
	v_cndmask_b32_e64 v9, v9, v4, s6
	;; [unrolled: 1-line block ×3, first 2 shown]
	v_cmp_eq_u32_e64 s7, 7, v70
	v_cndmask_b32_e32 v1, v1, v12, vcc_lo
	v_cndmask_b32_e64 v7, v13, v4, s4
	v_cndmask_b32_e64 v3, v3, v8, s4
	;; [unrolled: 1-line block ×3, first 2 shown]
	v_cmp_eq_u32_e64 s4, 7, v69
	v_cndmask_b32_e64 v4, v10, v8, s6
	v_cndmask_b32_e64 v5, v5, v12, s7
	;; [unrolled: 1-line block ×3, first 2 shown]
	v_cndmask_b32_e32 v2, v2, v16, vcc_lo
	v_cndmask_b32_e64 v7, v7, v12, s4
	v_cndmask_b32_e64 v3, v3, v16, s4
	;; [unrolled: 1-line block ×4, first 2 shown]
	v_cmp_gt_u32_e32 vcc_lo, 32, v0
	v_perm_b32 v4, v2, v1, 0x5040100
	v_perm_b32 v3, v3, v7, 0x5040100
	;; [unrolled: 1-line block ×4, first 2 shown]
	s_and_b32 s2, vcc_lo, s2
	ds_store_b128 v74, v[1:4]
	s_waitcnt lgkmcnt(0)
	s_barrier
	buffer_gl0_inv
	s_and_saveexec_b32 s4, s2
	s_cbranch_execz .LBB1176_2
; %bb.15:
	s_load_b64 s[4:5], s[0:1], 0x68
	v_lshlrev_b32_e32 v0, 10, v0
	v_lshlrev_b32_e32 v1, 4, v67
	s_lshl_b32 s0, s36, 6
	v_add_nc_u32_e32 v7, s33, v66
	s_mul_i32 s1, s0, s34
	s_delay_alu instid0(SALU_CYCLE_1) | instskip(SKIP_1) | instid1(VALU_DEP_2)
	s_mul_i32 s6, s1, s9
	v_and_or_b32 v0, 0x3800, v0, v1
	v_mul_lo_u32 v1, v7, s0
	v_add_nc_u32_e32 v2, 2, v7
	s_ashr_i32 s7, s6, 31
	v_add_nc_u32_e32 v4, 4, v7
	s_lshl_b64 s[6:7], s[6:7], 1
	v_add_nc_u32_e32 v8, 6, v7
	v_mul_lo_u32 v3, v2, s0
	v_lshl_or_b32 v19, v66, 6, v0
	v_ashrrev_i32_e32 v2, 31, v1
	v_mul_lo_u32 v11, v4, s0
	v_mul_lo_u32 v25, v8, s0
	s_waitcnt lgkmcnt(0)
	s_add_u32 s1, s4, s6
	s_addc_u32 s2, s5, s7
	s_lshl_b32 s4, s14, 6
	v_lshlrev_b64 v[5:6], 1, v[1:2]
	s_ashr_i32 s5, s4, 31
	v_ashrrev_i32_e32 v4, 31, v3
	s_lshl_b64 s[4:5], s[4:5], 1
	v_ashrrev_i32_e32 v12, 31, v11
	s_add_u32 s1, s1, s4
	s_addc_u32 s2, s2, s5
	v_add_co_u32 v1, s1, s1, v65
	s_delay_alu instid0(VALU_DEP_1) | instskip(SKIP_1) | instid1(VALU_DEP_3)
	v_add_co_ci_u32_e64 v2, null, s2, 0, s1
	v_lshlrev_b64 v[3:4], 1, v[3:4]
	v_add_co_u32 v23, vcc_lo, v1, v5
	v_add_nc_u32_e32 v5, 8, v7
	s_delay_alu instid0(VALU_DEP_4) | instskip(NEXT) | instid1(VALU_DEP_4)
	v_add_co_ci_u32_e32 v24, vcc_lo, v2, v6, vcc_lo
	v_add_co_u32 v27, vcc_lo, v1, v3
	s_delay_alu instid0(VALU_DEP_3)
	v_mul_lo_u32 v29, v5, s0
	v_add_co_ci_u32_e32 v28, vcc_lo, v2, v4, vcc_lo
	ds_load_b128 v[3:6], v19
	ds_load_b128 v[7:10], v19 offset:128
	v_lshlrev_b64 v[31:32], 1, v[11:12]
	ds_load_b128 v[11:14], v19 offset:256
	ds_load_b128 v[15:18], v19 offset:384
	;; [unrolled: 1-line block ×3, first 2 shown]
	v_ashrrev_i32_e32 v26, 31, v25
	v_ashrrev_i32_e32 v30, 31, v29
	v_add_co_u32 v31, vcc_lo, v1, v31
	s_delay_alu instid0(VALU_DEP_3) | instskip(NEXT) | instid1(VALU_DEP_3)
	v_lshlrev_b64 v[25:26], 1, v[25:26]
	v_lshlrev_b64 v[29:30], 1, v[29:30]
	v_add_co_ci_u32_e32 v32, vcc_lo, v2, v32, vcc_lo
	s_delay_alu instid0(VALU_DEP_3) | instskip(NEXT) | instid1(VALU_DEP_4)
	v_add_co_u32 v25, vcc_lo, v1, v25
	v_add_co_ci_u32_e32 v26, vcc_lo, v2, v26, vcc_lo
	s_delay_alu instid0(VALU_DEP_4)
	v_add_co_u32 v29, vcc_lo, v1, v29
	v_add_co_ci_u32_e32 v30, vcc_lo, v2, v30, vcc_lo
	s_waitcnt lgkmcnt(4)
	global_store_b128 v[23:24], v[3:6], off
	s_waitcnt lgkmcnt(3)
	global_store_b128 v[27:28], v[7:10], off
	;; [unrolled: 2-line block ×5, first 2 shown]
	s_and_b32 exec_lo, exec_lo, s3
	s_cbranch_execz .LBB1176_2
; %bb.16:
	ds_load_b128 v[3:6], v0 offset:640
	s_add_i32 s1, s33, 10
	s_delay_alu instid0(SALU_CYCLE_1) | instskip(NEXT) | instid1(SALU_CYCLE_1)
	s_mul_i32 s0, s1, s0
	s_ashr_i32 s1, s0, 31
	s_delay_alu instid0(SALU_CYCLE_1) | instskip(NEXT) | instid1(SALU_CYCLE_1)
	s_lshl_b64 s[0:1], s[0:1], 1
	v_add_co_u32 v0, vcc_lo, v1, s0
	v_add_co_ci_u32_e32 v1, vcc_lo, s1, v2, vcc_lo
	s_waitcnt lgkmcnt(0)
	global_store_b128 v[0:1], v[3:6], off
	s_nop 0
	s_sendmsg sendmsg(MSG_DEALLOC_VGPRS)
	s_endpgm
	.section	.rodata,"a",@progbits
	.p2align	6, 0x0
	.amdhsa_kernel _Z39paged_attention_ll4mi_QKV_mfma16_kernelIDF16_hLN4vllm18Fp8KVCacheDataTypeE1EhLi32ELi64ELi256ELb0ELi11EL8MFMAType0EEvPKT_PKT0_S8_ifPKiSA_SA_iPKfiiiPfSD_PS3_PT2_iSC_SC_
		.amdhsa_group_segment_fixed_size 17472
		.amdhsa_private_segment_fixed_size 0
		.amdhsa_kernarg_size 400
		.amdhsa_user_sgpr_count 13
		.amdhsa_user_sgpr_dispatch_ptr 0
		.amdhsa_user_sgpr_queue_ptr 0
		.amdhsa_user_sgpr_kernarg_segment_ptr 1
		.amdhsa_user_sgpr_dispatch_id 0
		.amdhsa_user_sgpr_private_segment_size 0
		.amdhsa_wavefront_size32 1
		.amdhsa_uses_dynamic_stack 0
		.amdhsa_enable_private_segment 0
		.amdhsa_system_sgpr_workgroup_id_x 1
		.amdhsa_system_sgpr_workgroup_id_y 1
		.amdhsa_system_sgpr_workgroup_id_z 1
		.amdhsa_system_sgpr_workgroup_info 0
		.amdhsa_system_vgpr_workitem_id 0
		.amdhsa_next_free_vgpr 146
		.amdhsa_next_free_sgpr 37
		.amdhsa_reserve_vcc 1
		.amdhsa_float_round_mode_32 0
		.amdhsa_float_round_mode_16_64 0
		.amdhsa_float_denorm_mode_32 3
		.amdhsa_float_denorm_mode_16_64 3
		.amdhsa_dx10_clamp 1
		.amdhsa_ieee_mode 1
		.amdhsa_fp16_overflow 0
		.amdhsa_workgroup_processor_mode 1
		.amdhsa_memory_ordered 1
		.amdhsa_forward_progress 0
		.amdhsa_shared_vgpr_count 0
		.amdhsa_exception_fp_ieee_invalid_op 0
		.amdhsa_exception_fp_denorm_src 0
		.amdhsa_exception_fp_ieee_div_zero 0
		.amdhsa_exception_fp_ieee_overflow 0
		.amdhsa_exception_fp_ieee_underflow 0
		.amdhsa_exception_fp_ieee_inexact 0
		.amdhsa_exception_int_div_zero 0
	.end_amdhsa_kernel
	.section	.text._Z39paged_attention_ll4mi_QKV_mfma16_kernelIDF16_hLN4vllm18Fp8KVCacheDataTypeE1EhLi32ELi64ELi256ELb0ELi11EL8MFMAType0EEvPKT_PKT0_S8_ifPKiSA_SA_iPKfiiiPfSD_PS3_PT2_iSC_SC_,"axG",@progbits,_Z39paged_attention_ll4mi_QKV_mfma16_kernelIDF16_hLN4vllm18Fp8KVCacheDataTypeE1EhLi32ELi64ELi256ELb0ELi11EL8MFMAType0EEvPKT_PKT0_S8_ifPKiSA_SA_iPKfiiiPfSD_PS3_PT2_iSC_SC_,comdat
.Lfunc_end1176:
	.size	_Z39paged_attention_ll4mi_QKV_mfma16_kernelIDF16_hLN4vllm18Fp8KVCacheDataTypeE1EhLi32ELi64ELi256ELb0ELi11EL8MFMAType0EEvPKT_PKT0_S8_ifPKiSA_SA_iPKfiiiPfSD_PS3_PT2_iSC_SC_, .Lfunc_end1176-_Z39paged_attention_ll4mi_QKV_mfma16_kernelIDF16_hLN4vllm18Fp8KVCacheDataTypeE1EhLi32ELi64ELi256ELb0ELi11EL8MFMAType0EEvPKT_PKT0_S8_ifPKiSA_SA_iPKfiiiPfSD_PS3_PT2_iSC_SC_
                                        ; -- End function
	.section	.AMDGPU.csdata,"",@progbits
; Kernel info:
; codeLenInByte = 6648
; NumSgprs: 39
; NumVgprs: 146
; ScratchSize: 0
; MemoryBound: 0
; FloatMode: 240
; IeeeMode: 1
; LDSByteSize: 17472 bytes/workgroup (compile time only)
; SGPRBlocks: 4
; VGPRBlocks: 18
; NumSGPRsForWavesPerEU: 39
; NumVGPRsForWavesPerEU: 146
; Occupancy: 9
; WaveLimiterHint : 1
; COMPUTE_PGM_RSRC2:SCRATCH_EN: 0
; COMPUTE_PGM_RSRC2:USER_SGPR: 13
; COMPUTE_PGM_RSRC2:TRAP_HANDLER: 0
; COMPUTE_PGM_RSRC2:TGID_X_EN: 1
; COMPUTE_PGM_RSRC2:TGID_Y_EN: 1
; COMPUTE_PGM_RSRC2:TGID_Z_EN: 1
; COMPUTE_PGM_RSRC2:TIDIG_COMP_CNT: 0
	.section	.text._Z39paged_attention_ll4mi_QKV_mfma16_kernelIDF16_hLN4vllm18Fp8KVCacheDataTypeE1EhLi32ELi64ELi256ELb0ELi12EL8MFMAType0EEvPKT_PKT0_S8_ifPKiSA_SA_iPKfiiiPfSD_PS3_PT2_iSC_SC_,"axG",@progbits,_Z39paged_attention_ll4mi_QKV_mfma16_kernelIDF16_hLN4vllm18Fp8KVCacheDataTypeE1EhLi32ELi64ELi256ELb0ELi12EL8MFMAType0EEvPKT_PKT0_S8_ifPKiSA_SA_iPKfiiiPfSD_PS3_PT2_iSC_SC_,comdat
	.protected	_Z39paged_attention_ll4mi_QKV_mfma16_kernelIDF16_hLN4vllm18Fp8KVCacheDataTypeE1EhLi32ELi64ELi256ELb0ELi12EL8MFMAType0EEvPKT_PKT0_S8_ifPKiSA_SA_iPKfiiiPfSD_PS3_PT2_iSC_SC_ ; -- Begin function _Z39paged_attention_ll4mi_QKV_mfma16_kernelIDF16_hLN4vllm18Fp8KVCacheDataTypeE1EhLi32ELi64ELi256ELb0ELi12EL8MFMAType0EEvPKT_PKT0_S8_ifPKiSA_SA_iPKfiiiPfSD_PS3_PT2_iSC_SC_
	.globl	_Z39paged_attention_ll4mi_QKV_mfma16_kernelIDF16_hLN4vllm18Fp8KVCacheDataTypeE1EhLi32ELi64ELi256ELb0ELi12EL8MFMAType0EEvPKT_PKT0_S8_ifPKiSA_SA_iPKfiiiPfSD_PS3_PT2_iSC_SC_
	.p2align	8
	.type	_Z39paged_attention_ll4mi_QKV_mfma16_kernelIDF16_hLN4vllm18Fp8KVCacheDataTypeE1EhLi32ELi64ELi256ELb0ELi12EL8MFMAType0EEvPKT_PKT0_S8_ifPKiSA_SA_iPKfiiiPfSD_PS3_PT2_iSC_SC_,@function
_Z39paged_attention_ll4mi_QKV_mfma16_kernelIDF16_hLN4vllm18Fp8KVCacheDataTypeE1EhLi32ELi64ELi256ELb0ELi12EL8MFMAType0EEvPKT_PKT0_S8_ifPKiSA_SA_iPKfiiiPfSD_PS3_PT2_iSC_SC_: ; @_Z39paged_attention_ll4mi_QKV_mfma16_kernelIDF16_hLN4vllm18Fp8KVCacheDataTypeE1EhLi32ELi64ELi256ELb0ELi12EL8MFMAType0EEvPKT_PKT0_S8_ifPKiSA_SA_iPKfiiiPfSD_PS3_PT2_iSC_SC_
; %bb.0:
	s_load_b64 s[2:3], s[0:1], 0x30
	s_mov_b32 s34, s13
	s_waitcnt lgkmcnt(0)
	s_cmp_lg_u64 s[2:3], 0
	s_cselect_b32 s6, -1, 0
	s_ashr_i32 s35, s13, 31
	s_cmp_eq_u64 s[2:3], 0
	s_cbranch_scc1 .LBB1177_3
; %bb.1:
	s_lshl_b64 s[4:5], s[34:35], 2
	s_delay_alu instid0(SALU_CYCLE_1) | instskip(SKIP_4) | instid1(SALU_CYCLE_1)
	s_add_u32 s4, s2, s4
	s_addc_u32 s5, s3, s5
	s_load_b64 s[4:5], s[4:5], 0x0
	s_waitcnt lgkmcnt(0)
	s_sub_i32 s4, s5, s4
	s_cmp_eq_u32 s4, 1
	s_cselect_b32 s4, -1, 0
	s_delay_alu instid0(SALU_CYCLE_1)
	s_and_not1_b32 vcc_lo, exec_lo, s4
	s_cbranch_vccz .LBB1177_4
.LBB1177_2:
	s_endpgm
.LBB1177_3:
.LBB1177_4:
	s_load_b64 s[8:9], s[0:1], 0x28
	s_lshl_b64 s[4:5], s[34:35], 2
	s_waitcnt lgkmcnt(0)
	s_add_u32 s8, s8, s4
	s_addc_u32 s9, s9, s5
	s_lshl_b32 s16, s14, 8
	s_load_b32 s18, s[8:9], 0x0
	s_waitcnt lgkmcnt(0)
	s_cmp_ge_i32 s16, s18
	s_cbranch_scc1 .LBB1177_2
; %bb.5:
	s_clause 0x1
	s_load_b128 s[8:11], s[0:1], 0x8
	s_load_b64 s[12:13], s[0:1], 0x20
	s_and_not1_b32 vcc_lo, exec_lo, s6
	s_cbranch_vccnz .LBB1177_7
; %bb.6:
	s_add_u32 s2, s2, s4
	s_addc_u32 s3, s3, s5
	s_load_b32 s3, s[2:3], 0x0
	s_branch .LBB1177_8
.LBB1177_7:
	s_mov_b32 s3, s34
.LBB1177_8:
	s_load_b128 s[4:7], s[0:1], 0x48
	v_and_b32_e32 v68, 15, v0
	v_cmp_gt_u32_e32 vcc_lo, 0xc0, v0
	v_lshrrev_b32_e32 v69, 5, v0
	v_and_b32_e32 v70, 31, v0
	v_and_b32_e32 v67, 1, v0
	v_lshlrev_b32_e32 v1, 3, v68
	v_cmp_gt_u32_e64 s2, 8, v68
	v_bfe_u32 v66, v0, 4, 1
	s_mul_i32 s31, s15, 12
	s_delay_alu instid0(VALU_DEP_3) | instskip(NEXT) | instid1(VALU_DEP_3)
	v_lshlrev_b32_e32 v65, 1, v1
	s_and_b32 s17, vcc_lo, s2
	s_waitcnt lgkmcnt(0)
	s_and_saveexec_b32 s7, s17
	s_cbranch_execz .LBB1177_10
; %bb.9:
	s_load_b64 s[20:21], s[0:1], 0x0
	v_lshl_or_b32 v5, v69, 1, v66
	s_mul_hi_i32 s23, s3, s4
	s_mul_i32 s22, s3, s4
	v_lshlrev_b32_e32 v6, 10, v68
	s_lshl_b64 s[22:23], s[22:23], 1
	v_add_lshl_u32 v1, v5, s31, 6
	v_lshlrev_b32_e32 v5, 6, v5
	v_lshlrev_b32_e32 v7, 10, v67
	v_and_b32_e32 v6, 0x3800, v6
	s_delay_alu instid0(VALU_DEP_4) | instskip(NEXT) | instid1(VALU_DEP_2)
	v_ashrrev_i32_e32 v2, 31, v1
	v_or3_b32 v5, v6, v7, v5
	s_delay_alu instid0(VALU_DEP_2) | instskip(SKIP_3) | instid1(VALU_DEP_1)
	v_lshlrev_b64 v[1:2], 1, v[1:2]
	s_waitcnt lgkmcnt(0)
	s_add_u32 s3, s20, s22
	s_addc_u32 s4, s21, s23
	v_add_co_u32 v1, vcc_lo, s3, v1
	s_delay_alu instid0(VALU_DEP_2) | instskip(NEXT) | instid1(VALU_DEP_2)
	v_add_co_ci_u32_e32 v2, vcc_lo, s4, v2, vcc_lo
	v_add_co_u32 v1, vcc_lo, v1, v65
	s_delay_alu instid0(VALU_DEP_2)
	v_add_co_ci_u32_e32 v2, vcc_lo, 0, v2, vcc_lo
	global_load_b128 v[1:4], v[1:2], off
	s_waitcnt vmcnt(0)
	ds_store_b128 v5, v[1:4]
.LBB1177_10:
	s_or_b32 exec_lo, exec_lo, s7
	v_and_b32_e32 v1, 0xef, v0
	s_add_i32 s3, s18, 31
	s_clause 0x1
	s_load_b32 s4, s[0:1], 0x38
	s_load_b32 s33, s[0:1], 0x98
	s_ashr_i32 s7, s3, 31
	v_add_nc_u32_e32 v1, s16, v1
	s_lshr_b32 s7, s7, 27
	s_load_b32 s19, s[0:1], 0x1c
	v_add_nc_u32_e32 v103, -12, v68
	s_add_i32 s3, s3, s7
	v_ashrrev_i32_e32 v2, 31, v1
	v_or_b32_e32 v3, 16, v1
	s_ashr_i32 s3, s3, 5
	v_cmp_gt_i32_e32 vcc_lo, s18, v1
	s_add_i32 s3, s3, -1
	v_lshrrev_b32_e32 v2, 27, v2
	s_waitcnt lgkmcnt(0)
	s_barrier
	buffer_gl0_inv
	s_mul_i32 s15, s15, s6
	v_add_nc_u32_e32 v4, v1, v2
	v_mbcnt_lo_u32_b32 v127, -1, 0
	s_mul_i32 s20, s34, s4
	s_delay_alu instid0(SALU_CYCLE_1) | instskip(NEXT) | instid1(VALU_DEP_2)
	s_ashr_i32 s21, s20, 31
	v_ashrrev_i32_e32 v4, 5, v4
	v_add_nc_u32_e32 v2, v3, v2
	s_lshl_b64 s[20:21], s[20:21], 2
	v_xor_b32_e32 v128, 16, v127
	s_add_u32 s17, s12, s20
	v_cndmask_b32_e32 v1, s3, v4, vcc_lo
	v_ashrrev_i32_e32 v2, 5, v2
	v_cmp_gt_i32_e32 vcc_lo, s18, v3
	s_addc_u32 s13, s13, s21
	s_ashr_i32 s20, s15, 31
	s_add_u32 s22, s8, s15
	s_addc_u32 s23, s9, s20
	v_cndmask_b32_e32 v3, s3, v2, vcc_lo
	v_ashrrev_i32_e32 v2, 31, v1
	s_lshl_b32 s6, s14, 3
	s_delay_alu instid0(SALU_CYCLE_1) | instskip(NEXT) | instid1(VALU_DEP_2)
	s_ashr_i32 s7, s6, 31
	v_ashrrev_i32_e32 v4, 31, v3
	s_delay_alu instid0(VALU_DEP_2) | instskip(SKIP_1) | instid1(SALU_CYCLE_1)
	v_lshlrev_b64 v[1:2], 2, v[1:2]
	s_lshl_b64 s[6:7], s[6:7], 2
	s_add_u32 s6, s17, s6
	s_delay_alu instid0(VALU_DEP_2) | instskip(SKIP_1) | instid1(VALU_DEP_2)
	v_lshlrev_b64 v[3:4], 2, v[3:4]
	s_addc_u32 s7, s13, s7
	v_add_co_u32 v1, vcc_lo, s17, v1
	v_add_co_ci_u32_e32 v2, vcc_lo, s13, v2, vcc_lo
	s_delay_alu instid0(VALU_DEP_3) | instskip(NEXT) | instid1(VALU_DEP_4)
	v_add_co_u32 v3, vcc_lo, s17, v3
	v_add_co_ci_u32_e32 v4, vcc_lo, s13, v4, vcc_lo
	s_clause 0x1
	global_load_b32 v5, v[1:2], off
	global_load_b32 v6, v[3:4], off
	s_or_b32 s4, s16, 32
	s_delay_alu instid0(SALU_CYCLE_1) | instskip(SKIP_2) | instid1(SALU_CYCLE_1)
	s_ashr_i32 s8, s4, 5
	s_cmp_lt_i32 s4, s18
	s_cselect_b32 s8, s8, s3
	s_ashr_i32 s9, s8, 31
	s_delay_alu instid0(SALU_CYCLE_1) | instskip(NEXT) | instid1(SALU_CYCLE_1)
	s_lshl_b64 s[8:9], s[8:9], 2
	s_add_u32 s8, s17, s8
	s_addc_u32 s9, s13, s9
	s_or_b32 s4, s16, 64
	s_delay_alu instid0(SALU_CYCLE_1) | instskip(SKIP_2) | instid1(SALU_CYCLE_1)
	s_ashr_i32 s12, s4, 5
	s_cmp_lt_i32 s4, s18
	s_cselect_b32 s24, s12, s3
	s_ashr_i32 s25, s24, 31
	s_delay_alu instid0(SALU_CYCLE_1) | instskip(NEXT) | instid1(SALU_CYCLE_1)
	s_lshl_b64 s[24:25], s[24:25], 2
	s_add_u32 s24, s17, s24
	s_addc_u32 s25, s13, s25
	s_or_b32 s4, s16, 0x60
	s_delay_alu instid0(SALU_CYCLE_1) | instskip(SKIP_2) | instid1(SALU_CYCLE_1)
	s_ashr_i32 s12, s4, 5
	s_cmp_lt_i32 s4, s18
	s_cselect_b32 s26, s12, s3
	s_ashr_i32 s27, s26, 31
	s_delay_alu instid0(SALU_CYCLE_1) | instskip(NEXT) | instid1(SALU_CYCLE_1)
	s_lshl_b64 s[26:27], s[26:27], 2
	s_add_u32 s26, s17, s26
	s_addc_u32 s27, s13, s27
	s_or_b32 s4, s16, 0x80
	s_delay_alu instid0(SALU_CYCLE_1) | instskip(SKIP_2) | instid1(SALU_CYCLE_1)
	s_ashr_i32 s12, s4, 5
	s_cmp_lt_i32 s4, s18
	s_cselect_b32 s28, s12, s3
	s_ashr_i32 s29, s28, 31
	s_delay_alu instid0(SALU_CYCLE_1) | instskip(NEXT) | instid1(SALU_CYCLE_1)
	s_lshl_b64 s[28:29], s[28:29], 2
	s_add_u32 s28, s17, s28
	s_addc_u32 s29, s13, s29
	s_or_b32 s4, s16, 0xa0
	s_delay_alu instid0(SALU_CYCLE_1) | instskip(SKIP_2) | instid1(SALU_CYCLE_1)
	s_ashr_i32 s12, s4, 5
	s_cmp_lt_i32 s4, s18
	s_cselect_b32 s36, s12, s3
	s_ashr_i32 s37, s36, 31
	s_delay_alu instid0(SALU_CYCLE_1) | instskip(NEXT) | instid1(SALU_CYCLE_1)
	s_lshl_b64 s[36:37], s[36:37], 2
	s_add_u32 s36, s17, s36
	s_addc_u32 s37, s13, s37
	s_clause 0x5
	s_load_b32 s12, s[6:7], 0x0
	s_load_b32 s4, s[8:9], 0x0
	;; [unrolled: 1-line block ×6, first 2 shown]
	s_or_b32 s21, s16, 0xc0
	s_waitcnt vmcnt(1)
	v_mad_i64_i32 v[1:2], null, v5, s5, s[22:23]
	v_lshlrev_b32_e32 v5, 4, v68
	s_waitcnt vmcnt(0)
	v_mad_i64_i32 v[3:4], null, v6, s5, s[22:23]
	s_ashr_i32 s22, s21, 5
	s_cmp_lt_i32 s21, s18
	s_delay_alu instid0(VALU_DEP_3) | instskip(NEXT) | instid1(VALU_DEP_4)
	v_add_co_u32 v1, vcc_lo, v1, v5
	v_add_co_ci_u32_e32 v2, vcc_lo, 0, v2, vcc_lo
	s_delay_alu instid0(VALU_DEP_3) | instskip(NEXT) | instid1(VALU_DEP_4)
	v_add_co_u32 v3, vcc_lo, v3, v5
	v_add_co_ci_u32_e32 v4, vcc_lo, 0, v4, vcc_lo
	s_clause 0x7
	global_load_b128 v[71:74], v[1:2], off
	global_load_b128 v[75:78], v[1:2], off offset:512
	global_load_b128 v[79:82], v[3:4], off offset:256
	global_load_b128 v[83:86], v[3:4], off offset:768
	global_load_b128 v[87:90], v[1:2], off offset:1024
	global_load_b128 v[91:94], v[1:2], off offset:1536
	global_load_b128 v[95:98], v[3:4], off offset:1280
	global_load_b128 v[99:102], v[3:4], off offset:1792
	s_cselect_b32 s22, s22, s3
	v_lshlrev_b32_e32 v1, 5, v68
	s_ashr_i32 s23, s22, 31
	v_cmp_gt_u32_e32 vcc_lo, 12, v68
	s_lshl_b64 s[22:23], s[22:23], 2
	s_delay_alu instid0(SALU_CYCLE_1)
	s_add_u32 s22, s17, s22
	s_addc_u32 s23, s13, s23
	s_or_b32 s21, s16, 0xe0
	v_lshl_or_b32 v1, v69, 9, v1
	s_ashr_i32 s24, s21, 5
	s_cmp_lt_i32 s21, s18
	v_cndmask_b32_e32 v103, v103, v68, vcc_lo
	s_cselect_b32 s24, s24, s3
	s_load_b32 s3, s[22:23], 0x0
	s_ashr_i32 s25, s24, 31
	v_cmp_gt_i32_e32 vcc_lo, 32, v128
	s_lshl_b64 s[24:25], s[24:25], 2
	v_lshlrev_b32_e32 v115, 6, v103
	s_add_u32 s22, s17, s24
	s_addc_u32 s23, s13, s25
	v_cndmask_b32_e32 v136, v127, v128, vcc_lo
	s_add_u32 s10, s10, s15
	s_addc_u32 s11, s11, s20
	v_add_co_u32 v1, s10, s10, v1
	s_delay_alu instid0(VALU_DEP_1) | instskip(SKIP_2) | instid1(VALU_DEP_1)
	v_add_co_ci_u32_e64 v2, null, s11, 0, s10
	s_load_b32 s10, s[22:23], 0x0
	s_waitcnt lgkmcnt(0)
	v_mad_i64_i32 v[3:4], null, s12, s5, v[1:2]
	v_mad_i64_i32 v[9:10], null, s7, s5, v[1:2]
	;; [unrolled: 1-line block ×7, first 2 shown]
	s_clause 0x5
	global_load_b128 v[49:52], v[3:4], off
	global_load_b128 v[53:56], v[3:4], off offset:16
	global_load_b128 v[41:44], v[5:6], off
	global_load_b128 v[45:48], v[5:6], off offset:16
	;; [unrolled: 2-line block ×3, first 2 shown]
	s_mov_b32 s4, 0
	v_mad_i64_i32 v[61:62], null, s10, s5, v[1:2]
	s_clause 0x9
	global_load_b128 v[1:4], v[9:10], off
	global_load_b128 v[5:8], v[9:10], off offset:16
	global_load_b128 v[9:12], v[13:14], off
	global_load_b128 v[13:16], v[13:14], off offset:16
	;; [unrolled: 2-line block ×5, first 2 shown]
	s_mov_b32 s5, s4
	s_mov_b32 s6, s4
	;; [unrolled: 1-line block ×7, first 2 shown]
	v_and_b32_e32 v104, 0xe0, v0
	v_dual_mov_b32 v126, s11 :: v_dual_mov_b32 v125, s10
	v_dual_mov_b32 v124, s9 :: v_dual_mov_b32 v123, s8
	s_delay_alu instid0(VALU_DEP_3)
	v_add_nc_u32_e32 v111, s16, v104
	ds_load_b128 v[103:106], v115
	ds_load_b128 v[107:110], v115 offset:1024
	v_dual_mov_b32 v122, s7 :: v_dual_mov_b32 v121, s6
	v_mov_b32_e32 v120, s5
	v_or_b32_e32 v135, v111, v66
	ds_load_b128 v[111:114], v115 offset:2048
	ds_load_b128 v[115:118], v115 offset:3072
	v_mov_b32_e32 v119, s4
	s_waitcnt vmcnt(0) lgkmcnt(0)
	s_barrier
	v_or_b32_e32 v137, 2, v135
	v_or_b32_e32 v138, 4, v135
	;; [unrolled: 1-line block ×3, first 2 shown]
	v_cmp_gt_i32_e32 vcc_lo, s18, v135
	v_or_b32_e32 v140, 8, v135
	v_cmp_gt_i32_e64 s3, s18, v137
	v_or_b32_e32 v141, 10, v135
	v_cmp_gt_i32_e64 s4, s18, v138
	v_cmp_gt_i32_e64 s5, s18, v139
	v_or_b32_e32 v142, 12, v135
	v_or_b32_e32 v143, 14, v135
	v_cmp_gt_i32_e64 s6, s18, v140
	v_cmp_gt_i32_e64 s7, s18, v141
	v_or_b32_e32 v144, 16, v135
	v_or_b32_e32 v145, 18, v135
	v_cmp_gt_i32_e64 s8, s18, v142
	v_cmp_gt_i32_e64 s9, s18, v143
	buffer_gl0_inv
	v_cmp_gt_i32_e64 s10, s18, v144
	v_cmp_gt_i32_e64 s11, s18, v145
	v_wmma_f32_16x16x16_f16 v[127:134], v[71:78], v[103:110], v[119:126]
	v_wmma_f32_16x16x16_f16 v[119:126], v[79:86], v[103:110], v[119:126]
	v_or_b32_e32 v71, 20, v135
	v_or_b32_e32 v72, 22, v135
	s_delay_alu instid0(VALU_DEP_4)
	v_wmma_f32_16x16x16_f16 v[127:134], v[87:94], v[111:118], v[127:134]
	v_or_b32_e32 v73, 24, v135
	v_wmma_f32_16x16x16_f16 v[119:126], v[95:102], v[111:118], v[119:126]
	v_or_b32_e32 v74, 26, v135
	v_cmp_gt_i32_e64 s12, s18, v71
	v_dual_mul_f32 v83, s19, v128 :: v_dual_mul_f32 v84, s19, v127
	s_delay_alu instid0(VALU_DEP_4) | instskip(SKIP_1) | instid1(VALU_DEP_3)
	v_dual_mul_f32 v81, s19, v130 :: v_dual_mul_f32 v92, s19, v119
	v_mul_f32_e32 v82, s19, v129
	v_cndmask_b32_e64 v83, 0xff7fffff, v83, s3
	s_delay_alu instid0(VALU_DEP_4)
	v_cndmask_b32_e32 v84, 0xff7fffff, v84, vcc_lo
	v_dual_mul_f32 v79, s19, v132 :: v_dual_mul_f32 v90, s19, v121
	v_mul_f32_e32 v80, s19, v131
	v_cndmask_b32_e64 v82, 0xff7fffff, v82, s4
	v_cndmask_b32_e64 v81, 0xff7fffff, v81, s5
	v_max3_f32 v83, v84, 0xff7fffff, v83
	v_dual_mul_f32 v77, s19, v134 :: v_dual_mul_f32 v88, s19, v123
	v_mul_f32_e32 v78, s19, v133
	v_cndmask_b32_e64 v80, 0xff7fffff, v80, s6
	v_cndmask_b32_e64 v79, 0xff7fffff, v79, s7
	v_max3_f32 v81, v83, v82, v81
	v_mul_f32_e32 v91, s19, v120
	v_cndmask_b32_e64 v78, 0xff7fffff, v78, s8
	v_cndmask_b32_e64 v77, 0xff7fffff, v77, s9
	v_mul_f32_e32 v89, s19, v122
	v_max3_f32 v79, v81, v80, v79
	v_cndmask_b32_e64 v80, 0xff7fffff, v92, s10
	v_cndmask_b32_e64 v81, 0xff7fffff, v91, s11
	v_cmp_gt_i32_e64 s13, s18, v72
	v_or_b32_e32 v75, 28, v135
	v_max3_f32 v77, v79, v78, v77
	v_or_b32_e32 v76, 30, v135
	v_mul_f32_e32 v87, s19, v124
	v_cndmask_b32_e64 v71, 0xff7fffff, v90, s12
	v_cndmask_b32_e64 v72, 0xff7fffff, v89, s13
	v_max3_f32 v77, v77, v80, v81
	v_cmp_gt_i32_e64 s15, s18, v73
	v_cmp_gt_i32_e64 s16, s18, v74
	v_dual_mul_f32 v85, s19, v126 :: v_dual_mul_f32 v86, s19, v125
	s_delay_alu instid0(VALU_DEP_4) | instskip(NEXT) | instid1(VALU_DEP_4)
	v_max3_f32 v71, v77, v71, v72
	v_cndmask_b32_e64 v73, 0xff7fffff, v88, s15
	s_delay_alu instid0(VALU_DEP_4) | instskip(SKIP_2) | instid1(VALU_DEP_3)
	v_cndmask_b32_e64 v74, 0xff7fffff, v87, s16
	v_cmp_gt_i32_e64 s17, s18, v75
	v_cmp_gt_i32_e64 s18, s18, v76
	v_max3_f32 v71, v71, v73, v74
	s_delay_alu instid0(VALU_DEP_3) | instskip(NEXT) | instid1(VALU_DEP_3)
	v_cndmask_b32_e64 v72, 0xff7fffff, v86, s17
	v_cndmask_b32_e64 v75, 0xff7fffff, v85, s18
	v_lshlrev_b32_e32 v73, 2, v136
	s_delay_alu instid0(VALU_DEP_2) | instskip(SKIP_3) | instid1(VALU_DEP_1)
	v_max3_f32 v71, v71, v72, v75
	ds_bpermute_b32 v72, v73, v71
	s_waitcnt lgkmcnt(0)
	v_max_f32_e32 v72, v72, v72
	v_max_f32_e32 v71, v71, v72
	s_delay_alu instid0(VALU_DEP_1)
	v_fma_f32 v72, s19, v127, -v71
	v_fma_f32 v74, s19, v128, -v71
	;; [unrolled: 1-line block ×5, first 2 shown]
	v_mul_f32_e32 v72, 0x3fb8aa3b, v72
	v_mul_f32_e32 v74, 0x3fb8aa3b, v74
	v_fma_f32 v80, s19, v133, -v71
	s_delay_alu instid0(VALU_DEP_4) | instskip(NEXT) | instid1(VALU_DEP_4)
	v_dual_mul_f32 v76, 0x3fb8aa3b, v76 :: v_dual_mul_f32 v77, 0x3fb8aa3b, v77
	v_exp_f32_e32 v72, v72
	s_delay_alu instid0(VALU_DEP_3) | instskip(NEXT) | instid1(VALU_DEP_2)
	v_exp_f32_e32 v74, v74
	v_mul_f32_e32 v82, 0x3fb8aa3b, v80
	s_delay_alu instid0(VALU_DEP_2) | instskip(SKIP_1) | instid1(VALU_DEP_1)
	v_exp_f32_e32 v76, v76
	v_exp_f32_e32 v77, v77
	;; [unrolled: 1-line block ×3, first 2 shown]
	v_cndmask_b32_e32 v79, 0, v72, vcc_lo
	v_fma_f32 v72, s19, v132, -v71
	v_mul_f32_e32 v75, 0x3fb8aa3b, v75
	v_cndmask_b32_e64 v78, 0, v74, s3
	s_delay_alu instid0(TRANS32_DEP_3)
	v_cndmask_b32_e64 v80, 0, v76, s5
	v_add_f32_e32 v74, 0, v79
	v_mul_f32_e32 v72, 0x3fb8aa3b, v72
	v_exp_f32_e32 v75, v75
	v_cndmask_b32_e64 v83, 0, v77, s6
	v_cndmask_b32_e64 v85, 0, v84, s8
	v_add_f32_e32 v74, v74, v78
	v_exp_f32_e32 v72, v72
	s_mov_b32 s3, exec_lo
	s_waitcnt_depctr 0xfff
	v_cndmask_b32_e64 v81, 0, v75, s4
	v_cndmask_b32_e64 v82, 0, v72, s7
	s_delay_alu instid0(VALU_DEP_2) | instskip(NEXT) | instid1(VALU_DEP_1)
	v_add_f32_e32 v74, v74, v81
	v_add_f32_e32 v74, v74, v80
	s_delay_alu instid0(VALU_DEP_1) | instskip(SKIP_4) | instid1(VALU_DEP_4)
	v_add_f32_e32 v72, v74, v83
	v_fma_f32 v75, s19, v134, -v71
	v_fma_f32 v76, s19, v119, -v71
	v_fma_f32 v77, s19, v120, -v71
	v_fma_f32 v74, s19, v121, -v71
	v_dual_add_f32 v72, v72, v82 :: v_dual_mul_f32 v75, 0x3fb8aa3b, v75
	s_delay_alu instid0(VALU_DEP_3) | instskip(SKIP_1) | instid1(VALU_DEP_3)
	v_dual_mul_f32 v76, 0x3fb8aa3b, v76 :: v_dual_mul_f32 v77, 0x3fb8aa3b, v77
	v_fma_f32 v86, s19, v122, -v71
	v_add_f32_e32 v72, v72, v85
	s_delay_alu instid0(VALU_DEP_4) | instskip(NEXT) | instid1(VALU_DEP_3)
	v_exp_f32_e32 v75, v75
	v_exp_f32_e32 v76, v76
	v_exp_f32_e32 v77, v77
	v_mul_f32_e32 v86, 0x3fb8aa3b, v86
	s_delay_alu instid0(VALU_DEP_1) | instskip(SKIP_3) | instid1(TRANS32_DEP_3)
	v_exp_f32_e32 v88, v86
	v_cndmask_b32_e64 v84, 0, v75, s9
	v_fma_f32 v75, s19, v123, -v71
	v_mul_f32_e32 v74, 0x3fb8aa3b, v74
	v_cndmask_b32_e64 v87, 0, v76, s10
	v_fma_f32 v76, s19, v124, -v71
	s_delay_alu instid0(VALU_DEP_4) | instskip(NEXT) | instid1(VALU_DEP_4)
	v_dual_add_f32 v72, v72, v84 :: v_dual_mul_f32 v75, 0x3fb8aa3b, v75
	v_exp_f32_e32 v74, v74
	v_cndmask_b32_e64 v86, 0, v77, s11
	v_fma_f32 v77, s19, v125, -v71
	s_delay_alu instid0(VALU_DEP_3) | instskip(SKIP_3) | instid1(VALU_DEP_3)
	v_add_f32_e32 v72, v72, v87
	v_mul_f32_e32 v76, 0x3fb8aa3b, v76
	v_exp_f32_e32 v75, v75
	v_cndmask_b32_e64 v88, 0, v88, s13
	v_add_f32_e32 v72, v72, v86
	s_delay_alu instid0(VALU_DEP_3) | instskip(NEXT) | instid1(TRANS32_DEP_3)
	v_exp_f32_e32 v76, v76
	v_cndmask_b32_e64 v89, 0, v74, s12
	v_mul_f32_e32 v74, 0x3fb8aa3b, v77
	v_fma_f32 v77, s19, v126, -v71
	s_delay_alu instid0(VALU_DEP_3) | instskip(NEXT) | instid1(VALU_DEP_3)
	v_add_f32_e32 v72, v72, v89
	v_exp_f32_e32 v74, v74
	s_delay_alu instid0(TRANS32_DEP_3) | instskip(NEXT) | instid1(VALU_DEP_3)
	v_cndmask_b32_e64 v91, 0, v75, s15
	v_mul_f32_e32 v75, 0x3fb8aa3b, v77
	s_delay_alu instid0(TRANS32_DEP_2) | instskip(SKIP_1) | instid1(VALU_DEP_3)
	v_cndmask_b32_e64 v90, 0, v76, s16
	v_add_f32_e32 v72, v72, v88
	v_exp_f32_e32 v75, v75
	s_delay_alu instid0(VALU_DEP_1) | instskip(NEXT) | instid1(TRANS32_DEP_2)
	v_add_f32_e32 v72, v72, v91
	v_cndmask_b32_e64 v93, 0, v74, s17
	s_delay_alu instid0(VALU_DEP_2) | instskip(SKIP_3) | instid1(VALU_DEP_1)
	v_add_f32_e32 v72, v72, v90
	s_waitcnt_depctr 0xfff
	v_cndmask_b32_e64 v92, 0, v75, s18
	v_add_f32_e32 v72, v72, v93
	v_add_f32_e32 v72, v72, v92
	ds_bpermute_b32 v73, v73, v72
	v_cmpx_gt_u32_e32 16, v70
	s_cbranch_execz .LBB1177_12
; %bb.11:
	v_mul_u32_u24_e32 v70, 0x44, v69
	s_waitcnt lgkmcnt(0)
	v_add_f32_e32 v72, v72, v73
	s_delay_alu instid0(VALU_DEP_2) | instskip(NEXT) | instid1(VALU_DEP_1)
	v_lshl_add_u32 v70, v68, 2, v70
	v_add_nc_u32_e32 v70, 0x4000, v70
	ds_store_2addr_b32 v70, v71, v72 offset1:136
.LBB1177_12:
	s_or_b32 exec_lo, exec_lo, s3
	v_lshlrev_b32_e32 v70, 2, v68
	s_load_b32 s35, s[0:1], 0x94
	s_waitcnt lgkmcnt(0)
	s_barrier
	buffer_gl0_inv
	v_add_nc_u32_e32 v98, 0x4000, v70
	v_cmp_eq_u32_e32 vcc_lo, 1, v69
	v_cmp_eq_u32_e64 s3, 2, v69
	v_cmp_eq_u32_e64 s4, 3, v69
	;; [unrolled: 1-line block ×3, first 2 shown]
	ds_load_2addr_b32 v[70:71], v98 offset1:17
	ds_load_2addr_b32 v[72:73], v98 offset0:34 offset1:51
	ds_load_2addr_b32 v[74:75], v98 offset0:68 offset1:85
	;; [unrolled: 1-line block ×3, first 2 shown]
	v_cmp_eq_u32_e64 s6, 5, v69
	v_cmp_eq_u32_e64 s7, 7, v69
	s_waitcnt lgkmcnt(3)
	v_max3_f32 v76, v70, 0xff7fffff, v71
	s_waitcnt lgkmcnt(2)
	s_delay_alu instid0(VALU_DEP_1) | instskip(SKIP_1) | instid1(VALU_DEP_1)
	v_max3_f32 v76, v76, v72, v73
	s_waitcnt lgkmcnt(1)
	v_max3_f32 v76, v76, v74, v75
	s_waitcnt lgkmcnt(0)
	s_delay_alu instid0(VALU_DEP_1) | instskip(NEXT) | instid1(VALU_DEP_1)
	v_max3_f32 v76, v76, v94, v95
	v_sub_f32_e32 v77, v71, v76
	ds_load_2addr_b32 v[96:97], v98 offset0:136 offset1:153
	v_sub_f32_e32 v74, v74, v76
	v_sub_f32_e32 v70, v70, v76
	;; [unrolled: 1-line block ×3, first 2 shown]
	v_dual_sub_f32 v72, v72, v76 :: v_dual_mul_f32 v77, 0x3fb8aa3b, v77
	s_delay_alu instid0(VALU_DEP_4) | instskip(NEXT) | instid1(VALU_DEP_4)
	v_mul_f32_e32 v103, 0x3fb8aa3b, v74
	v_mul_f32_e32 v99, 0x3fb8aa3b, v70
	ds_load_2addr_b32 v[70:71], v98 offset0:170 offset1:187
	v_dual_mul_f32 v101, 0x3fb8aa3b, v72 :: v_dual_mul_f32 v94, 0x3fb8aa3b, v94
	v_exp_f32_e32 v102, v77
	v_exp_f32_e32 v99, v99
	s_delay_alu instid0(VALU_DEP_1) | instskip(NEXT) | instid1(VALU_DEP_1)
	v_exp_f32_e32 v101, v101
	v_exp_f32_e32 v94, v94
	s_waitcnt lgkmcnt(1)
	s_delay_alu instid0(TRANS32_DEP_3)
	v_fma_f32 v77, v99, v96, 0
	v_sub_f32_e32 v100, v73, v76
	ds_load_2addr_b32 v[72:73], v98 offset0:204 offset1:221
	v_fmac_f32_e32 v77, v102, v97
	v_exp_f32_e32 v97, v103
	s_waitcnt lgkmcnt(1)
	s_delay_alu instid0(VALU_DEP_1)
	v_dual_fmac_f32 v77, v101, v70 :: v_dual_sub_f32 v96, v75, v76
	ds_load_2addr_b32 v[74:75], v98 offset0:238 offset1:255
	v_sub_f32_e32 v70, v95, v76
	s_waitcnt lgkmcnt(0)
	s_barrier
	v_mul_f32_e32 v96, 0x3fb8aa3b, v96
	buffer_gl0_inv
	v_exp_f32_e32 v95, v96
	v_mul_f32_e32 v100, 0x3fb8aa3b, v100
	s_delay_alu instid0(VALU_DEP_1) | instskip(SKIP_3) | instid1(VALU_DEP_2)
	v_exp_f32_e32 v100, v100
	s_waitcnt_depctr 0xfff
	v_dual_fmac_f32 v77, v100, v71 :: v_dual_mul_f32 v70, 0x3fb8aa3b, v70
	v_cndmask_b32_e32 v71, v99, v102, vcc_lo
	v_fmac_f32_e32 v77, v97, v72
	s_delay_alu instid0(VALU_DEP_3) | instskip(NEXT) | instid1(VALU_DEP_1)
	v_exp_f32_e32 v96, v70
	v_fmac_f32_e32 v77, v95, v73
	s_delay_alu instid0(VALU_DEP_1) | instskip(SKIP_2) | instid1(VALU_DEP_1)
	v_fmac_f32_e32 v77, v94, v74
	s_waitcnt_depctr 0xfff
	v_fmac_f32_e32 v77, v96, v75
	v_add_f32_e32 v74, 0x358637bd, v77
	s_delay_alu instid0(VALU_DEP_1) | instskip(SKIP_1) | instid1(VALU_DEP_2)
	v_div_scale_f32 v98, null, v74, v74, 1.0
	v_div_scale_f32 v99, vcc_lo, 1.0, v74, 1.0
	v_rcp_f32_e32 v103, v98
	s_waitcnt_depctr 0xfff
	v_fma_f32 v70, -v98, v103, 1.0
	s_delay_alu instid0(VALU_DEP_1) | instskip(SKIP_2) | instid1(VALU_DEP_2)
	v_fmac_f32_e32 v103, v70, v103
	v_cndmask_b32_e64 v70, v71, v101, s3
	v_cmp_eq_u32_e64 s3, 6, v69
	v_cndmask_b32_e64 v71, v70, v100, s4
	s_delay_alu instid0(VALU_DEP_4) | instskip(NEXT) | instid1(VALU_DEP_2)
	v_dual_mul_f32 v101, v99, v103 :: v_dual_lshlrev_b32 v70, 2, v66
	v_cndmask_b32_e64 v71, v71, v97, s5
	s_delay_alu instid0(VALU_DEP_2) | instskip(NEXT) | instid1(VALU_DEP_3)
	v_or_b32_e32 v72, 1, v70
	v_fma_f32 v100, -v98, v101, v99
	v_cmp_eq_u32_e64 s4, 1, v70
	v_cmp_eq_u32_e64 s5, 2, v70
	v_cndmask_b32_e64 v95, v71, v95, s6
	v_or_b32_e32 v71, 3, v70
	v_fmac_f32_e32 v101, v100, v103
	v_cmp_eq_u32_e64 s9, 1, v72
	v_cmp_eq_u32_e64 s12, 2, v72
	v_cndmask_b32_e64 v94, v95, v94, s3
	v_cmp_eq_u32_e64 s11, 1, v71
	v_fma_f32 v97, -v98, v101, v99
	v_cmp_eq_u32_e64 s16, 2, v71
	v_cmp_eq_u32_e64 s13, 3, v72
	v_cndmask_b32_e64 v94, v94, v96, s7
	v_cmp_eq_u32_e64 s18, 3, v71
	v_div_fmas_f32 v95, v97, v103, v101
	v_cmp_eq_u32_e32 vcc_lo, 3, v70
	v_cmp_eq_u32_e64 s3, 4, v70
	v_cmp_eq_u32_e64 s19, 4, v72
	;; [unrolled: 1-line block ×3, first 2 shown]
	v_div_fixup_f32 v95, v95, v74, 1.0
	v_lshlrev_b32_e32 v73, 6, v68
	v_cmp_eq_u32_e64 s6, 5, v70
	v_cmp_eq_u32_e64 s20, 5, v72
	v_cmp_eq_u32_e64 s24, 5, v71
	v_mul_f32_e32 v102, v94, v95
	v_lshl_or_b32 v75, v69, 11, v73
	v_or_b32_e32 v69, 2, v70
	v_cmp_eq_u32_e64 s25, 6, v72
	v_cmp_eq_u32_e64 s27, 6, v71
	v_fma_mixlo_f16 v94, v102, v79, 0
	v_fma_mixlo_f16 v95, v102, v81, 0
	;; [unrolled: 1-line block ×8, first 2 shown]
	v_lshl_or_b32 v74, v66, 4, v75
	v_fma_mixhi_f16 v94, v102, v78, 0
	v_fma_mixhi_f16 v95, v102, v80, 0
	v_fma_mixhi_f16 v96, v102, v82, 0
	v_fma_mixhi_f16 v97, v102, v84, 0
	v_fma_mixhi_f16 v98, v102, v86, 0
	v_fma_mixhi_f16 v99, v102, v88, 0
	v_fma_mixhi_f16 v100, v102, v90, 0
	v_fma_mixhi_f16 v101, v102, v92, 0
	ds_store_b128 v74, v[94:97]
	ds_store_b128 v74, v[98:101] offset:1024
	s_waitcnt lgkmcnt(0)
	s_barrier
	buffer_gl0_inv
	ds_load_b128 v[78:81], v75
	ds_load_b128 v[82:85], v75 offset:16
	ds_load_b128 v[86:89], v75 offset:1024
	ds_load_b128 v[90:93], v75 offset:1040
	v_cmp_eq_u32_e64 s10, 1, v69
	v_cmp_eq_u32_e64 s15, 2, v69
	;; [unrolled: 1-line block ×11, first 2 shown]
	s_waitcnt lgkmcnt(3)
	v_lshrrev_b32_e32 v94, 16, v78
	s_waitcnt lgkmcnt(2)
	v_lshrrev_b32_e32 v98, 16, v82
	;; [unrolled: 2-line block ×4, first 2 shown]
	v_lshrrev_b32_e32 v95, 16, v79
	v_cndmask_b32_e64 v110, v78, v94, s4
	v_cndmask_b32_e64 v111, v82, v98, s4
	;; [unrolled: 1-line block ×8, first 2 shown]
	v_lshrrev_b32_e32 v99, 16, v83
	v_cndmask_b32_e64 v94, v86, v102, s4
	v_cndmask_b32_e64 v98, v90, v106, s4
	;; [unrolled: 1-line block ×15, first 2 shown]
	v_lshrrev_b32_e32 v103, 16, v87
	v_lshrrev_b32_e32 v107, 16, v91
	v_cndmask_b32_e64 v113, v115, v83, s15
	v_cndmask_b32_e64 v82, v94, v87, s5
	;; [unrolled: 1-line block ×7, first 2 shown]
	v_cndmask_b32_e32 v90, v102, v95, vcc_lo
	v_cndmask_b32_e32 v102, v106, v99, vcc_lo
	v_cndmask_b32_e64 v106, v110, v95, s13
	v_cndmask_b32_e64 v110, v111, v99, s13
	v_cndmask_b32_e64 v78, v78, v95, s18
	v_cndmask_b32_e64 v79, v79, v99, s18
	v_lshrrev_b32_e32 v96, 16, v80
	v_lshrrev_b32_e32 v100, 16, v84
	v_cndmask_b32_e64 v111, v112, v95, s17
	v_cndmask_b32_e64 v112, v113, v99, s17
	v_cndmask_b32_e32 v82, v82, v103, vcc_lo
	v_cndmask_b32_e32 v83, v83, v107, vcc_lo
	v_cndmask_b32_e64 v94, v94, v103, s13
	v_cndmask_b32_e64 v90, v90, v80, s3
	;; [unrolled: 1-line block ×7, first 2 shown]
	v_lshrrev_b32_e32 v104, 16, v88
	v_cndmask_b32_e64 v106, v111, v80, s21
	v_cndmask_b32_e64 v110, v112, v84, s21
	;; [unrolled: 1-line block ×11, first 2 shown]
	v_lshrrev_b32_e32 v97, 16, v81
	v_lshrrev_b32_e32 v101, 16, v85
	v_cndmask_b32_e64 v99, v106, v96, s23
	v_cndmask_b32_e64 v102, v110, v100, s23
	v_cndmask_b32_e64 v83, v83, v104, s20
	v_cndmask_b32_e64 v94, v94, v81, s25
	v_cndmask_b32_e64 v95, v95, v85, s25
	v_cndmask_b32_e64 v78, v78, v81, s27
	v_cndmask_b32_e64 v79, v79, v85, s27
	v_lshrrev_b32_e32 v105, 16, v89
	v_cndmask_b32_e64 v80, v80, v104, s6
	v_cndmask_b32_e64 v84, v84, v81, s7
	v_cndmask_b32_e64 v90, v90, v85, s7
	v_cndmask_b32_e64 v96, v99, v81, s26
	v_cndmask_b32_e64 v99, v102, v85, s26
	v_cndmask_b32_e64 v81, v83, v89, s25
	v_cndmask_b32_e64 v85, v94, v97, s30
	v_cndmask_b32_e64 v78, v78, v97, s29
	v_cndmask_b32_e64 v79, v79, v101, s29
	v_cndmask_b32_e64 v95, v95, v101, s30
	v_cndmask_b32_e64 v80, v80, v89, s7
	v_cndmask_b32_e64 v83, v84, v97, s8
	v_cndmask_b32_e64 v84, v90, v101, s8
	v_cndmask_b32_e64 v90, v96, v97, s28
	v_cndmask_b32_e64 v94, v99, v101, s28
	v_cndmask_b32_e64 v97, v81, v105, s30
	v_perm_b32 v81, v79, v78, 0x5040100
	v_perm_b32 v79, v95, v85, 0x5040100
	v_cndmask_b32_e64 v78, v119, v91, s15
	v_cndmask_b32_e64 v85, v117, v91, s12
	;; [unrolled: 1-line block ×3, first 2 shown]
	v_perm_b32 v80, v94, v90, 0x5040100
	v_cndmask_b32_e64 v90, v98, v103, s17
	v_cndmask_b32_e64 v86, v86, v103, s18
	;; [unrolled: 1-line block ×5, first 2 shown]
	v_lshrrev_b32_e32 v108, 16, v92
	v_cndmask_b32_e64 v90, v90, v88, s21
	v_cndmask_b32_e64 v86, v86, v88, s22
	;; [unrolled: 1-line block ×11, first 2 shown]
	v_lshrrev_b32_e32 v109, 16, v93
	v_cndmask_b32_e64 v82, v82, v93, s7
	v_cndmask_b32_e64 v88, v88, v89, s26
	;; [unrolled: 1-line block ×12, first 2 shown]
	v_perm_b32 v78, v84, v83, 0x5040100
	v_perm_b32 v85, v87, v86, 0x5040100
	;; [unrolled: 1-line block ×5, first 2 shown]
	s_mul_i32 s8, s33, 12
	s_mov_b32 s3, exec_lo
	ds_store_b128 v74, v[78:81]
	ds_store_b128 v74, v[82:85] offset:1024
	v_cmpx_gt_u32_e32 12, v0
	s_cbranch_execz .LBB1177_14
; %bb.13:
	s_mul_i32 s4, s8, s34
	s_delay_alu instid0(SALU_CYCLE_1) | instskip(SKIP_1) | instid1(VALU_DEP_1)
	v_add3_u32 v68, s4, s31, v68
	s_load_b128 s[4:7], s[0:1], 0x58
	v_mad_u64_u32 v[78:79], null, v68, s35, s[14:15]
	s_delay_alu instid0(VALU_DEP_1) | instskip(NEXT) | instid1(VALU_DEP_1)
	v_ashrrev_i32_e32 v79, 31, v78
	v_lshlrev_b64 v[78:79], 2, v[78:79]
	s_waitcnt lgkmcnt(0)
	s_delay_alu instid0(VALU_DEP_1) | instskip(NEXT) | instid1(VALU_DEP_2)
	v_add_co_u32 v80, vcc_lo, s6, v78
	v_add_co_ci_u32_e32 v81, vcc_lo, s7, v79, vcc_lo
	v_add_co_u32 v78, vcc_lo, s4, v78
	v_add_co_ci_u32_e32 v79, vcc_lo, s5, v79, vcc_lo
	global_store_b32 v[80:81], v76, off
	global_store_b32 v[78:79], v77, off
.LBB1177_14:
	s_or_b32 exec_lo, exec_lo, s3
	s_waitcnt lgkmcnt(0)
	s_waitcnt_vscnt null, 0x0
	s_barrier
	buffer_gl0_inv
	ds_load_b128 v[84:87], v73
	ds_load_b128 v[88:91], v73 offset:16
	ds_load_b128 v[96:99], v73 offset:2064
	;; [unrolled: 1-line block ×5, first 2 shown]
	v_cmp_eq_u32_e32 vcc_lo, 1, v70
	v_mov_b32_e32 v76, 0
	ds_load_b128 v[112:115], v73 offset:6160
	ds_load_b128 v[108:111], v73 offset:6144
	;; [unrolled: 1-line block ×4, first 2 shown]
	v_cmp_eq_u32_e64 s4, 1, v69
	v_cmp_eq_u32_e64 s3, 1, v72
	;; [unrolled: 1-line block ×3, first 2 shown]
	v_mov_b32_e32 v77, v76
	v_mov_b32_e32 v78, v76
	;; [unrolled: 1-line block ×7, first 2 shown]
	v_cmp_eq_u32_e64 s6, 3, v72
	v_cmp_eq_u32_e64 s7, 7, v72
	s_waitcnt lgkmcnt(8)
	s_delay_alu instid0(VALU_DEP_3)
	v_wmma_f32_16x16x16_f16 v[76:83], v[49:56], v[84:91], v[76:83]
	ds_load_b128 v[53:56], v73 offset:10256
	ds_load_b128 v[49:52], v73 offset:10240
	s_waitcnt lgkmcnt(8)
	v_wmma_f32_16x16x16_f16 v[76:83], v[41:48], v[92:99], v[76:83]
	ds_load_b128 v[45:48], v73 offset:12304
	ds_load_b128 v[41:44], v73 offset:12288
	s_waitcnt lgkmcnt(8)
	;; [unrolled: 4-line block ×3, first 2 shown]
	s_barrier
	buffer_gl0_inv
	v_wmma_f32_16x16x16_f16 v[76:83], v[1:8], v[108:115], v[76:83]
	s_delay_alu instid0(VALU_DEP_1) | instskip(NEXT) | instid1(VALU_DEP_1)
	v_wmma_f32_16x16x16_f16 v[76:83], v[9:16], v[116:123], v[76:83]
	v_wmma_f32_16x16x16_f16 v[76:83], v[17:24], v[49:56], v[76:83]
	s_delay_alu instid0(VALU_DEP_1) | instskip(NEXT) | instid1(VALU_DEP_1)
	v_wmma_f32_16x16x16_f16 v[76:83], v[25:32], v[41:48], v[76:83]
	v_wmma_f32_16x16x16_f16 v[76:83], v[57:64], v[33:40], v[76:83]
	s_delay_alu instid0(VALU_DEP_1) | instskip(NEXT) | instid1(VALU_DEP_2)
	v_cvt_f16_f32_e32 v1, v76
	v_cvt_f16_f32_e32 v2, v77
	s_delay_alu instid0(VALU_DEP_3) | instskip(NEXT) | instid1(VALU_DEP_4)
	v_cvt_f16_f32_e32 v3, v78
	v_cvt_f16_f32_e32 v4, v79
	;; [unrolled: 1-line block ×6, first 2 shown]
	v_pack_b32_f16 v1, v1, v2
	v_pack_b32_f16 v2, v3, v4
	;; [unrolled: 1-line block ×3, first 2 shown]
	s_delay_alu instid0(VALU_DEP_4)
	v_pack_b32_f16 v4, v7, v8
	ds_store_b128 v74, v[1:4]
	s_waitcnt lgkmcnt(0)
	s_barrier
	buffer_gl0_inv
	ds_load_b128 v[1:4], v75
	ds_load_b128 v[5:8], v75 offset:16
	s_waitcnt lgkmcnt(1)
	v_lshrrev_b32_e32 v9, 16, v1
	s_waitcnt lgkmcnt(0)
	v_lshrrev_b32_e32 v13, 16, v5
	v_lshrrev_b32_e32 v10, 16, v2
	;; [unrolled: 1-line block ×4, first 2 shown]
	v_cndmask_b32_e32 v17, v1, v9, vcc_lo
	v_cndmask_b32_e32 v18, v5, v13, vcc_lo
	v_cndmask_b32_e64 v21, v1, v9, s4
	v_cmp_eq_u32_e32 vcc_lo, 1, v71
	v_cndmask_b32_e64 v22, v5, v13, s4
	v_cmp_eq_u32_e64 s4, 2, v70
	v_cndmask_b32_e64 v19, v1, v9, s3
	v_cndmask_b32_e64 v20, v5, v13, s3
	v_cndmask_b32_e32 v1, v1, v9, vcc_lo
	v_cmp_eq_u32_e64 s3, 2, v71
	v_cndmask_b32_e32 v5, v5, v13, vcc_lo
	v_cndmask_b32_e64 v9, v17, v2, s4
	v_cmp_eq_u32_e32 vcc_lo, 3, v70
	v_cndmask_b32_e64 v13, v18, v6, s4
	v_cmp_eq_u32_e64 s4, 2, v69
	v_cndmask_b32_e64 v17, v19, v2, s5
	v_cndmask_b32_e64 v18, v20, v6, s5
	v_cmp_eq_u32_e64 s5, 3, v69
	v_cndmask_b32_e64 v1, v1, v2, s3
	v_cndmask_b32_e64 v19, v21, v2, s4
	;; [unrolled: 1-line block ×4, first 2 shown]
	v_cndmask_b32_e32 v5, v9, v10, vcc_lo
	v_cndmask_b32_e32 v6, v13, v14, vcc_lo
	v_cmp_eq_u32_e32 vcc_lo, 3, v71
	v_cndmask_b32_e64 v9, v17, v10, s6
	v_cndmask_b32_e64 v13, v18, v14, s6
	;; [unrolled: 1-line block ×3, first 2 shown]
	v_cmp_eq_u32_e64 s4, 4, v70
	v_cndmask_b32_e32 v1, v1, v10, vcc_lo
	v_cndmask_b32_e32 v2, v2, v14, vcc_lo
	v_cmp_eq_u32_e32 vcc_lo, 4, v72
	v_lshrrev_b32_e32 v15, 16, v7
	v_lshrrev_b32_e32 v16, 16, v8
	v_cndmask_b32_e64 v17, v19, v10, s5
	v_cmp_eq_u32_e64 s3, 4, v71
	v_cndmask_b32_e64 v5, v5, v3, s4
	v_cndmask_b32_e64 v6, v6, v7, s4
	v_cndmask_b32_e32 v9, v9, v3, vcc_lo
	v_cmp_eq_u32_e64 s4, 5, v72
	v_cndmask_b32_e32 v10, v13, v7, vcc_lo
	v_cmp_eq_u32_e32 vcc_lo, 4, v69
	v_cmp_eq_u32_e64 s5, 5, v70
	v_cndmask_b32_e64 v2, v2, v7, s3
	v_cndmask_b32_e64 v9, v9, v11, s4
	;; [unrolled: 1-line block ×3, first 2 shown]
	v_cndmask_b32_e32 v13, v17, v3, vcc_lo
	v_cmp_eq_u32_e64 s4, 5, v69
	v_cndmask_b32_e32 v14, v18, v7, vcc_lo
	v_cndmask_b32_e64 v1, v1, v3, s3
	v_cmp_eq_u32_e32 vcc_lo, 5, v71
	v_lshrrev_b32_e32 v12, 16, v4
	v_cndmask_b32_e64 v13, v13, v11, s4
	v_cndmask_b32_e64 v3, v14, v15, s4
	v_cmp_eq_u32_e64 s4, 6, v71
	v_cndmask_b32_e32 v1, v1, v11, vcc_lo
	v_cndmask_b32_e64 v5, v5, v11, s5
	v_cmp_eq_u32_e64 s6, 6, v70
	v_cndmask_b32_e64 v6, v6, v15, s5
	v_cmp_eq_u32_e64 s5, 6, v72
	v_cmp_eq_u32_e64 s3, 6, v69
	v_cndmask_b32_e64 v1, v1, v4, s4
	v_cndmask_b32_e32 v2, v2, v15, vcc_lo
	v_cmp_eq_u32_e32 vcc_lo, 7, v71
	v_cndmask_b32_e64 v5, v5, v4, s6
	v_cndmask_b32_e64 v9, v9, v4, s5
	;; [unrolled: 1-line block ×3, first 2 shown]
	v_cmp_eq_u32_e64 s6, 7, v70
	v_cndmask_b32_e32 v1, v1, v12, vcc_lo
	v_cndmask_b32_e64 v7, v13, v4, s3
	v_cndmask_b32_e64 v3, v3, v8, s3
	;; [unrolled: 1-line block ×3, first 2 shown]
	v_cmp_eq_u32_e64 s3, 7, v69
	v_cndmask_b32_e64 v4, v10, v8, s5
	v_cndmask_b32_e64 v5, v5, v12, s6
	;; [unrolled: 1-line block ×3, first 2 shown]
	v_cndmask_b32_e32 v2, v2, v16, vcc_lo
	v_cndmask_b32_e64 v7, v7, v12, s3
	v_cndmask_b32_e64 v3, v3, v16, s3
	;; [unrolled: 1-line block ×4, first 2 shown]
	v_cmp_gt_u32_e32 vcc_lo, 32, v0
	v_perm_b32 v4, v2, v1, 0x5040100
	v_perm_b32 v3, v3, v7, 0x5040100
	;; [unrolled: 1-line block ×4, first 2 shown]
	s_and_b32 s2, vcc_lo, s2
	ds_store_b128 v74, v[1:4]
	s_waitcnt lgkmcnt(0)
	s_barrier
	buffer_gl0_inv
	s_and_saveexec_b32 s3, s2
	s_cbranch_execz .LBB1177_2
; %bb.15:
	s_load_b64 s[0:1], s[0:1], 0x68
	v_lshlrev_b32_e32 v0, 10, v0
	s_lshl_b32 s4, s35, 6
	v_or_b32_e32 v3, s31, v66
	s_mul_i32 s2, s4, s34
	v_lshlrev_b32_e32 v1, 4, v67
	s_mul_i32 s2, s2, s8
	v_lshlrev_b32_e32 v2, 6, v66
	v_and_b32_e32 v0, 0x3800, v0
	s_ashr_i32 s3, s2, 31
	v_mul_lo_u32 v4, v3, s4
	s_lshl_b64 s[2:3], s[2:3], 1
	s_delay_alu instid0(VALU_DEP_2) | instskip(NEXT) | instid1(VALU_DEP_2)
	v_or3_b32 v16, v0, v1, v2
	v_ashrrev_i32_e32 v5, 31, v4
	ds_load_b128 v[0:3], v16
	s_waitcnt lgkmcnt(0)
	s_add_u32 s2, s0, s2
	s_addc_u32 s3, s1, s3
	s_lshl_b32 s0, s14, 6
	v_lshlrev_b64 v[5:6], 1, v[4:5]
	s_ashr_i32 s1, s0, 31
	s_delay_alu instid0(SALU_CYCLE_1) | instskip(NEXT) | instid1(SALU_CYCLE_1)
	s_lshl_b64 s[0:1], s[0:1], 1
	s_add_u32 s0, s2, s0
	s_addc_u32 s1, s3, s1
	s_lshl_b32 s2, s35, 7
	v_add_co_u32 v30, s0, s0, v65
	v_add_nc_u32_e32 v8, s2, v4
	v_add_co_ci_u32_e64 v31, null, s1, 0, s0
	s_delay_alu instid0(VALU_DEP_3) | instskip(NEXT) | instid1(VALU_DEP_3)
	v_add_co_u32 v12, vcc_lo, v30, v5
	v_add_nc_u32_e32 v10, s2, v8
	v_ashrrev_i32_e32 v9, 31, v8
	s_delay_alu instid0(VALU_DEP_4)
	v_add_co_ci_u32_e32 v13, vcc_lo, v31, v6, vcc_lo
	ds_load_b128 v[4:7], v16 offset:128
	v_ashrrev_i32_e32 v11, 31, v10
	v_lshlrev_b64 v[8:9], 1, v[8:9]
	v_add_nc_u32_e32 v14, s2, v10
	global_store_b128 v[12:13], v[0:3], off
	v_lshlrev_b64 v[0:1], 1, v[10:11]
	v_ashrrev_i32_e32 v15, 31, v14
	v_add_co_u32 v22, vcc_lo, v30, v8
	v_add_nc_u32_e32 v20, s2, v14
	v_add_co_ci_u32_e32 v23, vcc_lo, v31, v9, vcc_lo
	v_add_co_u32 v26, vcc_lo, v30, v0
	v_lshlrev_b64 v[24:25], 1, v[14:15]
	v_add_co_ci_u32_e32 v27, vcc_lo, v31, v1, vcc_lo
	ds_load_b128 v[0:3], v16 offset:256
	ds_load_b128 v[8:11], v16 offset:384
	;; [unrolled: 1-line block ×4, first 2 shown]
	v_add_nc_u32_e32 v28, s2, v20
	v_ashrrev_i32_e32 v21, 31, v20
	v_add_co_u32 v24, vcc_lo, v30, v24
	v_add_co_ci_u32_e32 v25, vcc_lo, v31, v25, vcc_lo
	s_delay_alu instid0(VALU_DEP_4) | instskip(NEXT) | instid1(VALU_DEP_4)
	v_ashrrev_i32_e32 v29, 31, v28
	v_lshlrev_b64 v[20:21], 1, v[20:21]
	s_delay_alu instid0(VALU_DEP_2) | instskip(NEXT) | instid1(VALU_DEP_2)
	v_lshlrev_b64 v[28:29], 1, v[28:29]
	v_add_co_u32 v20, vcc_lo, v30, v20
	s_delay_alu instid0(VALU_DEP_3) | instskip(NEXT) | instid1(VALU_DEP_3)
	v_add_co_ci_u32_e32 v21, vcc_lo, v31, v21, vcc_lo
	v_add_co_u32 v28, vcc_lo, v30, v28
	s_delay_alu instid0(VALU_DEP_4)
	v_add_co_ci_u32_e32 v29, vcc_lo, v31, v29, vcc_lo
	s_waitcnt lgkmcnt(4)
	global_store_b128 v[22:23], v[4:7], off
	s_waitcnt lgkmcnt(3)
	global_store_b128 v[26:27], v[0:3], off
	s_waitcnt lgkmcnt(2)
	global_store_b128 v[24:25], v[8:11], off
	s_waitcnt lgkmcnt(1)
	global_store_b128 v[20:21], v[12:15], off
	s_waitcnt lgkmcnt(0)
	global_store_b128 v[28:29], v[16:19], off
	s_nop 0
	s_sendmsg sendmsg(MSG_DEALLOC_VGPRS)
	s_endpgm
	.section	.rodata,"a",@progbits
	.p2align	6, 0x0
	.amdhsa_kernel _Z39paged_attention_ll4mi_QKV_mfma16_kernelIDF16_hLN4vllm18Fp8KVCacheDataTypeE1EhLi32ELi64ELi256ELb0ELi12EL8MFMAType0EEvPKT_PKT0_S8_ifPKiSA_SA_iPKfiiiPfSD_PS3_PT2_iSC_SC_
		.amdhsa_group_segment_fixed_size 17472
		.amdhsa_private_segment_fixed_size 0
		.amdhsa_kernarg_size 400
		.amdhsa_user_sgpr_count 13
		.amdhsa_user_sgpr_dispatch_ptr 0
		.amdhsa_user_sgpr_queue_ptr 0
		.amdhsa_user_sgpr_kernarg_segment_ptr 1
		.amdhsa_user_sgpr_dispatch_id 0
		.amdhsa_user_sgpr_private_segment_size 0
		.amdhsa_wavefront_size32 1
		.amdhsa_uses_dynamic_stack 0
		.amdhsa_enable_private_segment 0
		.amdhsa_system_sgpr_workgroup_id_x 1
		.amdhsa_system_sgpr_workgroup_id_y 1
		.amdhsa_system_sgpr_workgroup_id_z 1
		.amdhsa_system_sgpr_workgroup_info 0
		.amdhsa_system_vgpr_workitem_id 0
		.amdhsa_next_free_vgpr 146
		.amdhsa_next_free_sgpr 38
		.amdhsa_reserve_vcc 1
		.amdhsa_float_round_mode_32 0
		.amdhsa_float_round_mode_16_64 0
		.amdhsa_float_denorm_mode_32 3
		.amdhsa_float_denorm_mode_16_64 3
		.amdhsa_dx10_clamp 1
		.amdhsa_ieee_mode 1
		.amdhsa_fp16_overflow 0
		.amdhsa_workgroup_processor_mode 1
		.amdhsa_memory_ordered 1
		.amdhsa_forward_progress 0
		.amdhsa_shared_vgpr_count 0
		.amdhsa_exception_fp_ieee_invalid_op 0
		.amdhsa_exception_fp_denorm_src 0
		.amdhsa_exception_fp_ieee_div_zero 0
		.amdhsa_exception_fp_ieee_overflow 0
		.amdhsa_exception_fp_ieee_underflow 0
		.amdhsa_exception_fp_ieee_inexact 0
		.amdhsa_exception_int_div_zero 0
	.end_amdhsa_kernel
	.section	.text._Z39paged_attention_ll4mi_QKV_mfma16_kernelIDF16_hLN4vllm18Fp8KVCacheDataTypeE1EhLi32ELi64ELi256ELb0ELi12EL8MFMAType0EEvPKT_PKT0_S8_ifPKiSA_SA_iPKfiiiPfSD_PS3_PT2_iSC_SC_,"axG",@progbits,_Z39paged_attention_ll4mi_QKV_mfma16_kernelIDF16_hLN4vllm18Fp8KVCacheDataTypeE1EhLi32ELi64ELi256ELb0ELi12EL8MFMAType0EEvPKT_PKT0_S8_ifPKiSA_SA_iPKfiiiPfSD_PS3_PT2_iSC_SC_,comdat
.Lfunc_end1177:
	.size	_Z39paged_attention_ll4mi_QKV_mfma16_kernelIDF16_hLN4vllm18Fp8KVCacheDataTypeE1EhLi32ELi64ELi256ELb0ELi12EL8MFMAType0EEvPKT_PKT0_S8_ifPKiSA_SA_iPKfiiiPfSD_PS3_PT2_iSC_SC_, .Lfunc_end1177-_Z39paged_attention_ll4mi_QKV_mfma16_kernelIDF16_hLN4vllm18Fp8KVCacheDataTypeE1EhLi32ELi64ELi256ELb0ELi12EL8MFMAType0EEvPKT_PKT0_S8_ifPKiSA_SA_iPKfiiiPfSD_PS3_PT2_iSC_SC_
                                        ; -- End function
	.section	.AMDGPU.csdata,"",@progbits
; Kernel info:
; codeLenInByte = 6596
; NumSgprs: 40
; NumVgprs: 146
; ScratchSize: 0
; MemoryBound: 0
; FloatMode: 240
; IeeeMode: 1
; LDSByteSize: 17472 bytes/workgroup (compile time only)
; SGPRBlocks: 4
; VGPRBlocks: 18
; NumSGPRsForWavesPerEU: 40
; NumVGPRsForWavesPerEU: 146
; Occupancy: 9
; WaveLimiterHint : 1
; COMPUTE_PGM_RSRC2:SCRATCH_EN: 0
; COMPUTE_PGM_RSRC2:USER_SGPR: 13
; COMPUTE_PGM_RSRC2:TRAP_HANDLER: 0
; COMPUTE_PGM_RSRC2:TGID_X_EN: 1
; COMPUTE_PGM_RSRC2:TGID_Y_EN: 1
; COMPUTE_PGM_RSRC2:TGID_Z_EN: 1
; COMPUTE_PGM_RSRC2:TIDIG_COMP_CNT: 0
	.section	.text._Z39paged_attention_ll4mi_QKV_mfma16_kernelIDF16_hLN4vllm18Fp8KVCacheDataTypeE1EhLi32ELi64ELi256ELb0ELi13EL8MFMAType0EEvPKT_PKT0_S8_ifPKiSA_SA_iPKfiiiPfSD_PS3_PT2_iSC_SC_,"axG",@progbits,_Z39paged_attention_ll4mi_QKV_mfma16_kernelIDF16_hLN4vllm18Fp8KVCacheDataTypeE1EhLi32ELi64ELi256ELb0ELi13EL8MFMAType0EEvPKT_PKT0_S8_ifPKiSA_SA_iPKfiiiPfSD_PS3_PT2_iSC_SC_,comdat
	.protected	_Z39paged_attention_ll4mi_QKV_mfma16_kernelIDF16_hLN4vllm18Fp8KVCacheDataTypeE1EhLi32ELi64ELi256ELb0ELi13EL8MFMAType0EEvPKT_PKT0_S8_ifPKiSA_SA_iPKfiiiPfSD_PS3_PT2_iSC_SC_ ; -- Begin function _Z39paged_attention_ll4mi_QKV_mfma16_kernelIDF16_hLN4vllm18Fp8KVCacheDataTypeE1EhLi32ELi64ELi256ELb0ELi13EL8MFMAType0EEvPKT_PKT0_S8_ifPKiSA_SA_iPKfiiiPfSD_PS3_PT2_iSC_SC_
	.globl	_Z39paged_attention_ll4mi_QKV_mfma16_kernelIDF16_hLN4vllm18Fp8KVCacheDataTypeE1EhLi32ELi64ELi256ELb0ELi13EL8MFMAType0EEvPKT_PKT0_S8_ifPKiSA_SA_iPKfiiiPfSD_PS3_PT2_iSC_SC_
	.p2align	8
	.type	_Z39paged_attention_ll4mi_QKV_mfma16_kernelIDF16_hLN4vllm18Fp8KVCacheDataTypeE1EhLi32ELi64ELi256ELb0ELi13EL8MFMAType0EEvPKT_PKT0_S8_ifPKiSA_SA_iPKfiiiPfSD_PS3_PT2_iSC_SC_,@function
_Z39paged_attention_ll4mi_QKV_mfma16_kernelIDF16_hLN4vllm18Fp8KVCacheDataTypeE1EhLi32ELi64ELi256ELb0ELi13EL8MFMAType0EEvPKT_PKT0_S8_ifPKiSA_SA_iPKfiiiPfSD_PS3_PT2_iSC_SC_: ; @_Z39paged_attention_ll4mi_QKV_mfma16_kernelIDF16_hLN4vllm18Fp8KVCacheDataTypeE1EhLi32ELi64ELi256ELb0ELi13EL8MFMAType0EEvPKT_PKT0_S8_ifPKiSA_SA_iPKfiiiPfSD_PS3_PT2_iSC_SC_
; %bb.0:
	s_load_b64 s[2:3], s[0:1], 0x30
	s_mov_b32 s34, s13
	s_waitcnt lgkmcnt(0)
	s_cmp_lg_u64 s[2:3], 0
	s_cselect_b32 s6, -1, 0
	s_ashr_i32 s35, s13, 31
	s_cmp_eq_u64 s[2:3], 0
	s_cbranch_scc1 .LBB1178_3
; %bb.1:
	s_lshl_b64 s[4:5], s[34:35], 2
	s_delay_alu instid0(SALU_CYCLE_1) | instskip(SKIP_4) | instid1(SALU_CYCLE_1)
	s_add_u32 s4, s2, s4
	s_addc_u32 s5, s3, s5
	s_load_b64 s[4:5], s[4:5], 0x0
	s_waitcnt lgkmcnt(0)
	s_sub_i32 s4, s5, s4
	s_cmp_eq_u32 s4, 1
	s_cselect_b32 s4, -1, 0
	s_delay_alu instid0(SALU_CYCLE_1)
	s_and_not1_b32 vcc_lo, exec_lo, s4
	s_cbranch_vccz .LBB1178_4
.LBB1178_2:
	s_nop 0
	s_sendmsg sendmsg(MSG_DEALLOC_VGPRS)
	s_endpgm
.LBB1178_3:
.LBB1178_4:
	s_load_b64 s[8:9], s[0:1], 0x28
	s_lshl_b64 s[4:5], s[34:35], 2
	s_waitcnt lgkmcnt(0)
	s_add_u32 s8, s8, s4
	s_addc_u32 s9, s9, s5
	s_lshl_b32 s16, s14, 8
	s_load_b32 s18, s[8:9], 0x0
	s_waitcnt lgkmcnt(0)
	s_cmp_ge_i32 s16, s18
	s_cbranch_scc1 .LBB1178_2
; %bb.5:
	s_clause 0x1
	s_load_b128 s[8:11], s[0:1], 0x8
	s_load_b64 s[12:13], s[0:1], 0x20
	s_and_not1_b32 vcc_lo, exec_lo, s6
	s_cbranch_vccnz .LBB1178_7
; %bb.6:
	s_add_u32 s2, s2, s4
	s_addc_u32 s3, s3, s5
	s_load_b32 s3, s[2:3], 0x0
	s_branch .LBB1178_8
.LBB1178_7:
	s_mov_b32 s3, s34
.LBB1178_8:
	s_load_b128 s[4:7], s[0:1], 0x48
	v_lshrrev_b32_e32 v69, 5, v0
	v_bfe_u32 v66, v0, 4, 1
	v_and_b32_e32 v68, 15, v0
	v_and_b32_e32 v70, 31, v0
	;; [unrolled: 1-line block ×3, first 2 shown]
	s_mul_i32 s33, s15, 13
	v_lshl_or_b32 v1, v69, 1, v66
	v_lshlrev_b32_e32 v2, 3, v68
	v_cmp_gt_u32_e64 s2, 8, v68
	s_delay_alu instid0(VALU_DEP_3) | instskip(NEXT) | instid1(VALU_DEP_3)
	v_cmp_gt_u32_e32 vcc_lo, 13, v1
	v_lshlrev_b32_e32 v65, 1, v2
	s_delay_alu instid0(VALU_DEP_3)
	s_and_b32 s17, s2, vcc_lo
	s_waitcnt lgkmcnt(0)
	s_and_saveexec_b32 s7, s17
	s_cbranch_execz .LBB1178_10
; %bb.9:
	s_load_b64 s[20:21], s[0:1], 0x0
	v_add_lshl_u32 v2, v1, s33, 6
	s_mul_hi_i32 s23, s3, s4
	s_mul_i32 s22, s3, s4
	v_lshlrev_b32_e32 v6, 10, v68
	s_lshl_b64 s[22:23], s[22:23], 1
	v_ashrrev_i32_e32 v3, 31, v2
	v_lshlrev_b32_e32 v1, 6, v1
	v_lshlrev_b32_e32 v7, 10, v67
	v_and_b32_e32 v6, 0x3800, v6
	s_delay_alu instid0(VALU_DEP_4) | instskip(NEXT) | instid1(VALU_DEP_2)
	v_lshlrev_b64 v[2:3], 1, v[2:3]
	v_or3_b32 v1, v6, v7, v1
	s_waitcnt lgkmcnt(0)
	s_add_u32 s3, s20, s22
	s_addc_u32 s4, s21, s23
	s_delay_alu instid0(VALU_DEP_2) | instskip(SKIP_1) | instid1(VALU_DEP_2)
	v_add_co_u32 v2, vcc_lo, s3, v2
	v_add_co_ci_u32_e32 v3, vcc_lo, s4, v3, vcc_lo
	v_add_co_u32 v2, vcc_lo, v2, v65
	s_delay_alu instid0(VALU_DEP_2)
	v_add_co_ci_u32_e32 v3, vcc_lo, 0, v3, vcc_lo
	global_load_b128 v[2:5], v[2:3], off
	s_waitcnt vmcnt(0)
	ds_store_b128 v1, v[2:5]
.LBB1178_10:
	s_or_b32 exec_lo, exec_lo, s7
	v_and_b32_e32 v1, 0xef, v0
	s_add_i32 s3, s18, 31
	s_clause 0x1
	s_load_b32 s4, s[0:1], 0x38
	s_load_b32 s35, s[0:1], 0x98
	s_ashr_i32 s7, s3, 31
	v_add_nc_u32_e32 v1, s16, v1
	s_lshr_b32 s7, s7, 27
	s_load_b32 s19, s[0:1], 0x1c
	v_add_nc_u32_e32 v103, -13, v68
	s_add_i32 s3, s3, s7
	v_ashrrev_i32_e32 v2, 31, v1
	v_or_b32_e32 v3, 16, v1
	s_ashr_i32 s3, s3, 5
	v_cmp_gt_i32_e32 vcc_lo, s18, v1
	s_add_i32 s3, s3, -1
	v_lshrrev_b32_e32 v2, 27, v2
	s_waitcnt lgkmcnt(0)
	s_barrier
	buffer_gl0_inv
	s_mul_i32 s15, s15, s6
	v_add_nc_u32_e32 v4, v1, v2
	v_mbcnt_lo_u32_b32 v127, -1, 0
	s_mul_i32 s20, s34, s4
	s_delay_alu instid0(SALU_CYCLE_1) | instskip(NEXT) | instid1(VALU_DEP_2)
	s_ashr_i32 s21, s20, 31
	v_ashrrev_i32_e32 v4, 5, v4
	v_add_nc_u32_e32 v2, v3, v2
	s_lshl_b64 s[20:21], s[20:21], 2
	v_xor_b32_e32 v128, 16, v127
	s_add_u32 s17, s12, s20
	v_cndmask_b32_e32 v1, s3, v4, vcc_lo
	v_ashrrev_i32_e32 v2, 5, v2
	v_cmp_gt_i32_e32 vcc_lo, s18, v3
	s_addc_u32 s13, s13, s21
	s_ashr_i32 s20, s15, 31
	s_add_u32 s22, s8, s15
	s_addc_u32 s23, s9, s20
	v_cndmask_b32_e32 v3, s3, v2, vcc_lo
	v_ashrrev_i32_e32 v2, 31, v1
	s_lshl_b32 s6, s14, 3
	s_delay_alu instid0(SALU_CYCLE_1) | instskip(NEXT) | instid1(VALU_DEP_2)
	s_ashr_i32 s7, s6, 31
	v_ashrrev_i32_e32 v4, 31, v3
	s_delay_alu instid0(VALU_DEP_2) | instskip(SKIP_1) | instid1(SALU_CYCLE_1)
	v_lshlrev_b64 v[1:2], 2, v[1:2]
	s_lshl_b64 s[6:7], s[6:7], 2
	s_add_u32 s6, s17, s6
	s_delay_alu instid0(VALU_DEP_2) | instskip(SKIP_1) | instid1(VALU_DEP_2)
	v_lshlrev_b64 v[3:4], 2, v[3:4]
	s_addc_u32 s7, s13, s7
	v_add_co_u32 v1, vcc_lo, s17, v1
	v_add_co_ci_u32_e32 v2, vcc_lo, s13, v2, vcc_lo
	s_delay_alu instid0(VALU_DEP_3) | instskip(NEXT) | instid1(VALU_DEP_4)
	v_add_co_u32 v3, vcc_lo, s17, v3
	v_add_co_ci_u32_e32 v4, vcc_lo, s13, v4, vcc_lo
	s_clause 0x1
	global_load_b32 v5, v[1:2], off
	global_load_b32 v6, v[3:4], off
	s_or_b32 s4, s16, 32
	s_delay_alu instid0(SALU_CYCLE_1) | instskip(SKIP_2) | instid1(SALU_CYCLE_1)
	s_ashr_i32 s8, s4, 5
	s_cmp_lt_i32 s4, s18
	s_cselect_b32 s8, s8, s3
	s_ashr_i32 s9, s8, 31
	s_delay_alu instid0(SALU_CYCLE_1) | instskip(NEXT) | instid1(SALU_CYCLE_1)
	s_lshl_b64 s[8:9], s[8:9], 2
	s_add_u32 s8, s17, s8
	s_addc_u32 s9, s13, s9
	s_or_b32 s4, s16, 64
	s_delay_alu instid0(SALU_CYCLE_1) | instskip(SKIP_2) | instid1(SALU_CYCLE_1)
	s_ashr_i32 s12, s4, 5
	s_cmp_lt_i32 s4, s18
	s_cselect_b32 s24, s12, s3
	s_ashr_i32 s25, s24, 31
	s_delay_alu instid0(SALU_CYCLE_1) | instskip(NEXT) | instid1(SALU_CYCLE_1)
	s_lshl_b64 s[24:25], s[24:25], 2
	s_add_u32 s24, s17, s24
	s_addc_u32 s25, s13, s25
	;; [unrolled: 10-line block ×5, first 2 shown]
	s_clause 0x5
	s_load_b32 s12, s[6:7], 0x0
	s_load_b32 s4, s[8:9], 0x0
	;; [unrolled: 1-line block ×6, first 2 shown]
	s_or_b32 s21, s16, 0xc0
	s_waitcnt vmcnt(1)
	v_mad_i64_i32 v[1:2], null, v5, s5, s[22:23]
	v_lshlrev_b32_e32 v5, 4, v68
	s_waitcnt vmcnt(0)
	v_mad_i64_i32 v[3:4], null, v6, s5, s[22:23]
	s_ashr_i32 s22, s21, 5
	s_cmp_lt_i32 s21, s18
	s_delay_alu instid0(VALU_DEP_3) | instskip(NEXT) | instid1(VALU_DEP_4)
	v_add_co_u32 v1, vcc_lo, v1, v5
	v_add_co_ci_u32_e32 v2, vcc_lo, 0, v2, vcc_lo
	s_delay_alu instid0(VALU_DEP_3) | instskip(NEXT) | instid1(VALU_DEP_4)
	v_add_co_u32 v3, vcc_lo, v3, v5
	v_add_co_ci_u32_e32 v4, vcc_lo, 0, v4, vcc_lo
	s_clause 0x7
	global_load_b128 v[71:74], v[1:2], off
	global_load_b128 v[75:78], v[1:2], off offset:512
	global_load_b128 v[79:82], v[3:4], off offset:256
	;; [unrolled: 1-line block ×7, first 2 shown]
	s_cselect_b32 s22, s22, s3
	v_lshlrev_b32_e32 v1, 5, v68
	s_ashr_i32 s23, s22, 31
	v_cmp_gt_u32_e32 vcc_lo, 13, v68
	s_lshl_b64 s[22:23], s[22:23], 2
	s_delay_alu instid0(SALU_CYCLE_1)
	s_add_u32 s22, s17, s22
	s_addc_u32 s23, s13, s23
	s_or_b32 s21, s16, 0xe0
	v_lshl_or_b32 v1, v69, 9, v1
	s_ashr_i32 s24, s21, 5
	s_cmp_lt_i32 s21, s18
	v_cndmask_b32_e32 v103, v103, v68, vcc_lo
	s_cselect_b32 s24, s24, s3
	s_load_b32 s3, s[22:23], 0x0
	s_ashr_i32 s25, s24, 31
	v_cmp_gt_i32_e32 vcc_lo, 32, v128
	s_lshl_b64 s[24:25], s[24:25], 2
	v_lshlrev_b32_e32 v115, 6, v103
	s_add_u32 s22, s17, s24
	s_addc_u32 s23, s13, s25
	v_cndmask_b32_e32 v136, v127, v128, vcc_lo
	s_add_u32 s10, s10, s15
	s_addc_u32 s11, s11, s20
	v_add_co_u32 v1, s10, s10, v1
	s_delay_alu instid0(VALU_DEP_1) | instskip(SKIP_2) | instid1(VALU_DEP_1)
	v_add_co_ci_u32_e64 v2, null, s11, 0, s10
	s_load_b32 s10, s[22:23], 0x0
	s_waitcnt lgkmcnt(0)
	v_mad_i64_i32 v[3:4], null, s12, s5, v[1:2]
	v_mad_i64_i32 v[9:10], null, s7, s5, v[1:2]
	;; [unrolled: 1-line block ×7, first 2 shown]
	s_clause 0x5
	global_load_b128 v[49:52], v[3:4], off
	global_load_b128 v[53:56], v[3:4], off offset:16
	global_load_b128 v[41:44], v[5:6], off
	global_load_b128 v[45:48], v[5:6], off offset:16
	;; [unrolled: 2-line block ×3, first 2 shown]
	s_mov_b32 s4, 0
	v_mad_i64_i32 v[61:62], null, s10, s5, v[1:2]
	s_clause 0x9
	global_load_b128 v[1:4], v[9:10], off
	global_load_b128 v[5:8], v[9:10], off offset:16
	global_load_b128 v[9:12], v[13:14], off
	global_load_b128 v[13:16], v[13:14], off offset:16
	;; [unrolled: 2-line block ×5, first 2 shown]
	s_mov_b32 s5, s4
	s_mov_b32 s6, s4
	;; [unrolled: 1-line block ×7, first 2 shown]
	v_and_b32_e32 v104, 0xe0, v0
	v_dual_mov_b32 v126, s11 :: v_dual_mov_b32 v125, s10
	v_dual_mov_b32 v124, s9 :: v_dual_mov_b32 v123, s8
	s_delay_alu instid0(VALU_DEP_3)
	v_add_nc_u32_e32 v111, s16, v104
	ds_load_b128 v[103:106], v115
	ds_load_b128 v[107:110], v115 offset:1024
	v_dual_mov_b32 v122, s7 :: v_dual_mov_b32 v121, s6
	v_mov_b32_e32 v120, s5
	v_or_b32_e32 v135, v111, v66
	ds_load_b128 v[111:114], v115 offset:2048
	ds_load_b128 v[115:118], v115 offset:3072
	v_mov_b32_e32 v119, s4
	s_waitcnt vmcnt(0) lgkmcnt(0)
	s_barrier
	v_or_b32_e32 v137, 2, v135
	v_or_b32_e32 v138, 4, v135
	;; [unrolled: 1-line block ×3, first 2 shown]
	v_cmp_gt_i32_e32 vcc_lo, s18, v135
	v_or_b32_e32 v140, 8, v135
	v_cmp_gt_i32_e64 s3, s18, v137
	v_or_b32_e32 v141, 10, v135
	v_cmp_gt_i32_e64 s4, s18, v138
	v_cmp_gt_i32_e64 s5, s18, v139
	v_or_b32_e32 v142, 12, v135
	v_or_b32_e32 v143, 14, v135
	v_cmp_gt_i32_e64 s6, s18, v140
	v_cmp_gt_i32_e64 s7, s18, v141
	v_or_b32_e32 v144, 16, v135
	v_or_b32_e32 v145, 18, v135
	v_cmp_gt_i32_e64 s8, s18, v142
	v_cmp_gt_i32_e64 s9, s18, v143
	buffer_gl0_inv
	v_cmp_gt_i32_e64 s10, s18, v144
	v_cmp_gt_i32_e64 s11, s18, v145
	v_wmma_f32_16x16x16_f16 v[127:134], v[71:78], v[103:110], v[119:126]
	v_wmma_f32_16x16x16_f16 v[119:126], v[79:86], v[103:110], v[119:126]
	v_or_b32_e32 v71, 20, v135
	v_or_b32_e32 v72, 22, v135
	s_delay_alu instid0(VALU_DEP_4)
	v_wmma_f32_16x16x16_f16 v[127:134], v[87:94], v[111:118], v[127:134]
	v_or_b32_e32 v73, 24, v135
	v_wmma_f32_16x16x16_f16 v[119:126], v[95:102], v[111:118], v[119:126]
	v_or_b32_e32 v74, 26, v135
	v_cmp_gt_i32_e64 s12, s18, v71
	v_dual_mul_f32 v83, s19, v128 :: v_dual_mul_f32 v84, s19, v127
	s_delay_alu instid0(VALU_DEP_4) | instskip(SKIP_1) | instid1(VALU_DEP_3)
	v_dual_mul_f32 v81, s19, v130 :: v_dual_mul_f32 v92, s19, v119
	v_mul_f32_e32 v82, s19, v129
	v_cndmask_b32_e64 v83, 0xff7fffff, v83, s3
	s_delay_alu instid0(VALU_DEP_4)
	v_cndmask_b32_e32 v84, 0xff7fffff, v84, vcc_lo
	v_dual_mul_f32 v79, s19, v132 :: v_dual_mul_f32 v90, s19, v121
	v_mul_f32_e32 v80, s19, v131
	v_cndmask_b32_e64 v82, 0xff7fffff, v82, s4
	v_cndmask_b32_e64 v81, 0xff7fffff, v81, s5
	v_max3_f32 v83, v84, 0xff7fffff, v83
	v_dual_mul_f32 v77, s19, v134 :: v_dual_mul_f32 v88, s19, v123
	v_mul_f32_e32 v78, s19, v133
	v_cndmask_b32_e64 v80, 0xff7fffff, v80, s6
	v_cndmask_b32_e64 v79, 0xff7fffff, v79, s7
	v_max3_f32 v81, v83, v82, v81
	v_mul_f32_e32 v91, s19, v120
	v_cndmask_b32_e64 v78, 0xff7fffff, v78, s8
	v_cndmask_b32_e64 v77, 0xff7fffff, v77, s9
	v_mul_f32_e32 v89, s19, v122
	v_max3_f32 v79, v81, v80, v79
	v_cndmask_b32_e64 v80, 0xff7fffff, v92, s10
	v_cndmask_b32_e64 v81, 0xff7fffff, v91, s11
	v_cmp_gt_i32_e64 s13, s18, v72
	v_or_b32_e32 v75, 28, v135
	v_max3_f32 v77, v79, v78, v77
	v_or_b32_e32 v76, 30, v135
	v_mul_f32_e32 v87, s19, v124
	v_cndmask_b32_e64 v71, 0xff7fffff, v90, s12
	v_cndmask_b32_e64 v72, 0xff7fffff, v89, s13
	v_max3_f32 v77, v77, v80, v81
	v_cmp_gt_i32_e64 s15, s18, v73
	v_cmp_gt_i32_e64 s16, s18, v74
	v_dual_mul_f32 v85, s19, v126 :: v_dual_mul_f32 v86, s19, v125
	s_delay_alu instid0(VALU_DEP_4) | instskip(NEXT) | instid1(VALU_DEP_4)
	v_max3_f32 v71, v77, v71, v72
	v_cndmask_b32_e64 v73, 0xff7fffff, v88, s15
	s_delay_alu instid0(VALU_DEP_4) | instskip(SKIP_2) | instid1(VALU_DEP_3)
	v_cndmask_b32_e64 v74, 0xff7fffff, v87, s16
	v_cmp_gt_i32_e64 s17, s18, v75
	v_cmp_gt_i32_e64 s18, s18, v76
	v_max3_f32 v71, v71, v73, v74
	s_delay_alu instid0(VALU_DEP_3) | instskip(NEXT) | instid1(VALU_DEP_3)
	v_cndmask_b32_e64 v72, 0xff7fffff, v86, s17
	v_cndmask_b32_e64 v75, 0xff7fffff, v85, s18
	v_lshlrev_b32_e32 v73, 2, v136
	s_delay_alu instid0(VALU_DEP_2) | instskip(SKIP_3) | instid1(VALU_DEP_1)
	v_max3_f32 v71, v71, v72, v75
	ds_bpermute_b32 v72, v73, v71
	s_waitcnt lgkmcnt(0)
	v_max_f32_e32 v72, v72, v72
	v_max_f32_e32 v71, v71, v72
	s_delay_alu instid0(VALU_DEP_1)
	v_fma_f32 v72, s19, v127, -v71
	v_fma_f32 v74, s19, v128, -v71
	v_fma_f32 v75, s19, v129, -v71
	v_fma_f32 v76, s19, v130, -v71
	v_fma_f32 v77, s19, v131, -v71
	v_mul_f32_e32 v72, 0x3fb8aa3b, v72
	v_mul_f32_e32 v74, 0x3fb8aa3b, v74
	v_fma_f32 v80, s19, v133, -v71
	s_delay_alu instid0(VALU_DEP_4) | instskip(NEXT) | instid1(VALU_DEP_4)
	v_dual_mul_f32 v76, 0x3fb8aa3b, v76 :: v_dual_mul_f32 v77, 0x3fb8aa3b, v77
	v_exp_f32_e32 v72, v72
	s_delay_alu instid0(VALU_DEP_3) | instskip(NEXT) | instid1(VALU_DEP_2)
	v_exp_f32_e32 v74, v74
	v_mul_f32_e32 v82, 0x3fb8aa3b, v80
	s_delay_alu instid0(VALU_DEP_2) | instskip(SKIP_1) | instid1(VALU_DEP_1)
	v_exp_f32_e32 v76, v76
	v_exp_f32_e32 v77, v77
	;; [unrolled: 1-line block ×3, first 2 shown]
	v_cndmask_b32_e32 v79, 0, v72, vcc_lo
	v_fma_f32 v72, s19, v132, -v71
	v_mul_f32_e32 v75, 0x3fb8aa3b, v75
	v_cndmask_b32_e64 v78, 0, v74, s3
	s_delay_alu instid0(TRANS32_DEP_3)
	v_cndmask_b32_e64 v80, 0, v76, s5
	v_add_f32_e32 v74, 0, v79
	v_mul_f32_e32 v72, 0x3fb8aa3b, v72
	v_exp_f32_e32 v75, v75
	v_cndmask_b32_e64 v83, 0, v77, s6
	v_cndmask_b32_e64 v85, 0, v84, s8
	v_add_f32_e32 v74, v74, v78
	v_exp_f32_e32 v72, v72
	v_cmp_gt_u32_e64 s3, 16, v70
	s_waitcnt_depctr 0xfff
	v_cndmask_b32_e64 v81, 0, v75, s4
	v_cndmask_b32_e64 v82, 0, v72, s7
	s_delay_alu instid0(VALU_DEP_2) | instskip(NEXT) | instid1(VALU_DEP_1)
	v_add_f32_e32 v74, v74, v81
	v_add_f32_e32 v74, v74, v80
	s_delay_alu instid0(VALU_DEP_1) | instskip(SKIP_4) | instid1(VALU_DEP_4)
	v_add_f32_e32 v72, v74, v83
	v_fma_f32 v75, s19, v134, -v71
	v_fma_f32 v76, s19, v119, -v71
	;; [unrolled: 1-line block ×4, first 2 shown]
	v_dual_add_f32 v72, v72, v82 :: v_dual_mul_f32 v75, 0x3fb8aa3b, v75
	s_delay_alu instid0(VALU_DEP_3) | instskip(SKIP_1) | instid1(VALU_DEP_3)
	v_dual_mul_f32 v76, 0x3fb8aa3b, v76 :: v_dual_mul_f32 v77, 0x3fb8aa3b, v77
	v_fma_f32 v86, s19, v122, -v71
	v_add_f32_e32 v72, v72, v85
	s_delay_alu instid0(VALU_DEP_4) | instskip(NEXT) | instid1(VALU_DEP_3)
	v_exp_f32_e32 v75, v75
	v_exp_f32_e32 v76, v76
	;; [unrolled: 1-line block ×3, first 2 shown]
	v_mul_f32_e32 v86, 0x3fb8aa3b, v86
	s_delay_alu instid0(VALU_DEP_1) | instskip(SKIP_3) | instid1(TRANS32_DEP_3)
	v_exp_f32_e32 v88, v86
	v_cndmask_b32_e64 v84, 0, v75, s9
	v_fma_f32 v75, s19, v123, -v71
	v_mul_f32_e32 v74, 0x3fb8aa3b, v74
	v_cndmask_b32_e64 v87, 0, v76, s10
	v_fma_f32 v76, s19, v124, -v71
	s_delay_alu instid0(VALU_DEP_4) | instskip(NEXT) | instid1(VALU_DEP_4)
	v_dual_add_f32 v72, v72, v84 :: v_dual_mul_f32 v75, 0x3fb8aa3b, v75
	v_exp_f32_e32 v74, v74
	v_cndmask_b32_e64 v86, 0, v77, s11
	v_fma_f32 v77, s19, v125, -v71
	s_delay_alu instid0(VALU_DEP_3) | instskip(SKIP_3) | instid1(VALU_DEP_3)
	v_add_f32_e32 v72, v72, v87
	v_mul_f32_e32 v76, 0x3fb8aa3b, v76
	v_exp_f32_e32 v75, v75
	v_cndmask_b32_e64 v88, 0, v88, s13
	v_add_f32_e32 v72, v72, v86
	s_delay_alu instid0(VALU_DEP_3) | instskip(NEXT) | instid1(TRANS32_DEP_3)
	v_exp_f32_e32 v76, v76
	v_cndmask_b32_e64 v89, 0, v74, s12
	v_mul_f32_e32 v74, 0x3fb8aa3b, v77
	v_fma_f32 v77, s19, v126, -v71
	s_delay_alu instid0(VALU_DEP_3) | instskip(NEXT) | instid1(VALU_DEP_3)
	v_add_f32_e32 v72, v72, v89
	v_exp_f32_e32 v74, v74
	s_delay_alu instid0(TRANS32_DEP_3) | instskip(NEXT) | instid1(VALU_DEP_3)
	v_cndmask_b32_e64 v91, 0, v75, s15
	v_mul_f32_e32 v75, 0x3fb8aa3b, v77
	s_delay_alu instid0(TRANS32_DEP_2) | instskip(SKIP_1) | instid1(VALU_DEP_3)
	v_cndmask_b32_e64 v90, 0, v76, s16
	v_add_f32_e32 v72, v72, v88
	v_exp_f32_e32 v75, v75
	s_delay_alu instid0(VALU_DEP_1) | instskip(NEXT) | instid1(TRANS32_DEP_2)
	v_add_f32_e32 v72, v72, v91
	v_cndmask_b32_e64 v93, 0, v74, s17
	s_delay_alu instid0(VALU_DEP_2) | instskip(SKIP_3) | instid1(VALU_DEP_1)
	v_add_f32_e32 v72, v72, v90
	s_waitcnt_depctr 0xfff
	v_cndmask_b32_e64 v92, 0, v75, s18
	v_add_f32_e32 v72, v72, v93
	v_add_f32_e32 v72, v72, v92
	ds_bpermute_b32 v73, v73, v72
	s_and_saveexec_b32 s4, s3
	s_cbranch_execz .LBB1178_12
; %bb.11:
	v_mul_u32_u24_e32 v70, 0x44, v69
	s_waitcnt lgkmcnt(0)
	v_add_f32_e32 v72, v72, v73
	s_delay_alu instid0(VALU_DEP_2) | instskip(NEXT) | instid1(VALU_DEP_1)
	v_lshl_add_u32 v70, v68, 2, v70
	v_add_nc_u32_e32 v70, 0x4000, v70
	ds_store_2addr_b32 v70, v71, v72 offset1:136
.LBB1178_12:
	s_or_b32 exec_lo, exec_lo, s4
	v_lshlrev_b32_e32 v70, 2, v68
	s_load_b32 s36, s[0:1], 0x94
	s_waitcnt lgkmcnt(0)
	s_barrier
	buffer_gl0_inv
	v_add_nc_u32_e32 v98, 0x4000, v70
	v_cmp_eq_u32_e32 vcc_lo, 1, v69
	v_cmp_eq_u32_e64 s4, 2, v69
	v_cmp_eq_u32_e64 s5, 3, v69
	;; [unrolled: 1-line block ×3, first 2 shown]
	ds_load_2addr_b32 v[70:71], v98 offset1:17
	ds_load_2addr_b32 v[72:73], v98 offset0:34 offset1:51
	ds_load_2addr_b32 v[74:75], v98 offset0:68 offset1:85
	;; [unrolled: 1-line block ×3, first 2 shown]
	v_cmp_eq_u32_e64 s7, 5, v69
	v_cmp_eq_u32_e64 s8, 7, v69
	s_waitcnt lgkmcnt(3)
	v_max3_f32 v76, v70, 0xff7fffff, v71
	s_waitcnt lgkmcnt(2)
	s_delay_alu instid0(VALU_DEP_1) | instskip(SKIP_1) | instid1(VALU_DEP_1)
	v_max3_f32 v76, v76, v72, v73
	s_waitcnt lgkmcnt(1)
	v_max3_f32 v76, v76, v74, v75
	s_waitcnt lgkmcnt(0)
	s_delay_alu instid0(VALU_DEP_1) | instskip(NEXT) | instid1(VALU_DEP_1)
	v_max3_f32 v76, v76, v94, v95
	v_sub_f32_e32 v77, v71, v76
	ds_load_2addr_b32 v[96:97], v98 offset0:136 offset1:153
	v_sub_f32_e32 v74, v74, v76
	v_sub_f32_e32 v70, v70, v76
	;; [unrolled: 1-line block ×3, first 2 shown]
	v_dual_sub_f32 v72, v72, v76 :: v_dual_mul_f32 v77, 0x3fb8aa3b, v77
	s_delay_alu instid0(VALU_DEP_4) | instskip(NEXT) | instid1(VALU_DEP_4)
	v_mul_f32_e32 v103, 0x3fb8aa3b, v74
	v_mul_f32_e32 v99, 0x3fb8aa3b, v70
	ds_load_2addr_b32 v[70:71], v98 offset0:170 offset1:187
	v_dual_mul_f32 v101, 0x3fb8aa3b, v72 :: v_dual_mul_f32 v94, 0x3fb8aa3b, v94
	v_exp_f32_e32 v102, v77
	v_exp_f32_e32 v99, v99
	s_delay_alu instid0(VALU_DEP_1) | instskip(NEXT) | instid1(VALU_DEP_1)
	v_exp_f32_e32 v101, v101
	v_exp_f32_e32 v94, v94
	s_waitcnt lgkmcnt(1)
	s_delay_alu instid0(TRANS32_DEP_3)
	v_fma_f32 v77, v99, v96, 0
	v_sub_f32_e32 v100, v73, v76
	ds_load_2addr_b32 v[72:73], v98 offset0:204 offset1:221
	v_fmac_f32_e32 v77, v102, v97
	v_exp_f32_e32 v97, v103
	s_waitcnt lgkmcnt(1)
	s_delay_alu instid0(VALU_DEP_1)
	v_dual_fmac_f32 v77, v101, v70 :: v_dual_sub_f32 v96, v75, v76
	ds_load_2addr_b32 v[74:75], v98 offset0:238 offset1:255
	v_sub_f32_e32 v70, v95, v76
	s_waitcnt lgkmcnt(0)
	s_barrier
	v_mul_f32_e32 v96, 0x3fb8aa3b, v96
	buffer_gl0_inv
	v_exp_f32_e32 v95, v96
	v_mul_f32_e32 v100, 0x3fb8aa3b, v100
	s_delay_alu instid0(VALU_DEP_1) | instskip(SKIP_3) | instid1(VALU_DEP_2)
	v_exp_f32_e32 v100, v100
	s_waitcnt_depctr 0xfff
	v_dual_fmac_f32 v77, v100, v71 :: v_dual_mul_f32 v70, 0x3fb8aa3b, v70
	v_cndmask_b32_e32 v71, v99, v102, vcc_lo
	v_fmac_f32_e32 v77, v97, v72
	s_delay_alu instid0(VALU_DEP_3) | instskip(NEXT) | instid1(VALU_DEP_1)
	v_exp_f32_e32 v96, v70
	v_fmac_f32_e32 v77, v95, v73
	s_delay_alu instid0(VALU_DEP_1) | instskip(SKIP_2) | instid1(VALU_DEP_1)
	v_fmac_f32_e32 v77, v94, v74
	s_waitcnt_depctr 0xfff
	v_fmac_f32_e32 v77, v96, v75
	v_add_f32_e32 v74, 0x358637bd, v77
	s_delay_alu instid0(VALU_DEP_1) | instskip(SKIP_1) | instid1(VALU_DEP_2)
	v_div_scale_f32 v98, null, v74, v74, 1.0
	v_div_scale_f32 v99, vcc_lo, 1.0, v74, 1.0
	v_rcp_f32_e32 v103, v98
	s_waitcnt_depctr 0xfff
	v_fma_f32 v70, -v98, v103, 1.0
	s_delay_alu instid0(VALU_DEP_1) | instskip(SKIP_2) | instid1(VALU_DEP_2)
	v_fmac_f32_e32 v103, v70, v103
	v_cndmask_b32_e64 v70, v71, v101, s4
	v_cmp_eq_u32_e64 s4, 6, v69
	v_cndmask_b32_e64 v71, v70, v100, s5
	s_delay_alu instid0(VALU_DEP_4) | instskip(NEXT) | instid1(VALU_DEP_2)
	v_dual_mul_f32 v101, v99, v103 :: v_dual_lshlrev_b32 v70, 2, v66
	v_cndmask_b32_e64 v71, v71, v97, s6
	s_delay_alu instid0(VALU_DEP_2) | instskip(NEXT) | instid1(VALU_DEP_3)
	v_or_b32_e32 v72, 1, v70
	v_fma_f32 v100, -v98, v101, v99
	v_cmp_eq_u32_e64 s5, 1, v70
	v_cmp_eq_u32_e64 s6, 2, v70
	v_cndmask_b32_e64 v95, v71, v95, s7
	v_or_b32_e32 v71, 3, v70
	v_fmac_f32_e32 v101, v100, v103
	v_cmp_eq_u32_e64 s10, 1, v72
	v_cmp_eq_u32_e64 s13, 2, v72
	v_cndmask_b32_e64 v94, v95, v94, s4
	v_cmp_eq_u32_e64 s12, 1, v71
	v_fma_f32 v97, -v98, v101, v99
	v_cmp_eq_u32_e64 s17, 2, v71
	v_cmp_eq_u32_e64 s15, 3, v72
	v_cndmask_b32_e64 v94, v94, v96, s8
	v_cmp_eq_u32_e64 s19, 3, v71
	v_div_fmas_f32 v95, v97, v103, v101
	v_cmp_eq_u32_e32 vcc_lo, 3, v70
	v_cmp_eq_u32_e64 s4, 4, v70
	v_cmp_eq_u32_e64 s20, 4, v72
	;; [unrolled: 1-line block ×3, first 2 shown]
	v_div_fixup_f32 v95, v95, v74, 1.0
	v_lshlrev_b32_e32 v73, 6, v68
	v_cmp_eq_u32_e64 s7, 5, v70
	v_cmp_eq_u32_e64 s21, 5, v72
	;; [unrolled: 1-line block ×3, first 2 shown]
	v_mul_f32_e32 v102, v94, v95
	v_lshl_or_b32 v75, v69, 11, v73
	v_or_b32_e32 v69, 2, v70
	v_cmp_eq_u32_e64 s26, 6, v72
	v_cmp_eq_u32_e64 s28, 6, v71
	v_fma_mixlo_f16 v94, v102, v79, 0
	v_fma_mixlo_f16 v95, v102, v81, 0
	;; [unrolled: 1-line block ×8, first 2 shown]
	v_lshl_or_b32 v74, v66, 4, v75
	v_fma_mixhi_f16 v94, v102, v78, 0
	v_fma_mixhi_f16 v95, v102, v80, 0
	;; [unrolled: 1-line block ×8, first 2 shown]
	ds_store_b128 v74, v[94:97]
	ds_store_b128 v74, v[98:101] offset:1024
	s_waitcnt lgkmcnt(0)
	s_barrier
	buffer_gl0_inv
	ds_load_b128 v[78:81], v75
	ds_load_b128 v[82:85], v75 offset:16
	ds_load_b128 v[86:89], v75 offset:1024
	;; [unrolled: 1-line block ×3, first 2 shown]
	v_cmp_eq_u32_e64 s11, 1, v69
	v_cmp_eq_u32_e64 s16, 2, v69
	;; [unrolled: 1-line block ×11, first 2 shown]
	s_waitcnt lgkmcnt(3)
	v_lshrrev_b32_e32 v94, 16, v78
	s_waitcnt lgkmcnt(2)
	v_lshrrev_b32_e32 v98, 16, v82
	;; [unrolled: 2-line block ×4, first 2 shown]
	v_lshrrev_b32_e32 v95, 16, v79
	v_cndmask_b32_e64 v110, v78, v94, s5
	v_cndmask_b32_e64 v111, v82, v98, s5
	;; [unrolled: 1-line block ×8, first 2 shown]
	v_lshrrev_b32_e32 v99, 16, v83
	v_cndmask_b32_e64 v94, v86, v102, s5
	v_cndmask_b32_e64 v98, v90, v106, s5
	;; [unrolled: 1-line block ×15, first 2 shown]
	v_lshrrev_b32_e32 v103, 16, v87
	v_lshrrev_b32_e32 v107, 16, v91
	v_cndmask_b32_e64 v113, v115, v83, s16
	v_cndmask_b32_e64 v82, v94, v87, s6
	;; [unrolled: 1-line block ×7, first 2 shown]
	v_cndmask_b32_e32 v90, v102, v95, vcc_lo
	v_cndmask_b32_e32 v102, v106, v99, vcc_lo
	v_cndmask_b32_e64 v106, v110, v95, s15
	v_cndmask_b32_e64 v110, v111, v99, s15
	;; [unrolled: 1-line block ×4, first 2 shown]
	v_lshrrev_b32_e32 v96, 16, v80
	v_lshrrev_b32_e32 v100, 16, v84
	v_cndmask_b32_e64 v111, v112, v95, s18
	v_cndmask_b32_e64 v112, v113, v99, s18
	v_cndmask_b32_e32 v82, v82, v103, vcc_lo
	v_cndmask_b32_e32 v83, v83, v107, vcc_lo
	v_cndmask_b32_e64 v94, v94, v103, s15
	v_cndmask_b32_e64 v90, v90, v80, s4
	;; [unrolled: 1-line block ×7, first 2 shown]
	v_lshrrev_b32_e32 v104, 16, v88
	v_cndmask_b32_e64 v106, v111, v80, s22
	v_cndmask_b32_e64 v110, v112, v84, s22
	;; [unrolled: 1-line block ×11, first 2 shown]
	v_lshrrev_b32_e32 v97, 16, v81
	v_lshrrev_b32_e32 v101, 16, v85
	v_cndmask_b32_e64 v99, v106, v96, s24
	v_cndmask_b32_e64 v102, v110, v100, s24
	;; [unrolled: 1-line block ×7, first 2 shown]
	v_lshrrev_b32_e32 v105, 16, v89
	v_cndmask_b32_e64 v80, v80, v104, s7
	v_cndmask_b32_e64 v84, v84, v81, s8
	;; [unrolled: 1-line block ×16, first 2 shown]
	v_perm_b32 v81, v79, v78, 0x5040100
	v_perm_b32 v79, v95, v85, 0x5040100
	v_cndmask_b32_e64 v78, v119, v91, s16
	v_cndmask_b32_e64 v85, v117, v91, s13
	;; [unrolled: 1-line block ×3, first 2 shown]
	v_perm_b32 v80, v94, v90, 0x5040100
	v_cndmask_b32_e64 v90, v98, v103, s18
	v_cndmask_b32_e64 v86, v86, v103, s19
	;; [unrolled: 1-line block ×5, first 2 shown]
	v_lshrrev_b32_e32 v108, 16, v92
	v_cndmask_b32_e64 v90, v90, v88, s22
	v_cndmask_b32_e64 v86, v86, v88, s23
	;; [unrolled: 1-line block ×11, first 2 shown]
	v_lshrrev_b32_e32 v109, 16, v93
	v_cndmask_b32_e64 v82, v82, v93, s8
	v_cndmask_b32_e64 v88, v88, v89, s27
	;; [unrolled: 1-line block ×12, first 2 shown]
	v_perm_b32 v78, v84, v83, 0x5040100
	v_perm_b32 v85, v87, v86, 0x5040100
	;; [unrolled: 1-line block ×5, first 2 shown]
	s_mul_i32 s9, s35, 13
	s_mov_b32 s4, exec_lo
	ds_store_b128 v74, v[78:81]
	ds_store_b128 v74, v[82:85] offset:1024
	v_cmpx_gt_u32_e32 13, v0
	s_cbranch_execz .LBB1178_14
; %bb.13:
	s_mul_i32 s5, s9, s34
	s_load_b128 s[16:19], s[0:1], 0x58
	v_add3_u32 v68, s5, s33, v68
	s_delay_alu instid0(VALU_DEP_1) | instskip(NEXT) | instid1(VALU_DEP_1)
	v_mad_u64_u32 v[78:79], null, v68, s36, s[14:15]
	v_ashrrev_i32_e32 v79, 31, v78
	s_delay_alu instid0(VALU_DEP_1) | instskip(SKIP_1) | instid1(VALU_DEP_1)
	v_lshlrev_b64 v[78:79], 2, v[78:79]
	s_waitcnt lgkmcnt(0)
	v_add_co_u32 v80, vcc_lo, s18, v78
	s_delay_alu instid0(VALU_DEP_2)
	v_add_co_ci_u32_e32 v81, vcc_lo, s19, v79, vcc_lo
	v_add_co_u32 v78, vcc_lo, s16, v78
	v_add_co_ci_u32_e32 v79, vcc_lo, s17, v79, vcc_lo
	global_store_b32 v[80:81], v76, off
	global_store_b32 v[78:79], v77, off
.LBB1178_14:
	s_or_b32 exec_lo, exec_lo, s4
	s_waitcnt lgkmcnt(0)
	s_waitcnt_vscnt null, 0x0
	s_barrier
	buffer_gl0_inv
	ds_load_b128 v[84:87], v73
	ds_load_b128 v[88:91], v73 offset:16
	ds_load_b128 v[96:99], v73 offset:2064
	;; [unrolled: 1-line block ×5, first 2 shown]
	v_cmp_eq_u32_e32 vcc_lo, 1, v70
	v_mov_b32_e32 v76, 0
	ds_load_b128 v[112:115], v73 offset:6160
	ds_load_b128 v[108:111], v73 offset:6144
	;; [unrolled: 1-line block ×4, first 2 shown]
	v_cmp_eq_u32_e64 s5, 1, v69
	v_cmp_eq_u32_e64 s4, 1, v72
	;; [unrolled: 1-line block ×3, first 2 shown]
	v_mov_b32_e32 v77, v76
	v_mov_b32_e32 v78, v76
	;; [unrolled: 1-line block ×7, first 2 shown]
	v_cmp_eq_u32_e64 s7, 3, v72
	v_cmp_eq_u32_e64 s8, 7, v72
	s_waitcnt lgkmcnt(8)
	s_delay_alu instid0(VALU_DEP_3)
	v_wmma_f32_16x16x16_f16 v[76:83], v[49:56], v[84:91], v[76:83]
	ds_load_b128 v[53:56], v73 offset:10256
	ds_load_b128 v[49:52], v73 offset:10240
	s_waitcnt lgkmcnt(8)
	v_wmma_f32_16x16x16_f16 v[76:83], v[41:48], v[92:99], v[76:83]
	ds_load_b128 v[45:48], v73 offset:12304
	ds_load_b128 v[41:44], v73 offset:12288
	s_waitcnt lgkmcnt(8)
	;; [unrolled: 4-line block ×3, first 2 shown]
	s_barrier
	buffer_gl0_inv
	v_wmma_f32_16x16x16_f16 v[76:83], v[1:8], v[108:115], v[76:83]
	s_delay_alu instid0(VALU_DEP_1) | instskip(NEXT) | instid1(VALU_DEP_1)
	v_wmma_f32_16x16x16_f16 v[76:83], v[9:16], v[116:123], v[76:83]
	v_wmma_f32_16x16x16_f16 v[76:83], v[17:24], v[49:56], v[76:83]
	s_delay_alu instid0(VALU_DEP_1) | instskip(NEXT) | instid1(VALU_DEP_1)
	v_wmma_f32_16x16x16_f16 v[76:83], v[25:32], v[41:48], v[76:83]
	v_wmma_f32_16x16x16_f16 v[76:83], v[57:64], v[33:40], v[76:83]
	s_delay_alu instid0(VALU_DEP_1) | instskip(NEXT) | instid1(VALU_DEP_2)
	v_cvt_f16_f32_e32 v1, v76
	v_cvt_f16_f32_e32 v2, v77
	s_delay_alu instid0(VALU_DEP_3) | instskip(NEXT) | instid1(VALU_DEP_4)
	v_cvt_f16_f32_e32 v3, v78
	v_cvt_f16_f32_e32 v4, v79
	;; [unrolled: 1-line block ×6, first 2 shown]
	v_pack_b32_f16 v1, v1, v2
	v_pack_b32_f16 v2, v3, v4
	;; [unrolled: 1-line block ×3, first 2 shown]
	s_delay_alu instid0(VALU_DEP_4)
	v_pack_b32_f16 v4, v7, v8
	ds_store_b128 v74, v[1:4]
	s_waitcnt lgkmcnt(0)
	s_barrier
	buffer_gl0_inv
	ds_load_b128 v[1:4], v75
	ds_load_b128 v[5:8], v75 offset:16
	s_waitcnt lgkmcnt(1)
	v_lshrrev_b32_e32 v9, 16, v1
	s_waitcnt lgkmcnt(0)
	v_lshrrev_b32_e32 v13, 16, v5
	v_lshrrev_b32_e32 v10, 16, v2
	;; [unrolled: 1-line block ×4, first 2 shown]
	v_cndmask_b32_e32 v17, v1, v9, vcc_lo
	v_cndmask_b32_e32 v18, v5, v13, vcc_lo
	v_cndmask_b32_e64 v21, v1, v9, s5
	v_cmp_eq_u32_e32 vcc_lo, 1, v71
	v_cndmask_b32_e64 v22, v5, v13, s5
	v_cmp_eq_u32_e64 s5, 2, v70
	v_cndmask_b32_e64 v19, v1, v9, s4
	v_cndmask_b32_e64 v20, v5, v13, s4
	v_cndmask_b32_e32 v1, v1, v9, vcc_lo
	v_cmp_eq_u32_e64 s4, 2, v71
	v_cndmask_b32_e32 v5, v5, v13, vcc_lo
	v_cndmask_b32_e64 v9, v17, v2, s5
	v_cmp_eq_u32_e32 vcc_lo, 3, v70
	v_cndmask_b32_e64 v13, v18, v6, s5
	v_cmp_eq_u32_e64 s5, 2, v69
	v_cndmask_b32_e64 v17, v19, v2, s6
	v_cndmask_b32_e64 v18, v20, v6, s6
	v_cmp_eq_u32_e64 s6, 3, v69
	v_cndmask_b32_e64 v1, v1, v2, s4
	v_cndmask_b32_e64 v19, v21, v2, s5
	;; [unrolled: 1-line block ×4, first 2 shown]
	v_cndmask_b32_e32 v5, v9, v10, vcc_lo
	v_cndmask_b32_e32 v6, v13, v14, vcc_lo
	v_cmp_eq_u32_e32 vcc_lo, 3, v71
	v_cndmask_b32_e64 v9, v17, v10, s7
	v_cndmask_b32_e64 v13, v18, v14, s7
	v_cndmask_b32_e64 v18, v20, v14, s6
	v_cmp_eq_u32_e64 s5, 4, v70
	v_cndmask_b32_e32 v1, v1, v10, vcc_lo
	v_cndmask_b32_e32 v2, v2, v14, vcc_lo
	v_cmp_eq_u32_e32 vcc_lo, 4, v72
	v_lshrrev_b32_e32 v15, 16, v7
	v_lshrrev_b32_e32 v16, 16, v8
	v_cndmask_b32_e64 v17, v19, v10, s6
	v_cmp_eq_u32_e64 s4, 4, v71
	v_cndmask_b32_e64 v5, v5, v3, s5
	v_cndmask_b32_e64 v6, v6, v7, s5
	v_cndmask_b32_e32 v9, v9, v3, vcc_lo
	v_cmp_eq_u32_e64 s5, 5, v72
	v_cndmask_b32_e32 v10, v13, v7, vcc_lo
	v_cmp_eq_u32_e32 vcc_lo, 4, v69
	v_cmp_eq_u32_e64 s6, 5, v70
	v_cndmask_b32_e64 v2, v2, v7, s4
	v_cndmask_b32_e64 v9, v9, v11, s5
	;; [unrolled: 1-line block ×3, first 2 shown]
	v_cndmask_b32_e32 v13, v17, v3, vcc_lo
	v_cmp_eq_u32_e64 s5, 5, v69
	v_cndmask_b32_e32 v14, v18, v7, vcc_lo
	v_cndmask_b32_e64 v1, v1, v3, s4
	v_cmp_eq_u32_e32 vcc_lo, 5, v71
	v_lshrrev_b32_e32 v12, 16, v4
	v_cndmask_b32_e64 v13, v13, v11, s5
	v_cndmask_b32_e64 v3, v14, v15, s5
	v_cmp_eq_u32_e64 s5, 6, v71
	v_cndmask_b32_e32 v1, v1, v11, vcc_lo
	v_cndmask_b32_e64 v5, v5, v11, s6
	v_cmp_eq_u32_e64 s7, 6, v70
	v_cndmask_b32_e64 v6, v6, v15, s6
	v_cmp_eq_u32_e64 s6, 6, v72
	v_cmp_eq_u32_e64 s4, 6, v69
	v_cndmask_b32_e64 v1, v1, v4, s5
	v_cndmask_b32_e32 v2, v2, v15, vcc_lo
	v_cmp_eq_u32_e32 vcc_lo, 7, v71
	v_cndmask_b32_e64 v5, v5, v4, s7
	v_cndmask_b32_e64 v9, v9, v4, s6
	;; [unrolled: 1-line block ×3, first 2 shown]
	v_cmp_eq_u32_e64 s7, 7, v70
	v_cndmask_b32_e32 v1, v1, v12, vcc_lo
	v_cndmask_b32_e64 v7, v13, v4, s4
	v_cndmask_b32_e64 v3, v3, v8, s4
	;; [unrolled: 1-line block ×3, first 2 shown]
	v_cmp_eq_u32_e64 s4, 7, v69
	v_cndmask_b32_e64 v4, v10, v8, s6
	v_cndmask_b32_e64 v5, v5, v12, s7
	;; [unrolled: 1-line block ×3, first 2 shown]
	v_cndmask_b32_e32 v2, v2, v16, vcc_lo
	v_cndmask_b32_e64 v7, v7, v12, s4
	v_cndmask_b32_e64 v3, v3, v16, s4
	;; [unrolled: 1-line block ×4, first 2 shown]
	v_cmp_gt_u32_e32 vcc_lo, 32, v0
	v_perm_b32 v4, v2, v1, 0x5040100
	v_perm_b32 v3, v3, v7, 0x5040100
	;; [unrolled: 1-line block ×4, first 2 shown]
	s_and_b32 s2, vcc_lo, s2
	ds_store_b128 v74, v[1:4]
	s_waitcnt lgkmcnt(0)
	s_barrier
	buffer_gl0_inv
	s_and_saveexec_b32 s4, s2
	s_cbranch_execz .LBB1178_2
; %bb.15:
	s_load_b64 s[4:5], s[0:1], 0x68
	v_lshlrev_b32_e32 v0, 10, v0
	v_lshlrev_b32_e32 v1, 4, v67
	s_lshl_b32 s0, s36, 6
	v_add_nc_u32_e32 v18, s33, v66
	s_mul_i32 s1, s0, s34
	s_delay_alu instid0(VALU_DEP_2) | instskip(SKIP_1) | instid1(VALU_DEP_2)
	v_and_or_b32 v0, 0x3800, v0, v1
	s_mul_i32 s6, s1, s9
	v_mul_lo_u32 v1, v18, s0
	s_ashr_i32 s7, s6, 31
	v_add_nc_u32_e32 v2, 2, v18
	v_lshl_or_b32 v19, v66, 6, v0
	s_lshl_b64 s[6:7], s[6:7], 1
	v_add_nc_u32_e32 v8, 4, v18
	v_add_nc_u32_e32 v15, 6, v18
	v_mul_lo_u32 v7, v2, s0
	ds_load_b128 v[3:6], v19
	v_ashrrev_i32_e32 v2, 31, v1
	v_mul_lo_u32 v11, v8, s0
	s_waitcnt lgkmcnt(0)
	s_add_u32 s1, s4, s6
	s_addc_u32 s2, s5, s7
	s_lshl_b32 s4, s14, 6
	v_lshlrev_b64 v[9:10], 1, v[1:2]
	s_ashr_i32 s5, s4, 31
	v_ashrrev_i32_e32 v8, 31, v7
	s_lshl_b64 s[4:5], s[4:5], 1
	v_ashrrev_i32_e32 v12, 31, v11
	s_add_u32 s1, s1, s4
	s_addc_u32 s2, s2, s5
	v_add_co_u32 v1, s1, s1, v65
	s_delay_alu instid0(VALU_DEP_1) | instskip(SKIP_1) | instid1(VALU_DEP_3)
	v_add_co_ci_u32_e64 v2, null, s2, 0, s1
	v_mul_lo_u32 v15, v15, s0
	v_add_co_u32 v13, vcc_lo, v1, v9
	s_delay_alu instid0(VALU_DEP_3)
	v_add_co_ci_u32_e32 v14, vcc_lo, v2, v10, vcc_lo
	v_lshlrev_b64 v[16:17], 1, v[7:8]
	ds_load_b128 v[7:10], v19 offset:128
	global_store_b128 v[13:14], v[3:6], off
	v_add_nc_u32_e32 v5, 8, v18
	v_lshlrev_b64 v[3:4], 1, v[11:12]
	v_add_co_u32 v23, vcc_lo, v1, v16
	v_ashrrev_i32_e32 v16, 31, v15
	s_delay_alu instid0(VALU_DEP_4) | instskip(SKIP_3) | instid1(VALU_DEP_3)
	v_mul_lo_u32 v25, v5, s0
	v_add_nc_u32_e32 v5, 10, v18
	v_add_co_ci_u32_e32 v24, vcc_lo, v2, v17, vcc_lo
	v_add_co_u32 v27, vcc_lo, v1, v3
	v_mul_lo_u32 v29, v5, s0
	v_add_co_ci_u32_e32 v28, vcc_lo, v2, v4, vcc_lo
	v_lshlrev_b64 v[31:32], 1, v[15:16]
	ds_load_b128 v[3:6], v19 offset:256
	ds_load_b128 v[11:14], v19 offset:384
	;; [unrolled: 1-line block ×4, first 2 shown]
	v_ashrrev_i32_e32 v26, 31, v25
	v_ashrrev_i32_e32 v30, 31, v29
	v_add_co_u32 v31, vcc_lo, v1, v31
	s_delay_alu instid0(VALU_DEP_3) | instskip(SKIP_1) | instid1(VALU_DEP_4)
	v_lshlrev_b64 v[25:26], 1, v[25:26]
	v_add_co_ci_u32_e32 v32, vcc_lo, v2, v32, vcc_lo
	v_lshlrev_b64 v[29:30], 1, v[29:30]
	s_delay_alu instid0(VALU_DEP_3) | instskip(NEXT) | instid1(VALU_DEP_4)
	v_add_co_u32 v25, vcc_lo, v1, v25
	v_add_co_ci_u32_e32 v26, vcc_lo, v2, v26, vcc_lo
	s_delay_alu instid0(VALU_DEP_3) | instskip(NEXT) | instid1(VALU_DEP_4)
	v_add_co_u32 v29, vcc_lo, v1, v29
	v_add_co_ci_u32_e32 v30, vcc_lo, v2, v30, vcc_lo
	s_waitcnt lgkmcnt(4)
	global_store_b128 v[23:24], v[7:10], off
	s_waitcnt lgkmcnt(3)
	global_store_b128 v[27:28], v[3:6], off
	;; [unrolled: 2-line block ×5, first 2 shown]
	s_and_b32 exec_lo, exec_lo, s3
	s_cbranch_execz .LBB1178_2
; %bb.16:
	ds_load_b128 v[3:6], v0 offset:768
	s_add_i32 s1, s33, 12
	s_delay_alu instid0(SALU_CYCLE_1) | instskip(NEXT) | instid1(SALU_CYCLE_1)
	s_mul_i32 s0, s1, s0
	s_ashr_i32 s1, s0, 31
	s_delay_alu instid0(SALU_CYCLE_1) | instskip(NEXT) | instid1(SALU_CYCLE_1)
	s_lshl_b64 s[0:1], s[0:1], 1
	v_add_co_u32 v0, vcc_lo, v1, s0
	v_add_co_ci_u32_e32 v1, vcc_lo, s1, v2, vcc_lo
	s_waitcnt lgkmcnt(0)
	global_store_b128 v[0:1], v[3:6], off
	s_nop 0
	s_sendmsg sendmsg(MSG_DEALLOC_VGPRS)
	s_endpgm
	.section	.rodata,"a",@progbits
	.p2align	6, 0x0
	.amdhsa_kernel _Z39paged_attention_ll4mi_QKV_mfma16_kernelIDF16_hLN4vllm18Fp8KVCacheDataTypeE1EhLi32ELi64ELi256ELb0ELi13EL8MFMAType0EEvPKT_PKT0_S8_ifPKiSA_SA_iPKfiiiPfSD_PS3_PT2_iSC_SC_
		.amdhsa_group_segment_fixed_size 17472
		.amdhsa_private_segment_fixed_size 0
		.amdhsa_kernarg_size 400
		.amdhsa_user_sgpr_count 13
		.amdhsa_user_sgpr_dispatch_ptr 0
		.amdhsa_user_sgpr_queue_ptr 0
		.amdhsa_user_sgpr_kernarg_segment_ptr 1
		.amdhsa_user_sgpr_dispatch_id 0
		.amdhsa_user_sgpr_private_segment_size 0
		.amdhsa_wavefront_size32 1
		.amdhsa_uses_dynamic_stack 0
		.amdhsa_enable_private_segment 0
		.amdhsa_system_sgpr_workgroup_id_x 1
		.amdhsa_system_sgpr_workgroup_id_y 1
		.amdhsa_system_sgpr_workgroup_id_z 1
		.amdhsa_system_sgpr_workgroup_info 0
		.amdhsa_system_vgpr_workitem_id 0
		.amdhsa_next_free_vgpr 146
		.amdhsa_next_free_sgpr 37
		.amdhsa_reserve_vcc 1
		.amdhsa_float_round_mode_32 0
		.amdhsa_float_round_mode_16_64 0
		.amdhsa_float_denorm_mode_32 3
		.amdhsa_float_denorm_mode_16_64 3
		.amdhsa_dx10_clamp 1
		.amdhsa_ieee_mode 1
		.amdhsa_fp16_overflow 0
		.amdhsa_workgroup_processor_mode 1
		.amdhsa_memory_ordered 1
		.amdhsa_forward_progress 0
		.amdhsa_shared_vgpr_count 0
		.amdhsa_exception_fp_ieee_invalid_op 0
		.amdhsa_exception_fp_denorm_src 0
		.amdhsa_exception_fp_ieee_div_zero 0
		.amdhsa_exception_fp_ieee_overflow 0
		.amdhsa_exception_fp_ieee_underflow 0
		.amdhsa_exception_fp_ieee_inexact 0
		.amdhsa_exception_int_div_zero 0
	.end_amdhsa_kernel
	.section	.text._Z39paged_attention_ll4mi_QKV_mfma16_kernelIDF16_hLN4vllm18Fp8KVCacheDataTypeE1EhLi32ELi64ELi256ELb0ELi13EL8MFMAType0EEvPKT_PKT0_S8_ifPKiSA_SA_iPKfiiiPfSD_PS3_PT2_iSC_SC_,"axG",@progbits,_Z39paged_attention_ll4mi_QKV_mfma16_kernelIDF16_hLN4vllm18Fp8KVCacheDataTypeE1EhLi32ELi64ELi256ELb0ELi13EL8MFMAType0EEvPKT_PKT0_S8_ifPKiSA_SA_iPKfiiiPfSD_PS3_PT2_iSC_SC_,comdat
.Lfunc_end1178:
	.size	_Z39paged_attention_ll4mi_QKV_mfma16_kernelIDF16_hLN4vllm18Fp8KVCacheDataTypeE1EhLi32ELi64ELi256ELb0ELi13EL8MFMAType0EEvPKT_PKT0_S8_ifPKiSA_SA_iPKfiiiPfSD_PS3_PT2_iSC_SC_, .Lfunc_end1178-_Z39paged_attention_ll4mi_QKV_mfma16_kernelIDF16_hLN4vllm18Fp8KVCacheDataTypeE1EhLi32ELi64ELi256ELb0ELi13EL8MFMAType0EEvPKT_PKT0_S8_ifPKiSA_SA_iPKfiiiPfSD_PS3_PT2_iSC_SC_
                                        ; -- End function
	.section	.AMDGPU.csdata,"",@progbits
; Kernel info:
; codeLenInByte = 6700
; NumSgprs: 39
; NumVgprs: 146
; ScratchSize: 0
; MemoryBound: 0
; FloatMode: 240
; IeeeMode: 1
; LDSByteSize: 17472 bytes/workgroup (compile time only)
; SGPRBlocks: 4
; VGPRBlocks: 18
; NumSGPRsForWavesPerEU: 39
; NumVGPRsForWavesPerEU: 146
; Occupancy: 9
; WaveLimiterHint : 1
; COMPUTE_PGM_RSRC2:SCRATCH_EN: 0
; COMPUTE_PGM_RSRC2:USER_SGPR: 13
; COMPUTE_PGM_RSRC2:TRAP_HANDLER: 0
; COMPUTE_PGM_RSRC2:TGID_X_EN: 1
; COMPUTE_PGM_RSRC2:TGID_Y_EN: 1
; COMPUTE_PGM_RSRC2:TGID_Z_EN: 1
; COMPUTE_PGM_RSRC2:TIDIG_COMP_CNT: 0
	.section	.text._Z39paged_attention_ll4mi_QKV_mfma16_kernelIDF16_hLN4vllm18Fp8KVCacheDataTypeE1EhLi32ELi64ELi256ELb0ELi14EL8MFMAType0EEvPKT_PKT0_S8_ifPKiSA_SA_iPKfiiiPfSD_PS3_PT2_iSC_SC_,"axG",@progbits,_Z39paged_attention_ll4mi_QKV_mfma16_kernelIDF16_hLN4vllm18Fp8KVCacheDataTypeE1EhLi32ELi64ELi256ELb0ELi14EL8MFMAType0EEvPKT_PKT0_S8_ifPKiSA_SA_iPKfiiiPfSD_PS3_PT2_iSC_SC_,comdat
	.protected	_Z39paged_attention_ll4mi_QKV_mfma16_kernelIDF16_hLN4vllm18Fp8KVCacheDataTypeE1EhLi32ELi64ELi256ELb0ELi14EL8MFMAType0EEvPKT_PKT0_S8_ifPKiSA_SA_iPKfiiiPfSD_PS3_PT2_iSC_SC_ ; -- Begin function _Z39paged_attention_ll4mi_QKV_mfma16_kernelIDF16_hLN4vllm18Fp8KVCacheDataTypeE1EhLi32ELi64ELi256ELb0ELi14EL8MFMAType0EEvPKT_PKT0_S8_ifPKiSA_SA_iPKfiiiPfSD_PS3_PT2_iSC_SC_
	.globl	_Z39paged_attention_ll4mi_QKV_mfma16_kernelIDF16_hLN4vllm18Fp8KVCacheDataTypeE1EhLi32ELi64ELi256ELb0ELi14EL8MFMAType0EEvPKT_PKT0_S8_ifPKiSA_SA_iPKfiiiPfSD_PS3_PT2_iSC_SC_
	.p2align	8
	.type	_Z39paged_attention_ll4mi_QKV_mfma16_kernelIDF16_hLN4vllm18Fp8KVCacheDataTypeE1EhLi32ELi64ELi256ELb0ELi14EL8MFMAType0EEvPKT_PKT0_S8_ifPKiSA_SA_iPKfiiiPfSD_PS3_PT2_iSC_SC_,@function
_Z39paged_attention_ll4mi_QKV_mfma16_kernelIDF16_hLN4vllm18Fp8KVCacheDataTypeE1EhLi32ELi64ELi256ELb0ELi14EL8MFMAType0EEvPKT_PKT0_S8_ifPKiSA_SA_iPKfiiiPfSD_PS3_PT2_iSC_SC_: ; @_Z39paged_attention_ll4mi_QKV_mfma16_kernelIDF16_hLN4vllm18Fp8KVCacheDataTypeE1EhLi32ELi64ELi256ELb0ELi14EL8MFMAType0EEvPKT_PKT0_S8_ifPKiSA_SA_iPKfiiiPfSD_PS3_PT2_iSC_SC_
; %bb.0:
	s_load_b64 s[2:3], s[0:1], 0x30
	s_mov_b32 s34, s13
	s_waitcnt lgkmcnt(0)
	s_cmp_lg_u64 s[2:3], 0
	s_cselect_b32 s6, -1, 0
	s_ashr_i32 s35, s13, 31
	s_cmp_eq_u64 s[2:3], 0
	s_cbranch_scc1 .LBB1179_3
; %bb.1:
	s_lshl_b64 s[4:5], s[34:35], 2
	s_delay_alu instid0(SALU_CYCLE_1) | instskip(SKIP_4) | instid1(SALU_CYCLE_1)
	s_add_u32 s4, s2, s4
	s_addc_u32 s5, s3, s5
	s_load_b64 s[4:5], s[4:5], 0x0
	s_waitcnt lgkmcnt(0)
	s_sub_i32 s4, s5, s4
	s_cmp_eq_u32 s4, 1
	s_cselect_b32 s4, -1, 0
	s_delay_alu instid0(SALU_CYCLE_1)
	s_and_not1_b32 vcc_lo, exec_lo, s4
	s_cbranch_vccz .LBB1179_4
.LBB1179_2:
	s_endpgm
.LBB1179_3:
.LBB1179_4:
	s_load_b64 s[8:9], s[0:1], 0x28
	s_lshl_b64 s[4:5], s[34:35], 2
	s_waitcnt lgkmcnt(0)
	s_add_u32 s8, s8, s4
	s_addc_u32 s9, s9, s5
	s_lshl_b32 s16, s14, 8
	s_load_b32 s18, s[8:9], 0x0
	s_waitcnt lgkmcnt(0)
	s_cmp_ge_i32 s16, s18
	s_cbranch_scc1 .LBB1179_2
; %bb.5:
	s_clause 0x1
	s_load_b128 s[8:11], s[0:1], 0x8
	s_load_b64 s[12:13], s[0:1], 0x20
	s_and_not1_b32 vcc_lo, exec_lo, s6
	s_cbranch_vccnz .LBB1179_7
; %bb.6:
	s_add_u32 s2, s2, s4
	s_addc_u32 s3, s3, s5
	s_load_b32 s3, s[2:3], 0x0
	s_branch .LBB1179_8
.LBB1179_7:
	s_mov_b32 s3, s34
.LBB1179_8:
	s_load_b128 s[4:7], s[0:1], 0x48
	v_and_b32_e32 v68, 15, v0
	v_cmp_gt_u32_e32 vcc_lo, 0xe0, v0
	v_lshrrev_b32_e32 v69, 5, v0
	v_and_b32_e32 v70, 31, v0
	v_and_b32_e32 v67, 1, v0
	v_lshlrev_b32_e32 v1, 3, v68
	v_cmp_gt_u32_e64 s2, 8, v68
	v_bfe_u32 v66, v0, 4, 1
	s_mul_i32 s31, s15, 14
	s_delay_alu instid0(VALU_DEP_3) | instskip(NEXT) | instid1(VALU_DEP_3)
	v_lshlrev_b32_e32 v65, 1, v1
	s_and_b32 s17, vcc_lo, s2
	s_waitcnt lgkmcnt(0)
	s_and_saveexec_b32 s7, s17
	s_cbranch_execz .LBB1179_10
; %bb.9:
	s_load_b64 s[20:21], s[0:1], 0x0
	v_lshl_or_b32 v5, v69, 1, v66
	s_mul_hi_i32 s23, s3, s4
	s_mul_i32 s22, s3, s4
	v_lshlrev_b32_e32 v6, 10, v68
	s_lshl_b64 s[22:23], s[22:23], 1
	v_add_lshl_u32 v1, v5, s31, 6
	v_lshlrev_b32_e32 v5, 6, v5
	v_lshlrev_b32_e32 v7, 10, v67
	v_and_b32_e32 v6, 0x3800, v6
	s_delay_alu instid0(VALU_DEP_4) | instskip(NEXT) | instid1(VALU_DEP_2)
	v_ashrrev_i32_e32 v2, 31, v1
	v_or3_b32 v5, v6, v7, v5
	s_delay_alu instid0(VALU_DEP_2) | instskip(SKIP_3) | instid1(VALU_DEP_1)
	v_lshlrev_b64 v[1:2], 1, v[1:2]
	s_waitcnt lgkmcnt(0)
	s_add_u32 s3, s20, s22
	s_addc_u32 s4, s21, s23
	v_add_co_u32 v1, vcc_lo, s3, v1
	s_delay_alu instid0(VALU_DEP_2) | instskip(NEXT) | instid1(VALU_DEP_2)
	v_add_co_ci_u32_e32 v2, vcc_lo, s4, v2, vcc_lo
	v_add_co_u32 v1, vcc_lo, v1, v65
	s_delay_alu instid0(VALU_DEP_2)
	v_add_co_ci_u32_e32 v2, vcc_lo, 0, v2, vcc_lo
	global_load_b128 v[1:4], v[1:2], off
	s_waitcnt vmcnt(0)
	ds_store_b128 v5, v[1:4]
.LBB1179_10:
	s_or_b32 exec_lo, exec_lo, s7
	v_and_b32_e32 v1, 0xef, v0
	s_add_i32 s3, s18, 31
	s_clause 0x1
	s_load_b32 s4, s[0:1], 0x38
	s_load_b32 s33, s[0:1], 0x98
	s_ashr_i32 s7, s3, 31
	v_add_nc_u32_e32 v1, s16, v1
	s_lshr_b32 s7, s7, 27
	s_load_b32 s19, s[0:1], 0x1c
	v_add_nc_u32_e32 v103, -14, v68
	s_add_i32 s3, s3, s7
	v_ashrrev_i32_e32 v2, 31, v1
	v_or_b32_e32 v3, 16, v1
	s_ashr_i32 s3, s3, 5
	v_cmp_gt_i32_e32 vcc_lo, s18, v1
	s_add_i32 s3, s3, -1
	v_lshrrev_b32_e32 v2, 27, v2
	s_waitcnt lgkmcnt(0)
	s_barrier
	buffer_gl0_inv
	s_mul_i32 s15, s15, s6
	v_add_nc_u32_e32 v4, v1, v2
	v_mbcnt_lo_u32_b32 v127, -1, 0
	s_mul_i32 s20, s34, s4
	s_delay_alu instid0(SALU_CYCLE_1) | instskip(NEXT) | instid1(VALU_DEP_2)
	s_ashr_i32 s21, s20, 31
	v_ashrrev_i32_e32 v4, 5, v4
	v_add_nc_u32_e32 v2, v3, v2
	s_lshl_b64 s[20:21], s[20:21], 2
	v_xor_b32_e32 v128, 16, v127
	s_add_u32 s17, s12, s20
	v_cndmask_b32_e32 v1, s3, v4, vcc_lo
	v_ashrrev_i32_e32 v2, 5, v2
	v_cmp_gt_i32_e32 vcc_lo, s18, v3
	s_addc_u32 s13, s13, s21
	s_ashr_i32 s20, s15, 31
	s_add_u32 s22, s8, s15
	s_addc_u32 s23, s9, s20
	v_cndmask_b32_e32 v3, s3, v2, vcc_lo
	v_ashrrev_i32_e32 v2, 31, v1
	s_lshl_b32 s6, s14, 3
	s_delay_alu instid0(SALU_CYCLE_1) | instskip(NEXT) | instid1(VALU_DEP_2)
	s_ashr_i32 s7, s6, 31
	v_ashrrev_i32_e32 v4, 31, v3
	s_delay_alu instid0(VALU_DEP_2) | instskip(SKIP_1) | instid1(SALU_CYCLE_1)
	v_lshlrev_b64 v[1:2], 2, v[1:2]
	s_lshl_b64 s[6:7], s[6:7], 2
	s_add_u32 s6, s17, s6
	s_delay_alu instid0(VALU_DEP_2) | instskip(SKIP_1) | instid1(VALU_DEP_2)
	v_lshlrev_b64 v[3:4], 2, v[3:4]
	s_addc_u32 s7, s13, s7
	v_add_co_u32 v1, vcc_lo, s17, v1
	v_add_co_ci_u32_e32 v2, vcc_lo, s13, v2, vcc_lo
	s_delay_alu instid0(VALU_DEP_3) | instskip(NEXT) | instid1(VALU_DEP_4)
	v_add_co_u32 v3, vcc_lo, s17, v3
	v_add_co_ci_u32_e32 v4, vcc_lo, s13, v4, vcc_lo
	s_clause 0x1
	global_load_b32 v5, v[1:2], off
	global_load_b32 v6, v[3:4], off
	s_or_b32 s4, s16, 32
	s_delay_alu instid0(SALU_CYCLE_1) | instskip(SKIP_2) | instid1(SALU_CYCLE_1)
	s_ashr_i32 s8, s4, 5
	s_cmp_lt_i32 s4, s18
	s_cselect_b32 s8, s8, s3
	s_ashr_i32 s9, s8, 31
	s_delay_alu instid0(SALU_CYCLE_1) | instskip(NEXT) | instid1(SALU_CYCLE_1)
	s_lshl_b64 s[8:9], s[8:9], 2
	s_add_u32 s8, s17, s8
	s_addc_u32 s9, s13, s9
	s_or_b32 s4, s16, 64
	s_delay_alu instid0(SALU_CYCLE_1) | instskip(SKIP_2) | instid1(SALU_CYCLE_1)
	s_ashr_i32 s12, s4, 5
	s_cmp_lt_i32 s4, s18
	s_cselect_b32 s24, s12, s3
	s_ashr_i32 s25, s24, 31
	s_delay_alu instid0(SALU_CYCLE_1) | instskip(NEXT) | instid1(SALU_CYCLE_1)
	s_lshl_b64 s[24:25], s[24:25], 2
	s_add_u32 s24, s17, s24
	s_addc_u32 s25, s13, s25
	s_or_b32 s4, s16, 0x60
	s_delay_alu instid0(SALU_CYCLE_1) | instskip(SKIP_2) | instid1(SALU_CYCLE_1)
	s_ashr_i32 s12, s4, 5
	s_cmp_lt_i32 s4, s18
	s_cselect_b32 s26, s12, s3
	s_ashr_i32 s27, s26, 31
	s_delay_alu instid0(SALU_CYCLE_1) | instskip(NEXT) | instid1(SALU_CYCLE_1)
	s_lshl_b64 s[26:27], s[26:27], 2
	s_add_u32 s26, s17, s26
	s_addc_u32 s27, s13, s27
	s_or_b32 s4, s16, 0x80
	s_delay_alu instid0(SALU_CYCLE_1) | instskip(SKIP_2) | instid1(SALU_CYCLE_1)
	s_ashr_i32 s12, s4, 5
	s_cmp_lt_i32 s4, s18
	s_cselect_b32 s28, s12, s3
	s_ashr_i32 s29, s28, 31
	s_delay_alu instid0(SALU_CYCLE_1) | instskip(NEXT) | instid1(SALU_CYCLE_1)
	s_lshl_b64 s[28:29], s[28:29], 2
	s_add_u32 s28, s17, s28
	s_addc_u32 s29, s13, s29
	s_or_b32 s4, s16, 0xa0
	s_delay_alu instid0(SALU_CYCLE_1) | instskip(SKIP_2) | instid1(SALU_CYCLE_1)
	s_ashr_i32 s12, s4, 5
	s_cmp_lt_i32 s4, s18
	s_cselect_b32 s36, s12, s3
	s_ashr_i32 s37, s36, 31
	s_delay_alu instid0(SALU_CYCLE_1) | instskip(NEXT) | instid1(SALU_CYCLE_1)
	s_lshl_b64 s[36:37], s[36:37], 2
	s_add_u32 s36, s17, s36
	s_addc_u32 s37, s13, s37
	s_clause 0x5
	s_load_b32 s12, s[6:7], 0x0
	s_load_b32 s4, s[8:9], 0x0
	;; [unrolled: 1-line block ×6, first 2 shown]
	s_or_b32 s21, s16, 0xc0
	s_waitcnt vmcnt(1)
	v_mad_i64_i32 v[1:2], null, v5, s5, s[22:23]
	v_lshlrev_b32_e32 v5, 4, v68
	s_waitcnt vmcnt(0)
	v_mad_i64_i32 v[3:4], null, v6, s5, s[22:23]
	s_ashr_i32 s22, s21, 5
	s_cmp_lt_i32 s21, s18
	s_delay_alu instid0(VALU_DEP_3) | instskip(NEXT) | instid1(VALU_DEP_4)
	v_add_co_u32 v1, vcc_lo, v1, v5
	v_add_co_ci_u32_e32 v2, vcc_lo, 0, v2, vcc_lo
	s_delay_alu instid0(VALU_DEP_3) | instskip(NEXT) | instid1(VALU_DEP_4)
	v_add_co_u32 v3, vcc_lo, v3, v5
	v_add_co_ci_u32_e32 v4, vcc_lo, 0, v4, vcc_lo
	s_clause 0x7
	global_load_b128 v[71:74], v[1:2], off
	global_load_b128 v[75:78], v[1:2], off offset:512
	global_load_b128 v[79:82], v[3:4], off offset:256
	;; [unrolled: 1-line block ×7, first 2 shown]
	s_cselect_b32 s22, s22, s3
	v_lshlrev_b32_e32 v1, 5, v68
	s_ashr_i32 s23, s22, 31
	v_cmp_gt_u32_e32 vcc_lo, 14, v68
	s_lshl_b64 s[22:23], s[22:23], 2
	s_delay_alu instid0(SALU_CYCLE_1)
	s_add_u32 s22, s17, s22
	s_addc_u32 s23, s13, s23
	s_or_b32 s21, s16, 0xe0
	v_lshl_or_b32 v1, v69, 9, v1
	s_ashr_i32 s24, s21, 5
	s_cmp_lt_i32 s21, s18
	v_cndmask_b32_e32 v103, v103, v68, vcc_lo
	s_cselect_b32 s24, s24, s3
	s_load_b32 s3, s[22:23], 0x0
	s_ashr_i32 s25, s24, 31
	v_cmp_gt_i32_e32 vcc_lo, 32, v128
	s_lshl_b64 s[24:25], s[24:25], 2
	v_lshlrev_b32_e32 v115, 6, v103
	s_add_u32 s22, s17, s24
	s_addc_u32 s23, s13, s25
	v_cndmask_b32_e32 v136, v127, v128, vcc_lo
	s_add_u32 s10, s10, s15
	s_addc_u32 s11, s11, s20
	v_add_co_u32 v1, s10, s10, v1
	s_delay_alu instid0(VALU_DEP_1) | instskip(SKIP_2) | instid1(VALU_DEP_1)
	v_add_co_ci_u32_e64 v2, null, s11, 0, s10
	s_load_b32 s10, s[22:23], 0x0
	s_waitcnt lgkmcnt(0)
	v_mad_i64_i32 v[3:4], null, s12, s5, v[1:2]
	v_mad_i64_i32 v[9:10], null, s7, s5, v[1:2]
	;; [unrolled: 1-line block ×7, first 2 shown]
	s_clause 0x5
	global_load_b128 v[49:52], v[3:4], off
	global_load_b128 v[53:56], v[3:4], off offset:16
	global_load_b128 v[41:44], v[5:6], off
	global_load_b128 v[45:48], v[5:6], off offset:16
	;; [unrolled: 2-line block ×3, first 2 shown]
	s_mov_b32 s4, 0
	v_mad_i64_i32 v[61:62], null, s10, s5, v[1:2]
	s_clause 0x9
	global_load_b128 v[1:4], v[9:10], off
	global_load_b128 v[5:8], v[9:10], off offset:16
	global_load_b128 v[9:12], v[13:14], off
	global_load_b128 v[13:16], v[13:14], off offset:16
	;; [unrolled: 2-line block ×5, first 2 shown]
	s_mov_b32 s5, s4
	s_mov_b32 s6, s4
	;; [unrolled: 1-line block ×7, first 2 shown]
	v_and_b32_e32 v104, 0xe0, v0
	v_dual_mov_b32 v126, s11 :: v_dual_mov_b32 v125, s10
	v_dual_mov_b32 v124, s9 :: v_dual_mov_b32 v123, s8
	s_delay_alu instid0(VALU_DEP_3)
	v_add_nc_u32_e32 v111, s16, v104
	ds_load_b128 v[103:106], v115
	ds_load_b128 v[107:110], v115 offset:1024
	v_dual_mov_b32 v122, s7 :: v_dual_mov_b32 v121, s6
	v_mov_b32_e32 v120, s5
	v_or_b32_e32 v135, v111, v66
	ds_load_b128 v[111:114], v115 offset:2048
	ds_load_b128 v[115:118], v115 offset:3072
	v_mov_b32_e32 v119, s4
	s_waitcnt vmcnt(0) lgkmcnt(0)
	s_barrier
	v_or_b32_e32 v137, 2, v135
	v_or_b32_e32 v138, 4, v135
	;; [unrolled: 1-line block ×3, first 2 shown]
	v_cmp_gt_i32_e32 vcc_lo, s18, v135
	v_or_b32_e32 v140, 8, v135
	v_cmp_gt_i32_e64 s3, s18, v137
	v_or_b32_e32 v141, 10, v135
	v_cmp_gt_i32_e64 s4, s18, v138
	v_cmp_gt_i32_e64 s5, s18, v139
	v_or_b32_e32 v142, 12, v135
	v_or_b32_e32 v143, 14, v135
	v_cmp_gt_i32_e64 s6, s18, v140
	v_cmp_gt_i32_e64 s7, s18, v141
	v_or_b32_e32 v144, 16, v135
	v_or_b32_e32 v145, 18, v135
	v_cmp_gt_i32_e64 s8, s18, v142
	v_cmp_gt_i32_e64 s9, s18, v143
	buffer_gl0_inv
	v_cmp_gt_i32_e64 s10, s18, v144
	v_cmp_gt_i32_e64 s11, s18, v145
	v_wmma_f32_16x16x16_f16 v[127:134], v[71:78], v[103:110], v[119:126]
	v_wmma_f32_16x16x16_f16 v[119:126], v[79:86], v[103:110], v[119:126]
	v_or_b32_e32 v71, 20, v135
	v_or_b32_e32 v72, 22, v135
	s_delay_alu instid0(VALU_DEP_4)
	v_wmma_f32_16x16x16_f16 v[127:134], v[87:94], v[111:118], v[127:134]
	v_or_b32_e32 v73, 24, v135
	v_wmma_f32_16x16x16_f16 v[119:126], v[95:102], v[111:118], v[119:126]
	v_or_b32_e32 v74, 26, v135
	v_cmp_gt_i32_e64 s12, s18, v71
	v_dual_mul_f32 v83, s19, v128 :: v_dual_mul_f32 v84, s19, v127
	s_delay_alu instid0(VALU_DEP_4) | instskip(SKIP_1) | instid1(VALU_DEP_3)
	v_dual_mul_f32 v81, s19, v130 :: v_dual_mul_f32 v92, s19, v119
	v_mul_f32_e32 v82, s19, v129
	v_cndmask_b32_e64 v83, 0xff7fffff, v83, s3
	s_delay_alu instid0(VALU_DEP_4)
	v_cndmask_b32_e32 v84, 0xff7fffff, v84, vcc_lo
	v_dual_mul_f32 v79, s19, v132 :: v_dual_mul_f32 v90, s19, v121
	v_mul_f32_e32 v80, s19, v131
	v_cndmask_b32_e64 v82, 0xff7fffff, v82, s4
	v_cndmask_b32_e64 v81, 0xff7fffff, v81, s5
	v_max3_f32 v83, v84, 0xff7fffff, v83
	v_dual_mul_f32 v77, s19, v134 :: v_dual_mul_f32 v88, s19, v123
	v_mul_f32_e32 v78, s19, v133
	v_cndmask_b32_e64 v80, 0xff7fffff, v80, s6
	v_cndmask_b32_e64 v79, 0xff7fffff, v79, s7
	v_max3_f32 v81, v83, v82, v81
	v_mul_f32_e32 v91, s19, v120
	v_cndmask_b32_e64 v78, 0xff7fffff, v78, s8
	v_cndmask_b32_e64 v77, 0xff7fffff, v77, s9
	v_mul_f32_e32 v89, s19, v122
	v_max3_f32 v79, v81, v80, v79
	v_cndmask_b32_e64 v80, 0xff7fffff, v92, s10
	v_cndmask_b32_e64 v81, 0xff7fffff, v91, s11
	v_cmp_gt_i32_e64 s13, s18, v72
	v_or_b32_e32 v75, 28, v135
	v_max3_f32 v77, v79, v78, v77
	v_or_b32_e32 v76, 30, v135
	v_mul_f32_e32 v87, s19, v124
	v_cndmask_b32_e64 v71, 0xff7fffff, v90, s12
	v_cndmask_b32_e64 v72, 0xff7fffff, v89, s13
	v_max3_f32 v77, v77, v80, v81
	v_cmp_gt_i32_e64 s15, s18, v73
	v_cmp_gt_i32_e64 s16, s18, v74
	v_dual_mul_f32 v85, s19, v126 :: v_dual_mul_f32 v86, s19, v125
	s_delay_alu instid0(VALU_DEP_4) | instskip(NEXT) | instid1(VALU_DEP_4)
	v_max3_f32 v71, v77, v71, v72
	v_cndmask_b32_e64 v73, 0xff7fffff, v88, s15
	s_delay_alu instid0(VALU_DEP_4) | instskip(SKIP_2) | instid1(VALU_DEP_3)
	v_cndmask_b32_e64 v74, 0xff7fffff, v87, s16
	v_cmp_gt_i32_e64 s17, s18, v75
	v_cmp_gt_i32_e64 s18, s18, v76
	v_max3_f32 v71, v71, v73, v74
	s_delay_alu instid0(VALU_DEP_3) | instskip(NEXT) | instid1(VALU_DEP_3)
	v_cndmask_b32_e64 v72, 0xff7fffff, v86, s17
	v_cndmask_b32_e64 v75, 0xff7fffff, v85, s18
	v_lshlrev_b32_e32 v73, 2, v136
	s_delay_alu instid0(VALU_DEP_2) | instskip(SKIP_3) | instid1(VALU_DEP_1)
	v_max3_f32 v71, v71, v72, v75
	ds_bpermute_b32 v72, v73, v71
	s_waitcnt lgkmcnt(0)
	v_max_f32_e32 v72, v72, v72
	v_max_f32_e32 v71, v71, v72
	s_delay_alu instid0(VALU_DEP_1)
	v_fma_f32 v72, s19, v127, -v71
	v_fma_f32 v74, s19, v128, -v71
	v_fma_f32 v75, s19, v129, -v71
	v_fma_f32 v76, s19, v130, -v71
	v_fma_f32 v77, s19, v131, -v71
	v_mul_f32_e32 v72, 0x3fb8aa3b, v72
	v_mul_f32_e32 v74, 0x3fb8aa3b, v74
	v_fma_f32 v80, s19, v133, -v71
	s_delay_alu instid0(VALU_DEP_4) | instskip(NEXT) | instid1(VALU_DEP_4)
	v_dual_mul_f32 v76, 0x3fb8aa3b, v76 :: v_dual_mul_f32 v77, 0x3fb8aa3b, v77
	v_exp_f32_e32 v72, v72
	s_delay_alu instid0(VALU_DEP_3) | instskip(NEXT) | instid1(VALU_DEP_2)
	v_exp_f32_e32 v74, v74
	v_mul_f32_e32 v82, 0x3fb8aa3b, v80
	s_delay_alu instid0(VALU_DEP_2) | instskip(SKIP_1) | instid1(VALU_DEP_1)
	v_exp_f32_e32 v76, v76
	v_exp_f32_e32 v77, v77
	;; [unrolled: 1-line block ×3, first 2 shown]
	v_cndmask_b32_e32 v79, 0, v72, vcc_lo
	v_fma_f32 v72, s19, v132, -v71
	v_mul_f32_e32 v75, 0x3fb8aa3b, v75
	v_cndmask_b32_e64 v78, 0, v74, s3
	s_delay_alu instid0(TRANS32_DEP_3)
	v_cndmask_b32_e64 v80, 0, v76, s5
	v_add_f32_e32 v74, 0, v79
	v_mul_f32_e32 v72, 0x3fb8aa3b, v72
	v_exp_f32_e32 v75, v75
	v_cndmask_b32_e64 v83, 0, v77, s6
	v_cndmask_b32_e64 v85, 0, v84, s8
	v_add_f32_e32 v74, v74, v78
	v_exp_f32_e32 v72, v72
	s_mov_b32 s3, exec_lo
	s_waitcnt_depctr 0xfff
	v_cndmask_b32_e64 v81, 0, v75, s4
	v_cndmask_b32_e64 v82, 0, v72, s7
	s_delay_alu instid0(VALU_DEP_2) | instskip(NEXT) | instid1(VALU_DEP_1)
	v_add_f32_e32 v74, v74, v81
	v_add_f32_e32 v74, v74, v80
	s_delay_alu instid0(VALU_DEP_1) | instskip(SKIP_4) | instid1(VALU_DEP_4)
	v_add_f32_e32 v72, v74, v83
	v_fma_f32 v75, s19, v134, -v71
	v_fma_f32 v76, s19, v119, -v71
	;; [unrolled: 1-line block ×4, first 2 shown]
	v_dual_add_f32 v72, v72, v82 :: v_dual_mul_f32 v75, 0x3fb8aa3b, v75
	s_delay_alu instid0(VALU_DEP_3) | instskip(SKIP_1) | instid1(VALU_DEP_3)
	v_dual_mul_f32 v76, 0x3fb8aa3b, v76 :: v_dual_mul_f32 v77, 0x3fb8aa3b, v77
	v_fma_f32 v86, s19, v122, -v71
	v_add_f32_e32 v72, v72, v85
	s_delay_alu instid0(VALU_DEP_4) | instskip(NEXT) | instid1(VALU_DEP_3)
	v_exp_f32_e32 v75, v75
	v_exp_f32_e32 v76, v76
	;; [unrolled: 1-line block ×3, first 2 shown]
	v_mul_f32_e32 v86, 0x3fb8aa3b, v86
	s_delay_alu instid0(VALU_DEP_1) | instskip(SKIP_3) | instid1(TRANS32_DEP_3)
	v_exp_f32_e32 v88, v86
	v_cndmask_b32_e64 v84, 0, v75, s9
	v_fma_f32 v75, s19, v123, -v71
	v_mul_f32_e32 v74, 0x3fb8aa3b, v74
	v_cndmask_b32_e64 v87, 0, v76, s10
	v_fma_f32 v76, s19, v124, -v71
	s_delay_alu instid0(VALU_DEP_4) | instskip(NEXT) | instid1(VALU_DEP_4)
	v_dual_add_f32 v72, v72, v84 :: v_dual_mul_f32 v75, 0x3fb8aa3b, v75
	v_exp_f32_e32 v74, v74
	v_cndmask_b32_e64 v86, 0, v77, s11
	v_fma_f32 v77, s19, v125, -v71
	s_delay_alu instid0(VALU_DEP_3) | instskip(SKIP_3) | instid1(VALU_DEP_3)
	v_add_f32_e32 v72, v72, v87
	v_mul_f32_e32 v76, 0x3fb8aa3b, v76
	v_exp_f32_e32 v75, v75
	v_cndmask_b32_e64 v88, 0, v88, s13
	v_add_f32_e32 v72, v72, v86
	s_delay_alu instid0(VALU_DEP_3) | instskip(NEXT) | instid1(TRANS32_DEP_3)
	v_exp_f32_e32 v76, v76
	v_cndmask_b32_e64 v89, 0, v74, s12
	v_mul_f32_e32 v74, 0x3fb8aa3b, v77
	v_fma_f32 v77, s19, v126, -v71
	s_delay_alu instid0(VALU_DEP_3) | instskip(NEXT) | instid1(VALU_DEP_3)
	v_add_f32_e32 v72, v72, v89
	v_exp_f32_e32 v74, v74
	s_delay_alu instid0(TRANS32_DEP_3) | instskip(NEXT) | instid1(VALU_DEP_3)
	v_cndmask_b32_e64 v91, 0, v75, s15
	v_mul_f32_e32 v75, 0x3fb8aa3b, v77
	s_delay_alu instid0(TRANS32_DEP_2) | instskip(SKIP_1) | instid1(VALU_DEP_3)
	v_cndmask_b32_e64 v90, 0, v76, s16
	v_add_f32_e32 v72, v72, v88
	v_exp_f32_e32 v75, v75
	s_delay_alu instid0(VALU_DEP_1) | instskip(NEXT) | instid1(TRANS32_DEP_2)
	v_add_f32_e32 v72, v72, v91
	v_cndmask_b32_e64 v93, 0, v74, s17
	s_delay_alu instid0(VALU_DEP_2) | instskip(SKIP_3) | instid1(VALU_DEP_1)
	v_add_f32_e32 v72, v72, v90
	s_waitcnt_depctr 0xfff
	v_cndmask_b32_e64 v92, 0, v75, s18
	v_add_f32_e32 v72, v72, v93
	v_add_f32_e32 v72, v72, v92
	ds_bpermute_b32 v73, v73, v72
	v_cmpx_gt_u32_e32 16, v70
	s_cbranch_execz .LBB1179_12
; %bb.11:
	v_mul_u32_u24_e32 v70, 0x44, v69
	s_waitcnt lgkmcnt(0)
	v_add_f32_e32 v72, v72, v73
	s_delay_alu instid0(VALU_DEP_2) | instskip(NEXT) | instid1(VALU_DEP_1)
	v_lshl_add_u32 v70, v68, 2, v70
	v_add_nc_u32_e32 v70, 0x4000, v70
	ds_store_2addr_b32 v70, v71, v72 offset1:136
.LBB1179_12:
	s_or_b32 exec_lo, exec_lo, s3
	v_lshlrev_b32_e32 v70, 2, v68
	s_load_b32 s35, s[0:1], 0x94
	s_waitcnt lgkmcnt(0)
	s_barrier
	buffer_gl0_inv
	v_add_nc_u32_e32 v98, 0x4000, v70
	v_cmp_eq_u32_e32 vcc_lo, 1, v69
	v_cmp_eq_u32_e64 s3, 2, v69
	v_cmp_eq_u32_e64 s4, 3, v69
	;; [unrolled: 1-line block ×3, first 2 shown]
	ds_load_2addr_b32 v[70:71], v98 offset1:17
	ds_load_2addr_b32 v[72:73], v98 offset0:34 offset1:51
	ds_load_2addr_b32 v[74:75], v98 offset0:68 offset1:85
	ds_load_2addr_b32 v[94:95], v98 offset0:102 offset1:119
	v_cmp_eq_u32_e64 s6, 5, v69
	v_cmp_eq_u32_e64 s7, 7, v69
	s_waitcnt lgkmcnt(3)
	v_max3_f32 v76, v70, 0xff7fffff, v71
	s_waitcnt lgkmcnt(2)
	s_delay_alu instid0(VALU_DEP_1) | instskip(SKIP_1) | instid1(VALU_DEP_1)
	v_max3_f32 v76, v76, v72, v73
	s_waitcnt lgkmcnt(1)
	v_max3_f32 v76, v76, v74, v75
	s_waitcnt lgkmcnt(0)
	s_delay_alu instid0(VALU_DEP_1) | instskip(NEXT) | instid1(VALU_DEP_1)
	v_max3_f32 v76, v76, v94, v95
	v_sub_f32_e32 v77, v71, v76
	ds_load_2addr_b32 v[96:97], v98 offset0:136 offset1:153
	v_sub_f32_e32 v74, v74, v76
	v_sub_f32_e32 v70, v70, v76
	;; [unrolled: 1-line block ×3, first 2 shown]
	v_dual_sub_f32 v72, v72, v76 :: v_dual_mul_f32 v77, 0x3fb8aa3b, v77
	s_delay_alu instid0(VALU_DEP_4) | instskip(NEXT) | instid1(VALU_DEP_4)
	v_mul_f32_e32 v103, 0x3fb8aa3b, v74
	v_mul_f32_e32 v99, 0x3fb8aa3b, v70
	ds_load_2addr_b32 v[70:71], v98 offset0:170 offset1:187
	v_dual_mul_f32 v101, 0x3fb8aa3b, v72 :: v_dual_mul_f32 v94, 0x3fb8aa3b, v94
	v_exp_f32_e32 v102, v77
	v_exp_f32_e32 v99, v99
	s_delay_alu instid0(VALU_DEP_1) | instskip(NEXT) | instid1(VALU_DEP_1)
	v_exp_f32_e32 v101, v101
	v_exp_f32_e32 v94, v94
	s_waitcnt lgkmcnt(1)
	s_delay_alu instid0(TRANS32_DEP_3)
	v_fma_f32 v77, v99, v96, 0
	v_sub_f32_e32 v100, v73, v76
	ds_load_2addr_b32 v[72:73], v98 offset0:204 offset1:221
	v_fmac_f32_e32 v77, v102, v97
	v_exp_f32_e32 v97, v103
	s_waitcnt lgkmcnt(1)
	s_delay_alu instid0(VALU_DEP_1)
	v_dual_fmac_f32 v77, v101, v70 :: v_dual_sub_f32 v96, v75, v76
	ds_load_2addr_b32 v[74:75], v98 offset0:238 offset1:255
	v_sub_f32_e32 v70, v95, v76
	s_waitcnt lgkmcnt(0)
	s_barrier
	v_mul_f32_e32 v96, 0x3fb8aa3b, v96
	buffer_gl0_inv
	v_exp_f32_e32 v95, v96
	v_mul_f32_e32 v100, 0x3fb8aa3b, v100
	s_delay_alu instid0(VALU_DEP_1) | instskip(SKIP_3) | instid1(VALU_DEP_2)
	v_exp_f32_e32 v100, v100
	s_waitcnt_depctr 0xfff
	v_dual_fmac_f32 v77, v100, v71 :: v_dual_mul_f32 v70, 0x3fb8aa3b, v70
	v_cndmask_b32_e32 v71, v99, v102, vcc_lo
	v_fmac_f32_e32 v77, v97, v72
	s_delay_alu instid0(VALU_DEP_3) | instskip(NEXT) | instid1(VALU_DEP_1)
	v_exp_f32_e32 v96, v70
	v_fmac_f32_e32 v77, v95, v73
	s_delay_alu instid0(VALU_DEP_1) | instskip(SKIP_2) | instid1(VALU_DEP_1)
	v_fmac_f32_e32 v77, v94, v74
	s_waitcnt_depctr 0xfff
	v_fmac_f32_e32 v77, v96, v75
	v_add_f32_e32 v74, 0x358637bd, v77
	s_delay_alu instid0(VALU_DEP_1) | instskip(SKIP_1) | instid1(VALU_DEP_2)
	v_div_scale_f32 v98, null, v74, v74, 1.0
	v_div_scale_f32 v99, vcc_lo, 1.0, v74, 1.0
	v_rcp_f32_e32 v103, v98
	s_waitcnt_depctr 0xfff
	v_fma_f32 v70, -v98, v103, 1.0
	s_delay_alu instid0(VALU_DEP_1) | instskip(SKIP_2) | instid1(VALU_DEP_2)
	v_fmac_f32_e32 v103, v70, v103
	v_cndmask_b32_e64 v70, v71, v101, s3
	v_cmp_eq_u32_e64 s3, 6, v69
	v_cndmask_b32_e64 v71, v70, v100, s4
	s_delay_alu instid0(VALU_DEP_4) | instskip(NEXT) | instid1(VALU_DEP_2)
	v_dual_mul_f32 v101, v99, v103 :: v_dual_lshlrev_b32 v70, 2, v66
	v_cndmask_b32_e64 v71, v71, v97, s5
	s_delay_alu instid0(VALU_DEP_2) | instskip(NEXT) | instid1(VALU_DEP_3)
	v_or_b32_e32 v72, 1, v70
	v_fma_f32 v100, -v98, v101, v99
	v_cmp_eq_u32_e64 s4, 1, v70
	v_cmp_eq_u32_e64 s5, 2, v70
	v_cndmask_b32_e64 v95, v71, v95, s6
	v_or_b32_e32 v71, 3, v70
	v_fmac_f32_e32 v101, v100, v103
	v_cmp_eq_u32_e64 s9, 1, v72
	v_cmp_eq_u32_e64 s12, 2, v72
	v_cndmask_b32_e64 v94, v95, v94, s3
	v_cmp_eq_u32_e64 s11, 1, v71
	v_fma_f32 v97, -v98, v101, v99
	v_cmp_eq_u32_e64 s16, 2, v71
	v_cmp_eq_u32_e64 s13, 3, v72
	v_cndmask_b32_e64 v94, v94, v96, s7
	v_cmp_eq_u32_e64 s18, 3, v71
	v_div_fmas_f32 v95, v97, v103, v101
	v_cmp_eq_u32_e32 vcc_lo, 3, v70
	v_cmp_eq_u32_e64 s3, 4, v70
	v_cmp_eq_u32_e64 s19, 4, v72
	;; [unrolled: 1-line block ×3, first 2 shown]
	v_div_fixup_f32 v95, v95, v74, 1.0
	v_lshlrev_b32_e32 v73, 6, v68
	v_cmp_eq_u32_e64 s6, 5, v70
	v_cmp_eq_u32_e64 s20, 5, v72
	;; [unrolled: 1-line block ×3, first 2 shown]
	v_mul_f32_e32 v102, v94, v95
	v_lshl_or_b32 v75, v69, 11, v73
	v_or_b32_e32 v69, 2, v70
	v_cmp_eq_u32_e64 s25, 6, v72
	v_cmp_eq_u32_e64 s27, 6, v71
	v_fma_mixlo_f16 v94, v102, v79, 0
	v_fma_mixlo_f16 v95, v102, v81, 0
	;; [unrolled: 1-line block ×8, first 2 shown]
	v_lshl_or_b32 v74, v66, 4, v75
	v_fma_mixhi_f16 v94, v102, v78, 0
	v_fma_mixhi_f16 v95, v102, v80, 0
	;; [unrolled: 1-line block ×8, first 2 shown]
	ds_store_b128 v74, v[94:97]
	ds_store_b128 v74, v[98:101] offset:1024
	s_waitcnt lgkmcnt(0)
	s_barrier
	buffer_gl0_inv
	ds_load_b128 v[78:81], v75
	ds_load_b128 v[82:85], v75 offset:16
	ds_load_b128 v[86:89], v75 offset:1024
	;; [unrolled: 1-line block ×3, first 2 shown]
	v_cmp_eq_u32_e64 s10, 1, v69
	v_cmp_eq_u32_e64 s15, 2, v69
	;; [unrolled: 1-line block ×11, first 2 shown]
	s_waitcnt lgkmcnt(3)
	v_lshrrev_b32_e32 v94, 16, v78
	s_waitcnt lgkmcnt(2)
	v_lshrrev_b32_e32 v98, 16, v82
	;; [unrolled: 2-line block ×4, first 2 shown]
	v_lshrrev_b32_e32 v95, 16, v79
	v_cndmask_b32_e64 v110, v78, v94, s4
	v_cndmask_b32_e64 v111, v82, v98, s4
	;; [unrolled: 1-line block ×8, first 2 shown]
	v_lshrrev_b32_e32 v99, 16, v83
	v_cndmask_b32_e64 v94, v86, v102, s4
	v_cndmask_b32_e64 v98, v90, v106, s4
	;; [unrolled: 1-line block ×15, first 2 shown]
	v_lshrrev_b32_e32 v103, 16, v87
	v_lshrrev_b32_e32 v107, 16, v91
	v_cndmask_b32_e64 v113, v115, v83, s15
	v_cndmask_b32_e64 v82, v94, v87, s5
	;; [unrolled: 1-line block ×7, first 2 shown]
	v_cndmask_b32_e32 v90, v102, v95, vcc_lo
	v_cndmask_b32_e32 v102, v106, v99, vcc_lo
	v_cndmask_b32_e64 v106, v110, v95, s13
	v_cndmask_b32_e64 v110, v111, v99, s13
	;; [unrolled: 1-line block ×4, first 2 shown]
	v_lshrrev_b32_e32 v96, 16, v80
	v_lshrrev_b32_e32 v100, 16, v84
	v_cndmask_b32_e64 v111, v112, v95, s17
	v_cndmask_b32_e64 v112, v113, v99, s17
	v_cndmask_b32_e32 v82, v82, v103, vcc_lo
	v_cndmask_b32_e32 v83, v83, v107, vcc_lo
	v_cndmask_b32_e64 v94, v94, v103, s13
	v_cndmask_b32_e64 v90, v90, v80, s3
	;; [unrolled: 1-line block ×7, first 2 shown]
	v_lshrrev_b32_e32 v104, 16, v88
	v_cndmask_b32_e64 v106, v111, v80, s21
	v_cndmask_b32_e64 v110, v112, v84, s21
	;; [unrolled: 1-line block ×11, first 2 shown]
	v_lshrrev_b32_e32 v97, 16, v81
	v_lshrrev_b32_e32 v101, 16, v85
	v_cndmask_b32_e64 v99, v106, v96, s23
	v_cndmask_b32_e64 v102, v110, v100, s23
	;; [unrolled: 1-line block ×7, first 2 shown]
	v_lshrrev_b32_e32 v105, 16, v89
	v_cndmask_b32_e64 v80, v80, v104, s6
	v_cndmask_b32_e64 v84, v84, v81, s7
	;; [unrolled: 1-line block ×16, first 2 shown]
	v_perm_b32 v81, v79, v78, 0x5040100
	v_perm_b32 v79, v95, v85, 0x5040100
	v_cndmask_b32_e64 v78, v119, v91, s15
	v_cndmask_b32_e64 v85, v117, v91, s12
	;; [unrolled: 1-line block ×3, first 2 shown]
	v_perm_b32 v80, v94, v90, 0x5040100
	v_cndmask_b32_e64 v90, v98, v103, s17
	v_cndmask_b32_e64 v86, v86, v103, s18
	;; [unrolled: 1-line block ×5, first 2 shown]
	v_lshrrev_b32_e32 v108, 16, v92
	v_cndmask_b32_e64 v90, v90, v88, s21
	v_cndmask_b32_e64 v86, v86, v88, s22
	;; [unrolled: 1-line block ×11, first 2 shown]
	v_lshrrev_b32_e32 v109, 16, v93
	v_cndmask_b32_e64 v82, v82, v93, s7
	v_cndmask_b32_e64 v88, v88, v89, s26
	;; [unrolled: 1-line block ×12, first 2 shown]
	v_perm_b32 v78, v84, v83, 0x5040100
	v_perm_b32 v85, v87, v86, 0x5040100
	;; [unrolled: 1-line block ×5, first 2 shown]
	s_mul_i32 s8, s33, 14
	s_mov_b32 s3, exec_lo
	ds_store_b128 v74, v[78:81]
	ds_store_b128 v74, v[82:85] offset:1024
	v_cmpx_gt_u32_e32 14, v0
	s_cbranch_execz .LBB1179_14
; %bb.13:
	s_mul_i32 s4, s8, s34
	s_delay_alu instid0(SALU_CYCLE_1) | instskip(SKIP_1) | instid1(VALU_DEP_1)
	v_add3_u32 v68, s4, s31, v68
	s_load_b128 s[4:7], s[0:1], 0x58
	v_mad_u64_u32 v[78:79], null, v68, s35, s[14:15]
	s_delay_alu instid0(VALU_DEP_1) | instskip(NEXT) | instid1(VALU_DEP_1)
	v_ashrrev_i32_e32 v79, 31, v78
	v_lshlrev_b64 v[78:79], 2, v[78:79]
	s_waitcnt lgkmcnt(0)
	s_delay_alu instid0(VALU_DEP_1) | instskip(NEXT) | instid1(VALU_DEP_2)
	v_add_co_u32 v80, vcc_lo, s6, v78
	v_add_co_ci_u32_e32 v81, vcc_lo, s7, v79, vcc_lo
	v_add_co_u32 v78, vcc_lo, s4, v78
	v_add_co_ci_u32_e32 v79, vcc_lo, s5, v79, vcc_lo
	global_store_b32 v[80:81], v76, off
	global_store_b32 v[78:79], v77, off
.LBB1179_14:
	s_or_b32 exec_lo, exec_lo, s3
	s_waitcnt lgkmcnt(0)
	s_waitcnt_vscnt null, 0x0
	s_barrier
	buffer_gl0_inv
	ds_load_b128 v[84:87], v73
	ds_load_b128 v[88:91], v73 offset:16
	ds_load_b128 v[96:99], v73 offset:2064
	;; [unrolled: 1-line block ×5, first 2 shown]
	v_cmp_eq_u32_e32 vcc_lo, 1, v70
	v_mov_b32_e32 v76, 0
	ds_load_b128 v[112:115], v73 offset:6160
	ds_load_b128 v[108:111], v73 offset:6144
	;; [unrolled: 1-line block ×4, first 2 shown]
	v_cmp_eq_u32_e64 s4, 1, v69
	v_cmp_eq_u32_e64 s3, 1, v72
	v_cmp_eq_u32_e64 s5, 2, v72
	v_mov_b32_e32 v77, v76
	v_mov_b32_e32 v78, v76
	;; [unrolled: 1-line block ×7, first 2 shown]
	v_cmp_eq_u32_e64 s6, 3, v72
	v_cmp_eq_u32_e64 s7, 7, v72
	s_waitcnt lgkmcnt(8)
	s_delay_alu instid0(VALU_DEP_3)
	v_wmma_f32_16x16x16_f16 v[76:83], v[49:56], v[84:91], v[76:83]
	ds_load_b128 v[53:56], v73 offset:10256
	ds_load_b128 v[49:52], v73 offset:10240
	s_waitcnt lgkmcnt(8)
	v_wmma_f32_16x16x16_f16 v[76:83], v[41:48], v[92:99], v[76:83]
	ds_load_b128 v[45:48], v73 offset:12304
	ds_load_b128 v[41:44], v73 offset:12288
	s_waitcnt lgkmcnt(8)
	v_wmma_f32_16x16x16_f16 v[76:83], v[33:40], v[100:107], v[76:83]
	ds_load_b128 v[37:40], v73 offset:14352
	ds_load_b128 v[33:36], v73 offset:14336
	s_waitcnt lgkmcnt(0)
	s_barrier
	buffer_gl0_inv
	v_wmma_f32_16x16x16_f16 v[76:83], v[1:8], v[108:115], v[76:83]
	s_delay_alu instid0(VALU_DEP_1) | instskip(NEXT) | instid1(VALU_DEP_1)
	v_wmma_f32_16x16x16_f16 v[76:83], v[9:16], v[116:123], v[76:83]
	v_wmma_f32_16x16x16_f16 v[76:83], v[17:24], v[49:56], v[76:83]
	s_delay_alu instid0(VALU_DEP_1) | instskip(NEXT) | instid1(VALU_DEP_1)
	v_wmma_f32_16x16x16_f16 v[76:83], v[25:32], v[41:48], v[76:83]
	v_wmma_f32_16x16x16_f16 v[76:83], v[57:64], v[33:40], v[76:83]
	s_delay_alu instid0(VALU_DEP_1) | instskip(NEXT) | instid1(VALU_DEP_2)
	v_cvt_f16_f32_e32 v1, v76
	v_cvt_f16_f32_e32 v2, v77
	s_delay_alu instid0(VALU_DEP_3) | instskip(NEXT) | instid1(VALU_DEP_4)
	v_cvt_f16_f32_e32 v3, v78
	v_cvt_f16_f32_e32 v4, v79
	;; [unrolled: 1-line block ×6, first 2 shown]
	v_pack_b32_f16 v1, v1, v2
	v_pack_b32_f16 v2, v3, v4
	;; [unrolled: 1-line block ×3, first 2 shown]
	s_delay_alu instid0(VALU_DEP_4)
	v_pack_b32_f16 v4, v7, v8
	ds_store_b128 v74, v[1:4]
	s_waitcnt lgkmcnt(0)
	s_barrier
	buffer_gl0_inv
	ds_load_b128 v[1:4], v75
	ds_load_b128 v[5:8], v75 offset:16
	s_waitcnt lgkmcnt(1)
	v_lshrrev_b32_e32 v9, 16, v1
	s_waitcnt lgkmcnt(0)
	v_lshrrev_b32_e32 v13, 16, v5
	v_lshrrev_b32_e32 v10, 16, v2
	;; [unrolled: 1-line block ×4, first 2 shown]
	v_cndmask_b32_e32 v17, v1, v9, vcc_lo
	v_cndmask_b32_e32 v18, v5, v13, vcc_lo
	v_cndmask_b32_e64 v21, v1, v9, s4
	v_cmp_eq_u32_e32 vcc_lo, 1, v71
	v_cndmask_b32_e64 v22, v5, v13, s4
	v_cmp_eq_u32_e64 s4, 2, v70
	v_cndmask_b32_e64 v19, v1, v9, s3
	v_cndmask_b32_e64 v20, v5, v13, s3
	v_cndmask_b32_e32 v1, v1, v9, vcc_lo
	v_cmp_eq_u32_e64 s3, 2, v71
	v_cndmask_b32_e32 v5, v5, v13, vcc_lo
	v_cndmask_b32_e64 v9, v17, v2, s4
	v_cmp_eq_u32_e32 vcc_lo, 3, v70
	v_cndmask_b32_e64 v13, v18, v6, s4
	v_cmp_eq_u32_e64 s4, 2, v69
	v_cndmask_b32_e64 v17, v19, v2, s5
	v_cndmask_b32_e64 v18, v20, v6, s5
	v_cmp_eq_u32_e64 s5, 3, v69
	v_cndmask_b32_e64 v1, v1, v2, s3
	v_cndmask_b32_e64 v19, v21, v2, s4
	;; [unrolled: 1-line block ×4, first 2 shown]
	v_cndmask_b32_e32 v5, v9, v10, vcc_lo
	v_cndmask_b32_e32 v6, v13, v14, vcc_lo
	v_cmp_eq_u32_e32 vcc_lo, 3, v71
	v_cndmask_b32_e64 v9, v17, v10, s6
	v_cndmask_b32_e64 v13, v18, v14, s6
	;; [unrolled: 1-line block ×3, first 2 shown]
	v_cmp_eq_u32_e64 s4, 4, v70
	v_cndmask_b32_e32 v1, v1, v10, vcc_lo
	v_cndmask_b32_e32 v2, v2, v14, vcc_lo
	v_cmp_eq_u32_e32 vcc_lo, 4, v72
	v_lshrrev_b32_e32 v15, 16, v7
	v_lshrrev_b32_e32 v16, 16, v8
	v_cndmask_b32_e64 v17, v19, v10, s5
	v_cmp_eq_u32_e64 s3, 4, v71
	v_cndmask_b32_e64 v5, v5, v3, s4
	v_cndmask_b32_e64 v6, v6, v7, s4
	v_cndmask_b32_e32 v9, v9, v3, vcc_lo
	v_cmp_eq_u32_e64 s4, 5, v72
	v_cndmask_b32_e32 v10, v13, v7, vcc_lo
	v_cmp_eq_u32_e32 vcc_lo, 4, v69
	v_cmp_eq_u32_e64 s5, 5, v70
	v_cndmask_b32_e64 v2, v2, v7, s3
	v_cndmask_b32_e64 v9, v9, v11, s4
	;; [unrolled: 1-line block ×3, first 2 shown]
	v_cndmask_b32_e32 v13, v17, v3, vcc_lo
	v_cmp_eq_u32_e64 s4, 5, v69
	v_cndmask_b32_e32 v14, v18, v7, vcc_lo
	v_cndmask_b32_e64 v1, v1, v3, s3
	v_cmp_eq_u32_e32 vcc_lo, 5, v71
	v_lshrrev_b32_e32 v12, 16, v4
	v_cndmask_b32_e64 v13, v13, v11, s4
	v_cndmask_b32_e64 v3, v14, v15, s4
	v_cmp_eq_u32_e64 s4, 6, v71
	v_cndmask_b32_e32 v1, v1, v11, vcc_lo
	v_cndmask_b32_e64 v5, v5, v11, s5
	v_cmp_eq_u32_e64 s6, 6, v70
	v_cndmask_b32_e64 v6, v6, v15, s5
	v_cmp_eq_u32_e64 s5, 6, v72
	v_cmp_eq_u32_e64 s3, 6, v69
	v_cndmask_b32_e64 v1, v1, v4, s4
	v_cndmask_b32_e32 v2, v2, v15, vcc_lo
	v_cmp_eq_u32_e32 vcc_lo, 7, v71
	v_cndmask_b32_e64 v5, v5, v4, s6
	v_cndmask_b32_e64 v9, v9, v4, s5
	;; [unrolled: 1-line block ×3, first 2 shown]
	v_cmp_eq_u32_e64 s6, 7, v70
	v_cndmask_b32_e32 v1, v1, v12, vcc_lo
	v_cndmask_b32_e64 v7, v13, v4, s3
	v_cndmask_b32_e64 v3, v3, v8, s3
	;; [unrolled: 1-line block ×3, first 2 shown]
	v_cmp_eq_u32_e64 s3, 7, v69
	v_cndmask_b32_e64 v4, v10, v8, s5
	v_cndmask_b32_e64 v5, v5, v12, s6
	;; [unrolled: 1-line block ×3, first 2 shown]
	v_cndmask_b32_e32 v2, v2, v16, vcc_lo
	v_cndmask_b32_e64 v7, v7, v12, s3
	v_cndmask_b32_e64 v3, v3, v16, s3
	v_cndmask_b32_e64 v8, v4, v16, s7
	v_cndmask_b32_e64 v6, v6, v16, s6
	v_cmp_gt_u32_e32 vcc_lo, 32, v0
	v_perm_b32 v4, v2, v1, 0x5040100
	v_perm_b32 v3, v3, v7, 0x5040100
	v_perm_b32 v2, v8, v9, 0x5040100
	v_perm_b32 v1, v6, v5, 0x5040100
	s_and_b32 s2, vcc_lo, s2
	ds_store_b128 v74, v[1:4]
	s_waitcnt lgkmcnt(0)
	s_barrier
	buffer_gl0_inv
	s_and_saveexec_b32 s3, s2
	s_cbranch_execz .LBB1179_2
; %bb.15:
	s_load_b64 s[0:1], s[0:1], 0x68
	v_lshlrev_b32_e32 v0, 10, v0
	s_lshl_b32 s4, s35, 6
	v_or_b32_e32 v3, s31, v66
	s_mul_i32 s2, s4, s34
	v_lshlrev_b32_e32 v1, 4, v67
	v_lshlrev_b32_e32 v2, 6, v66
	v_and_b32_e32 v0, 0x3800, v0
	s_mul_i32 s2, s2, s8
	v_mul_lo_u32 v8, v3, s4
	s_ashr_i32 s3, s2, 31
	s_delay_alu instid0(SALU_CYCLE_1)
	s_lshl_b64 s[2:3], s[2:3], 1
	v_or3_b32 v16, v0, v1, v2
	ds_load_b128 v[0:3], v16
	ds_load_b128 v[4:7], v16 offset:128
	v_ashrrev_i32_e32 v9, 31, v8
	s_waitcnt lgkmcnt(0)
	s_add_u32 s2, s0, s2
	s_addc_u32 s3, s1, s3
	s_lshl_b32 s0, s14, 6
	s_delay_alu instid0(SALU_CYCLE_1) | instskip(SKIP_2) | instid1(SALU_CYCLE_1)
	s_ashr_i32 s1, s0, 31
	v_lshlrev_b64 v[9:10], 1, v[8:9]
	s_lshl_b64 s[0:1], s[0:1], 1
	s_add_u32 s0, s2, s0
	s_addc_u32 s1, s3, s1
	s_lshl_b32 s2, s35, 7
	v_add_co_u32 v30, s0, s0, v65
	v_add_nc_u32_e32 v11, s2, v8
	v_add_co_ci_u32_e64 v31, null, s1, 0, s0
	s_delay_alu instid0(VALU_DEP_3) | instskip(NEXT) | instid1(VALU_DEP_3)
	v_add_co_u32 v9, vcc_lo, v30, v9
	v_add_nc_u32_e32 v8, s2, v11
	s_delay_alu instid0(VALU_DEP_3) | instskip(SKIP_1) | instid1(VALU_DEP_3)
	v_add_co_ci_u32_e32 v10, vcc_lo, v31, v10, vcc_lo
	v_ashrrev_i32_e32 v12, 31, v11
	v_add_nc_u32_e32 v13, s2, v8
	global_store_b128 v[9:10], v[0:3], off
	v_ashrrev_i32_e32 v9, 31, v8
	v_lshlrev_b64 v[11:12], 1, v[11:12]
	v_ashrrev_i32_e32 v14, 31, v13
	v_add_nc_u32_e32 v10, s2, v13
	s_delay_alu instid0(VALU_DEP_4) | instskip(NEXT) | instid1(VALU_DEP_4)
	v_lshlrev_b64 v[2:3], 1, v[8:9]
	v_add_co_u32 v0, vcc_lo, v30, v11
	s_delay_alu instid0(VALU_DEP_4)
	v_lshlrev_b64 v[8:9], 1, v[13:14]
	v_add_co_ci_u32_e32 v1, vcc_lo, v31, v12, vcc_lo
	v_ashrrev_i32_e32 v11, 31, v10
	v_add_co_u32 v22, vcc_lo, v30, v2
	v_add_nc_u32_e32 v20, s2, v10
	v_add_co_ci_u32_e32 v23, vcc_lo, v31, v3, vcc_lo
	v_add_co_u32 v24, vcc_lo, v30, v8
	global_store_b128 v[0:1], v[4:7], off
	v_add_co_ci_u32_e32 v25, vcc_lo, v31, v9, vcc_lo
	ds_load_b128 v[0:3], v16 offset:256
	ds_load_b128 v[4:7], v16 offset:384
	v_lshlrev_b64 v[26:27], 1, v[10:11]
	ds_load_b128 v[8:11], v16 offset:512
	ds_load_b128 v[12:15], v16 offset:640
	;; [unrolled: 1-line block ×3, first 2 shown]
	v_add_nc_u32_e32 v28, s2, v20
	v_ashrrev_i32_e32 v21, 31, v20
	v_add_co_u32 v26, vcc_lo, v30, v26
	s_delay_alu instid0(VALU_DEP_3) | instskip(NEXT) | instid1(VALU_DEP_3)
	v_ashrrev_i32_e32 v29, 31, v28
	v_lshlrev_b64 v[20:21], 1, v[20:21]
	v_add_co_ci_u32_e32 v27, vcc_lo, v31, v27, vcc_lo
	s_delay_alu instid0(VALU_DEP_3) | instskip(NEXT) | instid1(VALU_DEP_3)
	v_lshlrev_b64 v[28:29], 1, v[28:29]
	v_add_co_u32 v20, vcc_lo, v30, v20
	s_delay_alu instid0(VALU_DEP_4) | instskip(NEXT) | instid1(VALU_DEP_3)
	v_add_co_ci_u32_e32 v21, vcc_lo, v31, v21, vcc_lo
	v_add_co_u32 v28, vcc_lo, v30, v28
	s_delay_alu instid0(VALU_DEP_4)
	v_add_co_ci_u32_e32 v29, vcc_lo, v31, v29, vcc_lo
	s_waitcnt lgkmcnt(4)
	global_store_b128 v[22:23], v[0:3], off
	s_waitcnt lgkmcnt(3)
	global_store_b128 v[24:25], v[4:7], off
	;; [unrolled: 2-line block ×5, first 2 shown]
	s_nop 0
	s_sendmsg sendmsg(MSG_DEALLOC_VGPRS)
	s_endpgm
	.section	.rodata,"a",@progbits
	.p2align	6, 0x0
	.amdhsa_kernel _Z39paged_attention_ll4mi_QKV_mfma16_kernelIDF16_hLN4vllm18Fp8KVCacheDataTypeE1EhLi32ELi64ELi256ELb0ELi14EL8MFMAType0EEvPKT_PKT0_S8_ifPKiSA_SA_iPKfiiiPfSD_PS3_PT2_iSC_SC_
		.amdhsa_group_segment_fixed_size 17472
		.amdhsa_private_segment_fixed_size 0
		.amdhsa_kernarg_size 400
		.amdhsa_user_sgpr_count 13
		.amdhsa_user_sgpr_dispatch_ptr 0
		.amdhsa_user_sgpr_queue_ptr 0
		.amdhsa_user_sgpr_kernarg_segment_ptr 1
		.amdhsa_user_sgpr_dispatch_id 0
		.amdhsa_user_sgpr_private_segment_size 0
		.amdhsa_wavefront_size32 1
		.amdhsa_uses_dynamic_stack 0
		.amdhsa_enable_private_segment 0
		.amdhsa_system_sgpr_workgroup_id_x 1
		.amdhsa_system_sgpr_workgroup_id_y 1
		.amdhsa_system_sgpr_workgroup_id_z 1
		.amdhsa_system_sgpr_workgroup_info 0
		.amdhsa_system_vgpr_workitem_id 0
		.amdhsa_next_free_vgpr 146
		.amdhsa_next_free_sgpr 38
		.amdhsa_reserve_vcc 1
		.amdhsa_float_round_mode_32 0
		.amdhsa_float_round_mode_16_64 0
		.amdhsa_float_denorm_mode_32 3
		.amdhsa_float_denorm_mode_16_64 3
		.amdhsa_dx10_clamp 1
		.amdhsa_ieee_mode 1
		.amdhsa_fp16_overflow 0
		.amdhsa_workgroup_processor_mode 1
		.amdhsa_memory_ordered 1
		.amdhsa_forward_progress 0
		.amdhsa_shared_vgpr_count 0
		.amdhsa_exception_fp_ieee_invalid_op 0
		.amdhsa_exception_fp_denorm_src 0
		.amdhsa_exception_fp_ieee_div_zero 0
		.amdhsa_exception_fp_ieee_overflow 0
		.amdhsa_exception_fp_ieee_underflow 0
		.amdhsa_exception_fp_ieee_inexact 0
		.amdhsa_exception_int_div_zero 0
	.end_amdhsa_kernel
	.section	.text._Z39paged_attention_ll4mi_QKV_mfma16_kernelIDF16_hLN4vllm18Fp8KVCacheDataTypeE1EhLi32ELi64ELi256ELb0ELi14EL8MFMAType0EEvPKT_PKT0_S8_ifPKiSA_SA_iPKfiiiPfSD_PS3_PT2_iSC_SC_,"axG",@progbits,_Z39paged_attention_ll4mi_QKV_mfma16_kernelIDF16_hLN4vllm18Fp8KVCacheDataTypeE1EhLi32ELi64ELi256ELb0ELi14EL8MFMAType0EEvPKT_PKT0_S8_ifPKiSA_SA_iPKfiiiPfSD_PS3_PT2_iSC_SC_,comdat
.Lfunc_end1179:
	.size	_Z39paged_attention_ll4mi_QKV_mfma16_kernelIDF16_hLN4vllm18Fp8KVCacheDataTypeE1EhLi32ELi64ELi256ELb0ELi14EL8MFMAType0EEvPKT_PKT0_S8_ifPKiSA_SA_iPKfiiiPfSD_PS3_PT2_iSC_SC_, .Lfunc_end1179-_Z39paged_attention_ll4mi_QKV_mfma16_kernelIDF16_hLN4vllm18Fp8KVCacheDataTypeE1EhLi32ELi64ELi256ELb0ELi14EL8MFMAType0EEvPKT_PKT0_S8_ifPKiSA_SA_iPKfiiiPfSD_PS3_PT2_iSC_SC_
                                        ; -- End function
	.section	.AMDGPU.csdata,"",@progbits
; Kernel info:
; codeLenInByte = 6648
; NumSgprs: 40
; NumVgprs: 146
; ScratchSize: 0
; MemoryBound: 0
; FloatMode: 240
; IeeeMode: 1
; LDSByteSize: 17472 bytes/workgroup (compile time only)
; SGPRBlocks: 4
; VGPRBlocks: 18
; NumSGPRsForWavesPerEU: 40
; NumVGPRsForWavesPerEU: 146
; Occupancy: 9
; WaveLimiterHint : 1
; COMPUTE_PGM_RSRC2:SCRATCH_EN: 0
; COMPUTE_PGM_RSRC2:USER_SGPR: 13
; COMPUTE_PGM_RSRC2:TRAP_HANDLER: 0
; COMPUTE_PGM_RSRC2:TGID_X_EN: 1
; COMPUTE_PGM_RSRC2:TGID_Y_EN: 1
; COMPUTE_PGM_RSRC2:TGID_Z_EN: 1
; COMPUTE_PGM_RSRC2:TIDIG_COMP_CNT: 0
	.section	.text._Z39paged_attention_ll4mi_QKV_mfma16_kernelIDF16_hLN4vllm18Fp8KVCacheDataTypeE1EhLi32ELi64ELi256ELb0ELi15EL8MFMAType0EEvPKT_PKT0_S8_ifPKiSA_SA_iPKfiiiPfSD_PS3_PT2_iSC_SC_,"axG",@progbits,_Z39paged_attention_ll4mi_QKV_mfma16_kernelIDF16_hLN4vllm18Fp8KVCacheDataTypeE1EhLi32ELi64ELi256ELb0ELi15EL8MFMAType0EEvPKT_PKT0_S8_ifPKiSA_SA_iPKfiiiPfSD_PS3_PT2_iSC_SC_,comdat
	.protected	_Z39paged_attention_ll4mi_QKV_mfma16_kernelIDF16_hLN4vllm18Fp8KVCacheDataTypeE1EhLi32ELi64ELi256ELb0ELi15EL8MFMAType0EEvPKT_PKT0_S8_ifPKiSA_SA_iPKfiiiPfSD_PS3_PT2_iSC_SC_ ; -- Begin function _Z39paged_attention_ll4mi_QKV_mfma16_kernelIDF16_hLN4vllm18Fp8KVCacheDataTypeE1EhLi32ELi64ELi256ELb0ELi15EL8MFMAType0EEvPKT_PKT0_S8_ifPKiSA_SA_iPKfiiiPfSD_PS3_PT2_iSC_SC_
	.globl	_Z39paged_attention_ll4mi_QKV_mfma16_kernelIDF16_hLN4vllm18Fp8KVCacheDataTypeE1EhLi32ELi64ELi256ELb0ELi15EL8MFMAType0EEvPKT_PKT0_S8_ifPKiSA_SA_iPKfiiiPfSD_PS3_PT2_iSC_SC_
	.p2align	8
	.type	_Z39paged_attention_ll4mi_QKV_mfma16_kernelIDF16_hLN4vllm18Fp8KVCacheDataTypeE1EhLi32ELi64ELi256ELb0ELi15EL8MFMAType0EEvPKT_PKT0_S8_ifPKiSA_SA_iPKfiiiPfSD_PS3_PT2_iSC_SC_,@function
_Z39paged_attention_ll4mi_QKV_mfma16_kernelIDF16_hLN4vllm18Fp8KVCacheDataTypeE1EhLi32ELi64ELi256ELb0ELi15EL8MFMAType0EEvPKT_PKT0_S8_ifPKiSA_SA_iPKfiiiPfSD_PS3_PT2_iSC_SC_: ; @_Z39paged_attention_ll4mi_QKV_mfma16_kernelIDF16_hLN4vllm18Fp8KVCacheDataTypeE1EhLi32ELi64ELi256ELb0ELi15EL8MFMAType0EEvPKT_PKT0_S8_ifPKiSA_SA_iPKfiiiPfSD_PS3_PT2_iSC_SC_
; %bb.0:
	s_load_b64 s[2:3], s[0:1], 0x30
	s_mov_b32 s34, s13
	s_waitcnt lgkmcnt(0)
	s_cmp_lg_u64 s[2:3], 0
	s_cselect_b32 s6, -1, 0
	s_ashr_i32 s35, s13, 31
	s_cmp_eq_u64 s[2:3], 0
	s_cbranch_scc1 .LBB1180_3
; %bb.1:
	s_lshl_b64 s[4:5], s[34:35], 2
	s_delay_alu instid0(SALU_CYCLE_1) | instskip(SKIP_4) | instid1(SALU_CYCLE_1)
	s_add_u32 s4, s2, s4
	s_addc_u32 s5, s3, s5
	s_load_b64 s[4:5], s[4:5], 0x0
	s_waitcnt lgkmcnt(0)
	s_sub_i32 s4, s5, s4
	s_cmp_eq_u32 s4, 1
	s_cselect_b32 s4, -1, 0
	s_delay_alu instid0(SALU_CYCLE_1)
	s_and_not1_b32 vcc_lo, exec_lo, s4
	s_cbranch_vccz .LBB1180_4
.LBB1180_2:
	s_nop 0
	s_sendmsg sendmsg(MSG_DEALLOC_VGPRS)
	s_endpgm
.LBB1180_3:
.LBB1180_4:
	s_load_b64 s[8:9], s[0:1], 0x28
	s_lshl_b64 s[4:5], s[34:35], 2
	s_waitcnt lgkmcnt(0)
	s_add_u32 s8, s8, s4
	s_addc_u32 s9, s9, s5
	s_lshl_b32 s16, s14, 8
	s_load_b32 s18, s[8:9], 0x0
	s_waitcnt lgkmcnt(0)
	s_cmp_ge_i32 s16, s18
	s_cbranch_scc1 .LBB1180_2
; %bb.5:
	s_clause 0x1
	s_load_b128 s[8:11], s[0:1], 0x8
	s_load_b64 s[12:13], s[0:1], 0x20
	s_and_not1_b32 vcc_lo, exec_lo, s6
	s_cbranch_vccnz .LBB1180_7
; %bb.6:
	s_add_u32 s2, s2, s4
	s_addc_u32 s3, s3, s5
	s_load_b32 s3, s[2:3], 0x0
	s_branch .LBB1180_8
.LBB1180_7:
	s_mov_b32 s3, s34
.LBB1180_8:
	s_load_b128 s[4:7], s[0:1], 0x48
	v_lshrrev_b32_e32 v69, 5, v0
	v_bfe_u32 v66, v0, 4, 1
	v_and_b32_e32 v68, 15, v0
	v_and_b32_e32 v70, 31, v0
	;; [unrolled: 1-line block ×3, first 2 shown]
	s_mul_i32 s33, s15, 15
	v_lshl_or_b32 v1, v69, 1, v66
	v_lshlrev_b32_e32 v2, 3, v68
	v_cmp_gt_u32_e64 s2, 8, v68
	s_delay_alu instid0(VALU_DEP_3) | instskip(NEXT) | instid1(VALU_DEP_3)
	v_cmp_gt_u32_e32 vcc_lo, 15, v1
	v_lshlrev_b32_e32 v65, 1, v2
	s_delay_alu instid0(VALU_DEP_3)
	s_and_b32 s17, s2, vcc_lo
	s_waitcnt lgkmcnt(0)
	s_and_saveexec_b32 s7, s17
	s_cbranch_execz .LBB1180_10
; %bb.9:
	s_load_b64 s[20:21], s[0:1], 0x0
	v_add_lshl_u32 v2, v1, s33, 6
	s_mul_hi_i32 s23, s3, s4
	s_mul_i32 s22, s3, s4
	v_lshlrev_b32_e32 v6, 10, v68
	s_lshl_b64 s[22:23], s[22:23], 1
	v_ashrrev_i32_e32 v3, 31, v2
	v_lshlrev_b32_e32 v1, 6, v1
	v_lshlrev_b32_e32 v7, 10, v67
	v_and_b32_e32 v6, 0x3800, v6
	s_delay_alu instid0(VALU_DEP_4) | instskip(NEXT) | instid1(VALU_DEP_2)
	v_lshlrev_b64 v[2:3], 1, v[2:3]
	v_or3_b32 v1, v6, v7, v1
	s_waitcnt lgkmcnt(0)
	s_add_u32 s3, s20, s22
	s_addc_u32 s4, s21, s23
	s_delay_alu instid0(VALU_DEP_2) | instskip(SKIP_1) | instid1(VALU_DEP_2)
	v_add_co_u32 v2, vcc_lo, s3, v2
	v_add_co_ci_u32_e32 v3, vcc_lo, s4, v3, vcc_lo
	v_add_co_u32 v2, vcc_lo, v2, v65
	s_delay_alu instid0(VALU_DEP_2)
	v_add_co_ci_u32_e32 v3, vcc_lo, 0, v3, vcc_lo
	global_load_b128 v[2:5], v[2:3], off
	s_waitcnt vmcnt(0)
	ds_store_b128 v1, v[2:5]
.LBB1180_10:
	s_or_b32 exec_lo, exec_lo, s7
	v_and_b32_e32 v1, 0xef, v0
	s_add_i32 s3, s18, 31
	s_clause 0x1
	s_load_b32 s4, s[0:1], 0x38
	s_load_b32 s35, s[0:1], 0x98
	s_ashr_i32 s7, s3, 31
	v_add_nc_u32_e32 v1, s16, v1
	s_lshr_b32 s7, s7, 27
	s_load_b32 s19, s[0:1], 0x1c
	s_add_i32 s3, s3, s7
	s_waitcnt lgkmcnt(0)
	v_ashrrev_i32_e32 v2, 31, v1
	v_or_b32_e32 v3, 16, v1
	s_ashr_i32 s3, s3, 5
	v_cmp_gt_i32_e32 vcc_lo, s18, v1
	s_add_i32 s3, s3, -1
	v_lshrrev_b32_e32 v2, 27, v2
	s_barrier
	buffer_gl0_inv
	s_mul_i32 s15, s15, s6
	v_mbcnt_lo_u32_b32 v127, -1, 0
	v_add_nc_u32_e32 v4, v1, v2
	s_mul_i32 s20, s34, s4
	s_delay_alu instid0(SALU_CYCLE_1) | instskip(NEXT) | instid1(VALU_DEP_1)
	s_ashr_i32 s21, s20, 31
	v_ashrrev_i32_e32 v4, 5, v4
	v_add_nc_u32_e32 v2, v3, v2
	s_lshl_b64 s[20:21], s[20:21], 2
	v_xor_b32_e32 v128, 16, v127
	s_add_u32 s17, s12, s20
	v_cndmask_b32_e32 v1, s3, v4, vcc_lo
	v_ashrrev_i32_e32 v2, 5, v2
	v_cmp_gt_i32_e32 vcc_lo, s18, v3
	s_addc_u32 s13, s13, s21
	s_ashr_i32 s20, s15, 31
	s_add_u32 s22, s8, s15
	s_addc_u32 s23, s9, s20
	v_cndmask_b32_e32 v3, s3, v2, vcc_lo
	v_ashrrev_i32_e32 v2, 31, v1
	s_lshl_b32 s6, s14, 3
	s_delay_alu instid0(SALU_CYCLE_1) | instskip(NEXT) | instid1(VALU_DEP_2)
	s_ashr_i32 s7, s6, 31
	v_ashrrev_i32_e32 v4, 31, v3
	s_delay_alu instid0(VALU_DEP_2) | instskip(SKIP_1) | instid1(SALU_CYCLE_1)
	v_lshlrev_b64 v[1:2], 2, v[1:2]
	s_lshl_b64 s[6:7], s[6:7], 2
	s_add_u32 s6, s17, s6
	s_delay_alu instid0(VALU_DEP_2) | instskip(SKIP_1) | instid1(VALU_DEP_2)
	v_lshlrev_b64 v[3:4], 2, v[3:4]
	s_addc_u32 s7, s13, s7
	v_add_co_u32 v1, vcc_lo, s17, v1
	v_add_co_ci_u32_e32 v2, vcc_lo, s13, v2, vcc_lo
	s_delay_alu instid0(VALU_DEP_3) | instskip(NEXT) | instid1(VALU_DEP_4)
	v_add_co_u32 v3, vcc_lo, s17, v3
	v_add_co_ci_u32_e32 v4, vcc_lo, s13, v4, vcc_lo
	s_clause 0x1
	global_load_b32 v5, v[1:2], off
	global_load_b32 v6, v[3:4], off
	s_or_b32 s4, s16, 32
	s_delay_alu instid0(SALU_CYCLE_1) | instskip(SKIP_2) | instid1(SALU_CYCLE_1)
	s_ashr_i32 s8, s4, 5
	s_cmp_lt_i32 s4, s18
	s_cselect_b32 s8, s8, s3
	s_ashr_i32 s9, s8, 31
	s_delay_alu instid0(SALU_CYCLE_1) | instskip(NEXT) | instid1(SALU_CYCLE_1)
	s_lshl_b64 s[8:9], s[8:9], 2
	s_add_u32 s8, s17, s8
	s_addc_u32 s9, s13, s9
	s_or_b32 s4, s16, 64
	s_delay_alu instid0(SALU_CYCLE_1) | instskip(SKIP_2) | instid1(SALU_CYCLE_1)
	s_ashr_i32 s12, s4, 5
	s_cmp_lt_i32 s4, s18
	s_cselect_b32 s24, s12, s3
	s_ashr_i32 s25, s24, 31
	s_delay_alu instid0(SALU_CYCLE_1) | instskip(NEXT) | instid1(SALU_CYCLE_1)
	s_lshl_b64 s[24:25], s[24:25], 2
	s_add_u32 s24, s17, s24
	s_addc_u32 s25, s13, s25
	;; [unrolled: 10-line block ×5, first 2 shown]
	s_clause 0x5
	s_load_b32 s12, s[6:7], 0x0
	s_load_b32 s4, s[8:9], 0x0
	;; [unrolled: 1-line block ×6, first 2 shown]
	s_or_b32 s21, s16, 0xc0
	s_waitcnt vmcnt(1)
	v_mad_i64_i32 v[1:2], null, v5, s5, s[22:23]
	v_lshlrev_b32_e32 v5, 4, v68
	s_waitcnt vmcnt(0)
	v_mad_i64_i32 v[3:4], null, v6, s5, s[22:23]
	s_ashr_i32 s22, s21, 5
	s_cmp_lt_i32 s21, s18
	s_delay_alu instid0(VALU_DEP_3) | instskip(NEXT) | instid1(VALU_DEP_4)
	v_add_co_u32 v1, vcc_lo, v1, v5
	v_add_co_ci_u32_e32 v2, vcc_lo, 0, v2, vcc_lo
	s_delay_alu instid0(VALU_DEP_3) | instskip(NEXT) | instid1(VALU_DEP_4)
	v_add_co_u32 v3, vcc_lo, v3, v5
	v_add_co_ci_u32_e32 v4, vcc_lo, 0, v4, vcc_lo
	s_clause 0x7
	global_load_b128 v[71:74], v[1:2], off
	global_load_b128 v[75:78], v[1:2], off offset:512
	global_load_b128 v[79:82], v[3:4], off offset:256
	;; [unrolled: 1-line block ×7, first 2 shown]
	s_cselect_b32 s22, s22, s3
	v_lshlrev_b32_e32 v1, 5, v68
	s_ashr_i32 s23, s22, 31
	v_cmp_ne_u32_e32 vcc_lo, 15, v68
	s_lshl_b64 s[22:23], s[22:23], 2
	s_delay_alu instid0(SALU_CYCLE_1)
	s_add_u32 s22, s17, s22
	s_addc_u32 s23, s13, s23
	s_or_b32 s21, s16, 0xe0
	v_lshl_or_b32 v1, v69, 9, v1
	s_ashr_i32 s24, s21, 5
	s_cmp_lt_i32 s21, s18
	v_cndmask_b32_e32 v103, 0, v68, vcc_lo
	s_cselect_b32 s24, s24, s3
	s_load_b32 s3, s[22:23], 0x0
	s_ashr_i32 s25, s24, 31
	v_cmp_gt_i32_e32 vcc_lo, 32, v128
	s_lshl_b64 s[24:25], s[24:25], 2
	v_lshlrev_b32_e32 v115, 6, v103
	s_add_u32 s22, s17, s24
	s_addc_u32 s23, s13, s25
	v_cndmask_b32_e32 v136, v127, v128, vcc_lo
	s_add_u32 s10, s10, s15
	s_addc_u32 s11, s11, s20
	v_add_co_u32 v1, s10, s10, v1
	s_delay_alu instid0(VALU_DEP_1) | instskip(SKIP_2) | instid1(VALU_DEP_1)
	v_add_co_ci_u32_e64 v2, null, s11, 0, s10
	s_load_b32 s10, s[22:23], 0x0
	s_waitcnt lgkmcnt(0)
	v_mad_i64_i32 v[3:4], null, s12, s5, v[1:2]
	v_mad_i64_i32 v[9:10], null, s7, s5, v[1:2]
	;; [unrolled: 1-line block ×7, first 2 shown]
	s_clause 0x5
	global_load_b128 v[49:52], v[3:4], off
	global_load_b128 v[53:56], v[3:4], off offset:16
	global_load_b128 v[41:44], v[5:6], off
	global_load_b128 v[45:48], v[5:6], off offset:16
	global_load_b128 v[33:36], v[7:8], off
	global_load_b128 v[37:40], v[7:8], off offset:16
	s_mov_b32 s4, 0
	v_mad_i64_i32 v[61:62], null, s10, s5, v[1:2]
	s_clause 0x9
	global_load_b128 v[1:4], v[9:10], off
	global_load_b128 v[5:8], v[9:10], off offset:16
	global_load_b128 v[9:12], v[13:14], off
	global_load_b128 v[13:16], v[13:14], off offset:16
	;; [unrolled: 2-line block ×5, first 2 shown]
	s_mov_b32 s5, s4
	s_mov_b32 s6, s4
	;; [unrolled: 1-line block ×7, first 2 shown]
	v_and_b32_e32 v104, 0xe0, v0
	v_dual_mov_b32 v126, s11 :: v_dual_mov_b32 v125, s10
	v_dual_mov_b32 v124, s9 :: v_dual_mov_b32 v123, s8
	s_delay_alu instid0(VALU_DEP_3)
	v_add_nc_u32_e32 v111, s16, v104
	ds_load_b128 v[103:106], v115
	ds_load_b128 v[107:110], v115 offset:1024
	v_dual_mov_b32 v122, s7 :: v_dual_mov_b32 v121, s6
	v_mov_b32_e32 v120, s5
	v_or_b32_e32 v135, v111, v66
	ds_load_b128 v[111:114], v115 offset:2048
	ds_load_b128 v[115:118], v115 offset:3072
	v_mov_b32_e32 v119, s4
	s_waitcnt vmcnt(0) lgkmcnt(0)
	s_barrier
	v_or_b32_e32 v137, 2, v135
	v_or_b32_e32 v138, 4, v135
	;; [unrolled: 1-line block ×3, first 2 shown]
	v_cmp_gt_i32_e32 vcc_lo, s18, v135
	v_or_b32_e32 v140, 8, v135
	v_cmp_gt_i32_e64 s3, s18, v137
	v_or_b32_e32 v141, 10, v135
	v_cmp_gt_i32_e64 s4, s18, v138
	v_cmp_gt_i32_e64 s5, s18, v139
	v_or_b32_e32 v142, 12, v135
	v_or_b32_e32 v143, 14, v135
	v_cmp_gt_i32_e64 s6, s18, v140
	v_cmp_gt_i32_e64 s7, s18, v141
	v_or_b32_e32 v144, 16, v135
	v_or_b32_e32 v145, 18, v135
	v_cmp_gt_i32_e64 s8, s18, v142
	v_cmp_gt_i32_e64 s9, s18, v143
	buffer_gl0_inv
	v_cmp_gt_i32_e64 s10, s18, v144
	v_cmp_gt_i32_e64 s11, s18, v145
	v_wmma_f32_16x16x16_f16 v[127:134], v[71:78], v[103:110], v[119:126]
	v_wmma_f32_16x16x16_f16 v[119:126], v[79:86], v[103:110], v[119:126]
	v_or_b32_e32 v71, 20, v135
	v_or_b32_e32 v72, 22, v135
	s_delay_alu instid0(VALU_DEP_4)
	v_wmma_f32_16x16x16_f16 v[127:134], v[87:94], v[111:118], v[127:134]
	v_or_b32_e32 v73, 24, v135
	v_wmma_f32_16x16x16_f16 v[119:126], v[95:102], v[111:118], v[119:126]
	v_or_b32_e32 v74, 26, v135
	v_cmp_gt_i32_e64 s12, s18, v71
	v_dual_mul_f32 v84, s19, v127 :: v_dual_mul_f32 v83, s19, v128
	s_delay_alu instid0(VALU_DEP_4) | instskip(SKIP_2) | instid1(VALU_DEP_4)
	v_dual_mul_f32 v92, s19, v119 :: v_dual_mul_f32 v81, s19, v130
	v_mul_f32_e32 v90, s19, v121
	v_mul_f32_e32 v82, s19, v129
	v_cndmask_b32_e32 v84, 0xff7fffff, v84, vcc_lo
	v_cndmask_b32_e64 v83, 0xff7fffff, v83, s3
	v_dual_mul_f32 v79, s19, v132 :: v_dual_mul_f32 v88, s19, v123
	v_mul_f32_e32 v80, s19, v131
	v_cndmask_b32_e64 v82, 0xff7fffff, v82, s4
	v_cndmask_b32_e64 v81, 0xff7fffff, v81, s5
	v_max3_f32 v83, v84, 0xff7fffff, v83
	v_dual_mul_f32 v77, s19, v134 :: v_dual_mul_f32 v86, s19, v125
	v_mul_f32_e32 v78, s19, v133
	v_cndmask_b32_e64 v80, 0xff7fffff, v80, s6
	v_cndmask_b32_e64 v79, 0xff7fffff, v79, s7
	v_max3_f32 v81, v83, v82, v81
	v_mul_f32_e32 v91, s19, v120
	v_cndmask_b32_e64 v78, 0xff7fffff, v78, s8
	v_cndmask_b32_e64 v77, 0xff7fffff, v77, s9
	v_mul_f32_e32 v89, s19, v122
	v_max3_f32 v79, v81, v80, v79
	v_cndmask_b32_e64 v80, 0xff7fffff, v92, s10
	v_cndmask_b32_e64 v81, 0xff7fffff, v91, s11
	v_cmp_gt_i32_e64 s13, s18, v72
	v_or_b32_e32 v75, 28, v135
	v_max3_f32 v77, v79, v78, v77
	v_or_b32_e32 v76, 30, v135
	v_mul_f32_e32 v87, s19, v124
	v_cndmask_b32_e64 v71, 0xff7fffff, v90, s12
	v_cndmask_b32_e64 v72, 0xff7fffff, v89, s13
	v_max3_f32 v77, v77, v80, v81
	v_cmp_gt_i32_e64 s15, s18, v73
	v_cmp_gt_i32_e64 s16, s18, v74
	v_mul_f32_e32 v85, s19, v126
	v_cmp_gt_i32_e64 s17, s18, v75
	v_max3_f32 v71, v77, v71, v72
	v_cndmask_b32_e64 v73, 0xff7fffff, v88, s15
	v_cndmask_b32_e64 v74, 0xff7fffff, v87, s16
	v_cmp_gt_i32_e64 s18, s18, v76
	v_cndmask_b32_e64 v72, 0xff7fffff, v86, s17
	s_delay_alu instid0(VALU_DEP_3) | instskip(NEXT) | instid1(VALU_DEP_3)
	v_max3_f32 v71, v71, v73, v74
	v_cndmask_b32_e64 v75, 0xff7fffff, v85, s18
	v_lshlrev_b32_e32 v73, 2, v136
	s_delay_alu instid0(VALU_DEP_2) | instskip(SKIP_3) | instid1(VALU_DEP_1)
	v_max3_f32 v71, v71, v72, v75
	ds_bpermute_b32 v72, v73, v71
	s_waitcnt lgkmcnt(0)
	v_max_f32_e32 v72, v72, v72
	v_max_f32_e32 v71, v71, v72
	s_delay_alu instid0(VALU_DEP_1) | instskip(SKIP_2) | instid1(VALU_DEP_3)
	v_fma_f32 v72, s19, v127, -v71
	v_fma_f32 v74, s19, v128, -v71
	;; [unrolled: 1-line block ×3, first 2 shown]
	v_mul_f32_e32 v72, 0x3fb8aa3b, v72
	s_delay_alu instid0(VALU_DEP_2) | instskip(NEXT) | instid1(VALU_DEP_2)
	v_dual_mul_f32 v74, 0x3fb8aa3b, v74 :: v_dual_mul_f32 v75, 0x3fb8aa3b, v75
	v_exp_f32_e32 v72, v72
	s_delay_alu instid0(VALU_DEP_1) | instskip(NEXT) | instid1(VALU_DEP_1)
	v_exp_f32_e32 v74, v74
	v_exp_f32_e32 v75, v75
	s_delay_alu instid0(TRANS32_DEP_3)
	v_cndmask_b32_e32 v79, 0, v72, vcc_lo
	s_waitcnt_depctr 0xfff
	v_cndmask_b32_e64 v78, 0, v74, s3
	v_cndmask_b32_e64 v81, 0, v75, s4
	v_cmp_gt_u32_e64 s3, 16, v70
	v_add_f32_e32 v74, 0, v79
	s_delay_alu instid0(VALU_DEP_1) | instskip(NEXT) | instid1(VALU_DEP_1)
	v_add_f32_e32 v74, v74, v78
	v_add_f32_e32 v74, v74, v81
	v_fma_f32 v76, s19, v130, -v71
	v_fma_f32 v77, s19, v131, -v71
	;; [unrolled: 1-line block ×5, first 2 shown]
	s_delay_alu instid0(VALU_DEP_4) | instskip(NEXT) | instid1(VALU_DEP_4)
	v_dual_mul_f32 v76, 0x3fb8aa3b, v76 :: v_dual_mul_f32 v77, 0x3fb8aa3b, v77
	v_mul_f32_e32 v72, 0x3fb8aa3b, v72
	s_delay_alu instid0(VALU_DEP_4) | instskip(SKIP_1) | instid1(VALU_DEP_4)
	v_mul_f32_e32 v82, 0x3fb8aa3b, v80
	v_fma_f32 v86, s19, v122, -v71
	v_exp_f32_e32 v76, v76
	v_exp_f32_e32 v77, v77
	;; [unrolled: 1-line block ×4, first 2 shown]
	v_mul_f32_e32 v86, 0x3fb8aa3b, v86
	s_delay_alu instid0(VALU_DEP_1)
	v_exp_f32_e32 v88, v86
	v_cndmask_b32_e64 v80, 0, v76, s5
	v_mul_f32_e32 v75, 0x3fb8aa3b, v75
	v_fma_f32 v76, s19, v119, -v71
	v_cndmask_b32_e64 v83, 0, v77, s6
	v_fma_f32 v77, s19, v120, -v71
	v_add_f32_e32 v74, v74, v80
	v_exp_f32_e32 v75, v75
	v_mul_f32_e32 v76, 0x3fb8aa3b, v76
	v_cndmask_b32_e64 v82, 0, v72, s7
	s_delay_alu instid0(VALU_DEP_3) | instskip(SKIP_1) | instid1(VALU_DEP_4)
	v_dual_mul_f32 v77, 0x3fb8aa3b, v77 :: v_dual_add_f32 v72, v74, v83
	v_fma_f32 v74, s19, v121, -v71
	v_exp_f32_e32 v76, v76
	v_cndmask_b32_e64 v85, 0, v84, s8
	s_delay_alu instid0(VALU_DEP_3) | instskip(SKIP_1) | instid1(TRANS32_DEP_3)
	v_exp_f32_e32 v77, v77
	v_cndmask_b32_e64 v88, 0, v88, s13
	v_cndmask_b32_e64 v84, 0, v75, s9
	v_fma_f32 v75, s19, v123, -v71
	v_add_f32_e32 v72, v72, v82
	s_delay_alu instid0(VALU_DEP_2) | instskip(NEXT) | instid1(VALU_DEP_2)
	v_dual_mul_f32 v74, 0x3fb8aa3b, v74 :: v_dual_mul_f32 v75, 0x3fb8aa3b, v75
	v_add_f32_e32 v72, v72, v85
	s_delay_alu instid0(VALU_DEP_2)
	v_exp_f32_e32 v74, v74
	v_cndmask_b32_e64 v87, 0, v76, s10
	v_fma_f32 v76, s19, v124, -v71
	v_cndmask_b32_e64 v86, 0, v77, s11
	v_add_f32_e32 v72, v72, v84
	v_fma_f32 v77, s19, v125, -v71
	v_exp_f32_e32 v75, v75
	v_mul_f32_e32 v76, 0x3fb8aa3b, v76
	s_delay_alu instid0(VALU_DEP_3) | instskip(NEXT) | instid1(TRANS32_DEP_2)
	v_add_f32_e32 v72, v72, v87
	v_cndmask_b32_e64 v89, 0, v74, s12
	v_mul_f32_e32 v74, 0x3fb8aa3b, v77
	s_delay_alu instid0(VALU_DEP_4) | instskip(SKIP_2) | instid1(VALU_DEP_3)
	v_exp_f32_e32 v76, v76
	v_fma_f32 v77, s19, v126, -v71
	v_add_f32_e32 v72, v72, v86
	v_exp_f32_e32 v74, v74
	s_delay_alu instid0(TRANS32_DEP_3) | instskip(NEXT) | instid1(VALU_DEP_3)
	v_cndmask_b32_e64 v91, 0, v75, s15
	v_mul_f32_e32 v75, 0x3fb8aa3b, v77
	s_delay_alu instid0(VALU_DEP_3) | instskip(NEXT) | instid1(TRANS32_DEP_2)
	v_add_f32_e32 v72, v72, v89
	v_cndmask_b32_e64 v90, 0, v76, s16
	s_delay_alu instid0(VALU_DEP_3) | instskip(NEXT) | instid1(VALU_DEP_2)
	v_exp_f32_e32 v75, v75
	v_add_f32_e32 v72, v72, v88
	s_delay_alu instid0(TRANS32_DEP_2) | instskip(NEXT) | instid1(VALU_DEP_2)
	v_cndmask_b32_e64 v93, 0, v74, s17
	v_add_f32_e32 v72, v72, v91
	s_waitcnt_depctr 0xfff
	v_cndmask_b32_e64 v92, 0, v75, s18
	v_add_f32_e32 v72, v72, v90
	s_delay_alu instid0(VALU_DEP_1) | instskip(NEXT) | instid1(VALU_DEP_1)
	v_add_f32_e32 v72, v72, v93
	v_add_f32_e32 v72, v72, v92
	ds_bpermute_b32 v73, v73, v72
	s_and_saveexec_b32 s4, s3
	s_cbranch_execz .LBB1180_12
; %bb.11:
	v_mul_u32_u24_e32 v70, 0x44, v69
	s_waitcnt lgkmcnt(0)
	v_add_f32_e32 v72, v72, v73
	s_delay_alu instid0(VALU_DEP_2) | instskip(NEXT) | instid1(VALU_DEP_1)
	v_lshl_add_u32 v70, v68, 2, v70
	v_add_nc_u32_e32 v70, 0x4000, v70
	ds_store_2addr_b32 v70, v71, v72 offset1:136
.LBB1180_12:
	s_or_b32 exec_lo, exec_lo, s4
	v_lshlrev_b32_e32 v70, 2, v68
	s_load_b32 s36, s[0:1], 0x94
	s_waitcnt lgkmcnt(0)
	s_barrier
	buffer_gl0_inv
	v_add_nc_u32_e32 v98, 0x4000, v70
	v_cmp_eq_u32_e32 vcc_lo, 1, v69
	v_cmp_eq_u32_e64 s4, 2, v69
	v_cmp_eq_u32_e64 s5, 3, v69
	;; [unrolled: 1-line block ×3, first 2 shown]
	ds_load_2addr_b32 v[70:71], v98 offset1:17
	ds_load_2addr_b32 v[72:73], v98 offset0:34 offset1:51
	ds_load_2addr_b32 v[74:75], v98 offset0:68 offset1:85
	;; [unrolled: 1-line block ×3, first 2 shown]
	v_cmp_eq_u32_e64 s7, 5, v69
	v_cmp_eq_u32_e64 s8, 7, v69
	s_waitcnt lgkmcnt(3)
	v_max3_f32 v76, v70, 0xff7fffff, v71
	s_waitcnt lgkmcnt(2)
	s_delay_alu instid0(VALU_DEP_1) | instskip(SKIP_1) | instid1(VALU_DEP_1)
	v_max3_f32 v76, v76, v72, v73
	s_waitcnt lgkmcnt(1)
	v_max3_f32 v76, v76, v74, v75
	s_waitcnt lgkmcnt(0)
	s_delay_alu instid0(VALU_DEP_1) | instskip(NEXT) | instid1(VALU_DEP_1)
	v_max3_f32 v76, v76, v94, v95
	v_sub_f32_e32 v77, v71, v76
	ds_load_2addr_b32 v[96:97], v98 offset0:136 offset1:153
	v_sub_f32_e32 v74, v74, v76
	v_sub_f32_e32 v70, v70, v76
	;; [unrolled: 1-line block ×3, first 2 shown]
	v_dual_sub_f32 v72, v72, v76 :: v_dual_mul_f32 v77, 0x3fb8aa3b, v77
	s_delay_alu instid0(VALU_DEP_4) | instskip(NEXT) | instid1(VALU_DEP_4)
	v_mul_f32_e32 v103, 0x3fb8aa3b, v74
	v_mul_f32_e32 v99, 0x3fb8aa3b, v70
	ds_load_2addr_b32 v[70:71], v98 offset0:170 offset1:187
	v_dual_mul_f32 v101, 0x3fb8aa3b, v72 :: v_dual_mul_f32 v94, 0x3fb8aa3b, v94
	v_exp_f32_e32 v102, v77
	v_exp_f32_e32 v99, v99
	s_delay_alu instid0(VALU_DEP_1) | instskip(NEXT) | instid1(VALU_DEP_1)
	v_exp_f32_e32 v101, v101
	v_exp_f32_e32 v94, v94
	s_waitcnt lgkmcnt(1)
	s_delay_alu instid0(TRANS32_DEP_3)
	v_fma_f32 v77, v99, v96, 0
	v_sub_f32_e32 v100, v73, v76
	ds_load_2addr_b32 v[72:73], v98 offset0:204 offset1:221
	v_fmac_f32_e32 v77, v102, v97
	v_exp_f32_e32 v97, v103
	s_waitcnt lgkmcnt(1)
	s_delay_alu instid0(VALU_DEP_1)
	v_dual_fmac_f32 v77, v101, v70 :: v_dual_sub_f32 v96, v75, v76
	ds_load_2addr_b32 v[74:75], v98 offset0:238 offset1:255
	v_sub_f32_e32 v70, v95, v76
	s_waitcnt lgkmcnt(0)
	s_barrier
	v_mul_f32_e32 v96, 0x3fb8aa3b, v96
	buffer_gl0_inv
	v_exp_f32_e32 v95, v96
	v_mul_f32_e32 v100, 0x3fb8aa3b, v100
	s_delay_alu instid0(VALU_DEP_1) | instskip(SKIP_3) | instid1(VALU_DEP_2)
	v_exp_f32_e32 v100, v100
	s_waitcnt_depctr 0xfff
	v_dual_fmac_f32 v77, v100, v71 :: v_dual_mul_f32 v70, 0x3fb8aa3b, v70
	v_cndmask_b32_e32 v71, v99, v102, vcc_lo
	v_fmac_f32_e32 v77, v97, v72
	s_delay_alu instid0(VALU_DEP_3) | instskip(NEXT) | instid1(VALU_DEP_1)
	v_exp_f32_e32 v96, v70
	v_fmac_f32_e32 v77, v95, v73
	s_delay_alu instid0(VALU_DEP_1) | instskip(SKIP_2) | instid1(VALU_DEP_1)
	v_fmac_f32_e32 v77, v94, v74
	s_waitcnt_depctr 0xfff
	v_fmac_f32_e32 v77, v96, v75
	v_add_f32_e32 v74, 0x358637bd, v77
	s_delay_alu instid0(VALU_DEP_1) | instskip(SKIP_1) | instid1(VALU_DEP_2)
	v_div_scale_f32 v98, null, v74, v74, 1.0
	v_div_scale_f32 v99, vcc_lo, 1.0, v74, 1.0
	v_rcp_f32_e32 v103, v98
	s_waitcnt_depctr 0xfff
	v_fma_f32 v70, -v98, v103, 1.0
	s_delay_alu instid0(VALU_DEP_1) | instskip(SKIP_2) | instid1(VALU_DEP_2)
	v_fmac_f32_e32 v103, v70, v103
	v_cndmask_b32_e64 v70, v71, v101, s4
	v_cmp_eq_u32_e64 s4, 6, v69
	v_cndmask_b32_e64 v71, v70, v100, s5
	s_delay_alu instid0(VALU_DEP_4) | instskip(NEXT) | instid1(VALU_DEP_2)
	v_dual_mul_f32 v101, v99, v103 :: v_dual_lshlrev_b32 v70, 2, v66
	v_cndmask_b32_e64 v71, v71, v97, s6
	s_delay_alu instid0(VALU_DEP_2) | instskip(NEXT) | instid1(VALU_DEP_3)
	v_or_b32_e32 v72, 1, v70
	v_fma_f32 v100, -v98, v101, v99
	v_cmp_eq_u32_e64 s5, 1, v70
	v_cmp_eq_u32_e64 s6, 2, v70
	v_cndmask_b32_e64 v95, v71, v95, s7
	v_or_b32_e32 v71, 3, v70
	v_fmac_f32_e32 v101, v100, v103
	v_cmp_eq_u32_e64 s10, 1, v72
	v_cmp_eq_u32_e64 s13, 2, v72
	v_cndmask_b32_e64 v94, v95, v94, s4
	v_cmp_eq_u32_e64 s12, 1, v71
	v_fma_f32 v97, -v98, v101, v99
	v_cmp_eq_u32_e64 s17, 2, v71
	v_cmp_eq_u32_e64 s15, 3, v72
	v_cndmask_b32_e64 v94, v94, v96, s8
	v_cmp_eq_u32_e64 s19, 3, v71
	v_div_fmas_f32 v95, v97, v103, v101
	v_cmp_eq_u32_e32 vcc_lo, 3, v70
	v_cmp_eq_u32_e64 s4, 4, v70
	v_cmp_eq_u32_e64 s20, 4, v72
	;; [unrolled: 1-line block ×3, first 2 shown]
	v_div_fixup_f32 v95, v95, v74, 1.0
	v_lshlrev_b32_e32 v73, 6, v68
	v_cmp_eq_u32_e64 s7, 5, v70
	v_cmp_eq_u32_e64 s21, 5, v72
	;; [unrolled: 1-line block ×3, first 2 shown]
	v_mul_f32_e32 v102, v94, v95
	v_lshl_or_b32 v75, v69, 11, v73
	v_or_b32_e32 v69, 2, v70
	v_cmp_eq_u32_e64 s26, 6, v72
	v_cmp_eq_u32_e64 s28, 6, v71
	v_fma_mixlo_f16 v94, v102, v79, 0
	v_fma_mixlo_f16 v95, v102, v81, 0
	;; [unrolled: 1-line block ×8, first 2 shown]
	v_lshl_or_b32 v74, v66, 4, v75
	v_fma_mixhi_f16 v94, v102, v78, 0
	v_fma_mixhi_f16 v95, v102, v80, 0
	v_fma_mixhi_f16 v96, v102, v82, 0
	v_fma_mixhi_f16 v97, v102, v84, 0
	v_fma_mixhi_f16 v98, v102, v86, 0
	v_fma_mixhi_f16 v99, v102, v88, 0
	v_fma_mixhi_f16 v100, v102, v90, 0
	v_fma_mixhi_f16 v101, v102, v92, 0
	ds_store_b128 v74, v[94:97]
	ds_store_b128 v74, v[98:101] offset:1024
	s_waitcnt lgkmcnt(0)
	s_barrier
	buffer_gl0_inv
	ds_load_b128 v[78:81], v75
	ds_load_b128 v[82:85], v75 offset:16
	ds_load_b128 v[86:89], v75 offset:1024
	ds_load_b128 v[90:93], v75 offset:1040
	v_cmp_eq_u32_e64 s11, 1, v69
	v_cmp_eq_u32_e64 s16, 2, v69
	;; [unrolled: 1-line block ×11, first 2 shown]
	s_waitcnt lgkmcnt(3)
	v_lshrrev_b32_e32 v94, 16, v78
	s_waitcnt lgkmcnt(2)
	v_lshrrev_b32_e32 v98, 16, v82
	;; [unrolled: 2-line block ×4, first 2 shown]
	v_lshrrev_b32_e32 v95, 16, v79
	v_cndmask_b32_e64 v110, v78, v94, s5
	v_cndmask_b32_e64 v111, v82, v98, s5
	;; [unrolled: 1-line block ×8, first 2 shown]
	v_lshrrev_b32_e32 v99, 16, v83
	v_cndmask_b32_e64 v94, v86, v102, s5
	v_cndmask_b32_e64 v98, v90, v106, s5
	;; [unrolled: 1-line block ×15, first 2 shown]
	v_lshrrev_b32_e32 v103, 16, v87
	v_lshrrev_b32_e32 v107, 16, v91
	v_cndmask_b32_e64 v113, v115, v83, s16
	v_cndmask_b32_e64 v82, v94, v87, s6
	;; [unrolled: 1-line block ×7, first 2 shown]
	v_cndmask_b32_e32 v90, v102, v95, vcc_lo
	v_cndmask_b32_e32 v102, v106, v99, vcc_lo
	v_cndmask_b32_e64 v106, v110, v95, s15
	v_cndmask_b32_e64 v110, v111, v99, s15
	;; [unrolled: 1-line block ×4, first 2 shown]
	v_lshrrev_b32_e32 v96, 16, v80
	v_lshrrev_b32_e32 v100, 16, v84
	v_cndmask_b32_e64 v111, v112, v95, s18
	v_cndmask_b32_e64 v112, v113, v99, s18
	v_cndmask_b32_e32 v82, v82, v103, vcc_lo
	v_cndmask_b32_e32 v83, v83, v107, vcc_lo
	v_cndmask_b32_e64 v94, v94, v103, s15
	v_cndmask_b32_e64 v90, v90, v80, s4
	;; [unrolled: 1-line block ×7, first 2 shown]
	v_lshrrev_b32_e32 v104, 16, v88
	v_cndmask_b32_e64 v106, v111, v80, s22
	v_cndmask_b32_e64 v110, v112, v84, s22
	;; [unrolled: 1-line block ×11, first 2 shown]
	v_lshrrev_b32_e32 v97, 16, v81
	v_lshrrev_b32_e32 v101, 16, v85
	v_cndmask_b32_e64 v99, v106, v96, s24
	v_cndmask_b32_e64 v102, v110, v100, s24
	;; [unrolled: 1-line block ×7, first 2 shown]
	v_lshrrev_b32_e32 v105, 16, v89
	v_cndmask_b32_e64 v80, v80, v104, s7
	v_cndmask_b32_e64 v84, v84, v81, s8
	;; [unrolled: 1-line block ×16, first 2 shown]
	v_perm_b32 v81, v79, v78, 0x5040100
	v_perm_b32 v79, v95, v85, 0x5040100
	v_cndmask_b32_e64 v78, v119, v91, s16
	v_cndmask_b32_e64 v85, v117, v91, s13
	;; [unrolled: 1-line block ×3, first 2 shown]
	v_perm_b32 v80, v94, v90, 0x5040100
	v_cndmask_b32_e64 v90, v98, v103, s18
	v_cndmask_b32_e64 v86, v86, v103, s19
	;; [unrolled: 1-line block ×5, first 2 shown]
	v_lshrrev_b32_e32 v108, 16, v92
	v_cndmask_b32_e64 v90, v90, v88, s22
	v_cndmask_b32_e64 v86, v86, v88, s23
	;; [unrolled: 1-line block ×11, first 2 shown]
	v_lshrrev_b32_e32 v109, 16, v93
	v_cndmask_b32_e64 v82, v82, v93, s8
	v_cndmask_b32_e64 v88, v88, v89, s27
	;; [unrolled: 1-line block ×12, first 2 shown]
	v_perm_b32 v78, v84, v83, 0x5040100
	v_perm_b32 v85, v87, v86, 0x5040100
	;; [unrolled: 1-line block ×5, first 2 shown]
	s_mul_i32 s9, s35, 15
	s_mov_b32 s4, exec_lo
	ds_store_b128 v74, v[78:81]
	ds_store_b128 v74, v[82:85] offset:1024
	v_cmpx_gt_u32_e32 15, v0
	s_cbranch_execz .LBB1180_14
; %bb.13:
	s_mul_i32 s5, s9, s34
	s_load_b128 s[16:19], s[0:1], 0x58
	v_add3_u32 v68, s5, s33, v68
	s_delay_alu instid0(VALU_DEP_1) | instskip(NEXT) | instid1(VALU_DEP_1)
	v_mad_u64_u32 v[78:79], null, v68, s36, s[14:15]
	v_ashrrev_i32_e32 v79, 31, v78
	s_delay_alu instid0(VALU_DEP_1) | instskip(SKIP_1) | instid1(VALU_DEP_1)
	v_lshlrev_b64 v[78:79], 2, v[78:79]
	s_waitcnt lgkmcnt(0)
	v_add_co_u32 v80, vcc_lo, s18, v78
	s_delay_alu instid0(VALU_DEP_2)
	v_add_co_ci_u32_e32 v81, vcc_lo, s19, v79, vcc_lo
	v_add_co_u32 v78, vcc_lo, s16, v78
	v_add_co_ci_u32_e32 v79, vcc_lo, s17, v79, vcc_lo
	global_store_b32 v[80:81], v76, off
	global_store_b32 v[78:79], v77, off
.LBB1180_14:
	s_or_b32 exec_lo, exec_lo, s4
	s_waitcnt lgkmcnt(0)
	s_waitcnt_vscnt null, 0x0
	s_barrier
	buffer_gl0_inv
	ds_load_b128 v[84:87], v73
	ds_load_b128 v[88:91], v73 offset:16
	ds_load_b128 v[96:99], v73 offset:2064
	;; [unrolled: 1-line block ×5, first 2 shown]
	v_cmp_eq_u32_e32 vcc_lo, 1, v70
	v_mov_b32_e32 v76, 0
	ds_load_b128 v[112:115], v73 offset:6160
	ds_load_b128 v[108:111], v73 offset:6144
	;; [unrolled: 1-line block ×4, first 2 shown]
	v_cmp_eq_u32_e64 s5, 1, v69
	v_cmp_eq_u32_e64 s4, 1, v72
	;; [unrolled: 1-line block ×3, first 2 shown]
	v_mov_b32_e32 v77, v76
	v_mov_b32_e32 v78, v76
	;; [unrolled: 1-line block ×7, first 2 shown]
	v_cmp_eq_u32_e64 s7, 3, v72
	v_cmp_eq_u32_e64 s8, 7, v72
	s_waitcnt lgkmcnt(8)
	s_delay_alu instid0(VALU_DEP_3)
	v_wmma_f32_16x16x16_f16 v[76:83], v[49:56], v[84:91], v[76:83]
	ds_load_b128 v[53:56], v73 offset:10256
	ds_load_b128 v[49:52], v73 offset:10240
	s_waitcnt lgkmcnt(8)
	v_wmma_f32_16x16x16_f16 v[76:83], v[41:48], v[92:99], v[76:83]
	ds_load_b128 v[45:48], v73 offset:12304
	ds_load_b128 v[41:44], v73 offset:12288
	s_waitcnt lgkmcnt(8)
	;; [unrolled: 4-line block ×3, first 2 shown]
	s_barrier
	buffer_gl0_inv
	v_wmma_f32_16x16x16_f16 v[76:83], v[1:8], v[108:115], v[76:83]
	s_delay_alu instid0(VALU_DEP_1) | instskip(NEXT) | instid1(VALU_DEP_1)
	v_wmma_f32_16x16x16_f16 v[76:83], v[9:16], v[116:123], v[76:83]
	v_wmma_f32_16x16x16_f16 v[76:83], v[17:24], v[49:56], v[76:83]
	s_delay_alu instid0(VALU_DEP_1) | instskip(NEXT) | instid1(VALU_DEP_1)
	v_wmma_f32_16x16x16_f16 v[76:83], v[25:32], v[41:48], v[76:83]
	v_wmma_f32_16x16x16_f16 v[76:83], v[57:64], v[33:40], v[76:83]
	s_delay_alu instid0(VALU_DEP_1) | instskip(NEXT) | instid1(VALU_DEP_2)
	v_cvt_f16_f32_e32 v1, v76
	v_cvt_f16_f32_e32 v2, v77
	s_delay_alu instid0(VALU_DEP_3) | instskip(NEXT) | instid1(VALU_DEP_4)
	v_cvt_f16_f32_e32 v3, v78
	v_cvt_f16_f32_e32 v4, v79
	;; [unrolled: 1-line block ×6, first 2 shown]
	v_pack_b32_f16 v1, v1, v2
	v_pack_b32_f16 v2, v3, v4
	;; [unrolled: 1-line block ×3, first 2 shown]
	s_delay_alu instid0(VALU_DEP_4)
	v_pack_b32_f16 v4, v7, v8
	ds_store_b128 v74, v[1:4]
	s_waitcnt lgkmcnt(0)
	s_barrier
	buffer_gl0_inv
	ds_load_b128 v[1:4], v75
	ds_load_b128 v[5:8], v75 offset:16
	s_waitcnt lgkmcnt(1)
	v_lshrrev_b32_e32 v9, 16, v1
	s_waitcnt lgkmcnt(0)
	v_lshrrev_b32_e32 v13, 16, v5
	v_lshrrev_b32_e32 v10, 16, v2
	;; [unrolled: 1-line block ×4, first 2 shown]
	v_cndmask_b32_e32 v17, v1, v9, vcc_lo
	v_cndmask_b32_e32 v18, v5, v13, vcc_lo
	v_cndmask_b32_e64 v21, v1, v9, s5
	v_cmp_eq_u32_e32 vcc_lo, 1, v71
	v_cndmask_b32_e64 v22, v5, v13, s5
	v_cmp_eq_u32_e64 s5, 2, v70
	v_cndmask_b32_e64 v19, v1, v9, s4
	v_cndmask_b32_e64 v20, v5, v13, s4
	v_cndmask_b32_e32 v1, v1, v9, vcc_lo
	v_cmp_eq_u32_e64 s4, 2, v71
	v_cndmask_b32_e32 v5, v5, v13, vcc_lo
	v_cndmask_b32_e64 v9, v17, v2, s5
	v_cmp_eq_u32_e32 vcc_lo, 3, v70
	v_cndmask_b32_e64 v13, v18, v6, s5
	v_cmp_eq_u32_e64 s5, 2, v69
	v_cndmask_b32_e64 v17, v19, v2, s6
	v_cndmask_b32_e64 v18, v20, v6, s6
	v_cmp_eq_u32_e64 s6, 3, v69
	v_cndmask_b32_e64 v1, v1, v2, s4
	v_cndmask_b32_e64 v19, v21, v2, s5
	;; [unrolled: 1-line block ×4, first 2 shown]
	v_cndmask_b32_e32 v5, v9, v10, vcc_lo
	v_cndmask_b32_e32 v6, v13, v14, vcc_lo
	v_cmp_eq_u32_e32 vcc_lo, 3, v71
	v_cndmask_b32_e64 v9, v17, v10, s7
	v_cndmask_b32_e64 v13, v18, v14, s7
	;; [unrolled: 1-line block ×3, first 2 shown]
	v_cmp_eq_u32_e64 s5, 4, v70
	v_cndmask_b32_e32 v1, v1, v10, vcc_lo
	v_cndmask_b32_e32 v2, v2, v14, vcc_lo
	v_cmp_eq_u32_e32 vcc_lo, 4, v72
	v_lshrrev_b32_e32 v15, 16, v7
	v_lshrrev_b32_e32 v16, 16, v8
	v_cndmask_b32_e64 v17, v19, v10, s6
	v_cmp_eq_u32_e64 s4, 4, v71
	v_cndmask_b32_e64 v5, v5, v3, s5
	v_cndmask_b32_e64 v6, v6, v7, s5
	v_cndmask_b32_e32 v9, v9, v3, vcc_lo
	v_cmp_eq_u32_e64 s5, 5, v72
	v_cndmask_b32_e32 v10, v13, v7, vcc_lo
	v_cmp_eq_u32_e32 vcc_lo, 4, v69
	v_cmp_eq_u32_e64 s6, 5, v70
	v_cndmask_b32_e64 v2, v2, v7, s4
	v_cndmask_b32_e64 v9, v9, v11, s5
	;; [unrolled: 1-line block ×3, first 2 shown]
	v_cndmask_b32_e32 v13, v17, v3, vcc_lo
	v_cmp_eq_u32_e64 s5, 5, v69
	v_cndmask_b32_e32 v14, v18, v7, vcc_lo
	v_cndmask_b32_e64 v1, v1, v3, s4
	v_cmp_eq_u32_e32 vcc_lo, 5, v71
	v_lshrrev_b32_e32 v12, 16, v4
	v_cndmask_b32_e64 v13, v13, v11, s5
	v_cndmask_b32_e64 v3, v14, v15, s5
	v_cmp_eq_u32_e64 s5, 6, v71
	v_cndmask_b32_e32 v1, v1, v11, vcc_lo
	v_cndmask_b32_e64 v5, v5, v11, s6
	v_cmp_eq_u32_e64 s7, 6, v70
	v_cndmask_b32_e64 v6, v6, v15, s6
	v_cmp_eq_u32_e64 s6, 6, v72
	v_cmp_eq_u32_e64 s4, 6, v69
	v_cndmask_b32_e64 v1, v1, v4, s5
	v_cndmask_b32_e32 v2, v2, v15, vcc_lo
	v_cmp_eq_u32_e32 vcc_lo, 7, v71
	v_cndmask_b32_e64 v5, v5, v4, s7
	v_cndmask_b32_e64 v9, v9, v4, s6
	;; [unrolled: 1-line block ×3, first 2 shown]
	v_cmp_eq_u32_e64 s7, 7, v70
	v_cndmask_b32_e32 v1, v1, v12, vcc_lo
	v_cndmask_b32_e64 v7, v13, v4, s4
	v_cndmask_b32_e64 v3, v3, v8, s4
	;; [unrolled: 1-line block ×3, first 2 shown]
	v_cmp_eq_u32_e64 s4, 7, v69
	v_cndmask_b32_e64 v4, v10, v8, s6
	v_cndmask_b32_e64 v5, v5, v12, s7
	;; [unrolled: 1-line block ×3, first 2 shown]
	v_cndmask_b32_e32 v2, v2, v16, vcc_lo
	v_cndmask_b32_e64 v7, v7, v12, s4
	v_cndmask_b32_e64 v3, v3, v16, s4
	;; [unrolled: 1-line block ×4, first 2 shown]
	v_cmp_gt_u32_e32 vcc_lo, 32, v0
	v_perm_b32 v4, v2, v1, 0x5040100
	v_perm_b32 v3, v3, v7, 0x5040100
	;; [unrolled: 1-line block ×4, first 2 shown]
	s_and_b32 s2, vcc_lo, s2
	ds_store_b128 v74, v[1:4]
	s_waitcnt lgkmcnt(0)
	s_barrier
	buffer_gl0_inv
	s_and_saveexec_b32 s4, s2
	s_cbranch_execz .LBB1180_2
; %bb.15:
	s_load_b64 s[4:5], s[0:1], 0x68
	v_add_nc_u32_e32 v20, s33, v66
	v_lshlrev_b32_e32 v0, 10, v0
	v_lshlrev_b32_e32 v1, 4, v67
	s_lshl_b32 s0, s36, 6
	s_delay_alu instid0(SALU_CYCLE_1)
	s_mul_i32 s1, s0, s34
	v_add_nc_u32_e32 v2, 2, v20
	s_mul_i32 s6, s1, s9
	v_and_or_b32 v0, 0x3800, v0, v1
	v_mul_lo_u32 v1, v20, s0
	s_ashr_i32 s7, s6, 31
	v_mul_lo_u32 v11, v2, s0
	s_lshl_b64 s[6:7], s[6:7], 1
	v_add_nc_u32_e32 v3, 4, v20
	v_lshl_or_b32 v21, v66, 6, v0
	v_add_nc_u32_e32 v16, 6, v20
	v_ashrrev_i32_e32 v2, 31, v1
	s_delay_alu instid0(VALU_DEP_4)
	v_mul_lo_u32 v13, v3, s0
	s_waitcnt lgkmcnt(0)
	s_add_u32 s1, s4, s6
	s_addc_u32 s2, s5, s7
	s_lshl_b32 s4, s14, 6
	ds_load_b128 v[3:6], v21
	ds_load_b128 v[7:10], v21 offset:128
	s_ashr_i32 s5, s4, 31
	v_ashrrev_i32_e32 v12, 31, v11
	s_lshl_b64 s[4:5], s[4:5], 1
	v_lshlrev_b64 v[14:15], 1, v[1:2]
	s_add_u32 s1, s1, s4
	s_addc_u32 s2, s2, s5
	v_add_co_u32 v1, s1, s1, v65
	s_delay_alu instid0(VALU_DEP_1) | instskip(SKIP_1) | instid1(VALU_DEP_3)
	v_add_co_ci_u32_e64 v2, null, s2, 0, s1
	v_lshlrev_b64 v[11:12], 1, v[11:12]
	v_add_co_u32 v18, vcc_lo, v1, v14
	v_mul_lo_u32 v16, v16, s0
	s_delay_alu instid0(VALU_DEP_4) | instskip(NEXT) | instid1(VALU_DEP_4)
	v_add_co_ci_u32_e32 v19, vcc_lo, v2, v15, vcc_lo
	v_add_co_u32 v11, vcc_lo, v1, v11
	v_ashrrev_i32_e32 v14, 31, v13
	v_add_co_ci_u32_e32 v12, vcc_lo, v2, v12, vcc_lo
	v_add_nc_u32_e32 v15, 8, v20
	v_ashrrev_i32_e32 v17, 31, v16
	s_waitcnt lgkmcnt(1)
	global_store_b128 v[18:19], v[3:6], off
	v_lshlrev_b64 v[3:4], 1, v[13:14]
	s_waitcnt lgkmcnt(0)
	global_store_b128 v[11:12], v[7:10], off
	v_mul_lo_u32 v11, v15, s0
	v_add_nc_u32_e32 v7, 10, v20
	v_lshlrev_b64 v[5:6], 1, v[16:17]
	v_add_co_u32 v23, vcc_lo, v1, v3
	v_add_nc_u32_e32 v3, 12, v20
	s_delay_alu instid0(VALU_DEP_4)
	v_mul_lo_u32 v25, v7, s0
	v_ashrrev_i32_e32 v12, 31, v11
	v_add_co_ci_u32_e32 v24, vcc_lo, v2, v4, vcc_lo
	v_add_co_u32 v27, vcc_lo, v1, v5
	v_mul_lo_u32 v29, v3, s0
	v_add_co_ci_u32_e32 v28, vcc_lo, v2, v6, vcc_lo
	ds_load_b128 v[3:6], v21 offset:256
	ds_load_b128 v[7:10], v21 offset:384
	v_lshlrev_b64 v[31:32], 1, v[11:12]
	ds_load_b128 v[11:14], v21 offset:512
	ds_load_b128 v[15:18], v21 offset:640
	ds_load_b128 v[19:22], v21 offset:768
	v_ashrrev_i32_e32 v26, 31, v25
	v_ashrrev_i32_e32 v30, 31, v29
	v_add_co_u32 v31, vcc_lo, v1, v31
	s_delay_alu instid0(VALU_DEP_3) | instskip(NEXT) | instid1(VALU_DEP_3)
	v_lshlrev_b64 v[25:26], 1, v[25:26]
	v_lshlrev_b64 v[29:30], 1, v[29:30]
	v_add_co_ci_u32_e32 v32, vcc_lo, v2, v32, vcc_lo
	s_delay_alu instid0(VALU_DEP_3) | instskip(NEXT) | instid1(VALU_DEP_4)
	v_add_co_u32 v25, vcc_lo, v1, v25
	v_add_co_ci_u32_e32 v26, vcc_lo, v2, v26, vcc_lo
	s_delay_alu instid0(VALU_DEP_4)
	v_add_co_u32 v29, vcc_lo, v1, v29
	v_add_co_ci_u32_e32 v30, vcc_lo, v2, v30, vcc_lo
	s_waitcnt lgkmcnt(4)
	global_store_b128 v[23:24], v[3:6], off
	s_waitcnt lgkmcnt(3)
	global_store_b128 v[27:28], v[7:10], off
	;; [unrolled: 2-line block ×5, first 2 shown]
	s_and_b32 exec_lo, exec_lo, s3
	s_cbranch_execz .LBB1180_2
; %bb.16:
	ds_load_b128 v[3:6], v0 offset:896
	s_add_i32 s1, s33, 14
	s_delay_alu instid0(SALU_CYCLE_1) | instskip(NEXT) | instid1(SALU_CYCLE_1)
	s_mul_i32 s0, s1, s0
	s_ashr_i32 s1, s0, 31
	s_delay_alu instid0(SALU_CYCLE_1) | instskip(NEXT) | instid1(SALU_CYCLE_1)
	s_lshl_b64 s[0:1], s[0:1], 1
	v_add_co_u32 v0, vcc_lo, v1, s0
	v_add_co_ci_u32_e32 v1, vcc_lo, s1, v2, vcc_lo
	s_waitcnt lgkmcnt(0)
	global_store_b128 v[0:1], v[3:6], off
	s_nop 0
	s_sendmsg sendmsg(MSG_DEALLOC_VGPRS)
	s_endpgm
	.section	.rodata,"a",@progbits
	.p2align	6, 0x0
	.amdhsa_kernel _Z39paged_attention_ll4mi_QKV_mfma16_kernelIDF16_hLN4vllm18Fp8KVCacheDataTypeE1EhLi32ELi64ELi256ELb0ELi15EL8MFMAType0EEvPKT_PKT0_S8_ifPKiSA_SA_iPKfiiiPfSD_PS3_PT2_iSC_SC_
		.amdhsa_group_segment_fixed_size 17472
		.amdhsa_private_segment_fixed_size 0
		.amdhsa_kernarg_size 400
		.amdhsa_user_sgpr_count 13
		.amdhsa_user_sgpr_dispatch_ptr 0
		.amdhsa_user_sgpr_queue_ptr 0
		.amdhsa_user_sgpr_kernarg_segment_ptr 1
		.amdhsa_user_sgpr_dispatch_id 0
		.amdhsa_user_sgpr_private_segment_size 0
		.amdhsa_wavefront_size32 1
		.amdhsa_uses_dynamic_stack 0
		.amdhsa_enable_private_segment 0
		.amdhsa_system_sgpr_workgroup_id_x 1
		.amdhsa_system_sgpr_workgroup_id_y 1
		.amdhsa_system_sgpr_workgroup_id_z 1
		.amdhsa_system_sgpr_workgroup_info 0
		.amdhsa_system_vgpr_workitem_id 0
		.amdhsa_next_free_vgpr 146
		.amdhsa_next_free_sgpr 37
		.amdhsa_reserve_vcc 1
		.amdhsa_float_round_mode_32 0
		.amdhsa_float_round_mode_16_64 0
		.amdhsa_float_denorm_mode_32 3
		.amdhsa_float_denorm_mode_16_64 3
		.amdhsa_dx10_clamp 1
		.amdhsa_ieee_mode 1
		.amdhsa_fp16_overflow 0
		.amdhsa_workgroup_processor_mode 1
		.amdhsa_memory_ordered 1
		.amdhsa_forward_progress 0
		.amdhsa_shared_vgpr_count 0
		.amdhsa_exception_fp_ieee_invalid_op 0
		.amdhsa_exception_fp_denorm_src 0
		.amdhsa_exception_fp_ieee_div_zero 0
		.amdhsa_exception_fp_ieee_overflow 0
		.amdhsa_exception_fp_ieee_underflow 0
		.amdhsa_exception_fp_ieee_inexact 0
		.amdhsa_exception_int_div_zero 0
	.end_amdhsa_kernel
	.section	.text._Z39paged_attention_ll4mi_QKV_mfma16_kernelIDF16_hLN4vllm18Fp8KVCacheDataTypeE1EhLi32ELi64ELi256ELb0ELi15EL8MFMAType0EEvPKT_PKT0_S8_ifPKiSA_SA_iPKfiiiPfSD_PS3_PT2_iSC_SC_,"axG",@progbits,_Z39paged_attention_ll4mi_QKV_mfma16_kernelIDF16_hLN4vllm18Fp8KVCacheDataTypeE1EhLi32ELi64ELi256ELb0ELi15EL8MFMAType0EEvPKT_PKT0_S8_ifPKiSA_SA_iPKfiiiPfSD_PS3_PT2_iSC_SC_,comdat
.Lfunc_end1180:
	.size	_Z39paged_attention_ll4mi_QKV_mfma16_kernelIDF16_hLN4vllm18Fp8KVCacheDataTypeE1EhLi32ELi64ELi256ELb0ELi15EL8MFMAType0EEvPKT_PKT0_S8_ifPKiSA_SA_iPKfiiiPfSD_PS3_PT2_iSC_SC_, .Lfunc_end1180-_Z39paged_attention_ll4mi_QKV_mfma16_kernelIDF16_hLN4vllm18Fp8KVCacheDataTypeE1EhLi32ELi64ELi256ELb0ELi15EL8MFMAType0EEvPKT_PKT0_S8_ifPKiSA_SA_iPKfiiiPfSD_PS3_PT2_iSC_SC_
                                        ; -- End function
	.section	.AMDGPU.csdata,"",@progbits
; Kernel info:
; codeLenInByte = 6748
; NumSgprs: 39
; NumVgprs: 146
; ScratchSize: 0
; MemoryBound: 0
; FloatMode: 240
; IeeeMode: 1
; LDSByteSize: 17472 bytes/workgroup (compile time only)
; SGPRBlocks: 4
; VGPRBlocks: 18
; NumSGPRsForWavesPerEU: 39
; NumVGPRsForWavesPerEU: 146
; Occupancy: 9
; WaveLimiterHint : 1
; COMPUTE_PGM_RSRC2:SCRATCH_EN: 0
; COMPUTE_PGM_RSRC2:USER_SGPR: 13
; COMPUTE_PGM_RSRC2:TRAP_HANDLER: 0
; COMPUTE_PGM_RSRC2:TGID_X_EN: 1
; COMPUTE_PGM_RSRC2:TGID_Y_EN: 1
; COMPUTE_PGM_RSRC2:TGID_Z_EN: 1
; COMPUTE_PGM_RSRC2:TIDIG_COMP_CNT: 0
	.section	.text._Z39paged_attention_ll4mi_QKV_mfma16_kernelIDF16_hLN4vllm18Fp8KVCacheDataTypeE1EhLi32ELi64ELi256ELb0ELi16EL8MFMAType0EEvPKT_PKT0_S8_ifPKiSA_SA_iPKfiiiPfSD_PS3_PT2_iSC_SC_,"axG",@progbits,_Z39paged_attention_ll4mi_QKV_mfma16_kernelIDF16_hLN4vllm18Fp8KVCacheDataTypeE1EhLi32ELi64ELi256ELb0ELi16EL8MFMAType0EEvPKT_PKT0_S8_ifPKiSA_SA_iPKfiiiPfSD_PS3_PT2_iSC_SC_,comdat
	.protected	_Z39paged_attention_ll4mi_QKV_mfma16_kernelIDF16_hLN4vllm18Fp8KVCacheDataTypeE1EhLi32ELi64ELi256ELb0ELi16EL8MFMAType0EEvPKT_PKT0_S8_ifPKiSA_SA_iPKfiiiPfSD_PS3_PT2_iSC_SC_ ; -- Begin function _Z39paged_attention_ll4mi_QKV_mfma16_kernelIDF16_hLN4vllm18Fp8KVCacheDataTypeE1EhLi32ELi64ELi256ELb0ELi16EL8MFMAType0EEvPKT_PKT0_S8_ifPKiSA_SA_iPKfiiiPfSD_PS3_PT2_iSC_SC_
	.globl	_Z39paged_attention_ll4mi_QKV_mfma16_kernelIDF16_hLN4vllm18Fp8KVCacheDataTypeE1EhLi32ELi64ELi256ELb0ELi16EL8MFMAType0EEvPKT_PKT0_S8_ifPKiSA_SA_iPKfiiiPfSD_PS3_PT2_iSC_SC_
	.p2align	8
	.type	_Z39paged_attention_ll4mi_QKV_mfma16_kernelIDF16_hLN4vllm18Fp8KVCacheDataTypeE1EhLi32ELi64ELi256ELb0ELi16EL8MFMAType0EEvPKT_PKT0_S8_ifPKiSA_SA_iPKfiiiPfSD_PS3_PT2_iSC_SC_,@function
_Z39paged_attention_ll4mi_QKV_mfma16_kernelIDF16_hLN4vllm18Fp8KVCacheDataTypeE1EhLi32ELi64ELi256ELb0ELi16EL8MFMAType0EEvPKT_PKT0_S8_ifPKiSA_SA_iPKfiiiPfSD_PS3_PT2_iSC_SC_: ; @_Z39paged_attention_ll4mi_QKV_mfma16_kernelIDF16_hLN4vllm18Fp8KVCacheDataTypeE1EhLi32ELi64ELi256ELb0ELi16EL8MFMAType0EEvPKT_PKT0_S8_ifPKiSA_SA_iPKfiiiPfSD_PS3_PT2_iSC_SC_
; %bb.0:
	s_load_b64 s[2:3], s[0:1], 0x30
	s_mov_b32 s34, s13
	s_waitcnt lgkmcnt(0)
	s_cmp_lg_u64 s[2:3], 0
	s_cselect_b32 s8, -1, 0
	s_ashr_i32 s35, s13, 31
	s_cmp_eq_u64 s[2:3], 0
	s_cbranch_scc1 .LBB1181_3
; %bb.1:
	s_lshl_b64 s[4:5], s[34:35], 2
	s_delay_alu instid0(SALU_CYCLE_1) | instskip(SKIP_4) | instid1(SALU_CYCLE_1)
	s_add_u32 s4, s2, s4
	s_addc_u32 s5, s3, s5
	s_load_b64 s[4:5], s[4:5], 0x0
	s_waitcnt lgkmcnt(0)
	s_sub_i32 s4, s5, s4
	s_cmp_eq_u32 s4, 1
	s_cselect_b32 s4, -1, 0
	s_delay_alu instid0(SALU_CYCLE_1)
	s_and_not1_b32 vcc_lo, exec_lo, s4
	s_cbranch_vccz .LBB1181_4
.LBB1181_2:
	s_endpgm
.LBB1181_3:
.LBB1181_4:
	s_load_b64 s[4:5], s[0:1], 0x28
	s_lshl_b64 s[6:7], s[34:35], 2
	s_waitcnt lgkmcnt(0)
	s_add_u32 s4, s4, s6
	s_addc_u32 s5, s5, s7
	s_lshl_b32 s12, s14, 8
	s_load_b32 s24, s[4:5], 0x0
	s_waitcnt lgkmcnt(0)
	s_cmp_ge_i32 s12, s24
	s_cbranch_scc1 .LBB1181_2
; %bb.5:
	s_clause 0x1
	s_load_b128 s[20:23], s[0:1], 0x8
	s_load_b64 s[4:5], s[0:1], 0x20
	s_and_not1_b32 vcc_lo, exec_lo, s8
	s_cbranch_vccnz .LBB1181_7
; %bb.6:
	s_add_u32 s2, s2, s6
	s_addc_u32 s3, s3, s7
	s_load_b32 s3, s[2:3], 0x0
	s_branch .LBB1181_8
.LBB1181_7:
	s_mov_b32 s3, s34
.LBB1181_8:
	s_load_b128 s[16:19], s[0:1], 0x48
	v_and_b32_e32 v70, 15, v0
	v_cmp_gt_u32_e32 vcc_lo, 0x100, v0
	v_lshrrev_b32_e32 v69, 5, v0
	v_and_b32_e32 v71, 31, v0
	v_and_b32_e32 v67, 1, v0
	v_lshlrev_b32_e32 v1, 3, v70
	v_cmp_gt_u32_e64 s2, 8, v70
	v_bfe_u32 v66, v0, 4, 1
	s_lshl_b32 s31, s15, 4
	s_delay_alu instid0(VALU_DEP_3) | instskip(NEXT) | instid1(VALU_DEP_3)
	v_lshlrev_b32_e32 v65, 1, v1
	s_and_b32 s7, vcc_lo, s2
	s_delay_alu instid0(SALU_CYCLE_1)
	s_and_saveexec_b32 s6, s7
	s_cbranch_execz .LBB1181_10
; %bb.9:
	v_lshl_or_b32 v5, v69, 1, v66
	s_load_b64 s[8:9], s[0:1], 0x0
	s_waitcnt lgkmcnt(0)
	s_mul_hi_i32 s11, s3, s16
	s_mul_i32 s10, s3, s16
	v_lshlrev_b32_e32 v6, 10, v70
	v_or_b32_e32 v1, s31, v5
	s_lshl_b64 s[10:11], s[10:11], 1
	v_lshlrev_b32_e32 v5, 6, v5
	v_lshlrev_b32_e32 v7, 10, v67
	v_and_b32_e32 v6, 0x3800, v6
	v_lshlrev_b32_e32 v1, 6, v1
	s_delay_alu instid0(VALU_DEP_2) | instskip(NEXT) | instid1(VALU_DEP_2)
	v_or3_b32 v5, v6, v7, v5
	v_ashrrev_i32_e32 v2, 31, v1
	s_delay_alu instid0(VALU_DEP_1) | instskip(SKIP_2) | instid1(VALU_DEP_1)
	v_lshlrev_b64 v[1:2], 1, v[1:2]
	s_add_u32 s3, s8, s10
	s_addc_u32 s7, s9, s11
	v_add_co_u32 v1, vcc_lo, s3, v1
	s_delay_alu instid0(VALU_DEP_2) | instskip(NEXT) | instid1(VALU_DEP_2)
	v_add_co_ci_u32_e32 v2, vcc_lo, s7, v2, vcc_lo
	v_add_co_u32 v1, vcc_lo, v1, v65
	s_delay_alu instid0(VALU_DEP_2)
	v_add_co_ci_u32_e32 v2, vcc_lo, 0, v2, vcc_lo
	global_load_b128 v[1:4], v[1:2], off
	s_waitcnt vmcnt(0)
	ds_store_b128 v5, v[1:4]
.LBB1181_10:
	s_or_b32 exec_lo, exec_lo, s6
	v_and_b32_e32 v1, 0xef, v0
	s_waitcnt lgkmcnt(0)
	s_add_i32 s3, s24, 31
	s_clause 0x1
	s_load_b32 s6, s[0:1], 0x38
	s_load_b32 s33, s[0:1], 0x98
	s_ashr_i32 s7, s3, 31
	v_add_nc_u32_e32 v1, s12, v1
	s_lshr_b32 s7, s7, 27
	s_load_b32 s19, s[0:1], 0x1c
	s_add_i32 s3, s3, s7
	s_waitcnt lgkmcnt(0)
	v_ashrrev_i32_e32 v2, 31, v1
	v_or_b32_e32 v3, 16, v1
	s_ashr_i32 s3, s3, 5
	v_cmp_gt_i32_e32 vcc_lo, s24, v1
	s_add_i32 s3, s3, -1
	v_lshrrev_b32_e32 v2, 27, v2
	s_barrier
	buffer_gl0_inv
	s_mul_i32 s27, s15, s18
	v_add_nc_u32_e32 v4, v1, v2
	s_mul_i32 s6, s34, s6
	s_delay_alu instid0(SALU_CYCLE_1) | instskip(NEXT) | instid1(VALU_DEP_1)
	s_ashr_i32 s7, s6, 31
	v_ashrrev_i32_e32 v4, 5, v4
	v_add_nc_u32_e32 v2, v3, v2
	s_lshl_b64 s[6:7], s[6:7], 2
	s_delay_alu instid0(SALU_CYCLE_1) | instskip(NEXT) | instid1(VALU_DEP_2)
	s_add_u32 s26, s4, s6
	v_cndmask_b32_e32 v1, s3, v4, vcc_lo
	s_delay_alu instid0(VALU_DEP_2)
	v_ashrrev_i32_e32 v2, 5, v2
	v_cmp_gt_i32_e32 vcc_lo, s24, v3
	s_addc_u32 s25, s5, s7
	s_ashr_i32 s28, s27, 31
	s_add_u32 s4, s20, s27
	s_addc_u32 s5, s21, s28
	v_cndmask_b32_e32 v3, s3, v2, vcc_lo
	v_ashrrev_i32_e32 v2, 31, v1
	s_lshl_b32 s6, s14, 3
	s_delay_alu instid0(SALU_CYCLE_1) | instskip(NEXT) | instid1(VALU_DEP_2)
	s_ashr_i32 s7, s6, 31
	v_ashrrev_i32_e32 v4, 31, v3
	s_delay_alu instid0(VALU_DEP_2) | instskip(SKIP_1) | instid1(SALU_CYCLE_1)
	v_lshlrev_b64 v[1:2], 2, v[1:2]
	s_lshl_b64 s[6:7], s[6:7], 2
	s_add_u32 s6, s26, s6
	s_delay_alu instid0(VALU_DEP_2) | instskip(SKIP_1) | instid1(VALU_DEP_2)
	v_lshlrev_b64 v[3:4], 2, v[3:4]
	s_addc_u32 s7, s25, s7
	v_add_co_u32 v1, vcc_lo, s26, v1
	v_add_co_ci_u32_e32 v2, vcc_lo, s25, v2, vcc_lo
	s_delay_alu instid0(VALU_DEP_3) | instskip(NEXT) | instid1(VALU_DEP_4)
	v_add_co_u32 v3, vcc_lo, s26, v3
	v_add_co_ci_u32_e32 v4, vcc_lo, s25, v4, vcc_lo
	s_clause 0x1
	global_load_b32 v5, v[1:2], off
	global_load_b32 v6, v[3:4], off
	s_or_b32 s8, s12, 32
	s_delay_alu instid0(SALU_CYCLE_1) | instskip(SKIP_2) | instid1(SALU_CYCLE_1)
	s_ashr_i32 s9, s8, 5
	s_cmp_lt_i32 s8, s24
	s_cselect_b32 s8, s9, s3
	s_ashr_i32 s9, s8, 31
	s_delay_alu instid0(SALU_CYCLE_1) | instskip(NEXT) | instid1(SALU_CYCLE_1)
	s_lshl_b64 s[8:9], s[8:9], 2
	s_add_u32 s8, s26, s8
	s_addc_u32 s9, s25, s9
	s_or_b32 s10, s12, 64
	s_delay_alu instid0(SALU_CYCLE_1) | instskip(SKIP_2) | instid1(SALU_CYCLE_1)
	s_ashr_i32 s11, s10, 5
	s_cmp_lt_i32 s10, s24
	s_cselect_b32 s10, s11, s3
	s_ashr_i32 s11, s10, 31
	s_delay_alu instid0(SALU_CYCLE_1) | instskip(NEXT) | instid1(SALU_CYCLE_1)
	s_lshl_b64 s[10:11], s[10:11], 2
	s_add_u32 s10, s26, s10
	s_addc_u32 s11, s25, s11
	;; [unrolled: 10-line block ×5, first 2 shown]
	s_clause 0x5
	s_load_b32 s21, s[6:7], 0x0
	s_load_b32 s13, s[8:9], 0x0
	;; [unrolled: 1-line block ×6, first 2 shown]
	s_or_b32 s6, s12, 0xc0
	s_delay_alu instid0(SALU_CYCLE_1) | instskip(SKIP_2) | instid1(SALU_CYCLE_1)
	s_ashr_i32 s7, s6, 5
	s_cmp_lt_i32 s6, s24
	s_cselect_b32 s10, s7, s3
	s_ashr_i32 s11, s10, 31
	s_delay_alu instid0(SALU_CYCLE_1) | instskip(NEXT) | instid1(SALU_CYCLE_1)
	s_lshl_b64 s[10:11], s[10:11], 2
	s_add_u32 s36, s26, s10
	s_addc_u32 s37, s25, s11
	s_or_b32 s11, s12, 0xe0
	s_delay_alu instid0(SALU_CYCLE_1) | instskip(SKIP_2) | instid1(SALU_CYCLE_1)
	s_ashr_i32 s29, s11, 5
	s_cmp_lt_i32 s11, s24
	s_cselect_b32 s38, s29, s3
	s_ashr_i32 s39, s38, 31
	s_waitcnt vmcnt(1)
	v_mad_i64_i32 v[1:2], null, v5, s17, s[4:5]
	s_waitcnt vmcnt(0)
	v_mad_i64_i32 v[3:4], null, v6, s17, s[4:5]
	s_mov_b32 s4, 0
	s_delay_alu instid0(SALU_CYCLE_1)
	s_mov_b32 s5, s4
	s_mov_b32 s6, s4
	s_mov_b32 s7, s4
	s_mov_b32 s8, s4
	s_mov_b32 s9, s4
	s_mov_b32 s10, s4
	s_mov_b32 s11, s4
	v_lshlrev_b32_e32 v5, 4, v70
	v_dual_mov_b32 v103, s11 :: v_dual_mov_b32 v98, s6
	v_dual_mov_b32 v101, s9 :: v_dual_lshlrev_b32 v68, 6, v70
	s_delay_alu instid0(VALU_DEP_3)
	v_add_co_u32 v1, vcc_lo, v1, v5
	v_add_co_ci_u32_e32 v2, vcc_lo, 0, v2, vcc_lo
	v_add_co_u32 v3, vcc_lo, v3, v5
	v_add_co_ci_u32_e32 v4, vcc_lo, 0, v4, vcc_lo
	s_clause 0x7
	global_load_b128 v[57:60], v[1:2], off
	global_load_b128 v[61:64], v[1:2], off offset:512
	global_load_b128 v[72:75], v[3:4], off offset:256
	;; [unrolled: 1-line block ×7, first 2 shown]
	v_dual_mov_b32 v96, s4 :: v_dual_lshlrev_b32 v1, 5, v70
	v_mov_b32_e32 v102, s10
	v_dual_mov_b32 v100, s8 :: v_dual_mov_b32 v99, s7
	v_mov_b32_e32 v97, s5
	s_lshl_b64 s[4:5], s[38:39], 2
	v_lshl_or_b32 v1, v69, 9, v1
	s_add_u32 s4, s26, s4
	s_addc_u32 s5, s25, s5
	s_load_b32 s3, s[36:37], 0x0
	ds_load_b128 v[104:107], v68
	ds_load_b128 v[108:111], v68 offset:1024
	s_load_b32 s4, s[4:5], 0x0
	s_add_u32 s6, s22, s27
	s_addc_u32 s7, s23, s28
	v_add_co_u32 v17, s6, s6, v1
	s_delay_alu instid0(VALU_DEP_1) | instskip(SKIP_1) | instid1(VALU_DEP_1)
	v_add_co_ci_u32_e64 v18, null, s7, 0, s6
	s_waitcnt lgkmcnt(0)
	v_mad_i64_i32 v[1:2], null, s21, s17, v[17:18]
	v_mad_i64_i32 v[3:4], null, s13, s17, v[17:18]
	;; [unrolled: 1-line block ×7, first 2 shown]
	s_clause 0x9
	global_load_b128 v[49:52], v[1:2], off
	global_load_b128 v[53:56], v[1:2], off offset:16
	global_load_b128 v[41:44], v[3:4], off
	global_load_b128 v[45:48], v[3:4], off offset:16
	;; [unrolled: 2-line block ×5, first 2 shown]
	v_mad_i64_i32 v[120:121], null, s4, s17, v[17:18]
	s_clause 0x3
	global_load_b128 v[17:20], v[21:22], off
	global_load_b128 v[21:24], v[21:22], off offset:16
	global_load_b128 v[25:28], v[29:30], off
	global_load_b128 v[29:32], v[29:30], off offset:16
	s_waitcnt vmcnt(20)
	v_wmma_f32_16x16x16_f16 v[112:119], v[57:64], v[104:111], v[96:103]
	s_clause 0x1
	global_load_b128 v[57:60], v[120:121], off
	global_load_b128 v[61:64], v[120:121], off offset:16
	s_waitcnt vmcnt(20)
	v_wmma_f32_16x16x16_f16 v[96:103], v[72:79], v[104:111], v[96:103]
	ds_load_b128 v[72:75], v68 offset:2048
	ds_load_b128 v[76:79], v68 offset:3072
	v_and_b32_e32 v104, 0xe0, v0
	v_mbcnt_lo_u32_b32 v105, -1, 0
	s_waitcnt vmcnt(0) lgkmcnt(0)
	s_barrier
	buffer_gl0_inv
	v_add_nc_u32_e32 v104, s12, v104
	v_xor_b32_e32 v106, 16, v105
	s_delay_alu instid0(VALU_DEP_2) | instskip(NEXT) | instid1(VALU_DEP_2)
	v_or_b32_e32 v104, v104, v66
	v_cmp_gt_i32_e32 vcc_lo, 32, v106
	s_delay_alu instid0(VALU_DEP_2)
	v_or_b32_e32 v107, 4, v104
	v_or_b32_e32 v108, 6, v104
	v_cmp_gt_i32_e64 s3, s24, v104
	v_or_b32_e32 v109, 8, v104
	v_wmma_f32_16x16x16_f16 v[112:119], v[80:87], v[72:79], v[112:119]
	v_cndmask_b32_e32 v105, v105, v106, vcc_lo
	v_or_b32_e32 v106, 2, v104
	v_wmma_f32_16x16x16_f16 v[96:103], v[88:95], v[72:79], v[96:103]
	v_or_b32_e32 v80, 10, v104
	v_dual_mul_f32 v78, s19, v116 :: v_dual_mul_f32 v79, s19, v115
	v_dual_mul_f32 v90, s19, v112 :: v_dual_mul_f32 v89, s19, v113
	s_delay_alu instid0(VALU_DEP_4) | instskip(SKIP_2) | instid1(VALU_DEP_4)
	v_mul_f32_e32 v92, s19, v102
	v_cmp_gt_i32_e32 vcc_lo, s24, v106
	v_dual_mul_f32 v77, s19, v117 :: v_dual_mul_f32 v88, s19, v114
	v_cndmask_b32_e64 v90, 0xff7fffff, v90, s3
	v_cmp_gt_i32_e64 s4, s24, v107
	v_cndmask_b32_e32 v89, 0xff7fffff, v89, vcc_lo
	v_cmp_gt_i32_e64 s5, s24, v108
	v_or_b32_e32 v81, 12, v104
	v_or_b32_e32 v82, 14, v104
	v_cndmask_b32_e64 v88, 0xff7fffff, v88, s4
	v_max3_f32 v89, v90, 0xff7fffff, v89
	v_cndmask_b32_e64 v79, 0xff7fffff, v79, s5
	v_cmp_gt_i32_e64 s6, s24, v109
	v_cmp_gt_i32_e64 s7, s24, v80
	v_or_b32_e32 v83, 16, v104
	v_or_b32_e32 v84, 18, v104
	v_dual_mul_f32 v75, s19, v119 :: v_dual_mul_f32 v76, s19, v118
	v_cndmask_b32_e64 v78, 0xff7fffff, v78, s6
	v_cndmask_b32_e64 v77, 0xff7fffff, v77, s7
	v_max3_f32 v79, v89, v88, v79
	v_cmp_gt_i32_e64 s8, s24, v81
	v_cmp_gt_i32_e64 s9, s24, v82
	v_or_b32_e32 v85, 20, v104
	v_or_b32_e32 v86, 22, v104
	v_or_b32_e32 v87, 24, v104
	v_or_b32_e32 v72, 26, v104
	v_or_b32_e32 v73, 28, v104
	v_or_b32_e32 v74, 30, v104
	v_dual_mul_f32 v95, s19, v99 :: v_dual_mul_f32 v104, s19, v97
	v_mul_f32_e32 v107, s19, v96
	v_cndmask_b32_e64 v76, 0xff7fffff, v76, s8
	v_cndmask_b32_e64 v75, 0xff7fffff, v75, s9
	v_max3_f32 v77, v79, v78, v77
	v_cmp_gt_i32_e64 s10, s24, v83
	v_cmp_gt_i32_e64 s11, s24, v84
	v_dual_mul_f32 v93, s19, v101 :: v_dual_mul_f32 v106, s19, v98
	s_delay_alu instid0(VALU_DEP_4) | instskip(NEXT) | instid1(VALU_DEP_4)
	v_max3_f32 v75, v77, v76, v75
	v_cndmask_b32_e64 v78, 0xff7fffff, v107, s10
	s_delay_alu instid0(VALU_DEP_4) | instskip(SKIP_3) | instid1(VALU_DEP_4)
	v_cndmask_b32_e64 v79, 0xff7fffff, v104, s11
	v_cmp_gt_i32_e64 s12, s24, v85
	v_cmp_gt_i32_e64 s13, s24, v86
	v_dual_mul_f32 v91, s19, v103 :: v_dual_mul_f32 v94, s19, v100
	v_max3_f32 v75, v75, v78, v79
	s_delay_alu instid0(VALU_DEP_4) | instskip(NEXT) | instid1(VALU_DEP_4)
	v_cndmask_b32_e64 v76, 0xff7fffff, v106, s12
	v_cndmask_b32_e64 v77, 0xff7fffff, v95, s13
	v_cmp_gt_i32_e64 s15, s24, v87
	v_cmp_gt_i32_e64 s16, s24, v72
	;; [unrolled: 1-line block ×4, first 2 shown]
	v_max3_f32 v75, v75, v76, v77
	v_cndmask_b32_e64 v78, 0xff7fffff, v94, s15
	v_cndmask_b32_e64 v72, 0xff7fffff, v93, s16
	;; [unrolled: 1-line block ×4, first 2 shown]
	s_delay_alu instid0(VALU_DEP_3) | instskip(SKIP_1) | instid1(VALU_DEP_2)
	v_max3_f32 v72, v75, v78, v72
	v_lshlrev_b32_e32 v75, 2, v105
	v_max3_f32 v72, v72, v73, v74
	ds_bpermute_b32 v73, v75, v72
	s_waitcnt lgkmcnt(0)
	v_max_f32_e32 v73, v73, v73
	s_delay_alu instid0(VALU_DEP_1) | instskip(NEXT) | instid1(VALU_DEP_1)
	v_max_f32_e32 v72, v72, v73
	v_fma_f32 v76, s19, v114, -v72
	v_fma_f32 v73, s19, v112, -v72
	;; [unrolled: 1-line block ×5, first 2 shown]
	v_mul_f32_e32 v76, 0x3fb8aa3b, v76
	v_fma_f32 v82, s19, v118, -v72
	v_mul_f32_e32 v74, 0x3fb8aa3b, v74
	v_fma_f32 v86, s19, v99, -v72
	v_fma_f32 v91, s19, v103, -v72
	v_exp_f32_e32 v76, v76
	v_mul_f32_e32 v82, 0x3fb8aa3b, v82
	v_exp_f32_e32 v74, v74
	v_mul_f32_e32 v88, 0x3fb8aa3b, v86
	v_fma_f32 v89, s19, v101, -v72
	s_delay_alu instid0(VALU_DEP_3) | instskip(NEXT) | instid1(VALU_DEP_2)
	v_exp_f32_e32 v84, v82
	v_exp_f32_e32 v90, v88
	s_delay_alu instid0(VALU_DEP_1)
	v_mul_f32_e32 v89, 0x3fb8aa3b, v89
	v_cndmask_b32_e64 v80, 0, v76, s4
	v_mul_f32_e32 v73, 0x3fb8aa3b, v73
	v_fma_f32 v76, s19, v119, -v72
	v_mul_f32_e32 v77, 0x3fb8aa3b, v77
	v_exp_f32_e32 v89, v89
	s_delay_alu instid0(VALU_DEP_3) | instskip(NEXT) | instid1(VALU_DEP_2)
	v_exp_f32_e32 v73, v73
	v_mul_f32_e32 v76, 0x3fb8aa3b, v76
	s_delay_alu instid0(VALU_DEP_2) | instskip(SKIP_2) | instid1(VALU_DEP_3)
	v_exp_f32_e32 v81, v77
	v_cndmask_b32_e32 v77, 0, v74, vcc_lo
	v_cndmask_b32_e64 v84, 0, v84, s8
	v_exp_f32_e32 v76, v76
	v_cndmask_b32_e64 v89, 0, v89, s16
	s_delay_alu instid0(TRANS32_DEP_3) | instskip(SKIP_2) | instid1(VALU_DEP_2)
	v_cndmask_b32_e64 v78, 0, v73, s3
	v_fma_f32 v73, s19, v117, -v72
	s_mov_b32 s3, exec_lo
	v_dual_add_f32 v74, 0, v78 :: v_dual_mul_f32 v79, 0x3fb8aa3b, v79
	s_delay_alu instid0(VALU_DEP_2) | instskip(NEXT) | instid1(VALU_DEP_2)
	v_mul_f32_e32 v73, 0x3fb8aa3b, v73
	v_add_f32_e32 v74, v74, v77
	s_delay_alu instid0(VALU_DEP_3) | instskip(NEXT) | instid1(VALU_DEP_2)
	v_exp_f32_e32 v83, v79
	v_exp_f32_e32 v73, v73
	v_cndmask_b32_e64 v79, 0, v81, s5
	v_fma_f32 v81, s19, v96, -v72
	s_delay_alu instid0(VALU_DEP_1) | instskip(NEXT) | instid1(VALU_DEP_1)
	v_dual_add_f32 v74, v74, v80 :: v_dual_mul_f32 v85, 0x3fb8aa3b, v81
	v_add_f32_e32 v74, v74, v79
	s_waitcnt_depctr 0xfff
	v_cndmask_b32_e64 v82, 0, v83, s6
	v_fma_f32 v83, s19, v97, -v72
	v_cndmask_b32_e64 v81, 0, v73, s7
	v_exp_f32_e32 v85, v85
	s_delay_alu instid0(VALU_DEP_2) | instskip(NEXT) | instid1(VALU_DEP_1)
	v_mul_f32_e32 v83, 0x3fb8aa3b, v83
	v_exp_f32_e32 v87, v83
	v_cndmask_b32_e64 v83, 0, v76, s9
	v_fma_f32 v76, s19, v100, -v72
	v_add_f32_e32 v73, v74, v82
	v_fma_f32 v74, s19, v98, -v72
	s_delay_alu instid0(TRANS32_DEP_2) | instskip(NEXT) | instid1(VALU_DEP_4)
	v_cndmask_b32_e64 v86, 0, v85, s10
	v_mul_f32_e32 v76, 0x3fb8aa3b, v76
	s_delay_alu instid0(VALU_DEP_3) | instskip(NEXT) | instid1(TRANS32_DEP_1)
	v_mul_f32_e32 v74, 0x3fb8aa3b, v74
	v_cndmask_b32_e64 v85, 0, v87, s11
	v_fma_f32 v87, s19, v102, -v72
	v_add_f32_e32 v73, v73, v81
	v_exp_f32_e32 v76, v76
	v_exp_f32_e32 v74, v74
	s_waitcnt_depctr 0xfff
	v_cndmask_b32_e64 v88, 0, v74, s12
	v_dual_mul_f32 v74, 0x3fb8aa3b, v87 :: v_dual_add_f32 v73, v73, v84
	v_cndmask_b32_e64 v87, 0, v90, s13
	v_cndmask_b32_e64 v90, 0, v76, s15
	v_mul_f32_e32 v76, 0x3fb8aa3b, v91
	s_delay_alu instid0(VALU_DEP_4) | instskip(SKIP_1) | instid1(VALU_DEP_2)
	v_exp_f32_e32 v74, v74
	v_add_f32_e32 v73, v73, v83
	v_exp_f32_e32 v76, v76
	s_delay_alu instid0(VALU_DEP_1) | instskip(SKIP_4) | instid1(VALU_DEP_2)
	v_add_f32_e32 v73, v73, v86
	s_waitcnt_depctr 0xfff
	v_cndmask_b32_e64 v92, 0, v74, s17
	v_add_f32_e32 v73, v73, v85
	v_cndmask_b32_e64 v91, 0, v76, s18
	v_add_f32_e32 v73, v73, v88
	s_delay_alu instid0(VALU_DEP_1) | instskip(NEXT) | instid1(VALU_DEP_1)
	v_add_f32_e32 v73, v73, v87
	v_add_f32_e32 v73, v73, v90
	s_delay_alu instid0(VALU_DEP_1) | instskip(NEXT) | instid1(VALU_DEP_1)
	v_add_f32_e32 v73, v73, v89
	v_add_f32_e32 v73, v73, v92
	s_delay_alu instid0(VALU_DEP_1)
	v_add_f32_e32 v73, v73, v91
	ds_bpermute_b32 v74, v75, v73
	v_cmpx_gt_u32_e32 16, v71
	s_cbranch_execz .LBB1181_12
; %bb.11:
	v_mul_u32_u24_e32 v71, 0x44, v69
	s_waitcnt lgkmcnt(0)
	v_add_f32_e32 v73, v73, v74
	s_delay_alu instid0(VALU_DEP_2) | instskip(NEXT) | instid1(VALU_DEP_1)
	v_lshl_add_u32 v71, v70, 2, v71
	v_add_nc_u32_e32 v71, 0x4000, v71
	ds_store_2addr_b32 v71, v72, v73 offset1:136
.LBB1181_12:
	s_or_b32 exec_lo, exec_lo, s3
	v_lshlrev_b32_e32 v70, 2, v70
	s_load_b32 s35, s[0:1], 0x94
	s_waitcnt lgkmcnt(0)
	s_barrier
	buffer_gl0_inv
	v_add_nc_u32_e32 v74, 0x4000, v70
	v_cmp_eq_u32_e32 vcc_lo, 1, v69
	v_cmp_eq_u32_e64 s3, 2, v69
	v_cmp_eq_u32_e64 s4, 3, v69
	;; [unrolled: 1-line block ×3, first 2 shown]
	ds_load_2addr_b32 v[70:71], v74 offset1:17
	ds_load_2addr_b32 v[72:73], v74 offset0:34 offset1:51
	ds_load_2addr_b32 v[93:94], v74 offset0:68 offset1:85
	;; [unrolled: 1-line block ×3, first 2 shown]
	v_cmp_eq_u32_e64 s6, 7, v69
	s_waitcnt lgkmcnt(3)
	v_max3_f32 v75, v70, 0xff7fffff, v71
	s_waitcnt lgkmcnt(2)
	s_delay_alu instid0(VALU_DEP_1) | instskip(SKIP_1) | instid1(VALU_DEP_1)
	v_max3_f32 v75, v75, v72, v73
	s_waitcnt lgkmcnt(1)
	v_max3_f32 v75, v75, v93, v94
	s_waitcnt lgkmcnt(0)
	s_delay_alu instid0(VALU_DEP_1) | instskip(NEXT) | instid1(VALU_DEP_1)
	v_max3_f32 v75, v75, v95, v96
	v_sub_f32_e32 v93, v93, v75
	ds_load_2addr_b32 v[97:98], v74 offset0:136 offset1:153
	v_sub_f32_e32 v70, v70, v75
	v_dual_sub_f32 v100, v73, v75 :: v_dual_mul_f32 v103, 0x3fb8aa3b, v93
	s_delay_alu instid0(VALU_DEP_2) | instskip(SKIP_3) | instid1(VALU_DEP_1)
	v_dual_sub_f32 v76, v71, v75 :: v_dual_mul_f32 v99, 0x3fb8aa3b, v70
	ds_load_2addr_b32 v[70:71], v74 offset0:170 offset1:187
	v_mul_f32_e32 v76, 0x3fb8aa3b, v76
	v_exp_f32_e32 v99, v99
	v_exp_f32_e32 v102, v76
	v_mul_f32_e32 v100, 0x3fb8aa3b, v100
	s_waitcnt lgkmcnt(1)
	s_waitcnt_depctr 0xfff
	v_fma_f32 v76, v99, v97, 0
	v_sub_f32_e32 v97, v94, v75
	v_sub_f32_e32 v72, v72, v75
	v_exp_f32_e32 v100, v100
	ds_load_2addr_b32 v[93:94], v74 offset0:238 offset1:255
	v_dual_fmac_f32 v76, v102, v98 :: v_dual_mul_f32 v101, 0x3fb8aa3b, v72
	ds_load_2addr_b32 v[72:73], v74 offset0:204 offset1:221
	v_dual_sub_f32 v74, v95, v75 :: v_dual_mul_f32 v95, 0x3fb8aa3b, v97
	v_exp_f32_e32 v97, v103
	v_exp_f32_e32 v101, v101
	s_waitcnt lgkmcnt(0)
	s_delay_alu instid0(VALU_DEP_1)
	v_mul_f32_e32 v74, 0x3fb8aa3b, v74
	v_exp_f32_e32 v95, v95
	s_barrier
	buffer_gl0_inv
	v_fmac_f32_e32 v76, v101, v70
	v_sub_f32_e32 v70, v96, v75
	v_exp_f32_e32 v96, v74
	s_delay_alu instid0(VALU_DEP_2) | instskip(NEXT) | instid1(VALU_DEP_2)
	v_fmac_f32_e32 v76, v100, v71
	v_mul_f32_e32 v70, 0x3fb8aa3b, v70
	s_delay_alu instid0(VALU_DEP_2) | instskip(NEXT) | instid1(VALU_DEP_2)
	v_dual_cndmask_b32 v71, v99, v102 :: v_dual_fmac_f32 v76, v97, v72
	v_exp_f32_e32 v98, v70
	s_delay_alu instid0(VALU_DEP_1) | instskip(SKIP_2) | instid1(VALU_DEP_1)
	v_fmac_f32_e32 v76, v95, v73
	s_waitcnt_depctr 0xfff
	v_fmac_f32_e32 v76, v96, v93
	v_fmac_f32_e32 v76, v98, v94
	s_delay_alu instid0(VALU_DEP_1) | instskip(NEXT) | instid1(VALU_DEP_1)
	v_add_f32_e32 v93, 0x358637bd, v76
	v_div_scale_f32 v94, null, v93, v93, 1.0
	v_div_scale_f32 v99, vcc_lo, 1.0, v93, 1.0
	s_delay_alu instid0(VALU_DEP_2) | instskip(SKIP_2) | instid1(VALU_DEP_1)
	v_rcp_f32_e32 v103, v94
	s_waitcnt_depctr 0xfff
	v_fma_f32 v70, -v94, v103, 1.0
	v_fmac_f32_e32 v103, v70, v103
	v_cndmask_b32_e64 v70, v71, v101, s3
	v_cmp_eq_u32_e64 s3, 4, v69
	v_lshlrev_b32_e32 v71, 2, v66
	s_delay_alu instid0(VALU_DEP_4) | instskip(NEXT) | instid1(VALU_DEP_4)
	v_mul_f32_e32 v101, v99, v103
	v_cndmask_b32_e64 v72, v70, v100, s4
	v_cmp_eq_u32_e64 s4, 6, v69
	v_lshl_or_b32 v70, v69, 11, v68
	v_or_b32_e32 v74, 1, v71
	v_fma_f32 v73, -v94, v101, v99
	v_cndmask_b32_e64 v72, v72, v97, s3
	v_cmp_eq_u32_e64 s3, 1, v71
	v_lshl_or_b32 v69, v66, 4, v70
	v_cmp_eq_u32_e64 s9, 1, v74
	v_fmac_f32_e32 v101, v73, v103
	v_cndmask_b32_e64 v95, v72, v95, s5
	v_or_b32_e32 v72, 2, v71
	v_or_b32_e32 v73, 3, v71
	v_cmp_eq_u32_e64 s12, 2, v74
	v_fma_f32 v94, -v94, v101, v99
	v_cndmask_b32_e64 v95, v95, v96, s4
	v_cmp_eq_u32_e64 s10, 1, v72
	v_cmp_eq_u32_e64 s11, 1, v73
	;; [unrolled: 1-line block ×3, first 2 shown]
	v_div_fmas_f32 v94, v94, v103, v101
	v_cndmask_b32_e64 v95, v95, v98, s6
	v_cmp_eq_u32_e32 vcc_lo, 2, v71
	v_cmp_eq_u32_e64 s16, 2, v73
	v_cmp_eq_u32_e64 s18, 3, v73
	v_div_fixup_f32 v93, v94, v93, 1.0
	v_cmp_eq_u32_e64 s4, 3, v71
	v_cmp_eq_u32_e64 s13, 3, v74
	;; [unrolled: 1-line block ×4, first 2 shown]
	v_mul_f32_e32 v101, v95, v93
	v_cmp_eq_u32_e64 s5, 4, v71
	v_cmp_eq_u32_e64 s19, 4, v74
	;; [unrolled: 1-line block ×4, first 2 shown]
	v_fma_mixlo_f16 v93, v101, v78, 0
	v_fma_mixlo_f16 v94, v101, v80, 0
	;; [unrolled: 1-line block ×8, first 2 shown]
	v_fma_mixhi_f16 v93, v101, v77, 0
	v_fma_mixhi_f16 v94, v101, v79, 0
	;; [unrolled: 1-line block ×8, first 2 shown]
	ds_store_b128 v69, v[93:96]
	ds_store_b128 v69, v[97:100] offset:1024
	s_waitcnt lgkmcnt(0)
	s_barrier
	buffer_gl0_inv
	ds_load_b128 v[77:80], v70
	ds_load_b128 v[81:84], v70 offset:16
	ds_load_b128 v[85:88], v70 offset:1024
	;; [unrolled: 1-line block ×3, first 2 shown]
	v_cmp_eq_u32_e64 s6, 5, v71
	v_cmp_eq_u32_e64 s20, 5, v74
	;; [unrolled: 1-line block ×11, first 2 shown]
	s_waitcnt lgkmcnt(3)
	v_lshrrev_b32_e32 v93, 16, v77
	s_waitcnt lgkmcnt(2)
	v_lshrrev_b32_e32 v97, 16, v81
	;; [unrolled: 2-line block ×4, first 2 shown]
	v_lshrrev_b32_e32 v94, 16, v78
	v_cndmask_b32_e64 v109, v77, v93, s3
	v_cndmask_b32_e64 v110, v81, v97, s3
	;; [unrolled: 1-line block ×8, first 2 shown]
	v_lshrrev_b32_e32 v98, 16, v82
	v_cndmask_b32_e64 v93, v85, v101, s3
	v_cndmask_b32_e64 v97, v89, v105, s3
	;; [unrolled: 1-line block ×5, first 2 shown]
	v_cndmask_b32_e32 v101, v109, v78, vcc_lo
	v_cndmask_b32_e64 v109, v111, v78, s12
	v_cndmask_b32_e64 v111, v113, v78, s15
	;; [unrolled: 1-line block ×4, first 2 shown]
	v_lshrrev_b32_e32 v102, 16, v86
	v_lshrrev_b32_e32 v106, 16, v90
	v_cndmask_b32_e64 v116, v89, v105, s9
	v_cndmask_b32_e64 v118, v89, v105, s10
	;; [unrolled: 1-line block ×3, first 2 shown]
	v_cndmask_b32_e32 v105, v110, v82, vcc_lo
	v_cndmask_b32_e64 v110, v112, v82, s12
	v_cndmask_b32_e64 v112, v114, v82, s15
	v_cndmask_b32_e32 v81, v93, v86, vcc_lo
	v_cndmask_b32_e32 v82, v97, v90, vcc_lo
	v_cndmask_b32_e64 v93, v115, v86, s12
	v_cndmask_b32_e64 v77, v77, v94, s18
	;; [unrolled: 1-line block ×3, first 2 shown]
	v_lshrrev_b32_e32 v95, 16, v79
	v_lshrrev_b32_e32 v99, 16, v83
	v_cndmask_b32_e64 v97, v117, v86, s15
	v_cndmask_b32_e64 v85, v85, v86, s16
	;; [unrolled: 1-line block ×14, first 2 shown]
	v_lshrrev_b32_e32 v103, 16, v87
	v_cndmask_b32_e64 v89, v89, v79, s5
	v_cndmask_b32_e64 v94, v101, v83, s5
	v_cndmask_b32_e64 v98, v105, v79, s19
	v_cndmask_b32_e64 v101, v109, v83, s19
	v_cndmask_b32_e64 v105, v110, v79, s21
	v_cndmask_b32_e64 v109, v111, v83, s21
	v_cndmask_b32_e64 v79, v81, v87, s5
	v_cndmask_b32_e64 v81, v82, v91, s5
	v_cndmask_b32_e64 v82, v93, v87, s19
	v_cndmask_b32_e64 v77, v77, v95, s24
	v_cndmask_b32_e64 v78, v78, v99, s24
	v_lshrrev_b32_e32 v96, 16, v80
	v_lshrrev_b32_e32 v100, 16, v84
	v_cndmask_b32_e64 v83, v89, v95, s6
	v_cndmask_b32_e64 v89, v94, v99, s6
	;; [unrolled: 1-line block ×9, first 2 shown]
	v_lshrrev_b32_e32 v104, 16, v88
	v_cndmask_b32_e64 v79, v79, v103, s6
	v_cndmask_b32_e64 v83, v83, v80, s7
	;; [unrolled: 1-line block ×19, first 2 shown]
	v_perm_b32 v80, v78, v77, 0x5040100
	v_cndmask_b32_e64 v77, v116, v90, s12
	v_cndmask_b32_e64 v95, v79, v104, s8
	v_perm_b32 v79, v93, v89, 0x5040100
	v_perm_b32 v78, v94, v84, 0x5040100
	v_cndmask_b32_e64 v84, v97, v102, s17
	v_cndmask_b32_e64 v85, v85, v102, s18
	;; [unrolled: 1-line block ×5, first 2 shown]
	v_lshrrev_b32_e32 v107, 16, v91
	v_cndmask_b32_e64 v84, v84, v87, s21
	v_cndmask_b32_e64 v85, v85, v87, s22
	;; [unrolled: 1-line block ×11, first 2 shown]
	v_lshrrev_b32_e32 v108, 16, v92
	v_cndmask_b32_e64 v81, v81, v92, s7
	v_cndmask_b32_e64 v84, v84, v88, s26
	;; [unrolled: 1-line block ×12, first 2 shown]
	v_perm_b32 v77, v83, v82, 0x5040100
	v_perm_b32 v84, v85, v84, 0x5040100
	;; [unrolled: 1-line block ×5, first 2 shown]
	s_lshl_b32 s8, s33, 4
	s_mov_b32 s3, exec_lo
	ds_store_b128 v69, v[77:80]
	ds_store_b128 v69, v[81:84] offset:1024
	v_cmpx_gt_u32_e32 16, v0
	s_cbranch_execz .LBB1181_14
; %bb.13:
	v_or_b32_e32 v77, s31, v0
	s_load_b128 s[4:7], s[0:1], 0x58
	s_delay_alu instid0(VALU_DEP_1) | instskip(NEXT) | instid1(VALU_DEP_1)
	v_mad_u64_u32 v[78:79], null, s8, s34, v[77:78]
	v_mad_u64_u32 v[79:80], null, v78, s35, s[14:15]
	s_delay_alu instid0(VALU_DEP_1) | instskip(NEXT) | instid1(VALU_DEP_1)
	v_ashrrev_i32_e32 v80, 31, v79
	v_lshlrev_b64 v[77:78], 2, v[79:80]
	s_waitcnt lgkmcnt(0)
	s_delay_alu instid0(VALU_DEP_1) | instskip(NEXT) | instid1(VALU_DEP_2)
	v_add_co_u32 v79, vcc_lo, s6, v77
	v_add_co_ci_u32_e32 v80, vcc_lo, s7, v78, vcc_lo
	v_add_co_u32 v77, vcc_lo, s4, v77
	v_add_co_ci_u32_e32 v78, vcc_lo, s5, v78, vcc_lo
	global_store_b32 v[79:80], v75, off
	global_store_b32 v[77:78], v76, off
.LBB1181_14:
	s_or_b32 exec_lo, exec_lo, s3
	s_waitcnt lgkmcnt(0)
	s_waitcnt_vscnt null, 0x0
	s_barrier
	buffer_gl0_inv
	ds_load_b128 v[83:86], v68
	ds_load_b128 v[87:90], v68 offset:16
	ds_load_b128 v[95:98], v68 offset:2064
	;; [unrolled: 1-line block ×5, first 2 shown]
	v_cmp_eq_u32_e32 vcc_lo, 1, v71
	v_mov_b32_e32 v75, 0
	ds_load_b128 v[111:114], v68 offset:6160
	ds_load_b128 v[107:110], v68 offset:6144
	;; [unrolled: 1-line block ×4, first 2 shown]
	v_cmp_eq_u32_e64 s4, 1, v72
	v_cmp_eq_u32_e64 s3, 1, v74
	;; [unrolled: 1-line block ×3, first 2 shown]
	v_mov_b32_e32 v76, v75
	v_mov_b32_e32 v77, v75
	;; [unrolled: 1-line block ×7, first 2 shown]
	v_cmp_eq_u32_e64 s6, 3, v74
	v_cmp_eq_u32_e64 s7, 7, v74
	s_waitcnt lgkmcnt(8)
	s_delay_alu instid0(VALU_DEP_3)
	v_wmma_f32_16x16x16_f16 v[75:82], v[49:56], v[83:90], v[75:82]
	ds_load_b128 v[53:56], v68 offset:10256
	ds_load_b128 v[49:52], v68 offset:10240
	s_waitcnt lgkmcnt(8)
	v_wmma_f32_16x16x16_f16 v[75:82], v[41:48], v[91:98], v[75:82]
	ds_load_b128 v[45:48], v68 offset:12304
	ds_load_b128 v[41:44], v68 offset:12288
	s_waitcnt lgkmcnt(8)
	;; [unrolled: 4-line block ×3, first 2 shown]
	s_barrier
	buffer_gl0_inv
	v_wmma_f32_16x16x16_f16 v[75:82], v[1:8], v[107:114], v[75:82]
	s_delay_alu instid0(VALU_DEP_1) | instskip(NEXT) | instid1(VALU_DEP_1)
	v_wmma_f32_16x16x16_f16 v[75:82], v[9:16], v[115:122], v[75:82]
	v_wmma_f32_16x16x16_f16 v[75:82], v[17:24], v[49:56], v[75:82]
	s_delay_alu instid0(VALU_DEP_1) | instskip(NEXT) | instid1(VALU_DEP_1)
	v_wmma_f32_16x16x16_f16 v[75:82], v[25:32], v[41:48], v[75:82]
	v_wmma_f32_16x16x16_f16 v[75:82], v[57:64], v[33:40], v[75:82]
	s_delay_alu instid0(VALU_DEP_1) | instskip(NEXT) | instid1(VALU_DEP_2)
	v_cvt_f16_f32_e32 v1, v75
	v_cvt_f16_f32_e32 v2, v76
	s_delay_alu instid0(VALU_DEP_3) | instskip(NEXT) | instid1(VALU_DEP_4)
	v_cvt_f16_f32_e32 v3, v77
	v_cvt_f16_f32_e32 v4, v78
	;; [unrolled: 1-line block ×6, first 2 shown]
	v_pack_b32_f16 v1, v1, v2
	v_pack_b32_f16 v2, v3, v4
	;; [unrolled: 1-line block ×3, first 2 shown]
	s_delay_alu instid0(VALU_DEP_4)
	v_pack_b32_f16 v4, v7, v8
	ds_store_b128 v69, v[1:4]
	s_waitcnt lgkmcnt(0)
	s_barrier
	buffer_gl0_inv
	ds_load_b128 v[1:4], v70
	ds_load_b128 v[5:8], v70 offset:16
	s_waitcnt lgkmcnt(1)
	v_lshrrev_b32_e32 v9, 16, v1
	s_waitcnt lgkmcnt(0)
	v_lshrrev_b32_e32 v13, 16, v5
	v_lshrrev_b32_e32 v10, 16, v2
	;; [unrolled: 1-line block ×4, first 2 shown]
	v_cndmask_b32_e32 v17, v1, v9, vcc_lo
	v_cndmask_b32_e32 v18, v5, v13, vcc_lo
	v_cndmask_b32_e64 v21, v1, v9, s4
	v_cmp_eq_u32_e32 vcc_lo, 1, v73
	v_cndmask_b32_e64 v22, v5, v13, s4
	v_cmp_eq_u32_e64 s4, 2, v71
	v_cndmask_b32_e64 v19, v1, v9, s3
	v_cndmask_b32_e64 v20, v5, v13, s3
	v_cndmask_b32_e32 v1, v1, v9, vcc_lo
	v_cmp_eq_u32_e64 s3, 2, v73
	v_cndmask_b32_e32 v5, v5, v13, vcc_lo
	v_cndmask_b32_e64 v9, v17, v2, s4
	v_cmp_eq_u32_e32 vcc_lo, 3, v71
	v_cndmask_b32_e64 v13, v18, v6, s4
	v_cmp_eq_u32_e64 s4, 2, v72
	v_cndmask_b32_e64 v17, v19, v2, s5
	v_cndmask_b32_e64 v18, v20, v6, s5
	v_cmp_eq_u32_e64 s5, 3, v72
	v_cndmask_b32_e64 v1, v1, v2, s3
	v_cndmask_b32_e64 v19, v21, v2, s4
	;; [unrolled: 1-line block ×4, first 2 shown]
	v_cndmask_b32_e32 v5, v9, v10, vcc_lo
	v_cndmask_b32_e32 v6, v13, v14, vcc_lo
	v_cmp_eq_u32_e32 vcc_lo, 3, v73
	v_cndmask_b32_e64 v9, v17, v10, s6
	v_cndmask_b32_e64 v13, v18, v14, s6
	;; [unrolled: 1-line block ×3, first 2 shown]
	v_cmp_eq_u32_e64 s4, 4, v71
	v_cndmask_b32_e32 v1, v1, v10, vcc_lo
	v_cndmask_b32_e32 v2, v2, v14, vcc_lo
	v_cmp_eq_u32_e32 vcc_lo, 4, v74
	v_lshrrev_b32_e32 v15, 16, v7
	v_lshrrev_b32_e32 v16, 16, v8
	v_cndmask_b32_e64 v17, v19, v10, s5
	v_cmp_eq_u32_e64 s3, 4, v73
	v_cndmask_b32_e64 v5, v5, v3, s4
	v_cndmask_b32_e64 v6, v6, v7, s4
	v_cndmask_b32_e32 v9, v9, v3, vcc_lo
	v_cmp_eq_u32_e64 s4, 5, v74
	v_cndmask_b32_e32 v10, v13, v7, vcc_lo
	v_cmp_eq_u32_e32 vcc_lo, 4, v72
	v_cmp_eq_u32_e64 s5, 5, v71
	v_cndmask_b32_e64 v2, v2, v7, s3
	v_cndmask_b32_e64 v9, v9, v11, s4
	;; [unrolled: 1-line block ×3, first 2 shown]
	v_cndmask_b32_e32 v13, v17, v3, vcc_lo
	v_cmp_eq_u32_e64 s4, 5, v72
	v_cndmask_b32_e32 v14, v18, v7, vcc_lo
	v_cndmask_b32_e64 v1, v1, v3, s3
	v_cmp_eq_u32_e32 vcc_lo, 5, v73
	v_lshrrev_b32_e32 v12, 16, v4
	v_cndmask_b32_e64 v13, v13, v11, s4
	v_cndmask_b32_e64 v3, v14, v15, s4
	v_cmp_eq_u32_e64 s4, 6, v73
	v_cndmask_b32_e32 v1, v1, v11, vcc_lo
	v_cndmask_b32_e64 v5, v5, v11, s5
	v_cmp_eq_u32_e64 s6, 6, v71
	v_cndmask_b32_e64 v6, v6, v15, s5
	v_cmp_eq_u32_e64 s5, 6, v74
	v_cmp_eq_u32_e64 s3, 6, v72
	v_cndmask_b32_e64 v1, v1, v4, s4
	v_cndmask_b32_e32 v2, v2, v15, vcc_lo
	v_cmp_eq_u32_e32 vcc_lo, 7, v73
	v_cndmask_b32_e64 v5, v5, v4, s6
	v_cndmask_b32_e64 v9, v9, v4, s5
	;; [unrolled: 1-line block ×3, first 2 shown]
	v_cmp_eq_u32_e64 s6, 7, v71
	v_cndmask_b32_e32 v1, v1, v12, vcc_lo
	v_cndmask_b32_e64 v7, v13, v4, s3
	v_cndmask_b32_e64 v3, v3, v8, s3
	;; [unrolled: 1-line block ×3, first 2 shown]
	v_cmp_eq_u32_e64 s3, 7, v72
	v_cndmask_b32_e64 v4, v10, v8, s5
	v_cndmask_b32_e64 v5, v5, v12, s6
	;; [unrolled: 1-line block ×3, first 2 shown]
	v_cndmask_b32_e32 v2, v2, v16, vcc_lo
	v_cndmask_b32_e64 v7, v7, v12, s3
	v_cndmask_b32_e64 v3, v3, v16, s3
	;; [unrolled: 1-line block ×4, first 2 shown]
	v_cmp_gt_u32_e32 vcc_lo, 32, v0
	v_perm_b32 v4, v2, v1, 0x5040100
	v_perm_b32 v3, v3, v7, 0x5040100
	;; [unrolled: 1-line block ×4, first 2 shown]
	s_and_b32 s2, vcc_lo, s2
	ds_store_b128 v69, v[1:4]
	s_waitcnt lgkmcnt(0)
	s_barrier
	buffer_gl0_inv
	s_and_saveexec_b32 s3, s2
	s_cbranch_execz .LBB1181_2
; %bb.15:
	s_load_b64 s[0:1], s[0:1], 0x68
	v_lshlrev_b32_e32 v0, 10, v0
	s_lshl_b32 s4, s35, 6
	v_or_b32_e32 v23, s31, v66
	s_mul_i32 s2, s4, s34
	v_lshlrev_b32_e32 v1, 4, v67
	v_lshlrev_b32_e32 v2, 6, v66
	s_mul_i32 s2, s2, s8
	v_and_b32_e32 v0, 0x3800, v0
	v_mul_lo_u32 v8, v23, s4
	s_ashr_i32 s3, s2, 31
	v_or_b32_e32 v3, 2, v23
	s_lshl_b64 s[2:3], s[2:3], 1
	v_or3_b32 v27, v0, v1, v2
	v_or_b32_e32 v11, 4, v23
	v_or_b32_e32 v18, 6, v23
	v_mul_lo_u32 v10, v3, s4
	v_ashrrev_i32_e32 v9, 31, v8
	ds_load_b128 v[0:3], v27
	ds_load_b128 v[4:7], v27 offset:128
	v_mul_lo_u32 v12, v11, s4
	s_waitcnt lgkmcnt(0)
	s_add_u32 s2, s0, s2
	s_addc_u32 s3, s1, s3
	s_lshl_b32 s0, s14, 6
	v_lshlrev_b64 v[8:9], 1, v[8:9]
	s_ashr_i32 s1, s0, 31
	v_ashrrev_i32_e32 v11, 31, v10
	s_lshl_b64 s[0:1], s[0:1], 1
	v_ashrrev_i32_e32 v13, 31, v12
	s_add_u32 s0, s2, s0
	s_addc_u32 s1, s3, s1
	v_add_co_u32 v30, s0, s0, v65
	s_delay_alu instid0(VALU_DEP_1) | instskip(SKIP_1) | instid1(VALU_DEP_3)
	v_add_co_ci_u32_e64 v31, null, s1, 0, s0
	v_lshlrev_b64 v[16:17], 1, v[10:11]
	v_add_co_u32 v14, vcc_lo, v30, v8
	s_delay_alu instid0(VALU_DEP_3)
	v_add_co_ci_u32_e32 v15, vcc_lo, v31, v9, vcc_lo
	ds_load_b128 v[8:11], v27 offset:256
	v_mul_lo_u32 v18, v18, s4
	v_or_b32_e32 v19, 8, v23
	v_add_co_u32 v16, vcc_lo, v30, v16
	global_store_b128 v[14:15], v[0:3], off
	v_lshlrev_b64 v[0:1], 1, v[12:13]
	v_add_co_ci_u32_e32 v17, vcc_lo, v31, v17, vcc_lo
	v_mul_lo_u32 v12, v19, s4
	v_ashrrev_i32_e32 v19, 31, v18
	v_or_b32_e32 v14, 10, v23
	global_store_b128 v[16:17], v[4:7], off
	v_add_co_u32 v4, vcc_lo, v30, v0
	v_add_co_ci_u32_e32 v5, vcc_lo, v31, v1, vcc_lo
	ds_load_b128 v[0:3], v27 offset:384
	v_ashrrev_i32_e32 v13, 31, v12
	v_lshlrev_b64 v[6:7], 1, v[18:19]
	v_mul_lo_u32 v14, v14, s4
	s_waitcnt lgkmcnt(1)
	global_store_b128 v[4:5], v[8:11], off
	v_or_b32_e32 v8, 12, v23
	v_lshlrev_b64 v[4:5], 1, v[12:13]
	v_add_co_u32 v20, vcc_lo, v30, v6
	v_or_b32_e32 v6, 14, v23
	v_ashrrev_i32_e32 v15, 31, v14
	v_mul_lo_u32 v22, v8, s4
	v_add_co_ci_u32_e32 v21, vcc_lo, v31, v7, vcc_lo
	v_add_co_u32 v24, vcc_lo, v30, v4
	v_mul_lo_u32 v26, v6, s4
	v_add_co_ci_u32_e32 v25, vcc_lo, v31, v5, vcc_lo
	v_lshlrev_b64 v[28:29], 1, v[14:15]
	ds_load_b128 v[4:7], v27 offset:512
	ds_load_b128 v[8:11], v27 offset:640
	;; [unrolled: 1-line block ×4, first 2 shown]
	v_ashrrev_i32_e32 v23, 31, v22
	v_ashrrev_i32_e32 v27, 31, v26
	v_add_co_u32 v28, vcc_lo, v30, v28
	s_delay_alu instid0(VALU_DEP_3) | instskip(SKIP_1) | instid1(VALU_DEP_4)
	v_lshlrev_b64 v[22:23], 1, v[22:23]
	v_add_co_ci_u32_e32 v29, vcc_lo, v31, v29, vcc_lo
	v_lshlrev_b64 v[26:27], 1, v[26:27]
	s_delay_alu instid0(VALU_DEP_3) | instskip(NEXT) | instid1(VALU_DEP_4)
	v_add_co_u32 v22, vcc_lo, v30, v22
	v_add_co_ci_u32_e32 v23, vcc_lo, v31, v23, vcc_lo
	s_delay_alu instid0(VALU_DEP_3) | instskip(NEXT) | instid1(VALU_DEP_4)
	v_add_co_u32 v26, vcc_lo, v30, v26
	v_add_co_ci_u32_e32 v27, vcc_lo, v31, v27, vcc_lo
	s_waitcnt lgkmcnt(4)
	global_store_b128 v[20:21], v[0:3], off
	s_waitcnt lgkmcnt(3)
	global_store_b128 v[24:25], v[4:7], off
	;; [unrolled: 2-line block ×5, first 2 shown]
	s_nop 0
	s_sendmsg sendmsg(MSG_DEALLOC_VGPRS)
	s_endpgm
	.section	.rodata,"a",@progbits
	.p2align	6, 0x0
	.amdhsa_kernel _Z39paged_attention_ll4mi_QKV_mfma16_kernelIDF16_hLN4vllm18Fp8KVCacheDataTypeE1EhLi32ELi64ELi256ELb0ELi16EL8MFMAType0EEvPKT_PKT0_S8_ifPKiSA_SA_iPKfiiiPfSD_PS3_PT2_iSC_SC_
		.amdhsa_group_segment_fixed_size 17472
		.amdhsa_private_segment_fixed_size 0
		.amdhsa_kernarg_size 400
		.amdhsa_user_sgpr_count 13
		.amdhsa_user_sgpr_dispatch_ptr 0
		.amdhsa_user_sgpr_queue_ptr 0
		.amdhsa_user_sgpr_kernarg_segment_ptr 1
		.amdhsa_user_sgpr_dispatch_id 0
		.amdhsa_user_sgpr_private_segment_size 0
		.amdhsa_wavefront_size32 1
		.amdhsa_uses_dynamic_stack 0
		.amdhsa_enable_private_segment 0
		.amdhsa_system_sgpr_workgroup_id_x 1
		.amdhsa_system_sgpr_workgroup_id_y 1
		.amdhsa_system_sgpr_workgroup_id_z 1
		.amdhsa_system_sgpr_workgroup_info 0
		.amdhsa_system_vgpr_workitem_id 0
		.amdhsa_next_free_vgpr 123
		.amdhsa_next_free_sgpr 42
		.amdhsa_reserve_vcc 1
		.amdhsa_float_round_mode_32 0
		.amdhsa_float_round_mode_16_64 0
		.amdhsa_float_denorm_mode_32 3
		.amdhsa_float_denorm_mode_16_64 3
		.amdhsa_dx10_clamp 1
		.amdhsa_ieee_mode 1
		.amdhsa_fp16_overflow 0
		.amdhsa_workgroup_processor_mode 1
		.amdhsa_memory_ordered 1
		.amdhsa_forward_progress 0
		.amdhsa_shared_vgpr_count 0
		.amdhsa_exception_fp_ieee_invalid_op 0
		.amdhsa_exception_fp_denorm_src 0
		.amdhsa_exception_fp_ieee_div_zero 0
		.amdhsa_exception_fp_ieee_overflow 0
		.amdhsa_exception_fp_ieee_underflow 0
		.amdhsa_exception_fp_ieee_inexact 0
		.amdhsa_exception_int_div_zero 0
	.end_amdhsa_kernel
	.section	.text._Z39paged_attention_ll4mi_QKV_mfma16_kernelIDF16_hLN4vllm18Fp8KVCacheDataTypeE1EhLi32ELi64ELi256ELb0ELi16EL8MFMAType0EEvPKT_PKT0_S8_ifPKiSA_SA_iPKfiiiPfSD_PS3_PT2_iSC_SC_,"axG",@progbits,_Z39paged_attention_ll4mi_QKV_mfma16_kernelIDF16_hLN4vllm18Fp8KVCacheDataTypeE1EhLi32ELi64ELi256ELb0ELi16EL8MFMAType0EEvPKT_PKT0_S8_ifPKiSA_SA_iPKfiiiPfSD_PS3_PT2_iSC_SC_,comdat
.Lfunc_end1181:
	.size	_Z39paged_attention_ll4mi_QKV_mfma16_kernelIDF16_hLN4vllm18Fp8KVCacheDataTypeE1EhLi32ELi64ELi256ELb0ELi16EL8MFMAType0EEvPKT_PKT0_S8_ifPKiSA_SA_iPKfiiiPfSD_PS3_PT2_iSC_SC_, .Lfunc_end1181-_Z39paged_attention_ll4mi_QKV_mfma16_kernelIDF16_hLN4vllm18Fp8KVCacheDataTypeE1EhLi32ELi64ELi256ELb0ELi16EL8MFMAType0EEvPKT_PKT0_S8_ifPKiSA_SA_iPKfiiiPfSD_PS3_PT2_iSC_SC_
                                        ; -- End function
	.section	.AMDGPU.csdata,"",@progbits
; Kernel info:
; codeLenInByte = 6736
; NumSgprs: 44
; NumVgprs: 123
; ScratchSize: 0
; MemoryBound: 0
; FloatMode: 240
; IeeeMode: 1
; LDSByteSize: 17472 bytes/workgroup (compile time only)
; SGPRBlocks: 5
; VGPRBlocks: 15
; NumSGPRsForWavesPerEU: 44
; NumVGPRsForWavesPerEU: 123
; Occupancy: 10
; WaveLimiterHint : 1
; COMPUTE_PGM_RSRC2:SCRATCH_EN: 0
; COMPUTE_PGM_RSRC2:USER_SGPR: 13
; COMPUTE_PGM_RSRC2:TRAP_HANDLER: 0
; COMPUTE_PGM_RSRC2:TGID_X_EN: 1
; COMPUTE_PGM_RSRC2:TGID_Y_EN: 1
; COMPUTE_PGM_RSRC2:TGID_Z_EN: 1
; COMPUTE_PGM_RSRC2:TIDIG_COMP_CNT: 0
	.section	.text._Z39paged_attention_ll4mi_QKV_mfma16_kernelIDF16_hLN4vllm18Fp8KVCacheDataTypeE1EhLi32ELi64ELi256ELb0ELi1EL8MFMAType0EEvPKT_PKT0_S8_ifPKiSA_SA_iPKfiiiPfSD_PS3_PT2_iSC_SC_,"axG",@progbits,_Z39paged_attention_ll4mi_QKV_mfma16_kernelIDF16_hLN4vllm18Fp8KVCacheDataTypeE1EhLi32ELi64ELi256ELb0ELi1EL8MFMAType0EEvPKT_PKT0_S8_ifPKiSA_SA_iPKfiiiPfSD_PS3_PT2_iSC_SC_,comdat
	.protected	_Z39paged_attention_ll4mi_QKV_mfma16_kernelIDF16_hLN4vllm18Fp8KVCacheDataTypeE1EhLi32ELi64ELi256ELb0ELi1EL8MFMAType0EEvPKT_PKT0_S8_ifPKiSA_SA_iPKfiiiPfSD_PS3_PT2_iSC_SC_ ; -- Begin function _Z39paged_attention_ll4mi_QKV_mfma16_kernelIDF16_hLN4vllm18Fp8KVCacheDataTypeE1EhLi32ELi64ELi256ELb0ELi1EL8MFMAType0EEvPKT_PKT0_S8_ifPKiSA_SA_iPKfiiiPfSD_PS3_PT2_iSC_SC_
	.globl	_Z39paged_attention_ll4mi_QKV_mfma16_kernelIDF16_hLN4vllm18Fp8KVCacheDataTypeE1EhLi32ELi64ELi256ELb0ELi1EL8MFMAType0EEvPKT_PKT0_S8_ifPKiSA_SA_iPKfiiiPfSD_PS3_PT2_iSC_SC_
	.p2align	8
	.type	_Z39paged_attention_ll4mi_QKV_mfma16_kernelIDF16_hLN4vllm18Fp8KVCacheDataTypeE1EhLi32ELi64ELi256ELb0ELi1EL8MFMAType0EEvPKT_PKT0_S8_ifPKiSA_SA_iPKfiiiPfSD_PS3_PT2_iSC_SC_,@function
_Z39paged_attention_ll4mi_QKV_mfma16_kernelIDF16_hLN4vllm18Fp8KVCacheDataTypeE1EhLi32ELi64ELi256ELb0ELi1EL8MFMAType0EEvPKT_PKT0_S8_ifPKiSA_SA_iPKfiiiPfSD_PS3_PT2_iSC_SC_: ; @_Z39paged_attention_ll4mi_QKV_mfma16_kernelIDF16_hLN4vllm18Fp8KVCacheDataTypeE1EhLi32ELi64ELi256ELb0ELi1EL8MFMAType0EEvPKT_PKT0_S8_ifPKiSA_SA_iPKfiiiPfSD_PS3_PT2_iSC_SC_
; %bb.0:
	s_load_b64 s[4:5], s[0:1], 0x30
	s_mov_b32 s34, s13
	s_waitcnt lgkmcnt(0)
	s_cmp_lg_u64 s[4:5], 0
	s_cselect_b32 s6, -1, 0
	s_ashr_i32 s35, s13, 31
	s_cmp_eq_u64 s[4:5], 0
	s_cbranch_scc1 .LBB1182_3
; %bb.1:
	s_lshl_b64 s[2:3], s[34:35], 2
	s_delay_alu instid0(SALU_CYCLE_1) | instskip(SKIP_4) | instid1(SALU_CYCLE_1)
	s_add_u32 s2, s4, s2
	s_addc_u32 s3, s5, s3
	s_load_b64 s[2:3], s[2:3], 0x0
	s_waitcnt lgkmcnt(0)
	s_sub_i32 s2, s3, s2
	s_cmp_eq_u32 s2, 1
	s_cselect_b32 s2, -1, 0
	s_delay_alu instid0(SALU_CYCLE_1)
	s_and_not1_b32 vcc_lo, exec_lo, s2
	s_cbranch_vccz .LBB1182_4
.LBB1182_2:
	s_endpgm
.LBB1182_3:
.LBB1182_4:
	s_load_b64 s[2:3], s[0:1], 0x28
	s_lshl_b64 s[8:9], s[34:35], 2
	s_waitcnt lgkmcnt(0)
	s_add_u32 s2, s2, s8
	s_addc_u32 s3, s3, s9
	s_lshl_b32 s12, s14, 8
	s_load_b32 s33, s[2:3], 0x0
	s_waitcnt lgkmcnt(0)
	s_cmp_ge_i32 s12, s33
	s_cbranch_scc1 .LBB1182_2
; %bb.5:
	s_clause 0x1
	s_load_b128 s[28:31], s[0:1], 0x8
	s_load_b64 s[2:3], s[0:1], 0x20
	s_and_not1_b32 vcc_lo, exec_lo, s6
	s_mov_b64 s[6:7], s[34:35]
	s_cbranch_vccnz .LBB1182_7
; %bb.6:
	s_add_u32 s4, s4, s8
	s_addc_u32 s5, s5, s9
	s_load_b32 s6, s[4:5], 0x0
.LBB1182_7:
	s_load_b128 s[24:27], s[0:1], 0x48
	v_and_b32_e32 v73, 15, v0
	s_mov_b32 s13, exec_lo
                                        ; implicit-def: $sgpr16
                                        ; implicit-def: $sgpr4
	s_delay_alu instid0(VALU_DEP_1)
	v_cmpx_eq_u32_e32 0, v73
	s_cbranch_execz .LBB1182_9
; %bb.8:
	s_load_b64 s[4:5], s[0:1], 0x0
	s_waitcnt lgkmcnt(0)
	s_mul_hi_i32 s7, s6, s24
	s_mul_i32 s6, s6, s24
	s_delay_alu instid0(SALU_CYCLE_1) | instskip(NEXT) | instid1(SALU_CYCLE_1)
	s_lshl_b64 s[6:7], s[6:7], 1
	s_add_u32 s6, s4, s6
	s_addc_u32 s7, s5, s7
	s_lshl_b32 s4, s15, 6
	s_delay_alu instid0(SALU_CYCLE_1) | instskip(NEXT) | instid1(SALU_CYCLE_1)
	s_ashr_i32 s5, s4, 31
	s_lshl_b64 s[4:5], s[4:5], 1
	s_delay_alu instid0(SALU_CYCLE_1)
	s_add_u32 s4, s6, s4
	s_addc_u32 s5, s7, s5
	s_clause 0x1
	s_load_b256 s[16:23], s[4:5], 0x0
	s_load_b256 s[4:11], s[4:5], 0x40
.LBB1182_9:
	s_or_b32 exec_lo, exec_lo, s13
	v_and_b32_e32 v1, 0xef, v0
	s_waitcnt lgkmcnt(0)
	v_dual_mov_b32 v115, s23 :: v_dual_mov_b32 v108, s16
	v_mov_b32_e32 v114, s22
	s_add_i32 s13, s33, 31
	v_dual_mov_b32 v112, s20 :: v_dual_add_nc_u32 v1, s12, v1
	s_ashr_i32 s24, s13, 31
	s_load_b32 s27, s[0:1], 0x38
	s_lshr_b32 s24, s24, 27
	s_delay_alu instid0(VALU_DEP_1)
	v_ashrrev_i32_e32 v2, 31, v1
	v_or_b32_e32 v3, 16, v1
	s_add_i32 s13, s13, s24
	s_load_b32 s24, s[0:1], 0x1c
	s_ashr_i32 s13, s13, 5
	v_lshrrev_b32_e32 v2, 27, v2
	s_add_i32 s13, s13, -1
	v_cmp_gt_i32_e32 vcc_lo, s33, v1
	v_lshrrev_b32_e32 v66, 5, v0
	s_delay_alu instid0(VALU_DEP_3)
	v_dual_mov_b32 v111, s19 :: v_dual_add_nc_u32 v4, v1, v2
	v_mov_b32_e32 v113, s21
	v_mov_b32_e32 v109, s17
	v_and_b32_e32 v65, 0xe0, v0
	v_mbcnt_lo_u32_b32 v67, -1, 0
	v_ashrrev_i32_e32 v4, 5, v4
	v_add_nc_u32_e32 v2, v3, v2
	v_bfe_u32 v75, v0, 4, 1
	s_waitcnt lgkmcnt(0)
	s_mul_i32 s36, s34, s27
	v_xor_b32_e32 v68, 16, v67
	v_cndmask_b32_e32 v1, s13, v4, vcc_lo
	v_ashrrev_i32_e32 v2, 5, v2
	v_cmp_gt_i32_e32 vcc_lo, s33, v3
	s_ashr_i32 s37, s36, 31
	v_lshlrev_b32_e32 v74, 4, v73
	s_lshl_b64 s[36:37], s[36:37], 2
	v_mov_b32_e32 v110, s18
	v_cndmask_b32_e32 v3, s13, v2, vcc_lo
	v_ashrrev_i32_e32 v2, 31, v1
	s_add_u32 s36, s2, s36
	s_addc_u32 s35, s3, s37
	s_mul_i32 s37, s15, s26
	v_ashrrev_i32_e32 v4, 31, v3
	v_lshlrev_b64 v[1:2], 2, v[1:2]
	s_ashr_i32 s38, s37, 31
	s_add_u32 s40, s28, s37
	s_addc_u32 s41, s29, s38
	v_lshlrev_b64 v[3:4], 2, v[3:4]
	s_lshl_b32 s2, s14, 3
	v_add_co_u32 v1, vcc_lo, s36, v1
	v_add_co_ci_u32_e32 v2, vcc_lo, s35, v2, vcc_lo
	s_delay_alu instid0(VALU_DEP_3) | instskip(NEXT) | instid1(VALU_DEP_4)
	v_add_co_u32 v3, vcc_lo, s36, v3
	v_add_co_ci_u32_e32 v4, vcc_lo, s35, v4, vcc_lo
	s_clause 0x1
	global_load_b32 v5, v[1:2], off
	global_load_b32 v6, v[3:4], off
	s_ashr_i32 s3, s2, 31
	s_delay_alu instid0(SALU_CYCLE_1) | instskip(NEXT) | instid1(SALU_CYCLE_1)
	s_lshl_b64 s[2:3], s[2:3], 2
	s_add_u32 s2, s36, s2
	s_addc_u32 s3, s35, s3
	s_or_b32 s26, s12, 32
	s_delay_alu instid0(SALU_CYCLE_1) | instskip(SKIP_2) | instid1(SALU_CYCLE_1)
	s_ashr_i32 s27, s26, 5
	s_cmp_lt_i32 s26, s33
	s_cselect_b32 s26, s27, s13
	s_ashr_i32 s27, s26, 31
	s_delay_alu instid0(SALU_CYCLE_1) | instskip(NEXT) | instid1(SALU_CYCLE_1)
	s_lshl_b64 s[26:27], s[26:27], 2
	s_add_u32 s26, s36, s26
	s_addc_u32 s27, s35, s27
	s_or_b32 s28, s12, 64
	s_delay_alu instid0(SALU_CYCLE_1) | instskip(SKIP_2) | instid1(SALU_CYCLE_1)
	s_ashr_i32 s29, s28, 5
	s_cmp_lt_i32 s28, s33
	s_cselect_b32 s28, s29, s13
	;; [unrolled: 10-line block ×5, first 2 shown]
	s_ashr_i32 s29, s28, 31
	s_delay_alu instid0(SALU_CYCLE_1) | instskip(NEXT) | instid1(SALU_CYCLE_1)
	s_lshl_b64 s[28:29], s[28:29], 2
	s_add_u32 s48, s36, s28
	s_addc_u32 s49, s35, s29
	s_clause 0x5
	s_load_b32 s29, s[2:3], 0x0
	s_load_b32 s2, s[26:27], 0x0
	;; [unrolled: 1-line block ×6, first 2 shown]
	s_or_b32 s39, s12, 0xc0
	s_waitcnt vmcnt(1)
	v_mad_i64_i32 v[1:2], null, v5, s25, s[40:41]
	s_waitcnt vmcnt(0)
	v_mad_i64_i32 v[3:4], null, v6, s25, s[40:41]
	s_ashr_i32 s40, s39, 5
	s_cmp_lt_i32 s39, s33
	s_cselect_b32 s40, s40, s13
	s_delay_alu instid0(VALU_DEP_2) | instskip(NEXT) | instid1(VALU_DEP_3)
	v_add_co_u32 v1, vcc_lo, v1, v74
	v_add_co_ci_u32_e32 v2, vcc_lo, 0, v2, vcc_lo
	s_delay_alu instid0(VALU_DEP_3) | instskip(NEXT) | instid1(VALU_DEP_4)
	v_add_co_u32 v3, vcc_lo, v3, v74
	v_add_co_ci_u32_e32 v4, vcc_lo, 0, v4, vcc_lo
	s_clause 0x7
	global_load_b128 v[76:79], v[1:2], off
	global_load_b128 v[80:83], v[1:2], off offset:512
	global_load_b128 v[84:87], v[3:4], off offset:256
	;; [unrolled: 1-line block ×7, first 2 shown]
	s_ashr_i32 s41, s40, 31
	v_lshlrev_b32_e32 v1, 5, v73
	s_lshl_b64 s[40:41], s[40:41], 2
	v_cmp_gt_i32_e32 vcc_lo, 32, v68
	s_add_u32 s40, s36, s40
	s_addc_u32 s41, s35, s41
	s_or_b32 s39, s12, 0xe0
	v_lshl_or_b32 v1, v66, 9, v1
	s_ashr_i32 s42, s39, 5
	s_cmp_lt_i32 s39, s33
	s_cselect_b32 s42, s42, s13
	s_load_b32 s13, s[40:41], 0x0
	s_ashr_i32 s43, s42, 31
	s_delay_alu instid0(SALU_CYCLE_1) | instskip(NEXT) | instid1(SALU_CYCLE_1)
	s_lshl_b64 s[42:43], s[42:43], 2
	s_add_u32 s40, s36, s42
	s_addc_u32 s41, s35, s43
	s_add_u32 s30, s30, s37
	s_addc_u32 s31, s31, s38
	v_add_co_u32 v1, s30, s30, v1
	s_delay_alu instid0(VALU_DEP_1) | instskip(SKIP_3) | instid1(VALU_DEP_1)
	v_add_co_ci_u32_e64 v2, null, s31, 0, s30
	s_load_b32 s30, s[40:41], 0x0
	s_mov_b32 s36, 0
	s_waitcnt lgkmcnt(0)
	v_mad_i64_i32 v[3:4], null, s29, s25, v[1:2]
	v_mad_i64_i32 v[9:10], null, s26, s25, v[1:2]
	;; [unrolled: 1-line block ×7, first 2 shown]
	s_clause 0x5
	global_load_b128 v[49:52], v[3:4], off
	global_load_b128 v[53:56], v[3:4], off offset:16
	global_load_b128 v[41:44], v[5:6], off
	global_load_b128 v[45:48], v[5:6], off offset:16
	;; [unrolled: 2-line block ×3, first 2 shown]
	s_mov_b32 s43, s36
	s_mov_b32 s37, s36
	v_mad_i64_i32 v[61:62], null, s30, s25, v[1:2]
	s_clause 0x9
	global_load_b128 v[1:4], v[9:10], off
	global_load_b128 v[5:8], v[9:10], off offset:16
	global_load_b128 v[9:12], v[13:14], off
	global_load_b128 v[13:16], v[13:14], off offset:16
	;; [unrolled: 2-line block ×5, first 2 shown]
	s_mov_b32 s38, s36
	s_mov_b32 s39, s36
	;; [unrolled: 1-line block ×5, first 2 shown]
	v_mov_b32_e32 v123, s11
	v_mov_b32_e32 v131, s43
	v_dual_mov_b32 v121, s9 :: v_dual_mov_b32 v128, s40
	v_dual_mov_b32 v119, s7 :: v_dual_mov_b32 v126, s38
	;; [unrolled: 1-line block ×4, first 2 shown]
	v_mov_b32_e32 v127, s39
	v_dual_mov_b32 v125, s37 :: v_dual_mov_b32 v122, s10
	v_mov_b32_e32 v120, s8
	v_dual_mov_b32 v118, s6 :: v_dual_add_nc_u32 v65, s12, v65
	v_mov_b32_e32 v116, s4
	s_waitcnt vmcnt(0)
	s_barrier
	buffer_gl0_inv
	v_or_b32_e32 v65, v65, v75
	s_delay_alu instid0(VALU_DEP_1)
	v_or_b32_e32 v69, 4, v65
	v_or_b32_e32 v70, 6, v65
	;; [unrolled: 1-line block ×8, first 2 shown]
	v_cmp_gt_i32_e64 s3, s33, v69
	v_cmp_gt_i32_e64 s4, s33, v70
	;; [unrolled: 1-line block ×8, first 2 shown]
	v_wmma_f32_16x16x16_f16 v[132:139], v[76:83], v[108:115], v[124:131]
	v_or_b32_e32 v76, 20, v65
	v_or_b32_e32 v77, 22, v65
	v_or_b32_e32 v78, 24, v65
	s_delay_alu instid0(VALU_DEP_4)
	v_wmma_f32_16x16x16_f16 v[132:139], v[92:99], v[116:123], v[132:139]
	v_or_b32_e32 v79, 26, v65
	v_or_b32_e32 v80, 28, v65
	;; [unrolled: 1-line block ×3, first 2 shown]
	v_cmp_gt_i32_e64 s11, s33, v76
	v_mul_f32_e32 v82, s24, v139
	v_wmma_f32_16x16x16_f16 v[124:131], v[84:91], v[108:115], v[124:131]
	v_mul_f32_e32 v88, s24, v133
	v_mul_f32_e32 v86, s24, v135
	;; [unrolled: 1-line block ×3, first 2 shown]
	v_cmp_gt_i32_e64 s12, s33, v77
	v_wmma_f32_16x16x16_f16 v[124:131], v[100:107], v[116:123], v[124:131]
	v_cndmask_b32_e32 v67, v67, v68, vcc_lo
	v_or_b32_e32 v68, 2, v65
	v_cmp_gt_i32_e32 vcc_lo, s33, v65
	s_delay_alu instid0(VALU_DEP_4) | instskip(SKIP_1) | instid1(VALU_DEP_4)
	v_dual_mul_f32 v87, s24, v134 :: v_dual_mul_f32 v96, s24, v125
	v_dual_mul_f32 v90, s24, v131 :: v_dual_mul_f32 v89, s24, v132
	v_cmp_gt_i32_e64 s2, s33, v68
	v_dual_mul_f32 v85, s24, v136 :: v_dual_mul_f32 v94, s24, v127
	s_delay_alu instid0(VALU_DEP_4) | instskip(NEXT) | instid1(VALU_DEP_4)
	v_cndmask_b32_e64 v69, 0xff7fffff, v87, s3
	v_cndmask_b32_e32 v65, 0xff7fffff, v89, vcc_lo
	s_delay_alu instid0(VALU_DEP_4) | instskip(SKIP_3) | instid1(VALU_DEP_4)
	v_cndmask_b32_e64 v68, 0xff7fffff, v88, s2
	v_cndmask_b32_e64 v70, 0xff7fffff, v86, s4
	v_dual_mul_f32 v83, s24, v138 :: v_dual_mul_f32 v92, s24, v129
	v_cndmask_b32_e64 v71, 0xff7fffff, v84, s6
	v_max3_f32 v65, v65, 0xff7fffff, v68
	v_cndmask_b32_e64 v68, 0xff7fffff, v85, s5
	v_mul_f32_e32 v97, s24, v124
	v_mul_f32_e32 v95, s24, v126
	;; [unrolled: 1-line block ×3, first 2 shown]
	v_max3_f32 v65, v65, v69, v70
	v_cndmask_b32_e64 v69, 0xff7fffff, v83, s7
	v_cndmask_b32_e64 v70, 0xff7fffff, v82, s8
	v_cmp_gt_i32_e64 s13, s33, v78
	v_cmp_gt_i32_e64 s16, s33, v79
	v_max3_f32 v65, v65, v68, v71
	v_cndmask_b32_e64 v68, 0xff7fffff, v97, s9
	v_cndmask_b32_e64 v71, 0xff7fffff, v96, s10
	v_mul_f32_e32 v91, s24, v130
	v_cmp_gt_i32_e64 s17, s33, v80
	v_max3_f32 v65, v65, v69, v70
	v_cndmask_b32_e64 v69, 0xff7fffff, v95, s11
	v_cndmask_b32_e64 v70, 0xff7fffff, v94, s12
	v_cmp_gt_i32_e64 s18, s33, v81
	s_delay_alu instid0(VALU_DEP_4) | instskip(SKIP_2) | instid1(VALU_DEP_3)
	v_max3_f32 v65, v65, v68, v71
	v_cndmask_b32_e64 v68, 0xff7fffff, v93, s13
	v_cndmask_b32_e64 v71, 0xff7fffff, v92, s16
	v_max3_f32 v65, v65, v69, v70
	v_cndmask_b32_e64 v69, 0xff7fffff, v91, s17
	v_cndmask_b32_e64 v70, 0xff7fffff, v90, s18
	s_delay_alu instid0(VALU_DEP_3) | instskip(SKIP_1) | instid1(VALU_DEP_2)
	v_max3_f32 v65, v65, v68, v71
	v_lshlrev_b32_e32 v68, 2, v67
	v_max3_f32 v65, v65, v69, v70
	ds_bpermute_b32 v67, v68, v65
	s_waitcnt lgkmcnt(0)
	v_max_f32_e32 v67, v67, v67
	s_delay_alu instid0(VALU_DEP_1) | instskip(NEXT) | instid1(VALU_DEP_1)
	v_max_f32_e32 v65, v65, v67
	v_fma_f32 v80, s24, v124, -v65
	s_delay_alu instid0(VALU_DEP_1)
	v_mul_f32_e32 v80, 0x3fb8aa3b, v80
	v_fma_f32 v78, s24, v138, -v65
	v_fma_f32 v71, s24, v135, -v65
	;; [unrolled: 1-line block ×5, first 2 shown]
	v_mul_f32_e32 v78, 0x3fb8aa3b, v78
	v_exp_f32_e32 v80, v80
	v_mul_f32_e32 v67, 0x3fb8aa3b, v67
	v_fma_f32 v72, s24, v136, -v65
	v_mul_f32_e32 v70, 0x3fb8aa3b, v70
	v_exp_f32_e32 v78, v78
	s_delay_alu instid0(VALU_DEP_3) | instskip(NEXT) | instid1(VALU_DEP_2)
	v_exp_f32_e32 v67, v67
	v_mul_f32_e32 v72, 0x3fb8aa3b, v72
	s_delay_alu instid0(VALU_DEP_2) | instskip(SKIP_2) | instid1(VALU_DEP_3)
	v_exp_f32_e32 v76, v70
	v_cndmask_b32_e64 v88, 0, v80, s9
	v_fma_f32 v80, s24, v129, -v65
	v_exp_f32_e32 v79, v72
	v_cndmask_b32_e64 v86, 0, v78, s7
	v_fma_f32 v78, s24, v127, -v65
	v_mul_f32_e32 v71, 0x3fb8aa3b, v71
	s_delay_alu instid0(TRANS32_DEP_3) | instskip(SKIP_1) | instid1(TRANS32_DEP_2)
	v_cndmask_b32_e32 v70, 0, v67, vcc_lo
	v_fma_f32 v67, s24, v137, -v65
	v_cndmask_b32_e64 v72, 0, v76, s3
	v_mul_f32_e32 v78, 0x3fb8aa3b, v78
	v_exp_f32_e32 v71, v71
	v_dual_add_f32 v77, 0, v70 :: v_dual_mul_f32 v80, 0x3fb8aa3b, v80
	v_mul_f32_e32 v67, 0x3fb8aa3b, v67
	v_cndmask_b32_e64 v84, 0, v79, s5
	v_fma_f32 v79, s24, v125, -v65
	v_exp_f32_e32 v78, v78
	s_mov_b32 s3, exec_lo
	v_exp_f32_e32 v67, v67
	s_delay_alu instid0(TRANS32_DEP_3) | instskip(SKIP_2) | instid1(VALU_DEP_2)
	v_cndmask_b32_e64 v71, 0, v71, s4
	v_mul_f32_e32 v69, 0x3fb8aa3b, v69
	v_mul_f32_e32 v79, 0x3fb8aa3b, v79
	v_exp_f32_e32 v69, v69
	s_delay_alu instid0(VALU_DEP_1) | instskip(NEXT) | instid1(TRANS32_DEP_3)
	v_exp_f32_e32 v79, v79
	v_cndmask_b32_e64 v83, 0, v67, s6
	v_cndmask_b32_e64 v89, 0, v78, s12
	v_fma_f32 v78, s24, v131, -v65
	s_waitcnt_depctr 0xfff
	v_cndmask_b32_e64 v69, 0, v69, s2
	v_cndmask_b32_e64 v87, 0, v79, s10
	v_fma_f32 v79, s24, v130, -v65
	s_delay_alu instid0(VALU_DEP_3) | instskip(SKIP_1) | instid1(VALU_DEP_1)
	v_add_f32_e32 v76, v77, v69
	v_fma_f32 v77, s24, v139, -v65
	v_dual_add_f32 v76, v76, v72 :: v_dual_mul_f32 v77, 0x3fb8aa3b, v77
	s_delay_alu instid0(VALU_DEP_1) | instskip(NEXT) | instid1(VALU_DEP_1)
	v_add_f32_e32 v76, v76, v71
	v_add_f32_e32 v67, v76, v84
	v_fma_f32 v76, s24, v126, -v65
	s_delay_alu instid0(VALU_DEP_1) | instskip(NEXT) | instid1(VALU_DEP_1)
	v_dual_add_f32 v67, v67, v83 :: v_dual_mul_f32 v76, 0x3fb8aa3b, v76
	v_add_f32_e32 v67, v67, v86
	s_delay_alu instid0(VALU_DEP_2)
	v_exp_f32_e32 v76, v76
	s_waitcnt_depctr 0xfff
	v_cndmask_b32_e64 v90, 0, v76, s11
	v_mul_f32_e32 v76, 0x3fb8aa3b, v79
	v_exp_f32_e32 v77, v77
	v_exp_f32_e32 v79, v80
	s_delay_alu instid0(VALU_DEP_1) | instskip(NEXT) | instid1(TRANS32_DEP_3)
	v_exp_f32_e32 v76, v76
	v_cndmask_b32_e64 v85, 0, v77, s8
	v_fma_f32 v77, s24, v128, -v65
	s_waitcnt_depctr 0xfff
	v_cndmask_b32_e64 v91, 0, v79, s16
	v_cndmask_b32_e64 v94, 0, v76, s17
	v_add_f32_e32 v67, v67, v85
	v_dual_mul_f32 v77, 0x3fb8aa3b, v77 :: v_dual_and_b32 v76, 31, v0
	s_delay_alu instid0(VALU_DEP_2) | instskip(NEXT) | instid1(VALU_DEP_2)
	v_add_f32_e32 v67, v67, v88
	v_exp_f32_e32 v77, v77
	s_delay_alu instid0(VALU_DEP_2) | instskip(NEXT) | instid1(VALU_DEP_2)
	v_cmp_lt_u32_e64 s2, 15, v76
	v_add_f32_e32 v67, v67, v87
	s_delay_alu instid0(VALU_DEP_1) | instskip(SKIP_4) | instid1(VALU_DEP_2)
	v_add_f32_e32 v67, v67, v90
	s_waitcnt_depctr 0xfff
	v_cndmask_b32_e64 v92, 0, v77, s13
	v_mul_f32_e32 v77, 0x3fb8aa3b, v78
	v_add_f32_e32 v67, v67, v89
	v_exp_f32_e32 v77, v77
	s_delay_alu instid0(VALU_DEP_1) | instskip(NEXT) | instid1(VALU_DEP_1)
	v_add_f32_e32 v67, v67, v92
	v_add_f32_e32 v67, v67, v91
	s_waitcnt_depctr 0xfff
	v_cndmask_b32_e64 v93, 0, v77, s18
	v_add_f32_e32 v67, v67, v94
	s_delay_alu instid0(VALU_DEP_1)
	v_add_f32_e32 v67, v67, v93
	ds_bpermute_b32 v68, v68, v67
	v_cmpx_gt_u32_e32 16, v76
	s_cbranch_execz .LBB1182_11
; %bb.10:
	v_mul_u32_u24_e32 v76, 0x44, v66
	s_waitcnt lgkmcnt(0)
	v_add_f32_e32 v67, v67, v68
	s_delay_alu instid0(VALU_DEP_2) | instskip(NEXT) | instid1(VALU_DEP_1)
	v_lshl_add_u32 v76, v73, 2, v76
	v_add_nc_u32_e32 v68, 0x4000, v76
	ds_store_2addr_b32 v68, v65, v67 offset1:136
.LBB1182_11:
	s_or_b32 exec_lo, exec_lo, s3
	v_lshlrev_b32_e32 v65, 2, v73
	s_load_b64 s[36:37], s[0:1], 0x94
	s_waitcnt lgkmcnt(0)
	s_barrier
	buffer_gl0_inv
	v_add_nc_u32_e32 v65, 0x4000, v65
	v_cmp_eq_u32_e32 vcc_lo, 1, v66
	v_cmp_eq_u32_e64 s3, 2, v66
	v_cmp_eq_u32_e64 s5, 3, v66
	;; [unrolled: 1-line block ×3, first 2 shown]
	ds_load_2addr_b32 v[76:77], v65 offset1:17
	ds_load_2addr_b32 v[78:79], v65 offset0:34 offset1:51
	ds_load_2addr_b32 v[80:81], v65 offset0:68 offset1:85
	;; [unrolled: 1-line block ×3, first 2 shown]
	v_cmp_eq_u32_e64 s7, 5, v66
	v_cmp_eq_u32_e64 s4, 6, v66
	s_waitcnt lgkmcnt(3)
	v_max3_f32 v67, v76, 0xff7fffff, v77
	s_waitcnt lgkmcnt(2)
	s_delay_alu instid0(VALU_DEP_1) | instskip(SKIP_1) | instid1(VALU_DEP_1)
	v_max3_f32 v67, v67, v78, v79
	s_waitcnt lgkmcnt(1)
	v_max3_f32 v67, v67, v80, v81
	s_waitcnt lgkmcnt(0)
	s_delay_alu instid0(VALU_DEP_1) | instskip(NEXT) | instid1(VALU_DEP_1)
	v_max3_f32 v67, v67, v95, v96
	v_sub_f32_e32 v82, v77, v67
	ds_load_2addr_b32 v[97:98], v65 offset0:136 offset1:153
	v_sub_f32_e32 v68, v76, v67
	ds_load_2addr_b32 v[76:77], v65 offset0:170 offset1:187
	v_sub_f32_e32 v80, v80, v67
	v_mul_f32_e32 v82, 0x3fb8aa3b, v82
	v_mul_f32_e32 v68, 0x3fb8aa3b, v68
	s_delay_alu instid0(VALU_DEP_3) | instskip(NEXT) | instid1(VALU_DEP_2)
	v_mul_f32_e32 v102, 0x3fb8aa3b, v80
	v_exp_f32_e32 v99, v68
	v_sub_f32_e32 v68, v79, v67
	s_delay_alu instid0(VALU_DEP_1) | instskip(NEXT) | instid1(VALU_DEP_1)
	v_dual_sub_f32 v78, v78, v67 :: v_dual_mul_f32 v101, 0x3fb8aa3b, v68
	v_mul_f32_e32 v100, 0x3fb8aa3b, v78
	ds_load_2addr_b32 v[78:79], v65 offset0:204 offset1:221
	s_waitcnt lgkmcnt(2)
	v_fma_f32 v68, v99, v97, 0
	v_sub_f32_e32 v97, v81, v67
	ds_load_2addr_b32 v[80:81], v65 offset0:238 offset1:255
	v_sub_f32_e32 v65, v95, v67
	v_exp_f32_e32 v82, v82
	v_exp_f32_e32 v101, v101
	v_mul_f32_e32 v95, 0x3fb8aa3b, v97
	v_exp_f32_e32 v97, v102
	v_mul_f32_e32 v65, 0x3fb8aa3b, v65
	v_exp_f32_e32 v100, v100
	s_waitcnt lgkmcnt(0)
	v_exp_f32_e32 v95, v95
	s_barrier
	buffer_gl0_inv
	v_fmac_f32_e32 v68, v82, v98
	s_delay_alu instid0(VALU_DEP_1) | instskip(SKIP_2) | instid1(VALU_DEP_2)
	v_fmac_f32_e32 v68, v100, v76
	v_sub_f32_e32 v76, v96, v67
	v_exp_f32_e32 v96, v65
	v_fmac_f32_e32 v68, v101, v77
	s_delay_alu instid0(VALU_DEP_2) | instskip(NEXT) | instid1(VALU_DEP_2)
	v_mul_f32_e32 v76, 0x3fb8aa3b, v76
	v_fmac_f32_e32 v68, v97, v78
	s_delay_alu instid0(VALU_DEP_2) | instskip(SKIP_1) | instid1(VALU_DEP_2)
	v_exp_f32_e32 v98, v76
	v_cndmask_b32_e32 v76, v99, v82, vcc_lo
	v_fmac_f32_e32 v68, v95, v79
	s_delay_alu instid0(TRANS32_DEP_2) | instid1(VALU_DEP_1)
	v_fmac_f32_e32 v68, v96, v80
	v_lshlrev_b32_e32 v80, 6, v73
	s_waitcnt_depctr 0xfff
	v_fmac_f32_e32 v68, v98, v81
	v_lshl_or_b32 v82, v66, 11, v80
	s_delay_alu instid0(VALU_DEP_2) | instskip(NEXT) | instid1(VALU_DEP_1)
	v_add_f32_e32 v81, 0x358637bd, v68
	v_div_scale_f32 v102, null, v81, v81, 1.0
	v_div_scale_f32 v99, vcc_lo, 1.0, v81, 1.0
	s_delay_alu instid0(VALU_DEP_2) | instskip(SKIP_2) | instid1(VALU_DEP_1)
	v_rcp_f32_e32 v103, v102
	s_waitcnt_depctr 0xfff
	v_fma_f32 v65, -v102, v103, 1.0
	v_fmac_f32_e32 v103, v65, v103
	v_cndmask_b32_e64 v65, v76, v100, s3
	v_cmp_eq_u32_e64 s3, 7, v66
	v_lshlrev_b32_e32 v76, 2, v75
	s_delay_alu instid0(VALU_DEP_4) | instskip(NEXT) | instid1(VALU_DEP_4)
	v_mul_f32_e32 v100, v99, v103
	v_cndmask_b32_e64 v77, v65, v101, s5
	v_mov_b32_e32 v65, 0
	s_delay_alu instid0(VALU_DEP_4)
	v_or_b32_e32 v79, 1, v76
	v_cmp_eq_u32_e64 s5, 1, v76
	v_fma_f32 v78, -v102, v100, v99
	v_cndmask_b32_e64 v97, v77, v97, s6
	v_or_b32_e32 v77, 2, v76
	v_cmp_eq_u32_e64 s9, 1, v79
	v_cmp_eq_u32_e64 s6, 2, v76
	v_fmac_f32_e32 v100, v78, v103
	v_cndmask_b32_e64 v66, v97, v95, s7
	v_or_b32_e32 v78, 3, v76
	v_cmp_eq_u32_e64 s10, 1, v77
	v_cmp_eq_u32_e64 s12, 2, v79
	v_fma_f32 v95, -v102, v100, v99
	v_cndmask_b32_e64 v66, v66, v96, s4
	v_cmp_eq_u32_e64 s11, 1, v78
	v_cmp_eq_u32_e64 s17, 2, v78
	v_cmp_eq_u32_e64 s13, 3, v79
	v_div_fmas_f32 v95, v95, v103, v100
	v_cndmask_b32_e64 v66, v66, v98, s3
	v_cmp_eq_u32_e32 vcc_lo, 3, v76
	v_cmp_eq_u32_e64 s16, 2, v77
	v_cmp_eq_u32_e64 s19, 3, v78
	v_div_fixup_f32 v95, v95, v81, 1.0
	v_lshl_or_b32 v81, v75, 4, v82
	v_cmp_eq_u32_e64 s4, 4, v76
	v_cmp_eq_u32_e64 s18, 3, v77
	;; [unrolled: 1-line block ×3, first 2 shown]
	v_mul_f32_e32 v66, v66, v95
	v_cmp_eq_u32_e64 s23, 4, v78
	v_cmp_eq_u32_e64 s7, 5, v76
	;; [unrolled: 1-line block ×4, first 2 shown]
	v_fma_mixlo_f16 v95, v66, v70, 0
	v_fma_mixlo_f16 v96, v66, v72, 0
	;; [unrolled: 1-line block ×8, first 2 shown]
	v_fma_mixhi_f16 v95, v66, v69, 0
	v_fma_mixhi_f16 v96, v66, v71, 0
	v_fma_mixhi_f16 v97, v66, v83, 0
	v_fma_mixhi_f16 v98, v66, v85, 0
	v_fma_mixhi_f16 v99, v66, v87, 0
	v_fma_mixhi_f16 v100, v66, v89, 0
	v_fma_mixhi_f16 v101, v66, v91, 0
	v_fma_mixhi_f16 v102, v66, v93, 0
	ds_store_b128 v81, v[95:98]
	ds_store_b128 v81, v[99:102] offset:1024
	s_waitcnt lgkmcnt(0)
	s_barrier
	buffer_gl0_inv
	ds_load_b128 v[69:72], v82
	ds_load_b128 v[83:86], v82 offset:16
	ds_load_b128 v[87:90], v82 offset:1024
	;; [unrolled: 1-line block ×3, first 2 shown]
	v_cmp_eq_u32_e64 s25, 5, v78
	v_cmp_eq_u32_e64 s3, 6, v76
	;; [unrolled: 1-line block ×10, first 2 shown]
	s_waitcnt lgkmcnt(3)
	v_lshrrev_b32_e32 v66, 16, v69
	s_waitcnt lgkmcnt(2)
	v_lshrrev_b32_e32 v98, 16, v83
	;; [unrolled: 2-line block ×4, first 2 shown]
	v_lshrrev_b32_e32 v95, 16, v70
	v_cndmask_b32_e64 v110, v69, v66, s5
	v_cndmask_b32_e64 v111, v83, v98, s5
	;; [unrolled: 1-line block ×7, first 2 shown]
	v_lshrrev_b32_e32 v99, 16, v84
	v_cndmask_b32_e64 v115, v83, v98, s10
	v_cndmask_b32_e64 v83, v87, v102, s5
	;; [unrolled: 1-line block ×15, first 2 shown]
	v_lshrrev_b32_e32 v103, 16, v88
	v_lshrrev_b32_e32 v107, 16, v92
	v_cndmask_b32_e64 v112, v114, v70, s16
	v_cndmask_b32_e64 v113, v115, v84, s16
	;; [unrolled: 1-line block ×7, first 2 shown]
	v_cndmask_b32_e32 v88, v102, v95, vcc_lo
	v_cndmask_b32_e32 v102, v106, v99, vcc_lo
	v_cndmask_b32_e64 v106, v110, v95, s13
	v_cndmask_b32_e64 v110, v111, v99, s13
	;; [unrolled: 1-line block ×4, first 2 shown]
	v_lshrrev_b32_e32 v96, 16, v71
	v_lshrrev_b32_e32 v100, 16, v85
	v_cndmask_b32_e64 v111, v112, v95, s18
	v_cndmask_b32_e64 v112, v113, v99, s18
	v_cndmask_b32_e32 v70, v70, v103, vcc_lo
	v_cndmask_b32_e32 v83, v83, v107, vcc_lo
	v_cndmask_b32_e64 v84, v84, v103, s13
	v_cndmask_b32_e64 v88, v88, v71, s4
	v_cndmask_b32_e64 v95, v102, v85, s4
	v_cndmask_b32_e64 v99, v106, v71, s20
	v_cndmask_b32_e64 v102, v110, v85, s20
	v_cndmask_b32_e64 v66, v66, v71, s23
	v_cndmask_b32_e64 v69, v69, v85, s23
	v_lshrrev_b32_e32 v104, 16, v89
	v_lshrrev_b32_e32 v108, 16, v93
	v_cndmask_b32_e64 v106, v111, v71, s22
	v_cndmask_b32_e64 v110, v112, v85, s22
	;; [unrolled: 1-line block ×11, first 2 shown]
	v_lshrrev_b32_e32 v97, 16, v72
	v_lshrrev_b32_e32 v101, 16, v86
	v_cndmask_b32_e64 v99, v106, v96, s24
	v_cndmask_b32_e64 v102, v110, v100, s24
	;; [unrolled: 1-line block ×11, first 2 shown]
	v_lshrrev_b32_e32 v105, 16, v90
	v_cndmask_b32_e64 v96, v99, v72, s27
	v_cndmask_b32_e64 v99, v102, v86, s27
	;; [unrolled: 1-line block ×14, first 2 shown]
	v_perm_b32 v72, v69, v66, 0x5040100
	v_perm_b32 v70, v95, v85, 0x5040100
	v_cndmask_b32_e64 v66, v91, v92, s17
	v_cndmask_b32_e64 v69, v119, v92, s16
	v_cndmask_b32_e64 v85, v117, v92, s12
	v_cndmask_b32_e64 v99, v71, v105, s31
	v_perm_b32 v71, v96, v88, 0x5040100
	v_cndmask_b32_e64 v88, v98, v103, s18
	v_cndmask_b32_e64 v87, v87, v103, s19
	;; [unrolled: 1-line block ×15, first 2 shown]
	v_lshrrev_b32_e32 v109, 16, v94
	v_cndmask_b32_e64 v88, v88, v90, s27
	v_cndmask_b32_e64 v87, v87, v90, s28
	;; [unrolled: 1-line block ×11, first 2 shown]
	v_perm_b32 v69, v84, v83, 0x5040100
	v_perm_b32 v86, v66, v87, 0x5040100
	;; [unrolled: 1-line block ×5, first 2 shown]
	s_mov_b32 s3, exec_lo
	ds_store_b128 v81, v[69:72]
	ds_store_b128 v81, v[83:86] offset:1024
	v_cmpx_eq_u32_e32 0, v0
	s_cbranch_execz .LBB1182_13
; %bb.12:
	s_load_b128 s[4:7], s[0:1], 0x58
	s_mul_i32 s8, s37, s34
	s_delay_alu instid0(SALU_CYCLE_1) | instskip(NEXT) | instid1(SALU_CYCLE_1)
	s_add_i32 s8, s8, s15
	s_mul_i32 s8, s8, s36
	s_delay_alu instid0(SALU_CYCLE_1) | instskip(NEXT) | instid1(SALU_CYCLE_1)
	s_add_i32 s8, s8, s14
	s_ashr_i32 s9, s8, 31
	s_delay_alu instid0(SALU_CYCLE_1)
	s_lshl_b64 s[8:9], s[8:9], 2
	s_waitcnt lgkmcnt(0)
	s_add_u32 s6, s6, s8
	s_addc_u32 s7, s7, s9
	s_add_u32 s4, s4, s8
	s_addc_u32 s5, s5, s9
	s_clause 0x1
	global_store_b32 v65, v67, s[6:7]
	global_store_b32 v65, v68, s[4:5]
.LBB1182_13:
	s_or_b32 exec_lo, exec_lo, s3
	s_waitcnt lgkmcnt(0)
	s_waitcnt_vscnt null, 0x0
	s_barrier
	buffer_gl0_inv
	ds_load_b128 v[83:86], v80
	ds_load_b128 v[87:90], v80 offset:16
	ds_load_b128 v[95:98], v80 offset:2064
	;; [unrolled: 1-line block ×5, first 2 shown]
	v_mov_b32_e32 v66, v65
	v_mov_b32_e32 v67, v65
	v_mov_b32_e32 v68, v65
	v_mov_b32_e32 v69, v65
	v_mov_b32_e32 v70, v65
	v_mov_b32_e32 v71, v65
	v_mov_b32_e32 v72, v65
	ds_load_b128 v[111:114], v80 offset:6160
	ds_load_b128 v[107:110], v80 offset:6144
	;; [unrolled: 1-line block ×4, first 2 shown]
	v_cmp_eq_u32_e32 vcc_lo, 1, v76
	v_cmp_eq_u32_e64 s3, 1, v79
	v_cmp_eq_u32_e64 s4, 1, v78
	;; [unrolled: 1-line block ×5, first 2 shown]
	s_waitcnt lgkmcnt(8)
	v_wmma_f32_16x16x16_f16 v[65:72], v[49:56], v[83:90], v[65:72]
	ds_load_b128 v[53:56], v80 offset:10256
	ds_load_b128 v[49:52], v80 offset:10240
	s_waitcnt lgkmcnt(8)
	v_wmma_f32_16x16x16_f16 v[65:72], v[41:48], v[91:98], v[65:72]
	ds_load_b128 v[45:48], v80 offset:12304
	ds_load_b128 v[41:44], v80 offset:12288
	;; [unrolled: 4-line block ×3, first 2 shown]
	s_waitcnt lgkmcnt(0)
	s_barrier
	buffer_gl0_inv
	v_wmma_f32_16x16x16_f16 v[65:72], v[1:8], v[107:114], v[65:72]
	s_delay_alu instid0(VALU_DEP_1) | instskip(NEXT) | instid1(VALU_DEP_1)
	v_wmma_f32_16x16x16_f16 v[65:72], v[9:16], v[115:122], v[65:72]
	v_wmma_f32_16x16x16_f16 v[65:72], v[17:24], v[49:56], v[65:72]
	s_delay_alu instid0(VALU_DEP_1) | instskip(NEXT) | instid1(VALU_DEP_1)
	v_wmma_f32_16x16x16_f16 v[65:72], v[25:32], v[41:48], v[65:72]
	v_wmma_f32_16x16x16_f16 v[65:72], v[57:64], v[33:40], v[65:72]
	s_delay_alu instid0(VALU_DEP_1) | instskip(NEXT) | instid1(VALU_DEP_2)
	v_cvt_f16_f32_e32 v1, v65
	v_cvt_f16_f32_e32 v2, v66
	s_delay_alu instid0(VALU_DEP_3) | instskip(NEXT) | instid1(VALU_DEP_4)
	v_cvt_f16_f32_e32 v3, v67
	v_cvt_f16_f32_e32 v4, v68
	;; [unrolled: 1-line block ×6, first 2 shown]
	v_pack_b32_f16 v1, v1, v2
	v_pack_b32_f16 v2, v3, v4
	;; [unrolled: 1-line block ×3, first 2 shown]
	s_delay_alu instid0(VALU_DEP_4)
	v_pack_b32_f16 v4, v7, v8
	ds_store_b128 v81, v[1:4]
	s_waitcnt lgkmcnt(0)
	s_barrier
	buffer_gl0_inv
	ds_load_b128 v[1:4], v82
	ds_load_b128 v[5:8], v82 offset:16
	s_waitcnt lgkmcnt(1)
	v_lshrrev_b32_e32 v9, 16, v1
	s_waitcnt lgkmcnt(0)
	v_lshrrev_b32_e32 v13, 16, v5
	v_lshrrev_b32_e32 v16, 16, v8
	;; [unrolled: 1-line block ×4, first 2 shown]
	v_cndmask_b32_e32 v17, v1, v9, vcc_lo
	v_cndmask_b32_e32 v18, v5, v13, vcc_lo
	v_cmp_eq_u32_e32 vcc_lo, 1, v77
	v_cndmask_b32_e64 v19, v1, v9, s3
	v_cndmask_b32_e64 v20, v5, v13, s3
	v_cmp_eq_u32_e64 s3, 2, v77
	v_lshrrev_b32_e32 v11, 16, v3
	v_cndmask_b32_e32 v21, v1, v9, vcc_lo
	v_cndmask_b32_e32 v22, v5, v13, vcc_lo
	v_cndmask_b32_e64 v1, v1, v9, s4
	v_cmp_eq_u32_e32 vcc_lo, 2, v78
	v_cndmask_b32_e64 v5, v5, v13, s4
	v_cmp_eq_u32_e64 s4, 2, v79
	v_cndmask_b32_e64 v9, v17, v2, s5
	v_cndmask_b32_e64 v13, v18, v6, s5
	v_cmp_eq_u32_e64 s5, 3, v79
	v_cndmask_b32_e32 v1, v1, v2, vcc_lo
	v_cndmask_b32_e64 v17, v19, v2, s4
	v_cndmask_b32_e64 v18, v20, v6, s4
	;; [unrolled: 1-line block ×4, first 2 shown]
	v_cndmask_b32_e32 v2, v5, v6, vcc_lo
	v_cmp_eq_u32_e32 vcc_lo, 3, v77
	v_cmp_eq_u32_e64 s4, 3, v78
	v_cndmask_b32_e64 v5, v9, v10, s6
	v_cndmask_b32_e64 v6, v13, v14, s6
	;; [unrolled: 1-line block ×4, first 2 shown]
	v_cndmask_b32_e32 v17, v19, v10, vcc_lo
	v_cmp_eq_u32_e64 s3, 4, v77
	v_cndmask_b32_e32 v18, v20, v14, vcc_lo
	v_cndmask_b32_e64 v1, v1, v10, s4
	v_cmp_eq_u32_e32 vcc_lo, 4, v78
	v_cmp_eq_u32_e64 s5, 4, v76
	v_cndmask_b32_e64 v2, v2, v14, s4
	v_cmp_eq_u32_e64 s4, 4, v79
	v_lshrrev_b32_e32 v15, 16, v7
	v_cmp_eq_u32_e64 s6, 5, v76
	v_cndmask_b32_e64 v5, v5, v3, s5
	v_cndmask_b32_e64 v6, v6, v7, s5
	;; [unrolled: 1-line block ×6, first 2 shown]
	v_cmp_eq_u32_e64 s4, 5, v77
	v_cndmask_b32_e32 v1, v1, v3, vcc_lo
	v_cndmask_b32_e32 v2, v2, v7, vcc_lo
	v_cmp_eq_u32_e32 vcc_lo, 5, v78
	v_cmp_eq_u32_e64 s5, 5, v79
	v_cndmask_b32_e64 v5, v5, v11, s6
	v_cmp_eq_u32_e64 s3, 6, v76
	v_cndmask_b32_e64 v6, v6, v15, s6
	v_cndmask_b32_e64 v13, v13, v11, s4
	;; [unrolled: 1-line block ×3, first 2 shown]
	v_cndmask_b32_e32 v1, v1, v11, vcc_lo
	v_cmp_eq_u32_e64 s4, 6, v78
	v_cndmask_b32_e32 v2, v2, v15, vcc_lo
	v_cndmask_b32_e64 v9, v9, v11, s5
	v_cndmask_b32_e64 v10, v10, v15, s5
	v_cmp_eq_u32_e64 s5, 6, v79
	v_lshrrev_b32_e32 v12, 16, v4
	v_cndmask_b32_e64 v5, v5, v4, s3
	v_cndmask_b32_e64 v6, v6, v8, s3
	v_cmp_eq_u32_e64 s3, 7, v76
	v_cndmask_b32_e64 v1, v1, v4, s4
	v_cmp_eq_u32_e32 vcc_lo, 7, v78
	v_cndmask_b32_e64 v2, v2, v8, s4
	v_cndmask_b32_e64 v9, v9, v4, s5
	v_cmp_eq_u32_e64 s6, 7, v79
	v_cndmask_b32_e64 v7, v13, v4, s7
	v_cndmask_b32_e64 v3, v3, v8, s7
	v_cndmask_b32_e32 v2, v2, v16, vcc_lo
	v_cmp_eq_u32_e64 s4, 7, v77
	v_cndmask_b32_e64 v4, v10, v8, s5
	v_cndmask_b32_e64 v5, v5, v12, s3
	v_cndmask_b32_e32 v1, v1, v12, vcc_lo
	v_cndmask_b32_e64 v6, v6, v16, s3
	v_cmp_lt_u32_e32 vcc_lo, 31, v0
	v_cmp_lt_u32_e64 s3, 7, v73
	v_cndmask_b32_e64 v9, v9, v12, s6
	v_cndmask_b32_e64 v7, v7, v12, s4
	;; [unrolled: 1-line block ×4, first 2 shown]
	s_or_b32 s3, vcc_lo, s3
	v_perm_b32 v4, v2, v1, 0x5040100
	v_perm_b32 v1, v6, v5, 0x5040100
	;; [unrolled: 1-line block ×4, first 2 shown]
	s_or_b32 s2, s2, s3
	s_delay_alu instid0(SALU_CYCLE_1)
	s_xor_b32 s2, s2, -1
	ds_store_b128 v81, v[1:4]
	s_waitcnt lgkmcnt(0)
	s_barrier
	buffer_gl0_inv
	s_and_saveexec_b32 s3, s2
	s_cbranch_execz .LBB1182_2
; %bb.14:
	s_load_b64 s[0:1], s[0:1], 0x68
	v_lshlrev_b32_e32 v1, 10, v0
	v_and_b32_e32 v0, 1, v0
	v_lshlrev_b32_e32 v2, 6, v75
	s_lshl_b32 s4, s36, 6
	s_delay_alu instid0(VALU_DEP_3) | instskip(NEXT) | instid1(VALU_DEP_3)
	v_and_b32_e32 v1, 0x3800, v1
	v_lshlrev_b32_e32 v0, 4, v0
	s_mul_i32 s2, s4, s34
	s_delay_alu instid0(SALU_CYCLE_1) | instskip(NEXT) | instid1(VALU_DEP_1)
	s_mul_i32 s2, s2, s37
	v_or3_b32 v0, v1, v2, v0
	s_ashr_i32 s3, s2, 31
	s_delay_alu instid0(SALU_CYCLE_1)
	s_lshl_b64 s[2:3], s[2:3], 1
	ds_load_b128 v[0:3], v0
	s_waitcnt lgkmcnt(0)
	s_add_u32 s5, s0, s2
	s_addc_u32 s3, s1, s3
	s_lshl_b32 s0, s14, 6
	s_mul_i32 s2, s4, s15
	s_ashr_i32 s1, s0, 31
	s_delay_alu instid0(SALU_CYCLE_1) | instskip(NEXT) | instid1(SALU_CYCLE_1)
	s_lshl_b64 s[0:1], s[0:1], 1
	s_add_u32 s4, s5, s0
	s_addc_u32 s5, s3, s1
	s_ashr_i32 s3, s2, 31
	s_delay_alu instid0(SALU_CYCLE_1) | instskip(NEXT) | instid1(SALU_CYCLE_1)
	s_lshl_b64 s[0:1], s[2:3], 1
	s_add_u32 s0, s4, s0
	s_addc_u32 s1, s5, s1
	global_store_b128 v74, v[0:3], s[0:1]
	s_nop 0
	s_sendmsg sendmsg(MSG_DEALLOC_VGPRS)
	s_endpgm
	.section	.rodata,"a",@progbits
	.p2align	6, 0x0
	.amdhsa_kernel _Z39paged_attention_ll4mi_QKV_mfma16_kernelIDF16_hLN4vllm18Fp8KVCacheDataTypeE1EhLi32ELi64ELi256ELb0ELi1EL8MFMAType0EEvPKT_PKT0_S8_ifPKiSA_SA_iPKfiiiPfSD_PS3_PT2_iSC_SC_
		.amdhsa_group_segment_fixed_size 17472
		.amdhsa_private_segment_fixed_size 0
		.amdhsa_kernarg_size 400
		.amdhsa_user_sgpr_count 13
		.amdhsa_user_sgpr_dispatch_ptr 0
		.amdhsa_user_sgpr_queue_ptr 0
		.amdhsa_user_sgpr_kernarg_segment_ptr 1
		.amdhsa_user_sgpr_dispatch_id 0
		.amdhsa_user_sgpr_private_segment_size 0
		.amdhsa_wavefront_size32 1
		.amdhsa_uses_dynamic_stack 0
		.amdhsa_enable_private_segment 0
		.amdhsa_system_sgpr_workgroup_id_x 1
		.amdhsa_system_sgpr_workgroup_id_y 1
		.amdhsa_system_sgpr_workgroup_id_z 1
		.amdhsa_system_sgpr_workgroup_info 0
		.amdhsa_system_vgpr_workitem_id 0
		.amdhsa_next_free_vgpr 144
		.amdhsa_next_free_sgpr 50
		.amdhsa_reserve_vcc 1
		.amdhsa_float_round_mode_32 0
		.amdhsa_float_round_mode_16_64 0
		.amdhsa_float_denorm_mode_32 3
		.amdhsa_float_denorm_mode_16_64 3
		.amdhsa_dx10_clamp 1
		.amdhsa_ieee_mode 1
		.amdhsa_fp16_overflow 0
		.amdhsa_workgroup_processor_mode 1
		.amdhsa_memory_ordered 1
		.amdhsa_forward_progress 0
		.amdhsa_shared_vgpr_count 0
		.amdhsa_exception_fp_ieee_invalid_op 0
		.amdhsa_exception_fp_denorm_src 0
		.amdhsa_exception_fp_ieee_div_zero 0
		.amdhsa_exception_fp_ieee_overflow 0
		.amdhsa_exception_fp_ieee_underflow 0
		.amdhsa_exception_fp_ieee_inexact 0
		.amdhsa_exception_int_div_zero 0
	.end_amdhsa_kernel
	.section	.text._Z39paged_attention_ll4mi_QKV_mfma16_kernelIDF16_hLN4vllm18Fp8KVCacheDataTypeE1EhLi32ELi64ELi256ELb0ELi1EL8MFMAType0EEvPKT_PKT0_S8_ifPKiSA_SA_iPKfiiiPfSD_PS3_PT2_iSC_SC_,"axG",@progbits,_Z39paged_attention_ll4mi_QKV_mfma16_kernelIDF16_hLN4vllm18Fp8KVCacheDataTypeE1EhLi32ELi64ELi256ELb0ELi1EL8MFMAType0EEvPKT_PKT0_S8_ifPKiSA_SA_iPKfiiiPfSD_PS3_PT2_iSC_SC_,comdat
.Lfunc_end1182:
	.size	_Z39paged_attention_ll4mi_QKV_mfma16_kernelIDF16_hLN4vllm18Fp8KVCacheDataTypeE1EhLi32ELi64ELi256ELb0ELi1EL8MFMAType0EEvPKT_PKT0_S8_ifPKiSA_SA_iPKfiiiPfSD_PS3_PT2_iSC_SC_, .Lfunc_end1182-_Z39paged_attention_ll4mi_QKV_mfma16_kernelIDF16_hLN4vllm18Fp8KVCacheDataTypeE1EhLi32ELi64ELi256ELb0ELi1EL8MFMAType0EEvPKT_PKT0_S8_ifPKiSA_SA_iPKfiiiPfSD_PS3_PT2_iSC_SC_
                                        ; -- End function
	.section	.AMDGPU.csdata,"",@progbits
; Kernel info:
; codeLenInByte = 6224
; NumSgprs: 52
; NumVgprs: 144
; ScratchSize: 0
; MemoryBound: 1
; FloatMode: 240
; IeeeMode: 1
; LDSByteSize: 17472 bytes/workgroup (compile time only)
; SGPRBlocks: 6
; VGPRBlocks: 17
; NumSGPRsForWavesPerEU: 52
; NumVGPRsForWavesPerEU: 144
; Occupancy: 10
; WaveLimiterHint : 1
; COMPUTE_PGM_RSRC2:SCRATCH_EN: 0
; COMPUTE_PGM_RSRC2:USER_SGPR: 13
; COMPUTE_PGM_RSRC2:TRAP_HANDLER: 0
; COMPUTE_PGM_RSRC2:TGID_X_EN: 1
; COMPUTE_PGM_RSRC2:TGID_Y_EN: 1
; COMPUTE_PGM_RSRC2:TGID_Z_EN: 1
; COMPUTE_PGM_RSRC2:TIDIG_COMP_CNT: 0
	.section	.text._Z39paged_attention_ll4mi_QKV_mfma16_kernelIDF16_hLN4vllm18Fp8KVCacheDataTypeE1EhLi32ELi64ELi256ELb0ELi2EL8MFMAType0EEvPKT_PKT0_S8_ifPKiSA_SA_iPKfiiiPfSD_PS3_PT2_iSC_SC_,"axG",@progbits,_Z39paged_attention_ll4mi_QKV_mfma16_kernelIDF16_hLN4vllm18Fp8KVCacheDataTypeE1EhLi32ELi64ELi256ELb0ELi2EL8MFMAType0EEvPKT_PKT0_S8_ifPKiSA_SA_iPKfiiiPfSD_PS3_PT2_iSC_SC_,comdat
	.protected	_Z39paged_attention_ll4mi_QKV_mfma16_kernelIDF16_hLN4vllm18Fp8KVCacheDataTypeE1EhLi32ELi64ELi256ELb0ELi2EL8MFMAType0EEvPKT_PKT0_S8_ifPKiSA_SA_iPKfiiiPfSD_PS3_PT2_iSC_SC_ ; -- Begin function _Z39paged_attention_ll4mi_QKV_mfma16_kernelIDF16_hLN4vllm18Fp8KVCacheDataTypeE1EhLi32ELi64ELi256ELb0ELi2EL8MFMAType0EEvPKT_PKT0_S8_ifPKiSA_SA_iPKfiiiPfSD_PS3_PT2_iSC_SC_
	.globl	_Z39paged_attention_ll4mi_QKV_mfma16_kernelIDF16_hLN4vllm18Fp8KVCacheDataTypeE1EhLi32ELi64ELi256ELb0ELi2EL8MFMAType0EEvPKT_PKT0_S8_ifPKiSA_SA_iPKfiiiPfSD_PS3_PT2_iSC_SC_
	.p2align	8
	.type	_Z39paged_attention_ll4mi_QKV_mfma16_kernelIDF16_hLN4vllm18Fp8KVCacheDataTypeE1EhLi32ELi64ELi256ELb0ELi2EL8MFMAType0EEvPKT_PKT0_S8_ifPKiSA_SA_iPKfiiiPfSD_PS3_PT2_iSC_SC_,@function
_Z39paged_attention_ll4mi_QKV_mfma16_kernelIDF16_hLN4vllm18Fp8KVCacheDataTypeE1EhLi32ELi64ELi256ELb0ELi2EL8MFMAType0EEvPKT_PKT0_S8_ifPKiSA_SA_iPKfiiiPfSD_PS3_PT2_iSC_SC_: ; @_Z39paged_attention_ll4mi_QKV_mfma16_kernelIDF16_hLN4vllm18Fp8KVCacheDataTypeE1EhLi32ELi64ELi256ELb0ELi2EL8MFMAType0EEvPKT_PKT0_S8_ifPKiSA_SA_iPKfiiiPfSD_PS3_PT2_iSC_SC_
; %bb.0:
	s_load_b64 s[2:3], s[0:1], 0x30
	s_mov_b32 s30, s13
	s_waitcnt lgkmcnt(0)
	s_cmp_lg_u64 s[2:3], 0
	s_cselect_b32 s6, -1, 0
	s_ashr_i32 s31, s13, 31
	s_cmp_eq_u64 s[2:3], 0
	s_cbranch_scc1 .LBB1183_3
; %bb.1:
	s_lshl_b64 s[4:5], s[30:31], 2
	s_delay_alu instid0(SALU_CYCLE_1) | instskip(SKIP_4) | instid1(SALU_CYCLE_1)
	s_add_u32 s4, s2, s4
	s_addc_u32 s5, s3, s5
	s_load_b64 s[4:5], s[4:5], 0x0
	s_waitcnt lgkmcnt(0)
	s_sub_i32 s4, s5, s4
	s_cmp_eq_u32 s4, 1
	s_cselect_b32 s4, -1, 0
	s_delay_alu instid0(SALU_CYCLE_1)
	s_and_not1_b32 vcc_lo, exec_lo, s4
	s_cbranch_vccz .LBB1183_4
.LBB1183_2:
	s_endpgm
.LBB1183_3:
.LBB1183_4:
	s_load_b64 s[8:9], s[0:1], 0x28
	s_lshl_b64 s[4:5], s[30:31], 2
	s_waitcnt lgkmcnt(0)
	s_add_u32 s8, s8, s4
	s_addc_u32 s9, s9, s5
	s_lshl_b32 s16, s14, 8
	s_load_b32 s17, s[8:9], 0x0
	s_waitcnt lgkmcnt(0)
	s_cmp_ge_i32 s16, s17
	s_cbranch_scc1 .LBB1183_2
; %bb.5:
	s_clause 0x1
	s_load_b128 s[8:11], s[0:1], 0x8
	s_load_b64 s[12:13], s[0:1], 0x20
	s_and_not1_b32 vcc_lo, exec_lo, s6
	s_cbranch_vccnz .LBB1183_7
; %bb.6:
	s_add_u32 s2, s2, s4
	s_addc_u32 s3, s3, s5
	s_load_b32 s3, s[2:3], 0x0
	s_branch .LBB1183_8
.LBB1183_7:
	s_mov_b32 s3, s30
.LBB1183_8:
	s_load_b128 s[4:7], s[0:1], 0x48
	v_and_b32_e32 v70, 15, v0
	v_bfe_u32 v69, v0, 4, 1
	s_lshl_b32 s33, s15, 1
	v_cmp_gt_u32_e32 vcc_lo, 32, v0
	v_and_b32_e32 v71, 31, v0
	v_lshlrev_b32_e32 v1, 3, v70
	v_cmp_gt_u32_e64 s2, 8, v70
	v_and_b32_e32 v68, 1, v0
	v_or_b32_e32 v67, s33, v69
	v_lshlrev_b32_e32 v66, 6, v69
	v_lshlrev_b32_e32 v65, 1, v1
	s_and_b32 s31, vcc_lo, s2
	s_delay_alu instid0(SALU_CYCLE_1)
	s_and_saveexec_b32 s2, s31
	s_cbranch_execz .LBB1183_10
; %bb.9:
	s_load_b64 s[18:19], s[0:1], 0x0
	v_lshlrev_b32_e32 v1, 6, v67
	s_waitcnt lgkmcnt(0)
	s_mul_hi_i32 s21, s3, s4
	s_mul_i32 s20, s3, s4
	v_lshlrev_b32_e32 v5, 10, v70
	s_lshl_b64 s[20:21], s[20:21], 1
	v_ashrrev_i32_e32 v2, 31, v1
	v_lshlrev_b32_e32 v6, 10, v68
	s_delay_alu instid0(VALU_DEP_3) | instskip(NEXT) | instid1(VALU_DEP_3)
	v_and_b32_e32 v5, 0x3800, v5
	v_lshlrev_b64 v[1:2], 1, v[1:2]
	s_delay_alu instid0(VALU_DEP_2) | instskip(SKIP_2) | instid1(VALU_DEP_2)
	v_or3_b32 v5, v5, v6, v66
	s_add_u32 s3, s18, s20
	s_addc_u32 s4, s19, s21
	v_add_co_u32 v1, vcc_lo, s3, v1
	s_delay_alu instid0(VALU_DEP_3) | instskip(NEXT) | instid1(VALU_DEP_2)
	v_add_co_ci_u32_e32 v2, vcc_lo, s4, v2, vcc_lo
	v_add_co_u32 v1, vcc_lo, v1, v65
	s_delay_alu instid0(VALU_DEP_2)
	v_add_co_ci_u32_e32 v2, vcc_lo, 0, v2, vcc_lo
	global_load_b128 v[1:4], v[1:2], off
	s_waitcnt vmcnt(0)
	ds_store_b128 v5, v[1:4]
.LBB1183_10:
	s_or_b32 exec_lo, exec_lo, s2
	v_and_b32_e32 v1, 0xef, v0
	s_add_i32 s2, s17, 31
	s_waitcnt lgkmcnt(0)
	s_clause 0x1
	s_load_b32 s3, s[0:1], 0x38
	s_load_b32 s34, s[0:1], 0x98
	s_ashr_i32 s4, s2, 31
	v_add_nc_u32_e32 v1, s16, v1
	s_lshr_b32 s4, s4, 27
	s_load_b32 s18, s[0:1], 0x1c
	s_add_i32 s2, s2, s4
	s_waitcnt lgkmcnt(0)
	v_ashrrev_i32_e32 v2, 31, v1
	v_or_b32_e32 v3, 16, v1
	s_ashr_i32 s2, s2, 5
	v_cmp_gt_i32_e32 vcc_lo, s17, v1
	s_add_i32 s2, s2, -1
	v_lshrrev_b32_e32 v2, 27, v2
	s_barrier
	buffer_gl0_inv
	s_mul_i32 s15, s15, s6
	v_lshrrev_b32_e32 v72, 5, v0
	v_add_nc_u32_e32 v4, v1, v2
	v_mbcnt_lo_u32_b32 v129, -1, 0
	s_mul_i32 s20, s30, s3
	v_and_b32_e32 v105, 0xe0, v0
	s_ashr_i32 s21, s20, 31
	v_ashrrev_i32_e32 v4, 5, v4
	v_add_nc_u32_e32 v2, v3, v2
	s_lshl_b64 s[20:21], s[20:21], 2
	v_xor_b32_e32 v130, 16, v129
	s_add_u32 s19, s12, s20
	v_cndmask_b32_e32 v1, s2, v4, vcc_lo
	v_ashrrev_i32_e32 v2, 5, v2
	v_cmp_gt_i32_e32 vcc_lo, s17, v3
	s_addc_u32 s12, s13, s21
	s_ashr_i32 s13, s15, 31
	s_add_u32 s20, s8, s15
	s_addc_u32 s21, s9, s13
	v_cndmask_b32_e32 v3, s2, v2, vcc_lo
	v_ashrrev_i32_e32 v2, 31, v1
	s_lshl_b32 s6, s14, 3
	v_add_nc_u32_e32 v121, s16, v105
	s_ashr_i32 s7, s6, 31
	v_ashrrev_i32_e32 v4, 31, v3
	v_lshlrev_b64 v[1:2], 2, v[1:2]
	s_lshl_b64 s[6:7], s[6:7], 2
	v_or_b32_e32 v137, v121, v69
	s_add_u32 s6, s19, s6
	v_lshlrev_b64 v[3:4], 2, v[3:4]
	s_addc_u32 s7, s12, s7
	v_add_co_u32 v1, vcc_lo, s19, v1
	v_add_co_ci_u32_e32 v2, vcc_lo, s12, v2, vcc_lo
	s_delay_alu instid0(VALU_DEP_3) | instskip(NEXT) | instid1(VALU_DEP_4)
	v_add_co_u32 v3, vcc_lo, s19, v3
	v_add_co_ci_u32_e32 v4, vcc_lo, s12, v4, vcc_lo
	s_clause 0x1
	global_load_b32 v5, v[1:2], off
	global_load_b32 v6, v[3:4], off
	s_or_b32 s3, s16, 32
	v_or_b32_e32 v139, 2, v137
	s_ashr_i32 s4, s3, 5
	s_cmp_lt_i32 s3, s17
	v_or_b32_e32 v140, 4, v137
	s_cselect_b32 s8, s4, s2
	v_or_b32_e32 v141, 6, v137
	s_ashr_i32 s9, s8, 31
	v_or_b32_e32 v142, 8, v137
	s_lshl_b64 s[8:9], s[8:9], 2
	v_or_b32_e32 v143, 10, v137
	s_add_u32 s22, s19, s8
	s_addc_u32 s23, s12, s9
	s_or_b32 s3, s16, 64
	v_or_b32_e32 v144, 12, v137
	s_ashr_i32 s4, s3, 5
	s_cmp_lt_i32 s3, s17
	v_or_b32_e32 v145, 14, v137
	s_cselect_b32 s8, s4, s2
	v_or_b32_e32 v146, 16, v137
	s_ashr_i32 s9, s8, 31
	v_or_b32_e32 v147, 18, v137
	s_lshl_b64 s[8:9], s[8:9], 2
	s_delay_alu instid0(SALU_CYCLE_1) | instskip(SKIP_2) | instid1(SALU_CYCLE_1)
	s_add_u32 s24, s19, s8
	s_addc_u32 s25, s12, s9
	s_or_b32 s3, s16, 0x60
	s_ashr_i32 s4, s3, 5
	s_cmp_lt_i32 s3, s17
	s_cselect_b32 s8, s4, s2
	s_delay_alu instid0(SALU_CYCLE_1) | instskip(NEXT) | instid1(SALU_CYCLE_1)
	s_ashr_i32 s9, s8, 31
	s_lshl_b64 s[8:9], s[8:9], 2
	s_delay_alu instid0(SALU_CYCLE_1) | instskip(SKIP_2) | instid1(SALU_CYCLE_1)
	s_add_u32 s26, s19, s8
	s_addc_u32 s27, s12, s9
	s_or_b32 s3, s16, 0x80
	s_ashr_i32 s4, s3, 5
	s_cmp_lt_i32 s3, s17
	s_cselect_b32 s8, s4, s2
	s_delay_alu instid0(SALU_CYCLE_1) | instskip(NEXT) | instid1(SALU_CYCLE_1)
	s_ashr_i32 s9, s8, 31
	;; [unrolled: 10-line block ×3, first 2 shown]
	s_lshl_b64 s[8:9], s[8:9], 2
	s_delay_alu instid0(SALU_CYCLE_1)
	s_add_u32 s36, s19, s8
	s_addc_u32 s37, s12, s9
	s_clause 0x5
	s_load_b32 s9, s[6:7], 0x0
	s_load_b32 s3, s[22:23], 0x0
	s_load_b32 s4, s[24:25], 0x0
	s_load_b32 s6, s[26:27], 0x0
	s_load_b32 s7, s[28:29], 0x0
	s_load_b32 s8, s[36:37], 0x0
	s_waitcnt vmcnt(1)
	v_mad_i64_i32 v[1:2], null, v5, s5, s[20:21]
	v_lshlrev_b32_e32 v5, 4, v70
	s_waitcnt vmcnt(0)
	v_mad_i64_i32 v[3:4], null, v6, s5, s[20:21]
	s_or_b32 s20, s16, 0xc0
	s_delay_alu instid0(SALU_CYCLE_1) | instskip(NEXT) | instid1(VALU_DEP_3)
	s_ashr_i32 s21, s20, 5
	v_add_co_u32 v1, vcc_lo, v1, v5
	s_delay_alu instid0(VALU_DEP_4) | instskip(NEXT) | instid1(VALU_DEP_3)
	v_add_co_ci_u32_e32 v2, vcc_lo, 0, v2, vcc_lo
	v_add_co_u32 v3, vcc_lo, v3, v5
	s_delay_alu instid0(VALU_DEP_4)
	v_add_co_ci_u32_e32 v4, vcc_lo, 0, v4, vcc_lo
	s_clause 0x7
	global_load_b128 v[73:76], v[1:2], off
	global_load_b128 v[77:80], v[1:2], off offset:512
	global_load_b128 v[81:84], v[3:4], off offset:256
	;; [unrolled: 1-line block ×7, first 2 shown]
	s_cmp_lt_i32 s20, s17
	v_lshlrev_b32_e32 v1, 5, v70
	s_cselect_b32 s20, s21, s2
	v_cmp_gt_i32_e32 vcc_lo, 32, v130
	s_ashr_i32 s21, s20, 31
	v_lshlrev_b32_e32 v117, 6, v68
	s_lshl_b64 s[20:21], s[20:21], 2
	v_lshl_or_b32 v1, v72, 9, v1
	v_cndmask_b32_e32 v138, v129, v130, vcc_lo
	s_add_u32 s20, s19, s20
	s_addc_u32 s21, s12, s21
	s_or_b32 s22, s16, 0xe0
	v_cmp_gt_i32_e32 vcc_lo, s17, v137
	s_ashr_i32 s23, s22, 5
	s_cmp_lt_i32 s22, s17
	s_cselect_b32 s22, s23, s2
	s_load_b32 s2, s[20:21], 0x0
	s_ashr_i32 s23, s22, 31
	s_delay_alu instid0(SALU_CYCLE_1) | instskip(NEXT) | instid1(SALU_CYCLE_1)
	s_lshl_b64 s[22:23], s[22:23], 2
	s_add_u32 s20, s19, s22
	s_addc_u32 s21, s12, s23
	s_add_u32 s10, s10, s15
	s_addc_u32 s11, s11, s13
	v_add_co_u32 v1, s10, s10, v1
	s_delay_alu instid0(VALU_DEP_1) | instskip(SKIP_2) | instid1(VALU_DEP_1)
	v_add_co_ci_u32_e64 v2, null, s11, 0, s10
	s_load_b32 s10, s[20:21], 0x0
	s_waitcnt lgkmcnt(0)
	v_mad_i64_i32 v[3:4], null, s9, s5, v[1:2]
	v_mad_i64_i32 v[9:10], null, s6, s5, v[1:2]
	;; [unrolled: 1-line block ×7, first 2 shown]
	s_clause 0x5
	global_load_b128 v[49:52], v[3:4], off
	global_load_b128 v[53:56], v[3:4], off offset:16
	global_load_b128 v[41:44], v[5:6], off
	global_load_b128 v[45:48], v[5:6], off offset:16
	;; [unrolled: 2-line block ×3, first 2 shown]
	s_mov_b32 s4, 0
	v_cmp_gt_i32_e64 s2, s17, v139
	v_mad_i64_i32 v[61:62], null, s10, s5, v[1:2]
	s_clause 0x9
	global_load_b128 v[1:4], v[9:10], off
	global_load_b128 v[5:8], v[9:10], off offset:16
	global_load_b128 v[9:12], v[13:14], off
	global_load_b128 v[13:16], v[13:14], off offset:16
	;; [unrolled: 2-line block ×5, first 2 shown]
	ds_load_b128 v[105:108], v117
	ds_load_b128 v[109:112], v117 offset:1024
	ds_load_b128 v[113:116], v117 offset:2048
	;; [unrolled: 1-line block ×3, first 2 shown]
	s_mov_b32 s11, s4
	s_mov_b32 s5, s4
	;; [unrolled: 1-line block ×7, first 2 shown]
	s_delay_alu instid0(SALU_CYCLE_1)
	v_dual_mov_b32 v128, s11 :: v_dual_mov_b32 v127, s10
	v_dual_mov_b32 v126, s9 :: v_dual_mov_b32 v125, s8
	;; [unrolled: 1-line block ×4, first 2 shown]
	v_cmp_gt_i32_e64 s3, s17, v140
	v_cmp_gt_i32_e64 s4, s17, v141
	;; [unrolled: 1-line block ×8, first 2 shown]
	s_waitcnt vmcnt(0) lgkmcnt(0)
	s_barrier
	buffer_gl0_inv
	v_wmma_f32_16x16x16_f16 v[129:136], v[73:80], v[105:112], v[121:128]
	v_wmma_f32_16x16x16_f16 v[121:128], v[81:88], v[105:112], v[121:128]
	v_or_b32_e32 v73, 20, v137
	v_or_b32_e32 v74, 22, v137
	s_delay_alu instid0(VALU_DEP_4)
	v_wmma_f32_16x16x16_f16 v[129:136], v[89:96], v[113:120], v[129:136]
	v_or_b32_e32 v75, 24, v137
	v_wmma_f32_16x16x16_f16 v[121:128], v[97:104], v[113:120], v[121:128]
	v_or_b32_e32 v76, 26, v137
	v_cmp_gt_i32_e64 s11, s17, v73
	v_dual_mul_f32 v85, s18, v130 :: v_dual_mul_f32 v86, s18, v129
	s_delay_alu instid0(VALU_DEP_4) | instskip(SKIP_1) | instid1(VALU_DEP_3)
	v_dual_mul_f32 v83, s18, v132 :: v_dual_mul_f32 v94, s18, v121
	v_mul_f32_e32 v84, s18, v131
	v_cndmask_b32_e64 v85, 0xff7fffff, v85, s2
	s_delay_alu instid0(VALU_DEP_4)
	v_cndmask_b32_e32 v86, 0xff7fffff, v86, vcc_lo
	v_dual_mul_f32 v81, s18, v134 :: v_dual_mul_f32 v92, s18, v123
	v_mul_f32_e32 v82, s18, v133
	v_cndmask_b32_e64 v84, 0xff7fffff, v84, s3
	v_cndmask_b32_e64 v83, 0xff7fffff, v83, s4
	v_max3_f32 v85, v86, 0xff7fffff, v85
	v_dual_mul_f32 v79, s18, v136 :: v_dual_mul_f32 v90, s18, v125
	v_mul_f32_e32 v80, s18, v135
	v_cndmask_b32_e64 v82, 0xff7fffff, v82, s5
	v_cndmask_b32_e64 v81, 0xff7fffff, v81, s6
	v_max3_f32 v83, v85, v84, v83
	v_mul_f32_e32 v93, s18, v122
	v_cndmask_b32_e64 v80, 0xff7fffff, v80, s7
	v_cndmask_b32_e64 v79, 0xff7fffff, v79, s8
	v_mul_f32_e32 v91, s18, v124
	v_max3_f32 v81, v83, v82, v81
	v_cndmask_b32_e64 v82, 0xff7fffff, v94, s9
	v_cndmask_b32_e64 v83, 0xff7fffff, v93, s10
	v_cmp_gt_i32_e64 s12, s17, v74
	v_or_b32_e32 v77, 28, v137
	v_max3_f32 v79, v81, v80, v79
	v_or_b32_e32 v78, 30, v137
	v_mul_f32_e32 v89, s18, v126
	v_cndmask_b32_e64 v73, 0xff7fffff, v92, s11
	v_cndmask_b32_e64 v74, 0xff7fffff, v91, s12
	v_max3_f32 v79, v79, v82, v83
	v_cmp_gt_i32_e64 s13, s17, v75
	v_cmp_gt_i32_e64 s15, s17, v76
	v_dual_mul_f32 v87, s18, v128 :: v_dual_mul_f32 v88, s18, v127
	s_delay_alu instid0(VALU_DEP_4) | instskip(NEXT) | instid1(VALU_DEP_4)
	v_max3_f32 v73, v79, v73, v74
	v_cndmask_b32_e64 v75, 0xff7fffff, v90, s13
	s_delay_alu instid0(VALU_DEP_4) | instskip(SKIP_2) | instid1(VALU_DEP_3)
	v_cndmask_b32_e64 v76, 0xff7fffff, v89, s15
	v_cmp_gt_i32_e64 s16, s17, v77
	v_cmp_gt_i32_e64 s17, s17, v78
	v_max3_f32 v73, v73, v75, v76
	s_delay_alu instid0(VALU_DEP_3) | instskip(NEXT) | instid1(VALU_DEP_3)
	v_cndmask_b32_e64 v74, 0xff7fffff, v88, s16
	v_cndmask_b32_e64 v77, 0xff7fffff, v87, s17
	v_lshlrev_b32_e32 v75, 2, v138
	s_delay_alu instid0(VALU_DEP_2) | instskip(SKIP_3) | instid1(VALU_DEP_1)
	v_max3_f32 v73, v73, v74, v77
	ds_bpermute_b32 v74, v75, v73
	s_waitcnt lgkmcnt(0)
	v_max_f32_e32 v74, v74, v74
	v_max_f32_e32 v73, v73, v74
	s_delay_alu instid0(VALU_DEP_1)
	v_fma_f32 v74, s18, v129, -v73
	v_fma_f32 v76, s18, v130, -v73
	;; [unrolled: 1-line block ×5, first 2 shown]
	v_mul_f32_e32 v74, 0x3fb8aa3b, v74
	s_delay_alu instid0(VALU_DEP_4) | instskip(NEXT) | instid1(VALU_DEP_4)
	v_dual_mul_f32 v76, 0x3fb8aa3b, v76 :: v_dual_mul_f32 v77, 0x3fb8aa3b, v77
	v_mul_f32_e32 v78, 0x3fb8aa3b, v78
	s_delay_alu instid0(VALU_DEP_4) | instskip(NEXT) | instid1(VALU_DEP_4)
	v_mul_f32_e32 v80, 0x3fb8aa3b, v80
	v_exp_f32_e32 v74, v74
	s_delay_alu instid0(VALU_DEP_3) | instskip(SKIP_4) | instid1(VALU_DEP_1)
	v_exp_f32_e32 v76, v76
	v_exp_f32_e32 v77, v77
	;; [unrolled: 1-line block ×3, first 2 shown]
	v_fma_f32 v83, s18, v135, -v73
	v_exp_f32_e32 v84, v80
	v_mul_f32_e32 v83, 0x3fb8aa3b, v83
	v_cndmask_b32_e32 v79, 0, v74, vcc_lo
	v_fma_f32 v74, s18, v134, -v73
	v_cndmask_b32_e64 v78, 0, v76, s2
	s_delay_alu instid0(TRANS32_DEP_3) | instskip(NEXT) | instid1(TRANS32_DEP_2)
	v_cndmask_b32_e64 v81, 0, v77, s3
	v_cndmask_b32_e64 v80, 0, v82, s4
	v_add_f32_e32 v76, 0, v79
	v_mul_f32_e32 v74, 0x3fb8aa3b, v74
	v_fma_f32 v82, s18, v121, -v73
	v_exp_f32_e32 v85, v83
	v_cndmask_b32_e64 v83, 0, v84, s5
	v_add_f32_e32 v76, v76, v78
	v_exp_f32_e32 v74, v74
	v_mul_f32_e32 v86, 0x3fb8aa3b, v82
	s_mov_b32 s2, exec_lo
	s_delay_alu instid0(VALU_DEP_2) | instskip(SKIP_4) | instid1(VALU_DEP_2)
	v_add_f32_e32 v76, v76, v81
	s_waitcnt_depctr 0xfff
	v_cndmask_b32_e64 v85, 0, v85, s7
	v_add_f32_e32 v76, v76, v80
	v_cndmask_b32_e64 v82, 0, v74, s6
	v_add_f32_e32 v74, v76, v83
	v_fma_f32 v77, s18, v136, -v73
	v_fma_f32 v84, s18, v122, -v73
	;; [unrolled: 1-line block ×5, first 2 shown]
	s_delay_alu instid0(VALU_DEP_4) | instskip(NEXT) | instid1(VALU_DEP_3)
	v_dual_mul_f32 v77, 0x3fb8aa3b, v77 :: v_dual_mul_f32 v84, 0x3fb8aa3b, v84
	v_dual_mul_f32 v76, 0x3fb8aa3b, v76 :: v_dual_mul_f32 v89, 0x3fb8aa3b, v87
	v_exp_f32_e32 v86, v86
	s_delay_alu instid0(VALU_DEP_2) | instskip(NEXT) | instid1(VALU_DEP_2)
	v_exp_f32_e32 v77, v77
	v_exp_f32_e32 v88, v84
	s_delay_alu instid0(VALU_DEP_1)
	v_exp_f32_e32 v76, v76
	v_exp_f32_e32 v91, v89
	v_fma_f32 v90, s18, v126, -v73
	v_cndmask_b32_e64 v87, 0, v86, s9
	v_cndmask_b32_e64 v84, 0, v77, s8
	v_fma_f32 v77, s18, v125, -v73
	v_add_f32_e32 v74, v74, v82
	s_delay_alu instid0(TRANS32_DEP_3) | instskip(SKIP_1) | instid1(TRANS32_DEP_2)
	v_cndmask_b32_e64 v86, 0, v88, s10
	v_fma_f32 v88, s18, v127, -v73
	v_cndmask_b32_e64 v89, 0, v76, s11
	v_mul_f32_e32 v77, 0x3fb8aa3b, v77
	v_add_f32_e32 v74, v74, v85
	v_mul_f32_e32 v90, 0x3fb8aa3b, v90
	v_mul_f32_e32 v76, 0x3fb8aa3b, v88
	v_cndmask_b32_e64 v88, 0, v91, s12
	v_exp_f32_e32 v77, v77
	s_delay_alu instid0(VALU_DEP_3) | instskip(NEXT) | instid1(VALU_DEP_2)
	v_exp_f32_e32 v90, v90
	v_exp_f32_e32 v76, v76
	s_delay_alu instid0(TRANS32_DEP_3)
	v_cndmask_b32_e64 v91, 0, v77, s13
	v_mul_f32_e32 v77, 0x3fb8aa3b, v92
	v_add_f32_e32 v74, v74, v84
	s_waitcnt_depctr 0xfff
	v_cndmask_b32_e64 v90, 0, v90, s15
	v_cndmask_b32_e64 v93, 0, v76, s16
	v_exp_f32_e32 v77, v77
	v_add_f32_e32 v74, v74, v87
	s_delay_alu instid0(VALU_DEP_1) | instskip(SKIP_3) | instid1(VALU_DEP_1)
	v_add_f32_e32 v74, v74, v86
	s_waitcnt_depctr 0xfff
	v_cndmask_b32_e64 v92, 0, v77, s17
	v_add_f32_e32 v74, v74, v89
	v_add_f32_e32 v74, v74, v88
	s_delay_alu instid0(VALU_DEP_1) | instskip(NEXT) | instid1(VALU_DEP_1)
	v_add_f32_e32 v74, v74, v91
	v_add_f32_e32 v74, v74, v90
	s_delay_alu instid0(VALU_DEP_1) | instskip(NEXT) | instid1(VALU_DEP_1)
	v_add_f32_e32 v74, v74, v93
	v_add_f32_e32 v74, v74, v92
	ds_bpermute_b32 v75, v75, v74
	v_cmpx_gt_u32_e32 16, v71
	s_cbranch_execz .LBB1183_12
; %bb.11:
	v_mul_u32_u24_e32 v71, 0x44, v72
	s_waitcnt lgkmcnt(0)
	v_add_f32_e32 v74, v74, v75
	s_delay_alu instid0(VALU_DEP_2) | instskip(NEXT) | instid1(VALU_DEP_1)
	v_lshl_add_u32 v71, v70, 2, v71
	v_add_nc_u32_e32 v71, 0x4000, v71
	ds_store_2addr_b32 v71, v73, v74 offset1:136
.LBB1183_12:
	s_or_b32 exec_lo, exec_lo, s2
	v_lshlrev_b32_e32 v71, 2, v70
	s_load_b32 s35, s[0:1], 0x94
	s_waitcnt lgkmcnt(0)
	s_barrier
	buffer_gl0_inv
	v_add_nc_u32_e32 v71, 0x4000, v71
	v_cmp_eq_u32_e32 vcc_lo, 1, v72
	v_cmp_eq_u32_e64 s2, 2, v72
	v_cmp_eq_u32_e64 s3, 3, v72
	;; [unrolled: 1-line block ×3, first 2 shown]
	ds_load_2addr_b32 v[73:74], v71 offset1:17
	ds_load_2addr_b32 v[94:95], v71 offset0:34 offset1:51
	ds_load_2addr_b32 v[96:97], v71 offset0:68 offset1:85
	;; [unrolled: 1-line block ×3, first 2 shown]
	v_cmp_eq_u32_e64 s5, 5, v72
	v_cmp_eq_u32_e64 s6, 7, v72
	s_waitcnt lgkmcnt(3)
	v_max3_f32 v75, v73, 0xff7fffff, v74
	s_waitcnt lgkmcnt(2)
	s_delay_alu instid0(VALU_DEP_1) | instskip(SKIP_1) | instid1(VALU_DEP_1)
	v_max3_f32 v75, v75, v94, v95
	s_waitcnt lgkmcnt(1)
	v_max3_f32 v75, v75, v96, v97
	s_waitcnt lgkmcnt(0)
	s_delay_alu instid0(VALU_DEP_1) | instskip(NEXT) | instid1(VALU_DEP_1)
	v_max3_f32 v76, v75, v98, v99
	v_sub_f32_e32 v96, v96, v76
	ds_load_2addr_b32 v[100:101], v71 offset0:136 offset1:153
	v_sub_f32_e32 v73, v73, v76
	v_sub_f32_e32 v75, v74, v76
	;; [unrolled: 1-line block ×3, first 2 shown]
	v_mul_f32_e32 v105, 0x3fb8aa3b, v96
	s_delay_alu instid0(VALU_DEP_4)
	v_mul_f32_e32 v77, 0x3fb8aa3b, v73
	ds_load_2addr_b32 v[73:74], v71 offset0:170 offset1:187
	v_mul_f32_e32 v103, 0x3fb8aa3b, v94
	v_exp_f32_e32 v102, v77
	v_sub_f32_e32 v77, v95, v76
	ds_load_2addr_b32 v[94:95], v71 offset0:204 offset1:221
	v_exp_f32_e32 v103, v103
	v_mul_f32_e32 v104, 0x3fb8aa3b, v77
	s_waitcnt lgkmcnt(2)
	v_fma_f32 v77, v102, v100, 0
	v_dual_sub_f32 v100, v97, v76 :: v_dual_mul_f32 v75, 0x3fb8aa3b, v75
	ds_load_2addr_b32 v[96:97], v71 offset0:238 offset1:255
	v_sub_f32_e32 v71, v98, v76
	v_exp_f32_e32 v104, v104
	v_mul_f32_e32 v98, 0x3fb8aa3b, v100
	v_exp_f32_e32 v75, v75
	v_exp_f32_e32 v100, v105
	v_mul_f32_e32 v71, 0x3fb8aa3b, v71
	s_waitcnt lgkmcnt(0)
	v_exp_f32_e32 v98, v98
	s_barrier
	buffer_gl0_inv
	v_fmac_f32_e32 v77, v75, v101
	s_delay_alu instid0(VALU_DEP_1) | instskip(SKIP_2) | instid1(VALU_DEP_2)
	v_fmac_f32_e32 v77, v103, v73
	v_sub_f32_e32 v73, v99, v76
	v_exp_f32_e32 v99, v71
	v_fmac_f32_e32 v77, v104, v74
	s_delay_alu instid0(VALU_DEP_2) | instskip(NEXT) | instid1(VALU_DEP_2)
	v_dual_mul_f32 v73, 0x3fb8aa3b, v73 :: v_dual_lshlrev_b32 v74, 6, v70
	v_dual_fmac_f32 v77, v100, v94 :: v_dual_lshlrev_b32 v70, 2, v69
	s_delay_alu instid0(VALU_DEP_2) | instskip(SKIP_1) | instid1(VALU_DEP_3)
	v_exp_f32_e32 v94, v73
	v_cndmask_b32_e32 v73, v102, v75, vcc_lo
	v_lshl_or_b32 v75, v72, 11, v74
	s_delay_alu instid0(VALU_DEP_3) | instskip(SKIP_1) | instid1(VALU_DEP_3)
	v_cmp_eq_u32_e64 s7, 7, v70
	v_fmac_f32_e32 v77, v98, v95
	v_lshl_or_b32 v69, v69, 4, v75
	s_delay_alu instid0(VALU_DEP_2)
	v_fmac_f32_e32 v77, v99, v96
	s_delay_alu instid0(TRANS32_DEP_1) | instid1(VALU_DEP_1)
	v_fmac_f32_e32 v77, v94, v97
	s_delay_alu instid0(VALU_DEP_1) | instskip(NEXT) | instid1(VALU_DEP_1)
	v_add_f32_e32 v95, 0x358637bd, v77
	v_div_scale_f32 v96, null, v95, v95, 1.0
	v_div_scale_f32 v101, vcc_lo, 1.0, v95, 1.0
	s_delay_alu instid0(VALU_DEP_2) | instskip(SKIP_2) | instid1(VALU_DEP_1)
	v_rcp_f32_e32 v97, v96
	s_waitcnt_depctr 0xfff
	v_fma_f32 v71, -v96, v97, 1.0
	v_fmac_f32_e32 v97, v71, v97
	v_cndmask_b32_e64 v71, v73, v103, s2
	v_cmp_eq_u32_e64 s2, 6, v72
	v_or_b32_e32 v73, 1, v70
	v_or_b32_e32 v72, 3, v70
	v_mul_f32_e32 v102, v101, v97
	v_cndmask_b32_e64 v71, v71, v104, s3
	v_cmp_eq_u32_e64 s3, 1, v70
	v_cmp_eq_u32_e64 s8, 1, v73
	;; [unrolled: 1-line block ×3, first 2 shown]
	v_fma_f32 v103, -v96, v102, v101
	v_cndmask_b32_e64 v100, v71, v100, s4
	v_or_b32_e32 v71, 2, v70
	v_cmp_eq_u32_e64 s4, 2, v70
	v_cmp_eq_u32_e64 s11, 2, v73
	v_fmac_f32_e32 v102, v103, v97
	v_cndmask_b32_e64 v98, v100, v98, s5
	v_cmp_eq_u32_e64 s9, 1, v71
	v_cmp_eq_u32_e64 s13, 2, v71
	;; [unrolled: 1-line block ×3, first 2 shown]
	v_fma_f32 v96, -v96, v102, v101
	v_cndmask_b32_e64 v98, v98, v99, s2
	v_cmp_eq_u32_e64 s12, 3, v73
	v_cmp_eq_u32_e64 s17, 3, v72
	;; [unrolled: 1-line block ×3, first 2 shown]
	v_div_fmas_f32 v96, v96, v97, v102
	v_cndmask_b32_e64 v94, v98, v94, s6
	v_cmp_eq_u32_e32 vcc_lo, 3, v70
	v_cmp_eq_u32_e64 s16, 3, v71
	v_cmp_eq_u32_e64 s18, 4, v73
	v_div_fixup_f32 v95, v96, v95, 1.0
	v_cmp_eq_u32_e64 s21, 4, v72
	v_cmp_eq_u32_e64 s5, 5, v70
	;; [unrolled: 1-line block ×4, first 2 shown]
	v_mul_f32_e32 v102, v94, v95
	v_cmp_eq_u32_e64 s23, 5, v72
	v_cmp_eq_u32_e64 s22, 5, v71
	;; [unrolled: 1-line block ×4, first 2 shown]
	v_fma_mixlo_f16 v94, v102, v79, 0
	v_fma_mixlo_f16 v95, v102, v81, 0
	;; [unrolled: 1-line block ×8, first 2 shown]
	v_fma_mixhi_f16 v94, v102, v78, 0
	v_fma_mixhi_f16 v95, v102, v80, 0
	;; [unrolled: 1-line block ×8, first 2 shown]
	ds_store_b128 v69, v[94:97]
	ds_store_b128 v69, v[98:101] offset:1024
	s_waitcnt lgkmcnt(0)
	s_barrier
	buffer_gl0_inv
	ds_load_b128 v[78:81], v75
	ds_load_b128 v[82:85], v75 offset:16
	ds_load_b128 v[86:89], v75 offset:1024
	;; [unrolled: 1-line block ×3, first 2 shown]
	v_cmp_eq_u32_e64 s6, 6, v70
	v_cmp_eq_u32_e64 s25, 6, v71
	;; [unrolled: 1-line block ×5, first 2 shown]
	s_waitcnt lgkmcnt(3)
	v_lshrrev_b32_e32 v94, 16, v78
	s_waitcnt lgkmcnt(2)
	v_lshrrev_b32_e32 v98, 16, v82
	s_waitcnt lgkmcnt(1)
	v_lshrrev_b32_e32 v102, 16, v86
	s_waitcnt lgkmcnt(0)
	v_lshrrev_b32_e32 v106, 16, v90
	v_lshrrev_b32_e32 v95, 16, v79
	v_cndmask_b32_e64 v110, v78, v94, s3
	v_cndmask_b32_e64 v111, v82, v98, s3
	;; [unrolled: 1-line block ×8, first 2 shown]
	v_lshrrev_b32_e32 v99, 16, v83
	v_cndmask_b32_e64 v94, v86, v102, s3
	v_cndmask_b32_e64 v98, v90, v106, s3
	;; [unrolled: 1-line block ×15, first 2 shown]
	v_lshrrev_b32_e32 v103, 16, v87
	v_lshrrev_b32_e32 v107, 16, v91
	v_cndmask_b32_e64 v113, v115, v83, s13
	v_cndmask_b32_e64 v82, v94, v87, s4
	;; [unrolled: 1-line block ×7, first 2 shown]
	v_cndmask_b32_e32 v90, v102, v95, vcc_lo
	v_cndmask_b32_e32 v102, v106, v99, vcc_lo
	v_cndmask_b32_e64 v106, v110, v95, s12
	v_cndmask_b32_e64 v110, v111, v99, s12
	;; [unrolled: 1-line block ×4, first 2 shown]
	v_lshrrev_b32_e32 v96, 16, v80
	v_lshrrev_b32_e32 v100, 16, v84
	v_cndmask_b32_e64 v111, v112, v95, s16
	v_cndmask_b32_e64 v112, v113, v99, s16
	v_cndmask_b32_e32 v82, v82, v103, vcc_lo
	v_cndmask_b32_e32 v83, v83, v107, vcc_lo
	v_cndmask_b32_e64 v94, v94, v103, s12
	v_cndmask_b32_e64 v90, v90, v80, s2
	;; [unrolled: 1-line block ×7, first 2 shown]
	v_lshrrev_b32_e32 v104, 16, v88
	v_cndmask_b32_e64 v106, v111, v80, s20
	v_cndmask_b32_e64 v110, v112, v84, s20
	;; [unrolled: 1-line block ×11, first 2 shown]
	v_lshrrev_b32_e32 v97, 16, v81
	v_lshrrev_b32_e32 v101, 16, v85
	v_cndmask_b32_e64 v99, v106, v96, s22
	v_cndmask_b32_e64 v102, v110, v100, s22
	;; [unrolled: 1-line block ×7, first 2 shown]
	v_lshrrev_b32_e32 v105, 16, v89
	v_cndmask_b32_e64 v80, v80, v104, s5
	v_cndmask_b32_e64 v84, v84, v81, s6
	;; [unrolled: 1-line block ×16, first 2 shown]
	v_perm_b32 v81, v79, v78, 0x5040100
	v_perm_b32 v79, v95, v85, 0x5040100
	v_cndmask_b32_e64 v78, v119, v91, s13
	v_cndmask_b32_e64 v85, v117, v91, s11
	;; [unrolled: 1-line block ×3, first 2 shown]
	v_perm_b32 v80, v94, v90, 0x5040100
	v_cndmask_b32_e64 v90, v98, v103, s16
	v_cndmask_b32_e64 v86, v86, v103, s17
	v_cndmask_b32_e64 v87, v87, v107, s17
	v_cndmask_b32_e64 v78, v78, v107, s16
	v_cndmask_b32_e64 v85, v85, v107, s12
	v_lshrrev_b32_e32 v108, 16, v92
	v_cndmask_b32_e64 v90, v90, v88, s20
	v_cndmask_b32_e64 v86, v86, v88, s21
	;; [unrolled: 1-line block ×11, first 2 shown]
	v_lshrrev_b32_e32 v109, 16, v93
	v_cndmask_b32_e64 v82, v82, v93, s6
	v_cndmask_b32_e64 v88, v88, v89, s25
	;; [unrolled: 1-line block ×12, first 2 shown]
	v_perm_b32 v78, v84, v83, 0x5040100
	v_perm_b32 v85, v87, v86, 0x5040100
	v_perm_b32 v84, v89, v88, 0x5040100
	v_perm_b32 v83, v90, v97, 0x5040100
	v_perm_b32 v82, v82, v96, 0x5040100
	s_lshl_b32 s7, s34, 1
	s_mov_b32 s2, exec_lo
	ds_store_b128 v69, v[78:81]
	ds_store_b128 v69, v[82:85] offset:1024
	v_cmpx_gt_u32_e32 2, v0
	s_cbranch_execz .LBB1183_14
; %bb.13:
	v_or_b32_e32 v78, s33, v0
	s_load_b128 s[8:11], s[0:1], 0x58
	s_delay_alu instid0(VALU_DEP_1) | instskip(NEXT) | instid1(VALU_DEP_1)
	v_mad_u64_u32 v[79:80], null, s7, s30, v[78:79]
	v_mad_u64_u32 v[80:81], null, v79, s35, s[14:15]
	s_delay_alu instid0(VALU_DEP_1) | instskip(NEXT) | instid1(VALU_DEP_1)
	v_ashrrev_i32_e32 v81, 31, v80
	v_lshlrev_b64 v[78:79], 2, v[80:81]
	s_waitcnt lgkmcnt(0)
	s_delay_alu instid0(VALU_DEP_1) | instskip(NEXT) | instid1(VALU_DEP_2)
	v_add_co_u32 v80, vcc_lo, s10, v78
	v_add_co_ci_u32_e32 v81, vcc_lo, s11, v79, vcc_lo
	v_add_co_u32 v78, vcc_lo, s8, v78
	v_add_co_ci_u32_e32 v79, vcc_lo, s9, v79, vcc_lo
	global_store_b32 v[80:81], v76, off
	global_store_b32 v[78:79], v77, off
.LBB1183_14:
	s_or_b32 exec_lo, exec_lo, s2
	s_waitcnt lgkmcnt(0)
	s_waitcnt_vscnt null, 0x0
	s_barrier
	buffer_gl0_inv
	ds_load_b128 v[84:87], v74
	ds_load_b128 v[88:91], v74 offset:16
	ds_load_b128 v[96:99], v74 offset:2064
	;; [unrolled: 1-line block ×5, first 2 shown]
	v_cmp_eq_u32_e32 vcc_lo, 1, v70
	v_mov_b32_e32 v76, 0
	ds_load_b128 v[112:115], v74 offset:6160
	ds_load_b128 v[108:111], v74 offset:6144
	;; [unrolled: 1-line block ×4, first 2 shown]
	v_cmp_eq_u32_e64 s3, 1, v71
	v_cmp_eq_u32_e64 s2, 1, v73
	;; [unrolled: 1-line block ×3, first 2 shown]
	v_mov_b32_e32 v77, v76
	v_mov_b32_e32 v78, v76
	;; [unrolled: 1-line block ×7, first 2 shown]
	v_cmp_eq_u32_e64 s5, 3, v73
	v_cmp_eq_u32_e64 s6, 7, v73
	s_waitcnt lgkmcnt(8)
	s_delay_alu instid0(VALU_DEP_3)
	v_wmma_f32_16x16x16_f16 v[76:83], v[49:56], v[84:91], v[76:83]
	ds_load_b128 v[53:56], v74 offset:10256
	ds_load_b128 v[49:52], v74 offset:10240
	s_waitcnt lgkmcnt(8)
	v_wmma_f32_16x16x16_f16 v[76:83], v[41:48], v[92:99], v[76:83]
	ds_load_b128 v[45:48], v74 offset:12304
	ds_load_b128 v[41:44], v74 offset:12288
	s_waitcnt lgkmcnt(8)
	;; [unrolled: 4-line block ×3, first 2 shown]
	s_barrier
	buffer_gl0_inv
	v_wmma_f32_16x16x16_f16 v[76:83], v[1:8], v[108:115], v[76:83]
	s_delay_alu instid0(VALU_DEP_1) | instskip(NEXT) | instid1(VALU_DEP_1)
	v_wmma_f32_16x16x16_f16 v[76:83], v[9:16], v[116:123], v[76:83]
	v_wmma_f32_16x16x16_f16 v[76:83], v[17:24], v[49:56], v[76:83]
	s_delay_alu instid0(VALU_DEP_1) | instskip(NEXT) | instid1(VALU_DEP_1)
	v_wmma_f32_16x16x16_f16 v[76:83], v[25:32], v[41:48], v[76:83]
	v_wmma_f32_16x16x16_f16 v[76:83], v[57:64], v[33:40], v[76:83]
	s_delay_alu instid0(VALU_DEP_1) | instskip(NEXT) | instid1(VALU_DEP_2)
	v_cvt_f16_f32_e32 v1, v76
	v_cvt_f16_f32_e32 v2, v77
	s_delay_alu instid0(VALU_DEP_3) | instskip(NEXT) | instid1(VALU_DEP_4)
	v_cvt_f16_f32_e32 v3, v78
	v_cvt_f16_f32_e32 v4, v79
	;; [unrolled: 1-line block ×6, first 2 shown]
	v_pack_b32_f16 v1, v1, v2
	v_pack_b32_f16 v2, v3, v4
	;; [unrolled: 1-line block ×3, first 2 shown]
	s_delay_alu instid0(VALU_DEP_4)
	v_pack_b32_f16 v4, v7, v8
	ds_store_b128 v69, v[1:4]
	s_waitcnt lgkmcnt(0)
	s_barrier
	buffer_gl0_inv
	ds_load_b128 v[1:4], v75
	ds_load_b128 v[5:8], v75 offset:16
	s_waitcnt lgkmcnt(1)
	v_lshrrev_b32_e32 v9, 16, v1
	s_waitcnt lgkmcnt(0)
	v_lshrrev_b32_e32 v13, 16, v5
	v_lshrrev_b32_e32 v10, 16, v2
	v_lshrrev_b32_e32 v14, 16, v6
	v_lshrrev_b32_e32 v11, 16, v3
	v_cndmask_b32_e32 v17, v1, v9, vcc_lo
	v_cndmask_b32_e32 v18, v5, v13, vcc_lo
	v_cndmask_b32_e64 v21, v1, v9, s3
	v_cmp_eq_u32_e32 vcc_lo, 1, v72
	v_cndmask_b32_e64 v22, v5, v13, s3
	v_cmp_eq_u32_e64 s3, 2, v70
	v_cndmask_b32_e64 v19, v1, v9, s2
	v_cndmask_b32_e64 v20, v5, v13, s2
	v_cndmask_b32_e32 v1, v1, v9, vcc_lo
	v_cmp_eq_u32_e64 s2, 2, v72
	v_cndmask_b32_e32 v5, v5, v13, vcc_lo
	v_cndmask_b32_e64 v9, v17, v2, s3
	v_cmp_eq_u32_e32 vcc_lo, 3, v70
	v_cndmask_b32_e64 v13, v18, v6, s3
	v_cmp_eq_u32_e64 s3, 2, v71
	v_cndmask_b32_e64 v17, v19, v2, s4
	v_cndmask_b32_e64 v18, v20, v6, s4
	v_cmp_eq_u32_e64 s4, 3, v71
	v_cndmask_b32_e64 v1, v1, v2, s2
	v_cndmask_b32_e64 v19, v21, v2, s3
	;; [unrolled: 1-line block ×4, first 2 shown]
	v_cndmask_b32_e32 v5, v9, v10, vcc_lo
	v_cndmask_b32_e32 v6, v13, v14, vcc_lo
	v_cmp_eq_u32_e32 vcc_lo, 3, v72
	v_cndmask_b32_e64 v9, v17, v10, s5
	v_cndmask_b32_e64 v13, v18, v14, s5
	;; [unrolled: 1-line block ×3, first 2 shown]
	v_cmp_eq_u32_e64 s3, 4, v70
	v_cndmask_b32_e32 v1, v1, v10, vcc_lo
	v_cndmask_b32_e32 v2, v2, v14, vcc_lo
	v_cmp_eq_u32_e32 vcc_lo, 4, v73
	v_lshrrev_b32_e32 v15, 16, v7
	v_lshrrev_b32_e32 v16, 16, v8
	v_cndmask_b32_e64 v17, v19, v10, s4
	v_cmp_eq_u32_e64 s2, 4, v72
	v_cndmask_b32_e64 v5, v5, v3, s3
	v_cndmask_b32_e64 v6, v6, v7, s3
	v_cndmask_b32_e32 v9, v9, v3, vcc_lo
	v_cmp_eq_u32_e64 s3, 5, v73
	v_cndmask_b32_e32 v10, v13, v7, vcc_lo
	v_cmp_eq_u32_e32 vcc_lo, 4, v71
	v_cmp_eq_u32_e64 s4, 5, v70
	v_cndmask_b32_e64 v2, v2, v7, s2
	v_cndmask_b32_e64 v9, v9, v11, s3
	;; [unrolled: 1-line block ×3, first 2 shown]
	v_cndmask_b32_e32 v13, v17, v3, vcc_lo
	v_cmp_eq_u32_e64 s3, 5, v71
	v_cndmask_b32_e32 v14, v18, v7, vcc_lo
	v_cndmask_b32_e64 v1, v1, v3, s2
	v_cmp_eq_u32_e32 vcc_lo, 5, v72
	v_lshrrev_b32_e32 v12, 16, v4
	v_cndmask_b32_e64 v13, v13, v11, s3
	v_cndmask_b32_e64 v3, v14, v15, s3
	v_cmp_eq_u32_e64 s3, 6, v72
	v_cndmask_b32_e32 v1, v1, v11, vcc_lo
	v_cndmask_b32_e64 v5, v5, v11, s4
	v_cmp_eq_u32_e64 s5, 6, v70
	v_cndmask_b32_e64 v6, v6, v15, s4
	v_cmp_eq_u32_e64 s4, 6, v73
	v_cmp_eq_u32_e64 s2, 6, v71
	v_cndmask_b32_e64 v1, v1, v4, s3
	v_cndmask_b32_e32 v2, v2, v15, vcc_lo
	v_cmp_eq_u32_e32 vcc_lo, 7, v72
	v_cndmask_b32_e64 v5, v5, v4, s5
	v_cndmask_b32_e64 v9, v9, v4, s4
	;; [unrolled: 1-line block ×3, first 2 shown]
	v_cmp_eq_u32_e64 s5, 7, v70
	v_cndmask_b32_e32 v1, v1, v12, vcc_lo
	v_cndmask_b32_e64 v7, v13, v4, s2
	v_cndmask_b32_e64 v3, v3, v8, s2
	v_cndmask_b32_e64 v2, v2, v8, s3
	v_cmp_eq_u32_e64 s2, 7, v71
	v_cndmask_b32_e64 v4, v10, v8, s4
	v_cndmask_b32_e64 v5, v5, v12, s5
	;; [unrolled: 1-line block ×3, first 2 shown]
	v_cndmask_b32_e32 v2, v2, v16, vcc_lo
	v_cndmask_b32_e64 v7, v7, v12, s2
	v_cndmask_b32_e64 v3, v3, v16, s2
	;; [unrolled: 1-line block ×4, first 2 shown]
	v_perm_b32 v4, v2, v1, 0x5040100
	s_delay_alu instid0(VALU_DEP_4) | instskip(NEXT) | instid1(VALU_DEP_4)
	v_perm_b32 v3, v3, v7, 0x5040100
	v_perm_b32 v2, v8, v9, 0x5040100
	s_delay_alu instid0(VALU_DEP_4)
	v_perm_b32 v1, v6, v5, 0x5040100
	ds_store_b128 v69, v[1:4]
	s_waitcnt lgkmcnt(0)
	s_barrier
	buffer_gl0_inv
	s_and_saveexec_b32 s2, s31
	s_cbranch_execz .LBB1183_2
; %bb.15:
	s_load_b64 s[0:1], s[0:1], 0x68
	v_lshlrev_b32_e32 v0, 10, v0
	s_lshl_b32 s2, s35, 6
	v_lshlrev_b32_e32 v1, 4, v68
	v_mul_lo_u32 v4, s2, v67
	s_mul_i32 s3, s2, s30
	v_and_b32_e32 v0, 0x3800, v0
	s_mul_i32 s2, s3, s7
	s_delay_alu instid0(SALU_CYCLE_1) | instskip(NEXT) | instid1(VALU_DEP_1)
	s_ashr_i32 s3, s2, 31
	v_or3_b32 v0, v0, v66, v1
	s_lshl_b64 s[2:3], s[2:3], 1
	s_delay_alu instid0(VALU_DEP_3)
	v_ashrrev_i32_e32 v5, 31, v4
	ds_load_b128 v[0:3], v0
	v_lshlrev_b64 v[4:5], 1, v[4:5]
	s_waitcnt lgkmcnt(0)
	s_add_u32 s2, s0, s2
	s_addc_u32 s3, s1, s3
	s_lshl_b32 s0, s14, 6
	s_delay_alu instid0(SALU_CYCLE_1) | instskip(NEXT) | instid1(SALU_CYCLE_1)
	s_ashr_i32 s1, s0, 31
	s_lshl_b64 s[0:1], s[0:1], 1
	s_delay_alu instid0(SALU_CYCLE_1) | instskip(SKIP_3) | instid1(VALU_DEP_2)
	s_add_u32 s0, s2, s0
	s_addc_u32 s1, s3, s1
	v_add_co_u32 v4, vcc_lo, s0, v4
	v_add_co_ci_u32_e32 v5, vcc_lo, s1, v5, vcc_lo
	v_add_co_u32 v4, vcc_lo, v4, v65
	s_delay_alu instid0(VALU_DEP_2)
	v_add_co_ci_u32_e32 v5, vcc_lo, 0, v5, vcc_lo
	global_store_b128 v[4:5], v[0:3], off
	s_nop 0
	s_sendmsg sendmsg(MSG_DEALLOC_VGPRS)
	s_endpgm
	.section	.rodata,"a",@progbits
	.p2align	6, 0x0
	.amdhsa_kernel _Z39paged_attention_ll4mi_QKV_mfma16_kernelIDF16_hLN4vllm18Fp8KVCacheDataTypeE1EhLi32ELi64ELi256ELb0ELi2EL8MFMAType0EEvPKT_PKT0_S8_ifPKiSA_SA_iPKfiiiPfSD_PS3_PT2_iSC_SC_
		.amdhsa_group_segment_fixed_size 17472
		.amdhsa_private_segment_fixed_size 0
		.amdhsa_kernarg_size 400
		.amdhsa_user_sgpr_count 13
		.amdhsa_user_sgpr_dispatch_ptr 0
		.amdhsa_user_sgpr_queue_ptr 0
		.amdhsa_user_sgpr_kernarg_segment_ptr 1
		.amdhsa_user_sgpr_dispatch_id 0
		.amdhsa_user_sgpr_private_segment_size 0
		.amdhsa_wavefront_size32 1
		.amdhsa_uses_dynamic_stack 0
		.amdhsa_enable_private_segment 0
		.amdhsa_system_sgpr_workgroup_id_x 1
		.amdhsa_system_sgpr_workgroup_id_y 1
		.amdhsa_system_sgpr_workgroup_id_z 1
		.amdhsa_system_sgpr_workgroup_info 0
		.amdhsa_system_vgpr_workitem_id 0
		.amdhsa_next_free_vgpr 148
		.amdhsa_next_free_sgpr 38
		.amdhsa_reserve_vcc 1
		.amdhsa_float_round_mode_32 0
		.amdhsa_float_round_mode_16_64 0
		.amdhsa_float_denorm_mode_32 3
		.amdhsa_float_denorm_mode_16_64 3
		.amdhsa_dx10_clamp 1
		.amdhsa_ieee_mode 1
		.amdhsa_fp16_overflow 0
		.amdhsa_workgroup_processor_mode 1
		.amdhsa_memory_ordered 1
		.amdhsa_forward_progress 0
		.amdhsa_shared_vgpr_count 0
		.amdhsa_exception_fp_ieee_invalid_op 0
		.amdhsa_exception_fp_denorm_src 0
		.amdhsa_exception_fp_ieee_div_zero 0
		.amdhsa_exception_fp_ieee_overflow 0
		.amdhsa_exception_fp_ieee_underflow 0
		.amdhsa_exception_fp_ieee_inexact 0
		.amdhsa_exception_int_div_zero 0
	.end_amdhsa_kernel
	.section	.text._Z39paged_attention_ll4mi_QKV_mfma16_kernelIDF16_hLN4vllm18Fp8KVCacheDataTypeE1EhLi32ELi64ELi256ELb0ELi2EL8MFMAType0EEvPKT_PKT0_S8_ifPKiSA_SA_iPKfiiiPfSD_PS3_PT2_iSC_SC_,"axG",@progbits,_Z39paged_attention_ll4mi_QKV_mfma16_kernelIDF16_hLN4vllm18Fp8KVCacheDataTypeE1EhLi32ELi64ELi256ELb0ELi2EL8MFMAType0EEvPKT_PKT0_S8_ifPKiSA_SA_iPKfiiiPfSD_PS3_PT2_iSC_SC_,comdat
.Lfunc_end1183:
	.size	_Z39paged_attention_ll4mi_QKV_mfma16_kernelIDF16_hLN4vllm18Fp8KVCacheDataTypeE1EhLi32ELi64ELi256ELb0ELi2EL8MFMAType0EEvPKT_PKT0_S8_ifPKiSA_SA_iPKfiiiPfSD_PS3_PT2_iSC_SC_, .Lfunc_end1183-_Z39paged_attention_ll4mi_QKV_mfma16_kernelIDF16_hLN4vllm18Fp8KVCacheDataTypeE1EhLi32ELi64ELi256ELb0ELi2EL8MFMAType0EEvPKT_PKT0_S8_ifPKiSA_SA_iPKfiiiPfSD_PS3_PT2_iSC_SC_
                                        ; -- End function
	.section	.AMDGPU.csdata,"",@progbits
; Kernel info:
; codeLenInByte = 6252
; NumSgprs: 40
; NumVgprs: 148
; ScratchSize: 0
; MemoryBound: 0
; FloatMode: 240
; IeeeMode: 1
; LDSByteSize: 17472 bytes/workgroup (compile time only)
; SGPRBlocks: 4
; VGPRBlocks: 18
; NumSGPRsForWavesPerEU: 40
; NumVGPRsForWavesPerEU: 148
; Occupancy: 9
; WaveLimiterHint : 1
; COMPUTE_PGM_RSRC2:SCRATCH_EN: 0
; COMPUTE_PGM_RSRC2:USER_SGPR: 13
; COMPUTE_PGM_RSRC2:TRAP_HANDLER: 0
; COMPUTE_PGM_RSRC2:TGID_X_EN: 1
; COMPUTE_PGM_RSRC2:TGID_Y_EN: 1
; COMPUTE_PGM_RSRC2:TGID_Z_EN: 1
; COMPUTE_PGM_RSRC2:TIDIG_COMP_CNT: 0
	.section	.text._Z39paged_attention_ll4mi_QKV_mfma16_kernelIDF16_hLN4vllm18Fp8KVCacheDataTypeE1EhLi32ELi64ELi256ELb0ELi3EL8MFMAType0EEvPKT_PKT0_S8_ifPKiSA_SA_iPKfiiiPfSD_PS3_PT2_iSC_SC_,"axG",@progbits,_Z39paged_attention_ll4mi_QKV_mfma16_kernelIDF16_hLN4vllm18Fp8KVCacheDataTypeE1EhLi32ELi64ELi256ELb0ELi3EL8MFMAType0EEvPKT_PKT0_S8_ifPKiSA_SA_iPKfiiiPfSD_PS3_PT2_iSC_SC_,comdat
	.protected	_Z39paged_attention_ll4mi_QKV_mfma16_kernelIDF16_hLN4vllm18Fp8KVCacheDataTypeE1EhLi32ELi64ELi256ELb0ELi3EL8MFMAType0EEvPKT_PKT0_S8_ifPKiSA_SA_iPKfiiiPfSD_PS3_PT2_iSC_SC_ ; -- Begin function _Z39paged_attention_ll4mi_QKV_mfma16_kernelIDF16_hLN4vllm18Fp8KVCacheDataTypeE1EhLi32ELi64ELi256ELb0ELi3EL8MFMAType0EEvPKT_PKT0_S8_ifPKiSA_SA_iPKfiiiPfSD_PS3_PT2_iSC_SC_
	.globl	_Z39paged_attention_ll4mi_QKV_mfma16_kernelIDF16_hLN4vllm18Fp8KVCacheDataTypeE1EhLi32ELi64ELi256ELb0ELi3EL8MFMAType0EEvPKT_PKT0_S8_ifPKiSA_SA_iPKfiiiPfSD_PS3_PT2_iSC_SC_
	.p2align	8
	.type	_Z39paged_attention_ll4mi_QKV_mfma16_kernelIDF16_hLN4vllm18Fp8KVCacheDataTypeE1EhLi32ELi64ELi256ELb0ELi3EL8MFMAType0EEvPKT_PKT0_S8_ifPKiSA_SA_iPKfiiiPfSD_PS3_PT2_iSC_SC_,@function
_Z39paged_attention_ll4mi_QKV_mfma16_kernelIDF16_hLN4vllm18Fp8KVCacheDataTypeE1EhLi32ELi64ELi256ELb0ELi3EL8MFMAType0EEvPKT_PKT0_S8_ifPKiSA_SA_iPKfiiiPfSD_PS3_PT2_iSC_SC_: ; @_Z39paged_attention_ll4mi_QKV_mfma16_kernelIDF16_hLN4vllm18Fp8KVCacheDataTypeE1EhLi32ELi64ELi256ELb0ELi3EL8MFMAType0EEvPKT_PKT0_S8_ifPKiSA_SA_iPKfiiiPfSD_PS3_PT2_iSC_SC_
; %bb.0:
	s_load_b64 s[2:3], s[0:1], 0x30
	s_mov_b32 s34, s13
	s_waitcnt lgkmcnt(0)
	s_cmp_lg_u64 s[2:3], 0
	s_cselect_b32 s6, -1, 0
	s_ashr_i32 s35, s13, 31
	s_cmp_eq_u64 s[2:3], 0
	s_cbranch_scc1 .LBB1184_3
; %bb.1:
	s_lshl_b64 s[4:5], s[34:35], 2
	s_delay_alu instid0(SALU_CYCLE_1) | instskip(SKIP_4) | instid1(SALU_CYCLE_1)
	s_add_u32 s4, s2, s4
	s_addc_u32 s5, s3, s5
	s_load_b64 s[4:5], s[4:5], 0x0
	s_waitcnt lgkmcnt(0)
	s_sub_i32 s4, s5, s4
	s_cmp_eq_u32 s4, 1
	s_cselect_b32 s4, -1, 0
	s_delay_alu instid0(SALU_CYCLE_1)
	s_and_not1_b32 vcc_lo, exec_lo, s4
	s_cbranch_vccz .LBB1184_4
.LBB1184_2:
	s_nop 0
	s_sendmsg sendmsg(MSG_DEALLOC_VGPRS)
	s_endpgm
.LBB1184_3:
.LBB1184_4:
	s_load_b64 s[8:9], s[0:1], 0x28
	s_lshl_b64 s[4:5], s[34:35], 2
	s_waitcnt lgkmcnt(0)
	s_add_u32 s8, s8, s4
	s_addc_u32 s9, s9, s5
	s_lshl_b32 s16, s14, 8
	s_load_b32 s18, s[8:9], 0x0
	s_waitcnt lgkmcnt(0)
	s_cmp_ge_i32 s16, s18
	s_cbranch_scc1 .LBB1184_2
; %bb.5:
	s_clause 0x1
	s_load_b128 s[8:11], s[0:1], 0x8
	s_load_b64 s[12:13], s[0:1], 0x20
	s_and_not1_b32 vcc_lo, exec_lo, s6
	s_cbranch_vccnz .LBB1184_7
; %bb.6:
	s_add_u32 s2, s2, s4
	s_addc_u32 s3, s3, s5
	s_load_b32 s3, s[2:3], 0x0
	s_branch .LBB1184_8
.LBB1184_7:
	s_mov_b32 s3, s34
.LBB1184_8:
	s_load_b128 s[4:7], s[0:1], 0x48
	v_lshrrev_b32_e32 v69, 5, v0
	v_bfe_u32 v66, v0, 4, 1
	v_and_b32_e32 v68, 15, v0
	v_and_b32_e32 v70, 31, v0
	;; [unrolled: 1-line block ×3, first 2 shown]
	s_mul_i32 s33, s15, 3
	v_lshl_or_b32 v1, v69, 1, v66
	v_lshlrev_b32_e32 v2, 3, v68
	v_cmp_gt_u32_e64 s2, 8, v68
	s_delay_alu instid0(VALU_DEP_3) | instskip(NEXT) | instid1(VALU_DEP_3)
	v_cmp_gt_u32_e32 vcc_lo, 3, v1
	v_lshlrev_b32_e32 v65, 1, v2
	s_delay_alu instid0(VALU_DEP_3)
	s_and_b32 s17, s2, vcc_lo
	s_waitcnt lgkmcnt(0)
	s_and_saveexec_b32 s7, s17
	s_cbranch_execz .LBB1184_10
; %bb.9:
	s_load_b64 s[20:21], s[0:1], 0x0
	v_add_lshl_u32 v2, v1, s33, 6
	s_mul_hi_i32 s23, s3, s4
	s_mul_i32 s22, s3, s4
	v_lshlrev_b32_e32 v6, 10, v68
	s_lshl_b64 s[22:23], s[22:23], 1
	v_ashrrev_i32_e32 v3, 31, v2
	v_lshlrev_b32_e32 v1, 6, v1
	v_lshlrev_b32_e32 v7, 10, v67
	v_and_b32_e32 v6, 0x3800, v6
	s_delay_alu instid0(VALU_DEP_4) | instskip(NEXT) | instid1(VALU_DEP_2)
	v_lshlrev_b64 v[2:3], 1, v[2:3]
	v_or3_b32 v1, v6, v7, v1
	s_waitcnt lgkmcnt(0)
	s_add_u32 s3, s20, s22
	s_addc_u32 s4, s21, s23
	s_delay_alu instid0(VALU_DEP_2) | instskip(SKIP_1) | instid1(VALU_DEP_2)
	v_add_co_u32 v2, vcc_lo, s3, v2
	v_add_co_ci_u32_e32 v3, vcc_lo, s4, v3, vcc_lo
	v_add_co_u32 v2, vcc_lo, v2, v65
	s_delay_alu instid0(VALU_DEP_2)
	v_add_co_ci_u32_e32 v3, vcc_lo, 0, v3, vcc_lo
	global_load_b128 v[2:5], v[2:3], off
	s_waitcnt vmcnt(0)
	ds_store_b128 v1, v[2:5]
.LBB1184_10:
	s_or_b32 exec_lo, exec_lo, s7
	v_and_b32_e32 v1, 0xef, v0
	s_add_i32 s3, s18, 31
	s_clause 0x1
	s_load_b32 s4, s[0:1], 0x38
	s_load_b32 s35, s[0:1], 0x98
	s_ashr_i32 s7, s3, 31
	v_add_nc_u32_e32 v1, s16, v1
	s_lshr_b32 s7, s7, 27
	s_load_b32 s19, s[0:1], 0x1c
	s_add_i32 s3, s3, s7
	s_waitcnt lgkmcnt(0)
	v_ashrrev_i32_e32 v2, 31, v1
	v_or_b32_e32 v3, 16, v1
	s_ashr_i32 s3, s3, 5
	v_cmp_gt_i32_e32 vcc_lo, s18, v1
	s_add_i32 s3, s3, -1
	v_lshrrev_b32_e32 v2, 27, v2
	s_barrier
	buffer_gl0_inv
	s_mul_i32 s15, s15, s6
	v_mul_lo_u16 v103, 0x56, v68
	v_add_nc_u32_e32 v4, v1, v2
	v_mbcnt_lo_u32_b32 v127, -1, 0
	s_mul_i32 s20, s34, s4
	s_delay_alu instid0(SALU_CYCLE_1) | instskip(NEXT) | instid1(VALU_DEP_2)
	s_ashr_i32 s21, s20, 31
	v_ashrrev_i32_e32 v4, 5, v4
	v_add_nc_u32_e32 v2, v3, v2
	s_lshl_b64 s[20:21], s[20:21], 2
	v_lshrrev_b16 v103, 8, v103
	s_add_u32 s17, s12, s20
	v_cndmask_b32_e32 v1, s3, v4, vcc_lo
	v_ashrrev_i32_e32 v2, 5, v2
	v_cmp_gt_i32_e32 vcc_lo, s18, v3
	s_addc_u32 s13, s13, s21
	s_ashr_i32 s20, s15, 31
	s_add_u32 s22, s8, s15
	s_addc_u32 s23, s9, s20
	v_cndmask_b32_e32 v3, s3, v2, vcc_lo
	v_ashrrev_i32_e32 v2, 31, v1
	s_lshl_b32 s6, s14, 3
	v_mul_lo_u16 v103, v103, 3
	s_ashr_i32 s7, s6, 31
	v_ashrrev_i32_e32 v4, 31, v3
	v_lshlrev_b64 v[1:2], 2, v[1:2]
	s_lshl_b64 s[6:7], s[6:7], 2
	v_sub_nc_u16 v103, v68, v103
	s_add_u32 s6, s17, s6
	v_lshlrev_b64 v[3:4], 2, v[3:4]
	s_addc_u32 s7, s13, s7
	v_add_co_u32 v1, vcc_lo, s17, v1
	v_add_co_ci_u32_e32 v2, vcc_lo, s13, v2, vcc_lo
	s_delay_alu instid0(VALU_DEP_3) | instskip(NEXT) | instid1(VALU_DEP_4)
	v_add_co_u32 v3, vcc_lo, s17, v3
	v_add_co_ci_u32_e32 v4, vcc_lo, s13, v4, vcc_lo
	s_clause 0x1
	global_load_b32 v5, v[1:2], off
	global_load_b32 v6, v[3:4], off
	s_or_b32 s4, s16, 32
	v_xor_b32_e32 v128, 16, v127
	s_ashr_i32 s8, s4, 5
	s_cmp_lt_i32 s4, s18
	s_cselect_b32 s8, s8, s3
	s_delay_alu instid0(SALU_CYCLE_1) | instskip(NEXT) | instid1(SALU_CYCLE_1)
	s_ashr_i32 s9, s8, 31
	s_lshl_b64 s[8:9], s[8:9], 2
	s_delay_alu instid0(SALU_CYCLE_1) | instskip(SKIP_2) | instid1(SALU_CYCLE_1)
	s_add_u32 s8, s17, s8
	s_addc_u32 s9, s13, s9
	s_or_b32 s4, s16, 64
	s_ashr_i32 s12, s4, 5
	s_cmp_lt_i32 s4, s18
	s_cselect_b32 s24, s12, s3
	s_delay_alu instid0(SALU_CYCLE_1) | instskip(NEXT) | instid1(SALU_CYCLE_1)
	s_ashr_i32 s25, s24, 31
	s_lshl_b64 s[24:25], s[24:25], 2
	s_delay_alu instid0(SALU_CYCLE_1) | instskip(SKIP_2) | instid1(SALU_CYCLE_1)
	s_add_u32 s24, s17, s24
	s_addc_u32 s25, s13, s25
	s_or_b32 s4, s16, 0x60
	;; [unrolled: 10-line block ×4, first 2 shown]
	s_ashr_i32 s12, s4, 5
	s_cmp_lt_i32 s4, s18
	s_cselect_b32 s30, s12, s3
	s_delay_alu instid0(SALU_CYCLE_1) | instskip(NEXT) | instid1(SALU_CYCLE_1)
	s_ashr_i32 s31, s30, 31
	s_lshl_b64 s[30:31], s[30:31], 2
	s_delay_alu instid0(SALU_CYCLE_1)
	s_add_u32 s30, s17, s30
	s_addc_u32 s31, s13, s31
	s_clause 0x5
	s_load_b32 s12, s[6:7], 0x0
	s_load_b32 s4, s[8:9], 0x0
	;; [unrolled: 1-line block ×6, first 2 shown]
	s_or_b32 s21, s16, 0xc0
	s_waitcnt vmcnt(1)
	v_mad_i64_i32 v[1:2], null, v5, s5, s[22:23]
	v_lshlrev_b32_e32 v5, 4, v68
	s_waitcnt vmcnt(0)
	v_mad_i64_i32 v[3:4], null, v6, s5, s[22:23]
	s_ashr_i32 s22, s21, 5
	s_cmp_lt_i32 s21, s18
	s_delay_alu instid0(VALU_DEP_3) | instskip(NEXT) | instid1(VALU_DEP_4)
	v_add_co_u32 v1, vcc_lo, v1, v5
	v_add_co_ci_u32_e32 v2, vcc_lo, 0, v2, vcc_lo
	s_delay_alu instid0(VALU_DEP_3) | instskip(NEXT) | instid1(VALU_DEP_4)
	v_add_co_u32 v3, vcc_lo, v3, v5
	v_add_co_ci_u32_e32 v4, vcc_lo, 0, v4, vcc_lo
	s_clause 0x7
	global_load_b128 v[71:74], v[1:2], off
	global_load_b128 v[75:78], v[1:2], off offset:512
	global_load_b128 v[79:82], v[3:4], off offset:256
	;; [unrolled: 1-line block ×7, first 2 shown]
	s_cselect_b32 s22, s22, s3
	v_lshlrev_b32_e32 v1, 5, v68
	s_ashr_i32 s23, s22, 31
	v_cmp_gt_i32_e32 vcc_lo, 32, v128
	s_lshl_b64 s[22:23], s[22:23], 2
	v_and_b32_e32 v103, 0xff, v103
	s_add_u32 s22, s17, s22
	s_addc_u32 s23, s13, s23
	v_cndmask_b32_e32 v136, v127, v128, vcc_lo
	s_or_b32 s21, s16, 0xe0
	v_lshl_or_b32 v1, v69, 9, v1
	s_ashr_i32 s24, s21, 5
	s_cmp_lt_i32 s21, s18
	v_lshlrev_b32_e32 v115, 6, v103
	s_cselect_b32 s24, s24, s3
	s_load_b32 s3, s[22:23], 0x0
	s_ashr_i32 s25, s24, 31
	s_delay_alu instid0(SALU_CYCLE_1) | instskip(NEXT) | instid1(SALU_CYCLE_1)
	s_lshl_b64 s[24:25], s[24:25], 2
	s_add_u32 s22, s17, s24
	s_addc_u32 s23, s13, s25
	s_add_u32 s10, s10, s15
	s_addc_u32 s11, s11, s20
	v_add_co_u32 v1, s10, s10, v1
	s_delay_alu instid0(VALU_DEP_1) | instskip(SKIP_2) | instid1(VALU_DEP_1)
	v_add_co_ci_u32_e64 v2, null, s11, 0, s10
	s_load_b32 s10, s[22:23], 0x0
	s_waitcnt lgkmcnt(0)
	v_mad_i64_i32 v[3:4], null, s12, s5, v[1:2]
	v_mad_i64_i32 v[9:10], null, s7, s5, v[1:2]
	;; [unrolled: 1-line block ×7, first 2 shown]
	s_clause 0x5
	global_load_b128 v[49:52], v[3:4], off
	global_load_b128 v[53:56], v[3:4], off offset:16
	global_load_b128 v[41:44], v[5:6], off
	global_load_b128 v[45:48], v[5:6], off offset:16
	;; [unrolled: 2-line block ×3, first 2 shown]
	s_mov_b32 s4, 0
	v_mad_i64_i32 v[61:62], null, s10, s5, v[1:2]
	s_clause 0x9
	global_load_b128 v[1:4], v[9:10], off
	global_load_b128 v[5:8], v[9:10], off offset:16
	global_load_b128 v[9:12], v[13:14], off
	global_load_b128 v[13:16], v[13:14], off offset:16
	;; [unrolled: 2-line block ×5, first 2 shown]
	s_mov_b32 s5, s4
	s_mov_b32 s6, s4
	;; [unrolled: 1-line block ×7, first 2 shown]
	v_and_b32_e32 v104, 0xe0, v0
	v_dual_mov_b32 v126, s11 :: v_dual_mov_b32 v123, s8
	v_dual_mov_b32 v125, s10 :: v_dual_mov_b32 v124, s9
	s_delay_alu instid0(VALU_DEP_3)
	v_add_nc_u32_e32 v111, s16, v104
	ds_load_b128 v[103:106], v115
	ds_load_b128 v[107:110], v115 offset:1024
	v_dual_mov_b32 v122, s7 :: v_dual_mov_b32 v121, s6
	v_mov_b32_e32 v120, s5
	v_or_b32_e32 v135, v111, v66
	ds_load_b128 v[111:114], v115 offset:2048
	ds_load_b128 v[115:118], v115 offset:3072
	v_mov_b32_e32 v119, s4
	s_waitcnt vmcnt(0) lgkmcnt(0)
	s_barrier
	v_or_b32_e32 v137, 2, v135
	v_or_b32_e32 v138, 4, v135
	;; [unrolled: 1-line block ×3, first 2 shown]
	v_cmp_gt_i32_e32 vcc_lo, s18, v135
	v_or_b32_e32 v140, 8, v135
	v_cmp_gt_i32_e64 s3, s18, v137
	v_or_b32_e32 v141, 10, v135
	v_cmp_gt_i32_e64 s4, s18, v138
	v_cmp_gt_i32_e64 s5, s18, v139
	v_or_b32_e32 v142, 12, v135
	v_or_b32_e32 v143, 14, v135
	v_cmp_gt_i32_e64 s6, s18, v140
	v_cmp_gt_i32_e64 s7, s18, v141
	v_or_b32_e32 v144, 16, v135
	v_or_b32_e32 v145, 18, v135
	v_cmp_gt_i32_e64 s8, s18, v142
	v_cmp_gt_i32_e64 s9, s18, v143
	buffer_gl0_inv
	v_cmp_gt_i32_e64 s10, s18, v144
	v_cmp_gt_i32_e64 s11, s18, v145
	v_wmma_f32_16x16x16_f16 v[127:134], v[71:78], v[103:110], v[119:126]
	v_wmma_f32_16x16x16_f16 v[119:126], v[79:86], v[103:110], v[119:126]
	v_or_b32_e32 v71, 20, v135
	v_or_b32_e32 v72, 22, v135
	s_delay_alu instid0(VALU_DEP_4)
	v_wmma_f32_16x16x16_f16 v[127:134], v[87:94], v[111:118], v[127:134]
	v_or_b32_e32 v73, 24, v135
	v_wmma_f32_16x16x16_f16 v[119:126], v[95:102], v[111:118], v[119:126]
	v_or_b32_e32 v74, 26, v135
	v_cmp_gt_i32_e64 s12, s18, v71
	v_dual_mul_f32 v84, s19, v127 :: v_dual_mul_f32 v83, s19, v128
	s_delay_alu instid0(VALU_DEP_4) | instskip(SKIP_2) | instid1(VALU_DEP_4)
	v_dual_mul_f32 v92, s19, v119 :: v_dual_mul_f32 v81, s19, v130
	v_mul_f32_e32 v90, s19, v121
	v_mul_f32_e32 v82, s19, v129
	v_cndmask_b32_e32 v84, 0xff7fffff, v84, vcc_lo
	v_cndmask_b32_e64 v83, 0xff7fffff, v83, s3
	v_dual_mul_f32 v79, s19, v132 :: v_dual_mul_f32 v88, s19, v123
	v_mul_f32_e32 v80, s19, v131
	v_cndmask_b32_e64 v82, 0xff7fffff, v82, s4
	v_cndmask_b32_e64 v81, 0xff7fffff, v81, s5
	v_max3_f32 v83, v84, 0xff7fffff, v83
	v_dual_mul_f32 v77, s19, v134 :: v_dual_mul_f32 v86, s19, v125
	v_mul_f32_e32 v78, s19, v133
	v_cndmask_b32_e64 v80, 0xff7fffff, v80, s6
	v_cndmask_b32_e64 v79, 0xff7fffff, v79, s7
	v_max3_f32 v81, v83, v82, v81
	v_mul_f32_e32 v91, s19, v120
	v_cndmask_b32_e64 v78, 0xff7fffff, v78, s8
	v_cndmask_b32_e64 v77, 0xff7fffff, v77, s9
	v_mul_f32_e32 v89, s19, v122
	v_max3_f32 v79, v81, v80, v79
	v_cndmask_b32_e64 v80, 0xff7fffff, v92, s10
	v_cndmask_b32_e64 v81, 0xff7fffff, v91, s11
	v_cmp_gt_i32_e64 s13, s18, v72
	v_or_b32_e32 v75, 28, v135
	v_max3_f32 v77, v79, v78, v77
	v_or_b32_e32 v76, 30, v135
	v_mul_f32_e32 v87, s19, v124
	v_cndmask_b32_e64 v71, 0xff7fffff, v90, s12
	v_cndmask_b32_e64 v72, 0xff7fffff, v89, s13
	v_max3_f32 v77, v77, v80, v81
	v_cmp_gt_i32_e64 s15, s18, v73
	v_cmp_gt_i32_e64 s16, s18, v74
	v_mul_f32_e32 v85, s19, v126
	v_cmp_gt_i32_e64 s17, s18, v75
	v_max3_f32 v71, v77, v71, v72
	v_cndmask_b32_e64 v73, 0xff7fffff, v88, s15
	v_cndmask_b32_e64 v74, 0xff7fffff, v87, s16
	v_cmp_gt_i32_e64 s18, s18, v76
	v_cndmask_b32_e64 v72, 0xff7fffff, v86, s17
	s_delay_alu instid0(VALU_DEP_3) | instskip(NEXT) | instid1(VALU_DEP_3)
	v_max3_f32 v71, v71, v73, v74
	v_cndmask_b32_e64 v75, 0xff7fffff, v85, s18
	v_lshlrev_b32_e32 v73, 2, v136
	s_delay_alu instid0(VALU_DEP_2) | instskip(SKIP_3) | instid1(VALU_DEP_1)
	v_max3_f32 v71, v71, v72, v75
	ds_bpermute_b32 v72, v73, v71
	s_waitcnt lgkmcnt(0)
	v_max_f32_e32 v72, v72, v72
	v_max_f32_e32 v71, v71, v72
	s_delay_alu instid0(VALU_DEP_1) | instskip(SKIP_2) | instid1(VALU_DEP_3)
	v_fma_f32 v72, s19, v127, -v71
	v_fma_f32 v74, s19, v128, -v71
	v_fma_f32 v75, s19, v129, -v71
	v_mul_f32_e32 v72, 0x3fb8aa3b, v72
	s_delay_alu instid0(VALU_DEP_2) | instskip(NEXT) | instid1(VALU_DEP_2)
	v_dual_mul_f32 v74, 0x3fb8aa3b, v74 :: v_dual_mul_f32 v75, 0x3fb8aa3b, v75
	v_exp_f32_e32 v72, v72
	s_delay_alu instid0(VALU_DEP_1) | instskip(NEXT) | instid1(VALU_DEP_1)
	v_exp_f32_e32 v74, v74
	v_exp_f32_e32 v75, v75
	s_delay_alu instid0(TRANS32_DEP_3)
	v_cndmask_b32_e32 v79, 0, v72, vcc_lo
	s_waitcnt_depctr 0xfff
	v_cndmask_b32_e64 v78, 0, v74, s3
	v_cndmask_b32_e64 v81, 0, v75, s4
	v_cmp_gt_u32_e64 s3, 16, v70
	v_add_f32_e32 v74, 0, v79
	s_delay_alu instid0(VALU_DEP_1) | instskip(NEXT) | instid1(VALU_DEP_1)
	v_add_f32_e32 v74, v74, v78
	v_add_f32_e32 v74, v74, v81
	v_fma_f32 v76, s19, v130, -v71
	v_fma_f32 v77, s19, v131, -v71
	;; [unrolled: 1-line block ×5, first 2 shown]
	s_delay_alu instid0(VALU_DEP_4) | instskip(NEXT) | instid1(VALU_DEP_4)
	v_dual_mul_f32 v76, 0x3fb8aa3b, v76 :: v_dual_mul_f32 v77, 0x3fb8aa3b, v77
	v_mul_f32_e32 v72, 0x3fb8aa3b, v72
	s_delay_alu instid0(VALU_DEP_4) | instskip(SKIP_1) | instid1(VALU_DEP_4)
	v_mul_f32_e32 v82, 0x3fb8aa3b, v80
	v_fma_f32 v86, s19, v122, -v71
	v_exp_f32_e32 v76, v76
	v_exp_f32_e32 v77, v77
	;; [unrolled: 1-line block ×4, first 2 shown]
	v_mul_f32_e32 v86, 0x3fb8aa3b, v86
	s_delay_alu instid0(VALU_DEP_1)
	v_exp_f32_e32 v88, v86
	v_cndmask_b32_e64 v80, 0, v76, s5
	v_mul_f32_e32 v75, 0x3fb8aa3b, v75
	v_fma_f32 v76, s19, v119, -v71
	v_cndmask_b32_e64 v83, 0, v77, s6
	v_fma_f32 v77, s19, v120, -v71
	v_add_f32_e32 v74, v74, v80
	v_exp_f32_e32 v75, v75
	v_mul_f32_e32 v76, 0x3fb8aa3b, v76
	v_cndmask_b32_e64 v82, 0, v72, s7
	s_delay_alu instid0(VALU_DEP_3) | instskip(SKIP_1) | instid1(VALU_DEP_4)
	v_dual_mul_f32 v77, 0x3fb8aa3b, v77 :: v_dual_add_f32 v72, v74, v83
	v_fma_f32 v74, s19, v121, -v71
	v_exp_f32_e32 v76, v76
	v_cndmask_b32_e64 v85, 0, v84, s8
	s_delay_alu instid0(VALU_DEP_3) | instskip(SKIP_1) | instid1(TRANS32_DEP_3)
	v_exp_f32_e32 v77, v77
	v_cndmask_b32_e64 v88, 0, v88, s13
	v_cndmask_b32_e64 v84, 0, v75, s9
	v_fma_f32 v75, s19, v123, -v71
	v_add_f32_e32 v72, v72, v82
	s_delay_alu instid0(VALU_DEP_2) | instskip(NEXT) | instid1(VALU_DEP_2)
	v_dual_mul_f32 v74, 0x3fb8aa3b, v74 :: v_dual_mul_f32 v75, 0x3fb8aa3b, v75
	v_add_f32_e32 v72, v72, v85
	s_delay_alu instid0(VALU_DEP_2)
	v_exp_f32_e32 v74, v74
	v_cndmask_b32_e64 v87, 0, v76, s10
	v_fma_f32 v76, s19, v124, -v71
	v_cndmask_b32_e64 v86, 0, v77, s11
	v_add_f32_e32 v72, v72, v84
	v_fma_f32 v77, s19, v125, -v71
	v_exp_f32_e32 v75, v75
	v_mul_f32_e32 v76, 0x3fb8aa3b, v76
	s_delay_alu instid0(VALU_DEP_3) | instskip(NEXT) | instid1(TRANS32_DEP_2)
	v_add_f32_e32 v72, v72, v87
	v_cndmask_b32_e64 v89, 0, v74, s12
	v_mul_f32_e32 v74, 0x3fb8aa3b, v77
	s_delay_alu instid0(VALU_DEP_4) | instskip(SKIP_2) | instid1(VALU_DEP_3)
	v_exp_f32_e32 v76, v76
	v_fma_f32 v77, s19, v126, -v71
	v_add_f32_e32 v72, v72, v86
	v_exp_f32_e32 v74, v74
	s_delay_alu instid0(TRANS32_DEP_3) | instskip(NEXT) | instid1(VALU_DEP_3)
	v_cndmask_b32_e64 v91, 0, v75, s15
	v_mul_f32_e32 v75, 0x3fb8aa3b, v77
	s_delay_alu instid0(VALU_DEP_3) | instskip(NEXT) | instid1(TRANS32_DEP_2)
	v_add_f32_e32 v72, v72, v89
	v_cndmask_b32_e64 v90, 0, v76, s16
	s_delay_alu instid0(VALU_DEP_3) | instskip(NEXT) | instid1(VALU_DEP_2)
	v_exp_f32_e32 v75, v75
	v_add_f32_e32 v72, v72, v88
	s_delay_alu instid0(TRANS32_DEP_2) | instskip(NEXT) | instid1(VALU_DEP_2)
	v_cndmask_b32_e64 v93, 0, v74, s17
	v_add_f32_e32 v72, v72, v91
	s_waitcnt_depctr 0xfff
	v_cndmask_b32_e64 v92, 0, v75, s18
	v_add_f32_e32 v72, v72, v90
	s_delay_alu instid0(VALU_DEP_1) | instskip(NEXT) | instid1(VALU_DEP_1)
	v_add_f32_e32 v72, v72, v93
	v_add_f32_e32 v72, v72, v92
	ds_bpermute_b32 v73, v73, v72
	s_and_saveexec_b32 s4, s3
	s_cbranch_execz .LBB1184_12
; %bb.11:
	v_mul_u32_u24_e32 v70, 0x44, v69
	s_waitcnt lgkmcnt(0)
	v_add_f32_e32 v72, v72, v73
	s_delay_alu instid0(VALU_DEP_2) | instskip(NEXT) | instid1(VALU_DEP_1)
	v_lshl_add_u32 v70, v68, 2, v70
	v_add_nc_u32_e32 v70, 0x4000, v70
	ds_store_2addr_b32 v70, v71, v72 offset1:136
.LBB1184_12:
	s_or_b32 exec_lo, exec_lo, s4
	v_lshlrev_b32_e32 v70, 2, v68
	s_load_b32 s36, s[0:1], 0x94
	s_waitcnt lgkmcnt(0)
	s_barrier
	buffer_gl0_inv
	v_add_nc_u32_e32 v98, 0x4000, v70
	v_cmp_eq_u32_e32 vcc_lo, 1, v69
	v_cmp_eq_u32_e64 s4, 2, v69
	v_cmp_eq_u32_e64 s5, 3, v69
	;; [unrolled: 1-line block ×3, first 2 shown]
	ds_load_2addr_b32 v[70:71], v98 offset1:17
	ds_load_2addr_b32 v[72:73], v98 offset0:34 offset1:51
	ds_load_2addr_b32 v[74:75], v98 offset0:68 offset1:85
	;; [unrolled: 1-line block ×3, first 2 shown]
	v_cmp_eq_u32_e64 s7, 5, v69
	v_cmp_eq_u32_e64 s8, 7, v69
	s_waitcnt lgkmcnt(3)
	v_max3_f32 v76, v70, 0xff7fffff, v71
	s_waitcnt lgkmcnt(2)
	s_delay_alu instid0(VALU_DEP_1) | instskip(SKIP_1) | instid1(VALU_DEP_1)
	v_max3_f32 v76, v76, v72, v73
	s_waitcnt lgkmcnt(1)
	v_max3_f32 v76, v76, v74, v75
	s_waitcnt lgkmcnt(0)
	s_delay_alu instid0(VALU_DEP_1) | instskip(NEXT) | instid1(VALU_DEP_1)
	v_max3_f32 v76, v76, v94, v95
	v_sub_f32_e32 v77, v71, v76
	ds_load_2addr_b32 v[96:97], v98 offset0:136 offset1:153
	v_sub_f32_e32 v74, v74, v76
	v_sub_f32_e32 v70, v70, v76
	v_sub_f32_e32 v94, v94, v76
	v_dual_sub_f32 v72, v72, v76 :: v_dual_mul_f32 v77, 0x3fb8aa3b, v77
	s_delay_alu instid0(VALU_DEP_4) | instskip(NEXT) | instid1(VALU_DEP_4)
	v_mul_f32_e32 v103, 0x3fb8aa3b, v74
	v_mul_f32_e32 v99, 0x3fb8aa3b, v70
	ds_load_2addr_b32 v[70:71], v98 offset0:170 offset1:187
	v_dual_mul_f32 v101, 0x3fb8aa3b, v72 :: v_dual_mul_f32 v94, 0x3fb8aa3b, v94
	v_exp_f32_e32 v102, v77
	v_exp_f32_e32 v99, v99
	s_delay_alu instid0(VALU_DEP_1) | instskip(NEXT) | instid1(VALU_DEP_1)
	v_exp_f32_e32 v101, v101
	v_exp_f32_e32 v94, v94
	s_waitcnt lgkmcnt(1)
	s_delay_alu instid0(TRANS32_DEP_3)
	v_fma_f32 v77, v99, v96, 0
	v_sub_f32_e32 v100, v73, v76
	ds_load_2addr_b32 v[72:73], v98 offset0:204 offset1:221
	v_fmac_f32_e32 v77, v102, v97
	v_exp_f32_e32 v97, v103
	s_waitcnt lgkmcnt(1)
	s_delay_alu instid0(VALU_DEP_1)
	v_dual_fmac_f32 v77, v101, v70 :: v_dual_sub_f32 v96, v75, v76
	ds_load_2addr_b32 v[74:75], v98 offset0:238 offset1:255
	v_sub_f32_e32 v70, v95, v76
	s_waitcnt lgkmcnt(0)
	s_barrier
	v_mul_f32_e32 v96, 0x3fb8aa3b, v96
	buffer_gl0_inv
	v_exp_f32_e32 v95, v96
	v_mul_f32_e32 v100, 0x3fb8aa3b, v100
	s_delay_alu instid0(VALU_DEP_1) | instskip(SKIP_3) | instid1(VALU_DEP_2)
	v_exp_f32_e32 v100, v100
	s_waitcnt_depctr 0xfff
	v_dual_fmac_f32 v77, v100, v71 :: v_dual_mul_f32 v70, 0x3fb8aa3b, v70
	v_cndmask_b32_e32 v71, v99, v102, vcc_lo
	v_fmac_f32_e32 v77, v97, v72
	s_delay_alu instid0(VALU_DEP_3) | instskip(NEXT) | instid1(VALU_DEP_1)
	v_exp_f32_e32 v96, v70
	v_fmac_f32_e32 v77, v95, v73
	s_delay_alu instid0(VALU_DEP_1) | instskip(SKIP_2) | instid1(VALU_DEP_1)
	v_fmac_f32_e32 v77, v94, v74
	s_waitcnt_depctr 0xfff
	v_fmac_f32_e32 v77, v96, v75
	v_add_f32_e32 v74, 0x358637bd, v77
	s_delay_alu instid0(VALU_DEP_1) | instskip(SKIP_1) | instid1(VALU_DEP_2)
	v_div_scale_f32 v98, null, v74, v74, 1.0
	v_div_scale_f32 v99, vcc_lo, 1.0, v74, 1.0
	v_rcp_f32_e32 v103, v98
	s_waitcnt_depctr 0xfff
	v_fma_f32 v70, -v98, v103, 1.0
	s_delay_alu instid0(VALU_DEP_1) | instskip(SKIP_2) | instid1(VALU_DEP_2)
	v_fmac_f32_e32 v103, v70, v103
	v_cndmask_b32_e64 v70, v71, v101, s4
	v_cmp_eq_u32_e64 s4, 6, v69
	v_cndmask_b32_e64 v71, v70, v100, s5
	s_delay_alu instid0(VALU_DEP_4) | instskip(NEXT) | instid1(VALU_DEP_2)
	v_dual_mul_f32 v101, v99, v103 :: v_dual_lshlrev_b32 v70, 2, v66
	v_cndmask_b32_e64 v71, v71, v97, s6
	s_delay_alu instid0(VALU_DEP_2) | instskip(NEXT) | instid1(VALU_DEP_3)
	v_or_b32_e32 v72, 1, v70
	v_fma_f32 v100, -v98, v101, v99
	v_cmp_eq_u32_e64 s5, 1, v70
	v_cmp_eq_u32_e64 s6, 2, v70
	v_cndmask_b32_e64 v95, v71, v95, s7
	v_or_b32_e32 v71, 3, v70
	v_fmac_f32_e32 v101, v100, v103
	v_cmp_eq_u32_e64 s10, 1, v72
	v_cmp_eq_u32_e64 s13, 2, v72
	v_cndmask_b32_e64 v94, v95, v94, s4
	v_cmp_eq_u32_e64 s12, 1, v71
	v_fma_f32 v97, -v98, v101, v99
	v_cmp_eq_u32_e64 s17, 2, v71
	v_cmp_eq_u32_e64 s15, 3, v72
	v_cndmask_b32_e64 v94, v94, v96, s8
	v_cmp_eq_u32_e64 s19, 3, v71
	v_div_fmas_f32 v95, v97, v103, v101
	v_cmp_eq_u32_e32 vcc_lo, 3, v70
	v_cmp_eq_u32_e64 s4, 4, v70
	v_cmp_eq_u32_e64 s20, 4, v72
	;; [unrolled: 1-line block ×3, first 2 shown]
	v_div_fixup_f32 v95, v95, v74, 1.0
	v_lshlrev_b32_e32 v73, 6, v68
	v_cmp_eq_u32_e64 s7, 5, v70
	v_cmp_eq_u32_e64 s21, 5, v72
	;; [unrolled: 1-line block ×3, first 2 shown]
	v_mul_f32_e32 v102, v94, v95
	v_lshl_or_b32 v75, v69, 11, v73
	v_or_b32_e32 v69, 2, v70
	v_cmp_eq_u32_e64 s26, 6, v72
	v_cmp_eq_u32_e64 s28, 6, v71
	v_fma_mixlo_f16 v94, v102, v79, 0
	v_fma_mixlo_f16 v95, v102, v81, 0
	;; [unrolled: 1-line block ×8, first 2 shown]
	v_lshl_or_b32 v74, v66, 4, v75
	v_fma_mixhi_f16 v94, v102, v78, 0
	v_fma_mixhi_f16 v95, v102, v80, 0
	;; [unrolled: 1-line block ×8, first 2 shown]
	ds_store_b128 v74, v[94:97]
	ds_store_b128 v74, v[98:101] offset:1024
	s_waitcnt lgkmcnt(0)
	s_barrier
	buffer_gl0_inv
	ds_load_b128 v[78:81], v75
	ds_load_b128 v[82:85], v75 offset:16
	ds_load_b128 v[86:89], v75 offset:1024
	;; [unrolled: 1-line block ×3, first 2 shown]
	v_cmp_eq_u32_e64 s11, 1, v69
	v_cmp_eq_u32_e64 s16, 2, v69
	;; [unrolled: 1-line block ×11, first 2 shown]
	s_waitcnt lgkmcnt(3)
	v_lshrrev_b32_e32 v94, 16, v78
	s_waitcnt lgkmcnt(2)
	v_lshrrev_b32_e32 v98, 16, v82
	;; [unrolled: 2-line block ×4, first 2 shown]
	v_lshrrev_b32_e32 v95, 16, v79
	v_cndmask_b32_e64 v110, v78, v94, s5
	v_cndmask_b32_e64 v111, v82, v98, s5
	;; [unrolled: 1-line block ×8, first 2 shown]
	v_lshrrev_b32_e32 v99, 16, v83
	v_cndmask_b32_e64 v94, v86, v102, s5
	v_cndmask_b32_e64 v98, v90, v106, s5
	;; [unrolled: 1-line block ×15, first 2 shown]
	v_lshrrev_b32_e32 v103, 16, v87
	v_lshrrev_b32_e32 v107, 16, v91
	v_cndmask_b32_e64 v113, v115, v83, s16
	v_cndmask_b32_e64 v82, v94, v87, s6
	;; [unrolled: 1-line block ×7, first 2 shown]
	v_cndmask_b32_e32 v90, v102, v95, vcc_lo
	v_cndmask_b32_e32 v102, v106, v99, vcc_lo
	v_cndmask_b32_e64 v106, v110, v95, s15
	v_cndmask_b32_e64 v110, v111, v99, s15
	;; [unrolled: 1-line block ×4, first 2 shown]
	v_lshrrev_b32_e32 v96, 16, v80
	v_lshrrev_b32_e32 v100, 16, v84
	v_cndmask_b32_e64 v111, v112, v95, s18
	v_cndmask_b32_e64 v112, v113, v99, s18
	v_cndmask_b32_e32 v82, v82, v103, vcc_lo
	v_cndmask_b32_e32 v83, v83, v107, vcc_lo
	v_cndmask_b32_e64 v94, v94, v103, s15
	v_cndmask_b32_e64 v90, v90, v80, s4
	;; [unrolled: 1-line block ×7, first 2 shown]
	v_lshrrev_b32_e32 v104, 16, v88
	v_cndmask_b32_e64 v106, v111, v80, s22
	v_cndmask_b32_e64 v110, v112, v84, s22
	v_cndmask_b32_e64 v80, v82, v88, s4
	v_cndmask_b32_e64 v82, v83, v92, s4
	v_cndmask_b32_e64 v83, v94, v88, s20
	v_cndmask_b32_e64 v84, v90, v96, s7
	v_cndmask_b32_e64 v90, v95, v100, s7
	v_cndmask_b32_e64 v94, v99, v96, s21
	v_cndmask_b32_e64 v95, v102, v100, s21
	v_cndmask_b32_e64 v78, v78, v96, s25
	v_cndmask_b32_e64 v79, v79, v100, s25
	v_lshrrev_b32_e32 v97, 16, v81
	v_lshrrev_b32_e32 v101, 16, v85
	v_cndmask_b32_e64 v99, v106, v96, s24
	v_cndmask_b32_e64 v102, v110, v100, s24
	;; [unrolled: 1-line block ×7, first 2 shown]
	v_lshrrev_b32_e32 v105, 16, v89
	v_cndmask_b32_e64 v80, v80, v104, s7
	v_cndmask_b32_e64 v84, v84, v81, s8
	;; [unrolled: 1-line block ×16, first 2 shown]
	v_perm_b32 v81, v79, v78, 0x5040100
	v_perm_b32 v79, v95, v85, 0x5040100
	v_cndmask_b32_e64 v78, v119, v91, s16
	v_cndmask_b32_e64 v85, v117, v91, s13
	;; [unrolled: 1-line block ×3, first 2 shown]
	v_perm_b32 v80, v94, v90, 0x5040100
	v_cndmask_b32_e64 v90, v98, v103, s18
	v_cndmask_b32_e64 v86, v86, v103, s19
	;; [unrolled: 1-line block ×5, first 2 shown]
	v_lshrrev_b32_e32 v108, 16, v92
	v_cndmask_b32_e64 v90, v90, v88, s22
	v_cndmask_b32_e64 v86, v86, v88, s23
	;; [unrolled: 1-line block ×11, first 2 shown]
	v_lshrrev_b32_e32 v109, 16, v93
	v_cndmask_b32_e64 v82, v82, v93, s8
	v_cndmask_b32_e64 v88, v88, v89, s27
	;; [unrolled: 1-line block ×12, first 2 shown]
	v_perm_b32 v78, v84, v83, 0x5040100
	v_perm_b32 v85, v87, v86, 0x5040100
	;; [unrolled: 1-line block ×5, first 2 shown]
	s_mul_i32 s9, s35, 3
	s_mov_b32 s4, exec_lo
	ds_store_b128 v74, v[78:81]
	ds_store_b128 v74, v[82:85] offset:1024
	v_cmpx_gt_u32_e32 3, v0
	s_cbranch_execz .LBB1184_14
; %bb.13:
	s_mul_i32 s5, s9, s34
	s_load_b128 s[16:19], s[0:1], 0x58
	v_add3_u32 v68, s5, s33, v68
	s_delay_alu instid0(VALU_DEP_1) | instskip(NEXT) | instid1(VALU_DEP_1)
	v_mad_u64_u32 v[78:79], null, v68, s36, s[14:15]
	v_ashrrev_i32_e32 v79, 31, v78
	s_delay_alu instid0(VALU_DEP_1) | instskip(SKIP_1) | instid1(VALU_DEP_1)
	v_lshlrev_b64 v[78:79], 2, v[78:79]
	s_waitcnt lgkmcnt(0)
	v_add_co_u32 v80, vcc_lo, s18, v78
	s_delay_alu instid0(VALU_DEP_2)
	v_add_co_ci_u32_e32 v81, vcc_lo, s19, v79, vcc_lo
	v_add_co_u32 v78, vcc_lo, s16, v78
	v_add_co_ci_u32_e32 v79, vcc_lo, s17, v79, vcc_lo
	global_store_b32 v[80:81], v76, off
	global_store_b32 v[78:79], v77, off
.LBB1184_14:
	s_or_b32 exec_lo, exec_lo, s4
	s_waitcnt lgkmcnt(0)
	s_waitcnt_vscnt null, 0x0
	s_barrier
	buffer_gl0_inv
	ds_load_b128 v[84:87], v73
	ds_load_b128 v[88:91], v73 offset:16
	ds_load_b128 v[96:99], v73 offset:2064
	;; [unrolled: 1-line block ×5, first 2 shown]
	v_cmp_eq_u32_e32 vcc_lo, 1, v70
	v_mov_b32_e32 v76, 0
	ds_load_b128 v[112:115], v73 offset:6160
	ds_load_b128 v[108:111], v73 offset:6144
	;; [unrolled: 1-line block ×4, first 2 shown]
	v_cmp_eq_u32_e64 s5, 1, v69
	v_cmp_eq_u32_e64 s4, 1, v72
	;; [unrolled: 1-line block ×3, first 2 shown]
	v_mov_b32_e32 v77, v76
	v_mov_b32_e32 v78, v76
	;; [unrolled: 1-line block ×7, first 2 shown]
	v_cmp_eq_u32_e64 s7, 3, v72
	v_cmp_eq_u32_e64 s8, 7, v72
	s_waitcnt lgkmcnt(8)
	s_delay_alu instid0(VALU_DEP_3)
	v_wmma_f32_16x16x16_f16 v[76:83], v[49:56], v[84:91], v[76:83]
	ds_load_b128 v[53:56], v73 offset:10256
	ds_load_b128 v[49:52], v73 offset:10240
	s_waitcnt lgkmcnt(8)
	v_wmma_f32_16x16x16_f16 v[76:83], v[41:48], v[92:99], v[76:83]
	ds_load_b128 v[45:48], v73 offset:12304
	ds_load_b128 v[41:44], v73 offset:12288
	s_waitcnt lgkmcnt(8)
	;; [unrolled: 4-line block ×3, first 2 shown]
	s_barrier
	buffer_gl0_inv
	v_wmma_f32_16x16x16_f16 v[76:83], v[1:8], v[108:115], v[76:83]
	s_delay_alu instid0(VALU_DEP_1) | instskip(NEXT) | instid1(VALU_DEP_1)
	v_wmma_f32_16x16x16_f16 v[76:83], v[9:16], v[116:123], v[76:83]
	v_wmma_f32_16x16x16_f16 v[76:83], v[17:24], v[49:56], v[76:83]
	s_delay_alu instid0(VALU_DEP_1) | instskip(NEXT) | instid1(VALU_DEP_1)
	v_wmma_f32_16x16x16_f16 v[76:83], v[25:32], v[41:48], v[76:83]
	v_wmma_f32_16x16x16_f16 v[76:83], v[57:64], v[33:40], v[76:83]
	s_delay_alu instid0(VALU_DEP_1) | instskip(NEXT) | instid1(VALU_DEP_2)
	v_cvt_f16_f32_e32 v1, v76
	v_cvt_f16_f32_e32 v2, v77
	s_delay_alu instid0(VALU_DEP_3) | instskip(NEXT) | instid1(VALU_DEP_4)
	v_cvt_f16_f32_e32 v3, v78
	v_cvt_f16_f32_e32 v4, v79
	;; [unrolled: 1-line block ×6, first 2 shown]
	v_pack_b32_f16 v1, v1, v2
	v_pack_b32_f16 v2, v3, v4
	v_pack_b32_f16 v3, v5, v6
	s_delay_alu instid0(VALU_DEP_4)
	v_pack_b32_f16 v4, v7, v8
	ds_store_b128 v74, v[1:4]
	s_waitcnt lgkmcnt(0)
	s_barrier
	buffer_gl0_inv
	ds_load_b128 v[1:4], v75
	ds_load_b128 v[5:8], v75 offset:16
	s_waitcnt lgkmcnt(1)
	v_lshrrev_b32_e32 v9, 16, v1
	s_waitcnt lgkmcnt(0)
	v_lshrrev_b32_e32 v13, 16, v5
	v_lshrrev_b32_e32 v10, 16, v2
	;; [unrolled: 1-line block ×4, first 2 shown]
	v_cndmask_b32_e32 v17, v1, v9, vcc_lo
	v_cndmask_b32_e32 v18, v5, v13, vcc_lo
	v_cndmask_b32_e64 v21, v1, v9, s5
	v_cmp_eq_u32_e32 vcc_lo, 1, v71
	v_cndmask_b32_e64 v22, v5, v13, s5
	v_cmp_eq_u32_e64 s5, 2, v70
	v_cndmask_b32_e64 v19, v1, v9, s4
	v_cndmask_b32_e64 v20, v5, v13, s4
	v_cndmask_b32_e32 v1, v1, v9, vcc_lo
	v_cmp_eq_u32_e64 s4, 2, v71
	v_cndmask_b32_e32 v5, v5, v13, vcc_lo
	v_cndmask_b32_e64 v9, v17, v2, s5
	v_cmp_eq_u32_e32 vcc_lo, 3, v70
	v_cndmask_b32_e64 v13, v18, v6, s5
	v_cmp_eq_u32_e64 s5, 2, v69
	v_cndmask_b32_e64 v17, v19, v2, s6
	v_cndmask_b32_e64 v18, v20, v6, s6
	v_cmp_eq_u32_e64 s6, 3, v69
	v_cndmask_b32_e64 v1, v1, v2, s4
	v_cndmask_b32_e64 v19, v21, v2, s5
	;; [unrolled: 1-line block ×4, first 2 shown]
	v_cndmask_b32_e32 v5, v9, v10, vcc_lo
	v_cndmask_b32_e32 v6, v13, v14, vcc_lo
	v_cmp_eq_u32_e32 vcc_lo, 3, v71
	v_cndmask_b32_e64 v9, v17, v10, s7
	v_cndmask_b32_e64 v13, v18, v14, s7
	;; [unrolled: 1-line block ×3, first 2 shown]
	v_cmp_eq_u32_e64 s5, 4, v70
	v_cndmask_b32_e32 v1, v1, v10, vcc_lo
	v_cndmask_b32_e32 v2, v2, v14, vcc_lo
	v_cmp_eq_u32_e32 vcc_lo, 4, v72
	v_lshrrev_b32_e32 v15, 16, v7
	v_lshrrev_b32_e32 v16, 16, v8
	v_cndmask_b32_e64 v17, v19, v10, s6
	v_cmp_eq_u32_e64 s4, 4, v71
	v_cndmask_b32_e64 v5, v5, v3, s5
	v_cndmask_b32_e64 v6, v6, v7, s5
	v_cndmask_b32_e32 v9, v9, v3, vcc_lo
	v_cmp_eq_u32_e64 s5, 5, v72
	v_cndmask_b32_e32 v10, v13, v7, vcc_lo
	v_cmp_eq_u32_e32 vcc_lo, 4, v69
	v_cmp_eq_u32_e64 s6, 5, v70
	v_cndmask_b32_e64 v2, v2, v7, s4
	v_cndmask_b32_e64 v9, v9, v11, s5
	;; [unrolled: 1-line block ×3, first 2 shown]
	v_cndmask_b32_e32 v13, v17, v3, vcc_lo
	v_cmp_eq_u32_e64 s5, 5, v69
	v_cndmask_b32_e32 v14, v18, v7, vcc_lo
	v_cndmask_b32_e64 v1, v1, v3, s4
	v_cmp_eq_u32_e32 vcc_lo, 5, v71
	v_lshrrev_b32_e32 v12, 16, v4
	v_cndmask_b32_e64 v13, v13, v11, s5
	v_cndmask_b32_e64 v3, v14, v15, s5
	v_cmp_eq_u32_e64 s5, 6, v71
	v_cndmask_b32_e32 v1, v1, v11, vcc_lo
	v_cndmask_b32_e64 v5, v5, v11, s6
	v_cmp_eq_u32_e64 s7, 6, v70
	v_cndmask_b32_e64 v6, v6, v15, s6
	v_cmp_eq_u32_e64 s6, 6, v72
	v_cmp_eq_u32_e64 s4, 6, v69
	v_cndmask_b32_e64 v1, v1, v4, s5
	v_cndmask_b32_e32 v2, v2, v15, vcc_lo
	v_cmp_eq_u32_e32 vcc_lo, 7, v71
	v_cndmask_b32_e64 v5, v5, v4, s7
	v_cndmask_b32_e64 v9, v9, v4, s6
	;; [unrolled: 1-line block ×3, first 2 shown]
	v_cmp_eq_u32_e64 s7, 7, v70
	v_cndmask_b32_e32 v1, v1, v12, vcc_lo
	v_cndmask_b32_e64 v7, v13, v4, s4
	v_cndmask_b32_e64 v3, v3, v8, s4
	;; [unrolled: 1-line block ×3, first 2 shown]
	v_cmp_eq_u32_e64 s4, 7, v69
	v_cndmask_b32_e64 v4, v10, v8, s6
	v_cndmask_b32_e64 v5, v5, v12, s7
	;; [unrolled: 1-line block ×3, first 2 shown]
	v_cndmask_b32_e32 v2, v2, v16, vcc_lo
	v_cndmask_b32_e64 v7, v7, v12, s4
	v_cndmask_b32_e64 v3, v3, v16, s4
	v_cndmask_b32_e64 v8, v4, v16, s8
	v_cndmask_b32_e64 v6, v6, v16, s7
	v_cmp_gt_u32_e32 vcc_lo, 32, v0
	v_perm_b32 v4, v2, v1, 0x5040100
	v_perm_b32 v3, v3, v7, 0x5040100
	;; [unrolled: 1-line block ×4, first 2 shown]
	s_and_b32 s2, vcc_lo, s2
	ds_store_b128 v74, v[1:4]
	s_waitcnt lgkmcnt(0)
	s_barrier
	buffer_gl0_inv
	s_and_saveexec_b32 s4, s2
	s_cbranch_execz .LBB1184_2
; %bb.15:
	s_load_b64 s[4:5], s[0:1], 0x68
	v_lshlrev_b32_e32 v0, 10, v0
	v_lshlrev_b32_e32 v2, 4, v67
	v_add_nc_u32_e32 v1, s33, v66
	s_lshl_b32 s0, s36, 6
	s_delay_alu instid0(SALU_CYCLE_1) | instskip(NEXT) | instid1(VALU_DEP_2)
	s_mul_i32 s1, s0, s34
	v_and_or_b32 v0, 0x3800, v0, v2
	s_mul_i32 s6, s1, s9
	v_mul_lo_u32 v1, v1, s0
	s_ashr_i32 s7, s6, 31
	s_delay_alu instid0(VALU_DEP_2) | instskip(SKIP_1) | instid1(VALU_DEP_2)
	v_lshl_or_b32 v3, v66, 6, v0
	s_lshl_b64 s[6:7], s[6:7], 1
	v_ashrrev_i32_e32 v2, 31, v1
	ds_load_b128 v[3:6], v3
	s_waitcnt lgkmcnt(0)
	s_add_u32 s1, s4, s6
	s_addc_u32 s2, s5, s7
	s_lshl_b32 s4, s14, 6
	v_lshlrev_b64 v[7:8], 1, v[1:2]
	s_ashr_i32 s5, s4, 31
	s_delay_alu instid0(SALU_CYCLE_1) | instskip(NEXT) | instid1(SALU_CYCLE_1)
	s_lshl_b64 s[4:5], s[4:5], 1
	s_add_u32 s1, s1, s4
	s_addc_u32 s2, s2, s5
	v_add_co_u32 v1, s1, s1, v65
	s_delay_alu instid0(VALU_DEP_1) | instskip(NEXT) | instid1(VALU_DEP_2)
	v_add_co_ci_u32_e64 v2, null, s2, 0, s1
	v_add_co_u32 v7, vcc_lo, v1, v7
	s_delay_alu instid0(VALU_DEP_2)
	v_add_co_ci_u32_e32 v8, vcc_lo, v2, v8, vcc_lo
	global_store_b128 v[7:8], v[3:6], off
	s_and_b32 exec_lo, exec_lo, s3
	s_cbranch_execz .LBB1184_2
; %bb.16:
	ds_load_b128 v[3:6], v0 offset:128
	s_add_i32 s1, s33, 2
	s_delay_alu instid0(SALU_CYCLE_1) | instskip(NEXT) | instid1(SALU_CYCLE_1)
	s_mul_i32 s0, s1, s0
	s_ashr_i32 s1, s0, 31
	s_delay_alu instid0(SALU_CYCLE_1) | instskip(NEXT) | instid1(SALU_CYCLE_1)
	s_lshl_b64 s[0:1], s[0:1], 1
	v_add_co_u32 v0, vcc_lo, v1, s0
	v_add_co_ci_u32_e32 v1, vcc_lo, s1, v2, vcc_lo
	s_waitcnt lgkmcnt(0)
	global_store_b128 v[0:1], v[3:6], off
	s_nop 0
	s_sendmsg sendmsg(MSG_DEALLOC_VGPRS)
	s_endpgm
	.section	.rodata,"a",@progbits
	.p2align	6, 0x0
	.amdhsa_kernel _Z39paged_attention_ll4mi_QKV_mfma16_kernelIDF16_hLN4vllm18Fp8KVCacheDataTypeE1EhLi32ELi64ELi256ELb0ELi3EL8MFMAType0EEvPKT_PKT0_S8_ifPKiSA_SA_iPKfiiiPfSD_PS3_PT2_iSC_SC_
		.amdhsa_group_segment_fixed_size 17472
		.amdhsa_private_segment_fixed_size 0
		.amdhsa_kernarg_size 400
		.amdhsa_user_sgpr_count 13
		.amdhsa_user_sgpr_dispatch_ptr 0
		.amdhsa_user_sgpr_queue_ptr 0
		.amdhsa_user_sgpr_kernarg_segment_ptr 1
		.amdhsa_user_sgpr_dispatch_id 0
		.amdhsa_user_sgpr_private_segment_size 0
		.amdhsa_wavefront_size32 1
		.amdhsa_uses_dynamic_stack 0
		.amdhsa_enable_private_segment 0
		.amdhsa_system_sgpr_workgroup_id_x 1
		.amdhsa_system_sgpr_workgroup_id_y 1
		.amdhsa_system_sgpr_workgroup_id_z 1
		.amdhsa_system_sgpr_workgroup_info 0
		.amdhsa_system_vgpr_workitem_id 0
		.amdhsa_next_free_vgpr 146
		.amdhsa_next_free_sgpr 37
		.amdhsa_reserve_vcc 1
		.amdhsa_float_round_mode_32 0
		.amdhsa_float_round_mode_16_64 0
		.amdhsa_float_denorm_mode_32 3
		.amdhsa_float_denorm_mode_16_64 3
		.amdhsa_dx10_clamp 1
		.amdhsa_ieee_mode 1
		.amdhsa_fp16_overflow 0
		.amdhsa_workgroup_processor_mode 1
		.amdhsa_memory_ordered 1
		.amdhsa_forward_progress 0
		.amdhsa_shared_vgpr_count 0
		.amdhsa_exception_fp_ieee_invalid_op 0
		.amdhsa_exception_fp_denorm_src 0
		.amdhsa_exception_fp_ieee_div_zero 0
		.amdhsa_exception_fp_ieee_overflow 0
		.amdhsa_exception_fp_ieee_underflow 0
		.amdhsa_exception_fp_ieee_inexact 0
		.amdhsa_exception_int_div_zero 0
	.end_amdhsa_kernel
	.section	.text._Z39paged_attention_ll4mi_QKV_mfma16_kernelIDF16_hLN4vllm18Fp8KVCacheDataTypeE1EhLi32ELi64ELi256ELb0ELi3EL8MFMAType0EEvPKT_PKT0_S8_ifPKiSA_SA_iPKfiiiPfSD_PS3_PT2_iSC_SC_,"axG",@progbits,_Z39paged_attention_ll4mi_QKV_mfma16_kernelIDF16_hLN4vllm18Fp8KVCacheDataTypeE1EhLi32ELi64ELi256ELb0ELi3EL8MFMAType0EEvPKT_PKT0_S8_ifPKiSA_SA_iPKfiiiPfSD_PS3_PT2_iSC_SC_,comdat
.Lfunc_end1184:
	.size	_Z39paged_attention_ll4mi_QKV_mfma16_kernelIDF16_hLN4vllm18Fp8KVCacheDataTypeE1EhLi32ELi64ELi256ELb0ELi3EL8MFMAType0EEvPKT_PKT0_S8_ifPKiSA_SA_iPKfiiiPfSD_PS3_PT2_iSC_SC_, .Lfunc_end1184-_Z39paged_attention_ll4mi_QKV_mfma16_kernelIDF16_hLN4vllm18Fp8KVCacheDataTypeE1EhLi32ELi64ELi256ELb0ELi3EL8MFMAType0EEvPKT_PKT0_S8_ifPKiSA_SA_iPKfiiiPfSD_PS3_PT2_iSC_SC_
                                        ; -- End function
	.section	.AMDGPU.csdata,"",@progbits
; Kernel info:
; codeLenInByte = 6420
; NumSgprs: 39
; NumVgprs: 146
; ScratchSize: 0
; MemoryBound: 0
; FloatMode: 240
; IeeeMode: 1
; LDSByteSize: 17472 bytes/workgroup (compile time only)
; SGPRBlocks: 4
; VGPRBlocks: 18
; NumSGPRsForWavesPerEU: 39
; NumVGPRsForWavesPerEU: 146
; Occupancy: 9
; WaveLimiterHint : 1
; COMPUTE_PGM_RSRC2:SCRATCH_EN: 0
; COMPUTE_PGM_RSRC2:USER_SGPR: 13
; COMPUTE_PGM_RSRC2:TRAP_HANDLER: 0
; COMPUTE_PGM_RSRC2:TGID_X_EN: 1
; COMPUTE_PGM_RSRC2:TGID_Y_EN: 1
; COMPUTE_PGM_RSRC2:TGID_Z_EN: 1
; COMPUTE_PGM_RSRC2:TIDIG_COMP_CNT: 0
	.section	.text._Z39paged_attention_ll4mi_QKV_mfma16_kernelIDF16_hLN4vllm18Fp8KVCacheDataTypeE1EhLi32ELi64ELi256ELb0ELi4EL8MFMAType0EEvPKT_PKT0_S8_ifPKiSA_SA_iPKfiiiPfSD_PS3_PT2_iSC_SC_,"axG",@progbits,_Z39paged_attention_ll4mi_QKV_mfma16_kernelIDF16_hLN4vllm18Fp8KVCacheDataTypeE1EhLi32ELi64ELi256ELb0ELi4EL8MFMAType0EEvPKT_PKT0_S8_ifPKiSA_SA_iPKfiiiPfSD_PS3_PT2_iSC_SC_,comdat
	.protected	_Z39paged_attention_ll4mi_QKV_mfma16_kernelIDF16_hLN4vllm18Fp8KVCacheDataTypeE1EhLi32ELi64ELi256ELb0ELi4EL8MFMAType0EEvPKT_PKT0_S8_ifPKiSA_SA_iPKfiiiPfSD_PS3_PT2_iSC_SC_ ; -- Begin function _Z39paged_attention_ll4mi_QKV_mfma16_kernelIDF16_hLN4vllm18Fp8KVCacheDataTypeE1EhLi32ELi64ELi256ELb0ELi4EL8MFMAType0EEvPKT_PKT0_S8_ifPKiSA_SA_iPKfiiiPfSD_PS3_PT2_iSC_SC_
	.globl	_Z39paged_attention_ll4mi_QKV_mfma16_kernelIDF16_hLN4vllm18Fp8KVCacheDataTypeE1EhLi32ELi64ELi256ELb0ELi4EL8MFMAType0EEvPKT_PKT0_S8_ifPKiSA_SA_iPKfiiiPfSD_PS3_PT2_iSC_SC_
	.p2align	8
	.type	_Z39paged_attention_ll4mi_QKV_mfma16_kernelIDF16_hLN4vllm18Fp8KVCacheDataTypeE1EhLi32ELi64ELi256ELb0ELi4EL8MFMAType0EEvPKT_PKT0_S8_ifPKiSA_SA_iPKfiiiPfSD_PS3_PT2_iSC_SC_,@function
_Z39paged_attention_ll4mi_QKV_mfma16_kernelIDF16_hLN4vllm18Fp8KVCacheDataTypeE1EhLi32ELi64ELi256ELb0ELi4EL8MFMAType0EEvPKT_PKT0_S8_ifPKiSA_SA_iPKfiiiPfSD_PS3_PT2_iSC_SC_: ; @_Z39paged_attention_ll4mi_QKV_mfma16_kernelIDF16_hLN4vllm18Fp8KVCacheDataTypeE1EhLi32ELi64ELi256ELb0ELi4EL8MFMAType0EEvPKT_PKT0_S8_ifPKiSA_SA_iPKfiiiPfSD_PS3_PT2_iSC_SC_
; %bb.0:
	s_load_b64 s[2:3], s[0:1], 0x30
	s_mov_b32 s34, s13
	s_waitcnt lgkmcnt(0)
	s_cmp_lg_u64 s[2:3], 0
	s_cselect_b32 s8, -1, 0
	s_ashr_i32 s35, s13, 31
	s_cmp_eq_u64 s[2:3], 0
	s_cbranch_scc1 .LBB1185_3
; %bb.1:
	s_lshl_b64 s[4:5], s[34:35], 2
	s_delay_alu instid0(SALU_CYCLE_1) | instskip(SKIP_4) | instid1(SALU_CYCLE_1)
	s_add_u32 s4, s2, s4
	s_addc_u32 s5, s3, s5
	s_load_b64 s[4:5], s[4:5], 0x0
	s_waitcnt lgkmcnt(0)
	s_sub_i32 s4, s5, s4
	s_cmp_eq_u32 s4, 1
	s_cselect_b32 s4, -1, 0
	s_delay_alu instid0(SALU_CYCLE_1)
	s_and_not1_b32 vcc_lo, exec_lo, s4
	s_cbranch_vccz .LBB1185_4
.LBB1185_2:
	s_endpgm
.LBB1185_3:
.LBB1185_4:
	s_load_b64 s[4:5], s[0:1], 0x28
	s_lshl_b64 s[6:7], s[34:35], 2
	s_waitcnt lgkmcnt(0)
	s_add_u32 s4, s4, s6
	s_addc_u32 s5, s5, s7
	s_lshl_b32 s12, s14, 8
	s_load_b32 s24, s[4:5], 0x0
	s_waitcnt lgkmcnt(0)
	s_cmp_ge_i32 s12, s24
	s_cbranch_scc1 .LBB1185_2
; %bb.5:
	s_clause 0x1
	s_load_b128 s[20:23], s[0:1], 0x8
	s_load_b64 s[4:5], s[0:1], 0x20
	s_and_not1_b32 vcc_lo, exec_lo, s8
	s_cbranch_vccnz .LBB1185_7
; %bb.6:
	s_add_u32 s2, s2, s6
	s_addc_u32 s3, s3, s7
	s_load_b32 s3, s[2:3], 0x0
	s_branch .LBB1185_8
.LBB1185_7:
	s_mov_b32 s3, s34
.LBB1185_8:
	s_load_b128 s[16:19], s[0:1], 0x48
	v_and_b32_e32 v69, 15, v0
	v_cmp_gt_u32_e32 vcc_lo, 64, v0
	v_lshrrev_b32_e32 v68, 5, v0
	v_and_b32_e32 v70, 31, v0
	v_and_b32_e32 v66, 1, v0
	v_lshlrev_b32_e32 v1, 3, v69
	v_cmp_gt_u32_e64 s2, 8, v69
	v_bfe_u32 v67, v0, 4, 1
	s_lshl_b32 s31, s15, 2
	s_delay_alu instid0(VALU_DEP_3) | instskip(NEXT) | instid1(VALU_DEP_3)
	v_lshlrev_b32_e32 v65, 1, v1
	s_and_b32 s7, vcc_lo, s2
	s_delay_alu instid0(SALU_CYCLE_1)
	s_and_saveexec_b32 s6, s7
	s_cbranch_execz .LBB1185_10
; %bb.9:
	v_lshl_or_b32 v5, v68, 1, v67
	s_load_b64 s[8:9], s[0:1], 0x0
	s_waitcnt lgkmcnt(0)
	s_mul_hi_i32 s11, s3, s16
	s_mul_i32 s10, s3, s16
	v_lshlrev_b32_e32 v6, 10, v69
	v_or_b32_e32 v1, s31, v5
	s_lshl_b64 s[10:11], s[10:11], 1
	v_lshlrev_b32_e32 v5, 6, v5
	v_lshlrev_b32_e32 v7, 10, v66
	v_and_b32_e32 v6, 0x3800, v6
	v_lshlrev_b32_e32 v1, 6, v1
	s_delay_alu instid0(VALU_DEP_2) | instskip(NEXT) | instid1(VALU_DEP_2)
	v_or3_b32 v5, v6, v7, v5
	v_ashrrev_i32_e32 v2, 31, v1
	s_delay_alu instid0(VALU_DEP_1) | instskip(SKIP_2) | instid1(VALU_DEP_1)
	v_lshlrev_b64 v[1:2], 1, v[1:2]
	s_add_u32 s3, s8, s10
	s_addc_u32 s7, s9, s11
	v_add_co_u32 v1, vcc_lo, s3, v1
	s_delay_alu instid0(VALU_DEP_2) | instskip(NEXT) | instid1(VALU_DEP_2)
	v_add_co_ci_u32_e32 v2, vcc_lo, s7, v2, vcc_lo
	v_add_co_u32 v1, vcc_lo, v1, v65
	s_delay_alu instid0(VALU_DEP_2)
	v_add_co_ci_u32_e32 v2, vcc_lo, 0, v2, vcc_lo
	global_load_b128 v[1:4], v[1:2], off
	s_waitcnt vmcnt(0)
	ds_store_b128 v5, v[1:4]
.LBB1185_10:
	s_or_b32 exec_lo, exec_lo, s6
	v_and_b32_e32 v1, 0xef, v0
	s_waitcnt lgkmcnt(0)
	s_add_i32 s3, s24, 31
	s_clause 0x1
	s_load_b32 s6, s[0:1], 0x38
	s_load_b32 s33, s[0:1], 0x98
	s_ashr_i32 s7, s3, 31
	v_add_nc_u32_e32 v1, s12, v1
	s_lshr_b32 s7, s7, 27
	s_load_b32 s19, s[0:1], 0x1c
	s_add_i32 s3, s3, s7
	s_waitcnt lgkmcnt(0)
	v_ashrrev_i32_e32 v2, 31, v1
	v_or_b32_e32 v3, 16, v1
	s_ashr_i32 s3, s3, 5
	v_cmp_gt_i32_e32 vcc_lo, s24, v1
	s_add_i32 s3, s3, -1
	v_lshrrev_b32_e32 v2, 27, v2
	s_barrier
	buffer_gl0_inv
	s_mul_i32 s27, s15, s18
	v_add_nc_u32_e32 v4, v1, v2
	s_mul_i32 s6, s34, s6
	s_delay_alu instid0(SALU_CYCLE_1) | instskip(NEXT) | instid1(VALU_DEP_1)
	s_ashr_i32 s7, s6, 31
	v_ashrrev_i32_e32 v4, 5, v4
	v_add_nc_u32_e32 v2, v3, v2
	s_lshl_b64 s[6:7], s[6:7], 2
	s_delay_alu instid0(SALU_CYCLE_1) | instskip(NEXT) | instid1(VALU_DEP_2)
	s_add_u32 s26, s4, s6
	v_cndmask_b32_e32 v1, s3, v4, vcc_lo
	s_delay_alu instid0(VALU_DEP_2)
	v_ashrrev_i32_e32 v2, 5, v2
	v_cmp_gt_i32_e32 vcc_lo, s24, v3
	s_addc_u32 s25, s5, s7
	s_ashr_i32 s28, s27, 31
	s_add_u32 s4, s20, s27
	s_addc_u32 s5, s21, s28
	v_cndmask_b32_e32 v3, s3, v2, vcc_lo
	v_ashrrev_i32_e32 v2, 31, v1
	s_lshl_b32 s6, s14, 3
	s_delay_alu instid0(SALU_CYCLE_1) | instskip(NEXT) | instid1(VALU_DEP_2)
	s_ashr_i32 s7, s6, 31
	v_ashrrev_i32_e32 v4, 31, v3
	s_delay_alu instid0(VALU_DEP_2) | instskip(SKIP_1) | instid1(SALU_CYCLE_1)
	v_lshlrev_b64 v[1:2], 2, v[1:2]
	s_lshl_b64 s[6:7], s[6:7], 2
	s_add_u32 s6, s26, s6
	s_delay_alu instid0(VALU_DEP_2) | instskip(SKIP_1) | instid1(VALU_DEP_2)
	v_lshlrev_b64 v[3:4], 2, v[3:4]
	s_addc_u32 s7, s25, s7
	v_add_co_u32 v1, vcc_lo, s26, v1
	v_add_co_ci_u32_e32 v2, vcc_lo, s25, v2, vcc_lo
	s_delay_alu instid0(VALU_DEP_3) | instskip(NEXT) | instid1(VALU_DEP_4)
	v_add_co_u32 v3, vcc_lo, s26, v3
	v_add_co_ci_u32_e32 v4, vcc_lo, s25, v4, vcc_lo
	s_clause 0x1
	global_load_b32 v5, v[1:2], off
	global_load_b32 v6, v[3:4], off
	s_or_b32 s8, s12, 32
	s_delay_alu instid0(SALU_CYCLE_1) | instskip(SKIP_2) | instid1(SALU_CYCLE_1)
	s_ashr_i32 s9, s8, 5
	s_cmp_lt_i32 s8, s24
	s_cselect_b32 s8, s9, s3
	s_ashr_i32 s9, s8, 31
	s_delay_alu instid0(SALU_CYCLE_1) | instskip(NEXT) | instid1(SALU_CYCLE_1)
	s_lshl_b64 s[8:9], s[8:9], 2
	s_add_u32 s8, s26, s8
	s_addc_u32 s9, s25, s9
	s_or_b32 s10, s12, 64
	s_delay_alu instid0(SALU_CYCLE_1) | instskip(SKIP_2) | instid1(SALU_CYCLE_1)
	s_ashr_i32 s11, s10, 5
	s_cmp_lt_i32 s10, s24
	s_cselect_b32 s10, s11, s3
	s_ashr_i32 s11, s10, 31
	s_delay_alu instid0(SALU_CYCLE_1) | instskip(NEXT) | instid1(SALU_CYCLE_1)
	s_lshl_b64 s[10:11], s[10:11], 2
	s_add_u32 s10, s26, s10
	s_addc_u32 s11, s25, s11
	;; [unrolled: 10-line block ×5, first 2 shown]
	s_clause 0x5
	s_load_b32 s21, s[6:7], 0x0
	s_load_b32 s13, s[8:9], 0x0
	s_load_b32 s15, s[10:11], 0x0
	s_load_b32 s16, s[36:37], 0x0
	s_load_b32 s18, s[38:39], 0x0
	s_load_b32 s20, s[40:41], 0x0
	s_or_b32 s7, s12, 0xc0
	s_delay_alu instid0(SALU_CYCLE_1) | instskip(SKIP_2) | instid1(SALU_CYCLE_1)
	s_ashr_i32 s8, s7, 5
	s_cmp_lt_i32 s7, s24
	s_cselect_b32 s10, s8, s3
	s_ashr_i32 s11, s10, 31
	s_delay_alu instid0(SALU_CYCLE_1) | instskip(NEXT) | instid1(SALU_CYCLE_1)
	s_lshl_b64 s[36:37], s[10:11], 2
	s_add_u32 s36, s26, s36
	s_addc_u32 s37, s25, s37
	s_or_b32 s29, s12, 0xe0
	s_delay_alu instid0(SALU_CYCLE_1)
	s_ashr_i32 s30, s29, 5
	s_cmp_lt_i32 s29, s24
	s_waitcnt vmcnt(1)
	v_mad_i64_i32 v[1:2], null, v5, s17, s[4:5]
	s_waitcnt vmcnt(0)
	v_mad_i64_i32 v[3:4], null, v6, s17, s[4:5]
	s_mov_b32 s4, 0
	s_delay_alu instid0(SALU_CYCLE_1)
	s_mov_b32 s5, s4
	s_mov_b32 s6, s4
	;; [unrolled: 1-line block ×7, first 2 shown]
	s_delay_alu instid0(SALU_CYCLE_1) | instskip(SKIP_2) | instid1(VALU_DEP_3)
	v_dual_mov_b32 v102, s11 :: v_dual_lshlrev_b32 v5, 4, v69
	v_dual_mov_b32 v98, s7 :: v_dual_mov_b32 v101, s10
	v_mov_b32_e32 v100, s9
	v_add_co_u32 v1, vcc_lo, v1, v5
	v_add_co_ci_u32_e32 v2, vcc_lo, 0, v2, vcc_lo
	v_add_co_u32 v3, vcc_lo, v3, v5
	v_add_co_ci_u32_e32 v4, vcc_lo, 0, v4, vcc_lo
	s_clause 0x7
	global_load_b128 v[57:60], v[1:2], off
	global_load_b128 v[61:64], v[1:2], off offset:512
	global_load_b128 v[71:74], v[3:4], off offset:256
	;; [unrolled: 1-line block ×7, first 2 shown]
	v_dual_mov_b32 v96, s5 :: v_dual_and_b32 v1, 3, v0
	v_mov_b32_e32 v99, s8
	v_mov_b32_e32 v97, s6
	;; [unrolled: 1-line block ×3, first 2 shown]
	s_cselect_b32 s4, s30, s3
	v_lshlrev_b32_e32 v2, 5, v69
	s_ashr_i32 s5, s4, 31
	v_lshlrev_b32_e32 v121, 6, v1
	s_lshl_b64 s[4:5], s[4:5], 2
	s_load_b32 s3, s[36:37], 0x0
	s_add_u32 s4, s26, s4
	s_addc_u32 s5, s25, s5
	v_lshl_or_b32 v1, v68, 9, v2
	ds_load_b128 v[103:106], v121
	ds_load_b128 v[107:110], v121 offset:1024
	s_load_b32 s4, s[4:5], 0x0
	s_add_u32 s6, s22, s27
	s_addc_u32 s7, s23, s28
	v_add_co_u32 v17, s6, s6, v1
	s_delay_alu instid0(VALU_DEP_1) | instskip(SKIP_1) | instid1(VALU_DEP_1)
	v_add_co_ci_u32_e64 v18, null, s7, 0, s6
	s_waitcnt lgkmcnt(0)
	v_mad_i64_i32 v[1:2], null, s21, s17, v[17:18]
	v_mad_i64_i32 v[3:4], null, s13, s17, v[17:18]
	;; [unrolled: 1-line block ×7, first 2 shown]
	s_clause 0x9
	global_load_b128 v[49:52], v[1:2], off
	global_load_b128 v[53:56], v[1:2], off offset:16
	global_load_b128 v[41:44], v[3:4], off
	global_load_b128 v[45:48], v[3:4], off offset:16
	;; [unrolled: 2-line block ×5, first 2 shown]
	v_mad_i64_i32 v[119:120], null, s4, s17, v[17:18]
	s_clause 0x3
	global_load_b128 v[17:20], v[21:22], off
	global_load_b128 v[21:24], v[21:22], off offset:16
	global_load_b128 v[25:28], v[29:30], off
	global_load_b128 v[29:32], v[29:30], off offset:16
	s_waitcnt vmcnt(20)
	v_wmma_f32_16x16x16_f16 v[111:118], v[57:64], v[103:110], v[95:102]
	s_clause 0x1
	global_load_b128 v[57:60], v[119:120], off
	global_load_b128 v[61:64], v[119:120], off offset:16
	s_waitcnt vmcnt(20)
	v_wmma_f32_16x16x16_f16 v[95:102], v[71:78], v[103:110], v[95:102]
	ds_load_b128 v[71:74], v121 offset:2048
	ds_load_b128 v[75:78], v121 offset:3072
	v_mbcnt_lo_u32_b32 v104, -1, 0
	s_waitcnt vmcnt(0) lgkmcnt(0)
	s_barrier
	buffer_gl0_inv
	v_xor_b32_e32 v105, 16, v104
	s_delay_alu instid0(VALU_DEP_1) | instskip(SKIP_4) | instid1(VALU_DEP_2)
	v_cmp_gt_i32_e32 vcc_lo, 32, v105
	v_cndmask_b32_e32 v104, v104, v105, vcc_lo
	v_wmma_f32_16x16x16_f16 v[111:118], v[79:86], v[71:78], v[111:118]
	v_and_b32_e32 v103, 0xe0, v0
	v_wmma_f32_16x16x16_f16 v[95:102], v[87:94], v[71:78], v[95:102]
	v_dual_mul_f32 v78, s19, v113 :: v_dual_add_nc_u32 v103, s12, v103
	s_delay_alu instid0(VALU_DEP_2) | instskip(SKIP_1) | instid1(VALU_DEP_3)
	v_dual_mul_f32 v90, s19, v101 :: v_dual_mul_f32 v87, s19, v112
	v_dual_mul_f32 v88, s19, v111 :: v_dual_mul_f32 v77, s19, v114
	v_or_b32_e32 v103, v103, v67
	v_dual_mul_f32 v75, s19, v116 :: v_dual_mul_f32 v94, s19, v97
	v_dual_mul_f32 v76, s19, v115 :: v_dual_mul_f32 v73, s19, v118
	v_mul_f32_e32 v92, s19, v99
	s_delay_alu instid0(VALU_DEP_4)
	v_or_b32_e32 v105, 2, v103
	v_or_b32_e32 v106, 4, v103
	;; [unrolled: 1-line block ×3, first 2 shown]
	v_cmp_gt_i32_e64 s3, s24, v103
	v_or_b32_e32 v108, 8, v103
	v_cmp_gt_i32_e32 vcc_lo, s24, v105
	v_or_b32_e32 v109, 10, v103
	v_cmp_gt_i32_e64 s4, s24, v106
	v_cndmask_b32_e64 v88, 0xff7fffff, v88, s3
	v_cmp_gt_i32_e64 s5, s24, v107
	v_cndmask_b32_e32 v87, 0xff7fffff, v87, vcc_lo
	v_or_b32_e32 v79, 12, v103
	v_or_b32_e32 v80, 14, v103
	v_cndmask_b32_e64 v78, 0xff7fffff, v78, s4
	v_cndmask_b32_e64 v77, 0xff7fffff, v77, s5
	v_max3_f32 v87, v88, 0xff7fffff, v87
	v_cmp_gt_i32_e64 s6, s24, v108
	v_cmp_gt_i32_e64 s7, s24, v109
	v_or_b32_e32 v81, 16, v103
	v_or_b32_e32 v82, 18, v103
	v_mul_f32_e32 v74, s19, v117
	v_cndmask_b32_e64 v76, 0xff7fffff, v76, s6
	v_cndmask_b32_e64 v75, 0xff7fffff, v75, s7
	v_max3_f32 v77, v87, v78, v77
	v_cmp_gt_i32_e64 s8, s24, v79
	v_cmp_gt_i32_e64 s9, s24, v80
	v_or_b32_e32 v83, 20, v103
	v_or_b32_e32 v84, 22, v103
	;; [unrolled: 1-line block ×6, first 2 shown]
	v_mul_f32_e32 v105, s19, v96
	v_mul_f32_e32 v103, s19, v95
	v_cndmask_b32_e64 v74, 0xff7fffff, v74, s8
	v_cndmask_b32_e64 v73, 0xff7fffff, v73, s9
	v_max3_f32 v75, v77, v76, v75
	v_cmp_gt_i32_e64 s10, s24, v81
	v_cmp_gt_i32_e64 s11, s24, v82
	v_mul_f32_e32 v93, s19, v98
	v_cmp_gt_i32_e64 s12, s24, v83
	v_max3_f32 v73, v75, v74, v73
	v_cndmask_b32_e64 v76, 0xff7fffff, v103, s10
	v_cndmask_b32_e64 v77, 0xff7fffff, v105, s11
	v_cmp_gt_i32_e64 s13, s24, v84
	v_mul_f32_e32 v91, s19, v100
	v_cndmask_b32_e64 v74, 0xff7fffff, v94, s12
	v_cmp_gt_i32_e64 s15, s24, v85
	v_max3_f32 v73, v73, v76, v77
	v_cndmask_b32_e64 v75, 0xff7fffff, v93, s13
	v_cmp_gt_i32_e64 s16, s24, v86
	v_mul_f32_e32 v89, s19, v102
	v_cndmask_b32_e64 v76, 0xff7fffff, v92, s15
	v_cmp_gt_i32_e64 s17, s24, v71
	v_max3_f32 v73, v73, v74, v75
	v_cndmask_b32_e64 v77, 0xff7fffff, v91, s16
	v_cmp_gt_i32_e64 s18, s24, v72
	v_lshlrev_b32_e32 v74, 2, v104
	v_cndmask_b32_e64 v71, 0xff7fffff, v90, s17
	s_delay_alu instid0(VALU_DEP_4) | instskip(NEXT) | instid1(VALU_DEP_4)
	v_max3_f32 v73, v73, v76, v77
	v_cndmask_b32_e64 v72, 0xff7fffff, v89, s18
	s_delay_alu instid0(VALU_DEP_1) | instskip(SKIP_3) | instid1(VALU_DEP_1)
	v_max3_f32 v71, v73, v71, v72
	ds_bpermute_b32 v72, v74, v71
	s_waitcnt lgkmcnt(0)
	v_max_f32_e32 v72, v72, v72
	v_max_f32_e32 v71, v71, v72
	s_delay_alu instid0(VALU_DEP_1)
	v_fma_f32 v72, s19, v111, -v71
	v_fma_f32 v76, s19, v114, -v71
	;; [unrolled: 1-line block ×5, first 2 shown]
	v_mul_f32_e32 v72, 0x3fb8aa3b, v72
	v_mul_f32_e32 v76, 0x3fb8aa3b, v76
	v_fma_f32 v75, s19, v113, -v71
	v_mul_f32_e32 v79, 0x3fb8aa3b, v77
	v_mul_f32_e32 v85, 0x3fb8aa3b, v84
	v_exp_f32_e32 v72, v72
	v_exp_f32_e32 v76, v76
	v_fma_f32 v86, s19, v98, -v71
	v_exp_f32_e32 v82, v79
	v_exp_f32_e32 v85, v85
	v_fma_f32 v81, s19, v117, -v71
	s_delay_alu instid0(VALU_DEP_2) | instskip(SKIP_3) | instid1(TRANS32_DEP_3)
	v_mul_f32_e32 v87, 0x3fb8aa3b, v86
	v_cndmask_b32_e64 v78, 0, v72, s3
	v_fma_f32 v72, s19, v116, -v71
	v_mul_f32_e32 v73, 0x3fb8aa3b, v73
	v_cndmask_b32_e64 v79, 0, v76, s5
	v_fma_f32 v76, s19, v95, -v71
	s_delay_alu instid0(VALU_DEP_4) | instskip(NEXT) | instid1(VALU_DEP_4)
	v_dual_mul_f32 v75, 0x3fb8aa3b, v75 :: v_dual_mul_f32 v72, 0x3fb8aa3b, v72
	v_exp_f32_e32 v73, v73
	v_exp_f32_e32 v87, v87
	s_delay_alu instid0(VALU_DEP_2) | instskip(NEXT) | instid1(VALU_DEP_2)
	v_mul_f32_e32 v76, 0x3fb8aa3b, v76
	v_exp_f32_e32 v75, v75
	v_cndmask_b32_e64 v85, 0, v85, s11
	v_mul_f32_e32 v81, 0x3fb8aa3b, v81
	v_exp_f32_e32 v72, v72
	v_cndmask_b32_e64 v82, 0, v82, s6
	v_exp_f32_e32 v76, v76
	s_mov_b32 s3, exec_lo
	v_cndmask_b32_e32 v77, 0, v73, vcc_lo
	v_add_f32_e32 v73, 0, v78
	v_cndmask_b32_e64 v87, 0, v87, s13
	v_cndmask_b32_e64 v80, 0, v75, s4
	v_fma_f32 v75, s19, v118, -v71
	v_exp_f32_e32 v83, v81
	v_add_f32_e32 v73, v73, v77
	v_cndmask_b32_e64 v81, 0, v72, s7
	v_cndmask_b32_e64 v86, 0, v76, s10
	v_mul_f32_e32 v75, 0x3fb8aa3b, v75
	s_delay_alu instid0(VALU_DEP_4) | instskip(NEXT) | instid1(VALU_DEP_2)
	v_add_f32_e32 v73, v73, v80
	v_exp_f32_e32 v75, v75
	s_delay_alu instid0(TRANS32_DEP_2) | instskip(NEXT) | instid1(VALU_DEP_2)
	v_cndmask_b32_e64 v84, 0, v83, s8
	v_add_f32_e32 v73, v73, v79
	s_delay_alu instid0(VALU_DEP_1) | instskip(SKIP_3) | instid1(VALU_DEP_1)
	v_add_f32_e32 v72, v73, v82
	s_waitcnt_depctr 0xfff
	v_cndmask_b32_e64 v83, 0, v75, s9
	v_add_f32_e32 v72, v72, v81
	v_add_f32_e32 v72, v72, v84
	s_delay_alu instid0(VALU_DEP_1) | instskip(NEXT) | instid1(VALU_DEP_1)
	v_add_f32_e32 v72, v72, v83
	v_add_f32_e32 v72, v72, v86
	v_fma_f32 v73, s19, v97, -v71
	v_fma_f32 v75, s19, v99, -v71
	;; [unrolled: 1-line block ×4, first 2 shown]
	v_add_f32_e32 v72, v72, v85
	v_mul_f32_e32 v73, 0x3fb8aa3b, v73
	s_delay_alu instid0(VALU_DEP_4) | instskip(NEXT) | instid1(VALU_DEP_2)
	v_dual_mul_f32 v75, 0x3fb8aa3b, v75 :: v_dual_mul_f32 v76, 0x3fb8aa3b, v76
	v_exp_f32_e32 v73, v73
	s_delay_alu instid0(VALU_DEP_1) | instskip(NEXT) | instid1(VALU_DEP_1)
	v_exp_f32_e32 v75, v75
	v_exp_f32_e32 v76, v76
	s_delay_alu instid0(TRANS32_DEP_3)
	v_cndmask_b32_e64 v88, 0, v73, s12
	v_mul_f32_e32 v73, 0x3fb8aa3b, v89
	v_fma_f32 v89, s19, v102, -v71
	s_waitcnt_depctr 0xfff
	v_cndmask_b32_e64 v90, 0, v75, s15
	v_add_f32_e32 v72, v72, v88
	v_exp_f32_e32 v73, v73
	v_mul_f32_e32 v75, 0x3fb8aa3b, v89
	v_cndmask_b32_e64 v89, 0, v76, s16
	s_delay_alu instid0(VALU_DEP_3) | instskip(NEXT) | instid1(VALU_DEP_3)
	v_add_f32_e32 v72, v72, v87
	v_exp_f32_e32 v75, v75
	s_delay_alu instid0(VALU_DEP_1) | instskip(SKIP_4) | instid1(VALU_DEP_2)
	v_add_f32_e32 v72, v72, v90
	s_waitcnt_depctr 0xfff
	v_cndmask_b32_e64 v92, 0, v73, s17
	v_add_f32_e32 v72, v72, v89
	v_cndmask_b32_e64 v91, 0, v75, s18
	v_add_f32_e32 v72, v72, v92
	s_delay_alu instid0(VALU_DEP_1)
	v_add_f32_e32 v72, v72, v91
	ds_bpermute_b32 v73, v74, v72
	v_cmpx_gt_u32_e32 16, v70
	s_cbranch_execz .LBB1185_12
; %bb.11:
	v_mul_u32_u24_e32 v70, 0x44, v68
	s_waitcnt lgkmcnt(0)
	v_add_f32_e32 v72, v72, v73
	s_delay_alu instid0(VALU_DEP_2) | instskip(NEXT) | instid1(VALU_DEP_1)
	v_lshl_add_u32 v70, v69, 2, v70
	v_add_nc_u32_e32 v70, 0x4000, v70
	ds_store_2addr_b32 v70, v71, v72 offset1:136
.LBB1185_12:
	s_or_b32 exec_lo, exec_lo, s3
	v_lshlrev_b32_e32 v70, 2, v69
	s_load_b32 s35, s[0:1], 0x94
	s_waitcnt lgkmcnt(0)
	s_barrier
	buffer_gl0_inv
	v_add_nc_u32_e32 v74, 0x4000, v70
	v_cmp_eq_u32_e32 vcc_lo, 1, v68
	v_cmp_eq_u32_e64 s3, 2, v68
	v_cmp_eq_u32_e64 s4, 3, v68
	;; [unrolled: 1-line block ×3, first 2 shown]
	ds_load_2addr_b32 v[70:71], v74 offset1:17
	ds_load_2addr_b32 v[72:73], v74 offset0:34 offset1:51
	ds_load_2addr_b32 v[93:94], v74 offset0:68 offset1:85
	;; [unrolled: 1-line block ×3, first 2 shown]
	v_cmp_eq_u32_e64 s6, 5, v68
	v_cmp_eq_u32_e64 s7, 7, v68
	s_waitcnt lgkmcnt(3)
	v_max3_f32 v75, v70, 0xff7fffff, v71
	s_waitcnt lgkmcnt(2)
	s_delay_alu instid0(VALU_DEP_1) | instskip(SKIP_1) | instid1(VALU_DEP_1)
	v_max3_f32 v75, v75, v72, v73
	s_waitcnt lgkmcnt(1)
	v_max3_f32 v75, v75, v93, v94
	s_waitcnt lgkmcnt(0)
	s_delay_alu instid0(VALU_DEP_1) | instskip(NEXT) | instid1(VALU_DEP_1)
	v_max3_f32 v75, v75, v95, v96
	v_sub_f32_e32 v93, v93, v75
	ds_load_2addr_b32 v[97:98], v74 offset0:136 offset1:153
	v_sub_f32_e32 v70, v70, v75
	v_dual_sub_f32 v100, v73, v75 :: v_dual_mul_f32 v103, 0x3fb8aa3b, v93
	s_delay_alu instid0(VALU_DEP_2) | instskip(SKIP_3) | instid1(VALU_DEP_1)
	v_dual_sub_f32 v76, v71, v75 :: v_dual_mul_f32 v99, 0x3fb8aa3b, v70
	ds_load_2addr_b32 v[70:71], v74 offset0:170 offset1:187
	v_mul_f32_e32 v76, 0x3fb8aa3b, v76
	v_exp_f32_e32 v99, v99
	v_exp_f32_e32 v102, v76
	v_mul_f32_e32 v100, 0x3fb8aa3b, v100
	s_waitcnt lgkmcnt(1)
	s_waitcnt_depctr 0xfff
	v_fma_f32 v76, v99, v97, 0
	v_sub_f32_e32 v97, v94, v75
	v_sub_f32_e32 v72, v72, v75
	v_exp_f32_e32 v100, v100
	ds_load_2addr_b32 v[93:94], v74 offset0:238 offset1:255
	v_dual_fmac_f32 v76, v102, v98 :: v_dual_mul_f32 v101, 0x3fb8aa3b, v72
	ds_load_2addr_b32 v[72:73], v74 offset0:204 offset1:221
	v_dual_sub_f32 v74, v95, v75 :: v_dual_mul_f32 v95, 0x3fb8aa3b, v97
	v_exp_f32_e32 v97, v103
	v_exp_f32_e32 v101, v101
	s_waitcnt lgkmcnt(0)
	s_delay_alu instid0(VALU_DEP_1)
	v_mul_f32_e32 v74, 0x3fb8aa3b, v74
	v_exp_f32_e32 v95, v95
	s_barrier
	buffer_gl0_inv
	v_fmac_f32_e32 v76, v101, v70
	v_sub_f32_e32 v70, v96, v75
	v_exp_f32_e32 v96, v74
	s_delay_alu instid0(VALU_DEP_2) | instskip(NEXT) | instid1(VALU_DEP_2)
	v_fmac_f32_e32 v76, v100, v71
	v_mul_f32_e32 v70, 0x3fb8aa3b, v70
	s_delay_alu instid0(VALU_DEP_2) | instskip(NEXT) | instid1(VALU_DEP_2)
	v_dual_cndmask_b32 v71, v99, v102 :: v_dual_fmac_f32 v76, v97, v72
	v_exp_f32_e32 v98, v70
	v_lshlrev_b32_e32 v72, 6, v69
	s_delay_alu instid0(VALU_DEP_2) | instskip(NEXT) | instid1(VALU_DEP_2)
	v_dual_fmac_f32 v76, v95, v73 :: v_dual_lshlrev_b32 v69, 2, v67
	v_lshl_or_b32 v74, v68, 11, v72
	s_delay_alu instid0(VALU_DEP_2)
	v_cmp_eq_u32_e64 s8, 7, v69
	s_delay_alu instid0(TRANS32_DEP_2) | instid1(VALU_DEP_3)
	v_fmac_f32_e32 v76, v96, v93
	s_waitcnt_depctr 0xfff
	v_fmac_f32_e32 v76, v98, v94
	s_delay_alu instid0(VALU_DEP_1) | instskip(NEXT) | instid1(VALU_DEP_1)
	v_add_f32_e32 v73, 0x358637bd, v76
	v_div_scale_f32 v93, null, v73, v73, 1.0
	v_div_scale_f32 v99, vcc_lo, 1.0, v73, 1.0
	s_delay_alu instid0(VALU_DEP_2) | instskip(SKIP_2) | instid1(VALU_DEP_1)
	v_rcp_f32_e32 v94, v93
	s_waitcnt_depctr 0xfff
	v_fma_f32 v70, -v93, v94, 1.0
	v_fmac_f32_e32 v94, v70, v94
	v_cndmask_b32_e64 v70, v71, v101, s3
	v_cmp_eq_u32_e64 s3, 6, v68
	v_or_b32_e32 v71, 1, v69
	v_or_b32_e32 v68, 2, v69
	v_mul_f32_e32 v101, v99, v94
	v_cndmask_b32_e64 v70, v70, v100, s4
	v_cmp_eq_u32_e64 s4, 1, v69
	v_cmp_eq_u32_e64 s9, 1, v71
	;; [unrolled: 1-line block ×3, first 2 shown]
	v_fma_f32 v100, -v93, v101, v99
	v_cndmask_b32_e64 v70, v70, v97, s5
	v_cmp_eq_u32_e64 s5, 2, v69
	v_cmp_eq_u32_e64 s12, 2, v71
	;; [unrolled: 1-line block ×3, first 2 shown]
	v_fmac_f32_e32 v101, v100, v94
	v_cndmask_b32_e64 v95, v70, v95, s6
	v_or_b32_e32 v70, 3, v69
	v_cmp_eq_u32_e64 s13, 3, v71
	v_cmp_eq_u32_e64 s17, 3, v68
	v_fma_f32 v93, -v93, v101, v99
	v_cndmask_b32_e64 v95, v95, v96, s3
	v_cmp_eq_u32_e64 s11, 1, v70
	v_cmp_eq_u32_e64 s16, 2, v70
	;; [unrolled: 1-line block ×3, first 2 shown]
	v_div_fmas_f32 v93, v93, v94, v101
	v_cndmask_b32_e64 v94, v95, v98, s7
	v_cmp_eq_u32_e32 vcc_lo, 3, v69
	v_cmp_eq_u32_e64 s3, 4, v69
	v_cmp_eq_u32_e64 s19, 4, v71
	v_div_fixup_f32 v93, v93, v73, 1.0
	v_lshl_or_b32 v73, v67, 4, v74
	v_cmp_eq_u32_e64 s22, 4, v70
	v_cmp_eq_u32_e64 s6, 5, v69
	;; [unrolled: 1-line block ×3, first 2 shown]
	v_mul_f32_e32 v101, v94, v93
	v_cmp_eq_u32_e64 s21, 4, v68
	v_cmp_eq_u32_e64 s24, 5, v70
	;; [unrolled: 1-line block ×4, first 2 shown]
	v_fma_mixlo_f16 v93, v101, v78, 0
	v_fma_mixlo_f16 v94, v101, v80, 0
	;; [unrolled: 1-line block ×8, first 2 shown]
	v_fma_mixhi_f16 v93, v101, v77, 0
	v_fma_mixhi_f16 v94, v101, v79, 0
	;; [unrolled: 1-line block ×8, first 2 shown]
	ds_store_b128 v73, v[93:96]
	ds_store_b128 v73, v[97:100] offset:1024
	s_waitcnt lgkmcnt(0)
	s_barrier
	buffer_gl0_inv
	ds_load_b128 v[77:80], v74
	ds_load_b128 v[81:84], v74 offset:16
	ds_load_b128 v[85:88], v74 offset:1024
	;; [unrolled: 1-line block ×3, first 2 shown]
	v_cmp_eq_u32_e64 s27, 6, v70
	v_cmp_eq_u32_e64 s7, 6, v69
	;; [unrolled: 1-line block ×6, first 2 shown]
	s_waitcnt lgkmcnt(3)
	v_lshrrev_b32_e32 v93, 16, v77
	s_waitcnt lgkmcnt(2)
	v_lshrrev_b32_e32 v97, 16, v81
	;; [unrolled: 2-line block ×4, first 2 shown]
	v_lshrrev_b32_e32 v94, 16, v78
	v_cndmask_b32_e64 v109, v77, v93, s4
	v_cndmask_b32_e64 v110, v81, v97, s4
	;; [unrolled: 1-line block ×8, first 2 shown]
	v_lshrrev_b32_e32 v98, 16, v82
	v_cndmask_b32_e64 v93, v85, v101, s4
	v_cndmask_b32_e64 v97, v89, v105, s4
	;; [unrolled: 1-line block ×15, first 2 shown]
	v_lshrrev_b32_e32 v102, 16, v86
	v_lshrrev_b32_e32 v106, 16, v90
	v_cndmask_b32_e64 v112, v114, v82, s15
	v_cndmask_b32_e64 v81, v93, v86, s5
	;; [unrolled: 1-line block ×7, first 2 shown]
	v_cndmask_b32_e32 v89, v101, v94, vcc_lo
	v_cndmask_b32_e32 v101, v105, v98, vcc_lo
	v_cndmask_b32_e64 v105, v109, v94, s13
	v_cndmask_b32_e64 v109, v110, v98, s13
	;; [unrolled: 1-line block ×4, first 2 shown]
	v_lshrrev_b32_e32 v95, 16, v79
	v_lshrrev_b32_e32 v99, 16, v83
	v_cndmask_b32_e64 v110, v111, v94, s17
	v_cndmask_b32_e64 v111, v112, v98, s17
	v_cndmask_b32_e32 v81, v81, v102, vcc_lo
	v_cndmask_b32_e32 v82, v82, v106, vcc_lo
	v_cndmask_b32_e64 v93, v93, v102, s13
	v_cndmask_b32_e64 v89, v89, v79, s3
	;; [unrolled: 1-line block ×7, first 2 shown]
	v_lshrrev_b32_e32 v103, 16, v87
	v_cndmask_b32_e64 v105, v110, v79, s21
	v_cndmask_b32_e64 v109, v111, v83, s21
	;; [unrolled: 1-line block ×11, first 2 shown]
	v_lshrrev_b32_e32 v96, 16, v80
	v_lshrrev_b32_e32 v100, 16, v84
	v_cndmask_b32_e64 v98, v105, v95, s23
	v_cndmask_b32_e64 v101, v109, v99, s23
	;; [unrolled: 1-line block ×7, first 2 shown]
	v_lshrrev_b32_e32 v104, 16, v88
	v_cndmask_b32_e64 v79, v79, v103, s6
	v_cndmask_b32_e64 v83, v83, v80, s7
	;; [unrolled: 1-line block ×16, first 2 shown]
	v_perm_b32 v80, v78, v77, 0x5040100
	v_perm_b32 v78, v94, v84, 0x5040100
	v_cndmask_b32_e64 v77, v118, v90, s15
	v_cndmask_b32_e64 v84, v116, v90, s12
	;; [unrolled: 1-line block ×3, first 2 shown]
	v_perm_b32 v79, v93, v89, 0x5040100
	v_cndmask_b32_e64 v89, v97, v102, s17
	v_cndmask_b32_e64 v85, v85, v102, s18
	;; [unrolled: 1-line block ×5, first 2 shown]
	v_lshrrev_b32_e32 v107, 16, v91
	v_cndmask_b32_e64 v89, v89, v87, s21
	v_cndmask_b32_e64 v85, v85, v87, s22
	;; [unrolled: 1-line block ×11, first 2 shown]
	v_lshrrev_b32_e32 v108, 16, v92
	v_cndmask_b32_e64 v81, v81, v92, s7
	v_cndmask_b32_e64 v87, v87, v88, s26
	;; [unrolled: 1-line block ×12, first 2 shown]
	v_perm_b32 v77, v83, v82, 0x5040100
	v_perm_b32 v84, v86, v85, 0x5040100
	;; [unrolled: 1-line block ×5, first 2 shown]
	s_lshl_b32 s8, s33, 2
	s_mov_b32 s3, exec_lo
	ds_store_b128 v73, v[77:80]
	ds_store_b128 v73, v[81:84] offset:1024
	v_cmpx_gt_u32_e32 4, v0
	s_cbranch_execz .LBB1185_14
; %bb.13:
	v_or_b32_e32 v77, s31, v0
	s_load_b128 s[4:7], s[0:1], 0x58
	s_delay_alu instid0(VALU_DEP_1) | instskip(NEXT) | instid1(VALU_DEP_1)
	v_mad_u64_u32 v[78:79], null, s8, s34, v[77:78]
	v_mad_u64_u32 v[79:80], null, v78, s35, s[14:15]
	s_delay_alu instid0(VALU_DEP_1) | instskip(NEXT) | instid1(VALU_DEP_1)
	v_ashrrev_i32_e32 v80, 31, v79
	v_lshlrev_b64 v[77:78], 2, v[79:80]
	s_waitcnt lgkmcnt(0)
	s_delay_alu instid0(VALU_DEP_1) | instskip(NEXT) | instid1(VALU_DEP_2)
	v_add_co_u32 v79, vcc_lo, s6, v77
	v_add_co_ci_u32_e32 v80, vcc_lo, s7, v78, vcc_lo
	v_add_co_u32 v77, vcc_lo, s4, v77
	v_add_co_ci_u32_e32 v78, vcc_lo, s5, v78, vcc_lo
	global_store_b32 v[79:80], v75, off
	global_store_b32 v[77:78], v76, off
.LBB1185_14:
	s_or_b32 exec_lo, exec_lo, s3
	s_waitcnt lgkmcnt(0)
	s_waitcnt_vscnt null, 0x0
	s_barrier
	buffer_gl0_inv
	ds_load_b128 v[83:86], v72
	ds_load_b128 v[87:90], v72 offset:16
	ds_load_b128 v[95:98], v72 offset:2064
	;; [unrolled: 1-line block ×5, first 2 shown]
	v_cmp_eq_u32_e32 vcc_lo, 1, v69
	v_mov_b32_e32 v75, 0
	ds_load_b128 v[111:114], v72 offset:6160
	ds_load_b128 v[107:110], v72 offset:6144
	;; [unrolled: 1-line block ×4, first 2 shown]
	v_cmp_eq_u32_e64 s4, 1, v68
	v_cmp_eq_u32_e64 s3, 1, v71
	;; [unrolled: 1-line block ×3, first 2 shown]
	v_mov_b32_e32 v76, v75
	v_mov_b32_e32 v77, v75
	;; [unrolled: 1-line block ×7, first 2 shown]
	v_cmp_eq_u32_e64 s6, 3, v71
	v_cmp_eq_u32_e64 s7, 7, v71
	s_waitcnt lgkmcnt(8)
	s_delay_alu instid0(VALU_DEP_3)
	v_wmma_f32_16x16x16_f16 v[75:82], v[49:56], v[83:90], v[75:82]
	ds_load_b128 v[53:56], v72 offset:10256
	ds_load_b128 v[49:52], v72 offset:10240
	s_waitcnt lgkmcnt(8)
	v_wmma_f32_16x16x16_f16 v[75:82], v[41:48], v[91:98], v[75:82]
	ds_load_b128 v[45:48], v72 offset:12304
	ds_load_b128 v[41:44], v72 offset:12288
	s_waitcnt lgkmcnt(8)
	;; [unrolled: 4-line block ×3, first 2 shown]
	s_barrier
	buffer_gl0_inv
	v_wmma_f32_16x16x16_f16 v[75:82], v[1:8], v[107:114], v[75:82]
	s_delay_alu instid0(VALU_DEP_1) | instskip(NEXT) | instid1(VALU_DEP_1)
	v_wmma_f32_16x16x16_f16 v[75:82], v[9:16], v[115:122], v[75:82]
	v_wmma_f32_16x16x16_f16 v[75:82], v[17:24], v[49:56], v[75:82]
	s_delay_alu instid0(VALU_DEP_1) | instskip(NEXT) | instid1(VALU_DEP_1)
	v_wmma_f32_16x16x16_f16 v[75:82], v[25:32], v[41:48], v[75:82]
	v_wmma_f32_16x16x16_f16 v[75:82], v[57:64], v[33:40], v[75:82]
	s_delay_alu instid0(VALU_DEP_1) | instskip(NEXT) | instid1(VALU_DEP_2)
	v_cvt_f16_f32_e32 v1, v75
	v_cvt_f16_f32_e32 v2, v76
	s_delay_alu instid0(VALU_DEP_3) | instskip(NEXT) | instid1(VALU_DEP_4)
	v_cvt_f16_f32_e32 v3, v77
	v_cvt_f16_f32_e32 v4, v78
	;; [unrolled: 1-line block ×6, first 2 shown]
	v_pack_b32_f16 v1, v1, v2
	v_pack_b32_f16 v2, v3, v4
	;; [unrolled: 1-line block ×3, first 2 shown]
	s_delay_alu instid0(VALU_DEP_4)
	v_pack_b32_f16 v4, v7, v8
	ds_store_b128 v73, v[1:4]
	s_waitcnt lgkmcnt(0)
	s_barrier
	buffer_gl0_inv
	ds_load_b128 v[1:4], v74
	ds_load_b128 v[5:8], v74 offset:16
	s_waitcnt lgkmcnt(1)
	v_lshrrev_b32_e32 v9, 16, v1
	s_waitcnt lgkmcnt(0)
	v_lshrrev_b32_e32 v13, 16, v5
	v_lshrrev_b32_e32 v10, 16, v2
	;; [unrolled: 1-line block ×4, first 2 shown]
	v_cndmask_b32_e32 v17, v1, v9, vcc_lo
	v_cndmask_b32_e32 v18, v5, v13, vcc_lo
	v_cndmask_b32_e64 v21, v1, v9, s4
	v_cmp_eq_u32_e32 vcc_lo, 1, v70
	v_cndmask_b32_e64 v22, v5, v13, s4
	v_cmp_eq_u32_e64 s4, 2, v69
	v_cndmask_b32_e64 v19, v1, v9, s3
	v_cndmask_b32_e64 v20, v5, v13, s3
	v_cndmask_b32_e32 v1, v1, v9, vcc_lo
	v_cmp_eq_u32_e64 s3, 2, v70
	v_cndmask_b32_e32 v5, v5, v13, vcc_lo
	v_cndmask_b32_e64 v9, v17, v2, s4
	v_cmp_eq_u32_e32 vcc_lo, 3, v69
	v_cndmask_b32_e64 v13, v18, v6, s4
	v_cmp_eq_u32_e64 s4, 2, v68
	v_cndmask_b32_e64 v17, v19, v2, s5
	v_cndmask_b32_e64 v18, v20, v6, s5
	v_cmp_eq_u32_e64 s5, 3, v68
	v_cndmask_b32_e64 v1, v1, v2, s3
	v_cndmask_b32_e64 v19, v21, v2, s4
	;; [unrolled: 1-line block ×4, first 2 shown]
	v_cndmask_b32_e32 v5, v9, v10, vcc_lo
	v_cndmask_b32_e32 v6, v13, v14, vcc_lo
	v_cmp_eq_u32_e32 vcc_lo, 3, v70
	v_cndmask_b32_e64 v9, v17, v10, s6
	v_cndmask_b32_e64 v13, v18, v14, s6
	;; [unrolled: 1-line block ×3, first 2 shown]
	v_cmp_eq_u32_e64 s4, 4, v69
	v_cndmask_b32_e32 v1, v1, v10, vcc_lo
	v_cndmask_b32_e32 v2, v2, v14, vcc_lo
	v_cmp_eq_u32_e32 vcc_lo, 4, v71
	v_lshrrev_b32_e32 v15, 16, v7
	v_lshrrev_b32_e32 v16, 16, v8
	v_cndmask_b32_e64 v17, v19, v10, s5
	v_cmp_eq_u32_e64 s3, 4, v70
	v_cndmask_b32_e64 v5, v5, v3, s4
	v_cndmask_b32_e64 v6, v6, v7, s4
	v_cndmask_b32_e32 v9, v9, v3, vcc_lo
	v_cmp_eq_u32_e64 s4, 5, v71
	v_cndmask_b32_e32 v10, v13, v7, vcc_lo
	v_cmp_eq_u32_e32 vcc_lo, 4, v68
	v_cmp_eq_u32_e64 s5, 5, v69
	v_cndmask_b32_e64 v2, v2, v7, s3
	v_cndmask_b32_e64 v9, v9, v11, s4
	;; [unrolled: 1-line block ×3, first 2 shown]
	v_cndmask_b32_e32 v13, v17, v3, vcc_lo
	v_cmp_eq_u32_e64 s4, 5, v68
	v_cndmask_b32_e32 v14, v18, v7, vcc_lo
	v_cndmask_b32_e64 v1, v1, v3, s3
	v_cmp_eq_u32_e32 vcc_lo, 5, v70
	v_lshrrev_b32_e32 v12, 16, v4
	v_cndmask_b32_e64 v13, v13, v11, s4
	v_cndmask_b32_e64 v3, v14, v15, s4
	v_cmp_eq_u32_e64 s4, 6, v70
	v_cndmask_b32_e32 v1, v1, v11, vcc_lo
	v_cndmask_b32_e64 v5, v5, v11, s5
	v_cmp_eq_u32_e64 s6, 6, v69
	v_cndmask_b32_e64 v6, v6, v15, s5
	v_cmp_eq_u32_e64 s5, 6, v71
	v_cmp_eq_u32_e64 s3, 6, v68
	v_cndmask_b32_e64 v1, v1, v4, s4
	v_cndmask_b32_e32 v2, v2, v15, vcc_lo
	v_cmp_eq_u32_e32 vcc_lo, 7, v70
	v_cndmask_b32_e64 v5, v5, v4, s6
	v_cndmask_b32_e64 v9, v9, v4, s5
	;; [unrolled: 1-line block ×3, first 2 shown]
	v_cmp_eq_u32_e64 s6, 7, v69
	v_cndmask_b32_e32 v1, v1, v12, vcc_lo
	v_cndmask_b32_e64 v7, v13, v4, s3
	v_cndmask_b32_e64 v3, v3, v8, s3
	;; [unrolled: 1-line block ×3, first 2 shown]
	v_cmp_eq_u32_e64 s3, 7, v68
	v_cndmask_b32_e64 v4, v10, v8, s5
	v_cndmask_b32_e64 v5, v5, v12, s6
	;; [unrolled: 1-line block ×3, first 2 shown]
	v_cndmask_b32_e32 v2, v2, v16, vcc_lo
	v_cndmask_b32_e64 v7, v7, v12, s3
	v_cndmask_b32_e64 v3, v3, v16, s3
	;; [unrolled: 1-line block ×4, first 2 shown]
	v_cmp_gt_u32_e32 vcc_lo, 32, v0
	v_perm_b32 v4, v2, v1, 0x5040100
	v_perm_b32 v3, v3, v7, 0x5040100
	v_perm_b32 v2, v8, v9, 0x5040100
	v_perm_b32 v1, v6, v5, 0x5040100
	s_and_b32 s2, vcc_lo, s2
	ds_store_b128 v73, v[1:4]
	s_waitcnt lgkmcnt(0)
	s_barrier
	buffer_gl0_inv
	s_and_saveexec_b32 s3, s2
	s_cbranch_execz .LBB1185_2
; %bb.15:
	s_load_b64 s[0:1], s[0:1], 0x68
	v_lshlrev_b32_e32 v0, 10, v0
	v_or_b32_e32 v1, s31, v67
	s_lshl_b32 s4, s35, 6
	v_lshlrev_b32_e32 v2, 4, v66
	s_mul_i32 s2, s4, s34
	v_lshlrev_b32_e32 v3, 6, v67
	v_mul_lo_u32 v8, v1, s4
	v_and_b32_e32 v0, 0x3800, v0
	v_or_b32_e32 v1, 2, v1
	s_mul_i32 s2, s2, s8
	s_delay_alu instid0(SALU_CYCLE_1) | instskip(NEXT) | instid1(VALU_DEP_2)
	s_ashr_i32 s3, s2, 31
	v_or3_b32 v4, v0, v2, v3
	s_lshl_b64 s[2:3], s[2:3], 1
	v_mul_lo_u32 v10, v1, s4
	v_ashrrev_i32_e32 v9, 31, v8
	ds_load_b128 v[0:3], v4
	ds_load_b128 v[4:7], v4 offset:128
	s_waitcnt lgkmcnt(0)
	s_add_u32 s2, s0, s2
	s_addc_u32 s3, s1, s3
	s_lshl_b32 s0, s14, 6
	v_ashrrev_i32_e32 v11, 31, v10
	s_ashr_i32 s1, s0, 31
	v_lshlrev_b64 v[8:9], 1, v[8:9]
	s_lshl_b64 s[0:1], s[0:1], 1
	s_delay_alu instid0(SALU_CYCLE_1) | instskip(SKIP_2) | instid1(VALU_DEP_1)
	s_add_u32 s0, s2, s0
	s_addc_u32 s1, s3, s1
	v_add_co_u32 v12, s0, s0, v65
	v_add_co_ci_u32_e64 v13, null, s1, 0, s0
	v_lshlrev_b64 v[10:11], 1, v[10:11]
	s_delay_alu instid0(VALU_DEP_3) | instskip(NEXT) | instid1(VALU_DEP_3)
	v_add_co_u32 v8, vcc_lo, v12, v8
	v_add_co_ci_u32_e32 v9, vcc_lo, v13, v9, vcc_lo
	s_delay_alu instid0(VALU_DEP_3) | instskip(NEXT) | instid1(VALU_DEP_4)
	v_add_co_u32 v10, vcc_lo, v12, v10
	v_add_co_ci_u32_e32 v11, vcc_lo, v13, v11, vcc_lo
	s_clause 0x1
	global_store_b128 v[8:9], v[0:3], off
	global_store_b128 v[10:11], v[4:7], off
	s_nop 0
	s_sendmsg sendmsg(MSG_DEALLOC_VGPRS)
	s_endpgm
	.section	.rodata,"a",@progbits
	.p2align	6, 0x0
	.amdhsa_kernel _Z39paged_attention_ll4mi_QKV_mfma16_kernelIDF16_hLN4vllm18Fp8KVCacheDataTypeE1EhLi32ELi64ELi256ELb0ELi4EL8MFMAType0EEvPKT_PKT0_S8_ifPKiSA_SA_iPKfiiiPfSD_PS3_PT2_iSC_SC_
		.amdhsa_group_segment_fixed_size 17472
		.amdhsa_private_segment_fixed_size 0
		.amdhsa_kernarg_size 400
		.amdhsa_user_sgpr_count 13
		.amdhsa_user_sgpr_dispatch_ptr 0
		.amdhsa_user_sgpr_queue_ptr 0
		.amdhsa_user_sgpr_kernarg_segment_ptr 1
		.amdhsa_user_sgpr_dispatch_id 0
		.amdhsa_user_sgpr_private_segment_size 0
		.amdhsa_wavefront_size32 1
		.amdhsa_uses_dynamic_stack 0
		.amdhsa_enable_private_segment 0
		.amdhsa_system_sgpr_workgroup_id_x 1
		.amdhsa_system_sgpr_workgroup_id_y 1
		.amdhsa_system_sgpr_workgroup_id_z 1
		.amdhsa_system_sgpr_workgroup_info 0
		.amdhsa_system_vgpr_workitem_id 0
		.amdhsa_next_free_vgpr 123
		.amdhsa_next_free_sgpr 42
		.amdhsa_reserve_vcc 1
		.amdhsa_float_round_mode_32 0
		.amdhsa_float_round_mode_16_64 0
		.amdhsa_float_denorm_mode_32 3
		.amdhsa_float_denorm_mode_16_64 3
		.amdhsa_dx10_clamp 1
		.amdhsa_ieee_mode 1
		.amdhsa_fp16_overflow 0
		.amdhsa_workgroup_processor_mode 1
		.amdhsa_memory_ordered 1
		.amdhsa_forward_progress 0
		.amdhsa_shared_vgpr_count 0
		.amdhsa_exception_fp_ieee_invalid_op 0
		.amdhsa_exception_fp_denorm_src 0
		.amdhsa_exception_fp_ieee_div_zero 0
		.amdhsa_exception_fp_ieee_overflow 0
		.amdhsa_exception_fp_ieee_underflow 0
		.amdhsa_exception_fp_ieee_inexact 0
		.amdhsa_exception_int_div_zero 0
	.end_amdhsa_kernel
	.section	.text._Z39paged_attention_ll4mi_QKV_mfma16_kernelIDF16_hLN4vllm18Fp8KVCacheDataTypeE1EhLi32ELi64ELi256ELb0ELi4EL8MFMAType0EEvPKT_PKT0_S8_ifPKiSA_SA_iPKfiiiPfSD_PS3_PT2_iSC_SC_,"axG",@progbits,_Z39paged_attention_ll4mi_QKV_mfma16_kernelIDF16_hLN4vllm18Fp8KVCacheDataTypeE1EhLi32ELi64ELi256ELb0ELi4EL8MFMAType0EEvPKT_PKT0_S8_ifPKiSA_SA_iPKfiiiPfSD_PS3_PT2_iSC_SC_,comdat
.Lfunc_end1185:
	.size	_Z39paged_attention_ll4mi_QKV_mfma16_kernelIDF16_hLN4vllm18Fp8KVCacheDataTypeE1EhLi32ELi64ELi256ELb0ELi4EL8MFMAType0EEvPKT_PKT0_S8_ifPKiSA_SA_iPKfiiiPfSD_PS3_PT2_iSC_SC_, .Lfunc_end1185-_Z39paged_attention_ll4mi_QKV_mfma16_kernelIDF16_hLN4vllm18Fp8KVCacheDataTypeE1EhLi32ELi64ELi256ELb0ELi4EL8MFMAType0EEvPKT_PKT0_S8_ifPKiSA_SA_iPKfiiiPfSD_PS3_PT2_iSC_SC_
                                        ; -- End function
	.section	.AMDGPU.csdata,"",@progbits
; Kernel info:
; codeLenInByte = 6380
; NumSgprs: 44
; NumVgprs: 123
; ScratchSize: 0
; MemoryBound: 0
; FloatMode: 240
; IeeeMode: 1
; LDSByteSize: 17472 bytes/workgroup (compile time only)
; SGPRBlocks: 5
; VGPRBlocks: 15
; NumSGPRsForWavesPerEU: 44
; NumVGPRsForWavesPerEU: 123
; Occupancy: 10
; WaveLimiterHint : 1
; COMPUTE_PGM_RSRC2:SCRATCH_EN: 0
; COMPUTE_PGM_RSRC2:USER_SGPR: 13
; COMPUTE_PGM_RSRC2:TRAP_HANDLER: 0
; COMPUTE_PGM_RSRC2:TGID_X_EN: 1
; COMPUTE_PGM_RSRC2:TGID_Y_EN: 1
; COMPUTE_PGM_RSRC2:TGID_Z_EN: 1
; COMPUTE_PGM_RSRC2:TIDIG_COMP_CNT: 0
	.section	.text._Z39paged_attention_ll4mi_QKV_mfma16_kernelIDF16_hLN4vllm18Fp8KVCacheDataTypeE1EDF16_Li32ELi64ELi256ELb1ELi5EL8MFMAType0EEvPKT_PKT0_S8_ifPKiSA_SA_iPKfiiiPfSD_PS3_PT2_iSC_SC_,"axG",@progbits,_Z39paged_attention_ll4mi_QKV_mfma16_kernelIDF16_hLN4vllm18Fp8KVCacheDataTypeE1EDF16_Li32ELi64ELi256ELb1ELi5EL8MFMAType0EEvPKT_PKT0_S8_ifPKiSA_SA_iPKfiiiPfSD_PS3_PT2_iSC_SC_,comdat
	.protected	_Z39paged_attention_ll4mi_QKV_mfma16_kernelIDF16_hLN4vllm18Fp8KVCacheDataTypeE1EDF16_Li32ELi64ELi256ELb1ELi5EL8MFMAType0EEvPKT_PKT0_S8_ifPKiSA_SA_iPKfiiiPfSD_PS3_PT2_iSC_SC_ ; -- Begin function _Z39paged_attention_ll4mi_QKV_mfma16_kernelIDF16_hLN4vllm18Fp8KVCacheDataTypeE1EDF16_Li32ELi64ELi256ELb1ELi5EL8MFMAType0EEvPKT_PKT0_S8_ifPKiSA_SA_iPKfiiiPfSD_PS3_PT2_iSC_SC_
	.globl	_Z39paged_attention_ll4mi_QKV_mfma16_kernelIDF16_hLN4vllm18Fp8KVCacheDataTypeE1EDF16_Li32ELi64ELi256ELb1ELi5EL8MFMAType0EEvPKT_PKT0_S8_ifPKiSA_SA_iPKfiiiPfSD_PS3_PT2_iSC_SC_
	.p2align	8
	.type	_Z39paged_attention_ll4mi_QKV_mfma16_kernelIDF16_hLN4vllm18Fp8KVCacheDataTypeE1EDF16_Li32ELi64ELi256ELb1ELi5EL8MFMAType0EEvPKT_PKT0_S8_ifPKiSA_SA_iPKfiiiPfSD_PS3_PT2_iSC_SC_,@function
_Z39paged_attention_ll4mi_QKV_mfma16_kernelIDF16_hLN4vllm18Fp8KVCacheDataTypeE1EDF16_Li32ELi64ELi256ELb1ELi5EL8MFMAType0EEvPKT_PKT0_S8_ifPKiSA_SA_iPKfiiiPfSD_PS3_PT2_iSC_SC_: ; @_Z39paged_attention_ll4mi_QKV_mfma16_kernelIDF16_hLN4vllm18Fp8KVCacheDataTypeE1EDF16_Li32ELi64ELi256ELb1ELi5EL8MFMAType0EEvPKT_PKT0_S8_ifPKiSA_SA_iPKfiiiPfSD_PS3_PT2_iSC_SC_
; %bb.0:
	s_load_b64 s[2:3], s[0:1], 0x30
	s_mov_b32 s34, s13
	s_waitcnt lgkmcnt(0)
	s_cmp_lg_u64 s[2:3], 0
	s_cselect_b32 s6, -1, 0
	s_ashr_i32 s35, s13, 31
	s_cmp_eq_u64 s[2:3], 0
	s_cbranch_scc1 .LBB1186_3
; %bb.1:
	s_lshl_b64 s[4:5], s[34:35], 2
	s_delay_alu instid0(SALU_CYCLE_1) | instskip(SKIP_4) | instid1(SALU_CYCLE_1)
	s_add_u32 s4, s2, s4
	s_addc_u32 s5, s3, s5
	s_load_b64 s[4:5], s[4:5], 0x0
	s_waitcnt lgkmcnt(0)
	s_sub_i32 s4, s5, s4
	s_cmp_eq_u32 s4, 1
	s_cselect_b32 s4, -1, 0
	s_delay_alu instid0(SALU_CYCLE_1)
	s_and_not1_b32 vcc_lo, exec_lo, s4
	s_cbranch_vccz .LBB1186_4
.LBB1186_2:
	s_nop 0
	s_sendmsg sendmsg(MSG_DEALLOC_VGPRS)
	s_endpgm
.LBB1186_3:
.LBB1186_4:
	s_load_b64 s[8:9], s[0:1], 0x28
	s_lshl_b64 s[4:5], s[34:35], 2
	s_waitcnt lgkmcnt(0)
	s_add_u32 s8, s8, s4
	s_addc_u32 s9, s9, s5
	s_lshl_b32 s16, s14, 8
	s_load_b32 s18, s[8:9], 0x0
	s_waitcnt lgkmcnt(0)
	s_cmp_ge_i32 s16, s18
	s_cbranch_scc1 .LBB1186_2
; %bb.5:
	s_clause 0x1
	s_load_b128 s[8:11], s[0:1], 0x8
	s_load_b64 s[12:13], s[0:1], 0x20
	s_and_not1_b32 vcc_lo, exec_lo, s6
	s_cbranch_vccnz .LBB1186_7
; %bb.6:
	s_add_u32 s2, s2, s4
	s_addc_u32 s3, s3, s5
	s_load_b32 s3, s[2:3], 0x0
	s_branch .LBB1186_8
.LBB1186_7:
	s_mov_b32 s3, s34
.LBB1186_8:
	s_load_b128 s[4:7], s[0:1], 0x48
	v_lshrrev_b32_e32 v69, 5, v0
	v_bfe_u32 v66, v0, 4, 1
	v_and_b32_e32 v68, 15, v0
	v_and_b32_e32 v70, 31, v0
	;; [unrolled: 1-line block ×3, first 2 shown]
	s_mul_i32 s33, s15, 5
	v_lshl_or_b32 v1, v69, 1, v66
	v_lshlrev_b32_e32 v2, 3, v68
	v_cmp_gt_u32_e64 s2, 8, v68
	s_delay_alu instid0(VALU_DEP_3) | instskip(NEXT) | instid1(VALU_DEP_3)
	v_cmp_gt_u32_e32 vcc_lo, 5, v1
	v_lshlrev_b32_e32 v65, 1, v2
	s_delay_alu instid0(VALU_DEP_3)
	s_and_b32 s17, s2, vcc_lo
	s_waitcnt lgkmcnt(0)
	s_and_saveexec_b32 s7, s17
	s_cbranch_execz .LBB1186_10
; %bb.9:
	s_load_b64 s[20:21], s[0:1], 0x0
	v_add_lshl_u32 v2, v1, s33, 6
	s_mul_hi_i32 s23, s3, s4
	s_mul_i32 s22, s3, s4
	v_lshlrev_b32_e32 v6, 10, v68
	s_lshl_b64 s[22:23], s[22:23], 1
	v_ashrrev_i32_e32 v3, 31, v2
	v_lshlrev_b32_e32 v1, 6, v1
	v_lshlrev_b32_e32 v7, 10, v67
	v_and_b32_e32 v6, 0x3800, v6
	s_delay_alu instid0(VALU_DEP_4) | instskip(NEXT) | instid1(VALU_DEP_2)
	v_lshlrev_b64 v[2:3], 1, v[2:3]
	v_or3_b32 v1, v6, v7, v1
	s_waitcnt lgkmcnt(0)
	s_add_u32 s3, s20, s22
	s_addc_u32 s4, s21, s23
	s_delay_alu instid0(VALU_DEP_2) | instskip(SKIP_1) | instid1(VALU_DEP_2)
	v_add_co_u32 v2, vcc_lo, s3, v2
	v_add_co_ci_u32_e32 v3, vcc_lo, s4, v3, vcc_lo
	v_add_co_u32 v2, vcc_lo, v2, v65
	s_delay_alu instid0(VALU_DEP_2)
	v_add_co_ci_u32_e32 v3, vcc_lo, 0, v3, vcc_lo
	global_load_b128 v[2:5], v[2:3], off
	s_waitcnt vmcnt(0)
	ds_store_b128 v1, v[2:5]
.LBB1186_10:
	s_or_b32 exec_lo, exec_lo, s7
	v_and_b32_e32 v1, 0xef, v0
	s_add_i32 s3, s18, 31
	s_clause 0x1
	s_load_b32 s4, s[0:1], 0x38
	s_load_b32 s35, s[0:1], 0x98
	s_ashr_i32 s7, s3, 31
	v_add_nc_u32_e32 v1, s16, v1
	s_lshr_b32 s7, s7, 27
	s_load_b32 s19, s[0:1], 0x1c
	s_add_i32 s3, s3, s7
	s_waitcnt lgkmcnt(0)
	v_ashrrev_i32_e32 v2, 31, v1
	v_or_b32_e32 v3, 16, v1
	s_ashr_i32 s3, s3, 5
	v_cmp_gt_i32_e32 vcc_lo, s18, v1
	s_add_i32 s3, s3, -1
	v_lshrrev_b32_e32 v2, 27, v2
	s_barrier
	buffer_gl0_inv
	s_mul_i32 s15, s15, s6
	v_mul_lo_u16 v103, v68, 52
	v_add_nc_u32_e32 v4, v1, v2
	v_mbcnt_lo_u32_b32 v127, -1, 0
	s_mul_i32 s20, s34, s4
	s_delay_alu instid0(SALU_CYCLE_1) | instskip(NEXT) | instid1(VALU_DEP_2)
	s_ashr_i32 s21, s20, 31
	v_ashrrev_i32_e32 v4, 5, v4
	v_add_nc_u32_e32 v2, v3, v2
	s_lshl_b64 s[20:21], s[20:21], 2
	v_lshrrev_b16 v103, 8, v103
	s_add_u32 s17, s12, s20
	v_cndmask_b32_e32 v1, s3, v4, vcc_lo
	v_ashrrev_i32_e32 v2, 5, v2
	v_cmp_gt_i32_e32 vcc_lo, s18, v3
	s_addc_u32 s13, s13, s21
	s_ashr_i32 s20, s15, 31
	s_add_u32 s22, s8, s15
	s_addc_u32 s23, s9, s20
	v_cndmask_b32_e32 v3, s3, v2, vcc_lo
	v_ashrrev_i32_e32 v2, 31, v1
	s_lshl_b32 s6, s14, 3
	v_mul_lo_u16 v103, v103, 5
	s_ashr_i32 s7, s6, 31
	v_ashrrev_i32_e32 v4, 31, v3
	v_lshlrev_b64 v[1:2], 2, v[1:2]
	s_lshl_b64 s[6:7], s[6:7], 2
	v_sub_nc_u16 v103, v68, v103
	s_add_u32 s6, s17, s6
	v_lshlrev_b64 v[3:4], 2, v[3:4]
	s_addc_u32 s7, s13, s7
	v_add_co_u32 v1, vcc_lo, s17, v1
	v_add_co_ci_u32_e32 v2, vcc_lo, s13, v2, vcc_lo
	s_delay_alu instid0(VALU_DEP_3) | instskip(NEXT) | instid1(VALU_DEP_4)
	v_add_co_u32 v3, vcc_lo, s17, v3
	v_add_co_ci_u32_e32 v4, vcc_lo, s13, v4, vcc_lo
	s_clause 0x1
	global_load_b32 v5, v[1:2], off
	global_load_b32 v6, v[3:4], off
	s_or_b32 s4, s16, 32
	v_xor_b32_e32 v128, 16, v127
	s_ashr_i32 s8, s4, 5
	s_cmp_lt_i32 s4, s18
	s_cselect_b32 s8, s8, s3
	s_delay_alu instid0(SALU_CYCLE_1) | instskip(NEXT) | instid1(SALU_CYCLE_1)
	s_ashr_i32 s9, s8, 31
	s_lshl_b64 s[8:9], s[8:9], 2
	s_delay_alu instid0(SALU_CYCLE_1) | instskip(SKIP_2) | instid1(SALU_CYCLE_1)
	s_add_u32 s8, s17, s8
	s_addc_u32 s9, s13, s9
	s_or_b32 s4, s16, 64
	s_ashr_i32 s12, s4, 5
	s_cmp_lt_i32 s4, s18
	s_cselect_b32 s24, s12, s3
	s_delay_alu instid0(SALU_CYCLE_1) | instskip(NEXT) | instid1(SALU_CYCLE_1)
	s_ashr_i32 s25, s24, 31
	s_lshl_b64 s[24:25], s[24:25], 2
	s_delay_alu instid0(SALU_CYCLE_1) | instskip(SKIP_2) | instid1(SALU_CYCLE_1)
	s_add_u32 s24, s17, s24
	s_addc_u32 s25, s13, s25
	s_or_b32 s4, s16, 0x60
	;; [unrolled: 10-line block ×4, first 2 shown]
	s_ashr_i32 s12, s4, 5
	s_cmp_lt_i32 s4, s18
	s_cselect_b32 s30, s12, s3
	s_delay_alu instid0(SALU_CYCLE_1) | instskip(NEXT) | instid1(SALU_CYCLE_1)
	s_ashr_i32 s31, s30, 31
	s_lshl_b64 s[30:31], s[30:31], 2
	s_delay_alu instid0(SALU_CYCLE_1)
	s_add_u32 s30, s17, s30
	s_addc_u32 s31, s13, s31
	s_clause 0x5
	s_load_b32 s12, s[6:7], 0x0
	s_load_b32 s4, s[8:9], 0x0
	;; [unrolled: 1-line block ×6, first 2 shown]
	s_or_b32 s21, s16, 0xc0
	s_waitcnt vmcnt(1)
	v_mad_i64_i32 v[1:2], null, v5, s5, s[22:23]
	v_lshlrev_b32_e32 v5, 4, v68
	s_waitcnt vmcnt(0)
	v_mad_i64_i32 v[3:4], null, v6, s5, s[22:23]
	s_ashr_i32 s22, s21, 5
	s_cmp_lt_i32 s21, s18
	s_delay_alu instid0(VALU_DEP_3) | instskip(NEXT) | instid1(VALU_DEP_4)
	v_add_co_u32 v1, vcc_lo, v1, v5
	v_add_co_ci_u32_e32 v2, vcc_lo, 0, v2, vcc_lo
	s_delay_alu instid0(VALU_DEP_3) | instskip(NEXT) | instid1(VALU_DEP_4)
	v_add_co_u32 v3, vcc_lo, v3, v5
	v_add_co_ci_u32_e32 v4, vcc_lo, 0, v4, vcc_lo
	s_clause 0x7
	global_load_b128 v[71:74], v[1:2], off
	global_load_b128 v[75:78], v[1:2], off offset:512
	global_load_b128 v[79:82], v[3:4], off offset:256
	;; [unrolled: 1-line block ×7, first 2 shown]
	s_cselect_b32 s22, s22, s3
	v_lshlrev_b32_e32 v1, 5, v68
	s_ashr_i32 s23, s22, 31
	v_cmp_gt_i32_e32 vcc_lo, 32, v128
	s_lshl_b64 s[22:23], s[22:23], 2
	v_and_b32_e32 v103, 0xff, v103
	s_add_u32 s22, s17, s22
	s_addc_u32 s23, s13, s23
	v_cndmask_b32_e32 v136, v127, v128, vcc_lo
	s_or_b32 s21, s16, 0xe0
	v_lshl_or_b32 v1, v69, 9, v1
	s_ashr_i32 s24, s21, 5
	s_cmp_lt_i32 s21, s18
	v_lshlrev_b32_e32 v115, 6, v103
	s_cselect_b32 s24, s24, s3
	s_load_b32 s3, s[22:23], 0x0
	s_ashr_i32 s25, s24, 31
	s_delay_alu instid0(SALU_CYCLE_1) | instskip(NEXT) | instid1(SALU_CYCLE_1)
	s_lshl_b64 s[24:25], s[24:25], 2
	s_add_u32 s22, s17, s24
	s_addc_u32 s23, s13, s25
	s_add_u32 s10, s10, s15
	s_addc_u32 s11, s11, s20
	v_add_co_u32 v1, s10, s10, v1
	s_delay_alu instid0(VALU_DEP_1) | instskip(SKIP_2) | instid1(VALU_DEP_1)
	v_add_co_ci_u32_e64 v2, null, s11, 0, s10
	s_load_b32 s10, s[22:23], 0x0
	s_waitcnt lgkmcnt(0)
	v_mad_i64_i32 v[3:4], null, s12, s5, v[1:2]
	v_mad_i64_i32 v[9:10], null, s7, s5, v[1:2]
	;; [unrolled: 1-line block ×7, first 2 shown]
	s_clause 0x5
	global_load_b128 v[49:52], v[3:4], off
	global_load_b128 v[53:56], v[3:4], off offset:16
	global_load_b128 v[41:44], v[5:6], off
	global_load_b128 v[45:48], v[5:6], off offset:16
	;; [unrolled: 2-line block ×3, first 2 shown]
	s_mov_b32 s4, 0
	v_mad_i64_i32 v[61:62], null, s10, s5, v[1:2]
	s_clause 0x9
	global_load_b128 v[1:4], v[9:10], off
	global_load_b128 v[5:8], v[9:10], off offset:16
	global_load_b128 v[9:12], v[13:14], off
	global_load_b128 v[13:16], v[13:14], off offset:16
	;; [unrolled: 2-line block ×5, first 2 shown]
	s_mov_b32 s5, s4
	s_mov_b32 s6, s4
	;; [unrolled: 1-line block ×7, first 2 shown]
	v_and_b32_e32 v104, 0xe0, v0
	v_dual_mov_b32 v126, s11 :: v_dual_mov_b32 v123, s8
	v_dual_mov_b32 v125, s10 :: v_dual_mov_b32 v124, s9
	s_delay_alu instid0(VALU_DEP_3)
	v_add_nc_u32_e32 v111, s16, v104
	ds_load_b128 v[103:106], v115
	ds_load_b128 v[107:110], v115 offset:1024
	v_dual_mov_b32 v122, s7 :: v_dual_mov_b32 v121, s6
	v_mov_b32_e32 v120, s5
	v_or_b32_e32 v135, v111, v66
	ds_load_b128 v[111:114], v115 offset:2048
	ds_load_b128 v[115:118], v115 offset:3072
	v_mov_b32_e32 v119, s4
	s_waitcnt vmcnt(0) lgkmcnt(0)
	s_barrier
	v_or_b32_e32 v137, 2, v135
	v_or_b32_e32 v138, 4, v135
	;; [unrolled: 1-line block ×3, first 2 shown]
	v_cmp_gt_i32_e32 vcc_lo, s18, v135
	v_or_b32_e32 v140, 8, v135
	v_cmp_gt_i32_e64 s3, s18, v137
	v_or_b32_e32 v141, 10, v135
	v_cmp_gt_i32_e64 s4, s18, v138
	v_cmp_gt_i32_e64 s5, s18, v139
	v_or_b32_e32 v142, 12, v135
	v_or_b32_e32 v143, 14, v135
	v_cmp_gt_i32_e64 s6, s18, v140
	v_cmp_gt_i32_e64 s7, s18, v141
	v_or_b32_e32 v144, 16, v135
	v_or_b32_e32 v145, 18, v135
	v_cmp_gt_i32_e64 s8, s18, v142
	v_cmp_gt_i32_e64 s9, s18, v143
	buffer_gl0_inv
	v_cmp_gt_i32_e64 s10, s18, v144
	v_cmp_gt_i32_e64 s11, s18, v145
	v_wmma_f32_16x16x16_f16 v[127:134], v[71:78], v[103:110], v[119:126]
	v_wmma_f32_16x16x16_f16 v[119:126], v[79:86], v[103:110], v[119:126]
	v_or_b32_e32 v71, 20, v135
	v_or_b32_e32 v72, 22, v135
	s_delay_alu instid0(VALU_DEP_4)
	v_wmma_f32_16x16x16_f16 v[127:134], v[87:94], v[111:118], v[127:134]
	v_or_b32_e32 v73, 24, v135
	v_wmma_f32_16x16x16_f16 v[119:126], v[95:102], v[111:118], v[119:126]
	v_or_b32_e32 v74, 26, v135
	v_cmp_gt_i32_e64 s12, s18, v71
	v_dual_mul_f32 v84, s19, v127 :: v_dual_mul_f32 v83, s19, v128
	s_delay_alu instid0(VALU_DEP_4) | instskip(SKIP_2) | instid1(VALU_DEP_4)
	v_dual_mul_f32 v92, s19, v119 :: v_dual_mul_f32 v81, s19, v130
	v_mul_f32_e32 v90, s19, v121
	v_mul_f32_e32 v82, s19, v129
	v_cndmask_b32_e32 v84, 0xff7fffff, v84, vcc_lo
	v_cndmask_b32_e64 v83, 0xff7fffff, v83, s3
	v_dual_mul_f32 v79, s19, v132 :: v_dual_mul_f32 v88, s19, v123
	v_mul_f32_e32 v80, s19, v131
	v_cndmask_b32_e64 v82, 0xff7fffff, v82, s4
	v_cndmask_b32_e64 v81, 0xff7fffff, v81, s5
	v_max3_f32 v83, v84, 0xff7fffff, v83
	v_dual_mul_f32 v77, s19, v134 :: v_dual_mul_f32 v86, s19, v125
	v_mul_f32_e32 v78, s19, v133
	v_cndmask_b32_e64 v80, 0xff7fffff, v80, s6
	v_cndmask_b32_e64 v79, 0xff7fffff, v79, s7
	v_max3_f32 v81, v83, v82, v81
	v_mul_f32_e32 v91, s19, v120
	v_cndmask_b32_e64 v78, 0xff7fffff, v78, s8
	v_cndmask_b32_e64 v77, 0xff7fffff, v77, s9
	v_mul_f32_e32 v89, s19, v122
	v_max3_f32 v79, v81, v80, v79
	v_cndmask_b32_e64 v80, 0xff7fffff, v92, s10
	v_cndmask_b32_e64 v81, 0xff7fffff, v91, s11
	v_cmp_gt_i32_e64 s13, s18, v72
	v_or_b32_e32 v75, 28, v135
	v_max3_f32 v77, v79, v78, v77
	v_or_b32_e32 v76, 30, v135
	v_mul_f32_e32 v87, s19, v124
	v_cndmask_b32_e64 v71, 0xff7fffff, v90, s12
	v_cndmask_b32_e64 v72, 0xff7fffff, v89, s13
	v_max3_f32 v77, v77, v80, v81
	v_cmp_gt_i32_e64 s15, s18, v73
	v_cmp_gt_i32_e64 s16, s18, v74
	v_mul_f32_e32 v85, s19, v126
	v_cmp_gt_i32_e64 s17, s18, v75
	v_max3_f32 v71, v77, v71, v72
	v_cndmask_b32_e64 v73, 0xff7fffff, v88, s15
	v_cndmask_b32_e64 v74, 0xff7fffff, v87, s16
	v_cmp_gt_i32_e64 s18, s18, v76
	v_cndmask_b32_e64 v72, 0xff7fffff, v86, s17
	s_delay_alu instid0(VALU_DEP_3) | instskip(NEXT) | instid1(VALU_DEP_3)
	v_max3_f32 v71, v71, v73, v74
	v_cndmask_b32_e64 v75, 0xff7fffff, v85, s18
	v_lshlrev_b32_e32 v73, 2, v136
	s_delay_alu instid0(VALU_DEP_2) | instskip(SKIP_3) | instid1(VALU_DEP_1)
	v_max3_f32 v71, v71, v72, v75
	ds_bpermute_b32 v72, v73, v71
	s_waitcnt lgkmcnt(0)
	v_max_f32_e32 v72, v72, v72
	v_max_f32_e32 v71, v71, v72
	s_delay_alu instid0(VALU_DEP_1) | instskip(SKIP_2) | instid1(VALU_DEP_3)
	v_fma_f32 v72, s19, v127, -v71
	v_fma_f32 v74, s19, v128, -v71
	;; [unrolled: 1-line block ×3, first 2 shown]
	v_mul_f32_e32 v72, 0x3fb8aa3b, v72
	s_delay_alu instid0(VALU_DEP_2) | instskip(NEXT) | instid1(VALU_DEP_2)
	v_dual_mul_f32 v74, 0x3fb8aa3b, v74 :: v_dual_mul_f32 v75, 0x3fb8aa3b, v75
	v_exp_f32_e32 v72, v72
	s_delay_alu instid0(VALU_DEP_1) | instskip(NEXT) | instid1(VALU_DEP_1)
	v_exp_f32_e32 v74, v74
	v_exp_f32_e32 v75, v75
	s_delay_alu instid0(TRANS32_DEP_3)
	v_cndmask_b32_e32 v79, 0, v72, vcc_lo
	s_waitcnt_depctr 0xfff
	v_cndmask_b32_e64 v78, 0, v74, s3
	v_cndmask_b32_e64 v81, 0, v75, s4
	v_cmp_gt_u32_e64 s3, 16, v70
	v_add_f32_e32 v74, 0, v79
	s_delay_alu instid0(VALU_DEP_1) | instskip(NEXT) | instid1(VALU_DEP_1)
	v_add_f32_e32 v74, v74, v78
	v_add_f32_e32 v74, v74, v81
	v_fma_f32 v76, s19, v130, -v71
	v_fma_f32 v77, s19, v131, -v71
	;; [unrolled: 1-line block ×5, first 2 shown]
	s_delay_alu instid0(VALU_DEP_4) | instskip(NEXT) | instid1(VALU_DEP_4)
	v_dual_mul_f32 v76, 0x3fb8aa3b, v76 :: v_dual_mul_f32 v77, 0x3fb8aa3b, v77
	v_mul_f32_e32 v72, 0x3fb8aa3b, v72
	s_delay_alu instid0(VALU_DEP_4) | instskip(SKIP_1) | instid1(VALU_DEP_4)
	v_mul_f32_e32 v82, 0x3fb8aa3b, v80
	v_fma_f32 v86, s19, v122, -v71
	v_exp_f32_e32 v76, v76
	v_exp_f32_e32 v77, v77
	v_exp_f32_e32 v72, v72
	v_exp_f32_e32 v84, v82
	v_mul_f32_e32 v86, 0x3fb8aa3b, v86
	s_delay_alu instid0(VALU_DEP_1)
	v_exp_f32_e32 v88, v86
	v_cndmask_b32_e64 v80, 0, v76, s5
	v_mul_f32_e32 v75, 0x3fb8aa3b, v75
	v_fma_f32 v76, s19, v119, -v71
	v_cndmask_b32_e64 v83, 0, v77, s6
	v_fma_f32 v77, s19, v120, -v71
	v_add_f32_e32 v74, v74, v80
	v_exp_f32_e32 v75, v75
	v_mul_f32_e32 v76, 0x3fb8aa3b, v76
	v_cndmask_b32_e64 v82, 0, v72, s7
	s_delay_alu instid0(VALU_DEP_3) | instskip(SKIP_1) | instid1(VALU_DEP_4)
	v_dual_mul_f32 v77, 0x3fb8aa3b, v77 :: v_dual_add_f32 v72, v74, v83
	v_fma_f32 v74, s19, v121, -v71
	v_exp_f32_e32 v76, v76
	v_cndmask_b32_e64 v85, 0, v84, s8
	s_delay_alu instid0(VALU_DEP_3) | instskip(SKIP_1) | instid1(TRANS32_DEP_3)
	v_exp_f32_e32 v77, v77
	v_cndmask_b32_e64 v88, 0, v88, s13
	v_cndmask_b32_e64 v84, 0, v75, s9
	v_fma_f32 v75, s19, v123, -v71
	v_add_f32_e32 v72, v72, v82
	s_delay_alu instid0(VALU_DEP_2) | instskip(NEXT) | instid1(VALU_DEP_2)
	v_dual_mul_f32 v74, 0x3fb8aa3b, v74 :: v_dual_mul_f32 v75, 0x3fb8aa3b, v75
	v_add_f32_e32 v72, v72, v85
	s_delay_alu instid0(VALU_DEP_2)
	v_exp_f32_e32 v74, v74
	v_cndmask_b32_e64 v87, 0, v76, s10
	v_fma_f32 v76, s19, v124, -v71
	v_cndmask_b32_e64 v86, 0, v77, s11
	v_add_f32_e32 v72, v72, v84
	v_fma_f32 v77, s19, v125, -v71
	v_exp_f32_e32 v75, v75
	v_mul_f32_e32 v76, 0x3fb8aa3b, v76
	s_delay_alu instid0(VALU_DEP_3) | instskip(NEXT) | instid1(TRANS32_DEP_2)
	v_add_f32_e32 v72, v72, v87
	v_cndmask_b32_e64 v89, 0, v74, s12
	v_mul_f32_e32 v74, 0x3fb8aa3b, v77
	s_delay_alu instid0(VALU_DEP_4) | instskip(SKIP_2) | instid1(VALU_DEP_3)
	v_exp_f32_e32 v76, v76
	v_fma_f32 v77, s19, v126, -v71
	v_add_f32_e32 v72, v72, v86
	v_exp_f32_e32 v74, v74
	s_delay_alu instid0(TRANS32_DEP_3) | instskip(NEXT) | instid1(VALU_DEP_3)
	v_cndmask_b32_e64 v91, 0, v75, s15
	v_mul_f32_e32 v75, 0x3fb8aa3b, v77
	s_delay_alu instid0(VALU_DEP_3) | instskip(NEXT) | instid1(TRANS32_DEP_2)
	v_add_f32_e32 v72, v72, v89
	v_cndmask_b32_e64 v90, 0, v76, s16
	s_delay_alu instid0(VALU_DEP_3) | instskip(NEXT) | instid1(VALU_DEP_2)
	v_exp_f32_e32 v75, v75
	v_add_f32_e32 v72, v72, v88
	s_delay_alu instid0(TRANS32_DEP_2) | instskip(NEXT) | instid1(VALU_DEP_2)
	v_cndmask_b32_e64 v93, 0, v74, s17
	v_add_f32_e32 v72, v72, v91
	s_waitcnt_depctr 0xfff
	v_cndmask_b32_e64 v92, 0, v75, s18
	v_add_f32_e32 v72, v72, v90
	s_delay_alu instid0(VALU_DEP_1) | instskip(NEXT) | instid1(VALU_DEP_1)
	v_add_f32_e32 v72, v72, v93
	v_add_f32_e32 v72, v72, v92
	ds_bpermute_b32 v73, v73, v72
	s_and_saveexec_b32 s4, s3
	s_cbranch_execz .LBB1186_12
; %bb.11:
	v_mul_u32_u24_e32 v70, 0x44, v69
	s_waitcnt lgkmcnt(0)
	v_add_f32_e32 v72, v72, v73
	s_delay_alu instid0(VALU_DEP_2) | instskip(NEXT) | instid1(VALU_DEP_1)
	v_lshl_add_u32 v70, v68, 2, v70
	v_add_nc_u32_e32 v70, 0x4000, v70
	ds_store_2addr_b32 v70, v71, v72 offset1:136
.LBB1186_12:
	s_or_b32 exec_lo, exec_lo, s4
	v_lshlrev_b32_e32 v70, 2, v68
	s_load_b32 s36, s[0:1], 0x94
	s_waitcnt lgkmcnt(0)
	s_barrier
	buffer_gl0_inv
	v_add_nc_u32_e32 v98, 0x4000, v70
	v_cmp_eq_u32_e32 vcc_lo, 1, v69
	v_cmp_eq_u32_e64 s4, 2, v69
	v_cmp_eq_u32_e64 s5, 3, v69
	;; [unrolled: 1-line block ×3, first 2 shown]
	ds_load_2addr_b32 v[70:71], v98 offset1:17
	ds_load_2addr_b32 v[72:73], v98 offset0:34 offset1:51
	ds_load_2addr_b32 v[74:75], v98 offset0:68 offset1:85
	;; [unrolled: 1-line block ×3, first 2 shown]
	v_cmp_eq_u32_e64 s7, 5, v69
	v_cmp_eq_u32_e64 s8, 7, v69
	s_waitcnt lgkmcnt(3)
	v_max3_f32 v76, v70, 0xff7fffff, v71
	s_waitcnt lgkmcnt(2)
	s_delay_alu instid0(VALU_DEP_1) | instskip(SKIP_1) | instid1(VALU_DEP_1)
	v_max3_f32 v76, v76, v72, v73
	s_waitcnt lgkmcnt(1)
	v_max3_f32 v76, v76, v74, v75
	s_waitcnt lgkmcnt(0)
	s_delay_alu instid0(VALU_DEP_1) | instskip(NEXT) | instid1(VALU_DEP_1)
	v_max3_f32 v76, v76, v94, v95
	v_sub_f32_e32 v77, v71, v76
	ds_load_2addr_b32 v[96:97], v98 offset0:136 offset1:153
	v_sub_f32_e32 v74, v74, v76
	v_sub_f32_e32 v70, v70, v76
	;; [unrolled: 1-line block ×3, first 2 shown]
	v_dual_sub_f32 v72, v72, v76 :: v_dual_mul_f32 v77, 0x3fb8aa3b, v77
	s_delay_alu instid0(VALU_DEP_4) | instskip(NEXT) | instid1(VALU_DEP_4)
	v_mul_f32_e32 v103, 0x3fb8aa3b, v74
	v_mul_f32_e32 v99, 0x3fb8aa3b, v70
	ds_load_2addr_b32 v[70:71], v98 offset0:170 offset1:187
	v_dual_mul_f32 v101, 0x3fb8aa3b, v72 :: v_dual_mul_f32 v94, 0x3fb8aa3b, v94
	v_exp_f32_e32 v102, v77
	v_exp_f32_e32 v99, v99
	s_delay_alu instid0(VALU_DEP_1) | instskip(NEXT) | instid1(VALU_DEP_1)
	v_exp_f32_e32 v101, v101
	v_exp_f32_e32 v94, v94
	s_waitcnt lgkmcnt(1)
	s_delay_alu instid0(TRANS32_DEP_3)
	v_fma_f32 v77, v99, v96, 0
	v_sub_f32_e32 v100, v73, v76
	ds_load_2addr_b32 v[72:73], v98 offset0:204 offset1:221
	v_fmac_f32_e32 v77, v102, v97
	v_exp_f32_e32 v97, v103
	s_waitcnt lgkmcnt(1)
	s_delay_alu instid0(VALU_DEP_1)
	v_dual_fmac_f32 v77, v101, v70 :: v_dual_sub_f32 v96, v75, v76
	ds_load_2addr_b32 v[74:75], v98 offset0:238 offset1:255
	v_sub_f32_e32 v70, v95, v76
	s_waitcnt lgkmcnt(0)
	s_barrier
	v_mul_f32_e32 v96, 0x3fb8aa3b, v96
	buffer_gl0_inv
	v_exp_f32_e32 v95, v96
	v_mul_f32_e32 v100, 0x3fb8aa3b, v100
	s_delay_alu instid0(VALU_DEP_1) | instskip(SKIP_3) | instid1(VALU_DEP_2)
	v_exp_f32_e32 v100, v100
	s_waitcnt_depctr 0xfff
	v_dual_fmac_f32 v77, v100, v71 :: v_dual_mul_f32 v70, 0x3fb8aa3b, v70
	v_cndmask_b32_e32 v71, v99, v102, vcc_lo
	v_fmac_f32_e32 v77, v97, v72
	s_delay_alu instid0(VALU_DEP_3) | instskip(NEXT) | instid1(VALU_DEP_1)
	v_exp_f32_e32 v96, v70
	v_fmac_f32_e32 v77, v95, v73
	s_delay_alu instid0(VALU_DEP_1) | instskip(SKIP_2) | instid1(VALU_DEP_1)
	v_fmac_f32_e32 v77, v94, v74
	s_waitcnt_depctr 0xfff
	v_fmac_f32_e32 v77, v96, v75
	v_add_f32_e32 v74, 0x358637bd, v77
	s_delay_alu instid0(VALU_DEP_1) | instskip(SKIP_1) | instid1(VALU_DEP_2)
	v_div_scale_f32 v98, null, v74, v74, 1.0
	v_div_scale_f32 v99, vcc_lo, 1.0, v74, 1.0
	v_rcp_f32_e32 v103, v98
	s_waitcnt_depctr 0xfff
	v_fma_f32 v70, -v98, v103, 1.0
	s_delay_alu instid0(VALU_DEP_1) | instskip(SKIP_2) | instid1(VALU_DEP_2)
	v_fmac_f32_e32 v103, v70, v103
	v_cndmask_b32_e64 v70, v71, v101, s4
	v_cmp_eq_u32_e64 s4, 6, v69
	v_cndmask_b32_e64 v71, v70, v100, s5
	s_delay_alu instid0(VALU_DEP_4) | instskip(NEXT) | instid1(VALU_DEP_2)
	v_dual_mul_f32 v101, v99, v103 :: v_dual_lshlrev_b32 v70, 2, v66
	v_cndmask_b32_e64 v71, v71, v97, s6
	s_delay_alu instid0(VALU_DEP_2) | instskip(NEXT) | instid1(VALU_DEP_3)
	v_or_b32_e32 v72, 1, v70
	v_fma_f32 v100, -v98, v101, v99
	v_cmp_eq_u32_e64 s5, 1, v70
	v_cmp_eq_u32_e64 s6, 2, v70
	v_cndmask_b32_e64 v95, v71, v95, s7
	v_or_b32_e32 v71, 3, v70
	v_fmac_f32_e32 v101, v100, v103
	v_cmp_eq_u32_e64 s10, 1, v72
	v_cmp_eq_u32_e64 s13, 2, v72
	v_cndmask_b32_e64 v94, v95, v94, s4
	v_cmp_eq_u32_e64 s12, 1, v71
	v_fma_f32 v97, -v98, v101, v99
	v_cmp_eq_u32_e64 s17, 2, v71
	v_cmp_eq_u32_e64 s15, 3, v72
	v_cndmask_b32_e64 v94, v94, v96, s8
	v_cmp_eq_u32_e64 s19, 3, v71
	v_div_fmas_f32 v95, v97, v103, v101
	v_cmp_eq_u32_e32 vcc_lo, 3, v70
	v_cmp_eq_u32_e64 s4, 4, v70
	v_cmp_eq_u32_e64 s20, 4, v72
	;; [unrolled: 1-line block ×3, first 2 shown]
	v_div_fixup_f32 v95, v95, v74, 1.0
	v_lshlrev_b32_e32 v73, 6, v68
	v_cmp_eq_u32_e64 s7, 5, v70
	v_cmp_eq_u32_e64 s21, 5, v72
	;; [unrolled: 1-line block ×3, first 2 shown]
	v_mul_f32_e32 v102, v94, v95
	v_lshl_or_b32 v75, v69, 11, v73
	v_or_b32_e32 v69, 2, v70
	v_cmp_eq_u32_e64 s26, 6, v72
	v_cmp_eq_u32_e64 s28, 6, v71
	v_fma_mixlo_f16 v94, v102, v79, 0
	v_fma_mixlo_f16 v95, v102, v81, 0
	;; [unrolled: 1-line block ×8, first 2 shown]
	v_lshl_or_b32 v74, v66, 4, v75
	v_fma_mixhi_f16 v94, v102, v78, 0
	v_fma_mixhi_f16 v95, v102, v80, 0
	v_fma_mixhi_f16 v96, v102, v82, 0
	v_fma_mixhi_f16 v97, v102, v84, 0
	v_fma_mixhi_f16 v98, v102, v86, 0
	v_fma_mixhi_f16 v99, v102, v88, 0
	v_fma_mixhi_f16 v100, v102, v90, 0
	v_fma_mixhi_f16 v101, v102, v92, 0
	ds_store_b128 v74, v[94:97]
	ds_store_b128 v74, v[98:101] offset:1024
	s_waitcnt lgkmcnt(0)
	s_barrier
	buffer_gl0_inv
	ds_load_b128 v[78:81], v75
	ds_load_b128 v[82:85], v75 offset:16
	ds_load_b128 v[86:89], v75 offset:1024
	;; [unrolled: 1-line block ×3, first 2 shown]
	v_cmp_eq_u32_e64 s11, 1, v69
	v_cmp_eq_u32_e64 s16, 2, v69
	;; [unrolled: 1-line block ×11, first 2 shown]
	s_waitcnt lgkmcnt(3)
	v_lshrrev_b32_e32 v94, 16, v78
	s_waitcnt lgkmcnt(2)
	v_lshrrev_b32_e32 v98, 16, v82
	;; [unrolled: 2-line block ×4, first 2 shown]
	v_lshrrev_b32_e32 v95, 16, v79
	v_cndmask_b32_e64 v110, v78, v94, s5
	v_cndmask_b32_e64 v111, v82, v98, s5
	;; [unrolled: 1-line block ×8, first 2 shown]
	v_lshrrev_b32_e32 v99, 16, v83
	v_cndmask_b32_e64 v94, v86, v102, s5
	v_cndmask_b32_e64 v98, v90, v106, s5
	;; [unrolled: 1-line block ×15, first 2 shown]
	v_lshrrev_b32_e32 v103, 16, v87
	v_lshrrev_b32_e32 v107, 16, v91
	v_cndmask_b32_e64 v113, v115, v83, s16
	v_cndmask_b32_e64 v82, v94, v87, s6
	;; [unrolled: 1-line block ×7, first 2 shown]
	v_cndmask_b32_e32 v90, v102, v95, vcc_lo
	v_cndmask_b32_e32 v102, v106, v99, vcc_lo
	v_cndmask_b32_e64 v106, v110, v95, s15
	v_cndmask_b32_e64 v110, v111, v99, s15
	;; [unrolled: 1-line block ×4, first 2 shown]
	v_lshrrev_b32_e32 v96, 16, v80
	v_lshrrev_b32_e32 v100, 16, v84
	v_cndmask_b32_e64 v111, v112, v95, s18
	v_cndmask_b32_e64 v112, v113, v99, s18
	v_cndmask_b32_e32 v82, v82, v103, vcc_lo
	v_cndmask_b32_e32 v83, v83, v107, vcc_lo
	v_cndmask_b32_e64 v94, v94, v103, s15
	v_cndmask_b32_e64 v90, v90, v80, s4
	;; [unrolled: 1-line block ×7, first 2 shown]
	v_lshrrev_b32_e32 v104, 16, v88
	v_cndmask_b32_e64 v106, v111, v80, s22
	v_cndmask_b32_e64 v110, v112, v84, s22
	;; [unrolled: 1-line block ×11, first 2 shown]
	v_lshrrev_b32_e32 v97, 16, v81
	v_lshrrev_b32_e32 v101, 16, v85
	v_cndmask_b32_e64 v99, v106, v96, s24
	v_cndmask_b32_e64 v102, v110, v100, s24
	;; [unrolled: 1-line block ×7, first 2 shown]
	v_lshrrev_b32_e32 v105, 16, v89
	v_cndmask_b32_e64 v80, v80, v104, s7
	v_cndmask_b32_e64 v84, v84, v81, s8
	;; [unrolled: 1-line block ×16, first 2 shown]
	v_perm_b32 v81, v79, v78, 0x5040100
	v_perm_b32 v79, v95, v85, 0x5040100
	v_cndmask_b32_e64 v78, v119, v91, s16
	v_cndmask_b32_e64 v85, v117, v91, s13
	;; [unrolled: 1-line block ×3, first 2 shown]
	v_perm_b32 v80, v94, v90, 0x5040100
	v_cndmask_b32_e64 v90, v98, v103, s18
	v_cndmask_b32_e64 v86, v86, v103, s19
	;; [unrolled: 1-line block ×5, first 2 shown]
	v_lshrrev_b32_e32 v108, 16, v92
	v_cndmask_b32_e64 v90, v90, v88, s22
	v_cndmask_b32_e64 v86, v86, v88, s23
	;; [unrolled: 1-line block ×11, first 2 shown]
	v_lshrrev_b32_e32 v109, 16, v93
	v_cndmask_b32_e64 v82, v82, v93, s8
	v_cndmask_b32_e64 v88, v88, v89, s27
	;; [unrolled: 1-line block ×12, first 2 shown]
	v_perm_b32 v78, v84, v83, 0x5040100
	v_perm_b32 v85, v87, v86, 0x5040100
	;; [unrolled: 1-line block ×5, first 2 shown]
	s_mul_i32 s9, s35, 5
	s_mov_b32 s4, exec_lo
	ds_store_b128 v74, v[78:81]
	ds_store_b128 v74, v[82:85] offset:1024
	v_cmpx_gt_u32_e32 5, v0
	s_cbranch_execz .LBB1186_14
; %bb.13:
	s_mul_i32 s5, s9, s34
	s_load_b128 s[16:19], s[0:1], 0x58
	v_add3_u32 v68, s5, s33, v68
	s_delay_alu instid0(VALU_DEP_1) | instskip(NEXT) | instid1(VALU_DEP_1)
	v_mad_u64_u32 v[78:79], null, v68, s36, s[14:15]
	v_ashrrev_i32_e32 v79, 31, v78
	s_delay_alu instid0(VALU_DEP_1) | instskip(SKIP_1) | instid1(VALU_DEP_1)
	v_lshlrev_b64 v[78:79], 2, v[78:79]
	s_waitcnt lgkmcnt(0)
	v_add_co_u32 v80, vcc_lo, s18, v78
	s_delay_alu instid0(VALU_DEP_2)
	v_add_co_ci_u32_e32 v81, vcc_lo, s19, v79, vcc_lo
	v_add_co_u32 v78, vcc_lo, s16, v78
	v_add_co_ci_u32_e32 v79, vcc_lo, s17, v79, vcc_lo
	global_store_b32 v[80:81], v76, off
	global_store_b32 v[78:79], v77, off
.LBB1186_14:
	s_or_b32 exec_lo, exec_lo, s4
	s_waitcnt lgkmcnt(0)
	s_waitcnt_vscnt null, 0x0
	s_barrier
	buffer_gl0_inv
	ds_load_b128 v[84:87], v73
	ds_load_b128 v[88:91], v73 offset:16
	ds_load_b128 v[96:99], v73 offset:2064
	;; [unrolled: 1-line block ×5, first 2 shown]
	v_cmp_eq_u32_e32 vcc_lo, 1, v70
	v_mov_b32_e32 v76, 0
	ds_load_b128 v[112:115], v73 offset:6160
	ds_load_b128 v[108:111], v73 offset:6144
	;; [unrolled: 1-line block ×4, first 2 shown]
	v_cmp_eq_u32_e64 s5, 1, v69
	v_cmp_eq_u32_e64 s4, 1, v72
	;; [unrolled: 1-line block ×3, first 2 shown]
	v_mov_b32_e32 v77, v76
	v_mov_b32_e32 v78, v76
	;; [unrolled: 1-line block ×7, first 2 shown]
	v_cmp_eq_u32_e64 s7, 3, v72
	v_cmp_eq_u32_e64 s8, 7, v72
	s_waitcnt lgkmcnt(8)
	s_delay_alu instid0(VALU_DEP_3)
	v_wmma_f32_16x16x16_f16 v[76:83], v[49:56], v[84:91], v[76:83]
	ds_load_b128 v[53:56], v73 offset:10256
	ds_load_b128 v[49:52], v73 offset:10240
	s_waitcnt lgkmcnt(8)
	v_wmma_f32_16x16x16_f16 v[76:83], v[41:48], v[92:99], v[76:83]
	ds_load_b128 v[45:48], v73 offset:12304
	ds_load_b128 v[41:44], v73 offset:12288
	s_waitcnt lgkmcnt(8)
	;; [unrolled: 4-line block ×3, first 2 shown]
	s_barrier
	buffer_gl0_inv
	v_wmma_f32_16x16x16_f16 v[76:83], v[1:8], v[108:115], v[76:83]
	s_delay_alu instid0(VALU_DEP_1) | instskip(NEXT) | instid1(VALU_DEP_1)
	v_wmma_f32_16x16x16_f16 v[76:83], v[9:16], v[116:123], v[76:83]
	v_wmma_f32_16x16x16_f16 v[76:83], v[17:24], v[49:56], v[76:83]
	s_delay_alu instid0(VALU_DEP_1) | instskip(NEXT) | instid1(VALU_DEP_1)
	v_wmma_f32_16x16x16_f16 v[76:83], v[25:32], v[41:48], v[76:83]
	v_wmma_f32_16x16x16_f16 v[76:83], v[57:64], v[33:40], v[76:83]
	s_delay_alu instid0(VALU_DEP_1) | instskip(NEXT) | instid1(VALU_DEP_2)
	v_cvt_f16_f32_e32 v1, v76
	v_cvt_f16_f32_e32 v2, v77
	s_delay_alu instid0(VALU_DEP_3) | instskip(NEXT) | instid1(VALU_DEP_4)
	v_cvt_f16_f32_e32 v3, v78
	v_cvt_f16_f32_e32 v4, v79
	;; [unrolled: 1-line block ×6, first 2 shown]
	v_pack_b32_f16 v1, v1, v2
	v_pack_b32_f16 v2, v3, v4
	;; [unrolled: 1-line block ×3, first 2 shown]
	s_delay_alu instid0(VALU_DEP_4)
	v_pack_b32_f16 v4, v7, v8
	ds_store_b128 v74, v[1:4]
	s_waitcnt lgkmcnt(0)
	s_barrier
	buffer_gl0_inv
	ds_load_b128 v[1:4], v75
	ds_load_b128 v[5:8], v75 offset:16
	s_waitcnt lgkmcnt(1)
	v_lshrrev_b32_e32 v9, 16, v1
	s_waitcnt lgkmcnt(0)
	v_lshrrev_b32_e32 v13, 16, v5
	v_lshrrev_b32_e32 v10, 16, v2
	;; [unrolled: 1-line block ×4, first 2 shown]
	v_cndmask_b32_e32 v17, v1, v9, vcc_lo
	v_cndmask_b32_e32 v18, v5, v13, vcc_lo
	v_cndmask_b32_e64 v21, v1, v9, s5
	v_cmp_eq_u32_e32 vcc_lo, 1, v71
	v_cndmask_b32_e64 v22, v5, v13, s5
	v_cmp_eq_u32_e64 s5, 2, v70
	v_cndmask_b32_e64 v19, v1, v9, s4
	v_cndmask_b32_e64 v20, v5, v13, s4
	v_cndmask_b32_e32 v1, v1, v9, vcc_lo
	v_cmp_eq_u32_e64 s4, 2, v71
	v_cndmask_b32_e32 v5, v5, v13, vcc_lo
	v_cndmask_b32_e64 v9, v17, v2, s5
	v_cmp_eq_u32_e32 vcc_lo, 3, v70
	v_cndmask_b32_e64 v13, v18, v6, s5
	v_cmp_eq_u32_e64 s5, 2, v69
	v_cndmask_b32_e64 v17, v19, v2, s6
	v_cndmask_b32_e64 v18, v20, v6, s6
	v_cmp_eq_u32_e64 s6, 3, v69
	v_cndmask_b32_e64 v1, v1, v2, s4
	v_cndmask_b32_e64 v19, v21, v2, s5
	;; [unrolled: 1-line block ×4, first 2 shown]
	v_cndmask_b32_e32 v5, v9, v10, vcc_lo
	v_cndmask_b32_e32 v6, v13, v14, vcc_lo
	v_cmp_eq_u32_e32 vcc_lo, 3, v71
	v_cndmask_b32_e64 v9, v17, v10, s7
	v_cndmask_b32_e64 v13, v18, v14, s7
	;; [unrolled: 1-line block ×3, first 2 shown]
	v_cmp_eq_u32_e64 s5, 4, v70
	v_cndmask_b32_e32 v1, v1, v10, vcc_lo
	v_cndmask_b32_e32 v2, v2, v14, vcc_lo
	v_cmp_eq_u32_e32 vcc_lo, 4, v72
	v_lshrrev_b32_e32 v15, 16, v7
	v_lshrrev_b32_e32 v16, 16, v8
	v_cndmask_b32_e64 v17, v19, v10, s6
	v_cmp_eq_u32_e64 s4, 4, v71
	v_cndmask_b32_e64 v5, v5, v3, s5
	v_cndmask_b32_e64 v6, v6, v7, s5
	v_cndmask_b32_e32 v9, v9, v3, vcc_lo
	v_cmp_eq_u32_e64 s5, 5, v72
	v_cndmask_b32_e32 v10, v13, v7, vcc_lo
	v_cmp_eq_u32_e32 vcc_lo, 4, v69
	v_cmp_eq_u32_e64 s6, 5, v70
	v_cndmask_b32_e64 v2, v2, v7, s4
	v_cndmask_b32_e64 v9, v9, v11, s5
	;; [unrolled: 1-line block ×3, first 2 shown]
	v_cndmask_b32_e32 v13, v17, v3, vcc_lo
	v_cmp_eq_u32_e64 s5, 5, v69
	v_cndmask_b32_e32 v14, v18, v7, vcc_lo
	v_cndmask_b32_e64 v1, v1, v3, s4
	v_cmp_eq_u32_e32 vcc_lo, 5, v71
	v_lshrrev_b32_e32 v12, 16, v4
	v_cndmask_b32_e64 v13, v13, v11, s5
	v_cndmask_b32_e64 v3, v14, v15, s5
	v_cmp_eq_u32_e64 s5, 6, v71
	v_cndmask_b32_e32 v1, v1, v11, vcc_lo
	v_cndmask_b32_e64 v5, v5, v11, s6
	v_cmp_eq_u32_e64 s7, 6, v70
	v_cndmask_b32_e64 v6, v6, v15, s6
	v_cmp_eq_u32_e64 s6, 6, v72
	v_cmp_eq_u32_e64 s4, 6, v69
	v_cndmask_b32_e64 v1, v1, v4, s5
	v_cndmask_b32_e32 v2, v2, v15, vcc_lo
	v_cmp_eq_u32_e32 vcc_lo, 7, v71
	v_cndmask_b32_e64 v5, v5, v4, s7
	v_cndmask_b32_e64 v9, v9, v4, s6
	;; [unrolled: 1-line block ×3, first 2 shown]
	v_cmp_eq_u32_e64 s7, 7, v70
	v_cndmask_b32_e32 v1, v1, v12, vcc_lo
	v_cndmask_b32_e64 v7, v13, v4, s4
	v_cndmask_b32_e64 v3, v3, v8, s4
	;; [unrolled: 1-line block ×3, first 2 shown]
	v_cmp_eq_u32_e64 s4, 7, v69
	v_cndmask_b32_e64 v4, v10, v8, s6
	v_cndmask_b32_e64 v5, v5, v12, s7
	;; [unrolled: 1-line block ×3, first 2 shown]
	v_cndmask_b32_e32 v2, v2, v16, vcc_lo
	v_cndmask_b32_e64 v7, v7, v12, s4
	v_cndmask_b32_e64 v3, v3, v16, s4
	;; [unrolled: 1-line block ×4, first 2 shown]
	v_cmp_gt_u32_e32 vcc_lo, 32, v0
	v_perm_b32 v4, v2, v1, 0x5040100
	v_perm_b32 v3, v3, v7, 0x5040100
	;; [unrolled: 1-line block ×4, first 2 shown]
	s_and_b32 s2, vcc_lo, s2
	ds_store_b128 v74, v[1:4]
	s_waitcnt lgkmcnt(0)
	s_barrier
	buffer_gl0_inv
	s_and_saveexec_b32 s4, s2
	s_cbranch_execz .LBB1186_2
; %bb.15:
	s_load_b64 s[4:5], s[0:1], 0x68
	v_lshlrev_b32_e32 v0, 10, v0
	v_add_nc_u32_e32 v2, s33, v66
	v_lshlrev_b32_e32 v3, 4, v67
	s_lshl_b32 s0, s36, 6
	s_delay_alu instid0(SALU_CYCLE_1) | instskip(NEXT) | instid1(VALU_DEP_2)
	s_mul_i32 s1, s0, s34
	v_mul_lo_u32 v1, v2, s0
	s_delay_alu instid0(VALU_DEP_2) | instskip(SKIP_2) | instid1(SALU_CYCLE_1)
	v_and_or_b32 v0, 0x3800, v0, v3
	v_add_nc_u32_e32 v2, 2, v2
	s_mul_i32 s6, s1, s9
	s_ashr_i32 s7, s6, 31
	s_delay_alu instid0(VALU_DEP_2)
	v_lshl_or_b32 v7, v66, 6, v0
	s_lshl_b64 s[6:7], s[6:7], 1
	v_mul_lo_u32 v11, v2, s0
	v_ashrrev_i32_e32 v2, 31, v1
	ds_load_b128 v[3:6], v7
	ds_load_b128 v[7:10], v7 offset:128
	s_waitcnt lgkmcnt(0)
	s_add_u32 s1, s4, s6
	s_addc_u32 s2, s5, s7
	s_lshl_b32 s4, s14, 6
	v_ashrrev_i32_e32 v12, 31, v11
	s_ashr_i32 s5, s4, 31
	v_lshlrev_b64 v[13:14], 1, v[1:2]
	s_lshl_b64 s[4:5], s[4:5], 1
	s_delay_alu instid0(SALU_CYCLE_1) | instskip(SKIP_2) | instid1(VALU_DEP_1)
	s_add_u32 s1, s1, s4
	s_addc_u32 s2, s2, s5
	v_add_co_u32 v1, s1, s1, v65
	v_add_co_ci_u32_e64 v2, null, s2, 0, s1
	v_lshlrev_b64 v[11:12], 1, v[11:12]
	s_delay_alu instid0(VALU_DEP_3) | instskip(NEXT) | instid1(VALU_DEP_3)
	v_add_co_u32 v13, vcc_lo, v1, v13
	v_add_co_ci_u32_e32 v14, vcc_lo, v2, v14, vcc_lo
	s_delay_alu instid0(VALU_DEP_3) | instskip(NEXT) | instid1(VALU_DEP_4)
	v_add_co_u32 v11, vcc_lo, v1, v11
	v_add_co_ci_u32_e32 v12, vcc_lo, v2, v12, vcc_lo
	s_clause 0x1
	global_store_b128 v[13:14], v[3:6], off
	global_store_b128 v[11:12], v[7:10], off
	s_and_b32 exec_lo, exec_lo, s3
	s_cbranch_execz .LBB1186_2
; %bb.16:
	ds_load_b128 v[3:6], v0 offset:256
	s_add_i32 s1, s33, 4
	s_delay_alu instid0(SALU_CYCLE_1) | instskip(NEXT) | instid1(SALU_CYCLE_1)
	s_mul_i32 s0, s1, s0
	s_ashr_i32 s1, s0, 31
	s_delay_alu instid0(SALU_CYCLE_1) | instskip(NEXT) | instid1(SALU_CYCLE_1)
	s_lshl_b64 s[0:1], s[0:1], 1
	v_add_co_u32 v0, vcc_lo, v1, s0
	v_add_co_ci_u32_e32 v1, vcc_lo, s1, v2, vcc_lo
	s_waitcnt lgkmcnt(0)
	global_store_b128 v[0:1], v[3:6], off
	s_nop 0
	s_sendmsg sendmsg(MSG_DEALLOC_VGPRS)
	s_endpgm
	.section	.rodata,"a",@progbits
	.p2align	6, 0x0
	.amdhsa_kernel _Z39paged_attention_ll4mi_QKV_mfma16_kernelIDF16_hLN4vllm18Fp8KVCacheDataTypeE1EDF16_Li32ELi64ELi256ELb1ELi5EL8MFMAType0EEvPKT_PKT0_S8_ifPKiSA_SA_iPKfiiiPfSD_PS3_PT2_iSC_SC_
		.amdhsa_group_segment_fixed_size 17472
		.amdhsa_private_segment_fixed_size 0
		.amdhsa_kernarg_size 400
		.amdhsa_user_sgpr_count 13
		.amdhsa_user_sgpr_dispatch_ptr 0
		.amdhsa_user_sgpr_queue_ptr 0
		.amdhsa_user_sgpr_kernarg_segment_ptr 1
		.amdhsa_user_sgpr_dispatch_id 0
		.amdhsa_user_sgpr_private_segment_size 0
		.amdhsa_wavefront_size32 1
		.amdhsa_uses_dynamic_stack 0
		.amdhsa_enable_private_segment 0
		.amdhsa_system_sgpr_workgroup_id_x 1
		.amdhsa_system_sgpr_workgroup_id_y 1
		.amdhsa_system_sgpr_workgroup_id_z 1
		.amdhsa_system_sgpr_workgroup_info 0
		.amdhsa_system_vgpr_workitem_id 0
		.amdhsa_next_free_vgpr 146
		.amdhsa_next_free_sgpr 37
		.amdhsa_reserve_vcc 1
		.amdhsa_float_round_mode_32 0
		.amdhsa_float_round_mode_16_64 0
		.amdhsa_float_denorm_mode_32 3
		.amdhsa_float_denorm_mode_16_64 3
		.amdhsa_dx10_clamp 1
		.amdhsa_ieee_mode 1
		.amdhsa_fp16_overflow 0
		.amdhsa_workgroup_processor_mode 1
		.amdhsa_memory_ordered 1
		.amdhsa_forward_progress 0
		.amdhsa_shared_vgpr_count 0
		.amdhsa_exception_fp_ieee_invalid_op 0
		.amdhsa_exception_fp_denorm_src 0
		.amdhsa_exception_fp_ieee_div_zero 0
		.amdhsa_exception_fp_ieee_overflow 0
		.amdhsa_exception_fp_ieee_underflow 0
		.amdhsa_exception_fp_ieee_inexact 0
		.amdhsa_exception_int_div_zero 0
	.end_amdhsa_kernel
	.section	.text._Z39paged_attention_ll4mi_QKV_mfma16_kernelIDF16_hLN4vllm18Fp8KVCacheDataTypeE1EDF16_Li32ELi64ELi256ELb1ELi5EL8MFMAType0EEvPKT_PKT0_S8_ifPKiSA_SA_iPKfiiiPfSD_PS3_PT2_iSC_SC_,"axG",@progbits,_Z39paged_attention_ll4mi_QKV_mfma16_kernelIDF16_hLN4vllm18Fp8KVCacheDataTypeE1EDF16_Li32ELi64ELi256ELb1ELi5EL8MFMAType0EEvPKT_PKT0_S8_ifPKiSA_SA_iPKfiiiPfSD_PS3_PT2_iSC_SC_,comdat
.Lfunc_end1186:
	.size	_Z39paged_attention_ll4mi_QKV_mfma16_kernelIDF16_hLN4vllm18Fp8KVCacheDataTypeE1EDF16_Li32ELi64ELi256ELb1ELi5EL8MFMAType0EEvPKT_PKT0_S8_ifPKiSA_SA_iPKfiiiPfSD_PS3_PT2_iSC_SC_, .Lfunc_end1186-_Z39paged_attention_ll4mi_QKV_mfma16_kernelIDF16_hLN4vllm18Fp8KVCacheDataTypeE1EDF16_Li32ELi64ELi256ELb1ELi5EL8MFMAType0EEvPKT_PKT0_S8_ifPKiSA_SA_iPKfiiiPfSD_PS3_PT2_iSC_SC_
                                        ; -- End function
	.section	.AMDGPU.csdata,"",@progbits
; Kernel info:
; codeLenInByte = 6476
; NumSgprs: 39
; NumVgprs: 146
; ScratchSize: 0
; MemoryBound: 0
; FloatMode: 240
; IeeeMode: 1
; LDSByteSize: 17472 bytes/workgroup (compile time only)
; SGPRBlocks: 4
; VGPRBlocks: 18
; NumSGPRsForWavesPerEU: 39
; NumVGPRsForWavesPerEU: 146
; Occupancy: 9
; WaveLimiterHint : 1
; COMPUTE_PGM_RSRC2:SCRATCH_EN: 0
; COMPUTE_PGM_RSRC2:USER_SGPR: 13
; COMPUTE_PGM_RSRC2:TRAP_HANDLER: 0
; COMPUTE_PGM_RSRC2:TGID_X_EN: 1
; COMPUTE_PGM_RSRC2:TGID_Y_EN: 1
; COMPUTE_PGM_RSRC2:TGID_Z_EN: 1
; COMPUTE_PGM_RSRC2:TIDIG_COMP_CNT: 0
	.section	.text._Z39paged_attention_ll4mi_QKV_mfma16_kernelIDF16_hLN4vllm18Fp8KVCacheDataTypeE1EDF16_Li32ELi64ELi256ELb1ELi6EL8MFMAType0EEvPKT_PKT0_S8_ifPKiSA_SA_iPKfiiiPfSD_PS3_PT2_iSC_SC_,"axG",@progbits,_Z39paged_attention_ll4mi_QKV_mfma16_kernelIDF16_hLN4vllm18Fp8KVCacheDataTypeE1EDF16_Li32ELi64ELi256ELb1ELi6EL8MFMAType0EEvPKT_PKT0_S8_ifPKiSA_SA_iPKfiiiPfSD_PS3_PT2_iSC_SC_,comdat
	.protected	_Z39paged_attention_ll4mi_QKV_mfma16_kernelIDF16_hLN4vllm18Fp8KVCacheDataTypeE1EDF16_Li32ELi64ELi256ELb1ELi6EL8MFMAType0EEvPKT_PKT0_S8_ifPKiSA_SA_iPKfiiiPfSD_PS3_PT2_iSC_SC_ ; -- Begin function _Z39paged_attention_ll4mi_QKV_mfma16_kernelIDF16_hLN4vllm18Fp8KVCacheDataTypeE1EDF16_Li32ELi64ELi256ELb1ELi6EL8MFMAType0EEvPKT_PKT0_S8_ifPKiSA_SA_iPKfiiiPfSD_PS3_PT2_iSC_SC_
	.globl	_Z39paged_attention_ll4mi_QKV_mfma16_kernelIDF16_hLN4vllm18Fp8KVCacheDataTypeE1EDF16_Li32ELi64ELi256ELb1ELi6EL8MFMAType0EEvPKT_PKT0_S8_ifPKiSA_SA_iPKfiiiPfSD_PS3_PT2_iSC_SC_
	.p2align	8
	.type	_Z39paged_attention_ll4mi_QKV_mfma16_kernelIDF16_hLN4vllm18Fp8KVCacheDataTypeE1EDF16_Li32ELi64ELi256ELb1ELi6EL8MFMAType0EEvPKT_PKT0_S8_ifPKiSA_SA_iPKfiiiPfSD_PS3_PT2_iSC_SC_,@function
_Z39paged_attention_ll4mi_QKV_mfma16_kernelIDF16_hLN4vllm18Fp8KVCacheDataTypeE1EDF16_Li32ELi64ELi256ELb1ELi6EL8MFMAType0EEvPKT_PKT0_S8_ifPKiSA_SA_iPKfiiiPfSD_PS3_PT2_iSC_SC_: ; @_Z39paged_attention_ll4mi_QKV_mfma16_kernelIDF16_hLN4vllm18Fp8KVCacheDataTypeE1EDF16_Li32ELi64ELi256ELb1ELi6EL8MFMAType0EEvPKT_PKT0_S8_ifPKiSA_SA_iPKfiiiPfSD_PS3_PT2_iSC_SC_
; %bb.0:
	s_load_b64 s[2:3], s[0:1], 0x30
	s_mov_b32 s34, s13
	s_waitcnt lgkmcnt(0)
	s_cmp_lg_u64 s[2:3], 0
	s_cselect_b32 s6, -1, 0
	s_ashr_i32 s35, s13, 31
	s_cmp_eq_u64 s[2:3], 0
	s_cbranch_scc1 .LBB1187_3
; %bb.1:
	s_lshl_b64 s[4:5], s[34:35], 2
	s_delay_alu instid0(SALU_CYCLE_1) | instskip(SKIP_4) | instid1(SALU_CYCLE_1)
	s_add_u32 s4, s2, s4
	s_addc_u32 s5, s3, s5
	s_load_b64 s[4:5], s[4:5], 0x0
	s_waitcnt lgkmcnt(0)
	s_sub_i32 s4, s5, s4
	s_cmp_eq_u32 s4, 1
	s_cselect_b32 s4, -1, 0
	s_delay_alu instid0(SALU_CYCLE_1)
	s_and_not1_b32 vcc_lo, exec_lo, s4
	s_cbranch_vccz .LBB1187_4
.LBB1187_2:
	s_endpgm
.LBB1187_3:
.LBB1187_4:
	s_load_b64 s[8:9], s[0:1], 0x28
	s_lshl_b64 s[4:5], s[34:35], 2
	s_waitcnt lgkmcnt(0)
	s_add_u32 s8, s8, s4
	s_addc_u32 s9, s9, s5
	s_lshl_b32 s16, s14, 8
	s_load_b32 s18, s[8:9], 0x0
	s_waitcnt lgkmcnt(0)
	s_cmp_ge_i32 s16, s18
	s_cbranch_scc1 .LBB1187_2
; %bb.5:
	s_clause 0x1
	s_load_b128 s[8:11], s[0:1], 0x8
	s_load_b64 s[12:13], s[0:1], 0x20
	s_and_not1_b32 vcc_lo, exec_lo, s6
	s_cbranch_vccnz .LBB1187_7
; %bb.6:
	s_add_u32 s2, s2, s4
	s_addc_u32 s3, s3, s5
	s_load_b32 s3, s[2:3], 0x0
	s_branch .LBB1187_8
.LBB1187_7:
	s_mov_b32 s3, s34
.LBB1187_8:
	s_load_b128 s[4:7], s[0:1], 0x48
	v_and_b32_e32 v68, 15, v0
	v_cmp_gt_u32_e32 vcc_lo, 0x60, v0
	v_lshrrev_b32_e32 v69, 5, v0
	v_and_b32_e32 v70, 31, v0
	v_and_b32_e32 v67, 1, v0
	v_lshlrev_b32_e32 v1, 3, v68
	v_cmp_gt_u32_e64 s2, 8, v68
	v_bfe_u32 v66, v0, 4, 1
	s_mul_i32 s31, s15, 6
	s_delay_alu instid0(VALU_DEP_3) | instskip(NEXT) | instid1(VALU_DEP_3)
	v_lshlrev_b32_e32 v65, 1, v1
	s_and_b32 s17, vcc_lo, s2
	s_waitcnt lgkmcnt(0)
	s_and_saveexec_b32 s7, s17
	s_cbranch_execz .LBB1187_10
; %bb.9:
	s_load_b64 s[20:21], s[0:1], 0x0
	v_lshl_or_b32 v5, v69, 1, v66
	s_mul_hi_i32 s23, s3, s4
	s_mul_i32 s22, s3, s4
	v_lshlrev_b32_e32 v6, 10, v68
	s_lshl_b64 s[22:23], s[22:23], 1
	v_add_lshl_u32 v1, v5, s31, 6
	v_lshlrev_b32_e32 v5, 6, v5
	v_lshlrev_b32_e32 v7, 10, v67
	v_and_b32_e32 v6, 0x3800, v6
	s_delay_alu instid0(VALU_DEP_4) | instskip(NEXT) | instid1(VALU_DEP_2)
	v_ashrrev_i32_e32 v2, 31, v1
	v_or3_b32 v5, v6, v7, v5
	s_delay_alu instid0(VALU_DEP_2) | instskip(SKIP_3) | instid1(VALU_DEP_1)
	v_lshlrev_b64 v[1:2], 1, v[1:2]
	s_waitcnt lgkmcnt(0)
	s_add_u32 s3, s20, s22
	s_addc_u32 s4, s21, s23
	v_add_co_u32 v1, vcc_lo, s3, v1
	s_delay_alu instid0(VALU_DEP_2) | instskip(NEXT) | instid1(VALU_DEP_2)
	v_add_co_ci_u32_e32 v2, vcc_lo, s4, v2, vcc_lo
	v_add_co_u32 v1, vcc_lo, v1, v65
	s_delay_alu instid0(VALU_DEP_2)
	v_add_co_ci_u32_e32 v2, vcc_lo, 0, v2, vcc_lo
	global_load_b128 v[1:4], v[1:2], off
	s_waitcnt vmcnt(0)
	ds_store_b128 v5, v[1:4]
.LBB1187_10:
	s_or_b32 exec_lo, exec_lo, s7
	v_and_b32_e32 v1, 0xef, v0
	s_add_i32 s3, s18, 31
	s_clause 0x1
	s_load_b32 s4, s[0:1], 0x38
	s_load_b32 s33, s[0:1], 0x98
	s_ashr_i32 s7, s3, 31
	v_add_nc_u32_e32 v1, s16, v1
	s_lshr_b32 s7, s7, 27
	s_load_b32 s19, s[0:1], 0x1c
	s_add_i32 s3, s3, s7
	s_waitcnt lgkmcnt(0)
	v_ashrrev_i32_e32 v2, 31, v1
	v_or_b32_e32 v3, 16, v1
	s_ashr_i32 s3, s3, 5
	v_cmp_gt_i32_e32 vcc_lo, s18, v1
	s_add_i32 s3, s3, -1
	v_lshrrev_b32_e32 v2, 27, v2
	s_barrier
	buffer_gl0_inv
	s_mul_i32 s15, s15, s6
	v_mul_lo_u16 v103, v68, 43
	v_add_nc_u32_e32 v4, v1, v2
	v_mbcnt_lo_u32_b32 v127, -1, 0
	s_mul_i32 s20, s34, s4
	s_delay_alu instid0(SALU_CYCLE_1) | instskip(NEXT) | instid1(VALU_DEP_2)
	s_ashr_i32 s21, s20, 31
	v_ashrrev_i32_e32 v4, 5, v4
	v_add_nc_u32_e32 v2, v3, v2
	s_lshl_b64 s[20:21], s[20:21], 2
	v_lshrrev_b16 v103, 8, v103
	s_add_u32 s17, s12, s20
	v_cndmask_b32_e32 v1, s3, v4, vcc_lo
	v_ashrrev_i32_e32 v2, 5, v2
	v_cmp_gt_i32_e32 vcc_lo, s18, v3
	s_addc_u32 s13, s13, s21
	s_ashr_i32 s20, s15, 31
	s_add_u32 s22, s8, s15
	s_addc_u32 s23, s9, s20
	v_cndmask_b32_e32 v3, s3, v2, vcc_lo
	v_ashrrev_i32_e32 v2, 31, v1
	s_lshl_b32 s6, s14, 3
	v_mul_lo_u16 v103, v103, 6
	s_ashr_i32 s7, s6, 31
	v_ashrrev_i32_e32 v4, 31, v3
	v_lshlrev_b64 v[1:2], 2, v[1:2]
	s_lshl_b64 s[6:7], s[6:7], 2
	v_sub_nc_u16 v103, v68, v103
	s_add_u32 s6, s17, s6
	v_lshlrev_b64 v[3:4], 2, v[3:4]
	s_addc_u32 s7, s13, s7
	v_add_co_u32 v1, vcc_lo, s17, v1
	v_add_co_ci_u32_e32 v2, vcc_lo, s13, v2, vcc_lo
	s_delay_alu instid0(VALU_DEP_3) | instskip(NEXT) | instid1(VALU_DEP_4)
	v_add_co_u32 v3, vcc_lo, s17, v3
	v_add_co_ci_u32_e32 v4, vcc_lo, s13, v4, vcc_lo
	s_clause 0x1
	global_load_b32 v5, v[1:2], off
	global_load_b32 v6, v[3:4], off
	s_or_b32 s4, s16, 32
	v_xor_b32_e32 v128, 16, v127
	s_ashr_i32 s8, s4, 5
	s_cmp_lt_i32 s4, s18
	s_cselect_b32 s8, s8, s3
	s_delay_alu instid0(SALU_CYCLE_1) | instskip(NEXT) | instid1(SALU_CYCLE_1)
	s_ashr_i32 s9, s8, 31
	s_lshl_b64 s[8:9], s[8:9], 2
	s_delay_alu instid0(SALU_CYCLE_1) | instskip(SKIP_2) | instid1(SALU_CYCLE_1)
	s_add_u32 s8, s17, s8
	s_addc_u32 s9, s13, s9
	s_or_b32 s4, s16, 64
	s_ashr_i32 s12, s4, 5
	s_cmp_lt_i32 s4, s18
	s_cselect_b32 s24, s12, s3
	s_delay_alu instid0(SALU_CYCLE_1) | instskip(NEXT) | instid1(SALU_CYCLE_1)
	s_ashr_i32 s25, s24, 31
	s_lshl_b64 s[24:25], s[24:25], 2
	s_delay_alu instid0(SALU_CYCLE_1) | instskip(SKIP_2) | instid1(SALU_CYCLE_1)
	s_add_u32 s24, s17, s24
	s_addc_u32 s25, s13, s25
	s_or_b32 s4, s16, 0x60
	;; [unrolled: 10-line block ×4, first 2 shown]
	s_ashr_i32 s12, s4, 5
	s_cmp_lt_i32 s4, s18
	s_cselect_b32 s36, s12, s3
	s_delay_alu instid0(SALU_CYCLE_1) | instskip(NEXT) | instid1(SALU_CYCLE_1)
	s_ashr_i32 s37, s36, 31
	s_lshl_b64 s[36:37], s[36:37], 2
	s_delay_alu instid0(SALU_CYCLE_1)
	s_add_u32 s36, s17, s36
	s_addc_u32 s37, s13, s37
	s_clause 0x5
	s_load_b32 s12, s[6:7], 0x0
	s_load_b32 s4, s[8:9], 0x0
	;; [unrolled: 1-line block ×6, first 2 shown]
	s_or_b32 s21, s16, 0xc0
	s_waitcnt vmcnt(1)
	v_mad_i64_i32 v[1:2], null, v5, s5, s[22:23]
	v_lshlrev_b32_e32 v5, 4, v68
	s_waitcnt vmcnt(0)
	v_mad_i64_i32 v[3:4], null, v6, s5, s[22:23]
	s_ashr_i32 s22, s21, 5
	s_cmp_lt_i32 s21, s18
	s_delay_alu instid0(VALU_DEP_3) | instskip(NEXT) | instid1(VALU_DEP_4)
	v_add_co_u32 v1, vcc_lo, v1, v5
	v_add_co_ci_u32_e32 v2, vcc_lo, 0, v2, vcc_lo
	s_delay_alu instid0(VALU_DEP_3) | instskip(NEXT) | instid1(VALU_DEP_4)
	v_add_co_u32 v3, vcc_lo, v3, v5
	v_add_co_ci_u32_e32 v4, vcc_lo, 0, v4, vcc_lo
	s_clause 0x7
	global_load_b128 v[71:74], v[1:2], off
	global_load_b128 v[75:78], v[1:2], off offset:512
	global_load_b128 v[79:82], v[3:4], off offset:256
	global_load_b128 v[83:86], v[3:4], off offset:768
	global_load_b128 v[87:90], v[1:2], off offset:1024
	global_load_b128 v[91:94], v[1:2], off offset:1536
	global_load_b128 v[95:98], v[3:4], off offset:1280
	global_load_b128 v[99:102], v[3:4], off offset:1792
	s_cselect_b32 s22, s22, s3
	v_lshlrev_b32_e32 v1, 5, v68
	s_ashr_i32 s23, s22, 31
	v_cmp_gt_i32_e32 vcc_lo, 32, v128
	s_lshl_b64 s[22:23], s[22:23], 2
	v_and_b32_e32 v103, 0xff, v103
	s_add_u32 s22, s17, s22
	s_addc_u32 s23, s13, s23
	v_cndmask_b32_e32 v136, v127, v128, vcc_lo
	s_or_b32 s21, s16, 0xe0
	v_lshl_or_b32 v1, v69, 9, v1
	s_ashr_i32 s24, s21, 5
	s_cmp_lt_i32 s21, s18
	v_lshlrev_b32_e32 v115, 6, v103
	s_cselect_b32 s24, s24, s3
	s_load_b32 s3, s[22:23], 0x0
	s_ashr_i32 s25, s24, 31
	s_delay_alu instid0(SALU_CYCLE_1) | instskip(NEXT) | instid1(SALU_CYCLE_1)
	s_lshl_b64 s[24:25], s[24:25], 2
	s_add_u32 s22, s17, s24
	s_addc_u32 s23, s13, s25
	s_add_u32 s10, s10, s15
	s_addc_u32 s11, s11, s20
	v_add_co_u32 v1, s10, s10, v1
	s_delay_alu instid0(VALU_DEP_1) | instskip(SKIP_2) | instid1(VALU_DEP_1)
	v_add_co_ci_u32_e64 v2, null, s11, 0, s10
	s_load_b32 s10, s[22:23], 0x0
	s_waitcnt lgkmcnt(0)
	v_mad_i64_i32 v[3:4], null, s12, s5, v[1:2]
	v_mad_i64_i32 v[9:10], null, s7, s5, v[1:2]
	;; [unrolled: 1-line block ×7, first 2 shown]
	s_clause 0x5
	global_load_b128 v[49:52], v[3:4], off
	global_load_b128 v[53:56], v[3:4], off offset:16
	global_load_b128 v[41:44], v[5:6], off
	global_load_b128 v[45:48], v[5:6], off offset:16
	;; [unrolled: 2-line block ×3, first 2 shown]
	s_mov_b32 s4, 0
	v_mad_i64_i32 v[61:62], null, s10, s5, v[1:2]
	s_clause 0x9
	global_load_b128 v[1:4], v[9:10], off
	global_load_b128 v[5:8], v[9:10], off offset:16
	global_load_b128 v[9:12], v[13:14], off
	global_load_b128 v[13:16], v[13:14], off offset:16
	global_load_b128 v[17:20], v[21:22], off
	global_load_b128 v[21:24], v[21:22], off offset:16
	global_load_b128 v[25:28], v[29:30], off
	global_load_b128 v[29:32], v[29:30], off offset:16
	global_load_b128 v[57:60], v[61:62], off
	global_load_b128 v[61:64], v[61:62], off offset:16
	s_mov_b32 s5, s4
	s_mov_b32 s6, s4
	;; [unrolled: 1-line block ×7, first 2 shown]
	v_and_b32_e32 v104, 0xe0, v0
	v_dual_mov_b32 v126, s11 :: v_dual_mov_b32 v123, s8
	v_dual_mov_b32 v125, s10 :: v_dual_mov_b32 v124, s9
	s_delay_alu instid0(VALU_DEP_3)
	v_add_nc_u32_e32 v111, s16, v104
	ds_load_b128 v[103:106], v115
	ds_load_b128 v[107:110], v115 offset:1024
	v_dual_mov_b32 v122, s7 :: v_dual_mov_b32 v121, s6
	v_mov_b32_e32 v120, s5
	v_or_b32_e32 v135, v111, v66
	ds_load_b128 v[111:114], v115 offset:2048
	ds_load_b128 v[115:118], v115 offset:3072
	v_mov_b32_e32 v119, s4
	s_waitcnt vmcnt(0) lgkmcnt(0)
	s_barrier
	v_or_b32_e32 v137, 2, v135
	v_or_b32_e32 v138, 4, v135
	;; [unrolled: 1-line block ×3, first 2 shown]
	v_cmp_gt_i32_e32 vcc_lo, s18, v135
	v_or_b32_e32 v140, 8, v135
	v_cmp_gt_i32_e64 s3, s18, v137
	v_or_b32_e32 v141, 10, v135
	v_cmp_gt_i32_e64 s4, s18, v138
	v_cmp_gt_i32_e64 s5, s18, v139
	v_or_b32_e32 v142, 12, v135
	v_or_b32_e32 v143, 14, v135
	v_cmp_gt_i32_e64 s6, s18, v140
	v_cmp_gt_i32_e64 s7, s18, v141
	v_or_b32_e32 v144, 16, v135
	v_or_b32_e32 v145, 18, v135
	v_cmp_gt_i32_e64 s8, s18, v142
	v_cmp_gt_i32_e64 s9, s18, v143
	buffer_gl0_inv
	v_cmp_gt_i32_e64 s10, s18, v144
	v_cmp_gt_i32_e64 s11, s18, v145
	v_wmma_f32_16x16x16_f16 v[127:134], v[71:78], v[103:110], v[119:126]
	v_wmma_f32_16x16x16_f16 v[119:126], v[79:86], v[103:110], v[119:126]
	v_or_b32_e32 v71, 20, v135
	v_or_b32_e32 v72, 22, v135
	s_delay_alu instid0(VALU_DEP_4)
	v_wmma_f32_16x16x16_f16 v[127:134], v[87:94], v[111:118], v[127:134]
	v_or_b32_e32 v73, 24, v135
	v_wmma_f32_16x16x16_f16 v[119:126], v[95:102], v[111:118], v[119:126]
	v_or_b32_e32 v74, 26, v135
	v_cmp_gt_i32_e64 s12, s18, v71
	v_dual_mul_f32 v84, s19, v127 :: v_dual_mul_f32 v83, s19, v128
	s_delay_alu instid0(VALU_DEP_4) | instskip(SKIP_2) | instid1(VALU_DEP_4)
	v_dual_mul_f32 v92, s19, v119 :: v_dual_mul_f32 v81, s19, v130
	v_mul_f32_e32 v90, s19, v121
	v_mul_f32_e32 v82, s19, v129
	v_cndmask_b32_e32 v84, 0xff7fffff, v84, vcc_lo
	v_cndmask_b32_e64 v83, 0xff7fffff, v83, s3
	v_dual_mul_f32 v79, s19, v132 :: v_dual_mul_f32 v88, s19, v123
	v_mul_f32_e32 v80, s19, v131
	v_cndmask_b32_e64 v82, 0xff7fffff, v82, s4
	v_cndmask_b32_e64 v81, 0xff7fffff, v81, s5
	v_max3_f32 v83, v84, 0xff7fffff, v83
	v_dual_mul_f32 v77, s19, v134 :: v_dual_mul_f32 v86, s19, v125
	v_mul_f32_e32 v78, s19, v133
	v_cndmask_b32_e64 v80, 0xff7fffff, v80, s6
	v_cndmask_b32_e64 v79, 0xff7fffff, v79, s7
	v_max3_f32 v81, v83, v82, v81
	v_mul_f32_e32 v91, s19, v120
	v_cndmask_b32_e64 v78, 0xff7fffff, v78, s8
	v_cndmask_b32_e64 v77, 0xff7fffff, v77, s9
	v_mul_f32_e32 v89, s19, v122
	v_max3_f32 v79, v81, v80, v79
	v_cndmask_b32_e64 v80, 0xff7fffff, v92, s10
	v_cndmask_b32_e64 v81, 0xff7fffff, v91, s11
	v_cmp_gt_i32_e64 s13, s18, v72
	v_or_b32_e32 v75, 28, v135
	v_max3_f32 v77, v79, v78, v77
	v_or_b32_e32 v76, 30, v135
	v_mul_f32_e32 v87, s19, v124
	v_cndmask_b32_e64 v71, 0xff7fffff, v90, s12
	v_cndmask_b32_e64 v72, 0xff7fffff, v89, s13
	v_max3_f32 v77, v77, v80, v81
	v_cmp_gt_i32_e64 s15, s18, v73
	v_cmp_gt_i32_e64 s16, s18, v74
	v_mul_f32_e32 v85, s19, v126
	v_cmp_gt_i32_e64 s17, s18, v75
	v_max3_f32 v71, v77, v71, v72
	v_cndmask_b32_e64 v73, 0xff7fffff, v88, s15
	v_cndmask_b32_e64 v74, 0xff7fffff, v87, s16
	v_cmp_gt_i32_e64 s18, s18, v76
	v_cndmask_b32_e64 v72, 0xff7fffff, v86, s17
	s_delay_alu instid0(VALU_DEP_3) | instskip(NEXT) | instid1(VALU_DEP_3)
	v_max3_f32 v71, v71, v73, v74
	v_cndmask_b32_e64 v75, 0xff7fffff, v85, s18
	v_lshlrev_b32_e32 v73, 2, v136
	s_delay_alu instid0(VALU_DEP_2) | instskip(SKIP_3) | instid1(VALU_DEP_1)
	v_max3_f32 v71, v71, v72, v75
	ds_bpermute_b32 v72, v73, v71
	s_waitcnt lgkmcnt(0)
	v_max_f32_e32 v72, v72, v72
	v_max_f32_e32 v71, v71, v72
	s_delay_alu instid0(VALU_DEP_1) | instskip(SKIP_2) | instid1(VALU_DEP_3)
	v_fma_f32 v72, s19, v127, -v71
	v_fma_f32 v74, s19, v128, -v71
	;; [unrolled: 1-line block ×3, first 2 shown]
	v_mul_f32_e32 v72, 0x3fb8aa3b, v72
	s_delay_alu instid0(VALU_DEP_2) | instskip(NEXT) | instid1(VALU_DEP_2)
	v_dual_mul_f32 v74, 0x3fb8aa3b, v74 :: v_dual_mul_f32 v75, 0x3fb8aa3b, v75
	v_exp_f32_e32 v72, v72
	s_delay_alu instid0(VALU_DEP_1) | instskip(NEXT) | instid1(VALU_DEP_1)
	v_exp_f32_e32 v74, v74
	v_exp_f32_e32 v75, v75
	s_delay_alu instid0(TRANS32_DEP_3)
	v_cndmask_b32_e32 v79, 0, v72, vcc_lo
	s_waitcnt_depctr 0xfff
	v_cndmask_b32_e64 v78, 0, v74, s3
	v_cndmask_b32_e64 v81, 0, v75, s4
	s_mov_b32 s3, exec_lo
	v_add_f32_e32 v74, 0, v79
	s_delay_alu instid0(VALU_DEP_1) | instskip(NEXT) | instid1(VALU_DEP_1)
	v_add_f32_e32 v74, v74, v78
	v_add_f32_e32 v74, v74, v81
	v_fma_f32 v76, s19, v130, -v71
	v_fma_f32 v77, s19, v131, -v71
	;; [unrolled: 1-line block ×5, first 2 shown]
	s_delay_alu instid0(VALU_DEP_4) | instskip(NEXT) | instid1(VALU_DEP_4)
	v_dual_mul_f32 v76, 0x3fb8aa3b, v76 :: v_dual_mul_f32 v77, 0x3fb8aa3b, v77
	v_mul_f32_e32 v72, 0x3fb8aa3b, v72
	s_delay_alu instid0(VALU_DEP_4) | instskip(SKIP_1) | instid1(VALU_DEP_4)
	v_mul_f32_e32 v82, 0x3fb8aa3b, v80
	v_fma_f32 v86, s19, v122, -v71
	v_exp_f32_e32 v76, v76
	v_exp_f32_e32 v77, v77
	;; [unrolled: 1-line block ×4, first 2 shown]
	v_mul_f32_e32 v86, 0x3fb8aa3b, v86
	s_delay_alu instid0(VALU_DEP_1)
	v_exp_f32_e32 v88, v86
	v_cndmask_b32_e64 v80, 0, v76, s5
	v_mul_f32_e32 v75, 0x3fb8aa3b, v75
	v_fma_f32 v76, s19, v119, -v71
	v_cndmask_b32_e64 v83, 0, v77, s6
	v_fma_f32 v77, s19, v120, -v71
	v_add_f32_e32 v74, v74, v80
	v_exp_f32_e32 v75, v75
	v_mul_f32_e32 v76, 0x3fb8aa3b, v76
	v_cndmask_b32_e64 v82, 0, v72, s7
	s_delay_alu instid0(VALU_DEP_3) | instskip(SKIP_1) | instid1(VALU_DEP_4)
	v_dual_mul_f32 v77, 0x3fb8aa3b, v77 :: v_dual_add_f32 v72, v74, v83
	v_fma_f32 v74, s19, v121, -v71
	v_exp_f32_e32 v76, v76
	v_cndmask_b32_e64 v85, 0, v84, s8
	s_delay_alu instid0(VALU_DEP_3) | instskip(SKIP_1) | instid1(TRANS32_DEP_3)
	v_exp_f32_e32 v77, v77
	v_cndmask_b32_e64 v88, 0, v88, s13
	v_cndmask_b32_e64 v84, 0, v75, s9
	v_fma_f32 v75, s19, v123, -v71
	v_add_f32_e32 v72, v72, v82
	s_delay_alu instid0(VALU_DEP_2) | instskip(NEXT) | instid1(VALU_DEP_2)
	v_dual_mul_f32 v74, 0x3fb8aa3b, v74 :: v_dual_mul_f32 v75, 0x3fb8aa3b, v75
	v_add_f32_e32 v72, v72, v85
	s_delay_alu instid0(VALU_DEP_2)
	v_exp_f32_e32 v74, v74
	v_cndmask_b32_e64 v87, 0, v76, s10
	v_fma_f32 v76, s19, v124, -v71
	v_cndmask_b32_e64 v86, 0, v77, s11
	v_add_f32_e32 v72, v72, v84
	v_fma_f32 v77, s19, v125, -v71
	v_exp_f32_e32 v75, v75
	v_mul_f32_e32 v76, 0x3fb8aa3b, v76
	s_delay_alu instid0(VALU_DEP_3) | instskip(NEXT) | instid1(TRANS32_DEP_2)
	v_add_f32_e32 v72, v72, v87
	v_cndmask_b32_e64 v89, 0, v74, s12
	v_mul_f32_e32 v74, 0x3fb8aa3b, v77
	s_delay_alu instid0(VALU_DEP_4) | instskip(SKIP_2) | instid1(VALU_DEP_3)
	v_exp_f32_e32 v76, v76
	v_fma_f32 v77, s19, v126, -v71
	v_add_f32_e32 v72, v72, v86
	v_exp_f32_e32 v74, v74
	s_delay_alu instid0(TRANS32_DEP_3) | instskip(NEXT) | instid1(VALU_DEP_3)
	v_cndmask_b32_e64 v91, 0, v75, s15
	v_mul_f32_e32 v75, 0x3fb8aa3b, v77
	s_delay_alu instid0(VALU_DEP_3) | instskip(NEXT) | instid1(TRANS32_DEP_2)
	v_add_f32_e32 v72, v72, v89
	v_cndmask_b32_e64 v90, 0, v76, s16
	s_delay_alu instid0(VALU_DEP_3) | instskip(NEXT) | instid1(VALU_DEP_2)
	v_exp_f32_e32 v75, v75
	v_add_f32_e32 v72, v72, v88
	s_delay_alu instid0(TRANS32_DEP_2) | instskip(NEXT) | instid1(VALU_DEP_2)
	v_cndmask_b32_e64 v93, 0, v74, s17
	v_add_f32_e32 v72, v72, v91
	s_waitcnt_depctr 0xfff
	v_cndmask_b32_e64 v92, 0, v75, s18
	v_add_f32_e32 v72, v72, v90
	s_delay_alu instid0(VALU_DEP_1) | instskip(NEXT) | instid1(VALU_DEP_1)
	v_add_f32_e32 v72, v72, v93
	v_add_f32_e32 v72, v72, v92
	ds_bpermute_b32 v73, v73, v72
	v_cmpx_gt_u32_e32 16, v70
	s_cbranch_execz .LBB1187_12
; %bb.11:
	v_mul_u32_u24_e32 v70, 0x44, v69
	s_waitcnt lgkmcnt(0)
	v_add_f32_e32 v72, v72, v73
	s_delay_alu instid0(VALU_DEP_2) | instskip(NEXT) | instid1(VALU_DEP_1)
	v_lshl_add_u32 v70, v68, 2, v70
	v_add_nc_u32_e32 v70, 0x4000, v70
	ds_store_2addr_b32 v70, v71, v72 offset1:136
.LBB1187_12:
	s_or_b32 exec_lo, exec_lo, s3
	v_lshlrev_b32_e32 v70, 2, v68
	s_load_b32 s35, s[0:1], 0x94
	s_waitcnt lgkmcnt(0)
	s_barrier
	buffer_gl0_inv
	v_add_nc_u32_e32 v98, 0x4000, v70
	v_cmp_eq_u32_e32 vcc_lo, 1, v69
	v_cmp_eq_u32_e64 s3, 2, v69
	v_cmp_eq_u32_e64 s4, 3, v69
	;; [unrolled: 1-line block ×3, first 2 shown]
	ds_load_2addr_b32 v[70:71], v98 offset1:17
	ds_load_2addr_b32 v[72:73], v98 offset0:34 offset1:51
	ds_load_2addr_b32 v[74:75], v98 offset0:68 offset1:85
	;; [unrolled: 1-line block ×3, first 2 shown]
	v_cmp_eq_u32_e64 s6, 5, v69
	v_cmp_eq_u32_e64 s7, 7, v69
	s_waitcnt lgkmcnt(3)
	v_max3_f32 v76, v70, 0xff7fffff, v71
	s_waitcnt lgkmcnt(2)
	s_delay_alu instid0(VALU_DEP_1) | instskip(SKIP_1) | instid1(VALU_DEP_1)
	v_max3_f32 v76, v76, v72, v73
	s_waitcnt lgkmcnt(1)
	v_max3_f32 v76, v76, v74, v75
	s_waitcnt lgkmcnt(0)
	s_delay_alu instid0(VALU_DEP_1) | instskip(NEXT) | instid1(VALU_DEP_1)
	v_max3_f32 v76, v76, v94, v95
	v_sub_f32_e32 v77, v71, v76
	ds_load_2addr_b32 v[96:97], v98 offset0:136 offset1:153
	v_sub_f32_e32 v74, v74, v76
	v_sub_f32_e32 v70, v70, v76
	;; [unrolled: 1-line block ×3, first 2 shown]
	v_dual_sub_f32 v72, v72, v76 :: v_dual_mul_f32 v77, 0x3fb8aa3b, v77
	s_delay_alu instid0(VALU_DEP_4) | instskip(NEXT) | instid1(VALU_DEP_4)
	v_mul_f32_e32 v103, 0x3fb8aa3b, v74
	v_mul_f32_e32 v99, 0x3fb8aa3b, v70
	ds_load_2addr_b32 v[70:71], v98 offset0:170 offset1:187
	v_dual_mul_f32 v101, 0x3fb8aa3b, v72 :: v_dual_mul_f32 v94, 0x3fb8aa3b, v94
	v_exp_f32_e32 v102, v77
	v_exp_f32_e32 v99, v99
	s_delay_alu instid0(VALU_DEP_1) | instskip(NEXT) | instid1(VALU_DEP_1)
	v_exp_f32_e32 v101, v101
	v_exp_f32_e32 v94, v94
	s_waitcnt lgkmcnt(1)
	s_delay_alu instid0(TRANS32_DEP_3)
	v_fma_f32 v77, v99, v96, 0
	v_sub_f32_e32 v100, v73, v76
	ds_load_2addr_b32 v[72:73], v98 offset0:204 offset1:221
	v_fmac_f32_e32 v77, v102, v97
	v_exp_f32_e32 v97, v103
	s_waitcnt lgkmcnt(1)
	s_delay_alu instid0(VALU_DEP_1)
	v_dual_fmac_f32 v77, v101, v70 :: v_dual_sub_f32 v96, v75, v76
	ds_load_2addr_b32 v[74:75], v98 offset0:238 offset1:255
	v_sub_f32_e32 v70, v95, v76
	s_waitcnt lgkmcnt(0)
	s_barrier
	v_mul_f32_e32 v96, 0x3fb8aa3b, v96
	buffer_gl0_inv
	v_exp_f32_e32 v95, v96
	v_mul_f32_e32 v100, 0x3fb8aa3b, v100
	s_delay_alu instid0(VALU_DEP_1) | instskip(SKIP_3) | instid1(VALU_DEP_2)
	v_exp_f32_e32 v100, v100
	s_waitcnt_depctr 0xfff
	v_dual_fmac_f32 v77, v100, v71 :: v_dual_mul_f32 v70, 0x3fb8aa3b, v70
	v_cndmask_b32_e32 v71, v99, v102, vcc_lo
	v_fmac_f32_e32 v77, v97, v72
	s_delay_alu instid0(VALU_DEP_3) | instskip(NEXT) | instid1(VALU_DEP_1)
	v_exp_f32_e32 v96, v70
	v_fmac_f32_e32 v77, v95, v73
	s_delay_alu instid0(VALU_DEP_1) | instskip(SKIP_2) | instid1(VALU_DEP_1)
	v_fmac_f32_e32 v77, v94, v74
	s_waitcnt_depctr 0xfff
	v_fmac_f32_e32 v77, v96, v75
	v_add_f32_e32 v74, 0x358637bd, v77
	s_delay_alu instid0(VALU_DEP_1) | instskip(SKIP_1) | instid1(VALU_DEP_2)
	v_div_scale_f32 v98, null, v74, v74, 1.0
	v_div_scale_f32 v99, vcc_lo, 1.0, v74, 1.0
	v_rcp_f32_e32 v103, v98
	s_waitcnt_depctr 0xfff
	v_fma_f32 v70, -v98, v103, 1.0
	s_delay_alu instid0(VALU_DEP_1) | instskip(SKIP_2) | instid1(VALU_DEP_2)
	v_fmac_f32_e32 v103, v70, v103
	v_cndmask_b32_e64 v70, v71, v101, s3
	v_cmp_eq_u32_e64 s3, 6, v69
	v_cndmask_b32_e64 v71, v70, v100, s4
	s_delay_alu instid0(VALU_DEP_4) | instskip(NEXT) | instid1(VALU_DEP_2)
	v_dual_mul_f32 v101, v99, v103 :: v_dual_lshlrev_b32 v70, 2, v66
	v_cndmask_b32_e64 v71, v71, v97, s5
	s_delay_alu instid0(VALU_DEP_2) | instskip(NEXT) | instid1(VALU_DEP_3)
	v_or_b32_e32 v72, 1, v70
	v_fma_f32 v100, -v98, v101, v99
	v_cmp_eq_u32_e64 s4, 1, v70
	v_cmp_eq_u32_e64 s5, 2, v70
	v_cndmask_b32_e64 v95, v71, v95, s6
	v_or_b32_e32 v71, 3, v70
	v_fmac_f32_e32 v101, v100, v103
	v_cmp_eq_u32_e64 s9, 1, v72
	v_cmp_eq_u32_e64 s12, 2, v72
	v_cndmask_b32_e64 v94, v95, v94, s3
	v_cmp_eq_u32_e64 s11, 1, v71
	v_fma_f32 v97, -v98, v101, v99
	v_cmp_eq_u32_e64 s16, 2, v71
	v_cmp_eq_u32_e64 s13, 3, v72
	v_cndmask_b32_e64 v94, v94, v96, s7
	v_cmp_eq_u32_e64 s18, 3, v71
	v_div_fmas_f32 v95, v97, v103, v101
	v_cmp_eq_u32_e32 vcc_lo, 3, v70
	v_cmp_eq_u32_e64 s3, 4, v70
	v_cmp_eq_u32_e64 s19, 4, v72
	v_cmp_eq_u32_e64 s22, 4, v71
	v_div_fixup_f32 v95, v95, v74, 1.0
	v_lshlrev_b32_e32 v73, 6, v68
	v_cmp_eq_u32_e64 s6, 5, v70
	v_cmp_eq_u32_e64 s20, 5, v72
	;; [unrolled: 1-line block ×3, first 2 shown]
	v_mul_f32_e32 v102, v94, v95
	v_lshl_or_b32 v75, v69, 11, v73
	v_or_b32_e32 v69, 2, v70
	v_cmp_eq_u32_e64 s25, 6, v72
	v_cmp_eq_u32_e64 s27, 6, v71
	v_fma_mixlo_f16 v94, v102, v79, 0
	v_fma_mixlo_f16 v95, v102, v81, 0
	;; [unrolled: 1-line block ×8, first 2 shown]
	v_lshl_or_b32 v74, v66, 4, v75
	v_fma_mixhi_f16 v94, v102, v78, 0
	v_fma_mixhi_f16 v95, v102, v80, 0
	;; [unrolled: 1-line block ×8, first 2 shown]
	ds_store_b128 v74, v[94:97]
	ds_store_b128 v74, v[98:101] offset:1024
	s_waitcnt lgkmcnt(0)
	s_barrier
	buffer_gl0_inv
	ds_load_b128 v[78:81], v75
	ds_load_b128 v[82:85], v75 offset:16
	ds_load_b128 v[86:89], v75 offset:1024
	;; [unrolled: 1-line block ×3, first 2 shown]
	v_cmp_eq_u32_e64 s10, 1, v69
	v_cmp_eq_u32_e64 s15, 2, v69
	;; [unrolled: 1-line block ×11, first 2 shown]
	s_waitcnt lgkmcnt(3)
	v_lshrrev_b32_e32 v94, 16, v78
	s_waitcnt lgkmcnt(2)
	v_lshrrev_b32_e32 v98, 16, v82
	s_waitcnt lgkmcnt(1)
	v_lshrrev_b32_e32 v102, 16, v86
	s_waitcnt lgkmcnt(0)
	v_lshrrev_b32_e32 v106, 16, v90
	v_lshrrev_b32_e32 v95, 16, v79
	v_cndmask_b32_e64 v110, v78, v94, s4
	v_cndmask_b32_e64 v111, v82, v98, s4
	;; [unrolled: 1-line block ×8, first 2 shown]
	v_lshrrev_b32_e32 v99, 16, v83
	v_cndmask_b32_e64 v94, v86, v102, s4
	v_cndmask_b32_e64 v98, v90, v106, s4
	;; [unrolled: 1-line block ×15, first 2 shown]
	v_lshrrev_b32_e32 v103, 16, v87
	v_lshrrev_b32_e32 v107, 16, v91
	v_cndmask_b32_e64 v113, v115, v83, s15
	v_cndmask_b32_e64 v82, v94, v87, s5
	;; [unrolled: 1-line block ×7, first 2 shown]
	v_cndmask_b32_e32 v90, v102, v95, vcc_lo
	v_cndmask_b32_e32 v102, v106, v99, vcc_lo
	v_cndmask_b32_e64 v106, v110, v95, s13
	v_cndmask_b32_e64 v110, v111, v99, s13
	;; [unrolled: 1-line block ×4, first 2 shown]
	v_lshrrev_b32_e32 v96, 16, v80
	v_lshrrev_b32_e32 v100, 16, v84
	v_cndmask_b32_e64 v111, v112, v95, s17
	v_cndmask_b32_e64 v112, v113, v99, s17
	v_cndmask_b32_e32 v82, v82, v103, vcc_lo
	v_cndmask_b32_e32 v83, v83, v107, vcc_lo
	v_cndmask_b32_e64 v94, v94, v103, s13
	v_cndmask_b32_e64 v90, v90, v80, s3
	;; [unrolled: 1-line block ×7, first 2 shown]
	v_lshrrev_b32_e32 v104, 16, v88
	v_cndmask_b32_e64 v106, v111, v80, s21
	v_cndmask_b32_e64 v110, v112, v84, s21
	v_cndmask_b32_e64 v80, v82, v88, s3
	v_cndmask_b32_e64 v82, v83, v92, s3
	v_cndmask_b32_e64 v83, v94, v88, s19
	v_cndmask_b32_e64 v84, v90, v96, s6
	v_cndmask_b32_e64 v90, v95, v100, s6
	v_cndmask_b32_e64 v94, v99, v96, s20
	v_cndmask_b32_e64 v95, v102, v100, s20
	v_cndmask_b32_e64 v78, v78, v96, s24
	v_cndmask_b32_e64 v79, v79, v100, s24
	v_lshrrev_b32_e32 v97, 16, v81
	v_lshrrev_b32_e32 v101, 16, v85
	v_cndmask_b32_e64 v99, v106, v96, s23
	v_cndmask_b32_e64 v102, v110, v100, s23
	;; [unrolled: 1-line block ×7, first 2 shown]
	v_lshrrev_b32_e32 v105, 16, v89
	v_cndmask_b32_e64 v80, v80, v104, s6
	v_cndmask_b32_e64 v84, v84, v81, s7
	;; [unrolled: 1-line block ×16, first 2 shown]
	v_perm_b32 v81, v79, v78, 0x5040100
	v_perm_b32 v79, v95, v85, 0x5040100
	v_cndmask_b32_e64 v78, v119, v91, s15
	v_cndmask_b32_e64 v85, v117, v91, s12
	;; [unrolled: 1-line block ×3, first 2 shown]
	v_perm_b32 v80, v94, v90, 0x5040100
	v_cndmask_b32_e64 v90, v98, v103, s17
	v_cndmask_b32_e64 v86, v86, v103, s18
	;; [unrolled: 1-line block ×5, first 2 shown]
	v_lshrrev_b32_e32 v108, 16, v92
	v_cndmask_b32_e64 v90, v90, v88, s21
	v_cndmask_b32_e64 v86, v86, v88, s22
	;; [unrolled: 1-line block ×11, first 2 shown]
	v_lshrrev_b32_e32 v109, 16, v93
	v_cndmask_b32_e64 v82, v82, v93, s7
	v_cndmask_b32_e64 v88, v88, v89, s26
	;; [unrolled: 1-line block ×12, first 2 shown]
	v_perm_b32 v78, v84, v83, 0x5040100
	v_perm_b32 v85, v87, v86, 0x5040100
	;; [unrolled: 1-line block ×5, first 2 shown]
	s_mul_i32 s8, s33, 6
	s_mov_b32 s3, exec_lo
	ds_store_b128 v74, v[78:81]
	ds_store_b128 v74, v[82:85] offset:1024
	v_cmpx_gt_u32_e32 6, v0
	s_cbranch_execz .LBB1187_14
; %bb.13:
	s_mul_i32 s4, s8, s34
	s_delay_alu instid0(SALU_CYCLE_1) | instskip(SKIP_1) | instid1(VALU_DEP_1)
	v_add3_u32 v68, s4, s31, v68
	s_load_b128 s[4:7], s[0:1], 0x58
	v_mad_u64_u32 v[78:79], null, v68, s35, s[14:15]
	s_delay_alu instid0(VALU_DEP_1) | instskip(NEXT) | instid1(VALU_DEP_1)
	v_ashrrev_i32_e32 v79, 31, v78
	v_lshlrev_b64 v[78:79], 2, v[78:79]
	s_waitcnt lgkmcnt(0)
	s_delay_alu instid0(VALU_DEP_1) | instskip(NEXT) | instid1(VALU_DEP_2)
	v_add_co_u32 v80, vcc_lo, s6, v78
	v_add_co_ci_u32_e32 v81, vcc_lo, s7, v79, vcc_lo
	v_add_co_u32 v78, vcc_lo, s4, v78
	v_add_co_ci_u32_e32 v79, vcc_lo, s5, v79, vcc_lo
	global_store_b32 v[80:81], v76, off
	global_store_b32 v[78:79], v77, off
.LBB1187_14:
	s_or_b32 exec_lo, exec_lo, s3
	s_waitcnt lgkmcnt(0)
	s_waitcnt_vscnt null, 0x0
	s_barrier
	buffer_gl0_inv
	ds_load_b128 v[84:87], v73
	ds_load_b128 v[88:91], v73 offset:16
	ds_load_b128 v[96:99], v73 offset:2064
	;; [unrolled: 1-line block ×5, first 2 shown]
	v_cmp_eq_u32_e32 vcc_lo, 1, v70
	v_mov_b32_e32 v76, 0
	ds_load_b128 v[112:115], v73 offset:6160
	ds_load_b128 v[108:111], v73 offset:6144
	;; [unrolled: 1-line block ×4, first 2 shown]
	v_cmp_eq_u32_e64 s4, 1, v69
	v_cmp_eq_u32_e64 s3, 1, v72
	;; [unrolled: 1-line block ×3, first 2 shown]
	v_mov_b32_e32 v77, v76
	v_mov_b32_e32 v78, v76
	v_mov_b32_e32 v79, v76
	v_mov_b32_e32 v80, v76
	v_mov_b32_e32 v81, v76
	v_mov_b32_e32 v82, v76
	v_mov_b32_e32 v83, v76
	v_cmp_eq_u32_e64 s6, 3, v72
	v_cmp_eq_u32_e64 s7, 7, v72
	s_waitcnt lgkmcnt(8)
	s_delay_alu instid0(VALU_DEP_3)
	v_wmma_f32_16x16x16_f16 v[76:83], v[49:56], v[84:91], v[76:83]
	ds_load_b128 v[53:56], v73 offset:10256
	ds_load_b128 v[49:52], v73 offset:10240
	s_waitcnt lgkmcnt(8)
	v_wmma_f32_16x16x16_f16 v[76:83], v[41:48], v[92:99], v[76:83]
	ds_load_b128 v[45:48], v73 offset:12304
	ds_load_b128 v[41:44], v73 offset:12288
	s_waitcnt lgkmcnt(8)
	;; [unrolled: 4-line block ×3, first 2 shown]
	s_barrier
	buffer_gl0_inv
	v_wmma_f32_16x16x16_f16 v[76:83], v[1:8], v[108:115], v[76:83]
	s_delay_alu instid0(VALU_DEP_1) | instskip(NEXT) | instid1(VALU_DEP_1)
	v_wmma_f32_16x16x16_f16 v[76:83], v[9:16], v[116:123], v[76:83]
	v_wmma_f32_16x16x16_f16 v[76:83], v[17:24], v[49:56], v[76:83]
	s_delay_alu instid0(VALU_DEP_1) | instskip(NEXT) | instid1(VALU_DEP_1)
	v_wmma_f32_16x16x16_f16 v[76:83], v[25:32], v[41:48], v[76:83]
	v_wmma_f32_16x16x16_f16 v[76:83], v[57:64], v[33:40], v[76:83]
	s_delay_alu instid0(VALU_DEP_1) | instskip(NEXT) | instid1(VALU_DEP_2)
	v_cvt_f16_f32_e32 v1, v76
	v_cvt_f16_f32_e32 v2, v77
	s_delay_alu instid0(VALU_DEP_3) | instskip(NEXT) | instid1(VALU_DEP_4)
	v_cvt_f16_f32_e32 v3, v78
	v_cvt_f16_f32_e32 v4, v79
	v_cvt_f16_f32_e32 v5, v80
	v_cvt_f16_f32_e32 v6, v81
	v_cvt_f16_f32_e32 v7, v82
	v_cvt_f16_f32_e32 v8, v83
	v_pack_b32_f16 v1, v1, v2
	v_pack_b32_f16 v2, v3, v4
	;; [unrolled: 1-line block ×3, first 2 shown]
	s_delay_alu instid0(VALU_DEP_4)
	v_pack_b32_f16 v4, v7, v8
	ds_store_b128 v74, v[1:4]
	s_waitcnt lgkmcnt(0)
	s_barrier
	buffer_gl0_inv
	ds_load_b128 v[1:4], v75
	ds_load_b128 v[5:8], v75 offset:16
	s_waitcnt lgkmcnt(1)
	v_lshrrev_b32_e32 v9, 16, v1
	s_waitcnt lgkmcnt(0)
	v_lshrrev_b32_e32 v13, 16, v5
	v_lshrrev_b32_e32 v10, 16, v2
	;; [unrolled: 1-line block ×4, first 2 shown]
	v_cndmask_b32_e32 v17, v1, v9, vcc_lo
	v_cndmask_b32_e32 v18, v5, v13, vcc_lo
	v_cndmask_b32_e64 v21, v1, v9, s4
	v_cmp_eq_u32_e32 vcc_lo, 1, v71
	v_cndmask_b32_e64 v22, v5, v13, s4
	v_cmp_eq_u32_e64 s4, 2, v70
	v_cndmask_b32_e64 v19, v1, v9, s3
	v_cndmask_b32_e64 v20, v5, v13, s3
	v_cndmask_b32_e32 v1, v1, v9, vcc_lo
	v_cmp_eq_u32_e64 s3, 2, v71
	v_cndmask_b32_e32 v5, v5, v13, vcc_lo
	v_cndmask_b32_e64 v9, v17, v2, s4
	v_cmp_eq_u32_e32 vcc_lo, 3, v70
	v_cndmask_b32_e64 v13, v18, v6, s4
	v_cmp_eq_u32_e64 s4, 2, v69
	v_cndmask_b32_e64 v17, v19, v2, s5
	v_cndmask_b32_e64 v18, v20, v6, s5
	v_cmp_eq_u32_e64 s5, 3, v69
	v_cndmask_b32_e64 v1, v1, v2, s3
	v_cndmask_b32_e64 v19, v21, v2, s4
	;; [unrolled: 1-line block ×4, first 2 shown]
	v_cndmask_b32_e32 v5, v9, v10, vcc_lo
	v_cndmask_b32_e32 v6, v13, v14, vcc_lo
	v_cmp_eq_u32_e32 vcc_lo, 3, v71
	v_cndmask_b32_e64 v9, v17, v10, s6
	v_cndmask_b32_e64 v13, v18, v14, s6
	;; [unrolled: 1-line block ×3, first 2 shown]
	v_cmp_eq_u32_e64 s4, 4, v70
	v_cndmask_b32_e32 v1, v1, v10, vcc_lo
	v_cndmask_b32_e32 v2, v2, v14, vcc_lo
	v_cmp_eq_u32_e32 vcc_lo, 4, v72
	v_lshrrev_b32_e32 v15, 16, v7
	v_lshrrev_b32_e32 v16, 16, v8
	v_cndmask_b32_e64 v17, v19, v10, s5
	v_cmp_eq_u32_e64 s3, 4, v71
	v_cndmask_b32_e64 v5, v5, v3, s4
	v_cndmask_b32_e64 v6, v6, v7, s4
	v_cndmask_b32_e32 v9, v9, v3, vcc_lo
	v_cmp_eq_u32_e64 s4, 5, v72
	v_cndmask_b32_e32 v10, v13, v7, vcc_lo
	v_cmp_eq_u32_e32 vcc_lo, 4, v69
	v_cmp_eq_u32_e64 s5, 5, v70
	v_cndmask_b32_e64 v2, v2, v7, s3
	v_cndmask_b32_e64 v9, v9, v11, s4
	;; [unrolled: 1-line block ×3, first 2 shown]
	v_cndmask_b32_e32 v13, v17, v3, vcc_lo
	v_cmp_eq_u32_e64 s4, 5, v69
	v_cndmask_b32_e32 v14, v18, v7, vcc_lo
	v_cndmask_b32_e64 v1, v1, v3, s3
	v_cmp_eq_u32_e32 vcc_lo, 5, v71
	v_lshrrev_b32_e32 v12, 16, v4
	v_cndmask_b32_e64 v13, v13, v11, s4
	v_cndmask_b32_e64 v3, v14, v15, s4
	v_cmp_eq_u32_e64 s4, 6, v71
	v_cndmask_b32_e32 v1, v1, v11, vcc_lo
	v_cndmask_b32_e64 v5, v5, v11, s5
	v_cmp_eq_u32_e64 s6, 6, v70
	v_cndmask_b32_e64 v6, v6, v15, s5
	v_cmp_eq_u32_e64 s5, 6, v72
	v_cmp_eq_u32_e64 s3, 6, v69
	v_cndmask_b32_e64 v1, v1, v4, s4
	v_cndmask_b32_e32 v2, v2, v15, vcc_lo
	v_cmp_eq_u32_e32 vcc_lo, 7, v71
	v_cndmask_b32_e64 v5, v5, v4, s6
	v_cndmask_b32_e64 v9, v9, v4, s5
	v_cndmask_b32_e64 v6, v6, v8, s6
	v_cmp_eq_u32_e64 s6, 7, v70
	v_cndmask_b32_e32 v1, v1, v12, vcc_lo
	v_cndmask_b32_e64 v7, v13, v4, s3
	v_cndmask_b32_e64 v3, v3, v8, s3
	v_cndmask_b32_e64 v2, v2, v8, s4
	v_cmp_eq_u32_e64 s3, 7, v69
	v_cndmask_b32_e64 v4, v10, v8, s5
	v_cndmask_b32_e64 v5, v5, v12, s6
	;; [unrolled: 1-line block ×3, first 2 shown]
	v_cndmask_b32_e32 v2, v2, v16, vcc_lo
	v_cndmask_b32_e64 v7, v7, v12, s3
	v_cndmask_b32_e64 v3, v3, v16, s3
	v_cndmask_b32_e64 v8, v4, v16, s7
	v_cndmask_b32_e64 v6, v6, v16, s6
	v_cmp_gt_u32_e32 vcc_lo, 32, v0
	v_perm_b32 v4, v2, v1, 0x5040100
	v_perm_b32 v3, v3, v7, 0x5040100
	v_perm_b32 v2, v8, v9, 0x5040100
	v_perm_b32 v1, v6, v5, 0x5040100
	s_and_b32 s2, vcc_lo, s2
	ds_store_b128 v74, v[1:4]
	s_waitcnt lgkmcnt(0)
	s_barrier
	buffer_gl0_inv
	s_and_saveexec_b32 s3, s2
	s_cbranch_execz .LBB1187_2
; %bb.15:
	s_load_b64 s[0:1], s[0:1], 0x68
	s_lshl_b32 s4, s35, 6
	v_or_b32_e32 v3, s31, v66
	s_mul_i32 s2, s4, s34
	v_lshlrev_b32_e32 v0, 10, v0
	s_mul_i32 s2, s2, s8
	v_lshlrev_b32_e32 v1, 4, v67
	s_ashr_i32 s3, s2, 31
	v_mul_lo_u32 v12, v3, s4
	s_lshl_b64 s[2:3], s[2:3], 1
	v_lshlrev_b32_e32 v2, 6, v66
	v_and_b32_e32 v0, 0x3800, v0
	s_delay_alu instid0(VALU_DEP_1) | instskip(NEXT) | instid1(VALU_DEP_4)
	v_or3_b32 v8, v0, v1, v2
	v_ashrrev_i32_e32 v13, 31, v12
	ds_load_b128 v[0:3], v8
	ds_load_b128 v[4:7], v8 offset:128
	ds_load_b128 v[8:11], v8 offset:256
	s_waitcnt lgkmcnt(0)
	s_add_u32 s2, s0, s2
	s_addc_u32 s3, s1, s3
	s_lshl_b32 s0, s14, 6
	s_delay_alu instid0(SALU_CYCLE_1) | instskip(NEXT) | instid1(SALU_CYCLE_1)
	s_ashr_i32 s1, s0, 31
	s_lshl_b64 s[0:1], s[0:1], 1
	s_delay_alu instid0(SALU_CYCLE_1)
	s_add_u32 s0, s2, s0
	s_addc_u32 s1, s3, s1
	s_lshl_b32 s2, s35, 7
	v_add_co_u32 v18, s0, s0, v65
	v_add_nc_u32_e32 v14, s2, v12
	v_lshlrev_b64 v[12:13], 1, v[12:13]
	v_add_co_ci_u32_e64 v19, null, s1, 0, s0
	s_delay_alu instid0(VALU_DEP_3) | instskip(SKIP_1) | instid1(VALU_DEP_4)
	v_add_nc_u32_e32 v16, s2, v14
	v_ashrrev_i32_e32 v15, 31, v14
	v_add_co_u32 v12, vcc_lo, v18, v12
	s_delay_alu instid0(VALU_DEP_4) | instskip(NEXT) | instid1(VALU_DEP_4)
	v_add_co_ci_u32_e32 v13, vcc_lo, v19, v13, vcc_lo
	v_ashrrev_i32_e32 v17, 31, v16
	s_delay_alu instid0(VALU_DEP_4) | instskip(NEXT) | instid1(VALU_DEP_2)
	v_lshlrev_b64 v[14:15], 1, v[14:15]
	v_lshlrev_b64 v[16:17], 1, v[16:17]
	s_delay_alu instid0(VALU_DEP_2) | instskip(NEXT) | instid1(VALU_DEP_3)
	v_add_co_u32 v14, vcc_lo, v18, v14
	v_add_co_ci_u32_e32 v15, vcc_lo, v19, v15, vcc_lo
	s_delay_alu instid0(VALU_DEP_3) | instskip(NEXT) | instid1(VALU_DEP_4)
	v_add_co_u32 v16, vcc_lo, v18, v16
	v_add_co_ci_u32_e32 v17, vcc_lo, v19, v17, vcc_lo
	s_clause 0x2
	global_store_b128 v[12:13], v[0:3], off
	global_store_b128 v[14:15], v[4:7], off
	;; [unrolled: 1-line block ×3, first 2 shown]
	s_nop 0
	s_sendmsg sendmsg(MSG_DEALLOC_VGPRS)
	s_endpgm
	.section	.rodata,"a",@progbits
	.p2align	6, 0x0
	.amdhsa_kernel _Z39paged_attention_ll4mi_QKV_mfma16_kernelIDF16_hLN4vllm18Fp8KVCacheDataTypeE1EDF16_Li32ELi64ELi256ELb1ELi6EL8MFMAType0EEvPKT_PKT0_S8_ifPKiSA_SA_iPKfiiiPfSD_PS3_PT2_iSC_SC_
		.amdhsa_group_segment_fixed_size 17472
		.amdhsa_private_segment_fixed_size 0
		.amdhsa_kernarg_size 400
		.amdhsa_user_sgpr_count 13
		.amdhsa_user_sgpr_dispatch_ptr 0
		.amdhsa_user_sgpr_queue_ptr 0
		.amdhsa_user_sgpr_kernarg_segment_ptr 1
		.amdhsa_user_sgpr_dispatch_id 0
		.amdhsa_user_sgpr_private_segment_size 0
		.amdhsa_wavefront_size32 1
		.amdhsa_uses_dynamic_stack 0
		.amdhsa_enable_private_segment 0
		.amdhsa_system_sgpr_workgroup_id_x 1
		.amdhsa_system_sgpr_workgroup_id_y 1
		.amdhsa_system_sgpr_workgroup_id_z 1
		.amdhsa_system_sgpr_workgroup_info 0
		.amdhsa_system_vgpr_workitem_id 0
		.amdhsa_next_free_vgpr 146
		.amdhsa_next_free_sgpr 38
		.amdhsa_reserve_vcc 1
		.amdhsa_float_round_mode_32 0
		.amdhsa_float_round_mode_16_64 0
		.amdhsa_float_denorm_mode_32 3
		.amdhsa_float_denorm_mode_16_64 3
		.amdhsa_dx10_clamp 1
		.amdhsa_ieee_mode 1
		.amdhsa_fp16_overflow 0
		.amdhsa_workgroup_processor_mode 1
		.amdhsa_memory_ordered 1
		.amdhsa_forward_progress 0
		.amdhsa_shared_vgpr_count 0
		.amdhsa_exception_fp_ieee_invalid_op 0
		.amdhsa_exception_fp_denorm_src 0
		.amdhsa_exception_fp_ieee_div_zero 0
		.amdhsa_exception_fp_ieee_overflow 0
		.amdhsa_exception_fp_ieee_underflow 0
		.amdhsa_exception_fp_ieee_inexact 0
		.amdhsa_exception_int_div_zero 0
	.end_amdhsa_kernel
	.section	.text._Z39paged_attention_ll4mi_QKV_mfma16_kernelIDF16_hLN4vllm18Fp8KVCacheDataTypeE1EDF16_Li32ELi64ELi256ELb1ELi6EL8MFMAType0EEvPKT_PKT0_S8_ifPKiSA_SA_iPKfiiiPfSD_PS3_PT2_iSC_SC_,"axG",@progbits,_Z39paged_attention_ll4mi_QKV_mfma16_kernelIDF16_hLN4vllm18Fp8KVCacheDataTypeE1EDF16_Li32ELi64ELi256ELb1ELi6EL8MFMAType0EEvPKT_PKT0_S8_ifPKiSA_SA_iPKfiiiPfSD_PS3_PT2_iSC_SC_,comdat
.Lfunc_end1187:
	.size	_Z39paged_attention_ll4mi_QKV_mfma16_kernelIDF16_hLN4vllm18Fp8KVCacheDataTypeE1EDF16_Li32ELi64ELi256ELb1ELi6EL8MFMAType0EEvPKT_PKT0_S8_ifPKiSA_SA_iPKfiiiPfSD_PS3_PT2_iSC_SC_, .Lfunc_end1187-_Z39paged_attention_ll4mi_QKV_mfma16_kernelIDF16_hLN4vllm18Fp8KVCacheDataTypeE1EDF16_Li32ELi64ELi256ELb1ELi6EL8MFMAType0EEvPKT_PKT0_S8_ifPKiSA_SA_iPKfiiiPfSD_PS3_PT2_iSC_SC_
                                        ; -- End function
	.section	.AMDGPU.csdata,"",@progbits
; Kernel info:
; codeLenInByte = 6452
; NumSgprs: 40
; NumVgprs: 146
; ScratchSize: 0
; MemoryBound: 0
; FloatMode: 240
; IeeeMode: 1
; LDSByteSize: 17472 bytes/workgroup (compile time only)
; SGPRBlocks: 4
; VGPRBlocks: 18
; NumSGPRsForWavesPerEU: 40
; NumVGPRsForWavesPerEU: 146
; Occupancy: 9
; WaveLimiterHint : 1
; COMPUTE_PGM_RSRC2:SCRATCH_EN: 0
; COMPUTE_PGM_RSRC2:USER_SGPR: 13
; COMPUTE_PGM_RSRC2:TRAP_HANDLER: 0
; COMPUTE_PGM_RSRC2:TGID_X_EN: 1
; COMPUTE_PGM_RSRC2:TGID_Y_EN: 1
; COMPUTE_PGM_RSRC2:TGID_Z_EN: 1
; COMPUTE_PGM_RSRC2:TIDIG_COMP_CNT: 0
	.section	.text._Z39paged_attention_ll4mi_QKV_mfma16_kernelIDF16_hLN4vllm18Fp8KVCacheDataTypeE1EDF16_Li32ELi64ELi256ELb1ELi7EL8MFMAType0EEvPKT_PKT0_S8_ifPKiSA_SA_iPKfiiiPfSD_PS3_PT2_iSC_SC_,"axG",@progbits,_Z39paged_attention_ll4mi_QKV_mfma16_kernelIDF16_hLN4vllm18Fp8KVCacheDataTypeE1EDF16_Li32ELi64ELi256ELb1ELi7EL8MFMAType0EEvPKT_PKT0_S8_ifPKiSA_SA_iPKfiiiPfSD_PS3_PT2_iSC_SC_,comdat
	.protected	_Z39paged_attention_ll4mi_QKV_mfma16_kernelIDF16_hLN4vllm18Fp8KVCacheDataTypeE1EDF16_Li32ELi64ELi256ELb1ELi7EL8MFMAType0EEvPKT_PKT0_S8_ifPKiSA_SA_iPKfiiiPfSD_PS3_PT2_iSC_SC_ ; -- Begin function _Z39paged_attention_ll4mi_QKV_mfma16_kernelIDF16_hLN4vllm18Fp8KVCacheDataTypeE1EDF16_Li32ELi64ELi256ELb1ELi7EL8MFMAType0EEvPKT_PKT0_S8_ifPKiSA_SA_iPKfiiiPfSD_PS3_PT2_iSC_SC_
	.globl	_Z39paged_attention_ll4mi_QKV_mfma16_kernelIDF16_hLN4vllm18Fp8KVCacheDataTypeE1EDF16_Li32ELi64ELi256ELb1ELi7EL8MFMAType0EEvPKT_PKT0_S8_ifPKiSA_SA_iPKfiiiPfSD_PS3_PT2_iSC_SC_
	.p2align	8
	.type	_Z39paged_attention_ll4mi_QKV_mfma16_kernelIDF16_hLN4vllm18Fp8KVCacheDataTypeE1EDF16_Li32ELi64ELi256ELb1ELi7EL8MFMAType0EEvPKT_PKT0_S8_ifPKiSA_SA_iPKfiiiPfSD_PS3_PT2_iSC_SC_,@function
_Z39paged_attention_ll4mi_QKV_mfma16_kernelIDF16_hLN4vllm18Fp8KVCacheDataTypeE1EDF16_Li32ELi64ELi256ELb1ELi7EL8MFMAType0EEvPKT_PKT0_S8_ifPKiSA_SA_iPKfiiiPfSD_PS3_PT2_iSC_SC_: ; @_Z39paged_attention_ll4mi_QKV_mfma16_kernelIDF16_hLN4vllm18Fp8KVCacheDataTypeE1EDF16_Li32ELi64ELi256ELb1ELi7EL8MFMAType0EEvPKT_PKT0_S8_ifPKiSA_SA_iPKfiiiPfSD_PS3_PT2_iSC_SC_
; %bb.0:
	s_load_b64 s[2:3], s[0:1], 0x30
	s_mov_b32 s34, s13
	s_waitcnt lgkmcnt(0)
	s_cmp_lg_u64 s[2:3], 0
	s_cselect_b32 s6, -1, 0
	s_ashr_i32 s35, s13, 31
	s_cmp_eq_u64 s[2:3], 0
	s_cbranch_scc1 .LBB1188_3
; %bb.1:
	s_lshl_b64 s[4:5], s[34:35], 2
	s_delay_alu instid0(SALU_CYCLE_1) | instskip(SKIP_4) | instid1(SALU_CYCLE_1)
	s_add_u32 s4, s2, s4
	s_addc_u32 s5, s3, s5
	s_load_b64 s[4:5], s[4:5], 0x0
	s_waitcnt lgkmcnt(0)
	s_sub_i32 s4, s5, s4
	s_cmp_eq_u32 s4, 1
	s_cselect_b32 s4, -1, 0
	s_delay_alu instid0(SALU_CYCLE_1)
	s_and_not1_b32 vcc_lo, exec_lo, s4
	s_cbranch_vccz .LBB1188_4
.LBB1188_2:
	s_nop 0
	s_sendmsg sendmsg(MSG_DEALLOC_VGPRS)
	s_endpgm
.LBB1188_3:
.LBB1188_4:
	s_load_b64 s[8:9], s[0:1], 0x28
	s_lshl_b64 s[4:5], s[34:35], 2
	s_waitcnt lgkmcnt(0)
	s_add_u32 s8, s8, s4
	s_addc_u32 s9, s9, s5
	s_lshl_b32 s16, s14, 8
	s_load_b32 s18, s[8:9], 0x0
	s_waitcnt lgkmcnt(0)
	s_cmp_ge_i32 s16, s18
	s_cbranch_scc1 .LBB1188_2
; %bb.5:
	s_clause 0x1
	s_load_b128 s[8:11], s[0:1], 0x8
	s_load_b64 s[12:13], s[0:1], 0x20
	s_and_not1_b32 vcc_lo, exec_lo, s6
	s_cbranch_vccnz .LBB1188_7
; %bb.6:
	s_add_u32 s2, s2, s4
	s_addc_u32 s3, s3, s5
	s_load_b32 s3, s[2:3], 0x0
	s_branch .LBB1188_8
.LBB1188_7:
	s_mov_b32 s3, s34
.LBB1188_8:
	s_load_b128 s[4:7], s[0:1], 0x48
	v_lshrrev_b32_e32 v69, 5, v0
	v_bfe_u32 v66, v0, 4, 1
	v_and_b32_e32 v68, 15, v0
	v_and_b32_e32 v70, 31, v0
	;; [unrolled: 1-line block ×3, first 2 shown]
	s_mul_i32 s33, s15, 7
	v_lshl_or_b32 v1, v69, 1, v66
	v_lshlrev_b32_e32 v2, 3, v68
	v_cmp_gt_u32_e64 s2, 8, v68
	s_delay_alu instid0(VALU_DEP_3) | instskip(NEXT) | instid1(VALU_DEP_3)
	v_cmp_gt_u32_e32 vcc_lo, 7, v1
	v_lshlrev_b32_e32 v65, 1, v2
	s_delay_alu instid0(VALU_DEP_3)
	s_and_b32 s17, s2, vcc_lo
	s_waitcnt lgkmcnt(0)
	s_and_saveexec_b32 s7, s17
	s_cbranch_execz .LBB1188_10
; %bb.9:
	s_load_b64 s[20:21], s[0:1], 0x0
	v_add_lshl_u32 v2, v1, s33, 6
	s_mul_hi_i32 s23, s3, s4
	s_mul_i32 s22, s3, s4
	v_lshlrev_b32_e32 v6, 10, v68
	s_lshl_b64 s[22:23], s[22:23], 1
	v_ashrrev_i32_e32 v3, 31, v2
	v_lshlrev_b32_e32 v1, 6, v1
	v_lshlrev_b32_e32 v7, 10, v67
	v_and_b32_e32 v6, 0x3800, v6
	s_delay_alu instid0(VALU_DEP_4) | instskip(NEXT) | instid1(VALU_DEP_2)
	v_lshlrev_b64 v[2:3], 1, v[2:3]
	v_or3_b32 v1, v6, v7, v1
	s_waitcnt lgkmcnt(0)
	s_add_u32 s3, s20, s22
	s_addc_u32 s4, s21, s23
	s_delay_alu instid0(VALU_DEP_2) | instskip(SKIP_1) | instid1(VALU_DEP_2)
	v_add_co_u32 v2, vcc_lo, s3, v2
	v_add_co_ci_u32_e32 v3, vcc_lo, s4, v3, vcc_lo
	v_add_co_u32 v2, vcc_lo, v2, v65
	s_delay_alu instid0(VALU_DEP_2)
	v_add_co_ci_u32_e32 v3, vcc_lo, 0, v3, vcc_lo
	global_load_b128 v[2:5], v[2:3], off
	s_waitcnt vmcnt(0)
	ds_store_b128 v1, v[2:5]
.LBB1188_10:
	s_or_b32 exec_lo, exec_lo, s7
	v_and_b32_e32 v1, 0xef, v0
	s_add_i32 s3, s18, 31
	s_clause 0x1
	s_load_b32 s4, s[0:1], 0x38
	s_load_b32 s35, s[0:1], 0x98
	s_ashr_i32 s7, s3, 31
	v_add_nc_u32_e32 v1, s16, v1
	s_lshr_b32 s7, s7, 27
	s_load_b32 s19, s[0:1], 0x1c
	s_add_i32 s3, s3, s7
	s_waitcnt lgkmcnt(0)
	v_ashrrev_i32_e32 v2, 31, v1
	v_or_b32_e32 v3, 16, v1
	s_ashr_i32 s3, s3, 5
	v_cmp_gt_i32_e32 vcc_lo, s18, v1
	s_add_i32 s3, s3, -1
	v_lshrrev_b32_e32 v2, 27, v2
	s_barrier
	buffer_gl0_inv
	s_mul_i32 s15, s15, s6
	v_mul_lo_u16 v103, v68, 37
	v_add_nc_u32_e32 v4, v1, v2
	v_mbcnt_lo_u32_b32 v127, -1, 0
	s_mul_i32 s20, s34, s4
	s_delay_alu instid0(SALU_CYCLE_1) | instskip(NEXT) | instid1(VALU_DEP_2)
	s_ashr_i32 s21, s20, 31
	v_ashrrev_i32_e32 v4, 5, v4
	v_add_nc_u32_e32 v2, v3, v2
	s_lshl_b64 s[20:21], s[20:21], 2
	v_lshrrev_b16 v103, 8, v103
	s_add_u32 s17, s12, s20
	v_cndmask_b32_e32 v1, s3, v4, vcc_lo
	v_ashrrev_i32_e32 v2, 5, v2
	v_cmp_gt_i32_e32 vcc_lo, s18, v3
	s_addc_u32 s13, s13, s21
	s_ashr_i32 s20, s15, 31
	s_add_u32 s22, s8, s15
	s_addc_u32 s23, s9, s20
	v_cndmask_b32_e32 v3, s3, v2, vcc_lo
	v_ashrrev_i32_e32 v2, 31, v1
	s_lshl_b32 s6, s14, 3
	v_mul_lo_u16 v103, v103, 7
	s_ashr_i32 s7, s6, 31
	v_ashrrev_i32_e32 v4, 31, v3
	v_lshlrev_b64 v[1:2], 2, v[1:2]
	s_lshl_b64 s[6:7], s[6:7], 2
	v_sub_nc_u16 v103, v68, v103
	s_add_u32 s6, s17, s6
	v_lshlrev_b64 v[3:4], 2, v[3:4]
	s_addc_u32 s7, s13, s7
	v_add_co_u32 v1, vcc_lo, s17, v1
	v_add_co_ci_u32_e32 v2, vcc_lo, s13, v2, vcc_lo
	s_delay_alu instid0(VALU_DEP_3) | instskip(NEXT) | instid1(VALU_DEP_4)
	v_add_co_u32 v3, vcc_lo, s17, v3
	v_add_co_ci_u32_e32 v4, vcc_lo, s13, v4, vcc_lo
	s_clause 0x1
	global_load_b32 v5, v[1:2], off
	global_load_b32 v6, v[3:4], off
	s_or_b32 s4, s16, 32
	v_xor_b32_e32 v128, 16, v127
	s_ashr_i32 s8, s4, 5
	s_cmp_lt_i32 s4, s18
	s_cselect_b32 s8, s8, s3
	s_delay_alu instid0(SALU_CYCLE_1) | instskip(NEXT) | instid1(SALU_CYCLE_1)
	s_ashr_i32 s9, s8, 31
	s_lshl_b64 s[8:9], s[8:9], 2
	s_delay_alu instid0(SALU_CYCLE_1) | instskip(SKIP_2) | instid1(SALU_CYCLE_1)
	s_add_u32 s8, s17, s8
	s_addc_u32 s9, s13, s9
	s_or_b32 s4, s16, 64
	s_ashr_i32 s12, s4, 5
	s_cmp_lt_i32 s4, s18
	s_cselect_b32 s24, s12, s3
	s_delay_alu instid0(SALU_CYCLE_1) | instskip(NEXT) | instid1(SALU_CYCLE_1)
	s_ashr_i32 s25, s24, 31
	s_lshl_b64 s[24:25], s[24:25], 2
	s_delay_alu instid0(SALU_CYCLE_1) | instskip(SKIP_2) | instid1(SALU_CYCLE_1)
	s_add_u32 s24, s17, s24
	s_addc_u32 s25, s13, s25
	s_or_b32 s4, s16, 0x60
	s_ashr_i32 s12, s4, 5
	s_cmp_lt_i32 s4, s18
	s_cselect_b32 s26, s12, s3
	s_delay_alu instid0(SALU_CYCLE_1) | instskip(NEXT) | instid1(SALU_CYCLE_1)
	s_ashr_i32 s27, s26, 31
	s_lshl_b64 s[26:27], s[26:27], 2
	s_delay_alu instid0(SALU_CYCLE_1) | instskip(SKIP_2) | instid1(SALU_CYCLE_1)
	s_add_u32 s26, s17, s26
	s_addc_u32 s27, s13, s27
	s_or_b32 s4, s16, 0x80
	s_ashr_i32 s12, s4, 5
	s_cmp_lt_i32 s4, s18
	s_cselect_b32 s28, s12, s3
	s_delay_alu instid0(SALU_CYCLE_1) | instskip(NEXT) | instid1(SALU_CYCLE_1)
	s_ashr_i32 s29, s28, 31
	s_lshl_b64 s[28:29], s[28:29], 2
	s_delay_alu instid0(SALU_CYCLE_1) | instskip(SKIP_2) | instid1(SALU_CYCLE_1)
	s_add_u32 s28, s17, s28
	s_addc_u32 s29, s13, s29
	s_or_b32 s4, s16, 0xa0
	s_ashr_i32 s12, s4, 5
	s_cmp_lt_i32 s4, s18
	s_cselect_b32 s30, s12, s3
	s_delay_alu instid0(SALU_CYCLE_1) | instskip(NEXT) | instid1(SALU_CYCLE_1)
	s_ashr_i32 s31, s30, 31
	s_lshl_b64 s[30:31], s[30:31], 2
	s_delay_alu instid0(SALU_CYCLE_1)
	s_add_u32 s30, s17, s30
	s_addc_u32 s31, s13, s31
	s_clause 0x5
	s_load_b32 s12, s[6:7], 0x0
	s_load_b32 s4, s[8:9], 0x0
	;; [unrolled: 1-line block ×6, first 2 shown]
	s_or_b32 s21, s16, 0xc0
	s_waitcnt vmcnt(1)
	v_mad_i64_i32 v[1:2], null, v5, s5, s[22:23]
	v_lshlrev_b32_e32 v5, 4, v68
	s_waitcnt vmcnt(0)
	v_mad_i64_i32 v[3:4], null, v6, s5, s[22:23]
	s_ashr_i32 s22, s21, 5
	s_cmp_lt_i32 s21, s18
	s_delay_alu instid0(VALU_DEP_3) | instskip(NEXT) | instid1(VALU_DEP_4)
	v_add_co_u32 v1, vcc_lo, v1, v5
	v_add_co_ci_u32_e32 v2, vcc_lo, 0, v2, vcc_lo
	s_delay_alu instid0(VALU_DEP_3) | instskip(NEXT) | instid1(VALU_DEP_4)
	v_add_co_u32 v3, vcc_lo, v3, v5
	v_add_co_ci_u32_e32 v4, vcc_lo, 0, v4, vcc_lo
	s_clause 0x7
	global_load_b128 v[71:74], v[1:2], off
	global_load_b128 v[75:78], v[1:2], off offset:512
	global_load_b128 v[79:82], v[3:4], off offset:256
	;; [unrolled: 1-line block ×7, first 2 shown]
	s_cselect_b32 s22, s22, s3
	v_lshlrev_b32_e32 v1, 5, v68
	s_ashr_i32 s23, s22, 31
	v_cmp_gt_i32_e32 vcc_lo, 32, v128
	s_lshl_b64 s[22:23], s[22:23], 2
	v_and_b32_e32 v103, 0xff, v103
	s_add_u32 s22, s17, s22
	s_addc_u32 s23, s13, s23
	v_cndmask_b32_e32 v136, v127, v128, vcc_lo
	s_or_b32 s21, s16, 0xe0
	v_lshl_or_b32 v1, v69, 9, v1
	s_ashr_i32 s24, s21, 5
	s_cmp_lt_i32 s21, s18
	v_lshlrev_b32_e32 v115, 6, v103
	s_cselect_b32 s24, s24, s3
	s_load_b32 s3, s[22:23], 0x0
	s_ashr_i32 s25, s24, 31
	s_delay_alu instid0(SALU_CYCLE_1) | instskip(NEXT) | instid1(SALU_CYCLE_1)
	s_lshl_b64 s[24:25], s[24:25], 2
	s_add_u32 s22, s17, s24
	s_addc_u32 s23, s13, s25
	s_add_u32 s10, s10, s15
	s_addc_u32 s11, s11, s20
	v_add_co_u32 v1, s10, s10, v1
	s_delay_alu instid0(VALU_DEP_1) | instskip(SKIP_2) | instid1(VALU_DEP_1)
	v_add_co_ci_u32_e64 v2, null, s11, 0, s10
	s_load_b32 s10, s[22:23], 0x0
	s_waitcnt lgkmcnt(0)
	v_mad_i64_i32 v[3:4], null, s12, s5, v[1:2]
	v_mad_i64_i32 v[9:10], null, s7, s5, v[1:2]
	;; [unrolled: 1-line block ×7, first 2 shown]
	s_clause 0x5
	global_load_b128 v[49:52], v[3:4], off
	global_load_b128 v[53:56], v[3:4], off offset:16
	global_load_b128 v[41:44], v[5:6], off
	global_load_b128 v[45:48], v[5:6], off offset:16
	global_load_b128 v[33:36], v[7:8], off
	global_load_b128 v[37:40], v[7:8], off offset:16
	s_mov_b32 s4, 0
	v_mad_i64_i32 v[61:62], null, s10, s5, v[1:2]
	s_clause 0x9
	global_load_b128 v[1:4], v[9:10], off
	global_load_b128 v[5:8], v[9:10], off offset:16
	global_load_b128 v[9:12], v[13:14], off
	global_load_b128 v[13:16], v[13:14], off offset:16
	global_load_b128 v[17:20], v[21:22], off
	global_load_b128 v[21:24], v[21:22], off offset:16
	global_load_b128 v[25:28], v[29:30], off
	global_load_b128 v[29:32], v[29:30], off offset:16
	global_load_b128 v[57:60], v[61:62], off
	global_load_b128 v[61:64], v[61:62], off offset:16
	s_mov_b32 s5, s4
	s_mov_b32 s6, s4
	;; [unrolled: 1-line block ×7, first 2 shown]
	v_and_b32_e32 v104, 0xe0, v0
	v_dual_mov_b32 v126, s11 :: v_dual_mov_b32 v123, s8
	v_dual_mov_b32 v125, s10 :: v_dual_mov_b32 v124, s9
	s_delay_alu instid0(VALU_DEP_3)
	v_add_nc_u32_e32 v111, s16, v104
	ds_load_b128 v[103:106], v115
	ds_load_b128 v[107:110], v115 offset:1024
	v_dual_mov_b32 v122, s7 :: v_dual_mov_b32 v121, s6
	v_mov_b32_e32 v120, s5
	v_or_b32_e32 v135, v111, v66
	ds_load_b128 v[111:114], v115 offset:2048
	ds_load_b128 v[115:118], v115 offset:3072
	v_mov_b32_e32 v119, s4
	s_waitcnt vmcnt(0) lgkmcnt(0)
	s_barrier
	v_or_b32_e32 v137, 2, v135
	v_or_b32_e32 v138, 4, v135
	;; [unrolled: 1-line block ×3, first 2 shown]
	v_cmp_gt_i32_e32 vcc_lo, s18, v135
	v_or_b32_e32 v140, 8, v135
	v_cmp_gt_i32_e64 s3, s18, v137
	v_or_b32_e32 v141, 10, v135
	v_cmp_gt_i32_e64 s4, s18, v138
	v_cmp_gt_i32_e64 s5, s18, v139
	v_or_b32_e32 v142, 12, v135
	v_or_b32_e32 v143, 14, v135
	v_cmp_gt_i32_e64 s6, s18, v140
	v_cmp_gt_i32_e64 s7, s18, v141
	v_or_b32_e32 v144, 16, v135
	v_or_b32_e32 v145, 18, v135
	v_cmp_gt_i32_e64 s8, s18, v142
	v_cmp_gt_i32_e64 s9, s18, v143
	buffer_gl0_inv
	v_cmp_gt_i32_e64 s10, s18, v144
	v_cmp_gt_i32_e64 s11, s18, v145
	v_wmma_f32_16x16x16_f16 v[127:134], v[71:78], v[103:110], v[119:126]
	v_wmma_f32_16x16x16_f16 v[119:126], v[79:86], v[103:110], v[119:126]
	v_or_b32_e32 v71, 20, v135
	v_or_b32_e32 v72, 22, v135
	s_delay_alu instid0(VALU_DEP_4)
	v_wmma_f32_16x16x16_f16 v[127:134], v[87:94], v[111:118], v[127:134]
	v_or_b32_e32 v73, 24, v135
	v_wmma_f32_16x16x16_f16 v[119:126], v[95:102], v[111:118], v[119:126]
	v_or_b32_e32 v74, 26, v135
	v_cmp_gt_i32_e64 s12, s18, v71
	v_dual_mul_f32 v84, s19, v127 :: v_dual_mul_f32 v83, s19, v128
	s_delay_alu instid0(VALU_DEP_4) | instskip(SKIP_2) | instid1(VALU_DEP_4)
	v_dual_mul_f32 v92, s19, v119 :: v_dual_mul_f32 v81, s19, v130
	v_mul_f32_e32 v90, s19, v121
	v_mul_f32_e32 v82, s19, v129
	v_cndmask_b32_e32 v84, 0xff7fffff, v84, vcc_lo
	v_cndmask_b32_e64 v83, 0xff7fffff, v83, s3
	v_dual_mul_f32 v79, s19, v132 :: v_dual_mul_f32 v88, s19, v123
	v_mul_f32_e32 v80, s19, v131
	v_cndmask_b32_e64 v82, 0xff7fffff, v82, s4
	v_cndmask_b32_e64 v81, 0xff7fffff, v81, s5
	v_max3_f32 v83, v84, 0xff7fffff, v83
	v_dual_mul_f32 v77, s19, v134 :: v_dual_mul_f32 v86, s19, v125
	v_mul_f32_e32 v78, s19, v133
	v_cndmask_b32_e64 v80, 0xff7fffff, v80, s6
	v_cndmask_b32_e64 v79, 0xff7fffff, v79, s7
	v_max3_f32 v81, v83, v82, v81
	v_mul_f32_e32 v91, s19, v120
	v_cndmask_b32_e64 v78, 0xff7fffff, v78, s8
	v_cndmask_b32_e64 v77, 0xff7fffff, v77, s9
	v_mul_f32_e32 v89, s19, v122
	v_max3_f32 v79, v81, v80, v79
	v_cndmask_b32_e64 v80, 0xff7fffff, v92, s10
	v_cndmask_b32_e64 v81, 0xff7fffff, v91, s11
	v_cmp_gt_i32_e64 s13, s18, v72
	v_or_b32_e32 v75, 28, v135
	v_max3_f32 v77, v79, v78, v77
	v_or_b32_e32 v76, 30, v135
	v_mul_f32_e32 v87, s19, v124
	v_cndmask_b32_e64 v71, 0xff7fffff, v90, s12
	v_cndmask_b32_e64 v72, 0xff7fffff, v89, s13
	v_max3_f32 v77, v77, v80, v81
	v_cmp_gt_i32_e64 s15, s18, v73
	v_cmp_gt_i32_e64 s16, s18, v74
	v_mul_f32_e32 v85, s19, v126
	v_cmp_gt_i32_e64 s17, s18, v75
	v_max3_f32 v71, v77, v71, v72
	v_cndmask_b32_e64 v73, 0xff7fffff, v88, s15
	v_cndmask_b32_e64 v74, 0xff7fffff, v87, s16
	v_cmp_gt_i32_e64 s18, s18, v76
	v_cndmask_b32_e64 v72, 0xff7fffff, v86, s17
	s_delay_alu instid0(VALU_DEP_3) | instskip(NEXT) | instid1(VALU_DEP_3)
	v_max3_f32 v71, v71, v73, v74
	v_cndmask_b32_e64 v75, 0xff7fffff, v85, s18
	v_lshlrev_b32_e32 v73, 2, v136
	s_delay_alu instid0(VALU_DEP_2) | instskip(SKIP_3) | instid1(VALU_DEP_1)
	v_max3_f32 v71, v71, v72, v75
	ds_bpermute_b32 v72, v73, v71
	s_waitcnt lgkmcnt(0)
	v_max_f32_e32 v72, v72, v72
	v_max_f32_e32 v71, v71, v72
	s_delay_alu instid0(VALU_DEP_1) | instskip(SKIP_2) | instid1(VALU_DEP_3)
	v_fma_f32 v72, s19, v127, -v71
	v_fma_f32 v74, s19, v128, -v71
	;; [unrolled: 1-line block ×3, first 2 shown]
	v_mul_f32_e32 v72, 0x3fb8aa3b, v72
	s_delay_alu instid0(VALU_DEP_2) | instskip(NEXT) | instid1(VALU_DEP_2)
	v_dual_mul_f32 v74, 0x3fb8aa3b, v74 :: v_dual_mul_f32 v75, 0x3fb8aa3b, v75
	v_exp_f32_e32 v72, v72
	s_delay_alu instid0(VALU_DEP_1) | instskip(NEXT) | instid1(VALU_DEP_1)
	v_exp_f32_e32 v74, v74
	v_exp_f32_e32 v75, v75
	s_delay_alu instid0(TRANS32_DEP_3)
	v_cndmask_b32_e32 v79, 0, v72, vcc_lo
	s_waitcnt_depctr 0xfff
	v_cndmask_b32_e64 v78, 0, v74, s3
	v_cndmask_b32_e64 v81, 0, v75, s4
	v_cmp_gt_u32_e64 s3, 16, v70
	v_add_f32_e32 v74, 0, v79
	s_delay_alu instid0(VALU_DEP_1) | instskip(NEXT) | instid1(VALU_DEP_1)
	v_add_f32_e32 v74, v74, v78
	v_add_f32_e32 v74, v74, v81
	v_fma_f32 v76, s19, v130, -v71
	v_fma_f32 v77, s19, v131, -v71
	;; [unrolled: 1-line block ×5, first 2 shown]
	s_delay_alu instid0(VALU_DEP_4) | instskip(NEXT) | instid1(VALU_DEP_4)
	v_dual_mul_f32 v76, 0x3fb8aa3b, v76 :: v_dual_mul_f32 v77, 0x3fb8aa3b, v77
	v_mul_f32_e32 v72, 0x3fb8aa3b, v72
	s_delay_alu instid0(VALU_DEP_4) | instskip(SKIP_1) | instid1(VALU_DEP_4)
	v_mul_f32_e32 v82, 0x3fb8aa3b, v80
	v_fma_f32 v86, s19, v122, -v71
	v_exp_f32_e32 v76, v76
	v_exp_f32_e32 v77, v77
	;; [unrolled: 1-line block ×4, first 2 shown]
	v_mul_f32_e32 v86, 0x3fb8aa3b, v86
	s_delay_alu instid0(VALU_DEP_1)
	v_exp_f32_e32 v88, v86
	v_cndmask_b32_e64 v80, 0, v76, s5
	v_mul_f32_e32 v75, 0x3fb8aa3b, v75
	v_fma_f32 v76, s19, v119, -v71
	v_cndmask_b32_e64 v83, 0, v77, s6
	v_fma_f32 v77, s19, v120, -v71
	v_add_f32_e32 v74, v74, v80
	v_exp_f32_e32 v75, v75
	v_mul_f32_e32 v76, 0x3fb8aa3b, v76
	v_cndmask_b32_e64 v82, 0, v72, s7
	s_delay_alu instid0(VALU_DEP_3) | instskip(SKIP_1) | instid1(VALU_DEP_4)
	v_dual_mul_f32 v77, 0x3fb8aa3b, v77 :: v_dual_add_f32 v72, v74, v83
	v_fma_f32 v74, s19, v121, -v71
	v_exp_f32_e32 v76, v76
	v_cndmask_b32_e64 v85, 0, v84, s8
	s_delay_alu instid0(VALU_DEP_3) | instskip(SKIP_1) | instid1(TRANS32_DEP_3)
	v_exp_f32_e32 v77, v77
	v_cndmask_b32_e64 v88, 0, v88, s13
	v_cndmask_b32_e64 v84, 0, v75, s9
	v_fma_f32 v75, s19, v123, -v71
	v_add_f32_e32 v72, v72, v82
	s_delay_alu instid0(VALU_DEP_2) | instskip(NEXT) | instid1(VALU_DEP_2)
	v_dual_mul_f32 v74, 0x3fb8aa3b, v74 :: v_dual_mul_f32 v75, 0x3fb8aa3b, v75
	v_add_f32_e32 v72, v72, v85
	s_delay_alu instid0(VALU_DEP_2)
	v_exp_f32_e32 v74, v74
	v_cndmask_b32_e64 v87, 0, v76, s10
	v_fma_f32 v76, s19, v124, -v71
	v_cndmask_b32_e64 v86, 0, v77, s11
	v_add_f32_e32 v72, v72, v84
	v_fma_f32 v77, s19, v125, -v71
	v_exp_f32_e32 v75, v75
	v_mul_f32_e32 v76, 0x3fb8aa3b, v76
	s_delay_alu instid0(VALU_DEP_3) | instskip(NEXT) | instid1(TRANS32_DEP_2)
	v_add_f32_e32 v72, v72, v87
	v_cndmask_b32_e64 v89, 0, v74, s12
	v_mul_f32_e32 v74, 0x3fb8aa3b, v77
	s_delay_alu instid0(VALU_DEP_4) | instskip(SKIP_2) | instid1(VALU_DEP_3)
	v_exp_f32_e32 v76, v76
	v_fma_f32 v77, s19, v126, -v71
	v_add_f32_e32 v72, v72, v86
	v_exp_f32_e32 v74, v74
	s_delay_alu instid0(TRANS32_DEP_3) | instskip(NEXT) | instid1(VALU_DEP_3)
	v_cndmask_b32_e64 v91, 0, v75, s15
	v_mul_f32_e32 v75, 0x3fb8aa3b, v77
	s_delay_alu instid0(VALU_DEP_3) | instskip(NEXT) | instid1(TRANS32_DEP_2)
	v_add_f32_e32 v72, v72, v89
	v_cndmask_b32_e64 v90, 0, v76, s16
	s_delay_alu instid0(VALU_DEP_3) | instskip(NEXT) | instid1(VALU_DEP_2)
	v_exp_f32_e32 v75, v75
	v_add_f32_e32 v72, v72, v88
	s_delay_alu instid0(TRANS32_DEP_2) | instskip(NEXT) | instid1(VALU_DEP_2)
	v_cndmask_b32_e64 v93, 0, v74, s17
	v_add_f32_e32 v72, v72, v91
	s_waitcnt_depctr 0xfff
	v_cndmask_b32_e64 v92, 0, v75, s18
	v_add_f32_e32 v72, v72, v90
	s_delay_alu instid0(VALU_DEP_1) | instskip(NEXT) | instid1(VALU_DEP_1)
	v_add_f32_e32 v72, v72, v93
	v_add_f32_e32 v72, v72, v92
	ds_bpermute_b32 v73, v73, v72
	s_and_saveexec_b32 s4, s3
	s_cbranch_execz .LBB1188_12
; %bb.11:
	v_mul_u32_u24_e32 v70, 0x44, v69
	s_waitcnt lgkmcnt(0)
	v_add_f32_e32 v72, v72, v73
	s_delay_alu instid0(VALU_DEP_2) | instskip(NEXT) | instid1(VALU_DEP_1)
	v_lshl_add_u32 v70, v68, 2, v70
	v_add_nc_u32_e32 v70, 0x4000, v70
	ds_store_2addr_b32 v70, v71, v72 offset1:136
.LBB1188_12:
	s_or_b32 exec_lo, exec_lo, s4
	v_lshlrev_b32_e32 v70, 2, v68
	s_load_b32 s36, s[0:1], 0x94
	s_waitcnt lgkmcnt(0)
	s_barrier
	buffer_gl0_inv
	v_add_nc_u32_e32 v98, 0x4000, v70
	v_cmp_eq_u32_e32 vcc_lo, 1, v69
	v_cmp_eq_u32_e64 s4, 2, v69
	v_cmp_eq_u32_e64 s5, 3, v69
	;; [unrolled: 1-line block ×3, first 2 shown]
	ds_load_2addr_b32 v[70:71], v98 offset1:17
	ds_load_2addr_b32 v[72:73], v98 offset0:34 offset1:51
	ds_load_2addr_b32 v[74:75], v98 offset0:68 offset1:85
	;; [unrolled: 1-line block ×3, first 2 shown]
	v_cmp_eq_u32_e64 s7, 5, v69
	v_cmp_eq_u32_e64 s8, 7, v69
	s_waitcnt lgkmcnt(3)
	v_max3_f32 v76, v70, 0xff7fffff, v71
	s_waitcnt lgkmcnt(2)
	s_delay_alu instid0(VALU_DEP_1) | instskip(SKIP_1) | instid1(VALU_DEP_1)
	v_max3_f32 v76, v76, v72, v73
	s_waitcnt lgkmcnt(1)
	v_max3_f32 v76, v76, v74, v75
	s_waitcnt lgkmcnt(0)
	s_delay_alu instid0(VALU_DEP_1) | instskip(NEXT) | instid1(VALU_DEP_1)
	v_max3_f32 v76, v76, v94, v95
	v_sub_f32_e32 v77, v71, v76
	ds_load_2addr_b32 v[96:97], v98 offset0:136 offset1:153
	v_sub_f32_e32 v74, v74, v76
	v_sub_f32_e32 v70, v70, v76
	v_sub_f32_e32 v94, v94, v76
	v_dual_sub_f32 v72, v72, v76 :: v_dual_mul_f32 v77, 0x3fb8aa3b, v77
	s_delay_alu instid0(VALU_DEP_4) | instskip(NEXT) | instid1(VALU_DEP_4)
	v_mul_f32_e32 v103, 0x3fb8aa3b, v74
	v_mul_f32_e32 v99, 0x3fb8aa3b, v70
	ds_load_2addr_b32 v[70:71], v98 offset0:170 offset1:187
	v_dual_mul_f32 v101, 0x3fb8aa3b, v72 :: v_dual_mul_f32 v94, 0x3fb8aa3b, v94
	v_exp_f32_e32 v102, v77
	v_exp_f32_e32 v99, v99
	s_delay_alu instid0(VALU_DEP_1) | instskip(NEXT) | instid1(VALU_DEP_1)
	v_exp_f32_e32 v101, v101
	v_exp_f32_e32 v94, v94
	s_waitcnt lgkmcnt(1)
	s_delay_alu instid0(TRANS32_DEP_3)
	v_fma_f32 v77, v99, v96, 0
	v_sub_f32_e32 v100, v73, v76
	ds_load_2addr_b32 v[72:73], v98 offset0:204 offset1:221
	v_fmac_f32_e32 v77, v102, v97
	v_exp_f32_e32 v97, v103
	s_waitcnt lgkmcnt(1)
	s_delay_alu instid0(VALU_DEP_1)
	v_dual_fmac_f32 v77, v101, v70 :: v_dual_sub_f32 v96, v75, v76
	ds_load_2addr_b32 v[74:75], v98 offset0:238 offset1:255
	v_sub_f32_e32 v70, v95, v76
	s_waitcnt lgkmcnt(0)
	s_barrier
	v_mul_f32_e32 v96, 0x3fb8aa3b, v96
	buffer_gl0_inv
	v_exp_f32_e32 v95, v96
	v_mul_f32_e32 v100, 0x3fb8aa3b, v100
	s_delay_alu instid0(VALU_DEP_1) | instskip(SKIP_3) | instid1(VALU_DEP_2)
	v_exp_f32_e32 v100, v100
	s_waitcnt_depctr 0xfff
	v_dual_fmac_f32 v77, v100, v71 :: v_dual_mul_f32 v70, 0x3fb8aa3b, v70
	v_cndmask_b32_e32 v71, v99, v102, vcc_lo
	v_fmac_f32_e32 v77, v97, v72
	s_delay_alu instid0(VALU_DEP_3) | instskip(NEXT) | instid1(VALU_DEP_1)
	v_exp_f32_e32 v96, v70
	v_fmac_f32_e32 v77, v95, v73
	s_delay_alu instid0(VALU_DEP_1) | instskip(SKIP_2) | instid1(VALU_DEP_1)
	v_fmac_f32_e32 v77, v94, v74
	s_waitcnt_depctr 0xfff
	v_fmac_f32_e32 v77, v96, v75
	v_add_f32_e32 v74, 0x358637bd, v77
	s_delay_alu instid0(VALU_DEP_1) | instskip(SKIP_1) | instid1(VALU_DEP_2)
	v_div_scale_f32 v98, null, v74, v74, 1.0
	v_div_scale_f32 v99, vcc_lo, 1.0, v74, 1.0
	v_rcp_f32_e32 v103, v98
	s_waitcnt_depctr 0xfff
	v_fma_f32 v70, -v98, v103, 1.0
	s_delay_alu instid0(VALU_DEP_1) | instskip(SKIP_2) | instid1(VALU_DEP_2)
	v_fmac_f32_e32 v103, v70, v103
	v_cndmask_b32_e64 v70, v71, v101, s4
	v_cmp_eq_u32_e64 s4, 6, v69
	v_cndmask_b32_e64 v71, v70, v100, s5
	s_delay_alu instid0(VALU_DEP_4) | instskip(NEXT) | instid1(VALU_DEP_2)
	v_dual_mul_f32 v101, v99, v103 :: v_dual_lshlrev_b32 v70, 2, v66
	v_cndmask_b32_e64 v71, v71, v97, s6
	s_delay_alu instid0(VALU_DEP_2) | instskip(NEXT) | instid1(VALU_DEP_3)
	v_or_b32_e32 v72, 1, v70
	v_fma_f32 v100, -v98, v101, v99
	v_cmp_eq_u32_e64 s5, 1, v70
	v_cmp_eq_u32_e64 s6, 2, v70
	v_cndmask_b32_e64 v95, v71, v95, s7
	v_or_b32_e32 v71, 3, v70
	v_fmac_f32_e32 v101, v100, v103
	v_cmp_eq_u32_e64 s10, 1, v72
	v_cmp_eq_u32_e64 s13, 2, v72
	v_cndmask_b32_e64 v94, v95, v94, s4
	v_cmp_eq_u32_e64 s12, 1, v71
	v_fma_f32 v97, -v98, v101, v99
	v_cmp_eq_u32_e64 s17, 2, v71
	v_cmp_eq_u32_e64 s15, 3, v72
	v_cndmask_b32_e64 v94, v94, v96, s8
	v_cmp_eq_u32_e64 s19, 3, v71
	v_div_fmas_f32 v95, v97, v103, v101
	v_cmp_eq_u32_e32 vcc_lo, 3, v70
	v_cmp_eq_u32_e64 s4, 4, v70
	v_cmp_eq_u32_e64 s20, 4, v72
	;; [unrolled: 1-line block ×3, first 2 shown]
	v_div_fixup_f32 v95, v95, v74, 1.0
	v_lshlrev_b32_e32 v73, 6, v68
	v_cmp_eq_u32_e64 s7, 5, v70
	v_cmp_eq_u32_e64 s21, 5, v72
	;; [unrolled: 1-line block ×3, first 2 shown]
	v_mul_f32_e32 v102, v94, v95
	v_lshl_or_b32 v75, v69, 11, v73
	v_or_b32_e32 v69, 2, v70
	v_cmp_eq_u32_e64 s26, 6, v72
	v_cmp_eq_u32_e64 s28, 6, v71
	v_fma_mixlo_f16 v94, v102, v79, 0
	v_fma_mixlo_f16 v95, v102, v81, 0
	;; [unrolled: 1-line block ×8, first 2 shown]
	v_lshl_or_b32 v74, v66, 4, v75
	v_fma_mixhi_f16 v94, v102, v78, 0
	v_fma_mixhi_f16 v95, v102, v80, 0
	;; [unrolled: 1-line block ×8, first 2 shown]
	ds_store_b128 v74, v[94:97]
	ds_store_b128 v74, v[98:101] offset:1024
	s_waitcnt lgkmcnt(0)
	s_barrier
	buffer_gl0_inv
	ds_load_b128 v[78:81], v75
	ds_load_b128 v[82:85], v75 offset:16
	ds_load_b128 v[86:89], v75 offset:1024
	;; [unrolled: 1-line block ×3, first 2 shown]
	v_cmp_eq_u32_e64 s11, 1, v69
	v_cmp_eq_u32_e64 s16, 2, v69
	;; [unrolled: 1-line block ×11, first 2 shown]
	s_waitcnt lgkmcnt(3)
	v_lshrrev_b32_e32 v94, 16, v78
	s_waitcnt lgkmcnt(2)
	v_lshrrev_b32_e32 v98, 16, v82
	;; [unrolled: 2-line block ×4, first 2 shown]
	v_lshrrev_b32_e32 v95, 16, v79
	v_cndmask_b32_e64 v110, v78, v94, s5
	v_cndmask_b32_e64 v111, v82, v98, s5
	;; [unrolled: 1-line block ×8, first 2 shown]
	v_lshrrev_b32_e32 v99, 16, v83
	v_cndmask_b32_e64 v94, v86, v102, s5
	v_cndmask_b32_e64 v98, v90, v106, s5
	;; [unrolled: 1-line block ×15, first 2 shown]
	v_lshrrev_b32_e32 v103, 16, v87
	v_lshrrev_b32_e32 v107, 16, v91
	v_cndmask_b32_e64 v113, v115, v83, s16
	v_cndmask_b32_e64 v82, v94, v87, s6
	;; [unrolled: 1-line block ×7, first 2 shown]
	v_cndmask_b32_e32 v90, v102, v95, vcc_lo
	v_cndmask_b32_e32 v102, v106, v99, vcc_lo
	v_cndmask_b32_e64 v106, v110, v95, s15
	v_cndmask_b32_e64 v110, v111, v99, s15
	;; [unrolled: 1-line block ×4, first 2 shown]
	v_lshrrev_b32_e32 v96, 16, v80
	v_lshrrev_b32_e32 v100, 16, v84
	v_cndmask_b32_e64 v111, v112, v95, s18
	v_cndmask_b32_e64 v112, v113, v99, s18
	v_cndmask_b32_e32 v82, v82, v103, vcc_lo
	v_cndmask_b32_e32 v83, v83, v107, vcc_lo
	v_cndmask_b32_e64 v94, v94, v103, s15
	v_cndmask_b32_e64 v90, v90, v80, s4
	;; [unrolled: 1-line block ×7, first 2 shown]
	v_lshrrev_b32_e32 v104, 16, v88
	v_cndmask_b32_e64 v106, v111, v80, s22
	v_cndmask_b32_e64 v110, v112, v84, s22
	;; [unrolled: 1-line block ×11, first 2 shown]
	v_lshrrev_b32_e32 v97, 16, v81
	v_lshrrev_b32_e32 v101, 16, v85
	v_cndmask_b32_e64 v99, v106, v96, s24
	v_cndmask_b32_e64 v102, v110, v100, s24
	;; [unrolled: 1-line block ×7, first 2 shown]
	v_lshrrev_b32_e32 v105, 16, v89
	v_cndmask_b32_e64 v80, v80, v104, s7
	v_cndmask_b32_e64 v84, v84, v81, s8
	;; [unrolled: 1-line block ×16, first 2 shown]
	v_perm_b32 v81, v79, v78, 0x5040100
	v_perm_b32 v79, v95, v85, 0x5040100
	v_cndmask_b32_e64 v78, v119, v91, s16
	v_cndmask_b32_e64 v85, v117, v91, s13
	;; [unrolled: 1-line block ×3, first 2 shown]
	v_perm_b32 v80, v94, v90, 0x5040100
	v_cndmask_b32_e64 v90, v98, v103, s18
	v_cndmask_b32_e64 v86, v86, v103, s19
	;; [unrolled: 1-line block ×5, first 2 shown]
	v_lshrrev_b32_e32 v108, 16, v92
	v_cndmask_b32_e64 v90, v90, v88, s22
	v_cndmask_b32_e64 v86, v86, v88, s23
	;; [unrolled: 1-line block ×11, first 2 shown]
	v_lshrrev_b32_e32 v109, 16, v93
	v_cndmask_b32_e64 v82, v82, v93, s8
	v_cndmask_b32_e64 v88, v88, v89, s27
	v_cndmask_b32_e64 v86, v86, v89, s28
	v_cndmask_b32_e64 v87, v87, v93, s28
	v_cndmask_b32_e64 v78, v78, v93, s27
	v_cndmask_b32_e64 v85, v85, v93, s26
	v_cndmask_b32_e64 v88, v88, v105, s29
	v_cndmask_b32_e64 v86, v86, v105, s30
	v_cndmask_b32_e64 v87, v87, v109, s30
	v_cndmask_b32_e64 v89, v78, v109, s29
	v_cndmask_b32_e64 v90, v85, v109, s31
	v_cndmask_b32_e64 v82, v82, v109, s9
	v_perm_b32 v78, v84, v83, 0x5040100
	v_perm_b32 v85, v87, v86, 0x5040100
	;; [unrolled: 1-line block ×5, first 2 shown]
	s_mul_i32 s9, s35, 7
	s_mov_b32 s4, exec_lo
	ds_store_b128 v74, v[78:81]
	ds_store_b128 v74, v[82:85] offset:1024
	v_cmpx_gt_u32_e32 7, v0
	s_cbranch_execz .LBB1188_14
; %bb.13:
	s_mul_i32 s5, s9, s34
	s_load_b128 s[16:19], s[0:1], 0x58
	v_add3_u32 v68, s5, s33, v68
	s_delay_alu instid0(VALU_DEP_1) | instskip(NEXT) | instid1(VALU_DEP_1)
	v_mad_u64_u32 v[78:79], null, v68, s36, s[14:15]
	v_ashrrev_i32_e32 v79, 31, v78
	s_delay_alu instid0(VALU_DEP_1) | instskip(SKIP_1) | instid1(VALU_DEP_1)
	v_lshlrev_b64 v[78:79], 2, v[78:79]
	s_waitcnt lgkmcnt(0)
	v_add_co_u32 v80, vcc_lo, s18, v78
	s_delay_alu instid0(VALU_DEP_2)
	v_add_co_ci_u32_e32 v81, vcc_lo, s19, v79, vcc_lo
	v_add_co_u32 v78, vcc_lo, s16, v78
	v_add_co_ci_u32_e32 v79, vcc_lo, s17, v79, vcc_lo
	global_store_b32 v[80:81], v76, off
	global_store_b32 v[78:79], v77, off
.LBB1188_14:
	s_or_b32 exec_lo, exec_lo, s4
	s_waitcnt lgkmcnt(0)
	s_waitcnt_vscnt null, 0x0
	s_barrier
	buffer_gl0_inv
	ds_load_b128 v[84:87], v73
	ds_load_b128 v[88:91], v73 offset:16
	ds_load_b128 v[96:99], v73 offset:2064
	;; [unrolled: 1-line block ×5, first 2 shown]
	v_cmp_eq_u32_e32 vcc_lo, 1, v70
	v_mov_b32_e32 v76, 0
	ds_load_b128 v[112:115], v73 offset:6160
	ds_load_b128 v[108:111], v73 offset:6144
	;; [unrolled: 1-line block ×4, first 2 shown]
	v_cmp_eq_u32_e64 s5, 1, v69
	v_cmp_eq_u32_e64 s4, 1, v72
	;; [unrolled: 1-line block ×3, first 2 shown]
	v_mov_b32_e32 v77, v76
	v_mov_b32_e32 v78, v76
	;; [unrolled: 1-line block ×7, first 2 shown]
	v_cmp_eq_u32_e64 s7, 3, v72
	v_cmp_eq_u32_e64 s8, 7, v72
	s_waitcnt lgkmcnt(8)
	s_delay_alu instid0(VALU_DEP_3)
	v_wmma_f32_16x16x16_f16 v[76:83], v[49:56], v[84:91], v[76:83]
	ds_load_b128 v[53:56], v73 offset:10256
	ds_load_b128 v[49:52], v73 offset:10240
	s_waitcnt lgkmcnt(8)
	v_wmma_f32_16x16x16_f16 v[76:83], v[41:48], v[92:99], v[76:83]
	ds_load_b128 v[45:48], v73 offset:12304
	ds_load_b128 v[41:44], v73 offset:12288
	s_waitcnt lgkmcnt(8)
	;; [unrolled: 4-line block ×3, first 2 shown]
	s_barrier
	buffer_gl0_inv
	v_wmma_f32_16x16x16_f16 v[76:83], v[1:8], v[108:115], v[76:83]
	s_delay_alu instid0(VALU_DEP_1) | instskip(NEXT) | instid1(VALU_DEP_1)
	v_wmma_f32_16x16x16_f16 v[76:83], v[9:16], v[116:123], v[76:83]
	v_wmma_f32_16x16x16_f16 v[76:83], v[17:24], v[49:56], v[76:83]
	s_delay_alu instid0(VALU_DEP_1) | instskip(NEXT) | instid1(VALU_DEP_1)
	v_wmma_f32_16x16x16_f16 v[76:83], v[25:32], v[41:48], v[76:83]
	v_wmma_f32_16x16x16_f16 v[76:83], v[57:64], v[33:40], v[76:83]
	s_delay_alu instid0(VALU_DEP_1) | instskip(NEXT) | instid1(VALU_DEP_2)
	v_cvt_f16_f32_e32 v1, v76
	v_cvt_f16_f32_e32 v2, v77
	s_delay_alu instid0(VALU_DEP_3) | instskip(NEXT) | instid1(VALU_DEP_4)
	v_cvt_f16_f32_e32 v3, v78
	v_cvt_f16_f32_e32 v4, v79
	;; [unrolled: 1-line block ×6, first 2 shown]
	v_pack_b32_f16 v1, v1, v2
	v_pack_b32_f16 v2, v3, v4
	;; [unrolled: 1-line block ×3, first 2 shown]
	s_delay_alu instid0(VALU_DEP_4)
	v_pack_b32_f16 v4, v7, v8
	ds_store_b128 v74, v[1:4]
	s_waitcnt lgkmcnt(0)
	s_barrier
	buffer_gl0_inv
	ds_load_b128 v[1:4], v75
	ds_load_b128 v[5:8], v75 offset:16
	s_waitcnt lgkmcnt(1)
	v_lshrrev_b32_e32 v9, 16, v1
	s_waitcnt lgkmcnt(0)
	v_lshrrev_b32_e32 v13, 16, v5
	v_lshrrev_b32_e32 v10, 16, v2
	;; [unrolled: 1-line block ×4, first 2 shown]
	v_cndmask_b32_e32 v17, v1, v9, vcc_lo
	v_cndmask_b32_e32 v18, v5, v13, vcc_lo
	v_cndmask_b32_e64 v21, v1, v9, s5
	v_cmp_eq_u32_e32 vcc_lo, 1, v71
	v_cndmask_b32_e64 v22, v5, v13, s5
	v_cmp_eq_u32_e64 s5, 2, v70
	v_cndmask_b32_e64 v19, v1, v9, s4
	v_cndmask_b32_e64 v20, v5, v13, s4
	v_cndmask_b32_e32 v1, v1, v9, vcc_lo
	v_cmp_eq_u32_e64 s4, 2, v71
	v_cndmask_b32_e32 v5, v5, v13, vcc_lo
	v_cndmask_b32_e64 v9, v17, v2, s5
	v_cmp_eq_u32_e32 vcc_lo, 3, v70
	v_cndmask_b32_e64 v13, v18, v6, s5
	v_cmp_eq_u32_e64 s5, 2, v69
	v_cndmask_b32_e64 v17, v19, v2, s6
	v_cndmask_b32_e64 v18, v20, v6, s6
	v_cmp_eq_u32_e64 s6, 3, v69
	v_cndmask_b32_e64 v1, v1, v2, s4
	v_cndmask_b32_e64 v19, v21, v2, s5
	;; [unrolled: 1-line block ×4, first 2 shown]
	v_cndmask_b32_e32 v5, v9, v10, vcc_lo
	v_cndmask_b32_e32 v6, v13, v14, vcc_lo
	v_cmp_eq_u32_e32 vcc_lo, 3, v71
	v_cndmask_b32_e64 v9, v17, v10, s7
	v_cndmask_b32_e64 v13, v18, v14, s7
	;; [unrolled: 1-line block ×3, first 2 shown]
	v_cmp_eq_u32_e64 s5, 4, v70
	v_cndmask_b32_e32 v1, v1, v10, vcc_lo
	v_cndmask_b32_e32 v2, v2, v14, vcc_lo
	v_cmp_eq_u32_e32 vcc_lo, 4, v72
	v_lshrrev_b32_e32 v15, 16, v7
	v_lshrrev_b32_e32 v16, 16, v8
	v_cndmask_b32_e64 v17, v19, v10, s6
	v_cmp_eq_u32_e64 s4, 4, v71
	v_cndmask_b32_e64 v5, v5, v3, s5
	v_cndmask_b32_e64 v6, v6, v7, s5
	v_cndmask_b32_e32 v9, v9, v3, vcc_lo
	v_cmp_eq_u32_e64 s5, 5, v72
	v_cndmask_b32_e32 v10, v13, v7, vcc_lo
	v_cmp_eq_u32_e32 vcc_lo, 4, v69
	v_cmp_eq_u32_e64 s6, 5, v70
	v_cndmask_b32_e64 v2, v2, v7, s4
	v_cndmask_b32_e64 v9, v9, v11, s5
	;; [unrolled: 1-line block ×3, first 2 shown]
	v_cndmask_b32_e32 v13, v17, v3, vcc_lo
	v_cmp_eq_u32_e64 s5, 5, v69
	v_cndmask_b32_e32 v14, v18, v7, vcc_lo
	v_cndmask_b32_e64 v1, v1, v3, s4
	v_cmp_eq_u32_e32 vcc_lo, 5, v71
	v_lshrrev_b32_e32 v12, 16, v4
	v_cndmask_b32_e64 v13, v13, v11, s5
	v_cndmask_b32_e64 v3, v14, v15, s5
	v_cmp_eq_u32_e64 s5, 6, v71
	v_cndmask_b32_e32 v1, v1, v11, vcc_lo
	v_cndmask_b32_e64 v5, v5, v11, s6
	v_cmp_eq_u32_e64 s7, 6, v70
	v_cndmask_b32_e64 v6, v6, v15, s6
	v_cmp_eq_u32_e64 s6, 6, v72
	v_cmp_eq_u32_e64 s4, 6, v69
	v_cndmask_b32_e64 v1, v1, v4, s5
	v_cndmask_b32_e32 v2, v2, v15, vcc_lo
	v_cmp_eq_u32_e32 vcc_lo, 7, v71
	v_cndmask_b32_e64 v5, v5, v4, s7
	v_cndmask_b32_e64 v9, v9, v4, s6
	v_cndmask_b32_e64 v6, v6, v8, s7
	v_cmp_eq_u32_e64 s7, 7, v70
	v_cndmask_b32_e32 v1, v1, v12, vcc_lo
	v_cndmask_b32_e64 v7, v13, v4, s4
	v_cndmask_b32_e64 v3, v3, v8, s4
	;; [unrolled: 1-line block ×3, first 2 shown]
	v_cmp_eq_u32_e64 s4, 7, v69
	v_cndmask_b32_e64 v4, v10, v8, s6
	v_cndmask_b32_e64 v5, v5, v12, s7
	;; [unrolled: 1-line block ×3, first 2 shown]
	v_cndmask_b32_e32 v2, v2, v16, vcc_lo
	v_cndmask_b32_e64 v7, v7, v12, s4
	v_cndmask_b32_e64 v3, v3, v16, s4
	;; [unrolled: 1-line block ×4, first 2 shown]
	v_cmp_gt_u32_e32 vcc_lo, 32, v0
	v_perm_b32 v4, v2, v1, 0x5040100
	v_perm_b32 v3, v3, v7, 0x5040100
	;; [unrolled: 1-line block ×4, first 2 shown]
	s_and_b32 s2, vcc_lo, s2
	ds_store_b128 v74, v[1:4]
	s_waitcnt lgkmcnt(0)
	s_barrier
	buffer_gl0_inv
	s_and_saveexec_b32 s4, s2
	s_cbranch_execz .LBB1188_2
; %bb.15:
	s_load_b64 s[4:5], s[0:1], 0x68
	v_lshlrev_b32_e32 v0, 10, v0
	v_add_nc_u32_e32 v2, s33, v66
	v_lshlrev_b32_e32 v3, 4, v67
	s_lshl_b32 s0, s36, 6
	s_delay_alu instid0(SALU_CYCLE_1) | instskip(NEXT) | instid1(VALU_DEP_2)
	s_mul_i32 s1, s0, s34
	v_mul_lo_u32 v1, v2, s0
	s_delay_alu instid0(VALU_DEP_2)
	v_and_or_b32 v0, 0x3800, v0, v3
	v_add_nc_u32_e32 v3, 2, v2
	s_mul_i32 s6, s1, s9
	v_add_nc_u32_e32 v4, 4, v2
	s_ashr_i32 s7, s6, 31
	v_lshl_or_b32 v11, v66, 6, v0
	s_lshl_b64 s[6:7], s[6:7], 1
	v_mul_lo_u32 v15, v3, s0
	v_mul_lo_u32 v17, v4, s0
	v_ashrrev_i32_e32 v2, 31, v1
	ds_load_b128 v[3:6], v11
	ds_load_b128 v[7:10], v11 offset:128
	ds_load_b128 v[11:14], v11 offset:256
	s_waitcnt lgkmcnt(0)
	s_add_u32 s1, s4, s6
	s_addc_u32 s2, s5, s7
	s_lshl_b32 s4, s14, 6
	v_ashrrev_i32_e32 v16, 31, v15
	s_ashr_i32 s5, s4, 31
	v_lshlrev_b64 v[19:20], 1, v[1:2]
	s_lshl_b64 s[4:5], s[4:5], 1
	v_ashrrev_i32_e32 v18, 31, v17
	s_add_u32 s1, s1, s4
	s_addc_u32 s2, s2, s5
	v_add_co_u32 v1, s1, s1, v65
	s_delay_alu instid0(VALU_DEP_1) | instskip(SKIP_1) | instid1(VALU_DEP_3)
	v_add_co_ci_u32_e64 v2, null, s2, 0, s1
	v_lshlrev_b64 v[15:16], 1, v[15:16]
	v_add_co_u32 v19, vcc_lo, v1, v19
	v_lshlrev_b64 v[17:18], 1, v[17:18]
	s_delay_alu instid0(VALU_DEP_4) | instskip(NEXT) | instid1(VALU_DEP_4)
	v_add_co_ci_u32_e32 v20, vcc_lo, v2, v20, vcc_lo
	v_add_co_u32 v15, vcc_lo, v1, v15
	v_add_co_ci_u32_e32 v16, vcc_lo, v2, v16, vcc_lo
	s_delay_alu instid0(VALU_DEP_4)
	v_add_co_u32 v17, vcc_lo, v1, v17
	v_add_co_ci_u32_e32 v18, vcc_lo, v2, v18, vcc_lo
	s_clause 0x2
	global_store_b128 v[19:20], v[3:6], off
	global_store_b128 v[15:16], v[7:10], off
	;; [unrolled: 1-line block ×3, first 2 shown]
	s_and_b32 exec_lo, exec_lo, s3
	s_cbranch_execz .LBB1188_2
; %bb.16:
	ds_load_b128 v[3:6], v0 offset:384
	s_add_i32 s1, s33, 6
	s_delay_alu instid0(SALU_CYCLE_1) | instskip(NEXT) | instid1(SALU_CYCLE_1)
	s_mul_i32 s0, s1, s0
	s_ashr_i32 s1, s0, 31
	s_delay_alu instid0(SALU_CYCLE_1) | instskip(NEXT) | instid1(SALU_CYCLE_1)
	s_lshl_b64 s[0:1], s[0:1], 1
	v_add_co_u32 v0, vcc_lo, v1, s0
	v_add_co_ci_u32_e32 v1, vcc_lo, s1, v2, vcc_lo
	s_waitcnt lgkmcnt(0)
	global_store_b128 v[0:1], v[3:6], off
	s_nop 0
	s_sendmsg sendmsg(MSG_DEALLOC_VGPRS)
	s_endpgm
	.section	.rodata,"a",@progbits
	.p2align	6, 0x0
	.amdhsa_kernel _Z39paged_attention_ll4mi_QKV_mfma16_kernelIDF16_hLN4vllm18Fp8KVCacheDataTypeE1EDF16_Li32ELi64ELi256ELb1ELi7EL8MFMAType0EEvPKT_PKT0_S8_ifPKiSA_SA_iPKfiiiPfSD_PS3_PT2_iSC_SC_
		.amdhsa_group_segment_fixed_size 17472
		.amdhsa_private_segment_fixed_size 0
		.amdhsa_kernarg_size 400
		.amdhsa_user_sgpr_count 13
		.amdhsa_user_sgpr_dispatch_ptr 0
		.amdhsa_user_sgpr_queue_ptr 0
		.amdhsa_user_sgpr_kernarg_segment_ptr 1
		.amdhsa_user_sgpr_dispatch_id 0
		.amdhsa_user_sgpr_private_segment_size 0
		.amdhsa_wavefront_size32 1
		.amdhsa_uses_dynamic_stack 0
		.amdhsa_enable_private_segment 0
		.amdhsa_system_sgpr_workgroup_id_x 1
		.amdhsa_system_sgpr_workgroup_id_y 1
		.amdhsa_system_sgpr_workgroup_id_z 1
		.amdhsa_system_sgpr_workgroup_info 0
		.amdhsa_system_vgpr_workitem_id 0
		.amdhsa_next_free_vgpr 146
		.amdhsa_next_free_sgpr 37
		.amdhsa_reserve_vcc 1
		.amdhsa_float_round_mode_32 0
		.amdhsa_float_round_mode_16_64 0
		.amdhsa_float_denorm_mode_32 3
		.amdhsa_float_denorm_mode_16_64 3
		.amdhsa_dx10_clamp 1
		.amdhsa_ieee_mode 1
		.amdhsa_fp16_overflow 0
		.amdhsa_workgroup_processor_mode 1
		.amdhsa_memory_ordered 1
		.amdhsa_forward_progress 0
		.amdhsa_shared_vgpr_count 0
		.amdhsa_exception_fp_ieee_invalid_op 0
		.amdhsa_exception_fp_denorm_src 0
		.amdhsa_exception_fp_ieee_div_zero 0
		.amdhsa_exception_fp_ieee_overflow 0
		.amdhsa_exception_fp_ieee_underflow 0
		.amdhsa_exception_fp_ieee_inexact 0
		.amdhsa_exception_int_div_zero 0
	.end_amdhsa_kernel
	.section	.text._Z39paged_attention_ll4mi_QKV_mfma16_kernelIDF16_hLN4vllm18Fp8KVCacheDataTypeE1EDF16_Li32ELi64ELi256ELb1ELi7EL8MFMAType0EEvPKT_PKT0_S8_ifPKiSA_SA_iPKfiiiPfSD_PS3_PT2_iSC_SC_,"axG",@progbits,_Z39paged_attention_ll4mi_QKV_mfma16_kernelIDF16_hLN4vllm18Fp8KVCacheDataTypeE1EDF16_Li32ELi64ELi256ELb1ELi7EL8MFMAType0EEvPKT_PKT0_S8_ifPKiSA_SA_iPKfiiiPfSD_PS3_PT2_iSC_SC_,comdat
.Lfunc_end1188:
	.size	_Z39paged_attention_ll4mi_QKV_mfma16_kernelIDF16_hLN4vllm18Fp8KVCacheDataTypeE1EDF16_Li32ELi64ELi256ELb1ELi7EL8MFMAType0EEvPKT_PKT0_S8_ifPKiSA_SA_iPKfiiiPfSD_PS3_PT2_iSC_SC_, .Lfunc_end1188-_Z39paged_attention_ll4mi_QKV_mfma16_kernelIDF16_hLN4vllm18Fp8KVCacheDataTypeE1EDF16_Li32ELi64ELi256ELb1ELi7EL8MFMAType0EEvPKT_PKT0_S8_ifPKiSA_SA_iPKfiiiPfSD_PS3_PT2_iSC_SC_
                                        ; -- End function
	.section	.AMDGPU.csdata,"",@progbits
; Kernel info:
; codeLenInByte = 6524
; NumSgprs: 39
; NumVgprs: 146
; ScratchSize: 0
; MemoryBound: 0
; FloatMode: 240
; IeeeMode: 1
; LDSByteSize: 17472 bytes/workgroup (compile time only)
; SGPRBlocks: 4
; VGPRBlocks: 18
; NumSGPRsForWavesPerEU: 39
; NumVGPRsForWavesPerEU: 146
; Occupancy: 9
; WaveLimiterHint : 1
; COMPUTE_PGM_RSRC2:SCRATCH_EN: 0
; COMPUTE_PGM_RSRC2:USER_SGPR: 13
; COMPUTE_PGM_RSRC2:TRAP_HANDLER: 0
; COMPUTE_PGM_RSRC2:TGID_X_EN: 1
; COMPUTE_PGM_RSRC2:TGID_Y_EN: 1
; COMPUTE_PGM_RSRC2:TGID_Z_EN: 1
; COMPUTE_PGM_RSRC2:TIDIG_COMP_CNT: 0
	.section	.text._Z39paged_attention_ll4mi_QKV_mfma16_kernelIDF16_hLN4vllm18Fp8KVCacheDataTypeE1EDF16_Li32ELi64ELi256ELb1ELi8EL8MFMAType0EEvPKT_PKT0_S8_ifPKiSA_SA_iPKfiiiPfSD_PS3_PT2_iSC_SC_,"axG",@progbits,_Z39paged_attention_ll4mi_QKV_mfma16_kernelIDF16_hLN4vllm18Fp8KVCacheDataTypeE1EDF16_Li32ELi64ELi256ELb1ELi8EL8MFMAType0EEvPKT_PKT0_S8_ifPKiSA_SA_iPKfiiiPfSD_PS3_PT2_iSC_SC_,comdat
	.protected	_Z39paged_attention_ll4mi_QKV_mfma16_kernelIDF16_hLN4vllm18Fp8KVCacheDataTypeE1EDF16_Li32ELi64ELi256ELb1ELi8EL8MFMAType0EEvPKT_PKT0_S8_ifPKiSA_SA_iPKfiiiPfSD_PS3_PT2_iSC_SC_ ; -- Begin function _Z39paged_attention_ll4mi_QKV_mfma16_kernelIDF16_hLN4vllm18Fp8KVCacheDataTypeE1EDF16_Li32ELi64ELi256ELb1ELi8EL8MFMAType0EEvPKT_PKT0_S8_ifPKiSA_SA_iPKfiiiPfSD_PS3_PT2_iSC_SC_
	.globl	_Z39paged_attention_ll4mi_QKV_mfma16_kernelIDF16_hLN4vllm18Fp8KVCacheDataTypeE1EDF16_Li32ELi64ELi256ELb1ELi8EL8MFMAType0EEvPKT_PKT0_S8_ifPKiSA_SA_iPKfiiiPfSD_PS3_PT2_iSC_SC_
	.p2align	8
	.type	_Z39paged_attention_ll4mi_QKV_mfma16_kernelIDF16_hLN4vllm18Fp8KVCacheDataTypeE1EDF16_Li32ELi64ELi256ELb1ELi8EL8MFMAType0EEvPKT_PKT0_S8_ifPKiSA_SA_iPKfiiiPfSD_PS3_PT2_iSC_SC_,@function
_Z39paged_attention_ll4mi_QKV_mfma16_kernelIDF16_hLN4vllm18Fp8KVCacheDataTypeE1EDF16_Li32ELi64ELi256ELb1ELi8EL8MFMAType0EEvPKT_PKT0_S8_ifPKiSA_SA_iPKfiiiPfSD_PS3_PT2_iSC_SC_: ; @_Z39paged_attention_ll4mi_QKV_mfma16_kernelIDF16_hLN4vllm18Fp8KVCacheDataTypeE1EDF16_Li32ELi64ELi256ELb1ELi8EL8MFMAType0EEvPKT_PKT0_S8_ifPKiSA_SA_iPKfiiiPfSD_PS3_PT2_iSC_SC_
; %bb.0:
	s_load_b64 s[2:3], s[0:1], 0x30
	s_mov_b32 s34, s13
	s_waitcnt lgkmcnt(0)
	s_cmp_lg_u64 s[2:3], 0
	s_cselect_b32 s8, -1, 0
	s_ashr_i32 s35, s13, 31
	s_cmp_eq_u64 s[2:3], 0
	s_cbranch_scc1 .LBB1189_3
; %bb.1:
	s_lshl_b64 s[4:5], s[34:35], 2
	s_delay_alu instid0(SALU_CYCLE_1) | instskip(SKIP_4) | instid1(SALU_CYCLE_1)
	s_add_u32 s4, s2, s4
	s_addc_u32 s5, s3, s5
	s_load_b64 s[4:5], s[4:5], 0x0
	s_waitcnt lgkmcnt(0)
	s_sub_i32 s4, s5, s4
	s_cmp_eq_u32 s4, 1
	s_cselect_b32 s4, -1, 0
	s_delay_alu instid0(SALU_CYCLE_1)
	s_and_not1_b32 vcc_lo, exec_lo, s4
	s_cbranch_vccz .LBB1189_4
.LBB1189_2:
	s_endpgm
.LBB1189_3:
.LBB1189_4:
	s_load_b64 s[4:5], s[0:1], 0x28
	s_lshl_b64 s[6:7], s[34:35], 2
	s_waitcnt lgkmcnt(0)
	s_add_u32 s4, s4, s6
	s_addc_u32 s5, s5, s7
	s_lshl_b32 s12, s14, 8
	s_load_b32 s24, s[4:5], 0x0
	s_waitcnt lgkmcnt(0)
	s_cmp_ge_i32 s12, s24
	s_cbranch_scc1 .LBB1189_2
; %bb.5:
	s_clause 0x1
	s_load_b128 s[20:23], s[0:1], 0x8
	s_load_b64 s[4:5], s[0:1], 0x20
	s_and_not1_b32 vcc_lo, exec_lo, s8
	s_cbranch_vccnz .LBB1189_7
; %bb.6:
	s_add_u32 s2, s2, s6
	s_addc_u32 s3, s3, s7
	s_load_b32 s3, s[2:3], 0x0
	s_branch .LBB1189_8
.LBB1189_7:
	s_mov_b32 s3, s34
.LBB1189_8:
	s_load_b128 s[16:19], s[0:1], 0x48
	v_and_b32_e32 v69, 15, v0
	v_cmp_gt_u32_e32 vcc_lo, 0x80, v0
	v_lshrrev_b32_e32 v68, 5, v0
	v_and_b32_e32 v70, 31, v0
	v_and_b32_e32 v66, 1, v0
	v_lshlrev_b32_e32 v1, 3, v69
	v_cmp_gt_u32_e64 s2, 8, v69
	v_bfe_u32 v67, v0, 4, 1
	s_lshl_b32 s31, s15, 3
	s_delay_alu instid0(VALU_DEP_3) | instskip(NEXT) | instid1(VALU_DEP_3)
	v_lshlrev_b32_e32 v65, 1, v1
	s_and_b32 s7, vcc_lo, s2
	s_delay_alu instid0(SALU_CYCLE_1)
	s_and_saveexec_b32 s6, s7
	s_cbranch_execz .LBB1189_10
; %bb.9:
	v_lshl_or_b32 v5, v68, 1, v67
	s_load_b64 s[8:9], s[0:1], 0x0
	s_waitcnt lgkmcnt(0)
	s_mul_hi_i32 s11, s3, s16
	s_mul_i32 s10, s3, s16
	v_lshlrev_b32_e32 v6, 10, v69
	v_or_b32_e32 v1, s31, v5
	s_lshl_b64 s[10:11], s[10:11], 1
	v_lshlrev_b32_e32 v5, 6, v5
	v_lshlrev_b32_e32 v7, 10, v66
	v_and_b32_e32 v6, 0x3800, v6
	v_lshlrev_b32_e32 v1, 6, v1
	s_delay_alu instid0(VALU_DEP_2) | instskip(NEXT) | instid1(VALU_DEP_2)
	v_or3_b32 v5, v6, v7, v5
	v_ashrrev_i32_e32 v2, 31, v1
	s_delay_alu instid0(VALU_DEP_1) | instskip(SKIP_2) | instid1(VALU_DEP_1)
	v_lshlrev_b64 v[1:2], 1, v[1:2]
	s_add_u32 s3, s8, s10
	s_addc_u32 s7, s9, s11
	v_add_co_u32 v1, vcc_lo, s3, v1
	s_delay_alu instid0(VALU_DEP_2) | instskip(NEXT) | instid1(VALU_DEP_2)
	v_add_co_ci_u32_e32 v2, vcc_lo, s7, v2, vcc_lo
	v_add_co_u32 v1, vcc_lo, v1, v65
	s_delay_alu instid0(VALU_DEP_2)
	v_add_co_ci_u32_e32 v2, vcc_lo, 0, v2, vcc_lo
	global_load_b128 v[1:4], v[1:2], off
	s_waitcnt vmcnt(0)
	ds_store_b128 v5, v[1:4]
.LBB1189_10:
	s_or_b32 exec_lo, exec_lo, s6
	v_and_b32_e32 v1, 0xef, v0
	s_waitcnt lgkmcnt(0)
	s_add_i32 s3, s24, 31
	s_clause 0x1
	s_load_b32 s6, s[0:1], 0x38
	s_load_b32 s33, s[0:1], 0x98
	s_ashr_i32 s7, s3, 31
	v_add_nc_u32_e32 v1, s12, v1
	s_lshr_b32 s7, s7, 27
	s_load_b32 s19, s[0:1], 0x1c
	s_add_i32 s3, s3, s7
	s_waitcnt lgkmcnt(0)
	v_ashrrev_i32_e32 v2, 31, v1
	v_or_b32_e32 v3, 16, v1
	s_ashr_i32 s3, s3, 5
	v_cmp_gt_i32_e32 vcc_lo, s24, v1
	s_add_i32 s3, s3, -1
	v_lshrrev_b32_e32 v2, 27, v2
	s_barrier
	buffer_gl0_inv
	s_mul_i32 s27, s15, s18
	v_add_nc_u32_e32 v4, v1, v2
	s_mul_i32 s6, s34, s6
	s_delay_alu instid0(SALU_CYCLE_1) | instskip(NEXT) | instid1(VALU_DEP_1)
	s_ashr_i32 s7, s6, 31
	v_ashrrev_i32_e32 v4, 5, v4
	v_add_nc_u32_e32 v2, v3, v2
	s_lshl_b64 s[6:7], s[6:7], 2
	s_delay_alu instid0(SALU_CYCLE_1) | instskip(NEXT) | instid1(VALU_DEP_2)
	s_add_u32 s26, s4, s6
	v_cndmask_b32_e32 v1, s3, v4, vcc_lo
	s_delay_alu instid0(VALU_DEP_2)
	v_ashrrev_i32_e32 v2, 5, v2
	v_cmp_gt_i32_e32 vcc_lo, s24, v3
	s_addc_u32 s25, s5, s7
	s_ashr_i32 s28, s27, 31
	s_add_u32 s4, s20, s27
	s_addc_u32 s5, s21, s28
	v_cndmask_b32_e32 v3, s3, v2, vcc_lo
	v_ashrrev_i32_e32 v2, 31, v1
	s_lshl_b32 s6, s14, 3
	s_delay_alu instid0(SALU_CYCLE_1) | instskip(NEXT) | instid1(VALU_DEP_2)
	s_ashr_i32 s7, s6, 31
	v_ashrrev_i32_e32 v4, 31, v3
	s_delay_alu instid0(VALU_DEP_2) | instskip(SKIP_1) | instid1(SALU_CYCLE_1)
	v_lshlrev_b64 v[1:2], 2, v[1:2]
	s_lshl_b64 s[6:7], s[6:7], 2
	s_add_u32 s6, s26, s6
	s_delay_alu instid0(VALU_DEP_2) | instskip(SKIP_1) | instid1(VALU_DEP_2)
	v_lshlrev_b64 v[3:4], 2, v[3:4]
	s_addc_u32 s7, s25, s7
	v_add_co_u32 v1, vcc_lo, s26, v1
	v_add_co_ci_u32_e32 v2, vcc_lo, s25, v2, vcc_lo
	s_delay_alu instid0(VALU_DEP_3) | instskip(NEXT) | instid1(VALU_DEP_4)
	v_add_co_u32 v3, vcc_lo, s26, v3
	v_add_co_ci_u32_e32 v4, vcc_lo, s25, v4, vcc_lo
	s_clause 0x1
	global_load_b32 v5, v[1:2], off
	global_load_b32 v6, v[3:4], off
	s_or_b32 s8, s12, 32
	s_delay_alu instid0(SALU_CYCLE_1) | instskip(SKIP_2) | instid1(SALU_CYCLE_1)
	s_ashr_i32 s9, s8, 5
	s_cmp_lt_i32 s8, s24
	s_cselect_b32 s8, s9, s3
	s_ashr_i32 s9, s8, 31
	s_delay_alu instid0(SALU_CYCLE_1) | instskip(NEXT) | instid1(SALU_CYCLE_1)
	s_lshl_b64 s[8:9], s[8:9], 2
	s_add_u32 s8, s26, s8
	s_addc_u32 s9, s25, s9
	s_or_b32 s10, s12, 64
	s_delay_alu instid0(SALU_CYCLE_1) | instskip(SKIP_2) | instid1(SALU_CYCLE_1)
	s_ashr_i32 s11, s10, 5
	s_cmp_lt_i32 s10, s24
	s_cselect_b32 s10, s11, s3
	s_ashr_i32 s11, s10, 31
	s_delay_alu instid0(SALU_CYCLE_1) | instskip(NEXT) | instid1(SALU_CYCLE_1)
	s_lshl_b64 s[10:11], s[10:11], 2
	s_add_u32 s10, s26, s10
	s_addc_u32 s11, s25, s11
	;; [unrolled: 10-line block ×5, first 2 shown]
	s_clause 0x5
	s_load_b32 s21, s[6:7], 0x0
	s_load_b32 s13, s[8:9], 0x0
	;; [unrolled: 1-line block ×6, first 2 shown]
	s_or_b32 s7, s12, 0xc0
	s_delay_alu instid0(SALU_CYCLE_1) | instskip(SKIP_2) | instid1(SALU_CYCLE_1)
	s_ashr_i32 s8, s7, 5
	s_cmp_lt_i32 s7, s24
	s_cselect_b32 s10, s8, s3
	s_ashr_i32 s11, s10, 31
	s_delay_alu instid0(SALU_CYCLE_1) | instskip(NEXT) | instid1(SALU_CYCLE_1)
	s_lshl_b64 s[36:37], s[10:11], 2
	s_add_u32 s36, s26, s36
	s_addc_u32 s37, s25, s37
	s_or_b32 s29, s12, 0xe0
	s_delay_alu instid0(SALU_CYCLE_1)
	s_ashr_i32 s30, s29, 5
	s_cmp_lt_i32 s29, s24
	s_waitcnt vmcnt(1)
	v_mad_i64_i32 v[1:2], null, v5, s17, s[4:5]
	s_waitcnt vmcnt(0)
	v_mad_i64_i32 v[3:4], null, v6, s17, s[4:5]
	s_mov_b32 s4, 0
	s_delay_alu instid0(SALU_CYCLE_1)
	s_mov_b32 s5, s4
	s_mov_b32 s6, s4
	;; [unrolled: 1-line block ×7, first 2 shown]
	s_delay_alu instid0(SALU_CYCLE_1) | instskip(SKIP_2) | instid1(VALU_DEP_3)
	v_dual_mov_b32 v102, s11 :: v_dual_lshlrev_b32 v5, 4, v69
	v_dual_mov_b32 v98, s7 :: v_dual_mov_b32 v101, s10
	v_mov_b32_e32 v100, s9
	v_add_co_u32 v1, vcc_lo, v1, v5
	v_add_co_ci_u32_e32 v2, vcc_lo, 0, v2, vcc_lo
	v_add_co_u32 v3, vcc_lo, v3, v5
	v_add_co_ci_u32_e32 v4, vcc_lo, 0, v4, vcc_lo
	s_clause 0x7
	global_load_b128 v[57:60], v[1:2], off
	global_load_b128 v[61:64], v[1:2], off offset:512
	global_load_b128 v[71:74], v[3:4], off offset:256
	;; [unrolled: 1-line block ×7, first 2 shown]
	v_dual_mov_b32 v96, s5 :: v_dual_and_b32 v1, 7, v0
	v_mov_b32_e32 v99, s8
	v_mov_b32_e32 v97, s6
	;; [unrolled: 1-line block ×3, first 2 shown]
	s_cselect_b32 s4, s30, s3
	v_lshlrev_b32_e32 v2, 5, v69
	s_ashr_i32 s5, s4, 31
	v_lshlrev_b32_e32 v121, 6, v1
	s_lshl_b64 s[4:5], s[4:5], 2
	s_load_b32 s3, s[36:37], 0x0
	s_add_u32 s4, s26, s4
	s_addc_u32 s5, s25, s5
	v_lshl_or_b32 v1, v68, 9, v2
	ds_load_b128 v[103:106], v121
	ds_load_b128 v[107:110], v121 offset:1024
	s_load_b32 s4, s[4:5], 0x0
	s_add_u32 s6, s22, s27
	s_addc_u32 s7, s23, s28
	v_add_co_u32 v17, s6, s6, v1
	s_delay_alu instid0(VALU_DEP_1) | instskip(SKIP_1) | instid1(VALU_DEP_1)
	v_add_co_ci_u32_e64 v18, null, s7, 0, s6
	s_waitcnt lgkmcnt(0)
	v_mad_i64_i32 v[1:2], null, s21, s17, v[17:18]
	v_mad_i64_i32 v[3:4], null, s13, s17, v[17:18]
	;; [unrolled: 1-line block ×7, first 2 shown]
	s_clause 0x9
	global_load_b128 v[49:52], v[1:2], off
	global_load_b128 v[53:56], v[1:2], off offset:16
	global_load_b128 v[41:44], v[3:4], off
	global_load_b128 v[45:48], v[3:4], off offset:16
	;; [unrolled: 2-line block ×5, first 2 shown]
	v_mad_i64_i32 v[119:120], null, s4, s17, v[17:18]
	s_clause 0x3
	global_load_b128 v[17:20], v[21:22], off
	global_load_b128 v[21:24], v[21:22], off offset:16
	global_load_b128 v[25:28], v[29:30], off
	global_load_b128 v[29:32], v[29:30], off offset:16
	s_waitcnt vmcnt(20)
	v_wmma_f32_16x16x16_f16 v[111:118], v[57:64], v[103:110], v[95:102]
	s_clause 0x1
	global_load_b128 v[57:60], v[119:120], off
	global_load_b128 v[61:64], v[119:120], off offset:16
	s_waitcnt vmcnt(20)
	v_wmma_f32_16x16x16_f16 v[95:102], v[71:78], v[103:110], v[95:102]
	ds_load_b128 v[71:74], v121 offset:2048
	ds_load_b128 v[75:78], v121 offset:3072
	v_mbcnt_lo_u32_b32 v104, -1, 0
	s_waitcnt vmcnt(0) lgkmcnt(0)
	s_barrier
	buffer_gl0_inv
	v_xor_b32_e32 v105, 16, v104
	s_delay_alu instid0(VALU_DEP_1) | instskip(SKIP_4) | instid1(VALU_DEP_2)
	v_cmp_gt_i32_e32 vcc_lo, 32, v105
	v_cndmask_b32_e32 v104, v104, v105, vcc_lo
	v_wmma_f32_16x16x16_f16 v[111:118], v[79:86], v[71:78], v[111:118]
	v_and_b32_e32 v103, 0xe0, v0
	v_wmma_f32_16x16x16_f16 v[95:102], v[87:94], v[71:78], v[95:102]
	v_dual_mul_f32 v78, s19, v113 :: v_dual_add_nc_u32 v103, s12, v103
	s_delay_alu instid0(VALU_DEP_2) | instskip(SKIP_1) | instid1(VALU_DEP_3)
	v_dual_mul_f32 v90, s19, v101 :: v_dual_mul_f32 v87, s19, v112
	v_dual_mul_f32 v88, s19, v111 :: v_dual_mul_f32 v77, s19, v114
	v_or_b32_e32 v103, v103, v67
	v_dual_mul_f32 v75, s19, v116 :: v_dual_mul_f32 v94, s19, v97
	v_dual_mul_f32 v76, s19, v115 :: v_dual_mul_f32 v73, s19, v118
	v_mul_f32_e32 v92, s19, v99
	s_delay_alu instid0(VALU_DEP_4)
	v_or_b32_e32 v105, 2, v103
	v_or_b32_e32 v106, 4, v103
	;; [unrolled: 1-line block ×3, first 2 shown]
	v_cmp_gt_i32_e64 s3, s24, v103
	v_or_b32_e32 v108, 8, v103
	v_cmp_gt_i32_e32 vcc_lo, s24, v105
	v_or_b32_e32 v109, 10, v103
	v_cmp_gt_i32_e64 s4, s24, v106
	v_cndmask_b32_e64 v88, 0xff7fffff, v88, s3
	v_cmp_gt_i32_e64 s5, s24, v107
	v_cndmask_b32_e32 v87, 0xff7fffff, v87, vcc_lo
	v_or_b32_e32 v79, 12, v103
	v_or_b32_e32 v80, 14, v103
	v_cndmask_b32_e64 v78, 0xff7fffff, v78, s4
	v_cndmask_b32_e64 v77, 0xff7fffff, v77, s5
	v_max3_f32 v87, v88, 0xff7fffff, v87
	v_cmp_gt_i32_e64 s6, s24, v108
	v_cmp_gt_i32_e64 s7, s24, v109
	v_or_b32_e32 v81, 16, v103
	v_or_b32_e32 v82, 18, v103
	v_mul_f32_e32 v74, s19, v117
	v_cndmask_b32_e64 v76, 0xff7fffff, v76, s6
	v_cndmask_b32_e64 v75, 0xff7fffff, v75, s7
	v_max3_f32 v77, v87, v78, v77
	v_cmp_gt_i32_e64 s8, s24, v79
	v_cmp_gt_i32_e64 s9, s24, v80
	v_or_b32_e32 v83, 20, v103
	v_or_b32_e32 v84, 22, v103
	;; [unrolled: 1-line block ×6, first 2 shown]
	v_mul_f32_e32 v105, s19, v96
	v_mul_f32_e32 v103, s19, v95
	v_cndmask_b32_e64 v74, 0xff7fffff, v74, s8
	v_cndmask_b32_e64 v73, 0xff7fffff, v73, s9
	v_max3_f32 v75, v77, v76, v75
	v_cmp_gt_i32_e64 s10, s24, v81
	v_cmp_gt_i32_e64 s11, s24, v82
	v_mul_f32_e32 v93, s19, v98
	v_cmp_gt_i32_e64 s12, s24, v83
	v_max3_f32 v73, v75, v74, v73
	v_cndmask_b32_e64 v76, 0xff7fffff, v103, s10
	v_cndmask_b32_e64 v77, 0xff7fffff, v105, s11
	v_cmp_gt_i32_e64 s13, s24, v84
	v_mul_f32_e32 v91, s19, v100
	v_cndmask_b32_e64 v74, 0xff7fffff, v94, s12
	v_cmp_gt_i32_e64 s15, s24, v85
	v_max3_f32 v73, v73, v76, v77
	v_cndmask_b32_e64 v75, 0xff7fffff, v93, s13
	v_cmp_gt_i32_e64 s16, s24, v86
	v_mul_f32_e32 v89, s19, v102
	v_cndmask_b32_e64 v76, 0xff7fffff, v92, s15
	v_cmp_gt_i32_e64 s17, s24, v71
	v_max3_f32 v73, v73, v74, v75
	v_cndmask_b32_e64 v77, 0xff7fffff, v91, s16
	v_cmp_gt_i32_e64 s18, s24, v72
	v_lshlrev_b32_e32 v74, 2, v104
	v_cndmask_b32_e64 v71, 0xff7fffff, v90, s17
	s_delay_alu instid0(VALU_DEP_4) | instskip(NEXT) | instid1(VALU_DEP_4)
	v_max3_f32 v73, v73, v76, v77
	v_cndmask_b32_e64 v72, 0xff7fffff, v89, s18
	s_delay_alu instid0(VALU_DEP_1) | instskip(SKIP_3) | instid1(VALU_DEP_1)
	v_max3_f32 v71, v73, v71, v72
	ds_bpermute_b32 v72, v74, v71
	s_waitcnt lgkmcnt(0)
	v_max_f32_e32 v72, v72, v72
	v_max_f32_e32 v71, v71, v72
	s_delay_alu instid0(VALU_DEP_1)
	v_fma_f32 v72, s19, v111, -v71
	v_fma_f32 v76, s19, v114, -v71
	;; [unrolled: 1-line block ×5, first 2 shown]
	v_mul_f32_e32 v72, 0x3fb8aa3b, v72
	v_mul_f32_e32 v76, 0x3fb8aa3b, v76
	v_fma_f32 v75, s19, v113, -v71
	v_mul_f32_e32 v79, 0x3fb8aa3b, v77
	v_mul_f32_e32 v85, 0x3fb8aa3b, v84
	v_exp_f32_e32 v72, v72
	v_exp_f32_e32 v76, v76
	v_fma_f32 v86, s19, v98, -v71
	v_exp_f32_e32 v82, v79
	v_exp_f32_e32 v85, v85
	v_fma_f32 v81, s19, v117, -v71
	s_delay_alu instid0(VALU_DEP_2) | instskip(SKIP_3) | instid1(TRANS32_DEP_3)
	v_mul_f32_e32 v87, 0x3fb8aa3b, v86
	v_cndmask_b32_e64 v78, 0, v72, s3
	v_fma_f32 v72, s19, v116, -v71
	v_mul_f32_e32 v73, 0x3fb8aa3b, v73
	v_cndmask_b32_e64 v79, 0, v76, s5
	v_fma_f32 v76, s19, v95, -v71
	s_delay_alu instid0(VALU_DEP_4) | instskip(NEXT) | instid1(VALU_DEP_4)
	v_dual_mul_f32 v75, 0x3fb8aa3b, v75 :: v_dual_mul_f32 v72, 0x3fb8aa3b, v72
	v_exp_f32_e32 v73, v73
	v_exp_f32_e32 v87, v87
	s_delay_alu instid0(VALU_DEP_2) | instskip(NEXT) | instid1(VALU_DEP_2)
	v_mul_f32_e32 v76, 0x3fb8aa3b, v76
	v_exp_f32_e32 v75, v75
	v_cndmask_b32_e64 v85, 0, v85, s11
	v_mul_f32_e32 v81, 0x3fb8aa3b, v81
	v_exp_f32_e32 v72, v72
	v_cndmask_b32_e64 v82, 0, v82, s6
	v_exp_f32_e32 v76, v76
	s_mov_b32 s3, exec_lo
	v_cndmask_b32_e32 v77, 0, v73, vcc_lo
	v_add_f32_e32 v73, 0, v78
	v_cndmask_b32_e64 v87, 0, v87, s13
	v_cndmask_b32_e64 v80, 0, v75, s4
	v_fma_f32 v75, s19, v118, -v71
	v_exp_f32_e32 v83, v81
	v_add_f32_e32 v73, v73, v77
	v_cndmask_b32_e64 v81, 0, v72, s7
	v_cndmask_b32_e64 v86, 0, v76, s10
	v_mul_f32_e32 v75, 0x3fb8aa3b, v75
	s_delay_alu instid0(VALU_DEP_4) | instskip(NEXT) | instid1(VALU_DEP_2)
	v_add_f32_e32 v73, v73, v80
	v_exp_f32_e32 v75, v75
	s_delay_alu instid0(TRANS32_DEP_2) | instskip(NEXT) | instid1(VALU_DEP_2)
	v_cndmask_b32_e64 v84, 0, v83, s8
	v_add_f32_e32 v73, v73, v79
	s_delay_alu instid0(VALU_DEP_1) | instskip(SKIP_3) | instid1(VALU_DEP_1)
	v_add_f32_e32 v72, v73, v82
	s_waitcnt_depctr 0xfff
	v_cndmask_b32_e64 v83, 0, v75, s9
	v_add_f32_e32 v72, v72, v81
	v_add_f32_e32 v72, v72, v84
	s_delay_alu instid0(VALU_DEP_1) | instskip(NEXT) | instid1(VALU_DEP_1)
	v_add_f32_e32 v72, v72, v83
	v_add_f32_e32 v72, v72, v86
	v_fma_f32 v73, s19, v97, -v71
	v_fma_f32 v75, s19, v99, -v71
	;; [unrolled: 1-line block ×4, first 2 shown]
	v_add_f32_e32 v72, v72, v85
	v_mul_f32_e32 v73, 0x3fb8aa3b, v73
	s_delay_alu instid0(VALU_DEP_4) | instskip(NEXT) | instid1(VALU_DEP_2)
	v_dual_mul_f32 v75, 0x3fb8aa3b, v75 :: v_dual_mul_f32 v76, 0x3fb8aa3b, v76
	v_exp_f32_e32 v73, v73
	s_delay_alu instid0(VALU_DEP_1) | instskip(NEXT) | instid1(VALU_DEP_1)
	v_exp_f32_e32 v75, v75
	v_exp_f32_e32 v76, v76
	s_delay_alu instid0(TRANS32_DEP_3)
	v_cndmask_b32_e64 v88, 0, v73, s12
	v_mul_f32_e32 v73, 0x3fb8aa3b, v89
	v_fma_f32 v89, s19, v102, -v71
	s_waitcnt_depctr 0xfff
	v_cndmask_b32_e64 v90, 0, v75, s15
	v_add_f32_e32 v72, v72, v88
	v_exp_f32_e32 v73, v73
	v_mul_f32_e32 v75, 0x3fb8aa3b, v89
	v_cndmask_b32_e64 v89, 0, v76, s16
	s_delay_alu instid0(VALU_DEP_3) | instskip(NEXT) | instid1(VALU_DEP_3)
	v_add_f32_e32 v72, v72, v87
	v_exp_f32_e32 v75, v75
	s_delay_alu instid0(VALU_DEP_1) | instskip(SKIP_4) | instid1(VALU_DEP_2)
	v_add_f32_e32 v72, v72, v90
	s_waitcnt_depctr 0xfff
	v_cndmask_b32_e64 v92, 0, v73, s17
	v_add_f32_e32 v72, v72, v89
	v_cndmask_b32_e64 v91, 0, v75, s18
	v_add_f32_e32 v72, v72, v92
	s_delay_alu instid0(VALU_DEP_1)
	v_add_f32_e32 v72, v72, v91
	ds_bpermute_b32 v73, v74, v72
	v_cmpx_gt_u32_e32 16, v70
	s_cbranch_execz .LBB1189_12
; %bb.11:
	v_mul_u32_u24_e32 v70, 0x44, v68
	s_waitcnt lgkmcnt(0)
	v_add_f32_e32 v72, v72, v73
	s_delay_alu instid0(VALU_DEP_2) | instskip(NEXT) | instid1(VALU_DEP_1)
	v_lshl_add_u32 v70, v69, 2, v70
	v_add_nc_u32_e32 v70, 0x4000, v70
	ds_store_2addr_b32 v70, v71, v72 offset1:136
.LBB1189_12:
	s_or_b32 exec_lo, exec_lo, s3
	v_lshlrev_b32_e32 v70, 2, v69
	s_load_b32 s35, s[0:1], 0x94
	s_waitcnt lgkmcnt(0)
	s_barrier
	buffer_gl0_inv
	v_add_nc_u32_e32 v74, 0x4000, v70
	v_cmp_eq_u32_e32 vcc_lo, 1, v68
	v_cmp_eq_u32_e64 s3, 2, v68
	v_cmp_eq_u32_e64 s4, 3, v68
	;; [unrolled: 1-line block ×3, first 2 shown]
	ds_load_2addr_b32 v[70:71], v74 offset1:17
	ds_load_2addr_b32 v[72:73], v74 offset0:34 offset1:51
	ds_load_2addr_b32 v[93:94], v74 offset0:68 offset1:85
	;; [unrolled: 1-line block ×3, first 2 shown]
	v_cmp_eq_u32_e64 s6, 5, v68
	v_cmp_eq_u32_e64 s7, 7, v68
	s_waitcnt lgkmcnt(3)
	v_max3_f32 v75, v70, 0xff7fffff, v71
	s_waitcnt lgkmcnt(2)
	s_delay_alu instid0(VALU_DEP_1) | instskip(SKIP_1) | instid1(VALU_DEP_1)
	v_max3_f32 v75, v75, v72, v73
	s_waitcnt lgkmcnt(1)
	v_max3_f32 v75, v75, v93, v94
	s_waitcnt lgkmcnt(0)
	s_delay_alu instid0(VALU_DEP_1) | instskip(NEXT) | instid1(VALU_DEP_1)
	v_max3_f32 v75, v75, v95, v96
	v_sub_f32_e32 v93, v93, v75
	ds_load_2addr_b32 v[97:98], v74 offset0:136 offset1:153
	v_sub_f32_e32 v70, v70, v75
	v_dual_sub_f32 v100, v73, v75 :: v_dual_mul_f32 v103, 0x3fb8aa3b, v93
	s_delay_alu instid0(VALU_DEP_2) | instskip(SKIP_3) | instid1(VALU_DEP_1)
	v_dual_sub_f32 v76, v71, v75 :: v_dual_mul_f32 v99, 0x3fb8aa3b, v70
	ds_load_2addr_b32 v[70:71], v74 offset0:170 offset1:187
	v_mul_f32_e32 v76, 0x3fb8aa3b, v76
	v_exp_f32_e32 v99, v99
	v_exp_f32_e32 v102, v76
	v_mul_f32_e32 v100, 0x3fb8aa3b, v100
	s_waitcnt lgkmcnt(1)
	s_waitcnt_depctr 0xfff
	v_fma_f32 v76, v99, v97, 0
	v_sub_f32_e32 v97, v94, v75
	v_sub_f32_e32 v72, v72, v75
	v_exp_f32_e32 v100, v100
	ds_load_2addr_b32 v[93:94], v74 offset0:238 offset1:255
	v_dual_fmac_f32 v76, v102, v98 :: v_dual_mul_f32 v101, 0x3fb8aa3b, v72
	ds_load_2addr_b32 v[72:73], v74 offset0:204 offset1:221
	v_dual_sub_f32 v74, v95, v75 :: v_dual_mul_f32 v95, 0x3fb8aa3b, v97
	v_exp_f32_e32 v97, v103
	v_exp_f32_e32 v101, v101
	s_waitcnt lgkmcnt(0)
	s_delay_alu instid0(VALU_DEP_1)
	v_mul_f32_e32 v74, 0x3fb8aa3b, v74
	v_exp_f32_e32 v95, v95
	s_barrier
	buffer_gl0_inv
	v_fmac_f32_e32 v76, v101, v70
	v_sub_f32_e32 v70, v96, v75
	v_exp_f32_e32 v96, v74
	s_delay_alu instid0(VALU_DEP_2) | instskip(NEXT) | instid1(VALU_DEP_2)
	v_fmac_f32_e32 v76, v100, v71
	v_mul_f32_e32 v70, 0x3fb8aa3b, v70
	s_delay_alu instid0(VALU_DEP_2) | instskip(NEXT) | instid1(VALU_DEP_2)
	v_dual_cndmask_b32 v71, v99, v102 :: v_dual_fmac_f32 v76, v97, v72
	v_exp_f32_e32 v98, v70
	v_lshlrev_b32_e32 v72, 6, v69
	s_delay_alu instid0(VALU_DEP_2) | instskip(NEXT) | instid1(VALU_DEP_2)
	v_dual_fmac_f32 v76, v95, v73 :: v_dual_lshlrev_b32 v69, 2, v67
	v_lshl_or_b32 v74, v68, 11, v72
	s_delay_alu instid0(VALU_DEP_2)
	v_cmp_eq_u32_e64 s8, 7, v69
	s_delay_alu instid0(TRANS32_DEP_2) | instid1(VALU_DEP_3)
	v_fmac_f32_e32 v76, v96, v93
	s_waitcnt_depctr 0xfff
	v_fmac_f32_e32 v76, v98, v94
	s_delay_alu instid0(VALU_DEP_1) | instskip(NEXT) | instid1(VALU_DEP_1)
	v_add_f32_e32 v73, 0x358637bd, v76
	v_div_scale_f32 v93, null, v73, v73, 1.0
	v_div_scale_f32 v99, vcc_lo, 1.0, v73, 1.0
	s_delay_alu instid0(VALU_DEP_2) | instskip(SKIP_2) | instid1(VALU_DEP_1)
	v_rcp_f32_e32 v94, v93
	s_waitcnt_depctr 0xfff
	v_fma_f32 v70, -v93, v94, 1.0
	v_fmac_f32_e32 v94, v70, v94
	v_cndmask_b32_e64 v70, v71, v101, s3
	v_cmp_eq_u32_e64 s3, 6, v68
	v_or_b32_e32 v71, 1, v69
	v_or_b32_e32 v68, 2, v69
	v_mul_f32_e32 v101, v99, v94
	v_cndmask_b32_e64 v70, v70, v100, s4
	v_cmp_eq_u32_e64 s4, 1, v69
	v_cmp_eq_u32_e64 s9, 1, v71
	;; [unrolled: 1-line block ×3, first 2 shown]
	v_fma_f32 v100, -v93, v101, v99
	v_cndmask_b32_e64 v70, v70, v97, s5
	v_cmp_eq_u32_e64 s5, 2, v69
	v_cmp_eq_u32_e64 s12, 2, v71
	;; [unrolled: 1-line block ×3, first 2 shown]
	v_fmac_f32_e32 v101, v100, v94
	v_cndmask_b32_e64 v95, v70, v95, s6
	v_or_b32_e32 v70, 3, v69
	v_cmp_eq_u32_e64 s13, 3, v71
	v_cmp_eq_u32_e64 s17, 3, v68
	v_fma_f32 v93, -v93, v101, v99
	v_cndmask_b32_e64 v95, v95, v96, s3
	v_cmp_eq_u32_e64 s11, 1, v70
	v_cmp_eq_u32_e64 s16, 2, v70
	v_cmp_eq_u32_e64 s18, 3, v70
	v_div_fmas_f32 v93, v93, v94, v101
	v_cndmask_b32_e64 v94, v95, v98, s7
	v_cmp_eq_u32_e32 vcc_lo, 3, v69
	v_cmp_eq_u32_e64 s3, 4, v69
	v_cmp_eq_u32_e64 s19, 4, v71
	v_div_fixup_f32 v93, v93, v73, 1.0
	v_lshl_or_b32 v73, v67, 4, v74
	v_cmp_eq_u32_e64 s22, 4, v70
	v_cmp_eq_u32_e64 s6, 5, v69
	;; [unrolled: 1-line block ×3, first 2 shown]
	v_mul_f32_e32 v101, v94, v93
	v_cmp_eq_u32_e64 s21, 4, v68
	v_cmp_eq_u32_e64 s24, 5, v70
	;; [unrolled: 1-line block ×4, first 2 shown]
	v_fma_mixlo_f16 v93, v101, v78, 0
	v_fma_mixlo_f16 v94, v101, v80, 0
	;; [unrolled: 1-line block ×8, first 2 shown]
	v_fma_mixhi_f16 v93, v101, v77, 0
	v_fma_mixhi_f16 v94, v101, v79, 0
	;; [unrolled: 1-line block ×8, first 2 shown]
	ds_store_b128 v73, v[93:96]
	ds_store_b128 v73, v[97:100] offset:1024
	s_waitcnt lgkmcnt(0)
	s_barrier
	buffer_gl0_inv
	ds_load_b128 v[77:80], v74
	ds_load_b128 v[81:84], v74 offset:16
	ds_load_b128 v[85:88], v74 offset:1024
	;; [unrolled: 1-line block ×3, first 2 shown]
	v_cmp_eq_u32_e64 s27, 6, v70
	v_cmp_eq_u32_e64 s7, 6, v69
	v_cmp_eq_u32_e64 s26, 6, v68
	v_cmp_eq_u32_e64 s29, 7, v70
	v_cmp_eq_u32_e64 s30, 7, v71
	v_cmp_eq_u32_e64 s28, 7, v68
	s_waitcnt lgkmcnt(3)
	v_lshrrev_b32_e32 v93, 16, v77
	s_waitcnt lgkmcnt(2)
	v_lshrrev_b32_e32 v97, 16, v81
	;; [unrolled: 2-line block ×4, first 2 shown]
	v_lshrrev_b32_e32 v94, 16, v78
	v_cndmask_b32_e64 v109, v77, v93, s4
	v_cndmask_b32_e64 v110, v81, v97, s4
	;; [unrolled: 1-line block ×8, first 2 shown]
	v_lshrrev_b32_e32 v98, 16, v82
	v_cndmask_b32_e64 v93, v85, v101, s4
	v_cndmask_b32_e64 v97, v89, v105, s4
	;; [unrolled: 1-line block ×15, first 2 shown]
	v_lshrrev_b32_e32 v102, 16, v86
	v_lshrrev_b32_e32 v106, 16, v90
	v_cndmask_b32_e64 v112, v114, v82, s15
	v_cndmask_b32_e64 v81, v93, v86, s5
	;; [unrolled: 1-line block ×7, first 2 shown]
	v_cndmask_b32_e32 v89, v101, v94, vcc_lo
	v_cndmask_b32_e32 v101, v105, v98, vcc_lo
	v_cndmask_b32_e64 v105, v109, v94, s13
	v_cndmask_b32_e64 v109, v110, v98, s13
	;; [unrolled: 1-line block ×4, first 2 shown]
	v_lshrrev_b32_e32 v95, 16, v79
	v_lshrrev_b32_e32 v99, 16, v83
	v_cndmask_b32_e64 v110, v111, v94, s17
	v_cndmask_b32_e64 v111, v112, v98, s17
	v_cndmask_b32_e32 v81, v81, v102, vcc_lo
	v_cndmask_b32_e32 v82, v82, v106, vcc_lo
	v_cndmask_b32_e64 v93, v93, v102, s13
	v_cndmask_b32_e64 v89, v89, v79, s3
	;; [unrolled: 1-line block ×7, first 2 shown]
	v_lshrrev_b32_e32 v103, 16, v87
	v_cndmask_b32_e64 v105, v110, v79, s21
	v_cndmask_b32_e64 v109, v111, v83, s21
	;; [unrolled: 1-line block ×11, first 2 shown]
	v_lshrrev_b32_e32 v96, 16, v80
	v_lshrrev_b32_e32 v100, 16, v84
	v_cndmask_b32_e64 v98, v105, v95, s23
	v_cndmask_b32_e64 v101, v109, v99, s23
	;; [unrolled: 1-line block ×7, first 2 shown]
	v_lshrrev_b32_e32 v104, 16, v88
	v_cndmask_b32_e64 v79, v79, v103, s6
	v_cndmask_b32_e64 v83, v83, v80, s7
	;; [unrolled: 1-line block ×16, first 2 shown]
	v_perm_b32 v80, v78, v77, 0x5040100
	v_perm_b32 v78, v94, v84, 0x5040100
	v_cndmask_b32_e64 v77, v118, v90, s15
	v_cndmask_b32_e64 v84, v116, v90, s12
	;; [unrolled: 1-line block ×3, first 2 shown]
	v_perm_b32 v79, v93, v89, 0x5040100
	v_cndmask_b32_e64 v89, v97, v102, s17
	v_cndmask_b32_e64 v85, v85, v102, s18
	;; [unrolled: 1-line block ×5, first 2 shown]
	v_lshrrev_b32_e32 v107, 16, v91
	v_cndmask_b32_e64 v89, v89, v87, s21
	v_cndmask_b32_e64 v85, v85, v87, s22
	;; [unrolled: 1-line block ×11, first 2 shown]
	v_lshrrev_b32_e32 v108, 16, v92
	v_cndmask_b32_e64 v81, v81, v92, s7
	v_cndmask_b32_e64 v87, v87, v88, s26
	;; [unrolled: 1-line block ×12, first 2 shown]
	v_perm_b32 v77, v83, v82, 0x5040100
	v_perm_b32 v84, v86, v85, 0x5040100
	;; [unrolled: 1-line block ×5, first 2 shown]
	s_lshl_b32 s8, s33, 3
	s_mov_b32 s3, exec_lo
	ds_store_b128 v73, v[77:80]
	ds_store_b128 v73, v[81:84] offset:1024
	v_cmpx_gt_u32_e32 8, v0
	s_cbranch_execz .LBB1189_14
; %bb.13:
	v_or_b32_e32 v77, s31, v0
	s_load_b128 s[4:7], s[0:1], 0x58
	s_delay_alu instid0(VALU_DEP_1) | instskip(NEXT) | instid1(VALU_DEP_1)
	v_mad_u64_u32 v[78:79], null, s8, s34, v[77:78]
	v_mad_u64_u32 v[79:80], null, v78, s35, s[14:15]
	s_delay_alu instid0(VALU_DEP_1) | instskip(NEXT) | instid1(VALU_DEP_1)
	v_ashrrev_i32_e32 v80, 31, v79
	v_lshlrev_b64 v[77:78], 2, v[79:80]
	s_waitcnt lgkmcnt(0)
	s_delay_alu instid0(VALU_DEP_1) | instskip(NEXT) | instid1(VALU_DEP_2)
	v_add_co_u32 v79, vcc_lo, s6, v77
	v_add_co_ci_u32_e32 v80, vcc_lo, s7, v78, vcc_lo
	v_add_co_u32 v77, vcc_lo, s4, v77
	v_add_co_ci_u32_e32 v78, vcc_lo, s5, v78, vcc_lo
	global_store_b32 v[79:80], v75, off
	global_store_b32 v[77:78], v76, off
.LBB1189_14:
	s_or_b32 exec_lo, exec_lo, s3
	s_waitcnt lgkmcnt(0)
	s_waitcnt_vscnt null, 0x0
	s_barrier
	buffer_gl0_inv
	ds_load_b128 v[83:86], v72
	ds_load_b128 v[87:90], v72 offset:16
	ds_load_b128 v[95:98], v72 offset:2064
	ds_load_b128 v[91:94], v72 offset:2048
	ds_load_b128 v[103:106], v72 offset:4112
	ds_load_b128 v[99:102], v72 offset:4096
	v_cmp_eq_u32_e32 vcc_lo, 1, v69
	v_mov_b32_e32 v75, 0
	ds_load_b128 v[111:114], v72 offset:6160
	ds_load_b128 v[107:110], v72 offset:6144
	;; [unrolled: 1-line block ×4, first 2 shown]
	v_cmp_eq_u32_e64 s4, 1, v68
	v_cmp_eq_u32_e64 s3, 1, v71
	;; [unrolled: 1-line block ×3, first 2 shown]
	v_mov_b32_e32 v76, v75
	v_mov_b32_e32 v77, v75
	;; [unrolled: 1-line block ×7, first 2 shown]
	v_cmp_eq_u32_e64 s6, 3, v71
	v_cmp_eq_u32_e64 s7, 7, v71
	s_waitcnt lgkmcnt(8)
	s_delay_alu instid0(VALU_DEP_3)
	v_wmma_f32_16x16x16_f16 v[75:82], v[49:56], v[83:90], v[75:82]
	ds_load_b128 v[53:56], v72 offset:10256
	ds_load_b128 v[49:52], v72 offset:10240
	s_waitcnt lgkmcnt(8)
	v_wmma_f32_16x16x16_f16 v[75:82], v[41:48], v[91:98], v[75:82]
	ds_load_b128 v[45:48], v72 offset:12304
	ds_load_b128 v[41:44], v72 offset:12288
	s_waitcnt lgkmcnt(8)
	;; [unrolled: 4-line block ×3, first 2 shown]
	s_barrier
	buffer_gl0_inv
	v_wmma_f32_16x16x16_f16 v[75:82], v[1:8], v[107:114], v[75:82]
	s_delay_alu instid0(VALU_DEP_1) | instskip(NEXT) | instid1(VALU_DEP_1)
	v_wmma_f32_16x16x16_f16 v[75:82], v[9:16], v[115:122], v[75:82]
	v_wmma_f32_16x16x16_f16 v[75:82], v[17:24], v[49:56], v[75:82]
	s_delay_alu instid0(VALU_DEP_1) | instskip(NEXT) | instid1(VALU_DEP_1)
	v_wmma_f32_16x16x16_f16 v[75:82], v[25:32], v[41:48], v[75:82]
	v_wmma_f32_16x16x16_f16 v[75:82], v[57:64], v[33:40], v[75:82]
	s_delay_alu instid0(VALU_DEP_1) | instskip(NEXT) | instid1(VALU_DEP_2)
	v_cvt_f16_f32_e32 v1, v75
	v_cvt_f16_f32_e32 v2, v76
	s_delay_alu instid0(VALU_DEP_3) | instskip(NEXT) | instid1(VALU_DEP_4)
	v_cvt_f16_f32_e32 v3, v77
	v_cvt_f16_f32_e32 v4, v78
	v_cvt_f16_f32_e32 v5, v79
	v_cvt_f16_f32_e32 v6, v80
	v_cvt_f16_f32_e32 v7, v81
	v_cvt_f16_f32_e32 v8, v82
	v_pack_b32_f16 v1, v1, v2
	v_pack_b32_f16 v2, v3, v4
	;; [unrolled: 1-line block ×3, first 2 shown]
	s_delay_alu instid0(VALU_DEP_4)
	v_pack_b32_f16 v4, v7, v8
	ds_store_b128 v73, v[1:4]
	s_waitcnt lgkmcnt(0)
	s_barrier
	buffer_gl0_inv
	ds_load_b128 v[1:4], v74
	ds_load_b128 v[5:8], v74 offset:16
	s_waitcnt lgkmcnt(1)
	v_lshrrev_b32_e32 v9, 16, v1
	s_waitcnt lgkmcnt(0)
	v_lshrrev_b32_e32 v13, 16, v5
	v_lshrrev_b32_e32 v10, 16, v2
	;; [unrolled: 1-line block ×4, first 2 shown]
	v_cndmask_b32_e32 v17, v1, v9, vcc_lo
	v_cndmask_b32_e32 v18, v5, v13, vcc_lo
	v_cndmask_b32_e64 v21, v1, v9, s4
	v_cmp_eq_u32_e32 vcc_lo, 1, v70
	v_cndmask_b32_e64 v22, v5, v13, s4
	v_cmp_eq_u32_e64 s4, 2, v69
	v_cndmask_b32_e64 v19, v1, v9, s3
	v_cndmask_b32_e64 v20, v5, v13, s3
	v_cndmask_b32_e32 v1, v1, v9, vcc_lo
	v_cmp_eq_u32_e64 s3, 2, v70
	v_cndmask_b32_e32 v5, v5, v13, vcc_lo
	v_cndmask_b32_e64 v9, v17, v2, s4
	v_cmp_eq_u32_e32 vcc_lo, 3, v69
	v_cndmask_b32_e64 v13, v18, v6, s4
	v_cmp_eq_u32_e64 s4, 2, v68
	v_cndmask_b32_e64 v17, v19, v2, s5
	v_cndmask_b32_e64 v18, v20, v6, s5
	v_cmp_eq_u32_e64 s5, 3, v68
	v_cndmask_b32_e64 v1, v1, v2, s3
	v_cndmask_b32_e64 v19, v21, v2, s4
	;; [unrolled: 1-line block ×4, first 2 shown]
	v_cndmask_b32_e32 v5, v9, v10, vcc_lo
	v_cndmask_b32_e32 v6, v13, v14, vcc_lo
	v_cmp_eq_u32_e32 vcc_lo, 3, v70
	v_cndmask_b32_e64 v9, v17, v10, s6
	v_cndmask_b32_e64 v13, v18, v14, s6
	;; [unrolled: 1-line block ×3, first 2 shown]
	v_cmp_eq_u32_e64 s4, 4, v69
	v_cndmask_b32_e32 v1, v1, v10, vcc_lo
	v_cndmask_b32_e32 v2, v2, v14, vcc_lo
	v_cmp_eq_u32_e32 vcc_lo, 4, v71
	v_lshrrev_b32_e32 v15, 16, v7
	v_lshrrev_b32_e32 v16, 16, v8
	v_cndmask_b32_e64 v17, v19, v10, s5
	v_cmp_eq_u32_e64 s3, 4, v70
	v_cndmask_b32_e64 v5, v5, v3, s4
	v_cndmask_b32_e64 v6, v6, v7, s4
	v_cndmask_b32_e32 v9, v9, v3, vcc_lo
	v_cmp_eq_u32_e64 s4, 5, v71
	v_cndmask_b32_e32 v10, v13, v7, vcc_lo
	v_cmp_eq_u32_e32 vcc_lo, 4, v68
	v_cmp_eq_u32_e64 s5, 5, v69
	v_cndmask_b32_e64 v2, v2, v7, s3
	v_cndmask_b32_e64 v9, v9, v11, s4
	v_cndmask_b32_e64 v10, v10, v15, s4
	v_cndmask_b32_e32 v13, v17, v3, vcc_lo
	v_cmp_eq_u32_e64 s4, 5, v68
	v_cndmask_b32_e32 v14, v18, v7, vcc_lo
	v_cndmask_b32_e64 v1, v1, v3, s3
	v_cmp_eq_u32_e32 vcc_lo, 5, v70
	v_lshrrev_b32_e32 v12, 16, v4
	v_cndmask_b32_e64 v13, v13, v11, s4
	v_cndmask_b32_e64 v3, v14, v15, s4
	v_cmp_eq_u32_e64 s4, 6, v70
	v_cndmask_b32_e32 v1, v1, v11, vcc_lo
	v_cndmask_b32_e64 v5, v5, v11, s5
	v_cmp_eq_u32_e64 s6, 6, v69
	v_cndmask_b32_e64 v6, v6, v15, s5
	v_cmp_eq_u32_e64 s5, 6, v71
	v_cmp_eq_u32_e64 s3, 6, v68
	v_cndmask_b32_e64 v1, v1, v4, s4
	v_cndmask_b32_e32 v2, v2, v15, vcc_lo
	v_cmp_eq_u32_e32 vcc_lo, 7, v70
	v_cndmask_b32_e64 v5, v5, v4, s6
	v_cndmask_b32_e64 v9, v9, v4, s5
	v_cndmask_b32_e64 v6, v6, v8, s6
	v_cmp_eq_u32_e64 s6, 7, v69
	v_cndmask_b32_e32 v1, v1, v12, vcc_lo
	v_cndmask_b32_e64 v7, v13, v4, s3
	v_cndmask_b32_e64 v3, v3, v8, s3
	;; [unrolled: 1-line block ×3, first 2 shown]
	v_cmp_eq_u32_e64 s3, 7, v68
	v_cndmask_b32_e64 v4, v10, v8, s5
	v_cndmask_b32_e64 v5, v5, v12, s6
	;; [unrolled: 1-line block ×3, first 2 shown]
	v_cndmask_b32_e32 v2, v2, v16, vcc_lo
	v_cndmask_b32_e64 v7, v7, v12, s3
	v_cndmask_b32_e64 v3, v3, v16, s3
	;; [unrolled: 1-line block ×4, first 2 shown]
	v_cmp_gt_u32_e32 vcc_lo, 32, v0
	v_perm_b32 v4, v2, v1, 0x5040100
	v_perm_b32 v3, v3, v7, 0x5040100
	;; [unrolled: 1-line block ×4, first 2 shown]
	s_and_b32 s2, vcc_lo, s2
	ds_store_b128 v73, v[1:4]
	s_waitcnt lgkmcnt(0)
	s_barrier
	buffer_gl0_inv
	s_and_saveexec_b32 s3, s2
	s_cbranch_execz .LBB1189_2
; %bb.15:
	s_load_b64 s[0:1], s[0:1], 0x68
	s_lshl_b32 s4, s35, 6
	v_or_b32_e32 v2, s31, v67
	s_mul_i32 s2, s4, s34
	v_lshlrev_b32_e32 v1, 10, v0
	s_mul_i32 s2, s2, s8
	v_lshlrev_b32_e32 v3, 4, v66
	v_mul_lo_u32 v0, v2, s4
	s_ashr_i32 s3, s2, 31
	v_lshlrev_b32_e32 v4, 6, v67
	v_and_b32_e32 v1, 0x3800, v1
	v_or_b32_e32 v5, 2, v2
	s_lshl_b64 s[2:3], s[2:3], 1
	v_or_b32_e32 v6, 4, v2
	v_or_b32_e32 v7, 6, v2
	v_or3_b32 v12, v1, v3, v4
	v_ashrrev_i32_e32 v1, 31, v0
	v_mul_lo_u32 v2, v5, s4
	v_mul_lo_u32 v16, v6, s4
	;; [unrolled: 1-line block ×3, first 2 shown]
	s_waitcnt lgkmcnt(0)
	s_add_u32 s2, s0, s2
	s_addc_u32 s3, s1, s3
	s_lshl_b32 s0, s14, 6
	v_lshlrev_b64 v[0:1], 1, v[0:1]
	s_ashr_i32 s1, s0, 31
	v_ashrrev_i32_e32 v3, 31, v2
	s_lshl_b64 s[0:1], s[0:1], 1
	v_ashrrev_i32_e32 v17, 31, v16
	s_add_u32 s0, s2, s0
	s_addc_u32 s1, s3, s1
	v_add_co_u32 v24, s0, s0, v65
	s_delay_alu instid0(VALU_DEP_1) | instskip(SKIP_1) | instid1(VALU_DEP_3)
	v_add_co_ci_u32_e64 v25, null, s1, 0, s0
	v_lshlrev_b64 v[22:23], 1, v[2:3]
	v_add_co_u32 v18, vcc_lo, v24, v0
	s_delay_alu instid0(VALU_DEP_3)
	v_add_co_ci_u32_e32 v19, vcc_lo, v25, v1, vcc_lo
	ds_load_b128 v[0:3], v12
	ds_load_b128 v[4:7], v12 offset:128
	ds_load_b128 v[8:11], v12 offset:256
	;; [unrolled: 1-line block ×3, first 2 shown]
	v_ashrrev_i32_e32 v21, 31, v20
	v_lshlrev_b64 v[16:17], 1, v[16:17]
	v_add_co_u32 v22, vcc_lo, v24, v22
	v_add_co_ci_u32_e32 v23, vcc_lo, v25, v23, vcc_lo
	s_delay_alu instid0(VALU_DEP_4) | instskip(NEXT) | instid1(VALU_DEP_4)
	v_lshlrev_b64 v[20:21], 1, v[20:21]
	v_add_co_u32 v16, vcc_lo, v24, v16
	v_add_co_ci_u32_e32 v17, vcc_lo, v25, v17, vcc_lo
	s_delay_alu instid0(VALU_DEP_3) | instskip(NEXT) | instid1(VALU_DEP_4)
	v_add_co_u32 v20, vcc_lo, v24, v20
	v_add_co_ci_u32_e32 v21, vcc_lo, v25, v21, vcc_lo
	s_waitcnt lgkmcnt(3)
	global_store_b128 v[18:19], v[0:3], off
	s_waitcnt lgkmcnt(2)
	global_store_b128 v[22:23], v[4:7], off
	;; [unrolled: 2-line block ×4, first 2 shown]
	s_nop 0
	s_sendmsg sendmsg(MSG_DEALLOC_VGPRS)
	s_endpgm
	.section	.rodata,"a",@progbits
	.p2align	6, 0x0
	.amdhsa_kernel _Z39paged_attention_ll4mi_QKV_mfma16_kernelIDF16_hLN4vllm18Fp8KVCacheDataTypeE1EDF16_Li32ELi64ELi256ELb1ELi8EL8MFMAType0EEvPKT_PKT0_S8_ifPKiSA_SA_iPKfiiiPfSD_PS3_PT2_iSC_SC_
		.amdhsa_group_segment_fixed_size 17472
		.amdhsa_private_segment_fixed_size 0
		.amdhsa_kernarg_size 400
		.amdhsa_user_sgpr_count 13
		.amdhsa_user_sgpr_dispatch_ptr 0
		.amdhsa_user_sgpr_queue_ptr 0
		.amdhsa_user_sgpr_kernarg_segment_ptr 1
		.amdhsa_user_sgpr_dispatch_id 0
		.amdhsa_user_sgpr_private_segment_size 0
		.amdhsa_wavefront_size32 1
		.amdhsa_uses_dynamic_stack 0
		.amdhsa_enable_private_segment 0
		.amdhsa_system_sgpr_workgroup_id_x 1
		.amdhsa_system_sgpr_workgroup_id_y 1
		.amdhsa_system_sgpr_workgroup_id_z 1
		.amdhsa_system_sgpr_workgroup_info 0
		.amdhsa_system_vgpr_workitem_id 0
		.amdhsa_next_free_vgpr 123
		.amdhsa_next_free_sgpr 42
		.amdhsa_reserve_vcc 1
		.amdhsa_float_round_mode_32 0
		.amdhsa_float_round_mode_16_64 0
		.amdhsa_float_denorm_mode_32 3
		.amdhsa_float_denorm_mode_16_64 3
		.amdhsa_dx10_clamp 1
		.amdhsa_ieee_mode 1
		.amdhsa_fp16_overflow 0
		.amdhsa_workgroup_processor_mode 1
		.amdhsa_memory_ordered 1
		.amdhsa_forward_progress 0
		.amdhsa_shared_vgpr_count 0
		.amdhsa_exception_fp_ieee_invalid_op 0
		.amdhsa_exception_fp_denorm_src 0
		.amdhsa_exception_fp_ieee_div_zero 0
		.amdhsa_exception_fp_ieee_overflow 0
		.amdhsa_exception_fp_ieee_underflow 0
		.amdhsa_exception_fp_ieee_inexact 0
		.amdhsa_exception_int_div_zero 0
	.end_amdhsa_kernel
	.section	.text._Z39paged_attention_ll4mi_QKV_mfma16_kernelIDF16_hLN4vllm18Fp8KVCacheDataTypeE1EDF16_Li32ELi64ELi256ELb1ELi8EL8MFMAType0EEvPKT_PKT0_S8_ifPKiSA_SA_iPKfiiiPfSD_PS3_PT2_iSC_SC_,"axG",@progbits,_Z39paged_attention_ll4mi_QKV_mfma16_kernelIDF16_hLN4vllm18Fp8KVCacheDataTypeE1EDF16_Li32ELi64ELi256ELb1ELi8EL8MFMAType0EEvPKT_PKT0_S8_ifPKiSA_SA_iPKfiiiPfSD_PS3_PT2_iSC_SC_,comdat
.Lfunc_end1189:
	.size	_Z39paged_attention_ll4mi_QKV_mfma16_kernelIDF16_hLN4vllm18Fp8KVCacheDataTypeE1EDF16_Li32ELi64ELi256ELb1ELi8EL8MFMAType0EEvPKT_PKT0_S8_ifPKiSA_SA_iPKfiiiPfSD_PS3_PT2_iSC_SC_, .Lfunc_end1189-_Z39paged_attention_ll4mi_QKV_mfma16_kernelIDF16_hLN4vllm18Fp8KVCacheDataTypeE1EDF16_Li32ELi64ELi256ELb1ELi8EL8MFMAType0EEvPKT_PKT0_S8_ifPKiSA_SA_iPKfiiiPfSD_PS3_PT2_iSC_SC_
                                        ; -- End function
	.section	.AMDGPU.csdata,"",@progbits
; Kernel info:
; codeLenInByte = 6500
; NumSgprs: 44
; NumVgprs: 123
; ScratchSize: 0
; MemoryBound: 0
; FloatMode: 240
; IeeeMode: 1
; LDSByteSize: 17472 bytes/workgroup (compile time only)
; SGPRBlocks: 5
; VGPRBlocks: 15
; NumSGPRsForWavesPerEU: 44
; NumVGPRsForWavesPerEU: 123
; Occupancy: 10
; WaveLimiterHint : 1
; COMPUTE_PGM_RSRC2:SCRATCH_EN: 0
; COMPUTE_PGM_RSRC2:USER_SGPR: 13
; COMPUTE_PGM_RSRC2:TRAP_HANDLER: 0
; COMPUTE_PGM_RSRC2:TGID_X_EN: 1
; COMPUTE_PGM_RSRC2:TGID_Y_EN: 1
; COMPUTE_PGM_RSRC2:TGID_Z_EN: 1
; COMPUTE_PGM_RSRC2:TIDIG_COMP_CNT: 0
	.section	.text._Z39paged_attention_ll4mi_QKV_mfma16_kernelIDF16_hLN4vllm18Fp8KVCacheDataTypeE1EDF16_Li32ELi64ELi256ELb1ELi9EL8MFMAType0EEvPKT_PKT0_S8_ifPKiSA_SA_iPKfiiiPfSD_PS3_PT2_iSC_SC_,"axG",@progbits,_Z39paged_attention_ll4mi_QKV_mfma16_kernelIDF16_hLN4vllm18Fp8KVCacheDataTypeE1EDF16_Li32ELi64ELi256ELb1ELi9EL8MFMAType0EEvPKT_PKT0_S8_ifPKiSA_SA_iPKfiiiPfSD_PS3_PT2_iSC_SC_,comdat
	.protected	_Z39paged_attention_ll4mi_QKV_mfma16_kernelIDF16_hLN4vllm18Fp8KVCacheDataTypeE1EDF16_Li32ELi64ELi256ELb1ELi9EL8MFMAType0EEvPKT_PKT0_S8_ifPKiSA_SA_iPKfiiiPfSD_PS3_PT2_iSC_SC_ ; -- Begin function _Z39paged_attention_ll4mi_QKV_mfma16_kernelIDF16_hLN4vllm18Fp8KVCacheDataTypeE1EDF16_Li32ELi64ELi256ELb1ELi9EL8MFMAType0EEvPKT_PKT0_S8_ifPKiSA_SA_iPKfiiiPfSD_PS3_PT2_iSC_SC_
	.globl	_Z39paged_attention_ll4mi_QKV_mfma16_kernelIDF16_hLN4vllm18Fp8KVCacheDataTypeE1EDF16_Li32ELi64ELi256ELb1ELi9EL8MFMAType0EEvPKT_PKT0_S8_ifPKiSA_SA_iPKfiiiPfSD_PS3_PT2_iSC_SC_
	.p2align	8
	.type	_Z39paged_attention_ll4mi_QKV_mfma16_kernelIDF16_hLN4vllm18Fp8KVCacheDataTypeE1EDF16_Li32ELi64ELi256ELb1ELi9EL8MFMAType0EEvPKT_PKT0_S8_ifPKiSA_SA_iPKfiiiPfSD_PS3_PT2_iSC_SC_,@function
_Z39paged_attention_ll4mi_QKV_mfma16_kernelIDF16_hLN4vllm18Fp8KVCacheDataTypeE1EDF16_Li32ELi64ELi256ELb1ELi9EL8MFMAType0EEvPKT_PKT0_S8_ifPKiSA_SA_iPKfiiiPfSD_PS3_PT2_iSC_SC_: ; @_Z39paged_attention_ll4mi_QKV_mfma16_kernelIDF16_hLN4vllm18Fp8KVCacheDataTypeE1EDF16_Li32ELi64ELi256ELb1ELi9EL8MFMAType0EEvPKT_PKT0_S8_ifPKiSA_SA_iPKfiiiPfSD_PS3_PT2_iSC_SC_
; %bb.0:
	s_load_b64 s[2:3], s[0:1], 0x30
	s_mov_b32 s34, s13
	s_waitcnt lgkmcnt(0)
	s_cmp_lg_u64 s[2:3], 0
	s_cselect_b32 s6, -1, 0
	s_ashr_i32 s35, s13, 31
	s_cmp_eq_u64 s[2:3], 0
	s_cbranch_scc1 .LBB1190_3
; %bb.1:
	s_lshl_b64 s[4:5], s[34:35], 2
	s_delay_alu instid0(SALU_CYCLE_1) | instskip(SKIP_4) | instid1(SALU_CYCLE_1)
	s_add_u32 s4, s2, s4
	s_addc_u32 s5, s3, s5
	s_load_b64 s[4:5], s[4:5], 0x0
	s_waitcnt lgkmcnt(0)
	s_sub_i32 s4, s5, s4
	s_cmp_eq_u32 s4, 1
	s_cselect_b32 s4, -1, 0
	s_delay_alu instid0(SALU_CYCLE_1)
	s_and_not1_b32 vcc_lo, exec_lo, s4
	s_cbranch_vccz .LBB1190_4
.LBB1190_2:
	s_nop 0
	s_sendmsg sendmsg(MSG_DEALLOC_VGPRS)
	s_endpgm
.LBB1190_3:
.LBB1190_4:
	s_load_b64 s[8:9], s[0:1], 0x28
	s_lshl_b64 s[4:5], s[34:35], 2
	s_waitcnt lgkmcnt(0)
	s_add_u32 s8, s8, s4
	s_addc_u32 s9, s9, s5
	s_lshl_b32 s16, s14, 8
	s_load_b32 s18, s[8:9], 0x0
	s_waitcnt lgkmcnt(0)
	s_cmp_ge_i32 s16, s18
	s_cbranch_scc1 .LBB1190_2
; %bb.5:
	s_clause 0x1
	s_load_b128 s[8:11], s[0:1], 0x8
	s_load_b64 s[12:13], s[0:1], 0x20
	s_and_not1_b32 vcc_lo, exec_lo, s6
	s_cbranch_vccnz .LBB1190_7
; %bb.6:
	s_add_u32 s2, s2, s4
	s_addc_u32 s3, s3, s5
	s_load_b32 s3, s[2:3], 0x0
	s_branch .LBB1190_8
.LBB1190_7:
	s_mov_b32 s3, s34
.LBB1190_8:
	s_load_b128 s[4:7], s[0:1], 0x48
	v_lshrrev_b32_e32 v69, 5, v0
	v_bfe_u32 v66, v0, 4, 1
	v_and_b32_e32 v68, 15, v0
	v_and_b32_e32 v70, 31, v0
	;; [unrolled: 1-line block ×3, first 2 shown]
	s_mul_i32 s33, s15, 9
	v_lshl_or_b32 v1, v69, 1, v66
	v_lshlrev_b32_e32 v2, 3, v68
	v_cmp_gt_u32_e64 s2, 8, v68
	s_delay_alu instid0(VALU_DEP_3) | instskip(NEXT) | instid1(VALU_DEP_3)
	v_cmp_gt_u32_e32 vcc_lo, 9, v1
	v_lshlrev_b32_e32 v65, 1, v2
	s_delay_alu instid0(VALU_DEP_3)
	s_and_b32 s17, s2, vcc_lo
	s_waitcnt lgkmcnt(0)
	s_and_saveexec_b32 s7, s17
	s_cbranch_execz .LBB1190_10
; %bb.9:
	s_load_b64 s[20:21], s[0:1], 0x0
	v_add_lshl_u32 v2, v1, s33, 6
	s_mul_hi_i32 s23, s3, s4
	s_mul_i32 s22, s3, s4
	v_lshlrev_b32_e32 v6, 10, v68
	s_lshl_b64 s[22:23], s[22:23], 1
	v_ashrrev_i32_e32 v3, 31, v2
	v_lshlrev_b32_e32 v1, 6, v1
	v_lshlrev_b32_e32 v7, 10, v67
	v_and_b32_e32 v6, 0x3800, v6
	s_delay_alu instid0(VALU_DEP_4) | instskip(NEXT) | instid1(VALU_DEP_2)
	v_lshlrev_b64 v[2:3], 1, v[2:3]
	v_or3_b32 v1, v6, v7, v1
	s_waitcnt lgkmcnt(0)
	s_add_u32 s3, s20, s22
	s_addc_u32 s4, s21, s23
	s_delay_alu instid0(VALU_DEP_2) | instskip(SKIP_1) | instid1(VALU_DEP_2)
	v_add_co_u32 v2, vcc_lo, s3, v2
	v_add_co_ci_u32_e32 v3, vcc_lo, s4, v3, vcc_lo
	v_add_co_u32 v2, vcc_lo, v2, v65
	s_delay_alu instid0(VALU_DEP_2)
	v_add_co_ci_u32_e32 v3, vcc_lo, 0, v3, vcc_lo
	global_load_b128 v[2:5], v[2:3], off
	s_waitcnt vmcnt(0)
	ds_store_b128 v1, v[2:5]
.LBB1190_10:
	s_or_b32 exec_lo, exec_lo, s7
	v_and_b32_e32 v1, 0xef, v0
	s_add_i32 s3, s18, 31
	s_clause 0x1
	s_load_b32 s4, s[0:1], 0x38
	s_load_b32 s35, s[0:1], 0x98
	s_ashr_i32 s7, s3, 31
	v_add_nc_u32_e32 v1, s16, v1
	s_lshr_b32 s7, s7, 27
	s_load_b32 s19, s[0:1], 0x1c
	v_add_nc_u32_e32 v103, -9, v68
	s_add_i32 s3, s3, s7
	v_ashrrev_i32_e32 v2, 31, v1
	v_or_b32_e32 v3, 16, v1
	s_ashr_i32 s3, s3, 5
	v_cmp_gt_i32_e32 vcc_lo, s18, v1
	s_add_i32 s3, s3, -1
	v_lshrrev_b32_e32 v2, 27, v2
	s_waitcnt lgkmcnt(0)
	s_barrier
	buffer_gl0_inv
	s_mul_i32 s15, s15, s6
	v_add_nc_u32_e32 v4, v1, v2
	v_mbcnt_lo_u32_b32 v127, -1, 0
	s_mul_i32 s20, s34, s4
	s_delay_alu instid0(SALU_CYCLE_1) | instskip(NEXT) | instid1(VALU_DEP_2)
	s_ashr_i32 s21, s20, 31
	v_ashrrev_i32_e32 v4, 5, v4
	v_add_nc_u32_e32 v2, v3, v2
	s_lshl_b64 s[20:21], s[20:21], 2
	v_xor_b32_e32 v128, 16, v127
	s_add_u32 s17, s12, s20
	v_cndmask_b32_e32 v1, s3, v4, vcc_lo
	v_ashrrev_i32_e32 v2, 5, v2
	v_cmp_gt_i32_e32 vcc_lo, s18, v3
	s_addc_u32 s13, s13, s21
	s_ashr_i32 s20, s15, 31
	s_add_u32 s22, s8, s15
	s_addc_u32 s23, s9, s20
	v_cndmask_b32_e32 v3, s3, v2, vcc_lo
	v_ashrrev_i32_e32 v2, 31, v1
	s_lshl_b32 s6, s14, 3
	s_delay_alu instid0(SALU_CYCLE_1) | instskip(NEXT) | instid1(VALU_DEP_2)
	s_ashr_i32 s7, s6, 31
	v_ashrrev_i32_e32 v4, 31, v3
	s_delay_alu instid0(VALU_DEP_2) | instskip(SKIP_1) | instid1(SALU_CYCLE_1)
	v_lshlrev_b64 v[1:2], 2, v[1:2]
	s_lshl_b64 s[6:7], s[6:7], 2
	s_add_u32 s6, s17, s6
	s_delay_alu instid0(VALU_DEP_2) | instskip(SKIP_1) | instid1(VALU_DEP_2)
	v_lshlrev_b64 v[3:4], 2, v[3:4]
	s_addc_u32 s7, s13, s7
	v_add_co_u32 v1, vcc_lo, s17, v1
	v_add_co_ci_u32_e32 v2, vcc_lo, s13, v2, vcc_lo
	s_delay_alu instid0(VALU_DEP_3) | instskip(NEXT) | instid1(VALU_DEP_4)
	v_add_co_u32 v3, vcc_lo, s17, v3
	v_add_co_ci_u32_e32 v4, vcc_lo, s13, v4, vcc_lo
	s_clause 0x1
	global_load_b32 v5, v[1:2], off
	global_load_b32 v6, v[3:4], off
	s_or_b32 s4, s16, 32
	s_delay_alu instid0(SALU_CYCLE_1) | instskip(SKIP_2) | instid1(SALU_CYCLE_1)
	s_ashr_i32 s8, s4, 5
	s_cmp_lt_i32 s4, s18
	s_cselect_b32 s8, s8, s3
	s_ashr_i32 s9, s8, 31
	s_delay_alu instid0(SALU_CYCLE_1) | instskip(NEXT) | instid1(SALU_CYCLE_1)
	s_lshl_b64 s[8:9], s[8:9], 2
	s_add_u32 s8, s17, s8
	s_addc_u32 s9, s13, s9
	s_or_b32 s4, s16, 64
	s_delay_alu instid0(SALU_CYCLE_1) | instskip(SKIP_2) | instid1(SALU_CYCLE_1)
	s_ashr_i32 s12, s4, 5
	s_cmp_lt_i32 s4, s18
	s_cselect_b32 s24, s12, s3
	s_ashr_i32 s25, s24, 31
	s_delay_alu instid0(SALU_CYCLE_1) | instskip(NEXT) | instid1(SALU_CYCLE_1)
	s_lshl_b64 s[24:25], s[24:25], 2
	s_add_u32 s24, s17, s24
	s_addc_u32 s25, s13, s25
	;; [unrolled: 10-line block ×5, first 2 shown]
	s_clause 0x5
	s_load_b32 s12, s[6:7], 0x0
	s_load_b32 s4, s[8:9], 0x0
	;; [unrolled: 1-line block ×6, first 2 shown]
	s_or_b32 s21, s16, 0xc0
	s_waitcnt vmcnt(1)
	v_mad_i64_i32 v[1:2], null, v5, s5, s[22:23]
	v_lshlrev_b32_e32 v5, 4, v68
	s_waitcnt vmcnt(0)
	v_mad_i64_i32 v[3:4], null, v6, s5, s[22:23]
	s_ashr_i32 s22, s21, 5
	s_cmp_lt_i32 s21, s18
	s_delay_alu instid0(VALU_DEP_3) | instskip(NEXT) | instid1(VALU_DEP_4)
	v_add_co_u32 v1, vcc_lo, v1, v5
	v_add_co_ci_u32_e32 v2, vcc_lo, 0, v2, vcc_lo
	s_delay_alu instid0(VALU_DEP_3) | instskip(NEXT) | instid1(VALU_DEP_4)
	v_add_co_u32 v3, vcc_lo, v3, v5
	v_add_co_ci_u32_e32 v4, vcc_lo, 0, v4, vcc_lo
	s_clause 0x7
	global_load_b128 v[71:74], v[1:2], off
	global_load_b128 v[75:78], v[1:2], off offset:512
	global_load_b128 v[79:82], v[3:4], off offset:256
	;; [unrolled: 1-line block ×7, first 2 shown]
	s_cselect_b32 s22, s22, s3
	v_lshlrev_b32_e32 v1, 5, v68
	s_ashr_i32 s23, s22, 31
	v_cmp_gt_u32_e32 vcc_lo, 9, v68
	s_lshl_b64 s[22:23], s[22:23], 2
	s_delay_alu instid0(SALU_CYCLE_1)
	s_add_u32 s22, s17, s22
	s_addc_u32 s23, s13, s23
	s_or_b32 s21, s16, 0xe0
	v_lshl_or_b32 v1, v69, 9, v1
	s_ashr_i32 s24, s21, 5
	s_cmp_lt_i32 s21, s18
	v_cndmask_b32_e32 v103, v103, v68, vcc_lo
	s_cselect_b32 s24, s24, s3
	s_load_b32 s3, s[22:23], 0x0
	s_ashr_i32 s25, s24, 31
	v_cmp_gt_i32_e32 vcc_lo, 32, v128
	s_lshl_b64 s[24:25], s[24:25], 2
	v_lshlrev_b32_e32 v115, 6, v103
	s_add_u32 s22, s17, s24
	s_addc_u32 s23, s13, s25
	v_cndmask_b32_e32 v136, v127, v128, vcc_lo
	s_add_u32 s10, s10, s15
	s_addc_u32 s11, s11, s20
	v_add_co_u32 v1, s10, s10, v1
	s_delay_alu instid0(VALU_DEP_1) | instskip(SKIP_2) | instid1(VALU_DEP_1)
	v_add_co_ci_u32_e64 v2, null, s11, 0, s10
	s_load_b32 s10, s[22:23], 0x0
	s_waitcnt lgkmcnt(0)
	v_mad_i64_i32 v[3:4], null, s12, s5, v[1:2]
	v_mad_i64_i32 v[9:10], null, s7, s5, v[1:2]
	v_mad_i64_i32 v[5:6], null, s4, s5, v[1:2]
	v_mad_i64_i32 v[13:14], null, s8, s5, v[1:2]
	v_mad_i64_i32 v[7:8], null, s6, s5, v[1:2]
	v_mad_i64_i32 v[21:22], null, s9, s5, v[1:2]
	v_mad_i64_i32 v[29:30], null, s3, s5, v[1:2]
	s_clause 0x5
	global_load_b128 v[49:52], v[3:4], off
	global_load_b128 v[53:56], v[3:4], off offset:16
	global_load_b128 v[41:44], v[5:6], off
	global_load_b128 v[45:48], v[5:6], off offset:16
	;; [unrolled: 2-line block ×3, first 2 shown]
	s_mov_b32 s4, 0
	v_mad_i64_i32 v[61:62], null, s10, s5, v[1:2]
	s_clause 0x9
	global_load_b128 v[1:4], v[9:10], off
	global_load_b128 v[5:8], v[9:10], off offset:16
	global_load_b128 v[9:12], v[13:14], off
	global_load_b128 v[13:16], v[13:14], off offset:16
	;; [unrolled: 2-line block ×5, first 2 shown]
	s_mov_b32 s5, s4
	s_mov_b32 s6, s4
	;; [unrolled: 1-line block ×7, first 2 shown]
	v_and_b32_e32 v104, 0xe0, v0
	v_dual_mov_b32 v126, s11 :: v_dual_mov_b32 v125, s10
	v_dual_mov_b32 v124, s9 :: v_dual_mov_b32 v123, s8
	s_delay_alu instid0(VALU_DEP_3)
	v_add_nc_u32_e32 v111, s16, v104
	ds_load_b128 v[103:106], v115
	ds_load_b128 v[107:110], v115 offset:1024
	v_dual_mov_b32 v122, s7 :: v_dual_mov_b32 v121, s6
	v_mov_b32_e32 v120, s5
	v_or_b32_e32 v135, v111, v66
	ds_load_b128 v[111:114], v115 offset:2048
	ds_load_b128 v[115:118], v115 offset:3072
	v_mov_b32_e32 v119, s4
	s_waitcnt vmcnt(0) lgkmcnt(0)
	s_barrier
	v_or_b32_e32 v137, 2, v135
	v_or_b32_e32 v138, 4, v135
	;; [unrolled: 1-line block ×3, first 2 shown]
	v_cmp_gt_i32_e32 vcc_lo, s18, v135
	v_or_b32_e32 v140, 8, v135
	v_cmp_gt_i32_e64 s3, s18, v137
	v_or_b32_e32 v141, 10, v135
	v_cmp_gt_i32_e64 s4, s18, v138
	v_cmp_gt_i32_e64 s5, s18, v139
	v_or_b32_e32 v142, 12, v135
	v_or_b32_e32 v143, 14, v135
	v_cmp_gt_i32_e64 s6, s18, v140
	v_cmp_gt_i32_e64 s7, s18, v141
	v_or_b32_e32 v144, 16, v135
	v_or_b32_e32 v145, 18, v135
	v_cmp_gt_i32_e64 s8, s18, v142
	v_cmp_gt_i32_e64 s9, s18, v143
	buffer_gl0_inv
	v_cmp_gt_i32_e64 s10, s18, v144
	v_cmp_gt_i32_e64 s11, s18, v145
	v_wmma_f32_16x16x16_f16 v[127:134], v[71:78], v[103:110], v[119:126]
	v_wmma_f32_16x16x16_f16 v[119:126], v[79:86], v[103:110], v[119:126]
	v_or_b32_e32 v71, 20, v135
	v_or_b32_e32 v72, 22, v135
	s_delay_alu instid0(VALU_DEP_4)
	v_wmma_f32_16x16x16_f16 v[127:134], v[87:94], v[111:118], v[127:134]
	v_or_b32_e32 v73, 24, v135
	v_wmma_f32_16x16x16_f16 v[119:126], v[95:102], v[111:118], v[119:126]
	v_or_b32_e32 v74, 26, v135
	v_cmp_gt_i32_e64 s12, s18, v71
	v_dual_mul_f32 v83, s19, v128 :: v_dual_mul_f32 v84, s19, v127
	s_delay_alu instid0(VALU_DEP_4) | instskip(SKIP_1) | instid1(VALU_DEP_3)
	v_dual_mul_f32 v81, s19, v130 :: v_dual_mul_f32 v92, s19, v119
	v_mul_f32_e32 v82, s19, v129
	v_cndmask_b32_e64 v83, 0xff7fffff, v83, s3
	s_delay_alu instid0(VALU_DEP_4)
	v_cndmask_b32_e32 v84, 0xff7fffff, v84, vcc_lo
	v_dual_mul_f32 v79, s19, v132 :: v_dual_mul_f32 v90, s19, v121
	v_mul_f32_e32 v80, s19, v131
	v_cndmask_b32_e64 v82, 0xff7fffff, v82, s4
	v_cndmask_b32_e64 v81, 0xff7fffff, v81, s5
	v_max3_f32 v83, v84, 0xff7fffff, v83
	v_dual_mul_f32 v77, s19, v134 :: v_dual_mul_f32 v88, s19, v123
	v_mul_f32_e32 v78, s19, v133
	v_cndmask_b32_e64 v80, 0xff7fffff, v80, s6
	v_cndmask_b32_e64 v79, 0xff7fffff, v79, s7
	v_max3_f32 v81, v83, v82, v81
	v_mul_f32_e32 v91, s19, v120
	v_cndmask_b32_e64 v78, 0xff7fffff, v78, s8
	v_cndmask_b32_e64 v77, 0xff7fffff, v77, s9
	v_mul_f32_e32 v89, s19, v122
	v_max3_f32 v79, v81, v80, v79
	v_cndmask_b32_e64 v80, 0xff7fffff, v92, s10
	v_cndmask_b32_e64 v81, 0xff7fffff, v91, s11
	v_cmp_gt_i32_e64 s13, s18, v72
	v_or_b32_e32 v75, 28, v135
	v_max3_f32 v77, v79, v78, v77
	v_or_b32_e32 v76, 30, v135
	v_mul_f32_e32 v87, s19, v124
	v_cndmask_b32_e64 v71, 0xff7fffff, v90, s12
	v_cndmask_b32_e64 v72, 0xff7fffff, v89, s13
	v_max3_f32 v77, v77, v80, v81
	v_cmp_gt_i32_e64 s15, s18, v73
	v_cmp_gt_i32_e64 s16, s18, v74
	v_dual_mul_f32 v85, s19, v126 :: v_dual_mul_f32 v86, s19, v125
	s_delay_alu instid0(VALU_DEP_4) | instskip(NEXT) | instid1(VALU_DEP_4)
	v_max3_f32 v71, v77, v71, v72
	v_cndmask_b32_e64 v73, 0xff7fffff, v88, s15
	s_delay_alu instid0(VALU_DEP_4) | instskip(SKIP_2) | instid1(VALU_DEP_3)
	v_cndmask_b32_e64 v74, 0xff7fffff, v87, s16
	v_cmp_gt_i32_e64 s17, s18, v75
	v_cmp_gt_i32_e64 s18, s18, v76
	v_max3_f32 v71, v71, v73, v74
	s_delay_alu instid0(VALU_DEP_3) | instskip(NEXT) | instid1(VALU_DEP_3)
	v_cndmask_b32_e64 v72, 0xff7fffff, v86, s17
	v_cndmask_b32_e64 v75, 0xff7fffff, v85, s18
	v_lshlrev_b32_e32 v73, 2, v136
	s_delay_alu instid0(VALU_DEP_2) | instskip(SKIP_3) | instid1(VALU_DEP_1)
	v_max3_f32 v71, v71, v72, v75
	ds_bpermute_b32 v72, v73, v71
	s_waitcnt lgkmcnt(0)
	v_max_f32_e32 v72, v72, v72
	v_max_f32_e32 v71, v71, v72
	s_delay_alu instid0(VALU_DEP_1)
	v_fma_f32 v72, s19, v127, -v71
	v_fma_f32 v74, s19, v128, -v71
	v_fma_f32 v75, s19, v129, -v71
	v_fma_f32 v76, s19, v130, -v71
	v_fma_f32 v77, s19, v131, -v71
	v_mul_f32_e32 v72, 0x3fb8aa3b, v72
	v_mul_f32_e32 v74, 0x3fb8aa3b, v74
	v_fma_f32 v80, s19, v133, -v71
	s_delay_alu instid0(VALU_DEP_4) | instskip(NEXT) | instid1(VALU_DEP_4)
	v_dual_mul_f32 v76, 0x3fb8aa3b, v76 :: v_dual_mul_f32 v77, 0x3fb8aa3b, v77
	v_exp_f32_e32 v72, v72
	s_delay_alu instid0(VALU_DEP_3) | instskip(NEXT) | instid1(VALU_DEP_2)
	v_exp_f32_e32 v74, v74
	v_mul_f32_e32 v82, 0x3fb8aa3b, v80
	s_delay_alu instid0(VALU_DEP_2) | instskip(SKIP_1) | instid1(VALU_DEP_1)
	v_exp_f32_e32 v76, v76
	v_exp_f32_e32 v77, v77
	v_exp_f32_e32 v84, v82
	v_cndmask_b32_e32 v79, 0, v72, vcc_lo
	v_fma_f32 v72, s19, v132, -v71
	v_mul_f32_e32 v75, 0x3fb8aa3b, v75
	v_cndmask_b32_e64 v78, 0, v74, s3
	s_delay_alu instid0(TRANS32_DEP_3)
	v_cndmask_b32_e64 v80, 0, v76, s5
	v_add_f32_e32 v74, 0, v79
	v_mul_f32_e32 v72, 0x3fb8aa3b, v72
	v_exp_f32_e32 v75, v75
	v_cndmask_b32_e64 v83, 0, v77, s6
	v_cndmask_b32_e64 v85, 0, v84, s8
	v_add_f32_e32 v74, v74, v78
	v_exp_f32_e32 v72, v72
	v_cmp_gt_u32_e64 s3, 16, v70
	s_waitcnt_depctr 0xfff
	v_cndmask_b32_e64 v81, 0, v75, s4
	v_cndmask_b32_e64 v82, 0, v72, s7
	s_delay_alu instid0(VALU_DEP_2) | instskip(NEXT) | instid1(VALU_DEP_1)
	v_add_f32_e32 v74, v74, v81
	v_add_f32_e32 v74, v74, v80
	s_delay_alu instid0(VALU_DEP_1) | instskip(SKIP_4) | instid1(VALU_DEP_4)
	v_add_f32_e32 v72, v74, v83
	v_fma_f32 v75, s19, v134, -v71
	v_fma_f32 v76, s19, v119, -v71
	;; [unrolled: 1-line block ×4, first 2 shown]
	v_dual_add_f32 v72, v72, v82 :: v_dual_mul_f32 v75, 0x3fb8aa3b, v75
	s_delay_alu instid0(VALU_DEP_3) | instskip(SKIP_1) | instid1(VALU_DEP_3)
	v_dual_mul_f32 v76, 0x3fb8aa3b, v76 :: v_dual_mul_f32 v77, 0x3fb8aa3b, v77
	v_fma_f32 v86, s19, v122, -v71
	v_add_f32_e32 v72, v72, v85
	s_delay_alu instid0(VALU_DEP_4) | instskip(NEXT) | instid1(VALU_DEP_3)
	v_exp_f32_e32 v75, v75
	v_exp_f32_e32 v76, v76
	;; [unrolled: 1-line block ×3, first 2 shown]
	v_mul_f32_e32 v86, 0x3fb8aa3b, v86
	s_delay_alu instid0(VALU_DEP_1) | instskip(SKIP_3) | instid1(TRANS32_DEP_3)
	v_exp_f32_e32 v88, v86
	v_cndmask_b32_e64 v84, 0, v75, s9
	v_fma_f32 v75, s19, v123, -v71
	v_mul_f32_e32 v74, 0x3fb8aa3b, v74
	v_cndmask_b32_e64 v87, 0, v76, s10
	v_fma_f32 v76, s19, v124, -v71
	s_delay_alu instid0(VALU_DEP_4) | instskip(NEXT) | instid1(VALU_DEP_4)
	v_dual_add_f32 v72, v72, v84 :: v_dual_mul_f32 v75, 0x3fb8aa3b, v75
	v_exp_f32_e32 v74, v74
	v_cndmask_b32_e64 v86, 0, v77, s11
	v_fma_f32 v77, s19, v125, -v71
	s_delay_alu instid0(VALU_DEP_3) | instskip(SKIP_3) | instid1(VALU_DEP_3)
	v_add_f32_e32 v72, v72, v87
	v_mul_f32_e32 v76, 0x3fb8aa3b, v76
	v_exp_f32_e32 v75, v75
	v_cndmask_b32_e64 v88, 0, v88, s13
	v_add_f32_e32 v72, v72, v86
	s_delay_alu instid0(VALU_DEP_3) | instskip(NEXT) | instid1(TRANS32_DEP_3)
	v_exp_f32_e32 v76, v76
	v_cndmask_b32_e64 v89, 0, v74, s12
	v_mul_f32_e32 v74, 0x3fb8aa3b, v77
	v_fma_f32 v77, s19, v126, -v71
	s_delay_alu instid0(VALU_DEP_3) | instskip(NEXT) | instid1(VALU_DEP_3)
	v_add_f32_e32 v72, v72, v89
	v_exp_f32_e32 v74, v74
	s_delay_alu instid0(TRANS32_DEP_3) | instskip(NEXT) | instid1(VALU_DEP_3)
	v_cndmask_b32_e64 v91, 0, v75, s15
	v_mul_f32_e32 v75, 0x3fb8aa3b, v77
	s_delay_alu instid0(TRANS32_DEP_2) | instskip(SKIP_1) | instid1(VALU_DEP_3)
	v_cndmask_b32_e64 v90, 0, v76, s16
	v_add_f32_e32 v72, v72, v88
	v_exp_f32_e32 v75, v75
	s_delay_alu instid0(VALU_DEP_1) | instskip(NEXT) | instid1(TRANS32_DEP_2)
	v_add_f32_e32 v72, v72, v91
	v_cndmask_b32_e64 v93, 0, v74, s17
	s_delay_alu instid0(VALU_DEP_2) | instskip(SKIP_3) | instid1(VALU_DEP_1)
	v_add_f32_e32 v72, v72, v90
	s_waitcnt_depctr 0xfff
	v_cndmask_b32_e64 v92, 0, v75, s18
	v_add_f32_e32 v72, v72, v93
	v_add_f32_e32 v72, v72, v92
	ds_bpermute_b32 v73, v73, v72
	s_and_saveexec_b32 s4, s3
	s_cbranch_execz .LBB1190_12
; %bb.11:
	v_mul_u32_u24_e32 v70, 0x44, v69
	s_waitcnt lgkmcnt(0)
	v_add_f32_e32 v72, v72, v73
	s_delay_alu instid0(VALU_DEP_2) | instskip(NEXT) | instid1(VALU_DEP_1)
	v_lshl_add_u32 v70, v68, 2, v70
	v_add_nc_u32_e32 v70, 0x4000, v70
	ds_store_2addr_b32 v70, v71, v72 offset1:136
.LBB1190_12:
	s_or_b32 exec_lo, exec_lo, s4
	v_lshlrev_b32_e32 v70, 2, v68
	s_load_b32 s36, s[0:1], 0x94
	s_waitcnt lgkmcnt(0)
	s_barrier
	buffer_gl0_inv
	v_add_nc_u32_e32 v98, 0x4000, v70
	v_cmp_eq_u32_e32 vcc_lo, 1, v69
	v_cmp_eq_u32_e64 s4, 2, v69
	v_cmp_eq_u32_e64 s5, 3, v69
	;; [unrolled: 1-line block ×3, first 2 shown]
	ds_load_2addr_b32 v[70:71], v98 offset1:17
	ds_load_2addr_b32 v[72:73], v98 offset0:34 offset1:51
	ds_load_2addr_b32 v[74:75], v98 offset0:68 offset1:85
	;; [unrolled: 1-line block ×3, first 2 shown]
	v_cmp_eq_u32_e64 s7, 5, v69
	v_cmp_eq_u32_e64 s8, 7, v69
	s_waitcnt lgkmcnt(3)
	v_max3_f32 v76, v70, 0xff7fffff, v71
	s_waitcnt lgkmcnt(2)
	s_delay_alu instid0(VALU_DEP_1) | instskip(SKIP_1) | instid1(VALU_DEP_1)
	v_max3_f32 v76, v76, v72, v73
	s_waitcnt lgkmcnt(1)
	v_max3_f32 v76, v76, v74, v75
	s_waitcnt lgkmcnt(0)
	s_delay_alu instid0(VALU_DEP_1) | instskip(NEXT) | instid1(VALU_DEP_1)
	v_max3_f32 v76, v76, v94, v95
	v_sub_f32_e32 v77, v71, v76
	ds_load_2addr_b32 v[96:97], v98 offset0:136 offset1:153
	v_sub_f32_e32 v74, v74, v76
	v_sub_f32_e32 v70, v70, v76
	;; [unrolled: 1-line block ×3, first 2 shown]
	v_dual_sub_f32 v72, v72, v76 :: v_dual_mul_f32 v77, 0x3fb8aa3b, v77
	s_delay_alu instid0(VALU_DEP_4) | instskip(NEXT) | instid1(VALU_DEP_4)
	v_mul_f32_e32 v103, 0x3fb8aa3b, v74
	v_mul_f32_e32 v99, 0x3fb8aa3b, v70
	ds_load_2addr_b32 v[70:71], v98 offset0:170 offset1:187
	v_dual_mul_f32 v101, 0x3fb8aa3b, v72 :: v_dual_mul_f32 v94, 0x3fb8aa3b, v94
	v_exp_f32_e32 v102, v77
	v_exp_f32_e32 v99, v99
	s_delay_alu instid0(VALU_DEP_1) | instskip(NEXT) | instid1(VALU_DEP_1)
	v_exp_f32_e32 v101, v101
	v_exp_f32_e32 v94, v94
	s_waitcnt lgkmcnt(1)
	s_delay_alu instid0(TRANS32_DEP_3)
	v_fma_f32 v77, v99, v96, 0
	v_sub_f32_e32 v100, v73, v76
	ds_load_2addr_b32 v[72:73], v98 offset0:204 offset1:221
	v_fmac_f32_e32 v77, v102, v97
	v_exp_f32_e32 v97, v103
	s_waitcnt lgkmcnt(1)
	s_delay_alu instid0(VALU_DEP_1)
	v_dual_fmac_f32 v77, v101, v70 :: v_dual_sub_f32 v96, v75, v76
	ds_load_2addr_b32 v[74:75], v98 offset0:238 offset1:255
	v_sub_f32_e32 v70, v95, v76
	s_waitcnt lgkmcnt(0)
	s_barrier
	v_mul_f32_e32 v96, 0x3fb8aa3b, v96
	buffer_gl0_inv
	v_exp_f32_e32 v95, v96
	v_mul_f32_e32 v100, 0x3fb8aa3b, v100
	s_delay_alu instid0(VALU_DEP_1) | instskip(SKIP_3) | instid1(VALU_DEP_2)
	v_exp_f32_e32 v100, v100
	s_waitcnt_depctr 0xfff
	v_dual_fmac_f32 v77, v100, v71 :: v_dual_mul_f32 v70, 0x3fb8aa3b, v70
	v_cndmask_b32_e32 v71, v99, v102, vcc_lo
	v_fmac_f32_e32 v77, v97, v72
	s_delay_alu instid0(VALU_DEP_3) | instskip(NEXT) | instid1(VALU_DEP_1)
	v_exp_f32_e32 v96, v70
	v_fmac_f32_e32 v77, v95, v73
	s_delay_alu instid0(VALU_DEP_1) | instskip(SKIP_2) | instid1(VALU_DEP_1)
	v_fmac_f32_e32 v77, v94, v74
	s_waitcnt_depctr 0xfff
	v_fmac_f32_e32 v77, v96, v75
	v_add_f32_e32 v74, 0x358637bd, v77
	s_delay_alu instid0(VALU_DEP_1) | instskip(SKIP_1) | instid1(VALU_DEP_2)
	v_div_scale_f32 v98, null, v74, v74, 1.0
	v_div_scale_f32 v99, vcc_lo, 1.0, v74, 1.0
	v_rcp_f32_e32 v103, v98
	s_waitcnt_depctr 0xfff
	v_fma_f32 v70, -v98, v103, 1.0
	s_delay_alu instid0(VALU_DEP_1) | instskip(SKIP_2) | instid1(VALU_DEP_2)
	v_fmac_f32_e32 v103, v70, v103
	v_cndmask_b32_e64 v70, v71, v101, s4
	v_cmp_eq_u32_e64 s4, 6, v69
	v_cndmask_b32_e64 v71, v70, v100, s5
	s_delay_alu instid0(VALU_DEP_4) | instskip(NEXT) | instid1(VALU_DEP_2)
	v_dual_mul_f32 v101, v99, v103 :: v_dual_lshlrev_b32 v70, 2, v66
	v_cndmask_b32_e64 v71, v71, v97, s6
	s_delay_alu instid0(VALU_DEP_2) | instskip(NEXT) | instid1(VALU_DEP_3)
	v_or_b32_e32 v72, 1, v70
	v_fma_f32 v100, -v98, v101, v99
	v_cmp_eq_u32_e64 s5, 1, v70
	v_cmp_eq_u32_e64 s6, 2, v70
	v_cndmask_b32_e64 v95, v71, v95, s7
	v_or_b32_e32 v71, 3, v70
	v_fmac_f32_e32 v101, v100, v103
	v_cmp_eq_u32_e64 s10, 1, v72
	v_cmp_eq_u32_e64 s13, 2, v72
	v_cndmask_b32_e64 v94, v95, v94, s4
	v_cmp_eq_u32_e64 s12, 1, v71
	v_fma_f32 v97, -v98, v101, v99
	v_cmp_eq_u32_e64 s17, 2, v71
	v_cmp_eq_u32_e64 s15, 3, v72
	v_cndmask_b32_e64 v94, v94, v96, s8
	v_cmp_eq_u32_e64 s19, 3, v71
	v_div_fmas_f32 v95, v97, v103, v101
	v_cmp_eq_u32_e32 vcc_lo, 3, v70
	v_cmp_eq_u32_e64 s4, 4, v70
	v_cmp_eq_u32_e64 s20, 4, v72
	;; [unrolled: 1-line block ×3, first 2 shown]
	v_div_fixup_f32 v95, v95, v74, 1.0
	v_lshlrev_b32_e32 v73, 6, v68
	v_cmp_eq_u32_e64 s7, 5, v70
	v_cmp_eq_u32_e64 s21, 5, v72
	;; [unrolled: 1-line block ×3, first 2 shown]
	v_mul_f32_e32 v102, v94, v95
	v_lshl_or_b32 v75, v69, 11, v73
	v_or_b32_e32 v69, 2, v70
	v_cmp_eq_u32_e64 s26, 6, v72
	v_cmp_eq_u32_e64 s28, 6, v71
	v_fma_mixlo_f16 v94, v102, v79, 0
	v_fma_mixlo_f16 v95, v102, v81, 0
	;; [unrolled: 1-line block ×8, first 2 shown]
	v_lshl_or_b32 v74, v66, 4, v75
	v_fma_mixhi_f16 v94, v102, v78, 0
	v_fma_mixhi_f16 v95, v102, v80, 0
	;; [unrolled: 1-line block ×8, first 2 shown]
	ds_store_b128 v74, v[94:97]
	ds_store_b128 v74, v[98:101] offset:1024
	s_waitcnt lgkmcnt(0)
	s_barrier
	buffer_gl0_inv
	ds_load_b128 v[78:81], v75
	ds_load_b128 v[82:85], v75 offset:16
	ds_load_b128 v[86:89], v75 offset:1024
	;; [unrolled: 1-line block ×3, first 2 shown]
	v_cmp_eq_u32_e64 s11, 1, v69
	v_cmp_eq_u32_e64 s16, 2, v69
	;; [unrolled: 1-line block ×11, first 2 shown]
	s_waitcnt lgkmcnt(3)
	v_lshrrev_b32_e32 v94, 16, v78
	s_waitcnt lgkmcnt(2)
	v_lshrrev_b32_e32 v98, 16, v82
	;; [unrolled: 2-line block ×4, first 2 shown]
	v_lshrrev_b32_e32 v95, 16, v79
	v_cndmask_b32_e64 v110, v78, v94, s5
	v_cndmask_b32_e64 v111, v82, v98, s5
	;; [unrolled: 1-line block ×8, first 2 shown]
	v_lshrrev_b32_e32 v99, 16, v83
	v_cndmask_b32_e64 v94, v86, v102, s5
	v_cndmask_b32_e64 v98, v90, v106, s5
	;; [unrolled: 1-line block ×15, first 2 shown]
	v_lshrrev_b32_e32 v103, 16, v87
	v_lshrrev_b32_e32 v107, 16, v91
	v_cndmask_b32_e64 v113, v115, v83, s16
	v_cndmask_b32_e64 v82, v94, v87, s6
	;; [unrolled: 1-line block ×7, first 2 shown]
	v_cndmask_b32_e32 v90, v102, v95, vcc_lo
	v_cndmask_b32_e32 v102, v106, v99, vcc_lo
	v_cndmask_b32_e64 v106, v110, v95, s15
	v_cndmask_b32_e64 v110, v111, v99, s15
	v_cndmask_b32_e64 v78, v78, v95, s19
	v_cndmask_b32_e64 v79, v79, v99, s19
	v_lshrrev_b32_e32 v96, 16, v80
	v_lshrrev_b32_e32 v100, 16, v84
	v_cndmask_b32_e64 v111, v112, v95, s18
	v_cndmask_b32_e64 v112, v113, v99, s18
	v_cndmask_b32_e32 v82, v82, v103, vcc_lo
	v_cndmask_b32_e32 v83, v83, v107, vcc_lo
	v_cndmask_b32_e64 v94, v94, v103, s15
	v_cndmask_b32_e64 v90, v90, v80, s4
	v_cndmask_b32_e64 v95, v102, v84, s4
	v_cndmask_b32_e64 v99, v106, v80, s20
	v_cndmask_b32_e64 v102, v110, v84, s20
	v_cndmask_b32_e64 v78, v78, v80, s23
	v_cndmask_b32_e64 v79, v79, v84, s23
	v_lshrrev_b32_e32 v104, 16, v88
	v_cndmask_b32_e64 v106, v111, v80, s22
	v_cndmask_b32_e64 v110, v112, v84, s22
	;; [unrolled: 1-line block ×11, first 2 shown]
	v_lshrrev_b32_e32 v97, 16, v81
	v_lshrrev_b32_e32 v101, 16, v85
	v_cndmask_b32_e64 v99, v106, v96, s24
	v_cndmask_b32_e64 v102, v110, v100, s24
	;; [unrolled: 1-line block ×7, first 2 shown]
	v_lshrrev_b32_e32 v105, 16, v89
	v_cndmask_b32_e64 v80, v80, v104, s7
	v_cndmask_b32_e64 v84, v84, v81, s8
	;; [unrolled: 1-line block ×16, first 2 shown]
	v_perm_b32 v81, v79, v78, 0x5040100
	v_perm_b32 v79, v95, v85, 0x5040100
	v_cndmask_b32_e64 v78, v119, v91, s16
	v_cndmask_b32_e64 v85, v117, v91, s13
	;; [unrolled: 1-line block ×3, first 2 shown]
	v_perm_b32 v80, v94, v90, 0x5040100
	v_cndmask_b32_e64 v90, v98, v103, s18
	v_cndmask_b32_e64 v86, v86, v103, s19
	;; [unrolled: 1-line block ×5, first 2 shown]
	v_lshrrev_b32_e32 v108, 16, v92
	v_cndmask_b32_e64 v90, v90, v88, s22
	v_cndmask_b32_e64 v86, v86, v88, s23
	;; [unrolled: 1-line block ×11, first 2 shown]
	v_lshrrev_b32_e32 v109, 16, v93
	v_cndmask_b32_e64 v82, v82, v93, s8
	v_cndmask_b32_e64 v88, v88, v89, s27
	v_cndmask_b32_e64 v86, v86, v89, s28
	v_cndmask_b32_e64 v87, v87, v93, s28
	v_cndmask_b32_e64 v78, v78, v93, s27
	v_cndmask_b32_e64 v85, v85, v93, s26
	v_cndmask_b32_e64 v88, v88, v105, s29
	v_cndmask_b32_e64 v86, v86, v105, s30
	v_cndmask_b32_e64 v87, v87, v109, s30
	v_cndmask_b32_e64 v89, v78, v109, s29
	v_cndmask_b32_e64 v90, v85, v109, s31
	v_cndmask_b32_e64 v82, v82, v109, s9
	v_perm_b32 v78, v84, v83, 0x5040100
	v_perm_b32 v85, v87, v86, 0x5040100
	;; [unrolled: 1-line block ×5, first 2 shown]
	s_mul_i32 s9, s35, 9
	s_mov_b32 s4, exec_lo
	ds_store_b128 v74, v[78:81]
	ds_store_b128 v74, v[82:85] offset:1024
	v_cmpx_gt_u32_e32 9, v0
	s_cbranch_execz .LBB1190_14
; %bb.13:
	s_mul_i32 s5, s9, s34
	s_load_b128 s[16:19], s[0:1], 0x58
	v_add3_u32 v68, s5, s33, v68
	s_delay_alu instid0(VALU_DEP_1) | instskip(NEXT) | instid1(VALU_DEP_1)
	v_mad_u64_u32 v[78:79], null, v68, s36, s[14:15]
	v_ashrrev_i32_e32 v79, 31, v78
	s_delay_alu instid0(VALU_DEP_1) | instskip(SKIP_1) | instid1(VALU_DEP_1)
	v_lshlrev_b64 v[78:79], 2, v[78:79]
	s_waitcnt lgkmcnt(0)
	v_add_co_u32 v80, vcc_lo, s18, v78
	s_delay_alu instid0(VALU_DEP_2)
	v_add_co_ci_u32_e32 v81, vcc_lo, s19, v79, vcc_lo
	v_add_co_u32 v78, vcc_lo, s16, v78
	v_add_co_ci_u32_e32 v79, vcc_lo, s17, v79, vcc_lo
	global_store_b32 v[80:81], v76, off
	global_store_b32 v[78:79], v77, off
.LBB1190_14:
	s_or_b32 exec_lo, exec_lo, s4
	s_waitcnt lgkmcnt(0)
	s_waitcnt_vscnt null, 0x0
	s_barrier
	buffer_gl0_inv
	ds_load_b128 v[84:87], v73
	ds_load_b128 v[88:91], v73 offset:16
	ds_load_b128 v[96:99], v73 offset:2064
	;; [unrolled: 1-line block ×5, first 2 shown]
	v_cmp_eq_u32_e32 vcc_lo, 1, v70
	v_mov_b32_e32 v76, 0
	ds_load_b128 v[112:115], v73 offset:6160
	ds_load_b128 v[108:111], v73 offset:6144
	;; [unrolled: 1-line block ×4, first 2 shown]
	v_cmp_eq_u32_e64 s5, 1, v69
	v_cmp_eq_u32_e64 s4, 1, v72
	;; [unrolled: 1-line block ×3, first 2 shown]
	v_mov_b32_e32 v77, v76
	v_mov_b32_e32 v78, v76
	;; [unrolled: 1-line block ×7, first 2 shown]
	v_cmp_eq_u32_e64 s7, 3, v72
	v_cmp_eq_u32_e64 s8, 7, v72
	s_waitcnt lgkmcnt(8)
	s_delay_alu instid0(VALU_DEP_3)
	v_wmma_f32_16x16x16_f16 v[76:83], v[49:56], v[84:91], v[76:83]
	ds_load_b128 v[53:56], v73 offset:10256
	ds_load_b128 v[49:52], v73 offset:10240
	s_waitcnt lgkmcnt(8)
	v_wmma_f32_16x16x16_f16 v[76:83], v[41:48], v[92:99], v[76:83]
	ds_load_b128 v[45:48], v73 offset:12304
	ds_load_b128 v[41:44], v73 offset:12288
	s_waitcnt lgkmcnt(8)
	;; [unrolled: 4-line block ×3, first 2 shown]
	s_barrier
	buffer_gl0_inv
	v_wmma_f32_16x16x16_f16 v[76:83], v[1:8], v[108:115], v[76:83]
	s_delay_alu instid0(VALU_DEP_1) | instskip(NEXT) | instid1(VALU_DEP_1)
	v_wmma_f32_16x16x16_f16 v[76:83], v[9:16], v[116:123], v[76:83]
	v_wmma_f32_16x16x16_f16 v[76:83], v[17:24], v[49:56], v[76:83]
	s_delay_alu instid0(VALU_DEP_1) | instskip(NEXT) | instid1(VALU_DEP_1)
	v_wmma_f32_16x16x16_f16 v[76:83], v[25:32], v[41:48], v[76:83]
	v_wmma_f32_16x16x16_f16 v[76:83], v[57:64], v[33:40], v[76:83]
	s_delay_alu instid0(VALU_DEP_1) | instskip(NEXT) | instid1(VALU_DEP_2)
	v_cvt_f16_f32_e32 v1, v76
	v_cvt_f16_f32_e32 v2, v77
	s_delay_alu instid0(VALU_DEP_3) | instskip(NEXT) | instid1(VALU_DEP_4)
	v_cvt_f16_f32_e32 v3, v78
	v_cvt_f16_f32_e32 v4, v79
	;; [unrolled: 1-line block ×6, first 2 shown]
	v_pack_b32_f16 v1, v1, v2
	v_pack_b32_f16 v2, v3, v4
	;; [unrolled: 1-line block ×3, first 2 shown]
	s_delay_alu instid0(VALU_DEP_4)
	v_pack_b32_f16 v4, v7, v8
	ds_store_b128 v74, v[1:4]
	s_waitcnt lgkmcnt(0)
	s_barrier
	buffer_gl0_inv
	ds_load_b128 v[1:4], v75
	ds_load_b128 v[5:8], v75 offset:16
	s_waitcnt lgkmcnt(1)
	v_lshrrev_b32_e32 v9, 16, v1
	s_waitcnt lgkmcnt(0)
	v_lshrrev_b32_e32 v13, 16, v5
	v_lshrrev_b32_e32 v10, 16, v2
	;; [unrolled: 1-line block ×4, first 2 shown]
	v_cndmask_b32_e32 v17, v1, v9, vcc_lo
	v_cndmask_b32_e32 v18, v5, v13, vcc_lo
	v_cndmask_b32_e64 v21, v1, v9, s5
	v_cmp_eq_u32_e32 vcc_lo, 1, v71
	v_cndmask_b32_e64 v22, v5, v13, s5
	v_cmp_eq_u32_e64 s5, 2, v70
	v_cndmask_b32_e64 v19, v1, v9, s4
	v_cndmask_b32_e64 v20, v5, v13, s4
	v_cndmask_b32_e32 v1, v1, v9, vcc_lo
	v_cmp_eq_u32_e64 s4, 2, v71
	v_cndmask_b32_e32 v5, v5, v13, vcc_lo
	v_cndmask_b32_e64 v9, v17, v2, s5
	v_cmp_eq_u32_e32 vcc_lo, 3, v70
	v_cndmask_b32_e64 v13, v18, v6, s5
	v_cmp_eq_u32_e64 s5, 2, v69
	v_cndmask_b32_e64 v17, v19, v2, s6
	v_cndmask_b32_e64 v18, v20, v6, s6
	v_cmp_eq_u32_e64 s6, 3, v69
	v_cndmask_b32_e64 v1, v1, v2, s4
	v_cndmask_b32_e64 v19, v21, v2, s5
	;; [unrolled: 1-line block ×4, first 2 shown]
	v_cndmask_b32_e32 v5, v9, v10, vcc_lo
	v_cndmask_b32_e32 v6, v13, v14, vcc_lo
	v_cmp_eq_u32_e32 vcc_lo, 3, v71
	v_cndmask_b32_e64 v9, v17, v10, s7
	v_cndmask_b32_e64 v13, v18, v14, s7
	;; [unrolled: 1-line block ×3, first 2 shown]
	v_cmp_eq_u32_e64 s5, 4, v70
	v_cndmask_b32_e32 v1, v1, v10, vcc_lo
	v_cndmask_b32_e32 v2, v2, v14, vcc_lo
	v_cmp_eq_u32_e32 vcc_lo, 4, v72
	v_lshrrev_b32_e32 v15, 16, v7
	v_lshrrev_b32_e32 v16, 16, v8
	v_cndmask_b32_e64 v17, v19, v10, s6
	v_cmp_eq_u32_e64 s4, 4, v71
	v_cndmask_b32_e64 v5, v5, v3, s5
	v_cndmask_b32_e64 v6, v6, v7, s5
	v_cndmask_b32_e32 v9, v9, v3, vcc_lo
	v_cmp_eq_u32_e64 s5, 5, v72
	v_cndmask_b32_e32 v10, v13, v7, vcc_lo
	v_cmp_eq_u32_e32 vcc_lo, 4, v69
	v_cmp_eq_u32_e64 s6, 5, v70
	v_cndmask_b32_e64 v2, v2, v7, s4
	v_cndmask_b32_e64 v9, v9, v11, s5
	;; [unrolled: 1-line block ×3, first 2 shown]
	v_cndmask_b32_e32 v13, v17, v3, vcc_lo
	v_cmp_eq_u32_e64 s5, 5, v69
	v_cndmask_b32_e32 v14, v18, v7, vcc_lo
	v_cndmask_b32_e64 v1, v1, v3, s4
	v_cmp_eq_u32_e32 vcc_lo, 5, v71
	v_lshrrev_b32_e32 v12, 16, v4
	v_cndmask_b32_e64 v13, v13, v11, s5
	v_cndmask_b32_e64 v3, v14, v15, s5
	v_cmp_eq_u32_e64 s5, 6, v71
	v_cndmask_b32_e32 v1, v1, v11, vcc_lo
	v_cndmask_b32_e64 v5, v5, v11, s6
	v_cmp_eq_u32_e64 s7, 6, v70
	v_cndmask_b32_e64 v6, v6, v15, s6
	v_cmp_eq_u32_e64 s6, 6, v72
	v_cmp_eq_u32_e64 s4, 6, v69
	v_cndmask_b32_e64 v1, v1, v4, s5
	v_cndmask_b32_e32 v2, v2, v15, vcc_lo
	v_cmp_eq_u32_e32 vcc_lo, 7, v71
	v_cndmask_b32_e64 v5, v5, v4, s7
	v_cndmask_b32_e64 v9, v9, v4, s6
	;; [unrolled: 1-line block ×3, first 2 shown]
	v_cmp_eq_u32_e64 s7, 7, v70
	v_cndmask_b32_e32 v1, v1, v12, vcc_lo
	v_cndmask_b32_e64 v7, v13, v4, s4
	v_cndmask_b32_e64 v3, v3, v8, s4
	;; [unrolled: 1-line block ×3, first 2 shown]
	v_cmp_eq_u32_e64 s4, 7, v69
	v_cndmask_b32_e64 v4, v10, v8, s6
	v_cndmask_b32_e64 v5, v5, v12, s7
	v_cndmask_b32_e64 v9, v9, v12, s8
	v_cndmask_b32_e32 v2, v2, v16, vcc_lo
	v_cndmask_b32_e64 v7, v7, v12, s4
	v_cndmask_b32_e64 v3, v3, v16, s4
	;; [unrolled: 1-line block ×4, first 2 shown]
	v_cmp_gt_u32_e32 vcc_lo, 32, v0
	v_perm_b32 v4, v2, v1, 0x5040100
	v_perm_b32 v3, v3, v7, 0x5040100
	;; [unrolled: 1-line block ×4, first 2 shown]
	s_and_b32 s2, vcc_lo, s2
	ds_store_b128 v74, v[1:4]
	s_waitcnt lgkmcnt(0)
	s_barrier
	buffer_gl0_inv
	s_and_saveexec_b32 s4, s2
	s_cbranch_execz .LBB1190_2
; %bb.15:
	s_load_b64 s[4:5], s[0:1], 0x68
	v_lshlrev_b32_e32 v0, 10, v0
	v_lshlrev_b32_e32 v1, 4, v67
	s_lshl_b32 s0, s36, 6
	v_add_nc_u32_e32 v2, s33, v66
	s_mul_i32 s1, s0, s34
	s_delay_alu instid0(SALU_CYCLE_1) | instskip(SKIP_1) | instid1(VALU_DEP_2)
	s_mul_i32 s6, s1, s9
	v_and_or_b32 v0, 0x3800, v0, v1
	v_mul_lo_u32 v1, v2, s0
	s_ashr_i32 s7, s6, 31
	v_add_nc_u32_e32 v3, 2, v2
	s_lshl_b64 s[6:7], s[6:7], 1
	v_add_nc_u32_e32 v4, 4, v2
	v_add_nc_u32_e32 v5, 6, v2
	v_lshl_or_b32 v15, v66, 6, v0
	v_mul_lo_u32 v3, v3, s0
	v_ashrrev_i32_e32 v2, 31, v1
	v_mul_lo_u32 v19, v4, s0
	v_mul_lo_u32 v21, v5, s0
	s_waitcnt lgkmcnt(0)
	s_add_u32 s1, s4, s6
	s_addc_u32 s2, s5, s7
	s_lshl_b32 s4, s14, 6
	v_lshlrev_b64 v[5:6], 1, v[1:2]
	s_ashr_i32 s5, s4, 31
	v_ashrrev_i32_e32 v4, 31, v3
	s_lshl_b64 s[4:5], s[4:5], 1
	v_ashrrev_i32_e32 v20, 31, v19
	s_add_u32 s1, s1, s4
	s_addc_u32 s2, s2, s5
	v_add_co_u32 v1, s1, s1, v65
	s_delay_alu instid0(VALU_DEP_1) | instskip(SKIP_1) | instid1(VALU_DEP_3)
	v_add_co_ci_u32_e64 v2, null, s2, 0, s1
	v_lshlrev_b64 v[25:26], 1, v[3:4]
	v_add_co_u32 v23, vcc_lo, v1, v5
	s_delay_alu instid0(VALU_DEP_3)
	v_add_co_ci_u32_e32 v24, vcc_lo, v2, v6, vcc_lo
	ds_load_b128 v[3:6], v15
	ds_load_b128 v[7:10], v15 offset:128
	ds_load_b128 v[11:14], v15 offset:256
	;; [unrolled: 1-line block ×3, first 2 shown]
	v_ashrrev_i32_e32 v22, 31, v21
	v_lshlrev_b64 v[19:20], 1, v[19:20]
	v_add_co_u32 v25, vcc_lo, v1, v25
	v_add_co_ci_u32_e32 v26, vcc_lo, v2, v26, vcc_lo
	s_delay_alu instid0(VALU_DEP_4) | instskip(NEXT) | instid1(VALU_DEP_4)
	v_lshlrev_b64 v[21:22], 1, v[21:22]
	v_add_co_u32 v19, vcc_lo, v1, v19
	v_add_co_ci_u32_e32 v20, vcc_lo, v2, v20, vcc_lo
	s_delay_alu instid0(VALU_DEP_3) | instskip(NEXT) | instid1(VALU_DEP_4)
	v_add_co_u32 v21, vcc_lo, v1, v21
	v_add_co_ci_u32_e32 v22, vcc_lo, v2, v22, vcc_lo
	s_waitcnt lgkmcnt(3)
	global_store_b128 v[23:24], v[3:6], off
	s_waitcnt lgkmcnt(2)
	global_store_b128 v[25:26], v[7:10], off
	;; [unrolled: 2-line block ×4, first 2 shown]
	s_and_b32 exec_lo, exec_lo, s3
	s_cbranch_execz .LBB1190_2
; %bb.16:
	ds_load_b128 v[3:6], v0 offset:512
	s_add_i32 s1, s33, 8
	s_delay_alu instid0(SALU_CYCLE_1) | instskip(NEXT) | instid1(SALU_CYCLE_1)
	s_mul_i32 s0, s1, s0
	s_ashr_i32 s1, s0, 31
	s_delay_alu instid0(SALU_CYCLE_1) | instskip(NEXT) | instid1(SALU_CYCLE_1)
	s_lshl_b64 s[0:1], s[0:1], 1
	v_add_co_u32 v0, vcc_lo, v1, s0
	v_add_co_ci_u32_e32 v1, vcc_lo, s1, v2, vcc_lo
	s_waitcnt lgkmcnt(0)
	global_store_b128 v[0:1], v[3:6], off
	s_nop 0
	s_sendmsg sendmsg(MSG_DEALLOC_VGPRS)
	s_endpgm
	.section	.rodata,"a",@progbits
	.p2align	6, 0x0
	.amdhsa_kernel _Z39paged_attention_ll4mi_QKV_mfma16_kernelIDF16_hLN4vllm18Fp8KVCacheDataTypeE1EDF16_Li32ELi64ELi256ELb1ELi9EL8MFMAType0EEvPKT_PKT0_S8_ifPKiSA_SA_iPKfiiiPfSD_PS3_PT2_iSC_SC_
		.amdhsa_group_segment_fixed_size 17472
		.amdhsa_private_segment_fixed_size 0
		.amdhsa_kernarg_size 400
		.amdhsa_user_sgpr_count 13
		.amdhsa_user_sgpr_dispatch_ptr 0
		.amdhsa_user_sgpr_queue_ptr 0
		.amdhsa_user_sgpr_kernarg_segment_ptr 1
		.amdhsa_user_sgpr_dispatch_id 0
		.amdhsa_user_sgpr_private_segment_size 0
		.amdhsa_wavefront_size32 1
		.amdhsa_uses_dynamic_stack 0
		.amdhsa_enable_private_segment 0
		.amdhsa_system_sgpr_workgroup_id_x 1
		.amdhsa_system_sgpr_workgroup_id_y 1
		.amdhsa_system_sgpr_workgroup_id_z 1
		.amdhsa_system_sgpr_workgroup_info 0
		.amdhsa_system_vgpr_workitem_id 0
		.amdhsa_next_free_vgpr 146
		.amdhsa_next_free_sgpr 37
		.amdhsa_reserve_vcc 1
		.amdhsa_float_round_mode_32 0
		.amdhsa_float_round_mode_16_64 0
		.amdhsa_float_denorm_mode_32 3
		.amdhsa_float_denorm_mode_16_64 3
		.amdhsa_dx10_clamp 1
		.amdhsa_ieee_mode 1
		.amdhsa_fp16_overflow 0
		.amdhsa_workgroup_processor_mode 1
		.amdhsa_memory_ordered 1
		.amdhsa_forward_progress 0
		.amdhsa_shared_vgpr_count 0
		.amdhsa_exception_fp_ieee_invalid_op 0
		.amdhsa_exception_fp_denorm_src 0
		.amdhsa_exception_fp_ieee_div_zero 0
		.amdhsa_exception_fp_ieee_overflow 0
		.amdhsa_exception_fp_ieee_underflow 0
		.amdhsa_exception_fp_ieee_inexact 0
		.amdhsa_exception_int_div_zero 0
	.end_amdhsa_kernel
	.section	.text._Z39paged_attention_ll4mi_QKV_mfma16_kernelIDF16_hLN4vllm18Fp8KVCacheDataTypeE1EDF16_Li32ELi64ELi256ELb1ELi9EL8MFMAType0EEvPKT_PKT0_S8_ifPKiSA_SA_iPKfiiiPfSD_PS3_PT2_iSC_SC_,"axG",@progbits,_Z39paged_attention_ll4mi_QKV_mfma16_kernelIDF16_hLN4vllm18Fp8KVCacheDataTypeE1EDF16_Li32ELi64ELi256ELb1ELi9EL8MFMAType0EEvPKT_PKT0_S8_ifPKiSA_SA_iPKfiiiPfSD_PS3_PT2_iSC_SC_,comdat
.Lfunc_end1190:
	.size	_Z39paged_attention_ll4mi_QKV_mfma16_kernelIDF16_hLN4vllm18Fp8KVCacheDataTypeE1EDF16_Li32ELi64ELi256ELb1ELi9EL8MFMAType0EEvPKT_PKT0_S8_ifPKiSA_SA_iPKfiiiPfSD_PS3_PT2_iSC_SC_, .Lfunc_end1190-_Z39paged_attention_ll4mi_QKV_mfma16_kernelIDF16_hLN4vllm18Fp8KVCacheDataTypeE1EDF16_Li32ELi64ELi256ELb1ELi9EL8MFMAType0EEvPKT_PKT0_S8_ifPKiSA_SA_iPKfiiiPfSD_PS3_PT2_iSC_SC_
                                        ; -- End function
	.section	.AMDGPU.csdata,"",@progbits
; Kernel info:
; codeLenInByte = 6584
; NumSgprs: 39
; NumVgprs: 146
; ScratchSize: 0
; MemoryBound: 0
; FloatMode: 240
; IeeeMode: 1
; LDSByteSize: 17472 bytes/workgroup (compile time only)
; SGPRBlocks: 4
; VGPRBlocks: 18
; NumSGPRsForWavesPerEU: 39
; NumVGPRsForWavesPerEU: 146
; Occupancy: 9
; WaveLimiterHint : 1
; COMPUTE_PGM_RSRC2:SCRATCH_EN: 0
; COMPUTE_PGM_RSRC2:USER_SGPR: 13
; COMPUTE_PGM_RSRC2:TRAP_HANDLER: 0
; COMPUTE_PGM_RSRC2:TGID_X_EN: 1
; COMPUTE_PGM_RSRC2:TGID_Y_EN: 1
; COMPUTE_PGM_RSRC2:TGID_Z_EN: 1
; COMPUTE_PGM_RSRC2:TIDIG_COMP_CNT: 0
	.section	.text._Z39paged_attention_ll4mi_QKV_mfma16_kernelIDF16_hLN4vllm18Fp8KVCacheDataTypeE1EDF16_Li32ELi64ELi256ELb1ELi10EL8MFMAType0EEvPKT_PKT0_S8_ifPKiSA_SA_iPKfiiiPfSD_PS3_PT2_iSC_SC_,"axG",@progbits,_Z39paged_attention_ll4mi_QKV_mfma16_kernelIDF16_hLN4vllm18Fp8KVCacheDataTypeE1EDF16_Li32ELi64ELi256ELb1ELi10EL8MFMAType0EEvPKT_PKT0_S8_ifPKiSA_SA_iPKfiiiPfSD_PS3_PT2_iSC_SC_,comdat
	.protected	_Z39paged_attention_ll4mi_QKV_mfma16_kernelIDF16_hLN4vllm18Fp8KVCacheDataTypeE1EDF16_Li32ELi64ELi256ELb1ELi10EL8MFMAType0EEvPKT_PKT0_S8_ifPKiSA_SA_iPKfiiiPfSD_PS3_PT2_iSC_SC_ ; -- Begin function _Z39paged_attention_ll4mi_QKV_mfma16_kernelIDF16_hLN4vllm18Fp8KVCacheDataTypeE1EDF16_Li32ELi64ELi256ELb1ELi10EL8MFMAType0EEvPKT_PKT0_S8_ifPKiSA_SA_iPKfiiiPfSD_PS3_PT2_iSC_SC_
	.globl	_Z39paged_attention_ll4mi_QKV_mfma16_kernelIDF16_hLN4vllm18Fp8KVCacheDataTypeE1EDF16_Li32ELi64ELi256ELb1ELi10EL8MFMAType0EEvPKT_PKT0_S8_ifPKiSA_SA_iPKfiiiPfSD_PS3_PT2_iSC_SC_
	.p2align	8
	.type	_Z39paged_attention_ll4mi_QKV_mfma16_kernelIDF16_hLN4vllm18Fp8KVCacheDataTypeE1EDF16_Li32ELi64ELi256ELb1ELi10EL8MFMAType0EEvPKT_PKT0_S8_ifPKiSA_SA_iPKfiiiPfSD_PS3_PT2_iSC_SC_,@function
_Z39paged_attention_ll4mi_QKV_mfma16_kernelIDF16_hLN4vllm18Fp8KVCacheDataTypeE1EDF16_Li32ELi64ELi256ELb1ELi10EL8MFMAType0EEvPKT_PKT0_S8_ifPKiSA_SA_iPKfiiiPfSD_PS3_PT2_iSC_SC_: ; @_Z39paged_attention_ll4mi_QKV_mfma16_kernelIDF16_hLN4vllm18Fp8KVCacheDataTypeE1EDF16_Li32ELi64ELi256ELb1ELi10EL8MFMAType0EEvPKT_PKT0_S8_ifPKiSA_SA_iPKfiiiPfSD_PS3_PT2_iSC_SC_
; %bb.0:
	s_load_b64 s[2:3], s[0:1], 0x30
	s_mov_b32 s34, s13
	s_waitcnt lgkmcnt(0)
	s_cmp_lg_u64 s[2:3], 0
	s_cselect_b32 s6, -1, 0
	s_ashr_i32 s35, s13, 31
	s_cmp_eq_u64 s[2:3], 0
	s_cbranch_scc1 .LBB1191_3
; %bb.1:
	s_lshl_b64 s[4:5], s[34:35], 2
	s_delay_alu instid0(SALU_CYCLE_1) | instskip(SKIP_4) | instid1(SALU_CYCLE_1)
	s_add_u32 s4, s2, s4
	s_addc_u32 s5, s3, s5
	s_load_b64 s[4:5], s[4:5], 0x0
	s_waitcnt lgkmcnt(0)
	s_sub_i32 s4, s5, s4
	s_cmp_eq_u32 s4, 1
	s_cselect_b32 s4, -1, 0
	s_delay_alu instid0(SALU_CYCLE_1)
	s_and_not1_b32 vcc_lo, exec_lo, s4
	s_cbranch_vccz .LBB1191_4
.LBB1191_2:
	s_endpgm
.LBB1191_3:
.LBB1191_4:
	s_load_b64 s[8:9], s[0:1], 0x28
	s_lshl_b64 s[4:5], s[34:35], 2
	s_waitcnt lgkmcnt(0)
	s_add_u32 s8, s8, s4
	s_addc_u32 s9, s9, s5
	s_lshl_b32 s16, s14, 8
	s_load_b32 s18, s[8:9], 0x0
	s_waitcnt lgkmcnt(0)
	s_cmp_ge_i32 s16, s18
	s_cbranch_scc1 .LBB1191_2
; %bb.5:
	s_clause 0x1
	s_load_b128 s[8:11], s[0:1], 0x8
	s_load_b64 s[12:13], s[0:1], 0x20
	s_and_not1_b32 vcc_lo, exec_lo, s6
	s_cbranch_vccnz .LBB1191_7
; %bb.6:
	s_add_u32 s2, s2, s4
	s_addc_u32 s3, s3, s5
	s_load_b32 s3, s[2:3], 0x0
	s_branch .LBB1191_8
.LBB1191_7:
	s_mov_b32 s3, s34
.LBB1191_8:
	s_load_b128 s[4:7], s[0:1], 0x48
	v_and_b32_e32 v68, 15, v0
	v_cmp_gt_u32_e32 vcc_lo, 0xa0, v0
	v_lshrrev_b32_e32 v69, 5, v0
	v_and_b32_e32 v70, 31, v0
	v_and_b32_e32 v67, 1, v0
	v_lshlrev_b32_e32 v1, 3, v68
	v_cmp_gt_u32_e64 s2, 8, v68
	v_bfe_u32 v66, v0, 4, 1
	s_mul_i32 s31, s15, 10
	s_delay_alu instid0(VALU_DEP_3) | instskip(NEXT) | instid1(VALU_DEP_3)
	v_lshlrev_b32_e32 v65, 1, v1
	s_and_b32 s17, vcc_lo, s2
	s_waitcnt lgkmcnt(0)
	s_and_saveexec_b32 s7, s17
	s_cbranch_execz .LBB1191_10
; %bb.9:
	s_load_b64 s[20:21], s[0:1], 0x0
	v_lshl_or_b32 v5, v69, 1, v66
	s_mul_hi_i32 s23, s3, s4
	s_mul_i32 s22, s3, s4
	v_lshlrev_b32_e32 v6, 10, v68
	s_lshl_b64 s[22:23], s[22:23], 1
	v_add_lshl_u32 v1, v5, s31, 6
	v_lshlrev_b32_e32 v5, 6, v5
	v_lshlrev_b32_e32 v7, 10, v67
	v_and_b32_e32 v6, 0x3800, v6
	s_delay_alu instid0(VALU_DEP_4) | instskip(NEXT) | instid1(VALU_DEP_2)
	v_ashrrev_i32_e32 v2, 31, v1
	v_or3_b32 v5, v6, v7, v5
	s_delay_alu instid0(VALU_DEP_2) | instskip(SKIP_3) | instid1(VALU_DEP_1)
	v_lshlrev_b64 v[1:2], 1, v[1:2]
	s_waitcnt lgkmcnt(0)
	s_add_u32 s3, s20, s22
	s_addc_u32 s4, s21, s23
	v_add_co_u32 v1, vcc_lo, s3, v1
	s_delay_alu instid0(VALU_DEP_2) | instskip(NEXT) | instid1(VALU_DEP_2)
	v_add_co_ci_u32_e32 v2, vcc_lo, s4, v2, vcc_lo
	v_add_co_u32 v1, vcc_lo, v1, v65
	s_delay_alu instid0(VALU_DEP_2)
	v_add_co_ci_u32_e32 v2, vcc_lo, 0, v2, vcc_lo
	global_load_b128 v[1:4], v[1:2], off
	s_waitcnt vmcnt(0)
	ds_store_b128 v5, v[1:4]
.LBB1191_10:
	s_or_b32 exec_lo, exec_lo, s7
	v_and_b32_e32 v1, 0xef, v0
	s_add_i32 s3, s18, 31
	s_clause 0x1
	s_load_b32 s4, s[0:1], 0x38
	s_load_b32 s33, s[0:1], 0x98
	s_ashr_i32 s7, s3, 31
	v_add_nc_u32_e32 v1, s16, v1
	s_lshr_b32 s7, s7, 27
	s_load_b32 s19, s[0:1], 0x1c
	v_add_nc_u32_e32 v103, -10, v68
	s_add_i32 s3, s3, s7
	v_ashrrev_i32_e32 v2, 31, v1
	v_or_b32_e32 v3, 16, v1
	s_ashr_i32 s3, s3, 5
	v_cmp_gt_i32_e32 vcc_lo, s18, v1
	s_add_i32 s3, s3, -1
	v_lshrrev_b32_e32 v2, 27, v2
	s_waitcnt lgkmcnt(0)
	s_barrier
	buffer_gl0_inv
	s_mul_i32 s15, s15, s6
	v_add_nc_u32_e32 v4, v1, v2
	v_mbcnt_lo_u32_b32 v127, -1, 0
	s_mul_i32 s20, s34, s4
	s_delay_alu instid0(SALU_CYCLE_1) | instskip(NEXT) | instid1(VALU_DEP_2)
	s_ashr_i32 s21, s20, 31
	v_ashrrev_i32_e32 v4, 5, v4
	v_add_nc_u32_e32 v2, v3, v2
	s_lshl_b64 s[20:21], s[20:21], 2
	v_xor_b32_e32 v128, 16, v127
	s_add_u32 s17, s12, s20
	v_cndmask_b32_e32 v1, s3, v4, vcc_lo
	v_ashrrev_i32_e32 v2, 5, v2
	v_cmp_gt_i32_e32 vcc_lo, s18, v3
	s_addc_u32 s13, s13, s21
	s_ashr_i32 s20, s15, 31
	s_add_u32 s22, s8, s15
	s_addc_u32 s23, s9, s20
	v_cndmask_b32_e32 v3, s3, v2, vcc_lo
	v_ashrrev_i32_e32 v2, 31, v1
	s_lshl_b32 s6, s14, 3
	s_delay_alu instid0(SALU_CYCLE_1) | instskip(NEXT) | instid1(VALU_DEP_2)
	s_ashr_i32 s7, s6, 31
	v_ashrrev_i32_e32 v4, 31, v3
	s_delay_alu instid0(VALU_DEP_2) | instskip(SKIP_1) | instid1(SALU_CYCLE_1)
	v_lshlrev_b64 v[1:2], 2, v[1:2]
	s_lshl_b64 s[6:7], s[6:7], 2
	s_add_u32 s6, s17, s6
	s_delay_alu instid0(VALU_DEP_2) | instskip(SKIP_1) | instid1(VALU_DEP_2)
	v_lshlrev_b64 v[3:4], 2, v[3:4]
	s_addc_u32 s7, s13, s7
	v_add_co_u32 v1, vcc_lo, s17, v1
	v_add_co_ci_u32_e32 v2, vcc_lo, s13, v2, vcc_lo
	s_delay_alu instid0(VALU_DEP_3) | instskip(NEXT) | instid1(VALU_DEP_4)
	v_add_co_u32 v3, vcc_lo, s17, v3
	v_add_co_ci_u32_e32 v4, vcc_lo, s13, v4, vcc_lo
	s_clause 0x1
	global_load_b32 v5, v[1:2], off
	global_load_b32 v6, v[3:4], off
	s_or_b32 s4, s16, 32
	s_delay_alu instid0(SALU_CYCLE_1) | instskip(SKIP_2) | instid1(SALU_CYCLE_1)
	s_ashr_i32 s8, s4, 5
	s_cmp_lt_i32 s4, s18
	s_cselect_b32 s8, s8, s3
	s_ashr_i32 s9, s8, 31
	s_delay_alu instid0(SALU_CYCLE_1) | instskip(NEXT) | instid1(SALU_CYCLE_1)
	s_lshl_b64 s[8:9], s[8:9], 2
	s_add_u32 s8, s17, s8
	s_addc_u32 s9, s13, s9
	s_or_b32 s4, s16, 64
	s_delay_alu instid0(SALU_CYCLE_1) | instskip(SKIP_2) | instid1(SALU_CYCLE_1)
	s_ashr_i32 s12, s4, 5
	s_cmp_lt_i32 s4, s18
	s_cselect_b32 s24, s12, s3
	s_ashr_i32 s25, s24, 31
	s_delay_alu instid0(SALU_CYCLE_1) | instskip(NEXT) | instid1(SALU_CYCLE_1)
	s_lshl_b64 s[24:25], s[24:25], 2
	s_add_u32 s24, s17, s24
	s_addc_u32 s25, s13, s25
	;; [unrolled: 10-line block ×5, first 2 shown]
	s_clause 0x5
	s_load_b32 s12, s[6:7], 0x0
	s_load_b32 s4, s[8:9], 0x0
	;; [unrolled: 1-line block ×6, first 2 shown]
	s_or_b32 s21, s16, 0xc0
	s_waitcnt vmcnt(1)
	v_mad_i64_i32 v[1:2], null, v5, s5, s[22:23]
	v_lshlrev_b32_e32 v5, 4, v68
	s_waitcnt vmcnt(0)
	v_mad_i64_i32 v[3:4], null, v6, s5, s[22:23]
	s_ashr_i32 s22, s21, 5
	s_cmp_lt_i32 s21, s18
	s_delay_alu instid0(VALU_DEP_3) | instskip(NEXT) | instid1(VALU_DEP_4)
	v_add_co_u32 v1, vcc_lo, v1, v5
	v_add_co_ci_u32_e32 v2, vcc_lo, 0, v2, vcc_lo
	s_delay_alu instid0(VALU_DEP_3) | instskip(NEXT) | instid1(VALU_DEP_4)
	v_add_co_u32 v3, vcc_lo, v3, v5
	v_add_co_ci_u32_e32 v4, vcc_lo, 0, v4, vcc_lo
	s_clause 0x7
	global_load_b128 v[71:74], v[1:2], off
	global_load_b128 v[75:78], v[1:2], off offset:512
	global_load_b128 v[79:82], v[3:4], off offset:256
	;; [unrolled: 1-line block ×7, first 2 shown]
	s_cselect_b32 s22, s22, s3
	v_lshlrev_b32_e32 v1, 5, v68
	s_ashr_i32 s23, s22, 31
	v_cmp_gt_u32_e32 vcc_lo, 10, v68
	s_lshl_b64 s[22:23], s[22:23], 2
	s_delay_alu instid0(SALU_CYCLE_1)
	s_add_u32 s22, s17, s22
	s_addc_u32 s23, s13, s23
	s_or_b32 s21, s16, 0xe0
	v_lshl_or_b32 v1, v69, 9, v1
	s_ashr_i32 s24, s21, 5
	s_cmp_lt_i32 s21, s18
	v_cndmask_b32_e32 v103, v103, v68, vcc_lo
	s_cselect_b32 s24, s24, s3
	s_load_b32 s3, s[22:23], 0x0
	s_ashr_i32 s25, s24, 31
	v_cmp_gt_i32_e32 vcc_lo, 32, v128
	s_lshl_b64 s[24:25], s[24:25], 2
	v_lshlrev_b32_e32 v115, 6, v103
	s_add_u32 s22, s17, s24
	s_addc_u32 s23, s13, s25
	v_cndmask_b32_e32 v136, v127, v128, vcc_lo
	s_add_u32 s10, s10, s15
	s_addc_u32 s11, s11, s20
	v_add_co_u32 v1, s10, s10, v1
	s_delay_alu instid0(VALU_DEP_1) | instskip(SKIP_2) | instid1(VALU_DEP_1)
	v_add_co_ci_u32_e64 v2, null, s11, 0, s10
	s_load_b32 s10, s[22:23], 0x0
	s_waitcnt lgkmcnt(0)
	v_mad_i64_i32 v[3:4], null, s12, s5, v[1:2]
	v_mad_i64_i32 v[9:10], null, s7, s5, v[1:2]
	;; [unrolled: 1-line block ×7, first 2 shown]
	s_clause 0x5
	global_load_b128 v[49:52], v[3:4], off
	global_load_b128 v[53:56], v[3:4], off offset:16
	global_load_b128 v[41:44], v[5:6], off
	global_load_b128 v[45:48], v[5:6], off offset:16
	;; [unrolled: 2-line block ×3, first 2 shown]
	s_mov_b32 s4, 0
	v_mad_i64_i32 v[61:62], null, s10, s5, v[1:2]
	s_clause 0x9
	global_load_b128 v[1:4], v[9:10], off
	global_load_b128 v[5:8], v[9:10], off offset:16
	global_load_b128 v[9:12], v[13:14], off
	global_load_b128 v[13:16], v[13:14], off offset:16
	;; [unrolled: 2-line block ×5, first 2 shown]
	s_mov_b32 s5, s4
	s_mov_b32 s6, s4
	;; [unrolled: 1-line block ×7, first 2 shown]
	v_and_b32_e32 v104, 0xe0, v0
	v_dual_mov_b32 v126, s11 :: v_dual_mov_b32 v125, s10
	v_dual_mov_b32 v124, s9 :: v_dual_mov_b32 v123, s8
	s_delay_alu instid0(VALU_DEP_3)
	v_add_nc_u32_e32 v111, s16, v104
	ds_load_b128 v[103:106], v115
	ds_load_b128 v[107:110], v115 offset:1024
	v_dual_mov_b32 v122, s7 :: v_dual_mov_b32 v121, s6
	v_mov_b32_e32 v120, s5
	v_or_b32_e32 v135, v111, v66
	ds_load_b128 v[111:114], v115 offset:2048
	ds_load_b128 v[115:118], v115 offset:3072
	v_mov_b32_e32 v119, s4
	s_waitcnt vmcnt(0) lgkmcnt(0)
	s_barrier
	v_or_b32_e32 v137, 2, v135
	v_or_b32_e32 v138, 4, v135
	;; [unrolled: 1-line block ×3, first 2 shown]
	v_cmp_gt_i32_e32 vcc_lo, s18, v135
	v_or_b32_e32 v140, 8, v135
	v_cmp_gt_i32_e64 s3, s18, v137
	v_or_b32_e32 v141, 10, v135
	v_cmp_gt_i32_e64 s4, s18, v138
	v_cmp_gt_i32_e64 s5, s18, v139
	v_or_b32_e32 v142, 12, v135
	v_or_b32_e32 v143, 14, v135
	v_cmp_gt_i32_e64 s6, s18, v140
	v_cmp_gt_i32_e64 s7, s18, v141
	v_or_b32_e32 v144, 16, v135
	v_or_b32_e32 v145, 18, v135
	v_cmp_gt_i32_e64 s8, s18, v142
	v_cmp_gt_i32_e64 s9, s18, v143
	buffer_gl0_inv
	v_cmp_gt_i32_e64 s10, s18, v144
	v_cmp_gt_i32_e64 s11, s18, v145
	v_wmma_f32_16x16x16_f16 v[127:134], v[71:78], v[103:110], v[119:126]
	v_wmma_f32_16x16x16_f16 v[119:126], v[79:86], v[103:110], v[119:126]
	v_or_b32_e32 v71, 20, v135
	v_or_b32_e32 v72, 22, v135
	s_delay_alu instid0(VALU_DEP_4)
	v_wmma_f32_16x16x16_f16 v[127:134], v[87:94], v[111:118], v[127:134]
	v_or_b32_e32 v73, 24, v135
	v_wmma_f32_16x16x16_f16 v[119:126], v[95:102], v[111:118], v[119:126]
	v_or_b32_e32 v74, 26, v135
	v_cmp_gt_i32_e64 s12, s18, v71
	v_dual_mul_f32 v83, s19, v128 :: v_dual_mul_f32 v84, s19, v127
	s_delay_alu instid0(VALU_DEP_4) | instskip(SKIP_1) | instid1(VALU_DEP_3)
	v_dual_mul_f32 v81, s19, v130 :: v_dual_mul_f32 v92, s19, v119
	v_mul_f32_e32 v82, s19, v129
	v_cndmask_b32_e64 v83, 0xff7fffff, v83, s3
	s_delay_alu instid0(VALU_DEP_4)
	v_cndmask_b32_e32 v84, 0xff7fffff, v84, vcc_lo
	v_dual_mul_f32 v79, s19, v132 :: v_dual_mul_f32 v90, s19, v121
	v_mul_f32_e32 v80, s19, v131
	v_cndmask_b32_e64 v82, 0xff7fffff, v82, s4
	v_cndmask_b32_e64 v81, 0xff7fffff, v81, s5
	v_max3_f32 v83, v84, 0xff7fffff, v83
	v_dual_mul_f32 v77, s19, v134 :: v_dual_mul_f32 v88, s19, v123
	v_mul_f32_e32 v78, s19, v133
	v_cndmask_b32_e64 v80, 0xff7fffff, v80, s6
	v_cndmask_b32_e64 v79, 0xff7fffff, v79, s7
	v_max3_f32 v81, v83, v82, v81
	v_mul_f32_e32 v91, s19, v120
	v_cndmask_b32_e64 v78, 0xff7fffff, v78, s8
	v_cndmask_b32_e64 v77, 0xff7fffff, v77, s9
	v_mul_f32_e32 v89, s19, v122
	v_max3_f32 v79, v81, v80, v79
	v_cndmask_b32_e64 v80, 0xff7fffff, v92, s10
	v_cndmask_b32_e64 v81, 0xff7fffff, v91, s11
	v_cmp_gt_i32_e64 s13, s18, v72
	v_or_b32_e32 v75, 28, v135
	v_max3_f32 v77, v79, v78, v77
	v_or_b32_e32 v76, 30, v135
	v_mul_f32_e32 v87, s19, v124
	v_cndmask_b32_e64 v71, 0xff7fffff, v90, s12
	v_cndmask_b32_e64 v72, 0xff7fffff, v89, s13
	v_max3_f32 v77, v77, v80, v81
	v_cmp_gt_i32_e64 s15, s18, v73
	v_cmp_gt_i32_e64 s16, s18, v74
	v_dual_mul_f32 v85, s19, v126 :: v_dual_mul_f32 v86, s19, v125
	s_delay_alu instid0(VALU_DEP_4) | instskip(NEXT) | instid1(VALU_DEP_4)
	v_max3_f32 v71, v77, v71, v72
	v_cndmask_b32_e64 v73, 0xff7fffff, v88, s15
	s_delay_alu instid0(VALU_DEP_4) | instskip(SKIP_2) | instid1(VALU_DEP_3)
	v_cndmask_b32_e64 v74, 0xff7fffff, v87, s16
	v_cmp_gt_i32_e64 s17, s18, v75
	v_cmp_gt_i32_e64 s18, s18, v76
	v_max3_f32 v71, v71, v73, v74
	s_delay_alu instid0(VALU_DEP_3) | instskip(NEXT) | instid1(VALU_DEP_3)
	v_cndmask_b32_e64 v72, 0xff7fffff, v86, s17
	v_cndmask_b32_e64 v75, 0xff7fffff, v85, s18
	v_lshlrev_b32_e32 v73, 2, v136
	s_delay_alu instid0(VALU_DEP_2) | instskip(SKIP_3) | instid1(VALU_DEP_1)
	v_max3_f32 v71, v71, v72, v75
	ds_bpermute_b32 v72, v73, v71
	s_waitcnt lgkmcnt(0)
	v_max_f32_e32 v72, v72, v72
	v_max_f32_e32 v71, v71, v72
	s_delay_alu instid0(VALU_DEP_1)
	v_fma_f32 v72, s19, v127, -v71
	v_fma_f32 v74, s19, v128, -v71
	v_fma_f32 v75, s19, v129, -v71
	v_fma_f32 v76, s19, v130, -v71
	v_fma_f32 v77, s19, v131, -v71
	v_mul_f32_e32 v72, 0x3fb8aa3b, v72
	v_mul_f32_e32 v74, 0x3fb8aa3b, v74
	v_fma_f32 v80, s19, v133, -v71
	s_delay_alu instid0(VALU_DEP_4) | instskip(NEXT) | instid1(VALU_DEP_4)
	v_dual_mul_f32 v76, 0x3fb8aa3b, v76 :: v_dual_mul_f32 v77, 0x3fb8aa3b, v77
	v_exp_f32_e32 v72, v72
	s_delay_alu instid0(VALU_DEP_3) | instskip(NEXT) | instid1(VALU_DEP_2)
	v_exp_f32_e32 v74, v74
	v_mul_f32_e32 v82, 0x3fb8aa3b, v80
	s_delay_alu instid0(VALU_DEP_2) | instskip(SKIP_1) | instid1(VALU_DEP_1)
	v_exp_f32_e32 v76, v76
	v_exp_f32_e32 v77, v77
	;; [unrolled: 1-line block ×3, first 2 shown]
	v_cndmask_b32_e32 v79, 0, v72, vcc_lo
	v_fma_f32 v72, s19, v132, -v71
	v_mul_f32_e32 v75, 0x3fb8aa3b, v75
	v_cndmask_b32_e64 v78, 0, v74, s3
	s_delay_alu instid0(TRANS32_DEP_3)
	v_cndmask_b32_e64 v80, 0, v76, s5
	v_add_f32_e32 v74, 0, v79
	v_mul_f32_e32 v72, 0x3fb8aa3b, v72
	v_exp_f32_e32 v75, v75
	v_cndmask_b32_e64 v83, 0, v77, s6
	v_cndmask_b32_e64 v85, 0, v84, s8
	v_add_f32_e32 v74, v74, v78
	v_exp_f32_e32 v72, v72
	s_mov_b32 s3, exec_lo
	s_waitcnt_depctr 0xfff
	v_cndmask_b32_e64 v81, 0, v75, s4
	v_cndmask_b32_e64 v82, 0, v72, s7
	s_delay_alu instid0(VALU_DEP_2) | instskip(NEXT) | instid1(VALU_DEP_1)
	v_add_f32_e32 v74, v74, v81
	v_add_f32_e32 v74, v74, v80
	s_delay_alu instid0(VALU_DEP_1) | instskip(SKIP_4) | instid1(VALU_DEP_4)
	v_add_f32_e32 v72, v74, v83
	v_fma_f32 v75, s19, v134, -v71
	v_fma_f32 v76, s19, v119, -v71
	;; [unrolled: 1-line block ×4, first 2 shown]
	v_dual_add_f32 v72, v72, v82 :: v_dual_mul_f32 v75, 0x3fb8aa3b, v75
	s_delay_alu instid0(VALU_DEP_3) | instskip(SKIP_1) | instid1(VALU_DEP_3)
	v_dual_mul_f32 v76, 0x3fb8aa3b, v76 :: v_dual_mul_f32 v77, 0x3fb8aa3b, v77
	v_fma_f32 v86, s19, v122, -v71
	v_add_f32_e32 v72, v72, v85
	s_delay_alu instid0(VALU_DEP_4) | instskip(NEXT) | instid1(VALU_DEP_3)
	v_exp_f32_e32 v75, v75
	v_exp_f32_e32 v76, v76
	;; [unrolled: 1-line block ×3, first 2 shown]
	v_mul_f32_e32 v86, 0x3fb8aa3b, v86
	s_delay_alu instid0(VALU_DEP_1) | instskip(SKIP_3) | instid1(TRANS32_DEP_3)
	v_exp_f32_e32 v88, v86
	v_cndmask_b32_e64 v84, 0, v75, s9
	v_fma_f32 v75, s19, v123, -v71
	v_mul_f32_e32 v74, 0x3fb8aa3b, v74
	v_cndmask_b32_e64 v87, 0, v76, s10
	v_fma_f32 v76, s19, v124, -v71
	s_delay_alu instid0(VALU_DEP_4) | instskip(NEXT) | instid1(VALU_DEP_4)
	v_dual_add_f32 v72, v72, v84 :: v_dual_mul_f32 v75, 0x3fb8aa3b, v75
	v_exp_f32_e32 v74, v74
	v_cndmask_b32_e64 v86, 0, v77, s11
	v_fma_f32 v77, s19, v125, -v71
	s_delay_alu instid0(VALU_DEP_3) | instskip(SKIP_3) | instid1(VALU_DEP_3)
	v_add_f32_e32 v72, v72, v87
	v_mul_f32_e32 v76, 0x3fb8aa3b, v76
	v_exp_f32_e32 v75, v75
	v_cndmask_b32_e64 v88, 0, v88, s13
	v_add_f32_e32 v72, v72, v86
	s_delay_alu instid0(VALU_DEP_3) | instskip(NEXT) | instid1(TRANS32_DEP_3)
	v_exp_f32_e32 v76, v76
	v_cndmask_b32_e64 v89, 0, v74, s12
	v_mul_f32_e32 v74, 0x3fb8aa3b, v77
	v_fma_f32 v77, s19, v126, -v71
	s_delay_alu instid0(VALU_DEP_3) | instskip(NEXT) | instid1(VALU_DEP_3)
	v_add_f32_e32 v72, v72, v89
	v_exp_f32_e32 v74, v74
	s_delay_alu instid0(TRANS32_DEP_3) | instskip(NEXT) | instid1(VALU_DEP_3)
	v_cndmask_b32_e64 v91, 0, v75, s15
	v_mul_f32_e32 v75, 0x3fb8aa3b, v77
	s_delay_alu instid0(TRANS32_DEP_2) | instskip(SKIP_1) | instid1(VALU_DEP_3)
	v_cndmask_b32_e64 v90, 0, v76, s16
	v_add_f32_e32 v72, v72, v88
	v_exp_f32_e32 v75, v75
	s_delay_alu instid0(VALU_DEP_1) | instskip(NEXT) | instid1(TRANS32_DEP_2)
	v_add_f32_e32 v72, v72, v91
	v_cndmask_b32_e64 v93, 0, v74, s17
	s_delay_alu instid0(VALU_DEP_2) | instskip(SKIP_3) | instid1(VALU_DEP_1)
	v_add_f32_e32 v72, v72, v90
	s_waitcnt_depctr 0xfff
	v_cndmask_b32_e64 v92, 0, v75, s18
	v_add_f32_e32 v72, v72, v93
	v_add_f32_e32 v72, v72, v92
	ds_bpermute_b32 v73, v73, v72
	v_cmpx_gt_u32_e32 16, v70
	s_cbranch_execz .LBB1191_12
; %bb.11:
	v_mul_u32_u24_e32 v70, 0x44, v69
	s_waitcnt lgkmcnt(0)
	v_add_f32_e32 v72, v72, v73
	s_delay_alu instid0(VALU_DEP_2) | instskip(NEXT) | instid1(VALU_DEP_1)
	v_lshl_add_u32 v70, v68, 2, v70
	v_add_nc_u32_e32 v70, 0x4000, v70
	ds_store_2addr_b32 v70, v71, v72 offset1:136
.LBB1191_12:
	s_or_b32 exec_lo, exec_lo, s3
	v_lshlrev_b32_e32 v70, 2, v68
	s_load_b32 s35, s[0:1], 0x94
	s_waitcnt lgkmcnt(0)
	s_barrier
	buffer_gl0_inv
	v_add_nc_u32_e32 v98, 0x4000, v70
	v_cmp_eq_u32_e32 vcc_lo, 1, v69
	v_cmp_eq_u32_e64 s3, 2, v69
	v_cmp_eq_u32_e64 s4, 3, v69
	;; [unrolled: 1-line block ×3, first 2 shown]
	ds_load_2addr_b32 v[70:71], v98 offset1:17
	ds_load_2addr_b32 v[72:73], v98 offset0:34 offset1:51
	ds_load_2addr_b32 v[74:75], v98 offset0:68 offset1:85
	;; [unrolled: 1-line block ×3, first 2 shown]
	v_cmp_eq_u32_e64 s6, 5, v69
	v_cmp_eq_u32_e64 s7, 7, v69
	s_waitcnt lgkmcnt(3)
	v_max3_f32 v76, v70, 0xff7fffff, v71
	s_waitcnt lgkmcnt(2)
	s_delay_alu instid0(VALU_DEP_1) | instskip(SKIP_1) | instid1(VALU_DEP_1)
	v_max3_f32 v76, v76, v72, v73
	s_waitcnt lgkmcnt(1)
	v_max3_f32 v76, v76, v74, v75
	s_waitcnt lgkmcnt(0)
	s_delay_alu instid0(VALU_DEP_1) | instskip(NEXT) | instid1(VALU_DEP_1)
	v_max3_f32 v76, v76, v94, v95
	v_sub_f32_e32 v77, v71, v76
	ds_load_2addr_b32 v[96:97], v98 offset0:136 offset1:153
	v_sub_f32_e32 v74, v74, v76
	v_sub_f32_e32 v70, v70, v76
	;; [unrolled: 1-line block ×3, first 2 shown]
	v_dual_sub_f32 v72, v72, v76 :: v_dual_mul_f32 v77, 0x3fb8aa3b, v77
	s_delay_alu instid0(VALU_DEP_4) | instskip(NEXT) | instid1(VALU_DEP_4)
	v_mul_f32_e32 v103, 0x3fb8aa3b, v74
	v_mul_f32_e32 v99, 0x3fb8aa3b, v70
	ds_load_2addr_b32 v[70:71], v98 offset0:170 offset1:187
	v_dual_mul_f32 v101, 0x3fb8aa3b, v72 :: v_dual_mul_f32 v94, 0x3fb8aa3b, v94
	v_exp_f32_e32 v102, v77
	v_exp_f32_e32 v99, v99
	s_delay_alu instid0(VALU_DEP_1) | instskip(NEXT) | instid1(VALU_DEP_1)
	v_exp_f32_e32 v101, v101
	v_exp_f32_e32 v94, v94
	s_waitcnt lgkmcnt(1)
	s_delay_alu instid0(TRANS32_DEP_3)
	v_fma_f32 v77, v99, v96, 0
	v_sub_f32_e32 v100, v73, v76
	ds_load_2addr_b32 v[72:73], v98 offset0:204 offset1:221
	v_fmac_f32_e32 v77, v102, v97
	v_exp_f32_e32 v97, v103
	s_waitcnt lgkmcnt(1)
	s_delay_alu instid0(VALU_DEP_1)
	v_dual_fmac_f32 v77, v101, v70 :: v_dual_sub_f32 v96, v75, v76
	ds_load_2addr_b32 v[74:75], v98 offset0:238 offset1:255
	v_sub_f32_e32 v70, v95, v76
	s_waitcnt lgkmcnt(0)
	s_barrier
	v_mul_f32_e32 v96, 0x3fb8aa3b, v96
	buffer_gl0_inv
	v_exp_f32_e32 v95, v96
	v_mul_f32_e32 v100, 0x3fb8aa3b, v100
	s_delay_alu instid0(VALU_DEP_1) | instskip(SKIP_3) | instid1(VALU_DEP_2)
	v_exp_f32_e32 v100, v100
	s_waitcnt_depctr 0xfff
	v_dual_fmac_f32 v77, v100, v71 :: v_dual_mul_f32 v70, 0x3fb8aa3b, v70
	v_cndmask_b32_e32 v71, v99, v102, vcc_lo
	v_fmac_f32_e32 v77, v97, v72
	s_delay_alu instid0(VALU_DEP_3) | instskip(NEXT) | instid1(VALU_DEP_1)
	v_exp_f32_e32 v96, v70
	v_fmac_f32_e32 v77, v95, v73
	s_delay_alu instid0(VALU_DEP_1) | instskip(SKIP_2) | instid1(VALU_DEP_1)
	v_fmac_f32_e32 v77, v94, v74
	s_waitcnt_depctr 0xfff
	v_fmac_f32_e32 v77, v96, v75
	v_add_f32_e32 v74, 0x358637bd, v77
	s_delay_alu instid0(VALU_DEP_1) | instskip(SKIP_1) | instid1(VALU_DEP_2)
	v_div_scale_f32 v98, null, v74, v74, 1.0
	v_div_scale_f32 v99, vcc_lo, 1.0, v74, 1.0
	v_rcp_f32_e32 v103, v98
	s_waitcnt_depctr 0xfff
	v_fma_f32 v70, -v98, v103, 1.0
	s_delay_alu instid0(VALU_DEP_1) | instskip(SKIP_2) | instid1(VALU_DEP_2)
	v_fmac_f32_e32 v103, v70, v103
	v_cndmask_b32_e64 v70, v71, v101, s3
	v_cmp_eq_u32_e64 s3, 6, v69
	v_cndmask_b32_e64 v71, v70, v100, s4
	s_delay_alu instid0(VALU_DEP_4) | instskip(NEXT) | instid1(VALU_DEP_2)
	v_dual_mul_f32 v101, v99, v103 :: v_dual_lshlrev_b32 v70, 2, v66
	v_cndmask_b32_e64 v71, v71, v97, s5
	s_delay_alu instid0(VALU_DEP_2) | instskip(NEXT) | instid1(VALU_DEP_3)
	v_or_b32_e32 v72, 1, v70
	v_fma_f32 v100, -v98, v101, v99
	v_cmp_eq_u32_e64 s4, 1, v70
	v_cmp_eq_u32_e64 s5, 2, v70
	v_cndmask_b32_e64 v95, v71, v95, s6
	v_or_b32_e32 v71, 3, v70
	v_fmac_f32_e32 v101, v100, v103
	v_cmp_eq_u32_e64 s9, 1, v72
	v_cmp_eq_u32_e64 s12, 2, v72
	v_cndmask_b32_e64 v94, v95, v94, s3
	v_cmp_eq_u32_e64 s11, 1, v71
	v_fma_f32 v97, -v98, v101, v99
	v_cmp_eq_u32_e64 s16, 2, v71
	v_cmp_eq_u32_e64 s13, 3, v72
	v_cndmask_b32_e64 v94, v94, v96, s7
	v_cmp_eq_u32_e64 s18, 3, v71
	v_div_fmas_f32 v95, v97, v103, v101
	v_cmp_eq_u32_e32 vcc_lo, 3, v70
	v_cmp_eq_u32_e64 s3, 4, v70
	v_cmp_eq_u32_e64 s19, 4, v72
	;; [unrolled: 1-line block ×3, first 2 shown]
	v_div_fixup_f32 v95, v95, v74, 1.0
	v_lshlrev_b32_e32 v73, 6, v68
	v_cmp_eq_u32_e64 s6, 5, v70
	v_cmp_eq_u32_e64 s20, 5, v72
	;; [unrolled: 1-line block ×3, first 2 shown]
	v_mul_f32_e32 v102, v94, v95
	v_lshl_or_b32 v75, v69, 11, v73
	v_or_b32_e32 v69, 2, v70
	v_cmp_eq_u32_e64 s25, 6, v72
	v_cmp_eq_u32_e64 s27, 6, v71
	v_fma_mixlo_f16 v94, v102, v79, 0
	v_fma_mixlo_f16 v95, v102, v81, 0
	;; [unrolled: 1-line block ×8, first 2 shown]
	v_lshl_or_b32 v74, v66, 4, v75
	v_fma_mixhi_f16 v94, v102, v78, 0
	v_fma_mixhi_f16 v95, v102, v80, 0
	;; [unrolled: 1-line block ×8, first 2 shown]
	ds_store_b128 v74, v[94:97]
	ds_store_b128 v74, v[98:101] offset:1024
	s_waitcnt lgkmcnt(0)
	s_barrier
	buffer_gl0_inv
	ds_load_b128 v[78:81], v75
	ds_load_b128 v[82:85], v75 offset:16
	ds_load_b128 v[86:89], v75 offset:1024
	;; [unrolled: 1-line block ×3, first 2 shown]
	v_cmp_eq_u32_e64 s10, 1, v69
	v_cmp_eq_u32_e64 s15, 2, v69
	;; [unrolled: 1-line block ×11, first 2 shown]
	s_waitcnt lgkmcnt(3)
	v_lshrrev_b32_e32 v94, 16, v78
	s_waitcnt lgkmcnt(2)
	v_lshrrev_b32_e32 v98, 16, v82
	;; [unrolled: 2-line block ×4, first 2 shown]
	v_lshrrev_b32_e32 v95, 16, v79
	v_cndmask_b32_e64 v110, v78, v94, s4
	v_cndmask_b32_e64 v111, v82, v98, s4
	;; [unrolled: 1-line block ×8, first 2 shown]
	v_lshrrev_b32_e32 v99, 16, v83
	v_cndmask_b32_e64 v94, v86, v102, s4
	v_cndmask_b32_e64 v98, v90, v106, s4
	;; [unrolled: 1-line block ×15, first 2 shown]
	v_lshrrev_b32_e32 v103, 16, v87
	v_lshrrev_b32_e32 v107, 16, v91
	v_cndmask_b32_e64 v113, v115, v83, s15
	v_cndmask_b32_e64 v82, v94, v87, s5
	;; [unrolled: 1-line block ×7, first 2 shown]
	v_cndmask_b32_e32 v90, v102, v95, vcc_lo
	v_cndmask_b32_e32 v102, v106, v99, vcc_lo
	v_cndmask_b32_e64 v106, v110, v95, s13
	v_cndmask_b32_e64 v110, v111, v99, s13
	;; [unrolled: 1-line block ×4, first 2 shown]
	v_lshrrev_b32_e32 v96, 16, v80
	v_lshrrev_b32_e32 v100, 16, v84
	v_cndmask_b32_e64 v111, v112, v95, s17
	v_cndmask_b32_e64 v112, v113, v99, s17
	v_cndmask_b32_e32 v82, v82, v103, vcc_lo
	v_cndmask_b32_e32 v83, v83, v107, vcc_lo
	v_cndmask_b32_e64 v94, v94, v103, s13
	v_cndmask_b32_e64 v90, v90, v80, s3
	;; [unrolled: 1-line block ×7, first 2 shown]
	v_lshrrev_b32_e32 v104, 16, v88
	v_cndmask_b32_e64 v106, v111, v80, s21
	v_cndmask_b32_e64 v110, v112, v84, s21
	;; [unrolled: 1-line block ×11, first 2 shown]
	v_lshrrev_b32_e32 v97, 16, v81
	v_lshrrev_b32_e32 v101, 16, v85
	v_cndmask_b32_e64 v99, v106, v96, s23
	v_cndmask_b32_e64 v102, v110, v100, s23
	;; [unrolled: 1-line block ×7, first 2 shown]
	v_lshrrev_b32_e32 v105, 16, v89
	v_cndmask_b32_e64 v80, v80, v104, s6
	v_cndmask_b32_e64 v84, v84, v81, s7
	;; [unrolled: 1-line block ×16, first 2 shown]
	v_perm_b32 v81, v79, v78, 0x5040100
	v_perm_b32 v79, v95, v85, 0x5040100
	v_cndmask_b32_e64 v78, v119, v91, s15
	v_cndmask_b32_e64 v85, v117, v91, s12
	;; [unrolled: 1-line block ×3, first 2 shown]
	v_perm_b32 v80, v94, v90, 0x5040100
	v_cndmask_b32_e64 v90, v98, v103, s17
	v_cndmask_b32_e64 v86, v86, v103, s18
	;; [unrolled: 1-line block ×5, first 2 shown]
	v_lshrrev_b32_e32 v108, 16, v92
	v_cndmask_b32_e64 v90, v90, v88, s21
	v_cndmask_b32_e64 v86, v86, v88, s22
	;; [unrolled: 1-line block ×11, first 2 shown]
	v_lshrrev_b32_e32 v109, 16, v93
	v_cndmask_b32_e64 v82, v82, v93, s7
	v_cndmask_b32_e64 v88, v88, v89, s26
	;; [unrolled: 1-line block ×12, first 2 shown]
	v_perm_b32 v78, v84, v83, 0x5040100
	v_perm_b32 v85, v87, v86, 0x5040100
	;; [unrolled: 1-line block ×5, first 2 shown]
	s_mul_i32 s8, s33, 10
	s_mov_b32 s3, exec_lo
	ds_store_b128 v74, v[78:81]
	ds_store_b128 v74, v[82:85] offset:1024
	v_cmpx_gt_u32_e32 10, v0
	s_cbranch_execz .LBB1191_14
; %bb.13:
	s_mul_i32 s4, s8, s34
	s_delay_alu instid0(SALU_CYCLE_1) | instskip(SKIP_1) | instid1(VALU_DEP_1)
	v_add3_u32 v68, s4, s31, v68
	s_load_b128 s[4:7], s[0:1], 0x58
	v_mad_u64_u32 v[78:79], null, v68, s35, s[14:15]
	s_delay_alu instid0(VALU_DEP_1) | instskip(NEXT) | instid1(VALU_DEP_1)
	v_ashrrev_i32_e32 v79, 31, v78
	v_lshlrev_b64 v[78:79], 2, v[78:79]
	s_waitcnt lgkmcnt(0)
	s_delay_alu instid0(VALU_DEP_1) | instskip(NEXT) | instid1(VALU_DEP_2)
	v_add_co_u32 v80, vcc_lo, s6, v78
	v_add_co_ci_u32_e32 v81, vcc_lo, s7, v79, vcc_lo
	v_add_co_u32 v78, vcc_lo, s4, v78
	v_add_co_ci_u32_e32 v79, vcc_lo, s5, v79, vcc_lo
	global_store_b32 v[80:81], v76, off
	global_store_b32 v[78:79], v77, off
.LBB1191_14:
	s_or_b32 exec_lo, exec_lo, s3
	s_waitcnt lgkmcnt(0)
	s_waitcnt_vscnt null, 0x0
	s_barrier
	buffer_gl0_inv
	ds_load_b128 v[84:87], v73
	ds_load_b128 v[88:91], v73 offset:16
	ds_load_b128 v[96:99], v73 offset:2064
	ds_load_b128 v[92:95], v73 offset:2048
	ds_load_b128 v[104:107], v73 offset:4112
	ds_load_b128 v[100:103], v73 offset:4096
	v_cmp_eq_u32_e32 vcc_lo, 1, v70
	v_mov_b32_e32 v76, 0
	ds_load_b128 v[112:115], v73 offset:6160
	ds_load_b128 v[108:111], v73 offset:6144
	ds_load_b128 v[120:123], v73 offset:8208
	ds_load_b128 v[116:119], v73 offset:8192
	v_cmp_eq_u32_e64 s4, 1, v69
	v_cmp_eq_u32_e64 s3, 1, v72
	;; [unrolled: 1-line block ×3, first 2 shown]
	v_mov_b32_e32 v77, v76
	v_mov_b32_e32 v78, v76
	;; [unrolled: 1-line block ×7, first 2 shown]
	v_cmp_eq_u32_e64 s6, 3, v72
	v_cmp_eq_u32_e64 s7, 7, v72
	s_waitcnt lgkmcnt(8)
	s_delay_alu instid0(VALU_DEP_3)
	v_wmma_f32_16x16x16_f16 v[76:83], v[49:56], v[84:91], v[76:83]
	ds_load_b128 v[53:56], v73 offset:10256
	ds_load_b128 v[49:52], v73 offset:10240
	s_waitcnt lgkmcnt(8)
	v_wmma_f32_16x16x16_f16 v[76:83], v[41:48], v[92:99], v[76:83]
	ds_load_b128 v[45:48], v73 offset:12304
	ds_load_b128 v[41:44], v73 offset:12288
	s_waitcnt lgkmcnt(8)
	;; [unrolled: 4-line block ×3, first 2 shown]
	s_barrier
	buffer_gl0_inv
	v_wmma_f32_16x16x16_f16 v[76:83], v[1:8], v[108:115], v[76:83]
	s_delay_alu instid0(VALU_DEP_1) | instskip(NEXT) | instid1(VALU_DEP_1)
	v_wmma_f32_16x16x16_f16 v[76:83], v[9:16], v[116:123], v[76:83]
	v_wmma_f32_16x16x16_f16 v[76:83], v[17:24], v[49:56], v[76:83]
	s_delay_alu instid0(VALU_DEP_1) | instskip(NEXT) | instid1(VALU_DEP_1)
	v_wmma_f32_16x16x16_f16 v[76:83], v[25:32], v[41:48], v[76:83]
	v_wmma_f32_16x16x16_f16 v[76:83], v[57:64], v[33:40], v[76:83]
	s_delay_alu instid0(VALU_DEP_1) | instskip(NEXT) | instid1(VALU_DEP_2)
	v_cvt_f16_f32_e32 v1, v76
	v_cvt_f16_f32_e32 v2, v77
	s_delay_alu instid0(VALU_DEP_3) | instskip(NEXT) | instid1(VALU_DEP_4)
	v_cvt_f16_f32_e32 v3, v78
	v_cvt_f16_f32_e32 v4, v79
	;; [unrolled: 1-line block ×6, first 2 shown]
	v_pack_b32_f16 v1, v1, v2
	v_pack_b32_f16 v2, v3, v4
	;; [unrolled: 1-line block ×3, first 2 shown]
	s_delay_alu instid0(VALU_DEP_4)
	v_pack_b32_f16 v4, v7, v8
	ds_store_b128 v74, v[1:4]
	s_waitcnt lgkmcnt(0)
	s_barrier
	buffer_gl0_inv
	ds_load_b128 v[1:4], v75
	ds_load_b128 v[5:8], v75 offset:16
	s_waitcnt lgkmcnt(1)
	v_lshrrev_b32_e32 v9, 16, v1
	s_waitcnt lgkmcnt(0)
	v_lshrrev_b32_e32 v13, 16, v5
	v_lshrrev_b32_e32 v10, 16, v2
	;; [unrolled: 1-line block ×4, first 2 shown]
	v_cndmask_b32_e32 v17, v1, v9, vcc_lo
	v_cndmask_b32_e32 v18, v5, v13, vcc_lo
	v_cndmask_b32_e64 v21, v1, v9, s4
	v_cmp_eq_u32_e32 vcc_lo, 1, v71
	v_cndmask_b32_e64 v22, v5, v13, s4
	v_cmp_eq_u32_e64 s4, 2, v70
	v_cndmask_b32_e64 v19, v1, v9, s3
	v_cndmask_b32_e64 v20, v5, v13, s3
	v_cndmask_b32_e32 v1, v1, v9, vcc_lo
	v_cmp_eq_u32_e64 s3, 2, v71
	v_cndmask_b32_e32 v5, v5, v13, vcc_lo
	v_cndmask_b32_e64 v9, v17, v2, s4
	v_cmp_eq_u32_e32 vcc_lo, 3, v70
	v_cndmask_b32_e64 v13, v18, v6, s4
	v_cmp_eq_u32_e64 s4, 2, v69
	v_cndmask_b32_e64 v17, v19, v2, s5
	v_cndmask_b32_e64 v18, v20, v6, s5
	v_cmp_eq_u32_e64 s5, 3, v69
	v_cndmask_b32_e64 v1, v1, v2, s3
	v_cndmask_b32_e64 v19, v21, v2, s4
	;; [unrolled: 1-line block ×4, first 2 shown]
	v_cndmask_b32_e32 v5, v9, v10, vcc_lo
	v_cndmask_b32_e32 v6, v13, v14, vcc_lo
	v_cmp_eq_u32_e32 vcc_lo, 3, v71
	v_cndmask_b32_e64 v9, v17, v10, s6
	v_cndmask_b32_e64 v13, v18, v14, s6
	;; [unrolled: 1-line block ×3, first 2 shown]
	v_cmp_eq_u32_e64 s4, 4, v70
	v_cndmask_b32_e32 v1, v1, v10, vcc_lo
	v_cndmask_b32_e32 v2, v2, v14, vcc_lo
	v_cmp_eq_u32_e32 vcc_lo, 4, v72
	v_lshrrev_b32_e32 v15, 16, v7
	v_lshrrev_b32_e32 v16, 16, v8
	v_cndmask_b32_e64 v17, v19, v10, s5
	v_cmp_eq_u32_e64 s3, 4, v71
	v_cndmask_b32_e64 v5, v5, v3, s4
	v_cndmask_b32_e64 v6, v6, v7, s4
	v_cndmask_b32_e32 v9, v9, v3, vcc_lo
	v_cmp_eq_u32_e64 s4, 5, v72
	v_cndmask_b32_e32 v10, v13, v7, vcc_lo
	v_cmp_eq_u32_e32 vcc_lo, 4, v69
	v_cmp_eq_u32_e64 s5, 5, v70
	v_cndmask_b32_e64 v2, v2, v7, s3
	v_cndmask_b32_e64 v9, v9, v11, s4
	;; [unrolled: 1-line block ×3, first 2 shown]
	v_cndmask_b32_e32 v13, v17, v3, vcc_lo
	v_cmp_eq_u32_e64 s4, 5, v69
	v_cndmask_b32_e32 v14, v18, v7, vcc_lo
	v_cndmask_b32_e64 v1, v1, v3, s3
	v_cmp_eq_u32_e32 vcc_lo, 5, v71
	v_lshrrev_b32_e32 v12, 16, v4
	v_cndmask_b32_e64 v13, v13, v11, s4
	v_cndmask_b32_e64 v3, v14, v15, s4
	v_cmp_eq_u32_e64 s4, 6, v71
	v_cndmask_b32_e32 v1, v1, v11, vcc_lo
	v_cndmask_b32_e64 v5, v5, v11, s5
	v_cmp_eq_u32_e64 s6, 6, v70
	v_cndmask_b32_e64 v6, v6, v15, s5
	v_cmp_eq_u32_e64 s5, 6, v72
	v_cmp_eq_u32_e64 s3, 6, v69
	v_cndmask_b32_e64 v1, v1, v4, s4
	v_cndmask_b32_e32 v2, v2, v15, vcc_lo
	v_cmp_eq_u32_e32 vcc_lo, 7, v71
	v_cndmask_b32_e64 v5, v5, v4, s6
	v_cndmask_b32_e64 v9, v9, v4, s5
	;; [unrolled: 1-line block ×3, first 2 shown]
	v_cmp_eq_u32_e64 s6, 7, v70
	v_cndmask_b32_e32 v1, v1, v12, vcc_lo
	v_cndmask_b32_e64 v7, v13, v4, s3
	v_cndmask_b32_e64 v3, v3, v8, s3
	;; [unrolled: 1-line block ×3, first 2 shown]
	v_cmp_eq_u32_e64 s3, 7, v69
	v_cndmask_b32_e64 v4, v10, v8, s5
	v_cndmask_b32_e64 v5, v5, v12, s6
	v_cndmask_b32_e64 v9, v9, v12, s7
	v_cndmask_b32_e32 v2, v2, v16, vcc_lo
	v_cndmask_b32_e64 v7, v7, v12, s3
	v_cndmask_b32_e64 v3, v3, v16, s3
	;; [unrolled: 1-line block ×4, first 2 shown]
	v_cmp_gt_u32_e32 vcc_lo, 32, v0
	v_perm_b32 v4, v2, v1, 0x5040100
	v_perm_b32 v3, v3, v7, 0x5040100
	;; [unrolled: 1-line block ×4, first 2 shown]
	s_and_b32 s2, vcc_lo, s2
	ds_store_b128 v74, v[1:4]
	s_waitcnt lgkmcnt(0)
	s_barrier
	buffer_gl0_inv
	s_and_saveexec_b32 s3, s2
	s_cbranch_execz .LBB1191_2
; %bb.15:
	s_load_b64 s[0:1], s[0:1], 0x68
	s_lshl_b32 s4, s35, 6
	v_or_b32_e32 v2, s31, v66
	s_mul_i32 s2, s4, s34
	v_lshlrev_b32_e32 v0, 10, v0
	s_mul_i32 s2, s2, s8
	v_lshlrev_b32_e32 v1, 4, v67
	s_ashr_i32 s3, s2, 31
	v_mul_lo_u32 v20, v2, s4
	s_lshl_b64 s[2:3], s[2:3], 1
	v_lshlrev_b32_e32 v3, 6, v66
	v_and_b32_e32 v0, 0x3800, v0
	s_delay_alu instid0(VALU_DEP_1) | instskip(NEXT) | instid1(VALU_DEP_4)
	v_or3_b32 v16, v0, v1, v3
	v_ashrrev_i32_e32 v21, 31, v20
	ds_load_b128 v[0:3], v16
	ds_load_b128 v[4:7], v16 offset:128
	s_waitcnt lgkmcnt(0)
	s_add_u32 s2, s0, s2
	s_addc_u32 s3, s1, s3
	s_lshl_b32 s0, s14, 6
	ds_load_b128 v[8:11], v16 offset:256
	ds_load_b128 v[12:15], v16 offset:384
	;; [unrolled: 1-line block ×3, first 2 shown]
	s_ashr_i32 s1, s0, 31
	s_delay_alu instid0(SALU_CYCLE_1) | instskip(NEXT) | instid1(SALU_CYCLE_1)
	s_lshl_b64 s[0:1], s[0:1], 1
	s_add_u32 s0, s2, s0
	s_addc_u32 s1, s3, s1
	s_lshl_b32 s2, s35, 7
	v_add_co_u32 v30, s0, s0, v65
	v_add_nc_u32_e32 v22, s2, v20
	v_lshlrev_b64 v[20:21], 1, v[20:21]
	v_add_co_ci_u32_e64 v31, null, s1, 0, s0
	s_delay_alu instid0(VALU_DEP_3) | instskip(SKIP_1) | instid1(VALU_DEP_4)
	v_add_nc_u32_e32 v24, s2, v22
	v_ashrrev_i32_e32 v23, 31, v22
	v_add_co_u32 v20, vcc_lo, v30, v20
	s_delay_alu instid0(VALU_DEP_4) | instskip(NEXT) | instid1(VALU_DEP_4)
	v_add_co_ci_u32_e32 v21, vcc_lo, v31, v21, vcc_lo
	v_add_nc_u32_e32 v26, s2, v24
	v_ashrrev_i32_e32 v25, 31, v24
	v_lshlrev_b64 v[22:23], 1, v[22:23]
	s_delay_alu instid0(VALU_DEP_3) | instskip(SKIP_1) | instid1(VALU_DEP_4)
	v_add_nc_u32_e32 v28, s2, v26
	v_ashrrev_i32_e32 v27, 31, v26
	v_lshlrev_b64 v[24:25], 1, v[24:25]
	s_delay_alu instid0(VALU_DEP_4) | instskip(NEXT) | instid1(VALU_DEP_4)
	v_add_co_u32 v22, vcc_lo, v30, v22
	v_ashrrev_i32_e32 v29, 31, v28
	s_delay_alu instid0(VALU_DEP_4) | instskip(SKIP_2) | instid1(VALU_DEP_4)
	v_lshlrev_b64 v[26:27], 1, v[26:27]
	v_add_co_ci_u32_e32 v23, vcc_lo, v31, v23, vcc_lo
	v_add_co_u32 v24, vcc_lo, v30, v24
	v_lshlrev_b64 v[28:29], 1, v[28:29]
	v_add_co_ci_u32_e32 v25, vcc_lo, v31, v25, vcc_lo
	v_add_co_u32 v26, vcc_lo, v30, v26
	v_add_co_ci_u32_e32 v27, vcc_lo, v31, v27, vcc_lo
	s_delay_alu instid0(VALU_DEP_4)
	v_add_co_u32 v28, vcc_lo, v30, v28
	v_add_co_ci_u32_e32 v29, vcc_lo, v31, v29, vcc_lo
	s_clause 0x1
	global_store_b128 v[20:21], v[0:3], off
	global_store_b128 v[22:23], v[4:7], off
	s_waitcnt lgkmcnt(2)
	global_store_b128 v[24:25], v[8:11], off
	s_waitcnt lgkmcnt(1)
	;; [unrolled: 2-line block ×3, first 2 shown]
	global_store_b128 v[28:29], v[16:19], off
	s_nop 0
	s_sendmsg sendmsg(MSG_DEALLOC_VGPRS)
	s_endpgm
	.section	.rodata,"a",@progbits
	.p2align	6, 0x0
	.amdhsa_kernel _Z39paged_attention_ll4mi_QKV_mfma16_kernelIDF16_hLN4vllm18Fp8KVCacheDataTypeE1EDF16_Li32ELi64ELi256ELb1ELi10EL8MFMAType0EEvPKT_PKT0_S8_ifPKiSA_SA_iPKfiiiPfSD_PS3_PT2_iSC_SC_
		.amdhsa_group_segment_fixed_size 17472
		.amdhsa_private_segment_fixed_size 0
		.amdhsa_kernarg_size 400
		.amdhsa_user_sgpr_count 13
		.amdhsa_user_sgpr_dispatch_ptr 0
		.amdhsa_user_sgpr_queue_ptr 0
		.amdhsa_user_sgpr_kernarg_segment_ptr 1
		.amdhsa_user_sgpr_dispatch_id 0
		.amdhsa_user_sgpr_private_segment_size 0
		.amdhsa_wavefront_size32 1
		.amdhsa_uses_dynamic_stack 0
		.amdhsa_enable_private_segment 0
		.amdhsa_system_sgpr_workgroup_id_x 1
		.amdhsa_system_sgpr_workgroup_id_y 1
		.amdhsa_system_sgpr_workgroup_id_z 1
		.amdhsa_system_sgpr_workgroup_info 0
		.amdhsa_system_vgpr_workitem_id 0
		.amdhsa_next_free_vgpr 146
		.amdhsa_next_free_sgpr 38
		.amdhsa_reserve_vcc 1
		.amdhsa_float_round_mode_32 0
		.amdhsa_float_round_mode_16_64 0
		.amdhsa_float_denorm_mode_32 3
		.amdhsa_float_denorm_mode_16_64 3
		.amdhsa_dx10_clamp 1
		.amdhsa_ieee_mode 1
		.amdhsa_fp16_overflow 0
		.amdhsa_workgroup_processor_mode 1
		.amdhsa_memory_ordered 1
		.amdhsa_forward_progress 0
		.amdhsa_shared_vgpr_count 0
		.amdhsa_exception_fp_ieee_invalid_op 0
		.amdhsa_exception_fp_denorm_src 0
		.amdhsa_exception_fp_ieee_div_zero 0
		.amdhsa_exception_fp_ieee_overflow 0
		.amdhsa_exception_fp_ieee_underflow 0
		.amdhsa_exception_fp_ieee_inexact 0
		.amdhsa_exception_int_div_zero 0
	.end_amdhsa_kernel
	.section	.text._Z39paged_attention_ll4mi_QKV_mfma16_kernelIDF16_hLN4vllm18Fp8KVCacheDataTypeE1EDF16_Li32ELi64ELi256ELb1ELi10EL8MFMAType0EEvPKT_PKT0_S8_ifPKiSA_SA_iPKfiiiPfSD_PS3_PT2_iSC_SC_,"axG",@progbits,_Z39paged_attention_ll4mi_QKV_mfma16_kernelIDF16_hLN4vllm18Fp8KVCacheDataTypeE1EDF16_Li32ELi64ELi256ELb1ELi10EL8MFMAType0EEvPKT_PKT0_S8_ifPKiSA_SA_iPKfiiiPfSD_PS3_PT2_iSC_SC_,comdat
.Lfunc_end1191:
	.size	_Z39paged_attention_ll4mi_QKV_mfma16_kernelIDF16_hLN4vllm18Fp8KVCacheDataTypeE1EDF16_Li32ELi64ELi256ELb1ELi10EL8MFMAType0EEvPKT_PKT0_S8_ifPKiSA_SA_iPKfiiiPfSD_PS3_PT2_iSC_SC_, .Lfunc_end1191-_Z39paged_attention_ll4mi_QKV_mfma16_kernelIDF16_hLN4vllm18Fp8KVCacheDataTypeE1EDF16_Li32ELi64ELi256ELb1ELi10EL8MFMAType0EEvPKT_PKT0_S8_ifPKiSA_SA_iPKfiiiPfSD_PS3_PT2_iSC_SC_
                                        ; -- End function
	.section	.AMDGPU.csdata,"",@progbits
; Kernel info:
; codeLenInByte = 6548
; NumSgprs: 40
; NumVgprs: 146
; ScratchSize: 0
; MemoryBound: 0
; FloatMode: 240
; IeeeMode: 1
; LDSByteSize: 17472 bytes/workgroup (compile time only)
; SGPRBlocks: 4
; VGPRBlocks: 18
; NumSGPRsForWavesPerEU: 40
; NumVGPRsForWavesPerEU: 146
; Occupancy: 9
; WaveLimiterHint : 1
; COMPUTE_PGM_RSRC2:SCRATCH_EN: 0
; COMPUTE_PGM_RSRC2:USER_SGPR: 13
; COMPUTE_PGM_RSRC2:TRAP_HANDLER: 0
; COMPUTE_PGM_RSRC2:TGID_X_EN: 1
; COMPUTE_PGM_RSRC2:TGID_Y_EN: 1
; COMPUTE_PGM_RSRC2:TGID_Z_EN: 1
; COMPUTE_PGM_RSRC2:TIDIG_COMP_CNT: 0
	.section	.text._Z39paged_attention_ll4mi_QKV_mfma16_kernelIDF16_hLN4vllm18Fp8KVCacheDataTypeE1EDF16_Li32ELi64ELi256ELb1ELi11EL8MFMAType0EEvPKT_PKT0_S8_ifPKiSA_SA_iPKfiiiPfSD_PS3_PT2_iSC_SC_,"axG",@progbits,_Z39paged_attention_ll4mi_QKV_mfma16_kernelIDF16_hLN4vllm18Fp8KVCacheDataTypeE1EDF16_Li32ELi64ELi256ELb1ELi11EL8MFMAType0EEvPKT_PKT0_S8_ifPKiSA_SA_iPKfiiiPfSD_PS3_PT2_iSC_SC_,comdat
	.protected	_Z39paged_attention_ll4mi_QKV_mfma16_kernelIDF16_hLN4vllm18Fp8KVCacheDataTypeE1EDF16_Li32ELi64ELi256ELb1ELi11EL8MFMAType0EEvPKT_PKT0_S8_ifPKiSA_SA_iPKfiiiPfSD_PS3_PT2_iSC_SC_ ; -- Begin function _Z39paged_attention_ll4mi_QKV_mfma16_kernelIDF16_hLN4vllm18Fp8KVCacheDataTypeE1EDF16_Li32ELi64ELi256ELb1ELi11EL8MFMAType0EEvPKT_PKT0_S8_ifPKiSA_SA_iPKfiiiPfSD_PS3_PT2_iSC_SC_
	.globl	_Z39paged_attention_ll4mi_QKV_mfma16_kernelIDF16_hLN4vllm18Fp8KVCacheDataTypeE1EDF16_Li32ELi64ELi256ELb1ELi11EL8MFMAType0EEvPKT_PKT0_S8_ifPKiSA_SA_iPKfiiiPfSD_PS3_PT2_iSC_SC_
	.p2align	8
	.type	_Z39paged_attention_ll4mi_QKV_mfma16_kernelIDF16_hLN4vllm18Fp8KVCacheDataTypeE1EDF16_Li32ELi64ELi256ELb1ELi11EL8MFMAType0EEvPKT_PKT0_S8_ifPKiSA_SA_iPKfiiiPfSD_PS3_PT2_iSC_SC_,@function
_Z39paged_attention_ll4mi_QKV_mfma16_kernelIDF16_hLN4vllm18Fp8KVCacheDataTypeE1EDF16_Li32ELi64ELi256ELb1ELi11EL8MFMAType0EEvPKT_PKT0_S8_ifPKiSA_SA_iPKfiiiPfSD_PS3_PT2_iSC_SC_: ; @_Z39paged_attention_ll4mi_QKV_mfma16_kernelIDF16_hLN4vllm18Fp8KVCacheDataTypeE1EDF16_Li32ELi64ELi256ELb1ELi11EL8MFMAType0EEvPKT_PKT0_S8_ifPKiSA_SA_iPKfiiiPfSD_PS3_PT2_iSC_SC_
; %bb.0:
	s_load_b64 s[2:3], s[0:1], 0x30
	s_mov_b32 s34, s13
	s_waitcnt lgkmcnt(0)
	s_cmp_lg_u64 s[2:3], 0
	s_cselect_b32 s6, -1, 0
	s_ashr_i32 s35, s13, 31
	s_cmp_eq_u64 s[2:3], 0
	s_cbranch_scc1 .LBB1192_3
; %bb.1:
	s_lshl_b64 s[4:5], s[34:35], 2
	s_delay_alu instid0(SALU_CYCLE_1) | instskip(SKIP_4) | instid1(SALU_CYCLE_1)
	s_add_u32 s4, s2, s4
	s_addc_u32 s5, s3, s5
	s_load_b64 s[4:5], s[4:5], 0x0
	s_waitcnt lgkmcnt(0)
	s_sub_i32 s4, s5, s4
	s_cmp_eq_u32 s4, 1
	s_cselect_b32 s4, -1, 0
	s_delay_alu instid0(SALU_CYCLE_1)
	s_and_not1_b32 vcc_lo, exec_lo, s4
	s_cbranch_vccz .LBB1192_4
.LBB1192_2:
	s_nop 0
	s_sendmsg sendmsg(MSG_DEALLOC_VGPRS)
	s_endpgm
.LBB1192_3:
.LBB1192_4:
	s_load_b64 s[8:9], s[0:1], 0x28
	s_lshl_b64 s[4:5], s[34:35], 2
	s_waitcnt lgkmcnt(0)
	s_add_u32 s8, s8, s4
	s_addc_u32 s9, s9, s5
	s_lshl_b32 s16, s14, 8
	s_load_b32 s18, s[8:9], 0x0
	s_waitcnt lgkmcnt(0)
	s_cmp_ge_i32 s16, s18
	s_cbranch_scc1 .LBB1192_2
; %bb.5:
	s_clause 0x1
	s_load_b128 s[8:11], s[0:1], 0x8
	s_load_b64 s[12:13], s[0:1], 0x20
	s_and_not1_b32 vcc_lo, exec_lo, s6
	s_cbranch_vccnz .LBB1192_7
; %bb.6:
	s_add_u32 s2, s2, s4
	s_addc_u32 s3, s3, s5
	s_load_b32 s3, s[2:3], 0x0
	s_branch .LBB1192_8
.LBB1192_7:
	s_mov_b32 s3, s34
.LBB1192_8:
	s_load_b128 s[4:7], s[0:1], 0x48
	v_lshrrev_b32_e32 v69, 5, v0
	v_bfe_u32 v66, v0, 4, 1
	v_and_b32_e32 v68, 15, v0
	v_and_b32_e32 v70, 31, v0
	;; [unrolled: 1-line block ×3, first 2 shown]
	s_mul_i32 s33, s15, 11
	v_lshl_or_b32 v1, v69, 1, v66
	v_lshlrev_b32_e32 v2, 3, v68
	v_cmp_gt_u32_e64 s2, 8, v68
	s_delay_alu instid0(VALU_DEP_3) | instskip(NEXT) | instid1(VALU_DEP_3)
	v_cmp_gt_u32_e32 vcc_lo, 11, v1
	v_lshlrev_b32_e32 v65, 1, v2
	s_delay_alu instid0(VALU_DEP_3)
	s_and_b32 s17, s2, vcc_lo
	s_waitcnt lgkmcnt(0)
	s_and_saveexec_b32 s7, s17
	s_cbranch_execz .LBB1192_10
; %bb.9:
	s_load_b64 s[20:21], s[0:1], 0x0
	v_add_lshl_u32 v2, v1, s33, 6
	s_mul_hi_i32 s23, s3, s4
	s_mul_i32 s22, s3, s4
	v_lshlrev_b32_e32 v6, 10, v68
	s_lshl_b64 s[22:23], s[22:23], 1
	v_ashrrev_i32_e32 v3, 31, v2
	v_lshlrev_b32_e32 v1, 6, v1
	v_lshlrev_b32_e32 v7, 10, v67
	v_and_b32_e32 v6, 0x3800, v6
	s_delay_alu instid0(VALU_DEP_4) | instskip(NEXT) | instid1(VALU_DEP_2)
	v_lshlrev_b64 v[2:3], 1, v[2:3]
	v_or3_b32 v1, v6, v7, v1
	s_waitcnt lgkmcnt(0)
	s_add_u32 s3, s20, s22
	s_addc_u32 s4, s21, s23
	s_delay_alu instid0(VALU_DEP_2) | instskip(SKIP_1) | instid1(VALU_DEP_2)
	v_add_co_u32 v2, vcc_lo, s3, v2
	v_add_co_ci_u32_e32 v3, vcc_lo, s4, v3, vcc_lo
	v_add_co_u32 v2, vcc_lo, v2, v65
	s_delay_alu instid0(VALU_DEP_2)
	v_add_co_ci_u32_e32 v3, vcc_lo, 0, v3, vcc_lo
	global_load_b128 v[2:5], v[2:3], off
	s_waitcnt vmcnt(0)
	ds_store_b128 v1, v[2:5]
.LBB1192_10:
	s_or_b32 exec_lo, exec_lo, s7
	v_and_b32_e32 v1, 0xef, v0
	s_add_i32 s3, s18, 31
	s_clause 0x1
	s_load_b32 s4, s[0:1], 0x38
	s_load_b32 s35, s[0:1], 0x98
	s_ashr_i32 s7, s3, 31
	v_add_nc_u32_e32 v1, s16, v1
	s_lshr_b32 s7, s7, 27
	s_load_b32 s19, s[0:1], 0x1c
	v_add_nc_u32_e32 v103, -11, v68
	s_add_i32 s3, s3, s7
	v_ashrrev_i32_e32 v2, 31, v1
	v_or_b32_e32 v3, 16, v1
	s_ashr_i32 s3, s3, 5
	v_cmp_gt_i32_e32 vcc_lo, s18, v1
	s_add_i32 s3, s3, -1
	v_lshrrev_b32_e32 v2, 27, v2
	s_waitcnt lgkmcnt(0)
	s_barrier
	buffer_gl0_inv
	s_mul_i32 s15, s15, s6
	v_add_nc_u32_e32 v4, v1, v2
	v_mbcnt_lo_u32_b32 v127, -1, 0
	s_mul_i32 s20, s34, s4
	s_delay_alu instid0(SALU_CYCLE_1) | instskip(NEXT) | instid1(VALU_DEP_2)
	s_ashr_i32 s21, s20, 31
	v_ashrrev_i32_e32 v4, 5, v4
	v_add_nc_u32_e32 v2, v3, v2
	s_lshl_b64 s[20:21], s[20:21], 2
	v_xor_b32_e32 v128, 16, v127
	s_add_u32 s17, s12, s20
	v_cndmask_b32_e32 v1, s3, v4, vcc_lo
	v_ashrrev_i32_e32 v2, 5, v2
	v_cmp_gt_i32_e32 vcc_lo, s18, v3
	s_addc_u32 s13, s13, s21
	s_ashr_i32 s20, s15, 31
	s_add_u32 s22, s8, s15
	s_addc_u32 s23, s9, s20
	v_cndmask_b32_e32 v3, s3, v2, vcc_lo
	v_ashrrev_i32_e32 v2, 31, v1
	s_lshl_b32 s6, s14, 3
	s_delay_alu instid0(SALU_CYCLE_1) | instskip(NEXT) | instid1(VALU_DEP_2)
	s_ashr_i32 s7, s6, 31
	v_ashrrev_i32_e32 v4, 31, v3
	s_delay_alu instid0(VALU_DEP_2) | instskip(SKIP_1) | instid1(SALU_CYCLE_1)
	v_lshlrev_b64 v[1:2], 2, v[1:2]
	s_lshl_b64 s[6:7], s[6:7], 2
	s_add_u32 s6, s17, s6
	s_delay_alu instid0(VALU_DEP_2) | instskip(SKIP_1) | instid1(VALU_DEP_2)
	v_lshlrev_b64 v[3:4], 2, v[3:4]
	s_addc_u32 s7, s13, s7
	v_add_co_u32 v1, vcc_lo, s17, v1
	v_add_co_ci_u32_e32 v2, vcc_lo, s13, v2, vcc_lo
	s_delay_alu instid0(VALU_DEP_3) | instskip(NEXT) | instid1(VALU_DEP_4)
	v_add_co_u32 v3, vcc_lo, s17, v3
	v_add_co_ci_u32_e32 v4, vcc_lo, s13, v4, vcc_lo
	s_clause 0x1
	global_load_b32 v5, v[1:2], off
	global_load_b32 v6, v[3:4], off
	s_or_b32 s4, s16, 32
	s_delay_alu instid0(SALU_CYCLE_1) | instskip(SKIP_2) | instid1(SALU_CYCLE_1)
	s_ashr_i32 s8, s4, 5
	s_cmp_lt_i32 s4, s18
	s_cselect_b32 s8, s8, s3
	s_ashr_i32 s9, s8, 31
	s_delay_alu instid0(SALU_CYCLE_1) | instskip(NEXT) | instid1(SALU_CYCLE_1)
	s_lshl_b64 s[8:9], s[8:9], 2
	s_add_u32 s8, s17, s8
	s_addc_u32 s9, s13, s9
	s_or_b32 s4, s16, 64
	s_delay_alu instid0(SALU_CYCLE_1) | instskip(SKIP_2) | instid1(SALU_CYCLE_1)
	s_ashr_i32 s12, s4, 5
	s_cmp_lt_i32 s4, s18
	s_cselect_b32 s24, s12, s3
	s_ashr_i32 s25, s24, 31
	s_delay_alu instid0(SALU_CYCLE_1) | instskip(NEXT) | instid1(SALU_CYCLE_1)
	s_lshl_b64 s[24:25], s[24:25], 2
	s_add_u32 s24, s17, s24
	s_addc_u32 s25, s13, s25
	;; [unrolled: 10-line block ×5, first 2 shown]
	s_clause 0x5
	s_load_b32 s12, s[6:7], 0x0
	s_load_b32 s4, s[8:9], 0x0
	;; [unrolled: 1-line block ×6, first 2 shown]
	s_or_b32 s21, s16, 0xc0
	s_waitcnt vmcnt(1)
	v_mad_i64_i32 v[1:2], null, v5, s5, s[22:23]
	v_lshlrev_b32_e32 v5, 4, v68
	s_waitcnt vmcnt(0)
	v_mad_i64_i32 v[3:4], null, v6, s5, s[22:23]
	s_ashr_i32 s22, s21, 5
	s_cmp_lt_i32 s21, s18
	s_delay_alu instid0(VALU_DEP_3) | instskip(NEXT) | instid1(VALU_DEP_4)
	v_add_co_u32 v1, vcc_lo, v1, v5
	v_add_co_ci_u32_e32 v2, vcc_lo, 0, v2, vcc_lo
	s_delay_alu instid0(VALU_DEP_3) | instskip(NEXT) | instid1(VALU_DEP_4)
	v_add_co_u32 v3, vcc_lo, v3, v5
	v_add_co_ci_u32_e32 v4, vcc_lo, 0, v4, vcc_lo
	s_clause 0x7
	global_load_b128 v[71:74], v[1:2], off
	global_load_b128 v[75:78], v[1:2], off offset:512
	global_load_b128 v[79:82], v[3:4], off offset:256
	;; [unrolled: 1-line block ×7, first 2 shown]
	s_cselect_b32 s22, s22, s3
	v_lshlrev_b32_e32 v1, 5, v68
	s_ashr_i32 s23, s22, 31
	v_cmp_gt_u32_e32 vcc_lo, 11, v68
	s_lshl_b64 s[22:23], s[22:23], 2
	s_delay_alu instid0(SALU_CYCLE_1)
	s_add_u32 s22, s17, s22
	s_addc_u32 s23, s13, s23
	s_or_b32 s21, s16, 0xe0
	v_lshl_or_b32 v1, v69, 9, v1
	s_ashr_i32 s24, s21, 5
	s_cmp_lt_i32 s21, s18
	v_cndmask_b32_e32 v103, v103, v68, vcc_lo
	s_cselect_b32 s24, s24, s3
	s_load_b32 s3, s[22:23], 0x0
	s_ashr_i32 s25, s24, 31
	v_cmp_gt_i32_e32 vcc_lo, 32, v128
	s_lshl_b64 s[24:25], s[24:25], 2
	v_lshlrev_b32_e32 v115, 6, v103
	s_add_u32 s22, s17, s24
	s_addc_u32 s23, s13, s25
	v_cndmask_b32_e32 v136, v127, v128, vcc_lo
	s_add_u32 s10, s10, s15
	s_addc_u32 s11, s11, s20
	v_add_co_u32 v1, s10, s10, v1
	s_delay_alu instid0(VALU_DEP_1) | instskip(SKIP_2) | instid1(VALU_DEP_1)
	v_add_co_ci_u32_e64 v2, null, s11, 0, s10
	s_load_b32 s10, s[22:23], 0x0
	s_waitcnt lgkmcnt(0)
	v_mad_i64_i32 v[3:4], null, s12, s5, v[1:2]
	v_mad_i64_i32 v[9:10], null, s7, s5, v[1:2]
	;; [unrolled: 1-line block ×7, first 2 shown]
	s_clause 0x5
	global_load_b128 v[49:52], v[3:4], off
	global_load_b128 v[53:56], v[3:4], off offset:16
	global_load_b128 v[41:44], v[5:6], off
	global_load_b128 v[45:48], v[5:6], off offset:16
	;; [unrolled: 2-line block ×3, first 2 shown]
	s_mov_b32 s4, 0
	v_mad_i64_i32 v[61:62], null, s10, s5, v[1:2]
	s_clause 0x9
	global_load_b128 v[1:4], v[9:10], off
	global_load_b128 v[5:8], v[9:10], off offset:16
	global_load_b128 v[9:12], v[13:14], off
	global_load_b128 v[13:16], v[13:14], off offset:16
	;; [unrolled: 2-line block ×5, first 2 shown]
	s_mov_b32 s5, s4
	s_mov_b32 s6, s4
	;; [unrolled: 1-line block ×7, first 2 shown]
	v_and_b32_e32 v104, 0xe0, v0
	v_dual_mov_b32 v126, s11 :: v_dual_mov_b32 v125, s10
	v_dual_mov_b32 v124, s9 :: v_dual_mov_b32 v123, s8
	s_delay_alu instid0(VALU_DEP_3)
	v_add_nc_u32_e32 v111, s16, v104
	ds_load_b128 v[103:106], v115
	ds_load_b128 v[107:110], v115 offset:1024
	v_dual_mov_b32 v122, s7 :: v_dual_mov_b32 v121, s6
	v_mov_b32_e32 v120, s5
	v_or_b32_e32 v135, v111, v66
	ds_load_b128 v[111:114], v115 offset:2048
	ds_load_b128 v[115:118], v115 offset:3072
	v_mov_b32_e32 v119, s4
	s_waitcnt vmcnt(0) lgkmcnt(0)
	s_barrier
	v_or_b32_e32 v137, 2, v135
	v_or_b32_e32 v138, 4, v135
	;; [unrolled: 1-line block ×3, first 2 shown]
	v_cmp_gt_i32_e32 vcc_lo, s18, v135
	v_or_b32_e32 v140, 8, v135
	v_cmp_gt_i32_e64 s3, s18, v137
	v_or_b32_e32 v141, 10, v135
	v_cmp_gt_i32_e64 s4, s18, v138
	v_cmp_gt_i32_e64 s5, s18, v139
	v_or_b32_e32 v142, 12, v135
	v_or_b32_e32 v143, 14, v135
	v_cmp_gt_i32_e64 s6, s18, v140
	v_cmp_gt_i32_e64 s7, s18, v141
	v_or_b32_e32 v144, 16, v135
	v_or_b32_e32 v145, 18, v135
	v_cmp_gt_i32_e64 s8, s18, v142
	v_cmp_gt_i32_e64 s9, s18, v143
	buffer_gl0_inv
	v_cmp_gt_i32_e64 s10, s18, v144
	v_cmp_gt_i32_e64 s11, s18, v145
	v_wmma_f32_16x16x16_f16 v[127:134], v[71:78], v[103:110], v[119:126]
	v_wmma_f32_16x16x16_f16 v[119:126], v[79:86], v[103:110], v[119:126]
	v_or_b32_e32 v71, 20, v135
	v_or_b32_e32 v72, 22, v135
	s_delay_alu instid0(VALU_DEP_4)
	v_wmma_f32_16x16x16_f16 v[127:134], v[87:94], v[111:118], v[127:134]
	v_or_b32_e32 v73, 24, v135
	v_wmma_f32_16x16x16_f16 v[119:126], v[95:102], v[111:118], v[119:126]
	v_or_b32_e32 v74, 26, v135
	v_cmp_gt_i32_e64 s12, s18, v71
	v_dual_mul_f32 v83, s19, v128 :: v_dual_mul_f32 v84, s19, v127
	s_delay_alu instid0(VALU_DEP_4) | instskip(SKIP_1) | instid1(VALU_DEP_3)
	v_dual_mul_f32 v81, s19, v130 :: v_dual_mul_f32 v92, s19, v119
	v_mul_f32_e32 v82, s19, v129
	v_cndmask_b32_e64 v83, 0xff7fffff, v83, s3
	s_delay_alu instid0(VALU_DEP_4)
	v_cndmask_b32_e32 v84, 0xff7fffff, v84, vcc_lo
	v_dual_mul_f32 v79, s19, v132 :: v_dual_mul_f32 v90, s19, v121
	v_mul_f32_e32 v80, s19, v131
	v_cndmask_b32_e64 v82, 0xff7fffff, v82, s4
	v_cndmask_b32_e64 v81, 0xff7fffff, v81, s5
	v_max3_f32 v83, v84, 0xff7fffff, v83
	v_dual_mul_f32 v77, s19, v134 :: v_dual_mul_f32 v88, s19, v123
	v_mul_f32_e32 v78, s19, v133
	v_cndmask_b32_e64 v80, 0xff7fffff, v80, s6
	v_cndmask_b32_e64 v79, 0xff7fffff, v79, s7
	v_max3_f32 v81, v83, v82, v81
	v_mul_f32_e32 v91, s19, v120
	v_cndmask_b32_e64 v78, 0xff7fffff, v78, s8
	v_cndmask_b32_e64 v77, 0xff7fffff, v77, s9
	v_mul_f32_e32 v89, s19, v122
	v_max3_f32 v79, v81, v80, v79
	v_cndmask_b32_e64 v80, 0xff7fffff, v92, s10
	v_cndmask_b32_e64 v81, 0xff7fffff, v91, s11
	v_cmp_gt_i32_e64 s13, s18, v72
	v_or_b32_e32 v75, 28, v135
	v_max3_f32 v77, v79, v78, v77
	v_or_b32_e32 v76, 30, v135
	v_mul_f32_e32 v87, s19, v124
	v_cndmask_b32_e64 v71, 0xff7fffff, v90, s12
	v_cndmask_b32_e64 v72, 0xff7fffff, v89, s13
	v_max3_f32 v77, v77, v80, v81
	v_cmp_gt_i32_e64 s15, s18, v73
	v_cmp_gt_i32_e64 s16, s18, v74
	v_dual_mul_f32 v85, s19, v126 :: v_dual_mul_f32 v86, s19, v125
	s_delay_alu instid0(VALU_DEP_4) | instskip(NEXT) | instid1(VALU_DEP_4)
	v_max3_f32 v71, v77, v71, v72
	v_cndmask_b32_e64 v73, 0xff7fffff, v88, s15
	s_delay_alu instid0(VALU_DEP_4) | instskip(SKIP_2) | instid1(VALU_DEP_3)
	v_cndmask_b32_e64 v74, 0xff7fffff, v87, s16
	v_cmp_gt_i32_e64 s17, s18, v75
	v_cmp_gt_i32_e64 s18, s18, v76
	v_max3_f32 v71, v71, v73, v74
	s_delay_alu instid0(VALU_DEP_3) | instskip(NEXT) | instid1(VALU_DEP_3)
	v_cndmask_b32_e64 v72, 0xff7fffff, v86, s17
	v_cndmask_b32_e64 v75, 0xff7fffff, v85, s18
	v_lshlrev_b32_e32 v73, 2, v136
	s_delay_alu instid0(VALU_DEP_2) | instskip(SKIP_3) | instid1(VALU_DEP_1)
	v_max3_f32 v71, v71, v72, v75
	ds_bpermute_b32 v72, v73, v71
	s_waitcnt lgkmcnt(0)
	v_max_f32_e32 v72, v72, v72
	v_max_f32_e32 v71, v71, v72
	s_delay_alu instid0(VALU_DEP_1)
	v_fma_f32 v72, s19, v127, -v71
	v_fma_f32 v74, s19, v128, -v71
	;; [unrolled: 1-line block ×5, first 2 shown]
	v_mul_f32_e32 v72, 0x3fb8aa3b, v72
	v_mul_f32_e32 v74, 0x3fb8aa3b, v74
	v_fma_f32 v80, s19, v133, -v71
	s_delay_alu instid0(VALU_DEP_4) | instskip(NEXT) | instid1(VALU_DEP_4)
	v_dual_mul_f32 v76, 0x3fb8aa3b, v76 :: v_dual_mul_f32 v77, 0x3fb8aa3b, v77
	v_exp_f32_e32 v72, v72
	s_delay_alu instid0(VALU_DEP_3) | instskip(NEXT) | instid1(VALU_DEP_2)
	v_exp_f32_e32 v74, v74
	v_mul_f32_e32 v82, 0x3fb8aa3b, v80
	s_delay_alu instid0(VALU_DEP_2) | instskip(SKIP_1) | instid1(VALU_DEP_1)
	v_exp_f32_e32 v76, v76
	v_exp_f32_e32 v77, v77
	;; [unrolled: 1-line block ×3, first 2 shown]
	v_cndmask_b32_e32 v79, 0, v72, vcc_lo
	v_fma_f32 v72, s19, v132, -v71
	v_mul_f32_e32 v75, 0x3fb8aa3b, v75
	v_cndmask_b32_e64 v78, 0, v74, s3
	s_delay_alu instid0(TRANS32_DEP_3)
	v_cndmask_b32_e64 v80, 0, v76, s5
	v_add_f32_e32 v74, 0, v79
	v_mul_f32_e32 v72, 0x3fb8aa3b, v72
	v_exp_f32_e32 v75, v75
	v_cndmask_b32_e64 v83, 0, v77, s6
	v_cndmask_b32_e64 v85, 0, v84, s8
	v_add_f32_e32 v74, v74, v78
	v_exp_f32_e32 v72, v72
	v_cmp_gt_u32_e64 s3, 16, v70
	s_waitcnt_depctr 0xfff
	v_cndmask_b32_e64 v81, 0, v75, s4
	v_cndmask_b32_e64 v82, 0, v72, s7
	s_delay_alu instid0(VALU_DEP_2) | instskip(NEXT) | instid1(VALU_DEP_1)
	v_add_f32_e32 v74, v74, v81
	v_add_f32_e32 v74, v74, v80
	s_delay_alu instid0(VALU_DEP_1) | instskip(SKIP_4) | instid1(VALU_DEP_4)
	v_add_f32_e32 v72, v74, v83
	v_fma_f32 v75, s19, v134, -v71
	v_fma_f32 v76, s19, v119, -v71
	;; [unrolled: 1-line block ×4, first 2 shown]
	v_dual_add_f32 v72, v72, v82 :: v_dual_mul_f32 v75, 0x3fb8aa3b, v75
	s_delay_alu instid0(VALU_DEP_3) | instskip(SKIP_1) | instid1(VALU_DEP_3)
	v_dual_mul_f32 v76, 0x3fb8aa3b, v76 :: v_dual_mul_f32 v77, 0x3fb8aa3b, v77
	v_fma_f32 v86, s19, v122, -v71
	v_add_f32_e32 v72, v72, v85
	s_delay_alu instid0(VALU_DEP_4) | instskip(NEXT) | instid1(VALU_DEP_3)
	v_exp_f32_e32 v75, v75
	v_exp_f32_e32 v76, v76
	;; [unrolled: 1-line block ×3, first 2 shown]
	v_mul_f32_e32 v86, 0x3fb8aa3b, v86
	s_delay_alu instid0(VALU_DEP_1) | instskip(SKIP_3) | instid1(TRANS32_DEP_3)
	v_exp_f32_e32 v88, v86
	v_cndmask_b32_e64 v84, 0, v75, s9
	v_fma_f32 v75, s19, v123, -v71
	v_mul_f32_e32 v74, 0x3fb8aa3b, v74
	v_cndmask_b32_e64 v87, 0, v76, s10
	v_fma_f32 v76, s19, v124, -v71
	s_delay_alu instid0(VALU_DEP_4) | instskip(NEXT) | instid1(VALU_DEP_4)
	v_dual_add_f32 v72, v72, v84 :: v_dual_mul_f32 v75, 0x3fb8aa3b, v75
	v_exp_f32_e32 v74, v74
	v_cndmask_b32_e64 v86, 0, v77, s11
	v_fma_f32 v77, s19, v125, -v71
	s_delay_alu instid0(VALU_DEP_3) | instskip(SKIP_3) | instid1(VALU_DEP_3)
	v_add_f32_e32 v72, v72, v87
	v_mul_f32_e32 v76, 0x3fb8aa3b, v76
	v_exp_f32_e32 v75, v75
	v_cndmask_b32_e64 v88, 0, v88, s13
	v_add_f32_e32 v72, v72, v86
	s_delay_alu instid0(VALU_DEP_3) | instskip(NEXT) | instid1(TRANS32_DEP_3)
	v_exp_f32_e32 v76, v76
	v_cndmask_b32_e64 v89, 0, v74, s12
	v_mul_f32_e32 v74, 0x3fb8aa3b, v77
	v_fma_f32 v77, s19, v126, -v71
	s_delay_alu instid0(VALU_DEP_3) | instskip(NEXT) | instid1(VALU_DEP_3)
	v_add_f32_e32 v72, v72, v89
	v_exp_f32_e32 v74, v74
	s_delay_alu instid0(TRANS32_DEP_3) | instskip(NEXT) | instid1(VALU_DEP_3)
	v_cndmask_b32_e64 v91, 0, v75, s15
	v_mul_f32_e32 v75, 0x3fb8aa3b, v77
	s_delay_alu instid0(TRANS32_DEP_2) | instskip(SKIP_1) | instid1(VALU_DEP_3)
	v_cndmask_b32_e64 v90, 0, v76, s16
	v_add_f32_e32 v72, v72, v88
	v_exp_f32_e32 v75, v75
	s_delay_alu instid0(VALU_DEP_1) | instskip(NEXT) | instid1(TRANS32_DEP_2)
	v_add_f32_e32 v72, v72, v91
	v_cndmask_b32_e64 v93, 0, v74, s17
	s_delay_alu instid0(VALU_DEP_2) | instskip(SKIP_3) | instid1(VALU_DEP_1)
	v_add_f32_e32 v72, v72, v90
	s_waitcnt_depctr 0xfff
	v_cndmask_b32_e64 v92, 0, v75, s18
	v_add_f32_e32 v72, v72, v93
	v_add_f32_e32 v72, v72, v92
	ds_bpermute_b32 v73, v73, v72
	s_and_saveexec_b32 s4, s3
	s_cbranch_execz .LBB1192_12
; %bb.11:
	v_mul_u32_u24_e32 v70, 0x44, v69
	s_waitcnt lgkmcnt(0)
	v_add_f32_e32 v72, v72, v73
	s_delay_alu instid0(VALU_DEP_2) | instskip(NEXT) | instid1(VALU_DEP_1)
	v_lshl_add_u32 v70, v68, 2, v70
	v_add_nc_u32_e32 v70, 0x4000, v70
	ds_store_2addr_b32 v70, v71, v72 offset1:136
.LBB1192_12:
	s_or_b32 exec_lo, exec_lo, s4
	v_lshlrev_b32_e32 v70, 2, v68
	s_load_b32 s36, s[0:1], 0x94
	s_waitcnt lgkmcnt(0)
	s_barrier
	buffer_gl0_inv
	v_add_nc_u32_e32 v98, 0x4000, v70
	v_cmp_eq_u32_e32 vcc_lo, 1, v69
	v_cmp_eq_u32_e64 s4, 2, v69
	v_cmp_eq_u32_e64 s5, 3, v69
	;; [unrolled: 1-line block ×3, first 2 shown]
	ds_load_2addr_b32 v[70:71], v98 offset1:17
	ds_load_2addr_b32 v[72:73], v98 offset0:34 offset1:51
	ds_load_2addr_b32 v[74:75], v98 offset0:68 offset1:85
	;; [unrolled: 1-line block ×3, first 2 shown]
	v_cmp_eq_u32_e64 s7, 5, v69
	v_cmp_eq_u32_e64 s8, 7, v69
	s_waitcnt lgkmcnt(3)
	v_max3_f32 v76, v70, 0xff7fffff, v71
	s_waitcnt lgkmcnt(2)
	s_delay_alu instid0(VALU_DEP_1) | instskip(SKIP_1) | instid1(VALU_DEP_1)
	v_max3_f32 v76, v76, v72, v73
	s_waitcnt lgkmcnt(1)
	v_max3_f32 v76, v76, v74, v75
	s_waitcnt lgkmcnt(0)
	s_delay_alu instid0(VALU_DEP_1) | instskip(NEXT) | instid1(VALU_DEP_1)
	v_max3_f32 v76, v76, v94, v95
	v_sub_f32_e32 v77, v71, v76
	ds_load_2addr_b32 v[96:97], v98 offset0:136 offset1:153
	v_sub_f32_e32 v74, v74, v76
	v_sub_f32_e32 v70, v70, v76
	;; [unrolled: 1-line block ×3, first 2 shown]
	v_dual_sub_f32 v72, v72, v76 :: v_dual_mul_f32 v77, 0x3fb8aa3b, v77
	s_delay_alu instid0(VALU_DEP_4) | instskip(NEXT) | instid1(VALU_DEP_4)
	v_mul_f32_e32 v103, 0x3fb8aa3b, v74
	v_mul_f32_e32 v99, 0x3fb8aa3b, v70
	ds_load_2addr_b32 v[70:71], v98 offset0:170 offset1:187
	v_dual_mul_f32 v101, 0x3fb8aa3b, v72 :: v_dual_mul_f32 v94, 0x3fb8aa3b, v94
	v_exp_f32_e32 v102, v77
	v_exp_f32_e32 v99, v99
	s_delay_alu instid0(VALU_DEP_1) | instskip(NEXT) | instid1(VALU_DEP_1)
	v_exp_f32_e32 v101, v101
	v_exp_f32_e32 v94, v94
	s_waitcnt lgkmcnt(1)
	s_delay_alu instid0(TRANS32_DEP_3)
	v_fma_f32 v77, v99, v96, 0
	v_sub_f32_e32 v100, v73, v76
	ds_load_2addr_b32 v[72:73], v98 offset0:204 offset1:221
	v_fmac_f32_e32 v77, v102, v97
	v_exp_f32_e32 v97, v103
	s_waitcnt lgkmcnt(1)
	s_delay_alu instid0(VALU_DEP_1)
	v_dual_fmac_f32 v77, v101, v70 :: v_dual_sub_f32 v96, v75, v76
	ds_load_2addr_b32 v[74:75], v98 offset0:238 offset1:255
	v_sub_f32_e32 v70, v95, v76
	s_waitcnt lgkmcnt(0)
	s_barrier
	v_mul_f32_e32 v96, 0x3fb8aa3b, v96
	buffer_gl0_inv
	v_exp_f32_e32 v95, v96
	v_mul_f32_e32 v100, 0x3fb8aa3b, v100
	s_delay_alu instid0(VALU_DEP_1) | instskip(SKIP_3) | instid1(VALU_DEP_2)
	v_exp_f32_e32 v100, v100
	s_waitcnt_depctr 0xfff
	v_dual_fmac_f32 v77, v100, v71 :: v_dual_mul_f32 v70, 0x3fb8aa3b, v70
	v_cndmask_b32_e32 v71, v99, v102, vcc_lo
	v_fmac_f32_e32 v77, v97, v72
	s_delay_alu instid0(VALU_DEP_3) | instskip(NEXT) | instid1(VALU_DEP_1)
	v_exp_f32_e32 v96, v70
	v_fmac_f32_e32 v77, v95, v73
	s_delay_alu instid0(VALU_DEP_1) | instskip(SKIP_2) | instid1(VALU_DEP_1)
	v_fmac_f32_e32 v77, v94, v74
	s_waitcnt_depctr 0xfff
	v_fmac_f32_e32 v77, v96, v75
	v_add_f32_e32 v74, 0x358637bd, v77
	s_delay_alu instid0(VALU_DEP_1) | instskip(SKIP_1) | instid1(VALU_DEP_2)
	v_div_scale_f32 v98, null, v74, v74, 1.0
	v_div_scale_f32 v99, vcc_lo, 1.0, v74, 1.0
	v_rcp_f32_e32 v103, v98
	s_waitcnt_depctr 0xfff
	v_fma_f32 v70, -v98, v103, 1.0
	s_delay_alu instid0(VALU_DEP_1) | instskip(SKIP_2) | instid1(VALU_DEP_2)
	v_fmac_f32_e32 v103, v70, v103
	v_cndmask_b32_e64 v70, v71, v101, s4
	v_cmp_eq_u32_e64 s4, 6, v69
	v_cndmask_b32_e64 v71, v70, v100, s5
	s_delay_alu instid0(VALU_DEP_4) | instskip(NEXT) | instid1(VALU_DEP_2)
	v_dual_mul_f32 v101, v99, v103 :: v_dual_lshlrev_b32 v70, 2, v66
	v_cndmask_b32_e64 v71, v71, v97, s6
	s_delay_alu instid0(VALU_DEP_2) | instskip(NEXT) | instid1(VALU_DEP_3)
	v_or_b32_e32 v72, 1, v70
	v_fma_f32 v100, -v98, v101, v99
	v_cmp_eq_u32_e64 s5, 1, v70
	v_cmp_eq_u32_e64 s6, 2, v70
	v_cndmask_b32_e64 v95, v71, v95, s7
	v_or_b32_e32 v71, 3, v70
	v_fmac_f32_e32 v101, v100, v103
	v_cmp_eq_u32_e64 s10, 1, v72
	v_cmp_eq_u32_e64 s13, 2, v72
	v_cndmask_b32_e64 v94, v95, v94, s4
	v_cmp_eq_u32_e64 s12, 1, v71
	v_fma_f32 v97, -v98, v101, v99
	v_cmp_eq_u32_e64 s17, 2, v71
	v_cmp_eq_u32_e64 s15, 3, v72
	v_cndmask_b32_e64 v94, v94, v96, s8
	v_cmp_eq_u32_e64 s19, 3, v71
	v_div_fmas_f32 v95, v97, v103, v101
	v_cmp_eq_u32_e32 vcc_lo, 3, v70
	v_cmp_eq_u32_e64 s4, 4, v70
	v_cmp_eq_u32_e64 s20, 4, v72
	;; [unrolled: 1-line block ×3, first 2 shown]
	v_div_fixup_f32 v95, v95, v74, 1.0
	v_lshlrev_b32_e32 v73, 6, v68
	v_cmp_eq_u32_e64 s7, 5, v70
	v_cmp_eq_u32_e64 s21, 5, v72
	v_cmp_eq_u32_e64 s25, 5, v71
	v_mul_f32_e32 v102, v94, v95
	v_lshl_or_b32 v75, v69, 11, v73
	v_or_b32_e32 v69, 2, v70
	v_cmp_eq_u32_e64 s26, 6, v72
	v_cmp_eq_u32_e64 s28, 6, v71
	v_fma_mixlo_f16 v94, v102, v79, 0
	v_fma_mixlo_f16 v95, v102, v81, 0
	;; [unrolled: 1-line block ×8, first 2 shown]
	v_lshl_or_b32 v74, v66, 4, v75
	v_fma_mixhi_f16 v94, v102, v78, 0
	v_fma_mixhi_f16 v95, v102, v80, 0
	;; [unrolled: 1-line block ×8, first 2 shown]
	ds_store_b128 v74, v[94:97]
	ds_store_b128 v74, v[98:101] offset:1024
	s_waitcnt lgkmcnt(0)
	s_barrier
	buffer_gl0_inv
	ds_load_b128 v[78:81], v75
	ds_load_b128 v[82:85], v75 offset:16
	ds_load_b128 v[86:89], v75 offset:1024
	;; [unrolled: 1-line block ×3, first 2 shown]
	v_cmp_eq_u32_e64 s11, 1, v69
	v_cmp_eq_u32_e64 s16, 2, v69
	;; [unrolled: 1-line block ×11, first 2 shown]
	s_waitcnt lgkmcnt(3)
	v_lshrrev_b32_e32 v94, 16, v78
	s_waitcnt lgkmcnt(2)
	v_lshrrev_b32_e32 v98, 16, v82
	;; [unrolled: 2-line block ×4, first 2 shown]
	v_lshrrev_b32_e32 v95, 16, v79
	v_cndmask_b32_e64 v110, v78, v94, s5
	v_cndmask_b32_e64 v111, v82, v98, s5
	;; [unrolled: 1-line block ×8, first 2 shown]
	v_lshrrev_b32_e32 v99, 16, v83
	v_cndmask_b32_e64 v94, v86, v102, s5
	v_cndmask_b32_e64 v98, v90, v106, s5
	v_cndmask_b32_e64 v116, v86, v102, s10
	v_cndmask_b32_e64 v117, v90, v106, s10
	v_cndmask_b32_e64 v118, v86, v102, s11
	v_cndmask_b32_e64 v119, v90, v106, s11
	v_cndmask_b32_e64 v86, v86, v102, s12
	v_cndmask_b32_e64 v90, v90, v106, s12
	v_cndmask_b32_e64 v102, v110, v79, s6
	v_cndmask_b32_e64 v106, v111, v83, s6
	v_cndmask_b32_e64 v110, v112, v79, s13
	v_cndmask_b32_e64 v111, v113, v83, s13
	v_cndmask_b32_e64 v112, v114, v79, s16
	v_cndmask_b32_e64 v78, v78, v79, s17
	v_cndmask_b32_e64 v79, v82, v83, s17
	v_lshrrev_b32_e32 v103, 16, v87
	v_lshrrev_b32_e32 v107, 16, v91
	v_cndmask_b32_e64 v113, v115, v83, s16
	v_cndmask_b32_e64 v82, v94, v87, s6
	;; [unrolled: 1-line block ×7, first 2 shown]
	v_cndmask_b32_e32 v90, v102, v95, vcc_lo
	v_cndmask_b32_e32 v102, v106, v99, vcc_lo
	v_cndmask_b32_e64 v106, v110, v95, s15
	v_cndmask_b32_e64 v110, v111, v99, s15
	;; [unrolled: 1-line block ×4, first 2 shown]
	v_lshrrev_b32_e32 v96, 16, v80
	v_lshrrev_b32_e32 v100, 16, v84
	v_cndmask_b32_e64 v111, v112, v95, s18
	v_cndmask_b32_e64 v112, v113, v99, s18
	v_cndmask_b32_e32 v82, v82, v103, vcc_lo
	v_cndmask_b32_e32 v83, v83, v107, vcc_lo
	v_cndmask_b32_e64 v94, v94, v103, s15
	v_cndmask_b32_e64 v90, v90, v80, s4
	;; [unrolled: 1-line block ×7, first 2 shown]
	v_lshrrev_b32_e32 v104, 16, v88
	v_cndmask_b32_e64 v106, v111, v80, s22
	v_cndmask_b32_e64 v110, v112, v84, s22
	;; [unrolled: 1-line block ×11, first 2 shown]
	v_lshrrev_b32_e32 v97, 16, v81
	v_lshrrev_b32_e32 v101, 16, v85
	v_cndmask_b32_e64 v99, v106, v96, s24
	v_cndmask_b32_e64 v102, v110, v100, s24
	;; [unrolled: 1-line block ×7, first 2 shown]
	v_lshrrev_b32_e32 v105, 16, v89
	v_cndmask_b32_e64 v80, v80, v104, s7
	v_cndmask_b32_e64 v84, v84, v81, s8
	;; [unrolled: 1-line block ×16, first 2 shown]
	v_perm_b32 v81, v79, v78, 0x5040100
	v_perm_b32 v79, v95, v85, 0x5040100
	v_cndmask_b32_e64 v78, v119, v91, s16
	v_cndmask_b32_e64 v85, v117, v91, s13
	;; [unrolled: 1-line block ×3, first 2 shown]
	v_perm_b32 v80, v94, v90, 0x5040100
	v_cndmask_b32_e64 v90, v98, v103, s18
	v_cndmask_b32_e64 v86, v86, v103, s19
	;; [unrolled: 1-line block ×5, first 2 shown]
	v_lshrrev_b32_e32 v108, 16, v92
	v_cndmask_b32_e64 v90, v90, v88, s22
	v_cndmask_b32_e64 v86, v86, v88, s23
	;; [unrolled: 1-line block ×11, first 2 shown]
	v_lshrrev_b32_e32 v109, 16, v93
	v_cndmask_b32_e64 v82, v82, v93, s8
	v_cndmask_b32_e64 v88, v88, v89, s27
	;; [unrolled: 1-line block ×12, first 2 shown]
	v_perm_b32 v78, v84, v83, 0x5040100
	v_perm_b32 v85, v87, v86, 0x5040100
	;; [unrolled: 1-line block ×5, first 2 shown]
	s_mul_i32 s9, s35, 11
	s_mov_b32 s4, exec_lo
	ds_store_b128 v74, v[78:81]
	ds_store_b128 v74, v[82:85] offset:1024
	v_cmpx_gt_u32_e32 11, v0
	s_cbranch_execz .LBB1192_14
; %bb.13:
	s_mul_i32 s5, s9, s34
	s_load_b128 s[16:19], s[0:1], 0x58
	v_add3_u32 v68, s5, s33, v68
	s_delay_alu instid0(VALU_DEP_1) | instskip(NEXT) | instid1(VALU_DEP_1)
	v_mad_u64_u32 v[78:79], null, v68, s36, s[14:15]
	v_ashrrev_i32_e32 v79, 31, v78
	s_delay_alu instid0(VALU_DEP_1) | instskip(SKIP_1) | instid1(VALU_DEP_1)
	v_lshlrev_b64 v[78:79], 2, v[78:79]
	s_waitcnt lgkmcnt(0)
	v_add_co_u32 v80, vcc_lo, s18, v78
	s_delay_alu instid0(VALU_DEP_2)
	v_add_co_ci_u32_e32 v81, vcc_lo, s19, v79, vcc_lo
	v_add_co_u32 v78, vcc_lo, s16, v78
	v_add_co_ci_u32_e32 v79, vcc_lo, s17, v79, vcc_lo
	global_store_b32 v[80:81], v76, off
	global_store_b32 v[78:79], v77, off
.LBB1192_14:
	s_or_b32 exec_lo, exec_lo, s4
	s_waitcnt lgkmcnt(0)
	s_waitcnt_vscnt null, 0x0
	s_barrier
	buffer_gl0_inv
	ds_load_b128 v[84:87], v73
	ds_load_b128 v[88:91], v73 offset:16
	ds_load_b128 v[96:99], v73 offset:2064
	;; [unrolled: 1-line block ×5, first 2 shown]
	v_cmp_eq_u32_e32 vcc_lo, 1, v70
	v_mov_b32_e32 v76, 0
	ds_load_b128 v[112:115], v73 offset:6160
	ds_load_b128 v[108:111], v73 offset:6144
	;; [unrolled: 1-line block ×4, first 2 shown]
	v_cmp_eq_u32_e64 s5, 1, v69
	v_cmp_eq_u32_e64 s4, 1, v72
	;; [unrolled: 1-line block ×3, first 2 shown]
	v_mov_b32_e32 v77, v76
	v_mov_b32_e32 v78, v76
	;; [unrolled: 1-line block ×7, first 2 shown]
	v_cmp_eq_u32_e64 s7, 3, v72
	v_cmp_eq_u32_e64 s8, 7, v72
	s_waitcnt lgkmcnt(8)
	s_delay_alu instid0(VALU_DEP_3)
	v_wmma_f32_16x16x16_f16 v[76:83], v[49:56], v[84:91], v[76:83]
	ds_load_b128 v[53:56], v73 offset:10256
	ds_load_b128 v[49:52], v73 offset:10240
	s_waitcnt lgkmcnt(8)
	v_wmma_f32_16x16x16_f16 v[76:83], v[41:48], v[92:99], v[76:83]
	ds_load_b128 v[45:48], v73 offset:12304
	ds_load_b128 v[41:44], v73 offset:12288
	s_waitcnt lgkmcnt(8)
	v_wmma_f32_16x16x16_f16 v[76:83], v[33:40], v[100:107], v[76:83]
	ds_load_b128 v[37:40], v73 offset:14352
	ds_load_b128 v[33:36], v73 offset:14336
	s_waitcnt lgkmcnt(0)
	s_barrier
	buffer_gl0_inv
	v_wmma_f32_16x16x16_f16 v[76:83], v[1:8], v[108:115], v[76:83]
	s_delay_alu instid0(VALU_DEP_1) | instskip(NEXT) | instid1(VALU_DEP_1)
	v_wmma_f32_16x16x16_f16 v[76:83], v[9:16], v[116:123], v[76:83]
	v_wmma_f32_16x16x16_f16 v[76:83], v[17:24], v[49:56], v[76:83]
	s_delay_alu instid0(VALU_DEP_1) | instskip(NEXT) | instid1(VALU_DEP_1)
	v_wmma_f32_16x16x16_f16 v[76:83], v[25:32], v[41:48], v[76:83]
	v_wmma_f32_16x16x16_f16 v[76:83], v[57:64], v[33:40], v[76:83]
	s_delay_alu instid0(VALU_DEP_1) | instskip(NEXT) | instid1(VALU_DEP_2)
	v_cvt_f16_f32_e32 v1, v76
	v_cvt_f16_f32_e32 v2, v77
	s_delay_alu instid0(VALU_DEP_3) | instskip(NEXT) | instid1(VALU_DEP_4)
	v_cvt_f16_f32_e32 v3, v78
	v_cvt_f16_f32_e32 v4, v79
	;; [unrolled: 1-line block ×6, first 2 shown]
	v_pack_b32_f16 v1, v1, v2
	v_pack_b32_f16 v2, v3, v4
	v_pack_b32_f16 v3, v5, v6
	s_delay_alu instid0(VALU_DEP_4)
	v_pack_b32_f16 v4, v7, v8
	ds_store_b128 v74, v[1:4]
	s_waitcnt lgkmcnt(0)
	s_barrier
	buffer_gl0_inv
	ds_load_b128 v[1:4], v75
	ds_load_b128 v[5:8], v75 offset:16
	s_waitcnt lgkmcnt(1)
	v_lshrrev_b32_e32 v9, 16, v1
	s_waitcnt lgkmcnt(0)
	v_lshrrev_b32_e32 v13, 16, v5
	v_lshrrev_b32_e32 v10, 16, v2
	;; [unrolled: 1-line block ×4, first 2 shown]
	v_cndmask_b32_e32 v17, v1, v9, vcc_lo
	v_cndmask_b32_e32 v18, v5, v13, vcc_lo
	v_cndmask_b32_e64 v21, v1, v9, s5
	v_cmp_eq_u32_e32 vcc_lo, 1, v71
	v_cndmask_b32_e64 v22, v5, v13, s5
	v_cmp_eq_u32_e64 s5, 2, v70
	v_cndmask_b32_e64 v19, v1, v9, s4
	v_cndmask_b32_e64 v20, v5, v13, s4
	v_cndmask_b32_e32 v1, v1, v9, vcc_lo
	v_cmp_eq_u32_e64 s4, 2, v71
	v_cndmask_b32_e32 v5, v5, v13, vcc_lo
	v_cndmask_b32_e64 v9, v17, v2, s5
	v_cmp_eq_u32_e32 vcc_lo, 3, v70
	v_cndmask_b32_e64 v13, v18, v6, s5
	v_cmp_eq_u32_e64 s5, 2, v69
	v_cndmask_b32_e64 v17, v19, v2, s6
	v_cndmask_b32_e64 v18, v20, v6, s6
	v_cmp_eq_u32_e64 s6, 3, v69
	v_cndmask_b32_e64 v1, v1, v2, s4
	v_cndmask_b32_e64 v19, v21, v2, s5
	v_cndmask_b32_e64 v20, v22, v6, s5
	v_cndmask_b32_e64 v2, v5, v6, s4
	v_cndmask_b32_e32 v5, v9, v10, vcc_lo
	v_cndmask_b32_e32 v6, v13, v14, vcc_lo
	v_cmp_eq_u32_e32 vcc_lo, 3, v71
	v_cndmask_b32_e64 v9, v17, v10, s7
	v_cndmask_b32_e64 v13, v18, v14, s7
	;; [unrolled: 1-line block ×3, first 2 shown]
	v_cmp_eq_u32_e64 s5, 4, v70
	v_cndmask_b32_e32 v1, v1, v10, vcc_lo
	v_cndmask_b32_e32 v2, v2, v14, vcc_lo
	v_cmp_eq_u32_e32 vcc_lo, 4, v72
	v_lshrrev_b32_e32 v15, 16, v7
	v_lshrrev_b32_e32 v16, 16, v8
	v_cndmask_b32_e64 v17, v19, v10, s6
	v_cmp_eq_u32_e64 s4, 4, v71
	v_cndmask_b32_e64 v5, v5, v3, s5
	v_cndmask_b32_e64 v6, v6, v7, s5
	v_cndmask_b32_e32 v9, v9, v3, vcc_lo
	v_cmp_eq_u32_e64 s5, 5, v72
	v_cndmask_b32_e32 v10, v13, v7, vcc_lo
	v_cmp_eq_u32_e32 vcc_lo, 4, v69
	v_cmp_eq_u32_e64 s6, 5, v70
	v_cndmask_b32_e64 v2, v2, v7, s4
	v_cndmask_b32_e64 v9, v9, v11, s5
	;; [unrolled: 1-line block ×3, first 2 shown]
	v_cndmask_b32_e32 v13, v17, v3, vcc_lo
	v_cmp_eq_u32_e64 s5, 5, v69
	v_cndmask_b32_e32 v14, v18, v7, vcc_lo
	v_cndmask_b32_e64 v1, v1, v3, s4
	v_cmp_eq_u32_e32 vcc_lo, 5, v71
	v_lshrrev_b32_e32 v12, 16, v4
	v_cndmask_b32_e64 v13, v13, v11, s5
	v_cndmask_b32_e64 v3, v14, v15, s5
	v_cmp_eq_u32_e64 s5, 6, v71
	v_cndmask_b32_e32 v1, v1, v11, vcc_lo
	v_cndmask_b32_e64 v5, v5, v11, s6
	v_cmp_eq_u32_e64 s7, 6, v70
	v_cndmask_b32_e64 v6, v6, v15, s6
	v_cmp_eq_u32_e64 s6, 6, v72
	v_cmp_eq_u32_e64 s4, 6, v69
	v_cndmask_b32_e64 v1, v1, v4, s5
	v_cndmask_b32_e32 v2, v2, v15, vcc_lo
	v_cmp_eq_u32_e32 vcc_lo, 7, v71
	v_cndmask_b32_e64 v5, v5, v4, s7
	v_cndmask_b32_e64 v9, v9, v4, s6
	;; [unrolled: 1-line block ×3, first 2 shown]
	v_cmp_eq_u32_e64 s7, 7, v70
	v_cndmask_b32_e32 v1, v1, v12, vcc_lo
	v_cndmask_b32_e64 v7, v13, v4, s4
	v_cndmask_b32_e64 v3, v3, v8, s4
	;; [unrolled: 1-line block ×3, first 2 shown]
	v_cmp_eq_u32_e64 s4, 7, v69
	v_cndmask_b32_e64 v4, v10, v8, s6
	v_cndmask_b32_e64 v5, v5, v12, s7
	;; [unrolled: 1-line block ×3, first 2 shown]
	v_cndmask_b32_e32 v2, v2, v16, vcc_lo
	v_cndmask_b32_e64 v7, v7, v12, s4
	v_cndmask_b32_e64 v3, v3, v16, s4
	;; [unrolled: 1-line block ×4, first 2 shown]
	v_cmp_gt_u32_e32 vcc_lo, 32, v0
	v_perm_b32 v4, v2, v1, 0x5040100
	v_perm_b32 v3, v3, v7, 0x5040100
	;; [unrolled: 1-line block ×4, first 2 shown]
	s_and_b32 s2, vcc_lo, s2
	ds_store_b128 v74, v[1:4]
	s_waitcnt lgkmcnt(0)
	s_barrier
	buffer_gl0_inv
	s_and_saveexec_b32 s4, s2
	s_cbranch_execz .LBB1192_2
; %bb.15:
	s_load_b64 s[4:5], s[0:1], 0x68
	v_lshlrev_b32_e32 v0, 10, v0
	v_lshlrev_b32_e32 v1, 4, v67
	s_lshl_b32 s0, s36, 6
	v_add_nc_u32_e32 v7, s33, v66
	s_mul_i32 s1, s0, s34
	s_delay_alu instid0(SALU_CYCLE_1) | instskip(SKIP_1) | instid1(VALU_DEP_2)
	s_mul_i32 s6, s1, s9
	v_and_or_b32 v0, 0x3800, v0, v1
	v_mul_lo_u32 v1, v7, s0
	v_add_nc_u32_e32 v2, 2, v7
	s_ashr_i32 s7, s6, 31
	v_add_nc_u32_e32 v4, 4, v7
	s_lshl_b64 s[6:7], s[6:7], 1
	v_add_nc_u32_e32 v8, 6, v7
	v_mul_lo_u32 v3, v2, s0
	v_lshl_or_b32 v19, v66, 6, v0
	v_ashrrev_i32_e32 v2, 31, v1
	v_mul_lo_u32 v11, v4, s0
	v_mul_lo_u32 v25, v8, s0
	s_waitcnt lgkmcnt(0)
	s_add_u32 s1, s4, s6
	s_addc_u32 s2, s5, s7
	s_lshl_b32 s4, s14, 6
	v_lshlrev_b64 v[5:6], 1, v[1:2]
	s_ashr_i32 s5, s4, 31
	v_ashrrev_i32_e32 v4, 31, v3
	s_lshl_b64 s[4:5], s[4:5], 1
	v_ashrrev_i32_e32 v12, 31, v11
	s_add_u32 s1, s1, s4
	s_addc_u32 s2, s2, s5
	v_add_co_u32 v1, s1, s1, v65
	s_delay_alu instid0(VALU_DEP_1) | instskip(SKIP_1) | instid1(VALU_DEP_3)
	v_add_co_ci_u32_e64 v2, null, s2, 0, s1
	v_lshlrev_b64 v[3:4], 1, v[3:4]
	v_add_co_u32 v23, vcc_lo, v1, v5
	v_add_nc_u32_e32 v5, 8, v7
	s_delay_alu instid0(VALU_DEP_4) | instskip(NEXT) | instid1(VALU_DEP_4)
	v_add_co_ci_u32_e32 v24, vcc_lo, v2, v6, vcc_lo
	v_add_co_u32 v27, vcc_lo, v1, v3
	s_delay_alu instid0(VALU_DEP_3)
	v_mul_lo_u32 v29, v5, s0
	v_add_co_ci_u32_e32 v28, vcc_lo, v2, v4, vcc_lo
	ds_load_b128 v[3:6], v19
	ds_load_b128 v[7:10], v19 offset:128
	v_lshlrev_b64 v[31:32], 1, v[11:12]
	ds_load_b128 v[11:14], v19 offset:256
	ds_load_b128 v[15:18], v19 offset:384
	;; [unrolled: 1-line block ×3, first 2 shown]
	v_ashrrev_i32_e32 v26, 31, v25
	v_ashrrev_i32_e32 v30, 31, v29
	v_add_co_u32 v31, vcc_lo, v1, v31
	s_delay_alu instid0(VALU_DEP_3) | instskip(NEXT) | instid1(VALU_DEP_3)
	v_lshlrev_b64 v[25:26], 1, v[25:26]
	v_lshlrev_b64 v[29:30], 1, v[29:30]
	v_add_co_ci_u32_e32 v32, vcc_lo, v2, v32, vcc_lo
	s_delay_alu instid0(VALU_DEP_3) | instskip(NEXT) | instid1(VALU_DEP_4)
	v_add_co_u32 v25, vcc_lo, v1, v25
	v_add_co_ci_u32_e32 v26, vcc_lo, v2, v26, vcc_lo
	s_delay_alu instid0(VALU_DEP_4)
	v_add_co_u32 v29, vcc_lo, v1, v29
	v_add_co_ci_u32_e32 v30, vcc_lo, v2, v30, vcc_lo
	s_waitcnt lgkmcnt(4)
	global_store_b128 v[23:24], v[3:6], off
	s_waitcnt lgkmcnt(3)
	global_store_b128 v[27:28], v[7:10], off
	;; [unrolled: 2-line block ×5, first 2 shown]
	s_and_b32 exec_lo, exec_lo, s3
	s_cbranch_execz .LBB1192_2
; %bb.16:
	ds_load_b128 v[3:6], v0 offset:640
	s_add_i32 s1, s33, 10
	s_delay_alu instid0(SALU_CYCLE_1) | instskip(NEXT) | instid1(SALU_CYCLE_1)
	s_mul_i32 s0, s1, s0
	s_ashr_i32 s1, s0, 31
	s_delay_alu instid0(SALU_CYCLE_1) | instskip(NEXT) | instid1(SALU_CYCLE_1)
	s_lshl_b64 s[0:1], s[0:1], 1
	v_add_co_u32 v0, vcc_lo, v1, s0
	v_add_co_ci_u32_e32 v1, vcc_lo, s1, v2, vcc_lo
	s_waitcnt lgkmcnt(0)
	global_store_b128 v[0:1], v[3:6], off
	s_nop 0
	s_sendmsg sendmsg(MSG_DEALLOC_VGPRS)
	s_endpgm
	.section	.rodata,"a",@progbits
	.p2align	6, 0x0
	.amdhsa_kernel _Z39paged_attention_ll4mi_QKV_mfma16_kernelIDF16_hLN4vllm18Fp8KVCacheDataTypeE1EDF16_Li32ELi64ELi256ELb1ELi11EL8MFMAType0EEvPKT_PKT0_S8_ifPKiSA_SA_iPKfiiiPfSD_PS3_PT2_iSC_SC_
		.amdhsa_group_segment_fixed_size 17472
		.amdhsa_private_segment_fixed_size 0
		.amdhsa_kernarg_size 400
		.amdhsa_user_sgpr_count 13
		.amdhsa_user_sgpr_dispatch_ptr 0
		.amdhsa_user_sgpr_queue_ptr 0
		.amdhsa_user_sgpr_kernarg_segment_ptr 1
		.amdhsa_user_sgpr_dispatch_id 0
		.amdhsa_user_sgpr_private_segment_size 0
		.amdhsa_wavefront_size32 1
		.amdhsa_uses_dynamic_stack 0
		.amdhsa_enable_private_segment 0
		.amdhsa_system_sgpr_workgroup_id_x 1
		.amdhsa_system_sgpr_workgroup_id_y 1
		.amdhsa_system_sgpr_workgroup_id_z 1
		.amdhsa_system_sgpr_workgroup_info 0
		.amdhsa_system_vgpr_workitem_id 0
		.amdhsa_next_free_vgpr 146
		.amdhsa_next_free_sgpr 37
		.amdhsa_reserve_vcc 1
		.amdhsa_float_round_mode_32 0
		.amdhsa_float_round_mode_16_64 0
		.amdhsa_float_denorm_mode_32 3
		.amdhsa_float_denorm_mode_16_64 3
		.amdhsa_dx10_clamp 1
		.amdhsa_ieee_mode 1
		.amdhsa_fp16_overflow 0
		.amdhsa_workgroup_processor_mode 1
		.amdhsa_memory_ordered 1
		.amdhsa_forward_progress 0
		.amdhsa_shared_vgpr_count 0
		.amdhsa_exception_fp_ieee_invalid_op 0
		.amdhsa_exception_fp_denorm_src 0
		.amdhsa_exception_fp_ieee_div_zero 0
		.amdhsa_exception_fp_ieee_overflow 0
		.amdhsa_exception_fp_ieee_underflow 0
		.amdhsa_exception_fp_ieee_inexact 0
		.amdhsa_exception_int_div_zero 0
	.end_amdhsa_kernel
	.section	.text._Z39paged_attention_ll4mi_QKV_mfma16_kernelIDF16_hLN4vllm18Fp8KVCacheDataTypeE1EDF16_Li32ELi64ELi256ELb1ELi11EL8MFMAType0EEvPKT_PKT0_S8_ifPKiSA_SA_iPKfiiiPfSD_PS3_PT2_iSC_SC_,"axG",@progbits,_Z39paged_attention_ll4mi_QKV_mfma16_kernelIDF16_hLN4vllm18Fp8KVCacheDataTypeE1EDF16_Li32ELi64ELi256ELb1ELi11EL8MFMAType0EEvPKT_PKT0_S8_ifPKiSA_SA_iPKfiiiPfSD_PS3_PT2_iSC_SC_,comdat
.Lfunc_end1192:
	.size	_Z39paged_attention_ll4mi_QKV_mfma16_kernelIDF16_hLN4vllm18Fp8KVCacheDataTypeE1EDF16_Li32ELi64ELi256ELb1ELi11EL8MFMAType0EEvPKT_PKT0_S8_ifPKiSA_SA_iPKfiiiPfSD_PS3_PT2_iSC_SC_, .Lfunc_end1192-_Z39paged_attention_ll4mi_QKV_mfma16_kernelIDF16_hLN4vllm18Fp8KVCacheDataTypeE1EDF16_Li32ELi64ELi256ELb1ELi11EL8MFMAType0EEvPKT_PKT0_S8_ifPKiSA_SA_iPKfiiiPfSD_PS3_PT2_iSC_SC_
                                        ; -- End function
	.section	.AMDGPU.csdata,"",@progbits
; Kernel info:
; codeLenInByte = 6648
; NumSgprs: 39
; NumVgprs: 146
; ScratchSize: 0
; MemoryBound: 0
; FloatMode: 240
; IeeeMode: 1
; LDSByteSize: 17472 bytes/workgroup (compile time only)
; SGPRBlocks: 4
; VGPRBlocks: 18
; NumSGPRsForWavesPerEU: 39
; NumVGPRsForWavesPerEU: 146
; Occupancy: 9
; WaveLimiterHint : 1
; COMPUTE_PGM_RSRC2:SCRATCH_EN: 0
; COMPUTE_PGM_RSRC2:USER_SGPR: 13
; COMPUTE_PGM_RSRC2:TRAP_HANDLER: 0
; COMPUTE_PGM_RSRC2:TGID_X_EN: 1
; COMPUTE_PGM_RSRC2:TGID_Y_EN: 1
; COMPUTE_PGM_RSRC2:TGID_Z_EN: 1
; COMPUTE_PGM_RSRC2:TIDIG_COMP_CNT: 0
	.section	.text._Z39paged_attention_ll4mi_QKV_mfma16_kernelIDF16_hLN4vllm18Fp8KVCacheDataTypeE1EDF16_Li32ELi64ELi256ELb1ELi12EL8MFMAType0EEvPKT_PKT0_S8_ifPKiSA_SA_iPKfiiiPfSD_PS3_PT2_iSC_SC_,"axG",@progbits,_Z39paged_attention_ll4mi_QKV_mfma16_kernelIDF16_hLN4vllm18Fp8KVCacheDataTypeE1EDF16_Li32ELi64ELi256ELb1ELi12EL8MFMAType0EEvPKT_PKT0_S8_ifPKiSA_SA_iPKfiiiPfSD_PS3_PT2_iSC_SC_,comdat
	.protected	_Z39paged_attention_ll4mi_QKV_mfma16_kernelIDF16_hLN4vllm18Fp8KVCacheDataTypeE1EDF16_Li32ELi64ELi256ELb1ELi12EL8MFMAType0EEvPKT_PKT0_S8_ifPKiSA_SA_iPKfiiiPfSD_PS3_PT2_iSC_SC_ ; -- Begin function _Z39paged_attention_ll4mi_QKV_mfma16_kernelIDF16_hLN4vllm18Fp8KVCacheDataTypeE1EDF16_Li32ELi64ELi256ELb1ELi12EL8MFMAType0EEvPKT_PKT0_S8_ifPKiSA_SA_iPKfiiiPfSD_PS3_PT2_iSC_SC_
	.globl	_Z39paged_attention_ll4mi_QKV_mfma16_kernelIDF16_hLN4vllm18Fp8KVCacheDataTypeE1EDF16_Li32ELi64ELi256ELb1ELi12EL8MFMAType0EEvPKT_PKT0_S8_ifPKiSA_SA_iPKfiiiPfSD_PS3_PT2_iSC_SC_
	.p2align	8
	.type	_Z39paged_attention_ll4mi_QKV_mfma16_kernelIDF16_hLN4vllm18Fp8KVCacheDataTypeE1EDF16_Li32ELi64ELi256ELb1ELi12EL8MFMAType0EEvPKT_PKT0_S8_ifPKiSA_SA_iPKfiiiPfSD_PS3_PT2_iSC_SC_,@function
_Z39paged_attention_ll4mi_QKV_mfma16_kernelIDF16_hLN4vllm18Fp8KVCacheDataTypeE1EDF16_Li32ELi64ELi256ELb1ELi12EL8MFMAType0EEvPKT_PKT0_S8_ifPKiSA_SA_iPKfiiiPfSD_PS3_PT2_iSC_SC_: ; @_Z39paged_attention_ll4mi_QKV_mfma16_kernelIDF16_hLN4vllm18Fp8KVCacheDataTypeE1EDF16_Li32ELi64ELi256ELb1ELi12EL8MFMAType0EEvPKT_PKT0_S8_ifPKiSA_SA_iPKfiiiPfSD_PS3_PT2_iSC_SC_
; %bb.0:
	s_load_b64 s[2:3], s[0:1], 0x30
	s_mov_b32 s34, s13
	s_waitcnt lgkmcnt(0)
	s_cmp_lg_u64 s[2:3], 0
	s_cselect_b32 s6, -1, 0
	s_ashr_i32 s35, s13, 31
	s_cmp_eq_u64 s[2:3], 0
	s_cbranch_scc1 .LBB1193_3
; %bb.1:
	s_lshl_b64 s[4:5], s[34:35], 2
	s_delay_alu instid0(SALU_CYCLE_1) | instskip(SKIP_4) | instid1(SALU_CYCLE_1)
	s_add_u32 s4, s2, s4
	s_addc_u32 s5, s3, s5
	s_load_b64 s[4:5], s[4:5], 0x0
	s_waitcnt lgkmcnt(0)
	s_sub_i32 s4, s5, s4
	s_cmp_eq_u32 s4, 1
	s_cselect_b32 s4, -1, 0
	s_delay_alu instid0(SALU_CYCLE_1)
	s_and_not1_b32 vcc_lo, exec_lo, s4
	s_cbranch_vccz .LBB1193_4
.LBB1193_2:
	s_endpgm
.LBB1193_3:
.LBB1193_4:
	s_load_b64 s[8:9], s[0:1], 0x28
	s_lshl_b64 s[4:5], s[34:35], 2
	s_waitcnt lgkmcnt(0)
	s_add_u32 s8, s8, s4
	s_addc_u32 s9, s9, s5
	s_lshl_b32 s16, s14, 8
	s_load_b32 s18, s[8:9], 0x0
	s_waitcnt lgkmcnt(0)
	s_cmp_ge_i32 s16, s18
	s_cbranch_scc1 .LBB1193_2
; %bb.5:
	s_clause 0x1
	s_load_b128 s[8:11], s[0:1], 0x8
	s_load_b64 s[12:13], s[0:1], 0x20
	s_and_not1_b32 vcc_lo, exec_lo, s6
	s_cbranch_vccnz .LBB1193_7
; %bb.6:
	s_add_u32 s2, s2, s4
	s_addc_u32 s3, s3, s5
	s_load_b32 s3, s[2:3], 0x0
	s_branch .LBB1193_8
.LBB1193_7:
	s_mov_b32 s3, s34
.LBB1193_8:
	s_load_b128 s[4:7], s[0:1], 0x48
	v_and_b32_e32 v68, 15, v0
	v_cmp_gt_u32_e32 vcc_lo, 0xc0, v0
	v_lshrrev_b32_e32 v69, 5, v0
	v_and_b32_e32 v70, 31, v0
	v_and_b32_e32 v67, 1, v0
	v_lshlrev_b32_e32 v1, 3, v68
	v_cmp_gt_u32_e64 s2, 8, v68
	v_bfe_u32 v66, v0, 4, 1
	s_mul_i32 s31, s15, 12
	s_delay_alu instid0(VALU_DEP_3) | instskip(NEXT) | instid1(VALU_DEP_3)
	v_lshlrev_b32_e32 v65, 1, v1
	s_and_b32 s17, vcc_lo, s2
	s_waitcnt lgkmcnt(0)
	s_and_saveexec_b32 s7, s17
	s_cbranch_execz .LBB1193_10
; %bb.9:
	s_load_b64 s[20:21], s[0:1], 0x0
	v_lshl_or_b32 v5, v69, 1, v66
	s_mul_hi_i32 s23, s3, s4
	s_mul_i32 s22, s3, s4
	v_lshlrev_b32_e32 v6, 10, v68
	s_lshl_b64 s[22:23], s[22:23], 1
	v_add_lshl_u32 v1, v5, s31, 6
	v_lshlrev_b32_e32 v5, 6, v5
	v_lshlrev_b32_e32 v7, 10, v67
	v_and_b32_e32 v6, 0x3800, v6
	s_delay_alu instid0(VALU_DEP_4) | instskip(NEXT) | instid1(VALU_DEP_2)
	v_ashrrev_i32_e32 v2, 31, v1
	v_or3_b32 v5, v6, v7, v5
	s_delay_alu instid0(VALU_DEP_2) | instskip(SKIP_3) | instid1(VALU_DEP_1)
	v_lshlrev_b64 v[1:2], 1, v[1:2]
	s_waitcnt lgkmcnt(0)
	s_add_u32 s3, s20, s22
	s_addc_u32 s4, s21, s23
	v_add_co_u32 v1, vcc_lo, s3, v1
	s_delay_alu instid0(VALU_DEP_2) | instskip(NEXT) | instid1(VALU_DEP_2)
	v_add_co_ci_u32_e32 v2, vcc_lo, s4, v2, vcc_lo
	v_add_co_u32 v1, vcc_lo, v1, v65
	s_delay_alu instid0(VALU_DEP_2)
	v_add_co_ci_u32_e32 v2, vcc_lo, 0, v2, vcc_lo
	global_load_b128 v[1:4], v[1:2], off
	s_waitcnt vmcnt(0)
	ds_store_b128 v5, v[1:4]
.LBB1193_10:
	s_or_b32 exec_lo, exec_lo, s7
	v_and_b32_e32 v1, 0xef, v0
	s_add_i32 s3, s18, 31
	s_clause 0x1
	s_load_b32 s4, s[0:1], 0x38
	s_load_b32 s33, s[0:1], 0x98
	s_ashr_i32 s7, s3, 31
	v_add_nc_u32_e32 v1, s16, v1
	s_lshr_b32 s7, s7, 27
	s_load_b32 s19, s[0:1], 0x1c
	v_add_nc_u32_e32 v103, -12, v68
	s_add_i32 s3, s3, s7
	v_ashrrev_i32_e32 v2, 31, v1
	v_or_b32_e32 v3, 16, v1
	s_ashr_i32 s3, s3, 5
	v_cmp_gt_i32_e32 vcc_lo, s18, v1
	s_add_i32 s3, s3, -1
	v_lshrrev_b32_e32 v2, 27, v2
	s_waitcnt lgkmcnt(0)
	s_barrier
	buffer_gl0_inv
	s_mul_i32 s15, s15, s6
	v_add_nc_u32_e32 v4, v1, v2
	v_mbcnt_lo_u32_b32 v127, -1, 0
	s_mul_i32 s20, s34, s4
	s_delay_alu instid0(SALU_CYCLE_1) | instskip(NEXT) | instid1(VALU_DEP_2)
	s_ashr_i32 s21, s20, 31
	v_ashrrev_i32_e32 v4, 5, v4
	v_add_nc_u32_e32 v2, v3, v2
	s_lshl_b64 s[20:21], s[20:21], 2
	v_xor_b32_e32 v128, 16, v127
	s_add_u32 s17, s12, s20
	v_cndmask_b32_e32 v1, s3, v4, vcc_lo
	v_ashrrev_i32_e32 v2, 5, v2
	v_cmp_gt_i32_e32 vcc_lo, s18, v3
	s_addc_u32 s13, s13, s21
	s_ashr_i32 s20, s15, 31
	s_add_u32 s22, s8, s15
	s_addc_u32 s23, s9, s20
	v_cndmask_b32_e32 v3, s3, v2, vcc_lo
	v_ashrrev_i32_e32 v2, 31, v1
	s_lshl_b32 s6, s14, 3
	s_delay_alu instid0(SALU_CYCLE_1) | instskip(NEXT) | instid1(VALU_DEP_2)
	s_ashr_i32 s7, s6, 31
	v_ashrrev_i32_e32 v4, 31, v3
	s_delay_alu instid0(VALU_DEP_2) | instskip(SKIP_1) | instid1(SALU_CYCLE_1)
	v_lshlrev_b64 v[1:2], 2, v[1:2]
	s_lshl_b64 s[6:7], s[6:7], 2
	s_add_u32 s6, s17, s6
	s_delay_alu instid0(VALU_DEP_2) | instskip(SKIP_1) | instid1(VALU_DEP_2)
	v_lshlrev_b64 v[3:4], 2, v[3:4]
	s_addc_u32 s7, s13, s7
	v_add_co_u32 v1, vcc_lo, s17, v1
	v_add_co_ci_u32_e32 v2, vcc_lo, s13, v2, vcc_lo
	s_delay_alu instid0(VALU_DEP_3) | instskip(NEXT) | instid1(VALU_DEP_4)
	v_add_co_u32 v3, vcc_lo, s17, v3
	v_add_co_ci_u32_e32 v4, vcc_lo, s13, v4, vcc_lo
	s_clause 0x1
	global_load_b32 v5, v[1:2], off
	global_load_b32 v6, v[3:4], off
	s_or_b32 s4, s16, 32
	s_delay_alu instid0(SALU_CYCLE_1) | instskip(SKIP_2) | instid1(SALU_CYCLE_1)
	s_ashr_i32 s8, s4, 5
	s_cmp_lt_i32 s4, s18
	s_cselect_b32 s8, s8, s3
	s_ashr_i32 s9, s8, 31
	s_delay_alu instid0(SALU_CYCLE_1) | instskip(NEXT) | instid1(SALU_CYCLE_1)
	s_lshl_b64 s[8:9], s[8:9], 2
	s_add_u32 s8, s17, s8
	s_addc_u32 s9, s13, s9
	s_or_b32 s4, s16, 64
	s_delay_alu instid0(SALU_CYCLE_1) | instskip(SKIP_2) | instid1(SALU_CYCLE_1)
	s_ashr_i32 s12, s4, 5
	s_cmp_lt_i32 s4, s18
	s_cselect_b32 s24, s12, s3
	s_ashr_i32 s25, s24, 31
	s_delay_alu instid0(SALU_CYCLE_1) | instskip(NEXT) | instid1(SALU_CYCLE_1)
	s_lshl_b64 s[24:25], s[24:25], 2
	s_add_u32 s24, s17, s24
	s_addc_u32 s25, s13, s25
	;; [unrolled: 10-line block ×5, first 2 shown]
	s_clause 0x5
	s_load_b32 s12, s[6:7], 0x0
	s_load_b32 s4, s[8:9], 0x0
	;; [unrolled: 1-line block ×6, first 2 shown]
	s_or_b32 s21, s16, 0xc0
	s_waitcnt vmcnt(1)
	v_mad_i64_i32 v[1:2], null, v5, s5, s[22:23]
	v_lshlrev_b32_e32 v5, 4, v68
	s_waitcnt vmcnt(0)
	v_mad_i64_i32 v[3:4], null, v6, s5, s[22:23]
	s_ashr_i32 s22, s21, 5
	s_cmp_lt_i32 s21, s18
	s_delay_alu instid0(VALU_DEP_3) | instskip(NEXT) | instid1(VALU_DEP_4)
	v_add_co_u32 v1, vcc_lo, v1, v5
	v_add_co_ci_u32_e32 v2, vcc_lo, 0, v2, vcc_lo
	s_delay_alu instid0(VALU_DEP_3) | instskip(NEXT) | instid1(VALU_DEP_4)
	v_add_co_u32 v3, vcc_lo, v3, v5
	v_add_co_ci_u32_e32 v4, vcc_lo, 0, v4, vcc_lo
	s_clause 0x7
	global_load_b128 v[71:74], v[1:2], off
	global_load_b128 v[75:78], v[1:2], off offset:512
	global_load_b128 v[79:82], v[3:4], off offset:256
	;; [unrolled: 1-line block ×7, first 2 shown]
	s_cselect_b32 s22, s22, s3
	v_lshlrev_b32_e32 v1, 5, v68
	s_ashr_i32 s23, s22, 31
	v_cmp_gt_u32_e32 vcc_lo, 12, v68
	s_lshl_b64 s[22:23], s[22:23], 2
	s_delay_alu instid0(SALU_CYCLE_1)
	s_add_u32 s22, s17, s22
	s_addc_u32 s23, s13, s23
	s_or_b32 s21, s16, 0xe0
	v_lshl_or_b32 v1, v69, 9, v1
	s_ashr_i32 s24, s21, 5
	s_cmp_lt_i32 s21, s18
	v_cndmask_b32_e32 v103, v103, v68, vcc_lo
	s_cselect_b32 s24, s24, s3
	s_load_b32 s3, s[22:23], 0x0
	s_ashr_i32 s25, s24, 31
	v_cmp_gt_i32_e32 vcc_lo, 32, v128
	s_lshl_b64 s[24:25], s[24:25], 2
	v_lshlrev_b32_e32 v115, 6, v103
	s_add_u32 s22, s17, s24
	s_addc_u32 s23, s13, s25
	v_cndmask_b32_e32 v136, v127, v128, vcc_lo
	s_add_u32 s10, s10, s15
	s_addc_u32 s11, s11, s20
	v_add_co_u32 v1, s10, s10, v1
	s_delay_alu instid0(VALU_DEP_1) | instskip(SKIP_2) | instid1(VALU_DEP_1)
	v_add_co_ci_u32_e64 v2, null, s11, 0, s10
	s_load_b32 s10, s[22:23], 0x0
	s_waitcnt lgkmcnt(0)
	v_mad_i64_i32 v[3:4], null, s12, s5, v[1:2]
	v_mad_i64_i32 v[9:10], null, s7, s5, v[1:2]
	;; [unrolled: 1-line block ×7, first 2 shown]
	s_clause 0x5
	global_load_b128 v[49:52], v[3:4], off
	global_load_b128 v[53:56], v[3:4], off offset:16
	global_load_b128 v[41:44], v[5:6], off
	global_load_b128 v[45:48], v[5:6], off offset:16
	;; [unrolled: 2-line block ×3, first 2 shown]
	s_mov_b32 s4, 0
	v_mad_i64_i32 v[61:62], null, s10, s5, v[1:2]
	s_clause 0x9
	global_load_b128 v[1:4], v[9:10], off
	global_load_b128 v[5:8], v[9:10], off offset:16
	global_load_b128 v[9:12], v[13:14], off
	global_load_b128 v[13:16], v[13:14], off offset:16
	;; [unrolled: 2-line block ×5, first 2 shown]
	s_mov_b32 s5, s4
	s_mov_b32 s6, s4
	;; [unrolled: 1-line block ×7, first 2 shown]
	v_and_b32_e32 v104, 0xe0, v0
	v_dual_mov_b32 v126, s11 :: v_dual_mov_b32 v125, s10
	v_dual_mov_b32 v124, s9 :: v_dual_mov_b32 v123, s8
	s_delay_alu instid0(VALU_DEP_3)
	v_add_nc_u32_e32 v111, s16, v104
	ds_load_b128 v[103:106], v115
	ds_load_b128 v[107:110], v115 offset:1024
	v_dual_mov_b32 v122, s7 :: v_dual_mov_b32 v121, s6
	v_mov_b32_e32 v120, s5
	v_or_b32_e32 v135, v111, v66
	ds_load_b128 v[111:114], v115 offset:2048
	ds_load_b128 v[115:118], v115 offset:3072
	v_mov_b32_e32 v119, s4
	s_waitcnt vmcnt(0) lgkmcnt(0)
	s_barrier
	v_or_b32_e32 v137, 2, v135
	v_or_b32_e32 v138, 4, v135
	;; [unrolled: 1-line block ×3, first 2 shown]
	v_cmp_gt_i32_e32 vcc_lo, s18, v135
	v_or_b32_e32 v140, 8, v135
	v_cmp_gt_i32_e64 s3, s18, v137
	v_or_b32_e32 v141, 10, v135
	v_cmp_gt_i32_e64 s4, s18, v138
	v_cmp_gt_i32_e64 s5, s18, v139
	v_or_b32_e32 v142, 12, v135
	v_or_b32_e32 v143, 14, v135
	v_cmp_gt_i32_e64 s6, s18, v140
	v_cmp_gt_i32_e64 s7, s18, v141
	v_or_b32_e32 v144, 16, v135
	v_or_b32_e32 v145, 18, v135
	v_cmp_gt_i32_e64 s8, s18, v142
	v_cmp_gt_i32_e64 s9, s18, v143
	buffer_gl0_inv
	v_cmp_gt_i32_e64 s10, s18, v144
	v_cmp_gt_i32_e64 s11, s18, v145
	v_wmma_f32_16x16x16_f16 v[127:134], v[71:78], v[103:110], v[119:126]
	v_wmma_f32_16x16x16_f16 v[119:126], v[79:86], v[103:110], v[119:126]
	v_or_b32_e32 v71, 20, v135
	v_or_b32_e32 v72, 22, v135
	s_delay_alu instid0(VALU_DEP_4)
	v_wmma_f32_16x16x16_f16 v[127:134], v[87:94], v[111:118], v[127:134]
	v_or_b32_e32 v73, 24, v135
	v_wmma_f32_16x16x16_f16 v[119:126], v[95:102], v[111:118], v[119:126]
	v_or_b32_e32 v74, 26, v135
	v_cmp_gt_i32_e64 s12, s18, v71
	v_dual_mul_f32 v83, s19, v128 :: v_dual_mul_f32 v84, s19, v127
	s_delay_alu instid0(VALU_DEP_4) | instskip(SKIP_1) | instid1(VALU_DEP_3)
	v_dual_mul_f32 v81, s19, v130 :: v_dual_mul_f32 v92, s19, v119
	v_mul_f32_e32 v82, s19, v129
	v_cndmask_b32_e64 v83, 0xff7fffff, v83, s3
	s_delay_alu instid0(VALU_DEP_4)
	v_cndmask_b32_e32 v84, 0xff7fffff, v84, vcc_lo
	v_dual_mul_f32 v79, s19, v132 :: v_dual_mul_f32 v90, s19, v121
	v_mul_f32_e32 v80, s19, v131
	v_cndmask_b32_e64 v82, 0xff7fffff, v82, s4
	v_cndmask_b32_e64 v81, 0xff7fffff, v81, s5
	v_max3_f32 v83, v84, 0xff7fffff, v83
	v_dual_mul_f32 v77, s19, v134 :: v_dual_mul_f32 v88, s19, v123
	v_mul_f32_e32 v78, s19, v133
	v_cndmask_b32_e64 v80, 0xff7fffff, v80, s6
	v_cndmask_b32_e64 v79, 0xff7fffff, v79, s7
	v_max3_f32 v81, v83, v82, v81
	v_mul_f32_e32 v91, s19, v120
	v_cndmask_b32_e64 v78, 0xff7fffff, v78, s8
	v_cndmask_b32_e64 v77, 0xff7fffff, v77, s9
	v_mul_f32_e32 v89, s19, v122
	v_max3_f32 v79, v81, v80, v79
	v_cndmask_b32_e64 v80, 0xff7fffff, v92, s10
	v_cndmask_b32_e64 v81, 0xff7fffff, v91, s11
	v_cmp_gt_i32_e64 s13, s18, v72
	v_or_b32_e32 v75, 28, v135
	v_max3_f32 v77, v79, v78, v77
	v_or_b32_e32 v76, 30, v135
	v_mul_f32_e32 v87, s19, v124
	v_cndmask_b32_e64 v71, 0xff7fffff, v90, s12
	v_cndmask_b32_e64 v72, 0xff7fffff, v89, s13
	v_max3_f32 v77, v77, v80, v81
	v_cmp_gt_i32_e64 s15, s18, v73
	v_cmp_gt_i32_e64 s16, s18, v74
	v_dual_mul_f32 v85, s19, v126 :: v_dual_mul_f32 v86, s19, v125
	s_delay_alu instid0(VALU_DEP_4) | instskip(NEXT) | instid1(VALU_DEP_4)
	v_max3_f32 v71, v77, v71, v72
	v_cndmask_b32_e64 v73, 0xff7fffff, v88, s15
	s_delay_alu instid0(VALU_DEP_4) | instskip(SKIP_2) | instid1(VALU_DEP_3)
	v_cndmask_b32_e64 v74, 0xff7fffff, v87, s16
	v_cmp_gt_i32_e64 s17, s18, v75
	v_cmp_gt_i32_e64 s18, s18, v76
	v_max3_f32 v71, v71, v73, v74
	s_delay_alu instid0(VALU_DEP_3) | instskip(NEXT) | instid1(VALU_DEP_3)
	v_cndmask_b32_e64 v72, 0xff7fffff, v86, s17
	v_cndmask_b32_e64 v75, 0xff7fffff, v85, s18
	v_lshlrev_b32_e32 v73, 2, v136
	s_delay_alu instid0(VALU_DEP_2) | instskip(SKIP_3) | instid1(VALU_DEP_1)
	v_max3_f32 v71, v71, v72, v75
	ds_bpermute_b32 v72, v73, v71
	s_waitcnt lgkmcnt(0)
	v_max_f32_e32 v72, v72, v72
	v_max_f32_e32 v71, v71, v72
	s_delay_alu instid0(VALU_DEP_1)
	v_fma_f32 v72, s19, v127, -v71
	v_fma_f32 v74, s19, v128, -v71
	v_fma_f32 v75, s19, v129, -v71
	v_fma_f32 v76, s19, v130, -v71
	v_fma_f32 v77, s19, v131, -v71
	v_mul_f32_e32 v72, 0x3fb8aa3b, v72
	v_mul_f32_e32 v74, 0x3fb8aa3b, v74
	v_fma_f32 v80, s19, v133, -v71
	s_delay_alu instid0(VALU_DEP_4) | instskip(NEXT) | instid1(VALU_DEP_4)
	v_dual_mul_f32 v76, 0x3fb8aa3b, v76 :: v_dual_mul_f32 v77, 0x3fb8aa3b, v77
	v_exp_f32_e32 v72, v72
	s_delay_alu instid0(VALU_DEP_3) | instskip(NEXT) | instid1(VALU_DEP_2)
	v_exp_f32_e32 v74, v74
	v_mul_f32_e32 v82, 0x3fb8aa3b, v80
	s_delay_alu instid0(VALU_DEP_2) | instskip(SKIP_1) | instid1(VALU_DEP_1)
	v_exp_f32_e32 v76, v76
	v_exp_f32_e32 v77, v77
	;; [unrolled: 1-line block ×3, first 2 shown]
	v_cndmask_b32_e32 v79, 0, v72, vcc_lo
	v_fma_f32 v72, s19, v132, -v71
	v_mul_f32_e32 v75, 0x3fb8aa3b, v75
	v_cndmask_b32_e64 v78, 0, v74, s3
	s_delay_alu instid0(TRANS32_DEP_3)
	v_cndmask_b32_e64 v80, 0, v76, s5
	v_add_f32_e32 v74, 0, v79
	v_mul_f32_e32 v72, 0x3fb8aa3b, v72
	v_exp_f32_e32 v75, v75
	v_cndmask_b32_e64 v83, 0, v77, s6
	v_cndmask_b32_e64 v85, 0, v84, s8
	v_add_f32_e32 v74, v74, v78
	v_exp_f32_e32 v72, v72
	s_mov_b32 s3, exec_lo
	s_waitcnt_depctr 0xfff
	v_cndmask_b32_e64 v81, 0, v75, s4
	v_cndmask_b32_e64 v82, 0, v72, s7
	s_delay_alu instid0(VALU_DEP_2) | instskip(NEXT) | instid1(VALU_DEP_1)
	v_add_f32_e32 v74, v74, v81
	v_add_f32_e32 v74, v74, v80
	s_delay_alu instid0(VALU_DEP_1) | instskip(SKIP_4) | instid1(VALU_DEP_4)
	v_add_f32_e32 v72, v74, v83
	v_fma_f32 v75, s19, v134, -v71
	v_fma_f32 v76, s19, v119, -v71
	;; [unrolled: 1-line block ×4, first 2 shown]
	v_dual_add_f32 v72, v72, v82 :: v_dual_mul_f32 v75, 0x3fb8aa3b, v75
	s_delay_alu instid0(VALU_DEP_3) | instskip(SKIP_1) | instid1(VALU_DEP_3)
	v_dual_mul_f32 v76, 0x3fb8aa3b, v76 :: v_dual_mul_f32 v77, 0x3fb8aa3b, v77
	v_fma_f32 v86, s19, v122, -v71
	v_add_f32_e32 v72, v72, v85
	s_delay_alu instid0(VALU_DEP_4) | instskip(NEXT) | instid1(VALU_DEP_3)
	v_exp_f32_e32 v75, v75
	v_exp_f32_e32 v76, v76
	;; [unrolled: 1-line block ×3, first 2 shown]
	v_mul_f32_e32 v86, 0x3fb8aa3b, v86
	s_delay_alu instid0(VALU_DEP_1) | instskip(SKIP_3) | instid1(TRANS32_DEP_3)
	v_exp_f32_e32 v88, v86
	v_cndmask_b32_e64 v84, 0, v75, s9
	v_fma_f32 v75, s19, v123, -v71
	v_mul_f32_e32 v74, 0x3fb8aa3b, v74
	v_cndmask_b32_e64 v87, 0, v76, s10
	v_fma_f32 v76, s19, v124, -v71
	s_delay_alu instid0(VALU_DEP_4) | instskip(NEXT) | instid1(VALU_DEP_4)
	v_dual_add_f32 v72, v72, v84 :: v_dual_mul_f32 v75, 0x3fb8aa3b, v75
	v_exp_f32_e32 v74, v74
	v_cndmask_b32_e64 v86, 0, v77, s11
	v_fma_f32 v77, s19, v125, -v71
	s_delay_alu instid0(VALU_DEP_3) | instskip(SKIP_3) | instid1(VALU_DEP_3)
	v_add_f32_e32 v72, v72, v87
	v_mul_f32_e32 v76, 0x3fb8aa3b, v76
	v_exp_f32_e32 v75, v75
	v_cndmask_b32_e64 v88, 0, v88, s13
	v_add_f32_e32 v72, v72, v86
	s_delay_alu instid0(VALU_DEP_3) | instskip(NEXT) | instid1(TRANS32_DEP_3)
	v_exp_f32_e32 v76, v76
	v_cndmask_b32_e64 v89, 0, v74, s12
	v_mul_f32_e32 v74, 0x3fb8aa3b, v77
	v_fma_f32 v77, s19, v126, -v71
	s_delay_alu instid0(VALU_DEP_3) | instskip(NEXT) | instid1(VALU_DEP_3)
	v_add_f32_e32 v72, v72, v89
	v_exp_f32_e32 v74, v74
	s_delay_alu instid0(TRANS32_DEP_3) | instskip(NEXT) | instid1(VALU_DEP_3)
	v_cndmask_b32_e64 v91, 0, v75, s15
	v_mul_f32_e32 v75, 0x3fb8aa3b, v77
	s_delay_alu instid0(TRANS32_DEP_2) | instskip(SKIP_1) | instid1(VALU_DEP_3)
	v_cndmask_b32_e64 v90, 0, v76, s16
	v_add_f32_e32 v72, v72, v88
	v_exp_f32_e32 v75, v75
	s_delay_alu instid0(VALU_DEP_1) | instskip(NEXT) | instid1(TRANS32_DEP_2)
	v_add_f32_e32 v72, v72, v91
	v_cndmask_b32_e64 v93, 0, v74, s17
	s_delay_alu instid0(VALU_DEP_2) | instskip(SKIP_3) | instid1(VALU_DEP_1)
	v_add_f32_e32 v72, v72, v90
	s_waitcnt_depctr 0xfff
	v_cndmask_b32_e64 v92, 0, v75, s18
	v_add_f32_e32 v72, v72, v93
	v_add_f32_e32 v72, v72, v92
	ds_bpermute_b32 v73, v73, v72
	v_cmpx_gt_u32_e32 16, v70
	s_cbranch_execz .LBB1193_12
; %bb.11:
	v_mul_u32_u24_e32 v70, 0x44, v69
	s_waitcnt lgkmcnt(0)
	v_add_f32_e32 v72, v72, v73
	s_delay_alu instid0(VALU_DEP_2) | instskip(NEXT) | instid1(VALU_DEP_1)
	v_lshl_add_u32 v70, v68, 2, v70
	v_add_nc_u32_e32 v70, 0x4000, v70
	ds_store_2addr_b32 v70, v71, v72 offset1:136
.LBB1193_12:
	s_or_b32 exec_lo, exec_lo, s3
	v_lshlrev_b32_e32 v70, 2, v68
	s_load_b32 s35, s[0:1], 0x94
	s_waitcnt lgkmcnt(0)
	s_barrier
	buffer_gl0_inv
	v_add_nc_u32_e32 v98, 0x4000, v70
	v_cmp_eq_u32_e32 vcc_lo, 1, v69
	v_cmp_eq_u32_e64 s3, 2, v69
	v_cmp_eq_u32_e64 s4, 3, v69
	;; [unrolled: 1-line block ×3, first 2 shown]
	ds_load_2addr_b32 v[70:71], v98 offset1:17
	ds_load_2addr_b32 v[72:73], v98 offset0:34 offset1:51
	ds_load_2addr_b32 v[74:75], v98 offset0:68 offset1:85
	;; [unrolled: 1-line block ×3, first 2 shown]
	v_cmp_eq_u32_e64 s6, 5, v69
	v_cmp_eq_u32_e64 s7, 7, v69
	s_waitcnt lgkmcnt(3)
	v_max3_f32 v76, v70, 0xff7fffff, v71
	s_waitcnt lgkmcnt(2)
	s_delay_alu instid0(VALU_DEP_1) | instskip(SKIP_1) | instid1(VALU_DEP_1)
	v_max3_f32 v76, v76, v72, v73
	s_waitcnt lgkmcnt(1)
	v_max3_f32 v76, v76, v74, v75
	s_waitcnt lgkmcnt(0)
	s_delay_alu instid0(VALU_DEP_1) | instskip(NEXT) | instid1(VALU_DEP_1)
	v_max3_f32 v76, v76, v94, v95
	v_sub_f32_e32 v77, v71, v76
	ds_load_2addr_b32 v[96:97], v98 offset0:136 offset1:153
	v_sub_f32_e32 v74, v74, v76
	v_sub_f32_e32 v70, v70, v76
	;; [unrolled: 1-line block ×3, first 2 shown]
	v_dual_sub_f32 v72, v72, v76 :: v_dual_mul_f32 v77, 0x3fb8aa3b, v77
	s_delay_alu instid0(VALU_DEP_4) | instskip(NEXT) | instid1(VALU_DEP_4)
	v_mul_f32_e32 v103, 0x3fb8aa3b, v74
	v_mul_f32_e32 v99, 0x3fb8aa3b, v70
	ds_load_2addr_b32 v[70:71], v98 offset0:170 offset1:187
	v_dual_mul_f32 v101, 0x3fb8aa3b, v72 :: v_dual_mul_f32 v94, 0x3fb8aa3b, v94
	v_exp_f32_e32 v102, v77
	v_exp_f32_e32 v99, v99
	s_delay_alu instid0(VALU_DEP_1) | instskip(NEXT) | instid1(VALU_DEP_1)
	v_exp_f32_e32 v101, v101
	v_exp_f32_e32 v94, v94
	s_waitcnt lgkmcnt(1)
	s_delay_alu instid0(TRANS32_DEP_3)
	v_fma_f32 v77, v99, v96, 0
	v_sub_f32_e32 v100, v73, v76
	ds_load_2addr_b32 v[72:73], v98 offset0:204 offset1:221
	v_fmac_f32_e32 v77, v102, v97
	v_exp_f32_e32 v97, v103
	s_waitcnt lgkmcnt(1)
	s_delay_alu instid0(VALU_DEP_1)
	v_dual_fmac_f32 v77, v101, v70 :: v_dual_sub_f32 v96, v75, v76
	ds_load_2addr_b32 v[74:75], v98 offset0:238 offset1:255
	v_sub_f32_e32 v70, v95, v76
	s_waitcnt lgkmcnt(0)
	s_barrier
	v_mul_f32_e32 v96, 0x3fb8aa3b, v96
	buffer_gl0_inv
	v_exp_f32_e32 v95, v96
	v_mul_f32_e32 v100, 0x3fb8aa3b, v100
	s_delay_alu instid0(VALU_DEP_1) | instskip(SKIP_3) | instid1(VALU_DEP_2)
	v_exp_f32_e32 v100, v100
	s_waitcnt_depctr 0xfff
	v_dual_fmac_f32 v77, v100, v71 :: v_dual_mul_f32 v70, 0x3fb8aa3b, v70
	v_cndmask_b32_e32 v71, v99, v102, vcc_lo
	v_fmac_f32_e32 v77, v97, v72
	s_delay_alu instid0(VALU_DEP_3) | instskip(NEXT) | instid1(VALU_DEP_1)
	v_exp_f32_e32 v96, v70
	v_fmac_f32_e32 v77, v95, v73
	s_delay_alu instid0(VALU_DEP_1) | instskip(SKIP_2) | instid1(VALU_DEP_1)
	v_fmac_f32_e32 v77, v94, v74
	s_waitcnt_depctr 0xfff
	v_fmac_f32_e32 v77, v96, v75
	v_add_f32_e32 v74, 0x358637bd, v77
	s_delay_alu instid0(VALU_DEP_1) | instskip(SKIP_1) | instid1(VALU_DEP_2)
	v_div_scale_f32 v98, null, v74, v74, 1.0
	v_div_scale_f32 v99, vcc_lo, 1.0, v74, 1.0
	v_rcp_f32_e32 v103, v98
	s_waitcnt_depctr 0xfff
	v_fma_f32 v70, -v98, v103, 1.0
	s_delay_alu instid0(VALU_DEP_1) | instskip(SKIP_2) | instid1(VALU_DEP_2)
	v_fmac_f32_e32 v103, v70, v103
	v_cndmask_b32_e64 v70, v71, v101, s3
	v_cmp_eq_u32_e64 s3, 6, v69
	v_cndmask_b32_e64 v71, v70, v100, s4
	s_delay_alu instid0(VALU_DEP_4) | instskip(NEXT) | instid1(VALU_DEP_2)
	v_dual_mul_f32 v101, v99, v103 :: v_dual_lshlrev_b32 v70, 2, v66
	v_cndmask_b32_e64 v71, v71, v97, s5
	s_delay_alu instid0(VALU_DEP_2) | instskip(NEXT) | instid1(VALU_DEP_3)
	v_or_b32_e32 v72, 1, v70
	v_fma_f32 v100, -v98, v101, v99
	v_cmp_eq_u32_e64 s4, 1, v70
	v_cmp_eq_u32_e64 s5, 2, v70
	v_cndmask_b32_e64 v95, v71, v95, s6
	v_or_b32_e32 v71, 3, v70
	v_fmac_f32_e32 v101, v100, v103
	v_cmp_eq_u32_e64 s9, 1, v72
	v_cmp_eq_u32_e64 s12, 2, v72
	v_cndmask_b32_e64 v94, v95, v94, s3
	v_cmp_eq_u32_e64 s11, 1, v71
	v_fma_f32 v97, -v98, v101, v99
	v_cmp_eq_u32_e64 s16, 2, v71
	v_cmp_eq_u32_e64 s13, 3, v72
	v_cndmask_b32_e64 v94, v94, v96, s7
	v_cmp_eq_u32_e64 s18, 3, v71
	v_div_fmas_f32 v95, v97, v103, v101
	v_cmp_eq_u32_e32 vcc_lo, 3, v70
	v_cmp_eq_u32_e64 s3, 4, v70
	v_cmp_eq_u32_e64 s19, 4, v72
	;; [unrolled: 1-line block ×3, first 2 shown]
	v_div_fixup_f32 v95, v95, v74, 1.0
	v_lshlrev_b32_e32 v73, 6, v68
	v_cmp_eq_u32_e64 s6, 5, v70
	v_cmp_eq_u32_e64 s20, 5, v72
	;; [unrolled: 1-line block ×3, first 2 shown]
	v_mul_f32_e32 v102, v94, v95
	v_lshl_or_b32 v75, v69, 11, v73
	v_or_b32_e32 v69, 2, v70
	v_cmp_eq_u32_e64 s25, 6, v72
	v_cmp_eq_u32_e64 s27, 6, v71
	v_fma_mixlo_f16 v94, v102, v79, 0
	v_fma_mixlo_f16 v95, v102, v81, 0
	;; [unrolled: 1-line block ×8, first 2 shown]
	v_lshl_or_b32 v74, v66, 4, v75
	v_fma_mixhi_f16 v94, v102, v78, 0
	v_fma_mixhi_f16 v95, v102, v80, 0
	;; [unrolled: 1-line block ×8, first 2 shown]
	ds_store_b128 v74, v[94:97]
	ds_store_b128 v74, v[98:101] offset:1024
	s_waitcnt lgkmcnt(0)
	s_barrier
	buffer_gl0_inv
	ds_load_b128 v[78:81], v75
	ds_load_b128 v[82:85], v75 offset:16
	ds_load_b128 v[86:89], v75 offset:1024
	ds_load_b128 v[90:93], v75 offset:1040
	v_cmp_eq_u32_e64 s10, 1, v69
	v_cmp_eq_u32_e64 s15, 2, v69
	;; [unrolled: 1-line block ×11, first 2 shown]
	s_waitcnt lgkmcnt(3)
	v_lshrrev_b32_e32 v94, 16, v78
	s_waitcnt lgkmcnt(2)
	v_lshrrev_b32_e32 v98, 16, v82
	;; [unrolled: 2-line block ×4, first 2 shown]
	v_lshrrev_b32_e32 v95, 16, v79
	v_cndmask_b32_e64 v110, v78, v94, s4
	v_cndmask_b32_e64 v111, v82, v98, s4
	;; [unrolled: 1-line block ×8, first 2 shown]
	v_lshrrev_b32_e32 v99, 16, v83
	v_cndmask_b32_e64 v94, v86, v102, s4
	v_cndmask_b32_e64 v98, v90, v106, s4
	;; [unrolled: 1-line block ×15, first 2 shown]
	v_lshrrev_b32_e32 v103, 16, v87
	v_lshrrev_b32_e32 v107, 16, v91
	v_cndmask_b32_e64 v113, v115, v83, s15
	v_cndmask_b32_e64 v82, v94, v87, s5
	;; [unrolled: 1-line block ×7, first 2 shown]
	v_cndmask_b32_e32 v90, v102, v95, vcc_lo
	v_cndmask_b32_e32 v102, v106, v99, vcc_lo
	v_cndmask_b32_e64 v106, v110, v95, s13
	v_cndmask_b32_e64 v110, v111, v99, s13
	;; [unrolled: 1-line block ×4, first 2 shown]
	v_lshrrev_b32_e32 v96, 16, v80
	v_lshrrev_b32_e32 v100, 16, v84
	v_cndmask_b32_e64 v111, v112, v95, s17
	v_cndmask_b32_e64 v112, v113, v99, s17
	v_cndmask_b32_e32 v82, v82, v103, vcc_lo
	v_cndmask_b32_e32 v83, v83, v107, vcc_lo
	v_cndmask_b32_e64 v94, v94, v103, s13
	v_cndmask_b32_e64 v90, v90, v80, s3
	;; [unrolled: 1-line block ×7, first 2 shown]
	v_lshrrev_b32_e32 v104, 16, v88
	v_cndmask_b32_e64 v106, v111, v80, s21
	v_cndmask_b32_e64 v110, v112, v84, s21
	;; [unrolled: 1-line block ×11, first 2 shown]
	v_lshrrev_b32_e32 v97, 16, v81
	v_lshrrev_b32_e32 v101, 16, v85
	v_cndmask_b32_e64 v99, v106, v96, s23
	v_cndmask_b32_e64 v102, v110, v100, s23
	;; [unrolled: 1-line block ×7, first 2 shown]
	v_lshrrev_b32_e32 v105, 16, v89
	v_cndmask_b32_e64 v80, v80, v104, s6
	v_cndmask_b32_e64 v84, v84, v81, s7
	;; [unrolled: 1-line block ×16, first 2 shown]
	v_perm_b32 v81, v79, v78, 0x5040100
	v_perm_b32 v79, v95, v85, 0x5040100
	v_cndmask_b32_e64 v78, v119, v91, s15
	v_cndmask_b32_e64 v85, v117, v91, s12
	v_cndmask_b32_e64 v96, v80, v105, s8
	v_perm_b32 v80, v94, v90, 0x5040100
	v_cndmask_b32_e64 v90, v98, v103, s17
	v_cndmask_b32_e64 v86, v86, v103, s18
	;; [unrolled: 1-line block ×5, first 2 shown]
	v_lshrrev_b32_e32 v108, 16, v92
	v_cndmask_b32_e64 v90, v90, v88, s21
	v_cndmask_b32_e64 v86, v86, v88, s22
	;; [unrolled: 1-line block ×11, first 2 shown]
	v_lshrrev_b32_e32 v109, 16, v93
	v_cndmask_b32_e64 v82, v82, v93, s7
	v_cndmask_b32_e64 v88, v88, v89, s26
	;; [unrolled: 1-line block ×12, first 2 shown]
	v_perm_b32 v78, v84, v83, 0x5040100
	v_perm_b32 v85, v87, v86, 0x5040100
	v_perm_b32 v84, v89, v88, 0x5040100
	v_perm_b32 v83, v90, v97, 0x5040100
	v_perm_b32 v82, v82, v96, 0x5040100
	s_mul_i32 s8, s33, 12
	s_mov_b32 s3, exec_lo
	ds_store_b128 v74, v[78:81]
	ds_store_b128 v74, v[82:85] offset:1024
	v_cmpx_gt_u32_e32 12, v0
	s_cbranch_execz .LBB1193_14
; %bb.13:
	s_mul_i32 s4, s8, s34
	s_delay_alu instid0(SALU_CYCLE_1) | instskip(SKIP_1) | instid1(VALU_DEP_1)
	v_add3_u32 v68, s4, s31, v68
	s_load_b128 s[4:7], s[0:1], 0x58
	v_mad_u64_u32 v[78:79], null, v68, s35, s[14:15]
	s_delay_alu instid0(VALU_DEP_1) | instskip(NEXT) | instid1(VALU_DEP_1)
	v_ashrrev_i32_e32 v79, 31, v78
	v_lshlrev_b64 v[78:79], 2, v[78:79]
	s_waitcnt lgkmcnt(0)
	s_delay_alu instid0(VALU_DEP_1) | instskip(NEXT) | instid1(VALU_DEP_2)
	v_add_co_u32 v80, vcc_lo, s6, v78
	v_add_co_ci_u32_e32 v81, vcc_lo, s7, v79, vcc_lo
	v_add_co_u32 v78, vcc_lo, s4, v78
	v_add_co_ci_u32_e32 v79, vcc_lo, s5, v79, vcc_lo
	global_store_b32 v[80:81], v76, off
	global_store_b32 v[78:79], v77, off
.LBB1193_14:
	s_or_b32 exec_lo, exec_lo, s3
	s_waitcnt lgkmcnt(0)
	s_waitcnt_vscnt null, 0x0
	s_barrier
	buffer_gl0_inv
	ds_load_b128 v[84:87], v73
	ds_load_b128 v[88:91], v73 offset:16
	ds_load_b128 v[96:99], v73 offset:2064
	;; [unrolled: 1-line block ×5, first 2 shown]
	v_cmp_eq_u32_e32 vcc_lo, 1, v70
	v_mov_b32_e32 v76, 0
	ds_load_b128 v[112:115], v73 offset:6160
	ds_load_b128 v[108:111], v73 offset:6144
	;; [unrolled: 1-line block ×4, first 2 shown]
	v_cmp_eq_u32_e64 s4, 1, v69
	v_cmp_eq_u32_e64 s3, 1, v72
	;; [unrolled: 1-line block ×3, first 2 shown]
	v_mov_b32_e32 v77, v76
	v_mov_b32_e32 v78, v76
	;; [unrolled: 1-line block ×7, first 2 shown]
	v_cmp_eq_u32_e64 s6, 3, v72
	v_cmp_eq_u32_e64 s7, 7, v72
	s_waitcnt lgkmcnt(8)
	s_delay_alu instid0(VALU_DEP_3)
	v_wmma_f32_16x16x16_f16 v[76:83], v[49:56], v[84:91], v[76:83]
	ds_load_b128 v[53:56], v73 offset:10256
	ds_load_b128 v[49:52], v73 offset:10240
	s_waitcnt lgkmcnt(8)
	v_wmma_f32_16x16x16_f16 v[76:83], v[41:48], v[92:99], v[76:83]
	ds_load_b128 v[45:48], v73 offset:12304
	ds_load_b128 v[41:44], v73 offset:12288
	s_waitcnt lgkmcnt(8)
	;; [unrolled: 4-line block ×3, first 2 shown]
	s_barrier
	buffer_gl0_inv
	v_wmma_f32_16x16x16_f16 v[76:83], v[1:8], v[108:115], v[76:83]
	s_delay_alu instid0(VALU_DEP_1) | instskip(NEXT) | instid1(VALU_DEP_1)
	v_wmma_f32_16x16x16_f16 v[76:83], v[9:16], v[116:123], v[76:83]
	v_wmma_f32_16x16x16_f16 v[76:83], v[17:24], v[49:56], v[76:83]
	s_delay_alu instid0(VALU_DEP_1) | instskip(NEXT) | instid1(VALU_DEP_1)
	v_wmma_f32_16x16x16_f16 v[76:83], v[25:32], v[41:48], v[76:83]
	v_wmma_f32_16x16x16_f16 v[76:83], v[57:64], v[33:40], v[76:83]
	s_delay_alu instid0(VALU_DEP_1) | instskip(NEXT) | instid1(VALU_DEP_2)
	v_cvt_f16_f32_e32 v1, v76
	v_cvt_f16_f32_e32 v2, v77
	s_delay_alu instid0(VALU_DEP_3) | instskip(NEXT) | instid1(VALU_DEP_4)
	v_cvt_f16_f32_e32 v3, v78
	v_cvt_f16_f32_e32 v4, v79
	v_cvt_f16_f32_e32 v5, v80
	v_cvt_f16_f32_e32 v6, v81
	v_cvt_f16_f32_e32 v7, v82
	v_cvt_f16_f32_e32 v8, v83
	v_pack_b32_f16 v1, v1, v2
	v_pack_b32_f16 v2, v3, v4
	;; [unrolled: 1-line block ×3, first 2 shown]
	s_delay_alu instid0(VALU_DEP_4)
	v_pack_b32_f16 v4, v7, v8
	ds_store_b128 v74, v[1:4]
	s_waitcnt lgkmcnt(0)
	s_barrier
	buffer_gl0_inv
	ds_load_b128 v[1:4], v75
	ds_load_b128 v[5:8], v75 offset:16
	s_waitcnt lgkmcnt(1)
	v_lshrrev_b32_e32 v9, 16, v1
	s_waitcnt lgkmcnt(0)
	v_lshrrev_b32_e32 v13, 16, v5
	v_lshrrev_b32_e32 v10, 16, v2
	;; [unrolled: 1-line block ×4, first 2 shown]
	v_cndmask_b32_e32 v17, v1, v9, vcc_lo
	v_cndmask_b32_e32 v18, v5, v13, vcc_lo
	v_cndmask_b32_e64 v21, v1, v9, s4
	v_cmp_eq_u32_e32 vcc_lo, 1, v71
	v_cndmask_b32_e64 v22, v5, v13, s4
	v_cmp_eq_u32_e64 s4, 2, v70
	v_cndmask_b32_e64 v19, v1, v9, s3
	v_cndmask_b32_e64 v20, v5, v13, s3
	v_cndmask_b32_e32 v1, v1, v9, vcc_lo
	v_cmp_eq_u32_e64 s3, 2, v71
	v_cndmask_b32_e32 v5, v5, v13, vcc_lo
	v_cndmask_b32_e64 v9, v17, v2, s4
	v_cmp_eq_u32_e32 vcc_lo, 3, v70
	v_cndmask_b32_e64 v13, v18, v6, s4
	v_cmp_eq_u32_e64 s4, 2, v69
	v_cndmask_b32_e64 v17, v19, v2, s5
	v_cndmask_b32_e64 v18, v20, v6, s5
	v_cmp_eq_u32_e64 s5, 3, v69
	v_cndmask_b32_e64 v1, v1, v2, s3
	v_cndmask_b32_e64 v19, v21, v2, s4
	;; [unrolled: 1-line block ×4, first 2 shown]
	v_cndmask_b32_e32 v5, v9, v10, vcc_lo
	v_cndmask_b32_e32 v6, v13, v14, vcc_lo
	v_cmp_eq_u32_e32 vcc_lo, 3, v71
	v_cndmask_b32_e64 v9, v17, v10, s6
	v_cndmask_b32_e64 v13, v18, v14, s6
	;; [unrolled: 1-line block ×3, first 2 shown]
	v_cmp_eq_u32_e64 s4, 4, v70
	v_cndmask_b32_e32 v1, v1, v10, vcc_lo
	v_cndmask_b32_e32 v2, v2, v14, vcc_lo
	v_cmp_eq_u32_e32 vcc_lo, 4, v72
	v_lshrrev_b32_e32 v15, 16, v7
	v_lshrrev_b32_e32 v16, 16, v8
	v_cndmask_b32_e64 v17, v19, v10, s5
	v_cmp_eq_u32_e64 s3, 4, v71
	v_cndmask_b32_e64 v5, v5, v3, s4
	v_cndmask_b32_e64 v6, v6, v7, s4
	v_cndmask_b32_e32 v9, v9, v3, vcc_lo
	v_cmp_eq_u32_e64 s4, 5, v72
	v_cndmask_b32_e32 v10, v13, v7, vcc_lo
	v_cmp_eq_u32_e32 vcc_lo, 4, v69
	v_cmp_eq_u32_e64 s5, 5, v70
	v_cndmask_b32_e64 v2, v2, v7, s3
	v_cndmask_b32_e64 v9, v9, v11, s4
	;; [unrolled: 1-line block ×3, first 2 shown]
	v_cndmask_b32_e32 v13, v17, v3, vcc_lo
	v_cmp_eq_u32_e64 s4, 5, v69
	v_cndmask_b32_e32 v14, v18, v7, vcc_lo
	v_cndmask_b32_e64 v1, v1, v3, s3
	v_cmp_eq_u32_e32 vcc_lo, 5, v71
	v_lshrrev_b32_e32 v12, 16, v4
	v_cndmask_b32_e64 v13, v13, v11, s4
	v_cndmask_b32_e64 v3, v14, v15, s4
	v_cmp_eq_u32_e64 s4, 6, v71
	v_cndmask_b32_e32 v1, v1, v11, vcc_lo
	v_cndmask_b32_e64 v5, v5, v11, s5
	v_cmp_eq_u32_e64 s6, 6, v70
	v_cndmask_b32_e64 v6, v6, v15, s5
	v_cmp_eq_u32_e64 s5, 6, v72
	v_cmp_eq_u32_e64 s3, 6, v69
	v_cndmask_b32_e64 v1, v1, v4, s4
	v_cndmask_b32_e32 v2, v2, v15, vcc_lo
	v_cmp_eq_u32_e32 vcc_lo, 7, v71
	v_cndmask_b32_e64 v5, v5, v4, s6
	v_cndmask_b32_e64 v9, v9, v4, s5
	v_cndmask_b32_e64 v6, v6, v8, s6
	v_cmp_eq_u32_e64 s6, 7, v70
	v_cndmask_b32_e32 v1, v1, v12, vcc_lo
	v_cndmask_b32_e64 v7, v13, v4, s3
	v_cndmask_b32_e64 v3, v3, v8, s3
	;; [unrolled: 1-line block ×3, first 2 shown]
	v_cmp_eq_u32_e64 s3, 7, v69
	v_cndmask_b32_e64 v4, v10, v8, s5
	v_cndmask_b32_e64 v5, v5, v12, s6
	;; [unrolled: 1-line block ×3, first 2 shown]
	v_cndmask_b32_e32 v2, v2, v16, vcc_lo
	v_cndmask_b32_e64 v7, v7, v12, s3
	v_cndmask_b32_e64 v3, v3, v16, s3
	;; [unrolled: 1-line block ×4, first 2 shown]
	v_cmp_gt_u32_e32 vcc_lo, 32, v0
	v_perm_b32 v4, v2, v1, 0x5040100
	v_perm_b32 v3, v3, v7, 0x5040100
	;; [unrolled: 1-line block ×4, first 2 shown]
	s_and_b32 s2, vcc_lo, s2
	ds_store_b128 v74, v[1:4]
	s_waitcnt lgkmcnt(0)
	s_barrier
	buffer_gl0_inv
	s_and_saveexec_b32 s3, s2
	s_cbranch_execz .LBB1193_2
; %bb.15:
	s_load_b64 s[0:1], s[0:1], 0x68
	v_lshlrev_b32_e32 v0, 10, v0
	s_lshl_b32 s4, s35, 6
	v_or_b32_e32 v3, s31, v66
	s_mul_i32 s2, s4, s34
	v_lshlrev_b32_e32 v1, 4, v67
	s_mul_i32 s2, s2, s8
	v_lshlrev_b32_e32 v2, 6, v66
	v_and_b32_e32 v0, 0x3800, v0
	s_ashr_i32 s3, s2, 31
	v_mul_lo_u32 v4, v3, s4
	s_lshl_b64 s[2:3], s[2:3], 1
	s_delay_alu instid0(VALU_DEP_2) | instskip(NEXT) | instid1(VALU_DEP_2)
	v_or3_b32 v16, v0, v1, v2
	v_ashrrev_i32_e32 v5, 31, v4
	ds_load_b128 v[0:3], v16
	s_waitcnt lgkmcnt(0)
	s_add_u32 s2, s0, s2
	s_addc_u32 s3, s1, s3
	s_lshl_b32 s0, s14, 6
	v_lshlrev_b64 v[5:6], 1, v[4:5]
	s_ashr_i32 s1, s0, 31
	s_delay_alu instid0(SALU_CYCLE_1) | instskip(NEXT) | instid1(SALU_CYCLE_1)
	s_lshl_b64 s[0:1], s[0:1], 1
	s_add_u32 s0, s2, s0
	s_addc_u32 s1, s3, s1
	s_lshl_b32 s2, s35, 7
	v_add_co_u32 v30, s0, s0, v65
	v_add_nc_u32_e32 v8, s2, v4
	v_add_co_ci_u32_e64 v31, null, s1, 0, s0
	s_delay_alu instid0(VALU_DEP_3) | instskip(NEXT) | instid1(VALU_DEP_3)
	v_add_co_u32 v12, vcc_lo, v30, v5
	v_add_nc_u32_e32 v10, s2, v8
	v_ashrrev_i32_e32 v9, 31, v8
	s_delay_alu instid0(VALU_DEP_4)
	v_add_co_ci_u32_e32 v13, vcc_lo, v31, v6, vcc_lo
	ds_load_b128 v[4:7], v16 offset:128
	v_ashrrev_i32_e32 v11, 31, v10
	v_lshlrev_b64 v[8:9], 1, v[8:9]
	v_add_nc_u32_e32 v14, s2, v10
	global_store_b128 v[12:13], v[0:3], off
	v_lshlrev_b64 v[0:1], 1, v[10:11]
	v_ashrrev_i32_e32 v15, 31, v14
	v_add_co_u32 v22, vcc_lo, v30, v8
	v_add_nc_u32_e32 v20, s2, v14
	v_add_co_ci_u32_e32 v23, vcc_lo, v31, v9, vcc_lo
	v_add_co_u32 v26, vcc_lo, v30, v0
	v_lshlrev_b64 v[24:25], 1, v[14:15]
	v_add_co_ci_u32_e32 v27, vcc_lo, v31, v1, vcc_lo
	ds_load_b128 v[0:3], v16 offset:256
	ds_load_b128 v[8:11], v16 offset:384
	;; [unrolled: 1-line block ×4, first 2 shown]
	v_add_nc_u32_e32 v28, s2, v20
	v_ashrrev_i32_e32 v21, 31, v20
	v_add_co_u32 v24, vcc_lo, v30, v24
	v_add_co_ci_u32_e32 v25, vcc_lo, v31, v25, vcc_lo
	s_delay_alu instid0(VALU_DEP_4) | instskip(NEXT) | instid1(VALU_DEP_4)
	v_ashrrev_i32_e32 v29, 31, v28
	v_lshlrev_b64 v[20:21], 1, v[20:21]
	s_delay_alu instid0(VALU_DEP_2) | instskip(NEXT) | instid1(VALU_DEP_2)
	v_lshlrev_b64 v[28:29], 1, v[28:29]
	v_add_co_u32 v20, vcc_lo, v30, v20
	s_delay_alu instid0(VALU_DEP_3) | instskip(NEXT) | instid1(VALU_DEP_3)
	v_add_co_ci_u32_e32 v21, vcc_lo, v31, v21, vcc_lo
	v_add_co_u32 v28, vcc_lo, v30, v28
	s_delay_alu instid0(VALU_DEP_4)
	v_add_co_ci_u32_e32 v29, vcc_lo, v31, v29, vcc_lo
	s_waitcnt lgkmcnt(4)
	global_store_b128 v[22:23], v[4:7], off
	s_waitcnt lgkmcnt(3)
	global_store_b128 v[26:27], v[0:3], off
	;; [unrolled: 2-line block ×5, first 2 shown]
	s_nop 0
	s_sendmsg sendmsg(MSG_DEALLOC_VGPRS)
	s_endpgm
	.section	.rodata,"a",@progbits
	.p2align	6, 0x0
	.amdhsa_kernel _Z39paged_attention_ll4mi_QKV_mfma16_kernelIDF16_hLN4vllm18Fp8KVCacheDataTypeE1EDF16_Li32ELi64ELi256ELb1ELi12EL8MFMAType0EEvPKT_PKT0_S8_ifPKiSA_SA_iPKfiiiPfSD_PS3_PT2_iSC_SC_
		.amdhsa_group_segment_fixed_size 17472
		.amdhsa_private_segment_fixed_size 0
		.amdhsa_kernarg_size 400
		.amdhsa_user_sgpr_count 13
		.amdhsa_user_sgpr_dispatch_ptr 0
		.amdhsa_user_sgpr_queue_ptr 0
		.amdhsa_user_sgpr_kernarg_segment_ptr 1
		.amdhsa_user_sgpr_dispatch_id 0
		.amdhsa_user_sgpr_private_segment_size 0
		.amdhsa_wavefront_size32 1
		.amdhsa_uses_dynamic_stack 0
		.amdhsa_enable_private_segment 0
		.amdhsa_system_sgpr_workgroup_id_x 1
		.amdhsa_system_sgpr_workgroup_id_y 1
		.amdhsa_system_sgpr_workgroup_id_z 1
		.amdhsa_system_sgpr_workgroup_info 0
		.amdhsa_system_vgpr_workitem_id 0
		.amdhsa_next_free_vgpr 146
		.amdhsa_next_free_sgpr 38
		.amdhsa_reserve_vcc 1
		.amdhsa_float_round_mode_32 0
		.amdhsa_float_round_mode_16_64 0
		.amdhsa_float_denorm_mode_32 3
		.amdhsa_float_denorm_mode_16_64 3
		.amdhsa_dx10_clamp 1
		.amdhsa_ieee_mode 1
		.amdhsa_fp16_overflow 0
		.amdhsa_workgroup_processor_mode 1
		.amdhsa_memory_ordered 1
		.amdhsa_forward_progress 0
		.amdhsa_shared_vgpr_count 0
		.amdhsa_exception_fp_ieee_invalid_op 0
		.amdhsa_exception_fp_denorm_src 0
		.amdhsa_exception_fp_ieee_div_zero 0
		.amdhsa_exception_fp_ieee_overflow 0
		.amdhsa_exception_fp_ieee_underflow 0
		.amdhsa_exception_fp_ieee_inexact 0
		.amdhsa_exception_int_div_zero 0
	.end_amdhsa_kernel
	.section	.text._Z39paged_attention_ll4mi_QKV_mfma16_kernelIDF16_hLN4vllm18Fp8KVCacheDataTypeE1EDF16_Li32ELi64ELi256ELb1ELi12EL8MFMAType0EEvPKT_PKT0_S8_ifPKiSA_SA_iPKfiiiPfSD_PS3_PT2_iSC_SC_,"axG",@progbits,_Z39paged_attention_ll4mi_QKV_mfma16_kernelIDF16_hLN4vllm18Fp8KVCacheDataTypeE1EDF16_Li32ELi64ELi256ELb1ELi12EL8MFMAType0EEvPKT_PKT0_S8_ifPKiSA_SA_iPKfiiiPfSD_PS3_PT2_iSC_SC_,comdat
.Lfunc_end1193:
	.size	_Z39paged_attention_ll4mi_QKV_mfma16_kernelIDF16_hLN4vllm18Fp8KVCacheDataTypeE1EDF16_Li32ELi64ELi256ELb1ELi12EL8MFMAType0EEvPKT_PKT0_S8_ifPKiSA_SA_iPKfiiiPfSD_PS3_PT2_iSC_SC_, .Lfunc_end1193-_Z39paged_attention_ll4mi_QKV_mfma16_kernelIDF16_hLN4vllm18Fp8KVCacheDataTypeE1EDF16_Li32ELi64ELi256ELb1ELi12EL8MFMAType0EEvPKT_PKT0_S8_ifPKiSA_SA_iPKfiiiPfSD_PS3_PT2_iSC_SC_
                                        ; -- End function
	.section	.AMDGPU.csdata,"",@progbits
; Kernel info:
; codeLenInByte = 6596
; NumSgprs: 40
; NumVgprs: 146
; ScratchSize: 0
; MemoryBound: 0
; FloatMode: 240
; IeeeMode: 1
; LDSByteSize: 17472 bytes/workgroup (compile time only)
; SGPRBlocks: 4
; VGPRBlocks: 18
; NumSGPRsForWavesPerEU: 40
; NumVGPRsForWavesPerEU: 146
; Occupancy: 9
; WaveLimiterHint : 1
; COMPUTE_PGM_RSRC2:SCRATCH_EN: 0
; COMPUTE_PGM_RSRC2:USER_SGPR: 13
; COMPUTE_PGM_RSRC2:TRAP_HANDLER: 0
; COMPUTE_PGM_RSRC2:TGID_X_EN: 1
; COMPUTE_PGM_RSRC2:TGID_Y_EN: 1
; COMPUTE_PGM_RSRC2:TGID_Z_EN: 1
; COMPUTE_PGM_RSRC2:TIDIG_COMP_CNT: 0
	.section	.text._Z39paged_attention_ll4mi_QKV_mfma16_kernelIDF16_hLN4vllm18Fp8KVCacheDataTypeE1EDF16_Li32ELi64ELi256ELb1ELi13EL8MFMAType0EEvPKT_PKT0_S8_ifPKiSA_SA_iPKfiiiPfSD_PS3_PT2_iSC_SC_,"axG",@progbits,_Z39paged_attention_ll4mi_QKV_mfma16_kernelIDF16_hLN4vllm18Fp8KVCacheDataTypeE1EDF16_Li32ELi64ELi256ELb1ELi13EL8MFMAType0EEvPKT_PKT0_S8_ifPKiSA_SA_iPKfiiiPfSD_PS3_PT2_iSC_SC_,comdat
	.protected	_Z39paged_attention_ll4mi_QKV_mfma16_kernelIDF16_hLN4vllm18Fp8KVCacheDataTypeE1EDF16_Li32ELi64ELi256ELb1ELi13EL8MFMAType0EEvPKT_PKT0_S8_ifPKiSA_SA_iPKfiiiPfSD_PS3_PT2_iSC_SC_ ; -- Begin function _Z39paged_attention_ll4mi_QKV_mfma16_kernelIDF16_hLN4vllm18Fp8KVCacheDataTypeE1EDF16_Li32ELi64ELi256ELb1ELi13EL8MFMAType0EEvPKT_PKT0_S8_ifPKiSA_SA_iPKfiiiPfSD_PS3_PT2_iSC_SC_
	.globl	_Z39paged_attention_ll4mi_QKV_mfma16_kernelIDF16_hLN4vllm18Fp8KVCacheDataTypeE1EDF16_Li32ELi64ELi256ELb1ELi13EL8MFMAType0EEvPKT_PKT0_S8_ifPKiSA_SA_iPKfiiiPfSD_PS3_PT2_iSC_SC_
	.p2align	8
	.type	_Z39paged_attention_ll4mi_QKV_mfma16_kernelIDF16_hLN4vllm18Fp8KVCacheDataTypeE1EDF16_Li32ELi64ELi256ELb1ELi13EL8MFMAType0EEvPKT_PKT0_S8_ifPKiSA_SA_iPKfiiiPfSD_PS3_PT2_iSC_SC_,@function
_Z39paged_attention_ll4mi_QKV_mfma16_kernelIDF16_hLN4vllm18Fp8KVCacheDataTypeE1EDF16_Li32ELi64ELi256ELb1ELi13EL8MFMAType0EEvPKT_PKT0_S8_ifPKiSA_SA_iPKfiiiPfSD_PS3_PT2_iSC_SC_: ; @_Z39paged_attention_ll4mi_QKV_mfma16_kernelIDF16_hLN4vllm18Fp8KVCacheDataTypeE1EDF16_Li32ELi64ELi256ELb1ELi13EL8MFMAType0EEvPKT_PKT0_S8_ifPKiSA_SA_iPKfiiiPfSD_PS3_PT2_iSC_SC_
; %bb.0:
	s_load_b64 s[2:3], s[0:1], 0x30
	s_mov_b32 s34, s13
	s_waitcnt lgkmcnt(0)
	s_cmp_lg_u64 s[2:3], 0
	s_cselect_b32 s6, -1, 0
	s_ashr_i32 s35, s13, 31
	s_cmp_eq_u64 s[2:3], 0
	s_cbranch_scc1 .LBB1194_3
; %bb.1:
	s_lshl_b64 s[4:5], s[34:35], 2
	s_delay_alu instid0(SALU_CYCLE_1) | instskip(SKIP_4) | instid1(SALU_CYCLE_1)
	s_add_u32 s4, s2, s4
	s_addc_u32 s5, s3, s5
	s_load_b64 s[4:5], s[4:5], 0x0
	s_waitcnt lgkmcnt(0)
	s_sub_i32 s4, s5, s4
	s_cmp_eq_u32 s4, 1
	s_cselect_b32 s4, -1, 0
	s_delay_alu instid0(SALU_CYCLE_1)
	s_and_not1_b32 vcc_lo, exec_lo, s4
	s_cbranch_vccz .LBB1194_4
.LBB1194_2:
	s_nop 0
	s_sendmsg sendmsg(MSG_DEALLOC_VGPRS)
	s_endpgm
.LBB1194_3:
.LBB1194_4:
	s_load_b64 s[8:9], s[0:1], 0x28
	s_lshl_b64 s[4:5], s[34:35], 2
	s_waitcnt lgkmcnt(0)
	s_add_u32 s8, s8, s4
	s_addc_u32 s9, s9, s5
	s_lshl_b32 s16, s14, 8
	s_load_b32 s18, s[8:9], 0x0
	s_waitcnt lgkmcnt(0)
	s_cmp_ge_i32 s16, s18
	s_cbranch_scc1 .LBB1194_2
; %bb.5:
	s_clause 0x1
	s_load_b128 s[8:11], s[0:1], 0x8
	s_load_b64 s[12:13], s[0:1], 0x20
	s_and_not1_b32 vcc_lo, exec_lo, s6
	s_cbranch_vccnz .LBB1194_7
; %bb.6:
	s_add_u32 s2, s2, s4
	s_addc_u32 s3, s3, s5
	s_load_b32 s3, s[2:3], 0x0
	s_branch .LBB1194_8
.LBB1194_7:
	s_mov_b32 s3, s34
.LBB1194_8:
	s_load_b128 s[4:7], s[0:1], 0x48
	v_lshrrev_b32_e32 v69, 5, v0
	v_bfe_u32 v66, v0, 4, 1
	v_and_b32_e32 v68, 15, v0
	v_and_b32_e32 v70, 31, v0
	;; [unrolled: 1-line block ×3, first 2 shown]
	s_mul_i32 s33, s15, 13
	v_lshl_or_b32 v1, v69, 1, v66
	v_lshlrev_b32_e32 v2, 3, v68
	v_cmp_gt_u32_e64 s2, 8, v68
	s_delay_alu instid0(VALU_DEP_3) | instskip(NEXT) | instid1(VALU_DEP_3)
	v_cmp_gt_u32_e32 vcc_lo, 13, v1
	v_lshlrev_b32_e32 v65, 1, v2
	s_delay_alu instid0(VALU_DEP_3)
	s_and_b32 s17, s2, vcc_lo
	s_waitcnt lgkmcnt(0)
	s_and_saveexec_b32 s7, s17
	s_cbranch_execz .LBB1194_10
; %bb.9:
	s_load_b64 s[20:21], s[0:1], 0x0
	v_add_lshl_u32 v2, v1, s33, 6
	s_mul_hi_i32 s23, s3, s4
	s_mul_i32 s22, s3, s4
	v_lshlrev_b32_e32 v6, 10, v68
	s_lshl_b64 s[22:23], s[22:23], 1
	v_ashrrev_i32_e32 v3, 31, v2
	v_lshlrev_b32_e32 v1, 6, v1
	v_lshlrev_b32_e32 v7, 10, v67
	v_and_b32_e32 v6, 0x3800, v6
	s_delay_alu instid0(VALU_DEP_4) | instskip(NEXT) | instid1(VALU_DEP_2)
	v_lshlrev_b64 v[2:3], 1, v[2:3]
	v_or3_b32 v1, v6, v7, v1
	s_waitcnt lgkmcnt(0)
	s_add_u32 s3, s20, s22
	s_addc_u32 s4, s21, s23
	s_delay_alu instid0(VALU_DEP_2) | instskip(SKIP_1) | instid1(VALU_DEP_2)
	v_add_co_u32 v2, vcc_lo, s3, v2
	v_add_co_ci_u32_e32 v3, vcc_lo, s4, v3, vcc_lo
	v_add_co_u32 v2, vcc_lo, v2, v65
	s_delay_alu instid0(VALU_DEP_2)
	v_add_co_ci_u32_e32 v3, vcc_lo, 0, v3, vcc_lo
	global_load_b128 v[2:5], v[2:3], off
	s_waitcnt vmcnt(0)
	ds_store_b128 v1, v[2:5]
.LBB1194_10:
	s_or_b32 exec_lo, exec_lo, s7
	v_and_b32_e32 v1, 0xef, v0
	s_add_i32 s3, s18, 31
	s_clause 0x1
	s_load_b32 s4, s[0:1], 0x38
	s_load_b32 s35, s[0:1], 0x98
	s_ashr_i32 s7, s3, 31
	v_add_nc_u32_e32 v1, s16, v1
	s_lshr_b32 s7, s7, 27
	s_load_b32 s19, s[0:1], 0x1c
	v_add_nc_u32_e32 v103, -13, v68
	s_add_i32 s3, s3, s7
	v_ashrrev_i32_e32 v2, 31, v1
	v_or_b32_e32 v3, 16, v1
	s_ashr_i32 s3, s3, 5
	v_cmp_gt_i32_e32 vcc_lo, s18, v1
	s_add_i32 s3, s3, -1
	v_lshrrev_b32_e32 v2, 27, v2
	s_waitcnt lgkmcnt(0)
	s_barrier
	buffer_gl0_inv
	s_mul_i32 s15, s15, s6
	v_add_nc_u32_e32 v4, v1, v2
	v_mbcnt_lo_u32_b32 v127, -1, 0
	s_mul_i32 s20, s34, s4
	s_delay_alu instid0(SALU_CYCLE_1) | instskip(NEXT) | instid1(VALU_DEP_2)
	s_ashr_i32 s21, s20, 31
	v_ashrrev_i32_e32 v4, 5, v4
	v_add_nc_u32_e32 v2, v3, v2
	s_lshl_b64 s[20:21], s[20:21], 2
	v_xor_b32_e32 v128, 16, v127
	s_add_u32 s17, s12, s20
	v_cndmask_b32_e32 v1, s3, v4, vcc_lo
	v_ashrrev_i32_e32 v2, 5, v2
	v_cmp_gt_i32_e32 vcc_lo, s18, v3
	s_addc_u32 s13, s13, s21
	s_ashr_i32 s20, s15, 31
	s_add_u32 s22, s8, s15
	s_addc_u32 s23, s9, s20
	v_cndmask_b32_e32 v3, s3, v2, vcc_lo
	v_ashrrev_i32_e32 v2, 31, v1
	s_lshl_b32 s6, s14, 3
	s_delay_alu instid0(SALU_CYCLE_1) | instskip(NEXT) | instid1(VALU_DEP_2)
	s_ashr_i32 s7, s6, 31
	v_ashrrev_i32_e32 v4, 31, v3
	s_delay_alu instid0(VALU_DEP_2) | instskip(SKIP_1) | instid1(SALU_CYCLE_1)
	v_lshlrev_b64 v[1:2], 2, v[1:2]
	s_lshl_b64 s[6:7], s[6:7], 2
	s_add_u32 s6, s17, s6
	s_delay_alu instid0(VALU_DEP_2) | instskip(SKIP_1) | instid1(VALU_DEP_2)
	v_lshlrev_b64 v[3:4], 2, v[3:4]
	s_addc_u32 s7, s13, s7
	v_add_co_u32 v1, vcc_lo, s17, v1
	v_add_co_ci_u32_e32 v2, vcc_lo, s13, v2, vcc_lo
	s_delay_alu instid0(VALU_DEP_3) | instskip(NEXT) | instid1(VALU_DEP_4)
	v_add_co_u32 v3, vcc_lo, s17, v3
	v_add_co_ci_u32_e32 v4, vcc_lo, s13, v4, vcc_lo
	s_clause 0x1
	global_load_b32 v5, v[1:2], off
	global_load_b32 v6, v[3:4], off
	s_or_b32 s4, s16, 32
	s_delay_alu instid0(SALU_CYCLE_1) | instskip(SKIP_2) | instid1(SALU_CYCLE_1)
	s_ashr_i32 s8, s4, 5
	s_cmp_lt_i32 s4, s18
	s_cselect_b32 s8, s8, s3
	s_ashr_i32 s9, s8, 31
	s_delay_alu instid0(SALU_CYCLE_1) | instskip(NEXT) | instid1(SALU_CYCLE_1)
	s_lshl_b64 s[8:9], s[8:9], 2
	s_add_u32 s8, s17, s8
	s_addc_u32 s9, s13, s9
	s_or_b32 s4, s16, 64
	s_delay_alu instid0(SALU_CYCLE_1) | instskip(SKIP_2) | instid1(SALU_CYCLE_1)
	s_ashr_i32 s12, s4, 5
	s_cmp_lt_i32 s4, s18
	s_cselect_b32 s24, s12, s3
	s_ashr_i32 s25, s24, 31
	s_delay_alu instid0(SALU_CYCLE_1) | instskip(NEXT) | instid1(SALU_CYCLE_1)
	s_lshl_b64 s[24:25], s[24:25], 2
	s_add_u32 s24, s17, s24
	s_addc_u32 s25, s13, s25
	;; [unrolled: 10-line block ×5, first 2 shown]
	s_clause 0x5
	s_load_b32 s12, s[6:7], 0x0
	s_load_b32 s4, s[8:9], 0x0
	s_load_b32 s6, s[24:25], 0x0
	s_load_b32 s7, s[26:27], 0x0
	s_load_b32 s8, s[28:29], 0x0
	s_load_b32 s9, s[30:31], 0x0
	s_or_b32 s21, s16, 0xc0
	s_waitcnt vmcnt(1)
	v_mad_i64_i32 v[1:2], null, v5, s5, s[22:23]
	v_lshlrev_b32_e32 v5, 4, v68
	s_waitcnt vmcnt(0)
	v_mad_i64_i32 v[3:4], null, v6, s5, s[22:23]
	s_ashr_i32 s22, s21, 5
	s_cmp_lt_i32 s21, s18
	s_delay_alu instid0(VALU_DEP_3) | instskip(NEXT) | instid1(VALU_DEP_4)
	v_add_co_u32 v1, vcc_lo, v1, v5
	v_add_co_ci_u32_e32 v2, vcc_lo, 0, v2, vcc_lo
	s_delay_alu instid0(VALU_DEP_3) | instskip(NEXT) | instid1(VALU_DEP_4)
	v_add_co_u32 v3, vcc_lo, v3, v5
	v_add_co_ci_u32_e32 v4, vcc_lo, 0, v4, vcc_lo
	s_clause 0x7
	global_load_b128 v[71:74], v[1:2], off
	global_load_b128 v[75:78], v[1:2], off offset:512
	global_load_b128 v[79:82], v[3:4], off offset:256
	global_load_b128 v[83:86], v[3:4], off offset:768
	global_load_b128 v[87:90], v[1:2], off offset:1024
	global_load_b128 v[91:94], v[1:2], off offset:1536
	global_load_b128 v[95:98], v[3:4], off offset:1280
	global_load_b128 v[99:102], v[3:4], off offset:1792
	s_cselect_b32 s22, s22, s3
	v_lshlrev_b32_e32 v1, 5, v68
	s_ashr_i32 s23, s22, 31
	v_cmp_gt_u32_e32 vcc_lo, 13, v68
	s_lshl_b64 s[22:23], s[22:23], 2
	s_delay_alu instid0(SALU_CYCLE_1)
	s_add_u32 s22, s17, s22
	s_addc_u32 s23, s13, s23
	s_or_b32 s21, s16, 0xe0
	v_lshl_or_b32 v1, v69, 9, v1
	s_ashr_i32 s24, s21, 5
	s_cmp_lt_i32 s21, s18
	v_cndmask_b32_e32 v103, v103, v68, vcc_lo
	s_cselect_b32 s24, s24, s3
	s_load_b32 s3, s[22:23], 0x0
	s_ashr_i32 s25, s24, 31
	v_cmp_gt_i32_e32 vcc_lo, 32, v128
	s_lshl_b64 s[24:25], s[24:25], 2
	v_lshlrev_b32_e32 v115, 6, v103
	s_add_u32 s22, s17, s24
	s_addc_u32 s23, s13, s25
	v_cndmask_b32_e32 v136, v127, v128, vcc_lo
	s_add_u32 s10, s10, s15
	s_addc_u32 s11, s11, s20
	v_add_co_u32 v1, s10, s10, v1
	s_delay_alu instid0(VALU_DEP_1) | instskip(SKIP_2) | instid1(VALU_DEP_1)
	v_add_co_ci_u32_e64 v2, null, s11, 0, s10
	s_load_b32 s10, s[22:23], 0x0
	s_waitcnt lgkmcnt(0)
	v_mad_i64_i32 v[3:4], null, s12, s5, v[1:2]
	v_mad_i64_i32 v[9:10], null, s7, s5, v[1:2]
	;; [unrolled: 1-line block ×7, first 2 shown]
	s_clause 0x5
	global_load_b128 v[49:52], v[3:4], off
	global_load_b128 v[53:56], v[3:4], off offset:16
	global_load_b128 v[41:44], v[5:6], off
	global_load_b128 v[45:48], v[5:6], off offset:16
	;; [unrolled: 2-line block ×3, first 2 shown]
	s_mov_b32 s4, 0
	v_mad_i64_i32 v[61:62], null, s10, s5, v[1:2]
	s_clause 0x9
	global_load_b128 v[1:4], v[9:10], off
	global_load_b128 v[5:8], v[9:10], off offset:16
	global_load_b128 v[9:12], v[13:14], off
	global_load_b128 v[13:16], v[13:14], off offset:16
	;; [unrolled: 2-line block ×5, first 2 shown]
	s_mov_b32 s5, s4
	s_mov_b32 s6, s4
	;; [unrolled: 1-line block ×7, first 2 shown]
	v_and_b32_e32 v104, 0xe0, v0
	v_dual_mov_b32 v126, s11 :: v_dual_mov_b32 v125, s10
	v_dual_mov_b32 v124, s9 :: v_dual_mov_b32 v123, s8
	s_delay_alu instid0(VALU_DEP_3)
	v_add_nc_u32_e32 v111, s16, v104
	ds_load_b128 v[103:106], v115
	ds_load_b128 v[107:110], v115 offset:1024
	v_dual_mov_b32 v122, s7 :: v_dual_mov_b32 v121, s6
	v_mov_b32_e32 v120, s5
	v_or_b32_e32 v135, v111, v66
	ds_load_b128 v[111:114], v115 offset:2048
	ds_load_b128 v[115:118], v115 offset:3072
	v_mov_b32_e32 v119, s4
	s_waitcnt vmcnt(0) lgkmcnt(0)
	s_barrier
	v_or_b32_e32 v137, 2, v135
	v_or_b32_e32 v138, 4, v135
	;; [unrolled: 1-line block ×3, first 2 shown]
	v_cmp_gt_i32_e32 vcc_lo, s18, v135
	v_or_b32_e32 v140, 8, v135
	v_cmp_gt_i32_e64 s3, s18, v137
	v_or_b32_e32 v141, 10, v135
	v_cmp_gt_i32_e64 s4, s18, v138
	v_cmp_gt_i32_e64 s5, s18, v139
	v_or_b32_e32 v142, 12, v135
	v_or_b32_e32 v143, 14, v135
	v_cmp_gt_i32_e64 s6, s18, v140
	v_cmp_gt_i32_e64 s7, s18, v141
	v_or_b32_e32 v144, 16, v135
	v_or_b32_e32 v145, 18, v135
	v_cmp_gt_i32_e64 s8, s18, v142
	v_cmp_gt_i32_e64 s9, s18, v143
	buffer_gl0_inv
	v_cmp_gt_i32_e64 s10, s18, v144
	v_cmp_gt_i32_e64 s11, s18, v145
	v_wmma_f32_16x16x16_f16 v[127:134], v[71:78], v[103:110], v[119:126]
	v_wmma_f32_16x16x16_f16 v[119:126], v[79:86], v[103:110], v[119:126]
	v_or_b32_e32 v71, 20, v135
	v_or_b32_e32 v72, 22, v135
	s_delay_alu instid0(VALU_DEP_4)
	v_wmma_f32_16x16x16_f16 v[127:134], v[87:94], v[111:118], v[127:134]
	v_or_b32_e32 v73, 24, v135
	v_wmma_f32_16x16x16_f16 v[119:126], v[95:102], v[111:118], v[119:126]
	v_or_b32_e32 v74, 26, v135
	v_cmp_gt_i32_e64 s12, s18, v71
	v_dual_mul_f32 v83, s19, v128 :: v_dual_mul_f32 v84, s19, v127
	s_delay_alu instid0(VALU_DEP_4) | instskip(SKIP_1) | instid1(VALU_DEP_3)
	v_dual_mul_f32 v81, s19, v130 :: v_dual_mul_f32 v92, s19, v119
	v_mul_f32_e32 v82, s19, v129
	v_cndmask_b32_e64 v83, 0xff7fffff, v83, s3
	s_delay_alu instid0(VALU_DEP_4)
	v_cndmask_b32_e32 v84, 0xff7fffff, v84, vcc_lo
	v_dual_mul_f32 v79, s19, v132 :: v_dual_mul_f32 v90, s19, v121
	v_mul_f32_e32 v80, s19, v131
	v_cndmask_b32_e64 v82, 0xff7fffff, v82, s4
	v_cndmask_b32_e64 v81, 0xff7fffff, v81, s5
	v_max3_f32 v83, v84, 0xff7fffff, v83
	v_dual_mul_f32 v77, s19, v134 :: v_dual_mul_f32 v88, s19, v123
	v_mul_f32_e32 v78, s19, v133
	v_cndmask_b32_e64 v80, 0xff7fffff, v80, s6
	v_cndmask_b32_e64 v79, 0xff7fffff, v79, s7
	v_max3_f32 v81, v83, v82, v81
	v_mul_f32_e32 v91, s19, v120
	v_cndmask_b32_e64 v78, 0xff7fffff, v78, s8
	v_cndmask_b32_e64 v77, 0xff7fffff, v77, s9
	v_mul_f32_e32 v89, s19, v122
	v_max3_f32 v79, v81, v80, v79
	v_cndmask_b32_e64 v80, 0xff7fffff, v92, s10
	v_cndmask_b32_e64 v81, 0xff7fffff, v91, s11
	v_cmp_gt_i32_e64 s13, s18, v72
	v_or_b32_e32 v75, 28, v135
	v_max3_f32 v77, v79, v78, v77
	v_or_b32_e32 v76, 30, v135
	v_mul_f32_e32 v87, s19, v124
	v_cndmask_b32_e64 v71, 0xff7fffff, v90, s12
	v_cndmask_b32_e64 v72, 0xff7fffff, v89, s13
	v_max3_f32 v77, v77, v80, v81
	v_cmp_gt_i32_e64 s15, s18, v73
	v_cmp_gt_i32_e64 s16, s18, v74
	v_dual_mul_f32 v85, s19, v126 :: v_dual_mul_f32 v86, s19, v125
	s_delay_alu instid0(VALU_DEP_4) | instskip(NEXT) | instid1(VALU_DEP_4)
	v_max3_f32 v71, v77, v71, v72
	v_cndmask_b32_e64 v73, 0xff7fffff, v88, s15
	s_delay_alu instid0(VALU_DEP_4) | instskip(SKIP_2) | instid1(VALU_DEP_3)
	v_cndmask_b32_e64 v74, 0xff7fffff, v87, s16
	v_cmp_gt_i32_e64 s17, s18, v75
	v_cmp_gt_i32_e64 s18, s18, v76
	v_max3_f32 v71, v71, v73, v74
	s_delay_alu instid0(VALU_DEP_3) | instskip(NEXT) | instid1(VALU_DEP_3)
	v_cndmask_b32_e64 v72, 0xff7fffff, v86, s17
	v_cndmask_b32_e64 v75, 0xff7fffff, v85, s18
	v_lshlrev_b32_e32 v73, 2, v136
	s_delay_alu instid0(VALU_DEP_2) | instskip(SKIP_3) | instid1(VALU_DEP_1)
	v_max3_f32 v71, v71, v72, v75
	ds_bpermute_b32 v72, v73, v71
	s_waitcnt lgkmcnt(0)
	v_max_f32_e32 v72, v72, v72
	v_max_f32_e32 v71, v71, v72
	s_delay_alu instid0(VALU_DEP_1)
	v_fma_f32 v72, s19, v127, -v71
	v_fma_f32 v74, s19, v128, -v71
	;; [unrolled: 1-line block ×5, first 2 shown]
	v_mul_f32_e32 v72, 0x3fb8aa3b, v72
	v_mul_f32_e32 v74, 0x3fb8aa3b, v74
	v_fma_f32 v80, s19, v133, -v71
	s_delay_alu instid0(VALU_DEP_4) | instskip(NEXT) | instid1(VALU_DEP_4)
	v_dual_mul_f32 v76, 0x3fb8aa3b, v76 :: v_dual_mul_f32 v77, 0x3fb8aa3b, v77
	v_exp_f32_e32 v72, v72
	s_delay_alu instid0(VALU_DEP_3) | instskip(NEXT) | instid1(VALU_DEP_2)
	v_exp_f32_e32 v74, v74
	v_mul_f32_e32 v82, 0x3fb8aa3b, v80
	s_delay_alu instid0(VALU_DEP_2) | instskip(SKIP_1) | instid1(VALU_DEP_1)
	v_exp_f32_e32 v76, v76
	v_exp_f32_e32 v77, v77
	;; [unrolled: 1-line block ×3, first 2 shown]
	v_cndmask_b32_e32 v79, 0, v72, vcc_lo
	v_fma_f32 v72, s19, v132, -v71
	v_mul_f32_e32 v75, 0x3fb8aa3b, v75
	v_cndmask_b32_e64 v78, 0, v74, s3
	s_delay_alu instid0(TRANS32_DEP_3)
	v_cndmask_b32_e64 v80, 0, v76, s5
	v_add_f32_e32 v74, 0, v79
	v_mul_f32_e32 v72, 0x3fb8aa3b, v72
	v_exp_f32_e32 v75, v75
	v_cndmask_b32_e64 v83, 0, v77, s6
	v_cndmask_b32_e64 v85, 0, v84, s8
	v_add_f32_e32 v74, v74, v78
	v_exp_f32_e32 v72, v72
	v_cmp_gt_u32_e64 s3, 16, v70
	s_waitcnt_depctr 0xfff
	v_cndmask_b32_e64 v81, 0, v75, s4
	v_cndmask_b32_e64 v82, 0, v72, s7
	s_delay_alu instid0(VALU_DEP_2) | instskip(NEXT) | instid1(VALU_DEP_1)
	v_add_f32_e32 v74, v74, v81
	v_add_f32_e32 v74, v74, v80
	s_delay_alu instid0(VALU_DEP_1) | instskip(SKIP_4) | instid1(VALU_DEP_4)
	v_add_f32_e32 v72, v74, v83
	v_fma_f32 v75, s19, v134, -v71
	v_fma_f32 v76, s19, v119, -v71
	;; [unrolled: 1-line block ×4, first 2 shown]
	v_dual_add_f32 v72, v72, v82 :: v_dual_mul_f32 v75, 0x3fb8aa3b, v75
	s_delay_alu instid0(VALU_DEP_3) | instskip(SKIP_1) | instid1(VALU_DEP_3)
	v_dual_mul_f32 v76, 0x3fb8aa3b, v76 :: v_dual_mul_f32 v77, 0x3fb8aa3b, v77
	v_fma_f32 v86, s19, v122, -v71
	v_add_f32_e32 v72, v72, v85
	s_delay_alu instid0(VALU_DEP_4) | instskip(NEXT) | instid1(VALU_DEP_3)
	v_exp_f32_e32 v75, v75
	v_exp_f32_e32 v76, v76
	;; [unrolled: 1-line block ×3, first 2 shown]
	v_mul_f32_e32 v86, 0x3fb8aa3b, v86
	s_delay_alu instid0(VALU_DEP_1) | instskip(SKIP_3) | instid1(TRANS32_DEP_3)
	v_exp_f32_e32 v88, v86
	v_cndmask_b32_e64 v84, 0, v75, s9
	v_fma_f32 v75, s19, v123, -v71
	v_mul_f32_e32 v74, 0x3fb8aa3b, v74
	v_cndmask_b32_e64 v87, 0, v76, s10
	v_fma_f32 v76, s19, v124, -v71
	s_delay_alu instid0(VALU_DEP_4) | instskip(NEXT) | instid1(VALU_DEP_4)
	v_dual_add_f32 v72, v72, v84 :: v_dual_mul_f32 v75, 0x3fb8aa3b, v75
	v_exp_f32_e32 v74, v74
	v_cndmask_b32_e64 v86, 0, v77, s11
	v_fma_f32 v77, s19, v125, -v71
	s_delay_alu instid0(VALU_DEP_3) | instskip(SKIP_3) | instid1(VALU_DEP_3)
	v_add_f32_e32 v72, v72, v87
	v_mul_f32_e32 v76, 0x3fb8aa3b, v76
	v_exp_f32_e32 v75, v75
	v_cndmask_b32_e64 v88, 0, v88, s13
	v_add_f32_e32 v72, v72, v86
	s_delay_alu instid0(VALU_DEP_3) | instskip(NEXT) | instid1(TRANS32_DEP_3)
	v_exp_f32_e32 v76, v76
	v_cndmask_b32_e64 v89, 0, v74, s12
	v_mul_f32_e32 v74, 0x3fb8aa3b, v77
	v_fma_f32 v77, s19, v126, -v71
	s_delay_alu instid0(VALU_DEP_3) | instskip(NEXT) | instid1(VALU_DEP_3)
	v_add_f32_e32 v72, v72, v89
	v_exp_f32_e32 v74, v74
	s_delay_alu instid0(TRANS32_DEP_3) | instskip(NEXT) | instid1(VALU_DEP_3)
	v_cndmask_b32_e64 v91, 0, v75, s15
	v_mul_f32_e32 v75, 0x3fb8aa3b, v77
	s_delay_alu instid0(TRANS32_DEP_2) | instskip(SKIP_1) | instid1(VALU_DEP_3)
	v_cndmask_b32_e64 v90, 0, v76, s16
	v_add_f32_e32 v72, v72, v88
	v_exp_f32_e32 v75, v75
	s_delay_alu instid0(VALU_DEP_1) | instskip(NEXT) | instid1(TRANS32_DEP_2)
	v_add_f32_e32 v72, v72, v91
	v_cndmask_b32_e64 v93, 0, v74, s17
	s_delay_alu instid0(VALU_DEP_2) | instskip(SKIP_3) | instid1(VALU_DEP_1)
	v_add_f32_e32 v72, v72, v90
	s_waitcnt_depctr 0xfff
	v_cndmask_b32_e64 v92, 0, v75, s18
	v_add_f32_e32 v72, v72, v93
	v_add_f32_e32 v72, v72, v92
	ds_bpermute_b32 v73, v73, v72
	s_and_saveexec_b32 s4, s3
	s_cbranch_execz .LBB1194_12
; %bb.11:
	v_mul_u32_u24_e32 v70, 0x44, v69
	s_waitcnt lgkmcnt(0)
	v_add_f32_e32 v72, v72, v73
	s_delay_alu instid0(VALU_DEP_2) | instskip(NEXT) | instid1(VALU_DEP_1)
	v_lshl_add_u32 v70, v68, 2, v70
	v_add_nc_u32_e32 v70, 0x4000, v70
	ds_store_2addr_b32 v70, v71, v72 offset1:136
.LBB1194_12:
	s_or_b32 exec_lo, exec_lo, s4
	v_lshlrev_b32_e32 v70, 2, v68
	s_load_b32 s36, s[0:1], 0x94
	s_waitcnt lgkmcnt(0)
	s_barrier
	buffer_gl0_inv
	v_add_nc_u32_e32 v98, 0x4000, v70
	v_cmp_eq_u32_e32 vcc_lo, 1, v69
	v_cmp_eq_u32_e64 s4, 2, v69
	v_cmp_eq_u32_e64 s5, 3, v69
	;; [unrolled: 1-line block ×3, first 2 shown]
	ds_load_2addr_b32 v[70:71], v98 offset1:17
	ds_load_2addr_b32 v[72:73], v98 offset0:34 offset1:51
	ds_load_2addr_b32 v[74:75], v98 offset0:68 offset1:85
	;; [unrolled: 1-line block ×3, first 2 shown]
	v_cmp_eq_u32_e64 s7, 5, v69
	v_cmp_eq_u32_e64 s8, 7, v69
	s_waitcnt lgkmcnt(3)
	v_max3_f32 v76, v70, 0xff7fffff, v71
	s_waitcnt lgkmcnt(2)
	s_delay_alu instid0(VALU_DEP_1) | instskip(SKIP_1) | instid1(VALU_DEP_1)
	v_max3_f32 v76, v76, v72, v73
	s_waitcnt lgkmcnt(1)
	v_max3_f32 v76, v76, v74, v75
	s_waitcnt lgkmcnt(0)
	s_delay_alu instid0(VALU_DEP_1) | instskip(NEXT) | instid1(VALU_DEP_1)
	v_max3_f32 v76, v76, v94, v95
	v_sub_f32_e32 v77, v71, v76
	ds_load_2addr_b32 v[96:97], v98 offset0:136 offset1:153
	v_sub_f32_e32 v74, v74, v76
	v_sub_f32_e32 v70, v70, v76
	;; [unrolled: 1-line block ×3, first 2 shown]
	v_dual_sub_f32 v72, v72, v76 :: v_dual_mul_f32 v77, 0x3fb8aa3b, v77
	s_delay_alu instid0(VALU_DEP_4) | instskip(NEXT) | instid1(VALU_DEP_4)
	v_mul_f32_e32 v103, 0x3fb8aa3b, v74
	v_mul_f32_e32 v99, 0x3fb8aa3b, v70
	ds_load_2addr_b32 v[70:71], v98 offset0:170 offset1:187
	v_dual_mul_f32 v101, 0x3fb8aa3b, v72 :: v_dual_mul_f32 v94, 0x3fb8aa3b, v94
	v_exp_f32_e32 v102, v77
	v_exp_f32_e32 v99, v99
	s_delay_alu instid0(VALU_DEP_1) | instskip(NEXT) | instid1(VALU_DEP_1)
	v_exp_f32_e32 v101, v101
	v_exp_f32_e32 v94, v94
	s_waitcnt lgkmcnt(1)
	s_delay_alu instid0(TRANS32_DEP_3)
	v_fma_f32 v77, v99, v96, 0
	v_sub_f32_e32 v100, v73, v76
	ds_load_2addr_b32 v[72:73], v98 offset0:204 offset1:221
	v_fmac_f32_e32 v77, v102, v97
	v_exp_f32_e32 v97, v103
	s_waitcnt lgkmcnt(1)
	s_delay_alu instid0(VALU_DEP_1)
	v_dual_fmac_f32 v77, v101, v70 :: v_dual_sub_f32 v96, v75, v76
	ds_load_2addr_b32 v[74:75], v98 offset0:238 offset1:255
	v_sub_f32_e32 v70, v95, v76
	s_waitcnt lgkmcnt(0)
	s_barrier
	v_mul_f32_e32 v96, 0x3fb8aa3b, v96
	buffer_gl0_inv
	v_exp_f32_e32 v95, v96
	v_mul_f32_e32 v100, 0x3fb8aa3b, v100
	s_delay_alu instid0(VALU_DEP_1) | instskip(SKIP_3) | instid1(VALU_DEP_2)
	v_exp_f32_e32 v100, v100
	s_waitcnt_depctr 0xfff
	v_dual_fmac_f32 v77, v100, v71 :: v_dual_mul_f32 v70, 0x3fb8aa3b, v70
	v_cndmask_b32_e32 v71, v99, v102, vcc_lo
	v_fmac_f32_e32 v77, v97, v72
	s_delay_alu instid0(VALU_DEP_3) | instskip(NEXT) | instid1(VALU_DEP_1)
	v_exp_f32_e32 v96, v70
	v_fmac_f32_e32 v77, v95, v73
	s_delay_alu instid0(VALU_DEP_1) | instskip(SKIP_2) | instid1(VALU_DEP_1)
	v_fmac_f32_e32 v77, v94, v74
	s_waitcnt_depctr 0xfff
	v_fmac_f32_e32 v77, v96, v75
	v_add_f32_e32 v74, 0x358637bd, v77
	s_delay_alu instid0(VALU_DEP_1) | instskip(SKIP_1) | instid1(VALU_DEP_2)
	v_div_scale_f32 v98, null, v74, v74, 1.0
	v_div_scale_f32 v99, vcc_lo, 1.0, v74, 1.0
	v_rcp_f32_e32 v103, v98
	s_waitcnt_depctr 0xfff
	v_fma_f32 v70, -v98, v103, 1.0
	s_delay_alu instid0(VALU_DEP_1) | instskip(SKIP_2) | instid1(VALU_DEP_2)
	v_fmac_f32_e32 v103, v70, v103
	v_cndmask_b32_e64 v70, v71, v101, s4
	v_cmp_eq_u32_e64 s4, 6, v69
	v_cndmask_b32_e64 v71, v70, v100, s5
	s_delay_alu instid0(VALU_DEP_4) | instskip(NEXT) | instid1(VALU_DEP_2)
	v_dual_mul_f32 v101, v99, v103 :: v_dual_lshlrev_b32 v70, 2, v66
	v_cndmask_b32_e64 v71, v71, v97, s6
	s_delay_alu instid0(VALU_DEP_2) | instskip(NEXT) | instid1(VALU_DEP_3)
	v_or_b32_e32 v72, 1, v70
	v_fma_f32 v100, -v98, v101, v99
	v_cmp_eq_u32_e64 s5, 1, v70
	v_cmp_eq_u32_e64 s6, 2, v70
	v_cndmask_b32_e64 v95, v71, v95, s7
	v_or_b32_e32 v71, 3, v70
	v_fmac_f32_e32 v101, v100, v103
	v_cmp_eq_u32_e64 s10, 1, v72
	v_cmp_eq_u32_e64 s13, 2, v72
	v_cndmask_b32_e64 v94, v95, v94, s4
	v_cmp_eq_u32_e64 s12, 1, v71
	v_fma_f32 v97, -v98, v101, v99
	v_cmp_eq_u32_e64 s17, 2, v71
	v_cmp_eq_u32_e64 s15, 3, v72
	v_cndmask_b32_e64 v94, v94, v96, s8
	v_cmp_eq_u32_e64 s19, 3, v71
	v_div_fmas_f32 v95, v97, v103, v101
	v_cmp_eq_u32_e32 vcc_lo, 3, v70
	v_cmp_eq_u32_e64 s4, 4, v70
	v_cmp_eq_u32_e64 s20, 4, v72
	;; [unrolled: 1-line block ×3, first 2 shown]
	v_div_fixup_f32 v95, v95, v74, 1.0
	v_lshlrev_b32_e32 v73, 6, v68
	v_cmp_eq_u32_e64 s7, 5, v70
	v_cmp_eq_u32_e64 s21, 5, v72
	;; [unrolled: 1-line block ×3, first 2 shown]
	v_mul_f32_e32 v102, v94, v95
	v_lshl_or_b32 v75, v69, 11, v73
	v_or_b32_e32 v69, 2, v70
	v_cmp_eq_u32_e64 s26, 6, v72
	v_cmp_eq_u32_e64 s28, 6, v71
	v_fma_mixlo_f16 v94, v102, v79, 0
	v_fma_mixlo_f16 v95, v102, v81, 0
	;; [unrolled: 1-line block ×8, first 2 shown]
	v_lshl_or_b32 v74, v66, 4, v75
	v_fma_mixhi_f16 v94, v102, v78, 0
	v_fma_mixhi_f16 v95, v102, v80, 0
	;; [unrolled: 1-line block ×8, first 2 shown]
	ds_store_b128 v74, v[94:97]
	ds_store_b128 v74, v[98:101] offset:1024
	s_waitcnt lgkmcnt(0)
	s_barrier
	buffer_gl0_inv
	ds_load_b128 v[78:81], v75
	ds_load_b128 v[82:85], v75 offset:16
	ds_load_b128 v[86:89], v75 offset:1024
	;; [unrolled: 1-line block ×3, first 2 shown]
	v_cmp_eq_u32_e64 s11, 1, v69
	v_cmp_eq_u32_e64 s16, 2, v69
	;; [unrolled: 1-line block ×11, first 2 shown]
	s_waitcnt lgkmcnt(3)
	v_lshrrev_b32_e32 v94, 16, v78
	s_waitcnt lgkmcnt(2)
	v_lshrrev_b32_e32 v98, 16, v82
	;; [unrolled: 2-line block ×4, first 2 shown]
	v_lshrrev_b32_e32 v95, 16, v79
	v_cndmask_b32_e64 v110, v78, v94, s5
	v_cndmask_b32_e64 v111, v82, v98, s5
	;; [unrolled: 1-line block ×8, first 2 shown]
	v_lshrrev_b32_e32 v99, 16, v83
	v_cndmask_b32_e64 v94, v86, v102, s5
	v_cndmask_b32_e64 v98, v90, v106, s5
	;; [unrolled: 1-line block ×15, first 2 shown]
	v_lshrrev_b32_e32 v103, 16, v87
	v_lshrrev_b32_e32 v107, 16, v91
	v_cndmask_b32_e64 v113, v115, v83, s16
	v_cndmask_b32_e64 v82, v94, v87, s6
	;; [unrolled: 1-line block ×7, first 2 shown]
	v_cndmask_b32_e32 v90, v102, v95, vcc_lo
	v_cndmask_b32_e32 v102, v106, v99, vcc_lo
	v_cndmask_b32_e64 v106, v110, v95, s15
	v_cndmask_b32_e64 v110, v111, v99, s15
	;; [unrolled: 1-line block ×4, first 2 shown]
	v_lshrrev_b32_e32 v96, 16, v80
	v_lshrrev_b32_e32 v100, 16, v84
	v_cndmask_b32_e64 v111, v112, v95, s18
	v_cndmask_b32_e64 v112, v113, v99, s18
	v_cndmask_b32_e32 v82, v82, v103, vcc_lo
	v_cndmask_b32_e32 v83, v83, v107, vcc_lo
	v_cndmask_b32_e64 v94, v94, v103, s15
	v_cndmask_b32_e64 v90, v90, v80, s4
	;; [unrolled: 1-line block ×7, first 2 shown]
	v_lshrrev_b32_e32 v104, 16, v88
	v_cndmask_b32_e64 v106, v111, v80, s22
	v_cndmask_b32_e64 v110, v112, v84, s22
	;; [unrolled: 1-line block ×11, first 2 shown]
	v_lshrrev_b32_e32 v97, 16, v81
	v_lshrrev_b32_e32 v101, 16, v85
	v_cndmask_b32_e64 v99, v106, v96, s24
	v_cndmask_b32_e64 v102, v110, v100, s24
	;; [unrolled: 1-line block ×7, first 2 shown]
	v_lshrrev_b32_e32 v105, 16, v89
	v_cndmask_b32_e64 v80, v80, v104, s7
	v_cndmask_b32_e64 v84, v84, v81, s8
	v_cndmask_b32_e64 v90, v90, v85, s8
	v_cndmask_b32_e64 v96, v99, v81, s27
	v_cndmask_b32_e64 v99, v102, v85, s27
	v_cndmask_b32_e64 v81, v83, v89, s26
	v_cndmask_b32_e64 v85, v94, v97, s31
	v_cndmask_b32_e64 v78, v78, v97, s30
	v_cndmask_b32_e64 v79, v79, v101, s30
	v_cndmask_b32_e64 v95, v95, v101, s31
	v_cndmask_b32_e64 v80, v80, v89, s8
	v_cndmask_b32_e64 v83, v84, v97, s9
	v_cndmask_b32_e64 v84, v90, v101, s9
	v_cndmask_b32_e64 v90, v96, v97, s29
	v_cndmask_b32_e64 v94, v99, v101, s29
	v_cndmask_b32_e64 v97, v81, v105, s31
	v_perm_b32 v81, v79, v78, 0x5040100
	v_perm_b32 v79, v95, v85, 0x5040100
	v_cndmask_b32_e64 v78, v119, v91, s16
	v_cndmask_b32_e64 v85, v117, v91, s13
	;; [unrolled: 1-line block ×3, first 2 shown]
	v_perm_b32 v80, v94, v90, 0x5040100
	v_cndmask_b32_e64 v90, v98, v103, s18
	v_cndmask_b32_e64 v86, v86, v103, s19
	;; [unrolled: 1-line block ×5, first 2 shown]
	v_lshrrev_b32_e32 v108, 16, v92
	v_cndmask_b32_e64 v90, v90, v88, s22
	v_cndmask_b32_e64 v86, v86, v88, s23
	;; [unrolled: 1-line block ×11, first 2 shown]
	v_lshrrev_b32_e32 v109, 16, v93
	v_cndmask_b32_e64 v82, v82, v93, s8
	v_cndmask_b32_e64 v88, v88, v89, s27
	;; [unrolled: 1-line block ×12, first 2 shown]
	v_perm_b32 v78, v84, v83, 0x5040100
	v_perm_b32 v85, v87, v86, 0x5040100
	;; [unrolled: 1-line block ×5, first 2 shown]
	s_mul_i32 s9, s35, 13
	s_mov_b32 s4, exec_lo
	ds_store_b128 v74, v[78:81]
	ds_store_b128 v74, v[82:85] offset:1024
	v_cmpx_gt_u32_e32 13, v0
	s_cbranch_execz .LBB1194_14
; %bb.13:
	s_mul_i32 s5, s9, s34
	s_load_b128 s[16:19], s[0:1], 0x58
	v_add3_u32 v68, s5, s33, v68
	s_delay_alu instid0(VALU_DEP_1) | instskip(NEXT) | instid1(VALU_DEP_1)
	v_mad_u64_u32 v[78:79], null, v68, s36, s[14:15]
	v_ashrrev_i32_e32 v79, 31, v78
	s_delay_alu instid0(VALU_DEP_1) | instskip(SKIP_1) | instid1(VALU_DEP_1)
	v_lshlrev_b64 v[78:79], 2, v[78:79]
	s_waitcnt lgkmcnt(0)
	v_add_co_u32 v80, vcc_lo, s18, v78
	s_delay_alu instid0(VALU_DEP_2)
	v_add_co_ci_u32_e32 v81, vcc_lo, s19, v79, vcc_lo
	v_add_co_u32 v78, vcc_lo, s16, v78
	v_add_co_ci_u32_e32 v79, vcc_lo, s17, v79, vcc_lo
	global_store_b32 v[80:81], v76, off
	global_store_b32 v[78:79], v77, off
.LBB1194_14:
	s_or_b32 exec_lo, exec_lo, s4
	s_waitcnt lgkmcnt(0)
	s_waitcnt_vscnt null, 0x0
	s_barrier
	buffer_gl0_inv
	ds_load_b128 v[84:87], v73
	ds_load_b128 v[88:91], v73 offset:16
	ds_load_b128 v[96:99], v73 offset:2064
	ds_load_b128 v[92:95], v73 offset:2048
	ds_load_b128 v[104:107], v73 offset:4112
	ds_load_b128 v[100:103], v73 offset:4096
	v_cmp_eq_u32_e32 vcc_lo, 1, v70
	v_mov_b32_e32 v76, 0
	ds_load_b128 v[112:115], v73 offset:6160
	ds_load_b128 v[108:111], v73 offset:6144
	;; [unrolled: 1-line block ×4, first 2 shown]
	v_cmp_eq_u32_e64 s5, 1, v69
	v_cmp_eq_u32_e64 s4, 1, v72
	;; [unrolled: 1-line block ×3, first 2 shown]
	v_mov_b32_e32 v77, v76
	v_mov_b32_e32 v78, v76
	;; [unrolled: 1-line block ×7, first 2 shown]
	v_cmp_eq_u32_e64 s7, 3, v72
	v_cmp_eq_u32_e64 s8, 7, v72
	s_waitcnt lgkmcnt(8)
	s_delay_alu instid0(VALU_DEP_3)
	v_wmma_f32_16x16x16_f16 v[76:83], v[49:56], v[84:91], v[76:83]
	ds_load_b128 v[53:56], v73 offset:10256
	ds_load_b128 v[49:52], v73 offset:10240
	s_waitcnt lgkmcnt(8)
	v_wmma_f32_16x16x16_f16 v[76:83], v[41:48], v[92:99], v[76:83]
	ds_load_b128 v[45:48], v73 offset:12304
	ds_load_b128 v[41:44], v73 offset:12288
	s_waitcnt lgkmcnt(8)
	;; [unrolled: 4-line block ×3, first 2 shown]
	s_barrier
	buffer_gl0_inv
	v_wmma_f32_16x16x16_f16 v[76:83], v[1:8], v[108:115], v[76:83]
	s_delay_alu instid0(VALU_DEP_1) | instskip(NEXT) | instid1(VALU_DEP_1)
	v_wmma_f32_16x16x16_f16 v[76:83], v[9:16], v[116:123], v[76:83]
	v_wmma_f32_16x16x16_f16 v[76:83], v[17:24], v[49:56], v[76:83]
	s_delay_alu instid0(VALU_DEP_1) | instskip(NEXT) | instid1(VALU_DEP_1)
	v_wmma_f32_16x16x16_f16 v[76:83], v[25:32], v[41:48], v[76:83]
	v_wmma_f32_16x16x16_f16 v[76:83], v[57:64], v[33:40], v[76:83]
	s_delay_alu instid0(VALU_DEP_1) | instskip(NEXT) | instid1(VALU_DEP_2)
	v_cvt_f16_f32_e32 v1, v76
	v_cvt_f16_f32_e32 v2, v77
	s_delay_alu instid0(VALU_DEP_3) | instskip(NEXT) | instid1(VALU_DEP_4)
	v_cvt_f16_f32_e32 v3, v78
	v_cvt_f16_f32_e32 v4, v79
	;; [unrolled: 1-line block ×6, first 2 shown]
	v_pack_b32_f16 v1, v1, v2
	v_pack_b32_f16 v2, v3, v4
	v_pack_b32_f16 v3, v5, v6
	s_delay_alu instid0(VALU_DEP_4)
	v_pack_b32_f16 v4, v7, v8
	ds_store_b128 v74, v[1:4]
	s_waitcnt lgkmcnt(0)
	s_barrier
	buffer_gl0_inv
	ds_load_b128 v[1:4], v75
	ds_load_b128 v[5:8], v75 offset:16
	s_waitcnt lgkmcnt(1)
	v_lshrrev_b32_e32 v9, 16, v1
	s_waitcnt lgkmcnt(0)
	v_lshrrev_b32_e32 v13, 16, v5
	v_lshrrev_b32_e32 v10, 16, v2
	;; [unrolled: 1-line block ×4, first 2 shown]
	v_cndmask_b32_e32 v17, v1, v9, vcc_lo
	v_cndmask_b32_e32 v18, v5, v13, vcc_lo
	v_cndmask_b32_e64 v21, v1, v9, s5
	v_cmp_eq_u32_e32 vcc_lo, 1, v71
	v_cndmask_b32_e64 v22, v5, v13, s5
	v_cmp_eq_u32_e64 s5, 2, v70
	v_cndmask_b32_e64 v19, v1, v9, s4
	v_cndmask_b32_e64 v20, v5, v13, s4
	v_cndmask_b32_e32 v1, v1, v9, vcc_lo
	v_cmp_eq_u32_e64 s4, 2, v71
	v_cndmask_b32_e32 v5, v5, v13, vcc_lo
	v_cndmask_b32_e64 v9, v17, v2, s5
	v_cmp_eq_u32_e32 vcc_lo, 3, v70
	v_cndmask_b32_e64 v13, v18, v6, s5
	v_cmp_eq_u32_e64 s5, 2, v69
	v_cndmask_b32_e64 v17, v19, v2, s6
	v_cndmask_b32_e64 v18, v20, v6, s6
	v_cmp_eq_u32_e64 s6, 3, v69
	v_cndmask_b32_e64 v1, v1, v2, s4
	v_cndmask_b32_e64 v19, v21, v2, s5
	;; [unrolled: 1-line block ×4, first 2 shown]
	v_cndmask_b32_e32 v5, v9, v10, vcc_lo
	v_cndmask_b32_e32 v6, v13, v14, vcc_lo
	v_cmp_eq_u32_e32 vcc_lo, 3, v71
	v_cndmask_b32_e64 v9, v17, v10, s7
	v_cndmask_b32_e64 v13, v18, v14, s7
	;; [unrolled: 1-line block ×3, first 2 shown]
	v_cmp_eq_u32_e64 s5, 4, v70
	v_cndmask_b32_e32 v1, v1, v10, vcc_lo
	v_cndmask_b32_e32 v2, v2, v14, vcc_lo
	v_cmp_eq_u32_e32 vcc_lo, 4, v72
	v_lshrrev_b32_e32 v15, 16, v7
	v_lshrrev_b32_e32 v16, 16, v8
	v_cndmask_b32_e64 v17, v19, v10, s6
	v_cmp_eq_u32_e64 s4, 4, v71
	v_cndmask_b32_e64 v5, v5, v3, s5
	v_cndmask_b32_e64 v6, v6, v7, s5
	v_cndmask_b32_e32 v9, v9, v3, vcc_lo
	v_cmp_eq_u32_e64 s5, 5, v72
	v_cndmask_b32_e32 v10, v13, v7, vcc_lo
	v_cmp_eq_u32_e32 vcc_lo, 4, v69
	v_cmp_eq_u32_e64 s6, 5, v70
	v_cndmask_b32_e64 v2, v2, v7, s4
	v_cndmask_b32_e64 v9, v9, v11, s5
	;; [unrolled: 1-line block ×3, first 2 shown]
	v_cndmask_b32_e32 v13, v17, v3, vcc_lo
	v_cmp_eq_u32_e64 s5, 5, v69
	v_cndmask_b32_e32 v14, v18, v7, vcc_lo
	v_cndmask_b32_e64 v1, v1, v3, s4
	v_cmp_eq_u32_e32 vcc_lo, 5, v71
	v_lshrrev_b32_e32 v12, 16, v4
	v_cndmask_b32_e64 v13, v13, v11, s5
	v_cndmask_b32_e64 v3, v14, v15, s5
	v_cmp_eq_u32_e64 s5, 6, v71
	v_cndmask_b32_e32 v1, v1, v11, vcc_lo
	v_cndmask_b32_e64 v5, v5, v11, s6
	v_cmp_eq_u32_e64 s7, 6, v70
	v_cndmask_b32_e64 v6, v6, v15, s6
	v_cmp_eq_u32_e64 s6, 6, v72
	v_cmp_eq_u32_e64 s4, 6, v69
	v_cndmask_b32_e64 v1, v1, v4, s5
	v_cndmask_b32_e32 v2, v2, v15, vcc_lo
	v_cmp_eq_u32_e32 vcc_lo, 7, v71
	v_cndmask_b32_e64 v5, v5, v4, s7
	v_cndmask_b32_e64 v9, v9, v4, s6
	;; [unrolled: 1-line block ×3, first 2 shown]
	v_cmp_eq_u32_e64 s7, 7, v70
	v_cndmask_b32_e32 v1, v1, v12, vcc_lo
	v_cndmask_b32_e64 v7, v13, v4, s4
	v_cndmask_b32_e64 v3, v3, v8, s4
	;; [unrolled: 1-line block ×3, first 2 shown]
	v_cmp_eq_u32_e64 s4, 7, v69
	v_cndmask_b32_e64 v4, v10, v8, s6
	v_cndmask_b32_e64 v5, v5, v12, s7
	;; [unrolled: 1-line block ×3, first 2 shown]
	v_cndmask_b32_e32 v2, v2, v16, vcc_lo
	v_cndmask_b32_e64 v7, v7, v12, s4
	v_cndmask_b32_e64 v3, v3, v16, s4
	;; [unrolled: 1-line block ×4, first 2 shown]
	v_cmp_gt_u32_e32 vcc_lo, 32, v0
	v_perm_b32 v4, v2, v1, 0x5040100
	v_perm_b32 v3, v3, v7, 0x5040100
	;; [unrolled: 1-line block ×4, first 2 shown]
	s_and_b32 s2, vcc_lo, s2
	ds_store_b128 v74, v[1:4]
	s_waitcnt lgkmcnt(0)
	s_barrier
	buffer_gl0_inv
	s_and_saveexec_b32 s4, s2
	s_cbranch_execz .LBB1194_2
; %bb.15:
	s_load_b64 s[4:5], s[0:1], 0x68
	v_lshlrev_b32_e32 v0, 10, v0
	v_lshlrev_b32_e32 v1, 4, v67
	s_lshl_b32 s0, s36, 6
	v_add_nc_u32_e32 v18, s33, v66
	s_mul_i32 s1, s0, s34
	s_delay_alu instid0(VALU_DEP_2) | instskip(SKIP_1) | instid1(VALU_DEP_2)
	v_and_or_b32 v0, 0x3800, v0, v1
	s_mul_i32 s6, s1, s9
	v_mul_lo_u32 v1, v18, s0
	s_ashr_i32 s7, s6, 31
	v_add_nc_u32_e32 v2, 2, v18
	v_lshl_or_b32 v19, v66, 6, v0
	s_lshl_b64 s[6:7], s[6:7], 1
	v_add_nc_u32_e32 v8, 4, v18
	v_add_nc_u32_e32 v15, 6, v18
	v_mul_lo_u32 v7, v2, s0
	ds_load_b128 v[3:6], v19
	v_ashrrev_i32_e32 v2, 31, v1
	v_mul_lo_u32 v11, v8, s0
	s_waitcnt lgkmcnt(0)
	s_add_u32 s1, s4, s6
	s_addc_u32 s2, s5, s7
	s_lshl_b32 s4, s14, 6
	v_lshlrev_b64 v[9:10], 1, v[1:2]
	s_ashr_i32 s5, s4, 31
	v_ashrrev_i32_e32 v8, 31, v7
	s_lshl_b64 s[4:5], s[4:5], 1
	v_ashrrev_i32_e32 v12, 31, v11
	s_add_u32 s1, s1, s4
	s_addc_u32 s2, s2, s5
	v_add_co_u32 v1, s1, s1, v65
	s_delay_alu instid0(VALU_DEP_1) | instskip(SKIP_1) | instid1(VALU_DEP_3)
	v_add_co_ci_u32_e64 v2, null, s2, 0, s1
	v_mul_lo_u32 v15, v15, s0
	v_add_co_u32 v13, vcc_lo, v1, v9
	s_delay_alu instid0(VALU_DEP_3)
	v_add_co_ci_u32_e32 v14, vcc_lo, v2, v10, vcc_lo
	v_lshlrev_b64 v[16:17], 1, v[7:8]
	ds_load_b128 v[7:10], v19 offset:128
	global_store_b128 v[13:14], v[3:6], off
	v_add_nc_u32_e32 v5, 8, v18
	v_lshlrev_b64 v[3:4], 1, v[11:12]
	v_add_co_u32 v23, vcc_lo, v1, v16
	v_ashrrev_i32_e32 v16, 31, v15
	s_delay_alu instid0(VALU_DEP_4) | instskip(SKIP_3) | instid1(VALU_DEP_3)
	v_mul_lo_u32 v25, v5, s0
	v_add_nc_u32_e32 v5, 10, v18
	v_add_co_ci_u32_e32 v24, vcc_lo, v2, v17, vcc_lo
	v_add_co_u32 v27, vcc_lo, v1, v3
	v_mul_lo_u32 v29, v5, s0
	v_add_co_ci_u32_e32 v28, vcc_lo, v2, v4, vcc_lo
	v_lshlrev_b64 v[31:32], 1, v[15:16]
	ds_load_b128 v[3:6], v19 offset:256
	ds_load_b128 v[11:14], v19 offset:384
	;; [unrolled: 1-line block ×4, first 2 shown]
	v_ashrrev_i32_e32 v26, 31, v25
	v_ashrrev_i32_e32 v30, 31, v29
	v_add_co_u32 v31, vcc_lo, v1, v31
	s_delay_alu instid0(VALU_DEP_3) | instskip(SKIP_1) | instid1(VALU_DEP_4)
	v_lshlrev_b64 v[25:26], 1, v[25:26]
	v_add_co_ci_u32_e32 v32, vcc_lo, v2, v32, vcc_lo
	v_lshlrev_b64 v[29:30], 1, v[29:30]
	s_delay_alu instid0(VALU_DEP_3) | instskip(NEXT) | instid1(VALU_DEP_4)
	v_add_co_u32 v25, vcc_lo, v1, v25
	v_add_co_ci_u32_e32 v26, vcc_lo, v2, v26, vcc_lo
	s_delay_alu instid0(VALU_DEP_3) | instskip(NEXT) | instid1(VALU_DEP_4)
	v_add_co_u32 v29, vcc_lo, v1, v29
	v_add_co_ci_u32_e32 v30, vcc_lo, v2, v30, vcc_lo
	s_waitcnt lgkmcnt(4)
	global_store_b128 v[23:24], v[7:10], off
	s_waitcnt lgkmcnt(3)
	global_store_b128 v[27:28], v[3:6], off
	;; [unrolled: 2-line block ×5, first 2 shown]
	s_and_b32 exec_lo, exec_lo, s3
	s_cbranch_execz .LBB1194_2
; %bb.16:
	ds_load_b128 v[3:6], v0 offset:768
	s_add_i32 s1, s33, 12
	s_delay_alu instid0(SALU_CYCLE_1) | instskip(NEXT) | instid1(SALU_CYCLE_1)
	s_mul_i32 s0, s1, s0
	s_ashr_i32 s1, s0, 31
	s_delay_alu instid0(SALU_CYCLE_1) | instskip(NEXT) | instid1(SALU_CYCLE_1)
	s_lshl_b64 s[0:1], s[0:1], 1
	v_add_co_u32 v0, vcc_lo, v1, s0
	v_add_co_ci_u32_e32 v1, vcc_lo, s1, v2, vcc_lo
	s_waitcnt lgkmcnt(0)
	global_store_b128 v[0:1], v[3:6], off
	s_nop 0
	s_sendmsg sendmsg(MSG_DEALLOC_VGPRS)
	s_endpgm
	.section	.rodata,"a",@progbits
	.p2align	6, 0x0
	.amdhsa_kernel _Z39paged_attention_ll4mi_QKV_mfma16_kernelIDF16_hLN4vllm18Fp8KVCacheDataTypeE1EDF16_Li32ELi64ELi256ELb1ELi13EL8MFMAType0EEvPKT_PKT0_S8_ifPKiSA_SA_iPKfiiiPfSD_PS3_PT2_iSC_SC_
		.amdhsa_group_segment_fixed_size 17472
		.amdhsa_private_segment_fixed_size 0
		.amdhsa_kernarg_size 400
		.amdhsa_user_sgpr_count 13
		.amdhsa_user_sgpr_dispatch_ptr 0
		.amdhsa_user_sgpr_queue_ptr 0
		.amdhsa_user_sgpr_kernarg_segment_ptr 1
		.amdhsa_user_sgpr_dispatch_id 0
		.amdhsa_user_sgpr_private_segment_size 0
		.amdhsa_wavefront_size32 1
		.amdhsa_uses_dynamic_stack 0
		.amdhsa_enable_private_segment 0
		.amdhsa_system_sgpr_workgroup_id_x 1
		.amdhsa_system_sgpr_workgroup_id_y 1
		.amdhsa_system_sgpr_workgroup_id_z 1
		.amdhsa_system_sgpr_workgroup_info 0
		.amdhsa_system_vgpr_workitem_id 0
		.amdhsa_next_free_vgpr 146
		.amdhsa_next_free_sgpr 37
		.amdhsa_reserve_vcc 1
		.amdhsa_float_round_mode_32 0
		.amdhsa_float_round_mode_16_64 0
		.amdhsa_float_denorm_mode_32 3
		.amdhsa_float_denorm_mode_16_64 3
		.amdhsa_dx10_clamp 1
		.amdhsa_ieee_mode 1
		.amdhsa_fp16_overflow 0
		.amdhsa_workgroup_processor_mode 1
		.amdhsa_memory_ordered 1
		.amdhsa_forward_progress 0
		.amdhsa_shared_vgpr_count 0
		.amdhsa_exception_fp_ieee_invalid_op 0
		.amdhsa_exception_fp_denorm_src 0
		.amdhsa_exception_fp_ieee_div_zero 0
		.amdhsa_exception_fp_ieee_overflow 0
		.amdhsa_exception_fp_ieee_underflow 0
		.amdhsa_exception_fp_ieee_inexact 0
		.amdhsa_exception_int_div_zero 0
	.end_amdhsa_kernel
	.section	.text._Z39paged_attention_ll4mi_QKV_mfma16_kernelIDF16_hLN4vllm18Fp8KVCacheDataTypeE1EDF16_Li32ELi64ELi256ELb1ELi13EL8MFMAType0EEvPKT_PKT0_S8_ifPKiSA_SA_iPKfiiiPfSD_PS3_PT2_iSC_SC_,"axG",@progbits,_Z39paged_attention_ll4mi_QKV_mfma16_kernelIDF16_hLN4vllm18Fp8KVCacheDataTypeE1EDF16_Li32ELi64ELi256ELb1ELi13EL8MFMAType0EEvPKT_PKT0_S8_ifPKiSA_SA_iPKfiiiPfSD_PS3_PT2_iSC_SC_,comdat
.Lfunc_end1194:
	.size	_Z39paged_attention_ll4mi_QKV_mfma16_kernelIDF16_hLN4vllm18Fp8KVCacheDataTypeE1EDF16_Li32ELi64ELi256ELb1ELi13EL8MFMAType0EEvPKT_PKT0_S8_ifPKiSA_SA_iPKfiiiPfSD_PS3_PT2_iSC_SC_, .Lfunc_end1194-_Z39paged_attention_ll4mi_QKV_mfma16_kernelIDF16_hLN4vllm18Fp8KVCacheDataTypeE1EDF16_Li32ELi64ELi256ELb1ELi13EL8MFMAType0EEvPKT_PKT0_S8_ifPKiSA_SA_iPKfiiiPfSD_PS3_PT2_iSC_SC_
                                        ; -- End function
	.section	.AMDGPU.csdata,"",@progbits
; Kernel info:
; codeLenInByte = 6700
; NumSgprs: 39
; NumVgprs: 146
; ScratchSize: 0
; MemoryBound: 0
; FloatMode: 240
; IeeeMode: 1
; LDSByteSize: 17472 bytes/workgroup (compile time only)
; SGPRBlocks: 4
; VGPRBlocks: 18
; NumSGPRsForWavesPerEU: 39
; NumVGPRsForWavesPerEU: 146
; Occupancy: 9
; WaveLimiterHint : 1
; COMPUTE_PGM_RSRC2:SCRATCH_EN: 0
; COMPUTE_PGM_RSRC2:USER_SGPR: 13
; COMPUTE_PGM_RSRC2:TRAP_HANDLER: 0
; COMPUTE_PGM_RSRC2:TGID_X_EN: 1
; COMPUTE_PGM_RSRC2:TGID_Y_EN: 1
; COMPUTE_PGM_RSRC2:TGID_Z_EN: 1
; COMPUTE_PGM_RSRC2:TIDIG_COMP_CNT: 0
	.section	.text._Z39paged_attention_ll4mi_QKV_mfma16_kernelIDF16_hLN4vllm18Fp8KVCacheDataTypeE1EDF16_Li32ELi64ELi256ELb1ELi14EL8MFMAType0EEvPKT_PKT0_S8_ifPKiSA_SA_iPKfiiiPfSD_PS3_PT2_iSC_SC_,"axG",@progbits,_Z39paged_attention_ll4mi_QKV_mfma16_kernelIDF16_hLN4vllm18Fp8KVCacheDataTypeE1EDF16_Li32ELi64ELi256ELb1ELi14EL8MFMAType0EEvPKT_PKT0_S8_ifPKiSA_SA_iPKfiiiPfSD_PS3_PT2_iSC_SC_,comdat
	.protected	_Z39paged_attention_ll4mi_QKV_mfma16_kernelIDF16_hLN4vllm18Fp8KVCacheDataTypeE1EDF16_Li32ELi64ELi256ELb1ELi14EL8MFMAType0EEvPKT_PKT0_S8_ifPKiSA_SA_iPKfiiiPfSD_PS3_PT2_iSC_SC_ ; -- Begin function _Z39paged_attention_ll4mi_QKV_mfma16_kernelIDF16_hLN4vllm18Fp8KVCacheDataTypeE1EDF16_Li32ELi64ELi256ELb1ELi14EL8MFMAType0EEvPKT_PKT0_S8_ifPKiSA_SA_iPKfiiiPfSD_PS3_PT2_iSC_SC_
	.globl	_Z39paged_attention_ll4mi_QKV_mfma16_kernelIDF16_hLN4vllm18Fp8KVCacheDataTypeE1EDF16_Li32ELi64ELi256ELb1ELi14EL8MFMAType0EEvPKT_PKT0_S8_ifPKiSA_SA_iPKfiiiPfSD_PS3_PT2_iSC_SC_
	.p2align	8
	.type	_Z39paged_attention_ll4mi_QKV_mfma16_kernelIDF16_hLN4vllm18Fp8KVCacheDataTypeE1EDF16_Li32ELi64ELi256ELb1ELi14EL8MFMAType0EEvPKT_PKT0_S8_ifPKiSA_SA_iPKfiiiPfSD_PS3_PT2_iSC_SC_,@function
_Z39paged_attention_ll4mi_QKV_mfma16_kernelIDF16_hLN4vllm18Fp8KVCacheDataTypeE1EDF16_Li32ELi64ELi256ELb1ELi14EL8MFMAType0EEvPKT_PKT0_S8_ifPKiSA_SA_iPKfiiiPfSD_PS3_PT2_iSC_SC_: ; @_Z39paged_attention_ll4mi_QKV_mfma16_kernelIDF16_hLN4vllm18Fp8KVCacheDataTypeE1EDF16_Li32ELi64ELi256ELb1ELi14EL8MFMAType0EEvPKT_PKT0_S8_ifPKiSA_SA_iPKfiiiPfSD_PS3_PT2_iSC_SC_
; %bb.0:
	s_load_b64 s[2:3], s[0:1], 0x30
	s_mov_b32 s34, s13
	s_waitcnt lgkmcnt(0)
	s_cmp_lg_u64 s[2:3], 0
	s_cselect_b32 s6, -1, 0
	s_ashr_i32 s35, s13, 31
	s_cmp_eq_u64 s[2:3], 0
	s_cbranch_scc1 .LBB1195_3
; %bb.1:
	s_lshl_b64 s[4:5], s[34:35], 2
	s_delay_alu instid0(SALU_CYCLE_1) | instskip(SKIP_4) | instid1(SALU_CYCLE_1)
	s_add_u32 s4, s2, s4
	s_addc_u32 s5, s3, s5
	s_load_b64 s[4:5], s[4:5], 0x0
	s_waitcnt lgkmcnt(0)
	s_sub_i32 s4, s5, s4
	s_cmp_eq_u32 s4, 1
	s_cselect_b32 s4, -1, 0
	s_delay_alu instid0(SALU_CYCLE_1)
	s_and_not1_b32 vcc_lo, exec_lo, s4
	s_cbranch_vccz .LBB1195_4
.LBB1195_2:
	s_endpgm
.LBB1195_3:
.LBB1195_4:
	s_load_b64 s[8:9], s[0:1], 0x28
	s_lshl_b64 s[4:5], s[34:35], 2
	s_waitcnt lgkmcnt(0)
	s_add_u32 s8, s8, s4
	s_addc_u32 s9, s9, s5
	s_lshl_b32 s16, s14, 8
	s_load_b32 s18, s[8:9], 0x0
	s_waitcnt lgkmcnt(0)
	s_cmp_ge_i32 s16, s18
	s_cbranch_scc1 .LBB1195_2
; %bb.5:
	s_clause 0x1
	s_load_b128 s[8:11], s[0:1], 0x8
	s_load_b64 s[12:13], s[0:1], 0x20
	s_and_not1_b32 vcc_lo, exec_lo, s6
	s_cbranch_vccnz .LBB1195_7
; %bb.6:
	s_add_u32 s2, s2, s4
	s_addc_u32 s3, s3, s5
	s_load_b32 s3, s[2:3], 0x0
	s_branch .LBB1195_8
.LBB1195_7:
	s_mov_b32 s3, s34
.LBB1195_8:
	s_load_b128 s[4:7], s[0:1], 0x48
	v_and_b32_e32 v68, 15, v0
	v_cmp_gt_u32_e32 vcc_lo, 0xe0, v0
	v_lshrrev_b32_e32 v69, 5, v0
	v_and_b32_e32 v70, 31, v0
	v_and_b32_e32 v67, 1, v0
	v_lshlrev_b32_e32 v1, 3, v68
	v_cmp_gt_u32_e64 s2, 8, v68
	v_bfe_u32 v66, v0, 4, 1
	s_mul_i32 s31, s15, 14
	s_delay_alu instid0(VALU_DEP_3) | instskip(NEXT) | instid1(VALU_DEP_3)
	v_lshlrev_b32_e32 v65, 1, v1
	s_and_b32 s17, vcc_lo, s2
	s_waitcnt lgkmcnt(0)
	s_and_saveexec_b32 s7, s17
	s_cbranch_execz .LBB1195_10
; %bb.9:
	s_load_b64 s[20:21], s[0:1], 0x0
	v_lshl_or_b32 v5, v69, 1, v66
	s_mul_hi_i32 s23, s3, s4
	s_mul_i32 s22, s3, s4
	v_lshlrev_b32_e32 v6, 10, v68
	s_lshl_b64 s[22:23], s[22:23], 1
	v_add_lshl_u32 v1, v5, s31, 6
	v_lshlrev_b32_e32 v5, 6, v5
	v_lshlrev_b32_e32 v7, 10, v67
	v_and_b32_e32 v6, 0x3800, v6
	s_delay_alu instid0(VALU_DEP_4) | instskip(NEXT) | instid1(VALU_DEP_2)
	v_ashrrev_i32_e32 v2, 31, v1
	v_or3_b32 v5, v6, v7, v5
	s_delay_alu instid0(VALU_DEP_2) | instskip(SKIP_3) | instid1(VALU_DEP_1)
	v_lshlrev_b64 v[1:2], 1, v[1:2]
	s_waitcnt lgkmcnt(0)
	s_add_u32 s3, s20, s22
	s_addc_u32 s4, s21, s23
	v_add_co_u32 v1, vcc_lo, s3, v1
	s_delay_alu instid0(VALU_DEP_2) | instskip(NEXT) | instid1(VALU_DEP_2)
	v_add_co_ci_u32_e32 v2, vcc_lo, s4, v2, vcc_lo
	v_add_co_u32 v1, vcc_lo, v1, v65
	s_delay_alu instid0(VALU_DEP_2)
	v_add_co_ci_u32_e32 v2, vcc_lo, 0, v2, vcc_lo
	global_load_b128 v[1:4], v[1:2], off
	s_waitcnt vmcnt(0)
	ds_store_b128 v5, v[1:4]
.LBB1195_10:
	s_or_b32 exec_lo, exec_lo, s7
	v_and_b32_e32 v1, 0xef, v0
	s_add_i32 s3, s18, 31
	s_clause 0x1
	s_load_b32 s4, s[0:1], 0x38
	s_load_b32 s33, s[0:1], 0x98
	s_ashr_i32 s7, s3, 31
	v_add_nc_u32_e32 v1, s16, v1
	s_lshr_b32 s7, s7, 27
	s_load_b32 s19, s[0:1], 0x1c
	v_add_nc_u32_e32 v103, -14, v68
	s_add_i32 s3, s3, s7
	v_ashrrev_i32_e32 v2, 31, v1
	v_or_b32_e32 v3, 16, v1
	s_ashr_i32 s3, s3, 5
	v_cmp_gt_i32_e32 vcc_lo, s18, v1
	s_add_i32 s3, s3, -1
	v_lshrrev_b32_e32 v2, 27, v2
	s_waitcnt lgkmcnt(0)
	s_barrier
	buffer_gl0_inv
	s_mul_i32 s15, s15, s6
	v_add_nc_u32_e32 v4, v1, v2
	v_mbcnt_lo_u32_b32 v127, -1, 0
	s_mul_i32 s20, s34, s4
	s_delay_alu instid0(SALU_CYCLE_1) | instskip(NEXT) | instid1(VALU_DEP_2)
	s_ashr_i32 s21, s20, 31
	v_ashrrev_i32_e32 v4, 5, v4
	v_add_nc_u32_e32 v2, v3, v2
	s_lshl_b64 s[20:21], s[20:21], 2
	v_xor_b32_e32 v128, 16, v127
	s_add_u32 s17, s12, s20
	v_cndmask_b32_e32 v1, s3, v4, vcc_lo
	v_ashrrev_i32_e32 v2, 5, v2
	v_cmp_gt_i32_e32 vcc_lo, s18, v3
	s_addc_u32 s13, s13, s21
	s_ashr_i32 s20, s15, 31
	s_add_u32 s22, s8, s15
	s_addc_u32 s23, s9, s20
	v_cndmask_b32_e32 v3, s3, v2, vcc_lo
	v_ashrrev_i32_e32 v2, 31, v1
	s_lshl_b32 s6, s14, 3
	s_delay_alu instid0(SALU_CYCLE_1) | instskip(NEXT) | instid1(VALU_DEP_2)
	s_ashr_i32 s7, s6, 31
	v_ashrrev_i32_e32 v4, 31, v3
	s_delay_alu instid0(VALU_DEP_2) | instskip(SKIP_1) | instid1(SALU_CYCLE_1)
	v_lshlrev_b64 v[1:2], 2, v[1:2]
	s_lshl_b64 s[6:7], s[6:7], 2
	s_add_u32 s6, s17, s6
	s_delay_alu instid0(VALU_DEP_2) | instskip(SKIP_1) | instid1(VALU_DEP_2)
	v_lshlrev_b64 v[3:4], 2, v[3:4]
	s_addc_u32 s7, s13, s7
	v_add_co_u32 v1, vcc_lo, s17, v1
	v_add_co_ci_u32_e32 v2, vcc_lo, s13, v2, vcc_lo
	s_delay_alu instid0(VALU_DEP_3) | instskip(NEXT) | instid1(VALU_DEP_4)
	v_add_co_u32 v3, vcc_lo, s17, v3
	v_add_co_ci_u32_e32 v4, vcc_lo, s13, v4, vcc_lo
	s_clause 0x1
	global_load_b32 v5, v[1:2], off
	global_load_b32 v6, v[3:4], off
	s_or_b32 s4, s16, 32
	s_delay_alu instid0(SALU_CYCLE_1) | instskip(SKIP_2) | instid1(SALU_CYCLE_1)
	s_ashr_i32 s8, s4, 5
	s_cmp_lt_i32 s4, s18
	s_cselect_b32 s8, s8, s3
	s_ashr_i32 s9, s8, 31
	s_delay_alu instid0(SALU_CYCLE_1) | instskip(NEXT) | instid1(SALU_CYCLE_1)
	s_lshl_b64 s[8:9], s[8:9], 2
	s_add_u32 s8, s17, s8
	s_addc_u32 s9, s13, s9
	s_or_b32 s4, s16, 64
	s_delay_alu instid0(SALU_CYCLE_1) | instskip(SKIP_2) | instid1(SALU_CYCLE_1)
	s_ashr_i32 s12, s4, 5
	s_cmp_lt_i32 s4, s18
	s_cselect_b32 s24, s12, s3
	s_ashr_i32 s25, s24, 31
	s_delay_alu instid0(SALU_CYCLE_1) | instskip(NEXT) | instid1(SALU_CYCLE_1)
	s_lshl_b64 s[24:25], s[24:25], 2
	s_add_u32 s24, s17, s24
	s_addc_u32 s25, s13, s25
	;; [unrolled: 10-line block ×5, first 2 shown]
	s_clause 0x5
	s_load_b32 s12, s[6:7], 0x0
	s_load_b32 s4, s[8:9], 0x0
	s_load_b32 s6, s[24:25], 0x0
	s_load_b32 s7, s[26:27], 0x0
	s_load_b32 s8, s[28:29], 0x0
	s_load_b32 s9, s[36:37], 0x0
	s_or_b32 s21, s16, 0xc0
	s_waitcnt vmcnt(1)
	v_mad_i64_i32 v[1:2], null, v5, s5, s[22:23]
	v_lshlrev_b32_e32 v5, 4, v68
	s_waitcnt vmcnt(0)
	v_mad_i64_i32 v[3:4], null, v6, s5, s[22:23]
	s_ashr_i32 s22, s21, 5
	s_cmp_lt_i32 s21, s18
	s_delay_alu instid0(VALU_DEP_3) | instskip(NEXT) | instid1(VALU_DEP_4)
	v_add_co_u32 v1, vcc_lo, v1, v5
	v_add_co_ci_u32_e32 v2, vcc_lo, 0, v2, vcc_lo
	s_delay_alu instid0(VALU_DEP_3) | instskip(NEXT) | instid1(VALU_DEP_4)
	v_add_co_u32 v3, vcc_lo, v3, v5
	v_add_co_ci_u32_e32 v4, vcc_lo, 0, v4, vcc_lo
	s_clause 0x7
	global_load_b128 v[71:74], v[1:2], off
	global_load_b128 v[75:78], v[1:2], off offset:512
	global_load_b128 v[79:82], v[3:4], off offset:256
	;; [unrolled: 1-line block ×7, first 2 shown]
	s_cselect_b32 s22, s22, s3
	v_lshlrev_b32_e32 v1, 5, v68
	s_ashr_i32 s23, s22, 31
	v_cmp_gt_u32_e32 vcc_lo, 14, v68
	s_lshl_b64 s[22:23], s[22:23], 2
	s_delay_alu instid0(SALU_CYCLE_1)
	s_add_u32 s22, s17, s22
	s_addc_u32 s23, s13, s23
	s_or_b32 s21, s16, 0xe0
	v_lshl_or_b32 v1, v69, 9, v1
	s_ashr_i32 s24, s21, 5
	s_cmp_lt_i32 s21, s18
	v_cndmask_b32_e32 v103, v103, v68, vcc_lo
	s_cselect_b32 s24, s24, s3
	s_load_b32 s3, s[22:23], 0x0
	s_ashr_i32 s25, s24, 31
	v_cmp_gt_i32_e32 vcc_lo, 32, v128
	s_lshl_b64 s[24:25], s[24:25], 2
	v_lshlrev_b32_e32 v115, 6, v103
	s_add_u32 s22, s17, s24
	s_addc_u32 s23, s13, s25
	v_cndmask_b32_e32 v136, v127, v128, vcc_lo
	s_add_u32 s10, s10, s15
	s_addc_u32 s11, s11, s20
	v_add_co_u32 v1, s10, s10, v1
	s_delay_alu instid0(VALU_DEP_1) | instskip(SKIP_2) | instid1(VALU_DEP_1)
	v_add_co_ci_u32_e64 v2, null, s11, 0, s10
	s_load_b32 s10, s[22:23], 0x0
	s_waitcnt lgkmcnt(0)
	v_mad_i64_i32 v[3:4], null, s12, s5, v[1:2]
	v_mad_i64_i32 v[9:10], null, s7, s5, v[1:2]
	;; [unrolled: 1-line block ×7, first 2 shown]
	s_clause 0x5
	global_load_b128 v[49:52], v[3:4], off
	global_load_b128 v[53:56], v[3:4], off offset:16
	global_load_b128 v[41:44], v[5:6], off
	global_load_b128 v[45:48], v[5:6], off offset:16
	;; [unrolled: 2-line block ×3, first 2 shown]
	s_mov_b32 s4, 0
	v_mad_i64_i32 v[61:62], null, s10, s5, v[1:2]
	s_clause 0x9
	global_load_b128 v[1:4], v[9:10], off
	global_load_b128 v[5:8], v[9:10], off offset:16
	global_load_b128 v[9:12], v[13:14], off
	global_load_b128 v[13:16], v[13:14], off offset:16
	;; [unrolled: 2-line block ×5, first 2 shown]
	s_mov_b32 s5, s4
	s_mov_b32 s6, s4
	s_mov_b32 s7, s4
	s_mov_b32 s8, s4
	s_mov_b32 s9, s4
	s_mov_b32 s10, s4
	s_mov_b32 s11, s4
	v_and_b32_e32 v104, 0xe0, v0
	v_dual_mov_b32 v126, s11 :: v_dual_mov_b32 v125, s10
	v_dual_mov_b32 v124, s9 :: v_dual_mov_b32 v123, s8
	s_delay_alu instid0(VALU_DEP_3)
	v_add_nc_u32_e32 v111, s16, v104
	ds_load_b128 v[103:106], v115
	ds_load_b128 v[107:110], v115 offset:1024
	v_dual_mov_b32 v122, s7 :: v_dual_mov_b32 v121, s6
	v_mov_b32_e32 v120, s5
	v_or_b32_e32 v135, v111, v66
	ds_load_b128 v[111:114], v115 offset:2048
	ds_load_b128 v[115:118], v115 offset:3072
	v_mov_b32_e32 v119, s4
	s_waitcnt vmcnt(0) lgkmcnt(0)
	s_barrier
	v_or_b32_e32 v137, 2, v135
	v_or_b32_e32 v138, 4, v135
	;; [unrolled: 1-line block ×3, first 2 shown]
	v_cmp_gt_i32_e32 vcc_lo, s18, v135
	v_or_b32_e32 v140, 8, v135
	v_cmp_gt_i32_e64 s3, s18, v137
	v_or_b32_e32 v141, 10, v135
	v_cmp_gt_i32_e64 s4, s18, v138
	v_cmp_gt_i32_e64 s5, s18, v139
	v_or_b32_e32 v142, 12, v135
	v_or_b32_e32 v143, 14, v135
	v_cmp_gt_i32_e64 s6, s18, v140
	v_cmp_gt_i32_e64 s7, s18, v141
	v_or_b32_e32 v144, 16, v135
	v_or_b32_e32 v145, 18, v135
	v_cmp_gt_i32_e64 s8, s18, v142
	v_cmp_gt_i32_e64 s9, s18, v143
	buffer_gl0_inv
	v_cmp_gt_i32_e64 s10, s18, v144
	v_cmp_gt_i32_e64 s11, s18, v145
	v_wmma_f32_16x16x16_f16 v[127:134], v[71:78], v[103:110], v[119:126]
	v_wmma_f32_16x16x16_f16 v[119:126], v[79:86], v[103:110], v[119:126]
	v_or_b32_e32 v71, 20, v135
	v_or_b32_e32 v72, 22, v135
	s_delay_alu instid0(VALU_DEP_4)
	v_wmma_f32_16x16x16_f16 v[127:134], v[87:94], v[111:118], v[127:134]
	v_or_b32_e32 v73, 24, v135
	v_wmma_f32_16x16x16_f16 v[119:126], v[95:102], v[111:118], v[119:126]
	v_or_b32_e32 v74, 26, v135
	v_cmp_gt_i32_e64 s12, s18, v71
	v_dual_mul_f32 v83, s19, v128 :: v_dual_mul_f32 v84, s19, v127
	s_delay_alu instid0(VALU_DEP_4) | instskip(SKIP_1) | instid1(VALU_DEP_3)
	v_dual_mul_f32 v81, s19, v130 :: v_dual_mul_f32 v92, s19, v119
	v_mul_f32_e32 v82, s19, v129
	v_cndmask_b32_e64 v83, 0xff7fffff, v83, s3
	s_delay_alu instid0(VALU_DEP_4)
	v_cndmask_b32_e32 v84, 0xff7fffff, v84, vcc_lo
	v_dual_mul_f32 v79, s19, v132 :: v_dual_mul_f32 v90, s19, v121
	v_mul_f32_e32 v80, s19, v131
	v_cndmask_b32_e64 v82, 0xff7fffff, v82, s4
	v_cndmask_b32_e64 v81, 0xff7fffff, v81, s5
	v_max3_f32 v83, v84, 0xff7fffff, v83
	v_dual_mul_f32 v77, s19, v134 :: v_dual_mul_f32 v88, s19, v123
	v_mul_f32_e32 v78, s19, v133
	v_cndmask_b32_e64 v80, 0xff7fffff, v80, s6
	v_cndmask_b32_e64 v79, 0xff7fffff, v79, s7
	v_max3_f32 v81, v83, v82, v81
	v_mul_f32_e32 v91, s19, v120
	v_cndmask_b32_e64 v78, 0xff7fffff, v78, s8
	v_cndmask_b32_e64 v77, 0xff7fffff, v77, s9
	v_mul_f32_e32 v89, s19, v122
	v_max3_f32 v79, v81, v80, v79
	v_cndmask_b32_e64 v80, 0xff7fffff, v92, s10
	v_cndmask_b32_e64 v81, 0xff7fffff, v91, s11
	v_cmp_gt_i32_e64 s13, s18, v72
	v_or_b32_e32 v75, 28, v135
	v_max3_f32 v77, v79, v78, v77
	v_or_b32_e32 v76, 30, v135
	v_mul_f32_e32 v87, s19, v124
	v_cndmask_b32_e64 v71, 0xff7fffff, v90, s12
	v_cndmask_b32_e64 v72, 0xff7fffff, v89, s13
	v_max3_f32 v77, v77, v80, v81
	v_cmp_gt_i32_e64 s15, s18, v73
	v_cmp_gt_i32_e64 s16, s18, v74
	v_dual_mul_f32 v85, s19, v126 :: v_dual_mul_f32 v86, s19, v125
	s_delay_alu instid0(VALU_DEP_4) | instskip(NEXT) | instid1(VALU_DEP_4)
	v_max3_f32 v71, v77, v71, v72
	v_cndmask_b32_e64 v73, 0xff7fffff, v88, s15
	s_delay_alu instid0(VALU_DEP_4) | instskip(SKIP_2) | instid1(VALU_DEP_3)
	v_cndmask_b32_e64 v74, 0xff7fffff, v87, s16
	v_cmp_gt_i32_e64 s17, s18, v75
	v_cmp_gt_i32_e64 s18, s18, v76
	v_max3_f32 v71, v71, v73, v74
	s_delay_alu instid0(VALU_DEP_3) | instskip(NEXT) | instid1(VALU_DEP_3)
	v_cndmask_b32_e64 v72, 0xff7fffff, v86, s17
	v_cndmask_b32_e64 v75, 0xff7fffff, v85, s18
	v_lshlrev_b32_e32 v73, 2, v136
	s_delay_alu instid0(VALU_DEP_2) | instskip(SKIP_3) | instid1(VALU_DEP_1)
	v_max3_f32 v71, v71, v72, v75
	ds_bpermute_b32 v72, v73, v71
	s_waitcnt lgkmcnt(0)
	v_max_f32_e32 v72, v72, v72
	v_max_f32_e32 v71, v71, v72
	s_delay_alu instid0(VALU_DEP_1)
	v_fma_f32 v72, s19, v127, -v71
	v_fma_f32 v74, s19, v128, -v71
	;; [unrolled: 1-line block ×5, first 2 shown]
	v_mul_f32_e32 v72, 0x3fb8aa3b, v72
	v_mul_f32_e32 v74, 0x3fb8aa3b, v74
	v_fma_f32 v80, s19, v133, -v71
	s_delay_alu instid0(VALU_DEP_4) | instskip(NEXT) | instid1(VALU_DEP_4)
	v_dual_mul_f32 v76, 0x3fb8aa3b, v76 :: v_dual_mul_f32 v77, 0x3fb8aa3b, v77
	v_exp_f32_e32 v72, v72
	s_delay_alu instid0(VALU_DEP_3) | instskip(NEXT) | instid1(VALU_DEP_2)
	v_exp_f32_e32 v74, v74
	v_mul_f32_e32 v82, 0x3fb8aa3b, v80
	s_delay_alu instid0(VALU_DEP_2) | instskip(SKIP_1) | instid1(VALU_DEP_1)
	v_exp_f32_e32 v76, v76
	v_exp_f32_e32 v77, v77
	;; [unrolled: 1-line block ×3, first 2 shown]
	v_cndmask_b32_e32 v79, 0, v72, vcc_lo
	v_fma_f32 v72, s19, v132, -v71
	v_mul_f32_e32 v75, 0x3fb8aa3b, v75
	v_cndmask_b32_e64 v78, 0, v74, s3
	s_delay_alu instid0(TRANS32_DEP_3)
	v_cndmask_b32_e64 v80, 0, v76, s5
	v_add_f32_e32 v74, 0, v79
	v_mul_f32_e32 v72, 0x3fb8aa3b, v72
	v_exp_f32_e32 v75, v75
	v_cndmask_b32_e64 v83, 0, v77, s6
	v_cndmask_b32_e64 v85, 0, v84, s8
	v_add_f32_e32 v74, v74, v78
	v_exp_f32_e32 v72, v72
	s_mov_b32 s3, exec_lo
	s_waitcnt_depctr 0xfff
	v_cndmask_b32_e64 v81, 0, v75, s4
	v_cndmask_b32_e64 v82, 0, v72, s7
	s_delay_alu instid0(VALU_DEP_2) | instskip(NEXT) | instid1(VALU_DEP_1)
	v_add_f32_e32 v74, v74, v81
	v_add_f32_e32 v74, v74, v80
	s_delay_alu instid0(VALU_DEP_1) | instskip(SKIP_4) | instid1(VALU_DEP_4)
	v_add_f32_e32 v72, v74, v83
	v_fma_f32 v75, s19, v134, -v71
	v_fma_f32 v76, s19, v119, -v71
	;; [unrolled: 1-line block ×4, first 2 shown]
	v_dual_add_f32 v72, v72, v82 :: v_dual_mul_f32 v75, 0x3fb8aa3b, v75
	s_delay_alu instid0(VALU_DEP_3) | instskip(SKIP_1) | instid1(VALU_DEP_3)
	v_dual_mul_f32 v76, 0x3fb8aa3b, v76 :: v_dual_mul_f32 v77, 0x3fb8aa3b, v77
	v_fma_f32 v86, s19, v122, -v71
	v_add_f32_e32 v72, v72, v85
	s_delay_alu instid0(VALU_DEP_4) | instskip(NEXT) | instid1(VALU_DEP_3)
	v_exp_f32_e32 v75, v75
	v_exp_f32_e32 v76, v76
	;; [unrolled: 1-line block ×3, first 2 shown]
	v_mul_f32_e32 v86, 0x3fb8aa3b, v86
	s_delay_alu instid0(VALU_DEP_1) | instskip(SKIP_3) | instid1(TRANS32_DEP_3)
	v_exp_f32_e32 v88, v86
	v_cndmask_b32_e64 v84, 0, v75, s9
	v_fma_f32 v75, s19, v123, -v71
	v_mul_f32_e32 v74, 0x3fb8aa3b, v74
	v_cndmask_b32_e64 v87, 0, v76, s10
	v_fma_f32 v76, s19, v124, -v71
	s_delay_alu instid0(VALU_DEP_4) | instskip(NEXT) | instid1(VALU_DEP_4)
	v_dual_add_f32 v72, v72, v84 :: v_dual_mul_f32 v75, 0x3fb8aa3b, v75
	v_exp_f32_e32 v74, v74
	v_cndmask_b32_e64 v86, 0, v77, s11
	v_fma_f32 v77, s19, v125, -v71
	s_delay_alu instid0(VALU_DEP_3) | instskip(SKIP_3) | instid1(VALU_DEP_3)
	v_add_f32_e32 v72, v72, v87
	v_mul_f32_e32 v76, 0x3fb8aa3b, v76
	v_exp_f32_e32 v75, v75
	v_cndmask_b32_e64 v88, 0, v88, s13
	v_add_f32_e32 v72, v72, v86
	s_delay_alu instid0(VALU_DEP_3) | instskip(NEXT) | instid1(TRANS32_DEP_3)
	v_exp_f32_e32 v76, v76
	v_cndmask_b32_e64 v89, 0, v74, s12
	v_mul_f32_e32 v74, 0x3fb8aa3b, v77
	v_fma_f32 v77, s19, v126, -v71
	s_delay_alu instid0(VALU_DEP_3) | instskip(NEXT) | instid1(VALU_DEP_3)
	v_add_f32_e32 v72, v72, v89
	v_exp_f32_e32 v74, v74
	s_delay_alu instid0(TRANS32_DEP_3) | instskip(NEXT) | instid1(VALU_DEP_3)
	v_cndmask_b32_e64 v91, 0, v75, s15
	v_mul_f32_e32 v75, 0x3fb8aa3b, v77
	s_delay_alu instid0(TRANS32_DEP_2) | instskip(SKIP_1) | instid1(VALU_DEP_3)
	v_cndmask_b32_e64 v90, 0, v76, s16
	v_add_f32_e32 v72, v72, v88
	v_exp_f32_e32 v75, v75
	s_delay_alu instid0(VALU_DEP_1) | instskip(NEXT) | instid1(TRANS32_DEP_2)
	v_add_f32_e32 v72, v72, v91
	v_cndmask_b32_e64 v93, 0, v74, s17
	s_delay_alu instid0(VALU_DEP_2) | instskip(SKIP_3) | instid1(VALU_DEP_1)
	v_add_f32_e32 v72, v72, v90
	s_waitcnt_depctr 0xfff
	v_cndmask_b32_e64 v92, 0, v75, s18
	v_add_f32_e32 v72, v72, v93
	v_add_f32_e32 v72, v72, v92
	ds_bpermute_b32 v73, v73, v72
	v_cmpx_gt_u32_e32 16, v70
	s_cbranch_execz .LBB1195_12
; %bb.11:
	v_mul_u32_u24_e32 v70, 0x44, v69
	s_waitcnt lgkmcnt(0)
	v_add_f32_e32 v72, v72, v73
	s_delay_alu instid0(VALU_DEP_2) | instskip(NEXT) | instid1(VALU_DEP_1)
	v_lshl_add_u32 v70, v68, 2, v70
	v_add_nc_u32_e32 v70, 0x4000, v70
	ds_store_2addr_b32 v70, v71, v72 offset1:136
.LBB1195_12:
	s_or_b32 exec_lo, exec_lo, s3
	v_lshlrev_b32_e32 v70, 2, v68
	s_load_b32 s35, s[0:1], 0x94
	s_waitcnt lgkmcnt(0)
	s_barrier
	buffer_gl0_inv
	v_add_nc_u32_e32 v98, 0x4000, v70
	v_cmp_eq_u32_e32 vcc_lo, 1, v69
	v_cmp_eq_u32_e64 s3, 2, v69
	v_cmp_eq_u32_e64 s4, 3, v69
	;; [unrolled: 1-line block ×3, first 2 shown]
	ds_load_2addr_b32 v[70:71], v98 offset1:17
	ds_load_2addr_b32 v[72:73], v98 offset0:34 offset1:51
	ds_load_2addr_b32 v[74:75], v98 offset0:68 offset1:85
	;; [unrolled: 1-line block ×3, first 2 shown]
	v_cmp_eq_u32_e64 s6, 5, v69
	v_cmp_eq_u32_e64 s7, 7, v69
	s_waitcnt lgkmcnt(3)
	v_max3_f32 v76, v70, 0xff7fffff, v71
	s_waitcnt lgkmcnt(2)
	s_delay_alu instid0(VALU_DEP_1) | instskip(SKIP_1) | instid1(VALU_DEP_1)
	v_max3_f32 v76, v76, v72, v73
	s_waitcnt lgkmcnt(1)
	v_max3_f32 v76, v76, v74, v75
	s_waitcnt lgkmcnt(0)
	s_delay_alu instid0(VALU_DEP_1) | instskip(NEXT) | instid1(VALU_DEP_1)
	v_max3_f32 v76, v76, v94, v95
	v_sub_f32_e32 v77, v71, v76
	ds_load_2addr_b32 v[96:97], v98 offset0:136 offset1:153
	v_sub_f32_e32 v74, v74, v76
	v_sub_f32_e32 v70, v70, v76
	;; [unrolled: 1-line block ×3, first 2 shown]
	v_dual_sub_f32 v72, v72, v76 :: v_dual_mul_f32 v77, 0x3fb8aa3b, v77
	s_delay_alu instid0(VALU_DEP_4) | instskip(NEXT) | instid1(VALU_DEP_4)
	v_mul_f32_e32 v103, 0x3fb8aa3b, v74
	v_mul_f32_e32 v99, 0x3fb8aa3b, v70
	ds_load_2addr_b32 v[70:71], v98 offset0:170 offset1:187
	v_dual_mul_f32 v101, 0x3fb8aa3b, v72 :: v_dual_mul_f32 v94, 0x3fb8aa3b, v94
	v_exp_f32_e32 v102, v77
	v_exp_f32_e32 v99, v99
	s_delay_alu instid0(VALU_DEP_1) | instskip(NEXT) | instid1(VALU_DEP_1)
	v_exp_f32_e32 v101, v101
	v_exp_f32_e32 v94, v94
	s_waitcnt lgkmcnt(1)
	s_delay_alu instid0(TRANS32_DEP_3)
	v_fma_f32 v77, v99, v96, 0
	v_sub_f32_e32 v100, v73, v76
	ds_load_2addr_b32 v[72:73], v98 offset0:204 offset1:221
	v_fmac_f32_e32 v77, v102, v97
	v_exp_f32_e32 v97, v103
	s_waitcnt lgkmcnt(1)
	s_delay_alu instid0(VALU_DEP_1)
	v_dual_fmac_f32 v77, v101, v70 :: v_dual_sub_f32 v96, v75, v76
	ds_load_2addr_b32 v[74:75], v98 offset0:238 offset1:255
	v_sub_f32_e32 v70, v95, v76
	s_waitcnt lgkmcnt(0)
	s_barrier
	v_mul_f32_e32 v96, 0x3fb8aa3b, v96
	buffer_gl0_inv
	v_exp_f32_e32 v95, v96
	v_mul_f32_e32 v100, 0x3fb8aa3b, v100
	s_delay_alu instid0(VALU_DEP_1) | instskip(SKIP_3) | instid1(VALU_DEP_2)
	v_exp_f32_e32 v100, v100
	s_waitcnt_depctr 0xfff
	v_dual_fmac_f32 v77, v100, v71 :: v_dual_mul_f32 v70, 0x3fb8aa3b, v70
	v_cndmask_b32_e32 v71, v99, v102, vcc_lo
	v_fmac_f32_e32 v77, v97, v72
	s_delay_alu instid0(VALU_DEP_3) | instskip(NEXT) | instid1(VALU_DEP_1)
	v_exp_f32_e32 v96, v70
	v_fmac_f32_e32 v77, v95, v73
	s_delay_alu instid0(VALU_DEP_1) | instskip(SKIP_2) | instid1(VALU_DEP_1)
	v_fmac_f32_e32 v77, v94, v74
	s_waitcnt_depctr 0xfff
	v_fmac_f32_e32 v77, v96, v75
	v_add_f32_e32 v74, 0x358637bd, v77
	s_delay_alu instid0(VALU_DEP_1) | instskip(SKIP_1) | instid1(VALU_DEP_2)
	v_div_scale_f32 v98, null, v74, v74, 1.0
	v_div_scale_f32 v99, vcc_lo, 1.0, v74, 1.0
	v_rcp_f32_e32 v103, v98
	s_waitcnt_depctr 0xfff
	v_fma_f32 v70, -v98, v103, 1.0
	s_delay_alu instid0(VALU_DEP_1) | instskip(SKIP_2) | instid1(VALU_DEP_2)
	v_fmac_f32_e32 v103, v70, v103
	v_cndmask_b32_e64 v70, v71, v101, s3
	v_cmp_eq_u32_e64 s3, 6, v69
	v_cndmask_b32_e64 v71, v70, v100, s4
	s_delay_alu instid0(VALU_DEP_4) | instskip(NEXT) | instid1(VALU_DEP_2)
	v_dual_mul_f32 v101, v99, v103 :: v_dual_lshlrev_b32 v70, 2, v66
	v_cndmask_b32_e64 v71, v71, v97, s5
	s_delay_alu instid0(VALU_DEP_2) | instskip(NEXT) | instid1(VALU_DEP_3)
	v_or_b32_e32 v72, 1, v70
	v_fma_f32 v100, -v98, v101, v99
	v_cmp_eq_u32_e64 s4, 1, v70
	v_cmp_eq_u32_e64 s5, 2, v70
	v_cndmask_b32_e64 v95, v71, v95, s6
	v_or_b32_e32 v71, 3, v70
	v_fmac_f32_e32 v101, v100, v103
	v_cmp_eq_u32_e64 s9, 1, v72
	v_cmp_eq_u32_e64 s12, 2, v72
	v_cndmask_b32_e64 v94, v95, v94, s3
	v_cmp_eq_u32_e64 s11, 1, v71
	v_fma_f32 v97, -v98, v101, v99
	v_cmp_eq_u32_e64 s16, 2, v71
	v_cmp_eq_u32_e64 s13, 3, v72
	v_cndmask_b32_e64 v94, v94, v96, s7
	v_cmp_eq_u32_e64 s18, 3, v71
	v_div_fmas_f32 v95, v97, v103, v101
	v_cmp_eq_u32_e32 vcc_lo, 3, v70
	v_cmp_eq_u32_e64 s3, 4, v70
	v_cmp_eq_u32_e64 s19, 4, v72
	;; [unrolled: 1-line block ×3, first 2 shown]
	v_div_fixup_f32 v95, v95, v74, 1.0
	v_lshlrev_b32_e32 v73, 6, v68
	v_cmp_eq_u32_e64 s6, 5, v70
	v_cmp_eq_u32_e64 s20, 5, v72
	;; [unrolled: 1-line block ×3, first 2 shown]
	v_mul_f32_e32 v102, v94, v95
	v_lshl_or_b32 v75, v69, 11, v73
	v_or_b32_e32 v69, 2, v70
	v_cmp_eq_u32_e64 s25, 6, v72
	v_cmp_eq_u32_e64 s27, 6, v71
	v_fma_mixlo_f16 v94, v102, v79, 0
	v_fma_mixlo_f16 v95, v102, v81, 0
	;; [unrolled: 1-line block ×8, first 2 shown]
	v_lshl_or_b32 v74, v66, 4, v75
	v_fma_mixhi_f16 v94, v102, v78, 0
	v_fma_mixhi_f16 v95, v102, v80, 0
	;; [unrolled: 1-line block ×8, first 2 shown]
	ds_store_b128 v74, v[94:97]
	ds_store_b128 v74, v[98:101] offset:1024
	s_waitcnt lgkmcnt(0)
	s_barrier
	buffer_gl0_inv
	ds_load_b128 v[78:81], v75
	ds_load_b128 v[82:85], v75 offset:16
	ds_load_b128 v[86:89], v75 offset:1024
	;; [unrolled: 1-line block ×3, first 2 shown]
	v_cmp_eq_u32_e64 s10, 1, v69
	v_cmp_eq_u32_e64 s15, 2, v69
	;; [unrolled: 1-line block ×11, first 2 shown]
	s_waitcnt lgkmcnt(3)
	v_lshrrev_b32_e32 v94, 16, v78
	s_waitcnt lgkmcnt(2)
	v_lshrrev_b32_e32 v98, 16, v82
	;; [unrolled: 2-line block ×4, first 2 shown]
	v_lshrrev_b32_e32 v95, 16, v79
	v_cndmask_b32_e64 v110, v78, v94, s4
	v_cndmask_b32_e64 v111, v82, v98, s4
	v_cndmask_b32_e64 v112, v78, v94, s9
	v_cndmask_b32_e64 v113, v82, v98, s9
	v_cndmask_b32_e64 v114, v78, v94, s10
	v_cndmask_b32_e64 v115, v82, v98, s10
	v_cndmask_b32_e64 v78, v78, v94, s11
	v_cndmask_b32_e64 v82, v82, v98, s11
	v_lshrrev_b32_e32 v99, 16, v83
	v_cndmask_b32_e64 v94, v86, v102, s4
	v_cndmask_b32_e64 v98, v90, v106, s4
	;; [unrolled: 1-line block ×15, first 2 shown]
	v_lshrrev_b32_e32 v103, 16, v87
	v_lshrrev_b32_e32 v107, 16, v91
	v_cndmask_b32_e64 v113, v115, v83, s15
	v_cndmask_b32_e64 v82, v94, v87, s5
	;; [unrolled: 1-line block ×7, first 2 shown]
	v_cndmask_b32_e32 v90, v102, v95, vcc_lo
	v_cndmask_b32_e32 v102, v106, v99, vcc_lo
	v_cndmask_b32_e64 v106, v110, v95, s13
	v_cndmask_b32_e64 v110, v111, v99, s13
	;; [unrolled: 1-line block ×4, first 2 shown]
	v_lshrrev_b32_e32 v96, 16, v80
	v_lshrrev_b32_e32 v100, 16, v84
	v_cndmask_b32_e64 v111, v112, v95, s17
	v_cndmask_b32_e64 v112, v113, v99, s17
	v_cndmask_b32_e32 v82, v82, v103, vcc_lo
	v_cndmask_b32_e32 v83, v83, v107, vcc_lo
	v_cndmask_b32_e64 v94, v94, v103, s13
	v_cndmask_b32_e64 v90, v90, v80, s3
	;; [unrolled: 1-line block ×7, first 2 shown]
	v_lshrrev_b32_e32 v104, 16, v88
	v_cndmask_b32_e64 v106, v111, v80, s21
	v_cndmask_b32_e64 v110, v112, v84, s21
	;; [unrolled: 1-line block ×11, first 2 shown]
	v_lshrrev_b32_e32 v97, 16, v81
	v_lshrrev_b32_e32 v101, 16, v85
	v_cndmask_b32_e64 v99, v106, v96, s23
	v_cndmask_b32_e64 v102, v110, v100, s23
	;; [unrolled: 1-line block ×7, first 2 shown]
	v_lshrrev_b32_e32 v105, 16, v89
	v_cndmask_b32_e64 v80, v80, v104, s6
	v_cndmask_b32_e64 v84, v84, v81, s7
	;; [unrolled: 1-line block ×16, first 2 shown]
	v_perm_b32 v81, v79, v78, 0x5040100
	v_perm_b32 v79, v95, v85, 0x5040100
	v_cndmask_b32_e64 v78, v119, v91, s15
	v_cndmask_b32_e64 v85, v117, v91, s12
	;; [unrolled: 1-line block ×3, first 2 shown]
	v_perm_b32 v80, v94, v90, 0x5040100
	v_cndmask_b32_e64 v90, v98, v103, s17
	v_cndmask_b32_e64 v86, v86, v103, s18
	;; [unrolled: 1-line block ×5, first 2 shown]
	v_lshrrev_b32_e32 v108, 16, v92
	v_cndmask_b32_e64 v90, v90, v88, s21
	v_cndmask_b32_e64 v86, v86, v88, s22
	;; [unrolled: 1-line block ×11, first 2 shown]
	v_lshrrev_b32_e32 v109, 16, v93
	v_cndmask_b32_e64 v82, v82, v93, s7
	v_cndmask_b32_e64 v88, v88, v89, s26
	;; [unrolled: 1-line block ×12, first 2 shown]
	v_perm_b32 v78, v84, v83, 0x5040100
	v_perm_b32 v85, v87, v86, 0x5040100
	;; [unrolled: 1-line block ×5, first 2 shown]
	s_mul_i32 s8, s33, 14
	s_mov_b32 s3, exec_lo
	ds_store_b128 v74, v[78:81]
	ds_store_b128 v74, v[82:85] offset:1024
	v_cmpx_gt_u32_e32 14, v0
	s_cbranch_execz .LBB1195_14
; %bb.13:
	s_mul_i32 s4, s8, s34
	s_delay_alu instid0(SALU_CYCLE_1) | instskip(SKIP_1) | instid1(VALU_DEP_1)
	v_add3_u32 v68, s4, s31, v68
	s_load_b128 s[4:7], s[0:1], 0x58
	v_mad_u64_u32 v[78:79], null, v68, s35, s[14:15]
	s_delay_alu instid0(VALU_DEP_1) | instskip(NEXT) | instid1(VALU_DEP_1)
	v_ashrrev_i32_e32 v79, 31, v78
	v_lshlrev_b64 v[78:79], 2, v[78:79]
	s_waitcnt lgkmcnt(0)
	s_delay_alu instid0(VALU_DEP_1) | instskip(NEXT) | instid1(VALU_DEP_2)
	v_add_co_u32 v80, vcc_lo, s6, v78
	v_add_co_ci_u32_e32 v81, vcc_lo, s7, v79, vcc_lo
	v_add_co_u32 v78, vcc_lo, s4, v78
	v_add_co_ci_u32_e32 v79, vcc_lo, s5, v79, vcc_lo
	global_store_b32 v[80:81], v76, off
	global_store_b32 v[78:79], v77, off
.LBB1195_14:
	s_or_b32 exec_lo, exec_lo, s3
	s_waitcnt lgkmcnt(0)
	s_waitcnt_vscnt null, 0x0
	s_barrier
	buffer_gl0_inv
	ds_load_b128 v[84:87], v73
	ds_load_b128 v[88:91], v73 offset:16
	ds_load_b128 v[96:99], v73 offset:2064
	;; [unrolled: 1-line block ×5, first 2 shown]
	v_cmp_eq_u32_e32 vcc_lo, 1, v70
	v_mov_b32_e32 v76, 0
	ds_load_b128 v[112:115], v73 offset:6160
	ds_load_b128 v[108:111], v73 offset:6144
	ds_load_b128 v[120:123], v73 offset:8208
	ds_load_b128 v[116:119], v73 offset:8192
	v_cmp_eq_u32_e64 s4, 1, v69
	v_cmp_eq_u32_e64 s3, 1, v72
	;; [unrolled: 1-line block ×3, first 2 shown]
	v_mov_b32_e32 v77, v76
	v_mov_b32_e32 v78, v76
	v_mov_b32_e32 v79, v76
	v_mov_b32_e32 v80, v76
	v_mov_b32_e32 v81, v76
	v_mov_b32_e32 v82, v76
	v_mov_b32_e32 v83, v76
	v_cmp_eq_u32_e64 s6, 3, v72
	v_cmp_eq_u32_e64 s7, 7, v72
	s_waitcnt lgkmcnt(8)
	s_delay_alu instid0(VALU_DEP_3)
	v_wmma_f32_16x16x16_f16 v[76:83], v[49:56], v[84:91], v[76:83]
	ds_load_b128 v[53:56], v73 offset:10256
	ds_load_b128 v[49:52], v73 offset:10240
	s_waitcnt lgkmcnt(8)
	v_wmma_f32_16x16x16_f16 v[76:83], v[41:48], v[92:99], v[76:83]
	ds_load_b128 v[45:48], v73 offset:12304
	ds_load_b128 v[41:44], v73 offset:12288
	s_waitcnt lgkmcnt(8)
	;; [unrolled: 4-line block ×3, first 2 shown]
	s_barrier
	buffer_gl0_inv
	v_wmma_f32_16x16x16_f16 v[76:83], v[1:8], v[108:115], v[76:83]
	s_delay_alu instid0(VALU_DEP_1) | instskip(NEXT) | instid1(VALU_DEP_1)
	v_wmma_f32_16x16x16_f16 v[76:83], v[9:16], v[116:123], v[76:83]
	v_wmma_f32_16x16x16_f16 v[76:83], v[17:24], v[49:56], v[76:83]
	s_delay_alu instid0(VALU_DEP_1) | instskip(NEXT) | instid1(VALU_DEP_1)
	v_wmma_f32_16x16x16_f16 v[76:83], v[25:32], v[41:48], v[76:83]
	v_wmma_f32_16x16x16_f16 v[76:83], v[57:64], v[33:40], v[76:83]
	s_delay_alu instid0(VALU_DEP_1) | instskip(NEXT) | instid1(VALU_DEP_2)
	v_cvt_f16_f32_e32 v1, v76
	v_cvt_f16_f32_e32 v2, v77
	s_delay_alu instid0(VALU_DEP_3) | instskip(NEXT) | instid1(VALU_DEP_4)
	v_cvt_f16_f32_e32 v3, v78
	v_cvt_f16_f32_e32 v4, v79
	;; [unrolled: 1-line block ×6, first 2 shown]
	v_pack_b32_f16 v1, v1, v2
	v_pack_b32_f16 v2, v3, v4
	v_pack_b32_f16 v3, v5, v6
	s_delay_alu instid0(VALU_DEP_4)
	v_pack_b32_f16 v4, v7, v8
	ds_store_b128 v74, v[1:4]
	s_waitcnt lgkmcnt(0)
	s_barrier
	buffer_gl0_inv
	ds_load_b128 v[1:4], v75
	ds_load_b128 v[5:8], v75 offset:16
	s_waitcnt lgkmcnt(1)
	v_lshrrev_b32_e32 v9, 16, v1
	s_waitcnt lgkmcnt(0)
	v_lshrrev_b32_e32 v13, 16, v5
	v_lshrrev_b32_e32 v10, 16, v2
	;; [unrolled: 1-line block ×4, first 2 shown]
	v_cndmask_b32_e32 v17, v1, v9, vcc_lo
	v_cndmask_b32_e32 v18, v5, v13, vcc_lo
	v_cndmask_b32_e64 v21, v1, v9, s4
	v_cmp_eq_u32_e32 vcc_lo, 1, v71
	v_cndmask_b32_e64 v22, v5, v13, s4
	v_cmp_eq_u32_e64 s4, 2, v70
	v_cndmask_b32_e64 v19, v1, v9, s3
	v_cndmask_b32_e64 v20, v5, v13, s3
	v_cndmask_b32_e32 v1, v1, v9, vcc_lo
	v_cmp_eq_u32_e64 s3, 2, v71
	v_cndmask_b32_e32 v5, v5, v13, vcc_lo
	v_cndmask_b32_e64 v9, v17, v2, s4
	v_cmp_eq_u32_e32 vcc_lo, 3, v70
	v_cndmask_b32_e64 v13, v18, v6, s4
	v_cmp_eq_u32_e64 s4, 2, v69
	v_cndmask_b32_e64 v17, v19, v2, s5
	v_cndmask_b32_e64 v18, v20, v6, s5
	v_cmp_eq_u32_e64 s5, 3, v69
	v_cndmask_b32_e64 v1, v1, v2, s3
	v_cndmask_b32_e64 v19, v21, v2, s4
	;; [unrolled: 1-line block ×4, first 2 shown]
	v_cndmask_b32_e32 v5, v9, v10, vcc_lo
	v_cndmask_b32_e32 v6, v13, v14, vcc_lo
	v_cmp_eq_u32_e32 vcc_lo, 3, v71
	v_cndmask_b32_e64 v9, v17, v10, s6
	v_cndmask_b32_e64 v13, v18, v14, s6
	v_cndmask_b32_e64 v18, v20, v14, s5
	v_cmp_eq_u32_e64 s4, 4, v70
	v_cndmask_b32_e32 v1, v1, v10, vcc_lo
	v_cndmask_b32_e32 v2, v2, v14, vcc_lo
	v_cmp_eq_u32_e32 vcc_lo, 4, v72
	v_lshrrev_b32_e32 v15, 16, v7
	v_lshrrev_b32_e32 v16, 16, v8
	v_cndmask_b32_e64 v17, v19, v10, s5
	v_cmp_eq_u32_e64 s3, 4, v71
	v_cndmask_b32_e64 v5, v5, v3, s4
	v_cndmask_b32_e64 v6, v6, v7, s4
	v_cndmask_b32_e32 v9, v9, v3, vcc_lo
	v_cmp_eq_u32_e64 s4, 5, v72
	v_cndmask_b32_e32 v10, v13, v7, vcc_lo
	v_cmp_eq_u32_e32 vcc_lo, 4, v69
	v_cmp_eq_u32_e64 s5, 5, v70
	v_cndmask_b32_e64 v2, v2, v7, s3
	v_cndmask_b32_e64 v9, v9, v11, s4
	v_cndmask_b32_e64 v10, v10, v15, s4
	v_cndmask_b32_e32 v13, v17, v3, vcc_lo
	v_cmp_eq_u32_e64 s4, 5, v69
	v_cndmask_b32_e32 v14, v18, v7, vcc_lo
	v_cndmask_b32_e64 v1, v1, v3, s3
	v_cmp_eq_u32_e32 vcc_lo, 5, v71
	v_lshrrev_b32_e32 v12, 16, v4
	v_cndmask_b32_e64 v13, v13, v11, s4
	v_cndmask_b32_e64 v3, v14, v15, s4
	v_cmp_eq_u32_e64 s4, 6, v71
	v_cndmask_b32_e32 v1, v1, v11, vcc_lo
	v_cndmask_b32_e64 v5, v5, v11, s5
	v_cmp_eq_u32_e64 s6, 6, v70
	v_cndmask_b32_e64 v6, v6, v15, s5
	v_cmp_eq_u32_e64 s5, 6, v72
	v_cmp_eq_u32_e64 s3, 6, v69
	v_cndmask_b32_e64 v1, v1, v4, s4
	v_cndmask_b32_e32 v2, v2, v15, vcc_lo
	v_cmp_eq_u32_e32 vcc_lo, 7, v71
	v_cndmask_b32_e64 v5, v5, v4, s6
	v_cndmask_b32_e64 v9, v9, v4, s5
	;; [unrolled: 1-line block ×3, first 2 shown]
	v_cmp_eq_u32_e64 s6, 7, v70
	v_cndmask_b32_e32 v1, v1, v12, vcc_lo
	v_cndmask_b32_e64 v7, v13, v4, s3
	v_cndmask_b32_e64 v3, v3, v8, s3
	;; [unrolled: 1-line block ×3, first 2 shown]
	v_cmp_eq_u32_e64 s3, 7, v69
	v_cndmask_b32_e64 v4, v10, v8, s5
	v_cndmask_b32_e64 v5, v5, v12, s6
	;; [unrolled: 1-line block ×3, first 2 shown]
	v_cndmask_b32_e32 v2, v2, v16, vcc_lo
	v_cndmask_b32_e64 v7, v7, v12, s3
	v_cndmask_b32_e64 v3, v3, v16, s3
	;; [unrolled: 1-line block ×4, first 2 shown]
	v_cmp_gt_u32_e32 vcc_lo, 32, v0
	v_perm_b32 v4, v2, v1, 0x5040100
	v_perm_b32 v3, v3, v7, 0x5040100
	;; [unrolled: 1-line block ×4, first 2 shown]
	s_and_b32 s2, vcc_lo, s2
	ds_store_b128 v74, v[1:4]
	s_waitcnt lgkmcnt(0)
	s_barrier
	buffer_gl0_inv
	s_and_saveexec_b32 s3, s2
	s_cbranch_execz .LBB1195_2
; %bb.15:
	s_load_b64 s[0:1], s[0:1], 0x68
	v_lshlrev_b32_e32 v0, 10, v0
	s_lshl_b32 s4, s35, 6
	v_or_b32_e32 v3, s31, v66
	s_mul_i32 s2, s4, s34
	v_lshlrev_b32_e32 v1, 4, v67
	v_lshlrev_b32_e32 v2, 6, v66
	v_and_b32_e32 v0, 0x3800, v0
	s_mul_i32 s2, s2, s8
	v_mul_lo_u32 v8, v3, s4
	s_ashr_i32 s3, s2, 31
	s_delay_alu instid0(SALU_CYCLE_1)
	s_lshl_b64 s[2:3], s[2:3], 1
	v_or3_b32 v16, v0, v1, v2
	ds_load_b128 v[0:3], v16
	ds_load_b128 v[4:7], v16 offset:128
	v_ashrrev_i32_e32 v9, 31, v8
	s_waitcnt lgkmcnt(0)
	s_add_u32 s2, s0, s2
	s_addc_u32 s3, s1, s3
	s_lshl_b32 s0, s14, 6
	s_delay_alu instid0(SALU_CYCLE_1) | instskip(SKIP_2) | instid1(SALU_CYCLE_1)
	s_ashr_i32 s1, s0, 31
	v_lshlrev_b64 v[9:10], 1, v[8:9]
	s_lshl_b64 s[0:1], s[0:1], 1
	s_add_u32 s0, s2, s0
	s_addc_u32 s1, s3, s1
	s_lshl_b32 s2, s35, 7
	v_add_co_u32 v30, s0, s0, v65
	v_add_nc_u32_e32 v11, s2, v8
	v_add_co_ci_u32_e64 v31, null, s1, 0, s0
	s_delay_alu instid0(VALU_DEP_3) | instskip(NEXT) | instid1(VALU_DEP_3)
	v_add_co_u32 v9, vcc_lo, v30, v9
	v_add_nc_u32_e32 v8, s2, v11
	s_delay_alu instid0(VALU_DEP_3) | instskip(SKIP_1) | instid1(VALU_DEP_3)
	v_add_co_ci_u32_e32 v10, vcc_lo, v31, v10, vcc_lo
	v_ashrrev_i32_e32 v12, 31, v11
	v_add_nc_u32_e32 v13, s2, v8
	global_store_b128 v[9:10], v[0:3], off
	v_ashrrev_i32_e32 v9, 31, v8
	v_lshlrev_b64 v[11:12], 1, v[11:12]
	v_ashrrev_i32_e32 v14, 31, v13
	v_add_nc_u32_e32 v10, s2, v13
	s_delay_alu instid0(VALU_DEP_4) | instskip(NEXT) | instid1(VALU_DEP_4)
	v_lshlrev_b64 v[2:3], 1, v[8:9]
	v_add_co_u32 v0, vcc_lo, v30, v11
	s_delay_alu instid0(VALU_DEP_4)
	v_lshlrev_b64 v[8:9], 1, v[13:14]
	v_add_co_ci_u32_e32 v1, vcc_lo, v31, v12, vcc_lo
	v_ashrrev_i32_e32 v11, 31, v10
	v_add_co_u32 v22, vcc_lo, v30, v2
	v_add_nc_u32_e32 v20, s2, v10
	v_add_co_ci_u32_e32 v23, vcc_lo, v31, v3, vcc_lo
	v_add_co_u32 v24, vcc_lo, v30, v8
	global_store_b128 v[0:1], v[4:7], off
	v_add_co_ci_u32_e32 v25, vcc_lo, v31, v9, vcc_lo
	ds_load_b128 v[0:3], v16 offset:256
	ds_load_b128 v[4:7], v16 offset:384
	v_lshlrev_b64 v[26:27], 1, v[10:11]
	ds_load_b128 v[8:11], v16 offset:512
	ds_load_b128 v[12:15], v16 offset:640
	;; [unrolled: 1-line block ×3, first 2 shown]
	v_add_nc_u32_e32 v28, s2, v20
	v_ashrrev_i32_e32 v21, 31, v20
	v_add_co_u32 v26, vcc_lo, v30, v26
	s_delay_alu instid0(VALU_DEP_3) | instskip(NEXT) | instid1(VALU_DEP_3)
	v_ashrrev_i32_e32 v29, 31, v28
	v_lshlrev_b64 v[20:21], 1, v[20:21]
	v_add_co_ci_u32_e32 v27, vcc_lo, v31, v27, vcc_lo
	s_delay_alu instid0(VALU_DEP_3) | instskip(NEXT) | instid1(VALU_DEP_3)
	v_lshlrev_b64 v[28:29], 1, v[28:29]
	v_add_co_u32 v20, vcc_lo, v30, v20
	s_delay_alu instid0(VALU_DEP_4) | instskip(NEXT) | instid1(VALU_DEP_3)
	v_add_co_ci_u32_e32 v21, vcc_lo, v31, v21, vcc_lo
	v_add_co_u32 v28, vcc_lo, v30, v28
	s_delay_alu instid0(VALU_DEP_4)
	v_add_co_ci_u32_e32 v29, vcc_lo, v31, v29, vcc_lo
	s_waitcnt lgkmcnt(4)
	global_store_b128 v[22:23], v[0:3], off
	s_waitcnt lgkmcnt(3)
	global_store_b128 v[24:25], v[4:7], off
	;; [unrolled: 2-line block ×5, first 2 shown]
	s_nop 0
	s_sendmsg sendmsg(MSG_DEALLOC_VGPRS)
	s_endpgm
	.section	.rodata,"a",@progbits
	.p2align	6, 0x0
	.amdhsa_kernel _Z39paged_attention_ll4mi_QKV_mfma16_kernelIDF16_hLN4vllm18Fp8KVCacheDataTypeE1EDF16_Li32ELi64ELi256ELb1ELi14EL8MFMAType0EEvPKT_PKT0_S8_ifPKiSA_SA_iPKfiiiPfSD_PS3_PT2_iSC_SC_
		.amdhsa_group_segment_fixed_size 17472
		.amdhsa_private_segment_fixed_size 0
		.amdhsa_kernarg_size 400
		.amdhsa_user_sgpr_count 13
		.amdhsa_user_sgpr_dispatch_ptr 0
		.amdhsa_user_sgpr_queue_ptr 0
		.amdhsa_user_sgpr_kernarg_segment_ptr 1
		.amdhsa_user_sgpr_dispatch_id 0
		.amdhsa_user_sgpr_private_segment_size 0
		.amdhsa_wavefront_size32 1
		.amdhsa_uses_dynamic_stack 0
		.amdhsa_enable_private_segment 0
		.amdhsa_system_sgpr_workgroup_id_x 1
		.amdhsa_system_sgpr_workgroup_id_y 1
		.amdhsa_system_sgpr_workgroup_id_z 1
		.amdhsa_system_sgpr_workgroup_info 0
		.amdhsa_system_vgpr_workitem_id 0
		.amdhsa_next_free_vgpr 146
		.amdhsa_next_free_sgpr 38
		.amdhsa_reserve_vcc 1
		.amdhsa_float_round_mode_32 0
		.amdhsa_float_round_mode_16_64 0
		.amdhsa_float_denorm_mode_32 3
		.amdhsa_float_denorm_mode_16_64 3
		.amdhsa_dx10_clamp 1
		.amdhsa_ieee_mode 1
		.amdhsa_fp16_overflow 0
		.amdhsa_workgroup_processor_mode 1
		.amdhsa_memory_ordered 1
		.amdhsa_forward_progress 0
		.amdhsa_shared_vgpr_count 0
		.amdhsa_exception_fp_ieee_invalid_op 0
		.amdhsa_exception_fp_denorm_src 0
		.amdhsa_exception_fp_ieee_div_zero 0
		.amdhsa_exception_fp_ieee_overflow 0
		.amdhsa_exception_fp_ieee_underflow 0
		.amdhsa_exception_fp_ieee_inexact 0
		.amdhsa_exception_int_div_zero 0
	.end_amdhsa_kernel
	.section	.text._Z39paged_attention_ll4mi_QKV_mfma16_kernelIDF16_hLN4vllm18Fp8KVCacheDataTypeE1EDF16_Li32ELi64ELi256ELb1ELi14EL8MFMAType0EEvPKT_PKT0_S8_ifPKiSA_SA_iPKfiiiPfSD_PS3_PT2_iSC_SC_,"axG",@progbits,_Z39paged_attention_ll4mi_QKV_mfma16_kernelIDF16_hLN4vllm18Fp8KVCacheDataTypeE1EDF16_Li32ELi64ELi256ELb1ELi14EL8MFMAType0EEvPKT_PKT0_S8_ifPKiSA_SA_iPKfiiiPfSD_PS3_PT2_iSC_SC_,comdat
.Lfunc_end1195:
	.size	_Z39paged_attention_ll4mi_QKV_mfma16_kernelIDF16_hLN4vllm18Fp8KVCacheDataTypeE1EDF16_Li32ELi64ELi256ELb1ELi14EL8MFMAType0EEvPKT_PKT0_S8_ifPKiSA_SA_iPKfiiiPfSD_PS3_PT2_iSC_SC_, .Lfunc_end1195-_Z39paged_attention_ll4mi_QKV_mfma16_kernelIDF16_hLN4vllm18Fp8KVCacheDataTypeE1EDF16_Li32ELi64ELi256ELb1ELi14EL8MFMAType0EEvPKT_PKT0_S8_ifPKiSA_SA_iPKfiiiPfSD_PS3_PT2_iSC_SC_
                                        ; -- End function
	.section	.AMDGPU.csdata,"",@progbits
; Kernel info:
; codeLenInByte = 6648
; NumSgprs: 40
; NumVgprs: 146
; ScratchSize: 0
; MemoryBound: 0
; FloatMode: 240
; IeeeMode: 1
; LDSByteSize: 17472 bytes/workgroup (compile time only)
; SGPRBlocks: 4
; VGPRBlocks: 18
; NumSGPRsForWavesPerEU: 40
; NumVGPRsForWavesPerEU: 146
; Occupancy: 9
; WaveLimiterHint : 1
; COMPUTE_PGM_RSRC2:SCRATCH_EN: 0
; COMPUTE_PGM_RSRC2:USER_SGPR: 13
; COMPUTE_PGM_RSRC2:TRAP_HANDLER: 0
; COMPUTE_PGM_RSRC2:TGID_X_EN: 1
; COMPUTE_PGM_RSRC2:TGID_Y_EN: 1
; COMPUTE_PGM_RSRC2:TGID_Z_EN: 1
; COMPUTE_PGM_RSRC2:TIDIG_COMP_CNT: 0
	.section	.text._Z39paged_attention_ll4mi_QKV_mfma16_kernelIDF16_hLN4vllm18Fp8KVCacheDataTypeE1EDF16_Li32ELi64ELi256ELb1ELi15EL8MFMAType0EEvPKT_PKT0_S8_ifPKiSA_SA_iPKfiiiPfSD_PS3_PT2_iSC_SC_,"axG",@progbits,_Z39paged_attention_ll4mi_QKV_mfma16_kernelIDF16_hLN4vllm18Fp8KVCacheDataTypeE1EDF16_Li32ELi64ELi256ELb1ELi15EL8MFMAType0EEvPKT_PKT0_S8_ifPKiSA_SA_iPKfiiiPfSD_PS3_PT2_iSC_SC_,comdat
	.protected	_Z39paged_attention_ll4mi_QKV_mfma16_kernelIDF16_hLN4vllm18Fp8KVCacheDataTypeE1EDF16_Li32ELi64ELi256ELb1ELi15EL8MFMAType0EEvPKT_PKT0_S8_ifPKiSA_SA_iPKfiiiPfSD_PS3_PT2_iSC_SC_ ; -- Begin function _Z39paged_attention_ll4mi_QKV_mfma16_kernelIDF16_hLN4vllm18Fp8KVCacheDataTypeE1EDF16_Li32ELi64ELi256ELb1ELi15EL8MFMAType0EEvPKT_PKT0_S8_ifPKiSA_SA_iPKfiiiPfSD_PS3_PT2_iSC_SC_
	.globl	_Z39paged_attention_ll4mi_QKV_mfma16_kernelIDF16_hLN4vllm18Fp8KVCacheDataTypeE1EDF16_Li32ELi64ELi256ELb1ELi15EL8MFMAType0EEvPKT_PKT0_S8_ifPKiSA_SA_iPKfiiiPfSD_PS3_PT2_iSC_SC_
	.p2align	8
	.type	_Z39paged_attention_ll4mi_QKV_mfma16_kernelIDF16_hLN4vllm18Fp8KVCacheDataTypeE1EDF16_Li32ELi64ELi256ELb1ELi15EL8MFMAType0EEvPKT_PKT0_S8_ifPKiSA_SA_iPKfiiiPfSD_PS3_PT2_iSC_SC_,@function
_Z39paged_attention_ll4mi_QKV_mfma16_kernelIDF16_hLN4vllm18Fp8KVCacheDataTypeE1EDF16_Li32ELi64ELi256ELb1ELi15EL8MFMAType0EEvPKT_PKT0_S8_ifPKiSA_SA_iPKfiiiPfSD_PS3_PT2_iSC_SC_: ; @_Z39paged_attention_ll4mi_QKV_mfma16_kernelIDF16_hLN4vllm18Fp8KVCacheDataTypeE1EDF16_Li32ELi64ELi256ELb1ELi15EL8MFMAType0EEvPKT_PKT0_S8_ifPKiSA_SA_iPKfiiiPfSD_PS3_PT2_iSC_SC_
; %bb.0:
	s_load_b64 s[2:3], s[0:1], 0x30
	s_mov_b32 s34, s13
	s_waitcnt lgkmcnt(0)
	s_cmp_lg_u64 s[2:3], 0
	s_cselect_b32 s6, -1, 0
	s_ashr_i32 s35, s13, 31
	s_cmp_eq_u64 s[2:3], 0
	s_cbranch_scc1 .LBB1196_3
; %bb.1:
	s_lshl_b64 s[4:5], s[34:35], 2
	s_delay_alu instid0(SALU_CYCLE_1) | instskip(SKIP_4) | instid1(SALU_CYCLE_1)
	s_add_u32 s4, s2, s4
	s_addc_u32 s5, s3, s5
	s_load_b64 s[4:5], s[4:5], 0x0
	s_waitcnt lgkmcnt(0)
	s_sub_i32 s4, s5, s4
	s_cmp_eq_u32 s4, 1
	s_cselect_b32 s4, -1, 0
	s_delay_alu instid0(SALU_CYCLE_1)
	s_and_not1_b32 vcc_lo, exec_lo, s4
	s_cbranch_vccz .LBB1196_4
.LBB1196_2:
	s_nop 0
	s_sendmsg sendmsg(MSG_DEALLOC_VGPRS)
	s_endpgm
.LBB1196_3:
.LBB1196_4:
	s_load_b64 s[8:9], s[0:1], 0x28
	s_lshl_b64 s[4:5], s[34:35], 2
	s_waitcnt lgkmcnt(0)
	s_add_u32 s8, s8, s4
	s_addc_u32 s9, s9, s5
	s_lshl_b32 s16, s14, 8
	s_load_b32 s18, s[8:9], 0x0
	s_waitcnt lgkmcnt(0)
	s_cmp_ge_i32 s16, s18
	s_cbranch_scc1 .LBB1196_2
; %bb.5:
	s_clause 0x1
	s_load_b128 s[8:11], s[0:1], 0x8
	s_load_b64 s[12:13], s[0:1], 0x20
	s_and_not1_b32 vcc_lo, exec_lo, s6
	s_cbranch_vccnz .LBB1196_7
; %bb.6:
	s_add_u32 s2, s2, s4
	s_addc_u32 s3, s3, s5
	s_load_b32 s3, s[2:3], 0x0
	s_branch .LBB1196_8
.LBB1196_7:
	s_mov_b32 s3, s34
.LBB1196_8:
	s_load_b128 s[4:7], s[0:1], 0x48
	v_lshrrev_b32_e32 v69, 5, v0
	v_bfe_u32 v66, v0, 4, 1
	v_and_b32_e32 v68, 15, v0
	v_and_b32_e32 v70, 31, v0
	;; [unrolled: 1-line block ×3, first 2 shown]
	s_mul_i32 s33, s15, 15
	v_lshl_or_b32 v1, v69, 1, v66
	v_lshlrev_b32_e32 v2, 3, v68
	v_cmp_gt_u32_e64 s2, 8, v68
	s_delay_alu instid0(VALU_DEP_3) | instskip(NEXT) | instid1(VALU_DEP_3)
	v_cmp_gt_u32_e32 vcc_lo, 15, v1
	v_lshlrev_b32_e32 v65, 1, v2
	s_delay_alu instid0(VALU_DEP_3)
	s_and_b32 s17, s2, vcc_lo
	s_waitcnt lgkmcnt(0)
	s_and_saveexec_b32 s7, s17
	s_cbranch_execz .LBB1196_10
; %bb.9:
	s_load_b64 s[20:21], s[0:1], 0x0
	v_add_lshl_u32 v2, v1, s33, 6
	s_mul_hi_i32 s23, s3, s4
	s_mul_i32 s22, s3, s4
	v_lshlrev_b32_e32 v6, 10, v68
	s_lshl_b64 s[22:23], s[22:23], 1
	v_ashrrev_i32_e32 v3, 31, v2
	v_lshlrev_b32_e32 v1, 6, v1
	v_lshlrev_b32_e32 v7, 10, v67
	v_and_b32_e32 v6, 0x3800, v6
	s_delay_alu instid0(VALU_DEP_4) | instskip(NEXT) | instid1(VALU_DEP_2)
	v_lshlrev_b64 v[2:3], 1, v[2:3]
	v_or3_b32 v1, v6, v7, v1
	s_waitcnt lgkmcnt(0)
	s_add_u32 s3, s20, s22
	s_addc_u32 s4, s21, s23
	s_delay_alu instid0(VALU_DEP_2) | instskip(SKIP_1) | instid1(VALU_DEP_2)
	v_add_co_u32 v2, vcc_lo, s3, v2
	v_add_co_ci_u32_e32 v3, vcc_lo, s4, v3, vcc_lo
	v_add_co_u32 v2, vcc_lo, v2, v65
	s_delay_alu instid0(VALU_DEP_2)
	v_add_co_ci_u32_e32 v3, vcc_lo, 0, v3, vcc_lo
	global_load_b128 v[2:5], v[2:3], off
	s_waitcnt vmcnt(0)
	ds_store_b128 v1, v[2:5]
.LBB1196_10:
	s_or_b32 exec_lo, exec_lo, s7
	v_and_b32_e32 v1, 0xef, v0
	s_add_i32 s3, s18, 31
	s_clause 0x1
	s_load_b32 s4, s[0:1], 0x38
	s_load_b32 s35, s[0:1], 0x98
	s_ashr_i32 s7, s3, 31
	v_add_nc_u32_e32 v1, s16, v1
	s_lshr_b32 s7, s7, 27
	s_load_b32 s19, s[0:1], 0x1c
	s_add_i32 s3, s3, s7
	s_waitcnt lgkmcnt(0)
	v_ashrrev_i32_e32 v2, 31, v1
	v_or_b32_e32 v3, 16, v1
	s_ashr_i32 s3, s3, 5
	v_cmp_gt_i32_e32 vcc_lo, s18, v1
	s_add_i32 s3, s3, -1
	v_lshrrev_b32_e32 v2, 27, v2
	s_barrier
	buffer_gl0_inv
	s_mul_i32 s15, s15, s6
	v_mbcnt_lo_u32_b32 v127, -1, 0
	v_add_nc_u32_e32 v4, v1, v2
	s_mul_i32 s20, s34, s4
	s_delay_alu instid0(SALU_CYCLE_1) | instskip(NEXT) | instid1(VALU_DEP_1)
	s_ashr_i32 s21, s20, 31
	v_ashrrev_i32_e32 v4, 5, v4
	v_add_nc_u32_e32 v2, v3, v2
	s_lshl_b64 s[20:21], s[20:21], 2
	v_xor_b32_e32 v128, 16, v127
	s_add_u32 s17, s12, s20
	v_cndmask_b32_e32 v1, s3, v4, vcc_lo
	v_ashrrev_i32_e32 v2, 5, v2
	v_cmp_gt_i32_e32 vcc_lo, s18, v3
	s_addc_u32 s13, s13, s21
	s_ashr_i32 s20, s15, 31
	s_add_u32 s22, s8, s15
	s_addc_u32 s23, s9, s20
	v_cndmask_b32_e32 v3, s3, v2, vcc_lo
	v_ashrrev_i32_e32 v2, 31, v1
	s_lshl_b32 s6, s14, 3
	s_delay_alu instid0(SALU_CYCLE_1) | instskip(NEXT) | instid1(VALU_DEP_2)
	s_ashr_i32 s7, s6, 31
	v_ashrrev_i32_e32 v4, 31, v3
	s_delay_alu instid0(VALU_DEP_2) | instskip(SKIP_1) | instid1(SALU_CYCLE_1)
	v_lshlrev_b64 v[1:2], 2, v[1:2]
	s_lshl_b64 s[6:7], s[6:7], 2
	s_add_u32 s6, s17, s6
	s_delay_alu instid0(VALU_DEP_2) | instskip(SKIP_1) | instid1(VALU_DEP_2)
	v_lshlrev_b64 v[3:4], 2, v[3:4]
	s_addc_u32 s7, s13, s7
	v_add_co_u32 v1, vcc_lo, s17, v1
	v_add_co_ci_u32_e32 v2, vcc_lo, s13, v2, vcc_lo
	s_delay_alu instid0(VALU_DEP_3) | instskip(NEXT) | instid1(VALU_DEP_4)
	v_add_co_u32 v3, vcc_lo, s17, v3
	v_add_co_ci_u32_e32 v4, vcc_lo, s13, v4, vcc_lo
	s_clause 0x1
	global_load_b32 v5, v[1:2], off
	global_load_b32 v6, v[3:4], off
	s_or_b32 s4, s16, 32
	s_delay_alu instid0(SALU_CYCLE_1) | instskip(SKIP_2) | instid1(SALU_CYCLE_1)
	s_ashr_i32 s8, s4, 5
	s_cmp_lt_i32 s4, s18
	s_cselect_b32 s8, s8, s3
	s_ashr_i32 s9, s8, 31
	s_delay_alu instid0(SALU_CYCLE_1) | instskip(NEXT) | instid1(SALU_CYCLE_1)
	s_lshl_b64 s[8:9], s[8:9], 2
	s_add_u32 s8, s17, s8
	s_addc_u32 s9, s13, s9
	s_or_b32 s4, s16, 64
	s_delay_alu instid0(SALU_CYCLE_1) | instskip(SKIP_2) | instid1(SALU_CYCLE_1)
	s_ashr_i32 s12, s4, 5
	s_cmp_lt_i32 s4, s18
	s_cselect_b32 s24, s12, s3
	s_ashr_i32 s25, s24, 31
	s_delay_alu instid0(SALU_CYCLE_1) | instskip(NEXT) | instid1(SALU_CYCLE_1)
	s_lshl_b64 s[24:25], s[24:25], 2
	s_add_u32 s24, s17, s24
	s_addc_u32 s25, s13, s25
	;; [unrolled: 10-line block ×5, first 2 shown]
	s_clause 0x5
	s_load_b32 s12, s[6:7], 0x0
	s_load_b32 s4, s[8:9], 0x0
	s_load_b32 s6, s[24:25], 0x0
	s_load_b32 s7, s[26:27], 0x0
	s_load_b32 s8, s[28:29], 0x0
	s_load_b32 s9, s[30:31], 0x0
	s_or_b32 s21, s16, 0xc0
	s_waitcnt vmcnt(1)
	v_mad_i64_i32 v[1:2], null, v5, s5, s[22:23]
	v_lshlrev_b32_e32 v5, 4, v68
	s_waitcnt vmcnt(0)
	v_mad_i64_i32 v[3:4], null, v6, s5, s[22:23]
	s_ashr_i32 s22, s21, 5
	s_cmp_lt_i32 s21, s18
	s_delay_alu instid0(VALU_DEP_3) | instskip(NEXT) | instid1(VALU_DEP_4)
	v_add_co_u32 v1, vcc_lo, v1, v5
	v_add_co_ci_u32_e32 v2, vcc_lo, 0, v2, vcc_lo
	s_delay_alu instid0(VALU_DEP_3) | instskip(NEXT) | instid1(VALU_DEP_4)
	v_add_co_u32 v3, vcc_lo, v3, v5
	v_add_co_ci_u32_e32 v4, vcc_lo, 0, v4, vcc_lo
	s_clause 0x7
	global_load_b128 v[71:74], v[1:2], off
	global_load_b128 v[75:78], v[1:2], off offset:512
	global_load_b128 v[79:82], v[3:4], off offset:256
	;; [unrolled: 1-line block ×7, first 2 shown]
	s_cselect_b32 s22, s22, s3
	v_lshlrev_b32_e32 v1, 5, v68
	s_ashr_i32 s23, s22, 31
	v_cmp_ne_u32_e32 vcc_lo, 15, v68
	s_lshl_b64 s[22:23], s[22:23], 2
	s_delay_alu instid0(SALU_CYCLE_1)
	s_add_u32 s22, s17, s22
	s_addc_u32 s23, s13, s23
	s_or_b32 s21, s16, 0xe0
	v_lshl_or_b32 v1, v69, 9, v1
	s_ashr_i32 s24, s21, 5
	s_cmp_lt_i32 s21, s18
	v_cndmask_b32_e32 v103, 0, v68, vcc_lo
	s_cselect_b32 s24, s24, s3
	s_load_b32 s3, s[22:23], 0x0
	s_ashr_i32 s25, s24, 31
	v_cmp_gt_i32_e32 vcc_lo, 32, v128
	s_lshl_b64 s[24:25], s[24:25], 2
	v_lshlrev_b32_e32 v115, 6, v103
	s_add_u32 s22, s17, s24
	s_addc_u32 s23, s13, s25
	v_cndmask_b32_e32 v136, v127, v128, vcc_lo
	s_add_u32 s10, s10, s15
	s_addc_u32 s11, s11, s20
	v_add_co_u32 v1, s10, s10, v1
	s_delay_alu instid0(VALU_DEP_1) | instskip(SKIP_2) | instid1(VALU_DEP_1)
	v_add_co_ci_u32_e64 v2, null, s11, 0, s10
	s_load_b32 s10, s[22:23], 0x0
	s_waitcnt lgkmcnt(0)
	v_mad_i64_i32 v[3:4], null, s12, s5, v[1:2]
	v_mad_i64_i32 v[9:10], null, s7, s5, v[1:2]
	v_mad_i64_i32 v[5:6], null, s4, s5, v[1:2]
	v_mad_i64_i32 v[13:14], null, s8, s5, v[1:2]
	v_mad_i64_i32 v[7:8], null, s6, s5, v[1:2]
	v_mad_i64_i32 v[21:22], null, s9, s5, v[1:2]
	v_mad_i64_i32 v[29:30], null, s3, s5, v[1:2]
	s_clause 0x5
	global_load_b128 v[49:52], v[3:4], off
	global_load_b128 v[53:56], v[3:4], off offset:16
	global_load_b128 v[41:44], v[5:6], off
	global_load_b128 v[45:48], v[5:6], off offset:16
	;; [unrolled: 2-line block ×3, first 2 shown]
	s_mov_b32 s4, 0
	v_mad_i64_i32 v[61:62], null, s10, s5, v[1:2]
	s_clause 0x9
	global_load_b128 v[1:4], v[9:10], off
	global_load_b128 v[5:8], v[9:10], off offset:16
	global_load_b128 v[9:12], v[13:14], off
	global_load_b128 v[13:16], v[13:14], off offset:16
	;; [unrolled: 2-line block ×5, first 2 shown]
	s_mov_b32 s5, s4
	s_mov_b32 s6, s4
	s_mov_b32 s7, s4
	s_mov_b32 s8, s4
	s_mov_b32 s9, s4
	s_mov_b32 s10, s4
	s_mov_b32 s11, s4
	v_and_b32_e32 v104, 0xe0, v0
	v_dual_mov_b32 v126, s11 :: v_dual_mov_b32 v125, s10
	v_dual_mov_b32 v124, s9 :: v_dual_mov_b32 v123, s8
	s_delay_alu instid0(VALU_DEP_3)
	v_add_nc_u32_e32 v111, s16, v104
	ds_load_b128 v[103:106], v115
	ds_load_b128 v[107:110], v115 offset:1024
	v_dual_mov_b32 v122, s7 :: v_dual_mov_b32 v121, s6
	v_mov_b32_e32 v120, s5
	v_or_b32_e32 v135, v111, v66
	ds_load_b128 v[111:114], v115 offset:2048
	ds_load_b128 v[115:118], v115 offset:3072
	v_mov_b32_e32 v119, s4
	s_waitcnt vmcnt(0) lgkmcnt(0)
	s_barrier
	v_or_b32_e32 v137, 2, v135
	v_or_b32_e32 v138, 4, v135
	;; [unrolled: 1-line block ×3, first 2 shown]
	v_cmp_gt_i32_e32 vcc_lo, s18, v135
	v_or_b32_e32 v140, 8, v135
	v_cmp_gt_i32_e64 s3, s18, v137
	v_or_b32_e32 v141, 10, v135
	v_cmp_gt_i32_e64 s4, s18, v138
	v_cmp_gt_i32_e64 s5, s18, v139
	v_or_b32_e32 v142, 12, v135
	v_or_b32_e32 v143, 14, v135
	v_cmp_gt_i32_e64 s6, s18, v140
	v_cmp_gt_i32_e64 s7, s18, v141
	v_or_b32_e32 v144, 16, v135
	v_or_b32_e32 v145, 18, v135
	v_cmp_gt_i32_e64 s8, s18, v142
	v_cmp_gt_i32_e64 s9, s18, v143
	buffer_gl0_inv
	v_cmp_gt_i32_e64 s10, s18, v144
	v_cmp_gt_i32_e64 s11, s18, v145
	v_wmma_f32_16x16x16_f16 v[127:134], v[71:78], v[103:110], v[119:126]
	v_wmma_f32_16x16x16_f16 v[119:126], v[79:86], v[103:110], v[119:126]
	v_or_b32_e32 v71, 20, v135
	v_or_b32_e32 v72, 22, v135
	s_delay_alu instid0(VALU_DEP_4)
	v_wmma_f32_16x16x16_f16 v[127:134], v[87:94], v[111:118], v[127:134]
	v_or_b32_e32 v73, 24, v135
	v_wmma_f32_16x16x16_f16 v[119:126], v[95:102], v[111:118], v[119:126]
	v_or_b32_e32 v74, 26, v135
	v_cmp_gt_i32_e64 s12, s18, v71
	v_dual_mul_f32 v84, s19, v127 :: v_dual_mul_f32 v83, s19, v128
	s_delay_alu instid0(VALU_DEP_4) | instskip(SKIP_2) | instid1(VALU_DEP_4)
	v_dual_mul_f32 v92, s19, v119 :: v_dual_mul_f32 v81, s19, v130
	v_mul_f32_e32 v90, s19, v121
	v_mul_f32_e32 v82, s19, v129
	v_cndmask_b32_e32 v84, 0xff7fffff, v84, vcc_lo
	v_cndmask_b32_e64 v83, 0xff7fffff, v83, s3
	v_dual_mul_f32 v79, s19, v132 :: v_dual_mul_f32 v88, s19, v123
	v_mul_f32_e32 v80, s19, v131
	v_cndmask_b32_e64 v82, 0xff7fffff, v82, s4
	v_cndmask_b32_e64 v81, 0xff7fffff, v81, s5
	v_max3_f32 v83, v84, 0xff7fffff, v83
	v_dual_mul_f32 v77, s19, v134 :: v_dual_mul_f32 v86, s19, v125
	v_mul_f32_e32 v78, s19, v133
	v_cndmask_b32_e64 v80, 0xff7fffff, v80, s6
	v_cndmask_b32_e64 v79, 0xff7fffff, v79, s7
	v_max3_f32 v81, v83, v82, v81
	v_mul_f32_e32 v91, s19, v120
	v_cndmask_b32_e64 v78, 0xff7fffff, v78, s8
	v_cndmask_b32_e64 v77, 0xff7fffff, v77, s9
	v_mul_f32_e32 v89, s19, v122
	v_max3_f32 v79, v81, v80, v79
	v_cndmask_b32_e64 v80, 0xff7fffff, v92, s10
	v_cndmask_b32_e64 v81, 0xff7fffff, v91, s11
	v_cmp_gt_i32_e64 s13, s18, v72
	v_or_b32_e32 v75, 28, v135
	v_max3_f32 v77, v79, v78, v77
	v_or_b32_e32 v76, 30, v135
	v_mul_f32_e32 v87, s19, v124
	v_cndmask_b32_e64 v71, 0xff7fffff, v90, s12
	v_cndmask_b32_e64 v72, 0xff7fffff, v89, s13
	v_max3_f32 v77, v77, v80, v81
	v_cmp_gt_i32_e64 s15, s18, v73
	v_cmp_gt_i32_e64 s16, s18, v74
	v_mul_f32_e32 v85, s19, v126
	v_cmp_gt_i32_e64 s17, s18, v75
	v_max3_f32 v71, v77, v71, v72
	v_cndmask_b32_e64 v73, 0xff7fffff, v88, s15
	v_cndmask_b32_e64 v74, 0xff7fffff, v87, s16
	v_cmp_gt_i32_e64 s18, s18, v76
	v_cndmask_b32_e64 v72, 0xff7fffff, v86, s17
	s_delay_alu instid0(VALU_DEP_3) | instskip(NEXT) | instid1(VALU_DEP_3)
	v_max3_f32 v71, v71, v73, v74
	v_cndmask_b32_e64 v75, 0xff7fffff, v85, s18
	v_lshlrev_b32_e32 v73, 2, v136
	s_delay_alu instid0(VALU_DEP_2) | instskip(SKIP_3) | instid1(VALU_DEP_1)
	v_max3_f32 v71, v71, v72, v75
	ds_bpermute_b32 v72, v73, v71
	s_waitcnt lgkmcnt(0)
	v_max_f32_e32 v72, v72, v72
	v_max_f32_e32 v71, v71, v72
	s_delay_alu instid0(VALU_DEP_1) | instskip(SKIP_2) | instid1(VALU_DEP_3)
	v_fma_f32 v72, s19, v127, -v71
	v_fma_f32 v74, s19, v128, -v71
	v_fma_f32 v75, s19, v129, -v71
	v_mul_f32_e32 v72, 0x3fb8aa3b, v72
	s_delay_alu instid0(VALU_DEP_2) | instskip(NEXT) | instid1(VALU_DEP_2)
	v_dual_mul_f32 v74, 0x3fb8aa3b, v74 :: v_dual_mul_f32 v75, 0x3fb8aa3b, v75
	v_exp_f32_e32 v72, v72
	s_delay_alu instid0(VALU_DEP_1) | instskip(NEXT) | instid1(VALU_DEP_1)
	v_exp_f32_e32 v74, v74
	v_exp_f32_e32 v75, v75
	s_delay_alu instid0(TRANS32_DEP_3)
	v_cndmask_b32_e32 v79, 0, v72, vcc_lo
	s_waitcnt_depctr 0xfff
	v_cndmask_b32_e64 v78, 0, v74, s3
	v_cndmask_b32_e64 v81, 0, v75, s4
	v_cmp_gt_u32_e64 s3, 16, v70
	v_add_f32_e32 v74, 0, v79
	s_delay_alu instid0(VALU_DEP_1) | instskip(NEXT) | instid1(VALU_DEP_1)
	v_add_f32_e32 v74, v74, v78
	v_add_f32_e32 v74, v74, v81
	v_fma_f32 v76, s19, v130, -v71
	v_fma_f32 v77, s19, v131, -v71
	;; [unrolled: 1-line block ×5, first 2 shown]
	s_delay_alu instid0(VALU_DEP_4) | instskip(NEXT) | instid1(VALU_DEP_4)
	v_dual_mul_f32 v76, 0x3fb8aa3b, v76 :: v_dual_mul_f32 v77, 0x3fb8aa3b, v77
	v_mul_f32_e32 v72, 0x3fb8aa3b, v72
	s_delay_alu instid0(VALU_DEP_4) | instskip(SKIP_1) | instid1(VALU_DEP_4)
	v_mul_f32_e32 v82, 0x3fb8aa3b, v80
	v_fma_f32 v86, s19, v122, -v71
	v_exp_f32_e32 v76, v76
	v_exp_f32_e32 v77, v77
	;; [unrolled: 1-line block ×4, first 2 shown]
	v_mul_f32_e32 v86, 0x3fb8aa3b, v86
	s_delay_alu instid0(VALU_DEP_1)
	v_exp_f32_e32 v88, v86
	v_cndmask_b32_e64 v80, 0, v76, s5
	v_mul_f32_e32 v75, 0x3fb8aa3b, v75
	v_fma_f32 v76, s19, v119, -v71
	v_cndmask_b32_e64 v83, 0, v77, s6
	v_fma_f32 v77, s19, v120, -v71
	v_add_f32_e32 v74, v74, v80
	v_exp_f32_e32 v75, v75
	v_mul_f32_e32 v76, 0x3fb8aa3b, v76
	v_cndmask_b32_e64 v82, 0, v72, s7
	s_delay_alu instid0(VALU_DEP_3) | instskip(SKIP_1) | instid1(VALU_DEP_4)
	v_dual_mul_f32 v77, 0x3fb8aa3b, v77 :: v_dual_add_f32 v72, v74, v83
	v_fma_f32 v74, s19, v121, -v71
	v_exp_f32_e32 v76, v76
	v_cndmask_b32_e64 v85, 0, v84, s8
	s_delay_alu instid0(VALU_DEP_3) | instskip(SKIP_1) | instid1(TRANS32_DEP_3)
	v_exp_f32_e32 v77, v77
	v_cndmask_b32_e64 v88, 0, v88, s13
	v_cndmask_b32_e64 v84, 0, v75, s9
	v_fma_f32 v75, s19, v123, -v71
	v_add_f32_e32 v72, v72, v82
	s_delay_alu instid0(VALU_DEP_2) | instskip(NEXT) | instid1(VALU_DEP_2)
	v_dual_mul_f32 v74, 0x3fb8aa3b, v74 :: v_dual_mul_f32 v75, 0x3fb8aa3b, v75
	v_add_f32_e32 v72, v72, v85
	s_delay_alu instid0(VALU_DEP_2)
	v_exp_f32_e32 v74, v74
	v_cndmask_b32_e64 v87, 0, v76, s10
	v_fma_f32 v76, s19, v124, -v71
	v_cndmask_b32_e64 v86, 0, v77, s11
	v_add_f32_e32 v72, v72, v84
	v_fma_f32 v77, s19, v125, -v71
	v_exp_f32_e32 v75, v75
	v_mul_f32_e32 v76, 0x3fb8aa3b, v76
	s_delay_alu instid0(VALU_DEP_3) | instskip(NEXT) | instid1(TRANS32_DEP_2)
	v_add_f32_e32 v72, v72, v87
	v_cndmask_b32_e64 v89, 0, v74, s12
	v_mul_f32_e32 v74, 0x3fb8aa3b, v77
	s_delay_alu instid0(VALU_DEP_4) | instskip(SKIP_2) | instid1(VALU_DEP_3)
	v_exp_f32_e32 v76, v76
	v_fma_f32 v77, s19, v126, -v71
	v_add_f32_e32 v72, v72, v86
	v_exp_f32_e32 v74, v74
	s_delay_alu instid0(TRANS32_DEP_3) | instskip(NEXT) | instid1(VALU_DEP_3)
	v_cndmask_b32_e64 v91, 0, v75, s15
	v_mul_f32_e32 v75, 0x3fb8aa3b, v77
	s_delay_alu instid0(VALU_DEP_3) | instskip(NEXT) | instid1(TRANS32_DEP_2)
	v_add_f32_e32 v72, v72, v89
	v_cndmask_b32_e64 v90, 0, v76, s16
	s_delay_alu instid0(VALU_DEP_3) | instskip(NEXT) | instid1(VALU_DEP_2)
	v_exp_f32_e32 v75, v75
	v_add_f32_e32 v72, v72, v88
	s_delay_alu instid0(TRANS32_DEP_2) | instskip(NEXT) | instid1(VALU_DEP_2)
	v_cndmask_b32_e64 v93, 0, v74, s17
	v_add_f32_e32 v72, v72, v91
	s_waitcnt_depctr 0xfff
	v_cndmask_b32_e64 v92, 0, v75, s18
	v_add_f32_e32 v72, v72, v90
	s_delay_alu instid0(VALU_DEP_1) | instskip(NEXT) | instid1(VALU_DEP_1)
	v_add_f32_e32 v72, v72, v93
	v_add_f32_e32 v72, v72, v92
	ds_bpermute_b32 v73, v73, v72
	s_and_saveexec_b32 s4, s3
	s_cbranch_execz .LBB1196_12
; %bb.11:
	v_mul_u32_u24_e32 v70, 0x44, v69
	s_waitcnt lgkmcnt(0)
	v_add_f32_e32 v72, v72, v73
	s_delay_alu instid0(VALU_DEP_2) | instskip(NEXT) | instid1(VALU_DEP_1)
	v_lshl_add_u32 v70, v68, 2, v70
	v_add_nc_u32_e32 v70, 0x4000, v70
	ds_store_2addr_b32 v70, v71, v72 offset1:136
.LBB1196_12:
	s_or_b32 exec_lo, exec_lo, s4
	v_lshlrev_b32_e32 v70, 2, v68
	s_load_b32 s36, s[0:1], 0x94
	s_waitcnt lgkmcnt(0)
	s_barrier
	buffer_gl0_inv
	v_add_nc_u32_e32 v98, 0x4000, v70
	v_cmp_eq_u32_e32 vcc_lo, 1, v69
	v_cmp_eq_u32_e64 s4, 2, v69
	v_cmp_eq_u32_e64 s5, 3, v69
	;; [unrolled: 1-line block ×3, first 2 shown]
	ds_load_2addr_b32 v[70:71], v98 offset1:17
	ds_load_2addr_b32 v[72:73], v98 offset0:34 offset1:51
	ds_load_2addr_b32 v[74:75], v98 offset0:68 offset1:85
	;; [unrolled: 1-line block ×3, first 2 shown]
	v_cmp_eq_u32_e64 s7, 5, v69
	v_cmp_eq_u32_e64 s8, 7, v69
	s_waitcnt lgkmcnt(3)
	v_max3_f32 v76, v70, 0xff7fffff, v71
	s_waitcnt lgkmcnt(2)
	s_delay_alu instid0(VALU_DEP_1) | instskip(SKIP_1) | instid1(VALU_DEP_1)
	v_max3_f32 v76, v76, v72, v73
	s_waitcnt lgkmcnt(1)
	v_max3_f32 v76, v76, v74, v75
	s_waitcnt lgkmcnt(0)
	s_delay_alu instid0(VALU_DEP_1) | instskip(NEXT) | instid1(VALU_DEP_1)
	v_max3_f32 v76, v76, v94, v95
	v_sub_f32_e32 v77, v71, v76
	ds_load_2addr_b32 v[96:97], v98 offset0:136 offset1:153
	v_sub_f32_e32 v74, v74, v76
	v_sub_f32_e32 v70, v70, v76
	;; [unrolled: 1-line block ×3, first 2 shown]
	v_dual_sub_f32 v72, v72, v76 :: v_dual_mul_f32 v77, 0x3fb8aa3b, v77
	s_delay_alu instid0(VALU_DEP_4) | instskip(NEXT) | instid1(VALU_DEP_4)
	v_mul_f32_e32 v103, 0x3fb8aa3b, v74
	v_mul_f32_e32 v99, 0x3fb8aa3b, v70
	ds_load_2addr_b32 v[70:71], v98 offset0:170 offset1:187
	v_dual_mul_f32 v101, 0x3fb8aa3b, v72 :: v_dual_mul_f32 v94, 0x3fb8aa3b, v94
	v_exp_f32_e32 v102, v77
	v_exp_f32_e32 v99, v99
	s_delay_alu instid0(VALU_DEP_1) | instskip(NEXT) | instid1(VALU_DEP_1)
	v_exp_f32_e32 v101, v101
	v_exp_f32_e32 v94, v94
	s_waitcnt lgkmcnt(1)
	s_delay_alu instid0(TRANS32_DEP_3)
	v_fma_f32 v77, v99, v96, 0
	v_sub_f32_e32 v100, v73, v76
	ds_load_2addr_b32 v[72:73], v98 offset0:204 offset1:221
	v_fmac_f32_e32 v77, v102, v97
	v_exp_f32_e32 v97, v103
	s_waitcnt lgkmcnt(1)
	s_delay_alu instid0(VALU_DEP_1)
	v_dual_fmac_f32 v77, v101, v70 :: v_dual_sub_f32 v96, v75, v76
	ds_load_2addr_b32 v[74:75], v98 offset0:238 offset1:255
	v_sub_f32_e32 v70, v95, v76
	s_waitcnt lgkmcnt(0)
	s_barrier
	v_mul_f32_e32 v96, 0x3fb8aa3b, v96
	buffer_gl0_inv
	v_exp_f32_e32 v95, v96
	v_mul_f32_e32 v100, 0x3fb8aa3b, v100
	s_delay_alu instid0(VALU_DEP_1) | instskip(SKIP_3) | instid1(VALU_DEP_2)
	v_exp_f32_e32 v100, v100
	s_waitcnt_depctr 0xfff
	v_dual_fmac_f32 v77, v100, v71 :: v_dual_mul_f32 v70, 0x3fb8aa3b, v70
	v_cndmask_b32_e32 v71, v99, v102, vcc_lo
	v_fmac_f32_e32 v77, v97, v72
	s_delay_alu instid0(VALU_DEP_3) | instskip(NEXT) | instid1(VALU_DEP_1)
	v_exp_f32_e32 v96, v70
	v_fmac_f32_e32 v77, v95, v73
	s_delay_alu instid0(VALU_DEP_1) | instskip(SKIP_2) | instid1(VALU_DEP_1)
	v_fmac_f32_e32 v77, v94, v74
	s_waitcnt_depctr 0xfff
	v_fmac_f32_e32 v77, v96, v75
	v_add_f32_e32 v74, 0x358637bd, v77
	s_delay_alu instid0(VALU_DEP_1) | instskip(SKIP_1) | instid1(VALU_DEP_2)
	v_div_scale_f32 v98, null, v74, v74, 1.0
	v_div_scale_f32 v99, vcc_lo, 1.0, v74, 1.0
	v_rcp_f32_e32 v103, v98
	s_waitcnt_depctr 0xfff
	v_fma_f32 v70, -v98, v103, 1.0
	s_delay_alu instid0(VALU_DEP_1) | instskip(SKIP_2) | instid1(VALU_DEP_2)
	v_fmac_f32_e32 v103, v70, v103
	v_cndmask_b32_e64 v70, v71, v101, s4
	v_cmp_eq_u32_e64 s4, 6, v69
	v_cndmask_b32_e64 v71, v70, v100, s5
	s_delay_alu instid0(VALU_DEP_4) | instskip(NEXT) | instid1(VALU_DEP_2)
	v_dual_mul_f32 v101, v99, v103 :: v_dual_lshlrev_b32 v70, 2, v66
	v_cndmask_b32_e64 v71, v71, v97, s6
	s_delay_alu instid0(VALU_DEP_2) | instskip(NEXT) | instid1(VALU_DEP_3)
	v_or_b32_e32 v72, 1, v70
	v_fma_f32 v100, -v98, v101, v99
	v_cmp_eq_u32_e64 s5, 1, v70
	v_cmp_eq_u32_e64 s6, 2, v70
	v_cndmask_b32_e64 v95, v71, v95, s7
	v_or_b32_e32 v71, 3, v70
	v_fmac_f32_e32 v101, v100, v103
	v_cmp_eq_u32_e64 s10, 1, v72
	v_cmp_eq_u32_e64 s13, 2, v72
	v_cndmask_b32_e64 v94, v95, v94, s4
	v_cmp_eq_u32_e64 s12, 1, v71
	v_fma_f32 v97, -v98, v101, v99
	v_cmp_eq_u32_e64 s17, 2, v71
	v_cmp_eq_u32_e64 s15, 3, v72
	v_cndmask_b32_e64 v94, v94, v96, s8
	v_cmp_eq_u32_e64 s19, 3, v71
	v_div_fmas_f32 v95, v97, v103, v101
	v_cmp_eq_u32_e32 vcc_lo, 3, v70
	v_cmp_eq_u32_e64 s4, 4, v70
	v_cmp_eq_u32_e64 s20, 4, v72
	v_cmp_eq_u32_e64 s23, 4, v71
	v_div_fixup_f32 v95, v95, v74, 1.0
	v_lshlrev_b32_e32 v73, 6, v68
	v_cmp_eq_u32_e64 s7, 5, v70
	v_cmp_eq_u32_e64 s21, 5, v72
	;; [unrolled: 1-line block ×3, first 2 shown]
	v_mul_f32_e32 v102, v94, v95
	v_lshl_or_b32 v75, v69, 11, v73
	v_or_b32_e32 v69, 2, v70
	v_cmp_eq_u32_e64 s26, 6, v72
	v_cmp_eq_u32_e64 s28, 6, v71
	v_fma_mixlo_f16 v94, v102, v79, 0
	v_fma_mixlo_f16 v95, v102, v81, 0
	;; [unrolled: 1-line block ×8, first 2 shown]
	v_lshl_or_b32 v74, v66, 4, v75
	v_fma_mixhi_f16 v94, v102, v78, 0
	v_fma_mixhi_f16 v95, v102, v80, 0
	v_fma_mixhi_f16 v96, v102, v82, 0
	v_fma_mixhi_f16 v97, v102, v84, 0
	v_fma_mixhi_f16 v98, v102, v86, 0
	v_fma_mixhi_f16 v99, v102, v88, 0
	v_fma_mixhi_f16 v100, v102, v90, 0
	v_fma_mixhi_f16 v101, v102, v92, 0
	ds_store_b128 v74, v[94:97]
	ds_store_b128 v74, v[98:101] offset:1024
	s_waitcnt lgkmcnt(0)
	s_barrier
	buffer_gl0_inv
	ds_load_b128 v[78:81], v75
	ds_load_b128 v[82:85], v75 offset:16
	ds_load_b128 v[86:89], v75 offset:1024
	;; [unrolled: 1-line block ×3, first 2 shown]
	v_cmp_eq_u32_e64 s11, 1, v69
	v_cmp_eq_u32_e64 s16, 2, v69
	;; [unrolled: 1-line block ×11, first 2 shown]
	s_waitcnt lgkmcnt(3)
	v_lshrrev_b32_e32 v94, 16, v78
	s_waitcnt lgkmcnt(2)
	v_lshrrev_b32_e32 v98, 16, v82
	;; [unrolled: 2-line block ×4, first 2 shown]
	v_lshrrev_b32_e32 v95, 16, v79
	v_cndmask_b32_e64 v110, v78, v94, s5
	v_cndmask_b32_e64 v111, v82, v98, s5
	;; [unrolled: 1-line block ×8, first 2 shown]
	v_lshrrev_b32_e32 v99, 16, v83
	v_cndmask_b32_e64 v94, v86, v102, s5
	v_cndmask_b32_e64 v98, v90, v106, s5
	;; [unrolled: 1-line block ×15, first 2 shown]
	v_lshrrev_b32_e32 v103, 16, v87
	v_lshrrev_b32_e32 v107, 16, v91
	v_cndmask_b32_e64 v113, v115, v83, s16
	v_cndmask_b32_e64 v82, v94, v87, s6
	;; [unrolled: 1-line block ×7, first 2 shown]
	v_cndmask_b32_e32 v90, v102, v95, vcc_lo
	v_cndmask_b32_e32 v102, v106, v99, vcc_lo
	v_cndmask_b32_e64 v106, v110, v95, s15
	v_cndmask_b32_e64 v110, v111, v99, s15
	v_cndmask_b32_e64 v78, v78, v95, s19
	v_cndmask_b32_e64 v79, v79, v99, s19
	v_lshrrev_b32_e32 v96, 16, v80
	v_lshrrev_b32_e32 v100, 16, v84
	v_cndmask_b32_e64 v111, v112, v95, s18
	v_cndmask_b32_e64 v112, v113, v99, s18
	v_cndmask_b32_e32 v82, v82, v103, vcc_lo
	v_cndmask_b32_e32 v83, v83, v107, vcc_lo
	v_cndmask_b32_e64 v94, v94, v103, s15
	v_cndmask_b32_e64 v90, v90, v80, s4
	;; [unrolled: 1-line block ×7, first 2 shown]
	v_lshrrev_b32_e32 v104, 16, v88
	v_cndmask_b32_e64 v106, v111, v80, s22
	v_cndmask_b32_e64 v110, v112, v84, s22
	;; [unrolled: 1-line block ×11, first 2 shown]
	v_lshrrev_b32_e32 v97, 16, v81
	v_lshrrev_b32_e32 v101, 16, v85
	v_cndmask_b32_e64 v99, v106, v96, s24
	v_cndmask_b32_e64 v102, v110, v100, s24
	;; [unrolled: 1-line block ×7, first 2 shown]
	v_lshrrev_b32_e32 v105, 16, v89
	v_cndmask_b32_e64 v80, v80, v104, s7
	v_cndmask_b32_e64 v84, v84, v81, s8
	;; [unrolled: 1-line block ×16, first 2 shown]
	v_perm_b32 v81, v79, v78, 0x5040100
	v_perm_b32 v79, v95, v85, 0x5040100
	v_cndmask_b32_e64 v78, v119, v91, s16
	v_cndmask_b32_e64 v85, v117, v91, s13
	v_cndmask_b32_e64 v96, v80, v105, s9
	v_perm_b32 v80, v94, v90, 0x5040100
	v_cndmask_b32_e64 v90, v98, v103, s18
	v_cndmask_b32_e64 v86, v86, v103, s19
	;; [unrolled: 1-line block ×5, first 2 shown]
	v_lshrrev_b32_e32 v108, 16, v92
	v_cndmask_b32_e64 v90, v90, v88, s22
	v_cndmask_b32_e64 v86, v86, v88, s23
	;; [unrolled: 1-line block ×11, first 2 shown]
	v_lshrrev_b32_e32 v109, 16, v93
	v_cndmask_b32_e64 v82, v82, v93, s8
	v_cndmask_b32_e64 v88, v88, v89, s27
	;; [unrolled: 1-line block ×12, first 2 shown]
	v_perm_b32 v78, v84, v83, 0x5040100
	v_perm_b32 v85, v87, v86, 0x5040100
	;; [unrolled: 1-line block ×5, first 2 shown]
	s_mul_i32 s9, s35, 15
	s_mov_b32 s4, exec_lo
	ds_store_b128 v74, v[78:81]
	ds_store_b128 v74, v[82:85] offset:1024
	v_cmpx_gt_u32_e32 15, v0
	s_cbranch_execz .LBB1196_14
; %bb.13:
	s_mul_i32 s5, s9, s34
	s_load_b128 s[16:19], s[0:1], 0x58
	v_add3_u32 v68, s5, s33, v68
	s_delay_alu instid0(VALU_DEP_1) | instskip(NEXT) | instid1(VALU_DEP_1)
	v_mad_u64_u32 v[78:79], null, v68, s36, s[14:15]
	v_ashrrev_i32_e32 v79, 31, v78
	s_delay_alu instid0(VALU_DEP_1) | instskip(SKIP_1) | instid1(VALU_DEP_1)
	v_lshlrev_b64 v[78:79], 2, v[78:79]
	s_waitcnt lgkmcnt(0)
	v_add_co_u32 v80, vcc_lo, s18, v78
	s_delay_alu instid0(VALU_DEP_2)
	v_add_co_ci_u32_e32 v81, vcc_lo, s19, v79, vcc_lo
	v_add_co_u32 v78, vcc_lo, s16, v78
	v_add_co_ci_u32_e32 v79, vcc_lo, s17, v79, vcc_lo
	global_store_b32 v[80:81], v76, off
	global_store_b32 v[78:79], v77, off
.LBB1196_14:
	s_or_b32 exec_lo, exec_lo, s4
	s_waitcnt lgkmcnt(0)
	s_waitcnt_vscnt null, 0x0
	s_barrier
	buffer_gl0_inv
	ds_load_b128 v[84:87], v73
	ds_load_b128 v[88:91], v73 offset:16
	ds_load_b128 v[96:99], v73 offset:2064
	ds_load_b128 v[92:95], v73 offset:2048
	ds_load_b128 v[104:107], v73 offset:4112
	ds_load_b128 v[100:103], v73 offset:4096
	v_cmp_eq_u32_e32 vcc_lo, 1, v70
	v_mov_b32_e32 v76, 0
	ds_load_b128 v[112:115], v73 offset:6160
	ds_load_b128 v[108:111], v73 offset:6144
	;; [unrolled: 1-line block ×4, first 2 shown]
	v_cmp_eq_u32_e64 s5, 1, v69
	v_cmp_eq_u32_e64 s4, 1, v72
	v_cmp_eq_u32_e64 s6, 2, v72
	v_mov_b32_e32 v77, v76
	v_mov_b32_e32 v78, v76
	;; [unrolled: 1-line block ×7, first 2 shown]
	v_cmp_eq_u32_e64 s7, 3, v72
	v_cmp_eq_u32_e64 s8, 7, v72
	s_waitcnt lgkmcnt(8)
	s_delay_alu instid0(VALU_DEP_3)
	v_wmma_f32_16x16x16_f16 v[76:83], v[49:56], v[84:91], v[76:83]
	ds_load_b128 v[53:56], v73 offset:10256
	ds_load_b128 v[49:52], v73 offset:10240
	s_waitcnt lgkmcnt(8)
	v_wmma_f32_16x16x16_f16 v[76:83], v[41:48], v[92:99], v[76:83]
	ds_load_b128 v[45:48], v73 offset:12304
	ds_load_b128 v[41:44], v73 offset:12288
	s_waitcnt lgkmcnt(8)
	;; [unrolled: 4-line block ×3, first 2 shown]
	s_barrier
	buffer_gl0_inv
	v_wmma_f32_16x16x16_f16 v[76:83], v[1:8], v[108:115], v[76:83]
	s_delay_alu instid0(VALU_DEP_1) | instskip(NEXT) | instid1(VALU_DEP_1)
	v_wmma_f32_16x16x16_f16 v[76:83], v[9:16], v[116:123], v[76:83]
	v_wmma_f32_16x16x16_f16 v[76:83], v[17:24], v[49:56], v[76:83]
	s_delay_alu instid0(VALU_DEP_1) | instskip(NEXT) | instid1(VALU_DEP_1)
	v_wmma_f32_16x16x16_f16 v[76:83], v[25:32], v[41:48], v[76:83]
	v_wmma_f32_16x16x16_f16 v[76:83], v[57:64], v[33:40], v[76:83]
	s_delay_alu instid0(VALU_DEP_1) | instskip(NEXT) | instid1(VALU_DEP_2)
	v_cvt_f16_f32_e32 v1, v76
	v_cvt_f16_f32_e32 v2, v77
	s_delay_alu instid0(VALU_DEP_3) | instskip(NEXT) | instid1(VALU_DEP_4)
	v_cvt_f16_f32_e32 v3, v78
	v_cvt_f16_f32_e32 v4, v79
	;; [unrolled: 1-line block ×6, first 2 shown]
	v_pack_b32_f16 v1, v1, v2
	v_pack_b32_f16 v2, v3, v4
	;; [unrolled: 1-line block ×3, first 2 shown]
	s_delay_alu instid0(VALU_DEP_4)
	v_pack_b32_f16 v4, v7, v8
	ds_store_b128 v74, v[1:4]
	s_waitcnt lgkmcnt(0)
	s_barrier
	buffer_gl0_inv
	ds_load_b128 v[1:4], v75
	ds_load_b128 v[5:8], v75 offset:16
	s_waitcnt lgkmcnt(1)
	v_lshrrev_b32_e32 v9, 16, v1
	s_waitcnt lgkmcnt(0)
	v_lshrrev_b32_e32 v13, 16, v5
	v_lshrrev_b32_e32 v10, 16, v2
	;; [unrolled: 1-line block ×4, first 2 shown]
	v_cndmask_b32_e32 v17, v1, v9, vcc_lo
	v_cndmask_b32_e32 v18, v5, v13, vcc_lo
	v_cndmask_b32_e64 v21, v1, v9, s5
	v_cmp_eq_u32_e32 vcc_lo, 1, v71
	v_cndmask_b32_e64 v22, v5, v13, s5
	v_cmp_eq_u32_e64 s5, 2, v70
	v_cndmask_b32_e64 v19, v1, v9, s4
	v_cndmask_b32_e64 v20, v5, v13, s4
	v_cndmask_b32_e32 v1, v1, v9, vcc_lo
	v_cmp_eq_u32_e64 s4, 2, v71
	v_cndmask_b32_e32 v5, v5, v13, vcc_lo
	v_cndmask_b32_e64 v9, v17, v2, s5
	v_cmp_eq_u32_e32 vcc_lo, 3, v70
	v_cndmask_b32_e64 v13, v18, v6, s5
	v_cmp_eq_u32_e64 s5, 2, v69
	v_cndmask_b32_e64 v17, v19, v2, s6
	v_cndmask_b32_e64 v18, v20, v6, s6
	v_cmp_eq_u32_e64 s6, 3, v69
	v_cndmask_b32_e64 v1, v1, v2, s4
	v_cndmask_b32_e64 v19, v21, v2, s5
	;; [unrolled: 1-line block ×4, first 2 shown]
	v_cndmask_b32_e32 v5, v9, v10, vcc_lo
	v_cndmask_b32_e32 v6, v13, v14, vcc_lo
	v_cmp_eq_u32_e32 vcc_lo, 3, v71
	v_cndmask_b32_e64 v9, v17, v10, s7
	v_cndmask_b32_e64 v13, v18, v14, s7
	;; [unrolled: 1-line block ×3, first 2 shown]
	v_cmp_eq_u32_e64 s5, 4, v70
	v_cndmask_b32_e32 v1, v1, v10, vcc_lo
	v_cndmask_b32_e32 v2, v2, v14, vcc_lo
	v_cmp_eq_u32_e32 vcc_lo, 4, v72
	v_lshrrev_b32_e32 v15, 16, v7
	v_lshrrev_b32_e32 v16, 16, v8
	v_cndmask_b32_e64 v17, v19, v10, s6
	v_cmp_eq_u32_e64 s4, 4, v71
	v_cndmask_b32_e64 v5, v5, v3, s5
	v_cndmask_b32_e64 v6, v6, v7, s5
	v_cndmask_b32_e32 v9, v9, v3, vcc_lo
	v_cmp_eq_u32_e64 s5, 5, v72
	v_cndmask_b32_e32 v10, v13, v7, vcc_lo
	v_cmp_eq_u32_e32 vcc_lo, 4, v69
	v_cmp_eq_u32_e64 s6, 5, v70
	v_cndmask_b32_e64 v2, v2, v7, s4
	v_cndmask_b32_e64 v9, v9, v11, s5
	;; [unrolled: 1-line block ×3, first 2 shown]
	v_cndmask_b32_e32 v13, v17, v3, vcc_lo
	v_cmp_eq_u32_e64 s5, 5, v69
	v_cndmask_b32_e32 v14, v18, v7, vcc_lo
	v_cndmask_b32_e64 v1, v1, v3, s4
	v_cmp_eq_u32_e32 vcc_lo, 5, v71
	v_lshrrev_b32_e32 v12, 16, v4
	v_cndmask_b32_e64 v13, v13, v11, s5
	v_cndmask_b32_e64 v3, v14, v15, s5
	v_cmp_eq_u32_e64 s5, 6, v71
	v_cndmask_b32_e32 v1, v1, v11, vcc_lo
	v_cndmask_b32_e64 v5, v5, v11, s6
	v_cmp_eq_u32_e64 s7, 6, v70
	v_cndmask_b32_e64 v6, v6, v15, s6
	v_cmp_eq_u32_e64 s6, 6, v72
	v_cmp_eq_u32_e64 s4, 6, v69
	v_cndmask_b32_e64 v1, v1, v4, s5
	v_cndmask_b32_e32 v2, v2, v15, vcc_lo
	v_cmp_eq_u32_e32 vcc_lo, 7, v71
	v_cndmask_b32_e64 v5, v5, v4, s7
	v_cndmask_b32_e64 v9, v9, v4, s6
	;; [unrolled: 1-line block ×3, first 2 shown]
	v_cmp_eq_u32_e64 s7, 7, v70
	v_cndmask_b32_e32 v1, v1, v12, vcc_lo
	v_cndmask_b32_e64 v7, v13, v4, s4
	v_cndmask_b32_e64 v3, v3, v8, s4
	;; [unrolled: 1-line block ×3, first 2 shown]
	v_cmp_eq_u32_e64 s4, 7, v69
	v_cndmask_b32_e64 v4, v10, v8, s6
	v_cndmask_b32_e64 v5, v5, v12, s7
	;; [unrolled: 1-line block ×3, first 2 shown]
	v_cndmask_b32_e32 v2, v2, v16, vcc_lo
	v_cndmask_b32_e64 v7, v7, v12, s4
	v_cndmask_b32_e64 v3, v3, v16, s4
	;; [unrolled: 1-line block ×4, first 2 shown]
	v_cmp_gt_u32_e32 vcc_lo, 32, v0
	v_perm_b32 v4, v2, v1, 0x5040100
	v_perm_b32 v3, v3, v7, 0x5040100
	;; [unrolled: 1-line block ×4, first 2 shown]
	s_and_b32 s2, vcc_lo, s2
	ds_store_b128 v74, v[1:4]
	s_waitcnt lgkmcnt(0)
	s_barrier
	buffer_gl0_inv
	s_and_saveexec_b32 s4, s2
	s_cbranch_execz .LBB1196_2
; %bb.15:
	s_load_b64 s[4:5], s[0:1], 0x68
	v_add_nc_u32_e32 v20, s33, v66
	v_lshlrev_b32_e32 v0, 10, v0
	v_lshlrev_b32_e32 v1, 4, v67
	s_lshl_b32 s0, s36, 6
	s_delay_alu instid0(SALU_CYCLE_1)
	s_mul_i32 s1, s0, s34
	v_add_nc_u32_e32 v2, 2, v20
	s_mul_i32 s6, s1, s9
	v_and_or_b32 v0, 0x3800, v0, v1
	v_mul_lo_u32 v1, v20, s0
	s_ashr_i32 s7, s6, 31
	v_mul_lo_u32 v11, v2, s0
	s_lshl_b64 s[6:7], s[6:7], 1
	v_add_nc_u32_e32 v3, 4, v20
	v_lshl_or_b32 v21, v66, 6, v0
	v_add_nc_u32_e32 v16, 6, v20
	v_ashrrev_i32_e32 v2, 31, v1
	s_delay_alu instid0(VALU_DEP_4)
	v_mul_lo_u32 v13, v3, s0
	s_waitcnt lgkmcnt(0)
	s_add_u32 s1, s4, s6
	s_addc_u32 s2, s5, s7
	s_lshl_b32 s4, s14, 6
	ds_load_b128 v[3:6], v21
	ds_load_b128 v[7:10], v21 offset:128
	s_ashr_i32 s5, s4, 31
	v_ashrrev_i32_e32 v12, 31, v11
	s_lshl_b64 s[4:5], s[4:5], 1
	v_lshlrev_b64 v[14:15], 1, v[1:2]
	s_add_u32 s1, s1, s4
	s_addc_u32 s2, s2, s5
	v_add_co_u32 v1, s1, s1, v65
	s_delay_alu instid0(VALU_DEP_1) | instskip(SKIP_1) | instid1(VALU_DEP_3)
	v_add_co_ci_u32_e64 v2, null, s2, 0, s1
	v_lshlrev_b64 v[11:12], 1, v[11:12]
	v_add_co_u32 v18, vcc_lo, v1, v14
	v_mul_lo_u32 v16, v16, s0
	s_delay_alu instid0(VALU_DEP_4) | instskip(NEXT) | instid1(VALU_DEP_4)
	v_add_co_ci_u32_e32 v19, vcc_lo, v2, v15, vcc_lo
	v_add_co_u32 v11, vcc_lo, v1, v11
	v_ashrrev_i32_e32 v14, 31, v13
	v_add_co_ci_u32_e32 v12, vcc_lo, v2, v12, vcc_lo
	v_add_nc_u32_e32 v15, 8, v20
	v_ashrrev_i32_e32 v17, 31, v16
	s_waitcnt lgkmcnt(1)
	global_store_b128 v[18:19], v[3:6], off
	v_lshlrev_b64 v[3:4], 1, v[13:14]
	s_waitcnt lgkmcnt(0)
	global_store_b128 v[11:12], v[7:10], off
	v_mul_lo_u32 v11, v15, s0
	v_add_nc_u32_e32 v7, 10, v20
	v_lshlrev_b64 v[5:6], 1, v[16:17]
	v_add_co_u32 v23, vcc_lo, v1, v3
	v_add_nc_u32_e32 v3, 12, v20
	s_delay_alu instid0(VALU_DEP_4)
	v_mul_lo_u32 v25, v7, s0
	v_ashrrev_i32_e32 v12, 31, v11
	v_add_co_ci_u32_e32 v24, vcc_lo, v2, v4, vcc_lo
	v_add_co_u32 v27, vcc_lo, v1, v5
	v_mul_lo_u32 v29, v3, s0
	v_add_co_ci_u32_e32 v28, vcc_lo, v2, v6, vcc_lo
	ds_load_b128 v[3:6], v21 offset:256
	ds_load_b128 v[7:10], v21 offset:384
	v_lshlrev_b64 v[31:32], 1, v[11:12]
	ds_load_b128 v[11:14], v21 offset:512
	ds_load_b128 v[15:18], v21 offset:640
	ds_load_b128 v[19:22], v21 offset:768
	v_ashrrev_i32_e32 v26, 31, v25
	v_ashrrev_i32_e32 v30, 31, v29
	v_add_co_u32 v31, vcc_lo, v1, v31
	s_delay_alu instid0(VALU_DEP_3) | instskip(NEXT) | instid1(VALU_DEP_3)
	v_lshlrev_b64 v[25:26], 1, v[25:26]
	v_lshlrev_b64 v[29:30], 1, v[29:30]
	v_add_co_ci_u32_e32 v32, vcc_lo, v2, v32, vcc_lo
	s_delay_alu instid0(VALU_DEP_3) | instskip(NEXT) | instid1(VALU_DEP_4)
	v_add_co_u32 v25, vcc_lo, v1, v25
	v_add_co_ci_u32_e32 v26, vcc_lo, v2, v26, vcc_lo
	s_delay_alu instid0(VALU_DEP_4)
	v_add_co_u32 v29, vcc_lo, v1, v29
	v_add_co_ci_u32_e32 v30, vcc_lo, v2, v30, vcc_lo
	s_waitcnt lgkmcnt(4)
	global_store_b128 v[23:24], v[3:6], off
	s_waitcnt lgkmcnt(3)
	global_store_b128 v[27:28], v[7:10], off
	;; [unrolled: 2-line block ×5, first 2 shown]
	s_and_b32 exec_lo, exec_lo, s3
	s_cbranch_execz .LBB1196_2
; %bb.16:
	ds_load_b128 v[3:6], v0 offset:896
	s_add_i32 s1, s33, 14
	s_delay_alu instid0(SALU_CYCLE_1) | instskip(NEXT) | instid1(SALU_CYCLE_1)
	s_mul_i32 s0, s1, s0
	s_ashr_i32 s1, s0, 31
	s_delay_alu instid0(SALU_CYCLE_1) | instskip(NEXT) | instid1(SALU_CYCLE_1)
	s_lshl_b64 s[0:1], s[0:1], 1
	v_add_co_u32 v0, vcc_lo, v1, s0
	v_add_co_ci_u32_e32 v1, vcc_lo, s1, v2, vcc_lo
	s_waitcnt lgkmcnt(0)
	global_store_b128 v[0:1], v[3:6], off
	s_nop 0
	s_sendmsg sendmsg(MSG_DEALLOC_VGPRS)
	s_endpgm
	.section	.rodata,"a",@progbits
	.p2align	6, 0x0
	.amdhsa_kernel _Z39paged_attention_ll4mi_QKV_mfma16_kernelIDF16_hLN4vllm18Fp8KVCacheDataTypeE1EDF16_Li32ELi64ELi256ELb1ELi15EL8MFMAType0EEvPKT_PKT0_S8_ifPKiSA_SA_iPKfiiiPfSD_PS3_PT2_iSC_SC_
		.amdhsa_group_segment_fixed_size 17472
		.amdhsa_private_segment_fixed_size 0
		.amdhsa_kernarg_size 400
		.amdhsa_user_sgpr_count 13
		.amdhsa_user_sgpr_dispatch_ptr 0
		.amdhsa_user_sgpr_queue_ptr 0
		.amdhsa_user_sgpr_kernarg_segment_ptr 1
		.amdhsa_user_sgpr_dispatch_id 0
		.amdhsa_user_sgpr_private_segment_size 0
		.amdhsa_wavefront_size32 1
		.amdhsa_uses_dynamic_stack 0
		.amdhsa_enable_private_segment 0
		.amdhsa_system_sgpr_workgroup_id_x 1
		.amdhsa_system_sgpr_workgroup_id_y 1
		.amdhsa_system_sgpr_workgroup_id_z 1
		.amdhsa_system_sgpr_workgroup_info 0
		.amdhsa_system_vgpr_workitem_id 0
		.amdhsa_next_free_vgpr 146
		.amdhsa_next_free_sgpr 37
		.amdhsa_reserve_vcc 1
		.amdhsa_float_round_mode_32 0
		.amdhsa_float_round_mode_16_64 0
		.amdhsa_float_denorm_mode_32 3
		.amdhsa_float_denorm_mode_16_64 3
		.amdhsa_dx10_clamp 1
		.amdhsa_ieee_mode 1
		.amdhsa_fp16_overflow 0
		.amdhsa_workgroup_processor_mode 1
		.amdhsa_memory_ordered 1
		.amdhsa_forward_progress 0
		.amdhsa_shared_vgpr_count 0
		.amdhsa_exception_fp_ieee_invalid_op 0
		.amdhsa_exception_fp_denorm_src 0
		.amdhsa_exception_fp_ieee_div_zero 0
		.amdhsa_exception_fp_ieee_overflow 0
		.amdhsa_exception_fp_ieee_underflow 0
		.amdhsa_exception_fp_ieee_inexact 0
		.amdhsa_exception_int_div_zero 0
	.end_amdhsa_kernel
	.section	.text._Z39paged_attention_ll4mi_QKV_mfma16_kernelIDF16_hLN4vllm18Fp8KVCacheDataTypeE1EDF16_Li32ELi64ELi256ELb1ELi15EL8MFMAType0EEvPKT_PKT0_S8_ifPKiSA_SA_iPKfiiiPfSD_PS3_PT2_iSC_SC_,"axG",@progbits,_Z39paged_attention_ll4mi_QKV_mfma16_kernelIDF16_hLN4vllm18Fp8KVCacheDataTypeE1EDF16_Li32ELi64ELi256ELb1ELi15EL8MFMAType0EEvPKT_PKT0_S8_ifPKiSA_SA_iPKfiiiPfSD_PS3_PT2_iSC_SC_,comdat
.Lfunc_end1196:
	.size	_Z39paged_attention_ll4mi_QKV_mfma16_kernelIDF16_hLN4vllm18Fp8KVCacheDataTypeE1EDF16_Li32ELi64ELi256ELb1ELi15EL8MFMAType0EEvPKT_PKT0_S8_ifPKiSA_SA_iPKfiiiPfSD_PS3_PT2_iSC_SC_, .Lfunc_end1196-_Z39paged_attention_ll4mi_QKV_mfma16_kernelIDF16_hLN4vllm18Fp8KVCacheDataTypeE1EDF16_Li32ELi64ELi256ELb1ELi15EL8MFMAType0EEvPKT_PKT0_S8_ifPKiSA_SA_iPKfiiiPfSD_PS3_PT2_iSC_SC_
                                        ; -- End function
	.section	.AMDGPU.csdata,"",@progbits
; Kernel info:
; codeLenInByte = 6748
; NumSgprs: 39
; NumVgprs: 146
; ScratchSize: 0
; MemoryBound: 0
; FloatMode: 240
; IeeeMode: 1
; LDSByteSize: 17472 bytes/workgroup (compile time only)
; SGPRBlocks: 4
; VGPRBlocks: 18
; NumSGPRsForWavesPerEU: 39
; NumVGPRsForWavesPerEU: 146
; Occupancy: 9
; WaveLimiterHint : 1
; COMPUTE_PGM_RSRC2:SCRATCH_EN: 0
; COMPUTE_PGM_RSRC2:USER_SGPR: 13
; COMPUTE_PGM_RSRC2:TRAP_HANDLER: 0
; COMPUTE_PGM_RSRC2:TGID_X_EN: 1
; COMPUTE_PGM_RSRC2:TGID_Y_EN: 1
; COMPUTE_PGM_RSRC2:TGID_Z_EN: 1
; COMPUTE_PGM_RSRC2:TIDIG_COMP_CNT: 0
	.section	.text._Z39paged_attention_ll4mi_QKV_mfma16_kernelIDF16_hLN4vllm18Fp8KVCacheDataTypeE1EDF16_Li32ELi64ELi256ELb1ELi16EL8MFMAType0EEvPKT_PKT0_S8_ifPKiSA_SA_iPKfiiiPfSD_PS3_PT2_iSC_SC_,"axG",@progbits,_Z39paged_attention_ll4mi_QKV_mfma16_kernelIDF16_hLN4vllm18Fp8KVCacheDataTypeE1EDF16_Li32ELi64ELi256ELb1ELi16EL8MFMAType0EEvPKT_PKT0_S8_ifPKiSA_SA_iPKfiiiPfSD_PS3_PT2_iSC_SC_,comdat
	.protected	_Z39paged_attention_ll4mi_QKV_mfma16_kernelIDF16_hLN4vllm18Fp8KVCacheDataTypeE1EDF16_Li32ELi64ELi256ELb1ELi16EL8MFMAType0EEvPKT_PKT0_S8_ifPKiSA_SA_iPKfiiiPfSD_PS3_PT2_iSC_SC_ ; -- Begin function _Z39paged_attention_ll4mi_QKV_mfma16_kernelIDF16_hLN4vllm18Fp8KVCacheDataTypeE1EDF16_Li32ELi64ELi256ELb1ELi16EL8MFMAType0EEvPKT_PKT0_S8_ifPKiSA_SA_iPKfiiiPfSD_PS3_PT2_iSC_SC_
	.globl	_Z39paged_attention_ll4mi_QKV_mfma16_kernelIDF16_hLN4vllm18Fp8KVCacheDataTypeE1EDF16_Li32ELi64ELi256ELb1ELi16EL8MFMAType0EEvPKT_PKT0_S8_ifPKiSA_SA_iPKfiiiPfSD_PS3_PT2_iSC_SC_
	.p2align	8
	.type	_Z39paged_attention_ll4mi_QKV_mfma16_kernelIDF16_hLN4vllm18Fp8KVCacheDataTypeE1EDF16_Li32ELi64ELi256ELb1ELi16EL8MFMAType0EEvPKT_PKT0_S8_ifPKiSA_SA_iPKfiiiPfSD_PS3_PT2_iSC_SC_,@function
_Z39paged_attention_ll4mi_QKV_mfma16_kernelIDF16_hLN4vllm18Fp8KVCacheDataTypeE1EDF16_Li32ELi64ELi256ELb1ELi16EL8MFMAType0EEvPKT_PKT0_S8_ifPKiSA_SA_iPKfiiiPfSD_PS3_PT2_iSC_SC_: ; @_Z39paged_attention_ll4mi_QKV_mfma16_kernelIDF16_hLN4vllm18Fp8KVCacheDataTypeE1EDF16_Li32ELi64ELi256ELb1ELi16EL8MFMAType0EEvPKT_PKT0_S8_ifPKiSA_SA_iPKfiiiPfSD_PS3_PT2_iSC_SC_
; %bb.0:
	s_load_b64 s[2:3], s[0:1], 0x30
	s_mov_b32 s34, s13
	s_waitcnt lgkmcnt(0)
	s_cmp_lg_u64 s[2:3], 0
	s_cselect_b32 s8, -1, 0
	s_ashr_i32 s35, s13, 31
	s_cmp_eq_u64 s[2:3], 0
	s_cbranch_scc1 .LBB1197_3
; %bb.1:
	s_lshl_b64 s[4:5], s[34:35], 2
	s_delay_alu instid0(SALU_CYCLE_1) | instskip(SKIP_4) | instid1(SALU_CYCLE_1)
	s_add_u32 s4, s2, s4
	s_addc_u32 s5, s3, s5
	s_load_b64 s[4:5], s[4:5], 0x0
	s_waitcnt lgkmcnt(0)
	s_sub_i32 s4, s5, s4
	s_cmp_eq_u32 s4, 1
	s_cselect_b32 s4, -1, 0
	s_delay_alu instid0(SALU_CYCLE_1)
	s_and_not1_b32 vcc_lo, exec_lo, s4
	s_cbranch_vccz .LBB1197_4
.LBB1197_2:
	s_endpgm
.LBB1197_3:
.LBB1197_4:
	s_load_b64 s[4:5], s[0:1], 0x28
	s_lshl_b64 s[6:7], s[34:35], 2
	s_waitcnt lgkmcnt(0)
	s_add_u32 s4, s4, s6
	s_addc_u32 s5, s5, s7
	s_lshl_b32 s12, s14, 8
	s_load_b32 s24, s[4:5], 0x0
	s_waitcnt lgkmcnt(0)
	s_cmp_ge_i32 s12, s24
	s_cbranch_scc1 .LBB1197_2
; %bb.5:
	s_clause 0x1
	s_load_b128 s[20:23], s[0:1], 0x8
	s_load_b64 s[4:5], s[0:1], 0x20
	s_and_not1_b32 vcc_lo, exec_lo, s8
	s_cbranch_vccnz .LBB1197_7
; %bb.6:
	s_add_u32 s2, s2, s6
	s_addc_u32 s3, s3, s7
	s_load_b32 s3, s[2:3], 0x0
	s_branch .LBB1197_8
.LBB1197_7:
	s_mov_b32 s3, s34
.LBB1197_8:
	s_load_b128 s[16:19], s[0:1], 0x48
	v_and_b32_e32 v70, 15, v0
	v_cmp_gt_u32_e32 vcc_lo, 0x100, v0
	v_lshrrev_b32_e32 v69, 5, v0
	v_and_b32_e32 v71, 31, v0
	v_and_b32_e32 v67, 1, v0
	v_lshlrev_b32_e32 v1, 3, v70
	v_cmp_gt_u32_e64 s2, 8, v70
	v_bfe_u32 v66, v0, 4, 1
	s_lshl_b32 s31, s15, 4
	s_delay_alu instid0(VALU_DEP_3) | instskip(NEXT) | instid1(VALU_DEP_3)
	v_lshlrev_b32_e32 v65, 1, v1
	s_and_b32 s7, vcc_lo, s2
	s_delay_alu instid0(SALU_CYCLE_1)
	s_and_saveexec_b32 s6, s7
	s_cbranch_execz .LBB1197_10
; %bb.9:
	v_lshl_or_b32 v5, v69, 1, v66
	s_load_b64 s[8:9], s[0:1], 0x0
	s_waitcnt lgkmcnt(0)
	s_mul_hi_i32 s11, s3, s16
	s_mul_i32 s10, s3, s16
	v_lshlrev_b32_e32 v6, 10, v70
	v_or_b32_e32 v1, s31, v5
	s_lshl_b64 s[10:11], s[10:11], 1
	v_lshlrev_b32_e32 v5, 6, v5
	v_lshlrev_b32_e32 v7, 10, v67
	v_and_b32_e32 v6, 0x3800, v6
	v_lshlrev_b32_e32 v1, 6, v1
	s_delay_alu instid0(VALU_DEP_2) | instskip(NEXT) | instid1(VALU_DEP_2)
	v_or3_b32 v5, v6, v7, v5
	v_ashrrev_i32_e32 v2, 31, v1
	s_delay_alu instid0(VALU_DEP_1) | instskip(SKIP_2) | instid1(VALU_DEP_1)
	v_lshlrev_b64 v[1:2], 1, v[1:2]
	s_add_u32 s3, s8, s10
	s_addc_u32 s7, s9, s11
	v_add_co_u32 v1, vcc_lo, s3, v1
	s_delay_alu instid0(VALU_DEP_2) | instskip(NEXT) | instid1(VALU_DEP_2)
	v_add_co_ci_u32_e32 v2, vcc_lo, s7, v2, vcc_lo
	v_add_co_u32 v1, vcc_lo, v1, v65
	s_delay_alu instid0(VALU_DEP_2)
	v_add_co_ci_u32_e32 v2, vcc_lo, 0, v2, vcc_lo
	global_load_b128 v[1:4], v[1:2], off
	s_waitcnt vmcnt(0)
	ds_store_b128 v5, v[1:4]
.LBB1197_10:
	s_or_b32 exec_lo, exec_lo, s6
	v_and_b32_e32 v1, 0xef, v0
	s_waitcnt lgkmcnt(0)
	s_add_i32 s3, s24, 31
	s_clause 0x1
	s_load_b32 s6, s[0:1], 0x38
	s_load_b32 s33, s[0:1], 0x98
	s_ashr_i32 s7, s3, 31
	v_add_nc_u32_e32 v1, s12, v1
	s_lshr_b32 s7, s7, 27
	s_load_b32 s19, s[0:1], 0x1c
	s_add_i32 s3, s3, s7
	s_waitcnt lgkmcnt(0)
	v_ashrrev_i32_e32 v2, 31, v1
	v_or_b32_e32 v3, 16, v1
	s_ashr_i32 s3, s3, 5
	v_cmp_gt_i32_e32 vcc_lo, s24, v1
	s_add_i32 s3, s3, -1
	v_lshrrev_b32_e32 v2, 27, v2
	s_barrier
	buffer_gl0_inv
	s_mul_i32 s27, s15, s18
	v_add_nc_u32_e32 v4, v1, v2
	s_mul_i32 s6, s34, s6
	s_delay_alu instid0(SALU_CYCLE_1) | instskip(NEXT) | instid1(VALU_DEP_1)
	s_ashr_i32 s7, s6, 31
	v_ashrrev_i32_e32 v4, 5, v4
	v_add_nc_u32_e32 v2, v3, v2
	s_lshl_b64 s[6:7], s[6:7], 2
	s_delay_alu instid0(SALU_CYCLE_1) | instskip(NEXT) | instid1(VALU_DEP_2)
	s_add_u32 s26, s4, s6
	v_cndmask_b32_e32 v1, s3, v4, vcc_lo
	s_delay_alu instid0(VALU_DEP_2)
	v_ashrrev_i32_e32 v2, 5, v2
	v_cmp_gt_i32_e32 vcc_lo, s24, v3
	s_addc_u32 s25, s5, s7
	s_ashr_i32 s28, s27, 31
	s_add_u32 s4, s20, s27
	s_addc_u32 s5, s21, s28
	v_cndmask_b32_e32 v3, s3, v2, vcc_lo
	v_ashrrev_i32_e32 v2, 31, v1
	s_lshl_b32 s6, s14, 3
	s_delay_alu instid0(SALU_CYCLE_1) | instskip(NEXT) | instid1(VALU_DEP_2)
	s_ashr_i32 s7, s6, 31
	v_ashrrev_i32_e32 v4, 31, v3
	s_delay_alu instid0(VALU_DEP_2) | instskip(SKIP_1) | instid1(SALU_CYCLE_1)
	v_lshlrev_b64 v[1:2], 2, v[1:2]
	s_lshl_b64 s[6:7], s[6:7], 2
	s_add_u32 s6, s26, s6
	s_delay_alu instid0(VALU_DEP_2) | instskip(SKIP_1) | instid1(VALU_DEP_2)
	v_lshlrev_b64 v[3:4], 2, v[3:4]
	s_addc_u32 s7, s25, s7
	v_add_co_u32 v1, vcc_lo, s26, v1
	v_add_co_ci_u32_e32 v2, vcc_lo, s25, v2, vcc_lo
	s_delay_alu instid0(VALU_DEP_3) | instskip(NEXT) | instid1(VALU_DEP_4)
	v_add_co_u32 v3, vcc_lo, s26, v3
	v_add_co_ci_u32_e32 v4, vcc_lo, s25, v4, vcc_lo
	s_clause 0x1
	global_load_b32 v5, v[1:2], off
	global_load_b32 v6, v[3:4], off
	s_or_b32 s8, s12, 32
	s_delay_alu instid0(SALU_CYCLE_1) | instskip(SKIP_2) | instid1(SALU_CYCLE_1)
	s_ashr_i32 s9, s8, 5
	s_cmp_lt_i32 s8, s24
	s_cselect_b32 s8, s9, s3
	s_ashr_i32 s9, s8, 31
	s_delay_alu instid0(SALU_CYCLE_1) | instskip(NEXT) | instid1(SALU_CYCLE_1)
	s_lshl_b64 s[8:9], s[8:9], 2
	s_add_u32 s8, s26, s8
	s_addc_u32 s9, s25, s9
	s_or_b32 s10, s12, 64
	s_delay_alu instid0(SALU_CYCLE_1) | instskip(SKIP_2) | instid1(SALU_CYCLE_1)
	s_ashr_i32 s11, s10, 5
	s_cmp_lt_i32 s10, s24
	s_cselect_b32 s10, s11, s3
	s_ashr_i32 s11, s10, 31
	s_delay_alu instid0(SALU_CYCLE_1) | instskip(NEXT) | instid1(SALU_CYCLE_1)
	s_lshl_b64 s[10:11], s[10:11], 2
	s_add_u32 s10, s26, s10
	s_addc_u32 s11, s25, s11
	;; [unrolled: 10-line block ×5, first 2 shown]
	s_clause 0x5
	s_load_b32 s21, s[6:7], 0x0
	s_load_b32 s13, s[8:9], 0x0
	;; [unrolled: 1-line block ×6, first 2 shown]
	s_or_b32 s6, s12, 0xc0
	s_delay_alu instid0(SALU_CYCLE_1) | instskip(SKIP_2) | instid1(SALU_CYCLE_1)
	s_ashr_i32 s7, s6, 5
	s_cmp_lt_i32 s6, s24
	s_cselect_b32 s10, s7, s3
	s_ashr_i32 s11, s10, 31
	s_delay_alu instid0(SALU_CYCLE_1) | instskip(NEXT) | instid1(SALU_CYCLE_1)
	s_lshl_b64 s[10:11], s[10:11], 2
	s_add_u32 s36, s26, s10
	s_addc_u32 s37, s25, s11
	s_or_b32 s11, s12, 0xe0
	s_delay_alu instid0(SALU_CYCLE_1) | instskip(SKIP_2) | instid1(SALU_CYCLE_1)
	s_ashr_i32 s29, s11, 5
	s_cmp_lt_i32 s11, s24
	s_cselect_b32 s38, s29, s3
	s_ashr_i32 s39, s38, 31
	s_waitcnt vmcnt(1)
	v_mad_i64_i32 v[1:2], null, v5, s17, s[4:5]
	s_waitcnt vmcnt(0)
	v_mad_i64_i32 v[3:4], null, v6, s17, s[4:5]
	s_mov_b32 s4, 0
	s_delay_alu instid0(SALU_CYCLE_1)
	s_mov_b32 s5, s4
	s_mov_b32 s6, s4
	;; [unrolled: 1-line block ×7, first 2 shown]
	v_lshlrev_b32_e32 v5, 4, v70
	v_dual_mov_b32 v103, s11 :: v_dual_mov_b32 v98, s6
	v_dual_mov_b32 v101, s9 :: v_dual_lshlrev_b32 v68, 6, v70
	s_delay_alu instid0(VALU_DEP_3)
	v_add_co_u32 v1, vcc_lo, v1, v5
	v_add_co_ci_u32_e32 v2, vcc_lo, 0, v2, vcc_lo
	v_add_co_u32 v3, vcc_lo, v3, v5
	v_add_co_ci_u32_e32 v4, vcc_lo, 0, v4, vcc_lo
	s_clause 0x7
	global_load_b128 v[57:60], v[1:2], off
	global_load_b128 v[61:64], v[1:2], off offset:512
	global_load_b128 v[72:75], v[3:4], off offset:256
	;; [unrolled: 1-line block ×7, first 2 shown]
	v_dual_mov_b32 v96, s4 :: v_dual_lshlrev_b32 v1, 5, v70
	v_mov_b32_e32 v102, s10
	v_dual_mov_b32 v100, s8 :: v_dual_mov_b32 v99, s7
	v_mov_b32_e32 v97, s5
	s_lshl_b64 s[4:5], s[38:39], 2
	v_lshl_or_b32 v1, v69, 9, v1
	s_add_u32 s4, s26, s4
	s_addc_u32 s5, s25, s5
	s_load_b32 s3, s[36:37], 0x0
	ds_load_b128 v[104:107], v68
	ds_load_b128 v[108:111], v68 offset:1024
	s_load_b32 s4, s[4:5], 0x0
	s_add_u32 s6, s22, s27
	s_addc_u32 s7, s23, s28
	v_add_co_u32 v17, s6, s6, v1
	s_delay_alu instid0(VALU_DEP_1) | instskip(SKIP_1) | instid1(VALU_DEP_1)
	v_add_co_ci_u32_e64 v18, null, s7, 0, s6
	s_waitcnt lgkmcnt(0)
	v_mad_i64_i32 v[1:2], null, s21, s17, v[17:18]
	v_mad_i64_i32 v[3:4], null, s13, s17, v[17:18]
	;; [unrolled: 1-line block ×7, first 2 shown]
	s_clause 0x9
	global_load_b128 v[49:52], v[1:2], off
	global_load_b128 v[53:56], v[1:2], off offset:16
	global_load_b128 v[41:44], v[3:4], off
	global_load_b128 v[45:48], v[3:4], off offset:16
	;; [unrolled: 2-line block ×5, first 2 shown]
	v_mad_i64_i32 v[120:121], null, s4, s17, v[17:18]
	s_clause 0x3
	global_load_b128 v[17:20], v[21:22], off
	global_load_b128 v[21:24], v[21:22], off offset:16
	global_load_b128 v[25:28], v[29:30], off
	global_load_b128 v[29:32], v[29:30], off offset:16
	s_waitcnt vmcnt(20)
	v_wmma_f32_16x16x16_f16 v[112:119], v[57:64], v[104:111], v[96:103]
	s_clause 0x1
	global_load_b128 v[57:60], v[120:121], off
	global_load_b128 v[61:64], v[120:121], off offset:16
	s_waitcnt vmcnt(20)
	v_wmma_f32_16x16x16_f16 v[96:103], v[72:79], v[104:111], v[96:103]
	ds_load_b128 v[72:75], v68 offset:2048
	ds_load_b128 v[76:79], v68 offset:3072
	v_and_b32_e32 v104, 0xe0, v0
	v_mbcnt_lo_u32_b32 v105, -1, 0
	s_waitcnt vmcnt(0) lgkmcnt(0)
	s_barrier
	buffer_gl0_inv
	v_add_nc_u32_e32 v104, s12, v104
	v_xor_b32_e32 v106, 16, v105
	s_delay_alu instid0(VALU_DEP_2) | instskip(NEXT) | instid1(VALU_DEP_2)
	v_or_b32_e32 v104, v104, v66
	v_cmp_gt_i32_e32 vcc_lo, 32, v106
	s_delay_alu instid0(VALU_DEP_2)
	v_or_b32_e32 v107, 4, v104
	v_or_b32_e32 v108, 6, v104
	v_cmp_gt_i32_e64 s3, s24, v104
	v_or_b32_e32 v109, 8, v104
	v_wmma_f32_16x16x16_f16 v[112:119], v[80:87], v[72:79], v[112:119]
	v_cndmask_b32_e32 v105, v105, v106, vcc_lo
	v_or_b32_e32 v106, 2, v104
	v_wmma_f32_16x16x16_f16 v[96:103], v[88:95], v[72:79], v[96:103]
	v_or_b32_e32 v80, 10, v104
	v_dual_mul_f32 v78, s19, v116 :: v_dual_mul_f32 v79, s19, v115
	v_dual_mul_f32 v90, s19, v112 :: v_dual_mul_f32 v89, s19, v113
	s_delay_alu instid0(VALU_DEP_4) | instskip(SKIP_2) | instid1(VALU_DEP_4)
	v_mul_f32_e32 v92, s19, v102
	v_cmp_gt_i32_e32 vcc_lo, s24, v106
	v_dual_mul_f32 v77, s19, v117 :: v_dual_mul_f32 v88, s19, v114
	v_cndmask_b32_e64 v90, 0xff7fffff, v90, s3
	v_cmp_gt_i32_e64 s4, s24, v107
	v_cndmask_b32_e32 v89, 0xff7fffff, v89, vcc_lo
	v_cmp_gt_i32_e64 s5, s24, v108
	v_or_b32_e32 v81, 12, v104
	v_or_b32_e32 v82, 14, v104
	v_cndmask_b32_e64 v88, 0xff7fffff, v88, s4
	v_max3_f32 v89, v90, 0xff7fffff, v89
	v_cndmask_b32_e64 v79, 0xff7fffff, v79, s5
	v_cmp_gt_i32_e64 s6, s24, v109
	v_cmp_gt_i32_e64 s7, s24, v80
	v_or_b32_e32 v83, 16, v104
	v_or_b32_e32 v84, 18, v104
	v_dual_mul_f32 v75, s19, v119 :: v_dual_mul_f32 v76, s19, v118
	v_cndmask_b32_e64 v78, 0xff7fffff, v78, s6
	v_cndmask_b32_e64 v77, 0xff7fffff, v77, s7
	v_max3_f32 v79, v89, v88, v79
	v_cmp_gt_i32_e64 s8, s24, v81
	v_cmp_gt_i32_e64 s9, s24, v82
	v_or_b32_e32 v85, 20, v104
	v_or_b32_e32 v86, 22, v104
	;; [unrolled: 1-line block ×6, first 2 shown]
	v_dual_mul_f32 v95, s19, v99 :: v_dual_mul_f32 v104, s19, v97
	v_mul_f32_e32 v107, s19, v96
	v_cndmask_b32_e64 v76, 0xff7fffff, v76, s8
	v_cndmask_b32_e64 v75, 0xff7fffff, v75, s9
	v_max3_f32 v77, v79, v78, v77
	v_cmp_gt_i32_e64 s10, s24, v83
	v_cmp_gt_i32_e64 s11, s24, v84
	v_dual_mul_f32 v93, s19, v101 :: v_dual_mul_f32 v106, s19, v98
	s_delay_alu instid0(VALU_DEP_4) | instskip(NEXT) | instid1(VALU_DEP_4)
	v_max3_f32 v75, v77, v76, v75
	v_cndmask_b32_e64 v78, 0xff7fffff, v107, s10
	s_delay_alu instid0(VALU_DEP_4) | instskip(SKIP_3) | instid1(VALU_DEP_4)
	v_cndmask_b32_e64 v79, 0xff7fffff, v104, s11
	v_cmp_gt_i32_e64 s12, s24, v85
	v_cmp_gt_i32_e64 s13, s24, v86
	v_dual_mul_f32 v91, s19, v103 :: v_dual_mul_f32 v94, s19, v100
	v_max3_f32 v75, v75, v78, v79
	s_delay_alu instid0(VALU_DEP_4) | instskip(NEXT) | instid1(VALU_DEP_4)
	v_cndmask_b32_e64 v76, 0xff7fffff, v106, s12
	v_cndmask_b32_e64 v77, 0xff7fffff, v95, s13
	v_cmp_gt_i32_e64 s15, s24, v87
	v_cmp_gt_i32_e64 s16, s24, v72
	;; [unrolled: 1-line block ×4, first 2 shown]
	v_max3_f32 v75, v75, v76, v77
	v_cndmask_b32_e64 v78, 0xff7fffff, v94, s15
	v_cndmask_b32_e64 v72, 0xff7fffff, v93, s16
	;; [unrolled: 1-line block ×4, first 2 shown]
	s_delay_alu instid0(VALU_DEP_3) | instskip(SKIP_1) | instid1(VALU_DEP_2)
	v_max3_f32 v72, v75, v78, v72
	v_lshlrev_b32_e32 v75, 2, v105
	v_max3_f32 v72, v72, v73, v74
	ds_bpermute_b32 v73, v75, v72
	s_waitcnt lgkmcnt(0)
	v_max_f32_e32 v73, v73, v73
	s_delay_alu instid0(VALU_DEP_1) | instskip(NEXT) | instid1(VALU_DEP_1)
	v_max_f32_e32 v72, v72, v73
	v_fma_f32 v76, s19, v114, -v72
	v_fma_f32 v73, s19, v112, -v72
	;; [unrolled: 1-line block ×5, first 2 shown]
	v_mul_f32_e32 v76, 0x3fb8aa3b, v76
	v_fma_f32 v82, s19, v118, -v72
	v_mul_f32_e32 v74, 0x3fb8aa3b, v74
	v_fma_f32 v86, s19, v99, -v72
	v_fma_f32 v91, s19, v103, -v72
	v_exp_f32_e32 v76, v76
	v_mul_f32_e32 v82, 0x3fb8aa3b, v82
	v_exp_f32_e32 v74, v74
	v_mul_f32_e32 v88, 0x3fb8aa3b, v86
	v_fma_f32 v89, s19, v101, -v72
	s_delay_alu instid0(VALU_DEP_3) | instskip(NEXT) | instid1(VALU_DEP_2)
	v_exp_f32_e32 v84, v82
	v_exp_f32_e32 v90, v88
	s_delay_alu instid0(VALU_DEP_1)
	v_mul_f32_e32 v89, 0x3fb8aa3b, v89
	v_cndmask_b32_e64 v80, 0, v76, s4
	v_mul_f32_e32 v73, 0x3fb8aa3b, v73
	v_fma_f32 v76, s19, v119, -v72
	v_mul_f32_e32 v77, 0x3fb8aa3b, v77
	v_exp_f32_e32 v89, v89
	s_delay_alu instid0(VALU_DEP_3) | instskip(NEXT) | instid1(VALU_DEP_2)
	v_exp_f32_e32 v73, v73
	v_mul_f32_e32 v76, 0x3fb8aa3b, v76
	s_delay_alu instid0(VALU_DEP_2) | instskip(SKIP_2) | instid1(VALU_DEP_3)
	v_exp_f32_e32 v81, v77
	v_cndmask_b32_e32 v77, 0, v74, vcc_lo
	v_cndmask_b32_e64 v84, 0, v84, s8
	v_exp_f32_e32 v76, v76
	v_cndmask_b32_e64 v89, 0, v89, s16
	s_delay_alu instid0(TRANS32_DEP_3) | instskip(SKIP_2) | instid1(VALU_DEP_2)
	v_cndmask_b32_e64 v78, 0, v73, s3
	v_fma_f32 v73, s19, v117, -v72
	s_mov_b32 s3, exec_lo
	v_dual_add_f32 v74, 0, v78 :: v_dual_mul_f32 v79, 0x3fb8aa3b, v79
	s_delay_alu instid0(VALU_DEP_2) | instskip(NEXT) | instid1(VALU_DEP_2)
	v_mul_f32_e32 v73, 0x3fb8aa3b, v73
	v_add_f32_e32 v74, v74, v77
	s_delay_alu instid0(VALU_DEP_3) | instskip(NEXT) | instid1(VALU_DEP_2)
	v_exp_f32_e32 v83, v79
	v_exp_f32_e32 v73, v73
	v_cndmask_b32_e64 v79, 0, v81, s5
	v_fma_f32 v81, s19, v96, -v72
	s_delay_alu instid0(VALU_DEP_1) | instskip(NEXT) | instid1(VALU_DEP_1)
	v_dual_add_f32 v74, v74, v80 :: v_dual_mul_f32 v85, 0x3fb8aa3b, v81
	v_add_f32_e32 v74, v74, v79
	s_waitcnt_depctr 0xfff
	v_cndmask_b32_e64 v82, 0, v83, s6
	v_fma_f32 v83, s19, v97, -v72
	v_cndmask_b32_e64 v81, 0, v73, s7
	v_exp_f32_e32 v85, v85
	s_delay_alu instid0(VALU_DEP_2) | instskip(NEXT) | instid1(VALU_DEP_1)
	v_mul_f32_e32 v83, 0x3fb8aa3b, v83
	v_exp_f32_e32 v87, v83
	v_cndmask_b32_e64 v83, 0, v76, s9
	v_fma_f32 v76, s19, v100, -v72
	v_add_f32_e32 v73, v74, v82
	v_fma_f32 v74, s19, v98, -v72
	s_delay_alu instid0(TRANS32_DEP_2) | instskip(NEXT) | instid1(VALU_DEP_4)
	v_cndmask_b32_e64 v86, 0, v85, s10
	v_mul_f32_e32 v76, 0x3fb8aa3b, v76
	s_delay_alu instid0(VALU_DEP_3) | instskip(NEXT) | instid1(TRANS32_DEP_1)
	v_mul_f32_e32 v74, 0x3fb8aa3b, v74
	v_cndmask_b32_e64 v85, 0, v87, s11
	v_fma_f32 v87, s19, v102, -v72
	v_add_f32_e32 v73, v73, v81
	v_exp_f32_e32 v76, v76
	v_exp_f32_e32 v74, v74
	s_waitcnt_depctr 0xfff
	v_cndmask_b32_e64 v88, 0, v74, s12
	v_dual_mul_f32 v74, 0x3fb8aa3b, v87 :: v_dual_add_f32 v73, v73, v84
	v_cndmask_b32_e64 v87, 0, v90, s13
	v_cndmask_b32_e64 v90, 0, v76, s15
	v_mul_f32_e32 v76, 0x3fb8aa3b, v91
	s_delay_alu instid0(VALU_DEP_4) | instskip(SKIP_1) | instid1(VALU_DEP_2)
	v_exp_f32_e32 v74, v74
	v_add_f32_e32 v73, v73, v83
	v_exp_f32_e32 v76, v76
	s_delay_alu instid0(VALU_DEP_1) | instskip(SKIP_4) | instid1(VALU_DEP_2)
	v_add_f32_e32 v73, v73, v86
	s_waitcnt_depctr 0xfff
	v_cndmask_b32_e64 v92, 0, v74, s17
	v_add_f32_e32 v73, v73, v85
	v_cndmask_b32_e64 v91, 0, v76, s18
	v_add_f32_e32 v73, v73, v88
	s_delay_alu instid0(VALU_DEP_1) | instskip(NEXT) | instid1(VALU_DEP_1)
	v_add_f32_e32 v73, v73, v87
	v_add_f32_e32 v73, v73, v90
	s_delay_alu instid0(VALU_DEP_1) | instskip(NEXT) | instid1(VALU_DEP_1)
	v_add_f32_e32 v73, v73, v89
	v_add_f32_e32 v73, v73, v92
	s_delay_alu instid0(VALU_DEP_1)
	v_add_f32_e32 v73, v73, v91
	ds_bpermute_b32 v74, v75, v73
	v_cmpx_gt_u32_e32 16, v71
	s_cbranch_execz .LBB1197_12
; %bb.11:
	v_mul_u32_u24_e32 v71, 0x44, v69
	s_waitcnt lgkmcnt(0)
	v_add_f32_e32 v73, v73, v74
	s_delay_alu instid0(VALU_DEP_2) | instskip(NEXT) | instid1(VALU_DEP_1)
	v_lshl_add_u32 v71, v70, 2, v71
	v_add_nc_u32_e32 v71, 0x4000, v71
	ds_store_2addr_b32 v71, v72, v73 offset1:136
.LBB1197_12:
	s_or_b32 exec_lo, exec_lo, s3
	v_lshlrev_b32_e32 v70, 2, v70
	s_load_b32 s35, s[0:1], 0x94
	s_waitcnt lgkmcnt(0)
	s_barrier
	buffer_gl0_inv
	v_add_nc_u32_e32 v74, 0x4000, v70
	v_cmp_eq_u32_e32 vcc_lo, 1, v69
	v_cmp_eq_u32_e64 s3, 2, v69
	v_cmp_eq_u32_e64 s4, 3, v69
	;; [unrolled: 1-line block ×3, first 2 shown]
	ds_load_2addr_b32 v[70:71], v74 offset1:17
	ds_load_2addr_b32 v[72:73], v74 offset0:34 offset1:51
	ds_load_2addr_b32 v[93:94], v74 offset0:68 offset1:85
	;; [unrolled: 1-line block ×3, first 2 shown]
	v_cmp_eq_u32_e64 s6, 7, v69
	s_waitcnt lgkmcnt(3)
	v_max3_f32 v75, v70, 0xff7fffff, v71
	s_waitcnt lgkmcnt(2)
	s_delay_alu instid0(VALU_DEP_1) | instskip(SKIP_1) | instid1(VALU_DEP_1)
	v_max3_f32 v75, v75, v72, v73
	s_waitcnt lgkmcnt(1)
	v_max3_f32 v75, v75, v93, v94
	s_waitcnt lgkmcnt(0)
	s_delay_alu instid0(VALU_DEP_1) | instskip(NEXT) | instid1(VALU_DEP_1)
	v_max3_f32 v75, v75, v95, v96
	v_sub_f32_e32 v93, v93, v75
	ds_load_2addr_b32 v[97:98], v74 offset0:136 offset1:153
	v_sub_f32_e32 v70, v70, v75
	v_dual_sub_f32 v100, v73, v75 :: v_dual_mul_f32 v103, 0x3fb8aa3b, v93
	s_delay_alu instid0(VALU_DEP_2) | instskip(SKIP_3) | instid1(VALU_DEP_1)
	v_dual_sub_f32 v76, v71, v75 :: v_dual_mul_f32 v99, 0x3fb8aa3b, v70
	ds_load_2addr_b32 v[70:71], v74 offset0:170 offset1:187
	v_mul_f32_e32 v76, 0x3fb8aa3b, v76
	v_exp_f32_e32 v99, v99
	v_exp_f32_e32 v102, v76
	v_mul_f32_e32 v100, 0x3fb8aa3b, v100
	s_waitcnt lgkmcnt(1)
	s_waitcnt_depctr 0xfff
	v_fma_f32 v76, v99, v97, 0
	v_sub_f32_e32 v97, v94, v75
	v_sub_f32_e32 v72, v72, v75
	v_exp_f32_e32 v100, v100
	ds_load_2addr_b32 v[93:94], v74 offset0:238 offset1:255
	v_dual_fmac_f32 v76, v102, v98 :: v_dual_mul_f32 v101, 0x3fb8aa3b, v72
	ds_load_2addr_b32 v[72:73], v74 offset0:204 offset1:221
	v_dual_sub_f32 v74, v95, v75 :: v_dual_mul_f32 v95, 0x3fb8aa3b, v97
	v_exp_f32_e32 v97, v103
	v_exp_f32_e32 v101, v101
	s_waitcnt lgkmcnt(0)
	s_delay_alu instid0(VALU_DEP_1)
	v_mul_f32_e32 v74, 0x3fb8aa3b, v74
	v_exp_f32_e32 v95, v95
	s_barrier
	buffer_gl0_inv
	v_fmac_f32_e32 v76, v101, v70
	v_sub_f32_e32 v70, v96, v75
	v_exp_f32_e32 v96, v74
	s_delay_alu instid0(VALU_DEP_2) | instskip(NEXT) | instid1(VALU_DEP_2)
	v_fmac_f32_e32 v76, v100, v71
	v_mul_f32_e32 v70, 0x3fb8aa3b, v70
	s_delay_alu instid0(VALU_DEP_2) | instskip(NEXT) | instid1(VALU_DEP_2)
	v_dual_cndmask_b32 v71, v99, v102 :: v_dual_fmac_f32 v76, v97, v72
	v_exp_f32_e32 v98, v70
	s_delay_alu instid0(VALU_DEP_1) | instskip(SKIP_2) | instid1(VALU_DEP_1)
	v_fmac_f32_e32 v76, v95, v73
	s_waitcnt_depctr 0xfff
	v_fmac_f32_e32 v76, v96, v93
	v_fmac_f32_e32 v76, v98, v94
	s_delay_alu instid0(VALU_DEP_1) | instskip(NEXT) | instid1(VALU_DEP_1)
	v_add_f32_e32 v93, 0x358637bd, v76
	v_div_scale_f32 v94, null, v93, v93, 1.0
	v_div_scale_f32 v99, vcc_lo, 1.0, v93, 1.0
	s_delay_alu instid0(VALU_DEP_2) | instskip(SKIP_2) | instid1(VALU_DEP_1)
	v_rcp_f32_e32 v103, v94
	s_waitcnt_depctr 0xfff
	v_fma_f32 v70, -v94, v103, 1.0
	v_fmac_f32_e32 v103, v70, v103
	v_cndmask_b32_e64 v70, v71, v101, s3
	v_cmp_eq_u32_e64 s3, 4, v69
	v_lshlrev_b32_e32 v71, 2, v66
	s_delay_alu instid0(VALU_DEP_4) | instskip(NEXT) | instid1(VALU_DEP_4)
	v_mul_f32_e32 v101, v99, v103
	v_cndmask_b32_e64 v72, v70, v100, s4
	v_cmp_eq_u32_e64 s4, 6, v69
	v_lshl_or_b32 v70, v69, 11, v68
	v_or_b32_e32 v74, 1, v71
	v_fma_f32 v73, -v94, v101, v99
	v_cndmask_b32_e64 v72, v72, v97, s3
	v_cmp_eq_u32_e64 s3, 1, v71
	v_lshl_or_b32 v69, v66, 4, v70
	v_cmp_eq_u32_e64 s9, 1, v74
	v_fmac_f32_e32 v101, v73, v103
	v_cndmask_b32_e64 v95, v72, v95, s5
	v_or_b32_e32 v72, 2, v71
	v_or_b32_e32 v73, 3, v71
	v_cmp_eq_u32_e64 s12, 2, v74
	v_fma_f32 v94, -v94, v101, v99
	v_cndmask_b32_e64 v95, v95, v96, s4
	v_cmp_eq_u32_e64 s10, 1, v72
	v_cmp_eq_u32_e64 s11, 1, v73
	;; [unrolled: 1-line block ×3, first 2 shown]
	v_div_fmas_f32 v94, v94, v103, v101
	v_cndmask_b32_e64 v95, v95, v98, s6
	v_cmp_eq_u32_e32 vcc_lo, 2, v71
	v_cmp_eq_u32_e64 s16, 2, v73
	v_cmp_eq_u32_e64 s18, 3, v73
	v_div_fixup_f32 v93, v94, v93, 1.0
	v_cmp_eq_u32_e64 s4, 3, v71
	v_cmp_eq_u32_e64 s13, 3, v74
	;; [unrolled: 1-line block ×4, first 2 shown]
	v_mul_f32_e32 v101, v95, v93
	v_cmp_eq_u32_e64 s5, 4, v71
	v_cmp_eq_u32_e64 s19, 4, v74
	;; [unrolled: 1-line block ×4, first 2 shown]
	v_fma_mixlo_f16 v93, v101, v78, 0
	v_fma_mixlo_f16 v94, v101, v80, 0
	;; [unrolled: 1-line block ×8, first 2 shown]
	v_fma_mixhi_f16 v93, v101, v77, 0
	v_fma_mixhi_f16 v94, v101, v79, 0
	;; [unrolled: 1-line block ×8, first 2 shown]
	ds_store_b128 v69, v[93:96]
	ds_store_b128 v69, v[97:100] offset:1024
	s_waitcnt lgkmcnt(0)
	s_barrier
	buffer_gl0_inv
	ds_load_b128 v[77:80], v70
	ds_load_b128 v[81:84], v70 offset:16
	ds_load_b128 v[85:88], v70 offset:1024
	;; [unrolled: 1-line block ×3, first 2 shown]
	v_cmp_eq_u32_e64 s6, 5, v71
	v_cmp_eq_u32_e64 s20, 5, v74
	v_cmp_eq_u32_e64 s23, 5, v72
	v_cmp_eq_u32_e64 s27, 6, v73
	v_cmp_eq_u32_e64 s7, 6, v71
	v_cmp_eq_u32_e64 s25, 6, v74
	v_cmp_eq_u32_e64 s26, 6, v72
	v_cmp_eq_u32_e64 s29, 7, v73
	v_cmp_eq_u32_e64 s8, 7, v71
	v_cmp_eq_u32_e64 s28, 7, v72
	v_cmp_eq_u32_e64 s30, 7, v74
	s_waitcnt lgkmcnt(3)
	v_lshrrev_b32_e32 v93, 16, v77
	s_waitcnt lgkmcnt(2)
	v_lshrrev_b32_e32 v97, 16, v81
	;; [unrolled: 2-line block ×4, first 2 shown]
	v_lshrrev_b32_e32 v94, 16, v78
	v_cndmask_b32_e64 v109, v77, v93, s3
	v_cndmask_b32_e64 v110, v81, v97, s3
	;; [unrolled: 1-line block ×8, first 2 shown]
	v_lshrrev_b32_e32 v98, 16, v82
	v_cndmask_b32_e64 v93, v85, v101, s3
	v_cndmask_b32_e64 v97, v89, v105, s3
	v_cndmask_b32_e64 v115, v85, v101, s9
	v_cndmask_b32_e64 v117, v85, v101, s10
	v_cndmask_b32_e64 v85, v85, v101, s11
	v_cndmask_b32_e32 v101, v109, v78, vcc_lo
	v_cndmask_b32_e64 v109, v111, v78, s12
	v_cndmask_b32_e64 v111, v113, v78, s15
	;; [unrolled: 1-line block ×4, first 2 shown]
	v_lshrrev_b32_e32 v102, 16, v86
	v_lshrrev_b32_e32 v106, 16, v90
	v_cndmask_b32_e64 v116, v89, v105, s9
	v_cndmask_b32_e64 v118, v89, v105, s10
	;; [unrolled: 1-line block ×3, first 2 shown]
	v_cndmask_b32_e32 v105, v110, v82, vcc_lo
	v_cndmask_b32_e64 v110, v112, v82, s12
	v_cndmask_b32_e64 v112, v114, v82, s15
	v_cndmask_b32_e32 v81, v93, v86, vcc_lo
	v_cndmask_b32_e32 v82, v97, v90, vcc_lo
	v_cndmask_b32_e64 v93, v115, v86, s12
	v_cndmask_b32_e64 v77, v77, v94, s18
	;; [unrolled: 1-line block ×3, first 2 shown]
	v_lshrrev_b32_e32 v95, 16, v79
	v_lshrrev_b32_e32 v99, 16, v83
	v_cndmask_b32_e64 v97, v117, v86, s15
	v_cndmask_b32_e64 v85, v85, v86, s16
	;; [unrolled: 1-line block ×14, first 2 shown]
	v_lshrrev_b32_e32 v103, 16, v87
	v_cndmask_b32_e64 v89, v89, v79, s5
	v_cndmask_b32_e64 v94, v101, v83, s5
	;; [unrolled: 1-line block ×11, first 2 shown]
	v_lshrrev_b32_e32 v96, 16, v80
	v_lshrrev_b32_e32 v100, 16, v84
	v_cndmask_b32_e64 v83, v89, v95, s6
	v_cndmask_b32_e64 v89, v94, v99, s6
	;; [unrolled: 1-line block ×9, first 2 shown]
	v_lshrrev_b32_e32 v104, 16, v88
	v_cndmask_b32_e64 v79, v79, v103, s6
	v_cndmask_b32_e64 v83, v83, v80, s7
	;; [unrolled: 1-line block ×19, first 2 shown]
	v_perm_b32 v80, v78, v77, 0x5040100
	v_cndmask_b32_e64 v77, v116, v90, s12
	v_cndmask_b32_e64 v95, v79, v104, s8
	v_perm_b32 v79, v93, v89, 0x5040100
	v_perm_b32 v78, v94, v84, 0x5040100
	v_cndmask_b32_e64 v84, v97, v102, s17
	v_cndmask_b32_e64 v85, v85, v102, s18
	;; [unrolled: 1-line block ×5, first 2 shown]
	v_lshrrev_b32_e32 v107, 16, v91
	v_cndmask_b32_e64 v84, v84, v87, s21
	v_cndmask_b32_e64 v85, v85, v87, s22
	;; [unrolled: 1-line block ×11, first 2 shown]
	v_lshrrev_b32_e32 v108, 16, v92
	v_cndmask_b32_e64 v81, v81, v92, s7
	v_cndmask_b32_e64 v84, v84, v88, s26
	;; [unrolled: 1-line block ×12, first 2 shown]
	v_perm_b32 v77, v83, v82, 0x5040100
	v_perm_b32 v84, v85, v84, 0x5040100
	;; [unrolled: 1-line block ×5, first 2 shown]
	s_lshl_b32 s8, s33, 4
	s_mov_b32 s3, exec_lo
	ds_store_b128 v69, v[77:80]
	ds_store_b128 v69, v[81:84] offset:1024
	v_cmpx_gt_u32_e32 16, v0
	s_cbranch_execz .LBB1197_14
; %bb.13:
	v_or_b32_e32 v77, s31, v0
	s_load_b128 s[4:7], s[0:1], 0x58
	s_delay_alu instid0(VALU_DEP_1) | instskip(NEXT) | instid1(VALU_DEP_1)
	v_mad_u64_u32 v[78:79], null, s8, s34, v[77:78]
	v_mad_u64_u32 v[79:80], null, v78, s35, s[14:15]
	s_delay_alu instid0(VALU_DEP_1) | instskip(NEXT) | instid1(VALU_DEP_1)
	v_ashrrev_i32_e32 v80, 31, v79
	v_lshlrev_b64 v[77:78], 2, v[79:80]
	s_waitcnt lgkmcnt(0)
	s_delay_alu instid0(VALU_DEP_1) | instskip(NEXT) | instid1(VALU_DEP_2)
	v_add_co_u32 v79, vcc_lo, s6, v77
	v_add_co_ci_u32_e32 v80, vcc_lo, s7, v78, vcc_lo
	v_add_co_u32 v77, vcc_lo, s4, v77
	v_add_co_ci_u32_e32 v78, vcc_lo, s5, v78, vcc_lo
	global_store_b32 v[79:80], v75, off
	global_store_b32 v[77:78], v76, off
.LBB1197_14:
	s_or_b32 exec_lo, exec_lo, s3
	s_waitcnt lgkmcnt(0)
	s_waitcnt_vscnt null, 0x0
	s_barrier
	buffer_gl0_inv
	ds_load_b128 v[83:86], v68
	ds_load_b128 v[87:90], v68 offset:16
	ds_load_b128 v[95:98], v68 offset:2064
	;; [unrolled: 1-line block ×5, first 2 shown]
	v_cmp_eq_u32_e32 vcc_lo, 1, v71
	v_mov_b32_e32 v75, 0
	ds_load_b128 v[111:114], v68 offset:6160
	ds_load_b128 v[107:110], v68 offset:6144
	;; [unrolled: 1-line block ×4, first 2 shown]
	v_cmp_eq_u32_e64 s4, 1, v72
	v_cmp_eq_u32_e64 s3, 1, v74
	v_cmp_eq_u32_e64 s5, 2, v74
	v_mov_b32_e32 v76, v75
	v_mov_b32_e32 v77, v75
	;; [unrolled: 1-line block ×7, first 2 shown]
	v_cmp_eq_u32_e64 s6, 3, v74
	v_cmp_eq_u32_e64 s7, 7, v74
	s_waitcnt lgkmcnt(8)
	s_delay_alu instid0(VALU_DEP_3)
	v_wmma_f32_16x16x16_f16 v[75:82], v[49:56], v[83:90], v[75:82]
	ds_load_b128 v[53:56], v68 offset:10256
	ds_load_b128 v[49:52], v68 offset:10240
	s_waitcnt lgkmcnt(8)
	v_wmma_f32_16x16x16_f16 v[75:82], v[41:48], v[91:98], v[75:82]
	ds_load_b128 v[45:48], v68 offset:12304
	ds_load_b128 v[41:44], v68 offset:12288
	s_waitcnt lgkmcnt(8)
	;; [unrolled: 4-line block ×3, first 2 shown]
	s_barrier
	buffer_gl0_inv
	v_wmma_f32_16x16x16_f16 v[75:82], v[1:8], v[107:114], v[75:82]
	s_delay_alu instid0(VALU_DEP_1) | instskip(NEXT) | instid1(VALU_DEP_1)
	v_wmma_f32_16x16x16_f16 v[75:82], v[9:16], v[115:122], v[75:82]
	v_wmma_f32_16x16x16_f16 v[75:82], v[17:24], v[49:56], v[75:82]
	s_delay_alu instid0(VALU_DEP_1) | instskip(NEXT) | instid1(VALU_DEP_1)
	v_wmma_f32_16x16x16_f16 v[75:82], v[25:32], v[41:48], v[75:82]
	v_wmma_f32_16x16x16_f16 v[75:82], v[57:64], v[33:40], v[75:82]
	s_delay_alu instid0(VALU_DEP_1) | instskip(NEXT) | instid1(VALU_DEP_2)
	v_cvt_f16_f32_e32 v1, v75
	v_cvt_f16_f32_e32 v2, v76
	s_delay_alu instid0(VALU_DEP_3) | instskip(NEXT) | instid1(VALU_DEP_4)
	v_cvt_f16_f32_e32 v3, v77
	v_cvt_f16_f32_e32 v4, v78
	;; [unrolled: 1-line block ×6, first 2 shown]
	v_pack_b32_f16 v1, v1, v2
	v_pack_b32_f16 v2, v3, v4
	;; [unrolled: 1-line block ×3, first 2 shown]
	s_delay_alu instid0(VALU_DEP_4)
	v_pack_b32_f16 v4, v7, v8
	ds_store_b128 v69, v[1:4]
	s_waitcnt lgkmcnt(0)
	s_barrier
	buffer_gl0_inv
	ds_load_b128 v[1:4], v70
	ds_load_b128 v[5:8], v70 offset:16
	s_waitcnt lgkmcnt(1)
	v_lshrrev_b32_e32 v9, 16, v1
	s_waitcnt lgkmcnt(0)
	v_lshrrev_b32_e32 v13, 16, v5
	v_lshrrev_b32_e32 v10, 16, v2
	;; [unrolled: 1-line block ×4, first 2 shown]
	v_cndmask_b32_e32 v17, v1, v9, vcc_lo
	v_cndmask_b32_e32 v18, v5, v13, vcc_lo
	v_cndmask_b32_e64 v21, v1, v9, s4
	v_cmp_eq_u32_e32 vcc_lo, 1, v73
	v_cndmask_b32_e64 v22, v5, v13, s4
	v_cmp_eq_u32_e64 s4, 2, v71
	v_cndmask_b32_e64 v19, v1, v9, s3
	v_cndmask_b32_e64 v20, v5, v13, s3
	v_cndmask_b32_e32 v1, v1, v9, vcc_lo
	v_cmp_eq_u32_e64 s3, 2, v73
	v_cndmask_b32_e32 v5, v5, v13, vcc_lo
	v_cndmask_b32_e64 v9, v17, v2, s4
	v_cmp_eq_u32_e32 vcc_lo, 3, v71
	v_cndmask_b32_e64 v13, v18, v6, s4
	v_cmp_eq_u32_e64 s4, 2, v72
	v_cndmask_b32_e64 v17, v19, v2, s5
	v_cndmask_b32_e64 v18, v20, v6, s5
	v_cmp_eq_u32_e64 s5, 3, v72
	v_cndmask_b32_e64 v1, v1, v2, s3
	v_cndmask_b32_e64 v19, v21, v2, s4
	;; [unrolled: 1-line block ×4, first 2 shown]
	v_cndmask_b32_e32 v5, v9, v10, vcc_lo
	v_cndmask_b32_e32 v6, v13, v14, vcc_lo
	v_cmp_eq_u32_e32 vcc_lo, 3, v73
	v_cndmask_b32_e64 v9, v17, v10, s6
	v_cndmask_b32_e64 v13, v18, v14, s6
	;; [unrolled: 1-line block ×3, first 2 shown]
	v_cmp_eq_u32_e64 s4, 4, v71
	v_cndmask_b32_e32 v1, v1, v10, vcc_lo
	v_cndmask_b32_e32 v2, v2, v14, vcc_lo
	v_cmp_eq_u32_e32 vcc_lo, 4, v74
	v_lshrrev_b32_e32 v15, 16, v7
	v_lshrrev_b32_e32 v16, 16, v8
	v_cndmask_b32_e64 v17, v19, v10, s5
	v_cmp_eq_u32_e64 s3, 4, v73
	v_cndmask_b32_e64 v5, v5, v3, s4
	v_cndmask_b32_e64 v6, v6, v7, s4
	v_cndmask_b32_e32 v9, v9, v3, vcc_lo
	v_cmp_eq_u32_e64 s4, 5, v74
	v_cndmask_b32_e32 v10, v13, v7, vcc_lo
	v_cmp_eq_u32_e32 vcc_lo, 4, v72
	v_cmp_eq_u32_e64 s5, 5, v71
	v_cndmask_b32_e64 v2, v2, v7, s3
	v_cndmask_b32_e64 v9, v9, v11, s4
	;; [unrolled: 1-line block ×3, first 2 shown]
	v_cndmask_b32_e32 v13, v17, v3, vcc_lo
	v_cmp_eq_u32_e64 s4, 5, v72
	v_cndmask_b32_e32 v14, v18, v7, vcc_lo
	v_cndmask_b32_e64 v1, v1, v3, s3
	v_cmp_eq_u32_e32 vcc_lo, 5, v73
	v_lshrrev_b32_e32 v12, 16, v4
	v_cndmask_b32_e64 v13, v13, v11, s4
	v_cndmask_b32_e64 v3, v14, v15, s4
	v_cmp_eq_u32_e64 s4, 6, v73
	v_cndmask_b32_e32 v1, v1, v11, vcc_lo
	v_cndmask_b32_e64 v5, v5, v11, s5
	v_cmp_eq_u32_e64 s6, 6, v71
	v_cndmask_b32_e64 v6, v6, v15, s5
	v_cmp_eq_u32_e64 s5, 6, v74
	v_cmp_eq_u32_e64 s3, 6, v72
	v_cndmask_b32_e64 v1, v1, v4, s4
	v_cndmask_b32_e32 v2, v2, v15, vcc_lo
	v_cmp_eq_u32_e32 vcc_lo, 7, v73
	v_cndmask_b32_e64 v5, v5, v4, s6
	v_cndmask_b32_e64 v9, v9, v4, s5
	;; [unrolled: 1-line block ×3, first 2 shown]
	v_cmp_eq_u32_e64 s6, 7, v71
	v_cndmask_b32_e32 v1, v1, v12, vcc_lo
	v_cndmask_b32_e64 v7, v13, v4, s3
	v_cndmask_b32_e64 v3, v3, v8, s3
	;; [unrolled: 1-line block ×3, first 2 shown]
	v_cmp_eq_u32_e64 s3, 7, v72
	v_cndmask_b32_e64 v4, v10, v8, s5
	v_cndmask_b32_e64 v5, v5, v12, s6
	;; [unrolled: 1-line block ×3, first 2 shown]
	v_cndmask_b32_e32 v2, v2, v16, vcc_lo
	v_cndmask_b32_e64 v7, v7, v12, s3
	v_cndmask_b32_e64 v3, v3, v16, s3
	;; [unrolled: 1-line block ×4, first 2 shown]
	v_cmp_gt_u32_e32 vcc_lo, 32, v0
	v_perm_b32 v4, v2, v1, 0x5040100
	v_perm_b32 v3, v3, v7, 0x5040100
	;; [unrolled: 1-line block ×4, first 2 shown]
	s_and_b32 s2, vcc_lo, s2
	ds_store_b128 v69, v[1:4]
	s_waitcnt lgkmcnt(0)
	s_barrier
	buffer_gl0_inv
	s_and_saveexec_b32 s3, s2
	s_cbranch_execz .LBB1197_2
; %bb.15:
	s_load_b64 s[0:1], s[0:1], 0x68
	v_lshlrev_b32_e32 v0, 10, v0
	s_lshl_b32 s4, s35, 6
	v_or_b32_e32 v23, s31, v66
	s_mul_i32 s2, s4, s34
	v_lshlrev_b32_e32 v1, 4, v67
	v_lshlrev_b32_e32 v2, 6, v66
	s_mul_i32 s2, s2, s8
	v_and_b32_e32 v0, 0x3800, v0
	v_mul_lo_u32 v8, v23, s4
	s_ashr_i32 s3, s2, 31
	v_or_b32_e32 v3, 2, v23
	s_lshl_b64 s[2:3], s[2:3], 1
	v_or3_b32 v27, v0, v1, v2
	v_or_b32_e32 v11, 4, v23
	v_or_b32_e32 v18, 6, v23
	v_mul_lo_u32 v10, v3, s4
	v_ashrrev_i32_e32 v9, 31, v8
	ds_load_b128 v[0:3], v27
	ds_load_b128 v[4:7], v27 offset:128
	v_mul_lo_u32 v12, v11, s4
	s_waitcnt lgkmcnt(0)
	s_add_u32 s2, s0, s2
	s_addc_u32 s3, s1, s3
	s_lshl_b32 s0, s14, 6
	v_lshlrev_b64 v[8:9], 1, v[8:9]
	s_ashr_i32 s1, s0, 31
	v_ashrrev_i32_e32 v11, 31, v10
	s_lshl_b64 s[0:1], s[0:1], 1
	v_ashrrev_i32_e32 v13, 31, v12
	s_add_u32 s0, s2, s0
	s_addc_u32 s1, s3, s1
	v_add_co_u32 v30, s0, s0, v65
	s_delay_alu instid0(VALU_DEP_1) | instskip(SKIP_1) | instid1(VALU_DEP_3)
	v_add_co_ci_u32_e64 v31, null, s1, 0, s0
	v_lshlrev_b64 v[16:17], 1, v[10:11]
	v_add_co_u32 v14, vcc_lo, v30, v8
	s_delay_alu instid0(VALU_DEP_3)
	v_add_co_ci_u32_e32 v15, vcc_lo, v31, v9, vcc_lo
	ds_load_b128 v[8:11], v27 offset:256
	v_mul_lo_u32 v18, v18, s4
	v_or_b32_e32 v19, 8, v23
	v_add_co_u32 v16, vcc_lo, v30, v16
	global_store_b128 v[14:15], v[0:3], off
	v_lshlrev_b64 v[0:1], 1, v[12:13]
	v_add_co_ci_u32_e32 v17, vcc_lo, v31, v17, vcc_lo
	v_mul_lo_u32 v12, v19, s4
	v_ashrrev_i32_e32 v19, 31, v18
	v_or_b32_e32 v14, 10, v23
	global_store_b128 v[16:17], v[4:7], off
	v_add_co_u32 v4, vcc_lo, v30, v0
	v_add_co_ci_u32_e32 v5, vcc_lo, v31, v1, vcc_lo
	ds_load_b128 v[0:3], v27 offset:384
	v_ashrrev_i32_e32 v13, 31, v12
	v_lshlrev_b64 v[6:7], 1, v[18:19]
	v_mul_lo_u32 v14, v14, s4
	s_waitcnt lgkmcnt(1)
	global_store_b128 v[4:5], v[8:11], off
	v_or_b32_e32 v8, 12, v23
	v_lshlrev_b64 v[4:5], 1, v[12:13]
	v_add_co_u32 v20, vcc_lo, v30, v6
	v_or_b32_e32 v6, 14, v23
	v_ashrrev_i32_e32 v15, 31, v14
	v_mul_lo_u32 v22, v8, s4
	v_add_co_ci_u32_e32 v21, vcc_lo, v31, v7, vcc_lo
	v_add_co_u32 v24, vcc_lo, v30, v4
	v_mul_lo_u32 v26, v6, s4
	v_add_co_ci_u32_e32 v25, vcc_lo, v31, v5, vcc_lo
	v_lshlrev_b64 v[28:29], 1, v[14:15]
	ds_load_b128 v[4:7], v27 offset:512
	ds_load_b128 v[8:11], v27 offset:640
	;; [unrolled: 1-line block ×4, first 2 shown]
	v_ashrrev_i32_e32 v23, 31, v22
	v_ashrrev_i32_e32 v27, 31, v26
	v_add_co_u32 v28, vcc_lo, v30, v28
	s_delay_alu instid0(VALU_DEP_3) | instskip(SKIP_1) | instid1(VALU_DEP_4)
	v_lshlrev_b64 v[22:23], 1, v[22:23]
	v_add_co_ci_u32_e32 v29, vcc_lo, v31, v29, vcc_lo
	v_lshlrev_b64 v[26:27], 1, v[26:27]
	s_delay_alu instid0(VALU_DEP_3) | instskip(NEXT) | instid1(VALU_DEP_4)
	v_add_co_u32 v22, vcc_lo, v30, v22
	v_add_co_ci_u32_e32 v23, vcc_lo, v31, v23, vcc_lo
	s_delay_alu instid0(VALU_DEP_3) | instskip(NEXT) | instid1(VALU_DEP_4)
	v_add_co_u32 v26, vcc_lo, v30, v26
	v_add_co_ci_u32_e32 v27, vcc_lo, v31, v27, vcc_lo
	s_waitcnt lgkmcnt(4)
	global_store_b128 v[20:21], v[0:3], off
	s_waitcnt lgkmcnt(3)
	global_store_b128 v[24:25], v[4:7], off
	;; [unrolled: 2-line block ×5, first 2 shown]
	s_nop 0
	s_sendmsg sendmsg(MSG_DEALLOC_VGPRS)
	s_endpgm
	.section	.rodata,"a",@progbits
	.p2align	6, 0x0
	.amdhsa_kernel _Z39paged_attention_ll4mi_QKV_mfma16_kernelIDF16_hLN4vllm18Fp8KVCacheDataTypeE1EDF16_Li32ELi64ELi256ELb1ELi16EL8MFMAType0EEvPKT_PKT0_S8_ifPKiSA_SA_iPKfiiiPfSD_PS3_PT2_iSC_SC_
		.amdhsa_group_segment_fixed_size 17472
		.amdhsa_private_segment_fixed_size 0
		.amdhsa_kernarg_size 400
		.amdhsa_user_sgpr_count 13
		.amdhsa_user_sgpr_dispatch_ptr 0
		.amdhsa_user_sgpr_queue_ptr 0
		.amdhsa_user_sgpr_kernarg_segment_ptr 1
		.amdhsa_user_sgpr_dispatch_id 0
		.amdhsa_user_sgpr_private_segment_size 0
		.amdhsa_wavefront_size32 1
		.amdhsa_uses_dynamic_stack 0
		.amdhsa_enable_private_segment 0
		.amdhsa_system_sgpr_workgroup_id_x 1
		.amdhsa_system_sgpr_workgroup_id_y 1
		.amdhsa_system_sgpr_workgroup_id_z 1
		.amdhsa_system_sgpr_workgroup_info 0
		.amdhsa_system_vgpr_workitem_id 0
		.amdhsa_next_free_vgpr 123
		.amdhsa_next_free_sgpr 42
		.amdhsa_reserve_vcc 1
		.amdhsa_float_round_mode_32 0
		.amdhsa_float_round_mode_16_64 0
		.amdhsa_float_denorm_mode_32 3
		.amdhsa_float_denorm_mode_16_64 3
		.amdhsa_dx10_clamp 1
		.amdhsa_ieee_mode 1
		.amdhsa_fp16_overflow 0
		.amdhsa_workgroup_processor_mode 1
		.amdhsa_memory_ordered 1
		.amdhsa_forward_progress 0
		.amdhsa_shared_vgpr_count 0
		.amdhsa_exception_fp_ieee_invalid_op 0
		.amdhsa_exception_fp_denorm_src 0
		.amdhsa_exception_fp_ieee_div_zero 0
		.amdhsa_exception_fp_ieee_overflow 0
		.amdhsa_exception_fp_ieee_underflow 0
		.amdhsa_exception_fp_ieee_inexact 0
		.amdhsa_exception_int_div_zero 0
	.end_amdhsa_kernel
	.section	.text._Z39paged_attention_ll4mi_QKV_mfma16_kernelIDF16_hLN4vllm18Fp8KVCacheDataTypeE1EDF16_Li32ELi64ELi256ELb1ELi16EL8MFMAType0EEvPKT_PKT0_S8_ifPKiSA_SA_iPKfiiiPfSD_PS3_PT2_iSC_SC_,"axG",@progbits,_Z39paged_attention_ll4mi_QKV_mfma16_kernelIDF16_hLN4vllm18Fp8KVCacheDataTypeE1EDF16_Li32ELi64ELi256ELb1ELi16EL8MFMAType0EEvPKT_PKT0_S8_ifPKiSA_SA_iPKfiiiPfSD_PS3_PT2_iSC_SC_,comdat
.Lfunc_end1197:
	.size	_Z39paged_attention_ll4mi_QKV_mfma16_kernelIDF16_hLN4vllm18Fp8KVCacheDataTypeE1EDF16_Li32ELi64ELi256ELb1ELi16EL8MFMAType0EEvPKT_PKT0_S8_ifPKiSA_SA_iPKfiiiPfSD_PS3_PT2_iSC_SC_, .Lfunc_end1197-_Z39paged_attention_ll4mi_QKV_mfma16_kernelIDF16_hLN4vllm18Fp8KVCacheDataTypeE1EDF16_Li32ELi64ELi256ELb1ELi16EL8MFMAType0EEvPKT_PKT0_S8_ifPKiSA_SA_iPKfiiiPfSD_PS3_PT2_iSC_SC_
                                        ; -- End function
	.section	.AMDGPU.csdata,"",@progbits
; Kernel info:
; codeLenInByte = 6736
; NumSgprs: 44
; NumVgprs: 123
; ScratchSize: 0
; MemoryBound: 0
; FloatMode: 240
; IeeeMode: 1
; LDSByteSize: 17472 bytes/workgroup (compile time only)
; SGPRBlocks: 5
; VGPRBlocks: 15
; NumSGPRsForWavesPerEU: 44
; NumVGPRsForWavesPerEU: 123
; Occupancy: 10
; WaveLimiterHint : 1
; COMPUTE_PGM_RSRC2:SCRATCH_EN: 0
; COMPUTE_PGM_RSRC2:USER_SGPR: 13
; COMPUTE_PGM_RSRC2:TRAP_HANDLER: 0
; COMPUTE_PGM_RSRC2:TGID_X_EN: 1
; COMPUTE_PGM_RSRC2:TGID_Y_EN: 1
; COMPUTE_PGM_RSRC2:TGID_Z_EN: 1
; COMPUTE_PGM_RSRC2:TIDIG_COMP_CNT: 0
	.section	.text._Z39paged_attention_ll4mi_QKV_mfma16_kernelIDF16_hLN4vllm18Fp8KVCacheDataTypeE1EDF16_Li32ELi64ELi256ELb1ELi1EL8MFMAType0EEvPKT_PKT0_S8_ifPKiSA_SA_iPKfiiiPfSD_PS3_PT2_iSC_SC_,"axG",@progbits,_Z39paged_attention_ll4mi_QKV_mfma16_kernelIDF16_hLN4vllm18Fp8KVCacheDataTypeE1EDF16_Li32ELi64ELi256ELb1ELi1EL8MFMAType0EEvPKT_PKT0_S8_ifPKiSA_SA_iPKfiiiPfSD_PS3_PT2_iSC_SC_,comdat
	.protected	_Z39paged_attention_ll4mi_QKV_mfma16_kernelIDF16_hLN4vllm18Fp8KVCacheDataTypeE1EDF16_Li32ELi64ELi256ELb1ELi1EL8MFMAType0EEvPKT_PKT0_S8_ifPKiSA_SA_iPKfiiiPfSD_PS3_PT2_iSC_SC_ ; -- Begin function _Z39paged_attention_ll4mi_QKV_mfma16_kernelIDF16_hLN4vllm18Fp8KVCacheDataTypeE1EDF16_Li32ELi64ELi256ELb1ELi1EL8MFMAType0EEvPKT_PKT0_S8_ifPKiSA_SA_iPKfiiiPfSD_PS3_PT2_iSC_SC_
	.globl	_Z39paged_attention_ll4mi_QKV_mfma16_kernelIDF16_hLN4vllm18Fp8KVCacheDataTypeE1EDF16_Li32ELi64ELi256ELb1ELi1EL8MFMAType0EEvPKT_PKT0_S8_ifPKiSA_SA_iPKfiiiPfSD_PS3_PT2_iSC_SC_
	.p2align	8
	.type	_Z39paged_attention_ll4mi_QKV_mfma16_kernelIDF16_hLN4vllm18Fp8KVCacheDataTypeE1EDF16_Li32ELi64ELi256ELb1ELi1EL8MFMAType0EEvPKT_PKT0_S8_ifPKiSA_SA_iPKfiiiPfSD_PS3_PT2_iSC_SC_,@function
_Z39paged_attention_ll4mi_QKV_mfma16_kernelIDF16_hLN4vllm18Fp8KVCacheDataTypeE1EDF16_Li32ELi64ELi256ELb1ELi1EL8MFMAType0EEvPKT_PKT0_S8_ifPKiSA_SA_iPKfiiiPfSD_PS3_PT2_iSC_SC_: ; @_Z39paged_attention_ll4mi_QKV_mfma16_kernelIDF16_hLN4vllm18Fp8KVCacheDataTypeE1EDF16_Li32ELi64ELi256ELb1ELi1EL8MFMAType0EEvPKT_PKT0_S8_ifPKiSA_SA_iPKfiiiPfSD_PS3_PT2_iSC_SC_
; %bb.0:
	s_load_b64 s[4:5], s[0:1], 0x30
	s_mov_b32 s34, s13
	s_waitcnt lgkmcnt(0)
	s_cmp_lg_u64 s[4:5], 0
	s_cselect_b32 s6, -1, 0
	s_ashr_i32 s35, s13, 31
	s_cmp_eq_u64 s[4:5], 0
	s_cbranch_scc1 .LBB1198_3
; %bb.1:
	s_lshl_b64 s[2:3], s[34:35], 2
	s_delay_alu instid0(SALU_CYCLE_1) | instskip(SKIP_4) | instid1(SALU_CYCLE_1)
	s_add_u32 s2, s4, s2
	s_addc_u32 s3, s5, s3
	s_load_b64 s[2:3], s[2:3], 0x0
	s_waitcnt lgkmcnt(0)
	s_sub_i32 s2, s3, s2
	s_cmp_eq_u32 s2, 1
	s_cselect_b32 s2, -1, 0
	s_delay_alu instid0(SALU_CYCLE_1)
	s_and_not1_b32 vcc_lo, exec_lo, s2
	s_cbranch_vccz .LBB1198_4
.LBB1198_2:
	s_endpgm
.LBB1198_3:
.LBB1198_4:
	s_load_b64 s[2:3], s[0:1], 0x28
	s_lshl_b64 s[8:9], s[34:35], 2
	s_waitcnt lgkmcnt(0)
	s_add_u32 s2, s2, s8
	s_addc_u32 s3, s3, s9
	s_lshl_b32 s12, s14, 8
	s_load_b32 s33, s[2:3], 0x0
	s_waitcnt lgkmcnt(0)
	s_cmp_ge_i32 s12, s33
	s_cbranch_scc1 .LBB1198_2
; %bb.5:
	s_clause 0x1
	s_load_b128 s[28:31], s[0:1], 0x8
	s_load_b64 s[2:3], s[0:1], 0x20
	s_and_not1_b32 vcc_lo, exec_lo, s6
	s_mov_b64 s[6:7], s[34:35]
	s_cbranch_vccnz .LBB1198_7
; %bb.6:
	s_add_u32 s4, s4, s8
	s_addc_u32 s5, s5, s9
	s_load_b32 s6, s[4:5], 0x0
.LBB1198_7:
	s_load_b128 s[24:27], s[0:1], 0x48
	v_and_b32_e32 v73, 15, v0
	s_mov_b32 s13, exec_lo
                                        ; implicit-def: $sgpr16
                                        ; implicit-def: $sgpr4
	s_delay_alu instid0(VALU_DEP_1)
	v_cmpx_eq_u32_e32 0, v73
	s_cbranch_execz .LBB1198_9
; %bb.8:
	s_load_b64 s[4:5], s[0:1], 0x0
	s_waitcnt lgkmcnt(0)
	s_mul_hi_i32 s7, s6, s24
	s_mul_i32 s6, s6, s24
	s_delay_alu instid0(SALU_CYCLE_1) | instskip(NEXT) | instid1(SALU_CYCLE_1)
	s_lshl_b64 s[6:7], s[6:7], 1
	s_add_u32 s6, s4, s6
	s_addc_u32 s7, s5, s7
	s_lshl_b32 s4, s15, 6
	s_delay_alu instid0(SALU_CYCLE_1) | instskip(NEXT) | instid1(SALU_CYCLE_1)
	s_ashr_i32 s5, s4, 31
	s_lshl_b64 s[4:5], s[4:5], 1
	s_delay_alu instid0(SALU_CYCLE_1)
	s_add_u32 s4, s6, s4
	s_addc_u32 s5, s7, s5
	s_clause 0x1
	s_load_b256 s[16:23], s[4:5], 0x0
	s_load_b256 s[4:11], s[4:5], 0x40
.LBB1198_9:
	s_or_b32 exec_lo, exec_lo, s13
	v_and_b32_e32 v1, 0xef, v0
	s_waitcnt lgkmcnt(0)
	v_dual_mov_b32 v115, s23 :: v_dual_mov_b32 v108, s16
	v_mov_b32_e32 v114, s22
	s_add_i32 s13, s33, 31
	v_dual_mov_b32 v112, s20 :: v_dual_add_nc_u32 v1, s12, v1
	s_ashr_i32 s24, s13, 31
	s_load_b32 s27, s[0:1], 0x38
	s_lshr_b32 s24, s24, 27
	s_delay_alu instid0(VALU_DEP_1)
	v_ashrrev_i32_e32 v2, 31, v1
	v_or_b32_e32 v3, 16, v1
	s_add_i32 s13, s13, s24
	s_load_b32 s24, s[0:1], 0x1c
	s_ashr_i32 s13, s13, 5
	v_lshrrev_b32_e32 v2, 27, v2
	s_add_i32 s13, s13, -1
	v_cmp_gt_i32_e32 vcc_lo, s33, v1
	v_lshrrev_b32_e32 v66, 5, v0
	s_delay_alu instid0(VALU_DEP_3)
	v_dual_mov_b32 v111, s19 :: v_dual_add_nc_u32 v4, v1, v2
	v_mov_b32_e32 v113, s21
	v_mov_b32_e32 v109, s17
	v_and_b32_e32 v65, 0xe0, v0
	v_mbcnt_lo_u32_b32 v67, -1, 0
	v_ashrrev_i32_e32 v4, 5, v4
	v_add_nc_u32_e32 v2, v3, v2
	v_bfe_u32 v75, v0, 4, 1
	s_waitcnt lgkmcnt(0)
	s_mul_i32 s36, s34, s27
	v_xor_b32_e32 v68, 16, v67
	v_cndmask_b32_e32 v1, s13, v4, vcc_lo
	v_ashrrev_i32_e32 v2, 5, v2
	v_cmp_gt_i32_e32 vcc_lo, s33, v3
	s_ashr_i32 s37, s36, 31
	v_lshlrev_b32_e32 v74, 4, v73
	s_lshl_b64 s[36:37], s[36:37], 2
	v_mov_b32_e32 v110, s18
	v_cndmask_b32_e32 v3, s13, v2, vcc_lo
	v_ashrrev_i32_e32 v2, 31, v1
	s_add_u32 s36, s2, s36
	s_addc_u32 s35, s3, s37
	s_mul_i32 s37, s15, s26
	v_ashrrev_i32_e32 v4, 31, v3
	v_lshlrev_b64 v[1:2], 2, v[1:2]
	s_ashr_i32 s38, s37, 31
	s_add_u32 s40, s28, s37
	s_addc_u32 s41, s29, s38
	v_lshlrev_b64 v[3:4], 2, v[3:4]
	s_lshl_b32 s2, s14, 3
	v_add_co_u32 v1, vcc_lo, s36, v1
	v_add_co_ci_u32_e32 v2, vcc_lo, s35, v2, vcc_lo
	s_delay_alu instid0(VALU_DEP_3) | instskip(NEXT) | instid1(VALU_DEP_4)
	v_add_co_u32 v3, vcc_lo, s36, v3
	v_add_co_ci_u32_e32 v4, vcc_lo, s35, v4, vcc_lo
	s_clause 0x1
	global_load_b32 v5, v[1:2], off
	global_load_b32 v6, v[3:4], off
	s_ashr_i32 s3, s2, 31
	s_delay_alu instid0(SALU_CYCLE_1) | instskip(NEXT) | instid1(SALU_CYCLE_1)
	s_lshl_b64 s[2:3], s[2:3], 2
	s_add_u32 s2, s36, s2
	s_addc_u32 s3, s35, s3
	s_or_b32 s26, s12, 32
	s_delay_alu instid0(SALU_CYCLE_1) | instskip(SKIP_2) | instid1(SALU_CYCLE_1)
	s_ashr_i32 s27, s26, 5
	s_cmp_lt_i32 s26, s33
	s_cselect_b32 s26, s27, s13
	s_ashr_i32 s27, s26, 31
	s_delay_alu instid0(SALU_CYCLE_1) | instskip(NEXT) | instid1(SALU_CYCLE_1)
	s_lshl_b64 s[26:27], s[26:27], 2
	s_add_u32 s26, s36, s26
	s_addc_u32 s27, s35, s27
	s_or_b32 s28, s12, 64
	s_delay_alu instid0(SALU_CYCLE_1) | instskip(SKIP_2) | instid1(SALU_CYCLE_1)
	s_ashr_i32 s29, s28, 5
	s_cmp_lt_i32 s28, s33
	s_cselect_b32 s28, s29, s13
	;; [unrolled: 10-line block ×5, first 2 shown]
	s_ashr_i32 s29, s28, 31
	s_delay_alu instid0(SALU_CYCLE_1) | instskip(NEXT) | instid1(SALU_CYCLE_1)
	s_lshl_b64 s[28:29], s[28:29], 2
	s_add_u32 s48, s36, s28
	s_addc_u32 s49, s35, s29
	s_clause 0x5
	s_load_b32 s29, s[2:3], 0x0
	s_load_b32 s2, s[26:27], 0x0
	;; [unrolled: 1-line block ×6, first 2 shown]
	s_or_b32 s39, s12, 0xc0
	s_waitcnt vmcnt(1)
	v_mad_i64_i32 v[1:2], null, v5, s25, s[40:41]
	s_waitcnt vmcnt(0)
	v_mad_i64_i32 v[3:4], null, v6, s25, s[40:41]
	s_ashr_i32 s40, s39, 5
	s_cmp_lt_i32 s39, s33
	s_cselect_b32 s40, s40, s13
	s_delay_alu instid0(VALU_DEP_2) | instskip(NEXT) | instid1(VALU_DEP_3)
	v_add_co_u32 v1, vcc_lo, v1, v74
	v_add_co_ci_u32_e32 v2, vcc_lo, 0, v2, vcc_lo
	s_delay_alu instid0(VALU_DEP_3) | instskip(NEXT) | instid1(VALU_DEP_4)
	v_add_co_u32 v3, vcc_lo, v3, v74
	v_add_co_ci_u32_e32 v4, vcc_lo, 0, v4, vcc_lo
	s_clause 0x7
	global_load_b128 v[76:79], v[1:2], off
	global_load_b128 v[80:83], v[1:2], off offset:512
	global_load_b128 v[84:87], v[3:4], off offset:256
	;; [unrolled: 1-line block ×7, first 2 shown]
	s_ashr_i32 s41, s40, 31
	v_lshlrev_b32_e32 v1, 5, v73
	s_lshl_b64 s[40:41], s[40:41], 2
	v_cmp_gt_i32_e32 vcc_lo, 32, v68
	s_add_u32 s40, s36, s40
	s_addc_u32 s41, s35, s41
	s_or_b32 s39, s12, 0xe0
	v_lshl_or_b32 v1, v66, 9, v1
	s_ashr_i32 s42, s39, 5
	s_cmp_lt_i32 s39, s33
	s_cselect_b32 s42, s42, s13
	s_load_b32 s13, s[40:41], 0x0
	s_ashr_i32 s43, s42, 31
	s_delay_alu instid0(SALU_CYCLE_1) | instskip(NEXT) | instid1(SALU_CYCLE_1)
	s_lshl_b64 s[42:43], s[42:43], 2
	s_add_u32 s40, s36, s42
	s_addc_u32 s41, s35, s43
	s_add_u32 s30, s30, s37
	s_addc_u32 s31, s31, s38
	v_add_co_u32 v1, s30, s30, v1
	s_delay_alu instid0(VALU_DEP_1) | instskip(SKIP_3) | instid1(VALU_DEP_1)
	v_add_co_ci_u32_e64 v2, null, s31, 0, s30
	s_load_b32 s30, s[40:41], 0x0
	s_mov_b32 s36, 0
	s_waitcnt lgkmcnt(0)
	v_mad_i64_i32 v[3:4], null, s29, s25, v[1:2]
	v_mad_i64_i32 v[9:10], null, s26, s25, v[1:2]
	;; [unrolled: 1-line block ×7, first 2 shown]
	s_clause 0x5
	global_load_b128 v[49:52], v[3:4], off
	global_load_b128 v[53:56], v[3:4], off offset:16
	global_load_b128 v[41:44], v[5:6], off
	global_load_b128 v[45:48], v[5:6], off offset:16
	;; [unrolled: 2-line block ×3, first 2 shown]
	s_mov_b32 s43, s36
	s_mov_b32 s37, s36
	v_mad_i64_i32 v[61:62], null, s30, s25, v[1:2]
	s_clause 0x9
	global_load_b128 v[1:4], v[9:10], off
	global_load_b128 v[5:8], v[9:10], off offset:16
	global_load_b128 v[9:12], v[13:14], off
	global_load_b128 v[13:16], v[13:14], off offset:16
	;; [unrolled: 2-line block ×5, first 2 shown]
	s_mov_b32 s38, s36
	s_mov_b32 s39, s36
	;; [unrolled: 1-line block ×5, first 2 shown]
	v_mov_b32_e32 v123, s11
	v_mov_b32_e32 v131, s43
	v_dual_mov_b32 v121, s9 :: v_dual_mov_b32 v128, s40
	v_dual_mov_b32 v119, s7 :: v_dual_mov_b32 v126, s38
	;; [unrolled: 1-line block ×4, first 2 shown]
	v_mov_b32_e32 v127, s39
	v_dual_mov_b32 v125, s37 :: v_dual_mov_b32 v122, s10
	v_mov_b32_e32 v120, s8
	v_dual_mov_b32 v118, s6 :: v_dual_add_nc_u32 v65, s12, v65
	v_mov_b32_e32 v116, s4
	s_waitcnt vmcnt(0)
	s_barrier
	buffer_gl0_inv
	v_or_b32_e32 v65, v65, v75
	s_delay_alu instid0(VALU_DEP_1)
	v_or_b32_e32 v69, 4, v65
	v_or_b32_e32 v70, 6, v65
	v_or_b32_e32 v71, 8, v65
	v_or_b32_e32 v72, 10, v65
	v_or_b32_e32 v140, 12, v65
	v_or_b32_e32 v141, 14, v65
	v_or_b32_e32 v142, 16, v65
	v_or_b32_e32 v143, 18, v65
	v_cmp_gt_i32_e64 s3, s33, v69
	v_cmp_gt_i32_e64 s4, s33, v70
	;; [unrolled: 1-line block ×8, first 2 shown]
	v_wmma_f32_16x16x16_f16 v[132:139], v[76:83], v[108:115], v[124:131]
	v_or_b32_e32 v76, 20, v65
	v_or_b32_e32 v77, 22, v65
	;; [unrolled: 1-line block ×3, first 2 shown]
	s_delay_alu instid0(VALU_DEP_4)
	v_wmma_f32_16x16x16_f16 v[132:139], v[92:99], v[116:123], v[132:139]
	v_or_b32_e32 v79, 26, v65
	v_or_b32_e32 v80, 28, v65
	;; [unrolled: 1-line block ×3, first 2 shown]
	v_cmp_gt_i32_e64 s11, s33, v76
	v_mul_f32_e32 v82, s24, v139
	v_wmma_f32_16x16x16_f16 v[124:131], v[84:91], v[108:115], v[124:131]
	v_mul_f32_e32 v88, s24, v133
	v_mul_f32_e32 v86, s24, v135
	;; [unrolled: 1-line block ×3, first 2 shown]
	v_cmp_gt_i32_e64 s12, s33, v77
	v_wmma_f32_16x16x16_f16 v[124:131], v[100:107], v[116:123], v[124:131]
	v_cndmask_b32_e32 v67, v67, v68, vcc_lo
	v_or_b32_e32 v68, 2, v65
	v_cmp_gt_i32_e32 vcc_lo, s33, v65
	s_delay_alu instid0(VALU_DEP_4) | instskip(SKIP_1) | instid1(VALU_DEP_4)
	v_dual_mul_f32 v87, s24, v134 :: v_dual_mul_f32 v96, s24, v125
	v_dual_mul_f32 v90, s24, v131 :: v_dual_mul_f32 v89, s24, v132
	v_cmp_gt_i32_e64 s2, s33, v68
	v_dual_mul_f32 v85, s24, v136 :: v_dual_mul_f32 v94, s24, v127
	s_delay_alu instid0(VALU_DEP_4) | instskip(NEXT) | instid1(VALU_DEP_4)
	v_cndmask_b32_e64 v69, 0xff7fffff, v87, s3
	v_cndmask_b32_e32 v65, 0xff7fffff, v89, vcc_lo
	s_delay_alu instid0(VALU_DEP_4) | instskip(SKIP_3) | instid1(VALU_DEP_4)
	v_cndmask_b32_e64 v68, 0xff7fffff, v88, s2
	v_cndmask_b32_e64 v70, 0xff7fffff, v86, s4
	v_dual_mul_f32 v83, s24, v138 :: v_dual_mul_f32 v92, s24, v129
	v_cndmask_b32_e64 v71, 0xff7fffff, v84, s6
	v_max3_f32 v65, v65, 0xff7fffff, v68
	v_cndmask_b32_e64 v68, 0xff7fffff, v85, s5
	v_mul_f32_e32 v97, s24, v124
	v_mul_f32_e32 v95, s24, v126
	;; [unrolled: 1-line block ×3, first 2 shown]
	v_max3_f32 v65, v65, v69, v70
	v_cndmask_b32_e64 v69, 0xff7fffff, v83, s7
	v_cndmask_b32_e64 v70, 0xff7fffff, v82, s8
	v_cmp_gt_i32_e64 s13, s33, v78
	v_cmp_gt_i32_e64 s16, s33, v79
	v_max3_f32 v65, v65, v68, v71
	v_cndmask_b32_e64 v68, 0xff7fffff, v97, s9
	v_cndmask_b32_e64 v71, 0xff7fffff, v96, s10
	v_mul_f32_e32 v91, s24, v130
	v_cmp_gt_i32_e64 s17, s33, v80
	v_max3_f32 v65, v65, v69, v70
	v_cndmask_b32_e64 v69, 0xff7fffff, v95, s11
	v_cndmask_b32_e64 v70, 0xff7fffff, v94, s12
	v_cmp_gt_i32_e64 s18, s33, v81
	s_delay_alu instid0(VALU_DEP_4) | instskip(SKIP_2) | instid1(VALU_DEP_3)
	v_max3_f32 v65, v65, v68, v71
	v_cndmask_b32_e64 v68, 0xff7fffff, v93, s13
	v_cndmask_b32_e64 v71, 0xff7fffff, v92, s16
	v_max3_f32 v65, v65, v69, v70
	v_cndmask_b32_e64 v69, 0xff7fffff, v91, s17
	v_cndmask_b32_e64 v70, 0xff7fffff, v90, s18
	s_delay_alu instid0(VALU_DEP_3) | instskip(SKIP_1) | instid1(VALU_DEP_2)
	v_max3_f32 v65, v65, v68, v71
	v_lshlrev_b32_e32 v68, 2, v67
	v_max3_f32 v65, v65, v69, v70
	ds_bpermute_b32 v67, v68, v65
	s_waitcnt lgkmcnt(0)
	v_max_f32_e32 v67, v67, v67
	s_delay_alu instid0(VALU_DEP_1) | instskip(NEXT) | instid1(VALU_DEP_1)
	v_max_f32_e32 v65, v65, v67
	v_fma_f32 v80, s24, v124, -v65
	s_delay_alu instid0(VALU_DEP_1)
	v_mul_f32_e32 v80, 0x3fb8aa3b, v80
	v_fma_f32 v78, s24, v138, -v65
	v_fma_f32 v71, s24, v135, -v65
	;; [unrolled: 1-line block ×5, first 2 shown]
	v_mul_f32_e32 v78, 0x3fb8aa3b, v78
	v_exp_f32_e32 v80, v80
	v_mul_f32_e32 v67, 0x3fb8aa3b, v67
	v_fma_f32 v72, s24, v136, -v65
	v_mul_f32_e32 v70, 0x3fb8aa3b, v70
	v_exp_f32_e32 v78, v78
	s_delay_alu instid0(VALU_DEP_3) | instskip(NEXT) | instid1(VALU_DEP_2)
	v_exp_f32_e32 v67, v67
	v_mul_f32_e32 v72, 0x3fb8aa3b, v72
	s_delay_alu instid0(VALU_DEP_2) | instskip(SKIP_2) | instid1(VALU_DEP_3)
	v_exp_f32_e32 v76, v70
	v_cndmask_b32_e64 v88, 0, v80, s9
	v_fma_f32 v80, s24, v129, -v65
	v_exp_f32_e32 v79, v72
	v_cndmask_b32_e64 v86, 0, v78, s7
	v_fma_f32 v78, s24, v127, -v65
	v_mul_f32_e32 v71, 0x3fb8aa3b, v71
	s_delay_alu instid0(TRANS32_DEP_3) | instskip(SKIP_1) | instid1(TRANS32_DEP_2)
	v_cndmask_b32_e32 v70, 0, v67, vcc_lo
	v_fma_f32 v67, s24, v137, -v65
	v_cndmask_b32_e64 v72, 0, v76, s3
	v_mul_f32_e32 v78, 0x3fb8aa3b, v78
	v_exp_f32_e32 v71, v71
	v_dual_add_f32 v77, 0, v70 :: v_dual_mul_f32 v80, 0x3fb8aa3b, v80
	v_mul_f32_e32 v67, 0x3fb8aa3b, v67
	v_cndmask_b32_e64 v84, 0, v79, s5
	v_fma_f32 v79, s24, v125, -v65
	v_exp_f32_e32 v78, v78
	s_mov_b32 s3, exec_lo
	v_exp_f32_e32 v67, v67
	s_delay_alu instid0(TRANS32_DEP_3) | instskip(SKIP_2) | instid1(VALU_DEP_2)
	v_cndmask_b32_e64 v71, 0, v71, s4
	v_mul_f32_e32 v69, 0x3fb8aa3b, v69
	v_mul_f32_e32 v79, 0x3fb8aa3b, v79
	v_exp_f32_e32 v69, v69
	s_delay_alu instid0(VALU_DEP_1) | instskip(NEXT) | instid1(TRANS32_DEP_3)
	v_exp_f32_e32 v79, v79
	v_cndmask_b32_e64 v83, 0, v67, s6
	v_cndmask_b32_e64 v89, 0, v78, s12
	v_fma_f32 v78, s24, v131, -v65
	s_waitcnt_depctr 0xfff
	v_cndmask_b32_e64 v69, 0, v69, s2
	v_cndmask_b32_e64 v87, 0, v79, s10
	v_fma_f32 v79, s24, v130, -v65
	s_delay_alu instid0(VALU_DEP_3) | instskip(SKIP_1) | instid1(VALU_DEP_1)
	v_add_f32_e32 v76, v77, v69
	v_fma_f32 v77, s24, v139, -v65
	v_dual_add_f32 v76, v76, v72 :: v_dual_mul_f32 v77, 0x3fb8aa3b, v77
	s_delay_alu instid0(VALU_DEP_1) | instskip(NEXT) | instid1(VALU_DEP_1)
	v_add_f32_e32 v76, v76, v71
	v_add_f32_e32 v67, v76, v84
	v_fma_f32 v76, s24, v126, -v65
	s_delay_alu instid0(VALU_DEP_1) | instskip(NEXT) | instid1(VALU_DEP_1)
	v_dual_add_f32 v67, v67, v83 :: v_dual_mul_f32 v76, 0x3fb8aa3b, v76
	v_add_f32_e32 v67, v67, v86
	s_delay_alu instid0(VALU_DEP_2)
	v_exp_f32_e32 v76, v76
	s_waitcnt_depctr 0xfff
	v_cndmask_b32_e64 v90, 0, v76, s11
	v_mul_f32_e32 v76, 0x3fb8aa3b, v79
	v_exp_f32_e32 v77, v77
	v_exp_f32_e32 v79, v80
	s_delay_alu instid0(VALU_DEP_1) | instskip(NEXT) | instid1(TRANS32_DEP_3)
	v_exp_f32_e32 v76, v76
	v_cndmask_b32_e64 v85, 0, v77, s8
	v_fma_f32 v77, s24, v128, -v65
	s_waitcnt_depctr 0xfff
	v_cndmask_b32_e64 v91, 0, v79, s16
	v_cndmask_b32_e64 v94, 0, v76, s17
	v_add_f32_e32 v67, v67, v85
	v_dual_mul_f32 v77, 0x3fb8aa3b, v77 :: v_dual_and_b32 v76, 31, v0
	s_delay_alu instid0(VALU_DEP_2) | instskip(NEXT) | instid1(VALU_DEP_2)
	v_add_f32_e32 v67, v67, v88
	v_exp_f32_e32 v77, v77
	s_delay_alu instid0(VALU_DEP_2) | instskip(NEXT) | instid1(VALU_DEP_2)
	v_cmp_lt_u32_e64 s2, 15, v76
	v_add_f32_e32 v67, v67, v87
	s_delay_alu instid0(VALU_DEP_1) | instskip(SKIP_4) | instid1(VALU_DEP_2)
	v_add_f32_e32 v67, v67, v90
	s_waitcnt_depctr 0xfff
	v_cndmask_b32_e64 v92, 0, v77, s13
	v_mul_f32_e32 v77, 0x3fb8aa3b, v78
	v_add_f32_e32 v67, v67, v89
	v_exp_f32_e32 v77, v77
	s_delay_alu instid0(VALU_DEP_1) | instskip(NEXT) | instid1(VALU_DEP_1)
	v_add_f32_e32 v67, v67, v92
	v_add_f32_e32 v67, v67, v91
	s_waitcnt_depctr 0xfff
	v_cndmask_b32_e64 v93, 0, v77, s18
	v_add_f32_e32 v67, v67, v94
	s_delay_alu instid0(VALU_DEP_1)
	v_add_f32_e32 v67, v67, v93
	ds_bpermute_b32 v68, v68, v67
	v_cmpx_gt_u32_e32 16, v76
	s_cbranch_execz .LBB1198_11
; %bb.10:
	v_mul_u32_u24_e32 v76, 0x44, v66
	s_waitcnt lgkmcnt(0)
	v_add_f32_e32 v67, v67, v68
	s_delay_alu instid0(VALU_DEP_2) | instskip(NEXT) | instid1(VALU_DEP_1)
	v_lshl_add_u32 v76, v73, 2, v76
	v_add_nc_u32_e32 v68, 0x4000, v76
	ds_store_2addr_b32 v68, v65, v67 offset1:136
.LBB1198_11:
	s_or_b32 exec_lo, exec_lo, s3
	v_lshlrev_b32_e32 v65, 2, v73
	s_load_b64 s[36:37], s[0:1], 0x94
	s_waitcnt lgkmcnt(0)
	s_barrier
	buffer_gl0_inv
	v_add_nc_u32_e32 v65, 0x4000, v65
	v_cmp_eq_u32_e32 vcc_lo, 1, v66
	v_cmp_eq_u32_e64 s3, 2, v66
	v_cmp_eq_u32_e64 s5, 3, v66
	;; [unrolled: 1-line block ×3, first 2 shown]
	ds_load_2addr_b32 v[76:77], v65 offset1:17
	ds_load_2addr_b32 v[78:79], v65 offset0:34 offset1:51
	ds_load_2addr_b32 v[80:81], v65 offset0:68 offset1:85
	;; [unrolled: 1-line block ×3, first 2 shown]
	v_cmp_eq_u32_e64 s7, 5, v66
	v_cmp_eq_u32_e64 s4, 6, v66
	s_waitcnt lgkmcnt(3)
	v_max3_f32 v67, v76, 0xff7fffff, v77
	s_waitcnt lgkmcnt(2)
	s_delay_alu instid0(VALU_DEP_1) | instskip(SKIP_1) | instid1(VALU_DEP_1)
	v_max3_f32 v67, v67, v78, v79
	s_waitcnt lgkmcnt(1)
	v_max3_f32 v67, v67, v80, v81
	s_waitcnt lgkmcnt(0)
	s_delay_alu instid0(VALU_DEP_1) | instskip(NEXT) | instid1(VALU_DEP_1)
	v_max3_f32 v67, v67, v95, v96
	v_sub_f32_e32 v82, v77, v67
	ds_load_2addr_b32 v[97:98], v65 offset0:136 offset1:153
	v_sub_f32_e32 v68, v76, v67
	ds_load_2addr_b32 v[76:77], v65 offset0:170 offset1:187
	v_sub_f32_e32 v80, v80, v67
	v_mul_f32_e32 v82, 0x3fb8aa3b, v82
	v_mul_f32_e32 v68, 0x3fb8aa3b, v68
	s_delay_alu instid0(VALU_DEP_3) | instskip(NEXT) | instid1(VALU_DEP_2)
	v_mul_f32_e32 v102, 0x3fb8aa3b, v80
	v_exp_f32_e32 v99, v68
	v_sub_f32_e32 v68, v79, v67
	s_delay_alu instid0(VALU_DEP_1) | instskip(NEXT) | instid1(VALU_DEP_1)
	v_dual_sub_f32 v78, v78, v67 :: v_dual_mul_f32 v101, 0x3fb8aa3b, v68
	v_mul_f32_e32 v100, 0x3fb8aa3b, v78
	ds_load_2addr_b32 v[78:79], v65 offset0:204 offset1:221
	s_waitcnt lgkmcnt(2)
	v_fma_f32 v68, v99, v97, 0
	v_sub_f32_e32 v97, v81, v67
	ds_load_2addr_b32 v[80:81], v65 offset0:238 offset1:255
	v_sub_f32_e32 v65, v95, v67
	v_exp_f32_e32 v82, v82
	v_exp_f32_e32 v101, v101
	v_mul_f32_e32 v95, 0x3fb8aa3b, v97
	v_exp_f32_e32 v97, v102
	v_mul_f32_e32 v65, 0x3fb8aa3b, v65
	v_exp_f32_e32 v100, v100
	s_waitcnt lgkmcnt(0)
	v_exp_f32_e32 v95, v95
	s_barrier
	buffer_gl0_inv
	v_fmac_f32_e32 v68, v82, v98
	s_delay_alu instid0(VALU_DEP_1) | instskip(SKIP_2) | instid1(VALU_DEP_2)
	v_fmac_f32_e32 v68, v100, v76
	v_sub_f32_e32 v76, v96, v67
	v_exp_f32_e32 v96, v65
	v_fmac_f32_e32 v68, v101, v77
	s_delay_alu instid0(VALU_DEP_2) | instskip(NEXT) | instid1(VALU_DEP_2)
	v_mul_f32_e32 v76, 0x3fb8aa3b, v76
	v_fmac_f32_e32 v68, v97, v78
	s_delay_alu instid0(VALU_DEP_2) | instskip(SKIP_1) | instid1(VALU_DEP_2)
	v_exp_f32_e32 v98, v76
	v_cndmask_b32_e32 v76, v99, v82, vcc_lo
	v_fmac_f32_e32 v68, v95, v79
	s_delay_alu instid0(TRANS32_DEP_2) | instid1(VALU_DEP_1)
	v_fmac_f32_e32 v68, v96, v80
	v_lshlrev_b32_e32 v80, 6, v73
	s_waitcnt_depctr 0xfff
	v_fmac_f32_e32 v68, v98, v81
	v_lshl_or_b32 v82, v66, 11, v80
	s_delay_alu instid0(VALU_DEP_2) | instskip(NEXT) | instid1(VALU_DEP_1)
	v_add_f32_e32 v81, 0x358637bd, v68
	v_div_scale_f32 v102, null, v81, v81, 1.0
	v_div_scale_f32 v99, vcc_lo, 1.0, v81, 1.0
	s_delay_alu instid0(VALU_DEP_2) | instskip(SKIP_2) | instid1(VALU_DEP_1)
	v_rcp_f32_e32 v103, v102
	s_waitcnt_depctr 0xfff
	v_fma_f32 v65, -v102, v103, 1.0
	v_fmac_f32_e32 v103, v65, v103
	v_cndmask_b32_e64 v65, v76, v100, s3
	v_cmp_eq_u32_e64 s3, 7, v66
	v_lshlrev_b32_e32 v76, 2, v75
	s_delay_alu instid0(VALU_DEP_4) | instskip(NEXT) | instid1(VALU_DEP_4)
	v_mul_f32_e32 v100, v99, v103
	v_cndmask_b32_e64 v77, v65, v101, s5
	v_mov_b32_e32 v65, 0
	s_delay_alu instid0(VALU_DEP_4)
	v_or_b32_e32 v79, 1, v76
	v_cmp_eq_u32_e64 s5, 1, v76
	v_fma_f32 v78, -v102, v100, v99
	v_cndmask_b32_e64 v97, v77, v97, s6
	v_or_b32_e32 v77, 2, v76
	v_cmp_eq_u32_e64 s9, 1, v79
	v_cmp_eq_u32_e64 s6, 2, v76
	v_fmac_f32_e32 v100, v78, v103
	v_cndmask_b32_e64 v66, v97, v95, s7
	v_or_b32_e32 v78, 3, v76
	v_cmp_eq_u32_e64 s10, 1, v77
	v_cmp_eq_u32_e64 s12, 2, v79
	v_fma_f32 v95, -v102, v100, v99
	v_cndmask_b32_e64 v66, v66, v96, s4
	v_cmp_eq_u32_e64 s11, 1, v78
	v_cmp_eq_u32_e64 s17, 2, v78
	;; [unrolled: 1-line block ×3, first 2 shown]
	v_div_fmas_f32 v95, v95, v103, v100
	v_cndmask_b32_e64 v66, v66, v98, s3
	v_cmp_eq_u32_e32 vcc_lo, 3, v76
	v_cmp_eq_u32_e64 s16, 2, v77
	v_cmp_eq_u32_e64 s19, 3, v78
	v_div_fixup_f32 v95, v95, v81, 1.0
	v_lshl_or_b32 v81, v75, 4, v82
	v_cmp_eq_u32_e64 s4, 4, v76
	v_cmp_eq_u32_e64 s18, 3, v77
	;; [unrolled: 1-line block ×3, first 2 shown]
	v_mul_f32_e32 v66, v66, v95
	v_cmp_eq_u32_e64 s23, 4, v78
	v_cmp_eq_u32_e64 s7, 5, v76
	;; [unrolled: 1-line block ×4, first 2 shown]
	v_fma_mixlo_f16 v95, v66, v70, 0
	v_fma_mixlo_f16 v96, v66, v72, 0
	;; [unrolled: 1-line block ×8, first 2 shown]
	v_fma_mixhi_f16 v95, v66, v69, 0
	v_fma_mixhi_f16 v96, v66, v71, 0
	;; [unrolled: 1-line block ×8, first 2 shown]
	ds_store_b128 v81, v[95:98]
	ds_store_b128 v81, v[99:102] offset:1024
	s_waitcnt lgkmcnt(0)
	s_barrier
	buffer_gl0_inv
	ds_load_b128 v[69:72], v82
	ds_load_b128 v[83:86], v82 offset:16
	ds_load_b128 v[87:90], v82 offset:1024
	ds_load_b128 v[91:94], v82 offset:1040
	v_cmp_eq_u32_e64 s25, 5, v78
	v_cmp_eq_u32_e64 s3, 6, v76
	v_cmp_eq_u32_e64 s24, 5, v77
	v_cmp_eq_u32_e64 s26, 6, v79
	v_cmp_eq_u32_e64 s28, 6, v78
	v_cmp_eq_u32_e64 s8, 7, v76
	v_cmp_eq_u32_e64 s27, 6, v77
	v_cmp_eq_u32_e64 s30, 7, v78
	v_cmp_eq_u32_e64 s31, 7, v79
	v_cmp_eq_u32_e64 s29, 7, v77
	s_waitcnt lgkmcnt(3)
	v_lshrrev_b32_e32 v66, 16, v69
	s_waitcnt lgkmcnt(2)
	v_lshrrev_b32_e32 v98, 16, v83
	;; [unrolled: 2-line block ×4, first 2 shown]
	v_lshrrev_b32_e32 v95, 16, v70
	v_cndmask_b32_e64 v110, v69, v66, s5
	v_cndmask_b32_e64 v111, v83, v98, s5
	;; [unrolled: 1-line block ×7, first 2 shown]
	v_lshrrev_b32_e32 v99, 16, v84
	v_cndmask_b32_e64 v115, v83, v98, s10
	v_cndmask_b32_e64 v83, v87, v102, s5
	;; [unrolled: 1-line block ×15, first 2 shown]
	v_lshrrev_b32_e32 v103, 16, v88
	v_lshrrev_b32_e32 v107, 16, v92
	v_cndmask_b32_e64 v112, v114, v70, s16
	v_cndmask_b32_e64 v113, v115, v84, s16
	;; [unrolled: 1-line block ×7, first 2 shown]
	v_cndmask_b32_e32 v88, v102, v95, vcc_lo
	v_cndmask_b32_e32 v102, v106, v99, vcc_lo
	v_cndmask_b32_e64 v106, v110, v95, s13
	v_cndmask_b32_e64 v110, v111, v99, s13
	;; [unrolled: 1-line block ×4, first 2 shown]
	v_lshrrev_b32_e32 v96, 16, v71
	v_lshrrev_b32_e32 v100, 16, v85
	v_cndmask_b32_e64 v111, v112, v95, s18
	v_cndmask_b32_e64 v112, v113, v99, s18
	v_cndmask_b32_e32 v70, v70, v103, vcc_lo
	v_cndmask_b32_e32 v83, v83, v107, vcc_lo
	v_cndmask_b32_e64 v84, v84, v103, s13
	v_cndmask_b32_e64 v88, v88, v71, s4
	;; [unrolled: 1-line block ×7, first 2 shown]
	v_lshrrev_b32_e32 v104, 16, v89
	v_lshrrev_b32_e32 v108, 16, v93
	v_cndmask_b32_e64 v106, v111, v71, s22
	v_cndmask_b32_e64 v110, v112, v85, s22
	;; [unrolled: 1-line block ×11, first 2 shown]
	v_lshrrev_b32_e32 v97, 16, v72
	v_lshrrev_b32_e32 v101, 16, v86
	v_cndmask_b32_e64 v99, v106, v96, s24
	v_cndmask_b32_e64 v102, v110, v100, s24
	;; [unrolled: 1-line block ×11, first 2 shown]
	v_lshrrev_b32_e32 v105, 16, v90
	v_cndmask_b32_e64 v96, v99, v72, s27
	v_cndmask_b32_e64 v99, v102, v86, s27
	;; [unrolled: 1-line block ×14, first 2 shown]
	v_perm_b32 v72, v69, v66, 0x5040100
	v_perm_b32 v70, v95, v85, 0x5040100
	v_cndmask_b32_e64 v66, v91, v92, s17
	v_cndmask_b32_e64 v69, v119, v92, s16
	v_cndmask_b32_e64 v85, v117, v92, s12
	v_cndmask_b32_e64 v99, v71, v105, s31
	v_perm_b32 v71, v96, v88, 0x5040100
	v_cndmask_b32_e64 v88, v98, v103, s18
	v_cndmask_b32_e64 v87, v87, v103, s19
	;; [unrolled: 1-line block ×15, first 2 shown]
	v_lshrrev_b32_e32 v109, 16, v94
	v_cndmask_b32_e64 v88, v88, v90, s27
	v_cndmask_b32_e64 v87, v87, v90, s28
	;; [unrolled: 1-line block ×11, first 2 shown]
	v_perm_b32 v69, v84, v83, 0x5040100
	v_perm_b32 v86, v66, v87, 0x5040100
	;; [unrolled: 1-line block ×5, first 2 shown]
	s_mov_b32 s3, exec_lo
	ds_store_b128 v81, v[69:72]
	ds_store_b128 v81, v[83:86] offset:1024
	v_cmpx_eq_u32_e32 0, v0
	s_cbranch_execz .LBB1198_13
; %bb.12:
	s_load_b128 s[4:7], s[0:1], 0x58
	s_mul_i32 s8, s37, s34
	s_delay_alu instid0(SALU_CYCLE_1) | instskip(NEXT) | instid1(SALU_CYCLE_1)
	s_add_i32 s8, s8, s15
	s_mul_i32 s8, s8, s36
	s_delay_alu instid0(SALU_CYCLE_1) | instskip(NEXT) | instid1(SALU_CYCLE_1)
	s_add_i32 s8, s8, s14
	s_ashr_i32 s9, s8, 31
	s_delay_alu instid0(SALU_CYCLE_1)
	s_lshl_b64 s[8:9], s[8:9], 2
	s_waitcnt lgkmcnt(0)
	s_add_u32 s6, s6, s8
	s_addc_u32 s7, s7, s9
	s_add_u32 s4, s4, s8
	s_addc_u32 s5, s5, s9
	s_clause 0x1
	global_store_b32 v65, v67, s[6:7]
	global_store_b32 v65, v68, s[4:5]
.LBB1198_13:
	s_or_b32 exec_lo, exec_lo, s3
	s_waitcnt lgkmcnt(0)
	s_waitcnt_vscnt null, 0x0
	s_barrier
	buffer_gl0_inv
	ds_load_b128 v[83:86], v80
	ds_load_b128 v[87:90], v80 offset:16
	ds_load_b128 v[95:98], v80 offset:2064
	;; [unrolled: 1-line block ×5, first 2 shown]
	v_mov_b32_e32 v66, v65
	v_mov_b32_e32 v67, v65
	;; [unrolled: 1-line block ×7, first 2 shown]
	ds_load_b128 v[111:114], v80 offset:6160
	ds_load_b128 v[107:110], v80 offset:6144
	;; [unrolled: 1-line block ×4, first 2 shown]
	v_cmp_eq_u32_e32 vcc_lo, 1, v76
	v_cmp_eq_u32_e64 s3, 1, v79
	v_cmp_eq_u32_e64 s4, 1, v78
	;; [unrolled: 1-line block ×5, first 2 shown]
	s_waitcnt lgkmcnt(8)
	v_wmma_f32_16x16x16_f16 v[65:72], v[49:56], v[83:90], v[65:72]
	ds_load_b128 v[53:56], v80 offset:10256
	ds_load_b128 v[49:52], v80 offset:10240
	s_waitcnt lgkmcnt(8)
	v_wmma_f32_16x16x16_f16 v[65:72], v[41:48], v[91:98], v[65:72]
	ds_load_b128 v[45:48], v80 offset:12304
	ds_load_b128 v[41:44], v80 offset:12288
	;; [unrolled: 4-line block ×3, first 2 shown]
	s_waitcnt lgkmcnt(0)
	s_barrier
	buffer_gl0_inv
	v_wmma_f32_16x16x16_f16 v[65:72], v[1:8], v[107:114], v[65:72]
	s_delay_alu instid0(VALU_DEP_1) | instskip(NEXT) | instid1(VALU_DEP_1)
	v_wmma_f32_16x16x16_f16 v[65:72], v[9:16], v[115:122], v[65:72]
	v_wmma_f32_16x16x16_f16 v[65:72], v[17:24], v[49:56], v[65:72]
	s_delay_alu instid0(VALU_DEP_1) | instskip(NEXT) | instid1(VALU_DEP_1)
	v_wmma_f32_16x16x16_f16 v[65:72], v[25:32], v[41:48], v[65:72]
	v_wmma_f32_16x16x16_f16 v[65:72], v[57:64], v[33:40], v[65:72]
	s_delay_alu instid0(VALU_DEP_1) | instskip(NEXT) | instid1(VALU_DEP_2)
	v_cvt_f16_f32_e32 v1, v65
	v_cvt_f16_f32_e32 v2, v66
	s_delay_alu instid0(VALU_DEP_3) | instskip(NEXT) | instid1(VALU_DEP_4)
	v_cvt_f16_f32_e32 v3, v67
	v_cvt_f16_f32_e32 v4, v68
	;; [unrolled: 1-line block ×6, first 2 shown]
	v_pack_b32_f16 v1, v1, v2
	v_pack_b32_f16 v2, v3, v4
	v_pack_b32_f16 v3, v5, v6
	s_delay_alu instid0(VALU_DEP_4)
	v_pack_b32_f16 v4, v7, v8
	ds_store_b128 v81, v[1:4]
	s_waitcnt lgkmcnt(0)
	s_barrier
	buffer_gl0_inv
	ds_load_b128 v[1:4], v82
	ds_load_b128 v[5:8], v82 offset:16
	s_waitcnt lgkmcnt(1)
	v_lshrrev_b32_e32 v9, 16, v1
	s_waitcnt lgkmcnt(0)
	v_lshrrev_b32_e32 v13, 16, v5
	v_lshrrev_b32_e32 v16, 16, v8
	;; [unrolled: 1-line block ×4, first 2 shown]
	v_cndmask_b32_e32 v17, v1, v9, vcc_lo
	v_cndmask_b32_e32 v18, v5, v13, vcc_lo
	v_cmp_eq_u32_e32 vcc_lo, 1, v77
	v_cndmask_b32_e64 v19, v1, v9, s3
	v_cndmask_b32_e64 v20, v5, v13, s3
	v_cmp_eq_u32_e64 s3, 2, v77
	v_lshrrev_b32_e32 v11, 16, v3
	v_cndmask_b32_e32 v21, v1, v9, vcc_lo
	v_cndmask_b32_e32 v22, v5, v13, vcc_lo
	v_cndmask_b32_e64 v1, v1, v9, s4
	v_cmp_eq_u32_e32 vcc_lo, 2, v78
	v_cndmask_b32_e64 v5, v5, v13, s4
	v_cmp_eq_u32_e64 s4, 2, v79
	v_cndmask_b32_e64 v9, v17, v2, s5
	v_cndmask_b32_e64 v13, v18, v6, s5
	v_cmp_eq_u32_e64 s5, 3, v79
	v_cndmask_b32_e32 v1, v1, v2, vcc_lo
	v_cndmask_b32_e64 v17, v19, v2, s4
	v_cndmask_b32_e64 v18, v20, v6, s4
	;; [unrolled: 1-line block ×4, first 2 shown]
	v_cndmask_b32_e32 v2, v5, v6, vcc_lo
	v_cmp_eq_u32_e32 vcc_lo, 3, v77
	v_cmp_eq_u32_e64 s4, 3, v78
	v_cndmask_b32_e64 v5, v9, v10, s6
	v_cndmask_b32_e64 v6, v13, v14, s6
	;; [unrolled: 1-line block ×4, first 2 shown]
	v_cndmask_b32_e32 v17, v19, v10, vcc_lo
	v_cmp_eq_u32_e64 s3, 4, v77
	v_cndmask_b32_e32 v18, v20, v14, vcc_lo
	v_cndmask_b32_e64 v1, v1, v10, s4
	v_cmp_eq_u32_e32 vcc_lo, 4, v78
	v_cmp_eq_u32_e64 s5, 4, v76
	v_cndmask_b32_e64 v2, v2, v14, s4
	v_cmp_eq_u32_e64 s4, 4, v79
	v_lshrrev_b32_e32 v15, 16, v7
	v_cmp_eq_u32_e64 s6, 5, v76
	v_cndmask_b32_e64 v5, v5, v3, s5
	v_cndmask_b32_e64 v6, v6, v7, s5
	;; [unrolled: 1-line block ×6, first 2 shown]
	v_cmp_eq_u32_e64 s4, 5, v77
	v_cndmask_b32_e32 v1, v1, v3, vcc_lo
	v_cndmask_b32_e32 v2, v2, v7, vcc_lo
	v_cmp_eq_u32_e32 vcc_lo, 5, v78
	v_cmp_eq_u32_e64 s5, 5, v79
	v_cndmask_b32_e64 v5, v5, v11, s6
	v_cmp_eq_u32_e64 s3, 6, v76
	v_cndmask_b32_e64 v6, v6, v15, s6
	v_cndmask_b32_e64 v13, v13, v11, s4
	v_cndmask_b32_e64 v3, v14, v15, s4
	v_cndmask_b32_e32 v1, v1, v11, vcc_lo
	v_cmp_eq_u32_e64 s4, 6, v78
	v_cndmask_b32_e32 v2, v2, v15, vcc_lo
	v_cndmask_b32_e64 v9, v9, v11, s5
	v_cndmask_b32_e64 v10, v10, v15, s5
	v_cmp_eq_u32_e64 s5, 6, v79
	v_lshrrev_b32_e32 v12, 16, v4
	v_cndmask_b32_e64 v5, v5, v4, s3
	v_cndmask_b32_e64 v6, v6, v8, s3
	v_cmp_eq_u32_e64 s3, 7, v76
	v_cndmask_b32_e64 v1, v1, v4, s4
	v_cmp_eq_u32_e32 vcc_lo, 7, v78
	v_cndmask_b32_e64 v2, v2, v8, s4
	v_cndmask_b32_e64 v9, v9, v4, s5
	v_cmp_eq_u32_e64 s6, 7, v79
	v_cndmask_b32_e64 v7, v13, v4, s7
	v_cndmask_b32_e64 v3, v3, v8, s7
	v_cndmask_b32_e32 v2, v2, v16, vcc_lo
	v_cmp_eq_u32_e64 s4, 7, v77
	v_cndmask_b32_e64 v4, v10, v8, s5
	v_cndmask_b32_e64 v5, v5, v12, s3
	v_cndmask_b32_e32 v1, v1, v12, vcc_lo
	v_cndmask_b32_e64 v6, v6, v16, s3
	v_cmp_lt_u32_e32 vcc_lo, 31, v0
	v_cmp_lt_u32_e64 s3, 7, v73
	v_cndmask_b32_e64 v9, v9, v12, s6
	v_cndmask_b32_e64 v7, v7, v12, s4
	;; [unrolled: 1-line block ×4, first 2 shown]
	s_or_b32 s3, vcc_lo, s3
	v_perm_b32 v4, v2, v1, 0x5040100
	v_perm_b32 v1, v6, v5, 0x5040100
	;; [unrolled: 1-line block ×4, first 2 shown]
	s_or_b32 s2, s2, s3
	s_delay_alu instid0(SALU_CYCLE_1)
	s_xor_b32 s2, s2, -1
	ds_store_b128 v81, v[1:4]
	s_waitcnt lgkmcnt(0)
	s_barrier
	buffer_gl0_inv
	s_and_saveexec_b32 s3, s2
	s_cbranch_execz .LBB1198_2
; %bb.14:
	s_load_b64 s[0:1], s[0:1], 0x68
	v_lshlrev_b32_e32 v1, 10, v0
	v_and_b32_e32 v0, 1, v0
	v_lshlrev_b32_e32 v2, 6, v75
	s_lshl_b32 s4, s36, 6
	s_delay_alu instid0(VALU_DEP_3) | instskip(NEXT) | instid1(VALU_DEP_3)
	v_and_b32_e32 v1, 0x3800, v1
	v_lshlrev_b32_e32 v0, 4, v0
	s_mul_i32 s2, s4, s34
	s_delay_alu instid0(SALU_CYCLE_1) | instskip(NEXT) | instid1(VALU_DEP_1)
	s_mul_i32 s2, s2, s37
	v_or3_b32 v0, v1, v2, v0
	s_ashr_i32 s3, s2, 31
	s_delay_alu instid0(SALU_CYCLE_1)
	s_lshl_b64 s[2:3], s[2:3], 1
	ds_load_b128 v[0:3], v0
	s_waitcnt lgkmcnt(0)
	s_add_u32 s5, s0, s2
	s_addc_u32 s3, s1, s3
	s_lshl_b32 s0, s14, 6
	s_mul_i32 s2, s4, s15
	s_ashr_i32 s1, s0, 31
	s_delay_alu instid0(SALU_CYCLE_1) | instskip(NEXT) | instid1(SALU_CYCLE_1)
	s_lshl_b64 s[0:1], s[0:1], 1
	s_add_u32 s4, s5, s0
	s_addc_u32 s5, s3, s1
	s_ashr_i32 s3, s2, 31
	s_delay_alu instid0(SALU_CYCLE_1) | instskip(NEXT) | instid1(SALU_CYCLE_1)
	s_lshl_b64 s[0:1], s[2:3], 1
	s_add_u32 s0, s4, s0
	s_addc_u32 s1, s5, s1
	global_store_b128 v74, v[0:3], s[0:1]
	s_nop 0
	s_sendmsg sendmsg(MSG_DEALLOC_VGPRS)
	s_endpgm
	.section	.rodata,"a",@progbits
	.p2align	6, 0x0
	.amdhsa_kernel _Z39paged_attention_ll4mi_QKV_mfma16_kernelIDF16_hLN4vllm18Fp8KVCacheDataTypeE1EDF16_Li32ELi64ELi256ELb1ELi1EL8MFMAType0EEvPKT_PKT0_S8_ifPKiSA_SA_iPKfiiiPfSD_PS3_PT2_iSC_SC_
		.amdhsa_group_segment_fixed_size 17472
		.amdhsa_private_segment_fixed_size 0
		.amdhsa_kernarg_size 400
		.amdhsa_user_sgpr_count 13
		.amdhsa_user_sgpr_dispatch_ptr 0
		.amdhsa_user_sgpr_queue_ptr 0
		.amdhsa_user_sgpr_kernarg_segment_ptr 1
		.amdhsa_user_sgpr_dispatch_id 0
		.amdhsa_user_sgpr_private_segment_size 0
		.amdhsa_wavefront_size32 1
		.amdhsa_uses_dynamic_stack 0
		.amdhsa_enable_private_segment 0
		.amdhsa_system_sgpr_workgroup_id_x 1
		.amdhsa_system_sgpr_workgroup_id_y 1
		.amdhsa_system_sgpr_workgroup_id_z 1
		.amdhsa_system_sgpr_workgroup_info 0
		.amdhsa_system_vgpr_workitem_id 0
		.amdhsa_next_free_vgpr 144
		.amdhsa_next_free_sgpr 50
		.amdhsa_reserve_vcc 1
		.amdhsa_float_round_mode_32 0
		.amdhsa_float_round_mode_16_64 0
		.amdhsa_float_denorm_mode_32 3
		.amdhsa_float_denorm_mode_16_64 3
		.amdhsa_dx10_clamp 1
		.amdhsa_ieee_mode 1
		.amdhsa_fp16_overflow 0
		.amdhsa_workgroup_processor_mode 1
		.amdhsa_memory_ordered 1
		.amdhsa_forward_progress 0
		.amdhsa_shared_vgpr_count 0
		.amdhsa_exception_fp_ieee_invalid_op 0
		.amdhsa_exception_fp_denorm_src 0
		.amdhsa_exception_fp_ieee_div_zero 0
		.amdhsa_exception_fp_ieee_overflow 0
		.amdhsa_exception_fp_ieee_underflow 0
		.amdhsa_exception_fp_ieee_inexact 0
		.amdhsa_exception_int_div_zero 0
	.end_amdhsa_kernel
	.section	.text._Z39paged_attention_ll4mi_QKV_mfma16_kernelIDF16_hLN4vllm18Fp8KVCacheDataTypeE1EDF16_Li32ELi64ELi256ELb1ELi1EL8MFMAType0EEvPKT_PKT0_S8_ifPKiSA_SA_iPKfiiiPfSD_PS3_PT2_iSC_SC_,"axG",@progbits,_Z39paged_attention_ll4mi_QKV_mfma16_kernelIDF16_hLN4vllm18Fp8KVCacheDataTypeE1EDF16_Li32ELi64ELi256ELb1ELi1EL8MFMAType0EEvPKT_PKT0_S8_ifPKiSA_SA_iPKfiiiPfSD_PS3_PT2_iSC_SC_,comdat
.Lfunc_end1198:
	.size	_Z39paged_attention_ll4mi_QKV_mfma16_kernelIDF16_hLN4vllm18Fp8KVCacheDataTypeE1EDF16_Li32ELi64ELi256ELb1ELi1EL8MFMAType0EEvPKT_PKT0_S8_ifPKiSA_SA_iPKfiiiPfSD_PS3_PT2_iSC_SC_, .Lfunc_end1198-_Z39paged_attention_ll4mi_QKV_mfma16_kernelIDF16_hLN4vllm18Fp8KVCacheDataTypeE1EDF16_Li32ELi64ELi256ELb1ELi1EL8MFMAType0EEvPKT_PKT0_S8_ifPKiSA_SA_iPKfiiiPfSD_PS3_PT2_iSC_SC_
                                        ; -- End function
	.section	.AMDGPU.csdata,"",@progbits
; Kernel info:
; codeLenInByte = 6224
; NumSgprs: 52
; NumVgprs: 144
; ScratchSize: 0
; MemoryBound: 1
; FloatMode: 240
; IeeeMode: 1
; LDSByteSize: 17472 bytes/workgroup (compile time only)
; SGPRBlocks: 6
; VGPRBlocks: 17
; NumSGPRsForWavesPerEU: 52
; NumVGPRsForWavesPerEU: 144
; Occupancy: 10
; WaveLimiterHint : 1
; COMPUTE_PGM_RSRC2:SCRATCH_EN: 0
; COMPUTE_PGM_RSRC2:USER_SGPR: 13
; COMPUTE_PGM_RSRC2:TRAP_HANDLER: 0
; COMPUTE_PGM_RSRC2:TGID_X_EN: 1
; COMPUTE_PGM_RSRC2:TGID_Y_EN: 1
; COMPUTE_PGM_RSRC2:TGID_Z_EN: 1
; COMPUTE_PGM_RSRC2:TIDIG_COMP_CNT: 0
	.section	.text._Z39paged_attention_ll4mi_QKV_mfma16_kernelIDF16_hLN4vllm18Fp8KVCacheDataTypeE1EDF16_Li32ELi64ELi256ELb1ELi2EL8MFMAType0EEvPKT_PKT0_S8_ifPKiSA_SA_iPKfiiiPfSD_PS3_PT2_iSC_SC_,"axG",@progbits,_Z39paged_attention_ll4mi_QKV_mfma16_kernelIDF16_hLN4vllm18Fp8KVCacheDataTypeE1EDF16_Li32ELi64ELi256ELb1ELi2EL8MFMAType0EEvPKT_PKT0_S8_ifPKiSA_SA_iPKfiiiPfSD_PS3_PT2_iSC_SC_,comdat
	.protected	_Z39paged_attention_ll4mi_QKV_mfma16_kernelIDF16_hLN4vllm18Fp8KVCacheDataTypeE1EDF16_Li32ELi64ELi256ELb1ELi2EL8MFMAType0EEvPKT_PKT0_S8_ifPKiSA_SA_iPKfiiiPfSD_PS3_PT2_iSC_SC_ ; -- Begin function _Z39paged_attention_ll4mi_QKV_mfma16_kernelIDF16_hLN4vllm18Fp8KVCacheDataTypeE1EDF16_Li32ELi64ELi256ELb1ELi2EL8MFMAType0EEvPKT_PKT0_S8_ifPKiSA_SA_iPKfiiiPfSD_PS3_PT2_iSC_SC_
	.globl	_Z39paged_attention_ll4mi_QKV_mfma16_kernelIDF16_hLN4vllm18Fp8KVCacheDataTypeE1EDF16_Li32ELi64ELi256ELb1ELi2EL8MFMAType0EEvPKT_PKT0_S8_ifPKiSA_SA_iPKfiiiPfSD_PS3_PT2_iSC_SC_
	.p2align	8
	.type	_Z39paged_attention_ll4mi_QKV_mfma16_kernelIDF16_hLN4vllm18Fp8KVCacheDataTypeE1EDF16_Li32ELi64ELi256ELb1ELi2EL8MFMAType0EEvPKT_PKT0_S8_ifPKiSA_SA_iPKfiiiPfSD_PS3_PT2_iSC_SC_,@function
_Z39paged_attention_ll4mi_QKV_mfma16_kernelIDF16_hLN4vllm18Fp8KVCacheDataTypeE1EDF16_Li32ELi64ELi256ELb1ELi2EL8MFMAType0EEvPKT_PKT0_S8_ifPKiSA_SA_iPKfiiiPfSD_PS3_PT2_iSC_SC_: ; @_Z39paged_attention_ll4mi_QKV_mfma16_kernelIDF16_hLN4vllm18Fp8KVCacheDataTypeE1EDF16_Li32ELi64ELi256ELb1ELi2EL8MFMAType0EEvPKT_PKT0_S8_ifPKiSA_SA_iPKfiiiPfSD_PS3_PT2_iSC_SC_
; %bb.0:
	s_load_b64 s[2:3], s[0:1], 0x30
	s_mov_b32 s30, s13
	s_waitcnt lgkmcnt(0)
	s_cmp_lg_u64 s[2:3], 0
	s_cselect_b32 s6, -1, 0
	s_ashr_i32 s31, s13, 31
	s_cmp_eq_u64 s[2:3], 0
	s_cbranch_scc1 .LBB1199_3
; %bb.1:
	s_lshl_b64 s[4:5], s[30:31], 2
	s_delay_alu instid0(SALU_CYCLE_1) | instskip(SKIP_4) | instid1(SALU_CYCLE_1)
	s_add_u32 s4, s2, s4
	s_addc_u32 s5, s3, s5
	s_load_b64 s[4:5], s[4:5], 0x0
	s_waitcnt lgkmcnt(0)
	s_sub_i32 s4, s5, s4
	s_cmp_eq_u32 s4, 1
	s_cselect_b32 s4, -1, 0
	s_delay_alu instid0(SALU_CYCLE_1)
	s_and_not1_b32 vcc_lo, exec_lo, s4
	s_cbranch_vccz .LBB1199_4
.LBB1199_2:
	s_endpgm
.LBB1199_3:
.LBB1199_4:
	s_load_b64 s[8:9], s[0:1], 0x28
	s_lshl_b64 s[4:5], s[30:31], 2
	s_waitcnt lgkmcnt(0)
	s_add_u32 s8, s8, s4
	s_addc_u32 s9, s9, s5
	s_lshl_b32 s16, s14, 8
	s_load_b32 s17, s[8:9], 0x0
	s_waitcnt lgkmcnt(0)
	s_cmp_ge_i32 s16, s17
	s_cbranch_scc1 .LBB1199_2
; %bb.5:
	s_clause 0x1
	s_load_b128 s[8:11], s[0:1], 0x8
	s_load_b64 s[12:13], s[0:1], 0x20
	s_and_not1_b32 vcc_lo, exec_lo, s6
	s_cbranch_vccnz .LBB1199_7
; %bb.6:
	s_add_u32 s2, s2, s4
	s_addc_u32 s3, s3, s5
	s_load_b32 s3, s[2:3], 0x0
	s_branch .LBB1199_8
.LBB1199_7:
	s_mov_b32 s3, s30
.LBB1199_8:
	s_load_b128 s[4:7], s[0:1], 0x48
	v_and_b32_e32 v70, 15, v0
	v_bfe_u32 v69, v0, 4, 1
	s_lshl_b32 s33, s15, 1
	v_cmp_gt_u32_e32 vcc_lo, 32, v0
	v_and_b32_e32 v71, 31, v0
	v_lshlrev_b32_e32 v1, 3, v70
	v_cmp_gt_u32_e64 s2, 8, v70
	v_and_b32_e32 v68, 1, v0
	v_or_b32_e32 v67, s33, v69
	v_lshlrev_b32_e32 v66, 6, v69
	v_lshlrev_b32_e32 v65, 1, v1
	s_and_b32 s31, vcc_lo, s2
	s_delay_alu instid0(SALU_CYCLE_1)
	s_and_saveexec_b32 s2, s31
	s_cbranch_execz .LBB1199_10
; %bb.9:
	s_load_b64 s[18:19], s[0:1], 0x0
	v_lshlrev_b32_e32 v1, 6, v67
	s_waitcnt lgkmcnt(0)
	s_mul_hi_i32 s21, s3, s4
	s_mul_i32 s20, s3, s4
	v_lshlrev_b32_e32 v5, 10, v70
	s_lshl_b64 s[20:21], s[20:21], 1
	v_ashrrev_i32_e32 v2, 31, v1
	v_lshlrev_b32_e32 v6, 10, v68
	s_delay_alu instid0(VALU_DEP_3) | instskip(NEXT) | instid1(VALU_DEP_3)
	v_and_b32_e32 v5, 0x3800, v5
	v_lshlrev_b64 v[1:2], 1, v[1:2]
	s_delay_alu instid0(VALU_DEP_2) | instskip(SKIP_2) | instid1(VALU_DEP_2)
	v_or3_b32 v5, v5, v6, v66
	s_add_u32 s3, s18, s20
	s_addc_u32 s4, s19, s21
	v_add_co_u32 v1, vcc_lo, s3, v1
	s_delay_alu instid0(VALU_DEP_3) | instskip(NEXT) | instid1(VALU_DEP_2)
	v_add_co_ci_u32_e32 v2, vcc_lo, s4, v2, vcc_lo
	v_add_co_u32 v1, vcc_lo, v1, v65
	s_delay_alu instid0(VALU_DEP_2)
	v_add_co_ci_u32_e32 v2, vcc_lo, 0, v2, vcc_lo
	global_load_b128 v[1:4], v[1:2], off
	s_waitcnt vmcnt(0)
	ds_store_b128 v5, v[1:4]
.LBB1199_10:
	s_or_b32 exec_lo, exec_lo, s2
	v_and_b32_e32 v1, 0xef, v0
	s_add_i32 s2, s17, 31
	s_waitcnt lgkmcnt(0)
	s_clause 0x1
	s_load_b32 s3, s[0:1], 0x38
	s_load_b32 s34, s[0:1], 0x98
	s_ashr_i32 s4, s2, 31
	v_add_nc_u32_e32 v1, s16, v1
	s_lshr_b32 s4, s4, 27
	s_load_b32 s18, s[0:1], 0x1c
	s_add_i32 s2, s2, s4
	s_waitcnt lgkmcnt(0)
	v_ashrrev_i32_e32 v2, 31, v1
	v_or_b32_e32 v3, 16, v1
	s_ashr_i32 s2, s2, 5
	v_cmp_gt_i32_e32 vcc_lo, s17, v1
	s_add_i32 s2, s2, -1
	v_lshrrev_b32_e32 v2, 27, v2
	s_barrier
	buffer_gl0_inv
	s_mul_i32 s15, s15, s6
	v_lshrrev_b32_e32 v72, 5, v0
	v_add_nc_u32_e32 v4, v1, v2
	v_mbcnt_lo_u32_b32 v129, -1, 0
	s_mul_i32 s20, s30, s3
	v_and_b32_e32 v105, 0xe0, v0
	s_ashr_i32 s21, s20, 31
	v_ashrrev_i32_e32 v4, 5, v4
	v_add_nc_u32_e32 v2, v3, v2
	s_lshl_b64 s[20:21], s[20:21], 2
	v_xor_b32_e32 v130, 16, v129
	s_add_u32 s19, s12, s20
	v_cndmask_b32_e32 v1, s2, v4, vcc_lo
	v_ashrrev_i32_e32 v2, 5, v2
	v_cmp_gt_i32_e32 vcc_lo, s17, v3
	s_addc_u32 s12, s13, s21
	s_ashr_i32 s13, s15, 31
	s_add_u32 s20, s8, s15
	s_addc_u32 s21, s9, s13
	v_cndmask_b32_e32 v3, s2, v2, vcc_lo
	v_ashrrev_i32_e32 v2, 31, v1
	s_lshl_b32 s6, s14, 3
	v_add_nc_u32_e32 v121, s16, v105
	s_ashr_i32 s7, s6, 31
	v_ashrrev_i32_e32 v4, 31, v3
	v_lshlrev_b64 v[1:2], 2, v[1:2]
	s_lshl_b64 s[6:7], s[6:7], 2
	v_or_b32_e32 v137, v121, v69
	s_add_u32 s6, s19, s6
	v_lshlrev_b64 v[3:4], 2, v[3:4]
	s_addc_u32 s7, s12, s7
	v_add_co_u32 v1, vcc_lo, s19, v1
	v_add_co_ci_u32_e32 v2, vcc_lo, s12, v2, vcc_lo
	s_delay_alu instid0(VALU_DEP_3) | instskip(NEXT) | instid1(VALU_DEP_4)
	v_add_co_u32 v3, vcc_lo, s19, v3
	v_add_co_ci_u32_e32 v4, vcc_lo, s12, v4, vcc_lo
	s_clause 0x1
	global_load_b32 v5, v[1:2], off
	global_load_b32 v6, v[3:4], off
	s_or_b32 s3, s16, 32
	v_or_b32_e32 v139, 2, v137
	s_ashr_i32 s4, s3, 5
	s_cmp_lt_i32 s3, s17
	v_or_b32_e32 v140, 4, v137
	s_cselect_b32 s8, s4, s2
	v_or_b32_e32 v141, 6, v137
	s_ashr_i32 s9, s8, 31
	v_or_b32_e32 v142, 8, v137
	s_lshl_b64 s[8:9], s[8:9], 2
	v_or_b32_e32 v143, 10, v137
	s_add_u32 s22, s19, s8
	s_addc_u32 s23, s12, s9
	s_or_b32 s3, s16, 64
	v_or_b32_e32 v144, 12, v137
	s_ashr_i32 s4, s3, 5
	s_cmp_lt_i32 s3, s17
	v_or_b32_e32 v145, 14, v137
	s_cselect_b32 s8, s4, s2
	v_or_b32_e32 v146, 16, v137
	s_ashr_i32 s9, s8, 31
	v_or_b32_e32 v147, 18, v137
	s_lshl_b64 s[8:9], s[8:9], 2
	s_delay_alu instid0(SALU_CYCLE_1) | instskip(SKIP_2) | instid1(SALU_CYCLE_1)
	s_add_u32 s24, s19, s8
	s_addc_u32 s25, s12, s9
	s_or_b32 s3, s16, 0x60
	s_ashr_i32 s4, s3, 5
	s_cmp_lt_i32 s3, s17
	s_cselect_b32 s8, s4, s2
	s_delay_alu instid0(SALU_CYCLE_1) | instskip(NEXT) | instid1(SALU_CYCLE_1)
	s_ashr_i32 s9, s8, 31
	s_lshl_b64 s[8:9], s[8:9], 2
	s_delay_alu instid0(SALU_CYCLE_1) | instskip(SKIP_2) | instid1(SALU_CYCLE_1)
	s_add_u32 s26, s19, s8
	s_addc_u32 s27, s12, s9
	s_or_b32 s3, s16, 0x80
	s_ashr_i32 s4, s3, 5
	s_cmp_lt_i32 s3, s17
	s_cselect_b32 s8, s4, s2
	s_delay_alu instid0(SALU_CYCLE_1) | instskip(NEXT) | instid1(SALU_CYCLE_1)
	s_ashr_i32 s9, s8, 31
	;; [unrolled: 10-line block ×3, first 2 shown]
	s_lshl_b64 s[8:9], s[8:9], 2
	s_delay_alu instid0(SALU_CYCLE_1)
	s_add_u32 s36, s19, s8
	s_addc_u32 s37, s12, s9
	s_clause 0x5
	s_load_b32 s9, s[6:7], 0x0
	s_load_b32 s3, s[22:23], 0x0
	;; [unrolled: 1-line block ×6, first 2 shown]
	s_waitcnt vmcnt(1)
	v_mad_i64_i32 v[1:2], null, v5, s5, s[20:21]
	v_lshlrev_b32_e32 v5, 4, v70
	s_waitcnt vmcnt(0)
	v_mad_i64_i32 v[3:4], null, v6, s5, s[20:21]
	s_or_b32 s20, s16, 0xc0
	s_delay_alu instid0(SALU_CYCLE_1) | instskip(NEXT) | instid1(VALU_DEP_3)
	s_ashr_i32 s21, s20, 5
	v_add_co_u32 v1, vcc_lo, v1, v5
	s_delay_alu instid0(VALU_DEP_4) | instskip(NEXT) | instid1(VALU_DEP_3)
	v_add_co_ci_u32_e32 v2, vcc_lo, 0, v2, vcc_lo
	v_add_co_u32 v3, vcc_lo, v3, v5
	s_delay_alu instid0(VALU_DEP_4)
	v_add_co_ci_u32_e32 v4, vcc_lo, 0, v4, vcc_lo
	s_clause 0x7
	global_load_b128 v[73:76], v[1:2], off
	global_load_b128 v[77:80], v[1:2], off offset:512
	global_load_b128 v[81:84], v[3:4], off offset:256
	;; [unrolled: 1-line block ×7, first 2 shown]
	s_cmp_lt_i32 s20, s17
	v_lshlrev_b32_e32 v1, 5, v70
	s_cselect_b32 s20, s21, s2
	v_cmp_gt_i32_e32 vcc_lo, 32, v130
	s_ashr_i32 s21, s20, 31
	v_lshlrev_b32_e32 v117, 6, v68
	s_lshl_b64 s[20:21], s[20:21], 2
	v_lshl_or_b32 v1, v72, 9, v1
	v_cndmask_b32_e32 v138, v129, v130, vcc_lo
	s_add_u32 s20, s19, s20
	s_addc_u32 s21, s12, s21
	s_or_b32 s22, s16, 0xe0
	v_cmp_gt_i32_e32 vcc_lo, s17, v137
	s_ashr_i32 s23, s22, 5
	s_cmp_lt_i32 s22, s17
	s_cselect_b32 s22, s23, s2
	s_load_b32 s2, s[20:21], 0x0
	s_ashr_i32 s23, s22, 31
	s_delay_alu instid0(SALU_CYCLE_1) | instskip(NEXT) | instid1(SALU_CYCLE_1)
	s_lshl_b64 s[22:23], s[22:23], 2
	s_add_u32 s20, s19, s22
	s_addc_u32 s21, s12, s23
	s_add_u32 s10, s10, s15
	s_addc_u32 s11, s11, s13
	v_add_co_u32 v1, s10, s10, v1
	s_delay_alu instid0(VALU_DEP_1) | instskip(SKIP_2) | instid1(VALU_DEP_1)
	v_add_co_ci_u32_e64 v2, null, s11, 0, s10
	s_load_b32 s10, s[20:21], 0x0
	s_waitcnt lgkmcnt(0)
	v_mad_i64_i32 v[3:4], null, s9, s5, v[1:2]
	v_mad_i64_i32 v[9:10], null, s6, s5, v[1:2]
	;; [unrolled: 1-line block ×7, first 2 shown]
	s_clause 0x5
	global_load_b128 v[49:52], v[3:4], off
	global_load_b128 v[53:56], v[3:4], off offset:16
	global_load_b128 v[41:44], v[5:6], off
	global_load_b128 v[45:48], v[5:6], off offset:16
	;; [unrolled: 2-line block ×3, first 2 shown]
	s_mov_b32 s4, 0
	v_cmp_gt_i32_e64 s2, s17, v139
	v_mad_i64_i32 v[61:62], null, s10, s5, v[1:2]
	s_clause 0x9
	global_load_b128 v[1:4], v[9:10], off
	global_load_b128 v[5:8], v[9:10], off offset:16
	global_load_b128 v[9:12], v[13:14], off
	global_load_b128 v[13:16], v[13:14], off offset:16
	;; [unrolled: 2-line block ×5, first 2 shown]
	ds_load_b128 v[105:108], v117
	ds_load_b128 v[109:112], v117 offset:1024
	ds_load_b128 v[113:116], v117 offset:2048
	;; [unrolled: 1-line block ×3, first 2 shown]
	s_mov_b32 s11, s4
	s_mov_b32 s5, s4
	;; [unrolled: 1-line block ×7, first 2 shown]
	s_delay_alu instid0(SALU_CYCLE_1)
	v_dual_mov_b32 v128, s11 :: v_dual_mov_b32 v127, s10
	v_dual_mov_b32 v126, s9 :: v_dual_mov_b32 v125, s8
	;; [unrolled: 1-line block ×4, first 2 shown]
	v_cmp_gt_i32_e64 s3, s17, v140
	v_cmp_gt_i32_e64 s4, s17, v141
	;; [unrolled: 1-line block ×8, first 2 shown]
	s_waitcnt vmcnt(0) lgkmcnt(0)
	s_barrier
	buffer_gl0_inv
	v_wmma_f32_16x16x16_f16 v[129:136], v[73:80], v[105:112], v[121:128]
	v_wmma_f32_16x16x16_f16 v[121:128], v[81:88], v[105:112], v[121:128]
	v_or_b32_e32 v73, 20, v137
	v_or_b32_e32 v74, 22, v137
	s_delay_alu instid0(VALU_DEP_4)
	v_wmma_f32_16x16x16_f16 v[129:136], v[89:96], v[113:120], v[129:136]
	v_or_b32_e32 v75, 24, v137
	v_wmma_f32_16x16x16_f16 v[121:128], v[97:104], v[113:120], v[121:128]
	v_or_b32_e32 v76, 26, v137
	v_cmp_gt_i32_e64 s11, s17, v73
	v_dual_mul_f32 v85, s18, v130 :: v_dual_mul_f32 v86, s18, v129
	s_delay_alu instid0(VALU_DEP_4) | instskip(SKIP_1) | instid1(VALU_DEP_3)
	v_dual_mul_f32 v83, s18, v132 :: v_dual_mul_f32 v94, s18, v121
	v_mul_f32_e32 v84, s18, v131
	v_cndmask_b32_e64 v85, 0xff7fffff, v85, s2
	s_delay_alu instid0(VALU_DEP_4)
	v_cndmask_b32_e32 v86, 0xff7fffff, v86, vcc_lo
	v_dual_mul_f32 v81, s18, v134 :: v_dual_mul_f32 v92, s18, v123
	v_mul_f32_e32 v82, s18, v133
	v_cndmask_b32_e64 v84, 0xff7fffff, v84, s3
	v_cndmask_b32_e64 v83, 0xff7fffff, v83, s4
	v_max3_f32 v85, v86, 0xff7fffff, v85
	v_dual_mul_f32 v79, s18, v136 :: v_dual_mul_f32 v90, s18, v125
	v_mul_f32_e32 v80, s18, v135
	v_cndmask_b32_e64 v82, 0xff7fffff, v82, s5
	v_cndmask_b32_e64 v81, 0xff7fffff, v81, s6
	v_max3_f32 v83, v85, v84, v83
	v_mul_f32_e32 v93, s18, v122
	v_cndmask_b32_e64 v80, 0xff7fffff, v80, s7
	v_cndmask_b32_e64 v79, 0xff7fffff, v79, s8
	v_mul_f32_e32 v91, s18, v124
	v_max3_f32 v81, v83, v82, v81
	v_cndmask_b32_e64 v82, 0xff7fffff, v94, s9
	v_cndmask_b32_e64 v83, 0xff7fffff, v93, s10
	v_cmp_gt_i32_e64 s12, s17, v74
	v_or_b32_e32 v77, 28, v137
	v_max3_f32 v79, v81, v80, v79
	v_or_b32_e32 v78, 30, v137
	v_mul_f32_e32 v89, s18, v126
	v_cndmask_b32_e64 v73, 0xff7fffff, v92, s11
	v_cndmask_b32_e64 v74, 0xff7fffff, v91, s12
	v_max3_f32 v79, v79, v82, v83
	v_cmp_gt_i32_e64 s13, s17, v75
	v_cmp_gt_i32_e64 s15, s17, v76
	v_dual_mul_f32 v87, s18, v128 :: v_dual_mul_f32 v88, s18, v127
	s_delay_alu instid0(VALU_DEP_4) | instskip(NEXT) | instid1(VALU_DEP_4)
	v_max3_f32 v73, v79, v73, v74
	v_cndmask_b32_e64 v75, 0xff7fffff, v90, s13
	s_delay_alu instid0(VALU_DEP_4) | instskip(SKIP_2) | instid1(VALU_DEP_3)
	v_cndmask_b32_e64 v76, 0xff7fffff, v89, s15
	v_cmp_gt_i32_e64 s16, s17, v77
	v_cmp_gt_i32_e64 s17, s17, v78
	v_max3_f32 v73, v73, v75, v76
	s_delay_alu instid0(VALU_DEP_3) | instskip(NEXT) | instid1(VALU_DEP_3)
	v_cndmask_b32_e64 v74, 0xff7fffff, v88, s16
	v_cndmask_b32_e64 v77, 0xff7fffff, v87, s17
	v_lshlrev_b32_e32 v75, 2, v138
	s_delay_alu instid0(VALU_DEP_2) | instskip(SKIP_3) | instid1(VALU_DEP_1)
	v_max3_f32 v73, v73, v74, v77
	ds_bpermute_b32 v74, v75, v73
	s_waitcnt lgkmcnt(0)
	v_max_f32_e32 v74, v74, v74
	v_max_f32_e32 v73, v73, v74
	s_delay_alu instid0(VALU_DEP_1)
	v_fma_f32 v74, s18, v129, -v73
	v_fma_f32 v76, s18, v130, -v73
	v_fma_f32 v77, s18, v131, -v73
	v_fma_f32 v78, s18, v132, -v73
	v_fma_f32 v80, s18, v133, -v73
	v_mul_f32_e32 v74, 0x3fb8aa3b, v74
	s_delay_alu instid0(VALU_DEP_4) | instskip(NEXT) | instid1(VALU_DEP_4)
	v_dual_mul_f32 v76, 0x3fb8aa3b, v76 :: v_dual_mul_f32 v77, 0x3fb8aa3b, v77
	v_mul_f32_e32 v78, 0x3fb8aa3b, v78
	s_delay_alu instid0(VALU_DEP_4) | instskip(NEXT) | instid1(VALU_DEP_4)
	v_mul_f32_e32 v80, 0x3fb8aa3b, v80
	v_exp_f32_e32 v74, v74
	s_delay_alu instid0(VALU_DEP_3) | instskip(SKIP_4) | instid1(VALU_DEP_1)
	v_exp_f32_e32 v76, v76
	v_exp_f32_e32 v77, v77
	;; [unrolled: 1-line block ×3, first 2 shown]
	v_fma_f32 v83, s18, v135, -v73
	v_exp_f32_e32 v84, v80
	v_mul_f32_e32 v83, 0x3fb8aa3b, v83
	v_cndmask_b32_e32 v79, 0, v74, vcc_lo
	v_fma_f32 v74, s18, v134, -v73
	v_cndmask_b32_e64 v78, 0, v76, s2
	s_delay_alu instid0(TRANS32_DEP_3) | instskip(NEXT) | instid1(TRANS32_DEP_2)
	v_cndmask_b32_e64 v81, 0, v77, s3
	v_cndmask_b32_e64 v80, 0, v82, s4
	v_add_f32_e32 v76, 0, v79
	v_mul_f32_e32 v74, 0x3fb8aa3b, v74
	v_fma_f32 v82, s18, v121, -v73
	v_exp_f32_e32 v85, v83
	v_cndmask_b32_e64 v83, 0, v84, s5
	v_add_f32_e32 v76, v76, v78
	v_exp_f32_e32 v74, v74
	v_mul_f32_e32 v86, 0x3fb8aa3b, v82
	s_mov_b32 s2, exec_lo
	s_delay_alu instid0(VALU_DEP_2) | instskip(SKIP_4) | instid1(VALU_DEP_2)
	v_add_f32_e32 v76, v76, v81
	s_waitcnt_depctr 0xfff
	v_cndmask_b32_e64 v85, 0, v85, s7
	v_add_f32_e32 v76, v76, v80
	v_cndmask_b32_e64 v82, 0, v74, s6
	v_add_f32_e32 v74, v76, v83
	v_fma_f32 v77, s18, v136, -v73
	v_fma_f32 v84, s18, v122, -v73
	;; [unrolled: 1-line block ×5, first 2 shown]
	s_delay_alu instid0(VALU_DEP_4) | instskip(NEXT) | instid1(VALU_DEP_3)
	v_dual_mul_f32 v77, 0x3fb8aa3b, v77 :: v_dual_mul_f32 v84, 0x3fb8aa3b, v84
	v_dual_mul_f32 v76, 0x3fb8aa3b, v76 :: v_dual_mul_f32 v89, 0x3fb8aa3b, v87
	v_exp_f32_e32 v86, v86
	s_delay_alu instid0(VALU_DEP_2) | instskip(NEXT) | instid1(VALU_DEP_2)
	v_exp_f32_e32 v77, v77
	v_exp_f32_e32 v88, v84
	s_delay_alu instid0(VALU_DEP_1)
	v_exp_f32_e32 v76, v76
	v_exp_f32_e32 v91, v89
	v_fma_f32 v90, s18, v126, -v73
	v_cndmask_b32_e64 v87, 0, v86, s9
	v_cndmask_b32_e64 v84, 0, v77, s8
	v_fma_f32 v77, s18, v125, -v73
	v_add_f32_e32 v74, v74, v82
	s_delay_alu instid0(TRANS32_DEP_3) | instskip(SKIP_1) | instid1(TRANS32_DEP_2)
	v_cndmask_b32_e64 v86, 0, v88, s10
	v_fma_f32 v88, s18, v127, -v73
	v_cndmask_b32_e64 v89, 0, v76, s11
	v_mul_f32_e32 v77, 0x3fb8aa3b, v77
	v_add_f32_e32 v74, v74, v85
	v_mul_f32_e32 v90, 0x3fb8aa3b, v90
	v_mul_f32_e32 v76, 0x3fb8aa3b, v88
	v_cndmask_b32_e64 v88, 0, v91, s12
	v_exp_f32_e32 v77, v77
	s_delay_alu instid0(VALU_DEP_3) | instskip(NEXT) | instid1(VALU_DEP_2)
	v_exp_f32_e32 v90, v90
	v_exp_f32_e32 v76, v76
	s_delay_alu instid0(TRANS32_DEP_3)
	v_cndmask_b32_e64 v91, 0, v77, s13
	v_mul_f32_e32 v77, 0x3fb8aa3b, v92
	v_add_f32_e32 v74, v74, v84
	s_waitcnt_depctr 0xfff
	v_cndmask_b32_e64 v90, 0, v90, s15
	v_cndmask_b32_e64 v93, 0, v76, s16
	v_exp_f32_e32 v77, v77
	v_add_f32_e32 v74, v74, v87
	s_delay_alu instid0(VALU_DEP_1) | instskip(SKIP_3) | instid1(VALU_DEP_1)
	v_add_f32_e32 v74, v74, v86
	s_waitcnt_depctr 0xfff
	v_cndmask_b32_e64 v92, 0, v77, s17
	v_add_f32_e32 v74, v74, v89
	v_add_f32_e32 v74, v74, v88
	s_delay_alu instid0(VALU_DEP_1) | instskip(NEXT) | instid1(VALU_DEP_1)
	v_add_f32_e32 v74, v74, v91
	v_add_f32_e32 v74, v74, v90
	s_delay_alu instid0(VALU_DEP_1) | instskip(NEXT) | instid1(VALU_DEP_1)
	v_add_f32_e32 v74, v74, v93
	v_add_f32_e32 v74, v74, v92
	ds_bpermute_b32 v75, v75, v74
	v_cmpx_gt_u32_e32 16, v71
	s_cbranch_execz .LBB1199_12
; %bb.11:
	v_mul_u32_u24_e32 v71, 0x44, v72
	s_waitcnt lgkmcnt(0)
	v_add_f32_e32 v74, v74, v75
	s_delay_alu instid0(VALU_DEP_2) | instskip(NEXT) | instid1(VALU_DEP_1)
	v_lshl_add_u32 v71, v70, 2, v71
	v_add_nc_u32_e32 v71, 0x4000, v71
	ds_store_2addr_b32 v71, v73, v74 offset1:136
.LBB1199_12:
	s_or_b32 exec_lo, exec_lo, s2
	v_lshlrev_b32_e32 v71, 2, v70
	s_load_b32 s35, s[0:1], 0x94
	s_waitcnt lgkmcnt(0)
	s_barrier
	buffer_gl0_inv
	v_add_nc_u32_e32 v71, 0x4000, v71
	v_cmp_eq_u32_e32 vcc_lo, 1, v72
	v_cmp_eq_u32_e64 s2, 2, v72
	v_cmp_eq_u32_e64 s3, 3, v72
	;; [unrolled: 1-line block ×3, first 2 shown]
	ds_load_2addr_b32 v[73:74], v71 offset1:17
	ds_load_2addr_b32 v[94:95], v71 offset0:34 offset1:51
	ds_load_2addr_b32 v[96:97], v71 offset0:68 offset1:85
	;; [unrolled: 1-line block ×3, first 2 shown]
	v_cmp_eq_u32_e64 s5, 5, v72
	v_cmp_eq_u32_e64 s6, 7, v72
	s_waitcnt lgkmcnt(3)
	v_max3_f32 v75, v73, 0xff7fffff, v74
	s_waitcnt lgkmcnt(2)
	s_delay_alu instid0(VALU_DEP_1) | instskip(SKIP_1) | instid1(VALU_DEP_1)
	v_max3_f32 v75, v75, v94, v95
	s_waitcnt lgkmcnt(1)
	v_max3_f32 v75, v75, v96, v97
	s_waitcnt lgkmcnt(0)
	s_delay_alu instid0(VALU_DEP_1) | instskip(NEXT) | instid1(VALU_DEP_1)
	v_max3_f32 v76, v75, v98, v99
	v_sub_f32_e32 v96, v96, v76
	ds_load_2addr_b32 v[100:101], v71 offset0:136 offset1:153
	v_sub_f32_e32 v73, v73, v76
	v_sub_f32_e32 v75, v74, v76
	;; [unrolled: 1-line block ×3, first 2 shown]
	v_mul_f32_e32 v105, 0x3fb8aa3b, v96
	s_delay_alu instid0(VALU_DEP_4)
	v_mul_f32_e32 v77, 0x3fb8aa3b, v73
	ds_load_2addr_b32 v[73:74], v71 offset0:170 offset1:187
	v_mul_f32_e32 v103, 0x3fb8aa3b, v94
	v_exp_f32_e32 v102, v77
	v_sub_f32_e32 v77, v95, v76
	ds_load_2addr_b32 v[94:95], v71 offset0:204 offset1:221
	v_exp_f32_e32 v103, v103
	v_mul_f32_e32 v104, 0x3fb8aa3b, v77
	s_waitcnt lgkmcnt(2)
	v_fma_f32 v77, v102, v100, 0
	v_dual_sub_f32 v100, v97, v76 :: v_dual_mul_f32 v75, 0x3fb8aa3b, v75
	ds_load_2addr_b32 v[96:97], v71 offset0:238 offset1:255
	v_sub_f32_e32 v71, v98, v76
	v_exp_f32_e32 v104, v104
	v_mul_f32_e32 v98, 0x3fb8aa3b, v100
	v_exp_f32_e32 v75, v75
	v_exp_f32_e32 v100, v105
	v_mul_f32_e32 v71, 0x3fb8aa3b, v71
	s_waitcnt lgkmcnt(0)
	v_exp_f32_e32 v98, v98
	s_barrier
	buffer_gl0_inv
	v_fmac_f32_e32 v77, v75, v101
	s_delay_alu instid0(VALU_DEP_1) | instskip(SKIP_2) | instid1(VALU_DEP_2)
	v_fmac_f32_e32 v77, v103, v73
	v_sub_f32_e32 v73, v99, v76
	v_exp_f32_e32 v99, v71
	v_fmac_f32_e32 v77, v104, v74
	s_delay_alu instid0(VALU_DEP_2) | instskip(NEXT) | instid1(VALU_DEP_2)
	v_dual_mul_f32 v73, 0x3fb8aa3b, v73 :: v_dual_lshlrev_b32 v74, 6, v70
	v_dual_fmac_f32 v77, v100, v94 :: v_dual_lshlrev_b32 v70, 2, v69
	s_delay_alu instid0(VALU_DEP_2) | instskip(SKIP_1) | instid1(VALU_DEP_3)
	v_exp_f32_e32 v94, v73
	v_cndmask_b32_e32 v73, v102, v75, vcc_lo
	v_lshl_or_b32 v75, v72, 11, v74
	s_delay_alu instid0(VALU_DEP_3) | instskip(SKIP_1) | instid1(VALU_DEP_3)
	v_cmp_eq_u32_e64 s7, 7, v70
	v_fmac_f32_e32 v77, v98, v95
	v_lshl_or_b32 v69, v69, 4, v75
	s_delay_alu instid0(VALU_DEP_2)
	v_fmac_f32_e32 v77, v99, v96
	s_delay_alu instid0(TRANS32_DEP_1) | instid1(VALU_DEP_1)
	v_fmac_f32_e32 v77, v94, v97
	s_delay_alu instid0(VALU_DEP_1) | instskip(NEXT) | instid1(VALU_DEP_1)
	v_add_f32_e32 v95, 0x358637bd, v77
	v_div_scale_f32 v96, null, v95, v95, 1.0
	v_div_scale_f32 v101, vcc_lo, 1.0, v95, 1.0
	s_delay_alu instid0(VALU_DEP_2) | instskip(SKIP_2) | instid1(VALU_DEP_1)
	v_rcp_f32_e32 v97, v96
	s_waitcnt_depctr 0xfff
	v_fma_f32 v71, -v96, v97, 1.0
	v_fmac_f32_e32 v97, v71, v97
	v_cndmask_b32_e64 v71, v73, v103, s2
	v_cmp_eq_u32_e64 s2, 6, v72
	v_or_b32_e32 v73, 1, v70
	v_or_b32_e32 v72, 3, v70
	v_mul_f32_e32 v102, v101, v97
	v_cndmask_b32_e64 v71, v71, v104, s3
	v_cmp_eq_u32_e64 s3, 1, v70
	v_cmp_eq_u32_e64 s8, 1, v73
	;; [unrolled: 1-line block ×3, first 2 shown]
	v_fma_f32 v103, -v96, v102, v101
	v_cndmask_b32_e64 v100, v71, v100, s4
	v_or_b32_e32 v71, 2, v70
	v_cmp_eq_u32_e64 s4, 2, v70
	v_cmp_eq_u32_e64 s11, 2, v73
	v_fmac_f32_e32 v102, v103, v97
	v_cndmask_b32_e64 v98, v100, v98, s5
	v_cmp_eq_u32_e64 s9, 1, v71
	v_cmp_eq_u32_e64 s13, 2, v71
	;; [unrolled: 1-line block ×3, first 2 shown]
	v_fma_f32 v96, -v96, v102, v101
	v_cndmask_b32_e64 v98, v98, v99, s2
	v_cmp_eq_u32_e64 s12, 3, v73
	v_cmp_eq_u32_e64 s17, 3, v72
	;; [unrolled: 1-line block ×3, first 2 shown]
	v_div_fmas_f32 v96, v96, v97, v102
	v_cndmask_b32_e64 v94, v98, v94, s6
	v_cmp_eq_u32_e32 vcc_lo, 3, v70
	v_cmp_eq_u32_e64 s16, 3, v71
	v_cmp_eq_u32_e64 s18, 4, v73
	v_div_fixup_f32 v95, v96, v95, 1.0
	v_cmp_eq_u32_e64 s21, 4, v72
	v_cmp_eq_u32_e64 s5, 5, v70
	;; [unrolled: 1-line block ×4, first 2 shown]
	v_mul_f32_e32 v102, v94, v95
	v_cmp_eq_u32_e64 s23, 5, v72
	v_cmp_eq_u32_e64 s22, 5, v71
	v_cmp_eq_u32_e64 s24, 6, v73
	v_cmp_eq_u32_e64 s26, 6, v72
	v_fma_mixlo_f16 v94, v102, v79, 0
	v_fma_mixlo_f16 v95, v102, v81, 0
	;; [unrolled: 1-line block ×8, first 2 shown]
	v_fma_mixhi_f16 v94, v102, v78, 0
	v_fma_mixhi_f16 v95, v102, v80, 0
	;; [unrolled: 1-line block ×8, first 2 shown]
	ds_store_b128 v69, v[94:97]
	ds_store_b128 v69, v[98:101] offset:1024
	s_waitcnt lgkmcnt(0)
	s_barrier
	buffer_gl0_inv
	ds_load_b128 v[78:81], v75
	ds_load_b128 v[82:85], v75 offset:16
	ds_load_b128 v[86:89], v75 offset:1024
	;; [unrolled: 1-line block ×3, first 2 shown]
	v_cmp_eq_u32_e64 s6, 6, v70
	v_cmp_eq_u32_e64 s25, 6, v71
	;; [unrolled: 1-line block ×5, first 2 shown]
	s_waitcnt lgkmcnt(3)
	v_lshrrev_b32_e32 v94, 16, v78
	s_waitcnt lgkmcnt(2)
	v_lshrrev_b32_e32 v98, 16, v82
	;; [unrolled: 2-line block ×4, first 2 shown]
	v_lshrrev_b32_e32 v95, 16, v79
	v_cndmask_b32_e64 v110, v78, v94, s3
	v_cndmask_b32_e64 v111, v82, v98, s3
	;; [unrolled: 1-line block ×8, first 2 shown]
	v_lshrrev_b32_e32 v99, 16, v83
	v_cndmask_b32_e64 v94, v86, v102, s3
	v_cndmask_b32_e64 v98, v90, v106, s3
	;; [unrolled: 1-line block ×15, first 2 shown]
	v_lshrrev_b32_e32 v103, 16, v87
	v_lshrrev_b32_e32 v107, 16, v91
	v_cndmask_b32_e64 v113, v115, v83, s13
	v_cndmask_b32_e64 v82, v94, v87, s4
	;; [unrolled: 1-line block ×7, first 2 shown]
	v_cndmask_b32_e32 v90, v102, v95, vcc_lo
	v_cndmask_b32_e32 v102, v106, v99, vcc_lo
	v_cndmask_b32_e64 v106, v110, v95, s12
	v_cndmask_b32_e64 v110, v111, v99, s12
	;; [unrolled: 1-line block ×4, first 2 shown]
	v_lshrrev_b32_e32 v96, 16, v80
	v_lshrrev_b32_e32 v100, 16, v84
	v_cndmask_b32_e64 v111, v112, v95, s16
	v_cndmask_b32_e64 v112, v113, v99, s16
	v_cndmask_b32_e32 v82, v82, v103, vcc_lo
	v_cndmask_b32_e32 v83, v83, v107, vcc_lo
	v_cndmask_b32_e64 v94, v94, v103, s12
	v_cndmask_b32_e64 v90, v90, v80, s2
	;; [unrolled: 1-line block ×7, first 2 shown]
	v_lshrrev_b32_e32 v104, 16, v88
	v_cndmask_b32_e64 v106, v111, v80, s20
	v_cndmask_b32_e64 v110, v112, v84, s20
	;; [unrolled: 1-line block ×11, first 2 shown]
	v_lshrrev_b32_e32 v97, 16, v81
	v_lshrrev_b32_e32 v101, 16, v85
	v_cndmask_b32_e64 v99, v106, v96, s22
	v_cndmask_b32_e64 v102, v110, v100, s22
	;; [unrolled: 1-line block ×7, first 2 shown]
	v_lshrrev_b32_e32 v105, 16, v89
	v_cndmask_b32_e64 v80, v80, v104, s5
	v_cndmask_b32_e64 v84, v84, v81, s6
	;; [unrolled: 1-line block ×16, first 2 shown]
	v_perm_b32 v81, v79, v78, 0x5040100
	v_perm_b32 v79, v95, v85, 0x5040100
	v_cndmask_b32_e64 v78, v119, v91, s13
	v_cndmask_b32_e64 v85, v117, v91, s11
	;; [unrolled: 1-line block ×3, first 2 shown]
	v_perm_b32 v80, v94, v90, 0x5040100
	v_cndmask_b32_e64 v90, v98, v103, s16
	v_cndmask_b32_e64 v86, v86, v103, s17
	;; [unrolled: 1-line block ×5, first 2 shown]
	v_lshrrev_b32_e32 v108, 16, v92
	v_cndmask_b32_e64 v90, v90, v88, s20
	v_cndmask_b32_e64 v86, v86, v88, s21
	;; [unrolled: 1-line block ×11, first 2 shown]
	v_lshrrev_b32_e32 v109, 16, v93
	v_cndmask_b32_e64 v82, v82, v93, s6
	v_cndmask_b32_e64 v88, v88, v89, s25
	;; [unrolled: 1-line block ×12, first 2 shown]
	v_perm_b32 v78, v84, v83, 0x5040100
	v_perm_b32 v85, v87, v86, 0x5040100
	;; [unrolled: 1-line block ×5, first 2 shown]
	s_lshl_b32 s7, s34, 1
	s_mov_b32 s2, exec_lo
	ds_store_b128 v69, v[78:81]
	ds_store_b128 v69, v[82:85] offset:1024
	v_cmpx_gt_u32_e32 2, v0
	s_cbranch_execz .LBB1199_14
; %bb.13:
	v_or_b32_e32 v78, s33, v0
	s_load_b128 s[8:11], s[0:1], 0x58
	s_delay_alu instid0(VALU_DEP_1) | instskip(NEXT) | instid1(VALU_DEP_1)
	v_mad_u64_u32 v[79:80], null, s7, s30, v[78:79]
	v_mad_u64_u32 v[80:81], null, v79, s35, s[14:15]
	s_delay_alu instid0(VALU_DEP_1) | instskip(NEXT) | instid1(VALU_DEP_1)
	v_ashrrev_i32_e32 v81, 31, v80
	v_lshlrev_b64 v[78:79], 2, v[80:81]
	s_waitcnt lgkmcnt(0)
	s_delay_alu instid0(VALU_DEP_1) | instskip(NEXT) | instid1(VALU_DEP_2)
	v_add_co_u32 v80, vcc_lo, s10, v78
	v_add_co_ci_u32_e32 v81, vcc_lo, s11, v79, vcc_lo
	v_add_co_u32 v78, vcc_lo, s8, v78
	v_add_co_ci_u32_e32 v79, vcc_lo, s9, v79, vcc_lo
	global_store_b32 v[80:81], v76, off
	global_store_b32 v[78:79], v77, off
.LBB1199_14:
	s_or_b32 exec_lo, exec_lo, s2
	s_waitcnt lgkmcnt(0)
	s_waitcnt_vscnt null, 0x0
	s_barrier
	buffer_gl0_inv
	ds_load_b128 v[84:87], v74
	ds_load_b128 v[88:91], v74 offset:16
	ds_load_b128 v[96:99], v74 offset:2064
	;; [unrolled: 1-line block ×5, first 2 shown]
	v_cmp_eq_u32_e32 vcc_lo, 1, v70
	v_mov_b32_e32 v76, 0
	ds_load_b128 v[112:115], v74 offset:6160
	ds_load_b128 v[108:111], v74 offset:6144
	ds_load_b128 v[120:123], v74 offset:8208
	ds_load_b128 v[116:119], v74 offset:8192
	v_cmp_eq_u32_e64 s3, 1, v71
	v_cmp_eq_u32_e64 s2, 1, v73
	;; [unrolled: 1-line block ×3, first 2 shown]
	v_mov_b32_e32 v77, v76
	v_mov_b32_e32 v78, v76
	;; [unrolled: 1-line block ×7, first 2 shown]
	v_cmp_eq_u32_e64 s5, 3, v73
	v_cmp_eq_u32_e64 s6, 7, v73
	s_waitcnt lgkmcnt(8)
	s_delay_alu instid0(VALU_DEP_3)
	v_wmma_f32_16x16x16_f16 v[76:83], v[49:56], v[84:91], v[76:83]
	ds_load_b128 v[53:56], v74 offset:10256
	ds_load_b128 v[49:52], v74 offset:10240
	s_waitcnt lgkmcnt(8)
	v_wmma_f32_16x16x16_f16 v[76:83], v[41:48], v[92:99], v[76:83]
	ds_load_b128 v[45:48], v74 offset:12304
	ds_load_b128 v[41:44], v74 offset:12288
	s_waitcnt lgkmcnt(8)
	;; [unrolled: 4-line block ×3, first 2 shown]
	s_barrier
	buffer_gl0_inv
	v_wmma_f32_16x16x16_f16 v[76:83], v[1:8], v[108:115], v[76:83]
	s_delay_alu instid0(VALU_DEP_1) | instskip(NEXT) | instid1(VALU_DEP_1)
	v_wmma_f32_16x16x16_f16 v[76:83], v[9:16], v[116:123], v[76:83]
	v_wmma_f32_16x16x16_f16 v[76:83], v[17:24], v[49:56], v[76:83]
	s_delay_alu instid0(VALU_DEP_1) | instskip(NEXT) | instid1(VALU_DEP_1)
	v_wmma_f32_16x16x16_f16 v[76:83], v[25:32], v[41:48], v[76:83]
	v_wmma_f32_16x16x16_f16 v[76:83], v[57:64], v[33:40], v[76:83]
	s_delay_alu instid0(VALU_DEP_1) | instskip(NEXT) | instid1(VALU_DEP_2)
	v_cvt_f16_f32_e32 v1, v76
	v_cvt_f16_f32_e32 v2, v77
	s_delay_alu instid0(VALU_DEP_3) | instskip(NEXT) | instid1(VALU_DEP_4)
	v_cvt_f16_f32_e32 v3, v78
	v_cvt_f16_f32_e32 v4, v79
	;; [unrolled: 1-line block ×6, first 2 shown]
	v_pack_b32_f16 v1, v1, v2
	v_pack_b32_f16 v2, v3, v4
	;; [unrolled: 1-line block ×3, first 2 shown]
	s_delay_alu instid0(VALU_DEP_4)
	v_pack_b32_f16 v4, v7, v8
	ds_store_b128 v69, v[1:4]
	s_waitcnt lgkmcnt(0)
	s_barrier
	buffer_gl0_inv
	ds_load_b128 v[1:4], v75
	ds_load_b128 v[5:8], v75 offset:16
	s_waitcnt lgkmcnt(1)
	v_lshrrev_b32_e32 v9, 16, v1
	s_waitcnt lgkmcnt(0)
	v_lshrrev_b32_e32 v13, 16, v5
	v_lshrrev_b32_e32 v10, 16, v2
	;; [unrolled: 1-line block ×4, first 2 shown]
	v_cndmask_b32_e32 v17, v1, v9, vcc_lo
	v_cndmask_b32_e32 v18, v5, v13, vcc_lo
	v_cndmask_b32_e64 v21, v1, v9, s3
	v_cmp_eq_u32_e32 vcc_lo, 1, v72
	v_cndmask_b32_e64 v22, v5, v13, s3
	v_cmp_eq_u32_e64 s3, 2, v70
	v_cndmask_b32_e64 v19, v1, v9, s2
	v_cndmask_b32_e64 v20, v5, v13, s2
	v_cndmask_b32_e32 v1, v1, v9, vcc_lo
	v_cmp_eq_u32_e64 s2, 2, v72
	v_cndmask_b32_e32 v5, v5, v13, vcc_lo
	v_cndmask_b32_e64 v9, v17, v2, s3
	v_cmp_eq_u32_e32 vcc_lo, 3, v70
	v_cndmask_b32_e64 v13, v18, v6, s3
	v_cmp_eq_u32_e64 s3, 2, v71
	v_cndmask_b32_e64 v17, v19, v2, s4
	v_cndmask_b32_e64 v18, v20, v6, s4
	v_cmp_eq_u32_e64 s4, 3, v71
	v_cndmask_b32_e64 v1, v1, v2, s2
	v_cndmask_b32_e64 v19, v21, v2, s3
	v_cndmask_b32_e64 v20, v22, v6, s3
	v_cndmask_b32_e64 v2, v5, v6, s2
	v_cndmask_b32_e32 v5, v9, v10, vcc_lo
	v_cndmask_b32_e32 v6, v13, v14, vcc_lo
	v_cmp_eq_u32_e32 vcc_lo, 3, v72
	v_cndmask_b32_e64 v9, v17, v10, s5
	v_cndmask_b32_e64 v13, v18, v14, s5
	;; [unrolled: 1-line block ×3, first 2 shown]
	v_cmp_eq_u32_e64 s3, 4, v70
	v_cndmask_b32_e32 v1, v1, v10, vcc_lo
	v_cndmask_b32_e32 v2, v2, v14, vcc_lo
	v_cmp_eq_u32_e32 vcc_lo, 4, v73
	v_lshrrev_b32_e32 v15, 16, v7
	v_lshrrev_b32_e32 v16, 16, v8
	v_cndmask_b32_e64 v17, v19, v10, s4
	v_cmp_eq_u32_e64 s2, 4, v72
	v_cndmask_b32_e64 v5, v5, v3, s3
	v_cndmask_b32_e64 v6, v6, v7, s3
	v_cndmask_b32_e32 v9, v9, v3, vcc_lo
	v_cmp_eq_u32_e64 s3, 5, v73
	v_cndmask_b32_e32 v10, v13, v7, vcc_lo
	v_cmp_eq_u32_e32 vcc_lo, 4, v71
	v_cmp_eq_u32_e64 s4, 5, v70
	v_cndmask_b32_e64 v2, v2, v7, s2
	v_cndmask_b32_e64 v9, v9, v11, s3
	;; [unrolled: 1-line block ×3, first 2 shown]
	v_cndmask_b32_e32 v13, v17, v3, vcc_lo
	v_cmp_eq_u32_e64 s3, 5, v71
	v_cndmask_b32_e32 v14, v18, v7, vcc_lo
	v_cndmask_b32_e64 v1, v1, v3, s2
	v_cmp_eq_u32_e32 vcc_lo, 5, v72
	v_lshrrev_b32_e32 v12, 16, v4
	v_cndmask_b32_e64 v13, v13, v11, s3
	v_cndmask_b32_e64 v3, v14, v15, s3
	v_cmp_eq_u32_e64 s3, 6, v72
	v_cndmask_b32_e32 v1, v1, v11, vcc_lo
	v_cndmask_b32_e64 v5, v5, v11, s4
	v_cmp_eq_u32_e64 s5, 6, v70
	v_cndmask_b32_e64 v6, v6, v15, s4
	v_cmp_eq_u32_e64 s4, 6, v73
	v_cmp_eq_u32_e64 s2, 6, v71
	v_cndmask_b32_e64 v1, v1, v4, s3
	v_cndmask_b32_e32 v2, v2, v15, vcc_lo
	v_cmp_eq_u32_e32 vcc_lo, 7, v72
	v_cndmask_b32_e64 v5, v5, v4, s5
	v_cndmask_b32_e64 v9, v9, v4, s4
	;; [unrolled: 1-line block ×3, first 2 shown]
	v_cmp_eq_u32_e64 s5, 7, v70
	v_cndmask_b32_e32 v1, v1, v12, vcc_lo
	v_cndmask_b32_e64 v7, v13, v4, s2
	v_cndmask_b32_e64 v3, v3, v8, s2
	;; [unrolled: 1-line block ×3, first 2 shown]
	v_cmp_eq_u32_e64 s2, 7, v71
	v_cndmask_b32_e64 v4, v10, v8, s4
	v_cndmask_b32_e64 v5, v5, v12, s5
	v_cndmask_b32_e64 v9, v9, v12, s6
	v_cndmask_b32_e32 v2, v2, v16, vcc_lo
	v_cndmask_b32_e64 v7, v7, v12, s2
	v_cndmask_b32_e64 v3, v3, v16, s2
	;; [unrolled: 1-line block ×4, first 2 shown]
	v_perm_b32 v4, v2, v1, 0x5040100
	s_delay_alu instid0(VALU_DEP_4) | instskip(NEXT) | instid1(VALU_DEP_4)
	v_perm_b32 v3, v3, v7, 0x5040100
	v_perm_b32 v2, v8, v9, 0x5040100
	s_delay_alu instid0(VALU_DEP_4)
	v_perm_b32 v1, v6, v5, 0x5040100
	ds_store_b128 v69, v[1:4]
	s_waitcnt lgkmcnt(0)
	s_barrier
	buffer_gl0_inv
	s_and_saveexec_b32 s2, s31
	s_cbranch_execz .LBB1199_2
; %bb.15:
	s_load_b64 s[0:1], s[0:1], 0x68
	v_lshlrev_b32_e32 v0, 10, v0
	s_lshl_b32 s2, s35, 6
	v_lshlrev_b32_e32 v1, 4, v68
	v_mul_lo_u32 v4, s2, v67
	s_mul_i32 s3, s2, s30
	v_and_b32_e32 v0, 0x3800, v0
	s_mul_i32 s2, s3, s7
	s_delay_alu instid0(SALU_CYCLE_1) | instskip(NEXT) | instid1(VALU_DEP_1)
	s_ashr_i32 s3, s2, 31
	v_or3_b32 v0, v0, v66, v1
	s_lshl_b64 s[2:3], s[2:3], 1
	s_delay_alu instid0(VALU_DEP_3)
	v_ashrrev_i32_e32 v5, 31, v4
	ds_load_b128 v[0:3], v0
	v_lshlrev_b64 v[4:5], 1, v[4:5]
	s_waitcnt lgkmcnt(0)
	s_add_u32 s2, s0, s2
	s_addc_u32 s3, s1, s3
	s_lshl_b32 s0, s14, 6
	s_delay_alu instid0(SALU_CYCLE_1) | instskip(NEXT) | instid1(SALU_CYCLE_1)
	s_ashr_i32 s1, s0, 31
	s_lshl_b64 s[0:1], s[0:1], 1
	s_delay_alu instid0(SALU_CYCLE_1) | instskip(SKIP_3) | instid1(VALU_DEP_2)
	s_add_u32 s0, s2, s0
	s_addc_u32 s1, s3, s1
	v_add_co_u32 v4, vcc_lo, s0, v4
	v_add_co_ci_u32_e32 v5, vcc_lo, s1, v5, vcc_lo
	v_add_co_u32 v4, vcc_lo, v4, v65
	s_delay_alu instid0(VALU_DEP_2)
	v_add_co_ci_u32_e32 v5, vcc_lo, 0, v5, vcc_lo
	global_store_b128 v[4:5], v[0:3], off
	s_nop 0
	s_sendmsg sendmsg(MSG_DEALLOC_VGPRS)
	s_endpgm
	.section	.rodata,"a",@progbits
	.p2align	6, 0x0
	.amdhsa_kernel _Z39paged_attention_ll4mi_QKV_mfma16_kernelIDF16_hLN4vllm18Fp8KVCacheDataTypeE1EDF16_Li32ELi64ELi256ELb1ELi2EL8MFMAType0EEvPKT_PKT0_S8_ifPKiSA_SA_iPKfiiiPfSD_PS3_PT2_iSC_SC_
		.amdhsa_group_segment_fixed_size 17472
		.amdhsa_private_segment_fixed_size 0
		.amdhsa_kernarg_size 400
		.amdhsa_user_sgpr_count 13
		.amdhsa_user_sgpr_dispatch_ptr 0
		.amdhsa_user_sgpr_queue_ptr 0
		.amdhsa_user_sgpr_kernarg_segment_ptr 1
		.amdhsa_user_sgpr_dispatch_id 0
		.amdhsa_user_sgpr_private_segment_size 0
		.amdhsa_wavefront_size32 1
		.amdhsa_uses_dynamic_stack 0
		.amdhsa_enable_private_segment 0
		.amdhsa_system_sgpr_workgroup_id_x 1
		.amdhsa_system_sgpr_workgroup_id_y 1
		.amdhsa_system_sgpr_workgroup_id_z 1
		.amdhsa_system_sgpr_workgroup_info 0
		.amdhsa_system_vgpr_workitem_id 0
		.amdhsa_next_free_vgpr 148
		.amdhsa_next_free_sgpr 38
		.amdhsa_reserve_vcc 1
		.amdhsa_float_round_mode_32 0
		.amdhsa_float_round_mode_16_64 0
		.amdhsa_float_denorm_mode_32 3
		.amdhsa_float_denorm_mode_16_64 3
		.amdhsa_dx10_clamp 1
		.amdhsa_ieee_mode 1
		.amdhsa_fp16_overflow 0
		.amdhsa_workgroup_processor_mode 1
		.amdhsa_memory_ordered 1
		.amdhsa_forward_progress 0
		.amdhsa_shared_vgpr_count 0
		.amdhsa_exception_fp_ieee_invalid_op 0
		.amdhsa_exception_fp_denorm_src 0
		.amdhsa_exception_fp_ieee_div_zero 0
		.amdhsa_exception_fp_ieee_overflow 0
		.amdhsa_exception_fp_ieee_underflow 0
		.amdhsa_exception_fp_ieee_inexact 0
		.amdhsa_exception_int_div_zero 0
	.end_amdhsa_kernel
	.section	.text._Z39paged_attention_ll4mi_QKV_mfma16_kernelIDF16_hLN4vllm18Fp8KVCacheDataTypeE1EDF16_Li32ELi64ELi256ELb1ELi2EL8MFMAType0EEvPKT_PKT0_S8_ifPKiSA_SA_iPKfiiiPfSD_PS3_PT2_iSC_SC_,"axG",@progbits,_Z39paged_attention_ll4mi_QKV_mfma16_kernelIDF16_hLN4vllm18Fp8KVCacheDataTypeE1EDF16_Li32ELi64ELi256ELb1ELi2EL8MFMAType0EEvPKT_PKT0_S8_ifPKiSA_SA_iPKfiiiPfSD_PS3_PT2_iSC_SC_,comdat
.Lfunc_end1199:
	.size	_Z39paged_attention_ll4mi_QKV_mfma16_kernelIDF16_hLN4vllm18Fp8KVCacheDataTypeE1EDF16_Li32ELi64ELi256ELb1ELi2EL8MFMAType0EEvPKT_PKT0_S8_ifPKiSA_SA_iPKfiiiPfSD_PS3_PT2_iSC_SC_, .Lfunc_end1199-_Z39paged_attention_ll4mi_QKV_mfma16_kernelIDF16_hLN4vllm18Fp8KVCacheDataTypeE1EDF16_Li32ELi64ELi256ELb1ELi2EL8MFMAType0EEvPKT_PKT0_S8_ifPKiSA_SA_iPKfiiiPfSD_PS3_PT2_iSC_SC_
                                        ; -- End function
	.section	.AMDGPU.csdata,"",@progbits
; Kernel info:
; codeLenInByte = 6252
; NumSgprs: 40
; NumVgprs: 148
; ScratchSize: 0
; MemoryBound: 0
; FloatMode: 240
; IeeeMode: 1
; LDSByteSize: 17472 bytes/workgroup (compile time only)
; SGPRBlocks: 4
; VGPRBlocks: 18
; NumSGPRsForWavesPerEU: 40
; NumVGPRsForWavesPerEU: 148
; Occupancy: 9
; WaveLimiterHint : 1
; COMPUTE_PGM_RSRC2:SCRATCH_EN: 0
; COMPUTE_PGM_RSRC2:USER_SGPR: 13
; COMPUTE_PGM_RSRC2:TRAP_HANDLER: 0
; COMPUTE_PGM_RSRC2:TGID_X_EN: 1
; COMPUTE_PGM_RSRC2:TGID_Y_EN: 1
; COMPUTE_PGM_RSRC2:TGID_Z_EN: 1
; COMPUTE_PGM_RSRC2:TIDIG_COMP_CNT: 0
	.section	.text._Z39paged_attention_ll4mi_QKV_mfma16_kernelIDF16_hLN4vllm18Fp8KVCacheDataTypeE1EDF16_Li32ELi64ELi256ELb1ELi3EL8MFMAType0EEvPKT_PKT0_S8_ifPKiSA_SA_iPKfiiiPfSD_PS3_PT2_iSC_SC_,"axG",@progbits,_Z39paged_attention_ll4mi_QKV_mfma16_kernelIDF16_hLN4vllm18Fp8KVCacheDataTypeE1EDF16_Li32ELi64ELi256ELb1ELi3EL8MFMAType0EEvPKT_PKT0_S8_ifPKiSA_SA_iPKfiiiPfSD_PS3_PT2_iSC_SC_,comdat
	.protected	_Z39paged_attention_ll4mi_QKV_mfma16_kernelIDF16_hLN4vllm18Fp8KVCacheDataTypeE1EDF16_Li32ELi64ELi256ELb1ELi3EL8MFMAType0EEvPKT_PKT0_S8_ifPKiSA_SA_iPKfiiiPfSD_PS3_PT2_iSC_SC_ ; -- Begin function _Z39paged_attention_ll4mi_QKV_mfma16_kernelIDF16_hLN4vllm18Fp8KVCacheDataTypeE1EDF16_Li32ELi64ELi256ELb1ELi3EL8MFMAType0EEvPKT_PKT0_S8_ifPKiSA_SA_iPKfiiiPfSD_PS3_PT2_iSC_SC_
	.globl	_Z39paged_attention_ll4mi_QKV_mfma16_kernelIDF16_hLN4vllm18Fp8KVCacheDataTypeE1EDF16_Li32ELi64ELi256ELb1ELi3EL8MFMAType0EEvPKT_PKT0_S8_ifPKiSA_SA_iPKfiiiPfSD_PS3_PT2_iSC_SC_
	.p2align	8
	.type	_Z39paged_attention_ll4mi_QKV_mfma16_kernelIDF16_hLN4vllm18Fp8KVCacheDataTypeE1EDF16_Li32ELi64ELi256ELb1ELi3EL8MFMAType0EEvPKT_PKT0_S8_ifPKiSA_SA_iPKfiiiPfSD_PS3_PT2_iSC_SC_,@function
_Z39paged_attention_ll4mi_QKV_mfma16_kernelIDF16_hLN4vllm18Fp8KVCacheDataTypeE1EDF16_Li32ELi64ELi256ELb1ELi3EL8MFMAType0EEvPKT_PKT0_S8_ifPKiSA_SA_iPKfiiiPfSD_PS3_PT2_iSC_SC_: ; @_Z39paged_attention_ll4mi_QKV_mfma16_kernelIDF16_hLN4vllm18Fp8KVCacheDataTypeE1EDF16_Li32ELi64ELi256ELb1ELi3EL8MFMAType0EEvPKT_PKT0_S8_ifPKiSA_SA_iPKfiiiPfSD_PS3_PT2_iSC_SC_
; %bb.0:
	s_load_b64 s[2:3], s[0:1], 0x30
	s_mov_b32 s34, s13
	s_waitcnt lgkmcnt(0)
	s_cmp_lg_u64 s[2:3], 0
	s_cselect_b32 s6, -1, 0
	s_ashr_i32 s35, s13, 31
	s_cmp_eq_u64 s[2:3], 0
	s_cbranch_scc1 .LBB1200_3
; %bb.1:
	s_lshl_b64 s[4:5], s[34:35], 2
	s_delay_alu instid0(SALU_CYCLE_1) | instskip(SKIP_4) | instid1(SALU_CYCLE_1)
	s_add_u32 s4, s2, s4
	s_addc_u32 s5, s3, s5
	s_load_b64 s[4:5], s[4:5], 0x0
	s_waitcnt lgkmcnt(0)
	s_sub_i32 s4, s5, s4
	s_cmp_eq_u32 s4, 1
	s_cselect_b32 s4, -1, 0
	s_delay_alu instid0(SALU_CYCLE_1)
	s_and_not1_b32 vcc_lo, exec_lo, s4
	s_cbranch_vccz .LBB1200_4
.LBB1200_2:
	s_nop 0
	s_sendmsg sendmsg(MSG_DEALLOC_VGPRS)
	s_endpgm
.LBB1200_3:
.LBB1200_4:
	s_load_b64 s[8:9], s[0:1], 0x28
	s_lshl_b64 s[4:5], s[34:35], 2
	s_waitcnt lgkmcnt(0)
	s_add_u32 s8, s8, s4
	s_addc_u32 s9, s9, s5
	s_lshl_b32 s16, s14, 8
	s_load_b32 s18, s[8:9], 0x0
	s_waitcnt lgkmcnt(0)
	s_cmp_ge_i32 s16, s18
	s_cbranch_scc1 .LBB1200_2
; %bb.5:
	s_clause 0x1
	s_load_b128 s[8:11], s[0:1], 0x8
	s_load_b64 s[12:13], s[0:1], 0x20
	s_and_not1_b32 vcc_lo, exec_lo, s6
	s_cbranch_vccnz .LBB1200_7
; %bb.6:
	s_add_u32 s2, s2, s4
	s_addc_u32 s3, s3, s5
	s_load_b32 s3, s[2:3], 0x0
	s_branch .LBB1200_8
.LBB1200_7:
	s_mov_b32 s3, s34
.LBB1200_8:
	s_load_b128 s[4:7], s[0:1], 0x48
	v_lshrrev_b32_e32 v69, 5, v0
	v_bfe_u32 v66, v0, 4, 1
	v_and_b32_e32 v68, 15, v0
	v_and_b32_e32 v70, 31, v0
	v_and_b32_e32 v67, 1, v0
	s_mul_i32 s33, s15, 3
	v_lshl_or_b32 v1, v69, 1, v66
	v_lshlrev_b32_e32 v2, 3, v68
	v_cmp_gt_u32_e64 s2, 8, v68
	s_delay_alu instid0(VALU_DEP_3) | instskip(NEXT) | instid1(VALU_DEP_3)
	v_cmp_gt_u32_e32 vcc_lo, 3, v1
	v_lshlrev_b32_e32 v65, 1, v2
	s_delay_alu instid0(VALU_DEP_3)
	s_and_b32 s17, s2, vcc_lo
	s_waitcnt lgkmcnt(0)
	s_and_saveexec_b32 s7, s17
	s_cbranch_execz .LBB1200_10
; %bb.9:
	s_load_b64 s[20:21], s[0:1], 0x0
	v_add_lshl_u32 v2, v1, s33, 6
	s_mul_hi_i32 s23, s3, s4
	s_mul_i32 s22, s3, s4
	v_lshlrev_b32_e32 v6, 10, v68
	s_lshl_b64 s[22:23], s[22:23], 1
	v_ashrrev_i32_e32 v3, 31, v2
	v_lshlrev_b32_e32 v1, 6, v1
	v_lshlrev_b32_e32 v7, 10, v67
	v_and_b32_e32 v6, 0x3800, v6
	s_delay_alu instid0(VALU_DEP_4) | instskip(NEXT) | instid1(VALU_DEP_2)
	v_lshlrev_b64 v[2:3], 1, v[2:3]
	v_or3_b32 v1, v6, v7, v1
	s_waitcnt lgkmcnt(0)
	s_add_u32 s3, s20, s22
	s_addc_u32 s4, s21, s23
	s_delay_alu instid0(VALU_DEP_2) | instskip(SKIP_1) | instid1(VALU_DEP_2)
	v_add_co_u32 v2, vcc_lo, s3, v2
	v_add_co_ci_u32_e32 v3, vcc_lo, s4, v3, vcc_lo
	v_add_co_u32 v2, vcc_lo, v2, v65
	s_delay_alu instid0(VALU_DEP_2)
	v_add_co_ci_u32_e32 v3, vcc_lo, 0, v3, vcc_lo
	global_load_b128 v[2:5], v[2:3], off
	s_waitcnt vmcnt(0)
	ds_store_b128 v1, v[2:5]
.LBB1200_10:
	s_or_b32 exec_lo, exec_lo, s7
	v_and_b32_e32 v1, 0xef, v0
	s_add_i32 s3, s18, 31
	s_clause 0x1
	s_load_b32 s4, s[0:1], 0x38
	s_load_b32 s35, s[0:1], 0x98
	s_ashr_i32 s7, s3, 31
	v_add_nc_u32_e32 v1, s16, v1
	s_lshr_b32 s7, s7, 27
	s_load_b32 s19, s[0:1], 0x1c
	s_add_i32 s3, s3, s7
	s_waitcnt lgkmcnt(0)
	v_ashrrev_i32_e32 v2, 31, v1
	v_or_b32_e32 v3, 16, v1
	s_ashr_i32 s3, s3, 5
	v_cmp_gt_i32_e32 vcc_lo, s18, v1
	s_add_i32 s3, s3, -1
	v_lshrrev_b32_e32 v2, 27, v2
	s_barrier
	buffer_gl0_inv
	s_mul_i32 s15, s15, s6
	v_mul_lo_u16 v103, 0x56, v68
	v_add_nc_u32_e32 v4, v1, v2
	v_mbcnt_lo_u32_b32 v127, -1, 0
	s_mul_i32 s20, s34, s4
	s_delay_alu instid0(SALU_CYCLE_1) | instskip(NEXT) | instid1(VALU_DEP_2)
	s_ashr_i32 s21, s20, 31
	v_ashrrev_i32_e32 v4, 5, v4
	v_add_nc_u32_e32 v2, v3, v2
	s_lshl_b64 s[20:21], s[20:21], 2
	v_lshrrev_b16 v103, 8, v103
	s_add_u32 s17, s12, s20
	v_cndmask_b32_e32 v1, s3, v4, vcc_lo
	v_ashrrev_i32_e32 v2, 5, v2
	v_cmp_gt_i32_e32 vcc_lo, s18, v3
	s_addc_u32 s13, s13, s21
	s_ashr_i32 s20, s15, 31
	s_add_u32 s22, s8, s15
	s_addc_u32 s23, s9, s20
	v_cndmask_b32_e32 v3, s3, v2, vcc_lo
	v_ashrrev_i32_e32 v2, 31, v1
	s_lshl_b32 s6, s14, 3
	v_mul_lo_u16 v103, v103, 3
	s_ashr_i32 s7, s6, 31
	v_ashrrev_i32_e32 v4, 31, v3
	v_lshlrev_b64 v[1:2], 2, v[1:2]
	s_lshl_b64 s[6:7], s[6:7], 2
	v_sub_nc_u16 v103, v68, v103
	s_add_u32 s6, s17, s6
	v_lshlrev_b64 v[3:4], 2, v[3:4]
	s_addc_u32 s7, s13, s7
	v_add_co_u32 v1, vcc_lo, s17, v1
	v_add_co_ci_u32_e32 v2, vcc_lo, s13, v2, vcc_lo
	s_delay_alu instid0(VALU_DEP_3) | instskip(NEXT) | instid1(VALU_DEP_4)
	v_add_co_u32 v3, vcc_lo, s17, v3
	v_add_co_ci_u32_e32 v4, vcc_lo, s13, v4, vcc_lo
	s_clause 0x1
	global_load_b32 v5, v[1:2], off
	global_load_b32 v6, v[3:4], off
	s_or_b32 s4, s16, 32
	v_xor_b32_e32 v128, 16, v127
	s_ashr_i32 s8, s4, 5
	s_cmp_lt_i32 s4, s18
	s_cselect_b32 s8, s8, s3
	s_delay_alu instid0(SALU_CYCLE_1) | instskip(NEXT) | instid1(SALU_CYCLE_1)
	s_ashr_i32 s9, s8, 31
	s_lshl_b64 s[8:9], s[8:9], 2
	s_delay_alu instid0(SALU_CYCLE_1) | instskip(SKIP_2) | instid1(SALU_CYCLE_1)
	s_add_u32 s8, s17, s8
	s_addc_u32 s9, s13, s9
	s_or_b32 s4, s16, 64
	s_ashr_i32 s12, s4, 5
	s_cmp_lt_i32 s4, s18
	s_cselect_b32 s24, s12, s3
	s_delay_alu instid0(SALU_CYCLE_1) | instskip(NEXT) | instid1(SALU_CYCLE_1)
	s_ashr_i32 s25, s24, 31
	s_lshl_b64 s[24:25], s[24:25], 2
	s_delay_alu instid0(SALU_CYCLE_1) | instskip(SKIP_2) | instid1(SALU_CYCLE_1)
	s_add_u32 s24, s17, s24
	s_addc_u32 s25, s13, s25
	s_or_b32 s4, s16, 0x60
	;; [unrolled: 10-line block ×4, first 2 shown]
	s_ashr_i32 s12, s4, 5
	s_cmp_lt_i32 s4, s18
	s_cselect_b32 s30, s12, s3
	s_delay_alu instid0(SALU_CYCLE_1) | instskip(NEXT) | instid1(SALU_CYCLE_1)
	s_ashr_i32 s31, s30, 31
	s_lshl_b64 s[30:31], s[30:31], 2
	s_delay_alu instid0(SALU_CYCLE_1)
	s_add_u32 s30, s17, s30
	s_addc_u32 s31, s13, s31
	s_clause 0x5
	s_load_b32 s12, s[6:7], 0x0
	s_load_b32 s4, s[8:9], 0x0
	;; [unrolled: 1-line block ×6, first 2 shown]
	s_or_b32 s21, s16, 0xc0
	s_waitcnt vmcnt(1)
	v_mad_i64_i32 v[1:2], null, v5, s5, s[22:23]
	v_lshlrev_b32_e32 v5, 4, v68
	s_waitcnt vmcnt(0)
	v_mad_i64_i32 v[3:4], null, v6, s5, s[22:23]
	s_ashr_i32 s22, s21, 5
	s_cmp_lt_i32 s21, s18
	s_delay_alu instid0(VALU_DEP_3) | instskip(NEXT) | instid1(VALU_DEP_4)
	v_add_co_u32 v1, vcc_lo, v1, v5
	v_add_co_ci_u32_e32 v2, vcc_lo, 0, v2, vcc_lo
	s_delay_alu instid0(VALU_DEP_3) | instskip(NEXT) | instid1(VALU_DEP_4)
	v_add_co_u32 v3, vcc_lo, v3, v5
	v_add_co_ci_u32_e32 v4, vcc_lo, 0, v4, vcc_lo
	s_clause 0x7
	global_load_b128 v[71:74], v[1:2], off
	global_load_b128 v[75:78], v[1:2], off offset:512
	global_load_b128 v[79:82], v[3:4], off offset:256
	;; [unrolled: 1-line block ×7, first 2 shown]
	s_cselect_b32 s22, s22, s3
	v_lshlrev_b32_e32 v1, 5, v68
	s_ashr_i32 s23, s22, 31
	v_cmp_gt_i32_e32 vcc_lo, 32, v128
	s_lshl_b64 s[22:23], s[22:23], 2
	v_and_b32_e32 v103, 0xff, v103
	s_add_u32 s22, s17, s22
	s_addc_u32 s23, s13, s23
	v_cndmask_b32_e32 v136, v127, v128, vcc_lo
	s_or_b32 s21, s16, 0xe0
	v_lshl_or_b32 v1, v69, 9, v1
	s_ashr_i32 s24, s21, 5
	s_cmp_lt_i32 s21, s18
	v_lshlrev_b32_e32 v115, 6, v103
	s_cselect_b32 s24, s24, s3
	s_load_b32 s3, s[22:23], 0x0
	s_ashr_i32 s25, s24, 31
	s_delay_alu instid0(SALU_CYCLE_1) | instskip(NEXT) | instid1(SALU_CYCLE_1)
	s_lshl_b64 s[24:25], s[24:25], 2
	s_add_u32 s22, s17, s24
	s_addc_u32 s23, s13, s25
	s_add_u32 s10, s10, s15
	s_addc_u32 s11, s11, s20
	v_add_co_u32 v1, s10, s10, v1
	s_delay_alu instid0(VALU_DEP_1) | instskip(SKIP_2) | instid1(VALU_DEP_1)
	v_add_co_ci_u32_e64 v2, null, s11, 0, s10
	s_load_b32 s10, s[22:23], 0x0
	s_waitcnt lgkmcnt(0)
	v_mad_i64_i32 v[3:4], null, s12, s5, v[1:2]
	v_mad_i64_i32 v[9:10], null, s7, s5, v[1:2]
	;; [unrolled: 1-line block ×7, first 2 shown]
	s_clause 0x5
	global_load_b128 v[49:52], v[3:4], off
	global_load_b128 v[53:56], v[3:4], off offset:16
	global_load_b128 v[41:44], v[5:6], off
	global_load_b128 v[45:48], v[5:6], off offset:16
	;; [unrolled: 2-line block ×3, first 2 shown]
	s_mov_b32 s4, 0
	v_mad_i64_i32 v[61:62], null, s10, s5, v[1:2]
	s_clause 0x9
	global_load_b128 v[1:4], v[9:10], off
	global_load_b128 v[5:8], v[9:10], off offset:16
	global_load_b128 v[9:12], v[13:14], off
	global_load_b128 v[13:16], v[13:14], off offset:16
	;; [unrolled: 2-line block ×5, first 2 shown]
	s_mov_b32 s5, s4
	s_mov_b32 s6, s4
	s_mov_b32 s7, s4
	s_mov_b32 s8, s4
	s_mov_b32 s9, s4
	s_mov_b32 s10, s4
	s_mov_b32 s11, s4
	v_and_b32_e32 v104, 0xe0, v0
	v_dual_mov_b32 v126, s11 :: v_dual_mov_b32 v123, s8
	v_dual_mov_b32 v125, s10 :: v_dual_mov_b32 v124, s9
	s_delay_alu instid0(VALU_DEP_3)
	v_add_nc_u32_e32 v111, s16, v104
	ds_load_b128 v[103:106], v115
	ds_load_b128 v[107:110], v115 offset:1024
	v_dual_mov_b32 v122, s7 :: v_dual_mov_b32 v121, s6
	v_mov_b32_e32 v120, s5
	v_or_b32_e32 v135, v111, v66
	ds_load_b128 v[111:114], v115 offset:2048
	ds_load_b128 v[115:118], v115 offset:3072
	v_mov_b32_e32 v119, s4
	s_waitcnt vmcnt(0) lgkmcnt(0)
	s_barrier
	v_or_b32_e32 v137, 2, v135
	v_or_b32_e32 v138, 4, v135
	;; [unrolled: 1-line block ×3, first 2 shown]
	v_cmp_gt_i32_e32 vcc_lo, s18, v135
	v_or_b32_e32 v140, 8, v135
	v_cmp_gt_i32_e64 s3, s18, v137
	v_or_b32_e32 v141, 10, v135
	v_cmp_gt_i32_e64 s4, s18, v138
	v_cmp_gt_i32_e64 s5, s18, v139
	v_or_b32_e32 v142, 12, v135
	v_or_b32_e32 v143, 14, v135
	v_cmp_gt_i32_e64 s6, s18, v140
	v_cmp_gt_i32_e64 s7, s18, v141
	v_or_b32_e32 v144, 16, v135
	v_or_b32_e32 v145, 18, v135
	v_cmp_gt_i32_e64 s8, s18, v142
	v_cmp_gt_i32_e64 s9, s18, v143
	buffer_gl0_inv
	v_cmp_gt_i32_e64 s10, s18, v144
	v_cmp_gt_i32_e64 s11, s18, v145
	v_wmma_f32_16x16x16_f16 v[127:134], v[71:78], v[103:110], v[119:126]
	v_wmma_f32_16x16x16_f16 v[119:126], v[79:86], v[103:110], v[119:126]
	v_or_b32_e32 v71, 20, v135
	v_or_b32_e32 v72, 22, v135
	s_delay_alu instid0(VALU_DEP_4)
	v_wmma_f32_16x16x16_f16 v[127:134], v[87:94], v[111:118], v[127:134]
	v_or_b32_e32 v73, 24, v135
	v_wmma_f32_16x16x16_f16 v[119:126], v[95:102], v[111:118], v[119:126]
	v_or_b32_e32 v74, 26, v135
	v_cmp_gt_i32_e64 s12, s18, v71
	v_dual_mul_f32 v84, s19, v127 :: v_dual_mul_f32 v83, s19, v128
	s_delay_alu instid0(VALU_DEP_4) | instskip(SKIP_2) | instid1(VALU_DEP_4)
	v_dual_mul_f32 v92, s19, v119 :: v_dual_mul_f32 v81, s19, v130
	v_mul_f32_e32 v90, s19, v121
	v_mul_f32_e32 v82, s19, v129
	v_cndmask_b32_e32 v84, 0xff7fffff, v84, vcc_lo
	v_cndmask_b32_e64 v83, 0xff7fffff, v83, s3
	v_dual_mul_f32 v79, s19, v132 :: v_dual_mul_f32 v88, s19, v123
	v_mul_f32_e32 v80, s19, v131
	v_cndmask_b32_e64 v82, 0xff7fffff, v82, s4
	v_cndmask_b32_e64 v81, 0xff7fffff, v81, s5
	v_max3_f32 v83, v84, 0xff7fffff, v83
	v_dual_mul_f32 v77, s19, v134 :: v_dual_mul_f32 v86, s19, v125
	v_mul_f32_e32 v78, s19, v133
	v_cndmask_b32_e64 v80, 0xff7fffff, v80, s6
	v_cndmask_b32_e64 v79, 0xff7fffff, v79, s7
	v_max3_f32 v81, v83, v82, v81
	v_mul_f32_e32 v91, s19, v120
	v_cndmask_b32_e64 v78, 0xff7fffff, v78, s8
	v_cndmask_b32_e64 v77, 0xff7fffff, v77, s9
	v_mul_f32_e32 v89, s19, v122
	v_max3_f32 v79, v81, v80, v79
	v_cndmask_b32_e64 v80, 0xff7fffff, v92, s10
	v_cndmask_b32_e64 v81, 0xff7fffff, v91, s11
	v_cmp_gt_i32_e64 s13, s18, v72
	v_or_b32_e32 v75, 28, v135
	v_max3_f32 v77, v79, v78, v77
	v_or_b32_e32 v76, 30, v135
	v_mul_f32_e32 v87, s19, v124
	v_cndmask_b32_e64 v71, 0xff7fffff, v90, s12
	v_cndmask_b32_e64 v72, 0xff7fffff, v89, s13
	v_max3_f32 v77, v77, v80, v81
	v_cmp_gt_i32_e64 s15, s18, v73
	v_cmp_gt_i32_e64 s16, s18, v74
	v_mul_f32_e32 v85, s19, v126
	v_cmp_gt_i32_e64 s17, s18, v75
	v_max3_f32 v71, v77, v71, v72
	v_cndmask_b32_e64 v73, 0xff7fffff, v88, s15
	v_cndmask_b32_e64 v74, 0xff7fffff, v87, s16
	v_cmp_gt_i32_e64 s18, s18, v76
	v_cndmask_b32_e64 v72, 0xff7fffff, v86, s17
	s_delay_alu instid0(VALU_DEP_3) | instskip(NEXT) | instid1(VALU_DEP_3)
	v_max3_f32 v71, v71, v73, v74
	v_cndmask_b32_e64 v75, 0xff7fffff, v85, s18
	v_lshlrev_b32_e32 v73, 2, v136
	s_delay_alu instid0(VALU_DEP_2) | instskip(SKIP_3) | instid1(VALU_DEP_1)
	v_max3_f32 v71, v71, v72, v75
	ds_bpermute_b32 v72, v73, v71
	s_waitcnt lgkmcnt(0)
	v_max_f32_e32 v72, v72, v72
	v_max_f32_e32 v71, v71, v72
	s_delay_alu instid0(VALU_DEP_1) | instskip(SKIP_2) | instid1(VALU_DEP_3)
	v_fma_f32 v72, s19, v127, -v71
	v_fma_f32 v74, s19, v128, -v71
	;; [unrolled: 1-line block ×3, first 2 shown]
	v_mul_f32_e32 v72, 0x3fb8aa3b, v72
	s_delay_alu instid0(VALU_DEP_2) | instskip(NEXT) | instid1(VALU_DEP_2)
	v_dual_mul_f32 v74, 0x3fb8aa3b, v74 :: v_dual_mul_f32 v75, 0x3fb8aa3b, v75
	v_exp_f32_e32 v72, v72
	s_delay_alu instid0(VALU_DEP_1) | instskip(NEXT) | instid1(VALU_DEP_1)
	v_exp_f32_e32 v74, v74
	v_exp_f32_e32 v75, v75
	s_delay_alu instid0(TRANS32_DEP_3)
	v_cndmask_b32_e32 v79, 0, v72, vcc_lo
	s_waitcnt_depctr 0xfff
	v_cndmask_b32_e64 v78, 0, v74, s3
	v_cndmask_b32_e64 v81, 0, v75, s4
	v_cmp_gt_u32_e64 s3, 16, v70
	v_add_f32_e32 v74, 0, v79
	s_delay_alu instid0(VALU_DEP_1) | instskip(NEXT) | instid1(VALU_DEP_1)
	v_add_f32_e32 v74, v74, v78
	v_add_f32_e32 v74, v74, v81
	v_fma_f32 v76, s19, v130, -v71
	v_fma_f32 v77, s19, v131, -v71
	;; [unrolled: 1-line block ×5, first 2 shown]
	s_delay_alu instid0(VALU_DEP_4) | instskip(NEXT) | instid1(VALU_DEP_4)
	v_dual_mul_f32 v76, 0x3fb8aa3b, v76 :: v_dual_mul_f32 v77, 0x3fb8aa3b, v77
	v_mul_f32_e32 v72, 0x3fb8aa3b, v72
	s_delay_alu instid0(VALU_DEP_4) | instskip(SKIP_1) | instid1(VALU_DEP_4)
	v_mul_f32_e32 v82, 0x3fb8aa3b, v80
	v_fma_f32 v86, s19, v122, -v71
	v_exp_f32_e32 v76, v76
	v_exp_f32_e32 v77, v77
	;; [unrolled: 1-line block ×4, first 2 shown]
	v_mul_f32_e32 v86, 0x3fb8aa3b, v86
	s_delay_alu instid0(VALU_DEP_1)
	v_exp_f32_e32 v88, v86
	v_cndmask_b32_e64 v80, 0, v76, s5
	v_mul_f32_e32 v75, 0x3fb8aa3b, v75
	v_fma_f32 v76, s19, v119, -v71
	v_cndmask_b32_e64 v83, 0, v77, s6
	v_fma_f32 v77, s19, v120, -v71
	v_add_f32_e32 v74, v74, v80
	v_exp_f32_e32 v75, v75
	v_mul_f32_e32 v76, 0x3fb8aa3b, v76
	v_cndmask_b32_e64 v82, 0, v72, s7
	s_delay_alu instid0(VALU_DEP_3) | instskip(SKIP_1) | instid1(VALU_DEP_4)
	v_dual_mul_f32 v77, 0x3fb8aa3b, v77 :: v_dual_add_f32 v72, v74, v83
	v_fma_f32 v74, s19, v121, -v71
	v_exp_f32_e32 v76, v76
	v_cndmask_b32_e64 v85, 0, v84, s8
	s_delay_alu instid0(VALU_DEP_3) | instskip(SKIP_1) | instid1(TRANS32_DEP_3)
	v_exp_f32_e32 v77, v77
	v_cndmask_b32_e64 v88, 0, v88, s13
	v_cndmask_b32_e64 v84, 0, v75, s9
	v_fma_f32 v75, s19, v123, -v71
	v_add_f32_e32 v72, v72, v82
	s_delay_alu instid0(VALU_DEP_2) | instskip(NEXT) | instid1(VALU_DEP_2)
	v_dual_mul_f32 v74, 0x3fb8aa3b, v74 :: v_dual_mul_f32 v75, 0x3fb8aa3b, v75
	v_add_f32_e32 v72, v72, v85
	s_delay_alu instid0(VALU_DEP_2)
	v_exp_f32_e32 v74, v74
	v_cndmask_b32_e64 v87, 0, v76, s10
	v_fma_f32 v76, s19, v124, -v71
	v_cndmask_b32_e64 v86, 0, v77, s11
	v_add_f32_e32 v72, v72, v84
	v_fma_f32 v77, s19, v125, -v71
	v_exp_f32_e32 v75, v75
	v_mul_f32_e32 v76, 0x3fb8aa3b, v76
	s_delay_alu instid0(VALU_DEP_3) | instskip(NEXT) | instid1(TRANS32_DEP_2)
	v_add_f32_e32 v72, v72, v87
	v_cndmask_b32_e64 v89, 0, v74, s12
	v_mul_f32_e32 v74, 0x3fb8aa3b, v77
	s_delay_alu instid0(VALU_DEP_4) | instskip(SKIP_2) | instid1(VALU_DEP_3)
	v_exp_f32_e32 v76, v76
	v_fma_f32 v77, s19, v126, -v71
	v_add_f32_e32 v72, v72, v86
	v_exp_f32_e32 v74, v74
	s_delay_alu instid0(TRANS32_DEP_3) | instskip(NEXT) | instid1(VALU_DEP_3)
	v_cndmask_b32_e64 v91, 0, v75, s15
	v_mul_f32_e32 v75, 0x3fb8aa3b, v77
	s_delay_alu instid0(VALU_DEP_3) | instskip(NEXT) | instid1(TRANS32_DEP_2)
	v_add_f32_e32 v72, v72, v89
	v_cndmask_b32_e64 v90, 0, v76, s16
	s_delay_alu instid0(VALU_DEP_3) | instskip(NEXT) | instid1(VALU_DEP_2)
	v_exp_f32_e32 v75, v75
	v_add_f32_e32 v72, v72, v88
	s_delay_alu instid0(TRANS32_DEP_2) | instskip(NEXT) | instid1(VALU_DEP_2)
	v_cndmask_b32_e64 v93, 0, v74, s17
	v_add_f32_e32 v72, v72, v91
	s_waitcnt_depctr 0xfff
	v_cndmask_b32_e64 v92, 0, v75, s18
	v_add_f32_e32 v72, v72, v90
	s_delay_alu instid0(VALU_DEP_1) | instskip(NEXT) | instid1(VALU_DEP_1)
	v_add_f32_e32 v72, v72, v93
	v_add_f32_e32 v72, v72, v92
	ds_bpermute_b32 v73, v73, v72
	s_and_saveexec_b32 s4, s3
	s_cbranch_execz .LBB1200_12
; %bb.11:
	v_mul_u32_u24_e32 v70, 0x44, v69
	s_waitcnt lgkmcnt(0)
	v_add_f32_e32 v72, v72, v73
	s_delay_alu instid0(VALU_DEP_2) | instskip(NEXT) | instid1(VALU_DEP_1)
	v_lshl_add_u32 v70, v68, 2, v70
	v_add_nc_u32_e32 v70, 0x4000, v70
	ds_store_2addr_b32 v70, v71, v72 offset1:136
.LBB1200_12:
	s_or_b32 exec_lo, exec_lo, s4
	v_lshlrev_b32_e32 v70, 2, v68
	s_load_b32 s36, s[0:1], 0x94
	s_waitcnt lgkmcnt(0)
	s_barrier
	buffer_gl0_inv
	v_add_nc_u32_e32 v98, 0x4000, v70
	v_cmp_eq_u32_e32 vcc_lo, 1, v69
	v_cmp_eq_u32_e64 s4, 2, v69
	v_cmp_eq_u32_e64 s5, 3, v69
	;; [unrolled: 1-line block ×3, first 2 shown]
	ds_load_2addr_b32 v[70:71], v98 offset1:17
	ds_load_2addr_b32 v[72:73], v98 offset0:34 offset1:51
	ds_load_2addr_b32 v[74:75], v98 offset0:68 offset1:85
	;; [unrolled: 1-line block ×3, first 2 shown]
	v_cmp_eq_u32_e64 s7, 5, v69
	v_cmp_eq_u32_e64 s8, 7, v69
	s_waitcnt lgkmcnt(3)
	v_max3_f32 v76, v70, 0xff7fffff, v71
	s_waitcnt lgkmcnt(2)
	s_delay_alu instid0(VALU_DEP_1) | instskip(SKIP_1) | instid1(VALU_DEP_1)
	v_max3_f32 v76, v76, v72, v73
	s_waitcnt lgkmcnt(1)
	v_max3_f32 v76, v76, v74, v75
	s_waitcnt lgkmcnt(0)
	s_delay_alu instid0(VALU_DEP_1) | instskip(NEXT) | instid1(VALU_DEP_1)
	v_max3_f32 v76, v76, v94, v95
	v_sub_f32_e32 v77, v71, v76
	ds_load_2addr_b32 v[96:97], v98 offset0:136 offset1:153
	v_sub_f32_e32 v74, v74, v76
	v_sub_f32_e32 v70, v70, v76
	;; [unrolled: 1-line block ×3, first 2 shown]
	v_dual_sub_f32 v72, v72, v76 :: v_dual_mul_f32 v77, 0x3fb8aa3b, v77
	s_delay_alu instid0(VALU_DEP_4) | instskip(NEXT) | instid1(VALU_DEP_4)
	v_mul_f32_e32 v103, 0x3fb8aa3b, v74
	v_mul_f32_e32 v99, 0x3fb8aa3b, v70
	ds_load_2addr_b32 v[70:71], v98 offset0:170 offset1:187
	v_dual_mul_f32 v101, 0x3fb8aa3b, v72 :: v_dual_mul_f32 v94, 0x3fb8aa3b, v94
	v_exp_f32_e32 v102, v77
	v_exp_f32_e32 v99, v99
	s_delay_alu instid0(VALU_DEP_1) | instskip(NEXT) | instid1(VALU_DEP_1)
	v_exp_f32_e32 v101, v101
	v_exp_f32_e32 v94, v94
	s_waitcnt lgkmcnt(1)
	s_delay_alu instid0(TRANS32_DEP_3)
	v_fma_f32 v77, v99, v96, 0
	v_sub_f32_e32 v100, v73, v76
	ds_load_2addr_b32 v[72:73], v98 offset0:204 offset1:221
	v_fmac_f32_e32 v77, v102, v97
	v_exp_f32_e32 v97, v103
	s_waitcnt lgkmcnt(1)
	s_delay_alu instid0(VALU_DEP_1)
	v_dual_fmac_f32 v77, v101, v70 :: v_dual_sub_f32 v96, v75, v76
	ds_load_2addr_b32 v[74:75], v98 offset0:238 offset1:255
	v_sub_f32_e32 v70, v95, v76
	s_waitcnt lgkmcnt(0)
	s_barrier
	v_mul_f32_e32 v96, 0x3fb8aa3b, v96
	buffer_gl0_inv
	v_exp_f32_e32 v95, v96
	v_mul_f32_e32 v100, 0x3fb8aa3b, v100
	s_delay_alu instid0(VALU_DEP_1) | instskip(SKIP_3) | instid1(VALU_DEP_2)
	v_exp_f32_e32 v100, v100
	s_waitcnt_depctr 0xfff
	v_dual_fmac_f32 v77, v100, v71 :: v_dual_mul_f32 v70, 0x3fb8aa3b, v70
	v_cndmask_b32_e32 v71, v99, v102, vcc_lo
	v_fmac_f32_e32 v77, v97, v72
	s_delay_alu instid0(VALU_DEP_3) | instskip(NEXT) | instid1(VALU_DEP_1)
	v_exp_f32_e32 v96, v70
	v_fmac_f32_e32 v77, v95, v73
	s_delay_alu instid0(VALU_DEP_1) | instskip(SKIP_2) | instid1(VALU_DEP_1)
	v_fmac_f32_e32 v77, v94, v74
	s_waitcnt_depctr 0xfff
	v_fmac_f32_e32 v77, v96, v75
	v_add_f32_e32 v74, 0x358637bd, v77
	s_delay_alu instid0(VALU_DEP_1) | instskip(SKIP_1) | instid1(VALU_DEP_2)
	v_div_scale_f32 v98, null, v74, v74, 1.0
	v_div_scale_f32 v99, vcc_lo, 1.0, v74, 1.0
	v_rcp_f32_e32 v103, v98
	s_waitcnt_depctr 0xfff
	v_fma_f32 v70, -v98, v103, 1.0
	s_delay_alu instid0(VALU_DEP_1) | instskip(SKIP_2) | instid1(VALU_DEP_2)
	v_fmac_f32_e32 v103, v70, v103
	v_cndmask_b32_e64 v70, v71, v101, s4
	v_cmp_eq_u32_e64 s4, 6, v69
	v_cndmask_b32_e64 v71, v70, v100, s5
	s_delay_alu instid0(VALU_DEP_4) | instskip(NEXT) | instid1(VALU_DEP_2)
	v_dual_mul_f32 v101, v99, v103 :: v_dual_lshlrev_b32 v70, 2, v66
	v_cndmask_b32_e64 v71, v71, v97, s6
	s_delay_alu instid0(VALU_DEP_2) | instskip(NEXT) | instid1(VALU_DEP_3)
	v_or_b32_e32 v72, 1, v70
	v_fma_f32 v100, -v98, v101, v99
	v_cmp_eq_u32_e64 s5, 1, v70
	v_cmp_eq_u32_e64 s6, 2, v70
	v_cndmask_b32_e64 v95, v71, v95, s7
	v_or_b32_e32 v71, 3, v70
	v_fmac_f32_e32 v101, v100, v103
	v_cmp_eq_u32_e64 s10, 1, v72
	v_cmp_eq_u32_e64 s13, 2, v72
	v_cndmask_b32_e64 v94, v95, v94, s4
	v_cmp_eq_u32_e64 s12, 1, v71
	v_fma_f32 v97, -v98, v101, v99
	v_cmp_eq_u32_e64 s17, 2, v71
	v_cmp_eq_u32_e64 s15, 3, v72
	v_cndmask_b32_e64 v94, v94, v96, s8
	v_cmp_eq_u32_e64 s19, 3, v71
	v_div_fmas_f32 v95, v97, v103, v101
	v_cmp_eq_u32_e32 vcc_lo, 3, v70
	v_cmp_eq_u32_e64 s4, 4, v70
	v_cmp_eq_u32_e64 s20, 4, v72
	;; [unrolled: 1-line block ×3, first 2 shown]
	v_div_fixup_f32 v95, v95, v74, 1.0
	v_lshlrev_b32_e32 v73, 6, v68
	v_cmp_eq_u32_e64 s7, 5, v70
	v_cmp_eq_u32_e64 s21, 5, v72
	;; [unrolled: 1-line block ×3, first 2 shown]
	v_mul_f32_e32 v102, v94, v95
	v_lshl_or_b32 v75, v69, 11, v73
	v_or_b32_e32 v69, 2, v70
	v_cmp_eq_u32_e64 s26, 6, v72
	v_cmp_eq_u32_e64 s28, 6, v71
	v_fma_mixlo_f16 v94, v102, v79, 0
	v_fma_mixlo_f16 v95, v102, v81, 0
	;; [unrolled: 1-line block ×8, first 2 shown]
	v_lshl_or_b32 v74, v66, 4, v75
	v_fma_mixhi_f16 v94, v102, v78, 0
	v_fma_mixhi_f16 v95, v102, v80, 0
	;; [unrolled: 1-line block ×8, first 2 shown]
	ds_store_b128 v74, v[94:97]
	ds_store_b128 v74, v[98:101] offset:1024
	s_waitcnt lgkmcnt(0)
	s_barrier
	buffer_gl0_inv
	ds_load_b128 v[78:81], v75
	ds_load_b128 v[82:85], v75 offset:16
	ds_load_b128 v[86:89], v75 offset:1024
	;; [unrolled: 1-line block ×3, first 2 shown]
	v_cmp_eq_u32_e64 s11, 1, v69
	v_cmp_eq_u32_e64 s16, 2, v69
	v_cmp_eq_u32_e64 s18, 3, v69
	v_cmp_eq_u32_e64 s22, 4, v69
	v_cmp_eq_u32_e64 s24, 5, v69
	v_cmp_eq_u32_e64 s8, 6, v70
	v_cmp_eq_u32_e64 s27, 6, v69
	v_cmp_eq_u32_e64 s30, 7, v71
	v_cmp_eq_u32_e64 s31, 7, v72
	v_cmp_eq_u32_e64 s9, 7, v70
	v_cmp_eq_u32_e64 s29, 7, v69
	s_waitcnt lgkmcnt(3)
	v_lshrrev_b32_e32 v94, 16, v78
	s_waitcnt lgkmcnt(2)
	v_lshrrev_b32_e32 v98, 16, v82
	s_waitcnt lgkmcnt(1)
	v_lshrrev_b32_e32 v102, 16, v86
	s_waitcnt lgkmcnt(0)
	v_lshrrev_b32_e32 v106, 16, v90
	v_lshrrev_b32_e32 v95, 16, v79
	v_cndmask_b32_e64 v110, v78, v94, s5
	v_cndmask_b32_e64 v111, v82, v98, s5
	;; [unrolled: 1-line block ×8, first 2 shown]
	v_lshrrev_b32_e32 v99, 16, v83
	v_cndmask_b32_e64 v94, v86, v102, s5
	v_cndmask_b32_e64 v98, v90, v106, s5
	;; [unrolled: 1-line block ×15, first 2 shown]
	v_lshrrev_b32_e32 v103, 16, v87
	v_lshrrev_b32_e32 v107, 16, v91
	v_cndmask_b32_e64 v113, v115, v83, s16
	v_cndmask_b32_e64 v82, v94, v87, s6
	;; [unrolled: 1-line block ×7, first 2 shown]
	v_cndmask_b32_e32 v90, v102, v95, vcc_lo
	v_cndmask_b32_e32 v102, v106, v99, vcc_lo
	v_cndmask_b32_e64 v106, v110, v95, s15
	v_cndmask_b32_e64 v110, v111, v99, s15
	;; [unrolled: 1-line block ×4, first 2 shown]
	v_lshrrev_b32_e32 v96, 16, v80
	v_lshrrev_b32_e32 v100, 16, v84
	v_cndmask_b32_e64 v111, v112, v95, s18
	v_cndmask_b32_e64 v112, v113, v99, s18
	v_cndmask_b32_e32 v82, v82, v103, vcc_lo
	v_cndmask_b32_e32 v83, v83, v107, vcc_lo
	v_cndmask_b32_e64 v94, v94, v103, s15
	v_cndmask_b32_e64 v90, v90, v80, s4
	;; [unrolled: 1-line block ×7, first 2 shown]
	v_lshrrev_b32_e32 v104, 16, v88
	v_cndmask_b32_e64 v106, v111, v80, s22
	v_cndmask_b32_e64 v110, v112, v84, s22
	;; [unrolled: 1-line block ×11, first 2 shown]
	v_lshrrev_b32_e32 v97, 16, v81
	v_lshrrev_b32_e32 v101, 16, v85
	v_cndmask_b32_e64 v99, v106, v96, s24
	v_cndmask_b32_e64 v102, v110, v100, s24
	;; [unrolled: 1-line block ×7, first 2 shown]
	v_lshrrev_b32_e32 v105, 16, v89
	v_cndmask_b32_e64 v80, v80, v104, s7
	v_cndmask_b32_e64 v84, v84, v81, s8
	;; [unrolled: 1-line block ×16, first 2 shown]
	v_perm_b32 v81, v79, v78, 0x5040100
	v_perm_b32 v79, v95, v85, 0x5040100
	v_cndmask_b32_e64 v78, v119, v91, s16
	v_cndmask_b32_e64 v85, v117, v91, s13
	;; [unrolled: 1-line block ×3, first 2 shown]
	v_perm_b32 v80, v94, v90, 0x5040100
	v_cndmask_b32_e64 v90, v98, v103, s18
	v_cndmask_b32_e64 v86, v86, v103, s19
	;; [unrolled: 1-line block ×5, first 2 shown]
	v_lshrrev_b32_e32 v108, 16, v92
	v_cndmask_b32_e64 v90, v90, v88, s22
	v_cndmask_b32_e64 v86, v86, v88, s23
	;; [unrolled: 1-line block ×11, first 2 shown]
	v_lshrrev_b32_e32 v109, 16, v93
	v_cndmask_b32_e64 v82, v82, v93, s8
	v_cndmask_b32_e64 v88, v88, v89, s27
	v_cndmask_b32_e64 v86, v86, v89, s28
	v_cndmask_b32_e64 v87, v87, v93, s28
	v_cndmask_b32_e64 v78, v78, v93, s27
	v_cndmask_b32_e64 v85, v85, v93, s26
	v_cndmask_b32_e64 v88, v88, v105, s29
	v_cndmask_b32_e64 v86, v86, v105, s30
	v_cndmask_b32_e64 v87, v87, v109, s30
	v_cndmask_b32_e64 v89, v78, v109, s29
	v_cndmask_b32_e64 v90, v85, v109, s31
	v_cndmask_b32_e64 v82, v82, v109, s9
	v_perm_b32 v78, v84, v83, 0x5040100
	v_perm_b32 v85, v87, v86, 0x5040100
	;; [unrolled: 1-line block ×5, first 2 shown]
	s_mul_i32 s9, s35, 3
	s_mov_b32 s4, exec_lo
	ds_store_b128 v74, v[78:81]
	ds_store_b128 v74, v[82:85] offset:1024
	v_cmpx_gt_u32_e32 3, v0
	s_cbranch_execz .LBB1200_14
; %bb.13:
	s_mul_i32 s5, s9, s34
	s_load_b128 s[16:19], s[0:1], 0x58
	v_add3_u32 v68, s5, s33, v68
	s_delay_alu instid0(VALU_DEP_1) | instskip(NEXT) | instid1(VALU_DEP_1)
	v_mad_u64_u32 v[78:79], null, v68, s36, s[14:15]
	v_ashrrev_i32_e32 v79, 31, v78
	s_delay_alu instid0(VALU_DEP_1) | instskip(SKIP_1) | instid1(VALU_DEP_1)
	v_lshlrev_b64 v[78:79], 2, v[78:79]
	s_waitcnt lgkmcnt(0)
	v_add_co_u32 v80, vcc_lo, s18, v78
	s_delay_alu instid0(VALU_DEP_2)
	v_add_co_ci_u32_e32 v81, vcc_lo, s19, v79, vcc_lo
	v_add_co_u32 v78, vcc_lo, s16, v78
	v_add_co_ci_u32_e32 v79, vcc_lo, s17, v79, vcc_lo
	global_store_b32 v[80:81], v76, off
	global_store_b32 v[78:79], v77, off
.LBB1200_14:
	s_or_b32 exec_lo, exec_lo, s4
	s_waitcnt lgkmcnt(0)
	s_waitcnt_vscnt null, 0x0
	s_barrier
	buffer_gl0_inv
	ds_load_b128 v[84:87], v73
	ds_load_b128 v[88:91], v73 offset:16
	ds_load_b128 v[96:99], v73 offset:2064
	;; [unrolled: 1-line block ×5, first 2 shown]
	v_cmp_eq_u32_e32 vcc_lo, 1, v70
	v_mov_b32_e32 v76, 0
	ds_load_b128 v[112:115], v73 offset:6160
	ds_load_b128 v[108:111], v73 offset:6144
	;; [unrolled: 1-line block ×4, first 2 shown]
	v_cmp_eq_u32_e64 s5, 1, v69
	v_cmp_eq_u32_e64 s4, 1, v72
	;; [unrolled: 1-line block ×3, first 2 shown]
	v_mov_b32_e32 v77, v76
	v_mov_b32_e32 v78, v76
	;; [unrolled: 1-line block ×7, first 2 shown]
	v_cmp_eq_u32_e64 s7, 3, v72
	v_cmp_eq_u32_e64 s8, 7, v72
	s_waitcnt lgkmcnt(8)
	s_delay_alu instid0(VALU_DEP_3)
	v_wmma_f32_16x16x16_f16 v[76:83], v[49:56], v[84:91], v[76:83]
	ds_load_b128 v[53:56], v73 offset:10256
	ds_load_b128 v[49:52], v73 offset:10240
	s_waitcnt lgkmcnt(8)
	v_wmma_f32_16x16x16_f16 v[76:83], v[41:48], v[92:99], v[76:83]
	ds_load_b128 v[45:48], v73 offset:12304
	ds_load_b128 v[41:44], v73 offset:12288
	s_waitcnt lgkmcnt(8)
	;; [unrolled: 4-line block ×3, first 2 shown]
	s_barrier
	buffer_gl0_inv
	v_wmma_f32_16x16x16_f16 v[76:83], v[1:8], v[108:115], v[76:83]
	s_delay_alu instid0(VALU_DEP_1) | instskip(NEXT) | instid1(VALU_DEP_1)
	v_wmma_f32_16x16x16_f16 v[76:83], v[9:16], v[116:123], v[76:83]
	v_wmma_f32_16x16x16_f16 v[76:83], v[17:24], v[49:56], v[76:83]
	s_delay_alu instid0(VALU_DEP_1) | instskip(NEXT) | instid1(VALU_DEP_1)
	v_wmma_f32_16x16x16_f16 v[76:83], v[25:32], v[41:48], v[76:83]
	v_wmma_f32_16x16x16_f16 v[76:83], v[57:64], v[33:40], v[76:83]
	s_delay_alu instid0(VALU_DEP_1) | instskip(NEXT) | instid1(VALU_DEP_2)
	v_cvt_f16_f32_e32 v1, v76
	v_cvt_f16_f32_e32 v2, v77
	s_delay_alu instid0(VALU_DEP_3) | instskip(NEXT) | instid1(VALU_DEP_4)
	v_cvt_f16_f32_e32 v3, v78
	v_cvt_f16_f32_e32 v4, v79
	;; [unrolled: 1-line block ×6, first 2 shown]
	v_pack_b32_f16 v1, v1, v2
	v_pack_b32_f16 v2, v3, v4
	;; [unrolled: 1-line block ×3, first 2 shown]
	s_delay_alu instid0(VALU_DEP_4)
	v_pack_b32_f16 v4, v7, v8
	ds_store_b128 v74, v[1:4]
	s_waitcnt lgkmcnt(0)
	s_barrier
	buffer_gl0_inv
	ds_load_b128 v[1:4], v75
	ds_load_b128 v[5:8], v75 offset:16
	s_waitcnt lgkmcnt(1)
	v_lshrrev_b32_e32 v9, 16, v1
	s_waitcnt lgkmcnt(0)
	v_lshrrev_b32_e32 v13, 16, v5
	v_lshrrev_b32_e32 v10, 16, v2
	;; [unrolled: 1-line block ×4, first 2 shown]
	v_cndmask_b32_e32 v17, v1, v9, vcc_lo
	v_cndmask_b32_e32 v18, v5, v13, vcc_lo
	v_cndmask_b32_e64 v21, v1, v9, s5
	v_cmp_eq_u32_e32 vcc_lo, 1, v71
	v_cndmask_b32_e64 v22, v5, v13, s5
	v_cmp_eq_u32_e64 s5, 2, v70
	v_cndmask_b32_e64 v19, v1, v9, s4
	v_cndmask_b32_e64 v20, v5, v13, s4
	v_cndmask_b32_e32 v1, v1, v9, vcc_lo
	v_cmp_eq_u32_e64 s4, 2, v71
	v_cndmask_b32_e32 v5, v5, v13, vcc_lo
	v_cndmask_b32_e64 v9, v17, v2, s5
	v_cmp_eq_u32_e32 vcc_lo, 3, v70
	v_cndmask_b32_e64 v13, v18, v6, s5
	v_cmp_eq_u32_e64 s5, 2, v69
	v_cndmask_b32_e64 v17, v19, v2, s6
	v_cndmask_b32_e64 v18, v20, v6, s6
	v_cmp_eq_u32_e64 s6, 3, v69
	v_cndmask_b32_e64 v1, v1, v2, s4
	v_cndmask_b32_e64 v19, v21, v2, s5
	;; [unrolled: 1-line block ×4, first 2 shown]
	v_cndmask_b32_e32 v5, v9, v10, vcc_lo
	v_cndmask_b32_e32 v6, v13, v14, vcc_lo
	v_cmp_eq_u32_e32 vcc_lo, 3, v71
	v_cndmask_b32_e64 v9, v17, v10, s7
	v_cndmask_b32_e64 v13, v18, v14, s7
	;; [unrolled: 1-line block ×3, first 2 shown]
	v_cmp_eq_u32_e64 s5, 4, v70
	v_cndmask_b32_e32 v1, v1, v10, vcc_lo
	v_cndmask_b32_e32 v2, v2, v14, vcc_lo
	v_cmp_eq_u32_e32 vcc_lo, 4, v72
	v_lshrrev_b32_e32 v15, 16, v7
	v_lshrrev_b32_e32 v16, 16, v8
	v_cndmask_b32_e64 v17, v19, v10, s6
	v_cmp_eq_u32_e64 s4, 4, v71
	v_cndmask_b32_e64 v5, v5, v3, s5
	v_cndmask_b32_e64 v6, v6, v7, s5
	v_cndmask_b32_e32 v9, v9, v3, vcc_lo
	v_cmp_eq_u32_e64 s5, 5, v72
	v_cndmask_b32_e32 v10, v13, v7, vcc_lo
	v_cmp_eq_u32_e32 vcc_lo, 4, v69
	v_cmp_eq_u32_e64 s6, 5, v70
	v_cndmask_b32_e64 v2, v2, v7, s4
	v_cndmask_b32_e64 v9, v9, v11, s5
	;; [unrolled: 1-line block ×3, first 2 shown]
	v_cndmask_b32_e32 v13, v17, v3, vcc_lo
	v_cmp_eq_u32_e64 s5, 5, v69
	v_cndmask_b32_e32 v14, v18, v7, vcc_lo
	v_cndmask_b32_e64 v1, v1, v3, s4
	v_cmp_eq_u32_e32 vcc_lo, 5, v71
	v_lshrrev_b32_e32 v12, 16, v4
	v_cndmask_b32_e64 v13, v13, v11, s5
	v_cndmask_b32_e64 v3, v14, v15, s5
	v_cmp_eq_u32_e64 s5, 6, v71
	v_cndmask_b32_e32 v1, v1, v11, vcc_lo
	v_cndmask_b32_e64 v5, v5, v11, s6
	v_cmp_eq_u32_e64 s7, 6, v70
	v_cndmask_b32_e64 v6, v6, v15, s6
	v_cmp_eq_u32_e64 s6, 6, v72
	v_cmp_eq_u32_e64 s4, 6, v69
	v_cndmask_b32_e64 v1, v1, v4, s5
	v_cndmask_b32_e32 v2, v2, v15, vcc_lo
	v_cmp_eq_u32_e32 vcc_lo, 7, v71
	v_cndmask_b32_e64 v5, v5, v4, s7
	v_cndmask_b32_e64 v9, v9, v4, s6
	;; [unrolled: 1-line block ×3, first 2 shown]
	v_cmp_eq_u32_e64 s7, 7, v70
	v_cndmask_b32_e32 v1, v1, v12, vcc_lo
	v_cndmask_b32_e64 v7, v13, v4, s4
	v_cndmask_b32_e64 v3, v3, v8, s4
	;; [unrolled: 1-line block ×3, first 2 shown]
	v_cmp_eq_u32_e64 s4, 7, v69
	v_cndmask_b32_e64 v4, v10, v8, s6
	v_cndmask_b32_e64 v5, v5, v12, s7
	;; [unrolled: 1-line block ×3, first 2 shown]
	v_cndmask_b32_e32 v2, v2, v16, vcc_lo
	v_cndmask_b32_e64 v7, v7, v12, s4
	v_cndmask_b32_e64 v3, v3, v16, s4
	;; [unrolled: 1-line block ×4, first 2 shown]
	v_cmp_gt_u32_e32 vcc_lo, 32, v0
	v_perm_b32 v4, v2, v1, 0x5040100
	v_perm_b32 v3, v3, v7, 0x5040100
	;; [unrolled: 1-line block ×4, first 2 shown]
	s_and_b32 s2, vcc_lo, s2
	ds_store_b128 v74, v[1:4]
	s_waitcnt lgkmcnt(0)
	s_barrier
	buffer_gl0_inv
	s_and_saveexec_b32 s4, s2
	s_cbranch_execz .LBB1200_2
; %bb.15:
	s_load_b64 s[4:5], s[0:1], 0x68
	v_lshlrev_b32_e32 v0, 10, v0
	v_lshlrev_b32_e32 v2, 4, v67
	v_add_nc_u32_e32 v1, s33, v66
	s_lshl_b32 s0, s36, 6
	s_delay_alu instid0(SALU_CYCLE_1) | instskip(NEXT) | instid1(VALU_DEP_2)
	s_mul_i32 s1, s0, s34
	v_and_or_b32 v0, 0x3800, v0, v2
	s_mul_i32 s6, s1, s9
	v_mul_lo_u32 v1, v1, s0
	s_ashr_i32 s7, s6, 31
	s_delay_alu instid0(VALU_DEP_2) | instskip(SKIP_1) | instid1(VALU_DEP_2)
	v_lshl_or_b32 v3, v66, 6, v0
	s_lshl_b64 s[6:7], s[6:7], 1
	v_ashrrev_i32_e32 v2, 31, v1
	ds_load_b128 v[3:6], v3
	s_waitcnt lgkmcnt(0)
	s_add_u32 s1, s4, s6
	s_addc_u32 s2, s5, s7
	s_lshl_b32 s4, s14, 6
	v_lshlrev_b64 v[7:8], 1, v[1:2]
	s_ashr_i32 s5, s4, 31
	s_delay_alu instid0(SALU_CYCLE_1) | instskip(NEXT) | instid1(SALU_CYCLE_1)
	s_lshl_b64 s[4:5], s[4:5], 1
	s_add_u32 s1, s1, s4
	s_addc_u32 s2, s2, s5
	v_add_co_u32 v1, s1, s1, v65
	s_delay_alu instid0(VALU_DEP_1) | instskip(NEXT) | instid1(VALU_DEP_2)
	v_add_co_ci_u32_e64 v2, null, s2, 0, s1
	v_add_co_u32 v7, vcc_lo, v1, v7
	s_delay_alu instid0(VALU_DEP_2)
	v_add_co_ci_u32_e32 v8, vcc_lo, v2, v8, vcc_lo
	global_store_b128 v[7:8], v[3:6], off
	s_and_b32 exec_lo, exec_lo, s3
	s_cbranch_execz .LBB1200_2
; %bb.16:
	ds_load_b128 v[3:6], v0 offset:128
	s_add_i32 s1, s33, 2
	s_delay_alu instid0(SALU_CYCLE_1) | instskip(NEXT) | instid1(SALU_CYCLE_1)
	s_mul_i32 s0, s1, s0
	s_ashr_i32 s1, s0, 31
	s_delay_alu instid0(SALU_CYCLE_1) | instskip(NEXT) | instid1(SALU_CYCLE_1)
	s_lshl_b64 s[0:1], s[0:1], 1
	v_add_co_u32 v0, vcc_lo, v1, s0
	v_add_co_ci_u32_e32 v1, vcc_lo, s1, v2, vcc_lo
	s_waitcnt lgkmcnt(0)
	global_store_b128 v[0:1], v[3:6], off
	s_nop 0
	s_sendmsg sendmsg(MSG_DEALLOC_VGPRS)
	s_endpgm
	.section	.rodata,"a",@progbits
	.p2align	6, 0x0
	.amdhsa_kernel _Z39paged_attention_ll4mi_QKV_mfma16_kernelIDF16_hLN4vllm18Fp8KVCacheDataTypeE1EDF16_Li32ELi64ELi256ELb1ELi3EL8MFMAType0EEvPKT_PKT0_S8_ifPKiSA_SA_iPKfiiiPfSD_PS3_PT2_iSC_SC_
		.amdhsa_group_segment_fixed_size 17472
		.amdhsa_private_segment_fixed_size 0
		.amdhsa_kernarg_size 400
		.amdhsa_user_sgpr_count 13
		.amdhsa_user_sgpr_dispatch_ptr 0
		.amdhsa_user_sgpr_queue_ptr 0
		.amdhsa_user_sgpr_kernarg_segment_ptr 1
		.amdhsa_user_sgpr_dispatch_id 0
		.amdhsa_user_sgpr_private_segment_size 0
		.amdhsa_wavefront_size32 1
		.amdhsa_uses_dynamic_stack 0
		.amdhsa_enable_private_segment 0
		.amdhsa_system_sgpr_workgroup_id_x 1
		.amdhsa_system_sgpr_workgroup_id_y 1
		.amdhsa_system_sgpr_workgroup_id_z 1
		.amdhsa_system_sgpr_workgroup_info 0
		.amdhsa_system_vgpr_workitem_id 0
		.amdhsa_next_free_vgpr 146
		.amdhsa_next_free_sgpr 37
		.amdhsa_reserve_vcc 1
		.amdhsa_float_round_mode_32 0
		.amdhsa_float_round_mode_16_64 0
		.amdhsa_float_denorm_mode_32 3
		.amdhsa_float_denorm_mode_16_64 3
		.amdhsa_dx10_clamp 1
		.amdhsa_ieee_mode 1
		.amdhsa_fp16_overflow 0
		.amdhsa_workgroup_processor_mode 1
		.amdhsa_memory_ordered 1
		.amdhsa_forward_progress 0
		.amdhsa_shared_vgpr_count 0
		.amdhsa_exception_fp_ieee_invalid_op 0
		.amdhsa_exception_fp_denorm_src 0
		.amdhsa_exception_fp_ieee_div_zero 0
		.amdhsa_exception_fp_ieee_overflow 0
		.amdhsa_exception_fp_ieee_underflow 0
		.amdhsa_exception_fp_ieee_inexact 0
		.amdhsa_exception_int_div_zero 0
	.end_amdhsa_kernel
	.section	.text._Z39paged_attention_ll4mi_QKV_mfma16_kernelIDF16_hLN4vllm18Fp8KVCacheDataTypeE1EDF16_Li32ELi64ELi256ELb1ELi3EL8MFMAType0EEvPKT_PKT0_S8_ifPKiSA_SA_iPKfiiiPfSD_PS3_PT2_iSC_SC_,"axG",@progbits,_Z39paged_attention_ll4mi_QKV_mfma16_kernelIDF16_hLN4vllm18Fp8KVCacheDataTypeE1EDF16_Li32ELi64ELi256ELb1ELi3EL8MFMAType0EEvPKT_PKT0_S8_ifPKiSA_SA_iPKfiiiPfSD_PS3_PT2_iSC_SC_,comdat
.Lfunc_end1200:
	.size	_Z39paged_attention_ll4mi_QKV_mfma16_kernelIDF16_hLN4vllm18Fp8KVCacheDataTypeE1EDF16_Li32ELi64ELi256ELb1ELi3EL8MFMAType0EEvPKT_PKT0_S8_ifPKiSA_SA_iPKfiiiPfSD_PS3_PT2_iSC_SC_, .Lfunc_end1200-_Z39paged_attention_ll4mi_QKV_mfma16_kernelIDF16_hLN4vllm18Fp8KVCacheDataTypeE1EDF16_Li32ELi64ELi256ELb1ELi3EL8MFMAType0EEvPKT_PKT0_S8_ifPKiSA_SA_iPKfiiiPfSD_PS3_PT2_iSC_SC_
                                        ; -- End function
	.section	.AMDGPU.csdata,"",@progbits
; Kernel info:
; codeLenInByte = 6420
; NumSgprs: 39
; NumVgprs: 146
; ScratchSize: 0
; MemoryBound: 0
; FloatMode: 240
; IeeeMode: 1
; LDSByteSize: 17472 bytes/workgroup (compile time only)
; SGPRBlocks: 4
; VGPRBlocks: 18
; NumSGPRsForWavesPerEU: 39
; NumVGPRsForWavesPerEU: 146
; Occupancy: 9
; WaveLimiterHint : 1
; COMPUTE_PGM_RSRC2:SCRATCH_EN: 0
; COMPUTE_PGM_RSRC2:USER_SGPR: 13
; COMPUTE_PGM_RSRC2:TRAP_HANDLER: 0
; COMPUTE_PGM_RSRC2:TGID_X_EN: 1
; COMPUTE_PGM_RSRC2:TGID_Y_EN: 1
; COMPUTE_PGM_RSRC2:TGID_Z_EN: 1
; COMPUTE_PGM_RSRC2:TIDIG_COMP_CNT: 0
	.section	.text._Z39paged_attention_ll4mi_QKV_mfma16_kernelIDF16_hLN4vllm18Fp8KVCacheDataTypeE1EDF16_Li32ELi64ELi256ELb1ELi4EL8MFMAType0EEvPKT_PKT0_S8_ifPKiSA_SA_iPKfiiiPfSD_PS3_PT2_iSC_SC_,"axG",@progbits,_Z39paged_attention_ll4mi_QKV_mfma16_kernelIDF16_hLN4vllm18Fp8KVCacheDataTypeE1EDF16_Li32ELi64ELi256ELb1ELi4EL8MFMAType0EEvPKT_PKT0_S8_ifPKiSA_SA_iPKfiiiPfSD_PS3_PT2_iSC_SC_,comdat
	.protected	_Z39paged_attention_ll4mi_QKV_mfma16_kernelIDF16_hLN4vllm18Fp8KVCacheDataTypeE1EDF16_Li32ELi64ELi256ELb1ELi4EL8MFMAType0EEvPKT_PKT0_S8_ifPKiSA_SA_iPKfiiiPfSD_PS3_PT2_iSC_SC_ ; -- Begin function _Z39paged_attention_ll4mi_QKV_mfma16_kernelIDF16_hLN4vllm18Fp8KVCacheDataTypeE1EDF16_Li32ELi64ELi256ELb1ELi4EL8MFMAType0EEvPKT_PKT0_S8_ifPKiSA_SA_iPKfiiiPfSD_PS3_PT2_iSC_SC_
	.globl	_Z39paged_attention_ll4mi_QKV_mfma16_kernelIDF16_hLN4vllm18Fp8KVCacheDataTypeE1EDF16_Li32ELi64ELi256ELb1ELi4EL8MFMAType0EEvPKT_PKT0_S8_ifPKiSA_SA_iPKfiiiPfSD_PS3_PT2_iSC_SC_
	.p2align	8
	.type	_Z39paged_attention_ll4mi_QKV_mfma16_kernelIDF16_hLN4vllm18Fp8KVCacheDataTypeE1EDF16_Li32ELi64ELi256ELb1ELi4EL8MFMAType0EEvPKT_PKT0_S8_ifPKiSA_SA_iPKfiiiPfSD_PS3_PT2_iSC_SC_,@function
_Z39paged_attention_ll4mi_QKV_mfma16_kernelIDF16_hLN4vllm18Fp8KVCacheDataTypeE1EDF16_Li32ELi64ELi256ELb1ELi4EL8MFMAType0EEvPKT_PKT0_S8_ifPKiSA_SA_iPKfiiiPfSD_PS3_PT2_iSC_SC_: ; @_Z39paged_attention_ll4mi_QKV_mfma16_kernelIDF16_hLN4vllm18Fp8KVCacheDataTypeE1EDF16_Li32ELi64ELi256ELb1ELi4EL8MFMAType0EEvPKT_PKT0_S8_ifPKiSA_SA_iPKfiiiPfSD_PS3_PT2_iSC_SC_
; %bb.0:
	s_load_b64 s[2:3], s[0:1], 0x30
	s_mov_b32 s34, s13
	s_waitcnt lgkmcnt(0)
	s_cmp_lg_u64 s[2:3], 0
	s_cselect_b32 s8, -1, 0
	s_ashr_i32 s35, s13, 31
	s_cmp_eq_u64 s[2:3], 0
	s_cbranch_scc1 .LBB1201_3
; %bb.1:
	s_lshl_b64 s[4:5], s[34:35], 2
	s_delay_alu instid0(SALU_CYCLE_1) | instskip(SKIP_4) | instid1(SALU_CYCLE_1)
	s_add_u32 s4, s2, s4
	s_addc_u32 s5, s3, s5
	s_load_b64 s[4:5], s[4:5], 0x0
	s_waitcnt lgkmcnt(0)
	s_sub_i32 s4, s5, s4
	s_cmp_eq_u32 s4, 1
	s_cselect_b32 s4, -1, 0
	s_delay_alu instid0(SALU_CYCLE_1)
	s_and_not1_b32 vcc_lo, exec_lo, s4
	s_cbranch_vccz .LBB1201_4
.LBB1201_2:
	s_endpgm
.LBB1201_3:
.LBB1201_4:
	s_load_b64 s[4:5], s[0:1], 0x28
	s_lshl_b64 s[6:7], s[34:35], 2
	s_waitcnt lgkmcnt(0)
	s_add_u32 s4, s4, s6
	s_addc_u32 s5, s5, s7
	s_lshl_b32 s12, s14, 8
	s_load_b32 s24, s[4:5], 0x0
	s_waitcnt lgkmcnt(0)
	s_cmp_ge_i32 s12, s24
	s_cbranch_scc1 .LBB1201_2
; %bb.5:
	s_clause 0x1
	s_load_b128 s[20:23], s[0:1], 0x8
	s_load_b64 s[4:5], s[0:1], 0x20
	s_and_not1_b32 vcc_lo, exec_lo, s8
	s_cbranch_vccnz .LBB1201_7
; %bb.6:
	s_add_u32 s2, s2, s6
	s_addc_u32 s3, s3, s7
	s_load_b32 s3, s[2:3], 0x0
	s_branch .LBB1201_8
.LBB1201_7:
	s_mov_b32 s3, s34
.LBB1201_8:
	s_load_b128 s[16:19], s[0:1], 0x48
	v_and_b32_e32 v69, 15, v0
	v_cmp_gt_u32_e32 vcc_lo, 64, v0
	v_lshrrev_b32_e32 v68, 5, v0
	v_and_b32_e32 v70, 31, v0
	v_and_b32_e32 v66, 1, v0
	v_lshlrev_b32_e32 v1, 3, v69
	v_cmp_gt_u32_e64 s2, 8, v69
	v_bfe_u32 v67, v0, 4, 1
	s_lshl_b32 s31, s15, 2
	s_delay_alu instid0(VALU_DEP_3) | instskip(NEXT) | instid1(VALU_DEP_3)
	v_lshlrev_b32_e32 v65, 1, v1
	s_and_b32 s7, vcc_lo, s2
	s_delay_alu instid0(SALU_CYCLE_1)
	s_and_saveexec_b32 s6, s7
	s_cbranch_execz .LBB1201_10
; %bb.9:
	v_lshl_or_b32 v5, v68, 1, v67
	s_load_b64 s[8:9], s[0:1], 0x0
	s_waitcnt lgkmcnt(0)
	s_mul_hi_i32 s11, s3, s16
	s_mul_i32 s10, s3, s16
	v_lshlrev_b32_e32 v6, 10, v69
	v_or_b32_e32 v1, s31, v5
	s_lshl_b64 s[10:11], s[10:11], 1
	v_lshlrev_b32_e32 v5, 6, v5
	v_lshlrev_b32_e32 v7, 10, v66
	v_and_b32_e32 v6, 0x3800, v6
	v_lshlrev_b32_e32 v1, 6, v1
	s_delay_alu instid0(VALU_DEP_2) | instskip(NEXT) | instid1(VALU_DEP_2)
	v_or3_b32 v5, v6, v7, v5
	v_ashrrev_i32_e32 v2, 31, v1
	s_delay_alu instid0(VALU_DEP_1) | instskip(SKIP_2) | instid1(VALU_DEP_1)
	v_lshlrev_b64 v[1:2], 1, v[1:2]
	s_add_u32 s3, s8, s10
	s_addc_u32 s7, s9, s11
	v_add_co_u32 v1, vcc_lo, s3, v1
	s_delay_alu instid0(VALU_DEP_2) | instskip(NEXT) | instid1(VALU_DEP_2)
	v_add_co_ci_u32_e32 v2, vcc_lo, s7, v2, vcc_lo
	v_add_co_u32 v1, vcc_lo, v1, v65
	s_delay_alu instid0(VALU_DEP_2)
	v_add_co_ci_u32_e32 v2, vcc_lo, 0, v2, vcc_lo
	global_load_b128 v[1:4], v[1:2], off
	s_waitcnt vmcnt(0)
	ds_store_b128 v5, v[1:4]
.LBB1201_10:
	s_or_b32 exec_lo, exec_lo, s6
	v_and_b32_e32 v1, 0xef, v0
	s_waitcnt lgkmcnt(0)
	s_add_i32 s3, s24, 31
	s_clause 0x1
	s_load_b32 s6, s[0:1], 0x38
	s_load_b32 s33, s[0:1], 0x98
	s_ashr_i32 s7, s3, 31
	v_add_nc_u32_e32 v1, s12, v1
	s_lshr_b32 s7, s7, 27
	s_load_b32 s19, s[0:1], 0x1c
	s_add_i32 s3, s3, s7
	s_waitcnt lgkmcnt(0)
	v_ashrrev_i32_e32 v2, 31, v1
	v_or_b32_e32 v3, 16, v1
	s_ashr_i32 s3, s3, 5
	v_cmp_gt_i32_e32 vcc_lo, s24, v1
	s_add_i32 s3, s3, -1
	v_lshrrev_b32_e32 v2, 27, v2
	s_barrier
	buffer_gl0_inv
	s_mul_i32 s27, s15, s18
	v_add_nc_u32_e32 v4, v1, v2
	s_mul_i32 s6, s34, s6
	s_delay_alu instid0(SALU_CYCLE_1) | instskip(NEXT) | instid1(VALU_DEP_1)
	s_ashr_i32 s7, s6, 31
	v_ashrrev_i32_e32 v4, 5, v4
	v_add_nc_u32_e32 v2, v3, v2
	s_lshl_b64 s[6:7], s[6:7], 2
	s_delay_alu instid0(SALU_CYCLE_1) | instskip(NEXT) | instid1(VALU_DEP_2)
	s_add_u32 s26, s4, s6
	v_cndmask_b32_e32 v1, s3, v4, vcc_lo
	s_delay_alu instid0(VALU_DEP_2)
	v_ashrrev_i32_e32 v2, 5, v2
	v_cmp_gt_i32_e32 vcc_lo, s24, v3
	s_addc_u32 s25, s5, s7
	s_ashr_i32 s28, s27, 31
	s_add_u32 s4, s20, s27
	s_addc_u32 s5, s21, s28
	v_cndmask_b32_e32 v3, s3, v2, vcc_lo
	v_ashrrev_i32_e32 v2, 31, v1
	s_lshl_b32 s6, s14, 3
	s_delay_alu instid0(SALU_CYCLE_1) | instskip(NEXT) | instid1(VALU_DEP_2)
	s_ashr_i32 s7, s6, 31
	v_ashrrev_i32_e32 v4, 31, v3
	s_delay_alu instid0(VALU_DEP_2) | instskip(SKIP_1) | instid1(SALU_CYCLE_1)
	v_lshlrev_b64 v[1:2], 2, v[1:2]
	s_lshl_b64 s[6:7], s[6:7], 2
	s_add_u32 s6, s26, s6
	s_delay_alu instid0(VALU_DEP_2) | instskip(SKIP_1) | instid1(VALU_DEP_2)
	v_lshlrev_b64 v[3:4], 2, v[3:4]
	s_addc_u32 s7, s25, s7
	v_add_co_u32 v1, vcc_lo, s26, v1
	v_add_co_ci_u32_e32 v2, vcc_lo, s25, v2, vcc_lo
	s_delay_alu instid0(VALU_DEP_3) | instskip(NEXT) | instid1(VALU_DEP_4)
	v_add_co_u32 v3, vcc_lo, s26, v3
	v_add_co_ci_u32_e32 v4, vcc_lo, s25, v4, vcc_lo
	s_clause 0x1
	global_load_b32 v5, v[1:2], off
	global_load_b32 v6, v[3:4], off
	s_or_b32 s8, s12, 32
	s_delay_alu instid0(SALU_CYCLE_1) | instskip(SKIP_2) | instid1(SALU_CYCLE_1)
	s_ashr_i32 s9, s8, 5
	s_cmp_lt_i32 s8, s24
	s_cselect_b32 s8, s9, s3
	s_ashr_i32 s9, s8, 31
	s_delay_alu instid0(SALU_CYCLE_1) | instskip(NEXT) | instid1(SALU_CYCLE_1)
	s_lshl_b64 s[8:9], s[8:9], 2
	s_add_u32 s8, s26, s8
	s_addc_u32 s9, s25, s9
	s_or_b32 s10, s12, 64
	s_delay_alu instid0(SALU_CYCLE_1) | instskip(SKIP_2) | instid1(SALU_CYCLE_1)
	s_ashr_i32 s11, s10, 5
	s_cmp_lt_i32 s10, s24
	s_cselect_b32 s10, s11, s3
	s_ashr_i32 s11, s10, 31
	s_delay_alu instid0(SALU_CYCLE_1) | instskip(NEXT) | instid1(SALU_CYCLE_1)
	s_lshl_b64 s[10:11], s[10:11], 2
	s_add_u32 s10, s26, s10
	s_addc_u32 s11, s25, s11
	;; [unrolled: 10-line block ×5, first 2 shown]
	s_clause 0x5
	s_load_b32 s21, s[6:7], 0x0
	s_load_b32 s13, s[8:9], 0x0
	;; [unrolled: 1-line block ×6, first 2 shown]
	s_or_b32 s7, s12, 0xc0
	s_delay_alu instid0(SALU_CYCLE_1) | instskip(SKIP_2) | instid1(SALU_CYCLE_1)
	s_ashr_i32 s8, s7, 5
	s_cmp_lt_i32 s7, s24
	s_cselect_b32 s10, s8, s3
	s_ashr_i32 s11, s10, 31
	s_delay_alu instid0(SALU_CYCLE_1) | instskip(NEXT) | instid1(SALU_CYCLE_1)
	s_lshl_b64 s[36:37], s[10:11], 2
	s_add_u32 s36, s26, s36
	s_addc_u32 s37, s25, s37
	s_or_b32 s29, s12, 0xe0
	s_delay_alu instid0(SALU_CYCLE_1)
	s_ashr_i32 s30, s29, 5
	s_cmp_lt_i32 s29, s24
	s_waitcnt vmcnt(1)
	v_mad_i64_i32 v[1:2], null, v5, s17, s[4:5]
	s_waitcnt vmcnt(0)
	v_mad_i64_i32 v[3:4], null, v6, s17, s[4:5]
	s_mov_b32 s4, 0
	s_delay_alu instid0(SALU_CYCLE_1)
	s_mov_b32 s5, s4
	s_mov_b32 s6, s4
	;; [unrolled: 1-line block ×7, first 2 shown]
	s_delay_alu instid0(SALU_CYCLE_1) | instskip(SKIP_2) | instid1(VALU_DEP_3)
	v_dual_mov_b32 v102, s11 :: v_dual_lshlrev_b32 v5, 4, v69
	v_dual_mov_b32 v98, s7 :: v_dual_mov_b32 v101, s10
	v_mov_b32_e32 v100, s9
	v_add_co_u32 v1, vcc_lo, v1, v5
	v_add_co_ci_u32_e32 v2, vcc_lo, 0, v2, vcc_lo
	v_add_co_u32 v3, vcc_lo, v3, v5
	v_add_co_ci_u32_e32 v4, vcc_lo, 0, v4, vcc_lo
	s_clause 0x7
	global_load_b128 v[57:60], v[1:2], off
	global_load_b128 v[61:64], v[1:2], off offset:512
	global_load_b128 v[71:74], v[3:4], off offset:256
	global_load_b128 v[75:78], v[3:4], off offset:768
	global_load_b128 v[79:82], v[1:2], off offset:1024
	global_load_b128 v[83:86], v[1:2], off offset:1536
	global_load_b128 v[87:90], v[3:4], off offset:1280
	global_load_b128 v[91:94], v[3:4], off offset:1792
	v_dual_mov_b32 v96, s5 :: v_dual_and_b32 v1, 3, v0
	v_mov_b32_e32 v99, s8
	v_mov_b32_e32 v97, s6
	;; [unrolled: 1-line block ×3, first 2 shown]
	s_cselect_b32 s4, s30, s3
	v_lshlrev_b32_e32 v2, 5, v69
	s_ashr_i32 s5, s4, 31
	v_lshlrev_b32_e32 v121, 6, v1
	s_lshl_b64 s[4:5], s[4:5], 2
	s_load_b32 s3, s[36:37], 0x0
	s_add_u32 s4, s26, s4
	s_addc_u32 s5, s25, s5
	v_lshl_or_b32 v1, v68, 9, v2
	ds_load_b128 v[103:106], v121
	ds_load_b128 v[107:110], v121 offset:1024
	s_load_b32 s4, s[4:5], 0x0
	s_add_u32 s6, s22, s27
	s_addc_u32 s7, s23, s28
	v_add_co_u32 v17, s6, s6, v1
	s_delay_alu instid0(VALU_DEP_1) | instskip(SKIP_1) | instid1(VALU_DEP_1)
	v_add_co_ci_u32_e64 v18, null, s7, 0, s6
	s_waitcnt lgkmcnt(0)
	v_mad_i64_i32 v[1:2], null, s21, s17, v[17:18]
	v_mad_i64_i32 v[3:4], null, s13, s17, v[17:18]
	;; [unrolled: 1-line block ×7, first 2 shown]
	s_clause 0x9
	global_load_b128 v[49:52], v[1:2], off
	global_load_b128 v[53:56], v[1:2], off offset:16
	global_load_b128 v[41:44], v[3:4], off
	global_load_b128 v[45:48], v[3:4], off offset:16
	;; [unrolled: 2-line block ×5, first 2 shown]
	v_mad_i64_i32 v[119:120], null, s4, s17, v[17:18]
	s_clause 0x3
	global_load_b128 v[17:20], v[21:22], off
	global_load_b128 v[21:24], v[21:22], off offset:16
	global_load_b128 v[25:28], v[29:30], off
	global_load_b128 v[29:32], v[29:30], off offset:16
	s_waitcnt vmcnt(20)
	v_wmma_f32_16x16x16_f16 v[111:118], v[57:64], v[103:110], v[95:102]
	s_clause 0x1
	global_load_b128 v[57:60], v[119:120], off
	global_load_b128 v[61:64], v[119:120], off offset:16
	s_waitcnt vmcnt(20)
	v_wmma_f32_16x16x16_f16 v[95:102], v[71:78], v[103:110], v[95:102]
	ds_load_b128 v[71:74], v121 offset:2048
	ds_load_b128 v[75:78], v121 offset:3072
	v_mbcnt_lo_u32_b32 v104, -1, 0
	s_waitcnt vmcnt(0) lgkmcnt(0)
	s_barrier
	buffer_gl0_inv
	v_xor_b32_e32 v105, 16, v104
	s_delay_alu instid0(VALU_DEP_1) | instskip(SKIP_4) | instid1(VALU_DEP_2)
	v_cmp_gt_i32_e32 vcc_lo, 32, v105
	v_cndmask_b32_e32 v104, v104, v105, vcc_lo
	v_wmma_f32_16x16x16_f16 v[111:118], v[79:86], v[71:78], v[111:118]
	v_and_b32_e32 v103, 0xe0, v0
	v_wmma_f32_16x16x16_f16 v[95:102], v[87:94], v[71:78], v[95:102]
	v_dual_mul_f32 v78, s19, v113 :: v_dual_add_nc_u32 v103, s12, v103
	s_delay_alu instid0(VALU_DEP_2) | instskip(SKIP_1) | instid1(VALU_DEP_3)
	v_dual_mul_f32 v90, s19, v101 :: v_dual_mul_f32 v87, s19, v112
	v_dual_mul_f32 v88, s19, v111 :: v_dual_mul_f32 v77, s19, v114
	v_or_b32_e32 v103, v103, v67
	v_dual_mul_f32 v75, s19, v116 :: v_dual_mul_f32 v94, s19, v97
	v_dual_mul_f32 v76, s19, v115 :: v_dual_mul_f32 v73, s19, v118
	v_mul_f32_e32 v92, s19, v99
	s_delay_alu instid0(VALU_DEP_4)
	v_or_b32_e32 v105, 2, v103
	v_or_b32_e32 v106, 4, v103
	v_or_b32_e32 v107, 6, v103
	v_cmp_gt_i32_e64 s3, s24, v103
	v_or_b32_e32 v108, 8, v103
	v_cmp_gt_i32_e32 vcc_lo, s24, v105
	v_or_b32_e32 v109, 10, v103
	v_cmp_gt_i32_e64 s4, s24, v106
	v_cndmask_b32_e64 v88, 0xff7fffff, v88, s3
	v_cmp_gt_i32_e64 s5, s24, v107
	v_cndmask_b32_e32 v87, 0xff7fffff, v87, vcc_lo
	v_or_b32_e32 v79, 12, v103
	v_or_b32_e32 v80, 14, v103
	v_cndmask_b32_e64 v78, 0xff7fffff, v78, s4
	v_cndmask_b32_e64 v77, 0xff7fffff, v77, s5
	v_max3_f32 v87, v88, 0xff7fffff, v87
	v_cmp_gt_i32_e64 s6, s24, v108
	v_cmp_gt_i32_e64 s7, s24, v109
	v_or_b32_e32 v81, 16, v103
	v_or_b32_e32 v82, 18, v103
	v_mul_f32_e32 v74, s19, v117
	v_cndmask_b32_e64 v76, 0xff7fffff, v76, s6
	v_cndmask_b32_e64 v75, 0xff7fffff, v75, s7
	v_max3_f32 v77, v87, v78, v77
	v_cmp_gt_i32_e64 s8, s24, v79
	v_cmp_gt_i32_e64 s9, s24, v80
	v_or_b32_e32 v83, 20, v103
	v_or_b32_e32 v84, 22, v103
	;; [unrolled: 1-line block ×6, first 2 shown]
	v_mul_f32_e32 v105, s19, v96
	v_mul_f32_e32 v103, s19, v95
	v_cndmask_b32_e64 v74, 0xff7fffff, v74, s8
	v_cndmask_b32_e64 v73, 0xff7fffff, v73, s9
	v_max3_f32 v75, v77, v76, v75
	v_cmp_gt_i32_e64 s10, s24, v81
	v_cmp_gt_i32_e64 s11, s24, v82
	v_mul_f32_e32 v93, s19, v98
	v_cmp_gt_i32_e64 s12, s24, v83
	v_max3_f32 v73, v75, v74, v73
	v_cndmask_b32_e64 v76, 0xff7fffff, v103, s10
	v_cndmask_b32_e64 v77, 0xff7fffff, v105, s11
	v_cmp_gt_i32_e64 s13, s24, v84
	v_mul_f32_e32 v91, s19, v100
	v_cndmask_b32_e64 v74, 0xff7fffff, v94, s12
	v_cmp_gt_i32_e64 s15, s24, v85
	v_max3_f32 v73, v73, v76, v77
	v_cndmask_b32_e64 v75, 0xff7fffff, v93, s13
	v_cmp_gt_i32_e64 s16, s24, v86
	v_mul_f32_e32 v89, s19, v102
	v_cndmask_b32_e64 v76, 0xff7fffff, v92, s15
	v_cmp_gt_i32_e64 s17, s24, v71
	v_max3_f32 v73, v73, v74, v75
	v_cndmask_b32_e64 v77, 0xff7fffff, v91, s16
	v_cmp_gt_i32_e64 s18, s24, v72
	v_lshlrev_b32_e32 v74, 2, v104
	v_cndmask_b32_e64 v71, 0xff7fffff, v90, s17
	s_delay_alu instid0(VALU_DEP_4) | instskip(NEXT) | instid1(VALU_DEP_4)
	v_max3_f32 v73, v73, v76, v77
	v_cndmask_b32_e64 v72, 0xff7fffff, v89, s18
	s_delay_alu instid0(VALU_DEP_1) | instskip(SKIP_3) | instid1(VALU_DEP_1)
	v_max3_f32 v71, v73, v71, v72
	ds_bpermute_b32 v72, v74, v71
	s_waitcnt lgkmcnt(0)
	v_max_f32_e32 v72, v72, v72
	v_max_f32_e32 v71, v71, v72
	s_delay_alu instid0(VALU_DEP_1)
	v_fma_f32 v72, s19, v111, -v71
	v_fma_f32 v76, s19, v114, -v71
	;; [unrolled: 1-line block ×5, first 2 shown]
	v_mul_f32_e32 v72, 0x3fb8aa3b, v72
	v_mul_f32_e32 v76, 0x3fb8aa3b, v76
	v_fma_f32 v75, s19, v113, -v71
	v_mul_f32_e32 v79, 0x3fb8aa3b, v77
	v_mul_f32_e32 v85, 0x3fb8aa3b, v84
	v_exp_f32_e32 v72, v72
	v_exp_f32_e32 v76, v76
	v_fma_f32 v86, s19, v98, -v71
	v_exp_f32_e32 v82, v79
	v_exp_f32_e32 v85, v85
	v_fma_f32 v81, s19, v117, -v71
	s_delay_alu instid0(VALU_DEP_2) | instskip(SKIP_3) | instid1(TRANS32_DEP_3)
	v_mul_f32_e32 v87, 0x3fb8aa3b, v86
	v_cndmask_b32_e64 v78, 0, v72, s3
	v_fma_f32 v72, s19, v116, -v71
	v_mul_f32_e32 v73, 0x3fb8aa3b, v73
	v_cndmask_b32_e64 v79, 0, v76, s5
	v_fma_f32 v76, s19, v95, -v71
	s_delay_alu instid0(VALU_DEP_4) | instskip(NEXT) | instid1(VALU_DEP_4)
	v_dual_mul_f32 v75, 0x3fb8aa3b, v75 :: v_dual_mul_f32 v72, 0x3fb8aa3b, v72
	v_exp_f32_e32 v73, v73
	v_exp_f32_e32 v87, v87
	s_delay_alu instid0(VALU_DEP_2) | instskip(NEXT) | instid1(VALU_DEP_2)
	v_mul_f32_e32 v76, 0x3fb8aa3b, v76
	v_exp_f32_e32 v75, v75
	v_cndmask_b32_e64 v85, 0, v85, s11
	v_mul_f32_e32 v81, 0x3fb8aa3b, v81
	v_exp_f32_e32 v72, v72
	v_cndmask_b32_e64 v82, 0, v82, s6
	v_exp_f32_e32 v76, v76
	s_mov_b32 s3, exec_lo
	v_cndmask_b32_e32 v77, 0, v73, vcc_lo
	v_add_f32_e32 v73, 0, v78
	v_cndmask_b32_e64 v87, 0, v87, s13
	v_cndmask_b32_e64 v80, 0, v75, s4
	v_fma_f32 v75, s19, v118, -v71
	v_exp_f32_e32 v83, v81
	v_add_f32_e32 v73, v73, v77
	v_cndmask_b32_e64 v81, 0, v72, s7
	v_cndmask_b32_e64 v86, 0, v76, s10
	v_mul_f32_e32 v75, 0x3fb8aa3b, v75
	s_delay_alu instid0(VALU_DEP_4) | instskip(NEXT) | instid1(VALU_DEP_2)
	v_add_f32_e32 v73, v73, v80
	v_exp_f32_e32 v75, v75
	s_delay_alu instid0(TRANS32_DEP_2) | instskip(NEXT) | instid1(VALU_DEP_2)
	v_cndmask_b32_e64 v84, 0, v83, s8
	v_add_f32_e32 v73, v73, v79
	s_delay_alu instid0(VALU_DEP_1) | instskip(SKIP_3) | instid1(VALU_DEP_1)
	v_add_f32_e32 v72, v73, v82
	s_waitcnt_depctr 0xfff
	v_cndmask_b32_e64 v83, 0, v75, s9
	v_add_f32_e32 v72, v72, v81
	v_add_f32_e32 v72, v72, v84
	s_delay_alu instid0(VALU_DEP_1) | instskip(NEXT) | instid1(VALU_DEP_1)
	v_add_f32_e32 v72, v72, v83
	v_add_f32_e32 v72, v72, v86
	v_fma_f32 v73, s19, v97, -v71
	v_fma_f32 v75, s19, v99, -v71
	;; [unrolled: 1-line block ×4, first 2 shown]
	v_add_f32_e32 v72, v72, v85
	v_mul_f32_e32 v73, 0x3fb8aa3b, v73
	s_delay_alu instid0(VALU_DEP_4) | instskip(NEXT) | instid1(VALU_DEP_2)
	v_dual_mul_f32 v75, 0x3fb8aa3b, v75 :: v_dual_mul_f32 v76, 0x3fb8aa3b, v76
	v_exp_f32_e32 v73, v73
	s_delay_alu instid0(VALU_DEP_1) | instskip(NEXT) | instid1(VALU_DEP_1)
	v_exp_f32_e32 v75, v75
	v_exp_f32_e32 v76, v76
	s_delay_alu instid0(TRANS32_DEP_3)
	v_cndmask_b32_e64 v88, 0, v73, s12
	v_mul_f32_e32 v73, 0x3fb8aa3b, v89
	v_fma_f32 v89, s19, v102, -v71
	s_waitcnt_depctr 0xfff
	v_cndmask_b32_e64 v90, 0, v75, s15
	v_add_f32_e32 v72, v72, v88
	v_exp_f32_e32 v73, v73
	v_mul_f32_e32 v75, 0x3fb8aa3b, v89
	v_cndmask_b32_e64 v89, 0, v76, s16
	s_delay_alu instid0(VALU_DEP_3) | instskip(NEXT) | instid1(VALU_DEP_3)
	v_add_f32_e32 v72, v72, v87
	v_exp_f32_e32 v75, v75
	s_delay_alu instid0(VALU_DEP_1) | instskip(SKIP_4) | instid1(VALU_DEP_2)
	v_add_f32_e32 v72, v72, v90
	s_waitcnt_depctr 0xfff
	v_cndmask_b32_e64 v92, 0, v73, s17
	v_add_f32_e32 v72, v72, v89
	v_cndmask_b32_e64 v91, 0, v75, s18
	v_add_f32_e32 v72, v72, v92
	s_delay_alu instid0(VALU_DEP_1)
	v_add_f32_e32 v72, v72, v91
	ds_bpermute_b32 v73, v74, v72
	v_cmpx_gt_u32_e32 16, v70
	s_cbranch_execz .LBB1201_12
; %bb.11:
	v_mul_u32_u24_e32 v70, 0x44, v68
	s_waitcnt lgkmcnt(0)
	v_add_f32_e32 v72, v72, v73
	s_delay_alu instid0(VALU_DEP_2) | instskip(NEXT) | instid1(VALU_DEP_1)
	v_lshl_add_u32 v70, v69, 2, v70
	v_add_nc_u32_e32 v70, 0x4000, v70
	ds_store_2addr_b32 v70, v71, v72 offset1:136
.LBB1201_12:
	s_or_b32 exec_lo, exec_lo, s3
	v_lshlrev_b32_e32 v70, 2, v69
	s_load_b32 s35, s[0:1], 0x94
	s_waitcnt lgkmcnt(0)
	s_barrier
	buffer_gl0_inv
	v_add_nc_u32_e32 v74, 0x4000, v70
	v_cmp_eq_u32_e32 vcc_lo, 1, v68
	v_cmp_eq_u32_e64 s3, 2, v68
	v_cmp_eq_u32_e64 s4, 3, v68
	;; [unrolled: 1-line block ×3, first 2 shown]
	ds_load_2addr_b32 v[70:71], v74 offset1:17
	ds_load_2addr_b32 v[72:73], v74 offset0:34 offset1:51
	ds_load_2addr_b32 v[93:94], v74 offset0:68 offset1:85
	;; [unrolled: 1-line block ×3, first 2 shown]
	v_cmp_eq_u32_e64 s6, 5, v68
	v_cmp_eq_u32_e64 s7, 7, v68
	s_waitcnt lgkmcnt(3)
	v_max3_f32 v75, v70, 0xff7fffff, v71
	s_waitcnt lgkmcnt(2)
	s_delay_alu instid0(VALU_DEP_1) | instskip(SKIP_1) | instid1(VALU_DEP_1)
	v_max3_f32 v75, v75, v72, v73
	s_waitcnt lgkmcnt(1)
	v_max3_f32 v75, v75, v93, v94
	s_waitcnt lgkmcnt(0)
	s_delay_alu instid0(VALU_DEP_1) | instskip(NEXT) | instid1(VALU_DEP_1)
	v_max3_f32 v75, v75, v95, v96
	v_sub_f32_e32 v93, v93, v75
	ds_load_2addr_b32 v[97:98], v74 offset0:136 offset1:153
	v_sub_f32_e32 v70, v70, v75
	v_dual_sub_f32 v100, v73, v75 :: v_dual_mul_f32 v103, 0x3fb8aa3b, v93
	s_delay_alu instid0(VALU_DEP_2) | instskip(SKIP_3) | instid1(VALU_DEP_1)
	v_dual_sub_f32 v76, v71, v75 :: v_dual_mul_f32 v99, 0x3fb8aa3b, v70
	ds_load_2addr_b32 v[70:71], v74 offset0:170 offset1:187
	v_mul_f32_e32 v76, 0x3fb8aa3b, v76
	v_exp_f32_e32 v99, v99
	v_exp_f32_e32 v102, v76
	v_mul_f32_e32 v100, 0x3fb8aa3b, v100
	s_waitcnt lgkmcnt(1)
	s_waitcnt_depctr 0xfff
	v_fma_f32 v76, v99, v97, 0
	v_sub_f32_e32 v97, v94, v75
	v_sub_f32_e32 v72, v72, v75
	v_exp_f32_e32 v100, v100
	ds_load_2addr_b32 v[93:94], v74 offset0:238 offset1:255
	v_dual_fmac_f32 v76, v102, v98 :: v_dual_mul_f32 v101, 0x3fb8aa3b, v72
	ds_load_2addr_b32 v[72:73], v74 offset0:204 offset1:221
	v_dual_sub_f32 v74, v95, v75 :: v_dual_mul_f32 v95, 0x3fb8aa3b, v97
	v_exp_f32_e32 v97, v103
	v_exp_f32_e32 v101, v101
	s_waitcnt lgkmcnt(0)
	s_delay_alu instid0(VALU_DEP_1)
	v_mul_f32_e32 v74, 0x3fb8aa3b, v74
	v_exp_f32_e32 v95, v95
	s_barrier
	buffer_gl0_inv
	v_fmac_f32_e32 v76, v101, v70
	v_sub_f32_e32 v70, v96, v75
	v_exp_f32_e32 v96, v74
	s_delay_alu instid0(VALU_DEP_2) | instskip(NEXT) | instid1(VALU_DEP_2)
	v_fmac_f32_e32 v76, v100, v71
	v_mul_f32_e32 v70, 0x3fb8aa3b, v70
	s_delay_alu instid0(VALU_DEP_2) | instskip(NEXT) | instid1(VALU_DEP_2)
	v_dual_cndmask_b32 v71, v99, v102 :: v_dual_fmac_f32 v76, v97, v72
	v_exp_f32_e32 v98, v70
	v_lshlrev_b32_e32 v72, 6, v69
	s_delay_alu instid0(VALU_DEP_2) | instskip(NEXT) | instid1(VALU_DEP_2)
	v_dual_fmac_f32 v76, v95, v73 :: v_dual_lshlrev_b32 v69, 2, v67
	v_lshl_or_b32 v74, v68, 11, v72
	s_delay_alu instid0(VALU_DEP_2)
	v_cmp_eq_u32_e64 s8, 7, v69
	s_delay_alu instid0(TRANS32_DEP_2) | instid1(VALU_DEP_3)
	v_fmac_f32_e32 v76, v96, v93
	s_waitcnt_depctr 0xfff
	v_fmac_f32_e32 v76, v98, v94
	s_delay_alu instid0(VALU_DEP_1) | instskip(NEXT) | instid1(VALU_DEP_1)
	v_add_f32_e32 v73, 0x358637bd, v76
	v_div_scale_f32 v93, null, v73, v73, 1.0
	v_div_scale_f32 v99, vcc_lo, 1.0, v73, 1.0
	s_delay_alu instid0(VALU_DEP_2) | instskip(SKIP_2) | instid1(VALU_DEP_1)
	v_rcp_f32_e32 v94, v93
	s_waitcnt_depctr 0xfff
	v_fma_f32 v70, -v93, v94, 1.0
	v_fmac_f32_e32 v94, v70, v94
	v_cndmask_b32_e64 v70, v71, v101, s3
	v_cmp_eq_u32_e64 s3, 6, v68
	v_or_b32_e32 v71, 1, v69
	v_or_b32_e32 v68, 2, v69
	v_mul_f32_e32 v101, v99, v94
	v_cndmask_b32_e64 v70, v70, v100, s4
	v_cmp_eq_u32_e64 s4, 1, v69
	v_cmp_eq_u32_e64 s9, 1, v71
	;; [unrolled: 1-line block ×3, first 2 shown]
	v_fma_f32 v100, -v93, v101, v99
	v_cndmask_b32_e64 v70, v70, v97, s5
	v_cmp_eq_u32_e64 s5, 2, v69
	v_cmp_eq_u32_e64 s12, 2, v71
	;; [unrolled: 1-line block ×3, first 2 shown]
	v_fmac_f32_e32 v101, v100, v94
	v_cndmask_b32_e64 v95, v70, v95, s6
	v_or_b32_e32 v70, 3, v69
	v_cmp_eq_u32_e64 s13, 3, v71
	v_cmp_eq_u32_e64 s17, 3, v68
	v_fma_f32 v93, -v93, v101, v99
	v_cndmask_b32_e64 v95, v95, v96, s3
	v_cmp_eq_u32_e64 s11, 1, v70
	v_cmp_eq_u32_e64 s16, 2, v70
	;; [unrolled: 1-line block ×3, first 2 shown]
	v_div_fmas_f32 v93, v93, v94, v101
	v_cndmask_b32_e64 v94, v95, v98, s7
	v_cmp_eq_u32_e32 vcc_lo, 3, v69
	v_cmp_eq_u32_e64 s3, 4, v69
	v_cmp_eq_u32_e64 s19, 4, v71
	v_div_fixup_f32 v93, v93, v73, 1.0
	v_lshl_or_b32 v73, v67, 4, v74
	v_cmp_eq_u32_e64 s22, 4, v70
	v_cmp_eq_u32_e64 s6, 5, v69
	;; [unrolled: 1-line block ×3, first 2 shown]
	v_mul_f32_e32 v101, v94, v93
	v_cmp_eq_u32_e64 s21, 4, v68
	v_cmp_eq_u32_e64 s24, 5, v70
	;; [unrolled: 1-line block ×4, first 2 shown]
	v_fma_mixlo_f16 v93, v101, v78, 0
	v_fma_mixlo_f16 v94, v101, v80, 0
	;; [unrolled: 1-line block ×8, first 2 shown]
	v_fma_mixhi_f16 v93, v101, v77, 0
	v_fma_mixhi_f16 v94, v101, v79, 0
	;; [unrolled: 1-line block ×8, first 2 shown]
	ds_store_b128 v73, v[93:96]
	ds_store_b128 v73, v[97:100] offset:1024
	s_waitcnt lgkmcnt(0)
	s_barrier
	buffer_gl0_inv
	ds_load_b128 v[77:80], v74
	ds_load_b128 v[81:84], v74 offset:16
	ds_load_b128 v[85:88], v74 offset:1024
	;; [unrolled: 1-line block ×3, first 2 shown]
	v_cmp_eq_u32_e64 s27, 6, v70
	v_cmp_eq_u32_e64 s7, 6, v69
	;; [unrolled: 1-line block ×6, first 2 shown]
	s_waitcnt lgkmcnt(3)
	v_lshrrev_b32_e32 v93, 16, v77
	s_waitcnt lgkmcnt(2)
	v_lshrrev_b32_e32 v97, 16, v81
	s_waitcnt lgkmcnt(1)
	v_lshrrev_b32_e32 v101, 16, v85
	s_waitcnt lgkmcnt(0)
	v_lshrrev_b32_e32 v105, 16, v89
	v_lshrrev_b32_e32 v94, 16, v78
	v_cndmask_b32_e64 v109, v77, v93, s4
	v_cndmask_b32_e64 v110, v81, v97, s4
	;; [unrolled: 1-line block ×8, first 2 shown]
	v_lshrrev_b32_e32 v98, 16, v82
	v_cndmask_b32_e64 v93, v85, v101, s4
	v_cndmask_b32_e64 v97, v89, v105, s4
	;; [unrolled: 1-line block ×15, first 2 shown]
	v_lshrrev_b32_e32 v102, 16, v86
	v_lshrrev_b32_e32 v106, 16, v90
	v_cndmask_b32_e64 v112, v114, v82, s15
	v_cndmask_b32_e64 v81, v93, v86, s5
	v_cndmask_b32_e64 v82, v97, v90, s5
	v_cndmask_b32_e64 v93, v115, v86, s12
	v_cndmask_b32_e64 v97, v117, v86, s15
	v_cndmask_b32_e64 v85, v85, v86, s16
	v_cndmask_b32_e64 v86, v89, v90, s16
	v_cndmask_b32_e32 v89, v101, v94, vcc_lo
	v_cndmask_b32_e32 v101, v105, v98, vcc_lo
	v_cndmask_b32_e64 v105, v109, v94, s13
	v_cndmask_b32_e64 v109, v110, v98, s13
	;; [unrolled: 1-line block ×4, first 2 shown]
	v_lshrrev_b32_e32 v95, 16, v79
	v_lshrrev_b32_e32 v99, 16, v83
	v_cndmask_b32_e64 v110, v111, v94, s17
	v_cndmask_b32_e64 v111, v112, v98, s17
	v_cndmask_b32_e32 v81, v81, v102, vcc_lo
	v_cndmask_b32_e32 v82, v82, v106, vcc_lo
	v_cndmask_b32_e64 v93, v93, v102, s13
	v_cndmask_b32_e64 v89, v89, v79, s3
	;; [unrolled: 1-line block ×7, first 2 shown]
	v_lshrrev_b32_e32 v103, 16, v87
	v_cndmask_b32_e64 v105, v110, v79, s21
	v_cndmask_b32_e64 v109, v111, v83, s21
	;; [unrolled: 1-line block ×11, first 2 shown]
	v_lshrrev_b32_e32 v96, 16, v80
	v_lshrrev_b32_e32 v100, 16, v84
	v_cndmask_b32_e64 v98, v105, v95, s23
	v_cndmask_b32_e64 v101, v109, v99, s23
	;; [unrolled: 1-line block ×7, first 2 shown]
	v_lshrrev_b32_e32 v104, 16, v88
	v_cndmask_b32_e64 v79, v79, v103, s6
	v_cndmask_b32_e64 v83, v83, v80, s7
	;; [unrolled: 1-line block ×16, first 2 shown]
	v_perm_b32 v80, v78, v77, 0x5040100
	v_perm_b32 v78, v94, v84, 0x5040100
	v_cndmask_b32_e64 v77, v118, v90, s15
	v_cndmask_b32_e64 v84, v116, v90, s12
	;; [unrolled: 1-line block ×3, first 2 shown]
	v_perm_b32 v79, v93, v89, 0x5040100
	v_cndmask_b32_e64 v89, v97, v102, s17
	v_cndmask_b32_e64 v85, v85, v102, s18
	;; [unrolled: 1-line block ×5, first 2 shown]
	v_lshrrev_b32_e32 v107, 16, v91
	v_cndmask_b32_e64 v89, v89, v87, s21
	v_cndmask_b32_e64 v85, v85, v87, s22
	;; [unrolled: 1-line block ×11, first 2 shown]
	v_lshrrev_b32_e32 v108, 16, v92
	v_cndmask_b32_e64 v81, v81, v92, s7
	v_cndmask_b32_e64 v87, v87, v88, s26
	;; [unrolled: 1-line block ×12, first 2 shown]
	v_perm_b32 v77, v83, v82, 0x5040100
	v_perm_b32 v84, v86, v85, 0x5040100
	;; [unrolled: 1-line block ×5, first 2 shown]
	s_lshl_b32 s8, s33, 2
	s_mov_b32 s3, exec_lo
	ds_store_b128 v73, v[77:80]
	ds_store_b128 v73, v[81:84] offset:1024
	v_cmpx_gt_u32_e32 4, v0
	s_cbranch_execz .LBB1201_14
; %bb.13:
	v_or_b32_e32 v77, s31, v0
	s_load_b128 s[4:7], s[0:1], 0x58
	s_delay_alu instid0(VALU_DEP_1) | instskip(NEXT) | instid1(VALU_DEP_1)
	v_mad_u64_u32 v[78:79], null, s8, s34, v[77:78]
	v_mad_u64_u32 v[79:80], null, v78, s35, s[14:15]
	s_delay_alu instid0(VALU_DEP_1) | instskip(NEXT) | instid1(VALU_DEP_1)
	v_ashrrev_i32_e32 v80, 31, v79
	v_lshlrev_b64 v[77:78], 2, v[79:80]
	s_waitcnt lgkmcnt(0)
	s_delay_alu instid0(VALU_DEP_1) | instskip(NEXT) | instid1(VALU_DEP_2)
	v_add_co_u32 v79, vcc_lo, s6, v77
	v_add_co_ci_u32_e32 v80, vcc_lo, s7, v78, vcc_lo
	v_add_co_u32 v77, vcc_lo, s4, v77
	v_add_co_ci_u32_e32 v78, vcc_lo, s5, v78, vcc_lo
	global_store_b32 v[79:80], v75, off
	global_store_b32 v[77:78], v76, off
.LBB1201_14:
	s_or_b32 exec_lo, exec_lo, s3
	s_waitcnt lgkmcnt(0)
	s_waitcnt_vscnt null, 0x0
	s_barrier
	buffer_gl0_inv
	ds_load_b128 v[83:86], v72
	ds_load_b128 v[87:90], v72 offset:16
	ds_load_b128 v[95:98], v72 offset:2064
	;; [unrolled: 1-line block ×5, first 2 shown]
	v_cmp_eq_u32_e32 vcc_lo, 1, v69
	v_mov_b32_e32 v75, 0
	ds_load_b128 v[111:114], v72 offset:6160
	ds_load_b128 v[107:110], v72 offset:6144
	;; [unrolled: 1-line block ×4, first 2 shown]
	v_cmp_eq_u32_e64 s4, 1, v68
	v_cmp_eq_u32_e64 s3, 1, v71
	;; [unrolled: 1-line block ×3, first 2 shown]
	v_mov_b32_e32 v76, v75
	v_mov_b32_e32 v77, v75
	;; [unrolled: 1-line block ×7, first 2 shown]
	v_cmp_eq_u32_e64 s6, 3, v71
	v_cmp_eq_u32_e64 s7, 7, v71
	s_waitcnt lgkmcnt(8)
	s_delay_alu instid0(VALU_DEP_3)
	v_wmma_f32_16x16x16_f16 v[75:82], v[49:56], v[83:90], v[75:82]
	ds_load_b128 v[53:56], v72 offset:10256
	ds_load_b128 v[49:52], v72 offset:10240
	s_waitcnt lgkmcnt(8)
	v_wmma_f32_16x16x16_f16 v[75:82], v[41:48], v[91:98], v[75:82]
	ds_load_b128 v[45:48], v72 offset:12304
	ds_load_b128 v[41:44], v72 offset:12288
	s_waitcnt lgkmcnt(8)
	;; [unrolled: 4-line block ×3, first 2 shown]
	s_barrier
	buffer_gl0_inv
	v_wmma_f32_16x16x16_f16 v[75:82], v[1:8], v[107:114], v[75:82]
	s_delay_alu instid0(VALU_DEP_1) | instskip(NEXT) | instid1(VALU_DEP_1)
	v_wmma_f32_16x16x16_f16 v[75:82], v[9:16], v[115:122], v[75:82]
	v_wmma_f32_16x16x16_f16 v[75:82], v[17:24], v[49:56], v[75:82]
	s_delay_alu instid0(VALU_DEP_1) | instskip(NEXT) | instid1(VALU_DEP_1)
	v_wmma_f32_16x16x16_f16 v[75:82], v[25:32], v[41:48], v[75:82]
	v_wmma_f32_16x16x16_f16 v[75:82], v[57:64], v[33:40], v[75:82]
	s_delay_alu instid0(VALU_DEP_1) | instskip(NEXT) | instid1(VALU_DEP_2)
	v_cvt_f16_f32_e32 v1, v75
	v_cvt_f16_f32_e32 v2, v76
	s_delay_alu instid0(VALU_DEP_3) | instskip(NEXT) | instid1(VALU_DEP_4)
	v_cvt_f16_f32_e32 v3, v77
	v_cvt_f16_f32_e32 v4, v78
	;; [unrolled: 1-line block ×6, first 2 shown]
	v_pack_b32_f16 v1, v1, v2
	v_pack_b32_f16 v2, v3, v4
	;; [unrolled: 1-line block ×3, first 2 shown]
	s_delay_alu instid0(VALU_DEP_4)
	v_pack_b32_f16 v4, v7, v8
	ds_store_b128 v73, v[1:4]
	s_waitcnt lgkmcnt(0)
	s_barrier
	buffer_gl0_inv
	ds_load_b128 v[1:4], v74
	ds_load_b128 v[5:8], v74 offset:16
	s_waitcnt lgkmcnt(1)
	v_lshrrev_b32_e32 v9, 16, v1
	s_waitcnt lgkmcnt(0)
	v_lshrrev_b32_e32 v13, 16, v5
	v_lshrrev_b32_e32 v10, 16, v2
	;; [unrolled: 1-line block ×4, first 2 shown]
	v_cndmask_b32_e32 v17, v1, v9, vcc_lo
	v_cndmask_b32_e32 v18, v5, v13, vcc_lo
	v_cndmask_b32_e64 v21, v1, v9, s4
	v_cmp_eq_u32_e32 vcc_lo, 1, v70
	v_cndmask_b32_e64 v22, v5, v13, s4
	v_cmp_eq_u32_e64 s4, 2, v69
	v_cndmask_b32_e64 v19, v1, v9, s3
	v_cndmask_b32_e64 v20, v5, v13, s3
	v_cndmask_b32_e32 v1, v1, v9, vcc_lo
	v_cmp_eq_u32_e64 s3, 2, v70
	v_cndmask_b32_e32 v5, v5, v13, vcc_lo
	v_cndmask_b32_e64 v9, v17, v2, s4
	v_cmp_eq_u32_e32 vcc_lo, 3, v69
	v_cndmask_b32_e64 v13, v18, v6, s4
	v_cmp_eq_u32_e64 s4, 2, v68
	v_cndmask_b32_e64 v17, v19, v2, s5
	v_cndmask_b32_e64 v18, v20, v6, s5
	v_cmp_eq_u32_e64 s5, 3, v68
	v_cndmask_b32_e64 v1, v1, v2, s3
	v_cndmask_b32_e64 v19, v21, v2, s4
	;; [unrolled: 1-line block ×4, first 2 shown]
	v_cndmask_b32_e32 v5, v9, v10, vcc_lo
	v_cndmask_b32_e32 v6, v13, v14, vcc_lo
	v_cmp_eq_u32_e32 vcc_lo, 3, v70
	v_cndmask_b32_e64 v9, v17, v10, s6
	v_cndmask_b32_e64 v13, v18, v14, s6
	;; [unrolled: 1-line block ×3, first 2 shown]
	v_cmp_eq_u32_e64 s4, 4, v69
	v_cndmask_b32_e32 v1, v1, v10, vcc_lo
	v_cndmask_b32_e32 v2, v2, v14, vcc_lo
	v_cmp_eq_u32_e32 vcc_lo, 4, v71
	v_lshrrev_b32_e32 v15, 16, v7
	v_lshrrev_b32_e32 v16, 16, v8
	v_cndmask_b32_e64 v17, v19, v10, s5
	v_cmp_eq_u32_e64 s3, 4, v70
	v_cndmask_b32_e64 v5, v5, v3, s4
	v_cndmask_b32_e64 v6, v6, v7, s4
	v_cndmask_b32_e32 v9, v9, v3, vcc_lo
	v_cmp_eq_u32_e64 s4, 5, v71
	v_cndmask_b32_e32 v10, v13, v7, vcc_lo
	v_cmp_eq_u32_e32 vcc_lo, 4, v68
	v_cmp_eq_u32_e64 s5, 5, v69
	v_cndmask_b32_e64 v2, v2, v7, s3
	v_cndmask_b32_e64 v9, v9, v11, s4
	;; [unrolled: 1-line block ×3, first 2 shown]
	v_cndmask_b32_e32 v13, v17, v3, vcc_lo
	v_cmp_eq_u32_e64 s4, 5, v68
	v_cndmask_b32_e32 v14, v18, v7, vcc_lo
	v_cndmask_b32_e64 v1, v1, v3, s3
	v_cmp_eq_u32_e32 vcc_lo, 5, v70
	v_lshrrev_b32_e32 v12, 16, v4
	v_cndmask_b32_e64 v13, v13, v11, s4
	v_cndmask_b32_e64 v3, v14, v15, s4
	v_cmp_eq_u32_e64 s4, 6, v70
	v_cndmask_b32_e32 v1, v1, v11, vcc_lo
	v_cndmask_b32_e64 v5, v5, v11, s5
	v_cmp_eq_u32_e64 s6, 6, v69
	v_cndmask_b32_e64 v6, v6, v15, s5
	v_cmp_eq_u32_e64 s5, 6, v71
	v_cmp_eq_u32_e64 s3, 6, v68
	v_cndmask_b32_e64 v1, v1, v4, s4
	v_cndmask_b32_e32 v2, v2, v15, vcc_lo
	v_cmp_eq_u32_e32 vcc_lo, 7, v70
	v_cndmask_b32_e64 v5, v5, v4, s6
	v_cndmask_b32_e64 v9, v9, v4, s5
	;; [unrolled: 1-line block ×3, first 2 shown]
	v_cmp_eq_u32_e64 s6, 7, v69
	v_cndmask_b32_e32 v1, v1, v12, vcc_lo
	v_cndmask_b32_e64 v7, v13, v4, s3
	v_cndmask_b32_e64 v3, v3, v8, s3
	;; [unrolled: 1-line block ×3, first 2 shown]
	v_cmp_eq_u32_e64 s3, 7, v68
	v_cndmask_b32_e64 v4, v10, v8, s5
	v_cndmask_b32_e64 v5, v5, v12, s6
	;; [unrolled: 1-line block ×3, first 2 shown]
	v_cndmask_b32_e32 v2, v2, v16, vcc_lo
	v_cndmask_b32_e64 v7, v7, v12, s3
	v_cndmask_b32_e64 v3, v3, v16, s3
	;; [unrolled: 1-line block ×4, first 2 shown]
	v_cmp_gt_u32_e32 vcc_lo, 32, v0
	v_perm_b32 v4, v2, v1, 0x5040100
	v_perm_b32 v3, v3, v7, 0x5040100
	;; [unrolled: 1-line block ×4, first 2 shown]
	s_and_b32 s2, vcc_lo, s2
	ds_store_b128 v73, v[1:4]
	s_waitcnt lgkmcnt(0)
	s_barrier
	buffer_gl0_inv
	s_and_saveexec_b32 s3, s2
	s_cbranch_execz .LBB1201_2
; %bb.15:
	s_load_b64 s[0:1], s[0:1], 0x68
	v_lshlrev_b32_e32 v0, 10, v0
	v_or_b32_e32 v1, s31, v67
	s_lshl_b32 s4, s35, 6
	v_lshlrev_b32_e32 v2, 4, v66
	s_mul_i32 s2, s4, s34
	v_lshlrev_b32_e32 v3, 6, v67
	v_mul_lo_u32 v8, v1, s4
	v_and_b32_e32 v0, 0x3800, v0
	v_or_b32_e32 v1, 2, v1
	s_mul_i32 s2, s2, s8
	s_delay_alu instid0(SALU_CYCLE_1) | instskip(NEXT) | instid1(VALU_DEP_2)
	s_ashr_i32 s3, s2, 31
	v_or3_b32 v4, v0, v2, v3
	s_lshl_b64 s[2:3], s[2:3], 1
	v_mul_lo_u32 v10, v1, s4
	v_ashrrev_i32_e32 v9, 31, v8
	ds_load_b128 v[0:3], v4
	ds_load_b128 v[4:7], v4 offset:128
	s_waitcnt lgkmcnt(0)
	s_add_u32 s2, s0, s2
	s_addc_u32 s3, s1, s3
	s_lshl_b32 s0, s14, 6
	v_ashrrev_i32_e32 v11, 31, v10
	s_ashr_i32 s1, s0, 31
	v_lshlrev_b64 v[8:9], 1, v[8:9]
	s_lshl_b64 s[0:1], s[0:1], 1
	s_delay_alu instid0(SALU_CYCLE_1) | instskip(SKIP_2) | instid1(VALU_DEP_1)
	s_add_u32 s0, s2, s0
	s_addc_u32 s1, s3, s1
	v_add_co_u32 v12, s0, s0, v65
	v_add_co_ci_u32_e64 v13, null, s1, 0, s0
	v_lshlrev_b64 v[10:11], 1, v[10:11]
	s_delay_alu instid0(VALU_DEP_3) | instskip(NEXT) | instid1(VALU_DEP_3)
	v_add_co_u32 v8, vcc_lo, v12, v8
	v_add_co_ci_u32_e32 v9, vcc_lo, v13, v9, vcc_lo
	s_delay_alu instid0(VALU_DEP_3) | instskip(NEXT) | instid1(VALU_DEP_4)
	v_add_co_u32 v10, vcc_lo, v12, v10
	v_add_co_ci_u32_e32 v11, vcc_lo, v13, v11, vcc_lo
	s_clause 0x1
	global_store_b128 v[8:9], v[0:3], off
	global_store_b128 v[10:11], v[4:7], off
	s_nop 0
	s_sendmsg sendmsg(MSG_DEALLOC_VGPRS)
	s_endpgm
	.section	.rodata,"a",@progbits
	.p2align	6, 0x0
	.amdhsa_kernel _Z39paged_attention_ll4mi_QKV_mfma16_kernelIDF16_hLN4vllm18Fp8KVCacheDataTypeE1EDF16_Li32ELi64ELi256ELb1ELi4EL8MFMAType0EEvPKT_PKT0_S8_ifPKiSA_SA_iPKfiiiPfSD_PS3_PT2_iSC_SC_
		.amdhsa_group_segment_fixed_size 17472
		.amdhsa_private_segment_fixed_size 0
		.amdhsa_kernarg_size 400
		.amdhsa_user_sgpr_count 13
		.amdhsa_user_sgpr_dispatch_ptr 0
		.amdhsa_user_sgpr_queue_ptr 0
		.amdhsa_user_sgpr_kernarg_segment_ptr 1
		.amdhsa_user_sgpr_dispatch_id 0
		.amdhsa_user_sgpr_private_segment_size 0
		.amdhsa_wavefront_size32 1
		.amdhsa_uses_dynamic_stack 0
		.amdhsa_enable_private_segment 0
		.amdhsa_system_sgpr_workgroup_id_x 1
		.amdhsa_system_sgpr_workgroup_id_y 1
		.amdhsa_system_sgpr_workgroup_id_z 1
		.amdhsa_system_sgpr_workgroup_info 0
		.amdhsa_system_vgpr_workitem_id 0
		.amdhsa_next_free_vgpr 123
		.amdhsa_next_free_sgpr 42
		.amdhsa_reserve_vcc 1
		.amdhsa_float_round_mode_32 0
		.amdhsa_float_round_mode_16_64 0
		.amdhsa_float_denorm_mode_32 3
		.amdhsa_float_denorm_mode_16_64 3
		.amdhsa_dx10_clamp 1
		.amdhsa_ieee_mode 1
		.amdhsa_fp16_overflow 0
		.amdhsa_workgroup_processor_mode 1
		.amdhsa_memory_ordered 1
		.amdhsa_forward_progress 0
		.amdhsa_shared_vgpr_count 0
		.amdhsa_exception_fp_ieee_invalid_op 0
		.amdhsa_exception_fp_denorm_src 0
		.amdhsa_exception_fp_ieee_div_zero 0
		.amdhsa_exception_fp_ieee_overflow 0
		.amdhsa_exception_fp_ieee_underflow 0
		.amdhsa_exception_fp_ieee_inexact 0
		.amdhsa_exception_int_div_zero 0
	.end_amdhsa_kernel
	.section	.text._Z39paged_attention_ll4mi_QKV_mfma16_kernelIDF16_hLN4vllm18Fp8KVCacheDataTypeE1EDF16_Li32ELi64ELi256ELb1ELi4EL8MFMAType0EEvPKT_PKT0_S8_ifPKiSA_SA_iPKfiiiPfSD_PS3_PT2_iSC_SC_,"axG",@progbits,_Z39paged_attention_ll4mi_QKV_mfma16_kernelIDF16_hLN4vllm18Fp8KVCacheDataTypeE1EDF16_Li32ELi64ELi256ELb1ELi4EL8MFMAType0EEvPKT_PKT0_S8_ifPKiSA_SA_iPKfiiiPfSD_PS3_PT2_iSC_SC_,comdat
.Lfunc_end1201:
	.size	_Z39paged_attention_ll4mi_QKV_mfma16_kernelIDF16_hLN4vllm18Fp8KVCacheDataTypeE1EDF16_Li32ELi64ELi256ELb1ELi4EL8MFMAType0EEvPKT_PKT0_S8_ifPKiSA_SA_iPKfiiiPfSD_PS3_PT2_iSC_SC_, .Lfunc_end1201-_Z39paged_attention_ll4mi_QKV_mfma16_kernelIDF16_hLN4vllm18Fp8KVCacheDataTypeE1EDF16_Li32ELi64ELi256ELb1ELi4EL8MFMAType0EEvPKT_PKT0_S8_ifPKiSA_SA_iPKfiiiPfSD_PS3_PT2_iSC_SC_
                                        ; -- End function
	.section	.AMDGPU.csdata,"",@progbits
; Kernel info:
; codeLenInByte = 6380
; NumSgprs: 44
; NumVgprs: 123
; ScratchSize: 0
; MemoryBound: 0
; FloatMode: 240
; IeeeMode: 1
; LDSByteSize: 17472 bytes/workgroup (compile time only)
; SGPRBlocks: 5
; VGPRBlocks: 15
; NumSGPRsForWavesPerEU: 44
; NumVGPRsForWavesPerEU: 123
; Occupancy: 10
; WaveLimiterHint : 1
; COMPUTE_PGM_RSRC2:SCRATCH_EN: 0
; COMPUTE_PGM_RSRC2:USER_SGPR: 13
; COMPUTE_PGM_RSRC2:TRAP_HANDLER: 0
; COMPUTE_PGM_RSRC2:TGID_X_EN: 1
; COMPUTE_PGM_RSRC2:TGID_Y_EN: 1
; COMPUTE_PGM_RSRC2:TGID_Z_EN: 1
; COMPUTE_PGM_RSRC2:TIDIG_COMP_CNT: 0
	.section	.text._Z39paged_attention_ll4mi_QKV_mfma16_kernelIDF16_hLN4vllm18Fp8KVCacheDataTypeE1EDF16_Li32ELi64ELi256ELb0ELi5EL8MFMAType0EEvPKT_PKT0_S8_ifPKiSA_SA_iPKfiiiPfSD_PS3_PT2_iSC_SC_,"axG",@progbits,_Z39paged_attention_ll4mi_QKV_mfma16_kernelIDF16_hLN4vllm18Fp8KVCacheDataTypeE1EDF16_Li32ELi64ELi256ELb0ELi5EL8MFMAType0EEvPKT_PKT0_S8_ifPKiSA_SA_iPKfiiiPfSD_PS3_PT2_iSC_SC_,comdat
	.protected	_Z39paged_attention_ll4mi_QKV_mfma16_kernelIDF16_hLN4vllm18Fp8KVCacheDataTypeE1EDF16_Li32ELi64ELi256ELb0ELi5EL8MFMAType0EEvPKT_PKT0_S8_ifPKiSA_SA_iPKfiiiPfSD_PS3_PT2_iSC_SC_ ; -- Begin function _Z39paged_attention_ll4mi_QKV_mfma16_kernelIDF16_hLN4vllm18Fp8KVCacheDataTypeE1EDF16_Li32ELi64ELi256ELb0ELi5EL8MFMAType0EEvPKT_PKT0_S8_ifPKiSA_SA_iPKfiiiPfSD_PS3_PT2_iSC_SC_
	.globl	_Z39paged_attention_ll4mi_QKV_mfma16_kernelIDF16_hLN4vllm18Fp8KVCacheDataTypeE1EDF16_Li32ELi64ELi256ELb0ELi5EL8MFMAType0EEvPKT_PKT0_S8_ifPKiSA_SA_iPKfiiiPfSD_PS3_PT2_iSC_SC_
	.p2align	8
	.type	_Z39paged_attention_ll4mi_QKV_mfma16_kernelIDF16_hLN4vllm18Fp8KVCacheDataTypeE1EDF16_Li32ELi64ELi256ELb0ELi5EL8MFMAType0EEvPKT_PKT0_S8_ifPKiSA_SA_iPKfiiiPfSD_PS3_PT2_iSC_SC_,@function
_Z39paged_attention_ll4mi_QKV_mfma16_kernelIDF16_hLN4vllm18Fp8KVCacheDataTypeE1EDF16_Li32ELi64ELi256ELb0ELi5EL8MFMAType0EEvPKT_PKT0_S8_ifPKiSA_SA_iPKfiiiPfSD_PS3_PT2_iSC_SC_: ; @_Z39paged_attention_ll4mi_QKV_mfma16_kernelIDF16_hLN4vllm18Fp8KVCacheDataTypeE1EDF16_Li32ELi64ELi256ELb0ELi5EL8MFMAType0EEvPKT_PKT0_S8_ifPKiSA_SA_iPKfiiiPfSD_PS3_PT2_iSC_SC_
; %bb.0:
	s_load_b64 s[2:3], s[0:1], 0x30
	s_mov_b32 s34, s13
	s_waitcnt lgkmcnt(0)
	s_cmp_lg_u64 s[2:3], 0
	s_cselect_b32 s6, -1, 0
	s_ashr_i32 s35, s13, 31
	s_cmp_eq_u64 s[2:3], 0
	s_cbranch_scc1 .LBB1202_3
; %bb.1:
	s_lshl_b64 s[4:5], s[34:35], 2
	s_delay_alu instid0(SALU_CYCLE_1) | instskip(SKIP_4) | instid1(SALU_CYCLE_1)
	s_add_u32 s4, s2, s4
	s_addc_u32 s5, s3, s5
	s_load_b64 s[4:5], s[4:5], 0x0
	s_waitcnt lgkmcnt(0)
	s_sub_i32 s4, s5, s4
	s_cmp_eq_u32 s4, 1
	s_cselect_b32 s4, -1, 0
	s_delay_alu instid0(SALU_CYCLE_1)
	s_and_not1_b32 vcc_lo, exec_lo, s4
	s_cbranch_vccz .LBB1202_4
.LBB1202_2:
	s_nop 0
	s_sendmsg sendmsg(MSG_DEALLOC_VGPRS)
	s_endpgm
.LBB1202_3:
.LBB1202_4:
	s_load_b64 s[8:9], s[0:1], 0x28
	s_lshl_b64 s[4:5], s[34:35], 2
	s_waitcnt lgkmcnt(0)
	s_add_u32 s8, s8, s4
	s_addc_u32 s9, s9, s5
	s_lshl_b32 s16, s14, 8
	s_load_b32 s18, s[8:9], 0x0
	s_waitcnt lgkmcnt(0)
	s_cmp_ge_i32 s16, s18
	s_cbranch_scc1 .LBB1202_2
; %bb.5:
	s_clause 0x1
	s_load_b128 s[8:11], s[0:1], 0x8
	s_load_b64 s[12:13], s[0:1], 0x20
	s_and_not1_b32 vcc_lo, exec_lo, s6
	s_cbranch_vccnz .LBB1202_7
; %bb.6:
	s_add_u32 s2, s2, s4
	s_addc_u32 s3, s3, s5
	s_load_b32 s3, s[2:3], 0x0
	s_branch .LBB1202_8
.LBB1202_7:
	s_mov_b32 s3, s34
.LBB1202_8:
	s_load_b128 s[4:7], s[0:1], 0x48
	v_lshrrev_b32_e32 v69, 5, v0
	v_bfe_u32 v66, v0, 4, 1
	v_and_b32_e32 v68, 15, v0
	v_and_b32_e32 v70, 31, v0
	;; [unrolled: 1-line block ×3, first 2 shown]
	s_mul_i32 s33, s15, 5
	v_lshl_or_b32 v1, v69, 1, v66
	v_lshlrev_b32_e32 v2, 3, v68
	v_cmp_gt_u32_e64 s2, 8, v68
	s_delay_alu instid0(VALU_DEP_3) | instskip(NEXT) | instid1(VALU_DEP_3)
	v_cmp_gt_u32_e32 vcc_lo, 5, v1
	v_lshlrev_b32_e32 v65, 1, v2
	s_delay_alu instid0(VALU_DEP_3)
	s_and_b32 s17, s2, vcc_lo
	s_waitcnt lgkmcnt(0)
	s_and_saveexec_b32 s7, s17
	s_cbranch_execz .LBB1202_10
; %bb.9:
	s_load_b64 s[20:21], s[0:1], 0x0
	v_add_lshl_u32 v2, v1, s33, 6
	s_mul_hi_i32 s23, s3, s4
	s_mul_i32 s22, s3, s4
	v_lshlrev_b32_e32 v6, 10, v68
	s_lshl_b64 s[22:23], s[22:23], 1
	v_ashrrev_i32_e32 v3, 31, v2
	v_lshlrev_b32_e32 v1, 6, v1
	v_lshlrev_b32_e32 v7, 10, v67
	v_and_b32_e32 v6, 0x3800, v6
	s_delay_alu instid0(VALU_DEP_4) | instskip(NEXT) | instid1(VALU_DEP_2)
	v_lshlrev_b64 v[2:3], 1, v[2:3]
	v_or3_b32 v1, v6, v7, v1
	s_waitcnt lgkmcnt(0)
	s_add_u32 s3, s20, s22
	s_addc_u32 s4, s21, s23
	s_delay_alu instid0(VALU_DEP_2) | instskip(SKIP_1) | instid1(VALU_DEP_2)
	v_add_co_u32 v2, vcc_lo, s3, v2
	v_add_co_ci_u32_e32 v3, vcc_lo, s4, v3, vcc_lo
	v_add_co_u32 v2, vcc_lo, v2, v65
	s_delay_alu instid0(VALU_DEP_2)
	v_add_co_ci_u32_e32 v3, vcc_lo, 0, v3, vcc_lo
	global_load_b128 v[2:5], v[2:3], off
	s_waitcnt vmcnt(0)
	ds_store_b128 v1, v[2:5]
.LBB1202_10:
	s_or_b32 exec_lo, exec_lo, s7
	v_and_b32_e32 v1, 0xef, v0
	s_add_i32 s3, s18, 31
	s_clause 0x1
	s_load_b32 s4, s[0:1], 0x38
	s_load_b32 s35, s[0:1], 0x98
	s_ashr_i32 s7, s3, 31
	v_add_nc_u32_e32 v1, s16, v1
	s_lshr_b32 s7, s7, 27
	s_load_b32 s19, s[0:1], 0x1c
	s_add_i32 s3, s3, s7
	s_waitcnt lgkmcnt(0)
	v_ashrrev_i32_e32 v2, 31, v1
	v_or_b32_e32 v3, 16, v1
	s_ashr_i32 s3, s3, 5
	v_cmp_gt_i32_e32 vcc_lo, s18, v1
	s_add_i32 s3, s3, -1
	v_lshrrev_b32_e32 v2, 27, v2
	s_barrier
	buffer_gl0_inv
	s_mul_i32 s15, s15, s6
	v_mul_lo_u16 v103, v68, 52
	v_add_nc_u32_e32 v4, v1, v2
	v_mbcnt_lo_u32_b32 v127, -1, 0
	s_mul_i32 s20, s34, s4
	s_delay_alu instid0(SALU_CYCLE_1) | instskip(NEXT) | instid1(VALU_DEP_2)
	s_ashr_i32 s21, s20, 31
	v_ashrrev_i32_e32 v4, 5, v4
	v_add_nc_u32_e32 v2, v3, v2
	s_lshl_b64 s[20:21], s[20:21], 2
	v_lshrrev_b16 v103, 8, v103
	s_add_u32 s17, s12, s20
	v_cndmask_b32_e32 v1, s3, v4, vcc_lo
	v_ashrrev_i32_e32 v2, 5, v2
	v_cmp_gt_i32_e32 vcc_lo, s18, v3
	s_addc_u32 s13, s13, s21
	s_ashr_i32 s20, s15, 31
	s_add_u32 s22, s8, s15
	s_addc_u32 s23, s9, s20
	v_cndmask_b32_e32 v3, s3, v2, vcc_lo
	v_ashrrev_i32_e32 v2, 31, v1
	s_lshl_b32 s6, s14, 3
	v_mul_lo_u16 v103, v103, 5
	s_ashr_i32 s7, s6, 31
	v_ashrrev_i32_e32 v4, 31, v3
	v_lshlrev_b64 v[1:2], 2, v[1:2]
	s_lshl_b64 s[6:7], s[6:7], 2
	v_sub_nc_u16 v103, v68, v103
	s_add_u32 s6, s17, s6
	v_lshlrev_b64 v[3:4], 2, v[3:4]
	s_addc_u32 s7, s13, s7
	v_add_co_u32 v1, vcc_lo, s17, v1
	v_add_co_ci_u32_e32 v2, vcc_lo, s13, v2, vcc_lo
	s_delay_alu instid0(VALU_DEP_3) | instskip(NEXT) | instid1(VALU_DEP_4)
	v_add_co_u32 v3, vcc_lo, s17, v3
	v_add_co_ci_u32_e32 v4, vcc_lo, s13, v4, vcc_lo
	s_clause 0x1
	global_load_b32 v5, v[1:2], off
	global_load_b32 v6, v[3:4], off
	s_or_b32 s4, s16, 32
	v_xor_b32_e32 v128, 16, v127
	s_ashr_i32 s8, s4, 5
	s_cmp_lt_i32 s4, s18
	s_cselect_b32 s8, s8, s3
	s_delay_alu instid0(SALU_CYCLE_1) | instskip(NEXT) | instid1(SALU_CYCLE_1)
	s_ashr_i32 s9, s8, 31
	s_lshl_b64 s[8:9], s[8:9], 2
	s_delay_alu instid0(SALU_CYCLE_1) | instskip(SKIP_2) | instid1(SALU_CYCLE_1)
	s_add_u32 s8, s17, s8
	s_addc_u32 s9, s13, s9
	s_or_b32 s4, s16, 64
	s_ashr_i32 s12, s4, 5
	s_cmp_lt_i32 s4, s18
	s_cselect_b32 s24, s12, s3
	s_delay_alu instid0(SALU_CYCLE_1) | instskip(NEXT) | instid1(SALU_CYCLE_1)
	s_ashr_i32 s25, s24, 31
	s_lshl_b64 s[24:25], s[24:25], 2
	s_delay_alu instid0(SALU_CYCLE_1) | instskip(SKIP_2) | instid1(SALU_CYCLE_1)
	s_add_u32 s24, s17, s24
	s_addc_u32 s25, s13, s25
	s_or_b32 s4, s16, 0x60
	;; [unrolled: 10-line block ×4, first 2 shown]
	s_ashr_i32 s12, s4, 5
	s_cmp_lt_i32 s4, s18
	s_cselect_b32 s30, s12, s3
	s_delay_alu instid0(SALU_CYCLE_1) | instskip(NEXT) | instid1(SALU_CYCLE_1)
	s_ashr_i32 s31, s30, 31
	s_lshl_b64 s[30:31], s[30:31], 2
	s_delay_alu instid0(SALU_CYCLE_1)
	s_add_u32 s30, s17, s30
	s_addc_u32 s31, s13, s31
	s_clause 0x5
	s_load_b32 s12, s[6:7], 0x0
	s_load_b32 s4, s[8:9], 0x0
	s_load_b32 s6, s[24:25], 0x0
	s_load_b32 s7, s[26:27], 0x0
	s_load_b32 s8, s[28:29], 0x0
	s_load_b32 s9, s[30:31], 0x0
	s_or_b32 s21, s16, 0xc0
	s_waitcnt vmcnt(1)
	v_mad_i64_i32 v[1:2], null, v5, s5, s[22:23]
	v_lshlrev_b32_e32 v5, 4, v68
	s_waitcnt vmcnt(0)
	v_mad_i64_i32 v[3:4], null, v6, s5, s[22:23]
	s_ashr_i32 s22, s21, 5
	s_cmp_lt_i32 s21, s18
	s_delay_alu instid0(VALU_DEP_3) | instskip(NEXT) | instid1(VALU_DEP_4)
	v_add_co_u32 v1, vcc_lo, v1, v5
	v_add_co_ci_u32_e32 v2, vcc_lo, 0, v2, vcc_lo
	s_delay_alu instid0(VALU_DEP_3) | instskip(NEXT) | instid1(VALU_DEP_4)
	v_add_co_u32 v3, vcc_lo, v3, v5
	v_add_co_ci_u32_e32 v4, vcc_lo, 0, v4, vcc_lo
	s_clause 0x7
	global_load_b128 v[71:74], v[1:2], off
	global_load_b128 v[75:78], v[1:2], off offset:512
	global_load_b128 v[79:82], v[3:4], off offset:256
	;; [unrolled: 1-line block ×7, first 2 shown]
	s_cselect_b32 s22, s22, s3
	v_lshlrev_b32_e32 v1, 5, v68
	s_ashr_i32 s23, s22, 31
	v_cmp_gt_i32_e32 vcc_lo, 32, v128
	s_lshl_b64 s[22:23], s[22:23], 2
	v_and_b32_e32 v103, 0xff, v103
	s_add_u32 s22, s17, s22
	s_addc_u32 s23, s13, s23
	v_cndmask_b32_e32 v136, v127, v128, vcc_lo
	s_or_b32 s21, s16, 0xe0
	v_lshl_or_b32 v1, v69, 9, v1
	s_ashr_i32 s24, s21, 5
	s_cmp_lt_i32 s21, s18
	v_lshlrev_b32_e32 v115, 6, v103
	s_cselect_b32 s24, s24, s3
	s_load_b32 s3, s[22:23], 0x0
	s_ashr_i32 s25, s24, 31
	s_delay_alu instid0(SALU_CYCLE_1) | instskip(NEXT) | instid1(SALU_CYCLE_1)
	s_lshl_b64 s[24:25], s[24:25], 2
	s_add_u32 s22, s17, s24
	s_addc_u32 s23, s13, s25
	s_add_u32 s10, s10, s15
	s_addc_u32 s11, s11, s20
	v_add_co_u32 v1, s10, s10, v1
	s_delay_alu instid0(VALU_DEP_1) | instskip(SKIP_2) | instid1(VALU_DEP_1)
	v_add_co_ci_u32_e64 v2, null, s11, 0, s10
	s_load_b32 s10, s[22:23], 0x0
	s_waitcnt lgkmcnt(0)
	v_mad_i64_i32 v[3:4], null, s12, s5, v[1:2]
	v_mad_i64_i32 v[9:10], null, s7, s5, v[1:2]
	;; [unrolled: 1-line block ×7, first 2 shown]
	s_clause 0x5
	global_load_b128 v[49:52], v[3:4], off
	global_load_b128 v[53:56], v[3:4], off offset:16
	global_load_b128 v[41:44], v[5:6], off
	global_load_b128 v[45:48], v[5:6], off offset:16
	global_load_b128 v[33:36], v[7:8], off
	global_load_b128 v[37:40], v[7:8], off offset:16
	s_mov_b32 s4, 0
	v_mad_i64_i32 v[61:62], null, s10, s5, v[1:2]
	s_clause 0x9
	global_load_b128 v[1:4], v[9:10], off
	global_load_b128 v[5:8], v[9:10], off offset:16
	global_load_b128 v[9:12], v[13:14], off
	global_load_b128 v[13:16], v[13:14], off offset:16
	global_load_b128 v[17:20], v[21:22], off
	global_load_b128 v[21:24], v[21:22], off offset:16
	global_load_b128 v[25:28], v[29:30], off
	global_load_b128 v[29:32], v[29:30], off offset:16
	global_load_b128 v[57:60], v[61:62], off
	global_load_b128 v[61:64], v[61:62], off offset:16
	s_mov_b32 s5, s4
	s_mov_b32 s6, s4
	;; [unrolled: 1-line block ×7, first 2 shown]
	v_and_b32_e32 v104, 0xe0, v0
	v_dual_mov_b32 v126, s11 :: v_dual_mov_b32 v123, s8
	v_dual_mov_b32 v125, s10 :: v_dual_mov_b32 v124, s9
	s_delay_alu instid0(VALU_DEP_3)
	v_add_nc_u32_e32 v111, s16, v104
	ds_load_b128 v[103:106], v115
	ds_load_b128 v[107:110], v115 offset:1024
	v_dual_mov_b32 v122, s7 :: v_dual_mov_b32 v121, s6
	v_mov_b32_e32 v120, s5
	v_or_b32_e32 v135, v111, v66
	ds_load_b128 v[111:114], v115 offset:2048
	ds_load_b128 v[115:118], v115 offset:3072
	v_mov_b32_e32 v119, s4
	s_waitcnt vmcnt(0) lgkmcnt(0)
	s_barrier
	v_or_b32_e32 v137, 2, v135
	v_or_b32_e32 v138, 4, v135
	;; [unrolled: 1-line block ×3, first 2 shown]
	v_cmp_gt_i32_e32 vcc_lo, s18, v135
	v_or_b32_e32 v140, 8, v135
	v_cmp_gt_i32_e64 s3, s18, v137
	v_or_b32_e32 v141, 10, v135
	v_cmp_gt_i32_e64 s4, s18, v138
	v_cmp_gt_i32_e64 s5, s18, v139
	v_or_b32_e32 v142, 12, v135
	v_or_b32_e32 v143, 14, v135
	v_cmp_gt_i32_e64 s6, s18, v140
	v_cmp_gt_i32_e64 s7, s18, v141
	v_or_b32_e32 v144, 16, v135
	v_or_b32_e32 v145, 18, v135
	v_cmp_gt_i32_e64 s8, s18, v142
	v_cmp_gt_i32_e64 s9, s18, v143
	buffer_gl0_inv
	v_cmp_gt_i32_e64 s10, s18, v144
	v_cmp_gt_i32_e64 s11, s18, v145
	v_wmma_f32_16x16x16_f16 v[127:134], v[71:78], v[103:110], v[119:126]
	v_wmma_f32_16x16x16_f16 v[119:126], v[79:86], v[103:110], v[119:126]
	v_or_b32_e32 v71, 20, v135
	v_or_b32_e32 v72, 22, v135
	s_delay_alu instid0(VALU_DEP_4)
	v_wmma_f32_16x16x16_f16 v[127:134], v[87:94], v[111:118], v[127:134]
	v_or_b32_e32 v73, 24, v135
	v_wmma_f32_16x16x16_f16 v[119:126], v[95:102], v[111:118], v[119:126]
	v_or_b32_e32 v74, 26, v135
	v_cmp_gt_i32_e64 s12, s18, v71
	v_dual_mul_f32 v84, s19, v127 :: v_dual_mul_f32 v83, s19, v128
	s_delay_alu instid0(VALU_DEP_4) | instskip(SKIP_2) | instid1(VALU_DEP_4)
	v_dual_mul_f32 v92, s19, v119 :: v_dual_mul_f32 v81, s19, v130
	v_mul_f32_e32 v90, s19, v121
	v_mul_f32_e32 v82, s19, v129
	v_cndmask_b32_e32 v84, 0xff7fffff, v84, vcc_lo
	v_cndmask_b32_e64 v83, 0xff7fffff, v83, s3
	v_dual_mul_f32 v79, s19, v132 :: v_dual_mul_f32 v88, s19, v123
	v_mul_f32_e32 v80, s19, v131
	v_cndmask_b32_e64 v82, 0xff7fffff, v82, s4
	v_cndmask_b32_e64 v81, 0xff7fffff, v81, s5
	v_max3_f32 v83, v84, 0xff7fffff, v83
	v_dual_mul_f32 v77, s19, v134 :: v_dual_mul_f32 v86, s19, v125
	v_mul_f32_e32 v78, s19, v133
	v_cndmask_b32_e64 v80, 0xff7fffff, v80, s6
	v_cndmask_b32_e64 v79, 0xff7fffff, v79, s7
	v_max3_f32 v81, v83, v82, v81
	v_mul_f32_e32 v91, s19, v120
	v_cndmask_b32_e64 v78, 0xff7fffff, v78, s8
	v_cndmask_b32_e64 v77, 0xff7fffff, v77, s9
	v_mul_f32_e32 v89, s19, v122
	v_max3_f32 v79, v81, v80, v79
	v_cndmask_b32_e64 v80, 0xff7fffff, v92, s10
	v_cndmask_b32_e64 v81, 0xff7fffff, v91, s11
	v_cmp_gt_i32_e64 s13, s18, v72
	v_or_b32_e32 v75, 28, v135
	v_max3_f32 v77, v79, v78, v77
	v_or_b32_e32 v76, 30, v135
	v_mul_f32_e32 v87, s19, v124
	v_cndmask_b32_e64 v71, 0xff7fffff, v90, s12
	v_cndmask_b32_e64 v72, 0xff7fffff, v89, s13
	v_max3_f32 v77, v77, v80, v81
	v_cmp_gt_i32_e64 s15, s18, v73
	v_cmp_gt_i32_e64 s16, s18, v74
	v_mul_f32_e32 v85, s19, v126
	v_cmp_gt_i32_e64 s17, s18, v75
	v_max3_f32 v71, v77, v71, v72
	v_cndmask_b32_e64 v73, 0xff7fffff, v88, s15
	v_cndmask_b32_e64 v74, 0xff7fffff, v87, s16
	v_cmp_gt_i32_e64 s18, s18, v76
	v_cndmask_b32_e64 v72, 0xff7fffff, v86, s17
	s_delay_alu instid0(VALU_DEP_3) | instskip(NEXT) | instid1(VALU_DEP_3)
	v_max3_f32 v71, v71, v73, v74
	v_cndmask_b32_e64 v75, 0xff7fffff, v85, s18
	v_lshlrev_b32_e32 v73, 2, v136
	s_delay_alu instid0(VALU_DEP_2) | instskip(SKIP_3) | instid1(VALU_DEP_1)
	v_max3_f32 v71, v71, v72, v75
	ds_bpermute_b32 v72, v73, v71
	s_waitcnt lgkmcnt(0)
	v_max_f32_e32 v72, v72, v72
	v_max_f32_e32 v71, v71, v72
	s_delay_alu instid0(VALU_DEP_1) | instskip(SKIP_2) | instid1(VALU_DEP_3)
	v_fma_f32 v72, s19, v127, -v71
	v_fma_f32 v74, s19, v128, -v71
	;; [unrolled: 1-line block ×3, first 2 shown]
	v_mul_f32_e32 v72, 0x3fb8aa3b, v72
	s_delay_alu instid0(VALU_DEP_2) | instskip(NEXT) | instid1(VALU_DEP_2)
	v_dual_mul_f32 v74, 0x3fb8aa3b, v74 :: v_dual_mul_f32 v75, 0x3fb8aa3b, v75
	v_exp_f32_e32 v72, v72
	s_delay_alu instid0(VALU_DEP_1) | instskip(NEXT) | instid1(VALU_DEP_1)
	v_exp_f32_e32 v74, v74
	v_exp_f32_e32 v75, v75
	s_delay_alu instid0(TRANS32_DEP_3)
	v_cndmask_b32_e32 v79, 0, v72, vcc_lo
	s_waitcnt_depctr 0xfff
	v_cndmask_b32_e64 v78, 0, v74, s3
	v_cndmask_b32_e64 v81, 0, v75, s4
	v_cmp_gt_u32_e64 s3, 16, v70
	v_add_f32_e32 v74, 0, v79
	s_delay_alu instid0(VALU_DEP_1) | instskip(NEXT) | instid1(VALU_DEP_1)
	v_add_f32_e32 v74, v74, v78
	v_add_f32_e32 v74, v74, v81
	v_fma_f32 v76, s19, v130, -v71
	v_fma_f32 v77, s19, v131, -v71
	;; [unrolled: 1-line block ×5, first 2 shown]
	s_delay_alu instid0(VALU_DEP_4) | instskip(NEXT) | instid1(VALU_DEP_4)
	v_dual_mul_f32 v76, 0x3fb8aa3b, v76 :: v_dual_mul_f32 v77, 0x3fb8aa3b, v77
	v_mul_f32_e32 v72, 0x3fb8aa3b, v72
	s_delay_alu instid0(VALU_DEP_4) | instskip(SKIP_1) | instid1(VALU_DEP_4)
	v_mul_f32_e32 v82, 0x3fb8aa3b, v80
	v_fma_f32 v86, s19, v122, -v71
	v_exp_f32_e32 v76, v76
	v_exp_f32_e32 v77, v77
	;; [unrolled: 1-line block ×4, first 2 shown]
	v_mul_f32_e32 v86, 0x3fb8aa3b, v86
	s_delay_alu instid0(VALU_DEP_1)
	v_exp_f32_e32 v88, v86
	v_cndmask_b32_e64 v80, 0, v76, s5
	v_mul_f32_e32 v75, 0x3fb8aa3b, v75
	v_fma_f32 v76, s19, v119, -v71
	v_cndmask_b32_e64 v83, 0, v77, s6
	v_fma_f32 v77, s19, v120, -v71
	v_add_f32_e32 v74, v74, v80
	v_exp_f32_e32 v75, v75
	v_mul_f32_e32 v76, 0x3fb8aa3b, v76
	v_cndmask_b32_e64 v82, 0, v72, s7
	s_delay_alu instid0(VALU_DEP_3) | instskip(SKIP_1) | instid1(VALU_DEP_4)
	v_dual_mul_f32 v77, 0x3fb8aa3b, v77 :: v_dual_add_f32 v72, v74, v83
	v_fma_f32 v74, s19, v121, -v71
	v_exp_f32_e32 v76, v76
	v_cndmask_b32_e64 v85, 0, v84, s8
	s_delay_alu instid0(VALU_DEP_3) | instskip(SKIP_1) | instid1(TRANS32_DEP_3)
	v_exp_f32_e32 v77, v77
	v_cndmask_b32_e64 v88, 0, v88, s13
	v_cndmask_b32_e64 v84, 0, v75, s9
	v_fma_f32 v75, s19, v123, -v71
	v_add_f32_e32 v72, v72, v82
	s_delay_alu instid0(VALU_DEP_2) | instskip(NEXT) | instid1(VALU_DEP_2)
	v_dual_mul_f32 v74, 0x3fb8aa3b, v74 :: v_dual_mul_f32 v75, 0x3fb8aa3b, v75
	v_add_f32_e32 v72, v72, v85
	s_delay_alu instid0(VALU_DEP_2)
	v_exp_f32_e32 v74, v74
	v_cndmask_b32_e64 v87, 0, v76, s10
	v_fma_f32 v76, s19, v124, -v71
	v_cndmask_b32_e64 v86, 0, v77, s11
	v_add_f32_e32 v72, v72, v84
	v_fma_f32 v77, s19, v125, -v71
	v_exp_f32_e32 v75, v75
	v_mul_f32_e32 v76, 0x3fb8aa3b, v76
	s_delay_alu instid0(VALU_DEP_3) | instskip(NEXT) | instid1(TRANS32_DEP_2)
	v_add_f32_e32 v72, v72, v87
	v_cndmask_b32_e64 v89, 0, v74, s12
	v_mul_f32_e32 v74, 0x3fb8aa3b, v77
	s_delay_alu instid0(VALU_DEP_4) | instskip(SKIP_2) | instid1(VALU_DEP_3)
	v_exp_f32_e32 v76, v76
	v_fma_f32 v77, s19, v126, -v71
	v_add_f32_e32 v72, v72, v86
	v_exp_f32_e32 v74, v74
	s_delay_alu instid0(TRANS32_DEP_3) | instskip(NEXT) | instid1(VALU_DEP_3)
	v_cndmask_b32_e64 v91, 0, v75, s15
	v_mul_f32_e32 v75, 0x3fb8aa3b, v77
	s_delay_alu instid0(VALU_DEP_3) | instskip(NEXT) | instid1(TRANS32_DEP_2)
	v_add_f32_e32 v72, v72, v89
	v_cndmask_b32_e64 v90, 0, v76, s16
	s_delay_alu instid0(VALU_DEP_3) | instskip(NEXT) | instid1(VALU_DEP_2)
	v_exp_f32_e32 v75, v75
	v_add_f32_e32 v72, v72, v88
	s_delay_alu instid0(TRANS32_DEP_2) | instskip(NEXT) | instid1(VALU_DEP_2)
	v_cndmask_b32_e64 v93, 0, v74, s17
	v_add_f32_e32 v72, v72, v91
	s_waitcnt_depctr 0xfff
	v_cndmask_b32_e64 v92, 0, v75, s18
	v_add_f32_e32 v72, v72, v90
	s_delay_alu instid0(VALU_DEP_1) | instskip(NEXT) | instid1(VALU_DEP_1)
	v_add_f32_e32 v72, v72, v93
	v_add_f32_e32 v72, v72, v92
	ds_bpermute_b32 v73, v73, v72
	s_and_saveexec_b32 s4, s3
	s_cbranch_execz .LBB1202_12
; %bb.11:
	v_mul_u32_u24_e32 v70, 0x44, v69
	s_waitcnt lgkmcnt(0)
	v_add_f32_e32 v72, v72, v73
	s_delay_alu instid0(VALU_DEP_2) | instskip(NEXT) | instid1(VALU_DEP_1)
	v_lshl_add_u32 v70, v68, 2, v70
	v_add_nc_u32_e32 v70, 0x4000, v70
	ds_store_2addr_b32 v70, v71, v72 offset1:136
.LBB1202_12:
	s_or_b32 exec_lo, exec_lo, s4
	v_lshlrev_b32_e32 v70, 2, v68
	s_load_b32 s36, s[0:1], 0x94
	s_waitcnt lgkmcnt(0)
	s_barrier
	buffer_gl0_inv
	v_add_nc_u32_e32 v98, 0x4000, v70
	v_cmp_eq_u32_e32 vcc_lo, 1, v69
	v_cmp_eq_u32_e64 s4, 2, v69
	v_cmp_eq_u32_e64 s5, 3, v69
	;; [unrolled: 1-line block ×3, first 2 shown]
	ds_load_2addr_b32 v[70:71], v98 offset1:17
	ds_load_2addr_b32 v[72:73], v98 offset0:34 offset1:51
	ds_load_2addr_b32 v[74:75], v98 offset0:68 offset1:85
	;; [unrolled: 1-line block ×3, first 2 shown]
	v_cmp_eq_u32_e64 s7, 5, v69
	v_cmp_eq_u32_e64 s8, 7, v69
	s_waitcnt lgkmcnt(3)
	v_max3_f32 v76, v70, 0xff7fffff, v71
	s_waitcnt lgkmcnt(2)
	s_delay_alu instid0(VALU_DEP_1) | instskip(SKIP_1) | instid1(VALU_DEP_1)
	v_max3_f32 v76, v76, v72, v73
	s_waitcnt lgkmcnt(1)
	v_max3_f32 v76, v76, v74, v75
	s_waitcnt lgkmcnt(0)
	s_delay_alu instid0(VALU_DEP_1) | instskip(NEXT) | instid1(VALU_DEP_1)
	v_max3_f32 v76, v76, v94, v95
	v_sub_f32_e32 v77, v71, v76
	ds_load_2addr_b32 v[96:97], v98 offset0:136 offset1:153
	v_sub_f32_e32 v74, v74, v76
	v_sub_f32_e32 v70, v70, v76
	;; [unrolled: 1-line block ×3, first 2 shown]
	v_dual_sub_f32 v72, v72, v76 :: v_dual_mul_f32 v77, 0x3fb8aa3b, v77
	s_delay_alu instid0(VALU_DEP_4) | instskip(NEXT) | instid1(VALU_DEP_4)
	v_mul_f32_e32 v103, 0x3fb8aa3b, v74
	v_mul_f32_e32 v99, 0x3fb8aa3b, v70
	ds_load_2addr_b32 v[70:71], v98 offset0:170 offset1:187
	v_dual_mul_f32 v101, 0x3fb8aa3b, v72 :: v_dual_mul_f32 v94, 0x3fb8aa3b, v94
	v_exp_f32_e32 v102, v77
	v_exp_f32_e32 v99, v99
	s_delay_alu instid0(VALU_DEP_1) | instskip(NEXT) | instid1(VALU_DEP_1)
	v_exp_f32_e32 v101, v101
	v_exp_f32_e32 v94, v94
	s_waitcnt lgkmcnt(1)
	s_delay_alu instid0(TRANS32_DEP_3)
	v_fma_f32 v77, v99, v96, 0
	v_sub_f32_e32 v100, v73, v76
	ds_load_2addr_b32 v[72:73], v98 offset0:204 offset1:221
	v_fmac_f32_e32 v77, v102, v97
	v_exp_f32_e32 v97, v103
	s_waitcnt lgkmcnt(1)
	s_delay_alu instid0(VALU_DEP_1)
	v_dual_fmac_f32 v77, v101, v70 :: v_dual_sub_f32 v96, v75, v76
	ds_load_2addr_b32 v[74:75], v98 offset0:238 offset1:255
	v_sub_f32_e32 v70, v95, v76
	s_waitcnt lgkmcnt(0)
	s_barrier
	v_mul_f32_e32 v96, 0x3fb8aa3b, v96
	buffer_gl0_inv
	v_exp_f32_e32 v95, v96
	v_mul_f32_e32 v100, 0x3fb8aa3b, v100
	s_delay_alu instid0(VALU_DEP_1) | instskip(SKIP_3) | instid1(VALU_DEP_2)
	v_exp_f32_e32 v100, v100
	s_waitcnt_depctr 0xfff
	v_dual_fmac_f32 v77, v100, v71 :: v_dual_mul_f32 v70, 0x3fb8aa3b, v70
	v_cndmask_b32_e32 v71, v99, v102, vcc_lo
	v_fmac_f32_e32 v77, v97, v72
	s_delay_alu instid0(VALU_DEP_3) | instskip(NEXT) | instid1(VALU_DEP_1)
	v_exp_f32_e32 v96, v70
	v_fmac_f32_e32 v77, v95, v73
	s_delay_alu instid0(VALU_DEP_1) | instskip(SKIP_2) | instid1(VALU_DEP_1)
	v_fmac_f32_e32 v77, v94, v74
	s_waitcnt_depctr 0xfff
	v_fmac_f32_e32 v77, v96, v75
	v_add_f32_e32 v74, 0x358637bd, v77
	s_delay_alu instid0(VALU_DEP_1) | instskip(SKIP_1) | instid1(VALU_DEP_2)
	v_div_scale_f32 v98, null, v74, v74, 1.0
	v_div_scale_f32 v99, vcc_lo, 1.0, v74, 1.0
	v_rcp_f32_e32 v103, v98
	s_waitcnt_depctr 0xfff
	v_fma_f32 v70, -v98, v103, 1.0
	s_delay_alu instid0(VALU_DEP_1) | instskip(SKIP_2) | instid1(VALU_DEP_2)
	v_fmac_f32_e32 v103, v70, v103
	v_cndmask_b32_e64 v70, v71, v101, s4
	v_cmp_eq_u32_e64 s4, 6, v69
	v_cndmask_b32_e64 v71, v70, v100, s5
	s_delay_alu instid0(VALU_DEP_4) | instskip(NEXT) | instid1(VALU_DEP_2)
	v_dual_mul_f32 v101, v99, v103 :: v_dual_lshlrev_b32 v70, 2, v66
	v_cndmask_b32_e64 v71, v71, v97, s6
	s_delay_alu instid0(VALU_DEP_2) | instskip(NEXT) | instid1(VALU_DEP_3)
	v_or_b32_e32 v72, 1, v70
	v_fma_f32 v100, -v98, v101, v99
	v_cmp_eq_u32_e64 s5, 1, v70
	v_cmp_eq_u32_e64 s6, 2, v70
	v_cndmask_b32_e64 v95, v71, v95, s7
	v_or_b32_e32 v71, 3, v70
	v_fmac_f32_e32 v101, v100, v103
	v_cmp_eq_u32_e64 s10, 1, v72
	v_cmp_eq_u32_e64 s13, 2, v72
	v_cndmask_b32_e64 v94, v95, v94, s4
	v_cmp_eq_u32_e64 s12, 1, v71
	v_fma_f32 v97, -v98, v101, v99
	v_cmp_eq_u32_e64 s17, 2, v71
	v_cmp_eq_u32_e64 s15, 3, v72
	v_cndmask_b32_e64 v94, v94, v96, s8
	v_cmp_eq_u32_e64 s19, 3, v71
	v_div_fmas_f32 v95, v97, v103, v101
	v_cmp_eq_u32_e32 vcc_lo, 3, v70
	v_cmp_eq_u32_e64 s4, 4, v70
	v_cmp_eq_u32_e64 s20, 4, v72
	;; [unrolled: 1-line block ×3, first 2 shown]
	v_div_fixup_f32 v95, v95, v74, 1.0
	v_lshlrev_b32_e32 v73, 6, v68
	v_cmp_eq_u32_e64 s7, 5, v70
	v_cmp_eq_u32_e64 s21, 5, v72
	;; [unrolled: 1-line block ×3, first 2 shown]
	v_mul_f32_e32 v102, v94, v95
	v_lshl_or_b32 v75, v69, 11, v73
	v_or_b32_e32 v69, 2, v70
	v_cmp_eq_u32_e64 s26, 6, v72
	v_cmp_eq_u32_e64 s28, 6, v71
	v_fma_mixlo_f16 v94, v102, v79, 0
	v_fma_mixlo_f16 v95, v102, v81, 0
	v_fma_mixlo_f16 v96, v102, v83, 0
	v_fma_mixlo_f16 v97, v102, v85, 0
	v_fma_mixlo_f16 v98, v102, v87, 0
	v_fma_mixlo_f16 v99, v102, v89, 0
	v_fma_mixlo_f16 v100, v102, v91, 0
	v_fma_mixlo_f16 v101, v102, v93, 0
	v_lshl_or_b32 v74, v66, 4, v75
	v_fma_mixhi_f16 v94, v102, v78, 0
	v_fma_mixhi_f16 v95, v102, v80, 0
	;; [unrolled: 1-line block ×8, first 2 shown]
	ds_store_b128 v74, v[94:97]
	ds_store_b128 v74, v[98:101] offset:1024
	s_waitcnt lgkmcnt(0)
	s_barrier
	buffer_gl0_inv
	ds_load_b128 v[78:81], v75
	ds_load_b128 v[82:85], v75 offset:16
	ds_load_b128 v[86:89], v75 offset:1024
	;; [unrolled: 1-line block ×3, first 2 shown]
	v_cmp_eq_u32_e64 s11, 1, v69
	v_cmp_eq_u32_e64 s16, 2, v69
	;; [unrolled: 1-line block ×11, first 2 shown]
	s_waitcnt lgkmcnt(3)
	v_lshrrev_b32_e32 v94, 16, v78
	s_waitcnt lgkmcnt(2)
	v_lshrrev_b32_e32 v98, 16, v82
	;; [unrolled: 2-line block ×4, first 2 shown]
	v_lshrrev_b32_e32 v95, 16, v79
	v_cndmask_b32_e64 v110, v78, v94, s5
	v_cndmask_b32_e64 v111, v82, v98, s5
	;; [unrolled: 1-line block ×8, first 2 shown]
	v_lshrrev_b32_e32 v99, 16, v83
	v_cndmask_b32_e64 v94, v86, v102, s5
	v_cndmask_b32_e64 v98, v90, v106, s5
	;; [unrolled: 1-line block ×15, first 2 shown]
	v_lshrrev_b32_e32 v103, 16, v87
	v_lshrrev_b32_e32 v107, 16, v91
	v_cndmask_b32_e64 v113, v115, v83, s16
	v_cndmask_b32_e64 v82, v94, v87, s6
	;; [unrolled: 1-line block ×7, first 2 shown]
	v_cndmask_b32_e32 v90, v102, v95, vcc_lo
	v_cndmask_b32_e32 v102, v106, v99, vcc_lo
	v_cndmask_b32_e64 v106, v110, v95, s15
	v_cndmask_b32_e64 v110, v111, v99, s15
	;; [unrolled: 1-line block ×4, first 2 shown]
	v_lshrrev_b32_e32 v96, 16, v80
	v_lshrrev_b32_e32 v100, 16, v84
	v_cndmask_b32_e64 v111, v112, v95, s18
	v_cndmask_b32_e64 v112, v113, v99, s18
	v_cndmask_b32_e32 v82, v82, v103, vcc_lo
	v_cndmask_b32_e32 v83, v83, v107, vcc_lo
	v_cndmask_b32_e64 v94, v94, v103, s15
	v_cndmask_b32_e64 v90, v90, v80, s4
	;; [unrolled: 1-line block ×7, first 2 shown]
	v_lshrrev_b32_e32 v104, 16, v88
	v_cndmask_b32_e64 v106, v111, v80, s22
	v_cndmask_b32_e64 v110, v112, v84, s22
	;; [unrolled: 1-line block ×11, first 2 shown]
	v_lshrrev_b32_e32 v97, 16, v81
	v_lshrrev_b32_e32 v101, 16, v85
	v_cndmask_b32_e64 v99, v106, v96, s24
	v_cndmask_b32_e64 v102, v110, v100, s24
	;; [unrolled: 1-line block ×7, first 2 shown]
	v_lshrrev_b32_e32 v105, 16, v89
	v_cndmask_b32_e64 v80, v80, v104, s7
	v_cndmask_b32_e64 v84, v84, v81, s8
	;; [unrolled: 1-line block ×16, first 2 shown]
	v_perm_b32 v81, v79, v78, 0x5040100
	v_perm_b32 v79, v95, v85, 0x5040100
	v_cndmask_b32_e64 v78, v119, v91, s16
	v_cndmask_b32_e64 v85, v117, v91, s13
	;; [unrolled: 1-line block ×3, first 2 shown]
	v_perm_b32 v80, v94, v90, 0x5040100
	v_cndmask_b32_e64 v90, v98, v103, s18
	v_cndmask_b32_e64 v86, v86, v103, s19
	;; [unrolled: 1-line block ×5, first 2 shown]
	v_lshrrev_b32_e32 v108, 16, v92
	v_cndmask_b32_e64 v90, v90, v88, s22
	v_cndmask_b32_e64 v86, v86, v88, s23
	;; [unrolled: 1-line block ×11, first 2 shown]
	v_lshrrev_b32_e32 v109, 16, v93
	v_cndmask_b32_e64 v82, v82, v93, s8
	v_cndmask_b32_e64 v88, v88, v89, s27
	;; [unrolled: 1-line block ×12, first 2 shown]
	v_perm_b32 v78, v84, v83, 0x5040100
	v_perm_b32 v85, v87, v86, 0x5040100
	;; [unrolled: 1-line block ×5, first 2 shown]
	s_mul_i32 s9, s35, 5
	s_mov_b32 s4, exec_lo
	ds_store_b128 v74, v[78:81]
	ds_store_b128 v74, v[82:85] offset:1024
	v_cmpx_gt_u32_e32 5, v0
	s_cbranch_execz .LBB1202_14
; %bb.13:
	s_mul_i32 s5, s9, s34
	s_load_b128 s[16:19], s[0:1], 0x58
	v_add3_u32 v68, s5, s33, v68
	s_delay_alu instid0(VALU_DEP_1) | instskip(NEXT) | instid1(VALU_DEP_1)
	v_mad_u64_u32 v[78:79], null, v68, s36, s[14:15]
	v_ashrrev_i32_e32 v79, 31, v78
	s_delay_alu instid0(VALU_DEP_1) | instskip(SKIP_1) | instid1(VALU_DEP_1)
	v_lshlrev_b64 v[78:79], 2, v[78:79]
	s_waitcnt lgkmcnt(0)
	v_add_co_u32 v80, vcc_lo, s18, v78
	s_delay_alu instid0(VALU_DEP_2)
	v_add_co_ci_u32_e32 v81, vcc_lo, s19, v79, vcc_lo
	v_add_co_u32 v78, vcc_lo, s16, v78
	v_add_co_ci_u32_e32 v79, vcc_lo, s17, v79, vcc_lo
	global_store_b32 v[80:81], v76, off
	global_store_b32 v[78:79], v77, off
.LBB1202_14:
	s_or_b32 exec_lo, exec_lo, s4
	s_waitcnt lgkmcnt(0)
	s_waitcnt_vscnt null, 0x0
	s_barrier
	buffer_gl0_inv
	ds_load_b128 v[84:87], v73
	ds_load_b128 v[88:91], v73 offset:16
	ds_load_b128 v[96:99], v73 offset:2064
	;; [unrolled: 1-line block ×5, first 2 shown]
	v_cmp_eq_u32_e32 vcc_lo, 1, v70
	v_mov_b32_e32 v76, 0
	ds_load_b128 v[112:115], v73 offset:6160
	ds_load_b128 v[108:111], v73 offset:6144
	;; [unrolled: 1-line block ×4, first 2 shown]
	v_cmp_eq_u32_e64 s5, 1, v69
	v_cmp_eq_u32_e64 s4, 1, v72
	;; [unrolled: 1-line block ×3, first 2 shown]
	v_mov_b32_e32 v77, v76
	v_mov_b32_e32 v78, v76
	;; [unrolled: 1-line block ×7, first 2 shown]
	v_cmp_eq_u32_e64 s7, 3, v72
	v_cmp_eq_u32_e64 s8, 7, v72
	s_waitcnt lgkmcnt(8)
	s_delay_alu instid0(VALU_DEP_3)
	v_wmma_f32_16x16x16_f16 v[76:83], v[49:56], v[84:91], v[76:83]
	ds_load_b128 v[53:56], v73 offset:10256
	ds_load_b128 v[49:52], v73 offset:10240
	s_waitcnt lgkmcnt(8)
	v_wmma_f32_16x16x16_f16 v[76:83], v[41:48], v[92:99], v[76:83]
	ds_load_b128 v[45:48], v73 offset:12304
	ds_load_b128 v[41:44], v73 offset:12288
	s_waitcnt lgkmcnt(8)
	;; [unrolled: 4-line block ×3, first 2 shown]
	s_barrier
	buffer_gl0_inv
	v_wmma_f32_16x16x16_f16 v[76:83], v[1:8], v[108:115], v[76:83]
	s_delay_alu instid0(VALU_DEP_1) | instskip(NEXT) | instid1(VALU_DEP_1)
	v_wmma_f32_16x16x16_f16 v[76:83], v[9:16], v[116:123], v[76:83]
	v_wmma_f32_16x16x16_f16 v[76:83], v[17:24], v[49:56], v[76:83]
	s_delay_alu instid0(VALU_DEP_1) | instskip(NEXT) | instid1(VALU_DEP_1)
	v_wmma_f32_16x16x16_f16 v[76:83], v[25:32], v[41:48], v[76:83]
	v_wmma_f32_16x16x16_f16 v[76:83], v[57:64], v[33:40], v[76:83]
	s_delay_alu instid0(VALU_DEP_1) | instskip(NEXT) | instid1(VALU_DEP_2)
	v_cvt_f16_f32_e32 v1, v76
	v_cvt_f16_f32_e32 v2, v77
	s_delay_alu instid0(VALU_DEP_3) | instskip(NEXT) | instid1(VALU_DEP_4)
	v_cvt_f16_f32_e32 v3, v78
	v_cvt_f16_f32_e32 v4, v79
	;; [unrolled: 1-line block ×6, first 2 shown]
	v_pack_b32_f16 v1, v1, v2
	v_pack_b32_f16 v2, v3, v4
	;; [unrolled: 1-line block ×3, first 2 shown]
	s_delay_alu instid0(VALU_DEP_4)
	v_pack_b32_f16 v4, v7, v8
	ds_store_b128 v74, v[1:4]
	s_waitcnt lgkmcnt(0)
	s_barrier
	buffer_gl0_inv
	ds_load_b128 v[1:4], v75
	ds_load_b128 v[5:8], v75 offset:16
	s_waitcnt lgkmcnt(1)
	v_lshrrev_b32_e32 v9, 16, v1
	s_waitcnt lgkmcnt(0)
	v_lshrrev_b32_e32 v13, 16, v5
	v_lshrrev_b32_e32 v10, 16, v2
	;; [unrolled: 1-line block ×4, first 2 shown]
	v_cndmask_b32_e32 v17, v1, v9, vcc_lo
	v_cndmask_b32_e32 v18, v5, v13, vcc_lo
	v_cndmask_b32_e64 v21, v1, v9, s5
	v_cmp_eq_u32_e32 vcc_lo, 1, v71
	v_cndmask_b32_e64 v22, v5, v13, s5
	v_cmp_eq_u32_e64 s5, 2, v70
	v_cndmask_b32_e64 v19, v1, v9, s4
	v_cndmask_b32_e64 v20, v5, v13, s4
	v_cndmask_b32_e32 v1, v1, v9, vcc_lo
	v_cmp_eq_u32_e64 s4, 2, v71
	v_cndmask_b32_e32 v5, v5, v13, vcc_lo
	v_cndmask_b32_e64 v9, v17, v2, s5
	v_cmp_eq_u32_e32 vcc_lo, 3, v70
	v_cndmask_b32_e64 v13, v18, v6, s5
	v_cmp_eq_u32_e64 s5, 2, v69
	v_cndmask_b32_e64 v17, v19, v2, s6
	v_cndmask_b32_e64 v18, v20, v6, s6
	v_cmp_eq_u32_e64 s6, 3, v69
	v_cndmask_b32_e64 v1, v1, v2, s4
	v_cndmask_b32_e64 v19, v21, v2, s5
	;; [unrolled: 1-line block ×4, first 2 shown]
	v_cndmask_b32_e32 v5, v9, v10, vcc_lo
	v_cndmask_b32_e32 v6, v13, v14, vcc_lo
	v_cmp_eq_u32_e32 vcc_lo, 3, v71
	v_cndmask_b32_e64 v9, v17, v10, s7
	v_cndmask_b32_e64 v13, v18, v14, s7
	;; [unrolled: 1-line block ×3, first 2 shown]
	v_cmp_eq_u32_e64 s5, 4, v70
	v_cndmask_b32_e32 v1, v1, v10, vcc_lo
	v_cndmask_b32_e32 v2, v2, v14, vcc_lo
	v_cmp_eq_u32_e32 vcc_lo, 4, v72
	v_lshrrev_b32_e32 v15, 16, v7
	v_lshrrev_b32_e32 v16, 16, v8
	v_cndmask_b32_e64 v17, v19, v10, s6
	v_cmp_eq_u32_e64 s4, 4, v71
	v_cndmask_b32_e64 v5, v5, v3, s5
	v_cndmask_b32_e64 v6, v6, v7, s5
	v_cndmask_b32_e32 v9, v9, v3, vcc_lo
	v_cmp_eq_u32_e64 s5, 5, v72
	v_cndmask_b32_e32 v10, v13, v7, vcc_lo
	v_cmp_eq_u32_e32 vcc_lo, 4, v69
	v_cmp_eq_u32_e64 s6, 5, v70
	v_cndmask_b32_e64 v2, v2, v7, s4
	v_cndmask_b32_e64 v9, v9, v11, s5
	;; [unrolled: 1-line block ×3, first 2 shown]
	v_cndmask_b32_e32 v13, v17, v3, vcc_lo
	v_cmp_eq_u32_e64 s5, 5, v69
	v_cndmask_b32_e32 v14, v18, v7, vcc_lo
	v_cndmask_b32_e64 v1, v1, v3, s4
	v_cmp_eq_u32_e32 vcc_lo, 5, v71
	v_lshrrev_b32_e32 v12, 16, v4
	v_cndmask_b32_e64 v13, v13, v11, s5
	v_cndmask_b32_e64 v3, v14, v15, s5
	v_cmp_eq_u32_e64 s5, 6, v71
	v_cndmask_b32_e32 v1, v1, v11, vcc_lo
	v_cndmask_b32_e64 v5, v5, v11, s6
	v_cmp_eq_u32_e64 s7, 6, v70
	v_cndmask_b32_e64 v6, v6, v15, s6
	v_cmp_eq_u32_e64 s6, 6, v72
	v_cmp_eq_u32_e64 s4, 6, v69
	v_cndmask_b32_e64 v1, v1, v4, s5
	v_cndmask_b32_e32 v2, v2, v15, vcc_lo
	v_cmp_eq_u32_e32 vcc_lo, 7, v71
	v_cndmask_b32_e64 v5, v5, v4, s7
	v_cndmask_b32_e64 v9, v9, v4, s6
	;; [unrolled: 1-line block ×3, first 2 shown]
	v_cmp_eq_u32_e64 s7, 7, v70
	v_cndmask_b32_e32 v1, v1, v12, vcc_lo
	v_cndmask_b32_e64 v7, v13, v4, s4
	v_cndmask_b32_e64 v3, v3, v8, s4
	;; [unrolled: 1-line block ×3, first 2 shown]
	v_cmp_eq_u32_e64 s4, 7, v69
	v_cndmask_b32_e64 v4, v10, v8, s6
	v_cndmask_b32_e64 v5, v5, v12, s7
	;; [unrolled: 1-line block ×3, first 2 shown]
	v_cndmask_b32_e32 v2, v2, v16, vcc_lo
	v_cndmask_b32_e64 v7, v7, v12, s4
	v_cndmask_b32_e64 v3, v3, v16, s4
	v_cndmask_b32_e64 v8, v4, v16, s8
	v_cndmask_b32_e64 v6, v6, v16, s7
	v_cmp_gt_u32_e32 vcc_lo, 32, v0
	v_perm_b32 v4, v2, v1, 0x5040100
	v_perm_b32 v3, v3, v7, 0x5040100
	;; [unrolled: 1-line block ×4, first 2 shown]
	s_and_b32 s2, vcc_lo, s2
	ds_store_b128 v74, v[1:4]
	s_waitcnt lgkmcnt(0)
	s_barrier
	buffer_gl0_inv
	s_and_saveexec_b32 s4, s2
	s_cbranch_execz .LBB1202_2
; %bb.15:
	s_load_b64 s[4:5], s[0:1], 0x68
	v_lshlrev_b32_e32 v0, 10, v0
	v_add_nc_u32_e32 v2, s33, v66
	v_lshlrev_b32_e32 v3, 4, v67
	s_lshl_b32 s0, s36, 6
	s_delay_alu instid0(SALU_CYCLE_1) | instskip(NEXT) | instid1(VALU_DEP_2)
	s_mul_i32 s1, s0, s34
	v_mul_lo_u32 v1, v2, s0
	s_delay_alu instid0(VALU_DEP_2) | instskip(SKIP_2) | instid1(SALU_CYCLE_1)
	v_and_or_b32 v0, 0x3800, v0, v3
	v_add_nc_u32_e32 v2, 2, v2
	s_mul_i32 s6, s1, s9
	s_ashr_i32 s7, s6, 31
	s_delay_alu instid0(VALU_DEP_2)
	v_lshl_or_b32 v7, v66, 6, v0
	s_lshl_b64 s[6:7], s[6:7], 1
	v_mul_lo_u32 v11, v2, s0
	v_ashrrev_i32_e32 v2, 31, v1
	ds_load_b128 v[3:6], v7
	ds_load_b128 v[7:10], v7 offset:128
	s_waitcnt lgkmcnt(0)
	s_add_u32 s1, s4, s6
	s_addc_u32 s2, s5, s7
	s_lshl_b32 s4, s14, 6
	v_ashrrev_i32_e32 v12, 31, v11
	s_ashr_i32 s5, s4, 31
	v_lshlrev_b64 v[13:14], 1, v[1:2]
	s_lshl_b64 s[4:5], s[4:5], 1
	s_delay_alu instid0(SALU_CYCLE_1) | instskip(SKIP_2) | instid1(VALU_DEP_1)
	s_add_u32 s1, s1, s4
	s_addc_u32 s2, s2, s5
	v_add_co_u32 v1, s1, s1, v65
	v_add_co_ci_u32_e64 v2, null, s2, 0, s1
	v_lshlrev_b64 v[11:12], 1, v[11:12]
	s_delay_alu instid0(VALU_DEP_3) | instskip(NEXT) | instid1(VALU_DEP_3)
	v_add_co_u32 v13, vcc_lo, v1, v13
	v_add_co_ci_u32_e32 v14, vcc_lo, v2, v14, vcc_lo
	s_delay_alu instid0(VALU_DEP_3) | instskip(NEXT) | instid1(VALU_DEP_4)
	v_add_co_u32 v11, vcc_lo, v1, v11
	v_add_co_ci_u32_e32 v12, vcc_lo, v2, v12, vcc_lo
	s_clause 0x1
	global_store_b128 v[13:14], v[3:6], off
	global_store_b128 v[11:12], v[7:10], off
	s_and_b32 exec_lo, exec_lo, s3
	s_cbranch_execz .LBB1202_2
; %bb.16:
	ds_load_b128 v[3:6], v0 offset:256
	s_add_i32 s1, s33, 4
	s_delay_alu instid0(SALU_CYCLE_1) | instskip(NEXT) | instid1(SALU_CYCLE_1)
	s_mul_i32 s0, s1, s0
	s_ashr_i32 s1, s0, 31
	s_delay_alu instid0(SALU_CYCLE_1) | instskip(NEXT) | instid1(SALU_CYCLE_1)
	s_lshl_b64 s[0:1], s[0:1], 1
	v_add_co_u32 v0, vcc_lo, v1, s0
	v_add_co_ci_u32_e32 v1, vcc_lo, s1, v2, vcc_lo
	s_waitcnt lgkmcnt(0)
	global_store_b128 v[0:1], v[3:6], off
	s_nop 0
	s_sendmsg sendmsg(MSG_DEALLOC_VGPRS)
	s_endpgm
	.section	.rodata,"a",@progbits
	.p2align	6, 0x0
	.amdhsa_kernel _Z39paged_attention_ll4mi_QKV_mfma16_kernelIDF16_hLN4vllm18Fp8KVCacheDataTypeE1EDF16_Li32ELi64ELi256ELb0ELi5EL8MFMAType0EEvPKT_PKT0_S8_ifPKiSA_SA_iPKfiiiPfSD_PS3_PT2_iSC_SC_
		.amdhsa_group_segment_fixed_size 17472
		.amdhsa_private_segment_fixed_size 0
		.amdhsa_kernarg_size 400
		.amdhsa_user_sgpr_count 13
		.amdhsa_user_sgpr_dispatch_ptr 0
		.amdhsa_user_sgpr_queue_ptr 0
		.amdhsa_user_sgpr_kernarg_segment_ptr 1
		.amdhsa_user_sgpr_dispatch_id 0
		.amdhsa_user_sgpr_private_segment_size 0
		.amdhsa_wavefront_size32 1
		.amdhsa_uses_dynamic_stack 0
		.amdhsa_enable_private_segment 0
		.amdhsa_system_sgpr_workgroup_id_x 1
		.amdhsa_system_sgpr_workgroup_id_y 1
		.amdhsa_system_sgpr_workgroup_id_z 1
		.amdhsa_system_sgpr_workgroup_info 0
		.amdhsa_system_vgpr_workitem_id 0
		.amdhsa_next_free_vgpr 146
		.amdhsa_next_free_sgpr 37
		.amdhsa_reserve_vcc 1
		.amdhsa_float_round_mode_32 0
		.amdhsa_float_round_mode_16_64 0
		.amdhsa_float_denorm_mode_32 3
		.amdhsa_float_denorm_mode_16_64 3
		.amdhsa_dx10_clamp 1
		.amdhsa_ieee_mode 1
		.amdhsa_fp16_overflow 0
		.amdhsa_workgroup_processor_mode 1
		.amdhsa_memory_ordered 1
		.amdhsa_forward_progress 0
		.amdhsa_shared_vgpr_count 0
		.amdhsa_exception_fp_ieee_invalid_op 0
		.amdhsa_exception_fp_denorm_src 0
		.amdhsa_exception_fp_ieee_div_zero 0
		.amdhsa_exception_fp_ieee_overflow 0
		.amdhsa_exception_fp_ieee_underflow 0
		.amdhsa_exception_fp_ieee_inexact 0
		.amdhsa_exception_int_div_zero 0
	.end_amdhsa_kernel
	.section	.text._Z39paged_attention_ll4mi_QKV_mfma16_kernelIDF16_hLN4vllm18Fp8KVCacheDataTypeE1EDF16_Li32ELi64ELi256ELb0ELi5EL8MFMAType0EEvPKT_PKT0_S8_ifPKiSA_SA_iPKfiiiPfSD_PS3_PT2_iSC_SC_,"axG",@progbits,_Z39paged_attention_ll4mi_QKV_mfma16_kernelIDF16_hLN4vllm18Fp8KVCacheDataTypeE1EDF16_Li32ELi64ELi256ELb0ELi5EL8MFMAType0EEvPKT_PKT0_S8_ifPKiSA_SA_iPKfiiiPfSD_PS3_PT2_iSC_SC_,comdat
.Lfunc_end1202:
	.size	_Z39paged_attention_ll4mi_QKV_mfma16_kernelIDF16_hLN4vllm18Fp8KVCacheDataTypeE1EDF16_Li32ELi64ELi256ELb0ELi5EL8MFMAType0EEvPKT_PKT0_S8_ifPKiSA_SA_iPKfiiiPfSD_PS3_PT2_iSC_SC_, .Lfunc_end1202-_Z39paged_attention_ll4mi_QKV_mfma16_kernelIDF16_hLN4vllm18Fp8KVCacheDataTypeE1EDF16_Li32ELi64ELi256ELb0ELi5EL8MFMAType0EEvPKT_PKT0_S8_ifPKiSA_SA_iPKfiiiPfSD_PS3_PT2_iSC_SC_
                                        ; -- End function
	.section	.AMDGPU.csdata,"",@progbits
; Kernel info:
; codeLenInByte = 6476
; NumSgprs: 39
; NumVgprs: 146
; ScratchSize: 0
; MemoryBound: 0
; FloatMode: 240
; IeeeMode: 1
; LDSByteSize: 17472 bytes/workgroup (compile time only)
; SGPRBlocks: 4
; VGPRBlocks: 18
; NumSGPRsForWavesPerEU: 39
; NumVGPRsForWavesPerEU: 146
; Occupancy: 9
; WaveLimiterHint : 1
; COMPUTE_PGM_RSRC2:SCRATCH_EN: 0
; COMPUTE_PGM_RSRC2:USER_SGPR: 13
; COMPUTE_PGM_RSRC2:TRAP_HANDLER: 0
; COMPUTE_PGM_RSRC2:TGID_X_EN: 1
; COMPUTE_PGM_RSRC2:TGID_Y_EN: 1
; COMPUTE_PGM_RSRC2:TGID_Z_EN: 1
; COMPUTE_PGM_RSRC2:TIDIG_COMP_CNT: 0
	.section	.text._Z39paged_attention_ll4mi_QKV_mfma16_kernelIDF16_hLN4vllm18Fp8KVCacheDataTypeE1EDF16_Li32ELi64ELi256ELb0ELi6EL8MFMAType0EEvPKT_PKT0_S8_ifPKiSA_SA_iPKfiiiPfSD_PS3_PT2_iSC_SC_,"axG",@progbits,_Z39paged_attention_ll4mi_QKV_mfma16_kernelIDF16_hLN4vllm18Fp8KVCacheDataTypeE1EDF16_Li32ELi64ELi256ELb0ELi6EL8MFMAType0EEvPKT_PKT0_S8_ifPKiSA_SA_iPKfiiiPfSD_PS3_PT2_iSC_SC_,comdat
	.protected	_Z39paged_attention_ll4mi_QKV_mfma16_kernelIDF16_hLN4vllm18Fp8KVCacheDataTypeE1EDF16_Li32ELi64ELi256ELb0ELi6EL8MFMAType0EEvPKT_PKT0_S8_ifPKiSA_SA_iPKfiiiPfSD_PS3_PT2_iSC_SC_ ; -- Begin function _Z39paged_attention_ll4mi_QKV_mfma16_kernelIDF16_hLN4vllm18Fp8KVCacheDataTypeE1EDF16_Li32ELi64ELi256ELb0ELi6EL8MFMAType0EEvPKT_PKT0_S8_ifPKiSA_SA_iPKfiiiPfSD_PS3_PT2_iSC_SC_
	.globl	_Z39paged_attention_ll4mi_QKV_mfma16_kernelIDF16_hLN4vllm18Fp8KVCacheDataTypeE1EDF16_Li32ELi64ELi256ELb0ELi6EL8MFMAType0EEvPKT_PKT0_S8_ifPKiSA_SA_iPKfiiiPfSD_PS3_PT2_iSC_SC_
	.p2align	8
	.type	_Z39paged_attention_ll4mi_QKV_mfma16_kernelIDF16_hLN4vllm18Fp8KVCacheDataTypeE1EDF16_Li32ELi64ELi256ELb0ELi6EL8MFMAType0EEvPKT_PKT0_S8_ifPKiSA_SA_iPKfiiiPfSD_PS3_PT2_iSC_SC_,@function
_Z39paged_attention_ll4mi_QKV_mfma16_kernelIDF16_hLN4vllm18Fp8KVCacheDataTypeE1EDF16_Li32ELi64ELi256ELb0ELi6EL8MFMAType0EEvPKT_PKT0_S8_ifPKiSA_SA_iPKfiiiPfSD_PS3_PT2_iSC_SC_: ; @_Z39paged_attention_ll4mi_QKV_mfma16_kernelIDF16_hLN4vllm18Fp8KVCacheDataTypeE1EDF16_Li32ELi64ELi256ELb0ELi6EL8MFMAType0EEvPKT_PKT0_S8_ifPKiSA_SA_iPKfiiiPfSD_PS3_PT2_iSC_SC_
; %bb.0:
	s_load_b64 s[2:3], s[0:1], 0x30
	s_mov_b32 s34, s13
	s_waitcnt lgkmcnt(0)
	s_cmp_lg_u64 s[2:3], 0
	s_cselect_b32 s6, -1, 0
	s_ashr_i32 s35, s13, 31
	s_cmp_eq_u64 s[2:3], 0
	s_cbranch_scc1 .LBB1203_3
; %bb.1:
	s_lshl_b64 s[4:5], s[34:35], 2
	s_delay_alu instid0(SALU_CYCLE_1) | instskip(SKIP_4) | instid1(SALU_CYCLE_1)
	s_add_u32 s4, s2, s4
	s_addc_u32 s5, s3, s5
	s_load_b64 s[4:5], s[4:5], 0x0
	s_waitcnt lgkmcnt(0)
	s_sub_i32 s4, s5, s4
	s_cmp_eq_u32 s4, 1
	s_cselect_b32 s4, -1, 0
	s_delay_alu instid0(SALU_CYCLE_1)
	s_and_not1_b32 vcc_lo, exec_lo, s4
	s_cbranch_vccz .LBB1203_4
.LBB1203_2:
	s_endpgm
.LBB1203_3:
.LBB1203_4:
	s_load_b64 s[8:9], s[0:1], 0x28
	s_lshl_b64 s[4:5], s[34:35], 2
	s_waitcnt lgkmcnt(0)
	s_add_u32 s8, s8, s4
	s_addc_u32 s9, s9, s5
	s_lshl_b32 s16, s14, 8
	s_load_b32 s18, s[8:9], 0x0
	s_waitcnt lgkmcnt(0)
	s_cmp_ge_i32 s16, s18
	s_cbranch_scc1 .LBB1203_2
; %bb.5:
	s_clause 0x1
	s_load_b128 s[8:11], s[0:1], 0x8
	s_load_b64 s[12:13], s[0:1], 0x20
	s_and_not1_b32 vcc_lo, exec_lo, s6
	s_cbranch_vccnz .LBB1203_7
; %bb.6:
	s_add_u32 s2, s2, s4
	s_addc_u32 s3, s3, s5
	s_load_b32 s3, s[2:3], 0x0
	s_branch .LBB1203_8
.LBB1203_7:
	s_mov_b32 s3, s34
.LBB1203_8:
	s_load_b128 s[4:7], s[0:1], 0x48
	v_and_b32_e32 v68, 15, v0
	v_cmp_gt_u32_e32 vcc_lo, 0x60, v0
	v_lshrrev_b32_e32 v69, 5, v0
	v_and_b32_e32 v70, 31, v0
	v_and_b32_e32 v67, 1, v0
	v_lshlrev_b32_e32 v1, 3, v68
	v_cmp_gt_u32_e64 s2, 8, v68
	v_bfe_u32 v66, v0, 4, 1
	s_mul_i32 s31, s15, 6
	s_delay_alu instid0(VALU_DEP_3) | instskip(NEXT) | instid1(VALU_DEP_3)
	v_lshlrev_b32_e32 v65, 1, v1
	s_and_b32 s17, vcc_lo, s2
	s_waitcnt lgkmcnt(0)
	s_and_saveexec_b32 s7, s17
	s_cbranch_execz .LBB1203_10
; %bb.9:
	s_load_b64 s[20:21], s[0:1], 0x0
	v_lshl_or_b32 v5, v69, 1, v66
	s_mul_hi_i32 s23, s3, s4
	s_mul_i32 s22, s3, s4
	v_lshlrev_b32_e32 v6, 10, v68
	s_lshl_b64 s[22:23], s[22:23], 1
	v_add_lshl_u32 v1, v5, s31, 6
	v_lshlrev_b32_e32 v5, 6, v5
	v_lshlrev_b32_e32 v7, 10, v67
	v_and_b32_e32 v6, 0x3800, v6
	s_delay_alu instid0(VALU_DEP_4) | instskip(NEXT) | instid1(VALU_DEP_2)
	v_ashrrev_i32_e32 v2, 31, v1
	v_or3_b32 v5, v6, v7, v5
	s_delay_alu instid0(VALU_DEP_2) | instskip(SKIP_3) | instid1(VALU_DEP_1)
	v_lshlrev_b64 v[1:2], 1, v[1:2]
	s_waitcnt lgkmcnt(0)
	s_add_u32 s3, s20, s22
	s_addc_u32 s4, s21, s23
	v_add_co_u32 v1, vcc_lo, s3, v1
	s_delay_alu instid0(VALU_DEP_2) | instskip(NEXT) | instid1(VALU_DEP_2)
	v_add_co_ci_u32_e32 v2, vcc_lo, s4, v2, vcc_lo
	v_add_co_u32 v1, vcc_lo, v1, v65
	s_delay_alu instid0(VALU_DEP_2)
	v_add_co_ci_u32_e32 v2, vcc_lo, 0, v2, vcc_lo
	global_load_b128 v[1:4], v[1:2], off
	s_waitcnt vmcnt(0)
	ds_store_b128 v5, v[1:4]
.LBB1203_10:
	s_or_b32 exec_lo, exec_lo, s7
	v_and_b32_e32 v1, 0xef, v0
	s_add_i32 s3, s18, 31
	s_clause 0x1
	s_load_b32 s4, s[0:1], 0x38
	s_load_b32 s33, s[0:1], 0x98
	s_ashr_i32 s7, s3, 31
	v_add_nc_u32_e32 v1, s16, v1
	s_lshr_b32 s7, s7, 27
	s_load_b32 s19, s[0:1], 0x1c
	s_add_i32 s3, s3, s7
	s_waitcnt lgkmcnt(0)
	v_ashrrev_i32_e32 v2, 31, v1
	v_or_b32_e32 v3, 16, v1
	s_ashr_i32 s3, s3, 5
	v_cmp_gt_i32_e32 vcc_lo, s18, v1
	s_add_i32 s3, s3, -1
	v_lshrrev_b32_e32 v2, 27, v2
	s_barrier
	buffer_gl0_inv
	s_mul_i32 s15, s15, s6
	v_mul_lo_u16 v103, v68, 43
	v_add_nc_u32_e32 v4, v1, v2
	v_mbcnt_lo_u32_b32 v127, -1, 0
	s_mul_i32 s20, s34, s4
	s_delay_alu instid0(SALU_CYCLE_1) | instskip(NEXT) | instid1(VALU_DEP_2)
	s_ashr_i32 s21, s20, 31
	v_ashrrev_i32_e32 v4, 5, v4
	v_add_nc_u32_e32 v2, v3, v2
	s_lshl_b64 s[20:21], s[20:21], 2
	v_lshrrev_b16 v103, 8, v103
	s_add_u32 s17, s12, s20
	v_cndmask_b32_e32 v1, s3, v4, vcc_lo
	v_ashrrev_i32_e32 v2, 5, v2
	v_cmp_gt_i32_e32 vcc_lo, s18, v3
	s_addc_u32 s13, s13, s21
	s_ashr_i32 s20, s15, 31
	s_add_u32 s22, s8, s15
	s_addc_u32 s23, s9, s20
	v_cndmask_b32_e32 v3, s3, v2, vcc_lo
	v_ashrrev_i32_e32 v2, 31, v1
	s_lshl_b32 s6, s14, 3
	v_mul_lo_u16 v103, v103, 6
	s_ashr_i32 s7, s6, 31
	v_ashrrev_i32_e32 v4, 31, v3
	v_lshlrev_b64 v[1:2], 2, v[1:2]
	s_lshl_b64 s[6:7], s[6:7], 2
	v_sub_nc_u16 v103, v68, v103
	s_add_u32 s6, s17, s6
	v_lshlrev_b64 v[3:4], 2, v[3:4]
	s_addc_u32 s7, s13, s7
	v_add_co_u32 v1, vcc_lo, s17, v1
	v_add_co_ci_u32_e32 v2, vcc_lo, s13, v2, vcc_lo
	s_delay_alu instid0(VALU_DEP_3) | instskip(NEXT) | instid1(VALU_DEP_4)
	v_add_co_u32 v3, vcc_lo, s17, v3
	v_add_co_ci_u32_e32 v4, vcc_lo, s13, v4, vcc_lo
	s_clause 0x1
	global_load_b32 v5, v[1:2], off
	global_load_b32 v6, v[3:4], off
	s_or_b32 s4, s16, 32
	v_xor_b32_e32 v128, 16, v127
	s_ashr_i32 s8, s4, 5
	s_cmp_lt_i32 s4, s18
	s_cselect_b32 s8, s8, s3
	s_delay_alu instid0(SALU_CYCLE_1) | instskip(NEXT) | instid1(SALU_CYCLE_1)
	s_ashr_i32 s9, s8, 31
	s_lshl_b64 s[8:9], s[8:9], 2
	s_delay_alu instid0(SALU_CYCLE_1) | instskip(SKIP_2) | instid1(SALU_CYCLE_1)
	s_add_u32 s8, s17, s8
	s_addc_u32 s9, s13, s9
	s_or_b32 s4, s16, 64
	s_ashr_i32 s12, s4, 5
	s_cmp_lt_i32 s4, s18
	s_cselect_b32 s24, s12, s3
	s_delay_alu instid0(SALU_CYCLE_1) | instskip(NEXT) | instid1(SALU_CYCLE_1)
	s_ashr_i32 s25, s24, 31
	s_lshl_b64 s[24:25], s[24:25], 2
	s_delay_alu instid0(SALU_CYCLE_1) | instskip(SKIP_2) | instid1(SALU_CYCLE_1)
	s_add_u32 s24, s17, s24
	s_addc_u32 s25, s13, s25
	s_or_b32 s4, s16, 0x60
	;; [unrolled: 10-line block ×4, first 2 shown]
	s_ashr_i32 s12, s4, 5
	s_cmp_lt_i32 s4, s18
	s_cselect_b32 s36, s12, s3
	s_delay_alu instid0(SALU_CYCLE_1) | instskip(NEXT) | instid1(SALU_CYCLE_1)
	s_ashr_i32 s37, s36, 31
	s_lshl_b64 s[36:37], s[36:37], 2
	s_delay_alu instid0(SALU_CYCLE_1)
	s_add_u32 s36, s17, s36
	s_addc_u32 s37, s13, s37
	s_clause 0x5
	s_load_b32 s12, s[6:7], 0x0
	s_load_b32 s4, s[8:9], 0x0
	s_load_b32 s6, s[24:25], 0x0
	s_load_b32 s7, s[26:27], 0x0
	s_load_b32 s8, s[28:29], 0x0
	s_load_b32 s9, s[36:37], 0x0
	s_or_b32 s21, s16, 0xc0
	s_waitcnt vmcnt(1)
	v_mad_i64_i32 v[1:2], null, v5, s5, s[22:23]
	v_lshlrev_b32_e32 v5, 4, v68
	s_waitcnt vmcnt(0)
	v_mad_i64_i32 v[3:4], null, v6, s5, s[22:23]
	s_ashr_i32 s22, s21, 5
	s_cmp_lt_i32 s21, s18
	s_delay_alu instid0(VALU_DEP_3) | instskip(NEXT) | instid1(VALU_DEP_4)
	v_add_co_u32 v1, vcc_lo, v1, v5
	v_add_co_ci_u32_e32 v2, vcc_lo, 0, v2, vcc_lo
	s_delay_alu instid0(VALU_DEP_3) | instskip(NEXT) | instid1(VALU_DEP_4)
	v_add_co_u32 v3, vcc_lo, v3, v5
	v_add_co_ci_u32_e32 v4, vcc_lo, 0, v4, vcc_lo
	s_clause 0x7
	global_load_b128 v[71:74], v[1:2], off
	global_load_b128 v[75:78], v[1:2], off offset:512
	global_load_b128 v[79:82], v[3:4], off offset:256
	;; [unrolled: 1-line block ×7, first 2 shown]
	s_cselect_b32 s22, s22, s3
	v_lshlrev_b32_e32 v1, 5, v68
	s_ashr_i32 s23, s22, 31
	v_cmp_gt_i32_e32 vcc_lo, 32, v128
	s_lshl_b64 s[22:23], s[22:23], 2
	v_and_b32_e32 v103, 0xff, v103
	s_add_u32 s22, s17, s22
	s_addc_u32 s23, s13, s23
	v_cndmask_b32_e32 v136, v127, v128, vcc_lo
	s_or_b32 s21, s16, 0xe0
	v_lshl_or_b32 v1, v69, 9, v1
	s_ashr_i32 s24, s21, 5
	s_cmp_lt_i32 s21, s18
	v_lshlrev_b32_e32 v115, 6, v103
	s_cselect_b32 s24, s24, s3
	s_load_b32 s3, s[22:23], 0x0
	s_ashr_i32 s25, s24, 31
	s_delay_alu instid0(SALU_CYCLE_1) | instskip(NEXT) | instid1(SALU_CYCLE_1)
	s_lshl_b64 s[24:25], s[24:25], 2
	s_add_u32 s22, s17, s24
	s_addc_u32 s23, s13, s25
	s_add_u32 s10, s10, s15
	s_addc_u32 s11, s11, s20
	v_add_co_u32 v1, s10, s10, v1
	s_delay_alu instid0(VALU_DEP_1) | instskip(SKIP_2) | instid1(VALU_DEP_1)
	v_add_co_ci_u32_e64 v2, null, s11, 0, s10
	s_load_b32 s10, s[22:23], 0x0
	s_waitcnt lgkmcnt(0)
	v_mad_i64_i32 v[3:4], null, s12, s5, v[1:2]
	v_mad_i64_i32 v[9:10], null, s7, s5, v[1:2]
	;; [unrolled: 1-line block ×7, first 2 shown]
	s_clause 0x5
	global_load_b128 v[49:52], v[3:4], off
	global_load_b128 v[53:56], v[3:4], off offset:16
	global_load_b128 v[41:44], v[5:6], off
	global_load_b128 v[45:48], v[5:6], off offset:16
	;; [unrolled: 2-line block ×3, first 2 shown]
	s_mov_b32 s4, 0
	v_mad_i64_i32 v[61:62], null, s10, s5, v[1:2]
	s_clause 0x9
	global_load_b128 v[1:4], v[9:10], off
	global_load_b128 v[5:8], v[9:10], off offset:16
	global_load_b128 v[9:12], v[13:14], off
	global_load_b128 v[13:16], v[13:14], off offset:16
	;; [unrolled: 2-line block ×5, first 2 shown]
	s_mov_b32 s5, s4
	s_mov_b32 s6, s4
	;; [unrolled: 1-line block ×7, first 2 shown]
	v_and_b32_e32 v104, 0xe0, v0
	v_dual_mov_b32 v126, s11 :: v_dual_mov_b32 v123, s8
	v_dual_mov_b32 v125, s10 :: v_dual_mov_b32 v124, s9
	s_delay_alu instid0(VALU_DEP_3)
	v_add_nc_u32_e32 v111, s16, v104
	ds_load_b128 v[103:106], v115
	ds_load_b128 v[107:110], v115 offset:1024
	v_dual_mov_b32 v122, s7 :: v_dual_mov_b32 v121, s6
	v_mov_b32_e32 v120, s5
	v_or_b32_e32 v135, v111, v66
	ds_load_b128 v[111:114], v115 offset:2048
	ds_load_b128 v[115:118], v115 offset:3072
	v_mov_b32_e32 v119, s4
	s_waitcnt vmcnt(0) lgkmcnt(0)
	s_barrier
	v_or_b32_e32 v137, 2, v135
	v_or_b32_e32 v138, 4, v135
	;; [unrolled: 1-line block ×3, first 2 shown]
	v_cmp_gt_i32_e32 vcc_lo, s18, v135
	v_or_b32_e32 v140, 8, v135
	v_cmp_gt_i32_e64 s3, s18, v137
	v_or_b32_e32 v141, 10, v135
	v_cmp_gt_i32_e64 s4, s18, v138
	v_cmp_gt_i32_e64 s5, s18, v139
	v_or_b32_e32 v142, 12, v135
	v_or_b32_e32 v143, 14, v135
	v_cmp_gt_i32_e64 s6, s18, v140
	v_cmp_gt_i32_e64 s7, s18, v141
	v_or_b32_e32 v144, 16, v135
	v_or_b32_e32 v145, 18, v135
	v_cmp_gt_i32_e64 s8, s18, v142
	v_cmp_gt_i32_e64 s9, s18, v143
	buffer_gl0_inv
	v_cmp_gt_i32_e64 s10, s18, v144
	v_cmp_gt_i32_e64 s11, s18, v145
	v_wmma_f32_16x16x16_f16 v[127:134], v[71:78], v[103:110], v[119:126]
	v_wmma_f32_16x16x16_f16 v[119:126], v[79:86], v[103:110], v[119:126]
	v_or_b32_e32 v71, 20, v135
	v_or_b32_e32 v72, 22, v135
	s_delay_alu instid0(VALU_DEP_4)
	v_wmma_f32_16x16x16_f16 v[127:134], v[87:94], v[111:118], v[127:134]
	v_or_b32_e32 v73, 24, v135
	v_wmma_f32_16x16x16_f16 v[119:126], v[95:102], v[111:118], v[119:126]
	v_or_b32_e32 v74, 26, v135
	v_cmp_gt_i32_e64 s12, s18, v71
	v_dual_mul_f32 v84, s19, v127 :: v_dual_mul_f32 v83, s19, v128
	s_delay_alu instid0(VALU_DEP_4) | instskip(SKIP_2) | instid1(VALU_DEP_4)
	v_dual_mul_f32 v92, s19, v119 :: v_dual_mul_f32 v81, s19, v130
	v_mul_f32_e32 v90, s19, v121
	v_mul_f32_e32 v82, s19, v129
	v_cndmask_b32_e32 v84, 0xff7fffff, v84, vcc_lo
	v_cndmask_b32_e64 v83, 0xff7fffff, v83, s3
	v_dual_mul_f32 v79, s19, v132 :: v_dual_mul_f32 v88, s19, v123
	v_mul_f32_e32 v80, s19, v131
	v_cndmask_b32_e64 v82, 0xff7fffff, v82, s4
	v_cndmask_b32_e64 v81, 0xff7fffff, v81, s5
	v_max3_f32 v83, v84, 0xff7fffff, v83
	v_dual_mul_f32 v77, s19, v134 :: v_dual_mul_f32 v86, s19, v125
	v_mul_f32_e32 v78, s19, v133
	v_cndmask_b32_e64 v80, 0xff7fffff, v80, s6
	v_cndmask_b32_e64 v79, 0xff7fffff, v79, s7
	v_max3_f32 v81, v83, v82, v81
	v_mul_f32_e32 v91, s19, v120
	v_cndmask_b32_e64 v78, 0xff7fffff, v78, s8
	v_cndmask_b32_e64 v77, 0xff7fffff, v77, s9
	v_mul_f32_e32 v89, s19, v122
	v_max3_f32 v79, v81, v80, v79
	v_cndmask_b32_e64 v80, 0xff7fffff, v92, s10
	v_cndmask_b32_e64 v81, 0xff7fffff, v91, s11
	v_cmp_gt_i32_e64 s13, s18, v72
	v_or_b32_e32 v75, 28, v135
	v_max3_f32 v77, v79, v78, v77
	v_or_b32_e32 v76, 30, v135
	v_mul_f32_e32 v87, s19, v124
	v_cndmask_b32_e64 v71, 0xff7fffff, v90, s12
	v_cndmask_b32_e64 v72, 0xff7fffff, v89, s13
	v_max3_f32 v77, v77, v80, v81
	v_cmp_gt_i32_e64 s15, s18, v73
	v_cmp_gt_i32_e64 s16, s18, v74
	v_mul_f32_e32 v85, s19, v126
	v_cmp_gt_i32_e64 s17, s18, v75
	v_max3_f32 v71, v77, v71, v72
	v_cndmask_b32_e64 v73, 0xff7fffff, v88, s15
	v_cndmask_b32_e64 v74, 0xff7fffff, v87, s16
	v_cmp_gt_i32_e64 s18, s18, v76
	v_cndmask_b32_e64 v72, 0xff7fffff, v86, s17
	s_delay_alu instid0(VALU_DEP_3) | instskip(NEXT) | instid1(VALU_DEP_3)
	v_max3_f32 v71, v71, v73, v74
	v_cndmask_b32_e64 v75, 0xff7fffff, v85, s18
	v_lshlrev_b32_e32 v73, 2, v136
	s_delay_alu instid0(VALU_DEP_2) | instskip(SKIP_3) | instid1(VALU_DEP_1)
	v_max3_f32 v71, v71, v72, v75
	ds_bpermute_b32 v72, v73, v71
	s_waitcnt lgkmcnt(0)
	v_max_f32_e32 v72, v72, v72
	v_max_f32_e32 v71, v71, v72
	s_delay_alu instid0(VALU_DEP_1) | instskip(SKIP_2) | instid1(VALU_DEP_3)
	v_fma_f32 v72, s19, v127, -v71
	v_fma_f32 v74, s19, v128, -v71
	;; [unrolled: 1-line block ×3, first 2 shown]
	v_mul_f32_e32 v72, 0x3fb8aa3b, v72
	s_delay_alu instid0(VALU_DEP_2) | instskip(NEXT) | instid1(VALU_DEP_2)
	v_dual_mul_f32 v74, 0x3fb8aa3b, v74 :: v_dual_mul_f32 v75, 0x3fb8aa3b, v75
	v_exp_f32_e32 v72, v72
	s_delay_alu instid0(VALU_DEP_1) | instskip(NEXT) | instid1(VALU_DEP_1)
	v_exp_f32_e32 v74, v74
	v_exp_f32_e32 v75, v75
	s_delay_alu instid0(TRANS32_DEP_3)
	v_cndmask_b32_e32 v79, 0, v72, vcc_lo
	s_waitcnt_depctr 0xfff
	v_cndmask_b32_e64 v78, 0, v74, s3
	v_cndmask_b32_e64 v81, 0, v75, s4
	s_mov_b32 s3, exec_lo
	v_add_f32_e32 v74, 0, v79
	s_delay_alu instid0(VALU_DEP_1) | instskip(NEXT) | instid1(VALU_DEP_1)
	v_add_f32_e32 v74, v74, v78
	v_add_f32_e32 v74, v74, v81
	v_fma_f32 v76, s19, v130, -v71
	v_fma_f32 v77, s19, v131, -v71
	v_fma_f32 v72, s19, v132, -v71
	v_fma_f32 v80, s19, v133, -v71
	v_fma_f32 v75, s19, v134, -v71
	s_delay_alu instid0(VALU_DEP_4) | instskip(NEXT) | instid1(VALU_DEP_4)
	v_dual_mul_f32 v76, 0x3fb8aa3b, v76 :: v_dual_mul_f32 v77, 0x3fb8aa3b, v77
	v_mul_f32_e32 v72, 0x3fb8aa3b, v72
	s_delay_alu instid0(VALU_DEP_4) | instskip(SKIP_1) | instid1(VALU_DEP_4)
	v_mul_f32_e32 v82, 0x3fb8aa3b, v80
	v_fma_f32 v86, s19, v122, -v71
	v_exp_f32_e32 v76, v76
	v_exp_f32_e32 v77, v77
	;; [unrolled: 1-line block ×4, first 2 shown]
	v_mul_f32_e32 v86, 0x3fb8aa3b, v86
	s_delay_alu instid0(VALU_DEP_1)
	v_exp_f32_e32 v88, v86
	v_cndmask_b32_e64 v80, 0, v76, s5
	v_mul_f32_e32 v75, 0x3fb8aa3b, v75
	v_fma_f32 v76, s19, v119, -v71
	v_cndmask_b32_e64 v83, 0, v77, s6
	v_fma_f32 v77, s19, v120, -v71
	v_add_f32_e32 v74, v74, v80
	v_exp_f32_e32 v75, v75
	v_mul_f32_e32 v76, 0x3fb8aa3b, v76
	v_cndmask_b32_e64 v82, 0, v72, s7
	s_delay_alu instid0(VALU_DEP_3) | instskip(SKIP_1) | instid1(VALU_DEP_4)
	v_dual_mul_f32 v77, 0x3fb8aa3b, v77 :: v_dual_add_f32 v72, v74, v83
	v_fma_f32 v74, s19, v121, -v71
	v_exp_f32_e32 v76, v76
	v_cndmask_b32_e64 v85, 0, v84, s8
	s_delay_alu instid0(VALU_DEP_3) | instskip(SKIP_1) | instid1(TRANS32_DEP_3)
	v_exp_f32_e32 v77, v77
	v_cndmask_b32_e64 v88, 0, v88, s13
	v_cndmask_b32_e64 v84, 0, v75, s9
	v_fma_f32 v75, s19, v123, -v71
	v_add_f32_e32 v72, v72, v82
	s_delay_alu instid0(VALU_DEP_2) | instskip(NEXT) | instid1(VALU_DEP_2)
	v_dual_mul_f32 v74, 0x3fb8aa3b, v74 :: v_dual_mul_f32 v75, 0x3fb8aa3b, v75
	v_add_f32_e32 v72, v72, v85
	s_delay_alu instid0(VALU_DEP_2)
	v_exp_f32_e32 v74, v74
	v_cndmask_b32_e64 v87, 0, v76, s10
	v_fma_f32 v76, s19, v124, -v71
	v_cndmask_b32_e64 v86, 0, v77, s11
	v_add_f32_e32 v72, v72, v84
	v_fma_f32 v77, s19, v125, -v71
	v_exp_f32_e32 v75, v75
	v_mul_f32_e32 v76, 0x3fb8aa3b, v76
	s_delay_alu instid0(VALU_DEP_3) | instskip(NEXT) | instid1(TRANS32_DEP_2)
	v_add_f32_e32 v72, v72, v87
	v_cndmask_b32_e64 v89, 0, v74, s12
	v_mul_f32_e32 v74, 0x3fb8aa3b, v77
	s_delay_alu instid0(VALU_DEP_4) | instskip(SKIP_2) | instid1(VALU_DEP_3)
	v_exp_f32_e32 v76, v76
	v_fma_f32 v77, s19, v126, -v71
	v_add_f32_e32 v72, v72, v86
	v_exp_f32_e32 v74, v74
	s_delay_alu instid0(TRANS32_DEP_3) | instskip(NEXT) | instid1(VALU_DEP_3)
	v_cndmask_b32_e64 v91, 0, v75, s15
	v_mul_f32_e32 v75, 0x3fb8aa3b, v77
	s_delay_alu instid0(VALU_DEP_3) | instskip(NEXT) | instid1(TRANS32_DEP_2)
	v_add_f32_e32 v72, v72, v89
	v_cndmask_b32_e64 v90, 0, v76, s16
	s_delay_alu instid0(VALU_DEP_3) | instskip(NEXT) | instid1(VALU_DEP_2)
	v_exp_f32_e32 v75, v75
	v_add_f32_e32 v72, v72, v88
	s_delay_alu instid0(TRANS32_DEP_2) | instskip(NEXT) | instid1(VALU_DEP_2)
	v_cndmask_b32_e64 v93, 0, v74, s17
	v_add_f32_e32 v72, v72, v91
	s_waitcnt_depctr 0xfff
	v_cndmask_b32_e64 v92, 0, v75, s18
	v_add_f32_e32 v72, v72, v90
	s_delay_alu instid0(VALU_DEP_1) | instskip(NEXT) | instid1(VALU_DEP_1)
	v_add_f32_e32 v72, v72, v93
	v_add_f32_e32 v72, v72, v92
	ds_bpermute_b32 v73, v73, v72
	v_cmpx_gt_u32_e32 16, v70
	s_cbranch_execz .LBB1203_12
; %bb.11:
	v_mul_u32_u24_e32 v70, 0x44, v69
	s_waitcnt lgkmcnt(0)
	v_add_f32_e32 v72, v72, v73
	s_delay_alu instid0(VALU_DEP_2) | instskip(NEXT) | instid1(VALU_DEP_1)
	v_lshl_add_u32 v70, v68, 2, v70
	v_add_nc_u32_e32 v70, 0x4000, v70
	ds_store_2addr_b32 v70, v71, v72 offset1:136
.LBB1203_12:
	s_or_b32 exec_lo, exec_lo, s3
	v_lshlrev_b32_e32 v70, 2, v68
	s_load_b32 s35, s[0:1], 0x94
	s_waitcnt lgkmcnt(0)
	s_barrier
	buffer_gl0_inv
	v_add_nc_u32_e32 v98, 0x4000, v70
	v_cmp_eq_u32_e32 vcc_lo, 1, v69
	v_cmp_eq_u32_e64 s3, 2, v69
	v_cmp_eq_u32_e64 s4, 3, v69
	;; [unrolled: 1-line block ×3, first 2 shown]
	ds_load_2addr_b32 v[70:71], v98 offset1:17
	ds_load_2addr_b32 v[72:73], v98 offset0:34 offset1:51
	ds_load_2addr_b32 v[74:75], v98 offset0:68 offset1:85
	;; [unrolled: 1-line block ×3, first 2 shown]
	v_cmp_eq_u32_e64 s6, 5, v69
	v_cmp_eq_u32_e64 s7, 7, v69
	s_waitcnt lgkmcnt(3)
	v_max3_f32 v76, v70, 0xff7fffff, v71
	s_waitcnt lgkmcnt(2)
	s_delay_alu instid0(VALU_DEP_1) | instskip(SKIP_1) | instid1(VALU_DEP_1)
	v_max3_f32 v76, v76, v72, v73
	s_waitcnt lgkmcnt(1)
	v_max3_f32 v76, v76, v74, v75
	s_waitcnt lgkmcnt(0)
	s_delay_alu instid0(VALU_DEP_1) | instskip(NEXT) | instid1(VALU_DEP_1)
	v_max3_f32 v76, v76, v94, v95
	v_sub_f32_e32 v77, v71, v76
	ds_load_2addr_b32 v[96:97], v98 offset0:136 offset1:153
	v_sub_f32_e32 v74, v74, v76
	v_sub_f32_e32 v70, v70, v76
	;; [unrolled: 1-line block ×3, first 2 shown]
	v_dual_sub_f32 v72, v72, v76 :: v_dual_mul_f32 v77, 0x3fb8aa3b, v77
	s_delay_alu instid0(VALU_DEP_4) | instskip(NEXT) | instid1(VALU_DEP_4)
	v_mul_f32_e32 v103, 0x3fb8aa3b, v74
	v_mul_f32_e32 v99, 0x3fb8aa3b, v70
	ds_load_2addr_b32 v[70:71], v98 offset0:170 offset1:187
	v_dual_mul_f32 v101, 0x3fb8aa3b, v72 :: v_dual_mul_f32 v94, 0x3fb8aa3b, v94
	v_exp_f32_e32 v102, v77
	v_exp_f32_e32 v99, v99
	s_delay_alu instid0(VALU_DEP_1) | instskip(NEXT) | instid1(VALU_DEP_1)
	v_exp_f32_e32 v101, v101
	v_exp_f32_e32 v94, v94
	s_waitcnt lgkmcnt(1)
	s_delay_alu instid0(TRANS32_DEP_3)
	v_fma_f32 v77, v99, v96, 0
	v_sub_f32_e32 v100, v73, v76
	ds_load_2addr_b32 v[72:73], v98 offset0:204 offset1:221
	v_fmac_f32_e32 v77, v102, v97
	v_exp_f32_e32 v97, v103
	s_waitcnt lgkmcnt(1)
	s_delay_alu instid0(VALU_DEP_1)
	v_dual_fmac_f32 v77, v101, v70 :: v_dual_sub_f32 v96, v75, v76
	ds_load_2addr_b32 v[74:75], v98 offset0:238 offset1:255
	v_sub_f32_e32 v70, v95, v76
	s_waitcnt lgkmcnt(0)
	s_barrier
	v_mul_f32_e32 v96, 0x3fb8aa3b, v96
	buffer_gl0_inv
	v_exp_f32_e32 v95, v96
	v_mul_f32_e32 v100, 0x3fb8aa3b, v100
	s_delay_alu instid0(VALU_DEP_1) | instskip(SKIP_3) | instid1(VALU_DEP_2)
	v_exp_f32_e32 v100, v100
	s_waitcnt_depctr 0xfff
	v_dual_fmac_f32 v77, v100, v71 :: v_dual_mul_f32 v70, 0x3fb8aa3b, v70
	v_cndmask_b32_e32 v71, v99, v102, vcc_lo
	v_fmac_f32_e32 v77, v97, v72
	s_delay_alu instid0(VALU_DEP_3) | instskip(NEXT) | instid1(VALU_DEP_1)
	v_exp_f32_e32 v96, v70
	v_fmac_f32_e32 v77, v95, v73
	s_delay_alu instid0(VALU_DEP_1) | instskip(SKIP_2) | instid1(VALU_DEP_1)
	v_fmac_f32_e32 v77, v94, v74
	s_waitcnt_depctr 0xfff
	v_fmac_f32_e32 v77, v96, v75
	v_add_f32_e32 v74, 0x358637bd, v77
	s_delay_alu instid0(VALU_DEP_1) | instskip(SKIP_1) | instid1(VALU_DEP_2)
	v_div_scale_f32 v98, null, v74, v74, 1.0
	v_div_scale_f32 v99, vcc_lo, 1.0, v74, 1.0
	v_rcp_f32_e32 v103, v98
	s_waitcnt_depctr 0xfff
	v_fma_f32 v70, -v98, v103, 1.0
	s_delay_alu instid0(VALU_DEP_1) | instskip(SKIP_2) | instid1(VALU_DEP_2)
	v_fmac_f32_e32 v103, v70, v103
	v_cndmask_b32_e64 v70, v71, v101, s3
	v_cmp_eq_u32_e64 s3, 6, v69
	v_cndmask_b32_e64 v71, v70, v100, s4
	s_delay_alu instid0(VALU_DEP_4) | instskip(NEXT) | instid1(VALU_DEP_2)
	v_dual_mul_f32 v101, v99, v103 :: v_dual_lshlrev_b32 v70, 2, v66
	v_cndmask_b32_e64 v71, v71, v97, s5
	s_delay_alu instid0(VALU_DEP_2) | instskip(NEXT) | instid1(VALU_DEP_3)
	v_or_b32_e32 v72, 1, v70
	v_fma_f32 v100, -v98, v101, v99
	v_cmp_eq_u32_e64 s4, 1, v70
	v_cmp_eq_u32_e64 s5, 2, v70
	v_cndmask_b32_e64 v95, v71, v95, s6
	v_or_b32_e32 v71, 3, v70
	v_fmac_f32_e32 v101, v100, v103
	v_cmp_eq_u32_e64 s9, 1, v72
	v_cmp_eq_u32_e64 s12, 2, v72
	v_cndmask_b32_e64 v94, v95, v94, s3
	v_cmp_eq_u32_e64 s11, 1, v71
	v_fma_f32 v97, -v98, v101, v99
	v_cmp_eq_u32_e64 s16, 2, v71
	v_cmp_eq_u32_e64 s13, 3, v72
	v_cndmask_b32_e64 v94, v94, v96, s7
	v_cmp_eq_u32_e64 s18, 3, v71
	v_div_fmas_f32 v95, v97, v103, v101
	v_cmp_eq_u32_e32 vcc_lo, 3, v70
	v_cmp_eq_u32_e64 s3, 4, v70
	v_cmp_eq_u32_e64 s19, 4, v72
	;; [unrolled: 1-line block ×3, first 2 shown]
	v_div_fixup_f32 v95, v95, v74, 1.0
	v_lshlrev_b32_e32 v73, 6, v68
	v_cmp_eq_u32_e64 s6, 5, v70
	v_cmp_eq_u32_e64 s20, 5, v72
	;; [unrolled: 1-line block ×3, first 2 shown]
	v_mul_f32_e32 v102, v94, v95
	v_lshl_or_b32 v75, v69, 11, v73
	v_or_b32_e32 v69, 2, v70
	v_cmp_eq_u32_e64 s25, 6, v72
	v_cmp_eq_u32_e64 s27, 6, v71
	v_fma_mixlo_f16 v94, v102, v79, 0
	v_fma_mixlo_f16 v95, v102, v81, 0
	;; [unrolled: 1-line block ×8, first 2 shown]
	v_lshl_or_b32 v74, v66, 4, v75
	v_fma_mixhi_f16 v94, v102, v78, 0
	v_fma_mixhi_f16 v95, v102, v80, 0
	;; [unrolled: 1-line block ×8, first 2 shown]
	ds_store_b128 v74, v[94:97]
	ds_store_b128 v74, v[98:101] offset:1024
	s_waitcnt lgkmcnt(0)
	s_barrier
	buffer_gl0_inv
	ds_load_b128 v[78:81], v75
	ds_load_b128 v[82:85], v75 offset:16
	ds_load_b128 v[86:89], v75 offset:1024
	;; [unrolled: 1-line block ×3, first 2 shown]
	v_cmp_eq_u32_e64 s10, 1, v69
	v_cmp_eq_u32_e64 s15, 2, v69
	;; [unrolled: 1-line block ×11, first 2 shown]
	s_waitcnt lgkmcnt(3)
	v_lshrrev_b32_e32 v94, 16, v78
	s_waitcnt lgkmcnt(2)
	v_lshrrev_b32_e32 v98, 16, v82
	;; [unrolled: 2-line block ×4, first 2 shown]
	v_lshrrev_b32_e32 v95, 16, v79
	v_cndmask_b32_e64 v110, v78, v94, s4
	v_cndmask_b32_e64 v111, v82, v98, s4
	;; [unrolled: 1-line block ×8, first 2 shown]
	v_lshrrev_b32_e32 v99, 16, v83
	v_cndmask_b32_e64 v94, v86, v102, s4
	v_cndmask_b32_e64 v98, v90, v106, s4
	;; [unrolled: 1-line block ×15, first 2 shown]
	v_lshrrev_b32_e32 v103, 16, v87
	v_lshrrev_b32_e32 v107, 16, v91
	v_cndmask_b32_e64 v113, v115, v83, s15
	v_cndmask_b32_e64 v82, v94, v87, s5
	;; [unrolled: 1-line block ×7, first 2 shown]
	v_cndmask_b32_e32 v90, v102, v95, vcc_lo
	v_cndmask_b32_e32 v102, v106, v99, vcc_lo
	v_cndmask_b32_e64 v106, v110, v95, s13
	v_cndmask_b32_e64 v110, v111, v99, s13
	;; [unrolled: 1-line block ×4, first 2 shown]
	v_lshrrev_b32_e32 v96, 16, v80
	v_lshrrev_b32_e32 v100, 16, v84
	v_cndmask_b32_e64 v111, v112, v95, s17
	v_cndmask_b32_e64 v112, v113, v99, s17
	v_cndmask_b32_e32 v82, v82, v103, vcc_lo
	v_cndmask_b32_e32 v83, v83, v107, vcc_lo
	v_cndmask_b32_e64 v94, v94, v103, s13
	v_cndmask_b32_e64 v90, v90, v80, s3
	;; [unrolled: 1-line block ×7, first 2 shown]
	v_lshrrev_b32_e32 v104, 16, v88
	v_cndmask_b32_e64 v106, v111, v80, s21
	v_cndmask_b32_e64 v110, v112, v84, s21
	;; [unrolled: 1-line block ×11, first 2 shown]
	v_lshrrev_b32_e32 v97, 16, v81
	v_lshrrev_b32_e32 v101, 16, v85
	v_cndmask_b32_e64 v99, v106, v96, s23
	v_cndmask_b32_e64 v102, v110, v100, s23
	;; [unrolled: 1-line block ×7, first 2 shown]
	v_lshrrev_b32_e32 v105, 16, v89
	v_cndmask_b32_e64 v80, v80, v104, s6
	v_cndmask_b32_e64 v84, v84, v81, s7
	;; [unrolled: 1-line block ×16, first 2 shown]
	v_perm_b32 v81, v79, v78, 0x5040100
	v_perm_b32 v79, v95, v85, 0x5040100
	v_cndmask_b32_e64 v78, v119, v91, s15
	v_cndmask_b32_e64 v85, v117, v91, s12
	;; [unrolled: 1-line block ×3, first 2 shown]
	v_perm_b32 v80, v94, v90, 0x5040100
	v_cndmask_b32_e64 v90, v98, v103, s17
	v_cndmask_b32_e64 v86, v86, v103, s18
	;; [unrolled: 1-line block ×5, first 2 shown]
	v_lshrrev_b32_e32 v108, 16, v92
	v_cndmask_b32_e64 v90, v90, v88, s21
	v_cndmask_b32_e64 v86, v86, v88, s22
	;; [unrolled: 1-line block ×11, first 2 shown]
	v_lshrrev_b32_e32 v109, 16, v93
	v_cndmask_b32_e64 v82, v82, v93, s7
	v_cndmask_b32_e64 v88, v88, v89, s26
	;; [unrolled: 1-line block ×12, first 2 shown]
	v_perm_b32 v78, v84, v83, 0x5040100
	v_perm_b32 v85, v87, v86, 0x5040100
	;; [unrolled: 1-line block ×5, first 2 shown]
	s_mul_i32 s8, s33, 6
	s_mov_b32 s3, exec_lo
	ds_store_b128 v74, v[78:81]
	ds_store_b128 v74, v[82:85] offset:1024
	v_cmpx_gt_u32_e32 6, v0
	s_cbranch_execz .LBB1203_14
; %bb.13:
	s_mul_i32 s4, s8, s34
	s_delay_alu instid0(SALU_CYCLE_1) | instskip(SKIP_1) | instid1(VALU_DEP_1)
	v_add3_u32 v68, s4, s31, v68
	s_load_b128 s[4:7], s[0:1], 0x58
	v_mad_u64_u32 v[78:79], null, v68, s35, s[14:15]
	s_delay_alu instid0(VALU_DEP_1) | instskip(NEXT) | instid1(VALU_DEP_1)
	v_ashrrev_i32_e32 v79, 31, v78
	v_lshlrev_b64 v[78:79], 2, v[78:79]
	s_waitcnt lgkmcnt(0)
	s_delay_alu instid0(VALU_DEP_1) | instskip(NEXT) | instid1(VALU_DEP_2)
	v_add_co_u32 v80, vcc_lo, s6, v78
	v_add_co_ci_u32_e32 v81, vcc_lo, s7, v79, vcc_lo
	v_add_co_u32 v78, vcc_lo, s4, v78
	v_add_co_ci_u32_e32 v79, vcc_lo, s5, v79, vcc_lo
	global_store_b32 v[80:81], v76, off
	global_store_b32 v[78:79], v77, off
.LBB1203_14:
	s_or_b32 exec_lo, exec_lo, s3
	s_waitcnt lgkmcnt(0)
	s_waitcnt_vscnt null, 0x0
	s_barrier
	buffer_gl0_inv
	ds_load_b128 v[84:87], v73
	ds_load_b128 v[88:91], v73 offset:16
	ds_load_b128 v[96:99], v73 offset:2064
	;; [unrolled: 1-line block ×5, first 2 shown]
	v_cmp_eq_u32_e32 vcc_lo, 1, v70
	v_mov_b32_e32 v76, 0
	ds_load_b128 v[112:115], v73 offset:6160
	ds_load_b128 v[108:111], v73 offset:6144
	ds_load_b128 v[120:123], v73 offset:8208
	ds_load_b128 v[116:119], v73 offset:8192
	v_cmp_eq_u32_e64 s4, 1, v69
	v_cmp_eq_u32_e64 s3, 1, v72
	v_cmp_eq_u32_e64 s5, 2, v72
	v_mov_b32_e32 v77, v76
	v_mov_b32_e32 v78, v76
	;; [unrolled: 1-line block ×7, first 2 shown]
	v_cmp_eq_u32_e64 s6, 3, v72
	v_cmp_eq_u32_e64 s7, 7, v72
	s_waitcnt lgkmcnt(8)
	s_delay_alu instid0(VALU_DEP_3)
	v_wmma_f32_16x16x16_f16 v[76:83], v[49:56], v[84:91], v[76:83]
	ds_load_b128 v[53:56], v73 offset:10256
	ds_load_b128 v[49:52], v73 offset:10240
	s_waitcnt lgkmcnt(8)
	v_wmma_f32_16x16x16_f16 v[76:83], v[41:48], v[92:99], v[76:83]
	ds_load_b128 v[45:48], v73 offset:12304
	ds_load_b128 v[41:44], v73 offset:12288
	s_waitcnt lgkmcnt(8)
	;; [unrolled: 4-line block ×3, first 2 shown]
	s_barrier
	buffer_gl0_inv
	v_wmma_f32_16x16x16_f16 v[76:83], v[1:8], v[108:115], v[76:83]
	s_delay_alu instid0(VALU_DEP_1) | instskip(NEXT) | instid1(VALU_DEP_1)
	v_wmma_f32_16x16x16_f16 v[76:83], v[9:16], v[116:123], v[76:83]
	v_wmma_f32_16x16x16_f16 v[76:83], v[17:24], v[49:56], v[76:83]
	s_delay_alu instid0(VALU_DEP_1) | instskip(NEXT) | instid1(VALU_DEP_1)
	v_wmma_f32_16x16x16_f16 v[76:83], v[25:32], v[41:48], v[76:83]
	v_wmma_f32_16x16x16_f16 v[76:83], v[57:64], v[33:40], v[76:83]
	s_delay_alu instid0(VALU_DEP_1) | instskip(NEXT) | instid1(VALU_DEP_2)
	v_cvt_f16_f32_e32 v1, v76
	v_cvt_f16_f32_e32 v2, v77
	s_delay_alu instid0(VALU_DEP_3) | instskip(NEXT) | instid1(VALU_DEP_4)
	v_cvt_f16_f32_e32 v3, v78
	v_cvt_f16_f32_e32 v4, v79
	;; [unrolled: 1-line block ×6, first 2 shown]
	v_pack_b32_f16 v1, v1, v2
	v_pack_b32_f16 v2, v3, v4
	;; [unrolled: 1-line block ×3, first 2 shown]
	s_delay_alu instid0(VALU_DEP_4)
	v_pack_b32_f16 v4, v7, v8
	ds_store_b128 v74, v[1:4]
	s_waitcnt lgkmcnt(0)
	s_barrier
	buffer_gl0_inv
	ds_load_b128 v[1:4], v75
	ds_load_b128 v[5:8], v75 offset:16
	s_waitcnt lgkmcnt(1)
	v_lshrrev_b32_e32 v9, 16, v1
	s_waitcnt lgkmcnt(0)
	v_lshrrev_b32_e32 v13, 16, v5
	v_lshrrev_b32_e32 v10, 16, v2
	v_lshrrev_b32_e32 v14, 16, v6
	v_lshrrev_b32_e32 v11, 16, v3
	v_cndmask_b32_e32 v17, v1, v9, vcc_lo
	v_cndmask_b32_e32 v18, v5, v13, vcc_lo
	v_cndmask_b32_e64 v21, v1, v9, s4
	v_cmp_eq_u32_e32 vcc_lo, 1, v71
	v_cndmask_b32_e64 v22, v5, v13, s4
	v_cmp_eq_u32_e64 s4, 2, v70
	v_cndmask_b32_e64 v19, v1, v9, s3
	v_cndmask_b32_e64 v20, v5, v13, s3
	v_cndmask_b32_e32 v1, v1, v9, vcc_lo
	v_cmp_eq_u32_e64 s3, 2, v71
	v_cndmask_b32_e32 v5, v5, v13, vcc_lo
	v_cndmask_b32_e64 v9, v17, v2, s4
	v_cmp_eq_u32_e32 vcc_lo, 3, v70
	v_cndmask_b32_e64 v13, v18, v6, s4
	v_cmp_eq_u32_e64 s4, 2, v69
	v_cndmask_b32_e64 v17, v19, v2, s5
	v_cndmask_b32_e64 v18, v20, v6, s5
	v_cmp_eq_u32_e64 s5, 3, v69
	v_cndmask_b32_e64 v1, v1, v2, s3
	v_cndmask_b32_e64 v19, v21, v2, s4
	;; [unrolled: 1-line block ×4, first 2 shown]
	v_cndmask_b32_e32 v5, v9, v10, vcc_lo
	v_cndmask_b32_e32 v6, v13, v14, vcc_lo
	v_cmp_eq_u32_e32 vcc_lo, 3, v71
	v_cndmask_b32_e64 v9, v17, v10, s6
	v_cndmask_b32_e64 v13, v18, v14, s6
	;; [unrolled: 1-line block ×3, first 2 shown]
	v_cmp_eq_u32_e64 s4, 4, v70
	v_cndmask_b32_e32 v1, v1, v10, vcc_lo
	v_cndmask_b32_e32 v2, v2, v14, vcc_lo
	v_cmp_eq_u32_e32 vcc_lo, 4, v72
	v_lshrrev_b32_e32 v15, 16, v7
	v_lshrrev_b32_e32 v16, 16, v8
	v_cndmask_b32_e64 v17, v19, v10, s5
	v_cmp_eq_u32_e64 s3, 4, v71
	v_cndmask_b32_e64 v5, v5, v3, s4
	v_cndmask_b32_e64 v6, v6, v7, s4
	v_cndmask_b32_e32 v9, v9, v3, vcc_lo
	v_cmp_eq_u32_e64 s4, 5, v72
	v_cndmask_b32_e32 v10, v13, v7, vcc_lo
	v_cmp_eq_u32_e32 vcc_lo, 4, v69
	v_cmp_eq_u32_e64 s5, 5, v70
	v_cndmask_b32_e64 v2, v2, v7, s3
	v_cndmask_b32_e64 v9, v9, v11, s4
	v_cndmask_b32_e64 v10, v10, v15, s4
	v_cndmask_b32_e32 v13, v17, v3, vcc_lo
	v_cmp_eq_u32_e64 s4, 5, v69
	v_cndmask_b32_e32 v14, v18, v7, vcc_lo
	v_cndmask_b32_e64 v1, v1, v3, s3
	v_cmp_eq_u32_e32 vcc_lo, 5, v71
	v_lshrrev_b32_e32 v12, 16, v4
	v_cndmask_b32_e64 v13, v13, v11, s4
	v_cndmask_b32_e64 v3, v14, v15, s4
	v_cmp_eq_u32_e64 s4, 6, v71
	v_cndmask_b32_e32 v1, v1, v11, vcc_lo
	v_cndmask_b32_e64 v5, v5, v11, s5
	v_cmp_eq_u32_e64 s6, 6, v70
	v_cndmask_b32_e64 v6, v6, v15, s5
	v_cmp_eq_u32_e64 s5, 6, v72
	v_cmp_eq_u32_e64 s3, 6, v69
	v_cndmask_b32_e64 v1, v1, v4, s4
	v_cndmask_b32_e32 v2, v2, v15, vcc_lo
	v_cmp_eq_u32_e32 vcc_lo, 7, v71
	v_cndmask_b32_e64 v5, v5, v4, s6
	v_cndmask_b32_e64 v9, v9, v4, s5
	;; [unrolled: 1-line block ×3, first 2 shown]
	v_cmp_eq_u32_e64 s6, 7, v70
	v_cndmask_b32_e32 v1, v1, v12, vcc_lo
	v_cndmask_b32_e64 v7, v13, v4, s3
	v_cndmask_b32_e64 v3, v3, v8, s3
	;; [unrolled: 1-line block ×3, first 2 shown]
	v_cmp_eq_u32_e64 s3, 7, v69
	v_cndmask_b32_e64 v4, v10, v8, s5
	v_cndmask_b32_e64 v5, v5, v12, s6
	;; [unrolled: 1-line block ×3, first 2 shown]
	v_cndmask_b32_e32 v2, v2, v16, vcc_lo
	v_cndmask_b32_e64 v7, v7, v12, s3
	v_cndmask_b32_e64 v3, v3, v16, s3
	;; [unrolled: 1-line block ×4, first 2 shown]
	v_cmp_gt_u32_e32 vcc_lo, 32, v0
	v_perm_b32 v4, v2, v1, 0x5040100
	v_perm_b32 v3, v3, v7, 0x5040100
	;; [unrolled: 1-line block ×4, first 2 shown]
	s_and_b32 s2, vcc_lo, s2
	ds_store_b128 v74, v[1:4]
	s_waitcnt lgkmcnt(0)
	s_barrier
	buffer_gl0_inv
	s_and_saveexec_b32 s3, s2
	s_cbranch_execz .LBB1203_2
; %bb.15:
	s_load_b64 s[0:1], s[0:1], 0x68
	s_lshl_b32 s4, s35, 6
	v_or_b32_e32 v3, s31, v66
	s_mul_i32 s2, s4, s34
	v_lshlrev_b32_e32 v0, 10, v0
	s_mul_i32 s2, s2, s8
	v_lshlrev_b32_e32 v1, 4, v67
	s_ashr_i32 s3, s2, 31
	v_mul_lo_u32 v12, v3, s4
	s_lshl_b64 s[2:3], s[2:3], 1
	v_lshlrev_b32_e32 v2, 6, v66
	v_and_b32_e32 v0, 0x3800, v0
	s_delay_alu instid0(VALU_DEP_1) | instskip(NEXT) | instid1(VALU_DEP_4)
	v_or3_b32 v8, v0, v1, v2
	v_ashrrev_i32_e32 v13, 31, v12
	ds_load_b128 v[0:3], v8
	ds_load_b128 v[4:7], v8 offset:128
	ds_load_b128 v[8:11], v8 offset:256
	s_waitcnt lgkmcnt(0)
	s_add_u32 s2, s0, s2
	s_addc_u32 s3, s1, s3
	s_lshl_b32 s0, s14, 6
	s_delay_alu instid0(SALU_CYCLE_1) | instskip(NEXT) | instid1(SALU_CYCLE_1)
	s_ashr_i32 s1, s0, 31
	s_lshl_b64 s[0:1], s[0:1], 1
	s_delay_alu instid0(SALU_CYCLE_1)
	s_add_u32 s0, s2, s0
	s_addc_u32 s1, s3, s1
	s_lshl_b32 s2, s35, 7
	v_add_co_u32 v18, s0, s0, v65
	v_add_nc_u32_e32 v14, s2, v12
	v_lshlrev_b64 v[12:13], 1, v[12:13]
	v_add_co_ci_u32_e64 v19, null, s1, 0, s0
	s_delay_alu instid0(VALU_DEP_3) | instskip(SKIP_1) | instid1(VALU_DEP_4)
	v_add_nc_u32_e32 v16, s2, v14
	v_ashrrev_i32_e32 v15, 31, v14
	v_add_co_u32 v12, vcc_lo, v18, v12
	s_delay_alu instid0(VALU_DEP_4) | instskip(NEXT) | instid1(VALU_DEP_4)
	v_add_co_ci_u32_e32 v13, vcc_lo, v19, v13, vcc_lo
	v_ashrrev_i32_e32 v17, 31, v16
	s_delay_alu instid0(VALU_DEP_4) | instskip(NEXT) | instid1(VALU_DEP_2)
	v_lshlrev_b64 v[14:15], 1, v[14:15]
	v_lshlrev_b64 v[16:17], 1, v[16:17]
	s_delay_alu instid0(VALU_DEP_2) | instskip(NEXT) | instid1(VALU_DEP_3)
	v_add_co_u32 v14, vcc_lo, v18, v14
	v_add_co_ci_u32_e32 v15, vcc_lo, v19, v15, vcc_lo
	s_delay_alu instid0(VALU_DEP_3) | instskip(NEXT) | instid1(VALU_DEP_4)
	v_add_co_u32 v16, vcc_lo, v18, v16
	v_add_co_ci_u32_e32 v17, vcc_lo, v19, v17, vcc_lo
	s_clause 0x2
	global_store_b128 v[12:13], v[0:3], off
	global_store_b128 v[14:15], v[4:7], off
	;; [unrolled: 1-line block ×3, first 2 shown]
	s_nop 0
	s_sendmsg sendmsg(MSG_DEALLOC_VGPRS)
	s_endpgm
	.section	.rodata,"a",@progbits
	.p2align	6, 0x0
	.amdhsa_kernel _Z39paged_attention_ll4mi_QKV_mfma16_kernelIDF16_hLN4vllm18Fp8KVCacheDataTypeE1EDF16_Li32ELi64ELi256ELb0ELi6EL8MFMAType0EEvPKT_PKT0_S8_ifPKiSA_SA_iPKfiiiPfSD_PS3_PT2_iSC_SC_
		.amdhsa_group_segment_fixed_size 17472
		.amdhsa_private_segment_fixed_size 0
		.amdhsa_kernarg_size 400
		.amdhsa_user_sgpr_count 13
		.amdhsa_user_sgpr_dispatch_ptr 0
		.amdhsa_user_sgpr_queue_ptr 0
		.amdhsa_user_sgpr_kernarg_segment_ptr 1
		.amdhsa_user_sgpr_dispatch_id 0
		.amdhsa_user_sgpr_private_segment_size 0
		.amdhsa_wavefront_size32 1
		.amdhsa_uses_dynamic_stack 0
		.amdhsa_enable_private_segment 0
		.amdhsa_system_sgpr_workgroup_id_x 1
		.amdhsa_system_sgpr_workgroup_id_y 1
		.amdhsa_system_sgpr_workgroup_id_z 1
		.amdhsa_system_sgpr_workgroup_info 0
		.amdhsa_system_vgpr_workitem_id 0
		.amdhsa_next_free_vgpr 146
		.amdhsa_next_free_sgpr 38
		.amdhsa_reserve_vcc 1
		.amdhsa_float_round_mode_32 0
		.amdhsa_float_round_mode_16_64 0
		.amdhsa_float_denorm_mode_32 3
		.amdhsa_float_denorm_mode_16_64 3
		.amdhsa_dx10_clamp 1
		.amdhsa_ieee_mode 1
		.amdhsa_fp16_overflow 0
		.amdhsa_workgroup_processor_mode 1
		.amdhsa_memory_ordered 1
		.amdhsa_forward_progress 0
		.amdhsa_shared_vgpr_count 0
		.amdhsa_exception_fp_ieee_invalid_op 0
		.amdhsa_exception_fp_denorm_src 0
		.amdhsa_exception_fp_ieee_div_zero 0
		.amdhsa_exception_fp_ieee_overflow 0
		.amdhsa_exception_fp_ieee_underflow 0
		.amdhsa_exception_fp_ieee_inexact 0
		.amdhsa_exception_int_div_zero 0
	.end_amdhsa_kernel
	.section	.text._Z39paged_attention_ll4mi_QKV_mfma16_kernelIDF16_hLN4vllm18Fp8KVCacheDataTypeE1EDF16_Li32ELi64ELi256ELb0ELi6EL8MFMAType0EEvPKT_PKT0_S8_ifPKiSA_SA_iPKfiiiPfSD_PS3_PT2_iSC_SC_,"axG",@progbits,_Z39paged_attention_ll4mi_QKV_mfma16_kernelIDF16_hLN4vllm18Fp8KVCacheDataTypeE1EDF16_Li32ELi64ELi256ELb0ELi6EL8MFMAType0EEvPKT_PKT0_S8_ifPKiSA_SA_iPKfiiiPfSD_PS3_PT2_iSC_SC_,comdat
.Lfunc_end1203:
	.size	_Z39paged_attention_ll4mi_QKV_mfma16_kernelIDF16_hLN4vllm18Fp8KVCacheDataTypeE1EDF16_Li32ELi64ELi256ELb0ELi6EL8MFMAType0EEvPKT_PKT0_S8_ifPKiSA_SA_iPKfiiiPfSD_PS3_PT2_iSC_SC_, .Lfunc_end1203-_Z39paged_attention_ll4mi_QKV_mfma16_kernelIDF16_hLN4vllm18Fp8KVCacheDataTypeE1EDF16_Li32ELi64ELi256ELb0ELi6EL8MFMAType0EEvPKT_PKT0_S8_ifPKiSA_SA_iPKfiiiPfSD_PS3_PT2_iSC_SC_
                                        ; -- End function
	.section	.AMDGPU.csdata,"",@progbits
; Kernel info:
; codeLenInByte = 6452
; NumSgprs: 40
; NumVgprs: 146
; ScratchSize: 0
; MemoryBound: 0
; FloatMode: 240
; IeeeMode: 1
; LDSByteSize: 17472 bytes/workgroup (compile time only)
; SGPRBlocks: 4
; VGPRBlocks: 18
; NumSGPRsForWavesPerEU: 40
; NumVGPRsForWavesPerEU: 146
; Occupancy: 9
; WaveLimiterHint : 1
; COMPUTE_PGM_RSRC2:SCRATCH_EN: 0
; COMPUTE_PGM_RSRC2:USER_SGPR: 13
; COMPUTE_PGM_RSRC2:TRAP_HANDLER: 0
; COMPUTE_PGM_RSRC2:TGID_X_EN: 1
; COMPUTE_PGM_RSRC2:TGID_Y_EN: 1
; COMPUTE_PGM_RSRC2:TGID_Z_EN: 1
; COMPUTE_PGM_RSRC2:TIDIG_COMP_CNT: 0
	.section	.text._Z39paged_attention_ll4mi_QKV_mfma16_kernelIDF16_hLN4vllm18Fp8KVCacheDataTypeE1EDF16_Li32ELi64ELi256ELb0ELi7EL8MFMAType0EEvPKT_PKT0_S8_ifPKiSA_SA_iPKfiiiPfSD_PS3_PT2_iSC_SC_,"axG",@progbits,_Z39paged_attention_ll4mi_QKV_mfma16_kernelIDF16_hLN4vllm18Fp8KVCacheDataTypeE1EDF16_Li32ELi64ELi256ELb0ELi7EL8MFMAType0EEvPKT_PKT0_S8_ifPKiSA_SA_iPKfiiiPfSD_PS3_PT2_iSC_SC_,comdat
	.protected	_Z39paged_attention_ll4mi_QKV_mfma16_kernelIDF16_hLN4vllm18Fp8KVCacheDataTypeE1EDF16_Li32ELi64ELi256ELb0ELi7EL8MFMAType0EEvPKT_PKT0_S8_ifPKiSA_SA_iPKfiiiPfSD_PS3_PT2_iSC_SC_ ; -- Begin function _Z39paged_attention_ll4mi_QKV_mfma16_kernelIDF16_hLN4vllm18Fp8KVCacheDataTypeE1EDF16_Li32ELi64ELi256ELb0ELi7EL8MFMAType0EEvPKT_PKT0_S8_ifPKiSA_SA_iPKfiiiPfSD_PS3_PT2_iSC_SC_
	.globl	_Z39paged_attention_ll4mi_QKV_mfma16_kernelIDF16_hLN4vllm18Fp8KVCacheDataTypeE1EDF16_Li32ELi64ELi256ELb0ELi7EL8MFMAType0EEvPKT_PKT0_S8_ifPKiSA_SA_iPKfiiiPfSD_PS3_PT2_iSC_SC_
	.p2align	8
	.type	_Z39paged_attention_ll4mi_QKV_mfma16_kernelIDF16_hLN4vllm18Fp8KVCacheDataTypeE1EDF16_Li32ELi64ELi256ELb0ELi7EL8MFMAType0EEvPKT_PKT0_S8_ifPKiSA_SA_iPKfiiiPfSD_PS3_PT2_iSC_SC_,@function
_Z39paged_attention_ll4mi_QKV_mfma16_kernelIDF16_hLN4vllm18Fp8KVCacheDataTypeE1EDF16_Li32ELi64ELi256ELb0ELi7EL8MFMAType0EEvPKT_PKT0_S8_ifPKiSA_SA_iPKfiiiPfSD_PS3_PT2_iSC_SC_: ; @_Z39paged_attention_ll4mi_QKV_mfma16_kernelIDF16_hLN4vllm18Fp8KVCacheDataTypeE1EDF16_Li32ELi64ELi256ELb0ELi7EL8MFMAType0EEvPKT_PKT0_S8_ifPKiSA_SA_iPKfiiiPfSD_PS3_PT2_iSC_SC_
; %bb.0:
	s_load_b64 s[2:3], s[0:1], 0x30
	s_mov_b32 s34, s13
	s_waitcnt lgkmcnt(0)
	s_cmp_lg_u64 s[2:3], 0
	s_cselect_b32 s6, -1, 0
	s_ashr_i32 s35, s13, 31
	s_cmp_eq_u64 s[2:3], 0
	s_cbranch_scc1 .LBB1204_3
; %bb.1:
	s_lshl_b64 s[4:5], s[34:35], 2
	s_delay_alu instid0(SALU_CYCLE_1) | instskip(SKIP_4) | instid1(SALU_CYCLE_1)
	s_add_u32 s4, s2, s4
	s_addc_u32 s5, s3, s5
	s_load_b64 s[4:5], s[4:5], 0x0
	s_waitcnt lgkmcnt(0)
	s_sub_i32 s4, s5, s4
	s_cmp_eq_u32 s4, 1
	s_cselect_b32 s4, -1, 0
	s_delay_alu instid0(SALU_CYCLE_1)
	s_and_not1_b32 vcc_lo, exec_lo, s4
	s_cbranch_vccz .LBB1204_4
.LBB1204_2:
	s_nop 0
	s_sendmsg sendmsg(MSG_DEALLOC_VGPRS)
	s_endpgm
.LBB1204_3:
.LBB1204_4:
	s_load_b64 s[8:9], s[0:1], 0x28
	s_lshl_b64 s[4:5], s[34:35], 2
	s_waitcnt lgkmcnt(0)
	s_add_u32 s8, s8, s4
	s_addc_u32 s9, s9, s5
	s_lshl_b32 s16, s14, 8
	s_load_b32 s18, s[8:9], 0x0
	s_waitcnt lgkmcnt(0)
	s_cmp_ge_i32 s16, s18
	s_cbranch_scc1 .LBB1204_2
; %bb.5:
	s_clause 0x1
	s_load_b128 s[8:11], s[0:1], 0x8
	s_load_b64 s[12:13], s[0:1], 0x20
	s_and_not1_b32 vcc_lo, exec_lo, s6
	s_cbranch_vccnz .LBB1204_7
; %bb.6:
	s_add_u32 s2, s2, s4
	s_addc_u32 s3, s3, s5
	s_load_b32 s3, s[2:3], 0x0
	s_branch .LBB1204_8
.LBB1204_7:
	s_mov_b32 s3, s34
.LBB1204_8:
	s_load_b128 s[4:7], s[0:1], 0x48
	v_lshrrev_b32_e32 v69, 5, v0
	v_bfe_u32 v66, v0, 4, 1
	v_and_b32_e32 v68, 15, v0
	v_and_b32_e32 v70, 31, v0
	;; [unrolled: 1-line block ×3, first 2 shown]
	s_mul_i32 s33, s15, 7
	v_lshl_or_b32 v1, v69, 1, v66
	v_lshlrev_b32_e32 v2, 3, v68
	v_cmp_gt_u32_e64 s2, 8, v68
	s_delay_alu instid0(VALU_DEP_3) | instskip(NEXT) | instid1(VALU_DEP_3)
	v_cmp_gt_u32_e32 vcc_lo, 7, v1
	v_lshlrev_b32_e32 v65, 1, v2
	s_delay_alu instid0(VALU_DEP_3)
	s_and_b32 s17, s2, vcc_lo
	s_waitcnt lgkmcnt(0)
	s_and_saveexec_b32 s7, s17
	s_cbranch_execz .LBB1204_10
; %bb.9:
	s_load_b64 s[20:21], s[0:1], 0x0
	v_add_lshl_u32 v2, v1, s33, 6
	s_mul_hi_i32 s23, s3, s4
	s_mul_i32 s22, s3, s4
	v_lshlrev_b32_e32 v6, 10, v68
	s_lshl_b64 s[22:23], s[22:23], 1
	v_ashrrev_i32_e32 v3, 31, v2
	v_lshlrev_b32_e32 v1, 6, v1
	v_lshlrev_b32_e32 v7, 10, v67
	v_and_b32_e32 v6, 0x3800, v6
	s_delay_alu instid0(VALU_DEP_4) | instskip(NEXT) | instid1(VALU_DEP_2)
	v_lshlrev_b64 v[2:3], 1, v[2:3]
	v_or3_b32 v1, v6, v7, v1
	s_waitcnt lgkmcnt(0)
	s_add_u32 s3, s20, s22
	s_addc_u32 s4, s21, s23
	s_delay_alu instid0(VALU_DEP_2) | instskip(SKIP_1) | instid1(VALU_DEP_2)
	v_add_co_u32 v2, vcc_lo, s3, v2
	v_add_co_ci_u32_e32 v3, vcc_lo, s4, v3, vcc_lo
	v_add_co_u32 v2, vcc_lo, v2, v65
	s_delay_alu instid0(VALU_DEP_2)
	v_add_co_ci_u32_e32 v3, vcc_lo, 0, v3, vcc_lo
	global_load_b128 v[2:5], v[2:3], off
	s_waitcnt vmcnt(0)
	ds_store_b128 v1, v[2:5]
.LBB1204_10:
	s_or_b32 exec_lo, exec_lo, s7
	v_and_b32_e32 v1, 0xef, v0
	s_add_i32 s3, s18, 31
	s_clause 0x1
	s_load_b32 s4, s[0:1], 0x38
	s_load_b32 s35, s[0:1], 0x98
	s_ashr_i32 s7, s3, 31
	v_add_nc_u32_e32 v1, s16, v1
	s_lshr_b32 s7, s7, 27
	s_load_b32 s19, s[0:1], 0x1c
	s_add_i32 s3, s3, s7
	s_waitcnt lgkmcnt(0)
	v_ashrrev_i32_e32 v2, 31, v1
	v_or_b32_e32 v3, 16, v1
	s_ashr_i32 s3, s3, 5
	v_cmp_gt_i32_e32 vcc_lo, s18, v1
	s_add_i32 s3, s3, -1
	v_lshrrev_b32_e32 v2, 27, v2
	s_barrier
	buffer_gl0_inv
	s_mul_i32 s15, s15, s6
	v_mul_lo_u16 v103, v68, 37
	v_add_nc_u32_e32 v4, v1, v2
	v_mbcnt_lo_u32_b32 v127, -1, 0
	s_mul_i32 s20, s34, s4
	s_delay_alu instid0(SALU_CYCLE_1) | instskip(NEXT) | instid1(VALU_DEP_2)
	s_ashr_i32 s21, s20, 31
	v_ashrrev_i32_e32 v4, 5, v4
	v_add_nc_u32_e32 v2, v3, v2
	s_lshl_b64 s[20:21], s[20:21], 2
	v_lshrrev_b16 v103, 8, v103
	s_add_u32 s17, s12, s20
	v_cndmask_b32_e32 v1, s3, v4, vcc_lo
	v_ashrrev_i32_e32 v2, 5, v2
	v_cmp_gt_i32_e32 vcc_lo, s18, v3
	s_addc_u32 s13, s13, s21
	s_ashr_i32 s20, s15, 31
	s_add_u32 s22, s8, s15
	s_addc_u32 s23, s9, s20
	v_cndmask_b32_e32 v3, s3, v2, vcc_lo
	v_ashrrev_i32_e32 v2, 31, v1
	s_lshl_b32 s6, s14, 3
	v_mul_lo_u16 v103, v103, 7
	s_ashr_i32 s7, s6, 31
	v_ashrrev_i32_e32 v4, 31, v3
	v_lshlrev_b64 v[1:2], 2, v[1:2]
	s_lshl_b64 s[6:7], s[6:7], 2
	v_sub_nc_u16 v103, v68, v103
	s_add_u32 s6, s17, s6
	v_lshlrev_b64 v[3:4], 2, v[3:4]
	s_addc_u32 s7, s13, s7
	v_add_co_u32 v1, vcc_lo, s17, v1
	v_add_co_ci_u32_e32 v2, vcc_lo, s13, v2, vcc_lo
	s_delay_alu instid0(VALU_DEP_3) | instskip(NEXT) | instid1(VALU_DEP_4)
	v_add_co_u32 v3, vcc_lo, s17, v3
	v_add_co_ci_u32_e32 v4, vcc_lo, s13, v4, vcc_lo
	s_clause 0x1
	global_load_b32 v5, v[1:2], off
	global_load_b32 v6, v[3:4], off
	s_or_b32 s4, s16, 32
	v_xor_b32_e32 v128, 16, v127
	s_ashr_i32 s8, s4, 5
	s_cmp_lt_i32 s4, s18
	s_cselect_b32 s8, s8, s3
	s_delay_alu instid0(SALU_CYCLE_1) | instskip(NEXT) | instid1(SALU_CYCLE_1)
	s_ashr_i32 s9, s8, 31
	s_lshl_b64 s[8:9], s[8:9], 2
	s_delay_alu instid0(SALU_CYCLE_1) | instskip(SKIP_2) | instid1(SALU_CYCLE_1)
	s_add_u32 s8, s17, s8
	s_addc_u32 s9, s13, s9
	s_or_b32 s4, s16, 64
	s_ashr_i32 s12, s4, 5
	s_cmp_lt_i32 s4, s18
	s_cselect_b32 s24, s12, s3
	s_delay_alu instid0(SALU_CYCLE_1) | instskip(NEXT) | instid1(SALU_CYCLE_1)
	s_ashr_i32 s25, s24, 31
	s_lshl_b64 s[24:25], s[24:25], 2
	s_delay_alu instid0(SALU_CYCLE_1) | instskip(SKIP_2) | instid1(SALU_CYCLE_1)
	s_add_u32 s24, s17, s24
	s_addc_u32 s25, s13, s25
	s_or_b32 s4, s16, 0x60
	;; [unrolled: 10-line block ×4, first 2 shown]
	s_ashr_i32 s12, s4, 5
	s_cmp_lt_i32 s4, s18
	s_cselect_b32 s30, s12, s3
	s_delay_alu instid0(SALU_CYCLE_1) | instskip(NEXT) | instid1(SALU_CYCLE_1)
	s_ashr_i32 s31, s30, 31
	s_lshl_b64 s[30:31], s[30:31], 2
	s_delay_alu instid0(SALU_CYCLE_1)
	s_add_u32 s30, s17, s30
	s_addc_u32 s31, s13, s31
	s_clause 0x5
	s_load_b32 s12, s[6:7], 0x0
	s_load_b32 s4, s[8:9], 0x0
	;; [unrolled: 1-line block ×6, first 2 shown]
	s_or_b32 s21, s16, 0xc0
	s_waitcnt vmcnt(1)
	v_mad_i64_i32 v[1:2], null, v5, s5, s[22:23]
	v_lshlrev_b32_e32 v5, 4, v68
	s_waitcnt vmcnt(0)
	v_mad_i64_i32 v[3:4], null, v6, s5, s[22:23]
	s_ashr_i32 s22, s21, 5
	s_cmp_lt_i32 s21, s18
	s_delay_alu instid0(VALU_DEP_3) | instskip(NEXT) | instid1(VALU_DEP_4)
	v_add_co_u32 v1, vcc_lo, v1, v5
	v_add_co_ci_u32_e32 v2, vcc_lo, 0, v2, vcc_lo
	s_delay_alu instid0(VALU_DEP_3) | instskip(NEXT) | instid1(VALU_DEP_4)
	v_add_co_u32 v3, vcc_lo, v3, v5
	v_add_co_ci_u32_e32 v4, vcc_lo, 0, v4, vcc_lo
	s_clause 0x7
	global_load_b128 v[71:74], v[1:2], off
	global_load_b128 v[75:78], v[1:2], off offset:512
	global_load_b128 v[79:82], v[3:4], off offset:256
	global_load_b128 v[83:86], v[3:4], off offset:768
	global_load_b128 v[87:90], v[1:2], off offset:1024
	global_load_b128 v[91:94], v[1:2], off offset:1536
	global_load_b128 v[95:98], v[3:4], off offset:1280
	global_load_b128 v[99:102], v[3:4], off offset:1792
	s_cselect_b32 s22, s22, s3
	v_lshlrev_b32_e32 v1, 5, v68
	s_ashr_i32 s23, s22, 31
	v_cmp_gt_i32_e32 vcc_lo, 32, v128
	s_lshl_b64 s[22:23], s[22:23], 2
	v_and_b32_e32 v103, 0xff, v103
	s_add_u32 s22, s17, s22
	s_addc_u32 s23, s13, s23
	v_cndmask_b32_e32 v136, v127, v128, vcc_lo
	s_or_b32 s21, s16, 0xe0
	v_lshl_or_b32 v1, v69, 9, v1
	s_ashr_i32 s24, s21, 5
	s_cmp_lt_i32 s21, s18
	v_lshlrev_b32_e32 v115, 6, v103
	s_cselect_b32 s24, s24, s3
	s_load_b32 s3, s[22:23], 0x0
	s_ashr_i32 s25, s24, 31
	s_delay_alu instid0(SALU_CYCLE_1) | instskip(NEXT) | instid1(SALU_CYCLE_1)
	s_lshl_b64 s[24:25], s[24:25], 2
	s_add_u32 s22, s17, s24
	s_addc_u32 s23, s13, s25
	s_add_u32 s10, s10, s15
	s_addc_u32 s11, s11, s20
	v_add_co_u32 v1, s10, s10, v1
	s_delay_alu instid0(VALU_DEP_1) | instskip(SKIP_2) | instid1(VALU_DEP_1)
	v_add_co_ci_u32_e64 v2, null, s11, 0, s10
	s_load_b32 s10, s[22:23], 0x0
	s_waitcnt lgkmcnt(0)
	v_mad_i64_i32 v[3:4], null, s12, s5, v[1:2]
	v_mad_i64_i32 v[9:10], null, s7, s5, v[1:2]
	;; [unrolled: 1-line block ×7, first 2 shown]
	s_clause 0x5
	global_load_b128 v[49:52], v[3:4], off
	global_load_b128 v[53:56], v[3:4], off offset:16
	global_load_b128 v[41:44], v[5:6], off
	global_load_b128 v[45:48], v[5:6], off offset:16
	;; [unrolled: 2-line block ×3, first 2 shown]
	s_mov_b32 s4, 0
	v_mad_i64_i32 v[61:62], null, s10, s5, v[1:2]
	s_clause 0x9
	global_load_b128 v[1:4], v[9:10], off
	global_load_b128 v[5:8], v[9:10], off offset:16
	global_load_b128 v[9:12], v[13:14], off
	global_load_b128 v[13:16], v[13:14], off offset:16
	;; [unrolled: 2-line block ×5, first 2 shown]
	s_mov_b32 s5, s4
	s_mov_b32 s6, s4
	;; [unrolled: 1-line block ×7, first 2 shown]
	v_and_b32_e32 v104, 0xe0, v0
	v_dual_mov_b32 v126, s11 :: v_dual_mov_b32 v123, s8
	v_dual_mov_b32 v125, s10 :: v_dual_mov_b32 v124, s9
	s_delay_alu instid0(VALU_DEP_3)
	v_add_nc_u32_e32 v111, s16, v104
	ds_load_b128 v[103:106], v115
	ds_load_b128 v[107:110], v115 offset:1024
	v_dual_mov_b32 v122, s7 :: v_dual_mov_b32 v121, s6
	v_mov_b32_e32 v120, s5
	v_or_b32_e32 v135, v111, v66
	ds_load_b128 v[111:114], v115 offset:2048
	ds_load_b128 v[115:118], v115 offset:3072
	v_mov_b32_e32 v119, s4
	s_waitcnt vmcnt(0) lgkmcnt(0)
	s_barrier
	v_or_b32_e32 v137, 2, v135
	v_or_b32_e32 v138, 4, v135
	;; [unrolled: 1-line block ×3, first 2 shown]
	v_cmp_gt_i32_e32 vcc_lo, s18, v135
	v_or_b32_e32 v140, 8, v135
	v_cmp_gt_i32_e64 s3, s18, v137
	v_or_b32_e32 v141, 10, v135
	v_cmp_gt_i32_e64 s4, s18, v138
	v_cmp_gt_i32_e64 s5, s18, v139
	v_or_b32_e32 v142, 12, v135
	v_or_b32_e32 v143, 14, v135
	v_cmp_gt_i32_e64 s6, s18, v140
	v_cmp_gt_i32_e64 s7, s18, v141
	v_or_b32_e32 v144, 16, v135
	v_or_b32_e32 v145, 18, v135
	v_cmp_gt_i32_e64 s8, s18, v142
	v_cmp_gt_i32_e64 s9, s18, v143
	buffer_gl0_inv
	v_cmp_gt_i32_e64 s10, s18, v144
	v_cmp_gt_i32_e64 s11, s18, v145
	v_wmma_f32_16x16x16_f16 v[127:134], v[71:78], v[103:110], v[119:126]
	v_wmma_f32_16x16x16_f16 v[119:126], v[79:86], v[103:110], v[119:126]
	v_or_b32_e32 v71, 20, v135
	v_or_b32_e32 v72, 22, v135
	s_delay_alu instid0(VALU_DEP_4)
	v_wmma_f32_16x16x16_f16 v[127:134], v[87:94], v[111:118], v[127:134]
	v_or_b32_e32 v73, 24, v135
	v_wmma_f32_16x16x16_f16 v[119:126], v[95:102], v[111:118], v[119:126]
	v_or_b32_e32 v74, 26, v135
	v_cmp_gt_i32_e64 s12, s18, v71
	v_dual_mul_f32 v84, s19, v127 :: v_dual_mul_f32 v83, s19, v128
	s_delay_alu instid0(VALU_DEP_4) | instskip(SKIP_2) | instid1(VALU_DEP_4)
	v_dual_mul_f32 v92, s19, v119 :: v_dual_mul_f32 v81, s19, v130
	v_mul_f32_e32 v90, s19, v121
	v_mul_f32_e32 v82, s19, v129
	v_cndmask_b32_e32 v84, 0xff7fffff, v84, vcc_lo
	v_cndmask_b32_e64 v83, 0xff7fffff, v83, s3
	v_dual_mul_f32 v79, s19, v132 :: v_dual_mul_f32 v88, s19, v123
	v_mul_f32_e32 v80, s19, v131
	v_cndmask_b32_e64 v82, 0xff7fffff, v82, s4
	v_cndmask_b32_e64 v81, 0xff7fffff, v81, s5
	v_max3_f32 v83, v84, 0xff7fffff, v83
	v_dual_mul_f32 v77, s19, v134 :: v_dual_mul_f32 v86, s19, v125
	v_mul_f32_e32 v78, s19, v133
	v_cndmask_b32_e64 v80, 0xff7fffff, v80, s6
	v_cndmask_b32_e64 v79, 0xff7fffff, v79, s7
	v_max3_f32 v81, v83, v82, v81
	v_mul_f32_e32 v91, s19, v120
	v_cndmask_b32_e64 v78, 0xff7fffff, v78, s8
	v_cndmask_b32_e64 v77, 0xff7fffff, v77, s9
	v_mul_f32_e32 v89, s19, v122
	v_max3_f32 v79, v81, v80, v79
	v_cndmask_b32_e64 v80, 0xff7fffff, v92, s10
	v_cndmask_b32_e64 v81, 0xff7fffff, v91, s11
	v_cmp_gt_i32_e64 s13, s18, v72
	v_or_b32_e32 v75, 28, v135
	v_max3_f32 v77, v79, v78, v77
	v_or_b32_e32 v76, 30, v135
	v_mul_f32_e32 v87, s19, v124
	v_cndmask_b32_e64 v71, 0xff7fffff, v90, s12
	v_cndmask_b32_e64 v72, 0xff7fffff, v89, s13
	v_max3_f32 v77, v77, v80, v81
	v_cmp_gt_i32_e64 s15, s18, v73
	v_cmp_gt_i32_e64 s16, s18, v74
	v_mul_f32_e32 v85, s19, v126
	v_cmp_gt_i32_e64 s17, s18, v75
	v_max3_f32 v71, v77, v71, v72
	v_cndmask_b32_e64 v73, 0xff7fffff, v88, s15
	v_cndmask_b32_e64 v74, 0xff7fffff, v87, s16
	v_cmp_gt_i32_e64 s18, s18, v76
	v_cndmask_b32_e64 v72, 0xff7fffff, v86, s17
	s_delay_alu instid0(VALU_DEP_3) | instskip(NEXT) | instid1(VALU_DEP_3)
	v_max3_f32 v71, v71, v73, v74
	v_cndmask_b32_e64 v75, 0xff7fffff, v85, s18
	v_lshlrev_b32_e32 v73, 2, v136
	s_delay_alu instid0(VALU_DEP_2) | instskip(SKIP_3) | instid1(VALU_DEP_1)
	v_max3_f32 v71, v71, v72, v75
	ds_bpermute_b32 v72, v73, v71
	s_waitcnt lgkmcnt(0)
	v_max_f32_e32 v72, v72, v72
	v_max_f32_e32 v71, v71, v72
	s_delay_alu instid0(VALU_DEP_1) | instskip(SKIP_2) | instid1(VALU_DEP_3)
	v_fma_f32 v72, s19, v127, -v71
	v_fma_f32 v74, s19, v128, -v71
	;; [unrolled: 1-line block ×3, first 2 shown]
	v_mul_f32_e32 v72, 0x3fb8aa3b, v72
	s_delay_alu instid0(VALU_DEP_2) | instskip(NEXT) | instid1(VALU_DEP_2)
	v_dual_mul_f32 v74, 0x3fb8aa3b, v74 :: v_dual_mul_f32 v75, 0x3fb8aa3b, v75
	v_exp_f32_e32 v72, v72
	s_delay_alu instid0(VALU_DEP_1) | instskip(NEXT) | instid1(VALU_DEP_1)
	v_exp_f32_e32 v74, v74
	v_exp_f32_e32 v75, v75
	s_delay_alu instid0(TRANS32_DEP_3)
	v_cndmask_b32_e32 v79, 0, v72, vcc_lo
	s_waitcnt_depctr 0xfff
	v_cndmask_b32_e64 v78, 0, v74, s3
	v_cndmask_b32_e64 v81, 0, v75, s4
	v_cmp_gt_u32_e64 s3, 16, v70
	v_add_f32_e32 v74, 0, v79
	s_delay_alu instid0(VALU_DEP_1) | instskip(NEXT) | instid1(VALU_DEP_1)
	v_add_f32_e32 v74, v74, v78
	v_add_f32_e32 v74, v74, v81
	v_fma_f32 v76, s19, v130, -v71
	v_fma_f32 v77, s19, v131, -v71
	;; [unrolled: 1-line block ×5, first 2 shown]
	s_delay_alu instid0(VALU_DEP_4) | instskip(NEXT) | instid1(VALU_DEP_4)
	v_dual_mul_f32 v76, 0x3fb8aa3b, v76 :: v_dual_mul_f32 v77, 0x3fb8aa3b, v77
	v_mul_f32_e32 v72, 0x3fb8aa3b, v72
	s_delay_alu instid0(VALU_DEP_4) | instskip(SKIP_1) | instid1(VALU_DEP_4)
	v_mul_f32_e32 v82, 0x3fb8aa3b, v80
	v_fma_f32 v86, s19, v122, -v71
	v_exp_f32_e32 v76, v76
	v_exp_f32_e32 v77, v77
	;; [unrolled: 1-line block ×4, first 2 shown]
	v_mul_f32_e32 v86, 0x3fb8aa3b, v86
	s_delay_alu instid0(VALU_DEP_1)
	v_exp_f32_e32 v88, v86
	v_cndmask_b32_e64 v80, 0, v76, s5
	v_mul_f32_e32 v75, 0x3fb8aa3b, v75
	v_fma_f32 v76, s19, v119, -v71
	v_cndmask_b32_e64 v83, 0, v77, s6
	v_fma_f32 v77, s19, v120, -v71
	v_add_f32_e32 v74, v74, v80
	v_exp_f32_e32 v75, v75
	v_mul_f32_e32 v76, 0x3fb8aa3b, v76
	v_cndmask_b32_e64 v82, 0, v72, s7
	s_delay_alu instid0(VALU_DEP_3) | instskip(SKIP_1) | instid1(VALU_DEP_4)
	v_dual_mul_f32 v77, 0x3fb8aa3b, v77 :: v_dual_add_f32 v72, v74, v83
	v_fma_f32 v74, s19, v121, -v71
	v_exp_f32_e32 v76, v76
	v_cndmask_b32_e64 v85, 0, v84, s8
	s_delay_alu instid0(VALU_DEP_3) | instskip(SKIP_1) | instid1(TRANS32_DEP_3)
	v_exp_f32_e32 v77, v77
	v_cndmask_b32_e64 v88, 0, v88, s13
	v_cndmask_b32_e64 v84, 0, v75, s9
	v_fma_f32 v75, s19, v123, -v71
	v_add_f32_e32 v72, v72, v82
	s_delay_alu instid0(VALU_DEP_2) | instskip(NEXT) | instid1(VALU_DEP_2)
	v_dual_mul_f32 v74, 0x3fb8aa3b, v74 :: v_dual_mul_f32 v75, 0x3fb8aa3b, v75
	v_add_f32_e32 v72, v72, v85
	s_delay_alu instid0(VALU_DEP_2)
	v_exp_f32_e32 v74, v74
	v_cndmask_b32_e64 v87, 0, v76, s10
	v_fma_f32 v76, s19, v124, -v71
	v_cndmask_b32_e64 v86, 0, v77, s11
	v_add_f32_e32 v72, v72, v84
	v_fma_f32 v77, s19, v125, -v71
	v_exp_f32_e32 v75, v75
	v_mul_f32_e32 v76, 0x3fb8aa3b, v76
	s_delay_alu instid0(VALU_DEP_3) | instskip(NEXT) | instid1(TRANS32_DEP_2)
	v_add_f32_e32 v72, v72, v87
	v_cndmask_b32_e64 v89, 0, v74, s12
	v_mul_f32_e32 v74, 0x3fb8aa3b, v77
	s_delay_alu instid0(VALU_DEP_4) | instskip(SKIP_2) | instid1(VALU_DEP_3)
	v_exp_f32_e32 v76, v76
	v_fma_f32 v77, s19, v126, -v71
	v_add_f32_e32 v72, v72, v86
	v_exp_f32_e32 v74, v74
	s_delay_alu instid0(TRANS32_DEP_3) | instskip(NEXT) | instid1(VALU_DEP_3)
	v_cndmask_b32_e64 v91, 0, v75, s15
	v_mul_f32_e32 v75, 0x3fb8aa3b, v77
	s_delay_alu instid0(VALU_DEP_3) | instskip(NEXT) | instid1(TRANS32_DEP_2)
	v_add_f32_e32 v72, v72, v89
	v_cndmask_b32_e64 v90, 0, v76, s16
	s_delay_alu instid0(VALU_DEP_3) | instskip(NEXT) | instid1(VALU_DEP_2)
	v_exp_f32_e32 v75, v75
	v_add_f32_e32 v72, v72, v88
	s_delay_alu instid0(TRANS32_DEP_2) | instskip(NEXT) | instid1(VALU_DEP_2)
	v_cndmask_b32_e64 v93, 0, v74, s17
	v_add_f32_e32 v72, v72, v91
	s_waitcnt_depctr 0xfff
	v_cndmask_b32_e64 v92, 0, v75, s18
	v_add_f32_e32 v72, v72, v90
	s_delay_alu instid0(VALU_DEP_1) | instskip(NEXT) | instid1(VALU_DEP_1)
	v_add_f32_e32 v72, v72, v93
	v_add_f32_e32 v72, v72, v92
	ds_bpermute_b32 v73, v73, v72
	s_and_saveexec_b32 s4, s3
	s_cbranch_execz .LBB1204_12
; %bb.11:
	v_mul_u32_u24_e32 v70, 0x44, v69
	s_waitcnt lgkmcnt(0)
	v_add_f32_e32 v72, v72, v73
	s_delay_alu instid0(VALU_DEP_2) | instskip(NEXT) | instid1(VALU_DEP_1)
	v_lshl_add_u32 v70, v68, 2, v70
	v_add_nc_u32_e32 v70, 0x4000, v70
	ds_store_2addr_b32 v70, v71, v72 offset1:136
.LBB1204_12:
	s_or_b32 exec_lo, exec_lo, s4
	v_lshlrev_b32_e32 v70, 2, v68
	s_load_b32 s36, s[0:1], 0x94
	s_waitcnt lgkmcnt(0)
	s_barrier
	buffer_gl0_inv
	v_add_nc_u32_e32 v98, 0x4000, v70
	v_cmp_eq_u32_e32 vcc_lo, 1, v69
	v_cmp_eq_u32_e64 s4, 2, v69
	v_cmp_eq_u32_e64 s5, 3, v69
	;; [unrolled: 1-line block ×3, first 2 shown]
	ds_load_2addr_b32 v[70:71], v98 offset1:17
	ds_load_2addr_b32 v[72:73], v98 offset0:34 offset1:51
	ds_load_2addr_b32 v[74:75], v98 offset0:68 offset1:85
	;; [unrolled: 1-line block ×3, first 2 shown]
	v_cmp_eq_u32_e64 s7, 5, v69
	v_cmp_eq_u32_e64 s8, 7, v69
	s_waitcnt lgkmcnt(3)
	v_max3_f32 v76, v70, 0xff7fffff, v71
	s_waitcnt lgkmcnt(2)
	s_delay_alu instid0(VALU_DEP_1) | instskip(SKIP_1) | instid1(VALU_DEP_1)
	v_max3_f32 v76, v76, v72, v73
	s_waitcnt lgkmcnt(1)
	v_max3_f32 v76, v76, v74, v75
	s_waitcnt lgkmcnt(0)
	s_delay_alu instid0(VALU_DEP_1) | instskip(NEXT) | instid1(VALU_DEP_1)
	v_max3_f32 v76, v76, v94, v95
	v_sub_f32_e32 v77, v71, v76
	ds_load_2addr_b32 v[96:97], v98 offset0:136 offset1:153
	v_sub_f32_e32 v74, v74, v76
	v_sub_f32_e32 v70, v70, v76
	;; [unrolled: 1-line block ×3, first 2 shown]
	v_dual_sub_f32 v72, v72, v76 :: v_dual_mul_f32 v77, 0x3fb8aa3b, v77
	s_delay_alu instid0(VALU_DEP_4) | instskip(NEXT) | instid1(VALU_DEP_4)
	v_mul_f32_e32 v103, 0x3fb8aa3b, v74
	v_mul_f32_e32 v99, 0x3fb8aa3b, v70
	ds_load_2addr_b32 v[70:71], v98 offset0:170 offset1:187
	v_dual_mul_f32 v101, 0x3fb8aa3b, v72 :: v_dual_mul_f32 v94, 0x3fb8aa3b, v94
	v_exp_f32_e32 v102, v77
	v_exp_f32_e32 v99, v99
	s_delay_alu instid0(VALU_DEP_1) | instskip(NEXT) | instid1(VALU_DEP_1)
	v_exp_f32_e32 v101, v101
	v_exp_f32_e32 v94, v94
	s_waitcnt lgkmcnt(1)
	s_delay_alu instid0(TRANS32_DEP_3)
	v_fma_f32 v77, v99, v96, 0
	v_sub_f32_e32 v100, v73, v76
	ds_load_2addr_b32 v[72:73], v98 offset0:204 offset1:221
	v_fmac_f32_e32 v77, v102, v97
	v_exp_f32_e32 v97, v103
	s_waitcnt lgkmcnt(1)
	s_delay_alu instid0(VALU_DEP_1)
	v_dual_fmac_f32 v77, v101, v70 :: v_dual_sub_f32 v96, v75, v76
	ds_load_2addr_b32 v[74:75], v98 offset0:238 offset1:255
	v_sub_f32_e32 v70, v95, v76
	s_waitcnt lgkmcnt(0)
	s_barrier
	v_mul_f32_e32 v96, 0x3fb8aa3b, v96
	buffer_gl0_inv
	v_exp_f32_e32 v95, v96
	v_mul_f32_e32 v100, 0x3fb8aa3b, v100
	s_delay_alu instid0(VALU_DEP_1) | instskip(SKIP_3) | instid1(VALU_DEP_2)
	v_exp_f32_e32 v100, v100
	s_waitcnt_depctr 0xfff
	v_dual_fmac_f32 v77, v100, v71 :: v_dual_mul_f32 v70, 0x3fb8aa3b, v70
	v_cndmask_b32_e32 v71, v99, v102, vcc_lo
	v_fmac_f32_e32 v77, v97, v72
	s_delay_alu instid0(VALU_DEP_3) | instskip(NEXT) | instid1(VALU_DEP_1)
	v_exp_f32_e32 v96, v70
	v_fmac_f32_e32 v77, v95, v73
	s_delay_alu instid0(VALU_DEP_1) | instskip(SKIP_2) | instid1(VALU_DEP_1)
	v_fmac_f32_e32 v77, v94, v74
	s_waitcnt_depctr 0xfff
	v_fmac_f32_e32 v77, v96, v75
	v_add_f32_e32 v74, 0x358637bd, v77
	s_delay_alu instid0(VALU_DEP_1) | instskip(SKIP_1) | instid1(VALU_DEP_2)
	v_div_scale_f32 v98, null, v74, v74, 1.0
	v_div_scale_f32 v99, vcc_lo, 1.0, v74, 1.0
	v_rcp_f32_e32 v103, v98
	s_waitcnt_depctr 0xfff
	v_fma_f32 v70, -v98, v103, 1.0
	s_delay_alu instid0(VALU_DEP_1) | instskip(SKIP_2) | instid1(VALU_DEP_2)
	v_fmac_f32_e32 v103, v70, v103
	v_cndmask_b32_e64 v70, v71, v101, s4
	v_cmp_eq_u32_e64 s4, 6, v69
	v_cndmask_b32_e64 v71, v70, v100, s5
	s_delay_alu instid0(VALU_DEP_4) | instskip(NEXT) | instid1(VALU_DEP_2)
	v_dual_mul_f32 v101, v99, v103 :: v_dual_lshlrev_b32 v70, 2, v66
	v_cndmask_b32_e64 v71, v71, v97, s6
	s_delay_alu instid0(VALU_DEP_2) | instskip(NEXT) | instid1(VALU_DEP_3)
	v_or_b32_e32 v72, 1, v70
	v_fma_f32 v100, -v98, v101, v99
	v_cmp_eq_u32_e64 s5, 1, v70
	v_cmp_eq_u32_e64 s6, 2, v70
	v_cndmask_b32_e64 v95, v71, v95, s7
	v_or_b32_e32 v71, 3, v70
	v_fmac_f32_e32 v101, v100, v103
	v_cmp_eq_u32_e64 s10, 1, v72
	v_cmp_eq_u32_e64 s13, 2, v72
	v_cndmask_b32_e64 v94, v95, v94, s4
	v_cmp_eq_u32_e64 s12, 1, v71
	v_fma_f32 v97, -v98, v101, v99
	v_cmp_eq_u32_e64 s17, 2, v71
	v_cmp_eq_u32_e64 s15, 3, v72
	v_cndmask_b32_e64 v94, v94, v96, s8
	v_cmp_eq_u32_e64 s19, 3, v71
	v_div_fmas_f32 v95, v97, v103, v101
	v_cmp_eq_u32_e32 vcc_lo, 3, v70
	v_cmp_eq_u32_e64 s4, 4, v70
	v_cmp_eq_u32_e64 s20, 4, v72
	;; [unrolled: 1-line block ×3, first 2 shown]
	v_div_fixup_f32 v95, v95, v74, 1.0
	v_lshlrev_b32_e32 v73, 6, v68
	v_cmp_eq_u32_e64 s7, 5, v70
	v_cmp_eq_u32_e64 s21, 5, v72
	;; [unrolled: 1-line block ×3, first 2 shown]
	v_mul_f32_e32 v102, v94, v95
	v_lshl_or_b32 v75, v69, 11, v73
	v_or_b32_e32 v69, 2, v70
	v_cmp_eq_u32_e64 s26, 6, v72
	v_cmp_eq_u32_e64 s28, 6, v71
	v_fma_mixlo_f16 v94, v102, v79, 0
	v_fma_mixlo_f16 v95, v102, v81, 0
	;; [unrolled: 1-line block ×8, first 2 shown]
	v_lshl_or_b32 v74, v66, 4, v75
	v_fma_mixhi_f16 v94, v102, v78, 0
	v_fma_mixhi_f16 v95, v102, v80, 0
	;; [unrolled: 1-line block ×8, first 2 shown]
	ds_store_b128 v74, v[94:97]
	ds_store_b128 v74, v[98:101] offset:1024
	s_waitcnt lgkmcnt(0)
	s_barrier
	buffer_gl0_inv
	ds_load_b128 v[78:81], v75
	ds_load_b128 v[82:85], v75 offset:16
	ds_load_b128 v[86:89], v75 offset:1024
	;; [unrolled: 1-line block ×3, first 2 shown]
	v_cmp_eq_u32_e64 s11, 1, v69
	v_cmp_eq_u32_e64 s16, 2, v69
	;; [unrolled: 1-line block ×11, first 2 shown]
	s_waitcnt lgkmcnt(3)
	v_lshrrev_b32_e32 v94, 16, v78
	s_waitcnt lgkmcnt(2)
	v_lshrrev_b32_e32 v98, 16, v82
	;; [unrolled: 2-line block ×4, first 2 shown]
	v_lshrrev_b32_e32 v95, 16, v79
	v_cndmask_b32_e64 v110, v78, v94, s5
	v_cndmask_b32_e64 v111, v82, v98, s5
	;; [unrolled: 1-line block ×8, first 2 shown]
	v_lshrrev_b32_e32 v99, 16, v83
	v_cndmask_b32_e64 v94, v86, v102, s5
	v_cndmask_b32_e64 v98, v90, v106, s5
	;; [unrolled: 1-line block ×15, first 2 shown]
	v_lshrrev_b32_e32 v103, 16, v87
	v_lshrrev_b32_e32 v107, 16, v91
	v_cndmask_b32_e64 v113, v115, v83, s16
	v_cndmask_b32_e64 v82, v94, v87, s6
	;; [unrolled: 1-line block ×7, first 2 shown]
	v_cndmask_b32_e32 v90, v102, v95, vcc_lo
	v_cndmask_b32_e32 v102, v106, v99, vcc_lo
	v_cndmask_b32_e64 v106, v110, v95, s15
	v_cndmask_b32_e64 v110, v111, v99, s15
	v_cndmask_b32_e64 v78, v78, v95, s19
	v_cndmask_b32_e64 v79, v79, v99, s19
	v_lshrrev_b32_e32 v96, 16, v80
	v_lshrrev_b32_e32 v100, 16, v84
	v_cndmask_b32_e64 v111, v112, v95, s18
	v_cndmask_b32_e64 v112, v113, v99, s18
	v_cndmask_b32_e32 v82, v82, v103, vcc_lo
	v_cndmask_b32_e32 v83, v83, v107, vcc_lo
	v_cndmask_b32_e64 v94, v94, v103, s15
	v_cndmask_b32_e64 v90, v90, v80, s4
	;; [unrolled: 1-line block ×7, first 2 shown]
	v_lshrrev_b32_e32 v104, 16, v88
	v_cndmask_b32_e64 v106, v111, v80, s22
	v_cndmask_b32_e64 v110, v112, v84, s22
	;; [unrolled: 1-line block ×11, first 2 shown]
	v_lshrrev_b32_e32 v97, 16, v81
	v_lshrrev_b32_e32 v101, 16, v85
	v_cndmask_b32_e64 v99, v106, v96, s24
	v_cndmask_b32_e64 v102, v110, v100, s24
	;; [unrolled: 1-line block ×7, first 2 shown]
	v_lshrrev_b32_e32 v105, 16, v89
	v_cndmask_b32_e64 v80, v80, v104, s7
	v_cndmask_b32_e64 v84, v84, v81, s8
	;; [unrolled: 1-line block ×16, first 2 shown]
	v_perm_b32 v81, v79, v78, 0x5040100
	v_perm_b32 v79, v95, v85, 0x5040100
	v_cndmask_b32_e64 v78, v119, v91, s16
	v_cndmask_b32_e64 v85, v117, v91, s13
	;; [unrolled: 1-line block ×3, first 2 shown]
	v_perm_b32 v80, v94, v90, 0x5040100
	v_cndmask_b32_e64 v90, v98, v103, s18
	v_cndmask_b32_e64 v86, v86, v103, s19
	;; [unrolled: 1-line block ×5, first 2 shown]
	v_lshrrev_b32_e32 v108, 16, v92
	v_cndmask_b32_e64 v90, v90, v88, s22
	v_cndmask_b32_e64 v86, v86, v88, s23
	;; [unrolled: 1-line block ×11, first 2 shown]
	v_lshrrev_b32_e32 v109, 16, v93
	v_cndmask_b32_e64 v82, v82, v93, s8
	v_cndmask_b32_e64 v88, v88, v89, s27
	;; [unrolled: 1-line block ×12, first 2 shown]
	v_perm_b32 v78, v84, v83, 0x5040100
	v_perm_b32 v85, v87, v86, 0x5040100
	v_perm_b32 v84, v89, v88, 0x5040100
	v_perm_b32 v83, v90, v97, 0x5040100
	v_perm_b32 v82, v82, v96, 0x5040100
	s_mul_i32 s9, s35, 7
	s_mov_b32 s4, exec_lo
	ds_store_b128 v74, v[78:81]
	ds_store_b128 v74, v[82:85] offset:1024
	v_cmpx_gt_u32_e32 7, v0
	s_cbranch_execz .LBB1204_14
; %bb.13:
	s_mul_i32 s5, s9, s34
	s_load_b128 s[16:19], s[0:1], 0x58
	v_add3_u32 v68, s5, s33, v68
	s_delay_alu instid0(VALU_DEP_1) | instskip(NEXT) | instid1(VALU_DEP_1)
	v_mad_u64_u32 v[78:79], null, v68, s36, s[14:15]
	v_ashrrev_i32_e32 v79, 31, v78
	s_delay_alu instid0(VALU_DEP_1) | instskip(SKIP_1) | instid1(VALU_DEP_1)
	v_lshlrev_b64 v[78:79], 2, v[78:79]
	s_waitcnt lgkmcnt(0)
	v_add_co_u32 v80, vcc_lo, s18, v78
	s_delay_alu instid0(VALU_DEP_2)
	v_add_co_ci_u32_e32 v81, vcc_lo, s19, v79, vcc_lo
	v_add_co_u32 v78, vcc_lo, s16, v78
	v_add_co_ci_u32_e32 v79, vcc_lo, s17, v79, vcc_lo
	global_store_b32 v[80:81], v76, off
	global_store_b32 v[78:79], v77, off
.LBB1204_14:
	s_or_b32 exec_lo, exec_lo, s4
	s_waitcnt lgkmcnt(0)
	s_waitcnt_vscnt null, 0x0
	s_barrier
	buffer_gl0_inv
	ds_load_b128 v[84:87], v73
	ds_load_b128 v[88:91], v73 offset:16
	ds_load_b128 v[96:99], v73 offset:2064
	;; [unrolled: 1-line block ×5, first 2 shown]
	v_cmp_eq_u32_e32 vcc_lo, 1, v70
	v_mov_b32_e32 v76, 0
	ds_load_b128 v[112:115], v73 offset:6160
	ds_load_b128 v[108:111], v73 offset:6144
	;; [unrolled: 1-line block ×4, first 2 shown]
	v_cmp_eq_u32_e64 s5, 1, v69
	v_cmp_eq_u32_e64 s4, 1, v72
	v_cmp_eq_u32_e64 s6, 2, v72
	v_mov_b32_e32 v77, v76
	v_mov_b32_e32 v78, v76
	;; [unrolled: 1-line block ×7, first 2 shown]
	v_cmp_eq_u32_e64 s7, 3, v72
	v_cmp_eq_u32_e64 s8, 7, v72
	s_waitcnt lgkmcnt(8)
	s_delay_alu instid0(VALU_DEP_3)
	v_wmma_f32_16x16x16_f16 v[76:83], v[49:56], v[84:91], v[76:83]
	ds_load_b128 v[53:56], v73 offset:10256
	ds_load_b128 v[49:52], v73 offset:10240
	s_waitcnt lgkmcnt(8)
	v_wmma_f32_16x16x16_f16 v[76:83], v[41:48], v[92:99], v[76:83]
	ds_load_b128 v[45:48], v73 offset:12304
	ds_load_b128 v[41:44], v73 offset:12288
	s_waitcnt lgkmcnt(8)
	;; [unrolled: 4-line block ×3, first 2 shown]
	s_barrier
	buffer_gl0_inv
	v_wmma_f32_16x16x16_f16 v[76:83], v[1:8], v[108:115], v[76:83]
	s_delay_alu instid0(VALU_DEP_1) | instskip(NEXT) | instid1(VALU_DEP_1)
	v_wmma_f32_16x16x16_f16 v[76:83], v[9:16], v[116:123], v[76:83]
	v_wmma_f32_16x16x16_f16 v[76:83], v[17:24], v[49:56], v[76:83]
	s_delay_alu instid0(VALU_DEP_1) | instskip(NEXT) | instid1(VALU_DEP_1)
	v_wmma_f32_16x16x16_f16 v[76:83], v[25:32], v[41:48], v[76:83]
	v_wmma_f32_16x16x16_f16 v[76:83], v[57:64], v[33:40], v[76:83]
	s_delay_alu instid0(VALU_DEP_1) | instskip(NEXT) | instid1(VALU_DEP_2)
	v_cvt_f16_f32_e32 v1, v76
	v_cvt_f16_f32_e32 v2, v77
	s_delay_alu instid0(VALU_DEP_3) | instskip(NEXT) | instid1(VALU_DEP_4)
	v_cvt_f16_f32_e32 v3, v78
	v_cvt_f16_f32_e32 v4, v79
	;; [unrolled: 1-line block ×6, first 2 shown]
	v_pack_b32_f16 v1, v1, v2
	v_pack_b32_f16 v2, v3, v4
	v_pack_b32_f16 v3, v5, v6
	s_delay_alu instid0(VALU_DEP_4)
	v_pack_b32_f16 v4, v7, v8
	ds_store_b128 v74, v[1:4]
	s_waitcnt lgkmcnt(0)
	s_barrier
	buffer_gl0_inv
	ds_load_b128 v[1:4], v75
	ds_load_b128 v[5:8], v75 offset:16
	s_waitcnt lgkmcnt(1)
	v_lshrrev_b32_e32 v9, 16, v1
	s_waitcnt lgkmcnt(0)
	v_lshrrev_b32_e32 v13, 16, v5
	v_lshrrev_b32_e32 v10, 16, v2
	;; [unrolled: 1-line block ×4, first 2 shown]
	v_cndmask_b32_e32 v17, v1, v9, vcc_lo
	v_cndmask_b32_e32 v18, v5, v13, vcc_lo
	v_cndmask_b32_e64 v21, v1, v9, s5
	v_cmp_eq_u32_e32 vcc_lo, 1, v71
	v_cndmask_b32_e64 v22, v5, v13, s5
	v_cmp_eq_u32_e64 s5, 2, v70
	v_cndmask_b32_e64 v19, v1, v9, s4
	v_cndmask_b32_e64 v20, v5, v13, s4
	v_cndmask_b32_e32 v1, v1, v9, vcc_lo
	v_cmp_eq_u32_e64 s4, 2, v71
	v_cndmask_b32_e32 v5, v5, v13, vcc_lo
	v_cndmask_b32_e64 v9, v17, v2, s5
	v_cmp_eq_u32_e32 vcc_lo, 3, v70
	v_cndmask_b32_e64 v13, v18, v6, s5
	v_cmp_eq_u32_e64 s5, 2, v69
	v_cndmask_b32_e64 v17, v19, v2, s6
	v_cndmask_b32_e64 v18, v20, v6, s6
	v_cmp_eq_u32_e64 s6, 3, v69
	v_cndmask_b32_e64 v1, v1, v2, s4
	v_cndmask_b32_e64 v19, v21, v2, s5
	;; [unrolled: 1-line block ×4, first 2 shown]
	v_cndmask_b32_e32 v5, v9, v10, vcc_lo
	v_cndmask_b32_e32 v6, v13, v14, vcc_lo
	v_cmp_eq_u32_e32 vcc_lo, 3, v71
	v_cndmask_b32_e64 v9, v17, v10, s7
	v_cndmask_b32_e64 v13, v18, v14, s7
	;; [unrolled: 1-line block ×3, first 2 shown]
	v_cmp_eq_u32_e64 s5, 4, v70
	v_cndmask_b32_e32 v1, v1, v10, vcc_lo
	v_cndmask_b32_e32 v2, v2, v14, vcc_lo
	v_cmp_eq_u32_e32 vcc_lo, 4, v72
	v_lshrrev_b32_e32 v15, 16, v7
	v_lshrrev_b32_e32 v16, 16, v8
	v_cndmask_b32_e64 v17, v19, v10, s6
	v_cmp_eq_u32_e64 s4, 4, v71
	v_cndmask_b32_e64 v5, v5, v3, s5
	v_cndmask_b32_e64 v6, v6, v7, s5
	v_cndmask_b32_e32 v9, v9, v3, vcc_lo
	v_cmp_eq_u32_e64 s5, 5, v72
	v_cndmask_b32_e32 v10, v13, v7, vcc_lo
	v_cmp_eq_u32_e32 vcc_lo, 4, v69
	v_cmp_eq_u32_e64 s6, 5, v70
	v_cndmask_b32_e64 v2, v2, v7, s4
	v_cndmask_b32_e64 v9, v9, v11, s5
	;; [unrolled: 1-line block ×3, first 2 shown]
	v_cndmask_b32_e32 v13, v17, v3, vcc_lo
	v_cmp_eq_u32_e64 s5, 5, v69
	v_cndmask_b32_e32 v14, v18, v7, vcc_lo
	v_cndmask_b32_e64 v1, v1, v3, s4
	v_cmp_eq_u32_e32 vcc_lo, 5, v71
	v_lshrrev_b32_e32 v12, 16, v4
	v_cndmask_b32_e64 v13, v13, v11, s5
	v_cndmask_b32_e64 v3, v14, v15, s5
	v_cmp_eq_u32_e64 s5, 6, v71
	v_cndmask_b32_e32 v1, v1, v11, vcc_lo
	v_cndmask_b32_e64 v5, v5, v11, s6
	v_cmp_eq_u32_e64 s7, 6, v70
	v_cndmask_b32_e64 v6, v6, v15, s6
	v_cmp_eq_u32_e64 s6, 6, v72
	v_cmp_eq_u32_e64 s4, 6, v69
	v_cndmask_b32_e64 v1, v1, v4, s5
	v_cndmask_b32_e32 v2, v2, v15, vcc_lo
	v_cmp_eq_u32_e32 vcc_lo, 7, v71
	v_cndmask_b32_e64 v5, v5, v4, s7
	v_cndmask_b32_e64 v9, v9, v4, s6
	;; [unrolled: 1-line block ×3, first 2 shown]
	v_cmp_eq_u32_e64 s7, 7, v70
	v_cndmask_b32_e32 v1, v1, v12, vcc_lo
	v_cndmask_b32_e64 v7, v13, v4, s4
	v_cndmask_b32_e64 v3, v3, v8, s4
	;; [unrolled: 1-line block ×3, first 2 shown]
	v_cmp_eq_u32_e64 s4, 7, v69
	v_cndmask_b32_e64 v4, v10, v8, s6
	v_cndmask_b32_e64 v5, v5, v12, s7
	;; [unrolled: 1-line block ×3, first 2 shown]
	v_cndmask_b32_e32 v2, v2, v16, vcc_lo
	v_cndmask_b32_e64 v7, v7, v12, s4
	v_cndmask_b32_e64 v3, v3, v16, s4
	;; [unrolled: 1-line block ×4, first 2 shown]
	v_cmp_gt_u32_e32 vcc_lo, 32, v0
	v_perm_b32 v4, v2, v1, 0x5040100
	v_perm_b32 v3, v3, v7, 0x5040100
	;; [unrolled: 1-line block ×4, first 2 shown]
	s_and_b32 s2, vcc_lo, s2
	ds_store_b128 v74, v[1:4]
	s_waitcnt lgkmcnt(0)
	s_barrier
	buffer_gl0_inv
	s_and_saveexec_b32 s4, s2
	s_cbranch_execz .LBB1204_2
; %bb.15:
	s_load_b64 s[4:5], s[0:1], 0x68
	v_lshlrev_b32_e32 v0, 10, v0
	v_add_nc_u32_e32 v2, s33, v66
	v_lshlrev_b32_e32 v3, 4, v67
	s_lshl_b32 s0, s36, 6
	s_delay_alu instid0(SALU_CYCLE_1) | instskip(NEXT) | instid1(VALU_DEP_2)
	s_mul_i32 s1, s0, s34
	v_mul_lo_u32 v1, v2, s0
	s_delay_alu instid0(VALU_DEP_2)
	v_and_or_b32 v0, 0x3800, v0, v3
	v_add_nc_u32_e32 v3, 2, v2
	s_mul_i32 s6, s1, s9
	v_add_nc_u32_e32 v4, 4, v2
	s_ashr_i32 s7, s6, 31
	v_lshl_or_b32 v11, v66, 6, v0
	s_lshl_b64 s[6:7], s[6:7], 1
	v_mul_lo_u32 v15, v3, s0
	v_mul_lo_u32 v17, v4, s0
	v_ashrrev_i32_e32 v2, 31, v1
	ds_load_b128 v[3:6], v11
	ds_load_b128 v[7:10], v11 offset:128
	ds_load_b128 v[11:14], v11 offset:256
	s_waitcnt lgkmcnt(0)
	s_add_u32 s1, s4, s6
	s_addc_u32 s2, s5, s7
	s_lshl_b32 s4, s14, 6
	v_ashrrev_i32_e32 v16, 31, v15
	s_ashr_i32 s5, s4, 31
	v_lshlrev_b64 v[19:20], 1, v[1:2]
	s_lshl_b64 s[4:5], s[4:5], 1
	v_ashrrev_i32_e32 v18, 31, v17
	s_add_u32 s1, s1, s4
	s_addc_u32 s2, s2, s5
	v_add_co_u32 v1, s1, s1, v65
	s_delay_alu instid0(VALU_DEP_1) | instskip(SKIP_1) | instid1(VALU_DEP_3)
	v_add_co_ci_u32_e64 v2, null, s2, 0, s1
	v_lshlrev_b64 v[15:16], 1, v[15:16]
	v_add_co_u32 v19, vcc_lo, v1, v19
	v_lshlrev_b64 v[17:18], 1, v[17:18]
	s_delay_alu instid0(VALU_DEP_4) | instskip(NEXT) | instid1(VALU_DEP_4)
	v_add_co_ci_u32_e32 v20, vcc_lo, v2, v20, vcc_lo
	v_add_co_u32 v15, vcc_lo, v1, v15
	v_add_co_ci_u32_e32 v16, vcc_lo, v2, v16, vcc_lo
	s_delay_alu instid0(VALU_DEP_4)
	v_add_co_u32 v17, vcc_lo, v1, v17
	v_add_co_ci_u32_e32 v18, vcc_lo, v2, v18, vcc_lo
	s_clause 0x2
	global_store_b128 v[19:20], v[3:6], off
	global_store_b128 v[15:16], v[7:10], off
	;; [unrolled: 1-line block ×3, first 2 shown]
	s_and_b32 exec_lo, exec_lo, s3
	s_cbranch_execz .LBB1204_2
; %bb.16:
	ds_load_b128 v[3:6], v0 offset:384
	s_add_i32 s1, s33, 6
	s_delay_alu instid0(SALU_CYCLE_1) | instskip(NEXT) | instid1(SALU_CYCLE_1)
	s_mul_i32 s0, s1, s0
	s_ashr_i32 s1, s0, 31
	s_delay_alu instid0(SALU_CYCLE_1) | instskip(NEXT) | instid1(SALU_CYCLE_1)
	s_lshl_b64 s[0:1], s[0:1], 1
	v_add_co_u32 v0, vcc_lo, v1, s0
	v_add_co_ci_u32_e32 v1, vcc_lo, s1, v2, vcc_lo
	s_waitcnt lgkmcnt(0)
	global_store_b128 v[0:1], v[3:6], off
	s_nop 0
	s_sendmsg sendmsg(MSG_DEALLOC_VGPRS)
	s_endpgm
	.section	.rodata,"a",@progbits
	.p2align	6, 0x0
	.amdhsa_kernel _Z39paged_attention_ll4mi_QKV_mfma16_kernelIDF16_hLN4vllm18Fp8KVCacheDataTypeE1EDF16_Li32ELi64ELi256ELb0ELi7EL8MFMAType0EEvPKT_PKT0_S8_ifPKiSA_SA_iPKfiiiPfSD_PS3_PT2_iSC_SC_
		.amdhsa_group_segment_fixed_size 17472
		.amdhsa_private_segment_fixed_size 0
		.amdhsa_kernarg_size 400
		.amdhsa_user_sgpr_count 13
		.amdhsa_user_sgpr_dispatch_ptr 0
		.amdhsa_user_sgpr_queue_ptr 0
		.amdhsa_user_sgpr_kernarg_segment_ptr 1
		.amdhsa_user_sgpr_dispatch_id 0
		.amdhsa_user_sgpr_private_segment_size 0
		.amdhsa_wavefront_size32 1
		.amdhsa_uses_dynamic_stack 0
		.amdhsa_enable_private_segment 0
		.amdhsa_system_sgpr_workgroup_id_x 1
		.amdhsa_system_sgpr_workgroup_id_y 1
		.amdhsa_system_sgpr_workgroup_id_z 1
		.amdhsa_system_sgpr_workgroup_info 0
		.amdhsa_system_vgpr_workitem_id 0
		.amdhsa_next_free_vgpr 146
		.amdhsa_next_free_sgpr 37
		.amdhsa_reserve_vcc 1
		.amdhsa_float_round_mode_32 0
		.amdhsa_float_round_mode_16_64 0
		.amdhsa_float_denorm_mode_32 3
		.amdhsa_float_denorm_mode_16_64 3
		.amdhsa_dx10_clamp 1
		.amdhsa_ieee_mode 1
		.amdhsa_fp16_overflow 0
		.amdhsa_workgroup_processor_mode 1
		.amdhsa_memory_ordered 1
		.amdhsa_forward_progress 0
		.amdhsa_shared_vgpr_count 0
		.amdhsa_exception_fp_ieee_invalid_op 0
		.amdhsa_exception_fp_denorm_src 0
		.amdhsa_exception_fp_ieee_div_zero 0
		.amdhsa_exception_fp_ieee_overflow 0
		.amdhsa_exception_fp_ieee_underflow 0
		.amdhsa_exception_fp_ieee_inexact 0
		.amdhsa_exception_int_div_zero 0
	.end_amdhsa_kernel
	.section	.text._Z39paged_attention_ll4mi_QKV_mfma16_kernelIDF16_hLN4vllm18Fp8KVCacheDataTypeE1EDF16_Li32ELi64ELi256ELb0ELi7EL8MFMAType0EEvPKT_PKT0_S8_ifPKiSA_SA_iPKfiiiPfSD_PS3_PT2_iSC_SC_,"axG",@progbits,_Z39paged_attention_ll4mi_QKV_mfma16_kernelIDF16_hLN4vllm18Fp8KVCacheDataTypeE1EDF16_Li32ELi64ELi256ELb0ELi7EL8MFMAType0EEvPKT_PKT0_S8_ifPKiSA_SA_iPKfiiiPfSD_PS3_PT2_iSC_SC_,comdat
.Lfunc_end1204:
	.size	_Z39paged_attention_ll4mi_QKV_mfma16_kernelIDF16_hLN4vllm18Fp8KVCacheDataTypeE1EDF16_Li32ELi64ELi256ELb0ELi7EL8MFMAType0EEvPKT_PKT0_S8_ifPKiSA_SA_iPKfiiiPfSD_PS3_PT2_iSC_SC_, .Lfunc_end1204-_Z39paged_attention_ll4mi_QKV_mfma16_kernelIDF16_hLN4vllm18Fp8KVCacheDataTypeE1EDF16_Li32ELi64ELi256ELb0ELi7EL8MFMAType0EEvPKT_PKT0_S8_ifPKiSA_SA_iPKfiiiPfSD_PS3_PT2_iSC_SC_
                                        ; -- End function
	.section	.AMDGPU.csdata,"",@progbits
; Kernel info:
; codeLenInByte = 6524
; NumSgprs: 39
; NumVgprs: 146
; ScratchSize: 0
; MemoryBound: 0
; FloatMode: 240
; IeeeMode: 1
; LDSByteSize: 17472 bytes/workgroup (compile time only)
; SGPRBlocks: 4
; VGPRBlocks: 18
; NumSGPRsForWavesPerEU: 39
; NumVGPRsForWavesPerEU: 146
; Occupancy: 9
; WaveLimiterHint : 1
; COMPUTE_PGM_RSRC2:SCRATCH_EN: 0
; COMPUTE_PGM_RSRC2:USER_SGPR: 13
; COMPUTE_PGM_RSRC2:TRAP_HANDLER: 0
; COMPUTE_PGM_RSRC2:TGID_X_EN: 1
; COMPUTE_PGM_RSRC2:TGID_Y_EN: 1
; COMPUTE_PGM_RSRC2:TGID_Z_EN: 1
; COMPUTE_PGM_RSRC2:TIDIG_COMP_CNT: 0
	.section	.text._Z39paged_attention_ll4mi_QKV_mfma16_kernelIDF16_hLN4vllm18Fp8KVCacheDataTypeE1EDF16_Li32ELi64ELi256ELb0ELi8EL8MFMAType0EEvPKT_PKT0_S8_ifPKiSA_SA_iPKfiiiPfSD_PS3_PT2_iSC_SC_,"axG",@progbits,_Z39paged_attention_ll4mi_QKV_mfma16_kernelIDF16_hLN4vllm18Fp8KVCacheDataTypeE1EDF16_Li32ELi64ELi256ELb0ELi8EL8MFMAType0EEvPKT_PKT0_S8_ifPKiSA_SA_iPKfiiiPfSD_PS3_PT2_iSC_SC_,comdat
	.protected	_Z39paged_attention_ll4mi_QKV_mfma16_kernelIDF16_hLN4vllm18Fp8KVCacheDataTypeE1EDF16_Li32ELi64ELi256ELb0ELi8EL8MFMAType0EEvPKT_PKT0_S8_ifPKiSA_SA_iPKfiiiPfSD_PS3_PT2_iSC_SC_ ; -- Begin function _Z39paged_attention_ll4mi_QKV_mfma16_kernelIDF16_hLN4vllm18Fp8KVCacheDataTypeE1EDF16_Li32ELi64ELi256ELb0ELi8EL8MFMAType0EEvPKT_PKT0_S8_ifPKiSA_SA_iPKfiiiPfSD_PS3_PT2_iSC_SC_
	.globl	_Z39paged_attention_ll4mi_QKV_mfma16_kernelIDF16_hLN4vllm18Fp8KVCacheDataTypeE1EDF16_Li32ELi64ELi256ELb0ELi8EL8MFMAType0EEvPKT_PKT0_S8_ifPKiSA_SA_iPKfiiiPfSD_PS3_PT2_iSC_SC_
	.p2align	8
	.type	_Z39paged_attention_ll4mi_QKV_mfma16_kernelIDF16_hLN4vllm18Fp8KVCacheDataTypeE1EDF16_Li32ELi64ELi256ELb0ELi8EL8MFMAType0EEvPKT_PKT0_S8_ifPKiSA_SA_iPKfiiiPfSD_PS3_PT2_iSC_SC_,@function
_Z39paged_attention_ll4mi_QKV_mfma16_kernelIDF16_hLN4vllm18Fp8KVCacheDataTypeE1EDF16_Li32ELi64ELi256ELb0ELi8EL8MFMAType0EEvPKT_PKT0_S8_ifPKiSA_SA_iPKfiiiPfSD_PS3_PT2_iSC_SC_: ; @_Z39paged_attention_ll4mi_QKV_mfma16_kernelIDF16_hLN4vllm18Fp8KVCacheDataTypeE1EDF16_Li32ELi64ELi256ELb0ELi8EL8MFMAType0EEvPKT_PKT0_S8_ifPKiSA_SA_iPKfiiiPfSD_PS3_PT2_iSC_SC_
; %bb.0:
	s_load_b64 s[2:3], s[0:1], 0x30
	s_mov_b32 s34, s13
	s_waitcnt lgkmcnt(0)
	s_cmp_lg_u64 s[2:3], 0
	s_cselect_b32 s8, -1, 0
	s_ashr_i32 s35, s13, 31
	s_cmp_eq_u64 s[2:3], 0
	s_cbranch_scc1 .LBB1205_3
; %bb.1:
	s_lshl_b64 s[4:5], s[34:35], 2
	s_delay_alu instid0(SALU_CYCLE_1) | instskip(SKIP_4) | instid1(SALU_CYCLE_1)
	s_add_u32 s4, s2, s4
	s_addc_u32 s5, s3, s5
	s_load_b64 s[4:5], s[4:5], 0x0
	s_waitcnt lgkmcnt(0)
	s_sub_i32 s4, s5, s4
	s_cmp_eq_u32 s4, 1
	s_cselect_b32 s4, -1, 0
	s_delay_alu instid0(SALU_CYCLE_1)
	s_and_not1_b32 vcc_lo, exec_lo, s4
	s_cbranch_vccz .LBB1205_4
.LBB1205_2:
	s_endpgm
.LBB1205_3:
.LBB1205_4:
	s_load_b64 s[4:5], s[0:1], 0x28
	s_lshl_b64 s[6:7], s[34:35], 2
	s_waitcnt lgkmcnt(0)
	s_add_u32 s4, s4, s6
	s_addc_u32 s5, s5, s7
	s_lshl_b32 s12, s14, 8
	s_load_b32 s24, s[4:5], 0x0
	s_waitcnt lgkmcnt(0)
	s_cmp_ge_i32 s12, s24
	s_cbranch_scc1 .LBB1205_2
; %bb.5:
	s_clause 0x1
	s_load_b128 s[20:23], s[0:1], 0x8
	s_load_b64 s[4:5], s[0:1], 0x20
	s_and_not1_b32 vcc_lo, exec_lo, s8
	s_cbranch_vccnz .LBB1205_7
; %bb.6:
	s_add_u32 s2, s2, s6
	s_addc_u32 s3, s3, s7
	s_load_b32 s3, s[2:3], 0x0
	s_branch .LBB1205_8
.LBB1205_7:
	s_mov_b32 s3, s34
.LBB1205_8:
	s_load_b128 s[16:19], s[0:1], 0x48
	v_and_b32_e32 v69, 15, v0
	v_cmp_gt_u32_e32 vcc_lo, 0x80, v0
	v_lshrrev_b32_e32 v68, 5, v0
	v_and_b32_e32 v70, 31, v0
	v_and_b32_e32 v66, 1, v0
	v_lshlrev_b32_e32 v1, 3, v69
	v_cmp_gt_u32_e64 s2, 8, v69
	v_bfe_u32 v67, v0, 4, 1
	s_lshl_b32 s31, s15, 3
	s_delay_alu instid0(VALU_DEP_3) | instskip(NEXT) | instid1(VALU_DEP_3)
	v_lshlrev_b32_e32 v65, 1, v1
	s_and_b32 s7, vcc_lo, s2
	s_delay_alu instid0(SALU_CYCLE_1)
	s_and_saveexec_b32 s6, s7
	s_cbranch_execz .LBB1205_10
; %bb.9:
	v_lshl_or_b32 v5, v68, 1, v67
	s_load_b64 s[8:9], s[0:1], 0x0
	s_waitcnt lgkmcnt(0)
	s_mul_hi_i32 s11, s3, s16
	s_mul_i32 s10, s3, s16
	v_lshlrev_b32_e32 v6, 10, v69
	v_or_b32_e32 v1, s31, v5
	s_lshl_b64 s[10:11], s[10:11], 1
	v_lshlrev_b32_e32 v5, 6, v5
	v_lshlrev_b32_e32 v7, 10, v66
	v_and_b32_e32 v6, 0x3800, v6
	v_lshlrev_b32_e32 v1, 6, v1
	s_delay_alu instid0(VALU_DEP_2) | instskip(NEXT) | instid1(VALU_DEP_2)
	v_or3_b32 v5, v6, v7, v5
	v_ashrrev_i32_e32 v2, 31, v1
	s_delay_alu instid0(VALU_DEP_1) | instskip(SKIP_2) | instid1(VALU_DEP_1)
	v_lshlrev_b64 v[1:2], 1, v[1:2]
	s_add_u32 s3, s8, s10
	s_addc_u32 s7, s9, s11
	v_add_co_u32 v1, vcc_lo, s3, v1
	s_delay_alu instid0(VALU_DEP_2) | instskip(NEXT) | instid1(VALU_DEP_2)
	v_add_co_ci_u32_e32 v2, vcc_lo, s7, v2, vcc_lo
	v_add_co_u32 v1, vcc_lo, v1, v65
	s_delay_alu instid0(VALU_DEP_2)
	v_add_co_ci_u32_e32 v2, vcc_lo, 0, v2, vcc_lo
	global_load_b128 v[1:4], v[1:2], off
	s_waitcnt vmcnt(0)
	ds_store_b128 v5, v[1:4]
.LBB1205_10:
	s_or_b32 exec_lo, exec_lo, s6
	v_and_b32_e32 v1, 0xef, v0
	s_waitcnt lgkmcnt(0)
	s_add_i32 s3, s24, 31
	s_clause 0x1
	s_load_b32 s6, s[0:1], 0x38
	s_load_b32 s33, s[0:1], 0x98
	s_ashr_i32 s7, s3, 31
	v_add_nc_u32_e32 v1, s12, v1
	s_lshr_b32 s7, s7, 27
	s_load_b32 s19, s[0:1], 0x1c
	s_add_i32 s3, s3, s7
	s_waitcnt lgkmcnt(0)
	v_ashrrev_i32_e32 v2, 31, v1
	v_or_b32_e32 v3, 16, v1
	s_ashr_i32 s3, s3, 5
	v_cmp_gt_i32_e32 vcc_lo, s24, v1
	s_add_i32 s3, s3, -1
	v_lshrrev_b32_e32 v2, 27, v2
	s_barrier
	buffer_gl0_inv
	s_mul_i32 s27, s15, s18
	v_add_nc_u32_e32 v4, v1, v2
	s_mul_i32 s6, s34, s6
	s_delay_alu instid0(SALU_CYCLE_1) | instskip(NEXT) | instid1(VALU_DEP_1)
	s_ashr_i32 s7, s6, 31
	v_ashrrev_i32_e32 v4, 5, v4
	v_add_nc_u32_e32 v2, v3, v2
	s_lshl_b64 s[6:7], s[6:7], 2
	s_delay_alu instid0(SALU_CYCLE_1) | instskip(NEXT) | instid1(VALU_DEP_2)
	s_add_u32 s26, s4, s6
	v_cndmask_b32_e32 v1, s3, v4, vcc_lo
	s_delay_alu instid0(VALU_DEP_2)
	v_ashrrev_i32_e32 v2, 5, v2
	v_cmp_gt_i32_e32 vcc_lo, s24, v3
	s_addc_u32 s25, s5, s7
	s_ashr_i32 s28, s27, 31
	s_add_u32 s4, s20, s27
	s_addc_u32 s5, s21, s28
	v_cndmask_b32_e32 v3, s3, v2, vcc_lo
	v_ashrrev_i32_e32 v2, 31, v1
	s_lshl_b32 s6, s14, 3
	s_delay_alu instid0(SALU_CYCLE_1) | instskip(NEXT) | instid1(VALU_DEP_2)
	s_ashr_i32 s7, s6, 31
	v_ashrrev_i32_e32 v4, 31, v3
	s_delay_alu instid0(VALU_DEP_2) | instskip(SKIP_1) | instid1(SALU_CYCLE_1)
	v_lshlrev_b64 v[1:2], 2, v[1:2]
	s_lshl_b64 s[6:7], s[6:7], 2
	s_add_u32 s6, s26, s6
	s_delay_alu instid0(VALU_DEP_2) | instskip(SKIP_1) | instid1(VALU_DEP_2)
	v_lshlrev_b64 v[3:4], 2, v[3:4]
	s_addc_u32 s7, s25, s7
	v_add_co_u32 v1, vcc_lo, s26, v1
	v_add_co_ci_u32_e32 v2, vcc_lo, s25, v2, vcc_lo
	s_delay_alu instid0(VALU_DEP_3) | instskip(NEXT) | instid1(VALU_DEP_4)
	v_add_co_u32 v3, vcc_lo, s26, v3
	v_add_co_ci_u32_e32 v4, vcc_lo, s25, v4, vcc_lo
	s_clause 0x1
	global_load_b32 v5, v[1:2], off
	global_load_b32 v6, v[3:4], off
	s_or_b32 s8, s12, 32
	s_delay_alu instid0(SALU_CYCLE_1) | instskip(SKIP_2) | instid1(SALU_CYCLE_1)
	s_ashr_i32 s9, s8, 5
	s_cmp_lt_i32 s8, s24
	s_cselect_b32 s8, s9, s3
	s_ashr_i32 s9, s8, 31
	s_delay_alu instid0(SALU_CYCLE_1) | instskip(NEXT) | instid1(SALU_CYCLE_1)
	s_lshl_b64 s[8:9], s[8:9], 2
	s_add_u32 s8, s26, s8
	s_addc_u32 s9, s25, s9
	s_or_b32 s10, s12, 64
	s_delay_alu instid0(SALU_CYCLE_1) | instskip(SKIP_2) | instid1(SALU_CYCLE_1)
	s_ashr_i32 s11, s10, 5
	s_cmp_lt_i32 s10, s24
	s_cselect_b32 s10, s11, s3
	s_ashr_i32 s11, s10, 31
	s_delay_alu instid0(SALU_CYCLE_1) | instskip(NEXT) | instid1(SALU_CYCLE_1)
	s_lshl_b64 s[10:11], s[10:11], 2
	s_add_u32 s10, s26, s10
	s_addc_u32 s11, s25, s11
	s_or_b32 s13, s12, 0x60
	s_delay_alu instid0(SALU_CYCLE_1) | instskip(SKIP_2) | instid1(SALU_CYCLE_1)
	s_ashr_i32 s15, s13, 5
	s_cmp_lt_i32 s13, s24
	s_cselect_b32 s20, s15, s3
	s_ashr_i32 s21, s20, 31
	s_delay_alu instid0(SALU_CYCLE_1) | instskip(NEXT) | instid1(SALU_CYCLE_1)
	s_lshl_b64 s[20:21], s[20:21], 2
	s_add_u32 s36, s26, s20
	s_addc_u32 s37, s25, s21
	s_or_b32 s13, s12, 0x80
	s_delay_alu instid0(SALU_CYCLE_1) | instskip(SKIP_2) | instid1(SALU_CYCLE_1)
	s_ashr_i32 s15, s13, 5
	s_cmp_lt_i32 s13, s24
	s_cselect_b32 s20, s15, s3
	s_ashr_i32 s21, s20, 31
	s_delay_alu instid0(SALU_CYCLE_1) | instskip(NEXT) | instid1(SALU_CYCLE_1)
	s_lshl_b64 s[20:21], s[20:21], 2
	s_add_u32 s38, s26, s20
	s_addc_u32 s39, s25, s21
	s_or_b32 s13, s12, 0xa0
	s_delay_alu instid0(SALU_CYCLE_1) | instskip(SKIP_2) | instid1(SALU_CYCLE_1)
	s_ashr_i32 s15, s13, 5
	s_cmp_lt_i32 s13, s24
	s_cselect_b32 s20, s15, s3
	s_ashr_i32 s21, s20, 31
	s_delay_alu instid0(SALU_CYCLE_1) | instskip(NEXT) | instid1(SALU_CYCLE_1)
	s_lshl_b64 s[20:21], s[20:21], 2
	s_add_u32 s40, s26, s20
	s_addc_u32 s41, s25, s21
	s_clause 0x5
	s_load_b32 s21, s[6:7], 0x0
	s_load_b32 s13, s[8:9], 0x0
	;; [unrolled: 1-line block ×6, first 2 shown]
	s_or_b32 s7, s12, 0xc0
	s_delay_alu instid0(SALU_CYCLE_1) | instskip(SKIP_2) | instid1(SALU_CYCLE_1)
	s_ashr_i32 s8, s7, 5
	s_cmp_lt_i32 s7, s24
	s_cselect_b32 s10, s8, s3
	s_ashr_i32 s11, s10, 31
	s_delay_alu instid0(SALU_CYCLE_1) | instskip(NEXT) | instid1(SALU_CYCLE_1)
	s_lshl_b64 s[36:37], s[10:11], 2
	s_add_u32 s36, s26, s36
	s_addc_u32 s37, s25, s37
	s_or_b32 s29, s12, 0xe0
	s_delay_alu instid0(SALU_CYCLE_1)
	s_ashr_i32 s30, s29, 5
	s_cmp_lt_i32 s29, s24
	s_waitcnt vmcnt(1)
	v_mad_i64_i32 v[1:2], null, v5, s17, s[4:5]
	s_waitcnt vmcnt(0)
	v_mad_i64_i32 v[3:4], null, v6, s17, s[4:5]
	s_mov_b32 s4, 0
	s_delay_alu instid0(SALU_CYCLE_1)
	s_mov_b32 s5, s4
	s_mov_b32 s6, s4
	;; [unrolled: 1-line block ×7, first 2 shown]
	s_delay_alu instid0(SALU_CYCLE_1) | instskip(SKIP_2) | instid1(VALU_DEP_3)
	v_dual_mov_b32 v102, s11 :: v_dual_lshlrev_b32 v5, 4, v69
	v_dual_mov_b32 v98, s7 :: v_dual_mov_b32 v101, s10
	v_mov_b32_e32 v100, s9
	v_add_co_u32 v1, vcc_lo, v1, v5
	v_add_co_ci_u32_e32 v2, vcc_lo, 0, v2, vcc_lo
	v_add_co_u32 v3, vcc_lo, v3, v5
	v_add_co_ci_u32_e32 v4, vcc_lo, 0, v4, vcc_lo
	s_clause 0x7
	global_load_b128 v[57:60], v[1:2], off
	global_load_b128 v[61:64], v[1:2], off offset:512
	global_load_b128 v[71:74], v[3:4], off offset:256
	;; [unrolled: 1-line block ×7, first 2 shown]
	v_dual_mov_b32 v96, s5 :: v_dual_and_b32 v1, 7, v0
	v_mov_b32_e32 v99, s8
	v_mov_b32_e32 v97, s6
	;; [unrolled: 1-line block ×3, first 2 shown]
	s_cselect_b32 s4, s30, s3
	v_lshlrev_b32_e32 v2, 5, v69
	s_ashr_i32 s5, s4, 31
	v_lshlrev_b32_e32 v121, 6, v1
	s_lshl_b64 s[4:5], s[4:5], 2
	s_load_b32 s3, s[36:37], 0x0
	s_add_u32 s4, s26, s4
	s_addc_u32 s5, s25, s5
	v_lshl_or_b32 v1, v68, 9, v2
	ds_load_b128 v[103:106], v121
	ds_load_b128 v[107:110], v121 offset:1024
	s_load_b32 s4, s[4:5], 0x0
	s_add_u32 s6, s22, s27
	s_addc_u32 s7, s23, s28
	v_add_co_u32 v17, s6, s6, v1
	s_delay_alu instid0(VALU_DEP_1) | instskip(SKIP_1) | instid1(VALU_DEP_1)
	v_add_co_ci_u32_e64 v18, null, s7, 0, s6
	s_waitcnt lgkmcnt(0)
	v_mad_i64_i32 v[1:2], null, s21, s17, v[17:18]
	v_mad_i64_i32 v[3:4], null, s13, s17, v[17:18]
	;; [unrolled: 1-line block ×7, first 2 shown]
	s_clause 0x9
	global_load_b128 v[49:52], v[1:2], off
	global_load_b128 v[53:56], v[1:2], off offset:16
	global_load_b128 v[41:44], v[3:4], off
	global_load_b128 v[45:48], v[3:4], off offset:16
	;; [unrolled: 2-line block ×5, first 2 shown]
	v_mad_i64_i32 v[119:120], null, s4, s17, v[17:18]
	s_clause 0x3
	global_load_b128 v[17:20], v[21:22], off
	global_load_b128 v[21:24], v[21:22], off offset:16
	global_load_b128 v[25:28], v[29:30], off
	global_load_b128 v[29:32], v[29:30], off offset:16
	s_waitcnt vmcnt(20)
	v_wmma_f32_16x16x16_f16 v[111:118], v[57:64], v[103:110], v[95:102]
	s_clause 0x1
	global_load_b128 v[57:60], v[119:120], off
	global_load_b128 v[61:64], v[119:120], off offset:16
	s_waitcnt vmcnt(20)
	v_wmma_f32_16x16x16_f16 v[95:102], v[71:78], v[103:110], v[95:102]
	ds_load_b128 v[71:74], v121 offset:2048
	ds_load_b128 v[75:78], v121 offset:3072
	v_mbcnt_lo_u32_b32 v104, -1, 0
	s_waitcnt vmcnt(0) lgkmcnt(0)
	s_barrier
	buffer_gl0_inv
	v_xor_b32_e32 v105, 16, v104
	s_delay_alu instid0(VALU_DEP_1) | instskip(SKIP_4) | instid1(VALU_DEP_2)
	v_cmp_gt_i32_e32 vcc_lo, 32, v105
	v_cndmask_b32_e32 v104, v104, v105, vcc_lo
	v_wmma_f32_16x16x16_f16 v[111:118], v[79:86], v[71:78], v[111:118]
	v_and_b32_e32 v103, 0xe0, v0
	v_wmma_f32_16x16x16_f16 v[95:102], v[87:94], v[71:78], v[95:102]
	v_dual_mul_f32 v78, s19, v113 :: v_dual_add_nc_u32 v103, s12, v103
	s_delay_alu instid0(VALU_DEP_2) | instskip(SKIP_1) | instid1(VALU_DEP_3)
	v_dual_mul_f32 v90, s19, v101 :: v_dual_mul_f32 v87, s19, v112
	v_dual_mul_f32 v88, s19, v111 :: v_dual_mul_f32 v77, s19, v114
	v_or_b32_e32 v103, v103, v67
	v_dual_mul_f32 v75, s19, v116 :: v_dual_mul_f32 v94, s19, v97
	v_dual_mul_f32 v76, s19, v115 :: v_dual_mul_f32 v73, s19, v118
	v_mul_f32_e32 v92, s19, v99
	s_delay_alu instid0(VALU_DEP_4)
	v_or_b32_e32 v105, 2, v103
	v_or_b32_e32 v106, 4, v103
	;; [unrolled: 1-line block ×3, first 2 shown]
	v_cmp_gt_i32_e64 s3, s24, v103
	v_or_b32_e32 v108, 8, v103
	v_cmp_gt_i32_e32 vcc_lo, s24, v105
	v_or_b32_e32 v109, 10, v103
	v_cmp_gt_i32_e64 s4, s24, v106
	v_cndmask_b32_e64 v88, 0xff7fffff, v88, s3
	v_cmp_gt_i32_e64 s5, s24, v107
	v_cndmask_b32_e32 v87, 0xff7fffff, v87, vcc_lo
	v_or_b32_e32 v79, 12, v103
	v_or_b32_e32 v80, 14, v103
	v_cndmask_b32_e64 v78, 0xff7fffff, v78, s4
	v_cndmask_b32_e64 v77, 0xff7fffff, v77, s5
	v_max3_f32 v87, v88, 0xff7fffff, v87
	v_cmp_gt_i32_e64 s6, s24, v108
	v_cmp_gt_i32_e64 s7, s24, v109
	v_or_b32_e32 v81, 16, v103
	v_or_b32_e32 v82, 18, v103
	v_mul_f32_e32 v74, s19, v117
	v_cndmask_b32_e64 v76, 0xff7fffff, v76, s6
	v_cndmask_b32_e64 v75, 0xff7fffff, v75, s7
	v_max3_f32 v77, v87, v78, v77
	v_cmp_gt_i32_e64 s8, s24, v79
	v_cmp_gt_i32_e64 s9, s24, v80
	v_or_b32_e32 v83, 20, v103
	v_or_b32_e32 v84, 22, v103
	;; [unrolled: 1-line block ×6, first 2 shown]
	v_mul_f32_e32 v105, s19, v96
	v_mul_f32_e32 v103, s19, v95
	v_cndmask_b32_e64 v74, 0xff7fffff, v74, s8
	v_cndmask_b32_e64 v73, 0xff7fffff, v73, s9
	v_max3_f32 v75, v77, v76, v75
	v_cmp_gt_i32_e64 s10, s24, v81
	v_cmp_gt_i32_e64 s11, s24, v82
	v_mul_f32_e32 v93, s19, v98
	v_cmp_gt_i32_e64 s12, s24, v83
	v_max3_f32 v73, v75, v74, v73
	v_cndmask_b32_e64 v76, 0xff7fffff, v103, s10
	v_cndmask_b32_e64 v77, 0xff7fffff, v105, s11
	v_cmp_gt_i32_e64 s13, s24, v84
	v_mul_f32_e32 v91, s19, v100
	v_cndmask_b32_e64 v74, 0xff7fffff, v94, s12
	v_cmp_gt_i32_e64 s15, s24, v85
	v_max3_f32 v73, v73, v76, v77
	v_cndmask_b32_e64 v75, 0xff7fffff, v93, s13
	v_cmp_gt_i32_e64 s16, s24, v86
	v_mul_f32_e32 v89, s19, v102
	v_cndmask_b32_e64 v76, 0xff7fffff, v92, s15
	v_cmp_gt_i32_e64 s17, s24, v71
	v_max3_f32 v73, v73, v74, v75
	v_cndmask_b32_e64 v77, 0xff7fffff, v91, s16
	v_cmp_gt_i32_e64 s18, s24, v72
	v_lshlrev_b32_e32 v74, 2, v104
	v_cndmask_b32_e64 v71, 0xff7fffff, v90, s17
	s_delay_alu instid0(VALU_DEP_4) | instskip(NEXT) | instid1(VALU_DEP_4)
	v_max3_f32 v73, v73, v76, v77
	v_cndmask_b32_e64 v72, 0xff7fffff, v89, s18
	s_delay_alu instid0(VALU_DEP_1) | instskip(SKIP_3) | instid1(VALU_DEP_1)
	v_max3_f32 v71, v73, v71, v72
	ds_bpermute_b32 v72, v74, v71
	s_waitcnt lgkmcnt(0)
	v_max_f32_e32 v72, v72, v72
	v_max_f32_e32 v71, v71, v72
	s_delay_alu instid0(VALU_DEP_1)
	v_fma_f32 v72, s19, v111, -v71
	v_fma_f32 v76, s19, v114, -v71
	;; [unrolled: 1-line block ×5, first 2 shown]
	v_mul_f32_e32 v72, 0x3fb8aa3b, v72
	v_mul_f32_e32 v76, 0x3fb8aa3b, v76
	v_fma_f32 v75, s19, v113, -v71
	v_mul_f32_e32 v79, 0x3fb8aa3b, v77
	v_mul_f32_e32 v85, 0x3fb8aa3b, v84
	v_exp_f32_e32 v72, v72
	v_exp_f32_e32 v76, v76
	v_fma_f32 v86, s19, v98, -v71
	v_exp_f32_e32 v82, v79
	v_exp_f32_e32 v85, v85
	v_fma_f32 v81, s19, v117, -v71
	s_delay_alu instid0(VALU_DEP_2) | instskip(SKIP_3) | instid1(TRANS32_DEP_3)
	v_mul_f32_e32 v87, 0x3fb8aa3b, v86
	v_cndmask_b32_e64 v78, 0, v72, s3
	v_fma_f32 v72, s19, v116, -v71
	v_mul_f32_e32 v73, 0x3fb8aa3b, v73
	v_cndmask_b32_e64 v79, 0, v76, s5
	v_fma_f32 v76, s19, v95, -v71
	s_delay_alu instid0(VALU_DEP_4) | instskip(NEXT) | instid1(VALU_DEP_4)
	v_dual_mul_f32 v75, 0x3fb8aa3b, v75 :: v_dual_mul_f32 v72, 0x3fb8aa3b, v72
	v_exp_f32_e32 v73, v73
	v_exp_f32_e32 v87, v87
	s_delay_alu instid0(VALU_DEP_2) | instskip(NEXT) | instid1(VALU_DEP_2)
	v_mul_f32_e32 v76, 0x3fb8aa3b, v76
	v_exp_f32_e32 v75, v75
	v_cndmask_b32_e64 v85, 0, v85, s11
	v_mul_f32_e32 v81, 0x3fb8aa3b, v81
	v_exp_f32_e32 v72, v72
	v_cndmask_b32_e64 v82, 0, v82, s6
	v_exp_f32_e32 v76, v76
	s_mov_b32 s3, exec_lo
	v_cndmask_b32_e32 v77, 0, v73, vcc_lo
	v_add_f32_e32 v73, 0, v78
	v_cndmask_b32_e64 v87, 0, v87, s13
	v_cndmask_b32_e64 v80, 0, v75, s4
	v_fma_f32 v75, s19, v118, -v71
	v_exp_f32_e32 v83, v81
	v_add_f32_e32 v73, v73, v77
	v_cndmask_b32_e64 v81, 0, v72, s7
	v_cndmask_b32_e64 v86, 0, v76, s10
	v_mul_f32_e32 v75, 0x3fb8aa3b, v75
	s_delay_alu instid0(VALU_DEP_4) | instskip(NEXT) | instid1(VALU_DEP_2)
	v_add_f32_e32 v73, v73, v80
	v_exp_f32_e32 v75, v75
	s_delay_alu instid0(TRANS32_DEP_2) | instskip(NEXT) | instid1(VALU_DEP_2)
	v_cndmask_b32_e64 v84, 0, v83, s8
	v_add_f32_e32 v73, v73, v79
	s_delay_alu instid0(VALU_DEP_1) | instskip(SKIP_3) | instid1(VALU_DEP_1)
	v_add_f32_e32 v72, v73, v82
	s_waitcnt_depctr 0xfff
	v_cndmask_b32_e64 v83, 0, v75, s9
	v_add_f32_e32 v72, v72, v81
	v_add_f32_e32 v72, v72, v84
	s_delay_alu instid0(VALU_DEP_1) | instskip(NEXT) | instid1(VALU_DEP_1)
	v_add_f32_e32 v72, v72, v83
	v_add_f32_e32 v72, v72, v86
	v_fma_f32 v73, s19, v97, -v71
	v_fma_f32 v75, s19, v99, -v71
	;; [unrolled: 1-line block ×4, first 2 shown]
	v_add_f32_e32 v72, v72, v85
	v_mul_f32_e32 v73, 0x3fb8aa3b, v73
	s_delay_alu instid0(VALU_DEP_4) | instskip(NEXT) | instid1(VALU_DEP_2)
	v_dual_mul_f32 v75, 0x3fb8aa3b, v75 :: v_dual_mul_f32 v76, 0x3fb8aa3b, v76
	v_exp_f32_e32 v73, v73
	s_delay_alu instid0(VALU_DEP_1) | instskip(NEXT) | instid1(VALU_DEP_1)
	v_exp_f32_e32 v75, v75
	v_exp_f32_e32 v76, v76
	s_delay_alu instid0(TRANS32_DEP_3)
	v_cndmask_b32_e64 v88, 0, v73, s12
	v_mul_f32_e32 v73, 0x3fb8aa3b, v89
	v_fma_f32 v89, s19, v102, -v71
	s_waitcnt_depctr 0xfff
	v_cndmask_b32_e64 v90, 0, v75, s15
	v_add_f32_e32 v72, v72, v88
	v_exp_f32_e32 v73, v73
	v_mul_f32_e32 v75, 0x3fb8aa3b, v89
	v_cndmask_b32_e64 v89, 0, v76, s16
	s_delay_alu instid0(VALU_DEP_3) | instskip(NEXT) | instid1(VALU_DEP_3)
	v_add_f32_e32 v72, v72, v87
	v_exp_f32_e32 v75, v75
	s_delay_alu instid0(VALU_DEP_1) | instskip(SKIP_4) | instid1(VALU_DEP_2)
	v_add_f32_e32 v72, v72, v90
	s_waitcnt_depctr 0xfff
	v_cndmask_b32_e64 v92, 0, v73, s17
	v_add_f32_e32 v72, v72, v89
	v_cndmask_b32_e64 v91, 0, v75, s18
	v_add_f32_e32 v72, v72, v92
	s_delay_alu instid0(VALU_DEP_1)
	v_add_f32_e32 v72, v72, v91
	ds_bpermute_b32 v73, v74, v72
	v_cmpx_gt_u32_e32 16, v70
	s_cbranch_execz .LBB1205_12
; %bb.11:
	v_mul_u32_u24_e32 v70, 0x44, v68
	s_waitcnt lgkmcnt(0)
	v_add_f32_e32 v72, v72, v73
	s_delay_alu instid0(VALU_DEP_2) | instskip(NEXT) | instid1(VALU_DEP_1)
	v_lshl_add_u32 v70, v69, 2, v70
	v_add_nc_u32_e32 v70, 0x4000, v70
	ds_store_2addr_b32 v70, v71, v72 offset1:136
.LBB1205_12:
	s_or_b32 exec_lo, exec_lo, s3
	v_lshlrev_b32_e32 v70, 2, v69
	s_load_b32 s35, s[0:1], 0x94
	s_waitcnt lgkmcnt(0)
	s_barrier
	buffer_gl0_inv
	v_add_nc_u32_e32 v74, 0x4000, v70
	v_cmp_eq_u32_e32 vcc_lo, 1, v68
	v_cmp_eq_u32_e64 s3, 2, v68
	v_cmp_eq_u32_e64 s4, 3, v68
	;; [unrolled: 1-line block ×3, first 2 shown]
	ds_load_2addr_b32 v[70:71], v74 offset1:17
	ds_load_2addr_b32 v[72:73], v74 offset0:34 offset1:51
	ds_load_2addr_b32 v[93:94], v74 offset0:68 offset1:85
	;; [unrolled: 1-line block ×3, first 2 shown]
	v_cmp_eq_u32_e64 s6, 5, v68
	v_cmp_eq_u32_e64 s7, 7, v68
	s_waitcnt lgkmcnt(3)
	v_max3_f32 v75, v70, 0xff7fffff, v71
	s_waitcnt lgkmcnt(2)
	s_delay_alu instid0(VALU_DEP_1) | instskip(SKIP_1) | instid1(VALU_DEP_1)
	v_max3_f32 v75, v75, v72, v73
	s_waitcnt lgkmcnt(1)
	v_max3_f32 v75, v75, v93, v94
	s_waitcnt lgkmcnt(0)
	s_delay_alu instid0(VALU_DEP_1) | instskip(NEXT) | instid1(VALU_DEP_1)
	v_max3_f32 v75, v75, v95, v96
	v_sub_f32_e32 v93, v93, v75
	ds_load_2addr_b32 v[97:98], v74 offset0:136 offset1:153
	v_sub_f32_e32 v70, v70, v75
	v_dual_sub_f32 v100, v73, v75 :: v_dual_mul_f32 v103, 0x3fb8aa3b, v93
	s_delay_alu instid0(VALU_DEP_2) | instskip(SKIP_3) | instid1(VALU_DEP_1)
	v_dual_sub_f32 v76, v71, v75 :: v_dual_mul_f32 v99, 0x3fb8aa3b, v70
	ds_load_2addr_b32 v[70:71], v74 offset0:170 offset1:187
	v_mul_f32_e32 v76, 0x3fb8aa3b, v76
	v_exp_f32_e32 v99, v99
	v_exp_f32_e32 v102, v76
	v_mul_f32_e32 v100, 0x3fb8aa3b, v100
	s_waitcnt lgkmcnt(1)
	s_waitcnt_depctr 0xfff
	v_fma_f32 v76, v99, v97, 0
	v_sub_f32_e32 v97, v94, v75
	v_sub_f32_e32 v72, v72, v75
	v_exp_f32_e32 v100, v100
	ds_load_2addr_b32 v[93:94], v74 offset0:238 offset1:255
	v_dual_fmac_f32 v76, v102, v98 :: v_dual_mul_f32 v101, 0x3fb8aa3b, v72
	ds_load_2addr_b32 v[72:73], v74 offset0:204 offset1:221
	v_dual_sub_f32 v74, v95, v75 :: v_dual_mul_f32 v95, 0x3fb8aa3b, v97
	v_exp_f32_e32 v97, v103
	v_exp_f32_e32 v101, v101
	s_waitcnt lgkmcnt(0)
	s_delay_alu instid0(VALU_DEP_1)
	v_mul_f32_e32 v74, 0x3fb8aa3b, v74
	v_exp_f32_e32 v95, v95
	s_barrier
	buffer_gl0_inv
	v_fmac_f32_e32 v76, v101, v70
	v_sub_f32_e32 v70, v96, v75
	v_exp_f32_e32 v96, v74
	s_delay_alu instid0(VALU_DEP_2) | instskip(NEXT) | instid1(VALU_DEP_2)
	v_fmac_f32_e32 v76, v100, v71
	v_mul_f32_e32 v70, 0x3fb8aa3b, v70
	s_delay_alu instid0(VALU_DEP_2) | instskip(NEXT) | instid1(VALU_DEP_2)
	v_dual_cndmask_b32 v71, v99, v102 :: v_dual_fmac_f32 v76, v97, v72
	v_exp_f32_e32 v98, v70
	v_lshlrev_b32_e32 v72, 6, v69
	s_delay_alu instid0(VALU_DEP_2) | instskip(NEXT) | instid1(VALU_DEP_2)
	v_dual_fmac_f32 v76, v95, v73 :: v_dual_lshlrev_b32 v69, 2, v67
	v_lshl_or_b32 v74, v68, 11, v72
	s_delay_alu instid0(VALU_DEP_2)
	v_cmp_eq_u32_e64 s8, 7, v69
	s_delay_alu instid0(TRANS32_DEP_2) | instid1(VALU_DEP_3)
	v_fmac_f32_e32 v76, v96, v93
	s_waitcnt_depctr 0xfff
	v_fmac_f32_e32 v76, v98, v94
	s_delay_alu instid0(VALU_DEP_1) | instskip(NEXT) | instid1(VALU_DEP_1)
	v_add_f32_e32 v73, 0x358637bd, v76
	v_div_scale_f32 v93, null, v73, v73, 1.0
	v_div_scale_f32 v99, vcc_lo, 1.0, v73, 1.0
	s_delay_alu instid0(VALU_DEP_2) | instskip(SKIP_2) | instid1(VALU_DEP_1)
	v_rcp_f32_e32 v94, v93
	s_waitcnt_depctr 0xfff
	v_fma_f32 v70, -v93, v94, 1.0
	v_fmac_f32_e32 v94, v70, v94
	v_cndmask_b32_e64 v70, v71, v101, s3
	v_cmp_eq_u32_e64 s3, 6, v68
	v_or_b32_e32 v71, 1, v69
	v_or_b32_e32 v68, 2, v69
	v_mul_f32_e32 v101, v99, v94
	v_cndmask_b32_e64 v70, v70, v100, s4
	v_cmp_eq_u32_e64 s4, 1, v69
	v_cmp_eq_u32_e64 s9, 1, v71
	;; [unrolled: 1-line block ×3, first 2 shown]
	v_fma_f32 v100, -v93, v101, v99
	v_cndmask_b32_e64 v70, v70, v97, s5
	v_cmp_eq_u32_e64 s5, 2, v69
	v_cmp_eq_u32_e64 s12, 2, v71
	v_cmp_eq_u32_e64 s15, 2, v68
	v_fmac_f32_e32 v101, v100, v94
	v_cndmask_b32_e64 v95, v70, v95, s6
	v_or_b32_e32 v70, 3, v69
	v_cmp_eq_u32_e64 s13, 3, v71
	v_cmp_eq_u32_e64 s17, 3, v68
	v_fma_f32 v93, -v93, v101, v99
	v_cndmask_b32_e64 v95, v95, v96, s3
	v_cmp_eq_u32_e64 s11, 1, v70
	v_cmp_eq_u32_e64 s16, 2, v70
	;; [unrolled: 1-line block ×3, first 2 shown]
	v_div_fmas_f32 v93, v93, v94, v101
	v_cndmask_b32_e64 v94, v95, v98, s7
	v_cmp_eq_u32_e32 vcc_lo, 3, v69
	v_cmp_eq_u32_e64 s3, 4, v69
	v_cmp_eq_u32_e64 s19, 4, v71
	v_div_fixup_f32 v93, v93, v73, 1.0
	v_lshl_or_b32 v73, v67, 4, v74
	v_cmp_eq_u32_e64 s22, 4, v70
	v_cmp_eq_u32_e64 s6, 5, v69
	;; [unrolled: 1-line block ×3, first 2 shown]
	v_mul_f32_e32 v101, v94, v93
	v_cmp_eq_u32_e64 s21, 4, v68
	v_cmp_eq_u32_e64 s24, 5, v70
	;; [unrolled: 1-line block ×4, first 2 shown]
	v_fma_mixlo_f16 v93, v101, v78, 0
	v_fma_mixlo_f16 v94, v101, v80, 0
	;; [unrolled: 1-line block ×8, first 2 shown]
	v_fma_mixhi_f16 v93, v101, v77, 0
	v_fma_mixhi_f16 v94, v101, v79, 0
	;; [unrolled: 1-line block ×8, first 2 shown]
	ds_store_b128 v73, v[93:96]
	ds_store_b128 v73, v[97:100] offset:1024
	s_waitcnt lgkmcnt(0)
	s_barrier
	buffer_gl0_inv
	ds_load_b128 v[77:80], v74
	ds_load_b128 v[81:84], v74 offset:16
	ds_load_b128 v[85:88], v74 offset:1024
	;; [unrolled: 1-line block ×3, first 2 shown]
	v_cmp_eq_u32_e64 s27, 6, v70
	v_cmp_eq_u32_e64 s7, 6, v69
	;; [unrolled: 1-line block ×6, first 2 shown]
	s_waitcnt lgkmcnt(3)
	v_lshrrev_b32_e32 v93, 16, v77
	s_waitcnt lgkmcnt(2)
	v_lshrrev_b32_e32 v97, 16, v81
	;; [unrolled: 2-line block ×4, first 2 shown]
	v_lshrrev_b32_e32 v94, 16, v78
	v_cndmask_b32_e64 v109, v77, v93, s4
	v_cndmask_b32_e64 v110, v81, v97, s4
	;; [unrolled: 1-line block ×8, first 2 shown]
	v_lshrrev_b32_e32 v98, 16, v82
	v_cndmask_b32_e64 v93, v85, v101, s4
	v_cndmask_b32_e64 v97, v89, v105, s4
	;; [unrolled: 1-line block ×15, first 2 shown]
	v_lshrrev_b32_e32 v102, 16, v86
	v_lshrrev_b32_e32 v106, 16, v90
	v_cndmask_b32_e64 v112, v114, v82, s15
	v_cndmask_b32_e64 v81, v93, v86, s5
	;; [unrolled: 1-line block ×7, first 2 shown]
	v_cndmask_b32_e32 v89, v101, v94, vcc_lo
	v_cndmask_b32_e32 v101, v105, v98, vcc_lo
	v_cndmask_b32_e64 v105, v109, v94, s13
	v_cndmask_b32_e64 v109, v110, v98, s13
	;; [unrolled: 1-line block ×4, first 2 shown]
	v_lshrrev_b32_e32 v95, 16, v79
	v_lshrrev_b32_e32 v99, 16, v83
	v_cndmask_b32_e64 v110, v111, v94, s17
	v_cndmask_b32_e64 v111, v112, v98, s17
	v_cndmask_b32_e32 v81, v81, v102, vcc_lo
	v_cndmask_b32_e32 v82, v82, v106, vcc_lo
	v_cndmask_b32_e64 v93, v93, v102, s13
	v_cndmask_b32_e64 v89, v89, v79, s3
	;; [unrolled: 1-line block ×7, first 2 shown]
	v_lshrrev_b32_e32 v103, 16, v87
	v_cndmask_b32_e64 v105, v110, v79, s21
	v_cndmask_b32_e64 v109, v111, v83, s21
	;; [unrolled: 1-line block ×11, first 2 shown]
	v_lshrrev_b32_e32 v96, 16, v80
	v_lshrrev_b32_e32 v100, 16, v84
	v_cndmask_b32_e64 v98, v105, v95, s23
	v_cndmask_b32_e64 v101, v109, v99, s23
	;; [unrolled: 1-line block ×7, first 2 shown]
	v_lshrrev_b32_e32 v104, 16, v88
	v_cndmask_b32_e64 v79, v79, v103, s6
	v_cndmask_b32_e64 v83, v83, v80, s7
	;; [unrolled: 1-line block ×16, first 2 shown]
	v_perm_b32 v80, v78, v77, 0x5040100
	v_perm_b32 v78, v94, v84, 0x5040100
	v_cndmask_b32_e64 v77, v118, v90, s15
	v_cndmask_b32_e64 v84, v116, v90, s12
	;; [unrolled: 1-line block ×3, first 2 shown]
	v_perm_b32 v79, v93, v89, 0x5040100
	v_cndmask_b32_e64 v89, v97, v102, s17
	v_cndmask_b32_e64 v85, v85, v102, s18
	;; [unrolled: 1-line block ×5, first 2 shown]
	v_lshrrev_b32_e32 v107, 16, v91
	v_cndmask_b32_e64 v89, v89, v87, s21
	v_cndmask_b32_e64 v85, v85, v87, s22
	v_cndmask_b32_e64 v86, v86, v91, s22
	v_cndmask_b32_e64 v77, v77, v91, s21
	v_cndmask_b32_e64 v84, v84, v91, s19
	v_cndmask_b32_e64 v81, v81, v107, s6
	v_cndmask_b32_e64 v87, v89, v103, s23
	v_cndmask_b32_e64 v85, v85, v103, s24
	v_cndmask_b32_e64 v86, v86, v107, s24
	v_cndmask_b32_e64 v77, v77, v107, s23
	v_cndmask_b32_e64 v84, v84, v107, s20
	v_lshrrev_b32_e32 v108, 16, v92
	v_cndmask_b32_e64 v81, v81, v92, s7
	v_cndmask_b32_e64 v87, v87, v88, s26
	v_cndmask_b32_e64 v85, v85, v88, s27
	v_cndmask_b32_e64 v86, v86, v92, s27
	v_cndmask_b32_e64 v77, v77, v92, s26
	v_cndmask_b32_e64 v84, v84, v92, s25
	v_cndmask_b32_e64 v87, v87, v104, s28
	v_cndmask_b32_e64 v85, v85, v104, s29
	v_cndmask_b32_e64 v86, v86, v108, s29
	v_cndmask_b32_e64 v88, v77, v108, s28
	v_cndmask_b32_e64 v89, v84, v108, s30
	v_cndmask_b32_e64 v81, v81, v108, s8
	v_perm_b32 v77, v83, v82, 0x5040100
	v_perm_b32 v84, v86, v85, 0x5040100
	;; [unrolled: 1-line block ×5, first 2 shown]
	s_lshl_b32 s8, s33, 3
	s_mov_b32 s3, exec_lo
	ds_store_b128 v73, v[77:80]
	ds_store_b128 v73, v[81:84] offset:1024
	v_cmpx_gt_u32_e32 8, v0
	s_cbranch_execz .LBB1205_14
; %bb.13:
	v_or_b32_e32 v77, s31, v0
	s_load_b128 s[4:7], s[0:1], 0x58
	s_delay_alu instid0(VALU_DEP_1) | instskip(NEXT) | instid1(VALU_DEP_1)
	v_mad_u64_u32 v[78:79], null, s8, s34, v[77:78]
	v_mad_u64_u32 v[79:80], null, v78, s35, s[14:15]
	s_delay_alu instid0(VALU_DEP_1) | instskip(NEXT) | instid1(VALU_DEP_1)
	v_ashrrev_i32_e32 v80, 31, v79
	v_lshlrev_b64 v[77:78], 2, v[79:80]
	s_waitcnt lgkmcnt(0)
	s_delay_alu instid0(VALU_DEP_1) | instskip(NEXT) | instid1(VALU_DEP_2)
	v_add_co_u32 v79, vcc_lo, s6, v77
	v_add_co_ci_u32_e32 v80, vcc_lo, s7, v78, vcc_lo
	v_add_co_u32 v77, vcc_lo, s4, v77
	v_add_co_ci_u32_e32 v78, vcc_lo, s5, v78, vcc_lo
	global_store_b32 v[79:80], v75, off
	global_store_b32 v[77:78], v76, off
.LBB1205_14:
	s_or_b32 exec_lo, exec_lo, s3
	s_waitcnt lgkmcnt(0)
	s_waitcnt_vscnt null, 0x0
	s_barrier
	buffer_gl0_inv
	ds_load_b128 v[83:86], v72
	ds_load_b128 v[87:90], v72 offset:16
	ds_load_b128 v[95:98], v72 offset:2064
	;; [unrolled: 1-line block ×5, first 2 shown]
	v_cmp_eq_u32_e32 vcc_lo, 1, v69
	v_mov_b32_e32 v75, 0
	ds_load_b128 v[111:114], v72 offset:6160
	ds_load_b128 v[107:110], v72 offset:6144
	;; [unrolled: 1-line block ×4, first 2 shown]
	v_cmp_eq_u32_e64 s4, 1, v68
	v_cmp_eq_u32_e64 s3, 1, v71
	;; [unrolled: 1-line block ×3, first 2 shown]
	v_mov_b32_e32 v76, v75
	v_mov_b32_e32 v77, v75
	;; [unrolled: 1-line block ×7, first 2 shown]
	v_cmp_eq_u32_e64 s6, 3, v71
	v_cmp_eq_u32_e64 s7, 7, v71
	s_waitcnt lgkmcnt(8)
	s_delay_alu instid0(VALU_DEP_3)
	v_wmma_f32_16x16x16_f16 v[75:82], v[49:56], v[83:90], v[75:82]
	ds_load_b128 v[53:56], v72 offset:10256
	ds_load_b128 v[49:52], v72 offset:10240
	s_waitcnt lgkmcnt(8)
	v_wmma_f32_16x16x16_f16 v[75:82], v[41:48], v[91:98], v[75:82]
	ds_load_b128 v[45:48], v72 offset:12304
	ds_load_b128 v[41:44], v72 offset:12288
	s_waitcnt lgkmcnt(8)
	;; [unrolled: 4-line block ×3, first 2 shown]
	s_barrier
	buffer_gl0_inv
	v_wmma_f32_16x16x16_f16 v[75:82], v[1:8], v[107:114], v[75:82]
	s_delay_alu instid0(VALU_DEP_1) | instskip(NEXT) | instid1(VALU_DEP_1)
	v_wmma_f32_16x16x16_f16 v[75:82], v[9:16], v[115:122], v[75:82]
	v_wmma_f32_16x16x16_f16 v[75:82], v[17:24], v[49:56], v[75:82]
	s_delay_alu instid0(VALU_DEP_1) | instskip(NEXT) | instid1(VALU_DEP_1)
	v_wmma_f32_16x16x16_f16 v[75:82], v[25:32], v[41:48], v[75:82]
	v_wmma_f32_16x16x16_f16 v[75:82], v[57:64], v[33:40], v[75:82]
	s_delay_alu instid0(VALU_DEP_1) | instskip(NEXT) | instid1(VALU_DEP_2)
	v_cvt_f16_f32_e32 v1, v75
	v_cvt_f16_f32_e32 v2, v76
	s_delay_alu instid0(VALU_DEP_3) | instskip(NEXT) | instid1(VALU_DEP_4)
	v_cvt_f16_f32_e32 v3, v77
	v_cvt_f16_f32_e32 v4, v78
	;; [unrolled: 1-line block ×6, first 2 shown]
	v_pack_b32_f16 v1, v1, v2
	v_pack_b32_f16 v2, v3, v4
	;; [unrolled: 1-line block ×3, first 2 shown]
	s_delay_alu instid0(VALU_DEP_4)
	v_pack_b32_f16 v4, v7, v8
	ds_store_b128 v73, v[1:4]
	s_waitcnt lgkmcnt(0)
	s_barrier
	buffer_gl0_inv
	ds_load_b128 v[1:4], v74
	ds_load_b128 v[5:8], v74 offset:16
	s_waitcnt lgkmcnt(1)
	v_lshrrev_b32_e32 v9, 16, v1
	s_waitcnt lgkmcnt(0)
	v_lshrrev_b32_e32 v13, 16, v5
	v_lshrrev_b32_e32 v10, 16, v2
	;; [unrolled: 1-line block ×4, first 2 shown]
	v_cndmask_b32_e32 v17, v1, v9, vcc_lo
	v_cndmask_b32_e32 v18, v5, v13, vcc_lo
	v_cndmask_b32_e64 v21, v1, v9, s4
	v_cmp_eq_u32_e32 vcc_lo, 1, v70
	v_cndmask_b32_e64 v22, v5, v13, s4
	v_cmp_eq_u32_e64 s4, 2, v69
	v_cndmask_b32_e64 v19, v1, v9, s3
	v_cndmask_b32_e64 v20, v5, v13, s3
	v_cndmask_b32_e32 v1, v1, v9, vcc_lo
	v_cmp_eq_u32_e64 s3, 2, v70
	v_cndmask_b32_e32 v5, v5, v13, vcc_lo
	v_cndmask_b32_e64 v9, v17, v2, s4
	v_cmp_eq_u32_e32 vcc_lo, 3, v69
	v_cndmask_b32_e64 v13, v18, v6, s4
	v_cmp_eq_u32_e64 s4, 2, v68
	v_cndmask_b32_e64 v17, v19, v2, s5
	v_cndmask_b32_e64 v18, v20, v6, s5
	v_cmp_eq_u32_e64 s5, 3, v68
	v_cndmask_b32_e64 v1, v1, v2, s3
	v_cndmask_b32_e64 v19, v21, v2, s4
	;; [unrolled: 1-line block ×4, first 2 shown]
	v_cndmask_b32_e32 v5, v9, v10, vcc_lo
	v_cndmask_b32_e32 v6, v13, v14, vcc_lo
	v_cmp_eq_u32_e32 vcc_lo, 3, v70
	v_cndmask_b32_e64 v9, v17, v10, s6
	v_cndmask_b32_e64 v13, v18, v14, s6
	;; [unrolled: 1-line block ×3, first 2 shown]
	v_cmp_eq_u32_e64 s4, 4, v69
	v_cndmask_b32_e32 v1, v1, v10, vcc_lo
	v_cndmask_b32_e32 v2, v2, v14, vcc_lo
	v_cmp_eq_u32_e32 vcc_lo, 4, v71
	v_lshrrev_b32_e32 v15, 16, v7
	v_lshrrev_b32_e32 v16, 16, v8
	v_cndmask_b32_e64 v17, v19, v10, s5
	v_cmp_eq_u32_e64 s3, 4, v70
	v_cndmask_b32_e64 v5, v5, v3, s4
	v_cndmask_b32_e64 v6, v6, v7, s4
	v_cndmask_b32_e32 v9, v9, v3, vcc_lo
	v_cmp_eq_u32_e64 s4, 5, v71
	v_cndmask_b32_e32 v10, v13, v7, vcc_lo
	v_cmp_eq_u32_e32 vcc_lo, 4, v68
	v_cmp_eq_u32_e64 s5, 5, v69
	v_cndmask_b32_e64 v2, v2, v7, s3
	v_cndmask_b32_e64 v9, v9, v11, s4
	;; [unrolled: 1-line block ×3, first 2 shown]
	v_cndmask_b32_e32 v13, v17, v3, vcc_lo
	v_cmp_eq_u32_e64 s4, 5, v68
	v_cndmask_b32_e32 v14, v18, v7, vcc_lo
	v_cndmask_b32_e64 v1, v1, v3, s3
	v_cmp_eq_u32_e32 vcc_lo, 5, v70
	v_lshrrev_b32_e32 v12, 16, v4
	v_cndmask_b32_e64 v13, v13, v11, s4
	v_cndmask_b32_e64 v3, v14, v15, s4
	v_cmp_eq_u32_e64 s4, 6, v70
	v_cndmask_b32_e32 v1, v1, v11, vcc_lo
	v_cndmask_b32_e64 v5, v5, v11, s5
	v_cmp_eq_u32_e64 s6, 6, v69
	v_cndmask_b32_e64 v6, v6, v15, s5
	v_cmp_eq_u32_e64 s5, 6, v71
	v_cmp_eq_u32_e64 s3, 6, v68
	v_cndmask_b32_e64 v1, v1, v4, s4
	v_cndmask_b32_e32 v2, v2, v15, vcc_lo
	v_cmp_eq_u32_e32 vcc_lo, 7, v70
	v_cndmask_b32_e64 v5, v5, v4, s6
	v_cndmask_b32_e64 v9, v9, v4, s5
	v_cndmask_b32_e64 v6, v6, v8, s6
	v_cmp_eq_u32_e64 s6, 7, v69
	v_cndmask_b32_e32 v1, v1, v12, vcc_lo
	v_cndmask_b32_e64 v7, v13, v4, s3
	v_cndmask_b32_e64 v3, v3, v8, s3
	;; [unrolled: 1-line block ×3, first 2 shown]
	v_cmp_eq_u32_e64 s3, 7, v68
	v_cndmask_b32_e64 v4, v10, v8, s5
	v_cndmask_b32_e64 v5, v5, v12, s6
	;; [unrolled: 1-line block ×3, first 2 shown]
	v_cndmask_b32_e32 v2, v2, v16, vcc_lo
	v_cndmask_b32_e64 v7, v7, v12, s3
	v_cndmask_b32_e64 v3, v3, v16, s3
	;; [unrolled: 1-line block ×4, first 2 shown]
	v_cmp_gt_u32_e32 vcc_lo, 32, v0
	v_perm_b32 v4, v2, v1, 0x5040100
	v_perm_b32 v3, v3, v7, 0x5040100
	;; [unrolled: 1-line block ×4, first 2 shown]
	s_and_b32 s2, vcc_lo, s2
	ds_store_b128 v73, v[1:4]
	s_waitcnt lgkmcnt(0)
	s_barrier
	buffer_gl0_inv
	s_and_saveexec_b32 s3, s2
	s_cbranch_execz .LBB1205_2
; %bb.15:
	s_load_b64 s[0:1], s[0:1], 0x68
	s_lshl_b32 s4, s35, 6
	v_or_b32_e32 v2, s31, v67
	s_mul_i32 s2, s4, s34
	v_lshlrev_b32_e32 v1, 10, v0
	s_mul_i32 s2, s2, s8
	v_lshlrev_b32_e32 v3, 4, v66
	v_mul_lo_u32 v0, v2, s4
	s_ashr_i32 s3, s2, 31
	v_lshlrev_b32_e32 v4, 6, v67
	v_and_b32_e32 v1, 0x3800, v1
	v_or_b32_e32 v5, 2, v2
	s_lshl_b64 s[2:3], s[2:3], 1
	v_or_b32_e32 v6, 4, v2
	v_or_b32_e32 v7, 6, v2
	v_or3_b32 v12, v1, v3, v4
	v_ashrrev_i32_e32 v1, 31, v0
	v_mul_lo_u32 v2, v5, s4
	v_mul_lo_u32 v16, v6, s4
	;; [unrolled: 1-line block ×3, first 2 shown]
	s_waitcnt lgkmcnt(0)
	s_add_u32 s2, s0, s2
	s_addc_u32 s3, s1, s3
	s_lshl_b32 s0, s14, 6
	v_lshlrev_b64 v[0:1], 1, v[0:1]
	s_ashr_i32 s1, s0, 31
	v_ashrrev_i32_e32 v3, 31, v2
	s_lshl_b64 s[0:1], s[0:1], 1
	v_ashrrev_i32_e32 v17, 31, v16
	s_add_u32 s0, s2, s0
	s_addc_u32 s1, s3, s1
	v_add_co_u32 v24, s0, s0, v65
	s_delay_alu instid0(VALU_DEP_1) | instskip(SKIP_1) | instid1(VALU_DEP_3)
	v_add_co_ci_u32_e64 v25, null, s1, 0, s0
	v_lshlrev_b64 v[22:23], 1, v[2:3]
	v_add_co_u32 v18, vcc_lo, v24, v0
	s_delay_alu instid0(VALU_DEP_3)
	v_add_co_ci_u32_e32 v19, vcc_lo, v25, v1, vcc_lo
	ds_load_b128 v[0:3], v12
	ds_load_b128 v[4:7], v12 offset:128
	ds_load_b128 v[8:11], v12 offset:256
	ds_load_b128 v[12:15], v12 offset:384
	v_ashrrev_i32_e32 v21, 31, v20
	v_lshlrev_b64 v[16:17], 1, v[16:17]
	v_add_co_u32 v22, vcc_lo, v24, v22
	v_add_co_ci_u32_e32 v23, vcc_lo, v25, v23, vcc_lo
	s_delay_alu instid0(VALU_DEP_4) | instskip(NEXT) | instid1(VALU_DEP_4)
	v_lshlrev_b64 v[20:21], 1, v[20:21]
	v_add_co_u32 v16, vcc_lo, v24, v16
	v_add_co_ci_u32_e32 v17, vcc_lo, v25, v17, vcc_lo
	s_delay_alu instid0(VALU_DEP_3) | instskip(NEXT) | instid1(VALU_DEP_4)
	v_add_co_u32 v20, vcc_lo, v24, v20
	v_add_co_ci_u32_e32 v21, vcc_lo, v25, v21, vcc_lo
	s_waitcnt lgkmcnt(3)
	global_store_b128 v[18:19], v[0:3], off
	s_waitcnt lgkmcnt(2)
	global_store_b128 v[22:23], v[4:7], off
	;; [unrolled: 2-line block ×4, first 2 shown]
	s_nop 0
	s_sendmsg sendmsg(MSG_DEALLOC_VGPRS)
	s_endpgm
	.section	.rodata,"a",@progbits
	.p2align	6, 0x0
	.amdhsa_kernel _Z39paged_attention_ll4mi_QKV_mfma16_kernelIDF16_hLN4vllm18Fp8KVCacheDataTypeE1EDF16_Li32ELi64ELi256ELb0ELi8EL8MFMAType0EEvPKT_PKT0_S8_ifPKiSA_SA_iPKfiiiPfSD_PS3_PT2_iSC_SC_
		.amdhsa_group_segment_fixed_size 17472
		.amdhsa_private_segment_fixed_size 0
		.amdhsa_kernarg_size 400
		.amdhsa_user_sgpr_count 13
		.amdhsa_user_sgpr_dispatch_ptr 0
		.amdhsa_user_sgpr_queue_ptr 0
		.amdhsa_user_sgpr_kernarg_segment_ptr 1
		.amdhsa_user_sgpr_dispatch_id 0
		.amdhsa_user_sgpr_private_segment_size 0
		.amdhsa_wavefront_size32 1
		.amdhsa_uses_dynamic_stack 0
		.amdhsa_enable_private_segment 0
		.amdhsa_system_sgpr_workgroup_id_x 1
		.amdhsa_system_sgpr_workgroup_id_y 1
		.amdhsa_system_sgpr_workgroup_id_z 1
		.amdhsa_system_sgpr_workgroup_info 0
		.amdhsa_system_vgpr_workitem_id 0
		.amdhsa_next_free_vgpr 123
		.amdhsa_next_free_sgpr 42
		.amdhsa_reserve_vcc 1
		.amdhsa_float_round_mode_32 0
		.amdhsa_float_round_mode_16_64 0
		.amdhsa_float_denorm_mode_32 3
		.amdhsa_float_denorm_mode_16_64 3
		.amdhsa_dx10_clamp 1
		.amdhsa_ieee_mode 1
		.amdhsa_fp16_overflow 0
		.amdhsa_workgroup_processor_mode 1
		.amdhsa_memory_ordered 1
		.amdhsa_forward_progress 0
		.amdhsa_shared_vgpr_count 0
		.amdhsa_exception_fp_ieee_invalid_op 0
		.amdhsa_exception_fp_denorm_src 0
		.amdhsa_exception_fp_ieee_div_zero 0
		.amdhsa_exception_fp_ieee_overflow 0
		.amdhsa_exception_fp_ieee_underflow 0
		.amdhsa_exception_fp_ieee_inexact 0
		.amdhsa_exception_int_div_zero 0
	.end_amdhsa_kernel
	.section	.text._Z39paged_attention_ll4mi_QKV_mfma16_kernelIDF16_hLN4vllm18Fp8KVCacheDataTypeE1EDF16_Li32ELi64ELi256ELb0ELi8EL8MFMAType0EEvPKT_PKT0_S8_ifPKiSA_SA_iPKfiiiPfSD_PS3_PT2_iSC_SC_,"axG",@progbits,_Z39paged_attention_ll4mi_QKV_mfma16_kernelIDF16_hLN4vllm18Fp8KVCacheDataTypeE1EDF16_Li32ELi64ELi256ELb0ELi8EL8MFMAType0EEvPKT_PKT0_S8_ifPKiSA_SA_iPKfiiiPfSD_PS3_PT2_iSC_SC_,comdat
.Lfunc_end1205:
	.size	_Z39paged_attention_ll4mi_QKV_mfma16_kernelIDF16_hLN4vllm18Fp8KVCacheDataTypeE1EDF16_Li32ELi64ELi256ELb0ELi8EL8MFMAType0EEvPKT_PKT0_S8_ifPKiSA_SA_iPKfiiiPfSD_PS3_PT2_iSC_SC_, .Lfunc_end1205-_Z39paged_attention_ll4mi_QKV_mfma16_kernelIDF16_hLN4vllm18Fp8KVCacheDataTypeE1EDF16_Li32ELi64ELi256ELb0ELi8EL8MFMAType0EEvPKT_PKT0_S8_ifPKiSA_SA_iPKfiiiPfSD_PS3_PT2_iSC_SC_
                                        ; -- End function
	.section	.AMDGPU.csdata,"",@progbits
; Kernel info:
; codeLenInByte = 6500
; NumSgprs: 44
; NumVgprs: 123
; ScratchSize: 0
; MemoryBound: 0
; FloatMode: 240
; IeeeMode: 1
; LDSByteSize: 17472 bytes/workgroup (compile time only)
; SGPRBlocks: 5
; VGPRBlocks: 15
; NumSGPRsForWavesPerEU: 44
; NumVGPRsForWavesPerEU: 123
; Occupancy: 10
; WaveLimiterHint : 1
; COMPUTE_PGM_RSRC2:SCRATCH_EN: 0
; COMPUTE_PGM_RSRC2:USER_SGPR: 13
; COMPUTE_PGM_RSRC2:TRAP_HANDLER: 0
; COMPUTE_PGM_RSRC2:TGID_X_EN: 1
; COMPUTE_PGM_RSRC2:TGID_Y_EN: 1
; COMPUTE_PGM_RSRC2:TGID_Z_EN: 1
; COMPUTE_PGM_RSRC2:TIDIG_COMP_CNT: 0
	.section	.text._Z39paged_attention_ll4mi_QKV_mfma16_kernelIDF16_hLN4vllm18Fp8KVCacheDataTypeE1EDF16_Li32ELi64ELi256ELb0ELi9EL8MFMAType0EEvPKT_PKT0_S8_ifPKiSA_SA_iPKfiiiPfSD_PS3_PT2_iSC_SC_,"axG",@progbits,_Z39paged_attention_ll4mi_QKV_mfma16_kernelIDF16_hLN4vllm18Fp8KVCacheDataTypeE1EDF16_Li32ELi64ELi256ELb0ELi9EL8MFMAType0EEvPKT_PKT0_S8_ifPKiSA_SA_iPKfiiiPfSD_PS3_PT2_iSC_SC_,comdat
	.protected	_Z39paged_attention_ll4mi_QKV_mfma16_kernelIDF16_hLN4vllm18Fp8KVCacheDataTypeE1EDF16_Li32ELi64ELi256ELb0ELi9EL8MFMAType0EEvPKT_PKT0_S8_ifPKiSA_SA_iPKfiiiPfSD_PS3_PT2_iSC_SC_ ; -- Begin function _Z39paged_attention_ll4mi_QKV_mfma16_kernelIDF16_hLN4vllm18Fp8KVCacheDataTypeE1EDF16_Li32ELi64ELi256ELb0ELi9EL8MFMAType0EEvPKT_PKT0_S8_ifPKiSA_SA_iPKfiiiPfSD_PS3_PT2_iSC_SC_
	.globl	_Z39paged_attention_ll4mi_QKV_mfma16_kernelIDF16_hLN4vllm18Fp8KVCacheDataTypeE1EDF16_Li32ELi64ELi256ELb0ELi9EL8MFMAType0EEvPKT_PKT0_S8_ifPKiSA_SA_iPKfiiiPfSD_PS3_PT2_iSC_SC_
	.p2align	8
	.type	_Z39paged_attention_ll4mi_QKV_mfma16_kernelIDF16_hLN4vllm18Fp8KVCacheDataTypeE1EDF16_Li32ELi64ELi256ELb0ELi9EL8MFMAType0EEvPKT_PKT0_S8_ifPKiSA_SA_iPKfiiiPfSD_PS3_PT2_iSC_SC_,@function
_Z39paged_attention_ll4mi_QKV_mfma16_kernelIDF16_hLN4vllm18Fp8KVCacheDataTypeE1EDF16_Li32ELi64ELi256ELb0ELi9EL8MFMAType0EEvPKT_PKT0_S8_ifPKiSA_SA_iPKfiiiPfSD_PS3_PT2_iSC_SC_: ; @_Z39paged_attention_ll4mi_QKV_mfma16_kernelIDF16_hLN4vllm18Fp8KVCacheDataTypeE1EDF16_Li32ELi64ELi256ELb0ELi9EL8MFMAType0EEvPKT_PKT0_S8_ifPKiSA_SA_iPKfiiiPfSD_PS3_PT2_iSC_SC_
; %bb.0:
	s_load_b64 s[2:3], s[0:1], 0x30
	s_mov_b32 s34, s13
	s_waitcnt lgkmcnt(0)
	s_cmp_lg_u64 s[2:3], 0
	s_cselect_b32 s6, -1, 0
	s_ashr_i32 s35, s13, 31
	s_cmp_eq_u64 s[2:3], 0
	s_cbranch_scc1 .LBB1206_3
; %bb.1:
	s_lshl_b64 s[4:5], s[34:35], 2
	s_delay_alu instid0(SALU_CYCLE_1) | instskip(SKIP_4) | instid1(SALU_CYCLE_1)
	s_add_u32 s4, s2, s4
	s_addc_u32 s5, s3, s5
	s_load_b64 s[4:5], s[4:5], 0x0
	s_waitcnt lgkmcnt(0)
	s_sub_i32 s4, s5, s4
	s_cmp_eq_u32 s4, 1
	s_cselect_b32 s4, -1, 0
	s_delay_alu instid0(SALU_CYCLE_1)
	s_and_not1_b32 vcc_lo, exec_lo, s4
	s_cbranch_vccz .LBB1206_4
.LBB1206_2:
	s_nop 0
	s_sendmsg sendmsg(MSG_DEALLOC_VGPRS)
	s_endpgm
.LBB1206_3:
.LBB1206_4:
	s_load_b64 s[8:9], s[0:1], 0x28
	s_lshl_b64 s[4:5], s[34:35], 2
	s_waitcnt lgkmcnt(0)
	s_add_u32 s8, s8, s4
	s_addc_u32 s9, s9, s5
	s_lshl_b32 s16, s14, 8
	s_load_b32 s18, s[8:9], 0x0
	s_waitcnt lgkmcnt(0)
	s_cmp_ge_i32 s16, s18
	s_cbranch_scc1 .LBB1206_2
; %bb.5:
	s_clause 0x1
	s_load_b128 s[8:11], s[0:1], 0x8
	s_load_b64 s[12:13], s[0:1], 0x20
	s_and_not1_b32 vcc_lo, exec_lo, s6
	s_cbranch_vccnz .LBB1206_7
; %bb.6:
	s_add_u32 s2, s2, s4
	s_addc_u32 s3, s3, s5
	s_load_b32 s3, s[2:3], 0x0
	s_branch .LBB1206_8
.LBB1206_7:
	s_mov_b32 s3, s34
.LBB1206_8:
	s_load_b128 s[4:7], s[0:1], 0x48
	v_lshrrev_b32_e32 v69, 5, v0
	v_bfe_u32 v66, v0, 4, 1
	v_and_b32_e32 v68, 15, v0
	v_and_b32_e32 v70, 31, v0
	;; [unrolled: 1-line block ×3, first 2 shown]
	s_mul_i32 s33, s15, 9
	v_lshl_or_b32 v1, v69, 1, v66
	v_lshlrev_b32_e32 v2, 3, v68
	v_cmp_gt_u32_e64 s2, 8, v68
	s_delay_alu instid0(VALU_DEP_3) | instskip(NEXT) | instid1(VALU_DEP_3)
	v_cmp_gt_u32_e32 vcc_lo, 9, v1
	v_lshlrev_b32_e32 v65, 1, v2
	s_delay_alu instid0(VALU_DEP_3)
	s_and_b32 s17, s2, vcc_lo
	s_waitcnt lgkmcnt(0)
	s_and_saveexec_b32 s7, s17
	s_cbranch_execz .LBB1206_10
; %bb.9:
	s_load_b64 s[20:21], s[0:1], 0x0
	v_add_lshl_u32 v2, v1, s33, 6
	s_mul_hi_i32 s23, s3, s4
	s_mul_i32 s22, s3, s4
	v_lshlrev_b32_e32 v6, 10, v68
	s_lshl_b64 s[22:23], s[22:23], 1
	v_ashrrev_i32_e32 v3, 31, v2
	v_lshlrev_b32_e32 v1, 6, v1
	v_lshlrev_b32_e32 v7, 10, v67
	v_and_b32_e32 v6, 0x3800, v6
	s_delay_alu instid0(VALU_DEP_4) | instskip(NEXT) | instid1(VALU_DEP_2)
	v_lshlrev_b64 v[2:3], 1, v[2:3]
	v_or3_b32 v1, v6, v7, v1
	s_waitcnt lgkmcnt(0)
	s_add_u32 s3, s20, s22
	s_addc_u32 s4, s21, s23
	s_delay_alu instid0(VALU_DEP_2) | instskip(SKIP_1) | instid1(VALU_DEP_2)
	v_add_co_u32 v2, vcc_lo, s3, v2
	v_add_co_ci_u32_e32 v3, vcc_lo, s4, v3, vcc_lo
	v_add_co_u32 v2, vcc_lo, v2, v65
	s_delay_alu instid0(VALU_DEP_2)
	v_add_co_ci_u32_e32 v3, vcc_lo, 0, v3, vcc_lo
	global_load_b128 v[2:5], v[2:3], off
	s_waitcnt vmcnt(0)
	ds_store_b128 v1, v[2:5]
.LBB1206_10:
	s_or_b32 exec_lo, exec_lo, s7
	v_and_b32_e32 v1, 0xef, v0
	s_add_i32 s3, s18, 31
	s_clause 0x1
	s_load_b32 s4, s[0:1], 0x38
	s_load_b32 s35, s[0:1], 0x98
	s_ashr_i32 s7, s3, 31
	v_add_nc_u32_e32 v1, s16, v1
	s_lshr_b32 s7, s7, 27
	s_load_b32 s19, s[0:1], 0x1c
	v_add_nc_u32_e32 v103, -9, v68
	s_add_i32 s3, s3, s7
	v_ashrrev_i32_e32 v2, 31, v1
	v_or_b32_e32 v3, 16, v1
	s_ashr_i32 s3, s3, 5
	v_cmp_gt_i32_e32 vcc_lo, s18, v1
	s_add_i32 s3, s3, -1
	v_lshrrev_b32_e32 v2, 27, v2
	s_waitcnt lgkmcnt(0)
	s_barrier
	buffer_gl0_inv
	s_mul_i32 s15, s15, s6
	v_add_nc_u32_e32 v4, v1, v2
	v_mbcnt_lo_u32_b32 v127, -1, 0
	s_mul_i32 s20, s34, s4
	s_delay_alu instid0(SALU_CYCLE_1) | instskip(NEXT) | instid1(VALU_DEP_2)
	s_ashr_i32 s21, s20, 31
	v_ashrrev_i32_e32 v4, 5, v4
	v_add_nc_u32_e32 v2, v3, v2
	s_lshl_b64 s[20:21], s[20:21], 2
	v_xor_b32_e32 v128, 16, v127
	s_add_u32 s17, s12, s20
	v_cndmask_b32_e32 v1, s3, v4, vcc_lo
	v_ashrrev_i32_e32 v2, 5, v2
	v_cmp_gt_i32_e32 vcc_lo, s18, v3
	s_addc_u32 s13, s13, s21
	s_ashr_i32 s20, s15, 31
	s_add_u32 s22, s8, s15
	s_addc_u32 s23, s9, s20
	v_cndmask_b32_e32 v3, s3, v2, vcc_lo
	v_ashrrev_i32_e32 v2, 31, v1
	s_lshl_b32 s6, s14, 3
	s_delay_alu instid0(SALU_CYCLE_1) | instskip(NEXT) | instid1(VALU_DEP_2)
	s_ashr_i32 s7, s6, 31
	v_ashrrev_i32_e32 v4, 31, v3
	s_delay_alu instid0(VALU_DEP_2) | instskip(SKIP_1) | instid1(SALU_CYCLE_1)
	v_lshlrev_b64 v[1:2], 2, v[1:2]
	s_lshl_b64 s[6:7], s[6:7], 2
	s_add_u32 s6, s17, s6
	s_delay_alu instid0(VALU_DEP_2) | instskip(SKIP_1) | instid1(VALU_DEP_2)
	v_lshlrev_b64 v[3:4], 2, v[3:4]
	s_addc_u32 s7, s13, s7
	v_add_co_u32 v1, vcc_lo, s17, v1
	v_add_co_ci_u32_e32 v2, vcc_lo, s13, v2, vcc_lo
	s_delay_alu instid0(VALU_DEP_3) | instskip(NEXT) | instid1(VALU_DEP_4)
	v_add_co_u32 v3, vcc_lo, s17, v3
	v_add_co_ci_u32_e32 v4, vcc_lo, s13, v4, vcc_lo
	s_clause 0x1
	global_load_b32 v5, v[1:2], off
	global_load_b32 v6, v[3:4], off
	s_or_b32 s4, s16, 32
	s_delay_alu instid0(SALU_CYCLE_1) | instskip(SKIP_2) | instid1(SALU_CYCLE_1)
	s_ashr_i32 s8, s4, 5
	s_cmp_lt_i32 s4, s18
	s_cselect_b32 s8, s8, s3
	s_ashr_i32 s9, s8, 31
	s_delay_alu instid0(SALU_CYCLE_1) | instskip(NEXT) | instid1(SALU_CYCLE_1)
	s_lshl_b64 s[8:9], s[8:9], 2
	s_add_u32 s8, s17, s8
	s_addc_u32 s9, s13, s9
	s_or_b32 s4, s16, 64
	s_delay_alu instid0(SALU_CYCLE_1) | instskip(SKIP_2) | instid1(SALU_CYCLE_1)
	s_ashr_i32 s12, s4, 5
	s_cmp_lt_i32 s4, s18
	s_cselect_b32 s24, s12, s3
	s_ashr_i32 s25, s24, 31
	s_delay_alu instid0(SALU_CYCLE_1) | instskip(NEXT) | instid1(SALU_CYCLE_1)
	s_lshl_b64 s[24:25], s[24:25], 2
	s_add_u32 s24, s17, s24
	s_addc_u32 s25, s13, s25
	;; [unrolled: 10-line block ×5, first 2 shown]
	s_clause 0x5
	s_load_b32 s12, s[6:7], 0x0
	s_load_b32 s4, s[8:9], 0x0
	;; [unrolled: 1-line block ×6, first 2 shown]
	s_or_b32 s21, s16, 0xc0
	s_waitcnt vmcnt(1)
	v_mad_i64_i32 v[1:2], null, v5, s5, s[22:23]
	v_lshlrev_b32_e32 v5, 4, v68
	s_waitcnt vmcnt(0)
	v_mad_i64_i32 v[3:4], null, v6, s5, s[22:23]
	s_ashr_i32 s22, s21, 5
	s_cmp_lt_i32 s21, s18
	s_delay_alu instid0(VALU_DEP_3) | instskip(NEXT) | instid1(VALU_DEP_4)
	v_add_co_u32 v1, vcc_lo, v1, v5
	v_add_co_ci_u32_e32 v2, vcc_lo, 0, v2, vcc_lo
	s_delay_alu instid0(VALU_DEP_3) | instskip(NEXT) | instid1(VALU_DEP_4)
	v_add_co_u32 v3, vcc_lo, v3, v5
	v_add_co_ci_u32_e32 v4, vcc_lo, 0, v4, vcc_lo
	s_clause 0x7
	global_load_b128 v[71:74], v[1:2], off
	global_load_b128 v[75:78], v[1:2], off offset:512
	global_load_b128 v[79:82], v[3:4], off offset:256
	;; [unrolled: 1-line block ×7, first 2 shown]
	s_cselect_b32 s22, s22, s3
	v_lshlrev_b32_e32 v1, 5, v68
	s_ashr_i32 s23, s22, 31
	v_cmp_gt_u32_e32 vcc_lo, 9, v68
	s_lshl_b64 s[22:23], s[22:23], 2
	s_delay_alu instid0(SALU_CYCLE_1)
	s_add_u32 s22, s17, s22
	s_addc_u32 s23, s13, s23
	s_or_b32 s21, s16, 0xe0
	v_lshl_or_b32 v1, v69, 9, v1
	s_ashr_i32 s24, s21, 5
	s_cmp_lt_i32 s21, s18
	v_cndmask_b32_e32 v103, v103, v68, vcc_lo
	s_cselect_b32 s24, s24, s3
	s_load_b32 s3, s[22:23], 0x0
	s_ashr_i32 s25, s24, 31
	v_cmp_gt_i32_e32 vcc_lo, 32, v128
	s_lshl_b64 s[24:25], s[24:25], 2
	v_lshlrev_b32_e32 v115, 6, v103
	s_add_u32 s22, s17, s24
	s_addc_u32 s23, s13, s25
	v_cndmask_b32_e32 v136, v127, v128, vcc_lo
	s_add_u32 s10, s10, s15
	s_addc_u32 s11, s11, s20
	v_add_co_u32 v1, s10, s10, v1
	s_delay_alu instid0(VALU_DEP_1) | instskip(SKIP_2) | instid1(VALU_DEP_1)
	v_add_co_ci_u32_e64 v2, null, s11, 0, s10
	s_load_b32 s10, s[22:23], 0x0
	s_waitcnt lgkmcnt(0)
	v_mad_i64_i32 v[3:4], null, s12, s5, v[1:2]
	v_mad_i64_i32 v[9:10], null, s7, s5, v[1:2]
	v_mad_i64_i32 v[5:6], null, s4, s5, v[1:2]
	v_mad_i64_i32 v[13:14], null, s8, s5, v[1:2]
	v_mad_i64_i32 v[7:8], null, s6, s5, v[1:2]
	v_mad_i64_i32 v[21:22], null, s9, s5, v[1:2]
	v_mad_i64_i32 v[29:30], null, s3, s5, v[1:2]
	s_clause 0x5
	global_load_b128 v[49:52], v[3:4], off
	global_load_b128 v[53:56], v[3:4], off offset:16
	global_load_b128 v[41:44], v[5:6], off
	global_load_b128 v[45:48], v[5:6], off offset:16
	global_load_b128 v[33:36], v[7:8], off
	global_load_b128 v[37:40], v[7:8], off offset:16
	s_mov_b32 s4, 0
	v_mad_i64_i32 v[61:62], null, s10, s5, v[1:2]
	s_clause 0x9
	global_load_b128 v[1:4], v[9:10], off
	global_load_b128 v[5:8], v[9:10], off offset:16
	global_load_b128 v[9:12], v[13:14], off
	global_load_b128 v[13:16], v[13:14], off offset:16
	global_load_b128 v[17:20], v[21:22], off
	global_load_b128 v[21:24], v[21:22], off offset:16
	global_load_b128 v[25:28], v[29:30], off
	global_load_b128 v[29:32], v[29:30], off offset:16
	global_load_b128 v[57:60], v[61:62], off
	global_load_b128 v[61:64], v[61:62], off offset:16
	s_mov_b32 s5, s4
	s_mov_b32 s6, s4
	;; [unrolled: 1-line block ×7, first 2 shown]
	v_and_b32_e32 v104, 0xe0, v0
	v_dual_mov_b32 v126, s11 :: v_dual_mov_b32 v125, s10
	v_dual_mov_b32 v124, s9 :: v_dual_mov_b32 v123, s8
	s_delay_alu instid0(VALU_DEP_3)
	v_add_nc_u32_e32 v111, s16, v104
	ds_load_b128 v[103:106], v115
	ds_load_b128 v[107:110], v115 offset:1024
	v_dual_mov_b32 v122, s7 :: v_dual_mov_b32 v121, s6
	v_mov_b32_e32 v120, s5
	v_or_b32_e32 v135, v111, v66
	ds_load_b128 v[111:114], v115 offset:2048
	ds_load_b128 v[115:118], v115 offset:3072
	v_mov_b32_e32 v119, s4
	s_waitcnt vmcnt(0) lgkmcnt(0)
	s_barrier
	v_or_b32_e32 v137, 2, v135
	v_or_b32_e32 v138, 4, v135
	;; [unrolled: 1-line block ×3, first 2 shown]
	v_cmp_gt_i32_e32 vcc_lo, s18, v135
	v_or_b32_e32 v140, 8, v135
	v_cmp_gt_i32_e64 s3, s18, v137
	v_or_b32_e32 v141, 10, v135
	v_cmp_gt_i32_e64 s4, s18, v138
	v_cmp_gt_i32_e64 s5, s18, v139
	v_or_b32_e32 v142, 12, v135
	v_or_b32_e32 v143, 14, v135
	v_cmp_gt_i32_e64 s6, s18, v140
	v_cmp_gt_i32_e64 s7, s18, v141
	v_or_b32_e32 v144, 16, v135
	v_or_b32_e32 v145, 18, v135
	v_cmp_gt_i32_e64 s8, s18, v142
	v_cmp_gt_i32_e64 s9, s18, v143
	buffer_gl0_inv
	v_cmp_gt_i32_e64 s10, s18, v144
	v_cmp_gt_i32_e64 s11, s18, v145
	v_wmma_f32_16x16x16_f16 v[127:134], v[71:78], v[103:110], v[119:126]
	v_wmma_f32_16x16x16_f16 v[119:126], v[79:86], v[103:110], v[119:126]
	v_or_b32_e32 v71, 20, v135
	v_or_b32_e32 v72, 22, v135
	s_delay_alu instid0(VALU_DEP_4)
	v_wmma_f32_16x16x16_f16 v[127:134], v[87:94], v[111:118], v[127:134]
	v_or_b32_e32 v73, 24, v135
	v_wmma_f32_16x16x16_f16 v[119:126], v[95:102], v[111:118], v[119:126]
	v_or_b32_e32 v74, 26, v135
	v_cmp_gt_i32_e64 s12, s18, v71
	v_dual_mul_f32 v83, s19, v128 :: v_dual_mul_f32 v84, s19, v127
	s_delay_alu instid0(VALU_DEP_4) | instskip(SKIP_1) | instid1(VALU_DEP_3)
	v_dual_mul_f32 v81, s19, v130 :: v_dual_mul_f32 v92, s19, v119
	v_mul_f32_e32 v82, s19, v129
	v_cndmask_b32_e64 v83, 0xff7fffff, v83, s3
	s_delay_alu instid0(VALU_DEP_4)
	v_cndmask_b32_e32 v84, 0xff7fffff, v84, vcc_lo
	v_dual_mul_f32 v79, s19, v132 :: v_dual_mul_f32 v90, s19, v121
	v_mul_f32_e32 v80, s19, v131
	v_cndmask_b32_e64 v82, 0xff7fffff, v82, s4
	v_cndmask_b32_e64 v81, 0xff7fffff, v81, s5
	v_max3_f32 v83, v84, 0xff7fffff, v83
	v_dual_mul_f32 v77, s19, v134 :: v_dual_mul_f32 v88, s19, v123
	v_mul_f32_e32 v78, s19, v133
	v_cndmask_b32_e64 v80, 0xff7fffff, v80, s6
	v_cndmask_b32_e64 v79, 0xff7fffff, v79, s7
	v_max3_f32 v81, v83, v82, v81
	v_mul_f32_e32 v91, s19, v120
	v_cndmask_b32_e64 v78, 0xff7fffff, v78, s8
	v_cndmask_b32_e64 v77, 0xff7fffff, v77, s9
	v_mul_f32_e32 v89, s19, v122
	v_max3_f32 v79, v81, v80, v79
	v_cndmask_b32_e64 v80, 0xff7fffff, v92, s10
	v_cndmask_b32_e64 v81, 0xff7fffff, v91, s11
	v_cmp_gt_i32_e64 s13, s18, v72
	v_or_b32_e32 v75, 28, v135
	v_max3_f32 v77, v79, v78, v77
	v_or_b32_e32 v76, 30, v135
	v_mul_f32_e32 v87, s19, v124
	v_cndmask_b32_e64 v71, 0xff7fffff, v90, s12
	v_cndmask_b32_e64 v72, 0xff7fffff, v89, s13
	v_max3_f32 v77, v77, v80, v81
	v_cmp_gt_i32_e64 s15, s18, v73
	v_cmp_gt_i32_e64 s16, s18, v74
	v_dual_mul_f32 v85, s19, v126 :: v_dual_mul_f32 v86, s19, v125
	s_delay_alu instid0(VALU_DEP_4) | instskip(NEXT) | instid1(VALU_DEP_4)
	v_max3_f32 v71, v77, v71, v72
	v_cndmask_b32_e64 v73, 0xff7fffff, v88, s15
	s_delay_alu instid0(VALU_DEP_4) | instskip(SKIP_2) | instid1(VALU_DEP_3)
	v_cndmask_b32_e64 v74, 0xff7fffff, v87, s16
	v_cmp_gt_i32_e64 s17, s18, v75
	v_cmp_gt_i32_e64 s18, s18, v76
	v_max3_f32 v71, v71, v73, v74
	s_delay_alu instid0(VALU_DEP_3) | instskip(NEXT) | instid1(VALU_DEP_3)
	v_cndmask_b32_e64 v72, 0xff7fffff, v86, s17
	v_cndmask_b32_e64 v75, 0xff7fffff, v85, s18
	v_lshlrev_b32_e32 v73, 2, v136
	s_delay_alu instid0(VALU_DEP_2) | instskip(SKIP_3) | instid1(VALU_DEP_1)
	v_max3_f32 v71, v71, v72, v75
	ds_bpermute_b32 v72, v73, v71
	s_waitcnt lgkmcnt(0)
	v_max_f32_e32 v72, v72, v72
	v_max_f32_e32 v71, v71, v72
	s_delay_alu instid0(VALU_DEP_1)
	v_fma_f32 v72, s19, v127, -v71
	v_fma_f32 v74, s19, v128, -v71
	;; [unrolled: 1-line block ×5, first 2 shown]
	v_mul_f32_e32 v72, 0x3fb8aa3b, v72
	v_mul_f32_e32 v74, 0x3fb8aa3b, v74
	v_fma_f32 v80, s19, v133, -v71
	s_delay_alu instid0(VALU_DEP_4) | instskip(NEXT) | instid1(VALU_DEP_4)
	v_dual_mul_f32 v76, 0x3fb8aa3b, v76 :: v_dual_mul_f32 v77, 0x3fb8aa3b, v77
	v_exp_f32_e32 v72, v72
	s_delay_alu instid0(VALU_DEP_3) | instskip(NEXT) | instid1(VALU_DEP_2)
	v_exp_f32_e32 v74, v74
	v_mul_f32_e32 v82, 0x3fb8aa3b, v80
	s_delay_alu instid0(VALU_DEP_2) | instskip(SKIP_1) | instid1(VALU_DEP_1)
	v_exp_f32_e32 v76, v76
	v_exp_f32_e32 v77, v77
	;; [unrolled: 1-line block ×3, first 2 shown]
	v_cndmask_b32_e32 v79, 0, v72, vcc_lo
	v_fma_f32 v72, s19, v132, -v71
	v_mul_f32_e32 v75, 0x3fb8aa3b, v75
	v_cndmask_b32_e64 v78, 0, v74, s3
	s_delay_alu instid0(TRANS32_DEP_3)
	v_cndmask_b32_e64 v80, 0, v76, s5
	v_add_f32_e32 v74, 0, v79
	v_mul_f32_e32 v72, 0x3fb8aa3b, v72
	v_exp_f32_e32 v75, v75
	v_cndmask_b32_e64 v83, 0, v77, s6
	v_cndmask_b32_e64 v85, 0, v84, s8
	v_add_f32_e32 v74, v74, v78
	v_exp_f32_e32 v72, v72
	v_cmp_gt_u32_e64 s3, 16, v70
	s_waitcnt_depctr 0xfff
	v_cndmask_b32_e64 v81, 0, v75, s4
	v_cndmask_b32_e64 v82, 0, v72, s7
	s_delay_alu instid0(VALU_DEP_2) | instskip(NEXT) | instid1(VALU_DEP_1)
	v_add_f32_e32 v74, v74, v81
	v_add_f32_e32 v74, v74, v80
	s_delay_alu instid0(VALU_DEP_1) | instskip(SKIP_4) | instid1(VALU_DEP_4)
	v_add_f32_e32 v72, v74, v83
	v_fma_f32 v75, s19, v134, -v71
	v_fma_f32 v76, s19, v119, -v71
	;; [unrolled: 1-line block ×4, first 2 shown]
	v_dual_add_f32 v72, v72, v82 :: v_dual_mul_f32 v75, 0x3fb8aa3b, v75
	s_delay_alu instid0(VALU_DEP_3) | instskip(SKIP_1) | instid1(VALU_DEP_3)
	v_dual_mul_f32 v76, 0x3fb8aa3b, v76 :: v_dual_mul_f32 v77, 0x3fb8aa3b, v77
	v_fma_f32 v86, s19, v122, -v71
	v_add_f32_e32 v72, v72, v85
	s_delay_alu instid0(VALU_DEP_4) | instskip(NEXT) | instid1(VALU_DEP_3)
	v_exp_f32_e32 v75, v75
	v_exp_f32_e32 v76, v76
	;; [unrolled: 1-line block ×3, first 2 shown]
	v_mul_f32_e32 v86, 0x3fb8aa3b, v86
	s_delay_alu instid0(VALU_DEP_1) | instskip(SKIP_3) | instid1(TRANS32_DEP_3)
	v_exp_f32_e32 v88, v86
	v_cndmask_b32_e64 v84, 0, v75, s9
	v_fma_f32 v75, s19, v123, -v71
	v_mul_f32_e32 v74, 0x3fb8aa3b, v74
	v_cndmask_b32_e64 v87, 0, v76, s10
	v_fma_f32 v76, s19, v124, -v71
	s_delay_alu instid0(VALU_DEP_4) | instskip(NEXT) | instid1(VALU_DEP_4)
	v_dual_add_f32 v72, v72, v84 :: v_dual_mul_f32 v75, 0x3fb8aa3b, v75
	v_exp_f32_e32 v74, v74
	v_cndmask_b32_e64 v86, 0, v77, s11
	v_fma_f32 v77, s19, v125, -v71
	s_delay_alu instid0(VALU_DEP_3) | instskip(SKIP_3) | instid1(VALU_DEP_3)
	v_add_f32_e32 v72, v72, v87
	v_mul_f32_e32 v76, 0x3fb8aa3b, v76
	v_exp_f32_e32 v75, v75
	v_cndmask_b32_e64 v88, 0, v88, s13
	v_add_f32_e32 v72, v72, v86
	s_delay_alu instid0(VALU_DEP_3) | instskip(NEXT) | instid1(TRANS32_DEP_3)
	v_exp_f32_e32 v76, v76
	v_cndmask_b32_e64 v89, 0, v74, s12
	v_mul_f32_e32 v74, 0x3fb8aa3b, v77
	v_fma_f32 v77, s19, v126, -v71
	s_delay_alu instid0(VALU_DEP_3) | instskip(NEXT) | instid1(VALU_DEP_3)
	v_add_f32_e32 v72, v72, v89
	v_exp_f32_e32 v74, v74
	s_delay_alu instid0(TRANS32_DEP_3) | instskip(NEXT) | instid1(VALU_DEP_3)
	v_cndmask_b32_e64 v91, 0, v75, s15
	v_mul_f32_e32 v75, 0x3fb8aa3b, v77
	s_delay_alu instid0(TRANS32_DEP_2) | instskip(SKIP_1) | instid1(VALU_DEP_3)
	v_cndmask_b32_e64 v90, 0, v76, s16
	v_add_f32_e32 v72, v72, v88
	v_exp_f32_e32 v75, v75
	s_delay_alu instid0(VALU_DEP_1) | instskip(NEXT) | instid1(TRANS32_DEP_2)
	v_add_f32_e32 v72, v72, v91
	v_cndmask_b32_e64 v93, 0, v74, s17
	s_delay_alu instid0(VALU_DEP_2) | instskip(SKIP_3) | instid1(VALU_DEP_1)
	v_add_f32_e32 v72, v72, v90
	s_waitcnt_depctr 0xfff
	v_cndmask_b32_e64 v92, 0, v75, s18
	v_add_f32_e32 v72, v72, v93
	v_add_f32_e32 v72, v72, v92
	ds_bpermute_b32 v73, v73, v72
	s_and_saveexec_b32 s4, s3
	s_cbranch_execz .LBB1206_12
; %bb.11:
	v_mul_u32_u24_e32 v70, 0x44, v69
	s_waitcnt lgkmcnt(0)
	v_add_f32_e32 v72, v72, v73
	s_delay_alu instid0(VALU_DEP_2) | instskip(NEXT) | instid1(VALU_DEP_1)
	v_lshl_add_u32 v70, v68, 2, v70
	v_add_nc_u32_e32 v70, 0x4000, v70
	ds_store_2addr_b32 v70, v71, v72 offset1:136
.LBB1206_12:
	s_or_b32 exec_lo, exec_lo, s4
	v_lshlrev_b32_e32 v70, 2, v68
	s_load_b32 s36, s[0:1], 0x94
	s_waitcnt lgkmcnt(0)
	s_barrier
	buffer_gl0_inv
	v_add_nc_u32_e32 v98, 0x4000, v70
	v_cmp_eq_u32_e32 vcc_lo, 1, v69
	v_cmp_eq_u32_e64 s4, 2, v69
	v_cmp_eq_u32_e64 s5, 3, v69
	;; [unrolled: 1-line block ×3, first 2 shown]
	ds_load_2addr_b32 v[70:71], v98 offset1:17
	ds_load_2addr_b32 v[72:73], v98 offset0:34 offset1:51
	ds_load_2addr_b32 v[74:75], v98 offset0:68 offset1:85
	;; [unrolled: 1-line block ×3, first 2 shown]
	v_cmp_eq_u32_e64 s7, 5, v69
	v_cmp_eq_u32_e64 s8, 7, v69
	s_waitcnt lgkmcnt(3)
	v_max3_f32 v76, v70, 0xff7fffff, v71
	s_waitcnt lgkmcnt(2)
	s_delay_alu instid0(VALU_DEP_1) | instskip(SKIP_1) | instid1(VALU_DEP_1)
	v_max3_f32 v76, v76, v72, v73
	s_waitcnt lgkmcnt(1)
	v_max3_f32 v76, v76, v74, v75
	s_waitcnt lgkmcnt(0)
	s_delay_alu instid0(VALU_DEP_1) | instskip(NEXT) | instid1(VALU_DEP_1)
	v_max3_f32 v76, v76, v94, v95
	v_sub_f32_e32 v77, v71, v76
	ds_load_2addr_b32 v[96:97], v98 offset0:136 offset1:153
	v_sub_f32_e32 v74, v74, v76
	v_sub_f32_e32 v70, v70, v76
	;; [unrolled: 1-line block ×3, first 2 shown]
	v_dual_sub_f32 v72, v72, v76 :: v_dual_mul_f32 v77, 0x3fb8aa3b, v77
	s_delay_alu instid0(VALU_DEP_4) | instskip(NEXT) | instid1(VALU_DEP_4)
	v_mul_f32_e32 v103, 0x3fb8aa3b, v74
	v_mul_f32_e32 v99, 0x3fb8aa3b, v70
	ds_load_2addr_b32 v[70:71], v98 offset0:170 offset1:187
	v_dual_mul_f32 v101, 0x3fb8aa3b, v72 :: v_dual_mul_f32 v94, 0x3fb8aa3b, v94
	v_exp_f32_e32 v102, v77
	v_exp_f32_e32 v99, v99
	s_delay_alu instid0(VALU_DEP_1) | instskip(NEXT) | instid1(VALU_DEP_1)
	v_exp_f32_e32 v101, v101
	v_exp_f32_e32 v94, v94
	s_waitcnt lgkmcnt(1)
	s_delay_alu instid0(TRANS32_DEP_3)
	v_fma_f32 v77, v99, v96, 0
	v_sub_f32_e32 v100, v73, v76
	ds_load_2addr_b32 v[72:73], v98 offset0:204 offset1:221
	v_fmac_f32_e32 v77, v102, v97
	v_exp_f32_e32 v97, v103
	s_waitcnt lgkmcnt(1)
	s_delay_alu instid0(VALU_DEP_1)
	v_dual_fmac_f32 v77, v101, v70 :: v_dual_sub_f32 v96, v75, v76
	ds_load_2addr_b32 v[74:75], v98 offset0:238 offset1:255
	v_sub_f32_e32 v70, v95, v76
	s_waitcnt lgkmcnt(0)
	s_barrier
	v_mul_f32_e32 v96, 0x3fb8aa3b, v96
	buffer_gl0_inv
	v_exp_f32_e32 v95, v96
	v_mul_f32_e32 v100, 0x3fb8aa3b, v100
	s_delay_alu instid0(VALU_DEP_1) | instskip(SKIP_3) | instid1(VALU_DEP_2)
	v_exp_f32_e32 v100, v100
	s_waitcnt_depctr 0xfff
	v_dual_fmac_f32 v77, v100, v71 :: v_dual_mul_f32 v70, 0x3fb8aa3b, v70
	v_cndmask_b32_e32 v71, v99, v102, vcc_lo
	v_fmac_f32_e32 v77, v97, v72
	s_delay_alu instid0(VALU_DEP_3) | instskip(NEXT) | instid1(VALU_DEP_1)
	v_exp_f32_e32 v96, v70
	v_fmac_f32_e32 v77, v95, v73
	s_delay_alu instid0(VALU_DEP_1) | instskip(SKIP_2) | instid1(VALU_DEP_1)
	v_fmac_f32_e32 v77, v94, v74
	s_waitcnt_depctr 0xfff
	v_fmac_f32_e32 v77, v96, v75
	v_add_f32_e32 v74, 0x358637bd, v77
	s_delay_alu instid0(VALU_DEP_1) | instskip(SKIP_1) | instid1(VALU_DEP_2)
	v_div_scale_f32 v98, null, v74, v74, 1.0
	v_div_scale_f32 v99, vcc_lo, 1.0, v74, 1.0
	v_rcp_f32_e32 v103, v98
	s_waitcnt_depctr 0xfff
	v_fma_f32 v70, -v98, v103, 1.0
	s_delay_alu instid0(VALU_DEP_1) | instskip(SKIP_2) | instid1(VALU_DEP_2)
	v_fmac_f32_e32 v103, v70, v103
	v_cndmask_b32_e64 v70, v71, v101, s4
	v_cmp_eq_u32_e64 s4, 6, v69
	v_cndmask_b32_e64 v71, v70, v100, s5
	s_delay_alu instid0(VALU_DEP_4) | instskip(NEXT) | instid1(VALU_DEP_2)
	v_dual_mul_f32 v101, v99, v103 :: v_dual_lshlrev_b32 v70, 2, v66
	v_cndmask_b32_e64 v71, v71, v97, s6
	s_delay_alu instid0(VALU_DEP_2) | instskip(NEXT) | instid1(VALU_DEP_3)
	v_or_b32_e32 v72, 1, v70
	v_fma_f32 v100, -v98, v101, v99
	v_cmp_eq_u32_e64 s5, 1, v70
	v_cmp_eq_u32_e64 s6, 2, v70
	v_cndmask_b32_e64 v95, v71, v95, s7
	v_or_b32_e32 v71, 3, v70
	v_fmac_f32_e32 v101, v100, v103
	v_cmp_eq_u32_e64 s10, 1, v72
	v_cmp_eq_u32_e64 s13, 2, v72
	v_cndmask_b32_e64 v94, v95, v94, s4
	v_cmp_eq_u32_e64 s12, 1, v71
	v_fma_f32 v97, -v98, v101, v99
	v_cmp_eq_u32_e64 s17, 2, v71
	v_cmp_eq_u32_e64 s15, 3, v72
	v_cndmask_b32_e64 v94, v94, v96, s8
	v_cmp_eq_u32_e64 s19, 3, v71
	v_div_fmas_f32 v95, v97, v103, v101
	v_cmp_eq_u32_e32 vcc_lo, 3, v70
	v_cmp_eq_u32_e64 s4, 4, v70
	v_cmp_eq_u32_e64 s20, 4, v72
	;; [unrolled: 1-line block ×3, first 2 shown]
	v_div_fixup_f32 v95, v95, v74, 1.0
	v_lshlrev_b32_e32 v73, 6, v68
	v_cmp_eq_u32_e64 s7, 5, v70
	v_cmp_eq_u32_e64 s21, 5, v72
	;; [unrolled: 1-line block ×3, first 2 shown]
	v_mul_f32_e32 v102, v94, v95
	v_lshl_or_b32 v75, v69, 11, v73
	v_or_b32_e32 v69, 2, v70
	v_cmp_eq_u32_e64 s26, 6, v72
	v_cmp_eq_u32_e64 s28, 6, v71
	v_fma_mixlo_f16 v94, v102, v79, 0
	v_fma_mixlo_f16 v95, v102, v81, 0
	;; [unrolled: 1-line block ×8, first 2 shown]
	v_lshl_or_b32 v74, v66, 4, v75
	v_fma_mixhi_f16 v94, v102, v78, 0
	v_fma_mixhi_f16 v95, v102, v80, 0
	;; [unrolled: 1-line block ×8, first 2 shown]
	ds_store_b128 v74, v[94:97]
	ds_store_b128 v74, v[98:101] offset:1024
	s_waitcnt lgkmcnt(0)
	s_barrier
	buffer_gl0_inv
	ds_load_b128 v[78:81], v75
	ds_load_b128 v[82:85], v75 offset:16
	ds_load_b128 v[86:89], v75 offset:1024
	;; [unrolled: 1-line block ×3, first 2 shown]
	v_cmp_eq_u32_e64 s11, 1, v69
	v_cmp_eq_u32_e64 s16, 2, v69
	v_cmp_eq_u32_e64 s18, 3, v69
	v_cmp_eq_u32_e64 s22, 4, v69
	v_cmp_eq_u32_e64 s24, 5, v69
	v_cmp_eq_u32_e64 s8, 6, v70
	v_cmp_eq_u32_e64 s27, 6, v69
	v_cmp_eq_u32_e64 s30, 7, v71
	v_cmp_eq_u32_e64 s31, 7, v72
	v_cmp_eq_u32_e64 s9, 7, v70
	v_cmp_eq_u32_e64 s29, 7, v69
	s_waitcnt lgkmcnt(3)
	v_lshrrev_b32_e32 v94, 16, v78
	s_waitcnt lgkmcnt(2)
	v_lshrrev_b32_e32 v98, 16, v82
	;; [unrolled: 2-line block ×4, first 2 shown]
	v_lshrrev_b32_e32 v95, 16, v79
	v_cndmask_b32_e64 v110, v78, v94, s5
	v_cndmask_b32_e64 v111, v82, v98, s5
	;; [unrolled: 1-line block ×8, first 2 shown]
	v_lshrrev_b32_e32 v99, 16, v83
	v_cndmask_b32_e64 v94, v86, v102, s5
	v_cndmask_b32_e64 v98, v90, v106, s5
	;; [unrolled: 1-line block ×15, first 2 shown]
	v_lshrrev_b32_e32 v103, 16, v87
	v_lshrrev_b32_e32 v107, 16, v91
	v_cndmask_b32_e64 v113, v115, v83, s16
	v_cndmask_b32_e64 v82, v94, v87, s6
	;; [unrolled: 1-line block ×7, first 2 shown]
	v_cndmask_b32_e32 v90, v102, v95, vcc_lo
	v_cndmask_b32_e32 v102, v106, v99, vcc_lo
	v_cndmask_b32_e64 v106, v110, v95, s15
	v_cndmask_b32_e64 v110, v111, v99, s15
	;; [unrolled: 1-line block ×4, first 2 shown]
	v_lshrrev_b32_e32 v96, 16, v80
	v_lshrrev_b32_e32 v100, 16, v84
	v_cndmask_b32_e64 v111, v112, v95, s18
	v_cndmask_b32_e64 v112, v113, v99, s18
	v_cndmask_b32_e32 v82, v82, v103, vcc_lo
	v_cndmask_b32_e32 v83, v83, v107, vcc_lo
	v_cndmask_b32_e64 v94, v94, v103, s15
	v_cndmask_b32_e64 v90, v90, v80, s4
	;; [unrolled: 1-line block ×7, first 2 shown]
	v_lshrrev_b32_e32 v104, 16, v88
	v_cndmask_b32_e64 v106, v111, v80, s22
	v_cndmask_b32_e64 v110, v112, v84, s22
	v_cndmask_b32_e64 v80, v82, v88, s4
	v_cndmask_b32_e64 v82, v83, v92, s4
	v_cndmask_b32_e64 v83, v94, v88, s20
	v_cndmask_b32_e64 v84, v90, v96, s7
	v_cndmask_b32_e64 v90, v95, v100, s7
	v_cndmask_b32_e64 v94, v99, v96, s21
	v_cndmask_b32_e64 v95, v102, v100, s21
	v_cndmask_b32_e64 v78, v78, v96, s25
	v_cndmask_b32_e64 v79, v79, v100, s25
	v_lshrrev_b32_e32 v97, 16, v81
	v_lshrrev_b32_e32 v101, 16, v85
	v_cndmask_b32_e64 v99, v106, v96, s24
	v_cndmask_b32_e64 v102, v110, v100, s24
	;; [unrolled: 1-line block ×7, first 2 shown]
	v_lshrrev_b32_e32 v105, 16, v89
	v_cndmask_b32_e64 v80, v80, v104, s7
	v_cndmask_b32_e64 v84, v84, v81, s8
	;; [unrolled: 1-line block ×16, first 2 shown]
	v_perm_b32 v81, v79, v78, 0x5040100
	v_perm_b32 v79, v95, v85, 0x5040100
	v_cndmask_b32_e64 v78, v119, v91, s16
	v_cndmask_b32_e64 v85, v117, v91, s13
	v_cndmask_b32_e64 v96, v80, v105, s9
	v_perm_b32 v80, v94, v90, 0x5040100
	v_cndmask_b32_e64 v90, v98, v103, s18
	v_cndmask_b32_e64 v86, v86, v103, s19
	;; [unrolled: 1-line block ×5, first 2 shown]
	v_lshrrev_b32_e32 v108, 16, v92
	v_cndmask_b32_e64 v90, v90, v88, s22
	v_cndmask_b32_e64 v86, v86, v88, s23
	;; [unrolled: 1-line block ×11, first 2 shown]
	v_lshrrev_b32_e32 v109, 16, v93
	v_cndmask_b32_e64 v82, v82, v93, s8
	v_cndmask_b32_e64 v88, v88, v89, s27
	;; [unrolled: 1-line block ×12, first 2 shown]
	v_perm_b32 v78, v84, v83, 0x5040100
	v_perm_b32 v85, v87, v86, 0x5040100
	;; [unrolled: 1-line block ×5, first 2 shown]
	s_mul_i32 s9, s35, 9
	s_mov_b32 s4, exec_lo
	ds_store_b128 v74, v[78:81]
	ds_store_b128 v74, v[82:85] offset:1024
	v_cmpx_gt_u32_e32 9, v0
	s_cbranch_execz .LBB1206_14
; %bb.13:
	s_mul_i32 s5, s9, s34
	s_load_b128 s[16:19], s[0:1], 0x58
	v_add3_u32 v68, s5, s33, v68
	s_delay_alu instid0(VALU_DEP_1) | instskip(NEXT) | instid1(VALU_DEP_1)
	v_mad_u64_u32 v[78:79], null, v68, s36, s[14:15]
	v_ashrrev_i32_e32 v79, 31, v78
	s_delay_alu instid0(VALU_DEP_1) | instskip(SKIP_1) | instid1(VALU_DEP_1)
	v_lshlrev_b64 v[78:79], 2, v[78:79]
	s_waitcnt lgkmcnt(0)
	v_add_co_u32 v80, vcc_lo, s18, v78
	s_delay_alu instid0(VALU_DEP_2)
	v_add_co_ci_u32_e32 v81, vcc_lo, s19, v79, vcc_lo
	v_add_co_u32 v78, vcc_lo, s16, v78
	v_add_co_ci_u32_e32 v79, vcc_lo, s17, v79, vcc_lo
	global_store_b32 v[80:81], v76, off
	global_store_b32 v[78:79], v77, off
.LBB1206_14:
	s_or_b32 exec_lo, exec_lo, s4
	s_waitcnt lgkmcnt(0)
	s_waitcnt_vscnt null, 0x0
	s_barrier
	buffer_gl0_inv
	ds_load_b128 v[84:87], v73
	ds_load_b128 v[88:91], v73 offset:16
	ds_load_b128 v[96:99], v73 offset:2064
	;; [unrolled: 1-line block ×5, first 2 shown]
	v_cmp_eq_u32_e32 vcc_lo, 1, v70
	v_mov_b32_e32 v76, 0
	ds_load_b128 v[112:115], v73 offset:6160
	ds_load_b128 v[108:111], v73 offset:6144
	;; [unrolled: 1-line block ×4, first 2 shown]
	v_cmp_eq_u32_e64 s5, 1, v69
	v_cmp_eq_u32_e64 s4, 1, v72
	;; [unrolled: 1-line block ×3, first 2 shown]
	v_mov_b32_e32 v77, v76
	v_mov_b32_e32 v78, v76
	;; [unrolled: 1-line block ×7, first 2 shown]
	v_cmp_eq_u32_e64 s7, 3, v72
	v_cmp_eq_u32_e64 s8, 7, v72
	s_waitcnt lgkmcnt(8)
	s_delay_alu instid0(VALU_DEP_3)
	v_wmma_f32_16x16x16_f16 v[76:83], v[49:56], v[84:91], v[76:83]
	ds_load_b128 v[53:56], v73 offset:10256
	ds_load_b128 v[49:52], v73 offset:10240
	s_waitcnt lgkmcnt(8)
	v_wmma_f32_16x16x16_f16 v[76:83], v[41:48], v[92:99], v[76:83]
	ds_load_b128 v[45:48], v73 offset:12304
	ds_load_b128 v[41:44], v73 offset:12288
	s_waitcnt lgkmcnt(8)
	;; [unrolled: 4-line block ×3, first 2 shown]
	s_barrier
	buffer_gl0_inv
	v_wmma_f32_16x16x16_f16 v[76:83], v[1:8], v[108:115], v[76:83]
	s_delay_alu instid0(VALU_DEP_1) | instskip(NEXT) | instid1(VALU_DEP_1)
	v_wmma_f32_16x16x16_f16 v[76:83], v[9:16], v[116:123], v[76:83]
	v_wmma_f32_16x16x16_f16 v[76:83], v[17:24], v[49:56], v[76:83]
	s_delay_alu instid0(VALU_DEP_1) | instskip(NEXT) | instid1(VALU_DEP_1)
	v_wmma_f32_16x16x16_f16 v[76:83], v[25:32], v[41:48], v[76:83]
	v_wmma_f32_16x16x16_f16 v[76:83], v[57:64], v[33:40], v[76:83]
	s_delay_alu instid0(VALU_DEP_1) | instskip(NEXT) | instid1(VALU_DEP_2)
	v_cvt_f16_f32_e32 v1, v76
	v_cvt_f16_f32_e32 v2, v77
	s_delay_alu instid0(VALU_DEP_3) | instskip(NEXT) | instid1(VALU_DEP_4)
	v_cvt_f16_f32_e32 v3, v78
	v_cvt_f16_f32_e32 v4, v79
	;; [unrolled: 1-line block ×6, first 2 shown]
	v_pack_b32_f16 v1, v1, v2
	v_pack_b32_f16 v2, v3, v4
	;; [unrolled: 1-line block ×3, first 2 shown]
	s_delay_alu instid0(VALU_DEP_4)
	v_pack_b32_f16 v4, v7, v8
	ds_store_b128 v74, v[1:4]
	s_waitcnt lgkmcnt(0)
	s_barrier
	buffer_gl0_inv
	ds_load_b128 v[1:4], v75
	ds_load_b128 v[5:8], v75 offset:16
	s_waitcnt lgkmcnt(1)
	v_lshrrev_b32_e32 v9, 16, v1
	s_waitcnt lgkmcnt(0)
	v_lshrrev_b32_e32 v13, 16, v5
	v_lshrrev_b32_e32 v10, 16, v2
	v_lshrrev_b32_e32 v14, 16, v6
	v_lshrrev_b32_e32 v11, 16, v3
	v_cndmask_b32_e32 v17, v1, v9, vcc_lo
	v_cndmask_b32_e32 v18, v5, v13, vcc_lo
	v_cndmask_b32_e64 v21, v1, v9, s5
	v_cmp_eq_u32_e32 vcc_lo, 1, v71
	v_cndmask_b32_e64 v22, v5, v13, s5
	v_cmp_eq_u32_e64 s5, 2, v70
	v_cndmask_b32_e64 v19, v1, v9, s4
	v_cndmask_b32_e64 v20, v5, v13, s4
	v_cndmask_b32_e32 v1, v1, v9, vcc_lo
	v_cmp_eq_u32_e64 s4, 2, v71
	v_cndmask_b32_e32 v5, v5, v13, vcc_lo
	v_cndmask_b32_e64 v9, v17, v2, s5
	v_cmp_eq_u32_e32 vcc_lo, 3, v70
	v_cndmask_b32_e64 v13, v18, v6, s5
	v_cmp_eq_u32_e64 s5, 2, v69
	v_cndmask_b32_e64 v17, v19, v2, s6
	v_cndmask_b32_e64 v18, v20, v6, s6
	v_cmp_eq_u32_e64 s6, 3, v69
	v_cndmask_b32_e64 v1, v1, v2, s4
	v_cndmask_b32_e64 v19, v21, v2, s5
	;; [unrolled: 1-line block ×4, first 2 shown]
	v_cndmask_b32_e32 v5, v9, v10, vcc_lo
	v_cndmask_b32_e32 v6, v13, v14, vcc_lo
	v_cmp_eq_u32_e32 vcc_lo, 3, v71
	v_cndmask_b32_e64 v9, v17, v10, s7
	v_cndmask_b32_e64 v13, v18, v14, s7
	;; [unrolled: 1-line block ×3, first 2 shown]
	v_cmp_eq_u32_e64 s5, 4, v70
	v_cndmask_b32_e32 v1, v1, v10, vcc_lo
	v_cndmask_b32_e32 v2, v2, v14, vcc_lo
	v_cmp_eq_u32_e32 vcc_lo, 4, v72
	v_lshrrev_b32_e32 v15, 16, v7
	v_lshrrev_b32_e32 v16, 16, v8
	v_cndmask_b32_e64 v17, v19, v10, s6
	v_cmp_eq_u32_e64 s4, 4, v71
	v_cndmask_b32_e64 v5, v5, v3, s5
	v_cndmask_b32_e64 v6, v6, v7, s5
	v_cndmask_b32_e32 v9, v9, v3, vcc_lo
	v_cmp_eq_u32_e64 s5, 5, v72
	v_cndmask_b32_e32 v10, v13, v7, vcc_lo
	v_cmp_eq_u32_e32 vcc_lo, 4, v69
	v_cmp_eq_u32_e64 s6, 5, v70
	v_cndmask_b32_e64 v2, v2, v7, s4
	v_cndmask_b32_e64 v9, v9, v11, s5
	;; [unrolled: 1-line block ×3, first 2 shown]
	v_cndmask_b32_e32 v13, v17, v3, vcc_lo
	v_cmp_eq_u32_e64 s5, 5, v69
	v_cndmask_b32_e32 v14, v18, v7, vcc_lo
	v_cndmask_b32_e64 v1, v1, v3, s4
	v_cmp_eq_u32_e32 vcc_lo, 5, v71
	v_lshrrev_b32_e32 v12, 16, v4
	v_cndmask_b32_e64 v13, v13, v11, s5
	v_cndmask_b32_e64 v3, v14, v15, s5
	v_cmp_eq_u32_e64 s5, 6, v71
	v_cndmask_b32_e32 v1, v1, v11, vcc_lo
	v_cndmask_b32_e64 v5, v5, v11, s6
	v_cmp_eq_u32_e64 s7, 6, v70
	v_cndmask_b32_e64 v6, v6, v15, s6
	v_cmp_eq_u32_e64 s6, 6, v72
	v_cmp_eq_u32_e64 s4, 6, v69
	v_cndmask_b32_e64 v1, v1, v4, s5
	v_cndmask_b32_e32 v2, v2, v15, vcc_lo
	v_cmp_eq_u32_e32 vcc_lo, 7, v71
	v_cndmask_b32_e64 v5, v5, v4, s7
	v_cndmask_b32_e64 v9, v9, v4, s6
	;; [unrolled: 1-line block ×3, first 2 shown]
	v_cmp_eq_u32_e64 s7, 7, v70
	v_cndmask_b32_e32 v1, v1, v12, vcc_lo
	v_cndmask_b32_e64 v7, v13, v4, s4
	v_cndmask_b32_e64 v3, v3, v8, s4
	;; [unrolled: 1-line block ×3, first 2 shown]
	v_cmp_eq_u32_e64 s4, 7, v69
	v_cndmask_b32_e64 v4, v10, v8, s6
	v_cndmask_b32_e64 v5, v5, v12, s7
	;; [unrolled: 1-line block ×3, first 2 shown]
	v_cndmask_b32_e32 v2, v2, v16, vcc_lo
	v_cndmask_b32_e64 v7, v7, v12, s4
	v_cndmask_b32_e64 v3, v3, v16, s4
	;; [unrolled: 1-line block ×4, first 2 shown]
	v_cmp_gt_u32_e32 vcc_lo, 32, v0
	v_perm_b32 v4, v2, v1, 0x5040100
	v_perm_b32 v3, v3, v7, 0x5040100
	;; [unrolled: 1-line block ×4, first 2 shown]
	s_and_b32 s2, vcc_lo, s2
	ds_store_b128 v74, v[1:4]
	s_waitcnt lgkmcnt(0)
	s_barrier
	buffer_gl0_inv
	s_and_saveexec_b32 s4, s2
	s_cbranch_execz .LBB1206_2
; %bb.15:
	s_load_b64 s[4:5], s[0:1], 0x68
	v_lshlrev_b32_e32 v0, 10, v0
	v_lshlrev_b32_e32 v1, 4, v67
	s_lshl_b32 s0, s36, 6
	v_add_nc_u32_e32 v2, s33, v66
	s_mul_i32 s1, s0, s34
	s_delay_alu instid0(SALU_CYCLE_1) | instskip(SKIP_1) | instid1(VALU_DEP_2)
	s_mul_i32 s6, s1, s9
	v_and_or_b32 v0, 0x3800, v0, v1
	v_mul_lo_u32 v1, v2, s0
	s_ashr_i32 s7, s6, 31
	v_add_nc_u32_e32 v3, 2, v2
	s_lshl_b64 s[6:7], s[6:7], 1
	v_add_nc_u32_e32 v4, 4, v2
	v_add_nc_u32_e32 v5, 6, v2
	v_lshl_or_b32 v15, v66, 6, v0
	v_mul_lo_u32 v3, v3, s0
	v_ashrrev_i32_e32 v2, 31, v1
	v_mul_lo_u32 v19, v4, s0
	v_mul_lo_u32 v21, v5, s0
	s_waitcnt lgkmcnt(0)
	s_add_u32 s1, s4, s6
	s_addc_u32 s2, s5, s7
	s_lshl_b32 s4, s14, 6
	v_lshlrev_b64 v[5:6], 1, v[1:2]
	s_ashr_i32 s5, s4, 31
	v_ashrrev_i32_e32 v4, 31, v3
	s_lshl_b64 s[4:5], s[4:5], 1
	v_ashrrev_i32_e32 v20, 31, v19
	s_add_u32 s1, s1, s4
	s_addc_u32 s2, s2, s5
	v_add_co_u32 v1, s1, s1, v65
	s_delay_alu instid0(VALU_DEP_1) | instskip(SKIP_1) | instid1(VALU_DEP_3)
	v_add_co_ci_u32_e64 v2, null, s2, 0, s1
	v_lshlrev_b64 v[25:26], 1, v[3:4]
	v_add_co_u32 v23, vcc_lo, v1, v5
	s_delay_alu instid0(VALU_DEP_3)
	v_add_co_ci_u32_e32 v24, vcc_lo, v2, v6, vcc_lo
	ds_load_b128 v[3:6], v15
	ds_load_b128 v[7:10], v15 offset:128
	ds_load_b128 v[11:14], v15 offset:256
	;; [unrolled: 1-line block ×3, first 2 shown]
	v_ashrrev_i32_e32 v22, 31, v21
	v_lshlrev_b64 v[19:20], 1, v[19:20]
	v_add_co_u32 v25, vcc_lo, v1, v25
	v_add_co_ci_u32_e32 v26, vcc_lo, v2, v26, vcc_lo
	s_delay_alu instid0(VALU_DEP_4) | instskip(NEXT) | instid1(VALU_DEP_4)
	v_lshlrev_b64 v[21:22], 1, v[21:22]
	v_add_co_u32 v19, vcc_lo, v1, v19
	v_add_co_ci_u32_e32 v20, vcc_lo, v2, v20, vcc_lo
	s_delay_alu instid0(VALU_DEP_3) | instskip(NEXT) | instid1(VALU_DEP_4)
	v_add_co_u32 v21, vcc_lo, v1, v21
	v_add_co_ci_u32_e32 v22, vcc_lo, v2, v22, vcc_lo
	s_waitcnt lgkmcnt(3)
	global_store_b128 v[23:24], v[3:6], off
	s_waitcnt lgkmcnt(2)
	global_store_b128 v[25:26], v[7:10], off
	;; [unrolled: 2-line block ×4, first 2 shown]
	s_and_b32 exec_lo, exec_lo, s3
	s_cbranch_execz .LBB1206_2
; %bb.16:
	ds_load_b128 v[3:6], v0 offset:512
	s_add_i32 s1, s33, 8
	s_delay_alu instid0(SALU_CYCLE_1) | instskip(NEXT) | instid1(SALU_CYCLE_1)
	s_mul_i32 s0, s1, s0
	s_ashr_i32 s1, s0, 31
	s_delay_alu instid0(SALU_CYCLE_1) | instskip(NEXT) | instid1(SALU_CYCLE_1)
	s_lshl_b64 s[0:1], s[0:1], 1
	v_add_co_u32 v0, vcc_lo, v1, s0
	v_add_co_ci_u32_e32 v1, vcc_lo, s1, v2, vcc_lo
	s_waitcnt lgkmcnt(0)
	global_store_b128 v[0:1], v[3:6], off
	s_nop 0
	s_sendmsg sendmsg(MSG_DEALLOC_VGPRS)
	s_endpgm
	.section	.rodata,"a",@progbits
	.p2align	6, 0x0
	.amdhsa_kernel _Z39paged_attention_ll4mi_QKV_mfma16_kernelIDF16_hLN4vllm18Fp8KVCacheDataTypeE1EDF16_Li32ELi64ELi256ELb0ELi9EL8MFMAType0EEvPKT_PKT0_S8_ifPKiSA_SA_iPKfiiiPfSD_PS3_PT2_iSC_SC_
		.amdhsa_group_segment_fixed_size 17472
		.amdhsa_private_segment_fixed_size 0
		.amdhsa_kernarg_size 400
		.amdhsa_user_sgpr_count 13
		.amdhsa_user_sgpr_dispatch_ptr 0
		.amdhsa_user_sgpr_queue_ptr 0
		.amdhsa_user_sgpr_kernarg_segment_ptr 1
		.amdhsa_user_sgpr_dispatch_id 0
		.amdhsa_user_sgpr_private_segment_size 0
		.amdhsa_wavefront_size32 1
		.amdhsa_uses_dynamic_stack 0
		.amdhsa_enable_private_segment 0
		.amdhsa_system_sgpr_workgroup_id_x 1
		.amdhsa_system_sgpr_workgroup_id_y 1
		.amdhsa_system_sgpr_workgroup_id_z 1
		.amdhsa_system_sgpr_workgroup_info 0
		.amdhsa_system_vgpr_workitem_id 0
		.amdhsa_next_free_vgpr 146
		.amdhsa_next_free_sgpr 37
		.amdhsa_reserve_vcc 1
		.amdhsa_float_round_mode_32 0
		.amdhsa_float_round_mode_16_64 0
		.amdhsa_float_denorm_mode_32 3
		.amdhsa_float_denorm_mode_16_64 3
		.amdhsa_dx10_clamp 1
		.amdhsa_ieee_mode 1
		.amdhsa_fp16_overflow 0
		.amdhsa_workgroup_processor_mode 1
		.amdhsa_memory_ordered 1
		.amdhsa_forward_progress 0
		.amdhsa_shared_vgpr_count 0
		.amdhsa_exception_fp_ieee_invalid_op 0
		.amdhsa_exception_fp_denorm_src 0
		.amdhsa_exception_fp_ieee_div_zero 0
		.amdhsa_exception_fp_ieee_overflow 0
		.amdhsa_exception_fp_ieee_underflow 0
		.amdhsa_exception_fp_ieee_inexact 0
		.amdhsa_exception_int_div_zero 0
	.end_amdhsa_kernel
	.section	.text._Z39paged_attention_ll4mi_QKV_mfma16_kernelIDF16_hLN4vllm18Fp8KVCacheDataTypeE1EDF16_Li32ELi64ELi256ELb0ELi9EL8MFMAType0EEvPKT_PKT0_S8_ifPKiSA_SA_iPKfiiiPfSD_PS3_PT2_iSC_SC_,"axG",@progbits,_Z39paged_attention_ll4mi_QKV_mfma16_kernelIDF16_hLN4vllm18Fp8KVCacheDataTypeE1EDF16_Li32ELi64ELi256ELb0ELi9EL8MFMAType0EEvPKT_PKT0_S8_ifPKiSA_SA_iPKfiiiPfSD_PS3_PT2_iSC_SC_,comdat
.Lfunc_end1206:
	.size	_Z39paged_attention_ll4mi_QKV_mfma16_kernelIDF16_hLN4vllm18Fp8KVCacheDataTypeE1EDF16_Li32ELi64ELi256ELb0ELi9EL8MFMAType0EEvPKT_PKT0_S8_ifPKiSA_SA_iPKfiiiPfSD_PS3_PT2_iSC_SC_, .Lfunc_end1206-_Z39paged_attention_ll4mi_QKV_mfma16_kernelIDF16_hLN4vllm18Fp8KVCacheDataTypeE1EDF16_Li32ELi64ELi256ELb0ELi9EL8MFMAType0EEvPKT_PKT0_S8_ifPKiSA_SA_iPKfiiiPfSD_PS3_PT2_iSC_SC_
                                        ; -- End function
	.section	.AMDGPU.csdata,"",@progbits
; Kernel info:
; codeLenInByte = 6584
; NumSgprs: 39
; NumVgprs: 146
; ScratchSize: 0
; MemoryBound: 0
; FloatMode: 240
; IeeeMode: 1
; LDSByteSize: 17472 bytes/workgroup (compile time only)
; SGPRBlocks: 4
; VGPRBlocks: 18
; NumSGPRsForWavesPerEU: 39
; NumVGPRsForWavesPerEU: 146
; Occupancy: 9
; WaveLimiterHint : 1
; COMPUTE_PGM_RSRC2:SCRATCH_EN: 0
; COMPUTE_PGM_RSRC2:USER_SGPR: 13
; COMPUTE_PGM_RSRC2:TRAP_HANDLER: 0
; COMPUTE_PGM_RSRC2:TGID_X_EN: 1
; COMPUTE_PGM_RSRC2:TGID_Y_EN: 1
; COMPUTE_PGM_RSRC2:TGID_Z_EN: 1
; COMPUTE_PGM_RSRC2:TIDIG_COMP_CNT: 0
	.section	.text._Z39paged_attention_ll4mi_QKV_mfma16_kernelIDF16_hLN4vllm18Fp8KVCacheDataTypeE1EDF16_Li32ELi64ELi256ELb0ELi10EL8MFMAType0EEvPKT_PKT0_S8_ifPKiSA_SA_iPKfiiiPfSD_PS3_PT2_iSC_SC_,"axG",@progbits,_Z39paged_attention_ll4mi_QKV_mfma16_kernelIDF16_hLN4vllm18Fp8KVCacheDataTypeE1EDF16_Li32ELi64ELi256ELb0ELi10EL8MFMAType0EEvPKT_PKT0_S8_ifPKiSA_SA_iPKfiiiPfSD_PS3_PT2_iSC_SC_,comdat
	.protected	_Z39paged_attention_ll4mi_QKV_mfma16_kernelIDF16_hLN4vllm18Fp8KVCacheDataTypeE1EDF16_Li32ELi64ELi256ELb0ELi10EL8MFMAType0EEvPKT_PKT0_S8_ifPKiSA_SA_iPKfiiiPfSD_PS3_PT2_iSC_SC_ ; -- Begin function _Z39paged_attention_ll4mi_QKV_mfma16_kernelIDF16_hLN4vllm18Fp8KVCacheDataTypeE1EDF16_Li32ELi64ELi256ELb0ELi10EL8MFMAType0EEvPKT_PKT0_S8_ifPKiSA_SA_iPKfiiiPfSD_PS3_PT2_iSC_SC_
	.globl	_Z39paged_attention_ll4mi_QKV_mfma16_kernelIDF16_hLN4vllm18Fp8KVCacheDataTypeE1EDF16_Li32ELi64ELi256ELb0ELi10EL8MFMAType0EEvPKT_PKT0_S8_ifPKiSA_SA_iPKfiiiPfSD_PS3_PT2_iSC_SC_
	.p2align	8
	.type	_Z39paged_attention_ll4mi_QKV_mfma16_kernelIDF16_hLN4vllm18Fp8KVCacheDataTypeE1EDF16_Li32ELi64ELi256ELb0ELi10EL8MFMAType0EEvPKT_PKT0_S8_ifPKiSA_SA_iPKfiiiPfSD_PS3_PT2_iSC_SC_,@function
_Z39paged_attention_ll4mi_QKV_mfma16_kernelIDF16_hLN4vllm18Fp8KVCacheDataTypeE1EDF16_Li32ELi64ELi256ELb0ELi10EL8MFMAType0EEvPKT_PKT0_S8_ifPKiSA_SA_iPKfiiiPfSD_PS3_PT2_iSC_SC_: ; @_Z39paged_attention_ll4mi_QKV_mfma16_kernelIDF16_hLN4vllm18Fp8KVCacheDataTypeE1EDF16_Li32ELi64ELi256ELb0ELi10EL8MFMAType0EEvPKT_PKT0_S8_ifPKiSA_SA_iPKfiiiPfSD_PS3_PT2_iSC_SC_
; %bb.0:
	s_load_b64 s[2:3], s[0:1], 0x30
	s_mov_b32 s34, s13
	s_waitcnt lgkmcnt(0)
	s_cmp_lg_u64 s[2:3], 0
	s_cselect_b32 s6, -1, 0
	s_ashr_i32 s35, s13, 31
	s_cmp_eq_u64 s[2:3], 0
	s_cbranch_scc1 .LBB1207_3
; %bb.1:
	s_lshl_b64 s[4:5], s[34:35], 2
	s_delay_alu instid0(SALU_CYCLE_1) | instskip(SKIP_4) | instid1(SALU_CYCLE_1)
	s_add_u32 s4, s2, s4
	s_addc_u32 s5, s3, s5
	s_load_b64 s[4:5], s[4:5], 0x0
	s_waitcnt lgkmcnt(0)
	s_sub_i32 s4, s5, s4
	s_cmp_eq_u32 s4, 1
	s_cselect_b32 s4, -1, 0
	s_delay_alu instid0(SALU_CYCLE_1)
	s_and_not1_b32 vcc_lo, exec_lo, s4
	s_cbranch_vccz .LBB1207_4
.LBB1207_2:
	s_endpgm
.LBB1207_3:
.LBB1207_4:
	s_load_b64 s[8:9], s[0:1], 0x28
	s_lshl_b64 s[4:5], s[34:35], 2
	s_waitcnt lgkmcnt(0)
	s_add_u32 s8, s8, s4
	s_addc_u32 s9, s9, s5
	s_lshl_b32 s16, s14, 8
	s_load_b32 s18, s[8:9], 0x0
	s_waitcnt lgkmcnt(0)
	s_cmp_ge_i32 s16, s18
	s_cbranch_scc1 .LBB1207_2
; %bb.5:
	s_clause 0x1
	s_load_b128 s[8:11], s[0:1], 0x8
	s_load_b64 s[12:13], s[0:1], 0x20
	s_and_not1_b32 vcc_lo, exec_lo, s6
	s_cbranch_vccnz .LBB1207_7
; %bb.6:
	s_add_u32 s2, s2, s4
	s_addc_u32 s3, s3, s5
	s_load_b32 s3, s[2:3], 0x0
	s_branch .LBB1207_8
.LBB1207_7:
	s_mov_b32 s3, s34
.LBB1207_8:
	s_load_b128 s[4:7], s[0:1], 0x48
	v_and_b32_e32 v68, 15, v0
	v_cmp_gt_u32_e32 vcc_lo, 0xa0, v0
	v_lshrrev_b32_e32 v69, 5, v0
	v_and_b32_e32 v70, 31, v0
	v_and_b32_e32 v67, 1, v0
	v_lshlrev_b32_e32 v1, 3, v68
	v_cmp_gt_u32_e64 s2, 8, v68
	v_bfe_u32 v66, v0, 4, 1
	s_mul_i32 s31, s15, 10
	s_delay_alu instid0(VALU_DEP_3) | instskip(NEXT) | instid1(VALU_DEP_3)
	v_lshlrev_b32_e32 v65, 1, v1
	s_and_b32 s17, vcc_lo, s2
	s_waitcnt lgkmcnt(0)
	s_and_saveexec_b32 s7, s17
	s_cbranch_execz .LBB1207_10
; %bb.9:
	s_load_b64 s[20:21], s[0:1], 0x0
	v_lshl_or_b32 v5, v69, 1, v66
	s_mul_hi_i32 s23, s3, s4
	s_mul_i32 s22, s3, s4
	v_lshlrev_b32_e32 v6, 10, v68
	s_lshl_b64 s[22:23], s[22:23], 1
	v_add_lshl_u32 v1, v5, s31, 6
	v_lshlrev_b32_e32 v5, 6, v5
	v_lshlrev_b32_e32 v7, 10, v67
	v_and_b32_e32 v6, 0x3800, v6
	s_delay_alu instid0(VALU_DEP_4) | instskip(NEXT) | instid1(VALU_DEP_2)
	v_ashrrev_i32_e32 v2, 31, v1
	v_or3_b32 v5, v6, v7, v5
	s_delay_alu instid0(VALU_DEP_2) | instskip(SKIP_3) | instid1(VALU_DEP_1)
	v_lshlrev_b64 v[1:2], 1, v[1:2]
	s_waitcnt lgkmcnt(0)
	s_add_u32 s3, s20, s22
	s_addc_u32 s4, s21, s23
	v_add_co_u32 v1, vcc_lo, s3, v1
	s_delay_alu instid0(VALU_DEP_2) | instskip(NEXT) | instid1(VALU_DEP_2)
	v_add_co_ci_u32_e32 v2, vcc_lo, s4, v2, vcc_lo
	v_add_co_u32 v1, vcc_lo, v1, v65
	s_delay_alu instid0(VALU_DEP_2)
	v_add_co_ci_u32_e32 v2, vcc_lo, 0, v2, vcc_lo
	global_load_b128 v[1:4], v[1:2], off
	s_waitcnt vmcnt(0)
	ds_store_b128 v5, v[1:4]
.LBB1207_10:
	s_or_b32 exec_lo, exec_lo, s7
	v_and_b32_e32 v1, 0xef, v0
	s_add_i32 s3, s18, 31
	s_clause 0x1
	s_load_b32 s4, s[0:1], 0x38
	s_load_b32 s33, s[0:1], 0x98
	s_ashr_i32 s7, s3, 31
	v_add_nc_u32_e32 v1, s16, v1
	s_lshr_b32 s7, s7, 27
	s_load_b32 s19, s[0:1], 0x1c
	v_add_nc_u32_e32 v103, -10, v68
	s_add_i32 s3, s3, s7
	v_ashrrev_i32_e32 v2, 31, v1
	v_or_b32_e32 v3, 16, v1
	s_ashr_i32 s3, s3, 5
	v_cmp_gt_i32_e32 vcc_lo, s18, v1
	s_add_i32 s3, s3, -1
	v_lshrrev_b32_e32 v2, 27, v2
	s_waitcnt lgkmcnt(0)
	s_barrier
	buffer_gl0_inv
	s_mul_i32 s15, s15, s6
	v_add_nc_u32_e32 v4, v1, v2
	v_mbcnt_lo_u32_b32 v127, -1, 0
	s_mul_i32 s20, s34, s4
	s_delay_alu instid0(SALU_CYCLE_1) | instskip(NEXT) | instid1(VALU_DEP_2)
	s_ashr_i32 s21, s20, 31
	v_ashrrev_i32_e32 v4, 5, v4
	v_add_nc_u32_e32 v2, v3, v2
	s_lshl_b64 s[20:21], s[20:21], 2
	v_xor_b32_e32 v128, 16, v127
	s_add_u32 s17, s12, s20
	v_cndmask_b32_e32 v1, s3, v4, vcc_lo
	v_ashrrev_i32_e32 v2, 5, v2
	v_cmp_gt_i32_e32 vcc_lo, s18, v3
	s_addc_u32 s13, s13, s21
	s_ashr_i32 s20, s15, 31
	s_add_u32 s22, s8, s15
	s_addc_u32 s23, s9, s20
	v_cndmask_b32_e32 v3, s3, v2, vcc_lo
	v_ashrrev_i32_e32 v2, 31, v1
	s_lshl_b32 s6, s14, 3
	s_delay_alu instid0(SALU_CYCLE_1) | instskip(NEXT) | instid1(VALU_DEP_2)
	s_ashr_i32 s7, s6, 31
	v_ashrrev_i32_e32 v4, 31, v3
	s_delay_alu instid0(VALU_DEP_2) | instskip(SKIP_1) | instid1(SALU_CYCLE_1)
	v_lshlrev_b64 v[1:2], 2, v[1:2]
	s_lshl_b64 s[6:7], s[6:7], 2
	s_add_u32 s6, s17, s6
	s_delay_alu instid0(VALU_DEP_2) | instskip(SKIP_1) | instid1(VALU_DEP_2)
	v_lshlrev_b64 v[3:4], 2, v[3:4]
	s_addc_u32 s7, s13, s7
	v_add_co_u32 v1, vcc_lo, s17, v1
	v_add_co_ci_u32_e32 v2, vcc_lo, s13, v2, vcc_lo
	s_delay_alu instid0(VALU_DEP_3) | instskip(NEXT) | instid1(VALU_DEP_4)
	v_add_co_u32 v3, vcc_lo, s17, v3
	v_add_co_ci_u32_e32 v4, vcc_lo, s13, v4, vcc_lo
	s_clause 0x1
	global_load_b32 v5, v[1:2], off
	global_load_b32 v6, v[3:4], off
	s_or_b32 s4, s16, 32
	s_delay_alu instid0(SALU_CYCLE_1) | instskip(SKIP_2) | instid1(SALU_CYCLE_1)
	s_ashr_i32 s8, s4, 5
	s_cmp_lt_i32 s4, s18
	s_cselect_b32 s8, s8, s3
	s_ashr_i32 s9, s8, 31
	s_delay_alu instid0(SALU_CYCLE_1) | instskip(NEXT) | instid1(SALU_CYCLE_1)
	s_lshl_b64 s[8:9], s[8:9], 2
	s_add_u32 s8, s17, s8
	s_addc_u32 s9, s13, s9
	s_or_b32 s4, s16, 64
	s_delay_alu instid0(SALU_CYCLE_1) | instskip(SKIP_2) | instid1(SALU_CYCLE_1)
	s_ashr_i32 s12, s4, 5
	s_cmp_lt_i32 s4, s18
	s_cselect_b32 s24, s12, s3
	s_ashr_i32 s25, s24, 31
	s_delay_alu instid0(SALU_CYCLE_1) | instskip(NEXT) | instid1(SALU_CYCLE_1)
	s_lshl_b64 s[24:25], s[24:25], 2
	s_add_u32 s24, s17, s24
	s_addc_u32 s25, s13, s25
	;; [unrolled: 10-line block ×5, first 2 shown]
	s_clause 0x5
	s_load_b32 s12, s[6:7], 0x0
	s_load_b32 s4, s[8:9], 0x0
	;; [unrolled: 1-line block ×6, first 2 shown]
	s_or_b32 s21, s16, 0xc0
	s_waitcnt vmcnt(1)
	v_mad_i64_i32 v[1:2], null, v5, s5, s[22:23]
	v_lshlrev_b32_e32 v5, 4, v68
	s_waitcnt vmcnt(0)
	v_mad_i64_i32 v[3:4], null, v6, s5, s[22:23]
	s_ashr_i32 s22, s21, 5
	s_cmp_lt_i32 s21, s18
	s_delay_alu instid0(VALU_DEP_3) | instskip(NEXT) | instid1(VALU_DEP_4)
	v_add_co_u32 v1, vcc_lo, v1, v5
	v_add_co_ci_u32_e32 v2, vcc_lo, 0, v2, vcc_lo
	s_delay_alu instid0(VALU_DEP_3) | instskip(NEXT) | instid1(VALU_DEP_4)
	v_add_co_u32 v3, vcc_lo, v3, v5
	v_add_co_ci_u32_e32 v4, vcc_lo, 0, v4, vcc_lo
	s_clause 0x7
	global_load_b128 v[71:74], v[1:2], off
	global_load_b128 v[75:78], v[1:2], off offset:512
	global_load_b128 v[79:82], v[3:4], off offset:256
	;; [unrolled: 1-line block ×7, first 2 shown]
	s_cselect_b32 s22, s22, s3
	v_lshlrev_b32_e32 v1, 5, v68
	s_ashr_i32 s23, s22, 31
	v_cmp_gt_u32_e32 vcc_lo, 10, v68
	s_lshl_b64 s[22:23], s[22:23], 2
	s_delay_alu instid0(SALU_CYCLE_1)
	s_add_u32 s22, s17, s22
	s_addc_u32 s23, s13, s23
	s_or_b32 s21, s16, 0xe0
	v_lshl_or_b32 v1, v69, 9, v1
	s_ashr_i32 s24, s21, 5
	s_cmp_lt_i32 s21, s18
	v_cndmask_b32_e32 v103, v103, v68, vcc_lo
	s_cselect_b32 s24, s24, s3
	s_load_b32 s3, s[22:23], 0x0
	s_ashr_i32 s25, s24, 31
	v_cmp_gt_i32_e32 vcc_lo, 32, v128
	s_lshl_b64 s[24:25], s[24:25], 2
	v_lshlrev_b32_e32 v115, 6, v103
	s_add_u32 s22, s17, s24
	s_addc_u32 s23, s13, s25
	v_cndmask_b32_e32 v136, v127, v128, vcc_lo
	s_add_u32 s10, s10, s15
	s_addc_u32 s11, s11, s20
	v_add_co_u32 v1, s10, s10, v1
	s_delay_alu instid0(VALU_DEP_1) | instskip(SKIP_2) | instid1(VALU_DEP_1)
	v_add_co_ci_u32_e64 v2, null, s11, 0, s10
	s_load_b32 s10, s[22:23], 0x0
	s_waitcnt lgkmcnt(0)
	v_mad_i64_i32 v[3:4], null, s12, s5, v[1:2]
	v_mad_i64_i32 v[9:10], null, s7, s5, v[1:2]
	;; [unrolled: 1-line block ×7, first 2 shown]
	s_clause 0x5
	global_load_b128 v[49:52], v[3:4], off
	global_load_b128 v[53:56], v[3:4], off offset:16
	global_load_b128 v[41:44], v[5:6], off
	global_load_b128 v[45:48], v[5:6], off offset:16
	;; [unrolled: 2-line block ×3, first 2 shown]
	s_mov_b32 s4, 0
	v_mad_i64_i32 v[61:62], null, s10, s5, v[1:2]
	s_clause 0x9
	global_load_b128 v[1:4], v[9:10], off
	global_load_b128 v[5:8], v[9:10], off offset:16
	global_load_b128 v[9:12], v[13:14], off
	global_load_b128 v[13:16], v[13:14], off offset:16
	;; [unrolled: 2-line block ×5, first 2 shown]
	s_mov_b32 s5, s4
	s_mov_b32 s6, s4
	;; [unrolled: 1-line block ×7, first 2 shown]
	v_and_b32_e32 v104, 0xe0, v0
	v_dual_mov_b32 v126, s11 :: v_dual_mov_b32 v125, s10
	v_dual_mov_b32 v124, s9 :: v_dual_mov_b32 v123, s8
	s_delay_alu instid0(VALU_DEP_3)
	v_add_nc_u32_e32 v111, s16, v104
	ds_load_b128 v[103:106], v115
	ds_load_b128 v[107:110], v115 offset:1024
	v_dual_mov_b32 v122, s7 :: v_dual_mov_b32 v121, s6
	v_mov_b32_e32 v120, s5
	v_or_b32_e32 v135, v111, v66
	ds_load_b128 v[111:114], v115 offset:2048
	ds_load_b128 v[115:118], v115 offset:3072
	v_mov_b32_e32 v119, s4
	s_waitcnt vmcnt(0) lgkmcnt(0)
	s_barrier
	v_or_b32_e32 v137, 2, v135
	v_or_b32_e32 v138, 4, v135
	;; [unrolled: 1-line block ×3, first 2 shown]
	v_cmp_gt_i32_e32 vcc_lo, s18, v135
	v_or_b32_e32 v140, 8, v135
	v_cmp_gt_i32_e64 s3, s18, v137
	v_or_b32_e32 v141, 10, v135
	v_cmp_gt_i32_e64 s4, s18, v138
	v_cmp_gt_i32_e64 s5, s18, v139
	v_or_b32_e32 v142, 12, v135
	v_or_b32_e32 v143, 14, v135
	v_cmp_gt_i32_e64 s6, s18, v140
	v_cmp_gt_i32_e64 s7, s18, v141
	v_or_b32_e32 v144, 16, v135
	v_or_b32_e32 v145, 18, v135
	v_cmp_gt_i32_e64 s8, s18, v142
	v_cmp_gt_i32_e64 s9, s18, v143
	buffer_gl0_inv
	v_cmp_gt_i32_e64 s10, s18, v144
	v_cmp_gt_i32_e64 s11, s18, v145
	v_wmma_f32_16x16x16_f16 v[127:134], v[71:78], v[103:110], v[119:126]
	v_wmma_f32_16x16x16_f16 v[119:126], v[79:86], v[103:110], v[119:126]
	v_or_b32_e32 v71, 20, v135
	v_or_b32_e32 v72, 22, v135
	s_delay_alu instid0(VALU_DEP_4)
	v_wmma_f32_16x16x16_f16 v[127:134], v[87:94], v[111:118], v[127:134]
	v_or_b32_e32 v73, 24, v135
	v_wmma_f32_16x16x16_f16 v[119:126], v[95:102], v[111:118], v[119:126]
	v_or_b32_e32 v74, 26, v135
	v_cmp_gt_i32_e64 s12, s18, v71
	v_dual_mul_f32 v83, s19, v128 :: v_dual_mul_f32 v84, s19, v127
	s_delay_alu instid0(VALU_DEP_4) | instskip(SKIP_1) | instid1(VALU_DEP_3)
	v_dual_mul_f32 v81, s19, v130 :: v_dual_mul_f32 v92, s19, v119
	v_mul_f32_e32 v82, s19, v129
	v_cndmask_b32_e64 v83, 0xff7fffff, v83, s3
	s_delay_alu instid0(VALU_DEP_4)
	v_cndmask_b32_e32 v84, 0xff7fffff, v84, vcc_lo
	v_dual_mul_f32 v79, s19, v132 :: v_dual_mul_f32 v90, s19, v121
	v_mul_f32_e32 v80, s19, v131
	v_cndmask_b32_e64 v82, 0xff7fffff, v82, s4
	v_cndmask_b32_e64 v81, 0xff7fffff, v81, s5
	v_max3_f32 v83, v84, 0xff7fffff, v83
	v_dual_mul_f32 v77, s19, v134 :: v_dual_mul_f32 v88, s19, v123
	v_mul_f32_e32 v78, s19, v133
	v_cndmask_b32_e64 v80, 0xff7fffff, v80, s6
	v_cndmask_b32_e64 v79, 0xff7fffff, v79, s7
	v_max3_f32 v81, v83, v82, v81
	v_mul_f32_e32 v91, s19, v120
	v_cndmask_b32_e64 v78, 0xff7fffff, v78, s8
	v_cndmask_b32_e64 v77, 0xff7fffff, v77, s9
	v_mul_f32_e32 v89, s19, v122
	v_max3_f32 v79, v81, v80, v79
	v_cndmask_b32_e64 v80, 0xff7fffff, v92, s10
	v_cndmask_b32_e64 v81, 0xff7fffff, v91, s11
	v_cmp_gt_i32_e64 s13, s18, v72
	v_or_b32_e32 v75, 28, v135
	v_max3_f32 v77, v79, v78, v77
	v_or_b32_e32 v76, 30, v135
	v_mul_f32_e32 v87, s19, v124
	v_cndmask_b32_e64 v71, 0xff7fffff, v90, s12
	v_cndmask_b32_e64 v72, 0xff7fffff, v89, s13
	v_max3_f32 v77, v77, v80, v81
	v_cmp_gt_i32_e64 s15, s18, v73
	v_cmp_gt_i32_e64 s16, s18, v74
	v_dual_mul_f32 v85, s19, v126 :: v_dual_mul_f32 v86, s19, v125
	s_delay_alu instid0(VALU_DEP_4) | instskip(NEXT) | instid1(VALU_DEP_4)
	v_max3_f32 v71, v77, v71, v72
	v_cndmask_b32_e64 v73, 0xff7fffff, v88, s15
	s_delay_alu instid0(VALU_DEP_4) | instskip(SKIP_2) | instid1(VALU_DEP_3)
	v_cndmask_b32_e64 v74, 0xff7fffff, v87, s16
	v_cmp_gt_i32_e64 s17, s18, v75
	v_cmp_gt_i32_e64 s18, s18, v76
	v_max3_f32 v71, v71, v73, v74
	s_delay_alu instid0(VALU_DEP_3) | instskip(NEXT) | instid1(VALU_DEP_3)
	v_cndmask_b32_e64 v72, 0xff7fffff, v86, s17
	v_cndmask_b32_e64 v75, 0xff7fffff, v85, s18
	v_lshlrev_b32_e32 v73, 2, v136
	s_delay_alu instid0(VALU_DEP_2) | instskip(SKIP_3) | instid1(VALU_DEP_1)
	v_max3_f32 v71, v71, v72, v75
	ds_bpermute_b32 v72, v73, v71
	s_waitcnt lgkmcnt(0)
	v_max_f32_e32 v72, v72, v72
	v_max_f32_e32 v71, v71, v72
	s_delay_alu instid0(VALU_DEP_1)
	v_fma_f32 v72, s19, v127, -v71
	v_fma_f32 v74, s19, v128, -v71
	;; [unrolled: 1-line block ×5, first 2 shown]
	v_mul_f32_e32 v72, 0x3fb8aa3b, v72
	v_mul_f32_e32 v74, 0x3fb8aa3b, v74
	v_fma_f32 v80, s19, v133, -v71
	s_delay_alu instid0(VALU_DEP_4) | instskip(NEXT) | instid1(VALU_DEP_4)
	v_dual_mul_f32 v76, 0x3fb8aa3b, v76 :: v_dual_mul_f32 v77, 0x3fb8aa3b, v77
	v_exp_f32_e32 v72, v72
	s_delay_alu instid0(VALU_DEP_3) | instskip(NEXT) | instid1(VALU_DEP_2)
	v_exp_f32_e32 v74, v74
	v_mul_f32_e32 v82, 0x3fb8aa3b, v80
	s_delay_alu instid0(VALU_DEP_2) | instskip(SKIP_1) | instid1(VALU_DEP_1)
	v_exp_f32_e32 v76, v76
	v_exp_f32_e32 v77, v77
	v_exp_f32_e32 v84, v82
	v_cndmask_b32_e32 v79, 0, v72, vcc_lo
	v_fma_f32 v72, s19, v132, -v71
	v_mul_f32_e32 v75, 0x3fb8aa3b, v75
	v_cndmask_b32_e64 v78, 0, v74, s3
	s_delay_alu instid0(TRANS32_DEP_3)
	v_cndmask_b32_e64 v80, 0, v76, s5
	v_add_f32_e32 v74, 0, v79
	v_mul_f32_e32 v72, 0x3fb8aa3b, v72
	v_exp_f32_e32 v75, v75
	v_cndmask_b32_e64 v83, 0, v77, s6
	v_cndmask_b32_e64 v85, 0, v84, s8
	v_add_f32_e32 v74, v74, v78
	v_exp_f32_e32 v72, v72
	s_mov_b32 s3, exec_lo
	s_waitcnt_depctr 0xfff
	v_cndmask_b32_e64 v81, 0, v75, s4
	v_cndmask_b32_e64 v82, 0, v72, s7
	s_delay_alu instid0(VALU_DEP_2) | instskip(NEXT) | instid1(VALU_DEP_1)
	v_add_f32_e32 v74, v74, v81
	v_add_f32_e32 v74, v74, v80
	s_delay_alu instid0(VALU_DEP_1) | instskip(SKIP_4) | instid1(VALU_DEP_4)
	v_add_f32_e32 v72, v74, v83
	v_fma_f32 v75, s19, v134, -v71
	v_fma_f32 v76, s19, v119, -v71
	;; [unrolled: 1-line block ×4, first 2 shown]
	v_dual_add_f32 v72, v72, v82 :: v_dual_mul_f32 v75, 0x3fb8aa3b, v75
	s_delay_alu instid0(VALU_DEP_3) | instskip(SKIP_1) | instid1(VALU_DEP_3)
	v_dual_mul_f32 v76, 0x3fb8aa3b, v76 :: v_dual_mul_f32 v77, 0x3fb8aa3b, v77
	v_fma_f32 v86, s19, v122, -v71
	v_add_f32_e32 v72, v72, v85
	s_delay_alu instid0(VALU_DEP_4) | instskip(NEXT) | instid1(VALU_DEP_3)
	v_exp_f32_e32 v75, v75
	v_exp_f32_e32 v76, v76
	;; [unrolled: 1-line block ×3, first 2 shown]
	v_mul_f32_e32 v86, 0x3fb8aa3b, v86
	s_delay_alu instid0(VALU_DEP_1) | instskip(SKIP_3) | instid1(TRANS32_DEP_3)
	v_exp_f32_e32 v88, v86
	v_cndmask_b32_e64 v84, 0, v75, s9
	v_fma_f32 v75, s19, v123, -v71
	v_mul_f32_e32 v74, 0x3fb8aa3b, v74
	v_cndmask_b32_e64 v87, 0, v76, s10
	v_fma_f32 v76, s19, v124, -v71
	s_delay_alu instid0(VALU_DEP_4) | instskip(NEXT) | instid1(VALU_DEP_4)
	v_dual_add_f32 v72, v72, v84 :: v_dual_mul_f32 v75, 0x3fb8aa3b, v75
	v_exp_f32_e32 v74, v74
	v_cndmask_b32_e64 v86, 0, v77, s11
	v_fma_f32 v77, s19, v125, -v71
	s_delay_alu instid0(VALU_DEP_3) | instskip(SKIP_3) | instid1(VALU_DEP_3)
	v_add_f32_e32 v72, v72, v87
	v_mul_f32_e32 v76, 0x3fb8aa3b, v76
	v_exp_f32_e32 v75, v75
	v_cndmask_b32_e64 v88, 0, v88, s13
	v_add_f32_e32 v72, v72, v86
	s_delay_alu instid0(VALU_DEP_3) | instskip(NEXT) | instid1(TRANS32_DEP_3)
	v_exp_f32_e32 v76, v76
	v_cndmask_b32_e64 v89, 0, v74, s12
	v_mul_f32_e32 v74, 0x3fb8aa3b, v77
	v_fma_f32 v77, s19, v126, -v71
	s_delay_alu instid0(VALU_DEP_3) | instskip(NEXT) | instid1(VALU_DEP_3)
	v_add_f32_e32 v72, v72, v89
	v_exp_f32_e32 v74, v74
	s_delay_alu instid0(TRANS32_DEP_3) | instskip(NEXT) | instid1(VALU_DEP_3)
	v_cndmask_b32_e64 v91, 0, v75, s15
	v_mul_f32_e32 v75, 0x3fb8aa3b, v77
	s_delay_alu instid0(TRANS32_DEP_2) | instskip(SKIP_1) | instid1(VALU_DEP_3)
	v_cndmask_b32_e64 v90, 0, v76, s16
	v_add_f32_e32 v72, v72, v88
	v_exp_f32_e32 v75, v75
	s_delay_alu instid0(VALU_DEP_1) | instskip(NEXT) | instid1(TRANS32_DEP_2)
	v_add_f32_e32 v72, v72, v91
	v_cndmask_b32_e64 v93, 0, v74, s17
	s_delay_alu instid0(VALU_DEP_2) | instskip(SKIP_3) | instid1(VALU_DEP_1)
	v_add_f32_e32 v72, v72, v90
	s_waitcnt_depctr 0xfff
	v_cndmask_b32_e64 v92, 0, v75, s18
	v_add_f32_e32 v72, v72, v93
	v_add_f32_e32 v72, v72, v92
	ds_bpermute_b32 v73, v73, v72
	v_cmpx_gt_u32_e32 16, v70
	s_cbranch_execz .LBB1207_12
; %bb.11:
	v_mul_u32_u24_e32 v70, 0x44, v69
	s_waitcnt lgkmcnt(0)
	v_add_f32_e32 v72, v72, v73
	s_delay_alu instid0(VALU_DEP_2) | instskip(NEXT) | instid1(VALU_DEP_1)
	v_lshl_add_u32 v70, v68, 2, v70
	v_add_nc_u32_e32 v70, 0x4000, v70
	ds_store_2addr_b32 v70, v71, v72 offset1:136
.LBB1207_12:
	s_or_b32 exec_lo, exec_lo, s3
	v_lshlrev_b32_e32 v70, 2, v68
	s_load_b32 s35, s[0:1], 0x94
	s_waitcnt lgkmcnt(0)
	s_barrier
	buffer_gl0_inv
	v_add_nc_u32_e32 v98, 0x4000, v70
	v_cmp_eq_u32_e32 vcc_lo, 1, v69
	v_cmp_eq_u32_e64 s3, 2, v69
	v_cmp_eq_u32_e64 s4, 3, v69
	;; [unrolled: 1-line block ×3, first 2 shown]
	ds_load_2addr_b32 v[70:71], v98 offset1:17
	ds_load_2addr_b32 v[72:73], v98 offset0:34 offset1:51
	ds_load_2addr_b32 v[74:75], v98 offset0:68 offset1:85
	;; [unrolled: 1-line block ×3, first 2 shown]
	v_cmp_eq_u32_e64 s6, 5, v69
	v_cmp_eq_u32_e64 s7, 7, v69
	s_waitcnt lgkmcnt(3)
	v_max3_f32 v76, v70, 0xff7fffff, v71
	s_waitcnt lgkmcnt(2)
	s_delay_alu instid0(VALU_DEP_1) | instskip(SKIP_1) | instid1(VALU_DEP_1)
	v_max3_f32 v76, v76, v72, v73
	s_waitcnt lgkmcnt(1)
	v_max3_f32 v76, v76, v74, v75
	s_waitcnt lgkmcnt(0)
	s_delay_alu instid0(VALU_DEP_1) | instskip(NEXT) | instid1(VALU_DEP_1)
	v_max3_f32 v76, v76, v94, v95
	v_sub_f32_e32 v77, v71, v76
	ds_load_2addr_b32 v[96:97], v98 offset0:136 offset1:153
	v_sub_f32_e32 v74, v74, v76
	v_sub_f32_e32 v70, v70, v76
	;; [unrolled: 1-line block ×3, first 2 shown]
	v_dual_sub_f32 v72, v72, v76 :: v_dual_mul_f32 v77, 0x3fb8aa3b, v77
	s_delay_alu instid0(VALU_DEP_4) | instskip(NEXT) | instid1(VALU_DEP_4)
	v_mul_f32_e32 v103, 0x3fb8aa3b, v74
	v_mul_f32_e32 v99, 0x3fb8aa3b, v70
	ds_load_2addr_b32 v[70:71], v98 offset0:170 offset1:187
	v_dual_mul_f32 v101, 0x3fb8aa3b, v72 :: v_dual_mul_f32 v94, 0x3fb8aa3b, v94
	v_exp_f32_e32 v102, v77
	v_exp_f32_e32 v99, v99
	s_delay_alu instid0(VALU_DEP_1) | instskip(NEXT) | instid1(VALU_DEP_1)
	v_exp_f32_e32 v101, v101
	v_exp_f32_e32 v94, v94
	s_waitcnt lgkmcnt(1)
	s_delay_alu instid0(TRANS32_DEP_3)
	v_fma_f32 v77, v99, v96, 0
	v_sub_f32_e32 v100, v73, v76
	ds_load_2addr_b32 v[72:73], v98 offset0:204 offset1:221
	v_fmac_f32_e32 v77, v102, v97
	v_exp_f32_e32 v97, v103
	s_waitcnt lgkmcnt(1)
	s_delay_alu instid0(VALU_DEP_1)
	v_dual_fmac_f32 v77, v101, v70 :: v_dual_sub_f32 v96, v75, v76
	ds_load_2addr_b32 v[74:75], v98 offset0:238 offset1:255
	v_sub_f32_e32 v70, v95, v76
	s_waitcnt lgkmcnt(0)
	s_barrier
	v_mul_f32_e32 v96, 0x3fb8aa3b, v96
	buffer_gl0_inv
	v_exp_f32_e32 v95, v96
	v_mul_f32_e32 v100, 0x3fb8aa3b, v100
	s_delay_alu instid0(VALU_DEP_1) | instskip(SKIP_3) | instid1(VALU_DEP_2)
	v_exp_f32_e32 v100, v100
	s_waitcnt_depctr 0xfff
	v_dual_fmac_f32 v77, v100, v71 :: v_dual_mul_f32 v70, 0x3fb8aa3b, v70
	v_cndmask_b32_e32 v71, v99, v102, vcc_lo
	v_fmac_f32_e32 v77, v97, v72
	s_delay_alu instid0(VALU_DEP_3) | instskip(NEXT) | instid1(VALU_DEP_1)
	v_exp_f32_e32 v96, v70
	v_fmac_f32_e32 v77, v95, v73
	s_delay_alu instid0(VALU_DEP_1) | instskip(SKIP_2) | instid1(VALU_DEP_1)
	v_fmac_f32_e32 v77, v94, v74
	s_waitcnt_depctr 0xfff
	v_fmac_f32_e32 v77, v96, v75
	v_add_f32_e32 v74, 0x358637bd, v77
	s_delay_alu instid0(VALU_DEP_1) | instskip(SKIP_1) | instid1(VALU_DEP_2)
	v_div_scale_f32 v98, null, v74, v74, 1.0
	v_div_scale_f32 v99, vcc_lo, 1.0, v74, 1.0
	v_rcp_f32_e32 v103, v98
	s_waitcnt_depctr 0xfff
	v_fma_f32 v70, -v98, v103, 1.0
	s_delay_alu instid0(VALU_DEP_1) | instskip(SKIP_2) | instid1(VALU_DEP_2)
	v_fmac_f32_e32 v103, v70, v103
	v_cndmask_b32_e64 v70, v71, v101, s3
	v_cmp_eq_u32_e64 s3, 6, v69
	v_cndmask_b32_e64 v71, v70, v100, s4
	s_delay_alu instid0(VALU_DEP_4) | instskip(NEXT) | instid1(VALU_DEP_2)
	v_dual_mul_f32 v101, v99, v103 :: v_dual_lshlrev_b32 v70, 2, v66
	v_cndmask_b32_e64 v71, v71, v97, s5
	s_delay_alu instid0(VALU_DEP_2) | instskip(NEXT) | instid1(VALU_DEP_3)
	v_or_b32_e32 v72, 1, v70
	v_fma_f32 v100, -v98, v101, v99
	v_cmp_eq_u32_e64 s4, 1, v70
	v_cmp_eq_u32_e64 s5, 2, v70
	v_cndmask_b32_e64 v95, v71, v95, s6
	v_or_b32_e32 v71, 3, v70
	v_fmac_f32_e32 v101, v100, v103
	v_cmp_eq_u32_e64 s9, 1, v72
	v_cmp_eq_u32_e64 s12, 2, v72
	v_cndmask_b32_e64 v94, v95, v94, s3
	v_cmp_eq_u32_e64 s11, 1, v71
	v_fma_f32 v97, -v98, v101, v99
	v_cmp_eq_u32_e64 s16, 2, v71
	v_cmp_eq_u32_e64 s13, 3, v72
	v_cndmask_b32_e64 v94, v94, v96, s7
	v_cmp_eq_u32_e64 s18, 3, v71
	v_div_fmas_f32 v95, v97, v103, v101
	v_cmp_eq_u32_e32 vcc_lo, 3, v70
	v_cmp_eq_u32_e64 s3, 4, v70
	v_cmp_eq_u32_e64 s19, 4, v72
	;; [unrolled: 1-line block ×3, first 2 shown]
	v_div_fixup_f32 v95, v95, v74, 1.0
	v_lshlrev_b32_e32 v73, 6, v68
	v_cmp_eq_u32_e64 s6, 5, v70
	v_cmp_eq_u32_e64 s20, 5, v72
	v_cmp_eq_u32_e64 s24, 5, v71
	v_mul_f32_e32 v102, v94, v95
	v_lshl_or_b32 v75, v69, 11, v73
	v_or_b32_e32 v69, 2, v70
	v_cmp_eq_u32_e64 s25, 6, v72
	v_cmp_eq_u32_e64 s27, 6, v71
	v_fma_mixlo_f16 v94, v102, v79, 0
	v_fma_mixlo_f16 v95, v102, v81, 0
	;; [unrolled: 1-line block ×8, first 2 shown]
	v_lshl_or_b32 v74, v66, 4, v75
	v_fma_mixhi_f16 v94, v102, v78, 0
	v_fma_mixhi_f16 v95, v102, v80, 0
	;; [unrolled: 1-line block ×8, first 2 shown]
	ds_store_b128 v74, v[94:97]
	ds_store_b128 v74, v[98:101] offset:1024
	s_waitcnt lgkmcnt(0)
	s_barrier
	buffer_gl0_inv
	ds_load_b128 v[78:81], v75
	ds_load_b128 v[82:85], v75 offset:16
	ds_load_b128 v[86:89], v75 offset:1024
	;; [unrolled: 1-line block ×3, first 2 shown]
	v_cmp_eq_u32_e64 s10, 1, v69
	v_cmp_eq_u32_e64 s15, 2, v69
	;; [unrolled: 1-line block ×11, first 2 shown]
	s_waitcnt lgkmcnt(3)
	v_lshrrev_b32_e32 v94, 16, v78
	s_waitcnt lgkmcnt(2)
	v_lshrrev_b32_e32 v98, 16, v82
	;; [unrolled: 2-line block ×4, first 2 shown]
	v_lshrrev_b32_e32 v95, 16, v79
	v_cndmask_b32_e64 v110, v78, v94, s4
	v_cndmask_b32_e64 v111, v82, v98, s4
	;; [unrolled: 1-line block ×8, first 2 shown]
	v_lshrrev_b32_e32 v99, 16, v83
	v_cndmask_b32_e64 v94, v86, v102, s4
	v_cndmask_b32_e64 v98, v90, v106, s4
	v_cndmask_b32_e64 v116, v86, v102, s9
	v_cndmask_b32_e64 v117, v90, v106, s9
	v_cndmask_b32_e64 v118, v86, v102, s10
	v_cndmask_b32_e64 v119, v90, v106, s10
	v_cndmask_b32_e64 v86, v86, v102, s11
	v_cndmask_b32_e64 v90, v90, v106, s11
	v_cndmask_b32_e64 v102, v110, v79, s5
	v_cndmask_b32_e64 v106, v111, v83, s5
	v_cndmask_b32_e64 v110, v112, v79, s12
	v_cndmask_b32_e64 v111, v113, v83, s12
	v_cndmask_b32_e64 v112, v114, v79, s15
	v_cndmask_b32_e64 v78, v78, v79, s16
	v_cndmask_b32_e64 v79, v82, v83, s16
	v_lshrrev_b32_e32 v103, 16, v87
	v_lshrrev_b32_e32 v107, 16, v91
	v_cndmask_b32_e64 v113, v115, v83, s15
	v_cndmask_b32_e64 v82, v94, v87, s5
	;; [unrolled: 1-line block ×7, first 2 shown]
	v_cndmask_b32_e32 v90, v102, v95, vcc_lo
	v_cndmask_b32_e32 v102, v106, v99, vcc_lo
	v_cndmask_b32_e64 v106, v110, v95, s13
	v_cndmask_b32_e64 v110, v111, v99, s13
	;; [unrolled: 1-line block ×4, first 2 shown]
	v_lshrrev_b32_e32 v96, 16, v80
	v_lshrrev_b32_e32 v100, 16, v84
	v_cndmask_b32_e64 v111, v112, v95, s17
	v_cndmask_b32_e64 v112, v113, v99, s17
	v_cndmask_b32_e32 v82, v82, v103, vcc_lo
	v_cndmask_b32_e32 v83, v83, v107, vcc_lo
	v_cndmask_b32_e64 v94, v94, v103, s13
	v_cndmask_b32_e64 v90, v90, v80, s3
	v_cndmask_b32_e64 v95, v102, v84, s3
	v_cndmask_b32_e64 v99, v106, v80, s19
	v_cndmask_b32_e64 v102, v110, v84, s19
	v_cndmask_b32_e64 v78, v78, v80, s22
	v_cndmask_b32_e64 v79, v79, v84, s22
	v_lshrrev_b32_e32 v104, 16, v88
	v_cndmask_b32_e64 v106, v111, v80, s21
	v_cndmask_b32_e64 v110, v112, v84, s21
	;; [unrolled: 1-line block ×11, first 2 shown]
	v_lshrrev_b32_e32 v97, 16, v81
	v_lshrrev_b32_e32 v101, 16, v85
	v_cndmask_b32_e64 v99, v106, v96, s23
	v_cndmask_b32_e64 v102, v110, v100, s23
	;; [unrolled: 1-line block ×7, first 2 shown]
	v_lshrrev_b32_e32 v105, 16, v89
	v_cndmask_b32_e64 v80, v80, v104, s6
	v_cndmask_b32_e64 v84, v84, v81, s7
	;; [unrolled: 1-line block ×16, first 2 shown]
	v_perm_b32 v81, v79, v78, 0x5040100
	v_perm_b32 v79, v95, v85, 0x5040100
	v_cndmask_b32_e64 v78, v119, v91, s15
	v_cndmask_b32_e64 v85, v117, v91, s12
	v_cndmask_b32_e64 v96, v80, v105, s8
	v_perm_b32 v80, v94, v90, 0x5040100
	v_cndmask_b32_e64 v90, v98, v103, s17
	v_cndmask_b32_e64 v86, v86, v103, s18
	;; [unrolled: 1-line block ×5, first 2 shown]
	v_lshrrev_b32_e32 v108, 16, v92
	v_cndmask_b32_e64 v90, v90, v88, s21
	v_cndmask_b32_e64 v86, v86, v88, s22
	;; [unrolled: 1-line block ×11, first 2 shown]
	v_lshrrev_b32_e32 v109, 16, v93
	v_cndmask_b32_e64 v82, v82, v93, s7
	v_cndmask_b32_e64 v88, v88, v89, s26
	;; [unrolled: 1-line block ×12, first 2 shown]
	v_perm_b32 v78, v84, v83, 0x5040100
	v_perm_b32 v85, v87, v86, 0x5040100
	;; [unrolled: 1-line block ×5, first 2 shown]
	s_mul_i32 s8, s33, 10
	s_mov_b32 s3, exec_lo
	ds_store_b128 v74, v[78:81]
	ds_store_b128 v74, v[82:85] offset:1024
	v_cmpx_gt_u32_e32 10, v0
	s_cbranch_execz .LBB1207_14
; %bb.13:
	s_mul_i32 s4, s8, s34
	s_delay_alu instid0(SALU_CYCLE_1) | instskip(SKIP_1) | instid1(VALU_DEP_1)
	v_add3_u32 v68, s4, s31, v68
	s_load_b128 s[4:7], s[0:1], 0x58
	v_mad_u64_u32 v[78:79], null, v68, s35, s[14:15]
	s_delay_alu instid0(VALU_DEP_1) | instskip(NEXT) | instid1(VALU_DEP_1)
	v_ashrrev_i32_e32 v79, 31, v78
	v_lshlrev_b64 v[78:79], 2, v[78:79]
	s_waitcnt lgkmcnt(0)
	s_delay_alu instid0(VALU_DEP_1) | instskip(NEXT) | instid1(VALU_DEP_2)
	v_add_co_u32 v80, vcc_lo, s6, v78
	v_add_co_ci_u32_e32 v81, vcc_lo, s7, v79, vcc_lo
	v_add_co_u32 v78, vcc_lo, s4, v78
	v_add_co_ci_u32_e32 v79, vcc_lo, s5, v79, vcc_lo
	global_store_b32 v[80:81], v76, off
	global_store_b32 v[78:79], v77, off
.LBB1207_14:
	s_or_b32 exec_lo, exec_lo, s3
	s_waitcnt lgkmcnt(0)
	s_waitcnt_vscnt null, 0x0
	s_barrier
	buffer_gl0_inv
	ds_load_b128 v[84:87], v73
	ds_load_b128 v[88:91], v73 offset:16
	ds_load_b128 v[96:99], v73 offset:2064
	;; [unrolled: 1-line block ×5, first 2 shown]
	v_cmp_eq_u32_e32 vcc_lo, 1, v70
	v_mov_b32_e32 v76, 0
	ds_load_b128 v[112:115], v73 offset:6160
	ds_load_b128 v[108:111], v73 offset:6144
	;; [unrolled: 1-line block ×4, first 2 shown]
	v_cmp_eq_u32_e64 s4, 1, v69
	v_cmp_eq_u32_e64 s3, 1, v72
	;; [unrolled: 1-line block ×3, first 2 shown]
	v_mov_b32_e32 v77, v76
	v_mov_b32_e32 v78, v76
	;; [unrolled: 1-line block ×7, first 2 shown]
	v_cmp_eq_u32_e64 s6, 3, v72
	v_cmp_eq_u32_e64 s7, 7, v72
	s_waitcnt lgkmcnt(8)
	s_delay_alu instid0(VALU_DEP_3)
	v_wmma_f32_16x16x16_f16 v[76:83], v[49:56], v[84:91], v[76:83]
	ds_load_b128 v[53:56], v73 offset:10256
	ds_load_b128 v[49:52], v73 offset:10240
	s_waitcnt lgkmcnt(8)
	v_wmma_f32_16x16x16_f16 v[76:83], v[41:48], v[92:99], v[76:83]
	ds_load_b128 v[45:48], v73 offset:12304
	ds_load_b128 v[41:44], v73 offset:12288
	s_waitcnt lgkmcnt(8)
	;; [unrolled: 4-line block ×3, first 2 shown]
	s_barrier
	buffer_gl0_inv
	v_wmma_f32_16x16x16_f16 v[76:83], v[1:8], v[108:115], v[76:83]
	s_delay_alu instid0(VALU_DEP_1) | instskip(NEXT) | instid1(VALU_DEP_1)
	v_wmma_f32_16x16x16_f16 v[76:83], v[9:16], v[116:123], v[76:83]
	v_wmma_f32_16x16x16_f16 v[76:83], v[17:24], v[49:56], v[76:83]
	s_delay_alu instid0(VALU_DEP_1) | instskip(NEXT) | instid1(VALU_DEP_1)
	v_wmma_f32_16x16x16_f16 v[76:83], v[25:32], v[41:48], v[76:83]
	v_wmma_f32_16x16x16_f16 v[76:83], v[57:64], v[33:40], v[76:83]
	s_delay_alu instid0(VALU_DEP_1) | instskip(NEXT) | instid1(VALU_DEP_2)
	v_cvt_f16_f32_e32 v1, v76
	v_cvt_f16_f32_e32 v2, v77
	s_delay_alu instid0(VALU_DEP_3) | instskip(NEXT) | instid1(VALU_DEP_4)
	v_cvt_f16_f32_e32 v3, v78
	v_cvt_f16_f32_e32 v4, v79
	;; [unrolled: 1-line block ×6, first 2 shown]
	v_pack_b32_f16 v1, v1, v2
	v_pack_b32_f16 v2, v3, v4
	;; [unrolled: 1-line block ×3, first 2 shown]
	s_delay_alu instid0(VALU_DEP_4)
	v_pack_b32_f16 v4, v7, v8
	ds_store_b128 v74, v[1:4]
	s_waitcnt lgkmcnt(0)
	s_barrier
	buffer_gl0_inv
	ds_load_b128 v[1:4], v75
	ds_load_b128 v[5:8], v75 offset:16
	s_waitcnt lgkmcnt(1)
	v_lshrrev_b32_e32 v9, 16, v1
	s_waitcnt lgkmcnt(0)
	v_lshrrev_b32_e32 v13, 16, v5
	v_lshrrev_b32_e32 v10, 16, v2
	;; [unrolled: 1-line block ×4, first 2 shown]
	v_cndmask_b32_e32 v17, v1, v9, vcc_lo
	v_cndmask_b32_e32 v18, v5, v13, vcc_lo
	v_cndmask_b32_e64 v21, v1, v9, s4
	v_cmp_eq_u32_e32 vcc_lo, 1, v71
	v_cndmask_b32_e64 v22, v5, v13, s4
	v_cmp_eq_u32_e64 s4, 2, v70
	v_cndmask_b32_e64 v19, v1, v9, s3
	v_cndmask_b32_e64 v20, v5, v13, s3
	v_cndmask_b32_e32 v1, v1, v9, vcc_lo
	v_cmp_eq_u32_e64 s3, 2, v71
	v_cndmask_b32_e32 v5, v5, v13, vcc_lo
	v_cndmask_b32_e64 v9, v17, v2, s4
	v_cmp_eq_u32_e32 vcc_lo, 3, v70
	v_cndmask_b32_e64 v13, v18, v6, s4
	v_cmp_eq_u32_e64 s4, 2, v69
	v_cndmask_b32_e64 v17, v19, v2, s5
	v_cndmask_b32_e64 v18, v20, v6, s5
	v_cmp_eq_u32_e64 s5, 3, v69
	v_cndmask_b32_e64 v1, v1, v2, s3
	v_cndmask_b32_e64 v19, v21, v2, s4
	;; [unrolled: 1-line block ×4, first 2 shown]
	v_cndmask_b32_e32 v5, v9, v10, vcc_lo
	v_cndmask_b32_e32 v6, v13, v14, vcc_lo
	v_cmp_eq_u32_e32 vcc_lo, 3, v71
	v_cndmask_b32_e64 v9, v17, v10, s6
	v_cndmask_b32_e64 v13, v18, v14, s6
	;; [unrolled: 1-line block ×3, first 2 shown]
	v_cmp_eq_u32_e64 s4, 4, v70
	v_cndmask_b32_e32 v1, v1, v10, vcc_lo
	v_cndmask_b32_e32 v2, v2, v14, vcc_lo
	v_cmp_eq_u32_e32 vcc_lo, 4, v72
	v_lshrrev_b32_e32 v15, 16, v7
	v_lshrrev_b32_e32 v16, 16, v8
	v_cndmask_b32_e64 v17, v19, v10, s5
	v_cmp_eq_u32_e64 s3, 4, v71
	v_cndmask_b32_e64 v5, v5, v3, s4
	v_cndmask_b32_e64 v6, v6, v7, s4
	v_cndmask_b32_e32 v9, v9, v3, vcc_lo
	v_cmp_eq_u32_e64 s4, 5, v72
	v_cndmask_b32_e32 v10, v13, v7, vcc_lo
	v_cmp_eq_u32_e32 vcc_lo, 4, v69
	v_cmp_eq_u32_e64 s5, 5, v70
	v_cndmask_b32_e64 v2, v2, v7, s3
	v_cndmask_b32_e64 v9, v9, v11, s4
	;; [unrolled: 1-line block ×3, first 2 shown]
	v_cndmask_b32_e32 v13, v17, v3, vcc_lo
	v_cmp_eq_u32_e64 s4, 5, v69
	v_cndmask_b32_e32 v14, v18, v7, vcc_lo
	v_cndmask_b32_e64 v1, v1, v3, s3
	v_cmp_eq_u32_e32 vcc_lo, 5, v71
	v_lshrrev_b32_e32 v12, 16, v4
	v_cndmask_b32_e64 v13, v13, v11, s4
	v_cndmask_b32_e64 v3, v14, v15, s4
	v_cmp_eq_u32_e64 s4, 6, v71
	v_cndmask_b32_e32 v1, v1, v11, vcc_lo
	v_cndmask_b32_e64 v5, v5, v11, s5
	v_cmp_eq_u32_e64 s6, 6, v70
	v_cndmask_b32_e64 v6, v6, v15, s5
	v_cmp_eq_u32_e64 s5, 6, v72
	v_cmp_eq_u32_e64 s3, 6, v69
	v_cndmask_b32_e64 v1, v1, v4, s4
	v_cndmask_b32_e32 v2, v2, v15, vcc_lo
	v_cmp_eq_u32_e32 vcc_lo, 7, v71
	v_cndmask_b32_e64 v5, v5, v4, s6
	v_cndmask_b32_e64 v9, v9, v4, s5
	;; [unrolled: 1-line block ×3, first 2 shown]
	v_cmp_eq_u32_e64 s6, 7, v70
	v_cndmask_b32_e32 v1, v1, v12, vcc_lo
	v_cndmask_b32_e64 v7, v13, v4, s3
	v_cndmask_b32_e64 v3, v3, v8, s3
	;; [unrolled: 1-line block ×3, first 2 shown]
	v_cmp_eq_u32_e64 s3, 7, v69
	v_cndmask_b32_e64 v4, v10, v8, s5
	v_cndmask_b32_e64 v5, v5, v12, s6
	;; [unrolled: 1-line block ×3, first 2 shown]
	v_cndmask_b32_e32 v2, v2, v16, vcc_lo
	v_cndmask_b32_e64 v7, v7, v12, s3
	v_cndmask_b32_e64 v3, v3, v16, s3
	;; [unrolled: 1-line block ×4, first 2 shown]
	v_cmp_gt_u32_e32 vcc_lo, 32, v0
	v_perm_b32 v4, v2, v1, 0x5040100
	v_perm_b32 v3, v3, v7, 0x5040100
	;; [unrolled: 1-line block ×4, first 2 shown]
	s_and_b32 s2, vcc_lo, s2
	ds_store_b128 v74, v[1:4]
	s_waitcnt lgkmcnt(0)
	s_barrier
	buffer_gl0_inv
	s_and_saveexec_b32 s3, s2
	s_cbranch_execz .LBB1207_2
; %bb.15:
	s_load_b64 s[0:1], s[0:1], 0x68
	s_lshl_b32 s4, s35, 6
	v_or_b32_e32 v2, s31, v66
	s_mul_i32 s2, s4, s34
	v_lshlrev_b32_e32 v0, 10, v0
	s_mul_i32 s2, s2, s8
	v_lshlrev_b32_e32 v1, 4, v67
	s_ashr_i32 s3, s2, 31
	v_mul_lo_u32 v20, v2, s4
	s_lshl_b64 s[2:3], s[2:3], 1
	v_lshlrev_b32_e32 v3, 6, v66
	v_and_b32_e32 v0, 0x3800, v0
	s_delay_alu instid0(VALU_DEP_1) | instskip(NEXT) | instid1(VALU_DEP_4)
	v_or3_b32 v16, v0, v1, v3
	v_ashrrev_i32_e32 v21, 31, v20
	ds_load_b128 v[0:3], v16
	ds_load_b128 v[4:7], v16 offset:128
	s_waitcnt lgkmcnt(0)
	s_add_u32 s2, s0, s2
	s_addc_u32 s3, s1, s3
	s_lshl_b32 s0, s14, 6
	ds_load_b128 v[8:11], v16 offset:256
	ds_load_b128 v[12:15], v16 offset:384
	;; [unrolled: 1-line block ×3, first 2 shown]
	s_ashr_i32 s1, s0, 31
	s_delay_alu instid0(SALU_CYCLE_1) | instskip(NEXT) | instid1(SALU_CYCLE_1)
	s_lshl_b64 s[0:1], s[0:1], 1
	s_add_u32 s0, s2, s0
	s_addc_u32 s1, s3, s1
	s_lshl_b32 s2, s35, 7
	v_add_co_u32 v30, s0, s0, v65
	v_add_nc_u32_e32 v22, s2, v20
	v_lshlrev_b64 v[20:21], 1, v[20:21]
	v_add_co_ci_u32_e64 v31, null, s1, 0, s0
	s_delay_alu instid0(VALU_DEP_3) | instskip(SKIP_1) | instid1(VALU_DEP_4)
	v_add_nc_u32_e32 v24, s2, v22
	v_ashrrev_i32_e32 v23, 31, v22
	v_add_co_u32 v20, vcc_lo, v30, v20
	s_delay_alu instid0(VALU_DEP_4) | instskip(NEXT) | instid1(VALU_DEP_4)
	v_add_co_ci_u32_e32 v21, vcc_lo, v31, v21, vcc_lo
	v_add_nc_u32_e32 v26, s2, v24
	v_ashrrev_i32_e32 v25, 31, v24
	v_lshlrev_b64 v[22:23], 1, v[22:23]
	s_delay_alu instid0(VALU_DEP_3) | instskip(SKIP_1) | instid1(VALU_DEP_4)
	v_add_nc_u32_e32 v28, s2, v26
	v_ashrrev_i32_e32 v27, 31, v26
	v_lshlrev_b64 v[24:25], 1, v[24:25]
	s_delay_alu instid0(VALU_DEP_4) | instskip(NEXT) | instid1(VALU_DEP_4)
	v_add_co_u32 v22, vcc_lo, v30, v22
	v_ashrrev_i32_e32 v29, 31, v28
	s_delay_alu instid0(VALU_DEP_4) | instskip(SKIP_2) | instid1(VALU_DEP_4)
	v_lshlrev_b64 v[26:27], 1, v[26:27]
	v_add_co_ci_u32_e32 v23, vcc_lo, v31, v23, vcc_lo
	v_add_co_u32 v24, vcc_lo, v30, v24
	v_lshlrev_b64 v[28:29], 1, v[28:29]
	v_add_co_ci_u32_e32 v25, vcc_lo, v31, v25, vcc_lo
	v_add_co_u32 v26, vcc_lo, v30, v26
	v_add_co_ci_u32_e32 v27, vcc_lo, v31, v27, vcc_lo
	s_delay_alu instid0(VALU_DEP_4)
	v_add_co_u32 v28, vcc_lo, v30, v28
	v_add_co_ci_u32_e32 v29, vcc_lo, v31, v29, vcc_lo
	s_clause 0x1
	global_store_b128 v[20:21], v[0:3], off
	global_store_b128 v[22:23], v[4:7], off
	s_waitcnt lgkmcnt(2)
	global_store_b128 v[24:25], v[8:11], off
	s_waitcnt lgkmcnt(1)
	;; [unrolled: 2-line block ×3, first 2 shown]
	global_store_b128 v[28:29], v[16:19], off
	s_nop 0
	s_sendmsg sendmsg(MSG_DEALLOC_VGPRS)
	s_endpgm
	.section	.rodata,"a",@progbits
	.p2align	6, 0x0
	.amdhsa_kernel _Z39paged_attention_ll4mi_QKV_mfma16_kernelIDF16_hLN4vllm18Fp8KVCacheDataTypeE1EDF16_Li32ELi64ELi256ELb0ELi10EL8MFMAType0EEvPKT_PKT0_S8_ifPKiSA_SA_iPKfiiiPfSD_PS3_PT2_iSC_SC_
		.amdhsa_group_segment_fixed_size 17472
		.amdhsa_private_segment_fixed_size 0
		.amdhsa_kernarg_size 400
		.amdhsa_user_sgpr_count 13
		.amdhsa_user_sgpr_dispatch_ptr 0
		.amdhsa_user_sgpr_queue_ptr 0
		.amdhsa_user_sgpr_kernarg_segment_ptr 1
		.amdhsa_user_sgpr_dispatch_id 0
		.amdhsa_user_sgpr_private_segment_size 0
		.amdhsa_wavefront_size32 1
		.amdhsa_uses_dynamic_stack 0
		.amdhsa_enable_private_segment 0
		.amdhsa_system_sgpr_workgroup_id_x 1
		.amdhsa_system_sgpr_workgroup_id_y 1
		.amdhsa_system_sgpr_workgroup_id_z 1
		.amdhsa_system_sgpr_workgroup_info 0
		.amdhsa_system_vgpr_workitem_id 0
		.amdhsa_next_free_vgpr 146
		.amdhsa_next_free_sgpr 38
		.amdhsa_reserve_vcc 1
		.amdhsa_float_round_mode_32 0
		.amdhsa_float_round_mode_16_64 0
		.amdhsa_float_denorm_mode_32 3
		.amdhsa_float_denorm_mode_16_64 3
		.amdhsa_dx10_clamp 1
		.amdhsa_ieee_mode 1
		.amdhsa_fp16_overflow 0
		.amdhsa_workgroup_processor_mode 1
		.amdhsa_memory_ordered 1
		.amdhsa_forward_progress 0
		.amdhsa_shared_vgpr_count 0
		.amdhsa_exception_fp_ieee_invalid_op 0
		.amdhsa_exception_fp_denorm_src 0
		.amdhsa_exception_fp_ieee_div_zero 0
		.amdhsa_exception_fp_ieee_overflow 0
		.amdhsa_exception_fp_ieee_underflow 0
		.amdhsa_exception_fp_ieee_inexact 0
		.amdhsa_exception_int_div_zero 0
	.end_amdhsa_kernel
	.section	.text._Z39paged_attention_ll4mi_QKV_mfma16_kernelIDF16_hLN4vllm18Fp8KVCacheDataTypeE1EDF16_Li32ELi64ELi256ELb0ELi10EL8MFMAType0EEvPKT_PKT0_S8_ifPKiSA_SA_iPKfiiiPfSD_PS3_PT2_iSC_SC_,"axG",@progbits,_Z39paged_attention_ll4mi_QKV_mfma16_kernelIDF16_hLN4vllm18Fp8KVCacheDataTypeE1EDF16_Li32ELi64ELi256ELb0ELi10EL8MFMAType0EEvPKT_PKT0_S8_ifPKiSA_SA_iPKfiiiPfSD_PS3_PT2_iSC_SC_,comdat
.Lfunc_end1207:
	.size	_Z39paged_attention_ll4mi_QKV_mfma16_kernelIDF16_hLN4vllm18Fp8KVCacheDataTypeE1EDF16_Li32ELi64ELi256ELb0ELi10EL8MFMAType0EEvPKT_PKT0_S8_ifPKiSA_SA_iPKfiiiPfSD_PS3_PT2_iSC_SC_, .Lfunc_end1207-_Z39paged_attention_ll4mi_QKV_mfma16_kernelIDF16_hLN4vllm18Fp8KVCacheDataTypeE1EDF16_Li32ELi64ELi256ELb0ELi10EL8MFMAType0EEvPKT_PKT0_S8_ifPKiSA_SA_iPKfiiiPfSD_PS3_PT2_iSC_SC_
                                        ; -- End function
	.section	.AMDGPU.csdata,"",@progbits
; Kernel info:
; codeLenInByte = 6548
; NumSgprs: 40
; NumVgprs: 146
; ScratchSize: 0
; MemoryBound: 0
; FloatMode: 240
; IeeeMode: 1
; LDSByteSize: 17472 bytes/workgroup (compile time only)
; SGPRBlocks: 4
; VGPRBlocks: 18
; NumSGPRsForWavesPerEU: 40
; NumVGPRsForWavesPerEU: 146
; Occupancy: 9
; WaveLimiterHint : 1
; COMPUTE_PGM_RSRC2:SCRATCH_EN: 0
; COMPUTE_PGM_RSRC2:USER_SGPR: 13
; COMPUTE_PGM_RSRC2:TRAP_HANDLER: 0
; COMPUTE_PGM_RSRC2:TGID_X_EN: 1
; COMPUTE_PGM_RSRC2:TGID_Y_EN: 1
; COMPUTE_PGM_RSRC2:TGID_Z_EN: 1
; COMPUTE_PGM_RSRC2:TIDIG_COMP_CNT: 0
	.section	.text._Z39paged_attention_ll4mi_QKV_mfma16_kernelIDF16_hLN4vllm18Fp8KVCacheDataTypeE1EDF16_Li32ELi64ELi256ELb0ELi11EL8MFMAType0EEvPKT_PKT0_S8_ifPKiSA_SA_iPKfiiiPfSD_PS3_PT2_iSC_SC_,"axG",@progbits,_Z39paged_attention_ll4mi_QKV_mfma16_kernelIDF16_hLN4vllm18Fp8KVCacheDataTypeE1EDF16_Li32ELi64ELi256ELb0ELi11EL8MFMAType0EEvPKT_PKT0_S8_ifPKiSA_SA_iPKfiiiPfSD_PS3_PT2_iSC_SC_,comdat
	.protected	_Z39paged_attention_ll4mi_QKV_mfma16_kernelIDF16_hLN4vllm18Fp8KVCacheDataTypeE1EDF16_Li32ELi64ELi256ELb0ELi11EL8MFMAType0EEvPKT_PKT0_S8_ifPKiSA_SA_iPKfiiiPfSD_PS3_PT2_iSC_SC_ ; -- Begin function _Z39paged_attention_ll4mi_QKV_mfma16_kernelIDF16_hLN4vllm18Fp8KVCacheDataTypeE1EDF16_Li32ELi64ELi256ELb0ELi11EL8MFMAType0EEvPKT_PKT0_S8_ifPKiSA_SA_iPKfiiiPfSD_PS3_PT2_iSC_SC_
	.globl	_Z39paged_attention_ll4mi_QKV_mfma16_kernelIDF16_hLN4vllm18Fp8KVCacheDataTypeE1EDF16_Li32ELi64ELi256ELb0ELi11EL8MFMAType0EEvPKT_PKT0_S8_ifPKiSA_SA_iPKfiiiPfSD_PS3_PT2_iSC_SC_
	.p2align	8
	.type	_Z39paged_attention_ll4mi_QKV_mfma16_kernelIDF16_hLN4vllm18Fp8KVCacheDataTypeE1EDF16_Li32ELi64ELi256ELb0ELi11EL8MFMAType0EEvPKT_PKT0_S8_ifPKiSA_SA_iPKfiiiPfSD_PS3_PT2_iSC_SC_,@function
_Z39paged_attention_ll4mi_QKV_mfma16_kernelIDF16_hLN4vllm18Fp8KVCacheDataTypeE1EDF16_Li32ELi64ELi256ELb0ELi11EL8MFMAType0EEvPKT_PKT0_S8_ifPKiSA_SA_iPKfiiiPfSD_PS3_PT2_iSC_SC_: ; @_Z39paged_attention_ll4mi_QKV_mfma16_kernelIDF16_hLN4vllm18Fp8KVCacheDataTypeE1EDF16_Li32ELi64ELi256ELb0ELi11EL8MFMAType0EEvPKT_PKT0_S8_ifPKiSA_SA_iPKfiiiPfSD_PS3_PT2_iSC_SC_
; %bb.0:
	s_load_b64 s[2:3], s[0:1], 0x30
	s_mov_b32 s34, s13
	s_waitcnt lgkmcnt(0)
	s_cmp_lg_u64 s[2:3], 0
	s_cselect_b32 s6, -1, 0
	s_ashr_i32 s35, s13, 31
	s_cmp_eq_u64 s[2:3], 0
	s_cbranch_scc1 .LBB1208_3
; %bb.1:
	s_lshl_b64 s[4:5], s[34:35], 2
	s_delay_alu instid0(SALU_CYCLE_1) | instskip(SKIP_4) | instid1(SALU_CYCLE_1)
	s_add_u32 s4, s2, s4
	s_addc_u32 s5, s3, s5
	s_load_b64 s[4:5], s[4:5], 0x0
	s_waitcnt lgkmcnt(0)
	s_sub_i32 s4, s5, s4
	s_cmp_eq_u32 s4, 1
	s_cselect_b32 s4, -1, 0
	s_delay_alu instid0(SALU_CYCLE_1)
	s_and_not1_b32 vcc_lo, exec_lo, s4
	s_cbranch_vccz .LBB1208_4
.LBB1208_2:
	s_nop 0
	s_sendmsg sendmsg(MSG_DEALLOC_VGPRS)
	s_endpgm
.LBB1208_3:
.LBB1208_4:
	s_load_b64 s[8:9], s[0:1], 0x28
	s_lshl_b64 s[4:5], s[34:35], 2
	s_waitcnt lgkmcnt(0)
	s_add_u32 s8, s8, s4
	s_addc_u32 s9, s9, s5
	s_lshl_b32 s16, s14, 8
	s_load_b32 s18, s[8:9], 0x0
	s_waitcnt lgkmcnt(0)
	s_cmp_ge_i32 s16, s18
	s_cbranch_scc1 .LBB1208_2
; %bb.5:
	s_clause 0x1
	s_load_b128 s[8:11], s[0:1], 0x8
	s_load_b64 s[12:13], s[0:1], 0x20
	s_and_not1_b32 vcc_lo, exec_lo, s6
	s_cbranch_vccnz .LBB1208_7
; %bb.6:
	s_add_u32 s2, s2, s4
	s_addc_u32 s3, s3, s5
	s_load_b32 s3, s[2:3], 0x0
	s_branch .LBB1208_8
.LBB1208_7:
	s_mov_b32 s3, s34
.LBB1208_8:
	s_load_b128 s[4:7], s[0:1], 0x48
	v_lshrrev_b32_e32 v69, 5, v0
	v_bfe_u32 v66, v0, 4, 1
	v_and_b32_e32 v68, 15, v0
	v_and_b32_e32 v70, 31, v0
	v_and_b32_e32 v67, 1, v0
	s_mul_i32 s33, s15, 11
	v_lshl_or_b32 v1, v69, 1, v66
	v_lshlrev_b32_e32 v2, 3, v68
	v_cmp_gt_u32_e64 s2, 8, v68
	s_delay_alu instid0(VALU_DEP_3) | instskip(NEXT) | instid1(VALU_DEP_3)
	v_cmp_gt_u32_e32 vcc_lo, 11, v1
	v_lshlrev_b32_e32 v65, 1, v2
	s_delay_alu instid0(VALU_DEP_3)
	s_and_b32 s17, s2, vcc_lo
	s_waitcnt lgkmcnt(0)
	s_and_saveexec_b32 s7, s17
	s_cbranch_execz .LBB1208_10
; %bb.9:
	s_load_b64 s[20:21], s[0:1], 0x0
	v_add_lshl_u32 v2, v1, s33, 6
	s_mul_hi_i32 s23, s3, s4
	s_mul_i32 s22, s3, s4
	v_lshlrev_b32_e32 v6, 10, v68
	s_lshl_b64 s[22:23], s[22:23], 1
	v_ashrrev_i32_e32 v3, 31, v2
	v_lshlrev_b32_e32 v1, 6, v1
	v_lshlrev_b32_e32 v7, 10, v67
	v_and_b32_e32 v6, 0x3800, v6
	s_delay_alu instid0(VALU_DEP_4) | instskip(NEXT) | instid1(VALU_DEP_2)
	v_lshlrev_b64 v[2:3], 1, v[2:3]
	v_or3_b32 v1, v6, v7, v1
	s_waitcnt lgkmcnt(0)
	s_add_u32 s3, s20, s22
	s_addc_u32 s4, s21, s23
	s_delay_alu instid0(VALU_DEP_2) | instskip(SKIP_1) | instid1(VALU_DEP_2)
	v_add_co_u32 v2, vcc_lo, s3, v2
	v_add_co_ci_u32_e32 v3, vcc_lo, s4, v3, vcc_lo
	v_add_co_u32 v2, vcc_lo, v2, v65
	s_delay_alu instid0(VALU_DEP_2)
	v_add_co_ci_u32_e32 v3, vcc_lo, 0, v3, vcc_lo
	global_load_b128 v[2:5], v[2:3], off
	s_waitcnt vmcnt(0)
	ds_store_b128 v1, v[2:5]
.LBB1208_10:
	s_or_b32 exec_lo, exec_lo, s7
	v_and_b32_e32 v1, 0xef, v0
	s_add_i32 s3, s18, 31
	s_clause 0x1
	s_load_b32 s4, s[0:1], 0x38
	s_load_b32 s35, s[0:1], 0x98
	s_ashr_i32 s7, s3, 31
	v_add_nc_u32_e32 v1, s16, v1
	s_lshr_b32 s7, s7, 27
	s_load_b32 s19, s[0:1], 0x1c
	v_add_nc_u32_e32 v103, -11, v68
	s_add_i32 s3, s3, s7
	v_ashrrev_i32_e32 v2, 31, v1
	v_or_b32_e32 v3, 16, v1
	s_ashr_i32 s3, s3, 5
	v_cmp_gt_i32_e32 vcc_lo, s18, v1
	s_add_i32 s3, s3, -1
	v_lshrrev_b32_e32 v2, 27, v2
	s_waitcnt lgkmcnt(0)
	s_barrier
	buffer_gl0_inv
	s_mul_i32 s15, s15, s6
	v_add_nc_u32_e32 v4, v1, v2
	v_mbcnt_lo_u32_b32 v127, -1, 0
	s_mul_i32 s20, s34, s4
	s_delay_alu instid0(SALU_CYCLE_1) | instskip(NEXT) | instid1(VALU_DEP_2)
	s_ashr_i32 s21, s20, 31
	v_ashrrev_i32_e32 v4, 5, v4
	v_add_nc_u32_e32 v2, v3, v2
	s_lshl_b64 s[20:21], s[20:21], 2
	v_xor_b32_e32 v128, 16, v127
	s_add_u32 s17, s12, s20
	v_cndmask_b32_e32 v1, s3, v4, vcc_lo
	v_ashrrev_i32_e32 v2, 5, v2
	v_cmp_gt_i32_e32 vcc_lo, s18, v3
	s_addc_u32 s13, s13, s21
	s_ashr_i32 s20, s15, 31
	s_add_u32 s22, s8, s15
	s_addc_u32 s23, s9, s20
	v_cndmask_b32_e32 v3, s3, v2, vcc_lo
	v_ashrrev_i32_e32 v2, 31, v1
	s_lshl_b32 s6, s14, 3
	s_delay_alu instid0(SALU_CYCLE_1) | instskip(NEXT) | instid1(VALU_DEP_2)
	s_ashr_i32 s7, s6, 31
	v_ashrrev_i32_e32 v4, 31, v3
	s_delay_alu instid0(VALU_DEP_2) | instskip(SKIP_1) | instid1(SALU_CYCLE_1)
	v_lshlrev_b64 v[1:2], 2, v[1:2]
	s_lshl_b64 s[6:7], s[6:7], 2
	s_add_u32 s6, s17, s6
	s_delay_alu instid0(VALU_DEP_2) | instskip(SKIP_1) | instid1(VALU_DEP_2)
	v_lshlrev_b64 v[3:4], 2, v[3:4]
	s_addc_u32 s7, s13, s7
	v_add_co_u32 v1, vcc_lo, s17, v1
	v_add_co_ci_u32_e32 v2, vcc_lo, s13, v2, vcc_lo
	s_delay_alu instid0(VALU_DEP_3) | instskip(NEXT) | instid1(VALU_DEP_4)
	v_add_co_u32 v3, vcc_lo, s17, v3
	v_add_co_ci_u32_e32 v4, vcc_lo, s13, v4, vcc_lo
	s_clause 0x1
	global_load_b32 v5, v[1:2], off
	global_load_b32 v6, v[3:4], off
	s_or_b32 s4, s16, 32
	s_delay_alu instid0(SALU_CYCLE_1) | instskip(SKIP_2) | instid1(SALU_CYCLE_1)
	s_ashr_i32 s8, s4, 5
	s_cmp_lt_i32 s4, s18
	s_cselect_b32 s8, s8, s3
	s_ashr_i32 s9, s8, 31
	s_delay_alu instid0(SALU_CYCLE_1) | instskip(NEXT) | instid1(SALU_CYCLE_1)
	s_lshl_b64 s[8:9], s[8:9], 2
	s_add_u32 s8, s17, s8
	s_addc_u32 s9, s13, s9
	s_or_b32 s4, s16, 64
	s_delay_alu instid0(SALU_CYCLE_1) | instskip(SKIP_2) | instid1(SALU_CYCLE_1)
	s_ashr_i32 s12, s4, 5
	s_cmp_lt_i32 s4, s18
	s_cselect_b32 s24, s12, s3
	s_ashr_i32 s25, s24, 31
	s_delay_alu instid0(SALU_CYCLE_1) | instskip(NEXT) | instid1(SALU_CYCLE_1)
	s_lshl_b64 s[24:25], s[24:25], 2
	s_add_u32 s24, s17, s24
	s_addc_u32 s25, s13, s25
	;; [unrolled: 10-line block ×5, first 2 shown]
	s_clause 0x5
	s_load_b32 s12, s[6:7], 0x0
	s_load_b32 s4, s[8:9], 0x0
	;; [unrolled: 1-line block ×6, first 2 shown]
	s_or_b32 s21, s16, 0xc0
	s_waitcnt vmcnt(1)
	v_mad_i64_i32 v[1:2], null, v5, s5, s[22:23]
	v_lshlrev_b32_e32 v5, 4, v68
	s_waitcnt vmcnt(0)
	v_mad_i64_i32 v[3:4], null, v6, s5, s[22:23]
	s_ashr_i32 s22, s21, 5
	s_cmp_lt_i32 s21, s18
	s_delay_alu instid0(VALU_DEP_3) | instskip(NEXT) | instid1(VALU_DEP_4)
	v_add_co_u32 v1, vcc_lo, v1, v5
	v_add_co_ci_u32_e32 v2, vcc_lo, 0, v2, vcc_lo
	s_delay_alu instid0(VALU_DEP_3) | instskip(NEXT) | instid1(VALU_DEP_4)
	v_add_co_u32 v3, vcc_lo, v3, v5
	v_add_co_ci_u32_e32 v4, vcc_lo, 0, v4, vcc_lo
	s_clause 0x7
	global_load_b128 v[71:74], v[1:2], off
	global_load_b128 v[75:78], v[1:2], off offset:512
	global_load_b128 v[79:82], v[3:4], off offset:256
	;; [unrolled: 1-line block ×7, first 2 shown]
	s_cselect_b32 s22, s22, s3
	v_lshlrev_b32_e32 v1, 5, v68
	s_ashr_i32 s23, s22, 31
	v_cmp_gt_u32_e32 vcc_lo, 11, v68
	s_lshl_b64 s[22:23], s[22:23], 2
	s_delay_alu instid0(SALU_CYCLE_1)
	s_add_u32 s22, s17, s22
	s_addc_u32 s23, s13, s23
	s_or_b32 s21, s16, 0xe0
	v_lshl_or_b32 v1, v69, 9, v1
	s_ashr_i32 s24, s21, 5
	s_cmp_lt_i32 s21, s18
	v_cndmask_b32_e32 v103, v103, v68, vcc_lo
	s_cselect_b32 s24, s24, s3
	s_load_b32 s3, s[22:23], 0x0
	s_ashr_i32 s25, s24, 31
	v_cmp_gt_i32_e32 vcc_lo, 32, v128
	s_lshl_b64 s[24:25], s[24:25], 2
	v_lshlrev_b32_e32 v115, 6, v103
	s_add_u32 s22, s17, s24
	s_addc_u32 s23, s13, s25
	v_cndmask_b32_e32 v136, v127, v128, vcc_lo
	s_add_u32 s10, s10, s15
	s_addc_u32 s11, s11, s20
	v_add_co_u32 v1, s10, s10, v1
	s_delay_alu instid0(VALU_DEP_1) | instskip(SKIP_2) | instid1(VALU_DEP_1)
	v_add_co_ci_u32_e64 v2, null, s11, 0, s10
	s_load_b32 s10, s[22:23], 0x0
	s_waitcnt lgkmcnt(0)
	v_mad_i64_i32 v[3:4], null, s12, s5, v[1:2]
	v_mad_i64_i32 v[9:10], null, s7, s5, v[1:2]
	;; [unrolled: 1-line block ×7, first 2 shown]
	s_clause 0x5
	global_load_b128 v[49:52], v[3:4], off
	global_load_b128 v[53:56], v[3:4], off offset:16
	global_load_b128 v[41:44], v[5:6], off
	global_load_b128 v[45:48], v[5:6], off offset:16
	;; [unrolled: 2-line block ×3, first 2 shown]
	s_mov_b32 s4, 0
	v_mad_i64_i32 v[61:62], null, s10, s5, v[1:2]
	s_clause 0x9
	global_load_b128 v[1:4], v[9:10], off
	global_load_b128 v[5:8], v[9:10], off offset:16
	global_load_b128 v[9:12], v[13:14], off
	global_load_b128 v[13:16], v[13:14], off offset:16
	;; [unrolled: 2-line block ×5, first 2 shown]
	s_mov_b32 s5, s4
	s_mov_b32 s6, s4
	;; [unrolled: 1-line block ×7, first 2 shown]
	v_and_b32_e32 v104, 0xe0, v0
	v_dual_mov_b32 v126, s11 :: v_dual_mov_b32 v125, s10
	v_dual_mov_b32 v124, s9 :: v_dual_mov_b32 v123, s8
	s_delay_alu instid0(VALU_DEP_3)
	v_add_nc_u32_e32 v111, s16, v104
	ds_load_b128 v[103:106], v115
	ds_load_b128 v[107:110], v115 offset:1024
	v_dual_mov_b32 v122, s7 :: v_dual_mov_b32 v121, s6
	v_mov_b32_e32 v120, s5
	v_or_b32_e32 v135, v111, v66
	ds_load_b128 v[111:114], v115 offset:2048
	ds_load_b128 v[115:118], v115 offset:3072
	v_mov_b32_e32 v119, s4
	s_waitcnt vmcnt(0) lgkmcnt(0)
	s_barrier
	v_or_b32_e32 v137, 2, v135
	v_or_b32_e32 v138, 4, v135
	;; [unrolled: 1-line block ×3, first 2 shown]
	v_cmp_gt_i32_e32 vcc_lo, s18, v135
	v_or_b32_e32 v140, 8, v135
	v_cmp_gt_i32_e64 s3, s18, v137
	v_or_b32_e32 v141, 10, v135
	v_cmp_gt_i32_e64 s4, s18, v138
	v_cmp_gt_i32_e64 s5, s18, v139
	v_or_b32_e32 v142, 12, v135
	v_or_b32_e32 v143, 14, v135
	v_cmp_gt_i32_e64 s6, s18, v140
	v_cmp_gt_i32_e64 s7, s18, v141
	v_or_b32_e32 v144, 16, v135
	v_or_b32_e32 v145, 18, v135
	v_cmp_gt_i32_e64 s8, s18, v142
	v_cmp_gt_i32_e64 s9, s18, v143
	buffer_gl0_inv
	v_cmp_gt_i32_e64 s10, s18, v144
	v_cmp_gt_i32_e64 s11, s18, v145
	v_wmma_f32_16x16x16_f16 v[127:134], v[71:78], v[103:110], v[119:126]
	v_wmma_f32_16x16x16_f16 v[119:126], v[79:86], v[103:110], v[119:126]
	v_or_b32_e32 v71, 20, v135
	v_or_b32_e32 v72, 22, v135
	s_delay_alu instid0(VALU_DEP_4)
	v_wmma_f32_16x16x16_f16 v[127:134], v[87:94], v[111:118], v[127:134]
	v_or_b32_e32 v73, 24, v135
	v_wmma_f32_16x16x16_f16 v[119:126], v[95:102], v[111:118], v[119:126]
	v_or_b32_e32 v74, 26, v135
	v_cmp_gt_i32_e64 s12, s18, v71
	v_dual_mul_f32 v83, s19, v128 :: v_dual_mul_f32 v84, s19, v127
	s_delay_alu instid0(VALU_DEP_4) | instskip(SKIP_1) | instid1(VALU_DEP_3)
	v_dual_mul_f32 v81, s19, v130 :: v_dual_mul_f32 v92, s19, v119
	v_mul_f32_e32 v82, s19, v129
	v_cndmask_b32_e64 v83, 0xff7fffff, v83, s3
	s_delay_alu instid0(VALU_DEP_4)
	v_cndmask_b32_e32 v84, 0xff7fffff, v84, vcc_lo
	v_dual_mul_f32 v79, s19, v132 :: v_dual_mul_f32 v90, s19, v121
	v_mul_f32_e32 v80, s19, v131
	v_cndmask_b32_e64 v82, 0xff7fffff, v82, s4
	v_cndmask_b32_e64 v81, 0xff7fffff, v81, s5
	v_max3_f32 v83, v84, 0xff7fffff, v83
	v_dual_mul_f32 v77, s19, v134 :: v_dual_mul_f32 v88, s19, v123
	v_mul_f32_e32 v78, s19, v133
	v_cndmask_b32_e64 v80, 0xff7fffff, v80, s6
	v_cndmask_b32_e64 v79, 0xff7fffff, v79, s7
	v_max3_f32 v81, v83, v82, v81
	v_mul_f32_e32 v91, s19, v120
	v_cndmask_b32_e64 v78, 0xff7fffff, v78, s8
	v_cndmask_b32_e64 v77, 0xff7fffff, v77, s9
	v_mul_f32_e32 v89, s19, v122
	v_max3_f32 v79, v81, v80, v79
	v_cndmask_b32_e64 v80, 0xff7fffff, v92, s10
	v_cndmask_b32_e64 v81, 0xff7fffff, v91, s11
	v_cmp_gt_i32_e64 s13, s18, v72
	v_or_b32_e32 v75, 28, v135
	v_max3_f32 v77, v79, v78, v77
	v_or_b32_e32 v76, 30, v135
	v_mul_f32_e32 v87, s19, v124
	v_cndmask_b32_e64 v71, 0xff7fffff, v90, s12
	v_cndmask_b32_e64 v72, 0xff7fffff, v89, s13
	v_max3_f32 v77, v77, v80, v81
	v_cmp_gt_i32_e64 s15, s18, v73
	v_cmp_gt_i32_e64 s16, s18, v74
	v_dual_mul_f32 v85, s19, v126 :: v_dual_mul_f32 v86, s19, v125
	s_delay_alu instid0(VALU_DEP_4) | instskip(NEXT) | instid1(VALU_DEP_4)
	v_max3_f32 v71, v77, v71, v72
	v_cndmask_b32_e64 v73, 0xff7fffff, v88, s15
	s_delay_alu instid0(VALU_DEP_4) | instskip(SKIP_2) | instid1(VALU_DEP_3)
	v_cndmask_b32_e64 v74, 0xff7fffff, v87, s16
	v_cmp_gt_i32_e64 s17, s18, v75
	v_cmp_gt_i32_e64 s18, s18, v76
	v_max3_f32 v71, v71, v73, v74
	s_delay_alu instid0(VALU_DEP_3) | instskip(NEXT) | instid1(VALU_DEP_3)
	v_cndmask_b32_e64 v72, 0xff7fffff, v86, s17
	v_cndmask_b32_e64 v75, 0xff7fffff, v85, s18
	v_lshlrev_b32_e32 v73, 2, v136
	s_delay_alu instid0(VALU_DEP_2) | instskip(SKIP_3) | instid1(VALU_DEP_1)
	v_max3_f32 v71, v71, v72, v75
	ds_bpermute_b32 v72, v73, v71
	s_waitcnt lgkmcnt(0)
	v_max_f32_e32 v72, v72, v72
	v_max_f32_e32 v71, v71, v72
	s_delay_alu instid0(VALU_DEP_1)
	v_fma_f32 v72, s19, v127, -v71
	v_fma_f32 v74, s19, v128, -v71
	;; [unrolled: 1-line block ×5, first 2 shown]
	v_mul_f32_e32 v72, 0x3fb8aa3b, v72
	v_mul_f32_e32 v74, 0x3fb8aa3b, v74
	v_fma_f32 v80, s19, v133, -v71
	s_delay_alu instid0(VALU_DEP_4) | instskip(NEXT) | instid1(VALU_DEP_4)
	v_dual_mul_f32 v76, 0x3fb8aa3b, v76 :: v_dual_mul_f32 v77, 0x3fb8aa3b, v77
	v_exp_f32_e32 v72, v72
	s_delay_alu instid0(VALU_DEP_3) | instskip(NEXT) | instid1(VALU_DEP_2)
	v_exp_f32_e32 v74, v74
	v_mul_f32_e32 v82, 0x3fb8aa3b, v80
	s_delay_alu instid0(VALU_DEP_2) | instskip(SKIP_1) | instid1(VALU_DEP_1)
	v_exp_f32_e32 v76, v76
	v_exp_f32_e32 v77, v77
	;; [unrolled: 1-line block ×3, first 2 shown]
	v_cndmask_b32_e32 v79, 0, v72, vcc_lo
	v_fma_f32 v72, s19, v132, -v71
	v_mul_f32_e32 v75, 0x3fb8aa3b, v75
	v_cndmask_b32_e64 v78, 0, v74, s3
	s_delay_alu instid0(TRANS32_DEP_3)
	v_cndmask_b32_e64 v80, 0, v76, s5
	v_add_f32_e32 v74, 0, v79
	v_mul_f32_e32 v72, 0x3fb8aa3b, v72
	v_exp_f32_e32 v75, v75
	v_cndmask_b32_e64 v83, 0, v77, s6
	v_cndmask_b32_e64 v85, 0, v84, s8
	v_add_f32_e32 v74, v74, v78
	v_exp_f32_e32 v72, v72
	v_cmp_gt_u32_e64 s3, 16, v70
	s_waitcnt_depctr 0xfff
	v_cndmask_b32_e64 v81, 0, v75, s4
	v_cndmask_b32_e64 v82, 0, v72, s7
	s_delay_alu instid0(VALU_DEP_2) | instskip(NEXT) | instid1(VALU_DEP_1)
	v_add_f32_e32 v74, v74, v81
	v_add_f32_e32 v74, v74, v80
	s_delay_alu instid0(VALU_DEP_1) | instskip(SKIP_4) | instid1(VALU_DEP_4)
	v_add_f32_e32 v72, v74, v83
	v_fma_f32 v75, s19, v134, -v71
	v_fma_f32 v76, s19, v119, -v71
	;; [unrolled: 1-line block ×4, first 2 shown]
	v_dual_add_f32 v72, v72, v82 :: v_dual_mul_f32 v75, 0x3fb8aa3b, v75
	s_delay_alu instid0(VALU_DEP_3) | instskip(SKIP_1) | instid1(VALU_DEP_3)
	v_dual_mul_f32 v76, 0x3fb8aa3b, v76 :: v_dual_mul_f32 v77, 0x3fb8aa3b, v77
	v_fma_f32 v86, s19, v122, -v71
	v_add_f32_e32 v72, v72, v85
	s_delay_alu instid0(VALU_DEP_4) | instskip(NEXT) | instid1(VALU_DEP_3)
	v_exp_f32_e32 v75, v75
	v_exp_f32_e32 v76, v76
	;; [unrolled: 1-line block ×3, first 2 shown]
	v_mul_f32_e32 v86, 0x3fb8aa3b, v86
	s_delay_alu instid0(VALU_DEP_1) | instskip(SKIP_3) | instid1(TRANS32_DEP_3)
	v_exp_f32_e32 v88, v86
	v_cndmask_b32_e64 v84, 0, v75, s9
	v_fma_f32 v75, s19, v123, -v71
	v_mul_f32_e32 v74, 0x3fb8aa3b, v74
	v_cndmask_b32_e64 v87, 0, v76, s10
	v_fma_f32 v76, s19, v124, -v71
	s_delay_alu instid0(VALU_DEP_4) | instskip(NEXT) | instid1(VALU_DEP_4)
	v_dual_add_f32 v72, v72, v84 :: v_dual_mul_f32 v75, 0x3fb8aa3b, v75
	v_exp_f32_e32 v74, v74
	v_cndmask_b32_e64 v86, 0, v77, s11
	v_fma_f32 v77, s19, v125, -v71
	s_delay_alu instid0(VALU_DEP_3) | instskip(SKIP_3) | instid1(VALU_DEP_3)
	v_add_f32_e32 v72, v72, v87
	v_mul_f32_e32 v76, 0x3fb8aa3b, v76
	v_exp_f32_e32 v75, v75
	v_cndmask_b32_e64 v88, 0, v88, s13
	v_add_f32_e32 v72, v72, v86
	s_delay_alu instid0(VALU_DEP_3) | instskip(NEXT) | instid1(TRANS32_DEP_3)
	v_exp_f32_e32 v76, v76
	v_cndmask_b32_e64 v89, 0, v74, s12
	v_mul_f32_e32 v74, 0x3fb8aa3b, v77
	v_fma_f32 v77, s19, v126, -v71
	s_delay_alu instid0(VALU_DEP_3) | instskip(NEXT) | instid1(VALU_DEP_3)
	v_add_f32_e32 v72, v72, v89
	v_exp_f32_e32 v74, v74
	s_delay_alu instid0(TRANS32_DEP_3) | instskip(NEXT) | instid1(VALU_DEP_3)
	v_cndmask_b32_e64 v91, 0, v75, s15
	v_mul_f32_e32 v75, 0x3fb8aa3b, v77
	s_delay_alu instid0(TRANS32_DEP_2) | instskip(SKIP_1) | instid1(VALU_DEP_3)
	v_cndmask_b32_e64 v90, 0, v76, s16
	v_add_f32_e32 v72, v72, v88
	v_exp_f32_e32 v75, v75
	s_delay_alu instid0(VALU_DEP_1) | instskip(NEXT) | instid1(TRANS32_DEP_2)
	v_add_f32_e32 v72, v72, v91
	v_cndmask_b32_e64 v93, 0, v74, s17
	s_delay_alu instid0(VALU_DEP_2) | instskip(SKIP_3) | instid1(VALU_DEP_1)
	v_add_f32_e32 v72, v72, v90
	s_waitcnt_depctr 0xfff
	v_cndmask_b32_e64 v92, 0, v75, s18
	v_add_f32_e32 v72, v72, v93
	v_add_f32_e32 v72, v72, v92
	ds_bpermute_b32 v73, v73, v72
	s_and_saveexec_b32 s4, s3
	s_cbranch_execz .LBB1208_12
; %bb.11:
	v_mul_u32_u24_e32 v70, 0x44, v69
	s_waitcnt lgkmcnt(0)
	v_add_f32_e32 v72, v72, v73
	s_delay_alu instid0(VALU_DEP_2) | instskip(NEXT) | instid1(VALU_DEP_1)
	v_lshl_add_u32 v70, v68, 2, v70
	v_add_nc_u32_e32 v70, 0x4000, v70
	ds_store_2addr_b32 v70, v71, v72 offset1:136
.LBB1208_12:
	s_or_b32 exec_lo, exec_lo, s4
	v_lshlrev_b32_e32 v70, 2, v68
	s_load_b32 s36, s[0:1], 0x94
	s_waitcnt lgkmcnt(0)
	s_barrier
	buffer_gl0_inv
	v_add_nc_u32_e32 v98, 0x4000, v70
	v_cmp_eq_u32_e32 vcc_lo, 1, v69
	v_cmp_eq_u32_e64 s4, 2, v69
	v_cmp_eq_u32_e64 s5, 3, v69
	;; [unrolled: 1-line block ×3, first 2 shown]
	ds_load_2addr_b32 v[70:71], v98 offset1:17
	ds_load_2addr_b32 v[72:73], v98 offset0:34 offset1:51
	ds_load_2addr_b32 v[74:75], v98 offset0:68 offset1:85
	;; [unrolled: 1-line block ×3, first 2 shown]
	v_cmp_eq_u32_e64 s7, 5, v69
	v_cmp_eq_u32_e64 s8, 7, v69
	s_waitcnt lgkmcnt(3)
	v_max3_f32 v76, v70, 0xff7fffff, v71
	s_waitcnt lgkmcnt(2)
	s_delay_alu instid0(VALU_DEP_1) | instskip(SKIP_1) | instid1(VALU_DEP_1)
	v_max3_f32 v76, v76, v72, v73
	s_waitcnt lgkmcnt(1)
	v_max3_f32 v76, v76, v74, v75
	s_waitcnt lgkmcnt(0)
	s_delay_alu instid0(VALU_DEP_1) | instskip(NEXT) | instid1(VALU_DEP_1)
	v_max3_f32 v76, v76, v94, v95
	v_sub_f32_e32 v77, v71, v76
	ds_load_2addr_b32 v[96:97], v98 offset0:136 offset1:153
	v_sub_f32_e32 v74, v74, v76
	v_sub_f32_e32 v70, v70, v76
	;; [unrolled: 1-line block ×3, first 2 shown]
	v_dual_sub_f32 v72, v72, v76 :: v_dual_mul_f32 v77, 0x3fb8aa3b, v77
	s_delay_alu instid0(VALU_DEP_4) | instskip(NEXT) | instid1(VALU_DEP_4)
	v_mul_f32_e32 v103, 0x3fb8aa3b, v74
	v_mul_f32_e32 v99, 0x3fb8aa3b, v70
	ds_load_2addr_b32 v[70:71], v98 offset0:170 offset1:187
	v_dual_mul_f32 v101, 0x3fb8aa3b, v72 :: v_dual_mul_f32 v94, 0x3fb8aa3b, v94
	v_exp_f32_e32 v102, v77
	v_exp_f32_e32 v99, v99
	s_delay_alu instid0(VALU_DEP_1) | instskip(NEXT) | instid1(VALU_DEP_1)
	v_exp_f32_e32 v101, v101
	v_exp_f32_e32 v94, v94
	s_waitcnt lgkmcnt(1)
	s_delay_alu instid0(TRANS32_DEP_3)
	v_fma_f32 v77, v99, v96, 0
	v_sub_f32_e32 v100, v73, v76
	ds_load_2addr_b32 v[72:73], v98 offset0:204 offset1:221
	v_fmac_f32_e32 v77, v102, v97
	v_exp_f32_e32 v97, v103
	s_waitcnt lgkmcnt(1)
	s_delay_alu instid0(VALU_DEP_1)
	v_dual_fmac_f32 v77, v101, v70 :: v_dual_sub_f32 v96, v75, v76
	ds_load_2addr_b32 v[74:75], v98 offset0:238 offset1:255
	v_sub_f32_e32 v70, v95, v76
	s_waitcnt lgkmcnt(0)
	s_barrier
	v_mul_f32_e32 v96, 0x3fb8aa3b, v96
	buffer_gl0_inv
	v_exp_f32_e32 v95, v96
	v_mul_f32_e32 v100, 0x3fb8aa3b, v100
	s_delay_alu instid0(VALU_DEP_1) | instskip(SKIP_3) | instid1(VALU_DEP_2)
	v_exp_f32_e32 v100, v100
	s_waitcnt_depctr 0xfff
	v_dual_fmac_f32 v77, v100, v71 :: v_dual_mul_f32 v70, 0x3fb8aa3b, v70
	v_cndmask_b32_e32 v71, v99, v102, vcc_lo
	v_fmac_f32_e32 v77, v97, v72
	s_delay_alu instid0(VALU_DEP_3) | instskip(NEXT) | instid1(VALU_DEP_1)
	v_exp_f32_e32 v96, v70
	v_fmac_f32_e32 v77, v95, v73
	s_delay_alu instid0(VALU_DEP_1) | instskip(SKIP_2) | instid1(VALU_DEP_1)
	v_fmac_f32_e32 v77, v94, v74
	s_waitcnt_depctr 0xfff
	v_fmac_f32_e32 v77, v96, v75
	v_add_f32_e32 v74, 0x358637bd, v77
	s_delay_alu instid0(VALU_DEP_1) | instskip(SKIP_1) | instid1(VALU_DEP_2)
	v_div_scale_f32 v98, null, v74, v74, 1.0
	v_div_scale_f32 v99, vcc_lo, 1.0, v74, 1.0
	v_rcp_f32_e32 v103, v98
	s_waitcnt_depctr 0xfff
	v_fma_f32 v70, -v98, v103, 1.0
	s_delay_alu instid0(VALU_DEP_1) | instskip(SKIP_2) | instid1(VALU_DEP_2)
	v_fmac_f32_e32 v103, v70, v103
	v_cndmask_b32_e64 v70, v71, v101, s4
	v_cmp_eq_u32_e64 s4, 6, v69
	v_cndmask_b32_e64 v71, v70, v100, s5
	s_delay_alu instid0(VALU_DEP_4) | instskip(NEXT) | instid1(VALU_DEP_2)
	v_dual_mul_f32 v101, v99, v103 :: v_dual_lshlrev_b32 v70, 2, v66
	v_cndmask_b32_e64 v71, v71, v97, s6
	s_delay_alu instid0(VALU_DEP_2) | instskip(NEXT) | instid1(VALU_DEP_3)
	v_or_b32_e32 v72, 1, v70
	v_fma_f32 v100, -v98, v101, v99
	v_cmp_eq_u32_e64 s5, 1, v70
	v_cmp_eq_u32_e64 s6, 2, v70
	v_cndmask_b32_e64 v95, v71, v95, s7
	v_or_b32_e32 v71, 3, v70
	v_fmac_f32_e32 v101, v100, v103
	v_cmp_eq_u32_e64 s10, 1, v72
	v_cmp_eq_u32_e64 s13, 2, v72
	v_cndmask_b32_e64 v94, v95, v94, s4
	v_cmp_eq_u32_e64 s12, 1, v71
	v_fma_f32 v97, -v98, v101, v99
	v_cmp_eq_u32_e64 s17, 2, v71
	v_cmp_eq_u32_e64 s15, 3, v72
	v_cndmask_b32_e64 v94, v94, v96, s8
	v_cmp_eq_u32_e64 s19, 3, v71
	v_div_fmas_f32 v95, v97, v103, v101
	v_cmp_eq_u32_e32 vcc_lo, 3, v70
	v_cmp_eq_u32_e64 s4, 4, v70
	v_cmp_eq_u32_e64 s20, 4, v72
	;; [unrolled: 1-line block ×3, first 2 shown]
	v_div_fixup_f32 v95, v95, v74, 1.0
	v_lshlrev_b32_e32 v73, 6, v68
	v_cmp_eq_u32_e64 s7, 5, v70
	v_cmp_eq_u32_e64 s21, 5, v72
	v_cmp_eq_u32_e64 s25, 5, v71
	v_mul_f32_e32 v102, v94, v95
	v_lshl_or_b32 v75, v69, 11, v73
	v_or_b32_e32 v69, 2, v70
	v_cmp_eq_u32_e64 s26, 6, v72
	v_cmp_eq_u32_e64 s28, 6, v71
	v_fma_mixlo_f16 v94, v102, v79, 0
	v_fma_mixlo_f16 v95, v102, v81, 0
	;; [unrolled: 1-line block ×8, first 2 shown]
	v_lshl_or_b32 v74, v66, 4, v75
	v_fma_mixhi_f16 v94, v102, v78, 0
	v_fma_mixhi_f16 v95, v102, v80, 0
	;; [unrolled: 1-line block ×8, first 2 shown]
	ds_store_b128 v74, v[94:97]
	ds_store_b128 v74, v[98:101] offset:1024
	s_waitcnt lgkmcnt(0)
	s_barrier
	buffer_gl0_inv
	ds_load_b128 v[78:81], v75
	ds_load_b128 v[82:85], v75 offset:16
	ds_load_b128 v[86:89], v75 offset:1024
	;; [unrolled: 1-line block ×3, first 2 shown]
	v_cmp_eq_u32_e64 s11, 1, v69
	v_cmp_eq_u32_e64 s16, 2, v69
	;; [unrolled: 1-line block ×11, first 2 shown]
	s_waitcnt lgkmcnt(3)
	v_lshrrev_b32_e32 v94, 16, v78
	s_waitcnt lgkmcnt(2)
	v_lshrrev_b32_e32 v98, 16, v82
	;; [unrolled: 2-line block ×4, first 2 shown]
	v_lshrrev_b32_e32 v95, 16, v79
	v_cndmask_b32_e64 v110, v78, v94, s5
	v_cndmask_b32_e64 v111, v82, v98, s5
	;; [unrolled: 1-line block ×8, first 2 shown]
	v_lshrrev_b32_e32 v99, 16, v83
	v_cndmask_b32_e64 v94, v86, v102, s5
	v_cndmask_b32_e64 v98, v90, v106, s5
	;; [unrolled: 1-line block ×15, first 2 shown]
	v_lshrrev_b32_e32 v103, 16, v87
	v_lshrrev_b32_e32 v107, 16, v91
	v_cndmask_b32_e64 v113, v115, v83, s16
	v_cndmask_b32_e64 v82, v94, v87, s6
	;; [unrolled: 1-line block ×7, first 2 shown]
	v_cndmask_b32_e32 v90, v102, v95, vcc_lo
	v_cndmask_b32_e32 v102, v106, v99, vcc_lo
	v_cndmask_b32_e64 v106, v110, v95, s15
	v_cndmask_b32_e64 v110, v111, v99, s15
	v_cndmask_b32_e64 v78, v78, v95, s19
	v_cndmask_b32_e64 v79, v79, v99, s19
	v_lshrrev_b32_e32 v96, 16, v80
	v_lshrrev_b32_e32 v100, 16, v84
	v_cndmask_b32_e64 v111, v112, v95, s18
	v_cndmask_b32_e64 v112, v113, v99, s18
	v_cndmask_b32_e32 v82, v82, v103, vcc_lo
	v_cndmask_b32_e32 v83, v83, v107, vcc_lo
	v_cndmask_b32_e64 v94, v94, v103, s15
	v_cndmask_b32_e64 v90, v90, v80, s4
	;; [unrolled: 1-line block ×7, first 2 shown]
	v_lshrrev_b32_e32 v104, 16, v88
	v_cndmask_b32_e64 v106, v111, v80, s22
	v_cndmask_b32_e64 v110, v112, v84, s22
	;; [unrolled: 1-line block ×11, first 2 shown]
	v_lshrrev_b32_e32 v97, 16, v81
	v_lshrrev_b32_e32 v101, 16, v85
	v_cndmask_b32_e64 v99, v106, v96, s24
	v_cndmask_b32_e64 v102, v110, v100, s24
	;; [unrolled: 1-line block ×7, first 2 shown]
	v_lshrrev_b32_e32 v105, 16, v89
	v_cndmask_b32_e64 v80, v80, v104, s7
	v_cndmask_b32_e64 v84, v84, v81, s8
	;; [unrolled: 1-line block ×16, first 2 shown]
	v_perm_b32 v81, v79, v78, 0x5040100
	v_perm_b32 v79, v95, v85, 0x5040100
	v_cndmask_b32_e64 v78, v119, v91, s16
	v_cndmask_b32_e64 v85, v117, v91, s13
	;; [unrolled: 1-line block ×3, first 2 shown]
	v_perm_b32 v80, v94, v90, 0x5040100
	v_cndmask_b32_e64 v90, v98, v103, s18
	v_cndmask_b32_e64 v86, v86, v103, s19
	v_cndmask_b32_e64 v87, v87, v107, s19
	v_cndmask_b32_e64 v78, v78, v107, s18
	v_cndmask_b32_e64 v85, v85, v107, s15
	v_lshrrev_b32_e32 v108, 16, v92
	v_cndmask_b32_e64 v90, v90, v88, s22
	v_cndmask_b32_e64 v86, v86, v88, s23
	;; [unrolled: 1-line block ×11, first 2 shown]
	v_lshrrev_b32_e32 v109, 16, v93
	v_cndmask_b32_e64 v82, v82, v93, s8
	v_cndmask_b32_e64 v88, v88, v89, s27
	;; [unrolled: 1-line block ×12, first 2 shown]
	v_perm_b32 v78, v84, v83, 0x5040100
	v_perm_b32 v85, v87, v86, 0x5040100
	;; [unrolled: 1-line block ×5, first 2 shown]
	s_mul_i32 s9, s35, 11
	s_mov_b32 s4, exec_lo
	ds_store_b128 v74, v[78:81]
	ds_store_b128 v74, v[82:85] offset:1024
	v_cmpx_gt_u32_e32 11, v0
	s_cbranch_execz .LBB1208_14
; %bb.13:
	s_mul_i32 s5, s9, s34
	s_load_b128 s[16:19], s[0:1], 0x58
	v_add3_u32 v68, s5, s33, v68
	s_delay_alu instid0(VALU_DEP_1) | instskip(NEXT) | instid1(VALU_DEP_1)
	v_mad_u64_u32 v[78:79], null, v68, s36, s[14:15]
	v_ashrrev_i32_e32 v79, 31, v78
	s_delay_alu instid0(VALU_DEP_1) | instskip(SKIP_1) | instid1(VALU_DEP_1)
	v_lshlrev_b64 v[78:79], 2, v[78:79]
	s_waitcnt lgkmcnt(0)
	v_add_co_u32 v80, vcc_lo, s18, v78
	s_delay_alu instid0(VALU_DEP_2)
	v_add_co_ci_u32_e32 v81, vcc_lo, s19, v79, vcc_lo
	v_add_co_u32 v78, vcc_lo, s16, v78
	v_add_co_ci_u32_e32 v79, vcc_lo, s17, v79, vcc_lo
	global_store_b32 v[80:81], v76, off
	global_store_b32 v[78:79], v77, off
.LBB1208_14:
	s_or_b32 exec_lo, exec_lo, s4
	s_waitcnt lgkmcnt(0)
	s_waitcnt_vscnt null, 0x0
	s_barrier
	buffer_gl0_inv
	ds_load_b128 v[84:87], v73
	ds_load_b128 v[88:91], v73 offset:16
	ds_load_b128 v[96:99], v73 offset:2064
	;; [unrolled: 1-line block ×5, first 2 shown]
	v_cmp_eq_u32_e32 vcc_lo, 1, v70
	v_mov_b32_e32 v76, 0
	ds_load_b128 v[112:115], v73 offset:6160
	ds_load_b128 v[108:111], v73 offset:6144
	;; [unrolled: 1-line block ×4, first 2 shown]
	v_cmp_eq_u32_e64 s5, 1, v69
	v_cmp_eq_u32_e64 s4, 1, v72
	v_cmp_eq_u32_e64 s6, 2, v72
	v_mov_b32_e32 v77, v76
	v_mov_b32_e32 v78, v76
	;; [unrolled: 1-line block ×7, first 2 shown]
	v_cmp_eq_u32_e64 s7, 3, v72
	v_cmp_eq_u32_e64 s8, 7, v72
	s_waitcnt lgkmcnt(8)
	s_delay_alu instid0(VALU_DEP_3)
	v_wmma_f32_16x16x16_f16 v[76:83], v[49:56], v[84:91], v[76:83]
	ds_load_b128 v[53:56], v73 offset:10256
	ds_load_b128 v[49:52], v73 offset:10240
	s_waitcnt lgkmcnt(8)
	v_wmma_f32_16x16x16_f16 v[76:83], v[41:48], v[92:99], v[76:83]
	ds_load_b128 v[45:48], v73 offset:12304
	ds_load_b128 v[41:44], v73 offset:12288
	s_waitcnt lgkmcnt(8)
	;; [unrolled: 4-line block ×3, first 2 shown]
	s_barrier
	buffer_gl0_inv
	v_wmma_f32_16x16x16_f16 v[76:83], v[1:8], v[108:115], v[76:83]
	s_delay_alu instid0(VALU_DEP_1) | instskip(NEXT) | instid1(VALU_DEP_1)
	v_wmma_f32_16x16x16_f16 v[76:83], v[9:16], v[116:123], v[76:83]
	v_wmma_f32_16x16x16_f16 v[76:83], v[17:24], v[49:56], v[76:83]
	s_delay_alu instid0(VALU_DEP_1) | instskip(NEXT) | instid1(VALU_DEP_1)
	v_wmma_f32_16x16x16_f16 v[76:83], v[25:32], v[41:48], v[76:83]
	v_wmma_f32_16x16x16_f16 v[76:83], v[57:64], v[33:40], v[76:83]
	s_delay_alu instid0(VALU_DEP_1) | instskip(NEXT) | instid1(VALU_DEP_2)
	v_cvt_f16_f32_e32 v1, v76
	v_cvt_f16_f32_e32 v2, v77
	s_delay_alu instid0(VALU_DEP_3) | instskip(NEXT) | instid1(VALU_DEP_4)
	v_cvt_f16_f32_e32 v3, v78
	v_cvt_f16_f32_e32 v4, v79
	;; [unrolled: 1-line block ×6, first 2 shown]
	v_pack_b32_f16 v1, v1, v2
	v_pack_b32_f16 v2, v3, v4
	;; [unrolled: 1-line block ×3, first 2 shown]
	s_delay_alu instid0(VALU_DEP_4)
	v_pack_b32_f16 v4, v7, v8
	ds_store_b128 v74, v[1:4]
	s_waitcnt lgkmcnt(0)
	s_barrier
	buffer_gl0_inv
	ds_load_b128 v[1:4], v75
	ds_load_b128 v[5:8], v75 offset:16
	s_waitcnt lgkmcnt(1)
	v_lshrrev_b32_e32 v9, 16, v1
	s_waitcnt lgkmcnt(0)
	v_lshrrev_b32_e32 v13, 16, v5
	v_lshrrev_b32_e32 v10, 16, v2
	;; [unrolled: 1-line block ×4, first 2 shown]
	v_cndmask_b32_e32 v17, v1, v9, vcc_lo
	v_cndmask_b32_e32 v18, v5, v13, vcc_lo
	v_cndmask_b32_e64 v21, v1, v9, s5
	v_cmp_eq_u32_e32 vcc_lo, 1, v71
	v_cndmask_b32_e64 v22, v5, v13, s5
	v_cmp_eq_u32_e64 s5, 2, v70
	v_cndmask_b32_e64 v19, v1, v9, s4
	v_cndmask_b32_e64 v20, v5, v13, s4
	v_cndmask_b32_e32 v1, v1, v9, vcc_lo
	v_cmp_eq_u32_e64 s4, 2, v71
	v_cndmask_b32_e32 v5, v5, v13, vcc_lo
	v_cndmask_b32_e64 v9, v17, v2, s5
	v_cmp_eq_u32_e32 vcc_lo, 3, v70
	v_cndmask_b32_e64 v13, v18, v6, s5
	v_cmp_eq_u32_e64 s5, 2, v69
	v_cndmask_b32_e64 v17, v19, v2, s6
	v_cndmask_b32_e64 v18, v20, v6, s6
	v_cmp_eq_u32_e64 s6, 3, v69
	v_cndmask_b32_e64 v1, v1, v2, s4
	v_cndmask_b32_e64 v19, v21, v2, s5
	;; [unrolled: 1-line block ×4, first 2 shown]
	v_cndmask_b32_e32 v5, v9, v10, vcc_lo
	v_cndmask_b32_e32 v6, v13, v14, vcc_lo
	v_cmp_eq_u32_e32 vcc_lo, 3, v71
	v_cndmask_b32_e64 v9, v17, v10, s7
	v_cndmask_b32_e64 v13, v18, v14, s7
	v_cndmask_b32_e64 v18, v20, v14, s6
	v_cmp_eq_u32_e64 s5, 4, v70
	v_cndmask_b32_e32 v1, v1, v10, vcc_lo
	v_cndmask_b32_e32 v2, v2, v14, vcc_lo
	v_cmp_eq_u32_e32 vcc_lo, 4, v72
	v_lshrrev_b32_e32 v15, 16, v7
	v_lshrrev_b32_e32 v16, 16, v8
	v_cndmask_b32_e64 v17, v19, v10, s6
	v_cmp_eq_u32_e64 s4, 4, v71
	v_cndmask_b32_e64 v5, v5, v3, s5
	v_cndmask_b32_e64 v6, v6, v7, s5
	v_cndmask_b32_e32 v9, v9, v3, vcc_lo
	v_cmp_eq_u32_e64 s5, 5, v72
	v_cndmask_b32_e32 v10, v13, v7, vcc_lo
	v_cmp_eq_u32_e32 vcc_lo, 4, v69
	v_cmp_eq_u32_e64 s6, 5, v70
	v_cndmask_b32_e64 v2, v2, v7, s4
	v_cndmask_b32_e64 v9, v9, v11, s5
	;; [unrolled: 1-line block ×3, first 2 shown]
	v_cndmask_b32_e32 v13, v17, v3, vcc_lo
	v_cmp_eq_u32_e64 s5, 5, v69
	v_cndmask_b32_e32 v14, v18, v7, vcc_lo
	v_cndmask_b32_e64 v1, v1, v3, s4
	v_cmp_eq_u32_e32 vcc_lo, 5, v71
	v_lshrrev_b32_e32 v12, 16, v4
	v_cndmask_b32_e64 v13, v13, v11, s5
	v_cndmask_b32_e64 v3, v14, v15, s5
	v_cmp_eq_u32_e64 s5, 6, v71
	v_cndmask_b32_e32 v1, v1, v11, vcc_lo
	v_cndmask_b32_e64 v5, v5, v11, s6
	v_cmp_eq_u32_e64 s7, 6, v70
	v_cndmask_b32_e64 v6, v6, v15, s6
	v_cmp_eq_u32_e64 s6, 6, v72
	v_cmp_eq_u32_e64 s4, 6, v69
	v_cndmask_b32_e64 v1, v1, v4, s5
	v_cndmask_b32_e32 v2, v2, v15, vcc_lo
	v_cmp_eq_u32_e32 vcc_lo, 7, v71
	v_cndmask_b32_e64 v5, v5, v4, s7
	v_cndmask_b32_e64 v9, v9, v4, s6
	;; [unrolled: 1-line block ×3, first 2 shown]
	v_cmp_eq_u32_e64 s7, 7, v70
	v_cndmask_b32_e32 v1, v1, v12, vcc_lo
	v_cndmask_b32_e64 v7, v13, v4, s4
	v_cndmask_b32_e64 v3, v3, v8, s4
	;; [unrolled: 1-line block ×3, first 2 shown]
	v_cmp_eq_u32_e64 s4, 7, v69
	v_cndmask_b32_e64 v4, v10, v8, s6
	v_cndmask_b32_e64 v5, v5, v12, s7
	;; [unrolled: 1-line block ×3, first 2 shown]
	v_cndmask_b32_e32 v2, v2, v16, vcc_lo
	v_cndmask_b32_e64 v7, v7, v12, s4
	v_cndmask_b32_e64 v3, v3, v16, s4
	v_cndmask_b32_e64 v8, v4, v16, s8
	v_cndmask_b32_e64 v6, v6, v16, s7
	v_cmp_gt_u32_e32 vcc_lo, 32, v0
	v_perm_b32 v4, v2, v1, 0x5040100
	v_perm_b32 v3, v3, v7, 0x5040100
	;; [unrolled: 1-line block ×4, first 2 shown]
	s_and_b32 s2, vcc_lo, s2
	ds_store_b128 v74, v[1:4]
	s_waitcnt lgkmcnt(0)
	s_barrier
	buffer_gl0_inv
	s_and_saveexec_b32 s4, s2
	s_cbranch_execz .LBB1208_2
; %bb.15:
	s_load_b64 s[4:5], s[0:1], 0x68
	v_lshlrev_b32_e32 v0, 10, v0
	v_lshlrev_b32_e32 v1, 4, v67
	s_lshl_b32 s0, s36, 6
	v_add_nc_u32_e32 v7, s33, v66
	s_mul_i32 s1, s0, s34
	s_delay_alu instid0(SALU_CYCLE_1) | instskip(SKIP_1) | instid1(VALU_DEP_2)
	s_mul_i32 s6, s1, s9
	v_and_or_b32 v0, 0x3800, v0, v1
	v_mul_lo_u32 v1, v7, s0
	v_add_nc_u32_e32 v2, 2, v7
	s_ashr_i32 s7, s6, 31
	v_add_nc_u32_e32 v4, 4, v7
	s_lshl_b64 s[6:7], s[6:7], 1
	v_add_nc_u32_e32 v8, 6, v7
	v_mul_lo_u32 v3, v2, s0
	v_lshl_or_b32 v19, v66, 6, v0
	v_ashrrev_i32_e32 v2, 31, v1
	v_mul_lo_u32 v11, v4, s0
	v_mul_lo_u32 v25, v8, s0
	s_waitcnt lgkmcnt(0)
	s_add_u32 s1, s4, s6
	s_addc_u32 s2, s5, s7
	s_lshl_b32 s4, s14, 6
	v_lshlrev_b64 v[5:6], 1, v[1:2]
	s_ashr_i32 s5, s4, 31
	v_ashrrev_i32_e32 v4, 31, v3
	s_lshl_b64 s[4:5], s[4:5], 1
	v_ashrrev_i32_e32 v12, 31, v11
	s_add_u32 s1, s1, s4
	s_addc_u32 s2, s2, s5
	v_add_co_u32 v1, s1, s1, v65
	s_delay_alu instid0(VALU_DEP_1) | instskip(SKIP_1) | instid1(VALU_DEP_3)
	v_add_co_ci_u32_e64 v2, null, s2, 0, s1
	v_lshlrev_b64 v[3:4], 1, v[3:4]
	v_add_co_u32 v23, vcc_lo, v1, v5
	v_add_nc_u32_e32 v5, 8, v7
	s_delay_alu instid0(VALU_DEP_4) | instskip(NEXT) | instid1(VALU_DEP_4)
	v_add_co_ci_u32_e32 v24, vcc_lo, v2, v6, vcc_lo
	v_add_co_u32 v27, vcc_lo, v1, v3
	s_delay_alu instid0(VALU_DEP_3)
	v_mul_lo_u32 v29, v5, s0
	v_add_co_ci_u32_e32 v28, vcc_lo, v2, v4, vcc_lo
	ds_load_b128 v[3:6], v19
	ds_load_b128 v[7:10], v19 offset:128
	v_lshlrev_b64 v[31:32], 1, v[11:12]
	ds_load_b128 v[11:14], v19 offset:256
	ds_load_b128 v[15:18], v19 offset:384
	;; [unrolled: 1-line block ×3, first 2 shown]
	v_ashrrev_i32_e32 v26, 31, v25
	v_ashrrev_i32_e32 v30, 31, v29
	v_add_co_u32 v31, vcc_lo, v1, v31
	s_delay_alu instid0(VALU_DEP_3) | instskip(NEXT) | instid1(VALU_DEP_3)
	v_lshlrev_b64 v[25:26], 1, v[25:26]
	v_lshlrev_b64 v[29:30], 1, v[29:30]
	v_add_co_ci_u32_e32 v32, vcc_lo, v2, v32, vcc_lo
	s_delay_alu instid0(VALU_DEP_3) | instskip(NEXT) | instid1(VALU_DEP_4)
	v_add_co_u32 v25, vcc_lo, v1, v25
	v_add_co_ci_u32_e32 v26, vcc_lo, v2, v26, vcc_lo
	s_delay_alu instid0(VALU_DEP_4)
	v_add_co_u32 v29, vcc_lo, v1, v29
	v_add_co_ci_u32_e32 v30, vcc_lo, v2, v30, vcc_lo
	s_waitcnt lgkmcnt(4)
	global_store_b128 v[23:24], v[3:6], off
	s_waitcnt lgkmcnt(3)
	global_store_b128 v[27:28], v[7:10], off
	;; [unrolled: 2-line block ×5, first 2 shown]
	s_and_b32 exec_lo, exec_lo, s3
	s_cbranch_execz .LBB1208_2
; %bb.16:
	ds_load_b128 v[3:6], v0 offset:640
	s_add_i32 s1, s33, 10
	s_delay_alu instid0(SALU_CYCLE_1) | instskip(NEXT) | instid1(SALU_CYCLE_1)
	s_mul_i32 s0, s1, s0
	s_ashr_i32 s1, s0, 31
	s_delay_alu instid0(SALU_CYCLE_1) | instskip(NEXT) | instid1(SALU_CYCLE_1)
	s_lshl_b64 s[0:1], s[0:1], 1
	v_add_co_u32 v0, vcc_lo, v1, s0
	v_add_co_ci_u32_e32 v1, vcc_lo, s1, v2, vcc_lo
	s_waitcnt lgkmcnt(0)
	global_store_b128 v[0:1], v[3:6], off
	s_nop 0
	s_sendmsg sendmsg(MSG_DEALLOC_VGPRS)
	s_endpgm
	.section	.rodata,"a",@progbits
	.p2align	6, 0x0
	.amdhsa_kernel _Z39paged_attention_ll4mi_QKV_mfma16_kernelIDF16_hLN4vllm18Fp8KVCacheDataTypeE1EDF16_Li32ELi64ELi256ELb0ELi11EL8MFMAType0EEvPKT_PKT0_S8_ifPKiSA_SA_iPKfiiiPfSD_PS3_PT2_iSC_SC_
		.amdhsa_group_segment_fixed_size 17472
		.amdhsa_private_segment_fixed_size 0
		.amdhsa_kernarg_size 400
		.amdhsa_user_sgpr_count 13
		.amdhsa_user_sgpr_dispatch_ptr 0
		.amdhsa_user_sgpr_queue_ptr 0
		.amdhsa_user_sgpr_kernarg_segment_ptr 1
		.amdhsa_user_sgpr_dispatch_id 0
		.amdhsa_user_sgpr_private_segment_size 0
		.amdhsa_wavefront_size32 1
		.amdhsa_uses_dynamic_stack 0
		.amdhsa_enable_private_segment 0
		.amdhsa_system_sgpr_workgroup_id_x 1
		.amdhsa_system_sgpr_workgroup_id_y 1
		.amdhsa_system_sgpr_workgroup_id_z 1
		.amdhsa_system_sgpr_workgroup_info 0
		.amdhsa_system_vgpr_workitem_id 0
		.amdhsa_next_free_vgpr 146
		.amdhsa_next_free_sgpr 37
		.amdhsa_reserve_vcc 1
		.amdhsa_float_round_mode_32 0
		.amdhsa_float_round_mode_16_64 0
		.amdhsa_float_denorm_mode_32 3
		.amdhsa_float_denorm_mode_16_64 3
		.amdhsa_dx10_clamp 1
		.amdhsa_ieee_mode 1
		.amdhsa_fp16_overflow 0
		.amdhsa_workgroup_processor_mode 1
		.amdhsa_memory_ordered 1
		.amdhsa_forward_progress 0
		.amdhsa_shared_vgpr_count 0
		.amdhsa_exception_fp_ieee_invalid_op 0
		.amdhsa_exception_fp_denorm_src 0
		.amdhsa_exception_fp_ieee_div_zero 0
		.amdhsa_exception_fp_ieee_overflow 0
		.amdhsa_exception_fp_ieee_underflow 0
		.amdhsa_exception_fp_ieee_inexact 0
		.amdhsa_exception_int_div_zero 0
	.end_amdhsa_kernel
	.section	.text._Z39paged_attention_ll4mi_QKV_mfma16_kernelIDF16_hLN4vllm18Fp8KVCacheDataTypeE1EDF16_Li32ELi64ELi256ELb0ELi11EL8MFMAType0EEvPKT_PKT0_S8_ifPKiSA_SA_iPKfiiiPfSD_PS3_PT2_iSC_SC_,"axG",@progbits,_Z39paged_attention_ll4mi_QKV_mfma16_kernelIDF16_hLN4vllm18Fp8KVCacheDataTypeE1EDF16_Li32ELi64ELi256ELb0ELi11EL8MFMAType0EEvPKT_PKT0_S8_ifPKiSA_SA_iPKfiiiPfSD_PS3_PT2_iSC_SC_,comdat
.Lfunc_end1208:
	.size	_Z39paged_attention_ll4mi_QKV_mfma16_kernelIDF16_hLN4vllm18Fp8KVCacheDataTypeE1EDF16_Li32ELi64ELi256ELb0ELi11EL8MFMAType0EEvPKT_PKT0_S8_ifPKiSA_SA_iPKfiiiPfSD_PS3_PT2_iSC_SC_, .Lfunc_end1208-_Z39paged_attention_ll4mi_QKV_mfma16_kernelIDF16_hLN4vllm18Fp8KVCacheDataTypeE1EDF16_Li32ELi64ELi256ELb0ELi11EL8MFMAType0EEvPKT_PKT0_S8_ifPKiSA_SA_iPKfiiiPfSD_PS3_PT2_iSC_SC_
                                        ; -- End function
	.section	.AMDGPU.csdata,"",@progbits
; Kernel info:
; codeLenInByte = 6648
; NumSgprs: 39
; NumVgprs: 146
; ScratchSize: 0
; MemoryBound: 0
; FloatMode: 240
; IeeeMode: 1
; LDSByteSize: 17472 bytes/workgroup (compile time only)
; SGPRBlocks: 4
; VGPRBlocks: 18
; NumSGPRsForWavesPerEU: 39
; NumVGPRsForWavesPerEU: 146
; Occupancy: 9
; WaveLimiterHint : 1
; COMPUTE_PGM_RSRC2:SCRATCH_EN: 0
; COMPUTE_PGM_RSRC2:USER_SGPR: 13
; COMPUTE_PGM_RSRC2:TRAP_HANDLER: 0
; COMPUTE_PGM_RSRC2:TGID_X_EN: 1
; COMPUTE_PGM_RSRC2:TGID_Y_EN: 1
; COMPUTE_PGM_RSRC2:TGID_Z_EN: 1
; COMPUTE_PGM_RSRC2:TIDIG_COMP_CNT: 0
	.section	.text._Z39paged_attention_ll4mi_QKV_mfma16_kernelIDF16_hLN4vllm18Fp8KVCacheDataTypeE1EDF16_Li32ELi64ELi256ELb0ELi12EL8MFMAType0EEvPKT_PKT0_S8_ifPKiSA_SA_iPKfiiiPfSD_PS3_PT2_iSC_SC_,"axG",@progbits,_Z39paged_attention_ll4mi_QKV_mfma16_kernelIDF16_hLN4vllm18Fp8KVCacheDataTypeE1EDF16_Li32ELi64ELi256ELb0ELi12EL8MFMAType0EEvPKT_PKT0_S8_ifPKiSA_SA_iPKfiiiPfSD_PS3_PT2_iSC_SC_,comdat
	.protected	_Z39paged_attention_ll4mi_QKV_mfma16_kernelIDF16_hLN4vllm18Fp8KVCacheDataTypeE1EDF16_Li32ELi64ELi256ELb0ELi12EL8MFMAType0EEvPKT_PKT0_S8_ifPKiSA_SA_iPKfiiiPfSD_PS3_PT2_iSC_SC_ ; -- Begin function _Z39paged_attention_ll4mi_QKV_mfma16_kernelIDF16_hLN4vllm18Fp8KVCacheDataTypeE1EDF16_Li32ELi64ELi256ELb0ELi12EL8MFMAType0EEvPKT_PKT0_S8_ifPKiSA_SA_iPKfiiiPfSD_PS3_PT2_iSC_SC_
	.globl	_Z39paged_attention_ll4mi_QKV_mfma16_kernelIDF16_hLN4vllm18Fp8KVCacheDataTypeE1EDF16_Li32ELi64ELi256ELb0ELi12EL8MFMAType0EEvPKT_PKT0_S8_ifPKiSA_SA_iPKfiiiPfSD_PS3_PT2_iSC_SC_
	.p2align	8
	.type	_Z39paged_attention_ll4mi_QKV_mfma16_kernelIDF16_hLN4vllm18Fp8KVCacheDataTypeE1EDF16_Li32ELi64ELi256ELb0ELi12EL8MFMAType0EEvPKT_PKT0_S8_ifPKiSA_SA_iPKfiiiPfSD_PS3_PT2_iSC_SC_,@function
_Z39paged_attention_ll4mi_QKV_mfma16_kernelIDF16_hLN4vllm18Fp8KVCacheDataTypeE1EDF16_Li32ELi64ELi256ELb0ELi12EL8MFMAType0EEvPKT_PKT0_S8_ifPKiSA_SA_iPKfiiiPfSD_PS3_PT2_iSC_SC_: ; @_Z39paged_attention_ll4mi_QKV_mfma16_kernelIDF16_hLN4vllm18Fp8KVCacheDataTypeE1EDF16_Li32ELi64ELi256ELb0ELi12EL8MFMAType0EEvPKT_PKT0_S8_ifPKiSA_SA_iPKfiiiPfSD_PS3_PT2_iSC_SC_
; %bb.0:
	s_load_b64 s[2:3], s[0:1], 0x30
	s_mov_b32 s34, s13
	s_waitcnt lgkmcnt(0)
	s_cmp_lg_u64 s[2:3], 0
	s_cselect_b32 s6, -1, 0
	s_ashr_i32 s35, s13, 31
	s_cmp_eq_u64 s[2:3], 0
	s_cbranch_scc1 .LBB1209_3
; %bb.1:
	s_lshl_b64 s[4:5], s[34:35], 2
	s_delay_alu instid0(SALU_CYCLE_1) | instskip(SKIP_4) | instid1(SALU_CYCLE_1)
	s_add_u32 s4, s2, s4
	s_addc_u32 s5, s3, s5
	s_load_b64 s[4:5], s[4:5], 0x0
	s_waitcnt lgkmcnt(0)
	s_sub_i32 s4, s5, s4
	s_cmp_eq_u32 s4, 1
	s_cselect_b32 s4, -1, 0
	s_delay_alu instid0(SALU_CYCLE_1)
	s_and_not1_b32 vcc_lo, exec_lo, s4
	s_cbranch_vccz .LBB1209_4
.LBB1209_2:
	s_endpgm
.LBB1209_3:
.LBB1209_4:
	s_load_b64 s[8:9], s[0:1], 0x28
	s_lshl_b64 s[4:5], s[34:35], 2
	s_waitcnt lgkmcnt(0)
	s_add_u32 s8, s8, s4
	s_addc_u32 s9, s9, s5
	s_lshl_b32 s16, s14, 8
	s_load_b32 s18, s[8:9], 0x0
	s_waitcnt lgkmcnt(0)
	s_cmp_ge_i32 s16, s18
	s_cbranch_scc1 .LBB1209_2
; %bb.5:
	s_clause 0x1
	s_load_b128 s[8:11], s[0:1], 0x8
	s_load_b64 s[12:13], s[0:1], 0x20
	s_and_not1_b32 vcc_lo, exec_lo, s6
	s_cbranch_vccnz .LBB1209_7
; %bb.6:
	s_add_u32 s2, s2, s4
	s_addc_u32 s3, s3, s5
	s_load_b32 s3, s[2:3], 0x0
	s_branch .LBB1209_8
.LBB1209_7:
	s_mov_b32 s3, s34
.LBB1209_8:
	s_load_b128 s[4:7], s[0:1], 0x48
	v_and_b32_e32 v68, 15, v0
	v_cmp_gt_u32_e32 vcc_lo, 0xc0, v0
	v_lshrrev_b32_e32 v69, 5, v0
	v_and_b32_e32 v70, 31, v0
	v_and_b32_e32 v67, 1, v0
	v_lshlrev_b32_e32 v1, 3, v68
	v_cmp_gt_u32_e64 s2, 8, v68
	v_bfe_u32 v66, v0, 4, 1
	s_mul_i32 s31, s15, 12
	s_delay_alu instid0(VALU_DEP_3) | instskip(NEXT) | instid1(VALU_DEP_3)
	v_lshlrev_b32_e32 v65, 1, v1
	s_and_b32 s17, vcc_lo, s2
	s_waitcnt lgkmcnt(0)
	s_and_saveexec_b32 s7, s17
	s_cbranch_execz .LBB1209_10
; %bb.9:
	s_load_b64 s[20:21], s[0:1], 0x0
	v_lshl_or_b32 v5, v69, 1, v66
	s_mul_hi_i32 s23, s3, s4
	s_mul_i32 s22, s3, s4
	v_lshlrev_b32_e32 v6, 10, v68
	s_lshl_b64 s[22:23], s[22:23], 1
	v_add_lshl_u32 v1, v5, s31, 6
	v_lshlrev_b32_e32 v5, 6, v5
	v_lshlrev_b32_e32 v7, 10, v67
	v_and_b32_e32 v6, 0x3800, v6
	s_delay_alu instid0(VALU_DEP_4) | instskip(NEXT) | instid1(VALU_DEP_2)
	v_ashrrev_i32_e32 v2, 31, v1
	v_or3_b32 v5, v6, v7, v5
	s_delay_alu instid0(VALU_DEP_2) | instskip(SKIP_3) | instid1(VALU_DEP_1)
	v_lshlrev_b64 v[1:2], 1, v[1:2]
	s_waitcnt lgkmcnt(0)
	s_add_u32 s3, s20, s22
	s_addc_u32 s4, s21, s23
	v_add_co_u32 v1, vcc_lo, s3, v1
	s_delay_alu instid0(VALU_DEP_2) | instskip(NEXT) | instid1(VALU_DEP_2)
	v_add_co_ci_u32_e32 v2, vcc_lo, s4, v2, vcc_lo
	v_add_co_u32 v1, vcc_lo, v1, v65
	s_delay_alu instid0(VALU_DEP_2)
	v_add_co_ci_u32_e32 v2, vcc_lo, 0, v2, vcc_lo
	global_load_b128 v[1:4], v[1:2], off
	s_waitcnt vmcnt(0)
	ds_store_b128 v5, v[1:4]
.LBB1209_10:
	s_or_b32 exec_lo, exec_lo, s7
	v_and_b32_e32 v1, 0xef, v0
	s_add_i32 s3, s18, 31
	s_clause 0x1
	s_load_b32 s4, s[0:1], 0x38
	s_load_b32 s33, s[0:1], 0x98
	s_ashr_i32 s7, s3, 31
	v_add_nc_u32_e32 v1, s16, v1
	s_lshr_b32 s7, s7, 27
	s_load_b32 s19, s[0:1], 0x1c
	v_add_nc_u32_e32 v103, -12, v68
	s_add_i32 s3, s3, s7
	v_ashrrev_i32_e32 v2, 31, v1
	v_or_b32_e32 v3, 16, v1
	s_ashr_i32 s3, s3, 5
	v_cmp_gt_i32_e32 vcc_lo, s18, v1
	s_add_i32 s3, s3, -1
	v_lshrrev_b32_e32 v2, 27, v2
	s_waitcnt lgkmcnt(0)
	s_barrier
	buffer_gl0_inv
	s_mul_i32 s15, s15, s6
	v_add_nc_u32_e32 v4, v1, v2
	v_mbcnt_lo_u32_b32 v127, -1, 0
	s_mul_i32 s20, s34, s4
	s_delay_alu instid0(SALU_CYCLE_1) | instskip(NEXT) | instid1(VALU_DEP_2)
	s_ashr_i32 s21, s20, 31
	v_ashrrev_i32_e32 v4, 5, v4
	v_add_nc_u32_e32 v2, v3, v2
	s_lshl_b64 s[20:21], s[20:21], 2
	v_xor_b32_e32 v128, 16, v127
	s_add_u32 s17, s12, s20
	v_cndmask_b32_e32 v1, s3, v4, vcc_lo
	v_ashrrev_i32_e32 v2, 5, v2
	v_cmp_gt_i32_e32 vcc_lo, s18, v3
	s_addc_u32 s13, s13, s21
	s_ashr_i32 s20, s15, 31
	s_add_u32 s22, s8, s15
	s_addc_u32 s23, s9, s20
	v_cndmask_b32_e32 v3, s3, v2, vcc_lo
	v_ashrrev_i32_e32 v2, 31, v1
	s_lshl_b32 s6, s14, 3
	s_delay_alu instid0(SALU_CYCLE_1) | instskip(NEXT) | instid1(VALU_DEP_2)
	s_ashr_i32 s7, s6, 31
	v_ashrrev_i32_e32 v4, 31, v3
	s_delay_alu instid0(VALU_DEP_2) | instskip(SKIP_1) | instid1(SALU_CYCLE_1)
	v_lshlrev_b64 v[1:2], 2, v[1:2]
	s_lshl_b64 s[6:7], s[6:7], 2
	s_add_u32 s6, s17, s6
	s_delay_alu instid0(VALU_DEP_2) | instskip(SKIP_1) | instid1(VALU_DEP_2)
	v_lshlrev_b64 v[3:4], 2, v[3:4]
	s_addc_u32 s7, s13, s7
	v_add_co_u32 v1, vcc_lo, s17, v1
	v_add_co_ci_u32_e32 v2, vcc_lo, s13, v2, vcc_lo
	s_delay_alu instid0(VALU_DEP_3) | instskip(NEXT) | instid1(VALU_DEP_4)
	v_add_co_u32 v3, vcc_lo, s17, v3
	v_add_co_ci_u32_e32 v4, vcc_lo, s13, v4, vcc_lo
	s_clause 0x1
	global_load_b32 v5, v[1:2], off
	global_load_b32 v6, v[3:4], off
	s_or_b32 s4, s16, 32
	s_delay_alu instid0(SALU_CYCLE_1) | instskip(SKIP_2) | instid1(SALU_CYCLE_1)
	s_ashr_i32 s8, s4, 5
	s_cmp_lt_i32 s4, s18
	s_cselect_b32 s8, s8, s3
	s_ashr_i32 s9, s8, 31
	s_delay_alu instid0(SALU_CYCLE_1) | instskip(NEXT) | instid1(SALU_CYCLE_1)
	s_lshl_b64 s[8:9], s[8:9], 2
	s_add_u32 s8, s17, s8
	s_addc_u32 s9, s13, s9
	s_or_b32 s4, s16, 64
	s_delay_alu instid0(SALU_CYCLE_1) | instskip(SKIP_2) | instid1(SALU_CYCLE_1)
	s_ashr_i32 s12, s4, 5
	s_cmp_lt_i32 s4, s18
	s_cselect_b32 s24, s12, s3
	s_ashr_i32 s25, s24, 31
	s_delay_alu instid0(SALU_CYCLE_1) | instskip(NEXT) | instid1(SALU_CYCLE_1)
	s_lshl_b64 s[24:25], s[24:25], 2
	s_add_u32 s24, s17, s24
	s_addc_u32 s25, s13, s25
	;; [unrolled: 10-line block ×5, first 2 shown]
	s_clause 0x5
	s_load_b32 s12, s[6:7], 0x0
	s_load_b32 s4, s[8:9], 0x0
	;; [unrolled: 1-line block ×6, first 2 shown]
	s_or_b32 s21, s16, 0xc0
	s_waitcnt vmcnt(1)
	v_mad_i64_i32 v[1:2], null, v5, s5, s[22:23]
	v_lshlrev_b32_e32 v5, 4, v68
	s_waitcnt vmcnt(0)
	v_mad_i64_i32 v[3:4], null, v6, s5, s[22:23]
	s_ashr_i32 s22, s21, 5
	s_cmp_lt_i32 s21, s18
	s_delay_alu instid0(VALU_DEP_3) | instskip(NEXT) | instid1(VALU_DEP_4)
	v_add_co_u32 v1, vcc_lo, v1, v5
	v_add_co_ci_u32_e32 v2, vcc_lo, 0, v2, vcc_lo
	s_delay_alu instid0(VALU_DEP_3) | instskip(NEXT) | instid1(VALU_DEP_4)
	v_add_co_u32 v3, vcc_lo, v3, v5
	v_add_co_ci_u32_e32 v4, vcc_lo, 0, v4, vcc_lo
	s_clause 0x7
	global_load_b128 v[71:74], v[1:2], off
	global_load_b128 v[75:78], v[1:2], off offset:512
	global_load_b128 v[79:82], v[3:4], off offset:256
	;; [unrolled: 1-line block ×7, first 2 shown]
	s_cselect_b32 s22, s22, s3
	v_lshlrev_b32_e32 v1, 5, v68
	s_ashr_i32 s23, s22, 31
	v_cmp_gt_u32_e32 vcc_lo, 12, v68
	s_lshl_b64 s[22:23], s[22:23], 2
	s_delay_alu instid0(SALU_CYCLE_1)
	s_add_u32 s22, s17, s22
	s_addc_u32 s23, s13, s23
	s_or_b32 s21, s16, 0xe0
	v_lshl_or_b32 v1, v69, 9, v1
	s_ashr_i32 s24, s21, 5
	s_cmp_lt_i32 s21, s18
	v_cndmask_b32_e32 v103, v103, v68, vcc_lo
	s_cselect_b32 s24, s24, s3
	s_load_b32 s3, s[22:23], 0x0
	s_ashr_i32 s25, s24, 31
	v_cmp_gt_i32_e32 vcc_lo, 32, v128
	s_lshl_b64 s[24:25], s[24:25], 2
	v_lshlrev_b32_e32 v115, 6, v103
	s_add_u32 s22, s17, s24
	s_addc_u32 s23, s13, s25
	v_cndmask_b32_e32 v136, v127, v128, vcc_lo
	s_add_u32 s10, s10, s15
	s_addc_u32 s11, s11, s20
	v_add_co_u32 v1, s10, s10, v1
	s_delay_alu instid0(VALU_DEP_1) | instskip(SKIP_2) | instid1(VALU_DEP_1)
	v_add_co_ci_u32_e64 v2, null, s11, 0, s10
	s_load_b32 s10, s[22:23], 0x0
	s_waitcnt lgkmcnt(0)
	v_mad_i64_i32 v[3:4], null, s12, s5, v[1:2]
	v_mad_i64_i32 v[9:10], null, s7, s5, v[1:2]
	v_mad_i64_i32 v[5:6], null, s4, s5, v[1:2]
	v_mad_i64_i32 v[13:14], null, s8, s5, v[1:2]
	v_mad_i64_i32 v[7:8], null, s6, s5, v[1:2]
	v_mad_i64_i32 v[21:22], null, s9, s5, v[1:2]
	v_mad_i64_i32 v[29:30], null, s3, s5, v[1:2]
	s_clause 0x5
	global_load_b128 v[49:52], v[3:4], off
	global_load_b128 v[53:56], v[3:4], off offset:16
	global_load_b128 v[41:44], v[5:6], off
	global_load_b128 v[45:48], v[5:6], off offset:16
	;; [unrolled: 2-line block ×3, first 2 shown]
	s_mov_b32 s4, 0
	v_mad_i64_i32 v[61:62], null, s10, s5, v[1:2]
	s_clause 0x9
	global_load_b128 v[1:4], v[9:10], off
	global_load_b128 v[5:8], v[9:10], off offset:16
	global_load_b128 v[9:12], v[13:14], off
	global_load_b128 v[13:16], v[13:14], off offset:16
	global_load_b128 v[17:20], v[21:22], off
	global_load_b128 v[21:24], v[21:22], off offset:16
	global_load_b128 v[25:28], v[29:30], off
	global_load_b128 v[29:32], v[29:30], off offset:16
	global_load_b128 v[57:60], v[61:62], off
	global_load_b128 v[61:64], v[61:62], off offset:16
	s_mov_b32 s5, s4
	s_mov_b32 s6, s4
	;; [unrolled: 1-line block ×7, first 2 shown]
	v_and_b32_e32 v104, 0xe0, v0
	v_dual_mov_b32 v126, s11 :: v_dual_mov_b32 v125, s10
	v_dual_mov_b32 v124, s9 :: v_dual_mov_b32 v123, s8
	s_delay_alu instid0(VALU_DEP_3)
	v_add_nc_u32_e32 v111, s16, v104
	ds_load_b128 v[103:106], v115
	ds_load_b128 v[107:110], v115 offset:1024
	v_dual_mov_b32 v122, s7 :: v_dual_mov_b32 v121, s6
	v_mov_b32_e32 v120, s5
	v_or_b32_e32 v135, v111, v66
	ds_load_b128 v[111:114], v115 offset:2048
	ds_load_b128 v[115:118], v115 offset:3072
	v_mov_b32_e32 v119, s4
	s_waitcnt vmcnt(0) lgkmcnt(0)
	s_barrier
	v_or_b32_e32 v137, 2, v135
	v_or_b32_e32 v138, 4, v135
	;; [unrolled: 1-line block ×3, first 2 shown]
	v_cmp_gt_i32_e32 vcc_lo, s18, v135
	v_or_b32_e32 v140, 8, v135
	v_cmp_gt_i32_e64 s3, s18, v137
	v_or_b32_e32 v141, 10, v135
	v_cmp_gt_i32_e64 s4, s18, v138
	v_cmp_gt_i32_e64 s5, s18, v139
	v_or_b32_e32 v142, 12, v135
	v_or_b32_e32 v143, 14, v135
	v_cmp_gt_i32_e64 s6, s18, v140
	v_cmp_gt_i32_e64 s7, s18, v141
	v_or_b32_e32 v144, 16, v135
	v_or_b32_e32 v145, 18, v135
	v_cmp_gt_i32_e64 s8, s18, v142
	v_cmp_gt_i32_e64 s9, s18, v143
	buffer_gl0_inv
	v_cmp_gt_i32_e64 s10, s18, v144
	v_cmp_gt_i32_e64 s11, s18, v145
	v_wmma_f32_16x16x16_f16 v[127:134], v[71:78], v[103:110], v[119:126]
	v_wmma_f32_16x16x16_f16 v[119:126], v[79:86], v[103:110], v[119:126]
	v_or_b32_e32 v71, 20, v135
	v_or_b32_e32 v72, 22, v135
	s_delay_alu instid0(VALU_DEP_4)
	v_wmma_f32_16x16x16_f16 v[127:134], v[87:94], v[111:118], v[127:134]
	v_or_b32_e32 v73, 24, v135
	v_wmma_f32_16x16x16_f16 v[119:126], v[95:102], v[111:118], v[119:126]
	v_or_b32_e32 v74, 26, v135
	v_cmp_gt_i32_e64 s12, s18, v71
	v_dual_mul_f32 v83, s19, v128 :: v_dual_mul_f32 v84, s19, v127
	s_delay_alu instid0(VALU_DEP_4) | instskip(SKIP_1) | instid1(VALU_DEP_3)
	v_dual_mul_f32 v81, s19, v130 :: v_dual_mul_f32 v92, s19, v119
	v_mul_f32_e32 v82, s19, v129
	v_cndmask_b32_e64 v83, 0xff7fffff, v83, s3
	s_delay_alu instid0(VALU_DEP_4)
	v_cndmask_b32_e32 v84, 0xff7fffff, v84, vcc_lo
	v_dual_mul_f32 v79, s19, v132 :: v_dual_mul_f32 v90, s19, v121
	v_mul_f32_e32 v80, s19, v131
	v_cndmask_b32_e64 v82, 0xff7fffff, v82, s4
	v_cndmask_b32_e64 v81, 0xff7fffff, v81, s5
	v_max3_f32 v83, v84, 0xff7fffff, v83
	v_dual_mul_f32 v77, s19, v134 :: v_dual_mul_f32 v88, s19, v123
	v_mul_f32_e32 v78, s19, v133
	v_cndmask_b32_e64 v80, 0xff7fffff, v80, s6
	v_cndmask_b32_e64 v79, 0xff7fffff, v79, s7
	v_max3_f32 v81, v83, v82, v81
	v_mul_f32_e32 v91, s19, v120
	v_cndmask_b32_e64 v78, 0xff7fffff, v78, s8
	v_cndmask_b32_e64 v77, 0xff7fffff, v77, s9
	v_mul_f32_e32 v89, s19, v122
	v_max3_f32 v79, v81, v80, v79
	v_cndmask_b32_e64 v80, 0xff7fffff, v92, s10
	v_cndmask_b32_e64 v81, 0xff7fffff, v91, s11
	v_cmp_gt_i32_e64 s13, s18, v72
	v_or_b32_e32 v75, 28, v135
	v_max3_f32 v77, v79, v78, v77
	v_or_b32_e32 v76, 30, v135
	v_mul_f32_e32 v87, s19, v124
	v_cndmask_b32_e64 v71, 0xff7fffff, v90, s12
	v_cndmask_b32_e64 v72, 0xff7fffff, v89, s13
	v_max3_f32 v77, v77, v80, v81
	v_cmp_gt_i32_e64 s15, s18, v73
	v_cmp_gt_i32_e64 s16, s18, v74
	v_dual_mul_f32 v85, s19, v126 :: v_dual_mul_f32 v86, s19, v125
	s_delay_alu instid0(VALU_DEP_4) | instskip(NEXT) | instid1(VALU_DEP_4)
	v_max3_f32 v71, v77, v71, v72
	v_cndmask_b32_e64 v73, 0xff7fffff, v88, s15
	s_delay_alu instid0(VALU_DEP_4) | instskip(SKIP_2) | instid1(VALU_DEP_3)
	v_cndmask_b32_e64 v74, 0xff7fffff, v87, s16
	v_cmp_gt_i32_e64 s17, s18, v75
	v_cmp_gt_i32_e64 s18, s18, v76
	v_max3_f32 v71, v71, v73, v74
	s_delay_alu instid0(VALU_DEP_3) | instskip(NEXT) | instid1(VALU_DEP_3)
	v_cndmask_b32_e64 v72, 0xff7fffff, v86, s17
	v_cndmask_b32_e64 v75, 0xff7fffff, v85, s18
	v_lshlrev_b32_e32 v73, 2, v136
	s_delay_alu instid0(VALU_DEP_2) | instskip(SKIP_3) | instid1(VALU_DEP_1)
	v_max3_f32 v71, v71, v72, v75
	ds_bpermute_b32 v72, v73, v71
	s_waitcnt lgkmcnt(0)
	v_max_f32_e32 v72, v72, v72
	v_max_f32_e32 v71, v71, v72
	s_delay_alu instid0(VALU_DEP_1)
	v_fma_f32 v72, s19, v127, -v71
	v_fma_f32 v74, s19, v128, -v71
	;; [unrolled: 1-line block ×5, first 2 shown]
	v_mul_f32_e32 v72, 0x3fb8aa3b, v72
	v_mul_f32_e32 v74, 0x3fb8aa3b, v74
	v_fma_f32 v80, s19, v133, -v71
	s_delay_alu instid0(VALU_DEP_4) | instskip(NEXT) | instid1(VALU_DEP_4)
	v_dual_mul_f32 v76, 0x3fb8aa3b, v76 :: v_dual_mul_f32 v77, 0x3fb8aa3b, v77
	v_exp_f32_e32 v72, v72
	s_delay_alu instid0(VALU_DEP_3) | instskip(NEXT) | instid1(VALU_DEP_2)
	v_exp_f32_e32 v74, v74
	v_mul_f32_e32 v82, 0x3fb8aa3b, v80
	s_delay_alu instid0(VALU_DEP_2) | instskip(SKIP_1) | instid1(VALU_DEP_1)
	v_exp_f32_e32 v76, v76
	v_exp_f32_e32 v77, v77
	;; [unrolled: 1-line block ×3, first 2 shown]
	v_cndmask_b32_e32 v79, 0, v72, vcc_lo
	v_fma_f32 v72, s19, v132, -v71
	v_mul_f32_e32 v75, 0x3fb8aa3b, v75
	v_cndmask_b32_e64 v78, 0, v74, s3
	s_delay_alu instid0(TRANS32_DEP_3)
	v_cndmask_b32_e64 v80, 0, v76, s5
	v_add_f32_e32 v74, 0, v79
	v_mul_f32_e32 v72, 0x3fb8aa3b, v72
	v_exp_f32_e32 v75, v75
	v_cndmask_b32_e64 v83, 0, v77, s6
	v_cndmask_b32_e64 v85, 0, v84, s8
	v_add_f32_e32 v74, v74, v78
	v_exp_f32_e32 v72, v72
	s_mov_b32 s3, exec_lo
	s_waitcnt_depctr 0xfff
	v_cndmask_b32_e64 v81, 0, v75, s4
	v_cndmask_b32_e64 v82, 0, v72, s7
	s_delay_alu instid0(VALU_DEP_2) | instskip(NEXT) | instid1(VALU_DEP_1)
	v_add_f32_e32 v74, v74, v81
	v_add_f32_e32 v74, v74, v80
	s_delay_alu instid0(VALU_DEP_1) | instskip(SKIP_4) | instid1(VALU_DEP_4)
	v_add_f32_e32 v72, v74, v83
	v_fma_f32 v75, s19, v134, -v71
	v_fma_f32 v76, s19, v119, -v71
	;; [unrolled: 1-line block ×4, first 2 shown]
	v_dual_add_f32 v72, v72, v82 :: v_dual_mul_f32 v75, 0x3fb8aa3b, v75
	s_delay_alu instid0(VALU_DEP_3) | instskip(SKIP_1) | instid1(VALU_DEP_3)
	v_dual_mul_f32 v76, 0x3fb8aa3b, v76 :: v_dual_mul_f32 v77, 0x3fb8aa3b, v77
	v_fma_f32 v86, s19, v122, -v71
	v_add_f32_e32 v72, v72, v85
	s_delay_alu instid0(VALU_DEP_4) | instskip(NEXT) | instid1(VALU_DEP_3)
	v_exp_f32_e32 v75, v75
	v_exp_f32_e32 v76, v76
	;; [unrolled: 1-line block ×3, first 2 shown]
	v_mul_f32_e32 v86, 0x3fb8aa3b, v86
	s_delay_alu instid0(VALU_DEP_1) | instskip(SKIP_3) | instid1(TRANS32_DEP_3)
	v_exp_f32_e32 v88, v86
	v_cndmask_b32_e64 v84, 0, v75, s9
	v_fma_f32 v75, s19, v123, -v71
	v_mul_f32_e32 v74, 0x3fb8aa3b, v74
	v_cndmask_b32_e64 v87, 0, v76, s10
	v_fma_f32 v76, s19, v124, -v71
	s_delay_alu instid0(VALU_DEP_4) | instskip(NEXT) | instid1(VALU_DEP_4)
	v_dual_add_f32 v72, v72, v84 :: v_dual_mul_f32 v75, 0x3fb8aa3b, v75
	v_exp_f32_e32 v74, v74
	v_cndmask_b32_e64 v86, 0, v77, s11
	v_fma_f32 v77, s19, v125, -v71
	s_delay_alu instid0(VALU_DEP_3) | instskip(SKIP_3) | instid1(VALU_DEP_3)
	v_add_f32_e32 v72, v72, v87
	v_mul_f32_e32 v76, 0x3fb8aa3b, v76
	v_exp_f32_e32 v75, v75
	v_cndmask_b32_e64 v88, 0, v88, s13
	v_add_f32_e32 v72, v72, v86
	s_delay_alu instid0(VALU_DEP_3) | instskip(NEXT) | instid1(TRANS32_DEP_3)
	v_exp_f32_e32 v76, v76
	v_cndmask_b32_e64 v89, 0, v74, s12
	v_mul_f32_e32 v74, 0x3fb8aa3b, v77
	v_fma_f32 v77, s19, v126, -v71
	s_delay_alu instid0(VALU_DEP_3) | instskip(NEXT) | instid1(VALU_DEP_3)
	v_add_f32_e32 v72, v72, v89
	v_exp_f32_e32 v74, v74
	s_delay_alu instid0(TRANS32_DEP_3) | instskip(NEXT) | instid1(VALU_DEP_3)
	v_cndmask_b32_e64 v91, 0, v75, s15
	v_mul_f32_e32 v75, 0x3fb8aa3b, v77
	s_delay_alu instid0(TRANS32_DEP_2) | instskip(SKIP_1) | instid1(VALU_DEP_3)
	v_cndmask_b32_e64 v90, 0, v76, s16
	v_add_f32_e32 v72, v72, v88
	v_exp_f32_e32 v75, v75
	s_delay_alu instid0(VALU_DEP_1) | instskip(NEXT) | instid1(TRANS32_DEP_2)
	v_add_f32_e32 v72, v72, v91
	v_cndmask_b32_e64 v93, 0, v74, s17
	s_delay_alu instid0(VALU_DEP_2) | instskip(SKIP_3) | instid1(VALU_DEP_1)
	v_add_f32_e32 v72, v72, v90
	s_waitcnt_depctr 0xfff
	v_cndmask_b32_e64 v92, 0, v75, s18
	v_add_f32_e32 v72, v72, v93
	v_add_f32_e32 v72, v72, v92
	ds_bpermute_b32 v73, v73, v72
	v_cmpx_gt_u32_e32 16, v70
	s_cbranch_execz .LBB1209_12
; %bb.11:
	v_mul_u32_u24_e32 v70, 0x44, v69
	s_waitcnt lgkmcnt(0)
	v_add_f32_e32 v72, v72, v73
	s_delay_alu instid0(VALU_DEP_2) | instskip(NEXT) | instid1(VALU_DEP_1)
	v_lshl_add_u32 v70, v68, 2, v70
	v_add_nc_u32_e32 v70, 0x4000, v70
	ds_store_2addr_b32 v70, v71, v72 offset1:136
.LBB1209_12:
	s_or_b32 exec_lo, exec_lo, s3
	v_lshlrev_b32_e32 v70, 2, v68
	s_load_b32 s35, s[0:1], 0x94
	s_waitcnt lgkmcnt(0)
	s_barrier
	buffer_gl0_inv
	v_add_nc_u32_e32 v98, 0x4000, v70
	v_cmp_eq_u32_e32 vcc_lo, 1, v69
	v_cmp_eq_u32_e64 s3, 2, v69
	v_cmp_eq_u32_e64 s4, 3, v69
	;; [unrolled: 1-line block ×3, first 2 shown]
	ds_load_2addr_b32 v[70:71], v98 offset1:17
	ds_load_2addr_b32 v[72:73], v98 offset0:34 offset1:51
	ds_load_2addr_b32 v[74:75], v98 offset0:68 offset1:85
	;; [unrolled: 1-line block ×3, first 2 shown]
	v_cmp_eq_u32_e64 s6, 5, v69
	v_cmp_eq_u32_e64 s7, 7, v69
	s_waitcnt lgkmcnt(3)
	v_max3_f32 v76, v70, 0xff7fffff, v71
	s_waitcnt lgkmcnt(2)
	s_delay_alu instid0(VALU_DEP_1) | instskip(SKIP_1) | instid1(VALU_DEP_1)
	v_max3_f32 v76, v76, v72, v73
	s_waitcnt lgkmcnt(1)
	v_max3_f32 v76, v76, v74, v75
	s_waitcnt lgkmcnt(0)
	s_delay_alu instid0(VALU_DEP_1) | instskip(NEXT) | instid1(VALU_DEP_1)
	v_max3_f32 v76, v76, v94, v95
	v_sub_f32_e32 v77, v71, v76
	ds_load_2addr_b32 v[96:97], v98 offset0:136 offset1:153
	v_sub_f32_e32 v74, v74, v76
	v_sub_f32_e32 v70, v70, v76
	;; [unrolled: 1-line block ×3, first 2 shown]
	v_dual_sub_f32 v72, v72, v76 :: v_dual_mul_f32 v77, 0x3fb8aa3b, v77
	s_delay_alu instid0(VALU_DEP_4) | instskip(NEXT) | instid1(VALU_DEP_4)
	v_mul_f32_e32 v103, 0x3fb8aa3b, v74
	v_mul_f32_e32 v99, 0x3fb8aa3b, v70
	ds_load_2addr_b32 v[70:71], v98 offset0:170 offset1:187
	v_dual_mul_f32 v101, 0x3fb8aa3b, v72 :: v_dual_mul_f32 v94, 0x3fb8aa3b, v94
	v_exp_f32_e32 v102, v77
	v_exp_f32_e32 v99, v99
	s_delay_alu instid0(VALU_DEP_1) | instskip(NEXT) | instid1(VALU_DEP_1)
	v_exp_f32_e32 v101, v101
	v_exp_f32_e32 v94, v94
	s_waitcnt lgkmcnt(1)
	s_delay_alu instid0(TRANS32_DEP_3)
	v_fma_f32 v77, v99, v96, 0
	v_sub_f32_e32 v100, v73, v76
	ds_load_2addr_b32 v[72:73], v98 offset0:204 offset1:221
	v_fmac_f32_e32 v77, v102, v97
	v_exp_f32_e32 v97, v103
	s_waitcnt lgkmcnt(1)
	s_delay_alu instid0(VALU_DEP_1)
	v_dual_fmac_f32 v77, v101, v70 :: v_dual_sub_f32 v96, v75, v76
	ds_load_2addr_b32 v[74:75], v98 offset0:238 offset1:255
	v_sub_f32_e32 v70, v95, v76
	s_waitcnt lgkmcnt(0)
	s_barrier
	v_mul_f32_e32 v96, 0x3fb8aa3b, v96
	buffer_gl0_inv
	v_exp_f32_e32 v95, v96
	v_mul_f32_e32 v100, 0x3fb8aa3b, v100
	s_delay_alu instid0(VALU_DEP_1) | instskip(SKIP_3) | instid1(VALU_DEP_2)
	v_exp_f32_e32 v100, v100
	s_waitcnt_depctr 0xfff
	v_dual_fmac_f32 v77, v100, v71 :: v_dual_mul_f32 v70, 0x3fb8aa3b, v70
	v_cndmask_b32_e32 v71, v99, v102, vcc_lo
	v_fmac_f32_e32 v77, v97, v72
	s_delay_alu instid0(VALU_DEP_3) | instskip(NEXT) | instid1(VALU_DEP_1)
	v_exp_f32_e32 v96, v70
	v_fmac_f32_e32 v77, v95, v73
	s_delay_alu instid0(VALU_DEP_1) | instskip(SKIP_2) | instid1(VALU_DEP_1)
	v_fmac_f32_e32 v77, v94, v74
	s_waitcnt_depctr 0xfff
	v_fmac_f32_e32 v77, v96, v75
	v_add_f32_e32 v74, 0x358637bd, v77
	s_delay_alu instid0(VALU_DEP_1) | instskip(SKIP_1) | instid1(VALU_DEP_2)
	v_div_scale_f32 v98, null, v74, v74, 1.0
	v_div_scale_f32 v99, vcc_lo, 1.0, v74, 1.0
	v_rcp_f32_e32 v103, v98
	s_waitcnt_depctr 0xfff
	v_fma_f32 v70, -v98, v103, 1.0
	s_delay_alu instid0(VALU_DEP_1) | instskip(SKIP_2) | instid1(VALU_DEP_2)
	v_fmac_f32_e32 v103, v70, v103
	v_cndmask_b32_e64 v70, v71, v101, s3
	v_cmp_eq_u32_e64 s3, 6, v69
	v_cndmask_b32_e64 v71, v70, v100, s4
	s_delay_alu instid0(VALU_DEP_4) | instskip(NEXT) | instid1(VALU_DEP_2)
	v_dual_mul_f32 v101, v99, v103 :: v_dual_lshlrev_b32 v70, 2, v66
	v_cndmask_b32_e64 v71, v71, v97, s5
	s_delay_alu instid0(VALU_DEP_2) | instskip(NEXT) | instid1(VALU_DEP_3)
	v_or_b32_e32 v72, 1, v70
	v_fma_f32 v100, -v98, v101, v99
	v_cmp_eq_u32_e64 s4, 1, v70
	v_cmp_eq_u32_e64 s5, 2, v70
	v_cndmask_b32_e64 v95, v71, v95, s6
	v_or_b32_e32 v71, 3, v70
	v_fmac_f32_e32 v101, v100, v103
	v_cmp_eq_u32_e64 s9, 1, v72
	v_cmp_eq_u32_e64 s12, 2, v72
	v_cndmask_b32_e64 v94, v95, v94, s3
	v_cmp_eq_u32_e64 s11, 1, v71
	v_fma_f32 v97, -v98, v101, v99
	v_cmp_eq_u32_e64 s16, 2, v71
	v_cmp_eq_u32_e64 s13, 3, v72
	v_cndmask_b32_e64 v94, v94, v96, s7
	v_cmp_eq_u32_e64 s18, 3, v71
	v_div_fmas_f32 v95, v97, v103, v101
	v_cmp_eq_u32_e32 vcc_lo, 3, v70
	v_cmp_eq_u32_e64 s3, 4, v70
	v_cmp_eq_u32_e64 s19, 4, v72
	;; [unrolled: 1-line block ×3, first 2 shown]
	v_div_fixup_f32 v95, v95, v74, 1.0
	v_lshlrev_b32_e32 v73, 6, v68
	v_cmp_eq_u32_e64 s6, 5, v70
	v_cmp_eq_u32_e64 s20, 5, v72
	;; [unrolled: 1-line block ×3, first 2 shown]
	v_mul_f32_e32 v102, v94, v95
	v_lshl_or_b32 v75, v69, 11, v73
	v_or_b32_e32 v69, 2, v70
	v_cmp_eq_u32_e64 s25, 6, v72
	v_cmp_eq_u32_e64 s27, 6, v71
	v_fma_mixlo_f16 v94, v102, v79, 0
	v_fma_mixlo_f16 v95, v102, v81, 0
	;; [unrolled: 1-line block ×8, first 2 shown]
	v_lshl_or_b32 v74, v66, 4, v75
	v_fma_mixhi_f16 v94, v102, v78, 0
	v_fma_mixhi_f16 v95, v102, v80, 0
	;; [unrolled: 1-line block ×8, first 2 shown]
	ds_store_b128 v74, v[94:97]
	ds_store_b128 v74, v[98:101] offset:1024
	s_waitcnt lgkmcnt(0)
	s_barrier
	buffer_gl0_inv
	ds_load_b128 v[78:81], v75
	ds_load_b128 v[82:85], v75 offset:16
	ds_load_b128 v[86:89], v75 offset:1024
	;; [unrolled: 1-line block ×3, first 2 shown]
	v_cmp_eq_u32_e64 s10, 1, v69
	v_cmp_eq_u32_e64 s15, 2, v69
	;; [unrolled: 1-line block ×11, first 2 shown]
	s_waitcnt lgkmcnt(3)
	v_lshrrev_b32_e32 v94, 16, v78
	s_waitcnt lgkmcnt(2)
	v_lshrrev_b32_e32 v98, 16, v82
	;; [unrolled: 2-line block ×4, first 2 shown]
	v_lshrrev_b32_e32 v95, 16, v79
	v_cndmask_b32_e64 v110, v78, v94, s4
	v_cndmask_b32_e64 v111, v82, v98, s4
	;; [unrolled: 1-line block ×8, first 2 shown]
	v_lshrrev_b32_e32 v99, 16, v83
	v_cndmask_b32_e64 v94, v86, v102, s4
	v_cndmask_b32_e64 v98, v90, v106, s4
	;; [unrolled: 1-line block ×15, first 2 shown]
	v_lshrrev_b32_e32 v103, 16, v87
	v_lshrrev_b32_e32 v107, 16, v91
	v_cndmask_b32_e64 v113, v115, v83, s15
	v_cndmask_b32_e64 v82, v94, v87, s5
	;; [unrolled: 1-line block ×7, first 2 shown]
	v_cndmask_b32_e32 v90, v102, v95, vcc_lo
	v_cndmask_b32_e32 v102, v106, v99, vcc_lo
	v_cndmask_b32_e64 v106, v110, v95, s13
	v_cndmask_b32_e64 v110, v111, v99, s13
	;; [unrolled: 1-line block ×4, first 2 shown]
	v_lshrrev_b32_e32 v96, 16, v80
	v_lshrrev_b32_e32 v100, 16, v84
	v_cndmask_b32_e64 v111, v112, v95, s17
	v_cndmask_b32_e64 v112, v113, v99, s17
	v_cndmask_b32_e32 v82, v82, v103, vcc_lo
	v_cndmask_b32_e32 v83, v83, v107, vcc_lo
	v_cndmask_b32_e64 v94, v94, v103, s13
	v_cndmask_b32_e64 v90, v90, v80, s3
	;; [unrolled: 1-line block ×7, first 2 shown]
	v_lshrrev_b32_e32 v104, 16, v88
	v_cndmask_b32_e64 v106, v111, v80, s21
	v_cndmask_b32_e64 v110, v112, v84, s21
	;; [unrolled: 1-line block ×11, first 2 shown]
	v_lshrrev_b32_e32 v97, 16, v81
	v_lshrrev_b32_e32 v101, 16, v85
	v_cndmask_b32_e64 v99, v106, v96, s23
	v_cndmask_b32_e64 v102, v110, v100, s23
	;; [unrolled: 1-line block ×7, first 2 shown]
	v_lshrrev_b32_e32 v105, 16, v89
	v_cndmask_b32_e64 v80, v80, v104, s6
	v_cndmask_b32_e64 v84, v84, v81, s7
	;; [unrolled: 1-line block ×16, first 2 shown]
	v_perm_b32 v81, v79, v78, 0x5040100
	v_perm_b32 v79, v95, v85, 0x5040100
	v_cndmask_b32_e64 v78, v119, v91, s15
	v_cndmask_b32_e64 v85, v117, v91, s12
	v_cndmask_b32_e64 v96, v80, v105, s8
	v_perm_b32 v80, v94, v90, 0x5040100
	v_cndmask_b32_e64 v90, v98, v103, s17
	v_cndmask_b32_e64 v86, v86, v103, s18
	;; [unrolled: 1-line block ×5, first 2 shown]
	v_lshrrev_b32_e32 v108, 16, v92
	v_cndmask_b32_e64 v90, v90, v88, s21
	v_cndmask_b32_e64 v86, v86, v88, s22
	;; [unrolled: 1-line block ×11, first 2 shown]
	v_lshrrev_b32_e32 v109, 16, v93
	v_cndmask_b32_e64 v82, v82, v93, s7
	v_cndmask_b32_e64 v88, v88, v89, s26
	;; [unrolled: 1-line block ×12, first 2 shown]
	v_perm_b32 v78, v84, v83, 0x5040100
	v_perm_b32 v85, v87, v86, 0x5040100
	;; [unrolled: 1-line block ×5, first 2 shown]
	s_mul_i32 s8, s33, 12
	s_mov_b32 s3, exec_lo
	ds_store_b128 v74, v[78:81]
	ds_store_b128 v74, v[82:85] offset:1024
	v_cmpx_gt_u32_e32 12, v0
	s_cbranch_execz .LBB1209_14
; %bb.13:
	s_mul_i32 s4, s8, s34
	s_delay_alu instid0(SALU_CYCLE_1) | instskip(SKIP_1) | instid1(VALU_DEP_1)
	v_add3_u32 v68, s4, s31, v68
	s_load_b128 s[4:7], s[0:1], 0x58
	v_mad_u64_u32 v[78:79], null, v68, s35, s[14:15]
	s_delay_alu instid0(VALU_DEP_1) | instskip(NEXT) | instid1(VALU_DEP_1)
	v_ashrrev_i32_e32 v79, 31, v78
	v_lshlrev_b64 v[78:79], 2, v[78:79]
	s_waitcnt lgkmcnt(0)
	s_delay_alu instid0(VALU_DEP_1) | instskip(NEXT) | instid1(VALU_DEP_2)
	v_add_co_u32 v80, vcc_lo, s6, v78
	v_add_co_ci_u32_e32 v81, vcc_lo, s7, v79, vcc_lo
	v_add_co_u32 v78, vcc_lo, s4, v78
	v_add_co_ci_u32_e32 v79, vcc_lo, s5, v79, vcc_lo
	global_store_b32 v[80:81], v76, off
	global_store_b32 v[78:79], v77, off
.LBB1209_14:
	s_or_b32 exec_lo, exec_lo, s3
	s_waitcnt lgkmcnt(0)
	s_waitcnt_vscnt null, 0x0
	s_barrier
	buffer_gl0_inv
	ds_load_b128 v[84:87], v73
	ds_load_b128 v[88:91], v73 offset:16
	ds_load_b128 v[96:99], v73 offset:2064
	;; [unrolled: 1-line block ×5, first 2 shown]
	v_cmp_eq_u32_e32 vcc_lo, 1, v70
	v_mov_b32_e32 v76, 0
	ds_load_b128 v[112:115], v73 offset:6160
	ds_load_b128 v[108:111], v73 offset:6144
	;; [unrolled: 1-line block ×4, first 2 shown]
	v_cmp_eq_u32_e64 s4, 1, v69
	v_cmp_eq_u32_e64 s3, 1, v72
	v_cmp_eq_u32_e64 s5, 2, v72
	v_mov_b32_e32 v77, v76
	v_mov_b32_e32 v78, v76
	;; [unrolled: 1-line block ×7, first 2 shown]
	v_cmp_eq_u32_e64 s6, 3, v72
	v_cmp_eq_u32_e64 s7, 7, v72
	s_waitcnt lgkmcnt(8)
	s_delay_alu instid0(VALU_DEP_3)
	v_wmma_f32_16x16x16_f16 v[76:83], v[49:56], v[84:91], v[76:83]
	ds_load_b128 v[53:56], v73 offset:10256
	ds_load_b128 v[49:52], v73 offset:10240
	s_waitcnt lgkmcnt(8)
	v_wmma_f32_16x16x16_f16 v[76:83], v[41:48], v[92:99], v[76:83]
	ds_load_b128 v[45:48], v73 offset:12304
	ds_load_b128 v[41:44], v73 offset:12288
	s_waitcnt lgkmcnt(8)
	;; [unrolled: 4-line block ×3, first 2 shown]
	s_barrier
	buffer_gl0_inv
	v_wmma_f32_16x16x16_f16 v[76:83], v[1:8], v[108:115], v[76:83]
	s_delay_alu instid0(VALU_DEP_1) | instskip(NEXT) | instid1(VALU_DEP_1)
	v_wmma_f32_16x16x16_f16 v[76:83], v[9:16], v[116:123], v[76:83]
	v_wmma_f32_16x16x16_f16 v[76:83], v[17:24], v[49:56], v[76:83]
	s_delay_alu instid0(VALU_DEP_1) | instskip(NEXT) | instid1(VALU_DEP_1)
	v_wmma_f32_16x16x16_f16 v[76:83], v[25:32], v[41:48], v[76:83]
	v_wmma_f32_16x16x16_f16 v[76:83], v[57:64], v[33:40], v[76:83]
	s_delay_alu instid0(VALU_DEP_1) | instskip(NEXT) | instid1(VALU_DEP_2)
	v_cvt_f16_f32_e32 v1, v76
	v_cvt_f16_f32_e32 v2, v77
	s_delay_alu instid0(VALU_DEP_3) | instskip(NEXT) | instid1(VALU_DEP_4)
	v_cvt_f16_f32_e32 v3, v78
	v_cvt_f16_f32_e32 v4, v79
	;; [unrolled: 1-line block ×6, first 2 shown]
	v_pack_b32_f16 v1, v1, v2
	v_pack_b32_f16 v2, v3, v4
	v_pack_b32_f16 v3, v5, v6
	s_delay_alu instid0(VALU_DEP_4)
	v_pack_b32_f16 v4, v7, v8
	ds_store_b128 v74, v[1:4]
	s_waitcnt lgkmcnt(0)
	s_barrier
	buffer_gl0_inv
	ds_load_b128 v[1:4], v75
	ds_load_b128 v[5:8], v75 offset:16
	s_waitcnt lgkmcnt(1)
	v_lshrrev_b32_e32 v9, 16, v1
	s_waitcnt lgkmcnt(0)
	v_lshrrev_b32_e32 v13, 16, v5
	v_lshrrev_b32_e32 v10, 16, v2
	;; [unrolled: 1-line block ×4, first 2 shown]
	v_cndmask_b32_e32 v17, v1, v9, vcc_lo
	v_cndmask_b32_e32 v18, v5, v13, vcc_lo
	v_cndmask_b32_e64 v21, v1, v9, s4
	v_cmp_eq_u32_e32 vcc_lo, 1, v71
	v_cndmask_b32_e64 v22, v5, v13, s4
	v_cmp_eq_u32_e64 s4, 2, v70
	v_cndmask_b32_e64 v19, v1, v9, s3
	v_cndmask_b32_e64 v20, v5, v13, s3
	v_cndmask_b32_e32 v1, v1, v9, vcc_lo
	v_cmp_eq_u32_e64 s3, 2, v71
	v_cndmask_b32_e32 v5, v5, v13, vcc_lo
	v_cndmask_b32_e64 v9, v17, v2, s4
	v_cmp_eq_u32_e32 vcc_lo, 3, v70
	v_cndmask_b32_e64 v13, v18, v6, s4
	v_cmp_eq_u32_e64 s4, 2, v69
	v_cndmask_b32_e64 v17, v19, v2, s5
	v_cndmask_b32_e64 v18, v20, v6, s5
	v_cmp_eq_u32_e64 s5, 3, v69
	v_cndmask_b32_e64 v1, v1, v2, s3
	v_cndmask_b32_e64 v19, v21, v2, s4
	;; [unrolled: 1-line block ×4, first 2 shown]
	v_cndmask_b32_e32 v5, v9, v10, vcc_lo
	v_cndmask_b32_e32 v6, v13, v14, vcc_lo
	v_cmp_eq_u32_e32 vcc_lo, 3, v71
	v_cndmask_b32_e64 v9, v17, v10, s6
	v_cndmask_b32_e64 v13, v18, v14, s6
	;; [unrolled: 1-line block ×3, first 2 shown]
	v_cmp_eq_u32_e64 s4, 4, v70
	v_cndmask_b32_e32 v1, v1, v10, vcc_lo
	v_cndmask_b32_e32 v2, v2, v14, vcc_lo
	v_cmp_eq_u32_e32 vcc_lo, 4, v72
	v_lshrrev_b32_e32 v15, 16, v7
	v_lshrrev_b32_e32 v16, 16, v8
	v_cndmask_b32_e64 v17, v19, v10, s5
	v_cmp_eq_u32_e64 s3, 4, v71
	v_cndmask_b32_e64 v5, v5, v3, s4
	v_cndmask_b32_e64 v6, v6, v7, s4
	v_cndmask_b32_e32 v9, v9, v3, vcc_lo
	v_cmp_eq_u32_e64 s4, 5, v72
	v_cndmask_b32_e32 v10, v13, v7, vcc_lo
	v_cmp_eq_u32_e32 vcc_lo, 4, v69
	v_cmp_eq_u32_e64 s5, 5, v70
	v_cndmask_b32_e64 v2, v2, v7, s3
	v_cndmask_b32_e64 v9, v9, v11, s4
	v_cndmask_b32_e64 v10, v10, v15, s4
	v_cndmask_b32_e32 v13, v17, v3, vcc_lo
	v_cmp_eq_u32_e64 s4, 5, v69
	v_cndmask_b32_e32 v14, v18, v7, vcc_lo
	v_cndmask_b32_e64 v1, v1, v3, s3
	v_cmp_eq_u32_e32 vcc_lo, 5, v71
	v_lshrrev_b32_e32 v12, 16, v4
	v_cndmask_b32_e64 v13, v13, v11, s4
	v_cndmask_b32_e64 v3, v14, v15, s4
	v_cmp_eq_u32_e64 s4, 6, v71
	v_cndmask_b32_e32 v1, v1, v11, vcc_lo
	v_cndmask_b32_e64 v5, v5, v11, s5
	v_cmp_eq_u32_e64 s6, 6, v70
	v_cndmask_b32_e64 v6, v6, v15, s5
	v_cmp_eq_u32_e64 s5, 6, v72
	v_cmp_eq_u32_e64 s3, 6, v69
	v_cndmask_b32_e64 v1, v1, v4, s4
	v_cndmask_b32_e32 v2, v2, v15, vcc_lo
	v_cmp_eq_u32_e32 vcc_lo, 7, v71
	v_cndmask_b32_e64 v5, v5, v4, s6
	v_cndmask_b32_e64 v9, v9, v4, s5
	;; [unrolled: 1-line block ×3, first 2 shown]
	v_cmp_eq_u32_e64 s6, 7, v70
	v_cndmask_b32_e32 v1, v1, v12, vcc_lo
	v_cndmask_b32_e64 v7, v13, v4, s3
	v_cndmask_b32_e64 v3, v3, v8, s3
	;; [unrolled: 1-line block ×3, first 2 shown]
	v_cmp_eq_u32_e64 s3, 7, v69
	v_cndmask_b32_e64 v4, v10, v8, s5
	v_cndmask_b32_e64 v5, v5, v12, s6
	;; [unrolled: 1-line block ×3, first 2 shown]
	v_cndmask_b32_e32 v2, v2, v16, vcc_lo
	v_cndmask_b32_e64 v7, v7, v12, s3
	v_cndmask_b32_e64 v3, v3, v16, s3
	v_cndmask_b32_e64 v8, v4, v16, s7
	v_cndmask_b32_e64 v6, v6, v16, s6
	v_cmp_gt_u32_e32 vcc_lo, 32, v0
	v_perm_b32 v4, v2, v1, 0x5040100
	v_perm_b32 v3, v3, v7, 0x5040100
	;; [unrolled: 1-line block ×4, first 2 shown]
	s_and_b32 s2, vcc_lo, s2
	ds_store_b128 v74, v[1:4]
	s_waitcnt lgkmcnt(0)
	s_barrier
	buffer_gl0_inv
	s_and_saveexec_b32 s3, s2
	s_cbranch_execz .LBB1209_2
; %bb.15:
	s_load_b64 s[0:1], s[0:1], 0x68
	v_lshlrev_b32_e32 v0, 10, v0
	s_lshl_b32 s4, s35, 6
	v_or_b32_e32 v3, s31, v66
	s_mul_i32 s2, s4, s34
	v_lshlrev_b32_e32 v1, 4, v67
	s_mul_i32 s2, s2, s8
	v_lshlrev_b32_e32 v2, 6, v66
	v_and_b32_e32 v0, 0x3800, v0
	s_ashr_i32 s3, s2, 31
	v_mul_lo_u32 v4, v3, s4
	s_lshl_b64 s[2:3], s[2:3], 1
	s_delay_alu instid0(VALU_DEP_2) | instskip(NEXT) | instid1(VALU_DEP_2)
	v_or3_b32 v16, v0, v1, v2
	v_ashrrev_i32_e32 v5, 31, v4
	ds_load_b128 v[0:3], v16
	s_waitcnt lgkmcnt(0)
	s_add_u32 s2, s0, s2
	s_addc_u32 s3, s1, s3
	s_lshl_b32 s0, s14, 6
	v_lshlrev_b64 v[5:6], 1, v[4:5]
	s_ashr_i32 s1, s0, 31
	s_delay_alu instid0(SALU_CYCLE_1) | instskip(NEXT) | instid1(SALU_CYCLE_1)
	s_lshl_b64 s[0:1], s[0:1], 1
	s_add_u32 s0, s2, s0
	s_addc_u32 s1, s3, s1
	s_lshl_b32 s2, s35, 7
	v_add_co_u32 v30, s0, s0, v65
	v_add_nc_u32_e32 v8, s2, v4
	v_add_co_ci_u32_e64 v31, null, s1, 0, s0
	s_delay_alu instid0(VALU_DEP_3) | instskip(NEXT) | instid1(VALU_DEP_3)
	v_add_co_u32 v12, vcc_lo, v30, v5
	v_add_nc_u32_e32 v10, s2, v8
	v_ashrrev_i32_e32 v9, 31, v8
	s_delay_alu instid0(VALU_DEP_4)
	v_add_co_ci_u32_e32 v13, vcc_lo, v31, v6, vcc_lo
	ds_load_b128 v[4:7], v16 offset:128
	v_ashrrev_i32_e32 v11, 31, v10
	v_lshlrev_b64 v[8:9], 1, v[8:9]
	v_add_nc_u32_e32 v14, s2, v10
	global_store_b128 v[12:13], v[0:3], off
	v_lshlrev_b64 v[0:1], 1, v[10:11]
	v_ashrrev_i32_e32 v15, 31, v14
	v_add_co_u32 v22, vcc_lo, v30, v8
	v_add_nc_u32_e32 v20, s2, v14
	v_add_co_ci_u32_e32 v23, vcc_lo, v31, v9, vcc_lo
	v_add_co_u32 v26, vcc_lo, v30, v0
	v_lshlrev_b64 v[24:25], 1, v[14:15]
	v_add_co_ci_u32_e32 v27, vcc_lo, v31, v1, vcc_lo
	ds_load_b128 v[0:3], v16 offset:256
	ds_load_b128 v[8:11], v16 offset:384
	;; [unrolled: 1-line block ×4, first 2 shown]
	v_add_nc_u32_e32 v28, s2, v20
	v_ashrrev_i32_e32 v21, 31, v20
	v_add_co_u32 v24, vcc_lo, v30, v24
	v_add_co_ci_u32_e32 v25, vcc_lo, v31, v25, vcc_lo
	s_delay_alu instid0(VALU_DEP_4) | instskip(NEXT) | instid1(VALU_DEP_4)
	v_ashrrev_i32_e32 v29, 31, v28
	v_lshlrev_b64 v[20:21], 1, v[20:21]
	s_delay_alu instid0(VALU_DEP_2) | instskip(NEXT) | instid1(VALU_DEP_2)
	v_lshlrev_b64 v[28:29], 1, v[28:29]
	v_add_co_u32 v20, vcc_lo, v30, v20
	s_delay_alu instid0(VALU_DEP_3) | instskip(NEXT) | instid1(VALU_DEP_3)
	v_add_co_ci_u32_e32 v21, vcc_lo, v31, v21, vcc_lo
	v_add_co_u32 v28, vcc_lo, v30, v28
	s_delay_alu instid0(VALU_DEP_4)
	v_add_co_ci_u32_e32 v29, vcc_lo, v31, v29, vcc_lo
	s_waitcnt lgkmcnt(4)
	global_store_b128 v[22:23], v[4:7], off
	s_waitcnt lgkmcnt(3)
	global_store_b128 v[26:27], v[0:3], off
	;; [unrolled: 2-line block ×5, first 2 shown]
	s_nop 0
	s_sendmsg sendmsg(MSG_DEALLOC_VGPRS)
	s_endpgm
	.section	.rodata,"a",@progbits
	.p2align	6, 0x0
	.amdhsa_kernel _Z39paged_attention_ll4mi_QKV_mfma16_kernelIDF16_hLN4vllm18Fp8KVCacheDataTypeE1EDF16_Li32ELi64ELi256ELb0ELi12EL8MFMAType0EEvPKT_PKT0_S8_ifPKiSA_SA_iPKfiiiPfSD_PS3_PT2_iSC_SC_
		.amdhsa_group_segment_fixed_size 17472
		.amdhsa_private_segment_fixed_size 0
		.amdhsa_kernarg_size 400
		.amdhsa_user_sgpr_count 13
		.amdhsa_user_sgpr_dispatch_ptr 0
		.amdhsa_user_sgpr_queue_ptr 0
		.amdhsa_user_sgpr_kernarg_segment_ptr 1
		.amdhsa_user_sgpr_dispatch_id 0
		.amdhsa_user_sgpr_private_segment_size 0
		.amdhsa_wavefront_size32 1
		.amdhsa_uses_dynamic_stack 0
		.amdhsa_enable_private_segment 0
		.amdhsa_system_sgpr_workgroup_id_x 1
		.amdhsa_system_sgpr_workgroup_id_y 1
		.amdhsa_system_sgpr_workgroup_id_z 1
		.amdhsa_system_sgpr_workgroup_info 0
		.amdhsa_system_vgpr_workitem_id 0
		.amdhsa_next_free_vgpr 146
		.amdhsa_next_free_sgpr 38
		.amdhsa_reserve_vcc 1
		.amdhsa_float_round_mode_32 0
		.amdhsa_float_round_mode_16_64 0
		.amdhsa_float_denorm_mode_32 3
		.amdhsa_float_denorm_mode_16_64 3
		.amdhsa_dx10_clamp 1
		.amdhsa_ieee_mode 1
		.amdhsa_fp16_overflow 0
		.amdhsa_workgroup_processor_mode 1
		.amdhsa_memory_ordered 1
		.amdhsa_forward_progress 0
		.amdhsa_shared_vgpr_count 0
		.amdhsa_exception_fp_ieee_invalid_op 0
		.amdhsa_exception_fp_denorm_src 0
		.amdhsa_exception_fp_ieee_div_zero 0
		.amdhsa_exception_fp_ieee_overflow 0
		.amdhsa_exception_fp_ieee_underflow 0
		.amdhsa_exception_fp_ieee_inexact 0
		.amdhsa_exception_int_div_zero 0
	.end_amdhsa_kernel
	.section	.text._Z39paged_attention_ll4mi_QKV_mfma16_kernelIDF16_hLN4vllm18Fp8KVCacheDataTypeE1EDF16_Li32ELi64ELi256ELb0ELi12EL8MFMAType0EEvPKT_PKT0_S8_ifPKiSA_SA_iPKfiiiPfSD_PS3_PT2_iSC_SC_,"axG",@progbits,_Z39paged_attention_ll4mi_QKV_mfma16_kernelIDF16_hLN4vllm18Fp8KVCacheDataTypeE1EDF16_Li32ELi64ELi256ELb0ELi12EL8MFMAType0EEvPKT_PKT0_S8_ifPKiSA_SA_iPKfiiiPfSD_PS3_PT2_iSC_SC_,comdat
.Lfunc_end1209:
	.size	_Z39paged_attention_ll4mi_QKV_mfma16_kernelIDF16_hLN4vllm18Fp8KVCacheDataTypeE1EDF16_Li32ELi64ELi256ELb0ELi12EL8MFMAType0EEvPKT_PKT0_S8_ifPKiSA_SA_iPKfiiiPfSD_PS3_PT2_iSC_SC_, .Lfunc_end1209-_Z39paged_attention_ll4mi_QKV_mfma16_kernelIDF16_hLN4vllm18Fp8KVCacheDataTypeE1EDF16_Li32ELi64ELi256ELb0ELi12EL8MFMAType0EEvPKT_PKT0_S8_ifPKiSA_SA_iPKfiiiPfSD_PS3_PT2_iSC_SC_
                                        ; -- End function
	.section	.AMDGPU.csdata,"",@progbits
; Kernel info:
; codeLenInByte = 6596
; NumSgprs: 40
; NumVgprs: 146
; ScratchSize: 0
; MemoryBound: 0
; FloatMode: 240
; IeeeMode: 1
; LDSByteSize: 17472 bytes/workgroup (compile time only)
; SGPRBlocks: 4
; VGPRBlocks: 18
; NumSGPRsForWavesPerEU: 40
; NumVGPRsForWavesPerEU: 146
; Occupancy: 9
; WaveLimiterHint : 1
; COMPUTE_PGM_RSRC2:SCRATCH_EN: 0
; COMPUTE_PGM_RSRC2:USER_SGPR: 13
; COMPUTE_PGM_RSRC2:TRAP_HANDLER: 0
; COMPUTE_PGM_RSRC2:TGID_X_EN: 1
; COMPUTE_PGM_RSRC2:TGID_Y_EN: 1
; COMPUTE_PGM_RSRC2:TGID_Z_EN: 1
; COMPUTE_PGM_RSRC2:TIDIG_COMP_CNT: 0
	.section	.text._Z39paged_attention_ll4mi_QKV_mfma16_kernelIDF16_hLN4vllm18Fp8KVCacheDataTypeE1EDF16_Li32ELi64ELi256ELb0ELi13EL8MFMAType0EEvPKT_PKT0_S8_ifPKiSA_SA_iPKfiiiPfSD_PS3_PT2_iSC_SC_,"axG",@progbits,_Z39paged_attention_ll4mi_QKV_mfma16_kernelIDF16_hLN4vllm18Fp8KVCacheDataTypeE1EDF16_Li32ELi64ELi256ELb0ELi13EL8MFMAType0EEvPKT_PKT0_S8_ifPKiSA_SA_iPKfiiiPfSD_PS3_PT2_iSC_SC_,comdat
	.protected	_Z39paged_attention_ll4mi_QKV_mfma16_kernelIDF16_hLN4vllm18Fp8KVCacheDataTypeE1EDF16_Li32ELi64ELi256ELb0ELi13EL8MFMAType0EEvPKT_PKT0_S8_ifPKiSA_SA_iPKfiiiPfSD_PS3_PT2_iSC_SC_ ; -- Begin function _Z39paged_attention_ll4mi_QKV_mfma16_kernelIDF16_hLN4vllm18Fp8KVCacheDataTypeE1EDF16_Li32ELi64ELi256ELb0ELi13EL8MFMAType0EEvPKT_PKT0_S8_ifPKiSA_SA_iPKfiiiPfSD_PS3_PT2_iSC_SC_
	.globl	_Z39paged_attention_ll4mi_QKV_mfma16_kernelIDF16_hLN4vllm18Fp8KVCacheDataTypeE1EDF16_Li32ELi64ELi256ELb0ELi13EL8MFMAType0EEvPKT_PKT0_S8_ifPKiSA_SA_iPKfiiiPfSD_PS3_PT2_iSC_SC_
	.p2align	8
	.type	_Z39paged_attention_ll4mi_QKV_mfma16_kernelIDF16_hLN4vllm18Fp8KVCacheDataTypeE1EDF16_Li32ELi64ELi256ELb0ELi13EL8MFMAType0EEvPKT_PKT0_S8_ifPKiSA_SA_iPKfiiiPfSD_PS3_PT2_iSC_SC_,@function
_Z39paged_attention_ll4mi_QKV_mfma16_kernelIDF16_hLN4vllm18Fp8KVCacheDataTypeE1EDF16_Li32ELi64ELi256ELb0ELi13EL8MFMAType0EEvPKT_PKT0_S8_ifPKiSA_SA_iPKfiiiPfSD_PS3_PT2_iSC_SC_: ; @_Z39paged_attention_ll4mi_QKV_mfma16_kernelIDF16_hLN4vllm18Fp8KVCacheDataTypeE1EDF16_Li32ELi64ELi256ELb0ELi13EL8MFMAType0EEvPKT_PKT0_S8_ifPKiSA_SA_iPKfiiiPfSD_PS3_PT2_iSC_SC_
; %bb.0:
	s_load_b64 s[2:3], s[0:1], 0x30
	s_mov_b32 s34, s13
	s_waitcnt lgkmcnt(0)
	s_cmp_lg_u64 s[2:3], 0
	s_cselect_b32 s6, -1, 0
	s_ashr_i32 s35, s13, 31
	s_cmp_eq_u64 s[2:3], 0
	s_cbranch_scc1 .LBB1210_3
; %bb.1:
	s_lshl_b64 s[4:5], s[34:35], 2
	s_delay_alu instid0(SALU_CYCLE_1) | instskip(SKIP_4) | instid1(SALU_CYCLE_1)
	s_add_u32 s4, s2, s4
	s_addc_u32 s5, s3, s5
	s_load_b64 s[4:5], s[4:5], 0x0
	s_waitcnt lgkmcnt(0)
	s_sub_i32 s4, s5, s4
	s_cmp_eq_u32 s4, 1
	s_cselect_b32 s4, -1, 0
	s_delay_alu instid0(SALU_CYCLE_1)
	s_and_not1_b32 vcc_lo, exec_lo, s4
	s_cbranch_vccz .LBB1210_4
.LBB1210_2:
	s_nop 0
	s_sendmsg sendmsg(MSG_DEALLOC_VGPRS)
	s_endpgm
.LBB1210_3:
.LBB1210_4:
	s_load_b64 s[8:9], s[0:1], 0x28
	s_lshl_b64 s[4:5], s[34:35], 2
	s_waitcnt lgkmcnt(0)
	s_add_u32 s8, s8, s4
	s_addc_u32 s9, s9, s5
	s_lshl_b32 s16, s14, 8
	s_load_b32 s18, s[8:9], 0x0
	s_waitcnt lgkmcnt(0)
	s_cmp_ge_i32 s16, s18
	s_cbranch_scc1 .LBB1210_2
; %bb.5:
	s_clause 0x1
	s_load_b128 s[8:11], s[0:1], 0x8
	s_load_b64 s[12:13], s[0:1], 0x20
	s_and_not1_b32 vcc_lo, exec_lo, s6
	s_cbranch_vccnz .LBB1210_7
; %bb.6:
	s_add_u32 s2, s2, s4
	s_addc_u32 s3, s3, s5
	s_load_b32 s3, s[2:3], 0x0
	s_branch .LBB1210_8
.LBB1210_7:
	s_mov_b32 s3, s34
.LBB1210_8:
	s_load_b128 s[4:7], s[0:1], 0x48
	v_lshrrev_b32_e32 v69, 5, v0
	v_bfe_u32 v66, v0, 4, 1
	v_and_b32_e32 v68, 15, v0
	v_and_b32_e32 v70, 31, v0
	;; [unrolled: 1-line block ×3, first 2 shown]
	s_mul_i32 s33, s15, 13
	v_lshl_or_b32 v1, v69, 1, v66
	v_lshlrev_b32_e32 v2, 3, v68
	v_cmp_gt_u32_e64 s2, 8, v68
	s_delay_alu instid0(VALU_DEP_3) | instskip(NEXT) | instid1(VALU_DEP_3)
	v_cmp_gt_u32_e32 vcc_lo, 13, v1
	v_lshlrev_b32_e32 v65, 1, v2
	s_delay_alu instid0(VALU_DEP_3)
	s_and_b32 s17, s2, vcc_lo
	s_waitcnt lgkmcnt(0)
	s_and_saveexec_b32 s7, s17
	s_cbranch_execz .LBB1210_10
; %bb.9:
	s_load_b64 s[20:21], s[0:1], 0x0
	v_add_lshl_u32 v2, v1, s33, 6
	s_mul_hi_i32 s23, s3, s4
	s_mul_i32 s22, s3, s4
	v_lshlrev_b32_e32 v6, 10, v68
	s_lshl_b64 s[22:23], s[22:23], 1
	v_ashrrev_i32_e32 v3, 31, v2
	v_lshlrev_b32_e32 v1, 6, v1
	v_lshlrev_b32_e32 v7, 10, v67
	v_and_b32_e32 v6, 0x3800, v6
	s_delay_alu instid0(VALU_DEP_4) | instskip(NEXT) | instid1(VALU_DEP_2)
	v_lshlrev_b64 v[2:3], 1, v[2:3]
	v_or3_b32 v1, v6, v7, v1
	s_waitcnt lgkmcnt(0)
	s_add_u32 s3, s20, s22
	s_addc_u32 s4, s21, s23
	s_delay_alu instid0(VALU_DEP_2) | instskip(SKIP_1) | instid1(VALU_DEP_2)
	v_add_co_u32 v2, vcc_lo, s3, v2
	v_add_co_ci_u32_e32 v3, vcc_lo, s4, v3, vcc_lo
	v_add_co_u32 v2, vcc_lo, v2, v65
	s_delay_alu instid0(VALU_DEP_2)
	v_add_co_ci_u32_e32 v3, vcc_lo, 0, v3, vcc_lo
	global_load_b128 v[2:5], v[2:3], off
	s_waitcnt vmcnt(0)
	ds_store_b128 v1, v[2:5]
.LBB1210_10:
	s_or_b32 exec_lo, exec_lo, s7
	v_and_b32_e32 v1, 0xef, v0
	s_add_i32 s3, s18, 31
	s_clause 0x1
	s_load_b32 s4, s[0:1], 0x38
	s_load_b32 s35, s[0:1], 0x98
	s_ashr_i32 s7, s3, 31
	v_add_nc_u32_e32 v1, s16, v1
	s_lshr_b32 s7, s7, 27
	s_load_b32 s19, s[0:1], 0x1c
	v_add_nc_u32_e32 v103, -13, v68
	s_add_i32 s3, s3, s7
	v_ashrrev_i32_e32 v2, 31, v1
	v_or_b32_e32 v3, 16, v1
	s_ashr_i32 s3, s3, 5
	v_cmp_gt_i32_e32 vcc_lo, s18, v1
	s_add_i32 s3, s3, -1
	v_lshrrev_b32_e32 v2, 27, v2
	s_waitcnt lgkmcnt(0)
	s_barrier
	buffer_gl0_inv
	s_mul_i32 s15, s15, s6
	v_add_nc_u32_e32 v4, v1, v2
	v_mbcnt_lo_u32_b32 v127, -1, 0
	s_mul_i32 s20, s34, s4
	s_delay_alu instid0(SALU_CYCLE_1) | instskip(NEXT) | instid1(VALU_DEP_2)
	s_ashr_i32 s21, s20, 31
	v_ashrrev_i32_e32 v4, 5, v4
	v_add_nc_u32_e32 v2, v3, v2
	s_lshl_b64 s[20:21], s[20:21], 2
	v_xor_b32_e32 v128, 16, v127
	s_add_u32 s17, s12, s20
	v_cndmask_b32_e32 v1, s3, v4, vcc_lo
	v_ashrrev_i32_e32 v2, 5, v2
	v_cmp_gt_i32_e32 vcc_lo, s18, v3
	s_addc_u32 s13, s13, s21
	s_ashr_i32 s20, s15, 31
	s_add_u32 s22, s8, s15
	s_addc_u32 s23, s9, s20
	v_cndmask_b32_e32 v3, s3, v2, vcc_lo
	v_ashrrev_i32_e32 v2, 31, v1
	s_lshl_b32 s6, s14, 3
	s_delay_alu instid0(SALU_CYCLE_1) | instskip(NEXT) | instid1(VALU_DEP_2)
	s_ashr_i32 s7, s6, 31
	v_ashrrev_i32_e32 v4, 31, v3
	s_delay_alu instid0(VALU_DEP_2) | instskip(SKIP_1) | instid1(SALU_CYCLE_1)
	v_lshlrev_b64 v[1:2], 2, v[1:2]
	s_lshl_b64 s[6:7], s[6:7], 2
	s_add_u32 s6, s17, s6
	s_delay_alu instid0(VALU_DEP_2) | instskip(SKIP_1) | instid1(VALU_DEP_2)
	v_lshlrev_b64 v[3:4], 2, v[3:4]
	s_addc_u32 s7, s13, s7
	v_add_co_u32 v1, vcc_lo, s17, v1
	v_add_co_ci_u32_e32 v2, vcc_lo, s13, v2, vcc_lo
	s_delay_alu instid0(VALU_DEP_3) | instskip(NEXT) | instid1(VALU_DEP_4)
	v_add_co_u32 v3, vcc_lo, s17, v3
	v_add_co_ci_u32_e32 v4, vcc_lo, s13, v4, vcc_lo
	s_clause 0x1
	global_load_b32 v5, v[1:2], off
	global_load_b32 v6, v[3:4], off
	s_or_b32 s4, s16, 32
	s_delay_alu instid0(SALU_CYCLE_1) | instskip(SKIP_2) | instid1(SALU_CYCLE_1)
	s_ashr_i32 s8, s4, 5
	s_cmp_lt_i32 s4, s18
	s_cselect_b32 s8, s8, s3
	s_ashr_i32 s9, s8, 31
	s_delay_alu instid0(SALU_CYCLE_1) | instskip(NEXT) | instid1(SALU_CYCLE_1)
	s_lshl_b64 s[8:9], s[8:9], 2
	s_add_u32 s8, s17, s8
	s_addc_u32 s9, s13, s9
	s_or_b32 s4, s16, 64
	s_delay_alu instid0(SALU_CYCLE_1) | instskip(SKIP_2) | instid1(SALU_CYCLE_1)
	s_ashr_i32 s12, s4, 5
	s_cmp_lt_i32 s4, s18
	s_cselect_b32 s24, s12, s3
	s_ashr_i32 s25, s24, 31
	s_delay_alu instid0(SALU_CYCLE_1) | instskip(NEXT) | instid1(SALU_CYCLE_1)
	s_lshl_b64 s[24:25], s[24:25], 2
	s_add_u32 s24, s17, s24
	s_addc_u32 s25, s13, s25
	;; [unrolled: 10-line block ×5, first 2 shown]
	s_clause 0x5
	s_load_b32 s12, s[6:7], 0x0
	s_load_b32 s4, s[8:9], 0x0
	;; [unrolled: 1-line block ×6, first 2 shown]
	s_or_b32 s21, s16, 0xc0
	s_waitcnt vmcnt(1)
	v_mad_i64_i32 v[1:2], null, v5, s5, s[22:23]
	v_lshlrev_b32_e32 v5, 4, v68
	s_waitcnt vmcnt(0)
	v_mad_i64_i32 v[3:4], null, v6, s5, s[22:23]
	s_ashr_i32 s22, s21, 5
	s_cmp_lt_i32 s21, s18
	s_delay_alu instid0(VALU_DEP_3) | instskip(NEXT) | instid1(VALU_DEP_4)
	v_add_co_u32 v1, vcc_lo, v1, v5
	v_add_co_ci_u32_e32 v2, vcc_lo, 0, v2, vcc_lo
	s_delay_alu instid0(VALU_DEP_3) | instskip(NEXT) | instid1(VALU_DEP_4)
	v_add_co_u32 v3, vcc_lo, v3, v5
	v_add_co_ci_u32_e32 v4, vcc_lo, 0, v4, vcc_lo
	s_clause 0x7
	global_load_b128 v[71:74], v[1:2], off
	global_load_b128 v[75:78], v[1:2], off offset:512
	global_load_b128 v[79:82], v[3:4], off offset:256
	;; [unrolled: 1-line block ×7, first 2 shown]
	s_cselect_b32 s22, s22, s3
	v_lshlrev_b32_e32 v1, 5, v68
	s_ashr_i32 s23, s22, 31
	v_cmp_gt_u32_e32 vcc_lo, 13, v68
	s_lshl_b64 s[22:23], s[22:23], 2
	s_delay_alu instid0(SALU_CYCLE_1)
	s_add_u32 s22, s17, s22
	s_addc_u32 s23, s13, s23
	s_or_b32 s21, s16, 0xe0
	v_lshl_or_b32 v1, v69, 9, v1
	s_ashr_i32 s24, s21, 5
	s_cmp_lt_i32 s21, s18
	v_cndmask_b32_e32 v103, v103, v68, vcc_lo
	s_cselect_b32 s24, s24, s3
	s_load_b32 s3, s[22:23], 0x0
	s_ashr_i32 s25, s24, 31
	v_cmp_gt_i32_e32 vcc_lo, 32, v128
	s_lshl_b64 s[24:25], s[24:25], 2
	v_lshlrev_b32_e32 v115, 6, v103
	s_add_u32 s22, s17, s24
	s_addc_u32 s23, s13, s25
	v_cndmask_b32_e32 v136, v127, v128, vcc_lo
	s_add_u32 s10, s10, s15
	s_addc_u32 s11, s11, s20
	v_add_co_u32 v1, s10, s10, v1
	s_delay_alu instid0(VALU_DEP_1) | instskip(SKIP_2) | instid1(VALU_DEP_1)
	v_add_co_ci_u32_e64 v2, null, s11, 0, s10
	s_load_b32 s10, s[22:23], 0x0
	s_waitcnt lgkmcnt(0)
	v_mad_i64_i32 v[3:4], null, s12, s5, v[1:2]
	v_mad_i64_i32 v[9:10], null, s7, s5, v[1:2]
	;; [unrolled: 1-line block ×7, first 2 shown]
	s_clause 0x5
	global_load_b128 v[49:52], v[3:4], off
	global_load_b128 v[53:56], v[3:4], off offset:16
	global_load_b128 v[41:44], v[5:6], off
	global_load_b128 v[45:48], v[5:6], off offset:16
	;; [unrolled: 2-line block ×3, first 2 shown]
	s_mov_b32 s4, 0
	v_mad_i64_i32 v[61:62], null, s10, s5, v[1:2]
	s_clause 0x9
	global_load_b128 v[1:4], v[9:10], off
	global_load_b128 v[5:8], v[9:10], off offset:16
	global_load_b128 v[9:12], v[13:14], off
	global_load_b128 v[13:16], v[13:14], off offset:16
	;; [unrolled: 2-line block ×5, first 2 shown]
	s_mov_b32 s5, s4
	s_mov_b32 s6, s4
	;; [unrolled: 1-line block ×7, first 2 shown]
	v_and_b32_e32 v104, 0xe0, v0
	v_dual_mov_b32 v126, s11 :: v_dual_mov_b32 v125, s10
	v_dual_mov_b32 v124, s9 :: v_dual_mov_b32 v123, s8
	s_delay_alu instid0(VALU_DEP_3)
	v_add_nc_u32_e32 v111, s16, v104
	ds_load_b128 v[103:106], v115
	ds_load_b128 v[107:110], v115 offset:1024
	v_dual_mov_b32 v122, s7 :: v_dual_mov_b32 v121, s6
	v_mov_b32_e32 v120, s5
	v_or_b32_e32 v135, v111, v66
	ds_load_b128 v[111:114], v115 offset:2048
	ds_load_b128 v[115:118], v115 offset:3072
	v_mov_b32_e32 v119, s4
	s_waitcnt vmcnt(0) lgkmcnt(0)
	s_barrier
	v_or_b32_e32 v137, 2, v135
	v_or_b32_e32 v138, 4, v135
	;; [unrolled: 1-line block ×3, first 2 shown]
	v_cmp_gt_i32_e32 vcc_lo, s18, v135
	v_or_b32_e32 v140, 8, v135
	v_cmp_gt_i32_e64 s3, s18, v137
	v_or_b32_e32 v141, 10, v135
	v_cmp_gt_i32_e64 s4, s18, v138
	v_cmp_gt_i32_e64 s5, s18, v139
	v_or_b32_e32 v142, 12, v135
	v_or_b32_e32 v143, 14, v135
	v_cmp_gt_i32_e64 s6, s18, v140
	v_cmp_gt_i32_e64 s7, s18, v141
	v_or_b32_e32 v144, 16, v135
	v_or_b32_e32 v145, 18, v135
	v_cmp_gt_i32_e64 s8, s18, v142
	v_cmp_gt_i32_e64 s9, s18, v143
	buffer_gl0_inv
	v_cmp_gt_i32_e64 s10, s18, v144
	v_cmp_gt_i32_e64 s11, s18, v145
	v_wmma_f32_16x16x16_f16 v[127:134], v[71:78], v[103:110], v[119:126]
	v_wmma_f32_16x16x16_f16 v[119:126], v[79:86], v[103:110], v[119:126]
	v_or_b32_e32 v71, 20, v135
	v_or_b32_e32 v72, 22, v135
	s_delay_alu instid0(VALU_DEP_4)
	v_wmma_f32_16x16x16_f16 v[127:134], v[87:94], v[111:118], v[127:134]
	v_or_b32_e32 v73, 24, v135
	v_wmma_f32_16x16x16_f16 v[119:126], v[95:102], v[111:118], v[119:126]
	v_or_b32_e32 v74, 26, v135
	v_cmp_gt_i32_e64 s12, s18, v71
	v_dual_mul_f32 v83, s19, v128 :: v_dual_mul_f32 v84, s19, v127
	s_delay_alu instid0(VALU_DEP_4) | instskip(SKIP_1) | instid1(VALU_DEP_3)
	v_dual_mul_f32 v81, s19, v130 :: v_dual_mul_f32 v92, s19, v119
	v_mul_f32_e32 v82, s19, v129
	v_cndmask_b32_e64 v83, 0xff7fffff, v83, s3
	s_delay_alu instid0(VALU_DEP_4)
	v_cndmask_b32_e32 v84, 0xff7fffff, v84, vcc_lo
	v_dual_mul_f32 v79, s19, v132 :: v_dual_mul_f32 v90, s19, v121
	v_mul_f32_e32 v80, s19, v131
	v_cndmask_b32_e64 v82, 0xff7fffff, v82, s4
	v_cndmask_b32_e64 v81, 0xff7fffff, v81, s5
	v_max3_f32 v83, v84, 0xff7fffff, v83
	v_dual_mul_f32 v77, s19, v134 :: v_dual_mul_f32 v88, s19, v123
	v_mul_f32_e32 v78, s19, v133
	v_cndmask_b32_e64 v80, 0xff7fffff, v80, s6
	v_cndmask_b32_e64 v79, 0xff7fffff, v79, s7
	v_max3_f32 v81, v83, v82, v81
	v_mul_f32_e32 v91, s19, v120
	v_cndmask_b32_e64 v78, 0xff7fffff, v78, s8
	v_cndmask_b32_e64 v77, 0xff7fffff, v77, s9
	v_mul_f32_e32 v89, s19, v122
	v_max3_f32 v79, v81, v80, v79
	v_cndmask_b32_e64 v80, 0xff7fffff, v92, s10
	v_cndmask_b32_e64 v81, 0xff7fffff, v91, s11
	v_cmp_gt_i32_e64 s13, s18, v72
	v_or_b32_e32 v75, 28, v135
	v_max3_f32 v77, v79, v78, v77
	v_or_b32_e32 v76, 30, v135
	v_mul_f32_e32 v87, s19, v124
	v_cndmask_b32_e64 v71, 0xff7fffff, v90, s12
	v_cndmask_b32_e64 v72, 0xff7fffff, v89, s13
	v_max3_f32 v77, v77, v80, v81
	v_cmp_gt_i32_e64 s15, s18, v73
	v_cmp_gt_i32_e64 s16, s18, v74
	v_dual_mul_f32 v85, s19, v126 :: v_dual_mul_f32 v86, s19, v125
	s_delay_alu instid0(VALU_DEP_4) | instskip(NEXT) | instid1(VALU_DEP_4)
	v_max3_f32 v71, v77, v71, v72
	v_cndmask_b32_e64 v73, 0xff7fffff, v88, s15
	s_delay_alu instid0(VALU_DEP_4) | instskip(SKIP_2) | instid1(VALU_DEP_3)
	v_cndmask_b32_e64 v74, 0xff7fffff, v87, s16
	v_cmp_gt_i32_e64 s17, s18, v75
	v_cmp_gt_i32_e64 s18, s18, v76
	v_max3_f32 v71, v71, v73, v74
	s_delay_alu instid0(VALU_DEP_3) | instskip(NEXT) | instid1(VALU_DEP_3)
	v_cndmask_b32_e64 v72, 0xff7fffff, v86, s17
	v_cndmask_b32_e64 v75, 0xff7fffff, v85, s18
	v_lshlrev_b32_e32 v73, 2, v136
	s_delay_alu instid0(VALU_DEP_2) | instskip(SKIP_3) | instid1(VALU_DEP_1)
	v_max3_f32 v71, v71, v72, v75
	ds_bpermute_b32 v72, v73, v71
	s_waitcnt lgkmcnt(0)
	v_max_f32_e32 v72, v72, v72
	v_max_f32_e32 v71, v71, v72
	s_delay_alu instid0(VALU_DEP_1)
	v_fma_f32 v72, s19, v127, -v71
	v_fma_f32 v74, s19, v128, -v71
	;; [unrolled: 1-line block ×5, first 2 shown]
	v_mul_f32_e32 v72, 0x3fb8aa3b, v72
	v_mul_f32_e32 v74, 0x3fb8aa3b, v74
	v_fma_f32 v80, s19, v133, -v71
	s_delay_alu instid0(VALU_DEP_4) | instskip(NEXT) | instid1(VALU_DEP_4)
	v_dual_mul_f32 v76, 0x3fb8aa3b, v76 :: v_dual_mul_f32 v77, 0x3fb8aa3b, v77
	v_exp_f32_e32 v72, v72
	s_delay_alu instid0(VALU_DEP_3) | instskip(NEXT) | instid1(VALU_DEP_2)
	v_exp_f32_e32 v74, v74
	v_mul_f32_e32 v82, 0x3fb8aa3b, v80
	s_delay_alu instid0(VALU_DEP_2) | instskip(SKIP_1) | instid1(VALU_DEP_1)
	v_exp_f32_e32 v76, v76
	v_exp_f32_e32 v77, v77
	v_exp_f32_e32 v84, v82
	v_cndmask_b32_e32 v79, 0, v72, vcc_lo
	v_fma_f32 v72, s19, v132, -v71
	v_mul_f32_e32 v75, 0x3fb8aa3b, v75
	v_cndmask_b32_e64 v78, 0, v74, s3
	s_delay_alu instid0(TRANS32_DEP_3)
	v_cndmask_b32_e64 v80, 0, v76, s5
	v_add_f32_e32 v74, 0, v79
	v_mul_f32_e32 v72, 0x3fb8aa3b, v72
	v_exp_f32_e32 v75, v75
	v_cndmask_b32_e64 v83, 0, v77, s6
	v_cndmask_b32_e64 v85, 0, v84, s8
	v_add_f32_e32 v74, v74, v78
	v_exp_f32_e32 v72, v72
	v_cmp_gt_u32_e64 s3, 16, v70
	s_waitcnt_depctr 0xfff
	v_cndmask_b32_e64 v81, 0, v75, s4
	v_cndmask_b32_e64 v82, 0, v72, s7
	s_delay_alu instid0(VALU_DEP_2) | instskip(NEXT) | instid1(VALU_DEP_1)
	v_add_f32_e32 v74, v74, v81
	v_add_f32_e32 v74, v74, v80
	s_delay_alu instid0(VALU_DEP_1) | instskip(SKIP_4) | instid1(VALU_DEP_4)
	v_add_f32_e32 v72, v74, v83
	v_fma_f32 v75, s19, v134, -v71
	v_fma_f32 v76, s19, v119, -v71
	;; [unrolled: 1-line block ×4, first 2 shown]
	v_dual_add_f32 v72, v72, v82 :: v_dual_mul_f32 v75, 0x3fb8aa3b, v75
	s_delay_alu instid0(VALU_DEP_3) | instskip(SKIP_1) | instid1(VALU_DEP_3)
	v_dual_mul_f32 v76, 0x3fb8aa3b, v76 :: v_dual_mul_f32 v77, 0x3fb8aa3b, v77
	v_fma_f32 v86, s19, v122, -v71
	v_add_f32_e32 v72, v72, v85
	s_delay_alu instid0(VALU_DEP_4) | instskip(NEXT) | instid1(VALU_DEP_3)
	v_exp_f32_e32 v75, v75
	v_exp_f32_e32 v76, v76
	;; [unrolled: 1-line block ×3, first 2 shown]
	v_mul_f32_e32 v86, 0x3fb8aa3b, v86
	s_delay_alu instid0(VALU_DEP_1) | instskip(SKIP_3) | instid1(TRANS32_DEP_3)
	v_exp_f32_e32 v88, v86
	v_cndmask_b32_e64 v84, 0, v75, s9
	v_fma_f32 v75, s19, v123, -v71
	v_mul_f32_e32 v74, 0x3fb8aa3b, v74
	v_cndmask_b32_e64 v87, 0, v76, s10
	v_fma_f32 v76, s19, v124, -v71
	s_delay_alu instid0(VALU_DEP_4) | instskip(NEXT) | instid1(VALU_DEP_4)
	v_dual_add_f32 v72, v72, v84 :: v_dual_mul_f32 v75, 0x3fb8aa3b, v75
	v_exp_f32_e32 v74, v74
	v_cndmask_b32_e64 v86, 0, v77, s11
	v_fma_f32 v77, s19, v125, -v71
	s_delay_alu instid0(VALU_DEP_3) | instskip(SKIP_3) | instid1(VALU_DEP_3)
	v_add_f32_e32 v72, v72, v87
	v_mul_f32_e32 v76, 0x3fb8aa3b, v76
	v_exp_f32_e32 v75, v75
	v_cndmask_b32_e64 v88, 0, v88, s13
	v_add_f32_e32 v72, v72, v86
	s_delay_alu instid0(VALU_DEP_3) | instskip(NEXT) | instid1(TRANS32_DEP_3)
	v_exp_f32_e32 v76, v76
	v_cndmask_b32_e64 v89, 0, v74, s12
	v_mul_f32_e32 v74, 0x3fb8aa3b, v77
	v_fma_f32 v77, s19, v126, -v71
	s_delay_alu instid0(VALU_DEP_3) | instskip(NEXT) | instid1(VALU_DEP_3)
	v_add_f32_e32 v72, v72, v89
	v_exp_f32_e32 v74, v74
	s_delay_alu instid0(TRANS32_DEP_3) | instskip(NEXT) | instid1(VALU_DEP_3)
	v_cndmask_b32_e64 v91, 0, v75, s15
	v_mul_f32_e32 v75, 0x3fb8aa3b, v77
	s_delay_alu instid0(TRANS32_DEP_2) | instskip(SKIP_1) | instid1(VALU_DEP_3)
	v_cndmask_b32_e64 v90, 0, v76, s16
	v_add_f32_e32 v72, v72, v88
	v_exp_f32_e32 v75, v75
	s_delay_alu instid0(VALU_DEP_1) | instskip(NEXT) | instid1(TRANS32_DEP_2)
	v_add_f32_e32 v72, v72, v91
	v_cndmask_b32_e64 v93, 0, v74, s17
	s_delay_alu instid0(VALU_DEP_2) | instskip(SKIP_3) | instid1(VALU_DEP_1)
	v_add_f32_e32 v72, v72, v90
	s_waitcnt_depctr 0xfff
	v_cndmask_b32_e64 v92, 0, v75, s18
	v_add_f32_e32 v72, v72, v93
	v_add_f32_e32 v72, v72, v92
	ds_bpermute_b32 v73, v73, v72
	s_and_saveexec_b32 s4, s3
	s_cbranch_execz .LBB1210_12
; %bb.11:
	v_mul_u32_u24_e32 v70, 0x44, v69
	s_waitcnt lgkmcnt(0)
	v_add_f32_e32 v72, v72, v73
	s_delay_alu instid0(VALU_DEP_2) | instskip(NEXT) | instid1(VALU_DEP_1)
	v_lshl_add_u32 v70, v68, 2, v70
	v_add_nc_u32_e32 v70, 0x4000, v70
	ds_store_2addr_b32 v70, v71, v72 offset1:136
.LBB1210_12:
	s_or_b32 exec_lo, exec_lo, s4
	v_lshlrev_b32_e32 v70, 2, v68
	s_load_b32 s36, s[0:1], 0x94
	s_waitcnt lgkmcnt(0)
	s_barrier
	buffer_gl0_inv
	v_add_nc_u32_e32 v98, 0x4000, v70
	v_cmp_eq_u32_e32 vcc_lo, 1, v69
	v_cmp_eq_u32_e64 s4, 2, v69
	v_cmp_eq_u32_e64 s5, 3, v69
	;; [unrolled: 1-line block ×3, first 2 shown]
	ds_load_2addr_b32 v[70:71], v98 offset1:17
	ds_load_2addr_b32 v[72:73], v98 offset0:34 offset1:51
	ds_load_2addr_b32 v[74:75], v98 offset0:68 offset1:85
	ds_load_2addr_b32 v[94:95], v98 offset0:102 offset1:119
	v_cmp_eq_u32_e64 s7, 5, v69
	v_cmp_eq_u32_e64 s8, 7, v69
	s_waitcnt lgkmcnt(3)
	v_max3_f32 v76, v70, 0xff7fffff, v71
	s_waitcnt lgkmcnt(2)
	s_delay_alu instid0(VALU_DEP_1) | instskip(SKIP_1) | instid1(VALU_DEP_1)
	v_max3_f32 v76, v76, v72, v73
	s_waitcnt lgkmcnt(1)
	v_max3_f32 v76, v76, v74, v75
	s_waitcnt lgkmcnt(0)
	s_delay_alu instid0(VALU_DEP_1) | instskip(NEXT) | instid1(VALU_DEP_1)
	v_max3_f32 v76, v76, v94, v95
	v_sub_f32_e32 v77, v71, v76
	ds_load_2addr_b32 v[96:97], v98 offset0:136 offset1:153
	v_sub_f32_e32 v74, v74, v76
	v_sub_f32_e32 v70, v70, v76
	;; [unrolled: 1-line block ×3, first 2 shown]
	v_dual_sub_f32 v72, v72, v76 :: v_dual_mul_f32 v77, 0x3fb8aa3b, v77
	s_delay_alu instid0(VALU_DEP_4) | instskip(NEXT) | instid1(VALU_DEP_4)
	v_mul_f32_e32 v103, 0x3fb8aa3b, v74
	v_mul_f32_e32 v99, 0x3fb8aa3b, v70
	ds_load_2addr_b32 v[70:71], v98 offset0:170 offset1:187
	v_dual_mul_f32 v101, 0x3fb8aa3b, v72 :: v_dual_mul_f32 v94, 0x3fb8aa3b, v94
	v_exp_f32_e32 v102, v77
	v_exp_f32_e32 v99, v99
	s_delay_alu instid0(VALU_DEP_1) | instskip(NEXT) | instid1(VALU_DEP_1)
	v_exp_f32_e32 v101, v101
	v_exp_f32_e32 v94, v94
	s_waitcnt lgkmcnt(1)
	s_delay_alu instid0(TRANS32_DEP_3)
	v_fma_f32 v77, v99, v96, 0
	v_sub_f32_e32 v100, v73, v76
	ds_load_2addr_b32 v[72:73], v98 offset0:204 offset1:221
	v_fmac_f32_e32 v77, v102, v97
	v_exp_f32_e32 v97, v103
	s_waitcnt lgkmcnt(1)
	s_delay_alu instid0(VALU_DEP_1)
	v_dual_fmac_f32 v77, v101, v70 :: v_dual_sub_f32 v96, v75, v76
	ds_load_2addr_b32 v[74:75], v98 offset0:238 offset1:255
	v_sub_f32_e32 v70, v95, v76
	s_waitcnt lgkmcnt(0)
	s_barrier
	v_mul_f32_e32 v96, 0x3fb8aa3b, v96
	buffer_gl0_inv
	v_exp_f32_e32 v95, v96
	v_mul_f32_e32 v100, 0x3fb8aa3b, v100
	s_delay_alu instid0(VALU_DEP_1) | instskip(SKIP_3) | instid1(VALU_DEP_2)
	v_exp_f32_e32 v100, v100
	s_waitcnt_depctr 0xfff
	v_dual_fmac_f32 v77, v100, v71 :: v_dual_mul_f32 v70, 0x3fb8aa3b, v70
	v_cndmask_b32_e32 v71, v99, v102, vcc_lo
	v_fmac_f32_e32 v77, v97, v72
	s_delay_alu instid0(VALU_DEP_3) | instskip(NEXT) | instid1(VALU_DEP_1)
	v_exp_f32_e32 v96, v70
	v_fmac_f32_e32 v77, v95, v73
	s_delay_alu instid0(VALU_DEP_1) | instskip(SKIP_2) | instid1(VALU_DEP_1)
	v_fmac_f32_e32 v77, v94, v74
	s_waitcnt_depctr 0xfff
	v_fmac_f32_e32 v77, v96, v75
	v_add_f32_e32 v74, 0x358637bd, v77
	s_delay_alu instid0(VALU_DEP_1) | instskip(SKIP_1) | instid1(VALU_DEP_2)
	v_div_scale_f32 v98, null, v74, v74, 1.0
	v_div_scale_f32 v99, vcc_lo, 1.0, v74, 1.0
	v_rcp_f32_e32 v103, v98
	s_waitcnt_depctr 0xfff
	v_fma_f32 v70, -v98, v103, 1.0
	s_delay_alu instid0(VALU_DEP_1) | instskip(SKIP_2) | instid1(VALU_DEP_2)
	v_fmac_f32_e32 v103, v70, v103
	v_cndmask_b32_e64 v70, v71, v101, s4
	v_cmp_eq_u32_e64 s4, 6, v69
	v_cndmask_b32_e64 v71, v70, v100, s5
	s_delay_alu instid0(VALU_DEP_4) | instskip(NEXT) | instid1(VALU_DEP_2)
	v_dual_mul_f32 v101, v99, v103 :: v_dual_lshlrev_b32 v70, 2, v66
	v_cndmask_b32_e64 v71, v71, v97, s6
	s_delay_alu instid0(VALU_DEP_2) | instskip(NEXT) | instid1(VALU_DEP_3)
	v_or_b32_e32 v72, 1, v70
	v_fma_f32 v100, -v98, v101, v99
	v_cmp_eq_u32_e64 s5, 1, v70
	v_cmp_eq_u32_e64 s6, 2, v70
	v_cndmask_b32_e64 v95, v71, v95, s7
	v_or_b32_e32 v71, 3, v70
	v_fmac_f32_e32 v101, v100, v103
	v_cmp_eq_u32_e64 s10, 1, v72
	v_cmp_eq_u32_e64 s13, 2, v72
	v_cndmask_b32_e64 v94, v95, v94, s4
	v_cmp_eq_u32_e64 s12, 1, v71
	v_fma_f32 v97, -v98, v101, v99
	v_cmp_eq_u32_e64 s17, 2, v71
	v_cmp_eq_u32_e64 s15, 3, v72
	v_cndmask_b32_e64 v94, v94, v96, s8
	v_cmp_eq_u32_e64 s19, 3, v71
	v_div_fmas_f32 v95, v97, v103, v101
	v_cmp_eq_u32_e32 vcc_lo, 3, v70
	v_cmp_eq_u32_e64 s4, 4, v70
	v_cmp_eq_u32_e64 s20, 4, v72
	;; [unrolled: 1-line block ×3, first 2 shown]
	v_div_fixup_f32 v95, v95, v74, 1.0
	v_lshlrev_b32_e32 v73, 6, v68
	v_cmp_eq_u32_e64 s7, 5, v70
	v_cmp_eq_u32_e64 s21, 5, v72
	;; [unrolled: 1-line block ×3, first 2 shown]
	v_mul_f32_e32 v102, v94, v95
	v_lshl_or_b32 v75, v69, 11, v73
	v_or_b32_e32 v69, 2, v70
	v_cmp_eq_u32_e64 s26, 6, v72
	v_cmp_eq_u32_e64 s28, 6, v71
	v_fma_mixlo_f16 v94, v102, v79, 0
	v_fma_mixlo_f16 v95, v102, v81, 0
	v_fma_mixlo_f16 v96, v102, v83, 0
	v_fma_mixlo_f16 v97, v102, v85, 0
	v_fma_mixlo_f16 v98, v102, v87, 0
	v_fma_mixlo_f16 v99, v102, v89, 0
	v_fma_mixlo_f16 v100, v102, v91, 0
	v_fma_mixlo_f16 v101, v102, v93, 0
	v_lshl_or_b32 v74, v66, 4, v75
	v_fma_mixhi_f16 v94, v102, v78, 0
	v_fma_mixhi_f16 v95, v102, v80, 0
	;; [unrolled: 1-line block ×8, first 2 shown]
	ds_store_b128 v74, v[94:97]
	ds_store_b128 v74, v[98:101] offset:1024
	s_waitcnt lgkmcnt(0)
	s_barrier
	buffer_gl0_inv
	ds_load_b128 v[78:81], v75
	ds_load_b128 v[82:85], v75 offset:16
	ds_load_b128 v[86:89], v75 offset:1024
	;; [unrolled: 1-line block ×3, first 2 shown]
	v_cmp_eq_u32_e64 s11, 1, v69
	v_cmp_eq_u32_e64 s16, 2, v69
	;; [unrolled: 1-line block ×11, first 2 shown]
	s_waitcnt lgkmcnt(3)
	v_lshrrev_b32_e32 v94, 16, v78
	s_waitcnt lgkmcnt(2)
	v_lshrrev_b32_e32 v98, 16, v82
	;; [unrolled: 2-line block ×4, first 2 shown]
	v_lshrrev_b32_e32 v95, 16, v79
	v_cndmask_b32_e64 v110, v78, v94, s5
	v_cndmask_b32_e64 v111, v82, v98, s5
	;; [unrolled: 1-line block ×8, first 2 shown]
	v_lshrrev_b32_e32 v99, 16, v83
	v_cndmask_b32_e64 v94, v86, v102, s5
	v_cndmask_b32_e64 v98, v90, v106, s5
	;; [unrolled: 1-line block ×15, first 2 shown]
	v_lshrrev_b32_e32 v103, 16, v87
	v_lshrrev_b32_e32 v107, 16, v91
	v_cndmask_b32_e64 v113, v115, v83, s16
	v_cndmask_b32_e64 v82, v94, v87, s6
	;; [unrolled: 1-line block ×7, first 2 shown]
	v_cndmask_b32_e32 v90, v102, v95, vcc_lo
	v_cndmask_b32_e32 v102, v106, v99, vcc_lo
	v_cndmask_b32_e64 v106, v110, v95, s15
	v_cndmask_b32_e64 v110, v111, v99, s15
	;; [unrolled: 1-line block ×4, first 2 shown]
	v_lshrrev_b32_e32 v96, 16, v80
	v_lshrrev_b32_e32 v100, 16, v84
	v_cndmask_b32_e64 v111, v112, v95, s18
	v_cndmask_b32_e64 v112, v113, v99, s18
	v_cndmask_b32_e32 v82, v82, v103, vcc_lo
	v_cndmask_b32_e32 v83, v83, v107, vcc_lo
	v_cndmask_b32_e64 v94, v94, v103, s15
	v_cndmask_b32_e64 v90, v90, v80, s4
	;; [unrolled: 1-line block ×7, first 2 shown]
	v_lshrrev_b32_e32 v104, 16, v88
	v_cndmask_b32_e64 v106, v111, v80, s22
	v_cndmask_b32_e64 v110, v112, v84, s22
	;; [unrolled: 1-line block ×11, first 2 shown]
	v_lshrrev_b32_e32 v97, 16, v81
	v_lshrrev_b32_e32 v101, 16, v85
	v_cndmask_b32_e64 v99, v106, v96, s24
	v_cndmask_b32_e64 v102, v110, v100, s24
	;; [unrolled: 1-line block ×7, first 2 shown]
	v_lshrrev_b32_e32 v105, 16, v89
	v_cndmask_b32_e64 v80, v80, v104, s7
	v_cndmask_b32_e64 v84, v84, v81, s8
	;; [unrolled: 1-line block ×16, first 2 shown]
	v_perm_b32 v81, v79, v78, 0x5040100
	v_perm_b32 v79, v95, v85, 0x5040100
	v_cndmask_b32_e64 v78, v119, v91, s16
	v_cndmask_b32_e64 v85, v117, v91, s13
	;; [unrolled: 1-line block ×3, first 2 shown]
	v_perm_b32 v80, v94, v90, 0x5040100
	v_cndmask_b32_e64 v90, v98, v103, s18
	v_cndmask_b32_e64 v86, v86, v103, s19
	;; [unrolled: 1-line block ×5, first 2 shown]
	v_lshrrev_b32_e32 v108, 16, v92
	v_cndmask_b32_e64 v90, v90, v88, s22
	v_cndmask_b32_e64 v86, v86, v88, s23
	;; [unrolled: 1-line block ×11, first 2 shown]
	v_lshrrev_b32_e32 v109, 16, v93
	v_cndmask_b32_e64 v82, v82, v93, s8
	v_cndmask_b32_e64 v88, v88, v89, s27
	;; [unrolled: 1-line block ×12, first 2 shown]
	v_perm_b32 v78, v84, v83, 0x5040100
	v_perm_b32 v85, v87, v86, 0x5040100
	;; [unrolled: 1-line block ×5, first 2 shown]
	s_mul_i32 s9, s35, 13
	s_mov_b32 s4, exec_lo
	ds_store_b128 v74, v[78:81]
	ds_store_b128 v74, v[82:85] offset:1024
	v_cmpx_gt_u32_e32 13, v0
	s_cbranch_execz .LBB1210_14
; %bb.13:
	s_mul_i32 s5, s9, s34
	s_load_b128 s[16:19], s[0:1], 0x58
	v_add3_u32 v68, s5, s33, v68
	s_delay_alu instid0(VALU_DEP_1) | instskip(NEXT) | instid1(VALU_DEP_1)
	v_mad_u64_u32 v[78:79], null, v68, s36, s[14:15]
	v_ashrrev_i32_e32 v79, 31, v78
	s_delay_alu instid0(VALU_DEP_1) | instskip(SKIP_1) | instid1(VALU_DEP_1)
	v_lshlrev_b64 v[78:79], 2, v[78:79]
	s_waitcnt lgkmcnt(0)
	v_add_co_u32 v80, vcc_lo, s18, v78
	s_delay_alu instid0(VALU_DEP_2)
	v_add_co_ci_u32_e32 v81, vcc_lo, s19, v79, vcc_lo
	v_add_co_u32 v78, vcc_lo, s16, v78
	v_add_co_ci_u32_e32 v79, vcc_lo, s17, v79, vcc_lo
	global_store_b32 v[80:81], v76, off
	global_store_b32 v[78:79], v77, off
.LBB1210_14:
	s_or_b32 exec_lo, exec_lo, s4
	s_waitcnt lgkmcnt(0)
	s_waitcnt_vscnt null, 0x0
	s_barrier
	buffer_gl0_inv
	ds_load_b128 v[84:87], v73
	ds_load_b128 v[88:91], v73 offset:16
	ds_load_b128 v[96:99], v73 offset:2064
	;; [unrolled: 1-line block ×5, first 2 shown]
	v_cmp_eq_u32_e32 vcc_lo, 1, v70
	v_mov_b32_e32 v76, 0
	ds_load_b128 v[112:115], v73 offset:6160
	ds_load_b128 v[108:111], v73 offset:6144
	;; [unrolled: 1-line block ×4, first 2 shown]
	v_cmp_eq_u32_e64 s5, 1, v69
	v_cmp_eq_u32_e64 s4, 1, v72
	;; [unrolled: 1-line block ×3, first 2 shown]
	v_mov_b32_e32 v77, v76
	v_mov_b32_e32 v78, v76
	;; [unrolled: 1-line block ×7, first 2 shown]
	v_cmp_eq_u32_e64 s7, 3, v72
	v_cmp_eq_u32_e64 s8, 7, v72
	s_waitcnt lgkmcnt(8)
	s_delay_alu instid0(VALU_DEP_3)
	v_wmma_f32_16x16x16_f16 v[76:83], v[49:56], v[84:91], v[76:83]
	ds_load_b128 v[53:56], v73 offset:10256
	ds_load_b128 v[49:52], v73 offset:10240
	s_waitcnt lgkmcnt(8)
	v_wmma_f32_16x16x16_f16 v[76:83], v[41:48], v[92:99], v[76:83]
	ds_load_b128 v[45:48], v73 offset:12304
	ds_load_b128 v[41:44], v73 offset:12288
	s_waitcnt lgkmcnt(8)
	;; [unrolled: 4-line block ×3, first 2 shown]
	s_barrier
	buffer_gl0_inv
	v_wmma_f32_16x16x16_f16 v[76:83], v[1:8], v[108:115], v[76:83]
	s_delay_alu instid0(VALU_DEP_1) | instskip(NEXT) | instid1(VALU_DEP_1)
	v_wmma_f32_16x16x16_f16 v[76:83], v[9:16], v[116:123], v[76:83]
	v_wmma_f32_16x16x16_f16 v[76:83], v[17:24], v[49:56], v[76:83]
	s_delay_alu instid0(VALU_DEP_1) | instskip(NEXT) | instid1(VALU_DEP_1)
	v_wmma_f32_16x16x16_f16 v[76:83], v[25:32], v[41:48], v[76:83]
	v_wmma_f32_16x16x16_f16 v[76:83], v[57:64], v[33:40], v[76:83]
	s_delay_alu instid0(VALU_DEP_1) | instskip(NEXT) | instid1(VALU_DEP_2)
	v_cvt_f16_f32_e32 v1, v76
	v_cvt_f16_f32_e32 v2, v77
	s_delay_alu instid0(VALU_DEP_3) | instskip(NEXT) | instid1(VALU_DEP_4)
	v_cvt_f16_f32_e32 v3, v78
	v_cvt_f16_f32_e32 v4, v79
	;; [unrolled: 1-line block ×6, first 2 shown]
	v_pack_b32_f16 v1, v1, v2
	v_pack_b32_f16 v2, v3, v4
	;; [unrolled: 1-line block ×3, first 2 shown]
	s_delay_alu instid0(VALU_DEP_4)
	v_pack_b32_f16 v4, v7, v8
	ds_store_b128 v74, v[1:4]
	s_waitcnt lgkmcnt(0)
	s_barrier
	buffer_gl0_inv
	ds_load_b128 v[1:4], v75
	ds_load_b128 v[5:8], v75 offset:16
	s_waitcnt lgkmcnt(1)
	v_lshrrev_b32_e32 v9, 16, v1
	s_waitcnt lgkmcnt(0)
	v_lshrrev_b32_e32 v13, 16, v5
	v_lshrrev_b32_e32 v10, 16, v2
	;; [unrolled: 1-line block ×4, first 2 shown]
	v_cndmask_b32_e32 v17, v1, v9, vcc_lo
	v_cndmask_b32_e32 v18, v5, v13, vcc_lo
	v_cndmask_b32_e64 v21, v1, v9, s5
	v_cmp_eq_u32_e32 vcc_lo, 1, v71
	v_cndmask_b32_e64 v22, v5, v13, s5
	v_cmp_eq_u32_e64 s5, 2, v70
	v_cndmask_b32_e64 v19, v1, v9, s4
	v_cndmask_b32_e64 v20, v5, v13, s4
	v_cndmask_b32_e32 v1, v1, v9, vcc_lo
	v_cmp_eq_u32_e64 s4, 2, v71
	v_cndmask_b32_e32 v5, v5, v13, vcc_lo
	v_cndmask_b32_e64 v9, v17, v2, s5
	v_cmp_eq_u32_e32 vcc_lo, 3, v70
	v_cndmask_b32_e64 v13, v18, v6, s5
	v_cmp_eq_u32_e64 s5, 2, v69
	v_cndmask_b32_e64 v17, v19, v2, s6
	v_cndmask_b32_e64 v18, v20, v6, s6
	v_cmp_eq_u32_e64 s6, 3, v69
	v_cndmask_b32_e64 v1, v1, v2, s4
	v_cndmask_b32_e64 v19, v21, v2, s5
	;; [unrolled: 1-line block ×4, first 2 shown]
	v_cndmask_b32_e32 v5, v9, v10, vcc_lo
	v_cndmask_b32_e32 v6, v13, v14, vcc_lo
	v_cmp_eq_u32_e32 vcc_lo, 3, v71
	v_cndmask_b32_e64 v9, v17, v10, s7
	v_cndmask_b32_e64 v13, v18, v14, s7
	;; [unrolled: 1-line block ×3, first 2 shown]
	v_cmp_eq_u32_e64 s5, 4, v70
	v_cndmask_b32_e32 v1, v1, v10, vcc_lo
	v_cndmask_b32_e32 v2, v2, v14, vcc_lo
	v_cmp_eq_u32_e32 vcc_lo, 4, v72
	v_lshrrev_b32_e32 v15, 16, v7
	v_lshrrev_b32_e32 v16, 16, v8
	v_cndmask_b32_e64 v17, v19, v10, s6
	v_cmp_eq_u32_e64 s4, 4, v71
	v_cndmask_b32_e64 v5, v5, v3, s5
	v_cndmask_b32_e64 v6, v6, v7, s5
	v_cndmask_b32_e32 v9, v9, v3, vcc_lo
	v_cmp_eq_u32_e64 s5, 5, v72
	v_cndmask_b32_e32 v10, v13, v7, vcc_lo
	v_cmp_eq_u32_e32 vcc_lo, 4, v69
	v_cmp_eq_u32_e64 s6, 5, v70
	v_cndmask_b32_e64 v2, v2, v7, s4
	v_cndmask_b32_e64 v9, v9, v11, s5
	;; [unrolled: 1-line block ×3, first 2 shown]
	v_cndmask_b32_e32 v13, v17, v3, vcc_lo
	v_cmp_eq_u32_e64 s5, 5, v69
	v_cndmask_b32_e32 v14, v18, v7, vcc_lo
	v_cndmask_b32_e64 v1, v1, v3, s4
	v_cmp_eq_u32_e32 vcc_lo, 5, v71
	v_lshrrev_b32_e32 v12, 16, v4
	v_cndmask_b32_e64 v13, v13, v11, s5
	v_cndmask_b32_e64 v3, v14, v15, s5
	v_cmp_eq_u32_e64 s5, 6, v71
	v_cndmask_b32_e32 v1, v1, v11, vcc_lo
	v_cndmask_b32_e64 v5, v5, v11, s6
	v_cmp_eq_u32_e64 s7, 6, v70
	v_cndmask_b32_e64 v6, v6, v15, s6
	v_cmp_eq_u32_e64 s6, 6, v72
	v_cmp_eq_u32_e64 s4, 6, v69
	v_cndmask_b32_e64 v1, v1, v4, s5
	v_cndmask_b32_e32 v2, v2, v15, vcc_lo
	v_cmp_eq_u32_e32 vcc_lo, 7, v71
	v_cndmask_b32_e64 v5, v5, v4, s7
	v_cndmask_b32_e64 v9, v9, v4, s6
	v_cndmask_b32_e64 v6, v6, v8, s7
	v_cmp_eq_u32_e64 s7, 7, v70
	v_cndmask_b32_e32 v1, v1, v12, vcc_lo
	v_cndmask_b32_e64 v7, v13, v4, s4
	v_cndmask_b32_e64 v3, v3, v8, s4
	;; [unrolled: 1-line block ×3, first 2 shown]
	v_cmp_eq_u32_e64 s4, 7, v69
	v_cndmask_b32_e64 v4, v10, v8, s6
	v_cndmask_b32_e64 v5, v5, v12, s7
	;; [unrolled: 1-line block ×3, first 2 shown]
	v_cndmask_b32_e32 v2, v2, v16, vcc_lo
	v_cndmask_b32_e64 v7, v7, v12, s4
	v_cndmask_b32_e64 v3, v3, v16, s4
	;; [unrolled: 1-line block ×4, first 2 shown]
	v_cmp_gt_u32_e32 vcc_lo, 32, v0
	v_perm_b32 v4, v2, v1, 0x5040100
	v_perm_b32 v3, v3, v7, 0x5040100
	;; [unrolled: 1-line block ×4, first 2 shown]
	s_and_b32 s2, vcc_lo, s2
	ds_store_b128 v74, v[1:4]
	s_waitcnt lgkmcnt(0)
	s_barrier
	buffer_gl0_inv
	s_and_saveexec_b32 s4, s2
	s_cbranch_execz .LBB1210_2
; %bb.15:
	s_load_b64 s[4:5], s[0:1], 0x68
	v_lshlrev_b32_e32 v0, 10, v0
	v_lshlrev_b32_e32 v1, 4, v67
	s_lshl_b32 s0, s36, 6
	v_add_nc_u32_e32 v18, s33, v66
	s_mul_i32 s1, s0, s34
	s_delay_alu instid0(VALU_DEP_2) | instskip(SKIP_1) | instid1(VALU_DEP_2)
	v_and_or_b32 v0, 0x3800, v0, v1
	s_mul_i32 s6, s1, s9
	v_mul_lo_u32 v1, v18, s0
	s_ashr_i32 s7, s6, 31
	v_add_nc_u32_e32 v2, 2, v18
	v_lshl_or_b32 v19, v66, 6, v0
	s_lshl_b64 s[6:7], s[6:7], 1
	v_add_nc_u32_e32 v8, 4, v18
	v_add_nc_u32_e32 v15, 6, v18
	v_mul_lo_u32 v7, v2, s0
	ds_load_b128 v[3:6], v19
	v_ashrrev_i32_e32 v2, 31, v1
	v_mul_lo_u32 v11, v8, s0
	s_waitcnt lgkmcnt(0)
	s_add_u32 s1, s4, s6
	s_addc_u32 s2, s5, s7
	s_lshl_b32 s4, s14, 6
	v_lshlrev_b64 v[9:10], 1, v[1:2]
	s_ashr_i32 s5, s4, 31
	v_ashrrev_i32_e32 v8, 31, v7
	s_lshl_b64 s[4:5], s[4:5], 1
	v_ashrrev_i32_e32 v12, 31, v11
	s_add_u32 s1, s1, s4
	s_addc_u32 s2, s2, s5
	v_add_co_u32 v1, s1, s1, v65
	s_delay_alu instid0(VALU_DEP_1) | instskip(SKIP_1) | instid1(VALU_DEP_3)
	v_add_co_ci_u32_e64 v2, null, s2, 0, s1
	v_mul_lo_u32 v15, v15, s0
	v_add_co_u32 v13, vcc_lo, v1, v9
	s_delay_alu instid0(VALU_DEP_3)
	v_add_co_ci_u32_e32 v14, vcc_lo, v2, v10, vcc_lo
	v_lshlrev_b64 v[16:17], 1, v[7:8]
	ds_load_b128 v[7:10], v19 offset:128
	global_store_b128 v[13:14], v[3:6], off
	v_add_nc_u32_e32 v5, 8, v18
	v_lshlrev_b64 v[3:4], 1, v[11:12]
	v_add_co_u32 v23, vcc_lo, v1, v16
	v_ashrrev_i32_e32 v16, 31, v15
	s_delay_alu instid0(VALU_DEP_4) | instskip(SKIP_3) | instid1(VALU_DEP_3)
	v_mul_lo_u32 v25, v5, s0
	v_add_nc_u32_e32 v5, 10, v18
	v_add_co_ci_u32_e32 v24, vcc_lo, v2, v17, vcc_lo
	v_add_co_u32 v27, vcc_lo, v1, v3
	v_mul_lo_u32 v29, v5, s0
	v_add_co_ci_u32_e32 v28, vcc_lo, v2, v4, vcc_lo
	v_lshlrev_b64 v[31:32], 1, v[15:16]
	ds_load_b128 v[3:6], v19 offset:256
	ds_load_b128 v[11:14], v19 offset:384
	;; [unrolled: 1-line block ×4, first 2 shown]
	v_ashrrev_i32_e32 v26, 31, v25
	v_ashrrev_i32_e32 v30, 31, v29
	v_add_co_u32 v31, vcc_lo, v1, v31
	s_delay_alu instid0(VALU_DEP_3) | instskip(SKIP_1) | instid1(VALU_DEP_4)
	v_lshlrev_b64 v[25:26], 1, v[25:26]
	v_add_co_ci_u32_e32 v32, vcc_lo, v2, v32, vcc_lo
	v_lshlrev_b64 v[29:30], 1, v[29:30]
	s_delay_alu instid0(VALU_DEP_3) | instskip(NEXT) | instid1(VALU_DEP_4)
	v_add_co_u32 v25, vcc_lo, v1, v25
	v_add_co_ci_u32_e32 v26, vcc_lo, v2, v26, vcc_lo
	s_delay_alu instid0(VALU_DEP_3) | instskip(NEXT) | instid1(VALU_DEP_4)
	v_add_co_u32 v29, vcc_lo, v1, v29
	v_add_co_ci_u32_e32 v30, vcc_lo, v2, v30, vcc_lo
	s_waitcnt lgkmcnt(4)
	global_store_b128 v[23:24], v[7:10], off
	s_waitcnt lgkmcnt(3)
	global_store_b128 v[27:28], v[3:6], off
	;; [unrolled: 2-line block ×5, first 2 shown]
	s_and_b32 exec_lo, exec_lo, s3
	s_cbranch_execz .LBB1210_2
; %bb.16:
	ds_load_b128 v[3:6], v0 offset:768
	s_add_i32 s1, s33, 12
	s_delay_alu instid0(SALU_CYCLE_1) | instskip(NEXT) | instid1(SALU_CYCLE_1)
	s_mul_i32 s0, s1, s0
	s_ashr_i32 s1, s0, 31
	s_delay_alu instid0(SALU_CYCLE_1) | instskip(NEXT) | instid1(SALU_CYCLE_1)
	s_lshl_b64 s[0:1], s[0:1], 1
	v_add_co_u32 v0, vcc_lo, v1, s0
	v_add_co_ci_u32_e32 v1, vcc_lo, s1, v2, vcc_lo
	s_waitcnt lgkmcnt(0)
	global_store_b128 v[0:1], v[3:6], off
	s_nop 0
	s_sendmsg sendmsg(MSG_DEALLOC_VGPRS)
	s_endpgm
	.section	.rodata,"a",@progbits
	.p2align	6, 0x0
	.amdhsa_kernel _Z39paged_attention_ll4mi_QKV_mfma16_kernelIDF16_hLN4vllm18Fp8KVCacheDataTypeE1EDF16_Li32ELi64ELi256ELb0ELi13EL8MFMAType0EEvPKT_PKT0_S8_ifPKiSA_SA_iPKfiiiPfSD_PS3_PT2_iSC_SC_
		.amdhsa_group_segment_fixed_size 17472
		.amdhsa_private_segment_fixed_size 0
		.amdhsa_kernarg_size 400
		.amdhsa_user_sgpr_count 13
		.amdhsa_user_sgpr_dispatch_ptr 0
		.amdhsa_user_sgpr_queue_ptr 0
		.amdhsa_user_sgpr_kernarg_segment_ptr 1
		.amdhsa_user_sgpr_dispatch_id 0
		.amdhsa_user_sgpr_private_segment_size 0
		.amdhsa_wavefront_size32 1
		.amdhsa_uses_dynamic_stack 0
		.amdhsa_enable_private_segment 0
		.amdhsa_system_sgpr_workgroup_id_x 1
		.amdhsa_system_sgpr_workgroup_id_y 1
		.amdhsa_system_sgpr_workgroup_id_z 1
		.amdhsa_system_sgpr_workgroup_info 0
		.amdhsa_system_vgpr_workitem_id 0
		.amdhsa_next_free_vgpr 146
		.amdhsa_next_free_sgpr 37
		.amdhsa_reserve_vcc 1
		.amdhsa_float_round_mode_32 0
		.amdhsa_float_round_mode_16_64 0
		.amdhsa_float_denorm_mode_32 3
		.amdhsa_float_denorm_mode_16_64 3
		.amdhsa_dx10_clamp 1
		.amdhsa_ieee_mode 1
		.amdhsa_fp16_overflow 0
		.amdhsa_workgroup_processor_mode 1
		.amdhsa_memory_ordered 1
		.amdhsa_forward_progress 0
		.amdhsa_shared_vgpr_count 0
		.amdhsa_exception_fp_ieee_invalid_op 0
		.amdhsa_exception_fp_denorm_src 0
		.amdhsa_exception_fp_ieee_div_zero 0
		.amdhsa_exception_fp_ieee_overflow 0
		.amdhsa_exception_fp_ieee_underflow 0
		.amdhsa_exception_fp_ieee_inexact 0
		.amdhsa_exception_int_div_zero 0
	.end_amdhsa_kernel
	.section	.text._Z39paged_attention_ll4mi_QKV_mfma16_kernelIDF16_hLN4vllm18Fp8KVCacheDataTypeE1EDF16_Li32ELi64ELi256ELb0ELi13EL8MFMAType0EEvPKT_PKT0_S8_ifPKiSA_SA_iPKfiiiPfSD_PS3_PT2_iSC_SC_,"axG",@progbits,_Z39paged_attention_ll4mi_QKV_mfma16_kernelIDF16_hLN4vllm18Fp8KVCacheDataTypeE1EDF16_Li32ELi64ELi256ELb0ELi13EL8MFMAType0EEvPKT_PKT0_S8_ifPKiSA_SA_iPKfiiiPfSD_PS3_PT2_iSC_SC_,comdat
.Lfunc_end1210:
	.size	_Z39paged_attention_ll4mi_QKV_mfma16_kernelIDF16_hLN4vllm18Fp8KVCacheDataTypeE1EDF16_Li32ELi64ELi256ELb0ELi13EL8MFMAType0EEvPKT_PKT0_S8_ifPKiSA_SA_iPKfiiiPfSD_PS3_PT2_iSC_SC_, .Lfunc_end1210-_Z39paged_attention_ll4mi_QKV_mfma16_kernelIDF16_hLN4vllm18Fp8KVCacheDataTypeE1EDF16_Li32ELi64ELi256ELb0ELi13EL8MFMAType0EEvPKT_PKT0_S8_ifPKiSA_SA_iPKfiiiPfSD_PS3_PT2_iSC_SC_
                                        ; -- End function
	.section	.AMDGPU.csdata,"",@progbits
; Kernel info:
; codeLenInByte = 6700
; NumSgprs: 39
; NumVgprs: 146
; ScratchSize: 0
; MemoryBound: 0
; FloatMode: 240
; IeeeMode: 1
; LDSByteSize: 17472 bytes/workgroup (compile time only)
; SGPRBlocks: 4
; VGPRBlocks: 18
; NumSGPRsForWavesPerEU: 39
; NumVGPRsForWavesPerEU: 146
; Occupancy: 9
; WaveLimiterHint : 1
; COMPUTE_PGM_RSRC2:SCRATCH_EN: 0
; COMPUTE_PGM_RSRC2:USER_SGPR: 13
; COMPUTE_PGM_RSRC2:TRAP_HANDLER: 0
; COMPUTE_PGM_RSRC2:TGID_X_EN: 1
; COMPUTE_PGM_RSRC2:TGID_Y_EN: 1
; COMPUTE_PGM_RSRC2:TGID_Z_EN: 1
; COMPUTE_PGM_RSRC2:TIDIG_COMP_CNT: 0
	.section	.text._Z39paged_attention_ll4mi_QKV_mfma16_kernelIDF16_hLN4vllm18Fp8KVCacheDataTypeE1EDF16_Li32ELi64ELi256ELb0ELi14EL8MFMAType0EEvPKT_PKT0_S8_ifPKiSA_SA_iPKfiiiPfSD_PS3_PT2_iSC_SC_,"axG",@progbits,_Z39paged_attention_ll4mi_QKV_mfma16_kernelIDF16_hLN4vllm18Fp8KVCacheDataTypeE1EDF16_Li32ELi64ELi256ELb0ELi14EL8MFMAType0EEvPKT_PKT0_S8_ifPKiSA_SA_iPKfiiiPfSD_PS3_PT2_iSC_SC_,comdat
	.protected	_Z39paged_attention_ll4mi_QKV_mfma16_kernelIDF16_hLN4vllm18Fp8KVCacheDataTypeE1EDF16_Li32ELi64ELi256ELb0ELi14EL8MFMAType0EEvPKT_PKT0_S8_ifPKiSA_SA_iPKfiiiPfSD_PS3_PT2_iSC_SC_ ; -- Begin function _Z39paged_attention_ll4mi_QKV_mfma16_kernelIDF16_hLN4vllm18Fp8KVCacheDataTypeE1EDF16_Li32ELi64ELi256ELb0ELi14EL8MFMAType0EEvPKT_PKT0_S8_ifPKiSA_SA_iPKfiiiPfSD_PS3_PT2_iSC_SC_
	.globl	_Z39paged_attention_ll4mi_QKV_mfma16_kernelIDF16_hLN4vllm18Fp8KVCacheDataTypeE1EDF16_Li32ELi64ELi256ELb0ELi14EL8MFMAType0EEvPKT_PKT0_S8_ifPKiSA_SA_iPKfiiiPfSD_PS3_PT2_iSC_SC_
	.p2align	8
	.type	_Z39paged_attention_ll4mi_QKV_mfma16_kernelIDF16_hLN4vllm18Fp8KVCacheDataTypeE1EDF16_Li32ELi64ELi256ELb0ELi14EL8MFMAType0EEvPKT_PKT0_S8_ifPKiSA_SA_iPKfiiiPfSD_PS3_PT2_iSC_SC_,@function
_Z39paged_attention_ll4mi_QKV_mfma16_kernelIDF16_hLN4vllm18Fp8KVCacheDataTypeE1EDF16_Li32ELi64ELi256ELb0ELi14EL8MFMAType0EEvPKT_PKT0_S8_ifPKiSA_SA_iPKfiiiPfSD_PS3_PT2_iSC_SC_: ; @_Z39paged_attention_ll4mi_QKV_mfma16_kernelIDF16_hLN4vllm18Fp8KVCacheDataTypeE1EDF16_Li32ELi64ELi256ELb0ELi14EL8MFMAType0EEvPKT_PKT0_S8_ifPKiSA_SA_iPKfiiiPfSD_PS3_PT2_iSC_SC_
; %bb.0:
	s_load_b64 s[2:3], s[0:1], 0x30
	s_mov_b32 s34, s13
	s_waitcnt lgkmcnt(0)
	s_cmp_lg_u64 s[2:3], 0
	s_cselect_b32 s6, -1, 0
	s_ashr_i32 s35, s13, 31
	s_cmp_eq_u64 s[2:3], 0
	s_cbranch_scc1 .LBB1211_3
; %bb.1:
	s_lshl_b64 s[4:5], s[34:35], 2
	s_delay_alu instid0(SALU_CYCLE_1) | instskip(SKIP_4) | instid1(SALU_CYCLE_1)
	s_add_u32 s4, s2, s4
	s_addc_u32 s5, s3, s5
	s_load_b64 s[4:5], s[4:5], 0x0
	s_waitcnt lgkmcnt(0)
	s_sub_i32 s4, s5, s4
	s_cmp_eq_u32 s4, 1
	s_cselect_b32 s4, -1, 0
	s_delay_alu instid0(SALU_CYCLE_1)
	s_and_not1_b32 vcc_lo, exec_lo, s4
	s_cbranch_vccz .LBB1211_4
.LBB1211_2:
	s_endpgm
.LBB1211_3:
.LBB1211_4:
	s_load_b64 s[8:9], s[0:1], 0x28
	s_lshl_b64 s[4:5], s[34:35], 2
	s_waitcnt lgkmcnt(0)
	s_add_u32 s8, s8, s4
	s_addc_u32 s9, s9, s5
	s_lshl_b32 s16, s14, 8
	s_load_b32 s18, s[8:9], 0x0
	s_waitcnt lgkmcnt(0)
	s_cmp_ge_i32 s16, s18
	s_cbranch_scc1 .LBB1211_2
; %bb.5:
	s_clause 0x1
	s_load_b128 s[8:11], s[0:1], 0x8
	s_load_b64 s[12:13], s[0:1], 0x20
	s_and_not1_b32 vcc_lo, exec_lo, s6
	s_cbranch_vccnz .LBB1211_7
; %bb.6:
	s_add_u32 s2, s2, s4
	s_addc_u32 s3, s3, s5
	s_load_b32 s3, s[2:3], 0x0
	s_branch .LBB1211_8
.LBB1211_7:
	s_mov_b32 s3, s34
.LBB1211_8:
	s_load_b128 s[4:7], s[0:1], 0x48
	v_and_b32_e32 v68, 15, v0
	v_cmp_gt_u32_e32 vcc_lo, 0xe0, v0
	v_lshrrev_b32_e32 v69, 5, v0
	v_and_b32_e32 v70, 31, v0
	v_and_b32_e32 v67, 1, v0
	v_lshlrev_b32_e32 v1, 3, v68
	v_cmp_gt_u32_e64 s2, 8, v68
	v_bfe_u32 v66, v0, 4, 1
	s_mul_i32 s31, s15, 14
	s_delay_alu instid0(VALU_DEP_3) | instskip(NEXT) | instid1(VALU_DEP_3)
	v_lshlrev_b32_e32 v65, 1, v1
	s_and_b32 s17, vcc_lo, s2
	s_waitcnt lgkmcnt(0)
	s_and_saveexec_b32 s7, s17
	s_cbranch_execz .LBB1211_10
; %bb.9:
	s_load_b64 s[20:21], s[0:1], 0x0
	v_lshl_or_b32 v5, v69, 1, v66
	s_mul_hi_i32 s23, s3, s4
	s_mul_i32 s22, s3, s4
	v_lshlrev_b32_e32 v6, 10, v68
	s_lshl_b64 s[22:23], s[22:23], 1
	v_add_lshl_u32 v1, v5, s31, 6
	v_lshlrev_b32_e32 v5, 6, v5
	v_lshlrev_b32_e32 v7, 10, v67
	v_and_b32_e32 v6, 0x3800, v6
	s_delay_alu instid0(VALU_DEP_4) | instskip(NEXT) | instid1(VALU_DEP_2)
	v_ashrrev_i32_e32 v2, 31, v1
	v_or3_b32 v5, v6, v7, v5
	s_delay_alu instid0(VALU_DEP_2) | instskip(SKIP_3) | instid1(VALU_DEP_1)
	v_lshlrev_b64 v[1:2], 1, v[1:2]
	s_waitcnt lgkmcnt(0)
	s_add_u32 s3, s20, s22
	s_addc_u32 s4, s21, s23
	v_add_co_u32 v1, vcc_lo, s3, v1
	s_delay_alu instid0(VALU_DEP_2) | instskip(NEXT) | instid1(VALU_DEP_2)
	v_add_co_ci_u32_e32 v2, vcc_lo, s4, v2, vcc_lo
	v_add_co_u32 v1, vcc_lo, v1, v65
	s_delay_alu instid0(VALU_DEP_2)
	v_add_co_ci_u32_e32 v2, vcc_lo, 0, v2, vcc_lo
	global_load_b128 v[1:4], v[1:2], off
	s_waitcnt vmcnt(0)
	ds_store_b128 v5, v[1:4]
.LBB1211_10:
	s_or_b32 exec_lo, exec_lo, s7
	v_and_b32_e32 v1, 0xef, v0
	s_add_i32 s3, s18, 31
	s_clause 0x1
	s_load_b32 s4, s[0:1], 0x38
	s_load_b32 s33, s[0:1], 0x98
	s_ashr_i32 s7, s3, 31
	v_add_nc_u32_e32 v1, s16, v1
	s_lshr_b32 s7, s7, 27
	s_load_b32 s19, s[0:1], 0x1c
	v_add_nc_u32_e32 v103, -14, v68
	s_add_i32 s3, s3, s7
	v_ashrrev_i32_e32 v2, 31, v1
	v_or_b32_e32 v3, 16, v1
	s_ashr_i32 s3, s3, 5
	v_cmp_gt_i32_e32 vcc_lo, s18, v1
	s_add_i32 s3, s3, -1
	v_lshrrev_b32_e32 v2, 27, v2
	s_waitcnt lgkmcnt(0)
	s_barrier
	buffer_gl0_inv
	s_mul_i32 s15, s15, s6
	v_add_nc_u32_e32 v4, v1, v2
	v_mbcnt_lo_u32_b32 v127, -1, 0
	s_mul_i32 s20, s34, s4
	s_delay_alu instid0(SALU_CYCLE_1) | instskip(NEXT) | instid1(VALU_DEP_2)
	s_ashr_i32 s21, s20, 31
	v_ashrrev_i32_e32 v4, 5, v4
	v_add_nc_u32_e32 v2, v3, v2
	s_lshl_b64 s[20:21], s[20:21], 2
	v_xor_b32_e32 v128, 16, v127
	s_add_u32 s17, s12, s20
	v_cndmask_b32_e32 v1, s3, v4, vcc_lo
	v_ashrrev_i32_e32 v2, 5, v2
	v_cmp_gt_i32_e32 vcc_lo, s18, v3
	s_addc_u32 s13, s13, s21
	s_ashr_i32 s20, s15, 31
	s_add_u32 s22, s8, s15
	s_addc_u32 s23, s9, s20
	v_cndmask_b32_e32 v3, s3, v2, vcc_lo
	v_ashrrev_i32_e32 v2, 31, v1
	s_lshl_b32 s6, s14, 3
	s_delay_alu instid0(SALU_CYCLE_1) | instskip(NEXT) | instid1(VALU_DEP_2)
	s_ashr_i32 s7, s6, 31
	v_ashrrev_i32_e32 v4, 31, v3
	s_delay_alu instid0(VALU_DEP_2) | instskip(SKIP_1) | instid1(SALU_CYCLE_1)
	v_lshlrev_b64 v[1:2], 2, v[1:2]
	s_lshl_b64 s[6:7], s[6:7], 2
	s_add_u32 s6, s17, s6
	s_delay_alu instid0(VALU_DEP_2) | instskip(SKIP_1) | instid1(VALU_DEP_2)
	v_lshlrev_b64 v[3:4], 2, v[3:4]
	s_addc_u32 s7, s13, s7
	v_add_co_u32 v1, vcc_lo, s17, v1
	v_add_co_ci_u32_e32 v2, vcc_lo, s13, v2, vcc_lo
	s_delay_alu instid0(VALU_DEP_3) | instskip(NEXT) | instid1(VALU_DEP_4)
	v_add_co_u32 v3, vcc_lo, s17, v3
	v_add_co_ci_u32_e32 v4, vcc_lo, s13, v4, vcc_lo
	s_clause 0x1
	global_load_b32 v5, v[1:2], off
	global_load_b32 v6, v[3:4], off
	s_or_b32 s4, s16, 32
	s_delay_alu instid0(SALU_CYCLE_1) | instskip(SKIP_2) | instid1(SALU_CYCLE_1)
	s_ashr_i32 s8, s4, 5
	s_cmp_lt_i32 s4, s18
	s_cselect_b32 s8, s8, s3
	s_ashr_i32 s9, s8, 31
	s_delay_alu instid0(SALU_CYCLE_1) | instskip(NEXT) | instid1(SALU_CYCLE_1)
	s_lshl_b64 s[8:9], s[8:9], 2
	s_add_u32 s8, s17, s8
	s_addc_u32 s9, s13, s9
	s_or_b32 s4, s16, 64
	s_delay_alu instid0(SALU_CYCLE_1) | instskip(SKIP_2) | instid1(SALU_CYCLE_1)
	s_ashr_i32 s12, s4, 5
	s_cmp_lt_i32 s4, s18
	s_cselect_b32 s24, s12, s3
	s_ashr_i32 s25, s24, 31
	s_delay_alu instid0(SALU_CYCLE_1) | instskip(NEXT) | instid1(SALU_CYCLE_1)
	s_lshl_b64 s[24:25], s[24:25], 2
	s_add_u32 s24, s17, s24
	s_addc_u32 s25, s13, s25
	;; [unrolled: 10-line block ×5, first 2 shown]
	s_clause 0x5
	s_load_b32 s12, s[6:7], 0x0
	s_load_b32 s4, s[8:9], 0x0
	;; [unrolled: 1-line block ×6, first 2 shown]
	s_or_b32 s21, s16, 0xc0
	s_waitcnt vmcnt(1)
	v_mad_i64_i32 v[1:2], null, v5, s5, s[22:23]
	v_lshlrev_b32_e32 v5, 4, v68
	s_waitcnt vmcnt(0)
	v_mad_i64_i32 v[3:4], null, v6, s5, s[22:23]
	s_ashr_i32 s22, s21, 5
	s_cmp_lt_i32 s21, s18
	s_delay_alu instid0(VALU_DEP_3) | instskip(NEXT) | instid1(VALU_DEP_4)
	v_add_co_u32 v1, vcc_lo, v1, v5
	v_add_co_ci_u32_e32 v2, vcc_lo, 0, v2, vcc_lo
	s_delay_alu instid0(VALU_DEP_3) | instskip(NEXT) | instid1(VALU_DEP_4)
	v_add_co_u32 v3, vcc_lo, v3, v5
	v_add_co_ci_u32_e32 v4, vcc_lo, 0, v4, vcc_lo
	s_clause 0x7
	global_load_b128 v[71:74], v[1:2], off
	global_load_b128 v[75:78], v[1:2], off offset:512
	global_load_b128 v[79:82], v[3:4], off offset:256
	;; [unrolled: 1-line block ×7, first 2 shown]
	s_cselect_b32 s22, s22, s3
	v_lshlrev_b32_e32 v1, 5, v68
	s_ashr_i32 s23, s22, 31
	v_cmp_gt_u32_e32 vcc_lo, 14, v68
	s_lshl_b64 s[22:23], s[22:23], 2
	s_delay_alu instid0(SALU_CYCLE_1)
	s_add_u32 s22, s17, s22
	s_addc_u32 s23, s13, s23
	s_or_b32 s21, s16, 0xe0
	v_lshl_or_b32 v1, v69, 9, v1
	s_ashr_i32 s24, s21, 5
	s_cmp_lt_i32 s21, s18
	v_cndmask_b32_e32 v103, v103, v68, vcc_lo
	s_cselect_b32 s24, s24, s3
	s_load_b32 s3, s[22:23], 0x0
	s_ashr_i32 s25, s24, 31
	v_cmp_gt_i32_e32 vcc_lo, 32, v128
	s_lshl_b64 s[24:25], s[24:25], 2
	v_lshlrev_b32_e32 v115, 6, v103
	s_add_u32 s22, s17, s24
	s_addc_u32 s23, s13, s25
	v_cndmask_b32_e32 v136, v127, v128, vcc_lo
	s_add_u32 s10, s10, s15
	s_addc_u32 s11, s11, s20
	v_add_co_u32 v1, s10, s10, v1
	s_delay_alu instid0(VALU_DEP_1) | instskip(SKIP_2) | instid1(VALU_DEP_1)
	v_add_co_ci_u32_e64 v2, null, s11, 0, s10
	s_load_b32 s10, s[22:23], 0x0
	s_waitcnt lgkmcnt(0)
	v_mad_i64_i32 v[3:4], null, s12, s5, v[1:2]
	v_mad_i64_i32 v[9:10], null, s7, s5, v[1:2]
	;; [unrolled: 1-line block ×7, first 2 shown]
	s_clause 0x5
	global_load_b128 v[49:52], v[3:4], off
	global_load_b128 v[53:56], v[3:4], off offset:16
	global_load_b128 v[41:44], v[5:6], off
	global_load_b128 v[45:48], v[5:6], off offset:16
	;; [unrolled: 2-line block ×3, first 2 shown]
	s_mov_b32 s4, 0
	v_mad_i64_i32 v[61:62], null, s10, s5, v[1:2]
	s_clause 0x9
	global_load_b128 v[1:4], v[9:10], off
	global_load_b128 v[5:8], v[9:10], off offset:16
	global_load_b128 v[9:12], v[13:14], off
	global_load_b128 v[13:16], v[13:14], off offset:16
	;; [unrolled: 2-line block ×5, first 2 shown]
	s_mov_b32 s5, s4
	s_mov_b32 s6, s4
	;; [unrolled: 1-line block ×7, first 2 shown]
	v_and_b32_e32 v104, 0xe0, v0
	v_dual_mov_b32 v126, s11 :: v_dual_mov_b32 v125, s10
	v_dual_mov_b32 v124, s9 :: v_dual_mov_b32 v123, s8
	s_delay_alu instid0(VALU_DEP_3)
	v_add_nc_u32_e32 v111, s16, v104
	ds_load_b128 v[103:106], v115
	ds_load_b128 v[107:110], v115 offset:1024
	v_dual_mov_b32 v122, s7 :: v_dual_mov_b32 v121, s6
	v_mov_b32_e32 v120, s5
	v_or_b32_e32 v135, v111, v66
	ds_load_b128 v[111:114], v115 offset:2048
	ds_load_b128 v[115:118], v115 offset:3072
	v_mov_b32_e32 v119, s4
	s_waitcnt vmcnt(0) lgkmcnt(0)
	s_barrier
	v_or_b32_e32 v137, 2, v135
	v_or_b32_e32 v138, 4, v135
	v_or_b32_e32 v139, 6, v135
	v_cmp_gt_i32_e32 vcc_lo, s18, v135
	v_or_b32_e32 v140, 8, v135
	v_cmp_gt_i32_e64 s3, s18, v137
	v_or_b32_e32 v141, 10, v135
	v_cmp_gt_i32_e64 s4, s18, v138
	v_cmp_gt_i32_e64 s5, s18, v139
	v_or_b32_e32 v142, 12, v135
	v_or_b32_e32 v143, 14, v135
	v_cmp_gt_i32_e64 s6, s18, v140
	v_cmp_gt_i32_e64 s7, s18, v141
	v_or_b32_e32 v144, 16, v135
	v_or_b32_e32 v145, 18, v135
	v_cmp_gt_i32_e64 s8, s18, v142
	v_cmp_gt_i32_e64 s9, s18, v143
	buffer_gl0_inv
	v_cmp_gt_i32_e64 s10, s18, v144
	v_cmp_gt_i32_e64 s11, s18, v145
	v_wmma_f32_16x16x16_f16 v[127:134], v[71:78], v[103:110], v[119:126]
	v_wmma_f32_16x16x16_f16 v[119:126], v[79:86], v[103:110], v[119:126]
	v_or_b32_e32 v71, 20, v135
	v_or_b32_e32 v72, 22, v135
	s_delay_alu instid0(VALU_DEP_4)
	v_wmma_f32_16x16x16_f16 v[127:134], v[87:94], v[111:118], v[127:134]
	v_or_b32_e32 v73, 24, v135
	v_wmma_f32_16x16x16_f16 v[119:126], v[95:102], v[111:118], v[119:126]
	v_or_b32_e32 v74, 26, v135
	v_cmp_gt_i32_e64 s12, s18, v71
	v_dual_mul_f32 v83, s19, v128 :: v_dual_mul_f32 v84, s19, v127
	s_delay_alu instid0(VALU_DEP_4) | instskip(SKIP_1) | instid1(VALU_DEP_3)
	v_dual_mul_f32 v81, s19, v130 :: v_dual_mul_f32 v92, s19, v119
	v_mul_f32_e32 v82, s19, v129
	v_cndmask_b32_e64 v83, 0xff7fffff, v83, s3
	s_delay_alu instid0(VALU_DEP_4)
	v_cndmask_b32_e32 v84, 0xff7fffff, v84, vcc_lo
	v_dual_mul_f32 v79, s19, v132 :: v_dual_mul_f32 v90, s19, v121
	v_mul_f32_e32 v80, s19, v131
	v_cndmask_b32_e64 v82, 0xff7fffff, v82, s4
	v_cndmask_b32_e64 v81, 0xff7fffff, v81, s5
	v_max3_f32 v83, v84, 0xff7fffff, v83
	v_dual_mul_f32 v77, s19, v134 :: v_dual_mul_f32 v88, s19, v123
	v_mul_f32_e32 v78, s19, v133
	v_cndmask_b32_e64 v80, 0xff7fffff, v80, s6
	v_cndmask_b32_e64 v79, 0xff7fffff, v79, s7
	v_max3_f32 v81, v83, v82, v81
	v_mul_f32_e32 v91, s19, v120
	v_cndmask_b32_e64 v78, 0xff7fffff, v78, s8
	v_cndmask_b32_e64 v77, 0xff7fffff, v77, s9
	v_mul_f32_e32 v89, s19, v122
	v_max3_f32 v79, v81, v80, v79
	v_cndmask_b32_e64 v80, 0xff7fffff, v92, s10
	v_cndmask_b32_e64 v81, 0xff7fffff, v91, s11
	v_cmp_gt_i32_e64 s13, s18, v72
	v_or_b32_e32 v75, 28, v135
	v_max3_f32 v77, v79, v78, v77
	v_or_b32_e32 v76, 30, v135
	v_mul_f32_e32 v87, s19, v124
	v_cndmask_b32_e64 v71, 0xff7fffff, v90, s12
	v_cndmask_b32_e64 v72, 0xff7fffff, v89, s13
	v_max3_f32 v77, v77, v80, v81
	v_cmp_gt_i32_e64 s15, s18, v73
	v_cmp_gt_i32_e64 s16, s18, v74
	v_dual_mul_f32 v85, s19, v126 :: v_dual_mul_f32 v86, s19, v125
	s_delay_alu instid0(VALU_DEP_4) | instskip(NEXT) | instid1(VALU_DEP_4)
	v_max3_f32 v71, v77, v71, v72
	v_cndmask_b32_e64 v73, 0xff7fffff, v88, s15
	s_delay_alu instid0(VALU_DEP_4) | instskip(SKIP_2) | instid1(VALU_DEP_3)
	v_cndmask_b32_e64 v74, 0xff7fffff, v87, s16
	v_cmp_gt_i32_e64 s17, s18, v75
	v_cmp_gt_i32_e64 s18, s18, v76
	v_max3_f32 v71, v71, v73, v74
	s_delay_alu instid0(VALU_DEP_3) | instskip(NEXT) | instid1(VALU_DEP_3)
	v_cndmask_b32_e64 v72, 0xff7fffff, v86, s17
	v_cndmask_b32_e64 v75, 0xff7fffff, v85, s18
	v_lshlrev_b32_e32 v73, 2, v136
	s_delay_alu instid0(VALU_DEP_2) | instskip(SKIP_3) | instid1(VALU_DEP_1)
	v_max3_f32 v71, v71, v72, v75
	ds_bpermute_b32 v72, v73, v71
	s_waitcnt lgkmcnt(0)
	v_max_f32_e32 v72, v72, v72
	v_max_f32_e32 v71, v71, v72
	s_delay_alu instid0(VALU_DEP_1)
	v_fma_f32 v72, s19, v127, -v71
	v_fma_f32 v74, s19, v128, -v71
	;; [unrolled: 1-line block ×5, first 2 shown]
	v_mul_f32_e32 v72, 0x3fb8aa3b, v72
	v_mul_f32_e32 v74, 0x3fb8aa3b, v74
	v_fma_f32 v80, s19, v133, -v71
	s_delay_alu instid0(VALU_DEP_4) | instskip(NEXT) | instid1(VALU_DEP_4)
	v_dual_mul_f32 v76, 0x3fb8aa3b, v76 :: v_dual_mul_f32 v77, 0x3fb8aa3b, v77
	v_exp_f32_e32 v72, v72
	s_delay_alu instid0(VALU_DEP_3) | instskip(NEXT) | instid1(VALU_DEP_2)
	v_exp_f32_e32 v74, v74
	v_mul_f32_e32 v82, 0x3fb8aa3b, v80
	s_delay_alu instid0(VALU_DEP_2) | instskip(SKIP_1) | instid1(VALU_DEP_1)
	v_exp_f32_e32 v76, v76
	v_exp_f32_e32 v77, v77
	;; [unrolled: 1-line block ×3, first 2 shown]
	v_cndmask_b32_e32 v79, 0, v72, vcc_lo
	v_fma_f32 v72, s19, v132, -v71
	v_mul_f32_e32 v75, 0x3fb8aa3b, v75
	v_cndmask_b32_e64 v78, 0, v74, s3
	s_delay_alu instid0(TRANS32_DEP_3)
	v_cndmask_b32_e64 v80, 0, v76, s5
	v_add_f32_e32 v74, 0, v79
	v_mul_f32_e32 v72, 0x3fb8aa3b, v72
	v_exp_f32_e32 v75, v75
	v_cndmask_b32_e64 v83, 0, v77, s6
	v_cndmask_b32_e64 v85, 0, v84, s8
	v_add_f32_e32 v74, v74, v78
	v_exp_f32_e32 v72, v72
	s_mov_b32 s3, exec_lo
	s_waitcnt_depctr 0xfff
	v_cndmask_b32_e64 v81, 0, v75, s4
	v_cndmask_b32_e64 v82, 0, v72, s7
	s_delay_alu instid0(VALU_DEP_2) | instskip(NEXT) | instid1(VALU_DEP_1)
	v_add_f32_e32 v74, v74, v81
	v_add_f32_e32 v74, v74, v80
	s_delay_alu instid0(VALU_DEP_1) | instskip(SKIP_4) | instid1(VALU_DEP_4)
	v_add_f32_e32 v72, v74, v83
	v_fma_f32 v75, s19, v134, -v71
	v_fma_f32 v76, s19, v119, -v71
	;; [unrolled: 1-line block ×4, first 2 shown]
	v_dual_add_f32 v72, v72, v82 :: v_dual_mul_f32 v75, 0x3fb8aa3b, v75
	s_delay_alu instid0(VALU_DEP_3) | instskip(SKIP_1) | instid1(VALU_DEP_3)
	v_dual_mul_f32 v76, 0x3fb8aa3b, v76 :: v_dual_mul_f32 v77, 0x3fb8aa3b, v77
	v_fma_f32 v86, s19, v122, -v71
	v_add_f32_e32 v72, v72, v85
	s_delay_alu instid0(VALU_DEP_4) | instskip(NEXT) | instid1(VALU_DEP_3)
	v_exp_f32_e32 v75, v75
	v_exp_f32_e32 v76, v76
	v_exp_f32_e32 v77, v77
	v_mul_f32_e32 v86, 0x3fb8aa3b, v86
	s_delay_alu instid0(VALU_DEP_1) | instskip(SKIP_3) | instid1(TRANS32_DEP_3)
	v_exp_f32_e32 v88, v86
	v_cndmask_b32_e64 v84, 0, v75, s9
	v_fma_f32 v75, s19, v123, -v71
	v_mul_f32_e32 v74, 0x3fb8aa3b, v74
	v_cndmask_b32_e64 v87, 0, v76, s10
	v_fma_f32 v76, s19, v124, -v71
	s_delay_alu instid0(VALU_DEP_4) | instskip(NEXT) | instid1(VALU_DEP_4)
	v_dual_add_f32 v72, v72, v84 :: v_dual_mul_f32 v75, 0x3fb8aa3b, v75
	v_exp_f32_e32 v74, v74
	v_cndmask_b32_e64 v86, 0, v77, s11
	v_fma_f32 v77, s19, v125, -v71
	s_delay_alu instid0(VALU_DEP_3) | instskip(SKIP_3) | instid1(VALU_DEP_3)
	v_add_f32_e32 v72, v72, v87
	v_mul_f32_e32 v76, 0x3fb8aa3b, v76
	v_exp_f32_e32 v75, v75
	v_cndmask_b32_e64 v88, 0, v88, s13
	v_add_f32_e32 v72, v72, v86
	s_delay_alu instid0(VALU_DEP_3) | instskip(NEXT) | instid1(TRANS32_DEP_3)
	v_exp_f32_e32 v76, v76
	v_cndmask_b32_e64 v89, 0, v74, s12
	v_mul_f32_e32 v74, 0x3fb8aa3b, v77
	v_fma_f32 v77, s19, v126, -v71
	s_delay_alu instid0(VALU_DEP_3) | instskip(NEXT) | instid1(VALU_DEP_3)
	v_add_f32_e32 v72, v72, v89
	v_exp_f32_e32 v74, v74
	s_delay_alu instid0(TRANS32_DEP_3) | instskip(NEXT) | instid1(VALU_DEP_3)
	v_cndmask_b32_e64 v91, 0, v75, s15
	v_mul_f32_e32 v75, 0x3fb8aa3b, v77
	s_delay_alu instid0(TRANS32_DEP_2) | instskip(SKIP_1) | instid1(VALU_DEP_3)
	v_cndmask_b32_e64 v90, 0, v76, s16
	v_add_f32_e32 v72, v72, v88
	v_exp_f32_e32 v75, v75
	s_delay_alu instid0(VALU_DEP_1) | instskip(NEXT) | instid1(TRANS32_DEP_2)
	v_add_f32_e32 v72, v72, v91
	v_cndmask_b32_e64 v93, 0, v74, s17
	s_delay_alu instid0(VALU_DEP_2) | instskip(SKIP_3) | instid1(VALU_DEP_1)
	v_add_f32_e32 v72, v72, v90
	s_waitcnt_depctr 0xfff
	v_cndmask_b32_e64 v92, 0, v75, s18
	v_add_f32_e32 v72, v72, v93
	v_add_f32_e32 v72, v72, v92
	ds_bpermute_b32 v73, v73, v72
	v_cmpx_gt_u32_e32 16, v70
	s_cbranch_execz .LBB1211_12
; %bb.11:
	v_mul_u32_u24_e32 v70, 0x44, v69
	s_waitcnt lgkmcnt(0)
	v_add_f32_e32 v72, v72, v73
	s_delay_alu instid0(VALU_DEP_2) | instskip(NEXT) | instid1(VALU_DEP_1)
	v_lshl_add_u32 v70, v68, 2, v70
	v_add_nc_u32_e32 v70, 0x4000, v70
	ds_store_2addr_b32 v70, v71, v72 offset1:136
.LBB1211_12:
	s_or_b32 exec_lo, exec_lo, s3
	v_lshlrev_b32_e32 v70, 2, v68
	s_load_b32 s35, s[0:1], 0x94
	s_waitcnt lgkmcnt(0)
	s_barrier
	buffer_gl0_inv
	v_add_nc_u32_e32 v98, 0x4000, v70
	v_cmp_eq_u32_e32 vcc_lo, 1, v69
	v_cmp_eq_u32_e64 s3, 2, v69
	v_cmp_eq_u32_e64 s4, 3, v69
	;; [unrolled: 1-line block ×3, first 2 shown]
	ds_load_2addr_b32 v[70:71], v98 offset1:17
	ds_load_2addr_b32 v[72:73], v98 offset0:34 offset1:51
	ds_load_2addr_b32 v[74:75], v98 offset0:68 offset1:85
	;; [unrolled: 1-line block ×3, first 2 shown]
	v_cmp_eq_u32_e64 s6, 5, v69
	v_cmp_eq_u32_e64 s7, 7, v69
	s_waitcnt lgkmcnt(3)
	v_max3_f32 v76, v70, 0xff7fffff, v71
	s_waitcnt lgkmcnt(2)
	s_delay_alu instid0(VALU_DEP_1) | instskip(SKIP_1) | instid1(VALU_DEP_1)
	v_max3_f32 v76, v76, v72, v73
	s_waitcnt lgkmcnt(1)
	v_max3_f32 v76, v76, v74, v75
	s_waitcnt lgkmcnt(0)
	s_delay_alu instid0(VALU_DEP_1) | instskip(NEXT) | instid1(VALU_DEP_1)
	v_max3_f32 v76, v76, v94, v95
	v_sub_f32_e32 v77, v71, v76
	ds_load_2addr_b32 v[96:97], v98 offset0:136 offset1:153
	v_sub_f32_e32 v74, v74, v76
	v_sub_f32_e32 v70, v70, v76
	;; [unrolled: 1-line block ×3, first 2 shown]
	v_dual_sub_f32 v72, v72, v76 :: v_dual_mul_f32 v77, 0x3fb8aa3b, v77
	s_delay_alu instid0(VALU_DEP_4) | instskip(NEXT) | instid1(VALU_DEP_4)
	v_mul_f32_e32 v103, 0x3fb8aa3b, v74
	v_mul_f32_e32 v99, 0x3fb8aa3b, v70
	ds_load_2addr_b32 v[70:71], v98 offset0:170 offset1:187
	v_dual_mul_f32 v101, 0x3fb8aa3b, v72 :: v_dual_mul_f32 v94, 0x3fb8aa3b, v94
	v_exp_f32_e32 v102, v77
	v_exp_f32_e32 v99, v99
	s_delay_alu instid0(VALU_DEP_1) | instskip(NEXT) | instid1(VALU_DEP_1)
	v_exp_f32_e32 v101, v101
	v_exp_f32_e32 v94, v94
	s_waitcnt lgkmcnt(1)
	s_delay_alu instid0(TRANS32_DEP_3)
	v_fma_f32 v77, v99, v96, 0
	v_sub_f32_e32 v100, v73, v76
	ds_load_2addr_b32 v[72:73], v98 offset0:204 offset1:221
	v_fmac_f32_e32 v77, v102, v97
	v_exp_f32_e32 v97, v103
	s_waitcnt lgkmcnt(1)
	s_delay_alu instid0(VALU_DEP_1)
	v_dual_fmac_f32 v77, v101, v70 :: v_dual_sub_f32 v96, v75, v76
	ds_load_2addr_b32 v[74:75], v98 offset0:238 offset1:255
	v_sub_f32_e32 v70, v95, v76
	s_waitcnt lgkmcnt(0)
	s_barrier
	v_mul_f32_e32 v96, 0x3fb8aa3b, v96
	buffer_gl0_inv
	v_exp_f32_e32 v95, v96
	v_mul_f32_e32 v100, 0x3fb8aa3b, v100
	s_delay_alu instid0(VALU_DEP_1) | instskip(SKIP_3) | instid1(VALU_DEP_2)
	v_exp_f32_e32 v100, v100
	s_waitcnt_depctr 0xfff
	v_dual_fmac_f32 v77, v100, v71 :: v_dual_mul_f32 v70, 0x3fb8aa3b, v70
	v_cndmask_b32_e32 v71, v99, v102, vcc_lo
	v_fmac_f32_e32 v77, v97, v72
	s_delay_alu instid0(VALU_DEP_3) | instskip(NEXT) | instid1(VALU_DEP_1)
	v_exp_f32_e32 v96, v70
	v_fmac_f32_e32 v77, v95, v73
	s_delay_alu instid0(VALU_DEP_1) | instskip(SKIP_2) | instid1(VALU_DEP_1)
	v_fmac_f32_e32 v77, v94, v74
	s_waitcnt_depctr 0xfff
	v_fmac_f32_e32 v77, v96, v75
	v_add_f32_e32 v74, 0x358637bd, v77
	s_delay_alu instid0(VALU_DEP_1) | instskip(SKIP_1) | instid1(VALU_DEP_2)
	v_div_scale_f32 v98, null, v74, v74, 1.0
	v_div_scale_f32 v99, vcc_lo, 1.0, v74, 1.0
	v_rcp_f32_e32 v103, v98
	s_waitcnt_depctr 0xfff
	v_fma_f32 v70, -v98, v103, 1.0
	s_delay_alu instid0(VALU_DEP_1) | instskip(SKIP_2) | instid1(VALU_DEP_2)
	v_fmac_f32_e32 v103, v70, v103
	v_cndmask_b32_e64 v70, v71, v101, s3
	v_cmp_eq_u32_e64 s3, 6, v69
	v_cndmask_b32_e64 v71, v70, v100, s4
	s_delay_alu instid0(VALU_DEP_4) | instskip(NEXT) | instid1(VALU_DEP_2)
	v_dual_mul_f32 v101, v99, v103 :: v_dual_lshlrev_b32 v70, 2, v66
	v_cndmask_b32_e64 v71, v71, v97, s5
	s_delay_alu instid0(VALU_DEP_2) | instskip(NEXT) | instid1(VALU_DEP_3)
	v_or_b32_e32 v72, 1, v70
	v_fma_f32 v100, -v98, v101, v99
	v_cmp_eq_u32_e64 s4, 1, v70
	v_cmp_eq_u32_e64 s5, 2, v70
	v_cndmask_b32_e64 v95, v71, v95, s6
	v_or_b32_e32 v71, 3, v70
	v_fmac_f32_e32 v101, v100, v103
	v_cmp_eq_u32_e64 s9, 1, v72
	v_cmp_eq_u32_e64 s12, 2, v72
	v_cndmask_b32_e64 v94, v95, v94, s3
	v_cmp_eq_u32_e64 s11, 1, v71
	v_fma_f32 v97, -v98, v101, v99
	v_cmp_eq_u32_e64 s16, 2, v71
	v_cmp_eq_u32_e64 s13, 3, v72
	v_cndmask_b32_e64 v94, v94, v96, s7
	v_cmp_eq_u32_e64 s18, 3, v71
	v_div_fmas_f32 v95, v97, v103, v101
	v_cmp_eq_u32_e32 vcc_lo, 3, v70
	v_cmp_eq_u32_e64 s3, 4, v70
	v_cmp_eq_u32_e64 s19, 4, v72
	;; [unrolled: 1-line block ×3, first 2 shown]
	v_div_fixup_f32 v95, v95, v74, 1.0
	v_lshlrev_b32_e32 v73, 6, v68
	v_cmp_eq_u32_e64 s6, 5, v70
	v_cmp_eq_u32_e64 s20, 5, v72
	;; [unrolled: 1-line block ×3, first 2 shown]
	v_mul_f32_e32 v102, v94, v95
	v_lshl_or_b32 v75, v69, 11, v73
	v_or_b32_e32 v69, 2, v70
	v_cmp_eq_u32_e64 s25, 6, v72
	v_cmp_eq_u32_e64 s27, 6, v71
	v_fma_mixlo_f16 v94, v102, v79, 0
	v_fma_mixlo_f16 v95, v102, v81, 0
	;; [unrolled: 1-line block ×8, first 2 shown]
	v_lshl_or_b32 v74, v66, 4, v75
	v_fma_mixhi_f16 v94, v102, v78, 0
	v_fma_mixhi_f16 v95, v102, v80, 0
	v_fma_mixhi_f16 v96, v102, v82, 0
	v_fma_mixhi_f16 v97, v102, v84, 0
	v_fma_mixhi_f16 v98, v102, v86, 0
	v_fma_mixhi_f16 v99, v102, v88, 0
	v_fma_mixhi_f16 v100, v102, v90, 0
	v_fma_mixhi_f16 v101, v102, v92, 0
	ds_store_b128 v74, v[94:97]
	ds_store_b128 v74, v[98:101] offset:1024
	s_waitcnt lgkmcnt(0)
	s_barrier
	buffer_gl0_inv
	ds_load_b128 v[78:81], v75
	ds_load_b128 v[82:85], v75 offset:16
	ds_load_b128 v[86:89], v75 offset:1024
	;; [unrolled: 1-line block ×3, first 2 shown]
	v_cmp_eq_u32_e64 s10, 1, v69
	v_cmp_eq_u32_e64 s15, 2, v69
	;; [unrolled: 1-line block ×11, first 2 shown]
	s_waitcnt lgkmcnt(3)
	v_lshrrev_b32_e32 v94, 16, v78
	s_waitcnt lgkmcnt(2)
	v_lshrrev_b32_e32 v98, 16, v82
	;; [unrolled: 2-line block ×4, first 2 shown]
	v_lshrrev_b32_e32 v95, 16, v79
	v_cndmask_b32_e64 v110, v78, v94, s4
	v_cndmask_b32_e64 v111, v82, v98, s4
	;; [unrolled: 1-line block ×8, first 2 shown]
	v_lshrrev_b32_e32 v99, 16, v83
	v_cndmask_b32_e64 v94, v86, v102, s4
	v_cndmask_b32_e64 v98, v90, v106, s4
	;; [unrolled: 1-line block ×15, first 2 shown]
	v_lshrrev_b32_e32 v103, 16, v87
	v_lshrrev_b32_e32 v107, 16, v91
	v_cndmask_b32_e64 v113, v115, v83, s15
	v_cndmask_b32_e64 v82, v94, v87, s5
	;; [unrolled: 1-line block ×7, first 2 shown]
	v_cndmask_b32_e32 v90, v102, v95, vcc_lo
	v_cndmask_b32_e32 v102, v106, v99, vcc_lo
	v_cndmask_b32_e64 v106, v110, v95, s13
	v_cndmask_b32_e64 v110, v111, v99, s13
	;; [unrolled: 1-line block ×4, first 2 shown]
	v_lshrrev_b32_e32 v96, 16, v80
	v_lshrrev_b32_e32 v100, 16, v84
	v_cndmask_b32_e64 v111, v112, v95, s17
	v_cndmask_b32_e64 v112, v113, v99, s17
	v_cndmask_b32_e32 v82, v82, v103, vcc_lo
	v_cndmask_b32_e32 v83, v83, v107, vcc_lo
	v_cndmask_b32_e64 v94, v94, v103, s13
	v_cndmask_b32_e64 v90, v90, v80, s3
	;; [unrolled: 1-line block ×7, first 2 shown]
	v_lshrrev_b32_e32 v104, 16, v88
	v_cndmask_b32_e64 v106, v111, v80, s21
	v_cndmask_b32_e64 v110, v112, v84, s21
	;; [unrolled: 1-line block ×11, first 2 shown]
	v_lshrrev_b32_e32 v97, 16, v81
	v_lshrrev_b32_e32 v101, 16, v85
	v_cndmask_b32_e64 v99, v106, v96, s23
	v_cndmask_b32_e64 v102, v110, v100, s23
	;; [unrolled: 1-line block ×7, first 2 shown]
	v_lshrrev_b32_e32 v105, 16, v89
	v_cndmask_b32_e64 v80, v80, v104, s6
	v_cndmask_b32_e64 v84, v84, v81, s7
	;; [unrolled: 1-line block ×16, first 2 shown]
	v_perm_b32 v81, v79, v78, 0x5040100
	v_perm_b32 v79, v95, v85, 0x5040100
	v_cndmask_b32_e64 v78, v119, v91, s15
	v_cndmask_b32_e64 v85, v117, v91, s12
	;; [unrolled: 1-line block ×3, first 2 shown]
	v_perm_b32 v80, v94, v90, 0x5040100
	v_cndmask_b32_e64 v90, v98, v103, s17
	v_cndmask_b32_e64 v86, v86, v103, s18
	;; [unrolled: 1-line block ×5, first 2 shown]
	v_lshrrev_b32_e32 v108, 16, v92
	v_cndmask_b32_e64 v90, v90, v88, s21
	v_cndmask_b32_e64 v86, v86, v88, s22
	;; [unrolled: 1-line block ×11, first 2 shown]
	v_lshrrev_b32_e32 v109, 16, v93
	v_cndmask_b32_e64 v82, v82, v93, s7
	v_cndmask_b32_e64 v88, v88, v89, s26
	;; [unrolled: 1-line block ×12, first 2 shown]
	v_perm_b32 v78, v84, v83, 0x5040100
	v_perm_b32 v85, v87, v86, 0x5040100
	;; [unrolled: 1-line block ×5, first 2 shown]
	s_mul_i32 s8, s33, 14
	s_mov_b32 s3, exec_lo
	ds_store_b128 v74, v[78:81]
	ds_store_b128 v74, v[82:85] offset:1024
	v_cmpx_gt_u32_e32 14, v0
	s_cbranch_execz .LBB1211_14
; %bb.13:
	s_mul_i32 s4, s8, s34
	s_delay_alu instid0(SALU_CYCLE_1) | instskip(SKIP_1) | instid1(VALU_DEP_1)
	v_add3_u32 v68, s4, s31, v68
	s_load_b128 s[4:7], s[0:1], 0x58
	v_mad_u64_u32 v[78:79], null, v68, s35, s[14:15]
	s_delay_alu instid0(VALU_DEP_1) | instskip(NEXT) | instid1(VALU_DEP_1)
	v_ashrrev_i32_e32 v79, 31, v78
	v_lshlrev_b64 v[78:79], 2, v[78:79]
	s_waitcnt lgkmcnt(0)
	s_delay_alu instid0(VALU_DEP_1) | instskip(NEXT) | instid1(VALU_DEP_2)
	v_add_co_u32 v80, vcc_lo, s6, v78
	v_add_co_ci_u32_e32 v81, vcc_lo, s7, v79, vcc_lo
	v_add_co_u32 v78, vcc_lo, s4, v78
	v_add_co_ci_u32_e32 v79, vcc_lo, s5, v79, vcc_lo
	global_store_b32 v[80:81], v76, off
	global_store_b32 v[78:79], v77, off
.LBB1211_14:
	s_or_b32 exec_lo, exec_lo, s3
	s_waitcnt lgkmcnt(0)
	s_waitcnt_vscnt null, 0x0
	s_barrier
	buffer_gl0_inv
	ds_load_b128 v[84:87], v73
	ds_load_b128 v[88:91], v73 offset:16
	ds_load_b128 v[96:99], v73 offset:2064
	;; [unrolled: 1-line block ×5, first 2 shown]
	v_cmp_eq_u32_e32 vcc_lo, 1, v70
	v_mov_b32_e32 v76, 0
	ds_load_b128 v[112:115], v73 offset:6160
	ds_load_b128 v[108:111], v73 offset:6144
	;; [unrolled: 1-line block ×4, first 2 shown]
	v_cmp_eq_u32_e64 s4, 1, v69
	v_cmp_eq_u32_e64 s3, 1, v72
	;; [unrolled: 1-line block ×3, first 2 shown]
	v_mov_b32_e32 v77, v76
	v_mov_b32_e32 v78, v76
	;; [unrolled: 1-line block ×7, first 2 shown]
	v_cmp_eq_u32_e64 s6, 3, v72
	v_cmp_eq_u32_e64 s7, 7, v72
	s_waitcnt lgkmcnt(8)
	s_delay_alu instid0(VALU_DEP_3)
	v_wmma_f32_16x16x16_f16 v[76:83], v[49:56], v[84:91], v[76:83]
	ds_load_b128 v[53:56], v73 offset:10256
	ds_load_b128 v[49:52], v73 offset:10240
	s_waitcnt lgkmcnt(8)
	v_wmma_f32_16x16x16_f16 v[76:83], v[41:48], v[92:99], v[76:83]
	ds_load_b128 v[45:48], v73 offset:12304
	ds_load_b128 v[41:44], v73 offset:12288
	s_waitcnt lgkmcnt(8)
	;; [unrolled: 4-line block ×3, first 2 shown]
	s_barrier
	buffer_gl0_inv
	v_wmma_f32_16x16x16_f16 v[76:83], v[1:8], v[108:115], v[76:83]
	s_delay_alu instid0(VALU_DEP_1) | instskip(NEXT) | instid1(VALU_DEP_1)
	v_wmma_f32_16x16x16_f16 v[76:83], v[9:16], v[116:123], v[76:83]
	v_wmma_f32_16x16x16_f16 v[76:83], v[17:24], v[49:56], v[76:83]
	s_delay_alu instid0(VALU_DEP_1) | instskip(NEXT) | instid1(VALU_DEP_1)
	v_wmma_f32_16x16x16_f16 v[76:83], v[25:32], v[41:48], v[76:83]
	v_wmma_f32_16x16x16_f16 v[76:83], v[57:64], v[33:40], v[76:83]
	s_delay_alu instid0(VALU_DEP_1) | instskip(NEXT) | instid1(VALU_DEP_2)
	v_cvt_f16_f32_e32 v1, v76
	v_cvt_f16_f32_e32 v2, v77
	s_delay_alu instid0(VALU_DEP_3) | instskip(NEXT) | instid1(VALU_DEP_4)
	v_cvt_f16_f32_e32 v3, v78
	v_cvt_f16_f32_e32 v4, v79
	v_cvt_f16_f32_e32 v5, v80
	v_cvt_f16_f32_e32 v6, v81
	v_cvt_f16_f32_e32 v7, v82
	v_cvt_f16_f32_e32 v8, v83
	v_pack_b32_f16 v1, v1, v2
	v_pack_b32_f16 v2, v3, v4
	;; [unrolled: 1-line block ×3, first 2 shown]
	s_delay_alu instid0(VALU_DEP_4)
	v_pack_b32_f16 v4, v7, v8
	ds_store_b128 v74, v[1:4]
	s_waitcnt lgkmcnt(0)
	s_barrier
	buffer_gl0_inv
	ds_load_b128 v[1:4], v75
	ds_load_b128 v[5:8], v75 offset:16
	s_waitcnt lgkmcnt(1)
	v_lshrrev_b32_e32 v9, 16, v1
	s_waitcnt lgkmcnt(0)
	v_lshrrev_b32_e32 v13, 16, v5
	v_lshrrev_b32_e32 v10, 16, v2
	;; [unrolled: 1-line block ×4, first 2 shown]
	v_cndmask_b32_e32 v17, v1, v9, vcc_lo
	v_cndmask_b32_e32 v18, v5, v13, vcc_lo
	v_cndmask_b32_e64 v21, v1, v9, s4
	v_cmp_eq_u32_e32 vcc_lo, 1, v71
	v_cndmask_b32_e64 v22, v5, v13, s4
	v_cmp_eq_u32_e64 s4, 2, v70
	v_cndmask_b32_e64 v19, v1, v9, s3
	v_cndmask_b32_e64 v20, v5, v13, s3
	v_cndmask_b32_e32 v1, v1, v9, vcc_lo
	v_cmp_eq_u32_e64 s3, 2, v71
	v_cndmask_b32_e32 v5, v5, v13, vcc_lo
	v_cndmask_b32_e64 v9, v17, v2, s4
	v_cmp_eq_u32_e32 vcc_lo, 3, v70
	v_cndmask_b32_e64 v13, v18, v6, s4
	v_cmp_eq_u32_e64 s4, 2, v69
	v_cndmask_b32_e64 v17, v19, v2, s5
	v_cndmask_b32_e64 v18, v20, v6, s5
	v_cmp_eq_u32_e64 s5, 3, v69
	v_cndmask_b32_e64 v1, v1, v2, s3
	v_cndmask_b32_e64 v19, v21, v2, s4
	;; [unrolled: 1-line block ×4, first 2 shown]
	v_cndmask_b32_e32 v5, v9, v10, vcc_lo
	v_cndmask_b32_e32 v6, v13, v14, vcc_lo
	v_cmp_eq_u32_e32 vcc_lo, 3, v71
	v_cndmask_b32_e64 v9, v17, v10, s6
	v_cndmask_b32_e64 v13, v18, v14, s6
	;; [unrolled: 1-line block ×3, first 2 shown]
	v_cmp_eq_u32_e64 s4, 4, v70
	v_cndmask_b32_e32 v1, v1, v10, vcc_lo
	v_cndmask_b32_e32 v2, v2, v14, vcc_lo
	v_cmp_eq_u32_e32 vcc_lo, 4, v72
	v_lshrrev_b32_e32 v15, 16, v7
	v_lshrrev_b32_e32 v16, 16, v8
	v_cndmask_b32_e64 v17, v19, v10, s5
	v_cmp_eq_u32_e64 s3, 4, v71
	v_cndmask_b32_e64 v5, v5, v3, s4
	v_cndmask_b32_e64 v6, v6, v7, s4
	v_cndmask_b32_e32 v9, v9, v3, vcc_lo
	v_cmp_eq_u32_e64 s4, 5, v72
	v_cndmask_b32_e32 v10, v13, v7, vcc_lo
	v_cmp_eq_u32_e32 vcc_lo, 4, v69
	v_cmp_eq_u32_e64 s5, 5, v70
	v_cndmask_b32_e64 v2, v2, v7, s3
	v_cndmask_b32_e64 v9, v9, v11, s4
	;; [unrolled: 1-line block ×3, first 2 shown]
	v_cndmask_b32_e32 v13, v17, v3, vcc_lo
	v_cmp_eq_u32_e64 s4, 5, v69
	v_cndmask_b32_e32 v14, v18, v7, vcc_lo
	v_cndmask_b32_e64 v1, v1, v3, s3
	v_cmp_eq_u32_e32 vcc_lo, 5, v71
	v_lshrrev_b32_e32 v12, 16, v4
	v_cndmask_b32_e64 v13, v13, v11, s4
	v_cndmask_b32_e64 v3, v14, v15, s4
	v_cmp_eq_u32_e64 s4, 6, v71
	v_cndmask_b32_e32 v1, v1, v11, vcc_lo
	v_cndmask_b32_e64 v5, v5, v11, s5
	v_cmp_eq_u32_e64 s6, 6, v70
	v_cndmask_b32_e64 v6, v6, v15, s5
	v_cmp_eq_u32_e64 s5, 6, v72
	v_cmp_eq_u32_e64 s3, 6, v69
	v_cndmask_b32_e64 v1, v1, v4, s4
	v_cndmask_b32_e32 v2, v2, v15, vcc_lo
	v_cmp_eq_u32_e32 vcc_lo, 7, v71
	v_cndmask_b32_e64 v5, v5, v4, s6
	v_cndmask_b32_e64 v9, v9, v4, s5
	;; [unrolled: 1-line block ×3, first 2 shown]
	v_cmp_eq_u32_e64 s6, 7, v70
	v_cndmask_b32_e32 v1, v1, v12, vcc_lo
	v_cndmask_b32_e64 v7, v13, v4, s3
	v_cndmask_b32_e64 v3, v3, v8, s3
	;; [unrolled: 1-line block ×3, first 2 shown]
	v_cmp_eq_u32_e64 s3, 7, v69
	v_cndmask_b32_e64 v4, v10, v8, s5
	v_cndmask_b32_e64 v5, v5, v12, s6
	;; [unrolled: 1-line block ×3, first 2 shown]
	v_cndmask_b32_e32 v2, v2, v16, vcc_lo
	v_cndmask_b32_e64 v7, v7, v12, s3
	v_cndmask_b32_e64 v3, v3, v16, s3
	;; [unrolled: 1-line block ×4, first 2 shown]
	v_cmp_gt_u32_e32 vcc_lo, 32, v0
	v_perm_b32 v4, v2, v1, 0x5040100
	v_perm_b32 v3, v3, v7, 0x5040100
	v_perm_b32 v2, v8, v9, 0x5040100
	v_perm_b32 v1, v6, v5, 0x5040100
	s_and_b32 s2, vcc_lo, s2
	ds_store_b128 v74, v[1:4]
	s_waitcnt lgkmcnt(0)
	s_barrier
	buffer_gl0_inv
	s_and_saveexec_b32 s3, s2
	s_cbranch_execz .LBB1211_2
; %bb.15:
	s_load_b64 s[0:1], s[0:1], 0x68
	v_lshlrev_b32_e32 v0, 10, v0
	s_lshl_b32 s4, s35, 6
	v_or_b32_e32 v3, s31, v66
	s_mul_i32 s2, s4, s34
	v_lshlrev_b32_e32 v1, 4, v67
	v_lshlrev_b32_e32 v2, 6, v66
	v_and_b32_e32 v0, 0x3800, v0
	s_mul_i32 s2, s2, s8
	v_mul_lo_u32 v8, v3, s4
	s_ashr_i32 s3, s2, 31
	s_delay_alu instid0(SALU_CYCLE_1)
	s_lshl_b64 s[2:3], s[2:3], 1
	v_or3_b32 v16, v0, v1, v2
	ds_load_b128 v[0:3], v16
	ds_load_b128 v[4:7], v16 offset:128
	v_ashrrev_i32_e32 v9, 31, v8
	s_waitcnt lgkmcnt(0)
	s_add_u32 s2, s0, s2
	s_addc_u32 s3, s1, s3
	s_lshl_b32 s0, s14, 6
	s_delay_alu instid0(SALU_CYCLE_1) | instskip(SKIP_2) | instid1(SALU_CYCLE_1)
	s_ashr_i32 s1, s0, 31
	v_lshlrev_b64 v[9:10], 1, v[8:9]
	s_lshl_b64 s[0:1], s[0:1], 1
	s_add_u32 s0, s2, s0
	s_addc_u32 s1, s3, s1
	s_lshl_b32 s2, s35, 7
	v_add_co_u32 v30, s0, s0, v65
	v_add_nc_u32_e32 v11, s2, v8
	v_add_co_ci_u32_e64 v31, null, s1, 0, s0
	s_delay_alu instid0(VALU_DEP_3) | instskip(NEXT) | instid1(VALU_DEP_3)
	v_add_co_u32 v9, vcc_lo, v30, v9
	v_add_nc_u32_e32 v8, s2, v11
	s_delay_alu instid0(VALU_DEP_3) | instskip(SKIP_1) | instid1(VALU_DEP_3)
	v_add_co_ci_u32_e32 v10, vcc_lo, v31, v10, vcc_lo
	v_ashrrev_i32_e32 v12, 31, v11
	v_add_nc_u32_e32 v13, s2, v8
	global_store_b128 v[9:10], v[0:3], off
	v_ashrrev_i32_e32 v9, 31, v8
	v_lshlrev_b64 v[11:12], 1, v[11:12]
	v_ashrrev_i32_e32 v14, 31, v13
	v_add_nc_u32_e32 v10, s2, v13
	s_delay_alu instid0(VALU_DEP_4) | instskip(NEXT) | instid1(VALU_DEP_4)
	v_lshlrev_b64 v[2:3], 1, v[8:9]
	v_add_co_u32 v0, vcc_lo, v30, v11
	s_delay_alu instid0(VALU_DEP_4)
	v_lshlrev_b64 v[8:9], 1, v[13:14]
	v_add_co_ci_u32_e32 v1, vcc_lo, v31, v12, vcc_lo
	v_ashrrev_i32_e32 v11, 31, v10
	v_add_co_u32 v22, vcc_lo, v30, v2
	v_add_nc_u32_e32 v20, s2, v10
	v_add_co_ci_u32_e32 v23, vcc_lo, v31, v3, vcc_lo
	v_add_co_u32 v24, vcc_lo, v30, v8
	global_store_b128 v[0:1], v[4:7], off
	v_add_co_ci_u32_e32 v25, vcc_lo, v31, v9, vcc_lo
	ds_load_b128 v[0:3], v16 offset:256
	ds_load_b128 v[4:7], v16 offset:384
	v_lshlrev_b64 v[26:27], 1, v[10:11]
	ds_load_b128 v[8:11], v16 offset:512
	ds_load_b128 v[12:15], v16 offset:640
	ds_load_b128 v[16:19], v16 offset:768
	v_add_nc_u32_e32 v28, s2, v20
	v_ashrrev_i32_e32 v21, 31, v20
	v_add_co_u32 v26, vcc_lo, v30, v26
	s_delay_alu instid0(VALU_DEP_3) | instskip(NEXT) | instid1(VALU_DEP_3)
	v_ashrrev_i32_e32 v29, 31, v28
	v_lshlrev_b64 v[20:21], 1, v[20:21]
	v_add_co_ci_u32_e32 v27, vcc_lo, v31, v27, vcc_lo
	s_delay_alu instid0(VALU_DEP_3) | instskip(NEXT) | instid1(VALU_DEP_3)
	v_lshlrev_b64 v[28:29], 1, v[28:29]
	v_add_co_u32 v20, vcc_lo, v30, v20
	s_delay_alu instid0(VALU_DEP_4) | instskip(NEXT) | instid1(VALU_DEP_3)
	v_add_co_ci_u32_e32 v21, vcc_lo, v31, v21, vcc_lo
	v_add_co_u32 v28, vcc_lo, v30, v28
	s_delay_alu instid0(VALU_DEP_4)
	v_add_co_ci_u32_e32 v29, vcc_lo, v31, v29, vcc_lo
	s_waitcnt lgkmcnt(4)
	global_store_b128 v[22:23], v[0:3], off
	s_waitcnt lgkmcnt(3)
	global_store_b128 v[24:25], v[4:7], off
	;; [unrolled: 2-line block ×5, first 2 shown]
	s_nop 0
	s_sendmsg sendmsg(MSG_DEALLOC_VGPRS)
	s_endpgm
	.section	.rodata,"a",@progbits
	.p2align	6, 0x0
	.amdhsa_kernel _Z39paged_attention_ll4mi_QKV_mfma16_kernelIDF16_hLN4vllm18Fp8KVCacheDataTypeE1EDF16_Li32ELi64ELi256ELb0ELi14EL8MFMAType0EEvPKT_PKT0_S8_ifPKiSA_SA_iPKfiiiPfSD_PS3_PT2_iSC_SC_
		.amdhsa_group_segment_fixed_size 17472
		.amdhsa_private_segment_fixed_size 0
		.amdhsa_kernarg_size 400
		.amdhsa_user_sgpr_count 13
		.amdhsa_user_sgpr_dispatch_ptr 0
		.amdhsa_user_sgpr_queue_ptr 0
		.amdhsa_user_sgpr_kernarg_segment_ptr 1
		.amdhsa_user_sgpr_dispatch_id 0
		.amdhsa_user_sgpr_private_segment_size 0
		.amdhsa_wavefront_size32 1
		.amdhsa_uses_dynamic_stack 0
		.amdhsa_enable_private_segment 0
		.amdhsa_system_sgpr_workgroup_id_x 1
		.amdhsa_system_sgpr_workgroup_id_y 1
		.amdhsa_system_sgpr_workgroup_id_z 1
		.amdhsa_system_sgpr_workgroup_info 0
		.amdhsa_system_vgpr_workitem_id 0
		.amdhsa_next_free_vgpr 146
		.amdhsa_next_free_sgpr 38
		.amdhsa_reserve_vcc 1
		.amdhsa_float_round_mode_32 0
		.amdhsa_float_round_mode_16_64 0
		.amdhsa_float_denorm_mode_32 3
		.amdhsa_float_denorm_mode_16_64 3
		.amdhsa_dx10_clamp 1
		.amdhsa_ieee_mode 1
		.amdhsa_fp16_overflow 0
		.amdhsa_workgroup_processor_mode 1
		.amdhsa_memory_ordered 1
		.amdhsa_forward_progress 0
		.amdhsa_shared_vgpr_count 0
		.amdhsa_exception_fp_ieee_invalid_op 0
		.amdhsa_exception_fp_denorm_src 0
		.amdhsa_exception_fp_ieee_div_zero 0
		.amdhsa_exception_fp_ieee_overflow 0
		.amdhsa_exception_fp_ieee_underflow 0
		.amdhsa_exception_fp_ieee_inexact 0
		.amdhsa_exception_int_div_zero 0
	.end_amdhsa_kernel
	.section	.text._Z39paged_attention_ll4mi_QKV_mfma16_kernelIDF16_hLN4vllm18Fp8KVCacheDataTypeE1EDF16_Li32ELi64ELi256ELb0ELi14EL8MFMAType0EEvPKT_PKT0_S8_ifPKiSA_SA_iPKfiiiPfSD_PS3_PT2_iSC_SC_,"axG",@progbits,_Z39paged_attention_ll4mi_QKV_mfma16_kernelIDF16_hLN4vllm18Fp8KVCacheDataTypeE1EDF16_Li32ELi64ELi256ELb0ELi14EL8MFMAType0EEvPKT_PKT0_S8_ifPKiSA_SA_iPKfiiiPfSD_PS3_PT2_iSC_SC_,comdat
.Lfunc_end1211:
	.size	_Z39paged_attention_ll4mi_QKV_mfma16_kernelIDF16_hLN4vllm18Fp8KVCacheDataTypeE1EDF16_Li32ELi64ELi256ELb0ELi14EL8MFMAType0EEvPKT_PKT0_S8_ifPKiSA_SA_iPKfiiiPfSD_PS3_PT2_iSC_SC_, .Lfunc_end1211-_Z39paged_attention_ll4mi_QKV_mfma16_kernelIDF16_hLN4vllm18Fp8KVCacheDataTypeE1EDF16_Li32ELi64ELi256ELb0ELi14EL8MFMAType0EEvPKT_PKT0_S8_ifPKiSA_SA_iPKfiiiPfSD_PS3_PT2_iSC_SC_
                                        ; -- End function
	.section	.AMDGPU.csdata,"",@progbits
; Kernel info:
; codeLenInByte = 6648
; NumSgprs: 40
; NumVgprs: 146
; ScratchSize: 0
; MemoryBound: 0
; FloatMode: 240
; IeeeMode: 1
; LDSByteSize: 17472 bytes/workgroup (compile time only)
; SGPRBlocks: 4
; VGPRBlocks: 18
; NumSGPRsForWavesPerEU: 40
; NumVGPRsForWavesPerEU: 146
; Occupancy: 9
; WaveLimiterHint : 1
; COMPUTE_PGM_RSRC2:SCRATCH_EN: 0
; COMPUTE_PGM_RSRC2:USER_SGPR: 13
; COMPUTE_PGM_RSRC2:TRAP_HANDLER: 0
; COMPUTE_PGM_RSRC2:TGID_X_EN: 1
; COMPUTE_PGM_RSRC2:TGID_Y_EN: 1
; COMPUTE_PGM_RSRC2:TGID_Z_EN: 1
; COMPUTE_PGM_RSRC2:TIDIG_COMP_CNT: 0
	.section	.text._Z39paged_attention_ll4mi_QKV_mfma16_kernelIDF16_hLN4vllm18Fp8KVCacheDataTypeE1EDF16_Li32ELi64ELi256ELb0ELi15EL8MFMAType0EEvPKT_PKT0_S8_ifPKiSA_SA_iPKfiiiPfSD_PS3_PT2_iSC_SC_,"axG",@progbits,_Z39paged_attention_ll4mi_QKV_mfma16_kernelIDF16_hLN4vllm18Fp8KVCacheDataTypeE1EDF16_Li32ELi64ELi256ELb0ELi15EL8MFMAType0EEvPKT_PKT0_S8_ifPKiSA_SA_iPKfiiiPfSD_PS3_PT2_iSC_SC_,comdat
	.protected	_Z39paged_attention_ll4mi_QKV_mfma16_kernelIDF16_hLN4vllm18Fp8KVCacheDataTypeE1EDF16_Li32ELi64ELi256ELb0ELi15EL8MFMAType0EEvPKT_PKT0_S8_ifPKiSA_SA_iPKfiiiPfSD_PS3_PT2_iSC_SC_ ; -- Begin function _Z39paged_attention_ll4mi_QKV_mfma16_kernelIDF16_hLN4vllm18Fp8KVCacheDataTypeE1EDF16_Li32ELi64ELi256ELb0ELi15EL8MFMAType0EEvPKT_PKT0_S8_ifPKiSA_SA_iPKfiiiPfSD_PS3_PT2_iSC_SC_
	.globl	_Z39paged_attention_ll4mi_QKV_mfma16_kernelIDF16_hLN4vllm18Fp8KVCacheDataTypeE1EDF16_Li32ELi64ELi256ELb0ELi15EL8MFMAType0EEvPKT_PKT0_S8_ifPKiSA_SA_iPKfiiiPfSD_PS3_PT2_iSC_SC_
	.p2align	8
	.type	_Z39paged_attention_ll4mi_QKV_mfma16_kernelIDF16_hLN4vllm18Fp8KVCacheDataTypeE1EDF16_Li32ELi64ELi256ELb0ELi15EL8MFMAType0EEvPKT_PKT0_S8_ifPKiSA_SA_iPKfiiiPfSD_PS3_PT2_iSC_SC_,@function
_Z39paged_attention_ll4mi_QKV_mfma16_kernelIDF16_hLN4vllm18Fp8KVCacheDataTypeE1EDF16_Li32ELi64ELi256ELb0ELi15EL8MFMAType0EEvPKT_PKT0_S8_ifPKiSA_SA_iPKfiiiPfSD_PS3_PT2_iSC_SC_: ; @_Z39paged_attention_ll4mi_QKV_mfma16_kernelIDF16_hLN4vllm18Fp8KVCacheDataTypeE1EDF16_Li32ELi64ELi256ELb0ELi15EL8MFMAType0EEvPKT_PKT0_S8_ifPKiSA_SA_iPKfiiiPfSD_PS3_PT2_iSC_SC_
; %bb.0:
	s_load_b64 s[2:3], s[0:1], 0x30
	s_mov_b32 s34, s13
	s_waitcnt lgkmcnt(0)
	s_cmp_lg_u64 s[2:3], 0
	s_cselect_b32 s6, -1, 0
	s_ashr_i32 s35, s13, 31
	s_cmp_eq_u64 s[2:3], 0
	s_cbranch_scc1 .LBB1212_3
; %bb.1:
	s_lshl_b64 s[4:5], s[34:35], 2
	s_delay_alu instid0(SALU_CYCLE_1) | instskip(SKIP_4) | instid1(SALU_CYCLE_1)
	s_add_u32 s4, s2, s4
	s_addc_u32 s5, s3, s5
	s_load_b64 s[4:5], s[4:5], 0x0
	s_waitcnt lgkmcnt(0)
	s_sub_i32 s4, s5, s4
	s_cmp_eq_u32 s4, 1
	s_cselect_b32 s4, -1, 0
	s_delay_alu instid0(SALU_CYCLE_1)
	s_and_not1_b32 vcc_lo, exec_lo, s4
	s_cbranch_vccz .LBB1212_4
.LBB1212_2:
	s_nop 0
	s_sendmsg sendmsg(MSG_DEALLOC_VGPRS)
	s_endpgm
.LBB1212_3:
.LBB1212_4:
	s_load_b64 s[8:9], s[0:1], 0x28
	s_lshl_b64 s[4:5], s[34:35], 2
	s_waitcnt lgkmcnt(0)
	s_add_u32 s8, s8, s4
	s_addc_u32 s9, s9, s5
	s_lshl_b32 s16, s14, 8
	s_load_b32 s18, s[8:9], 0x0
	s_waitcnt lgkmcnt(0)
	s_cmp_ge_i32 s16, s18
	s_cbranch_scc1 .LBB1212_2
; %bb.5:
	s_clause 0x1
	s_load_b128 s[8:11], s[0:1], 0x8
	s_load_b64 s[12:13], s[0:1], 0x20
	s_and_not1_b32 vcc_lo, exec_lo, s6
	s_cbranch_vccnz .LBB1212_7
; %bb.6:
	s_add_u32 s2, s2, s4
	s_addc_u32 s3, s3, s5
	s_load_b32 s3, s[2:3], 0x0
	s_branch .LBB1212_8
.LBB1212_7:
	s_mov_b32 s3, s34
.LBB1212_8:
	s_load_b128 s[4:7], s[0:1], 0x48
	v_lshrrev_b32_e32 v69, 5, v0
	v_bfe_u32 v66, v0, 4, 1
	v_and_b32_e32 v68, 15, v0
	v_and_b32_e32 v70, 31, v0
	v_and_b32_e32 v67, 1, v0
	s_mul_i32 s33, s15, 15
	v_lshl_or_b32 v1, v69, 1, v66
	v_lshlrev_b32_e32 v2, 3, v68
	v_cmp_gt_u32_e64 s2, 8, v68
	s_delay_alu instid0(VALU_DEP_3) | instskip(NEXT) | instid1(VALU_DEP_3)
	v_cmp_gt_u32_e32 vcc_lo, 15, v1
	v_lshlrev_b32_e32 v65, 1, v2
	s_delay_alu instid0(VALU_DEP_3)
	s_and_b32 s17, s2, vcc_lo
	s_waitcnt lgkmcnt(0)
	s_and_saveexec_b32 s7, s17
	s_cbranch_execz .LBB1212_10
; %bb.9:
	s_load_b64 s[20:21], s[0:1], 0x0
	v_add_lshl_u32 v2, v1, s33, 6
	s_mul_hi_i32 s23, s3, s4
	s_mul_i32 s22, s3, s4
	v_lshlrev_b32_e32 v6, 10, v68
	s_lshl_b64 s[22:23], s[22:23], 1
	v_ashrrev_i32_e32 v3, 31, v2
	v_lshlrev_b32_e32 v1, 6, v1
	v_lshlrev_b32_e32 v7, 10, v67
	v_and_b32_e32 v6, 0x3800, v6
	s_delay_alu instid0(VALU_DEP_4) | instskip(NEXT) | instid1(VALU_DEP_2)
	v_lshlrev_b64 v[2:3], 1, v[2:3]
	v_or3_b32 v1, v6, v7, v1
	s_waitcnt lgkmcnt(0)
	s_add_u32 s3, s20, s22
	s_addc_u32 s4, s21, s23
	s_delay_alu instid0(VALU_DEP_2) | instskip(SKIP_1) | instid1(VALU_DEP_2)
	v_add_co_u32 v2, vcc_lo, s3, v2
	v_add_co_ci_u32_e32 v3, vcc_lo, s4, v3, vcc_lo
	v_add_co_u32 v2, vcc_lo, v2, v65
	s_delay_alu instid0(VALU_DEP_2)
	v_add_co_ci_u32_e32 v3, vcc_lo, 0, v3, vcc_lo
	global_load_b128 v[2:5], v[2:3], off
	s_waitcnt vmcnt(0)
	ds_store_b128 v1, v[2:5]
.LBB1212_10:
	s_or_b32 exec_lo, exec_lo, s7
	v_and_b32_e32 v1, 0xef, v0
	s_add_i32 s3, s18, 31
	s_clause 0x1
	s_load_b32 s4, s[0:1], 0x38
	s_load_b32 s35, s[0:1], 0x98
	s_ashr_i32 s7, s3, 31
	v_add_nc_u32_e32 v1, s16, v1
	s_lshr_b32 s7, s7, 27
	s_load_b32 s19, s[0:1], 0x1c
	s_add_i32 s3, s3, s7
	s_waitcnt lgkmcnt(0)
	v_ashrrev_i32_e32 v2, 31, v1
	v_or_b32_e32 v3, 16, v1
	s_ashr_i32 s3, s3, 5
	v_cmp_gt_i32_e32 vcc_lo, s18, v1
	s_add_i32 s3, s3, -1
	v_lshrrev_b32_e32 v2, 27, v2
	s_barrier
	buffer_gl0_inv
	s_mul_i32 s15, s15, s6
	v_mbcnt_lo_u32_b32 v127, -1, 0
	v_add_nc_u32_e32 v4, v1, v2
	s_mul_i32 s20, s34, s4
	s_delay_alu instid0(SALU_CYCLE_1) | instskip(NEXT) | instid1(VALU_DEP_1)
	s_ashr_i32 s21, s20, 31
	v_ashrrev_i32_e32 v4, 5, v4
	v_add_nc_u32_e32 v2, v3, v2
	s_lshl_b64 s[20:21], s[20:21], 2
	v_xor_b32_e32 v128, 16, v127
	s_add_u32 s17, s12, s20
	v_cndmask_b32_e32 v1, s3, v4, vcc_lo
	v_ashrrev_i32_e32 v2, 5, v2
	v_cmp_gt_i32_e32 vcc_lo, s18, v3
	s_addc_u32 s13, s13, s21
	s_ashr_i32 s20, s15, 31
	s_add_u32 s22, s8, s15
	s_addc_u32 s23, s9, s20
	v_cndmask_b32_e32 v3, s3, v2, vcc_lo
	v_ashrrev_i32_e32 v2, 31, v1
	s_lshl_b32 s6, s14, 3
	s_delay_alu instid0(SALU_CYCLE_1) | instskip(NEXT) | instid1(VALU_DEP_2)
	s_ashr_i32 s7, s6, 31
	v_ashrrev_i32_e32 v4, 31, v3
	s_delay_alu instid0(VALU_DEP_2) | instskip(SKIP_1) | instid1(SALU_CYCLE_1)
	v_lshlrev_b64 v[1:2], 2, v[1:2]
	s_lshl_b64 s[6:7], s[6:7], 2
	s_add_u32 s6, s17, s6
	s_delay_alu instid0(VALU_DEP_2) | instskip(SKIP_1) | instid1(VALU_DEP_2)
	v_lshlrev_b64 v[3:4], 2, v[3:4]
	s_addc_u32 s7, s13, s7
	v_add_co_u32 v1, vcc_lo, s17, v1
	v_add_co_ci_u32_e32 v2, vcc_lo, s13, v2, vcc_lo
	s_delay_alu instid0(VALU_DEP_3) | instskip(NEXT) | instid1(VALU_DEP_4)
	v_add_co_u32 v3, vcc_lo, s17, v3
	v_add_co_ci_u32_e32 v4, vcc_lo, s13, v4, vcc_lo
	s_clause 0x1
	global_load_b32 v5, v[1:2], off
	global_load_b32 v6, v[3:4], off
	s_or_b32 s4, s16, 32
	s_delay_alu instid0(SALU_CYCLE_1) | instskip(SKIP_2) | instid1(SALU_CYCLE_1)
	s_ashr_i32 s8, s4, 5
	s_cmp_lt_i32 s4, s18
	s_cselect_b32 s8, s8, s3
	s_ashr_i32 s9, s8, 31
	s_delay_alu instid0(SALU_CYCLE_1) | instskip(NEXT) | instid1(SALU_CYCLE_1)
	s_lshl_b64 s[8:9], s[8:9], 2
	s_add_u32 s8, s17, s8
	s_addc_u32 s9, s13, s9
	s_or_b32 s4, s16, 64
	s_delay_alu instid0(SALU_CYCLE_1) | instskip(SKIP_2) | instid1(SALU_CYCLE_1)
	s_ashr_i32 s12, s4, 5
	s_cmp_lt_i32 s4, s18
	s_cselect_b32 s24, s12, s3
	s_ashr_i32 s25, s24, 31
	s_delay_alu instid0(SALU_CYCLE_1) | instskip(NEXT) | instid1(SALU_CYCLE_1)
	s_lshl_b64 s[24:25], s[24:25], 2
	s_add_u32 s24, s17, s24
	s_addc_u32 s25, s13, s25
	;; [unrolled: 10-line block ×5, first 2 shown]
	s_clause 0x5
	s_load_b32 s12, s[6:7], 0x0
	s_load_b32 s4, s[8:9], 0x0
	s_load_b32 s6, s[24:25], 0x0
	s_load_b32 s7, s[26:27], 0x0
	s_load_b32 s8, s[28:29], 0x0
	s_load_b32 s9, s[30:31], 0x0
	s_or_b32 s21, s16, 0xc0
	s_waitcnt vmcnt(1)
	v_mad_i64_i32 v[1:2], null, v5, s5, s[22:23]
	v_lshlrev_b32_e32 v5, 4, v68
	s_waitcnt vmcnt(0)
	v_mad_i64_i32 v[3:4], null, v6, s5, s[22:23]
	s_ashr_i32 s22, s21, 5
	s_cmp_lt_i32 s21, s18
	s_delay_alu instid0(VALU_DEP_3) | instskip(NEXT) | instid1(VALU_DEP_4)
	v_add_co_u32 v1, vcc_lo, v1, v5
	v_add_co_ci_u32_e32 v2, vcc_lo, 0, v2, vcc_lo
	s_delay_alu instid0(VALU_DEP_3) | instskip(NEXT) | instid1(VALU_DEP_4)
	v_add_co_u32 v3, vcc_lo, v3, v5
	v_add_co_ci_u32_e32 v4, vcc_lo, 0, v4, vcc_lo
	s_clause 0x7
	global_load_b128 v[71:74], v[1:2], off
	global_load_b128 v[75:78], v[1:2], off offset:512
	global_load_b128 v[79:82], v[3:4], off offset:256
	;; [unrolled: 1-line block ×7, first 2 shown]
	s_cselect_b32 s22, s22, s3
	v_lshlrev_b32_e32 v1, 5, v68
	s_ashr_i32 s23, s22, 31
	v_cmp_ne_u32_e32 vcc_lo, 15, v68
	s_lshl_b64 s[22:23], s[22:23], 2
	s_delay_alu instid0(SALU_CYCLE_1)
	s_add_u32 s22, s17, s22
	s_addc_u32 s23, s13, s23
	s_or_b32 s21, s16, 0xe0
	v_lshl_or_b32 v1, v69, 9, v1
	s_ashr_i32 s24, s21, 5
	s_cmp_lt_i32 s21, s18
	v_cndmask_b32_e32 v103, 0, v68, vcc_lo
	s_cselect_b32 s24, s24, s3
	s_load_b32 s3, s[22:23], 0x0
	s_ashr_i32 s25, s24, 31
	v_cmp_gt_i32_e32 vcc_lo, 32, v128
	s_lshl_b64 s[24:25], s[24:25], 2
	v_lshlrev_b32_e32 v115, 6, v103
	s_add_u32 s22, s17, s24
	s_addc_u32 s23, s13, s25
	v_cndmask_b32_e32 v136, v127, v128, vcc_lo
	s_add_u32 s10, s10, s15
	s_addc_u32 s11, s11, s20
	v_add_co_u32 v1, s10, s10, v1
	s_delay_alu instid0(VALU_DEP_1) | instskip(SKIP_2) | instid1(VALU_DEP_1)
	v_add_co_ci_u32_e64 v2, null, s11, 0, s10
	s_load_b32 s10, s[22:23], 0x0
	s_waitcnt lgkmcnt(0)
	v_mad_i64_i32 v[3:4], null, s12, s5, v[1:2]
	v_mad_i64_i32 v[9:10], null, s7, s5, v[1:2]
	;; [unrolled: 1-line block ×7, first 2 shown]
	s_clause 0x5
	global_load_b128 v[49:52], v[3:4], off
	global_load_b128 v[53:56], v[3:4], off offset:16
	global_load_b128 v[41:44], v[5:6], off
	global_load_b128 v[45:48], v[5:6], off offset:16
	global_load_b128 v[33:36], v[7:8], off
	global_load_b128 v[37:40], v[7:8], off offset:16
	s_mov_b32 s4, 0
	v_mad_i64_i32 v[61:62], null, s10, s5, v[1:2]
	s_clause 0x9
	global_load_b128 v[1:4], v[9:10], off
	global_load_b128 v[5:8], v[9:10], off offset:16
	global_load_b128 v[9:12], v[13:14], off
	global_load_b128 v[13:16], v[13:14], off offset:16
	global_load_b128 v[17:20], v[21:22], off
	global_load_b128 v[21:24], v[21:22], off offset:16
	global_load_b128 v[25:28], v[29:30], off
	global_load_b128 v[29:32], v[29:30], off offset:16
	global_load_b128 v[57:60], v[61:62], off
	global_load_b128 v[61:64], v[61:62], off offset:16
	s_mov_b32 s5, s4
	s_mov_b32 s6, s4
	;; [unrolled: 1-line block ×7, first 2 shown]
	v_and_b32_e32 v104, 0xe0, v0
	v_dual_mov_b32 v126, s11 :: v_dual_mov_b32 v125, s10
	v_dual_mov_b32 v124, s9 :: v_dual_mov_b32 v123, s8
	s_delay_alu instid0(VALU_DEP_3)
	v_add_nc_u32_e32 v111, s16, v104
	ds_load_b128 v[103:106], v115
	ds_load_b128 v[107:110], v115 offset:1024
	v_dual_mov_b32 v122, s7 :: v_dual_mov_b32 v121, s6
	v_mov_b32_e32 v120, s5
	v_or_b32_e32 v135, v111, v66
	ds_load_b128 v[111:114], v115 offset:2048
	ds_load_b128 v[115:118], v115 offset:3072
	v_mov_b32_e32 v119, s4
	s_waitcnt vmcnt(0) lgkmcnt(0)
	s_barrier
	v_or_b32_e32 v137, 2, v135
	v_or_b32_e32 v138, 4, v135
	;; [unrolled: 1-line block ×3, first 2 shown]
	v_cmp_gt_i32_e32 vcc_lo, s18, v135
	v_or_b32_e32 v140, 8, v135
	v_cmp_gt_i32_e64 s3, s18, v137
	v_or_b32_e32 v141, 10, v135
	v_cmp_gt_i32_e64 s4, s18, v138
	v_cmp_gt_i32_e64 s5, s18, v139
	v_or_b32_e32 v142, 12, v135
	v_or_b32_e32 v143, 14, v135
	v_cmp_gt_i32_e64 s6, s18, v140
	v_cmp_gt_i32_e64 s7, s18, v141
	v_or_b32_e32 v144, 16, v135
	v_or_b32_e32 v145, 18, v135
	v_cmp_gt_i32_e64 s8, s18, v142
	v_cmp_gt_i32_e64 s9, s18, v143
	buffer_gl0_inv
	v_cmp_gt_i32_e64 s10, s18, v144
	v_cmp_gt_i32_e64 s11, s18, v145
	v_wmma_f32_16x16x16_f16 v[127:134], v[71:78], v[103:110], v[119:126]
	v_wmma_f32_16x16x16_f16 v[119:126], v[79:86], v[103:110], v[119:126]
	v_or_b32_e32 v71, 20, v135
	v_or_b32_e32 v72, 22, v135
	s_delay_alu instid0(VALU_DEP_4)
	v_wmma_f32_16x16x16_f16 v[127:134], v[87:94], v[111:118], v[127:134]
	v_or_b32_e32 v73, 24, v135
	v_wmma_f32_16x16x16_f16 v[119:126], v[95:102], v[111:118], v[119:126]
	v_or_b32_e32 v74, 26, v135
	v_cmp_gt_i32_e64 s12, s18, v71
	v_dual_mul_f32 v84, s19, v127 :: v_dual_mul_f32 v83, s19, v128
	s_delay_alu instid0(VALU_DEP_4) | instskip(SKIP_2) | instid1(VALU_DEP_4)
	v_dual_mul_f32 v92, s19, v119 :: v_dual_mul_f32 v81, s19, v130
	v_mul_f32_e32 v90, s19, v121
	v_mul_f32_e32 v82, s19, v129
	v_cndmask_b32_e32 v84, 0xff7fffff, v84, vcc_lo
	v_cndmask_b32_e64 v83, 0xff7fffff, v83, s3
	v_dual_mul_f32 v79, s19, v132 :: v_dual_mul_f32 v88, s19, v123
	v_mul_f32_e32 v80, s19, v131
	v_cndmask_b32_e64 v82, 0xff7fffff, v82, s4
	v_cndmask_b32_e64 v81, 0xff7fffff, v81, s5
	v_max3_f32 v83, v84, 0xff7fffff, v83
	v_dual_mul_f32 v77, s19, v134 :: v_dual_mul_f32 v86, s19, v125
	v_mul_f32_e32 v78, s19, v133
	v_cndmask_b32_e64 v80, 0xff7fffff, v80, s6
	v_cndmask_b32_e64 v79, 0xff7fffff, v79, s7
	v_max3_f32 v81, v83, v82, v81
	v_mul_f32_e32 v91, s19, v120
	v_cndmask_b32_e64 v78, 0xff7fffff, v78, s8
	v_cndmask_b32_e64 v77, 0xff7fffff, v77, s9
	v_mul_f32_e32 v89, s19, v122
	v_max3_f32 v79, v81, v80, v79
	v_cndmask_b32_e64 v80, 0xff7fffff, v92, s10
	v_cndmask_b32_e64 v81, 0xff7fffff, v91, s11
	v_cmp_gt_i32_e64 s13, s18, v72
	v_or_b32_e32 v75, 28, v135
	v_max3_f32 v77, v79, v78, v77
	v_or_b32_e32 v76, 30, v135
	v_mul_f32_e32 v87, s19, v124
	v_cndmask_b32_e64 v71, 0xff7fffff, v90, s12
	v_cndmask_b32_e64 v72, 0xff7fffff, v89, s13
	v_max3_f32 v77, v77, v80, v81
	v_cmp_gt_i32_e64 s15, s18, v73
	v_cmp_gt_i32_e64 s16, s18, v74
	v_mul_f32_e32 v85, s19, v126
	v_cmp_gt_i32_e64 s17, s18, v75
	v_max3_f32 v71, v77, v71, v72
	v_cndmask_b32_e64 v73, 0xff7fffff, v88, s15
	v_cndmask_b32_e64 v74, 0xff7fffff, v87, s16
	v_cmp_gt_i32_e64 s18, s18, v76
	v_cndmask_b32_e64 v72, 0xff7fffff, v86, s17
	s_delay_alu instid0(VALU_DEP_3) | instskip(NEXT) | instid1(VALU_DEP_3)
	v_max3_f32 v71, v71, v73, v74
	v_cndmask_b32_e64 v75, 0xff7fffff, v85, s18
	v_lshlrev_b32_e32 v73, 2, v136
	s_delay_alu instid0(VALU_DEP_2) | instskip(SKIP_3) | instid1(VALU_DEP_1)
	v_max3_f32 v71, v71, v72, v75
	ds_bpermute_b32 v72, v73, v71
	s_waitcnt lgkmcnt(0)
	v_max_f32_e32 v72, v72, v72
	v_max_f32_e32 v71, v71, v72
	s_delay_alu instid0(VALU_DEP_1) | instskip(SKIP_2) | instid1(VALU_DEP_3)
	v_fma_f32 v72, s19, v127, -v71
	v_fma_f32 v74, s19, v128, -v71
	;; [unrolled: 1-line block ×3, first 2 shown]
	v_mul_f32_e32 v72, 0x3fb8aa3b, v72
	s_delay_alu instid0(VALU_DEP_2) | instskip(NEXT) | instid1(VALU_DEP_2)
	v_dual_mul_f32 v74, 0x3fb8aa3b, v74 :: v_dual_mul_f32 v75, 0x3fb8aa3b, v75
	v_exp_f32_e32 v72, v72
	s_delay_alu instid0(VALU_DEP_1) | instskip(NEXT) | instid1(VALU_DEP_1)
	v_exp_f32_e32 v74, v74
	v_exp_f32_e32 v75, v75
	s_delay_alu instid0(TRANS32_DEP_3)
	v_cndmask_b32_e32 v79, 0, v72, vcc_lo
	s_waitcnt_depctr 0xfff
	v_cndmask_b32_e64 v78, 0, v74, s3
	v_cndmask_b32_e64 v81, 0, v75, s4
	v_cmp_gt_u32_e64 s3, 16, v70
	v_add_f32_e32 v74, 0, v79
	s_delay_alu instid0(VALU_DEP_1) | instskip(NEXT) | instid1(VALU_DEP_1)
	v_add_f32_e32 v74, v74, v78
	v_add_f32_e32 v74, v74, v81
	v_fma_f32 v76, s19, v130, -v71
	v_fma_f32 v77, s19, v131, -v71
	;; [unrolled: 1-line block ×5, first 2 shown]
	s_delay_alu instid0(VALU_DEP_4) | instskip(NEXT) | instid1(VALU_DEP_4)
	v_dual_mul_f32 v76, 0x3fb8aa3b, v76 :: v_dual_mul_f32 v77, 0x3fb8aa3b, v77
	v_mul_f32_e32 v72, 0x3fb8aa3b, v72
	s_delay_alu instid0(VALU_DEP_4) | instskip(SKIP_1) | instid1(VALU_DEP_4)
	v_mul_f32_e32 v82, 0x3fb8aa3b, v80
	v_fma_f32 v86, s19, v122, -v71
	v_exp_f32_e32 v76, v76
	v_exp_f32_e32 v77, v77
	;; [unrolled: 1-line block ×4, first 2 shown]
	v_mul_f32_e32 v86, 0x3fb8aa3b, v86
	s_delay_alu instid0(VALU_DEP_1)
	v_exp_f32_e32 v88, v86
	v_cndmask_b32_e64 v80, 0, v76, s5
	v_mul_f32_e32 v75, 0x3fb8aa3b, v75
	v_fma_f32 v76, s19, v119, -v71
	v_cndmask_b32_e64 v83, 0, v77, s6
	v_fma_f32 v77, s19, v120, -v71
	v_add_f32_e32 v74, v74, v80
	v_exp_f32_e32 v75, v75
	v_mul_f32_e32 v76, 0x3fb8aa3b, v76
	v_cndmask_b32_e64 v82, 0, v72, s7
	s_delay_alu instid0(VALU_DEP_3) | instskip(SKIP_1) | instid1(VALU_DEP_4)
	v_dual_mul_f32 v77, 0x3fb8aa3b, v77 :: v_dual_add_f32 v72, v74, v83
	v_fma_f32 v74, s19, v121, -v71
	v_exp_f32_e32 v76, v76
	v_cndmask_b32_e64 v85, 0, v84, s8
	s_delay_alu instid0(VALU_DEP_3) | instskip(SKIP_1) | instid1(TRANS32_DEP_3)
	v_exp_f32_e32 v77, v77
	v_cndmask_b32_e64 v88, 0, v88, s13
	v_cndmask_b32_e64 v84, 0, v75, s9
	v_fma_f32 v75, s19, v123, -v71
	v_add_f32_e32 v72, v72, v82
	s_delay_alu instid0(VALU_DEP_2) | instskip(NEXT) | instid1(VALU_DEP_2)
	v_dual_mul_f32 v74, 0x3fb8aa3b, v74 :: v_dual_mul_f32 v75, 0x3fb8aa3b, v75
	v_add_f32_e32 v72, v72, v85
	s_delay_alu instid0(VALU_DEP_2)
	v_exp_f32_e32 v74, v74
	v_cndmask_b32_e64 v87, 0, v76, s10
	v_fma_f32 v76, s19, v124, -v71
	v_cndmask_b32_e64 v86, 0, v77, s11
	v_add_f32_e32 v72, v72, v84
	v_fma_f32 v77, s19, v125, -v71
	v_exp_f32_e32 v75, v75
	v_mul_f32_e32 v76, 0x3fb8aa3b, v76
	s_delay_alu instid0(VALU_DEP_3) | instskip(NEXT) | instid1(TRANS32_DEP_2)
	v_add_f32_e32 v72, v72, v87
	v_cndmask_b32_e64 v89, 0, v74, s12
	v_mul_f32_e32 v74, 0x3fb8aa3b, v77
	s_delay_alu instid0(VALU_DEP_4) | instskip(SKIP_2) | instid1(VALU_DEP_3)
	v_exp_f32_e32 v76, v76
	v_fma_f32 v77, s19, v126, -v71
	v_add_f32_e32 v72, v72, v86
	v_exp_f32_e32 v74, v74
	s_delay_alu instid0(TRANS32_DEP_3) | instskip(NEXT) | instid1(VALU_DEP_3)
	v_cndmask_b32_e64 v91, 0, v75, s15
	v_mul_f32_e32 v75, 0x3fb8aa3b, v77
	s_delay_alu instid0(VALU_DEP_3) | instskip(NEXT) | instid1(TRANS32_DEP_2)
	v_add_f32_e32 v72, v72, v89
	v_cndmask_b32_e64 v90, 0, v76, s16
	s_delay_alu instid0(VALU_DEP_3) | instskip(NEXT) | instid1(VALU_DEP_2)
	v_exp_f32_e32 v75, v75
	v_add_f32_e32 v72, v72, v88
	s_delay_alu instid0(TRANS32_DEP_2) | instskip(NEXT) | instid1(VALU_DEP_2)
	v_cndmask_b32_e64 v93, 0, v74, s17
	v_add_f32_e32 v72, v72, v91
	s_waitcnt_depctr 0xfff
	v_cndmask_b32_e64 v92, 0, v75, s18
	v_add_f32_e32 v72, v72, v90
	s_delay_alu instid0(VALU_DEP_1) | instskip(NEXT) | instid1(VALU_DEP_1)
	v_add_f32_e32 v72, v72, v93
	v_add_f32_e32 v72, v72, v92
	ds_bpermute_b32 v73, v73, v72
	s_and_saveexec_b32 s4, s3
	s_cbranch_execz .LBB1212_12
; %bb.11:
	v_mul_u32_u24_e32 v70, 0x44, v69
	s_waitcnt lgkmcnt(0)
	v_add_f32_e32 v72, v72, v73
	s_delay_alu instid0(VALU_DEP_2) | instskip(NEXT) | instid1(VALU_DEP_1)
	v_lshl_add_u32 v70, v68, 2, v70
	v_add_nc_u32_e32 v70, 0x4000, v70
	ds_store_2addr_b32 v70, v71, v72 offset1:136
.LBB1212_12:
	s_or_b32 exec_lo, exec_lo, s4
	v_lshlrev_b32_e32 v70, 2, v68
	s_load_b32 s36, s[0:1], 0x94
	s_waitcnt lgkmcnt(0)
	s_barrier
	buffer_gl0_inv
	v_add_nc_u32_e32 v98, 0x4000, v70
	v_cmp_eq_u32_e32 vcc_lo, 1, v69
	v_cmp_eq_u32_e64 s4, 2, v69
	v_cmp_eq_u32_e64 s5, 3, v69
	;; [unrolled: 1-line block ×3, first 2 shown]
	ds_load_2addr_b32 v[70:71], v98 offset1:17
	ds_load_2addr_b32 v[72:73], v98 offset0:34 offset1:51
	ds_load_2addr_b32 v[74:75], v98 offset0:68 offset1:85
	ds_load_2addr_b32 v[94:95], v98 offset0:102 offset1:119
	v_cmp_eq_u32_e64 s7, 5, v69
	v_cmp_eq_u32_e64 s8, 7, v69
	s_waitcnt lgkmcnt(3)
	v_max3_f32 v76, v70, 0xff7fffff, v71
	s_waitcnt lgkmcnt(2)
	s_delay_alu instid0(VALU_DEP_1) | instskip(SKIP_1) | instid1(VALU_DEP_1)
	v_max3_f32 v76, v76, v72, v73
	s_waitcnt lgkmcnt(1)
	v_max3_f32 v76, v76, v74, v75
	s_waitcnt lgkmcnt(0)
	s_delay_alu instid0(VALU_DEP_1) | instskip(NEXT) | instid1(VALU_DEP_1)
	v_max3_f32 v76, v76, v94, v95
	v_sub_f32_e32 v77, v71, v76
	ds_load_2addr_b32 v[96:97], v98 offset0:136 offset1:153
	v_sub_f32_e32 v74, v74, v76
	v_sub_f32_e32 v70, v70, v76
	;; [unrolled: 1-line block ×3, first 2 shown]
	v_dual_sub_f32 v72, v72, v76 :: v_dual_mul_f32 v77, 0x3fb8aa3b, v77
	s_delay_alu instid0(VALU_DEP_4) | instskip(NEXT) | instid1(VALU_DEP_4)
	v_mul_f32_e32 v103, 0x3fb8aa3b, v74
	v_mul_f32_e32 v99, 0x3fb8aa3b, v70
	ds_load_2addr_b32 v[70:71], v98 offset0:170 offset1:187
	v_dual_mul_f32 v101, 0x3fb8aa3b, v72 :: v_dual_mul_f32 v94, 0x3fb8aa3b, v94
	v_exp_f32_e32 v102, v77
	v_exp_f32_e32 v99, v99
	s_delay_alu instid0(VALU_DEP_1) | instskip(NEXT) | instid1(VALU_DEP_1)
	v_exp_f32_e32 v101, v101
	v_exp_f32_e32 v94, v94
	s_waitcnt lgkmcnt(1)
	s_delay_alu instid0(TRANS32_DEP_3)
	v_fma_f32 v77, v99, v96, 0
	v_sub_f32_e32 v100, v73, v76
	ds_load_2addr_b32 v[72:73], v98 offset0:204 offset1:221
	v_fmac_f32_e32 v77, v102, v97
	v_exp_f32_e32 v97, v103
	s_waitcnt lgkmcnt(1)
	s_delay_alu instid0(VALU_DEP_1)
	v_dual_fmac_f32 v77, v101, v70 :: v_dual_sub_f32 v96, v75, v76
	ds_load_2addr_b32 v[74:75], v98 offset0:238 offset1:255
	v_sub_f32_e32 v70, v95, v76
	s_waitcnt lgkmcnt(0)
	s_barrier
	v_mul_f32_e32 v96, 0x3fb8aa3b, v96
	buffer_gl0_inv
	v_exp_f32_e32 v95, v96
	v_mul_f32_e32 v100, 0x3fb8aa3b, v100
	s_delay_alu instid0(VALU_DEP_1) | instskip(SKIP_3) | instid1(VALU_DEP_2)
	v_exp_f32_e32 v100, v100
	s_waitcnt_depctr 0xfff
	v_dual_fmac_f32 v77, v100, v71 :: v_dual_mul_f32 v70, 0x3fb8aa3b, v70
	v_cndmask_b32_e32 v71, v99, v102, vcc_lo
	v_fmac_f32_e32 v77, v97, v72
	s_delay_alu instid0(VALU_DEP_3) | instskip(NEXT) | instid1(VALU_DEP_1)
	v_exp_f32_e32 v96, v70
	v_fmac_f32_e32 v77, v95, v73
	s_delay_alu instid0(VALU_DEP_1) | instskip(SKIP_2) | instid1(VALU_DEP_1)
	v_fmac_f32_e32 v77, v94, v74
	s_waitcnt_depctr 0xfff
	v_fmac_f32_e32 v77, v96, v75
	v_add_f32_e32 v74, 0x358637bd, v77
	s_delay_alu instid0(VALU_DEP_1) | instskip(SKIP_1) | instid1(VALU_DEP_2)
	v_div_scale_f32 v98, null, v74, v74, 1.0
	v_div_scale_f32 v99, vcc_lo, 1.0, v74, 1.0
	v_rcp_f32_e32 v103, v98
	s_waitcnt_depctr 0xfff
	v_fma_f32 v70, -v98, v103, 1.0
	s_delay_alu instid0(VALU_DEP_1) | instskip(SKIP_2) | instid1(VALU_DEP_2)
	v_fmac_f32_e32 v103, v70, v103
	v_cndmask_b32_e64 v70, v71, v101, s4
	v_cmp_eq_u32_e64 s4, 6, v69
	v_cndmask_b32_e64 v71, v70, v100, s5
	s_delay_alu instid0(VALU_DEP_4) | instskip(NEXT) | instid1(VALU_DEP_2)
	v_dual_mul_f32 v101, v99, v103 :: v_dual_lshlrev_b32 v70, 2, v66
	v_cndmask_b32_e64 v71, v71, v97, s6
	s_delay_alu instid0(VALU_DEP_2) | instskip(NEXT) | instid1(VALU_DEP_3)
	v_or_b32_e32 v72, 1, v70
	v_fma_f32 v100, -v98, v101, v99
	v_cmp_eq_u32_e64 s5, 1, v70
	v_cmp_eq_u32_e64 s6, 2, v70
	v_cndmask_b32_e64 v95, v71, v95, s7
	v_or_b32_e32 v71, 3, v70
	v_fmac_f32_e32 v101, v100, v103
	v_cmp_eq_u32_e64 s10, 1, v72
	v_cmp_eq_u32_e64 s13, 2, v72
	v_cndmask_b32_e64 v94, v95, v94, s4
	v_cmp_eq_u32_e64 s12, 1, v71
	v_fma_f32 v97, -v98, v101, v99
	v_cmp_eq_u32_e64 s17, 2, v71
	v_cmp_eq_u32_e64 s15, 3, v72
	v_cndmask_b32_e64 v94, v94, v96, s8
	v_cmp_eq_u32_e64 s19, 3, v71
	v_div_fmas_f32 v95, v97, v103, v101
	v_cmp_eq_u32_e32 vcc_lo, 3, v70
	v_cmp_eq_u32_e64 s4, 4, v70
	v_cmp_eq_u32_e64 s20, 4, v72
	;; [unrolled: 1-line block ×3, first 2 shown]
	v_div_fixup_f32 v95, v95, v74, 1.0
	v_lshlrev_b32_e32 v73, 6, v68
	v_cmp_eq_u32_e64 s7, 5, v70
	v_cmp_eq_u32_e64 s21, 5, v72
	;; [unrolled: 1-line block ×3, first 2 shown]
	v_mul_f32_e32 v102, v94, v95
	v_lshl_or_b32 v75, v69, 11, v73
	v_or_b32_e32 v69, 2, v70
	v_cmp_eq_u32_e64 s26, 6, v72
	v_cmp_eq_u32_e64 s28, 6, v71
	v_fma_mixlo_f16 v94, v102, v79, 0
	v_fma_mixlo_f16 v95, v102, v81, 0
	;; [unrolled: 1-line block ×8, first 2 shown]
	v_lshl_or_b32 v74, v66, 4, v75
	v_fma_mixhi_f16 v94, v102, v78, 0
	v_fma_mixhi_f16 v95, v102, v80, 0
	v_fma_mixhi_f16 v96, v102, v82, 0
	v_fma_mixhi_f16 v97, v102, v84, 0
	v_fma_mixhi_f16 v98, v102, v86, 0
	v_fma_mixhi_f16 v99, v102, v88, 0
	v_fma_mixhi_f16 v100, v102, v90, 0
	v_fma_mixhi_f16 v101, v102, v92, 0
	ds_store_b128 v74, v[94:97]
	ds_store_b128 v74, v[98:101] offset:1024
	s_waitcnt lgkmcnt(0)
	s_barrier
	buffer_gl0_inv
	ds_load_b128 v[78:81], v75
	ds_load_b128 v[82:85], v75 offset:16
	ds_load_b128 v[86:89], v75 offset:1024
	;; [unrolled: 1-line block ×3, first 2 shown]
	v_cmp_eq_u32_e64 s11, 1, v69
	v_cmp_eq_u32_e64 s16, 2, v69
	;; [unrolled: 1-line block ×11, first 2 shown]
	s_waitcnt lgkmcnt(3)
	v_lshrrev_b32_e32 v94, 16, v78
	s_waitcnt lgkmcnt(2)
	v_lshrrev_b32_e32 v98, 16, v82
	;; [unrolled: 2-line block ×4, first 2 shown]
	v_lshrrev_b32_e32 v95, 16, v79
	v_cndmask_b32_e64 v110, v78, v94, s5
	v_cndmask_b32_e64 v111, v82, v98, s5
	;; [unrolled: 1-line block ×8, first 2 shown]
	v_lshrrev_b32_e32 v99, 16, v83
	v_cndmask_b32_e64 v94, v86, v102, s5
	v_cndmask_b32_e64 v98, v90, v106, s5
	;; [unrolled: 1-line block ×15, first 2 shown]
	v_lshrrev_b32_e32 v103, 16, v87
	v_lshrrev_b32_e32 v107, 16, v91
	v_cndmask_b32_e64 v113, v115, v83, s16
	v_cndmask_b32_e64 v82, v94, v87, s6
	;; [unrolled: 1-line block ×7, first 2 shown]
	v_cndmask_b32_e32 v90, v102, v95, vcc_lo
	v_cndmask_b32_e32 v102, v106, v99, vcc_lo
	v_cndmask_b32_e64 v106, v110, v95, s15
	v_cndmask_b32_e64 v110, v111, v99, s15
	;; [unrolled: 1-line block ×4, first 2 shown]
	v_lshrrev_b32_e32 v96, 16, v80
	v_lshrrev_b32_e32 v100, 16, v84
	v_cndmask_b32_e64 v111, v112, v95, s18
	v_cndmask_b32_e64 v112, v113, v99, s18
	v_cndmask_b32_e32 v82, v82, v103, vcc_lo
	v_cndmask_b32_e32 v83, v83, v107, vcc_lo
	v_cndmask_b32_e64 v94, v94, v103, s15
	v_cndmask_b32_e64 v90, v90, v80, s4
	;; [unrolled: 1-line block ×7, first 2 shown]
	v_lshrrev_b32_e32 v104, 16, v88
	v_cndmask_b32_e64 v106, v111, v80, s22
	v_cndmask_b32_e64 v110, v112, v84, s22
	;; [unrolled: 1-line block ×11, first 2 shown]
	v_lshrrev_b32_e32 v97, 16, v81
	v_lshrrev_b32_e32 v101, 16, v85
	v_cndmask_b32_e64 v99, v106, v96, s24
	v_cndmask_b32_e64 v102, v110, v100, s24
	;; [unrolled: 1-line block ×7, first 2 shown]
	v_lshrrev_b32_e32 v105, 16, v89
	v_cndmask_b32_e64 v80, v80, v104, s7
	v_cndmask_b32_e64 v84, v84, v81, s8
	;; [unrolled: 1-line block ×16, first 2 shown]
	v_perm_b32 v81, v79, v78, 0x5040100
	v_perm_b32 v79, v95, v85, 0x5040100
	v_cndmask_b32_e64 v78, v119, v91, s16
	v_cndmask_b32_e64 v85, v117, v91, s13
	;; [unrolled: 1-line block ×3, first 2 shown]
	v_perm_b32 v80, v94, v90, 0x5040100
	v_cndmask_b32_e64 v90, v98, v103, s18
	v_cndmask_b32_e64 v86, v86, v103, s19
	;; [unrolled: 1-line block ×5, first 2 shown]
	v_lshrrev_b32_e32 v108, 16, v92
	v_cndmask_b32_e64 v90, v90, v88, s22
	v_cndmask_b32_e64 v86, v86, v88, s23
	;; [unrolled: 1-line block ×11, first 2 shown]
	v_lshrrev_b32_e32 v109, 16, v93
	v_cndmask_b32_e64 v82, v82, v93, s8
	v_cndmask_b32_e64 v88, v88, v89, s27
	;; [unrolled: 1-line block ×12, first 2 shown]
	v_perm_b32 v78, v84, v83, 0x5040100
	v_perm_b32 v85, v87, v86, 0x5040100
	;; [unrolled: 1-line block ×5, first 2 shown]
	s_mul_i32 s9, s35, 15
	s_mov_b32 s4, exec_lo
	ds_store_b128 v74, v[78:81]
	ds_store_b128 v74, v[82:85] offset:1024
	v_cmpx_gt_u32_e32 15, v0
	s_cbranch_execz .LBB1212_14
; %bb.13:
	s_mul_i32 s5, s9, s34
	s_load_b128 s[16:19], s[0:1], 0x58
	v_add3_u32 v68, s5, s33, v68
	s_delay_alu instid0(VALU_DEP_1) | instskip(NEXT) | instid1(VALU_DEP_1)
	v_mad_u64_u32 v[78:79], null, v68, s36, s[14:15]
	v_ashrrev_i32_e32 v79, 31, v78
	s_delay_alu instid0(VALU_DEP_1) | instskip(SKIP_1) | instid1(VALU_DEP_1)
	v_lshlrev_b64 v[78:79], 2, v[78:79]
	s_waitcnt lgkmcnt(0)
	v_add_co_u32 v80, vcc_lo, s18, v78
	s_delay_alu instid0(VALU_DEP_2)
	v_add_co_ci_u32_e32 v81, vcc_lo, s19, v79, vcc_lo
	v_add_co_u32 v78, vcc_lo, s16, v78
	v_add_co_ci_u32_e32 v79, vcc_lo, s17, v79, vcc_lo
	global_store_b32 v[80:81], v76, off
	global_store_b32 v[78:79], v77, off
.LBB1212_14:
	s_or_b32 exec_lo, exec_lo, s4
	s_waitcnt lgkmcnt(0)
	s_waitcnt_vscnt null, 0x0
	s_barrier
	buffer_gl0_inv
	ds_load_b128 v[84:87], v73
	ds_load_b128 v[88:91], v73 offset:16
	ds_load_b128 v[96:99], v73 offset:2064
	ds_load_b128 v[92:95], v73 offset:2048
	ds_load_b128 v[104:107], v73 offset:4112
	ds_load_b128 v[100:103], v73 offset:4096
	v_cmp_eq_u32_e32 vcc_lo, 1, v70
	v_mov_b32_e32 v76, 0
	ds_load_b128 v[112:115], v73 offset:6160
	ds_load_b128 v[108:111], v73 offset:6144
	;; [unrolled: 1-line block ×4, first 2 shown]
	v_cmp_eq_u32_e64 s5, 1, v69
	v_cmp_eq_u32_e64 s4, 1, v72
	;; [unrolled: 1-line block ×3, first 2 shown]
	v_mov_b32_e32 v77, v76
	v_mov_b32_e32 v78, v76
	;; [unrolled: 1-line block ×7, first 2 shown]
	v_cmp_eq_u32_e64 s7, 3, v72
	v_cmp_eq_u32_e64 s8, 7, v72
	s_waitcnt lgkmcnt(8)
	s_delay_alu instid0(VALU_DEP_3)
	v_wmma_f32_16x16x16_f16 v[76:83], v[49:56], v[84:91], v[76:83]
	ds_load_b128 v[53:56], v73 offset:10256
	ds_load_b128 v[49:52], v73 offset:10240
	s_waitcnt lgkmcnt(8)
	v_wmma_f32_16x16x16_f16 v[76:83], v[41:48], v[92:99], v[76:83]
	ds_load_b128 v[45:48], v73 offset:12304
	ds_load_b128 v[41:44], v73 offset:12288
	s_waitcnt lgkmcnt(8)
	;; [unrolled: 4-line block ×3, first 2 shown]
	s_barrier
	buffer_gl0_inv
	v_wmma_f32_16x16x16_f16 v[76:83], v[1:8], v[108:115], v[76:83]
	s_delay_alu instid0(VALU_DEP_1) | instskip(NEXT) | instid1(VALU_DEP_1)
	v_wmma_f32_16x16x16_f16 v[76:83], v[9:16], v[116:123], v[76:83]
	v_wmma_f32_16x16x16_f16 v[76:83], v[17:24], v[49:56], v[76:83]
	s_delay_alu instid0(VALU_DEP_1) | instskip(NEXT) | instid1(VALU_DEP_1)
	v_wmma_f32_16x16x16_f16 v[76:83], v[25:32], v[41:48], v[76:83]
	v_wmma_f32_16x16x16_f16 v[76:83], v[57:64], v[33:40], v[76:83]
	s_delay_alu instid0(VALU_DEP_1) | instskip(NEXT) | instid1(VALU_DEP_2)
	v_cvt_f16_f32_e32 v1, v76
	v_cvt_f16_f32_e32 v2, v77
	s_delay_alu instid0(VALU_DEP_3) | instskip(NEXT) | instid1(VALU_DEP_4)
	v_cvt_f16_f32_e32 v3, v78
	v_cvt_f16_f32_e32 v4, v79
	v_cvt_f16_f32_e32 v5, v80
	v_cvt_f16_f32_e32 v6, v81
	v_cvt_f16_f32_e32 v7, v82
	v_cvt_f16_f32_e32 v8, v83
	v_pack_b32_f16 v1, v1, v2
	v_pack_b32_f16 v2, v3, v4
	;; [unrolled: 1-line block ×3, first 2 shown]
	s_delay_alu instid0(VALU_DEP_4)
	v_pack_b32_f16 v4, v7, v8
	ds_store_b128 v74, v[1:4]
	s_waitcnt lgkmcnt(0)
	s_barrier
	buffer_gl0_inv
	ds_load_b128 v[1:4], v75
	ds_load_b128 v[5:8], v75 offset:16
	s_waitcnt lgkmcnt(1)
	v_lshrrev_b32_e32 v9, 16, v1
	s_waitcnt lgkmcnt(0)
	v_lshrrev_b32_e32 v13, 16, v5
	v_lshrrev_b32_e32 v10, 16, v2
	;; [unrolled: 1-line block ×4, first 2 shown]
	v_cndmask_b32_e32 v17, v1, v9, vcc_lo
	v_cndmask_b32_e32 v18, v5, v13, vcc_lo
	v_cndmask_b32_e64 v21, v1, v9, s5
	v_cmp_eq_u32_e32 vcc_lo, 1, v71
	v_cndmask_b32_e64 v22, v5, v13, s5
	v_cmp_eq_u32_e64 s5, 2, v70
	v_cndmask_b32_e64 v19, v1, v9, s4
	v_cndmask_b32_e64 v20, v5, v13, s4
	v_cndmask_b32_e32 v1, v1, v9, vcc_lo
	v_cmp_eq_u32_e64 s4, 2, v71
	v_cndmask_b32_e32 v5, v5, v13, vcc_lo
	v_cndmask_b32_e64 v9, v17, v2, s5
	v_cmp_eq_u32_e32 vcc_lo, 3, v70
	v_cndmask_b32_e64 v13, v18, v6, s5
	v_cmp_eq_u32_e64 s5, 2, v69
	v_cndmask_b32_e64 v17, v19, v2, s6
	v_cndmask_b32_e64 v18, v20, v6, s6
	v_cmp_eq_u32_e64 s6, 3, v69
	v_cndmask_b32_e64 v1, v1, v2, s4
	v_cndmask_b32_e64 v19, v21, v2, s5
	;; [unrolled: 1-line block ×4, first 2 shown]
	v_cndmask_b32_e32 v5, v9, v10, vcc_lo
	v_cndmask_b32_e32 v6, v13, v14, vcc_lo
	v_cmp_eq_u32_e32 vcc_lo, 3, v71
	v_cndmask_b32_e64 v9, v17, v10, s7
	v_cndmask_b32_e64 v13, v18, v14, s7
	;; [unrolled: 1-line block ×3, first 2 shown]
	v_cmp_eq_u32_e64 s5, 4, v70
	v_cndmask_b32_e32 v1, v1, v10, vcc_lo
	v_cndmask_b32_e32 v2, v2, v14, vcc_lo
	v_cmp_eq_u32_e32 vcc_lo, 4, v72
	v_lshrrev_b32_e32 v15, 16, v7
	v_lshrrev_b32_e32 v16, 16, v8
	v_cndmask_b32_e64 v17, v19, v10, s6
	v_cmp_eq_u32_e64 s4, 4, v71
	v_cndmask_b32_e64 v5, v5, v3, s5
	v_cndmask_b32_e64 v6, v6, v7, s5
	v_cndmask_b32_e32 v9, v9, v3, vcc_lo
	v_cmp_eq_u32_e64 s5, 5, v72
	v_cndmask_b32_e32 v10, v13, v7, vcc_lo
	v_cmp_eq_u32_e32 vcc_lo, 4, v69
	v_cmp_eq_u32_e64 s6, 5, v70
	v_cndmask_b32_e64 v2, v2, v7, s4
	v_cndmask_b32_e64 v9, v9, v11, s5
	;; [unrolled: 1-line block ×3, first 2 shown]
	v_cndmask_b32_e32 v13, v17, v3, vcc_lo
	v_cmp_eq_u32_e64 s5, 5, v69
	v_cndmask_b32_e32 v14, v18, v7, vcc_lo
	v_cndmask_b32_e64 v1, v1, v3, s4
	v_cmp_eq_u32_e32 vcc_lo, 5, v71
	v_lshrrev_b32_e32 v12, 16, v4
	v_cndmask_b32_e64 v13, v13, v11, s5
	v_cndmask_b32_e64 v3, v14, v15, s5
	v_cmp_eq_u32_e64 s5, 6, v71
	v_cndmask_b32_e32 v1, v1, v11, vcc_lo
	v_cndmask_b32_e64 v5, v5, v11, s6
	v_cmp_eq_u32_e64 s7, 6, v70
	v_cndmask_b32_e64 v6, v6, v15, s6
	v_cmp_eq_u32_e64 s6, 6, v72
	v_cmp_eq_u32_e64 s4, 6, v69
	v_cndmask_b32_e64 v1, v1, v4, s5
	v_cndmask_b32_e32 v2, v2, v15, vcc_lo
	v_cmp_eq_u32_e32 vcc_lo, 7, v71
	v_cndmask_b32_e64 v5, v5, v4, s7
	v_cndmask_b32_e64 v9, v9, v4, s6
	;; [unrolled: 1-line block ×3, first 2 shown]
	v_cmp_eq_u32_e64 s7, 7, v70
	v_cndmask_b32_e32 v1, v1, v12, vcc_lo
	v_cndmask_b32_e64 v7, v13, v4, s4
	v_cndmask_b32_e64 v3, v3, v8, s4
	;; [unrolled: 1-line block ×3, first 2 shown]
	v_cmp_eq_u32_e64 s4, 7, v69
	v_cndmask_b32_e64 v4, v10, v8, s6
	v_cndmask_b32_e64 v5, v5, v12, s7
	;; [unrolled: 1-line block ×3, first 2 shown]
	v_cndmask_b32_e32 v2, v2, v16, vcc_lo
	v_cndmask_b32_e64 v7, v7, v12, s4
	v_cndmask_b32_e64 v3, v3, v16, s4
	;; [unrolled: 1-line block ×4, first 2 shown]
	v_cmp_gt_u32_e32 vcc_lo, 32, v0
	v_perm_b32 v4, v2, v1, 0x5040100
	v_perm_b32 v3, v3, v7, 0x5040100
	;; [unrolled: 1-line block ×4, first 2 shown]
	s_and_b32 s2, vcc_lo, s2
	ds_store_b128 v74, v[1:4]
	s_waitcnt lgkmcnt(0)
	s_barrier
	buffer_gl0_inv
	s_and_saveexec_b32 s4, s2
	s_cbranch_execz .LBB1212_2
; %bb.15:
	s_load_b64 s[4:5], s[0:1], 0x68
	v_add_nc_u32_e32 v20, s33, v66
	v_lshlrev_b32_e32 v0, 10, v0
	v_lshlrev_b32_e32 v1, 4, v67
	s_lshl_b32 s0, s36, 6
	s_delay_alu instid0(SALU_CYCLE_1)
	s_mul_i32 s1, s0, s34
	v_add_nc_u32_e32 v2, 2, v20
	s_mul_i32 s6, s1, s9
	v_and_or_b32 v0, 0x3800, v0, v1
	v_mul_lo_u32 v1, v20, s0
	s_ashr_i32 s7, s6, 31
	v_mul_lo_u32 v11, v2, s0
	s_lshl_b64 s[6:7], s[6:7], 1
	v_add_nc_u32_e32 v3, 4, v20
	v_lshl_or_b32 v21, v66, 6, v0
	v_add_nc_u32_e32 v16, 6, v20
	v_ashrrev_i32_e32 v2, 31, v1
	s_delay_alu instid0(VALU_DEP_4)
	v_mul_lo_u32 v13, v3, s0
	s_waitcnt lgkmcnt(0)
	s_add_u32 s1, s4, s6
	s_addc_u32 s2, s5, s7
	s_lshl_b32 s4, s14, 6
	ds_load_b128 v[3:6], v21
	ds_load_b128 v[7:10], v21 offset:128
	s_ashr_i32 s5, s4, 31
	v_ashrrev_i32_e32 v12, 31, v11
	s_lshl_b64 s[4:5], s[4:5], 1
	v_lshlrev_b64 v[14:15], 1, v[1:2]
	s_add_u32 s1, s1, s4
	s_addc_u32 s2, s2, s5
	v_add_co_u32 v1, s1, s1, v65
	s_delay_alu instid0(VALU_DEP_1) | instskip(SKIP_1) | instid1(VALU_DEP_3)
	v_add_co_ci_u32_e64 v2, null, s2, 0, s1
	v_lshlrev_b64 v[11:12], 1, v[11:12]
	v_add_co_u32 v18, vcc_lo, v1, v14
	v_mul_lo_u32 v16, v16, s0
	s_delay_alu instid0(VALU_DEP_4) | instskip(NEXT) | instid1(VALU_DEP_4)
	v_add_co_ci_u32_e32 v19, vcc_lo, v2, v15, vcc_lo
	v_add_co_u32 v11, vcc_lo, v1, v11
	v_ashrrev_i32_e32 v14, 31, v13
	v_add_co_ci_u32_e32 v12, vcc_lo, v2, v12, vcc_lo
	v_add_nc_u32_e32 v15, 8, v20
	v_ashrrev_i32_e32 v17, 31, v16
	s_waitcnt lgkmcnt(1)
	global_store_b128 v[18:19], v[3:6], off
	v_lshlrev_b64 v[3:4], 1, v[13:14]
	s_waitcnt lgkmcnt(0)
	global_store_b128 v[11:12], v[7:10], off
	v_mul_lo_u32 v11, v15, s0
	v_add_nc_u32_e32 v7, 10, v20
	v_lshlrev_b64 v[5:6], 1, v[16:17]
	v_add_co_u32 v23, vcc_lo, v1, v3
	v_add_nc_u32_e32 v3, 12, v20
	s_delay_alu instid0(VALU_DEP_4)
	v_mul_lo_u32 v25, v7, s0
	v_ashrrev_i32_e32 v12, 31, v11
	v_add_co_ci_u32_e32 v24, vcc_lo, v2, v4, vcc_lo
	v_add_co_u32 v27, vcc_lo, v1, v5
	v_mul_lo_u32 v29, v3, s0
	v_add_co_ci_u32_e32 v28, vcc_lo, v2, v6, vcc_lo
	ds_load_b128 v[3:6], v21 offset:256
	ds_load_b128 v[7:10], v21 offset:384
	v_lshlrev_b64 v[31:32], 1, v[11:12]
	ds_load_b128 v[11:14], v21 offset:512
	ds_load_b128 v[15:18], v21 offset:640
	ds_load_b128 v[19:22], v21 offset:768
	v_ashrrev_i32_e32 v26, 31, v25
	v_ashrrev_i32_e32 v30, 31, v29
	v_add_co_u32 v31, vcc_lo, v1, v31
	s_delay_alu instid0(VALU_DEP_3) | instskip(NEXT) | instid1(VALU_DEP_3)
	v_lshlrev_b64 v[25:26], 1, v[25:26]
	v_lshlrev_b64 v[29:30], 1, v[29:30]
	v_add_co_ci_u32_e32 v32, vcc_lo, v2, v32, vcc_lo
	s_delay_alu instid0(VALU_DEP_3) | instskip(NEXT) | instid1(VALU_DEP_4)
	v_add_co_u32 v25, vcc_lo, v1, v25
	v_add_co_ci_u32_e32 v26, vcc_lo, v2, v26, vcc_lo
	s_delay_alu instid0(VALU_DEP_4)
	v_add_co_u32 v29, vcc_lo, v1, v29
	v_add_co_ci_u32_e32 v30, vcc_lo, v2, v30, vcc_lo
	s_waitcnt lgkmcnt(4)
	global_store_b128 v[23:24], v[3:6], off
	s_waitcnt lgkmcnt(3)
	global_store_b128 v[27:28], v[7:10], off
	;; [unrolled: 2-line block ×5, first 2 shown]
	s_and_b32 exec_lo, exec_lo, s3
	s_cbranch_execz .LBB1212_2
; %bb.16:
	ds_load_b128 v[3:6], v0 offset:896
	s_add_i32 s1, s33, 14
	s_delay_alu instid0(SALU_CYCLE_1) | instskip(NEXT) | instid1(SALU_CYCLE_1)
	s_mul_i32 s0, s1, s0
	s_ashr_i32 s1, s0, 31
	s_delay_alu instid0(SALU_CYCLE_1) | instskip(NEXT) | instid1(SALU_CYCLE_1)
	s_lshl_b64 s[0:1], s[0:1], 1
	v_add_co_u32 v0, vcc_lo, v1, s0
	v_add_co_ci_u32_e32 v1, vcc_lo, s1, v2, vcc_lo
	s_waitcnt lgkmcnt(0)
	global_store_b128 v[0:1], v[3:6], off
	s_nop 0
	s_sendmsg sendmsg(MSG_DEALLOC_VGPRS)
	s_endpgm
	.section	.rodata,"a",@progbits
	.p2align	6, 0x0
	.amdhsa_kernel _Z39paged_attention_ll4mi_QKV_mfma16_kernelIDF16_hLN4vllm18Fp8KVCacheDataTypeE1EDF16_Li32ELi64ELi256ELb0ELi15EL8MFMAType0EEvPKT_PKT0_S8_ifPKiSA_SA_iPKfiiiPfSD_PS3_PT2_iSC_SC_
		.amdhsa_group_segment_fixed_size 17472
		.amdhsa_private_segment_fixed_size 0
		.amdhsa_kernarg_size 400
		.amdhsa_user_sgpr_count 13
		.amdhsa_user_sgpr_dispatch_ptr 0
		.amdhsa_user_sgpr_queue_ptr 0
		.amdhsa_user_sgpr_kernarg_segment_ptr 1
		.amdhsa_user_sgpr_dispatch_id 0
		.amdhsa_user_sgpr_private_segment_size 0
		.amdhsa_wavefront_size32 1
		.amdhsa_uses_dynamic_stack 0
		.amdhsa_enable_private_segment 0
		.amdhsa_system_sgpr_workgroup_id_x 1
		.amdhsa_system_sgpr_workgroup_id_y 1
		.amdhsa_system_sgpr_workgroup_id_z 1
		.amdhsa_system_sgpr_workgroup_info 0
		.amdhsa_system_vgpr_workitem_id 0
		.amdhsa_next_free_vgpr 146
		.amdhsa_next_free_sgpr 37
		.amdhsa_reserve_vcc 1
		.amdhsa_float_round_mode_32 0
		.amdhsa_float_round_mode_16_64 0
		.amdhsa_float_denorm_mode_32 3
		.amdhsa_float_denorm_mode_16_64 3
		.amdhsa_dx10_clamp 1
		.amdhsa_ieee_mode 1
		.amdhsa_fp16_overflow 0
		.amdhsa_workgroup_processor_mode 1
		.amdhsa_memory_ordered 1
		.amdhsa_forward_progress 0
		.amdhsa_shared_vgpr_count 0
		.amdhsa_exception_fp_ieee_invalid_op 0
		.amdhsa_exception_fp_denorm_src 0
		.amdhsa_exception_fp_ieee_div_zero 0
		.amdhsa_exception_fp_ieee_overflow 0
		.amdhsa_exception_fp_ieee_underflow 0
		.amdhsa_exception_fp_ieee_inexact 0
		.amdhsa_exception_int_div_zero 0
	.end_amdhsa_kernel
	.section	.text._Z39paged_attention_ll4mi_QKV_mfma16_kernelIDF16_hLN4vllm18Fp8KVCacheDataTypeE1EDF16_Li32ELi64ELi256ELb0ELi15EL8MFMAType0EEvPKT_PKT0_S8_ifPKiSA_SA_iPKfiiiPfSD_PS3_PT2_iSC_SC_,"axG",@progbits,_Z39paged_attention_ll4mi_QKV_mfma16_kernelIDF16_hLN4vllm18Fp8KVCacheDataTypeE1EDF16_Li32ELi64ELi256ELb0ELi15EL8MFMAType0EEvPKT_PKT0_S8_ifPKiSA_SA_iPKfiiiPfSD_PS3_PT2_iSC_SC_,comdat
.Lfunc_end1212:
	.size	_Z39paged_attention_ll4mi_QKV_mfma16_kernelIDF16_hLN4vllm18Fp8KVCacheDataTypeE1EDF16_Li32ELi64ELi256ELb0ELi15EL8MFMAType0EEvPKT_PKT0_S8_ifPKiSA_SA_iPKfiiiPfSD_PS3_PT2_iSC_SC_, .Lfunc_end1212-_Z39paged_attention_ll4mi_QKV_mfma16_kernelIDF16_hLN4vllm18Fp8KVCacheDataTypeE1EDF16_Li32ELi64ELi256ELb0ELi15EL8MFMAType0EEvPKT_PKT0_S8_ifPKiSA_SA_iPKfiiiPfSD_PS3_PT2_iSC_SC_
                                        ; -- End function
	.section	.AMDGPU.csdata,"",@progbits
; Kernel info:
; codeLenInByte = 6748
; NumSgprs: 39
; NumVgprs: 146
; ScratchSize: 0
; MemoryBound: 0
; FloatMode: 240
; IeeeMode: 1
; LDSByteSize: 17472 bytes/workgroup (compile time only)
; SGPRBlocks: 4
; VGPRBlocks: 18
; NumSGPRsForWavesPerEU: 39
; NumVGPRsForWavesPerEU: 146
; Occupancy: 9
; WaveLimiterHint : 1
; COMPUTE_PGM_RSRC2:SCRATCH_EN: 0
; COMPUTE_PGM_RSRC2:USER_SGPR: 13
; COMPUTE_PGM_RSRC2:TRAP_HANDLER: 0
; COMPUTE_PGM_RSRC2:TGID_X_EN: 1
; COMPUTE_PGM_RSRC2:TGID_Y_EN: 1
; COMPUTE_PGM_RSRC2:TGID_Z_EN: 1
; COMPUTE_PGM_RSRC2:TIDIG_COMP_CNT: 0
	.section	.text._Z39paged_attention_ll4mi_QKV_mfma16_kernelIDF16_hLN4vllm18Fp8KVCacheDataTypeE1EDF16_Li32ELi64ELi256ELb0ELi16EL8MFMAType0EEvPKT_PKT0_S8_ifPKiSA_SA_iPKfiiiPfSD_PS3_PT2_iSC_SC_,"axG",@progbits,_Z39paged_attention_ll4mi_QKV_mfma16_kernelIDF16_hLN4vllm18Fp8KVCacheDataTypeE1EDF16_Li32ELi64ELi256ELb0ELi16EL8MFMAType0EEvPKT_PKT0_S8_ifPKiSA_SA_iPKfiiiPfSD_PS3_PT2_iSC_SC_,comdat
	.protected	_Z39paged_attention_ll4mi_QKV_mfma16_kernelIDF16_hLN4vllm18Fp8KVCacheDataTypeE1EDF16_Li32ELi64ELi256ELb0ELi16EL8MFMAType0EEvPKT_PKT0_S8_ifPKiSA_SA_iPKfiiiPfSD_PS3_PT2_iSC_SC_ ; -- Begin function _Z39paged_attention_ll4mi_QKV_mfma16_kernelIDF16_hLN4vllm18Fp8KVCacheDataTypeE1EDF16_Li32ELi64ELi256ELb0ELi16EL8MFMAType0EEvPKT_PKT0_S8_ifPKiSA_SA_iPKfiiiPfSD_PS3_PT2_iSC_SC_
	.globl	_Z39paged_attention_ll4mi_QKV_mfma16_kernelIDF16_hLN4vllm18Fp8KVCacheDataTypeE1EDF16_Li32ELi64ELi256ELb0ELi16EL8MFMAType0EEvPKT_PKT0_S8_ifPKiSA_SA_iPKfiiiPfSD_PS3_PT2_iSC_SC_
	.p2align	8
	.type	_Z39paged_attention_ll4mi_QKV_mfma16_kernelIDF16_hLN4vllm18Fp8KVCacheDataTypeE1EDF16_Li32ELi64ELi256ELb0ELi16EL8MFMAType0EEvPKT_PKT0_S8_ifPKiSA_SA_iPKfiiiPfSD_PS3_PT2_iSC_SC_,@function
_Z39paged_attention_ll4mi_QKV_mfma16_kernelIDF16_hLN4vllm18Fp8KVCacheDataTypeE1EDF16_Li32ELi64ELi256ELb0ELi16EL8MFMAType0EEvPKT_PKT0_S8_ifPKiSA_SA_iPKfiiiPfSD_PS3_PT2_iSC_SC_: ; @_Z39paged_attention_ll4mi_QKV_mfma16_kernelIDF16_hLN4vllm18Fp8KVCacheDataTypeE1EDF16_Li32ELi64ELi256ELb0ELi16EL8MFMAType0EEvPKT_PKT0_S8_ifPKiSA_SA_iPKfiiiPfSD_PS3_PT2_iSC_SC_
; %bb.0:
	s_load_b64 s[2:3], s[0:1], 0x30
	s_mov_b32 s34, s13
	s_waitcnt lgkmcnt(0)
	s_cmp_lg_u64 s[2:3], 0
	s_cselect_b32 s8, -1, 0
	s_ashr_i32 s35, s13, 31
	s_cmp_eq_u64 s[2:3], 0
	s_cbranch_scc1 .LBB1213_3
; %bb.1:
	s_lshl_b64 s[4:5], s[34:35], 2
	s_delay_alu instid0(SALU_CYCLE_1) | instskip(SKIP_4) | instid1(SALU_CYCLE_1)
	s_add_u32 s4, s2, s4
	s_addc_u32 s5, s3, s5
	s_load_b64 s[4:5], s[4:5], 0x0
	s_waitcnt lgkmcnt(0)
	s_sub_i32 s4, s5, s4
	s_cmp_eq_u32 s4, 1
	s_cselect_b32 s4, -1, 0
	s_delay_alu instid0(SALU_CYCLE_1)
	s_and_not1_b32 vcc_lo, exec_lo, s4
	s_cbranch_vccz .LBB1213_4
.LBB1213_2:
	s_endpgm
.LBB1213_3:
.LBB1213_4:
	s_load_b64 s[4:5], s[0:1], 0x28
	s_lshl_b64 s[6:7], s[34:35], 2
	s_waitcnt lgkmcnt(0)
	s_add_u32 s4, s4, s6
	s_addc_u32 s5, s5, s7
	s_lshl_b32 s12, s14, 8
	s_load_b32 s24, s[4:5], 0x0
	s_waitcnt lgkmcnt(0)
	s_cmp_ge_i32 s12, s24
	s_cbranch_scc1 .LBB1213_2
; %bb.5:
	s_clause 0x1
	s_load_b128 s[20:23], s[0:1], 0x8
	s_load_b64 s[4:5], s[0:1], 0x20
	s_and_not1_b32 vcc_lo, exec_lo, s8
	s_cbranch_vccnz .LBB1213_7
; %bb.6:
	s_add_u32 s2, s2, s6
	s_addc_u32 s3, s3, s7
	s_load_b32 s3, s[2:3], 0x0
	s_branch .LBB1213_8
.LBB1213_7:
	s_mov_b32 s3, s34
.LBB1213_8:
	s_load_b128 s[16:19], s[0:1], 0x48
	v_and_b32_e32 v70, 15, v0
	v_cmp_gt_u32_e32 vcc_lo, 0x100, v0
	v_lshrrev_b32_e32 v69, 5, v0
	v_and_b32_e32 v71, 31, v0
	v_and_b32_e32 v67, 1, v0
	v_lshlrev_b32_e32 v1, 3, v70
	v_cmp_gt_u32_e64 s2, 8, v70
	v_bfe_u32 v66, v0, 4, 1
	s_lshl_b32 s31, s15, 4
	s_delay_alu instid0(VALU_DEP_3) | instskip(NEXT) | instid1(VALU_DEP_3)
	v_lshlrev_b32_e32 v65, 1, v1
	s_and_b32 s7, vcc_lo, s2
	s_delay_alu instid0(SALU_CYCLE_1)
	s_and_saveexec_b32 s6, s7
	s_cbranch_execz .LBB1213_10
; %bb.9:
	v_lshl_or_b32 v5, v69, 1, v66
	s_load_b64 s[8:9], s[0:1], 0x0
	s_waitcnt lgkmcnt(0)
	s_mul_hi_i32 s11, s3, s16
	s_mul_i32 s10, s3, s16
	v_lshlrev_b32_e32 v6, 10, v70
	v_or_b32_e32 v1, s31, v5
	s_lshl_b64 s[10:11], s[10:11], 1
	v_lshlrev_b32_e32 v5, 6, v5
	v_lshlrev_b32_e32 v7, 10, v67
	v_and_b32_e32 v6, 0x3800, v6
	v_lshlrev_b32_e32 v1, 6, v1
	s_delay_alu instid0(VALU_DEP_2) | instskip(NEXT) | instid1(VALU_DEP_2)
	v_or3_b32 v5, v6, v7, v5
	v_ashrrev_i32_e32 v2, 31, v1
	s_delay_alu instid0(VALU_DEP_1) | instskip(SKIP_2) | instid1(VALU_DEP_1)
	v_lshlrev_b64 v[1:2], 1, v[1:2]
	s_add_u32 s3, s8, s10
	s_addc_u32 s7, s9, s11
	v_add_co_u32 v1, vcc_lo, s3, v1
	s_delay_alu instid0(VALU_DEP_2) | instskip(NEXT) | instid1(VALU_DEP_2)
	v_add_co_ci_u32_e32 v2, vcc_lo, s7, v2, vcc_lo
	v_add_co_u32 v1, vcc_lo, v1, v65
	s_delay_alu instid0(VALU_DEP_2)
	v_add_co_ci_u32_e32 v2, vcc_lo, 0, v2, vcc_lo
	global_load_b128 v[1:4], v[1:2], off
	s_waitcnt vmcnt(0)
	ds_store_b128 v5, v[1:4]
.LBB1213_10:
	s_or_b32 exec_lo, exec_lo, s6
	v_and_b32_e32 v1, 0xef, v0
	s_waitcnt lgkmcnt(0)
	s_add_i32 s3, s24, 31
	s_clause 0x1
	s_load_b32 s6, s[0:1], 0x38
	s_load_b32 s33, s[0:1], 0x98
	s_ashr_i32 s7, s3, 31
	v_add_nc_u32_e32 v1, s12, v1
	s_lshr_b32 s7, s7, 27
	s_load_b32 s19, s[0:1], 0x1c
	s_add_i32 s3, s3, s7
	s_waitcnt lgkmcnt(0)
	v_ashrrev_i32_e32 v2, 31, v1
	v_or_b32_e32 v3, 16, v1
	s_ashr_i32 s3, s3, 5
	v_cmp_gt_i32_e32 vcc_lo, s24, v1
	s_add_i32 s3, s3, -1
	v_lshrrev_b32_e32 v2, 27, v2
	s_barrier
	buffer_gl0_inv
	s_mul_i32 s27, s15, s18
	v_add_nc_u32_e32 v4, v1, v2
	s_mul_i32 s6, s34, s6
	s_delay_alu instid0(SALU_CYCLE_1) | instskip(NEXT) | instid1(VALU_DEP_1)
	s_ashr_i32 s7, s6, 31
	v_ashrrev_i32_e32 v4, 5, v4
	v_add_nc_u32_e32 v2, v3, v2
	s_lshl_b64 s[6:7], s[6:7], 2
	s_delay_alu instid0(SALU_CYCLE_1) | instskip(NEXT) | instid1(VALU_DEP_2)
	s_add_u32 s26, s4, s6
	v_cndmask_b32_e32 v1, s3, v4, vcc_lo
	s_delay_alu instid0(VALU_DEP_2)
	v_ashrrev_i32_e32 v2, 5, v2
	v_cmp_gt_i32_e32 vcc_lo, s24, v3
	s_addc_u32 s25, s5, s7
	s_ashr_i32 s28, s27, 31
	s_add_u32 s4, s20, s27
	s_addc_u32 s5, s21, s28
	v_cndmask_b32_e32 v3, s3, v2, vcc_lo
	v_ashrrev_i32_e32 v2, 31, v1
	s_lshl_b32 s6, s14, 3
	s_delay_alu instid0(SALU_CYCLE_1) | instskip(NEXT) | instid1(VALU_DEP_2)
	s_ashr_i32 s7, s6, 31
	v_ashrrev_i32_e32 v4, 31, v3
	s_delay_alu instid0(VALU_DEP_2) | instskip(SKIP_1) | instid1(SALU_CYCLE_1)
	v_lshlrev_b64 v[1:2], 2, v[1:2]
	s_lshl_b64 s[6:7], s[6:7], 2
	s_add_u32 s6, s26, s6
	s_delay_alu instid0(VALU_DEP_2) | instskip(SKIP_1) | instid1(VALU_DEP_2)
	v_lshlrev_b64 v[3:4], 2, v[3:4]
	s_addc_u32 s7, s25, s7
	v_add_co_u32 v1, vcc_lo, s26, v1
	v_add_co_ci_u32_e32 v2, vcc_lo, s25, v2, vcc_lo
	s_delay_alu instid0(VALU_DEP_3) | instskip(NEXT) | instid1(VALU_DEP_4)
	v_add_co_u32 v3, vcc_lo, s26, v3
	v_add_co_ci_u32_e32 v4, vcc_lo, s25, v4, vcc_lo
	s_clause 0x1
	global_load_b32 v5, v[1:2], off
	global_load_b32 v6, v[3:4], off
	s_or_b32 s8, s12, 32
	s_delay_alu instid0(SALU_CYCLE_1) | instskip(SKIP_2) | instid1(SALU_CYCLE_1)
	s_ashr_i32 s9, s8, 5
	s_cmp_lt_i32 s8, s24
	s_cselect_b32 s8, s9, s3
	s_ashr_i32 s9, s8, 31
	s_delay_alu instid0(SALU_CYCLE_1) | instskip(NEXT) | instid1(SALU_CYCLE_1)
	s_lshl_b64 s[8:9], s[8:9], 2
	s_add_u32 s8, s26, s8
	s_addc_u32 s9, s25, s9
	s_or_b32 s10, s12, 64
	s_delay_alu instid0(SALU_CYCLE_1) | instskip(SKIP_2) | instid1(SALU_CYCLE_1)
	s_ashr_i32 s11, s10, 5
	s_cmp_lt_i32 s10, s24
	s_cselect_b32 s10, s11, s3
	s_ashr_i32 s11, s10, 31
	s_delay_alu instid0(SALU_CYCLE_1) | instskip(NEXT) | instid1(SALU_CYCLE_1)
	s_lshl_b64 s[10:11], s[10:11], 2
	s_add_u32 s10, s26, s10
	s_addc_u32 s11, s25, s11
	;; [unrolled: 10-line block ×5, first 2 shown]
	s_clause 0x5
	s_load_b32 s21, s[6:7], 0x0
	s_load_b32 s13, s[8:9], 0x0
	;; [unrolled: 1-line block ×6, first 2 shown]
	s_or_b32 s6, s12, 0xc0
	s_delay_alu instid0(SALU_CYCLE_1) | instskip(SKIP_2) | instid1(SALU_CYCLE_1)
	s_ashr_i32 s7, s6, 5
	s_cmp_lt_i32 s6, s24
	s_cselect_b32 s10, s7, s3
	s_ashr_i32 s11, s10, 31
	s_delay_alu instid0(SALU_CYCLE_1) | instskip(NEXT) | instid1(SALU_CYCLE_1)
	s_lshl_b64 s[10:11], s[10:11], 2
	s_add_u32 s36, s26, s10
	s_addc_u32 s37, s25, s11
	s_or_b32 s11, s12, 0xe0
	s_delay_alu instid0(SALU_CYCLE_1) | instskip(SKIP_2) | instid1(SALU_CYCLE_1)
	s_ashr_i32 s29, s11, 5
	s_cmp_lt_i32 s11, s24
	s_cselect_b32 s38, s29, s3
	s_ashr_i32 s39, s38, 31
	s_waitcnt vmcnt(1)
	v_mad_i64_i32 v[1:2], null, v5, s17, s[4:5]
	s_waitcnt vmcnt(0)
	v_mad_i64_i32 v[3:4], null, v6, s17, s[4:5]
	s_mov_b32 s4, 0
	s_delay_alu instid0(SALU_CYCLE_1)
	s_mov_b32 s5, s4
	s_mov_b32 s6, s4
	;; [unrolled: 1-line block ×7, first 2 shown]
	v_lshlrev_b32_e32 v5, 4, v70
	v_dual_mov_b32 v103, s11 :: v_dual_mov_b32 v98, s6
	v_dual_mov_b32 v101, s9 :: v_dual_lshlrev_b32 v68, 6, v70
	s_delay_alu instid0(VALU_DEP_3)
	v_add_co_u32 v1, vcc_lo, v1, v5
	v_add_co_ci_u32_e32 v2, vcc_lo, 0, v2, vcc_lo
	v_add_co_u32 v3, vcc_lo, v3, v5
	v_add_co_ci_u32_e32 v4, vcc_lo, 0, v4, vcc_lo
	s_clause 0x7
	global_load_b128 v[57:60], v[1:2], off
	global_load_b128 v[61:64], v[1:2], off offset:512
	global_load_b128 v[72:75], v[3:4], off offset:256
	;; [unrolled: 1-line block ×7, first 2 shown]
	v_dual_mov_b32 v96, s4 :: v_dual_lshlrev_b32 v1, 5, v70
	v_mov_b32_e32 v102, s10
	v_dual_mov_b32 v100, s8 :: v_dual_mov_b32 v99, s7
	v_mov_b32_e32 v97, s5
	s_lshl_b64 s[4:5], s[38:39], 2
	v_lshl_or_b32 v1, v69, 9, v1
	s_add_u32 s4, s26, s4
	s_addc_u32 s5, s25, s5
	s_load_b32 s3, s[36:37], 0x0
	ds_load_b128 v[104:107], v68
	ds_load_b128 v[108:111], v68 offset:1024
	s_load_b32 s4, s[4:5], 0x0
	s_add_u32 s6, s22, s27
	s_addc_u32 s7, s23, s28
	v_add_co_u32 v17, s6, s6, v1
	s_delay_alu instid0(VALU_DEP_1) | instskip(SKIP_1) | instid1(VALU_DEP_1)
	v_add_co_ci_u32_e64 v18, null, s7, 0, s6
	s_waitcnt lgkmcnt(0)
	v_mad_i64_i32 v[1:2], null, s21, s17, v[17:18]
	v_mad_i64_i32 v[3:4], null, s13, s17, v[17:18]
	;; [unrolled: 1-line block ×7, first 2 shown]
	s_clause 0x9
	global_load_b128 v[49:52], v[1:2], off
	global_load_b128 v[53:56], v[1:2], off offset:16
	global_load_b128 v[41:44], v[3:4], off
	global_load_b128 v[45:48], v[3:4], off offset:16
	;; [unrolled: 2-line block ×5, first 2 shown]
	v_mad_i64_i32 v[120:121], null, s4, s17, v[17:18]
	s_clause 0x3
	global_load_b128 v[17:20], v[21:22], off
	global_load_b128 v[21:24], v[21:22], off offset:16
	global_load_b128 v[25:28], v[29:30], off
	global_load_b128 v[29:32], v[29:30], off offset:16
	s_waitcnt vmcnt(20)
	v_wmma_f32_16x16x16_f16 v[112:119], v[57:64], v[104:111], v[96:103]
	s_clause 0x1
	global_load_b128 v[57:60], v[120:121], off
	global_load_b128 v[61:64], v[120:121], off offset:16
	s_waitcnt vmcnt(20)
	v_wmma_f32_16x16x16_f16 v[96:103], v[72:79], v[104:111], v[96:103]
	ds_load_b128 v[72:75], v68 offset:2048
	ds_load_b128 v[76:79], v68 offset:3072
	v_and_b32_e32 v104, 0xe0, v0
	v_mbcnt_lo_u32_b32 v105, -1, 0
	s_waitcnt vmcnt(0) lgkmcnt(0)
	s_barrier
	buffer_gl0_inv
	v_add_nc_u32_e32 v104, s12, v104
	v_xor_b32_e32 v106, 16, v105
	s_delay_alu instid0(VALU_DEP_2) | instskip(NEXT) | instid1(VALU_DEP_2)
	v_or_b32_e32 v104, v104, v66
	v_cmp_gt_i32_e32 vcc_lo, 32, v106
	s_delay_alu instid0(VALU_DEP_2)
	v_or_b32_e32 v107, 4, v104
	v_or_b32_e32 v108, 6, v104
	v_cmp_gt_i32_e64 s3, s24, v104
	v_or_b32_e32 v109, 8, v104
	v_wmma_f32_16x16x16_f16 v[112:119], v[80:87], v[72:79], v[112:119]
	v_cndmask_b32_e32 v105, v105, v106, vcc_lo
	v_or_b32_e32 v106, 2, v104
	v_wmma_f32_16x16x16_f16 v[96:103], v[88:95], v[72:79], v[96:103]
	v_or_b32_e32 v80, 10, v104
	v_dual_mul_f32 v78, s19, v116 :: v_dual_mul_f32 v79, s19, v115
	v_dual_mul_f32 v90, s19, v112 :: v_dual_mul_f32 v89, s19, v113
	s_delay_alu instid0(VALU_DEP_4) | instskip(SKIP_2) | instid1(VALU_DEP_4)
	v_mul_f32_e32 v92, s19, v102
	v_cmp_gt_i32_e32 vcc_lo, s24, v106
	v_dual_mul_f32 v77, s19, v117 :: v_dual_mul_f32 v88, s19, v114
	v_cndmask_b32_e64 v90, 0xff7fffff, v90, s3
	v_cmp_gt_i32_e64 s4, s24, v107
	v_cndmask_b32_e32 v89, 0xff7fffff, v89, vcc_lo
	v_cmp_gt_i32_e64 s5, s24, v108
	v_or_b32_e32 v81, 12, v104
	v_or_b32_e32 v82, 14, v104
	v_cndmask_b32_e64 v88, 0xff7fffff, v88, s4
	v_max3_f32 v89, v90, 0xff7fffff, v89
	v_cndmask_b32_e64 v79, 0xff7fffff, v79, s5
	v_cmp_gt_i32_e64 s6, s24, v109
	v_cmp_gt_i32_e64 s7, s24, v80
	v_or_b32_e32 v83, 16, v104
	v_or_b32_e32 v84, 18, v104
	v_dual_mul_f32 v75, s19, v119 :: v_dual_mul_f32 v76, s19, v118
	v_cndmask_b32_e64 v78, 0xff7fffff, v78, s6
	v_cndmask_b32_e64 v77, 0xff7fffff, v77, s7
	v_max3_f32 v79, v89, v88, v79
	v_cmp_gt_i32_e64 s8, s24, v81
	v_cmp_gt_i32_e64 s9, s24, v82
	v_or_b32_e32 v85, 20, v104
	v_or_b32_e32 v86, 22, v104
	;; [unrolled: 1-line block ×6, first 2 shown]
	v_dual_mul_f32 v95, s19, v99 :: v_dual_mul_f32 v104, s19, v97
	v_mul_f32_e32 v107, s19, v96
	v_cndmask_b32_e64 v76, 0xff7fffff, v76, s8
	v_cndmask_b32_e64 v75, 0xff7fffff, v75, s9
	v_max3_f32 v77, v79, v78, v77
	v_cmp_gt_i32_e64 s10, s24, v83
	v_cmp_gt_i32_e64 s11, s24, v84
	v_dual_mul_f32 v93, s19, v101 :: v_dual_mul_f32 v106, s19, v98
	s_delay_alu instid0(VALU_DEP_4) | instskip(NEXT) | instid1(VALU_DEP_4)
	v_max3_f32 v75, v77, v76, v75
	v_cndmask_b32_e64 v78, 0xff7fffff, v107, s10
	s_delay_alu instid0(VALU_DEP_4) | instskip(SKIP_3) | instid1(VALU_DEP_4)
	v_cndmask_b32_e64 v79, 0xff7fffff, v104, s11
	v_cmp_gt_i32_e64 s12, s24, v85
	v_cmp_gt_i32_e64 s13, s24, v86
	v_dual_mul_f32 v91, s19, v103 :: v_dual_mul_f32 v94, s19, v100
	v_max3_f32 v75, v75, v78, v79
	s_delay_alu instid0(VALU_DEP_4) | instskip(NEXT) | instid1(VALU_DEP_4)
	v_cndmask_b32_e64 v76, 0xff7fffff, v106, s12
	v_cndmask_b32_e64 v77, 0xff7fffff, v95, s13
	v_cmp_gt_i32_e64 s15, s24, v87
	v_cmp_gt_i32_e64 s16, s24, v72
	;; [unrolled: 1-line block ×4, first 2 shown]
	v_max3_f32 v75, v75, v76, v77
	v_cndmask_b32_e64 v78, 0xff7fffff, v94, s15
	v_cndmask_b32_e64 v72, 0xff7fffff, v93, s16
	;; [unrolled: 1-line block ×4, first 2 shown]
	s_delay_alu instid0(VALU_DEP_3) | instskip(SKIP_1) | instid1(VALU_DEP_2)
	v_max3_f32 v72, v75, v78, v72
	v_lshlrev_b32_e32 v75, 2, v105
	v_max3_f32 v72, v72, v73, v74
	ds_bpermute_b32 v73, v75, v72
	s_waitcnt lgkmcnt(0)
	v_max_f32_e32 v73, v73, v73
	s_delay_alu instid0(VALU_DEP_1) | instskip(NEXT) | instid1(VALU_DEP_1)
	v_max_f32_e32 v72, v72, v73
	v_fma_f32 v76, s19, v114, -v72
	v_fma_f32 v73, s19, v112, -v72
	;; [unrolled: 1-line block ×5, first 2 shown]
	v_mul_f32_e32 v76, 0x3fb8aa3b, v76
	v_fma_f32 v82, s19, v118, -v72
	v_mul_f32_e32 v74, 0x3fb8aa3b, v74
	v_fma_f32 v86, s19, v99, -v72
	v_fma_f32 v91, s19, v103, -v72
	v_exp_f32_e32 v76, v76
	v_mul_f32_e32 v82, 0x3fb8aa3b, v82
	v_exp_f32_e32 v74, v74
	v_mul_f32_e32 v88, 0x3fb8aa3b, v86
	v_fma_f32 v89, s19, v101, -v72
	s_delay_alu instid0(VALU_DEP_3) | instskip(NEXT) | instid1(VALU_DEP_2)
	v_exp_f32_e32 v84, v82
	v_exp_f32_e32 v90, v88
	s_delay_alu instid0(VALU_DEP_1)
	v_mul_f32_e32 v89, 0x3fb8aa3b, v89
	v_cndmask_b32_e64 v80, 0, v76, s4
	v_mul_f32_e32 v73, 0x3fb8aa3b, v73
	v_fma_f32 v76, s19, v119, -v72
	v_mul_f32_e32 v77, 0x3fb8aa3b, v77
	v_exp_f32_e32 v89, v89
	s_delay_alu instid0(VALU_DEP_3) | instskip(NEXT) | instid1(VALU_DEP_2)
	v_exp_f32_e32 v73, v73
	v_mul_f32_e32 v76, 0x3fb8aa3b, v76
	s_delay_alu instid0(VALU_DEP_2) | instskip(SKIP_2) | instid1(VALU_DEP_3)
	v_exp_f32_e32 v81, v77
	v_cndmask_b32_e32 v77, 0, v74, vcc_lo
	v_cndmask_b32_e64 v84, 0, v84, s8
	v_exp_f32_e32 v76, v76
	v_cndmask_b32_e64 v89, 0, v89, s16
	s_delay_alu instid0(TRANS32_DEP_3) | instskip(SKIP_2) | instid1(VALU_DEP_2)
	v_cndmask_b32_e64 v78, 0, v73, s3
	v_fma_f32 v73, s19, v117, -v72
	s_mov_b32 s3, exec_lo
	v_dual_add_f32 v74, 0, v78 :: v_dual_mul_f32 v79, 0x3fb8aa3b, v79
	s_delay_alu instid0(VALU_DEP_2) | instskip(NEXT) | instid1(VALU_DEP_2)
	v_mul_f32_e32 v73, 0x3fb8aa3b, v73
	v_add_f32_e32 v74, v74, v77
	s_delay_alu instid0(VALU_DEP_3) | instskip(NEXT) | instid1(VALU_DEP_2)
	v_exp_f32_e32 v83, v79
	v_exp_f32_e32 v73, v73
	v_cndmask_b32_e64 v79, 0, v81, s5
	v_fma_f32 v81, s19, v96, -v72
	s_delay_alu instid0(VALU_DEP_1) | instskip(NEXT) | instid1(VALU_DEP_1)
	v_dual_add_f32 v74, v74, v80 :: v_dual_mul_f32 v85, 0x3fb8aa3b, v81
	v_add_f32_e32 v74, v74, v79
	s_waitcnt_depctr 0xfff
	v_cndmask_b32_e64 v82, 0, v83, s6
	v_fma_f32 v83, s19, v97, -v72
	v_cndmask_b32_e64 v81, 0, v73, s7
	v_exp_f32_e32 v85, v85
	s_delay_alu instid0(VALU_DEP_2) | instskip(NEXT) | instid1(VALU_DEP_1)
	v_mul_f32_e32 v83, 0x3fb8aa3b, v83
	v_exp_f32_e32 v87, v83
	v_cndmask_b32_e64 v83, 0, v76, s9
	v_fma_f32 v76, s19, v100, -v72
	v_add_f32_e32 v73, v74, v82
	v_fma_f32 v74, s19, v98, -v72
	s_delay_alu instid0(TRANS32_DEP_2) | instskip(NEXT) | instid1(VALU_DEP_4)
	v_cndmask_b32_e64 v86, 0, v85, s10
	v_mul_f32_e32 v76, 0x3fb8aa3b, v76
	s_delay_alu instid0(VALU_DEP_3) | instskip(NEXT) | instid1(TRANS32_DEP_1)
	v_mul_f32_e32 v74, 0x3fb8aa3b, v74
	v_cndmask_b32_e64 v85, 0, v87, s11
	v_fma_f32 v87, s19, v102, -v72
	v_add_f32_e32 v73, v73, v81
	v_exp_f32_e32 v76, v76
	v_exp_f32_e32 v74, v74
	s_waitcnt_depctr 0xfff
	v_cndmask_b32_e64 v88, 0, v74, s12
	v_dual_mul_f32 v74, 0x3fb8aa3b, v87 :: v_dual_add_f32 v73, v73, v84
	v_cndmask_b32_e64 v87, 0, v90, s13
	v_cndmask_b32_e64 v90, 0, v76, s15
	v_mul_f32_e32 v76, 0x3fb8aa3b, v91
	s_delay_alu instid0(VALU_DEP_4) | instskip(SKIP_1) | instid1(VALU_DEP_2)
	v_exp_f32_e32 v74, v74
	v_add_f32_e32 v73, v73, v83
	v_exp_f32_e32 v76, v76
	s_delay_alu instid0(VALU_DEP_1) | instskip(SKIP_4) | instid1(VALU_DEP_2)
	v_add_f32_e32 v73, v73, v86
	s_waitcnt_depctr 0xfff
	v_cndmask_b32_e64 v92, 0, v74, s17
	v_add_f32_e32 v73, v73, v85
	v_cndmask_b32_e64 v91, 0, v76, s18
	v_add_f32_e32 v73, v73, v88
	s_delay_alu instid0(VALU_DEP_1) | instskip(NEXT) | instid1(VALU_DEP_1)
	v_add_f32_e32 v73, v73, v87
	v_add_f32_e32 v73, v73, v90
	s_delay_alu instid0(VALU_DEP_1) | instskip(NEXT) | instid1(VALU_DEP_1)
	v_add_f32_e32 v73, v73, v89
	v_add_f32_e32 v73, v73, v92
	s_delay_alu instid0(VALU_DEP_1)
	v_add_f32_e32 v73, v73, v91
	ds_bpermute_b32 v74, v75, v73
	v_cmpx_gt_u32_e32 16, v71
	s_cbranch_execz .LBB1213_12
; %bb.11:
	v_mul_u32_u24_e32 v71, 0x44, v69
	s_waitcnt lgkmcnt(0)
	v_add_f32_e32 v73, v73, v74
	s_delay_alu instid0(VALU_DEP_2) | instskip(NEXT) | instid1(VALU_DEP_1)
	v_lshl_add_u32 v71, v70, 2, v71
	v_add_nc_u32_e32 v71, 0x4000, v71
	ds_store_2addr_b32 v71, v72, v73 offset1:136
.LBB1213_12:
	s_or_b32 exec_lo, exec_lo, s3
	v_lshlrev_b32_e32 v70, 2, v70
	s_load_b32 s35, s[0:1], 0x94
	s_waitcnt lgkmcnt(0)
	s_barrier
	buffer_gl0_inv
	v_add_nc_u32_e32 v74, 0x4000, v70
	v_cmp_eq_u32_e32 vcc_lo, 1, v69
	v_cmp_eq_u32_e64 s3, 2, v69
	v_cmp_eq_u32_e64 s4, 3, v69
	;; [unrolled: 1-line block ×3, first 2 shown]
	ds_load_2addr_b32 v[70:71], v74 offset1:17
	ds_load_2addr_b32 v[72:73], v74 offset0:34 offset1:51
	ds_load_2addr_b32 v[93:94], v74 offset0:68 offset1:85
	;; [unrolled: 1-line block ×3, first 2 shown]
	v_cmp_eq_u32_e64 s6, 7, v69
	s_waitcnt lgkmcnt(3)
	v_max3_f32 v75, v70, 0xff7fffff, v71
	s_waitcnt lgkmcnt(2)
	s_delay_alu instid0(VALU_DEP_1) | instskip(SKIP_1) | instid1(VALU_DEP_1)
	v_max3_f32 v75, v75, v72, v73
	s_waitcnt lgkmcnt(1)
	v_max3_f32 v75, v75, v93, v94
	s_waitcnt lgkmcnt(0)
	s_delay_alu instid0(VALU_DEP_1) | instskip(NEXT) | instid1(VALU_DEP_1)
	v_max3_f32 v75, v75, v95, v96
	v_sub_f32_e32 v93, v93, v75
	ds_load_2addr_b32 v[97:98], v74 offset0:136 offset1:153
	v_sub_f32_e32 v70, v70, v75
	v_dual_sub_f32 v100, v73, v75 :: v_dual_mul_f32 v103, 0x3fb8aa3b, v93
	s_delay_alu instid0(VALU_DEP_2) | instskip(SKIP_3) | instid1(VALU_DEP_1)
	v_dual_sub_f32 v76, v71, v75 :: v_dual_mul_f32 v99, 0x3fb8aa3b, v70
	ds_load_2addr_b32 v[70:71], v74 offset0:170 offset1:187
	v_mul_f32_e32 v76, 0x3fb8aa3b, v76
	v_exp_f32_e32 v99, v99
	v_exp_f32_e32 v102, v76
	v_mul_f32_e32 v100, 0x3fb8aa3b, v100
	s_waitcnt lgkmcnt(1)
	s_waitcnt_depctr 0xfff
	v_fma_f32 v76, v99, v97, 0
	v_sub_f32_e32 v97, v94, v75
	v_sub_f32_e32 v72, v72, v75
	v_exp_f32_e32 v100, v100
	ds_load_2addr_b32 v[93:94], v74 offset0:238 offset1:255
	v_dual_fmac_f32 v76, v102, v98 :: v_dual_mul_f32 v101, 0x3fb8aa3b, v72
	ds_load_2addr_b32 v[72:73], v74 offset0:204 offset1:221
	v_dual_sub_f32 v74, v95, v75 :: v_dual_mul_f32 v95, 0x3fb8aa3b, v97
	v_exp_f32_e32 v97, v103
	v_exp_f32_e32 v101, v101
	s_waitcnt lgkmcnt(0)
	s_delay_alu instid0(VALU_DEP_1)
	v_mul_f32_e32 v74, 0x3fb8aa3b, v74
	v_exp_f32_e32 v95, v95
	s_barrier
	buffer_gl0_inv
	v_fmac_f32_e32 v76, v101, v70
	v_sub_f32_e32 v70, v96, v75
	v_exp_f32_e32 v96, v74
	s_delay_alu instid0(VALU_DEP_2) | instskip(NEXT) | instid1(VALU_DEP_2)
	v_fmac_f32_e32 v76, v100, v71
	v_mul_f32_e32 v70, 0x3fb8aa3b, v70
	s_delay_alu instid0(VALU_DEP_2) | instskip(NEXT) | instid1(VALU_DEP_2)
	v_dual_cndmask_b32 v71, v99, v102 :: v_dual_fmac_f32 v76, v97, v72
	v_exp_f32_e32 v98, v70
	s_delay_alu instid0(VALU_DEP_1) | instskip(SKIP_2) | instid1(VALU_DEP_1)
	v_fmac_f32_e32 v76, v95, v73
	s_waitcnt_depctr 0xfff
	v_fmac_f32_e32 v76, v96, v93
	v_fmac_f32_e32 v76, v98, v94
	s_delay_alu instid0(VALU_DEP_1) | instskip(NEXT) | instid1(VALU_DEP_1)
	v_add_f32_e32 v93, 0x358637bd, v76
	v_div_scale_f32 v94, null, v93, v93, 1.0
	v_div_scale_f32 v99, vcc_lo, 1.0, v93, 1.0
	s_delay_alu instid0(VALU_DEP_2) | instskip(SKIP_2) | instid1(VALU_DEP_1)
	v_rcp_f32_e32 v103, v94
	s_waitcnt_depctr 0xfff
	v_fma_f32 v70, -v94, v103, 1.0
	v_fmac_f32_e32 v103, v70, v103
	v_cndmask_b32_e64 v70, v71, v101, s3
	v_cmp_eq_u32_e64 s3, 4, v69
	v_lshlrev_b32_e32 v71, 2, v66
	s_delay_alu instid0(VALU_DEP_4) | instskip(NEXT) | instid1(VALU_DEP_4)
	v_mul_f32_e32 v101, v99, v103
	v_cndmask_b32_e64 v72, v70, v100, s4
	v_cmp_eq_u32_e64 s4, 6, v69
	v_lshl_or_b32 v70, v69, 11, v68
	v_or_b32_e32 v74, 1, v71
	v_fma_f32 v73, -v94, v101, v99
	v_cndmask_b32_e64 v72, v72, v97, s3
	v_cmp_eq_u32_e64 s3, 1, v71
	v_lshl_or_b32 v69, v66, 4, v70
	v_cmp_eq_u32_e64 s9, 1, v74
	v_fmac_f32_e32 v101, v73, v103
	v_cndmask_b32_e64 v95, v72, v95, s5
	v_or_b32_e32 v72, 2, v71
	v_or_b32_e32 v73, 3, v71
	v_cmp_eq_u32_e64 s12, 2, v74
	v_fma_f32 v94, -v94, v101, v99
	v_cndmask_b32_e64 v95, v95, v96, s4
	v_cmp_eq_u32_e64 s10, 1, v72
	v_cmp_eq_u32_e64 s11, 1, v73
	;; [unrolled: 1-line block ×3, first 2 shown]
	v_div_fmas_f32 v94, v94, v103, v101
	v_cndmask_b32_e64 v95, v95, v98, s6
	v_cmp_eq_u32_e32 vcc_lo, 2, v71
	v_cmp_eq_u32_e64 s16, 2, v73
	v_cmp_eq_u32_e64 s18, 3, v73
	v_div_fixup_f32 v93, v94, v93, 1.0
	v_cmp_eq_u32_e64 s4, 3, v71
	v_cmp_eq_u32_e64 s13, 3, v74
	;; [unrolled: 1-line block ×4, first 2 shown]
	v_mul_f32_e32 v101, v95, v93
	v_cmp_eq_u32_e64 s5, 4, v71
	v_cmp_eq_u32_e64 s19, 4, v74
	;; [unrolled: 1-line block ×4, first 2 shown]
	v_fma_mixlo_f16 v93, v101, v78, 0
	v_fma_mixlo_f16 v94, v101, v80, 0
	;; [unrolled: 1-line block ×8, first 2 shown]
	v_fma_mixhi_f16 v93, v101, v77, 0
	v_fma_mixhi_f16 v94, v101, v79, 0
	;; [unrolled: 1-line block ×8, first 2 shown]
	ds_store_b128 v69, v[93:96]
	ds_store_b128 v69, v[97:100] offset:1024
	s_waitcnt lgkmcnt(0)
	s_barrier
	buffer_gl0_inv
	ds_load_b128 v[77:80], v70
	ds_load_b128 v[81:84], v70 offset:16
	ds_load_b128 v[85:88], v70 offset:1024
	;; [unrolled: 1-line block ×3, first 2 shown]
	v_cmp_eq_u32_e64 s6, 5, v71
	v_cmp_eq_u32_e64 s20, 5, v74
	;; [unrolled: 1-line block ×11, first 2 shown]
	s_waitcnt lgkmcnt(3)
	v_lshrrev_b32_e32 v93, 16, v77
	s_waitcnt lgkmcnt(2)
	v_lshrrev_b32_e32 v97, 16, v81
	;; [unrolled: 2-line block ×4, first 2 shown]
	v_lshrrev_b32_e32 v94, 16, v78
	v_cndmask_b32_e64 v109, v77, v93, s3
	v_cndmask_b32_e64 v110, v81, v97, s3
	;; [unrolled: 1-line block ×8, first 2 shown]
	v_lshrrev_b32_e32 v98, 16, v82
	v_cndmask_b32_e64 v93, v85, v101, s3
	v_cndmask_b32_e64 v97, v89, v105, s3
	;; [unrolled: 1-line block ×5, first 2 shown]
	v_cndmask_b32_e32 v101, v109, v78, vcc_lo
	v_cndmask_b32_e64 v109, v111, v78, s12
	v_cndmask_b32_e64 v111, v113, v78, s15
	;; [unrolled: 1-line block ×4, first 2 shown]
	v_lshrrev_b32_e32 v102, 16, v86
	v_lshrrev_b32_e32 v106, 16, v90
	v_cndmask_b32_e64 v116, v89, v105, s9
	v_cndmask_b32_e64 v118, v89, v105, s10
	;; [unrolled: 1-line block ×3, first 2 shown]
	v_cndmask_b32_e32 v105, v110, v82, vcc_lo
	v_cndmask_b32_e64 v110, v112, v82, s12
	v_cndmask_b32_e64 v112, v114, v82, s15
	v_cndmask_b32_e32 v81, v93, v86, vcc_lo
	v_cndmask_b32_e32 v82, v97, v90, vcc_lo
	v_cndmask_b32_e64 v93, v115, v86, s12
	v_cndmask_b32_e64 v77, v77, v94, s18
	;; [unrolled: 1-line block ×3, first 2 shown]
	v_lshrrev_b32_e32 v95, 16, v79
	v_lshrrev_b32_e32 v99, 16, v83
	v_cndmask_b32_e64 v97, v117, v86, s15
	v_cndmask_b32_e64 v85, v85, v86, s16
	;; [unrolled: 1-line block ×14, first 2 shown]
	v_lshrrev_b32_e32 v103, 16, v87
	v_cndmask_b32_e64 v89, v89, v79, s5
	v_cndmask_b32_e64 v94, v101, v83, s5
	;; [unrolled: 1-line block ×11, first 2 shown]
	v_lshrrev_b32_e32 v96, 16, v80
	v_lshrrev_b32_e32 v100, 16, v84
	v_cndmask_b32_e64 v83, v89, v95, s6
	v_cndmask_b32_e64 v89, v94, v99, s6
	;; [unrolled: 1-line block ×9, first 2 shown]
	v_lshrrev_b32_e32 v104, 16, v88
	v_cndmask_b32_e64 v79, v79, v103, s6
	v_cndmask_b32_e64 v83, v83, v80, s7
	;; [unrolled: 1-line block ×19, first 2 shown]
	v_perm_b32 v80, v78, v77, 0x5040100
	v_cndmask_b32_e64 v77, v116, v90, s12
	v_cndmask_b32_e64 v95, v79, v104, s8
	v_perm_b32 v79, v93, v89, 0x5040100
	v_perm_b32 v78, v94, v84, 0x5040100
	v_cndmask_b32_e64 v84, v97, v102, s17
	v_cndmask_b32_e64 v85, v85, v102, s18
	;; [unrolled: 1-line block ×5, first 2 shown]
	v_lshrrev_b32_e32 v107, 16, v91
	v_cndmask_b32_e64 v84, v84, v87, s21
	v_cndmask_b32_e64 v85, v85, v87, s22
	;; [unrolled: 1-line block ×11, first 2 shown]
	v_lshrrev_b32_e32 v108, 16, v92
	v_cndmask_b32_e64 v81, v81, v92, s7
	v_cndmask_b32_e64 v84, v84, v88, s26
	;; [unrolled: 1-line block ×12, first 2 shown]
	v_perm_b32 v77, v83, v82, 0x5040100
	v_perm_b32 v84, v85, v84, 0x5040100
	;; [unrolled: 1-line block ×5, first 2 shown]
	s_lshl_b32 s8, s33, 4
	s_mov_b32 s3, exec_lo
	ds_store_b128 v69, v[77:80]
	ds_store_b128 v69, v[81:84] offset:1024
	v_cmpx_gt_u32_e32 16, v0
	s_cbranch_execz .LBB1213_14
; %bb.13:
	v_or_b32_e32 v77, s31, v0
	s_load_b128 s[4:7], s[0:1], 0x58
	s_delay_alu instid0(VALU_DEP_1) | instskip(NEXT) | instid1(VALU_DEP_1)
	v_mad_u64_u32 v[78:79], null, s8, s34, v[77:78]
	v_mad_u64_u32 v[79:80], null, v78, s35, s[14:15]
	s_delay_alu instid0(VALU_DEP_1) | instskip(NEXT) | instid1(VALU_DEP_1)
	v_ashrrev_i32_e32 v80, 31, v79
	v_lshlrev_b64 v[77:78], 2, v[79:80]
	s_waitcnt lgkmcnt(0)
	s_delay_alu instid0(VALU_DEP_1) | instskip(NEXT) | instid1(VALU_DEP_2)
	v_add_co_u32 v79, vcc_lo, s6, v77
	v_add_co_ci_u32_e32 v80, vcc_lo, s7, v78, vcc_lo
	v_add_co_u32 v77, vcc_lo, s4, v77
	v_add_co_ci_u32_e32 v78, vcc_lo, s5, v78, vcc_lo
	global_store_b32 v[79:80], v75, off
	global_store_b32 v[77:78], v76, off
.LBB1213_14:
	s_or_b32 exec_lo, exec_lo, s3
	s_waitcnt lgkmcnt(0)
	s_waitcnt_vscnt null, 0x0
	s_barrier
	buffer_gl0_inv
	ds_load_b128 v[83:86], v68
	ds_load_b128 v[87:90], v68 offset:16
	ds_load_b128 v[95:98], v68 offset:2064
	;; [unrolled: 1-line block ×5, first 2 shown]
	v_cmp_eq_u32_e32 vcc_lo, 1, v71
	v_mov_b32_e32 v75, 0
	ds_load_b128 v[111:114], v68 offset:6160
	ds_load_b128 v[107:110], v68 offset:6144
	;; [unrolled: 1-line block ×4, first 2 shown]
	v_cmp_eq_u32_e64 s4, 1, v72
	v_cmp_eq_u32_e64 s3, 1, v74
	;; [unrolled: 1-line block ×3, first 2 shown]
	v_mov_b32_e32 v76, v75
	v_mov_b32_e32 v77, v75
	;; [unrolled: 1-line block ×7, first 2 shown]
	v_cmp_eq_u32_e64 s6, 3, v74
	v_cmp_eq_u32_e64 s7, 7, v74
	s_waitcnt lgkmcnt(8)
	s_delay_alu instid0(VALU_DEP_3)
	v_wmma_f32_16x16x16_f16 v[75:82], v[49:56], v[83:90], v[75:82]
	ds_load_b128 v[53:56], v68 offset:10256
	ds_load_b128 v[49:52], v68 offset:10240
	s_waitcnt lgkmcnt(8)
	v_wmma_f32_16x16x16_f16 v[75:82], v[41:48], v[91:98], v[75:82]
	ds_load_b128 v[45:48], v68 offset:12304
	ds_load_b128 v[41:44], v68 offset:12288
	s_waitcnt lgkmcnt(8)
	;; [unrolled: 4-line block ×3, first 2 shown]
	s_barrier
	buffer_gl0_inv
	v_wmma_f32_16x16x16_f16 v[75:82], v[1:8], v[107:114], v[75:82]
	s_delay_alu instid0(VALU_DEP_1) | instskip(NEXT) | instid1(VALU_DEP_1)
	v_wmma_f32_16x16x16_f16 v[75:82], v[9:16], v[115:122], v[75:82]
	v_wmma_f32_16x16x16_f16 v[75:82], v[17:24], v[49:56], v[75:82]
	s_delay_alu instid0(VALU_DEP_1) | instskip(NEXT) | instid1(VALU_DEP_1)
	v_wmma_f32_16x16x16_f16 v[75:82], v[25:32], v[41:48], v[75:82]
	v_wmma_f32_16x16x16_f16 v[75:82], v[57:64], v[33:40], v[75:82]
	s_delay_alu instid0(VALU_DEP_1) | instskip(NEXT) | instid1(VALU_DEP_2)
	v_cvt_f16_f32_e32 v1, v75
	v_cvt_f16_f32_e32 v2, v76
	s_delay_alu instid0(VALU_DEP_3) | instskip(NEXT) | instid1(VALU_DEP_4)
	v_cvt_f16_f32_e32 v3, v77
	v_cvt_f16_f32_e32 v4, v78
	;; [unrolled: 1-line block ×6, first 2 shown]
	v_pack_b32_f16 v1, v1, v2
	v_pack_b32_f16 v2, v3, v4
	;; [unrolled: 1-line block ×3, first 2 shown]
	s_delay_alu instid0(VALU_DEP_4)
	v_pack_b32_f16 v4, v7, v8
	ds_store_b128 v69, v[1:4]
	s_waitcnt lgkmcnt(0)
	s_barrier
	buffer_gl0_inv
	ds_load_b128 v[1:4], v70
	ds_load_b128 v[5:8], v70 offset:16
	s_waitcnt lgkmcnt(1)
	v_lshrrev_b32_e32 v9, 16, v1
	s_waitcnt lgkmcnt(0)
	v_lshrrev_b32_e32 v13, 16, v5
	v_lshrrev_b32_e32 v10, 16, v2
	v_lshrrev_b32_e32 v14, 16, v6
	v_lshrrev_b32_e32 v11, 16, v3
	v_cndmask_b32_e32 v17, v1, v9, vcc_lo
	v_cndmask_b32_e32 v18, v5, v13, vcc_lo
	v_cndmask_b32_e64 v21, v1, v9, s4
	v_cmp_eq_u32_e32 vcc_lo, 1, v73
	v_cndmask_b32_e64 v22, v5, v13, s4
	v_cmp_eq_u32_e64 s4, 2, v71
	v_cndmask_b32_e64 v19, v1, v9, s3
	v_cndmask_b32_e64 v20, v5, v13, s3
	v_cndmask_b32_e32 v1, v1, v9, vcc_lo
	v_cmp_eq_u32_e64 s3, 2, v73
	v_cndmask_b32_e32 v5, v5, v13, vcc_lo
	v_cndmask_b32_e64 v9, v17, v2, s4
	v_cmp_eq_u32_e32 vcc_lo, 3, v71
	v_cndmask_b32_e64 v13, v18, v6, s4
	v_cmp_eq_u32_e64 s4, 2, v72
	v_cndmask_b32_e64 v17, v19, v2, s5
	v_cndmask_b32_e64 v18, v20, v6, s5
	v_cmp_eq_u32_e64 s5, 3, v72
	v_cndmask_b32_e64 v1, v1, v2, s3
	v_cndmask_b32_e64 v19, v21, v2, s4
	;; [unrolled: 1-line block ×4, first 2 shown]
	v_cndmask_b32_e32 v5, v9, v10, vcc_lo
	v_cndmask_b32_e32 v6, v13, v14, vcc_lo
	v_cmp_eq_u32_e32 vcc_lo, 3, v73
	v_cndmask_b32_e64 v9, v17, v10, s6
	v_cndmask_b32_e64 v13, v18, v14, s6
	;; [unrolled: 1-line block ×3, first 2 shown]
	v_cmp_eq_u32_e64 s4, 4, v71
	v_cndmask_b32_e32 v1, v1, v10, vcc_lo
	v_cndmask_b32_e32 v2, v2, v14, vcc_lo
	v_cmp_eq_u32_e32 vcc_lo, 4, v74
	v_lshrrev_b32_e32 v15, 16, v7
	v_lshrrev_b32_e32 v16, 16, v8
	v_cndmask_b32_e64 v17, v19, v10, s5
	v_cmp_eq_u32_e64 s3, 4, v73
	v_cndmask_b32_e64 v5, v5, v3, s4
	v_cndmask_b32_e64 v6, v6, v7, s4
	v_cndmask_b32_e32 v9, v9, v3, vcc_lo
	v_cmp_eq_u32_e64 s4, 5, v74
	v_cndmask_b32_e32 v10, v13, v7, vcc_lo
	v_cmp_eq_u32_e32 vcc_lo, 4, v72
	v_cmp_eq_u32_e64 s5, 5, v71
	v_cndmask_b32_e64 v2, v2, v7, s3
	v_cndmask_b32_e64 v9, v9, v11, s4
	;; [unrolled: 1-line block ×3, first 2 shown]
	v_cndmask_b32_e32 v13, v17, v3, vcc_lo
	v_cmp_eq_u32_e64 s4, 5, v72
	v_cndmask_b32_e32 v14, v18, v7, vcc_lo
	v_cndmask_b32_e64 v1, v1, v3, s3
	v_cmp_eq_u32_e32 vcc_lo, 5, v73
	v_lshrrev_b32_e32 v12, 16, v4
	v_cndmask_b32_e64 v13, v13, v11, s4
	v_cndmask_b32_e64 v3, v14, v15, s4
	v_cmp_eq_u32_e64 s4, 6, v73
	v_cndmask_b32_e32 v1, v1, v11, vcc_lo
	v_cndmask_b32_e64 v5, v5, v11, s5
	v_cmp_eq_u32_e64 s6, 6, v71
	v_cndmask_b32_e64 v6, v6, v15, s5
	v_cmp_eq_u32_e64 s5, 6, v74
	v_cmp_eq_u32_e64 s3, 6, v72
	v_cndmask_b32_e64 v1, v1, v4, s4
	v_cndmask_b32_e32 v2, v2, v15, vcc_lo
	v_cmp_eq_u32_e32 vcc_lo, 7, v73
	v_cndmask_b32_e64 v5, v5, v4, s6
	v_cndmask_b32_e64 v9, v9, v4, s5
	;; [unrolled: 1-line block ×3, first 2 shown]
	v_cmp_eq_u32_e64 s6, 7, v71
	v_cndmask_b32_e32 v1, v1, v12, vcc_lo
	v_cndmask_b32_e64 v7, v13, v4, s3
	v_cndmask_b32_e64 v3, v3, v8, s3
	;; [unrolled: 1-line block ×3, first 2 shown]
	v_cmp_eq_u32_e64 s3, 7, v72
	v_cndmask_b32_e64 v4, v10, v8, s5
	v_cndmask_b32_e64 v5, v5, v12, s6
	;; [unrolled: 1-line block ×3, first 2 shown]
	v_cndmask_b32_e32 v2, v2, v16, vcc_lo
	v_cndmask_b32_e64 v7, v7, v12, s3
	v_cndmask_b32_e64 v3, v3, v16, s3
	;; [unrolled: 1-line block ×4, first 2 shown]
	v_cmp_gt_u32_e32 vcc_lo, 32, v0
	v_perm_b32 v4, v2, v1, 0x5040100
	v_perm_b32 v3, v3, v7, 0x5040100
	;; [unrolled: 1-line block ×4, first 2 shown]
	s_and_b32 s2, vcc_lo, s2
	ds_store_b128 v69, v[1:4]
	s_waitcnt lgkmcnt(0)
	s_barrier
	buffer_gl0_inv
	s_and_saveexec_b32 s3, s2
	s_cbranch_execz .LBB1213_2
; %bb.15:
	s_load_b64 s[0:1], s[0:1], 0x68
	v_lshlrev_b32_e32 v0, 10, v0
	s_lshl_b32 s4, s35, 6
	v_or_b32_e32 v23, s31, v66
	s_mul_i32 s2, s4, s34
	v_lshlrev_b32_e32 v1, 4, v67
	v_lshlrev_b32_e32 v2, 6, v66
	s_mul_i32 s2, s2, s8
	v_and_b32_e32 v0, 0x3800, v0
	v_mul_lo_u32 v8, v23, s4
	s_ashr_i32 s3, s2, 31
	v_or_b32_e32 v3, 2, v23
	s_lshl_b64 s[2:3], s[2:3], 1
	v_or3_b32 v27, v0, v1, v2
	v_or_b32_e32 v11, 4, v23
	v_or_b32_e32 v18, 6, v23
	v_mul_lo_u32 v10, v3, s4
	v_ashrrev_i32_e32 v9, 31, v8
	ds_load_b128 v[0:3], v27
	ds_load_b128 v[4:7], v27 offset:128
	v_mul_lo_u32 v12, v11, s4
	s_waitcnt lgkmcnt(0)
	s_add_u32 s2, s0, s2
	s_addc_u32 s3, s1, s3
	s_lshl_b32 s0, s14, 6
	v_lshlrev_b64 v[8:9], 1, v[8:9]
	s_ashr_i32 s1, s0, 31
	v_ashrrev_i32_e32 v11, 31, v10
	s_lshl_b64 s[0:1], s[0:1], 1
	v_ashrrev_i32_e32 v13, 31, v12
	s_add_u32 s0, s2, s0
	s_addc_u32 s1, s3, s1
	v_add_co_u32 v30, s0, s0, v65
	s_delay_alu instid0(VALU_DEP_1) | instskip(SKIP_1) | instid1(VALU_DEP_3)
	v_add_co_ci_u32_e64 v31, null, s1, 0, s0
	v_lshlrev_b64 v[16:17], 1, v[10:11]
	v_add_co_u32 v14, vcc_lo, v30, v8
	s_delay_alu instid0(VALU_DEP_3)
	v_add_co_ci_u32_e32 v15, vcc_lo, v31, v9, vcc_lo
	ds_load_b128 v[8:11], v27 offset:256
	v_mul_lo_u32 v18, v18, s4
	v_or_b32_e32 v19, 8, v23
	v_add_co_u32 v16, vcc_lo, v30, v16
	global_store_b128 v[14:15], v[0:3], off
	v_lshlrev_b64 v[0:1], 1, v[12:13]
	v_add_co_ci_u32_e32 v17, vcc_lo, v31, v17, vcc_lo
	v_mul_lo_u32 v12, v19, s4
	v_ashrrev_i32_e32 v19, 31, v18
	v_or_b32_e32 v14, 10, v23
	global_store_b128 v[16:17], v[4:7], off
	v_add_co_u32 v4, vcc_lo, v30, v0
	v_add_co_ci_u32_e32 v5, vcc_lo, v31, v1, vcc_lo
	ds_load_b128 v[0:3], v27 offset:384
	v_ashrrev_i32_e32 v13, 31, v12
	v_lshlrev_b64 v[6:7], 1, v[18:19]
	v_mul_lo_u32 v14, v14, s4
	s_waitcnt lgkmcnt(1)
	global_store_b128 v[4:5], v[8:11], off
	v_or_b32_e32 v8, 12, v23
	v_lshlrev_b64 v[4:5], 1, v[12:13]
	v_add_co_u32 v20, vcc_lo, v30, v6
	v_or_b32_e32 v6, 14, v23
	v_ashrrev_i32_e32 v15, 31, v14
	v_mul_lo_u32 v22, v8, s4
	v_add_co_ci_u32_e32 v21, vcc_lo, v31, v7, vcc_lo
	v_add_co_u32 v24, vcc_lo, v30, v4
	v_mul_lo_u32 v26, v6, s4
	v_add_co_ci_u32_e32 v25, vcc_lo, v31, v5, vcc_lo
	v_lshlrev_b64 v[28:29], 1, v[14:15]
	ds_load_b128 v[4:7], v27 offset:512
	ds_load_b128 v[8:11], v27 offset:640
	;; [unrolled: 1-line block ×4, first 2 shown]
	v_ashrrev_i32_e32 v23, 31, v22
	v_ashrrev_i32_e32 v27, 31, v26
	v_add_co_u32 v28, vcc_lo, v30, v28
	s_delay_alu instid0(VALU_DEP_3) | instskip(SKIP_1) | instid1(VALU_DEP_4)
	v_lshlrev_b64 v[22:23], 1, v[22:23]
	v_add_co_ci_u32_e32 v29, vcc_lo, v31, v29, vcc_lo
	v_lshlrev_b64 v[26:27], 1, v[26:27]
	s_delay_alu instid0(VALU_DEP_3) | instskip(NEXT) | instid1(VALU_DEP_4)
	v_add_co_u32 v22, vcc_lo, v30, v22
	v_add_co_ci_u32_e32 v23, vcc_lo, v31, v23, vcc_lo
	s_delay_alu instid0(VALU_DEP_3) | instskip(NEXT) | instid1(VALU_DEP_4)
	v_add_co_u32 v26, vcc_lo, v30, v26
	v_add_co_ci_u32_e32 v27, vcc_lo, v31, v27, vcc_lo
	s_waitcnt lgkmcnt(4)
	global_store_b128 v[20:21], v[0:3], off
	s_waitcnt lgkmcnt(3)
	global_store_b128 v[24:25], v[4:7], off
	;; [unrolled: 2-line block ×5, first 2 shown]
	s_nop 0
	s_sendmsg sendmsg(MSG_DEALLOC_VGPRS)
	s_endpgm
	.section	.rodata,"a",@progbits
	.p2align	6, 0x0
	.amdhsa_kernel _Z39paged_attention_ll4mi_QKV_mfma16_kernelIDF16_hLN4vllm18Fp8KVCacheDataTypeE1EDF16_Li32ELi64ELi256ELb0ELi16EL8MFMAType0EEvPKT_PKT0_S8_ifPKiSA_SA_iPKfiiiPfSD_PS3_PT2_iSC_SC_
		.amdhsa_group_segment_fixed_size 17472
		.amdhsa_private_segment_fixed_size 0
		.amdhsa_kernarg_size 400
		.amdhsa_user_sgpr_count 13
		.amdhsa_user_sgpr_dispatch_ptr 0
		.amdhsa_user_sgpr_queue_ptr 0
		.amdhsa_user_sgpr_kernarg_segment_ptr 1
		.amdhsa_user_sgpr_dispatch_id 0
		.amdhsa_user_sgpr_private_segment_size 0
		.amdhsa_wavefront_size32 1
		.amdhsa_uses_dynamic_stack 0
		.amdhsa_enable_private_segment 0
		.amdhsa_system_sgpr_workgroup_id_x 1
		.amdhsa_system_sgpr_workgroup_id_y 1
		.amdhsa_system_sgpr_workgroup_id_z 1
		.amdhsa_system_sgpr_workgroup_info 0
		.amdhsa_system_vgpr_workitem_id 0
		.amdhsa_next_free_vgpr 123
		.amdhsa_next_free_sgpr 42
		.amdhsa_reserve_vcc 1
		.amdhsa_float_round_mode_32 0
		.amdhsa_float_round_mode_16_64 0
		.amdhsa_float_denorm_mode_32 3
		.amdhsa_float_denorm_mode_16_64 3
		.amdhsa_dx10_clamp 1
		.amdhsa_ieee_mode 1
		.amdhsa_fp16_overflow 0
		.amdhsa_workgroup_processor_mode 1
		.amdhsa_memory_ordered 1
		.amdhsa_forward_progress 0
		.amdhsa_shared_vgpr_count 0
		.amdhsa_exception_fp_ieee_invalid_op 0
		.amdhsa_exception_fp_denorm_src 0
		.amdhsa_exception_fp_ieee_div_zero 0
		.amdhsa_exception_fp_ieee_overflow 0
		.amdhsa_exception_fp_ieee_underflow 0
		.amdhsa_exception_fp_ieee_inexact 0
		.amdhsa_exception_int_div_zero 0
	.end_amdhsa_kernel
	.section	.text._Z39paged_attention_ll4mi_QKV_mfma16_kernelIDF16_hLN4vllm18Fp8KVCacheDataTypeE1EDF16_Li32ELi64ELi256ELb0ELi16EL8MFMAType0EEvPKT_PKT0_S8_ifPKiSA_SA_iPKfiiiPfSD_PS3_PT2_iSC_SC_,"axG",@progbits,_Z39paged_attention_ll4mi_QKV_mfma16_kernelIDF16_hLN4vllm18Fp8KVCacheDataTypeE1EDF16_Li32ELi64ELi256ELb0ELi16EL8MFMAType0EEvPKT_PKT0_S8_ifPKiSA_SA_iPKfiiiPfSD_PS3_PT2_iSC_SC_,comdat
.Lfunc_end1213:
	.size	_Z39paged_attention_ll4mi_QKV_mfma16_kernelIDF16_hLN4vllm18Fp8KVCacheDataTypeE1EDF16_Li32ELi64ELi256ELb0ELi16EL8MFMAType0EEvPKT_PKT0_S8_ifPKiSA_SA_iPKfiiiPfSD_PS3_PT2_iSC_SC_, .Lfunc_end1213-_Z39paged_attention_ll4mi_QKV_mfma16_kernelIDF16_hLN4vllm18Fp8KVCacheDataTypeE1EDF16_Li32ELi64ELi256ELb0ELi16EL8MFMAType0EEvPKT_PKT0_S8_ifPKiSA_SA_iPKfiiiPfSD_PS3_PT2_iSC_SC_
                                        ; -- End function
	.section	.AMDGPU.csdata,"",@progbits
; Kernel info:
; codeLenInByte = 6736
; NumSgprs: 44
; NumVgprs: 123
; ScratchSize: 0
; MemoryBound: 0
; FloatMode: 240
; IeeeMode: 1
; LDSByteSize: 17472 bytes/workgroup (compile time only)
; SGPRBlocks: 5
; VGPRBlocks: 15
; NumSGPRsForWavesPerEU: 44
; NumVGPRsForWavesPerEU: 123
; Occupancy: 10
; WaveLimiterHint : 1
; COMPUTE_PGM_RSRC2:SCRATCH_EN: 0
; COMPUTE_PGM_RSRC2:USER_SGPR: 13
; COMPUTE_PGM_RSRC2:TRAP_HANDLER: 0
; COMPUTE_PGM_RSRC2:TGID_X_EN: 1
; COMPUTE_PGM_RSRC2:TGID_Y_EN: 1
; COMPUTE_PGM_RSRC2:TGID_Z_EN: 1
; COMPUTE_PGM_RSRC2:TIDIG_COMP_CNT: 0
	.section	.text._Z39paged_attention_ll4mi_QKV_mfma16_kernelIDF16_hLN4vllm18Fp8KVCacheDataTypeE1EDF16_Li32ELi64ELi256ELb0ELi1EL8MFMAType0EEvPKT_PKT0_S8_ifPKiSA_SA_iPKfiiiPfSD_PS3_PT2_iSC_SC_,"axG",@progbits,_Z39paged_attention_ll4mi_QKV_mfma16_kernelIDF16_hLN4vllm18Fp8KVCacheDataTypeE1EDF16_Li32ELi64ELi256ELb0ELi1EL8MFMAType0EEvPKT_PKT0_S8_ifPKiSA_SA_iPKfiiiPfSD_PS3_PT2_iSC_SC_,comdat
	.protected	_Z39paged_attention_ll4mi_QKV_mfma16_kernelIDF16_hLN4vllm18Fp8KVCacheDataTypeE1EDF16_Li32ELi64ELi256ELb0ELi1EL8MFMAType0EEvPKT_PKT0_S8_ifPKiSA_SA_iPKfiiiPfSD_PS3_PT2_iSC_SC_ ; -- Begin function _Z39paged_attention_ll4mi_QKV_mfma16_kernelIDF16_hLN4vllm18Fp8KVCacheDataTypeE1EDF16_Li32ELi64ELi256ELb0ELi1EL8MFMAType0EEvPKT_PKT0_S8_ifPKiSA_SA_iPKfiiiPfSD_PS3_PT2_iSC_SC_
	.globl	_Z39paged_attention_ll4mi_QKV_mfma16_kernelIDF16_hLN4vllm18Fp8KVCacheDataTypeE1EDF16_Li32ELi64ELi256ELb0ELi1EL8MFMAType0EEvPKT_PKT0_S8_ifPKiSA_SA_iPKfiiiPfSD_PS3_PT2_iSC_SC_
	.p2align	8
	.type	_Z39paged_attention_ll4mi_QKV_mfma16_kernelIDF16_hLN4vllm18Fp8KVCacheDataTypeE1EDF16_Li32ELi64ELi256ELb0ELi1EL8MFMAType0EEvPKT_PKT0_S8_ifPKiSA_SA_iPKfiiiPfSD_PS3_PT2_iSC_SC_,@function
_Z39paged_attention_ll4mi_QKV_mfma16_kernelIDF16_hLN4vllm18Fp8KVCacheDataTypeE1EDF16_Li32ELi64ELi256ELb0ELi1EL8MFMAType0EEvPKT_PKT0_S8_ifPKiSA_SA_iPKfiiiPfSD_PS3_PT2_iSC_SC_: ; @_Z39paged_attention_ll4mi_QKV_mfma16_kernelIDF16_hLN4vllm18Fp8KVCacheDataTypeE1EDF16_Li32ELi64ELi256ELb0ELi1EL8MFMAType0EEvPKT_PKT0_S8_ifPKiSA_SA_iPKfiiiPfSD_PS3_PT2_iSC_SC_
; %bb.0:
	s_load_b64 s[4:5], s[0:1], 0x30
	s_mov_b32 s34, s13
	s_waitcnt lgkmcnt(0)
	s_cmp_lg_u64 s[4:5], 0
	s_cselect_b32 s6, -1, 0
	s_ashr_i32 s35, s13, 31
	s_cmp_eq_u64 s[4:5], 0
	s_cbranch_scc1 .LBB1214_3
; %bb.1:
	s_lshl_b64 s[2:3], s[34:35], 2
	s_delay_alu instid0(SALU_CYCLE_1) | instskip(SKIP_4) | instid1(SALU_CYCLE_1)
	s_add_u32 s2, s4, s2
	s_addc_u32 s3, s5, s3
	s_load_b64 s[2:3], s[2:3], 0x0
	s_waitcnt lgkmcnt(0)
	s_sub_i32 s2, s3, s2
	s_cmp_eq_u32 s2, 1
	s_cselect_b32 s2, -1, 0
	s_delay_alu instid0(SALU_CYCLE_1)
	s_and_not1_b32 vcc_lo, exec_lo, s2
	s_cbranch_vccz .LBB1214_4
.LBB1214_2:
	s_endpgm
.LBB1214_3:
.LBB1214_4:
	s_load_b64 s[2:3], s[0:1], 0x28
	s_lshl_b64 s[8:9], s[34:35], 2
	s_waitcnt lgkmcnt(0)
	s_add_u32 s2, s2, s8
	s_addc_u32 s3, s3, s9
	s_lshl_b32 s12, s14, 8
	s_load_b32 s33, s[2:3], 0x0
	s_waitcnt lgkmcnt(0)
	s_cmp_ge_i32 s12, s33
	s_cbranch_scc1 .LBB1214_2
; %bb.5:
	s_clause 0x1
	s_load_b128 s[28:31], s[0:1], 0x8
	s_load_b64 s[2:3], s[0:1], 0x20
	s_and_not1_b32 vcc_lo, exec_lo, s6
	s_mov_b64 s[6:7], s[34:35]
	s_cbranch_vccnz .LBB1214_7
; %bb.6:
	s_add_u32 s4, s4, s8
	s_addc_u32 s5, s5, s9
	s_load_b32 s6, s[4:5], 0x0
.LBB1214_7:
	s_load_b128 s[24:27], s[0:1], 0x48
	v_and_b32_e32 v73, 15, v0
	s_mov_b32 s13, exec_lo
                                        ; implicit-def: $sgpr16
                                        ; implicit-def: $sgpr4
	s_delay_alu instid0(VALU_DEP_1)
	v_cmpx_eq_u32_e32 0, v73
	s_cbranch_execz .LBB1214_9
; %bb.8:
	s_load_b64 s[4:5], s[0:1], 0x0
	s_waitcnt lgkmcnt(0)
	s_mul_hi_i32 s7, s6, s24
	s_mul_i32 s6, s6, s24
	s_delay_alu instid0(SALU_CYCLE_1) | instskip(NEXT) | instid1(SALU_CYCLE_1)
	s_lshl_b64 s[6:7], s[6:7], 1
	s_add_u32 s6, s4, s6
	s_addc_u32 s7, s5, s7
	s_lshl_b32 s4, s15, 6
	s_delay_alu instid0(SALU_CYCLE_1) | instskip(NEXT) | instid1(SALU_CYCLE_1)
	s_ashr_i32 s5, s4, 31
	s_lshl_b64 s[4:5], s[4:5], 1
	s_delay_alu instid0(SALU_CYCLE_1)
	s_add_u32 s4, s6, s4
	s_addc_u32 s5, s7, s5
	s_clause 0x1
	s_load_b256 s[16:23], s[4:5], 0x0
	s_load_b256 s[4:11], s[4:5], 0x40
.LBB1214_9:
	s_or_b32 exec_lo, exec_lo, s13
	v_and_b32_e32 v1, 0xef, v0
	s_waitcnt lgkmcnt(0)
	v_dual_mov_b32 v115, s23 :: v_dual_mov_b32 v108, s16
	v_mov_b32_e32 v114, s22
	s_add_i32 s13, s33, 31
	v_dual_mov_b32 v112, s20 :: v_dual_add_nc_u32 v1, s12, v1
	s_ashr_i32 s24, s13, 31
	s_load_b32 s27, s[0:1], 0x38
	s_lshr_b32 s24, s24, 27
	s_delay_alu instid0(VALU_DEP_1)
	v_ashrrev_i32_e32 v2, 31, v1
	v_or_b32_e32 v3, 16, v1
	s_add_i32 s13, s13, s24
	s_load_b32 s24, s[0:1], 0x1c
	s_ashr_i32 s13, s13, 5
	v_lshrrev_b32_e32 v2, 27, v2
	s_add_i32 s13, s13, -1
	v_cmp_gt_i32_e32 vcc_lo, s33, v1
	v_lshrrev_b32_e32 v66, 5, v0
	s_delay_alu instid0(VALU_DEP_3)
	v_dual_mov_b32 v111, s19 :: v_dual_add_nc_u32 v4, v1, v2
	v_mov_b32_e32 v113, s21
	v_mov_b32_e32 v109, s17
	v_and_b32_e32 v65, 0xe0, v0
	v_mbcnt_lo_u32_b32 v67, -1, 0
	v_ashrrev_i32_e32 v4, 5, v4
	v_add_nc_u32_e32 v2, v3, v2
	v_bfe_u32 v75, v0, 4, 1
	s_waitcnt lgkmcnt(0)
	s_mul_i32 s36, s34, s27
	v_xor_b32_e32 v68, 16, v67
	v_cndmask_b32_e32 v1, s13, v4, vcc_lo
	v_ashrrev_i32_e32 v2, 5, v2
	v_cmp_gt_i32_e32 vcc_lo, s33, v3
	s_ashr_i32 s37, s36, 31
	v_lshlrev_b32_e32 v74, 4, v73
	s_lshl_b64 s[36:37], s[36:37], 2
	v_mov_b32_e32 v110, s18
	v_cndmask_b32_e32 v3, s13, v2, vcc_lo
	v_ashrrev_i32_e32 v2, 31, v1
	s_add_u32 s36, s2, s36
	s_addc_u32 s35, s3, s37
	s_mul_i32 s37, s15, s26
	v_ashrrev_i32_e32 v4, 31, v3
	v_lshlrev_b64 v[1:2], 2, v[1:2]
	s_ashr_i32 s38, s37, 31
	s_add_u32 s40, s28, s37
	s_addc_u32 s41, s29, s38
	v_lshlrev_b64 v[3:4], 2, v[3:4]
	s_lshl_b32 s2, s14, 3
	v_add_co_u32 v1, vcc_lo, s36, v1
	v_add_co_ci_u32_e32 v2, vcc_lo, s35, v2, vcc_lo
	s_delay_alu instid0(VALU_DEP_3) | instskip(NEXT) | instid1(VALU_DEP_4)
	v_add_co_u32 v3, vcc_lo, s36, v3
	v_add_co_ci_u32_e32 v4, vcc_lo, s35, v4, vcc_lo
	s_clause 0x1
	global_load_b32 v5, v[1:2], off
	global_load_b32 v6, v[3:4], off
	s_ashr_i32 s3, s2, 31
	s_delay_alu instid0(SALU_CYCLE_1) | instskip(NEXT) | instid1(SALU_CYCLE_1)
	s_lshl_b64 s[2:3], s[2:3], 2
	s_add_u32 s2, s36, s2
	s_addc_u32 s3, s35, s3
	s_or_b32 s26, s12, 32
	s_delay_alu instid0(SALU_CYCLE_1) | instskip(SKIP_2) | instid1(SALU_CYCLE_1)
	s_ashr_i32 s27, s26, 5
	s_cmp_lt_i32 s26, s33
	s_cselect_b32 s26, s27, s13
	s_ashr_i32 s27, s26, 31
	s_delay_alu instid0(SALU_CYCLE_1) | instskip(NEXT) | instid1(SALU_CYCLE_1)
	s_lshl_b64 s[26:27], s[26:27], 2
	s_add_u32 s26, s36, s26
	s_addc_u32 s27, s35, s27
	s_or_b32 s28, s12, 64
	s_delay_alu instid0(SALU_CYCLE_1) | instskip(SKIP_2) | instid1(SALU_CYCLE_1)
	s_ashr_i32 s29, s28, 5
	s_cmp_lt_i32 s28, s33
	s_cselect_b32 s28, s29, s13
	;; [unrolled: 10-line block ×5, first 2 shown]
	s_ashr_i32 s29, s28, 31
	s_delay_alu instid0(SALU_CYCLE_1) | instskip(NEXT) | instid1(SALU_CYCLE_1)
	s_lshl_b64 s[28:29], s[28:29], 2
	s_add_u32 s48, s36, s28
	s_addc_u32 s49, s35, s29
	s_clause 0x5
	s_load_b32 s29, s[2:3], 0x0
	s_load_b32 s2, s[26:27], 0x0
	;; [unrolled: 1-line block ×6, first 2 shown]
	s_or_b32 s39, s12, 0xc0
	s_waitcnt vmcnt(1)
	v_mad_i64_i32 v[1:2], null, v5, s25, s[40:41]
	s_waitcnt vmcnt(0)
	v_mad_i64_i32 v[3:4], null, v6, s25, s[40:41]
	s_ashr_i32 s40, s39, 5
	s_cmp_lt_i32 s39, s33
	s_cselect_b32 s40, s40, s13
	s_delay_alu instid0(VALU_DEP_2) | instskip(NEXT) | instid1(VALU_DEP_3)
	v_add_co_u32 v1, vcc_lo, v1, v74
	v_add_co_ci_u32_e32 v2, vcc_lo, 0, v2, vcc_lo
	s_delay_alu instid0(VALU_DEP_3) | instskip(NEXT) | instid1(VALU_DEP_4)
	v_add_co_u32 v3, vcc_lo, v3, v74
	v_add_co_ci_u32_e32 v4, vcc_lo, 0, v4, vcc_lo
	s_clause 0x7
	global_load_b128 v[76:79], v[1:2], off
	global_load_b128 v[80:83], v[1:2], off offset:512
	global_load_b128 v[84:87], v[3:4], off offset:256
	;; [unrolled: 1-line block ×7, first 2 shown]
	s_ashr_i32 s41, s40, 31
	v_lshlrev_b32_e32 v1, 5, v73
	s_lshl_b64 s[40:41], s[40:41], 2
	v_cmp_gt_i32_e32 vcc_lo, 32, v68
	s_add_u32 s40, s36, s40
	s_addc_u32 s41, s35, s41
	s_or_b32 s39, s12, 0xe0
	v_lshl_or_b32 v1, v66, 9, v1
	s_ashr_i32 s42, s39, 5
	s_cmp_lt_i32 s39, s33
	s_cselect_b32 s42, s42, s13
	s_load_b32 s13, s[40:41], 0x0
	s_ashr_i32 s43, s42, 31
	s_delay_alu instid0(SALU_CYCLE_1) | instskip(NEXT) | instid1(SALU_CYCLE_1)
	s_lshl_b64 s[42:43], s[42:43], 2
	s_add_u32 s40, s36, s42
	s_addc_u32 s41, s35, s43
	s_add_u32 s30, s30, s37
	s_addc_u32 s31, s31, s38
	v_add_co_u32 v1, s30, s30, v1
	s_delay_alu instid0(VALU_DEP_1) | instskip(SKIP_3) | instid1(VALU_DEP_1)
	v_add_co_ci_u32_e64 v2, null, s31, 0, s30
	s_load_b32 s30, s[40:41], 0x0
	s_mov_b32 s36, 0
	s_waitcnt lgkmcnt(0)
	v_mad_i64_i32 v[3:4], null, s29, s25, v[1:2]
	v_mad_i64_i32 v[9:10], null, s26, s25, v[1:2]
	;; [unrolled: 1-line block ×7, first 2 shown]
	s_clause 0x5
	global_load_b128 v[49:52], v[3:4], off
	global_load_b128 v[53:56], v[3:4], off offset:16
	global_load_b128 v[41:44], v[5:6], off
	global_load_b128 v[45:48], v[5:6], off offset:16
	;; [unrolled: 2-line block ×3, first 2 shown]
	s_mov_b32 s43, s36
	s_mov_b32 s37, s36
	v_mad_i64_i32 v[61:62], null, s30, s25, v[1:2]
	s_clause 0x9
	global_load_b128 v[1:4], v[9:10], off
	global_load_b128 v[5:8], v[9:10], off offset:16
	global_load_b128 v[9:12], v[13:14], off
	global_load_b128 v[13:16], v[13:14], off offset:16
	global_load_b128 v[17:20], v[21:22], off
	global_load_b128 v[21:24], v[21:22], off offset:16
	global_load_b128 v[25:28], v[29:30], off
	global_load_b128 v[29:32], v[29:30], off offset:16
	global_load_b128 v[57:60], v[61:62], off
	global_load_b128 v[61:64], v[61:62], off offset:16
	s_mov_b32 s38, s36
	s_mov_b32 s39, s36
	;; [unrolled: 1-line block ×5, first 2 shown]
	v_mov_b32_e32 v123, s11
	v_mov_b32_e32 v131, s43
	v_dual_mov_b32 v121, s9 :: v_dual_mov_b32 v128, s40
	v_dual_mov_b32 v119, s7 :: v_dual_mov_b32 v126, s38
	;; [unrolled: 1-line block ×4, first 2 shown]
	v_mov_b32_e32 v127, s39
	v_dual_mov_b32 v125, s37 :: v_dual_mov_b32 v122, s10
	v_mov_b32_e32 v120, s8
	v_dual_mov_b32 v118, s6 :: v_dual_add_nc_u32 v65, s12, v65
	v_mov_b32_e32 v116, s4
	s_waitcnt vmcnt(0)
	s_barrier
	buffer_gl0_inv
	v_or_b32_e32 v65, v65, v75
	s_delay_alu instid0(VALU_DEP_1)
	v_or_b32_e32 v69, 4, v65
	v_or_b32_e32 v70, 6, v65
	;; [unrolled: 1-line block ×8, first 2 shown]
	v_cmp_gt_i32_e64 s3, s33, v69
	v_cmp_gt_i32_e64 s4, s33, v70
	;; [unrolled: 1-line block ×8, first 2 shown]
	v_wmma_f32_16x16x16_f16 v[132:139], v[76:83], v[108:115], v[124:131]
	v_or_b32_e32 v76, 20, v65
	v_or_b32_e32 v77, 22, v65
	;; [unrolled: 1-line block ×3, first 2 shown]
	s_delay_alu instid0(VALU_DEP_4)
	v_wmma_f32_16x16x16_f16 v[132:139], v[92:99], v[116:123], v[132:139]
	v_or_b32_e32 v79, 26, v65
	v_or_b32_e32 v80, 28, v65
	;; [unrolled: 1-line block ×3, first 2 shown]
	v_cmp_gt_i32_e64 s11, s33, v76
	v_mul_f32_e32 v82, s24, v139
	v_wmma_f32_16x16x16_f16 v[124:131], v[84:91], v[108:115], v[124:131]
	v_mul_f32_e32 v88, s24, v133
	v_mul_f32_e32 v86, s24, v135
	;; [unrolled: 1-line block ×3, first 2 shown]
	v_cmp_gt_i32_e64 s12, s33, v77
	v_wmma_f32_16x16x16_f16 v[124:131], v[100:107], v[116:123], v[124:131]
	v_cndmask_b32_e32 v67, v67, v68, vcc_lo
	v_or_b32_e32 v68, 2, v65
	v_cmp_gt_i32_e32 vcc_lo, s33, v65
	s_delay_alu instid0(VALU_DEP_4) | instskip(SKIP_1) | instid1(VALU_DEP_4)
	v_dual_mul_f32 v87, s24, v134 :: v_dual_mul_f32 v96, s24, v125
	v_dual_mul_f32 v90, s24, v131 :: v_dual_mul_f32 v89, s24, v132
	v_cmp_gt_i32_e64 s2, s33, v68
	v_dual_mul_f32 v85, s24, v136 :: v_dual_mul_f32 v94, s24, v127
	s_delay_alu instid0(VALU_DEP_4) | instskip(NEXT) | instid1(VALU_DEP_4)
	v_cndmask_b32_e64 v69, 0xff7fffff, v87, s3
	v_cndmask_b32_e32 v65, 0xff7fffff, v89, vcc_lo
	s_delay_alu instid0(VALU_DEP_4) | instskip(SKIP_3) | instid1(VALU_DEP_4)
	v_cndmask_b32_e64 v68, 0xff7fffff, v88, s2
	v_cndmask_b32_e64 v70, 0xff7fffff, v86, s4
	v_dual_mul_f32 v83, s24, v138 :: v_dual_mul_f32 v92, s24, v129
	v_cndmask_b32_e64 v71, 0xff7fffff, v84, s6
	v_max3_f32 v65, v65, 0xff7fffff, v68
	v_cndmask_b32_e64 v68, 0xff7fffff, v85, s5
	v_mul_f32_e32 v97, s24, v124
	v_mul_f32_e32 v95, s24, v126
	;; [unrolled: 1-line block ×3, first 2 shown]
	v_max3_f32 v65, v65, v69, v70
	v_cndmask_b32_e64 v69, 0xff7fffff, v83, s7
	v_cndmask_b32_e64 v70, 0xff7fffff, v82, s8
	v_cmp_gt_i32_e64 s13, s33, v78
	v_cmp_gt_i32_e64 s16, s33, v79
	v_max3_f32 v65, v65, v68, v71
	v_cndmask_b32_e64 v68, 0xff7fffff, v97, s9
	v_cndmask_b32_e64 v71, 0xff7fffff, v96, s10
	v_mul_f32_e32 v91, s24, v130
	v_cmp_gt_i32_e64 s17, s33, v80
	v_max3_f32 v65, v65, v69, v70
	v_cndmask_b32_e64 v69, 0xff7fffff, v95, s11
	v_cndmask_b32_e64 v70, 0xff7fffff, v94, s12
	v_cmp_gt_i32_e64 s18, s33, v81
	s_delay_alu instid0(VALU_DEP_4) | instskip(SKIP_2) | instid1(VALU_DEP_3)
	v_max3_f32 v65, v65, v68, v71
	v_cndmask_b32_e64 v68, 0xff7fffff, v93, s13
	v_cndmask_b32_e64 v71, 0xff7fffff, v92, s16
	v_max3_f32 v65, v65, v69, v70
	v_cndmask_b32_e64 v69, 0xff7fffff, v91, s17
	v_cndmask_b32_e64 v70, 0xff7fffff, v90, s18
	s_delay_alu instid0(VALU_DEP_3) | instskip(SKIP_1) | instid1(VALU_DEP_2)
	v_max3_f32 v65, v65, v68, v71
	v_lshlrev_b32_e32 v68, 2, v67
	v_max3_f32 v65, v65, v69, v70
	ds_bpermute_b32 v67, v68, v65
	s_waitcnt lgkmcnt(0)
	v_max_f32_e32 v67, v67, v67
	s_delay_alu instid0(VALU_DEP_1) | instskip(NEXT) | instid1(VALU_DEP_1)
	v_max_f32_e32 v65, v65, v67
	v_fma_f32 v80, s24, v124, -v65
	s_delay_alu instid0(VALU_DEP_1)
	v_mul_f32_e32 v80, 0x3fb8aa3b, v80
	v_fma_f32 v78, s24, v138, -v65
	v_fma_f32 v71, s24, v135, -v65
	;; [unrolled: 1-line block ×5, first 2 shown]
	v_mul_f32_e32 v78, 0x3fb8aa3b, v78
	v_exp_f32_e32 v80, v80
	v_mul_f32_e32 v67, 0x3fb8aa3b, v67
	v_fma_f32 v72, s24, v136, -v65
	v_mul_f32_e32 v70, 0x3fb8aa3b, v70
	v_exp_f32_e32 v78, v78
	s_delay_alu instid0(VALU_DEP_3) | instskip(NEXT) | instid1(VALU_DEP_2)
	v_exp_f32_e32 v67, v67
	v_mul_f32_e32 v72, 0x3fb8aa3b, v72
	s_delay_alu instid0(VALU_DEP_2) | instskip(SKIP_2) | instid1(VALU_DEP_3)
	v_exp_f32_e32 v76, v70
	v_cndmask_b32_e64 v88, 0, v80, s9
	v_fma_f32 v80, s24, v129, -v65
	v_exp_f32_e32 v79, v72
	v_cndmask_b32_e64 v86, 0, v78, s7
	v_fma_f32 v78, s24, v127, -v65
	v_mul_f32_e32 v71, 0x3fb8aa3b, v71
	s_delay_alu instid0(TRANS32_DEP_3) | instskip(SKIP_1) | instid1(TRANS32_DEP_2)
	v_cndmask_b32_e32 v70, 0, v67, vcc_lo
	v_fma_f32 v67, s24, v137, -v65
	v_cndmask_b32_e64 v72, 0, v76, s3
	v_mul_f32_e32 v78, 0x3fb8aa3b, v78
	v_exp_f32_e32 v71, v71
	v_dual_add_f32 v77, 0, v70 :: v_dual_mul_f32 v80, 0x3fb8aa3b, v80
	v_mul_f32_e32 v67, 0x3fb8aa3b, v67
	v_cndmask_b32_e64 v84, 0, v79, s5
	v_fma_f32 v79, s24, v125, -v65
	v_exp_f32_e32 v78, v78
	s_mov_b32 s3, exec_lo
	v_exp_f32_e32 v67, v67
	s_delay_alu instid0(TRANS32_DEP_3) | instskip(SKIP_2) | instid1(VALU_DEP_2)
	v_cndmask_b32_e64 v71, 0, v71, s4
	v_mul_f32_e32 v69, 0x3fb8aa3b, v69
	v_mul_f32_e32 v79, 0x3fb8aa3b, v79
	v_exp_f32_e32 v69, v69
	s_delay_alu instid0(VALU_DEP_1) | instskip(NEXT) | instid1(TRANS32_DEP_3)
	v_exp_f32_e32 v79, v79
	v_cndmask_b32_e64 v83, 0, v67, s6
	v_cndmask_b32_e64 v89, 0, v78, s12
	v_fma_f32 v78, s24, v131, -v65
	s_waitcnt_depctr 0xfff
	v_cndmask_b32_e64 v69, 0, v69, s2
	v_cndmask_b32_e64 v87, 0, v79, s10
	v_fma_f32 v79, s24, v130, -v65
	s_delay_alu instid0(VALU_DEP_3) | instskip(SKIP_1) | instid1(VALU_DEP_1)
	v_add_f32_e32 v76, v77, v69
	v_fma_f32 v77, s24, v139, -v65
	v_dual_add_f32 v76, v76, v72 :: v_dual_mul_f32 v77, 0x3fb8aa3b, v77
	s_delay_alu instid0(VALU_DEP_1) | instskip(NEXT) | instid1(VALU_DEP_1)
	v_add_f32_e32 v76, v76, v71
	v_add_f32_e32 v67, v76, v84
	v_fma_f32 v76, s24, v126, -v65
	s_delay_alu instid0(VALU_DEP_1) | instskip(NEXT) | instid1(VALU_DEP_1)
	v_dual_add_f32 v67, v67, v83 :: v_dual_mul_f32 v76, 0x3fb8aa3b, v76
	v_add_f32_e32 v67, v67, v86
	s_delay_alu instid0(VALU_DEP_2)
	v_exp_f32_e32 v76, v76
	s_waitcnt_depctr 0xfff
	v_cndmask_b32_e64 v90, 0, v76, s11
	v_mul_f32_e32 v76, 0x3fb8aa3b, v79
	v_exp_f32_e32 v77, v77
	v_exp_f32_e32 v79, v80
	s_delay_alu instid0(VALU_DEP_1) | instskip(NEXT) | instid1(TRANS32_DEP_3)
	v_exp_f32_e32 v76, v76
	v_cndmask_b32_e64 v85, 0, v77, s8
	v_fma_f32 v77, s24, v128, -v65
	s_waitcnt_depctr 0xfff
	v_cndmask_b32_e64 v91, 0, v79, s16
	v_cndmask_b32_e64 v94, 0, v76, s17
	v_add_f32_e32 v67, v67, v85
	v_dual_mul_f32 v77, 0x3fb8aa3b, v77 :: v_dual_and_b32 v76, 31, v0
	s_delay_alu instid0(VALU_DEP_2) | instskip(NEXT) | instid1(VALU_DEP_2)
	v_add_f32_e32 v67, v67, v88
	v_exp_f32_e32 v77, v77
	s_delay_alu instid0(VALU_DEP_2) | instskip(NEXT) | instid1(VALU_DEP_2)
	v_cmp_lt_u32_e64 s2, 15, v76
	v_add_f32_e32 v67, v67, v87
	s_delay_alu instid0(VALU_DEP_1) | instskip(SKIP_4) | instid1(VALU_DEP_2)
	v_add_f32_e32 v67, v67, v90
	s_waitcnt_depctr 0xfff
	v_cndmask_b32_e64 v92, 0, v77, s13
	v_mul_f32_e32 v77, 0x3fb8aa3b, v78
	v_add_f32_e32 v67, v67, v89
	v_exp_f32_e32 v77, v77
	s_delay_alu instid0(VALU_DEP_1) | instskip(NEXT) | instid1(VALU_DEP_1)
	v_add_f32_e32 v67, v67, v92
	v_add_f32_e32 v67, v67, v91
	s_waitcnt_depctr 0xfff
	v_cndmask_b32_e64 v93, 0, v77, s18
	v_add_f32_e32 v67, v67, v94
	s_delay_alu instid0(VALU_DEP_1)
	v_add_f32_e32 v67, v67, v93
	ds_bpermute_b32 v68, v68, v67
	v_cmpx_gt_u32_e32 16, v76
	s_cbranch_execz .LBB1214_11
; %bb.10:
	v_mul_u32_u24_e32 v76, 0x44, v66
	s_waitcnt lgkmcnt(0)
	v_add_f32_e32 v67, v67, v68
	s_delay_alu instid0(VALU_DEP_2) | instskip(NEXT) | instid1(VALU_DEP_1)
	v_lshl_add_u32 v76, v73, 2, v76
	v_add_nc_u32_e32 v68, 0x4000, v76
	ds_store_2addr_b32 v68, v65, v67 offset1:136
.LBB1214_11:
	s_or_b32 exec_lo, exec_lo, s3
	v_lshlrev_b32_e32 v65, 2, v73
	s_load_b64 s[36:37], s[0:1], 0x94
	s_waitcnt lgkmcnt(0)
	s_barrier
	buffer_gl0_inv
	v_add_nc_u32_e32 v65, 0x4000, v65
	v_cmp_eq_u32_e32 vcc_lo, 1, v66
	v_cmp_eq_u32_e64 s3, 2, v66
	v_cmp_eq_u32_e64 s5, 3, v66
	;; [unrolled: 1-line block ×3, first 2 shown]
	ds_load_2addr_b32 v[76:77], v65 offset1:17
	ds_load_2addr_b32 v[78:79], v65 offset0:34 offset1:51
	ds_load_2addr_b32 v[80:81], v65 offset0:68 offset1:85
	;; [unrolled: 1-line block ×3, first 2 shown]
	v_cmp_eq_u32_e64 s7, 5, v66
	v_cmp_eq_u32_e64 s4, 6, v66
	s_waitcnt lgkmcnt(3)
	v_max3_f32 v67, v76, 0xff7fffff, v77
	s_waitcnt lgkmcnt(2)
	s_delay_alu instid0(VALU_DEP_1) | instskip(SKIP_1) | instid1(VALU_DEP_1)
	v_max3_f32 v67, v67, v78, v79
	s_waitcnt lgkmcnt(1)
	v_max3_f32 v67, v67, v80, v81
	s_waitcnt lgkmcnt(0)
	s_delay_alu instid0(VALU_DEP_1) | instskip(NEXT) | instid1(VALU_DEP_1)
	v_max3_f32 v67, v67, v95, v96
	v_sub_f32_e32 v82, v77, v67
	ds_load_2addr_b32 v[97:98], v65 offset0:136 offset1:153
	v_sub_f32_e32 v68, v76, v67
	ds_load_2addr_b32 v[76:77], v65 offset0:170 offset1:187
	v_sub_f32_e32 v80, v80, v67
	v_mul_f32_e32 v82, 0x3fb8aa3b, v82
	v_mul_f32_e32 v68, 0x3fb8aa3b, v68
	s_delay_alu instid0(VALU_DEP_3) | instskip(NEXT) | instid1(VALU_DEP_2)
	v_mul_f32_e32 v102, 0x3fb8aa3b, v80
	v_exp_f32_e32 v99, v68
	v_sub_f32_e32 v68, v79, v67
	s_delay_alu instid0(VALU_DEP_1) | instskip(NEXT) | instid1(VALU_DEP_1)
	v_dual_sub_f32 v78, v78, v67 :: v_dual_mul_f32 v101, 0x3fb8aa3b, v68
	v_mul_f32_e32 v100, 0x3fb8aa3b, v78
	ds_load_2addr_b32 v[78:79], v65 offset0:204 offset1:221
	s_waitcnt lgkmcnt(2)
	v_fma_f32 v68, v99, v97, 0
	v_sub_f32_e32 v97, v81, v67
	ds_load_2addr_b32 v[80:81], v65 offset0:238 offset1:255
	v_sub_f32_e32 v65, v95, v67
	v_exp_f32_e32 v82, v82
	v_exp_f32_e32 v101, v101
	v_mul_f32_e32 v95, 0x3fb8aa3b, v97
	v_exp_f32_e32 v97, v102
	v_mul_f32_e32 v65, 0x3fb8aa3b, v65
	v_exp_f32_e32 v100, v100
	s_waitcnt lgkmcnt(0)
	v_exp_f32_e32 v95, v95
	s_barrier
	buffer_gl0_inv
	v_fmac_f32_e32 v68, v82, v98
	s_delay_alu instid0(VALU_DEP_1) | instskip(SKIP_2) | instid1(VALU_DEP_2)
	v_fmac_f32_e32 v68, v100, v76
	v_sub_f32_e32 v76, v96, v67
	v_exp_f32_e32 v96, v65
	v_fmac_f32_e32 v68, v101, v77
	s_delay_alu instid0(VALU_DEP_2) | instskip(NEXT) | instid1(VALU_DEP_2)
	v_mul_f32_e32 v76, 0x3fb8aa3b, v76
	v_fmac_f32_e32 v68, v97, v78
	s_delay_alu instid0(VALU_DEP_2) | instskip(SKIP_1) | instid1(VALU_DEP_2)
	v_exp_f32_e32 v98, v76
	v_cndmask_b32_e32 v76, v99, v82, vcc_lo
	v_fmac_f32_e32 v68, v95, v79
	s_delay_alu instid0(TRANS32_DEP_2) | instid1(VALU_DEP_1)
	v_fmac_f32_e32 v68, v96, v80
	v_lshlrev_b32_e32 v80, 6, v73
	s_waitcnt_depctr 0xfff
	v_fmac_f32_e32 v68, v98, v81
	v_lshl_or_b32 v82, v66, 11, v80
	s_delay_alu instid0(VALU_DEP_2) | instskip(NEXT) | instid1(VALU_DEP_1)
	v_add_f32_e32 v81, 0x358637bd, v68
	v_div_scale_f32 v102, null, v81, v81, 1.0
	v_div_scale_f32 v99, vcc_lo, 1.0, v81, 1.0
	s_delay_alu instid0(VALU_DEP_2) | instskip(SKIP_2) | instid1(VALU_DEP_1)
	v_rcp_f32_e32 v103, v102
	s_waitcnt_depctr 0xfff
	v_fma_f32 v65, -v102, v103, 1.0
	v_fmac_f32_e32 v103, v65, v103
	v_cndmask_b32_e64 v65, v76, v100, s3
	v_cmp_eq_u32_e64 s3, 7, v66
	v_lshlrev_b32_e32 v76, 2, v75
	s_delay_alu instid0(VALU_DEP_4) | instskip(NEXT) | instid1(VALU_DEP_4)
	v_mul_f32_e32 v100, v99, v103
	v_cndmask_b32_e64 v77, v65, v101, s5
	v_mov_b32_e32 v65, 0
	s_delay_alu instid0(VALU_DEP_4)
	v_or_b32_e32 v79, 1, v76
	v_cmp_eq_u32_e64 s5, 1, v76
	v_fma_f32 v78, -v102, v100, v99
	v_cndmask_b32_e64 v97, v77, v97, s6
	v_or_b32_e32 v77, 2, v76
	v_cmp_eq_u32_e64 s9, 1, v79
	v_cmp_eq_u32_e64 s6, 2, v76
	v_fmac_f32_e32 v100, v78, v103
	v_cndmask_b32_e64 v66, v97, v95, s7
	v_or_b32_e32 v78, 3, v76
	v_cmp_eq_u32_e64 s10, 1, v77
	v_cmp_eq_u32_e64 s12, 2, v79
	v_fma_f32 v95, -v102, v100, v99
	v_cndmask_b32_e64 v66, v66, v96, s4
	v_cmp_eq_u32_e64 s11, 1, v78
	v_cmp_eq_u32_e64 s17, 2, v78
	;; [unrolled: 1-line block ×3, first 2 shown]
	v_div_fmas_f32 v95, v95, v103, v100
	v_cndmask_b32_e64 v66, v66, v98, s3
	v_cmp_eq_u32_e32 vcc_lo, 3, v76
	v_cmp_eq_u32_e64 s16, 2, v77
	v_cmp_eq_u32_e64 s19, 3, v78
	v_div_fixup_f32 v95, v95, v81, 1.0
	v_lshl_or_b32 v81, v75, 4, v82
	v_cmp_eq_u32_e64 s4, 4, v76
	v_cmp_eq_u32_e64 s18, 3, v77
	;; [unrolled: 1-line block ×3, first 2 shown]
	v_mul_f32_e32 v66, v66, v95
	v_cmp_eq_u32_e64 s23, 4, v78
	v_cmp_eq_u32_e64 s7, 5, v76
	;; [unrolled: 1-line block ×4, first 2 shown]
	v_fma_mixlo_f16 v95, v66, v70, 0
	v_fma_mixlo_f16 v96, v66, v72, 0
	;; [unrolled: 1-line block ×8, first 2 shown]
	v_fma_mixhi_f16 v95, v66, v69, 0
	v_fma_mixhi_f16 v96, v66, v71, 0
	;; [unrolled: 1-line block ×8, first 2 shown]
	ds_store_b128 v81, v[95:98]
	ds_store_b128 v81, v[99:102] offset:1024
	s_waitcnt lgkmcnt(0)
	s_barrier
	buffer_gl0_inv
	ds_load_b128 v[69:72], v82
	ds_load_b128 v[83:86], v82 offset:16
	ds_load_b128 v[87:90], v82 offset:1024
	;; [unrolled: 1-line block ×3, first 2 shown]
	v_cmp_eq_u32_e64 s25, 5, v78
	v_cmp_eq_u32_e64 s3, 6, v76
	v_cmp_eq_u32_e64 s24, 5, v77
	v_cmp_eq_u32_e64 s26, 6, v79
	v_cmp_eq_u32_e64 s28, 6, v78
	v_cmp_eq_u32_e64 s8, 7, v76
	v_cmp_eq_u32_e64 s27, 6, v77
	v_cmp_eq_u32_e64 s30, 7, v78
	v_cmp_eq_u32_e64 s31, 7, v79
	v_cmp_eq_u32_e64 s29, 7, v77
	s_waitcnt lgkmcnt(3)
	v_lshrrev_b32_e32 v66, 16, v69
	s_waitcnt lgkmcnt(2)
	v_lshrrev_b32_e32 v98, 16, v83
	;; [unrolled: 2-line block ×4, first 2 shown]
	v_lshrrev_b32_e32 v95, 16, v70
	v_cndmask_b32_e64 v110, v69, v66, s5
	v_cndmask_b32_e64 v111, v83, v98, s5
	;; [unrolled: 1-line block ×7, first 2 shown]
	v_lshrrev_b32_e32 v99, 16, v84
	v_cndmask_b32_e64 v115, v83, v98, s10
	v_cndmask_b32_e64 v83, v87, v102, s5
	;; [unrolled: 1-line block ×15, first 2 shown]
	v_lshrrev_b32_e32 v103, 16, v88
	v_lshrrev_b32_e32 v107, 16, v92
	v_cndmask_b32_e64 v112, v114, v70, s16
	v_cndmask_b32_e64 v113, v115, v84, s16
	;; [unrolled: 1-line block ×7, first 2 shown]
	v_cndmask_b32_e32 v88, v102, v95, vcc_lo
	v_cndmask_b32_e32 v102, v106, v99, vcc_lo
	v_cndmask_b32_e64 v106, v110, v95, s13
	v_cndmask_b32_e64 v110, v111, v99, s13
	;; [unrolled: 1-line block ×4, first 2 shown]
	v_lshrrev_b32_e32 v96, 16, v71
	v_lshrrev_b32_e32 v100, 16, v85
	v_cndmask_b32_e64 v111, v112, v95, s18
	v_cndmask_b32_e64 v112, v113, v99, s18
	v_cndmask_b32_e32 v70, v70, v103, vcc_lo
	v_cndmask_b32_e32 v83, v83, v107, vcc_lo
	v_cndmask_b32_e64 v84, v84, v103, s13
	v_cndmask_b32_e64 v88, v88, v71, s4
	;; [unrolled: 1-line block ×7, first 2 shown]
	v_lshrrev_b32_e32 v104, 16, v89
	v_lshrrev_b32_e32 v108, 16, v93
	v_cndmask_b32_e64 v106, v111, v71, s22
	v_cndmask_b32_e64 v110, v112, v85, s22
	v_cndmask_b32_e64 v70, v70, v89, s4
	v_cndmask_b32_e64 v71, v83, v93, s4
	v_cndmask_b32_e64 v83, v84, v89, s20
	v_cndmask_b32_e64 v84, v88, v96, s7
	v_cndmask_b32_e64 v85, v95, v100, s7
	v_cndmask_b32_e64 v88, v99, v96, s21
	v_cndmask_b32_e64 v95, v102, v100, s21
	v_cndmask_b32_e64 v66, v66, v96, s25
	v_cndmask_b32_e64 v69, v69, v100, s25
	v_lshrrev_b32_e32 v97, 16, v72
	v_lshrrev_b32_e32 v101, 16, v86
	v_cndmask_b32_e64 v99, v106, v96, s24
	v_cndmask_b32_e64 v102, v110, v100, s24
	;; [unrolled: 1-line block ×11, first 2 shown]
	v_lshrrev_b32_e32 v105, 16, v90
	v_cndmask_b32_e64 v96, v99, v72, s27
	v_cndmask_b32_e64 v99, v102, v86, s27
	;; [unrolled: 1-line block ×14, first 2 shown]
	v_perm_b32 v72, v69, v66, 0x5040100
	v_perm_b32 v70, v95, v85, 0x5040100
	v_cndmask_b32_e64 v66, v91, v92, s17
	v_cndmask_b32_e64 v69, v119, v92, s16
	;; [unrolled: 1-line block ×4, first 2 shown]
	v_perm_b32 v71, v96, v88, 0x5040100
	v_cndmask_b32_e64 v88, v98, v103, s18
	v_cndmask_b32_e64 v87, v87, v103, s19
	;; [unrolled: 1-line block ×15, first 2 shown]
	v_lshrrev_b32_e32 v109, 16, v94
	v_cndmask_b32_e64 v88, v88, v90, s27
	v_cndmask_b32_e64 v87, v87, v90, s28
	v_cndmask_b32_e64 v66, v66, v94, s28
	v_cndmask_b32_e64 v69, v69, v94, s27
	v_cndmask_b32_e64 v85, v85, v94, s26
	v_cndmask_b32_e64 v88, v88, v105, s29
	v_cndmask_b32_e64 v87, v87, v105, s30
	v_cndmask_b32_e64 v66, v66, v109, s30
	v_cndmask_b32_e64 v89, v69, v109, s29
	v_cndmask_b32_e64 v90, v85, v109, s31
	v_cndmask_b32_e64 v91, v86, v109, s8
	v_perm_b32 v69, v84, v83, 0x5040100
	v_perm_b32 v86, v66, v87, 0x5040100
	;; [unrolled: 1-line block ×5, first 2 shown]
	s_mov_b32 s3, exec_lo
	ds_store_b128 v81, v[69:72]
	ds_store_b128 v81, v[83:86] offset:1024
	v_cmpx_eq_u32_e32 0, v0
	s_cbranch_execz .LBB1214_13
; %bb.12:
	s_load_b128 s[4:7], s[0:1], 0x58
	s_mul_i32 s8, s37, s34
	s_delay_alu instid0(SALU_CYCLE_1) | instskip(NEXT) | instid1(SALU_CYCLE_1)
	s_add_i32 s8, s8, s15
	s_mul_i32 s8, s8, s36
	s_delay_alu instid0(SALU_CYCLE_1) | instskip(NEXT) | instid1(SALU_CYCLE_1)
	s_add_i32 s8, s8, s14
	s_ashr_i32 s9, s8, 31
	s_delay_alu instid0(SALU_CYCLE_1)
	s_lshl_b64 s[8:9], s[8:9], 2
	s_waitcnt lgkmcnt(0)
	s_add_u32 s6, s6, s8
	s_addc_u32 s7, s7, s9
	s_add_u32 s4, s4, s8
	s_addc_u32 s5, s5, s9
	s_clause 0x1
	global_store_b32 v65, v67, s[6:7]
	global_store_b32 v65, v68, s[4:5]
.LBB1214_13:
	s_or_b32 exec_lo, exec_lo, s3
	s_waitcnt lgkmcnt(0)
	s_waitcnt_vscnt null, 0x0
	s_barrier
	buffer_gl0_inv
	ds_load_b128 v[83:86], v80
	ds_load_b128 v[87:90], v80 offset:16
	ds_load_b128 v[95:98], v80 offset:2064
	;; [unrolled: 1-line block ×5, first 2 shown]
	v_mov_b32_e32 v66, v65
	v_mov_b32_e32 v67, v65
	;; [unrolled: 1-line block ×7, first 2 shown]
	ds_load_b128 v[111:114], v80 offset:6160
	ds_load_b128 v[107:110], v80 offset:6144
	;; [unrolled: 1-line block ×4, first 2 shown]
	v_cmp_eq_u32_e32 vcc_lo, 1, v76
	v_cmp_eq_u32_e64 s3, 1, v79
	v_cmp_eq_u32_e64 s4, 1, v78
	;; [unrolled: 1-line block ×5, first 2 shown]
	s_waitcnt lgkmcnt(8)
	v_wmma_f32_16x16x16_f16 v[65:72], v[49:56], v[83:90], v[65:72]
	ds_load_b128 v[53:56], v80 offset:10256
	ds_load_b128 v[49:52], v80 offset:10240
	s_waitcnt lgkmcnt(8)
	v_wmma_f32_16x16x16_f16 v[65:72], v[41:48], v[91:98], v[65:72]
	ds_load_b128 v[45:48], v80 offset:12304
	ds_load_b128 v[41:44], v80 offset:12288
	;; [unrolled: 4-line block ×3, first 2 shown]
	s_waitcnt lgkmcnt(0)
	s_barrier
	buffer_gl0_inv
	v_wmma_f32_16x16x16_f16 v[65:72], v[1:8], v[107:114], v[65:72]
	s_delay_alu instid0(VALU_DEP_1) | instskip(NEXT) | instid1(VALU_DEP_1)
	v_wmma_f32_16x16x16_f16 v[65:72], v[9:16], v[115:122], v[65:72]
	v_wmma_f32_16x16x16_f16 v[65:72], v[17:24], v[49:56], v[65:72]
	s_delay_alu instid0(VALU_DEP_1) | instskip(NEXT) | instid1(VALU_DEP_1)
	v_wmma_f32_16x16x16_f16 v[65:72], v[25:32], v[41:48], v[65:72]
	v_wmma_f32_16x16x16_f16 v[65:72], v[57:64], v[33:40], v[65:72]
	s_delay_alu instid0(VALU_DEP_1) | instskip(NEXT) | instid1(VALU_DEP_2)
	v_cvt_f16_f32_e32 v1, v65
	v_cvt_f16_f32_e32 v2, v66
	s_delay_alu instid0(VALU_DEP_3) | instskip(NEXT) | instid1(VALU_DEP_4)
	v_cvt_f16_f32_e32 v3, v67
	v_cvt_f16_f32_e32 v4, v68
	;; [unrolled: 1-line block ×6, first 2 shown]
	v_pack_b32_f16 v1, v1, v2
	v_pack_b32_f16 v2, v3, v4
	;; [unrolled: 1-line block ×3, first 2 shown]
	s_delay_alu instid0(VALU_DEP_4)
	v_pack_b32_f16 v4, v7, v8
	ds_store_b128 v81, v[1:4]
	s_waitcnt lgkmcnt(0)
	s_barrier
	buffer_gl0_inv
	ds_load_b128 v[1:4], v82
	ds_load_b128 v[5:8], v82 offset:16
	s_waitcnt lgkmcnt(1)
	v_lshrrev_b32_e32 v9, 16, v1
	s_waitcnt lgkmcnt(0)
	v_lshrrev_b32_e32 v13, 16, v5
	v_lshrrev_b32_e32 v16, 16, v8
	;; [unrolled: 1-line block ×4, first 2 shown]
	v_cndmask_b32_e32 v17, v1, v9, vcc_lo
	v_cndmask_b32_e32 v18, v5, v13, vcc_lo
	v_cmp_eq_u32_e32 vcc_lo, 1, v77
	v_cndmask_b32_e64 v19, v1, v9, s3
	v_cndmask_b32_e64 v20, v5, v13, s3
	v_cmp_eq_u32_e64 s3, 2, v77
	v_lshrrev_b32_e32 v11, 16, v3
	v_cndmask_b32_e32 v21, v1, v9, vcc_lo
	v_cndmask_b32_e32 v22, v5, v13, vcc_lo
	v_cndmask_b32_e64 v1, v1, v9, s4
	v_cmp_eq_u32_e32 vcc_lo, 2, v78
	v_cndmask_b32_e64 v5, v5, v13, s4
	v_cmp_eq_u32_e64 s4, 2, v79
	v_cndmask_b32_e64 v9, v17, v2, s5
	v_cndmask_b32_e64 v13, v18, v6, s5
	v_cmp_eq_u32_e64 s5, 3, v79
	v_cndmask_b32_e32 v1, v1, v2, vcc_lo
	v_cndmask_b32_e64 v17, v19, v2, s4
	v_cndmask_b32_e64 v18, v20, v6, s4
	;; [unrolled: 1-line block ×4, first 2 shown]
	v_cndmask_b32_e32 v2, v5, v6, vcc_lo
	v_cmp_eq_u32_e32 vcc_lo, 3, v77
	v_cmp_eq_u32_e64 s4, 3, v78
	v_cndmask_b32_e64 v5, v9, v10, s6
	v_cndmask_b32_e64 v6, v13, v14, s6
	;; [unrolled: 1-line block ×4, first 2 shown]
	v_cndmask_b32_e32 v17, v19, v10, vcc_lo
	v_cmp_eq_u32_e64 s3, 4, v77
	v_cndmask_b32_e32 v18, v20, v14, vcc_lo
	v_cndmask_b32_e64 v1, v1, v10, s4
	v_cmp_eq_u32_e32 vcc_lo, 4, v78
	v_cmp_eq_u32_e64 s5, 4, v76
	v_cndmask_b32_e64 v2, v2, v14, s4
	v_cmp_eq_u32_e64 s4, 4, v79
	v_lshrrev_b32_e32 v15, 16, v7
	v_cmp_eq_u32_e64 s6, 5, v76
	v_cndmask_b32_e64 v5, v5, v3, s5
	v_cndmask_b32_e64 v6, v6, v7, s5
	;; [unrolled: 1-line block ×6, first 2 shown]
	v_cmp_eq_u32_e64 s4, 5, v77
	v_cndmask_b32_e32 v1, v1, v3, vcc_lo
	v_cndmask_b32_e32 v2, v2, v7, vcc_lo
	v_cmp_eq_u32_e32 vcc_lo, 5, v78
	v_cmp_eq_u32_e64 s5, 5, v79
	v_cndmask_b32_e64 v5, v5, v11, s6
	v_cmp_eq_u32_e64 s3, 6, v76
	v_cndmask_b32_e64 v6, v6, v15, s6
	v_cndmask_b32_e64 v13, v13, v11, s4
	;; [unrolled: 1-line block ×3, first 2 shown]
	v_cndmask_b32_e32 v1, v1, v11, vcc_lo
	v_cmp_eq_u32_e64 s4, 6, v78
	v_cndmask_b32_e32 v2, v2, v15, vcc_lo
	v_cndmask_b32_e64 v9, v9, v11, s5
	v_cndmask_b32_e64 v10, v10, v15, s5
	v_cmp_eq_u32_e64 s5, 6, v79
	v_lshrrev_b32_e32 v12, 16, v4
	v_cndmask_b32_e64 v5, v5, v4, s3
	v_cndmask_b32_e64 v6, v6, v8, s3
	v_cmp_eq_u32_e64 s3, 7, v76
	v_cndmask_b32_e64 v1, v1, v4, s4
	v_cmp_eq_u32_e32 vcc_lo, 7, v78
	v_cndmask_b32_e64 v2, v2, v8, s4
	v_cndmask_b32_e64 v9, v9, v4, s5
	v_cmp_eq_u32_e64 s6, 7, v79
	v_cndmask_b32_e64 v7, v13, v4, s7
	v_cndmask_b32_e64 v3, v3, v8, s7
	v_cndmask_b32_e32 v2, v2, v16, vcc_lo
	v_cmp_eq_u32_e64 s4, 7, v77
	v_cndmask_b32_e64 v4, v10, v8, s5
	v_cndmask_b32_e64 v5, v5, v12, s3
	v_cndmask_b32_e32 v1, v1, v12, vcc_lo
	v_cndmask_b32_e64 v6, v6, v16, s3
	v_cmp_lt_u32_e32 vcc_lo, 31, v0
	v_cmp_lt_u32_e64 s3, 7, v73
	v_cndmask_b32_e64 v9, v9, v12, s6
	v_cndmask_b32_e64 v7, v7, v12, s4
	;; [unrolled: 1-line block ×4, first 2 shown]
	s_or_b32 s3, vcc_lo, s3
	v_perm_b32 v4, v2, v1, 0x5040100
	v_perm_b32 v1, v6, v5, 0x5040100
	;; [unrolled: 1-line block ×4, first 2 shown]
	s_or_b32 s2, s2, s3
	s_delay_alu instid0(SALU_CYCLE_1)
	s_xor_b32 s2, s2, -1
	ds_store_b128 v81, v[1:4]
	s_waitcnt lgkmcnt(0)
	s_barrier
	buffer_gl0_inv
	s_and_saveexec_b32 s3, s2
	s_cbranch_execz .LBB1214_2
; %bb.14:
	s_load_b64 s[0:1], s[0:1], 0x68
	v_lshlrev_b32_e32 v1, 10, v0
	v_and_b32_e32 v0, 1, v0
	v_lshlrev_b32_e32 v2, 6, v75
	s_lshl_b32 s4, s36, 6
	s_delay_alu instid0(VALU_DEP_3) | instskip(NEXT) | instid1(VALU_DEP_3)
	v_and_b32_e32 v1, 0x3800, v1
	v_lshlrev_b32_e32 v0, 4, v0
	s_mul_i32 s2, s4, s34
	s_delay_alu instid0(SALU_CYCLE_1) | instskip(NEXT) | instid1(VALU_DEP_1)
	s_mul_i32 s2, s2, s37
	v_or3_b32 v0, v1, v2, v0
	s_ashr_i32 s3, s2, 31
	s_delay_alu instid0(SALU_CYCLE_1)
	s_lshl_b64 s[2:3], s[2:3], 1
	ds_load_b128 v[0:3], v0
	s_waitcnt lgkmcnt(0)
	s_add_u32 s5, s0, s2
	s_addc_u32 s3, s1, s3
	s_lshl_b32 s0, s14, 6
	s_mul_i32 s2, s4, s15
	s_ashr_i32 s1, s0, 31
	s_delay_alu instid0(SALU_CYCLE_1) | instskip(NEXT) | instid1(SALU_CYCLE_1)
	s_lshl_b64 s[0:1], s[0:1], 1
	s_add_u32 s4, s5, s0
	s_addc_u32 s5, s3, s1
	s_ashr_i32 s3, s2, 31
	s_delay_alu instid0(SALU_CYCLE_1) | instskip(NEXT) | instid1(SALU_CYCLE_1)
	s_lshl_b64 s[0:1], s[2:3], 1
	s_add_u32 s0, s4, s0
	s_addc_u32 s1, s5, s1
	global_store_b128 v74, v[0:3], s[0:1]
	s_nop 0
	s_sendmsg sendmsg(MSG_DEALLOC_VGPRS)
	s_endpgm
	.section	.rodata,"a",@progbits
	.p2align	6, 0x0
	.amdhsa_kernel _Z39paged_attention_ll4mi_QKV_mfma16_kernelIDF16_hLN4vllm18Fp8KVCacheDataTypeE1EDF16_Li32ELi64ELi256ELb0ELi1EL8MFMAType0EEvPKT_PKT0_S8_ifPKiSA_SA_iPKfiiiPfSD_PS3_PT2_iSC_SC_
		.amdhsa_group_segment_fixed_size 17472
		.amdhsa_private_segment_fixed_size 0
		.amdhsa_kernarg_size 400
		.amdhsa_user_sgpr_count 13
		.amdhsa_user_sgpr_dispatch_ptr 0
		.amdhsa_user_sgpr_queue_ptr 0
		.amdhsa_user_sgpr_kernarg_segment_ptr 1
		.amdhsa_user_sgpr_dispatch_id 0
		.amdhsa_user_sgpr_private_segment_size 0
		.amdhsa_wavefront_size32 1
		.amdhsa_uses_dynamic_stack 0
		.amdhsa_enable_private_segment 0
		.amdhsa_system_sgpr_workgroup_id_x 1
		.amdhsa_system_sgpr_workgroup_id_y 1
		.amdhsa_system_sgpr_workgroup_id_z 1
		.amdhsa_system_sgpr_workgroup_info 0
		.amdhsa_system_vgpr_workitem_id 0
		.amdhsa_next_free_vgpr 144
		.amdhsa_next_free_sgpr 50
		.amdhsa_reserve_vcc 1
		.amdhsa_float_round_mode_32 0
		.amdhsa_float_round_mode_16_64 0
		.amdhsa_float_denorm_mode_32 3
		.amdhsa_float_denorm_mode_16_64 3
		.amdhsa_dx10_clamp 1
		.amdhsa_ieee_mode 1
		.amdhsa_fp16_overflow 0
		.amdhsa_workgroup_processor_mode 1
		.amdhsa_memory_ordered 1
		.amdhsa_forward_progress 0
		.amdhsa_shared_vgpr_count 0
		.amdhsa_exception_fp_ieee_invalid_op 0
		.amdhsa_exception_fp_denorm_src 0
		.amdhsa_exception_fp_ieee_div_zero 0
		.amdhsa_exception_fp_ieee_overflow 0
		.amdhsa_exception_fp_ieee_underflow 0
		.amdhsa_exception_fp_ieee_inexact 0
		.amdhsa_exception_int_div_zero 0
	.end_amdhsa_kernel
	.section	.text._Z39paged_attention_ll4mi_QKV_mfma16_kernelIDF16_hLN4vllm18Fp8KVCacheDataTypeE1EDF16_Li32ELi64ELi256ELb0ELi1EL8MFMAType0EEvPKT_PKT0_S8_ifPKiSA_SA_iPKfiiiPfSD_PS3_PT2_iSC_SC_,"axG",@progbits,_Z39paged_attention_ll4mi_QKV_mfma16_kernelIDF16_hLN4vllm18Fp8KVCacheDataTypeE1EDF16_Li32ELi64ELi256ELb0ELi1EL8MFMAType0EEvPKT_PKT0_S8_ifPKiSA_SA_iPKfiiiPfSD_PS3_PT2_iSC_SC_,comdat
.Lfunc_end1214:
	.size	_Z39paged_attention_ll4mi_QKV_mfma16_kernelIDF16_hLN4vllm18Fp8KVCacheDataTypeE1EDF16_Li32ELi64ELi256ELb0ELi1EL8MFMAType0EEvPKT_PKT0_S8_ifPKiSA_SA_iPKfiiiPfSD_PS3_PT2_iSC_SC_, .Lfunc_end1214-_Z39paged_attention_ll4mi_QKV_mfma16_kernelIDF16_hLN4vllm18Fp8KVCacheDataTypeE1EDF16_Li32ELi64ELi256ELb0ELi1EL8MFMAType0EEvPKT_PKT0_S8_ifPKiSA_SA_iPKfiiiPfSD_PS3_PT2_iSC_SC_
                                        ; -- End function
	.section	.AMDGPU.csdata,"",@progbits
; Kernel info:
; codeLenInByte = 6224
; NumSgprs: 52
; NumVgprs: 144
; ScratchSize: 0
; MemoryBound: 1
; FloatMode: 240
; IeeeMode: 1
; LDSByteSize: 17472 bytes/workgroup (compile time only)
; SGPRBlocks: 6
; VGPRBlocks: 17
; NumSGPRsForWavesPerEU: 52
; NumVGPRsForWavesPerEU: 144
; Occupancy: 10
; WaveLimiterHint : 1
; COMPUTE_PGM_RSRC2:SCRATCH_EN: 0
; COMPUTE_PGM_RSRC2:USER_SGPR: 13
; COMPUTE_PGM_RSRC2:TRAP_HANDLER: 0
; COMPUTE_PGM_RSRC2:TGID_X_EN: 1
; COMPUTE_PGM_RSRC2:TGID_Y_EN: 1
; COMPUTE_PGM_RSRC2:TGID_Z_EN: 1
; COMPUTE_PGM_RSRC2:TIDIG_COMP_CNT: 0
	.section	.text._Z39paged_attention_ll4mi_QKV_mfma16_kernelIDF16_hLN4vllm18Fp8KVCacheDataTypeE1EDF16_Li32ELi64ELi256ELb0ELi2EL8MFMAType0EEvPKT_PKT0_S8_ifPKiSA_SA_iPKfiiiPfSD_PS3_PT2_iSC_SC_,"axG",@progbits,_Z39paged_attention_ll4mi_QKV_mfma16_kernelIDF16_hLN4vllm18Fp8KVCacheDataTypeE1EDF16_Li32ELi64ELi256ELb0ELi2EL8MFMAType0EEvPKT_PKT0_S8_ifPKiSA_SA_iPKfiiiPfSD_PS3_PT2_iSC_SC_,comdat
	.protected	_Z39paged_attention_ll4mi_QKV_mfma16_kernelIDF16_hLN4vllm18Fp8KVCacheDataTypeE1EDF16_Li32ELi64ELi256ELb0ELi2EL8MFMAType0EEvPKT_PKT0_S8_ifPKiSA_SA_iPKfiiiPfSD_PS3_PT2_iSC_SC_ ; -- Begin function _Z39paged_attention_ll4mi_QKV_mfma16_kernelIDF16_hLN4vllm18Fp8KVCacheDataTypeE1EDF16_Li32ELi64ELi256ELb0ELi2EL8MFMAType0EEvPKT_PKT0_S8_ifPKiSA_SA_iPKfiiiPfSD_PS3_PT2_iSC_SC_
	.globl	_Z39paged_attention_ll4mi_QKV_mfma16_kernelIDF16_hLN4vllm18Fp8KVCacheDataTypeE1EDF16_Li32ELi64ELi256ELb0ELi2EL8MFMAType0EEvPKT_PKT0_S8_ifPKiSA_SA_iPKfiiiPfSD_PS3_PT2_iSC_SC_
	.p2align	8
	.type	_Z39paged_attention_ll4mi_QKV_mfma16_kernelIDF16_hLN4vllm18Fp8KVCacheDataTypeE1EDF16_Li32ELi64ELi256ELb0ELi2EL8MFMAType0EEvPKT_PKT0_S8_ifPKiSA_SA_iPKfiiiPfSD_PS3_PT2_iSC_SC_,@function
_Z39paged_attention_ll4mi_QKV_mfma16_kernelIDF16_hLN4vllm18Fp8KVCacheDataTypeE1EDF16_Li32ELi64ELi256ELb0ELi2EL8MFMAType0EEvPKT_PKT0_S8_ifPKiSA_SA_iPKfiiiPfSD_PS3_PT2_iSC_SC_: ; @_Z39paged_attention_ll4mi_QKV_mfma16_kernelIDF16_hLN4vllm18Fp8KVCacheDataTypeE1EDF16_Li32ELi64ELi256ELb0ELi2EL8MFMAType0EEvPKT_PKT0_S8_ifPKiSA_SA_iPKfiiiPfSD_PS3_PT2_iSC_SC_
; %bb.0:
	s_load_b64 s[2:3], s[0:1], 0x30
	s_mov_b32 s30, s13
	s_waitcnt lgkmcnt(0)
	s_cmp_lg_u64 s[2:3], 0
	s_cselect_b32 s6, -1, 0
	s_ashr_i32 s31, s13, 31
	s_cmp_eq_u64 s[2:3], 0
	s_cbranch_scc1 .LBB1215_3
; %bb.1:
	s_lshl_b64 s[4:5], s[30:31], 2
	s_delay_alu instid0(SALU_CYCLE_1) | instskip(SKIP_4) | instid1(SALU_CYCLE_1)
	s_add_u32 s4, s2, s4
	s_addc_u32 s5, s3, s5
	s_load_b64 s[4:5], s[4:5], 0x0
	s_waitcnt lgkmcnt(0)
	s_sub_i32 s4, s5, s4
	s_cmp_eq_u32 s4, 1
	s_cselect_b32 s4, -1, 0
	s_delay_alu instid0(SALU_CYCLE_1)
	s_and_not1_b32 vcc_lo, exec_lo, s4
	s_cbranch_vccz .LBB1215_4
.LBB1215_2:
	s_endpgm
.LBB1215_3:
.LBB1215_4:
	s_load_b64 s[8:9], s[0:1], 0x28
	s_lshl_b64 s[4:5], s[30:31], 2
	s_waitcnt lgkmcnt(0)
	s_add_u32 s8, s8, s4
	s_addc_u32 s9, s9, s5
	s_lshl_b32 s16, s14, 8
	s_load_b32 s17, s[8:9], 0x0
	s_waitcnt lgkmcnt(0)
	s_cmp_ge_i32 s16, s17
	s_cbranch_scc1 .LBB1215_2
; %bb.5:
	s_clause 0x1
	s_load_b128 s[8:11], s[0:1], 0x8
	s_load_b64 s[12:13], s[0:1], 0x20
	s_and_not1_b32 vcc_lo, exec_lo, s6
	s_cbranch_vccnz .LBB1215_7
; %bb.6:
	s_add_u32 s2, s2, s4
	s_addc_u32 s3, s3, s5
	s_load_b32 s3, s[2:3], 0x0
	s_branch .LBB1215_8
.LBB1215_7:
	s_mov_b32 s3, s30
.LBB1215_8:
	s_load_b128 s[4:7], s[0:1], 0x48
	v_and_b32_e32 v70, 15, v0
	v_bfe_u32 v69, v0, 4, 1
	s_lshl_b32 s33, s15, 1
	v_cmp_gt_u32_e32 vcc_lo, 32, v0
	v_and_b32_e32 v71, 31, v0
	v_lshlrev_b32_e32 v1, 3, v70
	v_cmp_gt_u32_e64 s2, 8, v70
	v_and_b32_e32 v68, 1, v0
	v_or_b32_e32 v67, s33, v69
	v_lshlrev_b32_e32 v66, 6, v69
	v_lshlrev_b32_e32 v65, 1, v1
	s_and_b32 s31, vcc_lo, s2
	s_delay_alu instid0(SALU_CYCLE_1)
	s_and_saveexec_b32 s2, s31
	s_cbranch_execz .LBB1215_10
; %bb.9:
	s_load_b64 s[18:19], s[0:1], 0x0
	v_lshlrev_b32_e32 v1, 6, v67
	s_waitcnt lgkmcnt(0)
	s_mul_hi_i32 s21, s3, s4
	s_mul_i32 s20, s3, s4
	v_lshlrev_b32_e32 v5, 10, v70
	s_lshl_b64 s[20:21], s[20:21], 1
	v_ashrrev_i32_e32 v2, 31, v1
	v_lshlrev_b32_e32 v6, 10, v68
	s_delay_alu instid0(VALU_DEP_3) | instskip(NEXT) | instid1(VALU_DEP_3)
	v_and_b32_e32 v5, 0x3800, v5
	v_lshlrev_b64 v[1:2], 1, v[1:2]
	s_delay_alu instid0(VALU_DEP_2) | instskip(SKIP_2) | instid1(VALU_DEP_2)
	v_or3_b32 v5, v5, v6, v66
	s_add_u32 s3, s18, s20
	s_addc_u32 s4, s19, s21
	v_add_co_u32 v1, vcc_lo, s3, v1
	s_delay_alu instid0(VALU_DEP_3) | instskip(NEXT) | instid1(VALU_DEP_2)
	v_add_co_ci_u32_e32 v2, vcc_lo, s4, v2, vcc_lo
	v_add_co_u32 v1, vcc_lo, v1, v65
	s_delay_alu instid0(VALU_DEP_2)
	v_add_co_ci_u32_e32 v2, vcc_lo, 0, v2, vcc_lo
	global_load_b128 v[1:4], v[1:2], off
	s_waitcnt vmcnt(0)
	ds_store_b128 v5, v[1:4]
.LBB1215_10:
	s_or_b32 exec_lo, exec_lo, s2
	v_and_b32_e32 v1, 0xef, v0
	s_add_i32 s2, s17, 31
	s_waitcnt lgkmcnt(0)
	s_clause 0x1
	s_load_b32 s3, s[0:1], 0x38
	s_load_b32 s34, s[0:1], 0x98
	s_ashr_i32 s4, s2, 31
	v_add_nc_u32_e32 v1, s16, v1
	s_lshr_b32 s4, s4, 27
	s_load_b32 s18, s[0:1], 0x1c
	s_add_i32 s2, s2, s4
	s_waitcnt lgkmcnt(0)
	v_ashrrev_i32_e32 v2, 31, v1
	v_or_b32_e32 v3, 16, v1
	s_ashr_i32 s2, s2, 5
	v_cmp_gt_i32_e32 vcc_lo, s17, v1
	s_add_i32 s2, s2, -1
	v_lshrrev_b32_e32 v2, 27, v2
	s_barrier
	buffer_gl0_inv
	s_mul_i32 s15, s15, s6
	v_lshrrev_b32_e32 v72, 5, v0
	v_add_nc_u32_e32 v4, v1, v2
	v_mbcnt_lo_u32_b32 v129, -1, 0
	s_mul_i32 s20, s30, s3
	v_and_b32_e32 v105, 0xe0, v0
	s_ashr_i32 s21, s20, 31
	v_ashrrev_i32_e32 v4, 5, v4
	v_add_nc_u32_e32 v2, v3, v2
	s_lshl_b64 s[20:21], s[20:21], 2
	v_xor_b32_e32 v130, 16, v129
	s_add_u32 s19, s12, s20
	v_cndmask_b32_e32 v1, s2, v4, vcc_lo
	v_ashrrev_i32_e32 v2, 5, v2
	v_cmp_gt_i32_e32 vcc_lo, s17, v3
	s_addc_u32 s12, s13, s21
	s_ashr_i32 s13, s15, 31
	s_add_u32 s20, s8, s15
	s_addc_u32 s21, s9, s13
	v_cndmask_b32_e32 v3, s2, v2, vcc_lo
	v_ashrrev_i32_e32 v2, 31, v1
	s_lshl_b32 s6, s14, 3
	v_add_nc_u32_e32 v121, s16, v105
	s_ashr_i32 s7, s6, 31
	v_ashrrev_i32_e32 v4, 31, v3
	v_lshlrev_b64 v[1:2], 2, v[1:2]
	s_lshl_b64 s[6:7], s[6:7], 2
	v_or_b32_e32 v137, v121, v69
	s_add_u32 s6, s19, s6
	v_lshlrev_b64 v[3:4], 2, v[3:4]
	s_addc_u32 s7, s12, s7
	v_add_co_u32 v1, vcc_lo, s19, v1
	v_add_co_ci_u32_e32 v2, vcc_lo, s12, v2, vcc_lo
	s_delay_alu instid0(VALU_DEP_3) | instskip(NEXT) | instid1(VALU_DEP_4)
	v_add_co_u32 v3, vcc_lo, s19, v3
	v_add_co_ci_u32_e32 v4, vcc_lo, s12, v4, vcc_lo
	s_clause 0x1
	global_load_b32 v5, v[1:2], off
	global_load_b32 v6, v[3:4], off
	s_or_b32 s3, s16, 32
	v_or_b32_e32 v139, 2, v137
	s_ashr_i32 s4, s3, 5
	s_cmp_lt_i32 s3, s17
	v_or_b32_e32 v140, 4, v137
	s_cselect_b32 s8, s4, s2
	v_or_b32_e32 v141, 6, v137
	s_ashr_i32 s9, s8, 31
	v_or_b32_e32 v142, 8, v137
	s_lshl_b64 s[8:9], s[8:9], 2
	v_or_b32_e32 v143, 10, v137
	s_add_u32 s22, s19, s8
	s_addc_u32 s23, s12, s9
	s_or_b32 s3, s16, 64
	v_or_b32_e32 v144, 12, v137
	s_ashr_i32 s4, s3, 5
	s_cmp_lt_i32 s3, s17
	v_or_b32_e32 v145, 14, v137
	s_cselect_b32 s8, s4, s2
	v_or_b32_e32 v146, 16, v137
	s_ashr_i32 s9, s8, 31
	v_or_b32_e32 v147, 18, v137
	s_lshl_b64 s[8:9], s[8:9], 2
	s_delay_alu instid0(SALU_CYCLE_1) | instskip(SKIP_2) | instid1(SALU_CYCLE_1)
	s_add_u32 s24, s19, s8
	s_addc_u32 s25, s12, s9
	s_or_b32 s3, s16, 0x60
	s_ashr_i32 s4, s3, 5
	s_cmp_lt_i32 s3, s17
	s_cselect_b32 s8, s4, s2
	s_delay_alu instid0(SALU_CYCLE_1) | instskip(NEXT) | instid1(SALU_CYCLE_1)
	s_ashr_i32 s9, s8, 31
	s_lshl_b64 s[8:9], s[8:9], 2
	s_delay_alu instid0(SALU_CYCLE_1) | instskip(SKIP_2) | instid1(SALU_CYCLE_1)
	s_add_u32 s26, s19, s8
	s_addc_u32 s27, s12, s9
	s_or_b32 s3, s16, 0x80
	s_ashr_i32 s4, s3, 5
	s_cmp_lt_i32 s3, s17
	s_cselect_b32 s8, s4, s2
	s_delay_alu instid0(SALU_CYCLE_1) | instskip(NEXT) | instid1(SALU_CYCLE_1)
	s_ashr_i32 s9, s8, 31
	;; [unrolled: 10-line block ×3, first 2 shown]
	s_lshl_b64 s[8:9], s[8:9], 2
	s_delay_alu instid0(SALU_CYCLE_1)
	s_add_u32 s36, s19, s8
	s_addc_u32 s37, s12, s9
	s_clause 0x5
	s_load_b32 s9, s[6:7], 0x0
	s_load_b32 s3, s[22:23], 0x0
	;; [unrolled: 1-line block ×6, first 2 shown]
	s_waitcnt vmcnt(1)
	v_mad_i64_i32 v[1:2], null, v5, s5, s[20:21]
	v_lshlrev_b32_e32 v5, 4, v70
	s_waitcnt vmcnt(0)
	v_mad_i64_i32 v[3:4], null, v6, s5, s[20:21]
	s_or_b32 s20, s16, 0xc0
	s_delay_alu instid0(SALU_CYCLE_1) | instskip(NEXT) | instid1(VALU_DEP_3)
	s_ashr_i32 s21, s20, 5
	v_add_co_u32 v1, vcc_lo, v1, v5
	s_delay_alu instid0(VALU_DEP_4) | instskip(NEXT) | instid1(VALU_DEP_3)
	v_add_co_ci_u32_e32 v2, vcc_lo, 0, v2, vcc_lo
	v_add_co_u32 v3, vcc_lo, v3, v5
	s_delay_alu instid0(VALU_DEP_4)
	v_add_co_ci_u32_e32 v4, vcc_lo, 0, v4, vcc_lo
	s_clause 0x7
	global_load_b128 v[73:76], v[1:2], off
	global_load_b128 v[77:80], v[1:2], off offset:512
	global_load_b128 v[81:84], v[3:4], off offset:256
	;; [unrolled: 1-line block ×7, first 2 shown]
	s_cmp_lt_i32 s20, s17
	v_lshlrev_b32_e32 v1, 5, v70
	s_cselect_b32 s20, s21, s2
	v_cmp_gt_i32_e32 vcc_lo, 32, v130
	s_ashr_i32 s21, s20, 31
	v_lshlrev_b32_e32 v117, 6, v68
	s_lshl_b64 s[20:21], s[20:21], 2
	v_lshl_or_b32 v1, v72, 9, v1
	v_cndmask_b32_e32 v138, v129, v130, vcc_lo
	s_add_u32 s20, s19, s20
	s_addc_u32 s21, s12, s21
	s_or_b32 s22, s16, 0xe0
	v_cmp_gt_i32_e32 vcc_lo, s17, v137
	s_ashr_i32 s23, s22, 5
	s_cmp_lt_i32 s22, s17
	s_cselect_b32 s22, s23, s2
	s_load_b32 s2, s[20:21], 0x0
	s_ashr_i32 s23, s22, 31
	s_delay_alu instid0(SALU_CYCLE_1) | instskip(NEXT) | instid1(SALU_CYCLE_1)
	s_lshl_b64 s[22:23], s[22:23], 2
	s_add_u32 s20, s19, s22
	s_addc_u32 s21, s12, s23
	s_add_u32 s10, s10, s15
	s_addc_u32 s11, s11, s13
	v_add_co_u32 v1, s10, s10, v1
	s_delay_alu instid0(VALU_DEP_1) | instskip(SKIP_2) | instid1(VALU_DEP_1)
	v_add_co_ci_u32_e64 v2, null, s11, 0, s10
	s_load_b32 s10, s[20:21], 0x0
	s_waitcnt lgkmcnt(0)
	v_mad_i64_i32 v[3:4], null, s9, s5, v[1:2]
	v_mad_i64_i32 v[9:10], null, s6, s5, v[1:2]
	;; [unrolled: 1-line block ×7, first 2 shown]
	s_clause 0x5
	global_load_b128 v[49:52], v[3:4], off
	global_load_b128 v[53:56], v[3:4], off offset:16
	global_load_b128 v[41:44], v[5:6], off
	global_load_b128 v[45:48], v[5:6], off offset:16
	;; [unrolled: 2-line block ×3, first 2 shown]
	s_mov_b32 s4, 0
	v_cmp_gt_i32_e64 s2, s17, v139
	v_mad_i64_i32 v[61:62], null, s10, s5, v[1:2]
	s_clause 0x9
	global_load_b128 v[1:4], v[9:10], off
	global_load_b128 v[5:8], v[9:10], off offset:16
	global_load_b128 v[9:12], v[13:14], off
	global_load_b128 v[13:16], v[13:14], off offset:16
	global_load_b128 v[17:20], v[21:22], off
	global_load_b128 v[21:24], v[21:22], off offset:16
	global_load_b128 v[25:28], v[29:30], off
	global_load_b128 v[29:32], v[29:30], off offset:16
	global_load_b128 v[57:60], v[61:62], off
	global_load_b128 v[61:64], v[61:62], off offset:16
	ds_load_b128 v[105:108], v117
	ds_load_b128 v[109:112], v117 offset:1024
	ds_load_b128 v[113:116], v117 offset:2048
	;; [unrolled: 1-line block ×3, first 2 shown]
	s_mov_b32 s11, s4
	s_mov_b32 s5, s4
	;; [unrolled: 1-line block ×7, first 2 shown]
	s_delay_alu instid0(SALU_CYCLE_1)
	v_dual_mov_b32 v128, s11 :: v_dual_mov_b32 v127, s10
	v_dual_mov_b32 v126, s9 :: v_dual_mov_b32 v125, s8
	;; [unrolled: 1-line block ×4, first 2 shown]
	v_cmp_gt_i32_e64 s3, s17, v140
	v_cmp_gt_i32_e64 s4, s17, v141
	;; [unrolled: 1-line block ×8, first 2 shown]
	s_waitcnt vmcnt(0) lgkmcnt(0)
	s_barrier
	buffer_gl0_inv
	v_wmma_f32_16x16x16_f16 v[129:136], v[73:80], v[105:112], v[121:128]
	v_wmma_f32_16x16x16_f16 v[121:128], v[81:88], v[105:112], v[121:128]
	v_or_b32_e32 v73, 20, v137
	v_or_b32_e32 v74, 22, v137
	s_delay_alu instid0(VALU_DEP_4)
	v_wmma_f32_16x16x16_f16 v[129:136], v[89:96], v[113:120], v[129:136]
	v_or_b32_e32 v75, 24, v137
	v_wmma_f32_16x16x16_f16 v[121:128], v[97:104], v[113:120], v[121:128]
	v_or_b32_e32 v76, 26, v137
	v_cmp_gt_i32_e64 s11, s17, v73
	v_dual_mul_f32 v85, s18, v130 :: v_dual_mul_f32 v86, s18, v129
	s_delay_alu instid0(VALU_DEP_4) | instskip(SKIP_1) | instid1(VALU_DEP_3)
	v_dual_mul_f32 v83, s18, v132 :: v_dual_mul_f32 v94, s18, v121
	v_mul_f32_e32 v84, s18, v131
	v_cndmask_b32_e64 v85, 0xff7fffff, v85, s2
	s_delay_alu instid0(VALU_DEP_4)
	v_cndmask_b32_e32 v86, 0xff7fffff, v86, vcc_lo
	v_dual_mul_f32 v81, s18, v134 :: v_dual_mul_f32 v92, s18, v123
	v_mul_f32_e32 v82, s18, v133
	v_cndmask_b32_e64 v84, 0xff7fffff, v84, s3
	v_cndmask_b32_e64 v83, 0xff7fffff, v83, s4
	v_max3_f32 v85, v86, 0xff7fffff, v85
	v_dual_mul_f32 v79, s18, v136 :: v_dual_mul_f32 v90, s18, v125
	v_mul_f32_e32 v80, s18, v135
	v_cndmask_b32_e64 v82, 0xff7fffff, v82, s5
	v_cndmask_b32_e64 v81, 0xff7fffff, v81, s6
	v_max3_f32 v83, v85, v84, v83
	v_mul_f32_e32 v93, s18, v122
	v_cndmask_b32_e64 v80, 0xff7fffff, v80, s7
	v_cndmask_b32_e64 v79, 0xff7fffff, v79, s8
	v_mul_f32_e32 v91, s18, v124
	v_max3_f32 v81, v83, v82, v81
	v_cndmask_b32_e64 v82, 0xff7fffff, v94, s9
	v_cndmask_b32_e64 v83, 0xff7fffff, v93, s10
	v_cmp_gt_i32_e64 s12, s17, v74
	v_or_b32_e32 v77, 28, v137
	v_max3_f32 v79, v81, v80, v79
	v_or_b32_e32 v78, 30, v137
	v_mul_f32_e32 v89, s18, v126
	v_cndmask_b32_e64 v73, 0xff7fffff, v92, s11
	v_cndmask_b32_e64 v74, 0xff7fffff, v91, s12
	v_max3_f32 v79, v79, v82, v83
	v_cmp_gt_i32_e64 s13, s17, v75
	v_cmp_gt_i32_e64 s15, s17, v76
	v_dual_mul_f32 v87, s18, v128 :: v_dual_mul_f32 v88, s18, v127
	s_delay_alu instid0(VALU_DEP_4) | instskip(NEXT) | instid1(VALU_DEP_4)
	v_max3_f32 v73, v79, v73, v74
	v_cndmask_b32_e64 v75, 0xff7fffff, v90, s13
	s_delay_alu instid0(VALU_DEP_4) | instskip(SKIP_2) | instid1(VALU_DEP_3)
	v_cndmask_b32_e64 v76, 0xff7fffff, v89, s15
	v_cmp_gt_i32_e64 s16, s17, v77
	v_cmp_gt_i32_e64 s17, s17, v78
	v_max3_f32 v73, v73, v75, v76
	s_delay_alu instid0(VALU_DEP_3) | instskip(NEXT) | instid1(VALU_DEP_3)
	v_cndmask_b32_e64 v74, 0xff7fffff, v88, s16
	v_cndmask_b32_e64 v77, 0xff7fffff, v87, s17
	v_lshlrev_b32_e32 v75, 2, v138
	s_delay_alu instid0(VALU_DEP_2) | instskip(SKIP_3) | instid1(VALU_DEP_1)
	v_max3_f32 v73, v73, v74, v77
	ds_bpermute_b32 v74, v75, v73
	s_waitcnt lgkmcnt(0)
	v_max_f32_e32 v74, v74, v74
	v_max_f32_e32 v73, v73, v74
	s_delay_alu instid0(VALU_DEP_1)
	v_fma_f32 v74, s18, v129, -v73
	v_fma_f32 v76, s18, v130, -v73
	;; [unrolled: 1-line block ×5, first 2 shown]
	v_mul_f32_e32 v74, 0x3fb8aa3b, v74
	s_delay_alu instid0(VALU_DEP_4) | instskip(NEXT) | instid1(VALU_DEP_4)
	v_dual_mul_f32 v76, 0x3fb8aa3b, v76 :: v_dual_mul_f32 v77, 0x3fb8aa3b, v77
	v_mul_f32_e32 v78, 0x3fb8aa3b, v78
	s_delay_alu instid0(VALU_DEP_4) | instskip(NEXT) | instid1(VALU_DEP_4)
	v_mul_f32_e32 v80, 0x3fb8aa3b, v80
	v_exp_f32_e32 v74, v74
	s_delay_alu instid0(VALU_DEP_3) | instskip(SKIP_4) | instid1(VALU_DEP_1)
	v_exp_f32_e32 v76, v76
	v_exp_f32_e32 v77, v77
	;; [unrolled: 1-line block ×3, first 2 shown]
	v_fma_f32 v83, s18, v135, -v73
	v_exp_f32_e32 v84, v80
	v_mul_f32_e32 v83, 0x3fb8aa3b, v83
	v_cndmask_b32_e32 v79, 0, v74, vcc_lo
	v_fma_f32 v74, s18, v134, -v73
	v_cndmask_b32_e64 v78, 0, v76, s2
	s_delay_alu instid0(TRANS32_DEP_3) | instskip(NEXT) | instid1(TRANS32_DEP_2)
	v_cndmask_b32_e64 v81, 0, v77, s3
	v_cndmask_b32_e64 v80, 0, v82, s4
	v_add_f32_e32 v76, 0, v79
	v_mul_f32_e32 v74, 0x3fb8aa3b, v74
	v_fma_f32 v82, s18, v121, -v73
	v_exp_f32_e32 v85, v83
	v_cndmask_b32_e64 v83, 0, v84, s5
	v_add_f32_e32 v76, v76, v78
	v_exp_f32_e32 v74, v74
	v_mul_f32_e32 v86, 0x3fb8aa3b, v82
	s_mov_b32 s2, exec_lo
	s_delay_alu instid0(VALU_DEP_2) | instskip(SKIP_4) | instid1(VALU_DEP_2)
	v_add_f32_e32 v76, v76, v81
	s_waitcnt_depctr 0xfff
	v_cndmask_b32_e64 v85, 0, v85, s7
	v_add_f32_e32 v76, v76, v80
	v_cndmask_b32_e64 v82, 0, v74, s6
	v_add_f32_e32 v74, v76, v83
	v_fma_f32 v77, s18, v136, -v73
	v_fma_f32 v84, s18, v122, -v73
	;; [unrolled: 1-line block ×5, first 2 shown]
	s_delay_alu instid0(VALU_DEP_4) | instskip(NEXT) | instid1(VALU_DEP_3)
	v_dual_mul_f32 v77, 0x3fb8aa3b, v77 :: v_dual_mul_f32 v84, 0x3fb8aa3b, v84
	v_dual_mul_f32 v76, 0x3fb8aa3b, v76 :: v_dual_mul_f32 v89, 0x3fb8aa3b, v87
	v_exp_f32_e32 v86, v86
	s_delay_alu instid0(VALU_DEP_2) | instskip(NEXT) | instid1(VALU_DEP_2)
	v_exp_f32_e32 v77, v77
	v_exp_f32_e32 v88, v84
	s_delay_alu instid0(VALU_DEP_1)
	v_exp_f32_e32 v76, v76
	v_exp_f32_e32 v91, v89
	v_fma_f32 v90, s18, v126, -v73
	v_cndmask_b32_e64 v87, 0, v86, s9
	v_cndmask_b32_e64 v84, 0, v77, s8
	v_fma_f32 v77, s18, v125, -v73
	v_add_f32_e32 v74, v74, v82
	s_delay_alu instid0(TRANS32_DEP_3) | instskip(SKIP_1) | instid1(TRANS32_DEP_2)
	v_cndmask_b32_e64 v86, 0, v88, s10
	v_fma_f32 v88, s18, v127, -v73
	v_cndmask_b32_e64 v89, 0, v76, s11
	v_mul_f32_e32 v77, 0x3fb8aa3b, v77
	v_add_f32_e32 v74, v74, v85
	v_mul_f32_e32 v90, 0x3fb8aa3b, v90
	v_mul_f32_e32 v76, 0x3fb8aa3b, v88
	v_cndmask_b32_e64 v88, 0, v91, s12
	v_exp_f32_e32 v77, v77
	s_delay_alu instid0(VALU_DEP_3) | instskip(NEXT) | instid1(VALU_DEP_2)
	v_exp_f32_e32 v90, v90
	v_exp_f32_e32 v76, v76
	s_delay_alu instid0(TRANS32_DEP_3)
	v_cndmask_b32_e64 v91, 0, v77, s13
	v_mul_f32_e32 v77, 0x3fb8aa3b, v92
	v_add_f32_e32 v74, v74, v84
	s_waitcnt_depctr 0xfff
	v_cndmask_b32_e64 v90, 0, v90, s15
	v_cndmask_b32_e64 v93, 0, v76, s16
	v_exp_f32_e32 v77, v77
	v_add_f32_e32 v74, v74, v87
	s_delay_alu instid0(VALU_DEP_1) | instskip(SKIP_3) | instid1(VALU_DEP_1)
	v_add_f32_e32 v74, v74, v86
	s_waitcnt_depctr 0xfff
	v_cndmask_b32_e64 v92, 0, v77, s17
	v_add_f32_e32 v74, v74, v89
	v_add_f32_e32 v74, v74, v88
	s_delay_alu instid0(VALU_DEP_1) | instskip(NEXT) | instid1(VALU_DEP_1)
	v_add_f32_e32 v74, v74, v91
	v_add_f32_e32 v74, v74, v90
	s_delay_alu instid0(VALU_DEP_1) | instskip(NEXT) | instid1(VALU_DEP_1)
	v_add_f32_e32 v74, v74, v93
	v_add_f32_e32 v74, v74, v92
	ds_bpermute_b32 v75, v75, v74
	v_cmpx_gt_u32_e32 16, v71
	s_cbranch_execz .LBB1215_12
; %bb.11:
	v_mul_u32_u24_e32 v71, 0x44, v72
	s_waitcnt lgkmcnt(0)
	v_add_f32_e32 v74, v74, v75
	s_delay_alu instid0(VALU_DEP_2) | instskip(NEXT) | instid1(VALU_DEP_1)
	v_lshl_add_u32 v71, v70, 2, v71
	v_add_nc_u32_e32 v71, 0x4000, v71
	ds_store_2addr_b32 v71, v73, v74 offset1:136
.LBB1215_12:
	s_or_b32 exec_lo, exec_lo, s2
	v_lshlrev_b32_e32 v71, 2, v70
	s_load_b32 s35, s[0:1], 0x94
	s_waitcnt lgkmcnt(0)
	s_barrier
	buffer_gl0_inv
	v_add_nc_u32_e32 v71, 0x4000, v71
	v_cmp_eq_u32_e32 vcc_lo, 1, v72
	v_cmp_eq_u32_e64 s2, 2, v72
	v_cmp_eq_u32_e64 s3, 3, v72
	;; [unrolled: 1-line block ×3, first 2 shown]
	ds_load_2addr_b32 v[73:74], v71 offset1:17
	ds_load_2addr_b32 v[94:95], v71 offset0:34 offset1:51
	ds_load_2addr_b32 v[96:97], v71 offset0:68 offset1:85
	;; [unrolled: 1-line block ×3, first 2 shown]
	v_cmp_eq_u32_e64 s5, 5, v72
	v_cmp_eq_u32_e64 s6, 7, v72
	s_waitcnt lgkmcnt(3)
	v_max3_f32 v75, v73, 0xff7fffff, v74
	s_waitcnt lgkmcnt(2)
	s_delay_alu instid0(VALU_DEP_1) | instskip(SKIP_1) | instid1(VALU_DEP_1)
	v_max3_f32 v75, v75, v94, v95
	s_waitcnt lgkmcnt(1)
	v_max3_f32 v75, v75, v96, v97
	s_waitcnt lgkmcnt(0)
	s_delay_alu instid0(VALU_DEP_1) | instskip(NEXT) | instid1(VALU_DEP_1)
	v_max3_f32 v76, v75, v98, v99
	v_sub_f32_e32 v96, v96, v76
	ds_load_2addr_b32 v[100:101], v71 offset0:136 offset1:153
	v_sub_f32_e32 v73, v73, v76
	v_sub_f32_e32 v75, v74, v76
	;; [unrolled: 1-line block ×3, first 2 shown]
	v_mul_f32_e32 v105, 0x3fb8aa3b, v96
	s_delay_alu instid0(VALU_DEP_4)
	v_mul_f32_e32 v77, 0x3fb8aa3b, v73
	ds_load_2addr_b32 v[73:74], v71 offset0:170 offset1:187
	v_mul_f32_e32 v103, 0x3fb8aa3b, v94
	v_exp_f32_e32 v102, v77
	v_sub_f32_e32 v77, v95, v76
	ds_load_2addr_b32 v[94:95], v71 offset0:204 offset1:221
	v_exp_f32_e32 v103, v103
	v_mul_f32_e32 v104, 0x3fb8aa3b, v77
	s_waitcnt lgkmcnt(2)
	v_fma_f32 v77, v102, v100, 0
	v_dual_sub_f32 v100, v97, v76 :: v_dual_mul_f32 v75, 0x3fb8aa3b, v75
	ds_load_2addr_b32 v[96:97], v71 offset0:238 offset1:255
	v_sub_f32_e32 v71, v98, v76
	v_exp_f32_e32 v104, v104
	v_mul_f32_e32 v98, 0x3fb8aa3b, v100
	v_exp_f32_e32 v75, v75
	v_exp_f32_e32 v100, v105
	v_mul_f32_e32 v71, 0x3fb8aa3b, v71
	s_waitcnt lgkmcnt(0)
	v_exp_f32_e32 v98, v98
	s_barrier
	buffer_gl0_inv
	v_fmac_f32_e32 v77, v75, v101
	s_delay_alu instid0(VALU_DEP_1) | instskip(SKIP_2) | instid1(VALU_DEP_2)
	v_fmac_f32_e32 v77, v103, v73
	v_sub_f32_e32 v73, v99, v76
	v_exp_f32_e32 v99, v71
	v_fmac_f32_e32 v77, v104, v74
	s_delay_alu instid0(VALU_DEP_2) | instskip(NEXT) | instid1(VALU_DEP_2)
	v_dual_mul_f32 v73, 0x3fb8aa3b, v73 :: v_dual_lshlrev_b32 v74, 6, v70
	v_dual_fmac_f32 v77, v100, v94 :: v_dual_lshlrev_b32 v70, 2, v69
	s_delay_alu instid0(VALU_DEP_2) | instskip(SKIP_1) | instid1(VALU_DEP_3)
	v_exp_f32_e32 v94, v73
	v_cndmask_b32_e32 v73, v102, v75, vcc_lo
	v_lshl_or_b32 v75, v72, 11, v74
	s_delay_alu instid0(VALU_DEP_3) | instskip(SKIP_1) | instid1(VALU_DEP_3)
	v_cmp_eq_u32_e64 s7, 7, v70
	v_fmac_f32_e32 v77, v98, v95
	v_lshl_or_b32 v69, v69, 4, v75
	s_delay_alu instid0(VALU_DEP_2)
	v_fmac_f32_e32 v77, v99, v96
	s_delay_alu instid0(TRANS32_DEP_1) | instid1(VALU_DEP_1)
	v_fmac_f32_e32 v77, v94, v97
	s_delay_alu instid0(VALU_DEP_1) | instskip(NEXT) | instid1(VALU_DEP_1)
	v_add_f32_e32 v95, 0x358637bd, v77
	v_div_scale_f32 v96, null, v95, v95, 1.0
	v_div_scale_f32 v101, vcc_lo, 1.0, v95, 1.0
	s_delay_alu instid0(VALU_DEP_2) | instskip(SKIP_2) | instid1(VALU_DEP_1)
	v_rcp_f32_e32 v97, v96
	s_waitcnt_depctr 0xfff
	v_fma_f32 v71, -v96, v97, 1.0
	v_fmac_f32_e32 v97, v71, v97
	v_cndmask_b32_e64 v71, v73, v103, s2
	v_cmp_eq_u32_e64 s2, 6, v72
	v_or_b32_e32 v73, 1, v70
	v_or_b32_e32 v72, 3, v70
	v_mul_f32_e32 v102, v101, v97
	v_cndmask_b32_e64 v71, v71, v104, s3
	v_cmp_eq_u32_e64 s3, 1, v70
	v_cmp_eq_u32_e64 s8, 1, v73
	v_cmp_eq_u32_e64 s10, 1, v72
	v_fma_f32 v103, -v96, v102, v101
	v_cndmask_b32_e64 v100, v71, v100, s4
	v_or_b32_e32 v71, 2, v70
	v_cmp_eq_u32_e64 s4, 2, v70
	v_cmp_eq_u32_e64 s11, 2, v73
	v_fmac_f32_e32 v102, v103, v97
	v_cndmask_b32_e64 v98, v100, v98, s5
	v_cmp_eq_u32_e64 s9, 1, v71
	v_cmp_eq_u32_e64 s13, 2, v71
	;; [unrolled: 1-line block ×3, first 2 shown]
	v_fma_f32 v96, -v96, v102, v101
	v_cndmask_b32_e64 v98, v98, v99, s2
	v_cmp_eq_u32_e64 s12, 3, v73
	v_cmp_eq_u32_e64 s17, 3, v72
	;; [unrolled: 1-line block ×3, first 2 shown]
	v_div_fmas_f32 v96, v96, v97, v102
	v_cndmask_b32_e64 v94, v98, v94, s6
	v_cmp_eq_u32_e32 vcc_lo, 3, v70
	v_cmp_eq_u32_e64 s16, 3, v71
	v_cmp_eq_u32_e64 s18, 4, v73
	v_div_fixup_f32 v95, v96, v95, 1.0
	v_cmp_eq_u32_e64 s21, 4, v72
	v_cmp_eq_u32_e64 s5, 5, v70
	v_cmp_eq_u32_e64 s19, 5, v73
	v_cmp_eq_u32_e64 s20, 4, v71
	v_mul_f32_e32 v102, v94, v95
	v_cmp_eq_u32_e64 s23, 5, v72
	v_cmp_eq_u32_e64 s22, 5, v71
	;; [unrolled: 1-line block ×4, first 2 shown]
	v_fma_mixlo_f16 v94, v102, v79, 0
	v_fma_mixlo_f16 v95, v102, v81, 0
	;; [unrolled: 1-line block ×8, first 2 shown]
	v_fma_mixhi_f16 v94, v102, v78, 0
	v_fma_mixhi_f16 v95, v102, v80, 0
	;; [unrolled: 1-line block ×8, first 2 shown]
	ds_store_b128 v69, v[94:97]
	ds_store_b128 v69, v[98:101] offset:1024
	s_waitcnt lgkmcnt(0)
	s_barrier
	buffer_gl0_inv
	ds_load_b128 v[78:81], v75
	ds_load_b128 v[82:85], v75 offset:16
	ds_load_b128 v[86:89], v75 offset:1024
	;; [unrolled: 1-line block ×3, first 2 shown]
	v_cmp_eq_u32_e64 s6, 6, v70
	v_cmp_eq_u32_e64 s25, 6, v71
	;; [unrolled: 1-line block ×5, first 2 shown]
	s_waitcnt lgkmcnt(3)
	v_lshrrev_b32_e32 v94, 16, v78
	s_waitcnt lgkmcnt(2)
	v_lshrrev_b32_e32 v98, 16, v82
	;; [unrolled: 2-line block ×4, first 2 shown]
	v_lshrrev_b32_e32 v95, 16, v79
	v_cndmask_b32_e64 v110, v78, v94, s3
	v_cndmask_b32_e64 v111, v82, v98, s3
	;; [unrolled: 1-line block ×8, first 2 shown]
	v_lshrrev_b32_e32 v99, 16, v83
	v_cndmask_b32_e64 v94, v86, v102, s3
	v_cndmask_b32_e64 v98, v90, v106, s3
	v_cndmask_b32_e64 v116, v86, v102, s8
	v_cndmask_b32_e64 v117, v90, v106, s8
	v_cndmask_b32_e64 v118, v86, v102, s9
	v_cndmask_b32_e64 v119, v90, v106, s9
	v_cndmask_b32_e64 v86, v86, v102, s10
	v_cndmask_b32_e64 v90, v90, v106, s10
	v_cndmask_b32_e64 v102, v110, v79, s4
	v_cndmask_b32_e64 v106, v111, v83, s4
	v_cndmask_b32_e64 v110, v112, v79, s11
	v_cndmask_b32_e64 v111, v113, v83, s11
	v_cndmask_b32_e64 v112, v114, v79, s13
	v_cndmask_b32_e64 v78, v78, v79, s15
	v_cndmask_b32_e64 v79, v82, v83, s15
	v_lshrrev_b32_e32 v103, 16, v87
	v_lshrrev_b32_e32 v107, 16, v91
	v_cndmask_b32_e64 v113, v115, v83, s13
	v_cndmask_b32_e64 v82, v94, v87, s4
	;; [unrolled: 1-line block ×7, first 2 shown]
	v_cndmask_b32_e32 v90, v102, v95, vcc_lo
	v_cndmask_b32_e32 v102, v106, v99, vcc_lo
	v_cndmask_b32_e64 v106, v110, v95, s12
	v_cndmask_b32_e64 v110, v111, v99, s12
	;; [unrolled: 1-line block ×4, first 2 shown]
	v_lshrrev_b32_e32 v96, 16, v80
	v_lshrrev_b32_e32 v100, 16, v84
	v_cndmask_b32_e64 v111, v112, v95, s16
	v_cndmask_b32_e64 v112, v113, v99, s16
	v_cndmask_b32_e32 v82, v82, v103, vcc_lo
	v_cndmask_b32_e32 v83, v83, v107, vcc_lo
	v_cndmask_b32_e64 v94, v94, v103, s12
	v_cndmask_b32_e64 v90, v90, v80, s2
	;; [unrolled: 1-line block ×7, first 2 shown]
	v_lshrrev_b32_e32 v104, 16, v88
	v_cndmask_b32_e64 v106, v111, v80, s20
	v_cndmask_b32_e64 v110, v112, v84, s20
	;; [unrolled: 1-line block ×11, first 2 shown]
	v_lshrrev_b32_e32 v97, 16, v81
	v_lshrrev_b32_e32 v101, 16, v85
	v_cndmask_b32_e64 v99, v106, v96, s22
	v_cndmask_b32_e64 v102, v110, v100, s22
	;; [unrolled: 1-line block ×7, first 2 shown]
	v_lshrrev_b32_e32 v105, 16, v89
	v_cndmask_b32_e64 v80, v80, v104, s5
	v_cndmask_b32_e64 v84, v84, v81, s6
	;; [unrolled: 1-line block ×16, first 2 shown]
	v_perm_b32 v81, v79, v78, 0x5040100
	v_perm_b32 v79, v95, v85, 0x5040100
	v_cndmask_b32_e64 v78, v119, v91, s13
	v_cndmask_b32_e64 v85, v117, v91, s11
	;; [unrolled: 1-line block ×3, first 2 shown]
	v_perm_b32 v80, v94, v90, 0x5040100
	v_cndmask_b32_e64 v90, v98, v103, s16
	v_cndmask_b32_e64 v86, v86, v103, s17
	;; [unrolled: 1-line block ×5, first 2 shown]
	v_lshrrev_b32_e32 v108, 16, v92
	v_cndmask_b32_e64 v90, v90, v88, s20
	v_cndmask_b32_e64 v86, v86, v88, s21
	;; [unrolled: 1-line block ×11, first 2 shown]
	v_lshrrev_b32_e32 v109, 16, v93
	v_cndmask_b32_e64 v82, v82, v93, s6
	v_cndmask_b32_e64 v88, v88, v89, s25
	;; [unrolled: 1-line block ×12, first 2 shown]
	v_perm_b32 v78, v84, v83, 0x5040100
	v_perm_b32 v85, v87, v86, 0x5040100
	;; [unrolled: 1-line block ×5, first 2 shown]
	s_lshl_b32 s7, s34, 1
	s_mov_b32 s2, exec_lo
	ds_store_b128 v69, v[78:81]
	ds_store_b128 v69, v[82:85] offset:1024
	v_cmpx_gt_u32_e32 2, v0
	s_cbranch_execz .LBB1215_14
; %bb.13:
	v_or_b32_e32 v78, s33, v0
	s_load_b128 s[8:11], s[0:1], 0x58
	s_delay_alu instid0(VALU_DEP_1) | instskip(NEXT) | instid1(VALU_DEP_1)
	v_mad_u64_u32 v[79:80], null, s7, s30, v[78:79]
	v_mad_u64_u32 v[80:81], null, v79, s35, s[14:15]
	s_delay_alu instid0(VALU_DEP_1) | instskip(NEXT) | instid1(VALU_DEP_1)
	v_ashrrev_i32_e32 v81, 31, v80
	v_lshlrev_b64 v[78:79], 2, v[80:81]
	s_waitcnt lgkmcnt(0)
	s_delay_alu instid0(VALU_DEP_1) | instskip(NEXT) | instid1(VALU_DEP_2)
	v_add_co_u32 v80, vcc_lo, s10, v78
	v_add_co_ci_u32_e32 v81, vcc_lo, s11, v79, vcc_lo
	v_add_co_u32 v78, vcc_lo, s8, v78
	v_add_co_ci_u32_e32 v79, vcc_lo, s9, v79, vcc_lo
	global_store_b32 v[80:81], v76, off
	global_store_b32 v[78:79], v77, off
.LBB1215_14:
	s_or_b32 exec_lo, exec_lo, s2
	s_waitcnt lgkmcnt(0)
	s_waitcnt_vscnt null, 0x0
	s_barrier
	buffer_gl0_inv
	ds_load_b128 v[84:87], v74
	ds_load_b128 v[88:91], v74 offset:16
	ds_load_b128 v[96:99], v74 offset:2064
	;; [unrolled: 1-line block ×5, first 2 shown]
	v_cmp_eq_u32_e32 vcc_lo, 1, v70
	v_mov_b32_e32 v76, 0
	ds_load_b128 v[112:115], v74 offset:6160
	ds_load_b128 v[108:111], v74 offset:6144
	;; [unrolled: 1-line block ×4, first 2 shown]
	v_cmp_eq_u32_e64 s3, 1, v71
	v_cmp_eq_u32_e64 s2, 1, v73
	;; [unrolled: 1-line block ×3, first 2 shown]
	v_mov_b32_e32 v77, v76
	v_mov_b32_e32 v78, v76
	;; [unrolled: 1-line block ×7, first 2 shown]
	v_cmp_eq_u32_e64 s5, 3, v73
	v_cmp_eq_u32_e64 s6, 7, v73
	s_waitcnt lgkmcnt(8)
	s_delay_alu instid0(VALU_DEP_3)
	v_wmma_f32_16x16x16_f16 v[76:83], v[49:56], v[84:91], v[76:83]
	ds_load_b128 v[53:56], v74 offset:10256
	ds_load_b128 v[49:52], v74 offset:10240
	s_waitcnt lgkmcnt(8)
	v_wmma_f32_16x16x16_f16 v[76:83], v[41:48], v[92:99], v[76:83]
	ds_load_b128 v[45:48], v74 offset:12304
	ds_load_b128 v[41:44], v74 offset:12288
	s_waitcnt lgkmcnt(8)
	;; [unrolled: 4-line block ×3, first 2 shown]
	s_barrier
	buffer_gl0_inv
	v_wmma_f32_16x16x16_f16 v[76:83], v[1:8], v[108:115], v[76:83]
	s_delay_alu instid0(VALU_DEP_1) | instskip(NEXT) | instid1(VALU_DEP_1)
	v_wmma_f32_16x16x16_f16 v[76:83], v[9:16], v[116:123], v[76:83]
	v_wmma_f32_16x16x16_f16 v[76:83], v[17:24], v[49:56], v[76:83]
	s_delay_alu instid0(VALU_DEP_1) | instskip(NEXT) | instid1(VALU_DEP_1)
	v_wmma_f32_16x16x16_f16 v[76:83], v[25:32], v[41:48], v[76:83]
	v_wmma_f32_16x16x16_f16 v[76:83], v[57:64], v[33:40], v[76:83]
	s_delay_alu instid0(VALU_DEP_1) | instskip(NEXT) | instid1(VALU_DEP_2)
	v_cvt_f16_f32_e32 v1, v76
	v_cvt_f16_f32_e32 v2, v77
	s_delay_alu instid0(VALU_DEP_3) | instskip(NEXT) | instid1(VALU_DEP_4)
	v_cvt_f16_f32_e32 v3, v78
	v_cvt_f16_f32_e32 v4, v79
	;; [unrolled: 1-line block ×6, first 2 shown]
	v_pack_b32_f16 v1, v1, v2
	v_pack_b32_f16 v2, v3, v4
	v_pack_b32_f16 v3, v5, v6
	s_delay_alu instid0(VALU_DEP_4)
	v_pack_b32_f16 v4, v7, v8
	ds_store_b128 v69, v[1:4]
	s_waitcnt lgkmcnt(0)
	s_barrier
	buffer_gl0_inv
	ds_load_b128 v[1:4], v75
	ds_load_b128 v[5:8], v75 offset:16
	s_waitcnt lgkmcnt(1)
	v_lshrrev_b32_e32 v9, 16, v1
	s_waitcnt lgkmcnt(0)
	v_lshrrev_b32_e32 v13, 16, v5
	v_lshrrev_b32_e32 v10, 16, v2
	;; [unrolled: 1-line block ×4, first 2 shown]
	v_cndmask_b32_e32 v17, v1, v9, vcc_lo
	v_cndmask_b32_e32 v18, v5, v13, vcc_lo
	v_cndmask_b32_e64 v21, v1, v9, s3
	v_cmp_eq_u32_e32 vcc_lo, 1, v72
	v_cndmask_b32_e64 v22, v5, v13, s3
	v_cmp_eq_u32_e64 s3, 2, v70
	v_cndmask_b32_e64 v19, v1, v9, s2
	v_cndmask_b32_e64 v20, v5, v13, s2
	v_cndmask_b32_e32 v1, v1, v9, vcc_lo
	v_cmp_eq_u32_e64 s2, 2, v72
	v_cndmask_b32_e32 v5, v5, v13, vcc_lo
	v_cndmask_b32_e64 v9, v17, v2, s3
	v_cmp_eq_u32_e32 vcc_lo, 3, v70
	v_cndmask_b32_e64 v13, v18, v6, s3
	v_cmp_eq_u32_e64 s3, 2, v71
	v_cndmask_b32_e64 v17, v19, v2, s4
	v_cndmask_b32_e64 v18, v20, v6, s4
	v_cmp_eq_u32_e64 s4, 3, v71
	v_cndmask_b32_e64 v1, v1, v2, s2
	v_cndmask_b32_e64 v19, v21, v2, s3
	;; [unrolled: 1-line block ×4, first 2 shown]
	v_cndmask_b32_e32 v5, v9, v10, vcc_lo
	v_cndmask_b32_e32 v6, v13, v14, vcc_lo
	v_cmp_eq_u32_e32 vcc_lo, 3, v72
	v_cndmask_b32_e64 v9, v17, v10, s5
	v_cndmask_b32_e64 v13, v18, v14, s5
	;; [unrolled: 1-line block ×3, first 2 shown]
	v_cmp_eq_u32_e64 s3, 4, v70
	v_cndmask_b32_e32 v1, v1, v10, vcc_lo
	v_cndmask_b32_e32 v2, v2, v14, vcc_lo
	v_cmp_eq_u32_e32 vcc_lo, 4, v73
	v_lshrrev_b32_e32 v15, 16, v7
	v_lshrrev_b32_e32 v16, 16, v8
	v_cndmask_b32_e64 v17, v19, v10, s4
	v_cmp_eq_u32_e64 s2, 4, v72
	v_cndmask_b32_e64 v5, v5, v3, s3
	v_cndmask_b32_e64 v6, v6, v7, s3
	v_cndmask_b32_e32 v9, v9, v3, vcc_lo
	v_cmp_eq_u32_e64 s3, 5, v73
	v_cndmask_b32_e32 v10, v13, v7, vcc_lo
	v_cmp_eq_u32_e32 vcc_lo, 4, v71
	v_cmp_eq_u32_e64 s4, 5, v70
	v_cndmask_b32_e64 v2, v2, v7, s2
	v_cndmask_b32_e64 v9, v9, v11, s3
	;; [unrolled: 1-line block ×3, first 2 shown]
	v_cndmask_b32_e32 v13, v17, v3, vcc_lo
	v_cmp_eq_u32_e64 s3, 5, v71
	v_cndmask_b32_e32 v14, v18, v7, vcc_lo
	v_cndmask_b32_e64 v1, v1, v3, s2
	v_cmp_eq_u32_e32 vcc_lo, 5, v72
	v_lshrrev_b32_e32 v12, 16, v4
	v_cndmask_b32_e64 v13, v13, v11, s3
	v_cndmask_b32_e64 v3, v14, v15, s3
	v_cmp_eq_u32_e64 s3, 6, v72
	v_cndmask_b32_e32 v1, v1, v11, vcc_lo
	v_cndmask_b32_e64 v5, v5, v11, s4
	v_cmp_eq_u32_e64 s5, 6, v70
	v_cndmask_b32_e64 v6, v6, v15, s4
	v_cmp_eq_u32_e64 s4, 6, v73
	v_cmp_eq_u32_e64 s2, 6, v71
	v_cndmask_b32_e64 v1, v1, v4, s3
	v_cndmask_b32_e32 v2, v2, v15, vcc_lo
	v_cmp_eq_u32_e32 vcc_lo, 7, v72
	v_cndmask_b32_e64 v5, v5, v4, s5
	v_cndmask_b32_e64 v9, v9, v4, s4
	;; [unrolled: 1-line block ×3, first 2 shown]
	v_cmp_eq_u32_e64 s5, 7, v70
	v_cndmask_b32_e32 v1, v1, v12, vcc_lo
	v_cndmask_b32_e64 v7, v13, v4, s2
	v_cndmask_b32_e64 v3, v3, v8, s2
	;; [unrolled: 1-line block ×3, first 2 shown]
	v_cmp_eq_u32_e64 s2, 7, v71
	v_cndmask_b32_e64 v4, v10, v8, s4
	v_cndmask_b32_e64 v5, v5, v12, s5
	;; [unrolled: 1-line block ×3, first 2 shown]
	v_cndmask_b32_e32 v2, v2, v16, vcc_lo
	v_cndmask_b32_e64 v7, v7, v12, s2
	v_cndmask_b32_e64 v3, v3, v16, s2
	;; [unrolled: 1-line block ×4, first 2 shown]
	v_perm_b32 v4, v2, v1, 0x5040100
	s_delay_alu instid0(VALU_DEP_4) | instskip(NEXT) | instid1(VALU_DEP_4)
	v_perm_b32 v3, v3, v7, 0x5040100
	v_perm_b32 v2, v8, v9, 0x5040100
	s_delay_alu instid0(VALU_DEP_4)
	v_perm_b32 v1, v6, v5, 0x5040100
	ds_store_b128 v69, v[1:4]
	s_waitcnt lgkmcnt(0)
	s_barrier
	buffer_gl0_inv
	s_and_saveexec_b32 s2, s31
	s_cbranch_execz .LBB1215_2
; %bb.15:
	s_load_b64 s[0:1], s[0:1], 0x68
	v_lshlrev_b32_e32 v0, 10, v0
	s_lshl_b32 s2, s35, 6
	v_lshlrev_b32_e32 v1, 4, v68
	v_mul_lo_u32 v4, s2, v67
	s_mul_i32 s3, s2, s30
	v_and_b32_e32 v0, 0x3800, v0
	s_mul_i32 s2, s3, s7
	s_delay_alu instid0(SALU_CYCLE_1) | instskip(NEXT) | instid1(VALU_DEP_1)
	s_ashr_i32 s3, s2, 31
	v_or3_b32 v0, v0, v66, v1
	s_lshl_b64 s[2:3], s[2:3], 1
	s_delay_alu instid0(VALU_DEP_3)
	v_ashrrev_i32_e32 v5, 31, v4
	ds_load_b128 v[0:3], v0
	v_lshlrev_b64 v[4:5], 1, v[4:5]
	s_waitcnt lgkmcnt(0)
	s_add_u32 s2, s0, s2
	s_addc_u32 s3, s1, s3
	s_lshl_b32 s0, s14, 6
	s_delay_alu instid0(SALU_CYCLE_1) | instskip(NEXT) | instid1(SALU_CYCLE_1)
	s_ashr_i32 s1, s0, 31
	s_lshl_b64 s[0:1], s[0:1], 1
	s_delay_alu instid0(SALU_CYCLE_1) | instskip(SKIP_3) | instid1(VALU_DEP_2)
	s_add_u32 s0, s2, s0
	s_addc_u32 s1, s3, s1
	v_add_co_u32 v4, vcc_lo, s0, v4
	v_add_co_ci_u32_e32 v5, vcc_lo, s1, v5, vcc_lo
	v_add_co_u32 v4, vcc_lo, v4, v65
	s_delay_alu instid0(VALU_DEP_2)
	v_add_co_ci_u32_e32 v5, vcc_lo, 0, v5, vcc_lo
	global_store_b128 v[4:5], v[0:3], off
	s_nop 0
	s_sendmsg sendmsg(MSG_DEALLOC_VGPRS)
	s_endpgm
	.section	.rodata,"a",@progbits
	.p2align	6, 0x0
	.amdhsa_kernel _Z39paged_attention_ll4mi_QKV_mfma16_kernelIDF16_hLN4vllm18Fp8KVCacheDataTypeE1EDF16_Li32ELi64ELi256ELb0ELi2EL8MFMAType0EEvPKT_PKT0_S8_ifPKiSA_SA_iPKfiiiPfSD_PS3_PT2_iSC_SC_
		.amdhsa_group_segment_fixed_size 17472
		.amdhsa_private_segment_fixed_size 0
		.amdhsa_kernarg_size 400
		.amdhsa_user_sgpr_count 13
		.amdhsa_user_sgpr_dispatch_ptr 0
		.amdhsa_user_sgpr_queue_ptr 0
		.amdhsa_user_sgpr_kernarg_segment_ptr 1
		.amdhsa_user_sgpr_dispatch_id 0
		.amdhsa_user_sgpr_private_segment_size 0
		.amdhsa_wavefront_size32 1
		.amdhsa_uses_dynamic_stack 0
		.amdhsa_enable_private_segment 0
		.amdhsa_system_sgpr_workgroup_id_x 1
		.amdhsa_system_sgpr_workgroup_id_y 1
		.amdhsa_system_sgpr_workgroup_id_z 1
		.amdhsa_system_sgpr_workgroup_info 0
		.amdhsa_system_vgpr_workitem_id 0
		.amdhsa_next_free_vgpr 148
		.amdhsa_next_free_sgpr 38
		.amdhsa_reserve_vcc 1
		.amdhsa_float_round_mode_32 0
		.amdhsa_float_round_mode_16_64 0
		.amdhsa_float_denorm_mode_32 3
		.amdhsa_float_denorm_mode_16_64 3
		.amdhsa_dx10_clamp 1
		.amdhsa_ieee_mode 1
		.amdhsa_fp16_overflow 0
		.amdhsa_workgroup_processor_mode 1
		.amdhsa_memory_ordered 1
		.amdhsa_forward_progress 0
		.amdhsa_shared_vgpr_count 0
		.amdhsa_exception_fp_ieee_invalid_op 0
		.amdhsa_exception_fp_denorm_src 0
		.amdhsa_exception_fp_ieee_div_zero 0
		.amdhsa_exception_fp_ieee_overflow 0
		.amdhsa_exception_fp_ieee_underflow 0
		.amdhsa_exception_fp_ieee_inexact 0
		.amdhsa_exception_int_div_zero 0
	.end_amdhsa_kernel
	.section	.text._Z39paged_attention_ll4mi_QKV_mfma16_kernelIDF16_hLN4vllm18Fp8KVCacheDataTypeE1EDF16_Li32ELi64ELi256ELb0ELi2EL8MFMAType0EEvPKT_PKT0_S8_ifPKiSA_SA_iPKfiiiPfSD_PS3_PT2_iSC_SC_,"axG",@progbits,_Z39paged_attention_ll4mi_QKV_mfma16_kernelIDF16_hLN4vllm18Fp8KVCacheDataTypeE1EDF16_Li32ELi64ELi256ELb0ELi2EL8MFMAType0EEvPKT_PKT0_S8_ifPKiSA_SA_iPKfiiiPfSD_PS3_PT2_iSC_SC_,comdat
.Lfunc_end1215:
	.size	_Z39paged_attention_ll4mi_QKV_mfma16_kernelIDF16_hLN4vllm18Fp8KVCacheDataTypeE1EDF16_Li32ELi64ELi256ELb0ELi2EL8MFMAType0EEvPKT_PKT0_S8_ifPKiSA_SA_iPKfiiiPfSD_PS3_PT2_iSC_SC_, .Lfunc_end1215-_Z39paged_attention_ll4mi_QKV_mfma16_kernelIDF16_hLN4vllm18Fp8KVCacheDataTypeE1EDF16_Li32ELi64ELi256ELb0ELi2EL8MFMAType0EEvPKT_PKT0_S8_ifPKiSA_SA_iPKfiiiPfSD_PS3_PT2_iSC_SC_
                                        ; -- End function
	.section	.AMDGPU.csdata,"",@progbits
; Kernel info:
; codeLenInByte = 6252
; NumSgprs: 40
; NumVgprs: 148
; ScratchSize: 0
; MemoryBound: 0
; FloatMode: 240
; IeeeMode: 1
; LDSByteSize: 17472 bytes/workgroup (compile time only)
; SGPRBlocks: 4
; VGPRBlocks: 18
; NumSGPRsForWavesPerEU: 40
; NumVGPRsForWavesPerEU: 148
; Occupancy: 9
; WaveLimiterHint : 1
; COMPUTE_PGM_RSRC2:SCRATCH_EN: 0
; COMPUTE_PGM_RSRC2:USER_SGPR: 13
; COMPUTE_PGM_RSRC2:TRAP_HANDLER: 0
; COMPUTE_PGM_RSRC2:TGID_X_EN: 1
; COMPUTE_PGM_RSRC2:TGID_Y_EN: 1
; COMPUTE_PGM_RSRC2:TGID_Z_EN: 1
; COMPUTE_PGM_RSRC2:TIDIG_COMP_CNT: 0
	.section	.text._Z39paged_attention_ll4mi_QKV_mfma16_kernelIDF16_hLN4vllm18Fp8KVCacheDataTypeE1EDF16_Li32ELi64ELi256ELb0ELi3EL8MFMAType0EEvPKT_PKT0_S8_ifPKiSA_SA_iPKfiiiPfSD_PS3_PT2_iSC_SC_,"axG",@progbits,_Z39paged_attention_ll4mi_QKV_mfma16_kernelIDF16_hLN4vllm18Fp8KVCacheDataTypeE1EDF16_Li32ELi64ELi256ELb0ELi3EL8MFMAType0EEvPKT_PKT0_S8_ifPKiSA_SA_iPKfiiiPfSD_PS3_PT2_iSC_SC_,comdat
	.protected	_Z39paged_attention_ll4mi_QKV_mfma16_kernelIDF16_hLN4vllm18Fp8KVCacheDataTypeE1EDF16_Li32ELi64ELi256ELb0ELi3EL8MFMAType0EEvPKT_PKT0_S8_ifPKiSA_SA_iPKfiiiPfSD_PS3_PT2_iSC_SC_ ; -- Begin function _Z39paged_attention_ll4mi_QKV_mfma16_kernelIDF16_hLN4vllm18Fp8KVCacheDataTypeE1EDF16_Li32ELi64ELi256ELb0ELi3EL8MFMAType0EEvPKT_PKT0_S8_ifPKiSA_SA_iPKfiiiPfSD_PS3_PT2_iSC_SC_
	.globl	_Z39paged_attention_ll4mi_QKV_mfma16_kernelIDF16_hLN4vllm18Fp8KVCacheDataTypeE1EDF16_Li32ELi64ELi256ELb0ELi3EL8MFMAType0EEvPKT_PKT0_S8_ifPKiSA_SA_iPKfiiiPfSD_PS3_PT2_iSC_SC_
	.p2align	8
	.type	_Z39paged_attention_ll4mi_QKV_mfma16_kernelIDF16_hLN4vllm18Fp8KVCacheDataTypeE1EDF16_Li32ELi64ELi256ELb0ELi3EL8MFMAType0EEvPKT_PKT0_S8_ifPKiSA_SA_iPKfiiiPfSD_PS3_PT2_iSC_SC_,@function
_Z39paged_attention_ll4mi_QKV_mfma16_kernelIDF16_hLN4vllm18Fp8KVCacheDataTypeE1EDF16_Li32ELi64ELi256ELb0ELi3EL8MFMAType0EEvPKT_PKT0_S8_ifPKiSA_SA_iPKfiiiPfSD_PS3_PT2_iSC_SC_: ; @_Z39paged_attention_ll4mi_QKV_mfma16_kernelIDF16_hLN4vllm18Fp8KVCacheDataTypeE1EDF16_Li32ELi64ELi256ELb0ELi3EL8MFMAType0EEvPKT_PKT0_S8_ifPKiSA_SA_iPKfiiiPfSD_PS3_PT2_iSC_SC_
; %bb.0:
	s_load_b64 s[2:3], s[0:1], 0x30
	s_mov_b32 s34, s13
	s_waitcnt lgkmcnt(0)
	s_cmp_lg_u64 s[2:3], 0
	s_cselect_b32 s6, -1, 0
	s_ashr_i32 s35, s13, 31
	s_cmp_eq_u64 s[2:3], 0
	s_cbranch_scc1 .LBB1216_3
; %bb.1:
	s_lshl_b64 s[4:5], s[34:35], 2
	s_delay_alu instid0(SALU_CYCLE_1) | instskip(SKIP_4) | instid1(SALU_CYCLE_1)
	s_add_u32 s4, s2, s4
	s_addc_u32 s5, s3, s5
	s_load_b64 s[4:5], s[4:5], 0x0
	s_waitcnt lgkmcnt(0)
	s_sub_i32 s4, s5, s4
	s_cmp_eq_u32 s4, 1
	s_cselect_b32 s4, -1, 0
	s_delay_alu instid0(SALU_CYCLE_1)
	s_and_not1_b32 vcc_lo, exec_lo, s4
	s_cbranch_vccz .LBB1216_4
.LBB1216_2:
	s_nop 0
	s_sendmsg sendmsg(MSG_DEALLOC_VGPRS)
	s_endpgm
.LBB1216_3:
.LBB1216_4:
	s_load_b64 s[8:9], s[0:1], 0x28
	s_lshl_b64 s[4:5], s[34:35], 2
	s_waitcnt lgkmcnt(0)
	s_add_u32 s8, s8, s4
	s_addc_u32 s9, s9, s5
	s_lshl_b32 s16, s14, 8
	s_load_b32 s18, s[8:9], 0x0
	s_waitcnt lgkmcnt(0)
	s_cmp_ge_i32 s16, s18
	s_cbranch_scc1 .LBB1216_2
; %bb.5:
	s_clause 0x1
	s_load_b128 s[8:11], s[0:1], 0x8
	s_load_b64 s[12:13], s[0:1], 0x20
	s_and_not1_b32 vcc_lo, exec_lo, s6
	s_cbranch_vccnz .LBB1216_7
; %bb.6:
	s_add_u32 s2, s2, s4
	s_addc_u32 s3, s3, s5
	s_load_b32 s3, s[2:3], 0x0
	s_branch .LBB1216_8
.LBB1216_7:
	s_mov_b32 s3, s34
.LBB1216_8:
	s_load_b128 s[4:7], s[0:1], 0x48
	v_lshrrev_b32_e32 v69, 5, v0
	v_bfe_u32 v66, v0, 4, 1
	v_and_b32_e32 v68, 15, v0
	v_and_b32_e32 v70, 31, v0
	;; [unrolled: 1-line block ×3, first 2 shown]
	s_mul_i32 s33, s15, 3
	v_lshl_or_b32 v1, v69, 1, v66
	v_lshlrev_b32_e32 v2, 3, v68
	v_cmp_gt_u32_e64 s2, 8, v68
	s_delay_alu instid0(VALU_DEP_3) | instskip(NEXT) | instid1(VALU_DEP_3)
	v_cmp_gt_u32_e32 vcc_lo, 3, v1
	v_lshlrev_b32_e32 v65, 1, v2
	s_delay_alu instid0(VALU_DEP_3)
	s_and_b32 s17, s2, vcc_lo
	s_waitcnt lgkmcnt(0)
	s_and_saveexec_b32 s7, s17
	s_cbranch_execz .LBB1216_10
; %bb.9:
	s_load_b64 s[20:21], s[0:1], 0x0
	v_add_lshl_u32 v2, v1, s33, 6
	s_mul_hi_i32 s23, s3, s4
	s_mul_i32 s22, s3, s4
	v_lshlrev_b32_e32 v6, 10, v68
	s_lshl_b64 s[22:23], s[22:23], 1
	v_ashrrev_i32_e32 v3, 31, v2
	v_lshlrev_b32_e32 v1, 6, v1
	v_lshlrev_b32_e32 v7, 10, v67
	v_and_b32_e32 v6, 0x3800, v6
	s_delay_alu instid0(VALU_DEP_4) | instskip(NEXT) | instid1(VALU_DEP_2)
	v_lshlrev_b64 v[2:3], 1, v[2:3]
	v_or3_b32 v1, v6, v7, v1
	s_waitcnt lgkmcnt(0)
	s_add_u32 s3, s20, s22
	s_addc_u32 s4, s21, s23
	s_delay_alu instid0(VALU_DEP_2) | instskip(SKIP_1) | instid1(VALU_DEP_2)
	v_add_co_u32 v2, vcc_lo, s3, v2
	v_add_co_ci_u32_e32 v3, vcc_lo, s4, v3, vcc_lo
	v_add_co_u32 v2, vcc_lo, v2, v65
	s_delay_alu instid0(VALU_DEP_2)
	v_add_co_ci_u32_e32 v3, vcc_lo, 0, v3, vcc_lo
	global_load_b128 v[2:5], v[2:3], off
	s_waitcnt vmcnt(0)
	ds_store_b128 v1, v[2:5]
.LBB1216_10:
	s_or_b32 exec_lo, exec_lo, s7
	v_and_b32_e32 v1, 0xef, v0
	s_add_i32 s3, s18, 31
	s_clause 0x1
	s_load_b32 s4, s[0:1], 0x38
	s_load_b32 s35, s[0:1], 0x98
	s_ashr_i32 s7, s3, 31
	v_add_nc_u32_e32 v1, s16, v1
	s_lshr_b32 s7, s7, 27
	s_load_b32 s19, s[0:1], 0x1c
	s_add_i32 s3, s3, s7
	s_waitcnt lgkmcnt(0)
	v_ashrrev_i32_e32 v2, 31, v1
	v_or_b32_e32 v3, 16, v1
	s_ashr_i32 s3, s3, 5
	v_cmp_gt_i32_e32 vcc_lo, s18, v1
	s_add_i32 s3, s3, -1
	v_lshrrev_b32_e32 v2, 27, v2
	s_barrier
	buffer_gl0_inv
	s_mul_i32 s15, s15, s6
	v_mul_lo_u16 v103, 0x56, v68
	v_add_nc_u32_e32 v4, v1, v2
	v_mbcnt_lo_u32_b32 v127, -1, 0
	s_mul_i32 s20, s34, s4
	s_delay_alu instid0(SALU_CYCLE_1) | instskip(NEXT) | instid1(VALU_DEP_2)
	s_ashr_i32 s21, s20, 31
	v_ashrrev_i32_e32 v4, 5, v4
	v_add_nc_u32_e32 v2, v3, v2
	s_lshl_b64 s[20:21], s[20:21], 2
	v_lshrrev_b16 v103, 8, v103
	s_add_u32 s17, s12, s20
	v_cndmask_b32_e32 v1, s3, v4, vcc_lo
	v_ashrrev_i32_e32 v2, 5, v2
	v_cmp_gt_i32_e32 vcc_lo, s18, v3
	s_addc_u32 s13, s13, s21
	s_ashr_i32 s20, s15, 31
	s_add_u32 s22, s8, s15
	s_addc_u32 s23, s9, s20
	v_cndmask_b32_e32 v3, s3, v2, vcc_lo
	v_ashrrev_i32_e32 v2, 31, v1
	s_lshl_b32 s6, s14, 3
	v_mul_lo_u16 v103, v103, 3
	s_ashr_i32 s7, s6, 31
	v_ashrrev_i32_e32 v4, 31, v3
	v_lshlrev_b64 v[1:2], 2, v[1:2]
	s_lshl_b64 s[6:7], s[6:7], 2
	v_sub_nc_u16 v103, v68, v103
	s_add_u32 s6, s17, s6
	v_lshlrev_b64 v[3:4], 2, v[3:4]
	s_addc_u32 s7, s13, s7
	v_add_co_u32 v1, vcc_lo, s17, v1
	v_add_co_ci_u32_e32 v2, vcc_lo, s13, v2, vcc_lo
	s_delay_alu instid0(VALU_DEP_3) | instskip(NEXT) | instid1(VALU_DEP_4)
	v_add_co_u32 v3, vcc_lo, s17, v3
	v_add_co_ci_u32_e32 v4, vcc_lo, s13, v4, vcc_lo
	s_clause 0x1
	global_load_b32 v5, v[1:2], off
	global_load_b32 v6, v[3:4], off
	s_or_b32 s4, s16, 32
	v_xor_b32_e32 v128, 16, v127
	s_ashr_i32 s8, s4, 5
	s_cmp_lt_i32 s4, s18
	s_cselect_b32 s8, s8, s3
	s_delay_alu instid0(SALU_CYCLE_1) | instskip(NEXT) | instid1(SALU_CYCLE_1)
	s_ashr_i32 s9, s8, 31
	s_lshl_b64 s[8:9], s[8:9], 2
	s_delay_alu instid0(SALU_CYCLE_1) | instskip(SKIP_2) | instid1(SALU_CYCLE_1)
	s_add_u32 s8, s17, s8
	s_addc_u32 s9, s13, s9
	s_or_b32 s4, s16, 64
	s_ashr_i32 s12, s4, 5
	s_cmp_lt_i32 s4, s18
	s_cselect_b32 s24, s12, s3
	s_delay_alu instid0(SALU_CYCLE_1) | instskip(NEXT) | instid1(SALU_CYCLE_1)
	s_ashr_i32 s25, s24, 31
	s_lshl_b64 s[24:25], s[24:25], 2
	s_delay_alu instid0(SALU_CYCLE_1) | instskip(SKIP_2) | instid1(SALU_CYCLE_1)
	s_add_u32 s24, s17, s24
	s_addc_u32 s25, s13, s25
	s_or_b32 s4, s16, 0x60
	;; [unrolled: 10-line block ×4, first 2 shown]
	s_ashr_i32 s12, s4, 5
	s_cmp_lt_i32 s4, s18
	s_cselect_b32 s30, s12, s3
	s_delay_alu instid0(SALU_CYCLE_1) | instskip(NEXT) | instid1(SALU_CYCLE_1)
	s_ashr_i32 s31, s30, 31
	s_lshl_b64 s[30:31], s[30:31], 2
	s_delay_alu instid0(SALU_CYCLE_1)
	s_add_u32 s30, s17, s30
	s_addc_u32 s31, s13, s31
	s_clause 0x5
	s_load_b32 s12, s[6:7], 0x0
	s_load_b32 s4, s[8:9], 0x0
	;; [unrolled: 1-line block ×6, first 2 shown]
	s_or_b32 s21, s16, 0xc0
	s_waitcnt vmcnt(1)
	v_mad_i64_i32 v[1:2], null, v5, s5, s[22:23]
	v_lshlrev_b32_e32 v5, 4, v68
	s_waitcnt vmcnt(0)
	v_mad_i64_i32 v[3:4], null, v6, s5, s[22:23]
	s_ashr_i32 s22, s21, 5
	s_cmp_lt_i32 s21, s18
	s_delay_alu instid0(VALU_DEP_3) | instskip(NEXT) | instid1(VALU_DEP_4)
	v_add_co_u32 v1, vcc_lo, v1, v5
	v_add_co_ci_u32_e32 v2, vcc_lo, 0, v2, vcc_lo
	s_delay_alu instid0(VALU_DEP_3) | instskip(NEXT) | instid1(VALU_DEP_4)
	v_add_co_u32 v3, vcc_lo, v3, v5
	v_add_co_ci_u32_e32 v4, vcc_lo, 0, v4, vcc_lo
	s_clause 0x7
	global_load_b128 v[71:74], v[1:2], off
	global_load_b128 v[75:78], v[1:2], off offset:512
	global_load_b128 v[79:82], v[3:4], off offset:256
	;; [unrolled: 1-line block ×7, first 2 shown]
	s_cselect_b32 s22, s22, s3
	v_lshlrev_b32_e32 v1, 5, v68
	s_ashr_i32 s23, s22, 31
	v_cmp_gt_i32_e32 vcc_lo, 32, v128
	s_lshl_b64 s[22:23], s[22:23], 2
	v_and_b32_e32 v103, 0xff, v103
	s_add_u32 s22, s17, s22
	s_addc_u32 s23, s13, s23
	v_cndmask_b32_e32 v136, v127, v128, vcc_lo
	s_or_b32 s21, s16, 0xe0
	v_lshl_or_b32 v1, v69, 9, v1
	s_ashr_i32 s24, s21, 5
	s_cmp_lt_i32 s21, s18
	v_lshlrev_b32_e32 v115, 6, v103
	s_cselect_b32 s24, s24, s3
	s_load_b32 s3, s[22:23], 0x0
	s_ashr_i32 s25, s24, 31
	s_delay_alu instid0(SALU_CYCLE_1) | instskip(NEXT) | instid1(SALU_CYCLE_1)
	s_lshl_b64 s[24:25], s[24:25], 2
	s_add_u32 s22, s17, s24
	s_addc_u32 s23, s13, s25
	s_add_u32 s10, s10, s15
	s_addc_u32 s11, s11, s20
	v_add_co_u32 v1, s10, s10, v1
	s_delay_alu instid0(VALU_DEP_1) | instskip(SKIP_2) | instid1(VALU_DEP_1)
	v_add_co_ci_u32_e64 v2, null, s11, 0, s10
	s_load_b32 s10, s[22:23], 0x0
	s_waitcnt lgkmcnt(0)
	v_mad_i64_i32 v[3:4], null, s12, s5, v[1:2]
	v_mad_i64_i32 v[9:10], null, s7, s5, v[1:2]
	;; [unrolled: 1-line block ×7, first 2 shown]
	s_clause 0x5
	global_load_b128 v[49:52], v[3:4], off
	global_load_b128 v[53:56], v[3:4], off offset:16
	global_load_b128 v[41:44], v[5:6], off
	global_load_b128 v[45:48], v[5:6], off offset:16
	;; [unrolled: 2-line block ×3, first 2 shown]
	s_mov_b32 s4, 0
	v_mad_i64_i32 v[61:62], null, s10, s5, v[1:2]
	s_clause 0x9
	global_load_b128 v[1:4], v[9:10], off
	global_load_b128 v[5:8], v[9:10], off offset:16
	global_load_b128 v[9:12], v[13:14], off
	global_load_b128 v[13:16], v[13:14], off offset:16
	;; [unrolled: 2-line block ×5, first 2 shown]
	s_mov_b32 s5, s4
	s_mov_b32 s6, s4
	;; [unrolled: 1-line block ×7, first 2 shown]
	v_and_b32_e32 v104, 0xe0, v0
	v_dual_mov_b32 v126, s11 :: v_dual_mov_b32 v123, s8
	v_dual_mov_b32 v125, s10 :: v_dual_mov_b32 v124, s9
	s_delay_alu instid0(VALU_DEP_3)
	v_add_nc_u32_e32 v111, s16, v104
	ds_load_b128 v[103:106], v115
	ds_load_b128 v[107:110], v115 offset:1024
	v_dual_mov_b32 v122, s7 :: v_dual_mov_b32 v121, s6
	v_mov_b32_e32 v120, s5
	v_or_b32_e32 v135, v111, v66
	ds_load_b128 v[111:114], v115 offset:2048
	ds_load_b128 v[115:118], v115 offset:3072
	v_mov_b32_e32 v119, s4
	s_waitcnt vmcnt(0) lgkmcnt(0)
	s_barrier
	v_or_b32_e32 v137, 2, v135
	v_or_b32_e32 v138, 4, v135
	;; [unrolled: 1-line block ×3, first 2 shown]
	v_cmp_gt_i32_e32 vcc_lo, s18, v135
	v_or_b32_e32 v140, 8, v135
	v_cmp_gt_i32_e64 s3, s18, v137
	v_or_b32_e32 v141, 10, v135
	v_cmp_gt_i32_e64 s4, s18, v138
	v_cmp_gt_i32_e64 s5, s18, v139
	v_or_b32_e32 v142, 12, v135
	v_or_b32_e32 v143, 14, v135
	v_cmp_gt_i32_e64 s6, s18, v140
	v_cmp_gt_i32_e64 s7, s18, v141
	v_or_b32_e32 v144, 16, v135
	v_or_b32_e32 v145, 18, v135
	v_cmp_gt_i32_e64 s8, s18, v142
	v_cmp_gt_i32_e64 s9, s18, v143
	buffer_gl0_inv
	v_cmp_gt_i32_e64 s10, s18, v144
	v_cmp_gt_i32_e64 s11, s18, v145
	v_wmma_f32_16x16x16_f16 v[127:134], v[71:78], v[103:110], v[119:126]
	v_wmma_f32_16x16x16_f16 v[119:126], v[79:86], v[103:110], v[119:126]
	v_or_b32_e32 v71, 20, v135
	v_or_b32_e32 v72, 22, v135
	s_delay_alu instid0(VALU_DEP_4)
	v_wmma_f32_16x16x16_f16 v[127:134], v[87:94], v[111:118], v[127:134]
	v_or_b32_e32 v73, 24, v135
	v_wmma_f32_16x16x16_f16 v[119:126], v[95:102], v[111:118], v[119:126]
	v_or_b32_e32 v74, 26, v135
	v_cmp_gt_i32_e64 s12, s18, v71
	v_dual_mul_f32 v84, s19, v127 :: v_dual_mul_f32 v83, s19, v128
	s_delay_alu instid0(VALU_DEP_4) | instskip(SKIP_2) | instid1(VALU_DEP_4)
	v_dual_mul_f32 v92, s19, v119 :: v_dual_mul_f32 v81, s19, v130
	v_mul_f32_e32 v90, s19, v121
	v_mul_f32_e32 v82, s19, v129
	v_cndmask_b32_e32 v84, 0xff7fffff, v84, vcc_lo
	v_cndmask_b32_e64 v83, 0xff7fffff, v83, s3
	v_dual_mul_f32 v79, s19, v132 :: v_dual_mul_f32 v88, s19, v123
	v_mul_f32_e32 v80, s19, v131
	v_cndmask_b32_e64 v82, 0xff7fffff, v82, s4
	v_cndmask_b32_e64 v81, 0xff7fffff, v81, s5
	v_max3_f32 v83, v84, 0xff7fffff, v83
	v_dual_mul_f32 v77, s19, v134 :: v_dual_mul_f32 v86, s19, v125
	v_mul_f32_e32 v78, s19, v133
	v_cndmask_b32_e64 v80, 0xff7fffff, v80, s6
	v_cndmask_b32_e64 v79, 0xff7fffff, v79, s7
	v_max3_f32 v81, v83, v82, v81
	v_mul_f32_e32 v91, s19, v120
	v_cndmask_b32_e64 v78, 0xff7fffff, v78, s8
	v_cndmask_b32_e64 v77, 0xff7fffff, v77, s9
	v_mul_f32_e32 v89, s19, v122
	v_max3_f32 v79, v81, v80, v79
	v_cndmask_b32_e64 v80, 0xff7fffff, v92, s10
	v_cndmask_b32_e64 v81, 0xff7fffff, v91, s11
	v_cmp_gt_i32_e64 s13, s18, v72
	v_or_b32_e32 v75, 28, v135
	v_max3_f32 v77, v79, v78, v77
	v_or_b32_e32 v76, 30, v135
	v_mul_f32_e32 v87, s19, v124
	v_cndmask_b32_e64 v71, 0xff7fffff, v90, s12
	v_cndmask_b32_e64 v72, 0xff7fffff, v89, s13
	v_max3_f32 v77, v77, v80, v81
	v_cmp_gt_i32_e64 s15, s18, v73
	v_cmp_gt_i32_e64 s16, s18, v74
	v_mul_f32_e32 v85, s19, v126
	v_cmp_gt_i32_e64 s17, s18, v75
	v_max3_f32 v71, v77, v71, v72
	v_cndmask_b32_e64 v73, 0xff7fffff, v88, s15
	v_cndmask_b32_e64 v74, 0xff7fffff, v87, s16
	v_cmp_gt_i32_e64 s18, s18, v76
	v_cndmask_b32_e64 v72, 0xff7fffff, v86, s17
	s_delay_alu instid0(VALU_DEP_3) | instskip(NEXT) | instid1(VALU_DEP_3)
	v_max3_f32 v71, v71, v73, v74
	v_cndmask_b32_e64 v75, 0xff7fffff, v85, s18
	v_lshlrev_b32_e32 v73, 2, v136
	s_delay_alu instid0(VALU_DEP_2) | instskip(SKIP_3) | instid1(VALU_DEP_1)
	v_max3_f32 v71, v71, v72, v75
	ds_bpermute_b32 v72, v73, v71
	s_waitcnt lgkmcnt(0)
	v_max_f32_e32 v72, v72, v72
	v_max_f32_e32 v71, v71, v72
	s_delay_alu instid0(VALU_DEP_1) | instskip(SKIP_2) | instid1(VALU_DEP_3)
	v_fma_f32 v72, s19, v127, -v71
	v_fma_f32 v74, s19, v128, -v71
	;; [unrolled: 1-line block ×3, first 2 shown]
	v_mul_f32_e32 v72, 0x3fb8aa3b, v72
	s_delay_alu instid0(VALU_DEP_2) | instskip(NEXT) | instid1(VALU_DEP_2)
	v_dual_mul_f32 v74, 0x3fb8aa3b, v74 :: v_dual_mul_f32 v75, 0x3fb8aa3b, v75
	v_exp_f32_e32 v72, v72
	s_delay_alu instid0(VALU_DEP_1) | instskip(NEXT) | instid1(VALU_DEP_1)
	v_exp_f32_e32 v74, v74
	v_exp_f32_e32 v75, v75
	s_delay_alu instid0(TRANS32_DEP_3)
	v_cndmask_b32_e32 v79, 0, v72, vcc_lo
	s_waitcnt_depctr 0xfff
	v_cndmask_b32_e64 v78, 0, v74, s3
	v_cndmask_b32_e64 v81, 0, v75, s4
	v_cmp_gt_u32_e64 s3, 16, v70
	v_add_f32_e32 v74, 0, v79
	s_delay_alu instid0(VALU_DEP_1) | instskip(NEXT) | instid1(VALU_DEP_1)
	v_add_f32_e32 v74, v74, v78
	v_add_f32_e32 v74, v74, v81
	v_fma_f32 v76, s19, v130, -v71
	v_fma_f32 v77, s19, v131, -v71
	;; [unrolled: 1-line block ×5, first 2 shown]
	s_delay_alu instid0(VALU_DEP_4) | instskip(NEXT) | instid1(VALU_DEP_4)
	v_dual_mul_f32 v76, 0x3fb8aa3b, v76 :: v_dual_mul_f32 v77, 0x3fb8aa3b, v77
	v_mul_f32_e32 v72, 0x3fb8aa3b, v72
	s_delay_alu instid0(VALU_DEP_4) | instskip(SKIP_1) | instid1(VALU_DEP_4)
	v_mul_f32_e32 v82, 0x3fb8aa3b, v80
	v_fma_f32 v86, s19, v122, -v71
	v_exp_f32_e32 v76, v76
	v_exp_f32_e32 v77, v77
	;; [unrolled: 1-line block ×4, first 2 shown]
	v_mul_f32_e32 v86, 0x3fb8aa3b, v86
	s_delay_alu instid0(VALU_DEP_1)
	v_exp_f32_e32 v88, v86
	v_cndmask_b32_e64 v80, 0, v76, s5
	v_mul_f32_e32 v75, 0x3fb8aa3b, v75
	v_fma_f32 v76, s19, v119, -v71
	v_cndmask_b32_e64 v83, 0, v77, s6
	v_fma_f32 v77, s19, v120, -v71
	v_add_f32_e32 v74, v74, v80
	v_exp_f32_e32 v75, v75
	v_mul_f32_e32 v76, 0x3fb8aa3b, v76
	v_cndmask_b32_e64 v82, 0, v72, s7
	s_delay_alu instid0(VALU_DEP_3) | instskip(SKIP_1) | instid1(VALU_DEP_4)
	v_dual_mul_f32 v77, 0x3fb8aa3b, v77 :: v_dual_add_f32 v72, v74, v83
	v_fma_f32 v74, s19, v121, -v71
	v_exp_f32_e32 v76, v76
	v_cndmask_b32_e64 v85, 0, v84, s8
	s_delay_alu instid0(VALU_DEP_3) | instskip(SKIP_1) | instid1(TRANS32_DEP_3)
	v_exp_f32_e32 v77, v77
	v_cndmask_b32_e64 v88, 0, v88, s13
	v_cndmask_b32_e64 v84, 0, v75, s9
	v_fma_f32 v75, s19, v123, -v71
	v_add_f32_e32 v72, v72, v82
	s_delay_alu instid0(VALU_DEP_2) | instskip(NEXT) | instid1(VALU_DEP_2)
	v_dual_mul_f32 v74, 0x3fb8aa3b, v74 :: v_dual_mul_f32 v75, 0x3fb8aa3b, v75
	v_add_f32_e32 v72, v72, v85
	s_delay_alu instid0(VALU_DEP_2)
	v_exp_f32_e32 v74, v74
	v_cndmask_b32_e64 v87, 0, v76, s10
	v_fma_f32 v76, s19, v124, -v71
	v_cndmask_b32_e64 v86, 0, v77, s11
	v_add_f32_e32 v72, v72, v84
	v_fma_f32 v77, s19, v125, -v71
	v_exp_f32_e32 v75, v75
	v_mul_f32_e32 v76, 0x3fb8aa3b, v76
	s_delay_alu instid0(VALU_DEP_3) | instskip(NEXT) | instid1(TRANS32_DEP_2)
	v_add_f32_e32 v72, v72, v87
	v_cndmask_b32_e64 v89, 0, v74, s12
	v_mul_f32_e32 v74, 0x3fb8aa3b, v77
	s_delay_alu instid0(VALU_DEP_4) | instskip(SKIP_2) | instid1(VALU_DEP_3)
	v_exp_f32_e32 v76, v76
	v_fma_f32 v77, s19, v126, -v71
	v_add_f32_e32 v72, v72, v86
	v_exp_f32_e32 v74, v74
	s_delay_alu instid0(TRANS32_DEP_3) | instskip(NEXT) | instid1(VALU_DEP_3)
	v_cndmask_b32_e64 v91, 0, v75, s15
	v_mul_f32_e32 v75, 0x3fb8aa3b, v77
	s_delay_alu instid0(VALU_DEP_3) | instskip(NEXT) | instid1(TRANS32_DEP_2)
	v_add_f32_e32 v72, v72, v89
	v_cndmask_b32_e64 v90, 0, v76, s16
	s_delay_alu instid0(VALU_DEP_3) | instskip(NEXT) | instid1(VALU_DEP_2)
	v_exp_f32_e32 v75, v75
	v_add_f32_e32 v72, v72, v88
	s_delay_alu instid0(TRANS32_DEP_2) | instskip(NEXT) | instid1(VALU_DEP_2)
	v_cndmask_b32_e64 v93, 0, v74, s17
	v_add_f32_e32 v72, v72, v91
	s_waitcnt_depctr 0xfff
	v_cndmask_b32_e64 v92, 0, v75, s18
	v_add_f32_e32 v72, v72, v90
	s_delay_alu instid0(VALU_DEP_1) | instskip(NEXT) | instid1(VALU_DEP_1)
	v_add_f32_e32 v72, v72, v93
	v_add_f32_e32 v72, v72, v92
	ds_bpermute_b32 v73, v73, v72
	s_and_saveexec_b32 s4, s3
	s_cbranch_execz .LBB1216_12
; %bb.11:
	v_mul_u32_u24_e32 v70, 0x44, v69
	s_waitcnt lgkmcnt(0)
	v_add_f32_e32 v72, v72, v73
	s_delay_alu instid0(VALU_DEP_2) | instskip(NEXT) | instid1(VALU_DEP_1)
	v_lshl_add_u32 v70, v68, 2, v70
	v_add_nc_u32_e32 v70, 0x4000, v70
	ds_store_2addr_b32 v70, v71, v72 offset1:136
.LBB1216_12:
	s_or_b32 exec_lo, exec_lo, s4
	v_lshlrev_b32_e32 v70, 2, v68
	s_load_b32 s36, s[0:1], 0x94
	s_waitcnt lgkmcnt(0)
	s_barrier
	buffer_gl0_inv
	v_add_nc_u32_e32 v98, 0x4000, v70
	v_cmp_eq_u32_e32 vcc_lo, 1, v69
	v_cmp_eq_u32_e64 s4, 2, v69
	v_cmp_eq_u32_e64 s5, 3, v69
	;; [unrolled: 1-line block ×3, first 2 shown]
	ds_load_2addr_b32 v[70:71], v98 offset1:17
	ds_load_2addr_b32 v[72:73], v98 offset0:34 offset1:51
	ds_load_2addr_b32 v[74:75], v98 offset0:68 offset1:85
	;; [unrolled: 1-line block ×3, first 2 shown]
	v_cmp_eq_u32_e64 s7, 5, v69
	v_cmp_eq_u32_e64 s8, 7, v69
	s_waitcnt lgkmcnt(3)
	v_max3_f32 v76, v70, 0xff7fffff, v71
	s_waitcnt lgkmcnt(2)
	s_delay_alu instid0(VALU_DEP_1) | instskip(SKIP_1) | instid1(VALU_DEP_1)
	v_max3_f32 v76, v76, v72, v73
	s_waitcnt lgkmcnt(1)
	v_max3_f32 v76, v76, v74, v75
	s_waitcnt lgkmcnt(0)
	s_delay_alu instid0(VALU_DEP_1) | instskip(NEXT) | instid1(VALU_DEP_1)
	v_max3_f32 v76, v76, v94, v95
	v_sub_f32_e32 v77, v71, v76
	ds_load_2addr_b32 v[96:97], v98 offset0:136 offset1:153
	v_sub_f32_e32 v74, v74, v76
	v_sub_f32_e32 v70, v70, v76
	;; [unrolled: 1-line block ×3, first 2 shown]
	v_dual_sub_f32 v72, v72, v76 :: v_dual_mul_f32 v77, 0x3fb8aa3b, v77
	s_delay_alu instid0(VALU_DEP_4) | instskip(NEXT) | instid1(VALU_DEP_4)
	v_mul_f32_e32 v103, 0x3fb8aa3b, v74
	v_mul_f32_e32 v99, 0x3fb8aa3b, v70
	ds_load_2addr_b32 v[70:71], v98 offset0:170 offset1:187
	v_dual_mul_f32 v101, 0x3fb8aa3b, v72 :: v_dual_mul_f32 v94, 0x3fb8aa3b, v94
	v_exp_f32_e32 v102, v77
	v_exp_f32_e32 v99, v99
	s_delay_alu instid0(VALU_DEP_1) | instskip(NEXT) | instid1(VALU_DEP_1)
	v_exp_f32_e32 v101, v101
	v_exp_f32_e32 v94, v94
	s_waitcnt lgkmcnt(1)
	s_delay_alu instid0(TRANS32_DEP_3)
	v_fma_f32 v77, v99, v96, 0
	v_sub_f32_e32 v100, v73, v76
	ds_load_2addr_b32 v[72:73], v98 offset0:204 offset1:221
	v_fmac_f32_e32 v77, v102, v97
	v_exp_f32_e32 v97, v103
	s_waitcnt lgkmcnt(1)
	s_delay_alu instid0(VALU_DEP_1)
	v_dual_fmac_f32 v77, v101, v70 :: v_dual_sub_f32 v96, v75, v76
	ds_load_2addr_b32 v[74:75], v98 offset0:238 offset1:255
	v_sub_f32_e32 v70, v95, v76
	s_waitcnt lgkmcnt(0)
	s_barrier
	v_mul_f32_e32 v96, 0x3fb8aa3b, v96
	buffer_gl0_inv
	v_exp_f32_e32 v95, v96
	v_mul_f32_e32 v100, 0x3fb8aa3b, v100
	s_delay_alu instid0(VALU_DEP_1) | instskip(SKIP_3) | instid1(VALU_DEP_2)
	v_exp_f32_e32 v100, v100
	s_waitcnt_depctr 0xfff
	v_dual_fmac_f32 v77, v100, v71 :: v_dual_mul_f32 v70, 0x3fb8aa3b, v70
	v_cndmask_b32_e32 v71, v99, v102, vcc_lo
	v_fmac_f32_e32 v77, v97, v72
	s_delay_alu instid0(VALU_DEP_3) | instskip(NEXT) | instid1(VALU_DEP_1)
	v_exp_f32_e32 v96, v70
	v_fmac_f32_e32 v77, v95, v73
	s_delay_alu instid0(VALU_DEP_1) | instskip(SKIP_2) | instid1(VALU_DEP_1)
	v_fmac_f32_e32 v77, v94, v74
	s_waitcnt_depctr 0xfff
	v_fmac_f32_e32 v77, v96, v75
	v_add_f32_e32 v74, 0x358637bd, v77
	s_delay_alu instid0(VALU_DEP_1) | instskip(SKIP_1) | instid1(VALU_DEP_2)
	v_div_scale_f32 v98, null, v74, v74, 1.0
	v_div_scale_f32 v99, vcc_lo, 1.0, v74, 1.0
	v_rcp_f32_e32 v103, v98
	s_waitcnt_depctr 0xfff
	v_fma_f32 v70, -v98, v103, 1.0
	s_delay_alu instid0(VALU_DEP_1) | instskip(SKIP_2) | instid1(VALU_DEP_2)
	v_fmac_f32_e32 v103, v70, v103
	v_cndmask_b32_e64 v70, v71, v101, s4
	v_cmp_eq_u32_e64 s4, 6, v69
	v_cndmask_b32_e64 v71, v70, v100, s5
	s_delay_alu instid0(VALU_DEP_4) | instskip(NEXT) | instid1(VALU_DEP_2)
	v_dual_mul_f32 v101, v99, v103 :: v_dual_lshlrev_b32 v70, 2, v66
	v_cndmask_b32_e64 v71, v71, v97, s6
	s_delay_alu instid0(VALU_DEP_2) | instskip(NEXT) | instid1(VALU_DEP_3)
	v_or_b32_e32 v72, 1, v70
	v_fma_f32 v100, -v98, v101, v99
	v_cmp_eq_u32_e64 s5, 1, v70
	v_cmp_eq_u32_e64 s6, 2, v70
	v_cndmask_b32_e64 v95, v71, v95, s7
	v_or_b32_e32 v71, 3, v70
	v_fmac_f32_e32 v101, v100, v103
	v_cmp_eq_u32_e64 s10, 1, v72
	v_cmp_eq_u32_e64 s13, 2, v72
	v_cndmask_b32_e64 v94, v95, v94, s4
	v_cmp_eq_u32_e64 s12, 1, v71
	v_fma_f32 v97, -v98, v101, v99
	v_cmp_eq_u32_e64 s17, 2, v71
	v_cmp_eq_u32_e64 s15, 3, v72
	v_cndmask_b32_e64 v94, v94, v96, s8
	v_cmp_eq_u32_e64 s19, 3, v71
	v_div_fmas_f32 v95, v97, v103, v101
	v_cmp_eq_u32_e32 vcc_lo, 3, v70
	v_cmp_eq_u32_e64 s4, 4, v70
	v_cmp_eq_u32_e64 s20, 4, v72
	;; [unrolled: 1-line block ×3, first 2 shown]
	v_div_fixup_f32 v95, v95, v74, 1.0
	v_lshlrev_b32_e32 v73, 6, v68
	v_cmp_eq_u32_e64 s7, 5, v70
	v_cmp_eq_u32_e64 s21, 5, v72
	;; [unrolled: 1-line block ×3, first 2 shown]
	v_mul_f32_e32 v102, v94, v95
	v_lshl_or_b32 v75, v69, 11, v73
	v_or_b32_e32 v69, 2, v70
	v_cmp_eq_u32_e64 s26, 6, v72
	v_cmp_eq_u32_e64 s28, 6, v71
	v_fma_mixlo_f16 v94, v102, v79, 0
	v_fma_mixlo_f16 v95, v102, v81, 0
	;; [unrolled: 1-line block ×8, first 2 shown]
	v_lshl_or_b32 v74, v66, 4, v75
	v_fma_mixhi_f16 v94, v102, v78, 0
	v_fma_mixhi_f16 v95, v102, v80, 0
	;; [unrolled: 1-line block ×8, first 2 shown]
	ds_store_b128 v74, v[94:97]
	ds_store_b128 v74, v[98:101] offset:1024
	s_waitcnt lgkmcnt(0)
	s_barrier
	buffer_gl0_inv
	ds_load_b128 v[78:81], v75
	ds_load_b128 v[82:85], v75 offset:16
	ds_load_b128 v[86:89], v75 offset:1024
	;; [unrolled: 1-line block ×3, first 2 shown]
	v_cmp_eq_u32_e64 s11, 1, v69
	v_cmp_eq_u32_e64 s16, 2, v69
	;; [unrolled: 1-line block ×11, first 2 shown]
	s_waitcnt lgkmcnt(3)
	v_lshrrev_b32_e32 v94, 16, v78
	s_waitcnt lgkmcnt(2)
	v_lshrrev_b32_e32 v98, 16, v82
	;; [unrolled: 2-line block ×4, first 2 shown]
	v_lshrrev_b32_e32 v95, 16, v79
	v_cndmask_b32_e64 v110, v78, v94, s5
	v_cndmask_b32_e64 v111, v82, v98, s5
	;; [unrolled: 1-line block ×8, first 2 shown]
	v_lshrrev_b32_e32 v99, 16, v83
	v_cndmask_b32_e64 v94, v86, v102, s5
	v_cndmask_b32_e64 v98, v90, v106, s5
	;; [unrolled: 1-line block ×15, first 2 shown]
	v_lshrrev_b32_e32 v103, 16, v87
	v_lshrrev_b32_e32 v107, 16, v91
	v_cndmask_b32_e64 v113, v115, v83, s16
	v_cndmask_b32_e64 v82, v94, v87, s6
	;; [unrolled: 1-line block ×7, first 2 shown]
	v_cndmask_b32_e32 v90, v102, v95, vcc_lo
	v_cndmask_b32_e32 v102, v106, v99, vcc_lo
	v_cndmask_b32_e64 v106, v110, v95, s15
	v_cndmask_b32_e64 v110, v111, v99, s15
	v_cndmask_b32_e64 v78, v78, v95, s19
	v_cndmask_b32_e64 v79, v79, v99, s19
	v_lshrrev_b32_e32 v96, 16, v80
	v_lshrrev_b32_e32 v100, 16, v84
	v_cndmask_b32_e64 v111, v112, v95, s18
	v_cndmask_b32_e64 v112, v113, v99, s18
	v_cndmask_b32_e32 v82, v82, v103, vcc_lo
	v_cndmask_b32_e32 v83, v83, v107, vcc_lo
	v_cndmask_b32_e64 v94, v94, v103, s15
	v_cndmask_b32_e64 v90, v90, v80, s4
	;; [unrolled: 1-line block ×7, first 2 shown]
	v_lshrrev_b32_e32 v104, 16, v88
	v_cndmask_b32_e64 v106, v111, v80, s22
	v_cndmask_b32_e64 v110, v112, v84, s22
	;; [unrolled: 1-line block ×11, first 2 shown]
	v_lshrrev_b32_e32 v97, 16, v81
	v_lshrrev_b32_e32 v101, 16, v85
	v_cndmask_b32_e64 v99, v106, v96, s24
	v_cndmask_b32_e64 v102, v110, v100, s24
	;; [unrolled: 1-line block ×7, first 2 shown]
	v_lshrrev_b32_e32 v105, 16, v89
	v_cndmask_b32_e64 v80, v80, v104, s7
	v_cndmask_b32_e64 v84, v84, v81, s8
	;; [unrolled: 1-line block ×16, first 2 shown]
	v_perm_b32 v81, v79, v78, 0x5040100
	v_perm_b32 v79, v95, v85, 0x5040100
	v_cndmask_b32_e64 v78, v119, v91, s16
	v_cndmask_b32_e64 v85, v117, v91, s13
	;; [unrolled: 1-line block ×3, first 2 shown]
	v_perm_b32 v80, v94, v90, 0x5040100
	v_cndmask_b32_e64 v90, v98, v103, s18
	v_cndmask_b32_e64 v86, v86, v103, s19
	;; [unrolled: 1-line block ×5, first 2 shown]
	v_lshrrev_b32_e32 v108, 16, v92
	v_cndmask_b32_e64 v90, v90, v88, s22
	v_cndmask_b32_e64 v86, v86, v88, s23
	;; [unrolled: 1-line block ×11, first 2 shown]
	v_lshrrev_b32_e32 v109, 16, v93
	v_cndmask_b32_e64 v82, v82, v93, s8
	v_cndmask_b32_e64 v88, v88, v89, s27
	;; [unrolled: 1-line block ×12, first 2 shown]
	v_perm_b32 v78, v84, v83, 0x5040100
	v_perm_b32 v85, v87, v86, 0x5040100
	;; [unrolled: 1-line block ×5, first 2 shown]
	s_mul_i32 s9, s35, 3
	s_mov_b32 s4, exec_lo
	ds_store_b128 v74, v[78:81]
	ds_store_b128 v74, v[82:85] offset:1024
	v_cmpx_gt_u32_e32 3, v0
	s_cbranch_execz .LBB1216_14
; %bb.13:
	s_mul_i32 s5, s9, s34
	s_load_b128 s[16:19], s[0:1], 0x58
	v_add3_u32 v68, s5, s33, v68
	s_delay_alu instid0(VALU_DEP_1) | instskip(NEXT) | instid1(VALU_DEP_1)
	v_mad_u64_u32 v[78:79], null, v68, s36, s[14:15]
	v_ashrrev_i32_e32 v79, 31, v78
	s_delay_alu instid0(VALU_DEP_1) | instskip(SKIP_1) | instid1(VALU_DEP_1)
	v_lshlrev_b64 v[78:79], 2, v[78:79]
	s_waitcnt lgkmcnt(0)
	v_add_co_u32 v80, vcc_lo, s18, v78
	s_delay_alu instid0(VALU_DEP_2)
	v_add_co_ci_u32_e32 v81, vcc_lo, s19, v79, vcc_lo
	v_add_co_u32 v78, vcc_lo, s16, v78
	v_add_co_ci_u32_e32 v79, vcc_lo, s17, v79, vcc_lo
	global_store_b32 v[80:81], v76, off
	global_store_b32 v[78:79], v77, off
.LBB1216_14:
	s_or_b32 exec_lo, exec_lo, s4
	s_waitcnt lgkmcnt(0)
	s_waitcnt_vscnt null, 0x0
	s_barrier
	buffer_gl0_inv
	ds_load_b128 v[84:87], v73
	ds_load_b128 v[88:91], v73 offset:16
	ds_load_b128 v[96:99], v73 offset:2064
	;; [unrolled: 1-line block ×5, first 2 shown]
	v_cmp_eq_u32_e32 vcc_lo, 1, v70
	v_mov_b32_e32 v76, 0
	ds_load_b128 v[112:115], v73 offset:6160
	ds_load_b128 v[108:111], v73 offset:6144
	;; [unrolled: 1-line block ×4, first 2 shown]
	v_cmp_eq_u32_e64 s5, 1, v69
	v_cmp_eq_u32_e64 s4, 1, v72
	;; [unrolled: 1-line block ×3, first 2 shown]
	v_mov_b32_e32 v77, v76
	v_mov_b32_e32 v78, v76
	v_mov_b32_e32 v79, v76
	v_mov_b32_e32 v80, v76
	v_mov_b32_e32 v81, v76
	v_mov_b32_e32 v82, v76
	v_mov_b32_e32 v83, v76
	v_cmp_eq_u32_e64 s7, 3, v72
	v_cmp_eq_u32_e64 s8, 7, v72
	s_waitcnt lgkmcnt(8)
	s_delay_alu instid0(VALU_DEP_3)
	v_wmma_f32_16x16x16_f16 v[76:83], v[49:56], v[84:91], v[76:83]
	ds_load_b128 v[53:56], v73 offset:10256
	ds_load_b128 v[49:52], v73 offset:10240
	s_waitcnt lgkmcnt(8)
	v_wmma_f32_16x16x16_f16 v[76:83], v[41:48], v[92:99], v[76:83]
	ds_load_b128 v[45:48], v73 offset:12304
	ds_load_b128 v[41:44], v73 offset:12288
	s_waitcnt lgkmcnt(8)
	v_wmma_f32_16x16x16_f16 v[76:83], v[33:40], v[100:107], v[76:83]
	ds_load_b128 v[37:40], v73 offset:14352
	ds_load_b128 v[33:36], v73 offset:14336
	s_waitcnt lgkmcnt(0)
	s_barrier
	buffer_gl0_inv
	v_wmma_f32_16x16x16_f16 v[76:83], v[1:8], v[108:115], v[76:83]
	s_delay_alu instid0(VALU_DEP_1) | instskip(NEXT) | instid1(VALU_DEP_1)
	v_wmma_f32_16x16x16_f16 v[76:83], v[9:16], v[116:123], v[76:83]
	v_wmma_f32_16x16x16_f16 v[76:83], v[17:24], v[49:56], v[76:83]
	s_delay_alu instid0(VALU_DEP_1) | instskip(NEXT) | instid1(VALU_DEP_1)
	v_wmma_f32_16x16x16_f16 v[76:83], v[25:32], v[41:48], v[76:83]
	v_wmma_f32_16x16x16_f16 v[76:83], v[57:64], v[33:40], v[76:83]
	s_delay_alu instid0(VALU_DEP_1) | instskip(NEXT) | instid1(VALU_DEP_2)
	v_cvt_f16_f32_e32 v1, v76
	v_cvt_f16_f32_e32 v2, v77
	s_delay_alu instid0(VALU_DEP_3) | instskip(NEXT) | instid1(VALU_DEP_4)
	v_cvt_f16_f32_e32 v3, v78
	v_cvt_f16_f32_e32 v4, v79
	;; [unrolled: 1-line block ×6, first 2 shown]
	v_pack_b32_f16 v1, v1, v2
	v_pack_b32_f16 v2, v3, v4
	;; [unrolled: 1-line block ×3, first 2 shown]
	s_delay_alu instid0(VALU_DEP_4)
	v_pack_b32_f16 v4, v7, v8
	ds_store_b128 v74, v[1:4]
	s_waitcnt lgkmcnt(0)
	s_barrier
	buffer_gl0_inv
	ds_load_b128 v[1:4], v75
	ds_load_b128 v[5:8], v75 offset:16
	s_waitcnt lgkmcnt(1)
	v_lshrrev_b32_e32 v9, 16, v1
	s_waitcnt lgkmcnt(0)
	v_lshrrev_b32_e32 v13, 16, v5
	v_lshrrev_b32_e32 v10, 16, v2
	;; [unrolled: 1-line block ×4, first 2 shown]
	v_cndmask_b32_e32 v17, v1, v9, vcc_lo
	v_cndmask_b32_e32 v18, v5, v13, vcc_lo
	v_cndmask_b32_e64 v21, v1, v9, s5
	v_cmp_eq_u32_e32 vcc_lo, 1, v71
	v_cndmask_b32_e64 v22, v5, v13, s5
	v_cmp_eq_u32_e64 s5, 2, v70
	v_cndmask_b32_e64 v19, v1, v9, s4
	v_cndmask_b32_e64 v20, v5, v13, s4
	v_cndmask_b32_e32 v1, v1, v9, vcc_lo
	v_cmp_eq_u32_e64 s4, 2, v71
	v_cndmask_b32_e32 v5, v5, v13, vcc_lo
	v_cndmask_b32_e64 v9, v17, v2, s5
	v_cmp_eq_u32_e32 vcc_lo, 3, v70
	v_cndmask_b32_e64 v13, v18, v6, s5
	v_cmp_eq_u32_e64 s5, 2, v69
	v_cndmask_b32_e64 v17, v19, v2, s6
	v_cndmask_b32_e64 v18, v20, v6, s6
	v_cmp_eq_u32_e64 s6, 3, v69
	v_cndmask_b32_e64 v1, v1, v2, s4
	v_cndmask_b32_e64 v19, v21, v2, s5
	;; [unrolled: 1-line block ×4, first 2 shown]
	v_cndmask_b32_e32 v5, v9, v10, vcc_lo
	v_cndmask_b32_e32 v6, v13, v14, vcc_lo
	v_cmp_eq_u32_e32 vcc_lo, 3, v71
	v_cndmask_b32_e64 v9, v17, v10, s7
	v_cndmask_b32_e64 v13, v18, v14, s7
	;; [unrolled: 1-line block ×3, first 2 shown]
	v_cmp_eq_u32_e64 s5, 4, v70
	v_cndmask_b32_e32 v1, v1, v10, vcc_lo
	v_cndmask_b32_e32 v2, v2, v14, vcc_lo
	v_cmp_eq_u32_e32 vcc_lo, 4, v72
	v_lshrrev_b32_e32 v15, 16, v7
	v_lshrrev_b32_e32 v16, 16, v8
	v_cndmask_b32_e64 v17, v19, v10, s6
	v_cmp_eq_u32_e64 s4, 4, v71
	v_cndmask_b32_e64 v5, v5, v3, s5
	v_cndmask_b32_e64 v6, v6, v7, s5
	v_cndmask_b32_e32 v9, v9, v3, vcc_lo
	v_cmp_eq_u32_e64 s5, 5, v72
	v_cndmask_b32_e32 v10, v13, v7, vcc_lo
	v_cmp_eq_u32_e32 vcc_lo, 4, v69
	v_cmp_eq_u32_e64 s6, 5, v70
	v_cndmask_b32_e64 v2, v2, v7, s4
	v_cndmask_b32_e64 v9, v9, v11, s5
	;; [unrolled: 1-line block ×3, first 2 shown]
	v_cndmask_b32_e32 v13, v17, v3, vcc_lo
	v_cmp_eq_u32_e64 s5, 5, v69
	v_cndmask_b32_e32 v14, v18, v7, vcc_lo
	v_cndmask_b32_e64 v1, v1, v3, s4
	v_cmp_eq_u32_e32 vcc_lo, 5, v71
	v_lshrrev_b32_e32 v12, 16, v4
	v_cndmask_b32_e64 v13, v13, v11, s5
	v_cndmask_b32_e64 v3, v14, v15, s5
	v_cmp_eq_u32_e64 s5, 6, v71
	v_cndmask_b32_e32 v1, v1, v11, vcc_lo
	v_cndmask_b32_e64 v5, v5, v11, s6
	v_cmp_eq_u32_e64 s7, 6, v70
	v_cndmask_b32_e64 v6, v6, v15, s6
	v_cmp_eq_u32_e64 s6, 6, v72
	v_cmp_eq_u32_e64 s4, 6, v69
	v_cndmask_b32_e64 v1, v1, v4, s5
	v_cndmask_b32_e32 v2, v2, v15, vcc_lo
	v_cmp_eq_u32_e32 vcc_lo, 7, v71
	v_cndmask_b32_e64 v5, v5, v4, s7
	v_cndmask_b32_e64 v9, v9, v4, s6
	;; [unrolled: 1-line block ×3, first 2 shown]
	v_cmp_eq_u32_e64 s7, 7, v70
	v_cndmask_b32_e32 v1, v1, v12, vcc_lo
	v_cndmask_b32_e64 v7, v13, v4, s4
	v_cndmask_b32_e64 v3, v3, v8, s4
	;; [unrolled: 1-line block ×3, first 2 shown]
	v_cmp_eq_u32_e64 s4, 7, v69
	v_cndmask_b32_e64 v4, v10, v8, s6
	v_cndmask_b32_e64 v5, v5, v12, s7
	;; [unrolled: 1-line block ×3, first 2 shown]
	v_cndmask_b32_e32 v2, v2, v16, vcc_lo
	v_cndmask_b32_e64 v7, v7, v12, s4
	v_cndmask_b32_e64 v3, v3, v16, s4
	;; [unrolled: 1-line block ×4, first 2 shown]
	v_cmp_gt_u32_e32 vcc_lo, 32, v0
	v_perm_b32 v4, v2, v1, 0x5040100
	v_perm_b32 v3, v3, v7, 0x5040100
	;; [unrolled: 1-line block ×4, first 2 shown]
	s_and_b32 s2, vcc_lo, s2
	ds_store_b128 v74, v[1:4]
	s_waitcnt lgkmcnt(0)
	s_barrier
	buffer_gl0_inv
	s_and_saveexec_b32 s4, s2
	s_cbranch_execz .LBB1216_2
; %bb.15:
	s_load_b64 s[4:5], s[0:1], 0x68
	v_lshlrev_b32_e32 v0, 10, v0
	v_lshlrev_b32_e32 v2, 4, v67
	v_add_nc_u32_e32 v1, s33, v66
	s_lshl_b32 s0, s36, 6
	s_delay_alu instid0(SALU_CYCLE_1) | instskip(NEXT) | instid1(VALU_DEP_2)
	s_mul_i32 s1, s0, s34
	v_and_or_b32 v0, 0x3800, v0, v2
	s_mul_i32 s6, s1, s9
	v_mul_lo_u32 v1, v1, s0
	s_ashr_i32 s7, s6, 31
	s_delay_alu instid0(VALU_DEP_2) | instskip(SKIP_1) | instid1(VALU_DEP_2)
	v_lshl_or_b32 v3, v66, 6, v0
	s_lshl_b64 s[6:7], s[6:7], 1
	v_ashrrev_i32_e32 v2, 31, v1
	ds_load_b128 v[3:6], v3
	s_waitcnt lgkmcnt(0)
	s_add_u32 s1, s4, s6
	s_addc_u32 s2, s5, s7
	s_lshl_b32 s4, s14, 6
	v_lshlrev_b64 v[7:8], 1, v[1:2]
	s_ashr_i32 s5, s4, 31
	s_delay_alu instid0(SALU_CYCLE_1) | instskip(NEXT) | instid1(SALU_CYCLE_1)
	s_lshl_b64 s[4:5], s[4:5], 1
	s_add_u32 s1, s1, s4
	s_addc_u32 s2, s2, s5
	v_add_co_u32 v1, s1, s1, v65
	s_delay_alu instid0(VALU_DEP_1) | instskip(NEXT) | instid1(VALU_DEP_2)
	v_add_co_ci_u32_e64 v2, null, s2, 0, s1
	v_add_co_u32 v7, vcc_lo, v1, v7
	s_delay_alu instid0(VALU_DEP_2)
	v_add_co_ci_u32_e32 v8, vcc_lo, v2, v8, vcc_lo
	global_store_b128 v[7:8], v[3:6], off
	s_and_b32 exec_lo, exec_lo, s3
	s_cbranch_execz .LBB1216_2
; %bb.16:
	ds_load_b128 v[3:6], v0 offset:128
	s_add_i32 s1, s33, 2
	s_delay_alu instid0(SALU_CYCLE_1) | instskip(NEXT) | instid1(SALU_CYCLE_1)
	s_mul_i32 s0, s1, s0
	s_ashr_i32 s1, s0, 31
	s_delay_alu instid0(SALU_CYCLE_1) | instskip(NEXT) | instid1(SALU_CYCLE_1)
	s_lshl_b64 s[0:1], s[0:1], 1
	v_add_co_u32 v0, vcc_lo, v1, s0
	v_add_co_ci_u32_e32 v1, vcc_lo, s1, v2, vcc_lo
	s_waitcnt lgkmcnt(0)
	global_store_b128 v[0:1], v[3:6], off
	s_nop 0
	s_sendmsg sendmsg(MSG_DEALLOC_VGPRS)
	s_endpgm
	.section	.rodata,"a",@progbits
	.p2align	6, 0x0
	.amdhsa_kernel _Z39paged_attention_ll4mi_QKV_mfma16_kernelIDF16_hLN4vllm18Fp8KVCacheDataTypeE1EDF16_Li32ELi64ELi256ELb0ELi3EL8MFMAType0EEvPKT_PKT0_S8_ifPKiSA_SA_iPKfiiiPfSD_PS3_PT2_iSC_SC_
		.amdhsa_group_segment_fixed_size 17472
		.amdhsa_private_segment_fixed_size 0
		.amdhsa_kernarg_size 400
		.amdhsa_user_sgpr_count 13
		.amdhsa_user_sgpr_dispatch_ptr 0
		.amdhsa_user_sgpr_queue_ptr 0
		.amdhsa_user_sgpr_kernarg_segment_ptr 1
		.amdhsa_user_sgpr_dispatch_id 0
		.amdhsa_user_sgpr_private_segment_size 0
		.amdhsa_wavefront_size32 1
		.amdhsa_uses_dynamic_stack 0
		.amdhsa_enable_private_segment 0
		.amdhsa_system_sgpr_workgroup_id_x 1
		.amdhsa_system_sgpr_workgroup_id_y 1
		.amdhsa_system_sgpr_workgroup_id_z 1
		.amdhsa_system_sgpr_workgroup_info 0
		.amdhsa_system_vgpr_workitem_id 0
		.amdhsa_next_free_vgpr 146
		.amdhsa_next_free_sgpr 37
		.amdhsa_reserve_vcc 1
		.amdhsa_float_round_mode_32 0
		.amdhsa_float_round_mode_16_64 0
		.amdhsa_float_denorm_mode_32 3
		.amdhsa_float_denorm_mode_16_64 3
		.amdhsa_dx10_clamp 1
		.amdhsa_ieee_mode 1
		.amdhsa_fp16_overflow 0
		.amdhsa_workgroup_processor_mode 1
		.amdhsa_memory_ordered 1
		.amdhsa_forward_progress 0
		.amdhsa_shared_vgpr_count 0
		.amdhsa_exception_fp_ieee_invalid_op 0
		.amdhsa_exception_fp_denorm_src 0
		.amdhsa_exception_fp_ieee_div_zero 0
		.amdhsa_exception_fp_ieee_overflow 0
		.amdhsa_exception_fp_ieee_underflow 0
		.amdhsa_exception_fp_ieee_inexact 0
		.amdhsa_exception_int_div_zero 0
	.end_amdhsa_kernel
	.section	.text._Z39paged_attention_ll4mi_QKV_mfma16_kernelIDF16_hLN4vllm18Fp8KVCacheDataTypeE1EDF16_Li32ELi64ELi256ELb0ELi3EL8MFMAType0EEvPKT_PKT0_S8_ifPKiSA_SA_iPKfiiiPfSD_PS3_PT2_iSC_SC_,"axG",@progbits,_Z39paged_attention_ll4mi_QKV_mfma16_kernelIDF16_hLN4vllm18Fp8KVCacheDataTypeE1EDF16_Li32ELi64ELi256ELb0ELi3EL8MFMAType0EEvPKT_PKT0_S8_ifPKiSA_SA_iPKfiiiPfSD_PS3_PT2_iSC_SC_,comdat
.Lfunc_end1216:
	.size	_Z39paged_attention_ll4mi_QKV_mfma16_kernelIDF16_hLN4vllm18Fp8KVCacheDataTypeE1EDF16_Li32ELi64ELi256ELb0ELi3EL8MFMAType0EEvPKT_PKT0_S8_ifPKiSA_SA_iPKfiiiPfSD_PS3_PT2_iSC_SC_, .Lfunc_end1216-_Z39paged_attention_ll4mi_QKV_mfma16_kernelIDF16_hLN4vllm18Fp8KVCacheDataTypeE1EDF16_Li32ELi64ELi256ELb0ELi3EL8MFMAType0EEvPKT_PKT0_S8_ifPKiSA_SA_iPKfiiiPfSD_PS3_PT2_iSC_SC_
                                        ; -- End function
	.section	.AMDGPU.csdata,"",@progbits
; Kernel info:
; codeLenInByte = 6420
; NumSgprs: 39
; NumVgprs: 146
; ScratchSize: 0
; MemoryBound: 0
; FloatMode: 240
; IeeeMode: 1
; LDSByteSize: 17472 bytes/workgroup (compile time only)
; SGPRBlocks: 4
; VGPRBlocks: 18
; NumSGPRsForWavesPerEU: 39
; NumVGPRsForWavesPerEU: 146
; Occupancy: 9
; WaveLimiterHint : 1
; COMPUTE_PGM_RSRC2:SCRATCH_EN: 0
; COMPUTE_PGM_RSRC2:USER_SGPR: 13
; COMPUTE_PGM_RSRC2:TRAP_HANDLER: 0
; COMPUTE_PGM_RSRC2:TGID_X_EN: 1
; COMPUTE_PGM_RSRC2:TGID_Y_EN: 1
; COMPUTE_PGM_RSRC2:TGID_Z_EN: 1
; COMPUTE_PGM_RSRC2:TIDIG_COMP_CNT: 0
	.section	.text._Z39paged_attention_ll4mi_QKV_mfma16_kernelIDF16_hLN4vllm18Fp8KVCacheDataTypeE1EDF16_Li32ELi64ELi256ELb0ELi4EL8MFMAType0EEvPKT_PKT0_S8_ifPKiSA_SA_iPKfiiiPfSD_PS3_PT2_iSC_SC_,"axG",@progbits,_Z39paged_attention_ll4mi_QKV_mfma16_kernelIDF16_hLN4vllm18Fp8KVCacheDataTypeE1EDF16_Li32ELi64ELi256ELb0ELi4EL8MFMAType0EEvPKT_PKT0_S8_ifPKiSA_SA_iPKfiiiPfSD_PS3_PT2_iSC_SC_,comdat
	.protected	_Z39paged_attention_ll4mi_QKV_mfma16_kernelIDF16_hLN4vllm18Fp8KVCacheDataTypeE1EDF16_Li32ELi64ELi256ELb0ELi4EL8MFMAType0EEvPKT_PKT0_S8_ifPKiSA_SA_iPKfiiiPfSD_PS3_PT2_iSC_SC_ ; -- Begin function _Z39paged_attention_ll4mi_QKV_mfma16_kernelIDF16_hLN4vllm18Fp8KVCacheDataTypeE1EDF16_Li32ELi64ELi256ELb0ELi4EL8MFMAType0EEvPKT_PKT0_S8_ifPKiSA_SA_iPKfiiiPfSD_PS3_PT2_iSC_SC_
	.globl	_Z39paged_attention_ll4mi_QKV_mfma16_kernelIDF16_hLN4vllm18Fp8KVCacheDataTypeE1EDF16_Li32ELi64ELi256ELb0ELi4EL8MFMAType0EEvPKT_PKT0_S8_ifPKiSA_SA_iPKfiiiPfSD_PS3_PT2_iSC_SC_
	.p2align	8
	.type	_Z39paged_attention_ll4mi_QKV_mfma16_kernelIDF16_hLN4vllm18Fp8KVCacheDataTypeE1EDF16_Li32ELi64ELi256ELb0ELi4EL8MFMAType0EEvPKT_PKT0_S8_ifPKiSA_SA_iPKfiiiPfSD_PS3_PT2_iSC_SC_,@function
_Z39paged_attention_ll4mi_QKV_mfma16_kernelIDF16_hLN4vllm18Fp8KVCacheDataTypeE1EDF16_Li32ELi64ELi256ELb0ELi4EL8MFMAType0EEvPKT_PKT0_S8_ifPKiSA_SA_iPKfiiiPfSD_PS3_PT2_iSC_SC_: ; @_Z39paged_attention_ll4mi_QKV_mfma16_kernelIDF16_hLN4vllm18Fp8KVCacheDataTypeE1EDF16_Li32ELi64ELi256ELb0ELi4EL8MFMAType0EEvPKT_PKT0_S8_ifPKiSA_SA_iPKfiiiPfSD_PS3_PT2_iSC_SC_
; %bb.0:
	s_load_b64 s[2:3], s[0:1], 0x30
	s_mov_b32 s34, s13
	s_waitcnt lgkmcnt(0)
	s_cmp_lg_u64 s[2:3], 0
	s_cselect_b32 s8, -1, 0
	s_ashr_i32 s35, s13, 31
	s_cmp_eq_u64 s[2:3], 0
	s_cbranch_scc1 .LBB1217_3
; %bb.1:
	s_lshl_b64 s[4:5], s[34:35], 2
	s_delay_alu instid0(SALU_CYCLE_1) | instskip(SKIP_4) | instid1(SALU_CYCLE_1)
	s_add_u32 s4, s2, s4
	s_addc_u32 s5, s3, s5
	s_load_b64 s[4:5], s[4:5], 0x0
	s_waitcnt lgkmcnt(0)
	s_sub_i32 s4, s5, s4
	s_cmp_eq_u32 s4, 1
	s_cselect_b32 s4, -1, 0
	s_delay_alu instid0(SALU_CYCLE_1)
	s_and_not1_b32 vcc_lo, exec_lo, s4
	s_cbranch_vccz .LBB1217_4
.LBB1217_2:
	s_endpgm
.LBB1217_3:
.LBB1217_4:
	s_load_b64 s[4:5], s[0:1], 0x28
	s_lshl_b64 s[6:7], s[34:35], 2
	s_waitcnt lgkmcnt(0)
	s_add_u32 s4, s4, s6
	s_addc_u32 s5, s5, s7
	s_lshl_b32 s12, s14, 8
	s_load_b32 s24, s[4:5], 0x0
	s_waitcnt lgkmcnt(0)
	s_cmp_ge_i32 s12, s24
	s_cbranch_scc1 .LBB1217_2
; %bb.5:
	s_clause 0x1
	s_load_b128 s[20:23], s[0:1], 0x8
	s_load_b64 s[4:5], s[0:1], 0x20
	s_and_not1_b32 vcc_lo, exec_lo, s8
	s_cbranch_vccnz .LBB1217_7
; %bb.6:
	s_add_u32 s2, s2, s6
	s_addc_u32 s3, s3, s7
	s_load_b32 s3, s[2:3], 0x0
	s_branch .LBB1217_8
.LBB1217_7:
	s_mov_b32 s3, s34
.LBB1217_8:
	s_load_b128 s[16:19], s[0:1], 0x48
	v_and_b32_e32 v69, 15, v0
	v_cmp_gt_u32_e32 vcc_lo, 64, v0
	v_lshrrev_b32_e32 v68, 5, v0
	v_and_b32_e32 v70, 31, v0
	v_and_b32_e32 v66, 1, v0
	v_lshlrev_b32_e32 v1, 3, v69
	v_cmp_gt_u32_e64 s2, 8, v69
	v_bfe_u32 v67, v0, 4, 1
	s_lshl_b32 s31, s15, 2
	s_delay_alu instid0(VALU_DEP_3) | instskip(NEXT) | instid1(VALU_DEP_3)
	v_lshlrev_b32_e32 v65, 1, v1
	s_and_b32 s7, vcc_lo, s2
	s_delay_alu instid0(SALU_CYCLE_1)
	s_and_saveexec_b32 s6, s7
	s_cbranch_execz .LBB1217_10
; %bb.9:
	v_lshl_or_b32 v5, v68, 1, v67
	s_load_b64 s[8:9], s[0:1], 0x0
	s_waitcnt lgkmcnt(0)
	s_mul_hi_i32 s11, s3, s16
	s_mul_i32 s10, s3, s16
	v_lshlrev_b32_e32 v6, 10, v69
	v_or_b32_e32 v1, s31, v5
	s_lshl_b64 s[10:11], s[10:11], 1
	v_lshlrev_b32_e32 v5, 6, v5
	v_lshlrev_b32_e32 v7, 10, v66
	v_and_b32_e32 v6, 0x3800, v6
	v_lshlrev_b32_e32 v1, 6, v1
	s_delay_alu instid0(VALU_DEP_2) | instskip(NEXT) | instid1(VALU_DEP_2)
	v_or3_b32 v5, v6, v7, v5
	v_ashrrev_i32_e32 v2, 31, v1
	s_delay_alu instid0(VALU_DEP_1) | instskip(SKIP_2) | instid1(VALU_DEP_1)
	v_lshlrev_b64 v[1:2], 1, v[1:2]
	s_add_u32 s3, s8, s10
	s_addc_u32 s7, s9, s11
	v_add_co_u32 v1, vcc_lo, s3, v1
	s_delay_alu instid0(VALU_DEP_2) | instskip(NEXT) | instid1(VALU_DEP_2)
	v_add_co_ci_u32_e32 v2, vcc_lo, s7, v2, vcc_lo
	v_add_co_u32 v1, vcc_lo, v1, v65
	s_delay_alu instid0(VALU_DEP_2)
	v_add_co_ci_u32_e32 v2, vcc_lo, 0, v2, vcc_lo
	global_load_b128 v[1:4], v[1:2], off
	s_waitcnt vmcnt(0)
	ds_store_b128 v5, v[1:4]
.LBB1217_10:
	s_or_b32 exec_lo, exec_lo, s6
	v_and_b32_e32 v1, 0xef, v0
	s_waitcnt lgkmcnt(0)
	s_add_i32 s3, s24, 31
	s_clause 0x1
	s_load_b32 s6, s[0:1], 0x38
	s_load_b32 s33, s[0:1], 0x98
	s_ashr_i32 s7, s3, 31
	v_add_nc_u32_e32 v1, s12, v1
	s_lshr_b32 s7, s7, 27
	s_load_b32 s19, s[0:1], 0x1c
	s_add_i32 s3, s3, s7
	s_waitcnt lgkmcnt(0)
	v_ashrrev_i32_e32 v2, 31, v1
	v_or_b32_e32 v3, 16, v1
	s_ashr_i32 s3, s3, 5
	v_cmp_gt_i32_e32 vcc_lo, s24, v1
	s_add_i32 s3, s3, -1
	v_lshrrev_b32_e32 v2, 27, v2
	s_barrier
	buffer_gl0_inv
	s_mul_i32 s27, s15, s18
	v_add_nc_u32_e32 v4, v1, v2
	s_mul_i32 s6, s34, s6
	s_delay_alu instid0(SALU_CYCLE_1) | instskip(NEXT) | instid1(VALU_DEP_1)
	s_ashr_i32 s7, s6, 31
	v_ashrrev_i32_e32 v4, 5, v4
	v_add_nc_u32_e32 v2, v3, v2
	s_lshl_b64 s[6:7], s[6:7], 2
	s_delay_alu instid0(SALU_CYCLE_1) | instskip(NEXT) | instid1(VALU_DEP_2)
	s_add_u32 s26, s4, s6
	v_cndmask_b32_e32 v1, s3, v4, vcc_lo
	s_delay_alu instid0(VALU_DEP_2)
	v_ashrrev_i32_e32 v2, 5, v2
	v_cmp_gt_i32_e32 vcc_lo, s24, v3
	s_addc_u32 s25, s5, s7
	s_ashr_i32 s28, s27, 31
	s_add_u32 s4, s20, s27
	s_addc_u32 s5, s21, s28
	v_cndmask_b32_e32 v3, s3, v2, vcc_lo
	v_ashrrev_i32_e32 v2, 31, v1
	s_lshl_b32 s6, s14, 3
	s_delay_alu instid0(SALU_CYCLE_1) | instskip(NEXT) | instid1(VALU_DEP_2)
	s_ashr_i32 s7, s6, 31
	v_ashrrev_i32_e32 v4, 31, v3
	s_delay_alu instid0(VALU_DEP_2) | instskip(SKIP_1) | instid1(SALU_CYCLE_1)
	v_lshlrev_b64 v[1:2], 2, v[1:2]
	s_lshl_b64 s[6:7], s[6:7], 2
	s_add_u32 s6, s26, s6
	s_delay_alu instid0(VALU_DEP_2) | instskip(SKIP_1) | instid1(VALU_DEP_2)
	v_lshlrev_b64 v[3:4], 2, v[3:4]
	s_addc_u32 s7, s25, s7
	v_add_co_u32 v1, vcc_lo, s26, v1
	v_add_co_ci_u32_e32 v2, vcc_lo, s25, v2, vcc_lo
	s_delay_alu instid0(VALU_DEP_3) | instskip(NEXT) | instid1(VALU_DEP_4)
	v_add_co_u32 v3, vcc_lo, s26, v3
	v_add_co_ci_u32_e32 v4, vcc_lo, s25, v4, vcc_lo
	s_clause 0x1
	global_load_b32 v5, v[1:2], off
	global_load_b32 v6, v[3:4], off
	s_or_b32 s8, s12, 32
	s_delay_alu instid0(SALU_CYCLE_1) | instskip(SKIP_2) | instid1(SALU_CYCLE_1)
	s_ashr_i32 s9, s8, 5
	s_cmp_lt_i32 s8, s24
	s_cselect_b32 s8, s9, s3
	s_ashr_i32 s9, s8, 31
	s_delay_alu instid0(SALU_CYCLE_1) | instskip(NEXT) | instid1(SALU_CYCLE_1)
	s_lshl_b64 s[8:9], s[8:9], 2
	s_add_u32 s8, s26, s8
	s_addc_u32 s9, s25, s9
	s_or_b32 s10, s12, 64
	s_delay_alu instid0(SALU_CYCLE_1) | instskip(SKIP_2) | instid1(SALU_CYCLE_1)
	s_ashr_i32 s11, s10, 5
	s_cmp_lt_i32 s10, s24
	s_cselect_b32 s10, s11, s3
	s_ashr_i32 s11, s10, 31
	s_delay_alu instid0(SALU_CYCLE_1) | instskip(NEXT) | instid1(SALU_CYCLE_1)
	s_lshl_b64 s[10:11], s[10:11], 2
	s_add_u32 s10, s26, s10
	s_addc_u32 s11, s25, s11
	;; [unrolled: 10-line block ×5, first 2 shown]
	s_clause 0x5
	s_load_b32 s21, s[6:7], 0x0
	s_load_b32 s13, s[8:9], 0x0
	;; [unrolled: 1-line block ×6, first 2 shown]
	s_or_b32 s7, s12, 0xc0
	s_delay_alu instid0(SALU_CYCLE_1) | instskip(SKIP_2) | instid1(SALU_CYCLE_1)
	s_ashr_i32 s8, s7, 5
	s_cmp_lt_i32 s7, s24
	s_cselect_b32 s10, s8, s3
	s_ashr_i32 s11, s10, 31
	s_delay_alu instid0(SALU_CYCLE_1) | instskip(NEXT) | instid1(SALU_CYCLE_1)
	s_lshl_b64 s[36:37], s[10:11], 2
	s_add_u32 s36, s26, s36
	s_addc_u32 s37, s25, s37
	s_or_b32 s29, s12, 0xe0
	s_delay_alu instid0(SALU_CYCLE_1)
	s_ashr_i32 s30, s29, 5
	s_cmp_lt_i32 s29, s24
	s_waitcnt vmcnt(1)
	v_mad_i64_i32 v[1:2], null, v5, s17, s[4:5]
	s_waitcnt vmcnt(0)
	v_mad_i64_i32 v[3:4], null, v6, s17, s[4:5]
	s_mov_b32 s4, 0
	s_delay_alu instid0(SALU_CYCLE_1)
	s_mov_b32 s5, s4
	s_mov_b32 s6, s4
	s_mov_b32 s7, s4
	s_mov_b32 s8, s4
	s_mov_b32 s9, s4
	s_mov_b32 s10, s4
	s_mov_b32 s11, s4
	s_delay_alu instid0(SALU_CYCLE_1) | instskip(SKIP_2) | instid1(VALU_DEP_3)
	v_dual_mov_b32 v102, s11 :: v_dual_lshlrev_b32 v5, 4, v69
	v_dual_mov_b32 v98, s7 :: v_dual_mov_b32 v101, s10
	v_mov_b32_e32 v100, s9
	v_add_co_u32 v1, vcc_lo, v1, v5
	v_add_co_ci_u32_e32 v2, vcc_lo, 0, v2, vcc_lo
	v_add_co_u32 v3, vcc_lo, v3, v5
	v_add_co_ci_u32_e32 v4, vcc_lo, 0, v4, vcc_lo
	s_clause 0x7
	global_load_b128 v[57:60], v[1:2], off
	global_load_b128 v[61:64], v[1:2], off offset:512
	global_load_b128 v[71:74], v[3:4], off offset:256
	;; [unrolled: 1-line block ×7, first 2 shown]
	v_dual_mov_b32 v96, s5 :: v_dual_and_b32 v1, 3, v0
	v_mov_b32_e32 v99, s8
	v_mov_b32_e32 v97, s6
	;; [unrolled: 1-line block ×3, first 2 shown]
	s_cselect_b32 s4, s30, s3
	v_lshlrev_b32_e32 v2, 5, v69
	s_ashr_i32 s5, s4, 31
	v_lshlrev_b32_e32 v121, 6, v1
	s_lshl_b64 s[4:5], s[4:5], 2
	s_load_b32 s3, s[36:37], 0x0
	s_add_u32 s4, s26, s4
	s_addc_u32 s5, s25, s5
	v_lshl_or_b32 v1, v68, 9, v2
	ds_load_b128 v[103:106], v121
	ds_load_b128 v[107:110], v121 offset:1024
	s_load_b32 s4, s[4:5], 0x0
	s_add_u32 s6, s22, s27
	s_addc_u32 s7, s23, s28
	v_add_co_u32 v17, s6, s6, v1
	s_delay_alu instid0(VALU_DEP_1) | instskip(SKIP_1) | instid1(VALU_DEP_1)
	v_add_co_ci_u32_e64 v18, null, s7, 0, s6
	s_waitcnt lgkmcnt(0)
	v_mad_i64_i32 v[1:2], null, s21, s17, v[17:18]
	v_mad_i64_i32 v[3:4], null, s13, s17, v[17:18]
	;; [unrolled: 1-line block ×7, first 2 shown]
	s_clause 0x9
	global_load_b128 v[49:52], v[1:2], off
	global_load_b128 v[53:56], v[1:2], off offset:16
	global_load_b128 v[41:44], v[3:4], off
	global_load_b128 v[45:48], v[3:4], off offset:16
	;; [unrolled: 2-line block ×5, first 2 shown]
	v_mad_i64_i32 v[119:120], null, s4, s17, v[17:18]
	s_clause 0x3
	global_load_b128 v[17:20], v[21:22], off
	global_load_b128 v[21:24], v[21:22], off offset:16
	global_load_b128 v[25:28], v[29:30], off
	global_load_b128 v[29:32], v[29:30], off offset:16
	s_waitcnt vmcnt(20)
	v_wmma_f32_16x16x16_f16 v[111:118], v[57:64], v[103:110], v[95:102]
	s_clause 0x1
	global_load_b128 v[57:60], v[119:120], off
	global_load_b128 v[61:64], v[119:120], off offset:16
	s_waitcnt vmcnt(20)
	v_wmma_f32_16x16x16_f16 v[95:102], v[71:78], v[103:110], v[95:102]
	ds_load_b128 v[71:74], v121 offset:2048
	ds_load_b128 v[75:78], v121 offset:3072
	v_mbcnt_lo_u32_b32 v104, -1, 0
	s_waitcnt vmcnt(0) lgkmcnt(0)
	s_barrier
	buffer_gl0_inv
	v_xor_b32_e32 v105, 16, v104
	s_delay_alu instid0(VALU_DEP_1) | instskip(SKIP_4) | instid1(VALU_DEP_2)
	v_cmp_gt_i32_e32 vcc_lo, 32, v105
	v_cndmask_b32_e32 v104, v104, v105, vcc_lo
	v_wmma_f32_16x16x16_f16 v[111:118], v[79:86], v[71:78], v[111:118]
	v_and_b32_e32 v103, 0xe0, v0
	v_wmma_f32_16x16x16_f16 v[95:102], v[87:94], v[71:78], v[95:102]
	v_dual_mul_f32 v78, s19, v113 :: v_dual_add_nc_u32 v103, s12, v103
	s_delay_alu instid0(VALU_DEP_2) | instskip(SKIP_1) | instid1(VALU_DEP_3)
	v_dual_mul_f32 v90, s19, v101 :: v_dual_mul_f32 v87, s19, v112
	v_dual_mul_f32 v88, s19, v111 :: v_dual_mul_f32 v77, s19, v114
	v_or_b32_e32 v103, v103, v67
	v_dual_mul_f32 v75, s19, v116 :: v_dual_mul_f32 v94, s19, v97
	v_dual_mul_f32 v76, s19, v115 :: v_dual_mul_f32 v73, s19, v118
	v_mul_f32_e32 v92, s19, v99
	s_delay_alu instid0(VALU_DEP_4)
	v_or_b32_e32 v105, 2, v103
	v_or_b32_e32 v106, 4, v103
	;; [unrolled: 1-line block ×3, first 2 shown]
	v_cmp_gt_i32_e64 s3, s24, v103
	v_or_b32_e32 v108, 8, v103
	v_cmp_gt_i32_e32 vcc_lo, s24, v105
	v_or_b32_e32 v109, 10, v103
	v_cmp_gt_i32_e64 s4, s24, v106
	v_cndmask_b32_e64 v88, 0xff7fffff, v88, s3
	v_cmp_gt_i32_e64 s5, s24, v107
	v_cndmask_b32_e32 v87, 0xff7fffff, v87, vcc_lo
	v_or_b32_e32 v79, 12, v103
	v_or_b32_e32 v80, 14, v103
	v_cndmask_b32_e64 v78, 0xff7fffff, v78, s4
	v_cndmask_b32_e64 v77, 0xff7fffff, v77, s5
	v_max3_f32 v87, v88, 0xff7fffff, v87
	v_cmp_gt_i32_e64 s6, s24, v108
	v_cmp_gt_i32_e64 s7, s24, v109
	v_or_b32_e32 v81, 16, v103
	v_or_b32_e32 v82, 18, v103
	v_mul_f32_e32 v74, s19, v117
	v_cndmask_b32_e64 v76, 0xff7fffff, v76, s6
	v_cndmask_b32_e64 v75, 0xff7fffff, v75, s7
	v_max3_f32 v77, v87, v78, v77
	v_cmp_gt_i32_e64 s8, s24, v79
	v_cmp_gt_i32_e64 s9, s24, v80
	v_or_b32_e32 v83, 20, v103
	v_or_b32_e32 v84, 22, v103
	;; [unrolled: 1-line block ×6, first 2 shown]
	v_mul_f32_e32 v105, s19, v96
	v_mul_f32_e32 v103, s19, v95
	v_cndmask_b32_e64 v74, 0xff7fffff, v74, s8
	v_cndmask_b32_e64 v73, 0xff7fffff, v73, s9
	v_max3_f32 v75, v77, v76, v75
	v_cmp_gt_i32_e64 s10, s24, v81
	v_cmp_gt_i32_e64 s11, s24, v82
	v_mul_f32_e32 v93, s19, v98
	v_cmp_gt_i32_e64 s12, s24, v83
	v_max3_f32 v73, v75, v74, v73
	v_cndmask_b32_e64 v76, 0xff7fffff, v103, s10
	v_cndmask_b32_e64 v77, 0xff7fffff, v105, s11
	v_cmp_gt_i32_e64 s13, s24, v84
	v_mul_f32_e32 v91, s19, v100
	v_cndmask_b32_e64 v74, 0xff7fffff, v94, s12
	v_cmp_gt_i32_e64 s15, s24, v85
	v_max3_f32 v73, v73, v76, v77
	v_cndmask_b32_e64 v75, 0xff7fffff, v93, s13
	v_cmp_gt_i32_e64 s16, s24, v86
	v_mul_f32_e32 v89, s19, v102
	v_cndmask_b32_e64 v76, 0xff7fffff, v92, s15
	v_cmp_gt_i32_e64 s17, s24, v71
	v_max3_f32 v73, v73, v74, v75
	v_cndmask_b32_e64 v77, 0xff7fffff, v91, s16
	v_cmp_gt_i32_e64 s18, s24, v72
	v_lshlrev_b32_e32 v74, 2, v104
	v_cndmask_b32_e64 v71, 0xff7fffff, v90, s17
	s_delay_alu instid0(VALU_DEP_4) | instskip(NEXT) | instid1(VALU_DEP_4)
	v_max3_f32 v73, v73, v76, v77
	v_cndmask_b32_e64 v72, 0xff7fffff, v89, s18
	s_delay_alu instid0(VALU_DEP_1) | instskip(SKIP_3) | instid1(VALU_DEP_1)
	v_max3_f32 v71, v73, v71, v72
	ds_bpermute_b32 v72, v74, v71
	s_waitcnt lgkmcnt(0)
	v_max_f32_e32 v72, v72, v72
	v_max_f32_e32 v71, v71, v72
	s_delay_alu instid0(VALU_DEP_1)
	v_fma_f32 v72, s19, v111, -v71
	v_fma_f32 v76, s19, v114, -v71
	;; [unrolled: 1-line block ×5, first 2 shown]
	v_mul_f32_e32 v72, 0x3fb8aa3b, v72
	v_mul_f32_e32 v76, 0x3fb8aa3b, v76
	v_fma_f32 v75, s19, v113, -v71
	v_mul_f32_e32 v79, 0x3fb8aa3b, v77
	v_mul_f32_e32 v85, 0x3fb8aa3b, v84
	v_exp_f32_e32 v72, v72
	v_exp_f32_e32 v76, v76
	v_fma_f32 v86, s19, v98, -v71
	v_exp_f32_e32 v82, v79
	v_exp_f32_e32 v85, v85
	v_fma_f32 v81, s19, v117, -v71
	s_delay_alu instid0(VALU_DEP_2) | instskip(SKIP_3) | instid1(TRANS32_DEP_3)
	v_mul_f32_e32 v87, 0x3fb8aa3b, v86
	v_cndmask_b32_e64 v78, 0, v72, s3
	v_fma_f32 v72, s19, v116, -v71
	v_mul_f32_e32 v73, 0x3fb8aa3b, v73
	v_cndmask_b32_e64 v79, 0, v76, s5
	v_fma_f32 v76, s19, v95, -v71
	s_delay_alu instid0(VALU_DEP_4) | instskip(NEXT) | instid1(VALU_DEP_4)
	v_dual_mul_f32 v75, 0x3fb8aa3b, v75 :: v_dual_mul_f32 v72, 0x3fb8aa3b, v72
	v_exp_f32_e32 v73, v73
	v_exp_f32_e32 v87, v87
	s_delay_alu instid0(VALU_DEP_2) | instskip(NEXT) | instid1(VALU_DEP_2)
	v_mul_f32_e32 v76, 0x3fb8aa3b, v76
	v_exp_f32_e32 v75, v75
	v_cndmask_b32_e64 v85, 0, v85, s11
	v_mul_f32_e32 v81, 0x3fb8aa3b, v81
	v_exp_f32_e32 v72, v72
	v_cndmask_b32_e64 v82, 0, v82, s6
	v_exp_f32_e32 v76, v76
	s_mov_b32 s3, exec_lo
	v_cndmask_b32_e32 v77, 0, v73, vcc_lo
	v_add_f32_e32 v73, 0, v78
	v_cndmask_b32_e64 v87, 0, v87, s13
	v_cndmask_b32_e64 v80, 0, v75, s4
	v_fma_f32 v75, s19, v118, -v71
	v_exp_f32_e32 v83, v81
	v_add_f32_e32 v73, v73, v77
	v_cndmask_b32_e64 v81, 0, v72, s7
	v_cndmask_b32_e64 v86, 0, v76, s10
	v_mul_f32_e32 v75, 0x3fb8aa3b, v75
	s_delay_alu instid0(VALU_DEP_4) | instskip(NEXT) | instid1(VALU_DEP_2)
	v_add_f32_e32 v73, v73, v80
	v_exp_f32_e32 v75, v75
	s_delay_alu instid0(TRANS32_DEP_2) | instskip(NEXT) | instid1(VALU_DEP_2)
	v_cndmask_b32_e64 v84, 0, v83, s8
	v_add_f32_e32 v73, v73, v79
	s_delay_alu instid0(VALU_DEP_1) | instskip(SKIP_3) | instid1(VALU_DEP_1)
	v_add_f32_e32 v72, v73, v82
	s_waitcnt_depctr 0xfff
	v_cndmask_b32_e64 v83, 0, v75, s9
	v_add_f32_e32 v72, v72, v81
	v_add_f32_e32 v72, v72, v84
	s_delay_alu instid0(VALU_DEP_1) | instskip(NEXT) | instid1(VALU_DEP_1)
	v_add_f32_e32 v72, v72, v83
	v_add_f32_e32 v72, v72, v86
	v_fma_f32 v73, s19, v97, -v71
	v_fma_f32 v75, s19, v99, -v71
	;; [unrolled: 1-line block ×4, first 2 shown]
	v_add_f32_e32 v72, v72, v85
	v_mul_f32_e32 v73, 0x3fb8aa3b, v73
	s_delay_alu instid0(VALU_DEP_4) | instskip(NEXT) | instid1(VALU_DEP_2)
	v_dual_mul_f32 v75, 0x3fb8aa3b, v75 :: v_dual_mul_f32 v76, 0x3fb8aa3b, v76
	v_exp_f32_e32 v73, v73
	s_delay_alu instid0(VALU_DEP_1) | instskip(NEXT) | instid1(VALU_DEP_1)
	v_exp_f32_e32 v75, v75
	v_exp_f32_e32 v76, v76
	s_delay_alu instid0(TRANS32_DEP_3)
	v_cndmask_b32_e64 v88, 0, v73, s12
	v_mul_f32_e32 v73, 0x3fb8aa3b, v89
	v_fma_f32 v89, s19, v102, -v71
	s_waitcnt_depctr 0xfff
	v_cndmask_b32_e64 v90, 0, v75, s15
	v_add_f32_e32 v72, v72, v88
	v_exp_f32_e32 v73, v73
	v_mul_f32_e32 v75, 0x3fb8aa3b, v89
	v_cndmask_b32_e64 v89, 0, v76, s16
	s_delay_alu instid0(VALU_DEP_3) | instskip(NEXT) | instid1(VALU_DEP_3)
	v_add_f32_e32 v72, v72, v87
	v_exp_f32_e32 v75, v75
	s_delay_alu instid0(VALU_DEP_1) | instskip(SKIP_4) | instid1(VALU_DEP_2)
	v_add_f32_e32 v72, v72, v90
	s_waitcnt_depctr 0xfff
	v_cndmask_b32_e64 v92, 0, v73, s17
	v_add_f32_e32 v72, v72, v89
	v_cndmask_b32_e64 v91, 0, v75, s18
	v_add_f32_e32 v72, v72, v92
	s_delay_alu instid0(VALU_DEP_1)
	v_add_f32_e32 v72, v72, v91
	ds_bpermute_b32 v73, v74, v72
	v_cmpx_gt_u32_e32 16, v70
	s_cbranch_execz .LBB1217_12
; %bb.11:
	v_mul_u32_u24_e32 v70, 0x44, v68
	s_waitcnt lgkmcnt(0)
	v_add_f32_e32 v72, v72, v73
	s_delay_alu instid0(VALU_DEP_2) | instskip(NEXT) | instid1(VALU_DEP_1)
	v_lshl_add_u32 v70, v69, 2, v70
	v_add_nc_u32_e32 v70, 0x4000, v70
	ds_store_2addr_b32 v70, v71, v72 offset1:136
.LBB1217_12:
	s_or_b32 exec_lo, exec_lo, s3
	v_lshlrev_b32_e32 v70, 2, v69
	s_load_b32 s35, s[0:1], 0x94
	s_waitcnt lgkmcnt(0)
	s_barrier
	buffer_gl0_inv
	v_add_nc_u32_e32 v74, 0x4000, v70
	v_cmp_eq_u32_e32 vcc_lo, 1, v68
	v_cmp_eq_u32_e64 s3, 2, v68
	v_cmp_eq_u32_e64 s4, 3, v68
	;; [unrolled: 1-line block ×3, first 2 shown]
	ds_load_2addr_b32 v[70:71], v74 offset1:17
	ds_load_2addr_b32 v[72:73], v74 offset0:34 offset1:51
	ds_load_2addr_b32 v[93:94], v74 offset0:68 offset1:85
	;; [unrolled: 1-line block ×3, first 2 shown]
	v_cmp_eq_u32_e64 s6, 5, v68
	v_cmp_eq_u32_e64 s7, 7, v68
	s_waitcnt lgkmcnt(3)
	v_max3_f32 v75, v70, 0xff7fffff, v71
	s_waitcnt lgkmcnt(2)
	s_delay_alu instid0(VALU_DEP_1) | instskip(SKIP_1) | instid1(VALU_DEP_1)
	v_max3_f32 v75, v75, v72, v73
	s_waitcnt lgkmcnt(1)
	v_max3_f32 v75, v75, v93, v94
	s_waitcnt lgkmcnt(0)
	s_delay_alu instid0(VALU_DEP_1) | instskip(NEXT) | instid1(VALU_DEP_1)
	v_max3_f32 v75, v75, v95, v96
	v_sub_f32_e32 v93, v93, v75
	ds_load_2addr_b32 v[97:98], v74 offset0:136 offset1:153
	v_sub_f32_e32 v70, v70, v75
	v_dual_sub_f32 v100, v73, v75 :: v_dual_mul_f32 v103, 0x3fb8aa3b, v93
	s_delay_alu instid0(VALU_DEP_2) | instskip(SKIP_3) | instid1(VALU_DEP_1)
	v_dual_sub_f32 v76, v71, v75 :: v_dual_mul_f32 v99, 0x3fb8aa3b, v70
	ds_load_2addr_b32 v[70:71], v74 offset0:170 offset1:187
	v_mul_f32_e32 v76, 0x3fb8aa3b, v76
	v_exp_f32_e32 v99, v99
	v_exp_f32_e32 v102, v76
	v_mul_f32_e32 v100, 0x3fb8aa3b, v100
	s_waitcnt lgkmcnt(1)
	s_waitcnt_depctr 0xfff
	v_fma_f32 v76, v99, v97, 0
	v_sub_f32_e32 v97, v94, v75
	v_sub_f32_e32 v72, v72, v75
	v_exp_f32_e32 v100, v100
	ds_load_2addr_b32 v[93:94], v74 offset0:238 offset1:255
	v_dual_fmac_f32 v76, v102, v98 :: v_dual_mul_f32 v101, 0x3fb8aa3b, v72
	ds_load_2addr_b32 v[72:73], v74 offset0:204 offset1:221
	v_dual_sub_f32 v74, v95, v75 :: v_dual_mul_f32 v95, 0x3fb8aa3b, v97
	v_exp_f32_e32 v97, v103
	v_exp_f32_e32 v101, v101
	s_waitcnt lgkmcnt(0)
	s_delay_alu instid0(VALU_DEP_1)
	v_mul_f32_e32 v74, 0x3fb8aa3b, v74
	v_exp_f32_e32 v95, v95
	s_barrier
	buffer_gl0_inv
	v_fmac_f32_e32 v76, v101, v70
	v_sub_f32_e32 v70, v96, v75
	v_exp_f32_e32 v96, v74
	s_delay_alu instid0(VALU_DEP_2) | instskip(NEXT) | instid1(VALU_DEP_2)
	v_fmac_f32_e32 v76, v100, v71
	v_mul_f32_e32 v70, 0x3fb8aa3b, v70
	s_delay_alu instid0(VALU_DEP_2) | instskip(NEXT) | instid1(VALU_DEP_2)
	v_dual_cndmask_b32 v71, v99, v102 :: v_dual_fmac_f32 v76, v97, v72
	v_exp_f32_e32 v98, v70
	v_lshlrev_b32_e32 v72, 6, v69
	s_delay_alu instid0(VALU_DEP_2) | instskip(NEXT) | instid1(VALU_DEP_2)
	v_dual_fmac_f32 v76, v95, v73 :: v_dual_lshlrev_b32 v69, 2, v67
	v_lshl_or_b32 v74, v68, 11, v72
	s_delay_alu instid0(VALU_DEP_2)
	v_cmp_eq_u32_e64 s8, 7, v69
	s_delay_alu instid0(TRANS32_DEP_2) | instid1(VALU_DEP_3)
	v_fmac_f32_e32 v76, v96, v93
	s_waitcnt_depctr 0xfff
	v_fmac_f32_e32 v76, v98, v94
	s_delay_alu instid0(VALU_DEP_1) | instskip(NEXT) | instid1(VALU_DEP_1)
	v_add_f32_e32 v73, 0x358637bd, v76
	v_div_scale_f32 v93, null, v73, v73, 1.0
	v_div_scale_f32 v99, vcc_lo, 1.0, v73, 1.0
	s_delay_alu instid0(VALU_DEP_2) | instskip(SKIP_2) | instid1(VALU_DEP_1)
	v_rcp_f32_e32 v94, v93
	s_waitcnt_depctr 0xfff
	v_fma_f32 v70, -v93, v94, 1.0
	v_fmac_f32_e32 v94, v70, v94
	v_cndmask_b32_e64 v70, v71, v101, s3
	v_cmp_eq_u32_e64 s3, 6, v68
	v_or_b32_e32 v71, 1, v69
	v_or_b32_e32 v68, 2, v69
	v_mul_f32_e32 v101, v99, v94
	v_cndmask_b32_e64 v70, v70, v100, s4
	v_cmp_eq_u32_e64 s4, 1, v69
	v_cmp_eq_u32_e64 s9, 1, v71
	;; [unrolled: 1-line block ×3, first 2 shown]
	v_fma_f32 v100, -v93, v101, v99
	v_cndmask_b32_e64 v70, v70, v97, s5
	v_cmp_eq_u32_e64 s5, 2, v69
	v_cmp_eq_u32_e64 s12, 2, v71
	;; [unrolled: 1-line block ×3, first 2 shown]
	v_fmac_f32_e32 v101, v100, v94
	v_cndmask_b32_e64 v95, v70, v95, s6
	v_or_b32_e32 v70, 3, v69
	v_cmp_eq_u32_e64 s13, 3, v71
	v_cmp_eq_u32_e64 s17, 3, v68
	v_fma_f32 v93, -v93, v101, v99
	v_cndmask_b32_e64 v95, v95, v96, s3
	v_cmp_eq_u32_e64 s11, 1, v70
	v_cmp_eq_u32_e64 s16, 2, v70
	;; [unrolled: 1-line block ×3, first 2 shown]
	v_div_fmas_f32 v93, v93, v94, v101
	v_cndmask_b32_e64 v94, v95, v98, s7
	v_cmp_eq_u32_e32 vcc_lo, 3, v69
	v_cmp_eq_u32_e64 s3, 4, v69
	v_cmp_eq_u32_e64 s19, 4, v71
	v_div_fixup_f32 v93, v93, v73, 1.0
	v_lshl_or_b32 v73, v67, 4, v74
	v_cmp_eq_u32_e64 s22, 4, v70
	v_cmp_eq_u32_e64 s6, 5, v69
	v_cmp_eq_u32_e64 s20, 5, v71
	v_mul_f32_e32 v101, v94, v93
	v_cmp_eq_u32_e64 s21, 4, v68
	v_cmp_eq_u32_e64 s24, 5, v70
	;; [unrolled: 1-line block ×4, first 2 shown]
	v_fma_mixlo_f16 v93, v101, v78, 0
	v_fma_mixlo_f16 v94, v101, v80, 0
	;; [unrolled: 1-line block ×8, first 2 shown]
	v_fma_mixhi_f16 v93, v101, v77, 0
	v_fma_mixhi_f16 v94, v101, v79, 0
	;; [unrolled: 1-line block ×8, first 2 shown]
	ds_store_b128 v73, v[93:96]
	ds_store_b128 v73, v[97:100] offset:1024
	s_waitcnt lgkmcnt(0)
	s_barrier
	buffer_gl0_inv
	ds_load_b128 v[77:80], v74
	ds_load_b128 v[81:84], v74 offset:16
	ds_load_b128 v[85:88], v74 offset:1024
	;; [unrolled: 1-line block ×3, first 2 shown]
	v_cmp_eq_u32_e64 s27, 6, v70
	v_cmp_eq_u32_e64 s7, 6, v69
	;; [unrolled: 1-line block ×6, first 2 shown]
	s_waitcnt lgkmcnt(3)
	v_lshrrev_b32_e32 v93, 16, v77
	s_waitcnt lgkmcnt(2)
	v_lshrrev_b32_e32 v97, 16, v81
	;; [unrolled: 2-line block ×4, first 2 shown]
	v_lshrrev_b32_e32 v94, 16, v78
	v_cndmask_b32_e64 v109, v77, v93, s4
	v_cndmask_b32_e64 v110, v81, v97, s4
	;; [unrolled: 1-line block ×8, first 2 shown]
	v_lshrrev_b32_e32 v98, 16, v82
	v_cndmask_b32_e64 v93, v85, v101, s4
	v_cndmask_b32_e64 v97, v89, v105, s4
	;; [unrolled: 1-line block ×15, first 2 shown]
	v_lshrrev_b32_e32 v102, 16, v86
	v_lshrrev_b32_e32 v106, 16, v90
	v_cndmask_b32_e64 v112, v114, v82, s15
	v_cndmask_b32_e64 v81, v93, v86, s5
	v_cndmask_b32_e64 v82, v97, v90, s5
	v_cndmask_b32_e64 v93, v115, v86, s12
	v_cndmask_b32_e64 v97, v117, v86, s15
	v_cndmask_b32_e64 v85, v85, v86, s16
	v_cndmask_b32_e64 v86, v89, v90, s16
	v_cndmask_b32_e32 v89, v101, v94, vcc_lo
	v_cndmask_b32_e32 v101, v105, v98, vcc_lo
	v_cndmask_b32_e64 v105, v109, v94, s13
	v_cndmask_b32_e64 v109, v110, v98, s13
	;; [unrolled: 1-line block ×4, first 2 shown]
	v_lshrrev_b32_e32 v95, 16, v79
	v_lshrrev_b32_e32 v99, 16, v83
	v_cndmask_b32_e64 v110, v111, v94, s17
	v_cndmask_b32_e64 v111, v112, v98, s17
	v_cndmask_b32_e32 v81, v81, v102, vcc_lo
	v_cndmask_b32_e32 v82, v82, v106, vcc_lo
	v_cndmask_b32_e64 v93, v93, v102, s13
	v_cndmask_b32_e64 v89, v89, v79, s3
	v_cndmask_b32_e64 v94, v101, v83, s3
	v_cndmask_b32_e64 v98, v105, v79, s19
	v_cndmask_b32_e64 v101, v109, v83, s19
	v_cndmask_b32_e64 v77, v77, v79, s22
	v_cndmask_b32_e64 v78, v78, v83, s22
	v_lshrrev_b32_e32 v103, 16, v87
	v_cndmask_b32_e64 v105, v110, v79, s21
	v_cndmask_b32_e64 v109, v111, v83, s21
	;; [unrolled: 1-line block ×11, first 2 shown]
	v_lshrrev_b32_e32 v96, 16, v80
	v_lshrrev_b32_e32 v100, 16, v84
	v_cndmask_b32_e64 v98, v105, v95, s23
	v_cndmask_b32_e64 v101, v109, v99, s23
	;; [unrolled: 1-line block ×7, first 2 shown]
	v_lshrrev_b32_e32 v104, 16, v88
	v_cndmask_b32_e64 v79, v79, v103, s6
	v_cndmask_b32_e64 v83, v83, v80, s7
	;; [unrolled: 1-line block ×16, first 2 shown]
	v_perm_b32 v80, v78, v77, 0x5040100
	v_perm_b32 v78, v94, v84, 0x5040100
	v_cndmask_b32_e64 v77, v118, v90, s15
	v_cndmask_b32_e64 v84, v116, v90, s12
	;; [unrolled: 1-line block ×3, first 2 shown]
	v_perm_b32 v79, v93, v89, 0x5040100
	v_cndmask_b32_e64 v89, v97, v102, s17
	v_cndmask_b32_e64 v85, v85, v102, s18
	;; [unrolled: 1-line block ×5, first 2 shown]
	v_lshrrev_b32_e32 v107, 16, v91
	v_cndmask_b32_e64 v89, v89, v87, s21
	v_cndmask_b32_e64 v85, v85, v87, s22
	;; [unrolled: 1-line block ×11, first 2 shown]
	v_lshrrev_b32_e32 v108, 16, v92
	v_cndmask_b32_e64 v81, v81, v92, s7
	v_cndmask_b32_e64 v87, v87, v88, s26
	;; [unrolled: 1-line block ×12, first 2 shown]
	v_perm_b32 v77, v83, v82, 0x5040100
	v_perm_b32 v84, v86, v85, 0x5040100
	;; [unrolled: 1-line block ×5, first 2 shown]
	s_lshl_b32 s8, s33, 2
	s_mov_b32 s3, exec_lo
	ds_store_b128 v73, v[77:80]
	ds_store_b128 v73, v[81:84] offset:1024
	v_cmpx_gt_u32_e32 4, v0
	s_cbranch_execz .LBB1217_14
; %bb.13:
	v_or_b32_e32 v77, s31, v0
	s_load_b128 s[4:7], s[0:1], 0x58
	s_delay_alu instid0(VALU_DEP_1) | instskip(NEXT) | instid1(VALU_DEP_1)
	v_mad_u64_u32 v[78:79], null, s8, s34, v[77:78]
	v_mad_u64_u32 v[79:80], null, v78, s35, s[14:15]
	s_delay_alu instid0(VALU_DEP_1) | instskip(NEXT) | instid1(VALU_DEP_1)
	v_ashrrev_i32_e32 v80, 31, v79
	v_lshlrev_b64 v[77:78], 2, v[79:80]
	s_waitcnt lgkmcnt(0)
	s_delay_alu instid0(VALU_DEP_1) | instskip(NEXT) | instid1(VALU_DEP_2)
	v_add_co_u32 v79, vcc_lo, s6, v77
	v_add_co_ci_u32_e32 v80, vcc_lo, s7, v78, vcc_lo
	v_add_co_u32 v77, vcc_lo, s4, v77
	v_add_co_ci_u32_e32 v78, vcc_lo, s5, v78, vcc_lo
	global_store_b32 v[79:80], v75, off
	global_store_b32 v[77:78], v76, off
.LBB1217_14:
	s_or_b32 exec_lo, exec_lo, s3
	s_waitcnt lgkmcnt(0)
	s_waitcnt_vscnt null, 0x0
	s_barrier
	buffer_gl0_inv
	ds_load_b128 v[83:86], v72
	ds_load_b128 v[87:90], v72 offset:16
	ds_load_b128 v[95:98], v72 offset:2064
	;; [unrolled: 1-line block ×5, first 2 shown]
	v_cmp_eq_u32_e32 vcc_lo, 1, v69
	v_mov_b32_e32 v75, 0
	ds_load_b128 v[111:114], v72 offset:6160
	ds_load_b128 v[107:110], v72 offset:6144
	ds_load_b128 v[119:122], v72 offset:8208
	ds_load_b128 v[115:118], v72 offset:8192
	v_cmp_eq_u32_e64 s4, 1, v68
	v_cmp_eq_u32_e64 s3, 1, v71
	;; [unrolled: 1-line block ×3, first 2 shown]
	v_mov_b32_e32 v76, v75
	v_mov_b32_e32 v77, v75
	;; [unrolled: 1-line block ×7, first 2 shown]
	v_cmp_eq_u32_e64 s6, 3, v71
	v_cmp_eq_u32_e64 s7, 7, v71
	s_waitcnt lgkmcnt(8)
	s_delay_alu instid0(VALU_DEP_3)
	v_wmma_f32_16x16x16_f16 v[75:82], v[49:56], v[83:90], v[75:82]
	ds_load_b128 v[53:56], v72 offset:10256
	ds_load_b128 v[49:52], v72 offset:10240
	s_waitcnt lgkmcnt(8)
	v_wmma_f32_16x16x16_f16 v[75:82], v[41:48], v[91:98], v[75:82]
	ds_load_b128 v[45:48], v72 offset:12304
	ds_load_b128 v[41:44], v72 offset:12288
	s_waitcnt lgkmcnt(8)
	;; [unrolled: 4-line block ×3, first 2 shown]
	s_barrier
	buffer_gl0_inv
	v_wmma_f32_16x16x16_f16 v[75:82], v[1:8], v[107:114], v[75:82]
	s_delay_alu instid0(VALU_DEP_1) | instskip(NEXT) | instid1(VALU_DEP_1)
	v_wmma_f32_16x16x16_f16 v[75:82], v[9:16], v[115:122], v[75:82]
	v_wmma_f32_16x16x16_f16 v[75:82], v[17:24], v[49:56], v[75:82]
	s_delay_alu instid0(VALU_DEP_1) | instskip(NEXT) | instid1(VALU_DEP_1)
	v_wmma_f32_16x16x16_f16 v[75:82], v[25:32], v[41:48], v[75:82]
	v_wmma_f32_16x16x16_f16 v[75:82], v[57:64], v[33:40], v[75:82]
	s_delay_alu instid0(VALU_DEP_1) | instskip(NEXT) | instid1(VALU_DEP_2)
	v_cvt_f16_f32_e32 v1, v75
	v_cvt_f16_f32_e32 v2, v76
	s_delay_alu instid0(VALU_DEP_3) | instskip(NEXT) | instid1(VALU_DEP_4)
	v_cvt_f16_f32_e32 v3, v77
	v_cvt_f16_f32_e32 v4, v78
	;; [unrolled: 1-line block ×6, first 2 shown]
	v_pack_b32_f16 v1, v1, v2
	v_pack_b32_f16 v2, v3, v4
	;; [unrolled: 1-line block ×3, first 2 shown]
	s_delay_alu instid0(VALU_DEP_4)
	v_pack_b32_f16 v4, v7, v8
	ds_store_b128 v73, v[1:4]
	s_waitcnt lgkmcnt(0)
	s_barrier
	buffer_gl0_inv
	ds_load_b128 v[1:4], v74
	ds_load_b128 v[5:8], v74 offset:16
	s_waitcnt lgkmcnt(1)
	v_lshrrev_b32_e32 v9, 16, v1
	s_waitcnt lgkmcnt(0)
	v_lshrrev_b32_e32 v13, 16, v5
	v_lshrrev_b32_e32 v10, 16, v2
	;; [unrolled: 1-line block ×4, first 2 shown]
	v_cndmask_b32_e32 v17, v1, v9, vcc_lo
	v_cndmask_b32_e32 v18, v5, v13, vcc_lo
	v_cndmask_b32_e64 v21, v1, v9, s4
	v_cmp_eq_u32_e32 vcc_lo, 1, v70
	v_cndmask_b32_e64 v22, v5, v13, s4
	v_cmp_eq_u32_e64 s4, 2, v69
	v_cndmask_b32_e64 v19, v1, v9, s3
	v_cndmask_b32_e64 v20, v5, v13, s3
	v_cndmask_b32_e32 v1, v1, v9, vcc_lo
	v_cmp_eq_u32_e64 s3, 2, v70
	v_cndmask_b32_e32 v5, v5, v13, vcc_lo
	v_cndmask_b32_e64 v9, v17, v2, s4
	v_cmp_eq_u32_e32 vcc_lo, 3, v69
	v_cndmask_b32_e64 v13, v18, v6, s4
	v_cmp_eq_u32_e64 s4, 2, v68
	v_cndmask_b32_e64 v17, v19, v2, s5
	v_cndmask_b32_e64 v18, v20, v6, s5
	v_cmp_eq_u32_e64 s5, 3, v68
	v_cndmask_b32_e64 v1, v1, v2, s3
	v_cndmask_b32_e64 v19, v21, v2, s4
	;; [unrolled: 1-line block ×4, first 2 shown]
	v_cndmask_b32_e32 v5, v9, v10, vcc_lo
	v_cndmask_b32_e32 v6, v13, v14, vcc_lo
	v_cmp_eq_u32_e32 vcc_lo, 3, v70
	v_cndmask_b32_e64 v9, v17, v10, s6
	v_cndmask_b32_e64 v13, v18, v14, s6
	;; [unrolled: 1-line block ×3, first 2 shown]
	v_cmp_eq_u32_e64 s4, 4, v69
	v_cndmask_b32_e32 v1, v1, v10, vcc_lo
	v_cndmask_b32_e32 v2, v2, v14, vcc_lo
	v_cmp_eq_u32_e32 vcc_lo, 4, v71
	v_lshrrev_b32_e32 v15, 16, v7
	v_lshrrev_b32_e32 v16, 16, v8
	v_cndmask_b32_e64 v17, v19, v10, s5
	v_cmp_eq_u32_e64 s3, 4, v70
	v_cndmask_b32_e64 v5, v5, v3, s4
	v_cndmask_b32_e64 v6, v6, v7, s4
	v_cndmask_b32_e32 v9, v9, v3, vcc_lo
	v_cmp_eq_u32_e64 s4, 5, v71
	v_cndmask_b32_e32 v10, v13, v7, vcc_lo
	v_cmp_eq_u32_e32 vcc_lo, 4, v68
	v_cmp_eq_u32_e64 s5, 5, v69
	v_cndmask_b32_e64 v2, v2, v7, s3
	v_cndmask_b32_e64 v9, v9, v11, s4
	;; [unrolled: 1-line block ×3, first 2 shown]
	v_cndmask_b32_e32 v13, v17, v3, vcc_lo
	v_cmp_eq_u32_e64 s4, 5, v68
	v_cndmask_b32_e32 v14, v18, v7, vcc_lo
	v_cndmask_b32_e64 v1, v1, v3, s3
	v_cmp_eq_u32_e32 vcc_lo, 5, v70
	v_lshrrev_b32_e32 v12, 16, v4
	v_cndmask_b32_e64 v13, v13, v11, s4
	v_cndmask_b32_e64 v3, v14, v15, s4
	v_cmp_eq_u32_e64 s4, 6, v70
	v_cndmask_b32_e32 v1, v1, v11, vcc_lo
	v_cndmask_b32_e64 v5, v5, v11, s5
	v_cmp_eq_u32_e64 s6, 6, v69
	v_cndmask_b32_e64 v6, v6, v15, s5
	v_cmp_eq_u32_e64 s5, 6, v71
	v_cmp_eq_u32_e64 s3, 6, v68
	v_cndmask_b32_e64 v1, v1, v4, s4
	v_cndmask_b32_e32 v2, v2, v15, vcc_lo
	v_cmp_eq_u32_e32 vcc_lo, 7, v70
	v_cndmask_b32_e64 v5, v5, v4, s6
	v_cndmask_b32_e64 v9, v9, v4, s5
	;; [unrolled: 1-line block ×3, first 2 shown]
	v_cmp_eq_u32_e64 s6, 7, v69
	v_cndmask_b32_e32 v1, v1, v12, vcc_lo
	v_cndmask_b32_e64 v7, v13, v4, s3
	v_cndmask_b32_e64 v3, v3, v8, s3
	;; [unrolled: 1-line block ×3, first 2 shown]
	v_cmp_eq_u32_e64 s3, 7, v68
	v_cndmask_b32_e64 v4, v10, v8, s5
	v_cndmask_b32_e64 v5, v5, v12, s6
	;; [unrolled: 1-line block ×3, first 2 shown]
	v_cndmask_b32_e32 v2, v2, v16, vcc_lo
	v_cndmask_b32_e64 v7, v7, v12, s3
	v_cndmask_b32_e64 v3, v3, v16, s3
	;; [unrolled: 1-line block ×4, first 2 shown]
	v_cmp_gt_u32_e32 vcc_lo, 32, v0
	v_perm_b32 v4, v2, v1, 0x5040100
	v_perm_b32 v3, v3, v7, 0x5040100
	;; [unrolled: 1-line block ×4, first 2 shown]
	s_and_b32 s2, vcc_lo, s2
	ds_store_b128 v73, v[1:4]
	s_waitcnt lgkmcnt(0)
	s_barrier
	buffer_gl0_inv
	s_and_saveexec_b32 s3, s2
	s_cbranch_execz .LBB1217_2
; %bb.15:
	s_load_b64 s[0:1], s[0:1], 0x68
	v_lshlrev_b32_e32 v0, 10, v0
	v_or_b32_e32 v1, s31, v67
	s_lshl_b32 s4, s35, 6
	v_lshlrev_b32_e32 v2, 4, v66
	s_mul_i32 s2, s4, s34
	v_lshlrev_b32_e32 v3, 6, v67
	v_mul_lo_u32 v8, v1, s4
	v_and_b32_e32 v0, 0x3800, v0
	v_or_b32_e32 v1, 2, v1
	s_mul_i32 s2, s2, s8
	s_delay_alu instid0(SALU_CYCLE_1) | instskip(NEXT) | instid1(VALU_DEP_2)
	s_ashr_i32 s3, s2, 31
	v_or3_b32 v4, v0, v2, v3
	s_lshl_b64 s[2:3], s[2:3], 1
	v_mul_lo_u32 v10, v1, s4
	v_ashrrev_i32_e32 v9, 31, v8
	ds_load_b128 v[0:3], v4
	ds_load_b128 v[4:7], v4 offset:128
	s_waitcnt lgkmcnt(0)
	s_add_u32 s2, s0, s2
	s_addc_u32 s3, s1, s3
	s_lshl_b32 s0, s14, 6
	v_ashrrev_i32_e32 v11, 31, v10
	s_ashr_i32 s1, s0, 31
	v_lshlrev_b64 v[8:9], 1, v[8:9]
	s_lshl_b64 s[0:1], s[0:1], 1
	s_delay_alu instid0(SALU_CYCLE_1) | instskip(SKIP_2) | instid1(VALU_DEP_1)
	s_add_u32 s0, s2, s0
	s_addc_u32 s1, s3, s1
	v_add_co_u32 v12, s0, s0, v65
	v_add_co_ci_u32_e64 v13, null, s1, 0, s0
	v_lshlrev_b64 v[10:11], 1, v[10:11]
	s_delay_alu instid0(VALU_DEP_3) | instskip(NEXT) | instid1(VALU_DEP_3)
	v_add_co_u32 v8, vcc_lo, v12, v8
	v_add_co_ci_u32_e32 v9, vcc_lo, v13, v9, vcc_lo
	s_delay_alu instid0(VALU_DEP_3) | instskip(NEXT) | instid1(VALU_DEP_4)
	v_add_co_u32 v10, vcc_lo, v12, v10
	v_add_co_ci_u32_e32 v11, vcc_lo, v13, v11, vcc_lo
	s_clause 0x1
	global_store_b128 v[8:9], v[0:3], off
	global_store_b128 v[10:11], v[4:7], off
	s_nop 0
	s_sendmsg sendmsg(MSG_DEALLOC_VGPRS)
	s_endpgm
	.section	.rodata,"a",@progbits
	.p2align	6, 0x0
	.amdhsa_kernel _Z39paged_attention_ll4mi_QKV_mfma16_kernelIDF16_hLN4vllm18Fp8KVCacheDataTypeE1EDF16_Li32ELi64ELi256ELb0ELi4EL8MFMAType0EEvPKT_PKT0_S8_ifPKiSA_SA_iPKfiiiPfSD_PS3_PT2_iSC_SC_
		.amdhsa_group_segment_fixed_size 17472
		.amdhsa_private_segment_fixed_size 0
		.amdhsa_kernarg_size 400
		.amdhsa_user_sgpr_count 13
		.amdhsa_user_sgpr_dispatch_ptr 0
		.amdhsa_user_sgpr_queue_ptr 0
		.amdhsa_user_sgpr_kernarg_segment_ptr 1
		.amdhsa_user_sgpr_dispatch_id 0
		.amdhsa_user_sgpr_private_segment_size 0
		.amdhsa_wavefront_size32 1
		.amdhsa_uses_dynamic_stack 0
		.amdhsa_enable_private_segment 0
		.amdhsa_system_sgpr_workgroup_id_x 1
		.amdhsa_system_sgpr_workgroup_id_y 1
		.amdhsa_system_sgpr_workgroup_id_z 1
		.amdhsa_system_sgpr_workgroup_info 0
		.amdhsa_system_vgpr_workitem_id 0
		.amdhsa_next_free_vgpr 123
		.amdhsa_next_free_sgpr 42
		.amdhsa_reserve_vcc 1
		.amdhsa_float_round_mode_32 0
		.amdhsa_float_round_mode_16_64 0
		.amdhsa_float_denorm_mode_32 3
		.amdhsa_float_denorm_mode_16_64 3
		.amdhsa_dx10_clamp 1
		.amdhsa_ieee_mode 1
		.amdhsa_fp16_overflow 0
		.amdhsa_workgroup_processor_mode 1
		.amdhsa_memory_ordered 1
		.amdhsa_forward_progress 0
		.amdhsa_shared_vgpr_count 0
		.amdhsa_exception_fp_ieee_invalid_op 0
		.amdhsa_exception_fp_denorm_src 0
		.amdhsa_exception_fp_ieee_div_zero 0
		.amdhsa_exception_fp_ieee_overflow 0
		.amdhsa_exception_fp_ieee_underflow 0
		.amdhsa_exception_fp_ieee_inexact 0
		.amdhsa_exception_int_div_zero 0
	.end_amdhsa_kernel
	.section	.text._Z39paged_attention_ll4mi_QKV_mfma16_kernelIDF16_hLN4vllm18Fp8KVCacheDataTypeE1EDF16_Li32ELi64ELi256ELb0ELi4EL8MFMAType0EEvPKT_PKT0_S8_ifPKiSA_SA_iPKfiiiPfSD_PS3_PT2_iSC_SC_,"axG",@progbits,_Z39paged_attention_ll4mi_QKV_mfma16_kernelIDF16_hLN4vllm18Fp8KVCacheDataTypeE1EDF16_Li32ELi64ELi256ELb0ELi4EL8MFMAType0EEvPKT_PKT0_S8_ifPKiSA_SA_iPKfiiiPfSD_PS3_PT2_iSC_SC_,comdat
.Lfunc_end1217:
	.size	_Z39paged_attention_ll4mi_QKV_mfma16_kernelIDF16_hLN4vllm18Fp8KVCacheDataTypeE1EDF16_Li32ELi64ELi256ELb0ELi4EL8MFMAType0EEvPKT_PKT0_S8_ifPKiSA_SA_iPKfiiiPfSD_PS3_PT2_iSC_SC_, .Lfunc_end1217-_Z39paged_attention_ll4mi_QKV_mfma16_kernelIDF16_hLN4vllm18Fp8KVCacheDataTypeE1EDF16_Li32ELi64ELi256ELb0ELi4EL8MFMAType0EEvPKT_PKT0_S8_ifPKiSA_SA_iPKfiiiPfSD_PS3_PT2_iSC_SC_
                                        ; -- End function
	.section	.AMDGPU.csdata,"",@progbits
; Kernel info:
; codeLenInByte = 6380
; NumSgprs: 44
; NumVgprs: 123
; ScratchSize: 0
; MemoryBound: 0
; FloatMode: 240
; IeeeMode: 1
; LDSByteSize: 17472 bytes/workgroup (compile time only)
; SGPRBlocks: 5
; VGPRBlocks: 15
; NumSGPRsForWavesPerEU: 44
; NumVGPRsForWavesPerEU: 123
; Occupancy: 10
; WaveLimiterHint : 1
; COMPUTE_PGM_RSRC2:SCRATCH_EN: 0
; COMPUTE_PGM_RSRC2:USER_SGPR: 13
; COMPUTE_PGM_RSRC2:TRAP_HANDLER: 0
; COMPUTE_PGM_RSRC2:TGID_X_EN: 1
; COMPUTE_PGM_RSRC2:TGID_Y_EN: 1
; COMPUTE_PGM_RSRC2:TGID_Z_EN: 1
; COMPUTE_PGM_RSRC2:TIDIG_COMP_CNT: 0
	.section	.text._Z39paged_attention_ll4mi_QKV_mfma16_kernelIDF16_hLN4vllm18Fp8KVCacheDataTypeE1EhLi16ELi128ELi256ELb1ELi5EL8MFMAType0EEvPKT_PKT0_S8_ifPKiSA_SA_iPKfiiiPfSD_PS3_PT2_iSC_SC_,"axG",@progbits,_Z39paged_attention_ll4mi_QKV_mfma16_kernelIDF16_hLN4vllm18Fp8KVCacheDataTypeE1EhLi16ELi128ELi256ELb1ELi5EL8MFMAType0EEvPKT_PKT0_S8_ifPKiSA_SA_iPKfiiiPfSD_PS3_PT2_iSC_SC_,comdat
	.protected	_Z39paged_attention_ll4mi_QKV_mfma16_kernelIDF16_hLN4vllm18Fp8KVCacheDataTypeE1EhLi16ELi128ELi256ELb1ELi5EL8MFMAType0EEvPKT_PKT0_S8_ifPKiSA_SA_iPKfiiiPfSD_PS3_PT2_iSC_SC_ ; -- Begin function _Z39paged_attention_ll4mi_QKV_mfma16_kernelIDF16_hLN4vllm18Fp8KVCacheDataTypeE1EhLi16ELi128ELi256ELb1ELi5EL8MFMAType0EEvPKT_PKT0_S8_ifPKiSA_SA_iPKfiiiPfSD_PS3_PT2_iSC_SC_
	.globl	_Z39paged_attention_ll4mi_QKV_mfma16_kernelIDF16_hLN4vllm18Fp8KVCacheDataTypeE1EhLi16ELi128ELi256ELb1ELi5EL8MFMAType0EEvPKT_PKT0_S8_ifPKiSA_SA_iPKfiiiPfSD_PS3_PT2_iSC_SC_
	.p2align	8
	.type	_Z39paged_attention_ll4mi_QKV_mfma16_kernelIDF16_hLN4vllm18Fp8KVCacheDataTypeE1EhLi16ELi128ELi256ELb1ELi5EL8MFMAType0EEvPKT_PKT0_S8_ifPKiSA_SA_iPKfiiiPfSD_PS3_PT2_iSC_SC_,@function
_Z39paged_attention_ll4mi_QKV_mfma16_kernelIDF16_hLN4vllm18Fp8KVCacheDataTypeE1EhLi16ELi128ELi256ELb1ELi5EL8MFMAType0EEvPKT_PKT0_S8_ifPKiSA_SA_iPKfiiiPfSD_PS3_PT2_iSC_SC_: ; @_Z39paged_attention_ll4mi_QKV_mfma16_kernelIDF16_hLN4vllm18Fp8KVCacheDataTypeE1EhLi16ELi128ELi256ELb1ELi5EL8MFMAType0EEvPKT_PKT0_S8_ifPKiSA_SA_iPKfiiiPfSD_PS3_PT2_iSC_SC_
; %bb.0:
	s_load_b64 s[4:5], s[0:1], 0x30
	s_mov_b32 s34, s13
	s_waitcnt lgkmcnt(0)
	s_cmp_lg_u64 s[4:5], 0
	s_cselect_b32 s8, -1, 0
	s_ashr_i32 s35, s13, 31
	s_cmp_eq_u64 s[4:5], 0
	s_cbranch_scc1 .LBB1218_3
; %bb.1:
	s_lshl_b64 s[2:3], s[34:35], 2
	s_delay_alu instid0(SALU_CYCLE_1) | instskip(SKIP_4) | instid1(SALU_CYCLE_1)
	s_add_u32 s2, s4, s2
	s_addc_u32 s3, s5, s3
	s_load_b64 s[2:3], s[2:3], 0x0
	s_waitcnt lgkmcnt(0)
	s_sub_i32 s2, s3, s2
	s_cmp_eq_u32 s2, 1
	s_cselect_b32 s2, -1, 0
	s_delay_alu instid0(SALU_CYCLE_1)
	s_and_not1_b32 vcc_lo, exec_lo, s2
	s_cbranch_vccz .LBB1218_4
.LBB1218_2:
	s_nop 0
	s_sendmsg sendmsg(MSG_DEALLOC_VGPRS)
	s_endpgm
.LBB1218_3:
.LBB1218_4:
	s_load_b64 s[2:3], s[0:1], 0x28
	s_lshl_b64 s[6:7], s[34:35], 2
	s_waitcnt lgkmcnt(0)
	s_add_u32 s2, s2, s6
	s_addc_u32 s3, s3, s7
	s_lshl_b32 s12, s14, 8
	s_load_b32 s24, s[2:3], 0x0
	s_waitcnt lgkmcnt(0)
	s_cmp_ge_i32 s12, s24
	s_cbranch_scc1 .LBB1218_2
; %bb.5:
	s_clause 0x1
	s_load_b128 s[20:23], s[0:1], 0x8
	s_load_b64 s[2:3], s[0:1], 0x20
	s_and_not1_b32 vcc_lo, exec_lo, s8
	s_cbranch_vccnz .LBB1218_7
; %bb.6:
	s_add_u32 s4, s4, s6
	s_addc_u32 s5, s5, s7
	s_load_b32 s5, s[4:5], 0x0
	s_branch .LBB1218_8
.LBB1218_7:
	s_mov_b32 s5, s34
.LBB1218_8:
	s_load_b128 s[16:19], s[0:1], 0x48
	v_and_b32_e32 v68, 15, v0
	v_lshrrev_b32_e32 v69, 5, v0
	v_bfe_u32 v66, v0, 4, 1
	v_and_b32_e32 v70, 31, v0
	v_and_b32_e32 v67, 1, v0
	v_lshlrev_b32_e32 v2, 3, v68
	s_mul_i32 s31, s15, 5
	v_lshl_or_b32 v1, v69, 1, v66
	s_mov_b32 s4, exec_lo
	s_delay_alu instid0(VALU_DEP_2) | instskip(NEXT) | instid1(VALU_DEP_2)
	v_lshlrev_b32_e32 v65, 1, v2
	v_cmpx_gt_u32_e32 5, v1
	s_cbranch_execz .LBB1218_10
; %bb.9:
	s_load_b64 s[6:7], s[0:1], 0x0
	v_add_lshl_u32 v2, v1, s31, 7
	s_waitcnt lgkmcnt(0)
	s_mul_hi_i32 s9, s5, s16
	s_mul_i32 s8, s5, s16
	v_lshlrev_b32_e32 v6, 10, v68
	s_lshl_b64 s[8:9], s[8:9], 1
	v_ashrrev_i32_e32 v3, 31, v2
	v_lshlrev_b32_e32 v1, 6, v1
	v_lshlrev_b32_e32 v7, 10, v67
	v_and_b32_e32 v6, 0x3800, v6
	s_delay_alu instid0(VALU_DEP_4) | instskip(NEXT) | instid1(VALU_DEP_2)
	v_lshlrev_b64 v[2:3], 1, v[2:3]
	v_or3_b32 v1, v6, v7, v1
	s_add_u32 s5, s6, s8
	s_addc_u32 s6, s7, s9
	s_delay_alu instid0(VALU_DEP_2) | instskip(NEXT) | instid1(VALU_DEP_3)
	v_add_co_u32 v2, vcc_lo, s5, v2
	v_add_co_ci_u32_e32 v3, vcc_lo, s6, v3, vcc_lo
	s_delay_alu instid0(VALU_DEP_2) | instskip(NEXT) | instid1(VALU_DEP_2)
	v_add_co_u32 v2, vcc_lo, v2, v65
	v_add_co_ci_u32_e32 v3, vcc_lo, 0, v3, vcc_lo
	global_load_b128 v[2:5], v[2:3], off
	s_waitcnt vmcnt(0)
	ds_store_b128 v1, v[2:5]
.LBB1218_10:
	s_or_b32 exec_lo, exec_lo, s4
	v_and_b32_e32 v1, 0xef, v0
	s_waitcnt lgkmcnt(0)
	s_add_i32 s5, s24, 15
	s_clause 0x1
	s_load_b32 s4, s[0:1], 0x38
	s_load_b32 s33, s[0:1], 0x98
	s_ashr_i32 s6, s5, 31
	v_add_nc_u32_e32 v1, s12, v1
	s_lshr_b32 s6, s6, 28
	s_load_b32 s19, s[0:1], 0x1c
	s_add_i32 s5, s5, s6
	s_waitcnt lgkmcnt(0)
	v_ashrrev_i32_e32 v2, 31, v1
	v_or_b32_e32 v3, 16, v1
	s_ashr_i32 s13, s5, 4
	v_cmp_gt_i32_e32 vcc_lo, s24, v1
	s_add_i32 s13, s13, -1
	v_lshrrev_b32_e32 v2, 28, v2
	s_barrier
	buffer_gl0_inv
	s_mul_i32 s15, s15, s18
	v_add_nc_u32_e32 v4, v1, v2
	s_mul_i32 s4, s34, s4
	s_delay_alu instid0(SALU_CYCLE_1) | instskip(NEXT) | instid1(VALU_DEP_1)
	s_ashr_i32 s5, s4, 31
	v_ashrrev_i32_e32 v4, 4, v4
	v_add_nc_u32_e32 v2, v3, v2
	s_lshl_b64 s[4:5], s[4:5], 2
	s_delay_alu instid0(SALU_CYCLE_1) | instskip(NEXT) | instid1(VALU_DEP_2)
	s_add_u32 s16, s2, s4
	v_cndmask_b32_e32 v1, s13, v4, vcc_lo
	s_delay_alu instid0(VALU_DEP_2)
	v_ashrrev_i32_e32 v2, 4, v2
	v_cmp_gt_i32_e32 vcc_lo, s24, v3
	s_addc_u32 s25, s3, s5
	s_ashr_i32 s18, s15, 31
	s_add_u32 s26, s20, s15
	s_addc_u32 s27, s21, s18
	v_cndmask_b32_e32 v3, s13, v2, vcc_lo
	v_ashrrev_i32_e32 v2, 31, v1
	s_lshl_b32 s2, s14, 4
	s_delay_alu instid0(SALU_CYCLE_1) | instskip(NEXT) | instid1(VALU_DEP_2)
	s_ashr_i32 s3, s2, 31
	v_ashrrev_i32_e32 v4, 31, v3
	s_delay_alu instid0(VALU_DEP_2) | instskip(SKIP_1) | instid1(SALU_CYCLE_1)
	v_lshlrev_b64 v[1:2], 2, v[1:2]
	s_lshl_b64 s[2:3], s[2:3], 2
	s_add_u32 s2, s16, s2
	s_delay_alu instid0(VALU_DEP_2) | instskip(SKIP_1) | instid1(VALU_DEP_2)
	v_lshlrev_b64 v[3:4], 2, v[3:4]
	s_addc_u32 s3, s25, s3
	v_add_co_u32 v1, vcc_lo, s16, v1
	v_add_co_ci_u32_e32 v2, vcc_lo, s25, v2, vcc_lo
	s_delay_alu instid0(VALU_DEP_3) | instskip(NEXT) | instid1(VALU_DEP_4)
	v_add_co_u32 v3, vcc_lo, s16, v3
	v_add_co_ci_u32_e32 v4, vcc_lo, s25, v4, vcc_lo
	s_clause 0x1
	global_load_b32 v5, v[1:2], off
	global_load_b32 v7, v[3:4], off
	s_or_b32 s4, s12, 32
	v_lshlrev_b32_e32 v1, 4, v0
	s_ashr_i32 s5, s4, 4
	s_cmp_lt_i32 s4, s24
	s_cselect_b32 s4, s5, s13
	s_delay_alu instid0(VALU_DEP_1) | instskip(SKIP_1) | instid1(SALU_CYCLE_1)
	v_and_b32_e32 v1, 0xf0, v1
	s_ashr_i32 s5, s4, 31
	s_lshl_b64 s[4:5], s[4:5], 2
	s_delay_alu instid0(SALU_CYCLE_1)
	s_add_u32 s4, s16, s4
	s_addc_u32 s5, s25, s5
	s_or_b32 s6, s12, 64
	v_add_co_u32 v1, s26, s26, v1
	s_ashr_i32 s7, s6, 4
	s_cmp_lt_i32 s6, s24
	v_add_co_ci_u32_e64 v2, null, s27, 0, s26
	s_cselect_b32 s6, s7, s13
	s_delay_alu instid0(SALU_CYCLE_1) | instskip(NEXT) | instid1(SALU_CYCLE_1)
	s_ashr_i32 s7, s6, 31
	s_lshl_b64 s[6:7], s[6:7], 2
	s_delay_alu instid0(SALU_CYCLE_1) | instskip(SKIP_2) | instid1(SALU_CYCLE_1)
	s_add_u32 s6, s16, s6
	s_addc_u32 s7, s25, s7
	s_or_b32 s8, s12, 0x60
	s_ashr_i32 s9, s8, 4
	s_cmp_lt_i32 s8, s24
	s_cselect_b32 s8, s9, s13
	s_delay_alu instid0(SALU_CYCLE_1) | instskip(NEXT) | instid1(SALU_CYCLE_1)
	s_ashr_i32 s9, s8, 31
	s_lshl_b64 s[8:9], s[8:9], 2
	s_delay_alu instid0(SALU_CYCLE_1) | instskip(SKIP_2) | instid1(SALU_CYCLE_1)
	s_add_u32 s8, s16, s8
	s_addc_u32 s9, s25, s9
	s_or_b32 s10, s12, 0x80
	s_ashr_i32 s11, s10, 4
	s_cmp_lt_i32 s10, s24
	;; [unrolled: 10-line block ×3, first 2 shown]
	s_cselect_b32 s20, s21, s13
	s_delay_alu instid0(SALU_CYCLE_1) | instskip(NEXT) | instid1(SALU_CYCLE_1)
	s_ashr_i32 s21, s20, 31
	s_lshl_b64 s[20:21], s[20:21], 2
	s_delay_alu instid0(SALU_CYCLE_1)
	s_add_u32 s20, s16, s20
	s_addc_u32 s21, s25, s21
	s_clause 0x5
	s_load_b32 s26, s[2:3], 0x0
	s_load_b32 s27, s[4:5], 0x0
	;; [unrolled: 1-line block ×6, first 2 shown]
	s_or_b32 s2, s12, 0xc0
	s_mov_b32 s4, 0
	s_ashr_i32 s3, s2, 4
	s_cmp_lt_i32 s2, s24
	s_mov_b32 s11, s4
	s_cselect_b32 s2, s3, s13
	s_mov_b32 s5, s4
	s_ashr_i32 s3, s2, 31
	s_mov_b32 s6, s4
	s_lshl_b64 s[2:3], s[2:3], 2
	s_mov_b32 s7, s4
	s_add_u32 s2, s16, s2
	s_addc_u32 s3, s25, s3
	s_or_b32 s20, s12, 0xe0
	s_mov_b32 s8, s4
	s_ashr_i32 s21, s20, 4
	s_cmp_lt_i32 s20, s24
	s_mov_b32 s9, s4
	s_cselect_b32 s20, s21, s13
	s_mov_b32 s10, s4
	s_ashr_i32 s21, s20, 31
	v_mov_b32_e32 v118, s11
	v_dual_mov_b32 v112, s5 :: v_dual_mov_b32 v117, s10
	v_dual_mov_b32 v116, s9 :: v_dual_mov_b32 v115, s8
	;; [unrolled: 1-line block ×3, first 2 shown]
	v_mov_b32_e32 v111, s4
	s_lshl_b64 s[4:5], s[20:21], 2
	s_delay_alu instid0(SALU_CYCLE_1)
	s_add_u32 s4, s16, s4
	s_addc_u32 s5, s25, s5
	s_add_u32 s6, s22, s15
	s_addc_u32 s7, s23, s18
	s_waitcnt vmcnt(1)
	v_mad_i64_i32 v[3:4], null, v5, s17, v[1:2]
	s_waitcnt vmcnt(0)
	v_mad_i64_i32 v[5:6], null, v7, s17, v[1:2]
	v_mul_lo_u16 v1, v68, 52
	v_lshlrev_b32_e32 v2, 4, v68
	s_clause 0xf
	global_load_b128 v[17:20], v[3:4], off
	global_load_b128 v[21:24], v[3:4], off offset:256
	global_load_b128 v[25:28], v[5:6], off
	global_load_b128 v[29:32], v[5:6], off offset:256
	global_load_b128 v[57:60], v[3:4], off offset:512
	;; [unrolled: 1-line block ×13, first 2 shown]
	v_lshrrev_b16 v1, 8, v1
	s_delay_alu instid0(VALU_DEP_1) | instskip(NEXT) | instid1(VALU_DEP_1)
	v_mul_lo_u16 v1, v1, 5
	v_sub_nc_u16 v1, v68, v1
	s_delay_alu instid0(VALU_DEP_1) | instskip(NEXT) | instid1(VALU_DEP_1)
	v_and_b32_e32 v1, 0xff, v1
	v_lshlrev_b32_e32 v149, 6, v1
	v_lshl_or_b32 v1, v69, 8, v2
	ds_load_b128 v[119:122], v149
	ds_load_b128 v[123:126], v149 offset:1024
	ds_load_b128 v[127:130], v149 offset:2048
	;; [unrolled: 1-line block ×3, first 2 shown]
	s_clause 0x1
	s_load_b32 s2, s[2:3], 0x0
	s_load_b32 s3, s[4:5], 0x0
	v_add_co_u32 v135, s6, s6, v1
	s_delay_alu instid0(VALU_DEP_1) | instskip(SKIP_1) | instid1(VALU_DEP_1)
	v_add_co_ci_u32_e64 v136, null, s7, 0, s6
	s_waitcnt lgkmcnt(0)
	v_mad_i64_i32 v[1:2], null, s26, s17, v[135:136]
	v_mad_i64_i32 v[3:4], null, s27, s17, v[135:136]
	;; [unrolled: 1-line block ×6, first 2 shown]
	s_clause 0x9
	global_load_b128 v[49:52], v[1:2], off
	global_load_b128 v[53:56], v[1:2], off offset:16
	global_load_b128 v[41:44], v[3:4], off
	global_load_b128 v[45:48], v[3:4], off offset:16
	;; [unrolled: 2-line block ×5, first 2 shown]
	v_mad_i64_i32 v[145:146], null, s2, s17, v[135:136]
	v_mad_i64_i32 v[147:148], null, s3, s17, v[135:136]
	s_waitcnt vmcnt(24)
	v_wmma_f32_16x16x16_f16 v[135:142], v[17:24], v[119:126], v[111:118]
	s_waitcnt vmcnt(22)
	v_wmma_f32_16x16x16_f16 v[111:118], v[25:32], v[119:126], v[111:118]
	s_clause 0x3
	global_load_b128 v[17:20], v[143:144], off
	global_load_b128 v[21:24], v[143:144], off offset:16
	global_load_b128 v[25:28], v[145:146], off
	global_load_b128 v[29:32], v[145:146], off offset:16
	v_and_b32_e32 v119, 0xe0, v0
	s_waitcnt vmcnt(24)
	v_wmma_f32_16x16x16_f16 v[135:142], v[57:64], v[127:134], v[135:142]
	s_clause 0x1
	global_load_b128 v[57:60], v[147:148], off
	global_load_b128 v[61:64], v[147:148], off offset:16
	s_waitcnt vmcnt(24)
	v_wmma_f32_16x16x16_f16 v[111:118], v[71:78], v[127:134], v[111:118]
	ds_load_b128 v[71:74], v149 offset:4096
	ds_load_b128 v[75:78], v149 offset:5120
	v_add_nc_u32_e32 v128, s12, v119
	ds_load_b128 v[119:122], v149 offset:6144
	ds_load_b128 v[123:126], v149 offset:7168
	v_mbcnt_lo_u32_b32 v127, -1, 0
	s_waitcnt vmcnt(0) lgkmcnt(0)
	s_barrier
	v_or_b32_e32 v128, v128, v66
	buffer_gl0_inv
	v_xor_b32_e32 v129, 16, v127
	v_or_b32_e32 v130, 4, v128
	v_or_b32_e32 v131, 6, v128
	s_delay_alu instid0(VALU_DEP_3) | instskip(SKIP_4) | instid1(VALU_DEP_4)
	v_cmp_gt_i32_e32 vcc_lo, 32, v129
	v_or_b32_e32 v132, 8, v128
	v_or_b32_e32 v133, 10, v128
	v_cmp_gt_i32_e64 s3, s24, v130
	v_cmp_gt_i32_e64 s4, s24, v131
	v_cmp_gt_i32_e64 s5, s24, v132
	v_wmma_f32_16x16x16_f16 v[135:142], v[79:86], v[71:78], v[135:142]
	v_wmma_f32_16x16x16_f16 v[111:118], v[87:94], v[71:78], v[111:118]
	v_or_b32_e32 v79, 12, v128
	v_or_b32_e32 v80, 14, v128
	v_cmp_gt_i32_e64 s6, s24, v133
	v_wmma_f32_16x16x16_f16 v[135:142], v[95:102], v[119:126], v[135:142]
	v_wmma_f32_16x16x16_f16 v[111:118], v[103:110], v[119:126], v[111:118]
	v_cndmask_b32_e32 v127, v127, v129, vcc_lo
	v_or_b32_e32 v129, 2, v128
	v_cmp_gt_i32_e32 vcc_lo, s24, v128
	s_delay_alu instid0(VALU_DEP_4) | instskip(SKIP_1) | instid1(VALU_DEP_4)
	v_dual_mul_f32 v87, s19, v136 :: v_dual_mul_f32 v94, s19, v113
	v_mul_f32_e32 v88, s19, v135
	v_cmp_gt_i32_e64 s2, s24, v129
	v_mul_f32_e32 v78, s19, v138
	v_mul_f32_e32 v86, s19, v137
	;; [unrolled: 1-line block ×3, first 2 shown]
	v_cndmask_b32_e32 v88, 0xff7fffff, v88, vcc_lo
	v_cndmask_b32_e64 v87, 0xff7fffff, v87, s2
	v_dual_mul_f32 v77, s19, v139 :: v_dual_mul_f32 v90, s19, v117
	v_cndmask_b32_e64 v86, 0xff7fffff, v86, s3
	v_cndmask_b32_e64 v78, 0xff7fffff, v78, s4
	s_delay_alu instid0(VALU_DEP_4)
	v_max3_f32 v87, v88, 0xff7fffff, v87
	v_or_b32_e32 v81, 16, v128
	v_or_b32_e32 v82, 18, v128
	v_dual_mul_f32 v74, s19, v142 :: v_dual_mul_f32 v75, s19, v141
	v_mul_f32_e32 v96, s19, v111
	v_cndmask_b32_e64 v77, 0xff7fffff, v77, s5
	v_cndmask_b32_e64 v76, 0xff7fffff, v76, s6
	v_max3_f32 v78, v87, v86, v78
	v_cmp_gt_i32_e64 s7, s24, v79
	v_cmp_gt_i32_e64 s8, s24, v80
	v_or_b32_e32 v83, 20, v128
	v_or_b32_e32 v84, 22, v128
	v_mul_f32_e32 v95, s19, v112
	v_cndmask_b32_e64 v75, 0xff7fffff, v75, s7
	v_cndmask_b32_e64 v74, 0xff7fffff, v74, s8
	v_max3_f32 v76, v78, v77, v76
	v_cmp_gt_i32_e64 s9, s24, v81
	v_cmp_gt_i32_e64 s10, s24, v82
	v_or_b32_e32 v85, 24, v128
	v_or_b32_e32 v71, 26, v128
	;; [unrolled: 8-line block ×3, first 2 shown]
	v_dual_mul_f32 v91, s19, v116 :: v_dual_mul_f32 v92, s19, v115
	v_cndmask_b32_e64 v75, 0xff7fffff, v94, s11
	v_cndmask_b32_e64 v76, 0xff7fffff, v93, s12
	v_max3_f32 v74, v74, v77, v78
	v_cmp_gt_i32_e64 s13, s24, v85
	v_cmp_gt_i32_e64 s15, s24, v71
	v_mul_f32_e32 v89, s19, v118
	v_cmp_gt_i32_e64 s16, s24, v72
	v_max3_f32 v74, v74, v75, v76
	v_cndmask_b32_e64 v77, 0xff7fffff, v92, s13
	v_cndmask_b32_e64 v71, 0xff7fffff, v91, s15
	v_cmp_gt_i32_e64 s17, s24, v73
	v_cndmask_b32_e64 v72, 0xff7fffff, v90, s16
	s_delay_alu instid0(VALU_DEP_3) | instskip(SKIP_1) | instid1(VALU_DEP_4)
	v_max3_f32 v71, v74, v77, v71
	v_lshlrev_b32_e32 v74, 2, v127
	v_cndmask_b32_e64 v73, 0xff7fffff, v89, s17
	s_delay_alu instid0(VALU_DEP_1) | instskip(SKIP_3) | instid1(VALU_DEP_1)
	v_max3_f32 v71, v71, v72, v73
	ds_bpermute_b32 v72, v74, v71
	s_waitcnt lgkmcnt(0)
	v_max_f32_e32 v72, v72, v72
	v_max_f32_e32 v71, v71, v72
	s_delay_alu instid0(VALU_DEP_1) | instskip(SKIP_4) | instid1(VALU_DEP_4)
	v_fma_f32 v72, s19, v135, -v71
	v_fma_f32 v73, s19, v136, -v71
	;; [unrolled: 1-line block ×5, first 2 shown]
	v_dual_mul_f32 v72, 0x3fb8aa3b, v72 :: v_dual_mul_f32 v73, 0x3fb8aa3b, v73
	s_delay_alu instid0(VALU_DEP_3) | instskip(SKIP_1) | instid1(VALU_DEP_3)
	v_dual_mul_f32 v75, 0x3fb8aa3b, v75 :: v_dual_mul_f32 v76, 0x3fb8aa3b, v76
	v_fma_f32 v80, s19, v141, -v71
	v_exp_f32_e32 v72, v72
	s_delay_alu instid0(VALU_DEP_3) | instskip(NEXT) | instid1(VALU_DEP_2)
	v_exp_f32_e32 v73, v73
	v_exp_f32_e32 v75, v75
	;; [unrolled: 1-line block ×3, first 2 shown]
	v_mul_f32_e32 v82, 0x3fb8aa3b, v80
	s_delay_alu instid0(VALU_DEP_1) | instskip(SKIP_4) | instid1(TRANS32_DEP_3)
	v_exp_f32_e32 v84, v82
	v_cndmask_b32_e32 v79, 0, v72, vcc_lo
	v_fma_f32 v72, s19, v140, -v71
	v_mul_f32_e32 v77, 0x3fb8aa3b, v77
	v_cndmask_b32_e64 v78, 0, v73, s2
	v_cndmask_b32_e64 v81, 0, v75, s3
	s_delay_alu instid0(VALU_DEP_4) | instskip(NEXT) | instid1(VALU_DEP_4)
	v_dual_add_f32 v73, 0, v79 :: v_dual_mul_f32 v72, 0x3fb8aa3b, v72
	v_exp_f32_e32 v77, v77
	v_cndmask_b32_e64 v80, 0, v76, s4
	s_delay_alu instid0(TRANS32_DEP_2) | instskip(NEXT) | instid1(VALU_DEP_3)
	v_cndmask_b32_e64 v85, 0, v84, s7
	v_add_f32_e32 v73, v73, v78
	v_exp_f32_e32 v72, v72
	v_cmp_gt_u32_e64 s2, 16, v70
	s_delay_alu instid0(VALU_DEP_2) | instskip(NEXT) | instid1(TRANS32_DEP_2)
	v_add_f32_e32 v73, v73, v81
	v_cndmask_b32_e64 v83, 0, v77, s5
	s_delay_alu instid0(VALU_DEP_2) | instskip(SKIP_3) | instid1(VALU_DEP_1)
	v_add_f32_e32 v73, v73, v80
	s_waitcnt_depctr 0xfff
	v_cndmask_b32_e64 v82, 0, v72, s6
	v_add_f32_e32 v72, v73, v83
	v_add_f32_e32 v72, v72, v82
	s_delay_alu instid0(VALU_DEP_1)
	v_add_f32_e32 v72, v72, v85
	v_fma_f32 v76, s19, v111, -v71
	v_fma_f32 v75, s19, v142, -v71
	;; [unrolled: 1-line block ×5, first 2 shown]
	s_delay_alu instid0(VALU_DEP_4) | instskip(NEXT) | instid1(VALU_DEP_3)
	v_dual_mul_f32 v76, 0x3fb8aa3b, v76 :: v_dual_mul_f32 v75, 0x3fb8aa3b, v75
	v_mul_f32_e32 v86, 0x3fb8aa3b, v86
	s_delay_alu instid0(VALU_DEP_2) | instskip(NEXT) | instid1(VALU_DEP_2)
	v_exp_f32_e32 v76, v76
	v_exp_f32_e32 v75, v75
	s_delay_alu instid0(VALU_DEP_1) | instskip(NEXT) | instid1(TRANS32_DEP_3)
	v_exp_f32_e32 v88, v86
	v_cndmask_b32_e64 v87, 0, v76, s9
	v_fma_f32 v76, s19, v116, -v71
	v_mul_f32_e32 v77, 0x3fb8aa3b, v77
	s_waitcnt_depctr 0xfff
	v_cndmask_b32_e64 v84, 0, v75, s8
	v_fma_f32 v75, s19, v115, -v71
	v_cndmask_b32_e64 v88, 0, v88, s12
	v_mul_f32_e32 v76, 0x3fb8aa3b, v76
	v_exp_f32_e32 v77, v77
	v_add_f32_e32 v72, v72, v84
	s_delay_alu instid0(VALU_DEP_2) | instskip(NEXT) | instid1(VALU_DEP_1)
	v_exp_f32_e32 v76, v76
	v_add_f32_e32 v72, v72, v87
	s_waitcnt_depctr 0xfff
	v_cndmask_b32_e64 v86, 0, v77, s10
	v_mul_f32_e32 v73, 0x3fb8aa3b, v73
	v_fma_f32 v77, s19, v117, -v71
	v_cndmask_b32_e64 v90, 0, v76, s15
	s_delay_alu instid0(VALU_DEP_4) | instskip(NEXT) | instid1(VALU_DEP_4)
	v_add_f32_e32 v72, v72, v86
	v_exp_f32_e32 v73, v73
	s_waitcnt_depctr 0xfff
	v_cndmask_b32_e64 v89, 0, v73, s11
	s_delay_alu instid0(VALU_DEP_1) | instskip(NEXT) | instid1(VALU_DEP_1)
	v_dual_mul_f32 v75, 0x3fb8aa3b, v75 :: v_dual_add_f32 v72, v72, v89
	v_exp_f32_e32 v75, v75
	v_mul_f32_e32 v73, 0x3fb8aa3b, v77
	v_fma_f32 v77, s19, v118, -v71
	s_delay_alu instid0(VALU_DEP_3) | instskip(NEXT) | instid1(VALU_DEP_3)
	v_add_f32_e32 v72, v72, v88
	v_exp_f32_e32 v73, v73
	s_waitcnt_depctr 0xfff
	v_cndmask_b32_e64 v91, 0, v75, s13
	s_delay_alu instid0(VALU_DEP_1) | instskip(NEXT) | instid1(VALU_DEP_1)
	v_dual_mul_f32 v75, 0x3fb8aa3b, v77 :: v_dual_add_f32 v72, v72, v91
	v_exp_f32_e32 v75, v75
	v_cndmask_b32_e64 v93, 0, v73, s16
	s_delay_alu instid0(VALU_DEP_2) | instskip(NEXT) | instid1(VALU_DEP_1)
	v_add_f32_e32 v72, v72, v90
	v_add_f32_e32 v72, v72, v93
	s_waitcnt_depctr 0xfff
	v_cndmask_b32_e64 v92, 0, v75, s17
	s_delay_alu instid0(VALU_DEP_1)
	v_add_f32_e32 v72, v72, v92
	ds_bpermute_b32 v73, v74, v72
	s_and_saveexec_b32 s3, s2
	s_cbranch_execz .LBB1218_12
; %bb.11:
	v_mul_u32_u24_e32 v70, 0x44, v69
	s_waitcnt lgkmcnt(0)
	v_add_f32_e32 v72, v72, v73
	s_delay_alu instid0(VALU_DEP_2) | instskip(NEXT) | instid1(VALU_DEP_1)
	v_lshl_add_u32 v70, v68, 2, v70
	v_add_nc_u32_e32 v70, 0x4000, v70
	ds_store_2addr_b32 v70, v71, v72 offset1:136
.LBB1218_12:
	s_or_b32 exec_lo, exec_lo, s3
	v_lshlrev_b32_e32 v70, 2, v68
	s_load_b32 s35, s[0:1], 0x94
	s_waitcnt lgkmcnt(0)
	s_barrier
	buffer_gl0_inv
	v_add_nc_u32_e32 v98, 0x4000, v70
	v_cmp_eq_u32_e32 vcc_lo, 1, v69
	v_cmp_eq_u32_e64 s3, 2, v69
	v_cmp_eq_u32_e64 s4, 3, v69
	;; [unrolled: 1-line block ×3, first 2 shown]
	ds_load_2addr_b32 v[70:71], v98 offset1:17
	ds_load_2addr_b32 v[72:73], v98 offset0:34 offset1:51
	ds_load_2addr_b32 v[74:75], v98 offset0:68 offset1:85
	;; [unrolled: 1-line block ×3, first 2 shown]
	v_cmp_eq_u32_e64 s6, 5, v69
	v_cmp_eq_u32_e64 s7, 7, v69
	s_waitcnt lgkmcnt(3)
	v_max3_f32 v76, v70, 0xff7fffff, v71
	s_waitcnt lgkmcnt(2)
	s_delay_alu instid0(VALU_DEP_1) | instskip(SKIP_1) | instid1(VALU_DEP_1)
	v_max3_f32 v76, v76, v72, v73
	s_waitcnt lgkmcnt(1)
	v_max3_f32 v76, v76, v74, v75
	s_waitcnt lgkmcnt(0)
	s_delay_alu instid0(VALU_DEP_1) | instskip(NEXT) | instid1(VALU_DEP_1)
	v_max3_f32 v76, v76, v94, v95
	v_sub_f32_e32 v77, v71, v76
	ds_load_2addr_b32 v[96:97], v98 offset0:136 offset1:153
	v_sub_f32_e32 v74, v74, v76
	v_sub_f32_e32 v70, v70, v76
	;; [unrolled: 1-line block ×3, first 2 shown]
	v_dual_sub_f32 v72, v72, v76 :: v_dual_mul_f32 v77, 0x3fb8aa3b, v77
	s_delay_alu instid0(VALU_DEP_4) | instskip(NEXT) | instid1(VALU_DEP_4)
	v_mul_f32_e32 v103, 0x3fb8aa3b, v74
	v_mul_f32_e32 v99, 0x3fb8aa3b, v70
	ds_load_2addr_b32 v[70:71], v98 offset0:170 offset1:187
	v_dual_mul_f32 v101, 0x3fb8aa3b, v72 :: v_dual_mul_f32 v94, 0x3fb8aa3b, v94
	v_exp_f32_e32 v102, v77
	v_exp_f32_e32 v99, v99
	s_delay_alu instid0(VALU_DEP_1) | instskip(NEXT) | instid1(VALU_DEP_1)
	v_exp_f32_e32 v101, v101
	v_exp_f32_e32 v94, v94
	s_waitcnt lgkmcnt(1)
	s_delay_alu instid0(TRANS32_DEP_3)
	v_fma_f32 v77, v99, v96, 0
	v_sub_f32_e32 v100, v73, v76
	ds_load_2addr_b32 v[72:73], v98 offset0:204 offset1:221
	v_fmac_f32_e32 v77, v102, v97
	v_exp_f32_e32 v97, v103
	s_waitcnt lgkmcnt(1)
	s_delay_alu instid0(VALU_DEP_1)
	v_dual_fmac_f32 v77, v101, v70 :: v_dual_sub_f32 v96, v75, v76
	ds_load_2addr_b32 v[74:75], v98 offset0:238 offset1:255
	v_sub_f32_e32 v70, v95, v76
	s_waitcnt lgkmcnt(0)
	s_barrier
	v_mul_f32_e32 v96, 0x3fb8aa3b, v96
	buffer_gl0_inv
	v_exp_f32_e32 v95, v96
	v_mul_f32_e32 v100, 0x3fb8aa3b, v100
	s_delay_alu instid0(VALU_DEP_1) | instskip(SKIP_3) | instid1(VALU_DEP_2)
	v_exp_f32_e32 v100, v100
	s_waitcnt_depctr 0xfff
	v_dual_fmac_f32 v77, v100, v71 :: v_dual_mul_f32 v70, 0x3fb8aa3b, v70
	v_cndmask_b32_e32 v71, v99, v102, vcc_lo
	v_fmac_f32_e32 v77, v97, v72
	s_delay_alu instid0(VALU_DEP_3) | instskip(NEXT) | instid1(VALU_DEP_1)
	v_exp_f32_e32 v96, v70
	v_fmac_f32_e32 v77, v95, v73
	s_delay_alu instid0(VALU_DEP_1) | instskip(SKIP_2) | instid1(VALU_DEP_1)
	v_fmac_f32_e32 v77, v94, v74
	s_waitcnt_depctr 0xfff
	v_fmac_f32_e32 v77, v96, v75
	v_add_f32_e32 v74, 0x358637bd, v77
	s_delay_alu instid0(VALU_DEP_1) | instskip(SKIP_1) | instid1(VALU_DEP_2)
	v_div_scale_f32 v98, null, v74, v74, 1.0
	v_div_scale_f32 v99, vcc_lo, 1.0, v74, 1.0
	v_rcp_f32_e32 v103, v98
	s_waitcnt_depctr 0xfff
	v_fma_f32 v70, -v98, v103, 1.0
	s_delay_alu instid0(VALU_DEP_1) | instskip(SKIP_2) | instid1(VALU_DEP_2)
	v_fmac_f32_e32 v103, v70, v103
	v_cndmask_b32_e64 v70, v71, v101, s3
	v_cmp_eq_u32_e64 s3, 6, v69
	v_cndmask_b32_e64 v71, v70, v100, s4
	s_delay_alu instid0(VALU_DEP_4) | instskip(NEXT) | instid1(VALU_DEP_2)
	v_dual_mul_f32 v101, v99, v103 :: v_dual_lshlrev_b32 v70, 2, v66
	v_cndmask_b32_e64 v71, v71, v97, s5
	s_delay_alu instid0(VALU_DEP_2) | instskip(NEXT) | instid1(VALU_DEP_3)
	v_or_b32_e32 v72, 1, v70
	v_fma_f32 v100, -v98, v101, v99
	v_cmp_eq_u32_e64 s4, 1, v70
	v_cmp_eq_u32_e64 s5, 2, v70
	v_cndmask_b32_e64 v95, v71, v95, s6
	v_or_b32_e32 v71, 3, v70
	v_fmac_f32_e32 v101, v100, v103
	v_cmp_eq_u32_e64 s9, 1, v72
	v_cmp_eq_u32_e64 s12, 2, v72
	v_cndmask_b32_e64 v94, v95, v94, s3
	v_cmp_eq_u32_e64 s11, 1, v71
	v_fma_f32 v97, -v98, v101, v99
	v_cmp_eq_u32_e64 s16, 2, v71
	v_cmp_eq_u32_e64 s13, 3, v72
	v_cndmask_b32_e64 v94, v94, v96, s7
	v_cmp_eq_u32_e64 s18, 3, v71
	v_div_fmas_f32 v95, v97, v103, v101
	v_cmp_eq_u32_e32 vcc_lo, 3, v70
	v_cmp_eq_u32_e64 s3, 4, v70
	v_cmp_eq_u32_e64 s19, 4, v72
	;; [unrolled: 1-line block ×3, first 2 shown]
	v_div_fixup_f32 v95, v95, v74, 1.0
	v_lshlrev_b32_e32 v73, 6, v68
	v_cmp_eq_u32_e64 s6, 5, v70
	v_cmp_eq_u32_e64 s20, 5, v72
	;; [unrolled: 1-line block ×3, first 2 shown]
	v_mul_f32_e32 v102, v94, v95
	v_lshl_or_b32 v75, v69, 11, v73
	v_or_b32_e32 v69, 2, v70
	v_cmp_eq_u32_e64 s25, 6, v72
	v_cmp_eq_u32_e64 s27, 6, v71
	v_fma_mixlo_f16 v94, v102, v79, 0
	v_fma_mixlo_f16 v95, v102, v81, 0
	;; [unrolled: 1-line block ×8, first 2 shown]
	v_lshl_or_b32 v74, v66, 4, v75
	v_fma_mixhi_f16 v94, v102, v78, 0
	v_fma_mixhi_f16 v95, v102, v80, 0
	;; [unrolled: 1-line block ×8, first 2 shown]
	ds_store_b128 v74, v[94:97]
	ds_store_b128 v74, v[98:101] offset:1024
	s_waitcnt lgkmcnt(0)
	s_barrier
	buffer_gl0_inv
	ds_load_b128 v[78:81], v75
	ds_load_b128 v[82:85], v75 offset:16
	ds_load_b128 v[86:89], v75 offset:1024
	;; [unrolled: 1-line block ×3, first 2 shown]
	v_cmp_eq_u32_e64 s10, 1, v69
	v_cmp_eq_u32_e64 s15, 2, v69
	;; [unrolled: 1-line block ×11, first 2 shown]
	s_waitcnt lgkmcnt(3)
	v_lshrrev_b32_e32 v94, 16, v78
	s_waitcnt lgkmcnt(2)
	v_lshrrev_b32_e32 v98, 16, v82
	;; [unrolled: 2-line block ×4, first 2 shown]
	v_lshrrev_b32_e32 v95, 16, v79
	v_cndmask_b32_e64 v110, v78, v94, s4
	v_cndmask_b32_e64 v111, v82, v98, s4
	;; [unrolled: 1-line block ×8, first 2 shown]
	v_lshrrev_b32_e32 v99, 16, v83
	v_cndmask_b32_e64 v94, v86, v102, s4
	v_cndmask_b32_e64 v98, v90, v106, s4
	;; [unrolled: 1-line block ×15, first 2 shown]
	v_lshrrev_b32_e32 v103, 16, v87
	v_lshrrev_b32_e32 v107, 16, v91
	v_cndmask_b32_e64 v113, v115, v83, s15
	v_cndmask_b32_e64 v82, v94, v87, s5
	;; [unrolled: 1-line block ×7, first 2 shown]
	v_cndmask_b32_e32 v90, v102, v95, vcc_lo
	v_cndmask_b32_e32 v102, v106, v99, vcc_lo
	v_cndmask_b32_e64 v106, v110, v95, s13
	v_cndmask_b32_e64 v110, v111, v99, s13
	;; [unrolled: 1-line block ×4, first 2 shown]
	v_lshrrev_b32_e32 v96, 16, v80
	v_lshrrev_b32_e32 v100, 16, v84
	v_cndmask_b32_e64 v111, v112, v95, s17
	v_cndmask_b32_e64 v112, v113, v99, s17
	v_cndmask_b32_e32 v82, v82, v103, vcc_lo
	v_cndmask_b32_e32 v83, v83, v107, vcc_lo
	v_cndmask_b32_e64 v94, v94, v103, s13
	v_cndmask_b32_e64 v90, v90, v80, s3
	;; [unrolled: 1-line block ×7, first 2 shown]
	v_lshrrev_b32_e32 v104, 16, v88
	v_cndmask_b32_e64 v106, v111, v80, s21
	v_cndmask_b32_e64 v110, v112, v84, s21
	;; [unrolled: 1-line block ×11, first 2 shown]
	v_lshrrev_b32_e32 v97, 16, v81
	v_lshrrev_b32_e32 v101, 16, v85
	v_cndmask_b32_e64 v99, v106, v96, s23
	v_cndmask_b32_e64 v102, v110, v100, s23
	;; [unrolled: 1-line block ×7, first 2 shown]
	v_lshrrev_b32_e32 v105, 16, v89
	v_cndmask_b32_e64 v80, v80, v104, s6
	v_cndmask_b32_e64 v84, v84, v81, s7
	;; [unrolled: 1-line block ×16, first 2 shown]
	v_perm_b32 v81, v79, v78, 0x5040100
	v_perm_b32 v79, v95, v85, 0x5040100
	v_cndmask_b32_e64 v78, v119, v91, s15
	v_cndmask_b32_e64 v85, v117, v91, s12
	;; [unrolled: 1-line block ×3, first 2 shown]
	v_perm_b32 v80, v94, v90, 0x5040100
	v_cndmask_b32_e64 v90, v98, v103, s17
	v_cndmask_b32_e64 v86, v86, v103, s18
	;; [unrolled: 1-line block ×5, first 2 shown]
	v_lshrrev_b32_e32 v108, 16, v92
	v_cndmask_b32_e64 v90, v90, v88, s21
	v_cndmask_b32_e64 v86, v86, v88, s22
	;; [unrolled: 1-line block ×11, first 2 shown]
	v_lshrrev_b32_e32 v109, 16, v93
	v_cndmask_b32_e64 v82, v82, v93, s7
	v_cndmask_b32_e64 v88, v88, v89, s26
	;; [unrolled: 1-line block ×12, first 2 shown]
	v_perm_b32 v78, v84, v83, 0x5040100
	v_perm_b32 v85, v87, v86, 0x5040100
	;; [unrolled: 1-line block ×5, first 2 shown]
	s_mul_i32 s8, s33, 5
	s_mov_b32 s3, exec_lo
	ds_store_b128 v74, v[78:81]
	ds_store_b128 v74, v[82:85] offset:1024
	v_cmpx_gt_u32_e32 5, v0
	s_cbranch_execz .LBB1218_14
; %bb.13:
	s_mul_i32 s4, s8, s34
	s_delay_alu instid0(SALU_CYCLE_1) | instskip(SKIP_1) | instid1(VALU_DEP_1)
	v_add3_u32 v68, s4, s31, v68
	s_load_b128 s[4:7], s[0:1], 0x58
	v_mad_u64_u32 v[78:79], null, v68, s35, s[14:15]
	s_delay_alu instid0(VALU_DEP_1) | instskip(NEXT) | instid1(VALU_DEP_1)
	v_ashrrev_i32_e32 v79, 31, v78
	v_lshlrev_b64 v[78:79], 2, v[78:79]
	s_waitcnt lgkmcnt(0)
	s_delay_alu instid0(VALU_DEP_1) | instskip(NEXT) | instid1(VALU_DEP_2)
	v_add_co_u32 v80, vcc_lo, s6, v78
	v_add_co_ci_u32_e32 v81, vcc_lo, s7, v79, vcc_lo
	v_add_co_u32 v78, vcc_lo, s4, v78
	v_add_co_ci_u32_e32 v79, vcc_lo, s5, v79, vcc_lo
	global_store_b32 v[80:81], v76, off
	global_store_b32 v[78:79], v77, off
.LBB1218_14:
	s_or_b32 exec_lo, exec_lo, s3
	s_waitcnt lgkmcnt(0)
	s_waitcnt_vscnt null, 0x0
	s_barrier
	buffer_gl0_inv
	ds_load_b128 v[84:87], v73
	ds_load_b128 v[88:91], v73 offset:16
	ds_load_b128 v[96:99], v73 offset:2064
	;; [unrolled: 1-line block ×5, first 2 shown]
	v_cmp_eq_u32_e32 vcc_lo, 1, v70
	v_mov_b32_e32 v76, 0
	ds_load_b128 v[112:115], v73 offset:6160
	ds_load_b128 v[108:111], v73 offset:6144
	;; [unrolled: 1-line block ×4, first 2 shown]
	v_cmp_eq_u32_e64 s4, 1, v69
	v_cmp_eq_u32_e64 s3, 1, v72
	;; [unrolled: 1-line block ×3, first 2 shown]
	v_mov_b32_e32 v77, v76
	v_mov_b32_e32 v78, v76
	;; [unrolled: 1-line block ×7, first 2 shown]
	v_cmp_eq_u32_e64 s6, 3, v72
	v_cmp_eq_u32_e64 s7, 7, v72
	s_waitcnt lgkmcnt(8)
	s_delay_alu instid0(VALU_DEP_3)
	v_wmma_f32_16x16x16_f16 v[76:83], v[49:56], v[84:91], v[76:83]
	ds_load_b128 v[53:56], v73 offset:10256
	ds_load_b128 v[49:52], v73 offset:10240
	s_waitcnt lgkmcnt(8)
	v_wmma_f32_16x16x16_f16 v[76:83], v[41:48], v[92:99], v[76:83]
	ds_load_b128 v[45:48], v73 offset:12304
	ds_load_b128 v[41:44], v73 offset:12288
	s_waitcnt lgkmcnt(8)
	;; [unrolled: 4-line block ×3, first 2 shown]
	s_barrier
	buffer_gl0_inv
	v_wmma_f32_16x16x16_f16 v[76:83], v[1:8], v[108:115], v[76:83]
	s_delay_alu instid0(VALU_DEP_1) | instskip(NEXT) | instid1(VALU_DEP_1)
	v_wmma_f32_16x16x16_f16 v[76:83], v[9:16], v[116:123], v[76:83]
	v_wmma_f32_16x16x16_f16 v[76:83], v[17:24], v[49:56], v[76:83]
	s_delay_alu instid0(VALU_DEP_1) | instskip(NEXT) | instid1(VALU_DEP_1)
	v_wmma_f32_16x16x16_f16 v[76:83], v[25:32], v[41:48], v[76:83]
	v_wmma_f32_16x16x16_f16 v[76:83], v[57:64], v[33:40], v[76:83]
	s_delay_alu instid0(VALU_DEP_1) | instskip(NEXT) | instid1(VALU_DEP_2)
	v_cvt_f16_f32_e32 v1, v76
	v_cvt_f16_f32_e32 v2, v77
	s_delay_alu instid0(VALU_DEP_3) | instskip(NEXT) | instid1(VALU_DEP_4)
	v_cvt_f16_f32_e32 v3, v78
	v_cvt_f16_f32_e32 v4, v79
	v_cvt_f16_f32_e32 v5, v80
	v_cvt_f16_f32_e32 v6, v81
	v_cvt_f16_f32_e32 v7, v82
	v_cvt_f16_f32_e32 v8, v83
	v_pack_b32_f16 v1, v1, v2
	v_pack_b32_f16 v2, v3, v4
	;; [unrolled: 1-line block ×3, first 2 shown]
	s_delay_alu instid0(VALU_DEP_4)
	v_pack_b32_f16 v4, v7, v8
	ds_store_b128 v74, v[1:4]
	s_waitcnt lgkmcnt(0)
	s_barrier
	buffer_gl0_inv
	ds_load_b128 v[1:4], v75
	ds_load_b128 v[5:8], v75 offset:16
	s_waitcnt lgkmcnt(1)
	v_lshrrev_b32_e32 v9, 16, v1
	s_waitcnt lgkmcnt(0)
	v_lshrrev_b32_e32 v13, 16, v5
	v_lshrrev_b32_e32 v10, 16, v2
	;; [unrolled: 1-line block ×4, first 2 shown]
	v_cndmask_b32_e32 v17, v1, v9, vcc_lo
	v_cndmask_b32_e32 v18, v5, v13, vcc_lo
	v_cndmask_b32_e64 v21, v1, v9, s4
	v_cmp_eq_u32_e32 vcc_lo, 1, v71
	v_cndmask_b32_e64 v22, v5, v13, s4
	v_cmp_eq_u32_e64 s4, 2, v70
	v_cndmask_b32_e64 v19, v1, v9, s3
	v_cndmask_b32_e64 v20, v5, v13, s3
	v_cndmask_b32_e32 v1, v1, v9, vcc_lo
	v_cmp_eq_u32_e64 s3, 2, v71
	v_cndmask_b32_e32 v5, v5, v13, vcc_lo
	v_cndmask_b32_e64 v9, v17, v2, s4
	v_cmp_eq_u32_e32 vcc_lo, 3, v70
	v_cndmask_b32_e64 v13, v18, v6, s4
	v_cmp_eq_u32_e64 s4, 2, v69
	v_cndmask_b32_e64 v17, v19, v2, s5
	v_cndmask_b32_e64 v18, v20, v6, s5
	v_cmp_eq_u32_e64 s5, 3, v69
	v_cndmask_b32_e64 v1, v1, v2, s3
	v_cndmask_b32_e64 v19, v21, v2, s4
	v_cndmask_b32_e64 v20, v22, v6, s4
	v_cndmask_b32_e64 v2, v5, v6, s3
	v_cndmask_b32_e32 v5, v9, v10, vcc_lo
	v_cndmask_b32_e32 v6, v13, v14, vcc_lo
	v_cmp_eq_u32_e32 vcc_lo, 3, v71
	v_cndmask_b32_e64 v9, v17, v10, s6
	v_cndmask_b32_e64 v13, v18, v14, s6
	;; [unrolled: 1-line block ×3, first 2 shown]
	v_cmp_eq_u32_e64 s4, 4, v70
	v_cndmask_b32_e32 v1, v1, v10, vcc_lo
	v_cndmask_b32_e32 v2, v2, v14, vcc_lo
	v_cmp_eq_u32_e32 vcc_lo, 4, v72
	v_lshrrev_b32_e32 v15, 16, v7
	v_lshrrev_b32_e32 v16, 16, v8
	v_cndmask_b32_e64 v17, v19, v10, s5
	v_cmp_eq_u32_e64 s3, 4, v71
	v_cndmask_b32_e64 v5, v5, v3, s4
	v_cndmask_b32_e64 v6, v6, v7, s4
	v_cndmask_b32_e32 v9, v9, v3, vcc_lo
	v_cmp_eq_u32_e64 s4, 5, v72
	v_cndmask_b32_e32 v10, v13, v7, vcc_lo
	v_cmp_eq_u32_e32 vcc_lo, 4, v69
	v_cmp_eq_u32_e64 s5, 5, v70
	v_cndmask_b32_e64 v2, v2, v7, s3
	v_cndmask_b32_e64 v9, v9, v11, s4
	;; [unrolled: 1-line block ×3, first 2 shown]
	v_cndmask_b32_e32 v13, v17, v3, vcc_lo
	v_cmp_eq_u32_e64 s4, 5, v69
	v_cndmask_b32_e32 v14, v18, v7, vcc_lo
	v_cndmask_b32_e64 v1, v1, v3, s3
	v_cmp_eq_u32_e32 vcc_lo, 5, v71
	v_lshrrev_b32_e32 v12, 16, v4
	v_cndmask_b32_e64 v13, v13, v11, s4
	v_cndmask_b32_e64 v3, v14, v15, s4
	v_cmp_eq_u32_e64 s4, 6, v71
	v_cndmask_b32_e32 v1, v1, v11, vcc_lo
	v_cndmask_b32_e64 v5, v5, v11, s5
	v_cmp_eq_u32_e64 s6, 6, v70
	v_cndmask_b32_e64 v6, v6, v15, s5
	v_cmp_eq_u32_e64 s5, 6, v72
	v_cmp_eq_u32_e64 s3, 6, v69
	v_cndmask_b32_e64 v1, v1, v4, s4
	v_cndmask_b32_e32 v2, v2, v15, vcc_lo
	v_cmp_eq_u32_e32 vcc_lo, 7, v71
	v_cndmask_b32_e64 v5, v5, v4, s6
	v_cndmask_b32_e64 v9, v9, v4, s5
	;; [unrolled: 1-line block ×3, first 2 shown]
	v_cmp_eq_u32_e64 s6, 7, v70
	v_cndmask_b32_e32 v1, v1, v12, vcc_lo
	v_cndmask_b32_e64 v7, v13, v4, s3
	v_cndmask_b32_e64 v3, v3, v8, s3
	v_cndmask_b32_e64 v2, v2, v8, s4
	v_cmp_eq_u32_e64 s3, 7, v69
	v_cndmask_b32_e64 v4, v10, v8, s5
	v_cndmask_b32_e64 v5, v5, v12, s6
	;; [unrolled: 1-line block ×3, first 2 shown]
	v_cndmask_b32_e32 v2, v2, v16, vcc_lo
	v_cndmask_b32_e64 v7, v7, v12, s3
	v_cndmask_b32_e64 v3, v3, v16, s3
	;; [unrolled: 1-line block ×4, first 2 shown]
	v_perm_b32 v4, v2, v1, 0x5040100
	s_mov_b32 s3, exec_lo
	v_perm_b32 v3, v3, v7, 0x5040100
	v_perm_b32 v2, v8, v9, 0x5040100
	;; [unrolled: 1-line block ×3, first 2 shown]
	ds_store_b128 v74, v[1:4]
	s_waitcnt lgkmcnt(0)
	s_barrier
	buffer_gl0_inv
	v_cmpx_gt_u32_e32 32, v0
	s_cbranch_execz .LBB1218_2
; %bb.15:
	s_load_b64 s[4:5], s[0:1], 0x68
	v_lshlrev_b32_e32 v0, 10, v0
	v_add_nc_u32_e32 v2, s31, v66
	v_lshlrev_b32_e32 v3, 4, v67
	s_lshl_b32 s0, s35, 7
	s_delay_alu instid0(SALU_CYCLE_1) | instskip(NEXT) | instid1(VALU_DEP_2)
	s_mul_i32 s1, s0, s34
	v_mul_lo_u32 v1, v2, s0
	s_delay_alu instid0(VALU_DEP_2) | instskip(SKIP_2) | instid1(SALU_CYCLE_1)
	v_and_or_b32 v0, 0x3800, v0, v3
	v_add_nc_u32_e32 v2, 2, v2
	s_mul_i32 s6, s1, s8
	s_ashr_i32 s7, s6, 31
	s_delay_alu instid0(VALU_DEP_2)
	v_lshl_or_b32 v7, v66, 6, v0
	s_lshl_b64 s[6:7], s[6:7], 1
	v_mul_lo_u32 v11, v2, s0
	v_ashrrev_i32_e32 v2, 31, v1
	ds_load_b128 v[3:6], v7
	ds_load_b128 v[7:10], v7 offset:128
	s_waitcnt lgkmcnt(0)
	s_add_u32 s1, s4, s6
	s_addc_u32 s3, s5, s7
	s_lshl_b32 s4, s14, 7
	v_ashrrev_i32_e32 v12, 31, v11
	s_ashr_i32 s5, s4, 31
	v_lshlrev_b64 v[13:14], 1, v[1:2]
	s_lshl_b64 s[4:5], s[4:5], 1
	s_delay_alu instid0(SALU_CYCLE_1) | instskip(SKIP_2) | instid1(VALU_DEP_1)
	s_add_u32 s1, s1, s4
	s_addc_u32 s3, s3, s5
	v_add_co_u32 v1, s1, s1, v65
	v_add_co_ci_u32_e64 v2, null, s3, 0, s1
	v_lshlrev_b64 v[11:12], 1, v[11:12]
	s_delay_alu instid0(VALU_DEP_3) | instskip(NEXT) | instid1(VALU_DEP_3)
	v_add_co_u32 v13, vcc_lo, v1, v13
	v_add_co_ci_u32_e32 v14, vcc_lo, v2, v14, vcc_lo
	s_delay_alu instid0(VALU_DEP_3) | instskip(NEXT) | instid1(VALU_DEP_4)
	v_add_co_u32 v11, vcc_lo, v1, v11
	v_add_co_ci_u32_e32 v12, vcc_lo, v2, v12, vcc_lo
	s_clause 0x1
	global_store_b128 v[13:14], v[3:6], off
	global_store_b128 v[11:12], v[7:10], off
	s_and_b32 exec_lo, exec_lo, s2
	s_cbranch_execz .LBB1218_2
; %bb.16:
	ds_load_b128 v[3:6], v0 offset:256
	s_add_i32 s1, s31, 4
	s_delay_alu instid0(SALU_CYCLE_1) | instskip(NEXT) | instid1(SALU_CYCLE_1)
	s_mul_i32 s0, s1, s0
	s_ashr_i32 s1, s0, 31
	s_delay_alu instid0(SALU_CYCLE_1) | instskip(NEXT) | instid1(SALU_CYCLE_1)
	s_lshl_b64 s[0:1], s[0:1], 1
	v_add_co_u32 v0, vcc_lo, v1, s0
	v_add_co_ci_u32_e32 v1, vcc_lo, s1, v2, vcc_lo
	s_waitcnt lgkmcnt(0)
	global_store_b128 v[0:1], v[3:6], off
	s_nop 0
	s_sendmsg sendmsg(MSG_DEALLOC_VGPRS)
	s_endpgm
	.section	.rodata,"a",@progbits
	.p2align	6, 0x0
	.amdhsa_kernel _Z39paged_attention_ll4mi_QKV_mfma16_kernelIDF16_hLN4vllm18Fp8KVCacheDataTypeE1EhLi16ELi128ELi256ELb1ELi5EL8MFMAType0EEvPKT_PKT0_S8_ifPKiSA_SA_iPKfiiiPfSD_PS3_PT2_iSC_SC_
		.amdhsa_group_segment_fixed_size 17472
		.amdhsa_private_segment_fixed_size 0
		.amdhsa_kernarg_size 400
		.amdhsa_user_sgpr_count 13
		.amdhsa_user_sgpr_dispatch_ptr 0
		.amdhsa_user_sgpr_queue_ptr 0
		.amdhsa_user_sgpr_kernarg_segment_ptr 1
		.amdhsa_user_sgpr_dispatch_id 0
		.amdhsa_user_sgpr_private_segment_size 0
		.amdhsa_wavefront_size32 1
		.amdhsa_uses_dynamic_stack 0
		.amdhsa_enable_private_segment 0
		.amdhsa_system_sgpr_workgroup_id_x 1
		.amdhsa_system_sgpr_workgroup_id_y 1
		.amdhsa_system_sgpr_workgroup_id_z 1
		.amdhsa_system_sgpr_workgroup_info 0
		.amdhsa_system_vgpr_workitem_id 0
		.amdhsa_next_free_vgpr 150
		.amdhsa_next_free_sgpr 36
		.amdhsa_reserve_vcc 1
		.amdhsa_float_round_mode_32 0
		.amdhsa_float_round_mode_16_64 0
		.amdhsa_float_denorm_mode_32 3
		.amdhsa_float_denorm_mode_16_64 3
		.amdhsa_dx10_clamp 1
		.amdhsa_ieee_mode 1
		.amdhsa_fp16_overflow 0
		.amdhsa_workgroup_processor_mode 1
		.amdhsa_memory_ordered 1
		.amdhsa_forward_progress 0
		.amdhsa_shared_vgpr_count 0
		.amdhsa_exception_fp_ieee_invalid_op 0
		.amdhsa_exception_fp_denorm_src 0
		.amdhsa_exception_fp_ieee_div_zero 0
		.amdhsa_exception_fp_ieee_overflow 0
		.amdhsa_exception_fp_ieee_underflow 0
		.amdhsa_exception_fp_ieee_inexact 0
		.amdhsa_exception_int_div_zero 0
	.end_amdhsa_kernel
	.section	.text._Z39paged_attention_ll4mi_QKV_mfma16_kernelIDF16_hLN4vllm18Fp8KVCacheDataTypeE1EhLi16ELi128ELi256ELb1ELi5EL8MFMAType0EEvPKT_PKT0_S8_ifPKiSA_SA_iPKfiiiPfSD_PS3_PT2_iSC_SC_,"axG",@progbits,_Z39paged_attention_ll4mi_QKV_mfma16_kernelIDF16_hLN4vllm18Fp8KVCacheDataTypeE1EhLi16ELi128ELi256ELb1ELi5EL8MFMAType0EEvPKT_PKT0_S8_ifPKiSA_SA_iPKfiiiPfSD_PS3_PT2_iSC_SC_,comdat
.Lfunc_end1218:
	.size	_Z39paged_attention_ll4mi_QKV_mfma16_kernelIDF16_hLN4vllm18Fp8KVCacheDataTypeE1EhLi16ELi128ELi256ELb1ELi5EL8MFMAType0EEvPKT_PKT0_S8_ifPKiSA_SA_iPKfiiiPfSD_PS3_PT2_iSC_SC_, .Lfunc_end1218-_Z39paged_attention_ll4mi_QKV_mfma16_kernelIDF16_hLN4vllm18Fp8KVCacheDataTypeE1EhLi16ELi128ELi256ELb1ELi5EL8MFMAType0EEvPKT_PKT0_S8_ifPKiSA_SA_iPKfiiiPfSD_PS3_PT2_iSC_SC_
                                        ; -- End function
	.section	.AMDGPU.csdata,"",@progbits
; Kernel info:
; codeLenInByte = 6644
; NumSgprs: 38
; NumVgprs: 150
; ScratchSize: 0
; MemoryBound: 0
; FloatMode: 240
; IeeeMode: 1
; LDSByteSize: 17472 bytes/workgroup (compile time only)
; SGPRBlocks: 4
; VGPRBlocks: 18
; NumSGPRsForWavesPerEU: 38
; NumVGPRsForWavesPerEU: 150
; Occupancy: 9
; WaveLimiterHint : 1
; COMPUTE_PGM_RSRC2:SCRATCH_EN: 0
; COMPUTE_PGM_RSRC2:USER_SGPR: 13
; COMPUTE_PGM_RSRC2:TRAP_HANDLER: 0
; COMPUTE_PGM_RSRC2:TGID_X_EN: 1
; COMPUTE_PGM_RSRC2:TGID_Y_EN: 1
; COMPUTE_PGM_RSRC2:TGID_Z_EN: 1
; COMPUTE_PGM_RSRC2:TIDIG_COMP_CNT: 0
	.section	.text._Z39paged_attention_ll4mi_QKV_mfma16_kernelIDF16_hLN4vllm18Fp8KVCacheDataTypeE1EhLi16ELi128ELi256ELb1ELi6EL8MFMAType0EEvPKT_PKT0_S8_ifPKiSA_SA_iPKfiiiPfSD_PS3_PT2_iSC_SC_,"axG",@progbits,_Z39paged_attention_ll4mi_QKV_mfma16_kernelIDF16_hLN4vllm18Fp8KVCacheDataTypeE1EhLi16ELi128ELi256ELb1ELi6EL8MFMAType0EEvPKT_PKT0_S8_ifPKiSA_SA_iPKfiiiPfSD_PS3_PT2_iSC_SC_,comdat
	.protected	_Z39paged_attention_ll4mi_QKV_mfma16_kernelIDF16_hLN4vllm18Fp8KVCacheDataTypeE1EhLi16ELi128ELi256ELb1ELi6EL8MFMAType0EEvPKT_PKT0_S8_ifPKiSA_SA_iPKfiiiPfSD_PS3_PT2_iSC_SC_ ; -- Begin function _Z39paged_attention_ll4mi_QKV_mfma16_kernelIDF16_hLN4vllm18Fp8KVCacheDataTypeE1EhLi16ELi128ELi256ELb1ELi6EL8MFMAType0EEvPKT_PKT0_S8_ifPKiSA_SA_iPKfiiiPfSD_PS3_PT2_iSC_SC_
	.globl	_Z39paged_attention_ll4mi_QKV_mfma16_kernelIDF16_hLN4vllm18Fp8KVCacheDataTypeE1EhLi16ELi128ELi256ELb1ELi6EL8MFMAType0EEvPKT_PKT0_S8_ifPKiSA_SA_iPKfiiiPfSD_PS3_PT2_iSC_SC_
	.p2align	8
	.type	_Z39paged_attention_ll4mi_QKV_mfma16_kernelIDF16_hLN4vllm18Fp8KVCacheDataTypeE1EhLi16ELi128ELi256ELb1ELi6EL8MFMAType0EEvPKT_PKT0_S8_ifPKiSA_SA_iPKfiiiPfSD_PS3_PT2_iSC_SC_,@function
_Z39paged_attention_ll4mi_QKV_mfma16_kernelIDF16_hLN4vllm18Fp8KVCacheDataTypeE1EhLi16ELi128ELi256ELb1ELi6EL8MFMAType0EEvPKT_PKT0_S8_ifPKiSA_SA_iPKfiiiPfSD_PS3_PT2_iSC_SC_: ; @_Z39paged_attention_ll4mi_QKV_mfma16_kernelIDF16_hLN4vllm18Fp8KVCacheDataTypeE1EhLi16ELi128ELi256ELb1ELi6EL8MFMAType0EEvPKT_PKT0_S8_ifPKiSA_SA_iPKfiiiPfSD_PS3_PT2_iSC_SC_
; %bb.0:
	s_load_b64 s[4:5], s[0:1], 0x30
	s_mov_b32 s30, s13
	s_waitcnt lgkmcnt(0)
	s_cmp_lg_u64 s[4:5], 0
	s_cselect_b32 s8, -1, 0
	s_ashr_i32 s31, s13, 31
	s_cmp_eq_u64 s[4:5], 0
	s_cbranch_scc1 .LBB1219_3
; %bb.1:
	s_lshl_b64 s[2:3], s[30:31], 2
	s_delay_alu instid0(SALU_CYCLE_1) | instskip(SKIP_4) | instid1(SALU_CYCLE_1)
	s_add_u32 s2, s4, s2
	s_addc_u32 s3, s5, s3
	s_load_b64 s[2:3], s[2:3], 0x0
	s_waitcnt lgkmcnt(0)
	s_sub_i32 s2, s3, s2
	s_cmp_eq_u32 s2, 1
	s_cselect_b32 s2, -1, 0
	s_delay_alu instid0(SALU_CYCLE_1)
	s_and_not1_b32 vcc_lo, exec_lo, s2
	s_cbranch_vccz .LBB1219_4
.LBB1219_2:
	s_endpgm
.LBB1219_3:
.LBB1219_4:
	s_load_b64 s[2:3], s[0:1], 0x28
	s_lshl_b64 s[6:7], s[30:31], 2
	s_waitcnt lgkmcnt(0)
	s_add_u32 s2, s2, s6
	s_addc_u32 s3, s3, s7
	s_lshl_b32 s12, s14, 8
	s_load_b32 s24, s[2:3], 0x0
	s_waitcnt lgkmcnt(0)
	s_cmp_ge_i32 s12, s24
	s_cbranch_scc1 .LBB1219_2
; %bb.5:
	s_clause 0x1
	s_load_b128 s[20:23], s[0:1], 0x8
	s_load_b64 s[2:3], s[0:1], 0x20
	s_and_not1_b32 vcc_lo, exec_lo, s8
	s_cbranch_vccnz .LBB1219_7
; %bb.6:
	s_add_u32 s4, s4, s6
	s_addc_u32 s5, s5, s7
	s_load_b32 s5, s[4:5], 0x0
	s_branch .LBB1219_8
.LBB1219_7:
	s_mov_b32 s5, s30
.LBB1219_8:
	s_load_b128 s[16:19], s[0:1], 0x48
	v_and_b32_e32 v68, 15, v0
	v_lshrrev_b32_e32 v69, 5, v0
	v_and_b32_e32 v70, 31, v0
	v_and_b32_e32 v67, 1, v0
	v_bfe_u32 v66, v0, 4, 1
	v_lshlrev_b32_e32 v1, 3, v68
	s_mul_i32 s31, s15, 6
	s_mov_b32 s4, exec_lo
	s_delay_alu instid0(VALU_DEP_1)
	v_lshlrev_b32_e32 v65, 1, v1
	v_cmpx_gt_u32_e32 0x60, v0
	s_cbranch_execz .LBB1219_10
; %bb.9:
	s_load_b64 s[6:7], s[0:1], 0x0
	v_lshl_or_b32 v5, v69, 1, v66
	s_waitcnt lgkmcnt(0)
	s_mul_hi_i32 s9, s5, s16
	s_mul_i32 s8, s5, s16
	v_lshlrev_b32_e32 v6, 10, v68
	s_lshl_b64 s[8:9], s[8:9], 1
	v_add_lshl_u32 v1, v5, s31, 7
	v_lshlrev_b32_e32 v5, 6, v5
	v_lshlrev_b32_e32 v7, 10, v67
	v_and_b32_e32 v6, 0x3800, v6
	s_delay_alu instid0(VALU_DEP_4) | instskip(NEXT) | instid1(VALU_DEP_2)
	v_ashrrev_i32_e32 v2, 31, v1
	v_or3_b32 v5, v6, v7, v5
	s_delay_alu instid0(VALU_DEP_2) | instskip(SKIP_2) | instid1(VALU_DEP_1)
	v_lshlrev_b64 v[1:2], 1, v[1:2]
	s_add_u32 s5, s6, s8
	s_addc_u32 s6, s7, s9
	v_add_co_u32 v1, vcc_lo, s5, v1
	s_delay_alu instid0(VALU_DEP_2) | instskip(NEXT) | instid1(VALU_DEP_2)
	v_add_co_ci_u32_e32 v2, vcc_lo, s6, v2, vcc_lo
	v_add_co_u32 v1, vcc_lo, v1, v65
	s_delay_alu instid0(VALU_DEP_2)
	v_add_co_ci_u32_e32 v2, vcc_lo, 0, v2, vcc_lo
	global_load_b128 v[1:4], v[1:2], off
	s_waitcnt vmcnt(0)
	ds_store_b128 v5, v[1:4]
.LBB1219_10:
	s_or_b32 exec_lo, exec_lo, s4
	v_and_b32_e32 v1, 0xef, v0
	s_waitcnt lgkmcnt(0)
	s_add_i32 s5, s24, 15
	s_clause 0x1
	s_load_b32 s4, s[0:1], 0x38
	s_load_b32 s33, s[0:1], 0x98
	s_ashr_i32 s6, s5, 31
	v_add_nc_u32_e32 v1, s12, v1
	s_lshr_b32 s6, s6, 28
	s_load_b32 s19, s[0:1], 0x1c
	s_add_i32 s5, s5, s6
	s_waitcnt lgkmcnt(0)
	v_ashrrev_i32_e32 v2, 31, v1
	v_or_b32_e32 v3, 16, v1
	s_ashr_i32 s13, s5, 4
	v_cmp_gt_i32_e32 vcc_lo, s24, v1
	s_add_i32 s13, s13, -1
	v_lshrrev_b32_e32 v2, 28, v2
	s_barrier
	buffer_gl0_inv
	s_mul_i32 s15, s15, s18
	v_add_nc_u32_e32 v4, v1, v2
	s_mul_i32 s4, s30, s4
	s_delay_alu instid0(SALU_CYCLE_1) | instskip(NEXT) | instid1(VALU_DEP_1)
	s_ashr_i32 s5, s4, 31
	v_ashrrev_i32_e32 v4, 4, v4
	v_add_nc_u32_e32 v2, v3, v2
	s_lshl_b64 s[4:5], s[4:5], 2
	s_delay_alu instid0(SALU_CYCLE_1) | instskip(NEXT) | instid1(VALU_DEP_2)
	s_add_u32 s16, s2, s4
	v_cndmask_b32_e32 v1, s13, v4, vcc_lo
	s_delay_alu instid0(VALU_DEP_2)
	v_ashrrev_i32_e32 v2, 4, v2
	v_cmp_gt_i32_e32 vcc_lo, s24, v3
	s_addc_u32 s25, s3, s5
	s_ashr_i32 s18, s15, 31
	s_add_u32 s26, s20, s15
	s_addc_u32 s27, s21, s18
	v_cndmask_b32_e32 v3, s13, v2, vcc_lo
	v_ashrrev_i32_e32 v2, 31, v1
	s_lshl_b32 s2, s14, 4
	s_delay_alu instid0(SALU_CYCLE_1) | instskip(NEXT) | instid1(VALU_DEP_2)
	s_ashr_i32 s3, s2, 31
	v_ashrrev_i32_e32 v4, 31, v3
	s_delay_alu instid0(VALU_DEP_2) | instskip(SKIP_1) | instid1(SALU_CYCLE_1)
	v_lshlrev_b64 v[1:2], 2, v[1:2]
	s_lshl_b64 s[2:3], s[2:3], 2
	s_add_u32 s2, s16, s2
	s_delay_alu instid0(VALU_DEP_2) | instskip(SKIP_1) | instid1(VALU_DEP_2)
	v_lshlrev_b64 v[3:4], 2, v[3:4]
	s_addc_u32 s3, s25, s3
	v_add_co_u32 v1, vcc_lo, s16, v1
	v_add_co_ci_u32_e32 v2, vcc_lo, s25, v2, vcc_lo
	s_delay_alu instid0(VALU_DEP_3) | instskip(NEXT) | instid1(VALU_DEP_4)
	v_add_co_u32 v3, vcc_lo, s16, v3
	v_add_co_ci_u32_e32 v4, vcc_lo, s25, v4, vcc_lo
	s_clause 0x1
	global_load_b32 v5, v[1:2], off
	global_load_b32 v7, v[3:4], off
	s_or_b32 s4, s12, 32
	v_lshlrev_b32_e32 v1, 4, v0
	s_ashr_i32 s5, s4, 4
	s_cmp_lt_i32 s4, s24
	s_cselect_b32 s4, s5, s13
	s_delay_alu instid0(VALU_DEP_1) | instskip(SKIP_1) | instid1(SALU_CYCLE_1)
	v_and_b32_e32 v1, 0xf0, v1
	s_ashr_i32 s5, s4, 31
	s_lshl_b64 s[4:5], s[4:5], 2
	s_delay_alu instid0(SALU_CYCLE_1)
	s_add_u32 s4, s16, s4
	s_addc_u32 s5, s25, s5
	s_or_b32 s6, s12, 64
	v_add_co_u32 v1, s26, s26, v1
	s_ashr_i32 s7, s6, 4
	s_cmp_lt_i32 s6, s24
	v_add_co_ci_u32_e64 v2, null, s27, 0, s26
	s_cselect_b32 s6, s7, s13
	s_delay_alu instid0(SALU_CYCLE_1) | instskip(NEXT) | instid1(SALU_CYCLE_1)
	s_ashr_i32 s7, s6, 31
	s_lshl_b64 s[6:7], s[6:7], 2
	s_delay_alu instid0(SALU_CYCLE_1) | instskip(SKIP_2) | instid1(SALU_CYCLE_1)
	s_add_u32 s6, s16, s6
	s_addc_u32 s7, s25, s7
	s_or_b32 s8, s12, 0x60
	s_ashr_i32 s9, s8, 4
	s_cmp_lt_i32 s8, s24
	s_cselect_b32 s8, s9, s13
	s_delay_alu instid0(SALU_CYCLE_1) | instskip(NEXT) | instid1(SALU_CYCLE_1)
	s_ashr_i32 s9, s8, 31
	s_lshl_b64 s[8:9], s[8:9], 2
	s_delay_alu instid0(SALU_CYCLE_1) | instskip(SKIP_2) | instid1(SALU_CYCLE_1)
	s_add_u32 s8, s16, s8
	s_addc_u32 s9, s25, s9
	s_or_b32 s10, s12, 0x80
	s_ashr_i32 s11, s10, 4
	s_cmp_lt_i32 s10, s24
	;; [unrolled: 10-line block ×3, first 2 shown]
	s_cselect_b32 s20, s21, s13
	s_delay_alu instid0(SALU_CYCLE_1) | instskip(NEXT) | instid1(SALU_CYCLE_1)
	s_ashr_i32 s21, s20, 31
	s_lshl_b64 s[20:21], s[20:21], 2
	s_delay_alu instid0(SALU_CYCLE_1)
	s_add_u32 s20, s16, s20
	s_addc_u32 s21, s25, s21
	s_clause 0x5
	s_load_b32 s26, s[2:3], 0x0
	s_load_b32 s27, s[4:5], 0x0
	;; [unrolled: 1-line block ×6, first 2 shown]
	s_or_b32 s2, s12, 0xc0
	s_mov_b32 s4, 0
	s_ashr_i32 s3, s2, 4
	s_cmp_lt_i32 s2, s24
	s_mov_b32 s11, s4
	s_cselect_b32 s2, s3, s13
	s_mov_b32 s5, s4
	s_ashr_i32 s3, s2, 31
	s_mov_b32 s6, s4
	s_lshl_b64 s[2:3], s[2:3], 2
	s_mov_b32 s7, s4
	s_add_u32 s2, s16, s2
	s_addc_u32 s3, s25, s3
	s_or_b32 s20, s12, 0xe0
	s_mov_b32 s8, s4
	s_ashr_i32 s21, s20, 4
	s_cmp_lt_i32 s20, s24
	s_mov_b32 s9, s4
	s_cselect_b32 s20, s21, s13
	s_mov_b32 s10, s4
	s_ashr_i32 s21, s20, 31
	v_mov_b32_e32 v118, s11
	v_dual_mov_b32 v112, s5 :: v_dual_mov_b32 v117, s10
	v_dual_mov_b32 v116, s9 :: v_dual_mov_b32 v115, s8
	;; [unrolled: 1-line block ×3, first 2 shown]
	v_mov_b32_e32 v111, s4
	s_lshl_b64 s[4:5], s[20:21], 2
	s_delay_alu instid0(SALU_CYCLE_1)
	s_add_u32 s4, s16, s4
	s_addc_u32 s5, s25, s5
	s_add_u32 s6, s22, s15
	s_addc_u32 s7, s23, s18
	s_waitcnt vmcnt(1)
	v_mad_i64_i32 v[3:4], null, v5, s17, v[1:2]
	s_waitcnt vmcnt(0)
	v_mad_i64_i32 v[5:6], null, v7, s17, v[1:2]
	v_mul_lo_u16 v1, v68, 43
	v_lshlrev_b32_e32 v2, 4, v68
	s_clause 0xf
	global_load_b128 v[17:20], v[3:4], off
	global_load_b128 v[21:24], v[3:4], off offset:256
	global_load_b128 v[25:28], v[5:6], off
	global_load_b128 v[29:32], v[5:6], off offset:256
	global_load_b128 v[57:60], v[3:4], off offset:512
	;; [unrolled: 1-line block ×13, first 2 shown]
	v_lshrrev_b16 v1, 8, v1
	s_delay_alu instid0(VALU_DEP_1) | instskip(NEXT) | instid1(VALU_DEP_1)
	v_mul_lo_u16 v1, v1, 6
	v_sub_nc_u16 v1, v68, v1
	s_delay_alu instid0(VALU_DEP_1) | instskip(NEXT) | instid1(VALU_DEP_1)
	v_and_b32_e32 v1, 0xff, v1
	v_lshlrev_b32_e32 v149, 6, v1
	v_lshl_or_b32 v1, v69, 8, v2
	ds_load_b128 v[119:122], v149
	ds_load_b128 v[123:126], v149 offset:1024
	ds_load_b128 v[127:130], v149 offset:2048
	;; [unrolled: 1-line block ×3, first 2 shown]
	s_clause 0x1
	s_load_b32 s2, s[2:3], 0x0
	s_load_b32 s3, s[4:5], 0x0
	v_add_co_u32 v135, s6, s6, v1
	s_delay_alu instid0(VALU_DEP_1) | instskip(SKIP_1) | instid1(VALU_DEP_1)
	v_add_co_ci_u32_e64 v136, null, s7, 0, s6
	s_waitcnt lgkmcnt(0)
	v_mad_i64_i32 v[1:2], null, s26, s17, v[135:136]
	v_mad_i64_i32 v[3:4], null, s27, s17, v[135:136]
	;; [unrolled: 1-line block ×6, first 2 shown]
	s_clause 0x9
	global_load_b128 v[49:52], v[1:2], off
	global_load_b128 v[53:56], v[1:2], off offset:16
	global_load_b128 v[41:44], v[3:4], off
	global_load_b128 v[45:48], v[3:4], off offset:16
	;; [unrolled: 2-line block ×5, first 2 shown]
	v_mad_i64_i32 v[145:146], null, s2, s17, v[135:136]
	v_mad_i64_i32 v[147:148], null, s3, s17, v[135:136]
	s_waitcnt vmcnt(24)
	v_wmma_f32_16x16x16_f16 v[135:142], v[17:24], v[119:126], v[111:118]
	s_waitcnt vmcnt(22)
	v_wmma_f32_16x16x16_f16 v[111:118], v[25:32], v[119:126], v[111:118]
	s_clause 0x3
	global_load_b128 v[17:20], v[143:144], off
	global_load_b128 v[21:24], v[143:144], off offset:16
	global_load_b128 v[25:28], v[145:146], off
	global_load_b128 v[29:32], v[145:146], off offset:16
	v_and_b32_e32 v119, 0xe0, v0
	s_waitcnt vmcnt(24)
	v_wmma_f32_16x16x16_f16 v[135:142], v[57:64], v[127:134], v[135:142]
	s_clause 0x1
	global_load_b128 v[57:60], v[147:148], off
	global_load_b128 v[61:64], v[147:148], off offset:16
	s_waitcnt vmcnt(24)
	v_wmma_f32_16x16x16_f16 v[111:118], v[71:78], v[127:134], v[111:118]
	ds_load_b128 v[71:74], v149 offset:4096
	ds_load_b128 v[75:78], v149 offset:5120
	v_add_nc_u32_e32 v128, s12, v119
	ds_load_b128 v[119:122], v149 offset:6144
	ds_load_b128 v[123:126], v149 offset:7168
	v_mbcnt_lo_u32_b32 v127, -1, 0
	s_waitcnt vmcnt(0) lgkmcnt(0)
	s_barrier
	v_or_b32_e32 v128, v128, v66
	buffer_gl0_inv
	v_xor_b32_e32 v129, 16, v127
	v_or_b32_e32 v130, 4, v128
	v_or_b32_e32 v131, 6, v128
	s_delay_alu instid0(VALU_DEP_3) | instskip(SKIP_4) | instid1(VALU_DEP_4)
	v_cmp_gt_i32_e32 vcc_lo, 32, v129
	v_or_b32_e32 v132, 8, v128
	v_or_b32_e32 v133, 10, v128
	v_cmp_gt_i32_e64 s3, s24, v130
	v_cmp_gt_i32_e64 s4, s24, v131
	;; [unrolled: 1-line block ×3, first 2 shown]
	v_wmma_f32_16x16x16_f16 v[135:142], v[79:86], v[71:78], v[135:142]
	v_wmma_f32_16x16x16_f16 v[111:118], v[87:94], v[71:78], v[111:118]
	v_or_b32_e32 v79, 12, v128
	v_or_b32_e32 v80, 14, v128
	v_cmp_gt_i32_e64 s6, s24, v133
	v_wmma_f32_16x16x16_f16 v[135:142], v[95:102], v[119:126], v[135:142]
	v_wmma_f32_16x16x16_f16 v[111:118], v[103:110], v[119:126], v[111:118]
	v_cndmask_b32_e32 v127, v127, v129, vcc_lo
	v_or_b32_e32 v129, 2, v128
	v_cmp_gt_i32_e32 vcc_lo, s24, v128
	s_delay_alu instid0(VALU_DEP_4) | instskip(SKIP_1) | instid1(VALU_DEP_4)
	v_dual_mul_f32 v87, s19, v136 :: v_dual_mul_f32 v94, s19, v113
	v_mul_f32_e32 v88, s19, v135
	v_cmp_gt_i32_e64 s2, s24, v129
	v_mul_f32_e32 v78, s19, v138
	v_mul_f32_e32 v86, s19, v137
	;; [unrolled: 1-line block ×3, first 2 shown]
	v_cndmask_b32_e32 v88, 0xff7fffff, v88, vcc_lo
	v_cndmask_b32_e64 v87, 0xff7fffff, v87, s2
	v_dual_mul_f32 v77, s19, v139 :: v_dual_mul_f32 v90, s19, v117
	v_cndmask_b32_e64 v86, 0xff7fffff, v86, s3
	v_cndmask_b32_e64 v78, 0xff7fffff, v78, s4
	s_delay_alu instid0(VALU_DEP_4)
	v_max3_f32 v87, v88, 0xff7fffff, v87
	v_or_b32_e32 v81, 16, v128
	v_or_b32_e32 v82, 18, v128
	v_dual_mul_f32 v74, s19, v142 :: v_dual_mul_f32 v75, s19, v141
	v_mul_f32_e32 v96, s19, v111
	v_cndmask_b32_e64 v77, 0xff7fffff, v77, s5
	v_cndmask_b32_e64 v76, 0xff7fffff, v76, s6
	v_max3_f32 v78, v87, v86, v78
	v_cmp_gt_i32_e64 s7, s24, v79
	v_cmp_gt_i32_e64 s8, s24, v80
	v_or_b32_e32 v83, 20, v128
	v_or_b32_e32 v84, 22, v128
	v_mul_f32_e32 v95, s19, v112
	v_cndmask_b32_e64 v75, 0xff7fffff, v75, s7
	v_cndmask_b32_e64 v74, 0xff7fffff, v74, s8
	v_max3_f32 v76, v78, v77, v76
	v_cmp_gt_i32_e64 s9, s24, v81
	v_cmp_gt_i32_e64 s10, s24, v82
	v_or_b32_e32 v85, 24, v128
	v_or_b32_e32 v71, 26, v128
	;; [unrolled: 8-line block ×3, first 2 shown]
	v_dual_mul_f32 v91, s19, v116 :: v_dual_mul_f32 v92, s19, v115
	v_cndmask_b32_e64 v75, 0xff7fffff, v94, s11
	v_cndmask_b32_e64 v76, 0xff7fffff, v93, s12
	v_max3_f32 v74, v74, v77, v78
	v_cmp_gt_i32_e64 s13, s24, v85
	v_cmp_gt_i32_e64 s15, s24, v71
	v_mul_f32_e32 v89, s19, v118
	v_cmp_gt_i32_e64 s16, s24, v72
	v_max3_f32 v74, v74, v75, v76
	v_cndmask_b32_e64 v77, 0xff7fffff, v92, s13
	v_cndmask_b32_e64 v71, 0xff7fffff, v91, s15
	v_cmp_gt_i32_e64 s17, s24, v73
	v_cndmask_b32_e64 v72, 0xff7fffff, v90, s16
	s_delay_alu instid0(VALU_DEP_3) | instskip(SKIP_1) | instid1(VALU_DEP_4)
	v_max3_f32 v71, v74, v77, v71
	v_lshlrev_b32_e32 v74, 2, v127
	v_cndmask_b32_e64 v73, 0xff7fffff, v89, s17
	s_delay_alu instid0(VALU_DEP_1) | instskip(SKIP_3) | instid1(VALU_DEP_1)
	v_max3_f32 v71, v71, v72, v73
	ds_bpermute_b32 v72, v74, v71
	s_waitcnt lgkmcnt(0)
	v_max_f32_e32 v72, v72, v72
	v_max_f32_e32 v71, v71, v72
	s_delay_alu instid0(VALU_DEP_1) | instskip(SKIP_4) | instid1(VALU_DEP_4)
	v_fma_f32 v72, s19, v135, -v71
	v_fma_f32 v73, s19, v136, -v71
	;; [unrolled: 1-line block ×5, first 2 shown]
	v_dual_mul_f32 v72, 0x3fb8aa3b, v72 :: v_dual_mul_f32 v73, 0x3fb8aa3b, v73
	s_delay_alu instid0(VALU_DEP_3) | instskip(SKIP_1) | instid1(VALU_DEP_3)
	v_dual_mul_f32 v75, 0x3fb8aa3b, v75 :: v_dual_mul_f32 v76, 0x3fb8aa3b, v76
	v_fma_f32 v80, s19, v141, -v71
	v_exp_f32_e32 v72, v72
	s_delay_alu instid0(VALU_DEP_3) | instskip(NEXT) | instid1(VALU_DEP_2)
	v_exp_f32_e32 v73, v73
	v_exp_f32_e32 v75, v75
	;; [unrolled: 1-line block ×3, first 2 shown]
	v_mul_f32_e32 v82, 0x3fb8aa3b, v80
	s_delay_alu instid0(VALU_DEP_1) | instskip(SKIP_4) | instid1(TRANS32_DEP_3)
	v_exp_f32_e32 v84, v82
	v_cndmask_b32_e32 v79, 0, v72, vcc_lo
	v_fma_f32 v72, s19, v140, -v71
	v_mul_f32_e32 v77, 0x3fb8aa3b, v77
	v_cndmask_b32_e64 v78, 0, v73, s2
	v_cndmask_b32_e64 v81, 0, v75, s3
	s_delay_alu instid0(VALU_DEP_4) | instskip(NEXT) | instid1(VALU_DEP_4)
	v_dual_add_f32 v73, 0, v79 :: v_dual_mul_f32 v72, 0x3fb8aa3b, v72
	v_exp_f32_e32 v77, v77
	v_cndmask_b32_e64 v80, 0, v76, s4
	s_delay_alu instid0(TRANS32_DEP_2) | instskip(NEXT) | instid1(VALU_DEP_3)
	v_cndmask_b32_e64 v85, 0, v84, s7
	v_add_f32_e32 v73, v73, v78
	v_exp_f32_e32 v72, v72
	s_mov_b32 s2, exec_lo
	s_delay_alu instid0(VALU_DEP_1) | instskip(SKIP_4) | instid1(VALU_DEP_2)
	v_add_f32_e32 v73, v73, v81
	s_waitcnt_depctr 0xfff
	v_cndmask_b32_e64 v83, 0, v77, s5
	v_add_f32_e32 v73, v73, v80
	v_cndmask_b32_e64 v82, 0, v72, s6
	v_add_f32_e32 v72, v73, v83
	s_delay_alu instid0(VALU_DEP_1) | instskip(NEXT) | instid1(VALU_DEP_1)
	v_add_f32_e32 v72, v72, v82
	v_add_f32_e32 v72, v72, v85
	v_fma_f32 v76, s19, v111, -v71
	v_fma_f32 v75, s19, v142, -v71
	;; [unrolled: 1-line block ×5, first 2 shown]
	s_delay_alu instid0(VALU_DEP_4) | instskip(NEXT) | instid1(VALU_DEP_3)
	v_dual_mul_f32 v76, 0x3fb8aa3b, v76 :: v_dual_mul_f32 v75, 0x3fb8aa3b, v75
	v_mul_f32_e32 v86, 0x3fb8aa3b, v86
	s_delay_alu instid0(VALU_DEP_2) | instskip(NEXT) | instid1(VALU_DEP_2)
	v_exp_f32_e32 v76, v76
	v_exp_f32_e32 v75, v75
	s_delay_alu instid0(VALU_DEP_1) | instskip(NEXT) | instid1(TRANS32_DEP_3)
	v_exp_f32_e32 v88, v86
	v_cndmask_b32_e64 v87, 0, v76, s9
	v_fma_f32 v76, s19, v116, -v71
	v_mul_f32_e32 v77, 0x3fb8aa3b, v77
	s_waitcnt_depctr 0xfff
	v_cndmask_b32_e64 v84, 0, v75, s8
	v_fma_f32 v75, s19, v115, -v71
	v_cndmask_b32_e64 v88, 0, v88, s12
	v_mul_f32_e32 v76, 0x3fb8aa3b, v76
	v_exp_f32_e32 v77, v77
	v_add_f32_e32 v72, v72, v84
	s_delay_alu instid0(VALU_DEP_2) | instskip(NEXT) | instid1(VALU_DEP_1)
	v_exp_f32_e32 v76, v76
	v_add_f32_e32 v72, v72, v87
	s_waitcnt_depctr 0xfff
	v_cndmask_b32_e64 v86, 0, v77, s10
	v_mul_f32_e32 v73, 0x3fb8aa3b, v73
	v_fma_f32 v77, s19, v117, -v71
	v_cndmask_b32_e64 v90, 0, v76, s15
	s_delay_alu instid0(VALU_DEP_4) | instskip(NEXT) | instid1(VALU_DEP_4)
	v_add_f32_e32 v72, v72, v86
	v_exp_f32_e32 v73, v73
	s_waitcnt_depctr 0xfff
	v_cndmask_b32_e64 v89, 0, v73, s11
	s_delay_alu instid0(VALU_DEP_1) | instskip(NEXT) | instid1(VALU_DEP_1)
	v_dual_mul_f32 v75, 0x3fb8aa3b, v75 :: v_dual_add_f32 v72, v72, v89
	v_exp_f32_e32 v75, v75
	v_mul_f32_e32 v73, 0x3fb8aa3b, v77
	v_fma_f32 v77, s19, v118, -v71
	s_delay_alu instid0(VALU_DEP_3) | instskip(NEXT) | instid1(VALU_DEP_3)
	v_add_f32_e32 v72, v72, v88
	v_exp_f32_e32 v73, v73
	s_waitcnt_depctr 0xfff
	v_cndmask_b32_e64 v91, 0, v75, s13
	s_delay_alu instid0(VALU_DEP_1) | instskip(NEXT) | instid1(VALU_DEP_1)
	v_dual_mul_f32 v75, 0x3fb8aa3b, v77 :: v_dual_add_f32 v72, v72, v91
	v_exp_f32_e32 v75, v75
	v_cndmask_b32_e64 v93, 0, v73, s16
	s_delay_alu instid0(VALU_DEP_2) | instskip(NEXT) | instid1(VALU_DEP_1)
	v_add_f32_e32 v72, v72, v90
	v_add_f32_e32 v72, v72, v93
	s_waitcnt_depctr 0xfff
	v_cndmask_b32_e64 v92, 0, v75, s17
	s_delay_alu instid0(VALU_DEP_1)
	v_add_f32_e32 v72, v72, v92
	ds_bpermute_b32 v73, v74, v72
	v_cmpx_gt_u32_e32 16, v70
	s_cbranch_execz .LBB1219_12
; %bb.11:
	v_mul_u32_u24_e32 v70, 0x44, v69
	s_waitcnt lgkmcnt(0)
	v_add_f32_e32 v72, v72, v73
	s_delay_alu instid0(VALU_DEP_2) | instskip(NEXT) | instid1(VALU_DEP_1)
	v_lshl_add_u32 v70, v68, 2, v70
	v_add_nc_u32_e32 v70, 0x4000, v70
	ds_store_2addr_b32 v70, v71, v72 offset1:136
.LBB1219_12:
	s_or_b32 exec_lo, exec_lo, s2
	v_lshlrev_b32_e32 v70, 2, v68
	s_load_b32 s34, s[0:1], 0x94
	s_waitcnt lgkmcnt(0)
	s_barrier
	buffer_gl0_inv
	v_add_nc_u32_e32 v98, 0x4000, v70
	v_cmp_eq_u32_e32 vcc_lo, 1, v69
	v_cmp_eq_u32_e64 s2, 2, v69
	v_cmp_eq_u32_e64 s3, 3, v69
	;; [unrolled: 1-line block ×3, first 2 shown]
	ds_load_2addr_b32 v[70:71], v98 offset1:17
	ds_load_2addr_b32 v[72:73], v98 offset0:34 offset1:51
	ds_load_2addr_b32 v[74:75], v98 offset0:68 offset1:85
	;; [unrolled: 1-line block ×3, first 2 shown]
	v_cmp_eq_u32_e64 s5, 5, v69
	v_cmp_eq_u32_e64 s6, 7, v69
	s_waitcnt lgkmcnt(3)
	v_max3_f32 v76, v70, 0xff7fffff, v71
	s_waitcnt lgkmcnt(2)
	s_delay_alu instid0(VALU_DEP_1) | instskip(SKIP_1) | instid1(VALU_DEP_1)
	v_max3_f32 v76, v76, v72, v73
	s_waitcnt lgkmcnt(1)
	v_max3_f32 v76, v76, v74, v75
	s_waitcnt lgkmcnt(0)
	s_delay_alu instid0(VALU_DEP_1) | instskip(NEXT) | instid1(VALU_DEP_1)
	v_max3_f32 v76, v76, v94, v95
	v_sub_f32_e32 v77, v71, v76
	ds_load_2addr_b32 v[96:97], v98 offset0:136 offset1:153
	v_sub_f32_e32 v74, v74, v76
	v_sub_f32_e32 v70, v70, v76
	;; [unrolled: 1-line block ×3, first 2 shown]
	v_dual_sub_f32 v72, v72, v76 :: v_dual_mul_f32 v77, 0x3fb8aa3b, v77
	s_delay_alu instid0(VALU_DEP_4) | instskip(NEXT) | instid1(VALU_DEP_4)
	v_mul_f32_e32 v103, 0x3fb8aa3b, v74
	v_mul_f32_e32 v99, 0x3fb8aa3b, v70
	ds_load_2addr_b32 v[70:71], v98 offset0:170 offset1:187
	v_dual_mul_f32 v101, 0x3fb8aa3b, v72 :: v_dual_mul_f32 v94, 0x3fb8aa3b, v94
	v_exp_f32_e32 v102, v77
	v_exp_f32_e32 v99, v99
	s_delay_alu instid0(VALU_DEP_1) | instskip(NEXT) | instid1(VALU_DEP_1)
	v_exp_f32_e32 v101, v101
	v_exp_f32_e32 v94, v94
	s_waitcnt lgkmcnt(1)
	s_delay_alu instid0(TRANS32_DEP_3)
	v_fma_f32 v77, v99, v96, 0
	v_sub_f32_e32 v100, v73, v76
	ds_load_2addr_b32 v[72:73], v98 offset0:204 offset1:221
	v_fmac_f32_e32 v77, v102, v97
	v_exp_f32_e32 v97, v103
	s_waitcnt lgkmcnt(1)
	s_delay_alu instid0(VALU_DEP_1)
	v_dual_fmac_f32 v77, v101, v70 :: v_dual_sub_f32 v96, v75, v76
	ds_load_2addr_b32 v[74:75], v98 offset0:238 offset1:255
	v_sub_f32_e32 v70, v95, v76
	s_waitcnt lgkmcnt(0)
	s_barrier
	v_mul_f32_e32 v96, 0x3fb8aa3b, v96
	buffer_gl0_inv
	v_exp_f32_e32 v95, v96
	v_mul_f32_e32 v100, 0x3fb8aa3b, v100
	s_delay_alu instid0(VALU_DEP_1) | instskip(SKIP_3) | instid1(VALU_DEP_2)
	v_exp_f32_e32 v100, v100
	s_waitcnt_depctr 0xfff
	v_dual_fmac_f32 v77, v100, v71 :: v_dual_mul_f32 v70, 0x3fb8aa3b, v70
	v_cndmask_b32_e32 v71, v99, v102, vcc_lo
	v_fmac_f32_e32 v77, v97, v72
	s_delay_alu instid0(VALU_DEP_3) | instskip(NEXT) | instid1(VALU_DEP_1)
	v_exp_f32_e32 v96, v70
	v_fmac_f32_e32 v77, v95, v73
	s_delay_alu instid0(VALU_DEP_1) | instskip(SKIP_2) | instid1(VALU_DEP_1)
	v_fmac_f32_e32 v77, v94, v74
	s_waitcnt_depctr 0xfff
	v_fmac_f32_e32 v77, v96, v75
	v_add_f32_e32 v74, 0x358637bd, v77
	s_delay_alu instid0(VALU_DEP_1) | instskip(SKIP_1) | instid1(VALU_DEP_2)
	v_div_scale_f32 v98, null, v74, v74, 1.0
	v_div_scale_f32 v99, vcc_lo, 1.0, v74, 1.0
	v_rcp_f32_e32 v103, v98
	s_waitcnt_depctr 0xfff
	v_fma_f32 v70, -v98, v103, 1.0
	s_delay_alu instid0(VALU_DEP_1) | instskip(SKIP_2) | instid1(VALU_DEP_2)
	v_fmac_f32_e32 v103, v70, v103
	v_cndmask_b32_e64 v70, v71, v101, s2
	v_cmp_eq_u32_e64 s2, 6, v69
	v_cndmask_b32_e64 v71, v70, v100, s3
	s_delay_alu instid0(VALU_DEP_4) | instskip(NEXT) | instid1(VALU_DEP_2)
	v_dual_mul_f32 v101, v99, v103 :: v_dual_lshlrev_b32 v70, 2, v66
	v_cndmask_b32_e64 v71, v71, v97, s4
	s_delay_alu instid0(VALU_DEP_2) | instskip(NEXT) | instid1(VALU_DEP_3)
	v_or_b32_e32 v72, 1, v70
	v_fma_f32 v100, -v98, v101, v99
	v_cmp_eq_u32_e64 s3, 1, v70
	v_cmp_eq_u32_e64 s4, 2, v70
	v_cndmask_b32_e64 v95, v71, v95, s5
	v_or_b32_e32 v71, 3, v70
	v_fmac_f32_e32 v101, v100, v103
	v_cmp_eq_u32_e64 s8, 1, v72
	v_cmp_eq_u32_e64 s11, 2, v72
	v_cndmask_b32_e64 v94, v95, v94, s2
	v_cmp_eq_u32_e64 s10, 1, v71
	v_fma_f32 v97, -v98, v101, v99
	v_cmp_eq_u32_e64 s15, 2, v71
	v_cmp_eq_u32_e64 s12, 3, v72
	v_cndmask_b32_e64 v94, v94, v96, s6
	v_cmp_eq_u32_e64 s17, 3, v71
	v_div_fmas_f32 v95, v97, v103, v101
	v_cmp_eq_u32_e32 vcc_lo, 3, v70
	v_cmp_eq_u32_e64 s2, 4, v70
	v_cmp_eq_u32_e64 s18, 4, v72
	;; [unrolled: 1-line block ×3, first 2 shown]
	v_div_fixup_f32 v95, v95, v74, 1.0
	v_lshlrev_b32_e32 v73, 6, v68
	v_cmp_eq_u32_e64 s5, 5, v70
	v_cmp_eq_u32_e64 s19, 5, v72
	;; [unrolled: 1-line block ×3, first 2 shown]
	v_mul_f32_e32 v102, v94, v95
	v_lshl_or_b32 v75, v69, 11, v73
	v_or_b32_e32 v69, 2, v70
	v_cmp_eq_u32_e64 s24, 6, v72
	v_cmp_eq_u32_e64 s26, 6, v71
	v_fma_mixlo_f16 v94, v102, v79, 0
	v_fma_mixlo_f16 v95, v102, v81, 0
	;; [unrolled: 1-line block ×8, first 2 shown]
	v_lshl_or_b32 v74, v66, 4, v75
	v_fma_mixhi_f16 v94, v102, v78, 0
	v_fma_mixhi_f16 v95, v102, v80, 0
	;; [unrolled: 1-line block ×8, first 2 shown]
	ds_store_b128 v74, v[94:97]
	ds_store_b128 v74, v[98:101] offset:1024
	s_waitcnt lgkmcnt(0)
	s_barrier
	buffer_gl0_inv
	ds_load_b128 v[78:81], v75
	ds_load_b128 v[82:85], v75 offset:16
	ds_load_b128 v[86:89], v75 offset:1024
	;; [unrolled: 1-line block ×3, first 2 shown]
	v_cmp_eq_u32_e64 s9, 1, v69
	v_cmp_eq_u32_e64 s13, 2, v69
	;; [unrolled: 1-line block ×11, first 2 shown]
	s_waitcnt lgkmcnt(3)
	v_lshrrev_b32_e32 v94, 16, v78
	s_waitcnt lgkmcnt(2)
	v_lshrrev_b32_e32 v98, 16, v82
	;; [unrolled: 2-line block ×4, first 2 shown]
	v_lshrrev_b32_e32 v95, 16, v79
	v_cndmask_b32_e64 v110, v78, v94, s3
	v_cndmask_b32_e64 v111, v82, v98, s3
	;; [unrolled: 1-line block ×8, first 2 shown]
	v_lshrrev_b32_e32 v99, 16, v83
	v_cndmask_b32_e64 v94, v86, v102, s3
	v_cndmask_b32_e64 v98, v90, v106, s3
	;; [unrolled: 1-line block ×15, first 2 shown]
	v_lshrrev_b32_e32 v103, 16, v87
	v_lshrrev_b32_e32 v107, 16, v91
	v_cndmask_b32_e64 v113, v115, v83, s13
	v_cndmask_b32_e64 v82, v94, v87, s4
	;; [unrolled: 1-line block ×7, first 2 shown]
	v_cndmask_b32_e32 v90, v102, v95, vcc_lo
	v_cndmask_b32_e32 v102, v106, v99, vcc_lo
	v_cndmask_b32_e64 v106, v110, v95, s12
	v_cndmask_b32_e64 v110, v111, v99, s12
	;; [unrolled: 1-line block ×4, first 2 shown]
	v_lshrrev_b32_e32 v96, 16, v80
	v_lshrrev_b32_e32 v100, 16, v84
	v_cndmask_b32_e64 v111, v112, v95, s16
	v_cndmask_b32_e64 v112, v113, v99, s16
	v_cndmask_b32_e32 v82, v82, v103, vcc_lo
	v_cndmask_b32_e32 v83, v83, v107, vcc_lo
	v_cndmask_b32_e64 v94, v94, v103, s12
	v_cndmask_b32_e64 v90, v90, v80, s2
	;; [unrolled: 1-line block ×7, first 2 shown]
	v_lshrrev_b32_e32 v104, 16, v88
	v_cndmask_b32_e64 v106, v111, v80, s20
	v_cndmask_b32_e64 v110, v112, v84, s20
	;; [unrolled: 1-line block ×11, first 2 shown]
	v_lshrrev_b32_e32 v97, 16, v81
	v_lshrrev_b32_e32 v101, 16, v85
	v_cndmask_b32_e64 v99, v106, v96, s22
	v_cndmask_b32_e64 v102, v110, v100, s22
	;; [unrolled: 1-line block ×7, first 2 shown]
	v_lshrrev_b32_e32 v105, 16, v89
	v_cndmask_b32_e64 v80, v80, v104, s5
	v_cndmask_b32_e64 v84, v84, v81, s6
	;; [unrolled: 1-line block ×16, first 2 shown]
	v_perm_b32 v81, v79, v78, 0x5040100
	v_perm_b32 v79, v95, v85, 0x5040100
	v_cndmask_b32_e64 v78, v119, v91, s13
	v_cndmask_b32_e64 v85, v117, v91, s11
	;; [unrolled: 1-line block ×3, first 2 shown]
	v_perm_b32 v80, v94, v90, 0x5040100
	v_cndmask_b32_e64 v90, v98, v103, s16
	v_cndmask_b32_e64 v86, v86, v103, s17
	;; [unrolled: 1-line block ×5, first 2 shown]
	v_lshrrev_b32_e32 v108, 16, v92
	v_cndmask_b32_e64 v90, v90, v88, s20
	v_cndmask_b32_e64 v86, v86, v88, s21
	;; [unrolled: 1-line block ×11, first 2 shown]
	v_lshrrev_b32_e32 v109, 16, v93
	v_cndmask_b32_e64 v82, v82, v93, s6
	v_cndmask_b32_e64 v88, v88, v89, s25
	;; [unrolled: 1-line block ×12, first 2 shown]
	v_perm_b32 v78, v84, v83, 0x5040100
	v_perm_b32 v85, v87, v86, 0x5040100
	;; [unrolled: 1-line block ×5, first 2 shown]
	s_mul_i32 s7, s33, 6
	s_mov_b32 s2, exec_lo
	ds_store_b128 v74, v[78:81]
	ds_store_b128 v74, v[82:85] offset:1024
	v_cmpx_gt_u32_e32 6, v0
	s_cbranch_execz .LBB1219_14
; %bb.13:
	s_mul_i32 s3, s7, s30
	s_load_b128 s[8:11], s[0:1], 0x58
	v_add3_u32 v68, s3, s31, v68
	s_delay_alu instid0(VALU_DEP_1) | instskip(NEXT) | instid1(VALU_DEP_1)
	v_mad_u64_u32 v[78:79], null, v68, s34, s[14:15]
	v_ashrrev_i32_e32 v79, 31, v78
	s_delay_alu instid0(VALU_DEP_1) | instskip(SKIP_1) | instid1(VALU_DEP_1)
	v_lshlrev_b64 v[78:79], 2, v[78:79]
	s_waitcnt lgkmcnt(0)
	v_add_co_u32 v80, vcc_lo, s10, v78
	s_delay_alu instid0(VALU_DEP_2)
	v_add_co_ci_u32_e32 v81, vcc_lo, s11, v79, vcc_lo
	v_add_co_u32 v78, vcc_lo, s8, v78
	v_add_co_ci_u32_e32 v79, vcc_lo, s9, v79, vcc_lo
	global_store_b32 v[80:81], v76, off
	global_store_b32 v[78:79], v77, off
.LBB1219_14:
	s_or_b32 exec_lo, exec_lo, s2
	s_waitcnt lgkmcnt(0)
	s_waitcnt_vscnt null, 0x0
	s_barrier
	buffer_gl0_inv
	ds_load_b128 v[84:87], v73
	ds_load_b128 v[88:91], v73 offset:16
	ds_load_b128 v[96:99], v73 offset:2064
	;; [unrolled: 1-line block ×5, first 2 shown]
	v_cmp_eq_u32_e32 vcc_lo, 1, v70
	v_mov_b32_e32 v76, 0
	ds_load_b128 v[112:115], v73 offset:6160
	ds_load_b128 v[108:111], v73 offset:6144
	;; [unrolled: 1-line block ×4, first 2 shown]
	v_cmp_eq_u32_e64 s3, 1, v69
	v_cmp_eq_u32_e64 s2, 1, v72
	;; [unrolled: 1-line block ×3, first 2 shown]
	v_mov_b32_e32 v77, v76
	v_mov_b32_e32 v78, v76
	;; [unrolled: 1-line block ×7, first 2 shown]
	v_cmp_eq_u32_e64 s5, 3, v72
	v_cmp_eq_u32_e64 s6, 7, v72
	s_waitcnt lgkmcnt(8)
	s_delay_alu instid0(VALU_DEP_3)
	v_wmma_f32_16x16x16_f16 v[76:83], v[49:56], v[84:91], v[76:83]
	ds_load_b128 v[53:56], v73 offset:10256
	ds_load_b128 v[49:52], v73 offset:10240
	s_waitcnt lgkmcnt(8)
	v_wmma_f32_16x16x16_f16 v[76:83], v[41:48], v[92:99], v[76:83]
	ds_load_b128 v[45:48], v73 offset:12304
	ds_load_b128 v[41:44], v73 offset:12288
	s_waitcnt lgkmcnt(8)
	;; [unrolled: 4-line block ×3, first 2 shown]
	s_barrier
	buffer_gl0_inv
	v_wmma_f32_16x16x16_f16 v[76:83], v[1:8], v[108:115], v[76:83]
	s_delay_alu instid0(VALU_DEP_1) | instskip(NEXT) | instid1(VALU_DEP_1)
	v_wmma_f32_16x16x16_f16 v[76:83], v[9:16], v[116:123], v[76:83]
	v_wmma_f32_16x16x16_f16 v[76:83], v[17:24], v[49:56], v[76:83]
	s_delay_alu instid0(VALU_DEP_1) | instskip(NEXT) | instid1(VALU_DEP_1)
	v_wmma_f32_16x16x16_f16 v[76:83], v[25:32], v[41:48], v[76:83]
	v_wmma_f32_16x16x16_f16 v[76:83], v[57:64], v[33:40], v[76:83]
	s_delay_alu instid0(VALU_DEP_1) | instskip(NEXT) | instid1(VALU_DEP_2)
	v_cvt_f16_f32_e32 v1, v76
	v_cvt_f16_f32_e32 v2, v77
	s_delay_alu instid0(VALU_DEP_3) | instskip(NEXT) | instid1(VALU_DEP_4)
	v_cvt_f16_f32_e32 v3, v78
	v_cvt_f16_f32_e32 v4, v79
	;; [unrolled: 1-line block ×6, first 2 shown]
	v_pack_b32_f16 v1, v1, v2
	v_pack_b32_f16 v2, v3, v4
	;; [unrolled: 1-line block ×3, first 2 shown]
	s_delay_alu instid0(VALU_DEP_4)
	v_pack_b32_f16 v4, v7, v8
	ds_store_b128 v74, v[1:4]
	s_waitcnt lgkmcnt(0)
	s_barrier
	buffer_gl0_inv
	ds_load_b128 v[1:4], v75
	ds_load_b128 v[5:8], v75 offset:16
	s_waitcnt lgkmcnt(1)
	v_lshrrev_b32_e32 v9, 16, v1
	s_waitcnt lgkmcnt(0)
	v_lshrrev_b32_e32 v13, 16, v5
	v_lshrrev_b32_e32 v10, 16, v2
	v_lshrrev_b32_e32 v14, 16, v6
	v_lshrrev_b32_e32 v11, 16, v3
	v_cndmask_b32_e32 v17, v1, v9, vcc_lo
	v_cndmask_b32_e32 v18, v5, v13, vcc_lo
	v_cndmask_b32_e64 v21, v1, v9, s3
	v_cmp_eq_u32_e32 vcc_lo, 1, v71
	v_cndmask_b32_e64 v22, v5, v13, s3
	v_cmp_eq_u32_e64 s3, 2, v70
	v_cndmask_b32_e64 v19, v1, v9, s2
	v_cndmask_b32_e64 v20, v5, v13, s2
	v_cndmask_b32_e32 v1, v1, v9, vcc_lo
	v_cmp_eq_u32_e64 s2, 2, v71
	v_cndmask_b32_e32 v5, v5, v13, vcc_lo
	v_cndmask_b32_e64 v9, v17, v2, s3
	v_cmp_eq_u32_e32 vcc_lo, 3, v70
	v_cndmask_b32_e64 v13, v18, v6, s3
	v_cmp_eq_u32_e64 s3, 2, v69
	v_cndmask_b32_e64 v17, v19, v2, s4
	v_cndmask_b32_e64 v18, v20, v6, s4
	v_cmp_eq_u32_e64 s4, 3, v69
	v_cndmask_b32_e64 v1, v1, v2, s2
	v_cndmask_b32_e64 v19, v21, v2, s3
	;; [unrolled: 1-line block ×4, first 2 shown]
	v_cndmask_b32_e32 v5, v9, v10, vcc_lo
	v_cndmask_b32_e32 v6, v13, v14, vcc_lo
	v_cmp_eq_u32_e32 vcc_lo, 3, v71
	v_cndmask_b32_e64 v9, v17, v10, s5
	v_cndmask_b32_e64 v13, v18, v14, s5
	;; [unrolled: 1-line block ×3, first 2 shown]
	v_cmp_eq_u32_e64 s3, 4, v70
	v_cndmask_b32_e32 v1, v1, v10, vcc_lo
	v_cndmask_b32_e32 v2, v2, v14, vcc_lo
	v_cmp_eq_u32_e32 vcc_lo, 4, v72
	v_lshrrev_b32_e32 v15, 16, v7
	v_lshrrev_b32_e32 v16, 16, v8
	v_cndmask_b32_e64 v17, v19, v10, s4
	v_cmp_eq_u32_e64 s2, 4, v71
	v_cndmask_b32_e64 v5, v5, v3, s3
	v_cndmask_b32_e64 v6, v6, v7, s3
	v_cndmask_b32_e32 v9, v9, v3, vcc_lo
	v_cmp_eq_u32_e64 s3, 5, v72
	v_cndmask_b32_e32 v10, v13, v7, vcc_lo
	v_cmp_eq_u32_e32 vcc_lo, 4, v69
	v_cmp_eq_u32_e64 s4, 5, v70
	v_cndmask_b32_e64 v2, v2, v7, s2
	v_cndmask_b32_e64 v9, v9, v11, s3
	;; [unrolled: 1-line block ×3, first 2 shown]
	v_cndmask_b32_e32 v13, v17, v3, vcc_lo
	v_cmp_eq_u32_e64 s3, 5, v69
	v_cndmask_b32_e32 v14, v18, v7, vcc_lo
	v_cndmask_b32_e64 v1, v1, v3, s2
	v_cmp_eq_u32_e32 vcc_lo, 5, v71
	v_lshrrev_b32_e32 v12, 16, v4
	v_cndmask_b32_e64 v13, v13, v11, s3
	v_cndmask_b32_e64 v3, v14, v15, s3
	v_cmp_eq_u32_e64 s3, 6, v71
	v_cndmask_b32_e32 v1, v1, v11, vcc_lo
	v_cndmask_b32_e64 v5, v5, v11, s4
	v_cmp_eq_u32_e64 s5, 6, v70
	v_cndmask_b32_e64 v6, v6, v15, s4
	v_cmp_eq_u32_e64 s4, 6, v72
	v_cmp_eq_u32_e64 s2, 6, v69
	v_cndmask_b32_e64 v1, v1, v4, s3
	v_cndmask_b32_e32 v2, v2, v15, vcc_lo
	v_cmp_eq_u32_e32 vcc_lo, 7, v71
	v_cndmask_b32_e64 v5, v5, v4, s5
	v_cndmask_b32_e64 v9, v9, v4, s4
	;; [unrolled: 1-line block ×3, first 2 shown]
	v_cmp_eq_u32_e64 s5, 7, v70
	v_cndmask_b32_e32 v1, v1, v12, vcc_lo
	v_cndmask_b32_e64 v7, v13, v4, s2
	v_cndmask_b32_e64 v3, v3, v8, s2
	;; [unrolled: 1-line block ×3, first 2 shown]
	v_cmp_eq_u32_e64 s2, 7, v69
	v_cndmask_b32_e64 v4, v10, v8, s4
	v_cndmask_b32_e64 v5, v5, v12, s5
	;; [unrolled: 1-line block ×3, first 2 shown]
	v_cndmask_b32_e32 v2, v2, v16, vcc_lo
	v_cndmask_b32_e64 v7, v7, v12, s2
	v_cndmask_b32_e64 v3, v3, v16, s2
	;; [unrolled: 1-line block ×4, first 2 shown]
	v_perm_b32 v4, v2, v1, 0x5040100
	s_mov_b32 s2, exec_lo
	v_perm_b32 v3, v3, v7, 0x5040100
	v_perm_b32 v2, v8, v9, 0x5040100
	;; [unrolled: 1-line block ×3, first 2 shown]
	ds_store_b128 v74, v[1:4]
	s_waitcnt lgkmcnt(0)
	s_barrier
	buffer_gl0_inv
	v_cmpx_gt_u32_e32 32, v0
	s_cbranch_execz .LBB1219_2
; %bb.15:
	s_load_b64 s[0:1], s[0:1], 0x68
	s_lshl_b32 s4, s34, 7
	v_or_b32_e32 v3, s31, v66
	s_mul_i32 s2, s4, s30
	v_lshlrev_b32_e32 v0, 10, v0
	s_mul_i32 s2, s2, s7
	v_lshlrev_b32_e32 v1, 4, v67
	s_ashr_i32 s3, s2, 31
	v_mul_lo_u32 v12, v3, s4
	s_lshl_b64 s[2:3], s[2:3], 1
	v_lshlrev_b32_e32 v2, 6, v66
	v_and_b32_e32 v0, 0x3800, v0
	s_delay_alu instid0(VALU_DEP_1) | instskip(NEXT) | instid1(VALU_DEP_4)
	v_or3_b32 v8, v0, v1, v2
	v_ashrrev_i32_e32 v13, 31, v12
	ds_load_b128 v[0:3], v8
	ds_load_b128 v[4:7], v8 offset:128
	ds_load_b128 v[8:11], v8 offset:256
	s_waitcnt lgkmcnt(0)
	s_add_u32 s2, s0, s2
	s_addc_u32 s3, s1, s3
	s_lshl_b32 s0, s14, 7
	s_delay_alu instid0(SALU_CYCLE_1) | instskip(NEXT) | instid1(SALU_CYCLE_1)
	s_ashr_i32 s1, s0, 31
	s_lshl_b64 s[0:1], s[0:1], 1
	s_delay_alu instid0(SALU_CYCLE_1)
	s_add_u32 s0, s2, s0
	s_addc_u32 s1, s3, s1
	s_lshl_b32 s2, s34, 8
	v_add_co_u32 v18, s0, s0, v65
	v_add_nc_u32_e32 v14, s2, v12
	v_lshlrev_b64 v[12:13], 1, v[12:13]
	v_add_co_ci_u32_e64 v19, null, s1, 0, s0
	s_delay_alu instid0(VALU_DEP_3) | instskip(SKIP_1) | instid1(VALU_DEP_4)
	v_add_nc_u32_e32 v16, s2, v14
	v_ashrrev_i32_e32 v15, 31, v14
	v_add_co_u32 v12, vcc_lo, v18, v12
	s_delay_alu instid0(VALU_DEP_4) | instskip(NEXT) | instid1(VALU_DEP_4)
	v_add_co_ci_u32_e32 v13, vcc_lo, v19, v13, vcc_lo
	v_ashrrev_i32_e32 v17, 31, v16
	s_delay_alu instid0(VALU_DEP_4) | instskip(NEXT) | instid1(VALU_DEP_2)
	v_lshlrev_b64 v[14:15], 1, v[14:15]
	v_lshlrev_b64 v[16:17], 1, v[16:17]
	s_delay_alu instid0(VALU_DEP_2) | instskip(NEXT) | instid1(VALU_DEP_3)
	v_add_co_u32 v14, vcc_lo, v18, v14
	v_add_co_ci_u32_e32 v15, vcc_lo, v19, v15, vcc_lo
	s_delay_alu instid0(VALU_DEP_3) | instskip(NEXT) | instid1(VALU_DEP_4)
	v_add_co_u32 v16, vcc_lo, v18, v16
	v_add_co_ci_u32_e32 v17, vcc_lo, v19, v17, vcc_lo
	s_clause 0x2
	global_store_b128 v[12:13], v[0:3], off
	global_store_b128 v[14:15], v[4:7], off
	;; [unrolled: 1-line block ×3, first 2 shown]
	s_nop 0
	s_sendmsg sendmsg(MSG_DEALLOC_VGPRS)
	s_endpgm
	.section	.rodata,"a",@progbits
	.p2align	6, 0x0
	.amdhsa_kernel _Z39paged_attention_ll4mi_QKV_mfma16_kernelIDF16_hLN4vllm18Fp8KVCacheDataTypeE1EhLi16ELi128ELi256ELb1ELi6EL8MFMAType0EEvPKT_PKT0_S8_ifPKiSA_SA_iPKfiiiPfSD_PS3_PT2_iSC_SC_
		.amdhsa_group_segment_fixed_size 17472
		.amdhsa_private_segment_fixed_size 0
		.amdhsa_kernarg_size 400
		.amdhsa_user_sgpr_count 13
		.amdhsa_user_sgpr_dispatch_ptr 0
		.amdhsa_user_sgpr_queue_ptr 0
		.amdhsa_user_sgpr_kernarg_segment_ptr 1
		.amdhsa_user_sgpr_dispatch_id 0
		.amdhsa_user_sgpr_private_segment_size 0
		.amdhsa_wavefront_size32 1
		.amdhsa_uses_dynamic_stack 0
		.amdhsa_enable_private_segment 0
		.amdhsa_system_sgpr_workgroup_id_x 1
		.amdhsa_system_sgpr_workgroup_id_y 1
		.amdhsa_system_sgpr_workgroup_id_z 1
		.amdhsa_system_sgpr_workgroup_info 0
		.amdhsa_system_vgpr_workitem_id 0
		.amdhsa_next_free_vgpr 150
		.amdhsa_next_free_sgpr 36
		.amdhsa_reserve_vcc 1
		.amdhsa_float_round_mode_32 0
		.amdhsa_float_round_mode_16_64 0
		.amdhsa_float_denorm_mode_32 3
		.amdhsa_float_denorm_mode_16_64 3
		.amdhsa_dx10_clamp 1
		.amdhsa_ieee_mode 1
		.amdhsa_fp16_overflow 0
		.amdhsa_workgroup_processor_mode 1
		.amdhsa_memory_ordered 1
		.amdhsa_forward_progress 0
		.amdhsa_shared_vgpr_count 0
		.amdhsa_exception_fp_ieee_invalid_op 0
		.amdhsa_exception_fp_denorm_src 0
		.amdhsa_exception_fp_ieee_div_zero 0
		.amdhsa_exception_fp_ieee_overflow 0
		.amdhsa_exception_fp_ieee_underflow 0
		.amdhsa_exception_fp_ieee_inexact 0
		.amdhsa_exception_int_div_zero 0
	.end_amdhsa_kernel
	.section	.text._Z39paged_attention_ll4mi_QKV_mfma16_kernelIDF16_hLN4vllm18Fp8KVCacheDataTypeE1EhLi16ELi128ELi256ELb1ELi6EL8MFMAType0EEvPKT_PKT0_S8_ifPKiSA_SA_iPKfiiiPfSD_PS3_PT2_iSC_SC_,"axG",@progbits,_Z39paged_attention_ll4mi_QKV_mfma16_kernelIDF16_hLN4vllm18Fp8KVCacheDataTypeE1EhLi16ELi128ELi256ELb1ELi6EL8MFMAType0EEvPKT_PKT0_S8_ifPKiSA_SA_iPKfiiiPfSD_PS3_PT2_iSC_SC_,comdat
.Lfunc_end1219:
	.size	_Z39paged_attention_ll4mi_QKV_mfma16_kernelIDF16_hLN4vllm18Fp8KVCacheDataTypeE1EhLi16ELi128ELi256ELb1ELi6EL8MFMAType0EEvPKT_PKT0_S8_ifPKiSA_SA_iPKfiiiPfSD_PS3_PT2_iSC_SC_, .Lfunc_end1219-_Z39paged_attention_ll4mi_QKV_mfma16_kernelIDF16_hLN4vllm18Fp8KVCacheDataTypeE1EhLi16ELi128ELi256ELb1ELi6EL8MFMAType0EEvPKT_PKT0_S8_ifPKiSA_SA_iPKfiiiPfSD_PS3_PT2_iSC_SC_
                                        ; -- End function
	.section	.AMDGPU.csdata,"",@progbits
; Kernel info:
; codeLenInByte = 6620
; NumSgprs: 38
; NumVgprs: 150
; ScratchSize: 0
; MemoryBound: 0
; FloatMode: 240
; IeeeMode: 1
; LDSByteSize: 17472 bytes/workgroup (compile time only)
; SGPRBlocks: 4
; VGPRBlocks: 18
; NumSGPRsForWavesPerEU: 38
; NumVGPRsForWavesPerEU: 150
; Occupancy: 9
; WaveLimiterHint : 1
; COMPUTE_PGM_RSRC2:SCRATCH_EN: 0
; COMPUTE_PGM_RSRC2:USER_SGPR: 13
; COMPUTE_PGM_RSRC2:TRAP_HANDLER: 0
; COMPUTE_PGM_RSRC2:TGID_X_EN: 1
; COMPUTE_PGM_RSRC2:TGID_Y_EN: 1
; COMPUTE_PGM_RSRC2:TGID_Z_EN: 1
; COMPUTE_PGM_RSRC2:TIDIG_COMP_CNT: 0
	.section	.text._Z39paged_attention_ll4mi_QKV_mfma16_kernelIDF16_hLN4vllm18Fp8KVCacheDataTypeE1EhLi16ELi128ELi256ELb1ELi7EL8MFMAType0EEvPKT_PKT0_S8_ifPKiSA_SA_iPKfiiiPfSD_PS3_PT2_iSC_SC_,"axG",@progbits,_Z39paged_attention_ll4mi_QKV_mfma16_kernelIDF16_hLN4vllm18Fp8KVCacheDataTypeE1EhLi16ELi128ELi256ELb1ELi7EL8MFMAType0EEvPKT_PKT0_S8_ifPKiSA_SA_iPKfiiiPfSD_PS3_PT2_iSC_SC_,comdat
	.protected	_Z39paged_attention_ll4mi_QKV_mfma16_kernelIDF16_hLN4vllm18Fp8KVCacheDataTypeE1EhLi16ELi128ELi256ELb1ELi7EL8MFMAType0EEvPKT_PKT0_S8_ifPKiSA_SA_iPKfiiiPfSD_PS3_PT2_iSC_SC_ ; -- Begin function _Z39paged_attention_ll4mi_QKV_mfma16_kernelIDF16_hLN4vllm18Fp8KVCacheDataTypeE1EhLi16ELi128ELi256ELb1ELi7EL8MFMAType0EEvPKT_PKT0_S8_ifPKiSA_SA_iPKfiiiPfSD_PS3_PT2_iSC_SC_
	.globl	_Z39paged_attention_ll4mi_QKV_mfma16_kernelIDF16_hLN4vllm18Fp8KVCacheDataTypeE1EhLi16ELi128ELi256ELb1ELi7EL8MFMAType0EEvPKT_PKT0_S8_ifPKiSA_SA_iPKfiiiPfSD_PS3_PT2_iSC_SC_
	.p2align	8
	.type	_Z39paged_attention_ll4mi_QKV_mfma16_kernelIDF16_hLN4vllm18Fp8KVCacheDataTypeE1EhLi16ELi128ELi256ELb1ELi7EL8MFMAType0EEvPKT_PKT0_S8_ifPKiSA_SA_iPKfiiiPfSD_PS3_PT2_iSC_SC_,@function
_Z39paged_attention_ll4mi_QKV_mfma16_kernelIDF16_hLN4vllm18Fp8KVCacheDataTypeE1EhLi16ELi128ELi256ELb1ELi7EL8MFMAType0EEvPKT_PKT0_S8_ifPKiSA_SA_iPKfiiiPfSD_PS3_PT2_iSC_SC_: ; @_Z39paged_attention_ll4mi_QKV_mfma16_kernelIDF16_hLN4vllm18Fp8KVCacheDataTypeE1EhLi16ELi128ELi256ELb1ELi7EL8MFMAType0EEvPKT_PKT0_S8_ifPKiSA_SA_iPKfiiiPfSD_PS3_PT2_iSC_SC_
; %bb.0:
	s_load_b64 s[4:5], s[0:1], 0x30
	s_mov_b32 s34, s13
	s_waitcnt lgkmcnt(0)
	s_cmp_lg_u64 s[4:5], 0
	s_cselect_b32 s8, -1, 0
	s_ashr_i32 s35, s13, 31
	s_cmp_eq_u64 s[4:5], 0
	s_cbranch_scc1 .LBB1220_3
; %bb.1:
	s_lshl_b64 s[2:3], s[34:35], 2
	s_delay_alu instid0(SALU_CYCLE_1) | instskip(SKIP_4) | instid1(SALU_CYCLE_1)
	s_add_u32 s2, s4, s2
	s_addc_u32 s3, s5, s3
	s_load_b64 s[2:3], s[2:3], 0x0
	s_waitcnt lgkmcnt(0)
	s_sub_i32 s2, s3, s2
	s_cmp_eq_u32 s2, 1
	s_cselect_b32 s2, -1, 0
	s_delay_alu instid0(SALU_CYCLE_1)
	s_and_not1_b32 vcc_lo, exec_lo, s2
	s_cbranch_vccz .LBB1220_4
.LBB1220_2:
	s_nop 0
	s_sendmsg sendmsg(MSG_DEALLOC_VGPRS)
	s_endpgm
.LBB1220_3:
.LBB1220_4:
	s_load_b64 s[2:3], s[0:1], 0x28
	s_lshl_b64 s[6:7], s[34:35], 2
	s_waitcnt lgkmcnt(0)
	s_add_u32 s2, s2, s6
	s_addc_u32 s3, s3, s7
	s_lshl_b32 s12, s14, 8
	s_load_b32 s24, s[2:3], 0x0
	s_waitcnt lgkmcnt(0)
	s_cmp_ge_i32 s12, s24
	s_cbranch_scc1 .LBB1220_2
; %bb.5:
	s_clause 0x1
	s_load_b128 s[20:23], s[0:1], 0x8
	s_load_b64 s[2:3], s[0:1], 0x20
	s_and_not1_b32 vcc_lo, exec_lo, s8
	s_cbranch_vccnz .LBB1220_7
; %bb.6:
	s_add_u32 s4, s4, s6
	s_addc_u32 s5, s5, s7
	s_load_b32 s5, s[4:5], 0x0
	s_branch .LBB1220_8
.LBB1220_7:
	s_mov_b32 s5, s34
.LBB1220_8:
	s_load_b128 s[16:19], s[0:1], 0x48
	v_and_b32_e32 v68, 15, v0
	v_lshrrev_b32_e32 v69, 5, v0
	v_bfe_u32 v66, v0, 4, 1
	v_and_b32_e32 v70, 31, v0
	v_and_b32_e32 v67, 1, v0
	v_lshlrev_b32_e32 v2, 3, v68
	s_mul_i32 s31, s15, 7
	v_lshl_or_b32 v1, v69, 1, v66
	s_mov_b32 s4, exec_lo
	s_delay_alu instid0(VALU_DEP_2) | instskip(NEXT) | instid1(VALU_DEP_2)
	v_lshlrev_b32_e32 v65, 1, v2
	v_cmpx_gt_u32_e32 7, v1
	s_cbranch_execz .LBB1220_10
; %bb.9:
	s_load_b64 s[6:7], s[0:1], 0x0
	v_add_lshl_u32 v2, v1, s31, 7
	s_waitcnt lgkmcnt(0)
	s_mul_hi_i32 s9, s5, s16
	s_mul_i32 s8, s5, s16
	v_lshlrev_b32_e32 v6, 10, v68
	s_lshl_b64 s[8:9], s[8:9], 1
	v_ashrrev_i32_e32 v3, 31, v2
	v_lshlrev_b32_e32 v1, 6, v1
	v_lshlrev_b32_e32 v7, 10, v67
	v_and_b32_e32 v6, 0x3800, v6
	s_delay_alu instid0(VALU_DEP_4) | instskip(NEXT) | instid1(VALU_DEP_2)
	v_lshlrev_b64 v[2:3], 1, v[2:3]
	v_or3_b32 v1, v6, v7, v1
	s_add_u32 s5, s6, s8
	s_addc_u32 s6, s7, s9
	s_delay_alu instid0(VALU_DEP_2) | instskip(NEXT) | instid1(VALU_DEP_3)
	v_add_co_u32 v2, vcc_lo, s5, v2
	v_add_co_ci_u32_e32 v3, vcc_lo, s6, v3, vcc_lo
	s_delay_alu instid0(VALU_DEP_2) | instskip(NEXT) | instid1(VALU_DEP_2)
	v_add_co_u32 v2, vcc_lo, v2, v65
	v_add_co_ci_u32_e32 v3, vcc_lo, 0, v3, vcc_lo
	global_load_b128 v[2:5], v[2:3], off
	s_waitcnt vmcnt(0)
	ds_store_b128 v1, v[2:5]
.LBB1220_10:
	s_or_b32 exec_lo, exec_lo, s4
	v_and_b32_e32 v1, 0xef, v0
	s_waitcnt lgkmcnt(0)
	s_add_i32 s5, s24, 15
	s_clause 0x1
	s_load_b32 s4, s[0:1], 0x38
	s_load_b32 s33, s[0:1], 0x98
	s_ashr_i32 s6, s5, 31
	v_add_nc_u32_e32 v1, s12, v1
	s_lshr_b32 s6, s6, 28
	s_load_b32 s19, s[0:1], 0x1c
	s_add_i32 s5, s5, s6
	s_waitcnt lgkmcnt(0)
	v_ashrrev_i32_e32 v2, 31, v1
	v_or_b32_e32 v3, 16, v1
	s_ashr_i32 s13, s5, 4
	v_cmp_gt_i32_e32 vcc_lo, s24, v1
	s_add_i32 s13, s13, -1
	v_lshrrev_b32_e32 v2, 28, v2
	s_barrier
	buffer_gl0_inv
	s_mul_i32 s15, s15, s18
	v_add_nc_u32_e32 v4, v1, v2
	s_mul_i32 s4, s34, s4
	s_delay_alu instid0(SALU_CYCLE_1) | instskip(NEXT) | instid1(VALU_DEP_1)
	s_ashr_i32 s5, s4, 31
	v_ashrrev_i32_e32 v4, 4, v4
	v_add_nc_u32_e32 v2, v3, v2
	s_lshl_b64 s[4:5], s[4:5], 2
	s_delay_alu instid0(SALU_CYCLE_1) | instskip(NEXT) | instid1(VALU_DEP_2)
	s_add_u32 s16, s2, s4
	v_cndmask_b32_e32 v1, s13, v4, vcc_lo
	s_delay_alu instid0(VALU_DEP_2)
	v_ashrrev_i32_e32 v2, 4, v2
	v_cmp_gt_i32_e32 vcc_lo, s24, v3
	s_addc_u32 s25, s3, s5
	s_ashr_i32 s18, s15, 31
	s_add_u32 s26, s20, s15
	s_addc_u32 s27, s21, s18
	v_cndmask_b32_e32 v3, s13, v2, vcc_lo
	v_ashrrev_i32_e32 v2, 31, v1
	s_lshl_b32 s2, s14, 4
	s_delay_alu instid0(SALU_CYCLE_1) | instskip(NEXT) | instid1(VALU_DEP_2)
	s_ashr_i32 s3, s2, 31
	v_ashrrev_i32_e32 v4, 31, v3
	s_delay_alu instid0(VALU_DEP_2) | instskip(SKIP_1) | instid1(SALU_CYCLE_1)
	v_lshlrev_b64 v[1:2], 2, v[1:2]
	s_lshl_b64 s[2:3], s[2:3], 2
	s_add_u32 s2, s16, s2
	s_delay_alu instid0(VALU_DEP_2) | instskip(SKIP_1) | instid1(VALU_DEP_2)
	v_lshlrev_b64 v[3:4], 2, v[3:4]
	s_addc_u32 s3, s25, s3
	v_add_co_u32 v1, vcc_lo, s16, v1
	v_add_co_ci_u32_e32 v2, vcc_lo, s25, v2, vcc_lo
	s_delay_alu instid0(VALU_DEP_3) | instskip(NEXT) | instid1(VALU_DEP_4)
	v_add_co_u32 v3, vcc_lo, s16, v3
	v_add_co_ci_u32_e32 v4, vcc_lo, s25, v4, vcc_lo
	s_clause 0x1
	global_load_b32 v5, v[1:2], off
	global_load_b32 v7, v[3:4], off
	s_or_b32 s4, s12, 32
	v_lshlrev_b32_e32 v1, 4, v0
	s_ashr_i32 s5, s4, 4
	s_cmp_lt_i32 s4, s24
	s_cselect_b32 s4, s5, s13
	s_delay_alu instid0(VALU_DEP_1) | instskip(SKIP_1) | instid1(SALU_CYCLE_1)
	v_and_b32_e32 v1, 0xf0, v1
	s_ashr_i32 s5, s4, 31
	s_lshl_b64 s[4:5], s[4:5], 2
	s_delay_alu instid0(SALU_CYCLE_1)
	s_add_u32 s4, s16, s4
	s_addc_u32 s5, s25, s5
	s_or_b32 s6, s12, 64
	v_add_co_u32 v1, s26, s26, v1
	s_ashr_i32 s7, s6, 4
	s_cmp_lt_i32 s6, s24
	v_add_co_ci_u32_e64 v2, null, s27, 0, s26
	s_cselect_b32 s6, s7, s13
	s_delay_alu instid0(SALU_CYCLE_1) | instskip(NEXT) | instid1(SALU_CYCLE_1)
	s_ashr_i32 s7, s6, 31
	s_lshl_b64 s[6:7], s[6:7], 2
	s_delay_alu instid0(SALU_CYCLE_1) | instskip(SKIP_2) | instid1(SALU_CYCLE_1)
	s_add_u32 s6, s16, s6
	s_addc_u32 s7, s25, s7
	s_or_b32 s8, s12, 0x60
	s_ashr_i32 s9, s8, 4
	s_cmp_lt_i32 s8, s24
	s_cselect_b32 s8, s9, s13
	s_delay_alu instid0(SALU_CYCLE_1) | instskip(NEXT) | instid1(SALU_CYCLE_1)
	s_ashr_i32 s9, s8, 31
	s_lshl_b64 s[8:9], s[8:9], 2
	s_delay_alu instid0(SALU_CYCLE_1) | instskip(SKIP_2) | instid1(SALU_CYCLE_1)
	s_add_u32 s8, s16, s8
	s_addc_u32 s9, s25, s9
	s_or_b32 s10, s12, 0x80
	s_ashr_i32 s11, s10, 4
	s_cmp_lt_i32 s10, s24
	;; [unrolled: 10-line block ×3, first 2 shown]
	s_cselect_b32 s20, s21, s13
	s_delay_alu instid0(SALU_CYCLE_1) | instskip(NEXT) | instid1(SALU_CYCLE_1)
	s_ashr_i32 s21, s20, 31
	s_lshl_b64 s[20:21], s[20:21], 2
	s_delay_alu instid0(SALU_CYCLE_1)
	s_add_u32 s20, s16, s20
	s_addc_u32 s21, s25, s21
	s_clause 0x5
	s_load_b32 s26, s[2:3], 0x0
	s_load_b32 s27, s[4:5], 0x0
	;; [unrolled: 1-line block ×6, first 2 shown]
	s_or_b32 s2, s12, 0xc0
	s_mov_b32 s4, 0
	s_ashr_i32 s3, s2, 4
	s_cmp_lt_i32 s2, s24
	s_mov_b32 s11, s4
	s_cselect_b32 s2, s3, s13
	s_mov_b32 s5, s4
	s_ashr_i32 s3, s2, 31
	s_mov_b32 s6, s4
	s_lshl_b64 s[2:3], s[2:3], 2
	s_mov_b32 s7, s4
	s_add_u32 s2, s16, s2
	s_addc_u32 s3, s25, s3
	s_or_b32 s20, s12, 0xe0
	s_mov_b32 s8, s4
	s_ashr_i32 s21, s20, 4
	s_cmp_lt_i32 s20, s24
	s_mov_b32 s9, s4
	s_cselect_b32 s20, s21, s13
	s_mov_b32 s10, s4
	s_ashr_i32 s21, s20, 31
	v_mov_b32_e32 v118, s11
	v_dual_mov_b32 v112, s5 :: v_dual_mov_b32 v117, s10
	v_dual_mov_b32 v116, s9 :: v_dual_mov_b32 v115, s8
	;; [unrolled: 1-line block ×3, first 2 shown]
	v_mov_b32_e32 v111, s4
	s_lshl_b64 s[4:5], s[20:21], 2
	s_delay_alu instid0(SALU_CYCLE_1)
	s_add_u32 s4, s16, s4
	s_addc_u32 s5, s25, s5
	s_add_u32 s6, s22, s15
	s_addc_u32 s7, s23, s18
	s_waitcnt vmcnt(1)
	v_mad_i64_i32 v[3:4], null, v5, s17, v[1:2]
	s_waitcnt vmcnt(0)
	v_mad_i64_i32 v[5:6], null, v7, s17, v[1:2]
	v_mul_lo_u16 v1, v68, 37
	v_lshlrev_b32_e32 v2, 4, v68
	s_clause 0xf
	global_load_b128 v[17:20], v[3:4], off
	global_load_b128 v[21:24], v[3:4], off offset:256
	global_load_b128 v[25:28], v[5:6], off
	global_load_b128 v[29:32], v[5:6], off offset:256
	global_load_b128 v[57:60], v[3:4], off offset:512
	;; [unrolled: 1-line block ×13, first 2 shown]
	v_lshrrev_b16 v1, 8, v1
	s_delay_alu instid0(VALU_DEP_1) | instskip(NEXT) | instid1(VALU_DEP_1)
	v_mul_lo_u16 v1, v1, 7
	v_sub_nc_u16 v1, v68, v1
	s_delay_alu instid0(VALU_DEP_1) | instskip(NEXT) | instid1(VALU_DEP_1)
	v_and_b32_e32 v1, 0xff, v1
	v_lshlrev_b32_e32 v149, 6, v1
	v_lshl_or_b32 v1, v69, 8, v2
	ds_load_b128 v[119:122], v149
	ds_load_b128 v[123:126], v149 offset:1024
	ds_load_b128 v[127:130], v149 offset:2048
	;; [unrolled: 1-line block ×3, first 2 shown]
	s_clause 0x1
	s_load_b32 s2, s[2:3], 0x0
	s_load_b32 s3, s[4:5], 0x0
	v_add_co_u32 v135, s6, s6, v1
	s_delay_alu instid0(VALU_DEP_1) | instskip(SKIP_1) | instid1(VALU_DEP_1)
	v_add_co_ci_u32_e64 v136, null, s7, 0, s6
	s_waitcnt lgkmcnt(0)
	v_mad_i64_i32 v[1:2], null, s26, s17, v[135:136]
	v_mad_i64_i32 v[3:4], null, s27, s17, v[135:136]
	v_mad_i64_i32 v[5:6], null, s28, s17, v[135:136]
	v_mad_i64_i32 v[7:8], null, s29, s17, v[135:136]
	v_mad_i64_i32 v[143:144], null, s35, s17, v[135:136]
	v_mad_i64_i32 v[13:14], null, s30, s17, v[135:136]
	s_clause 0x9
	global_load_b128 v[49:52], v[1:2], off
	global_load_b128 v[53:56], v[1:2], off offset:16
	global_load_b128 v[41:44], v[3:4], off
	global_load_b128 v[45:48], v[3:4], off offset:16
	;; [unrolled: 2-line block ×5, first 2 shown]
	v_mad_i64_i32 v[145:146], null, s2, s17, v[135:136]
	v_mad_i64_i32 v[147:148], null, s3, s17, v[135:136]
	s_waitcnt vmcnt(24)
	v_wmma_f32_16x16x16_f16 v[135:142], v[17:24], v[119:126], v[111:118]
	s_waitcnt vmcnt(22)
	v_wmma_f32_16x16x16_f16 v[111:118], v[25:32], v[119:126], v[111:118]
	s_clause 0x3
	global_load_b128 v[17:20], v[143:144], off
	global_load_b128 v[21:24], v[143:144], off offset:16
	global_load_b128 v[25:28], v[145:146], off
	global_load_b128 v[29:32], v[145:146], off offset:16
	v_and_b32_e32 v119, 0xe0, v0
	s_waitcnt vmcnt(24)
	v_wmma_f32_16x16x16_f16 v[135:142], v[57:64], v[127:134], v[135:142]
	s_clause 0x1
	global_load_b128 v[57:60], v[147:148], off
	global_load_b128 v[61:64], v[147:148], off offset:16
	s_waitcnt vmcnt(24)
	v_wmma_f32_16x16x16_f16 v[111:118], v[71:78], v[127:134], v[111:118]
	ds_load_b128 v[71:74], v149 offset:4096
	ds_load_b128 v[75:78], v149 offset:5120
	v_add_nc_u32_e32 v128, s12, v119
	ds_load_b128 v[119:122], v149 offset:6144
	ds_load_b128 v[123:126], v149 offset:7168
	v_mbcnt_lo_u32_b32 v127, -1, 0
	s_waitcnt vmcnt(0) lgkmcnt(0)
	s_barrier
	v_or_b32_e32 v128, v128, v66
	buffer_gl0_inv
	v_xor_b32_e32 v129, 16, v127
	v_or_b32_e32 v130, 4, v128
	v_or_b32_e32 v131, 6, v128
	s_delay_alu instid0(VALU_DEP_3) | instskip(SKIP_4) | instid1(VALU_DEP_4)
	v_cmp_gt_i32_e32 vcc_lo, 32, v129
	v_or_b32_e32 v132, 8, v128
	v_or_b32_e32 v133, 10, v128
	v_cmp_gt_i32_e64 s3, s24, v130
	v_cmp_gt_i32_e64 s4, s24, v131
	;; [unrolled: 1-line block ×3, first 2 shown]
	v_wmma_f32_16x16x16_f16 v[135:142], v[79:86], v[71:78], v[135:142]
	v_wmma_f32_16x16x16_f16 v[111:118], v[87:94], v[71:78], v[111:118]
	v_or_b32_e32 v79, 12, v128
	v_or_b32_e32 v80, 14, v128
	v_cmp_gt_i32_e64 s6, s24, v133
	v_wmma_f32_16x16x16_f16 v[135:142], v[95:102], v[119:126], v[135:142]
	v_wmma_f32_16x16x16_f16 v[111:118], v[103:110], v[119:126], v[111:118]
	v_cndmask_b32_e32 v127, v127, v129, vcc_lo
	v_or_b32_e32 v129, 2, v128
	v_cmp_gt_i32_e32 vcc_lo, s24, v128
	s_delay_alu instid0(VALU_DEP_4) | instskip(SKIP_1) | instid1(VALU_DEP_4)
	v_dual_mul_f32 v87, s19, v136 :: v_dual_mul_f32 v94, s19, v113
	v_mul_f32_e32 v88, s19, v135
	v_cmp_gt_i32_e64 s2, s24, v129
	v_mul_f32_e32 v78, s19, v138
	v_mul_f32_e32 v86, s19, v137
	v_mul_f32_e32 v76, s19, v140
	v_cndmask_b32_e32 v88, 0xff7fffff, v88, vcc_lo
	v_cndmask_b32_e64 v87, 0xff7fffff, v87, s2
	v_dual_mul_f32 v77, s19, v139 :: v_dual_mul_f32 v90, s19, v117
	v_cndmask_b32_e64 v86, 0xff7fffff, v86, s3
	v_cndmask_b32_e64 v78, 0xff7fffff, v78, s4
	s_delay_alu instid0(VALU_DEP_4)
	v_max3_f32 v87, v88, 0xff7fffff, v87
	v_or_b32_e32 v81, 16, v128
	v_or_b32_e32 v82, 18, v128
	v_dual_mul_f32 v74, s19, v142 :: v_dual_mul_f32 v75, s19, v141
	v_mul_f32_e32 v96, s19, v111
	v_cndmask_b32_e64 v77, 0xff7fffff, v77, s5
	v_cndmask_b32_e64 v76, 0xff7fffff, v76, s6
	v_max3_f32 v78, v87, v86, v78
	v_cmp_gt_i32_e64 s7, s24, v79
	v_cmp_gt_i32_e64 s8, s24, v80
	v_or_b32_e32 v83, 20, v128
	v_or_b32_e32 v84, 22, v128
	v_mul_f32_e32 v95, s19, v112
	v_cndmask_b32_e64 v75, 0xff7fffff, v75, s7
	v_cndmask_b32_e64 v74, 0xff7fffff, v74, s8
	v_max3_f32 v76, v78, v77, v76
	v_cmp_gt_i32_e64 s9, s24, v81
	v_cmp_gt_i32_e64 s10, s24, v82
	v_or_b32_e32 v85, 24, v128
	v_or_b32_e32 v71, 26, v128
	;; [unrolled: 8-line block ×3, first 2 shown]
	v_dual_mul_f32 v91, s19, v116 :: v_dual_mul_f32 v92, s19, v115
	v_cndmask_b32_e64 v75, 0xff7fffff, v94, s11
	v_cndmask_b32_e64 v76, 0xff7fffff, v93, s12
	v_max3_f32 v74, v74, v77, v78
	v_cmp_gt_i32_e64 s13, s24, v85
	v_cmp_gt_i32_e64 s15, s24, v71
	v_mul_f32_e32 v89, s19, v118
	v_cmp_gt_i32_e64 s16, s24, v72
	v_max3_f32 v74, v74, v75, v76
	v_cndmask_b32_e64 v77, 0xff7fffff, v92, s13
	v_cndmask_b32_e64 v71, 0xff7fffff, v91, s15
	v_cmp_gt_i32_e64 s17, s24, v73
	v_cndmask_b32_e64 v72, 0xff7fffff, v90, s16
	s_delay_alu instid0(VALU_DEP_3) | instskip(SKIP_1) | instid1(VALU_DEP_4)
	v_max3_f32 v71, v74, v77, v71
	v_lshlrev_b32_e32 v74, 2, v127
	v_cndmask_b32_e64 v73, 0xff7fffff, v89, s17
	s_delay_alu instid0(VALU_DEP_1) | instskip(SKIP_3) | instid1(VALU_DEP_1)
	v_max3_f32 v71, v71, v72, v73
	ds_bpermute_b32 v72, v74, v71
	s_waitcnt lgkmcnt(0)
	v_max_f32_e32 v72, v72, v72
	v_max_f32_e32 v71, v71, v72
	s_delay_alu instid0(VALU_DEP_1) | instskip(SKIP_4) | instid1(VALU_DEP_4)
	v_fma_f32 v72, s19, v135, -v71
	v_fma_f32 v73, s19, v136, -v71
	;; [unrolled: 1-line block ×5, first 2 shown]
	v_dual_mul_f32 v72, 0x3fb8aa3b, v72 :: v_dual_mul_f32 v73, 0x3fb8aa3b, v73
	s_delay_alu instid0(VALU_DEP_3) | instskip(SKIP_1) | instid1(VALU_DEP_3)
	v_dual_mul_f32 v75, 0x3fb8aa3b, v75 :: v_dual_mul_f32 v76, 0x3fb8aa3b, v76
	v_fma_f32 v80, s19, v141, -v71
	v_exp_f32_e32 v72, v72
	s_delay_alu instid0(VALU_DEP_3) | instskip(NEXT) | instid1(VALU_DEP_2)
	v_exp_f32_e32 v73, v73
	v_exp_f32_e32 v75, v75
	;; [unrolled: 1-line block ×3, first 2 shown]
	v_mul_f32_e32 v82, 0x3fb8aa3b, v80
	s_delay_alu instid0(VALU_DEP_1) | instskip(SKIP_4) | instid1(TRANS32_DEP_3)
	v_exp_f32_e32 v84, v82
	v_cndmask_b32_e32 v79, 0, v72, vcc_lo
	v_fma_f32 v72, s19, v140, -v71
	v_mul_f32_e32 v77, 0x3fb8aa3b, v77
	v_cndmask_b32_e64 v78, 0, v73, s2
	v_cndmask_b32_e64 v81, 0, v75, s3
	s_delay_alu instid0(VALU_DEP_4) | instskip(NEXT) | instid1(VALU_DEP_4)
	v_dual_add_f32 v73, 0, v79 :: v_dual_mul_f32 v72, 0x3fb8aa3b, v72
	v_exp_f32_e32 v77, v77
	v_cndmask_b32_e64 v80, 0, v76, s4
	s_delay_alu instid0(TRANS32_DEP_2) | instskip(NEXT) | instid1(VALU_DEP_3)
	v_cndmask_b32_e64 v85, 0, v84, s7
	v_add_f32_e32 v73, v73, v78
	v_exp_f32_e32 v72, v72
	v_cmp_gt_u32_e64 s2, 16, v70
	s_delay_alu instid0(VALU_DEP_2) | instskip(NEXT) | instid1(TRANS32_DEP_2)
	v_add_f32_e32 v73, v73, v81
	v_cndmask_b32_e64 v83, 0, v77, s5
	s_delay_alu instid0(VALU_DEP_2) | instskip(SKIP_3) | instid1(VALU_DEP_1)
	v_add_f32_e32 v73, v73, v80
	s_waitcnt_depctr 0xfff
	v_cndmask_b32_e64 v82, 0, v72, s6
	v_add_f32_e32 v72, v73, v83
	v_add_f32_e32 v72, v72, v82
	s_delay_alu instid0(VALU_DEP_1)
	v_add_f32_e32 v72, v72, v85
	v_fma_f32 v76, s19, v111, -v71
	v_fma_f32 v75, s19, v142, -v71
	;; [unrolled: 1-line block ×5, first 2 shown]
	s_delay_alu instid0(VALU_DEP_4) | instskip(NEXT) | instid1(VALU_DEP_3)
	v_dual_mul_f32 v76, 0x3fb8aa3b, v76 :: v_dual_mul_f32 v75, 0x3fb8aa3b, v75
	v_mul_f32_e32 v86, 0x3fb8aa3b, v86
	s_delay_alu instid0(VALU_DEP_2) | instskip(NEXT) | instid1(VALU_DEP_2)
	v_exp_f32_e32 v76, v76
	v_exp_f32_e32 v75, v75
	s_delay_alu instid0(VALU_DEP_1) | instskip(NEXT) | instid1(TRANS32_DEP_3)
	v_exp_f32_e32 v88, v86
	v_cndmask_b32_e64 v87, 0, v76, s9
	v_fma_f32 v76, s19, v116, -v71
	v_mul_f32_e32 v77, 0x3fb8aa3b, v77
	s_waitcnt_depctr 0xfff
	v_cndmask_b32_e64 v84, 0, v75, s8
	v_fma_f32 v75, s19, v115, -v71
	v_cndmask_b32_e64 v88, 0, v88, s12
	v_mul_f32_e32 v76, 0x3fb8aa3b, v76
	v_exp_f32_e32 v77, v77
	v_add_f32_e32 v72, v72, v84
	s_delay_alu instid0(VALU_DEP_2) | instskip(NEXT) | instid1(VALU_DEP_1)
	v_exp_f32_e32 v76, v76
	v_add_f32_e32 v72, v72, v87
	s_waitcnt_depctr 0xfff
	v_cndmask_b32_e64 v86, 0, v77, s10
	v_mul_f32_e32 v73, 0x3fb8aa3b, v73
	v_fma_f32 v77, s19, v117, -v71
	v_cndmask_b32_e64 v90, 0, v76, s15
	s_delay_alu instid0(VALU_DEP_4) | instskip(NEXT) | instid1(VALU_DEP_4)
	v_add_f32_e32 v72, v72, v86
	v_exp_f32_e32 v73, v73
	s_waitcnt_depctr 0xfff
	v_cndmask_b32_e64 v89, 0, v73, s11
	s_delay_alu instid0(VALU_DEP_1) | instskip(NEXT) | instid1(VALU_DEP_1)
	v_dual_mul_f32 v75, 0x3fb8aa3b, v75 :: v_dual_add_f32 v72, v72, v89
	v_exp_f32_e32 v75, v75
	v_mul_f32_e32 v73, 0x3fb8aa3b, v77
	v_fma_f32 v77, s19, v118, -v71
	s_delay_alu instid0(VALU_DEP_3) | instskip(NEXT) | instid1(VALU_DEP_3)
	v_add_f32_e32 v72, v72, v88
	v_exp_f32_e32 v73, v73
	s_waitcnt_depctr 0xfff
	v_cndmask_b32_e64 v91, 0, v75, s13
	s_delay_alu instid0(VALU_DEP_1) | instskip(NEXT) | instid1(VALU_DEP_1)
	v_dual_mul_f32 v75, 0x3fb8aa3b, v77 :: v_dual_add_f32 v72, v72, v91
	v_exp_f32_e32 v75, v75
	v_cndmask_b32_e64 v93, 0, v73, s16
	s_delay_alu instid0(VALU_DEP_2) | instskip(NEXT) | instid1(VALU_DEP_1)
	v_add_f32_e32 v72, v72, v90
	v_add_f32_e32 v72, v72, v93
	s_waitcnt_depctr 0xfff
	v_cndmask_b32_e64 v92, 0, v75, s17
	s_delay_alu instid0(VALU_DEP_1)
	v_add_f32_e32 v72, v72, v92
	ds_bpermute_b32 v73, v74, v72
	s_and_saveexec_b32 s3, s2
	s_cbranch_execz .LBB1220_12
; %bb.11:
	v_mul_u32_u24_e32 v70, 0x44, v69
	s_waitcnt lgkmcnt(0)
	v_add_f32_e32 v72, v72, v73
	s_delay_alu instid0(VALU_DEP_2) | instskip(NEXT) | instid1(VALU_DEP_1)
	v_lshl_add_u32 v70, v68, 2, v70
	v_add_nc_u32_e32 v70, 0x4000, v70
	ds_store_2addr_b32 v70, v71, v72 offset1:136
.LBB1220_12:
	s_or_b32 exec_lo, exec_lo, s3
	v_lshlrev_b32_e32 v70, 2, v68
	s_load_b32 s35, s[0:1], 0x94
	s_waitcnt lgkmcnt(0)
	s_barrier
	buffer_gl0_inv
	v_add_nc_u32_e32 v98, 0x4000, v70
	v_cmp_eq_u32_e32 vcc_lo, 1, v69
	v_cmp_eq_u32_e64 s3, 2, v69
	v_cmp_eq_u32_e64 s4, 3, v69
	;; [unrolled: 1-line block ×3, first 2 shown]
	ds_load_2addr_b32 v[70:71], v98 offset1:17
	ds_load_2addr_b32 v[72:73], v98 offset0:34 offset1:51
	ds_load_2addr_b32 v[74:75], v98 offset0:68 offset1:85
	;; [unrolled: 1-line block ×3, first 2 shown]
	v_cmp_eq_u32_e64 s6, 5, v69
	v_cmp_eq_u32_e64 s7, 7, v69
	s_waitcnt lgkmcnt(3)
	v_max3_f32 v76, v70, 0xff7fffff, v71
	s_waitcnt lgkmcnt(2)
	s_delay_alu instid0(VALU_DEP_1) | instskip(SKIP_1) | instid1(VALU_DEP_1)
	v_max3_f32 v76, v76, v72, v73
	s_waitcnt lgkmcnt(1)
	v_max3_f32 v76, v76, v74, v75
	s_waitcnt lgkmcnt(0)
	s_delay_alu instid0(VALU_DEP_1) | instskip(NEXT) | instid1(VALU_DEP_1)
	v_max3_f32 v76, v76, v94, v95
	v_sub_f32_e32 v77, v71, v76
	ds_load_2addr_b32 v[96:97], v98 offset0:136 offset1:153
	v_sub_f32_e32 v74, v74, v76
	v_sub_f32_e32 v70, v70, v76
	;; [unrolled: 1-line block ×3, first 2 shown]
	v_dual_sub_f32 v72, v72, v76 :: v_dual_mul_f32 v77, 0x3fb8aa3b, v77
	s_delay_alu instid0(VALU_DEP_4) | instskip(NEXT) | instid1(VALU_DEP_4)
	v_mul_f32_e32 v103, 0x3fb8aa3b, v74
	v_mul_f32_e32 v99, 0x3fb8aa3b, v70
	ds_load_2addr_b32 v[70:71], v98 offset0:170 offset1:187
	v_dual_mul_f32 v101, 0x3fb8aa3b, v72 :: v_dual_mul_f32 v94, 0x3fb8aa3b, v94
	v_exp_f32_e32 v102, v77
	v_exp_f32_e32 v99, v99
	s_delay_alu instid0(VALU_DEP_1) | instskip(NEXT) | instid1(VALU_DEP_1)
	v_exp_f32_e32 v101, v101
	v_exp_f32_e32 v94, v94
	s_waitcnt lgkmcnt(1)
	s_delay_alu instid0(TRANS32_DEP_3)
	v_fma_f32 v77, v99, v96, 0
	v_sub_f32_e32 v100, v73, v76
	ds_load_2addr_b32 v[72:73], v98 offset0:204 offset1:221
	v_fmac_f32_e32 v77, v102, v97
	v_exp_f32_e32 v97, v103
	s_waitcnt lgkmcnt(1)
	s_delay_alu instid0(VALU_DEP_1)
	v_dual_fmac_f32 v77, v101, v70 :: v_dual_sub_f32 v96, v75, v76
	ds_load_2addr_b32 v[74:75], v98 offset0:238 offset1:255
	v_sub_f32_e32 v70, v95, v76
	s_waitcnt lgkmcnt(0)
	s_barrier
	v_mul_f32_e32 v96, 0x3fb8aa3b, v96
	buffer_gl0_inv
	v_exp_f32_e32 v95, v96
	v_mul_f32_e32 v100, 0x3fb8aa3b, v100
	s_delay_alu instid0(VALU_DEP_1) | instskip(SKIP_3) | instid1(VALU_DEP_2)
	v_exp_f32_e32 v100, v100
	s_waitcnt_depctr 0xfff
	v_dual_fmac_f32 v77, v100, v71 :: v_dual_mul_f32 v70, 0x3fb8aa3b, v70
	v_cndmask_b32_e32 v71, v99, v102, vcc_lo
	v_fmac_f32_e32 v77, v97, v72
	s_delay_alu instid0(VALU_DEP_3) | instskip(NEXT) | instid1(VALU_DEP_1)
	v_exp_f32_e32 v96, v70
	v_fmac_f32_e32 v77, v95, v73
	s_delay_alu instid0(VALU_DEP_1) | instskip(SKIP_2) | instid1(VALU_DEP_1)
	v_fmac_f32_e32 v77, v94, v74
	s_waitcnt_depctr 0xfff
	v_fmac_f32_e32 v77, v96, v75
	v_add_f32_e32 v74, 0x358637bd, v77
	s_delay_alu instid0(VALU_DEP_1) | instskip(SKIP_1) | instid1(VALU_DEP_2)
	v_div_scale_f32 v98, null, v74, v74, 1.0
	v_div_scale_f32 v99, vcc_lo, 1.0, v74, 1.0
	v_rcp_f32_e32 v103, v98
	s_waitcnt_depctr 0xfff
	v_fma_f32 v70, -v98, v103, 1.0
	s_delay_alu instid0(VALU_DEP_1) | instskip(SKIP_2) | instid1(VALU_DEP_2)
	v_fmac_f32_e32 v103, v70, v103
	v_cndmask_b32_e64 v70, v71, v101, s3
	v_cmp_eq_u32_e64 s3, 6, v69
	v_cndmask_b32_e64 v71, v70, v100, s4
	s_delay_alu instid0(VALU_DEP_4) | instskip(NEXT) | instid1(VALU_DEP_2)
	v_dual_mul_f32 v101, v99, v103 :: v_dual_lshlrev_b32 v70, 2, v66
	v_cndmask_b32_e64 v71, v71, v97, s5
	s_delay_alu instid0(VALU_DEP_2) | instskip(NEXT) | instid1(VALU_DEP_3)
	v_or_b32_e32 v72, 1, v70
	v_fma_f32 v100, -v98, v101, v99
	v_cmp_eq_u32_e64 s4, 1, v70
	v_cmp_eq_u32_e64 s5, 2, v70
	v_cndmask_b32_e64 v95, v71, v95, s6
	v_or_b32_e32 v71, 3, v70
	v_fmac_f32_e32 v101, v100, v103
	v_cmp_eq_u32_e64 s9, 1, v72
	v_cmp_eq_u32_e64 s12, 2, v72
	v_cndmask_b32_e64 v94, v95, v94, s3
	v_cmp_eq_u32_e64 s11, 1, v71
	v_fma_f32 v97, -v98, v101, v99
	v_cmp_eq_u32_e64 s16, 2, v71
	v_cmp_eq_u32_e64 s13, 3, v72
	v_cndmask_b32_e64 v94, v94, v96, s7
	v_cmp_eq_u32_e64 s18, 3, v71
	v_div_fmas_f32 v95, v97, v103, v101
	v_cmp_eq_u32_e32 vcc_lo, 3, v70
	v_cmp_eq_u32_e64 s3, 4, v70
	v_cmp_eq_u32_e64 s19, 4, v72
	v_cmp_eq_u32_e64 s22, 4, v71
	v_div_fixup_f32 v95, v95, v74, 1.0
	v_lshlrev_b32_e32 v73, 6, v68
	v_cmp_eq_u32_e64 s6, 5, v70
	v_cmp_eq_u32_e64 s20, 5, v72
	;; [unrolled: 1-line block ×3, first 2 shown]
	v_mul_f32_e32 v102, v94, v95
	v_lshl_or_b32 v75, v69, 11, v73
	v_or_b32_e32 v69, 2, v70
	v_cmp_eq_u32_e64 s25, 6, v72
	v_cmp_eq_u32_e64 s27, 6, v71
	v_fma_mixlo_f16 v94, v102, v79, 0
	v_fma_mixlo_f16 v95, v102, v81, 0
	;; [unrolled: 1-line block ×8, first 2 shown]
	v_lshl_or_b32 v74, v66, 4, v75
	v_fma_mixhi_f16 v94, v102, v78, 0
	v_fma_mixhi_f16 v95, v102, v80, 0
	;; [unrolled: 1-line block ×8, first 2 shown]
	ds_store_b128 v74, v[94:97]
	ds_store_b128 v74, v[98:101] offset:1024
	s_waitcnt lgkmcnt(0)
	s_barrier
	buffer_gl0_inv
	ds_load_b128 v[78:81], v75
	ds_load_b128 v[82:85], v75 offset:16
	ds_load_b128 v[86:89], v75 offset:1024
	;; [unrolled: 1-line block ×3, first 2 shown]
	v_cmp_eq_u32_e64 s10, 1, v69
	v_cmp_eq_u32_e64 s15, 2, v69
	;; [unrolled: 1-line block ×11, first 2 shown]
	s_waitcnt lgkmcnt(3)
	v_lshrrev_b32_e32 v94, 16, v78
	s_waitcnt lgkmcnt(2)
	v_lshrrev_b32_e32 v98, 16, v82
	;; [unrolled: 2-line block ×4, first 2 shown]
	v_lshrrev_b32_e32 v95, 16, v79
	v_cndmask_b32_e64 v110, v78, v94, s4
	v_cndmask_b32_e64 v111, v82, v98, s4
	;; [unrolled: 1-line block ×8, first 2 shown]
	v_lshrrev_b32_e32 v99, 16, v83
	v_cndmask_b32_e64 v94, v86, v102, s4
	v_cndmask_b32_e64 v98, v90, v106, s4
	;; [unrolled: 1-line block ×15, first 2 shown]
	v_lshrrev_b32_e32 v103, 16, v87
	v_lshrrev_b32_e32 v107, 16, v91
	v_cndmask_b32_e64 v113, v115, v83, s15
	v_cndmask_b32_e64 v82, v94, v87, s5
	;; [unrolled: 1-line block ×7, first 2 shown]
	v_cndmask_b32_e32 v90, v102, v95, vcc_lo
	v_cndmask_b32_e32 v102, v106, v99, vcc_lo
	v_cndmask_b32_e64 v106, v110, v95, s13
	v_cndmask_b32_e64 v110, v111, v99, s13
	;; [unrolled: 1-line block ×4, first 2 shown]
	v_lshrrev_b32_e32 v96, 16, v80
	v_lshrrev_b32_e32 v100, 16, v84
	v_cndmask_b32_e64 v111, v112, v95, s17
	v_cndmask_b32_e64 v112, v113, v99, s17
	v_cndmask_b32_e32 v82, v82, v103, vcc_lo
	v_cndmask_b32_e32 v83, v83, v107, vcc_lo
	v_cndmask_b32_e64 v94, v94, v103, s13
	v_cndmask_b32_e64 v90, v90, v80, s3
	v_cndmask_b32_e64 v95, v102, v84, s3
	v_cndmask_b32_e64 v99, v106, v80, s19
	v_cndmask_b32_e64 v102, v110, v84, s19
	v_cndmask_b32_e64 v78, v78, v80, s22
	v_cndmask_b32_e64 v79, v79, v84, s22
	v_lshrrev_b32_e32 v104, 16, v88
	v_cndmask_b32_e64 v106, v111, v80, s21
	v_cndmask_b32_e64 v110, v112, v84, s21
	;; [unrolled: 1-line block ×11, first 2 shown]
	v_lshrrev_b32_e32 v97, 16, v81
	v_lshrrev_b32_e32 v101, 16, v85
	v_cndmask_b32_e64 v99, v106, v96, s23
	v_cndmask_b32_e64 v102, v110, v100, s23
	;; [unrolled: 1-line block ×7, first 2 shown]
	v_lshrrev_b32_e32 v105, 16, v89
	v_cndmask_b32_e64 v80, v80, v104, s6
	v_cndmask_b32_e64 v84, v84, v81, s7
	;; [unrolled: 1-line block ×16, first 2 shown]
	v_perm_b32 v81, v79, v78, 0x5040100
	v_perm_b32 v79, v95, v85, 0x5040100
	v_cndmask_b32_e64 v78, v119, v91, s15
	v_cndmask_b32_e64 v85, v117, v91, s12
	v_cndmask_b32_e64 v96, v80, v105, s8
	v_perm_b32 v80, v94, v90, 0x5040100
	v_cndmask_b32_e64 v90, v98, v103, s17
	v_cndmask_b32_e64 v86, v86, v103, s18
	;; [unrolled: 1-line block ×5, first 2 shown]
	v_lshrrev_b32_e32 v108, 16, v92
	v_cndmask_b32_e64 v90, v90, v88, s21
	v_cndmask_b32_e64 v86, v86, v88, s22
	;; [unrolled: 1-line block ×11, first 2 shown]
	v_lshrrev_b32_e32 v109, 16, v93
	v_cndmask_b32_e64 v82, v82, v93, s7
	v_cndmask_b32_e64 v88, v88, v89, s26
	;; [unrolled: 1-line block ×12, first 2 shown]
	v_perm_b32 v78, v84, v83, 0x5040100
	v_perm_b32 v85, v87, v86, 0x5040100
	;; [unrolled: 1-line block ×5, first 2 shown]
	s_mul_i32 s8, s33, 7
	s_mov_b32 s3, exec_lo
	ds_store_b128 v74, v[78:81]
	ds_store_b128 v74, v[82:85] offset:1024
	v_cmpx_gt_u32_e32 7, v0
	s_cbranch_execz .LBB1220_14
; %bb.13:
	s_mul_i32 s4, s8, s34
	s_delay_alu instid0(SALU_CYCLE_1) | instskip(SKIP_1) | instid1(VALU_DEP_1)
	v_add3_u32 v68, s4, s31, v68
	s_load_b128 s[4:7], s[0:1], 0x58
	v_mad_u64_u32 v[78:79], null, v68, s35, s[14:15]
	s_delay_alu instid0(VALU_DEP_1) | instskip(NEXT) | instid1(VALU_DEP_1)
	v_ashrrev_i32_e32 v79, 31, v78
	v_lshlrev_b64 v[78:79], 2, v[78:79]
	s_waitcnt lgkmcnt(0)
	s_delay_alu instid0(VALU_DEP_1) | instskip(NEXT) | instid1(VALU_DEP_2)
	v_add_co_u32 v80, vcc_lo, s6, v78
	v_add_co_ci_u32_e32 v81, vcc_lo, s7, v79, vcc_lo
	v_add_co_u32 v78, vcc_lo, s4, v78
	v_add_co_ci_u32_e32 v79, vcc_lo, s5, v79, vcc_lo
	global_store_b32 v[80:81], v76, off
	global_store_b32 v[78:79], v77, off
.LBB1220_14:
	s_or_b32 exec_lo, exec_lo, s3
	s_waitcnt lgkmcnt(0)
	s_waitcnt_vscnt null, 0x0
	s_barrier
	buffer_gl0_inv
	ds_load_b128 v[84:87], v73
	ds_load_b128 v[88:91], v73 offset:16
	ds_load_b128 v[96:99], v73 offset:2064
	ds_load_b128 v[92:95], v73 offset:2048
	ds_load_b128 v[104:107], v73 offset:4112
	ds_load_b128 v[100:103], v73 offset:4096
	v_cmp_eq_u32_e32 vcc_lo, 1, v70
	v_mov_b32_e32 v76, 0
	ds_load_b128 v[112:115], v73 offset:6160
	ds_load_b128 v[108:111], v73 offset:6144
	;; [unrolled: 1-line block ×4, first 2 shown]
	v_cmp_eq_u32_e64 s4, 1, v69
	v_cmp_eq_u32_e64 s3, 1, v72
	;; [unrolled: 1-line block ×3, first 2 shown]
	v_mov_b32_e32 v77, v76
	v_mov_b32_e32 v78, v76
	;; [unrolled: 1-line block ×7, first 2 shown]
	v_cmp_eq_u32_e64 s6, 3, v72
	v_cmp_eq_u32_e64 s7, 7, v72
	s_waitcnt lgkmcnt(8)
	s_delay_alu instid0(VALU_DEP_3)
	v_wmma_f32_16x16x16_f16 v[76:83], v[49:56], v[84:91], v[76:83]
	ds_load_b128 v[53:56], v73 offset:10256
	ds_load_b128 v[49:52], v73 offset:10240
	s_waitcnt lgkmcnt(8)
	v_wmma_f32_16x16x16_f16 v[76:83], v[41:48], v[92:99], v[76:83]
	ds_load_b128 v[45:48], v73 offset:12304
	ds_load_b128 v[41:44], v73 offset:12288
	s_waitcnt lgkmcnt(8)
	;; [unrolled: 4-line block ×3, first 2 shown]
	s_barrier
	buffer_gl0_inv
	v_wmma_f32_16x16x16_f16 v[76:83], v[1:8], v[108:115], v[76:83]
	s_delay_alu instid0(VALU_DEP_1) | instskip(NEXT) | instid1(VALU_DEP_1)
	v_wmma_f32_16x16x16_f16 v[76:83], v[9:16], v[116:123], v[76:83]
	v_wmma_f32_16x16x16_f16 v[76:83], v[17:24], v[49:56], v[76:83]
	s_delay_alu instid0(VALU_DEP_1) | instskip(NEXT) | instid1(VALU_DEP_1)
	v_wmma_f32_16x16x16_f16 v[76:83], v[25:32], v[41:48], v[76:83]
	v_wmma_f32_16x16x16_f16 v[76:83], v[57:64], v[33:40], v[76:83]
	s_delay_alu instid0(VALU_DEP_1) | instskip(NEXT) | instid1(VALU_DEP_2)
	v_cvt_f16_f32_e32 v1, v76
	v_cvt_f16_f32_e32 v2, v77
	s_delay_alu instid0(VALU_DEP_3) | instskip(NEXT) | instid1(VALU_DEP_4)
	v_cvt_f16_f32_e32 v3, v78
	v_cvt_f16_f32_e32 v4, v79
	;; [unrolled: 1-line block ×6, first 2 shown]
	v_pack_b32_f16 v1, v1, v2
	v_pack_b32_f16 v2, v3, v4
	;; [unrolled: 1-line block ×3, first 2 shown]
	s_delay_alu instid0(VALU_DEP_4)
	v_pack_b32_f16 v4, v7, v8
	ds_store_b128 v74, v[1:4]
	s_waitcnt lgkmcnt(0)
	s_barrier
	buffer_gl0_inv
	ds_load_b128 v[1:4], v75
	ds_load_b128 v[5:8], v75 offset:16
	s_waitcnt lgkmcnt(1)
	v_lshrrev_b32_e32 v9, 16, v1
	s_waitcnt lgkmcnt(0)
	v_lshrrev_b32_e32 v13, 16, v5
	v_lshrrev_b32_e32 v10, 16, v2
	;; [unrolled: 1-line block ×4, first 2 shown]
	v_cndmask_b32_e32 v17, v1, v9, vcc_lo
	v_cndmask_b32_e32 v18, v5, v13, vcc_lo
	v_cndmask_b32_e64 v21, v1, v9, s4
	v_cmp_eq_u32_e32 vcc_lo, 1, v71
	v_cndmask_b32_e64 v22, v5, v13, s4
	v_cmp_eq_u32_e64 s4, 2, v70
	v_cndmask_b32_e64 v19, v1, v9, s3
	v_cndmask_b32_e64 v20, v5, v13, s3
	v_cndmask_b32_e32 v1, v1, v9, vcc_lo
	v_cmp_eq_u32_e64 s3, 2, v71
	v_cndmask_b32_e32 v5, v5, v13, vcc_lo
	v_cndmask_b32_e64 v9, v17, v2, s4
	v_cmp_eq_u32_e32 vcc_lo, 3, v70
	v_cndmask_b32_e64 v13, v18, v6, s4
	v_cmp_eq_u32_e64 s4, 2, v69
	v_cndmask_b32_e64 v17, v19, v2, s5
	v_cndmask_b32_e64 v18, v20, v6, s5
	v_cmp_eq_u32_e64 s5, 3, v69
	v_cndmask_b32_e64 v1, v1, v2, s3
	v_cndmask_b32_e64 v19, v21, v2, s4
	;; [unrolled: 1-line block ×4, first 2 shown]
	v_cndmask_b32_e32 v5, v9, v10, vcc_lo
	v_cndmask_b32_e32 v6, v13, v14, vcc_lo
	v_cmp_eq_u32_e32 vcc_lo, 3, v71
	v_cndmask_b32_e64 v9, v17, v10, s6
	v_cndmask_b32_e64 v13, v18, v14, s6
	;; [unrolled: 1-line block ×3, first 2 shown]
	v_cmp_eq_u32_e64 s4, 4, v70
	v_cndmask_b32_e32 v1, v1, v10, vcc_lo
	v_cndmask_b32_e32 v2, v2, v14, vcc_lo
	v_cmp_eq_u32_e32 vcc_lo, 4, v72
	v_lshrrev_b32_e32 v15, 16, v7
	v_lshrrev_b32_e32 v16, 16, v8
	v_cndmask_b32_e64 v17, v19, v10, s5
	v_cmp_eq_u32_e64 s3, 4, v71
	v_cndmask_b32_e64 v5, v5, v3, s4
	v_cndmask_b32_e64 v6, v6, v7, s4
	v_cndmask_b32_e32 v9, v9, v3, vcc_lo
	v_cmp_eq_u32_e64 s4, 5, v72
	v_cndmask_b32_e32 v10, v13, v7, vcc_lo
	v_cmp_eq_u32_e32 vcc_lo, 4, v69
	v_cmp_eq_u32_e64 s5, 5, v70
	v_cndmask_b32_e64 v2, v2, v7, s3
	v_cndmask_b32_e64 v9, v9, v11, s4
	;; [unrolled: 1-line block ×3, first 2 shown]
	v_cndmask_b32_e32 v13, v17, v3, vcc_lo
	v_cmp_eq_u32_e64 s4, 5, v69
	v_cndmask_b32_e32 v14, v18, v7, vcc_lo
	v_cndmask_b32_e64 v1, v1, v3, s3
	v_cmp_eq_u32_e32 vcc_lo, 5, v71
	v_lshrrev_b32_e32 v12, 16, v4
	v_cndmask_b32_e64 v13, v13, v11, s4
	v_cndmask_b32_e64 v3, v14, v15, s4
	v_cmp_eq_u32_e64 s4, 6, v71
	v_cndmask_b32_e32 v1, v1, v11, vcc_lo
	v_cndmask_b32_e64 v5, v5, v11, s5
	v_cmp_eq_u32_e64 s6, 6, v70
	v_cndmask_b32_e64 v6, v6, v15, s5
	v_cmp_eq_u32_e64 s5, 6, v72
	v_cmp_eq_u32_e64 s3, 6, v69
	v_cndmask_b32_e64 v1, v1, v4, s4
	v_cndmask_b32_e32 v2, v2, v15, vcc_lo
	v_cmp_eq_u32_e32 vcc_lo, 7, v71
	v_cndmask_b32_e64 v5, v5, v4, s6
	v_cndmask_b32_e64 v9, v9, v4, s5
	;; [unrolled: 1-line block ×3, first 2 shown]
	v_cmp_eq_u32_e64 s6, 7, v70
	v_cndmask_b32_e32 v1, v1, v12, vcc_lo
	v_cndmask_b32_e64 v7, v13, v4, s3
	v_cndmask_b32_e64 v3, v3, v8, s3
	;; [unrolled: 1-line block ×3, first 2 shown]
	v_cmp_eq_u32_e64 s3, 7, v69
	v_cndmask_b32_e64 v4, v10, v8, s5
	v_cndmask_b32_e64 v5, v5, v12, s6
	v_cndmask_b32_e64 v9, v9, v12, s7
	v_cndmask_b32_e32 v2, v2, v16, vcc_lo
	v_cndmask_b32_e64 v7, v7, v12, s3
	v_cndmask_b32_e64 v3, v3, v16, s3
	;; [unrolled: 1-line block ×4, first 2 shown]
	v_perm_b32 v4, v2, v1, 0x5040100
	s_mov_b32 s3, exec_lo
	v_perm_b32 v3, v3, v7, 0x5040100
	v_perm_b32 v2, v8, v9, 0x5040100
	;; [unrolled: 1-line block ×3, first 2 shown]
	ds_store_b128 v74, v[1:4]
	s_waitcnt lgkmcnt(0)
	s_barrier
	buffer_gl0_inv
	v_cmpx_gt_u32_e32 32, v0
	s_cbranch_execz .LBB1220_2
; %bb.15:
	s_load_b64 s[4:5], s[0:1], 0x68
	v_lshlrev_b32_e32 v0, 10, v0
	v_add_nc_u32_e32 v2, s31, v66
	v_lshlrev_b32_e32 v3, 4, v67
	s_lshl_b32 s0, s35, 7
	s_delay_alu instid0(SALU_CYCLE_1) | instskip(NEXT) | instid1(VALU_DEP_2)
	s_mul_i32 s1, s0, s34
	v_mul_lo_u32 v1, v2, s0
	s_delay_alu instid0(VALU_DEP_2)
	v_and_or_b32 v0, 0x3800, v0, v3
	v_add_nc_u32_e32 v3, 2, v2
	s_mul_i32 s6, s1, s8
	v_add_nc_u32_e32 v4, 4, v2
	s_ashr_i32 s7, s6, 31
	v_lshl_or_b32 v11, v66, 6, v0
	s_lshl_b64 s[6:7], s[6:7], 1
	v_mul_lo_u32 v15, v3, s0
	v_mul_lo_u32 v17, v4, s0
	v_ashrrev_i32_e32 v2, 31, v1
	ds_load_b128 v[3:6], v11
	ds_load_b128 v[7:10], v11 offset:128
	ds_load_b128 v[11:14], v11 offset:256
	s_waitcnt lgkmcnt(0)
	s_add_u32 s1, s4, s6
	s_addc_u32 s3, s5, s7
	s_lshl_b32 s4, s14, 7
	v_ashrrev_i32_e32 v16, 31, v15
	s_ashr_i32 s5, s4, 31
	v_lshlrev_b64 v[19:20], 1, v[1:2]
	s_lshl_b64 s[4:5], s[4:5], 1
	v_ashrrev_i32_e32 v18, 31, v17
	s_add_u32 s1, s1, s4
	s_addc_u32 s3, s3, s5
	v_add_co_u32 v1, s1, s1, v65
	s_delay_alu instid0(VALU_DEP_1) | instskip(SKIP_1) | instid1(VALU_DEP_3)
	v_add_co_ci_u32_e64 v2, null, s3, 0, s1
	v_lshlrev_b64 v[15:16], 1, v[15:16]
	v_add_co_u32 v19, vcc_lo, v1, v19
	v_lshlrev_b64 v[17:18], 1, v[17:18]
	s_delay_alu instid0(VALU_DEP_4) | instskip(NEXT) | instid1(VALU_DEP_4)
	v_add_co_ci_u32_e32 v20, vcc_lo, v2, v20, vcc_lo
	v_add_co_u32 v15, vcc_lo, v1, v15
	v_add_co_ci_u32_e32 v16, vcc_lo, v2, v16, vcc_lo
	s_delay_alu instid0(VALU_DEP_4)
	v_add_co_u32 v17, vcc_lo, v1, v17
	v_add_co_ci_u32_e32 v18, vcc_lo, v2, v18, vcc_lo
	s_clause 0x2
	global_store_b128 v[19:20], v[3:6], off
	global_store_b128 v[15:16], v[7:10], off
	;; [unrolled: 1-line block ×3, first 2 shown]
	s_and_b32 exec_lo, exec_lo, s2
	s_cbranch_execz .LBB1220_2
; %bb.16:
	ds_load_b128 v[3:6], v0 offset:384
	s_add_i32 s1, s31, 6
	s_delay_alu instid0(SALU_CYCLE_1) | instskip(NEXT) | instid1(SALU_CYCLE_1)
	s_mul_i32 s0, s1, s0
	s_ashr_i32 s1, s0, 31
	s_delay_alu instid0(SALU_CYCLE_1) | instskip(NEXT) | instid1(SALU_CYCLE_1)
	s_lshl_b64 s[0:1], s[0:1], 1
	v_add_co_u32 v0, vcc_lo, v1, s0
	v_add_co_ci_u32_e32 v1, vcc_lo, s1, v2, vcc_lo
	s_waitcnt lgkmcnt(0)
	global_store_b128 v[0:1], v[3:6], off
	s_nop 0
	s_sendmsg sendmsg(MSG_DEALLOC_VGPRS)
	s_endpgm
	.section	.rodata,"a",@progbits
	.p2align	6, 0x0
	.amdhsa_kernel _Z39paged_attention_ll4mi_QKV_mfma16_kernelIDF16_hLN4vllm18Fp8KVCacheDataTypeE1EhLi16ELi128ELi256ELb1ELi7EL8MFMAType0EEvPKT_PKT0_S8_ifPKiSA_SA_iPKfiiiPfSD_PS3_PT2_iSC_SC_
		.amdhsa_group_segment_fixed_size 17472
		.amdhsa_private_segment_fixed_size 0
		.amdhsa_kernarg_size 400
		.amdhsa_user_sgpr_count 13
		.amdhsa_user_sgpr_dispatch_ptr 0
		.amdhsa_user_sgpr_queue_ptr 0
		.amdhsa_user_sgpr_kernarg_segment_ptr 1
		.amdhsa_user_sgpr_dispatch_id 0
		.amdhsa_user_sgpr_private_segment_size 0
		.amdhsa_wavefront_size32 1
		.amdhsa_uses_dynamic_stack 0
		.amdhsa_enable_private_segment 0
		.amdhsa_system_sgpr_workgroup_id_x 1
		.amdhsa_system_sgpr_workgroup_id_y 1
		.amdhsa_system_sgpr_workgroup_id_z 1
		.amdhsa_system_sgpr_workgroup_info 0
		.amdhsa_system_vgpr_workitem_id 0
		.amdhsa_next_free_vgpr 150
		.amdhsa_next_free_sgpr 36
		.amdhsa_reserve_vcc 1
		.amdhsa_float_round_mode_32 0
		.amdhsa_float_round_mode_16_64 0
		.amdhsa_float_denorm_mode_32 3
		.amdhsa_float_denorm_mode_16_64 3
		.amdhsa_dx10_clamp 1
		.amdhsa_ieee_mode 1
		.amdhsa_fp16_overflow 0
		.amdhsa_workgroup_processor_mode 1
		.amdhsa_memory_ordered 1
		.amdhsa_forward_progress 0
		.amdhsa_shared_vgpr_count 0
		.amdhsa_exception_fp_ieee_invalid_op 0
		.amdhsa_exception_fp_denorm_src 0
		.amdhsa_exception_fp_ieee_div_zero 0
		.amdhsa_exception_fp_ieee_overflow 0
		.amdhsa_exception_fp_ieee_underflow 0
		.amdhsa_exception_fp_ieee_inexact 0
		.amdhsa_exception_int_div_zero 0
	.end_amdhsa_kernel
	.section	.text._Z39paged_attention_ll4mi_QKV_mfma16_kernelIDF16_hLN4vllm18Fp8KVCacheDataTypeE1EhLi16ELi128ELi256ELb1ELi7EL8MFMAType0EEvPKT_PKT0_S8_ifPKiSA_SA_iPKfiiiPfSD_PS3_PT2_iSC_SC_,"axG",@progbits,_Z39paged_attention_ll4mi_QKV_mfma16_kernelIDF16_hLN4vllm18Fp8KVCacheDataTypeE1EhLi16ELi128ELi256ELb1ELi7EL8MFMAType0EEvPKT_PKT0_S8_ifPKiSA_SA_iPKfiiiPfSD_PS3_PT2_iSC_SC_,comdat
.Lfunc_end1220:
	.size	_Z39paged_attention_ll4mi_QKV_mfma16_kernelIDF16_hLN4vllm18Fp8KVCacheDataTypeE1EhLi16ELi128ELi256ELb1ELi7EL8MFMAType0EEvPKT_PKT0_S8_ifPKiSA_SA_iPKfiiiPfSD_PS3_PT2_iSC_SC_, .Lfunc_end1220-_Z39paged_attention_ll4mi_QKV_mfma16_kernelIDF16_hLN4vllm18Fp8KVCacheDataTypeE1EhLi16ELi128ELi256ELb1ELi7EL8MFMAType0EEvPKT_PKT0_S8_ifPKiSA_SA_iPKfiiiPfSD_PS3_PT2_iSC_SC_
                                        ; -- End function
	.section	.AMDGPU.csdata,"",@progbits
; Kernel info:
; codeLenInByte = 6692
; NumSgprs: 38
; NumVgprs: 150
; ScratchSize: 0
; MemoryBound: 0
; FloatMode: 240
; IeeeMode: 1
; LDSByteSize: 17472 bytes/workgroup (compile time only)
; SGPRBlocks: 4
; VGPRBlocks: 18
; NumSGPRsForWavesPerEU: 38
; NumVGPRsForWavesPerEU: 150
; Occupancy: 9
; WaveLimiterHint : 1
; COMPUTE_PGM_RSRC2:SCRATCH_EN: 0
; COMPUTE_PGM_RSRC2:USER_SGPR: 13
; COMPUTE_PGM_RSRC2:TRAP_HANDLER: 0
; COMPUTE_PGM_RSRC2:TGID_X_EN: 1
; COMPUTE_PGM_RSRC2:TGID_Y_EN: 1
; COMPUTE_PGM_RSRC2:TGID_Z_EN: 1
; COMPUTE_PGM_RSRC2:TIDIG_COMP_CNT: 0
	.section	.text._Z39paged_attention_ll4mi_QKV_mfma16_kernelIDF16_hLN4vllm18Fp8KVCacheDataTypeE1EhLi16ELi128ELi256ELb1ELi8EL8MFMAType0EEvPKT_PKT0_S8_ifPKiSA_SA_iPKfiiiPfSD_PS3_PT2_iSC_SC_,"axG",@progbits,_Z39paged_attention_ll4mi_QKV_mfma16_kernelIDF16_hLN4vllm18Fp8KVCacheDataTypeE1EhLi16ELi128ELi256ELb1ELi8EL8MFMAType0EEvPKT_PKT0_S8_ifPKiSA_SA_iPKfiiiPfSD_PS3_PT2_iSC_SC_,comdat
	.protected	_Z39paged_attention_ll4mi_QKV_mfma16_kernelIDF16_hLN4vllm18Fp8KVCacheDataTypeE1EhLi16ELi128ELi256ELb1ELi8EL8MFMAType0EEvPKT_PKT0_S8_ifPKiSA_SA_iPKfiiiPfSD_PS3_PT2_iSC_SC_ ; -- Begin function _Z39paged_attention_ll4mi_QKV_mfma16_kernelIDF16_hLN4vllm18Fp8KVCacheDataTypeE1EhLi16ELi128ELi256ELb1ELi8EL8MFMAType0EEvPKT_PKT0_S8_ifPKiSA_SA_iPKfiiiPfSD_PS3_PT2_iSC_SC_
	.globl	_Z39paged_attention_ll4mi_QKV_mfma16_kernelIDF16_hLN4vllm18Fp8KVCacheDataTypeE1EhLi16ELi128ELi256ELb1ELi8EL8MFMAType0EEvPKT_PKT0_S8_ifPKiSA_SA_iPKfiiiPfSD_PS3_PT2_iSC_SC_
	.p2align	8
	.type	_Z39paged_attention_ll4mi_QKV_mfma16_kernelIDF16_hLN4vllm18Fp8KVCacheDataTypeE1EhLi16ELi128ELi256ELb1ELi8EL8MFMAType0EEvPKT_PKT0_S8_ifPKiSA_SA_iPKfiiiPfSD_PS3_PT2_iSC_SC_,@function
_Z39paged_attention_ll4mi_QKV_mfma16_kernelIDF16_hLN4vllm18Fp8KVCacheDataTypeE1EhLi16ELi128ELi256ELb1ELi8EL8MFMAType0EEvPKT_PKT0_S8_ifPKiSA_SA_iPKfiiiPfSD_PS3_PT2_iSC_SC_: ; @_Z39paged_attention_ll4mi_QKV_mfma16_kernelIDF16_hLN4vllm18Fp8KVCacheDataTypeE1EhLi16ELi128ELi256ELb1ELi8EL8MFMAType0EEvPKT_PKT0_S8_ifPKiSA_SA_iPKfiiiPfSD_PS3_PT2_iSC_SC_
; %bb.0:
	s_load_b64 s[4:5], s[0:1], 0x30
	s_mov_b32 s30, s13
	s_waitcnt lgkmcnt(0)
	s_cmp_lg_u64 s[4:5], 0
	s_cselect_b32 s13, -1, 0
	s_ashr_i32 s31, s30, 31
	s_cmp_eq_u64 s[4:5], 0
	s_cbranch_scc1 .LBB1221_3
; %bb.1:
	s_lshl_b64 s[2:3], s[30:31], 2
	s_delay_alu instid0(SALU_CYCLE_1) | instskip(SKIP_4) | instid1(SALU_CYCLE_1)
	s_add_u32 s2, s4, s2
	s_addc_u32 s3, s5, s3
	s_load_b64 s[2:3], s[2:3], 0x0
	s_waitcnt lgkmcnt(0)
	s_sub_i32 s2, s3, s2
	s_cmp_eq_u32 s2, 1
	s_cselect_b32 s2, -1, 0
	s_delay_alu instid0(SALU_CYCLE_1)
	s_and_not1_b32 vcc_lo, exec_lo, s2
	s_cbranch_vccz .LBB1221_4
.LBB1221_2:
	s_endpgm
.LBB1221_3:
.LBB1221_4:
	s_load_b64 s[2:3], s[0:1], 0x28
	s_lshl_b64 s[6:7], s[30:31], 2
	s_waitcnt lgkmcnt(0)
	s_add_u32 s2, s2, s6
	s_addc_u32 s3, s3, s7
	s_lshl_b32 s12, s14, 8
	s_load_b32 s17, s[2:3], 0x0
	s_waitcnt lgkmcnt(0)
	s_cmp_ge_i32 s12, s17
	s_cbranch_scc1 .LBB1221_2
; %bb.5:
	s_clause 0x1
	s_load_b128 s[8:11], s[0:1], 0x8
	s_load_b64 s[2:3], s[0:1], 0x20
	s_and_not1_b32 vcc_lo, exec_lo, s13
	s_cbranch_vccnz .LBB1221_7
; %bb.6:
	s_add_u32 s4, s4, s6
	s_addc_u32 s5, s5, s7
	s_load_b32 s13, s[4:5], 0x0
	s_branch .LBB1221_8
.LBB1221_7:
	s_mov_b32 s13, s30
.LBB1221_8:
	s_load_b128 s[4:7], s[0:1], 0x48
	v_and_b32_e32 v69, 15, v0
	v_lshrrev_b32_e32 v68, 5, v0
	v_and_b32_e32 v70, 31, v0
	v_and_b32_e32 v67, 1, v0
	v_bfe_u32 v66, v0, 4, 1
	v_lshlrev_b32_e32 v1, 3, v69
	s_lshl_b32 s31, s15, 3
	s_waitcnt lgkmcnt(0)
	s_mov_b32 s7, exec_lo
	s_delay_alu instid0(VALU_DEP_1)
	v_lshlrev_b32_e32 v65, 1, v1
	v_cmpx_gt_u32_e32 0x80, v0
	s_cbranch_execz .LBB1221_10
; %bb.9:
	v_lshl_or_b32 v5, v68, 1, v66
	s_load_b64 s[18:19], s[0:1], 0x0
	s_mul_hi_i32 s21, s13, s4
	s_mul_i32 s20, s13, s4
	v_lshlrev_b32_e32 v6, 10, v69
	v_or_b32_e32 v1, s31, v5
	s_lshl_b64 s[20:21], s[20:21], 1
	v_lshlrev_b32_e32 v5, 6, v5
	v_lshlrev_b32_e32 v7, 10, v67
	v_and_b32_e32 v6, 0x3800, v6
	v_lshlrev_b32_e32 v1, 7, v1
	s_delay_alu instid0(VALU_DEP_2) | instskip(NEXT) | instid1(VALU_DEP_2)
	v_or3_b32 v5, v6, v7, v5
	v_ashrrev_i32_e32 v2, 31, v1
	s_delay_alu instid0(VALU_DEP_1) | instskip(SKIP_3) | instid1(VALU_DEP_1)
	v_lshlrev_b64 v[1:2], 1, v[1:2]
	s_waitcnt lgkmcnt(0)
	s_add_u32 s4, s18, s20
	s_addc_u32 s13, s19, s21
	v_add_co_u32 v1, vcc_lo, s4, v1
	s_delay_alu instid0(VALU_DEP_2) | instskip(NEXT) | instid1(VALU_DEP_2)
	v_add_co_ci_u32_e32 v2, vcc_lo, s13, v2, vcc_lo
	v_add_co_u32 v1, vcc_lo, v1, v65
	s_delay_alu instid0(VALU_DEP_2)
	v_add_co_ci_u32_e32 v2, vcc_lo, 0, v2, vcc_lo
	global_load_b128 v[1:4], v[1:2], off
	s_waitcnt vmcnt(0)
	ds_store_b128 v5, v[1:4]
.LBB1221_10:
	s_or_b32 exec_lo, exec_lo, s7
	v_and_b32_e32 v1, 0xef, v0
	s_add_i32 s4, s17, 15
	s_clause 0x1
	s_load_b32 s7, s[0:1], 0x38
	s_load_b32 s33, s[0:1], 0x98
	s_ashr_i32 s13, s4, 31
	v_add_nc_u32_e32 v1, s12, v1
	s_lshr_b32 s13, s13, 28
	s_load_b32 s18, s[0:1], 0x1c
	s_add_i32 s4, s4, s13
	s_waitcnt lgkmcnt(0)
	v_ashrrev_i32_e32 v2, 31, v1
	v_or_b32_e32 v3, 16, v1
	s_ashr_i32 s4, s4, 4
	v_cmp_gt_i32_e32 vcc_lo, s17, v1
	s_add_i32 s4, s4, -1
	v_lshrrev_b32_e32 v2, 28, v2
	s_barrier
	buffer_gl0_inv
	s_mul_i32 s15, s15, s6
	v_add_nc_u32_e32 v4, v1, v2
	s_mul_i32 s20, s30, s7
	s_delay_alu instid0(SALU_CYCLE_1) | instskip(NEXT) | instid1(VALU_DEP_1)
	s_ashr_i32 s21, s20, 31
	v_ashrrev_i32_e32 v4, 4, v4
	v_add_nc_u32_e32 v2, v3, v2
	s_lshl_b64 s[20:21], s[20:21], 2
	s_delay_alu instid0(SALU_CYCLE_1) | instskip(NEXT) | instid1(VALU_DEP_2)
	s_add_u32 s13, s2, s20
	v_cndmask_b32_e32 v1, s4, v4, vcc_lo
	s_delay_alu instid0(VALU_DEP_2)
	v_ashrrev_i32_e32 v2, 4, v2
	v_cmp_gt_i32_e32 vcc_lo, s17, v3
	s_addc_u32 s16, s3, s21
	s_ashr_i32 s19, s15, 31
	s_add_u32 s26, s8, s15
	s_addc_u32 s27, s9, s19
	v_cndmask_b32_e32 v3, s4, v2, vcc_lo
	v_ashrrev_i32_e32 v2, 31, v1
	s_lshl_b32 s2, s14, 4
	s_delay_alu instid0(SALU_CYCLE_1) | instskip(NEXT) | instid1(VALU_DEP_2)
	s_ashr_i32 s3, s2, 31
	v_ashrrev_i32_e32 v4, 31, v3
	s_delay_alu instid0(VALU_DEP_2) | instskip(SKIP_1) | instid1(SALU_CYCLE_1)
	v_lshlrev_b64 v[1:2], 2, v[1:2]
	s_lshl_b64 s[2:3], s[2:3], 2
	s_add_u32 s2, s13, s2
	s_delay_alu instid0(VALU_DEP_2) | instskip(SKIP_1) | instid1(VALU_DEP_2)
	v_lshlrev_b64 v[3:4], 2, v[3:4]
	s_addc_u32 s3, s16, s3
	v_add_co_u32 v1, vcc_lo, s13, v1
	v_add_co_ci_u32_e32 v2, vcc_lo, s16, v2, vcc_lo
	s_delay_alu instid0(VALU_DEP_3) | instskip(NEXT) | instid1(VALU_DEP_4)
	v_add_co_u32 v3, vcc_lo, s13, v3
	v_add_co_ci_u32_e32 v4, vcc_lo, s16, v4, vcc_lo
	s_clause 0x1
	global_load_b32 v5, v[1:2], off
	global_load_b32 v3, v[3:4], off
	s_or_b32 s6, s12, 32
	s_delay_alu instid0(SALU_CYCLE_1) | instskip(SKIP_2) | instid1(SALU_CYCLE_1)
	s_ashr_i32 s7, s6, 4
	s_cmp_lt_i32 s6, s17
	s_cselect_b32 s6, s7, s4
	s_ashr_i32 s7, s6, 31
	s_delay_alu instid0(SALU_CYCLE_1) | instskip(NEXT) | instid1(SALU_CYCLE_1)
	s_lshl_b64 s[6:7], s[6:7], 2
	s_add_u32 s6, s13, s6
	s_addc_u32 s7, s16, s7
	s_or_b32 s8, s12, 64
	s_delay_alu instid0(SALU_CYCLE_1) | instskip(SKIP_2) | instid1(SALU_CYCLE_1)
	s_ashr_i32 s9, s8, 4
	s_cmp_lt_i32 s8, s17
	s_cselect_b32 s8, s9, s4
	s_ashr_i32 s9, s8, 31
	s_delay_alu instid0(SALU_CYCLE_1) | instskip(NEXT) | instid1(SALU_CYCLE_1)
	s_lshl_b64 s[8:9], s[8:9], 2
	s_add_u32 s8, s13, s8
	s_addc_u32 s9, s16, s9
	;; [unrolled: 10-line block ×5, first 2 shown]
	s_clause 0x5
	s_load_b32 s28, s[2:3], 0x0
	s_load_b32 s29, s[6:7], 0x0
	s_load_b32 s8, s[8:9], 0x0
	s_load_b32 s9, s[20:21], 0x0
	s_load_b32 s34, s[22:23], 0x0
	s_load_b32 s35, s[24:25], 0x0
	s_mov_b32 s20, 0
	s_or_b32 s2, s12, 0xc0
	s_mov_b32 s21, s20
	s_mov_b32 s22, s20
	;; [unrolled: 1-line block ×5, first 2 shown]
	v_lshlrev_b32_e32 v1, 4, v0
	s_ashr_i32 s3, s2, 4
	s_cmp_lt_i32 s2, s17
	s_cselect_b32 s2, s3, s4
	s_delay_alu instid0(VALU_DEP_1) | instskip(SKIP_1) | instid1(SALU_CYCLE_1)
	v_and_b32_e32 v1, 0xf0, v1
	s_ashr_i32 s3, s2, 31
	s_lshl_b64 s[2:3], s[2:3], 2
	s_delay_alu instid0(VALU_DEP_1) | instskip(NEXT) | instid1(VALU_DEP_1)
	v_add_co_u32 v1, s26, s26, v1
	v_add_co_ci_u32_e64 v2, null, s27, 0, s26
	s_add_u32 s2, s13, s2
	s_addc_u32 s3, s16, s3
	s_or_b32 s6, s12, 0xe0
	s_mov_b32 s27, s20
	s_ashr_i32 s7, s6, 4
	s_cmp_lt_i32 s6, s17
	s_mov_b32 s26, s20
	s_cselect_b32 s6, s7, s4
	v_mov_b32_e32 v102, s27
	v_mov_b32_e32 v96, s21
	s_ashr_i32 s7, s6, 31
	v_mov_b32_e32 v101, s26
	s_lshl_b64 s[6:7], s[6:7], 2
	v_dual_mov_b32 v100, s25 :: v_dual_mov_b32 v99, s24
	v_dual_mov_b32 v98, s23 :: v_dual_mov_b32 v97, s22
	v_mov_b32_e32 v95, s20
	s_waitcnt vmcnt(1)
	v_mad_i64_i32 v[33:34], null, v5, s5, v[1:2]
	s_waitcnt vmcnt(0)
	v_mad_i64_i32 v[35:36], null, v3, s5, v[1:2]
	s_clause 0xf
	global_load_b128 v[1:4], v[33:34], off
	global_load_b128 v[5:8], v[33:34], off offset:256
	global_load_b128 v[9:12], v[35:36], off
	global_load_b128 v[13:16], v[35:36], off offset:256
	global_load_b128 v[17:20], v[33:34], off offset:512
	;; [unrolled: 1-line block ×13, first 2 shown]
	v_and_b32_e32 v33, 7, v0
	v_lshlrev_b32_e32 v34, 4, v69
	s_delay_alu instid0(VALU_DEP_2) | instskip(NEXT) | instid1(VALU_DEP_2)
	v_lshlrev_b32_e32 v139, 6, v33
	v_lshl_or_b32 v41, v68, 8, v34
	ds_load_b128 v[33:36], v139
	ds_load_b128 v[37:40], v139 offset:1024
	ds_load_b128 v[103:106], v139 offset:2048
	ds_load_b128 v[107:110], v139 offset:3072
	s_load_b32 s4, s[2:3], 0x0
	s_add_u32 s2, s13, s6
	s_addc_u32 s3, s16, s7
	ds_load_b128 v[111:114], v139 offset:4096
	ds_load_b128 v[115:118], v139 offset:5120
	s_load_b32 s2, s[2:3], 0x0
	s_add_u32 s6, s10, s15
	s_addc_u32 s7, s11, s19
	v_add_co_u32 v127, s6, s6, v41
	s_delay_alu instid0(VALU_DEP_1) | instskip(SKIP_1) | instid1(VALU_DEP_1)
	v_add_co_ci_u32_e64 v128, null, s7, 0, s6
	s_waitcnt lgkmcnt(0)
	v_mad_i64_i32 v[41:42], null, s28, s5, v[127:128]
	v_mad_i64_i32 v[129:130], null, s8, s5, v[127:128]
	;; [unrolled: 1-line block ×7, first 2 shown]
	s_clause 0x3
	global_load_b128 v[49:52], v[41:42], off
	global_load_b128 v[53:56], v[41:42], off offset:16
	global_load_b128 v[41:44], v[45:46], off
	global_load_b128 v[45:48], v[45:46], off offset:16
	s_waitcnt vmcnt(18)
	v_wmma_f32_16x16x16_f16 v[119:126], v[1:8], v[33:40], v[95:102]
	s_waitcnt vmcnt(16)
	v_wmma_f32_16x16x16_f16 v[95:102], v[9:16], v[33:40], v[95:102]
	s_clause 0x3
	global_load_b128 v[33:36], v[129:130], off
	global_load_b128 v[37:40], v[129:130], off offset:16
	global_load_b128 v[1:4], v[131:132], off
	global_load_b128 v[5:8], v[131:132], off offset:16
	s_waitcnt vmcnt(18)
	v_wmma_f32_16x16x16_f16 v[119:126], v[17:24], v[103:110], v[119:126]
	s_clause 0x3
	global_load_b128 v[9:12], v[133:134], off
	global_load_b128 v[13:16], v[133:134], off offset:16
	global_load_b128 v[17:20], v[135:136], off
	global_load_b128 v[21:24], v[135:136], off offset:16
	s_waitcnt vmcnt(20)
	v_wmma_f32_16x16x16_f16 v[95:102], v[25:32], v[103:110], v[95:102]
	v_mad_i64_i32 v[103:104], null, s2, s5, v[127:128]
	s_waitcnt vmcnt(18)
	v_wmma_f32_16x16x16_f16 v[119:126], v[57:64], v[111:118], v[119:126]
	s_clause 0x1
	global_load_b128 v[25:28], v[137:138], off
	global_load_b128 v[29:32], v[137:138], off offset:16
	s_waitcnt vmcnt(18)
	v_wmma_f32_16x16x16_f16 v[95:102], v[71:78], v[111:118], v[95:102]
	s_clause 0x1
	global_load_b128 v[57:60], v[103:104], off
	global_load_b128 v[61:64], v[103:104], off offset:16
	ds_load_b128 v[71:74], v139 offset:6144
	ds_load_b128 v[75:78], v139 offset:7168
	v_mbcnt_lo_u32_b32 v104, -1, 0
	s_waitcnt vmcnt(0) lgkmcnt(0)
	s_barrier
	buffer_gl0_inv
	v_xor_b32_e32 v105, 16, v104
	s_delay_alu instid0(VALU_DEP_1) | instskip(SKIP_4) | instid1(VALU_DEP_2)
	v_cmp_gt_i32_e32 vcc_lo, 32, v105
	v_cndmask_b32_e32 v104, v104, v105, vcc_lo
	v_wmma_f32_16x16x16_f16 v[95:102], v[87:94], v[71:78], v[95:102]
	v_and_b32_e32 v103, 0xe0, v0
	v_wmma_f32_16x16x16_f16 v[119:126], v[79:86], v[71:78], v[119:126]
	v_dual_mul_f32 v90, s18, v101 :: v_dual_add_nc_u32 v103, s12, v103
	s_delay_alu instid0(VALU_DEP_2) | instskip(NEXT) | instid1(VALU_DEP_3)
	v_dual_mul_f32 v94, s18, v97 :: v_dual_mul_f32 v87, s18, v120
	v_dual_mul_f32 v88, s18, v119 :: v_dual_mul_f32 v77, s18, v122
	s_delay_alu instid0(VALU_DEP_3) | instskip(SKIP_3) | instid1(VALU_DEP_4)
	v_or_b32_e32 v103, v103, v66
	v_dual_mul_f32 v78, s18, v121 :: v_dual_mul_f32 v75, s18, v124
	v_dual_mul_f32 v76, s18, v123 :: v_dual_mul_f32 v73, s18, v126
	v_mul_f32_e32 v92, s18, v99
	v_or_b32_e32 v105, 2, v103
	v_or_b32_e32 v106, 4, v103
	;; [unrolled: 1-line block ×3, first 2 shown]
	v_cmp_gt_i32_e64 s2, s17, v103
	v_or_b32_e32 v108, 8, v103
	v_cmp_gt_i32_e32 vcc_lo, s17, v105
	v_or_b32_e32 v109, 10, v103
	v_cmp_gt_i32_e64 s3, s17, v106
	v_cndmask_b32_e64 v88, 0xff7fffff, v88, s2
	v_cmp_gt_i32_e64 s4, s17, v107
	v_cndmask_b32_e32 v87, 0xff7fffff, v87, vcc_lo
	v_or_b32_e32 v79, 12, v103
	v_or_b32_e32 v80, 14, v103
	v_cndmask_b32_e64 v78, 0xff7fffff, v78, s3
	v_cndmask_b32_e64 v77, 0xff7fffff, v77, s4
	v_max3_f32 v87, v88, 0xff7fffff, v87
	v_cmp_gt_i32_e64 s5, s17, v108
	v_cmp_gt_i32_e64 s6, s17, v109
	v_or_b32_e32 v81, 16, v103
	v_or_b32_e32 v82, 18, v103
	v_mul_f32_e32 v74, s18, v125
	v_cndmask_b32_e64 v76, 0xff7fffff, v76, s5
	v_cndmask_b32_e64 v75, 0xff7fffff, v75, s6
	v_max3_f32 v77, v87, v78, v77
	v_cmp_gt_i32_e64 s7, s17, v79
	v_cmp_gt_i32_e64 s8, s17, v80
	v_or_b32_e32 v83, 20, v103
	v_or_b32_e32 v84, 22, v103
	;; [unrolled: 1-line block ×6, first 2 shown]
	v_mul_f32_e32 v105, s18, v96
	v_mul_f32_e32 v103, s18, v95
	v_cndmask_b32_e64 v74, 0xff7fffff, v74, s7
	v_cndmask_b32_e64 v73, 0xff7fffff, v73, s8
	v_max3_f32 v75, v77, v76, v75
	v_cmp_gt_i32_e64 s9, s17, v81
	v_cmp_gt_i32_e64 s10, s17, v82
	v_mul_f32_e32 v93, s18, v98
	v_cmp_gt_i32_e64 s11, s17, v83
	v_max3_f32 v73, v75, v74, v73
	v_cndmask_b32_e64 v76, 0xff7fffff, v103, s9
	v_cndmask_b32_e64 v77, 0xff7fffff, v105, s10
	v_cmp_gt_i32_e64 s12, s17, v84
	v_mul_f32_e32 v91, s18, v100
	v_cndmask_b32_e64 v74, 0xff7fffff, v94, s11
	v_cmp_gt_i32_e64 s13, s17, v85
	v_max3_f32 v73, v73, v76, v77
	v_cndmask_b32_e64 v75, 0xff7fffff, v93, s12
	v_cmp_gt_i32_e64 s15, s17, v86
	v_mul_f32_e32 v89, s18, v102
	v_cndmask_b32_e64 v76, 0xff7fffff, v92, s13
	v_cmp_gt_i32_e64 s16, s17, v71
	v_max3_f32 v73, v73, v74, v75
	v_cndmask_b32_e64 v77, 0xff7fffff, v91, s15
	v_cmp_gt_i32_e64 s17, s17, v72
	v_lshlrev_b32_e32 v74, 2, v104
	v_cndmask_b32_e64 v71, 0xff7fffff, v90, s16
	s_delay_alu instid0(VALU_DEP_4) | instskip(NEXT) | instid1(VALU_DEP_4)
	v_max3_f32 v73, v73, v76, v77
	v_cndmask_b32_e64 v72, 0xff7fffff, v89, s17
	s_delay_alu instid0(VALU_DEP_1) | instskip(SKIP_3) | instid1(VALU_DEP_1)
	v_max3_f32 v71, v73, v71, v72
	ds_bpermute_b32 v72, v74, v71
	s_waitcnt lgkmcnt(0)
	v_max_f32_e32 v72, v72, v72
	v_max_f32_e32 v71, v71, v72
	s_delay_alu instid0(VALU_DEP_1)
	v_fma_f32 v72, s18, v119, -v71
	v_fma_f32 v76, s18, v122, -v71
	;; [unrolled: 1-line block ×5, first 2 shown]
	v_mul_f32_e32 v72, 0x3fb8aa3b, v72
	v_mul_f32_e32 v76, 0x3fb8aa3b, v76
	v_fma_f32 v75, s18, v121, -v71
	v_mul_f32_e32 v79, 0x3fb8aa3b, v77
	v_mul_f32_e32 v87, 0x3fb8aa3b, v86
	v_exp_f32_e32 v72, v72
	v_exp_f32_e32 v76, v76
	v_fma_f32 v81, s18, v125, -v71
	v_exp_f32_e32 v82, v79
	v_exp_f32_e32 v87, v87
	v_fma_f32 v84, s18, v96, -v71
	s_delay_alu instid0(VALU_DEP_2) | instskip(SKIP_3) | instid1(TRANS32_DEP_3)
	v_mul_f32_e32 v81, 0x3fb8aa3b, v81
	v_cndmask_b32_e64 v78, 0, v72, s2
	v_fma_f32 v72, s18, v124, -v71
	v_mul_f32_e32 v73, 0x3fb8aa3b, v73
	v_cndmask_b32_e64 v79, 0, v76, s4
	v_fma_f32 v76, s18, v95, -v71
	s_delay_alu instid0(VALU_DEP_4) | instskip(NEXT) | instid1(VALU_DEP_4)
	v_dual_mul_f32 v75, 0x3fb8aa3b, v75 :: v_dual_mul_f32 v72, 0x3fb8aa3b, v72
	v_exp_f32_e32 v73, v73
	v_cndmask_b32_e64 v87, 0, v87, s12
	s_delay_alu instid0(VALU_DEP_3) | instskip(NEXT) | instid1(VALU_DEP_3)
	v_mul_f32_e32 v76, 0x3fb8aa3b, v76
	v_exp_f32_e32 v75, v75
	v_exp_f32_e32 v72, v72
	;; [unrolled: 1-line block ×3, first 2 shown]
	v_cndmask_b32_e64 v82, 0, v82, s5
	v_mul_f32_e32 v85, 0x3fb8aa3b, v84
	v_exp_f32_e32 v76, v76
	s_mov_b32 s2, exec_lo
	v_cndmask_b32_e32 v77, 0, v73, vcc_lo
	v_add_f32_e32 v73, 0, v78
	v_exp_f32_e32 v85, v85
	v_cndmask_b32_e64 v80, 0, v75, s3
	v_fma_f32 v75, s18, v126, -v71
	v_cndmask_b32_e64 v81, 0, v72, s6
	v_add_f32_e32 v73, v73, v77
	v_cndmask_b32_e64 v84, 0, v83, s7
	v_cndmask_b32_e64 v86, 0, v76, s9
	v_mul_f32_e32 v75, 0x3fb8aa3b, v75
	s_delay_alu instid0(VALU_DEP_4) | instskip(NEXT) | instid1(TRANS32_DEP_1)
	v_add_f32_e32 v73, v73, v80
	v_cndmask_b32_e64 v85, 0, v85, s10
	s_delay_alu instid0(VALU_DEP_3) | instskip(NEXT) | instid1(VALU_DEP_2)
	v_exp_f32_e32 v75, v75
	v_add_f32_e32 v73, v73, v79
	s_delay_alu instid0(VALU_DEP_1) | instskip(SKIP_3) | instid1(VALU_DEP_1)
	v_add_f32_e32 v72, v73, v82
	s_waitcnt_depctr 0xfff
	v_cndmask_b32_e64 v83, 0, v75, s8
	v_add_f32_e32 v72, v72, v81
	v_add_f32_e32 v72, v72, v84
	s_delay_alu instid0(VALU_DEP_1) | instskip(NEXT) | instid1(VALU_DEP_1)
	v_add_f32_e32 v72, v72, v83
	v_add_f32_e32 v72, v72, v86
	s_delay_alu instid0(VALU_DEP_1) | instskip(SKIP_4) | instid1(VALU_DEP_4)
	v_add_f32_e32 v72, v72, v85
	v_fma_f32 v73, s18, v97, -v71
	v_fma_f32 v75, s18, v99, -v71
	;; [unrolled: 1-line block ×4, first 2 shown]
	v_mul_f32_e32 v73, 0x3fb8aa3b, v73
	s_delay_alu instid0(VALU_DEP_3) | instskip(NEXT) | instid1(VALU_DEP_2)
	v_dual_mul_f32 v75, 0x3fb8aa3b, v75 :: v_dual_mul_f32 v76, 0x3fb8aa3b, v76
	v_exp_f32_e32 v73, v73
	s_delay_alu instid0(VALU_DEP_1) | instskip(NEXT) | instid1(VALU_DEP_1)
	v_exp_f32_e32 v75, v75
	v_exp_f32_e32 v76, v76
	s_delay_alu instid0(TRANS32_DEP_3)
	v_cndmask_b32_e64 v88, 0, v73, s11
	v_mul_f32_e32 v73, 0x3fb8aa3b, v89
	v_fma_f32 v89, s18, v102, -v71
	s_waitcnt_depctr 0xfff
	v_cndmask_b32_e64 v90, 0, v75, s13
	v_add_f32_e32 v72, v72, v88
	v_exp_f32_e32 v73, v73
	v_mul_f32_e32 v75, 0x3fb8aa3b, v89
	v_cndmask_b32_e64 v89, 0, v76, s15
	s_delay_alu instid0(VALU_DEP_3) | instskip(NEXT) | instid1(VALU_DEP_3)
	v_add_f32_e32 v72, v72, v87
	v_exp_f32_e32 v75, v75
	s_delay_alu instid0(VALU_DEP_1) | instskip(SKIP_4) | instid1(VALU_DEP_2)
	v_add_f32_e32 v72, v72, v90
	s_waitcnt_depctr 0xfff
	v_cndmask_b32_e64 v92, 0, v73, s16
	v_add_f32_e32 v72, v72, v89
	v_cndmask_b32_e64 v91, 0, v75, s17
	v_add_f32_e32 v72, v72, v92
	s_delay_alu instid0(VALU_DEP_1)
	v_add_f32_e32 v72, v72, v91
	ds_bpermute_b32 v73, v74, v72
	v_cmpx_gt_u32_e32 16, v70
	s_cbranch_execz .LBB1221_12
; %bb.11:
	v_mul_u32_u24_e32 v70, 0x44, v68
	s_waitcnt lgkmcnt(0)
	v_add_f32_e32 v72, v72, v73
	s_delay_alu instid0(VALU_DEP_2) | instskip(NEXT) | instid1(VALU_DEP_1)
	v_lshl_add_u32 v70, v69, 2, v70
	v_add_nc_u32_e32 v70, 0x4000, v70
	ds_store_2addr_b32 v70, v71, v72 offset1:136
.LBB1221_12:
	s_or_b32 exec_lo, exec_lo, s2
	v_lshlrev_b32_e32 v70, 2, v69
	s_load_b32 s34, s[0:1], 0x94
	s_waitcnt lgkmcnt(0)
	s_barrier
	buffer_gl0_inv
	v_add_nc_u32_e32 v74, 0x4000, v70
	v_cmp_eq_u32_e32 vcc_lo, 1, v68
	v_cmp_eq_u32_e64 s2, 2, v68
	v_cmp_eq_u32_e64 s3, 3, v68
	;; [unrolled: 1-line block ×3, first 2 shown]
	ds_load_2addr_b32 v[70:71], v74 offset1:17
	ds_load_2addr_b32 v[72:73], v74 offset0:34 offset1:51
	ds_load_2addr_b32 v[93:94], v74 offset0:68 offset1:85
	;; [unrolled: 1-line block ×3, first 2 shown]
	v_cmp_eq_u32_e64 s5, 5, v68
	v_cmp_eq_u32_e64 s6, 7, v68
	s_waitcnt lgkmcnt(3)
	v_max3_f32 v75, v70, 0xff7fffff, v71
	s_waitcnt lgkmcnt(2)
	s_delay_alu instid0(VALU_DEP_1) | instskip(SKIP_1) | instid1(VALU_DEP_1)
	v_max3_f32 v75, v75, v72, v73
	s_waitcnt lgkmcnt(1)
	v_max3_f32 v75, v75, v93, v94
	s_waitcnt lgkmcnt(0)
	s_delay_alu instid0(VALU_DEP_1) | instskip(NEXT) | instid1(VALU_DEP_1)
	v_max3_f32 v75, v75, v95, v96
	v_sub_f32_e32 v93, v93, v75
	ds_load_2addr_b32 v[97:98], v74 offset0:136 offset1:153
	v_sub_f32_e32 v70, v70, v75
	v_dual_sub_f32 v100, v73, v75 :: v_dual_mul_f32 v103, 0x3fb8aa3b, v93
	s_delay_alu instid0(VALU_DEP_2) | instskip(SKIP_3) | instid1(VALU_DEP_1)
	v_dual_sub_f32 v76, v71, v75 :: v_dual_mul_f32 v99, 0x3fb8aa3b, v70
	ds_load_2addr_b32 v[70:71], v74 offset0:170 offset1:187
	v_mul_f32_e32 v76, 0x3fb8aa3b, v76
	v_exp_f32_e32 v99, v99
	v_exp_f32_e32 v102, v76
	v_mul_f32_e32 v100, 0x3fb8aa3b, v100
	s_waitcnt lgkmcnt(1)
	s_waitcnt_depctr 0xfff
	v_fma_f32 v76, v99, v97, 0
	v_sub_f32_e32 v97, v94, v75
	v_sub_f32_e32 v72, v72, v75
	v_exp_f32_e32 v100, v100
	ds_load_2addr_b32 v[93:94], v74 offset0:238 offset1:255
	v_dual_fmac_f32 v76, v102, v98 :: v_dual_mul_f32 v101, 0x3fb8aa3b, v72
	ds_load_2addr_b32 v[72:73], v74 offset0:204 offset1:221
	v_dual_sub_f32 v74, v95, v75 :: v_dual_mul_f32 v95, 0x3fb8aa3b, v97
	v_exp_f32_e32 v97, v103
	v_exp_f32_e32 v101, v101
	s_waitcnt lgkmcnt(0)
	s_barrier
	v_exp_f32_e32 v95, v95
	buffer_gl0_inv
	v_fmac_f32_e32 v76, v101, v70
	v_sub_f32_e32 v70, v96, v75
	s_delay_alu instid0(VALU_DEP_2) | instskip(NEXT) | instid1(VALU_DEP_2)
	v_fmac_f32_e32 v76, v100, v71
	v_mul_f32_e32 v70, 0x3fb8aa3b, v70
	s_delay_alu instid0(VALU_DEP_2)
	v_dual_cndmask_b32 v71, v99, v102 :: v_dual_fmac_f32 v76, v97, v72
	v_lshlrev_b32_e32 v72, 6, v69
	v_lshlrev_b32_e32 v69, 2, v66
	v_mul_f32_e32 v74, 0x3fb8aa3b, v74
	v_exp_f32_e32 v98, v70
	v_fmac_f32_e32 v76, v95, v73
	s_delay_alu instid0(VALU_DEP_3) | instskip(NEXT) | instid1(VALU_DEP_3)
	v_cmp_eq_u32_e64 s7, 7, v69
	v_exp_f32_e32 v96, v74
	v_lshl_or_b32 v74, v68, 11, v72
	s_waitcnt_depctr 0xfff
	v_fmac_f32_e32 v76, v96, v93
	s_delay_alu instid0(VALU_DEP_1) | instskip(NEXT) | instid1(VALU_DEP_1)
	v_fmac_f32_e32 v76, v98, v94
	v_add_f32_e32 v73, 0x358637bd, v76
	s_delay_alu instid0(VALU_DEP_1) | instskip(SKIP_1) | instid1(VALU_DEP_2)
	v_div_scale_f32 v93, null, v73, v73, 1.0
	v_div_scale_f32 v99, vcc_lo, 1.0, v73, 1.0
	v_rcp_f32_e32 v94, v93
	s_waitcnt_depctr 0xfff
	v_fma_f32 v70, -v93, v94, 1.0
	s_delay_alu instid0(VALU_DEP_1)
	v_fmac_f32_e32 v94, v70, v94
	v_cndmask_b32_e64 v70, v71, v101, s2
	v_cmp_eq_u32_e64 s2, 6, v68
	v_or_b32_e32 v71, 1, v69
	v_or_b32_e32 v68, 2, v69
	v_mul_f32_e32 v101, v99, v94
	v_cndmask_b32_e64 v70, v70, v100, s3
	v_cmp_eq_u32_e64 s3, 1, v69
	v_cmp_eq_u32_e64 s8, 1, v71
	;; [unrolled: 1-line block ×3, first 2 shown]
	v_fma_f32 v100, -v93, v101, v99
	v_cndmask_b32_e64 v70, v70, v97, s4
	v_cmp_eq_u32_e64 s4, 2, v69
	v_cmp_eq_u32_e64 s11, 2, v71
	;; [unrolled: 1-line block ×3, first 2 shown]
	v_fmac_f32_e32 v101, v100, v94
	v_cndmask_b32_e64 v95, v70, v95, s5
	v_or_b32_e32 v70, 3, v69
	v_cmp_eq_u32_e64 s12, 3, v71
	v_cmp_eq_u32_e64 s16, 3, v68
	v_fma_f32 v93, -v93, v101, v99
	v_cndmask_b32_e64 v95, v95, v96, s2
	v_cmp_eq_u32_e64 s10, 1, v70
	v_cmp_eq_u32_e64 s15, 2, v70
	;; [unrolled: 1-line block ×3, first 2 shown]
	v_div_fmas_f32 v93, v93, v94, v101
	v_cndmask_b32_e64 v94, v95, v98, s6
	v_cmp_eq_u32_e32 vcc_lo, 3, v69
	v_cmp_eq_u32_e64 s2, 4, v69
	v_cmp_eq_u32_e64 s18, 4, v71
	v_div_fixup_f32 v93, v93, v73, 1.0
	v_lshl_or_b32 v73, v66, 4, v74
	v_cmp_eq_u32_e64 s21, 4, v70
	v_cmp_eq_u32_e64 s5, 5, v69
	;; [unrolled: 1-line block ×3, first 2 shown]
	v_mul_f32_e32 v101, v94, v93
	v_cmp_eq_u32_e64 s20, 4, v68
	v_cmp_eq_u32_e64 s23, 5, v70
	;; [unrolled: 1-line block ×4, first 2 shown]
	v_fma_mixlo_f16 v93, v101, v78, 0
	v_fma_mixlo_f16 v94, v101, v80, 0
	;; [unrolled: 1-line block ×8, first 2 shown]
	v_fma_mixhi_f16 v93, v101, v77, 0
	v_fma_mixhi_f16 v94, v101, v79, 0
	;; [unrolled: 1-line block ×8, first 2 shown]
	ds_store_b128 v73, v[93:96]
	ds_store_b128 v73, v[97:100] offset:1024
	s_waitcnt lgkmcnt(0)
	s_barrier
	buffer_gl0_inv
	ds_load_b128 v[77:80], v74
	ds_load_b128 v[81:84], v74 offset:16
	ds_load_b128 v[85:88], v74 offset:1024
	;; [unrolled: 1-line block ×3, first 2 shown]
	v_cmp_eq_u32_e64 s26, 6, v70
	v_cmp_eq_u32_e64 s6, 6, v69
	;; [unrolled: 1-line block ×6, first 2 shown]
	s_waitcnt lgkmcnt(3)
	v_lshrrev_b32_e32 v93, 16, v77
	s_waitcnt lgkmcnt(2)
	v_lshrrev_b32_e32 v97, 16, v81
	;; [unrolled: 2-line block ×4, first 2 shown]
	v_lshrrev_b32_e32 v94, 16, v78
	v_cndmask_b32_e64 v109, v77, v93, s3
	v_cndmask_b32_e64 v110, v81, v97, s3
	;; [unrolled: 1-line block ×8, first 2 shown]
	v_lshrrev_b32_e32 v98, 16, v82
	v_cndmask_b32_e64 v93, v85, v101, s3
	v_cndmask_b32_e64 v97, v89, v105, s3
	;; [unrolled: 1-line block ×15, first 2 shown]
	v_lshrrev_b32_e32 v102, 16, v86
	v_lshrrev_b32_e32 v106, 16, v90
	v_cndmask_b32_e64 v112, v114, v82, s13
	v_cndmask_b32_e64 v81, v93, v86, s4
	;; [unrolled: 1-line block ×7, first 2 shown]
	v_cndmask_b32_e32 v89, v101, v94, vcc_lo
	v_cndmask_b32_e32 v101, v105, v98, vcc_lo
	v_cndmask_b32_e64 v105, v109, v94, s12
	v_cndmask_b32_e64 v109, v110, v98, s12
	;; [unrolled: 1-line block ×4, first 2 shown]
	v_lshrrev_b32_e32 v95, 16, v79
	v_lshrrev_b32_e32 v99, 16, v83
	v_cndmask_b32_e64 v110, v111, v94, s16
	v_cndmask_b32_e64 v111, v112, v98, s16
	v_cndmask_b32_e32 v81, v81, v102, vcc_lo
	v_cndmask_b32_e32 v82, v82, v106, vcc_lo
	v_cndmask_b32_e64 v93, v93, v102, s12
	v_cndmask_b32_e64 v89, v89, v79, s2
	;; [unrolled: 1-line block ×7, first 2 shown]
	v_lshrrev_b32_e32 v103, 16, v87
	v_cndmask_b32_e64 v105, v110, v79, s20
	v_cndmask_b32_e64 v109, v111, v83, s20
	;; [unrolled: 1-line block ×11, first 2 shown]
	v_lshrrev_b32_e32 v96, 16, v80
	v_lshrrev_b32_e32 v100, 16, v84
	v_cndmask_b32_e64 v98, v105, v95, s22
	v_cndmask_b32_e64 v101, v109, v99, s22
	;; [unrolled: 1-line block ×7, first 2 shown]
	v_lshrrev_b32_e32 v104, 16, v88
	v_cndmask_b32_e64 v79, v79, v103, s5
	v_cndmask_b32_e64 v83, v83, v80, s6
	;; [unrolled: 1-line block ×16, first 2 shown]
	v_perm_b32 v80, v78, v77, 0x5040100
	v_perm_b32 v78, v94, v84, 0x5040100
	v_cndmask_b32_e64 v77, v118, v90, s13
	v_cndmask_b32_e64 v84, v116, v90, s11
	;; [unrolled: 1-line block ×3, first 2 shown]
	v_perm_b32 v79, v93, v89, 0x5040100
	v_cndmask_b32_e64 v89, v97, v102, s16
	v_cndmask_b32_e64 v85, v85, v102, s17
	;; [unrolled: 1-line block ×5, first 2 shown]
	v_lshrrev_b32_e32 v107, 16, v91
	v_cndmask_b32_e64 v89, v89, v87, s20
	v_cndmask_b32_e64 v85, v85, v87, s21
	;; [unrolled: 1-line block ×11, first 2 shown]
	v_lshrrev_b32_e32 v108, 16, v92
	v_cndmask_b32_e64 v81, v81, v92, s6
	v_cndmask_b32_e64 v87, v87, v88, s25
	;; [unrolled: 1-line block ×12, first 2 shown]
	v_perm_b32 v77, v83, v82, 0x5040100
	v_perm_b32 v84, v86, v85, 0x5040100
	;; [unrolled: 1-line block ×5, first 2 shown]
	s_lshl_b32 s7, s33, 3
	s_mov_b32 s2, exec_lo
	ds_store_b128 v73, v[77:80]
	ds_store_b128 v73, v[81:84] offset:1024
	v_cmpx_gt_u32_e32 8, v0
	s_cbranch_execz .LBB1221_14
; %bb.13:
	v_or_b32_e32 v77, s31, v0
	s_load_b128 s[8:11], s[0:1], 0x58
	s_delay_alu instid0(VALU_DEP_1) | instskip(NEXT) | instid1(VALU_DEP_1)
	v_mad_u64_u32 v[78:79], null, s7, s30, v[77:78]
	v_mad_u64_u32 v[79:80], null, v78, s34, s[14:15]
	s_delay_alu instid0(VALU_DEP_1) | instskip(NEXT) | instid1(VALU_DEP_1)
	v_ashrrev_i32_e32 v80, 31, v79
	v_lshlrev_b64 v[77:78], 2, v[79:80]
	s_waitcnt lgkmcnt(0)
	s_delay_alu instid0(VALU_DEP_1) | instskip(NEXT) | instid1(VALU_DEP_2)
	v_add_co_u32 v79, vcc_lo, s10, v77
	v_add_co_ci_u32_e32 v80, vcc_lo, s11, v78, vcc_lo
	v_add_co_u32 v77, vcc_lo, s8, v77
	v_add_co_ci_u32_e32 v78, vcc_lo, s9, v78, vcc_lo
	global_store_b32 v[79:80], v75, off
	global_store_b32 v[77:78], v76, off
.LBB1221_14:
	s_or_b32 exec_lo, exec_lo, s2
	s_waitcnt lgkmcnt(0)
	s_waitcnt_vscnt null, 0x0
	s_barrier
	buffer_gl0_inv
	ds_load_b128 v[83:86], v72
	ds_load_b128 v[87:90], v72 offset:16
	ds_load_b128 v[95:98], v72 offset:2064
	;; [unrolled: 1-line block ×5, first 2 shown]
	v_cmp_eq_u32_e32 vcc_lo, 1, v69
	v_mov_b32_e32 v75, 0
	ds_load_b128 v[111:114], v72 offset:6160
	ds_load_b128 v[107:110], v72 offset:6144
	;; [unrolled: 1-line block ×4, first 2 shown]
	v_cmp_eq_u32_e64 s3, 1, v68
	v_cmp_eq_u32_e64 s2, 1, v71
	;; [unrolled: 1-line block ×3, first 2 shown]
	v_mov_b32_e32 v76, v75
	v_mov_b32_e32 v77, v75
	v_mov_b32_e32 v78, v75
	v_mov_b32_e32 v79, v75
	v_mov_b32_e32 v80, v75
	v_mov_b32_e32 v81, v75
	v_mov_b32_e32 v82, v75
	v_cmp_eq_u32_e64 s5, 3, v71
	v_cmp_eq_u32_e64 s6, 7, v71
	s_waitcnt lgkmcnt(8)
	s_delay_alu instid0(VALU_DEP_3)
	v_wmma_f32_16x16x16_f16 v[75:82], v[49:56], v[83:90], v[75:82]
	ds_load_b128 v[53:56], v72 offset:10256
	ds_load_b128 v[49:52], v72 offset:10240
	s_waitcnt lgkmcnt(8)
	v_wmma_f32_16x16x16_f16 v[75:82], v[41:48], v[91:98], v[75:82]
	ds_load_b128 v[45:48], v72 offset:12304
	ds_load_b128 v[41:44], v72 offset:12288
	s_waitcnt lgkmcnt(8)
	;; [unrolled: 4-line block ×3, first 2 shown]
	s_barrier
	buffer_gl0_inv
	v_wmma_f32_16x16x16_f16 v[75:82], v[1:8], v[107:114], v[75:82]
	s_delay_alu instid0(VALU_DEP_1) | instskip(NEXT) | instid1(VALU_DEP_1)
	v_wmma_f32_16x16x16_f16 v[75:82], v[9:16], v[115:122], v[75:82]
	v_wmma_f32_16x16x16_f16 v[75:82], v[17:24], v[49:56], v[75:82]
	s_delay_alu instid0(VALU_DEP_1) | instskip(NEXT) | instid1(VALU_DEP_1)
	v_wmma_f32_16x16x16_f16 v[75:82], v[25:32], v[41:48], v[75:82]
	v_wmma_f32_16x16x16_f16 v[75:82], v[57:64], v[33:40], v[75:82]
	s_delay_alu instid0(VALU_DEP_1) | instskip(NEXT) | instid1(VALU_DEP_2)
	v_cvt_f16_f32_e32 v1, v75
	v_cvt_f16_f32_e32 v2, v76
	s_delay_alu instid0(VALU_DEP_3) | instskip(NEXT) | instid1(VALU_DEP_4)
	v_cvt_f16_f32_e32 v3, v77
	v_cvt_f16_f32_e32 v4, v78
	;; [unrolled: 1-line block ×6, first 2 shown]
	v_pack_b32_f16 v1, v1, v2
	v_pack_b32_f16 v2, v3, v4
	;; [unrolled: 1-line block ×3, first 2 shown]
	s_delay_alu instid0(VALU_DEP_4)
	v_pack_b32_f16 v4, v7, v8
	ds_store_b128 v73, v[1:4]
	s_waitcnt lgkmcnt(0)
	s_barrier
	buffer_gl0_inv
	ds_load_b128 v[1:4], v74
	ds_load_b128 v[5:8], v74 offset:16
	s_waitcnt lgkmcnt(1)
	v_lshrrev_b32_e32 v9, 16, v1
	s_waitcnt lgkmcnt(0)
	v_lshrrev_b32_e32 v13, 16, v5
	v_lshrrev_b32_e32 v10, 16, v2
	;; [unrolled: 1-line block ×4, first 2 shown]
	v_cndmask_b32_e32 v17, v1, v9, vcc_lo
	v_cndmask_b32_e32 v18, v5, v13, vcc_lo
	v_cndmask_b32_e64 v21, v1, v9, s3
	v_cmp_eq_u32_e32 vcc_lo, 1, v70
	v_cndmask_b32_e64 v22, v5, v13, s3
	v_cmp_eq_u32_e64 s3, 2, v69
	v_cndmask_b32_e64 v19, v1, v9, s2
	v_cndmask_b32_e64 v20, v5, v13, s2
	v_cndmask_b32_e32 v1, v1, v9, vcc_lo
	v_cmp_eq_u32_e64 s2, 2, v70
	v_cndmask_b32_e32 v5, v5, v13, vcc_lo
	v_cndmask_b32_e64 v9, v17, v2, s3
	v_cmp_eq_u32_e32 vcc_lo, 3, v69
	v_cndmask_b32_e64 v13, v18, v6, s3
	v_cmp_eq_u32_e64 s3, 2, v68
	v_cndmask_b32_e64 v17, v19, v2, s4
	v_cndmask_b32_e64 v18, v20, v6, s4
	v_cmp_eq_u32_e64 s4, 3, v68
	v_cndmask_b32_e64 v1, v1, v2, s2
	v_cndmask_b32_e64 v19, v21, v2, s3
	v_cndmask_b32_e64 v20, v22, v6, s3
	v_cndmask_b32_e64 v2, v5, v6, s2
	v_cndmask_b32_e32 v5, v9, v10, vcc_lo
	v_cndmask_b32_e32 v6, v13, v14, vcc_lo
	v_cmp_eq_u32_e32 vcc_lo, 3, v70
	v_cndmask_b32_e64 v9, v17, v10, s5
	v_cndmask_b32_e64 v13, v18, v14, s5
	;; [unrolled: 1-line block ×3, first 2 shown]
	v_cmp_eq_u32_e64 s3, 4, v69
	v_cndmask_b32_e32 v1, v1, v10, vcc_lo
	v_cndmask_b32_e32 v2, v2, v14, vcc_lo
	v_cmp_eq_u32_e32 vcc_lo, 4, v71
	v_lshrrev_b32_e32 v15, 16, v7
	v_lshrrev_b32_e32 v16, 16, v8
	v_cndmask_b32_e64 v17, v19, v10, s4
	v_cmp_eq_u32_e64 s2, 4, v70
	v_cndmask_b32_e64 v5, v5, v3, s3
	v_cndmask_b32_e64 v6, v6, v7, s3
	v_cndmask_b32_e32 v9, v9, v3, vcc_lo
	v_cmp_eq_u32_e64 s3, 5, v71
	v_cndmask_b32_e32 v10, v13, v7, vcc_lo
	v_cmp_eq_u32_e32 vcc_lo, 4, v68
	v_cmp_eq_u32_e64 s4, 5, v69
	v_cndmask_b32_e64 v2, v2, v7, s2
	v_cndmask_b32_e64 v9, v9, v11, s3
	;; [unrolled: 1-line block ×3, first 2 shown]
	v_cndmask_b32_e32 v13, v17, v3, vcc_lo
	v_cmp_eq_u32_e64 s3, 5, v68
	v_cndmask_b32_e32 v14, v18, v7, vcc_lo
	v_cndmask_b32_e64 v1, v1, v3, s2
	v_cmp_eq_u32_e32 vcc_lo, 5, v70
	v_lshrrev_b32_e32 v12, 16, v4
	v_cndmask_b32_e64 v13, v13, v11, s3
	v_cndmask_b32_e64 v3, v14, v15, s3
	v_cmp_eq_u32_e64 s3, 6, v70
	v_cndmask_b32_e32 v1, v1, v11, vcc_lo
	v_cndmask_b32_e64 v5, v5, v11, s4
	v_cmp_eq_u32_e64 s5, 6, v69
	v_cndmask_b32_e64 v6, v6, v15, s4
	v_cmp_eq_u32_e64 s4, 6, v71
	v_cmp_eq_u32_e64 s2, 6, v68
	v_cndmask_b32_e64 v1, v1, v4, s3
	v_cndmask_b32_e32 v2, v2, v15, vcc_lo
	v_cmp_eq_u32_e32 vcc_lo, 7, v70
	v_cndmask_b32_e64 v5, v5, v4, s5
	v_cndmask_b32_e64 v9, v9, v4, s4
	;; [unrolled: 1-line block ×3, first 2 shown]
	v_cmp_eq_u32_e64 s5, 7, v69
	v_cndmask_b32_e32 v1, v1, v12, vcc_lo
	v_cndmask_b32_e64 v7, v13, v4, s2
	v_cndmask_b32_e64 v3, v3, v8, s2
	;; [unrolled: 1-line block ×3, first 2 shown]
	v_cmp_eq_u32_e64 s2, 7, v68
	v_cndmask_b32_e64 v4, v10, v8, s4
	v_cndmask_b32_e64 v5, v5, v12, s5
	;; [unrolled: 1-line block ×3, first 2 shown]
	v_cndmask_b32_e32 v2, v2, v16, vcc_lo
	v_cndmask_b32_e64 v7, v7, v12, s2
	v_cndmask_b32_e64 v3, v3, v16, s2
	;; [unrolled: 1-line block ×4, first 2 shown]
	v_perm_b32 v4, v2, v1, 0x5040100
	s_mov_b32 s2, exec_lo
	v_perm_b32 v3, v3, v7, 0x5040100
	v_perm_b32 v2, v8, v9, 0x5040100
	v_perm_b32 v1, v6, v5, 0x5040100
	ds_store_b128 v73, v[1:4]
	s_waitcnt lgkmcnt(0)
	s_barrier
	buffer_gl0_inv
	v_cmpx_gt_u32_e32 32, v0
	s_cbranch_execz .LBB1221_2
; %bb.15:
	s_load_b64 s[0:1], s[0:1], 0x68
	s_lshl_b32 s4, s34, 7
	v_or_b32_e32 v2, s31, v66
	s_mul_i32 s2, s4, s30
	v_lshlrev_b32_e32 v1, 10, v0
	s_mul_i32 s2, s2, s7
	v_lshlrev_b32_e32 v3, 4, v67
	v_mul_lo_u32 v0, v2, s4
	s_ashr_i32 s3, s2, 31
	v_lshlrev_b32_e32 v4, 6, v66
	v_and_b32_e32 v1, 0x3800, v1
	v_or_b32_e32 v5, 2, v2
	s_lshl_b64 s[2:3], s[2:3], 1
	v_or_b32_e32 v6, 4, v2
	v_or_b32_e32 v7, 6, v2
	v_or3_b32 v12, v1, v3, v4
	v_ashrrev_i32_e32 v1, 31, v0
	v_mul_lo_u32 v2, v5, s4
	v_mul_lo_u32 v16, v6, s4
	;; [unrolled: 1-line block ×3, first 2 shown]
	s_waitcnt lgkmcnt(0)
	s_add_u32 s2, s0, s2
	s_addc_u32 s3, s1, s3
	s_lshl_b32 s0, s14, 7
	v_lshlrev_b64 v[0:1], 1, v[0:1]
	s_ashr_i32 s1, s0, 31
	v_ashrrev_i32_e32 v3, 31, v2
	s_lshl_b64 s[0:1], s[0:1], 1
	v_ashrrev_i32_e32 v17, 31, v16
	s_add_u32 s0, s2, s0
	s_addc_u32 s1, s3, s1
	v_add_co_u32 v24, s0, s0, v65
	s_delay_alu instid0(VALU_DEP_1) | instskip(SKIP_1) | instid1(VALU_DEP_3)
	v_add_co_ci_u32_e64 v25, null, s1, 0, s0
	v_lshlrev_b64 v[22:23], 1, v[2:3]
	v_add_co_u32 v18, vcc_lo, v24, v0
	s_delay_alu instid0(VALU_DEP_3)
	v_add_co_ci_u32_e32 v19, vcc_lo, v25, v1, vcc_lo
	ds_load_b128 v[0:3], v12
	ds_load_b128 v[4:7], v12 offset:128
	ds_load_b128 v[8:11], v12 offset:256
	;; [unrolled: 1-line block ×3, first 2 shown]
	v_ashrrev_i32_e32 v21, 31, v20
	v_lshlrev_b64 v[16:17], 1, v[16:17]
	v_add_co_u32 v22, vcc_lo, v24, v22
	v_add_co_ci_u32_e32 v23, vcc_lo, v25, v23, vcc_lo
	s_delay_alu instid0(VALU_DEP_4) | instskip(NEXT) | instid1(VALU_DEP_4)
	v_lshlrev_b64 v[20:21], 1, v[20:21]
	v_add_co_u32 v16, vcc_lo, v24, v16
	v_add_co_ci_u32_e32 v17, vcc_lo, v25, v17, vcc_lo
	s_delay_alu instid0(VALU_DEP_3) | instskip(NEXT) | instid1(VALU_DEP_4)
	v_add_co_u32 v20, vcc_lo, v24, v20
	v_add_co_ci_u32_e32 v21, vcc_lo, v25, v21, vcc_lo
	s_waitcnt lgkmcnt(3)
	global_store_b128 v[18:19], v[0:3], off
	s_waitcnt lgkmcnt(2)
	global_store_b128 v[22:23], v[4:7], off
	;; [unrolled: 2-line block ×4, first 2 shown]
	s_nop 0
	s_sendmsg sendmsg(MSG_DEALLOC_VGPRS)
	s_endpgm
	.section	.rodata,"a",@progbits
	.p2align	6, 0x0
	.amdhsa_kernel _Z39paged_attention_ll4mi_QKV_mfma16_kernelIDF16_hLN4vllm18Fp8KVCacheDataTypeE1EhLi16ELi128ELi256ELb1ELi8EL8MFMAType0EEvPKT_PKT0_S8_ifPKiSA_SA_iPKfiiiPfSD_PS3_PT2_iSC_SC_
		.amdhsa_group_segment_fixed_size 17472
		.amdhsa_private_segment_fixed_size 0
		.amdhsa_kernarg_size 400
		.amdhsa_user_sgpr_count 13
		.amdhsa_user_sgpr_dispatch_ptr 0
		.amdhsa_user_sgpr_queue_ptr 0
		.amdhsa_user_sgpr_kernarg_segment_ptr 1
		.amdhsa_user_sgpr_dispatch_id 0
		.amdhsa_user_sgpr_private_segment_size 0
		.amdhsa_wavefront_size32 1
		.amdhsa_uses_dynamic_stack 0
		.amdhsa_enable_private_segment 0
		.amdhsa_system_sgpr_workgroup_id_x 1
		.amdhsa_system_sgpr_workgroup_id_y 1
		.amdhsa_system_sgpr_workgroup_id_z 1
		.amdhsa_system_sgpr_workgroup_info 0
		.amdhsa_system_vgpr_workitem_id 0
		.amdhsa_next_free_vgpr 140
		.amdhsa_next_free_sgpr 36
		.amdhsa_reserve_vcc 1
		.amdhsa_float_round_mode_32 0
		.amdhsa_float_round_mode_16_64 0
		.amdhsa_float_denorm_mode_32 3
		.amdhsa_float_denorm_mode_16_64 3
		.amdhsa_dx10_clamp 1
		.amdhsa_ieee_mode 1
		.amdhsa_fp16_overflow 0
		.amdhsa_workgroup_processor_mode 1
		.amdhsa_memory_ordered 1
		.amdhsa_forward_progress 0
		.amdhsa_shared_vgpr_count 0
		.amdhsa_exception_fp_ieee_invalid_op 0
		.amdhsa_exception_fp_denorm_src 0
		.amdhsa_exception_fp_ieee_div_zero 0
		.amdhsa_exception_fp_ieee_overflow 0
		.amdhsa_exception_fp_ieee_underflow 0
		.amdhsa_exception_fp_ieee_inexact 0
		.amdhsa_exception_int_div_zero 0
	.end_amdhsa_kernel
	.section	.text._Z39paged_attention_ll4mi_QKV_mfma16_kernelIDF16_hLN4vllm18Fp8KVCacheDataTypeE1EhLi16ELi128ELi256ELb1ELi8EL8MFMAType0EEvPKT_PKT0_S8_ifPKiSA_SA_iPKfiiiPfSD_PS3_PT2_iSC_SC_,"axG",@progbits,_Z39paged_attention_ll4mi_QKV_mfma16_kernelIDF16_hLN4vllm18Fp8KVCacheDataTypeE1EhLi16ELi128ELi256ELb1ELi8EL8MFMAType0EEvPKT_PKT0_S8_ifPKiSA_SA_iPKfiiiPfSD_PS3_PT2_iSC_SC_,comdat
.Lfunc_end1221:
	.size	_Z39paged_attention_ll4mi_QKV_mfma16_kernelIDF16_hLN4vllm18Fp8KVCacheDataTypeE1EhLi16ELi128ELi256ELb1ELi8EL8MFMAType0EEvPKT_PKT0_S8_ifPKiSA_SA_iPKfiiiPfSD_PS3_PT2_iSC_SC_, .Lfunc_end1221-_Z39paged_attention_ll4mi_QKV_mfma16_kernelIDF16_hLN4vllm18Fp8KVCacheDataTypeE1EhLi16ELi128ELi256ELb1ELi8EL8MFMAType0EEvPKT_PKT0_S8_ifPKiSA_SA_iPKfiiiPfSD_PS3_PT2_iSC_SC_
                                        ; -- End function
	.section	.AMDGPU.csdata,"",@progbits
; Kernel info:
; codeLenInByte = 6620
; NumSgprs: 38
; NumVgprs: 140
; ScratchSize: 0
; MemoryBound: 0
; FloatMode: 240
; IeeeMode: 1
; LDSByteSize: 17472 bytes/workgroup (compile time only)
; SGPRBlocks: 4
; VGPRBlocks: 17
; NumSGPRsForWavesPerEU: 38
; NumVGPRsForWavesPerEU: 140
; Occupancy: 10
; WaveLimiterHint : 1
; COMPUTE_PGM_RSRC2:SCRATCH_EN: 0
; COMPUTE_PGM_RSRC2:USER_SGPR: 13
; COMPUTE_PGM_RSRC2:TRAP_HANDLER: 0
; COMPUTE_PGM_RSRC2:TGID_X_EN: 1
; COMPUTE_PGM_RSRC2:TGID_Y_EN: 1
; COMPUTE_PGM_RSRC2:TGID_Z_EN: 1
; COMPUTE_PGM_RSRC2:TIDIG_COMP_CNT: 0
	.section	.text._Z39paged_attention_ll4mi_QKV_mfma16_kernelIDF16_hLN4vllm18Fp8KVCacheDataTypeE1EhLi16ELi128ELi256ELb1ELi9EL8MFMAType0EEvPKT_PKT0_S8_ifPKiSA_SA_iPKfiiiPfSD_PS3_PT2_iSC_SC_,"axG",@progbits,_Z39paged_attention_ll4mi_QKV_mfma16_kernelIDF16_hLN4vllm18Fp8KVCacheDataTypeE1EhLi16ELi128ELi256ELb1ELi9EL8MFMAType0EEvPKT_PKT0_S8_ifPKiSA_SA_iPKfiiiPfSD_PS3_PT2_iSC_SC_,comdat
	.protected	_Z39paged_attention_ll4mi_QKV_mfma16_kernelIDF16_hLN4vllm18Fp8KVCacheDataTypeE1EhLi16ELi128ELi256ELb1ELi9EL8MFMAType0EEvPKT_PKT0_S8_ifPKiSA_SA_iPKfiiiPfSD_PS3_PT2_iSC_SC_ ; -- Begin function _Z39paged_attention_ll4mi_QKV_mfma16_kernelIDF16_hLN4vllm18Fp8KVCacheDataTypeE1EhLi16ELi128ELi256ELb1ELi9EL8MFMAType0EEvPKT_PKT0_S8_ifPKiSA_SA_iPKfiiiPfSD_PS3_PT2_iSC_SC_
	.globl	_Z39paged_attention_ll4mi_QKV_mfma16_kernelIDF16_hLN4vllm18Fp8KVCacheDataTypeE1EhLi16ELi128ELi256ELb1ELi9EL8MFMAType0EEvPKT_PKT0_S8_ifPKiSA_SA_iPKfiiiPfSD_PS3_PT2_iSC_SC_
	.p2align	8
	.type	_Z39paged_attention_ll4mi_QKV_mfma16_kernelIDF16_hLN4vllm18Fp8KVCacheDataTypeE1EhLi16ELi128ELi256ELb1ELi9EL8MFMAType0EEvPKT_PKT0_S8_ifPKiSA_SA_iPKfiiiPfSD_PS3_PT2_iSC_SC_,@function
_Z39paged_attention_ll4mi_QKV_mfma16_kernelIDF16_hLN4vllm18Fp8KVCacheDataTypeE1EhLi16ELi128ELi256ELb1ELi9EL8MFMAType0EEvPKT_PKT0_S8_ifPKiSA_SA_iPKfiiiPfSD_PS3_PT2_iSC_SC_: ; @_Z39paged_attention_ll4mi_QKV_mfma16_kernelIDF16_hLN4vllm18Fp8KVCacheDataTypeE1EhLi16ELi128ELi256ELb1ELi9EL8MFMAType0EEvPKT_PKT0_S8_ifPKiSA_SA_iPKfiiiPfSD_PS3_PT2_iSC_SC_
; %bb.0:
	s_load_b64 s[4:5], s[0:1], 0x30
	s_mov_b32 s34, s13
	s_waitcnt lgkmcnt(0)
	s_cmp_lg_u64 s[4:5], 0
	s_cselect_b32 s8, -1, 0
	s_ashr_i32 s35, s13, 31
	s_cmp_eq_u64 s[4:5], 0
	s_cbranch_scc1 .LBB1222_3
; %bb.1:
	s_lshl_b64 s[2:3], s[34:35], 2
	s_delay_alu instid0(SALU_CYCLE_1) | instskip(SKIP_4) | instid1(SALU_CYCLE_1)
	s_add_u32 s2, s4, s2
	s_addc_u32 s3, s5, s3
	s_load_b64 s[2:3], s[2:3], 0x0
	s_waitcnt lgkmcnt(0)
	s_sub_i32 s2, s3, s2
	s_cmp_eq_u32 s2, 1
	s_cselect_b32 s2, -1, 0
	s_delay_alu instid0(SALU_CYCLE_1)
	s_and_not1_b32 vcc_lo, exec_lo, s2
	s_cbranch_vccz .LBB1222_4
.LBB1222_2:
	s_nop 0
	s_sendmsg sendmsg(MSG_DEALLOC_VGPRS)
	s_endpgm
.LBB1222_3:
.LBB1222_4:
	s_load_b64 s[2:3], s[0:1], 0x28
	s_lshl_b64 s[6:7], s[34:35], 2
	s_waitcnt lgkmcnt(0)
	s_add_u32 s2, s2, s6
	s_addc_u32 s3, s3, s7
	s_lshl_b32 s12, s14, 8
	s_load_b32 s24, s[2:3], 0x0
	s_waitcnt lgkmcnt(0)
	s_cmp_ge_i32 s12, s24
	s_cbranch_scc1 .LBB1222_2
; %bb.5:
	s_clause 0x1
	s_load_b128 s[20:23], s[0:1], 0x8
	s_load_b64 s[2:3], s[0:1], 0x20
	s_and_not1_b32 vcc_lo, exec_lo, s8
	s_cbranch_vccnz .LBB1222_7
; %bb.6:
	s_add_u32 s4, s4, s6
	s_addc_u32 s5, s5, s7
	s_load_b32 s5, s[4:5], 0x0
	s_branch .LBB1222_8
.LBB1222_7:
	s_mov_b32 s5, s34
.LBB1222_8:
	s_load_b128 s[16:19], s[0:1], 0x48
	v_and_b32_e32 v68, 15, v0
	v_lshrrev_b32_e32 v69, 5, v0
	v_bfe_u32 v66, v0, 4, 1
	v_and_b32_e32 v70, 31, v0
	v_and_b32_e32 v67, 1, v0
	v_lshlrev_b32_e32 v2, 3, v68
	s_mul_i32 s31, s15, 9
	v_lshl_or_b32 v1, v69, 1, v66
	s_mov_b32 s4, exec_lo
	s_delay_alu instid0(VALU_DEP_2) | instskip(NEXT) | instid1(VALU_DEP_2)
	v_lshlrev_b32_e32 v65, 1, v2
	v_cmpx_gt_u32_e32 9, v1
	s_cbranch_execz .LBB1222_10
; %bb.9:
	s_load_b64 s[6:7], s[0:1], 0x0
	v_add_lshl_u32 v2, v1, s31, 7
	s_waitcnt lgkmcnt(0)
	s_mul_hi_i32 s9, s5, s16
	s_mul_i32 s8, s5, s16
	v_lshlrev_b32_e32 v6, 10, v68
	s_lshl_b64 s[8:9], s[8:9], 1
	v_ashrrev_i32_e32 v3, 31, v2
	v_lshlrev_b32_e32 v1, 6, v1
	v_lshlrev_b32_e32 v7, 10, v67
	v_and_b32_e32 v6, 0x3800, v6
	s_delay_alu instid0(VALU_DEP_4) | instskip(NEXT) | instid1(VALU_DEP_2)
	v_lshlrev_b64 v[2:3], 1, v[2:3]
	v_or3_b32 v1, v6, v7, v1
	s_add_u32 s5, s6, s8
	s_addc_u32 s6, s7, s9
	s_delay_alu instid0(VALU_DEP_2) | instskip(NEXT) | instid1(VALU_DEP_3)
	v_add_co_u32 v2, vcc_lo, s5, v2
	v_add_co_ci_u32_e32 v3, vcc_lo, s6, v3, vcc_lo
	s_delay_alu instid0(VALU_DEP_2) | instskip(NEXT) | instid1(VALU_DEP_2)
	v_add_co_u32 v2, vcc_lo, v2, v65
	v_add_co_ci_u32_e32 v3, vcc_lo, 0, v3, vcc_lo
	global_load_b128 v[2:5], v[2:3], off
	s_waitcnt vmcnt(0)
	ds_store_b128 v1, v[2:5]
.LBB1222_10:
	s_or_b32 exec_lo, exec_lo, s4
	v_and_b32_e32 v1, 0xef, v0
	s_waitcnt lgkmcnt(0)
	s_add_i32 s5, s24, 15
	s_clause 0x1
	s_load_b32 s4, s[0:1], 0x38
	s_load_b32 s33, s[0:1], 0x98
	s_ashr_i32 s6, s5, 31
	v_add_nc_u32_e32 v1, s12, v1
	s_lshr_b32 s6, s6, 28
	s_load_b32 s19, s[0:1], 0x1c
	s_add_i32 s5, s5, s6
	s_waitcnt lgkmcnt(0)
	v_ashrrev_i32_e32 v2, 31, v1
	v_or_b32_e32 v3, 16, v1
	s_ashr_i32 s13, s5, 4
	v_cmp_gt_i32_e32 vcc_lo, s24, v1
	s_add_i32 s13, s13, -1
	v_lshrrev_b32_e32 v2, 28, v2
	s_barrier
	buffer_gl0_inv
	s_mul_i32 s15, s15, s18
	v_add_nc_u32_e32 v4, v1, v2
	s_mul_i32 s4, s34, s4
	s_delay_alu instid0(SALU_CYCLE_1) | instskip(NEXT) | instid1(VALU_DEP_1)
	s_ashr_i32 s5, s4, 31
	v_ashrrev_i32_e32 v4, 4, v4
	v_add_nc_u32_e32 v2, v3, v2
	s_lshl_b64 s[4:5], s[4:5], 2
	s_delay_alu instid0(SALU_CYCLE_1) | instskip(NEXT) | instid1(VALU_DEP_2)
	s_add_u32 s16, s2, s4
	v_cndmask_b32_e32 v1, s13, v4, vcc_lo
	s_delay_alu instid0(VALU_DEP_2)
	v_ashrrev_i32_e32 v2, 4, v2
	v_cmp_gt_i32_e32 vcc_lo, s24, v3
	s_addc_u32 s25, s3, s5
	s_ashr_i32 s18, s15, 31
	s_add_u32 s26, s20, s15
	s_addc_u32 s27, s21, s18
	v_cndmask_b32_e32 v3, s13, v2, vcc_lo
	v_ashrrev_i32_e32 v2, 31, v1
	s_lshl_b32 s2, s14, 4
	s_delay_alu instid0(SALU_CYCLE_1) | instskip(NEXT) | instid1(VALU_DEP_2)
	s_ashr_i32 s3, s2, 31
	v_ashrrev_i32_e32 v4, 31, v3
	s_delay_alu instid0(VALU_DEP_2) | instskip(SKIP_1) | instid1(SALU_CYCLE_1)
	v_lshlrev_b64 v[1:2], 2, v[1:2]
	s_lshl_b64 s[2:3], s[2:3], 2
	s_add_u32 s2, s16, s2
	s_delay_alu instid0(VALU_DEP_2) | instskip(SKIP_1) | instid1(VALU_DEP_2)
	v_lshlrev_b64 v[3:4], 2, v[3:4]
	s_addc_u32 s3, s25, s3
	v_add_co_u32 v1, vcc_lo, s16, v1
	v_add_co_ci_u32_e32 v2, vcc_lo, s25, v2, vcc_lo
	s_delay_alu instid0(VALU_DEP_3) | instskip(NEXT) | instid1(VALU_DEP_4)
	v_add_co_u32 v3, vcc_lo, s16, v3
	v_add_co_ci_u32_e32 v4, vcc_lo, s25, v4, vcc_lo
	s_clause 0x1
	global_load_b32 v5, v[1:2], off
	global_load_b32 v7, v[3:4], off
	s_or_b32 s4, s12, 32
	v_lshlrev_b32_e32 v1, 4, v0
	s_ashr_i32 s5, s4, 4
	s_cmp_lt_i32 s4, s24
	v_cmp_gt_u32_e32 vcc_lo, 9, v68
	s_cselect_b32 s4, s5, s13
	v_and_b32_e32 v1, 0xf0, v1
	s_ashr_i32 s5, s4, 31
	s_delay_alu instid0(SALU_CYCLE_1) | instskip(NEXT) | instid1(SALU_CYCLE_1)
	s_lshl_b64 s[4:5], s[4:5], 2
	s_add_u32 s4, s16, s4
	s_addc_u32 s5, s25, s5
	s_or_b32 s6, s12, 64
	v_add_co_u32 v1, s26, s26, v1
	s_ashr_i32 s7, s6, 4
	s_cmp_lt_i32 s6, s24
	v_add_co_ci_u32_e64 v2, null, s27, 0, s26
	s_cselect_b32 s6, s7, s13
	s_delay_alu instid0(SALU_CYCLE_1) | instskip(NEXT) | instid1(SALU_CYCLE_1)
	s_ashr_i32 s7, s6, 31
	s_lshl_b64 s[6:7], s[6:7], 2
	s_delay_alu instid0(SALU_CYCLE_1) | instskip(SKIP_2) | instid1(SALU_CYCLE_1)
	s_add_u32 s6, s16, s6
	s_addc_u32 s7, s25, s7
	s_or_b32 s8, s12, 0x60
	s_ashr_i32 s9, s8, 4
	s_cmp_lt_i32 s8, s24
	s_cselect_b32 s8, s9, s13
	s_delay_alu instid0(SALU_CYCLE_1) | instskip(NEXT) | instid1(SALU_CYCLE_1)
	s_ashr_i32 s9, s8, 31
	s_lshl_b64 s[8:9], s[8:9], 2
	s_delay_alu instid0(SALU_CYCLE_1) | instskip(SKIP_2) | instid1(SALU_CYCLE_1)
	s_add_u32 s8, s16, s8
	s_addc_u32 s9, s25, s9
	s_or_b32 s10, s12, 0x80
	s_ashr_i32 s11, s10, 4
	s_cmp_lt_i32 s10, s24
	;; [unrolled: 10-line block ×3, first 2 shown]
	s_cselect_b32 s20, s21, s13
	s_delay_alu instid0(SALU_CYCLE_1) | instskip(NEXT) | instid1(SALU_CYCLE_1)
	s_ashr_i32 s21, s20, 31
	s_lshl_b64 s[20:21], s[20:21], 2
	s_delay_alu instid0(SALU_CYCLE_1)
	s_add_u32 s20, s16, s20
	s_addc_u32 s21, s25, s21
	s_clause 0x5
	s_load_b32 s26, s[2:3], 0x0
	s_load_b32 s27, s[4:5], 0x0
	;; [unrolled: 1-line block ×6, first 2 shown]
	s_or_b32 s2, s12, 0xc0
	s_mov_b32 s4, 0
	s_ashr_i32 s3, s2, 4
	s_cmp_lt_i32 s2, s24
	s_mov_b32 s11, s4
	s_cselect_b32 s2, s3, s13
	s_mov_b32 s5, s4
	s_ashr_i32 s3, s2, 31
	s_mov_b32 s6, s4
	s_lshl_b64 s[2:3], s[2:3], 2
	s_mov_b32 s7, s4
	s_add_u32 s2, s16, s2
	s_addc_u32 s3, s25, s3
	s_or_b32 s20, s12, 0xe0
	s_mov_b32 s8, s4
	s_ashr_i32 s21, s20, 4
	s_cmp_lt_i32 s20, s24
	s_mov_b32 s9, s4
	s_cselect_b32 s20, s21, s13
	s_mov_b32 s10, s4
	s_ashr_i32 s21, s20, 31
	v_mov_b32_e32 v118, s11
	v_dual_mov_b32 v112, s5 :: v_dual_mov_b32 v117, s10
	v_dual_mov_b32 v116, s9 :: v_dual_mov_b32 v115, s8
	v_dual_mov_b32 v114, s7 :: v_dual_mov_b32 v113, s6
	v_mov_b32_e32 v111, s4
	s_lshl_b64 s[4:5], s[20:21], 2
	s_delay_alu instid0(SALU_CYCLE_1)
	s_add_u32 s4, s16, s4
	s_addc_u32 s5, s25, s5
	s_add_u32 s6, s22, s15
	s_addc_u32 s7, s23, s18
	s_waitcnt vmcnt(1)
	v_mad_i64_i32 v[3:4], null, v5, s17, v[1:2]
	s_waitcnt vmcnt(0)
	v_mad_i64_i32 v[5:6], null, v7, s17, v[1:2]
	v_add_nc_u32_e32 v1, -9, v68
	v_lshlrev_b32_e32 v2, 4, v68
	s_clause 0xf
	global_load_b128 v[17:20], v[3:4], off
	global_load_b128 v[21:24], v[3:4], off offset:256
	global_load_b128 v[25:28], v[5:6], off
	global_load_b128 v[29:32], v[5:6], off offset:256
	global_load_b128 v[57:60], v[3:4], off offset:512
	;; [unrolled: 1-line block ×13, first 2 shown]
	v_cndmask_b32_e32 v1, v1, v68, vcc_lo
	s_delay_alu instid0(VALU_DEP_1)
	v_lshlrev_b32_e32 v149, 6, v1
	v_lshl_or_b32 v1, v69, 8, v2
	ds_load_b128 v[119:122], v149
	ds_load_b128 v[123:126], v149 offset:1024
	ds_load_b128 v[127:130], v149 offset:2048
	;; [unrolled: 1-line block ×3, first 2 shown]
	s_clause 0x1
	s_load_b32 s2, s[2:3], 0x0
	s_load_b32 s3, s[4:5], 0x0
	v_add_co_u32 v135, s6, s6, v1
	s_delay_alu instid0(VALU_DEP_1) | instskip(SKIP_1) | instid1(VALU_DEP_1)
	v_add_co_ci_u32_e64 v136, null, s7, 0, s6
	s_waitcnt lgkmcnt(0)
	v_mad_i64_i32 v[1:2], null, s26, s17, v[135:136]
	v_mad_i64_i32 v[3:4], null, s27, s17, v[135:136]
	v_mad_i64_i32 v[5:6], null, s28, s17, v[135:136]
	v_mad_i64_i32 v[7:8], null, s29, s17, v[135:136]
	v_mad_i64_i32 v[143:144], null, s35, s17, v[135:136]
	v_mad_i64_i32 v[13:14], null, s30, s17, v[135:136]
	s_clause 0x9
	global_load_b128 v[49:52], v[1:2], off
	global_load_b128 v[53:56], v[1:2], off offset:16
	global_load_b128 v[41:44], v[3:4], off
	global_load_b128 v[45:48], v[3:4], off offset:16
	;; [unrolled: 2-line block ×5, first 2 shown]
	v_mad_i64_i32 v[145:146], null, s2, s17, v[135:136]
	v_mad_i64_i32 v[147:148], null, s3, s17, v[135:136]
	s_waitcnt vmcnt(24)
	v_wmma_f32_16x16x16_f16 v[135:142], v[17:24], v[119:126], v[111:118]
	s_waitcnt vmcnt(22)
	v_wmma_f32_16x16x16_f16 v[111:118], v[25:32], v[119:126], v[111:118]
	s_clause 0x3
	global_load_b128 v[17:20], v[143:144], off
	global_load_b128 v[21:24], v[143:144], off offset:16
	global_load_b128 v[25:28], v[145:146], off
	global_load_b128 v[29:32], v[145:146], off offset:16
	v_and_b32_e32 v119, 0xe0, v0
	s_waitcnt vmcnt(24)
	v_wmma_f32_16x16x16_f16 v[135:142], v[57:64], v[127:134], v[135:142]
	s_clause 0x1
	global_load_b128 v[57:60], v[147:148], off
	global_load_b128 v[61:64], v[147:148], off offset:16
	s_waitcnt vmcnt(24)
	v_wmma_f32_16x16x16_f16 v[111:118], v[71:78], v[127:134], v[111:118]
	ds_load_b128 v[71:74], v149 offset:4096
	ds_load_b128 v[75:78], v149 offset:5120
	v_add_nc_u32_e32 v128, s12, v119
	ds_load_b128 v[119:122], v149 offset:6144
	ds_load_b128 v[123:126], v149 offset:7168
	v_mbcnt_lo_u32_b32 v127, -1, 0
	s_waitcnt vmcnt(0) lgkmcnt(0)
	s_barrier
	v_or_b32_e32 v128, v128, v66
	buffer_gl0_inv
	v_xor_b32_e32 v129, 16, v127
	v_or_b32_e32 v130, 4, v128
	v_or_b32_e32 v131, 6, v128
	s_delay_alu instid0(VALU_DEP_3) | instskip(SKIP_4) | instid1(VALU_DEP_4)
	v_cmp_gt_i32_e32 vcc_lo, 32, v129
	v_or_b32_e32 v132, 8, v128
	v_or_b32_e32 v133, 10, v128
	v_cmp_gt_i32_e64 s3, s24, v130
	v_cmp_gt_i32_e64 s4, s24, v131
	;; [unrolled: 1-line block ×3, first 2 shown]
	v_wmma_f32_16x16x16_f16 v[135:142], v[79:86], v[71:78], v[135:142]
	v_wmma_f32_16x16x16_f16 v[111:118], v[87:94], v[71:78], v[111:118]
	v_or_b32_e32 v79, 12, v128
	v_or_b32_e32 v80, 14, v128
	v_cmp_gt_i32_e64 s6, s24, v133
	v_wmma_f32_16x16x16_f16 v[135:142], v[95:102], v[119:126], v[135:142]
	v_wmma_f32_16x16x16_f16 v[111:118], v[103:110], v[119:126], v[111:118]
	v_cndmask_b32_e32 v127, v127, v129, vcc_lo
	v_or_b32_e32 v129, 2, v128
	v_cmp_gt_i32_e32 vcc_lo, s24, v128
	v_mul_f32_e32 v88, s19, v135
	v_dual_mul_f32 v92, s19, v115 :: v_dual_mul_f32 v87, s19, v136
	s_delay_alu instid0(VALU_DEP_4)
	v_cmp_gt_i32_e64 s2, s24, v129
	v_mul_f32_e32 v78, s19, v138
	v_mul_f32_e32 v86, s19, v137
	v_cndmask_b32_e32 v88, 0xff7fffff, v88, vcc_lo
	v_mul_f32_e32 v76, s19, v140
	v_cndmask_b32_e64 v87, 0xff7fffff, v87, s2
	v_dual_mul_f32 v77, s19, v139 :: v_dual_mul_f32 v94, s19, v113
	v_cndmask_b32_e64 v86, 0xff7fffff, v86, s3
	v_cndmask_b32_e64 v78, 0xff7fffff, v78, s4
	s_delay_alu instid0(VALU_DEP_4)
	v_max3_f32 v87, v88, 0xff7fffff, v87
	v_or_b32_e32 v81, 16, v128
	v_or_b32_e32 v82, 18, v128
	v_dual_mul_f32 v74, s19, v142 :: v_dual_mul_f32 v75, s19, v141
	v_mul_f32_e32 v96, s19, v111
	v_cndmask_b32_e64 v77, 0xff7fffff, v77, s5
	v_cndmask_b32_e64 v76, 0xff7fffff, v76, s6
	v_max3_f32 v78, v87, v86, v78
	v_cmp_gt_i32_e64 s7, s24, v79
	v_cmp_gt_i32_e64 s8, s24, v80
	v_or_b32_e32 v83, 20, v128
	v_or_b32_e32 v84, 22, v128
	v_mul_f32_e32 v95, s19, v112
	v_cndmask_b32_e64 v75, 0xff7fffff, v75, s7
	v_cndmask_b32_e64 v74, 0xff7fffff, v74, s8
	v_max3_f32 v76, v78, v77, v76
	v_cmp_gt_i32_e64 s9, s24, v81
	v_cmp_gt_i32_e64 s10, s24, v82
	v_or_b32_e32 v85, 24, v128
	v_or_b32_e32 v71, 26, v128
	v_mul_f32_e32 v93, s19, v114
	v_cndmask_b32_e64 v77, 0xff7fffff, v96, s9
	v_cndmask_b32_e64 v78, 0xff7fffff, v95, s10
	v_max3_f32 v74, v76, v75, v74
	v_cmp_gt_i32_e64 s11, s24, v83
	v_cmp_gt_i32_e64 s12, s24, v84
	v_or_b32_e32 v72, 28, v128
	v_or_b32_e32 v73, 30, v128
	v_mul_f32_e32 v91, s19, v116
	v_cndmask_b32_e64 v75, 0xff7fffff, v94, s11
	v_cndmask_b32_e64 v76, 0xff7fffff, v93, s12
	v_max3_f32 v74, v74, v77, v78
	v_cmp_gt_i32_e64 s13, s24, v85
	v_cmp_gt_i32_e64 s15, s24, v71
	v_dual_mul_f32 v89, s19, v118 :: v_dual_mul_f32 v90, s19, v117
	s_delay_alu instid0(VALU_DEP_4) | instskip(NEXT) | instid1(VALU_DEP_4)
	v_max3_f32 v74, v74, v75, v76
	v_cndmask_b32_e64 v77, 0xff7fffff, v92, s13
	s_delay_alu instid0(VALU_DEP_4) | instskip(SKIP_2) | instid1(VALU_DEP_3)
	v_cndmask_b32_e64 v71, 0xff7fffff, v91, s15
	v_cmp_gt_i32_e64 s16, s24, v72
	v_cmp_gt_i32_e64 s17, s24, v73
	v_max3_f32 v71, v74, v77, v71
	s_delay_alu instid0(VALU_DEP_3) | instskip(NEXT) | instid1(VALU_DEP_3)
	v_cndmask_b32_e64 v72, 0xff7fffff, v90, s16
	v_cndmask_b32_e64 v73, 0xff7fffff, v89, s17
	v_lshlrev_b32_e32 v74, 2, v127
	s_delay_alu instid0(VALU_DEP_2) | instskip(SKIP_3) | instid1(VALU_DEP_1)
	v_max3_f32 v71, v71, v72, v73
	ds_bpermute_b32 v72, v74, v71
	s_waitcnt lgkmcnt(0)
	v_max_f32_e32 v72, v72, v72
	v_max_f32_e32 v71, v71, v72
	s_delay_alu instid0(VALU_DEP_1) | instskip(SKIP_4) | instid1(VALU_DEP_4)
	v_fma_f32 v72, s19, v135, -v71
	v_fma_f32 v73, s19, v136, -v71
	;; [unrolled: 1-line block ×5, first 2 shown]
	v_dual_mul_f32 v72, 0x3fb8aa3b, v72 :: v_dual_mul_f32 v73, 0x3fb8aa3b, v73
	v_fma_f32 v80, s19, v141, -v71
	s_delay_alu instid0(VALU_DEP_3) | instskip(NEXT) | instid1(VALU_DEP_3)
	v_dual_mul_f32 v76, 0x3fb8aa3b, v76 :: v_dual_mul_f32 v77, 0x3fb8aa3b, v77
	v_exp_f32_e32 v72, v72
	s_delay_alu instid0(VALU_DEP_3) | instskip(NEXT) | instid1(VALU_DEP_2)
	v_exp_f32_e32 v73, v73
	v_mul_f32_e32 v82, 0x3fb8aa3b, v80
	s_delay_alu instid0(VALU_DEP_2) | instskip(SKIP_1) | instid1(VALU_DEP_1)
	v_exp_f32_e32 v76, v76
	v_exp_f32_e32 v77, v77
	;; [unrolled: 1-line block ×3, first 2 shown]
	v_cndmask_b32_e32 v79, 0, v72, vcc_lo
	v_fma_f32 v72, s19, v140, -v71
	v_mul_f32_e32 v75, 0x3fb8aa3b, v75
	v_cndmask_b32_e64 v78, 0, v73, s2
	s_delay_alu instid0(TRANS32_DEP_3) | instskip(NEXT) | instid1(VALU_DEP_4)
	v_cndmask_b32_e64 v80, 0, v76, s4
	v_dual_add_f32 v73, 0, v79 :: v_dual_mul_f32 v72, 0x3fb8aa3b, v72
	s_delay_alu instid0(VALU_DEP_4) | instskip(NEXT) | instid1(TRANS32_DEP_3)
	v_exp_f32_e32 v75, v75
	v_cndmask_b32_e64 v83, 0, v77, s5
	s_delay_alu instid0(TRANS32_DEP_2) | instskip(NEXT) | instid1(VALU_DEP_3)
	v_cndmask_b32_e64 v85, 0, v84, s7
	v_add_f32_e32 v73, v73, v78
	v_exp_f32_e32 v72, v72
	v_cmp_gt_u32_e64 s2, 16, v70
	s_waitcnt_depctr 0xfff
	v_cndmask_b32_e64 v81, 0, v75, s3
	v_cndmask_b32_e64 v82, 0, v72, s6
	s_delay_alu instid0(VALU_DEP_2) | instskip(NEXT) | instid1(VALU_DEP_1)
	v_add_f32_e32 v73, v73, v81
	v_add_f32_e32 v73, v73, v80
	s_delay_alu instid0(VALU_DEP_1) | instskip(NEXT) | instid1(VALU_DEP_1)
	v_add_f32_e32 v72, v73, v83
	v_add_f32_e32 v72, v72, v82
	s_delay_alu instid0(VALU_DEP_1)
	v_add_f32_e32 v72, v72, v85
	v_fma_f32 v76, s19, v111, -v71
	v_fma_f32 v75, s19, v142, -v71
	;; [unrolled: 1-line block ×5, first 2 shown]
	v_mul_f32_e32 v76, 0x3fb8aa3b, v76
	s_delay_alu instid0(VALU_DEP_4) | instskip(NEXT) | instid1(VALU_DEP_2)
	v_mul_f32_e32 v86, 0x3fb8aa3b, v86
	v_exp_f32_e32 v76, v76
	s_delay_alu instid0(VALU_DEP_1)
	v_exp_f32_e32 v88, v86
	s_waitcnt_depctr 0xfff
	v_cndmask_b32_e64 v87, 0, v76, s9
	v_fma_f32 v76, s19, v116, -v71
	v_mul_f32_e32 v75, 0x3fb8aa3b, v75
	v_cndmask_b32_e64 v88, 0, v88, s12
	s_delay_alu instid0(VALU_DEP_3) | instskip(NEXT) | instid1(VALU_DEP_3)
	v_dual_mul_f32 v73, 0x3fb8aa3b, v73 :: v_dual_mul_f32 v76, 0x3fb8aa3b, v76
	v_exp_f32_e32 v75, v75
	s_delay_alu instid0(VALU_DEP_1) | instskip(NEXT) | instid1(VALU_DEP_1)
	v_exp_f32_e32 v73, v73
	v_exp_f32_e32 v76, v76
	s_delay_alu instid0(TRANS32_DEP_3)
	v_cndmask_b32_e64 v84, 0, v75, s8
	v_fma_f32 v75, s19, v115, -v71
	s_waitcnt_depctr 0xfff
	v_cndmask_b32_e64 v89, 0, v73, s11
	v_cndmask_b32_e64 v90, 0, v76, s15
	v_add_f32_e32 v72, v72, v84
	s_delay_alu instid0(VALU_DEP_1) | instskip(NEXT) | instid1(VALU_DEP_1)
	v_dual_add_f32 v72, v72, v87 :: v_dual_mul_f32 v77, 0x3fb8aa3b, v77
	v_exp_f32_e32 v77, v77
	s_waitcnt_depctr 0xfff
	v_cndmask_b32_e64 v86, 0, v77, s10
	v_fma_f32 v77, s19, v117, -v71
	s_delay_alu instid0(VALU_DEP_2) | instskip(NEXT) | instid1(VALU_DEP_1)
	v_dual_add_f32 v72, v72, v86 :: v_dual_mul_f32 v75, 0x3fb8aa3b, v75
	v_add_f32_e32 v72, v72, v89
	s_delay_alu instid0(VALU_DEP_2) | instskip(NEXT) | instid1(VALU_DEP_1)
	v_exp_f32_e32 v75, v75
	v_add_f32_e32 v72, v72, v88
	s_waitcnt_depctr 0xfff
	v_cndmask_b32_e64 v91, 0, v75, s13
	v_mul_f32_e32 v73, 0x3fb8aa3b, v77
	v_fma_f32 v77, s19, v118, -v71
	s_delay_alu instid0(VALU_DEP_3) | instskip(NEXT) | instid1(VALU_DEP_3)
	v_add_f32_e32 v72, v72, v91
	v_exp_f32_e32 v73, v73
	s_delay_alu instid0(VALU_DEP_1) | instskip(NEXT) | instid1(VALU_DEP_1)
	v_dual_mul_f32 v75, 0x3fb8aa3b, v77 :: v_dual_add_f32 v72, v72, v90
	v_exp_f32_e32 v75, v75
	s_waitcnt_depctr 0xfff
	v_cndmask_b32_e64 v93, 0, v73, s16
	s_delay_alu instid0(VALU_DEP_1) | instskip(SKIP_1) | instid1(VALU_DEP_1)
	v_add_f32_e32 v72, v72, v93
	v_cndmask_b32_e64 v92, 0, v75, s17
	v_add_f32_e32 v72, v72, v92
	ds_bpermute_b32 v73, v74, v72
	s_and_saveexec_b32 s3, s2
	s_cbranch_execz .LBB1222_12
; %bb.11:
	v_mul_u32_u24_e32 v70, 0x44, v69
	s_waitcnt lgkmcnt(0)
	v_add_f32_e32 v72, v72, v73
	s_delay_alu instid0(VALU_DEP_2) | instskip(NEXT) | instid1(VALU_DEP_1)
	v_lshl_add_u32 v70, v68, 2, v70
	v_add_nc_u32_e32 v70, 0x4000, v70
	ds_store_2addr_b32 v70, v71, v72 offset1:136
.LBB1222_12:
	s_or_b32 exec_lo, exec_lo, s3
	v_lshlrev_b32_e32 v70, 2, v68
	s_load_b32 s35, s[0:1], 0x94
	s_waitcnt lgkmcnt(0)
	s_barrier
	buffer_gl0_inv
	v_add_nc_u32_e32 v98, 0x4000, v70
	v_cmp_eq_u32_e32 vcc_lo, 1, v69
	v_cmp_eq_u32_e64 s3, 2, v69
	v_cmp_eq_u32_e64 s4, 3, v69
	;; [unrolled: 1-line block ×3, first 2 shown]
	ds_load_2addr_b32 v[70:71], v98 offset1:17
	ds_load_2addr_b32 v[72:73], v98 offset0:34 offset1:51
	ds_load_2addr_b32 v[74:75], v98 offset0:68 offset1:85
	;; [unrolled: 1-line block ×3, first 2 shown]
	v_cmp_eq_u32_e64 s6, 5, v69
	v_cmp_eq_u32_e64 s7, 7, v69
	s_waitcnt lgkmcnt(3)
	v_max3_f32 v76, v70, 0xff7fffff, v71
	s_waitcnt lgkmcnt(2)
	s_delay_alu instid0(VALU_DEP_1) | instskip(SKIP_1) | instid1(VALU_DEP_1)
	v_max3_f32 v76, v76, v72, v73
	s_waitcnt lgkmcnt(1)
	v_max3_f32 v76, v76, v74, v75
	s_waitcnt lgkmcnt(0)
	s_delay_alu instid0(VALU_DEP_1) | instskip(NEXT) | instid1(VALU_DEP_1)
	v_max3_f32 v76, v76, v94, v95
	v_sub_f32_e32 v77, v71, v76
	ds_load_2addr_b32 v[96:97], v98 offset0:136 offset1:153
	v_sub_f32_e32 v74, v74, v76
	v_sub_f32_e32 v70, v70, v76
	;; [unrolled: 1-line block ×3, first 2 shown]
	v_dual_sub_f32 v72, v72, v76 :: v_dual_mul_f32 v77, 0x3fb8aa3b, v77
	s_delay_alu instid0(VALU_DEP_4) | instskip(NEXT) | instid1(VALU_DEP_4)
	v_mul_f32_e32 v103, 0x3fb8aa3b, v74
	v_mul_f32_e32 v99, 0x3fb8aa3b, v70
	ds_load_2addr_b32 v[70:71], v98 offset0:170 offset1:187
	v_dual_mul_f32 v101, 0x3fb8aa3b, v72 :: v_dual_mul_f32 v94, 0x3fb8aa3b, v94
	v_exp_f32_e32 v102, v77
	v_exp_f32_e32 v99, v99
	s_delay_alu instid0(VALU_DEP_1) | instskip(NEXT) | instid1(VALU_DEP_1)
	v_exp_f32_e32 v101, v101
	v_exp_f32_e32 v94, v94
	s_waitcnt lgkmcnt(1)
	s_delay_alu instid0(TRANS32_DEP_3)
	v_fma_f32 v77, v99, v96, 0
	v_sub_f32_e32 v100, v73, v76
	ds_load_2addr_b32 v[72:73], v98 offset0:204 offset1:221
	v_fmac_f32_e32 v77, v102, v97
	v_exp_f32_e32 v97, v103
	s_waitcnt lgkmcnt(1)
	s_delay_alu instid0(VALU_DEP_1)
	v_dual_fmac_f32 v77, v101, v70 :: v_dual_sub_f32 v96, v75, v76
	ds_load_2addr_b32 v[74:75], v98 offset0:238 offset1:255
	v_sub_f32_e32 v70, v95, v76
	s_waitcnt lgkmcnt(0)
	s_barrier
	v_mul_f32_e32 v96, 0x3fb8aa3b, v96
	buffer_gl0_inv
	v_exp_f32_e32 v95, v96
	v_mul_f32_e32 v100, 0x3fb8aa3b, v100
	s_delay_alu instid0(VALU_DEP_1) | instskip(SKIP_3) | instid1(VALU_DEP_2)
	v_exp_f32_e32 v100, v100
	s_waitcnt_depctr 0xfff
	v_dual_fmac_f32 v77, v100, v71 :: v_dual_mul_f32 v70, 0x3fb8aa3b, v70
	v_cndmask_b32_e32 v71, v99, v102, vcc_lo
	v_fmac_f32_e32 v77, v97, v72
	s_delay_alu instid0(VALU_DEP_3) | instskip(NEXT) | instid1(VALU_DEP_1)
	v_exp_f32_e32 v96, v70
	v_fmac_f32_e32 v77, v95, v73
	s_delay_alu instid0(VALU_DEP_1) | instskip(SKIP_2) | instid1(VALU_DEP_1)
	v_fmac_f32_e32 v77, v94, v74
	s_waitcnt_depctr 0xfff
	v_fmac_f32_e32 v77, v96, v75
	v_add_f32_e32 v74, 0x358637bd, v77
	s_delay_alu instid0(VALU_DEP_1) | instskip(SKIP_1) | instid1(VALU_DEP_2)
	v_div_scale_f32 v98, null, v74, v74, 1.0
	v_div_scale_f32 v99, vcc_lo, 1.0, v74, 1.0
	v_rcp_f32_e32 v103, v98
	s_waitcnt_depctr 0xfff
	v_fma_f32 v70, -v98, v103, 1.0
	s_delay_alu instid0(VALU_DEP_1) | instskip(SKIP_2) | instid1(VALU_DEP_2)
	v_fmac_f32_e32 v103, v70, v103
	v_cndmask_b32_e64 v70, v71, v101, s3
	v_cmp_eq_u32_e64 s3, 6, v69
	v_cndmask_b32_e64 v71, v70, v100, s4
	s_delay_alu instid0(VALU_DEP_4) | instskip(NEXT) | instid1(VALU_DEP_2)
	v_dual_mul_f32 v101, v99, v103 :: v_dual_lshlrev_b32 v70, 2, v66
	v_cndmask_b32_e64 v71, v71, v97, s5
	s_delay_alu instid0(VALU_DEP_2) | instskip(NEXT) | instid1(VALU_DEP_3)
	v_or_b32_e32 v72, 1, v70
	v_fma_f32 v100, -v98, v101, v99
	v_cmp_eq_u32_e64 s4, 1, v70
	v_cmp_eq_u32_e64 s5, 2, v70
	v_cndmask_b32_e64 v95, v71, v95, s6
	v_or_b32_e32 v71, 3, v70
	v_fmac_f32_e32 v101, v100, v103
	v_cmp_eq_u32_e64 s9, 1, v72
	v_cmp_eq_u32_e64 s12, 2, v72
	v_cndmask_b32_e64 v94, v95, v94, s3
	v_cmp_eq_u32_e64 s11, 1, v71
	v_fma_f32 v97, -v98, v101, v99
	v_cmp_eq_u32_e64 s16, 2, v71
	v_cmp_eq_u32_e64 s13, 3, v72
	v_cndmask_b32_e64 v94, v94, v96, s7
	v_cmp_eq_u32_e64 s18, 3, v71
	v_div_fmas_f32 v95, v97, v103, v101
	v_cmp_eq_u32_e32 vcc_lo, 3, v70
	v_cmp_eq_u32_e64 s3, 4, v70
	v_cmp_eq_u32_e64 s19, 4, v72
	;; [unrolled: 1-line block ×3, first 2 shown]
	v_div_fixup_f32 v95, v95, v74, 1.0
	v_lshlrev_b32_e32 v73, 6, v68
	v_cmp_eq_u32_e64 s6, 5, v70
	v_cmp_eq_u32_e64 s20, 5, v72
	;; [unrolled: 1-line block ×3, first 2 shown]
	v_mul_f32_e32 v102, v94, v95
	v_lshl_or_b32 v75, v69, 11, v73
	v_or_b32_e32 v69, 2, v70
	v_cmp_eq_u32_e64 s25, 6, v72
	v_cmp_eq_u32_e64 s27, 6, v71
	v_fma_mixlo_f16 v94, v102, v79, 0
	v_fma_mixlo_f16 v95, v102, v81, 0
	;; [unrolled: 1-line block ×8, first 2 shown]
	v_lshl_or_b32 v74, v66, 4, v75
	v_fma_mixhi_f16 v94, v102, v78, 0
	v_fma_mixhi_f16 v95, v102, v80, 0
	;; [unrolled: 1-line block ×8, first 2 shown]
	ds_store_b128 v74, v[94:97]
	ds_store_b128 v74, v[98:101] offset:1024
	s_waitcnt lgkmcnt(0)
	s_barrier
	buffer_gl0_inv
	ds_load_b128 v[78:81], v75
	ds_load_b128 v[82:85], v75 offset:16
	ds_load_b128 v[86:89], v75 offset:1024
	ds_load_b128 v[90:93], v75 offset:1040
	v_cmp_eq_u32_e64 s10, 1, v69
	v_cmp_eq_u32_e64 s15, 2, v69
	v_cmp_eq_u32_e64 s17, 3, v69
	v_cmp_eq_u32_e64 s21, 4, v69
	v_cmp_eq_u32_e64 s23, 5, v69
	v_cmp_eq_u32_e64 s7, 6, v70
	v_cmp_eq_u32_e64 s26, 6, v69
	v_cmp_eq_u32_e64 s29, 7, v71
	v_cmp_eq_u32_e64 s30, 7, v72
	v_cmp_eq_u32_e64 s8, 7, v70
	v_cmp_eq_u32_e64 s28, 7, v69
	s_waitcnt lgkmcnt(3)
	v_lshrrev_b32_e32 v94, 16, v78
	s_waitcnt lgkmcnt(2)
	v_lshrrev_b32_e32 v98, 16, v82
	;; [unrolled: 2-line block ×4, first 2 shown]
	v_lshrrev_b32_e32 v95, 16, v79
	v_cndmask_b32_e64 v110, v78, v94, s4
	v_cndmask_b32_e64 v111, v82, v98, s4
	;; [unrolled: 1-line block ×8, first 2 shown]
	v_lshrrev_b32_e32 v99, 16, v83
	v_cndmask_b32_e64 v94, v86, v102, s4
	v_cndmask_b32_e64 v98, v90, v106, s4
	;; [unrolled: 1-line block ×15, first 2 shown]
	v_lshrrev_b32_e32 v103, 16, v87
	v_lshrrev_b32_e32 v107, 16, v91
	v_cndmask_b32_e64 v113, v115, v83, s15
	v_cndmask_b32_e64 v82, v94, v87, s5
	;; [unrolled: 1-line block ×7, first 2 shown]
	v_cndmask_b32_e32 v90, v102, v95, vcc_lo
	v_cndmask_b32_e32 v102, v106, v99, vcc_lo
	v_cndmask_b32_e64 v106, v110, v95, s13
	v_cndmask_b32_e64 v110, v111, v99, s13
	;; [unrolled: 1-line block ×4, first 2 shown]
	v_lshrrev_b32_e32 v96, 16, v80
	v_lshrrev_b32_e32 v100, 16, v84
	v_cndmask_b32_e64 v111, v112, v95, s17
	v_cndmask_b32_e64 v112, v113, v99, s17
	v_cndmask_b32_e32 v82, v82, v103, vcc_lo
	v_cndmask_b32_e32 v83, v83, v107, vcc_lo
	v_cndmask_b32_e64 v94, v94, v103, s13
	v_cndmask_b32_e64 v90, v90, v80, s3
	;; [unrolled: 1-line block ×7, first 2 shown]
	v_lshrrev_b32_e32 v104, 16, v88
	v_cndmask_b32_e64 v106, v111, v80, s21
	v_cndmask_b32_e64 v110, v112, v84, s21
	;; [unrolled: 1-line block ×11, first 2 shown]
	v_lshrrev_b32_e32 v97, 16, v81
	v_lshrrev_b32_e32 v101, 16, v85
	v_cndmask_b32_e64 v99, v106, v96, s23
	v_cndmask_b32_e64 v102, v110, v100, s23
	;; [unrolled: 1-line block ×7, first 2 shown]
	v_lshrrev_b32_e32 v105, 16, v89
	v_cndmask_b32_e64 v80, v80, v104, s6
	v_cndmask_b32_e64 v84, v84, v81, s7
	;; [unrolled: 1-line block ×16, first 2 shown]
	v_perm_b32 v81, v79, v78, 0x5040100
	v_perm_b32 v79, v95, v85, 0x5040100
	v_cndmask_b32_e64 v78, v119, v91, s15
	v_cndmask_b32_e64 v85, v117, v91, s12
	;; [unrolled: 1-line block ×3, first 2 shown]
	v_perm_b32 v80, v94, v90, 0x5040100
	v_cndmask_b32_e64 v90, v98, v103, s17
	v_cndmask_b32_e64 v86, v86, v103, s18
	;; [unrolled: 1-line block ×5, first 2 shown]
	v_lshrrev_b32_e32 v108, 16, v92
	v_cndmask_b32_e64 v90, v90, v88, s21
	v_cndmask_b32_e64 v86, v86, v88, s22
	;; [unrolled: 1-line block ×11, first 2 shown]
	v_lshrrev_b32_e32 v109, 16, v93
	v_cndmask_b32_e64 v82, v82, v93, s7
	v_cndmask_b32_e64 v88, v88, v89, s26
	;; [unrolled: 1-line block ×12, first 2 shown]
	v_perm_b32 v78, v84, v83, 0x5040100
	v_perm_b32 v85, v87, v86, 0x5040100
	;; [unrolled: 1-line block ×5, first 2 shown]
	s_mul_i32 s8, s33, 9
	s_mov_b32 s3, exec_lo
	ds_store_b128 v74, v[78:81]
	ds_store_b128 v74, v[82:85] offset:1024
	v_cmpx_gt_u32_e32 9, v0
	s_cbranch_execz .LBB1222_14
; %bb.13:
	s_mul_i32 s4, s8, s34
	s_delay_alu instid0(SALU_CYCLE_1) | instskip(SKIP_1) | instid1(VALU_DEP_1)
	v_add3_u32 v68, s4, s31, v68
	s_load_b128 s[4:7], s[0:1], 0x58
	v_mad_u64_u32 v[78:79], null, v68, s35, s[14:15]
	s_delay_alu instid0(VALU_DEP_1) | instskip(NEXT) | instid1(VALU_DEP_1)
	v_ashrrev_i32_e32 v79, 31, v78
	v_lshlrev_b64 v[78:79], 2, v[78:79]
	s_waitcnt lgkmcnt(0)
	s_delay_alu instid0(VALU_DEP_1) | instskip(NEXT) | instid1(VALU_DEP_2)
	v_add_co_u32 v80, vcc_lo, s6, v78
	v_add_co_ci_u32_e32 v81, vcc_lo, s7, v79, vcc_lo
	v_add_co_u32 v78, vcc_lo, s4, v78
	v_add_co_ci_u32_e32 v79, vcc_lo, s5, v79, vcc_lo
	global_store_b32 v[80:81], v76, off
	global_store_b32 v[78:79], v77, off
.LBB1222_14:
	s_or_b32 exec_lo, exec_lo, s3
	s_waitcnt lgkmcnt(0)
	s_waitcnt_vscnt null, 0x0
	s_barrier
	buffer_gl0_inv
	ds_load_b128 v[84:87], v73
	ds_load_b128 v[88:91], v73 offset:16
	ds_load_b128 v[96:99], v73 offset:2064
	;; [unrolled: 1-line block ×5, first 2 shown]
	v_cmp_eq_u32_e32 vcc_lo, 1, v70
	v_mov_b32_e32 v76, 0
	ds_load_b128 v[112:115], v73 offset:6160
	ds_load_b128 v[108:111], v73 offset:6144
	;; [unrolled: 1-line block ×4, first 2 shown]
	v_cmp_eq_u32_e64 s4, 1, v69
	v_cmp_eq_u32_e64 s3, 1, v72
	;; [unrolled: 1-line block ×3, first 2 shown]
	v_mov_b32_e32 v77, v76
	v_mov_b32_e32 v78, v76
	;; [unrolled: 1-line block ×7, first 2 shown]
	v_cmp_eq_u32_e64 s6, 3, v72
	v_cmp_eq_u32_e64 s7, 7, v72
	s_waitcnt lgkmcnt(8)
	s_delay_alu instid0(VALU_DEP_3)
	v_wmma_f32_16x16x16_f16 v[76:83], v[49:56], v[84:91], v[76:83]
	ds_load_b128 v[53:56], v73 offset:10256
	ds_load_b128 v[49:52], v73 offset:10240
	s_waitcnt lgkmcnt(8)
	v_wmma_f32_16x16x16_f16 v[76:83], v[41:48], v[92:99], v[76:83]
	ds_load_b128 v[45:48], v73 offset:12304
	ds_load_b128 v[41:44], v73 offset:12288
	s_waitcnt lgkmcnt(8)
	;; [unrolled: 4-line block ×3, first 2 shown]
	s_barrier
	buffer_gl0_inv
	v_wmma_f32_16x16x16_f16 v[76:83], v[1:8], v[108:115], v[76:83]
	s_delay_alu instid0(VALU_DEP_1) | instskip(NEXT) | instid1(VALU_DEP_1)
	v_wmma_f32_16x16x16_f16 v[76:83], v[9:16], v[116:123], v[76:83]
	v_wmma_f32_16x16x16_f16 v[76:83], v[17:24], v[49:56], v[76:83]
	s_delay_alu instid0(VALU_DEP_1) | instskip(NEXT) | instid1(VALU_DEP_1)
	v_wmma_f32_16x16x16_f16 v[76:83], v[25:32], v[41:48], v[76:83]
	v_wmma_f32_16x16x16_f16 v[76:83], v[57:64], v[33:40], v[76:83]
	s_delay_alu instid0(VALU_DEP_1) | instskip(NEXT) | instid1(VALU_DEP_2)
	v_cvt_f16_f32_e32 v1, v76
	v_cvt_f16_f32_e32 v2, v77
	s_delay_alu instid0(VALU_DEP_3) | instskip(NEXT) | instid1(VALU_DEP_4)
	v_cvt_f16_f32_e32 v3, v78
	v_cvt_f16_f32_e32 v4, v79
	;; [unrolled: 1-line block ×6, first 2 shown]
	v_pack_b32_f16 v1, v1, v2
	v_pack_b32_f16 v2, v3, v4
	;; [unrolled: 1-line block ×3, first 2 shown]
	s_delay_alu instid0(VALU_DEP_4)
	v_pack_b32_f16 v4, v7, v8
	ds_store_b128 v74, v[1:4]
	s_waitcnt lgkmcnt(0)
	s_barrier
	buffer_gl0_inv
	ds_load_b128 v[1:4], v75
	ds_load_b128 v[5:8], v75 offset:16
	s_waitcnt lgkmcnt(1)
	v_lshrrev_b32_e32 v9, 16, v1
	s_waitcnt lgkmcnt(0)
	v_lshrrev_b32_e32 v13, 16, v5
	v_lshrrev_b32_e32 v10, 16, v2
	;; [unrolled: 1-line block ×4, first 2 shown]
	v_cndmask_b32_e32 v17, v1, v9, vcc_lo
	v_cndmask_b32_e32 v18, v5, v13, vcc_lo
	v_cndmask_b32_e64 v21, v1, v9, s4
	v_cmp_eq_u32_e32 vcc_lo, 1, v71
	v_cndmask_b32_e64 v22, v5, v13, s4
	v_cmp_eq_u32_e64 s4, 2, v70
	v_cndmask_b32_e64 v19, v1, v9, s3
	v_cndmask_b32_e64 v20, v5, v13, s3
	v_cndmask_b32_e32 v1, v1, v9, vcc_lo
	v_cmp_eq_u32_e64 s3, 2, v71
	v_cndmask_b32_e32 v5, v5, v13, vcc_lo
	v_cndmask_b32_e64 v9, v17, v2, s4
	v_cmp_eq_u32_e32 vcc_lo, 3, v70
	v_cndmask_b32_e64 v13, v18, v6, s4
	v_cmp_eq_u32_e64 s4, 2, v69
	v_cndmask_b32_e64 v17, v19, v2, s5
	v_cndmask_b32_e64 v18, v20, v6, s5
	v_cmp_eq_u32_e64 s5, 3, v69
	v_cndmask_b32_e64 v1, v1, v2, s3
	v_cndmask_b32_e64 v19, v21, v2, s4
	;; [unrolled: 1-line block ×4, first 2 shown]
	v_cndmask_b32_e32 v5, v9, v10, vcc_lo
	v_cndmask_b32_e32 v6, v13, v14, vcc_lo
	v_cmp_eq_u32_e32 vcc_lo, 3, v71
	v_cndmask_b32_e64 v9, v17, v10, s6
	v_cndmask_b32_e64 v13, v18, v14, s6
	;; [unrolled: 1-line block ×3, first 2 shown]
	v_cmp_eq_u32_e64 s4, 4, v70
	v_cndmask_b32_e32 v1, v1, v10, vcc_lo
	v_cndmask_b32_e32 v2, v2, v14, vcc_lo
	v_cmp_eq_u32_e32 vcc_lo, 4, v72
	v_lshrrev_b32_e32 v15, 16, v7
	v_lshrrev_b32_e32 v16, 16, v8
	v_cndmask_b32_e64 v17, v19, v10, s5
	v_cmp_eq_u32_e64 s3, 4, v71
	v_cndmask_b32_e64 v5, v5, v3, s4
	v_cndmask_b32_e64 v6, v6, v7, s4
	v_cndmask_b32_e32 v9, v9, v3, vcc_lo
	v_cmp_eq_u32_e64 s4, 5, v72
	v_cndmask_b32_e32 v10, v13, v7, vcc_lo
	v_cmp_eq_u32_e32 vcc_lo, 4, v69
	v_cmp_eq_u32_e64 s5, 5, v70
	v_cndmask_b32_e64 v2, v2, v7, s3
	v_cndmask_b32_e64 v9, v9, v11, s4
	;; [unrolled: 1-line block ×3, first 2 shown]
	v_cndmask_b32_e32 v13, v17, v3, vcc_lo
	v_cmp_eq_u32_e64 s4, 5, v69
	v_cndmask_b32_e32 v14, v18, v7, vcc_lo
	v_cndmask_b32_e64 v1, v1, v3, s3
	v_cmp_eq_u32_e32 vcc_lo, 5, v71
	v_lshrrev_b32_e32 v12, 16, v4
	v_cndmask_b32_e64 v13, v13, v11, s4
	v_cndmask_b32_e64 v3, v14, v15, s4
	v_cmp_eq_u32_e64 s4, 6, v71
	v_cndmask_b32_e32 v1, v1, v11, vcc_lo
	v_cndmask_b32_e64 v5, v5, v11, s5
	v_cmp_eq_u32_e64 s6, 6, v70
	v_cndmask_b32_e64 v6, v6, v15, s5
	v_cmp_eq_u32_e64 s5, 6, v72
	v_cmp_eq_u32_e64 s3, 6, v69
	v_cndmask_b32_e64 v1, v1, v4, s4
	v_cndmask_b32_e32 v2, v2, v15, vcc_lo
	v_cmp_eq_u32_e32 vcc_lo, 7, v71
	v_cndmask_b32_e64 v5, v5, v4, s6
	v_cndmask_b32_e64 v9, v9, v4, s5
	;; [unrolled: 1-line block ×3, first 2 shown]
	v_cmp_eq_u32_e64 s6, 7, v70
	v_cndmask_b32_e32 v1, v1, v12, vcc_lo
	v_cndmask_b32_e64 v7, v13, v4, s3
	v_cndmask_b32_e64 v3, v3, v8, s3
	;; [unrolled: 1-line block ×3, first 2 shown]
	v_cmp_eq_u32_e64 s3, 7, v69
	v_cndmask_b32_e64 v4, v10, v8, s5
	v_cndmask_b32_e64 v5, v5, v12, s6
	v_cndmask_b32_e64 v9, v9, v12, s7
	v_cndmask_b32_e32 v2, v2, v16, vcc_lo
	v_cndmask_b32_e64 v7, v7, v12, s3
	v_cndmask_b32_e64 v3, v3, v16, s3
	v_cndmask_b32_e64 v8, v4, v16, s7
	v_cndmask_b32_e64 v6, v6, v16, s6
	v_perm_b32 v4, v2, v1, 0x5040100
	s_mov_b32 s3, exec_lo
	v_perm_b32 v3, v3, v7, 0x5040100
	v_perm_b32 v2, v8, v9, 0x5040100
	;; [unrolled: 1-line block ×3, first 2 shown]
	ds_store_b128 v74, v[1:4]
	s_waitcnt lgkmcnt(0)
	s_barrier
	buffer_gl0_inv
	v_cmpx_gt_u32_e32 32, v0
	s_cbranch_execz .LBB1222_2
; %bb.15:
	s_load_b64 s[4:5], s[0:1], 0x68
	v_lshlrev_b32_e32 v0, 10, v0
	v_lshlrev_b32_e32 v1, 4, v67
	s_lshl_b32 s0, s35, 7
	v_add_nc_u32_e32 v2, s31, v66
	s_mul_i32 s1, s0, s34
	s_delay_alu instid0(SALU_CYCLE_1) | instskip(SKIP_1) | instid1(VALU_DEP_2)
	s_mul_i32 s6, s1, s8
	v_and_or_b32 v0, 0x3800, v0, v1
	v_mul_lo_u32 v1, v2, s0
	s_ashr_i32 s7, s6, 31
	v_add_nc_u32_e32 v3, 2, v2
	s_lshl_b64 s[6:7], s[6:7], 1
	v_add_nc_u32_e32 v4, 4, v2
	v_add_nc_u32_e32 v5, 6, v2
	v_lshl_or_b32 v15, v66, 6, v0
	v_mul_lo_u32 v3, v3, s0
	v_ashrrev_i32_e32 v2, 31, v1
	v_mul_lo_u32 v19, v4, s0
	v_mul_lo_u32 v21, v5, s0
	s_waitcnt lgkmcnt(0)
	s_add_u32 s1, s4, s6
	s_addc_u32 s3, s5, s7
	s_lshl_b32 s4, s14, 7
	v_lshlrev_b64 v[5:6], 1, v[1:2]
	s_ashr_i32 s5, s4, 31
	v_ashrrev_i32_e32 v4, 31, v3
	s_lshl_b64 s[4:5], s[4:5], 1
	v_ashrrev_i32_e32 v20, 31, v19
	s_add_u32 s1, s1, s4
	s_addc_u32 s3, s3, s5
	v_add_co_u32 v1, s1, s1, v65
	s_delay_alu instid0(VALU_DEP_1) | instskip(SKIP_1) | instid1(VALU_DEP_3)
	v_add_co_ci_u32_e64 v2, null, s3, 0, s1
	v_lshlrev_b64 v[25:26], 1, v[3:4]
	v_add_co_u32 v23, vcc_lo, v1, v5
	s_delay_alu instid0(VALU_DEP_3)
	v_add_co_ci_u32_e32 v24, vcc_lo, v2, v6, vcc_lo
	ds_load_b128 v[3:6], v15
	ds_load_b128 v[7:10], v15 offset:128
	ds_load_b128 v[11:14], v15 offset:256
	;; [unrolled: 1-line block ×3, first 2 shown]
	v_ashrrev_i32_e32 v22, 31, v21
	v_lshlrev_b64 v[19:20], 1, v[19:20]
	v_add_co_u32 v25, vcc_lo, v1, v25
	v_add_co_ci_u32_e32 v26, vcc_lo, v2, v26, vcc_lo
	s_delay_alu instid0(VALU_DEP_4) | instskip(NEXT) | instid1(VALU_DEP_4)
	v_lshlrev_b64 v[21:22], 1, v[21:22]
	v_add_co_u32 v19, vcc_lo, v1, v19
	v_add_co_ci_u32_e32 v20, vcc_lo, v2, v20, vcc_lo
	s_delay_alu instid0(VALU_DEP_3) | instskip(NEXT) | instid1(VALU_DEP_4)
	v_add_co_u32 v21, vcc_lo, v1, v21
	v_add_co_ci_u32_e32 v22, vcc_lo, v2, v22, vcc_lo
	s_waitcnt lgkmcnt(3)
	global_store_b128 v[23:24], v[3:6], off
	s_waitcnt lgkmcnt(2)
	global_store_b128 v[25:26], v[7:10], off
	;; [unrolled: 2-line block ×4, first 2 shown]
	s_and_b32 exec_lo, exec_lo, s2
	s_cbranch_execz .LBB1222_2
; %bb.16:
	ds_load_b128 v[3:6], v0 offset:512
	s_add_i32 s1, s31, 8
	s_delay_alu instid0(SALU_CYCLE_1) | instskip(NEXT) | instid1(SALU_CYCLE_1)
	s_mul_i32 s0, s1, s0
	s_ashr_i32 s1, s0, 31
	s_delay_alu instid0(SALU_CYCLE_1) | instskip(NEXT) | instid1(SALU_CYCLE_1)
	s_lshl_b64 s[0:1], s[0:1], 1
	v_add_co_u32 v0, vcc_lo, v1, s0
	v_add_co_ci_u32_e32 v1, vcc_lo, s1, v2, vcc_lo
	s_waitcnt lgkmcnt(0)
	global_store_b128 v[0:1], v[3:6], off
	s_nop 0
	s_sendmsg sendmsg(MSG_DEALLOC_VGPRS)
	s_endpgm
	.section	.rodata,"a",@progbits
	.p2align	6, 0x0
	.amdhsa_kernel _Z39paged_attention_ll4mi_QKV_mfma16_kernelIDF16_hLN4vllm18Fp8KVCacheDataTypeE1EhLi16ELi128ELi256ELb1ELi9EL8MFMAType0EEvPKT_PKT0_S8_ifPKiSA_SA_iPKfiiiPfSD_PS3_PT2_iSC_SC_
		.amdhsa_group_segment_fixed_size 17472
		.amdhsa_private_segment_fixed_size 0
		.amdhsa_kernarg_size 400
		.amdhsa_user_sgpr_count 13
		.amdhsa_user_sgpr_dispatch_ptr 0
		.amdhsa_user_sgpr_queue_ptr 0
		.amdhsa_user_sgpr_kernarg_segment_ptr 1
		.amdhsa_user_sgpr_dispatch_id 0
		.amdhsa_user_sgpr_private_segment_size 0
		.amdhsa_wavefront_size32 1
		.amdhsa_uses_dynamic_stack 0
		.amdhsa_enable_private_segment 0
		.amdhsa_system_sgpr_workgroup_id_x 1
		.amdhsa_system_sgpr_workgroup_id_y 1
		.amdhsa_system_sgpr_workgroup_id_z 1
		.amdhsa_system_sgpr_workgroup_info 0
		.amdhsa_system_vgpr_workitem_id 0
		.amdhsa_next_free_vgpr 150
		.amdhsa_next_free_sgpr 36
		.amdhsa_reserve_vcc 1
		.amdhsa_float_round_mode_32 0
		.amdhsa_float_round_mode_16_64 0
		.amdhsa_float_denorm_mode_32 3
		.amdhsa_float_denorm_mode_16_64 3
		.amdhsa_dx10_clamp 1
		.amdhsa_ieee_mode 1
		.amdhsa_fp16_overflow 0
		.amdhsa_workgroup_processor_mode 1
		.amdhsa_memory_ordered 1
		.amdhsa_forward_progress 0
		.amdhsa_shared_vgpr_count 0
		.amdhsa_exception_fp_ieee_invalid_op 0
		.amdhsa_exception_fp_denorm_src 0
		.amdhsa_exception_fp_ieee_div_zero 0
		.amdhsa_exception_fp_ieee_overflow 0
		.amdhsa_exception_fp_ieee_underflow 0
		.amdhsa_exception_fp_ieee_inexact 0
		.amdhsa_exception_int_div_zero 0
	.end_amdhsa_kernel
	.section	.text._Z39paged_attention_ll4mi_QKV_mfma16_kernelIDF16_hLN4vllm18Fp8KVCacheDataTypeE1EhLi16ELi128ELi256ELb1ELi9EL8MFMAType0EEvPKT_PKT0_S8_ifPKiSA_SA_iPKfiiiPfSD_PS3_PT2_iSC_SC_,"axG",@progbits,_Z39paged_attention_ll4mi_QKV_mfma16_kernelIDF16_hLN4vllm18Fp8KVCacheDataTypeE1EhLi16ELi128ELi256ELb1ELi9EL8MFMAType0EEvPKT_PKT0_S8_ifPKiSA_SA_iPKfiiiPfSD_PS3_PT2_iSC_SC_,comdat
.Lfunc_end1222:
	.size	_Z39paged_attention_ll4mi_QKV_mfma16_kernelIDF16_hLN4vllm18Fp8KVCacheDataTypeE1EhLi16ELi128ELi256ELb1ELi9EL8MFMAType0EEvPKT_PKT0_S8_ifPKiSA_SA_iPKfiiiPfSD_PS3_PT2_iSC_SC_, .Lfunc_end1222-_Z39paged_attention_ll4mi_QKV_mfma16_kernelIDF16_hLN4vllm18Fp8KVCacheDataTypeE1EhLi16ELi128ELi256ELb1ELi9EL8MFMAType0EEvPKT_PKT0_S8_ifPKiSA_SA_iPKfiiiPfSD_PS3_PT2_iSC_SC_
                                        ; -- End function
	.section	.AMDGPU.csdata,"",@progbits
; Kernel info:
; codeLenInByte = 6736
; NumSgprs: 38
; NumVgprs: 150
; ScratchSize: 0
; MemoryBound: 0
; FloatMode: 240
; IeeeMode: 1
; LDSByteSize: 17472 bytes/workgroup (compile time only)
; SGPRBlocks: 4
; VGPRBlocks: 18
; NumSGPRsForWavesPerEU: 38
; NumVGPRsForWavesPerEU: 150
; Occupancy: 9
; WaveLimiterHint : 1
; COMPUTE_PGM_RSRC2:SCRATCH_EN: 0
; COMPUTE_PGM_RSRC2:USER_SGPR: 13
; COMPUTE_PGM_RSRC2:TRAP_HANDLER: 0
; COMPUTE_PGM_RSRC2:TGID_X_EN: 1
; COMPUTE_PGM_RSRC2:TGID_Y_EN: 1
; COMPUTE_PGM_RSRC2:TGID_Z_EN: 1
; COMPUTE_PGM_RSRC2:TIDIG_COMP_CNT: 0
	.section	.text._Z39paged_attention_ll4mi_QKV_mfma16_kernelIDF16_hLN4vllm18Fp8KVCacheDataTypeE1EhLi16ELi128ELi256ELb1ELi10EL8MFMAType0EEvPKT_PKT0_S8_ifPKiSA_SA_iPKfiiiPfSD_PS3_PT2_iSC_SC_,"axG",@progbits,_Z39paged_attention_ll4mi_QKV_mfma16_kernelIDF16_hLN4vllm18Fp8KVCacheDataTypeE1EhLi16ELi128ELi256ELb1ELi10EL8MFMAType0EEvPKT_PKT0_S8_ifPKiSA_SA_iPKfiiiPfSD_PS3_PT2_iSC_SC_,comdat
	.protected	_Z39paged_attention_ll4mi_QKV_mfma16_kernelIDF16_hLN4vllm18Fp8KVCacheDataTypeE1EhLi16ELi128ELi256ELb1ELi10EL8MFMAType0EEvPKT_PKT0_S8_ifPKiSA_SA_iPKfiiiPfSD_PS3_PT2_iSC_SC_ ; -- Begin function _Z39paged_attention_ll4mi_QKV_mfma16_kernelIDF16_hLN4vllm18Fp8KVCacheDataTypeE1EhLi16ELi128ELi256ELb1ELi10EL8MFMAType0EEvPKT_PKT0_S8_ifPKiSA_SA_iPKfiiiPfSD_PS3_PT2_iSC_SC_
	.globl	_Z39paged_attention_ll4mi_QKV_mfma16_kernelIDF16_hLN4vllm18Fp8KVCacheDataTypeE1EhLi16ELi128ELi256ELb1ELi10EL8MFMAType0EEvPKT_PKT0_S8_ifPKiSA_SA_iPKfiiiPfSD_PS3_PT2_iSC_SC_
	.p2align	8
	.type	_Z39paged_attention_ll4mi_QKV_mfma16_kernelIDF16_hLN4vllm18Fp8KVCacheDataTypeE1EhLi16ELi128ELi256ELb1ELi10EL8MFMAType0EEvPKT_PKT0_S8_ifPKiSA_SA_iPKfiiiPfSD_PS3_PT2_iSC_SC_,@function
_Z39paged_attention_ll4mi_QKV_mfma16_kernelIDF16_hLN4vllm18Fp8KVCacheDataTypeE1EhLi16ELi128ELi256ELb1ELi10EL8MFMAType0EEvPKT_PKT0_S8_ifPKiSA_SA_iPKfiiiPfSD_PS3_PT2_iSC_SC_: ; @_Z39paged_attention_ll4mi_QKV_mfma16_kernelIDF16_hLN4vllm18Fp8KVCacheDataTypeE1EhLi16ELi128ELi256ELb1ELi10EL8MFMAType0EEvPKT_PKT0_S8_ifPKiSA_SA_iPKfiiiPfSD_PS3_PT2_iSC_SC_
; %bb.0:
	s_load_b64 s[4:5], s[0:1], 0x30
	s_mov_b32 s30, s13
	s_waitcnt lgkmcnt(0)
	s_cmp_lg_u64 s[4:5], 0
	s_cselect_b32 s8, -1, 0
	s_ashr_i32 s31, s13, 31
	s_cmp_eq_u64 s[4:5], 0
	s_cbranch_scc1 .LBB1223_3
; %bb.1:
	s_lshl_b64 s[2:3], s[30:31], 2
	s_delay_alu instid0(SALU_CYCLE_1) | instskip(SKIP_4) | instid1(SALU_CYCLE_1)
	s_add_u32 s2, s4, s2
	s_addc_u32 s3, s5, s3
	s_load_b64 s[2:3], s[2:3], 0x0
	s_waitcnt lgkmcnt(0)
	s_sub_i32 s2, s3, s2
	s_cmp_eq_u32 s2, 1
	s_cselect_b32 s2, -1, 0
	s_delay_alu instid0(SALU_CYCLE_1)
	s_and_not1_b32 vcc_lo, exec_lo, s2
	s_cbranch_vccz .LBB1223_4
.LBB1223_2:
	s_endpgm
.LBB1223_3:
.LBB1223_4:
	s_load_b64 s[2:3], s[0:1], 0x28
	s_lshl_b64 s[6:7], s[30:31], 2
	s_waitcnt lgkmcnt(0)
	s_add_u32 s2, s2, s6
	s_addc_u32 s3, s3, s7
	s_lshl_b32 s12, s14, 8
	s_load_b32 s24, s[2:3], 0x0
	s_waitcnt lgkmcnt(0)
	s_cmp_ge_i32 s12, s24
	s_cbranch_scc1 .LBB1223_2
; %bb.5:
	s_clause 0x1
	s_load_b128 s[20:23], s[0:1], 0x8
	s_load_b64 s[2:3], s[0:1], 0x20
	s_and_not1_b32 vcc_lo, exec_lo, s8
	s_cbranch_vccnz .LBB1223_7
; %bb.6:
	s_add_u32 s4, s4, s6
	s_addc_u32 s5, s5, s7
	s_load_b32 s5, s[4:5], 0x0
	s_branch .LBB1223_8
.LBB1223_7:
	s_mov_b32 s5, s30
.LBB1223_8:
	s_load_b128 s[16:19], s[0:1], 0x48
	v_and_b32_e32 v68, 15, v0
	v_lshrrev_b32_e32 v69, 5, v0
	v_and_b32_e32 v70, 31, v0
	v_and_b32_e32 v67, 1, v0
	v_bfe_u32 v66, v0, 4, 1
	v_lshlrev_b32_e32 v1, 3, v68
	s_mul_i32 s31, s15, 10
	s_mov_b32 s4, exec_lo
	s_delay_alu instid0(VALU_DEP_1)
	v_lshlrev_b32_e32 v65, 1, v1
	v_cmpx_gt_u32_e32 0xa0, v0
	s_cbranch_execz .LBB1223_10
; %bb.9:
	s_load_b64 s[6:7], s[0:1], 0x0
	v_lshl_or_b32 v5, v69, 1, v66
	s_waitcnt lgkmcnt(0)
	s_mul_hi_i32 s9, s5, s16
	s_mul_i32 s8, s5, s16
	v_lshlrev_b32_e32 v6, 10, v68
	s_lshl_b64 s[8:9], s[8:9], 1
	v_add_lshl_u32 v1, v5, s31, 7
	v_lshlrev_b32_e32 v5, 6, v5
	v_lshlrev_b32_e32 v7, 10, v67
	v_and_b32_e32 v6, 0x3800, v6
	s_delay_alu instid0(VALU_DEP_4) | instskip(NEXT) | instid1(VALU_DEP_2)
	v_ashrrev_i32_e32 v2, 31, v1
	v_or3_b32 v5, v6, v7, v5
	s_delay_alu instid0(VALU_DEP_2) | instskip(SKIP_2) | instid1(VALU_DEP_1)
	v_lshlrev_b64 v[1:2], 1, v[1:2]
	s_add_u32 s5, s6, s8
	s_addc_u32 s6, s7, s9
	v_add_co_u32 v1, vcc_lo, s5, v1
	s_delay_alu instid0(VALU_DEP_2) | instskip(NEXT) | instid1(VALU_DEP_2)
	v_add_co_ci_u32_e32 v2, vcc_lo, s6, v2, vcc_lo
	v_add_co_u32 v1, vcc_lo, v1, v65
	s_delay_alu instid0(VALU_DEP_2)
	v_add_co_ci_u32_e32 v2, vcc_lo, 0, v2, vcc_lo
	global_load_b128 v[1:4], v[1:2], off
	s_waitcnt vmcnt(0)
	ds_store_b128 v5, v[1:4]
.LBB1223_10:
	s_or_b32 exec_lo, exec_lo, s4
	v_and_b32_e32 v1, 0xef, v0
	s_waitcnt lgkmcnt(0)
	s_add_i32 s5, s24, 15
	s_clause 0x1
	s_load_b32 s4, s[0:1], 0x38
	s_load_b32 s33, s[0:1], 0x98
	s_ashr_i32 s6, s5, 31
	v_add_nc_u32_e32 v1, s12, v1
	s_lshr_b32 s6, s6, 28
	s_load_b32 s19, s[0:1], 0x1c
	s_add_i32 s5, s5, s6
	s_waitcnt lgkmcnt(0)
	v_ashrrev_i32_e32 v2, 31, v1
	v_or_b32_e32 v3, 16, v1
	s_ashr_i32 s13, s5, 4
	v_cmp_gt_i32_e32 vcc_lo, s24, v1
	s_add_i32 s13, s13, -1
	v_lshrrev_b32_e32 v2, 28, v2
	s_barrier
	buffer_gl0_inv
	s_mul_i32 s15, s15, s18
	v_add_nc_u32_e32 v4, v1, v2
	s_mul_i32 s4, s30, s4
	s_delay_alu instid0(SALU_CYCLE_1) | instskip(NEXT) | instid1(VALU_DEP_1)
	s_ashr_i32 s5, s4, 31
	v_ashrrev_i32_e32 v4, 4, v4
	v_add_nc_u32_e32 v2, v3, v2
	s_lshl_b64 s[4:5], s[4:5], 2
	s_delay_alu instid0(SALU_CYCLE_1) | instskip(NEXT) | instid1(VALU_DEP_2)
	s_add_u32 s16, s2, s4
	v_cndmask_b32_e32 v1, s13, v4, vcc_lo
	s_delay_alu instid0(VALU_DEP_2)
	v_ashrrev_i32_e32 v2, 4, v2
	v_cmp_gt_i32_e32 vcc_lo, s24, v3
	s_addc_u32 s25, s3, s5
	s_ashr_i32 s18, s15, 31
	s_add_u32 s26, s20, s15
	s_addc_u32 s27, s21, s18
	v_cndmask_b32_e32 v3, s13, v2, vcc_lo
	v_ashrrev_i32_e32 v2, 31, v1
	s_lshl_b32 s2, s14, 4
	s_delay_alu instid0(SALU_CYCLE_1) | instskip(NEXT) | instid1(VALU_DEP_2)
	s_ashr_i32 s3, s2, 31
	v_ashrrev_i32_e32 v4, 31, v3
	s_delay_alu instid0(VALU_DEP_2) | instskip(SKIP_1) | instid1(SALU_CYCLE_1)
	v_lshlrev_b64 v[1:2], 2, v[1:2]
	s_lshl_b64 s[2:3], s[2:3], 2
	s_add_u32 s2, s16, s2
	s_delay_alu instid0(VALU_DEP_2) | instskip(SKIP_1) | instid1(VALU_DEP_2)
	v_lshlrev_b64 v[3:4], 2, v[3:4]
	s_addc_u32 s3, s25, s3
	v_add_co_u32 v1, vcc_lo, s16, v1
	v_add_co_ci_u32_e32 v2, vcc_lo, s25, v2, vcc_lo
	s_delay_alu instid0(VALU_DEP_3) | instskip(NEXT) | instid1(VALU_DEP_4)
	v_add_co_u32 v3, vcc_lo, s16, v3
	v_add_co_ci_u32_e32 v4, vcc_lo, s25, v4, vcc_lo
	s_clause 0x1
	global_load_b32 v5, v[1:2], off
	global_load_b32 v7, v[3:4], off
	s_or_b32 s4, s12, 32
	v_lshlrev_b32_e32 v1, 4, v0
	s_ashr_i32 s5, s4, 4
	s_cmp_lt_i32 s4, s24
	v_cmp_gt_u32_e32 vcc_lo, 10, v68
	s_cselect_b32 s4, s5, s13
	v_and_b32_e32 v1, 0xf0, v1
	s_ashr_i32 s5, s4, 31
	s_delay_alu instid0(SALU_CYCLE_1) | instskip(NEXT) | instid1(SALU_CYCLE_1)
	s_lshl_b64 s[4:5], s[4:5], 2
	s_add_u32 s4, s16, s4
	s_addc_u32 s5, s25, s5
	s_or_b32 s6, s12, 64
	v_add_co_u32 v1, s26, s26, v1
	s_ashr_i32 s7, s6, 4
	s_cmp_lt_i32 s6, s24
	v_add_co_ci_u32_e64 v2, null, s27, 0, s26
	s_cselect_b32 s6, s7, s13
	s_delay_alu instid0(SALU_CYCLE_1) | instskip(NEXT) | instid1(SALU_CYCLE_1)
	s_ashr_i32 s7, s6, 31
	s_lshl_b64 s[6:7], s[6:7], 2
	s_delay_alu instid0(SALU_CYCLE_1) | instskip(SKIP_2) | instid1(SALU_CYCLE_1)
	s_add_u32 s6, s16, s6
	s_addc_u32 s7, s25, s7
	s_or_b32 s8, s12, 0x60
	s_ashr_i32 s9, s8, 4
	s_cmp_lt_i32 s8, s24
	s_cselect_b32 s8, s9, s13
	s_delay_alu instid0(SALU_CYCLE_1) | instskip(NEXT) | instid1(SALU_CYCLE_1)
	s_ashr_i32 s9, s8, 31
	s_lshl_b64 s[8:9], s[8:9], 2
	s_delay_alu instid0(SALU_CYCLE_1) | instskip(SKIP_2) | instid1(SALU_CYCLE_1)
	s_add_u32 s8, s16, s8
	s_addc_u32 s9, s25, s9
	s_or_b32 s10, s12, 0x80
	s_ashr_i32 s11, s10, 4
	s_cmp_lt_i32 s10, s24
	;; [unrolled: 10-line block ×3, first 2 shown]
	s_cselect_b32 s20, s21, s13
	s_delay_alu instid0(SALU_CYCLE_1) | instskip(NEXT) | instid1(SALU_CYCLE_1)
	s_ashr_i32 s21, s20, 31
	s_lshl_b64 s[20:21], s[20:21], 2
	s_delay_alu instid0(SALU_CYCLE_1)
	s_add_u32 s20, s16, s20
	s_addc_u32 s21, s25, s21
	s_clause 0x5
	s_load_b32 s26, s[2:3], 0x0
	s_load_b32 s27, s[4:5], 0x0
	;; [unrolled: 1-line block ×6, first 2 shown]
	s_or_b32 s2, s12, 0xc0
	s_mov_b32 s4, 0
	s_ashr_i32 s3, s2, 4
	s_cmp_lt_i32 s2, s24
	s_mov_b32 s11, s4
	s_cselect_b32 s2, s3, s13
	s_mov_b32 s5, s4
	s_ashr_i32 s3, s2, 31
	s_mov_b32 s6, s4
	s_lshl_b64 s[2:3], s[2:3], 2
	s_mov_b32 s7, s4
	s_add_u32 s2, s16, s2
	s_addc_u32 s3, s25, s3
	s_or_b32 s20, s12, 0xe0
	s_mov_b32 s8, s4
	s_ashr_i32 s21, s20, 4
	s_cmp_lt_i32 s20, s24
	s_mov_b32 s9, s4
	s_cselect_b32 s20, s21, s13
	s_mov_b32 s10, s4
	s_ashr_i32 s21, s20, 31
	v_mov_b32_e32 v118, s11
	v_dual_mov_b32 v112, s5 :: v_dual_mov_b32 v117, s10
	v_dual_mov_b32 v116, s9 :: v_dual_mov_b32 v115, s8
	;; [unrolled: 1-line block ×3, first 2 shown]
	v_mov_b32_e32 v111, s4
	s_lshl_b64 s[4:5], s[20:21], 2
	s_delay_alu instid0(SALU_CYCLE_1)
	s_add_u32 s4, s16, s4
	s_addc_u32 s5, s25, s5
	s_add_u32 s6, s22, s15
	s_addc_u32 s7, s23, s18
	s_waitcnt vmcnt(1)
	v_mad_i64_i32 v[3:4], null, v5, s17, v[1:2]
	s_waitcnt vmcnt(0)
	v_mad_i64_i32 v[5:6], null, v7, s17, v[1:2]
	v_add_nc_u32_e32 v1, -10, v68
	v_lshlrev_b32_e32 v2, 4, v68
	s_clause 0xf
	global_load_b128 v[17:20], v[3:4], off
	global_load_b128 v[21:24], v[3:4], off offset:256
	global_load_b128 v[25:28], v[5:6], off
	global_load_b128 v[29:32], v[5:6], off offset:256
	global_load_b128 v[57:60], v[3:4], off offset:512
	global_load_b128 v[61:64], v[3:4], off offset:768
	global_load_b128 v[71:74], v[5:6], off offset:512
	global_load_b128 v[75:78], v[5:6], off offset:768
	global_load_b128 v[79:82], v[3:4], off offset:1024
	global_load_b128 v[83:86], v[3:4], off offset:1280
	global_load_b128 v[87:90], v[5:6], off offset:1024
	global_load_b128 v[91:94], v[5:6], off offset:1280
	global_load_b128 v[95:98], v[3:4], off offset:1536
	global_load_b128 v[99:102], v[3:4], off offset:1792
	global_load_b128 v[103:106], v[5:6], off offset:1536
	global_load_b128 v[107:110], v[5:6], off offset:1792
	v_cndmask_b32_e32 v1, v1, v68, vcc_lo
	s_delay_alu instid0(VALU_DEP_1)
	v_lshlrev_b32_e32 v149, 6, v1
	v_lshl_or_b32 v1, v69, 8, v2
	ds_load_b128 v[119:122], v149
	ds_load_b128 v[123:126], v149 offset:1024
	ds_load_b128 v[127:130], v149 offset:2048
	;; [unrolled: 1-line block ×3, first 2 shown]
	s_clause 0x1
	s_load_b32 s2, s[2:3], 0x0
	s_load_b32 s3, s[4:5], 0x0
	v_add_co_u32 v135, s6, s6, v1
	s_delay_alu instid0(VALU_DEP_1) | instskip(SKIP_1) | instid1(VALU_DEP_1)
	v_add_co_ci_u32_e64 v136, null, s7, 0, s6
	s_waitcnt lgkmcnt(0)
	v_mad_i64_i32 v[1:2], null, s26, s17, v[135:136]
	v_mad_i64_i32 v[3:4], null, s27, s17, v[135:136]
	;; [unrolled: 1-line block ×6, first 2 shown]
	s_clause 0x9
	global_load_b128 v[49:52], v[1:2], off
	global_load_b128 v[53:56], v[1:2], off offset:16
	global_load_b128 v[41:44], v[3:4], off
	global_load_b128 v[45:48], v[3:4], off offset:16
	;; [unrolled: 2-line block ×5, first 2 shown]
	v_mad_i64_i32 v[145:146], null, s2, s17, v[135:136]
	v_mad_i64_i32 v[147:148], null, s3, s17, v[135:136]
	s_waitcnt vmcnt(24)
	v_wmma_f32_16x16x16_f16 v[135:142], v[17:24], v[119:126], v[111:118]
	s_waitcnt vmcnt(22)
	v_wmma_f32_16x16x16_f16 v[111:118], v[25:32], v[119:126], v[111:118]
	s_clause 0x3
	global_load_b128 v[17:20], v[143:144], off
	global_load_b128 v[21:24], v[143:144], off offset:16
	global_load_b128 v[25:28], v[145:146], off
	global_load_b128 v[29:32], v[145:146], off offset:16
	v_and_b32_e32 v119, 0xe0, v0
	s_waitcnt vmcnt(24)
	v_wmma_f32_16x16x16_f16 v[135:142], v[57:64], v[127:134], v[135:142]
	s_clause 0x1
	global_load_b128 v[57:60], v[147:148], off
	global_load_b128 v[61:64], v[147:148], off offset:16
	s_waitcnt vmcnt(24)
	v_wmma_f32_16x16x16_f16 v[111:118], v[71:78], v[127:134], v[111:118]
	ds_load_b128 v[71:74], v149 offset:4096
	ds_load_b128 v[75:78], v149 offset:5120
	v_add_nc_u32_e32 v128, s12, v119
	ds_load_b128 v[119:122], v149 offset:6144
	ds_load_b128 v[123:126], v149 offset:7168
	v_mbcnt_lo_u32_b32 v127, -1, 0
	s_waitcnt vmcnt(0) lgkmcnt(0)
	s_barrier
	v_or_b32_e32 v128, v128, v66
	buffer_gl0_inv
	v_xor_b32_e32 v129, 16, v127
	v_or_b32_e32 v130, 4, v128
	v_or_b32_e32 v131, 6, v128
	s_delay_alu instid0(VALU_DEP_3) | instskip(SKIP_4) | instid1(VALU_DEP_4)
	v_cmp_gt_i32_e32 vcc_lo, 32, v129
	v_or_b32_e32 v132, 8, v128
	v_or_b32_e32 v133, 10, v128
	v_cmp_gt_i32_e64 s3, s24, v130
	v_cmp_gt_i32_e64 s4, s24, v131
	;; [unrolled: 1-line block ×3, first 2 shown]
	v_wmma_f32_16x16x16_f16 v[135:142], v[79:86], v[71:78], v[135:142]
	v_wmma_f32_16x16x16_f16 v[111:118], v[87:94], v[71:78], v[111:118]
	v_or_b32_e32 v79, 12, v128
	v_or_b32_e32 v80, 14, v128
	v_cmp_gt_i32_e64 s6, s24, v133
	v_wmma_f32_16x16x16_f16 v[135:142], v[95:102], v[119:126], v[135:142]
	v_wmma_f32_16x16x16_f16 v[111:118], v[103:110], v[119:126], v[111:118]
	v_cndmask_b32_e32 v127, v127, v129, vcc_lo
	v_or_b32_e32 v129, 2, v128
	v_cmp_gt_i32_e32 vcc_lo, s24, v128
	v_mul_f32_e32 v88, s19, v135
	v_dual_mul_f32 v92, s19, v115 :: v_dual_mul_f32 v87, s19, v136
	s_delay_alu instid0(VALU_DEP_4)
	v_cmp_gt_i32_e64 s2, s24, v129
	v_mul_f32_e32 v78, s19, v138
	v_mul_f32_e32 v86, s19, v137
	v_cndmask_b32_e32 v88, 0xff7fffff, v88, vcc_lo
	v_mul_f32_e32 v76, s19, v140
	v_cndmask_b32_e64 v87, 0xff7fffff, v87, s2
	v_dual_mul_f32 v77, s19, v139 :: v_dual_mul_f32 v94, s19, v113
	v_cndmask_b32_e64 v86, 0xff7fffff, v86, s3
	v_cndmask_b32_e64 v78, 0xff7fffff, v78, s4
	s_delay_alu instid0(VALU_DEP_4)
	v_max3_f32 v87, v88, 0xff7fffff, v87
	v_or_b32_e32 v81, 16, v128
	v_or_b32_e32 v82, 18, v128
	v_dual_mul_f32 v74, s19, v142 :: v_dual_mul_f32 v75, s19, v141
	v_mul_f32_e32 v96, s19, v111
	v_cndmask_b32_e64 v77, 0xff7fffff, v77, s5
	v_cndmask_b32_e64 v76, 0xff7fffff, v76, s6
	v_max3_f32 v78, v87, v86, v78
	v_cmp_gt_i32_e64 s7, s24, v79
	v_cmp_gt_i32_e64 s8, s24, v80
	v_or_b32_e32 v83, 20, v128
	v_or_b32_e32 v84, 22, v128
	v_mul_f32_e32 v95, s19, v112
	v_cndmask_b32_e64 v75, 0xff7fffff, v75, s7
	v_cndmask_b32_e64 v74, 0xff7fffff, v74, s8
	v_max3_f32 v76, v78, v77, v76
	v_cmp_gt_i32_e64 s9, s24, v81
	v_cmp_gt_i32_e64 s10, s24, v82
	v_or_b32_e32 v85, 24, v128
	v_or_b32_e32 v71, 26, v128
	;; [unrolled: 8-line block ×3, first 2 shown]
	v_mul_f32_e32 v91, s19, v116
	v_cndmask_b32_e64 v75, 0xff7fffff, v94, s11
	v_cndmask_b32_e64 v76, 0xff7fffff, v93, s12
	v_max3_f32 v74, v74, v77, v78
	v_cmp_gt_i32_e64 s13, s24, v85
	v_cmp_gt_i32_e64 s15, s24, v71
	v_dual_mul_f32 v89, s19, v118 :: v_dual_mul_f32 v90, s19, v117
	s_delay_alu instid0(VALU_DEP_4) | instskip(NEXT) | instid1(VALU_DEP_4)
	v_max3_f32 v74, v74, v75, v76
	v_cndmask_b32_e64 v77, 0xff7fffff, v92, s13
	s_delay_alu instid0(VALU_DEP_4) | instskip(SKIP_2) | instid1(VALU_DEP_3)
	v_cndmask_b32_e64 v71, 0xff7fffff, v91, s15
	v_cmp_gt_i32_e64 s16, s24, v72
	v_cmp_gt_i32_e64 s17, s24, v73
	v_max3_f32 v71, v74, v77, v71
	s_delay_alu instid0(VALU_DEP_3) | instskip(NEXT) | instid1(VALU_DEP_3)
	v_cndmask_b32_e64 v72, 0xff7fffff, v90, s16
	v_cndmask_b32_e64 v73, 0xff7fffff, v89, s17
	v_lshlrev_b32_e32 v74, 2, v127
	s_delay_alu instid0(VALU_DEP_2) | instskip(SKIP_3) | instid1(VALU_DEP_1)
	v_max3_f32 v71, v71, v72, v73
	ds_bpermute_b32 v72, v74, v71
	s_waitcnt lgkmcnt(0)
	v_max_f32_e32 v72, v72, v72
	v_max_f32_e32 v71, v71, v72
	s_delay_alu instid0(VALU_DEP_1) | instskip(SKIP_4) | instid1(VALU_DEP_4)
	v_fma_f32 v72, s19, v135, -v71
	v_fma_f32 v73, s19, v136, -v71
	v_fma_f32 v75, s19, v137, -v71
	v_fma_f32 v76, s19, v138, -v71
	v_fma_f32 v77, s19, v139, -v71
	v_dual_mul_f32 v72, 0x3fb8aa3b, v72 :: v_dual_mul_f32 v73, 0x3fb8aa3b, v73
	v_fma_f32 v80, s19, v141, -v71
	s_delay_alu instid0(VALU_DEP_3) | instskip(NEXT) | instid1(VALU_DEP_3)
	v_dual_mul_f32 v76, 0x3fb8aa3b, v76 :: v_dual_mul_f32 v77, 0x3fb8aa3b, v77
	v_exp_f32_e32 v72, v72
	s_delay_alu instid0(VALU_DEP_3) | instskip(NEXT) | instid1(VALU_DEP_2)
	v_exp_f32_e32 v73, v73
	v_mul_f32_e32 v82, 0x3fb8aa3b, v80
	s_delay_alu instid0(VALU_DEP_2) | instskip(SKIP_1) | instid1(VALU_DEP_1)
	v_exp_f32_e32 v76, v76
	v_exp_f32_e32 v77, v77
	;; [unrolled: 1-line block ×3, first 2 shown]
	v_cndmask_b32_e32 v79, 0, v72, vcc_lo
	v_fma_f32 v72, s19, v140, -v71
	v_mul_f32_e32 v75, 0x3fb8aa3b, v75
	v_cndmask_b32_e64 v78, 0, v73, s2
	s_delay_alu instid0(TRANS32_DEP_3) | instskip(NEXT) | instid1(VALU_DEP_4)
	v_cndmask_b32_e64 v80, 0, v76, s4
	v_dual_add_f32 v73, 0, v79 :: v_dual_mul_f32 v72, 0x3fb8aa3b, v72
	s_delay_alu instid0(VALU_DEP_4) | instskip(NEXT) | instid1(TRANS32_DEP_3)
	v_exp_f32_e32 v75, v75
	v_cndmask_b32_e64 v83, 0, v77, s5
	s_delay_alu instid0(TRANS32_DEP_2) | instskip(NEXT) | instid1(VALU_DEP_3)
	v_cndmask_b32_e64 v85, 0, v84, s7
	v_add_f32_e32 v73, v73, v78
	v_exp_f32_e32 v72, v72
	s_mov_b32 s2, exec_lo
	s_waitcnt_depctr 0xfff
	v_cndmask_b32_e64 v81, 0, v75, s3
	v_cndmask_b32_e64 v82, 0, v72, s6
	s_delay_alu instid0(VALU_DEP_2) | instskip(NEXT) | instid1(VALU_DEP_1)
	v_add_f32_e32 v73, v73, v81
	v_add_f32_e32 v73, v73, v80
	s_delay_alu instid0(VALU_DEP_1) | instskip(NEXT) | instid1(VALU_DEP_1)
	v_add_f32_e32 v72, v73, v83
	v_add_f32_e32 v72, v72, v82
	s_delay_alu instid0(VALU_DEP_1)
	v_add_f32_e32 v72, v72, v85
	v_fma_f32 v76, s19, v111, -v71
	v_fma_f32 v75, s19, v142, -v71
	;; [unrolled: 1-line block ×5, first 2 shown]
	v_mul_f32_e32 v76, 0x3fb8aa3b, v76
	s_delay_alu instid0(VALU_DEP_4) | instskip(NEXT) | instid1(VALU_DEP_2)
	v_mul_f32_e32 v86, 0x3fb8aa3b, v86
	v_exp_f32_e32 v76, v76
	s_delay_alu instid0(VALU_DEP_1)
	v_exp_f32_e32 v88, v86
	s_waitcnt_depctr 0xfff
	v_cndmask_b32_e64 v87, 0, v76, s9
	v_fma_f32 v76, s19, v116, -v71
	v_mul_f32_e32 v75, 0x3fb8aa3b, v75
	v_cndmask_b32_e64 v88, 0, v88, s12
	s_delay_alu instid0(VALU_DEP_3) | instskip(NEXT) | instid1(VALU_DEP_3)
	v_dual_mul_f32 v73, 0x3fb8aa3b, v73 :: v_dual_mul_f32 v76, 0x3fb8aa3b, v76
	v_exp_f32_e32 v75, v75
	s_delay_alu instid0(VALU_DEP_1) | instskip(NEXT) | instid1(VALU_DEP_1)
	v_exp_f32_e32 v73, v73
	v_exp_f32_e32 v76, v76
	s_delay_alu instid0(TRANS32_DEP_3)
	v_cndmask_b32_e64 v84, 0, v75, s8
	v_fma_f32 v75, s19, v115, -v71
	s_waitcnt_depctr 0xfff
	v_cndmask_b32_e64 v89, 0, v73, s11
	v_cndmask_b32_e64 v90, 0, v76, s15
	v_add_f32_e32 v72, v72, v84
	s_delay_alu instid0(VALU_DEP_1) | instskip(NEXT) | instid1(VALU_DEP_1)
	v_dual_add_f32 v72, v72, v87 :: v_dual_mul_f32 v77, 0x3fb8aa3b, v77
	v_exp_f32_e32 v77, v77
	s_waitcnt_depctr 0xfff
	v_cndmask_b32_e64 v86, 0, v77, s10
	v_fma_f32 v77, s19, v117, -v71
	s_delay_alu instid0(VALU_DEP_2) | instskip(NEXT) | instid1(VALU_DEP_1)
	v_dual_add_f32 v72, v72, v86 :: v_dual_mul_f32 v75, 0x3fb8aa3b, v75
	v_add_f32_e32 v72, v72, v89
	s_delay_alu instid0(VALU_DEP_2) | instskip(NEXT) | instid1(VALU_DEP_1)
	v_exp_f32_e32 v75, v75
	v_add_f32_e32 v72, v72, v88
	s_waitcnt_depctr 0xfff
	v_cndmask_b32_e64 v91, 0, v75, s13
	v_mul_f32_e32 v73, 0x3fb8aa3b, v77
	v_fma_f32 v77, s19, v118, -v71
	s_delay_alu instid0(VALU_DEP_3) | instskip(NEXT) | instid1(VALU_DEP_3)
	v_add_f32_e32 v72, v72, v91
	v_exp_f32_e32 v73, v73
	s_delay_alu instid0(VALU_DEP_1) | instskip(NEXT) | instid1(VALU_DEP_1)
	v_dual_mul_f32 v75, 0x3fb8aa3b, v77 :: v_dual_add_f32 v72, v72, v90
	v_exp_f32_e32 v75, v75
	s_waitcnt_depctr 0xfff
	v_cndmask_b32_e64 v93, 0, v73, s16
	s_delay_alu instid0(VALU_DEP_1) | instskip(SKIP_1) | instid1(VALU_DEP_1)
	v_add_f32_e32 v72, v72, v93
	v_cndmask_b32_e64 v92, 0, v75, s17
	v_add_f32_e32 v72, v72, v92
	ds_bpermute_b32 v73, v74, v72
	v_cmpx_gt_u32_e32 16, v70
	s_cbranch_execz .LBB1223_12
; %bb.11:
	v_mul_u32_u24_e32 v70, 0x44, v69
	s_waitcnt lgkmcnt(0)
	v_add_f32_e32 v72, v72, v73
	s_delay_alu instid0(VALU_DEP_2) | instskip(NEXT) | instid1(VALU_DEP_1)
	v_lshl_add_u32 v70, v68, 2, v70
	v_add_nc_u32_e32 v70, 0x4000, v70
	ds_store_2addr_b32 v70, v71, v72 offset1:136
.LBB1223_12:
	s_or_b32 exec_lo, exec_lo, s2
	v_lshlrev_b32_e32 v70, 2, v68
	s_load_b32 s34, s[0:1], 0x94
	s_waitcnt lgkmcnt(0)
	s_barrier
	buffer_gl0_inv
	v_add_nc_u32_e32 v98, 0x4000, v70
	v_cmp_eq_u32_e32 vcc_lo, 1, v69
	v_cmp_eq_u32_e64 s2, 2, v69
	v_cmp_eq_u32_e64 s3, 3, v69
	;; [unrolled: 1-line block ×3, first 2 shown]
	ds_load_2addr_b32 v[70:71], v98 offset1:17
	ds_load_2addr_b32 v[72:73], v98 offset0:34 offset1:51
	ds_load_2addr_b32 v[74:75], v98 offset0:68 offset1:85
	;; [unrolled: 1-line block ×3, first 2 shown]
	v_cmp_eq_u32_e64 s5, 5, v69
	v_cmp_eq_u32_e64 s6, 7, v69
	s_waitcnt lgkmcnt(3)
	v_max3_f32 v76, v70, 0xff7fffff, v71
	s_waitcnt lgkmcnt(2)
	s_delay_alu instid0(VALU_DEP_1) | instskip(SKIP_1) | instid1(VALU_DEP_1)
	v_max3_f32 v76, v76, v72, v73
	s_waitcnt lgkmcnt(1)
	v_max3_f32 v76, v76, v74, v75
	s_waitcnt lgkmcnt(0)
	s_delay_alu instid0(VALU_DEP_1) | instskip(NEXT) | instid1(VALU_DEP_1)
	v_max3_f32 v76, v76, v94, v95
	v_sub_f32_e32 v77, v71, v76
	ds_load_2addr_b32 v[96:97], v98 offset0:136 offset1:153
	v_sub_f32_e32 v74, v74, v76
	v_sub_f32_e32 v70, v70, v76
	;; [unrolled: 1-line block ×3, first 2 shown]
	v_dual_sub_f32 v72, v72, v76 :: v_dual_mul_f32 v77, 0x3fb8aa3b, v77
	s_delay_alu instid0(VALU_DEP_4) | instskip(NEXT) | instid1(VALU_DEP_4)
	v_mul_f32_e32 v103, 0x3fb8aa3b, v74
	v_mul_f32_e32 v99, 0x3fb8aa3b, v70
	ds_load_2addr_b32 v[70:71], v98 offset0:170 offset1:187
	v_dual_mul_f32 v101, 0x3fb8aa3b, v72 :: v_dual_mul_f32 v94, 0x3fb8aa3b, v94
	v_exp_f32_e32 v102, v77
	v_exp_f32_e32 v99, v99
	s_delay_alu instid0(VALU_DEP_1) | instskip(NEXT) | instid1(VALU_DEP_1)
	v_exp_f32_e32 v101, v101
	v_exp_f32_e32 v94, v94
	s_waitcnt lgkmcnt(1)
	s_delay_alu instid0(TRANS32_DEP_3)
	v_fma_f32 v77, v99, v96, 0
	v_sub_f32_e32 v100, v73, v76
	ds_load_2addr_b32 v[72:73], v98 offset0:204 offset1:221
	v_fmac_f32_e32 v77, v102, v97
	v_exp_f32_e32 v97, v103
	s_waitcnt lgkmcnt(1)
	s_delay_alu instid0(VALU_DEP_1)
	v_dual_fmac_f32 v77, v101, v70 :: v_dual_sub_f32 v96, v75, v76
	ds_load_2addr_b32 v[74:75], v98 offset0:238 offset1:255
	v_sub_f32_e32 v70, v95, v76
	s_waitcnt lgkmcnt(0)
	s_barrier
	v_mul_f32_e32 v96, 0x3fb8aa3b, v96
	buffer_gl0_inv
	v_exp_f32_e32 v95, v96
	v_mul_f32_e32 v100, 0x3fb8aa3b, v100
	s_delay_alu instid0(VALU_DEP_1) | instskip(SKIP_3) | instid1(VALU_DEP_2)
	v_exp_f32_e32 v100, v100
	s_waitcnt_depctr 0xfff
	v_dual_fmac_f32 v77, v100, v71 :: v_dual_mul_f32 v70, 0x3fb8aa3b, v70
	v_cndmask_b32_e32 v71, v99, v102, vcc_lo
	v_fmac_f32_e32 v77, v97, v72
	s_delay_alu instid0(VALU_DEP_3) | instskip(NEXT) | instid1(VALU_DEP_1)
	v_exp_f32_e32 v96, v70
	v_fmac_f32_e32 v77, v95, v73
	s_delay_alu instid0(VALU_DEP_1) | instskip(SKIP_2) | instid1(VALU_DEP_1)
	v_fmac_f32_e32 v77, v94, v74
	s_waitcnt_depctr 0xfff
	v_fmac_f32_e32 v77, v96, v75
	v_add_f32_e32 v74, 0x358637bd, v77
	s_delay_alu instid0(VALU_DEP_1) | instskip(SKIP_1) | instid1(VALU_DEP_2)
	v_div_scale_f32 v98, null, v74, v74, 1.0
	v_div_scale_f32 v99, vcc_lo, 1.0, v74, 1.0
	v_rcp_f32_e32 v103, v98
	s_waitcnt_depctr 0xfff
	v_fma_f32 v70, -v98, v103, 1.0
	s_delay_alu instid0(VALU_DEP_1) | instskip(SKIP_2) | instid1(VALU_DEP_2)
	v_fmac_f32_e32 v103, v70, v103
	v_cndmask_b32_e64 v70, v71, v101, s2
	v_cmp_eq_u32_e64 s2, 6, v69
	v_cndmask_b32_e64 v71, v70, v100, s3
	s_delay_alu instid0(VALU_DEP_4) | instskip(NEXT) | instid1(VALU_DEP_2)
	v_dual_mul_f32 v101, v99, v103 :: v_dual_lshlrev_b32 v70, 2, v66
	v_cndmask_b32_e64 v71, v71, v97, s4
	s_delay_alu instid0(VALU_DEP_2) | instskip(NEXT) | instid1(VALU_DEP_3)
	v_or_b32_e32 v72, 1, v70
	v_fma_f32 v100, -v98, v101, v99
	v_cmp_eq_u32_e64 s3, 1, v70
	v_cmp_eq_u32_e64 s4, 2, v70
	v_cndmask_b32_e64 v95, v71, v95, s5
	v_or_b32_e32 v71, 3, v70
	v_fmac_f32_e32 v101, v100, v103
	v_cmp_eq_u32_e64 s8, 1, v72
	v_cmp_eq_u32_e64 s11, 2, v72
	v_cndmask_b32_e64 v94, v95, v94, s2
	v_cmp_eq_u32_e64 s10, 1, v71
	v_fma_f32 v97, -v98, v101, v99
	v_cmp_eq_u32_e64 s15, 2, v71
	v_cmp_eq_u32_e64 s12, 3, v72
	v_cndmask_b32_e64 v94, v94, v96, s6
	v_cmp_eq_u32_e64 s17, 3, v71
	v_div_fmas_f32 v95, v97, v103, v101
	v_cmp_eq_u32_e32 vcc_lo, 3, v70
	v_cmp_eq_u32_e64 s2, 4, v70
	v_cmp_eq_u32_e64 s18, 4, v72
	;; [unrolled: 1-line block ×3, first 2 shown]
	v_div_fixup_f32 v95, v95, v74, 1.0
	v_lshlrev_b32_e32 v73, 6, v68
	v_cmp_eq_u32_e64 s5, 5, v70
	v_cmp_eq_u32_e64 s19, 5, v72
	;; [unrolled: 1-line block ×3, first 2 shown]
	v_mul_f32_e32 v102, v94, v95
	v_lshl_or_b32 v75, v69, 11, v73
	v_or_b32_e32 v69, 2, v70
	v_cmp_eq_u32_e64 s24, 6, v72
	v_cmp_eq_u32_e64 s26, 6, v71
	v_fma_mixlo_f16 v94, v102, v79, 0
	v_fma_mixlo_f16 v95, v102, v81, 0
	;; [unrolled: 1-line block ×8, first 2 shown]
	v_lshl_or_b32 v74, v66, 4, v75
	v_fma_mixhi_f16 v94, v102, v78, 0
	v_fma_mixhi_f16 v95, v102, v80, 0
	v_fma_mixhi_f16 v96, v102, v82, 0
	v_fma_mixhi_f16 v97, v102, v84, 0
	v_fma_mixhi_f16 v98, v102, v86, 0
	v_fma_mixhi_f16 v99, v102, v88, 0
	v_fma_mixhi_f16 v100, v102, v90, 0
	v_fma_mixhi_f16 v101, v102, v92, 0
	ds_store_b128 v74, v[94:97]
	ds_store_b128 v74, v[98:101] offset:1024
	s_waitcnt lgkmcnt(0)
	s_barrier
	buffer_gl0_inv
	ds_load_b128 v[78:81], v75
	ds_load_b128 v[82:85], v75 offset:16
	ds_load_b128 v[86:89], v75 offset:1024
	;; [unrolled: 1-line block ×3, first 2 shown]
	v_cmp_eq_u32_e64 s9, 1, v69
	v_cmp_eq_u32_e64 s13, 2, v69
	;; [unrolled: 1-line block ×11, first 2 shown]
	s_waitcnt lgkmcnt(3)
	v_lshrrev_b32_e32 v94, 16, v78
	s_waitcnt lgkmcnt(2)
	v_lshrrev_b32_e32 v98, 16, v82
	;; [unrolled: 2-line block ×4, first 2 shown]
	v_lshrrev_b32_e32 v95, 16, v79
	v_cndmask_b32_e64 v110, v78, v94, s3
	v_cndmask_b32_e64 v111, v82, v98, s3
	;; [unrolled: 1-line block ×8, first 2 shown]
	v_lshrrev_b32_e32 v99, 16, v83
	v_cndmask_b32_e64 v94, v86, v102, s3
	v_cndmask_b32_e64 v98, v90, v106, s3
	;; [unrolled: 1-line block ×15, first 2 shown]
	v_lshrrev_b32_e32 v103, 16, v87
	v_lshrrev_b32_e32 v107, 16, v91
	v_cndmask_b32_e64 v113, v115, v83, s13
	v_cndmask_b32_e64 v82, v94, v87, s4
	;; [unrolled: 1-line block ×7, first 2 shown]
	v_cndmask_b32_e32 v90, v102, v95, vcc_lo
	v_cndmask_b32_e32 v102, v106, v99, vcc_lo
	v_cndmask_b32_e64 v106, v110, v95, s12
	v_cndmask_b32_e64 v110, v111, v99, s12
	;; [unrolled: 1-line block ×4, first 2 shown]
	v_lshrrev_b32_e32 v96, 16, v80
	v_lshrrev_b32_e32 v100, 16, v84
	v_cndmask_b32_e64 v111, v112, v95, s16
	v_cndmask_b32_e64 v112, v113, v99, s16
	v_cndmask_b32_e32 v82, v82, v103, vcc_lo
	v_cndmask_b32_e32 v83, v83, v107, vcc_lo
	v_cndmask_b32_e64 v94, v94, v103, s12
	v_cndmask_b32_e64 v90, v90, v80, s2
	;; [unrolled: 1-line block ×7, first 2 shown]
	v_lshrrev_b32_e32 v104, 16, v88
	v_cndmask_b32_e64 v106, v111, v80, s20
	v_cndmask_b32_e64 v110, v112, v84, s20
	;; [unrolled: 1-line block ×11, first 2 shown]
	v_lshrrev_b32_e32 v97, 16, v81
	v_lshrrev_b32_e32 v101, 16, v85
	v_cndmask_b32_e64 v99, v106, v96, s22
	v_cndmask_b32_e64 v102, v110, v100, s22
	;; [unrolled: 1-line block ×7, first 2 shown]
	v_lshrrev_b32_e32 v105, 16, v89
	v_cndmask_b32_e64 v80, v80, v104, s5
	v_cndmask_b32_e64 v84, v84, v81, s6
	;; [unrolled: 1-line block ×16, first 2 shown]
	v_perm_b32 v81, v79, v78, 0x5040100
	v_perm_b32 v79, v95, v85, 0x5040100
	v_cndmask_b32_e64 v78, v119, v91, s13
	v_cndmask_b32_e64 v85, v117, v91, s11
	;; [unrolled: 1-line block ×3, first 2 shown]
	v_perm_b32 v80, v94, v90, 0x5040100
	v_cndmask_b32_e64 v90, v98, v103, s16
	v_cndmask_b32_e64 v86, v86, v103, s17
	v_cndmask_b32_e64 v87, v87, v107, s17
	v_cndmask_b32_e64 v78, v78, v107, s16
	v_cndmask_b32_e64 v85, v85, v107, s12
	v_lshrrev_b32_e32 v108, 16, v92
	v_cndmask_b32_e64 v90, v90, v88, s20
	v_cndmask_b32_e64 v86, v86, v88, s21
	;; [unrolled: 1-line block ×11, first 2 shown]
	v_lshrrev_b32_e32 v109, 16, v93
	v_cndmask_b32_e64 v82, v82, v93, s6
	v_cndmask_b32_e64 v88, v88, v89, s25
	;; [unrolled: 1-line block ×12, first 2 shown]
	v_perm_b32 v78, v84, v83, 0x5040100
	v_perm_b32 v85, v87, v86, 0x5040100
	;; [unrolled: 1-line block ×5, first 2 shown]
	s_mul_i32 s7, s33, 10
	s_mov_b32 s2, exec_lo
	ds_store_b128 v74, v[78:81]
	ds_store_b128 v74, v[82:85] offset:1024
	v_cmpx_gt_u32_e32 10, v0
	s_cbranch_execz .LBB1223_14
; %bb.13:
	s_mul_i32 s3, s7, s30
	s_load_b128 s[8:11], s[0:1], 0x58
	v_add3_u32 v68, s3, s31, v68
	s_delay_alu instid0(VALU_DEP_1) | instskip(NEXT) | instid1(VALU_DEP_1)
	v_mad_u64_u32 v[78:79], null, v68, s34, s[14:15]
	v_ashrrev_i32_e32 v79, 31, v78
	s_delay_alu instid0(VALU_DEP_1) | instskip(SKIP_1) | instid1(VALU_DEP_1)
	v_lshlrev_b64 v[78:79], 2, v[78:79]
	s_waitcnt lgkmcnt(0)
	v_add_co_u32 v80, vcc_lo, s10, v78
	s_delay_alu instid0(VALU_DEP_2)
	v_add_co_ci_u32_e32 v81, vcc_lo, s11, v79, vcc_lo
	v_add_co_u32 v78, vcc_lo, s8, v78
	v_add_co_ci_u32_e32 v79, vcc_lo, s9, v79, vcc_lo
	global_store_b32 v[80:81], v76, off
	global_store_b32 v[78:79], v77, off
.LBB1223_14:
	s_or_b32 exec_lo, exec_lo, s2
	s_waitcnt lgkmcnt(0)
	s_waitcnt_vscnt null, 0x0
	s_barrier
	buffer_gl0_inv
	ds_load_b128 v[84:87], v73
	ds_load_b128 v[88:91], v73 offset:16
	ds_load_b128 v[96:99], v73 offset:2064
	;; [unrolled: 1-line block ×5, first 2 shown]
	v_cmp_eq_u32_e32 vcc_lo, 1, v70
	v_mov_b32_e32 v76, 0
	ds_load_b128 v[112:115], v73 offset:6160
	ds_load_b128 v[108:111], v73 offset:6144
	ds_load_b128 v[120:123], v73 offset:8208
	ds_load_b128 v[116:119], v73 offset:8192
	v_cmp_eq_u32_e64 s3, 1, v69
	v_cmp_eq_u32_e64 s2, 1, v72
	;; [unrolled: 1-line block ×3, first 2 shown]
	v_mov_b32_e32 v77, v76
	v_mov_b32_e32 v78, v76
	;; [unrolled: 1-line block ×7, first 2 shown]
	v_cmp_eq_u32_e64 s5, 3, v72
	v_cmp_eq_u32_e64 s6, 7, v72
	s_waitcnt lgkmcnt(8)
	s_delay_alu instid0(VALU_DEP_3)
	v_wmma_f32_16x16x16_f16 v[76:83], v[49:56], v[84:91], v[76:83]
	ds_load_b128 v[53:56], v73 offset:10256
	ds_load_b128 v[49:52], v73 offset:10240
	s_waitcnt lgkmcnt(8)
	v_wmma_f32_16x16x16_f16 v[76:83], v[41:48], v[92:99], v[76:83]
	ds_load_b128 v[45:48], v73 offset:12304
	ds_load_b128 v[41:44], v73 offset:12288
	s_waitcnt lgkmcnt(8)
	;; [unrolled: 4-line block ×3, first 2 shown]
	s_barrier
	buffer_gl0_inv
	v_wmma_f32_16x16x16_f16 v[76:83], v[1:8], v[108:115], v[76:83]
	s_delay_alu instid0(VALU_DEP_1) | instskip(NEXT) | instid1(VALU_DEP_1)
	v_wmma_f32_16x16x16_f16 v[76:83], v[9:16], v[116:123], v[76:83]
	v_wmma_f32_16x16x16_f16 v[76:83], v[17:24], v[49:56], v[76:83]
	s_delay_alu instid0(VALU_DEP_1) | instskip(NEXT) | instid1(VALU_DEP_1)
	v_wmma_f32_16x16x16_f16 v[76:83], v[25:32], v[41:48], v[76:83]
	v_wmma_f32_16x16x16_f16 v[76:83], v[57:64], v[33:40], v[76:83]
	s_delay_alu instid0(VALU_DEP_1) | instskip(NEXT) | instid1(VALU_DEP_2)
	v_cvt_f16_f32_e32 v1, v76
	v_cvt_f16_f32_e32 v2, v77
	s_delay_alu instid0(VALU_DEP_3) | instskip(NEXT) | instid1(VALU_DEP_4)
	v_cvt_f16_f32_e32 v3, v78
	v_cvt_f16_f32_e32 v4, v79
	;; [unrolled: 1-line block ×6, first 2 shown]
	v_pack_b32_f16 v1, v1, v2
	v_pack_b32_f16 v2, v3, v4
	;; [unrolled: 1-line block ×3, first 2 shown]
	s_delay_alu instid0(VALU_DEP_4)
	v_pack_b32_f16 v4, v7, v8
	ds_store_b128 v74, v[1:4]
	s_waitcnt lgkmcnt(0)
	s_barrier
	buffer_gl0_inv
	ds_load_b128 v[1:4], v75
	ds_load_b128 v[5:8], v75 offset:16
	s_waitcnt lgkmcnt(1)
	v_lshrrev_b32_e32 v9, 16, v1
	s_waitcnt lgkmcnt(0)
	v_lshrrev_b32_e32 v13, 16, v5
	v_lshrrev_b32_e32 v10, 16, v2
	;; [unrolled: 1-line block ×4, first 2 shown]
	v_cndmask_b32_e32 v17, v1, v9, vcc_lo
	v_cndmask_b32_e32 v18, v5, v13, vcc_lo
	v_cndmask_b32_e64 v21, v1, v9, s3
	v_cmp_eq_u32_e32 vcc_lo, 1, v71
	v_cndmask_b32_e64 v22, v5, v13, s3
	v_cmp_eq_u32_e64 s3, 2, v70
	v_cndmask_b32_e64 v19, v1, v9, s2
	v_cndmask_b32_e64 v20, v5, v13, s2
	v_cndmask_b32_e32 v1, v1, v9, vcc_lo
	v_cmp_eq_u32_e64 s2, 2, v71
	v_cndmask_b32_e32 v5, v5, v13, vcc_lo
	v_cndmask_b32_e64 v9, v17, v2, s3
	v_cmp_eq_u32_e32 vcc_lo, 3, v70
	v_cndmask_b32_e64 v13, v18, v6, s3
	v_cmp_eq_u32_e64 s3, 2, v69
	v_cndmask_b32_e64 v17, v19, v2, s4
	v_cndmask_b32_e64 v18, v20, v6, s4
	v_cmp_eq_u32_e64 s4, 3, v69
	v_cndmask_b32_e64 v1, v1, v2, s2
	v_cndmask_b32_e64 v19, v21, v2, s3
	;; [unrolled: 1-line block ×4, first 2 shown]
	v_cndmask_b32_e32 v5, v9, v10, vcc_lo
	v_cndmask_b32_e32 v6, v13, v14, vcc_lo
	v_cmp_eq_u32_e32 vcc_lo, 3, v71
	v_cndmask_b32_e64 v9, v17, v10, s5
	v_cndmask_b32_e64 v13, v18, v14, s5
	;; [unrolled: 1-line block ×3, first 2 shown]
	v_cmp_eq_u32_e64 s3, 4, v70
	v_cndmask_b32_e32 v1, v1, v10, vcc_lo
	v_cndmask_b32_e32 v2, v2, v14, vcc_lo
	v_cmp_eq_u32_e32 vcc_lo, 4, v72
	v_lshrrev_b32_e32 v15, 16, v7
	v_lshrrev_b32_e32 v16, 16, v8
	v_cndmask_b32_e64 v17, v19, v10, s4
	v_cmp_eq_u32_e64 s2, 4, v71
	v_cndmask_b32_e64 v5, v5, v3, s3
	v_cndmask_b32_e64 v6, v6, v7, s3
	v_cndmask_b32_e32 v9, v9, v3, vcc_lo
	v_cmp_eq_u32_e64 s3, 5, v72
	v_cndmask_b32_e32 v10, v13, v7, vcc_lo
	v_cmp_eq_u32_e32 vcc_lo, 4, v69
	v_cmp_eq_u32_e64 s4, 5, v70
	v_cndmask_b32_e64 v2, v2, v7, s2
	v_cndmask_b32_e64 v9, v9, v11, s3
	;; [unrolled: 1-line block ×3, first 2 shown]
	v_cndmask_b32_e32 v13, v17, v3, vcc_lo
	v_cmp_eq_u32_e64 s3, 5, v69
	v_cndmask_b32_e32 v14, v18, v7, vcc_lo
	v_cndmask_b32_e64 v1, v1, v3, s2
	v_cmp_eq_u32_e32 vcc_lo, 5, v71
	v_lshrrev_b32_e32 v12, 16, v4
	v_cndmask_b32_e64 v13, v13, v11, s3
	v_cndmask_b32_e64 v3, v14, v15, s3
	v_cmp_eq_u32_e64 s3, 6, v71
	v_cndmask_b32_e32 v1, v1, v11, vcc_lo
	v_cndmask_b32_e64 v5, v5, v11, s4
	v_cmp_eq_u32_e64 s5, 6, v70
	v_cndmask_b32_e64 v6, v6, v15, s4
	v_cmp_eq_u32_e64 s4, 6, v72
	v_cmp_eq_u32_e64 s2, 6, v69
	v_cndmask_b32_e64 v1, v1, v4, s3
	v_cndmask_b32_e32 v2, v2, v15, vcc_lo
	v_cmp_eq_u32_e32 vcc_lo, 7, v71
	v_cndmask_b32_e64 v5, v5, v4, s5
	v_cndmask_b32_e64 v9, v9, v4, s4
	;; [unrolled: 1-line block ×3, first 2 shown]
	v_cmp_eq_u32_e64 s5, 7, v70
	v_cndmask_b32_e32 v1, v1, v12, vcc_lo
	v_cndmask_b32_e64 v7, v13, v4, s2
	v_cndmask_b32_e64 v3, v3, v8, s2
	;; [unrolled: 1-line block ×3, first 2 shown]
	v_cmp_eq_u32_e64 s2, 7, v69
	v_cndmask_b32_e64 v4, v10, v8, s4
	v_cndmask_b32_e64 v5, v5, v12, s5
	v_cndmask_b32_e64 v9, v9, v12, s6
	v_cndmask_b32_e32 v2, v2, v16, vcc_lo
	v_cndmask_b32_e64 v7, v7, v12, s2
	v_cndmask_b32_e64 v3, v3, v16, s2
	;; [unrolled: 1-line block ×4, first 2 shown]
	v_perm_b32 v4, v2, v1, 0x5040100
	s_mov_b32 s2, exec_lo
	v_perm_b32 v3, v3, v7, 0x5040100
	v_perm_b32 v2, v8, v9, 0x5040100
	;; [unrolled: 1-line block ×3, first 2 shown]
	ds_store_b128 v74, v[1:4]
	s_waitcnt lgkmcnt(0)
	s_barrier
	buffer_gl0_inv
	v_cmpx_gt_u32_e32 32, v0
	s_cbranch_execz .LBB1223_2
; %bb.15:
	s_load_b64 s[0:1], s[0:1], 0x68
	s_lshl_b32 s4, s34, 7
	v_or_b32_e32 v2, s31, v66
	s_mul_i32 s2, s4, s30
	v_lshlrev_b32_e32 v0, 10, v0
	s_mul_i32 s2, s2, s7
	v_lshlrev_b32_e32 v1, 4, v67
	s_ashr_i32 s3, s2, 31
	v_mul_lo_u32 v20, v2, s4
	s_lshl_b64 s[2:3], s[2:3], 1
	v_lshlrev_b32_e32 v3, 6, v66
	v_and_b32_e32 v0, 0x3800, v0
	s_delay_alu instid0(VALU_DEP_1) | instskip(NEXT) | instid1(VALU_DEP_4)
	v_or3_b32 v16, v0, v1, v3
	v_ashrrev_i32_e32 v21, 31, v20
	ds_load_b128 v[0:3], v16
	ds_load_b128 v[4:7], v16 offset:128
	s_waitcnt lgkmcnt(0)
	s_add_u32 s2, s0, s2
	s_addc_u32 s3, s1, s3
	s_lshl_b32 s0, s14, 7
	ds_load_b128 v[8:11], v16 offset:256
	ds_load_b128 v[12:15], v16 offset:384
	ds_load_b128 v[16:19], v16 offset:512
	s_ashr_i32 s1, s0, 31
	s_delay_alu instid0(SALU_CYCLE_1) | instskip(NEXT) | instid1(SALU_CYCLE_1)
	s_lshl_b64 s[0:1], s[0:1], 1
	s_add_u32 s0, s2, s0
	s_addc_u32 s1, s3, s1
	s_lshl_b32 s2, s34, 8
	v_add_co_u32 v30, s0, s0, v65
	v_add_nc_u32_e32 v22, s2, v20
	v_lshlrev_b64 v[20:21], 1, v[20:21]
	v_add_co_ci_u32_e64 v31, null, s1, 0, s0
	s_delay_alu instid0(VALU_DEP_3) | instskip(SKIP_1) | instid1(VALU_DEP_4)
	v_add_nc_u32_e32 v24, s2, v22
	v_ashrrev_i32_e32 v23, 31, v22
	v_add_co_u32 v20, vcc_lo, v30, v20
	s_delay_alu instid0(VALU_DEP_4) | instskip(NEXT) | instid1(VALU_DEP_4)
	v_add_co_ci_u32_e32 v21, vcc_lo, v31, v21, vcc_lo
	v_add_nc_u32_e32 v26, s2, v24
	v_ashrrev_i32_e32 v25, 31, v24
	v_lshlrev_b64 v[22:23], 1, v[22:23]
	s_delay_alu instid0(VALU_DEP_3) | instskip(SKIP_1) | instid1(VALU_DEP_4)
	v_add_nc_u32_e32 v28, s2, v26
	v_ashrrev_i32_e32 v27, 31, v26
	v_lshlrev_b64 v[24:25], 1, v[24:25]
	s_delay_alu instid0(VALU_DEP_4) | instskip(NEXT) | instid1(VALU_DEP_4)
	v_add_co_u32 v22, vcc_lo, v30, v22
	v_ashrrev_i32_e32 v29, 31, v28
	s_delay_alu instid0(VALU_DEP_4) | instskip(SKIP_2) | instid1(VALU_DEP_4)
	v_lshlrev_b64 v[26:27], 1, v[26:27]
	v_add_co_ci_u32_e32 v23, vcc_lo, v31, v23, vcc_lo
	v_add_co_u32 v24, vcc_lo, v30, v24
	v_lshlrev_b64 v[28:29], 1, v[28:29]
	v_add_co_ci_u32_e32 v25, vcc_lo, v31, v25, vcc_lo
	v_add_co_u32 v26, vcc_lo, v30, v26
	v_add_co_ci_u32_e32 v27, vcc_lo, v31, v27, vcc_lo
	s_delay_alu instid0(VALU_DEP_4)
	v_add_co_u32 v28, vcc_lo, v30, v28
	v_add_co_ci_u32_e32 v29, vcc_lo, v31, v29, vcc_lo
	s_clause 0x1
	global_store_b128 v[20:21], v[0:3], off
	global_store_b128 v[22:23], v[4:7], off
	s_waitcnt lgkmcnt(2)
	global_store_b128 v[24:25], v[8:11], off
	s_waitcnt lgkmcnt(1)
	;; [unrolled: 2-line block ×3, first 2 shown]
	global_store_b128 v[28:29], v[16:19], off
	s_nop 0
	s_sendmsg sendmsg(MSG_DEALLOC_VGPRS)
	s_endpgm
	.section	.rodata,"a",@progbits
	.p2align	6, 0x0
	.amdhsa_kernel _Z39paged_attention_ll4mi_QKV_mfma16_kernelIDF16_hLN4vllm18Fp8KVCacheDataTypeE1EhLi16ELi128ELi256ELb1ELi10EL8MFMAType0EEvPKT_PKT0_S8_ifPKiSA_SA_iPKfiiiPfSD_PS3_PT2_iSC_SC_
		.amdhsa_group_segment_fixed_size 17472
		.amdhsa_private_segment_fixed_size 0
		.amdhsa_kernarg_size 400
		.amdhsa_user_sgpr_count 13
		.amdhsa_user_sgpr_dispatch_ptr 0
		.amdhsa_user_sgpr_queue_ptr 0
		.amdhsa_user_sgpr_kernarg_segment_ptr 1
		.amdhsa_user_sgpr_dispatch_id 0
		.amdhsa_user_sgpr_private_segment_size 0
		.amdhsa_wavefront_size32 1
		.amdhsa_uses_dynamic_stack 0
		.amdhsa_enable_private_segment 0
		.amdhsa_system_sgpr_workgroup_id_x 1
		.amdhsa_system_sgpr_workgroup_id_y 1
		.amdhsa_system_sgpr_workgroup_id_z 1
		.amdhsa_system_sgpr_workgroup_info 0
		.amdhsa_system_vgpr_workitem_id 0
		.amdhsa_next_free_vgpr 150
		.amdhsa_next_free_sgpr 36
		.amdhsa_reserve_vcc 1
		.amdhsa_float_round_mode_32 0
		.amdhsa_float_round_mode_16_64 0
		.amdhsa_float_denorm_mode_32 3
		.amdhsa_float_denorm_mode_16_64 3
		.amdhsa_dx10_clamp 1
		.amdhsa_ieee_mode 1
		.amdhsa_fp16_overflow 0
		.amdhsa_workgroup_processor_mode 1
		.amdhsa_memory_ordered 1
		.amdhsa_forward_progress 0
		.amdhsa_shared_vgpr_count 0
		.amdhsa_exception_fp_ieee_invalid_op 0
		.amdhsa_exception_fp_denorm_src 0
		.amdhsa_exception_fp_ieee_div_zero 0
		.amdhsa_exception_fp_ieee_overflow 0
		.amdhsa_exception_fp_ieee_underflow 0
		.amdhsa_exception_fp_ieee_inexact 0
		.amdhsa_exception_int_div_zero 0
	.end_amdhsa_kernel
	.section	.text._Z39paged_attention_ll4mi_QKV_mfma16_kernelIDF16_hLN4vllm18Fp8KVCacheDataTypeE1EhLi16ELi128ELi256ELb1ELi10EL8MFMAType0EEvPKT_PKT0_S8_ifPKiSA_SA_iPKfiiiPfSD_PS3_PT2_iSC_SC_,"axG",@progbits,_Z39paged_attention_ll4mi_QKV_mfma16_kernelIDF16_hLN4vllm18Fp8KVCacheDataTypeE1EhLi16ELi128ELi256ELb1ELi10EL8MFMAType0EEvPKT_PKT0_S8_ifPKiSA_SA_iPKfiiiPfSD_PS3_PT2_iSC_SC_,comdat
.Lfunc_end1223:
	.size	_Z39paged_attention_ll4mi_QKV_mfma16_kernelIDF16_hLN4vllm18Fp8KVCacheDataTypeE1EhLi16ELi128ELi256ELb1ELi10EL8MFMAType0EEvPKT_PKT0_S8_ifPKiSA_SA_iPKfiiiPfSD_PS3_PT2_iSC_SC_, .Lfunc_end1223-_Z39paged_attention_ll4mi_QKV_mfma16_kernelIDF16_hLN4vllm18Fp8KVCacheDataTypeE1EhLi16ELi128ELi256ELb1ELi10EL8MFMAType0EEvPKT_PKT0_S8_ifPKiSA_SA_iPKfiiiPfSD_PS3_PT2_iSC_SC_
                                        ; -- End function
	.section	.AMDGPU.csdata,"",@progbits
; Kernel info:
; codeLenInByte = 6704
; NumSgprs: 38
; NumVgprs: 150
; ScratchSize: 0
; MemoryBound: 0
; FloatMode: 240
; IeeeMode: 1
; LDSByteSize: 17472 bytes/workgroup (compile time only)
; SGPRBlocks: 4
; VGPRBlocks: 18
; NumSGPRsForWavesPerEU: 38
; NumVGPRsForWavesPerEU: 150
; Occupancy: 9
; WaveLimiterHint : 1
; COMPUTE_PGM_RSRC2:SCRATCH_EN: 0
; COMPUTE_PGM_RSRC2:USER_SGPR: 13
; COMPUTE_PGM_RSRC2:TRAP_HANDLER: 0
; COMPUTE_PGM_RSRC2:TGID_X_EN: 1
; COMPUTE_PGM_RSRC2:TGID_Y_EN: 1
; COMPUTE_PGM_RSRC2:TGID_Z_EN: 1
; COMPUTE_PGM_RSRC2:TIDIG_COMP_CNT: 0
	.section	.text._Z39paged_attention_ll4mi_QKV_mfma16_kernelIDF16_hLN4vllm18Fp8KVCacheDataTypeE1EhLi16ELi128ELi256ELb1ELi11EL8MFMAType0EEvPKT_PKT0_S8_ifPKiSA_SA_iPKfiiiPfSD_PS3_PT2_iSC_SC_,"axG",@progbits,_Z39paged_attention_ll4mi_QKV_mfma16_kernelIDF16_hLN4vllm18Fp8KVCacheDataTypeE1EhLi16ELi128ELi256ELb1ELi11EL8MFMAType0EEvPKT_PKT0_S8_ifPKiSA_SA_iPKfiiiPfSD_PS3_PT2_iSC_SC_,comdat
	.protected	_Z39paged_attention_ll4mi_QKV_mfma16_kernelIDF16_hLN4vllm18Fp8KVCacheDataTypeE1EhLi16ELi128ELi256ELb1ELi11EL8MFMAType0EEvPKT_PKT0_S8_ifPKiSA_SA_iPKfiiiPfSD_PS3_PT2_iSC_SC_ ; -- Begin function _Z39paged_attention_ll4mi_QKV_mfma16_kernelIDF16_hLN4vllm18Fp8KVCacheDataTypeE1EhLi16ELi128ELi256ELb1ELi11EL8MFMAType0EEvPKT_PKT0_S8_ifPKiSA_SA_iPKfiiiPfSD_PS3_PT2_iSC_SC_
	.globl	_Z39paged_attention_ll4mi_QKV_mfma16_kernelIDF16_hLN4vllm18Fp8KVCacheDataTypeE1EhLi16ELi128ELi256ELb1ELi11EL8MFMAType0EEvPKT_PKT0_S8_ifPKiSA_SA_iPKfiiiPfSD_PS3_PT2_iSC_SC_
	.p2align	8
	.type	_Z39paged_attention_ll4mi_QKV_mfma16_kernelIDF16_hLN4vllm18Fp8KVCacheDataTypeE1EhLi16ELi128ELi256ELb1ELi11EL8MFMAType0EEvPKT_PKT0_S8_ifPKiSA_SA_iPKfiiiPfSD_PS3_PT2_iSC_SC_,@function
_Z39paged_attention_ll4mi_QKV_mfma16_kernelIDF16_hLN4vllm18Fp8KVCacheDataTypeE1EhLi16ELi128ELi256ELb1ELi11EL8MFMAType0EEvPKT_PKT0_S8_ifPKiSA_SA_iPKfiiiPfSD_PS3_PT2_iSC_SC_: ; @_Z39paged_attention_ll4mi_QKV_mfma16_kernelIDF16_hLN4vllm18Fp8KVCacheDataTypeE1EhLi16ELi128ELi256ELb1ELi11EL8MFMAType0EEvPKT_PKT0_S8_ifPKiSA_SA_iPKfiiiPfSD_PS3_PT2_iSC_SC_
; %bb.0:
	s_load_b64 s[4:5], s[0:1], 0x30
	s_mov_b32 s34, s13
	s_waitcnt lgkmcnt(0)
	s_cmp_lg_u64 s[4:5], 0
	s_cselect_b32 s8, -1, 0
	s_ashr_i32 s35, s13, 31
	s_cmp_eq_u64 s[4:5], 0
	s_cbranch_scc1 .LBB1224_3
; %bb.1:
	s_lshl_b64 s[2:3], s[34:35], 2
	s_delay_alu instid0(SALU_CYCLE_1) | instskip(SKIP_4) | instid1(SALU_CYCLE_1)
	s_add_u32 s2, s4, s2
	s_addc_u32 s3, s5, s3
	s_load_b64 s[2:3], s[2:3], 0x0
	s_waitcnt lgkmcnt(0)
	s_sub_i32 s2, s3, s2
	s_cmp_eq_u32 s2, 1
	s_cselect_b32 s2, -1, 0
	s_delay_alu instid0(SALU_CYCLE_1)
	s_and_not1_b32 vcc_lo, exec_lo, s2
	s_cbranch_vccz .LBB1224_4
.LBB1224_2:
	s_nop 0
	s_sendmsg sendmsg(MSG_DEALLOC_VGPRS)
	s_endpgm
.LBB1224_3:
.LBB1224_4:
	s_load_b64 s[2:3], s[0:1], 0x28
	s_lshl_b64 s[6:7], s[34:35], 2
	s_waitcnt lgkmcnt(0)
	s_add_u32 s2, s2, s6
	s_addc_u32 s3, s3, s7
	s_lshl_b32 s12, s14, 8
	s_load_b32 s24, s[2:3], 0x0
	s_waitcnt lgkmcnt(0)
	s_cmp_ge_i32 s12, s24
	s_cbranch_scc1 .LBB1224_2
; %bb.5:
	s_clause 0x1
	s_load_b128 s[20:23], s[0:1], 0x8
	s_load_b64 s[2:3], s[0:1], 0x20
	s_and_not1_b32 vcc_lo, exec_lo, s8
	s_cbranch_vccnz .LBB1224_7
; %bb.6:
	s_add_u32 s4, s4, s6
	s_addc_u32 s5, s5, s7
	s_load_b32 s5, s[4:5], 0x0
	s_branch .LBB1224_8
.LBB1224_7:
	s_mov_b32 s5, s34
.LBB1224_8:
	s_load_b128 s[16:19], s[0:1], 0x48
	v_and_b32_e32 v68, 15, v0
	v_lshrrev_b32_e32 v69, 5, v0
	v_bfe_u32 v66, v0, 4, 1
	v_and_b32_e32 v70, 31, v0
	v_and_b32_e32 v67, 1, v0
	v_lshlrev_b32_e32 v2, 3, v68
	s_mul_i32 s31, s15, 11
	v_lshl_or_b32 v1, v69, 1, v66
	s_mov_b32 s4, exec_lo
	s_delay_alu instid0(VALU_DEP_2) | instskip(NEXT) | instid1(VALU_DEP_2)
	v_lshlrev_b32_e32 v65, 1, v2
	v_cmpx_gt_u32_e32 11, v1
	s_cbranch_execz .LBB1224_10
; %bb.9:
	s_load_b64 s[6:7], s[0:1], 0x0
	v_add_lshl_u32 v2, v1, s31, 7
	s_waitcnt lgkmcnt(0)
	s_mul_hi_i32 s9, s5, s16
	s_mul_i32 s8, s5, s16
	v_lshlrev_b32_e32 v6, 10, v68
	s_lshl_b64 s[8:9], s[8:9], 1
	v_ashrrev_i32_e32 v3, 31, v2
	v_lshlrev_b32_e32 v1, 6, v1
	v_lshlrev_b32_e32 v7, 10, v67
	v_and_b32_e32 v6, 0x3800, v6
	s_delay_alu instid0(VALU_DEP_4) | instskip(NEXT) | instid1(VALU_DEP_2)
	v_lshlrev_b64 v[2:3], 1, v[2:3]
	v_or3_b32 v1, v6, v7, v1
	s_add_u32 s5, s6, s8
	s_addc_u32 s6, s7, s9
	s_delay_alu instid0(VALU_DEP_2) | instskip(NEXT) | instid1(VALU_DEP_3)
	v_add_co_u32 v2, vcc_lo, s5, v2
	v_add_co_ci_u32_e32 v3, vcc_lo, s6, v3, vcc_lo
	s_delay_alu instid0(VALU_DEP_2) | instskip(NEXT) | instid1(VALU_DEP_2)
	v_add_co_u32 v2, vcc_lo, v2, v65
	v_add_co_ci_u32_e32 v3, vcc_lo, 0, v3, vcc_lo
	global_load_b128 v[2:5], v[2:3], off
	s_waitcnt vmcnt(0)
	ds_store_b128 v1, v[2:5]
.LBB1224_10:
	s_or_b32 exec_lo, exec_lo, s4
	v_and_b32_e32 v1, 0xef, v0
	s_waitcnt lgkmcnt(0)
	s_add_i32 s5, s24, 15
	s_clause 0x1
	s_load_b32 s4, s[0:1], 0x38
	s_load_b32 s33, s[0:1], 0x98
	s_ashr_i32 s6, s5, 31
	v_add_nc_u32_e32 v1, s12, v1
	s_lshr_b32 s6, s6, 28
	s_load_b32 s19, s[0:1], 0x1c
	s_add_i32 s5, s5, s6
	s_waitcnt lgkmcnt(0)
	v_ashrrev_i32_e32 v2, 31, v1
	v_or_b32_e32 v3, 16, v1
	s_ashr_i32 s13, s5, 4
	v_cmp_gt_i32_e32 vcc_lo, s24, v1
	s_add_i32 s13, s13, -1
	v_lshrrev_b32_e32 v2, 28, v2
	s_barrier
	buffer_gl0_inv
	s_mul_i32 s15, s15, s18
	v_add_nc_u32_e32 v4, v1, v2
	s_mul_i32 s4, s34, s4
	s_delay_alu instid0(SALU_CYCLE_1) | instskip(NEXT) | instid1(VALU_DEP_1)
	s_ashr_i32 s5, s4, 31
	v_ashrrev_i32_e32 v4, 4, v4
	v_add_nc_u32_e32 v2, v3, v2
	s_lshl_b64 s[4:5], s[4:5], 2
	s_delay_alu instid0(SALU_CYCLE_1) | instskip(NEXT) | instid1(VALU_DEP_2)
	s_add_u32 s16, s2, s4
	v_cndmask_b32_e32 v1, s13, v4, vcc_lo
	s_delay_alu instid0(VALU_DEP_2)
	v_ashrrev_i32_e32 v2, 4, v2
	v_cmp_gt_i32_e32 vcc_lo, s24, v3
	s_addc_u32 s25, s3, s5
	s_ashr_i32 s18, s15, 31
	s_add_u32 s26, s20, s15
	s_addc_u32 s27, s21, s18
	v_cndmask_b32_e32 v3, s13, v2, vcc_lo
	v_ashrrev_i32_e32 v2, 31, v1
	s_lshl_b32 s2, s14, 4
	s_delay_alu instid0(SALU_CYCLE_1) | instskip(NEXT) | instid1(VALU_DEP_2)
	s_ashr_i32 s3, s2, 31
	v_ashrrev_i32_e32 v4, 31, v3
	s_delay_alu instid0(VALU_DEP_2) | instskip(SKIP_1) | instid1(SALU_CYCLE_1)
	v_lshlrev_b64 v[1:2], 2, v[1:2]
	s_lshl_b64 s[2:3], s[2:3], 2
	s_add_u32 s2, s16, s2
	s_delay_alu instid0(VALU_DEP_2) | instskip(SKIP_1) | instid1(VALU_DEP_2)
	v_lshlrev_b64 v[3:4], 2, v[3:4]
	s_addc_u32 s3, s25, s3
	v_add_co_u32 v1, vcc_lo, s16, v1
	v_add_co_ci_u32_e32 v2, vcc_lo, s25, v2, vcc_lo
	s_delay_alu instid0(VALU_DEP_3) | instskip(NEXT) | instid1(VALU_DEP_4)
	v_add_co_u32 v3, vcc_lo, s16, v3
	v_add_co_ci_u32_e32 v4, vcc_lo, s25, v4, vcc_lo
	s_clause 0x1
	global_load_b32 v5, v[1:2], off
	global_load_b32 v7, v[3:4], off
	s_or_b32 s4, s12, 32
	v_lshlrev_b32_e32 v1, 4, v0
	s_ashr_i32 s5, s4, 4
	s_cmp_lt_i32 s4, s24
	v_cmp_gt_u32_e32 vcc_lo, 11, v68
	s_cselect_b32 s4, s5, s13
	v_and_b32_e32 v1, 0xf0, v1
	s_ashr_i32 s5, s4, 31
	s_delay_alu instid0(SALU_CYCLE_1) | instskip(NEXT) | instid1(SALU_CYCLE_1)
	s_lshl_b64 s[4:5], s[4:5], 2
	s_add_u32 s4, s16, s4
	s_addc_u32 s5, s25, s5
	s_or_b32 s6, s12, 64
	v_add_co_u32 v1, s26, s26, v1
	s_ashr_i32 s7, s6, 4
	s_cmp_lt_i32 s6, s24
	v_add_co_ci_u32_e64 v2, null, s27, 0, s26
	s_cselect_b32 s6, s7, s13
	s_delay_alu instid0(SALU_CYCLE_1) | instskip(NEXT) | instid1(SALU_CYCLE_1)
	s_ashr_i32 s7, s6, 31
	s_lshl_b64 s[6:7], s[6:7], 2
	s_delay_alu instid0(SALU_CYCLE_1) | instskip(SKIP_2) | instid1(SALU_CYCLE_1)
	s_add_u32 s6, s16, s6
	s_addc_u32 s7, s25, s7
	s_or_b32 s8, s12, 0x60
	s_ashr_i32 s9, s8, 4
	s_cmp_lt_i32 s8, s24
	s_cselect_b32 s8, s9, s13
	s_delay_alu instid0(SALU_CYCLE_1) | instskip(NEXT) | instid1(SALU_CYCLE_1)
	s_ashr_i32 s9, s8, 31
	s_lshl_b64 s[8:9], s[8:9], 2
	s_delay_alu instid0(SALU_CYCLE_1) | instskip(SKIP_2) | instid1(SALU_CYCLE_1)
	s_add_u32 s8, s16, s8
	s_addc_u32 s9, s25, s9
	s_or_b32 s10, s12, 0x80
	s_ashr_i32 s11, s10, 4
	s_cmp_lt_i32 s10, s24
	;; [unrolled: 10-line block ×3, first 2 shown]
	s_cselect_b32 s20, s21, s13
	s_delay_alu instid0(SALU_CYCLE_1) | instskip(NEXT) | instid1(SALU_CYCLE_1)
	s_ashr_i32 s21, s20, 31
	s_lshl_b64 s[20:21], s[20:21], 2
	s_delay_alu instid0(SALU_CYCLE_1)
	s_add_u32 s20, s16, s20
	s_addc_u32 s21, s25, s21
	s_clause 0x5
	s_load_b32 s26, s[2:3], 0x0
	s_load_b32 s27, s[4:5], 0x0
	;; [unrolled: 1-line block ×6, first 2 shown]
	s_or_b32 s2, s12, 0xc0
	s_mov_b32 s4, 0
	s_ashr_i32 s3, s2, 4
	s_cmp_lt_i32 s2, s24
	s_mov_b32 s11, s4
	s_cselect_b32 s2, s3, s13
	s_mov_b32 s5, s4
	s_ashr_i32 s3, s2, 31
	s_mov_b32 s6, s4
	s_lshl_b64 s[2:3], s[2:3], 2
	s_mov_b32 s7, s4
	s_add_u32 s2, s16, s2
	s_addc_u32 s3, s25, s3
	s_or_b32 s20, s12, 0xe0
	s_mov_b32 s8, s4
	s_ashr_i32 s21, s20, 4
	s_cmp_lt_i32 s20, s24
	s_mov_b32 s9, s4
	s_cselect_b32 s20, s21, s13
	s_mov_b32 s10, s4
	s_ashr_i32 s21, s20, 31
	v_mov_b32_e32 v118, s11
	v_dual_mov_b32 v112, s5 :: v_dual_mov_b32 v117, s10
	v_dual_mov_b32 v116, s9 :: v_dual_mov_b32 v115, s8
	;; [unrolled: 1-line block ×3, first 2 shown]
	v_mov_b32_e32 v111, s4
	s_lshl_b64 s[4:5], s[20:21], 2
	s_delay_alu instid0(SALU_CYCLE_1)
	s_add_u32 s4, s16, s4
	s_addc_u32 s5, s25, s5
	s_add_u32 s6, s22, s15
	s_addc_u32 s7, s23, s18
	s_waitcnt vmcnt(1)
	v_mad_i64_i32 v[3:4], null, v5, s17, v[1:2]
	s_waitcnt vmcnt(0)
	v_mad_i64_i32 v[5:6], null, v7, s17, v[1:2]
	v_add_nc_u32_e32 v1, -11, v68
	v_lshlrev_b32_e32 v2, 4, v68
	s_clause 0xf
	global_load_b128 v[17:20], v[3:4], off
	global_load_b128 v[21:24], v[3:4], off offset:256
	global_load_b128 v[25:28], v[5:6], off
	global_load_b128 v[29:32], v[5:6], off offset:256
	global_load_b128 v[57:60], v[3:4], off offset:512
	global_load_b128 v[61:64], v[3:4], off offset:768
	global_load_b128 v[71:74], v[5:6], off offset:512
	global_load_b128 v[75:78], v[5:6], off offset:768
	global_load_b128 v[79:82], v[3:4], off offset:1024
	global_load_b128 v[83:86], v[3:4], off offset:1280
	global_load_b128 v[87:90], v[5:6], off offset:1024
	global_load_b128 v[91:94], v[5:6], off offset:1280
	global_load_b128 v[95:98], v[3:4], off offset:1536
	global_load_b128 v[99:102], v[3:4], off offset:1792
	global_load_b128 v[103:106], v[5:6], off offset:1536
	global_load_b128 v[107:110], v[5:6], off offset:1792
	v_cndmask_b32_e32 v1, v1, v68, vcc_lo
	s_delay_alu instid0(VALU_DEP_1)
	v_lshlrev_b32_e32 v149, 6, v1
	v_lshl_or_b32 v1, v69, 8, v2
	ds_load_b128 v[119:122], v149
	ds_load_b128 v[123:126], v149 offset:1024
	ds_load_b128 v[127:130], v149 offset:2048
	;; [unrolled: 1-line block ×3, first 2 shown]
	s_clause 0x1
	s_load_b32 s2, s[2:3], 0x0
	s_load_b32 s3, s[4:5], 0x0
	v_add_co_u32 v135, s6, s6, v1
	s_delay_alu instid0(VALU_DEP_1) | instskip(SKIP_1) | instid1(VALU_DEP_1)
	v_add_co_ci_u32_e64 v136, null, s7, 0, s6
	s_waitcnt lgkmcnt(0)
	v_mad_i64_i32 v[1:2], null, s26, s17, v[135:136]
	v_mad_i64_i32 v[3:4], null, s27, s17, v[135:136]
	;; [unrolled: 1-line block ×6, first 2 shown]
	s_clause 0x9
	global_load_b128 v[49:52], v[1:2], off
	global_load_b128 v[53:56], v[1:2], off offset:16
	global_load_b128 v[41:44], v[3:4], off
	global_load_b128 v[45:48], v[3:4], off offset:16
	;; [unrolled: 2-line block ×5, first 2 shown]
	v_mad_i64_i32 v[145:146], null, s2, s17, v[135:136]
	v_mad_i64_i32 v[147:148], null, s3, s17, v[135:136]
	s_waitcnt vmcnt(24)
	v_wmma_f32_16x16x16_f16 v[135:142], v[17:24], v[119:126], v[111:118]
	s_waitcnt vmcnt(22)
	v_wmma_f32_16x16x16_f16 v[111:118], v[25:32], v[119:126], v[111:118]
	s_clause 0x3
	global_load_b128 v[17:20], v[143:144], off
	global_load_b128 v[21:24], v[143:144], off offset:16
	global_load_b128 v[25:28], v[145:146], off
	global_load_b128 v[29:32], v[145:146], off offset:16
	v_and_b32_e32 v119, 0xe0, v0
	s_waitcnt vmcnt(24)
	v_wmma_f32_16x16x16_f16 v[135:142], v[57:64], v[127:134], v[135:142]
	s_clause 0x1
	global_load_b128 v[57:60], v[147:148], off
	global_load_b128 v[61:64], v[147:148], off offset:16
	s_waitcnt vmcnt(24)
	v_wmma_f32_16x16x16_f16 v[111:118], v[71:78], v[127:134], v[111:118]
	ds_load_b128 v[71:74], v149 offset:4096
	ds_load_b128 v[75:78], v149 offset:5120
	v_add_nc_u32_e32 v128, s12, v119
	ds_load_b128 v[119:122], v149 offset:6144
	ds_load_b128 v[123:126], v149 offset:7168
	v_mbcnt_lo_u32_b32 v127, -1, 0
	s_waitcnt vmcnt(0) lgkmcnt(0)
	s_barrier
	v_or_b32_e32 v128, v128, v66
	buffer_gl0_inv
	v_xor_b32_e32 v129, 16, v127
	v_or_b32_e32 v130, 4, v128
	v_or_b32_e32 v131, 6, v128
	s_delay_alu instid0(VALU_DEP_3) | instskip(SKIP_4) | instid1(VALU_DEP_4)
	v_cmp_gt_i32_e32 vcc_lo, 32, v129
	v_or_b32_e32 v132, 8, v128
	v_or_b32_e32 v133, 10, v128
	v_cmp_gt_i32_e64 s3, s24, v130
	v_cmp_gt_i32_e64 s4, s24, v131
	;; [unrolled: 1-line block ×3, first 2 shown]
	v_wmma_f32_16x16x16_f16 v[135:142], v[79:86], v[71:78], v[135:142]
	v_wmma_f32_16x16x16_f16 v[111:118], v[87:94], v[71:78], v[111:118]
	v_or_b32_e32 v79, 12, v128
	v_or_b32_e32 v80, 14, v128
	v_cmp_gt_i32_e64 s6, s24, v133
	v_wmma_f32_16x16x16_f16 v[135:142], v[95:102], v[119:126], v[135:142]
	v_wmma_f32_16x16x16_f16 v[111:118], v[103:110], v[119:126], v[111:118]
	v_cndmask_b32_e32 v127, v127, v129, vcc_lo
	v_or_b32_e32 v129, 2, v128
	v_cmp_gt_i32_e32 vcc_lo, s24, v128
	v_mul_f32_e32 v88, s19, v135
	v_dual_mul_f32 v92, s19, v115 :: v_dual_mul_f32 v87, s19, v136
	s_delay_alu instid0(VALU_DEP_4)
	v_cmp_gt_i32_e64 s2, s24, v129
	v_mul_f32_e32 v78, s19, v138
	v_mul_f32_e32 v86, s19, v137
	v_cndmask_b32_e32 v88, 0xff7fffff, v88, vcc_lo
	v_mul_f32_e32 v76, s19, v140
	v_cndmask_b32_e64 v87, 0xff7fffff, v87, s2
	v_dual_mul_f32 v77, s19, v139 :: v_dual_mul_f32 v94, s19, v113
	v_cndmask_b32_e64 v86, 0xff7fffff, v86, s3
	v_cndmask_b32_e64 v78, 0xff7fffff, v78, s4
	s_delay_alu instid0(VALU_DEP_4)
	v_max3_f32 v87, v88, 0xff7fffff, v87
	v_or_b32_e32 v81, 16, v128
	v_or_b32_e32 v82, 18, v128
	v_dual_mul_f32 v74, s19, v142 :: v_dual_mul_f32 v75, s19, v141
	v_mul_f32_e32 v96, s19, v111
	v_cndmask_b32_e64 v77, 0xff7fffff, v77, s5
	v_cndmask_b32_e64 v76, 0xff7fffff, v76, s6
	v_max3_f32 v78, v87, v86, v78
	v_cmp_gt_i32_e64 s7, s24, v79
	v_cmp_gt_i32_e64 s8, s24, v80
	v_or_b32_e32 v83, 20, v128
	v_or_b32_e32 v84, 22, v128
	v_mul_f32_e32 v95, s19, v112
	v_cndmask_b32_e64 v75, 0xff7fffff, v75, s7
	v_cndmask_b32_e64 v74, 0xff7fffff, v74, s8
	v_max3_f32 v76, v78, v77, v76
	v_cmp_gt_i32_e64 s9, s24, v81
	v_cmp_gt_i32_e64 s10, s24, v82
	v_or_b32_e32 v85, 24, v128
	v_or_b32_e32 v71, 26, v128
	;; [unrolled: 8-line block ×3, first 2 shown]
	v_mul_f32_e32 v91, s19, v116
	v_cndmask_b32_e64 v75, 0xff7fffff, v94, s11
	v_cndmask_b32_e64 v76, 0xff7fffff, v93, s12
	v_max3_f32 v74, v74, v77, v78
	v_cmp_gt_i32_e64 s13, s24, v85
	v_cmp_gt_i32_e64 s15, s24, v71
	v_dual_mul_f32 v89, s19, v118 :: v_dual_mul_f32 v90, s19, v117
	s_delay_alu instid0(VALU_DEP_4) | instskip(NEXT) | instid1(VALU_DEP_4)
	v_max3_f32 v74, v74, v75, v76
	v_cndmask_b32_e64 v77, 0xff7fffff, v92, s13
	s_delay_alu instid0(VALU_DEP_4) | instskip(SKIP_2) | instid1(VALU_DEP_3)
	v_cndmask_b32_e64 v71, 0xff7fffff, v91, s15
	v_cmp_gt_i32_e64 s16, s24, v72
	v_cmp_gt_i32_e64 s17, s24, v73
	v_max3_f32 v71, v74, v77, v71
	s_delay_alu instid0(VALU_DEP_3) | instskip(NEXT) | instid1(VALU_DEP_3)
	v_cndmask_b32_e64 v72, 0xff7fffff, v90, s16
	v_cndmask_b32_e64 v73, 0xff7fffff, v89, s17
	v_lshlrev_b32_e32 v74, 2, v127
	s_delay_alu instid0(VALU_DEP_2) | instskip(SKIP_3) | instid1(VALU_DEP_1)
	v_max3_f32 v71, v71, v72, v73
	ds_bpermute_b32 v72, v74, v71
	s_waitcnt lgkmcnt(0)
	v_max_f32_e32 v72, v72, v72
	v_max_f32_e32 v71, v71, v72
	s_delay_alu instid0(VALU_DEP_1) | instskip(SKIP_4) | instid1(VALU_DEP_4)
	v_fma_f32 v72, s19, v135, -v71
	v_fma_f32 v73, s19, v136, -v71
	;; [unrolled: 1-line block ×5, first 2 shown]
	v_dual_mul_f32 v72, 0x3fb8aa3b, v72 :: v_dual_mul_f32 v73, 0x3fb8aa3b, v73
	v_fma_f32 v80, s19, v141, -v71
	s_delay_alu instid0(VALU_DEP_3) | instskip(NEXT) | instid1(VALU_DEP_3)
	v_dual_mul_f32 v76, 0x3fb8aa3b, v76 :: v_dual_mul_f32 v77, 0x3fb8aa3b, v77
	v_exp_f32_e32 v72, v72
	s_delay_alu instid0(VALU_DEP_3) | instskip(NEXT) | instid1(VALU_DEP_2)
	v_exp_f32_e32 v73, v73
	v_mul_f32_e32 v82, 0x3fb8aa3b, v80
	s_delay_alu instid0(VALU_DEP_2) | instskip(SKIP_1) | instid1(VALU_DEP_1)
	v_exp_f32_e32 v76, v76
	v_exp_f32_e32 v77, v77
	;; [unrolled: 1-line block ×3, first 2 shown]
	v_cndmask_b32_e32 v79, 0, v72, vcc_lo
	v_fma_f32 v72, s19, v140, -v71
	v_mul_f32_e32 v75, 0x3fb8aa3b, v75
	v_cndmask_b32_e64 v78, 0, v73, s2
	s_delay_alu instid0(TRANS32_DEP_3) | instskip(NEXT) | instid1(VALU_DEP_4)
	v_cndmask_b32_e64 v80, 0, v76, s4
	v_dual_add_f32 v73, 0, v79 :: v_dual_mul_f32 v72, 0x3fb8aa3b, v72
	s_delay_alu instid0(VALU_DEP_4) | instskip(NEXT) | instid1(TRANS32_DEP_3)
	v_exp_f32_e32 v75, v75
	v_cndmask_b32_e64 v83, 0, v77, s5
	s_delay_alu instid0(TRANS32_DEP_2) | instskip(NEXT) | instid1(VALU_DEP_3)
	v_cndmask_b32_e64 v85, 0, v84, s7
	v_add_f32_e32 v73, v73, v78
	v_exp_f32_e32 v72, v72
	v_cmp_gt_u32_e64 s2, 16, v70
	s_waitcnt_depctr 0xfff
	v_cndmask_b32_e64 v81, 0, v75, s3
	v_cndmask_b32_e64 v82, 0, v72, s6
	s_delay_alu instid0(VALU_DEP_2) | instskip(NEXT) | instid1(VALU_DEP_1)
	v_add_f32_e32 v73, v73, v81
	v_add_f32_e32 v73, v73, v80
	s_delay_alu instid0(VALU_DEP_1) | instskip(NEXT) | instid1(VALU_DEP_1)
	v_add_f32_e32 v72, v73, v83
	v_add_f32_e32 v72, v72, v82
	s_delay_alu instid0(VALU_DEP_1)
	v_add_f32_e32 v72, v72, v85
	v_fma_f32 v76, s19, v111, -v71
	v_fma_f32 v75, s19, v142, -v71
	;; [unrolled: 1-line block ×5, first 2 shown]
	v_mul_f32_e32 v76, 0x3fb8aa3b, v76
	s_delay_alu instid0(VALU_DEP_4) | instskip(NEXT) | instid1(VALU_DEP_2)
	v_mul_f32_e32 v86, 0x3fb8aa3b, v86
	v_exp_f32_e32 v76, v76
	s_delay_alu instid0(VALU_DEP_1)
	v_exp_f32_e32 v88, v86
	s_waitcnt_depctr 0xfff
	v_cndmask_b32_e64 v87, 0, v76, s9
	v_fma_f32 v76, s19, v116, -v71
	v_mul_f32_e32 v75, 0x3fb8aa3b, v75
	v_cndmask_b32_e64 v88, 0, v88, s12
	s_delay_alu instid0(VALU_DEP_3) | instskip(NEXT) | instid1(VALU_DEP_3)
	v_dual_mul_f32 v73, 0x3fb8aa3b, v73 :: v_dual_mul_f32 v76, 0x3fb8aa3b, v76
	v_exp_f32_e32 v75, v75
	s_delay_alu instid0(VALU_DEP_1) | instskip(NEXT) | instid1(VALU_DEP_1)
	v_exp_f32_e32 v73, v73
	v_exp_f32_e32 v76, v76
	s_delay_alu instid0(TRANS32_DEP_3)
	v_cndmask_b32_e64 v84, 0, v75, s8
	v_fma_f32 v75, s19, v115, -v71
	s_waitcnt_depctr 0xfff
	v_cndmask_b32_e64 v89, 0, v73, s11
	v_cndmask_b32_e64 v90, 0, v76, s15
	v_add_f32_e32 v72, v72, v84
	s_delay_alu instid0(VALU_DEP_1) | instskip(NEXT) | instid1(VALU_DEP_1)
	v_dual_add_f32 v72, v72, v87 :: v_dual_mul_f32 v77, 0x3fb8aa3b, v77
	v_exp_f32_e32 v77, v77
	s_waitcnt_depctr 0xfff
	v_cndmask_b32_e64 v86, 0, v77, s10
	v_fma_f32 v77, s19, v117, -v71
	s_delay_alu instid0(VALU_DEP_2) | instskip(NEXT) | instid1(VALU_DEP_1)
	v_dual_add_f32 v72, v72, v86 :: v_dual_mul_f32 v75, 0x3fb8aa3b, v75
	v_add_f32_e32 v72, v72, v89
	s_delay_alu instid0(VALU_DEP_2) | instskip(NEXT) | instid1(VALU_DEP_1)
	v_exp_f32_e32 v75, v75
	v_add_f32_e32 v72, v72, v88
	s_waitcnt_depctr 0xfff
	v_cndmask_b32_e64 v91, 0, v75, s13
	v_mul_f32_e32 v73, 0x3fb8aa3b, v77
	v_fma_f32 v77, s19, v118, -v71
	s_delay_alu instid0(VALU_DEP_3) | instskip(NEXT) | instid1(VALU_DEP_3)
	v_add_f32_e32 v72, v72, v91
	v_exp_f32_e32 v73, v73
	s_delay_alu instid0(VALU_DEP_1) | instskip(NEXT) | instid1(VALU_DEP_1)
	v_dual_mul_f32 v75, 0x3fb8aa3b, v77 :: v_dual_add_f32 v72, v72, v90
	v_exp_f32_e32 v75, v75
	s_waitcnt_depctr 0xfff
	v_cndmask_b32_e64 v93, 0, v73, s16
	s_delay_alu instid0(VALU_DEP_1) | instskip(SKIP_1) | instid1(VALU_DEP_1)
	v_add_f32_e32 v72, v72, v93
	v_cndmask_b32_e64 v92, 0, v75, s17
	v_add_f32_e32 v72, v72, v92
	ds_bpermute_b32 v73, v74, v72
	s_and_saveexec_b32 s3, s2
	s_cbranch_execz .LBB1224_12
; %bb.11:
	v_mul_u32_u24_e32 v70, 0x44, v69
	s_waitcnt lgkmcnt(0)
	v_add_f32_e32 v72, v72, v73
	s_delay_alu instid0(VALU_DEP_2) | instskip(NEXT) | instid1(VALU_DEP_1)
	v_lshl_add_u32 v70, v68, 2, v70
	v_add_nc_u32_e32 v70, 0x4000, v70
	ds_store_2addr_b32 v70, v71, v72 offset1:136
.LBB1224_12:
	s_or_b32 exec_lo, exec_lo, s3
	v_lshlrev_b32_e32 v70, 2, v68
	s_load_b32 s35, s[0:1], 0x94
	s_waitcnt lgkmcnt(0)
	s_barrier
	buffer_gl0_inv
	v_add_nc_u32_e32 v98, 0x4000, v70
	v_cmp_eq_u32_e32 vcc_lo, 1, v69
	v_cmp_eq_u32_e64 s3, 2, v69
	v_cmp_eq_u32_e64 s4, 3, v69
	;; [unrolled: 1-line block ×3, first 2 shown]
	ds_load_2addr_b32 v[70:71], v98 offset1:17
	ds_load_2addr_b32 v[72:73], v98 offset0:34 offset1:51
	ds_load_2addr_b32 v[74:75], v98 offset0:68 offset1:85
	;; [unrolled: 1-line block ×3, first 2 shown]
	v_cmp_eq_u32_e64 s6, 5, v69
	v_cmp_eq_u32_e64 s7, 7, v69
	s_waitcnt lgkmcnt(3)
	v_max3_f32 v76, v70, 0xff7fffff, v71
	s_waitcnt lgkmcnt(2)
	s_delay_alu instid0(VALU_DEP_1) | instskip(SKIP_1) | instid1(VALU_DEP_1)
	v_max3_f32 v76, v76, v72, v73
	s_waitcnt lgkmcnt(1)
	v_max3_f32 v76, v76, v74, v75
	s_waitcnt lgkmcnt(0)
	s_delay_alu instid0(VALU_DEP_1) | instskip(NEXT) | instid1(VALU_DEP_1)
	v_max3_f32 v76, v76, v94, v95
	v_sub_f32_e32 v77, v71, v76
	ds_load_2addr_b32 v[96:97], v98 offset0:136 offset1:153
	v_sub_f32_e32 v74, v74, v76
	v_sub_f32_e32 v70, v70, v76
	;; [unrolled: 1-line block ×3, first 2 shown]
	v_dual_sub_f32 v72, v72, v76 :: v_dual_mul_f32 v77, 0x3fb8aa3b, v77
	s_delay_alu instid0(VALU_DEP_4) | instskip(NEXT) | instid1(VALU_DEP_4)
	v_mul_f32_e32 v103, 0x3fb8aa3b, v74
	v_mul_f32_e32 v99, 0x3fb8aa3b, v70
	ds_load_2addr_b32 v[70:71], v98 offset0:170 offset1:187
	v_dual_mul_f32 v101, 0x3fb8aa3b, v72 :: v_dual_mul_f32 v94, 0x3fb8aa3b, v94
	v_exp_f32_e32 v102, v77
	v_exp_f32_e32 v99, v99
	s_delay_alu instid0(VALU_DEP_1) | instskip(NEXT) | instid1(VALU_DEP_1)
	v_exp_f32_e32 v101, v101
	v_exp_f32_e32 v94, v94
	s_waitcnt lgkmcnt(1)
	s_delay_alu instid0(TRANS32_DEP_3)
	v_fma_f32 v77, v99, v96, 0
	v_sub_f32_e32 v100, v73, v76
	ds_load_2addr_b32 v[72:73], v98 offset0:204 offset1:221
	v_fmac_f32_e32 v77, v102, v97
	v_exp_f32_e32 v97, v103
	s_waitcnt lgkmcnt(1)
	s_delay_alu instid0(VALU_DEP_1)
	v_dual_fmac_f32 v77, v101, v70 :: v_dual_sub_f32 v96, v75, v76
	ds_load_2addr_b32 v[74:75], v98 offset0:238 offset1:255
	v_sub_f32_e32 v70, v95, v76
	s_waitcnt lgkmcnt(0)
	s_barrier
	v_mul_f32_e32 v96, 0x3fb8aa3b, v96
	buffer_gl0_inv
	v_exp_f32_e32 v95, v96
	v_mul_f32_e32 v100, 0x3fb8aa3b, v100
	s_delay_alu instid0(VALU_DEP_1) | instskip(SKIP_3) | instid1(VALU_DEP_2)
	v_exp_f32_e32 v100, v100
	s_waitcnt_depctr 0xfff
	v_dual_fmac_f32 v77, v100, v71 :: v_dual_mul_f32 v70, 0x3fb8aa3b, v70
	v_cndmask_b32_e32 v71, v99, v102, vcc_lo
	v_fmac_f32_e32 v77, v97, v72
	s_delay_alu instid0(VALU_DEP_3) | instskip(NEXT) | instid1(VALU_DEP_1)
	v_exp_f32_e32 v96, v70
	v_fmac_f32_e32 v77, v95, v73
	s_delay_alu instid0(VALU_DEP_1) | instskip(SKIP_2) | instid1(VALU_DEP_1)
	v_fmac_f32_e32 v77, v94, v74
	s_waitcnt_depctr 0xfff
	v_fmac_f32_e32 v77, v96, v75
	v_add_f32_e32 v74, 0x358637bd, v77
	s_delay_alu instid0(VALU_DEP_1) | instskip(SKIP_1) | instid1(VALU_DEP_2)
	v_div_scale_f32 v98, null, v74, v74, 1.0
	v_div_scale_f32 v99, vcc_lo, 1.0, v74, 1.0
	v_rcp_f32_e32 v103, v98
	s_waitcnt_depctr 0xfff
	v_fma_f32 v70, -v98, v103, 1.0
	s_delay_alu instid0(VALU_DEP_1) | instskip(SKIP_2) | instid1(VALU_DEP_2)
	v_fmac_f32_e32 v103, v70, v103
	v_cndmask_b32_e64 v70, v71, v101, s3
	v_cmp_eq_u32_e64 s3, 6, v69
	v_cndmask_b32_e64 v71, v70, v100, s4
	s_delay_alu instid0(VALU_DEP_4) | instskip(NEXT) | instid1(VALU_DEP_2)
	v_dual_mul_f32 v101, v99, v103 :: v_dual_lshlrev_b32 v70, 2, v66
	v_cndmask_b32_e64 v71, v71, v97, s5
	s_delay_alu instid0(VALU_DEP_2) | instskip(NEXT) | instid1(VALU_DEP_3)
	v_or_b32_e32 v72, 1, v70
	v_fma_f32 v100, -v98, v101, v99
	v_cmp_eq_u32_e64 s4, 1, v70
	v_cmp_eq_u32_e64 s5, 2, v70
	v_cndmask_b32_e64 v95, v71, v95, s6
	v_or_b32_e32 v71, 3, v70
	v_fmac_f32_e32 v101, v100, v103
	v_cmp_eq_u32_e64 s9, 1, v72
	v_cmp_eq_u32_e64 s12, 2, v72
	v_cndmask_b32_e64 v94, v95, v94, s3
	v_cmp_eq_u32_e64 s11, 1, v71
	v_fma_f32 v97, -v98, v101, v99
	v_cmp_eq_u32_e64 s16, 2, v71
	v_cmp_eq_u32_e64 s13, 3, v72
	v_cndmask_b32_e64 v94, v94, v96, s7
	v_cmp_eq_u32_e64 s18, 3, v71
	v_div_fmas_f32 v95, v97, v103, v101
	v_cmp_eq_u32_e32 vcc_lo, 3, v70
	v_cmp_eq_u32_e64 s3, 4, v70
	v_cmp_eq_u32_e64 s19, 4, v72
	;; [unrolled: 1-line block ×3, first 2 shown]
	v_div_fixup_f32 v95, v95, v74, 1.0
	v_lshlrev_b32_e32 v73, 6, v68
	v_cmp_eq_u32_e64 s6, 5, v70
	v_cmp_eq_u32_e64 s20, 5, v72
	;; [unrolled: 1-line block ×3, first 2 shown]
	v_mul_f32_e32 v102, v94, v95
	v_lshl_or_b32 v75, v69, 11, v73
	v_or_b32_e32 v69, 2, v70
	v_cmp_eq_u32_e64 s25, 6, v72
	v_cmp_eq_u32_e64 s27, 6, v71
	v_fma_mixlo_f16 v94, v102, v79, 0
	v_fma_mixlo_f16 v95, v102, v81, 0
	;; [unrolled: 1-line block ×8, first 2 shown]
	v_lshl_or_b32 v74, v66, 4, v75
	v_fma_mixhi_f16 v94, v102, v78, 0
	v_fma_mixhi_f16 v95, v102, v80, 0
	;; [unrolled: 1-line block ×8, first 2 shown]
	ds_store_b128 v74, v[94:97]
	ds_store_b128 v74, v[98:101] offset:1024
	s_waitcnt lgkmcnt(0)
	s_barrier
	buffer_gl0_inv
	ds_load_b128 v[78:81], v75
	ds_load_b128 v[82:85], v75 offset:16
	ds_load_b128 v[86:89], v75 offset:1024
	;; [unrolled: 1-line block ×3, first 2 shown]
	v_cmp_eq_u32_e64 s10, 1, v69
	v_cmp_eq_u32_e64 s15, 2, v69
	v_cmp_eq_u32_e64 s17, 3, v69
	v_cmp_eq_u32_e64 s21, 4, v69
	v_cmp_eq_u32_e64 s23, 5, v69
	v_cmp_eq_u32_e64 s7, 6, v70
	v_cmp_eq_u32_e64 s26, 6, v69
	v_cmp_eq_u32_e64 s29, 7, v71
	v_cmp_eq_u32_e64 s30, 7, v72
	v_cmp_eq_u32_e64 s8, 7, v70
	v_cmp_eq_u32_e64 s28, 7, v69
	s_waitcnt lgkmcnt(3)
	v_lshrrev_b32_e32 v94, 16, v78
	s_waitcnt lgkmcnt(2)
	v_lshrrev_b32_e32 v98, 16, v82
	;; [unrolled: 2-line block ×4, first 2 shown]
	v_lshrrev_b32_e32 v95, 16, v79
	v_cndmask_b32_e64 v110, v78, v94, s4
	v_cndmask_b32_e64 v111, v82, v98, s4
	;; [unrolled: 1-line block ×8, first 2 shown]
	v_lshrrev_b32_e32 v99, 16, v83
	v_cndmask_b32_e64 v94, v86, v102, s4
	v_cndmask_b32_e64 v98, v90, v106, s4
	;; [unrolled: 1-line block ×15, first 2 shown]
	v_lshrrev_b32_e32 v103, 16, v87
	v_lshrrev_b32_e32 v107, 16, v91
	v_cndmask_b32_e64 v113, v115, v83, s15
	v_cndmask_b32_e64 v82, v94, v87, s5
	;; [unrolled: 1-line block ×7, first 2 shown]
	v_cndmask_b32_e32 v90, v102, v95, vcc_lo
	v_cndmask_b32_e32 v102, v106, v99, vcc_lo
	v_cndmask_b32_e64 v106, v110, v95, s13
	v_cndmask_b32_e64 v110, v111, v99, s13
	;; [unrolled: 1-line block ×4, first 2 shown]
	v_lshrrev_b32_e32 v96, 16, v80
	v_lshrrev_b32_e32 v100, 16, v84
	v_cndmask_b32_e64 v111, v112, v95, s17
	v_cndmask_b32_e64 v112, v113, v99, s17
	v_cndmask_b32_e32 v82, v82, v103, vcc_lo
	v_cndmask_b32_e32 v83, v83, v107, vcc_lo
	v_cndmask_b32_e64 v94, v94, v103, s13
	v_cndmask_b32_e64 v90, v90, v80, s3
	;; [unrolled: 1-line block ×7, first 2 shown]
	v_lshrrev_b32_e32 v104, 16, v88
	v_cndmask_b32_e64 v106, v111, v80, s21
	v_cndmask_b32_e64 v110, v112, v84, s21
	;; [unrolled: 1-line block ×11, first 2 shown]
	v_lshrrev_b32_e32 v97, 16, v81
	v_lshrrev_b32_e32 v101, 16, v85
	v_cndmask_b32_e64 v99, v106, v96, s23
	v_cndmask_b32_e64 v102, v110, v100, s23
	;; [unrolled: 1-line block ×7, first 2 shown]
	v_lshrrev_b32_e32 v105, 16, v89
	v_cndmask_b32_e64 v80, v80, v104, s6
	v_cndmask_b32_e64 v84, v84, v81, s7
	;; [unrolled: 1-line block ×16, first 2 shown]
	v_perm_b32 v81, v79, v78, 0x5040100
	v_perm_b32 v79, v95, v85, 0x5040100
	v_cndmask_b32_e64 v78, v119, v91, s15
	v_cndmask_b32_e64 v85, v117, v91, s12
	;; [unrolled: 1-line block ×3, first 2 shown]
	v_perm_b32 v80, v94, v90, 0x5040100
	v_cndmask_b32_e64 v90, v98, v103, s17
	v_cndmask_b32_e64 v86, v86, v103, s18
	;; [unrolled: 1-line block ×5, first 2 shown]
	v_lshrrev_b32_e32 v108, 16, v92
	v_cndmask_b32_e64 v90, v90, v88, s21
	v_cndmask_b32_e64 v86, v86, v88, s22
	;; [unrolled: 1-line block ×11, first 2 shown]
	v_lshrrev_b32_e32 v109, 16, v93
	v_cndmask_b32_e64 v82, v82, v93, s7
	v_cndmask_b32_e64 v88, v88, v89, s26
	;; [unrolled: 1-line block ×12, first 2 shown]
	v_perm_b32 v78, v84, v83, 0x5040100
	v_perm_b32 v85, v87, v86, 0x5040100
	;; [unrolled: 1-line block ×5, first 2 shown]
	s_mul_i32 s8, s33, 11
	s_mov_b32 s3, exec_lo
	ds_store_b128 v74, v[78:81]
	ds_store_b128 v74, v[82:85] offset:1024
	v_cmpx_gt_u32_e32 11, v0
	s_cbranch_execz .LBB1224_14
; %bb.13:
	s_mul_i32 s4, s8, s34
	s_delay_alu instid0(SALU_CYCLE_1) | instskip(SKIP_1) | instid1(VALU_DEP_1)
	v_add3_u32 v68, s4, s31, v68
	s_load_b128 s[4:7], s[0:1], 0x58
	v_mad_u64_u32 v[78:79], null, v68, s35, s[14:15]
	s_delay_alu instid0(VALU_DEP_1) | instskip(NEXT) | instid1(VALU_DEP_1)
	v_ashrrev_i32_e32 v79, 31, v78
	v_lshlrev_b64 v[78:79], 2, v[78:79]
	s_waitcnt lgkmcnt(0)
	s_delay_alu instid0(VALU_DEP_1) | instskip(NEXT) | instid1(VALU_DEP_2)
	v_add_co_u32 v80, vcc_lo, s6, v78
	v_add_co_ci_u32_e32 v81, vcc_lo, s7, v79, vcc_lo
	v_add_co_u32 v78, vcc_lo, s4, v78
	v_add_co_ci_u32_e32 v79, vcc_lo, s5, v79, vcc_lo
	global_store_b32 v[80:81], v76, off
	global_store_b32 v[78:79], v77, off
.LBB1224_14:
	s_or_b32 exec_lo, exec_lo, s3
	s_waitcnt lgkmcnt(0)
	s_waitcnt_vscnt null, 0x0
	s_barrier
	buffer_gl0_inv
	ds_load_b128 v[84:87], v73
	ds_load_b128 v[88:91], v73 offset:16
	ds_load_b128 v[96:99], v73 offset:2064
	;; [unrolled: 1-line block ×5, first 2 shown]
	v_cmp_eq_u32_e32 vcc_lo, 1, v70
	v_mov_b32_e32 v76, 0
	ds_load_b128 v[112:115], v73 offset:6160
	ds_load_b128 v[108:111], v73 offset:6144
	;; [unrolled: 1-line block ×4, first 2 shown]
	v_cmp_eq_u32_e64 s4, 1, v69
	v_cmp_eq_u32_e64 s3, 1, v72
	;; [unrolled: 1-line block ×3, first 2 shown]
	v_mov_b32_e32 v77, v76
	v_mov_b32_e32 v78, v76
	;; [unrolled: 1-line block ×7, first 2 shown]
	v_cmp_eq_u32_e64 s6, 3, v72
	v_cmp_eq_u32_e64 s7, 7, v72
	s_waitcnt lgkmcnt(8)
	s_delay_alu instid0(VALU_DEP_3)
	v_wmma_f32_16x16x16_f16 v[76:83], v[49:56], v[84:91], v[76:83]
	ds_load_b128 v[53:56], v73 offset:10256
	ds_load_b128 v[49:52], v73 offset:10240
	s_waitcnt lgkmcnt(8)
	v_wmma_f32_16x16x16_f16 v[76:83], v[41:48], v[92:99], v[76:83]
	ds_load_b128 v[45:48], v73 offset:12304
	ds_load_b128 v[41:44], v73 offset:12288
	s_waitcnt lgkmcnt(8)
	;; [unrolled: 4-line block ×3, first 2 shown]
	s_barrier
	buffer_gl0_inv
	v_wmma_f32_16x16x16_f16 v[76:83], v[1:8], v[108:115], v[76:83]
	s_delay_alu instid0(VALU_DEP_1) | instskip(NEXT) | instid1(VALU_DEP_1)
	v_wmma_f32_16x16x16_f16 v[76:83], v[9:16], v[116:123], v[76:83]
	v_wmma_f32_16x16x16_f16 v[76:83], v[17:24], v[49:56], v[76:83]
	s_delay_alu instid0(VALU_DEP_1) | instskip(NEXT) | instid1(VALU_DEP_1)
	v_wmma_f32_16x16x16_f16 v[76:83], v[25:32], v[41:48], v[76:83]
	v_wmma_f32_16x16x16_f16 v[76:83], v[57:64], v[33:40], v[76:83]
	s_delay_alu instid0(VALU_DEP_1) | instskip(NEXT) | instid1(VALU_DEP_2)
	v_cvt_f16_f32_e32 v1, v76
	v_cvt_f16_f32_e32 v2, v77
	s_delay_alu instid0(VALU_DEP_3) | instskip(NEXT) | instid1(VALU_DEP_4)
	v_cvt_f16_f32_e32 v3, v78
	v_cvt_f16_f32_e32 v4, v79
	v_cvt_f16_f32_e32 v5, v80
	v_cvt_f16_f32_e32 v6, v81
	v_cvt_f16_f32_e32 v7, v82
	v_cvt_f16_f32_e32 v8, v83
	v_pack_b32_f16 v1, v1, v2
	v_pack_b32_f16 v2, v3, v4
	;; [unrolled: 1-line block ×3, first 2 shown]
	s_delay_alu instid0(VALU_DEP_4)
	v_pack_b32_f16 v4, v7, v8
	ds_store_b128 v74, v[1:4]
	s_waitcnt lgkmcnt(0)
	s_barrier
	buffer_gl0_inv
	ds_load_b128 v[1:4], v75
	ds_load_b128 v[5:8], v75 offset:16
	s_waitcnt lgkmcnt(1)
	v_lshrrev_b32_e32 v9, 16, v1
	s_waitcnt lgkmcnt(0)
	v_lshrrev_b32_e32 v13, 16, v5
	v_lshrrev_b32_e32 v10, 16, v2
	;; [unrolled: 1-line block ×4, first 2 shown]
	v_cndmask_b32_e32 v17, v1, v9, vcc_lo
	v_cndmask_b32_e32 v18, v5, v13, vcc_lo
	v_cndmask_b32_e64 v21, v1, v9, s4
	v_cmp_eq_u32_e32 vcc_lo, 1, v71
	v_cndmask_b32_e64 v22, v5, v13, s4
	v_cmp_eq_u32_e64 s4, 2, v70
	v_cndmask_b32_e64 v19, v1, v9, s3
	v_cndmask_b32_e64 v20, v5, v13, s3
	v_cndmask_b32_e32 v1, v1, v9, vcc_lo
	v_cmp_eq_u32_e64 s3, 2, v71
	v_cndmask_b32_e32 v5, v5, v13, vcc_lo
	v_cndmask_b32_e64 v9, v17, v2, s4
	v_cmp_eq_u32_e32 vcc_lo, 3, v70
	v_cndmask_b32_e64 v13, v18, v6, s4
	v_cmp_eq_u32_e64 s4, 2, v69
	v_cndmask_b32_e64 v17, v19, v2, s5
	v_cndmask_b32_e64 v18, v20, v6, s5
	v_cmp_eq_u32_e64 s5, 3, v69
	v_cndmask_b32_e64 v1, v1, v2, s3
	v_cndmask_b32_e64 v19, v21, v2, s4
	;; [unrolled: 1-line block ×4, first 2 shown]
	v_cndmask_b32_e32 v5, v9, v10, vcc_lo
	v_cndmask_b32_e32 v6, v13, v14, vcc_lo
	v_cmp_eq_u32_e32 vcc_lo, 3, v71
	v_cndmask_b32_e64 v9, v17, v10, s6
	v_cndmask_b32_e64 v13, v18, v14, s6
	;; [unrolled: 1-line block ×3, first 2 shown]
	v_cmp_eq_u32_e64 s4, 4, v70
	v_cndmask_b32_e32 v1, v1, v10, vcc_lo
	v_cndmask_b32_e32 v2, v2, v14, vcc_lo
	v_cmp_eq_u32_e32 vcc_lo, 4, v72
	v_lshrrev_b32_e32 v15, 16, v7
	v_lshrrev_b32_e32 v16, 16, v8
	v_cndmask_b32_e64 v17, v19, v10, s5
	v_cmp_eq_u32_e64 s3, 4, v71
	v_cndmask_b32_e64 v5, v5, v3, s4
	v_cndmask_b32_e64 v6, v6, v7, s4
	v_cndmask_b32_e32 v9, v9, v3, vcc_lo
	v_cmp_eq_u32_e64 s4, 5, v72
	v_cndmask_b32_e32 v10, v13, v7, vcc_lo
	v_cmp_eq_u32_e32 vcc_lo, 4, v69
	v_cmp_eq_u32_e64 s5, 5, v70
	v_cndmask_b32_e64 v2, v2, v7, s3
	v_cndmask_b32_e64 v9, v9, v11, s4
	;; [unrolled: 1-line block ×3, first 2 shown]
	v_cndmask_b32_e32 v13, v17, v3, vcc_lo
	v_cmp_eq_u32_e64 s4, 5, v69
	v_cndmask_b32_e32 v14, v18, v7, vcc_lo
	v_cndmask_b32_e64 v1, v1, v3, s3
	v_cmp_eq_u32_e32 vcc_lo, 5, v71
	v_lshrrev_b32_e32 v12, 16, v4
	v_cndmask_b32_e64 v13, v13, v11, s4
	v_cndmask_b32_e64 v3, v14, v15, s4
	v_cmp_eq_u32_e64 s4, 6, v71
	v_cndmask_b32_e32 v1, v1, v11, vcc_lo
	v_cndmask_b32_e64 v5, v5, v11, s5
	v_cmp_eq_u32_e64 s6, 6, v70
	v_cndmask_b32_e64 v6, v6, v15, s5
	v_cmp_eq_u32_e64 s5, 6, v72
	v_cmp_eq_u32_e64 s3, 6, v69
	v_cndmask_b32_e64 v1, v1, v4, s4
	v_cndmask_b32_e32 v2, v2, v15, vcc_lo
	v_cmp_eq_u32_e32 vcc_lo, 7, v71
	v_cndmask_b32_e64 v5, v5, v4, s6
	v_cndmask_b32_e64 v9, v9, v4, s5
	;; [unrolled: 1-line block ×3, first 2 shown]
	v_cmp_eq_u32_e64 s6, 7, v70
	v_cndmask_b32_e32 v1, v1, v12, vcc_lo
	v_cndmask_b32_e64 v7, v13, v4, s3
	v_cndmask_b32_e64 v3, v3, v8, s3
	;; [unrolled: 1-line block ×3, first 2 shown]
	v_cmp_eq_u32_e64 s3, 7, v69
	v_cndmask_b32_e64 v4, v10, v8, s5
	v_cndmask_b32_e64 v5, v5, v12, s6
	;; [unrolled: 1-line block ×3, first 2 shown]
	v_cndmask_b32_e32 v2, v2, v16, vcc_lo
	v_cndmask_b32_e64 v7, v7, v12, s3
	v_cndmask_b32_e64 v3, v3, v16, s3
	;; [unrolled: 1-line block ×4, first 2 shown]
	v_perm_b32 v4, v2, v1, 0x5040100
	s_mov_b32 s3, exec_lo
	v_perm_b32 v3, v3, v7, 0x5040100
	v_perm_b32 v2, v8, v9, 0x5040100
	;; [unrolled: 1-line block ×3, first 2 shown]
	ds_store_b128 v74, v[1:4]
	s_waitcnt lgkmcnt(0)
	s_barrier
	buffer_gl0_inv
	v_cmpx_gt_u32_e32 32, v0
	s_cbranch_execz .LBB1224_2
; %bb.15:
	s_load_b64 s[4:5], s[0:1], 0x68
	v_lshlrev_b32_e32 v0, 10, v0
	v_lshlrev_b32_e32 v1, 4, v67
	s_lshl_b32 s0, s35, 7
	v_add_nc_u32_e32 v7, s31, v66
	s_mul_i32 s1, s0, s34
	s_delay_alu instid0(SALU_CYCLE_1) | instskip(SKIP_1) | instid1(VALU_DEP_2)
	s_mul_i32 s6, s1, s8
	v_and_or_b32 v0, 0x3800, v0, v1
	v_mul_lo_u32 v1, v7, s0
	v_add_nc_u32_e32 v2, 2, v7
	s_ashr_i32 s7, s6, 31
	v_add_nc_u32_e32 v4, 4, v7
	s_lshl_b64 s[6:7], s[6:7], 1
	v_add_nc_u32_e32 v8, 6, v7
	v_mul_lo_u32 v3, v2, s0
	v_lshl_or_b32 v19, v66, 6, v0
	v_ashrrev_i32_e32 v2, 31, v1
	v_mul_lo_u32 v11, v4, s0
	v_mul_lo_u32 v25, v8, s0
	s_waitcnt lgkmcnt(0)
	s_add_u32 s1, s4, s6
	s_addc_u32 s3, s5, s7
	s_lshl_b32 s4, s14, 7
	v_lshlrev_b64 v[5:6], 1, v[1:2]
	s_ashr_i32 s5, s4, 31
	v_ashrrev_i32_e32 v4, 31, v3
	s_lshl_b64 s[4:5], s[4:5], 1
	v_ashrrev_i32_e32 v12, 31, v11
	s_add_u32 s1, s1, s4
	s_addc_u32 s3, s3, s5
	v_add_co_u32 v1, s1, s1, v65
	s_delay_alu instid0(VALU_DEP_1) | instskip(SKIP_1) | instid1(VALU_DEP_3)
	v_add_co_ci_u32_e64 v2, null, s3, 0, s1
	v_lshlrev_b64 v[3:4], 1, v[3:4]
	v_add_co_u32 v23, vcc_lo, v1, v5
	v_add_nc_u32_e32 v5, 8, v7
	s_delay_alu instid0(VALU_DEP_4) | instskip(NEXT) | instid1(VALU_DEP_4)
	v_add_co_ci_u32_e32 v24, vcc_lo, v2, v6, vcc_lo
	v_add_co_u32 v27, vcc_lo, v1, v3
	s_delay_alu instid0(VALU_DEP_3)
	v_mul_lo_u32 v29, v5, s0
	v_add_co_ci_u32_e32 v28, vcc_lo, v2, v4, vcc_lo
	ds_load_b128 v[3:6], v19
	ds_load_b128 v[7:10], v19 offset:128
	v_lshlrev_b64 v[31:32], 1, v[11:12]
	ds_load_b128 v[11:14], v19 offset:256
	ds_load_b128 v[15:18], v19 offset:384
	;; [unrolled: 1-line block ×3, first 2 shown]
	v_ashrrev_i32_e32 v26, 31, v25
	v_ashrrev_i32_e32 v30, 31, v29
	v_add_co_u32 v31, vcc_lo, v1, v31
	s_delay_alu instid0(VALU_DEP_3) | instskip(NEXT) | instid1(VALU_DEP_3)
	v_lshlrev_b64 v[25:26], 1, v[25:26]
	v_lshlrev_b64 v[29:30], 1, v[29:30]
	v_add_co_ci_u32_e32 v32, vcc_lo, v2, v32, vcc_lo
	s_delay_alu instid0(VALU_DEP_3) | instskip(NEXT) | instid1(VALU_DEP_4)
	v_add_co_u32 v25, vcc_lo, v1, v25
	v_add_co_ci_u32_e32 v26, vcc_lo, v2, v26, vcc_lo
	s_delay_alu instid0(VALU_DEP_4)
	v_add_co_u32 v29, vcc_lo, v1, v29
	v_add_co_ci_u32_e32 v30, vcc_lo, v2, v30, vcc_lo
	s_waitcnt lgkmcnt(4)
	global_store_b128 v[23:24], v[3:6], off
	s_waitcnt lgkmcnt(3)
	global_store_b128 v[27:28], v[7:10], off
	;; [unrolled: 2-line block ×5, first 2 shown]
	s_and_b32 exec_lo, exec_lo, s2
	s_cbranch_execz .LBB1224_2
; %bb.16:
	ds_load_b128 v[3:6], v0 offset:640
	s_add_i32 s1, s31, 10
	s_delay_alu instid0(SALU_CYCLE_1) | instskip(NEXT) | instid1(SALU_CYCLE_1)
	s_mul_i32 s0, s1, s0
	s_ashr_i32 s1, s0, 31
	s_delay_alu instid0(SALU_CYCLE_1) | instskip(NEXT) | instid1(SALU_CYCLE_1)
	s_lshl_b64 s[0:1], s[0:1], 1
	v_add_co_u32 v0, vcc_lo, v1, s0
	v_add_co_ci_u32_e32 v1, vcc_lo, s1, v2, vcc_lo
	s_waitcnt lgkmcnt(0)
	global_store_b128 v[0:1], v[3:6], off
	s_nop 0
	s_sendmsg sendmsg(MSG_DEALLOC_VGPRS)
	s_endpgm
	.section	.rodata,"a",@progbits
	.p2align	6, 0x0
	.amdhsa_kernel _Z39paged_attention_ll4mi_QKV_mfma16_kernelIDF16_hLN4vllm18Fp8KVCacheDataTypeE1EhLi16ELi128ELi256ELb1ELi11EL8MFMAType0EEvPKT_PKT0_S8_ifPKiSA_SA_iPKfiiiPfSD_PS3_PT2_iSC_SC_
		.amdhsa_group_segment_fixed_size 17472
		.amdhsa_private_segment_fixed_size 0
		.amdhsa_kernarg_size 400
		.amdhsa_user_sgpr_count 13
		.amdhsa_user_sgpr_dispatch_ptr 0
		.amdhsa_user_sgpr_queue_ptr 0
		.amdhsa_user_sgpr_kernarg_segment_ptr 1
		.amdhsa_user_sgpr_dispatch_id 0
		.amdhsa_user_sgpr_private_segment_size 0
		.amdhsa_wavefront_size32 1
		.amdhsa_uses_dynamic_stack 0
		.amdhsa_enable_private_segment 0
		.amdhsa_system_sgpr_workgroup_id_x 1
		.amdhsa_system_sgpr_workgroup_id_y 1
		.amdhsa_system_sgpr_workgroup_id_z 1
		.amdhsa_system_sgpr_workgroup_info 0
		.amdhsa_system_vgpr_workitem_id 0
		.amdhsa_next_free_vgpr 150
		.amdhsa_next_free_sgpr 36
		.amdhsa_reserve_vcc 1
		.amdhsa_float_round_mode_32 0
		.amdhsa_float_round_mode_16_64 0
		.amdhsa_float_denorm_mode_32 3
		.amdhsa_float_denorm_mode_16_64 3
		.amdhsa_dx10_clamp 1
		.amdhsa_ieee_mode 1
		.amdhsa_fp16_overflow 0
		.amdhsa_workgroup_processor_mode 1
		.amdhsa_memory_ordered 1
		.amdhsa_forward_progress 0
		.amdhsa_shared_vgpr_count 0
		.amdhsa_exception_fp_ieee_invalid_op 0
		.amdhsa_exception_fp_denorm_src 0
		.amdhsa_exception_fp_ieee_div_zero 0
		.amdhsa_exception_fp_ieee_overflow 0
		.amdhsa_exception_fp_ieee_underflow 0
		.amdhsa_exception_fp_ieee_inexact 0
		.amdhsa_exception_int_div_zero 0
	.end_amdhsa_kernel
	.section	.text._Z39paged_attention_ll4mi_QKV_mfma16_kernelIDF16_hLN4vllm18Fp8KVCacheDataTypeE1EhLi16ELi128ELi256ELb1ELi11EL8MFMAType0EEvPKT_PKT0_S8_ifPKiSA_SA_iPKfiiiPfSD_PS3_PT2_iSC_SC_,"axG",@progbits,_Z39paged_attention_ll4mi_QKV_mfma16_kernelIDF16_hLN4vllm18Fp8KVCacheDataTypeE1EhLi16ELi128ELi256ELb1ELi11EL8MFMAType0EEvPKT_PKT0_S8_ifPKiSA_SA_iPKfiiiPfSD_PS3_PT2_iSC_SC_,comdat
.Lfunc_end1224:
	.size	_Z39paged_attention_ll4mi_QKV_mfma16_kernelIDF16_hLN4vllm18Fp8KVCacheDataTypeE1EhLi16ELi128ELi256ELb1ELi11EL8MFMAType0EEvPKT_PKT0_S8_ifPKiSA_SA_iPKfiiiPfSD_PS3_PT2_iSC_SC_, .Lfunc_end1224-_Z39paged_attention_ll4mi_QKV_mfma16_kernelIDF16_hLN4vllm18Fp8KVCacheDataTypeE1EhLi16ELi128ELi256ELb1ELi11EL8MFMAType0EEvPKT_PKT0_S8_ifPKiSA_SA_iPKfiiiPfSD_PS3_PT2_iSC_SC_
                                        ; -- End function
	.section	.AMDGPU.csdata,"",@progbits
; Kernel info:
; codeLenInByte = 6800
; NumSgprs: 38
; NumVgprs: 150
; ScratchSize: 0
; MemoryBound: 0
; FloatMode: 240
; IeeeMode: 1
; LDSByteSize: 17472 bytes/workgroup (compile time only)
; SGPRBlocks: 4
; VGPRBlocks: 18
; NumSGPRsForWavesPerEU: 38
; NumVGPRsForWavesPerEU: 150
; Occupancy: 9
; WaveLimiterHint : 1
; COMPUTE_PGM_RSRC2:SCRATCH_EN: 0
; COMPUTE_PGM_RSRC2:USER_SGPR: 13
; COMPUTE_PGM_RSRC2:TRAP_HANDLER: 0
; COMPUTE_PGM_RSRC2:TGID_X_EN: 1
; COMPUTE_PGM_RSRC2:TGID_Y_EN: 1
; COMPUTE_PGM_RSRC2:TGID_Z_EN: 1
; COMPUTE_PGM_RSRC2:TIDIG_COMP_CNT: 0
	.section	.text._Z39paged_attention_ll4mi_QKV_mfma16_kernelIDF16_hLN4vllm18Fp8KVCacheDataTypeE1EhLi16ELi128ELi256ELb1ELi12EL8MFMAType0EEvPKT_PKT0_S8_ifPKiSA_SA_iPKfiiiPfSD_PS3_PT2_iSC_SC_,"axG",@progbits,_Z39paged_attention_ll4mi_QKV_mfma16_kernelIDF16_hLN4vllm18Fp8KVCacheDataTypeE1EhLi16ELi128ELi256ELb1ELi12EL8MFMAType0EEvPKT_PKT0_S8_ifPKiSA_SA_iPKfiiiPfSD_PS3_PT2_iSC_SC_,comdat
	.protected	_Z39paged_attention_ll4mi_QKV_mfma16_kernelIDF16_hLN4vllm18Fp8KVCacheDataTypeE1EhLi16ELi128ELi256ELb1ELi12EL8MFMAType0EEvPKT_PKT0_S8_ifPKiSA_SA_iPKfiiiPfSD_PS3_PT2_iSC_SC_ ; -- Begin function _Z39paged_attention_ll4mi_QKV_mfma16_kernelIDF16_hLN4vllm18Fp8KVCacheDataTypeE1EhLi16ELi128ELi256ELb1ELi12EL8MFMAType0EEvPKT_PKT0_S8_ifPKiSA_SA_iPKfiiiPfSD_PS3_PT2_iSC_SC_
	.globl	_Z39paged_attention_ll4mi_QKV_mfma16_kernelIDF16_hLN4vllm18Fp8KVCacheDataTypeE1EhLi16ELi128ELi256ELb1ELi12EL8MFMAType0EEvPKT_PKT0_S8_ifPKiSA_SA_iPKfiiiPfSD_PS3_PT2_iSC_SC_
	.p2align	8
	.type	_Z39paged_attention_ll4mi_QKV_mfma16_kernelIDF16_hLN4vllm18Fp8KVCacheDataTypeE1EhLi16ELi128ELi256ELb1ELi12EL8MFMAType0EEvPKT_PKT0_S8_ifPKiSA_SA_iPKfiiiPfSD_PS3_PT2_iSC_SC_,@function
_Z39paged_attention_ll4mi_QKV_mfma16_kernelIDF16_hLN4vllm18Fp8KVCacheDataTypeE1EhLi16ELi128ELi256ELb1ELi12EL8MFMAType0EEvPKT_PKT0_S8_ifPKiSA_SA_iPKfiiiPfSD_PS3_PT2_iSC_SC_: ; @_Z39paged_attention_ll4mi_QKV_mfma16_kernelIDF16_hLN4vllm18Fp8KVCacheDataTypeE1EhLi16ELi128ELi256ELb1ELi12EL8MFMAType0EEvPKT_PKT0_S8_ifPKiSA_SA_iPKfiiiPfSD_PS3_PT2_iSC_SC_
; %bb.0:
	s_load_b64 s[4:5], s[0:1], 0x30
	s_mov_b32 s30, s13
	s_waitcnt lgkmcnt(0)
	s_cmp_lg_u64 s[4:5], 0
	s_cselect_b32 s8, -1, 0
	s_ashr_i32 s31, s13, 31
	s_cmp_eq_u64 s[4:5], 0
	s_cbranch_scc1 .LBB1225_3
; %bb.1:
	s_lshl_b64 s[2:3], s[30:31], 2
	s_delay_alu instid0(SALU_CYCLE_1) | instskip(SKIP_4) | instid1(SALU_CYCLE_1)
	s_add_u32 s2, s4, s2
	s_addc_u32 s3, s5, s3
	s_load_b64 s[2:3], s[2:3], 0x0
	s_waitcnt lgkmcnt(0)
	s_sub_i32 s2, s3, s2
	s_cmp_eq_u32 s2, 1
	s_cselect_b32 s2, -1, 0
	s_delay_alu instid0(SALU_CYCLE_1)
	s_and_not1_b32 vcc_lo, exec_lo, s2
	s_cbranch_vccz .LBB1225_4
.LBB1225_2:
	s_endpgm
.LBB1225_3:
.LBB1225_4:
	s_load_b64 s[2:3], s[0:1], 0x28
	s_lshl_b64 s[6:7], s[30:31], 2
	s_waitcnt lgkmcnt(0)
	s_add_u32 s2, s2, s6
	s_addc_u32 s3, s3, s7
	s_lshl_b32 s12, s14, 8
	s_load_b32 s24, s[2:3], 0x0
	s_waitcnt lgkmcnt(0)
	s_cmp_ge_i32 s12, s24
	s_cbranch_scc1 .LBB1225_2
; %bb.5:
	s_clause 0x1
	s_load_b128 s[20:23], s[0:1], 0x8
	s_load_b64 s[2:3], s[0:1], 0x20
	s_and_not1_b32 vcc_lo, exec_lo, s8
	s_cbranch_vccnz .LBB1225_7
; %bb.6:
	s_add_u32 s4, s4, s6
	s_addc_u32 s5, s5, s7
	s_load_b32 s5, s[4:5], 0x0
	s_branch .LBB1225_8
.LBB1225_7:
	s_mov_b32 s5, s30
.LBB1225_8:
	s_load_b128 s[16:19], s[0:1], 0x48
	v_and_b32_e32 v68, 15, v0
	v_lshrrev_b32_e32 v69, 5, v0
	v_and_b32_e32 v70, 31, v0
	v_and_b32_e32 v67, 1, v0
	v_bfe_u32 v66, v0, 4, 1
	v_lshlrev_b32_e32 v1, 3, v68
	s_mul_i32 s31, s15, 12
	s_mov_b32 s4, exec_lo
	s_delay_alu instid0(VALU_DEP_1)
	v_lshlrev_b32_e32 v65, 1, v1
	v_cmpx_gt_u32_e32 0xc0, v0
	s_cbranch_execz .LBB1225_10
; %bb.9:
	s_load_b64 s[6:7], s[0:1], 0x0
	v_lshl_or_b32 v5, v69, 1, v66
	s_waitcnt lgkmcnt(0)
	s_mul_hi_i32 s9, s5, s16
	s_mul_i32 s8, s5, s16
	v_lshlrev_b32_e32 v6, 10, v68
	s_lshl_b64 s[8:9], s[8:9], 1
	v_add_lshl_u32 v1, v5, s31, 7
	v_lshlrev_b32_e32 v5, 6, v5
	v_lshlrev_b32_e32 v7, 10, v67
	v_and_b32_e32 v6, 0x3800, v6
	s_delay_alu instid0(VALU_DEP_4) | instskip(NEXT) | instid1(VALU_DEP_2)
	v_ashrrev_i32_e32 v2, 31, v1
	v_or3_b32 v5, v6, v7, v5
	s_delay_alu instid0(VALU_DEP_2) | instskip(SKIP_2) | instid1(VALU_DEP_1)
	v_lshlrev_b64 v[1:2], 1, v[1:2]
	s_add_u32 s5, s6, s8
	s_addc_u32 s6, s7, s9
	v_add_co_u32 v1, vcc_lo, s5, v1
	s_delay_alu instid0(VALU_DEP_2) | instskip(NEXT) | instid1(VALU_DEP_2)
	v_add_co_ci_u32_e32 v2, vcc_lo, s6, v2, vcc_lo
	v_add_co_u32 v1, vcc_lo, v1, v65
	s_delay_alu instid0(VALU_DEP_2)
	v_add_co_ci_u32_e32 v2, vcc_lo, 0, v2, vcc_lo
	global_load_b128 v[1:4], v[1:2], off
	s_waitcnt vmcnt(0)
	ds_store_b128 v5, v[1:4]
.LBB1225_10:
	s_or_b32 exec_lo, exec_lo, s4
	v_and_b32_e32 v1, 0xef, v0
	s_waitcnt lgkmcnt(0)
	s_add_i32 s5, s24, 15
	s_clause 0x1
	s_load_b32 s4, s[0:1], 0x38
	s_load_b32 s33, s[0:1], 0x98
	s_ashr_i32 s6, s5, 31
	v_add_nc_u32_e32 v1, s12, v1
	s_lshr_b32 s6, s6, 28
	s_load_b32 s19, s[0:1], 0x1c
	s_add_i32 s5, s5, s6
	s_waitcnt lgkmcnt(0)
	v_ashrrev_i32_e32 v2, 31, v1
	v_or_b32_e32 v3, 16, v1
	s_ashr_i32 s13, s5, 4
	v_cmp_gt_i32_e32 vcc_lo, s24, v1
	s_add_i32 s13, s13, -1
	v_lshrrev_b32_e32 v2, 28, v2
	s_barrier
	buffer_gl0_inv
	s_mul_i32 s15, s15, s18
	v_add_nc_u32_e32 v4, v1, v2
	s_mul_i32 s4, s30, s4
	s_delay_alu instid0(SALU_CYCLE_1) | instskip(NEXT) | instid1(VALU_DEP_1)
	s_ashr_i32 s5, s4, 31
	v_ashrrev_i32_e32 v4, 4, v4
	v_add_nc_u32_e32 v2, v3, v2
	s_lshl_b64 s[4:5], s[4:5], 2
	s_delay_alu instid0(SALU_CYCLE_1) | instskip(NEXT) | instid1(VALU_DEP_2)
	s_add_u32 s16, s2, s4
	v_cndmask_b32_e32 v1, s13, v4, vcc_lo
	s_delay_alu instid0(VALU_DEP_2)
	v_ashrrev_i32_e32 v2, 4, v2
	v_cmp_gt_i32_e32 vcc_lo, s24, v3
	s_addc_u32 s25, s3, s5
	s_ashr_i32 s18, s15, 31
	s_add_u32 s26, s20, s15
	s_addc_u32 s27, s21, s18
	v_cndmask_b32_e32 v3, s13, v2, vcc_lo
	v_ashrrev_i32_e32 v2, 31, v1
	s_lshl_b32 s2, s14, 4
	s_delay_alu instid0(SALU_CYCLE_1) | instskip(NEXT) | instid1(VALU_DEP_2)
	s_ashr_i32 s3, s2, 31
	v_ashrrev_i32_e32 v4, 31, v3
	s_delay_alu instid0(VALU_DEP_2) | instskip(SKIP_1) | instid1(SALU_CYCLE_1)
	v_lshlrev_b64 v[1:2], 2, v[1:2]
	s_lshl_b64 s[2:3], s[2:3], 2
	s_add_u32 s2, s16, s2
	s_delay_alu instid0(VALU_DEP_2) | instskip(SKIP_1) | instid1(VALU_DEP_2)
	v_lshlrev_b64 v[3:4], 2, v[3:4]
	s_addc_u32 s3, s25, s3
	v_add_co_u32 v1, vcc_lo, s16, v1
	v_add_co_ci_u32_e32 v2, vcc_lo, s25, v2, vcc_lo
	s_delay_alu instid0(VALU_DEP_3) | instskip(NEXT) | instid1(VALU_DEP_4)
	v_add_co_u32 v3, vcc_lo, s16, v3
	v_add_co_ci_u32_e32 v4, vcc_lo, s25, v4, vcc_lo
	s_clause 0x1
	global_load_b32 v5, v[1:2], off
	global_load_b32 v7, v[3:4], off
	s_or_b32 s4, s12, 32
	v_lshlrev_b32_e32 v1, 4, v0
	s_ashr_i32 s5, s4, 4
	s_cmp_lt_i32 s4, s24
	v_cmp_gt_u32_e32 vcc_lo, 12, v68
	s_cselect_b32 s4, s5, s13
	v_and_b32_e32 v1, 0xf0, v1
	s_ashr_i32 s5, s4, 31
	s_delay_alu instid0(SALU_CYCLE_1) | instskip(NEXT) | instid1(SALU_CYCLE_1)
	s_lshl_b64 s[4:5], s[4:5], 2
	s_add_u32 s4, s16, s4
	s_addc_u32 s5, s25, s5
	s_or_b32 s6, s12, 64
	v_add_co_u32 v1, s26, s26, v1
	s_ashr_i32 s7, s6, 4
	s_cmp_lt_i32 s6, s24
	v_add_co_ci_u32_e64 v2, null, s27, 0, s26
	s_cselect_b32 s6, s7, s13
	s_delay_alu instid0(SALU_CYCLE_1) | instskip(NEXT) | instid1(SALU_CYCLE_1)
	s_ashr_i32 s7, s6, 31
	s_lshl_b64 s[6:7], s[6:7], 2
	s_delay_alu instid0(SALU_CYCLE_1) | instskip(SKIP_2) | instid1(SALU_CYCLE_1)
	s_add_u32 s6, s16, s6
	s_addc_u32 s7, s25, s7
	s_or_b32 s8, s12, 0x60
	s_ashr_i32 s9, s8, 4
	s_cmp_lt_i32 s8, s24
	s_cselect_b32 s8, s9, s13
	s_delay_alu instid0(SALU_CYCLE_1) | instskip(NEXT) | instid1(SALU_CYCLE_1)
	s_ashr_i32 s9, s8, 31
	s_lshl_b64 s[8:9], s[8:9], 2
	s_delay_alu instid0(SALU_CYCLE_1) | instskip(SKIP_2) | instid1(SALU_CYCLE_1)
	s_add_u32 s8, s16, s8
	s_addc_u32 s9, s25, s9
	s_or_b32 s10, s12, 0x80
	s_ashr_i32 s11, s10, 4
	s_cmp_lt_i32 s10, s24
	;; [unrolled: 10-line block ×3, first 2 shown]
	s_cselect_b32 s20, s21, s13
	s_delay_alu instid0(SALU_CYCLE_1) | instskip(NEXT) | instid1(SALU_CYCLE_1)
	s_ashr_i32 s21, s20, 31
	s_lshl_b64 s[20:21], s[20:21], 2
	s_delay_alu instid0(SALU_CYCLE_1)
	s_add_u32 s20, s16, s20
	s_addc_u32 s21, s25, s21
	s_clause 0x5
	s_load_b32 s26, s[2:3], 0x0
	s_load_b32 s27, s[4:5], 0x0
	;; [unrolled: 1-line block ×6, first 2 shown]
	s_or_b32 s2, s12, 0xc0
	s_mov_b32 s4, 0
	s_ashr_i32 s3, s2, 4
	s_cmp_lt_i32 s2, s24
	s_mov_b32 s11, s4
	s_cselect_b32 s2, s3, s13
	s_mov_b32 s5, s4
	s_ashr_i32 s3, s2, 31
	s_mov_b32 s6, s4
	s_lshl_b64 s[2:3], s[2:3], 2
	s_mov_b32 s7, s4
	s_add_u32 s2, s16, s2
	s_addc_u32 s3, s25, s3
	s_or_b32 s20, s12, 0xe0
	s_mov_b32 s8, s4
	s_ashr_i32 s21, s20, 4
	s_cmp_lt_i32 s20, s24
	s_mov_b32 s9, s4
	s_cselect_b32 s20, s21, s13
	s_mov_b32 s10, s4
	s_ashr_i32 s21, s20, 31
	v_mov_b32_e32 v118, s11
	v_dual_mov_b32 v112, s5 :: v_dual_mov_b32 v117, s10
	v_dual_mov_b32 v116, s9 :: v_dual_mov_b32 v115, s8
	;; [unrolled: 1-line block ×3, first 2 shown]
	v_mov_b32_e32 v111, s4
	s_lshl_b64 s[4:5], s[20:21], 2
	s_delay_alu instid0(SALU_CYCLE_1)
	s_add_u32 s4, s16, s4
	s_addc_u32 s5, s25, s5
	s_add_u32 s6, s22, s15
	s_addc_u32 s7, s23, s18
	s_waitcnt vmcnt(1)
	v_mad_i64_i32 v[3:4], null, v5, s17, v[1:2]
	s_waitcnt vmcnt(0)
	v_mad_i64_i32 v[5:6], null, v7, s17, v[1:2]
	v_add_nc_u32_e32 v1, -12, v68
	v_lshlrev_b32_e32 v2, 4, v68
	s_clause 0xf
	global_load_b128 v[17:20], v[3:4], off
	global_load_b128 v[21:24], v[3:4], off offset:256
	global_load_b128 v[25:28], v[5:6], off
	global_load_b128 v[29:32], v[5:6], off offset:256
	global_load_b128 v[57:60], v[3:4], off offset:512
	global_load_b128 v[61:64], v[3:4], off offset:768
	global_load_b128 v[71:74], v[5:6], off offset:512
	global_load_b128 v[75:78], v[5:6], off offset:768
	global_load_b128 v[79:82], v[3:4], off offset:1024
	global_load_b128 v[83:86], v[3:4], off offset:1280
	global_load_b128 v[87:90], v[5:6], off offset:1024
	global_load_b128 v[91:94], v[5:6], off offset:1280
	global_load_b128 v[95:98], v[3:4], off offset:1536
	global_load_b128 v[99:102], v[3:4], off offset:1792
	global_load_b128 v[103:106], v[5:6], off offset:1536
	global_load_b128 v[107:110], v[5:6], off offset:1792
	v_cndmask_b32_e32 v1, v1, v68, vcc_lo
	s_delay_alu instid0(VALU_DEP_1)
	v_lshlrev_b32_e32 v149, 6, v1
	v_lshl_or_b32 v1, v69, 8, v2
	ds_load_b128 v[119:122], v149
	ds_load_b128 v[123:126], v149 offset:1024
	ds_load_b128 v[127:130], v149 offset:2048
	;; [unrolled: 1-line block ×3, first 2 shown]
	s_clause 0x1
	s_load_b32 s2, s[2:3], 0x0
	s_load_b32 s3, s[4:5], 0x0
	v_add_co_u32 v135, s6, s6, v1
	s_delay_alu instid0(VALU_DEP_1) | instskip(SKIP_1) | instid1(VALU_DEP_1)
	v_add_co_ci_u32_e64 v136, null, s7, 0, s6
	s_waitcnt lgkmcnt(0)
	v_mad_i64_i32 v[1:2], null, s26, s17, v[135:136]
	v_mad_i64_i32 v[3:4], null, s27, s17, v[135:136]
	v_mad_i64_i32 v[5:6], null, s28, s17, v[135:136]
	v_mad_i64_i32 v[7:8], null, s29, s17, v[135:136]
	v_mad_i64_i32 v[143:144], null, s35, s17, v[135:136]
	v_mad_i64_i32 v[13:14], null, s34, s17, v[135:136]
	s_clause 0x9
	global_load_b128 v[49:52], v[1:2], off
	global_load_b128 v[53:56], v[1:2], off offset:16
	global_load_b128 v[41:44], v[3:4], off
	global_load_b128 v[45:48], v[3:4], off offset:16
	global_load_b128 v[33:36], v[5:6], off
	global_load_b128 v[37:40], v[5:6], off offset:16
	global_load_b128 v[1:4], v[7:8], off
	global_load_b128 v[5:8], v[7:8], off offset:16
	global_load_b128 v[9:12], v[13:14], off
	global_load_b128 v[13:16], v[13:14], off offset:16
	v_mad_i64_i32 v[145:146], null, s2, s17, v[135:136]
	v_mad_i64_i32 v[147:148], null, s3, s17, v[135:136]
	s_waitcnt vmcnt(24)
	v_wmma_f32_16x16x16_f16 v[135:142], v[17:24], v[119:126], v[111:118]
	s_waitcnt vmcnt(22)
	v_wmma_f32_16x16x16_f16 v[111:118], v[25:32], v[119:126], v[111:118]
	s_clause 0x3
	global_load_b128 v[17:20], v[143:144], off
	global_load_b128 v[21:24], v[143:144], off offset:16
	global_load_b128 v[25:28], v[145:146], off
	global_load_b128 v[29:32], v[145:146], off offset:16
	v_and_b32_e32 v119, 0xe0, v0
	s_waitcnt vmcnt(24)
	v_wmma_f32_16x16x16_f16 v[135:142], v[57:64], v[127:134], v[135:142]
	s_clause 0x1
	global_load_b128 v[57:60], v[147:148], off
	global_load_b128 v[61:64], v[147:148], off offset:16
	s_waitcnt vmcnt(24)
	v_wmma_f32_16x16x16_f16 v[111:118], v[71:78], v[127:134], v[111:118]
	ds_load_b128 v[71:74], v149 offset:4096
	ds_load_b128 v[75:78], v149 offset:5120
	v_add_nc_u32_e32 v128, s12, v119
	ds_load_b128 v[119:122], v149 offset:6144
	ds_load_b128 v[123:126], v149 offset:7168
	v_mbcnt_lo_u32_b32 v127, -1, 0
	s_waitcnt vmcnt(0) lgkmcnt(0)
	s_barrier
	v_or_b32_e32 v128, v128, v66
	buffer_gl0_inv
	v_xor_b32_e32 v129, 16, v127
	v_or_b32_e32 v130, 4, v128
	v_or_b32_e32 v131, 6, v128
	s_delay_alu instid0(VALU_DEP_3) | instskip(SKIP_4) | instid1(VALU_DEP_4)
	v_cmp_gt_i32_e32 vcc_lo, 32, v129
	v_or_b32_e32 v132, 8, v128
	v_or_b32_e32 v133, 10, v128
	v_cmp_gt_i32_e64 s3, s24, v130
	v_cmp_gt_i32_e64 s4, s24, v131
	;; [unrolled: 1-line block ×3, first 2 shown]
	v_wmma_f32_16x16x16_f16 v[135:142], v[79:86], v[71:78], v[135:142]
	v_wmma_f32_16x16x16_f16 v[111:118], v[87:94], v[71:78], v[111:118]
	v_or_b32_e32 v79, 12, v128
	v_or_b32_e32 v80, 14, v128
	v_cmp_gt_i32_e64 s6, s24, v133
	v_wmma_f32_16x16x16_f16 v[135:142], v[95:102], v[119:126], v[135:142]
	v_wmma_f32_16x16x16_f16 v[111:118], v[103:110], v[119:126], v[111:118]
	v_cndmask_b32_e32 v127, v127, v129, vcc_lo
	v_or_b32_e32 v129, 2, v128
	v_cmp_gt_i32_e32 vcc_lo, s24, v128
	v_mul_f32_e32 v88, s19, v135
	v_dual_mul_f32 v92, s19, v115 :: v_dual_mul_f32 v87, s19, v136
	s_delay_alu instid0(VALU_DEP_4)
	v_cmp_gt_i32_e64 s2, s24, v129
	v_mul_f32_e32 v78, s19, v138
	v_mul_f32_e32 v86, s19, v137
	v_cndmask_b32_e32 v88, 0xff7fffff, v88, vcc_lo
	v_mul_f32_e32 v76, s19, v140
	v_cndmask_b32_e64 v87, 0xff7fffff, v87, s2
	v_dual_mul_f32 v77, s19, v139 :: v_dual_mul_f32 v94, s19, v113
	v_cndmask_b32_e64 v86, 0xff7fffff, v86, s3
	v_cndmask_b32_e64 v78, 0xff7fffff, v78, s4
	s_delay_alu instid0(VALU_DEP_4)
	v_max3_f32 v87, v88, 0xff7fffff, v87
	v_or_b32_e32 v81, 16, v128
	v_or_b32_e32 v82, 18, v128
	v_dual_mul_f32 v74, s19, v142 :: v_dual_mul_f32 v75, s19, v141
	v_mul_f32_e32 v96, s19, v111
	v_cndmask_b32_e64 v77, 0xff7fffff, v77, s5
	v_cndmask_b32_e64 v76, 0xff7fffff, v76, s6
	v_max3_f32 v78, v87, v86, v78
	v_cmp_gt_i32_e64 s7, s24, v79
	v_cmp_gt_i32_e64 s8, s24, v80
	v_or_b32_e32 v83, 20, v128
	v_or_b32_e32 v84, 22, v128
	v_mul_f32_e32 v95, s19, v112
	v_cndmask_b32_e64 v75, 0xff7fffff, v75, s7
	v_cndmask_b32_e64 v74, 0xff7fffff, v74, s8
	v_max3_f32 v76, v78, v77, v76
	v_cmp_gt_i32_e64 s9, s24, v81
	v_cmp_gt_i32_e64 s10, s24, v82
	v_or_b32_e32 v85, 24, v128
	v_or_b32_e32 v71, 26, v128
	;; [unrolled: 8-line block ×3, first 2 shown]
	v_mul_f32_e32 v91, s19, v116
	v_cndmask_b32_e64 v75, 0xff7fffff, v94, s11
	v_cndmask_b32_e64 v76, 0xff7fffff, v93, s12
	v_max3_f32 v74, v74, v77, v78
	v_cmp_gt_i32_e64 s13, s24, v85
	v_cmp_gt_i32_e64 s15, s24, v71
	v_dual_mul_f32 v89, s19, v118 :: v_dual_mul_f32 v90, s19, v117
	s_delay_alu instid0(VALU_DEP_4) | instskip(NEXT) | instid1(VALU_DEP_4)
	v_max3_f32 v74, v74, v75, v76
	v_cndmask_b32_e64 v77, 0xff7fffff, v92, s13
	s_delay_alu instid0(VALU_DEP_4) | instskip(SKIP_2) | instid1(VALU_DEP_3)
	v_cndmask_b32_e64 v71, 0xff7fffff, v91, s15
	v_cmp_gt_i32_e64 s16, s24, v72
	v_cmp_gt_i32_e64 s17, s24, v73
	v_max3_f32 v71, v74, v77, v71
	s_delay_alu instid0(VALU_DEP_3) | instskip(NEXT) | instid1(VALU_DEP_3)
	v_cndmask_b32_e64 v72, 0xff7fffff, v90, s16
	v_cndmask_b32_e64 v73, 0xff7fffff, v89, s17
	v_lshlrev_b32_e32 v74, 2, v127
	s_delay_alu instid0(VALU_DEP_2) | instskip(SKIP_3) | instid1(VALU_DEP_1)
	v_max3_f32 v71, v71, v72, v73
	ds_bpermute_b32 v72, v74, v71
	s_waitcnt lgkmcnt(0)
	v_max_f32_e32 v72, v72, v72
	v_max_f32_e32 v71, v71, v72
	s_delay_alu instid0(VALU_DEP_1) | instskip(SKIP_4) | instid1(VALU_DEP_4)
	v_fma_f32 v72, s19, v135, -v71
	v_fma_f32 v73, s19, v136, -v71
	;; [unrolled: 1-line block ×5, first 2 shown]
	v_dual_mul_f32 v72, 0x3fb8aa3b, v72 :: v_dual_mul_f32 v73, 0x3fb8aa3b, v73
	v_fma_f32 v80, s19, v141, -v71
	s_delay_alu instid0(VALU_DEP_3) | instskip(NEXT) | instid1(VALU_DEP_3)
	v_dual_mul_f32 v76, 0x3fb8aa3b, v76 :: v_dual_mul_f32 v77, 0x3fb8aa3b, v77
	v_exp_f32_e32 v72, v72
	s_delay_alu instid0(VALU_DEP_3) | instskip(NEXT) | instid1(VALU_DEP_2)
	v_exp_f32_e32 v73, v73
	v_mul_f32_e32 v82, 0x3fb8aa3b, v80
	s_delay_alu instid0(VALU_DEP_2) | instskip(SKIP_1) | instid1(VALU_DEP_1)
	v_exp_f32_e32 v76, v76
	v_exp_f32_e32 v77, v77
	;; [unrolled: 1-line block ×3, first 2 shown]
	v_cndmask_b32_e32 v79, 0, v72, vcc_lo
	v_fma_f32 v72, s19, v140, -v71
	v_mul_f32_e32 v75, 0x3fb8aa3b, v75
	v_cndmask_b32_e64 v78, 0, v73, s2
	s_delay_alu instid0(TRANS32_DEP_3) | instskip(NEXT) | instid1(VALU_DEP_4)
	v_cndmask_b32_e64 v80, 0, v76, s4
	v_dual_add_f32 v73, 0, v79 :: v_dual_mul_f32 v72, 0x3fb8aa3b, v72
	s_delay_alu instid0(VALU_DEP_4) | instskip(NEXT) | instid1(TRANS32_DEP_3)
	v_exp_f32_e32 v75, v75
	v_cndmask_b32_e64 v83, 0, v77, s5
	s_delay_alu instid0(TRANS32_DEP_2) | instskip(NEXT) | instid1(VALU_DEP_3)
	v_cndmask_b32_e64 v85, 0, v84, s7
	v_add_f32_e32 v73, v73, v78
	v_exp_f32_e32 v72, v72
	s_mov_b32 s2, exec_lo
	s_waitcnt_depctr 0xfff
	v_cndmask_b32_e64 v81, 0, v75, s3
	v_cndmask_b32_e64 v82, 0, v72, s6
	s_delay_alu instid0(VALU_DEP_2) | instskip(NEXT) | instid1(VALU_DEP_1)
	v_add_f32_e32 v73, v73, v81
	v_add_f32_e32 v73, v73, v80
	s_delay_alu instid0(VALU_DEP_1) | instskip(NEXT) | instid1(VALU_DEP_1)
	v_add_f32_e32 v72, v73, v83
	v_add_f32_e32 v72, v72, v82
	s_delay_alu instid0(VALU_DEP_1)
	v_add_f32_e32 v72, v72, v85
	v_fma_f32 v76, s19, v111, -v71
	v_fma_f32 v75, s19, v142, -v71
	;; [unrolled: 1-line block ×5, first 2 shown]
	v_mul_f32_e32 v76, 0x3fb8aa3b, v76
	s_delay_alu instid0(VALU_DEP_4) | instskip(NEXT) | instid1(VALU_DEP_2)
	v_mul_f32_e32 v86, 0x3fb8aa3b, v86
	v_exp_f32_e32 v76, v76
	s_delay_alu instid0(VALU_DEP_1)
	v_exp_f32_e32 v88, v86
	s_waitcnt_depctr 0xfff
	v_cndmask_b32_e64 v87, 0, v76, s9
	v_fma_f32 v76, s19, v116, -v71
	v_mul_f32_e32 v75, 0x3fb8aa3b, v75
	v_cndmask_b32_e64 v88, 0, v88, s12
	s_delay_alu instid0(VALU_DEP_3) | instskip(NEXT) | instid1(VALU_DEP_3)
	v_dual_mul_f32 v73, 0x3fb8aa3b, v73 :: v_dual_mul_f32 v76, 0x3fb8aa3b, v76
	v_exp_f32_e32 v75, v75
	s_delay_alu instid0(VALU_DEP_1) | instskip(NEXT) | instid1(VALU_DEP_1)
	v_exp_f32_e32 v73, v73
	v_exp_f32_e32 v76, v76
	s_delay_alu instid0(TRANS32_DEP_3)
	v_cndmask_b32_e64 v84, 0, v75, s8
	v_fma_f32 v75, s19, v115, -v71
	s_waitcnt_depctr 0xfff
	v_cndmask_b32_e64 v89, 0, v73, s11
	v_cndmask_b32_e64 v90, 0, v76, s15
	v_add_f32_e32 v72, v72, v84
	s_delay_alu instid0(VALU_DEP_1) | instskip(NEXT) | instid1(VALU_DEP_1)
	v_dual_add_f32 v72, v72, v87 :: v_dual_mul_f32 v77, 0x3fb8aa3b, v77
	v_exp_f32_e32 v77, v77
	s_waitcnt_depctr 0xfff
	v_cndmask_b32_e64 v86, 0, v77, s10
	v_fma_f32 v77, s19, v117, -v71
	s_delay_alu instid0(VALU_DEP_2) | instskip(NEXT) | instid1(VALU_DEP_1)
	v_dual_add_f32 v72, v72, v86 :: v_dual_mul_f32 v75, 0x3fb8aa3b, v75
	v_add_f32_e32 v72, v72, v89
	s_delay_alu instid0(VALU_DEP_2) | instskip(NEXT) | instid1(VALU_DEP_1)
	v_exp_f32_e32 v75, v75
	v_add_f32_e32 v72, v72, v88
	s_waitcnt_depctr 0xfff
	v_cndmask_b32_e64 v91, 0, v75, s13
	v_mul_f32_e32 v73, 0x3fb8aa3b, v77
	v_fma_f32 v77, s19, v118, -v71
	s_delay_alu instid0(VALU_DEP_3) | instskip(NEXT) | instid1(VALU_DEP_3)
	v_add_f32_e32 v72, v72, v91
	v_exp_f32_e32 v73, v73
	s_delay_alu instid0(VALU_DEP_1) | instskip(NEXT) | instid1(VALU_DEP_1)
	v_dual_mul_f32 v75, 0x3fb8aa3b, v77 :: v_dual_add_f32 v72, v72, v90
	v_exp_f32_e32 v75, v75
	s_waitcnt_depctr 0xfff
	v_cndmask_b32_e64 v93, 0, v73, s16
	s_delay_alu instid0(VALU_DEP_1) | instskip(SKIP_1) | instid1(VALU_DEP_1)
	v_add_f32_e32 v72, v72, v93
	v_cndmask_b32_e64 v92, 0, v75, s17
	v_add_f32_e32 v72, v72, v92
	ds_bpermute_b32 v73, v74, v72
	v_cmpx_gt_u32_e32 16, v70
	s_cbranch_execz .LBB1225_12
; %bb.11:
	v_mul_u32_u24_e32 v70, 0x44, v69
	s_waitcnt lgkmcnt(0)
	v_add_f32_e32 v72, v72, v73
	s_delay_alu instid0(VALU_DEP_2) | instskip(NEXT) | instid1(VALU_DEP_1)
	v_lshl_add_u32 v70, v68, 2, v70
	v_add_nc_u32_e32 v70, 0x4000, v70
	ds_store_2addr_b32 v70, v71, v72 offset1:136
.LBB1225_12:
	s_or_b32 exec_lo, exec_lo, s2
	v_lshlrev_b32_e32 v70, 2, v68
	s_load_b32 s34, s[0:1], 0x94
	s_waitcnt lgkmcnt(0)
	s_barrier
	buffer_gl0_inv
	v_add_nc_u32_e32 v98, 0x4000, v70
	v_cmp_eq_u32_e32 vcc_lo, 1, v69
	v_cmp_eq_u32_e64 s2, 2, v69
	v_cmp_eq_u32_e64 s3, 3, v69
	;; [unrolled: 1-line block ×3, first 2 shown]
	ds_load_2addr_b32 v[70:71], v98 offset1:17
	ds_load_2addr_b32 v[72:73], v98 offset0:34 offset1:51
	ds_load_2addr_b32 v[74:75], v98 offset0:68 offset1:85
	;; [unrolled: 1-line block ×3, first 2 shown]
	v_cmp_eq_u32_e64 s5, 5, v69
	v_cmp_eq_u32_e64 s6, 7, v69
	s_waitcnt lgkmcnt(3)
	v_max3_f32 v76, v70, 0xff7fffff, v71
	s_waitcnt lgkmcnt(2)
	s_delay_alu instid0(VALU_DEP_1) | instskip(SKIP_1) | instid1(VALU_DEP_1)
	v_max3_f32 v76, v76, v72, v73
	s_waitcnt lgkmcnt(1)
	v_max3_f32 v76, v76, v74, v75
	s_waitcnt lgkmcnt(0)
	s_delay_alu instid0(VALU_DEP_1) | instskip(NEXT) | instid1(VALU_DEP_1)
	v_max3_f32 v76, v76, v94, v95
	v_sub_f32_e32 v77, v71, v76
	ds_load_2addr_b32 v[96:97], v98 offset0:136 offset1:153
	v_sub_f32_e32 v74, v74, v76
	v_sub_f32_e32 v70, v70, v76
	v_sub_f32_e32 v94, v94, v76
	v_dual_sub_f32 v72, v72, v76 :: v_dual_mul_f32 v77, 0x3fb8aa3b, v77
	s_delay_alu instid0(VALU_DEP_4) | instskip(NEXT) | instid1(VALU_DEP_4)
	v_mul_f32_e32 v103, 0x3fb8aa3b, v74
	v_mul_f32_e32 v99, 0x3fb8aa3b, v70
	ds_load_2addr_b32 v[70:71], v98 offset0:170 offset1:187
	v_dual_mul_f32 v101, 0x3fb8aa3b, v72 :: v_dual_mul_f32 v94, 0x3fb8aa3b, v94
	v_exp_f32_e32 v102, v77
	v_exp_f32_e32 v99, v99
	s_delay_alu instid0(VALU_DEP_1) | instskip(NEXT) | instid1(VALU_DEP_1)
	v_exp_f32_e32 v101, v101
	v_exp_f32_e32 v94, v94
	s_waitcnt lgkmcnt(1)
	s_delay_alu instid0(TRANS32_DEP_3)
	v_fma_f32 v77, v99, v96, 0
	v_sub_f32_e32 v100, v73, v76
	ds_load_2addr_b32 v[72:73], v98 offset0:204 offset1:221
	v_fmac_f32_e32 v77, v102, v97
	v_exp_f32_e32 v97, v103
	s_waitcnt lgkmcnt(1)
	s_delay_alu instid0(VALU_DEP_1)
	v_dual_fmac_f32 v77, v101, v70 :: v_dual_sub_f32 v96, v75, v76
	ds_load_2addr_b32 v[74:75], v98 offset0:238 offset1:255
	v_sub_f32_e32 v70, v95, v76
	s_waitcnt lgkmcnt(0)
	s_barrier
	v_mul_f32_e32 v96, 0x3fb8aa3b, v96
	buffer_gl0_inv
	v_exp_f32_e32 v95, v96
	v_mul_f32_e32 v100, 0x3fb8aa3b, v100
	s_delay_alu instid0(VALU_DEP_1) | instskip(SKIP_3) | instid1(VALU_DEP_2)
	v_exp_f32_e32 v100, v100
	s_waitcnt_depctr 0xfff
	v_dual_fmac_f32 v77, v100, v71 :: v_dual_mul_f32 v70, 0x3fb8aa3b, v70
	v_cndmask_b32_e32 v71, v99, v102, vcc_lo
	v_fmac_f32_e32 v77, v97, v72
	s_delay_alu instid0(VALU_DEP_3) | instskip(NEXT) | instid1(VALU_DEP_1)
	v_exp_f32_e32 v96, v70
	v_fmac_f32_e32 v77, v95, v73
	s_delay_alu instid0(VALU_DEP_1) | instskip(SKIP_2) | instid1(VALU_DEP_1)
	v_fmac_f32_e32 v77, v94, v74
	s_waitcnt_depctr 0xfff
	v_fmac_f32_e32 v77, v96, v75
	v_add_f32_e32 v74, 0x358637bd, v77
	s_delay_alu instid0(VALU_DEP_1) | instskip(SKIP_1) | instid1(VALU_DEP_2)
	v_div_scale_f32 v98, null, v74, v74, 1.0
	v_div_scale_f32 v99, vcc_lo, 1.0, v74, 1.0
	v_rcp_f32_e32 v103, v98
	s_waitcnt_depctr 0xfff
	v_fma_f32 v70, -v98, v103, 1.0
	s_delay_alu instid0(VALU_DEP_1) | instskip(SKIP_2) | instid1(VALU_DEP_2)
	v_fmac_f32_e32 v103, v70, v103
	v_cndmask_b32_e64 v70, v71, v101, s2
	v_cmp_eq_u32_e64 s2, 6, v69
	v_cndmask_b32_e64 v71, v70, v100, s3
	s_delay_alu instid0(VALU_DEP_4) | instskip(NEXT) | instid1(VALU_DEP_2)
	v_dual_mul_f32 v101, v99, v103 :: v_dual_lshlrev_b32 v70, 2, v66
	v_cndmask_b32_e64 v71, v71, v97, s4
	s_delay_alu instid0(VALU_DEP_2) | instskip(NEXT) | instid1(VALU_DEP_3)
	v_or_b32_e32 v72, 1, v70
	v_fma_f32 v100, -v98, v101, v99
	v_cmp_eq_u32_e64 s3, 1, v70
	v_cmp_eq_u32_e64 s4, 2, v70
	v_cndmask_b32_e64 v95, v71, v95, s5
	v_or_b32_e32 v71, 3, v70
	v_fmac_f32_e32 v101, v100, v103
	v_cmp_eq_u32_e64 s8, 1, v72
	v_cmp_eq_u32_e64 s11, 2, v72
	v_cndmask_b32_e64 v94, v95, v94, s2
	v_cmp_eq_u32_e64 s10, 1, v71
	v_fma_f32 v97, -v98, v101, v99
	v_cmp_eq_u32_e64 s15, 2, v71
	v_cmp_eq_u32_e64 s12, 3, v72
	v_cndmask_b32_e64 v94, v94, v96, s6
	v_cmp_eq_u32_e64 s17, 3, v71
	v_div_fmas_f32 v95, v97, v103, v101
	v_cmp_eq_u32_e32 vcc_lo, 3, v70
	v_cmp_eq_u32_e64 s2, 4, v70
	v_cmp_eq_u32_e64 s18, 4, v72
	v_cmp_eq_u32_e64 s21, 4, v71
	v_div_fixup_f32 v95, v95, v74, 1.0
	v_lshlrev_b32_e32 v73, 6, v68
	v_cmp_eq_u32_e64 s5, 5, v70
	v_cmp_eq_u32_e64 s19, 5, v72
	;; [unrolled: 1-line block ×3, first 2 shown]
	v_mul_f32_e32 v102, v94, v95
	v_lshl_or_b32 v75, v69, 11, v73
	v_or_b32_e32 v69, 2, v70
	v_cmp_eq_u32_e64 s24, 6, v72
	v_cmp_eq_u32_e64 s26, 6, v71
	v_fma_mixlo_f16 v94, v102, v79, 0
	v_fma_mixlo_f16 v95, v102, v81, 0
	v_fma_mixlo_f16 v96, v102, v83, 0
	v_fma_mixlo_f16 v97, v102, v85, 0
	v_fma_mixlo_f16 v98, v102, v87, 0
	v_fma_mixlo_f16 v99, v102, v89, 0
	v_fma_mixlo_f16 v100, v102, v91, 0
	v_fma_mixlo_f16 v101, v102, v93, 0
	v_lshl_or_b32 v74, v66, 4, v75
	v_fma_mixhi_f16 v94, v102, v78, 0
	v_fma_mixhi_f16 v95, v102, v80, 0
	;; [unrolled: 1-line block ×8, first 2 shown]
	ds_store_b128 v74, v[94:97]
	ds_store_b128 v74, v[98:101] offset:1024
	s_waitcnt lgkmcnt(0)
	s_barrier
	buffer_gl0_inv
	ds_load_b128 v[78:81], v75
	ds_load_b128 v[82:85], v75 offset:16
	ds_load_b128 v[86:89], v75 offset:1024
	;; [unrolled: 1-line block ×3, first 2 shown]
	v_cmp_eq_u32_e64 s9, 1, v69
	v_cmp_eq_u32_e64 s13, 2, v69
	;; [unrolled: 1-line block ×11, first 2 shown]
	s_waitcnt lgkmcnt(3)
	v_lshrrev_b32_e32 v94, 16, v78
	s_waitcnt lgkmcnt(2)
	v_lshrrev_b32_e32 v98, 16, v82
	;; [unrolled: 2-line block ×4, first 2 shown]
	v_lshrrev_b32_e32 v95, 16, v79
	v_cndmask_b32_e64 v110, v78, v94, s3
	v_cndmask_b32_e64 v111, v82, v98, s3
	;; [unrolled: 1-line block ×8, first 2 shown]
	v_lshrrev_b32_e32 v99, 16, v83
	v_cndmask_b32_e64 v94, v86, v102, s3
	v_cndmask_b32_e64 v98, v90, v106, s3
	;; [unrolled: 1-line block ×15, first 2 shown]
	v_lshrrev_b32_e32 v103, 16, v87
	v_lshrrev_b32_e32 v107, 16, v91
	v_cndmask_b32_e64 v113, v115, v83, s13
	v_cndmask_b32_e64 v82, v94, v87, s4
	;; [unrolled: 1-line block ×7, first 2 shown]
	v_cndmask_b32_e32 v90, v102, v95, vcc_lo
	v_cndmask_b32_e32 v102, v106, v99, vcc_lo
	v_cndmask_b32_e64 v106, v110, v95, s12
	v_cndmask_b32_e64 v110, v111, v99, s12
	;; [unrolled: 1-line block ×4, first 2 shown]
	v_lshrrev_b32_e32 v96, 16, v80
	v_lshrrev_b32_e32 v100, 16, v84
	v_cndmask_b32_e64 v111, v112, v95, s16
	v_cndmask_b32_e64 v112, v113, v99, s16
	v_cndmask_b32_e32 v82, v82, v103, vcc_lo
	v_cndmask_b32_e32 v83, v83, v107, vcc_lo
	v_cndmask_b32_e64 v94, v94, v103, s12
	v_cndmask_b32_e64 v90, v90, v80, s2
	;; [unrolled: 1-line block ×7, first 2 shown]
	v_lshrrev_b32_e32 v104, 16, v88
	v_cndmask_b32_e64 v106, v111, v80, s20
	v_cndmask_b32_e64 v110, v112, v84, s20
	;; [unrolled: 1-line block ×11, first 2 shown]
	v_lshrrev_b32_e32 v97, 16, v81
	v_lshrrev_b32_e32 v101, 16, v85
	v_cndmask_b32_e64 v99, v106, v96, s22
	v_cndmask_b32_e64 v102, v110, v100, s22
	;; [unrolled: 1-line block ×7, first 2 shown]
	v_lshrrev_b32_e32 v105, 16, v89
	v_cndmask_b32_e64 v80, v80, v104, s5
	v_cndmask_b32_e64 v84, v84, v81, s6
	;; [unrolled: 1-line block ×16, first 2 shown]
	v_perm_b32 v81, v79, v78, 0x5040100
	v_perm_b32 v79, v95, v85, 0x5040100
	v_cndmask_b32_e64 v78, v119, v91, s13
	v_cndmask_b32_e64 v85, v117, v91, s11
	v_cndmask_b32_e64 v96, v80, v105, s7
	v_perm_b32 v80, v94, v90, 0x5040100
	v_cndmask_b32_e64 v90, v98, v103, s16
	v_cndmask_b32_e64 v86, v86, v103, s17
	;; [unrolled: 1-line block ×5, first 2 shown]
	v_lshrrev_b32_e32 v108, 16, v92
	v_cndmask_b32_e64 v90, v90, v88, s20
	v_cndmask_b32_e64 v86, v86, v88, s21
	;; [unrolled: 1-line block ×11, first 2 shown]
	v_lshrrev_b32_e32 v109, 16, v93
	v_cndmask_b32_e64 v82, v82, v93, s6
	v_cndmask_b32_e64 v88, v88, v89, s25
	;; [unrolled: 1-line block ×12, first 2 shown]
	v_perm_b32 v78, v84, v83, 0x5040100
	v_perm_b32 v85, v87, v86, 0x5040100
	;; [unrolled: 1-line block ×5, first 2 shown]
	s_mul_i32 s7, s33, 12
	s_mov_b32 s2, exec_lo
	ds_store_b128 v74, v[78:81]
	ds_store_b128 v74, v[82:85] offset:1024
	v_cmpx_gt_u32_e32 12, v0
	s_cbranch_execz .LBB1225_14
; %bb.13:
	s_mul_i32 s3, s7, s30
	s_load_b128 s[8:11], s[0:1], 0x58
	v_add3_u32 v68, s3, s31, v68
	s_delay_alu instid0(VALU_DEP_1) | instskip(NEXT) | instid1(VALU_DEP_1)
	v_mad_u64_u32 v[78:79], null, v68, s34, s[14:15]
	v_ashrrev_i32_e32 v79, 31, v78
	s_delay_alu instid0(VALU_DEP_1) | instskip(SKIP_1) | instid1(VALU_DEP_1)
	v_lshlrev_b64 v[78:79], 2, v[78:79]
	s_waitcnt lgkmcnt(0)
	v_add_co_u32 v80, vcc_lo, s10, v78
	s_delay_alu instid0(VALU_DEP_2)
	v_add_co_ci_u32_e32 v81, vcc_lo, s11, v79, vcc_lo
	v_add_co_u32 v78, vcc_lo, s8, v78
	v_add_co_ci_u32_e32 v79, vcc_lo, s9, v79, vcc_lo
	global_store_b32 v[80:81], v76, off
	global_store_b32 v[78:79], v77, off
.LBB1225_14:
	s_or_b32 exec_lo, exec_lo, s2
	s_waitcnt lgkmcnt(0)
	s_waitcnt_vscnt null, 0x0
	s_barrier
	buffer_gl0_inv
	ds_load_b128 v[84:87], v73
	ds_load_b128 v[88:91], v73 offset:16
	ds_load_b128 v[96:99], v73 offset:2064
	;; [unrolled: 1-line block ×5, first 2 shown]
	v_cmp_eq_u32_e32 vcc_lo, 1, v70
	v_mov_b32_e32 v76, 0
	ds_load_b128 v[112:115], v73 offset:6160
	ds_load_b128 v[108:111], v73 offset:6144
	;; [unrolled: 1-line block ×4, first 2 shown]
	v_cmp_eq_u32_e64 s3, 1, v69
	v_cmp_eq_u32_e64 s2, 1, v72
	;; [unrolled: 1-line block ×3, first 2 shown]
	v_mov_b32_e32 v77, v76
	v_mov_b32_e32 v78, v76
	;; [unrolled: 1-line block ×7, first 2 shown]
	v_cmp_eq_u32_e64 s5, 3, v72
	v_cmp_eq_u32_e64 s6, 7, v72
	s_waitcnt lgkmcnt(8)
	s_delay_alu instid0(VALU_DEP_3)
	v_wmma_f32_16x16x16_f16 v[76:83], v[49:56], v[84:91], v[76:83]
	ds_load_b128 v[53:56], v73 offset:10256
	ds_load_b128 v[49:52], v73 offset:10240
	s_waitcnt lgkmcnt(8)
	v_wmma_f32_16x16x16_f16 v[76:83], v[41:48], v[92:99], v[76:83]
	ds_load_b128 v[45:48], v73 offset:12304
	ds_load_b128 v[41:44], v73 offset:12288
	s_waitcnt lgkmcnt(8)
	;; [unrolled: 4-line block ×3, first 2 shown]
	s_barrier
	buffer_gl0_inv
	v_wmma_f32_16x16x16_f16 v[76:83], v[1:8], v[108:115], v[76:83]
	s_delay_alu instid0(VALU_DEP_1) | instskip(NEXT) | instid1(VALU_DEP_1)
	v_wmma_f32_16x16x16_f16 v[76:83], v[9:16], v[116:123], v[76:83]
	v_wmma_f32_16x16x16_f16 v[76:83], v[17:24], v[49:56], v[76:83]
	s_delay_alu instid0(VALU_DEP_1) | instskip(NEXT) | instid1(VALU_DEP_1)
	v_wmma_f32_16x16x16_f16 v[76:83], v[25:32], v[41:48], v[76:83]
	v_wmma_f32_16x16x16_f16 v[76:83], v[57:64], v[33:40], v[76:83]
	s_delay_alu instid0(VALU_DEP_1) | instskip(NEXT) | instid1(VALU_DEP_2)
	v_cvt_f16_f32_e32 v1, v76
	v_cvt_f16_f32_e32 v2, v77
	s_delay_alu instid0(VALU_DEP_3) | instskip(NEXT) | instid1(VALU_DEP_4)
	v_cvt_f16_f32_e32 v3, v78
	v_cvt_f16_f32_e32 v4, v79
	;; [unrolled: 1-line block ×6, first 2 shown]
	v_pack_b32_f16 v1, v1, v2
	v_pack_b32_f16 v2, v3, v4
	;; [unrolled: 1-line block ×3, first 2 shown]
	s_delay_alu instid0(VALU_DEP_4)
	v_pack_b32_f16 v4, v7, v8
	ds_store_b128 v74, v[1:4]
	s_waitcnt lgkmcnt(0)
	s_barrier
	buffer_gl0_inv
	ds_load_b128 v[1:4], v75
	ds_load_b128 v[5:8], v75 offset:16
	s_waitcnt lgkmcnt(1)
	v_lshrrev_b32_e32 v9, 16, v1
	s_waitcnt lgkmcnt(0)
	v_lshrrev_b32_e32 v13, 16, v5
	v_lshrrev_b32_e32 v10, 16, v2
	;; [unrolled: 1-line block ×4, first 2 shown]
	v_cndmask_b32_e32 v17, v1, v9, vcc_lo
	v_cndmask_b32_e32 v18, v5, v13, vcc_lo
	v_cndmask_b32_e64 v21, v1, v9, s3
	v_cmp_eq_u32_e32 vcc_lo, 1, v71
	v_cndmask_b32_e64 v22, v5, v13, s3
	v_cmp_eq_u32_e64 s3, 2, v70
	v_cndmask_b32_e64 v19, v1, v9, s2
	v_cndmask_b32_e64 v20, v5, v13, s2
	v_cndmask_b32_e32 v1, v1, v9, vcc_lo
	v_cmp_eq_u32_e64 s2, 2, v71
	v_cndmask_b32_e32 v5, v5, v13, vcc_lo
	v_cndmask_b32_e64 v9, v17, v2, s3
	v_cmp_eq_u32_e32 vcc_lo, 3, v70
	v_cndmask_b32_e64 v13, v18, v6, s3
	v_cmp_eq_u32_e64 s3, 2, v69
	v_cndmask_b32_e64 v17, v19, v2, s4
	v_cndmask_b32_e64 v18, v20, v6, s4
	v_cmp_eq_u32_e64 s4, 3, v69
	v_cndmask_b32_e64 v1, v1, v2, s2
	v_cndmask_b32_e64 v19, v21, v2, s3
	;; [unrolled: 1-line block ×4, first 2 shown]
	v_cndmask_b32_e32 v5, v9, v10, vcc_lo
	v_cndmask_b32_e32 v6, v13, v14, vcc_lo
	v_cmp_eq_u32_e32 vcc_lo, 3, v71
	v_cndmask_b32_e64 v9, v17, v10, s5
	v_cndmask_b32_e64 v13, v18, v14, s5
	;; [unrolled: 1-line block ×3, first 2 shown]
	v_cmp_eq_u32_e64 s3, 4, v70
	v_cndmask_b32_e32 v1, v1, v10, vcc_lo
	v_cndmask_b32_e32 v2, v2, v14, vcc_lo
	v_cmp_eq_u32_e32 vcc_lo, 4, v72
	v_lshrrev_b32_e32 v15, 16, v7
	v_lshrrev_b32_e32 v16, 16, v8
	v_cndmask_b32_e64 v17, v19, v10, s4
	v_cmp_eq_u32_e64 s2, 4, v71
	v_cndmask_b32_e64 v5, v5, v3, s3
	v_cndmask_b32_e64 v6, v6, v7, s3
	v_cndmask_b32_e32 v9, v9, v3, vcc_lo
	v_cmp_eq_u32_e64 s3, 5, v72
	v_cndmask_b32_e32 v10, v13, v7, vcc_lo
	v_cmp_eq_u32_e32 vcc_lo, 4, v69
	v_cmp_eq_u32_e64 s4, 5, v70
	v_cndmask_b32_e64 v2, v2, v7, s2
	v_cndmask_b32_e64 v9, v9, v11, s3
	v_cndmask_b32_e64 v10, v10, v15, s3
	v_cndmask_b32_e32 v13, v17, v3, vcc_lo
	v_cmp_eq_u32_e64 s3, 5, v69
	v_cndmask_b32_e32 v14, v18, v7, vcc_lo
	v_cndmask_b32_e64 v1, v1, v3, s2
	v_cmp_eq_u32_e32 vcc_lo, 5, v71
	v_lshrrev_b32_e32 v12, 16, v4
	v_cndmask_b32_e64 v13, v13, v11, s3
	v_cndmask_b32_e64 v3, v14, v15, s3
	v_cmp_eq_u32_e64 s3, 6, v71
	v_cndmask_b32_e32 v1, v1, v11, vcc_lo
	v_cndmask_b32_e64 v5, v5, v11, s4
	v_cmp_eq_u32_e64 s5, 6, v70
	v_cndmask_b32_e64 v6, v6, v15, s4
	v_cmp_eq_u32_e64 s4, 6, v72
	v_cmp_eq_u32_e64 s2, 6, v69
	v_cndmask_b32_e64 v1, v1, v4, s3
	v_cndmask_b32_e32 v2, v2, v15, vcc_lo
	v_cmp_eq_u32_e32 vcc_lo, 7, v71
	v_cndmask_b32_e64 v5, v5, v4, s5
	v_cndmask_b32_e64 v9, v9, v4, s4
	;; [unrolled: 1-line block ×3, first 2 shown]
	v_cmp_eq_u32_e64 s5, 7, v70
	v_cndmask_b32_e32 v1, v1, v12, vcc_lo
	v_cndmask_b32_e64 v7, v13, v4, s2
	v_cndmask_b32_e64 v3, v3, v8, s2
	;; [unrolled: 1-line block ×3, first 2 shown]
	v_cmp_eq_u32_e64 s2, 7, v69
	v_cndmask_b32_e64 v4, v10, v8, s4
	v_cndmask_b32_e64 v5, v5, v12, s5
	;; [unrolled: 1-line block ×3, first 2 shown]
	v_cndmask_b32_e32 v2, v2, v16, vcc_lo
	v_cndmask_b32_e64 v7, v7, v12, s2
	v_cndmask_b32_e64 v3, v3, v16, s2
	;; [unrolled: 1-line block ×4, first 2 shown]
	v_perm_b32 v4, v2, v1, 0x5040100
	s_mov_b32 s2, exec_lo
	v_perm_b32 v3, v3, v7, 0x5040100
	v_perm_b32 v2, v8, v9, 0x5040100
	;; [unrolled: 1-line block ×3, first 2 shown]
	ds_store_b128 v74, v[1:4]
	s_waitcnt lgkmcnt(0)
	s_barrier
	buffer_gl0_inv
	v_cmpx_gt_u32_e32 32, v0
	s_cbranch_execz .LBB1225_2
; %bb.15:
	s_load_b64 s[0:1], s[0:1], 0x68
	v_lshlrev_b32_e32 v0, 10, v0
	s_lshl_b32 s4, s34, 7
	v_or_b32_e32 v3, s31, v66
	s_mul_i32 s2, s4, s30
	v_lshlrev_b32_e32 v1, 4, v67
	s_mul_i32 s2, s2, s7
	v_lshlrev_b32_e32 v2, 6, v66
	v_and_b32_e32 v0, 0x3800, v0
	s_ashr_i32 s3, s2, 31
	v_mul_lo_u32 v4, v3, s4
	s_lshl_b64 s[2:3], s[2:3], 1
	s_delay_alu instid0(VALU_DEP_2) | instskip(NEXT) | instid1(VALU_DEP_2)
	v_or3_b32 v16, v0, v1, v2
	v_ashrrev_i32_e32 v5, 31, v4
	ds_load_b128 v[0:3], v16
	s_waitcnt lgkmcnt(0)
	s_add_u32 s2, s0, s2
	s_addc_u32 s3, s1, s3
	s_lshl_b32 s0, s14, 7
	v_lshlrev_b64 v[5:6], 1, v[4:5]
	s_ashr_i32 s1, s0, 31
	s_delay_alu instid0(SALU_CYCLE_1) | instskip(NEXT) | instid1(SALU_CYCLE_1)
	s_lshl_b64 s[0:1], s[0:1], 1
	s_add_u32 s0, s2, s0
	s_addc_u32 s1, s3, s1
	s_lshl_b32 s2, s34, 8
	v_add_co_u32 v30, s0, s0, v65
	v_add_nc_u32_e32 v8, s2, v4
	v_add_co_ci_u32_e64 v31, null, s1, 0, s0
	s_delay_alu instid0(VALU_DEP_3) | instskip(NEXT) | instid1(VALU_DEP_3)
	v_add_co_u32 v12, vcc_lo, v30, v5
	v_add_nc_u32_e32 v10, s2, v8
	v_ashrrev_i32_e32 v9, 31, v8
	s_delay_alu instid0(VALU_DEP_4)
	v_add_co_ci_u32_e32 v13, vcc_lo, v31, v6, vcc_lo
	ds_load_b128 v[4:7], v16 offset:128
	v_ashrrev_i32_e32 v11, 31, v10
	v_lshlrev_b64 v[8:9], 1, v[8:9]
	v_add_nc_u32_e32 v14, s2, v10
	global_store_b128 v[12:13], v[0:3], off
	v_lshlrev_b64 v[0:1], 1, v[10:11]
	v_ashrrev_i32_e32 v15, 31, v14
	v_add_co_u32 v22, vcc_lo, v30, v8
	v_add_nc_u32_e32 v20, s2, v14
	v_add_co_ci_u32_e32 v23, vcc_lo, v31, v9, vcc_lo
	v_add_co_u32 v26, vcc_lo, v30, v0
	v_lshlrev_b64 v[24:25], 1, v[14:15]
	v_add_co_ci_u32_e32 v27, vcc_lo, v31, v1, vcc_lo
	ds_load_b128 v[0:3], v16 offset:256
	ds_load_b128 v[8:11], v16 offset:384
	;; [unrolled: 1-line block ×4, first 2 shown]
	v_add_nc_u32_e32 v28, s2, v20
	v_ashrrev_i32_e32 v21, 31, v20
	v_add_co_u32 v24, vcc_lo, v30, v24
	v_add_co_ci_u32_e32 v25, vcc_lo, v31, v25, vcc_lo
	s_delay_alu instid0(VALU_DEP_4) | instskip(NEXT) | instid1(VALU_DEP_4)
	v_ashrrev_i32_e32 v29, 31, v28
	v_lshlrev_b64 v[20:21], 1, v[20:21]
	s_delay_alu instid0(VALU_DEP_2) | instskip(NEXT) | instid1(VALU_DEP_2)
	v_lshlrev_b64 v[28:29], 1, v[28:29]
	v_add_co_u32 v20, vcc_lo, v30, v20
	s_delay_alu instid0(VALU_DEP_3) | instskip(NEXT) | instid1(VALU_DEP_3)
	v_add_co_ci_u32_e32 v21, vcc_lo, v31, v21, vcc_lo
	v_add_co_u32 v28, vcc_lo, v30, v28
	s_delay_alu instid0(VALU_DEP_4)
	v_add_co_ci_u32_e32 v29, vcc_lo, v31, v29, vcc_lo
	s_waitcnt lgkmcnt(4)
	global_store_b128 v[22:23], v[4:7], off
	s_waitcnt lgkmcnt(3)
	global_store_b128 v[26:27], v[0:3], off
	;; [unrolled: 2-line block ×5, first 2 shown]
	s_nop 0
	s_sendmsg sendmsg(MSG_DEALLOC_VGPRS)
	s_endpgm
	.section	.rodata,"a",@progbits
	.p2align	6, 0x0
	.amdhsa_kernel _Z39paged_attention_ll4mi_QKV_mfma16_kernelIDF16_hLN4vllm18Fp8KVCacheDataTypeE1EhLi16ELi128ELi256ELb1ELi12EL8MFMAType0EEvPKT_PKT0_S8_ifPKiSA_SA_iPKfiiiPfSD_PS3_PT2_iSC_SC_
		.amdhsa_group_segment_fixed_size 17472
		.amdhsa_private_segment_fixed_size 0
		.amdhsa_kernarg_size 400
		.amdhsa_user_sgpr_count 13
		.amdhsa_user_sgpr_dispatch_ptr 0
		.amdhsa_user_sgpr_queue_ptr 0
		.amdhsa_user_sgpr_kernarg_segment_ptr 1
		.amdhsa_user_sgpr_dispatch_id 0
		.amdhsa_user_sgpr_private_segment_size 0
		.amdhsa_wavefront_size32 1
		.amdhsa_uses_dynamic_stack 0
		.amdhsa_enable_private_segment 0
		.amdhsa_system_sgpr_workgroup_id_x 1
		.amdhsa_system_sgpr_workgroup_id_y 1
		.amdhsa_system_sgpr_workgroup_id_z 1
		.amdhsa_system_sgpr_workgroup_info 0
		.amdhsa_system_vgpr_workitem_id 0
		.amdhsa_next_free_vgpr 150
		.amdhsa_next_free_sgpr 36
		.amdhsa_reserve_vcc 1
		.amdhsa_float_round_mode_32 0
		.amdhsa_float_round_mode_16_64 0
		.amdhsa_float_denorm_mode_32 3
		.amdhsa_float_denorm_mode_16_64 3
		.amdhsa_dx10_clamp 1
		.amdhsa_ieee_mode 1
		.amdhsa_fp16_overflow 0
		.amdhsa_workgroup_processor_mode 1
		.amdhsa_memory_ordered 1
		.amdhsa_forward_progress 0
		.amdhsa_shared_vgpr_count 0
		.amdhsa_exception_fp_ieee_invalid_op 0
		.amdhsa_exception_fp_denorm_src 0
		.amdhsa_exception_fp_ieee_div_zero 0
		.amdhsa_exception_fp_ieee_overflow 0
		.amdhsa_exception_fp_ieee_underflow 0
		.amdhsa_exception_fp_ieee_inexact 0
		.amdhsa_exception_int_div_zero 0
	.end_amdhsa_kernel
	.section	.text._Z39paged_attention_ll4mi_QKV_mfma16_kernelIDF16_hLN4vllm18Fp8KVCacheDataTypeE1EhLi16ELi128ELi256ELb1ELi12EL8MFMAType0EEvPKT_PKT0_S8_ifPKiSA_SA_iPKfiiiPfSD_PS3_PT2_iSC_SC_,"axG",@progbits,_Z39paged_attention_ll4mi_QKV_mfma16_kernelIDF16_hLN4vllm18Fp8KVCacheDataTypeE1EhLi16ELi128ELi256ELb1ELi12EL8MFMAType0EEvPKT_PKT0_S8_ifPKiSA_SA_iPKfiiiPfSD_PS3_PT2_iSC_SC_,comdat
.Lfunc_end1225:
	.size	_Z39paged_attention_ll4mi_QKV_mfma16_kernelIDF16_hLN4vllm18Fp8KVCacheDataTypeE1EhLi16ELi128ELi256ELb1ELi12EL8MFMAType0EEvPKT_PKT0_S8_ifPKiSA_SA_iPKfiiiPfSD_PS3_PT2_iSC_SC_, .Lfunc_end1225-_Z39paged_attention_ll4mi_QKV_mfma16_kernelIDF16_hLN4vllm18Fp8KVCacheDataTypeE1EhLi16ELi128ELi256ELb1ELi12EL8MFMAType0EEvPKT_PKT0_S8_ifPKiSA_SA_iPKfiiiPfSD_PS3_PT2_iSC_SC_
                                        ; -- End function
	.section	.AMDGPU.csdata,"",@progbits
; Kernel info:
; codeLenInByte = 6752
; NumSgprs: 38
; NumVgprs: 150
; ScratchSize: 0
; MemoryBound: 0
; FloatMode: 240
; IeeeMode: 1
; LDSByteSize: 17472 bytes/workgroup (compile time only)
; SGPRBlocks: 4
; VGPRBlocks: 18
; NumSGPRsForWavesPerEU: 38
; NumVGPRsForWavesPerEU: 150
; Occupancy: 9
; WaveLimiterHint : 1
; COMPUTE_PGM_RSRC2:SCRATCH_EN: 0
; COMPUTE_PGM_RSRC2:USER_SGPR: 13
; COMPUTE_PGM_RSRC2:TRAP_HANDLER: 0
; COMPUTE_PGM_RSRC2:TGID_X_EN: 1
; COMPUTE_PGM_RSRC2:TGID_Y_EN: 1
; COMPUTE_PGM_RSRC2:TGID_Z_EN: 1
; COMPUTE_PGM_RSRC2:TIDIG_COMP_CNT: 0
	.section	.text._Z39paged_attention_ll4mi_QKV_mfma16_kernelIDF16_hLN4vllm18Fp8KVCacheDataTypeE1EhLi16ELi128ELi256ELb1ELi13EL8MFMAType0EEvPKT_PKT0_S8_ifPKiSA_SA_iPKfiiiPfSD_PS3_PT2_iSC_SC_,"axG",@progbits,_Z39paged_attention_ll4mi_QKV_mfma16_kernelIDF16_hLN4vllm18Fp8KVCacheDataTypeE1EhLi16ELi128ELi256ELb1ELi13EL8MFMAType0EEvPKT_PKT0_S8_ifPKiSA_SA_iPKfiiiPfSD_PS3_PT2_iSC_SC_,comdat
	.protected	_Z39paged_attention_ll4mi_QKV_mfma16_kernelIDF16_hLN4vllm18Fp8KVCacheDataTypeE1EhLi16ELi128ELi256ELb1ELi13EL8MFMAType0EEvPKT_PKT0_S8_ifPKiSA_SA_iPKfiiiPfSD_PS3_PT2_iSC_SC_ ; -- Begin function _Z39paged_attention_ll4mi_QKV_mfma16_kernelIDF16_hLN4vllm18Fp8KVCacheDataTypeE1EhLi16ELi128ELi256ELb1ELi13EL8MFMAType0EEvPKT_PKT0_S8_ifPKiSA_SA_iPKfiiiPfSD_PS3_PT2_iSC_SC_
	.globl	_Z39paged_attention_ll4mi_QKV_mfma16_kernelIDF16_hLN4vllm18Fp8KVCacheDataTypeE1EhLi16ELi128ELi256ELb1ELi13EL8MFMAType0EEvPKT_PKT0_S8_ifPKiSA_SA_iPKfiiiPfSD_PS3_PT2_iSC_SC_
	.p2align	8
	.type	_Z39paged_attention_ll4mi_QKV_mfma16_kernelIDF16_hLN4vllm18Fp8KVCacheDataTypeE1EhLi16ELi128ELi256ELb1ELi13EL8MFMAType0EEvPKT_PKT0_S8_ifPKiSA_SA_iPKfiiiPfSD_PS3_PT2_iSC_SC_,@function
_Z39paged_attention_ll4mi_QKV_mfma16_kernelIDF16_hLN4vllm18Fp8KVCacheDataTypeE1EhLi16ELi128ELi256ELb1ELi13EL8MFMAType0EEvPKT_PKT0_S8_ifPKiSA_SA_iPKfiiiPfSD_PS3_PT2_iSC_SC_: ; @_Z39paged_attention_ll4mi_QKV_mfma16_kernelIDF16_hLN4vllm18Fp8KVCacheDataTypeE1EhLi16ELi128ELi256ELb1ELi13EL8MFMAType0EEvPKT_PKT0_S8_ifPKiSA_SA_iPKfiiiPfSD_PS3_PT2_iSC_SC_
; %bb.0:
	s_load_b64 s[4:5], s[0:1], 0x30
	s_mov_b32 s34, s13
	s_waitcnt lgkmcnt(0)
	s_cmp_lg_u64 s[4:5], 0
	s_cselect_b32 s8, -1, 0
	s_ashr_i32 s35, s13, 31
	s_cmp_eq_u64 s[4:5], 0
	s_cbranch_scc1 .LBB1226_3
; %bb.1:
	s_lshl_b64 s[2:3], s[34:35], 2
	s_delay_alu instid0(SALU_CYCLE_1) | instskip(SKIP_4) | instid1(SALU_CYCLE_1)
	s_add_u32 s2, s4, s2
	s_addc_u32 s3, s5, s3
	s_load_b64 s[2:3], s[2:3], 0x0
	s_waitcnt lgkmcnt(0)
	s_sub_i32 s2, s3, s2
	s_cmp_eq_u32 s2, 1
	s_cselect_b32 s2, -1, 0
	s_delay_alu instid0(SALU_CYCLE_1)
	s_and_not1_b32 vcc_lo, exec_lo, s2
	s_cbranch_vccz .LBB1226_4
.LBB1226_2:
	s_nop 0
	s_sendmsg sendmsg(MSG_DEALLOC_VGPRS)
	s_endpgm
.LBB1226_3:
.LBB1226_4:
	s_load_b64 s[2:3], s[0:1], 0x28
	s_lshl_b64 s[6:7], s[34:35], 2
	s_waitcnt lgkmcnt(0)
	s_add_u32 s2, s2, s6
	s_addc_u32 s3, s3, s7
	s_lshl_b32 s12, s14, 8
	s_load_b32 s24, s[2:3], 0x0
	s_waitcnt lgkmcnt(0)
	s_cmp_ge_i32 s12, s24
	s_cbranch_scc1 .LBB1226_2
; %bb.5:
	s_clause 0x1
	s_load_b128 s[20:23], s[0:1], 0x8
	s_load_b64 s[2:3], s[0:1], 0x20
	s_and_not1_b32 vcc_lo, exec_lo, s8
	s_cbranch_vccnz .LBB1226_7
; %bb.6:
	s_add_u32 s4, s4, s6
	s_addc_u32 s5, s5, s7
	s_load_b32 s5, s[4:5], 0x0
	s_branch .LBB1226_8
.LBB1226_7:
	s_mov_b32 s5, s34
.LBB1226_8:
	s_load_b128 s[16:19], s[0:1], 0x48
	v_and_b32_e32 v68, 15, v0
	v_lshrrev_b32_e32 v69, 5, v0
	v_bfe_u32 v66, v0, 4, 1
	v_and_b32_e32 v70, 31, v0
	v_and_b32_e32 v67, 1, v0
	v_lshlrev_b32_e32 v2, 3, v68
	s_mul_i32 s31, s15, 13
	v_lshl_or_b32 v1, v69, 1, v66
	s_mov_b32 s4, exec_lo
	s_delay_alu instid0(VALU_DEP_2) | instskip(NEXT) | instid1(VALU_DEP_2)
	v_lshlrev_b32_e32 v65, 1, v2
	v_cmpx_gt_u32_e32 13, v1
	s_cbranch_execz .LBB1226_10
; %bb.9:
	s_load_b64 s[6:7], s[0:1], 0x0
	v_add_lshl_u32 v2, v1, s31, 7
	s_waitcnt lgkmcnt(0)
	s_mul_hi_i32 s9, s5, s16
	s_mul_i32 s8, s5, s16
	v_lshlrev_b32_e32 v6, 10, v68
	s_lshl_b64 s[8:9], s[8:9], 1
	v_ashrrev_i32_e32 v3, 31, v2
	v_lshlrev_b32_e32 v1, 6, v1
	v_lshlrev_b32_e32 v7, 10, v67
	v_and_b32_e32 v6, 0x3800, v6
	s_delay_alu instid0(VALU_DEP_4) | instskip(NEXT) | instid1(VALU_DEP_2)
	v_lshlrev_b64 v[2:3], 1, v[2:3]
	v_or3_b32 v1, v6, v7, v1
	s_add_u32 s5, s6, s8
	s_addc_u32 s6, s7, s9
	s_delay_alu instid0(VALU_DEP_2) | instskip(NEXT) | instid1(VALU_DEP_3)
	v_add_co_u32 v2, vcc_lo, s5, v2
	v_add_co_ci_u32_e32 v3, vcc_lo, s6, v3, vcc_lo
	s_delay_alu instid0(VALU_DEP_2) | instskip(NEXT) | instid1(VALU_DEP_2)
	v_add_co_u32 v2, vcc_lo, v2, v65
	v_add_co_ci_u32_e32 v3, vcc_lo, 0, v3, vcc_lo
	global_load_b128 v[2:5], v[2:3], off
	s_waitcnt vmcnt(0)
	ds_store_b128 v1, v[2:5]
.LBB1226_10:
	s_or_b32 exec_lo, exec_lo, s4
	v_and_b32_e32 v1, 0xef, v0
	s_waitcnt lgkmcnt(0)
	s_add_i32 s5, s24, 15
	s_clause 0x1
	s_load_b32 s4, s[0:1], 0x38
	s_load_b32 s33, s[0:1], 0x98
	s_ashr_i32 s6, s5, 31
	v_add_nc_u32_e32 v1, s12, v1
	s_lshr_b32 s6, s6, 28
	s_load_b32 s19, s[0:1], 0x1c
	s_add_i32 s5, s5, s6
	s_waitcnt lgkmcnt(0)
	v_ashrrev_i32_e32 v2, 31, v1
	v_or_b32_e32 v3, 16, v1
	s_ashr_i32 s13, s5, 4
	v_cmp_gt_i32_e32 vcc_lo, s24, v1
	s_add_i32 s13, s13, -1
	v_lshrrev_b32_e32 v2, 28, v2
	s_barrier
	buffer_gl0_inv
	s_mul_i32 s15, s15, s18
	v_add_nc_u32_e32 v4, v1, v2
	s_mul_i32 s4, s34, s4
	s_delay_alu instid0(SALU_CYCLE_1) | instskip(NEXT) | instid1(VALU_DEP_1)
	s_ashr_i32 s5, s4, 31
	v_ashrrev_i32_e32 v4, 4, v4
	v_add_nc_u32_e32 v2, v3, v2
	s_lshl_b64 s[4:5], s[4:5], 2
	s_delay_alu instid0(SALU_CYCLE_1) | instskip(NEXT) | instid1(VALU_DEP_2)
	s_add_u32 s16, s2, s4
	v_cndmask_b32_e32 v1, s13, v4, vcc_lo
	s_delay_alu instid0(VALU_DEP_2)
	v_ashrrev_i32_e32 v2, 4, v2
	v_cmp_gt_i32_e32 vcc_lo, s24, v3
	s_addc_u32 s25, s3, s5
	s_ashr_i32 s18, s15, 31
	s_add_u32 s26, s20, s15
	s_addc_u32 s27, s21, s18
	v_cndmask_b32_e32 v3, s13, v2, vcc_lo
	v_ashrrev_i32_e32 v2, 31, v1
	s_lshl_b32 s2, s14, 4
	s_delay_alu instid0(SALU_CYCLE_1) | instskip(NEXT) | instid1(VALU_DEP_2)
	s_ashr_i32 s3, s2, 31
	v_ashrrev_i32_e32 v4, 31, v3
	s_delay_alu instid0(VALU_DEP_2) | instskip(SKIP_1) | instid1(SALU_CYCLE_1)
	v_lshlrev_b64 v[1:2], 2, v[1:2]
	s_lshl_b64 s[2:3], s[2:3], 2
	s_add_u32 s2, s16, s2
	s_delay_alu instid0(VALU_DEP_2) | instskip(SKIP_1) | instid1(VALU_DEP_2)
	v_lshlrev_b64 v[3:4], 2, v[3:4]
	s_addc_u32 s3, s25, s3
	v_add_co_u32 v1, vcc_lo, s16, v1
	v_add_co_ci_u32_e32 v2, vcc_lo, s25, v2, vcc_lo
	s_delay_alu instid0(VALU_DEP_3) | instskip(NEXT) | instid1(VALU_DEP_4)
	v_add_co_u32 v3, vcc_lo, s16, v3
	v_add_co_ci_u32_e32 v4, vcc_lo, s25, v4, vcc_lo
	s_clause 0x1
	global_load_b32 v5, v[1:2], off
	global_load_b32 v7, v[3:4], off
	s_or_b32 s4, s12, 32
	v_lshlrev_b32_e32 v1, 4, v0
	s_ashr_i32 s5, s4, 4
	s_cmp_lt_i32 s4, s24
	v_cmp_gt_u32_e32 vcc_lo, 13, v68
	s_cselect_b32 s4, s5, s13
	v_and_b32_e32 v1, 0xf0, v1
	s_ashr_i32 s5, s4, 31
	s_delay_alu instid0(SALU_CYCLE_1) | instskip(NEXT) | instid1(SALU_CYCLE_1)
	s_lshl_b64 s[4:5], s[4:5], 2
	s_add_u32 s4, s16, s4
	s_addc_u32 s5, s25, s5
	s_or_b32 s6, s12, 64
	v_add_co_u32 v1, s26, s26, v1
	s_ashr_i32 s7, s6, 4
	s_cmp_lt_i32 s6, s24
	v_add_co_ci_u32_e64 v2, null, s27, 0, s26
	s_cselect_b32 s6, s7, s13
	s_delay_alu instid0(SALU_CYCLE_1) | instskip(NEXT) | instid1(SALU_CYCLE_1)
	s_ashr_i32 s7, s6, 31
	s_lshl_b64 s[6:7], s[6:7], 2
	s_delay_alu instid0(SALU_CYCLE_1) | instskip(SKIP_2) | instid1(SALU_CYCLE_1)
	s_add_u32 s6, s16, s6
	s_addc_u32 s7, s25, s7
	s_or_b32 s8, s12, 0x60
	s_ashr_i32 s9, s8, 4
	s_cmp_lt_i32 s8, s24
	s_cselect_b32 s8, s9, s13
	s_delay_alu instid0(SALU_CYCLE_1) | instskip(NEXT) | instid1(SALU_CYCLE_1)
	s_ashr_i32 s9, s8, 31
	s_lshl_b64 s[8:9], s[8:9], 2
	s_delay_alu instid0(SALU_CYCLE_1) | instskip(SKIP_2) | instid1(SALU_CYCLE_1)
	s_add_u32 s8, s16, s8
	s_addc_u32 s9, s25, s9
	s_or_b32 s10, s12, 0x80
	s_ashr_i32 s11, s10, 4
	s_cmp_lt_i32 s10, s24
	;; [unrolled: 10-line block ×3, first 2 shown]
	s_cselect_b32 s20, s21, s13
	s_delay_alu instid0(SALU_CYCLE_1) | instskip(NEXT) | instid1(SALU_CYCLE_1)
	s_ashr_i32 s21, s20, 31
	s_lshl_b64 s[20:21], s[20:21], 2
	s_delay_alu instid0(SALU_CYCLE_1)
	s_add_u32 s20, s16, s20
	s_addc_u32 s21, s25, s21
	s_clause 0x5
	s_load_b32 s26, s[2:3], 0x0
	s_load_b32 s27, s[4:5], 0x0
	;; [unrolled: 1-line block ×6, first 2 shown]
	s_or_b32 s2, s12, 0xc0
	s_mov_b32 s4, 0
	s_ashr_i32 s3, s2, 4
	s_cmp_lt_i32 s2, s24
	s_mov_b32 s11, s4
	s_cselect_b32 s2, s3, s13
	s_mov_b32 s5, s4
	s_ashr_i32 s3, s2, 31
	s_mov_b32 s6, s4
	s_lshl_b64 s[2:3], s[2:3], 2
	s_mov_b32 s7, s4
	s_add_u32 s2, s16, s2
	s_addc_u32 s3, s25, s3
	s_or_b32 s20, s12, 0xe0
	s_mov_b32 s8, s4
	s_ashr_i32 s21, s20, 4
	s_cmp_lt_i32 s20, s24
	s_mov_b32 s9, s4
	s_cselect_b32 s20, s21, s13
	s_mov_b32 s10, s4
	s_ashr_i32 s21, s20, 31
	v_mov_b32_e32 v118, s11
	v_dual_mov_b32 v112, s5 :: v_dual_mov_b32 v117, s10
	v_dual_mov_b32 v116, s9 :: v_dual_mov_b32 v115, s8
	;; [unrolled: 1-line block ×3, first 2 shown]
	v_mov_b32_e32 v111, s4
	s_lshl_b64 s[4:5], s[20:21], 2
	s_delay_alu instid0(SALU_CYCLE_1)
	s_add_u32 s4, s16, s4
	s_addc_u32 s5, s25, s5
	s_add_u32 s6, s22, s15
	s_addc_u32 s7, s23, s18
	s_waitcnt vmcnt(1)
	v_mad_i64_i32 v[3:4], null, v5, s17, v[1:2]
	s_waitcnt vmcnt(0)
	v_mad_i64_i32 v[5:6], null, v7, s17, v[1:2]
	v_add_nc_u32_e32 v1, -13, v68
	v_lshlrev_b32_e32 v2, 4, v68
	s_clause 0xf
	global_load_b128 v[17:20], v[3:4], off
	global_load_b128 v[21:24], v[3:4], off offset:256
	global_load_b128 v[25:28], v[5:6], off
	global_load_b128 v[29:32], v[5:6], off offset:256
	global_load_b128 v[57:60], v[3:4], off offset:512
	;; [unrolled: 1-line block ×13, first 2 shown]
	v_cndmask_b32_e32 v1, v1, v68, vcc_lo
	s_delay_alu instid0(VALU_DEP_1)
	v_lshlrev_b32_e32 v149, 6, v1
	v_lshl_or_b32 v1, v69, 8, v2
	ds_load_b128 v[119:122], v149
	ds_load_b128 v[123:126], v149 offset:1024
	ds_load_b128 v[127:130], v149 offset:2048
	;; [unrolled: 1-line block ×3, first 2 shown]
	s_clause 0x1
	s_load_b32 s2, s[2:3], 0x0
	s_load_b32 s3, s[4:5], 0x0
	v_add_co_u32 v135, s6, s6, v1
	s_delay_alu instid0(VALU_DEP_1) | instskip(SKIP_1) | instid1(VALU_DEP_1)
	v_add_co_ci_u32_e64 v136, null, s7, 0, s6
	s_waitcnt lgkmcnt(0)
	v_mad_i64_i32 v[1:2], null, s26, s17, v[135:136]
	v_mad_i64_i32 v[3:4], null, s27, s17, v[135:136]
	;; [unrolled: 1-line block ×6, first 2 shown]
	s_clause 0x9
	global_load_b128 v[49:52], v[1:2], off
	global_load_b128 v[53:56], v[1:2], off offset:16
	global_load_b128 v[41:44], v[3:4], off
	global_load_b128 v[45:48], v[3:4], off offset:16
	;; [unrolled: 2-line block ×5, first 2 shown]
	v_mad_i64_i32 v[145:146], null, s2, s17, v[135:136]
	v_mad_i64_i32 v[147:148], null, s3, s17, v[135:136]
	s_waitcnt vmcnt(24)
	v_wmma_f32_16x16x16_f16 v[135:142], v[17:24], v[119:126], v[111:118]
	s_waitcnt vmcnt(22)
	v_wmma_f32_16x16x16_f16 v[111:118], v[25:32], v[119:126], v[111:118]
	s_clause 0x3
	global_load_b128 v[17:20], v[143:144], off
	global_load_b128 v[21:24], v[143:144], off offset:16
	global_load_b128 v[25:28], v[145:146], off
	global_load_b128 v[29:32], v[145:146], off offset:16
	v_and_b32_e32 v119, 0xe0, v0
	s_waitcnt vmcnt(24)
	v_wmma_f32_16x16x16_f16 v[135:142], v[57:64], v[127:134], v[135:142]
	s_clause 0x1
	global_load_b128 v[57:60], v[147:148], off
	global_load_b128 v[61:64], v[147:148], off offset:16
	s_waitcnt vmcnt(24)
	v_wmma_f32_16x16x16_f16 v[111:118], v[71:78], v[127:134], v[111:118]
	ds_load_b128 v[71:74], v149 offset:4096
	ds_load_b128 v[75:78], v149 offset:5120
	v_add_nc_u32_e32 v128, s12, v119
	ds_load_b128 v[119:122], v149 offset:6144
	ds_load_b128 v[123:126], v149 offset:7168
	v_mbcnt_lo_u32_b32 v127, -1, 0
	s_waitcnt vmcnt(0) lgkmcnt(0)
	s_barrier
	v_or_b32_e32 v128, v128, v66
	buffer_gl0_inv
	v_xor_b32_e32 v129, 16, v127
	v_or_b32_e32 v130, 4, v128
	v_or_b32_e32 v131, 6, v128
	s_delay_alu instid0(VALU_DEP_3) | instskip(SKIP_4) | instid1(VALU_DEP_4)
	v_cmp_gt_i32_e32 vcc_lo, 32, v129
	v_or_b32_e32 v132, 8, v128
	v_or_b32_e32 v133, 10, v128
	v_cmp_gt_i32_e64 s3, s24, v130
	v_cmp_gt_i32_e64 s4, s24, v131
	;; [unrolled: 1-line block ×3, first 2 shown]
	v_wmma_f32_16x16x16_f16 v[135:142], v[79:86], v[71:78], v[135:142]
	v_wmma_f32_16x16x16_f16 v[111:118], v[87:94], v[71:78], v[111:118]
	v_or_b32_e32 v79, 12, v128
	v_or_b32_e32 v80, 14, v128
	v_cmp_gt_i32_e64 s6, s24, v133
	v_wmma_f32_16x16x16_f16 v[135:142], v[95:102], v[119:126], v[135:142]
	v_wmma_f32_16x16x16_f16 v[111:118], v[103:110], v[119:126], v[111:118]
	v_cndmask_b32_e32 v127, v127, v129, vcc_lo
	v_or_b32_e32 v129, 2, v128
	v_cmp_gt_i32_e32 vcc_lo, s24, v128
	v_mul_f32_e32 v88, s19, v135
	v_dual_mul_f32 v92, s19, v115 :: v_dual_mul_f32 v87, s19, v136
	s_delay_alu instid0(VALU_DEP_4)
	v_cmp_gt_i32_e64 s2, s24, v129
	v_mul_f32_e32 v78, s19, v138
	v_mul_f32_e32 v86, s19, v137
	v_cndmask_b32_e32 v88, 0xff7fffff, v88, vcc_lo
	v_mul_f32_e32 v76, s19, v140
	v_cndmask_b32_e64 v87, 0xff7fffff, v87, s2
	v_dual_mul_f32 v77, s19, v139 :: v_dual_mul_f32 v94, s19, v113
	v_cndmask_b32_e64 v86, 0xff7fffff, v86, s3
	v_cndmask_b32_e64 v78, 0xff7fffff, v78, s4
	s_delay_alu instid0(VALU_DEP_4)
	v_max3_f32 v87, v88, 0xff7fffff, v87
	v_or_b32_e32 v81, 16, v128
	v_or_b32_e32 v82, 18, v128
	v_dual_mul_f32 v74, s19, v142 :: v_dual_mul_f32 v75, s19, v141
	v_mul_f32_e32 v96, s19, v111
	v_cndmask_b32_e64 v77, 0xff7fffff, v77, s5
	v_cndmask_b32_e64 v76, 0xff7fffff, v76, s6
	v_max3_f32 v78, v87, v86, v78
	v_cmp_gt_i32_e64 s7, s24, v79
	v_cmp_gt_i32_e64 s8, s24, v80
	v_or_b32_e32 v83, 20, v128
	v_or_b32_e32 v84, 22, v128
	v_mul_f32_e32 v95, s19, v112
	v_cndmask_b32_e64 v75, 0xff7fffff, v75, s7
	v_cndmask_b32_e64 v74, 0xff7fffff, v74, s8
	v_max3_f32 v76, v78, v77, v76
	v_cmp_gt_i32_e64 s9, s24, v81
	v_cmp_gt_i32_e64 s10, s24, v82
	v_or_b32_e32 v85, 24, v128
	v_or_b32_e32 v71, 26, v128
	;; [unrolled: 8-line block ×3, first 2 shown]
	v_mul_f32_e32 v91, s19, v116
	v_cndmask_b32_e64 v75, 0xff7fffff, v94, s11
	v_cndmask_b32_e64 v76, 0xff7fffff, v93, s12
	v_max3_f32 v74, v74, v77, v78
	v_cmp_gt_i32_e64 s13, s24, v85
	v_cmp_gt_i32_e64 s15, s24, v71
	v_dual_mul_f32 v89, s19, v118 :: v_dual_mul_f32 v90, s19, v117
	s_delay_alu instid0(VALU_DEP_4) | instskip(NEXT) | instid1(VALU_DEP_4)
	v_max3_f32 v74, v74, v75, v76
	v_cndmask_b32_e64 v77, 0xff7fffff, v92, s13
	s_delay_alu instid0(VALU_DEP_4) | instskip(SKIP_2) | instid1(VALU_DEP_3)
	v_cndmask_b32_e64 v71, 0xff7fffff, v91, s15
	v_cmp_gt_i32_e64 s16, s24, v72
	v_cmp_gt_i32_e64 s17, s24, v73
	v_max3_f32 v71, v74, v77, v71
	s_delay_alu instid0(VALU_DEP_3) | instskip(NEXT) | instid1(VALU_DEP_3)
	v_cndmask_b32_e64 v72, 0xff7fffff, v90, s16
	v_cndmask_b32_e64 v73, 0xff7fffff, v89, s17
	v_lshlrev_b32_e32 v74, 2, v127
	s_delay_alu instid0(VALU_DEP_2) | instskip(SKIP_3) | instid1(VALU_DEP_1)
	v_max3_f32 v71, v71, v72, v73
	ds_bpermute_b32 v72, v74, v71
	s_waitcnt lgkmcnt(0)
	v_max_f32_e32 v72, v72, v72
	v_max_f32_e32 v71, v71, v72
	s_delay_alu instid0(VALU_DEP_1) | instskip(SKIP_4) | instid1(VALU_DEP_4)
	v_fma_f32 v72, s19, v135, -v71
	v_fma_f32 v73, s19, v136, -v71
	;; [unrolled: 1-line block ×5, first 2 shown]
	v_dual_mul_f32 v72, 0x3fb8aa3b, v72 :: v_dual_mul_f32 v73, 0x3fb8aa3b, v73
	v_fma_f32 v80, s19, v141, -v71
	s_delay_alu instid0(VALU_DEP_3) | instskip(NEXT) | instid1(VALU_DEP_3)
	v_dual_mul_f32 v76, 0x3fb8aa3b, v76 :: v_dual_mul_f32 v77, 0x3fb8aa3b, v77
	v_exp_f32_e32 v72, v72
	s_delay_alu instid0(VALU_DEP_3) | instskip(NEXT) | instid1(VALU_DEP_2)
	v_exp_f32_e32 v73, v73
	v_mul_f32_e32 v82, 0x3fb8aa3b, v80
	s_delay_alu instid0(VALU_DEP_2) | instskip(SKIP_1) | instid1(VALU_DEP_1)
	v_exp_f32_e32 v76, v76
	v_exp_f32_e32 v77, v77
	;; [unrolled: 1-line block ×3, first 2 shown]
	v_cndmask_b32_e32 v79, 0, v72, vcc_lo
	v_fma_f32 v72, s19, v140, -v71
	v_mul_f32_e32 v75, 0x3fb8aa3b, v75
	v_cndmask_b32_e64 v78, 0, v73, s2
	s_delay_alu instid0(TRANS32_DEP_3) | instskip(NEXT) | instid1(VALU_DEP_4)
	v_cndmask_b32_e64 v80, 0, v76, s4
	v_dual_add_f32 v73, 0, v79 :: v_dual_mul_f32 v72, 0x3fb8aa3b, v72
	s_delay_alu instid0(VALU_DEP_4) | instskip(NEXT) | instid1(TRANS32_DEP_3)
	v_exp_f32_e32 v75, v75
	v_cndmask_b32_e64 v83, 0, v77, s5
	s_delay_alu instid0(TRANS32_DEP_2) | instskip(NEXT) | instid1(VALU_DEP_3)
	v_cndmask_b32_e64 v85, 0, v84, s7
	v_add_f32_e32 v73, v73, v78
	v_exp_f32_e32 v72, v72
	v_cmp_gt_u32_e64 s2, 16, v70
	s_waitcnt_depctr 0xfff
	v_cndmask_b32_e64 v81, 0, v75, s3
	v_cndmask_b32_e64 v82, 0, v72, s6
	s_delay_alu instid0(VALU_DEP_2) | instskip(NEXT) | instid1(VALU_DEP_1)
	v_add_f32_e32 v73, v73, v81
	v_add_f32_e32 v73, v73, v80
	s_delay_alu instid0(VALU_DEP_1) | instskip(NEXT) | instid1(VALU_DEP_1)
	v_add_f32_e32 v72, v73, v83
	v_add_f32_e32 v72, v72, v82
	s_delay_alu instid0(VALU_DEP_1)
	v_add_f32_e32 v72, v72, v85
	v_fma_f32 v76, s19, v111, -v71
	v_fma_f32 v75, s19, v142, -v71
	v_fma_f32 v86, s19, v114, -v71
	v_fma_f32 v77, s19, v112, -v71
	v_fma_f32 v73, s19, v113, -v71
	v_mul_f32_e32 v76, 0x3fb8aa3b, v76
	s_delay_alu instid0(VALU_DEP_4) | instskip(NEXT) | instid1(VALU_DEP_2)
	v_mul_f32_e32 v86, 0x3fb8aa3b, v86
	v_exp_f32_e32 v76, v76
	s_delay_alu instid0(VALU_DEP_1)
	v_exp_f32_e32 v88, v86
	s_waitcnt_depctr 0xfff
	v_cndmask_b32_e64 v87, 0, v76, s9
	v_fma_f32 v76, s19, v116, -v71
	v_mul_f32_e32 v75, 0x3fb8aa3b, v75
	v_cndmask_b32_e64 v88, 0, v88, s12
	s_delay_alu instid0(VALU_DEP_3) | instskip(NEXT) | instid1(VALU_DEP_3)
	v_dual_mul_f32 v73, 0x3fb8aa3b, v73 :: v_dual_mul_f32 v76, 0x3fb8aa3b, v76
	v_exp_f32_e32 v75, v75
	s_delay_alu instid0(VALU_DEP_1) | instskip(NEXT) | instid1(VALU_DEP_1)
	v_exp_f32_e32 v73, v73
	v_exp_f32_e32 v76, v76
	s_delay_alu instid0(TRANS32_DEP_3)
	v_cndmask_b32_e64 v84, 0, v75, s8
	v_fma_f32 v75, s19, v115, -v71
	s_waitcnt_depctr 0xfff
	v_cndmask_b32_e64 v89, 0, v73, s11
	v_cndmask_b32_e64 v90, 0, v76, s15
	v_add_f32_e32 v72, v72, v84
	s_delay_alu instid0(VALU_DEP_1) | instskip(NEXT) | instid1(VALU_DEP_1)
	v_dual_add_f32 v72, v72, v87 :: v_dual_mul_f32 v77, 0x3fb8aa3b, v77
	v_exp_f32_e32 v77, v77
	s_waitcnt_depctr 0xfff
	v_cndmask_b32_e64 v86, 0, v77, s10
	v_fma_f32 v77, s19, v117, -v71
	s_delay_alu instid0(VALU_DEP_2) | instskip(NEXT) | instid1(VALU_DEP_1)
	v_dual_add_f32 v72, v72, v86 :: v_dual_mul_f32 v75, 0x3fb8aa3b, v75
	v_add_f32_e32 v72, v72, v89
	s_delay_alu instid0(VALU_DEP_2) | instskip(NEXT) | instid1(VALU_DEP_1)
	v_exp_f32_e32 v75, v75
	v_add_f32_e32 v72, v72, v88
	s_waitcnt_depctr 0xfff
	v_cndmask_b32_e64 v91, 0, v75, s13
	v_mul_f32_e32 v73, 0x3fb8aa3b, v77
	v_fma_f32 v77, s19, v118, -v71
	s_delay_alu instid0(VALU_DEP_3) | instskip(NEXT) | instid1(VALU_DEP_3)
	v_add_f32_e32 v72, v72, v91
	v_exp_f32_e32 v73, v73
	s_delay_alu instid0(VALU_DEP_1) | instskip(NEXT) | instid1(VALU_DEP_1)
	v_dual_mul_f32 v75, 0x3fb8aa3b, v77 :: v_dual_add_f32 v72, v72, v90
	v_exp_f32_e32 v75, v75
	s_waitcnt_depctr 0xfff
	v_cndmask_b32_e64 v93, 0, v73, s16
	s_delay_alu instid0(VALU_DEP_1) | instskip(SKIP_1) | instid1(VALU_DEP_1)
	v_add_f32_e32 v72, v72, v93
	v_cndmask_b32_e64 v92, 0, v75, s17
	v_add_f32_e32 v72, v72, v92
	ds_bpermute_b32 v73, v74, v72
	s_and_saveexec_b32 s3, s2
	s_cbranch_execz .LBB1226_12
; %bb.11:
	v_mul_u32_u24_e32 v70, 0x44, v69
	s_waitcnt lgkmcnt(0)
	v_add_f32_e32 v72, v72, v73
	s_delay_alu instid0(VALU_DEP_2) | instskip(NEXT) | instid1(VALU_DEP_1)
	v_lshl_add_u32 v70, v68, 2, v70
	v_add_nc_u32_e32 v70, 0x4000, v70
	ds_store_2addr_b32 v70, v71, v72 offset1:136
.LBB1226_12:
	s_or_b32 exec_lo, exec_lo, s3
	v_lshlrev_b32_e32 v70, 2, v68
	s_load_b32 s35, s[0:1], 0x94
	s_waitcnt lgkmcnt(0)
	s_barrier
	buffer_gl0_inv
	v_add_nc_u32_e32 v98, 0x4000, v70
	v_cmp_eq_u32_e32 vcc_lo, 1, v69
	v_cmp_eq_u32_e64 s3, 2, v69
	v_cmp_eq_u32_e64 s4, 3, v69
	;; [unrolled: 1-line block ×3, first 2 shown]
	ds_load_2addr_b32 v[70:71], v98 offset1:17
	ds_load_2addr_b32 v[72:73], v98 offset0:34 offset1:51
	ds_load_2addr_b32 v[74:75], v98 offset0:68 offset1:85
	;; [unrolled: 1-line block ×3, first 2 shown]
	v_cmp_eq_u32_e64 s6, 5, v69
	v_cmp_eq_u32_e64 s7, 7, v69
	s_waitcnt lgkmcnt(3)
	v_max3_f32 v76, v70, 0xff7fffff, v71
	s_waitcnt lgkmcnt(2)
	s_delay_alu instid0(VALU_DEP_1) | instskip(SKIP_1) | instid1(VALU_DEP_1)
	v_max3_f32 v76, v76, v72, v73
	s_waitcnt lgkmcnt(1)
	v_max3_f32 v76, v76, v74, v75
	s_waitcnt lgkmcnt(0)
	s_delay_alu instid0(VALU_DEP_1) | instskip(NEXT) | instid1(VALU_DEP_1)
	v_max3_f32 v76, v76, v94, v95
	v_sub_f32_e32 v77, v71, v76
	ds_load_2addr_b32 v[96:97], v98 offset0:136 offset1:153
	v_sub_f32_e32 v74, v74, v76
	v_sub_f32_e32 v70, v70, v76
	v_sub_f32_e32 v94, v94, v76
	v_dual_sub_f32 v72, v72, v76 :: v_dual_mul_f32 v77, 0x3fb8aa3b, v77
	s_delay_alu instid0(VALU_DEP_4) | instskip(NEXT) | instid1(VALU_DEP_4)
	v_mul_f32_e32 v103, 0x3fb8aa3b, v74
	v_mul_f32_e32 v99, 0x3fb8aa3b, v70
	ds_load_2addr_b32 v[70:71], v98 offset0:170 offset1:187
	v_dual_mul_f32 v101, 0x3fb8aa3b, v72 :: v_dual_mul_f32 v94, 0x3fb8aa3b, v94
	v_exp_f32_e32 v102, v77
	v_exp_f32_e32 v99, v99
	s_delay_alu instid0(VALU_DEP_1) | instskip(NEXT) | instid1(VALU_DEP_1)
	v_exp_f32_e32 v101, v101
	v_exp_f32_e32 v94, v94
	s_waitcnt lgkmcnt(1)
	s_delay_alu instid0(TRANS32_DEP_3)
	v_fma_f32 v77, v99, v96, 0
	v_sub_f32_e32 v100, v73, v76
	ds_load_2addr_b32 v[72:73], v98 offset0:204 offset1:221
	v_fmac_f32_e32 v77, v102, v97
	v_exp_f32_e32 v97, v103
	s_waitcnt lgkmcnt(1)
	s_delay_alu instid0(VALU_DEP_1)
	v_dual_fmac_f32 v77, v101, v70 :: v_dual_sub_f32 v96, v75, v76
	ds_load_2addr_b32 v[74:75], v98 offset0:238 offset1:255
	v_sub_f32_e32 v70, v95, v76
	s_waitcnt lgkmcnt(0)
	s_barrier
	v_mul_f32_e32 v96, 0x3fb8aa3b, v96
	buffer_gl0_inv
	v_exp_f32_e32 v95, v96
	v_mul_f32_e32 v100, 0x3fb8aa3b, v100
	s_delay_alu instid0(VALU_DEP_1) | instskip(SKIP_3) | instid1(VALU_DEP_2)
	v_exp_f32_e32 v100, v100
	s_waitcnt_depctr 0xfff
	v_dual_fmac_f32 v77, v100, v71 :: v_dual_mul_f32 v70, 0x3fb8aa3b, v70
	v_cndmask_b32_e32 v71, v99, v102, vcc_lo
	v_fmac_f32_e32 v77, v97, v72
	s_delay_alu instid0(VALU_DEP_3) | instskip(NEXT) | instid1(VALU_DEP_1)
	v_exp_f32_e32 v96, v70
	v_fmac_f32_e32 v77, v95, v73
	s_delay_alu instid0(VALU_DEP_1) | instskip(SKIP_2) | instid1(VALU_DEP_1)
	v_fmac_f32_e32 v77, v94, v74
	s_waitcnt_depctr 0xfff
	v_fmac_f32_e32 v77, v96, v75
	v_add_f32_e32 v74, 0x358637bd, v77
	s_delay_alu instid0(VALU_DEP_1) | instskip(SKIP_1) | instid1(VALU_DEP_2)
	v_div_scale_f32 v98, null, v74, v74, 1.0
	v_div_scale_f32 v99, vcc_lo, 1.0, v74, 1.0
	v_rcp_f32_e32 v103, v98
	s_waitcnt_depctr 0xfff
	v_fma_f32 v70, -v98, v103, 1.0
	s_delay_alu instid0(VALU_DEP_1) | instskip(SKIP_2) | instid1(VALU_DEP_2)
	v_fmac_f32_e32 v103, v70, v103
	v_cndmask_b32_e64 v70, v71, v101, s3
	v_cmp_eq_u32_e64 s3, 6, v69
	v_cndmask_b32_e64 v71, v70, v100, s4
	s_delay_alu instid0(VALU_DEP_4) | instskip(NEXT) | instid1(VALU_DEP_2)
	v_dual_mul_f32 v101, v99, v103 :: v_dual_lshlrev_b32 v70, 2, v66
	v_cndmask_b32_e64 v71, v71, v97, s5
	s_delay_alu instid0(VALU_DEP_2) | instskip(NEXT) | instid1(VALU_DEP_3)
	v_or_b32_e32 v72, 1, v70
	v_fma_f32 v100, -v98, v101, v99
	v_cmp_eq_u32_e64 s4, 1, v70
	v_cmp_eq_u32_e64 s5, 2, v70
	v_cndmask_b32_e64 v95, v71, v95, s6
	v_or_b32_e32 v71, 3, v70
	v_fmac_f32_e32 v101, v100, v103
	v_cmp_eq_u32_e64 s9, 1, v72
	v_cmp_eq_u32_e64 s12, 2, v72
	v_cndmask_b32_e64 v94, v95, v94, s3
	v_cmp_eq_u32_e64 s11, 1, v71
	v_fma_f32 v97, -v98, v101, v99
	v_cmp_eq_u32_e64 s16, 2, v71
	v_cmp_eq_u32_e64 s13, 3, v72
	v_cndmask_b32_e64 v94, v94, v96, s7
	v_cmp_eq_u32_e64 s18, 3, v71
	v_div_fmas_f32 v95, v97, v103, v101
	v_cmp_eq_u32_e32 vcc_lo, 3, v70
	v_cmp_eq_u32_e64 s3, 4, v70
	v_cmp_eq_u32_e64 s19, 4, v72
	;; [unrolled: 1-line block ×3, first 2 shown]
	v_div_fixup_f32 v95, v95, v74, 1.0
	v_lshlrev_b32_e32 v73, 6, v68
	v_cmp_eq_u32_e64 s6, 5, v70
	v_cmp_eq_u32_e64 s20, 5, v72
	;; [unrolled: 1-line block ×3, first 2 shown]
	v_mul_f32_e32 v102, v94, v95
	v_lshl_or_b32 v75, v69, 11, v73
	v_or_b32_e32 v69, 2, v70
	v_cmp_eq_u32_e64 s25, 6, v72
	v_cmp_eq_u32_e64 s27, 6, v71
	v_fma_mixlo_f16 v94, v102, v79, 0
	v_fma_mixlo_f16 v95, v102, v81, 0
	;; [unrolled: 1-line block ×8, first 2 shown]
	v_lshl_or_b32 v74, v66, 4, v75
	v_fma_mixhi_f16 v94, v102, v78, 0
	v_fma_mixhi_f16 v95, v102, v80, 0
	;; [unrolled: 1-line block ×8, first 2 shown]
	ds_store_b128 v74, v[94:97]
	ds_store_b128 v74, v[98:101] offset:1024
	s_waitcnt lgkmcnt(0)
	s_barrier
	buffer_gl0_inv
	ds_load_b128 v[78:81], v75
	ds_load_b128 v[82:85], v75 offset:16
	ds_load_b128 v[86:89], v75 offset:1024
	;; [unrolled: 1-line block ×3, first 2 shown]
	v_cmp_eq_u32_e64 s10, 1, v69
	v_cmp_eq_u32_e64 s15, 2, v69
	;; [unrolled: 1-line block ×11, first 2 shown]
	s_waitcnt lgkmcnt(3)
	v_lshrrev_b32_e32 v94, 16, v78
	s_waitcnt lgkmcnt(2)
	v_lshrrev_b32_e32 v98, 16, v82
	;; [unrolled: 2-line block ×4, first 2 shown]
	v_lshrrev_b32_e32 v95, 16, v79
	v_cndmask_b32_e64 v110, v78, v94, s4
	v_cndmask_b32_e64 v111, v82, v98, s4
	;; [unrolled: 1-line block ×8, first 2 shown]
	v_lshrrev_b32_e32 v99, 16, v83
	v_cndmask_b32_e64 v94, v86, v102, s4
	v_cndmask_b32_e64 v98, v90, v106, s4
	;; [unrolled: 1-line block ×15, first 2 shown]
	v_lshrrev_b32_e32 v103, 16, v87
	v_lshrrev_b32_e32 v107, 16, v91
	v_cndmask_b32_e64 v113, v115, v83, s15
	v_cndmask_b32_e64 v82, v94, v87, s5
	;; [unrolled: 1-line block ×7, first 2 shown]
	v_cndmask_b32_e32 v90, v102, v95, vcc_lo
	v_cndmask_b32_e32 v102, v106, v99, vcc_lo
	v_cndmask_b32_e64 v106, v110, v95, s13
	v_cndmask_b32_e64 v110, v111, v99, s13
	;; [unrolled: 1-line block ×4, first 2 shown]
	v_lshrrev_b32_e32 v96, 16, v80
	v_lshrrev_b32_e32 v100, 16, v84
	v_cndmask_b32_e64 v111, v112, v95, s17
	v_cndmask_b32_e64 v112, v113, v99, s17
	v_cndmask_b32_e32 v82, v82, v103, vcc_lo
	v_cndmask_b32_e32 v83, v83, v107, vcc_lo
	v_cndmask_b32_e64 v94, v94, v103, s13
	v_cndmask_b32_e64 v90, v90, v80, s3
	;; [unrolled: 1-line block ×7, first 2 shown]
	v_lshrrev_b32_e32 v104, 16, v88
	v_cndmask_b32_e64 v106, v111, v80, s21
	v_cndmask_b32_e64 v110, v112, v84, s21
	;; [unrolled: 1-line block ×11, first 2 shown]
	v_lshrrev_b32_e32 v97, 16, v81
	v_lshrrev_b32_e32 v101, 16, v85
	v_cndmask_b32_e64 v99, v106, v96, s23
	v_cndmask_b32_e64 v102, v110, v100, s23
	;; [unrolled: 1-line block ×7, first 2 shown]
	v_lshrrev_b32_e32 v105, 16, v89
	v_cndmask_b32_e64 v80, v80, v104, s6
	v_cndmask_b32_e64 v84, v84, v81, s7
	;; [unrolled: 1-line block ×16, first 2 shown]
	v_perm_b32 v81, v79, v78, 0x5040100
	v_perm_b32 v79, v95, v85, 0x5040100
	v_cndmask_b32_e64 v78, v119, v91, s15
	v_cndmask_b32_e64 v85, v117, v91, s12
	;; [unrolled: 1-line block ×3, first 2 shown]
	v_perm_b32 v80, v94, v90, 0x5040100
	v_cndmask_b32_e64 v90, v98, v103, s17
	v_cndmask_b32_e64 v86, v86, v103, s18
	;; [unrolled: 1-line block ×5, first 2 shown]
	v_lshrrev_b32_e32 v108, 16, v92
	v_cndmask_b32_e64 v90, v90, v88, s21
	v_cndmask_b32_e64 v86, v86, v88, s22
	v_cndmask_b32_e64 v87, v87, v92, s22
	v_cndmask_b32_e64 v78, v78, v92, s21
	v_cndmask_b32_e64 v85, v85, v92, s19
	v_cndmask_b32_e64 v82, v82, v108, s6
	v_cndmask_b32_e64 v88, v90, v104, s23
	v_cndmask_b32_e64 v86, v86, v104, s24
	v_cndmask_b32_e64 v87, v87, v108, s24
	v_cndmask_b32_e64 v78, v78, v108, s23
	v_cndmask_b32_e64 v85, v85, v108, s20
	v_lshrrev_b32_e32 v109, 16, v93
	v_cndmask_b32_e64 v82, v82, v93, s7
	v_cndmask_b32_e64 v88, v88, v89, s26
	;; [unrolled: 1-line block ×12, first 2 shown]
	v_perm_b32 v78, v84, v83, 0x5040100
	v_perm_b32 v85, v87, v86, 0x5040100
	;; [unrolled: 1-line block ×5, first 2 shown]
	s_mul_i32 s8, s33, 13
	s_mov_b32 s3, exec_lo
	ds_store_b128 v74, v[78:81]
	ds_store_b128 v74, v[82:85] offset:1024
	v_cmpx_gt_u32_e32 13, v0
	s_cbranch_execz .LBB1226_14
; %bb.13:
	s_mul_i32 s4, s8, s34
	s_delay_alu instid0(SALU_CYCLE_1) | instskip(SKIP_1) | instid1(VALU_DEP_1)
	v_add3_u32 v68, s4, s31, v68
	s_load_b128 s[4:7], s[0:1], 0x58
	v_mad_u64_u32 v[78:79], null, v68, s35, s[14:15]
	s_delay_alu instid0(VALU_DEP_1) | instskip(NEXT) | instid1(VALU_DEP_1)
	v_ashrrev_i32_e32 v79, 31, v78
	v_lshlrev_b64 v[78:79], 2, v[78:79]
	s_waitcnt lgkmcnt(0)
	s_delay_alu instid0(VALU_DEP_1) | instskip(NEXT) | instid1(VALU_DEP_2)
	v_add_co_u32 v80, vcc_lo, s6, v78
	v_add_co_ci_u32_e32 v81, vcc_lo, s7, v79, vcc_lo
	v_add_co_u32 v78, vcc_lo, s4, v78
	v_add_co_ci_u32_e32 v79, vcc_lo, s5, v79, vcc_lo
	global_store_b32 v[80:81], v76, off
	global_store_b32 v[78:79], v77, off
.LBB1226_14:
	s_or_b32 exec_lo, exec_lo, s3
	s_waitcnt lgkmcnt(0)
	s_waitcnt_vscnt null, 0x0
	s_barrier
	buffer_gl0_inv
	ds_load_b128 v[84:87], v73
	ds_load_b128 v[88:91], v73 offset:16
	ds_load_b128 v[96:99], v73 offset:2064
	;; [unrolled: 1-line block ×5, first 2 shown]
	v_cmp_eq_u32_e32 vcc_lo, 1, v70
	v_mov_b32_e32 v76, 0
	ds_load_b128 v[112:115], v73 offset:6160
	ds_load_b128 v[108:111], v73 offset:6144
	;; [unrolled: 1-line block ×4, first 2 shown]
	v_cmp_eq_u32_e64 s4, 1, v69
	v_cmp_eq_u32_e64 s3, 1, v72
	;; [unrolled: 1-line block ×3, first 2 shown]
	v_mov_b32_e32 v77, v76
	v_mov_b32_e32 v78, v76
	;; [unrolled: 1-line block ×7, first 2 shown]
	v_cmp_eq_u32_e64 s6, 3, v72
	v_cmp_eq_u32_e64 s7, 7, v72
	s_waitcnt lgkmcnt(8)
	s_delay_alu instid0(VALU_DEP_3)
	v_wmma_f32_16x16x16_f16 v[76:83], v[49:56], v[84:91], v[76:83]
	ds_load_b128 v[53:56], v73 offset:10256
	ds_load_b128 v[49:52], v73 offset:10240
	s_waitcnt lgkmcnt(8)
	v_wmma_f32_16x16x16_f16 v[76:83], v[41:48], v[92:99], v[76:83]
	ds_load_b128 v[45:48], v73 offset:12304
	ds_load_b128 v[41:44], v73 offset:12288
	s_waitcnt lgkmcnt(8)
	;; [unrolled: 4-line block ×3, first 2 shown]
	s_barrier
	buffer_gl0_inv
	v_wmma_f32_16x16x16_f16 v[76:83], v[1:8], v[108:115], v[76:83]
	s_delay_alu instid0(VALU_DEP_1) | instskip(NEXT) | instid1(VALU_DEP_1)
	v_wmma_f32_16x16x16_f16 v[76:83], v[9:16], v[116:123], v[76:83]
	v_wmma_f32_16x16x16_f16 v[76:83], v[17:24], v[49:56], v[76:83]
	s_delay_alu instid0(VALU_DEP_1) | instskip(NEXT) | instid1(VALU_DEP_1)
	v_wmma_f32_16x16x16_f16 v[76:83], v[25:32], v[41:48], v[76:83]
	v_wmma_f32_16x16x16_f16 v[76:83], v[57:64], v[33:40], v[76:83]
	s_delay_alu instid0(VALU_DEP_1) | instskip(NEXT) | instid1(VALU_DEP_2)
	v_cvt_f16_f32_e32 v1, v76
	v_cvt_f16_f32_e32 v2, v77
	s_delay_alu instid0(VALU_DEP_3) | instskip(NEXT) | instid1(VALU_DEP_4)
	v_cvt_f16_f32_e32 v3, v78
	v_cvt_f16_f32_e32 v4, v79
	;; [unrolled: 1-line block ×6, first 2 shown]
	v_pack_b32_f16 v1, v1, v2
	v_pack_b32_f16 v2, v3, v4
	;; [unrolled: 1-line block ×3, first 2 shown]
	s_delay_alu instid0(VALU_DEP_4)
	v_pack_b32_f16 v4, v7, v8
	ds_store_b128 v74, v[1:4]
	s_waitcnt lgkmcnt(0)
	s_barrier
	buffer_gl0_inv
	ds_load_b128 v[1:4], v75
	ds_load_b128 v[5:8], v75 offset:16
	s_waitcnt lgkmcnt(1)
	v_lshrrev_b32_e32 v9, 16, v1
	s_waitcnt lgkmcnt(0)
	v_lshrrev_b32_e32 v13, 16, v5
	v_lshrrev_b32_e32 v10, 16, v2
	;; [unrolled: 1-line block ×4, first 2 shown]
	v_cndmask_b32_e32 v17, v1, v9, vcc_lo
	v_cndmask_b32_e32 v18, v5, v13, vcc_lo
	v_cndmask_b32_e64 v21, v1, v9, s4
	v_cmp_eq_u32_e32 vcc_lo, 1, v71
	v_cndmask_b32_e64 v22, v5, v13, s4
	v_cmp_eq_u32_e64 s4, 2, v70
	v_cndmask_b32_e64 v19, v1, v9, s3
	v_cndmask_b32_e64 v20, v5, v13, s3
	v_cndmask_b32_e32 v1, v1, v9, vcc_lo
	v_cmp_eq_u32_e64 s3, 2, v71
	v_cndmask_b32_e32 v5, v5, v13, vcc_lo
	v_cndmask_b32_e64 v9, v17, v2, s4
	v_cmp_eq_u32_e32 vcc_lo, 3, v70
	v_cndmask_b32_e64 v13, v18, v6, s4
	v_cmp_eq_u32_e64 s4, 2, v69
	v_cndmask_b32_e64 v17, v19, v2, s5
	v_cndmask_b32_e64 v18, v20, v6, s5
	v_cmp_eq_u32_e64 s5, 3, v69
	v_cndmask_b32_e64 v1, v1, v2, s3
	v_cndmask_b32_e64 v19, v21, v2, s4
	;; [unrolled: 1-line block ×4, first 2 shown]
	v_cndmask_b32_e32 v5, v9, v10, vcc_lo
	v_cndmask_b32_e32 v6, v13, v14, vcc_lo
	v_cmp_eq_u32_e32 vcc_lo, 3, v71
	v_cndmask_b32_e64 v9, v17, v10, s6
	v_cndmask_b32_e64 v13, v18, v14, s6
	;; [unrolled: 1-line block ×3, first 2 shown]
	v_cmp_eq_u32_e64 s4, 4, v70
	v_cndmask_b32_e32 v1, v1, v10, vcc_lo
	v_cndmask_b32_e32 v2, v2, v14, vcc_lo
	v_cmp_eq_u32_e32 vcc_lo, 4, v72
	v_lshrrev_b32_e32 v15, 16, v7
	v_lshrrev_b32_e32 v16, 16, v8
	v_cndmask_b32_e64 v17, v19, v10, s5
	v_cmp_eq_u32_e64 s3, 4, v71
	v_cndmask_b32_e64 v5, v5, v3, s4
	v_cndmask_b32_e64 v6, v6, v7, s4
	v_cndmask_b32_e32 v9, v9, v3, vcc_lo
	v_cmp_eq_u32_e64 s4, 5, v72
	v_cndmask_b32_e32 v10, v13, v7, vcc_lo
	v_cmp_eq_u32_e32 vcc_lo, 4, v69
	v_cmp_eq_u32_e64 s5, 5, v70
	v_cndmask_b32_e64 v2, v2, v7, s3
	v_cndmask_b32_e64 v9, v9, v11, s4
	;; [unrolled: 1-line block ×3, first 2 shown]
	v_cndmask_b32_e32 v13, v17, v3, vcc_lo
	v_cmp_eq_u32_e64 s4, 5, v69
	v_cndmask_b32_e32 v14, v18, v7, vcc_lo
	v_cndmask_b32_e64 v1, v1, v3, s3
	v_cmp_eq_u32_e32 vcc_lo, 5, v71
	v_lshrrev_b32_e32 v12, 16, v4
	v_cndmask_b32_e64 v13, v13, v11, s4
	v_cndmask_b32_e64 v3, v14, v15, s4
	v_cmp_eq_u32_e64 s4, 6, v71
	v_cndmask_b32_e32 v1, v1, v11, vcc_lo
	v_cndmask_b32_e64 v5, v5, v11, s5
	v_cmp_eq_u32_e64 s6, 6, v70
	v_cndmask_b32_e64 v6, v6, v15, s5
	v_cmp_eq_u32_e64 s5, 6, v72
	v_cmp_eq_u32_e64 s3, 6, v69
	v_cndmask_b32_e64 v1, v1, v4, s4
	v_cndmask_b32_e32 v2, v2, v15, vcc_lo
	v_cmp_eq_u32_e32 vcc_lo, 7, v71
	v_cndmask_b32_e64 v5, v5, v4, s6
	v_cndmask_b32_e64 v9, v9, v4, s5
	v_cndmask_b32_e64 v6, v6, v8, s6
	v_cmp_eq_u32_e64 s6, 7, v70
	v_cndmask_b32_e32 v1, v1, v12, vcc_lo
	v_cndmask_b32_e64 v7, v13, v4, s3
	v_cndmask_b32_e64 v3, v3, v8, s3
	;; [unrolled: 1-line block ×3, first 2 shown]
	v_cmp_eq_u32_e64 s3, 7, v69
	v_cndmask_b32_e64 v4, v10, v8, s5
	v_cndmask_b32_e64 v5, v5, v12, s6
	;; [unrolled: 1-line block ×3, first 2 shown]
	v_cndmask_b32_e32 v2, v2, v16, vcc_lo
	v_cndmask_b32_e64 v7, v7, v12, s3
	v_cndmask_b32_e64 v3, v3, v16, s3
	;; [unrolled: 1-line block ×4, first 2 shown]
	v_perm_b32 v4, v2, v1, 0x5040100
	s_mov_b32 s3, exec_lo
	v_perm_b32 v3, v3, v7, 0x5040100
	v_perm_b32 v2, v8, v9, 0x5040100
	;; [unrolled: 1-line block ×3, first 2 shown]
	ds_store_b128 v74, v[1:4]
	s_waitcnt lgkmcnt(0)
	s_barrier
	buffer_gl0_inv
	v_cmpx_gt_u32_e32 32, v0
	s_cbranch_execz .LBB1226_2
; %bb.15:
	s_load_b64 s[4:5], s[0:1], 0x68
	v_lshlrev_b32_e32 v0, 10, v0
	v_lshlrev_b32_e32 v1, 4, v67
	s_lshl_b32 s0, s35, 7
	v_add_nc_u32_e32 v18, s31, v66
	s_mul_i32 s1, s0, s34
	s_delay_alu instid0(VALU_DEP_2) | instskip(SKIP_1) | instid1(VALU_DEP_2)
	v_and_or_b32 v0, 0x3800, v0, v1
	s_mul_i32 s6, s1, s8
	v_mul_lo_u32 v1, v18, s0
	s_ashr_i32 s7, s6, 31
	v_add_nc_u32_e32 v2, 2, v18
	v_lshl_or_b32 v19, v66, 6, v0
	s_lshl_b64 s[6:7], s[6:7], 1
	v_add_nc_u32_e32 v8, 4, v18
	v_add_nc_u32_e32 v15, 6, v18
	v_mul_lo_u32 v7, v2, s0
	ds_load_b128 v[3:6], v19
	v_ashrrev_i32_e32 v2, 31, v1
	v_mul_lo_u32 v11, v8, s0
	s_waitcnt lgkmcnt(0)
	s_add_u32 s1, s4, s6
	s_addc_u32 s3, s5, s7
	s_lshl_b32 s4, s14, 7
	v_lshlrev_b64 v[9:10], 1, v[1:2]
	s_ashr_i32 s5, s4, 31
	v_ashrrev_i32_e32 v8, 31, v7
	s_lshl_b64 s[4:5], s[4:5], 1
	v_ashrrev_i32_e32 v12, 31, v11
	s_add_u32 s1, s1, s4
	s_addc_u32 s3, s3, s5
	v_add_co_u32 v1, s1, s1, v65
	s_delay_alu instid0(VALU_DEP_1) | instskip(SKIP_1) | instid1(VALU_DEP_3)
	v_add_co_ci_u32_e64 v2, null, s3, 0, s1
	v_mul_lo_u32 v15, v15, s0
	v_add_co_u32 v13, vcc_lo, v1, v9
	s_delay_alu instid0(VALU_DEP_3)
	v_add_co_ci_u32_e32 v14, vcc_lo, v2, v10, vcc_lo
	v_lshlrev_b64 v[16:17], 1, v[7:8]
	ds_load_b128 v[7:10], v19 offset:128
	global_store_b128 v[13:14], v[3:6], off
	v_add_nc_u32_e32 v5, 8, v18
	v_lshlrev_b64 v[3:4], 1, v[11:12]
	v_add_co_u32 v23, vcc_lo, v1, v16
	v_ashrrev_i32_e32 v16, 31, v15
	s_delay_alu instid0(VALU_DEP_4) | instskip(SKIP_3) | instid1(VALU_DEP_3)
	v_mul_lo_u32 v25, v5, s0
	v_add_nc_u32_e32 v5, 10, v18
	v_add_co_ci_u32_e32 v24, vcc_lo, v2, v17, vcc_lo
	v_add_co_u32 v27, vcc_lo, v1, v3
	v_mul_lo_u32 v29, v5, s0
	v_add_co_ci_u32_e32 v28, vcc_lo, v2, v4, vcc_lo
	v_lshlrev_b64 v[31:32], 1, v[15:16]
	ds_load_b128 v[3:6], v19 offset:256
	ds_load_b128 v[11:14], v19 offset:384
	;; [unrolled: 1-line block ×4, first 2 shown]
	v_ashrrev_i32_e32 v26, 31, v25
	v_ashrrev_i32_e32 v30, 31, v29
	v_add_co_u32 v31, vcc_lo, v1, v31
	s_delay_alu instid0(VALU_DEP_3) | instskip(SKIP_1) | instid1(VALU_DEP_4)
	v_lshlrev_b64 v[25:26], 1, v[25:26]
	v_add_co_ci_u32_e32 v32, vcc_lo, v2, v32, vcc_lo
	v_lshlrev_b64 v[29:30], 1, v[29:30]
	s_delay_alu instid0(VALU_DEP_3) | instskip(NEXT) | instid1(VALU_DEP_4)
	v_add_co_u32 v25, vcc_lo, v1, v25
	v_add_co_ci_u32_e32 v26, vcc_lo, v2, v26, vcc_lo
	s_delay_alu instid0(VALU_DEP_3) | instskip(NEXT) | instid1(VALU_DEP_4)
	v_add_co_u32 v29, vcc_lo, v1, v29
	v_add_co_ci_u32_e32 v30, vcc_lo, v2, v30, vcc_lo
	s_waitcnt lgkmcnt(4)
	global_store_b128 v[23:24], v[7:10], off
	s_waitcnt lgkmcnt(3)
	global_store_b128 v[27:28], v[3:6], off
	;; [unrolled: 2-line block ×5, first 2 shown]
	s_and_b32 exec_lo, exec_lo, s2
	s_cbranch_execz .LBB1226_2
; %bb.16:
	ds_load_b128 v[3:6], v0 offset:768
	s_add_i32 s1, s31, 12
	s_delay_alu instid0(SALU_CYCLE_1) | instskip(NEXT) | instid1(SALU_CYCLE_1)
	s_mul_i32 s0, s1, s0
	s_ashr_i32 s1, s0, 31
	s_delay_alu instid0(SALU_CYCLE_1) | instskip(NEXT) | instid1(SALU_CYCLE_1)
	s_lshl_b64 s[0:1], s[0:1], 1
	v_add_co_u32 v0, vcc_lo, v1, s0
	v_add_co_ci_u32_e32 v1, vcc_lo, s1, v2, vcc_lo
	s_waitcnt lgkmcnt(0)
	global_store_b128 v[0:1], v[3:6], off
	s_nop 0
	s_sendmsg sendmsg(MSG_DEALLOC_VGPRS)
	s_endpgm
	.section	.rodata,"a",@progbits
	.p2align	6, 0x0
	.amdhsa_kernel _Z39paged_attention_ll4mi_QKV_mfma16_kernelIDF16_hLN4vllm18Fp8KVCacheDataTypeE1EhLi16ELi128ELi256ELb1ELi13EL8MFMAType0EEvPKT_PKT0_S8_ifPKiSA_SA_iPKfiiiPfSD_PS3_PT2_iSC_SC_
		.amdhsa_group_segment_fixed_size 17472
		.amdhsa_private_segment_fixed_size 0
		.amdhsa_kernarg_size 400
		.amdhsa_user_sgpr_count 13
		.amdhsa_user_sgpr_dispatch_ptr 0
		.amdhsa_user_sgpr_queue_ptr 0
		.amdhsa_user_sgpr_kernarg_segment_ptr 1
		.amdhsa_user_sgpr_dispatch_id 0
		.amdhsa_user_sgpr_private_segment_size 0
		.amdhsa_wavefront_size32 1
		.amdhsa_uses_dynamic_stack 0
		.amdhsa_enable_private_segment 0
		.amdhsa_system_sgpr_workgroup_id_x 1
		.amdhsa_system_sgpr_workgroup_id_y 1
		.amdhsa_system_sgpr_workgroup_id_z 1
		.amdhsa_system_sgpr_workgroup_info 0
		.amdhsa_system_vgpr_workitem_id 0
		.amdhsa_next_free_vgpr 150
		.amdhsa_next_free_sgpr 36
		.amdhsa_reserve_vcc 1
		.amdhsa_float_round_mode_32 0
		.amdhsa_float_round_mode_16_64 0
		.amdhsa_float_denorm_mode_32 3
		.amdhsa_float_denorm_mode_16_64 3
		.amdhsa_dx10_clamp 1
		.amdhsa_ieee_mode 1
		.amdhsa_fp16_overflow 0
		.amdhsa_workgroup_processor_mode 1
		.amdhsa_memory_ordered 1
		.amdhsa_forward_progress 0
		.amdhsa_shared_vgpr_count 0
		.amdhsa_exception_fp_ieee_invalid_op 0
		.amdhsa_exception_fp_denorm_src 0
		.amdhsa_exception_fp_ieee_div_zero 0
		.amdhsa_exception_fp_ieee_overflow 0
		.amdhsa_exception_fp_ieee_underflow 0
		.amdhsa_exception_fp_ieee_inexact 0
		.amdhsa_exception_int_div_zero 0
	.end_amdhsa_kernel
	.section	.text._Z39paged_attention_ll4mi_QKV_mfma16_kernelIDF16_hLN4vllm18Fp8KVCacheDataTypeE1EhLi16ELi128ELi256ELb1ELi13EL8MFMAType0EEvPKT_PKT0_S8_ifPKiSA_SA_iPKfiiiPfSD_PS3_PT2_iSC_SC_,"axG",@progbits,_Z39paged_attention_ll4mi_QKV_mfma16_kernelIDF16_hLN4vllm18Fp8KVCacheDataTypeE1EhLi16ELi128ELi256ELb1ELi13EL8MFMAType0EEvPKT_PKT0_S8_ifPKiSA_SA_iPKfiiiPfSD_PS3_PT2_iSC_SC_,comdat
.Lfunc_end1226:
	.size	_Z39paged_attention_ll4mi_QKV_mfma16_kernelIDF16_hLN4vllm18Fp8KVCacheDataTypeE1EhLi16ELi128ELi256ELb1ELi13EL8MFMAType0EEvPKT_PKT0_S8_ifPKiSA_SA_iPKfiiiPfSD_PS3_PT2_iSC_SC_, .Lfunc_end1226-_Z39paged_attention_ll4mi_QKV_mfma16_kernelIDF16_hLN4vllm18Fp8KVCacheDataTypeE1EhLi16ELi128ELi256ELb1ELi13EL8MFMAType0EEvPKT_PKT0_S8_ifPKiSA_SA_iPKfiiiPfSD_PS3_PT2_iSC_SC_
                                        ; -- End function
	.section	.AMDGPU.csdata,"",@progbits
; Kernel info:
; codeLenInByte = 6852
; NumSgprs: 38
; NumVgprs: 150
; ScratchSize: 0
; MemoryBound: 0
; FloatMode: 240
; IeeeMode: 1
; LDSByteSize: 17472 bytes/workgroup (compile time only)
; SGPRBlocks: 4
; VGPRBlocks: 18
; NumSGPRsForWavesPerEU: 38
; NumVGPRsForWavesPerEU: 150
; Occupancy: 9
; WaveLimiterHint : 1
; COMPUTE_PGM_RSRC2:SCRATCH_EN: 0
; COMPUTE_PGM_RSRC2:USER_SGPR: 13
; COMPUTE_PGM_RSRC2:TRAP_HANDLER: 0
; COMPUTE_PGM_RSRC2:TGID_X_EN: 1
; COMPUTE_PGM_RSRC2:TGID_Y_EN: 1
; COMPUTE_PGM_RSRC2:TGID_Z_EN: 1
; COMPUTE_PGM_RSRC2:TIDIG_COMP_CNT: 0
	.section	.text._Z39paged_attention_ll4mi_QKV_mfma16_kernelIDF16_hLN4vllm18Fp8KVCacheDataTypeE1EhLi16ELi128ELi256ELb1ELi14EL8MFMAType0EEvPKT_PKT0_S8_ifPKiSA_SA_iPKfiiiPfSD_PS3_PT2_iSC_SC_,"axG",@progbits,_Z39paged_attention_ll4mi_QKV_mfma16_kernelIDF16_hLN4vllm18Fp8KVCacheDataTypeE1EhLi16ELi128ELi256ELb1ELi14EL8MFMAType0EEvPKT_PKT0_S8_ifPKiSA_SA_iPKfiiiPfSD_PS3_PT2_iSC_SC_,comdat
	.protected	_Z39paged_attention_ll4mi_QKV_mfma16_kernelIDF16_hLN4vllm18Fp8KVCacheDataTypeE1EhLi16ELi128ELi256ELb1ELi14EL8MFMAType0EEvPKT_PKT0_S8_ifPKiSA_SA_iPKfiiiPfSD_PS3_PT2_iSC_SC_ ; -- Begin function _Z39paged_attention_ll4mi_QKV_mfma16_kernelIDF16_hLN4vllm18Fp8KVCacheDataTypeE1EhLi16ELi128ELi256ELb1ELi14EL8MFMAType0EEvPKT_PKT0_S8_ifPKiSA_SA_iPKfiiiPfSD_PS3_PT2_iSC_SC_
	.globl	_Z39paged_attention_ll4mi_QKV_mfma16_kernelIDF16_hLN4vllm18Fp8KVCacheDataTypeE1EhLi16ELi128ELi256ELb1ELi14EL8MFMAType0EEvPKT_PKT0_S8_ifPKiSA_SA_iPKfiiiPfSD_PS3_PT2_iSC_SC_
	.p2align	8
	.type	_Z39paged_attention_ll4mi_QKV_mfma16_kernelIDF16_hLN4vllm18Fp8KVCacheDataTypeE1EhLi16ELi128ELi256ELb1ELi14EL8MFMAType0EEvPKT_PKT0_S8_ifPKiSA_SA_iPKfiiiPfSD_PS3_PT2_iSC_SC_,@function
_Z39paged_attention_ll4mi_QKV_mfma16_kernelIDF16_hLN4vllm18Fp8KVCacheDataTypeE1EhLi16ELi128ELi256ELb1ELi14EL8MFMAType0EEvPKT_PKT0_S8_ifPKiSA_SA_iPKfiiiPfSD_PS3_PT2_iSC_SC_: ; @_Z39paged_attention_ll4mi_QKV_mfma16_kernelIDF16_hLN4vllm18Fp8KVCacheDataTypeE1EhLi16ELi128ELi256ELb1ELi14EL8MFMAType0EEvPKT_PKT0_S8_ifPKiSA_SA_iPKfiiiPfSD_PS3_PT2_iSC_SC_
; %bb.0:
	s_load_b64 s[4:5], s[0:1], 0x30
	s_mov_b32 s30, s13
	s_waitcnt lgkmcnt(0)
	s_cmp_lg_u64 s[4:5], 0
	s_cselect_b32 s8, -1, 0
	s_ashr_i32 s31, s13, 31
	s_cmp_eq_u64 s[4:5], 0
	s_cbranch_scc1 .LBB1227_3
; %bb.1:
	s_lshl_b64 s[2:3], s[30:31], 2
	s_delay_alu instid0(SALU_CYCLE_1) | instskip(SKIP_4) | instid1(SALU_CYCLE_1)
	s_add_u32 s2, s4, s2
	s_addc_u32 s3, s5, s3
	s_load_b64 s[2:3], s[2:3], 0x0
	s_waitcnt lgkmcnt(0)
	s_sub_i32 s2, s3, s2
	s_cmp_eq_u32 s2, 1
	s_cselect_b32 s2, -1, 0
	s_delay_alu instid0(SALU_CYCLE_1)
	s_and_not1_b32 vcc_lo, exec_lo, s2
	s_cbranch_vccz .LBB1227_4
.LBB1227_2:
	s_endpgm
.LBB1227_3:
.LBB1227_4:
	s_load_b64 s[2:3], s[0:1], 0x28
	s_lshl_b64 s[6:7], s[30:31], 2
	s_waitcnt lgkmcnt(0)
	s_add_u32 s2, s2, s6
	s_addc_u32 s3, s3, s7
	s_lshl_b32 s12, s14, 8
	s_load_b32 s24, s[2:3], 0x0
	s_waitcnt lgkmcnt(0)
	s_cmp_ge_i32 s12, s24
	s_cbranch_scc1 .LBB1227_2
; %bb.5:
	s_clause 0x1
	s_load_b128 s[20:23], s[0:1], 0x8
	s_load_b64 s[2:3], s[0:1], 0x20
	s_and_not1_b32 vcc_lo, exec_lo, s8
	s_cbranch_vccnz .LBB1227_7
; %bb.6:
	s_add_u32 s4, s4, s6
	s_addc_u32 s5, s5, s7
	s_load_b32 s5, s[4:5], 0x0
	s_branch .LBB1227_8
.LBB1227_7:
	s_mov_b32 s5, s30
.LBB1227_8:
	s_load_b128 s[16:19], s[0:1], 0x48
	v_and_b32_e32 v68, 15, v0
	v_lshrrev_b32_e32 v69, 5, v0
	v_and_b32_e32 v70, 31, v0
	v_and_b32_e32 v67, 1, v0
	v_bfe_u32 v66, v0, 4, 1
	v_lshlrev_b32_e32 v1, 3, v68
	s_mul_i32 s31, s15, 14
	s_mov_b32 s4, exec_lo
	s_delay_alu instid0(VALU_DEP_1)
	v_lshlrev_b32_e32 v65, 1, v1
	v_cmpx_gt_u32_e32 0xe0, v0
	s_cbranch_execz .LBB1227_10
; %bb.9:
	s_load_b64 s[6:7], s[0:1], 0x0
	v_lshl_or_b32 v5, v69, 1, v66
	s_waitcnt lgkmcnt(0)
	s_mul_hi_i32 s9, s5, s16
	s_mul_i32 s8, s5, s16
	v_lshlrev_b32_e32 v6, 10, v68
	s_lshl_b64 s[8:9], s[8:9], 1
	v_add_lshl_u32 v1, v5, s31, 7
	v_lshlrev_b32_e32 v5, 6, v5
	v_lshlrev_b32_e32 v7, 10, v67
	v_and_b32_e32 v6, 0x3800, v6
	s_delay_alu instid0(VALU_DEP_4) | instskip(NEXT) | instid1(VALU_DEP_2)
	v_ashrrev_i32_e32 v2, 31, v1
	v_or3_b32 v5, v6, v7, v5
	s_delay_alu instid0(VALU_DEP_2) | instskip(SKIP_2) | instid1(VALU_DEP_1)
	v_lshlrev_b64 v[1:2], 1, v[1:2]
	s_add_u32 s5, s6, s8
	s_addc_u32 s6, s7, s9
	v_add_co_u32 v1, vcc_lo, s5, v1
	s_delay_alu instid0(VALU_DEP_2) | instskip(NEXT) | instid1(VALU_DEP_2)
	v_add_co_ci_u32_e32 v2, vcc_lo, s6, v2, vcc_lo
	v_add_co_u32 v1, vcc_lo, v1, v65
	s_delay_alu instid0(VALU_DEP_2)
	v_add_co_ci_u32_e32 v2, vcc_lo, 0, v2, vcc_lo
	global_load_b128 v[1:4], v[1:2], off
	s_waitcnt vmcnt(0)
	ds_store_b128 v5, v[1:4]
.LBB1227_10:
	s_or_b32 exec_lo, exec_lo, s4
	v_and_b32_e32 v1, 0xef, v0
	s_waitcnt lgkmcnt(0)
	s_add_i32 s5, s24, 15
	s_clause 0x1
	s_load_b32 s4, s[0:1], 0x38
	s_load_b32 s33, s[0:1], 0x98
	s_ashr_i32 s6, s5, 31
	v_add_nc_u32_e32 v1, s12, v1
	s_lshr_b32 s6, s6, 28
	s_load_b32 s19, s[0:1], 0x1c
	s_add_i32 s5, s5, s6
	s_waitcnt lgkmcnt(0)
	v_ashrrev_i32_e32 v2, 31, v1
	v_or_b32_e32 v3, 16, v1
	s_ashr_i32 s13, s5, 4
	v_cmp_gt_i32_e32 vcc_lo, s24, v1
	s_add_i32 s13, s13, -1
	v_lshrrev_b32_e32 v2, 28, v2
	s_barrier
	buffer_gl0_inv
	s_mul_i32 s15, s15, s18
	v_add_nc_u32_e32 v4, v1, v2
	s_mul_i32 s4, s30, s4
	s_delay_alu instid0(SALU_CYCLE_1) | instskip(NEXT) | instid1(VALU_DEP_1)
	s_ashr_i32 s5, s4, 31
	v_ashrrev_i32_e32 v4, 4, v4
	v_add_nc_u32_e32 v2, v3, v2
	s_lshl_b64 s[4:5], s[4:5], 2
	s_delay_alu instid0(SALU_CYCLE_1) | instskip(NEXT) | instid1(VALU_DEP_2)
	s_add_u32 s16, s2, s4
	v_cndmask_b32_e32 v1, s13, v4, vcc_lo
	s_delay_alu instid0(VALU_DEP_2)
	v_ashrrev_i32_e32 v2, 4, v2
	v_cmp_gt_i32_e32 vcc_lo, s24, v3
	s_addc_u32 s25, s3, s5
	s_ashr_i32 s18, s15, 31
	s_add_u32 s26, s20, s15
	s_addc_u32 s27, s21, s18
	v_cndmask_b32_e32 v3, s13, v2, vcc_lo
	v_ashrrev_i32_e32 v2, 31, v1
	s_lshl_b32 s2, s14, 4
	s_delay_alu instid0(SALU_CYCLE_1) | instskip(NEXT) | instid1(VALU_DEP_2)
	s_ashr_i32 s3, s2, 31
	v_ashrrev_i32_e32 v4, 31, v3
	s_delay_alu instid0(VALU_DEP_2) | instskip(SKIP_1) | instid1(SALU_CYCLE_1)
	v_lshlrev_b64 v[1:2], 2, v[1:2]
	s_lshl_b64 s[2:3], s[2:3], 2
	s_add_u32 s2, s16, s2
	s_delay_alu instid0(VALU_DEP_2) | instskip(SKIP_1) | instid1(VALU_DEP_2)
	v_lshlrev_b64 v[3:4], 2, v[3:4]
	s_addc_u32 s3, s25, s3
	v_add_co_u32 v1, vcc_lo, s16, v1
	v_add_co_ci_u32_e32 v2, vcc_lo, s25, v2, vcc_lo
	s_delay_alu instid0(VALU_DEP_3) | instskip(NEXT) | instid1(VALU_DEP_4)
	v_add_co_u32 v3, vcc_lo, s16, v3
	v_add_co_ci_u32_e32 v4, vcc_lo, s25, v4, vcc_lo
	s_clause 0x1
	global_load_b32 v5, v[1:2], off
	global_load_b32 v7, v[3:4], off
	s_or_b32 s4, s12, 32
	v_lshlrev_b32_e32 v1, 4, v0
	s_ashr_i32 s5, s4, 4
	s_cmp_lt_i32 s4, s24
	v_cmp_gt_u32_e32 vcc_lo, 14, v68
	s_cselect_b32 s4, s5, s13
	v_and_b32_e32 v1, 0xf0, v1
	s_ashr_i32 s5, s4, 31
	s_delay_alu instid0(SALU_CYCLE_1) | instskip(NEXT) | instid1(SALU_CYCLE_1)
	s_lshl_b64 s[4:5], s[4:5], 2
	s_add_u32 s4, s16, s4
	s_addc_u32 s5, s25, s5
	s_or_b32 s6, s12, 64
	v_add_co_u32 v1, s26, s26, v1
	s_ashr_i32 s7, s6, 4
	s_cmp_lt_i32 s6, s24
	v_add_co_ci_u32_e64 v2, null, s27, 0, s26
	s_cselect_b32 s6, s7, s13
	s_delay_alu instid0(SALU_CYCLE_1) | instskip(NEXT) | instid1(SALU_CYCLE_1)
	s_ashr_i32 s7, s6, 31
	s_lshl_b64 s[6:7], s[6:7], 2
	s_delay_alu instid0(SALU_CYCLE_1) | instskip(SKIP_2) | instid1(SALU_CYCLE_1)
	s_add_u32 s6, s16, s6
	s_addc_u32 s7, s25, s7
	s_or_b32 s8, s12, 0x60
	s_ashr_i32 s9, s8, 4
	s_cmp_lt_i32 s8, s24
	s_cselect_b32 s8, s9, s13
	s_delay_alu instid0(SALU_CYCLE_1) | instskip(NEXT) | instid1(SALU_CYCLE_1)
	s_ashr_i32 s9, s8, 31
	s_lshl_b64 s[8:9], s[8:9], 2
	s_delay_alu instid0(SALU_CYCLE_1) | instskip(SKIP_2) | instid1(SALU_CYCLE_1)
	s_add_u32 s8, s16, s8
	s_addc_u32 s9, s25, s9
	s_or_b32 s10, s12, 0x80
	s_ashr_i32 s11, s10, 4
	s_cmp_lt_i32 s10, s24
	;; [unrolled: 10-line block ×3, first 2 shown]
	s_cselect_b32 s20, s21, s13
	s_delay_alu instid0(SALU_CYCLE_1) | instskip(NEXT) | instid1(SALU_CYCLE_1)
	s_ashr_i32 s21, s20, 31
	s_lshl_b64 s[20:21], s[20:21], 2
	s_delay_alu instid0(SALU_CYCLE_1)
	s_add_u32 s20, s16, s20
	s_addc_u32 s21, s25, s21
	s_clause 0x5
	s_load_b32 s26, s[2:3], 0x0
	s_load_b32 s27, s[4:5], 0x0
	;; [unrolled: 1-line block ×6, first 2 shown]
	s_or_b32 s2, s12, 0xc0
	s_mov_b32 s4, 0
	s_ashr_i32 s3, s2, 4
	s_cmp_lt_i32 s2, s24
	s_mov_b32 s11, s4
	s_cselect_b32 s2, s3, s13
	s_mov_b32 s5, s4
	s_ashr_i32 s3, s2, 31
	s_mov_b32 s6, s4
	s_lshl_b64 s[2:3], s[2:3], 2
	s_mov_b32 s7, s4
	s_add_u32 s2, s16, s2
	s_addc_u32 s3, s25, s3
	s_or_b32 s20, s12, 0xe0
	s_mov_b32 s8, s4
	s_ashr_i32 s21, s20, 4
	s_cmp_lt_i32 s20, s24
	s_mov_b32 s9, s4
	s_cselect_b32 s20, s21, s13
	s_mov_b32 s10, s4
	s_ashr_i32 s21, s20, 31
	v_mov_b32_e32 v118, s11
	v_dual_mov_b32 v112, s5 :: v_dual_mov_b32 v117, s10
	v_dual_mov_b32 v116, s9 :: v_dual_mov_b32 v115, s8
	;; [unrolled: 1-line block ×3, first 2 shown]
	v_mov_b32_e32 v111, s4
	s_lshl_b64 s[4:5], s[20:21], 2
	s_delay_alu instid0(SALU_CYCLE_1)
	s_add_u32 s4, s16, s4
	s_addc_u32 s5, s25, s5
	s_add_u32 s6, s22, s15
	s_addc_u32 s7, s23, s18
	s_waitcnt vmcnt(1)
	v_mad_i64_i32 v[3:4], null, v5, s17, v[1:2]
	s_waitcnt vmcnt(0)
	v_mad_i64_i32 v[5:6], null, v7, s17, v[1:2]
	v_add_nc_u32_e32 v1, -14, v68
	v_lshlrev_b32_e32 v2, 4, v68
	s_clause 0xf
	global_load_b128 v[17:20], v[3:4], off
	global_load_b128 v[21:24], v[3:4], off offset:256
	global_load_b128 v[25:28], v[5:6], off
	global_load_b128 v[29:32], v[5:6], off offset:256
	global_load_b128 v[57:60], v[3:4], off offset:512
	;; [unrolled: 1-line block ×13, first 2 shown]
	v_cndmask_b32_e32 v1, v1, v68, vcc_lo
	s_delay_alu instid0(VALU_DEP_1)
	v_lshlrev_b32_e32 v149, 6, v1
	v_lshl_or_b32 v1, v69, 8, v2
	ds_load_b128 v[119:122], v149
	ds_load_b128 v[123:126], v149 offset:1024
	ds_load_b128 v[127:130], v149 offset:2048
	;; [unrolled: 1-line block ×3, first 2 shown]
	s_clause 0x1
	s_load_b32 s2, s[2:3], 0x0
	s_load_b32 s3, s[4:5], 0x0
	v_add_co_u32 v135, s6, s6, v1
	s_delay_alu instid0(VALU_DEP_1) | instskip(SKIP_1) | instid1(VALU_DEP_1)
	v_add_co_ci_u32_e64 v136, null, s7, 0, s6
	s_waitcnt lgkmcnt(0)
	v_mad_i64_i32 v[1:2], null, s26, s17, v[135:136]
	v_mad_i64_i32 v[3:4], null, s27, s17, v[135:136]
	;; [unrolled: 1-line block ×6, first 2 shown]
	s_clause 0x9
	global_load_b128 v[49:52], v[1:2], off
	global_load_b128 v[53:56], v[1:2], off offset:16
	global_load_b128 v[41:44], v[3:4], off
	global_load_b128 v[45:48], v[3:4], off offset:16
	;; [unrolled: 2-line block ×5, first 2 shown]
	v_mad_i64_i32 v[145:146], null, s2, s17, v[135:136]
	v_mad_i64_i32 v[147:148], null, s3, s17, v[135:136]
	s_waitcnt vmcnt(24)
	v_wmma_f32_16x16x16_f16 v[135:142], v[17:24], v[119:126], v[111:118]
	s_waitcnt vmcnt(22)
	v_wmma_f32_16x16x16_f16 v[111:118], v[25:32], v[119:126], v[111:118]
	s_clause 0x3
	global_load_b128 v[17:20], v[143:144], off
	global_load_b128 v[21:24], v[143:144], off offset:16
	global_load_b128 v[25:28], v[145:146], off
	global_load_b128 v[29:32], v[145:146], off offset:16
	v_and_b32_e32 v119, 0xe0, v0
	s_waitcnt vmcnt(24)
	v_wmma_f32_16x16x16_f16 v[135:142], v[57:64], v[127:134], v[135:142]
	s_clause 0x1
	global_load_b128 v[57:60], v[147:148], off
	global_load_b128 v[61:64], v[147:148], off offset:16
	s_waitcnt vmcnt(24)
	v_wmma_f32_16x16x16_f16 v[111:118], v[71:78], v[127:134], v[111:118]
	ds_load_b128 v[71:74], v149 offset:4096
	ds_load_b128 v[75:78], v149 offset:5120
	v_add_nc_u32_e32 v128, s12, v119
	ds_load_b128 v[119:122], v149 offset:6144
	ds_load_b128 v[123:126], v149 offset:7168
	v_mbcnt_lo_u32_b32 v127, -1, 0
	s_waitcnt vmcnt(0) lgkmcnt(0)
	s_barrier
	v_or_b32_e32 v128, v128, v66
	buffer_gl0_inv
	v_xor_b32_e32 v129, 16, v127
	v_or_b32_e32 v130, 4, v128
	v_or_b32_e32 v131, 6, v128
	s_delay_alu instid0(VALU_DEP_3) | instskip(SKIP_4) | instid1(VALU_DEP_4)
	v_cmp_gt_i32_e32 vcc_lo, 32, v129
	v_or_b32_e32 v132, 8, v128
	v_or_b32_e32 v133, 10, v128
	v_cmp_gt_i32_e64 s3, s24, v130
	v_cmp_gt_i32_e64 s4, s24, v131
	v_cmp_gt_i32_e64 s5, s24, v132
	v_wmma_f32_16x16x16_f16 v[135:142], v[79:86], v[71:78], v[135:142]
	v_wmma_f32_16x16x16_f16 v[111:118], v[87:94], v[71:78], v[111:118]
	v_or_b32_e32 v79, 12, v128
	v_or_b32_e32 v80, 14, v128
	v_cmp_gt_i32_e64 s6, s24, v133
	v_wmma_f32_16x16x16_f16 v[135:142], v[95:102], v[119:126], v[135:142]
	v_wmma_f32_16x16x16_f16 v[111:118], v[103:110], v[119:126], v[111:118]
	v_cndmask_b32_e32 v127, v127, v129, vcc_lo
	v_or_b32_e32 v129, 2, v128
	v_cmp_gt_i32_e32 vcc_lo, s24, v128
	v_mul_f32_e32 v88, s19, v135
	v_dual_mul_f32 v92, s19, v115 :: v_dual_mul_f32 v87, s19, v136
	s_delay_alu instid0(VALU_DEP_4)
	v_cmp_gt_i32_e64 s2, s24, v129
	v_mul_f32_e32 v78, s19, v138
	v_mul_f32_e32 v86, s19, v137
	v_cndmask_b32_e32 v88, 0xff7fffff, v88, vcc_lo
	v_mul_f32_e32 v76, s19, v140
	v_cndmask_b32_e64 v87, 0xff7fffff, v87, s2
	v_dual_mul_f32 v77, s19, v139 :: v_dual_mul_f32 v94, s19, v113
	v_cndmask_b32_e64 v86, 0xff7fffff, v86, s3
	v_cndmask_b32_e64 v78, 0xff7fffff, v78, s4
	s_delay_alu instid0(VALU_DEP_4)
	v_max3_f32 v87, v88, 0xff7fffff, v87
	v_or_b32_e32 v81, 16, v128
	v_or_b32_e32 v82, 18, v128
	v_dual_mul_f32 v74, s19, v142 :: v_dual_mul_f32 v75, s19, v141
	v_mul_f32_e32 v96, s19, v111
	v_cndmask_b32_e64 v77, 0xff7fffff, v77, s5
	v_cndmask_b32_e64 v76, 0xff7fffff, v76, s6
	v_max3_f32 v78, v87, v86, v78
	v_cmp_gt_i32_e64 s7, s24, v79
	v_cmp_gt_i32_e64 s8, s24, v80
	v_or_b32_e32 v83, 20, v128
	v_or_b32_e32 v84, 22, v128
	v_mul_f32_e32 v95, s19, v112
	v_cndmask_b32_e64 v75, 0xff7fffff, v75, s7
	v_cndmask_b32_e64 v74, 0xff7fffff, v74, s8
	v_max3_f32 v76, v78, v77, v76
	v_cmp_gt_i32_e64 s9, s24, v81
	v_cmp_gt_i32_e64 s10, s24, v82
	v_or_b32_e32 v85, 24, v128
	v_or_b32_e32 v71, 26, v128
	;; [unrolled: 8-line block ×3, first 2 shown]
	v_mul_f32_e32 v91, s19, v116
	v_cndmask_b32_e64 v75, 0xff7fffff, v94, s11
	v_cndmask_b32_e64 v76, 0xff7fffff, v93, s12
	v_max3_f32 v74, v74, v77, v78
	v_cmp_gt_i32_e64 s13, s24, v85
	v_cmp_gt_i32_e64 s15, s24, v71
	v_dual_mul_f32 v89, s19, v118 :: v_dual_mul_f32 v90, s19, v117
	s_delay_alu instid0(VALU_DEP_4) | instskip(NEXT) | instid1(VALU_DEP_4)
	v_max3_f32 v74, v74, v75, v76
	v_cndmask_b32_e64 v77, 0xff7fffff, v92, s13
	s_delay_alu instid0(VALU_DEP_4) | instskip(SKIP_2) | instid1(VALU_DEP_3)
	v_cndmask_b32_e64 v71, 0xff7fffff, v91, s15
	v_cmp_gt_i32_e64 s16, s24, v72
	v_cmp_gt_i32_e64 s17, s24, v73
	v_max3_f32 v71, v74, v77, v71
	s_delay_alu instid0(VALU_DEP_3) | instskip(NEXT) | instid1(VALU_DEP_3)
	v_cndmask_b32_e64 v72, 0xff7fffff, v90, s16
	v_cndmask_b32_e64 v73, 0xff7fffff, v89, s17
	v_lshlrev_b32_e32 v74, 2, v127
	s_delay_alu instid0(VALU_DEP_2) | instskip(SKIP_3) | instid1(VALU_DEP_1)
	v_max3_f32 v71, v71, v72, v73
	ds_bpermute_b32 v72, v74, v71
	s_waitcnt lgkmcnt(0)
	v_max_f32_e32 v72, v72, v72
	v_max_f32_e32 v71, v71, v72
	s_delay_alu instid0(VALU_DEP_1) | instskip(SKIP_4) | instid1(VALU_DEP_4)
	v_fma_f32 v72, s19, v135, -v71
	v_fma_f32 v73, s19, v136, -v71
	;; [unrolled: 1-line block ×5, first 2 shown]
	v_dual_mul_f32 v72, 0x3fb8aa3b, v72 :: v_dual_mul_f32 v73, 0x3fb8aa3b, v73
	v_fma_f32 v80, s19, v141, -v71
	s_delay_alu instid0(VALU_DEP_3) | instskip(NEXT) | instid1(VALU_DEP_3)
	v_dual_mul_f32 v76, 0x3fb8aa3b, v76 :: v_dual_mul_f32 v77, 0x3fb8aa3b, v77
	v_exp_f32_e32 v72, v72
	s_delay_alu instid0(VALU_DEP_3) | instskip(NEXT) | instid1(VALU_DEP_2)
	v_exp_f32_e32 v73, v73
	v_mul_f32_e32 v82, 0x3fb8aa3b, v80
	s_delay_alu instid0(VALU_DEP_2) | instskip(SKIP_1) | instid1(VALU_DEP_1)
	v_exp_f32_e32 v76, v76
	v_exp_f32_e32 v77, v77
	;; [unrolled: 1-line block ×3, first 2 shown]
	v_cndmask_b32_e32 v79, 0, v72, vcc_lo
	v_fma_f32 v72, s19, v140, -v71
	v_mul_f32_e32 v75, 0x3fb8aa3b, v75
	v_cndmask_b32_e64 v78, 0, v73, s2
	s_delay_alu instid0(TRANS32_DEP_3) | instskip(NEXT) | instid1(VALU_DEP_4)
	v_cndmask_b32_e64 v80, 0, v76, s4
	v_dual_add_f32 v73, 0, v79 :: v_dual_mul_f32 v72, 0x3fb8aa3b, v72
	s_delay_alu instid0(VALU_DEP_4) | instskip(NEXT) | instid1(TRANS32_DEP_3)
	v_exp_f32_e32 v75, v75
	v_cndmask_b32_e64 v83, 0, v77, s5
	s_delay_alu instid0(TRANS32_DEP_2) | instskip(NEXT) | instid1(VALU_DEP_3)
	v_cndmask_b32_e64 v85, 0, v84, s7
	v_add_f32_e32 v73, v73, v78
	v_exp_f32_e32 v72, v72
	s_mov_b32 s2, exec_lo
	s_waitcnt_depctr 0xfff
	v_cndmask_b32_e64 v81, 0, v75, s3
	v_cndmask_b32_e64 v82, 0, v72, s6
	s_delay_alu instid0(VALU_DEP_2) | instskip(NEXT) | instid1(VALU_DEP_1)
	v_add_f32_e32 v73, v73, v81
	v_add_f32_e32 v73, v73, v80
	s_delay_alu instid0(VALU_DEP_1) | instskip(NEXT) | instid1(VALU_DEP_1)
	v_add_f32_e32 v72, v73, v83
	v_add_f32_e32 v72, v72, v82
	s_delay_alu instid0(VALU_DEP_1)
	v_add_f32_e32 v72, v72, v85
	v_fma_f32 v76, s19, v111, -v71
	v_fma_f32 v75, s19, v142, -v71
	;; [unrolled: 1-line block ×5, first 2 shown]
	v_mul_f32_e32 v76, 0x3fb8aa3b, v76
	s_delay_alu instid0(VALU_DEP_4) | instskip(NEXT) | instid1(VALU_DEP_2)
	v_mul_f32_e32 v86, 0x3fb8aa3b, v86
	v_exp_f32_e32 v76, v76
	s_delay_alu instid0(VALU_DEP_1)
	v_exp_f32_e32 v88, v86
	s_waitcnt_depctr 0xfff
	v_cndmask_b32_e64 v87, 0, v76, s9
	v_fma_f32 v76, s19, v116, -v71
	v_mul_f32_e32 v75, 0x3fb8aa3b, v75
	v_cndmask_b32_e64 v88, 0, v88, s12
	s_delay_alu instid0(VALU_DEP_3) | instskip(NEXT) | instid1(VALU_DEP_3)
	v_dual_mul_f32 v73, 0x3fb8aa3b, v73 :: v_dual_mul_f32 v76, 0x3fb8aa3b, v76
	v_exp_f32_e32 v75, v75
	s_delay_alu instid0(VALU_DEP_1) | instskip(NEXT) | instid1(VALU_DEP_1)
	v_exp_f32_e32 v73, v73
	v_exp_f32_e32 v76, v76
	s_delay_alu instid0(TRANS32_DEP_3)
	v_cndmask_b32_e64 v84, 0, v75, s8
	v_fma_f32 v75, s19, v115, -v71
	s_waitcnt_depctr 0xfff
	v_cndmask_b32_e64 v89, 0, v73, s11
	v_cndmask_b32_e64 v90, 0, v76, s15
	v_add_f32_e32 v72, v72, v84
	s_delay_alu instid0(VALU_DEP_1) | instskip(NEXT) | instid1(VALU_DEP_1)
	v_dual_add_f32 v72, v72, v87 :: v_dual_mul_f32 v77, 0x3fb8aa3b, v77
	v_exp_f32_e32 v77, v77
	s_waitcnt_depctr 0xfff
	v_cndmask_b32_e64 v86, 0, v77, s10
	v_fma_f32 v77, s19, v117, -v71
	s_delay_alu instid0(VALU_DEP_2) | instskip(NEXT) | instid1(VALU_DEP_1)
	v_dual_add_f32 v72, v72, v86 :: v_dual_mul_f32 v75, 0x3fb8aa3b, v75
	v_add_f32_e32 v72, v72, v89
	s_delay_alu instid0(VALU_DEP_2) | instskip(NEXT) | instid1(VALU_DEP_1)
	v_exp_f32_e32 v75, v75
	v_add_f32_e32 v72, v72, v88
	s_waitcnt_depctr 0xfff
	v_cndmask_b32_e64 v91, 0, v75, s13
	v_mul_f32_e32 v73, 0x3fb8aa3b, v77
	v_fma_f32 v77, s19, v118, -v71
	s_delay_alu instid0(VALU_DEP_3) | instskip(NEXT) | instid1(VALU_DEP_3)
	v_add_f32_e32 v72, v72, v91
	v_exp_f32_e32 v73, v73
	s_delay_alu instid0(VALU_DEP_1) | instskip(NEXT) | instid1(VALU_DEP_1)
	v_dual_mul_f32 v75, 0x3fb8aa3b, v77 :: v_dual_add_f32 v72, v72, v90
	v_exp_f32_e32 v75, v75
	s_waitcnt_depctr 0xfff
	v_cndmask_b32_e64 v93, 0, v73, s16
	s_delay_alu instid0(VALU_DEP_1) | instskip(SKIP_1) | instid1(VALU_DEP_1)
	v_add_f32_e32 v72, v72, v93
	v_cndmask_b32_e64 v92, 0, v75, s17
	v_add_f32_e32 v72, v72, v92
	ds_bpermute_b32 v73, v74, v72
	v_cmpx_gt_u32_e32 16, v70
	s_cbranch_execz .LBB1227_12
; %bb.11:
	v_mul_u32_u24_e32 v70, 0x44, v69
	s_waitcnt lgkmcnt(0)
	v_add_f32_e32 v72, v72, v73
	s_delay_alu instid0(VALU_DEP_2) | instskip(NEXT) | instid1(VALU_DEP_1)
	v_lshl_add_u32 v70, v68, 2, v70
	v_add_nc_u32_e32 v70, 0x4000, v70
	ds_store_2addr_b32 v70, v71, v72 offset1:136
.LBB1227_12:
	s_or_b32 exec_lo, exec_lo, s2
	v_lshlrev_b32_e32 v70, 2, v68
	s_load_b32 s34, s[0:1], 0x94
	s_waitcnt lgkmcnt(0)
	s_barrier
	buffer_gl0_inv
	v_add_nc_u32_e32 v98, 0x4000, v70
	v_cmp_eq_u32_e32 vcc_lo, 1, v69
	v_cmp_eq_u32_e64 s2, 2, v69
	v_cmp_eq_u32_e64 s3, 3, v69
	;; [unrolled: 1-line block ×3, first 2 shown]
	ds_load_2addr_b32 v[70:71], v98 offset1:17
	ds_load_2addr_b32 v[72:73], v98 offset0:34 offset1:51
	ds_load_2addr_b32 v[74:75], v98 offset0:68 offset1:85
	;; [unrolled: 1-line block ×3, first 2 shown]
	v_cmp_eq_u32_e64 s5, 5, v69
	v_cmp_eq_u32_e64 s6, 7, v69
	s_waitcnt lgkmcnt(3)
	v_max3_f32 v76, v70, 0xff7fffff, v71
	s_waitcnt lgkmcnt(2)
	s_delay_alu instid0(VALU_DEP_1) | instskip(SKIP_1) | instid1(VALU_DEP_1)
	v_max3_f32 v76, v76, v72, v73
	s_waitcnt lgkmcnt(1)
	v_max3_f32 v76, v76, v74, v75
	s_waitcnt lgkmcnt(0)
	s_delay_alu instid0(VALU_DEP_1) | instskip(NEXT) | instid1(VALU_DEP_1)
	v_max3_f32 v76, v76, v94, v95
	v_sub_f32_e32 v77, v71, v76
	ds_load_2addr_b32 v[96:97], v98 offset0:136 offset1:153
	v_sub_f32_e32 v74, v74, v76
	v_sub_f32_e32 v70, v70, v76
	v_sub_f32_e32 v94, v94, v76
	v_dual_sub_f32 v72, v72, v76 :: v_dual_mul_f32 v77, 0x3fb8aa3b, v77
	s_delay_alu instid0(VALU_DEP_4) | instskip(NEXT) | instid1(VALU_DEP_4)
	v_mul_f32_e32 v103, 0x3fb8aa3b, v74
	v_mul_f32_e32 v99, 0x3fb8aa3b, v70
	ds_load_2addr_b32 v[70:71], v98 offset0:170 offset1:187
	v_dual_mul_f32 v101, 0x3fb8aa3b, v72 :: v_dual_mul_f32 v94, 0x3fb8aa3b, v94
	v_exp_f32_e32 v102, v77
	v_exp_f32_e32 v99, v99
	s_delay_alu instid0(VALU_DEP_1) | instskip(NEXT) | instid1(VALU_DEP_1)
	v_exp_f32_e32 v101, v101
	v_exp_f32_e32 v94, v94
	s_waitcnt lgkmcnt(1)
	s_delay_alu instid0(TRANS32_DEP_3)
	v_fma_f32 v77, v99, v96, 0
	v_sub_f32_e32 v100, v73, v76
	ds_load_2addr_b32 v[72:73], v98 offset0:204 offset1:221
	v_fmac_f32_e32 v77, v102, v97
	v_exp_f32_e32 v97, v103
	s_waitcnt lgkmcnt(1)
	s_delay_alu instid0(VALU_DEP_1)
	v_dual_fmac_f32 v77, v101, v70 :: v_dual_sub_f32 v96, v75, v76
	ds_load_2addr_b32 v[74:75], v98 offset0:238 offset1:255
	v_sub_f32_e32 v70, v95, v76
	s_waitcnt lgkmcnt(0)
	s_barrier
	v_mul_f32_e32 v96, 0x3fb8aa3b, v96
	buffer_gl0_inv
	v_exp_f32_e32 v95, v96
	v_mul_f32_e32 v100, 0x3fb8aa3b, v100
	s_delay_alu instid0(VALU_DEP_1) | instskip(SKIP_3) | instid1(VALU_DEP_2)
	v_exp_f32_e32 v100, v100
	s_waitcnt_depctr 0xfff
	v_dual_fmac_f32 v77, v100, v71 :: v_dual_mul_f32 v70, 0x3fb8aa3b, v70
	v_cndmask_b32_e32 v71, v99, v102, vcc_lo
	v_fmac_f32_e32 v77, v97, v72
	s_delay_alu instid0(VALU_DEP_3) | instskip(NEXT) | instid1(VALU_DEP_1)
	v_exp_f32_e32 v96, v70
	v_fmac_f32_e32 v77, v95, v73
	s_delay_alu instid0(VALU_DEP_1) | instskip(SKIP_2) | instid1(VALU_DEP_1)
	v_fmac_f32_e32 v77, v94, v74
	s_waitcnt_depctr 0xfff
	v_fmac_f32_e32 v77, v96, v75
	v_add_f32_e32 v74, 0x358637bd, v77
	s_delay_alu instid0(VALU_DEP_1) | instskip(SKIP_1) | instid1(VALU_DEP_2)
	v_div_scale_f32 v98, null, v74, v74, 1.0
	v_div_scale_f32 v99, vcc_lo, 1.0, v74, 1.0
	v_rcp_f32_e32 v103, v98
	s_waitcnt_depctr 0xfff
	v_fma_f32 v70, -v98, v103, 1.0
	s_delay_alu instid0(VALU_DEP_1) | instskip(SKIP_2) | instid1(VALU_DEP_2)
	v_fmac_f32_e32 v103, v70, v103
	v_cndmask_b32_e64 v70, v71, v101, s2
	v_cmp_eq_u32_e64 s2, 6, v69
	v_cndmask_b32_e64 v71, v70, v100, s3
	s_delay_alu instid0(VALU_DEP_4) | instskip(NEXT) | instid1(VALU_DEP_2)
	v_dual_mul_f32 v101, v99, v103 :: v_dual_lshlrev_b32 v70, 2, v66
	v_cndmask_b32_e64 v71, v71, v97, s4
	s_delay_alu instid0(VALU_DEP_2) | instskip(NEXT) | instid1(VALU_DEP_3)
	v_or_b32_e32 v72, 1, v70
	v_fma_f32 v100, -v98, v101, v99
	v_cmp_eq_u32_e64 s3, 1, v70
	v_cmp_eq_u32_e64 s4, 2, v70
	v_cndmask_b32_e64 v95, v71, v95, s5
	v_or_b32_e32 v71, 3, v70
	v_fmac_f32_e32 v101, v100, v103
	v_cmp_eq_u32_e64 s8, 1, v72
	v_cmp_eq_u32_e64 s11, 2, v72
	v_cndmask_b32_e64 v94, v95, v94, s2
	v_cmp_eq_u32_e64 s10, 1, v71
	v_fma_f32 v97, -v98, v101, v99
	v_cmp_eq_u32_e64 s15, 2, v71
	v_cmp_eq_u32_e64 s12, 3, v72
	v_cndmask_b32_e64 v94, v94, v96, s6
	v_cmp_eq_u32_e64 s17, 3, v71
	v_div_fmas_f32 v95, v97, v103, v101
	v_cmp_eq_u32_e32 vcc_lo, 3, v70
	v_cmp_eq_u32_e64 s2, 4, v70
	v_cmp_eq_u32_e64 s18, 4, v72
	;; [unrolled: 1-line block ×3, first 2 shown]
	v_div_fixup_f32 v95, v95, v74, 1.0
	v_lshlrev_b32_e32 v73, 6, v68
	v_cmp_eq_u32_e64 s5, 5, v70
	v_cmp_eq_u32_e64 s19, 5, v72
	;; [unrolled: 1-line block ×3, first 2 shown]
	v_mul_f32_e32 v102, v94, v95
	v_lshl_or_b32 v75, v69, 11, v73
	v_or_b32_e32 v69, 2, v70
	v_cmp_eq_u32_e64 s24, 6, v72
	v_cmp_eq_u32_e64 s26, 6, v71
	v_fma_mixlo_f16 v94, v102, v79, 0
	v_fma_mixlo_f16 v95, v102, v81, 0
	;; [unrolled: 1-line block ×8, first 2 shown]
	v_lshl_or_b32 v74, v66, 4, v75
	v_fma_mixhi_f16 v94, v102, v78, 0
	v_fma_mixhi_f16 v95, v102, v80, 0
	;; [unrolled: 1-line block ×8, first 2 shown]
	ds_store_b128 v74, v[94:97]
	ds_store_b128 v74, v[98:101] offset:1024
	s_waitcnt lgkmcnt(0)
	s_barrier
	buffer_gl0_inv
	ds_load_b128 v[78:81], v75
	ds_load_b128 v[82:85], v75 offset:16
	ds_load_b128 v[86:89], v75 offset:1024
	;; [unrolled: 1-line block ×3, first 2 shown]
	v_cmp_eq_u32_e64 s9, 1, v69
	v_cmp_eq_u32_e64 s13, 2, v69
	;; [unrolled: 1-line block ×11, first 2 shown]
	s_waitcnt lgkmcnt(3)
	v_lshrrev_b32_e32 v94, 16, v78
	s_waitcnt lgkmcnt(2)
	v_lshrrev_b32_e32 v98, 16, v82
	;; [unrolled: 2-line block ×4, first 2 shown]
	v_lshrrev_b32_e32 v95, 16, v79
	v_cndmask_b32_e64 v110, v78, v94, s3
	v_cndmask_b32_e64 v111, v82, v98, s3
	;; [unrolled: 1-line block ×8, first 2 shown]
	v_lshrrev_b32_e32 v99, 16, v83
	v_cndmask_b32_e64 v94, v86, v102, s3
	v_cndmask_b32_e64 v98, v90, v106, s3
	v_cndmask_b32_e64 v116, v86, v102, s8
	v_cndmask_b32_e64 v117, v90, v106, s8
	v_cndmask_b32_e64 v118, v86, v102, s9
	v_cndmask_b32_e64 v119, v90, v106, s9
	v_cndmask_b32_e64 v86, v86, v102, s10
	v_cndmask_b32_e64 v90, v90, v106, s10
	v_cndmask_b32_e64 v102, v110, v79, s4
	v_cndmask_b32_e64 v106, v111, v83, s4
	v_cndmask_b32_e64 v110, v112, v79, s11
	v_cndmask_b32_e64 v111, v113, v83, s11
	v_cndmask_b32_e64 v112, v114, v79, s13
	v_cndmask_b32_e64 v78, v78, v79, s15
	v_cndmask_b32_e64 v79, v82, v83, s15
	v_lshrrev_b32_e32 v103, 16, v87
	v_lshrrev_b32_e32 v107, 16, v91
	v_cndmask_b32_e64 v113, v115, v83, s13
	v_cndmask_b32_e64 v82, v94, v87, s4
	;; [unrolled: 1-line block ×7, first 2 shown]
	v_cndmask_b32_e32 v90, v102, v95, vcc_lo
	v_cndmask_b32_e32 v102, v106, v99, vcc_lo
	v_cndmask_b32_e64 v106, v110, v95, s12
	v_cndmask_b32_e64 v110, v111, v99, s12
	;; [unrolled: 1-line block ×4, first 2 shown]
	v_lshrrev_b32_e32 v96, 16, v80
	v_lshrrev_b32_e32 v100, 16, v84
	v_cndmask_b32_e64 v111, v112, v95, s16
	v_cndmask_b32_e64 v112, v113, v99, s16
	v_cndmask_b32_e32 v82, v82, v103, vcc_lo
	v_cndmask_b32_e32 v83, v83, v107, vcc_lo
	v_cndmask_b32_e64 v94, v94, v103, s12
	v_cndmask_b32_e64 v90, v90, v80, s2
	;; [unrolled: 1-line block ×7, first 2 shown]
	v_lshrrev_b32_e32 v104, 16, v88
	v_cndmask_b32_e64 v106, v111, v80, s20
	v_cndmask_b32_e64 v110, v112, v84, s20
	;; [unrolled: 1-line block ×11, first 2 shown]
	v_lshrrev_b32_e32 v97, 16, v81
	v_lshrrev_b32_e32 v101, 16, v85
	v_cndmask_b32_e64 v99, v106, v96, s22
	v_cndmask_b32_e64 v102, v110, v100, s22
	;; [unrolled: 1-line block ×7, first 2 shown]
	v_lshrrev_b32_e32 v105, 16, v89
	v_cndmask_b32_e64 v80, v80, v104, s5
	v_cndmask_b32_e64 v84, v84, v81, s6
	;; [unrolled: 1-line block ×16, first 2 shown]
	v_perm_b32 v81, v79, v78, 0x5040100
	v_perm_b32 v79, v95, v85, 0x5040100
	v_cndmask_b32_e64 v78, v119, v91, s13
	v_cndmask_b32_e64 v85, v117, v91, s11
	v_cndmask_b32_e64 v96, v80, v105, s7
	v_perm_b32 v80, v94, v90, 0x5040100
	v_cndmask_b32_e64 v90, v98, v103, s16
	v_cndmask_b32_e64 v86, v86, v103, s17
	;; [unrolled: 1-line block ×5, first 2 shown]
	v_lshrrev_b32_e32 v108, 16, v92
	v_cndmask_b32_e64 v90, v90, v88, s20
	v_cndmask_b32_e64 v86, v86, v88, s21
	;; [unrolled: 1-line block ×11, first 2 shown]
	v_lshrrev_b32_e32 v109, 16, v93
	v_cndmask_b32_e64 v82, v82, v93, s6
	v_cndmask_b32_e64 v88, v88, v89, s25
	;; [unrolled: 1-line block ×12, first 2 shown]
	v_perm_b32 v78, v84, v83, 0x5040100
	v_perm_b32 v85, v87, v86, 0x5040100
	;; [unrolled: 1-line block ×5, first 2 shown]
	s_mul_i32 s7, s33, 14
	s_mov_b32 s2, exec_lo
	ds_store_b128 v74, v[78:81]
	ds_store_b128 v74, v[82:85] offset:1024
	v_cmpx_gt_u32_e32 14, v0
	s_cbranch_execz .LBB1227_14
; %bb.13:
	s_mul_i32 s3, s7, s30
	s_load_b128 s[8:11], s[0:1], 0x58
	v_add3_u32 v68, s3, s31, v68
	s_delay_alu instid0(VALU_DEP_1) | instskip(NEXT) | instid1(VALU_DEP_1)
	v_mad_u64_u32 v[78:79], null, v68, s34, s[14:15]
	v_ashrrev_i32_e32 v79, 31, v78
	s_delay_alu instid0(VALU_DEP_1) | instskip(SKIP_1) | instid1(VALU_DEP_1)
	v_lshlrev_b64 v[78:79], 2, v[78:79]
	s_waitcnt lgkmcnt(0)
	v_add_co_u32 v80, vcc_lo, s10, v78
	s_delay_alu instid0(VALU_DEP_2)
	v_add_co_ci_u32_e32 v81, vcc_lo, s11, v79, vcc_lo
	v_add_co_u32 v78, vcc_lo, s8, v78
	v_add_co_ci_u32_e32 v79, vcc_lo, s9, v79, vcc_lo
	global_store_b32 v[80:81], v76, off
	global_store_b32 v[78:79], v77, off
.LBB1227_14:
	s_or_b32 exec_lo, exec_lo, s2
	s_waitcnt lgkmcnt(0)
	s_waitcnt_vscnt null, 0x0
	s_barrier
	buffer_gl0_inv
	ds_load_b128 v[84:87], v73
	ds_load_b128 v[88:91], v73 offset:16
	ds_load_b128 v[96:99], v73 offset:2064
	;; [unrolled: 1-line block ×5, first 2 shown]
	v_cmp_eq_u32_e32 vcc_lo, 1, v70
	v_mov_b32_e32 v76, 0
	ds_load_b128 v[112:115], v73 offset:6160
	ds_load_b128 v[108:111], v73 offset:6144
	;; [unrolled: 1-line block ×4, first 2 shown]
	v_cmp_eq_u32_e64 s3, 1, v69
	v_cmp_eq_u32_e64 s2, 1, v72
	;; [unrolled: 1-line block ×3, first 2 shown]
	v_mov_b32_e32 v77, v76
	v_mov_b32_e32 v78, v76
	;; [unrolled: 1-line block ×7, first 2 shown]
	v_cmp_eq_u32_e64 s5, 3, v72
	v_cmp_eq_u32_e64 s6, 7, v72
	s_waitcnt lgkmcnt(8)
	s_delay_alu instid0(VALU_DEP_3)
	v_wmma_f32_16x16x16_f16 v[76:83], v[49:56], v[84:91], v[76:83]
	ds_load_b128 v[53:56], v73 offset:10256
	ds_load_b128 v[49:52], v73 offset:10240
	s_waitcnt lgkmcnt(8)
	v_wmma_f32_16x16x16_f16 v[76:83], v[41:48], v[92:99], v[76:83]
	ds_load_b128 v[45:48], v73 offset:12304
	ds_load_b128 v[41:44], v73 offset:12288
	s_waitcnt lgkmcnt(8)
	;; [unrolled: 4-line block ×3, first 2 shown]
	s_barrier
	buffer_gl0_inv
	v_wmma_f32_16x16x16_f16 v[76:83], v[1:8], v[108:115], v[76:83]
	s_delay_alu instid0(VALU_DEP_1) | instskip(NEXT) | instid1(VALU_DEP_1)
	v_wmma_f32_16x16x16_f16 v[76:83], v[9:16], v[116:123], v[76:83]
	v_wmma_f32_16x16x16_f16 v[76:83], v[17:24], v[49:56], v[76:83]
	s_delay_alu instid0(VALU_DEP_1) | instskip(NEXT) | instid1(VALU_DEP_1)
	v_wmma_f32_16x16x16_f16 v[76:83], v[25:32], v[41:48], v[76:83]
	v_wmma_f32_16x16x16_f16 v[76:83], v[57:64], v[33:40], v[76:83]
	s_delay_alu instid0(VALU_DEP_1) | instskip(NEXT) | instid1(VALU_DEP_2)
	v_cvt_f16_f32_e32 v1, v76
	v_cvt_f16_f32_e32 v2, v77
	s_delay_alu instid0(VALU_DEP_3) | instskip(NEXT) | instid1(VALU_DEP_4)
	v_cvt_f16_f32_e32 v3, v78
	v_cvt_f16_f32_e32 v4, v79
	;; [unrolled: 1-line block ×6, first 2 shown]
	v_pack_b32_f16 v1, v1, v2
	v_pack_b32_f16 v2, v3, v4
	;; [unrolled: 1-line block ×3, first 2 shown]
	s_delay_alu instid0(VALU_DEP_4)
	v_pack_b32_f16 v4, v7, v8
	ds_store_b128 v74, v[1:4]
	s_waitcnt lgkmcnt(0)
	s_barrier
	buffer_gl0_inv
	ds_load_b128 v[1:4], v75
	ds_load_b128 v[5:8], v75 offset:16
	s_waitcnt lgkmcnt(1)
	v_lshrrev_b32_e32 v9, 16, v1
	s_waitcnt lgkmcnt(0)
	v_lshrrev_b32_e32 v13, 16, v5
	v_lshrrev_b32_e32 v10, 16, v2
	;; [unrolled: 1-line block ×4, first 2 shown]
	v_cndmask_b32_e32 v17, v1, v9, vcc_lo
	v_cndmask_b32_e32 v18, v5, v13, vcc_lo
	v_cndmask_b32_e64 v21, v1, v9, s3
	v_cmp_eq_u32_e32 vcc_lo, 1, v71
	v_cndmask_b32_e64 v22, v5, v13, s3
	v_cmp_eq_u32_e64 s3, 2, v70
	v_cndmask_b32_e64 v19, v1, v9, s2
	v_cndmask_b32_e64 v20, v5, v13, s2
	v_cndmask_b32_e32 v1, v1, v9, vcc_lo
	v_cmp_eq_u32_e64 s2, 2, v71
	v_cndmask_b32_e32 v5, v5, v13, vcc_lo
	v_cndmask_b32_e64 v9, v17, v2, s3
	v_cmp_eq_u32_e32 vcc_lo, 3, v70
	v_cndmask_b32_e64 v13, v18, v6, s3
	v_cmp_eq_u32_e64 s3, 2, v69
	v_cndmask_b32_e64 v17, v19, v2, s4
	v_cndmask_b32_e64 v18, v20, v6, s4
	v_cmp_eq_u32_e64 s4, 3, v69
	v_cndmask_b32_e64 v1, v1, v2, s2
	v_cndmask_b32_e64 v19, v21, v2, s3
	v_cndmask_b32_e64 v20, v22, v6, s3
	v_cndmask_b32_e64 v2, v5, v6, s2
	v_cndmask_b32_e32 v5, v9, v10, vcc_lo
	v_cndmask_b32_e32 v6, v13, v14, vcc_lo
	v_cmp_eq_u32_e32 vcc_lo, 3, v71
	v_cndmask_b32_e64 v9, v17, v10, s5
	v_cndmask_b32_e64 v13, v18, v14, s5
	;; [unrolled: 1-line block ×3, first 2 shown]
	v_cmp_eq_u32_e64 s3, 4, v70
	v_cndmask_b32_e32 v1, v1, v10, vcc_lo
	v_cndmask_b32_e32 v2, v2, v14, vcc_lo
	v_cmp_eq_u32_e32 vcc_lo, 4, v72
	v_lshrrev_b32_e32 v15, 16, v7
	v_lshrrev_b32_e32 v16, 16, v8
	v_cndmask_b32_e64 v17, v19, v10, s4
	v_cmp_eq_u32_e64 s2, 4, v71
	v_cndmask_b32_e64 v5, v5, v3, s3
	v_cndmask_b32_e64 v6, v6, v7, s3
	v_cndmask_b32_e32 v9, v9, v3, vcc_lo
	v_cmp_eq_u32_e64 s3, 5, v72
	v_cndmask_b32_e32 v10, v13, v7, vcc_lo
	v_cmp_eq_u32_e32 vcc_lo, 4, v69
	v_cmp_eq_u32_e64 s4, 5, v70
	v_cndmask_b32_e64 v2, v2, v7, s2
	v_cndmask_b32_e64 v9, v9, v11, s3
	v_cndmask_b32_e64 v10, v10, v15, s3
	v_cndmask_b32_e32 v13, v17, v3, vcc_lo
	v_cmp_eq_u32_e64 s3, 5, v69
	v_cndmask_b32_e32 v14, v18, v7, vcc_lo
	v_cndmask_b32_e64 v1, v1, v3, s2
	v_cmp_eq_u32_e32 vcc_lo, 5, v71
	v_lshrrev_b32_e32 v12, 16, v4
	v_cndmask_b32_e64 v13, v13, v11, s3
	v_cndmask_b32_e64 v3, v14, v15, s3
	v_cmp_eq_u32_e64 s3, 6, v71
	v_cndmask_b32_e32 v1, v1, v11, vcc_lo
	v_cndmask_b32_e64 v5, v5, v11, s4
	v_cmp_eq_u32_e64 s5, 6, v70
	v_cndmask_b32_e64 v6, v6, v15, s4
	v_cmp_eq_u32_e64 s4, 6, v72
	v_cmp_eq_u32_e64 s2, 6, v69
	v_cndmask_b32_e64 v1, v1, v4, s3
	v_cndmask_b32_e32 v2, v2, v15, vcc_lo
	v_cmp_eq_u32_e32 vcc_lo, 7, v71
	v_cndmask_b32_e64 v5, v5, v4, s5
	v_cndmask_b32_e64 v9, v9, v4, s4
	;; [unrolled: 1-line block ×3, first 2 shown]
	v_cmp_eq_u32_e64 s5, 7, v70
	v_cndmask_b32_e32 v1, v1, v12, vcc_lo
	v_cndmask_b32_e64 v7, v13, v4, s2
	v_cndmask_b32_e64 v3, v3, v8, s2
	;; [unrolled: 1-line block ×3, first 2 shown]
	v_cmp_eq_u32_e64 s2, 7, v69
	v_cndmask_b32_e64 v4, v10, v8, s4
	v_cndmask_b32_e64 v5, v5, v12, s5
	;; [unrolled: 1-line block ×3, first 2 shown]
	v_cndmask_b32_e32 v2, v2, v16, vcc_lo
	v_cndmask_b32_e64 v7, v7, v12, s2
	v_cndmask_b32_e64 v3, v3, v16, s2
	v_cndmask_b32_e64 v8, v4, v16, s6
	v_cndmask_b32_e64 v6, v6, v16, s5
	v_perm_b32 v4, v2, v1, 0x5040100
	s_mov_b32 s2, exec_lo
	v_perm_b32 v3, v3, v7, 0x5040100
	v_perm_b32 v2, v8, v9, 0x5040100
	;; [unrolled: 1-line block ×3, first 2 shown]
	ds_store_b128 v74, v[1:4]
	s_waitcnt lgkmcnt(0)
	s_barrier
	buffer_gl0_inv
	v_cmpx_gt_u32_e32 32, v0
	s_cbranch_execz .LBB1227_2
; %bb.15:
	s_load_b64 s[0:1], s[0:1], 0x68
	v_lshlrev_b32_e32 v0, 10, v0
	s_lshl_b32 s4, s34, 7
	v_or_b32_e32 v3, s31, v66
	s_mul_i32 s2, s4, s30
	v_lshlrev_b32_e32 v1, 4, v67
	v_lshlrev_b32_e32 v2, 6, v66
	v_and_b32_e32 v0, 0x3800, v0
	s_mul_i32 s2, s2, s7
	v_mul_lo_u32 v8, v3, s4
	s_ashr_i32 s3, s2, 31
	s_delay_alu instid0(SALU_CYCLE_1)
	s_lshl_b64 s[2:3], s[2:3], 1
	v_or3_b32 v16, v0, v1, v2
	ds_load_b128 v[0:3], v16
	ds_load_b128 v[4:7], v16 offset:128
	v_ashrrev_i32_e32 v9, 31, v8
	s_waitcnt lgkmcnt(0)
	s_add_u32 s2, s0, s2
	s_addc_u32 s3, s1, s3
	s_lshl_b32 s0, s14, 7
	s_delay_alu instid0(SALU_CYCLE_1) | instskip(SKIP_2) | instid1(SALU_CYCLE_1)
	s_ashr_i32 s1, s0, 31
	v_lshlrev_b64 v[9:10], 1, v[8:9]
	s_lshl_b64 s[0:1], s[0:1], 1
	s_add_u32 s0, s2, s0
	s_addc_u32 s1, s3, s1
	s_lshl_b32 s2, s34, 8
	v_add_co_u32 v30, s0, s0, v65
	v_add_nc_u32_e32 v11, s2, v8
	v_add_co_ci_u32_e64 v31, null, s1, 0, s0
	s_delay_alu instid0(VALU_DEP_3) | instskip(NEXT) | instid1(VALU_DEP_3)
	v_add_co_u32 v9, vcc_lo, v30, v9
	v_add_nc_u32_e32 v8, s2, v11
	s_delay_alu instid0(VALU_DEP_3) | instskip(SKIP_1) | instid1(VALU_DEP_3)
	v_add_co_ci_u32_e32 v10, vcc_lo, v31, v10, vcc_lo
	v_ashrrev_i32_e32 v12, 31, v11
	v_add_nc_u32_e32 v13, s2, v8
	global_store_b128 v[9:10], v[0:3], off
	v_ashrrev_i32_e32 v9, 31, v8
	v_lshlrev_b64 v[11:12], 1, v[11:12]
	v_ashrrev_i32_e32 v14, 31, v13
	v_add_nc_u32_e32 v10, s2, v13
	s_delay_alu instid0(VALU_DEP_4) | instskip(NEXT) | instid1(VALU_DEP_4)
	v_lshlrev_b64 v[2:3], 1, v[8:9]
	v_add_co_u32 v0, vcc_lo, v30, v11
	s_delay_alu instid0(VALU_DEP_4)
	v_lshlrev_b64 v[8:9], 1, v[13:14]
	v_add_co_ci_u32_e32 v1, vcc_lo, v31, v12, vcc_lo
	v_ashrrev_i32_e32 v11, 31, v10
	v_add_co_u32 v22, vcc_lo, v30, v2
	v_add_nc_u32_e32 v20, s2, v10
	v_add_co_ci_u32_e32 v23, vcc_lo, v31, v3, vcc_lo
	v_add_co_u32 v24, vcc_lo, v30, v8
	global_store_b128 v[0:1], v[4:7], off
	v_add_co_ci_u32_e32 v25, vcc_lo, v31, v9, vcc_lo
	ds_load_b128 v[0:3], v16 offset:256
	ds_load_b128 v[4:7], v16 offset:384
	v_lshlrev_b64 v[26:27], 1, v[10:11]
	ds_load_b128 v[8:11], v16 offset:512
	ds_load_b128 v[12:15], v16 offset:640
	;; [unrolled: 1-line block ×3, first 2 shown]
	v_add_nc_u32_e32 v28, s2, v20
	v_ashrrev_i32_e32 v21, 31, v20
	v_add_co_u32 v26, vcc_lo, v30, v26
	s_delay_alu instid0(VALU_DEP_3) | instskip(NEXT) | instid1(VALU_DEP_3)
	v_ashrrev_i32_e32 v29, 31, v28
	v_lshlrev_b64 v[20:21], 1, v[20:21]
	v_add_co_ci_u32_e32 v27, vcc_lo, v31, v27, vcc_lo
	s_delay_alu instid0(VALU_DEP_3) | instskip(NEXT) | instid1(VALU_DEP_3)
	v_lshlrev_b64 v[28:29], 1, v[28:29]
	v_add_co_u32 v20, vcc_lo, v30, v20
	s_delay_alu instid0(VALU_DEP_4) | instskip(NEXT) | instid1(VALU_DEP_3)
	v_add_co_ci_u32_e32 v21, vcc_lo, v31, v21, vcc_lo
	v_add_co_u32 v28, vcc_lo, v30, v28
	s_delay_alu instid0(VALU_DEP_4)
	v_add_co_ci_u32_e32 v29, vcc_lo, v31, v29, vcc_lo
	s_waitcnt lgkmcnt(4)
	global_store_b128 v[22:23], v[0:3], off
	s_waitcnt lgkmcnt(3)
	global_store_b128 v[24:25], v[4:7], off
	;; [unrolled: 2-line block ×5, first 2 shown]
	s_nop 0
	s_sendmsg sendmsg(MSG_DEALLOC_VGPRS)
	s_endpgm
	.section	.rodata,"a",@progbits
	.p2align	6, 0x0
	.amdhsa_kernel _Z39paged_attention_ll4mi_QKV_mfma16_kernelIDF16_hLN4vllm18Fp8KVCacheDataTypeE1EhLi16ELi128ELi256ELb1ELi14EL8MFMAType0EEvPKT_PKT0_S8_ifPKiSA_SA_iPKfiiiPfSD_PS3_PT2_iSC_SC_
		.amdhsa_group_segment_fixed_size 17472
		.amdhsa_private_segment_fixed_size 0
		.amdhsa_kernarg_size 400
		.amdhsa_user_sgpr_count 13
		.amdhsa_user_sgpr_dispatch_ptr 0
		.amdhsa_user_sgpr_queue_ptr 0
		.amdhsa_user_sgpr_kernarg_segment_ptr 1
		.amdhsa_user_sgpr_dispatch_id 0
		.amdhsa_user_sgpr_private_segment_size 0
		.amdhsa_wavefront_size32 1
		.amdhsa_uses_dynamic_stack 0
		.amdhsa_enable_private_segment 0
		.amdhsa_system_sgpr_workgroup_id_x 1
		.amdhsa_system_sgpr_workgroup_id_y 1
		.amdhsa_system_sgpr_workgroup_id_z 1
		.amdhsa_system_sgpr_workgroup_info 0
		.amdhsa_system_vgpr_workitem_id 0
		.amdhsa_next_free_vgpr 150
		.amdhsa_next_free_sgpr 36
		.amdhsa_reserve_vcc 1
		.amdhsa_float_round_mode_32 0
		.amdhsa_float_round_mode_16_64 0
		.amdhsa_float_denorm_mode_32 3
		.amdhsa_float_denorm_mode_16_64 3
		.amdhsa_dx10_clamp 1
		.amdhsa_ieee_mode 1
		.amdhsa_fp16_overflow 0
		.amdhsa_workgroup_processor_mode 1
		.amdhsa_memory_ordered 1
		.amdhsa_forward_progress 0
		.amdhsa_shared_vgpr_count 0
		.amdhsa_exception_fp_ieee_invalid_op 0
		.amdhsa_exception_fp_denorm_src 0
		.amdhsa_exception_fp_ieee_div_zero 0
		.amdhsa_exception_fp_ieee_overflow 0
		.amdhsa_exception_fp_ieee_underflow 0
		.amdhsa_exception_fp_ieee_inexact 0
		.amdhsa_exception_int_div_zero 0
	.end_amdhsa_kernel
	.section	.text._Z39paged_attention_ll4mi_QKV_mfma16_kernelIDF16_hLN4vllm18Fp8KVCacheDataTypeE1EhLi16ELi128ELi256ELb1ELi14EL8MFMAType0EEvPKT_PKT0_S8_ifPKiSA_SA_iPKfiiiPfSD_PS3_PT2_iSC_SC_,"axG",@progbits,_Z39paged_attention_ll4mi_QKV_mfma16_kernelIDF16_hLN4vllm18Fp8KVCacheDataTypeE1EhLi16ELi128ELi256ELb1ELi14EL8MFMAType0EEvPKT_PKT0_S8_ifPKiSA_SA_iPKfiiiPfSD_PS3_PT2_iSC_SC_,comdat
.Lfunc_end1227:
	.size	_Z39paged_attention_ll4mi_QKV_mfma16_kernelIDF16_hLN4vllm18Fp8KVCacheDataTypeE1EhLi16ELi128ELi256ELb1ELi14EL8MFMAType0EEvPKT_PKT0_S8_ifPKiSA_SA_iPKfiiiPfSD_PS3_PT2_iSC_SC_, .Lfunc_end1227-_Z39paged_attention_ll4mi_QKV_mfma16_kernelIDF16_hLN4vllm18Fp8KVCacheDataTypeE1EhLi16ELi128ELi256ELb1ELi14EL8MFMAType0EEvPKT_PKT0_S8_ifPKiSA_SA_iPKfiiiPfSD_PS3_PT2_iSC_SC_
                                        ; -- End function
	.section	.AMDGPU.csdata,"",@progbits
; Kernel info:
; codeLenInByte = 6804
; NumSgprs: 38
; NumVgprs: 150
; ScratchSize: 0
; MemoryBound: 0
; FloatMode: 240
; IeeeMode: 1
; LDSByteSize: 17472 bytes/workgroup (compile time only)
; SGPRBlocks: 4
; VGPRBlocks: 18
; NumSGPRsForWavesPerEU: 38
; NumVGPRsForWavesPerEU: 150
; Occupancy: 9
; WaveLimiterHint : 1
; COMPUTE_PGM_RSRC2:SCRATCH_EN: 0
; COMPUTE_PGM_RSRC2:USER_SGPR: 13
; COMPUTE_PGM_RSRC2:TRAP_HANDLER: 0
; COMPUTE_PGM_RSRC2:TGID_X_EN: 1
; COMPUTE_PGM_RSRC2:TGID_Y_EN: 1
; COMPUTE_PGM_RSRC2:TGID_Z_EN: 1
; COMPUTE_PGM_RSRC2:TIDIG_COMP_CNT: 0
	.section	.text._Z39paged_attention_ll4mi_QKV_mfma16_kernelIDF16_hLN4vllm18Fp8KVCacheDataTypeE1EhLi16ELi128ELi256ELb1ELi15EL8MFMAType0EEvPKT_PKT0_S8_ifPKiSA_SA_iPKfiiiPfSD_PS3_PT2_iSC_SC_,"axG",@progbits,_Z39paged_attention_ll4mi_QKV_mfma16_kernelIDF16_hLN4vllm18Fp8KVCacheDataTypeE1EhLi16ELi128ELi256ELb1ELi15EL8MFMAType0EEvPKT_PKT0_S8_ifPKiSA_SA_iPKfiiiPfSD_PS3_PT2_iSC_SC_,comdat
	.protected	_Z39paged_attention_ll4mi_QKV_mfma16_kernelIDF16_hLN4vllm18Fp8KVCacheDataTypeE1EhLi16ELi128ELi256ELb1ELi15EL8MFMAType0EEvPKT_PKT0_S8_ifPKiSA_SA_iPKfiiiPfSD_PS3_PT2_iSC_SC_ ; -- Begin function _Z39paged_attention_ll4mi_QKV_mfma16_kernelIDF16_hLN4vllm18Fp8KVCacheDataTypeE1EhLi16ELi128ELi256ELb1ELi15EL8MFMAType0EEvPKT_PKT0_S8_ifPKiSA_SA_iPKfiiiPfSD_PS3_PT2_iSC_SC_
	.globl	_Z39paged_attention_ll4mi_QKV_mfma16_kernelIDF16_hLN4vllm18Fp8KVCacheDataTypeE1EhLi16ELi128ELi256ELb1ELi15EL8MFMAType0EEvPKT_PKT0_S8_ifPKiSA_SA_iPKfiiiPfSD_PS3_PT2_iSC_SC_
	.p2align	8
	.type	_Z39paged_attention_ll4mi_QKV_mfma16_kernelIDF16_hLN4vllm18Fp8KVCacheDataTypeE1EhLi16ELi128ELi256ELb1ELi15EL8MFMAType0EEvPKT_PKT0_S8_ifPKiSA_SA_iPKfiiiPfSD_PS3_PT2_iSC_SC_,@function
_Z39paged_attention_ll4mi_QKV_mfma16_kernelIDF16_hLN4vllm18Fp8KVCacheDataTypeE1EhLi16ELi128ELi256ELb1ELi15EL8MFMAType0EEvPKT_PKT0_S8_ifPKiSA_SA_iPKfiiiPfSD_PS3_PT2_iSC_SC_: ; @_Z39paged_attention_ll4mi_QKV_mfma16_kernelIDF16_hLN4vllm18Fp8KVCacheDataTypeE1EhLi16ELi128ELi256ELb1ELi15EL8MFMAType0EEvPKT_PKT0_S8_ifPKiSA_SA_iPKfiiiPfSD_PS3_PT2_iSC_SC_
; %bb.0:
	s_load_b64 s[4:5], s[0:1], 0x30
	s_mov_b32 s34, s13
	s_waitcnt lgkmcnt(0)
	s_cmp_lg_u64 s[4:5], 0
	s_cselect_b32 s8, -1, 0
	s_ashr_i32 s35, s13, 31
	s_cmp_eq_u64 s[4:5], 0
	s_cbranch_scc1 .LBB1228_3
; %bb.1:
	s_lshl_b64 s[2:3], s[34:35], 2
	s_delay_alu instid0(SALU_CYCLE_1) | instskip(SKIP_4) | instid1(SALU_CYCLE_1)
	s_add_u32 s2, s4, s2
	s_addc_u32 s3, s5, s3
	s_load_b64 s[2:3], s[2:3], 0x0
	s_waitcnt lgkmcnt(0)
	s_sub_i32 s2, s3, s2
	s_cmp_eq_u32 s2, 1
	s_cselect_b32 s2, -1, 0
	s_delay_alu instid0(SALU_CYCLE_1)
	s_and_not1_b32 vcc_lo, exec_lo, s2
	s_cbranch_vccz .LBB1228_4
.LBB1228_2:
	s_nop 0
	s_sendmsg sendmsg(MSG_DEALLOC_VGPRS)
	s_endpgm
.LBB1228_3:
.LBB1228_4:
	s_load_b64 s[2:3], s[0:1], 0x28
	s_lshl_b64 s[6:7], s[34:35], 2
	s_waitcnt lgkmcnt(0)
	s_add_u32 s2, s2, s6
	s_addc_u32 s3, s3, s7
	s_lshl_b32 s12, s14, 8
	s_load_b32 s24, s[2:3], 0x0
	s_waitcnt lgkmcnt(0)
	s_cmp_ge_i32 s12, s24
	s_cbranch_scc1 .LBB1228_2
; %bb.5:
	s_clause 0x1
	s_load_b128 s[20:23], s[0:1], 0x8
	s_load_b64 s[2:3], s[0:1], 0x20
	s_and_not1_b32 vcc_lo, exec_lo, s8
	s_cbranch_vccnz .LBB1228_7
; %bb.6:
	s_add_u32 s4, s4, s6
	s_addc_u32 s5, s5, s7
	s_load_b32 s5, s[4:5], 0x0
	s_branch .LBB1228_8
.LBB1228_7:
	s_mov_b32 s5, s34
.LBB1228_8:
	s_load_b128 s[16:19], s[0:1], 0x48
	v_and_b32_e32 v68, 15, v0
	v_lshrrev_b32_e32 v69, 5, v0
	v_bfe_u32 v66, v0, 4, 1
	v_and_b32_e32 v70, 31, v0
	v_and_b32_e32 v67, 1, v0
	v_lshlrev_b32_e32 v2, 3, v68
	s_mul_i32 s31, s15, 15
	v_lshl_or_b32 v1, v69, 1, v66
	s_mov_b32 s4, exec_lo
	s_delay_alu instid0(VALU_DEP_2) | instskip(NEXT) | instid1(VALU_DEP_2)
	v_lshlrev_b32_e32 v65, 1, v2
	v_cmpx_gt_u32_e32 15, v1
	s_cbranch_execz .LBB1228_10
; %bb.9:
	s_load_b64 s[6:7], s[0:1], 0x0
	v_add_lshl_u32 v2, v1, s31, 7
	s_waitcnt lgkmcnt(0)
	s_mul_hi_i32 s9, s5, s16
	s_mul_i32 s8, s5, s16
	v_lshlrev_b32_e32 v6, 10, v68
	s_lshl_b64 s[8:9], s[8:9], 1
	v_ashrrev_i32_e32 v3, 31, v2
	v_lshlrev_b32_e32 v1, 6, v1
	v_lshlrev_b32_e32 v7, 10, v67
	v_and_b32_e32 v6, 0x3800, v6
	s_delay_alu instid0(VALU_DEP_4) | instskip(NEXT) | instid1(VALU_DEP_2)
	v_lshlrev_b64 v[2:3], 1, v[2:3]
	v_or3_b32 v1, v6, v7, v1
	s_add_u32 s5, s6, s8
	s_addc_u32 s6, s7, s9
	s_delay_alu instid0(VALU_DEP_2) | instskip(NEXT) | instid1(VALU_DEP_3)
	v_add_co_u32 v2, vcc_lo, s5, v2
	v_add_co_ci_u32_e32 v3, vcc_lo, s6, v3, vcc_lo
	s_delay_alu instid0(VALU_DEP_2) | instskip(NEXT) | instid1(VALU_DEP_2)
	v_add_co_u32 v2, vcc_lo, v2, v65
	v_add_co_ci_u32_e32 v3, vcc_lo, 0, v3, vcc_lo
	global_load_b128 v[2:5], v[2:3], off
	s_waitcnt vmcnt(0)
	ds_store_b128 v1, v[2:5]
.LBB1228_10:
	s_or_b32 exec_lo, exec_lo, s4
	v_and_b32_e32 v1, 0xef, v0
	s_waitcnt lgkmcnt(0)
	s_add_i32 s5, s24, 15
	s_clause 0x1
	s_load_b32 s4, s[0:1], 0x38
	s_load_b32 s33, s[0:1], 0x98
	s_ashr_i32 s6, s5, 31
	v_add_nc_u32_e32 v1, s12, v1
	s_lshr_b32 s6, s6, 28
	s_load_b32 s19, s[0:1], 0x1c
	s_add_i32 s5, s5, s6
	s_waitcnt lgkmcnt(0)
	v_ashrrev_i32_e32 v2, 31, v1
	v_or_b32_e32 v3, 16, v1
	s_ashr_i32 s13, s5, 4
	v_cmp_gt_i32_e32 vcc_lo, s24, v1
	s_add_i32 s13, s13, -1
	v_lshrrev_b32_e32 v2, 28, v2
	s_barrier
	buffer_gl0_inv
	s_mul_i32 s15, s15, s18
	v_add_nc_u32_e32 v4, v1, v2
	s_mul_i32 s4, s34, s4
	s_delay_alu instid0(SALU_CYCLE_1) | instskip(NEXT) | instid1(VALU_DEP_1)
	s_ashr_i32 s5, s4, 31
	v_ashrrev_i32_e32 v4, 4, v4
	v_add_nc_u32_e32 v2, v3, v2
	s_lshl_b64 s[4:5], s[4:5], 2
	s_delay_alu instid0(SALU_CYCLE_1) | instskip(NEXT) | instid1(VALU_DEP_2)
	s_add_u32 s16, s2, s4
	v_cndmask_b32_e32 v1, s13, v4, vcc_lo
	s_delay_alu instid0(VALU_DEP_2)
	v_ashrrev_i32_e32 v2, 4, v2
	v_cmp_gt_i32_e32 vcc_lo, s24, v3
	s_addc_u32 s25, s3, s5
	s_ashr_i32 s18, s15, 31
	s_add_u32 s26, s20, s15
	s_addc_u32 s27, s21, s18
	v_cndmask_b32_e32 v3, s13, v2, vcc_lo
	v_ashrrev_i32_e32 v2, 31, v1
	s_lshl_b32 s2, s14, 4
	s_delay_alu instid0(SALU_CYCLE_1) | instskip(NEXT) | instid1(VALU_DEP_2)
	s_ashr_i32 s3, s2, 31
	v_ashrrev_i32_e32 v4, 31, v3
	s_delay_alu instid0(VALU_DEP_2) | instskip(SKIP_1) | instid1(SALU_CYCLE_1)
	v_lshlrev_b64 v[1:2], 2, v[1:2]
	s_lshl_b64 s[2:3], s[2:3], 2
	s_add_u32 s2, s16, s2
	s_delay_alu instid0(VALU_DEP_2) | instskip(SKIP_1) | instid1(VALU_DEP_2)
	v_lshlrev_b64 v[3:4], 2, v[3:4]
	s_addc_u32 s3, s25, s3
	v_add_co_u32 v1, vcc_lo, s16, v1
	v_add_co_ci_u32_e32 v2, vcc_lo, s25, v2, vcc_lo
	s_delay_alu instid0(VALU_DEP_3) | instskip(NEXT) | instid1(VALU_DEP_4)
	v_add_co_u32 v3, vcc_lo, s16, v3
	v_add_co_ci_u32_e32 v4, vcc_lo, s25, v4, vcc_lo
	s_clause 0x1
	global_load_b32 v5, v[1:2], off
	global_load_b32 v7, v[3:4], off
	s_or_b32 s4, s12, 32
	v_lshlrev_b32_e32 v1, 4, v0
	s_ashr_i32 s5, s4, 4
	s_cmp_lt_i32 s4, s24
	v_cmp_ne_u32_e32 vcc_lo, 15, v68
	s_cselect_b32 s4, s5, s13
	v_and_b32_e32 v1, 0xf0, v1
	s_ashr_i32 s5, s4, 31
	s_delay_alu instid0(SALU_CYCLE_1) | instskip(NEXT) | instid1(SALU_CYCLE_1)
	s_lshl_b64 s[4:5], s[4:5], 2
	s_add_u32 s4, s16, s4
	s_addc_u32 s5, s25, s5
	s_or_b32 s6, s12, 64
	v_add_co_u32 v1, s26, s26, v1
	s_ashr_i32 s7, s6, 4
	s_cmp_lt_i32 s6, s24
	v_add_co_ci_u32_e64 v2, null, s27, 0, s26
	s_cselect_b32 s6, s7, s13
	s_delay_alu instid0(SALU_CYCLE_1) | instskip(NEXT) | instid1(SALU_CYCLE_1)
	s_ashr_i32 s7, s6, 31
	s_lshl_b64 s[6:7], s[6:7], 2
	s_delay_alu instid0(SALU_CYCLE_1) | instskip(SKIP_2) | instid1(SALU_CYCLE_1)
	s_add_u32 s6, s16, s6
	s_addc_u32 s7, s25, s7
	s_or_b32 s8, s12, 0x60
	s_ashr_i32 s9, s8, 4
	s_cmp_lt_i32 s8, s24
	s_cselect_b32 s8, s9, s13
	s_delay_alu instid0(SALU_CYCLE_1) | instskip(NEXT) | instid1(SALU_CYCLE_1)
	s_ashr_i32 s9, s8, 31
	s_lshl_b64 s[8:9], s[8:9], 2
	s_delay_alu instid0(SALU_CYCLE_1) | instskip(SKIP_2) | instid1(SALU_CYCLE_1)
	s_add_u32 s8, s16, s8
	s_addc_u32 s9, s25, s9
	s_or_b32 s10, s12, 0x80
	s_ashr_i32 s11, s10, 4
	s_cmp_lt_i32 s10, s24
	;; [unrolled: 10-line block ×3, first 2 shown]
	s_cselect_b32 s20, s21, s13
	s_delay_alu instid0(SALU_CYCLE_1) | instskip(NEXT) | instid1(SALU_CYCLE_1)
	s_ashr_i32 s21, s20, 31
	s_lshl_b64 s[20:21], s[20:21], 2
	s_delay_alu instid0(SALU_CYCLE_1)
	s_add_u32 s20, s16, s20
	s_addc_u32 s21, s25, s21
	s_clause 0x5
	s_load_b32 s26, s[2:3], 0x0
	s_load_b32 s27, s[4:5], 0x0
	;; [unrolled: 1-line block ×6, first 2 shown]
	s_or_b32 s2, s12, 0xc0
	s_mov_b32 s4, 0
	s_ashr_i32 s3, s2, 4
	s_cmp_lt_i32 s2, s24
	s_mov_b32 s11, s4
	s_cselect_b32 s2, s3, s13
	s_mov_b32 s5, s4
	s_ashr_i32 s3, s2, 31
	s_mov_b32 s6, s4
	s_lshl_b64 s[2:3], s[2:3], 2
	s_mov_b32 s7, s4
	s_add_u32 s2, s16, s2
	s_addc_u32 s3, s25, s3
	s_or_b32 s20, s12, 0xe0
	s_mov_b32 s8, s4
	s_ashr_i32 s21, s20, 4
	s_cmp_lt_i32 s20, s24
	s_mov_b32 s9, s4
	s_cselect_b32 s20, s21, s13
	s_mov_b32 s10, s4
	s_ashr_i32 s21, s20, 31
	v_mov_b32_e32 v118, s11
	v_dual_mov_b32 v112, s5 :: v_dual_mov_b32 v117, s10
	v_dual_mov_b32 v116, s9 :: v_dual_mov_b32 v115, s8
	;; [unrolled: 1-line block ×3, first 2 shown]
	v_mov_b32_e32 v111, s4
	s_lshl_b64 s[4:5], s[20:21], 2
	s_delay_alu instid0(SALU_CYCLE_1)
	s_add_u32 s4, s16, s4
	s_addc_u32 s5, s25, s5
	s_add_u32 s6, s22, s15
	s_addc_u32 s7, s23, s18
	s_waitcnt vmcnt(1)
	v_mad_i64_i32 v[3:4], null, v5, s17, v[1:2]
	s_waitcnt vmcnt(0)
	v_mad_i64_i32 v[5:6], null, v7, s17, v[1:2]
	v_cndmask_b32_e32 v1, 0, v68, vcc_lo
	v_lshlrev_b32_e32 v2, 4, v68
	s_clause 0xf
	global_load_b128 v[17:20], v[3:4], off
	global_load_b128 v[21:24], v[3:4], off offset:256
	global_load_b128 v[25:28], v[5:6], off
	global_load_b128 v[29:32], v[5:6], off offset:256
	global_load_b128 v[57:60], v[3:4], off offset:512
	global_load_b128 v[61:64], v[3:4], off offset:768
	global_load_b128 v[71:74], v[5:6], off offset:512
	global_load_b128 v[75:78], v[5:6], off offset:768
	global_load_b128 v[79:82], v[3:4], off offset:1024
	global_load_b128 v[83:86], v[3:4], off offset:1280
	global_load_b128 v[87:90], v[5:6], off offset:1024
	global_load_b128 v[91:94], v[5:6], off offset:1280
	global_load_b128 v[95:98], v[3:4], off offset:1536
	global_load_b128 v[99:102], v[3:4], off offset:1792
	global_load_b128 v[103:106], v[5:6], off offset:1536
	global_load_b128 v[107:110], v[5:6], off offset:1792
	v_lshlrev_b32_e32 v149, 6, v1
	v_lshl_or_b32 v1, v69, 8, v2
	ds_load_b128 v[119:122], v149
	ds_load_b128 v[123:126], v149 offset:1024
	ds_load_b128 v[127:130], v149 offset:2048
	;; [unrolled: 1-line block ×3, first 2 shown]
	s_clause 0x1
	s_load_b32 s2, s[2:3], 0x0
	s_load_b32 s3, s[4:5], 0x0
	v_add_co_u32 v135, s6, s6, v1
	s_delay_alu instid0(VALU_DEP_1) | instskip(SKIP_1) | instid1(VALU_DEP_1)
	v_add_co_ci_u32_e64 v136, null, s7, 0, s6
	s_waitcnt lgkmcnt(0)
	v_mad_i64_i32 v[1:2], null, s26, s17, v[135:136]
	v_mad_i64_i32 v[3:4], null, s27, s17, v[135:136]
	;; [unrolled: 1-line block ×6, first 2 shown]
	s_clause 0x9
	global_load_b128 v[49:52], v[1:2], off
	global_load_b128 v[53:56], v[1:2], off offset:16
	global_load_b128 v[41:44], v[3:4], off
	global_load_b128 v[45:48], v[3:4], off offset:16
	global_load_b128 v[33:36], v[5:6], off
	global_load_b128 v[37:40], v[5:6], off offset:16
	global_load_b128 v[1:4], v[7:8], off
	global_load_b128 v[5:8], v[7:8], off offset:16
	global_load_b128 v[9:12], v[13:14], off
	global_load_b128 v[13:16], v[13:14], off offset:16
	v_mad_i64_i32 v[145:146], null, s2, s17, v[135:136]
	v_mad_i64_i32 v[147:148], null, s3, s17, v[135:136]
	s_waitcnt vmcnt(24)
	v_wmma_f32_16x16x16_f16 v[135:142], v[17:24], v[119:126], v[111:118]
	s_waitcnt vmcnt(22)
	v_wmma_f32_16x16x16_f16 v[111:118], v[25:32], v[119:126], v[111:118]
	s_clause 0x3
	global_load_b128 v[17:20], v[143:144], off
	global_load_b128 v[21:24], v[143:144], off offset:16
	global_load_b128 v[25:28], v[145:146], off
	global_load_b128 v[29:32], v[145:146], off offset:16
	v_and_b32_e32 v119, 0xe0, v0
	s_waitcnt vmcnt(24)
	v_wmma_f32_16x16x16_f16 v[135:142], v[57:64], v[127:134], v[135:142]
	s_clause 0x1
	global_load_b128 v[57:60], v[147:148], off
	global_load_b128 v[61:64], v[147:148], off offset:16
	s_waitcnt vmcnt(24)
	v_wmma_f32_16x16x16_f16 v[111:118], v[71:78], v[127:134], v[111:118]
	ds_load_b128 v[71:74], v149 offset:4096
	ds_load_b128 v[75:78], v149 offset:5120
	v_add_nc_u32_e32 v128, s12, v119
	ds_load_b128 v[119:122], v149 offset:6144
	ds_load_b128 v[123:126], v149 offset:7168
	v_mbcnt_lo_u32_b32 v127, -1, 0
	s_waitcnt vmcnt(0) lgkmcnt(0)
	s_barrier
	v_or_b32_e32 v128, v128, v66
	buffer_gl0_inv
	v_xor_b32_e32 v129, 16, v127
	v_or_b32_e32 v130, 4, v128
	v_or_b32_e32 v131, 6, v128
	s_delay_alu instid0(VALU_DEP_3) | instskip(SKIP_4) | instid1(VALU_DEP_4)
	v_cmp_gt_i32_e32 vcc_lo, 32, v129
	v_or_b32_e32 v132, 8, v128
	v_or_b32_e32 v133, 10, v128
	v_cmp_gt_i32_e64 s3, s24, v130
	v_cmp_gt_i32_e64 s4, s24, v131
	;; [unrolled: 1-line block ×3, first 2 shown]
	v_wmma_f32_16x16x16_f16 v[135:142], v[79:86], v[71:78], v[135:142]
	v_wmma_f32_16x16x16_f16 v[111:118], v[87:94], v[71:78], v[111:118]
	v_or_b32_e32 v79, 12, v128
	v_or_b32_e32 v80, 14, v128
	v_cmp_gt_i32_e64 s6, s24, v133
	v_wmma_f32_16x16x16_f16 v[135:142], v[95:102], v[119:126], v[135:142]
	v_wmma_f32_16x16x16_f16 v[111:118], v[103:110], v[119:126], v[111:118]
	v_cndmask_b32_e32 v127, v127, v129, vcc_lo
	v_or_b32_e32 v129, 2, v128
	v_cmp_gt_i32_e32 vcc_lo, s24, v128
	s_delay_alu instid0(VALU_DEP_4) | instskip(SKIP_1) | instid1(VALU_DEP_4)
	v_dual_mul_f32 v87, s19, v136 :: v_dual_mul_f32 v94, s19, v113
	v_mul_f32_e32 v88, s19, v135
	v_cmp_gt_i32_e64 s2, s24, v129
	v_mul_f32_e32 v78, s19, v138
	v_mul_f32_e32 v86, s19, v137
	;; [unrolled: 1-line block ×3, first 2 shown]
	v_cndmask_b32_e32 v88, 0xff7fffff, v88, vcc_lo
	v_cndmask_b32_e64 v87, 0xff7fffff, v87, s2
	v_dual_mul_f32 v77, s19, v139 :: v_dual_mul_f32 v90, s19, v117
	v_cndmask_b32_e64 v86, 0xff7fffff, v86, s3
	v_cndmask_b32_e64 v78, 0xff7fffff, v78, s4
	s_delay_alu instid0(VALU_DEP_4)
	v_max3_f32 v87, v88, 0xff7fffff, v87
	v_or_b32_e32 v81, 16, v128
	v_or_b32_e32 v82, 18, v128
	v_dual_mul_f32 v74, s19, v142 :: v_dual_mul_f32 v75, s19, v141
	v_mul_f32_e32 v96, s19, v111
	v_cndmask_b32_e64 v77, 0xff7fffff, v77, s5
	v_cndmask_b32_e64 v76, 0xff7fffff, v76, s6
	v_max3_f32 v78, v87, v86, v78
	v_cmp_gt_i32_e64 s7, s24, v79
	v_cmp_gt_i32_e64 s8, s24, v80
	v_or_b32_e32 v83, 20, v128
	v_or_b32_e32 v84, 22, v128
	v_mul_f32_e32 v95, s19, v112
	v_cndmask_b32_e64 v75, 0xff7fffff, v75, s7
	v_cndmask_b32_e64 v74, 0xff7fffff, v74, s8
	v_max3_f32 v76, v78, v77, v76
	v_cmp_gt_i32_e64 s9, s24, v81
	v_cmp_gt_i32_e64 s10, s24, v82
	v_or_b32_e32 v85, 24, v128
	v_or_b32_e32 v71, 26, v128
	;; [unrolled: 8-line block ×3, first 2 shown]
	v_dual_mul_f32 v91, s19, v116 :: v_dual_mul_f32 v92, s19, v115
	v_cndmask_b32_e64 v75, 0xff7fffff, v94, s11
	v_cndmask_b32_e64 v76, 0xff7fffff, v93, s12
	v_max3_f32 v74, v74, v77, v78
	v_cmp_gt_i32_e64 s13, s24, v85
	v_cmp_gt_i32_e64 s15, s24, v71
	v_mul_f32_e32 v89, s19, v118
	v_cmp_gt_i32_e64 s16, s24, v72
	v_max3_f32 v74, v74, v75, v76
	v_cndmask_b32_e64 v77, 0xff7fffff, v92, s13
	v_cndmask_b32_e64 v71, 0xff7fffff, v91, s15
	v_cmp_gt_i32_e64 s17, s24, v73
	v_cndmask_b32_e64 v72, 0xff7fffff, v90, s16
	s_delay_alu instid0(VALU_DEP_3) | instskip(SKIP_1) | instid1(VALU_DEP_4)
	v_max3_f32 v71, v74, v77, v71
	v_lshlrev_b32_e32 v74, 2, v127
	v_cndmask_b32_e64 v73, 0xff7fffff, v89, s17
	s_delay_alu instid0(VALU_DEP_1) | instskip(SKIP_3) | instid1(VALU_DEP_1)
	v_max3_f32 v71, v71, v72, v73
	ds_bpermute_b32 v72, v74, v71
	s_waitcnt lgkmcnt(0)
	v_max_f32_e32 v72, v72, v72
	v_max_f32_e32 v71, v71, v72
	s_delay_alu instid0(VALU_DEP_1) | instskip(SKIP_4) | instid1(VALU_DEP_4)
	v_fma_f32 v72, s19, v135, -v71
	v_fma_f32 v73, s19, v136, -v71
	;; [unrolled: 1-line block ×5, first 2 shown]
	v_dual_mul_f32 v72, 0x3fb8aa3b, v72 :: v_dual_mul_f32 v73, 0x3fb8aa3b, v73
	s_delay_alu instid0(VALU_DEP_3) | instskip(SKIP_1) | instid1(VALU_DEP_3)
	v_dual_mul_f32 v75, 0x3fb8aa3b, v75 :: v_dual_mul_f32 v76, 0x3fb8aa3b, v76
	v_fma_f32 v80, s19, v141, -v71
	v_exp_f32_e32 v72, v72
	s_delay_alu instid0(VALU_DEP_3) | instskip(NEXT) | instid1(VALU_DEP_2)
	v_exp_f32_e32 v73, v73
	v_exp_f32_e32 v75, v75
	;; [unrolled: 1-line block ×3, first 2 shown]
	v_mul_f32_e32 v82, 0x3fb8aa3b, v80
	s_delay_alu instid0(VALU_DEP_1) | instskip(SKIP_4) | instid1(TRANS32_DEP_3)
	v_exp_f32_e32 v84, v82
	v_cndmask_b32_e32 v79, 0, v72, vcc_lo
	v_fma_f32 v72, s19, v140, -v71
	v_mul_f32_e32 v77, 0x3fb8aa3b, v77
	v_cndmask_b32_e64 v78, 0, v73, s2
	v_cndmask_b32_e64 v81, 0, v75, s3
	s_delay_alu instid0(VALU_DEP_4) | instskip(NEXT) | instid1(VALU_DEP_4)
	v_dual_add_f32 v73, 0, v79 :: v_dual_mul_f32 v72, 0x3fb8aa3b, v72
	v_exp_f32_e32 v77, v77
	v_cndmask_b32_e64 v80, 0, v76, s4
	s_delay_alu instid0(TRANS32_DEP_2) | instskip(NEXT) | instid1(VALU_DEP_3)
	v_cndmask_b32_e64 v85, 0, v84, s7
	v_add_f32_e32 v73, v73, v78
	v_exp_f32_e32 v72, v72
	v_cmp_gt_u32_e64 s2, 16, v70
	s_delay_alu instid0(VALU_DEP_2) | instskip(NEXT) | instid1(TRANS32_DEP_2)
	v_add_f32_e32 v73, v73, v81
	v_cndmask_b32_e64 v83, 0, v77, s5
	s_delay_alu instid0(VALU_DEP_2) | instskip(SKIP_3) | instid1(VALU_DEP_1)
	v_add_f32_e32 v73, v73, v80
	s_waitcnt_depctr 0xfff
	v_cndmask_b32_e64 v82, 0, v72, s6
	v_add_f32_e32 v72, v73, v83
	v_add_f32_e32 v72, v72, v82
	s_delay_alu instid0(VALU_DEP_1)
	v_add_f32_e32 v72, v72, v85
	v_fma_f32 v76, s19, v111, -v71
	v_fma_f32 v75, s19, v142, -v71
	;; [unrolled: 1-line block ×5, first 2 shown]
	s_delay_alu instid0(VALU_DEP_4) | instskip(NEXT) | instid1(VALU_DEP_3)
	v_dual_mul_f32 v76, 0x3fb8aa3b, v76 :: v_dual_mul_f32 v75, 0x3fb8aa3b, v75
	v_mul_f32_e32 v86, 0x3fb8aa3b, v86
	s_delay_alu instid0(VALU_DEP_2) | instskip(NEXT) | instid1(VALU_DEP_2)
	v_exp_f32_e32 v76, v76
	v_exp_f32_e32 v75, v75
	s_delay_alu instid0(VALU_DEP_1) | instskip(NEXT) | instid1(TRANS32_DEP_3)
	v_exp_f32_e32 v88, v86
	v_cndmask_b32_e64 v87, 0, v76, s9
	v_fma_f32 v76, s19, v116, -v71
	v_mul_f32_e32 v77, 0x3fb8aa3b, v77
	s_waitcnt_depctr 0xfff
	v_cndmask_b32_e64 v84, 0, v75, s8
	v_fma_f32 v75, s19, v115, -v71
	v_cndmask_b32_e64 v88, 0, v88, s12
	v_mul_f32_e32 v76, 0x3fb8aa3b, v76
	v_exp_f32_e32 v77, v77
	v_add_f32_e32 v72, v72, v84
	s_delay_alu instid0(VALU_DEP_2) | instskip(NEXT) | instid1(VALU_DEP_1)
	v_exp_f32_e32 v76, v76
	v_add_f32_e32 v72, v72, v87
	s_waitcnt_depctr 0xfff
	v_cndmask_b32_e64 v86, 0, v77, s10
	v_mul_f32_e32 v73, 0x3fb8aa3b, v73
	v_fma_f32 v77, s19, v117, -v71
	v_cndmask_b32_e64 v90, 0, v76, s15
	s_delay_alu instid0(VALU_DEP_4) | instskip(NEXT) | instid1(VALU_DEP_4)
	v_add_f32_e32 v72, v72, v86
	v_exp_f32_e32 v73, v73
	s_waitcnt_depctr 0xfff
	v_cndmask_b32_e64 v89, 0, v73, s11
	s_delay_alu instid0(VALU_DEP_1) | instskip(NEXT) | instid1(VALU_DEP_1)
	v_dual_mul_f32 v75, 0x3fb8aa3b, v75 :: v_dual_add_f32 v72, v72, v89
	v_exp_f32_e32 v75, v75
	v_mul_f32_e32 v73, 0x3fb8aa3b, v77
	v_fma_f32 v77, s19, v118, -v71
	s_delay_alu instid0(VALU_DEP_3) | instskip(NEXT) | instid1(VALU_DEP_3)
	v_add_f32_e32 v72, v72, v88
	v_exp_f32_e32 v73, v73
	s_waitcnt_depctr 0xfff
	v_cndmask_b32_e64 v91, 0, v75, s13
	s_delay_alu instid0(VALU_DEP_1) | instskip(NEXT) | instid1(VALU_DEP_1)
	v_dual_mul_f32 v75, 0x3fb8aa3b, v77 :: v_dual_add_f32 v72, v72, v91
	v_exp_f32_e32 v75, v75
	v_cndmask_b32_e64 v93, 0, v73, s16
	s_delay_alu instid0(VALU_DEP_2) | instskip(NEXT) | instid1(VALU_DEP_1)
	v_add_f32_e32 v72, v72, v90
	v_add_f32_e32 v72, v72, v93
	s_waitcnt_depctr 0xfff
	v_cndmask_b32_e64 v92, 0, v75, s17
	s_delay_alu instid0(VALU_DEP_1)
	v_add_f32_e32 v72, v72, v92
	ds_bpermute_b32 v73, v74, v72
	s_and_saveexec_b32 s3, s2
	s_cbranch_execz .LBB1228_12
; %bb.11:
	v_mul_u32_u24_e32 v70, 0x44, v69
	s_waitcnt lgkmcnt(0)
	v_add_f32_e32 v72, v72, v73
	s_delay_alu instid0(VALU_DEP_2) | instskip(NEXT) | instid1(VALU_DEP_1)
	v_lshl_add_u32 v70, v68, 2, v70
	v_add_nc_u32_e32 v70, 0x4000, v70
	ds_store_2addr_b32 v70, v71, v72 offset1:136
.LBB1228_12:
	s_or_b32 exec_lo, exec_lo, s3
	v_lshlrev_b32_e32 v70, 2, v68
	s_load_b32 s35, s[0:1], 0x94
	s_waitcnt lgkmcnt(0)
	s_barrier
	buffer_gl0_inv
	v_add_nc_u32_e32 v98, 0x4000, v70
	v_cmp_eq_u32_e32 vcc_lo, 1, v69
	v_cmp_eq_u32_e64 s3, 2, v69
	v_cmp_eq_u32_e64 s4, 3, v69
	;; [unrolled: 1-line block ×3, first 2 shown]
	ds_load_2addr_b32 v[70:71], v98 offset1:17
	ds_load_2addr_b32 v[72:73], v98 offset0:34 offset1:51
	ds_load_2addr_b32 v[74:75], v98 offset0:68 offset1:85
	;; [unrolled: 1-line block ×3, first 2 shown]
	v_cmp_eq_u32_e64 s6, 5, v69
	v_cmp_eq_u32_e64 s7, 7, v69
	s_waitcnt lgkmcnt(3)
	v_max3_f32 v76, v70, 0xff7fffff, v71
	s_waitcnt lgkmcnt(2)
	s_delay_alu instid0(VALU_DEP_1) | instskip(SKIP_1) | instid1(VALU_DEP_1)
	v_max3_f32 v76, v76, v72, v73
	s_waitcnt lgkmcnt(1)
	v_max3_f32 v76, v76, v74, v75
	s_waitcnt lgkmcnt(0)
	s_delay_alu instid0(VALU_DEP_1) | instskip(NEXT) | instid1(VALU_DEP_1)
	v_max3_f32 v76, v76, v94, v95
	v_sub_f32_e32 v77, v71, v76
	ds_load_2addr_b32 v[96:97], v98 offset0:136 offset1:153
	v_sub_f32_e32 v74, v74, v76
	v_sub_f32_e32 v70, v70, v76
	v_sub_f32_e32 v94, v94, v76
	v_dual_sub_f32 v72, v72, v76 :: v_dual_mul_f32 v77, 0x3fb8aa3b, v77
	s_delay_alu instid0(VALU_DEP_4) | instskip(NEXT) | instid1(VALU_DEP_4)
	v_mul_f32_e32 v103, 0x3fb8aa3b, v74
	v_mul_f32_e32 v99, 0x3fb8aa3b, v70
	ds_load_2addr_b32 v[70:71], v98 offset0:170 offset1:187
	v_dual_mul_f32 v101, 0x3fb8aa3b, v72 :: v_dual_mul_f32 v94, 0x3fb8aa3b, v94
	v_exp_f32_e32 v102, v77
	v_exp_f32_e32 v99, v99
	s_delay_alu instid0(VALU_DEP_1) | instskip(NEXT) | instid1(VALU_DEP_1)
	v_exp_f32_e32 v101, v101
	v_exp_f32_e32 v94, v94
	s_waitcnt lgkmcnt(1)
	s_delay_alu instid0(TRANS32_DEP_3)
	v_fma_f32 v77, v99, v96, 0
	v_sub_f32_e32 v100, v73, v76
	ds_load_2addr_b32 v[72:73], v98 offset0:204 offset1:221
	v_fmac_f32_e32 v77, v102, v97
	v_exp_f32_e32 v97, v103
	s_waitcnt lgkmcnt(1)
	s_delay_alu instid0(VALU_DEP_1)
	v_dual_fmac_f32 v77, v101, v70 :: v_dual_sub_f32 v96, v75, v76
	ds_load_2addr_b32 v[74:75], v98 offset0:238 offset1:255
	v_sub_f32_e32 v70, v95, v76
	s_waitcnt lgkmcnt(0)
	s_barrier
	v_mul_f32_e32 v96, 0x3fb8aa3b, v96
	buffer_gl0_inv
	v_exp_f32_e32 v95, v96
	v_mul_f32_e32 v100, 0x3fb8aa3b, v100
	s_delay_alu instid0(VALU_DEP_1) | instskip(SKIP_3) | instid1(VALU_DEP_2)
	v_exp_f32_e32 v100, v100
	s_waitcnt_depctr 0xfff
	v_dual_fmac_f32 v77, v100, v71 :: v_dual_mul_f32 v70, 0x3fb8aa3b, v70
	v_cndmask_b32_e32 v71, v99, v102, vcc_lo
	v_fmac_f32_e32 v77, v97, v72
	s_delay_alu instid0(VALU_DEP_3) | instskip(NEXT) | instid1(VALU_DEP_1)
	v_exp_f32_e32 v96, v70
	v_fmac_f32_e32 v77, v95, v73
	s_delay_alu instid0(VALU_DEP_1) | instskip(SKIP_2) | instid1(VALU_DEP_1)
	v_fmac_f32_e32 v77, v94, v74
	s_waitcnt_depctr 0xfff
	v_fmac_f32_e32 v77, v96, v75
	v_add_f32_e32 v74, 0x358637bd, v77
	s_delay_alu instid0(VALU_DEP_1) | instskip(SKIP_1) | instid1(VALU_DEP_2)
	v_div_scale_f32 v98, null, v74, v74, 1.0
	v_div_scale_f32 v99, vcc_lo, 1.0, v74, 1.0
	v_rcp_f32_e32 v103, v98
	s_waitcnt_depctr 0xfff
	v_fma_f32 v70, -v98, v103, 1.0
	s_delay_alu instid0(VALU_DEP_1) | instskip(SKIP_2) | instid1(VALU_DEP_2)
	v_fmac_f32_e32 v103, v70, v103
	v_cndmask_b32_e64 v70, v71, v101, s3
	v_cmp_eq_u32_e64 s3, 6, v69
	v_cndmask_b32_e64 v71, v70, v100, s4
	s_delay_alu instid0(VALU_DEP_4) | instskip(NEXT) | instid1(VALU_DEP_2)
	v_dual_mul_f32 v101, v99, v103 :: v_dual_lshlrev_b32 v70, 2, v66
	v_cndmask_b32_e64 v71, v71, v97, s5
	s_delay_alu instid0(VALU_DEP_2) | instskip(NEXT) | instid1(VALU_DEP_3)
	v_or_b32_e32 v72, 1, v70
	v_fma_f32 v100, -v98, v101, v99
	v_cmp_eq_u32_e64 s4, 1, v70
	v_cmp_eq_u32_e64 s5, 2, v70
	v_cndmask_b32_e64 v95, v71, v95, s6
	v_or_b32_e32 v71, 3, v70
	v_fmac_f32_e32 v101, v100, v103
	v_cmp_eq_u32_e64 s9, 1, v72
	v_cmp_eq_u32_e64 s12, 2, v72
	v_cndmask_b32_e64 v94, v95, v94, s3
	v_cmp_eq_u32_e64 s11, 1, v71
	v_fma_f32 v97, -v98, v101, v99
	v_cmp_eq_u32_e64 s16, 2, v71
	v_cmp_eq_u32_e64 s13, 3, v72
	v_cndmask_b32_e64 v94, v94, v96, s7
	v_cmp_eq_u32_e64 s18, 3, v71
	v_div_fmas_f32 v95, v97, v103, v101
	v_cmp_eq_u32_e32 vcc_lo, 3, v70
	v_cmp_eq_u32_e64 s3, 4, v70
	v_cmp_eq_u32_e64 s19, 4, v72
	;; [unrolled: 1-line block ×3, first 2 shown]
	v_div_fixup_f32 v95, v95, v74, 1.0
	v_lshlrev_b32_e32 v73, 6, v68
	v_cmp_eq_u32_e64 s6, 5, v70
	v_cmp_eq_u32_e64 s20, 5, v72
	;; [unrolled: 1-line block ×3, first 2 shown]
	v_mul_f32_e32 v102, v94, v95
	v_lshl_or_b32 v75, v69, 11, v73
	v_or_b32_e32 v69, 2, v70
	v_cmp_eq_u32_e64 s25, 6, v72
	v_cmp_eq_u32_e64 s27, 6, v71
	v_fma_mixlo_f16 v94, v102, v79, 0
	v_fma_mixlo_f16 v95, v102, v81, 0
	;; [unrolled: 1-line block ×8, first 2 shown]
	v_lshl_or_b32 v74, v66, 4, v75
	v_fma_mixhi_f16 v94, v102, v78, 0
	v_fma_mixhi_f16 v95, v102, v80, 0
	;; [unrolled: 1-line block ×8, first 2 shown]
	ds_store_b128 v74, v[94:97]
	ds_store_b128 v74, v[98:101] offset:1024
	s_waitcnt lgkmcnt(0)
	s_barrier
	buffer_gl0_inv
	ds_load_b128 v[78:81], v75
	ds_load_b128 v[82:85], v75 offset:16
	ds_load_b128 v[86:89], v75 offset:1024
	;; [unrolled: 1-line block ×3, first 2 shown]
	v_cmp_eq_u32_e64 s10, 1, v69
	v_cmp_eq_u32_e64 s15, 2, v69
	;; [unrolled: 1-line block ×11, first 2 shown]
	s_waitcnt lgkmcnt(3)
	v_lshrrev_b32_e32 v94, 16, v78
	s_waitcnt lgkmcnt(2)
	v_lshrrev_b32_e32 v98, 16, v82
	;; [unrolled: 2-line block ×4, first 2 shown]
	v_lshrrev_b32_e32 v95, 16, v79
	v_cndmask_b32_e64 v110, v78, v94, s4
	v_cndmask_b32_e64 v111, v82, v98, s4
	;; [unrolled: 1-line block ×8, first 2 shown]
	v_lshrrev_b32_e32 v99, 16, v83
	v_cndmask_b32_e64 v94, v86, v102, s4
	v_cndmask_b32_e64 v98, v90, v106, s4
	;; [unrolled: 1-line block ×15, first 2 shown]
	v_lshrrev_b32_e32 v103, 16, v87
	v_lshrrev_b32_e32 v107, 16, v91
	v_cndmask_b32_e64 v113, v115, v83, s15
	v_cndmask_b32_e64 v82, v94, v87, s5
	;; [unrolled: 1-line block ×7, first 2 shown]
	v_cndmask_b32_e32 v90, v102, v95, vcc_lo
	v_cndmask_b32_e32 v102, v106, v99, vcc_lo
	v_cndmask_b32_e64 v106, v110, v95, s13
	v_cndmask_b32_e64 v110, v111, v99, s13
	;; [unrolled: 1-line block ×4, first 2 shown]
	v_lshrrev_b32_e32 v96, 16, v80
	v_lshrrev_b32_e32 v100, 16, v84
	v_cndmask_b32_e64 v111, v112, v95, s17
	v_cndmask_b32_e64 v112, v113, v99, s17
	v_cndmask_b32_e32 v82, v82, v103, vcc_lo
	v_cndmask_b32_e32 v83, v83, v107, vcc_lo
	v_cndmask_b32_e64 v94, v94, v103, s13
	v_cndmask_b32_e64 v90, v90, v80, s3
	;; [unrolled: 1-line block ×7, first 2 shown]
	v_lshrrev_b32_e32 v104, 16, v88
	v_cndmask_b32_e64 v106, v111, v80, s21
	v_cndmask_b32_e64 v110, v112, v84, s21
	;; [unrolled: 1-line block ×11, first 2 shown]
	v_lshrrev_b32_e32 v97, 16, v81
	v_lshrrev_b32_e32 v101, 16, v85
	v_cndmask_b32_e64 v99, v106, v96, s23
	v_cndmask_b32_e64 v102, v110, v100, s23
	;; [unrolled: 1-line block ×7, first 2 shown]
	v_lshrrev_b32_e32 v105, 16, v89
	v_cndmask_b32_e64 v80, v80, v104, s6
	v_cndmask_b32_e64 v84, v84, v81, s7
	v_cndmask_b32_e64 v90, v90, v85, s7
	v_cndmask_b32_e64 v96, v99, v81, s26
	v_cndmask_b32_e64 v99, v102, v85, s26
	v_cndmask_b32_e64 v81, v83, v89, s25
	v_cndmask_b32_e64 v85, v94, v97, s30
	v_cndmask_b32_e64 v78, v78, v97, s29
	v_cndmask_b32_e64 v79, v79, v101, s29
	v_cndmask_b32_e64 v95, v95, v101, s30
	v_cndmask_b32_e64 v80, v80, v89, s7
	v_cndmask_b32_e64 v83, v84, v97, s8
	v_cndmask_b32_e64 v84, v90, v101, s8
	v_cndmask_b32_e64 v90, v96, v97, s28
	v_cndmask_b32_e64 v94, v99, v101, s28
	v_cndmask_b32_e64 v97, v81, v105, s30
	v_perm_b32 v81, v79, v78, 0x5040100
	v_perm_b32 v79, v95, v85, 0x5040100
	v_cndmask_b32_e64 v78, v119, v91, s15
	v_cndmask_b32_e64 v85, v117, v91, s12
	;; [unrolled: 1-line block ×3, first 2 shown]
	v_perm_b32 v80, v94, v90, 0x5040100
	v_cndmask_b32_e64 v90, v98, v103, s17
	v_cndmask_b32_e64 v86, v86, v103, s18
	;; [unrolled: 1-line block ×5, first 2 shown]
	v_lshrrev_b32_e32 v108, 16, v92
	v_cndmask_b32_e64 v90, v90, v88, s21
	v_cndmask_b32_e64 v86, v86, v88, s22
	;; [unrolled: 1-line block ×11, first 2 shown]
	v_lshrrev_b32_e32 v109, 16, v93
	v_cndmask_b32_e64 v82, v82, v93, s7
	v_cndmask_b32_e64 v88, v88, v89, s26
	;; [unrolled: 1-line block ×12, first 2 shown]
	v_perm_b32 v78, v84, v83, 0x5040100
	v_perm_b32 v85, v87, v86, 0x5040100
	;; [unrolled: 1-line block ×5, first 2 shown]
	s_mul_i32 s8, s33, 15
	s_mov_b32 s3, exec_lo
	ds_store_b128 v74, v[78:81]
	ds_store_b128 v74, v[82:85] offset:1024
	v_cmpx_gt_u32_e32 15, v0
	s_cbranch_execz .LBB1228_14
; %bb.13:
	s_mul_i32 s4, s8, s34
	s_delay_alu instid0(SALU_CYCLE_1) | instskip(SKIP_1) | instid1(VALU_DEP_1)
	v_add3_u32 v68, s4, s31, v68
	s_load_b128 s[4:7], s[0:1], 0x58
	v_mad_u64_u32 v[78:79], null, v68, s35, s[14:15]
	s_delay_alu instid0(VALU_DEP_1) | instskip(NEXT) | instid1(VALU_DEP_1)
	v_ashrrev_i32_e32 v79, 31, v78
	v_lshlrev_b64 v[78:79], 2, v[78:79]
	s_waitcnt lgkmcnt(0)
	s_delay_alu instid0(VALU_DEP_1) | instskip(NEXT) | instid1(VALU_DEP_2)
	v_add_co_u32 v80, vcc_lo, s6, v78
	v_add_co_ci_u32_e32 v81, vcc_lo, s7, v79, vcc_lo
	v_add_co_u32 v78, vcc_lo, s4, v78
	v_add_co_ci_u32_e32 v79, vcc_lo, s5, v79, vcc_lo
	global_store_b32 v[80:81], v76, off
	global_store_b32 v[78:79], v77, off
.LBB1228_14:
	s_or_b32 exec_lo, exec_lo, s3
	s_waitcnt lgkmcnt(0)
	s_waitcnt_vscnt null, 0x0
	s_barrier
	buffer_gl0_inv
	ds_load_b128 v[84:87], v73
	ds_load_b128 v[88:91], v73 offset:16
	ds_load_b128 v[96:99], v73 offset:2064
	;; [unrolled: 1-line block ×5, first 2 shown]
	v_cmp_eq_u32_e32 vcc_lo, 1, v70
	v_mov_b32_e32 v76, 0
	ds_load_b128 v[112:115], v73 offset:6160
	ds_load_b128 v[108:111], v73 offset:6144
	;; [unrolled: 1-line block ×4, first 2 shown]
	v_cmp_eq_u32_e64 s4, 1, v69
	v_cmp_eq_u32_e64 s3, 1, v72
	;; [unrolled: 1-line block ×3, first 2 shown]
	v_mov_b32_e32 v77, v76
	v_mov_b32_e32 v78, v76
	;; [unrolled: 1-line block ×7, first 2 shown]
	v_cmp_eq_u32_e64 s6, 3, v72
	v_cmp_eq_u32_e64 s7, 7, v72
	s_waitcnt lgkmcnt(8)
	s_delay_alu instid0(VALU_DEP_3)
	v_wmma_f32_16x16x16_f16 v[76:83], v[49:56], v[84:91], v[76:83]
	ds_load_b128 v[53:56], v73 offset:10256
	ds_load_b128 v[49:52], v73 offset:10240
	s_waitcnt lgkmcnt(8)
	v_wmma_f32_16x16x16_f16 v[76:83], v[41:48], v[92:99], v[76:83]
	ds_load_b128 v[45:48], v73 offset:12304
	ds_load_b128 v[41:44], v73 offset:12288
	s_waitcnt lgkmcnt(8)
	;; [unrolled: 4-line block ×3, first 2 shown]
	s_barrier
	buffer_gl0_inv
	v_wmma_f32_16x16x16_f16 v[76:83], v[1:8], v[108:115], v[76:83]
	s_delay_alu instid0(VALU_DEP_1) | instskip(NEXT) | instid1(VALU_DEP_1)
	v_wmma_f32_16x16x16_f16 v[76:83], v[9:16], v[116:123], v[76:83]
	v_wmma_f32_16x16x16_f16 v[76:83], v[17:24], v[49:56], v[76:83]
	s_delay_alu instid0(VALU_DEP_1) | instskip(NEXT) | instid1(VALU_DEP_1)
	v_wmma_f32_16x16x16_f16 v[76:83], v[25:32], v[41:48], v[76:83]
	v_wmma_f32_16x16x16_f16 v[76:83], v[57:64], v[33:40], v[76:83]
	s_delay_alu instid0(VALU_DEP_1) | instskip(NEXT) | instid1(VALU_DEP_2)
	v_cvt_f16_f32_e32 v1, v76
	v_cvt_f16_f32_e32 v2, v77
	s_delay_alu instid0(VALU_DEP_3) | instskip(NEXT) | instid1(VALU_DEP_4)
	v_cvt_f16_f32_e32 v3, v78
	v_cvt_f16_f32_e32 v4, v79
	;; [unrolled: 1-line block ×6, first 2 shown]
	v_pack_b32_f16 v1, v1, v2
	v_pack_b32_f16 v2, v3, v4
	;; [unrolled: 1-line block ×3, first 2 shown]
	s_delay_alu instid0(VALU_DEP_4)
	v_pack_b32_f16 v4, v7, v8
	ds_store_b128 v74, v[1:4]
	s_waitcnt lgkmcnt(0)
	s_barrier
	buffer_gl0_inv
	ds_load_b128 v[1:4], v75
	ds_load_b128 v[5:8], v75 offset:16
	s_waitcnt lgkmcnt(1)
	v_lshrrev_b32_e32 v9, 16, v1
	s_waitcnt lgkmcnt(0)
	v_lshrrev_b32_e32 v13, 16, v5
	v_lshrrev_b32_e32 v10, 16, v2
	;; [unrolled: 1-line block ×4, first 2 shown]
	v_cndmask_b32_e32 v17, v1, v9, vcc_lo
	v_cndmask_b32_e32 v18, v5, v13, vcc_lo
	v_cndmask_b32_e64 v21, v1, v9, s4
	v_cmp_eq_u32_e32 vcc_lo, 1, v71
	v_cndmask_b32_e64 v22, v5, v13, s4
	v_cmp_eq_u32_e64 s4, 2, v70
	v_cndmask_b32_e64 v19, v1, v9, s3
	v_cndmask_b32_e64 v20, v5, v13, s3
	v_cndmask_b32_e32 v1, v1, v9, vcc_lo
	v_cmp_eq_u32_e64 s3, 2, v71
	v_cndmask_b32_e32 v5, v5, v13, vcc_lo
	v_cndmask_b32_e64 v9, v17, v2, s4
	v_cmp_eq_u32_e32 vcc_lo, 3, v70
	v_cndmask_b32_e64 v13, v18, v6, s4
	v_cmp_eq_u32_e64 s4, 2, v69
	v_cndmask_b32_e64 v17, v19, v2, s5
	v_cndmask_b32_e64 v18, v20, v6, s5
	v_cmp_eq_u32_e64 s5, 3, v69
	v_cndmask_b32_e64 v1, v1, v2, s3
	v_cndmask_b32_e64 v19, v21, v2, s4
	;; [unrolled: 1-line block ×4, first 2 shown]
	v_cndmask_b32_e32 v5, v9, v10, vcc_lo
	v_cndmask_b32_e32 v6, v13, v14, vcc_lo
	v_cmp_eq_u32_e32 vcc_lo, 3, v71
	v_cndmask_b32_e64 v9, v17, v10, s6
	v_cndmask_b32_e64 v13, v18, v14, s6
	;; [unrolled: 1-line block ×3, first 2 shown]
	v_cmp_eq_u32_e64 s4, 4, v70
	v_cndmask_b32_e32 v1, v1, v10, vcc_lo
	v_cndmask_b32_e32 v2, v2, v14, vcc_lo
	v_cmp_eq_u32_e32 vcc_lo, 4, v72
	v_lshrrev_b32_e32 v15, 16, v7
	v_lshrrev_b32_e32 v16, 16, v8
	v_cndmask_b32_e64 v17, v19, v10, s5
	v_cmp_eq_u32_e64 s3, 4, v71
	v_cndmask_b32_e64 v5, v5, v3, s4
	v_cndmask_b32_e64 v6, v6, v7, s4
	v_cndmask_b32_e32 v9, v9, v3, vcc_lo
	v_cmp_eq_u32_e64 s4, 5, v72
	v_cndmask_b32_e32 v10, v13, v7, vcc_lo
	v_cmp_eq_u32_e32 vcc_lo, 4, v69
	v_cmp_eq_u32_e64 s5, 5, v70
	v_cndmask_b32_e64 v2, v2, v7, s3
	v_cndmask_b32_e64 v9, v9, v11, s4
	;; [unrolled: 1-line block ×3, first 2 shown]
	v_cndmask_b32_e32 v13, v17, v3, vcc_lo
	v_cmp_eq_u32_e64 s4, 5, v69
	v_cndmask_b32_e32 v14, v18, v7, vcc_lo
	v_cndmask_b32_e64 v1, v1, v3, s3
	v_cmp_eq_u32_e32 vcc_lo, 5, v71
	v_lshrrev_b32_e32 v12, 16, v4
	v_cndmask_b32_e64 v13, v13, v11, s4
	v_cndmask_b32_e64 v3, v14, v15, s4
	v_cmp_eq_u32_e64 s4, 6, v71
	v_cndmask_b32_e32 v1, v1, v11, vcc_lo
	v_cndmask_b32_e64 v5, v5, v11, s5
	v_cmp_eq_u32_e64 s6, 6, v70
	v_cndmask_b32_e64 v6, v6, v15, s5
	v_cmp_eq_u32_e64 s5, 6, v72
	v_cmp_eq_u32_e64 s3, 6, v69
	v_cndmask_b32_e64 v1, v1, v4, s4
	v_cndmask_b32_e32 v2, v2, v15, vcc_lo
	v_cmp_eq_u32_e32 vcc_lo, 7, v71
	v_cndmask_b32_e64 v5, v5, v4, s6
	v_cndmask_b32_e64 v9, v9, v4, s5
	;; [unrolled: 1-line block ×3, first 2 shown]
	v_cmp_eq_u32_e64 s6, 7, v70
	v_cndmask_b32_e32 v1, v1, v12, vcc_lo
	v_cndmask_b32_e64 v7, v13, v4, s3
	v_cndmask_b32_e64 v3, v3, v8, s3
	;; [unrolled: 1-line block ×3, first 2 shown]
	v_cmp_eq_u32_e64 s3, 7, v69
	v_cndmask_b32_e64 v4, v10, v8, s5
	v_cndmask_b32_e64 v5, v5, v12, s6
	;; [unrolled: 1-line block ×3, first 2 shown]
	v_cndmask_b32_e32 v2, v2, v16, vcc_lo
	v_cndmask_b32_e64 v7, v7, v12, s3
	v_cndmask_b32_e64 v3, v3, v16, s3
	;; [unrolled: 1-line block ×4, first 2 shown]
	v_perm_b32 v4, v2, v1, 0x5040100
	s_mov_b32 s3, exec_lo
	v_perm_b32 v3, v3, v7, 0x5040100
	v_perm_b32 v2, v8, v9, 0x5040100
	;; [unrolled: 1-line block ×3, first 2 shown]
	ds_store_b128 v74, v[1:4]
	s_waitcnt lgkmcnt(0)
	s_barrier
	buffer_gl0_inv
	v_cmpx_gt_u32_e32 32, v0
	s_cbranch_execz .LBB1228_2
; %bb.15:
	s_load_b64 s[4:5], s[0:1], 0x68
	v_add_nc_u32_e32 v20, s31, v66
	v_lshlrev_b32_e32 v0, 10, v0
	v_lshlrev_b32_e32 v1, 4, v67
	s_lshl_b32 s0, s35, 7
	s_delay_alu instid0(SALU_CYCLE_1)
	s_mul_i32 s1, s0, s34
	v_add_nc_u32_e32 v2, 2, v20
	s_mul_i32 s6, s1, s8
	v_and_or_b32 v0, 0x3800, v0, v1
	v_mul_lo_u32 v1, v20, s0
	s_ashr_i32 s7, s6, 31
	v_mul_lo_u32 v11, v2, s0
	s_lshl_b64 s[6:7], s[6:7], 1
	v_add_nc_u32_e32 v3, 4, v20
	v_lshl_or_b32 v21, v66, 6, v0
	v_add_nc_u32_e32 v16, 6, v20
	v_ashrrev_i32_e32 v2, 31, v1
	s_delay_alu instid0(VALU_DEP_4)
	v_mul_lo_u32 v13, v3, s0
	s_waitcnt lgkmcnt(0)
	s_add_u32 s1, s4, s6
	s_addc_u32 s3, s5, s7
	s_lshl_b32 s4, s14, 7
	ds_load_b128 v[3:6], v21
	ds_load_b128 v[7:10], v21 offset:128
	s_ashr_i32 s5, s4, 31
	v_ashrrev_i32_e32 v12, 31, v11
	s_lshl_b64 s[4:5], s[4:5], 1
	v_lshlrev_b64 v[14:15], 1, v[1:2]
	s_add_u32 s1, s1, s4
	s_addc_u32 s3, s3, s5
	v_add_co_u32 v1, s1, s1, v65
	s_delay_alu instid0(VALU_DEP_1) | instskip(SKIP_1) | instid1(VALU_DEP_3)
	v_add_co_ci_u32_e64 v2, null, s3, 0, s1
	v_lshlrev_b64 v[11:12], 1, v[11:12]
	v_add_co_u32 v18, vcc_lo, v1, v14
	v_mul_lo_u32 v16, v16, s0
	s_delay_alu instid0(VALU_DEP_4) | instskip(NEXT) | instid1(VALU_DEP_4)
	v_add_co_ci_u32_e32 v19, vcc_lo, v2, v15, vcc_lo
	v_add_co_u32 v11, vcc_lo, v1, v11
	v_ashrrev_i32_e32 v14, 31, v13
	v_add_co_ci_u32_e32 v12, vcc_lo, v2, v12, vcc_lo
	v_add_nc_u32_e32 v15, 8, v20
	v_ashrrev_i32_e32 v17, 31, v16
	s_waitcnt lgkmcnt(1)
	global_store_b128 v[18:19], v[3:6], off
	v_lshlrev_b64 v[3:4], 1, v[13:14]
	s_waitcnt lgkmcnt(0)
	global_store_b128 v[11:12], v[7:10], off
	v_mul_lo_u32 v11, v15, s0
	v_add_nc_u32_e32 v7, 10, v20
	v_lshlrev_b64 v[5:6], 1, v[16:17]
	v_add_co_u32 v23, vcc_lo, v1, v3
	v_add_nc_u32_e32 v3, 12, v20
	s_delay_alu instid0(VALU_DEP_4)
	v_mul_lo_u32 v25, v7, s0
	v_ashrrev_i32_e32 v12, 31, v11
	v_add_co_ci_u32_e32 v24, vcc_lo, v2, v4, vcc_lo
	v_add_co_u32 v27, vcc_lo, v1, v5
	v_mul_lo_u32 v29, v3, s0
	v_add_co_ci_u32_e32 v28, vcc_lo, v2, v6, vcc_lo
	ds_load_b128 v[3:6], v21 offset:256
	ds_load_b128 v[7:10], v21 offset:384
	v_lshlrev_b64 v[31:32], 1, v[11:12]
	ds_load_b128 v[11:14], v21 offset:512
	ds_load_b128 v[15:18], v21 offset:640
	;; [unrolled: 1-line block ×3, first 2 shown]
	v_ashrrev_i32_e32 v26, 31, v25
	v_ashrrev_i32_e32 v30, 31, v29
	v_add_co_u32 v31, vcc_lo, v1, v31
	s_delay_alu instid0(VALU_DEP_3) | instskip(NEXT) | instid1(VALU_DEP_3)
	v_lshlrev_b64 v[25:26], 1, v[25:26]
	v_lshlrev_b64 v[29:30], 1, v[29:30]
	v_add_co_ci_u32_e32 v32, vcc_lo, v2, v32, vcc_lo
	s_delay_alu instid0(VALU_DEP_3) | instskip(NEXT) | instid1(VALU_DEP_4)
	v_add_co_u32 v25, vcc_lo, v1, v25
	v_add_co_ci_u32_e32 v26, vcc_lo, v2, v26, vcc_lo
	s_delay_alu instid0(VALU_DEP_4)
	v_add_co_u32 v29, vcc_lo, v1, v29
	v_add_co_ci_u32_e32 v30, vcc_lo, v2, v30, vcc_lo
	s_waitcnt lgkmcnt(4)
	global_store_b128 v[23:24], v[3:6], off
	s_waitcnt lgkmcnt(3)
	global_store_b128 v[27:28], v[7:10], off
	s_waitcnt lgkmcnt(2)
	global_store_b128 v[31:32], v[11:14], off
	s_waitcnt lgkmcnt(1)
	global_store_b128 v[25:26], v[15:18], off
	s_waitcnt lgkmcnt(0)
	global_store_b128 v[29:30], v[19:22], off
	s_and_b32 exec_lo, exec_lo, s2
	s_cbranch_execz .LBB1228_2
; %bb.16:
	ds_load_b128 v[3:6], v0 offset:896
	s_add_i32 s1, s31, 14
	s_delay_alu instid0(SALU_CYCLE_1) | instskip(NEXT) | instid1(SALU_CYCLE_1)
	s_mul_i32 s0, s1, s0
	s_ashr_i32 s1, s0, 31
	s_delay_alu instid0(SALU_CYCLE_1) | instskip(NEXT) | instid1(SALU_CYCLE_1)
	s_lshl_b64 s[0:1], s[0:1], 1
	v_add_co_u32 v0, vcc_lo, v1, s0
	v_add_co_ci_u32_e32 v1, vcc_lo, s1, v2, vcc_lo
	s_waitcnt lgkmcnt(0)
	global_store_b128 v[0:1], v[3:6], off
	s_nop 0
	s_sendmsg sendmsg(MSG_DEALLOC_VGPRS)
	s_endpgm
	.section	.rodata,"a",@progbits
	.p2align	6, 0x0
	.amdhsa_kernel _Z39paged_attention_ll4mi_QKV_mfma16_kernelIDF16_hLN4vllm18Fp8KVCacheDataTypeE1EhLi16ELi128ELi256ELb1ELi15EL8MFMAType0EEvPKT_PKT0_S8_ifPKiSA_SA_iPKfiiiPfSD_PS3_PT2_iSC_SC_
		.amdhsa_group_segment_fixed_size 17472
		.amdhsa_private_segment_fixed_size 0
		.amdhsa_kernarg_size 400
		.amdhsa_user_sgpr_count 13
		.amdhsa_user_sgpr_dispatch_ptr 0
		.amdhsa_user_sgpr_queue_ptr 0
		.amdhsa_user_sgpr_kernarg_segment_ptr 1
		.amdhsa_user_sgpr_dispatch_id 0
		.amdhsa_user_sgpr_private_segment_size 0
		.amdhsa_wavefront_size32 1
		.amdhsa_uses_dynamic_stack 0
		.amdhsa_enable_private_segment 0
		.amdhsa_system_sgpr_workgroup_id_x 1
		.amdhsa_system_sgpr_workgroup_id_y 1
		.amdhsa_system_sgpr_workgroup_id_z 1
		.amdhsa_system_sgpr_workgroup_info 0
		.amdhsa_system_vgpr_workitem_id 0
		.amdhsa_next_free_vgpr 150
		.amdhsa_next_free_sgpr 36
		.amdhsa_reserve_vcc 1
		.amdhsa_float_round_mode_32 0
		.amdhsa_float_round_mode_16_64 0
		.amdhsa_float_denorm_mode_32 3
		.amdhsa_float_denorm_mode_16_64 3
		.amdhsa_dx10_clamp 1
		.amdhsa_ieee_mode 1
		.amdhsa_fp16_overflow 0
		.amdhsa_workgroup_processor_mode 1
		.amdhsa_memory_ordered 1
		.amdhsa_forward_progress 0
		.amdhsa_shared_vgpr_count 0
		.amdhsa_exception_fp_ieee_invalid_op 0
		.amdhsa_exception_fp_denorm_src 0
		.amdhsa_exception_fp_ieee_div_zero 0
		.amdhsa_exception_fp_ieee_overflow 0
		.amdhsa_exception_fp_ieee_underflow 0
		.amdhsa_exception_fp_ieee_inexact 0
		.amdhsa_exception_int_div_zero 0
	.end_amdhsa_kernel
	.section	.text._Z39paged_attention_ll4mi_QKV_mfma16_kernelIDF16_hLN4vllm18Fp8KVCacheDataTypeE1EhLi16ELi128ELi256ELb1ELi15EL8MFMAType0EEvPKT_PKT0_S8_ifPKiSA_SA_iPKfiiiPfSD_PS3_PT2_iSC_SC_,"axG",@progbits,_Z39paged_attention_ll4mi_QKV_mfma16_kernelIDF16_hLN4vllm18Fp8KVCacheDataTypeE1EhLi16ELi128ELi256ELb1ELi15EL8MFMAType0EEvPKT_PKT0_S8_ifPKiSA_SA_iPKfiiiPfSD_PS3_PT2_iSC_SC_,comdat
.Lfunc_end1228:
	.size	_Z39paged_attention_ll4mi_QKV_mfma16_kernelIDF16_hLN4vllm18Fp8KVCacheDataTypeE1EhLi16ELi128ELi256ELb1ELi15EL8MFMAType0EEvPKT_PKT0_S8_ifPKiSA_SA_iPKfiiiPfSD_PS3_PT2_iSC_SC_, .Lfunc_end1228-_Z39paged_attention_ll4mi_QKV_mfma16_kernelIDF16_hLN4vllm18Fp8KVCacheDataTypeE1EhLi16ELi128ELi256ELb1ELi15EL8MFMAType0EEvPKT_PKT0_S8_ifPKiSA_SA_iPKfiiiPfSD_PS3_PT2_iSC_SC_
                                        ; -- End function
	.section	.AMDGPU.csdata,"",@progbits
; Kernel info:
; codeLenInByte = 6892
; NumSgprs: 38
; NumVgprs: 150
; ScratchSize: 0
; MemoryBound: 0
; FloatMode: 240
; IeeeMode: 1
; LDSByteSize: 17472 bytes/workgroup (compile time only)
; SGPRBlocks: 4
; VGPRBlocks: 18
; NumSGPRsForWavesPerEU: 38
; NumVGPRsForWavesPerEU: 150
; Occupancy: 9
; WaveLimiterHint : 1
; COMPUTE_PGM_RSRC2:SCRATCH_EN: 0
; COMPUTE_PGM_RSRC2:USER_SGPR: 13
; COMPUTE_PGM_RSRC2:TRAP_HANDLER: 0
; COMPUTE_PGM_RSRC2:TGID_X_EN: 1
; COMPUTE_PGM_RSRC2:TGID_Y_EN: 1
; COMPUTE_PGM_RSRC2:TGID_Z_EN: 1
; COMPUTE_PGM_RSRC2:TIDIG_COMP_CNT: 0
	.section	.text._Z39paged_attention_ll4mi_QKV_mfma16_kernelIDF16_hLN4vllm18Fp8KVCacheDataTypeE1EhLi16ELi128ELi256ELb1ELi16EL8MFMAType0EEvPKT_PKT0_S8_ifPKiSA_SA_iPKfiiiPfSD_PS3_PT2_iSC_SC_,"axG",@progbits,_Z39paged_attention_ll4mi_QKV_mfma16_kernelIDF16_hLN4vllm18Fp8KVCacheDataTypeE1EhLi16ELi128ELi256ELb1ELi16EL8MFMAType0EEvPKT_PKT0_S8_ifPKiSA_SA_iPKfiiiPfSD_PS3_PT2_iSC_SC_,comdat
	.protected	_Z39paged_attention_ll4mi_QKV_mfma16_kernelIDF16_hLN4vllm18Fp8KVCacheDataTypeE1EhLi16ELi128ELi256ELb1ELi16EL8MFMAType0EEvPKT_PKT0_S8_ifPKiSA_SA_iPKfiiiPfSD_PS3_PT2_iSC_SC_ ; -- Begin function _Z39paged_attention_ll4mi_QKV_mfma16_kernelIDF16_hLN4vllm18Fp8KVCacheDataTypeE1EhLi16ELi128ELi256ELb1ELi16EL8MFMAType0EEvPKT_PKT0_S8_ifPKiSA_SA_iPKfiiiPfSD_PS3_PT2_iSC_SC_
	.globl	_Z39paged_attention_ll4mi_QKV_mfma16_kernelIDF16_hLN4vllm18Fp8KVCacheDataTypeE1EhLi16ELi128ELi256ELb1ELi16EL8MFMAType0EEvPKT_PKT0_S8_ifPKiSA_SA_iPKfiiiPfSD_PS3_PT2_iSC_SC_
	.p2align	8
	.type	_Z39paged_attention_ll4mi_QKV_mfma16_kernelIDF16_hLN4vllm18Fp8KVCacheDataTypeE1EhLi16ELi128ELi256ELb1ELi16EL8MFMAType0EEvPKT_PKT0_S8_ifPKiSA_SA_iPKfiiiPfSD_PS3_PT2_iSC_SC_,@function
_Z39paged_attention_ll4mi_QKV_mfma16_kernelIDF16_hLN4vllm18Fp8KVCacheDataTypeE1EhLi16ELi128ELi256ELb1ELi16EL8MFMAType0EEvPKT_PKT0_S8_ifPKiSA_SA_iPKfiiiPfSD_PS3_PT2_iSC_SC_: ; @_Z39paged_attention_ll4mi_QKV_mfma16_kernelIDF16_hLN4vllm18Fp8KVCacheDataTypeE1EhLi16ELi128ELi256ELb1ELi16EL8MFMAType0EEvPKT_PKT0_S8_ifPKiSA_SA_iPKfiiiPfSD_PS3_PT2_iSC_SC_
; %bb.0:
	s_load_b64 s[4:5], s[0:1], 0x30
	s_mov_b32 s30, s13
	s_waitcnt lgkmcnt(0)
	s_cmp_lg_u64 s[4:5], 0
	s_cselect_b32 s8, -1, 0
	s_ashr_i32 s31, s13, 31
	s_cmp_eq_u64 s[4:5], 0
	s_cbranch_scc1 .LBB1229_3
; %bb.1:
	s_lshl_b64 s[2:3], s[30:31], 2
	s_delay_alu instid0(SALU_CYCLE_1) | instskip(SKIP_4) | instid1(SALU_CYCLE_1)
	s_add_u32 s2, s4, s2
	s_addc_u32 s3, s5, s3
	s_load_b64 s[2:3], s[2:3], 0x0
	s_waitcnt lgkmcnt(0)
	s_sub_i32 s2, s3, s2
	s_cmp_eq_u32 s2, 1
	s_cselect_b32 s2, -1, 0
	s_delay_alu instid0(SALU_CYCLE_1)
	s_and_not1_b32 vcc_lo, exec_lo, s2
	s_cbranch_vccz .LBB1229_4
.LBB1229_2:
	s_endpgm
.LBB1229_3:
.LBB1229_4:
	s_load_b64 s[2:3], s[0:1], 0x28
	s_lshl_b64 s[6:7], s[30:31], 2
	s_waitcnt lgkmcnt(0)
	s_add_u32 s2, s2, s6
	s_addc_u32 s3, s3, s7
	s_lshl_b32 s12, s14, 8
	s_load_b32 s24, s[2:3], 0x0
	s_waitcnt lgkmcnt(0)
	s_cmp_ge_i32 s12, s24
	s_cbranch_scc1 .LBB1229_2
; %bb.5:
	s_clause 0x1
	s_load_b128 s[20:23], s[0:1], 0x8
	s_load_b64 s[2:3], s[0:1], 0x20
	s_and_not1_b32 vcc_lo, exec_lo, s8
	s_cbranch_vccnz .LBB1229_7
; %bb.6:
	s_add_u32 s4, s4, s6
	s_addc_u32 s5, s5, s7
	s_load_b32 s5, s[4:5], 0x0
	s_branch .LBB1229_8
.LBB1229_7:
	s_mov_b32 s5, s30
.LBB1229_8:
	s_load_b128 s[16:19], s[0:1], 0x48
	v_and_b32_e32 v70, 15, v0
	v_lshrrev_b32_e32 v69, 5, v0
	v_and_b32_e32 v71, 31, v0
	v_and_b32_e32 v67, 1, v0
	v_bfe_u32 v66, v0, 4, 1
	v_lshlrev_b32_e32 v1, 3, v70
	s_lshl_b32 s31, s15, 4
	s_mov_b32 s4, exec_lo
	s_delay_alu instid0(VALU_DEP_1)
	v_lshlrev_b32_e32 v65, 1, v1
	v_cmpx_gt_u32_e32 0x100, v0
	s_cbranch_execz .LBB1229_10
; %bb.9:
	v_lshl_or_b32 v5, v69, 1, v66
	s_load_b64 s[6:7], s[0:1], 0x0
	s_waitcnt lgkmcnt(0)
	s_mul_hi_i32 s9, s5, s16
	s_mul_i32 s8, s5, s16
	v_lshlrev_b32_e32 v6, 10, v70
	v_or_b32_e32 v1, s31, v5
	s_lshl_b64 s[8:9], s[8:9], 1
	v_lshlrev_b32_e32 v5, 6, v5
	v_lshlrev_b32_e32 v7, 10, v67
	v_and_b32_e32 v6, 0x3800, v6
	v_lshlrev_b32_e32 v1, 7, v1
	s_delay_alu instid0(VALU_DEP_2) | instskip(NEXT) | instid1(VALU_DEP_2)
	v_or3_b32 v5, v6, v7, v5
	v_ashrrev_i32_e32 v2, 31, v1
	s_delay_alu instid0(VALU_DEP_1) | instskip(SKIP_2) | instid1(VALU_DEP_1)
	v_lshlrev_b64 v[1:2], 1, v[1:2]
	s_add_u32 s5, s6, s8
	s_addc_u32 s6, s7, s9
	v_add_co_u32 v1, vcc_lo, s5, v1
	s_delay_alu instid0(VALU_DEP_2) | instskip(NEXT) | instid1(VALU_DEP_2)
	v_add_co_ci_u32_e32 v2, vcc_lo, s6, v2, vcc_lo
	v_add_co_u32 v1, vcc_lo, v1, v65
	s_delay_alu instid0(VALU_DEP_2)
	v_add_co_ci_u32_e32 v2, vcc_lo, 0, v2, vcc_lo
	global_load_b128 v[1:4], v[1:2], off
	s_waitcnt vmcnt(0)
	ds_store_b128 v5, v[1:4]
.LBB1229_10:
	s_or_b32 exec_lo, exec_lo, s4
	v_and_b32_e32 v1, 0xef, v0
	s_waitcnt lgkmcnt(0)
	s_add_i32 s5, s24, 15
	s_clause 0x1
	s_load_b32 s4, s[0:1], 0x38
	s_load_b32 s33, s[0:1], 0x98
	s_ashr_i32 s6, s5, 31
	v_add_nc_u32_e32 v1, s12, v1
	s_lshr_b32 s6, s6, 28
	s_load_b32 s19, s[0:1], 0x1c
	s_add_i32 s5, s5, s6
	s_waitcnt lgkmcnt(0)
	v_ashrrev_i32_e32 v2, 31, v1
	v_or_b32_e32 v3, 16, v1
	s_ashr_i32 s13, s5, 4
	v_cmp_gt_i32_e32 vcc_lo, s24, v1
	s_add_i32 s13, s13, -1
	v_lshrrev_b32_e32 v2, 28, v2
	s_barrier
	buffer_gl0_inv
	s_mul_i32 s15, s15, s18
	v_lshlrev_b32_e32 v41, 4, v70
	v_add_nc_u32_e32 v4, v1, v2
	s_mul_i32 s4, s30, s4
	s_delay_alu instid0(SALU_CYCLE_1) | instskip(NEXT) | instid1(VALU_DEP_1)
	s_ashr_i32 s5, s4, 31
	v_ashrrev_i32_e32 v4, 4, v4
	v_add_nc_u32_e32 v2, v3, v2
	s_lshl_b64 s[4:5], s[4:5], 2
	v_lshl_or_b32 v41, v69, 8, v41
	s_add_u32 s16, s2, s4
	v_cndmask_b32_e32 v1, s13, v4, vcc_lo
	v_ashrrev_i32_e32 v2, 4, v2
	v_cmp_gt_i32_e32 vcc_lo, s24, v3
	s_addc_u32 s25, s3, s5
	s_ashr_i32 s18, s15, 31
	s_add_u32 s26, s20, s15
	s_addc_u32 s27, s21, s18
	v_cndmask_b32_e32 v3, s13, v2, vcc_lo
	v_ashrrev_i32_e32 v2, 31, v1
	s_lshl_b32 s2, s14, 4
	s_delay_alu instid0(SALU_CYCLE_1) | instskip(NEXT) | instid1(VALU_DEP_2)
	s_ashr_i32 s3, s2, 31
	v_ashrrev_i32_e32 v4, 31, v3
	s_delay_alu instid0(VALU_DEP_2) | instskip(SKIP_1) | instid1(SALU_CYCLE_1)
	v_lshlrev_b64 v[1:2], 2, v[1:2]
	s_lshl_b64 s[2:3], s[2:3], 2
	s_add_u32 s2, s16, s2
	s_delay_alu instid0(VALU_DEP_2) | instskip(SKIP_1) | instid1(VALU_DEP_2)
	v_lshlrev_b64 v[3:4], 2, v[3:4]
	s_addc_u32 s3, s25, s3
	v_add_co_u32 v1, vcc_lo, s16, v1
	v_add_co_ci_u32_e32 v2, vcc_lo, s25, v2, vcc_lo
	s_delay_alu instid0(VALU_DEP_3) | instskip(NEXT) | instid1(VALU_DEP_4)
	v_add_co_u32 v3, vcc_lo, s16, v3
	v_add_co_ci_u32_e32 v4, vcc_lo, s25, v4, vcc_lo
	s_clause 0x1
	global_load_b32 v5, v[1:2], off
	global_load_b32 v3, v[3:4], off
	s_or_b32 s4, s12, 32
	v_lshlrev_b32_e32 v1, 4, v0
	s_ashr_i32 s5, s4, 4
	s_cmp_lt_i32 s4, s24
	s_cselect_b32 s4, s5, s13
	s_delay_alu instid0(VALU_DEP_1) | instskip(SKIP_1) | instid1(SALU_CYCLE_1)
	v_and_b32_e32 v1, 0xf0, v1
	s_ashr_i32 s5, s4, 31
	s_lshl_b64 s[4:5], s[4:5], 2
	s_delay_alu instid0(SALU_CYCLE_1)
	s_add_u32 s4, s16, s4
	s_addc_u32 s5, s25, s5
	s_or_b32 s6, s12, 64
	v_add_co_u32 v1, s26, s26, v1
	s_ashr_i32 s7, s6, 4
	s_cmp_lt_i32 s6, s24
	v_add_co_ci_u32_e64 v2, null, s27, 0, s26
	s_cselect_b32 s6, s7, s13
	s_delay_alu instid0(SALU_CYCLE_1) | instskip(NEXT) | instid1(SALU_CYCLE_1)
	s_ashr_i32 s7, s6, 31
	s_lshl_b64 s[6:7], s[6:7], 2
	s_delay_alu instid0(SALU_CYCLE_1) | instskip(SKIP_2) | instid1(SALU_CYCLE_1)
	s_add_u32 s6, s16, s6
	s_addc_u32 s7, s25, s7
	s_or_b32 s8, s12, 0x60
	s_ashr_i32 s9, s8, 4
	s_cmp_lt_i32 s8, s24
	s_cselect_b32 s8, s9, s13
	s_delay_alu instid0(SALU_CYCLE_1) | instskip(NEXT) | instid1(SALU_CYCLE_1)
	s_ashr_i32 s9, s8, 31
	s_lshl_b64 s[8:9], s[8:9], 2
	s_delay_alu instid0(SALU_CYCLE_1) | instskip(SKIP_2) | instid1(SALU_CYCLE_1)
	s_add_u32 s8, s16, s8
	s_addc_u32 s9, s25, s9
	s_or_b32 s10, s12, 0x80
	s_ashr_i32 s11, s10, 4
	s_cmp_lt_i32 s10, s24
	;; [unrolled: 10-line block ×3, first 2 shown]
	s_cselect_b32 s20, s21, s13
	s_delay_alu instid0(SALU_CYCLE_1) | instskip(NEXT) | instid1(SALU_CYCLE_1)
	s_ashr_i32 s21, s20, 31
	s_lshl_b64 s[20:21], s[20:21], 2
	s_delay_alu instid0(SALU_CYCLE_1)
	s_add_u32 s20, s16, s20
	s_addc_u32 s21, s25, s21
	s_clause 0x5
	s_load_b32 s26, s[2:3], 0x0
	s_load_b32 s27, s[4:5], 0x0
	;; [unrolled: 1-line block ×6, first 2 shown]
	s_or_b32 s2, s12, 0xc0
	s_mov_b32 s4, 0
	s_ashr_i32 s3, s2, 4
	s_cmp_lt_i32 s2, s24
	s_mov_b32 s11, s4
	s_cselect_b32 s2, s3, s13
	s_mov_b32 s5, s4
	s_ashr_i32 s3, s2, 31
	s_mov_b32 s6, s4
	s_lshl_b64 s[2:3], s[2:3], 2
	s_mov_b32 s7, s4
	s_add_u32 s2, s16, s2
	s_mov_b32 s8, s4
	s_mov_b32 s9, s4
	;; [unrolled: 1-line block ×3, first 2 shown]
	s_addc_u32 s3, s25, s3
	s_or_b32 s21, s12, 0xe0
	v_dual_mov_b32 v103, s11 :: v_dual_mov_b32 v96, s4
	v_dual_mov_b32 v101, s9 :: v_dual_lshlrev_b32 v68, 6, v70
	v_mov_b32_e32 v102, s10
	v_dual_mov_b32 v100, s8 :: v_dual_mov_b32 v99, s7
	v_dual_mov_b32 v98, s6 :: v_dual_mov_b32 v97, s5
	s_ashr_i32 s4, s21, 4
	s_cmp_lt_i32 s21, s24
	s_cselect_b32 s4, s4, s13
	s_delay_alu instid0(SALU_CYCLE_1) | instskip(NEXT) | instid1(SALU_CYCLE_1)
	s_ashr_i32 s5, s4, 31
	s_lshl_b64 s[4:5], s[4:5], 2
	s_waitcnt vmcnt(1)
	v_mad_i64_i32 v[33:34], null, v5, s17, v[1:2]
	s_waitcnt vmcnt(0)
	v_mad_i64_i32 v[35:36], null, v3, s17, v[1:2]
	s_clause 0xf
	global_load_b128 v[1:4], v[33:34], off
	global_load_b128 v[5:8], v[33:34], off offset:256
	global_load_b128 v[9:12], v[35:36], off
	global_load_b128 v[13:16], v[35:36], off offset:256
	global_load_b128 v[17:20], v[33:34], off offset:512
	;; [unrolled: 1-line block ×13, first 2 shown]
	ds_load_b128 v[33:36], v68
	ds_load_b128 v[37:40], v68 offset:1024
	ds_load_b128 v[104:107], v68 offset:2048
	;; [unrolled: 1-line block ×3, first 2 shown]
	s_load_b32 s6, s[2:3], 0x0
	s_add_u32 s2, s16, s4
	s_addc_u32 s3, s25, s5
	ds_load_b128 v[112:115], v68 offset:4096
	ds_load_b128 v[116:119], v68 offset:5120
	s_load_b32 s2, s[2:3], 0x0
	s_add_u32 s4, s22, s15
	s_addc_u32 s5, s23, s18
	v_add_co_u32 v128, s4, s4, v41
	s_delay_alu instid0(VALU_DEP_1) | instskip(SKIP_1) | instid1(VALU_DEP_1)
	v_add_co_ci_u32_e64 v129, null, s5, 0, s4
	s_waitcnt lgkmcnt(0)
	v_mad_i64_i32 v[41:42], null, s26, s17, v[128:129]
	v_mad_i64_i32 v[130:131], null, s28, s17, v[128:129]
	;; [unrolled: 1-line block ×7, first 2 shown]
	s_clause 0x3
	global_load_b128 v[49:52], v[41:42], off
	global_load_b128 v[53:56], v[41:42], off offset:16
	global_load_b128 v[41:44], v[45:46], off
	global_load_b128 v[45:48], v[45:46], off offset:16
	s_waitcnt vmcnt(18)
	v_wmma_f32_16x16x16_f16 v[120:127], v[1:8], v[33:40], v[96:103]
	s_waitcnt vmcnt(16)
	v_wmma_f32_16x16x16_f16 v[96:103], v[9:16], v[33:40], v[96:103]
	s_clause 0x3
	global_load_b128 v[33:36], v[130:131], off
	global_load_b128 v[37:40], v[130:131], off offset:16
	global_load_b128 v[1:4], v[132:133], off
	global_load_b128 v[5:8], v[132:133], off offset:16
	s_waitcnt vmcnt(18)
	v_wmma_f32_16x16x16_f16 v[120:127], v[17:24], v[104:111], v[120:127]
	s_clause 0x3
	global_load_b128 v[9:12], v[134:135], off
	global_load_b128 v[13:16], v[134:135], off offset:16
	global_load_b128 v[17:20], v[136:137], off
	global_load_b128 v[21:24], v[136:137], off offset:16
	s_waitcnt vmcnt(20)
	v_wmma_f32_16x16x16_f16 v[96:103], v[25:32], v[104:111], v[96:103]
	v_mad_i64_i32 v[104:105], null, s2, s17, v[128:129]
	s_waitcnt vmcnt(18)
	v_wmma_f32_16x16x16_f16 v[120:127], v[57:64], v[112:119], v[120:127]
	s_clause 0x1
	global_load_b128 v[25:28], v[138:139], off
	global_load_b128 v[29:32], v[138:139], off offset:16
	s_waitcnt vmcnt(18)
	v_wmma_f32_16x16x16_f16 v[96:103], v[72:79], v[112:119], v[96:103]
	s_clause 0x1
	global_load_b128 v[57:60], v[104:105], off
	global_load_b128 v[61:64], v[104:105], off offset:16
	ds_load_b128 v[72:75], v68 offset:6144
	ds_load_b128 v[76:79], v68 offset:7168
	v_and_b32_e32 v104, 0xe0, v0
	v_mbcnt_lo_u32_b32 v105, -1, 0
	s_waitcnt vmcnt(0) lgkmcnt(0)
	s_barrier
	buffer_gl0_inv
	v_add_nc_u32_e32 v104, s12, v104
	v_xor_b32_e32 v106, 16, v105
	s_delay_alu instid0(VALU_DEP_2) | instskip(NEXT) | instid1(VALU_DEP_2)
	v_or_b32_e32 v104, v104, v66
	v_cmp_gt_i32_e32 vcc_lo, 32, v106
	s_delay_alu instid0(VALU_DEP_2)
	v_or_b32_e32 v107, 4, v104
	v_or_b32_e32 v108, 6, v104
	v_cmp_gt_i32_e64 s2, s24, v104
	v_or_b32_e32 v109, 8, v104
	v_wmma_f32_16x16x16_f16 v[120:127], v[80:87], v[72:79], v[120:127]
	v_cndmask_b32_e32 v105, v105, v106, vcc_lo
	v_or_b32_e32 v106, 2, v104
	v_wmma_f32_16x16x16_f16 v[96:103], v[88:95], v[72:79], v[96:103]
	v_or_b32_e32 v80, 10, v104
	v_dual_mul_f32 v90, s19, v120 :: v_dual_mul_f32 v89, s19, v121
	s_delay_alu instid0(VALU_DEP_4) | instskip(NEXT) | instid1(VALU_DEP_4)
	v_cmp_gt_i32_e32 vcc_lo, s24, v106
	v_dual_mul_f32 v94, s19, v100 :: v_dual_mul_f32 v77, s19, v125
	v_dual_mul_f32 v88, s19, v122 :: v_dual_mul_f32 v79, s19, v123
	v_mul_f32_e32 v92, s19, v102
	v_cndmask_b32_e64 v90, 0xff7fffff, v90, s2
	v_cndmask_b32_e32 v89, 0xff7fffff, v89, vcc_lo
	v_cmp_gt_i32_e64 s3, s24, v107
	v_cmp_gt_i32_e64 s4, s24, v108
	v_or_b32_e32 v81, 12, v104
	v_or_b32_e32 v82, 14, v104
	v_mul_f32_e32 v78, s19, v124
	v_cndmask_b32_e64 v88, 0xff7fffff, v88, s3
	v_cndmask_b32_e64 v79, 0xff7fffff, v79, s4
	v_max3_f32 v89, v90, 0xff7fffff, v89
	v_cmp_gt_i32_e64 s5, s24, v109
	v_cmp_gt_i32_e64 s6, s24, v80
	v_or_b32_e32 v83, 16, v104
	v_or_b32_e32 v84, 18, v104
	v_dual_mul_f32 v75, s19, v127 :: v_dual_mul_f32 v76, s19, v126
	v_cndmask_b32_e64 v78, 0xff7fffff, v78, s5
	v_cndmask_b32_e64 v77, 0xff7fffff, v77, s6
	v_max3_f32 v79, v89, v88, v79
	v_cmp_gt_i32_e64 s7, s24, v81
	v_cmp_gt_i32_e64 s8, s24, v82
	v_or_b32_e32 v85, 20, v104
	v_or_b32_e32 v86, 22, v104
	;; [unrolled: 1-line block ×6, first 2 shown]
	v_dual_mul_f32 v95, s19, v99 :: v_dual_mul_f32 v104, s19, v97
	v_mul_f32_e32 v107, s19, v96
	v_cndmask_b32_e64 v76, 0xff7fffff, v76, s7
	v_cndmask_b32_e64 v75, 0xff7fffff, v75, s8
	v_max3_f32 v77, v79, v78, v77
	v_cmp_gt_i32_e64 s9, s24, v83
	v_cmp_gt_i32_e64 s10, s24, v84
	v_dual_mul_f32 v91, s19, v103 :: v_dual_mul_f32 v106, s19, v98
	s_delay_alu instid0(VALU_DEP_4) | instskip(NEXT) | instid1(VALU_DEP_4)
	v_max3_f32 v75, v77, v76, v75
	v_cndmask_b32_e64 v78, 0xff7fffff, v107, s9
	s_delay_alu instid0(VALU_DEP_4)
	v_cndmask_b32_e64 v79, 0xff7fffff, v104, s10
	v_cmp_gt_i32_e64 s11, s24, v85
	v_cmp_gt_i32_e64 s12, s24, v86
	v_mul_f32_e32 v93, s19, v101
	v_cmp_gt_i32_e64 s13, s24, v87
	v_max3_f32 v75, v75, v78, v79
	v_cndmask_b32_e64 v76, 0xff7fffff, v106, s11
	v_cndmask_b32_e64 v77, 0xff7fffff, v95, s12
	v_cmp_gt_i32_e64 s15, s24, v72
	v_cndmask_b32_e64 v78, 0xff7fffff, v94, s13
	v_cmp_gt_i32_e64 s16, s24, v73
	v_cmp_gt_i32_e64 s17, s24, v74
	v_max3_f32 v75, v75, v76, v77
	v_cndmask_b32_e64 v72, 0xff7fffff, v93, s15
	s_delay_alu instid0(VALU_DEP_4) | instskip(NEXT) | instid1(VALU_DEP_4)
	v_cndmask_b32_e64 v73, 0xff7fffff, v92, s16
	v_cndmask_b32_e64 v74, 0xff7fffff, v91, s17
	s_delay_alu instid0(VALU_DEP_3) | instskip(SKIP_1) | instid1(VALU_DEP_2)
	v_max3_f32 v72, v75, v78, v72
	v_lshlrev_b32_e32 v75, 2, v105
	v_max3_f32 v72, v72, v73, v74
	ds_bpermute_b32 v73, v75, v72
	s_waitcnt lgkmcnt(0)
	v_max_f32_e32 v73, v73, v73
	s_delay_alu instid0(VALU_DEP_1) | instskip(NEXT) | instid1(VALU_DEP_1)
	v_max_f32_e32 v72, v72, v73
	v_fma_f32 v76, s19, v122, -v72
	v_fma_f32 v73, s19, v120, -v72
	;; [unrolled: 1-line block ×5, first 2 shown]
	v_mul_f32_e32 v76, 0x3fb8aa3b, v76
	v_fma_f32 v82, s19, v126, -v72
	s_delay_alu instid0(VALU_DEP_4) | instskip(SKIP_1) | instid1(VALU_DEP_4)
	v_dual_mul_f32 v79, 0x3fb8aa3b, v79 :: v_dual_mul_f32 v74, 0x3fb8aa3b, v74
	v_fma_f32 v86, s19, v99, -v72
	v_exp_f32_e32 v76, v76
	s_delay_alu instid0(VALU_DEP_3) | instskip(NEXT) | instid1(VALU_DEP_3)
	v_mul_f32_e32 v82, 0x3fb8aa3b, v82
	v_exp_f32_e32 v83, v79
	v_exp_f32_e32 v74, v74
	v_mul_f32_e32 v88, 0x3fb8aa3b, v86
	v_fma_f32 v91, s19, v103, -v72
	v_exp_f32_e32 v84, v82
	v_fma_f32 v89, s19, v101, -v72
	s_delay_alu instid0(VALU_DEP_3)
	v_exp_f32_e32 v90, v88
	v_cndmask_b32_e64 v80, 0, v76, s3
	v_mul_f32_e32 v73, 0x3fb8aa3b, v73
	v_fma_f32 v76, s19, v127, -v72
	v_mul_f32_e32 v77, 0x3fb8aa3b, v77
	v_cndmask_b32_e64 v82, 0, v83, s5
	v_fma_f32 v83, s19, v97, -v72
	v_exp_f32_e32 v73, v73
	v_mul_f32_e32 v76, 0x3fb8aa3b, v76
	v_exp_f32_e32 v81, v77
	v_cndmask_b32_e64 v84, 0, v84, s7
	v_mul_f32_e32 v83, 0x3fb8aa3b, v83
	v_mul_f32_e32 v89, 0x3fb8aa3b, v89
	v_exp_f32_e32 v76, v76
	s_delay_alu instid0(VALU_DEP_2) | instskip(SKIP_2) | instid1(TRANS32_DEP_3)
	v_exp_f32_e32 v87, v83
	v_cndmask_b32_e64 v78, 0, v73, s2
	v_fma_f32 v73, s19, v125, -v72
	v_cndmask_b32_e64 v79, 0, v81, s4
	v_cndmask_b32_e32 v77, 0, v74, vcc_lo
	v_fma_f32 v81, s19, v96, -v72
	s_delay_alu instid0(VALU_DEP_4) | instskip(NEXT) | instid1(TRANS32_DEP_2)
	v_dual_add_f32 v74, 0, v78 :: v_dual_mul_f32 v73, 0x3fb8aa3b, v73
	v_cndmask_b32_e64 v83, 0, v76, s8
	v_fma_f32 v76, s19, v100, -v72
	s_delay_alu instid0(VALU_DEP_4) | instskip(NEXT) | instid1(VALU_DEP_4)
	v_mul_f32_e32 v85, 0x3fb8aa3b, v81
	v_add_f32_e32 v74, v74, v77
	v_exp_f32_e32 v73, v73
	v_exp_f32_e32 v89, v89
	v_mul_f32_e32 v76, 0x3fb8aa3b, v76
	v_exp_f32_e32 v85, v85
	v_add_f32_e32 v74, v74, v80
	s_mov_b32 s2, exec_lo
	s_delay_alu instid0(VALU_DEP_2) | instskip(NEXT) | instid1(VALU_DEP_1)
	v_exp_f32_e32 v76, v76
	v_add_f32_e32 v74, v74, v79
	v_cndmask_b32_e64 v81, 0, v73, s6
	s_delay_alu instid0(TRANS32_DEP_3)
	v_cndmask_b32_e64 v89, 0, v89, s15
	s_waitcnt_depctr 0xfff
	v_cndmask_b32_e64 v86, 0, v85, s9
	v_cndmask_b32_e64 v85, 0, v87, s10
	v_fma_f32 v87, s19, v102, -v72
	v_add_f32_e32 v73, v74, v82
	v_fma_f32 v74, s19, v98, -v72
	s_delay_alu instid0(VALU_DEP_1) | instskip(NEXT) | instid1(VALU_DEP_1)
	v_mul_f32_e32 v74, 0x3fb8aa3b, v74
	v_exp_f32_e32 v74, v74
	s_waitcnt_depctr 0xfff
	v_cndmask_b32_e64 v88, 0, v74, s11
	v_dual_mul_f32 v74, 0x3fb8aa3b, v87 :: v_dual_add_f32 v73, v73, v81
	v_cndmask_b32_e64 v87, 0, v90, s12
	v_cndmask_b32_e64 v90, 0, v76, s13
	v_mul_f32_e32 v76, 0x3fb8aa3b, v91
	s_delay_alu instid0(VALU_DEP_4) | instskip(SKIP_1) | instid1(VALU_DEP_2)
	v_exp_f32_e32 v74, v74
	v_add_f32_e32 v73, v73, v84
	v_exp_f32_e32 v76, v76
	s_delay_alu instid0(VALU_DEP_1) | instskip(SKIP_4) | instid1(VALU_DEP_2)
	v_add_f32_e32 v73, v73, v83
	s_waitcnt_depctr 0xfff
	v_cndmask_b32_e64 v92, 0, v74, s16
	v_add_f32_e32 v73, v73, v86
	v_cndmask_b32_e64 v91, 0, v76, s17
	v_add_f32_e32 v73, v73, v85
	s_delay_alu instid0(VALU_DEP_1) | instskip(NEXT) | instid1(VALU_DEP_1)
	v_add_f32_e32 v73, v73, v88
	v_add_f32_e32 v73, v73, v87
	s_delay_alu instid0(VALU_DEP_1) | instskip(NEXT) | instid1(VALU_DEP_1)
	v_add_f32_e32 v73, v73, v90
	;; [unrolled: 3-line block ×3, first 2 shown]
	v_add_f32_e32 v73, v73, v91
	ds_bpermute_b32 v74, v75, v73
	v_cmpx_gt_u32_e32 16, v71
	s_cbranch_execz .LBB1229_12
; %bb.11:
	v_mul_u32_u24_e32 v71, 0x44, v69
	s_waitcnt lgkmcnt(0)
	v_add_f32_e32 v73, v73, v74
	s_delay_alu instid0(VALU_DEP_2) | instskip(NEXT) | instid1(VALU_DEP_1)
	v_lshl_add_u32 v71, v70, 2, v71
	v_add_nc_u32_e32 v71, 0x4000, v71
	ds_store_2addr_b32 v71, v72, v73 offset1:136
.LBB1229_12:
	s_or_b32 exec_lo, exec_lo, s2
	v_lshlrev_b32_e32 v70, 2, v70
	s_load_b32 s34, s[0:1], 0x94
	s_waitcnt lgkmcnt(0)
	s_barrier
	buffer_gl0_inv
	v_add_nc_u32_e32 v74, 0x4000, v70
	v_cmp_eq_u32_e32 vcc_lo, 1, v69
	v_cmp_eq_u32_e64 s2, 2, v69
	v_cmp_eq_u32_e64 s3, 3, v69
	;; [unrolled: 1-line block ×3, first 2 shown]
	ds_load_2addr_b32 v[70:71], v74 offset1:17
	ds_load_2addr_b32 v[72:73], v74 offset0:34 offset1:51
	ds_load_2addr_b32 v[93:94], v74 offset0:68 offset1:85
	;; [unrolled: 1-line block ×3, first 2 shown]
	v_cmp_eq_u32_e64 s5, 7, v69
	s_waitcnt lgkmcnt(3)
	v_max3_f32 v75, v70, 0xff7fffff, v71
	s_waitcnt lgkmcnt(2)
	s_delay_alu instid0(VALU_DEP_1) | instskip(SKIP_1) | instid1(VALU_DEP_1)
	v_max3_f32 v75, v75, v72, v73
	s_waitcnt lgkmcnt(1)
	v_max3_f32 v75, v75, v93, v94
	s_waitcnt lgkmcnt(0)
	s_delay_alu instid0(VALU_DEP_1) | instskip(NEXT) | instid1(VALU_DEP_1)
	v_max3_f32 v75, v75, v95, v96
	v_sub_f32_e32 v93, v93, v75
	ds_load_2addr_b32 v[97:98], v74 offset0:136 offset1:153
	v_sub_f32_e32 v70, v70, v75
	v_dual_sub_f32 v100, v73, v75 :: v_dual_mul_f32 v103, 0x3fb8aa3b, v93
	s_delay_alu instid0(VALU_DEP_2) | instskip(SKIP_3) | instid1(VALU_DEP_1)
	v_dual_sub_f32 v76, v71, v75 :: v_dual_mul_f32 v99, 0x3fb8aa3b, v70
	ds_load_2addr_b32 v[70:71], v74 offset0:170 offset1:187
	v_mul_f32_e32 v76, 0x3fb8aa3b, v76
	v_exp_f32_e32 v99, v99
	v_exp_f32_e32 v102, v76
	v_mul_f32_e32 v100, 0x3fb8aa3b, v100
	s_waitcnt lgkmcnt(1)
	s_waitcnt_depctr 0xfff
	v_fma_f32 v76, v99, v97, 0
	v_sub_f32_e32 v97, v94, v75
	v_sub_f32_e32 v72, v72, v75
	v_exp_f32_e32 v100, v100
	ds_load_2addr_b32 v[93:94], v74 offset0:238 offset1:255
	v_dual_fmac_f32 v76, v102, v98 :: v_dual_mul_f32 v101, 0x3fb8aa3b, v72
	ds_load_2addr_b32 v[72:73], v74 offset0:204 offset1:221
	v_dual_sub_f32 v74, v95, v75 :: v_dual_mul_f32 v95, 0x3fb8aa3b, v97
	v_exp_f32_e32 v97, v103
	v_exp_f32_e32 v101, v101
	s_waitcnt lgkmcnt(0)
	s_delay_alu instid0(VALU_DEP_1)
	v_mul_f32_e32 v74, 0x3fb8aa3b, v74
	v_exp_f32_e32 v95, v95
	s_barrier
	buffer_gl0_inv
	v_fmac_f32_e32 v76, v101, v70
	v_sub_f32_e32 v70, v96, v75
	v_exp_f32_e32 v96, v74
	s_delay_alu instid0(VALU_DEP_2) | instskip(NEXT) | instid1(VALU_DEP_2)
	v_fmac_f32_e32 v76, v100, v71
	v_mul_f32_e32 v70, 0x3fb8aa3b, v70
	s_delay_alu instid0(VALU_DEP_2) | instskip(NEXT) | instid1(VALU_DEP_2)
	v_dual_cndmask_b32 v71, v99, v102 :: v_dual_fmac_f32 v76, v97, v72
	v_exp_f32_e32 v98, v70
	s_delay_alu instid0(VALU_DEP_1) | instskip(SKIP_2) | instid1(VALU_DEP_1)
	v_fmac_f32_e32 v76, v95, v73
	s_waitcnt_depctr 0xfff
	v_fmac_f32_e32 v76, v96, v93
	v_fmac_f32_e32 v76, v98, v94
	s_delay_alu instid0(VALU_DEP_1) | instskip(NEXT) | instid1(VALU_DEP_1)
	v_add_f32_e32 v93, 0x358637bd, v76
	v_div_scale_f32 v94, null, v93, v93, 1.0
	v_div_scale_f32 v99, vcc_lo, 1.0, v93, 1.0
	s_delay_alu instid0(VALU_DEP_2) | instskip(SKIP_2) | instid1(VALU_DEP_1)
	v_rcp_f32_e32 v103, v94
	s_waitcnt_depctr 0xfff
	v_fma_f32 v70, -v94, v103, 1.0
	v_fmac_f32_e32 v103, v70, v103
	v_cndmask_b32_e64 v70, v71, v101, s2
	v_cmp_eq_u32_e64 s2, 4, v69
	v_lshlrev_b32_e32 v71, 2, v66
	s_delay_alu instid0(VALU_DEP_4) | instskip(NEXT) | instid1(VALU_DEP_4)
	v_mul_f32_e32 v101, v99, v103
	v_cndmask_b32_e64 v72, v70, v100, s3
	v_cmp_eq_u32_e64 s3, 6, v69
	v_lshl_or_b32 v70, v69, 11, v68
	v_or_b32_e32 v74, 1, v71
	v_fma_f32 v73, -v94, v101, v99
	v_cndmask_b32_e64 v72, v72, v97, s2
	v_cmp_eq_u32_e64 s2, 1, v71
	v_lshl_or_b32 v69, v66, 4, v70
	v_cmp_eq_u32_e64 s8, 1, v74
	v_fmac_f32_e32 v101, v73, v103
	v_cndmask_b32_e64 v95, v72, v95, s4
	v_or_b32_e32 v72, 2, v71
	v_or_b32_e32 v73, 3, v71
	v_cmp_eq_u32_e64 s11, 2, v74
	v_fma_f32 v94, -v94, v101, v99
	v_cndmask_b32_e64 v95, v95, v96, s3
	v_cmp_eq_u32_e64 s9, 1, v72
	v_cmp_eq_u32_e64 s10, 1, v73
	;; [unrolled: 1-line block ×3, first 2 shown]
	v_div_fmas_f32 v94, v94, v103, v101
	v_cndmask_b32_e64 v95, v95, v98, s5
	v_cmp_eq_u32_e32 vcc_lo, 2, v71
	v_cmp_eq_u32_e64 s15, 2, v73
	v_cmp_eq_u32_e64 s17, 3, v73
	v_div_fixup_f32 v93, v94, v93, 1.0
	v_cmp_eq_u32_e64 s3, 3, v71
	v_cmp_eq_u32_e64 s12, 3, v74
	;; [unrolled: 1-line block ×4, first 2 shown]
	v_mul_f32_e32 v101, v95, v93
	v_cmp_eq_u32_e64 s4, 4, v71
	v_cmp_eq_u32_e64 s18, 4, v74
	;; [unrolled: 1-line block ×4, first 2 shown]
	v_fma_mixlo_f16 v93, v101, v78, 0
	v_fma_mixlo_f16 v94, v101, v80, 0
	;; [unrolled: 1-line block ×8, first 2 shown]
	v_fma_mixhi_f16 v93, v101, v77, 0
	v_fma_mixhi_f16 v94, v101, v79, 0
	;; [unrolled: 1-line block ×8, first 2 shown]
	ds_store_b128 v69, v[93:96]
	ds_store_b128 v69, v[97:100] offset:1024
	s_waitcnt lgkmcnt(0)
	s_barrier
	buffer_gl0_inv
	ds_load_b128 v[77:80], v70
	ds_load_b128 v[81:84], v70 offset:16
	ds_load_b128 v[85:88], v70 offset:1024
	;; [unrolled: 1-line block ×3, first 2 shown]
	v_cmp_eq_u32_e64 s5, 5, v71
	v_cmp_eq_u32_e64 s19, 5, v74
	;; [unrolled: 1-line block ×11, first 2 shown]
	s_waitcnt lgkmcnt(3)
	v_lshrrev_b32_e32 v93, 16, v77
	s_waitcnt lgkmcnt(2)
	v_lshrrev_b32_e32 v97, 16, v81
	;; [unrolled: 2-line block ×4, first 2 shown]
	v_lshrrev_b32_e32 v94, 16, v78
	v_cndmask_b32_e64 v109, v77, v93, s2
	v_cndmask_b32_e64 v110, v81, v97, s2
	;; [unrolled: 1-line block ×8, first 2 shown]
	v_lshrrev_b32_e32 v98, 16, v82
	v_cndmask_b32_e64 v93, v85, v101, s2
	v_cndmask_b32_e64 v97, v89, v105, s2
	;; [unrolled: 1-line block ×5, first 2 shown]
	v_cndmask_b32_e32 v101, v109, v78, vcc_lo
	v_cndmask_b32_e64 v109, v111, v78, s11
	v_cndmask_b32_e64 v111, v113, v78, s13
	v_cndmask_b32_e64 v77, v77, v78, s15
	v_cndmask_b32_e64 v78, v81, v82, s15
	v_lshrrev_b32_e32 v102, 16, v86
	v_lshrrev_b32_e32 v106, 16, v90
	v_cndmask_b32_e64 v116, v89, v105, s8
	v_cndmask_b32_e64 v118, v89, v105, s9
	;; [unrolled: 1-line block ×3, first 2 shown]
	v_cndmask_b32_e32 v105, v110, v82, vcc_lo
	v_cndmask_b32_e64 v110, v112, v82, s11
	v_cndmask_b32_e64 v112, v114, v82, s13
	v_cndmask_b32_e32 v81, v93, v86, vcc_lo
	v_cndmask_b32_e32 v82, v97, v90, vcc_lo
	v_cndmask_b32_e64 v93, v115, v86, s11
	v_cndmask_b32_e64 v77, v77, v94, s17
	v_cndmask_b32_e64 v78, v78, v98, s17
	v_lshrrev_b32_e32 v95, 16, v79
	v_lshrrev_b32_e32 v99, 16, v83
	v_cndmask_b32_e64 v97, v117, v86, s13
	v_cndmask_b32_e64 v85, v85, v86, s15
	;; [unrolled: 1-line block ×14, first 2 shown]
	v_lshrrev_b32_e32 v103, 16, v87
	v_cndmask_b32_e64 v89, v89, v79, s4
	v_cndmask_b32_e64 v94, v101, v83, s4
	;; [unrolled: 1-line block ×11, first 2 shown]
	v_lshrrev_b32_e32 v96, 16, v80
	v_lshrrev_b32_e32 v100, 16, v84
	v_cndmask_b32_e64 v83, v89, v95, s5
	v_cndmask_b32_e64 v89, v94, v99, s5
	;; [unrolled: 1-line block ×9, first 2 shown]
	v_lshrrev_b32_e32 v104, 16, v88
	v_cndmask_b32_e64 v79, v79, v103, s5
	v_cndmask_b32_e64 v83, v83, v80, s6
	;; [unrolled: 1-line block ×19, first 2 shown]
	v_perm_b32 v80, v78, v77, 0x5040100
	v_cndmask_b32_e64 v77, v116, v90, s11
	v_cndmask_b32_e64 v95, v79, v104, s7
	v_perm_b32 v79, v93, v89, 0x5040100
	v_perm_b32 v78, v94, v84, 0x5040100
	v_cndmask_b32_e64 v84, v97, v102, s16
	v_cndmask_b32_e64 v85, v85, v102, s17
	;; [unrolled: 1-line block ×5, first 2 shown]
	v_lshrrev_b32_e32 v107, 16, v91
	v_cndmask_b32_e64 v84, v84, v87, s20
	v_cndmask_b32_e64 v85, v85, v87, s21
	;; [unrolled: 1-line block ×11, first 2 shown]
	v_lshrrev_b32_e32 v108, 16, v92
	v_cndmask_b32_e64 v81, v81, v92, s6
	v_cndmask_b32_e64 v84, v84, v88, s25
	;; [unrolled: 1-line block ×12, first 2 shown]
	v_perm_b32 v77, v83, v82, 0x5040100
	v_perm_b32 v84, v85, v84, 0x5040100
	;; [unrolled: 1-line block ×5, first 2 shown]
	s_lshl_b32 s7, s33, 4
	s_mov_b32 s2, exec_lo
	ds_store_b128 v69, v[77:80]
	ds_store_b128 v69, v[81:84] offset:1024
	v_cmpx_gt_u32_e32 16, v0
	s_cbranch_execz .LBB1229_14
; %bb.13:
	v_or_b32_e32 v77, s31, v0
	s_load_b128 s[8:11], s[0:1], 0x58
	s_delay_alu instid0(VALU_DEP_1) | instskip(NEXT) | instid1(VALU_DEP_1)
	v_mad_u64_u32 v[78:79], null, s7, s30, v[77:78]
	v_mad_u64_u32 v[79:80], null, v78, s34, s[14:15]
	s_delay_alu instid0(VALU_DEP_1) | instskip(NEXT) | instid1(VALU_DEP_1)
	v_ashrrev_i32_e32 v80, 31, v79
	v_lshlrev_b64 v[77:78], 2, v[79:80]
	s_waitcnt lgkmcnt(0)
	s_delay_alu instid0(VALU_DEP_1) | instskip(NEXT) | instid1(VALU_DEP_2)
	v_add_co_u32 v79, vcc_lo, s10, v77
	v_add_co_ci_u32_e32 v80, vcc_lo, s11, v78, vcc_lo
	v_add_co_u32 v77, vcc_lo, s8, v77
	v_add_co_ci_u32_e32 v78, vcc_lo, s9, v78, vcc_lo
	global_store_b32 v[79:80], v75, off
	global_store_b32 v[77:78], v76, off
.LBB1229_14:
	s_or_b32 exec_lo, exec_lo, s2
	s_waitcnt lgkmcnt(0)
	s_waitcnt_vscnt null, 0x0
	s_barrier
	buffer_gl0_inv
	ds_load_b128 v[83:86], v68
	ds_load_b128 v[87:90], v68 offset:16
	ds_load_b128 v[95:98], v68 offset:2064
	ds_load_b128 v[91:94], v68 offset:2048
	ds_load_b128 v[103:106], v68 offset:4112
	ds_load_b128 v[99:102], v68 offset:4096
	v_cmp_eq_u32_e32 vcc_lo, 1, v71
	v_mov_b32_e32 v75, 0
	ds_load_b128 v[111:114], v68 offset:6160
	ds_load_b128 v[107:110], v68 offset:6144
	;; [unrolled: 1-line block ×4, first 2 shown]
	v_cmp_eq_u32_e64 s3, 1, v72
	v_cmp_eq_u32_e64 s2, 1, v74
	;; [unrolled: 1-line block ×3, first 2 shown]
	v_mov_b32_e32 v76, v75
	v_mov_b32_e32 v77, v75
	v_mov_b32_e32 v78, v75
	v_mov_b32_e32 v79, v75
	v_mov_b32_e32 v80, v75
	v_mov_b32_e32 v81, v75
	v_mov_b32_e32 v82, v75
	v_cmp_eq_u32_e64 s5, 3, v74
	v_cmp_eq_u32_e64 s6, 7, v74
	s_waitcnt lgkmcnt(8)
	s_delay_alu instid0(VALU_DEP_3)
	v_wmma_f32_16x16x16_f16 v[75:82], v[49:56], v[83:90], v[75:82]
	ds_load_b128 v[53:56], v68 offset:10256
	ds_load_b128 v[49:52], v68 offset:10240
	s_waitcnt lgkmcnt(8)
	v_wmma_f32_16x16x16_f16 v[75:82], v[41:48], v[91:98], v[75:82]
	ds_load_b128 v[45:48], v68 offset:12304
	ds_load_b128 v[41:44], v68 offset:12288
	s_waitcnt lgkmcnt(8)
	;; [unrolled: 4-line block ×3, first 2 shown]
	s_barrier
	buffer_gl0_inv
	v_wmma_f32_16x16x16_f16 v[75:82], v[1:8], v[107:114], v[75:82]
	s_delay_alu instid0(VALU_DEP_1) | instskip(NEXT) | instid1(VALU_DEP_1)
	v_wmma_f32_16x16x16_f16 v[75:82], v[9:16], v[115:122], v[75:82]
	v_wmma_f32_16x16x16_f16 v[75:82], v[17:24], v[49:56], v[75:82]
	s_delay_alu instid0(VALU_DEP_1) | instskip(NEXT) | instid1(VALU_DEP_1)
	v_wmma_f32_16x16x16_f16 v[75:82], v[25:32], v[41:48], v[75:82]
	v_wmma_f32_16x16x16_f16 v[75:82], v[57:64], v[33:40], v[75:82]
	s_delay_alu instid0(VALU_DEP_1) | instskip(NEXT) | instid1(VALU_DEP_2)
	v_cvt_f16_f32_e32 v1, v75
	v_cvt_f16_f32_e32 v2, v76
	s_delay_alu instid0(VALU_DEP_3) | instskip(NEXT) | instid1(VALU_DEP_4)
	v_cvt_f16_f32_e32 v3, v77
	v_cvt_f16_f32_e32 v4, v78
	;; [unrolled: 1-line block ×6, first 2 shown]
	v_pack_b32_f16 v1, v1, v2
	v_pack_b32_f16 v2, v3, v4
	;; [unrolled: 1-line block ×3, first 2 shown]
	s_delay_alu instid0(VALU_DEP_4)
	v_pack_b32_f16 v4, v7, v8
	ds_store_b128 v69, v[1:4]
	s_waitcnt lgkmcnt(0)
	s_barrier
	buffer_gl0_inv
	ds_load_b128 v[1:4], v70
	ds_load_b128 v[5:8], v70 offset:16
	s_waitcnt lgkmcnt(1)
	v_lshrrev_b32_e32 v9, 16, v1
	s_waitcnt lgkmcnt(0)
	v_lshrrev_b32_e32 v13, 16, v5
	v_lshrrev_b32_e32 v10, 16, v2
	;; [unrolled: 1-line block ×4, first 2 shown]
	v_cndmask_b32_e32 v17, v1, v9, vcc_lo
	v_cndmask_b32_e32 v18, v5, v13, vcc_lo
	v_cndmask_b32_e64 v21, v1, v9, s3
	v_cmp_eq_u32_e32 vcc_lo, 1, v73
	v_cndmask_b32_e64 v22, v5, v13, s3
	v_cmp_eq_u32_e64 s3, 2, v71
	v_cndmask_b32_e64 v19, v1, v9, s2
	v_cndmask_b32_e64 v20, v5, v13, s2
	v_cndmask_b32_e32 v1, v1, v9, vcc_lo
	v_cmp_eq_u32_e64 s2, 2, v73
	v_cndmask_b32_e32 v5, v5, v13, vcc_lo
	v_cndmask_b32_e64 v9, v17, v2, s3
	v_cmp_eq_u32_e32 vcc_lo, 3, v71
	v_cndmask_b32_e64 v13, v18, v6, s3
	v_cmp_eq_u32_e64 s3, 2, v72
	v_cndmask_b32_e64 v17, v19, v2, s4
	v_cndmask_b32_e64 v18, v20, v6, s4
	v_cmp_eq_u32_e64 s4, 3, v72
	v_cndmask_b32_e64 v1, v1, v2, s2
	v_cndmask_b32_e64 v19, v21, v2, s3
	v_cndmask_b32_e64 v20, v22, v6, s3
	v_cndmask_b32_e64 v2, v5, v6, s2
	v_cndmask_b32_e32 v5, v9, v10, vcc_lo
	v_cndmask_b32_e32 v6, v13, v14, vcc_lo
	v_cmp_eq_u32_e32 vcc_lo, 3, v73
	v_cndmask_b32_e64 v9, v17, v10, s5
	v_cndmask_b32_e64 v13, v18, v14, s5
	;; [unrolled: 1-line block ×3, first 2 shown]
	v_cmp_eq_u32_e64 s3, 4, v71
	v_cndmask_b32_e32 v1, v1, v10, vcc_lo
	v_cndmask_b32_e32 v2, v2, v14, vcc_lo
	v_cmp_eq_u32_e32 vcc_lo, 4, v74
	v_lshrrev_b32_e32 v15, 16, v7
	v_lshrrev_b32_e32 v16, 16, v8
	v_cndmask_b32_e64 v17, v19, v10, s4
	v_cmp_eq_u32_e64 s2, 4, v73
	v_cndmask_b32_e64 v5, v5, v3, s3
	v_cndmask_b32_e64 v6, v6, v7, s3
	v_cndmask_b32_e32 v9, v9, v3, vcc_lo
	v_cmp_eq_u32_e64 s3, 5, v74
	v_cndmask_b32_e32 v10, v13, v7, vcc_lo
	v_cmp_eq_u32_e32 vcc_lo, 4, v72
	v_cmp_eq_u32_e64 s4, 5, v71
	v_cndmask_b32_e64 v2, v2, v7, s2
	v_cndmask_b32_e64 v9, v9, v11, s3
	;; [unrolled: 1-line block ×3, first 2 shown]
	v_cndmask_b32_e32 v13, v17, v3, vcc_lo
	v_cmp_eq_u32_e64 s3, 5, v72
	v_cndmask_b32_e32 v14, v18, v7, vcc_lo
	v_cndmask_b32_e64 v1, v1, v3, s2
	v_cmp_eq_u32_e32 vcc_lo, 5, v73
	v_lshrrev_b32_e32 v12, 16, v4
	v_cndmask_b32_e64 v13, v13, v11, s3
	v_cndmask_b32_e64 v3, v14, v15, s3
	v_cmp_eq_u32_e64 s3, 6, v73
	v_cndmask_b32_e32 v1, v1, v11, vcc_lo
	v_cndmask_b32_e64 v5, v5, v11, s4
	v_cmp_eq_u32_e64 s5, 6, v71
	v_cndmask_b32_e64 v6, v6, v15, s4
	v_cmp_eq_u32_e64 s4, 6, v74
	v_cmp_eq_u32_e64 s2, 6, v72
	v_cndmask_b32_e64 v1, v1, v4, s3
	v_cndmask_b32_e32 v2, v2, v15, vcc_lo
	v_cmp_eq_u32_e32 vcc_lo, 7, v73
	v_cndmask_b32_e64 v5, v5, v4, s5
	v_cndmask_b32_e64 v9, v9, v4, s4
	;; [unrolled: 1-line block ×3, first 2 shown]
	v_cmp_eq_u32_e64 s5, 7, v71
	v_cndmask_b32_e32 v1, v1, v12, vcc_lo
	v_cndmask_b32_e64 v7, v13, v4, s2
	v_cndmask_b32_e64 v3, v3, v8, s2
	;; [unrolled: 1-line block ×3, first 2 shown]
	v_cmp_eq_u32_e64 s2, 7, v72
	v_cndmask_b32_e64 v4, v10, v8, s4
	v_cndmask_b32_e64 v5, v5, v12, s5
	;; [unrolled: 1-line block ×3, first 2 shown]
	v_cndmask_b32_e32 v2, v2, v16, vcc_lo
	v_cndmask_b32_e64 v7, v7, v12, s2
	v_cndmask_b32_e64 v3, v3, v16, s2
	;; [unrolled: 1-line block ×4, first 2 shown]
	v_perm_b32 v4, v2, v1, 0x5040100
	s_mov_b32 s2, exec_lo
	v_perm_b32 v3, v3, v7, 0x5040100
	v_perm_b32 v2, v8, v9, 0x5040100
	;; [unrolled: 1-line block ×3, first 2 shown]
	ds_store_b128 v69, v[1:4]
	s_waitcnt lgkmcnt(0)
	s_barrier
	buffer_gl0_inv
	v_cmpx_gt_u32_e32 32, v0
	s_cbranch_execz .LBB1229_2
; %bb.15:
	s_load_b64 s[0:1], s[0:1], 0x68
	v_lshlrev_b32_e32 v0, 10, v0
	s_lshl_b32 s4, s34, 7
	v_or_b32_e32 v23, s31, v66
	s_mul_i32 s2, s4, s30
	v_lshlrev_b32_e32 v1, 4, v67
	v_lshlrev_b32_e32 v2, 6, v66
	s_mul_i32 s2, s2, s7
	v_and_b32_e32 v0, 0x3800, v0
	v_mul_lo_u32 v8, v23, s4
	s_ashr_i32 s3, s2, 31
	v_or_b32_e32 v3, 2, v23
	s_lshl_b64 s[2:3], s[2:3], 1
	v_or3_b32 v27, v0, v1, v2
	v_or_b32_e32 v11, 4, v23
	v_or_b32_e32 v18, 6, v23
	v_mul_lo_u32 v10, v3, s4
	v_ashrrev_i32_e32 v9, 31, v8
	ds_load_b128 v[0:3], v27
	ds_load_b128 v[4:7], v27 offset:128
	v_mul_lo_u32 v12, v11, s4
	s_waitcnt lgkmcnt(0)
	s_add_u32 s2, s0, s2
	s_addc_u32 s3, s1, s3
	s_lshl_b32 s0, s14, 7
	v_lshlrev_b64 v[8:9], 1, v[8:9]
	s_ashr_i32 s1, s0, 31
	v_ashrrev_i32_e32 v11, 31, v10
	s_lshl_b64 s[0:1], s[0:1], 1
	v_ashrrev_i32_e32 v13, 31, v12
	s_add_u32 s0, s2, s0
	s_addc_u32 s1, s3, s1
	v_add_co_u32 v30, s0, s0, v65
	s_delay_alu instid0(VALU_DEP_1) | instskip(SKIP_1) | instid1(VALU_DEP_3)
	v_add_co_ci_u32_e64 v31, null, s1, 0, s0
	v_lshlrev_b64 v[16:17], 1, v[10:11]
	v_add_co_u32 v14, vcc_lo, v30, v8
	s_delay_alu instid0(VALU_DEP_3)
	v_add_co_ci_u32_e32 v15, vcc_lo, v31, v9, vcc_lo
	ds_load_b128 v[8:11], v27 offset:256
	v_mul_lo_u32 v18, v18, s4
	v_or_b32_e32 v19, 8, v23
	v_add_co_u32 v16, vcc_lo, v30, v16
	global_store_b128 v[14:15], v[0:3], off
	v_lshlrev_b64 v[0:1], 1, v[12:13]
	v_add_co_ci_u32_e32 v17, vcc_lo, v31, v17, vcc_lo
	v_mul_lo_u32 v12, v19, s4
	v_ashrrev_i32_e32 v19, 31, v18
	v_or_b32_e32 v14, 10, v23
	global_store_b128 v[16:17], v[4:7], off
	v_add_co_u32 v4, vcc_lo, v30, v0
	v_add_co_ci_u32_e32 v5, vcc_lo, v31, v1, vcc_lo
	ds_load_b128 v[0:3], v27 offset:384
	v_ashrrev_i32_e32 v13, 31, v12
	v_lshlrev_b64 v[6:7], 1, v[18:19]
	v_mul_lo_u32 v14, v14, s4
	s_waitcnt lgkmcnt(1)
	global_store_b128 v[4:5], v[8:11], off
	v_or_b32_e32 v8, 12, v23
	v_lshlrev_b64 v[4:5], 1, v[12:13]
	v_add_co_u32 v20, vcc_lo, v30, v6
	v_or_b32_e32 v6, 14, v23
	v_ashrrev_i32_e32 v15, 31, v14
	v_mul_lo_u32 v22, v8, s4
	v_add_co_ci_u32_e32 v21, vcc_lo, v31, v7, vcc_lo
	v_add_co_u32 v24, vcc_lo, v30, v4
	v_mul_lo_u32 v26, v6, s4
	v_add_co_ci_u32_e32 v25, vcc_lo, v31, v5, vcc_lo
	v_lshlrev_b64 v[28:29], 1, v[14:15]
	ds_load_b128 v[4:7], v27 offset:512
	ds_load_b128 v[8:11], v27 offset:640
	;; [unrolled: 1-line block ×4, first 2 shown]
	v_ashrrev_i32_e32 v23, 31, v22
	v_ashrrev_i32_e32 v27, 31, v26
	v_add_co_u32 v28, vcc_lo, v30, v28
	s_delay_alu instid0(VALU_DEP_3) | instskip(SKIP_1) | instid1(VALU_DEP_4)
	v_lshlrev_b64 v[22:23], 1, v[22:23]
	v_add_co_ci_u32_e32 v29, vcc_lo, v31, v29, vcc_lo
	v_lshlrev_b64 v[26:27], 1, v[26:27]
	s_delay_alu instid0(VALU_DEP_3) | instskip(NEXT) | instid1(VALU_DEP_4)
	v_add_co_u32 v22, vcc_lo, v30, v22
	v_add_co_ci_u32_e32 v23, vcc_lo, v31, v23, vcc_lo
	s_delay_alu instid0(VALU_DEP_3) | instskip(NEXT) | instid1(VALU_DEP_4)
	v_add_co_u32 v26, vcc_lo, v30, v26
	v_add_co_ci_u32_e32 v27, vcc_lo, v31, v27, vcc_lo
	s_waitcnt lgkmcnt(4)
	global_store_b128 v[20:21], v[0:3], off
	s_waitcnt lgkmcnt(3)
	global_store_b128 v[24:25], v[4:7], off
	;; [unrolled: 2-line block ×5, first 2 shown]
	s_nop 0
	s_sendmsg sendmsg(MSG_DEALLOC_VGPRS)
	s_endpgm
	.section	.rodata,"a",@progbits
	.p2align	6, 0x0
	.amdhsa_kernel _Z39paged_attention_ll4mi_QKV_mfma16_kernelIDF16_hLN4vllm18Fp8KVCacheDataTypeE1EhLi16ELi128ELi256ELb1ELi16EL8MFMAType0EEvPKT_PKT0_S8_ifPKiSA_SA_iPKfiiiPfSD_PS3_PT2_iSC_SC_
		.amdhsa_group_segment_fixed_size 17472
		.amdhsa_private_segment_fixed_size 0
		.amdhsa_kernarg_size 400
		.amdhsa_user_sgpr_count 13
		.amdhsa_user_sgpr_dispatch_ptr 0
		.amdhsa_user_sgpr_queue_ptr 0
		.amdhsa_user_sgpr_kernarg_segment_ptr 1
		.amdhsa_user_sgpr_dispatch_id 0
		.amdhsa_user_sgpr_private_segment_size 0
		.amdhsa_wavefront_size32 1
		.amdhsa_uses_dynamic_stack 0
		.amdhsa_enable_private_segment 0
		.amdhsa_system_sgpr_workgroup_id_x 1
		.amdhsa_system_sgpr_workgroup_id_y 1
		.amdhsa_system_sgpr_workgroup_id_z 1
		.amdhsa_system_sgpr_workgroup_info 0
		.amdhsa_system_vgpr_workitem_id 0
		.amdhsa_next_free_vgpr 140
		.amdhsa_next_free_sgpr 35
		.amdhsa_reserve_vcc 1
		.amdhsa_float_round_mode_32 0
		.amdhsa_float_round_mode_16_64 0
		.amdhsa_float_denorm_mode_32 3
		.amdhsa_float_denorm_mode_16_64 3
		.amdhsa_dx10_clamp 1
		.amdhsa_ieee_mode 1
		.amdhsa_fp16_overflow 0
		.amdhsa_workgroup_processor_mode 1
		.amdhsa_memory_ordered 1
		.amdhsa_forward_progress 0
		.amdhsa_shared_vgpr_count 0
		.amdhsa_exception_fp_ieee_invalid_op 0
		.amdhsa_exception_fp_denorm_src 0
		.amdhsa_exception_fp_ieee_div_zero 0
		.amdhsa_exception_fp_ieee_overflow 0
		.amdhsa_exception_fp_ieee_underflow 0
		.amdhsa_exception_fp_ieee_inexact 0
		.amdhsa_exception_int_div_zero 0
	.end_amdhsa_kernel
	.section	.text._Z39paged_attention_ll4mi_QKV_mfma16_kernelIDF16_hLN4vllm18Fp8KVCacheDataTypeE1EhLi16ELi128ELi256ELb1ELi16EL8MFMAType0EEvPKT_PKT0_S8_ifPKiSA_SA_iPKfiiiPfSD_PS3_PT2_iSC_SC_,"axG",@progbits,_Z39paged_attention_ll4mi_QKV_mfma16_kernelIDF16_hLN4vllm18Fp8KVCacheDataTypeE1EhLi16ELi128ELi256ELb1ELi16EL8MFMAType0EEvPKT_PKT0_S8_ifPKiSA_SA_iPKfiiiPfSD_PS3_PT2_iSC_SC_,comdat
.Lfunc_end1229:
	.size	_Z39paged_attention_ll4mi_QKV_mfma16_kernelIDF16_hLN4vllm18Fp8KVCacheDataTypeE1EhLi16ELi128ELi256ELb1ELi16EL8MFMAType0EEvPKT_PKT0_S8_ifPKiSA_SA_iPKfiiiPfSD_PS3_PT2_iSC_SC_, .Lfunc_end1229-_Z39paged_attention_ll4mi_QKV_mfma16_kernelIDF16_hLN4vllm18Fp8KVCacheDataTypeE1EhLi16ELi128ELi256ELb1ELi16EL8MFMAType0EEvPKT_PKT0_S8_ifPKiSA_SA_iPKfiiiPfSD_PS3_PT2_iSC_SC_
                                        ; -- End function
	.section	.AMDGPU.csdata,"",@progbits
; Kernel info:
; codeLenInByte = 6832
; NumSgprs: 37
; NumVgprs: 140
; ScratchSize: 0
; MemoryBound: 0
; FloatMode: 240
; IeeeMode: 1
; LDSByteSize: 17472 bytes/workgroup (compile time only)
; SGPRBlocks: 4
; VGPRBlocks: 17
; NumSGPRsForWavesPerEU: 37
; NumVGPRsForWavesPerEU: 140
; Occupancy: 10
; WaveLimiterHint : 1
; COMPUTE_PGM_RSRC2:SCRATCH_EN: 0
; COMPUTE_PGM_RSRC2:USER_SGPR: 13
; COMPUTE_PGM_RSRC2:TRAP_HANDLER: 0
; COMPUTE_PGM_RSRC2:TGID_X_EN: 1
; COMPUTE_PGM_RSRC2:TGID_Y_EN: 1
; COMPUTE_PGM_RSRC2:TGID_Z_EN: 1
; COMPUTE_PGM_RSRC2:TIDIG_COMP_CNT: 0
	.section	.text._Z39paged_attention_ll4mi_QKV_mfma16_kernelIDF16_hLN4vllm18Fp8KVCacheDataTypeE1EhLi16ELi128ELi256ELb1ELi1EL8MFMAType0EEvPKT_PKT0_S8_ifPKiSA_SA_iPKfiiiPfSD_PS3_PT2_iSC_SC_,"axG",@progbits,_Z39paged_attention_ll4mi_QKV_mfma16_kernelIDF16_hLN4vllm18Fp8KVCacheDataTypeE1EhLi16ELi128ELi256ELb1ELi1EL8MFMAType0EEvPKT_PKT0_S8_ifPKiSA_SA_iPKfiiiPfSD_PS3_PT2_iSC_SC_,comdat
	.protected	_Z39paged_attention_ll4mi_QKV_mfma16_kernelIDF16_hLN4vllm18Fp8KVCacheDataTypeE1EhLi16ELi128ELi256ELb1ELi1EL8MFMAType0EEvPKT_PKT0_S8_ifPKiSA_SA_iPKfiiiPfSD_PS3_PT2_iSC_SC_ ; -- Begin function _Z39paged_attention_ll4mi_QKV_mfma16_kernelIDF16_hLN4vllm18Fp8KVCacheDataTypeE1EhLi16ELi128ELi256ELb1ELi1EL8MFMAType0EEvPKT_PKT0_S8_ifPKiSA_SA_iPKfiiiPfSD_PS3_PT2_iSC_SC_
	.globl	_Z39paged_attention_ll4mi_QKV_mfma16_kernelIDF16_hLN4vllm18Fp8KVCacheDataTypeE1EhLi16ELi128ELi256ELb1ELi1EL8MFMAType0EEvPKT_PKT0_S8_ifPKiSA_SA_iPKfiiiPfSD_PS3_PT2_iSC_SC_
	.p2align	8
	.type	_Z39paged_attention_ll4mi_QKV_mfma16_kernelIDF16_hLN4vllm18Fp8KVCacheDataTypeE1EhLi16ELi128ELi256ELb1ELi1EL8MFMAType0EEvPKT_PKT0_S8_ifPKiSA_SA_iPKfiiiPfSD_PS3_PT2_iSC_SC_,@function
_Z39paged_attention_ll4mi_QKV_mfma16_kernelIDF16_hLN4vllm18Fp8KVCacheDataTypeE1EhLi16ELi128ELi256ELb1ELi1EL8MFMAType0EEvPKT_PKT0_S8_ifPKiSA_SA_iPKfiiiPfSD_PS3_PT2_iSC_SC_: ; @_Z39paged_attention_ll4mi_QKV_mfma16_kernelIDF16_hLN4vllm18Fp8KVCacheDataTypeE1EhLi16ELi128ELi256ELb1ELi1EL8MFMAType0EEvPKT_PKT0_S8_ifPKiSA_SA_iPKfiiiPfSD_PS3_PT2_iSC_SC_
; %bb.0:
	s_load_b64 s[4:5], s[0:1], 0x30
	s_mov_b32 s34, s13
	s_waitcnt lgkmcnt(0)
	s_cmp_lg_u64 s[4:5], 0
	s_cselect_b32 s6, -1, 0
	s_ashr_i32 s35, s13, 31
	s_cmp_eq_u64 s[4:5], 0
	s_cbranch_scc1 .LBB1230_3
; %bb.1:
	s_lshl_b64 s[2:3], s[34:35], 2
	s_delay_alu instid0(SALU_CYCLE_1) | instskip(SKIP_4) | instid1(SALU_CYCLE_1)
	s_add_u32 s2, s4, s2
	s_addc_u32 s3, s5, s3
	s_load_b64 s[2:3], s[2:3], 0x0
	s_waitcnt lgkmcnt(0)
	s_sub_i32 s2, s3, s2
	s_cmp_eq_u32 s2, 1
	s_cselect_b32 s2, -1, 0
	s_delay_alu instid0(SALU_CYCLE_1)
	s_and_not1_b32 vcc_lo, exec_lo, s2
	s_cbranch_vccz .LBB1230_4
.LBB1230_2:
	s_endpgm
.LBB1230_3:
.LBB1230_4:
	s_load_b64 s[2:3], s[0:1], 0x28
	s_lshl_b64 s[8:9], s[34:35], 2
	s_waitcnt lgkmcnt(0)
	s_add_u32 s2, s2, s8
	s_addc_u32 s3, s3, s9
	s_lshl_b32 s12, s14, 8
	s_load_b32 s33, s[2:3], 0x0
	s_waitcnt lgkmcnt(0)
	s_cmp_ge_i32 s12, s33
	s_cbranch_scc1 .LBB1230_2
; %bb.5:
	s_clause 0x1
	s_load_b128 s[56:59], s[0:1], 0x8
	s_load_b64 s[2:3], s[0:1], 0x20
	s_and_not1_b32 vcc_lo, exec_lo, s6
	s_mov_b64 s[6:7], s[34:35]
	s_cbranch_vccnz .LBB1230_7
; %bb.6:
	s_add_u32 s4, s4, s8
	s_addc_u32 s5, s5, s9
	s_load_b32 s6, s[4:5], 0x0
.LBB1230_7:
	s_load_b128 s[52:55], s[0:1], 0x48
	v_and_b32_e32 v65, 15, v0
	s_mov_b32 s13, exec_lo
                                        ; implicit-def: $sgpr36
                                        ; implicit-def: $sgpr24
                                        ; implicit-def: $sgpr16
                                        ; implicit-def: $sgpr4
	s_delay_alu instid0(VALU_DEP_1)
	v_cmpx_eq_u32_e32 0, v65
	s_cbranch_execz .LBB1230_9
; %bb.8:
	s_load_b64 s[4:5], s[0:1], 0x0
	s_waitcnt lgkmcnt(0)
	s_mul_hi_i32 s7, s6, s52
	s_mul_i32 s6, s6, s52
	s_delay_alu instid0(SALU_CYCLE_1) | instskip(NEXT) | instid1(SALU_CYCLE_1)
	s_lshl_b64 s[6:7], s[6:7], 1
	s_add_u32 s6, s4, s6
	s_addc_u32 s7, s5, s7
	s_lshl_b32 s4, s15, 7
	s_delay_alu instid0(SALU_CYCLE_1) | instskip(NEXT) | instid1(SALU_CYCLE_1)
	s_ashr_i32 s5, s4, 31
	s_lshl_b64 s[4:5], s[4:5], 1
	s_delay_alu instid0(SALU_CYCLE_1)
	s_add_u32 s4, s6, s4
	s_addc_u32 s5, s7, s5
	s_clause 0x3
	s_load_b256 s[36:43], s[4:5], 0x0
	s_load_b256 s[24:31], s[4:5], 0x40
	;; [unrolled: 1-line block ×4, first 2 shown]
.LBB1230_9:
	s_or_b32 exec_lo, exec_lo, s13
	v_and_b32_e32 v1, 0xef, v0
	s_add_i32 s13, s33, 15
	s_load_b32 s44, s[0:1], 0x38
	s_ashr_i32 s35, s13, 31
	s_waitcnt lgkmcnt(0)
	s_mul_i32 s62, s15, s54
	v_add_nc_u32_e32 v1, s12, v1
	s_lshr_b32 s35, s35, 28
	v_dual_mov_b32 v105, s31 :: v_dual_mov_b32 v98, s24
	s_add_i32 s13, s13, s35
	s_delay_alu instid0(VALU_DEP_2)
	v_ashrrev_i32_e32 v2, 31, v1
	v_or_b32_e32 v3, 16, v1
	s_ashr_i32 s13, s13, 4
	v_cmp_gt_i32_e32 vcc_lo, s33, v1
	s_add_i32 s13, s13, -1
	v_lshrrev_b32_e32 v2, 28, v2
	s_load_b32 s35, s[0:1], 0x1c
	v_mov_b32_e32 v103, s29
	v_mov_b32_e32 v101, s27
	s_delay_alu instid0(VALU_DEP_3)
	v_dual_mov_b32 v99, s25 :: v_dual_add_nc_u32 v4, v1, v2
	v_lshlrev_b32_e32 v73, 4, v65
	s_mul_i32 s44, s34, s44
	v_lshrrev_b32_e32 v66, 5, v0
	s_ashr_i32 s45, s44, 31
	v_ashrrev_i32_e32 v4, 4, v4
	v_add_nc_u32_e32 v2, v3, v2
	s_lshl_b64 s[44:45], s[44:45], 2
	v_mov_b32_e32 v104, s30
	s_add_u32 s61, s2, s44
	v_cndmask_b32_e32 v1, s13, v4, vcc_lo
	v_ashrrev_i32_e32 v2, 4, v2
	v_cmp_gt_i32_e32 vcc_lo, s33, v3
	s_addc_u32 s60, s3, s45
	s_ashr_i32 s63, s62, 31
	s_add_u32 s52, s56, s62
	s_addc_u32 s56, s57, s63
	v_cndmask_b32_e32 v3, s13, v2, vcc_lo
	v_ashrrev_i32_e32 v2, 31, v1
	s_lshl_b32 s2, s14, 4
	v_mov_b32_e32 v102, s28
	s_ashr_i32 s3, s2, 31
	v_ashrrev_i32_e32 v4, 31, v3
	v_lshlrev_b64 v[1:2], 2, v[1:2]
	s_lshl_b64 s[2:3], s[2:3], 2
	v_mov_b32_e32 v100, s26
	s_add_u32 s2, s61, s2
	v_lshlrev_b64 v[3:4], 2, v[3:4]
	s_addc_u32 s3, s60, s3
	v_add_co_u32 v1, vcc_lo, s61, v1
	v_add_co_ci_u32_e32 v2, vcc_lo, s60, v2, vcc_lo
	s_delay_alu instid0(VALU_DEP_3) | instskip(NEXT) | instid1(VALU_DEP_4)
	v_add_co_u32 v3, vcc_lo, s61, v3
	v_add_co_ci_u32_e32 v4, vcc_lo, s60, v4, vcc_lo
	s_clause 0x1
	global_load_b32 v5, v[1:2], off
	global_load_b32 v3, v[3:4], off
	s_or_b32 s44, s12, 32
	v_lshlrev_b32_e32 v1, 4, v0
	s_ashr_i32 s45, s44, 4
	s_cmp_lt_i32 s44, s33
	s_cselect_b32 s44, s45, s13
	s_delay_alu instid0(VALU_DEP_1) | instskip(SKIP_1) | instid1(SALU_CYCLE_1)
	v_and_b32_e32 v1, 0xf0, v1
	s_ashr_i32 s45, s44, 31
	s_lshl_b64 s[44:45], s[44:45], 2
	s_delay_alu instid0(SALU_CYCLE_1)
	s_add_u32 s44, s61, s44
	s_addc_u32 s45, s60, s45
	s_or_b32 s46, s12, 64
	v_add_co_u32 v1, s52, s52, v1
	s_ashr_i32 s47, s46, 4
	s_cmp_lt_i32 s46, s33
	v_add_co_ci_u32_e64 v2, null, s56, 0, s52
	s_cselect_b32 s46, s47, s13
	s_delay_alu instid0(SALU_CYCLE_1) | instskip(NEXT) | instid1(SALU_CYCLE_1)
	s_ashr_i32 s47, s46, 31
	s_lshl_b64 s[46:47], s[46:47], 2
	s_delay_alu instid0(SALU_CYCLE_1) | instskip(SKIP_2) | instid1(SALU_CYCLE_1)
	s_add_u32 s46, s61, s46
	s_addc_u32 s47, s60, s47
	s_or_b32 s48, s12, 0x60
	s_ashr_i32 s49, s48, 4
	s_cmp_lt_i32 s48, s33
	s_cselect_b32 s48, s49, s13
	s_delay_alu instid0(SALU_CYCLE_1) | instskip(NEXT) | instid1(SALU_CYCLE_1)
	s_ashr_i32 s49, s48, 31
	s_lshl_b64 s[48:49], s[48:49], 2
	s_delay_alu instid0(SALU_CYCLE_1) | instskip(SKIP_2) | instid1(SALU_CYCLE_1)
	s_add_u32 s48, s61, s48
	s_addc_u32 s49, s60, s49
	s_or_b32 s50, s12, 0x80
	s_ashr_i32 s51, s50, 4
	s_cmp_lt_i32 s50, s33
	;; [unrolled: 10-line block ×3, first 2 shown]
	s_cselect_b32 s54, s55, s13
	s_delay_alu instid0(SALU_CYCLE_1) | instskip(NEXT) | instid1(SALU_CYCLE_1)
	s_ashr_i32 s55, s54, 31
	s_lshl_b64 s[54:55], s[54:55], 2
	s_delay_alu instid0(SALU_CYCLE_1)
	s_add_u32 s64, s61, s54
	s_addc_u32 s65, s60, s55
	s_clause 0x5
	s_load_b32 s56, s[2:3], 0x0
	s_load_b32 s3, s[44:45], 0x0
	;; [unrolled: 1-line block ×6, first 2 shown]
	s_or_b32 s24, s12, 0xc0
	s_mov_b32 s44, 0
	s_ashr_i32 s25, s24, 4
	s_mov_b32 s45, s44
	s_mov_b32 s46, s44
	s_mov_b32 s47, s44
	s_mov_b32 s48, s44
	s_mov_b32 s49, s44
	s_mov_b32 s50, s44
	s_mov_b32 s51, s44
	v_dual_mov_b32 v113, s23 :: v_dual_mov_b32 v112, s22
	v_dual_mov_b32 v111, s21 :: v_dual_mov_b32 v110, s20
	;; [unrolled: 1-line block ×4, first 2 shown]
	v_lshl_or_b32 v41, v66, 8, v73
	v_dual_mov_b32 v121, s51 :: v_dual_mov_b32 v120, s50
	v_dual_mov_b32 v119, s49 :: v_dual_mov_b32 v118, s48
	;; [unrolled: 1-line block ×4, first 2 shown]
	s_cmp_lt_i32 s24, s33
	s_cselect_b32 s16, s25, s13
	s_delay_alu instid0(SALU_CYCLE_1) | instskip(NEXT) | instid1(SALU_CYCLE_1)
	s_ashr_i32 s17, s16, 31
	s_lshl_b64 s[16:17], s[16:17], 2
	s_delay_alu instid0(SALU_CYCLE_1) | instskip(SKIP_2) | instid1(SALU_CYCLE_1)
	s_add_u32 s16, s61, s16
	s_addc_u32 s17, s60, s17
	s_or_b32 s18, s12, 0xe0
	s_ashr_i32 s19, s18, 4
	s_cmp_lt_i32 s18, s33
	s_cselect_b32 s18, s19, s13
	s_delay_alu instid0(SALU_CYCLE_1) | instskip(NEXT) | instid1(SALU_CYCLE_1)
	s_ashr_i32 s19, s18, 31
	s_lshl_b64 s[18:19], s[18:19], 2
	s_delay_alu instid0(SALU_CYCLE_1) | instskip(SKIP_4) | instid1(VALU_DEP_1)
	s_add_u32 s18, s61, s18
	s_addc_u32 s19, s60, s19
	s_add_u32 s13, s58, s62
	s_addc_u32 s20, s59, s63
	v_add_co_u32 v67, s13, s13, v41
	v_add_co_ci_u32_e64 v68, null, s20, 0, s13
	s_waitcnt lgkmcnt(0)
	s_delay_alu instid0(VALU_DEP_1)
	v_mad_i64_i32 v[41:42], null, s56, s53, v[67:68]
	v_mad_i64_i32 v[71:72], null, s54, s53, v[67:68]
	;; [unrolled: 1-line block ×5, first 2 shown]
	s_waitcnt vmcnt(1)
	v_mad_i64_i32 v[33:34], null, v5, s53, v[1:2]
	s_waitcnt vmcnt(0)
	v_mad_i64_i32 v[35:36], null, v3, s53, v[1:2]
	s_clause 0xf
	global_load_b128 v[1:4], v[33:34], off
	global_load_b128 v[5:8], v[33:34], off offset:256
	global_load_b128 v[9:12], v[35:36], off
	global_load_b128 v[13:16], v[35:36], off offset:256
	global_load_b128 v[17:20], v[33:34], off offset:512
	;; [unrolled: 1-line block ×13, first 2 shown]
	v_mov_b32_e32 v33, s36
	v_mov_b32_e32 v35, s38
	;; [unrolled: 1-line block ×4, first 2 shown]
	s_clause 0x1
	s_load_b32 s13, s[16:17], 0x0
	s_load_b32 s16, s[18:19], 0x0
	v_mov_b32_e32 v34, s37
	v_mov_b32_e32 v36, s39
	v_mov_b32_e32 v38, s41
	v_mov_b32_e32 v40, s43
	s_waitcnt lgkmcnt(0)
	v_mad_i64_i32 v[132:133], null, s16, s53, v[67:68]
	s_waitcnt vmcnt(14)
	s_delay_alu instid0(VALU_DEP_2)
	v_wmma_f32_16x16x16_f16 v[122:129], v[1:8], v[33:40], v[114:121]
	s_waitcnt vmcnt(12)
	v_wmma_f32_16x16x16_f16 v[114:121], v[9:16], v[33:40], v[114:121]
	s_clause 0x7
	global_load_b128 v[49:52], v[41:42], off
	global_load_b128 v[53:56], v[41:42], off offset:16
	global_load_b128 v[41:44], v[45:46], off
	global_load_b128 v[45:48], v[45:46], off offset:16
	;; [unrolled: 2-line block ×4, first 2 shown]
	v_mad_i64_i32 v[71:72], null, s13, s53, v[67:68]
	v_mad_i64_i32 v[69:70], null, s2, s53, v[67:68]
	s_waitcnt vmcnt(18)
	v_wmma_f32_16x16x16_f16 v[122:129], v[17:24], v[98:105], v[122:129]
	s_waitcnt vmcnt(16)
	v_wmma_f32_16x16x16_f16 v[114:121], v[25:32], v[98:105], v[114:121]
	s_clause 0x3
	global_load_b128 v[9:12], v[130:131], off
	global_load_b128 v[13:16], v[130:131], off offset:16
	global_load_b128 v[17:20], v[69:70], off
	global_load_b128 v[21:24], v[69:70], off offset:16
	s_waitcnt vmcnt(18)
	v_wmma_f32_16x16x16_f16 v[122:129], v[57:64], v[106:113], v[122:129]
	s_clause 0x3
	global_load_b128 v[25:28], v[71:72], off
	global_load_b128 v[29:32], v[71:72], off offset:16
	global_load_b128 v[57:60], v[132:133], off
	global_load_b128 v[61:64], v[132:133], off offset:16
	v_mbcnt_lo_u32_b32 v68, -1, 0
	v_dual_mov_b32 v105, s11 :: v_dual_mov_b32 v104, s10
	v_dual_mov_b32 v103, s9 :: v_dual_mov_b32 v102, s8
	s_delay_alu instid0(VALU_DEP_3) | instskip(SKIP_2) | instid1(VALU_DEP_3)
	v_xor_b32_e32 v69, 16, v68
	v_dual_mov_b32 v101, s7 :: v_dual_mov_b32 v100, s6
	v_dual_mov_b32 v99, s5 :: v_dual_mov_b32 v98, s4
	v_cmp_gt_i32_e32 vcc_lo, 32, v69
	v_and_b32_e32 v67, 0xe0, v0
	s_waitcnt vmcnt(20)
	v_wmma_f32_16x16x16_f16 v[114:121], v[74:81], v[106:113], v[114:121]
	v_bfe_u32 v74, v0, 4, 1
	s_waitcnt vmcnt(18)
	v_wmma_f32_16x16x16_f16 v[122:129], v[82:89], v[98:105], v[122:129]
	v_dual_cndmask_b32 v68, v68, v69 :: v_dual_add_nc_u32 v67, s12, v67
	s_waitcnt vmcnt(0)
	s_barrier
	s_delay_alu instid0(VALU_DEP_2)
	v_mul_f32_e32 v86, s35, v129
	v_mul_f32_e32 v88, s35, v127
	v_or_b32_e32 v67, v67, v74
	v_wmma_f32_16x16x16_f16 v[114:121], v[90:97], v[98:105], v[114:121]
	v_dual_mul_f32 v92, s35, v123 :: v_dual_mul_f32 v93, s35, v122
	v_mul_f32_e32 v90, s35, v125
	s_delay_alu instid0(VALU_DEP_4)
	v_or_b32_e32 v69, 2, v67
	v_or_b32_e32 v70, 4, v67
	;; [unrolled: 1-line block ×3, first 2 shown]
	v_cmp_gt_i32_e64 s2, s33, v67
	v_or_b32_e32 v72, 8, v67
	v_cmp_gt_i32_e32 vcc_lo, s33, v69
	v_or_b32_e32 v75, 10, v67
	v_mul_f32_e32 v91, s35, v124
	v_cndmask_b32_e64 v93, 0xff7fffff, v93, s2
	v_cmp_gt_i32_e64 s3, s33, v70
	v_cndmask_b32_e32 v92, 0xff7fffff, v92, vcc_lo
	v_cmp_gt_i32_e64 s4, s33, v71
	v_or_b32_e32 v76, 12, v67
	v_or_b32_e32 v77, 14, v67
	v_dual_mul_f32 v89, s35, v126 :: v_dual_mul_f32 v98, s35, v117
	v_cndmask_b32_e64 v70, 0xff7fffff, v91, s3
	v_cndmask_b32_e64 v71, 0xff7fffff, v90, s4
	v_max3_f32 v90, v93, 0xff7fffff, v92
	v_cmp_gt_i32_e64 s5, s33, v72
	v_cmp_gt_i32_e64 s6, s33, v75
	v_or_b32_e32 v78, 16, v67
	v_or_b32_e32 v79, 18, v67
	v_dual_mul_f32 v87, s35, v128 :: v_dual_mul_f32 v96, s35, v119
	v_cndmask_b32_e64 v72, 0xff7fffff, v89, s5
	v_cndmask_b32_e64 v75, 0xff7fffff, v88, s6
	v_max3_f32 v70, v90, v70, v71
	v_cmp_gt_i32_e64 s7, s33, v76
	v_cmp_gt_i32_e64 s8, s33, v77
	v_or_b32_e32 v80, 20, v67
	v_or_b32_e32 v81, 22, v67
	;; [unrolled: 1-line block ×6, first 2 shown]
	v_mul_f32_e32 v69, s35, v115
	v_mul_f32_e32 v67, s35, v114
	v_cndmask_b32_e64 v71, 0xff7fffff, v87, s7
	v_cndmask_b32_e64 v76, 0xff7fffff, v86, s8
	v_max3_f32 v70, v70, v72, v75
	v_cmp_gt_i32_e64 s9, s33, v78
	v_cmp_gt_i32_e64 s10, s33, v79
	v_mul_f32_e32 v99, s35, v116
	v_cmp_gt_i32_e64 s11, s33, v80
	v_max3_f32 v70, v70, v71, v76
	v_cndmask_b32_e64 v67, 0xff7fffff, v67, s9
	v_cndmask_b32_e64 v69, 0xff7fffff, v69, s10
	v_cmp_gt_i32_e64 s12, s33, v81
	v_mul_f32_e32 v97, s35, v118
	v_cndmask_b32_e64 v71, 0xff7fffff, v99, s11
	v_cmp_gt_i32_e64 s13, s33, v82
	v_max3_f32 v67, v70, v67, v69
	v_cndmask_b32_e64 v72, 0xff7fffff, v98, s12
	v_cmp_gt_i32_e64 s16, s33, v83
	v_dual_mul_f32 v94, s35, v121 :: v_dual_mul_f32 v95, s35, v120
	v_cndmask_b32_e64 v69, 0xff7fffff, v97, s13
	s_delay_alu instid0(VALU_DEP_4) | instskip(NEXT) | instid1(VALU_DEP_4)
	v_max3_f32 v67, v67, v71, v72
	v_cndmask_b32_e64 v70, 0xff7fffff, v96, s16
	v_cmp_gt_i32_e64 s17, s33, v84
	v_cmp_gt_i32_e64 s18, s33, v85
	v_lshlrev_b32_e32 v75, 2, v68
	buffer_gl0_inv
	v_max3_f32 v67, v67, v69, v70
	v_cndmask_b32_e64 v71, 0xff7fffff, v95, s17
	v_cndmask_b32_e64 v72, 0xff7fffff, v94, s18
	s_delay_alu instid0(VALU_DEP_1) | instskip(SKIP_3) | instid1(VALU_DEP_1)
	v_max3_f32 v67, v67, v71, v72
	ds_bpermute_b32 v68, v75, v67
	s_waitcnt lgkmcnt(0)
	v_max_f32_e32 v68, v68, v68
	v_max_f32_e32 v67, v67, v68
	s_delay_alu instid0(VALU_DEP_1)
	v_fma_f32 v68, s35, v122, -v67
	v_fma_f32 v70, s35, v124, -v67
	;; [unrolled: 1-line block ×5, first 2 shown]
	v_mul_f32_e32 v68, 0x3fb8aa3b, v68
	s_delay_alu instid0(VALU_DEP_4) | instskip(NEXT) | instid1(VALU_DEP_3)
	v_dual_mul_f32 v70, 0x3fb8aa3b, v70 :: v_dual_mul_f32 v69, 0x3fb8aa3b, v69
	v_mul_f32_e32 v72, 0x3fb8aa3b, v72
	s_delay_alu instid0(VALU_DEP_3) | instskip(NEXT) | instid1(VALU_DEP_2)
	v_exp_f32_e32 v68, v68
	v_exp_f32_e32 v76, v70
	s_delay_alu instid0(VALU_DEP_2) | instskip(NEXT) | instid1(VALU_DEP_1)
	v_exp_f32_e32 v69, v69
	v_exp_f32_e32 v79, v72
	v_cndmask_b32_e64 v70, 0, v68, s2
	v_fma_f32 v68, s35, v127, -v67
	s_waitcnt_depctr 0xfff
	v_cndmask_b32_e32 v69, 0, v69, vcc_lo
	v_cndmask_b32_e64 v72, 0, v76, s3
	v_cndmask_b32_e64 v83, 0, v79, s5
	v_dual_add_f32 v77, 0, v70 :: v_dual_mul_f32 v68, 0x3fb8aa3b, v68
	s_mov_b32 s3, exec_lo
	s_delay_alu instid0(VALU_DEP_1) | instskip(NEXT) | instid1(VALU_DEP_2)
	v_add_f32_e32 v76, v77, v69
	v_exp_f32_e32 v68, v68
	s_delay_alu instid0(VALU_DEP_1) | instskip(SKIP_3) | instid1(VALU_DEP_1)
	v_add_f32_e32 v76, v76, v72
	s_waitcnt_depctr 0xfff
	v_cndmask_b32_e64 v82, 0, v68, s6
	v_mul_f32_e32 v71, 0x3fb8aa3b, v71
	v_exp_f32_e32 v71, v71
	s_waitcnt_depctr 0xfff
	v_cndmask_b32_e64 v71, 0, v71, s4
	s_delay_alu instid0(VALU_DEP_1) | instskip(NEXT) | instid1(VALU_DEP_1)
	v_add_f32_e32 v76, v76, v71
	v_add_f32_e32 v68, v76, v83
	v_fma_f32 v78, s35, v128, -v67
	v_fma_f32 v77, s35, v129, -v67
	;; [unrolled: 1-line block ×4, first 2 shown]
	v_add_f32_e32 v68, v68, v82
	v_mul_f32_e32 v78, 0x3fb8aa3b, v78
	v_fma_f32 v76, s35, v116, -v67
	v_mul_f32_e32 v80, 0x3fb8aa3b, v80
	s_delay_alu instid0(VALU_DEP_3) | instskip(NEXT) | instid1(VALU_DEP_2)
	v_exp_f32_e32 v78, v78
	v_mul_f32_e32 v76, 0x3fb8aa3b, v76
	s_delay_alu instid0(VALU_DEP_2) | instskip(NEXT) | instid1(VALU_DEP_1)
	v_exp_f32_e32 v80, v80
	v_exp_f32_e32 v76, v76
	s_delay_alu instid0(TRANS32_DEP_3)
	v_cndmask_b32_e64 v85, 0, v78, s7
	v_fma_f32 v78, s35, v117, -v67
	v_mul_f32_e32 v77, 0x3fb8aa3b, v77
	v_mul_f32_e32 v79, 0x3fb8aa3b, v79
	s_waitcnt_depctr 0xfff
	v_cndmask_b32_e64 v87, 0, v80, s9
	v_add_f32_e32 v68, v68, v85
	v_mul_f32_e32 v78, 0x3fb8aa3b, v78
	v_exp_f32_e32 v77, v77
	v_exp_f32_e32 v79, v79
	v_fma_f32 v80, s35, v119, -v67
	v_cndmask_b32_e64 v89, 0, v76, s11
	v_exp_f32_e32 v78, v78
	s_delay_alu instid0(VALU_DEP_2) | instskip(NEXT) | instid1(TRANS32_DEP_3)
	v_mul_f32_e32 v80, 0x3fb8aa3b, v80
	v_cndmask_b32_e64 v84, 0, v77, s8
	v_fma_f32 v77, s35, v118, -v67
	s_delay_alu instid0(TRANS32_DEP_2)
	v_cndmask_b32_e64 v86, 0, v79, s10
	v_fma_f32 v79, s35, v120, -v67
	s_waitcnt_depctr 0xfff
	v_cndmask_b32_e64 v88, 0, v78, s12
	v_dual_add_f32 v68, v68, v84 :: v_dual_mul_f32 v77, 0x3fb8aa3b, v77
	v_fma_f32 v78, s35, v121, -v67
	v_mul_f32_e32 v76, 0x3fb8aa3b, v79
	v_exp_f32_e32 v79, v80
	s_delay_alu instid0(VALU_DEP_3) | instskip(SKIP_1) | instid1(VALU_DEP_2)
	v_add_f32_e32 v68, v68, v87
	v_exp_f32_e32 v77, v77
	v_exp_f32_e32 v76, v76
	s_delay_alu instid0(TRANS32_DEP_3)
	v_cndmask_b32_e64 v90, 0, v79, s16
	s_waitcnt_depctr 0xfff
	v_cndmask_b32_e64 v91, 0, v77, s13
	v_mul_f32_e32 v77, 0x3fb8aa3b, v78
	v_add_f32_e32 v68, v68, v86
	v_cndmask_b32_e64 v93, 0, v76, s17
	v_and_b32_e32 v76, 31, v0
	s_delay_alu instid0(VALU_DEP_4) | instskip(NEXT) | instid1(VALU_DEP_3)
	v_exp_f32_e32 v77, v77
	v_add_f32_e32 v68, v68, v89
	s_delay_alu instid0(VALU_DEP_2) | instskip(NEXT) | instid1(VALU_DEP_2)
	v_cmp_lt_u32_e64 s2, 15, v76
	v_add_f32_e32 v68, v68, v88
	s_waitcnt_depctr 0xfff
	v_cndmask_b32_e64 v92, 0, v77, s18
	v_add_f32_e32 v68, v68, v91
	s_delay_alu instid0(VALU_DEP_1) | instskip(NEXT) | instid1(VALU_DEP_1)
	v_add_f32_e32 v68, v68, v90
	v_add_f32_e32 v68, v68, v93
	s_delay_alu instid0(VALU_DEP_1)
	v_add_f32_e32 v68, v68, v92
	ds_bpermute_b32 v75, v75, v68
	v_cmpx_gt_u32_e32 16, v76
	s_cbranch_execz .LBB1230_11
; %bb.10:
	v_mul_u32_u24_e32 v76, 0x44, v66
	s_delay_alu instid0(VALU_DEP_1) | instskip(SKIP_1) | instid1(VALU_DEP_1)
	v_lshl_add_u32 v76, v65, 2, v76
	s_waitcnt lgkmcnt(0)
	v_dual_add_f32 v68, v68, v75 :: v_dual_add_nc_u32 v75, 0x4000, v76
	ds_store_2addr_b32 v75, v67, v68 offset1:136
.LBB1230_11:
	s_or_b32 exec_lo, exec_lo, s3
	v_lshlrev_b32_e32 v67, 2, v65
	s_load_b64 s[36:37], s[0:1], 0x94
	s_waitcnt lgkmcnt(0)
	s_barrier
	buffer_gl0_inv
	v_add_nc_u32_e32 v81, 0x4000, v67
	v_cmp_eq_u32_e32 vcc_lo, 1, v66
	v_cmp_eq_u32_e64 s3, 2, v66
	v_cmp_eq_u32_e64 s5, 3, v66
	;; [unrolled: 1-line block ×3, first 2 shown]
	ds_load_2addr_b32 v[75:76], v81 offset1:17
	ds_load_2addr_b32 v[77:78], v81 offset0:34 offset1:51
	ds_load_2addr_b32 v[79:80], v81 offset0:68 offset1:85
	ds_load_2addr_b32 v[94:95], v81 offset0:102 offset1:119
	ds_load_2addr_b32 v[96:97], v81 offset0:136 offset1:153
	v_cmp_eq_u32_e64 s7, 5, v66
	v_cmp_eq_u32_e64 s4, 6, v66
	s_waitcnt lgkmcnt(4)
	v_max3_f32 v67, v75, 0xff7fffff, v76
	s_waitcnt lgkmcnt(3)
	s_delay_alu instid0(VALU_DEP_1) | instskip(SKIP_1) | instid1(VALU_DEP_1)
	v_max3_f32 v67, v67, v77, v78
	s_waitcnt lgkmcnt(2)
	v_max3_f32 v67, v67, v79, v80
	s_waitcnt lgkmcnt(1)
	s_delay_alu instid0(VALU_DEP_1) | instskip(NEXT) | instid1(VALU_DEP_1)
	v_max3_f32 v67, v67, v94, v95
	v_sub_f32_e32 v68, v75, v67
	s_delay_alu instid0(VALU_DEP_1) | instskip(NEXT) | instid1(VALU_DEP_1)
	v_dual_sub_f32 v79, v79, v67 :: v_dual_mul_f32 v68, 0x3fb8aa3b, v68
	v_mul_f32_e32 v102, 0x3fb8aa3b, v79
	s_delay_alu instid0(VALU_DEP_2) | instskip(SKIP_1) | instid1(VALU_DEP_1)
	v_exp_f32_e32 v99, v68
	v_sub_f32_e32 v68, v78, v67
	v_dual_sub_f32 v98, v76, v67 :: v_dual_mul_f32 v101, 0x3fb8aa3b, v68
	s_delay_alu instid0(VALU_DEP_1)
	v_dual_sub_f32 v77, v77, v67 :: v_dual_mul_f32 v98, 0x3fb8aa3b, v98
	s_waitcnt lgkmcnt(0)
	s_waitcnt_depctr 0xfff
	v_fma_f32 v68, v99, v96, 0
	v_sub_f32_e32 v96, v80, v67
	v_mul_f32_e32 v100, 0x3fb8aa3b, v77
	v_exp_f32_e32 v98, v98
	v_exp_f32_e32 v101, v101
	s_delay_alu instid0(VALU_DEP_1) | instskip(NEXT) | instid1(TRANS32_DEP_3)
	v_exp_f32_e32 v100, v100
	v_fmac_f32_e32 v68, v98, v97
	ds_load_2addr_b32 v[75:76], v81 offset0:170 offset1:187
	ds_load_2addr_b32 v[77:78], v81 offset0:204 offset1:221
	;; [unrolled: 1-line block ×3, first 2 shown]
	v_dual_sub_f32 v81, v94, v67 :: v_dual_mul_f32 v94, 0x3fb8aa3b, v96
	v_exp_f32_e32 v96, v102
	s_waitcnt lgkmcnt(0)
	s_barrier
	s_delay_alu instid0(VALU_DEP_1)
	v_mul_f32_e32 v81, 0x3fb8aa3b, v81
	v_exp_f32_e32 v94, v94
	buffer_gl0_inv
	v_fmac_f32_e32 v68, v100, v75
	v_sub_f32_e32 v75, v95, v67
	v_exp_f32_e32 v95, v81
	s_delay_alu instid0(VALU_DEP_1) | instskip(SKIP_1) | instid1(VALU_DEP_2)
	v_dual_fmac_f32 v68, v101, v76 :: v_dual_mul_f32 v75, 0x3fb8aa3b, v75
	v_cndmask_b32_e32 v76, v99, v98, vcc_lo
	v_fmac_f32_e32 v68, v96, v77
	s_delay_alu instid0(VALU_DEP_3) | instskip(NEXT) | instid1(VALU_DEP_1)
	v_exp_f32_e32 v97, v75
	v_fmac_f32_e32 v68, v94, v78
	s_waitcnt_depctr 0xfff
	v_dual_fmac_f32 v68, v95, v79 :: v_dual_lshlrev_b32 v79, 6, v65
	s_delay_alu instid0(VALU_DEP_1) | instskip(NEXT) | instid1(VALU_DEP_2)
	v_dual_mov_b32 v65, 0 :: v_dual_fmac_f32 v68, v97, v80
	v_lshl_or_b32 v81, v66, 11, v79
	s_delay_alu instid0(VALU_DEP_2) | instskip(NEXT) | instid1(VALU_DEP_1)
	v_add_f32_e32 v80, 0x358637bd, v68
	v_div_scale_f32 v102, null, v80, v80, 1.0
	v_div_scale_f32 v98, vcc_lo, 1.0, v80, 1.0
	s_delay_alu instid0(VALU_DEP_2) | instskip(SKIP_2) | instid1(VALU_DEP_1)
	v_rcp_f32_e32 v103, v102
	s_waitcnt_depctr 0xfff
	v_fma_f32 v75, -v102, v103, 1.0
	v_fmac_f32_e32 v103, v75, v103
	v_cndmask_b32_e64 v75, v76, v100, s3
	v_cmp_eq_u32_e64 s3, 7, v66
	s_delay_alu instid0(VALU_DEP_3) | instskip(NEXT) | instid1(VALU_DEP_3)
	v_mul_f32_e32 v99, v98, v103
	v_cndmask_b32_e64 v76, v75, v101, s5
	v_lshlrev_b32_e32 v75, 2, v74
	s_delay_alu instid0(VALU_DEP_3) | instskip(NEXT) | instid1(VALU_DEP_3)
	v_fma_f32 v77, -v102, v99, v98
	v_cndmask_b32_e64 v96, v76, v96, s6
	s_delay_alu instid0(VALU_DEP_3)
	v_or_b32_e32 v78, 1, v75
	v_or_b32_e32 v76, 2, v75
	v_cmp_eq_u32_e64 s5, 1, v75
	v_fmac_f32_e32 v99, v77, v103
	v_cndmask_b32_e64 v66, v96, v94, s7
	v_or_b32_e32 v77, 3, v75
	v_cmp_eq_u32_e64 s9, 1, v78
	v_cmp_eq_u32_e64 s10, 1, v76
	v_fma_f32 v94, -v102, v99, v98
	v_cndmask_b32_e64 v66, v66, v95, s4
	v_cmp_eq_u32_e64 s11, 1, v77
	v_cmp_eq_u32_e64 s6, 2, v75
	;; [unrolled: 1-line block ×3, first 2 shown]
	v_div_fmas_f32 v94, v94, v103, v99
	v_cndmask_b32_e64 v66, v66, v97, s3
	v_cmp_eq_u32_e64 s17, 2, v77
	v_cmp_eq_u32_e32 vcc_lo, 3, v75
	v_cmp_eq_u32_e64 s13, 3, v78
	v_div_fixup_f32 v94, v94, v80, 1.0
	v_lshl_or_b32 v80, v74, 4, v81
	v_cmp_eq_u32_e64 s16, 2, v76
	v_cmp_eq_u32_e64 s19, 3, v77
	;; [unrolled: 1-line block ×3, first 2 shown]
	v_mul_f32_e32 v66, v66, v94
	v_cmp_eq_u32_e64 s18, 3, v76
	v_cmp_eq_u32_e64 s20, 4, v78
	;; [unrolled: 1-line block ×4, first 2 shown]
	v_fma_mixlo_f16 v94, v66, v70, 0
	v_fma_mixlo_f16 v95, v66, v72, 0
	;; [unrolled: 1-line block ×8, first 2 shown]
	v_fma_mixhi_f16 v94, v66, v69, 0
	v_fma_mixhi_f16 v95, v66, v71, 0
	;; [unrolled: 1-line block ×8, first 2 shown]
	ds_store_b128 v80, v[94:97]
	ds_store_b128 v80, v[98:101] offset:1024
	s_waitcnt lgkmcnt(0)
	s_barrier
	buffer_gl0_inv
	ds_load_b128 v[69:72], v81
	ds_load_b128 v[82:85], v81 offset:16
	ds_load_b128 v[86:89], v81 offset:1024
	;; [unrolled: 1-line block ×3, first 2 shown]
	v_cmp_eq_u32_e64 s21, 5, v78
	v_cmp_eq_u32_e64 s22, 4, v76
	;; [unrolled: 1-line block ×12, first 2 shown]
	s_waitcnt lgkmcnt(3)
	v_lshrrev_b32_e32 v66, 16, v69
	s_waitcnt lgkmcnt(2)
	v_lshrrev_b32_e32 v97, 16, v82
	;; [unrolled: 2-line block ×4, first 2 shown]
	v_lshrrev_b32_e32 v94, 16, v70
	v_cndmask_b32_e64 v109, v69, v66, s5
	v_cndmask_b32_e64 v110, v82, v97, s5
	;; [unrolled: 1-line block ×7, first 2 shown]
	v_lshrrev_b32_e32 v98, 16, v83
	v_cndmask_b32_e64 v114, v82, v97, s10
	v_cndmask_b32_e64 v82, v86, v101, s5
	v_cndmask_b32_e64 v97, v90, v105, s5
	v_cndmask_b32_e64 v115, v86, v101, s9
	v_cndmask_b32_e64 v116, v90, v105, s9
	v_cndmask_b32_e64 v117, v86, v101, s10
	v_cndmask_b32_e64 v118, v90, v105, s10
	v_cndmask_b32_e64 v86, v86, v101, s11
	v_cndmask_b32_e64 v90, v90, v105, s11
	v_cndmask_b32_e64 v101, v109, v70, s6
	v_cndmask_b32_e64 v105, v110, v83, s6
	v_cndmask_b32_e64 v109, v111, v70, s12
	v_cndmask_b32_e64 v110, v112, v83, s12
	v_cndmask_b32_e64 v66, v66, v70, s17
	v_cndmask_b32_e64 v69, v69, v83, s17
	v_lshrrev_b32_e32 v102, 16, v87
	v_lshrrev_b32_e32 v106, 16, v91
	v_cndmask_b32_e64 v111, v113, v70, s16
	v_cndmask_b32_e64 v112, v114, v83, s16
	;; [unrolled: 1-line block ×7, first 2 shown]
	v_cndmask_b32_e32 v87, v101, v94, vcc_lo
	v_cndmask_b32_e32 v101, v105, v98, vcc_lo
	v_cndmask_b32_e64 v105, v109, v94, s13
	v_cndmask_b32_e64 v109, v110, v98, s13
	;; [unrolled: 1-line block ×4, first 2 shown]
	v_lshrrev_b32_e32 v95, 16, v71
	v_lshrrev_b32_e32 v99, 16, v84
	v_cndmask_b32_e64 v110, v111, v94, s18
	v_cndmask_b32_e64 v111, v112, v98, s18
	v_cndmask_b32_e32 v70, v70, v102, vcc_lo
	v_cndmask_b32_e32 v82, v82, v106, vcc_lo
	v_cndmask_b32_e64 v83, v83, v102, s13
	v_cndmask_b32_e64 v87, v87, v71, s4
	;; [unrolled: 1-line block ×7, first 2 shown]
	v_lshrrev_b32_e32 v103, 16, v88
	v_lshrrev_b32_e32 v107, 16, v92
	v_cndmask_b32_e64 v105, v110, v71, s22
	v_cndmask_b32_e64 v109, v111, v84, s22
	;; [unrolled: 1-line block ×11, first 2 shown]
	v_lshrrev_b32_e32 v96, 16, v72
	v_lshrrev_b32_e32 v100, 16, v85
	v_cndmask_b32_e64 v98, v105, v95, s24
	v_cndmask_b32_e64 v101, v109, v99, s24
	;; [unrolled: 1-line block ×11, first 2 shown]
	v_lshrrev_b32_e32 v104, 16, v89
	v_cndmask_b32_e64 v95, v98, v72, s27
	v_cndmask_b32_e64 v98, v101, v85, s27
	;; [unrolled: 1-line block ×14, first 2 shown]
	v_perm_b32 v72, v69, v66, 0x5040100
	v_perm_b32 v70, v94, v84, 0x5040100
	v_cndmask_b32_e64 v66, v90, v91, s17
	v_cndmask_b32_e64 v69, v118, v91, s16
	;; [unrolled: 1-line block ×4, first 2 shown]
	v_perm_b32 v71, v95, v87, 0x5040100
	v_cndmask_b32_e64 v87, v97, v102, s18
	v_cndmask_b32_e64 v86, v86, v102, s19
	;; [unrolled: 1-line block ×15, first 2 shown]
	v_lshrrev_b32_e32 v108, 16, v93
	v_cndmask_b32_e64 v87, v87, v89, s27
	v_cndmask_b32_e64 v86, v86, v89, s28
	;; [unrolled: 1-line block ×11, first 2 shown]
	v_perm_b32 v69, v83, v82, 0x5040100
	v_perm_b32 v85, v66, v86, 0x5040100
	;; [unrolled: 1-line block ×5, first 2 shown]
	s_mov_b32 s3, exec_lo
	ds_store_b128 v80, v[69:72]
	ds_store_b128 v80, v[82:85] offset:1024
	v_cmpx_eq_u32_e32 0, v0
	s_cbranch_execz .LBB1230_13
; %bb.12:
	s_load_b128 s[4:7], s[0:1], 0x58
	s_mul_i32 s8, s37, s34
	s_delay_alu instid0(SALU_CYCLE_1) | instskip(NEXT) | instid1(SALU_CYCLE_1)
	s_add_i32 s8, s8, s15
	s_mul_i32 s8, s8, s36
	s_delay_alu instid0(SALU_CYCLE_1) | instskip(NEXT) | instid1(SALU_CYCLE_1)
	s_add_i32 s8, s8, s14
	s_ashr_i32 s9, s8, 31
	s_delay_alu instid0(SALU_CYCLE_1)
	s_lshl_b64 s[8:9], s[8:9], 2
	s_waitcnt lgkmcnt(0)
	s_add_u32 s6, s6, s8
	s_addc_u32 s7, s7, s9
	s_add_u32 s4, s4, s8
	s_addc_u32 s5, s5, s9
	s_clause 0x1
	global_store_b32 v65, v67, s[6:7]
	global_store_b32 v65, v68, s[4:5]
.LBB1230_13:
	s_or_b32 exec_lo, exec_lo, s3
	s_waitcnt lgkmcnt(0)
	s_waitcnt_vscnt null, 0x0
	s_barrier
	buffer_gl0_inv
	ds_load_b128 v[82:85], v79
	ds_load_b128 v[86:89], v79 offset:16
	ds_load_b128 v[94:97], v79 offset:2064
	ds_load_b128 v[90:93], v79 offset:2048
	ds_load_b128 v[102:105], v79 offset:4112
	ds_load_b128 v[98:101], v79 offset:4096
	v_mov_b32_e32 v66, v65
	v_mov_b32_e32 v67, v65
	;; [unrolled: 1-line block ×7, first 2 shown]
	ds_load_b128 v[110:113], v79 offset:6160
	ds_load_b128 v[106:109], v79 offset:6144
	v_cmp_eq_u32_e32 vcc_lo, 1, v75
	v_cmp_eq_u32_e64 s3, 1, v78
	v_cmp_eq_u32_e64 s4, 1, v77
	;; [unrolled: 1-line block ×5, first 2 shown]
	s_xor_b32 s2, s2, -1
	s_waitcnt lgkmcnt(6)
	v_wmma_f32_16x16x16_f16 v[65:72], v[49:56], v[82:89], v[65:72]
	ds_load_b128 v[53:56], v79 offset:8208
	ds_load_b128 v[49:52], v79 offset:8192
	;; [unrolled: 1-line block ×4, first 2 shown]
	s_waitcnt lgkmcnt(8)
	v_wmma_f32_16x16x16_f16 v[65:72], v[41:48], v[90:97], v[65:72]
	ds_load_b128 v[45:48], v79 offset:12304
	ds_load_b128 v[41:44], v79 offset:12288
	s_waitcnt lgkmcnt(8)
	v_wmma_f32_16x16x16_f16 v[65:72], v[33:40], v[98:105], v[65:72]
	ds_load_b128 v[37:40], v79 offset:14352
	ds_load_b128 v[33:36], v79 offset:14336
	s_waitcnt lgkmcnt(0)
	s_barrier
	buffer_gl0_inv
	v_wmma_f32_16x16x16_f16 v[65:72], v[1:8], v[106:113], v[65:72]
	s_delay_alu instid0(VALU_DEP_1) | instskip(NEXT) | instid1(VALU_DEP_1)
	v_wmma_f32_16x16x16_f16 v[65:72], v[9:16], v[49:56], v[65:72]
	v_wmma_f32_16x16x16_f16 v[65:72], v[17:24], v[82:89], v[65:72]
	s_delay_alu instid0(VALU_DEP_1) | instskip(NEXT) | instid1(VALU_DEP_1)
	v_wmma_f32_16x16x16_f16 v[65:72], v[25:32], v[41:48], v[65:72]
	v_wmma_f32_16x16x16_f16 v[65:72], v[57:64], v[33:40], v[65:72]
	s_delay_alu instid0(VALU_DEP_1) | instskip(NEXT) | instid1(VALU_DEP_2)
	v_cvt_f16_f32_e32 v1, v65
	v_cvt_f16_f32_e32 v2, v66
	s_delay_alu instid0(VALU_DEP_3) | instskip(NEXT) | instid1(VALU_DEP_4)
	v_cvt_f16_f32_e32 v3, v67
	v_cvt_f16_f32_e32 v4, v68
	;; [unrolled: 1-line block ×6, first 2 shown]
	v_pack_b32_f16 v1, v1, v2
	v_pack_b32_f16 v2, v3, v4
	;; [unrolled: 1-line block ×3, first 2 shown]
	s_delay_alu instid0(VALU_DEP_4)
	v_pack_b32_f16 v4, v7, v8
	ds_store_b128 v80, v[1:4]
	s_waitcnt lgkmcnt(0)
	s_barrier
	buffer_gl0_inv
	ds_load_b128 v[1:4], v81
	ds_load_b128 v[5:8], v81 offset:16
	s_waitcnt lgkmcnt(1)
	v_lshrrev_b32_e32 v9, 16, v1
	s_waitcnt lgkmcnt(0)
	v_lshrrev_b32_e32 v13, 16, v5
	v_lshrrev_b32_e32 v16, 16, v8
	;; [unrolled: 1-line block ×4, first 2 shown]
	v_cndmask_b32_e32 v17, v1, v9, vcc_lo
	v_cndmask_b32_e32 v18, v5, v13, vcc_lo
	v_cmp_eq_u32_e32 vcc_lo, 1, v76
	v_cndmask_b32_e64 v19, v1, v9, s3
	v_cndmask_b32_e64 v20, v5, v13, s3
	v_cmp_eq_u32_e64 s3, 2, v76
	v_lshrrev_b32_e32 v11, 16, v3
	v_cndmask_b32_e32 v21, v1, v9, vcc_lo
	v_cndmask_b32_e32 v22, v5, v13, vcc_lo
	v_cndmask_b32_e64 v1, v1, v9, s4
	v_cmp_eq_u32_e32 vcc_lo, 2, v77
	v_cndmask_b32_e64 v5, v5, v13, s4
	v_cmp_eq_u32_e64 s4, 2, v78
	v_cndmask_b32_e64 v9, v17, v2, s5
	v_cndmask_b32_e64 v13, v18, v6, s5
	v_cmp_eq_u32_e64 s5, 3, v78
	v_cndmask_b32_e32 v1, v1, v2, vcc_lo
	v_cndmask_b32_e64 v17, v19, v2, s4
	v_cndmask_b32_e64 v18, v20, v6, s4
	;; [unrolled: 1-line block ×4, first 2 shown]
	v_cndmask_b32_e32 v2, v5, v6, vcc_lo
	v_cmp_eq_u32_e32 vcc_lo, 3, v76
	v_cmp_eq_u32_e64 s4, 3, v77
	v_cndmask_b32_e64 v5, v9, v10, s6
	v_cndmask_b32_e64 v6, v13, v14, s6
	;; [unrolled: 1-line block ×4, first 2 shown]
	v_cndmask_b32_e32 v17, v19, v10, vcc_lo
	v_cmp_eq_u32_e64 s3, 4, v76
	v_cndmask_b32_e32 v18, v20, v14, vcc_lo
	v_cndmask_b32_e64 v1, v1, v10, s4
	v_cmp_eq_u32_e32 vcc_lo, 4, v77
	v_cmp_eq_u32_e64 s5, 4, v75
	v_cndmask_b32_e64 v2, v2, v14, s4
	v_cmp_eq_u32_e64 s4, 4, v78
	v_lshrrev_b32_e32 v15, 16, v7
	v_cmp_eq_u32_e64 s6, 5, v75
	v_cndmask_b32_e64 v5, v5, v3, s5
	v_cndmask_b32_e64 v6, v6, v7, s5
	v_cndmask_b32_e64 v9, v9, v3, s4
	v_cmp_eq_u32_e64 s5, 5, v78
	v_cndmask_b32_e64 v10, v13, v7, s4
	v_cndmask_b32_e64 v13, v17, v3, s3
	;; [unrolled: 1-line block ×3, first 2 shown]
	v_cmp_eq_u32_e64 s4, 5, v76
	v_cndmask_b32_e32 v1, v1, v3, vcc_lo
	v_cndmask_b32_e32 v2, v2, v7, vcc_lo
	v_cmp_eq_u32_e32 vcc_lo, 5, v77
	v_cndmask_b32_e64 v5, v5, v11, s6
	v_cmp_eq_u32_e64 s3, 6, v75
	v_cndmask_b32_e64 v6, v6, v15, s6
	v_cndmask_b32_e64 v9, v9, v11, s5
	;; [unrolled: 1-line block ×4, first 2 shown]
	v_cmp_eq_u32_e64 s5, 6, v78
	v_cndmask_b32_e64 v3, v14, v15, s4
	v_cndmask_b32_e32 v1, v1, v11, vcc_lo
	v_cmp_eq_u32_e64 s4, 6, v77
	v_cndmask_b32_e32 v2, v2, v15, vcc_lo
	v_lshrrev_b32_e32 v12, 16, v4
	v_cndmask_b32_e64 v5, v5, v4, s3
	v_cndmask_b32_e64 v9, v9, v4, s5
	;; [unrolled: 1-line block ×3, first 2 shown]
	v_cmp_eq_u32_e64 s3, 7, v75
	v_cmp_eq_u32_e64 s6, 7, v78
	v_cndmask_b32_e64 v7, v13, v4, s7
	v_cndmask_b32_e64 v3, v3, v8, s7
	;; [unrolled: 1-line block ×3, first 2 shown]
	v_cmp_eq_u32_e32 vcc_lo, 7, v77
	v_cndmask_b32_e64 v2, v2, v8, s4
	v_cmp_eq_u32_e64 s4, 7, v76
	v_cndmask_b32_e64 v4, v10, v8, s5
	v_cndmask_b32_e64 v5, v5, v12, s3
	;; [unrolled: 1-line block ×3, first 2 shown]
	v_cndmask_b32_e32 v2, v2, v16, vcc_lo
	v_cndmask_b32_e64 v7, v7, v12, s4
	v_cndmask_b32_e32 v1, v1, v12, vcc_lo
	v_cndmask_b32_e64 v3, v3, v16, s4
	v_cndmask_b32_e64 v8, v4, v16, s6
	;; [unrolled: 1-line block ×3, first 2 shown]
	v_cmp_gt_u32_e32 vcc_lo, 32, v0
	v_perm_b32 v4, v2, v1, 0x5040100
	v_perm_b32 v3, v3, v7, 0x5040100
	;; [unrolled: 1-line block ×4, first 2 shown]
	s_and_b32 s2, vcc_lo, s2
	ds_store_b128 v80, v[1:4]
	s_waitcnt lgkmcnt(0)
	s_barrier
	buffer_gl0_inv
	s_and_saveexec_b32 s3, s2
	s_cbranch_execz .LBB1230_2
; %bb.14:
	s_load_b64 s[0:1], s[0:1], 0x68
	v_lshlrev_b32_e32 v1, 10, v0
	v_and_b32_e32 v0, 1, v0
	v_lshlrev_b32_e32 v2, 6, v74
	s_lshl_b32 s4, s36, 7
	s_delay_alu instid0(VALU_DEP_3) | instskip(NEXT) | instid1(VALU_DEP_3)
	v_and_b32_e32 v1, 0x3800, v1
	v_lshlrev_b32_e32 v0, 4, v0
	s_mul_i32 s2, s4, s34
	s_delay_alu instid0(SALU_CYCLE_1) | instskip(NEXT) | instid1(VALU_DEP_1)
	s_mul_i32 s2, s2, s37
	v_or3_b32 v0, v1, v2, v0
	s_ashr_i32 s3, s2, 31
	s_delay_alu instid0(SALU_CYCLE_1)
	s_lshl_b64 s[2:3], s[2:3], 1
	ds_load_b128 v[0:3], v0
	s_waitcnt lgkmcnt(0)
	s_add_u32 s5, s0, s2
	s_addc_u32 s3, s1, s3
	s_lshl_b32 s0, s14, 7
	s_mul_i32 s2, s4, s15
	s_ashr_i32 s1, s0, 31
	s_delay_alu instid0(SALU_CYCLE_1) | instskip(NEXT) | instid1(SALU_CYCLE_1)
	s_lshl_b64 s[0:1], s[0:1], 1
	s_add_u32 s4, s5, s0
	s_addc_u32 s5, s3, s1
	s_ashr_i32 s3, s2, 31
	s_delay_alu instid0(SALU_CYCLE_1) | instskip(NEXT) | instid1(SALU_CYCLE_1)
	s_lshl_b64 s[0:1], s[2:3], 1
	s_add_u32 s0, s4, s0
	s_addc_u32 s1, s5, s1
	global_store_b128 v73, v[0:3], s[0:1]
	s_nop 0
	s_sendmsg sendmsg(MSG_DEALLOC_VGPRS)
	s_endpgm
	.section	.rodata,"a",@progbits
	.p2align	6, 0x0
	.amdhsa_kernel _Z39paged_attention_ll4mi_QKV_mfma16_kernelIDF16_hLN4vllm18Fp8KVCacheDataTypeE1EhLi16ELi128ELi256ELb1ELi1EL8MFMAType0EEvPKT_PKT0_S8_ifPKiSA_SA_iPKfiiiPfSD_PS3_PT2_iSC_SC_
		.amdhsa_group_segment_fixed_size 17472
		.amdhsa_private_segment_fixed_size 0
		.amdhsa_kernarg_size 400
		.amdhsa_user_sgpr_count 13
		.amdhsa_user_sgpr_dispatch_ptr 0
		.amdhsa_user_sgpr_queue_ptr 0
		.amdhsa_user_sgpr_kernarg_segment_ptr 1
		.amdhsa_user_sgpr_dispatch_id 0
		.amdhsa_user_sgpr_private_segment_size 0
		.amdhsa_wavefront_size32 1
		.amdhsa_uses_dynamic_stack 0
		.amdhsa_enable_private_segment 0
		.amdhsa_system_sgpr_workgroup_id_x 1
		.amdhsa_system_sgpr_workgroup_id_y 1
		.amdhsa_system_sgpr_workgroup_id_z 1
		.amdhsa_system_sgpr_workgroup_info 0
		.amdhsa_system_vgpr_workitem_id 0
		.amdhsa_next_free_vgpr 134
		.amdhsa_next_free_sgpr 66
		.amdhsa_reserve_vcc 1
		.amdhsa_float_round_mode_32 0
		.amdhsa_float_round_mode_16_64 0
		.amdhsa_float_denorm_mode_32 3
		.amdhsa_float_denorm_mode_16_64 3
		.amdhsa_dx10_clamp 1
		.amdhsa_ieee_mode 1
		.amdhsa_fp16_overflow 0
		.amdhsa_workgroup_processor_mode 1
		.amdhsa_memory_ordered 1
		.amdhsa_forward_progress 0
		.amdhsa_shared_vgpr_count 0
		.amdhsa_exception_fp_ieee_invalid_op 0
		.amdhsa_exception_fp_denorm_src 0
		.amdhsa_exception_fp_ieee_div_zero 0
		.amdhsa_exception_fp_ieee_overflow 0
		.amdhsa_exception_fp_ieee_underflow 0
		.amdhsa_exception_fp_ieee_inexact 0
		.amdhsa_exception_int_div_zero 0
	.end_amdhsa_kernel
	.section	.text._Z39paged_attention_ll4mi_QKV_mfma16_kernelIDF16_hLN4vllm18Fp8KVCacheDataTypeE1EhLi16ELi128ELi256ELb1ELi1EL8MFMAType0EEvPKT_PKT0_S8_ifPKiSA_SA_iPKfiiiPfSD_PS3_PT2_iSC_SC_,"axG",@progbits,_Z39paged_attention_ll4mi_QKV_mfma16_kernelIDF16_hLN4vllm18Fp8KVCacheDataTypeE1EhLi16ELi128ELi256ELb1ELi1EL8MFMAType0EEvPKT_PKT0_S8_ifPKiSA_SA_iPKfiiiPfSD_PS3_PT2_iSC_SC_,comdat
.Lfunc_end1230:
	.size	_Z39paged_attention_ll4mi_QKV_mfma16_kernelIDF16_hLN4vllm18Fp8KVCacheDataTypeE1EhLi16ELi128ELi256ELb1ELi1EL8MFMAType0EEvPKT_PKT0_S8_ifPKiSA_SA_iPKfiiiPfSD_PS3_PT2_iSC_SC_, .Lfunc_end1230-_Z39paged_attention_ll4mi_QKV_mfma16_kernelIDF16_hLN4vllm18Fp8KVCacheDataTypeE1EhLi16ELi128ELi256ELb1ELi1EL8MFMAType0EEvPKT_PKT0_S8_ifPKiSA_SA_iPKfiiiPfSD_PS3_PT2_iSC_SC_
                                        ; -- End function
	.section	.AMDGPU.csdata,"",@progbits
; Kernel info:
; codeLenInByte = 6440
; NumSgprs: 68
; NumVgprs: 134
; ScratchSize: 0
; MemoryBound: 1
; FloatMode: 240
; IeeeMode: 1
; LDSByteSize: 17472 bytes/workgroup (compile time only)
; SGPRBlocks: 8
; VGPRBlocks: 16
; NumSGPRsForWavesPerEU: 68
; NumVGPRsForWavesPerEU: 134
; Occupancy: 10
; WaveLimiterHint : 1
; COMPUTE_PGM_RSRC2:SCRATCH_EN: 0
; COMPUTE_PGM_RSRC2:USER_SGPR: 13
; COMPUTE_PGM_RSRC2:TRAP_HANDLER: 0
; COMPUTE_PGM_RSRC2:TGID_X_EN: 1
; COMPUTE_PGM_RSRC2:TGID_Y_EN: 1
; COMPUTE_PGM_RSRC2:TGID_Z_EN: 1
; COMPUTE_PGM_RSRC2:TIDIG_COMP_CNT: 0
	.section	.text._Z39paged_attention_ll4mi_QKV_mfma16_kernelIDF16_hLN4vllm18Fp8KVCacheDataTypeE1EhLi16ELi128ELi256ELb1ELi2EL8MFMAType0EEvPKT_PKT0_S8_ifPKiSA_SA_iPKfiiiPfSD_PS3_PT2_iSC_SC_,"axG",@progbits,_Z39paged_attention_ll4mi_QKV_mfma16_kernelIDF16_hLN4vllm18Fp8KVCacheDataTypeE1EhLi16ELi128ELi256ELb1ELi2EL8MFMAType0EEvPKT_PKT0_S8_ifPKiSA_SA_iPKfiiiPfSD_PS3_PT2_iSC_SC_,comdat
	.protected	_Z39paged_attention_ll4mi_QKV_mfma16_kernelIDF16_hLN4vllm18Fp8KVCacheDataTypeE1EhLi16ELi128ELi256ELb1ELi2EL8MFMAType0EEvPKT_PKT0_S8_ifPKiSA_SA_iPKfiiiPfSD_PS3_PT2_iSC_SC_ ; -- Begin function _Z39paged_attention_ll4mi_QKV_mfma16_kernelIDF16_hLN4vllm18Fp8KVCacheDataTypeE1EhLi16ELi128ELi256ELb1ELi2EL8MFMAType0EEvPKT_PKT0_S8_ifPKiSA_SA_iPKfiiiPfSD_PS3_PT2_iSC_SC_
	.globl	_Z39paged_attention_ll4mi_QKV_mfma16_kernelIDF16_hLN4vllm18Fp8KVCacheDataTypeE1EhLi16ELi128ELi256ELb1ELi2EL8MFMAType0EEvPKT_PKT0_S8_ifPKiSA_SA_iPKfiiiPfSD_PS3_PT2_iSC_SC_
	.p2align	8
	.type	_Z39paged_attention_ll4mi_QKV_mfma16_kernelIDF16_hLN4vllm18Fp8KVCacheDataTypeE1EhLi16ELi128ELi256ELb1ELi2EL8MFMAType0EEvPKT_PKT0_S8_ifPKiSA_SA_iPKfiiiPfSD_PS3_PT2_iSC_SC_,@function
_Z39paged_attention_ll4mi_QKV_mfma16_kernelIDF16_hLN4vllm18Fp8KVCacheDataTypeE1EhLi16ELi128ELi256ELb1ELi2EL8MFMAType0EEvPKT_PKT0_S8_ifPKiSA_SA_iPKfiiiPfSD_PS3_PT2_iSC_SC_: ; @_Z39paged_attention_ll4mi_QKV_mfma16_kernelIDF16_hLN4vllm18Fp8KVCacheDataTypeE1EhLi16ELi128ELi256ELb1ELi2EL8MFMAType0EEvPKT_PKT0_S8_ifPKiSA_SA_iPKfiiiPfSD_PS3_PT2_iSC_SC_
; %bb.0:
	s_load_b64 s[2:3], s[0:1], 0x30
	s_mov_b32 s34, s13
	s_waitcnt lgkmcnt(0)
	s_cmp_lg_u64 s[2:3], 0
	s_cselect_b32 s8, -1, 0
	s_ashr_i32 s35, s13, 31
	s_cmp_eq_u64 s[2:3], 0
	s_cbranch_scc1 .LBB1231_3
; %bb.1:
	s_lshl_b64 s[4:5], s[34:35], 2
	s_delay_alu instid0(SALU_CYCLE_1) | instskip(SKIP_4) | instid1(SALU_CYCLE_1)
	s_add_u32 s4, s2, s4
	s_addc_u32 s5, s3, s5
	s_load_b64 s[4:5], s[4:5], 0x0
	s_waitcnt lgkmcnt(0)
	s_sub_i32 s4, s5, s4
	s_cmp_eq_u32 s4, 1
	s_cselect_b32 s4, -1, 0
	s_delay_alu instid0(SALU_CYCLE_1)
	s_and_not1_b32 vcc_lo, exec_lo, s4
	s_cbranch_vccz .LBB1231_4
.LBB1231_2:
	s_endpgm
.LBB1231_3:
.LBB1231_4:
	s_load_b64 s[4:5], s[0:1], 0x28
	s_lshl_b64 s[6:7], s[34:35], 2
	s_waitcnt lgkmcnt(0)
	s_add_u32 s4, s4, s6
	s_addc_u32 s5, s5, s7
	s_lshl_b32 s12, s14, 8
	s_load_b32 s24, s[4:5], 0x0
	s_waitcnt lgkmcnt(0)
	s_cmp_ge_i32 s12, s24
	s_cbranch_scc1 .LBB1231_2
; %bb.5:
	s_clause 0x1
	s_load_b128 s[20:23], s[0:1], 0x8
	s_load_b64 s[4:5], s[0:1], 0x20
	s_and_not1_b32 vcc_lo, exec_lo, s8
	s_cbranch_vccnz .LBB1231_7
; %bb.6:
	s_add_u32 s2, s2, s6
	s_addc_u32 s3, s3, s7
	s_load_b32 s3, s[2:3], 0x0
	s_branch .LBB1231_8
.LBB1231_7:
	s_mov_b32 s3, s34
.LBB1231_8:
	s_load_b128 s[16:19], s[0:1], 0x48
	v_and_b32_e32 v70, 15, v0
	v_bfe_u32 v69, v0, 4, 1
	s_lshl_b32 s31, s15, 1
	v_and_b32_e32 v71, 31, v0
	v_and_b32_e32 v68, 1, v0
	v_lshlrev_b32_e32 v1, 3, v70
	v_cmp_gt_u32_e64 s2, 32, v0
	v_or_b32_e32 v67, s31, v69
	v_lshlrev_b32_e32 v66, 6, v69
	s_delay_alu instid0(VALU_DEP_4) | instskip(NEXT) | instid1(VALU_DEP_4)
	v_lshlrev_b32_e32 v65, 1, v1
	s_and_saveexec_b32 s6, s2
	s_cbranch_execz .LBB1231_10
; %bb.9:
	s_load_b64 s[8:9], s[0:1], 0x0
	v_lshlrev_b32_e32 v1, 7, v67
	s_waitcnt lgkmcnt(0)
	s_mul_hi_i32 s11, s3, s16
	s_mul_i32 s10, s3, s16
	v_lshlrev_b32_e32 v5, 10, v70
	s_lshl_b64 s[10:11], s[10:11], 1
	v_ashrrev_i32_e32 v2, 31, v1
	v_lshlrev_b32_e32 v6, 10, v68
	s_delay_alu instid0(VALU_DEP_3) | instskip(NEXT) | instid1(VALU_DEP_3)
	v_and_b32_e32 v5, 0x3800, v5
	v_lshlrev_b64 v[1:2], 1, v[1:2]
	s_delay_alu instid0(VALU_DEP_2) | instskip(SKIP_2) | instid1(VALU_DEP_2)
	v_or3_b32 v5, v5, v6, v66
	s_add_u32 s3, s8, s10
	s_addc_u32 s7, s9, s11
	v_add_co_u32 v1, vcc_lo, s3, v1
	s_delay_alu instid0(VALU_DEP_3) | instskip(NEXT) | instid1(VALU_DEP_2)
	v_add_co_ci_u32_e32 v2, vcc_lo, s7, v2, vcc_lo
	v_add_co_u32 v1, vcc_lo, v1, v65
	s_delay_alu instid0(VALU_DEP_2)
	v_add_co_ci_u32_e32 v2, vcc_lo, 0, v2, vcc_lo
	global_load_b128 v[1:4], v[1:2], off
	s_waitcnt vmcnt(0)
	ds_store_b128 v5, v[1:4]
.LBB1231_10:
	s_or_b32 exec_lo, exec_lo, s6
	v_and_b32_e32 v1, 0xef, v0
	s_waitcnt lgkmcnt(0)
	s_add_i32 s3, s24, 15
	s_clause 0x1
	s_load_b32 s6, s[0:1], 0x38
	s_load_b32 s33, s[0:1], 0x98
	s_ashr_i32 s7, s3, 31
	v_add_nc_u32_e32 v1, s12, v1
	s_lshr_b32 s7, s7, 28
	s_load_b32 s19, s[0:1], 0x1c
	s_add_i32 s3, s3, s7
	s_waitcnt lgkmcnt(0)
	v_ashrrev_i32_e32 v2, 31, v1
	v_or_b32_e32 v3, 16, v1
	s_ashr_i32 s3, s3, 4
	v_cmp_gt_i32_e32 vcc_lo, s24, v1
	s_add_i32 s3, s3, -1
	v_lshrrev_b32_e32 v2, 28, v2
	s_barrier
	buffer_gl0_inv
	s_mul_i32 s15, s15, s18
	v_lshlrev_b32_e32 v145, 6, v68
	v_add_nc_u32_e32 v4, v1, v2
	v_lshrrev_b32_e32 v72, 5, v0
	s_mul_i32 s6, s34, s6
	s_delay_alu instid0(SALU_CYCLE_1) | instskip(NEXT) | instid1(VALU_DEP_2)
	s_ashr_i32 s7, s6, 31
	v_ashrrev_i32_e32 v4, 4, v4
	v_add_nc_u32_e32 v2, v3, v2
	s_lshl_b64 s[6:7], s[6:7], 2
	s_delay_alu instid0(SALU_CYCLE_1) | instskip(NEXT) | instid1(VALU_DEP_2)
	s_add_u32 s13, s4, s6
	v_cndmask_b32_e32 v1, s3, v4, vcc_lo
	s_delay_alu instid0(VALU_DEP_2)
	v_ashrrev_i32_e32 v2, 4, v2
	v_cmp_gt_i32_e32 vcc_lo, s24, v3
	s_addc_u32 s16, s5, s7
	s_ashr_i32 s18, s15, 31
	s_add_u32 s25, s20, s15
	s_addc_u32 s28, s21, s18
	v_cndmask_b32_e32 v3, s3, v2, vcc_lo
	v_ashrrev_i32_e32 v2, 31, v1
	s_lshl_b32 s4, s14, 4
	s_delay_alu instid0(SALU_CYCLE_1) | instskip(NEXT) | instid1(VALU_DEP_2)
	s_ashr_i32 s5, s4, 31
	v_ashrrev_i32_e32 v4, 31, v3
	s_delay_alu instid0(VALU_DEP_2) | instskip(SKIP_1) | instid1(SALU_CYCLE_1)
	v_lshlrev_b64 v[1:2], 2, v[1:2]
	s_lshl_b64 s[4:5], s[4:5], 2
	s_add_u32 s4, s13, s4
	s_delay_alu instid0(VALU_DEP_2) | instskip(SKIP_1) | instid1(VALU_DEP_2)
	v_lshlrev_b64 v[3:4], 2, v[3:4]
	s_addc_u32 s5, s16, s5
	v_add_co_u32 v1, vcc_lo, s13, v1
	v_add_co_ci_u32_e32 v2, vcc_lo, s16, v2, vcc_lo
	s_delay_alu instid0(VALU_DEP_3) | instskip(NEXT) | instid1(VALU_DEP_4)
	v_add_co_u32 v3, vcc_lo, s13, v3
	v_add_co_ci_u32_e32 v4, vcc_lo, s16, v4, vcc_lo
	s_clause 0x1
	global_load_b32 v5, v[1:2], off
	global_load_b32 v7, v[3:4], off
	s_or_b32 s6, s12, 32
	v_lshlrev_b32_e32 v1, 4, v0
	s_ashr_i32 s7, s6, 4
	s_cmp_lt_i32 s6, s24
	s_cselect_b32 s6, s7, s3
	s_delay_alu instid0(VALU_DEP_1) | instskip(SKIP_1) | instid1(SALU_CYCLE_1)
	v_and_b32_e32 v1, 0xf0, v1
	s_ashr_i32 s7, s6, 31
	s_lshl_b64 s[6:7], s[6:7], 2
	s_delay_alu instid0(SALU_CYCLE_1)
	s_add_u32 s6, s13, s6
	s_addc_u32 s7, s16, s7
	s_or_b32 s8, s12, 64
	v_add_co_u32 v1, s25, s25, v1
	s_ashr_i32 s9, s8, 4
	s_cmp_lt_i32 s8, s24
	v_add_co_ci_u32_e64 v2, null, s28, 0, s25
	s_cselect_b32 s8, s9, s3
	s_delay_alu instid0(SALU_CYCLE_1) | instskip(NEXT) | instid1(SALU_CYCLE_1)
	s_ashr_i32 s9, s8, 31
	s_lshl_b64 s[8:9], s[8:9], 2
	s_delay_alu instid0(SALU_CYCLE_1) | instskip(SKIP_2) | instid1(SALU_CYCLE_1)
	s_add_u32 s8, s13, s8
	s_addc_u32 s9, s16, s9
	s_or_b32 s10, s12, 0x60
	s_ashr_i32 s11, s10, 4
	s_cmp_lt_i32 s10, s24
	s_cselect_b32 s10, s11, s3
	s_delay_alu instid0(SALU_CYCLE_1) | instskip(NEXT) | instid1(SALU_CYCLE_1)
	s_ashr_i32 s11, s10, 31
	s_lshl_b64 s[10:11], s[10:11], 2
	s_delay_alu instid0(SALU_CYCLE_1) | instskip(SKIP_2) | instid1(SALU_CYCLE_1)
	s_add_u32 s10, s13, s10
	s_addc_u32 s11, s16, s11
	s_or_b32 s20, s12, 0x80
	s_ashr_i32 s21, s20, 4
	s_cmp_lt_i32 s20, s24
	;; [unrolled: 10-line block ×3, first 2 shown]
	s_cselect_b32 s26, s27, s3
	s_delay_alu instid0(SALU_CYCLE_1) | instskip(NEXT) | instid1(SALU_CYCLE_1)
	s_ashr_i32 s27, s26, 31
	s_lshl_b64 s[26:27], s[26:27], 2
	s_delay_alu instid0(SALU_CYCLE_1)
	s_add_u32 s26, s13, s26
	s_addc_u32 s27, s16, s27
	s_clause 0x5
	s_load_b32 s25, s[4:5], 0x0
	s_load_b32 s28, s[6:7], 0x0
	;; [unrolled: 1-line block ×6, first 2 shown]
	s_or_b32 s7, s12, 0xc0
	s_mov_b32 s4, 0
	s_ashr_i32 s8, s7, 4
	s_cmp_lt_i32 s7, s24
	s_mov_b32 s5, s4
	s_cselect_b32 s10, s8, s3
	s_mov_b32 s6, s4
	s_ashr_i32 s11, s10, 31
	s_mov_b32 s7, s4
	s_lshl_b64 s[20:21], s[10:11], 2
	s_mov_b32 s11, s4
	s_add_u32 s20, s13, s20
	s_addc_u32 s21, s16, s21
	s_or_b32 s27, s12, 0xe0
	s_mov_b32 s8, s4
	s_ashr_i32 s36, s27, 4
	s_mov_b32 s9, s4
	s_mov_b32 s10, s4
	s_cmp_lt_i32 s27, s24
	v_mov_b32_e32 v120, s11
	v_dual_mov_b32 v114, s5 :: v_dual_mov_b32 v119, s10
	v_dual_mov_b32 v118, s9 :: v_dual_mov_b32 v117, s8
	;; [unrolled: 1-line block ×3, first 2 shown]
	v_mov_b32_e32 v113, s4
	s_cselect_b32 s4, s36, s3
	s_delay_alu instid0(SALU_CYCLE_1) | instskip(NEXT) | instid1(SALU_CYCLE_1)
	s_ashr_i32 s5, s4, 31
	s_lshl_b64 s[4:5], s[4:5], 2
	s_delay_alu instid0(SALU_CYCLE_1)
	s_add_u32 s4, s13, s4
	s_addc_u32 s5, s16, s5
	s_add_u32 s6, s22, s15
	s_addc_u32 s7, s23, s18
	s_waitcnt vmcnt(1)
	v_mad_i64_i32 v[3:4], null, v5, s17, v[1:2]
	s_waitcnt vmcnt(0)
	v_mad_i64_i32 v[5:6], null, v7, s17, v[1:2]
	v_lshlrev_b32_e32 v1, 4, v70
	s_clause 0xf
	global_load_b128 v[9:12], v[3:4], off
	global_load_b128 v[13:16], v[3:4], off offset:256
	global_load_b128 v[17:20], v[5:6], off
	global_load_b128 v[21:24], v[5:6], off offset:256
	global_load_b128 v[57:60], v[3:4], off offset:512
	;; [unrolled: 1-line block ×13, first 2 shown]
	ds_load_b128 v[25:28], v145
	ds_load_b128 v[29:32], v145 offset:1024
	s_load_b32 s3, s[20:21], 0x0
	ds_load_b128 v[121:124], v145 offset:2048
	ds_load_b128 v[125:128], v145 offset:3072
	s_load_b32 s4, s[4:5], 0x0
	v_lshl_or_b32 v1, v72, 8, v1
	s_delay_alu instid0(VALU_DEP_1) | instskip(NEXT) | instid1(VALU_DEP_1)
	v_add_co_u32 v129, s6, s6, v1
	v_add_co_ci_u32_e64 v130, null, s7, 0, s6
	s_waitcnt lgkmcnt(0)
	s_delay_alu instid0(VALU_DEP_1)
	v_mad_i64_i32 v[1:2], null, s25, s17, v[129:130]
	v_mad_i64_i32 v[3:4], null, s28, s17, v[129:130]
	;; [unrolled: 1-line block ×8, first 2 shown]
	s_clause 0x7
	global_load_b128 v[49:52], v[1:2], off
	global_load_b128 v[53:56], v[1:2], off offset:16
	global_load_b128 v[41:44], v[3:4], off
	global_load_b128 v[45:48], v[3:4], off offset:16
	;; [unrolled: 2-line block ×4, first 2 shown]
	s_waitcnt vmcnt(22)
	v_wmma_f32_16x16x16_f16 v[129:136], v[9:16], v[25:32], v[113:120]
	s_waitcnt vmcnt(20)
	v_wmma_f32_16x16x16_f16 v[113:120], v[17:24], v[25:32], v[113:120]
	s_clause 0x5
	global_load_b128 v[9:12], v[137:138], off
	global_load_b128 v[13:16], v[137:138], off offset:16
	global_load_b128 v[17:20], v[139:140], off
	global_load_b128 v[21:24], v[139:140], off offset:16
	;; [unrolled: 2-line block ×3, first 2 shown]
	v_mbcnt_lo_u32_b32 v137, -1, 0
	s_waitcnt vmcnt(24)
	v_wmma_f32_16x16x16_f16 v[129:136], v[57:64], v[121:128], v[129:136]
	s_clause 0x1
	global_load_b128 v[57:60], v[143:144], off
	global_load_b128 v[61:64], v[143:144], off offset:16
	s_waitcnt vmcnt(24)
	v_wmma_f32_16x16x16_f16 v[113:120], v[73:80], v[121:128], v[113:120]
	ds_load_b128 v[73:76], v145 offset:4096
	ds_load_b128 v[77:80], v145 offset:5120
	v_and_b32_e32 v121, 0xe0, v0
	v_xor_b32_e32 v139, 16, v137
	s_delay_alu instid0(VALU_DEP_2)
	v_add_nc_u32_e32 v138, s12, v121
	ds_load_b128 v[121:124], v145 offset:6144
	ds_load_b128 v[125:128], v145 offset:7168
	v_cmp_gt_i32_e32 vcc_lo, 32, v139
	s_waitcnt vmcnt(0) lgkmcnt(0)
	s_barrier
	v_or_b32_e32 v138, v138, v69
	buffer_gl0_inv
	v_or_b32_e32 v140, 4, v138
	v_or_b32_e32 v141, 6, v138
	;; [unrolled: 1-line block ×3, first 2 shown]
	v_wmma_f32_16x16x16_f16 v[129:136], v[81:88], v[73:80], v[129:136]
	v_wmma_f32_16x16x16_f16 v[113:120], v[89:96], v[73:80], v[113:120]
	v_or_b32_e32 v81, 10, v138
	v_cmp_gt_i32_e64 s4, s24, v140
	v_cmp_gt_i32_e64 s5, s24, v141
	v_or_b32_e32 v82, 12, v138
	v_or_b32_e32 v83, 14, v138
	v_wmma_f32_16x16x16_f16 v[129:136], v[97:104], v[121:128], v[129:136]
	v_wmma_f32_16x16x16_f16 v[113:120], v[105:112], v[121:128], v[113:120]
	v_cndmask_b32_e32 v137, v137, v139, vcc_lo
	v_or_b32_e32 v139, 2, v138
	v_cmp_gt_i32_e32 vcc_lo, s24, v138
	v_mul_f32_e32 v90, s19, v130
	v_dual_mul_f32 v92, s19, v120 :: v_dual_mul_f32 v91, s19, v129
	s_delay_alu instid0(VALU_DEP_4) | instskip(SKIP_2) | instid1(VALU_DEP_4)
	v_cmp_gt_i32_e64 s3, s24, v139
	v_dual_mul_f32 v80, s19, v132 :: v_dual_mul_f32 v89, s19, v131
	v_mul_f32_e32 v78, s19, v134
	v_cndmask_b32_e32 v91, 0xff7fffff, v91, vcc_lo
	s_delay_alu instid0(VALU_DEP_4) | instskip(SKIP_3) | instid1(VALU_DEP_4)
	v_cndmask_b32_e64 v90, 0xff7fffff, v90, s3
	v_dual_mul_f32 v79, s19, v133 :: v_dual_mul_f32 v98, s19, v114
	v_cndmask_b32_e64 v89, 0xff7fffff, v89, s4
	v_cndmask_b32_e64 v80, 0xff7fffff, v80, s5
	v_max3_f32 v90, v91, 0xff7fffff, v90
	v_cmp_gt_i32_e64 s6, s24, v142
	v_cmp_gt_i32_e64 s7, s24, v81
	v_or_b32_e32 v84, 16, v138
	v_or_b32_e32 v85, 18, v138
	v_dual_mul_f32 v76, s19, v136 :: v_dual_mul_f32 v77, s19, v135
	v_mul_f32_e32 v96, s19, v116
	v_cndmask_b32_e64 v79, 0xff7fffff, v79, s6
	v_cndmask_b32_e64 v78, 0xff7fffff, v78, s7
	v_max3_f32 v80, v90, v89, v80
	v_cmp_gt_i32_e64 s8, s24, v82
	v_cmp_gt_i32_e64 s9, s24, v83
	v_or_b32_e32 v86, 20, v138
	v_or_b32_e32 v87, 22, v138
	v_mul_f32_e32 v99, s19, v113
	v_cndmask_b32_e64 v77, 0xff7fffff, v77, s8
	v_cndmask_b32_e64 v76, 0xff7fffff, v76, s9
	v_max3_f32 v78, v80, v79, v78
	v_cmp_gt_i32_e64 s10, s24, v84
	v_cmp_gt_i32_e64 s11, s24, v85
	v_or_b32_e32 v88, 24, v138
	v_or_b32_e32 v73, 26, v138
	;; [unrolled: 8-line block ×3, first 2 shown]
	v_dual_mul_f32 v94, s19, v118 :: v_dual_mul_f32 v95, s19, v117
	v_cndmask_b32_e64 v77, 0xff7fffff, v97, s12
	v_cndmask_b32_e64 v78, 0xff7fffff, v96, s13
	v_max3_f32 v76, v76, v79, v80
	v_cmp_gt_i32_e64 s15, s24, v88
	v_cmp_gt_i32_e64 s16, s24, v73
	v_mul_f32_e32 v93, s19, v119
	v_cmp_gt_i32_e64 s17, s24, v74
	v_max3_f32 v76, v76, v77, v78
	v_cndmask_b32_e64 v79, 0xff7fffff, v95, s15
	v_cndmask_b32_e64 v73, 0xff7fffff, v94, s16
	v_cmp_gt_i32_e64 s18, s24, v75
	v_cndmask_b32_e64 v74, 0xff7fffff, v93, s17
	s_delay_alu instid0(VALU_DEP_3) | instskip(NEXT) | instid1(VALU_DEP_3)
	v_max3_f32 v73, v76, v79, v73
	v_cndmask_b32_e64 v75, 0xff7fffff, v92, s18
	v_lshlrev_b32_e32 v76, 2, v137
	s_delay_alu instid0(VALU_DEP_2) | instskip(SKIP_3) | instid1(VALU_DEP_1)
	v_max3_f32 v73, v73, v74, v75
	ds_bpermute_b32 v74, v76, v73
	s_waitcnt lgkmcnt(0)
	v_max_f32_e32 v74, v74, v74
	v_max_f32_e32 v73, v73, v74
	s_delay_alu instid0(VALU_DEP_1) | instskip(SKIP_4) | instid1(VALU_DEP_4)
	v_fma_f32 v74, s19, v129, -v73
	v_fma_f32 v83, s19, v135, -v73
	;; [unrolled: 1-line block ×5, first 2 shown]
	v_dual_mul_f32 v74, 0x3fb8aa3b, v74 :: v_dual_mul_f32 v83, 0x3fb8aa3b, v83
	s_delay_alu instid0(VALU_DEP_4) | instskip(NEXT) | instid1(VALU_DEP_4)
	v_mul_f32_e32 v75, 0x3fb8aa3b, v75
	v_mul_f32_e32 v77, 0x3fb8aa3b, v77
	v_fma_f32 v80, s19, v133, -v73
	s_delay_alu instid0(VALU_DEP_4)
	v_exp_f32_e32 v74, v74
	v_exp_f32_e32 v85, v83
	;; [unrolled: 1-line block ×3, first 2 shown]
	v_mul_f32_e32 v78, 0x3fb8aa3b, v78
	v_exp_f32_e32 v77, v77
	v_mul_f32_e32 v80, 0x3fb8aa3b, v80
	s_delay_alu instid0(VALU_DEP_2) | instskip(NEXT) | instid1(VALU_DEP_1)
	v_exp_f32_e32 v82, v78
	v_exp_f32_e32 v84, v80
	v_cndmask_b32_e64 v85, 0, v85, s8
	v_cndmask_b32_e32 v79, 0, v74, vcc_lo
	v_fma_f32 v74, s19, v134, -v73
	v_cndmask_b32_e64 v78, 0, v75, s3
	s_delay_alu instid0(TRANS32_DEP_3) | instskip(SKIP_1) | instid1(VALU_DEP_3)
	v_cndmask_b32_e64 v81, 0, v77, s4
	s_mov_b32 s3, exec_lo
	v_dual_add_f32 v75, 0, v79 :: v_dual_mul_f32 v74, 0x3fb8aa3b, v74
	s_delay_alu instid0(TRANS32_DEP_2) | instskip(SKIP_2) | instid1(VALU_DEP_4)
	v_cndmask_b32_e64 v80, 0, v82, s5
	v_fma_f32 v82, s19, v113, -v73
	v_cndmask_b32_e64 v83, 0, v84, s6
	v_add_f32_e32 v75, v75, v78
	v_exp_f32_e32 v74, v74
	s_delay_alu instid0(VALU_DEP_1) | instskip(NEXT) | instid1(VALU_DEP_1)
	v_dual_mul_f32 v86, 0x3fb8aa3b, v82 :: v_dual_add_f32 v75, v75, v81
	v_exp_f32_e32 v86, v86
	s_delay_alu instid0(VALU_DEP_1)
	v_add_f32_e32 v75, v75, v80
	s_waitcnt_depctr 0xfff
	v_cndmask_b32_e64 v82, 0, v74, s7
	v_add_f32_e32 v74, v75, v83
	v_fma_f32 v77, s19, v136, -v73
	v_fma_f32 v90, s19, v118, -v73
	;; [unrolled: 1-line block ×4, first 2 shown]
	s_delay_alu instid0(VALU_DEP_4) | instskip(NEXT) | instid1(VALU_DEP_4)
	v_dual_add_f32 v74, v74, v82 :: v_dual_mul_f32 v77, 0x3fb8aa3b, v77
	v_mul_f32_e32 v90, 0x3fb8aa3b, v90
	s_delay_alu instid0(VALU_DEP_4) | instskip(SKIP_1) | instid1(VALU_DEP_4)
	v_mul_f32_e32 v84, 0x3fb8aa3b, v84
	v_fma_f32 v87, s19, v116, -v73
	v_add_f32_e32 v74, v74, v85
	v_exp_f32_e32 v77, v77
	v_exp_f32_e32 v90, v90
	;; [unrolled: 1-line block ×3, first 2 shown]
	v_mul_f32_e32 v89, 0x3fb8aa3b, v87
	v_cndmask_b32_e64 v87, 0, v86, s10
	v_fma_f32 v92, s19, v120, -v73
	s_delay_alu instid0(VALU_DEP_3) | instskip(SKIP_1) | instid1(TRANS32_DEP_3)
	v_exp_f32_e32 v91, v89
	v_cndmask_b32_e64 v84, 0, v77, s9
	v_cndmask_b32_e64 v90, 0, v90, s16
	v_mul_f32_e32 v75, 0x3fb8aa3b, v75
	v_fma_f32 v77, s19, v117, -v73
	s_delay_alu instid0(TRANS32_DEP_2) | instskip(SKIP_3) | instid1(VALU_DEP_2)
	v_cndmask_b32_e64 v86, 0, v88, s11
	v_add_f32_e32 v74, v74, v84
	v_fma_f32 v88, s19, v119, -v73
	v_exp_f32_e32 v75, v75
	v_dual_mul_f32 v77, 0x3fb8aa3b, v77 :: v_dual_add_f32 v74, v74, v87
	s_delay_alu instid0(VALU_DEP_1) | instskip(NEXT) | instid1(VALU_DEP_1)
	v_exp_f32_e32 v77, v77
	v_add_f32_e32 v74, v74, v86
	s_waitcnt_depctr 0xfff
	v_cndmask_b32_e64 v89, 0, v75, s12
	v_mul_f32_e32 v75, 0x3fb8aa3b, v88
	v_cndmask_b32_e64 v88, 0, v91, s13
	s_delay_alu instid0(VALU_DEP_3) | instskip(NEXT) | instid1(VALU_DEP_3)
	v_add_f32_e32 v74, v74, v89
	v_exp_f32_e32 v75, v75
	v_cndmask_b32_e64 v91, 0, v77, s15
	v_mul_f32_e32 v77, 0x3fb8aa3b, v92
	s_delay_alu instid0(VALU_DEP_3) | instskip(NEXT) | instid1(VALU_DEP_2)
	v_add_f32_e32 v74, v74, v88
	v_exp_f32_e32 v77, v77
	s_delay_alu instid0(VALU_DEP_1) | instskip(SKIP_4) | instid1(VALU_DEP_2)
	v_add_f32_e32 v74, v74, v91
	s_waitcnt_depctr 0xfff
	v_cndmask_b32_e64 v93, 0, v75, s17
	v_add_f32_e32 v74, v74, v90
	v_cndmask_b32_e64 v92, 0, v77, s18
	v_add_f32_e32 v74, v74, v93
	s_delay_alu instid0(VALU_DEP_1)
	v_add_f32_e32 v74, v74, v92
	ds_bpermute_b32 v75, v76, v74
	v_cmpx_gt_u32_e32 16, v71
	s_cbranch_execz .LBB1231_12
; %bb.11:
	v_mul_u32_u24_e32 v71, 0x44, v72
	s_waitcnt lgkmcnt(0)
	v_add_f32_e32 v74, v74, v75
	s_delay_alu instid0(VALU_DEP_2) | instskip(NEXT) | instid1(VALU_DEP_1)
	v_lshl_add_u32 v71, v70, 2, v71
	v_add_nc_u32_e32 v71, 0x4000, v71
	ds_store_2addr_b32 v71, v73, v74 offset1:136
.LBB1231_12:
	s_or_b32 exec_lo, exec_lo, s3
	v_lshlrev_b32_e32 v71, 2, v70
	s_load_b32 s35, s[0:1], 0x94
	s_waitcnt lgkmcnt(0)
	s_barrier
	buffer_gl0_inv
	v_add_nc_u32_e32 v71, 0x4000, v71
	v_cmp_eq_u32_e32 vcc_lo, 1, v72
	v_cmp_eq_u32_e64 s3, 2, v72
	v_cmp_eq_u32_e64 s4, 3, v72
	;; [unrolled: 1-line block ×3, first 2 shown]
	ds_load_2addr_b32 v[73:74], v71 offset1:17
	ds_load_2addr_b32 v[94:95], v71 offset0:34 offset1:51
	ds_load_2addr_b32 v[96:97], v71 offset0:68 offset1:85
	;; [unrolled: 1-line block ×3, first 2 shown]
	v_cmp_eq_u32_e64 s6, 5, v72
	v_cmp_eq_u32_e64 s7, 7, v72
	s_waitcnt lgkmcnt(3)
	v_max3_f32 v75, v73, 0xff7fffff, v74
	s_waitcnt lgkmcnt(2)
	s_delay_alu instid0(VALU_DEP_1) | instskip(SKIP_1) | instid1(VALU_DEP_1)
	v_max3_f32 v75, v75, v94, v95
	s_waitcnt lgkmcnt(1)
	v_max3_f32 v75, v75, v96, v97
	s_waitcnt lgkmcnt(0)
	s_delay_alu instid0(VALU_DEP_1) | instskip(NEXT) | instid1(VALU_DEP_1)
	v_max3_f32 v76, v75, v98, v99
	v_sub_f32_e32 v96, v96, v76
	ds_load_2addr_b32 v[100:101], v71 offset0:136 offset1:153
	v_sub_f32_e32 v73, v73, v76
	v_sub_f32_e32 v75, v74, v76
	;; [unrolled: 1-line block ×3, first 2 shown]
	v_mul_f32_e32 v105, 0x3fb8aa3b, v96
	s_delay_alu instid0(VALU_DEP_4)
	v_mul_f32_e32 v77, 0x3fb8aa3b, v73
	ds_load_2addr_b32 v[73:74], v71 offset0:170 offset1:187
	v_mul_f32_e32 v103, 0x3fb8aa3b, v94
	v_exp_f32_e32 v102, v77
	v_sub_f32_e32 v77, v95, v76
	ds_load_2addr_b32 v[94:95], v71 offset0:204 offset1:221
	v_exp_f32_e32 v103, v103
	v_mul_f32_e32 v104, 0x3fb8aa3b, v77
	s_waitcnt lgkmcnt(2)
	v_fma_f32 v77, v102, v100, 0
	v_dual_sub_f32 v100, v97, v76 :: v_dual_mul_f32 v75, 0x3fb8aa3b, v75
	ds_load_2addr_b32 v[96:97], v71 offset0:238 offset1:255
	v_sub_f32_e32 v71, v98, v76
	v_exp_f32_e32 v104, v104
	v_mul_f32_e32 v98, 0x3fb8aa3b, v100
	v_exp_f32_e32 v75, v75
	v_exp_f32_e32 v100, v105
	v_mul_f32_e32 v71, 0x3fb8aa3b, v71
	s_waitcnt lgkmcnt(0)
	v_exp_f32_e32 v98, v98
	s_barrier
	buffer_gl0_inv
	v_fmac_f32_e32 v77, v75, v101
	s_delay_alu instid0(VALU_DEP_1) | instskip(SKIP_2) | instid1(VALU_DEP_2)
	v_fmac_f32_e32 v77, v103, v73
	v_sub_f32_e32 v73, v99, v76
	v_exp_f32_e32 v99, v71
	v_fmac_f32_e32 v77, v104, v74
	s_delay_alu instid0(VALU_DEP_2) | instskip(NEXT) | instid1(VALU_DEP_2)
	v_dual_mul_f32 v73, 0x3fb8aa3b, v73 :: v_dual_lshlrev_b32 v74, 6, v70
	v_dual_fmac_f32 v77, v100, v94 :: v_dual_lshlrev_b32 v70, 2, v69
	s_delay_alu instid0(VALU_DEP_2) | instskip(SKIP_1) | instid1(VALU_DEP_3)
	v_exp_f32_e32 v94, v73
	v_cndmask_b32_e32 v73, v102, v75, vcc_lo
	v_lshl_or_b32 v75, v72, 11, v74
	s_delay_alu instid0(VALU_DEP_3) | instskip(SKIP_1) | instid1(VALU_DEP_3)
	v_cmp_eq_u32_e64 s8, 7, v70
	v_fmac_f32_e32 v77, v98, v95
	v_lshl_or_b32 v69, v69, 4, v75
	s_delay_alu instid0(VALU_DEP_2)
	v_fmac_f32_e32 v77, v99, v96
	s_delay_alu instid0(TRANS32_DEP_1) | instid1(VALU_DEP_1)
	v_fmac_f32_e32 v77, v94, v97
	s_delay_alu instid0(VALU_DEP_1) | instskip(NEXT) | instid1(VALU_DEP_1)
	v_add_f32_e32 v95, 0x358637bd, v77
	v_div_scale_f32 v96, null, v95, v95, 1.0
	v_div_scale_f32 v101, vcc_lo, 1.0, v95, 1.0
	s_delay_alu instid0(VALU_DEP_2) | instskip(SKIP_2) | instid1(VALU_DEP_1)
	v_rcp_f32_e32 v97, v96
	s_waitcnt_depctr 0xfff
	v_fma_f32 v71, -v96, v97, 1.0
	v_fmac_f32_e32 v97, v71, v97
	v_cndmask_b32_e64 v71, v73, v103, s3
	v_cmp_eq_u32_e64 s3, 6, v72
	v_or_b32_e32 v73, 1, v70
	v_or_b32_e32 v72, 3, v70
	v_mul_f32_e32 v102, v101, v97
	v_cndmask_b32_e64 v71, v71, v104, s4
	v_cmp_eq_u32_e64 s4, 1, v70
	v_cmp_eq_u32_e64 s9, 1, v73
	;; [unrolled: 1-line block ×3, first 2 shown]
	v_fma_f32 v103, -v96, v102, v101
	v_cndmask_b32_e64 v100, v71, v100, s5
	v_or_b32_e32 v71, 2, v70
	v_cmp_eq_u32_e64 s5, 2, v70
	v_cmp_eq_u32_e64 s12, 2, v73
	v_fmac_f32_e32 v102, v103, v97
	v_cndmask_b32_e64 v98, v100, v98, s6
	v_cmp_eq_u32_e64 s10, 1, v71
	v_cmp_eq_u32_e64 s15, 2, v71
	;; [unrolled: 1-line block ×3, first 2 shown]
	v_fma_f32 v96, -v96, v102, v101
	v_cndmask_b32_e64 v98, v98, v99, s3
	v_cmp_eq_u32_e64 s13, 3, v73
	v_cmp_eq_u32_e64 s18, 3, v72
	;; [unrolled: 1-line block ×3, first 2 shown]
	v_div_fmas_f32 v96, v96, v97, v102
	v_cndmask_b32_e64 v94, v98, v94, s7
	v_cmp_eq_u32_e32 vcc_lo, 3, v70
	v_cmp_eq_u32_e64 s17, 3, v71
	v_cmp_eq_u32_e64 s19, 4, v73
	v_div_fixup_f32 v95, v96, v95, 1.0
	v_cmp_eq_u32_e64 s22, 4, v72
	v_cmp_eq_u32_e64 s6, 5, v70
	;; [unrolled: 1-line block ×4, first 2 shown]
	v_mul_f32_e32 v102, v94, v95
	v_cmp_eq_u32_e64 s24, 5, v72
	v_cmp_eq_u32_e64 s23, 5, v71
	;; [unrolled: 1-line block ×4, first 2 shown]
	v_fma_mixlo_f16 v94, v102, v79, 0
	v_fma_mixlo_f16 v95, v102, v81, 0
	;; [unrolled: 1-line block ×8, first 2 shown]
	v_fma_mixhi_f16 v94, v102, v78, 0
	v_fma_mixhi_f16 v95, v102, v80, 0
	;; [unrolled: 1-line block ×8, first 2 shown]
	ds_store_b128 v69, v[94:97]
	ds_store_b128 v69, v[98:101] offset:1024
	s_waitcnt lgkmcnt(0)
	s_barrier
	buffer_gl0_inv
	ds_load_b128 v[78:81], v75
	ds_load_b128 v[82:85], v75 offset:16
	ds_load_b128 v[86:89], v75 offset:1024
	;; [unrolled: 1-line block ×3, first 2 shown]
	v_cmp_eq_u32_e64 s7, 6, v70
	v_cmp_eq_u32_e64 s26, 6, v71
	v_cmp_eq_u32_e64 s29, 7, v72
	v_cmp_eq_u32_e64 s30, 7, v73
	v_cmp_eq_u32_e64 s28, 7, v71
	s_waitcnt lgkmcnt(3)
	v_lshrrev_b32_e32 v94, 16, v78
	s_waitcnt lgkmcnt(2)
	v_lshrrev_b32_e32 v98, 16, v82
	;; [unrolled: 2-line block ×4, first 2 shown]
	v_lshrrev_b32_e32 v95, 16, v79
	v_cndmask_b32_e64 v110, v78, v94, s4
	v_cndmask_b32_e64 v111, v82, v98, s4
	;; [unrolled: 1-line block ×8, first 2 shown]
	v_lshrrev_b32_e32 v99, 16, v83
	v_cndmask_b32_e64 v94, v86, v102, s4
	v_cndmask_b32_e64 v98, v90, v106, s4
	;; [unrolled: 1-line block ×15, first 2 shown]
	v_lshrrev_b32_e32 v103, 16, v87
	v_lshrrev_b32_e32 v107, 16, v91
	v_cndmask_b32_e64 v113, v115, v83, s15
	v_cndmask_b32_e64 v82, v94, v87, s5
	;; [unrolled: 1-line block ×7, first 2 shown]
	v_cndmask_b32_e32 v90, v102, v95, vcc_lo
	v_cndmask_b32_e32 v102, v106, v99, vcc_lo
	v_cndmask_b32_e64 v106, v110, v95, s13
	v_cndmask_b32_e64 v110, v111, v99, s13
	;; [unrolled: 1-line block ×4, first 2 shown]
	v_lshrrev_b32_e32 v96, 16, v80
	v_lshrrev_b32_e32 v100, 16, v84
	v_cndmask_b32_e64 v111, v112, v95, s17
	v_cndmask_b32_e64 v112, v113, v99, s17
	v_cndmask_b32_e32 v82, v82, v103, vcc_lo
	v_cndmask_b32_e32 v83, v83, v107, vcc_lo
	v_cndmask_b32_e64 v94, v94, v103, s13
	v_cndmask_b32_e64 v90, v90, v80, s3
	;; [unrolled: 1-line block ×7, first 2 shown]
	v_lshrrev_b32_e32 v104, 16, v88
	v_cndmask_b32_e64 v106, v111, v80, s21
	v_cndmask_b32_e64 v110, v112, v84, s21
	v_cndmask_b32_e64 v80, v82, v88, s3
	v_cndmask_b32_e64 v82, v83, v92, s3
	v_cndmask_b32_e64 v83, v94, v88, s19
	v_cndmask_b32_e64 v84, v90, v96, s6
	v_cndmask_b32_e64 v90, v95, v100, s6
	v_cndmask_b32_e64 v94, v99, v96, s20
	v_cndmask_b32_e64 v95, v102, v100, s20
	v_cndmask_b32_e64 v78, v78, v96, s24
	v_cndmask_b32_e64 v79, v79, v100, s24
	v_lshrrev_b32_e32 v97, 16, v81
	v_lshrrev_b32_e32 v101, 16, v85
	v_cndmask_b32_e64 v99, v106, v96, s23
	v_cndmask_b32_e64 v102, v110, v100, s23
	;; [unrolled: 1-line block ×7, first 2 shown]
	v_lshrrev_b32_e32 v105, 16, v89
	v_cndmask_b32_e64 v80, v80, v104, s6
	v_cndmask_b32_e64 v84, v84, v81, s7
	;; [unrolled: 1-line block ×16, first 2 shown]
	v_perm_b32 v81, v79, v78, 0x5040100
	v_perm_b32 v79, v95, v85, 0x5040100
	v_cndmask_b32_e64 v78, v119, v91, s15
	v_cndmask_b32_e64 v85, v117, v91, s12
	;; [unrolled: 1-line block ×3, first 2 shown]
	v_perm_b32 v80, v94, v90, 0x5040100
	v_cndmask_b32_e64 v90, v98, v103, s17
	v_cndmask_b32_e64 v86, v86, v103, s18
	v_cndmask_b32_e64 v87, v87, v107, s18
	v_cndmask_b32_e64 v78, v78, v107, s17
	v_cndmask_b32_e64 v85, v85, v107, s13
	v_lshrrev_b32_e32 v108, 16, v92
	v_cndmask_b32_e64 v90, v90, v88, s21
	v_cndmask_b32_e64 v86, v86, v88, s22
	;; [unrolled: 1-line block ×11, first 2 shown]
	v_lshrrev_b32_e32 v109, 16, v93
	v_cndmask_b32_e64 v82, v82, v93, s7
	v_cndmask_b32_e64 v88, v88, v89, s26
	;; [unrolled: 1-line block ×12, first 2 shown]
	v_perm_b32 v78, v84, v83, 0x5040100
	v_perm_b32 v85, v87, v86, 0x5040100
	;; [unrolled: 1-line block ×5, first 2 shown]
	s_lshl_b32 s8, s33, 1
	s_mov_b32 s3, exec_lo
	ds_store_b128 v69, v[78:81]
	ds_store_b128 v69, v[82:85] offset:1024
	v_cmpx_gt_u32_e32 2, v0
	s_cbranch_execz .LBB1231_14
; %bb.13:
	v_or_b32_e32 v78, s31, v0
	s_load_b128 s[4:7], s[0:1], 0x58
	s_delay_alu instid0(VALU_DEP_1) | instskip(NEXT) | instid1(VALU_DEP_1)
	v_mad_u64_u32 v[79:80], null, s8, s34, v[78:79]
	v_mad_u64_u32 v[80:81], null, v79, s35, s[14:15]
	s_delay_alu instid0(VALU_DEP_1) | instskip(NEXT) | instid1(VALU_DEP_1)
	v_ashrrev_i32_e32 v81, 31, v80
	v_lshlrev_b64 v[78:79], 2, v[80:81]
	s_waitcnt lgkmcnt(0)
	s_delay_alu instid0(VALU_DEP_1) | instskip(NEXT) | instid1(VALU_DEP_2)
	v_add_co_u32 v80, vcc_lo, s6, v78
	v_add_co_ci_u32_e32 v81, vcc_lo, s7, v79, vcc_lo
	v_add_co_u32 v78, vcc_lo, s4, v78
	v_add_co_ci_u32_e32 v79, vcc_lo, s5, v79, vcc_lo
	global_store_b32 v[80:81], v76, off
	global_store_b32 v[78:79], v77, off
.LBB1231_14:
	s_or_b32 exec_lo, exec_lo, s3
	s_waitcnt lgkmcnt(0)
	s_waitcnt_vscnt null, 0x0
	s_barrier
	buffer_gl0_inv
	ds_load_b128 v[84:87], v74
	ds_load_b128 v[88:91], v74 offset:16
	ds_load_b128 v[96:99], v74 offset:2064
	;; [unrolled: 1-line block ×5, first 2 shown]
	v_cmp_eq_u32_e32 vcc_lo, 1, v70
	v_mov_b32_e32 v76, 0
	ds_load_b128 v[112:115], v74 offset:6160
	ds_load_b128 v[108:111], v74 offset:6144
	;; [unrolled: 1-line block ×4, first 2 shown]
	v_cmp_eq_u32_e64 s4, 1, v71
	v_cmp_eq_u32_e64 s3, 1, v73
	;; [unrolled: 1-line block ×3, first 2 shown]
	v_mov_b32_e32 v77, v76
	v_mov_b32_e32 v78, v76
	;; [unrolled: 1-line block ×7, first 2 shown]
	v_cmp_eq_u32_e64 s6, 3, v73
	v_cmp_eq_u32_e64 s7, 7, v73
	s_waitcnt lgkmcnt(8)
	s_delay_alu instid0(VALU_DEP_3)
	v_wmma_f32_16x16x16_f16 v[76:83], v[49:56], v[84:91], v[76:83]
	ds_load_b128 v[53:56], v74 offset:10256
	ds_load_b128 v[49:52], v74 offset:10240
	s_waitcnt lgkmcnt(8)
	v_wmma_f32_16x16x16_f16 v[76:83], v[41:48], v[92:99], v[76:83]
	ds_load_b128 v[45:48], v74 offset:12304
	ds_load_b128 v[41:44], v74 offset:12288
	s_waitcnt lgkmcnt(8)
	;; [unrolled: 4-line block ×3, first 2 shown]
	s_barrier
	buffer_gl0_inv
	v_wmma_f32_16x16x16_f16 v[76:83], v[1:8], v[108:115], v[76:83]
	s_delay_alu instid0(VALU_DEP_1) | instskip(NEXT) | instid1(VALU_DEP_1)
	v_wmma_f32_16x16x16_f16 v[76:83], v[9:16], v[116:123], v[76:83]
	v_wmma_f32_16x16x16_f16 v[76:83], v[17:24], v[49:56], v[76:83]
	s_delay_alu instid0(VALU_DEP_1) | instskip(NEXT) | instid1(VALU_DEP_1)
	v_wmma_f32_16x16x16_f16 v[76:83], v[25:32], v[41:48], v[76:83]
	v_wmma_f32_16x16x16_f16 v[76:83], v[57:64], v[33:40], v[76:83]
	s_delay_alu instid0(VALU_DEP_1) | instskip(NEXT) | instid1(VALU_DEP_2)
	v_cvt_f16_f32_e32 v1, v76
	v_cvt_f16_f32_e32 v2, v77
	s_delay_alu instid0(VALU_DEP_3) | instskip(NEXT) | instid1(VALU_DEP_4)
	v_cvt_f16_f32_e32 v3, v78
	v_cvt_f16_f32_e32 v4, v79
	;; [unrolled: 1-line block ×6, first 2 shown]
	v_pack_b32_f16 v1, v1, v2
	v_pack_b32_f16 v2, v3, v4
	;; [unrolled: 1-line block ×3, first 2 shown]
	s_delay_alu instid0(VALU_DEP_4)
	v_pack_b32_f16 v4, v7, v8
	ds_store_b128 v69, v[1:4]
	s_waitcnt lgkmcnt(0)
	s_barrier
	buffer_gl0_inv
	ds_load_b128 v[1:4], v75
	ds_load_b128 v[5:8], v75 offset:16
	s_waitcnt lgkmcnt(1)
	v_lshrrev_b32_e32 v9, 16, v1
	s_waitcnt lgkmcnt(0)
	v_lshrrev_b32_e32 v13, 16, v5
	v_lshrrev_b32_e32 v10, 16, v2
	;; [unrolled: 1-line block ×4, first 2 shown]
	v_cndmask_b32_e32 v17, v1, v9, vcc_lo
	v_cndmask_b32_e32 v18, v5, v13, vcc_lo
	v_cndmask_b32_e64 v21, v1, v9, s4
	v_cmp_eq_u32_e32 vcc_lo, 1, v72
	v_cndmask_b32_e64 v22, v5, v13, s4
	v_cmp_eq_u32_e64 s4, 2, v70
	v_cndmask_b32_e64 v19, v1, v9, s3
	v_cndmask_b32_e64 v20, v5, v13, s3
	v_cndmask_b32_e32 v1, v1, v9, vcc_lo
	v_cmp_eq_u32_e64 s3, 2, v72
	v_cndmask_b32_e32 v5, v5, v13, vcc_lo
	v_cndmask_b32_e64 v9, v17, v2, s4
	v_cmp_eq_u32_e32 vcc_lo, 3, v70
	v_cndmask_b32_e64 v13, v18, v6, s4
	v_cmp_eq_u32_e64 s4, 2, v71
	v_cndmask_b32_e64 v17, v19, v2, s5
	v_cndmask_b32_e64 v18, v20, v6, s5
	v_cmp_eq_u32_e64 s5, 3, v71
	v_cndmask_b32_e64 v1, v1, v2, s3
	v_cndmask_b32_e64 v19, v21, v2, s4
	;; [unrolled: 1-line block ×4, first 2 shown]
	v_cndmask_b32_e32 v5, v9, v10, vcc_lo
	v_cndmask_b32_e32 v6, v13, v14, vcc_lo
	v_cmp_eq_u32_e32 vcc_lo, 3, v72
	v_cndmask_b32_e64 v9, v17, v10, s6
	v_cndmask_b32_e64 v13, v18, v14, s6
	;; [unrolled: 1-line block ×3, first 2 shown]
	v_cmp_eq_u32_e64 s4, 4, v70
	v_cndmask_b32_e32 v1, v1, v10, vcc_lo
	v_cndmask_b32_e32 v2, v2, v14, vcc_lo
	v_cmp_eq_u32_e32 vcc_lo, 4, v73
	v_lshrrev_b32_e32 v15, 16, v7
	v_lshrrev_b32_e32 v16, 16, v8
	v_cndmask_b32_e64 v17, v19, v10, s5
	v_cmp_eq_u32_e64 s3, 4, v72
	v_cndmask_b32_e64 v5, v5, v3, s4
	v_cndmask_b32_e64 v6, v6, v7, s4
	v_cndmask_b32_e32 v9, v9, v3, vcc_lo
	v_cmp_eq_u32_e64 s4, 5, v73
	v_cndmask_b32_e32 v10, v13, v7, vcc_lo
	v_cmp_eq_u32_e32 vcc_lo, 4, v71
	v_cmp_eq_u32_e64 s5, 5, v70
	v_cndmask_b32_e64 v2, v2, v7, s3
	v_cndmask_b32_e64 v9, v9, v11, s4
	;; [unrolled: 1-line block ×3, first 2 shown]
	v_cndmask_b32_e32 v13, v17, v3, vcc_lo
	v_cmp_eq_u32_e64 s4, 5, v71
	v_cndmask_b32_e32 v14, v18, v7, vcc_lo
	v_cndmask_b32_e64 v1, v1, v3, s3
	v_cmp_eq_u32_e32 vcc_lo, 5, v72
	v_lshrrev_b32_e32 v12, 16, v4
	v_cndmask_b32_e64 v13, v13, v11, s4
	v_cndmask_b32_e64 v3, v14, v15, s4
	v_cmp_eq_u32_e64 s4, 6, v72
	v_cndmask_b32_e32 v1, v1, v11, vcc_lo
	v_cndmask_b32_e64 v5, v5, v11, s5
	v_cmp_eq_u32_e64 s6, 6, v70
	v_cndmask_b32_e64 v6, v6, v15, s5
	v_cmp_eq_u32_e64 s5, 6, v73
	v_cmp_eq_u32_e64 s3, 6, v71
	v_cndmask_b32_e64 v1, v1, v4, s4
	v_cndmask_b32_e32 v2, v2, v15, vcc_lo
	v_cmp_eq_u32_e32 vcc_lo, 7, v72
	v_cndmask_b32_e64 v5, v5, v4, s6
	v_cndmask_b32_e64 v9, v9, v4, s5
	;; [unrolled: 1-line block ×3, first 2 shown]
	v_cmp_eq_u32_e64 s6, 7, v70
	v_cndmask_b32_e32 v1, v1, v12, vcc_lo
	v_cndmask_b32_e64 v7, v13, v4, s3
	v_cndmask_b32_e64 v3, v3, v8, s3
	;; [unrolled: 1-line block ×3, first 2 shown]
	v_cmp_eq_u32_e64 s3, 7, v71
	v_cndmask_b32_e64 v4, v10, v8, s5
	v_cndmask_b32_e64 v5, v5, v12, s6
	;; [unrolled: 1-line block ×3, first 2 shown]
	v_cndmask_b32_e32 v2, v2, v16, vcc_lo
	v_cndmask_b32_e64 v7, v7, v12, s3
	v_cndmask_b32_e64 v3, v3, v16, s3
	;; [unrolled: 1-line block ×4, first 2 shown]
	v_perm_b32 v4, v2, v1, 0x5040100
	s_delay_alu instid0(VALU_DEP_4) | instskip(NEXT) | instid1(VALU_DEP_4)
	v_perm_b32 v3, v3, v7, 0x5040100
	v_perm_b32 v2, v8, v9, 0x5040100
	s_delay_alu instid0(VALU_DEP_4)
	v_perm_b32 v1, v6, v5, 0x5040100
	ds_store_b128 v69, v[1:4]
	s_waitcnt lgkmcnt(0)
	s_barrier
	buffer_gl0_inv
	s_and_saveexec_b32 s3, s2
	s_cbranch_execz .LBB1231_2
; %bb.15:
	s_load_b64 s[0:1], s[0:1], 0x68
	v_lshlrev_b32_e32 v0, 10, v0
	s_lshl_b32 s2, s35, 7
	v_lshlrev_b32_e32 v1, 4, v68
	v_mul_lo_u32 v4, s2, v67
	s_mul_i32 s3, s2, s34
	v_and_b32_e32 v0, 0x3800, v0
	s_mul_i32 s2, s3, s8
	s_delay_alu instid0(SALU_CYCLE_1) | instskip(NEXT) | instid1(VALU_DEP_1)
	s_ashr_i32 s3, s2, 31
	v_or3_b32 v0, v0, v66, v1
	s_lshl_b64 s[2:3], s[2:3], 1
	s_delay_alu instid0(VALU_DEP_3)
	v_ashrrev_i32_e32 v5, 31, v4
	ds_load_b128 v[0:3], v0
	v_lshlrev_b64 v[4:5], 1, v[4:5]
	s_waitcnt lgkmcnt(0)
	s_add_u32 s2, s0, s2
	s_addc_u32 s3, s1, s3
	s_lshl_b32 s0, s14, 7
	s_delay_alu instid0(SALU_CYCLE_1) | instskip(NEXT) | instid1(SALU_CYCLE_1)
	s_ashr_i32 s1, s0, 31
	s_lshl_b64 s[0:1], s[0:1], 1
	s_delay_alu instid0(SALU_CYCLE_1) | instskip(SKIP_3) | instid1(VALU_DEP_2)
	s_add_u32 s0, s2, s0
	s_addc_u32 s1, s3, s1
	v_add_co_u32 v4, vcc_lo, s0, v4
	v_add_co_ci_u32_e32 v5, vcc_lo, s1, v5, vcc_lo
	v_add_co_u32 v4, vcc_lo, v4, v65
	s_delay_alu instid0(VALU_DEP_2)
	v_add_co_ci_u32_e32 v5, vcc_lo, 0, v5, vcc_lo
	global_store_b128 v[4:5], v[0:3], off
	s_nop 0
	s_sendmsg sendmsg(MSG_DEALLOC_VGPRS)
	s_endpgm
	.section	.rodata,"a",@progbits
	.p2align	6, 0x0
	.amdhsa_kernel _Z39paged_attention_ll4mi_QKV_mfma16_kernelIDF16_hLN4vllm18Fp8KVCacheDataTypeE1EhLi16ELi128ELi256ELb1ELi2EL8MFMAType0EEvPKT_PKT0_S8_ifPKiSA_SA_iPKfiiiPfSD_PS3_PT2_iSC_SC_
		.amdhsa_group_segment_fixed_size 17472
		.amdhsa_private_segment_fixed_size 0
		.amdhsa_kernarg_size 400
		.amdhsa_user_sgpr_count 13
		.amdhsa_user_sgpr_dispatch_ptr 0
		.amdhsa_user_sgpr_queue_ptr 0
		.amdhsa_user_sgpr_kernarg_segment_ptr 1
		.amdhsa_user_sgpr_dispatch_id 0
		.amdhsa_user_sgpr_private_segment_size 0
		.amdhsa_wavefront_size32 1
		.amdhsa_uses_dynamic_stack 0
		.amdhsa_enable_private_segment 0
		.amdhsa_system_sgpr_workgroup_id_x 1
		.amdhsa_system_sgpr_workgroup_id_y 1
		.amdhsa_system_sgpr_workgroup_id_z 1
		.amdhsa_system_sgpr_workgroup_info 0
		.amdhsa_system_vgpr_workitem_id 0
		.amdhsa_next_free_vgpr 146
		.amdhsa_next_free_sgpr 37
		.amdhsa_reserve_vcc 1
		.amdhsa_float_round_mode_32 0
		.amdhsa_float_round_mode_16_64 0
		.amdhsa_float_denorm_mode_32 3
		.amdhsa_float_denorm_mode_16_64 3
		.amdhsa_dx10_clamp 1
		.amdhsa_ieee_mode 1
		.amdhsa_fp16_overflow 0
		.amdhsa_workgroup_processor_mode 1
		.amdhsa_memory_ordered 1
		.amdhsa_forward_progress 0
		.amdhsa_shared_vgpr_count 0
		.amdhsa_exception_fp_ieee_invalid_op 0
		.amdhsa_exception_fp_denorm_src 0
		.amdhsa_exception_fp_ieee_div_zero 0
		.amdhsa_exception_fp_ieee_overflow 0
		.amdhsa_exception_fp_ieee_underflow 0
		.amdhsa_exception_fp_ieee_inexact 0
		.amdhsa_exception_int_div_zero 0
	.end_amdhsa_kernel
	.section	.text._Z39paged_attention_ll4mi_QKV_mfma16_kernelIDF16_hLN4vllm18Fp8KVCacheDataTypeE1EhLi16ELi128ELi256ELb1ELi2EL8MFMAType0EEvPKT_PKT0_S8_ifPKiSA_SA_iPKfiiiPfSD_PS3_PT2_iSC_SC_,"axG",@progbits,_Z39paged_attention_ll4mi_QKV_mfma16_kernelIDF16_hLN4vllm18Fp8KVCacheDataTypeE1EhLi16ELi128ELi256ELb1ELi2EL8MFMAType0EEvPKT_PKT0_S8_ifPKiSA_SA_iPKfiiiPfSD_PS3_PT2_iSC_SC_,comdat
.Lfunc_end1231:
	.size	_Z39paged_attention_ll4mi_QKV_mfma16_kernelIDF16_hLN4vllm18Fp8KVCacheDataTypeE1EhLi16ELi128ELi256ELb1ELi2EL8MFMAType0EEvPKT_PKT0_S8_ifPKiSA_SA_iPKfiiiPfSD_PS3_PT2_iSC_SC_, .Lfunc_end1231-_Z39paged_attention_ll4mi_QKV_mfma16_kernelIDF16_hLN4vllm18Fp8KVCacheDataTypeE1EhLi16ELi128ELi256ELb1ELi2EL8MFMAType0EEvPKT_PKT0_S8_ifPKiSA_SA_iPKfiiiPfSD_PS3_PT2_iSC_SC_
                                        ; -- End function
	.section	.AMDGPU.csdata,"",@progbits
; Kernel info:
; codeLenInByte = 6428
; NumSgprs: 39
; NumVgprs: 146
; ScratchSize: 0
; MemoryBound: 0
; FloatMode: 240
; IeeeMode: 1
; LDSByteSize: 17472 bytes/workgroup (compile time only)
; SGPRBlocks: 4
; VGPRBlocks: 18
; NumSGPRsForWavesPerEU: 39
; NumVGPRsForWavesPerEU: 146
; Occupancy: 9
; WaveLimiterHint : 1
; COMPUTE_PGM_RSRC2:SCRATCH_EN: 0
; COMPUTE_PGM_RSRC2:USER_SGPR: 13
; COMPUTE_PGM_RSRC2:TRAP_HANDLER: 0
; COMPUTE_PGM_RSRC2:TGID_X_EN: 1
; COMPUTE_PGM_RSRC2:TGID_Y_EN: 1
; COMPUTE_PGM_RSRC2:TGID_Z_EN: 1
; COMPUTE_PGM_RSRC2:TIDIG_COMP_CNT: 0
	.section	.text._Z39paged_attention_ll4mi_QKV_mfma16_kernelIDF16_hLN4vllm18Fp8KVCacheDataTypeE1EhLi16ELi128ELi256ELb1ELi3EL8MFMAType0EEvPKT_PKT0_S8_ifPKiSA_SA_iPKfiiiPfSD_PS3_PT2_iSC_SC_,"axG",@progbits,_Z39paged_attention_ll4mi_QKV_mfma16_kernelIDF16_hLN4vllm18Fp8KVCacheDataTypeE1EhLi16ELi128ELi256ELb1ELi3EL8MFMAType0EEvPKT_PKT0_S8_ifPKiSA_SA_iPKfiiiPfSD_PS3_PT2_iSC_SC_,comdat
	.protected	_Z39paged_attention_ll4mi_QKV_mfma16_kernelIDF16_hLN4vllm18Fp8KVCacheDataTypeE1EhLi16ELi128ELi256ELb1ELi3EL8MFMAType0EEvPKT_PKT0_S8_ifPKiSA_SA_iPKfiiiPfSD_PS3_PT2_iSC_SC_ ; -- Begin function _Z39paged_attention_ll4mi_QKV_mfma16_kernelIDF16_hLN4vllm18Fp8KVCacheDataTypeE1EhLi16ELi128ELi256ELb1ELi3EL8MFMAType0EEvPKT_PKT0_S8_ifPKiSA_SA_iPKfiiiPfSD_PS3_PT2_iSC_SC_
	.globl	_Z39paged_attention_ll4mi_QKV_mfma16_kernelIDF16_hLN4vllm18Fp8KVCacheDataTypeE1EhLi16ELi128ELi256ELb1ELi3EL8MFMAType0EEvPKT_PKT0_S8_ifPKiSA_SA_iPKfiiiPfSD_PS3_PT2_iSC_SC_
	.p2align	8
	.type	_Z39paged_attention_ll4mi_QKV_mfma16_kernelIDF16_hLN4vllm18Fp8KVCacheDataTypeE1EhLi16ELi128ELi256ELb1ELi3EL8MFMAType0EEvPKT_PKT0_S8_ifPKiSA_SA_iPKfiiiPfSD_PS3_PT2_iSC_SC_,@function
_Z39paged_attention_ll4mi_QKV_mfma16_kernelIDF16_hLN4vllm18Fp8KVCacheDataTypeE1EhLi16ELi128ELi256ELb1ELi3EL8MFMAType0EEvPKT_PKT0_S8_ifPKiSA_SA_iPKfiiiPfSD_PS3_PT2_iSC_SC_: ; @_Z39paged_attention_ll4mi_QKV_mfma16_kernelIDF16_hLN4vllm18Fp8KVCacheDataTypeE1EhLi16ELi128ELi256ELb1ELi3EL8MFMAType0EEvPKT_PKT0_S8_ifPKiSA_SA_iPKfiiiPfSD_PS3_PT2_iSC_SC_
; %bb.0:
	s_load_b64 s[4:5], s[0:1], 0x30
	s_mov_b32 s34, s13
	s_waitcnt lgkmcnt(0)
	s_cmp_lg_u64 s[4:5], 0
	s_cselect_b32 s8, -1, 0
	s_ashr_i32 s35, s13, 31
	s_cmp_eq_u64 s[4:5], 0
	s_cbranch_scc1 .LBB1232_3
; %bb.1:
	s_lshl_b64 s[2:3], s[34:35], 2
	s_delay_alu instid0(SALU_CYCLE_1) | instskip(SKIP_4) | instid1(SALU_CYCLE_1)
	s_add_u32 s2, s4, s2
	s_addc_u32 s3, s5, s3
	s_load_b64 s[2:3], s[2:3], 0x0
	s_waitcnt lgkmcnt(0)
	s_sub_i32 s2, s3, s2
	s_cmp_eq_u32 s2, 1
	s_cselect_b32 s2, -1, 0
	s_delay_alu instid0(SALU_CYCLE_1)
	s_and_not1_b32 vcc_lo, exec_lo, s2
	s_cbranch_vccz .LBB1232_4
.LBB1232_2:
	s_nop 0
	s_sendmsg sendmsg(MSG_DEALLOC_VGPRS)
	s_endpgm
.LBB1232_3:
.LBB1232_4:
	s_load_b64 s[2:3], s[0:1], 0x28
	s_lshl_b64 s[6:7], s[34:35], 2
	s_waitcnt lgkmcnt(0)
	s_add_u32 s2, s2, s6
	s_addc_u32 s3, s3, s7
	s_lshl_b32 s12, s14, 8
	s_load_b32 s24, s[2:3], 0x0
	s_waitcnt lgkmcnt(0)
	s_cmp_ge_i32 s12, s24
	s_cbranch_scc1 .LBB1232_2
; %bb.5:
	s_clause 0x1
	s_load_b128 s[20:23], s[0:1], 0x8
	s_load_b64 s[2:3], s[0:1], 0x20
	s_and_not1_b32 vcc_lo, exec_lo, s8
	s_cbranch_vccnz .LBB1232_7
; %bb.6:
	s_add_u32 s4, s4, s6
	s_addc_u32 s5, s5, s7
	s_load_b32 s5, s[4:5], 0x0
	s_branch .LBB1232_8
.LBB1232_7:
	s_mov_b32 s5, s34
.LBB1232_8:
	s_load_b128 s[16:19], s[0:1], 0x48
	v_and_b32_e32 v68, 15, v0
	v_lshrrev_b32_e32 v69, 5, v0
	v_bfe_u32 v66, v0, 4, 1
	v_and_b32_e32 v70, 31, v0
	v_and_b32_e32 v67, 1, v0
	v_lshlrev_b32_e32 v2, 3, v68
	s_mul_i32 s31, s15, 3
	v_lshl_or_b32 v1, v69, 1, v66
	s_mov_b32 s4, exec_lo
	s_delay_alu instid0(VALU_DEP_2) | instskip(NEXT) | instid1(VALU_DEP_2)
	v_lshlrev_b32_e32 v65, 1, v2
	v_cmpx_gt_u32_e32 3, v1
	s_cbranch_execz .LBB1232_10
; %bb.9:
	s_load_b64 s[6:7], s[0:1], 0x0
	v_add_lshl_u32 v2, v1, s31, 7
	s_waitcnt lgkmcnt(0)
	s_mul_hi_i32 s9, s5, s16
	s_mul_i32 s8, s5, s16
	v_lshlrev_b32_e32 v6, 10, v68
	s_lshl_b64 s[8:9], s[8:9], 1
	v_ashrrev_i32_e32 v3, 31, v2
	v_lshlrev_b32_e32 v1, 6, v1
	v_lshlrev_b32_e32 v7, 10, v67
	v_and_b32_e32 v6, 0x3800, v6
	s_delay_alu instid0(VALU_DEP_4) | instskip(NEXT) | instid1(VALU_DEP_2)
	v_lshlrev_b64 v[2:3], 1, v[2:3]
	v_or3_b32 v1, v6, v7, v1
	s_add_u32 s5, s6, s8
	s_addc_u32 s6, s7, s9
	s_delay_alu instid0(VALU_DEP_2) | instskip(NEXT) | instid1(VALU_DEP_3)
	v_add_co_u32 v2, vcc_lo, s5, v2
	v_add_co_ci_u32_e32 v3, vcc_lo, s6, v3, vcc_lo
	s_delay_alu instid0(VALU_DEP_2) | instskip(NEXT) | instid1(VALU_DEP_2)
	v_add_co_u32 v2, vcc_lo, v2, v65
	v_add_co_ci_u32_e32 v3, vcc_lo, 0, v3, vcc_lo
	global_load_b128 v[2:5], v[2:3], off
	s_waitcnt vmcnt(0)
	ds_store_b128 v1, v[2:5]
.LBB1232_10:
	s_or_b32 exec_lo, exec_lo, s4
	v_and_b32_e32 v1, 0xef, v0
	s_waitcnt lgkmcnt(0)
	s_add_i32 s5, s24, 15
	s_clause 0x1
	s_load_b32 s4, s[0:1], 0x38
	s_load_b32 s33, s[0:1], 0x98
	s_ashr_i32 s6, s5, 31
	v_add_nc_u32_e32 v1, s12, v1
	s_lshr_b32 s6, s6, 28
	s_load_b32 s19, s[0:1], 0x1c
	s_add_i32 s5, s5, s6
	s_waitcnt lgkmcnt(0)
	v_ashrrev_i32_e32 v2, 31, v1
	v_or_b32_e32 v3, 16, v1
	s_ashr_i32 s13, s5, 4
	v_cmp_gt_i32_e32 vcc_lo, s24, v1
	s_add_i32 s13, s13, -1
	v_lshrrev_b32_e32 v2, 28, v2
	s_barrier
	buffer_gl0_inv
	s_mul_i32 s15, s15, s18
	v_add_nc_u32_e32 v4, v1, v2
	s_mul_i32 s4, s34, s4
	s_delay_alu instid0(SALU_CYCLE_1) | instskip(NEXT) | instid1(VALU_DEP_1)
	s_ashr_i32 s5, s4, 31
	v_ashrrev_i32_e32 v4, 4, v4
	v_add_nc_u32_e32 v2, v3, v2
	s_lshl_b64 s[4:5], s[4:5], 2
	s_delay_alu instid0(SALU_CYCLE_1) | instskip(NEXT) | instid1(VALU_DEP_2)
	s_add_u32 s16, s2, s4
	v_cndmask_b32_e32 v1, s13, v4, vcc_lo
	s_delay_alu instid0(VALU_DEP_2)
	v_ashrrev_i32_e32 v2, 4, v2
	v_cmp_gt_i32_e32 vcc_lo, s24, v3
	s_addc_u32 s25, s3, s5
	s_ashr_i32 s18, s15, 31
	s_add_u32 s26, s20, s15
	s_addc_u32 s27, s21, s18
	v_cndmask_b32_e32 v3, s13, v2, vcc_lo
	v_ashrrev_i32_e32 v2, 31, v1
	s_lshl_b32 s2, s14, 4
	s_delay_alu instid0(SALU_CYCLE_1) | instskip(NEXT) | instid1(VALU_DEP_2)
	s_ashr_i32 s3, s2, 31
	v_ashrrev_i32_e32 v4, 31, v3
	s_delay_alu instid0(VALU_DEP_2) | instskip(SKIP_1) | instid1(SALU_CYCLE_1)
	v_lshlrev_b64 v[1:2], 2, v[1:2]
	s_lshl_b64 s[2:3], s[2:3], 2
	s_add_u32 s2, s16, s2
	s_delay_alu instid0(VALU_DEP_2) | instskip(SKIP_1) | instid1(VALU_DEP_2)
	v_lshlrev_b64 v[3:4], 2, v[3:4]
	s_addc_u32 s3, s25, s3
	v_add_co_u32 v1, vcc_lo, s16, v1
	v_add_co_ci_u32_e32 v2, vcc_lo, s25, v2, vcc_lo
	s_delay_alu instid0(VALU_DEP_3) | instskip(NEXT) | instid1(VALU_DEP_4)
	v_add_co_u32 v3, vcc_lo, s16, v3
	v_add_co_ci_u32_e32 v4, vcc_lo, s25, v4, vcc_lo
	s_clause 0x1
	global_load_b32 v5, v[1:2], off
	global_load_b32 v7, v[3:4], off
	s_or_b32 s4, s12, 32
	v_lshlrev_b32_e32 v1, 4, v0
	s_ashr_i32 s5, s4, 4
	s_cmp_lt_i32 s4, s24
	s_cselect_b32 s4, s5, s13
	s_delay_alu instid0(VALU_DEP_1) | instskip(SKIP_1) | instid1(SALU_CYCLE_1)
	v_and_b32_e32 v1, 0xf0, v1
	s_ashr_i32 s5, s4, 31
	s_lshl_b64 s[4:5], s[4:5], 2
	s_delay_alu instid0(SALU_CYCLE_1)
	s_add_u32 s4, s16, s4
	s_addc_u32 s5, s25, s5
	s_or_b32 s6, s12, 64
	v_add_co_u32 v1, s26, s26, v1
	s_ashr_i32 s7, s6, 4
	s_cmp_lt_i32 s6, s24
	v_add_co_ci_u32_e64 v2, null, s27, 0, s26
	s_cselect_b32 s6, s7, s13
	s_delay_alu instid0(SALU_CYCLE_1) | instskip(NEXT) | instid1(SALU_CYCLE_1)
	s_ashr_i32 s7, s6, 31
	s_lshl_b64 s[6:7], s[6:7], 2
	s_delay_alu instid0(SALU_CYCLE_1) | instskip(SKIP_2) | instid1(SALU_CYCLE_1)
	s_add_u32 s6, s16, s6
	s_addc_u32 s7, s25, s7
	s_or_b32 s8, s12, 0x60
	s_ashr_i32 s9, s8, 4
	s_cmp_lt_i32 s8, s24
	s_cselect_b32 s8, s9, s13
	s_delay_alu instid0(SALU_CYCLE_1) | instskip(NEXT) | instid1(SALU_CYCLE_1)
	s_ashr_i32 s9, s8, 31
	s_lshl_b64 s[8:9], s[8:9], 2
	s_delay_alu instid0(SALU_CYCLE_1) | instskip(SKIP_2) | instid1(SALU_CYCLE_1)
	s_add_u32 s8, s16, s8
	s_addc_u32 s9, s25, s9
	s_or_b32 s10, s12, 0x80
	s_ashr_i32 s11, s10, 4
	s_cmp_lt_i32 s10, s24
	;; [unrolled: 10-line block ×3, first 2 shown]
	s_cselect_b32 s20, s21, s13
	s_delay_alu instid0(SALU_CYCLE_1) | instskip(NEXT) | instid1(SALU_CYCLE_1)
	s_ashr_i32 s21, s20, 31
	s_lshl_b64 s[20:21], s[20:21], 2
	s_delay_alu instid0(SALU_CYCLE_1)
	s_add_u32 s20, s16, s20
	s_addc_u32 s21, s25, s21
	s_clause 0x5
	s_load_b32 s26, s[2:3], 0x0
	s_load_b32 s27, s[4:5], 0x0
	;; [unrolled: 1-line block ×6, first 2 shown]
	s_or_b32 s2, s12, 0xc0
	s_mov_b32 s4, 0
	s_ashr_i32 s3, s2, 4
	s_cmp_lt_i32 s2, s24
	s_mov_b32 s11, s4
	s_cselect_b32 s2, s3, s13
	s_mov_b32 s5, s4
	s_ashr_i32 s3, s2, 31
	s_mov_b32 s6, s4
	s_lshl_b64 s[2:3], s[2:3], 2
	s_mov_b32 s7, s4
	s_add_u32 s2, s16, s2
	s_addc_u32 s3, s25, s3
	s_or_b32 s20, s12, 0xe0
	s_mov_b32 s8, s4
	s_ashr_i32 s21, s20, 4
	s_cmp_lt_i32 s20, s24
	s_mov_b32 s9, s4
	s_cselect_b32 s20, s21, s13
	s_mov_b32 s10, s4
	s_ashr_i32 s21, s20, 31
	v_mov_b32_e32 v118, s11
	v_dual_mov_b32 v112, s5 :: v_dual_mov_b32 v117, s10
	v_dual_mov_b32 v116, s9 :: v_dual_mov_b32 v115, s8
	;; [unrolled: 1-line block ×3, first 2 shown]
	v_mov_b32_e32 v111, s4
	s_lshl_b64 s[4:5], s[20:21], 2
	s_delay_alu instid0(SALU_CYCLE_1)
	s_add_u32 s4, s16, s4
	s_addc_u32 s5, s25, s5
	s_add_u32 s6, s22, s15
	s_addc_u32 s7, s23, s18
	s_waitcnt vmcnt(1)
	v_mad_i64_i32 v[3:4], null, v5, s17, v[1:2]
	s_waitcnt vmcnt(0)
	v_mad_i64_i32 v[5:6], null, v7, s17, v[1:2]
	v_mul_lo_u16 v1, 0x56, v68
	v_lshlrev_b32_e32 v2, 4, v68
	s_clause 0xf
	global_load_b128 v[17:20], v[3:4], off
	global_load_b128 v[21:24], v[3:4], off offset:256
	global_load_b128 v[25:28], v[5:6], off
	global_load_b128 v[29:32], v[5:6], off offset:256
	global_load_b128 v[57:60], v[3:4], off offset:512
	;; [unrolled: 1-line block ×13, first 2 shown]
	v_lshrrev_b16 v1, 8, v1
	s_delay_alu instid0(VALU_DEP_1) | instskip(NEXT) | instid1(VALU_DEP_1)
	v_mul_lo_u16 v1, v1, 3
	v_sub_nc_u16 v1, v68, v1
	s_delay_alu instid0(VALU_DEP_1) | instskip(NEXT) | instid1(VALU_DEP_1)
	v_and_b32_e32 v1, 0xff, v1
	v_lshlrev_b32_e32 v149, 6, v1
	v_lshl_or_b32 v1, v69, 8, v2
	ds_load_b128 v[119:122], v149
	ds_load_b128 v[123:126], v149 offset:1024
	ds_load_b128 v[127:130], v149 offset:2048
	;; [unrolled: 1-line block ×3, first 2 shown]
	s_clause 0x1
	s_load_b32 s2, s[2:3], 0x0
	s_load_b32 s3, s[4:5], 0x0
	v_add_co_u32 v135, s6, s6, v1
	s_delay_alu instid0(VALU_DEP_1) | instskip(SKIP_1) | instid1(VALU_DEP_1)
	v_add_co_ci_u32_e64 v136, null, s7, 0, s6
	s_waitcnt lgkmcnt(0)
	v_mad_i64_i32 v[1:2], null, s26, s17, v[135:136]
	v_mad_i64_i32 v[3:4], null, s27, s17, v[135:136]
	;; [unrolled: 1-line block ×6, first 2 shown]
	s_clause 0x9
	global_load_b128 v[49:52], v[1:2], off
	global_load_b128 v[53:56], v[1:2], off offset:16
	global_load_b128 v[41:44], v[3:4], off
	global_load_b128 v[45:48], v[3:4], off offset:16
	;; [unrolled: 2-line block ×5, first 2 shown]
	v_mad_i64_i32 v[145:146], null, s2, s17, v[135:136]
	v_mad_i64_i32 v[147:148], null, s3, s17, v[135:136]
	s_waitcnt vmcnt(24)
	v_wmma_f32_16x16x16_f16 v[135:142], v[17:24], v[119:126], v[111:118]
	s_waitcnt vmcnt(22)
	v_wmma_f32_16x16x16_f16 v[111:118], v[25:32], v[119:126], v[111:118]
	s_clause 0x3
	global_load_b128 v[17:20], v[143:144], off
	global_load_b128 v[21:24], v[143:144], off offset:16
	global_load_b128 v[25:28], v[145:146], off
	global_load_b128 v[29:32], v[145:146], off offset:16
	v_and_b32_e32 v119, 0xe0, v0
	s_waitcnt vmcnt(24)
	v_wmma_f32_16x16x16_f16 v[135:142], v[57:64], v[127:134], v[135:142]
	s_clause 0x1
	global_load_b128 v[57:60], v[147:148], off
	global_load_b128 v[61:64], v[147:148], off offset:16
	s_waitcnt vmcnt(24)
	v_wmma_f32_16x16x16_f16 v[111:118], v[71:78], v[127:134], v[111:118]
	ds_load_b128 v[71:74], v149 offset:4096
	ds_load_b128 v[75:78], v149 offset:5120
	v_add_nc_u32_e32 v128, s12, v119
	ds_load_b128 v[119:122], v149 offset:6144
	ds_load_b128 v[123:126], v149 offset:7168
	v_mbcnt_lo_u32_b32 v127, -1, 0
	s_waitcnt vmcnt(0) lgkmcnt(0)
	s_barrier
	v_or_b32_e32 v128, v128, v66
	buffer_gl0_inv
	v_xor_b32_e32 v129, 16, v127
	v_or_b32_e32 v130, 4, v128
	v_or_b32_e32 v131, 6, v128
	s_delay_alu instid0(VALU_DEP_3) | instskip(SKIP_4) | instid1(VALU_DEP_4)
	v_cmp_gt_i32_e32 vcc_lo, 32, v129
	v_or_b32_e32 v132, 8, v128
	v_or_b32_e32 v133, 10, v128
	v_cmp_gt_i32_e64 s3, s24, v130
	v_cmp_gt_i32_e64 s4, s24, v131
	;; [unrolled: 1-line block ×3, first 2 shown]
	v_wmma_f32_16x16x16_f16 v[135:142], v[79:86], v[71:78], v[135:142]
	v_wmma_f32_16x16x16_f16 v[111:118], v[87:94], v[71:78], v[111:118]
	v_or_b32_e32 v79, 12, v128
	v_or_b32_e32 v80, 14, v128
	v_cmp_gt_i32_e64 s6, s24, v133
	v_wmma_f32_16x16x16_f16 v[135:142], v[95:102], v[119:126], v[135:142]
	v_wmma_f32_16x16x16_f16 v[111:118], v[103:110], v[119:126], v[111:118]
	v_cndmask_b32_e32 v127, v127, v129, vcc_lo
	v_or_b32_e32 v129, 2, v128
	v_cmp_gt_i32_e32 vcc_lo, s24, v128
	s_delay_alu instid0(VALU_DEP_4) | instskip(SKIP_1) | instid1(VALU_DEP_4)
	v_dual_mul_f32 v87, s19, v136 :: v_dual_mul_f32 v94, s19, v113
	v_mul_f32_e32 v88, s19, v135
	v_cmp_gt_i32_e64 s2, s24, v129
	v_mul_f32_e32 v78, s19, v138
	v_mul_f32_e32 v86, s19, v137
	;; [unrolled: 1-line block ×3, first 2 shown]
	v_cndmask_b32_e32 v88, 0xff7fffff, v88, vcc_lo
	v_cndmask_b32_e64 v87, 0xff7fffff, v87, s2
	v_dual_mul_f32 v77, s19, v139 :: v_dual_mul_f32 v90, s19, v117
	v_cndmask_b32_e64 v86, 0xff7fffff, v86, s3
	v_cndmask_b32_e64 v78, 0xff7fffff, v78, s4
	s_delay_alu instid0(VALU_DEP_4)
	v_max3_f32 v87, v88, 0xff7fffff, v87
	v_or_b32_e32 v81, 16, v128
	v_or_b32_e32 v82, 18, v128
	v_dual_mul_f32 v74, s19, v142 :: v_dual_mul_f32 v75, s19, v141
	v_mul_f32_e32 v96, s19, v111
	v_cndmask_b32_e64 v77, 0xff7fffff, v77, s5
	v_cndmask_b32_e64 v76, 0xff7fffff, v76, s6
	v_max3_f32 v78, v87, v86, v78
	v_cmp_gt_i32_e64 s7, s24, v79
	v_cmp_gt_i32_e64 s8, s24, v80
	v_or_b32_e32 v83, 20, v128
	v_or_b32_e32 v84, 22, v128
	v_mul_f32_e32 v95, s19, v112
	v_cndmask_b32_e64 v75, 0xff7fffff, v75, s7
	v_cndmask_b32_e64 v74, 0xff7fffff, v74, s8
	v_max3_f32 v76, v78, v77, v76
	v_cmp_gt_i32_e64 s9, s24, v81
	v_cmp_gt_i32_e64 s10, s24, v82
	v_or_b32_e32 v85, 24, v128
	v_or_b32_e32 v71, 26, v128
	;; [unrolled: 8-line block ×3, first 2 shown]
	v_dual_mul_f32 v91, s19, v116 :: v_dual_mul_f32 v92, s19, v115
	v_cndmask_b32_e64 v75, 0xff7fffff, v94, s11
	v_cndmask_b32_e64 v76, 0xff7fffff, v93, s12
	v_max3_f32 v74, v74, v77, v78
	v_cmp_gt_i32_e64 s13, s24, v85
	v_cmp_gt_i32_e64 s15, s24, v71
	v_mul_f32_e32 v89, s19, v118
	v_cmp_gt_i32_e64 s16, s24, v72
	v_max3_f32 v74, v74, v75, v76
	v_cndmask_b32_e64 v77, 0xff7fffff, v92, s13
	v_cndmask_b32_e64 v71, 0xff7fffff, v91, s15
	v_cmp_gt_i32_e64 s17, s24, v73
	v_cndmask_b32_e64 v72, 0xff7fffff, v90, s16
	s_delay_alu instid0(VALU_DEP_3) | instskip(SKIP_1) | instid1(VALU_DEP_4)
	v_max3_f32 v71, v74, v77, v71
	v_lshlrev_b32_e32 v74, 2, v127
	v_cndmask_b32_e64 v73, 0xff7fffff, v89, s17
	s_delay_alu instid0(VALU_DEP_1) | instskip(SKIP_3) | instid1(VALU_DEP_1)
	v_max3_f32 v71, v71, v72, v73
	ds_bpermute_b32 v72, v74, v71
	s_waitcnt lgkmcnt(0)
	v_max_f32_e32 v72, v72, v72
	v_max_f32_e32 v71, v71, v72
	s_delay_alu instid0(VALU_DEP_1) | instskip(SKIP_4) | instid1(VALU_DEP_4)
	v_fma_f32 v72, s19, v135, -v71
	v_fma_f32 v73, s19, v136, -v71
	;; [unrolled: 1-line block ×5, first 2 shown]
	v_dual_mul_f32 v72, 0x3fb8aa3b, v72 :: v_dual_mul_f32 v73, 0x3fb8aa3b, v73
	s_delay_alu instid0(VALU_DEP_3) | instskip(SKIP_1) | instid1(VALU_DEP_3)
	v_dual_mul_f32 v75, 0x3fb8aa3b, v75 :: v_dual_mul_f32 v76, 0x3fb8aa3b, v76
	v_fma_f32 v80, s19, v141, -v71
	v_exp_f32_e32 v72, v72
	s_delay_alu instid0(VALU_DEP_3) | instskip(NEXT) | instid1(VALU_DEP_2)
	v_exp_f32_e32 v73, v73
	v_exp_f32_e32 v75, v75
	;; [unrolled: 1-line block ×3, first 2 shown]
	v_mul_f32_e32 v82, 0x3fb8aa3b, v80
	s_delay_alu instid0(VALU_DEP_1) | instskip(SKIP_4) | instid1(TRANS32_DEP_3)
	v_exp_f32_e32 v84, v82
	v_cndmask_b32_e32 v79, 0, v72, vcc_lo
	v_fma_f32 v72, s19, v140, -v71
	v_mul_f32_e32 v77, 0x3fb8aa3b, v77
	v_cndmask_b32_e64 v78, 0, v73, s2
	v_cndmask_b32_e64 v81, 0, v75, s3
	s_delay_alu instid0(VALU_DEP_4) | instskip(NEXT) | instid1(VALU_DEP_4)
	v_dual_add_f32 v73, 0, v79 :: v_dual_mul_f32 v72, 0x3fb8aa3b, v72
	v_exp_f32_e32 v77, v77
	v_cndmask_b32_e64 v80, 0, v76, s4
	s_delay_alu instid0(TRANS32_DEP_2) | instskip(NEXT) | instid1(VALU_DEP_3)
	v_cndmask_b32_e64 v85, 0, v84, s7
	v_add_f32_e32 v73, v73, v78
	v_exp_f32_e32 v72, v72
	v_cmp_gt_u32_e64 s2, 16, v70
	s_delay_alu instid0(VALU_DEP_2) | instskip(NEXT) | instid1(TRANS32_DEP_2)
	v_add_f32_e32 v73, v73, v81
	v_cndmask_b32_e64 v83, 0, v77, s5
	s_delay_alu instid0(VALU_DEP_2) | instskip(SKIP_3) | instid1(VALU_DEP_1)
	v_add_f32_e32 v73, v73, v80
	s_waitcnt_depctr 0xfff
	v_cndmask_b32_e64 v82, 0, v72, s6
	v_add_f32_e32 v72, v73, v83
	v_add_f32_e32 v72, v72, v82
	s_delay_alu instid0(VALU_DEP_1)
	v_add_f32_e32 v72, v72, v85
	v_fma_f32 v76, s19, v111, -v71
	v_fma_f32 v75, s19, v142, -v71
	;; [unrolled: 1-line block ×5, first 2 shown]
	s_delay_alu instid0(VALU_DEP_4) | instskip(NEXT) | instid1(VALU_DEP_3)
	v_dual_mul_f32 v76, 0x3fb8aa3b, v76 :: v_dual_mul_f32 v75, 0x3fb8aa3b, v75
	v_mul_f32_e32 v86, 0x3fb8aa3b, v86
	s_delay_alu instid0(VALU_DEP_2) | instskip(NEXT) | instid1(VALU_DEP_2)
	v_exp_f32_e32 v76, v76
	v_exp_f32_e32 v75, v75
	s_delay_alu instid0(VALU_DEP_1) | instskip(NEXT) | instid1(TRANS32_DEP_3)
	v_exp_f32_e32 v88, v86
	v_cndmask_b32_e64 v87, 0, v76, s9
	v_fma_f32 v76, s19, v116, -v71
	v_mul_f32_e32 v77, 0x3fb8aa3b, v77
	s_waitcnt_depctr 0xfff
	v_cndmask_b32_e64 v84, 0, v75, s8
	v_fma_f32 v75, s19, v115, -v71
	v_cndmask_b32_e64 v88, 0, v88, s12
	v_mul_f32_e32 v76, 0x3fb8aa3b, v76
	v_exp_f32_e32 v77, v77
	v_add_f32_e32 v72, v72, v84
	s_delay_alu instid0(VALU_DEP_2) | instskip(NEXT) | instid1(VALU_DEP_1)
	v_exp_f32_e32 v76, v76
	v_add_f32_e32 v72, v72, v87
	s_waitcnt_depctr 0xfff
	v_cndmask_b32_e64 v86, 0, v77, s10
	v_mul_f32_e32 v73, 0x3fb8aa3b, v73
	v_fma_f32 v77, s19, v117, -v71
	v_cndmask_b32_e64 v90, 0, v76, s15
	s_delay_alu instid0(VALU_DEP_4) | instskip(NEXT) | instid1(VALU_DEP_4)
	v_add_f32_e32 v72, v72, v86
	v_exp_f32_e32 v73, v73
	s_waitcnt_depctr 0xfff
	v_cndmask_b32_e64 v89, 0, v73, s11
	s_delay_alu instid0(VALU_DEP_1) | instskip(NEXT) | instid1(VALU_DEP_1)
	v_dual_mul_f32 v75, 0x3fb8aa3b, v75 :: v_dual_add_f32 v72, v72, v89
	v_exp_f32_e32 v75, v75
	v_mul_f32_e32 v73, 0x3fb8aa3b, v77
	v_fma_f32 v77, s19, v118, -v71
	s_delay_alu instid0(VALU_DEP_3) | instskip(NEXT) | instid1(VALU_DEP_3)
	v_add_f32_e32 v72, v72, v88
	v_exp_f32_e32 v73, v73
	s_waitcnt_depctr 0xfff
	v_cndmask_b32_e64 v91, 0, v75, s13
	s_delay_alu instid0(VALU_DEP_1) | instskip(NEXT) | instid1(VALU_DEP_1)
	v_dual_mul_f32 v75, 0x3fb8aa3b, v77 :: v_dual_add_f32 v72, v72, v91
	v_exp_f32_e32 v75, v75
	v_cndmask_b32_e64 v93, 0, v73, s16
	s_delay_alu instid0(VALU_DEP_2) | instskip(NEXT) | instid1(VALU_DEP_1)
	v_add_f32_e32 v72, v72, v90
	v_add_f32_e32 v72, v72, v93
	s_waitcnt_depctr 0xfff
	v_cndmask_b32_e64 v92, 0, v75, s17
	s_delay_alu instid0(VALU_DEP_1)
	v_add_f32_e32 v72, v72, v92
	ds_bpermute_b32 v73, v74, v72
	s_and_saveexec_b32 s3, s2
	s_cbranch_execz .LBB1232_12
; %bb.11:
	v_mul_u32_u24_e32 v70, 0x44, v69
	s_waitcnt lgkmcnt(0)
	v_add_f32_e32 v72, v72, v73
	s_delay_alu instid0(VALU_DEP_2) | instskip(NEXT) | instid1(VALU_DEP_1)
	v_lshl_add_u32 v70, v68, 2, v70
	v_add_nc_u32_e32 v70, 0x4000, v70
	ds_store_2addr_b32 v70, v71, v72 offset1:136
.LBB1232_12:
	s_or_b32 exec_lo, exec_lo, s3
	v_lshlrev_b32_e32 v70, 2, v68
	s_load_b32 s35, s[0:1], 0x94
	s_waitcnt lgkmcnt(0)
	s_barrier
	buffer_gl0_inv
	v_add_nc_u32_e32 v98, 0x4000, v70
	v_cmp_eq_u32_e32 vcc_lo, 1, v69
	v_cmp_eq_u32_e64 s3, 2, v69
	v_cmp_eq_u32_e64 s4, 3, v69
	;; [unrolled: 1-line block ×3, first 2 shown]
	ds_load_2addr_b32 v[70:71], v98 offset1:17
	ds_load_2addr_b32 v[72:73], v98 offset0:34 offset1:51
	ds_load_2addr_b32 v[74:75], v98 offset0:68 offset1:85
	;; [unrolled: 1-line block ×3, first 2 shown]
	v_cmp_eq_u32_e64 s6, 5, v69
	v_cmp_eq_u32_e64 s7, 7, v69
	s_waitcnt lgkmcnt(3)
	v_max3_f32 v76, v70, 0xff7fffff, v71
	s_waitcnt lgkmcnt(2)
	s_delay_alu instid0(VALU_DEP_1) | instskip(SKIP_1) | instid1(VALU_DEP_1)
	v_max3_f32 v76, v76, v72, v73
	s_waitcnt lgkmcnt(1)
	v_max3_f32 v76, v76, v74, v75
	s_waitcnt lgkmcnt(0)
	s_delay_alu instid0(VALU_DEP_1) | instskip(NEXT) | instid1(VALU_DEP_1)
	v_max3_f32 v76, v76, v94, v95
	v_sub_f32_e32 v77, v71, v76
	ds_load_2addr_b32 v[96:97], v98 offset0:136 offset1:153
	v_sub_f32_e32 v74, v74, v76
	v_sub_f32_e32 v70, v70, v76
	;; [unrolled: 1-line block ×3, first 2 shown]
	v_dual_sub_f32 v72, v72, v76 :: v_dual_mul_f32 v77, 0x3fb8aa3b, v77
	s_delay_alu instid0(VALU_DEP_4) | instskip(NEXT) | instid1(VALU_DEP_4)
	v_mul_f32_e32 v103, 0x3fb8aa3b, v74
	v_mul_f32_e32 v99, 0x3fb8aa3b, v70
	ds_load_2addr_b32 v[70:71], v98 offset0:170 offset1:187
	v_dual_mul_f32 v101, 0x3fb8aa3b, v72 :: v_dual_mul_f32 v94, 0x3fb8aa3b, v94
	v_exp_f32_e32 v102, v77
	v_exp_f32_e32 v99, v99
	s_delay_alu instid0(VALU_DEP_1) | instskip(NEXT) | instid1(VALU_DEP_1)
	v_exp_f32_e32 v101, v101
	v_exp_f32_e32 v94, v94
	s_waitcnt lgkmcnt(1)
	s_delay_alu instid0(TRANS32_DEP_3)
	v_fma_f32 v77, v99, v96, 0
	v_sub_f32_e32 v100, v73, v76
	ds_load_2addr_b32 v[72:73], v98 offset0:204 offset1:221
	v_fmac_f32_e32 v77, v102, v97
	v_exp_f32_e32 v97, v103
	s_waitcnt lgkmcnt(1)
	s_delay_alu instid0(VALU_DEP_1)
	v_dual_fmac_f32 v77, v101, v70 :: v_dual_sub_f32 v96, v75, v76
	ds_load_2addr_b32 v[74:75], v98 offset0:238 offset1:255
	v_sub_f32_e32 v70, v95, v76
	s_waitcnt lgkmcnt(0)
	s_barrier
	v_mul_f32_e32 v96, 0x3fb8aa3b, v96
	buffer_gl0_inv
	v_exp_f32_e32 v95, v96
	v_mul_f32_e32 v100, 0x3fb8aa3b, v100
	s_delay_alu instid0(VALU_DEP_1) | instskip(SKIP_3) | instid1(VALU_DEP_2)
	v_exp_f32_e32 v100, v100
	s_waitcnt_depctr 0xfff
	v_dual_fmac_f32 v77, v100, v71 :: v_dual_mul_f32 v70, 0x3fb8aa3b, v70
	v_cndmask_b32_e32 v71, v99, v102, vcc_lo
	v_fmac_f32_e32 v77, v97, v72
	s_delay_alu instid0(VALU_DEP_3) | instskip(NEXT) | instid1(VALU_DEP_1)
	v_exp_f32_e32 v96, v70
	v_fmac_f32_e32 v77, v95, v73
	s_delay_alu instid0(VALU_DEP_1) | instskip(SKIP_2) | instid1(VALU_DEP_1)
	v_fmac_f32_e32 v77, v94, v74
	s_waitcnt_depctr 0xfff
	v_fmac_f32_e32 v77, v96, v75
	v_add_f32_e32 v74, 0x358637bd, v77
	s_delay_alu instid0(VALU_DEP_1) | instskip(SKIP_1) | instid1(VALU_DEP_2)
	v_div_scale_f32 v98, null, v74, v74, 1.0
	v_div_scale_f32 v99, vcc_lo, 1.0, v74, 1.0
	v_rcp_f32_e32 v103, v98
	s_waitcnt_depctr 0xfff
	v_fma_f32 v70, -v98, v103, 1.0
	s_delay_alu instid0(VALU_DEP_1) | instskip(SKIP_2) | instid1(VALU_DEP_2)
	v_fmac_f32_e32 v103, v70, v103
	v_cndmask_b32_e64 v70, v71, v101, s3
	v_cmp_eq_u32_e64 s3, 6, v69
	v_cndmask_b32_e64 v71, v70, v100, s4
	s_delay_alu instid0(VALU_DEP_4) | instskip(NEXT) | instid1(VALU_DEP_2)
	v_dual_mul_f32 v101, v99, v103 :: v_dual_lshlrev_b32 v70, 2, v66
	v_cndmask_b32_e64 v71, v71, v97, s5
	s_delay_alu instid0(VALU_DEP_2) | instskip(NEXT) | instid1(VALU_DEP_3)
	v_or_b32_e32 v72, 1, v70
	v_fma_f32 v100, -v98, v101, v99
	v_cmp_eq_u32_e64 s4, 1, v70
	v_cmp_eq_u32_e64 s5, 2, v70
	v_cndmask_b32_e64 v95, v71, v95, s6
	v_or_b32_e32 v71, 3, v70
	v_fmac_f32_e32 v101, v100, v103
	v_cmp_eq_u32_e64 s9, 1, v72
	v_cmp_eq_u32_e64 s12, 2, v72
	v_cndmask_b32_e64 v94, v95, v94, s3
	v_cmp_eq_u32_e64 s11, 1, v71
	v_fma_f32 v97, -v98, v101, v99
	v_cmp_eq_u32_e64 s16, 2, v71
	v_cmp_eq_u32_e64 s13, 3, v72
	v_cndmask_b32_e64 v94, v94, v96, s7
	v_cmp_eq_u32_e64 s18, 3, v71
	v_div_fmas_f32 v95, v97, v103, v101
	v_cmp_eq_u32_e32 vcc_lo, 3, v70
	v_cmp_eq_u32_e64 s3, 4, v70
	v_cmp_eq_u32_e64 s19, 4, v72
	;; [unrolled: 1-line block ×3, first 2 shown]
	v_div_fixup_f32 v95, v95, v74, 1.0
	v_lshlrev_b32_e32 v73, 6, v68
	v_cmp_eq_u32_e64 s6, 5, v70
	v_cmp_eq_u32_e64 s20, 5, v72
	;; [unrolled: 1-line block ×3, first 2 shown]
	v_mul_f32_e32 v102, v94, v95
	v_lshl_or_b32 v75, v69, 11, v73
	v_or_b32_e32 v69, 2, v70
	v_cmp_eq_u32_e64 s25, 6, v72
	v_cmp_eq_u32_e64 s27, 6, v71
	v_fma_mixlo_f16 v94, v102, v79, 0
	v_fma_mixlo_f16 v95, v102, v81, 0
	;; [unrolled: 1-line block ×8, first 2 shown]
	v_lshl_or_b32 v74, v66, 4, v75
	v_fma_mixhi_f16 v94, v102, v78, 0
	v_fma_mixhi_f16 v95, v102, v80, 0
	;; [unrolled: 1-line block ×8, first 2 shown]
	ds_store_b128 v74, v[94:97]
	ds_store_b128 v74, v[98:101] offset:1024
	s_waitcnt lgkmcnt(0)
	s_barrier
	buffer_gl0_inv
	ds_load_b128 v[78:81], v75
	ds_load_b128 v[82:85], v75 offset:16
	ds_load_b128 v[86:89], v75 offset:1024
	;; [unrolled: 1-line block ×3, first 2 shown]
	v_cmp_eq_u32_e64 s10, 1, v69
	v_cmp_eq_u32_e64 s15, 2, v69
	;; [unrolled: 1-line block ×11, first 2 shown]
	s_waitcnt lgkmcnt(3)
	v_lshrrev_b32_e32 v94, 16, v78
	s_waitcnt lgkmcnt(2)
	v_lshrrev_b32_e32 v98, 16, v82
	;; [unrolled: 2-line block ×4, first 2 shown]
	v_lshrrev_b32_e32 v95, 16, v79
	v_cndmask_b32_e64 v110, v78, v94, s4
	v_cndmask_b32_e64 v111, v82, v98, s4
	;; [unrolled: 1-line block ×8, first 2 shown]
	v_lshrrev_b32_e32 v99, 16, v83
	v_cndmask_b32_e64 v94, v86, v102, s4
	v_cndmask_b32_e64 v98, v90, v106, s4
	;; [unrolled: 1-line block ×15, first 2 shown]
	v_lshrrev_b32_e32 v103, 16, v87
	v_lshrrev_b32_e32 v107, 16, v91
	v_cndmask_b32_e64 v113, v115, v83, s15
	v_cndmask_b32_e64 v82, v94, v87, s5
	;; [unrolled: 1-line block ×7, first 2 shown]
	v_cndmask_b32_e32 v90, v102, v95, vcc_lo
	v_cndmask_b32_e32 v102, v106, v99, vcc_lo
	v_cndmask_b32_e64 v106, v110, v95, s13
	v_cndmask_b32_e64 v110, v111, v99, s13
	;; [unrolled: 1-line block ×4, first 2 shown]
	v_lshrrev_b32_e32 v96, 16, v80
	v_lshrrev_b32_e32 v100, 16, v84
	v_cndmask_b32_e64 v111, v112, v95, s17
	v_cndmask_b32_e64 v112, v113, v99, s17
	v_cndmask_b32_e32 v82, v82, v103, vcc_lo
	v_cndmask_b32_e32 v83, v83, v107, vcc_lo
	v_cndmask_b32_e64 v94, v94, v103, s13
	v_cndmask_b32_e64 v90, v90, v80, s3
	v_cndmask_b32_e64 v95, v102, v84, s3
	v_cndmask_b32_e64 v99, v106, v80, s19
	v_cndmask_b32_e64 v102, v110, v84, s19
	v_cndmask_b32_e64 v78, v78, v80, s22
	v_cndmask_b32_e64 v79, v79, v84, s22
	v_lshrrev_b32_e32 v104, 16, v88
	v_cndmask_b32_e64 v106, v111, v80, s21
	v_cndmask_b32_e64 v110, v112, v84, s21
	;; [unrolled: 1-line block ×11, first 2 shown]
	v_lshrrev_b32_e32 v97, 16, v81
	v_lshrrev_b32_e32 v101, 16, v85
	v_cndmask_b32_e64 v99, v106, v96, s23
	v_cndmask_b32_e64 v102, v110, v100, s23
	;; [unrolled: 1-line block ×7, first 2 shown]
	v_lshrrev_b32_e32 v105, 16, v89
	v_cndmask_b32_e64 v80, v80, v104, s6
	v_cndmask_b32_e64 v84, v84, v81, s7
	;; [unrolled: 1-line block ×16, first 2 shown]
	v_perm_b32 v81, v79, v78, 0x5040100
	v_perm_b32 v79, v95, v85, 0x5040100
	v_cndmask_b32_e64 v78, v119, v91, s15
	v_cndmask_b32_e64 v85, v117, v91, s12
	;; [unrolled: 1-line block ×3, first 2 shown]
	v_perm_b32 v80, v94, v90, 0x5040100
	v_cndmask_b32_e64 v90, v98, v103, s17
	v_cndmask_b32_e64 v86, v86, v103, s18
	;; [unrolled: 1-line block ×5, first 2 shown]
	v_lshrrev_b32_e32 v108, 16, v92
	v_cndmask_b32_e64 v90, v90, v88, s21
	v_cndmask_b32_e64 v86, v86, v88, s22
	;; [unrolled: 1-line block ×11, first 2 shown]
	v_lshrrev_b32_e32 v109, 16, v93
	v_cndmask_b32_e64 v82, v82, v93, s7
	v_cndmask_b32_e64 v88, v88, v89, s26
	;; [unrolled: 1-line block ×12, first 2 shown]
	v_perm_b32 v78, v84, v83, 0x5040100
	v_perm_b32 v85, v87, v86, 0x5040100
	;; [unrolled: 1-line block ×5, first 2 shown]
	s_mul_i32 s8, s33, 3
	s_mov_b32 s3, exec_lo
	ds_store_b128 v74, v[78:81]
	ds_store_b128 v74, v[82:85] offset:1024
	v_cmpx_gt_u32_e32 3, v0
	s_cbranch_execz .LBB1232_14
; %bb.13:
	s_mul_i32 s4, s8, s34
	s_delay_alu instid0(SALU_CYCLE_1) | instskip(SKIP_1) | instid1(VALU_DEP_1)
	v_add3_u32 v68, s4, s31, v68
	s_load_b128 s[4:7], s[0:1], 0x58
	v_mad_u64_u32 v[78:79], null, v68, s35, s[14:15]
	s_delay_alu instid0(VALU_DEP_1) | instskip(NEXT) | instid1(VALU_DEP_1)
	v_ashrrev_i32_e32 v79, 31, v78
	v_lshlrev_b64 v[78:79], 2, v[78:79]
	s_waitcnt lgkmcnt(0)
	s_delay_alu instid0(VALU_DEP_1) | instskip(NEXT) | instid1(VALU_DEP_2)
	v_add_co_u32 v80, vcc_lo, s6, v78
	v_add_co_ci_u32_e32 v81, vcc_lo, s7, v79, vcc_lo
	v_add_co_u32 v78, vcc_lo, s4, v78
	v_add_co_ci_u32_e32 v79, vcc_lo, s5, v79, vcc_lo
	global_store_b32 v[80:81], v76, off
	global_store_b32 v[78:79], v77, off
.LBB1232_14:
	s_or_b32 exec_lo, exec_lo, s3
	s_waitcnt lgkmcnt(0)
	s_waitcnt_vscnt null, 0x0
	s_barrier
	buffer_gl0_inv
	ds_load_b128 v[84:87], v73
	ds_load_b128 v[88:91], v73 offset:16
	ds_load_b128 v[96:99], v73 offset:2064
	;; [unrolled: 1-line block ×5, first 2 shown]
	v_cmp_eq_u32_e32 vcc_lo, 1, v70
	v_mov_b32_e32 v76, 0
	ds_load_b128 v[112:115], v73 offset:6160
	ds_load_b128 v[108:111], v73 offset:6144
	;; [unrolled: 1-line block ×4, first 2 shown]
	v_cmp_eq_u32_e64 s4, 1, v69
	v_cmp_eq_u32_e64 s3, 1, v72
	;; [unrolled: 1-line block ×3, first 2 shown]
	v_mov_b32_e32 v77, v76
	v_mov_b32_e32 v78, v76
	;; [unrolled: 1-line block ×7, first 2 shown]
	v_cmp_eq_u32_e64 s6, 3, v72
	v_cmp_eq_u32_e64 s7, 7, v72
	s_waitcnt lgkmcnt(8)
	s_delay_alu instid0(VALU_DEP_3)
	v_wmma_f32_16x16x16_f16 v[76:83], v[49:56], v[84:91], v[76:83]
	ds_load_b128 v[53:56], v73 offset:10256
	ds_load_b128 v[49:52], v73 offset:10240
	s_waitcnt lgkmcnt(8)
	v_wmma_f32_16x16x16_f16 v[76:83], v[41:48], v[92:99], v[76:83]
	ds_load_b128 v[45:48], v73 offset:12304
	ds_load_b128 v[41:44], v73 offset:12288
	s_waitcnt lgkmcnt(8)
	;; [unrolled: 4-line block ×3, first 2 shown]
	s_barrier
	buffer_gl0_inv
	v_wmma_f32_16x16x16_f16 v[76:83], v[1:8], v[108:115], v[76:83]
	s_delay_alu instid0(VALU_DEP_1) | instskip(NEXT) | instid1(VALU_DEP_1)
	v_wmma_f32_16x16x16_f16 v[76:83], v[9:16], v[116:123], v[76:83]
	v_wmma_f32_16x16x16_f16 v[76:83], v[17:24], v[49:56], v[76:83]
	s_delay_alu instid0(VALU_DEP_1) | instskip(NEXT) | instid1(VALU_DEP_1)
	v_wmma_f32_16x16x16_f16 v[76:83], v[25:32], v[41:48], v[76:83]
	v_wmma_f32_16x16x16_f16 v[76:83], v[57:64], v[33:40], v[76:83]
	s_delay_alu instid0(VALU_DEP_1) | instskip(NEXT) | instid1(VALU_DEP_2)
	v_cvt_f16_f32_e32 v1, v76
	v_cvt_f16_f32_e32 v2, v77
	s_delay_alu instid0(VALU_DEP_3) | instskip(NEXT) | instid1(VALU_DEP_4)
	v_cvt_f16_f32_e32 v3, v78
	v_cvt_f16_f32_e32 v4, v79
	;; [unrolled: 1-line block ×6, first 2 shown]
	v_pack_b32_f16 v1, v1, v2
	v_pack_b32_f16 v2, v3, v4
	v_pack_b32_f16 v3, v5, v6
	s_delay_alu instid0(VALU_DEP_4)
	v_pack_b32_f16 v4, v7, v8
	ds_store_b128 v74, v[1:4]
	s_waitcnt lgkmcnt(0)
	s_barrier
	buffer_gl0_inv
	ds_load_b128 v[1:4], v75
	ds_load_b128 v[5:8], v75 offset:16
	s_waitcnt lgkmcnt(1)
	v_lshrrev_b32_e32 v9, 16, v1
	s_waitcnt lgkmcnt(0)
	v_lshrrev_b32_e32 v13, 16, v5
	v_lshrrev_b32_e32 v10, 16, v2
	;; [unrolled: 1-line block ×4, first 2 shown]
	v_cndmask_b32_e32 v17, v1, v9, vcc_lo
	v_cndmask_b32_e32 v18, v5, v13, vcc_lo
	v_cndmask_b32_e64 v21, v1, v9, s4
	v_cmp_eq_u32_e32 vcc_lo, 1, v71
	v_cndmask_b32_e64 v22, v5, v13, s4
	v_cmp_eq_u32_e64 s4, 2, v70
	v_cndmask_b32_e64 v19, v1, v9, s3
	v_cndmask_b32_e64 v20, v5, v13, s3
	v_cndmask_b32_e32 v1, v1, v9, vcc_lo
	v_cmp_eq_u32_e64 s3, 2, v71
	v_cndmask_b32_e32 v5, v5, v13, vcc_lo
	v_cndmask_b32_e64 v9, v17, v2, s4
	v_cmp_eq_u32_e32 vcc_lo, 3, v70
	v_cndmask_b32_e64 v13, v18, v6, s4
	v_cmp_eq_u32_e64 s4, 2, v69
	v_cndmask_b32_e64 v17, v19, v2, s5
	v_cndmask_b32_e64 v18, v20, v6, s5
	v_cmp_eq_u32_e64 s5, 3, v69
	v_cndmask_b32_e64 v1, v1, v2, s3
	v_cndmask_b32_e64 v19, v21, v2, s4
	;; [unrolled: 1-line block ×4, first 2 shown]
	v_cndmask_b32_e32 v5, v9, v10, vcc_lo
	v_cndmask_b32_e32 v6, v13, v14, vcc_lo
	v_cmp_eq_u32_e32 vcc_lo, 3, v71
	v_cndmask_b32_e64 v9, v17, v10, s6
	v_cndmask_b32_e64 v13, v18, v14, s6
	;; [unrolled: 1-line block ×3, first 2 shown]
	v_cmp_eq_u32_e64 s4, 4, v70
	v_cndmask_b32_e32 v1, v1, v10, vcc_lo
	v_cndmask_b32_e32 v2, v2, v14, vcc_lo
	v_cmp_eq_u32_e32 vcc_lo, 4, v72
	v_lshrrev_b32_e32 v15, 16, v7
	v_lshrrev_b32_e32 v16, 16, v8
	v_cndmask_b32_e64 v17, v19, v10, s5
	v_cmp_eq_u32_e64 s3, 4, v71
	v_cndmask_b32_e64 v5, v5, v3, s4
	v_cndmask_b32_e64 v6, v6, v7, s4
	v_cndmask_b32_e32 v9, v9, v3, vcc_lo
	v_cmp_eq_u32_e64 s4, 5, v72
	v_cndmask_b32_e32 v10, v13, v7, vcc_lo
	v_cmp_eq_u32_e32 vcc_lo, 4, v69
	v_cmp_eq_u32_e64 s5, 5, v70
	v_cndmask_b32_e64 v2, v2, v7, s3
	v_cndmask_b32_e64 v9, v9, v11, s4
	;; [unrolled: 1-line block ×3, first 2 shown]
	v_cndmask_b32_e32 v13, v17, v3, vcc_lo
	v_cmp_eq_u32_e64 s4, 5, v69
	v_cndmask_b32_e32 v14, v18, v7, vcc_lo
	v_cndmask_b32_e64 v1, v1, v3, s3
	v_cmp_eq_u32_e32 vcc_lo, 5, v71
	v_lshrrev_b32_e32 v12, 16, v4
	v_cndmask_b32_e64 v13, v13, v11, s4
	v_cndmask_b32_e64 v3, v14, v15, s4
	v_cmp_eq_u32_e64 s4, 6, v71
	v_cndmask_b32_e32 v1, v1, v11, vcc_lo
	v_cndmask_b32_e64 v5, v5, v11, s5
	v_cmp_eq_u32_e64 s6, 6, v70
	v_cndmask_b32_e64 v6, v6, v15, s5
	v_cmp_eq_u32_e64 s5, 6, v72
	v_cmp_eq_u32_e64 s3, 6, v69
	v_cndmask_b32_e64 v1, v1, v4, s4
	v_cndmask_b32_e32 v2, v2, v15, vcc_lo
	v_cmp_eq_u32_e32 vcc_lo, 7, v71
	v_cndmask_b32_e64 v5, v5, v4, s6
	v_cndmask_b32_e64 v9, v9, v4, s5
	v_cndmask_b32_e64 v6, v6, v8, s6
	v_cmp_eq_u32_e64 s6, 7, v70
	v_cndmask_b32_e32 v1, v1, v12, vcc_lo
	v_cndmask_b32_e64 v7, v13, v4, s3
	v_cndmask_b32_e64 v3, v3, v8, s3
	;; [unrolled: 1-line block ×3, first 2 shown]
	v_cmp_eq_u32_e64 s3, 7, v69
	v_cndmask_b32_e64 v4, v10, v8, s5
	v_cndmask_b32_e64 v5, v5, v12, s6
	;; [unrolled: 1-line block ×3, first 2 shown]
	v_cndmask_b32_e32 v2, v2, v16, vcc_lo
	v_cndmask_b32_e64 v7, v7, v12, s3
	v_cndmask_b32_e64 v3, v3, v16, s3
	;; [unrolled: 1-line block ×4, first 2 shown]
	v_perm_b32 v4, v2, v1, 0x5040100
	s_mov_b32 s3, exec_lo
	v_perm_b32 v3, v3, v7, 0x5040100
	v_perm_b32 v2, v8, v9, 0x5040100
	;; [unrolled: 1-line block ×3, first 2 shown]
	ds_store_b128 v74, v[1:4]
	s_waitcnt lgkmcnt(0)
	s_barrier
	buffer_gl0_inv
	v_cmpx_gt_u32_e32 32, v0
	s_cbranch_execz .LBB1232_2
; %bb.15:
	s_load_b64 s[4:5], s[0:1], 0x68
	v_lshlrev_b32_e32 v0, 10, v0
	v_lshlrev_b32_e32 v2, 4, v67
	v_add_nc_u32_e32 v1, s31, v66
	s_lshl_b32 s0, s35, 7
	s_delay_alu instid0(SALU_CYCLE_1) | instskip(NEXT) | instid1(VALU_DEP_2)
	s_mul_i32 s1, s0, s34
	v_and_or_b32 v0, 0x3800, v0, v2
	s_mul_i32 s6, s1, s8
	v_mul_lo_u32 v1, v1, s0
	s_ashr_i32 s7, s6, 31
	s_delay_alu instid0(VALU_DEP_2) | instskip(SKIP_1) | instid1(VALU_DEP_2)
	v_lshl_or_b32 v3, v66, 6, v0
	s_lshl_b64 s[6:7], s[6:7], 1
	v_ashrrev_i32_e32 v2, 31, v1
	ds_load_b128 v[3:6], v3
	s_waitcnt lgkmcnt(0)
	s_add_u32 s1, s4, s6
	s_addc_u32 s3, s5, s7
	s_lshl_b32 s4, s14, 7
	v_lshlrev_b64 v[7:8], 1, v[1:2]
	s_ashr_i32 s5, s4, 31
	s_delay_alu instid0(SALU_CYCLE_1) | instskip(NEXT) | instid1(SALU_CYCLE_1)
	s_lshl_b64 s[4:5], s[4:5], 1
	s_add_u32 s1, s1, s4
	s_addc_u32 s3, s3, s5
	v_add_co_u32 v1, s1, s1, v65
	s_delay_alu instid0(VALU_DEP_1) | instskip(NEXT) | instid1(VALU_DEP_2)
	v_add_co_ci_u32_e64 v2, null, s3, 0, s1
	v_add_co_u32 v7, vcc_lo, v1, v7
	s_delay_alu instid0(VALU_DEP_2)
	v_add_co_ci_u32_e32 v8, vcc_lo, v2, v8, vcc_lo
	global_store_b128 v[7:8], v[3:6], off
	s_and_b32 exec_lo, exec_lo, s2
	s_cbranch_execz .LBB1232_2
; %bb.16:
	ds_load_b128 v[3:6], v0 offset:128
	s_add_i32 s1, s31, 2
	s_delay_alu instid0(SALU_CYCLE_1) | instskip(NEXT) | instid1(SALU_CYCLE_1)
	s_mul_i32 s0, s1, s0
	s_ashr_i32 s1, s0, 31
	s_delay_alu instid0(SALU_CYCLE_1) | instskip(NEXT) | instid1(SALU_CYCLE_1)
	s_lshl_b64 s[0:1], s[0:1], 1
	v_add_co_u32 v0, vcc_lo, v1, s0
	v_add_co_ci_u32_e32 v1, vcc_lo, s1, v2, vcc_lo
	s_waitcnt lgkmcnt(0)
	global_store_b128 v[0:1], v[3:6], off
	s_nop 0
	s_sendmsg sendmsg(MSG_DEALLOC_VGPRS)
	s_endpgm
	.section	.rodata,"a",@progbits
	.p2align	6, 0x0
	.amdhsa_kernel _Z39paged_attention_ll4mi_QKV_mfma16_kernelIDF16_hLN4vllm18Fp8KVCacheDataTypeE1EhLi16ELi128ELi256ELb1ELi3EL8MFMAType0EEvPKT_PKT0_S8_ifPKiSA_SA_iPKfiiiPfSD_PS3_PT2_iSC_SC_
		.amdhsa_group_segment_fixed_size 17472
		.amdhsa_private_segment_fixed_size 0
		.amdhsa_kernarg_size 400
		.amdhsa_user_sgpr_count 13
		.amdhsa_user_sgpr_dispatch_ptr 0
		.amdhsa_user_sgpr_queue_ptr 0
		.amdhsa_user_sgpr_kernarg_segment_ptr 1
		.amdhsa_user_sgpr_dispatch_id 0
		.amdhsa_user_sgpr_private_segment_size 0
		.amdhsa_wavefront_size32 1
		.amdhsa_uses_dynamic_stack 0
		.amdhsa_enable_private_segment 0
		.amdhsa_system_sgpr_workgroup_id_x 1
		.amdhsa_system_sgpr_workgroup_id_y 1
		.amdhsa_system_sgpr_workgroup_id_z 1
		.amdhsa_system_sgpr_workgroup_info 0
		.amdhsa_system_vgpr_workitem_id 0
		.amdhsa_next_free_vgpr 150
		.amdhsa_next_free_sgpr 36
		.amdhsa_reserve_vcc 1
		.amdhsa_float_round_mode_32 0
		.amdhsa_float_round_mode_16_64 0
		.amdhsa_float_denorm_mode_32 3
		.amdhsa_float_denorm_mode_16_64 3
		.amdhsa_dx10_clamp 1
		.amdhsa_ieee_mode 1
		.amdhsa_fp16_overflow 0
		.amdhsa_workgroup_processor_mode 1
		.amdhsa_memory_ordered 1
		.amdhsa_forward_progress 0
		.amdhsa_shared_vgpr_count 0
		.amdhsa_exception_fp_ieee_invalid_op 0
		.amdhsa_exception_fp_denorm_src 0
		.amdhsa_exception_fp_ieee_div_zero 0
		.amdhsa_exception_fp_ieee_overflow 0
		.amdhsa_exception_fp_ieee_underflow 0
		.amdhsa_exception_fp_ieee_inexact 0
		.amdhsa_exception_int_div_zero 0
	.end_amdhsa_kernel
	.section	.text._Z39paged_attention_ll4mi_QKV_mfma16_kernelIDF16_hLN4vllm18Fp8KVCacheDataTypeE1EhLi16ELi128ELi256ELb1ELi3EL8MFMAType0EEvPKT_PKT0_S8_ifPKiSA_SA_iPKfiiiPfSD_PS3_PT2_iSC_SC_,"axG",@progbits,_Z39paged_attention_ll4mi_QKV_mfma16_kernelIDF16_hLN4vllm18Fp8KVCacheDataTypeE1EhLi16ELi128ELi256ELb1ELi3EL8MFMAType0EEvPKT_PKT0_S8_ifPKiSA_SA_iPKfiiiPfSD_PS3_PT2_iSC_SC_,comdat
.Lfunc_end1232:
	.size	_Z39paged_attention_ll4mi_QKV_mfma16_kernelIDF16_hLN4vllm18Fp8KVCacheDataTypeE1EhLi16ELi128ELi256ELb1ELi3EL8MFMAType0EEvPKT_PKT0_S8_ifPKiSA_SA_iPKfiiiPfSD_PS3_PT2_iSC_SC_, .Lfunc_end1232-_Z39paged_attention_ll4mi_QKV_mfma16_kernelIDF16_hLN4vllm18Fp8KVCacheDataTypeE1EhLi16ELi128ELi256ELb1ELi3EL8MFMAType0EEvPKT_PKT0_S8_ifPKiSA_SA_iPKfiiiPfSD_PS3_PT2_iSC_SC_
                                        ; -- End function
	.section	.AMDGPU.csdata,"",@progbits
; Kernel info:
; codeLenInByte = 6588
; NumSgprs: 38
; NumVgprs: 150
; ScratchSize: 0
; MemoryBound: 0
; FloatMode: 240
; IeeeMode: 1
; LDSByteSize: 17472 bytes/workgroup (compile time only)
; SGPRBlocks: 4
; VGPRBlocks: 18
; NumSGPRsForWavesPerEU: 38
; NumVGPRsForWavesPerEU: 150
; Occupancy: 9
; WaveLimiterHint : 1
; COMPUTE_PGM_RSRC2:SCRATCH_EN: 0
; COMPUTE_PGM_RSRC2:USER_SGPR: 13
; COMPUTE_PGM_RSRC2:TRAP_HANDLER: 0
; COMPUTE_PGM_RSRC2:TGID_X_EN: 1
; COMPUTE_PGM_RSRC2:TGID_Y_EN: 1
; COMPUTE_PGM_RSRC2:TGID_Z_EN: 1
; COMPUTE_PGM_RSRC2:TIDIG_COMP_CNT: 0
	.section	.text._Z39paged_attention_ll4mi_QKV_mfma16_kernelIDF16_hLN4vllm18Fp8KVCacheDataTypeE1EhLi16ELi128ELi256ELb1ELi4EL8MFMAType0EEvPKT_PKT0_S8_ifPKiSA_SA_iPKfiiiPfSD_PS3_PT2_iSC_SC_,"axG",@progbits,_Z39paged_attention_ll4mi_QKV_mfma16_kernelIDF16_hLN4vllm18Fp8KVCacheDataTypeE1EhLi16ELi128ELi256ELb1ELi4EL8MFMAType0EEvPKT_PKT0_S8_ifPKiSA_SA_iPKfiiiPfSD_PS3_PT2_iSC_SC_,comdat
	.protected	_Z39paged_attention_ll4mi_QKV_mfma16_kernelIDF16_hLN4vllm18Fp8KVCacheDataTypeE1EhLi16ELi128ELi256ELb1ELi4EL8MFMAType0EEvPKT_PKT0_S8_ifPKiSA_SA_iPKfiiiPfSD_PS3_PT2_iSC_SC_ ; -- Begin function _Z39paged_attention_ll4mi_QKV_mfma16_kernelIDF16_hLN4vllm18Fp8KVCacheDataTypeE1EhLi16ELi128ELi256ELb1ELi4EL8MFMAType0EEvPKT_PKT0_S8_ifPKiSA_SA_iPKfiiiPfSD_PS3_PT2_iSC_SC_
	.globl	_Z39paged_attention_ll4mi_QKV_mfma16_kernelIDF16_hLN4vllm18Fp8KVCacheDataTypeE1EhLi16ELi128ELi256ELb1ELi4EL8MFMAType0EEvPKT_PKT0_S8_ifPKiSA_SA_iPKfiiiPfSD_PS3_PT2_iSC_SC_
	.p2align	8
	.type	_Z39paged_attention_ll4mi_QKV_mfma16_kernelIDF16_hLN4vllm18Fp8KVCacheDataTypeE1EhLi16ELi128ELi256ELb1ELi4EL8MFMAType0EEvPKT_PKT0_S8_ifPKiSA_SA_iPKfiiiPfSD_PS3_PT2_iSC_SC_,@function
_Z39paged_attention_ll4mi_QKV_mfma16_kernelIDF16_hLN4vllm18Fp8KVCacheDataTypeE1EhLi16ELi128ELi256ELb1ELi4EL8MFMAType0EEvPKT_PKT0_S8_ifPKiSA_SA_iPKfiiiPfSD_PS3_PT2_iSC_SC_: ; @_Z39paged_attention_ll4mi_QKV_mfma16_kernelIDF16_hLN4vllm18Fp8KVCacheDataTypeE1EhLi16ELi128ELi256ELb1ELi4EL8MFMAType0EEvPKT_PKT0_S8_ifPKiSA_SA_iPKfiiiPfSD_PS3_PT2_iSC_SC_
; %bb.0:
	s_load_b64 s[4:5], s[0:1], 0x30
	s_mov_b32 s30, s13
	s_waitcnt lgkmcnt(0)
	s_cmp_lg_u64 s[4:5], 0
	s_cselect_b32 s13, -1, 0
	s_ashr_i32 s31, s30, 31
	s_cmp_eq_u64 s[4:5], 0
	s_cbranch_scc1 .LBB1233_3
; %bb.1:
	s_lshl_b64 s[2:3], s[30:31], 2
	s_delay_alu instid0(SALU_CYCLE_1) | instskip(SKIP_4) | instid1(SALU_CYCLE_1)
	s_add_u32 s2, s4, s2
	s_addc_u32 s3, s5, s3
	s_load_b64 s[2:3], s[2:3], 0x0
	s_waitcnt lgkmcnt(0)
	s_sub_i32 s2, s3, s2
	s_cmp_eq_u32 s2, 1
	s_cselect_b32 s2, -1, 0
	s_delay_alu instid0(SALU_CYCLE_1)
	s_and_not1_b32 vcc_lo, exec_lo, s2
	s_cbranch_vccz .LBB1233_4
.LBB1233_2:
	s_endpgm
.LBB1233_3:
.LBB1233_4:
	s_load_b64 s[2:3], s[0:1], 0x28
	s_lshl_b64 s[6:7], s[30:31], 2
	s_waitcnt lgkmcnt(0)
	s_add_u32 s2, s2, s6
	s_addc_u32 s3, s3, s7
	s_lshl_b32 s12, s14, 8
	s_load_b32 s17, s[2:3], 0x0
	s_waitcnt lgkmcnt(0)
	s_cmp_ge_i32 s12, s17
	s_cbranch_scc1 .LBB1233_2
; %bb.5:
	s_clause 0x1
	s_load_b128 s[8:11], s[0:1], 0x8
	s_load_b64 s[2:3], s[0:1], 0x20
	s_and_not1_b32 vcc_lo, exec_lo, s13
	s_cbranch_vccnz .LBB1233_7
; %bb.6:
	s_add_u32 s4, s4, s6
	s_addc_u32 s5, s5, s7
	s_load_b32 s13, s[4:5], 0x0
	s_branch .LBB1233_8
.LBB1233_7:
	s_mov_b32 s13, s30
.LBB1233_8:
	s_load_b128 s[4:7], s[0:1], 0x48
	v_and_b32_e32 v69, 15, v0
	v_lshrrev_b32_e32 v68, 5, v0
	v_and_b32_e32 v70, 31, v0
	v_and_b32_e32 v67, 1, v0
	v_bfe_u32 v66, v0, 4, 1
	v_lshlrev_b32_e32 v1, 3, v69
	s_lshl_b32 s31, s15, 2
	s_waitcnt lgkmcnt(0)
	s_mov_b32 s7, exec_lo
	s_delay_alu instid0(VALU_DEP_1)
	v_lshlrev_b32_e32 v65, 1, v1
	v_cmpx_gt_u32_e32 64, v0
	s_cbranch_execz .LBB1233_10
; %bb.9:
	v_lshl_or_b32 v5, v68, 1, v66
	s_load_b64 s[18:19], s[0:1], 0x0
	s_mul_hi_i32 s21, s13, s4
	s_mul_i32 s20, s13, s4
	v_lshlrev_b32_e32 v6, 10, v69
	v_or_b32_e32 v1, s31, v5
	s_lshl_b64 s[20:21], s[20:21], 1
	v_lshlrev_b32_e32 v5, 6, v5
	v_lshlrev_b32_e32 v7, 10, v67
	v_and_b32_e32 v6, 0x3800, v6
	v_lshlrev_b32_e32 v1, 7, v1
	s_delay_alu instid0(VALU_DEP_2) | instskip(NEXT) | instid1(VALU_DEP_2)
	v_or3_b32 v5, v6, v7, v5
	v_ashrrev_i32_e32 v2, 31, v1
	s_delay_alu instid0(VALU_DEP_1) | instskip(SKIP_3) | instid1(VALU_DEP_1)
	v_lshlrev_b64 v[1:2], 1, v[1:2]
	s_waitcnt lgkmcnt(0)
	s_add_u32 s4, s18, s20
	s_addc_u32 s13, s19, s21
	v_add_co_u32 v1, vcc_lo, s4, v1
	s_delay_alu instid0(VALU_DEP_2) | instskip(NEXT) | instid1(VALU_DEP_2)
	v_add_co_ci_u32_e32 v2, vcc_lo, s13, v2, vcc_lo
	v_add_co_u32 v1, vcc_lo, v1, v65
	s_delay_alu instid0(VALU_DEP_2)
	v_add_co_ci_u32_e32 v2, vcc_lo, 0, v2, vcc_lo
	global_load_b128 v[1:4], v[1:2], off
	s_waitcnt vmcnt(0)
	ds_store_b128 v5, v[1:4]
.LBB1233_10:
	s_or_b32 exec_lo, exec_lo, s7
	v_and_b32_e32 v1, 0xef, v0
	s_add_i32 s4, s17, 15
	s_clause 0x1
	s_load_b32 s7, s[0:1], 0x38
	s_load_b32 s33, s[0:1], 0x98
	s_ashr_i32 s13, s4, 31
	v_add_nc_u32_e32 v1, s12, v1
	s_lshr_b32 s13, s13, 28
	s_load_b32 s18, s[0:1], 0x1c
	s_add_i32 s4, s4, s13
	s_waitcnt lgkmcnt(0)
	v_ashrrev_i32_e32 v2, 31, v1
	v_or_b32_e32 v3, 16, v1
	s_ashr_i32 s4, s4, 4
	v_cmp_gt_i32_e32 vcc_lo, s17, v1
	s_add_i32 s4, s4, -1
	v_lshrrev_b32_e32 v2, 28, v2
	s_barrier
	buffer_gl0_inv
	s_mul_i32 s15, s15, s6
	v_add_nc_u32_e32 v4, v1, v2
	s_mul_i32 s20, s30, s7
	s_delay_alu instid0(SALU_CYCLE_1) | instskip(NEXT) | instid1(VALU_DEP_1)
	s_ashr_i32 s21, s20, 31
	v_ashrrev_i32_e32 v4, 4, v4
	v_add_nc_u32_e32 v2, v3, v2
	s_lshl_b64 s[20:21], s[20:21], 2
	s_delay_alu instid0(SALU_CYCLE_1) | instskip(NEXT) | instid1(VALU_DEP_2)
	s_add_u32 s13, s2, s20
	v_cndmask_b32_e32 v1, s4, v4, vcc_lo
	s_delay_alu instid0(VALU_DEP_2)
	v_ashrrev_i32_e32 v2, 4, v2
	v_cmp_gt_i32_e32 vcc_lo, s17, v3
	s_addc_u32 s16, s3, s21
	s_ashr_i32 s19, s15, 31
	s_add_u32 s26, s8, s15
	s_addc_u32 s27, s9, s19
	v_cndmask_b32_e32 v3, s4, v2, vcc_lo
	v_ashrrev_i32_e32 v2, 31, v1
	s_lshl_b32 s2, s14, 4
	s_delay_alu instid0(SALU_CYCLE_1) | instskip(NEXT) | instid1(VALU_DEP_2)
	s_ashr_i32 s3, s2, 31
	v_ashrrev_i32_e32 v4, 31, v3
	s_delay_alu instid0(VALU_DEP_2) | instskip(SKIP_1) | instid1(SALU_CYCLE_1)
	v_lshlrev_b64 v[1:2], 2, v[1:2]
	s_lshl_b64 s[2:3], s[2:3], 2
	s_add_u32 s2, s13, s2
	s_delay_alu instid0(VALU_DEP_2) | instskip(SKIP_1) | instid1(VALU_DEP_2)
	v_lshlrev_b64 v[3:4], 2, v[3:4]
	s_addc_u32 s3, s16, s3
	v_add_co_u32 v1, vcc_lo, s13, v1
	v_add_co_ci_u32_e32 v2, vcc_lo, s16, v2, vcc_lo
	s_delay_alu instid0(VALU_DEP_3) | instskip(NEXT) | instid1(VALU_DEP_4)
	v_add_co_u32 v3, vcc_lo, s13, v3
	v_add_co_ci_u32_e32 v4, vcc_lo, s16, v4, vcc_lo
	s_clause 0x1
	global_load_b32 v5, v[1:2], off
	global_load_b32 v3, v[3:4], off
	s_or_b32 s6, s12, 32
	s_delay_alu instid0(SALU_CYCLE_1) | instskip(SKIP_2) | instid1(SALU_CYCLE_1)
	s_ashr_i32 s7, s6, 4
	s_cmp_lt_i32 s6, s17
	s_cselect_b32 s6, s7, s4
	s_ashr_i32 s7, s6, 31
	s_delay_alu instid0(SALU_CYCLE_1) | instskip(NEXT) | instid1(SALU_CYCLE_1)
	s_lshl_b64 s[6:7], s[6:7], 2
	s_add_u32 s6, s13, s6
	s_addc_u32 s7, s16, s7
	s_or_b32 s8, s12, 64
	s_delay_alu instid0(SALU_CYCLE_1) | instskip(SKIP_2) | instid1(SALU_CYCLE_1)
	s_ashr_i32 s9, s8, 4
	s_cmp_lt_i32 s8, s17
	s_cselect_b32 s8, s9, s4
	s_ashr_i32 s9, s8, 31
	s_delay_alu instid0(SALU_CYCLE_1) | instskip(NEXT) | instid1(SALU_CYCLE_1)
	s_lshl_b64 s[8:9], s[8:9], 2
	s_add_u32 s8, s13, s8
	s_addc_u32 s9, s16, s9
	;; [unrolled: 10-line block ×5, first 2 shown]
	s_clause 0x5
	s_load_b32 s28, s[2:3], 0x0
	s_load_b32 s29, s[6:7], 0x0
	;; [unrolled: 1-line block ×6, first 2 shown]
	s_mov_b32 s20, 0
	s_or_b32 s2, s12, 0xc0
	s_mov_b32 s21, s20
	s_mov_b32 s22, s20
	;; [unrolled: 1-line block ×5, first 2 shown]
	v_lshlrev_b32_e32 v1, 4, v0
	s_ashr_i32 s3, s2, 4
	s_cmp_lt_i32 s2, s17
	s_cselect_b32 s2, s3, s4
	s_delay_alu instid0(VALU_DEP_1) | instskip(SKIP_1) | instid1(SALU_CYCLE_1)
	v_and_b32_e32 v1, 0xf0, v1
	s_ashr_i32 s3, s2, 31
	s_lshl_b64 s[2:3], s[2:3], 2
	s_delay_alu instid0(VALU_DEP_1) | instskip(NEXT) | instid1(VALU_DEP_1)
	v_add_co_u32 v1, s26, s26, v1
	v_add_co_ci_u32_e64 v2, null, s27, 0, s26
	s_add_u32 s2, s13, s2
	s_addc_u32 s3, s16, s3
	s_or_b32 s6, s12, 0xe0
	s_mov_b32 s27, s20
	s_ashr_i32 s7, s6, 4
	s_cmp_lt_i32 s6, s17
	s_mov_b32 s26, s20
	s_cselect_b32 s6, s7, s4
	v_mov_b32_e32 v102, s27
	v_mov_b32_e32 v96, s21
	s_ashr_i32 s7, s6, 31
	v_mov_b32_e32 v101, s26
	s_lshl_b64 s[6:7], s[6:7], 2
	v_dual_mov_b32 v100, s25 :: v_dual_mov_b32 v99, s24
	v_dual_mov_b32 v98, s23 :: v_dual_mov_b32 v97, s22
	v_mov_b32_e32 v95, s20
	s_waitcnt vmcnt(1)
	v_mad_i64_i32 v[33:34], null, v5, s5, v[1:2]
	s_waitcnt vmcnt(0)
	v_mad_i64_i32 v[35:36], null, v3, s5, v[1:2]
	s_clause 0xf
	global_load_b128 v[1:4], v[33:34], off
	global_load_b128 v[5:8], v[33:34], off offset:256
	global_load_b128 v[9:12], v[35:36], off
	global_load_b128 v[13:16], v[35:36], off offset:256
	global_load_b128 v[17:20], v[33:34], off offset:512
	;; [unrolled: 1-line block ×13, first 2 shown]
	v_and_b32_e32 v33, 3, v0
	v_lshlrev_b32_e32 v34, 4, v69
	s_delay_alu instid0(VALU_DEP_2) | instskip(NEXT) | instid1(VALU_DEP_2)
	v_lshlrev_b32_e32 v139, 6, v33
	v_lshl_or_b32 v41, v68, 8, v34
	ds_load_b128 v[33:36], v139
	ds_load_b128 v[37:40], v139 offset:1024
	ds_load_b128 v[103:106], v139 offset:2048
	;; [unrolled: 1-line block ×3, first 2 shown]
	s_load_b32 s4, s[2:3], 0x0
	s_add_u32 s2, s13, s6
	s_addc_u32 s3, s16, s7
	ds_load_b128 v[111:114], v139 offset:4096
	ds_load_b128 v[115:118], v139 offset:5120
	s_load_b32 s2, s[2:3], 0x0
	s_add_u32 s6, s10, s15
	s_addc_u32 s7, s11, s19
	v_add_co_u32 v127, s6, s6, v41
	s_delay_alu instid0(VALU_DEP_1) | instskip(SKIP_1) | instid1(VALU_DEP_1)
	v_add_co_ci_u32_e64 v128, null, s7, 0, s6
	s_waitcnt lgkmcnt(0)
	v_mad_i64_i32 v[41:42], null, s28, s5, v[127:128]
	v_mad_i64_i32 v[129:130], null, s8, s5, v[127:128]
	;; [unrolled: 1-line block ×7, first 2 shown]
	s_clause 0x3
	global_load_b128 v[49:52], v[41:42], off
	global_load_b128 v[53:56], v[41:42], off offset:16
	global_load_b128 v[41:44], v[45:46], off
	global_load_b128 v[45:48], v[45:46], off offset:16
	s_waitcnt vmcnt(18)
	v_wmma_f32_16x16x16_f16 v[119:126], v[1:8], v[33:40], v[95:102]
	s_waitcnt vmcnt(16)
	v_wmma_f32_16x16x16_f16 v[95:102], v[9:16], v[33:40], v[95:102]
	s_clause 0x3
	global_load_b128 v[33:36], v[129:130], off
	global_load_b128 v[37:40], v[129:130], off offset:16
	global_load_b128 v[1:4], v[131:132], off
	global_load_b128 v[5:8], v[131:132], off offset:16
	s_waitcnt vmcnt(18)
	v_wmma_f32_16x16x16_f16 v[119:126], v[17:24], v[103:110], v[119:126]
	s_clause 0x3
	global_load_b128 v[9:12], v[133:134], off
	global_load_b128 v[13:16], v[133:134], off offset:16
	global_load_b128 v[17:20], v[135:136], off
	global_load_b128 v[21:24], v[135:136], off offset:16
	s_waitcnt vmcnt(20)
	v_wmma_f32_16x16x16_f16 v[95:102], v[25:32], v[103:110], v[95:102]
	v_mad_i64_i32 v[103:104], null, s2, s5, v[127:128]
	s_waitcnt vmcnt(18)
	v_wmma_f32_16x16x16_f16 v[119:126], v[57:64], v[111:118], v[119:126]
	s_clause 0x1
	global_load_b128 v[25:28], v[137:138], off
	global_load_b128 v[29:32], v[137:138], off offset:16
	s_waitcnt vmcnt(18)
	v_wmma_f32_16x16x16_f16 v[95:102], v[71:78], v[111:118], v[95:102]
	s_clause 0x1
	global_load_b128 v[57:60], v[103:104], off
	global_load_b128 v[61:64], v[103:104], off offset:16
	ds_load_b128 v[71:74], v139 offset:6144
	ds_load_b128 v[75:78], v139 offset:7168
	v_mbcnt_lo_u32_b32 v104, -1, 0
	s_waitcnt vmcnt(0) lgkmcnt(0)
	s_barrier
	buffer_gl0_inv
	v_xor_b32_e32 v105, 16, v104
	s_delay_alu instid0(VALU_DEP_1) | instskip(SKIP_4) | instid1(VALU_DEP_2)
	v_cmp_gt_i32_e32 vcc_lo, 32, v105
	v_cndmask_b32_e32 v104, v104, v105, vcc_lo
	v_wmma_f32_16x16x16_f16 v[95:102], v[87:94], v[71:78], v[95:102]
	v_and_b32_e32 v103, 0xe0, v0
	v_wmma_f32_16x16x16_f16 v[119:126], v[79:86], v[71:78], v[119:126]
	v_dual_mul_f32 v90, s18, v101 :: v_dual_add_nc_u32 v103, s12, v103
	s_delay_alu instid0(VALU_DEP_2) | instskip(NEXT) | instid1(VALU_DEP_3)
	v_dual_mul_f32 v94, s18, v97 :: v_dual_mul_f32 v87, s18, v120
	v_dual_mul_f32 v88, s18, v119 :: v_dual_mul_f32 v77, s18, v122
	s_delay_alu instid0(VALU_DEP_3) | instskip(SKIP_3) | instid1(VALU_DEP_4)
	v_or_b32_e32 v103, v103, v66
	v_dual_mul_f32 v78, s18, v121 :: v_dual_mul_f32 v75, s18, v124
	v_dual_mul_f32 v76, s18, v123 :: v_dual_mul_f32 v73, s18, v126
	v_mul_f32_e32 v92, s18, v99
	v_or_b32_e32 v105, 2, v103
	v_or_b32_e32 v106, 4, v103
	;; [unrolled: 1-line block ×3, first 2 shown]
	v_cmp_gt_i32_e64 s2, s17, v103
	v_or_b32_e32 v108, 8, v103
	v_cmp_gt_i32_e32 vcc_lo, s17, v105
	v_or_b32_e32 v109, 10, v103
	v_cmp_gt_i32_e64 s3, s17, v106
	v_cndmask_b32_e64 v88, 0xff7fffff, v88, s2
	v_cmp_gt_i32_e64 s4, s17, v107
	v_cndmask_b32_e32 v87, 0xff7fffff, v87, vcc_lo
	v_or_b32_e32 v79, 12, v103
	v_or_b32_e32 v80, 14, v103
	v_cndmask_b32_e64 v78, 0xff7fffff, v78, s3
	v_cndmask_b32_e64 v77, 0xff7fffff, v77, s4
	v_max3_f32 v87, v88, 0xff7fffff, v87
	v_cmp_gt_i32_e64 s5, s17, v108
	v_cmp_gt_i32_e64 s6, s17, v109
	v_or_b32_e32 v81, 16, v103
	v_or_b32_e32 v82, 18, v103
	v_mul_f32_e32 v74, s18, v125
	v_cndmask_b32_e64 v76, 0xff7fffff, v76, s5
	v_cndmask_b32_e64 v75, 0xff7fffff, v75, s6
	v_max3_f32 v77, v87, v78, v77
	v_cmp_gt_i32_e64 s7, s17, v79
	v_cmp_gt_i32_e64 s8, s17, v80
	v_or_b32_e32 v83, 20, v103
	v_or_b32_e32 v84, 22, v103
	;; [unrolled: 1-line block ×6, first 2 shown]
	v_mul_f32_e32 v105, s18, v96
	v_mul_f32_e32 v103, s18, v95
	v_cndmask_b32_e64 v74, 0xff7fffff, v74, s7
	v_cndmask_b32_e64 v73, 0xff7fffff, v73, s8
	v_max3_f32 v75, v77, v76, v75
	v_cmp_gt_i32_e64 s9, s17, v81
	v_cmp_gt_i32_e64 s10, s17, v82
	v_mul_f32_e32 v93, s18, v98
	v_cmp_gt_i32_e64 s11, s17, v83
	v_max3_f32 v73, v75, v74, v73
	v_cndmask_b32_e64 v76, 0xff7fffff, v103, s9
	v_cndmask_b32_e64 v77, 0xff7fffff, v105, s10
	v_cmp_gt_i32_e64 s12, s17, v84
	v_mul_f32_e32 v91, s18, v100
	v_cndmask_b32_e64 v74, 0xff7fffff, v94, s11
	v_cmp_gt_i32_e64 s13, s17, v85
	v_max3_f32 v73, v73, v76, v77
	v_cndmask_b32_e64 v75, 0xff7fffff, v93, s12
	v_cmp_gt_i32_e64 s15, s17, v86
	v_mul_f32_e32 v89, s18, v102
	v_cndmask_b32_e64 v76, 0xff7fffff, v92, s13
	v_cmp_gt_i32_e64 s16, s17, v71
	v_max3_f32 v73, v73, v74, v75
	v_cndmask_b32_e64 v77, 0xff7fffff, v91, s15
	v_cmp_gt_i32_e64 s17, s17, v72
	v_lshlrev_b32_e32 v74, 2, v104
	v_cndmask_b32_e64 v71, 0xff7fffff, v90, s16
	s_delay_alu instid0(VALU_DEP_4) | instskip(NEXT) | instid1(VALU_DEP_4)
	v_max3_f32 v73, v73, v76, v77
	v_cndmask_b32_e64 v72, 0xff7fffff, v89, s17
	s_delay_alu instid0(VALU_DEP_1) | instskip(SKIP_3) | instid1(VALU_DEP_1)
	v_max3_f32 v71, v73, v71, v72
	ds_bpermute_b32 v72, v74, v71
	s_waitcnt lgkmcnt(0)
	v_max_f32_e32 v72, v72, v72
	v_max_f32_e32 v71, v71, v72
	s_delay_alu instid0(VALU_DEP_1)
	v_fma_f32 v72, s18, v119, -v71
	v_fma_f32 v76, s18, v122, -v71
	;; [unrolled: 1-line block ×5, first 2 shown]
	v_mul_f32_e32 v72, 0x3fb8aa3b, v72
	v_mul_f32_e32 v76, 0x3fb8aa3b, v76
	v_fma_f32 v75, s18, v121, -v71
	v_mul_f32_e32 v79, 0x3fb8aa3b, v77
	v_mul_f32_e32 v87, 0x3fb8aa3b, v86
	v_exp_f32_e32 v72, v72
	v_exp_f32_e32 v76, v76
	v_fma_f32 v81, s18, v125, -v71
	v_exp_f32_e32 v82, v79
	v_exp_f32_e32 v87, v87
	v_fma_f32 v84, s18, v96, -v71
	s_delay_alu instid0(VALU_DEP_2) | instskip(SKIP_3) | instid1(TRANS32_DEP_3)
	v_mul_f32_e32 v81, 0x3fb8aa3b, v81
	v_cndmask_b32_e64 v78, 0, v72, s2
	v_fma_f32 v72, s18, v124, -v71
	v_mul_f32_e32 v73, 0x3fb8aa3b, v73
	v_cndmask_b32_e64 v79, 0, v76, s4
	v_fma_f32 v76, s18, v95, -v71
	s_delay_alu instid0(VALU_DEP_4) | instskip(NEXT) | instid1(VALU_DEP_4)
	v_dual_mul_f32 v75, 0x3fb8aa3b, v75 :: v_dual_mul_f32 v72, 0x3fb8aa3b, v72
	v_exp_f32_e32 v73, v73
	v_cndmask_b32_e64 v87, 0, v87, s12
	s_delay_alu instid0(VALU_DEP_3) | instskip(NEXT) | instid1(VALU_DEP_3)
	v_mul_f32_e32 v76, 0x3fb8aa3b, v76
	v_exp_f32_e32 v75, v75
	v_exp_f32_e32 v72, v72
	;; [unrolled: 1-line block ×3, first 2 shown]
	v_cndmask_b32_e64 v82, 0, v82, s5
	v_mul_f32_e32 v85, 0x3fb8aa3b, v84
	v_exp_f32_e32 v76, v76
	s_mov_b32 s2, exec_lo
	v_cndmask_b32_e32 v77, 0, v73, vcc_lo
	v_add_f32_e32 v73, 0, v78
	v_exp_f32_e32 v85, v85
	v_cndmask_b32_e64 v80, 0, v75, s3
	v_fma_f32 v75, s18, v126, -v71
	v_cndmask_b32_e64 v81, 0, v72, s6
	v_add_f32_e32 v73, v73, v77
	v_cndmask_b32_e64 v84, 0, v83, s7
	v_cndmask_b32_e64 v86, 0, v76, s9
	v_mul_f32_e32 v75, 0x3fb8aa3b, v75
	s_delay_alu instid0(VALU_DEP_4) | instskip(NEXT) | instid1(TRANS32_DEP_1)
	v_add_f32_e32 v73, v73, v80
	v_cndmask_b32_e64 v85, 0, v85, s10
	s_delay_alu instid0(VALU_DEP_3) | instskip(NEXT) | instid1(VALU_DEP_2)
	v_exp_f32_e32 v75, v75
	v_add_f32_e32 v73, v73, v79
	s_delay_alu instid0(VALU_DEP_1) | instskip(SKIP_3) | instid1(VALU_DEP_1)
	v_add_f32_e32 v72, v73, v82
	s_waitcnt_depctr 0xfff
	v_cndmask_b32_e64 v83, 0, v75, s8
	v_add_f32_e32 v72, v72, v81
	v_add_f32_e32 v72, v72, v84
	s_delay_alu instid0(VALU_DEP_1) | instskip(NEXT) | instid1(VALU_DEP_1)
	v_add_f32_e32 v72, v72, v83
	v_add_f32_e32 v72, v72, v86
	s_delay_alu instid0(VALU_DEP_1) | instskip(SKIP_4) | instid1(VALU_DEP_4)
	v_add_f32_e32 v72, v72, v85
	v_fma_f32 v73, s18, v97, -v71
	v_fma_f32 v75, s18, v99, -v71
	;; [unrolled: 1-line block ×4, first 2 shown]
	v_mul_f32_e32 v73, 0x3fb8aa3b, v73
	s_delay_alu instid0(VALU_DEP_3) | instskip(NEXT) | instid1(VALU_DEP_2)
	v_dual_mul_f32 v75, 0x3fb8aa3b, v75 :: v_dual_mul_f32 v76, 0x3fb8aa3b, v76
	v_exp_f32_e32 v73, v73
	s_delay_alu instid0(VALU_DEP_1) | instskip(NEXT) | instid1(VALU_DEP_1)
	v_exp_f32_e32 v75, v75
	v_exp_f32_e32 v76, v76
	s_delay_alu instid0(TRANS32_DEP_3)
	v_cndmask_b32_e64 v88, 0, v73, s11
	v_mul_f32_e32 v73, 0x3fb8aa3b, v89
	v_fma_f32 v89, s18, v102, -v71
	s_waitcnt_depctr 0xfff
	v_cndmask_b32_e64 v90, 0, v75, s13
	v_add_f32_e32 v72, v72, v88
	v_exp_f32_e32 v73, v73
	v_mul_f32_e32 v75, 0x3fb8aa3b, v89
	v_cndmask_b32_e64 v89, 0, v76, s15
	s_delay_alu instid0(VALU_DEP_3) | instskip(NEXT) | instid1(VALU_DEP_3)
	v_add_f32_e32 v72, v72, v87
	v_exp_f32_e32 v75, v75
	s_delay_alu instid0(VALU_DEP_1) | instskip(SKIP_4) | instid1(VALU_DEP_2)
	v_add_f32_e32 v72, v72, v90
	s_waitcnt_depctr 0xfff
	v_cndmask_b32_e64 v92, 0, v73, s16
	v_add_f32_e32 v72, v72, v89
	v_cndmask_b32_e64 v91, 0, v75, s17
	v_add_f32_e32 v72, v72, v92
	s_delay_alu instid0(VALU_DEP_1)
	v_add_f32_e32 v72, v72, v91
	ds_bpermute_b32 v73, v74, v72
	v_cmpx_gt_u32_e32 16, v70
	s_cbranch_execz .LBB1233_12
; %bb.11:
	v_mul_u32_u24_e32 v70, 0x44, v68
	s_waitcnt lgkmcnt(0)
	v_add_f32_e32 v72, v72, v73
	s_delay_alu instid0(VALU_DEP_2) | instskip(NEXT) | instid1(VALU_DEP_1)
	v_lshl_add_u32 v70, v69, 2, v70
	v_add_nc_u32_e32 v70, 0x4000, v70
	ds_store_2addr_b32 v70, v71, v72 offset1:136
.LBB1233_12:
	s_or_b32 exec_lo, exec_lo, s2
	v_lshlrev_b32_e32 v70, 2, v69
	s_load_b32 s34, s[0:1], 0x94
	s_waitcnt lgkmcnt(0)
	s_barrier
	buffer_gl0_inv
	v_add_nc_u32_e32 v74, 0x4000, v70
	v_cmp_eq_u32_e32 vcc_lo, 1, v68
	v_cmp_eq_u32_e64 s2, 2, v68
	v_cmp_eq_u32_e64 s3, 3, v68
	;; [unrolled: 1-line block ×3, first 2 shown]
	ds_load_2addr_b32 v[70:71], v74 offset1:17
	ds_load_2addr_b32 v[72:73], v74 offset0:34 offset1:51
	ds_load_2addr_b32 v[93:94], v74 offset0:68 offset1:85
	;; [unrolled: 1-line block ×3, first 2 shown]
	v_cmp_eq_u32_e64 s5, 5, v68
	v_cmp_eq_u32_e64 s6, 7, v68
	s_waitcnt lgkmcnt(3)
	v_max3_f32 v75, v70, 0xff7fffff, v71
	s_waitcnt lgkmcnt(2)
	s_delay_alu instid0(VALU_DEP_1) | instskip(SKIP_1) | instid1(VALU_DEP_1)
	v_max3_f32 v75, v75, v72, v73
	s_waitcnt lgkmcnt(1)
	v_max3_f32 v75, v75, v93, v94
	s_waitcnt lgkmcnt(0)
	s_delay_alu instid0(VALU_DEP_1) | instskip(NEXT) | instid1(VALU_DEP_1)
	v_max3_f32 v75, v75, v95, v96
	v_sub_f32_e32 v93, v93, v75
	ds_load_2addr_b32 v[97:98], v74 offset0:136 offset1:153
	v_sub_f32_e32 v70, v70, v75
	v_dual_sub_f32 v100, v73, v75 :: v_dual_mul_f32 v103, 0x3fb8aa3b, v93
	s_delay_alu instid0(VALU_DEP_2) | instskip(SKIP_3) | instid1(VALU_DEP_1)
	v_dual_sub_f32 v76, v71, v75 :: v_dual_mul_f32 v99, 0x3fb8aa3b, v70
	ds_load_2addr_b32 v[70:71], v74 offset0:170 offset1:187
	v_mul_f32_e32 v76, 0x3fb8aa3b, v76
	v_exp_f32_e32 v99, v99
	v_exp_f32_e32 v102, v76
	v_mul_f32_e32 v100, 0x3fb8aa3b, v100
	s_waitcnt lgkmcnt(1)
	s_waitcnt_depctr 0xfff
	v_fma_f32 v76, v99, v97, 0
	v_sub_f32_e32 v97, v94, v75
	v_sub_f32_e32 v72, v72, v75
	v_exp_f32_e32 v100, v100
	ds_load_2addr_b32 v[93:94], v74 offset0:238 offset1:255
	v_dual_fmac_f32 v76, v102, v98 :: v_dual_mul_f32 v101, 0x3fb8aa3b, v72
	ds_load_2addr_b32 v[72:73], v74 offset0:204 offset1:221
	v_dual_sub_f32 v74, v95, v75 :: v_dual_mul_f32 v95, 0x3fb8aa3b, v97
	v_exp_f32_e32 v97, v103
	v_exp_f32_e32 v101, v101
	s_waitcnt lgkmcnt(0)
	s_barrier
	v_exp_f32_e32 v95, v95
	buffer_gl0_inv
	v_fmac_f32_e32 v76, v101, v70
	v_sub_f32_e32 v70, v96, v75
	s_delay_alu instid0(VALU_DEP_2) | instskip(NEXT) | instid1(VALU_DEP_2)
	v_fmac_f32_e32 v76, v100, v71
	v_mul_f32_e32 v70, 0x3fb8aa3b, v70
	s_delay_alu instid0(VALU_DEP_2)
	v_dual_cndmask_b32 v71, v99, v102 :: v_dual_fmac_f32 v76, v97, v72
	v_lshlrev_b32_e32 v72, 6, v69
	v_lshlrev_b32_e32 v69, 2, v66
	v_mul_f32_e32 v74, 0x3fb8aa3b, v74
	v_exp_f32_e32 v98, v70
	v_fmac_f32_e32 v76, v95, v73
	s_delay_alu instid0(VALU_DEP_3) | instskip(NEXT) | instid1(VALU_DEP_3)
	v_cmp_eq_u32_e64 s7, 7, v69
	v_exp_f32_e32 v96, v74
	v_lshl_or_b32 v74, v68, 11, v72
	s_waitcnt_depctr 0xfff
	v_fmac_f32_e32 v76, v96, v93
	s_delay_alu instid0(VALU_DEP_1) | instskip(NEXT) | instid1(VALU_DEP_1)
	v_fmac_f32_e32 v76, v98, v94
	v_add_f32_e32 v73, 0x358637bd, v76
	s_delay_alu instid0(VALU_DEP_1) | instskip(SKIP_1) | instid1(VALU_DEP_2)
	v_div_scale_f32 v93, null, v73, v73, 1.0
	v_div_scale_f32 v99, vcc_lo, 1.0, v73, 1.0
	v_rcp_f32_e32 v94, v93
	s_waitcnt_depctr 0xfff
	v_fma_f32 v70, -v93, v94, 1.0
	s_delay_alu instid0(VALU_DEP_1)
	v_fmac_f32_e32 v94, v70, v94
	v_cndmask_b32_e64 v70, v71, v101, s2
	v_cmp_eq_u32_e64 s2, 6, v68
	v_or_b32_e32 v71, 1, v69
	v_or_b32_e32 v68, 2, v69
	v_mul_f32_e32 v101, v99, v94
	v_cndmask_b32_e64 v70, v70, v100, s3
	v_cmp_eq_u32_e64 s3, 1, v69
	v_cmp_eq_u32_e64 s8, 1, v71
	;; [unrolled: 1-line block ×3, first 2 shown]
	v_fma_f32 v100, -v93, v101, v99
	v_cndmask_b32_e64 v70, v70, v97, s4
	v_cmp_eq_u32_e64 s4, 2, v69
	v_cmp_eq_u32_e64 s11, 2, v71
	;; [unrolled: 1-line block ×3, first 2 shown]
	v_fmac_f32_e32 v101, v100, v94
	v_cndmask_b32_e64 v95, v70, v95, s5
	v_or_b32_e32 v70, 3, v69
	v_cmp_eq_u32_e64 s12, 3, v71
	v_cmp_eq_u32_e64 s16, 3, v68
	v_fma_f32 v93, -v93, v101, v99
	v_cndmask_b32_e64 v95, v95, v96, s2
	v_cmp_eq_u32_e64 s10, 1, v70
	v_cmp_eq_u32_e64 s15, 2, v70
	;; [unrolled: 1-line block ×3, first 2 shown]
	v_div_fmas_f32 v93, v93, v94, v101
	v_cndmask_b32_e64 v94, v95, v98, s6
	v_cmp_eq_u32_e32 vcc_lo, 3, v69
	v_cmp_eq_u32_e64 s2, 4, v69
	v_cmp_eq_u32_e64 s18, 4, v71
	v_div_fixup_f32 v93, v93, v73, 1.0
	v_lshl_or_b32 v73, v66, 4, v74
	v_cmp_eq_u32_e64 s21, 4, v70
	v_cmp_eq_u32_e64 s5, 5, v69
	;; [unrolled: 1-line block ×3, first 2 shown]
	v_mul_f32_e32 v101, v94, v93
	v_cmp_eq_u32_e64 s20, 4, v68
	v_cmp_eq_u32_e64 s23, 5, v70
	;; [unrolled: 1-line block ×4, first 2 shown]
	v_fma_mixlo_f16 v93, v101, v78, 0
	v_fma_mixlo_f16 v94, v101, v80, 0
	;; [unrolled: 1-line block ×8, first 2 shown]
	v_fma_mixhi_f16 v93, v101, v77, 0
	v_fma_mixhi_f16 v94, v101, v79, 0
	;; [unrolled: 1-line block ×8, first 2 shown]
	ds_store_b128 v73, v[93:96]
	ds_store_b128 v73, v[97:100] offset:1024
	s_waitcnt lgkmcnt(0)
	s_barrier
	buffer_gl0_inv
	ds_load_b128 v[77:80], v74
	ds_load_b128 v[81:84], v74 offset:16
	ds_load_b128 v[85:88], v74 offset:1024
	;; [unrolled: 1-line block ×3, first 2 shown]
	v_cmp_eq_u32_e64 s26, 6, v70
	v_cmp_eq_u32_e64 s6, 6, v69
	;; [unrolled: 1-line block ×6, first 2 shown]
	s_waitcnt lgkmcnt(3)
	v_lshrrev_b32_e32 v93, 16, v77
	s_waitcnt lgkmcnt(2)
	v_lshrrev_b32_e32 v97, 16, v81
	;; [unrolled: 2-line block ×4, first 2 shown]
	v_lshrrev_b32_e32 v94, 16, v78
	v_cndmask_b32_e64 v109, v77, v93, s3
	v_cndmask_b32_e64 v110, v81, v97, s3
	;; [unrolled: 1-line block ×8, first 2 shown]
	v_lshrrev_b32_e32 v98, 16, v82
	v_cndmask_b32_e64 v93, v85, v101, s3
	v_cndmask_b32_e64 v97, v89, v105, s3
	;; [unrolled: 1-line block ×15, first 2 shown]
	v_lshrrev_b32_e32 v102, 16, v86
	v_lshrrev_b32_e32 v106, 16, v90
	v_cndmask_b32_e64 v112, v114, v82, s13
	v_cndmask_b32_e64 v81, v93, v86, s4
	;; [unrolled: 1-line block ×7, first 2 shown]
	v_cndmask_b32_e32 v89, v101, v94, vcc_lo
	v_cndmask_b32_e32 v101, v105, v98, vcc_lo
	v_cndmask_b32_e64 v105, v109, v94, s12
	v_cndmask_b32_e64 v109, v110, v98, s12
	;; [unrolled: 1-line block ×4, first 2 shown]
	v_lshrrev_b32_e32 v95, 16, v79
	v_lshrrev_b32_e32 v99, 16, v83
	v_cndmask_b32_e64 v110, v111, v94, s16
	v_cndmask_b32_e64 v111, v112, v98, s16
	v_cndmask_b32_e32 v81, v81, v102, vcc_lo
	v_cndmask_b32_e32 v82, v82, v106, vcc_lo
	v_cndmask_b32_e64 v93, v93, v102, s12
	v_cndmask_b32_e64 v89, v89, v79, s2
	;; [unrolled: 1-line block ×7, first 2 shown]
	v_lshrrev_b32_e32 v103, 16, v87
	v_cndmask_b32_e64 v105, v110, v79, s20
	v_cndmask_b32_e64 v109, v111, v83, s20
	;; [unrolled: 1-line block ×11, first 2 shown]
	v_lshrrev_b32_e32 v96, 16, v80
	v_lshrrev_b32_e32 v100, 16, v84
	v_cndmask_b32_e64 v98, v105, v95, s22
	v_cndmask_b32_e64 v101, v109, v99, s22
	;; [unrolled: 1-line block ×7, first 2 shown]
	v_lshrrev_b32_e32 v104, 16, v88
	v_cndmask_b32_e64 v79, v79, v103, s5
	v_cndmask_b32_e64 v83, v83, v80, s6
	;; [unrolled: 1-line block ×16, first 2 shown]
	v_perm_b32 v80, v78, v77, 0x5040100
	v_perm_b32 v78, v94, v84, 0x5040100
	v_cndmask_b32_e64 v77, v118, v90, s13
	v_cndmask_b32_e64 v84, v116, v90, s11
	;; [unrolled: 1-line block ×3, first 2 shown]
	v_perm_b32 v79, v93, v89, 0x5040100
	v_cndmask_b32_e64 v89, v97, v102, s16
	v_cndmask_b32_e64 v85, v85, v102, s17
	v_cndmask_b32_e64 v86, v86, v106, s17
	v_cndmask_b32_e64 v77, v77, v106, s16
	v_cndmask_b32_e64 v84, v84, v106, s12
	v_lshrrev_b32_e32 v107, 16, v91
	v_cndmask_b32_e64 v89, v89, v87, s20
	v_cndmask_b32_e64 v85, v85, v87, s21
	;; [unrolled: 1-line block ×11, first 2 shown]
	v_lshrrev_b32_e32 v108, 16, v92
	v_cndmask_b32_e64 v81, v81, v92, s6
	v_cndmask_b32_e64 v87, v87, v88, s25
	;; [unrolled: 1-line block ×12, first 2 shown]
	v_perm_b32 v77, v83, v82, 0x5040100
	v_perm_b32 v84, v86, v85, 0x5040100
	;; [unrolled: 1-line block ×5, first 2 shown]
	s_lshl_b32 s7, s33, 2
	s_mov_b32 s2, exec_lo
	ds_store_b128 v73, v[77:80]
	ds_store_b128 v73, v[81:84] offset:1024
	v_cmpx_gt_u32_e32 4, v0
	s_cbranch_execz .LBB1233_14
; %bb.13:
	v_or_b32_e32 v77, s31, v0
	s_load_b128 s[8:11], s[0:1], 0x58
	s_delay_alu instid0(VALU_DEP_1) | instskip(NEXT) | instid1(VALU_DEP_1)
	v_mad_u64_u32 v[78:79], null, s7, s30, v[77:78]
	v_mad_u64_u32 v[79:80], null, v78, s34, s[14:15]
	s_delay_alu instid0(VALU_DEP_1) | instskip(NEXT) | instid1(VALU_DEP_1)
	v_ashrrev_i32_e32 v80, 31, v79
	v_lshlrev_b64 v[77:78], 2, v[79:80]
	s_waitcnt lgkmcnt(0)
	s_delay_alu instid0(VALU_DEP_1) | instskip(NEXT) | instid1(VALU_DEP_2)
	v_add_co_u32 v79, vcc_lo, s10, v77
	v_add_co_ci_u32_e32 v80, vcc_lo, s11, v78, vcc_lo
	v_add_co_u32 v77, vcc_lo, s8, v77
	v_add_co_ci_u32_e32 v78, vcc_lo, s9, v78, vcc_lo
	global_store_b32 v[79:80], v75, off
	global_store_b32 v[77:78], v76, off
.LBB1233_14:
	s_or_b32 exec_lo, exec_lo, s2
	s_waitcnt lgkmcnt(0)
	s_waitcnt_vscnt null, 0x0
	s_barrier
	buffer_gl0_inv
	ds_load_b128 v[83:86], v72
	ds_load_b128 v[87:90], v72 offset:16
	ds_load_b128 v[95:98], v72 offset:2064
	ds_load_b128 v[91:94], v72 offset:2048
	ds_load_b128 v[103:106], v72 offset:4112
	ds_load_b128 v[99:102], v72 offset:4096
	v_cmp_eq_u32_e32 vcc_lo, 1, v69
	v_mov_b32_e32 v75, 0
	ds_load_b128 v[111:114], v72 offset:6160
	ds_load_b128 v[107:110], v72 offset:6144
	;; [unrolled: 1-line block ×4, first 2 shown]
	v_cmp_eq_u32_e64 s3, 1, v68
	v_cmp_eq_u32_e64 s2, 1, v71
	;; [unrolled: 1-line block ×3, first 2 shown]
	v_mov_b32_e32 v76, v75
	v_mov_b32_e32 v77, v75
	v_mov_b32_e32 v78, v75
	v_mov_b32_e32 v79, v75
	v_mov_b32_e32 v80, v75
	v_mov_b32_e32 v81, v75
	v_mov_b32_e32 v82, v75
	v_cmp_eq_u32_e64 s5, 3, v71
	v_cmp_eq_u32_e64 s6, 7, v71
	s_waitcnt lgkmcnt(8)
	s_delay_alu instid0(VALU_DEP_3)
	v_wmma_f32_16x16x16_f16 v[75:82], v[49:56], v[83:90], v[75:82]
	ds_load_b128 v[53:56], v72 offset:10256
	ds_load_b128 v[49:52], v72 offset:10240
	s_waitcnt lgkmcnt(8)
	v_wmma_f32_16x16x16_f16 v[75:82], v[41:48], v[91:98], v[75:82]
	ds_load_b128 v[45:48], v72 offset:12304
	ds_load_b128 v[41:44], v72 offset:12288
	s_waitcnt lgkmcnt(8)
	;; [unrolled: 4-line block ×3, first 2 shown]
	s_barrier
	buffer_gl0_inv
	v_wmma_f32_16x16x16_f16 v[75:82], v[1:8], v[107:114], v[75:82]
	s_delay_alu instid0(VALU_DEP_1) | instskip(NEXT) | instid1(VALU_DEP_1)
	v_wmma_f32_16x16x16_f16 v[75:82], v[9:16], v[115:122], v[75:82]
	v_wmma_f32_16x16x16_f16 v[75:82], v[17:24], v[49:56], v[75:82]
	s_delay_alu instid0(VALU_DEP_1) | instskip(NEXT) | instid1(VALU_DEP_1)
	v_wmma_f32_16x16x16_f16 v[75:82], v[25:32], v[41:48], v[75:82]
	v_wmma_f32_16x16x16_f16 v[75:82], v[57:64], v[33:40], v[75:82]
	s_delay_alu instid0(VALU_DEP_1) | instskip(NEXT) | instid1(VALU_DEP_2)
	v_cvt_f16_f32_e32 v1, v75
	v_cvt_f16_f32_e32 v2, v76
	s_delay_alu instid0(VALU_DEP_3) | instskip(NEXT) | instid1(VALU_DEP_4)
	v_cvt_f16_f32_e32 v3, v77
	v_cvt_f16_f32_e32 v4, v78
	;; [unrolled: 1-line block ×6, first 2 shown]
	v_pack_b32_f16 v1, v1, v2
	v_pack_b32_f16 v2, v3, v4
	;; [unrolled: 1-line block ×3, first 2 shown]
	s_delay_alu instid0(VALU_DEP_4)
	v_pack_b32_f16 v4, v7, v8
	ds_store_b128 v73, v[1:4]
	s_waitcnt lgkmcnt(0)
	s_barrier
	buffer_gl0_inv
	ds_load_b128 v[1:4], v74
	ds_load_b128 v[5:8], v74 offset:16
	s_waitcnt lgkmcnt(1)
	v_lshrrev_b32_e32 v9, 16, v1
	s_waitcnt lgkmcnt(0)
	v_lshrrev_b32_e32 v13, 16, v5
	v_lshrrev_b32_e32 v10, 16, v2
	;; [unrolled: 1-line block ×4, first 2 shown]
	v_cndmask_b32_e32 v17, v1, v9, vcc_lo
	v_cndmask_b32_e32 v18, v5, v13, vcc_lo
	v_cndmask_b32_e64 v21, v1, v9, s3
	v_cmp_eq_u32_e32 vcc_lo, 1, v70
	v_cndmask_b32_e64 v22, v5, v13, s3
	v_cmp_eq_u32_e64 s3, 2, v69
	v_cndmask_b32_e64 v19, v1, v9, s2
	v_cndmask_b32_e64 v20, v5, v13, s2
	v_cndmask_b32_e32 v1, v1, v9, vcc_lo
	v_cmp_eq_u32_e64 s2, 2, v70
	v_cndmask_b32_e32 v5, v5, v13, vcc_lo
	v_cndmask_b32_e64 v9, v17, v2, s3
	v_cmp_eq_u32_e32 vcc_lo, 3, v69
	v_cndmask_b32_e64 v13, v18, v6, s3
	v_cmp_eq_u32_e64 s3, 2, v68
	v_cndmask_b32_e64 v17, v19, v2, s4
	v_cndmask_b32_e64 v18, v20, v6, s4
	v_cmp_eq_u32_e64 s4, 3, v68
	v_cndmask_b32_e64 v1, v1, v2, s2
	v_cndmask_b32_e64 v19, v21, v2, s3
	;; [unrolled: 1-line block ×4, first 2 shown]
	v_cndmask_b32_e32 v5, v9, v10, vcc_lo
	v_cndmask_b32_e32 v6, v13, v14, vcc_lo
	v_cmp_eq_u32_e32 vcc_lo, 3, v70
	v_cndmask_b32_e64 v9, v17, v10, s5
	v_cndmask_b32_e64 v13, v18, v14, s5
	;; [unrolled: 1-line block ×3, first 2 shown]
	v_cmp_eq_u32_e64 s3, 4, v69
	v_cndmask_b32_e32 v1, v1, v10, vcc_lo
	v_cndmask_b32_e32 v2, v2, v14, vcc_lo
	v_cmp_eq_u32_e32 vcc_lo, 4, v71
	v_lshrrev_b32_e32 v15, 16, v7
	v_lshrrev_b32_e32 v16, 16, v8
	v_cndmask_b32_e64 v17, v19, v10, s4
	v_cmp_eq_u32_e64 s2, 4, v70
	v_cndmask_b32_e64 v5, v5, v3, s3
	v_cndmask_b32_e64 v6, v6, v7, s3
	v_cndmask_b32_e32 v9, v9, v3, vcc_lo
	v_cmp_eq_u32_e64 s3, 5, v71
	v_cndmask_b32_e32 v10, v13, v7, vcc_lo
	v_cmp_eq_u32_e32 vcc_lo, 4, v68
	v_cmp_eq_u32_e64 s4, 5, v69
	v_cndmask_b32_e64 v2, v2, v7, s2
	v_cndmask_b32_e64 v9, v9, v11, s3
	;; [unrolled: 1-line block ×3, first 2 shown]
	v_cndmask_b32_e32 v13, v17, v3, vcc_lo
	v_cmp_eq_u32_e64 s3, 5, v68
	v_cndmask_b32_e32 v14, v18, v7, vcc_lo
	v_cndmask_b32_e64 v1, v1, v3, s2
	v_cmp_eq_u32_e32 vcc_lo, 5, v70
	v_lshrrev_b32_e32 v12, 16, v4
	v_cndmask_b32_e64 v13, v13, v11, s3
	v_cndmask_b32_e64 v3, v14, v15, s3
	v_cmp_eq_u32_e64 s3, 6, v70
	v_cndmask_b32_e32 v1, v1, v11, vcc_lo
	v_cndmask_b32_e64 v5, v5, v11, s4
	v_cmp_eq_u32_e64 s5, 6, v69
	v_cndmask_b32_e64 v6, v6, v15, s4
	v_cmp_eq_u32_e64 s4, 6, v71
	v_cmp_eq_u32_e64 s2, 6, v68
	v_cndmask_b32_e64 v1, v1, v4, s3
	v_cndmask_b32_e32 v2, v2, v15, vcc_lo
	v_cmp_eq_u32_e32 vcc_lo, 7, v70
	v_cndmask_b32_e64 v5, v5, v4, s5
	v_cndmask_b32_e64 v9, v9, v4, s4
	;; [unrolled: 1-line block ×3, first 2 shown]
	v_cmp_eq_u32_e64 s5, 7, v69
	v_cndmask_b32_e32 v1, v1, v12, vcc_lo
	v_cndmask_b32_e64 v7, v13, v4, s2
	v_cndmask_b32_e64 v3, v3, v8, s2
	;; [unrolled: 1-line block ×3, first 2 shown]
	v_cmp_eq_u32_e64 s2, 7, v68
	v_cndmask_b32_e64 v4, v10, v8, s4
	v_cndmask_b32_e64 v5, v5, v12, s5
	;; [unrolled: 1-line block ×3, first 2 shown]
	v_cndmask_b32_e32 v2, v2, v16, vcc_lo
	v_cndmask_b32_e64 v7, v7, v12, s2
	v_cndmask_b32_e64 v3, v3, v16, s2
	;; [unrolled: 1-line block ×4, first 2 shown]
	v_perm_b32 v4, v2, v1, 0x5040100
	s_mov_b32 s2, exec_lo
	v_perm_b32 v3, v3, v7, 0x5040100
	v_perm_b32 v2, v8, v9, 0x5040100
	;; [unrolled: 1-line block ×3, first 2 shown]
	ds_store_b128 v73, v[1:4]
	s_waitcnt lgkmcnt(0)
	s_barrier
	buffer_gl0_inv
	v_cmpx_gt_u32_e32 32, v0
	s_cbranch_execz .LBB1233_2
; %bb.15:
	s_load_b64 s[0:1], s[0:1], 0x68
	v_lshlrev_b32_e32 v0, 10, v0
	v_or_b32_e32 v1, s31, v66
	s_lshl_b32 s4, s34, 7
	v_lshlrev_b32_e32 v2, 4, v67
	s_mul_i32 s2, s4, s30
	v_lshlrev_b32_e32 v3, 6, v66
	v_mul_lo_u32 v8, v1, s4
	v_and_b32_e32 v0, 0x3800, v0
	v_or_b32_e32 v1, 2, v1
	s_mul_i32 s2, s2, s7
	s_delay_alu instid0(SALU_CYCLE_1) | instskip(NEXT) | instid1(VALU_DEP_2)
	s_ashr_i32 s3, s2, 31
	v_or3_b32 v4, v0, v2, v3
	s_lshl_b64 s[2:3], s[2:3], 1
	v_mul_lo_u32 v10, v1, s4
	v_ashrrev_i32_e32 v9, 31, v8
	ds_load_b128 v[0:3], v4
	ds_load_b128 v[4:7], v4 offset:128
	s_waitcnt lgkmcnt(0)
	s_add_u32 s2, s0, s2
	s_addc_u32 s3, s1, s3
	s_lshl_b32 s0, s14, 7
	v_ashrrev_i32_e32 v11, 31, v10
	s_ashr_i32 s1, s0, 31
	v_lshlrev_b64 v[8:9], 1, v[8:9]
	s_lshl_b64 s[0:1], s[0:1], 1
	s_delay_alu instid0(SALU_CYCLE_1) | instskip(SKIP_2) | instid1(VALU_DEP_1)
	s_add_u32 s0, s2, s0
	s_addc_u32 s1, s3, s1
	v_add_co_u32 v12, s0, s0, v65
	v_add_co_ci_u32_e64 v13, null, s1, 0, s0
	v_lshlrev_b64 v[10:11], 1, v[10:11]
	s_delay_alu instid0(VALU_DEP_3) | instskip(NEXT) | instid1(VALU_DEP_3)
	v_add_co_u32 v8, vcc_lo, v12, v8
	v_add_co_ci_u32_e32 v9, vcc_lo, v13, v9, vcc_lo
	s_delay_alu instid0(VALU_DEP_3) | instskip(NEXT) | instid1(VALU_DEP_4)
	v_add_co_u32 v10, vcc_lo, v12, v10
	v_add_co_ci_u32_e32 v11, vcc_lo, v13, v11, vcc_lo
	s_clause 0x1
	global_store_b128 v[8:9], v[0:3], off
	global_store_b128 v[10:11], v[4:7], off
	s_nop 0
	s_sendmsg sendmsg(MSG_DEALLOC_VGPRS)
	s_endpgm
	.section	.rodata,"a",@progbits
	.p2align	6, 0x0
	.amdhsa_kernel _Z39paged_attention_ll4mi_QKV_mfma16_kernelIDF16_hLN4vllm18Fp8KVCacheDataTypeE1EhLi16ELi128ELi256ELb1ELi4EL8MFMAType0EEvPKT_PKT0_S8_ifPKiSA_SA_iPKfiiiPfSD_PS3_PT2_iSC_SC_
		.amdhsa_group_segment_fixed_size 17472
		.amdhsa_private_segment_fixed_size 0
		.amdhsa_kernarg_size 400
		.amdhsa_user_sgpr_count 13
		.amdhsa_user_sgpr_dispatch_ptr 0
		.amdhsa_user_sgpr_queue_ptr 0
		.amdhsa_user_sgpr_kernarg_segment_ptr 1
		.amdhsa_user_sgpr_dispatch_id 0
		.amdhsa_user_sgpr_private_segment_size 0
		.amdhsa_wavefront_size32 1
		.amdhsa_uses_dynamic_stack 0
		.amdhsa_enable_private_segment 0
		.amdhsa_system_sgpr_workgroup_id_x 1
		.amdhsa_system_sgpr_workgroup_id_y 1
		.amdhsa_system_sgpr_workgroup_id_z 1
		.amdhsa_system_sgpr_workgroup_info 0
		.amdhsa_system_vgpr_workitem_id 0
		.amdhsa_next_free_vgpr 140
		.amdhsa_next_free_sgpr 36
		.amdhsa_reserve_vcc 1
		.amdhsa_float_round_mode_32 0
		.amdhsa_float_round_mode_16_64 0
		.amdhsa_float_denorm_mode_32 3
		.amdhsa_float_denorm_mode_16_64 3
		.amdhsa_dx10_clamp 1
		.amdhsa_ieee_mode 1
		.amdhsa_fp16_overflow 0
		.amdhsa_workgroup_processor_mode 1
		.amdhsa_memory_ordered 1
		.amdhsa_forward_progress 0
		.amdhsa_shared_vgpr_count 0
		.amdhsa_exception_fp_ieee_invalid_op 0
		.amdhsa_exception_fp_denorm_src 0
		.amdhsa_exception_fp_ieee_div_zero 0
		.amdhsa_exception_fp_ieee_overflow 0
		.amdhsa_exception_fp_ieee_underflow 0
		.amdhsa_exception_fp_ieee_inexact 0
		.amdhsa_exception_int_div_zero 0
	.end_amdhsa_kernel
	.section	.text._Z39paged_attention_ll4mi_QKV_mfma16_kernelIDF16_hLN4vllm18Fp8KVCacheDataTypeE1EhLi16ELi128ELi256ELb1ELi4EL8MFMAType0EEvPKT_PKT0_S8_ifPKiSA_SA_iPKfiiiPfSD_PS3_PT2_iSC_SC_,"axG",@progbits,_Z39paged_attention_ll4mi_QKV_mfma16_kernelIDF16_hLN4vllm18Fp8KVCacheDataTypeE1EhLi16ELi128ELi256ELb1ELi4EL8MFMAType0EEvPKT_PKT0_S8_ifPKiSA_SA_iPKfiiiPfSD_PS3_PT2_iSC_SC_,comdat
.Lfunc_end1233:
	.size	_Z39paged_attention_ll4mi_QKV_mfma16_kernelIDF16_hLN4vllm18Fp8KVCacheDataTypeE1EhLi16ELi128ELi256ELb1ELi4EL8MFMAType0EEvPKT_PKT0_S8_ifPKiSA_SA_iPKfiiiPfSD_PS3_PT2_iSC_SC_, .Lfunc_end1233-_Z39paged_attention_ll4mi_QKV_mfma16_kernelIDF16_hLN4vllm18Fp8KVCacheDataTypeE1EhLi16ELi128ELi256ELb1ELi4EL8MFMAType0EEvPKT_PKT0_S8_ifPKiSA_SA_iPKfiiiPfSD_PS3_PT2_iSC_SC_
                                        ; -- End function
	.section	.AMDGPU.csdata,"",@progbits
; Kernel info:
; codeLenInByte = 6500
; NumSgprs: 38
; NumVgprs: 140
; ScratchSize: 0
; MemoryBound: 0
; FloatMode: 240
; IeeeMode: 1
; LDSByteSize: 17472 bytes/workgroup (compile time only)
; SGPRBlocks: 4
; VGPRBlocks: 17
; NumSGPRsForWavesPerEU: 38
; NumVGPRsForWavesPerEU: 140
; Occupancy: 10
; WaveLimiterHint : 1
; COMPUTE_PGM_RSRC2:SCRATCH_EN: 0
; COMPUTE_PGM_RSRC2:USER_SGPR: 13
; COMPUTE_PGM_RSRC2:TRAP_HANDLER: 0
; COMPUTE_PGM_RSRC2:TGID_X_EN: 1
; COMPUTE_PGM_RSRC2:TGID_Y_EN: 1
; COMPUTE_PGM_RSRC2:TGID_Z_EN: 1
; COMPUTE_PGM_RSRC2:TIDIG_COMP_CNT: 0
	.section	.text._Z39paged_attention_ll4mi_QKV_mfma16_kernelIDF16_hLN4vllm18Fp8KVCacheDataTypeE1EhLi16ELi128ELi256ELb0ELi5EL8MFMAType0EEvPKT_PKT0_S8_ifPKiSA_SA_iPKfiiiPfSD_PS3_PT2_iSC_SC_,"axG",@progbits,_Z39paged_attention_ll4mi_QKV_mfma16_kernelIDF16_hLN4vllm18Fp8KVCacheDataTypeE1EhLi16ELi128ELi256ELb0ELi5EL8MFMAType0EEvPKT_PKT0_S8_ifPKiSA_SA_iPKfiiiPfSD_PS3_PT2_iSC_SC_,comdat
	.protected	_Z39paged_attention_ll4mi_QKV_mfma16_kernelIDF16_hLN4vllm18Fp8KVCacheDataTypeE1EhLi16ELi128ELi256ELb0ELi5EL8MFMAType0EEvPKT_PKT0_S8_ifPKiSA_SA_iPKfiiiPfSD_PS3_PT2_iSC_SC_ ; -- Begin function _Z39paged_attention_ll4mi_QKV_mfma16_kernelIDF16_hLN4vllm18Fp8KVCacheDataTypeE1EhLi16ELi128ELi256ELb0ELi5EL8MFMAType0EEvPKT_PKT0_S8_ifPKiSA_SA_iPKfiiiPfSD_PS3_PT2_iSC_SC_
	.globl	_Z39paged_attention_ll4mi_QKV_mfma16_kernelIDF16_hLN4vllm18Fp8KVCacheDataTypeE1EhLi16ELi128ELi256ELb0ELi5EL8MFMAType0EEvPKT_PKT0_S8_ifPKiSA_SA_iPKfiiiPfSD_PS3_PT2_iSC_SC_
	.p2align	8
	.type	_Z39paged_attention_ll4mi_QKV_mfma16_kernelIDF16_hLN4vllm18Fp8KVCacheDataTypeE1EhLi16ELi128ELi256ELb0ELi5EL8MFMAType0EEvPKT_PKT0_S8_ifPKiSA_SA_iPKfiiiPfSD_PS3_PT2_iSC_SC_,@function
_Z39paged_attention_ll4mi_QKV_mfma16_kernelIDF16_hLN4vllm18Fp8KVCacheDataTypeE1EhLi16ELi128ELi256ELb0ELi5EL8MFMAType0EEvPKT_PKT0_S8_ifPKiSA_SA_iPKfiiiPfSD_PS3_PT2_iSC_SC_: ; @_Z39paged_attention_ll4mi_QKV_mfma16_kernelIDF16_hLN4vllm18Fp8KVCacheDataTypeE1EhLi16ELi128ELi256ELb0ELi5EL8MFMAType0EEvPKT_PKT0_S8_ifPKiSA_SA_iPKfiiiPfSD_PS3_PT2_iSC_SC_
; %bb.0:
	s_load_b64 s[4:5], s[0:1], 0x30
	s_mov_b32 s34, s13
	s_waitcnt lgkmcnt(0)
	s_cmp_lg_u64 s[4:5], 0
	s_cselect_b32 s8, -1, 0
	s_ashr_i32 s35, s13, 31
	s_cmp_eq_u64 s[4:5], 0
	s_cbranch_scc1 .LBB1234_3
; %bb.1:
	s_lshl_b64 s[2:3], s[34:35], 2
	s_delay_alu instid0(SALU_CYCLE_1) | instskip(SKIP_4) | instid1(SALU_CYCLE_1)
	s_add_u32 s2, s4, s2
	s_addc_u32 s3, s5, s3
	s_load_b64 s[2:3], s[2:3], 0x0
	s_waitcnt lgkmcnt(0)
	s_sub_i32 s2, s3, s2
	s_cmp_eq_u32 s2, 1
	s_cselect_b32 s2, -1, 0
	s_delay_alu instid0(SALU_CYCLE_1)
	s_and_not1_b32 vcc_lo, exec_lo, s2
	s_cbranch_vccz .LBB1234_4
.LBB1234_2:
	s_nop 0
	s_sendmsg sendmsg(MSG_DEALLOC_VGPRS)
	s_endpgm
.LBB1234_3:
.LBB1234_4:
	s_load_b64 s[2:3], s[0:1], 0x28
	s_lshl_b64 s[6:7], s[34:35], 2
	s_waitcnt lgkmcnt(0)
	s_add_u32 s2, s2, s6
	s_addc_u32 s3, s3, s7
	s_lshl_b32 s12, s14, 8
	s_load_b32 s24, s[2:3], 0x0
	s_waitcnt lgkmcnt(0)
	s_cmp_ge_i32 s12, s24
	s_cbranch_scc1 .LBB1234_2
; %bb.5:
	s_clause 0x1
	s_load_b128 s[20:23], s[0:1], 0x8
	s_load_b64 s[2:3], s[0:1], 0x20
	s_and_not1_b32 vcc_lo, exec_lo, s8
	s_cbranch_vccnz .LBB1234_7
; %bb.6:
	s_add_u32 s4, s4, s6
	s_addc_u32 s5, s5, s7
	s_load_b32 s5, s[4:5], 0x0
	s_branch .LBB1234_8
.LBB1234_7:
	s_mov_b32 s5, s34
.LBB1234_8:
	s_load_b128 s[16:19], s[0:1], 0x48
	v_and_b32_e32 v68, 15, v0
	v_lshrrev_b32_e32 v69, 5, v0
	v_bfe_u32 v66, v0, 4, 1
	v_and_b32_e32 v70, 31, v0
	v_and_b32_e32 v67, 1, v0
	v_lshlrev_b32_e32 v2, 3, v68
	s_mul_i32 s31, s15, 5
	v_lshl_or_b32 v1, v69, 1, v66
	s_mov_b32 s4, exec_lo
	s_delay_alu instid0(VALU_DEP_2) | instskip(NEXT) | instid1(VALU_DEP_2)
	v_lshlrev_b32_e32 v65, 1, v2
	v_cmpx_gt_u32_e32 5, v1
	s_cbranch_execz .LBB1234_10
; %bb.9:
	s_load_b64 s[6:7], s[0:1], 0x0
	v_add_lshl_u32 v2, v1, s31, 7
	s_waitcnt lgkmcnt(0)
	s_mul_hi_i32 s9, s5, s16
	s_mul_i32 s8, s5, s16
	v_lshlrev_b32_e32 v6, 10, v68
	s_lshl_b64 s[8:9], s[8:9], 1
	v_ashrrev_i32_e32 v3, 31, v2
	v_lshlrev_b32_e32 v1, 6, v1
	v_lshlrev_b32_e32 v7, 10, v67
	v_and_b32_e32 v6, 0x3800, v6
	s_delay_alu instid0(VALU_DEP_4) | instskip(NEXT) | instid1(VALU_DEP_2)
	v_lshlrev_b64 v[2:3], 1, v[2:3]
	v_or3_b32 v1, v6, v7, v1
	s_add_u32 s5, s6, s8
	s_addc_u32 s6, s7, s9
	s_delay_alu instid0(VALU_DEP_2) | instskip(NEXT) | instid1(VALU_DEP_3)
	v_add_co_u32 v2, vcc_lo, s5, v2
	v_add_co_ci_u32_e32 v3, vcc_lo, s6, v3, vcc_lo
	s_delay_alu instid0(VALU_DEP_2) | instskip(NEXT) | instid1(VALU_DEP_2)
	v_add_co_u32 v2, vcc_lo, v2, v65
	v_add_co_ci_u32_e32 v3, vcc_lo, 0, v3, vcc_lo
	global_load_b128 v[2:5], v[2:3], off
	s_waitcnt vmcnt(0)
	ds_store_b128 v1, v[2:5]
.LBB1234_10:
	s_or_b32 exec_lo, exec_lo, s4
	v_and_b32_e32 v1, 0xef, v0
	s_waitcnt lgkmcnt(0)
	s_add_i32 s5, s24, 15
	s_clause 0x1
	s_load_b32 s4, s[0:1], 0x38
	s_load_b32 s33, s[0:1], 0x98
	s_ashr_i32 s6, s5, 31
	v_add_nc_u32_e32 v1, s12, v1
	s_lshr_b32 s6, s6, 28
	s_load_b32 s19, s[0:1], 0x1c
	s_add_i32 s5, s5, s6
	s_waitcnt lgkmcnt(0)
	v_ashrrev_i32_e32 v2, 31, v1
	v_or_b32_e32 v3, 16, v1
	s_ashr_i32 s13, s5, 4
	v_cmp_gt_i32_e32 vcc_lo, s24, v1
	s_add_i32 s13, s13, -1
	v_lshrrev_b32_e32 v2, 28, v2
	s_barrier
	buffer_gl0_inv
	s_mul_i32 s15, s15, s18
	v_add_nc_u32_e32 v4, v1, v2
	s_mul_i32 s4, s34, s4
	s_delay_alu instid0(SALU_CYCLE_1) | instskip(NEXT) | instid1(VALU_DEP_1)
	s_ashr_i32 s5, s4, 31
	v_ashrrev_i32_e32 v4, 4, v4
	v_add_nc_u32_e32 v2, v3, v2
	s_lshl_b64 s[4:5], s[4:5], 2
	s_delay_alu instid0(SALU_CYCLE_1) | instskip(NEXT) | instid1(VALU_DEP_2)
	s_add_u32 s16, s2, s4
	v_cndmask_b32_e32 v1, s13, v4, vcc_lo
	s_delay_alu instid0(VALU_DEP_2)
	v_ashrrev_i32_e32 v2, 4, v2
	v_cmp_gt_i32_e32 vcc_lo, s24, v3
	s_addc_u32 s25, s3, s5
	s_ashr_i32 s18, s15, 31
	s_add_u32 s26, s20, s15
	s_addc_u32 s27, s21, s18
	v_cndmask_b32_e32 v3, s13, v2, vcc_lo
	v_ashrrev_i32_e32 v2, 31, v1
	s_lshl_b32 s2, s14, 4
	s_delay_alu instid0(SALU_CYCLE_1) | instskip(NEXT) | instid1(VALU_DEP_2)
	s_ashr_i32 s3, s2, 31
	v_ashrrev_i32_e32 v4, 31, v3
	s_delay_alu instid0(VALU_DEP_2) | instskip(SKIP_1) | instid1(SALU_CYCLE_1)
	v_lshlrev_b64 v[1:2], 2, v[1:2]
	s_lshl_b64 s[2:3], s[2:3], 2
	s_add_u32 s2, s16, s2
	s_delay_alu instid0(VALU_DEP_2) | instskip(SKIP_1) | instid1(VALU_DEP_2)
	v_lshlrev_b64 v[3:4], 2, v[3:4]
	s_addc_u32 s3, s25, s3
	v_add_co_u32 v1, vcc_lo, s16, v1
	v_add_co_ci_u32_e32 v2, vcc_lo, s25, v2, vcc_lo
	s_delay_alu instid0(VALU_DEP_3) | instskip(NEXT) | instid1(VALU_DEP_4)
	v_add_co_u32 v3, vcc_lo, s16, v3
	v_add_co_ci_u32_e32 v4, vcc_lo, s25, v4, vcc_lo
	s_clause 0x1
	global_load_b32 v5, v[1:2], off
	global_load_b32 v7, v[3:4], off
	s_or_b32 s4, s12, 32
	v_lshlrev_b32_e32 v1, 4, v0
	s_ashr_i32 s5, s4, 4
	s_cmp_lt_i32 s4, s24
	s_cselect_b32 s4, s5, s13
	s_delay_alu instid0(VALU_DEP_1) | instskip(SKIP_1) | instid1(SALU_CYCLE_1)
	v_and_b32_e32 v1, 0xf0, v1
	s_ashr_i32 s5, s4, 31
	s_lshl_b64 s[4:5], s[4:5], 2
	s_delay_alu instid0(SALU_CYCLE_1)
	s_add_u32 s4, s16, s4
	s_addc_u32 s5, s25, s5
	s_or_b32 s6, s12, 64
	v_add_co_u32 v1, s26, s26, v1
	s_ashr_i32 s7, s6, 4
	s_cmp_lt_i32 s6, s24
	v_add_co_ci_u32_e64 v2, null, s27, 0, s26
	s_cselect_b32 s6, s7, s13
	s_delay_alu instid0(SALU_CYCLE_1) | instskip(NEXT) | instid1(SALU_CYCLE_1)
	s_ashr_i32 s7, s6, 31
	s_lshl_b64 s[6:7], s[6:7], 2
	s_delay_alu instid0(SALU_CYCLE_1) | instskip(SKIP_2) | instid1(SALU_CYCLE_1)
	s_add_u32 s6, s16, s6
	s_addc_u32 s7, s25, s7
	s_or_b32 s8, s12, 0x60
	s_ashr_i32 s9, s8, 4
	s_cmp_lt_i32 s8, s24
	s_cselect_b32 s8, s9, s13
	s_delay_alu instid0(SALU_CYCLE_1) | instskip(NEXT) | instid1(SALU_CYCLE_1)
	s_ashr_i32 s9, s8, 31
	s_lshl_b64 s[8:9], s[8:9], 2
	s_delay_alu instid0(SALU_CYCLE_1) | instskip(SKIP_2) | instid1(SALU_CYCLE_1)
	s_add_u32 s8, s16, s8
	s_addc_u32 s9, s25, s9
	s_or_b32 s10, s12, 0x80
	s_ashr_i32 s11, s10, 4
	s_cmp_lt_i32 s10, s24
	s_cselect_b32 s10, s11, s13
	s_delay_alu instid0(SALU_CYCLE_1) | instskip(NEXT) | instid1(SALU_CYCLE_1)
	s_ashr_i32 s11, s10, 31
	s_lshl_b64 s[10:11], s[10:11], 2
	s_delay_alu instid0(SALU_CYCLE_1) | instskip(SKIP_2) | instid1(SALU_CYCLE_1)
	s_add_u32 s10, s16, s10
	s_addc_u32 s11, s25, s11
	s_or_b32 s20, s12, 0xa0
	s_ashr_i32 s21, s20, 4
	s_cmp_lt_i32 s20, s24
	s_cselect_b32 s20, s21, s13
	s_delay_alu instid0(SALU_CYCLE_1) | instskip(NEXT) | instid1(SALU_CYCLE_1)
	s_ashr_i32 s21, s20, 31
	s_lshl_b64 s[20:21], s[20:21], 2
	s_delay_alu instid0(SALU_CYCLE_1)
	s_add_u32 s20, s16, s20
	s_addc_u32 s21, s25, s21
	s_clause 0x5
	s_load_b32 s26, s[2:3], 0x0
	s_load_b32 s27, s[4:5], 0x0
	;; [unrolled: 1-line block ×6, first 2 shown]
	s_or_b32 s2, s12, 0xc0
	s_mov_b32 s4, 0
	s_ashr_i32 s3, s2, 4
	s_cmp_lt_i32 s2, s24
	s_mov_b32 s11, s4
	s_cselect_b32 s2, s3, s13
	s_mov_b32 s5, s4
	s_ashr_i32 s3, s2, 31
	s_mov_b32 s6, s4
	s_lshl_b64 s[2:3], s[2:3], 2
	s_mov_b32 s7, s4
	s_add_u32 s2, s16, s2
	s_addc_u32 s3, s25, s3
	s_or_b32 s20, s12, 0xe0
	s_mov_b32 s8, s4
	s_ashr_i32 s21, s20, 4
	s_cmp_lt_i32 s20, s24
	s_mov_b32 s9, s4
	s_cselect_b32 s20, s21, s13
	s_mov_b32 s10, s4
	s_ashr_i32 s21, s20, 31
	v_mov_b32_e32 v118, s11
	v_dual_mov_b32 v112, s5 :: v_dual_mov_b32 v117, s10
	v_dual_mov_b32 v116, s9 :: v_dual_mov_b32 v115, s8
	;; [unrolled: 1-line block ×3, first 2 shown]
	v_mov_b32_e32 v111, s4
	s_lshl_b64 s[4:5], s[20:21], 2
	s_delay_alu instid0(SALU_CYCLE_1)
	s_add_u32 s4, s16, s4
	s_addc_u32 s5, s25, s5
	s_add_u32 s6, s22, s15
	s_addc_u32 s7, s23, s18
	s_waitcnt vmcnt(1)
	v_mad_i64_i32 v[3:4], null, v5, s17, v[1:2]
	s_waitcnt vmcnt(0)
	v_mad_i64_i32 v[5:6], null, v7, s17, v[1:2]
	v_mul_lo_u16 v1, v68, 52
	v_lshlrev_b32_e32 v2, 4, v68
	s_clause 0xf
	global_load_b128 v[17:20], v[3:4], off
	global_load_b128 v[21:24], v[3:4], off offset:256
	global_load_b128 v[25:28], v[5:6], off
	global_load_b128 v[29:32], v[5:6], off offset:256
	global_load_b128 v[57:60], v[3:4], off offset:512
	;; [unrolled: 1-line block ×13, first 2 shown]
	v_lshrrev_b16 v1, 8, v1
	s_delay_alu instid0(VALU_DEP_1) | instskip(NEXT) | instid1(VALU_DEP_1)
	v_mul_lo_u16 v1, v1, 5
	v_sub_nc_u16 v1, v68, v1
	s_delay_alu instid0(VALU_DEP_1) | instskip(NEXT) | instid1(VALU_DEP_1)
	v_and_b32_e32 v1, 0xff, v1
	v_lshlrev_b32_e32 v149, 6, v1
	v_lshl_or_b32 v1, v69, 8, v2
	ds_load_b128 v[119:122], v149
	ds_load_b128 v[123:126], v149 offset:1024
	ds_load_b128 v[127:130], v149 offset:2048
	;; [unrolled: 1-line block ×3, first 2 shown]
	s_clause 0x1
	s_load_b32 s2, s[2:3], 0x0
	s_load_b32 s3, s[4:5], 0x0
	v_add_co_u32 v135, s6, s6, v1
	s_delay_alu instid0(VALU_DEP_1) | instskip(SKIP_1) | instid1(VALU_DEP_1)
	v_add_co_ci_u32_e64 v136, null, s7, 0, s6
	s_waitcnt lgkmcnt(0)
	v_mad_i64_i32 v[1:2], null, s26, s17, v[135:136]
	v_mad_i64_i32 v[3:4], null, s27, s17, v[135:136]
	;; [unrolled: 1-line block ×6, first 2 shown]
	s_clause 0x9
	global_load_b128 v[49:52], v[1:2], off
	global_load_b128 v[53:56], v[1:2], off offset:16
	global_load_b128 v[41:44], v[3:4], off
	global_load_b128 v[45:48], v[3:4], off offset:16
	global_load_b128 v[33:36], v[5:6], off
	global_load_b128 v[37:40], v[5:6], off offset:16
	global_load_b128 v[1:4], v[7:8], off
	global_load_b128 v[5:8], v[7:8], off offset:16
	global_load_b128 v[9:12], v[13:14], off
	global_load_b128 v[13:16], v[13:14], off offset:16
	v_mad_i64_i32 v[145:146], null, s2, s17, v[135:136]
	v_mad_i64_i32 v[147:148], null, s3, s17, v[135:136]
	s_waitcnt vmcnt(24)
	v_wmma_f32_16x16x16_f16 v[135:142], v[17:24], v[119:126], v[111:118]
	s_waitcnt vmcnt(22)
	v_wmma_f32_16x16x16_f16 v[111:118], v[25:32], v[119:126], v[111:118]
	s_clause 0x3
	global_load_b128 v[17:20], v[143:144], off
	global_load_b128 v[21:24], v[143:144], off offset:16
	global_load_b128 v[25:28], v[145:146], off
	global_load_b128 v[29:32], v[145:146], off offset:16
	v_and_b32_e32 v119, 0xe0, v0
	s_waitcnt vmcnt(24)
	v_wmma_f32_16x16x16_f16 v[135:142], v[57:64], v[127:134], v[135:142]
	s_clause 0x1
	global_load_b128 v[57:60], v[147:148], off
	global_load_b128 v[61:64], v[147:148], off offset:16
	s_waitcnt vmcnt(24)
	v_wmma_f32_16x16x16_f16 v[111:118], v[71:78], v[127:134], v[111:118]
	ds_load_b128 v[71:74], v149 offset:4096
	ds_load_b128 v[75:78], v149 offset:5120
	v_add_nc_u32_e32 v128, s12, v119
	ds_load_b128 v[119:122], v149 offset:6144
	ds_load_b128 v[123:126], v149 offset:7168
	v_mbcnt_lo_u32_b32 v127, -1, 0
	s_waitcnt vmcnt(0) lgkmcnt(0)
	s_barrier
	v_or_b32_e32 v128, v128, v66
	buffer_gl0_inv
	v_xor_b32_e32 v129, 16, v127
	v_or_b32_e32 v130, 4, v128
	v_or_b32_e32 v131, 6, v128
	s_delay_alu instid0(VALU_DEP_3) | instskip(SKIP_4) | instid1(VALU_DEP_4)
	v_cmp_gt_i32_e32 vcc_lo, 32, v129
	v_or_b32_e32 v132, 8, v128
	v_or_b32_e32 v133, 10, v128
	v_cmp_gt_i32_e64 s3, s24, v130
	v_cmp_gt_i32_e64 s4, s24, v131
	;; [unrolled: 1-line block ×3, first 2 shown]
	v_wmma_f32_16x16x16_f16 v[135:142], v[79:86], v[71:78], v[135:142]
	v_wmma_f32_16x16x16_f16 v[111:118], v[87:94], v[71:78], v[111:118]
	v_or_b32_e32 v79, 12, v128
	v_or_b32_e32 v80, 14, v128
	v_cmp_gt_i32_e64 s6, s24, v133
	v_wmma_f32_16x16x16_f16 v[135:142], v[95:102], v[119:126], v[135:142]
	v_wmma_f32_16x16x16_f16 v[111:118], v[103:110], v[119:126], v[111:118]
	v_cndmask_b32_e32 v127, v127, v129, vcc_lo
	v_or_b32_e32 v129, 2, v128
	v_cmp_gt_i32_e32 vcc_lo, s24, v128
	s_delay_alu instid0(VALU_DEP_4) | instskip(SKIP_1) | instid1(VALU_DEP_4)
	v_dual_mul_f32 v87, s19, v136 :: v_dual_mul_f32 v94, s19, v113
	v_mul_f32_e32 v88, s19, v135
	v_cmp_gt_i32_e64 s2, s24, v129
	v_mul_f32_e32 v78, s19, v138
	v_mul_f32_e32 v86, s19, v137
	;; [unrolled: 1-line block ×3, first 2 shown]
	v_cndmask_b32_e32 v88, 0xff7fffff, v88, vcc_lo
	v_cndmask_b32_e64 v87, 0xff7fffff, v87, s2
	v_dual_mul_f32 v77, s19, v139 :: v_dual_mul_f32 v90, s19, v117
	v_cndmask_b32_e64 v86, 0xff7fffff, v86, s3
	v_cndmask_b32_e64 v78, 0xff7fffff, v78, s4
	s_delay_alu instid0(VALU_DEP_4)
	v_max3_f32 v87, v88, 0xff7fffff, v87
	v_or_b32_e32 v81, 16, v128
	v_or_b32_e32 v82, 18, v128
	v_dual_mul_f32 v74, s19, v142 :: v_dual_mul_f32 v75, s19, v141
	v_mul_f32_e32 v96, s19, v111
	v_cndmask_b32_e64 v77, 0xff7fffff, v77, s5
	v_cndmask_b32_e64 v76, 0xff7fffff, v76, s6
	v_max3_f32 v78, v87, v86, v78
	v_cmp_gt_i32_e64 s7, s24, v79
	v_cmp_gt_i32_e64 s8, s24, v80
	v_or_b32_e32 v83, 20, v128
	v_or_b32_e32 v84, 22, v128
	v_mul_f32_e32 v95, s19, v112
	v_cndmask_b32_e64 v75, 0xff7fffff, v75, s7
	v_cndmask_b32_e64 v74, 0xff7fffff, v74, s8
	v_max3_f32 v76, v78, v77, v76
	v_cmp_gt_i32_e64 s9, s24, v81
	v_cmp_gt_i32_e64 s10, s24, v82
	v_or_b32_e32 v85, 24, v128
	v_or_b32_e32 v71, 26, v128
	v_mul_f32_e32 v93, s19, v114
	v_cndmask_b32_e64 v77, 0xff7fffff, v96, s9
	v_cndmask_b32_e64 v78, 0xff7fffff, v95, s10
	v_max3_f32 v74, v76, v75, v74
	v_cmp_gt_i32_e64 s11, s24, v83
	v_cmp_gt_i32_e64 s12, s24, v84
	v_or_b32_e32 v72, 28, v128
	v_or_b32_e32 v73, 30, v128
	v_dual_mul_f32 v91, s19, v116 :: v_dual_mul_f32 v92, s19, v115
	v_cndmask_b32_e64 v75, 0xff7fffff, v94, s11
	v_cndmask_b32_e64 v76, 0xff7fffff, v93, s12
	v_max3_f32 v74, v74, v77, v78
	v_cmp_gt_i32_e64 s13, s24, v85
	v_cmp_gt_i32_e64 s15, s24, v71
	v_mul_f32_e32 v89, s19, v118
	v_cmp_gt_i32_e64 s16, s24, v72
	v_max3_f32 v74, v74, v75, v76
	v_cndmask_b32_e64 v77, 0xff7fffff, v92, s13
	v_cndmask_b32_e64 v71, 0xff7fffff, v91, s15
	v_cmp_gt_i32_e64 s17, s24, v73
	v_cndmask_b32_e64 v72, 0xff7fffff, v90, s16
	s_delay_alu instid0(VALU_DEP_3) | instskip(SKIP_1) | instid1(VALU_DEP_4)
	v_max3_f32 v71, v74, v77, v71
	v_lshlrev_b32_e32 v74, 2, v127
	v_cndmask_b32_e64 v73, 0xff7fffff, v89, s17
	s_delay_alu instid0(VALU_DEP_1) | instskip(SKIP_3) | instid1(VALU_DEP_1)
	v_max3_f32 v71, v71, v72, v73
	ds_bpermute_b32 v72, v74, v71
	s_waitcnt lgkmcnt(0)
	v_max_f32_e32 v72, v72, v72
	v_max_f32_e32 v71, v71, v72
	s_delay_alu instid0(VALU_DEP_1) | instskip(SKIP_4) | instid1(VALU_DEP_4)
	v_fma_f32 v72, s19, v135, -v71
	v_fma_f32 v73, s19, v136, -v71
	;; [unrolled: 1-line block ×5, first 2 shown]
	v_dual_mul_f32 v72, 0x3fb8aa3b, v72 :: v_dual_mul_f32 v73, 0x3fb8aa3b, v73
	s_delay_alu instid0(VALU_DEP_3) | instskip(SKIP_1) | instid1(VALU_DEP_3)
	v_dual_mul_f32 v75, 0x3fb8aa3b, v75 :: v_dual_mul_f32 v76, 0x3fb8aa3b, v76
	v_fma_f32 v80, s19, v141, -v71
	v_exp_f32_e32 v72, v72
	s_delay_alu instid0(VALU_DEP_3) | instskip(NEXT) | instid1(VALU_DEP_2)
	v_exp_f32_e32 v73, v73
	v_exp_f32_e32 v75, v75
	;; [unrolled: 1-line block ×3, first 2 shown]
	v_mul_f32_e32 v82, 0x3fb8aa3b, v80
	s_delay_alu instid0(VALU_DEP_1) | instskip(SKIP_4) | instid1(TRANS32_DEP_3)
	v_exp_f32_e32 v84, v82
	v_cndmask_b32_e32 v79, 0, v72, vcc_lo
	v_fma_f32 v72, s19, v140, -v71
	v_mul_f32_e32 v77, 0x3fb8aa3b, v77
	v_cndmask_b32_e64 v78, 0, v73, s2
	v_cndmask_b32_e64 v81, 0, v75, s3
	s_delay_alu instid0(VALU_DEP_4) | instskip(NEXT) | instid1(VALU_DEP_4)
	v_dual_add_f32 v73, 0, v79 :: v_dual_mul_f32 v72, 0x3fb8aa3b, v72
	v_exp_f32_e32 v77, v77
	v_cndmask_b32_e64 v80, 0, v76, s4
	s_delay_alu instid0(TRANS32_DEP_2) | instskip(NEXT) | instid1(VALU_DEP_3)
	v_cndmask_b32_e64 v85, 0, v84, s7
	v_add_f32_e32 v73, v73, v78
	v_exp_f32_e32 v72, v72
	v_cmp_gt_u32_e64 s2, 16, v70
	s_delay_alu instid0(VALU_DEP_2) | instskip(NEXT) | instid1(TRANS32_DEP_2)
	v_add_f32_e32 v73, v73, v81
	v_cndmask_b32_e64 v83, 0, v77, s5
	s_delay_alu instid0(VALU_DEP_2) | instskip(SKIP_3) | instid1(VALU_DEP_1)
	v_add_f32_e32 v73, v73, v80
	s_waitcnt_depctr 0xfff
	v_cndmask_b32_e64 v82, 0, v72, s6
	v_add_f32_e32 v72, v73, v83
	v_add_f32_e32 v72, v72, v82
	s_delay_alu instid0(VALU_DEP_1)
	v_add_f32_e32 v72, v72, v85
	v_fma_f32 v76, s19, v111, -v71
	v_fma_f32 v75, s19, v142, -v71
	;; [unrolled: 1-line block ×5, first 2 shown]
	s_delay_alu instid0(VALU_DEP_4) | instskip(NEXT) | instid1(VALU_DEP_3)
	v_dual_mul_f32 v76, 0x3fb8aa3b, v76 :: v_dual_mul_f32 v75, 0x3fb8aa3b, v75
	v_mul_f32_e32 v86, 0x3fb8aa3b, v86
	s_delay_alu instid0(VALU_DEP_2) | instskip(NEXT) | instid1(VALU_DEP_2)
	v_exp_f32_e32 v76, v76
	v_exp_f32_e32 v75, v75
	s_delay_alu instid0(VALU_DEP_1) | instskip(NEXT) | instid1(TRANS32_DEP_3)
	v_exp_f32_e32 v88, v86
	v_cndmask_b32_e64 v87, 0, v76, s9
	v_fma_f32 v76, s19, v116, -v71
	v_mul_f32_e32 v77, 0x3fb8aa3b, v77
	s_waitcnt_depctr 0xfff
	v_cndmask_b32_e64 v84, 0, v75, s8
	v_fma_f32 v75, s19, v115, -v71
	v_cndmask_b32_e64 v88, 0, v88, s12
	v_mul_f32_e32 v76, 0x3fb8aa3b, v76
	v_exp_f32_e32 v77, v77
	v_add_f32_e32 v72, v72, v84
	s_delay_alu instid0(VALU_DEP_2) | instskip(NEXT) | instid1(VALU_DEP_1)
	v_exp_f32_e32 v76, v76
	v_add_f32_e32 v72, v72, v87
	s_waitcnt_depctr 0xfff
	v_cndmask_b32_e64 v86, 0, v77, s10
	v_mul_f32_e32 v73, 0x3fb8aa3b, v73
	v_fma_f32 v77, s19, v117, -v71
	v_cndmask_b32_e64 v90, 0, v76, s15
	s_delay_alu instid0(VALU_DEP_4) | instskip(NEXT) | instid1(VALU_DEP_4)
	v_add_f32_e32 v72, v72, v86
	v_exp_f32_e32 v73, v73
	s_waitcnt_depctr 0xfff
	v_cndmask_b32_e64 v89, 0, v73, s11
	s_delay_alu instid0(VALU_DEP_1) | instskip(NEXT) | instid1(VALU_DEP_1)
	v_dual_mul_f32 v75, 0x3fb8aa3b, v75 :: v_dual_add_f32 v72, v72, v89
	v_exp_f32_e32 v75, v75
	v_mul_f32_e32 v73, 0x3fb8aa3b, v77
	v_fma_f32 v77, s19, v118, -v71
	s_delay_alu instid0(VALU_DEP_3) | instskip(NEXT) | instid1(VALU_DEP_3)
	v_add_f32_e32 v72, v72, v88
	v_exp_f32_e32 v73, v73
	s_waitcnt_depctr 0xfff
	v_cndmask_b32_e64 v91, 0, v75, s13
	s_delay_alu instid0(VALU_DEP_1) | instskip(NEXT) | instid1(VALU_DEP_1)
	v_dual_mul_f32 v75, 0x3fb8aa3b, v77 :: v_dual_add_f32 v72, v72, v91
	v_exp_f32_e32 v75, v75
	v_cndmask_b32_e64 v93, 0, v73, s16
	s_delay_alu instid0(VALU_DEP_2) | instskip(NEXT) | instid1(VALU_DEP_1)
	v_add_f32_e32 v72, v72, v90
	v_add_f32_e32 v72, v72, v93
	s_waitcnt_depctr 0xfff
	v_cndmask_b32_e64 v92, 0, v75, s17
	s_delay_alu instid0(VALU_DEP_1)
	v_add_f32_e32 v72, v72, v92
	ds_bpermute_b32 v73, v74, v72
	s_and_saveexec_b32 s3, s2
	s_cbranch_execz .LBB1234_12
; %bb.11:
	v_mul_u32_u24_e32 v70, 0x44, v69
	s_waitcnt lgkmcnt(0)
	v_add_f32_e32 v72, v72, v73
	s_delay_alu instid0(VALU_DEP_2) | instskip(NEXT) | instid1(VALU_DEP_1)
	v_lshl_add_u32 v70, v68, 2, v70
	v_add_nc_u32_e32 v70, 0x4000, v70
	ds_store_2addr_b32 v70, v71, v72 offset1:136
.LBB1234_12:
	s_or_b32 exec_lo, exec_lo, s3
	v_lshlrev_b32_e32 v70, 2, v68
	s_load_b32 s35, s[0:1], 0x94
	s_waitcnt lgkmcnt(0)
	s_barrier
	buffer_gl0_inv
	v_add_nc_u32_e32 v98, 0x4000, v70
	v_cmp_eq_u32_e32 vcc_lo, 1, v69
	v_cmp_eq_u32_e64 s3, 2, v69
	v_cmp_eq_u32_e64 s4, 3, v69
	;; [unrolled: 1-line block ×3, first 2 shown]
	ds_load_2addr_b32 v[70:71], v98 offset1:17
	ds_load_2addr_b32 v[72:73], v98 offset0:34 offset1:51
	ds_load_2addr_b32 v[74:75], v98 offset0:68 offset1:85
	;; [unrolled: 1-line block ×3, first 2 shown]
	v_cmp_eq_u32_e64 s6, 5, v69
	v_cmp_eq_u32_e64 s7, 7, v69
	s_waitcnt lgkmcnt(3)
	v_max3_f32 v76, v70, 0xff7fffff, v71
	s_waitcnt lgkmcnt(2)
	s_delay_alu instid0(VALU_DEP_1) | instskip(SKIP_1) | instid1(VALU_DEP_1)
	v_max3_f32 v76, v76, v72, v73
	s_waitcnt lgkmcnt(1)
	v_max3_f32 v76, v76, v74, v75
	s_waitcnt lgkmcnt(0)
	s_delay_alu instid0(VALU_DEP_1) | instskip(NEXT) | instid1(VALU_DEP_1)
	v_max3_f32 v76, v76, v94, v95
	v_sub_f32_e32 v77, v71, v76
	ds_load_2addr_b32 v[96:97], v98 offset0:136 offset1:153
	v_sub_f32_e32 v74, v74, v76
	v_sub_f32_e32 v70, v70, v76
	;; [unrolled: 1-line block ×3, first 2 shown]
	v_dual_sub_f32 v72, v72, v76 :: v_dual_mul_f32 v77, 0x3fb8aa3b, v77
	s_delay_alu instid0(VALU_DEP_4) | instskip(NEXT) | instid1(VALU_DEP_4)
	v_mul_f32_e32 v103, 0x3fb8aa3b, v74
	v_mul_f32_e32 v99, 0x3fb8aa3b, v70
	ds_load_2addr_b32 v[70:71], v98 offset0:170 offset1:187
	v_dual_mul_f32 v101, 0x3fb8aa3b, v72 :: v_dual_mul_f32 v94, 0x3fb8aa3b, v94
	v_exp_f32_e32 v102, v77
	v_exp_f32_e32 v99, v99
	s_delay_alu instid0(VALU_DEP_1) | instskip(NEXT) | instid1(VALU_DEP_1)
	v_exp_f32_e32 v101, v101
	v_exp_f32_e32 v94, v94
	s_waitcnt lgkmcnt(1)
	s_delay_alu instid0(TRANS32_DEP_3)
	v_fma_f32 v77, v99, v96, 0
	v_sub_f32_e32 v100, v73, v76
	ds_load_2addr_b32 v[72:73], v98 offset0:204 offset1:221
	v_fmac_f32_e32 v77, v102, v97
	v_exp_f32_e32 v97, v103
	s_waitcnt lgkmcnt(1)
	s_delay_alu instid0(VALU_DEP_1)
	v_dual_fmac_f32 v77, v101, v70 :: v_dual_sub_f32 v96, v75, v76
	ds_load_2addr_b32 v[74:75], v98 offset0:238 offset1:255
	v_sub_f32_e32 v70, v95, v76
	s_waitcnt lgkmcnt(0)
	s_barrier
	v_mul_f32_e32 v96, 0x3fb8aa3b, v96
	buffer_gl0_inv
	v_exp_f32_e32 v95, v96
	v_mul_f32_e32 v100, 0x3fb8aa3b, v100
	s_delay_alu instid0(VALU_DEP_1) | instskip(SKIP_3) | instid1(VALU_DEP_2)
	v_exp_f32_e32 v100, v100
	s_waitcnt_depctr 0xfff
	v_dual_fmac_f32 v77, v100, v71 :: v_dual_mul_f32 v70, 0x3fb8aa3b, v70
	v_cndmask_b32_e32 v71, v99, v102, vcc_lo
	v_fmac_f32_e32 v77, v97, v72
	s_delay_alu instid0(VALU_DEP_3) | instskip(NEXT) | instid1(VALU_DEP_1)
	v_exp_f32_e32 v96, v70
	v_fmac_f32_e32 v77, v95, v73
	s_delay_alu instid0(VALU_DEP_1) | instskip(SKIP_2) | instid1(VALU_DEP_1)
	v_fmac_f32_e32 v77, v94, v74
	s_waitcnt_depctr 0xfff
	v_fmac_f32_e32 v77, v96, v75
	v_add_f32_e32 v74, 0x358637bd, v77
	s_delay_alu instid0(VALU_DEP_1) | instskip(SKIP_1) | instid1(VALU_DEP_2)
	v_div_scale_f32 v98, null, v74, v74, 1.0
	v_div_scale_f32 v99, vcc_lo, 1.0, v74, 1.0
	v_rcp_f32_e32 v103, v98
	s_waitcnt_depctr 0xfff
	v_fma_f32 v70, -v98, v103, 1.0
	s_delay_alu instid0(VALU_DEP_1) | instskip(SKIP_2) | instid1(VALU_DEP_2)
	v_fmac_f32_e32 v103, v70, v103
	v_cndmask_b32_e64 v70, v71, v101, s3
	v_cmp_eq_u32_e64 s3, 6, v69
	v_cndmask_b32_e64 v71, v70, v100, s4
	s_delay_alu instid0(VALU_DEP_4) | instskip(NEXT) | instid1(VALU_DEP_2)
	v_dual_mul_f32 v101, v99, v103 :: v_dual_lshlrev_b32 v70, 2, v66
	v_cndmask_b32_e64 v71, v71, v97, s5
	s_delay_alu instid0(VALU_DEP_2) | instskip(NEXT) | instid1(VALU_DEP_3)
	v_or_b32_e32 v72, 1, v70
	v_fma_f32 v100, -v98, v101, v99
	v_cmp_eq_u32_e64 s4, 1, v70
	v_cmp_eq_u32_e64 s5, 2, v70
	v_cndmask_b32_e64 v95, v71, v95, s6
	v_or_b32_e32 v71, 3, v70
	v_fmac_f32_e32 v101, v100, v103
	v_cmp_eq_u32_e64 s9, 1, v72
	v_cmp_eq_u32_e64 s12, 2, v72
	v_cndmask_b32_e64 v94, v95, v94, s3
	v_cmp_eq_u32_e64 s11, 1, v71
	v_fma_f32 v97, -v98, v101, v99
	v_cmp_eq_u32_e64 s16, 2, v71
	v_cmp_eq_u32_e64 s13, 3, v72
	v_cndmask_b32_e64 v94, v94, v96, s7
	v_cmp_eq_u32_e64 s18, 3, v71
	v_div_fmas_f32 v95, v97, v103, v101
	v_cmp_eq_u32_e32 vcc_lo, 3, v70
	v_cmp_eq_u32_e64 s3, 4, v70
	v_cmp_eq_u32_e64 s19, 4, v72
	;; [unrolled: 1-line block ×3, first 2 shown]
	v_div_fixup_f32 v95, v95, v74, 1.0
	v_lshlrev_b32_e32 v73, 6, v68
	v_cmp_eq_u32_e64 s6, 5, v70
	v_cmp_eq_u32_e64 s20, 5, v72
	;; [unrolled: 1-line block ×3, first 2 shown]
	v_mul_f32_e32 v102, v94, v95
	v_lshl_or_b32 v75, v69, 11, v73
	v_or_b32_e32 v69, 2, v70
	v_cmp_eq_u32_e64 s25, 6, v72
	v_cmp_eq_u32_e64 s27, 6, v71
	v_fma_mixlo_f16 v94, v102, v79, 0
	v_fma_mixlo_f16 v95, v102, v81, 0
	;; [unrolled: 1-line block ×8, first 2 shown]
	v_lshl_or_b32 v74, v66, 4, v75
	v_fma_mixhi_f16 v94, v102, v78, 0
	v_fma_mixhi_f16 v95, v102, v80, 0
	;; [unrolled: 1-line block ×8, first 2 shown]
	ds_store_b128 v74, v[94:97]
	ds_store_b128 v74, v[98:101] offset:1024
	s_waitcnt lgkmcnt(0)
	s_barrier
	buffer_gl0_inv
	ds_load_b128 v[78:81], v75
	ds_load_b128 v[82:85], v75 offset:16
	ds_load_b128 v[86:89], v75 offset:1024
	;; [unrolled: 1-line block ×3, first 2 shown]
	v_cmp_eq_u32_e64 s10, 1, v69
	v_cmp_eq_u32_e64 s15, 2, v69
	;; [unrolled: 1-line block ×11, first 2 shown]
	s_waitcnt lgkmcnt(3)
	v_lshrrev_b32_e32 v94, 16, v78
	s_waitcnt lgkmcnt(2)
	v_lshrrev_b32_e32 v98, 16, v82
	;; [unrolled: 2-line block ×4, first 2 shown]
	v_lshrrev_b32_e32 v95, 16, v79
	v_cndmask_b32_e64 v110, v78, v94, s4
	v_cndmask_b32_e64 v111, v82, v98, s4
	;; [unrolled: 1-line block ×8, first 2 shown]
	v_lshrrev_b32_e32 v99, 16, v83
	v_cndmask_b32_e64 v94, v86, v102, s4
	v_cndmask_b32_e64 v98, v90, v106, s4
	;; [unrolled: 1-line block ×15, first 2 shown]
	v_lshrrev_b32_e32 v103, 16, v87
	v_lshrrev_b32_e32 v107, 16, v91
	v_cndmask_b32_e64 v113, v115, v83, s15
	v_cndmask_b32_e64 v82, v94, v87, s5
	;; [unrolled: 1-line block ×7, first 2 shown]
	v_cndmask_b32_e32 v90, v102, v95, vcc_lo
	v_cndmask_b32_e32 v102, v106, v99, vcc_lo
	v_cndmask_b32_e64 v106, v110, v95, s13
	v_cndmask_b32_e64 v110, v111, v99, s13
	;; [unrolled: 1-line block ×4, first 2 shown]
	v_lshrrev_b32_e32 v96, 16, v80
	v_lshrrev_b32_e32 v100, 16, v84
	v_cndmask_b32_e64 v111, v112, v95, s17
	v_cndmask_b32_e64 v112, v113, v99, s17
	v_cndmask_b32_e32 v82, v82, v103, vcc_lo
	v_cndmask_b32_e32 v83, v83, v107, vcc_lo
	v_cndmask_b32_e64 v94, v94, v103, s13
	v_cndmask_b32_e64 v90, v90, v80, s3
	;; [unrolled: 1-line block ×7, first 2 shown]
	v_lshrrev_b32_e32 v104, 16, v88
	v_cndmask_b32_e64 v106, v111, v80, s21
	v_cndmask_b32_e64 v110, v112, v84, s21
	;; [unrolled: 1-line block ×11, first 2 shown]
	v_lshrrev_b32_e32 v97, 16, v81
	v_lshrrev_b32_e32 v101, 16, v85
	v_cndmask_b32_e64 v99, v106, v96, s23
	v_cndmask_b32_e64 v102, v110, v100, s23
	v_cndmask_b32_e64 v83, v83, v104, s20
	v_cndmask_b32_e64 v94, v94, v81, s25
	v_cndmask_b32_e64 v95, v95, v85, s25
	v_cndmask_b32_e64 v78, v78, v81, s27
	v_cndmask_b32_e64 v79, v79, v85, s27
	v_lshrrev_b32_e32 v105, 16, v89
	v_cndmask_b32_e64 v80, v80, v104, s6
	v_cndmask_b32_e64 v84, v84, v81, s7
	;; [unrolled: 1-line block ×16, first 2 shown]
	v_perm_b32 v81, v79, v78, 0x5040100
	v_perm_b32 v79, v95, v85, 0x5040100
	v_cndmask_b32_e64 v78, v119, v91, s15
	v_cndmask_b32_e64 v85, v117, v91, s12
	;; [unrolled: 1-line block ×3, first 2 shown]
	v_perm_b32 v80, v94, v90, 0x5040100
	v_cndmask_b32_e64 v90, v98, v103, s17
	v_cndmask_b32_e64 v86, v86, v103, s18
	;; [unrolled: 1-line block ×5, first 2 shown]
	v_lshrrev_b32_e32 v108, 16, v92
	v_cndmask_b32_e64 v90, v90, v88, s21
	v_cndmask_b32_e64 v86, v86, v88, s22
	;; [unrolled: 1-line block ×11, first 2 shown]
	v_lshrrev_b32_e32 v109, 16, v93
	v_cndmask_b32_e64 v82, v82, v93, s7
	v_cndmask_b32_e64 v88, v88, v89, s26
	;; [unrolled: 1-line block ×12, first 2 shown]
	v_perm_b32 v78, v84, v83, 0x5040100
	v_perm_b32 v85, v87, v86, 0x5040100
	;; [unrolled: 1-line block ×5, first 2 shown]
	s_mul_i32 s8, s33, 5
	s_mov_b32 s3, exec_lo
	ds_store_b128 v74, v[78:81]
	ds_store_b128 v74, v[82:85] offset:1024
	v_cmpx_gt_u32_e32 5, v0
	s_cbranch_execz .LBB1234_14
; %bb.13:
	s_mul_i32 s4, s8, s34
	s_delay_alu instid0(SALU_CYCLE_1) | instskip(SKIP_1) | instid1(VALU_DEP_1)
	v_add3_u32 v68, s4, s31, v68
	s_load_b128 s[4:7], s[0:1], 0x58
	v_mad_u64_u32 v[78:79], null, v68, s35, s[14:15]
	s_delay_alu instid0(VALU_DEP_1) | instskip(NEXT) | instid1(VALU_DEP_1)
	v_ashrrev_i32_e32 v79, 31, v78
	v_lshlrev_b64 v[78:79], 2, v[78:79]
	s_waitcnt lgkmcnt(0)
	s_delay_alu instid0(VALU_DEP_1) | instskip(NEXT) | instid1(VALU_DEP_2)
	v_add_co_u32 v80, vcc_lo, s6, v78
	v_add_co_ci_u32_e32 v81, vcc_lo, s7, v79, vcc_lo
	v_add_co_u32 v78, vcc_lo, s4, v78
	v_add_co_ci_u32_e32 v79, vcc_lo, s5, v79, vcc_lo
	global_store_b32 v[80:81], v76, off
	global_store_b32 v[78:79], v77, off
.LBB1234_14:
	s_or_b32 exec_lo, exec_lo, s3
	s_waitcnt lgkmcnt(0)
	s_waitcnt_vscnt null, 0x0
	s_barrier
	buffer_gl0_inv
	ds_load_b128 v[84:87], v73
	ds_load_b128 v[88:91], v73 offset:16
	ds_load_b128 v[96:99], v73 offset:2064
	;; [unrolled: 1-line block ×5, first 2 shown]
	v_cmp_eq_u32_e32 vcc_lo, 1, v70
	v_mov_b32_e32 v76, 0
	ds_load_b128 v[112:115], v73 offset:6160
	ds_load_b128 v[108:111], v73 offset:6144
	;; [unrolled: 1-line block ×4, first 2 shown]
	v_cmp_eq_u32_e64 s4, 1, v69
	v_cmp_eq_u32_e64 s3, 1, v72
	;; [unrolled: 1-line block ×3, first 2 shown]
	v_mov_b32_e32 v77, v76
	v_mov_b32_e32 v78, v76
	;; [unrolled: 1-line block ×7, first 2 shown]
	v_cmp_eq_u32_e64 s6, 3, v72
	v_cmp_eq_u32_e64 s7, 7, v72
	s_waitcnt lgkmcnt(8)
	s_delay_alu instid0(VALU_DEP_3)
	v_wmma_f32_16x16x16_f16 v[76:83], v[49:56], v[84:91], v[76:83]
	ds_load_b128 v[53:56], v73 offset:10256
	ds_load_b128 v[49:52], v73 offset:10240
	s_waitcnt lgkmcnt(8)
	v_wmma_f32_16x16x16_f16 v[76:83], v[41:48], v[92:99], v[76:83]
	ds_load_b128 v[45:48], v73 offset:12304
	ds_load_b128 v[41:44], v73 offset:12288
	s_waitcnt lgkmcnt(8)
	v_wmma_f32_16x16x16_f16 v[76:83], v[33:40], v[100:107], v[76:83]
	ds_load_b128 v[37:40], v73 offset:14352
	ds_load_b128 v[33:36], v73 offset:14336
	s_waitcnt lgkmcnt(0)
	s_barrier
	buffer_gl0_inv
	v_wmma_f32_16x16x16_f16 v[76:83], v[1:8], v[108:115], v[76:83]
	s_delay_alu instid0(VALU_DEP_1) | instskip(NEXT) | instid1(VALU_DEP_1)
	v_wmma_f32_16x16x16_f16 v[76:83], v[9:16], v[116:123], v[76:83]
	v_wmma_f32_16x16x16_f16 v[76:83], v[17:24], v[49:56], v[76:83]
	s_delay_alu instid0(VALU_DEP_1) | instskip(NEXT) | instid1(VALU_DEP_1)
	v_wmma_f32_16x16x16_f16 v[76:83], v[25:32], v[41:48], v[76:83]
	v_wmma_f32_16x16x16_f16 v[76:83], v[57:64], v[33:40], v[76:83]
	s_delay_alu instid0(VALU_DEP_1) | instskip(NEXT) | instid1(VALU_DEP_2)
	v_cvt_f16_f32_e32 v1, v76
	v_cvt_f16_f32_e32 v2, v77
	s_delay_alu instid0(VALU_DEP_3) | instskip(NEXT) | instid1(VALU_DEP_4)
	v_cvt_f16_f32_e32 v3, v78
	v_cvt_f16_f32_e32 v4, v79
	;; [unrolled: 1-line block ×6, first 2 shown]
	v_pack_b32_f16 v1, v1, v2
	v_pack_b32_f16 v2, v3, v4
	;; [unrolled: 1-line block ×3, first 2 shown]
	s_delay_alu instid0(VALU_DEP_4)
	v_pack_b32_f16 v4, v7, v8
	ds_store_b128 v74, v[1:4]
	s_waitcnt lgkmcnt(0)
	s_barrier
	buffer_gl0_inv
	ds_load_b128 v[1:4], v75
	ds_load_b128 v[5:8], v75 offset:16
	s_waitcnt lgkmcnt(1)
	v_lshrrev_b32_e32 v9, 16, v1
	s_waitcnt lgkmcnt(0)
	v_lshrrev_b32_e32 v13, 16, v5
	v_lshrrev_b32_e32 v10, 16, v2
	;; [unrolled: 1-line block ×4, first 2 shown]
	v_cndmask_b32_e32 v17, v1, v9, vcc_lo
	v_cndmask_b32_e32 v18, v5, v13, vcc_lo
	v_cndmask_b32_e64 v21, v1, v9, s4
	v_cmp_eq_u32_e32 vcc_lo, 1, v71
	v_cndmask_b32_e64 v22, v5, v13, s4
	v_cmp_eq_u32_e64 s4, 2, v70
	v_cndmask_b32_e64 v19, v1, v9, s3
	v_cndmask_b32_e64 v20, v5, v13, s3
	v_cndmask_b32_e32 v1, v1, v9, vcc_lo
	v_cmp_eq_u32_e64 s3, 2, v71
	v_cndmask_b32_e32 v5, v5, v13, vcc_lo
	v_cndmask_b32_e64 v9, v17, v2, s4
	v_cmp_eq_u32_e32 vcc_lo, 3, v70
	v_cndmask_b32_e64 v13, v18, v6, s4
	v_cmp_eq_u32_e64 s4, 2, v69
	v_cndmask_b32_e64 v17, v19, v2, s5
	v_cndmask_b32_e64 v18, v20, v6, s5
	v_cmp_eq_u32_e64 s5, 3, v69
	v_cndmask_b32_e64 v1, v1, v2, s3
	v_cndmask_b32_e64 v19, v21, v2, s4
	;; [unrolled: 1-line block ×4, first 2 shown]
	v_cndmask_b32_e32 v5, v9, v10, vcc_lo
	v_cndmask_b32_e32 v6, v13, v14, vcc_lo
	v_cmp_eq_u32_e32 vcc_lo, 3, v71
	v_cndmask_b32_e64 v9, v17, v10, s6
	v_cndmask_b32_e64 v13, v18, v14, s6
	;; [unrolled: 1-line block ×3, first 2 shown]
	v_cmp_eq_u32_e64 s4, 4, v70
	v_cndmask_b32_e32 v1, v1, v10, vcc_lo
	v_cndmask_b32_e32 v2, v2, v14, vcc_lo
	v_cmp_eq_u32_e32 vcc_lo, 4, v72
	v_lshrrev_b32_e32 v15, 16, v7
	v_lshrrev_b32_e32 v16, 16, v8
	v_cndmask_b32_e64 v17, v19, v10, s5
	v_cmp_eq_u32_e64 s3, 4, v71
	v_cndmask_b32_e64 v5, v5, v3, s4
	v_cndmask_b32_e64 v6, v6, v7, s4
	v_cndmask_b32_e32 v9, v9, v3, vcc_lo
	v_cmp_eq_u32_e64 s4, 5, v72
	v_cndmask_b32_e32 v10, v13, v7, vcc_lo
	v_cmp_eq_u32_e32 vcc_lo, 4, v69
	v_cmp_eq_u32_e64 s5, 5, v70
	v_cndmask_b32_e64 v2, v2, v7, s3
	v_cndmask_b32_e64 v9, v9, v11, s4
	;; [unrolled: 1-line block ×3, first 2 shown]
	v_cndmask_b32_e32 v13, v17, v3, vcc_lo
	v_cmp_eq_u32_e64 s4, 5, v69
	v_cndmask_b32_e32 v14, v18, v7, vcc_lo
	v_cndmask_b32_e64 v1, v1, v3, s3
	v_cmp_eq_u32_e32 vcc_lo, 5, v71
	v_lshrrev_b32_e32 v12, 16, v4
	v_cndmask_b32_e64 v13, v13, v11, s4
	v_cndmask_b32_e64 v3, v14, v15, s4
	v_cmp_eq_u32_e64 s4, 6, v71
	v_cndmask_b32_e32 v1, v1, v11, vcc_lo
	v_cndmask_b32_e64 v5, v5, v11, s5
	v_cmp_eq_u32_e64 s6, 6, v70
	v_cndmask_b32_e64 v6, v6, v15, s5
	v_cmp_eq_u32_e64 s5, 6, v72
	v_cmp_eq_u32_e64 s3, 6, v69
	v_cndmask_b32_e64 v1, v1, v4, s4
	v_cndmask_b32_e32 v2, v2, v15, vcc_lo
	v_cmp_eq_u32_e32 vcc_lo, 7, v71
	v_cndmask_b32_e64 v5, v5, v4, s6
	v_cndmask_b32_e64 v9, v9, v4, s5
	;; [unrolled: 1-line block ×3, first 2 shown]
	v_cmp_eq_u32_e64 s6, 7, v70
	v_cndmask_b32_e32 v1, v1, v12, vcc_lo
	v_cndmask_b32_e64 v7, v13, v4, s3
	v_cndmask_b32_e64 v3, v3, v8, s3
	;; [unrolled: 1-line block ×3, first 2 shown]
	v_cmp_eq_u32_e64 s3, 7, v69
	v_cndmask_b32_e64 v4, v10, v8, s5
	v_cndmask_b32_e64 v5, v5, v12, s6
	;; [unrolled: 1-line block ×3, first 2 shown]
	v_cndmask_b32_e32 v2, v2, v16, vcc_lo
	v_cndmask_b32_e64 v7, v7, v12, s3
	v_cndmask_b32_e64 v3, v3, v16, s3
	;; [unrolled: 1-line block ×4, first 2 shown]
	v_perm_b32 v4, v2, v1, 0x5040100
	s_mov_b32 s3, exec_lo
	v_perm_b32 v3, v3, v7, 0x5040100
	v_perm_b32 v2, v8, v9, 0x5040100
	;; [unrolled: 1-line block ×3, first 2 shown]
	ds_store_b128 v74, v[1:4]
	s_waitcnt lgkmcnt(0)
	s_barrier
	buffer_gl0_inv
	v_cmpx_gt_u32_e32 32, v0
	s_cbranch_execz .LBB1234_2
; %bb.15:
	s_load_b64 s[4:5], s[0:1], 0x68
	v_lshlrev_b32_e32 v0, 10, v0
	v_add_nc_u32_e32 v2, s31, v66
	v_lshlrev_b32_e32 v3, 4, v67
	s_lshl_b32 s0, s35, 7
	s_delay_alu instid0(SALU_CYCLE_1) | instskip(NEXT) | instid1(VALU_DEP_2)
	s_mul_i32 s1, s0, s34
	v_mul_lo_u32 v1, v2, s0
	s_delay_alu instid0(VALU_DEP_2) | instskip(SKIP_2) | instid1(SALU_CYCLE_1)
	v_and_or_b32 v0, 0x3800, v0, v3
	v_add_nc_u32_e32 v2, 2, v2
	s_mul_i32 s6, s1, s8
	s_ashr_i32 s7, s6, 31
	s_delay_alu instid0(VALU_DEP_2)
	v_lshl_or_b32 v7, v66, 6, v0
	s_lshl_b64 s[6:7], s[6:7], 1
	v_mul_lo_u32 v11, v2, s0
	v_ashrrev_i32_e32 v2, 31, v1
	ds_load_b128 v[3:6], v7
	ds_load_b128 v[7:10], v7 offset:128
	s_waitcnt lgkmcnt(0)
	s_add_u32 s1, s4, s6
	s_addc_u32 s3, s5, s7
	s_lshl_b32 s4, s14, 7
	v_ashrrev_i32_e32 v12, 31, v11
	s_ashr_i32 s5, s4, 31
	v_lshlrev_b64 v[13:14], 1, v[1:2]
	s_lshl_b64 s[4:5], s[4:5], 1
	s_delay_alu instid0(SALU_CYCLE_1) | instskip(SKIP_2) | instid1(VALU_DEP_1)
	s_add_u32 s1, s1, s4
	s_addc_u32 s3, s3, s5
	v_add_co_u32 v1, s1, s1, v65
	v_add_co_ci_u32_e64 v2, null, s3, 0, s1
	v_lshlrev_b64 v[11:12], 1, v[11:12]
	s_delay_alu instid0(VALU_DEP_3) | instskip(NEXT) | instid1(VALU_DEP_3)
	v_add_co_u32 v13, vcc_lo, v1, v13
	v_add_co_ci_u32_e32 v14, vcc_lo, v2, v14, vcc_lo
	s_delay_alu instid0(VALU_DEP_3) | instskip(NEXT) | instid1(VALU_DEP_4)
	v_add_co_u32 v11, vcc_lo, v1, v11
	v_add_co_ci_u32_e32 v12, vcc_lo, v2, v12, vcc_lo
	s_clause 0x1
	global_store_b128 v[13:14], v[3:6], off
	global_store_b128 v[11:12], v[7:10], off
	s_and_b32 exec_lo, exec_lo, s2
	s_cbranch_execz .LBB1234_2
; %bb.16:
	ds_load_b128 v[3:6], v0 offset:256
	s_add_i32 s1, s31, 4
	s_delay_alu instid0(SALU_CYCLE_1) | instskip(NEXT) | instid1(SALU_CYCLE_1)
	s_mul_i32 s0, s1, s0
	s_ashr_i32 s1, s0, 31
	s_delay_alu instid0(SALU_CYCLE_1) | instskip(NEXT) | instid1(SALU_CYCLE_1)
	s_lshl_b64 s[0:1], s[0:1], 1
	v_add_co_u32 v0, vcc_lo, v1, s0
	v_add_co_ci_u32_e32 v1, vcc_lo, s1, v2, vcc_lo
	s_waitcnt lgkmcnt(0)
	global_store_b128 v[0:1], v[3:6], off
	s_nop 0
	s_sendmsg sendmsg(MSG_DEALLOC_VGPRS)
	s_endpgm
	.section	.rodata,"a",@progbits
	.p2align	6, 0x0
	.amdhsa_kernel _Z39paged_attention_ll4mi_QKV_mfma16_kernelIDF16_hLN4vllm18Fp8KVCacheDataTypeE1EhLi16ELi128ELi256ELb0ELi5EL8MFMAType0EEvPKT_PKT0_S8_ifPKiSA_SA_iPKfiiiPfSD_PS3_PT2_iSC_SC_
		.amdhsa_group_segment_fixed_size 17472
		.amdhsa_private_segment_fixed_size 0
		.amdhsa_kernarg_size 400
		.amdhsa_user_sgpr_count 13
		.amdhsa_user_sgpr_dispatch_ptr 0
		.amdhsa_user_sgpr_queue_ptr 0
		.amdhsa_user_sgpr_kernarg_segment_ptr 1
		.amdhsa_user_sgpr_dispatch_id 0
		.amdhsa_user_sgpr_private_segment_size 0
		.amdhsa_wavefront_size32 1
		.amdhsa_uses_dynamic_stack 0
		.amdhsa_enable_private_segment 0
		.amdhsa_system_sgpr_workgroup_id_x 1
		.amdhsa_system_sgpr_workgroup_id_y 1
		.amdhsa_system_sgpr_workgroup_id_z 1
		.amdhsa_system_sgpr_workgroup_info 0
		.amdhsa_system_vgpr_workitem_id 0
		.amdhsa_next_free_vgpr 150
		.amdhsa_next_free_sgpr 36
		.amdhsa_reserve_vcc 1
		.amdhsa_float_round_mode_32 0
		.amdhsa_float_round_mode_16_64 0
		.amdhsa_float_denorm_mode_32 3
		.amdhsa_float_denorm_mode_16_64 3
		.amdhsa_dx10_clamp 1
		.amdhsa_ieee_mode 1
		.amdhsa_fp16_overflow 0
		.amdhsa_workgroup_processor_mode 1
		.amdhsa_memory_ordered 1
		.amdhsa_forward_progress 0
		.amdhsa_shared_vgpr_count 0
		.amdhsa_exception_fp_ieee_invalid_op 0
		.amdhsa_exception_fp_denorm_src 0
		.amdhsa_exception_fp_ieee_div_zero 0
		.amdhsa_exception_fp_ieee_overflow 0
		.amdhsa_exception_fp_ieee_underflow 0
		.amdhsa_exception_fp_ieee_inexact 0
		.amdhsa_exception_int_div_zero 0
	.end_amdhsa_kernel
	.section	.text._Z39paged_attention_ll4mi_QKV_mfma16_kernelIDF16_hLN4vllm18Fp8KVCacheDataTypeE1EhLi16ELi128ELi256ELb0ELi5EL8MFMAType0EEvPKT_PKT0_S8_ifPKiSA_SA_iPKfiiiPfSD_PS3_PT2_iSC_SC_,"axG",@progbits,_Z39paged_attention_ll4mi_QKV_mfma16_kernelIDF16_hLN4vllm18Fp8KVCacheDataTypeE1EhLi16ELi128ELi256ELb0ELi5EL8MFMAType0EEvPKT_PKT0_S8_ifPKiSA_SA_iPKfiiiPfSD_PS3_PT2_iSC_SC_,comdat
.Lfunc_end1234:
	.size	_Z39paged_attention_ll4mi_QKV_mfma16_kernelIDF16_hLN4vllm18Fp8KVCacheDataTypeE1EhLi16ELi128ELi256ELb0ELi5EL8MFMAType0EEvPKT_PKT0_S8_ifPKiSA_SA_iPKfiiiPfSD_PS3_PT2_iSC_SC_, .Lfunc_end1234-_Z39paged_attention_ll4mi_QKV_mfma16_kernelIDF16_hLN4vllm18Fp8KVCacheDataTypeE1EhLi16ELi128ELi256ELb0ELi5EL8MFMAType0EEvPKT_PKT0_S8_ifPKiSA_SA_iPKfiiiPfSD_PS3_PT2_iSC_SC_
                                        ; -- End function
	.section	.AMDGPU.csdata,"",@progbits
; Kernel info:
; codeLenInByte = 6644
; NumSgprs: 38
; NumVgprs: 150
; ScratchSize: 0
; MemoryBound: 0
; FloatMode: 240
; IeeeMode: 1
; LDSByteSize: 17472 bytes/workgroup (compile time only)
; SGPRBlocks: 4
; VGPRBlocks: 18
; NumSGPRsForWavesPerEU: 38
; NumVGPRsForWavesPerEU: 150
; Occupancy: 9
; WaveLimiterHint : 1
; COMPUTE_PGM_RSRC2:SCRATCH_EN: 0
; COMPUTE_PGM_RSRC2:USER_SGPR: 13
; COMPUTE_PGM_RSRC2:TRAP_HANDLER: 0
; COMPUTE_PGM_RSRC2:TGID_X_EN: 1
; COMPUTE_PGM_RSRC2:TGID_Y_EN: 1
; COMPUTE_PGM_RSRC2:TGID_Z_EN: 1
; COMPUTE_PGM_RSRC2:TIDIG_COMP_CNT: 0
	.section	.text._Z39paged_attention_ll4mi_QKV_mfma16_kernelIDF16_hLN4vllm18Fp8KVCacheDataTypeE1EhLi16ELi128ELi256ELb0ELi6EL8MFMAType0EEvPKT_PKT0_S8_ifPKiSA_SA_iPKfiiiPfSD_PS3_PT2_iSC_SC_,"axG",@progbits,_Z39paged_attention_ll4mi_QKV_mfma16_kernelIDF16_hLN4vllm18Fp8KVCacheDataTypeE1EhLi16ELi128ELi256ELb0ELi6EL8MFMAType0EEvPKT_PKT0_S8_ifPKiSA_SA_iPKfiiiPfSD_PS3_PT2_iSC_SC_,comdat
	.protected	_Z39paged_attention_ll4mi_QKV_mfma16_kernelIDF16_hLN4vllm18Fp8KVCacheDataTypeE1EhLi16ELi128ELi256ELb0ELi6EL8MFMAType0EEvPKT_PKT0_S8_ifPKiSA_SA_iPKfiiiPfSD_PS3_PT2_iSC_SC_ ; -- Begin function _Z39paged_attention_ll4mi_QKV_mfma16_kernelIDF16_hLN4vllm18Fp8KVCacheDataTypeE1EhLi16ELi128ELi256ELb0ELi6EL8MFMAType0EEvPKT_PKT0_S8_ifPKiSA_SA_iPKfiiiPfSD_PS3_PT2_iSC_SC_
	.globl	_Z39paged_attention_ll4mi_QKV_mfma16_kernelIDF16_hLN4vllm18Fp8KVCacheDataTypeE1EhLi16ELi128ELi256ELb0ELi6EL8MFMAType0EEvPKT_PKT0_S8_ifPKiSA_SA_iPKfiiiPfSD_PS3_PT2_iSC_SC_
	.p2align	8
	.type	_Z39paged_attention_ll4mi_QKV_mfma16_kernelIDF16_hLN4vllm18Fp8KVCacheDataTypeE1EhLi16ELi128ELi256ELb0ELi6EL8MFMAType0EEvPKT_PKT0_S8_ifPKiSA_SA_iPKfiiiPfSD_PS3_PT2_iSC_SC_,@function
_Z39paged_attention_ll4mi_QKV_mfma16_kernelIDF16_hLN4vllm18Fp8KVCacheDataTypeE1EhLi16ELi128ELi256ELb0ELi6EL8MFMAType0EEvPKT_PKT0_S8_ifPKiSA_SA_iPKfiiiPfSD_PS3_PT2_iSC_SC_: ; @_Z39paged_attention_ll4mi_QKV_mfma16_kernelIDF16_hLN4vllm18Fp8KVCacheDataTypeE1EhLi16ELi128ELi256ELb0ELi6EL8MFMAType0EEvPKT_PKT0_S8_ifPKiSA_SA_iPKfiiiPfSD_PS3_PT2_iSC_SC_
; %bb.0:
	s_load_b64 s[4:5], s[0:1], 0x30
	s_mov_b32 s30, s13
	s_waitcnt lgkmcnt(0)
	s_cmp_lg_u64 s[4:5], 0
	s_cselect_b32 s8, -1, 0
	s_ashr_i32 s31, s13, 31
	s_cmp_eq_u64 s[4:5], 0
	s_cbranch_scc1 .LBB1235_3
; %bb.1:
	s_lshl_b64 s[2:3], s[30:31], 2
	s_delay_alu instid0(SALU_CYCLE_1) | instskip(SKIP_4) | instid1(SALU_CYCLE_1)
	s_add_u32 s2, s4, s2
	s_addc_u32 s3, s5, s3
	s_load_b64 s[2:3], s[2:3], 0x0
	s_waitcnt lgkmcnt(0)
	s_sub_i32 s2, s3, s2
	s_cmp_eq_u32 s2, 1
	s_cselect_b32 s2, -1, 0
	s_delay_alu instid0(SALU_CYCLE_1)
	s_and_not1_b32 vcc_lo, exec_lo, s2
	s_cbranch_vccz .LBB1235_4
.LBB1235_2:
	s_endpgm
.LBB1235_3:
.LBB1235_4:
	s_load_b64 s[2:3], s[0:1], 0x28
	s_lshl_b64 s[6:7], s[30:31], 2
	s_waitcnt lgkmcnt(0)
	s_add_u32 s2, s2, s6
	s_addc_u32 s3, s3, s7
	s_lshl_b32 s12, s14, 8
	s_load_b32 s24, s[2:3], 0x0
	s_waitcnt lgkmcnt(0)
	s_cmp_ge_i32 s12, s24
	s_cbranch_scc1 .LBB1235_2
; %bb.5:
	s_clause 0x1
	s_load_b128 s[20:23], s[0:1], 0x8
	s_load_b64 s[2:3], s[0:1], 0x20
	s_and_not1_b32 vcc_lo, exec_lo, s8
	s_cbranch_vccnz .LBB1235_7
; %bb.6:
	s_add_u32 s4, s4, s6
	s_addc_u32 s5, s5, s7
	s_load_b32 s5, s[4:5], 0x0
	s_branch .LBB1235_8
.LBB1235_7:
	s_mov_b32 s5, s30
.LBB1235_8:
	s_load_b128 s[16:19], s[0:1], 0x48
	v_and_b32_e32 v68, 15, v0
	v_lshrrev_b32_e32 v69, 5, v0
	v_and_b32_e32 v70, 31, v0
	v_and_b32_e32 v67, 1, v0
	v_bfe_u32 v66, v0, 4, 1
	v_lshlrev_b32_e32 v1, 3, v68
	s_mul_i32 s31, s15, 6
	s_mov_b32 s4, exec_lo
	s_delay_alu instid0(VALU_DEP_1)
	v_lshlrev_b32_e32 v65, 1, v1
	v_cmpx_gt_u32_e32 0x60, v0
	s_cbranch_execz .LBB1235_10
; %bb.9:
	s_load_b64 s[6:7], s[0:1], 0x0
	v_lshl_or_b32 v5, v69, 1, v66
	s_waitcnt lgkmcnt(0)
	s_mul_hi_i32 s9, s5, s16
	s_mul_i32 s8, s5, s16
	v_lshlrev_b32_e32 v6, 10, v68
	s_lshl_b64 s[8:9], s[8:9], 1
	v_add_lshl_u32 v1, v5, s31, 7
	v_lshlrev_b32_e32 v5, 6, v5
	v_lshlrev_b32_e32 v7, 10, v67
	v_and_b32_e32 v6, 0x3800, v6
	s_delay_alu instid0(VALU_DEP_4) | instskip(NEXT) | instid1(VALU_DEP_2)
	v_ashrrev_i32_e32 v2, 31, v1
	v_or3_b32 v5, v6, v7, v5
	s_delay_alu instid0(VALU_DEP_2) | instskip(SKIP_2) | instid1(VALU_DEP_1)
	v_lshlrev_b64 v[1:2], 1, v[1:2]
	s_add_u32 s5, s6, s8
	s_addc_u32 s6, s7, s9
	v_add_co_u32 v1, vcc_lo, s5, v1
	s_delay_alu instid0(VALU_DEP_2) | instskip(NEXT) | instid1(VALU_DEP_2)
	v_add_co_ci_u32_e32 v2, vcc_lo, s6, v2, vcc_lo
	v_add_co_u32 v1, vcc_lo, v1, v65
	s_delay_alu instid0(VALU_DEP_2)
	v_add_co_ci_u32_e32 v2, vcc_lo, 0, v2, vcc_lo
	global_load_b128 v[1:4], v[1:2], off
	s_waitcnt vmcnt(0)
	ds_store_b128 v5, v[1:4]
.LBB1235_10:
	s_or_b32 exec_lo, exec_lo, s4
	v_and_b32_e32 v1, 0xef, v0
	s_waitcnt lgkmcnt(0)
	s_add_i32 s5, s24, 15
	s_clause 0x1
	s_load_b32 s4, s[0:1], 0x38
	s_load_b32 s33, s[0:1], 0x98
	s_ashr_i32 s6, s5, 31
	v_add_nc_u32_e32 v1, s12, v1
	s_lshr_b32 s6, s6, 28
	s_load_b32 s19, s[0:1], 0x1c
	s_add_i32 s5, s5, s6
	s_waitcnt lgkmcnt(0)
	v_ashrrev_i32_e32 v2, 31, v1
	v_or_b32_e32 v3, 16, v1
	s_ashr_i32 s13, s5, 4
	v_cmp_gt_i32_e32 vcc_lo, s24, v1
	s_add_i32 s13, s13, -1
	v_lshrrev_b32_e32 v2, 28, v2
	s_barrier
	buffer_gl0_inv
	s_mul_i32 s15, s15, s18
	v_add_nc_u32_e32 v4, v1, v2
	s_mul_i32 s4, s30, s4
	s_delay_alu instid0(SALU_CYCLE_1) | instskip(NEXT) | instid1(VALU_DEP_1)
	s_ashr_i32 s5, s4, 31
	v_ashrrev_i32_e32 v4, 4, v4
	v_add_nc_u32_e32 v2, v3, v2
	s_lshl_b64 s[4:5], s[4:5], 2
	s_delay_alu instid0(SALU_CYCLE_1) | instskip(NEXT) | instid1(VALU_DEP_2)
	s_add_u32 s16, s2, s4
	v_cndmask_b32_e32 v1, s13, v4, vcc_lo
	s_delay_alu instid0(VALU_DEP_2)
	v_ashrrev_i32_e32 v2, 4, v2
	v_cmp_gt_i32_e32 vcc_lo, s24, v3
	s_addc_u32 s25, s3, s5
	s_ashr_i32 s18, s15, 31
	s_add_u32 s26, s20, s15
	s_addc_u32 s27, s21, s18
	v_cndmask_b32_e32 v3, s13, v2, vcc_lo
	v_ashrrev_i32_e32 v2, 31, v1
	s_lshl_b32 s2, s14, 4
	s_delay_alu instid0(SALU_CYCLE_1) | instskip(NEXT) | instid1(VALU_DEP_2)
	s_ashr_i32 s3, s2, 31
	v_ashrrev_i32_e32 v4, 31, v3
	s_delay_alu instid0(VALU_DEP_2) | instskip(SKIP_1) | instid1(SALU_CYCLE_1)
	v_lshlrev_b64 v[1:2], 2, v[1:2]
	s_lshl_b64 s[2:3], s[2:3], 2
	s_add_u32 s2, s16, s2
	s_delay_alu instid0(VALU_DEP_2) | instskip(SKIP_1) | instid1(VALU_DEP_2)
	v_lshlrev_b64 v[3:4], 2, v[3:4]
	s_addc_u32 s3, s25, s3
	v_add_co_u32 v1, vcc_lo, s16, v1
	v_add_co_ci_u32_e32 v2, vcc_lo, s25, v2, vcc_lo
	s_delay_alu instid0(VALU_DEP_3) | instskip(NEXT) | instid1(VALU_DEP_4)
	v_add_co_u32 v3, vcc_lo, s16, v3
	v_add_co_ci_u32_e32 v4, vcc_lo, s25, v4, vcc_lo
	s_clause 0x1
	global_load_b32 v5, v[1:2], off
	global_load_b32 v7, v[3:4], off
	s_or_b32 s4, s12, 32
	v_lshlrev_b32_e32 v1, 4, v0
	s_ashr_i32 s5, s4, 4
	s_cmp_lt_i32 s4, s24
	s_cselect_b32 s4, s5, s13
	s_delay_alu instid0(VALU_DEP_1) | instskip(SKIP_1) | instid1(SALU_CYCLE_1)
	v_and_b32_e32 v1, 0xf0, v1
	s_ashr_i32 s5, s4, 31
	s_lshl_b64 s[4:5], s[4:5], 2
	s_delay_alu instid0(SALU_CYCLE_1)
	s_add_u32 s4, s16, s4
	s_addc_u32 s5, s25, s5
	s_or_b32 s6, s12, 64
	v_add_co_u32 v1, s26, s26, v1
	s_ashr_i32 s7, s6, 4
	s_cmp_lt_i32 s6, s24
	v_add_co_ci_u32_e64 v2, null, s27, 0, s26
	s_cselect_b32 s6, s7, s13
	s_delay_alu instid0(SALU_CYCLE_1) | instskip(NEXT) | instid1(SALU_CYCLE_1)
	s_ashr_i32 s7, s6, 31
	s_lshl_b64 s[6:7], s[6:7], 2
	s_delay_alu instid0(SALU_CYCLE_1) | instskip(SKIP_2) | instid1(SALU_CYCLE_1)
	s_add_u32 s6, s16, s6
	s_addc_u32 s7, s25, s7
	s_or_b32 s8, s12, 0x60
	s_ashr_i32 s9, s8, 4
	s_cmp_lt_i32 s8, s24
	s_cselect_b32 s8, s9, s13
	s_delay_alu instid0(SALU_CYCLE_1) | instskip(NEXT) | instid1(SALU_CYCLE_1)
	s_ashr_i32 s9, s8, 31
	s_lshl_b64 s[8:9], s[8:9], 2
	s_delay_alu instid0(SALU_CYCLE_1) | instskip(SKIP_2) | instid1(SALU_CYCLE_1)
	s_add_u32 s8, s16, s8
	s_addc_u32 s9, s25, s9
	s_or_b32 s10, s12, 0x80
	s_ashr_i32 s11, s10, 4
	s_cmp_lt_i32 s10, s24
	;; [unrolled: 10-line block ×3, first 2 shown]
	s_cselect_b32 s20, s21, s13
	s_delay_alu instid0(SALU_CYCLE_1) | instskip(NEXT) | instid1(SALU_CYCLE_1)
	s_ashr_i32 s21, s20, 31
	s_lshl_b64 s[20:21], s[20:21], 2
	s_delay_alu instid0(SALU_CYCLE_1)
	s_add_u32 s20, s16, s20
	s_addc_u32 s21, s25, s21
	s_clause 0x5
	s_load_b32 s26, s[2:3], 0x0
	s_load_b32 s27, s[4:5], 0x0
	;; [unrolled: 1-line block ×6, first 2 shown]
	s_or_b32 s2, s12, 0xc0
	s_mov_b32 s4, 0
	s_ashr_i32 s3, s2, 4
	s_cmp_lt_i32 s2, s24
	s_mov_b32 s11, s4
	s_cselect_b32 s2, s3, s13
	s_mov_b32 s5, s4
	s_ashr_i32 s3, s2, 31
	s_mov_b32 s6, s4
	s_lshl_b64 s[2:3], s[2:3], 2
	s_mov_b32 s7, s4
	s_add_u32 s2, s16, s2
	s_addc_u32 s3, s25, s3
	s_or_b32 s20, s12, 0xe0
	s_mov_b32 s8, s4
	s_ashr_i32 s21, s20, 4
	s_cmp_lt_i32 s20, s24
	s_mov_b32 s9, s4
	s_cselect_b32 s20, s21, s13
	s_mov_b32 s10, s4
	s_ashr_i32 s21, s20, 31
	v_mov_b32_e32 v118, s11
	v_dual_mov_b32 v112, s5 :: v_dual_mov_b32 v117, s10
	v_dual_mov_b32 v116, s9 :: v_dual_mov_b32 v115, s8
	;; [unrolled: 1-line block ×3, first 2 shown]
	v_mov_b32_e32 v111, s4
	s_lshl_b64 s[4:5], s[20:21], 2
	s_delay_alu instid0(SALU_CYCLE_1)
	s_add_u32 s4, s16, s4
	s_addc_u32 s5, s25, s5
	s_add_u32 s6, s22, s15
	s_addc_u32 s7, s23, s18
	s_waitcnt vmcnt(1)
	v_mad_i64_i32 v[3:4], null, v5, s17, v[1:2]
	s_waitcnt vmcnt(0)
	v_mad_i64_i32 v[5:6], null, v7, s17, v[1:2]
	v_mul_lo_u16 v1, v68, 43
	v_lshlrev_b32_e32 v2, 4, v68
	s_clause 0xf
	global_load_b128 v[17:20], v[3:4], off
	global_load_b128 v[21:24], v[3:4], off offset:256
	global_load_b128 v[25:28], v[5:6], off
	global_load_b128 v[29:32], v[5:6], off offset:256
	global_load_b128 v[57:60], v[3:4], off offset:512
	;; [unrolled: 1-line block ×13, first 2 shown]
	v_lshrrev_b16 v1, 8, v1
	s_delay_alu instid0(VALU_DEP_1) | instskip(NEXT) | instid1(VALU_DEP_1)
	v_mul_lo_u16 v1, v1, 6
	v_sub_nc_u16 v1, v68, v1
	s_delay_alu instid0(VALU_DEP_1) | instskip(NEXT) | instid1(VALU_DEP_1)
	v_and_b32_e32 v1, 0xff, v1
	v_lshlrev_b32_e32 v149, 6, v1
	v_lshl_or_b32 v1, v69, 8, v2
	ds_load_b128 v[119:122], v149
	ds_load_b128 v[123:126], v149 offset:1024
	ds_load_b128 v[127:130], v149 offset:2048
	;; [unrolled: 1-line block ×3, first 2 shown]
	s_clause 0x1
	s_load_b32 s2, s[2:3], 0x0
	s_load_b32 s3, s[4:5], 0x0
	v_add_co_u32 v135, s6, s6, v1
	s_delay_alu instid0(VALU_DEP_1) | instskip(SKIP_1) | instid1(VALU_DEP_1)
	v_add_co_ci_u32_e64 v136, null, s7, 0, s6
	s_waitcnt lgkmcnt(0)
	v_mad_i64_i32 v[1:2], null, s26, s17, v[135:136]
	v_mad_i64_i32 v[3:4], null, s27, s17, v[135:136]
	;; [unrolled: 1-line block ×6, first 2 shown]
	s_clause 0x9
	global_load_b128 v[49:52], v[1:2], off
	global_load_b128 v[53:56], v[1:2], off offset:16
	global_load_b128 v[41:44], v[3:4], off
	global_load_b128 v[45:48], v[3:4], off offset:16
	;; [unrolled: 2-line block ×5, first 2 shown]
	v_mad_i64_i32 v[145:146], null, s2, s17, v[135:136]
	v_mad_i64_i32 v[147:148], null, s3, s17, v[135:136]
	s_waitcnt vmcnt(24)
	v_wmma_f32_16x16x16_f16 v[135:142], v[17:24], v[119:126], v[111:118]
	s_waitcnt vmcnt(22)
	v_wmma_f32_16x16x16_f16 v[111:118], v[25:32], v[119:126], v[111:118]
	s_clause 0x3
	global_load_b128 v[17:20], v[143:144], off
	global_load_b128 v[21:24], v[143:144], off offset:16
	global_load_b128 v[25:28], v[145:146], off
	global_load_b128 v[29:32], v[145:146], off offset:16
	v_and_b32_e32 v119, 0xe0, v0
	s_waitcnt vmcnt(24)
	v_wmma_f32_16x16x16_f16 v[135:142], v[57:64], v[127:134], v[135:142]
	s_clause 0x1
	global_load_b128 v[57:60], v[147:148], off
	global_load_b128 v[61:64], v[147:148], off offset:16
	s_waitcnt vmcnt(24)
	v_wmma_f32_16x16x16_f16 v[111:118], v[71:78], v[127:134], v[111:118]
	ds_load_b128 v[71:74], v149 offset:4096
	ds_load_b128 v[75:78], v149 offset:5120
	v_add_nc_u32_e32 v128, s12, v119
	ds_load_b128 v[119:122], v149 offset:6144
	ds_load_b128 v[123:126], v149 offset:7168
	v_mbcnt_lo_u32_b32 v127, -1, 0
	s_waitcnt vmcnt(0) lgkmcnt(0)
	s_barrier
	v_or_b32_e32 v128, v128, v66
	buffer_gl0_inv
	v_xor_b32_e32 v129, 16, v127
	v_or_b32_e32 v130, 4, v128
	v_or_b32_e32 v131, 6, v128
	s_delay_alu instid0(VALU_DEP_3) | instskip(SKIP_4) | instid1(VALU_DEP_4)
	v_cmp_gt_i32_e32 vcc_lo, 32, v129
	v_or_b32_e32 v132, 8, v128
	v_or_b32_e32 v133, 10, v128
	v_cmp_gt_i32_e64 s3, s24, v130
	v_cmp_gt_i32_e64 s4, s24, v131
	v_cmp_gt_i32_e64 s5, s24, v132
	v_wmma_f32_16x16x16_f16 v[135:142], v[79:86], v[71:78], v[135:142]
	v_wmma_f32_16x16x16_f16 v[111:118], v[87:94], v[71:78], v[111:118]
	v_or_b32_e32 v79, 12, v128
	v_or_b32_e32 v80, 14, v128
	v_cmp_gt_i32_e64 s6, s24, v133
	v_wmma_f32_16x16x16_f16 v[135:142], v[95:102], v[119:126], v[135:142]
	v_wmma_f32_16x16x16_f16 v[111:118], v[103:110], v[119:126], v[111:118]
	v_cndmask_b32_e32 v127, v127, v129, vcc_lo
	v_or_b32_e32 v129, 2, v128
	v_cmp_gt_i32_e32 vcc_lo, s24, v128
	s_delay_alu instid0(VALU_DEP_4) | instskip(SKIP_1) | instid1(VALU_DEP_4)
	v_dual_mul_f32 v87, s19, v136 :: v_dual_mul_f32 v94, s19, v113
	v_mul_f32_e32 v88, s19, v135
	v_cmp_gt_i32_e64 s2, s24, v129
	v_mul_f32_e32 v78, s19, v138
	v_mul_f32_e32 v86, s19, v137
	;; [unrolled: 1-line block ×3, first 2 shown]
	v_cndmask_b32_e32 v88, 0xff7fffff, v88, vcc_lo
	v_cndmask_b32_e64 v87, 0xff7fffff, v87, s2
	v_dual_mul_f32 v77, s19, v139 :: v_dual_mul_f32 v90, s19, v117
	v_cndmask_b32_e64 v86, 0xff7fffff, v86, s3
	v_cndmask_b32_e64 v78, 0xff7fffff, v78, s4
	s_delay_alu instid0(VALU_DEP_4)
	v_max3_f32 v87, v88, 0xff7fffff, v87
	v_or_b32_e32 v81, 16, v128
	v_or_b32_e32 v82, 18, v128
	v_dual_mul_f32 v74, s19, v142 :: v_dual_mul_f32 v75, s19, v141
	v_mul_f32_e32 v96, s19, v111
	v_cndmask_b32_e64 v77, 0xff7fffff, v77, s5
	v_cndmask_b32_e64 v76, 0xff7fffff, v76, s6
	v_max3_f32 v78, v87, v86, v78
	v_cmp_gt_i32_e64 s7, s24, v79
	v_cmp_gt_i32_e64 s8, s24, v80
	v_or_b32_e32 v83, 20, v128
	v_or_b32_e32 v84, 22, v128
	v_mul_f32_e32 v95, s19, v112
	v_cndmask_b32_e64 v75, 0xff7fffff, v75, s7
	v_cndmask_b32_e64 v74, 0xff7fffff, v74, s8
	v_max3_f32 v76, v78, v77, v76
	v_cmp_gt_i32_e64 s9, s24, v81
	v_cmp_gt_i32_e64 s10, s24, v82
	v_or_b32_e32 v85, 24, v128
	v_or_b32_e32 v71, 26, v128
	;; [unrolled: 8-line block ×3, first 2 shown]
	v_dual_mul_f32 v91, s19, v116 :: v_dual_mul_f32 v92, s19, v115
	v_cndmask_b32_e64 v75, 0xff7fffff, v94, s11
	v_cndmask_b32_e64 v76, 0xff7fffff, v93, s12
	v_max3_f32 v74, v74, v77, v78
	v_cmp_gt_i32_e64 s13, s24, v85
	v_cmp_gt_i32_e64 s15, s24, v71
	v_mul_f32_e32 v89, s19, v118
	v_cmp_gt_i32_e64 s16, s24, v72
	v_max3_f32 v74, v74, v75, v76
	v_cndmask_b32_e64 v77, 0xff7fffff, v92, s13
	v_cndmask_b32_e64 v71, 0xff7fffff, v91, s15
	v_cmp_gt_i32_e64 s17, s24, v73
	v_cndmask_b32_e64 v72, 0xff7fffff, v90, s16
	s_delay_alu instid0(VALU_DEP_3) | instskip(SKIP_1) | instid1(VALU_DEP_4)
	v_max3_f32 v71, v74, v77, v71
	v_lshlrev_b32_e32 v74, 2, v127
	v_cndmask_b32_e64 v73, 0xff7fffff, v89, s17
	s_delay_alu instid0(VALU_DEP_1) | instskip(SKIP_3) | instid1(VALU_DEP_1)
	v_max3_f32 v71, v71, v72, v73
	ds_bpermute_b32 v72, v74, v71
	s_waitcnt lgkmcnt(0)
	v_max_f32_e32 v72, v72, v72
	v_max_f32_e32 v71, v71, v72
	s_delay_alu instid0(VALU_DEP_1) | instskip(SKIP_4) | instid1(VALU_DEP_4)
	v_fma_f32 v72, s19, v135, -v71
	v_fma_f32 v73, s19, v136, -v71
	;; [unrolled: 1-line block ×5, first 2 shown]
	v_dual_mul_f32 v72, 0x3fb8aa3b, v72 :: v_dual_mul_f32 v73, 0x3fb8aa3b, v73
	s_delay_alu instid0(VALU_DEP_3) | instskip(SKIP_1) | instid1(VALU_DEP_3)
	v_dual_mul_f32 v75, 0x3fb8aa3b, v75 :: v_dual_mul_f32 v76, 0x3fb8aa3b, v76
	v_fma_f32 v80, s19, v141, -v71
	v_exp_f32_e32 v72, v72
	s_delay_alu instid0(VALU_DEP_3) | instskip(NEXT) | instid1(VALU_DEP_2)
	v_exp_f32_e32 v73, v73
	v_exp_f32_e32 v75, v75
	;; [unrolled: 1-line block ×3, first 2 shown]
	v_mul_f32_e32 v82, 0x3fb8aa3b, v80
	s_delay_alu instid0(VALU_DEP_1) | instskip(SKIP_4) | instid1(TRANS32_DEP_3)
	v_exp_f32_e32 v84, v82
	v_cndmask_b32_e32 v79, 0, v72, vcc_lo
	v_fma_f32 v72, s19, v140, -v71
	v_mul_f32_e32 v77, 0x3fb8aa3b, v77
	v_cndmask_b32_e64 v78, 0, v73, s2
	v_cndmask_b32_e64 v81, 0, v75, s3
	s_delay_alu instid0(VALU_DEP_4) | instskip(NEXT) | instid1(VALU_DEP_4)
	v_dual_add_f32 v73, 0, v79 :: v_dual_mul_f32 v72, 0x3fb8aa3b, v72
	v_exp_f32_e32 v77, v77
	v_cndmask_b32_e64 v80, 0, v76, s4
	s_delay_alu instid0(TRANS32_DEP_2) | instskip(NEXT) | instid1(VALU_DEP_3)
	v_cndmask_b32_e64 v85, 0, v84, s7
	v_add_f32_e32 v73, v73, v78
	v_exp_f32_e32 v72, v72
	s_mov_b32 s2, exec_lo
	s_delay_alu instid0(VALU_DEP_1) | instskip(SKIP_4) | instid1(VALU_DEP_2)
	v_add_f32_e32 v73, v73, v81
	s_waitcnt_depctr 0xfff
	v_cndmask_b32_e64 v83, 0, v77, s5
	v_add_f32_e32 v73, v73, v80
	v_cndmask_b32_e64 v82, 0, v72, s6
	v_add_f32_e32 v72, v73, v83
	s_delay_alu instid0(VALU_DEP_1) | instskip(NEXT) | instid1(VALU_DEP_1)
	v_add_f32_e32 v72, v72, v82
	v_add_f32_e32 v72, v72, v85
	v_fma_f32 v76, s19, v111, -v71
	v_fma_f32 v75, s19, v142, -v71
	;; [unrolled: 1-line block ×5, first 2 shown]
	s_delay_alu instid0(VALU_DEP_4) | instskip(NEXT) | instid1(VALU_DEP_3)
	v_dual_mul_f32 v76, 0x3fb8aa3b, v76 :: v_dual_mul_f32 v75, 0x3fb8aa3b, v75
	v_mul_f32_e32 v86, 0x3fb8aa3b, v86
	s_delay_alu instid0(VALU_DEP_2) | instskip(NEXT) | instid1(VALU_DEP_2)
	v_exp_f32_e32 v76, v76
	v_exp_f32_e32 v75, v75
	s_delay_alu instid0(VALU_DEP_1) | instskip(NEXT) | instid1(TRANS32_DEP_3)
	v_exp_f32_e32 v88, v86
	v_cndmask_b32_e64 v87, 0, v76, s9
	v_fma_f32 v76, s19, v116, -v71
	v_mul_f32_e32 v77, 0x3fb8aa3b, v77
	s_waitcnt_depctr 0xfff
	v_cndmask_b32_e64 v84, 0, v75, s8
	v_fma_f32 v75, s19, v115, -v71
	v_cndmask_b32_e64 v88, 0, v88, s12
	v_mul_f32_e32 v76, 0x3fb8aa3b, v76
	v_exp_f32_e32 v77, v77
	v_add_f32_e32 v72, v72, v84
	s_delay_alu instid0(VALU_DEP_2) | instskip(NEXT) | instid1(VALU_DEP_1)
	v_exp_f32_e32 v76, v76
	v_add_f32_e32 v72, v72, v87
	s_waitcnt_depctr 0xfff
	v_cndmask_b32_e64 v86, 0, v77, s10
	v_mul_f32_e32 v73, 0x3fb8aa3b, v73
	v_fma_f32 v77, s19, v117, -v71
	v_cndmask_b32_e64 v90, 0, v76, s15
	s_delay_alu instid0(VALU_DEP_4) | instskip(NEXT) | instid1(VALU_DEP_4)
	v_add_f32_e32 v72, v72, v86
	v_exp_f32_e32 v73, v73
	s_waitcnt_depctr 0xfff
	v_cndmask_b32_e64 v89, 0, v73, s11
	s_delay_alu instid0(VALU_DEP_1) | instskip(NEXT) | instid1(VALU_DEP_1)
	v_dual_mul_f32 v75, 0x3fb8aa3b, v75 :: v_dual_add_f32 v72, v72, v89
	v_exp_f32_e32 v75, v75
	v_mul_f32_e32 v73, 0x3fb8aa3b, v77
	v_fma_f32 v77, s19, v118, -v71
	s_delay_alu instid0(VALU_DEP_3) | instskip(NEXT) | instid1(VALU_DEP_3)
	v_add_f32_e32 v72, v72, v88
	v_exp_f32_e32 v73, v73
	s_waitcnt_depctr 0xfff
	v_cndmask_b32_e64 v91, 0, v75, s13
	s_delay_alu instid0(VALU_DEP_1) | instskip(NEXT) | instid1(VALU_DEP_1)
	v_dual_mul_f32 v75, 0x3fb8aa3b, v77 :: v_dual_add_f32 v72, v72, v91
	v_exp_f32_e32 v75, v75
	v_cndmask_b32_e64 v93, 0, v73, s16
	s_delay_alu instid0(VALU_DEP_2) | instskip(NEXT) | instid1(VALU_DEP_1)
	v_add_f32_e32 v72, v72, v90
	v_add_f32_e32 v72, v72, v93
	s_waitcnt_depctr 0xfff
	v_cndmask_b32_e64 v92, 0, v75, s17
	s_delay_alu instid0(VALU_DEP_1)
	v_add_f32_e32 v72, v72, v92
	ds_bpermute_b32 v73, v74, v72
	v_cmpx_gt_u32_e32 16, v70
	s_cbranch_execz .LBB1235_12
; %bb.11:
	v_mul_u32_u24_e32 v70, 0x44, v69
	s_waitcnt lgkmcnt(0)
	v_add_f32_e32 v72, v72, v73
	s_delay_alu instid0(VALU_DEP_2) | instskip(NEXT) | instid1(VALU_DEP_1)
	v_lshl_add_u32 v70, v68, 2, v70
	v_add_nc_u32_e32 v70, 0x4000, v70
	ds_store_2addr_b32 v70, v71, v72 offset1:136
.LBB1235_12:
	s_or_b32 exec_lo, exec_lo, s2
	v_lshlrev_b32_e32 v70, 2, v68
	s_load_b32 s34, s[0:1], 0x94
	s_waitcnt lgkmcnt(0)
	s_barrier
	buffer_gl0_inv
	v_add_nc_u32_e32 v98, 0x4000, v70
	v_cmp_eq_u32_e32 vcc_lo, 1, v69
	v_cmp_eq_u32_e64 s2, 2, v69
	v_cmp_eq_u32_e64 s3, 3, v69
	;; [unrolled: 1-line block ×3, first 2 shown]
	ds_load_2addr_b32 v[70:71], v98 offset1:17
	ds_load_2addr_b32 v[72:73], v98 offset0:34 offset1:51
	ds_load_2addr_b32 v[74:75], v98 offset0:68 offset1:85
	;; [unrolled: 1-line block ×3, first 2 shown]
	v_cmp_eq_u32_e64 s5, 5, v69
	v_cmp_eq_u32_e64 s6, 7, v69
	s_waitcnt lgkmcnt(3)
	v_max3_f32 v76, v70, 0xff7fffff, v71
	s_waitcnt lgkmcnt(2)
	s_delay_alu instid0(VALU_DEP_1) | instskip(SKIP_1) | instid1(VALU_DEP_1)
	v_max3_f32 v76, v76, v72, v73
	s_waitcnt lgkmcnt(1)
	v_max3_f32 v76, v76, v74, v75
	s_waitcnt lgkmcnt(0)
	s_delay_alu instid0(VALU_DEP_1) | instskip(NEXT) | instid1(VALU_DEP_1)
	v_max3_f32 v76, v76, v94, v95
	v_sub_f32_e32 v77, v71, v76
	ds_load_2addr_b32 v[96:97], v98 offset0:136 offset1:153
	v_sub_f32_e32 v74, v74, v76
	v_sub_f32_e32 v70, v70, v76
	;; [unrolled: 1-line block ×3, first 2 shown]
	v_dual_sub_f32 v72, v72, v76 :: v_dual_mul_f32 v77, 0x3fb8aa3b, v77
	s_delay_alu instid0(VALU_DEP_4) | instskip(NEXT) | instid1(VALU_DEP_4)
	v_mul_f32_e32 v103, 0x3fb8aa3b, v74
	v_mul_f32_e32 v99, 0x3fb8aa3b, v70
	ds_load_2addr_b32 v[70:71], v98 offset0:170 offset1:187
	v_dual_mul_f32 v101, 0x3fb8aa3b, v72 :: v_dual_mul_f32 v94, 0x3fb8aa3b, v94
	v_exp_f32_e32 v102, v77
	v_exp_f32_e32 v99, v99
	s_delay_alu instid0(VALU_DEP_1) | instskip(NEXT) | instid1(VALU_DEP_1)
	v_exp_f32_e32 v101, v101
	v_exp_f32_e32 v94, v94
	s_waitcnt lgkmcnt(1)
	s_delay_alu instid0(TRANS32_DEP_3)
	v_fma_f32 v77, v99, v96, 0
	v_sub_f32_e32 v100, v73, v76
	ds_load_2addr_b32 v[72:73], v98 offset0:204 offset1:221
	v_fmac_f32_e32 v77, v102, v97
	v_exp_f32_e32 v97, v103
	s_waitcnt lgkmcnt(1)
	s_delay_alu instid0(VALU_DEP_1)
	v_dual_fmac_f32 v77, v101, v70 :: v_dual_sub_f32 v96, v75, v76
	ds_load_2addr_b32 v[74:75], v98 offset0:238 offset1:255
	v_sub_f32_e32 v70, v95, v76
	s_waitcnt lgkmcnt(0)
	s_barrier
	v_mul_f32_e32 v96, 0x3fb8aa3b, v96
	buffer_gl0_inv
	v_exp_f32_e32 v95, v96
	v_mul_f32_e32 v100, 0x3fb8aa3b, v100
	s_delay_alu instid0(VALU_DEP_1) | instskip(SKIP_3) | instid1(VALU_DEP_2)
	v_exp_f32_e32 v100, v100
	s_waitcnt_depctr 0xfff
	v_dual_fmac_f32 v77, v100, v71 :: v_dual_mul_f32 v70, 0x3fb8aa3b, v70
	v_cndmask_b32_e32 v71, v99, v102, vcc_lo
	v_fmac_f32_e32 v77, v97, v72
	s_delay_alu instid0(VALU_DEP_3) | instskip(NEXT) | instid1(VALU_DEP_1)
	v_exp_f32_e32 v96, v70
	v_fmac_f32_e32 v77, v95, v73
	s_delay_alu instid0(VALU_DEP_1) | instskip(SKIP_2) | instid1(VALU_DEP_1)
	v_fmac_f32_e32 v77, v94, v74
	s_waitcnt_depctr 0xfff
	v_fmac_f32_e32 v77, v96, v75
	v_add_f32_e32 v74, 0x358637bd, v77
	s_delay_alu instid0(VALU_DEP_1) | instskip(SKIP_1) | instid1(VALU_DEP_2)
	v_div_scale_f32 v98, null, v74, v74, 1.0
	v_div_scale_f32 v99, vcc_lo, 1.0, v74, 1.0
	v_rcp_f32_e32 v103, v98
	s_waitcnt_depctr 0xfff
	v_fma_f32 v70, -v98, v103, 1.0
	s_delay_alu instid0(VALU_DEP_1) | instskip(SKIP_2) | instid1(VALU_DEP_2)
	v_fmac_f32_e32 v103, v70, v103
	v_cndmask_b32_e64 v70, v71, v101, s2
	v_cmp_eq_u32_e64 s2, 6, v69
	v_cndmask_b32_e64 v71, v70, v100, s3
	s_delay_alu instid0(VALU_DEP_4) | instskip(NEXT) | instid1(VALU_DEP_2)
	v_dual_mul_f32 v101, v99, v103 :: v_dual_lshlrev_b32 v70, 2, v66
	v_cndmask_b32_e64 v71, v71, v97, s4
	s_delay_alu instid0(VALU_DEP_2) | instskip(NEXT) | instid1(VALU_DEP_3)
	v_or_b32_e32 v72, 1, v70
	v_fma_f32 v100, -v98, v101, v99
	v_cmp_eq_u32_e64 s3, 1, v70
	v_cmp_eq_u32_e64 s4, 2, v70
	v_cndmask_b32_e64 v95, v71, v95, s5
	v_or_b32_e32 v71, 3, v70
	v_fmac_f32_e32 v101, v100, v103
	v_cmp_eq_u32_e64 s8, 1, v72
	v_cmp_eq_u32_e64 s11, 2, v72
	v_cndmask_b32_e64 v94, v95, v94, s2
	v_cmp_eq_u32_e64 s10, 1, v71
	v_fma_f32 v97, -v98, v101, v99
	v_cmp_eq_u32_e64 s15, 2, v71
	v_cmp_eq_u32_e64 s12, 3, v72
	v_cndmask_b32_e64 v94, v94, v96, s6
	v_cmp_eq_u32_e64 s17, 3, v71
	v_div_fmas_f32 v95, v97, v103, v101
	v_cmp_eq_u32_e32 vcc_lo, 3, v70
	v_cmp_eq_u32_e64 s2, 4, v70
	v_cmp_eq_u32_e64 s18, 4, v72
	;; [unrolled: 1-line block ×3, first 2 shown]
	v_div_fixup_f32 v95, v95, v74, 1.0
	v_lshlrev_b32_e32 v73, 6, v68
	v_cmp_eq_u32_e64 s5, 5, v70
	v_cmp_eq_u32_e64 s19, 5, v72
	;; [unrolled: 1-line block ×3, first 2 shown]
	v_mul_f32_e32 v102, v94, v95
	v_lshl_or_b32 v75, v69, 11, v73
	v_or_b32_e32 v69, 2, v70
	v_cmp_eq_u32_e64 s24, 6, v72
	v_cmp_eq_u32_e64 s26, 6, v71
	v_fma_mixlo_f16 v94, v102, v79, 0
	v_fma_mixlo_f16 v95, v102, v81, 0
	;; [unrolled: 1-line block ×8, first 2 shown]
	v_lshl_or_b32 v74, v66, 4, v75
	v_fma_mixhi_f16 v94, v102, v78, 0
	v_fma_mixhi_f16 v95, v102, v80, 0
	;; [unrolled: 1-line block ×8, first 2 shown]
	ds_store_b128 v74, v[94:97]
	ds_store_b128 v74, v[98:101] offset:1024
	s_waitcnt lgkmcnt(0)
	s_barrier
	buffer_gl0_inv
	ds_load_b128 v[78:81], v75
	ds_load_b128 v[82:85], v75 offset:16
	ds_load_b128 v[86:89], v75 offset:1024
	;; [unrolled: 1-line block ×3, first 2 shown]
	v_cmp_eq_u32_e64 s9, 1, v69
	v_cmp_eq_u32_e64 s13, 2, v69
	;; [unrolled: 1-line block ×11, first 2 shown]
	s_waitcnt lgkmcnt(3)
	v_lshrrev_b32_e32 v94, 16, v78
	s_waitcnt lgkmcnt(2)
	v_lshrrev_b32_e32 v98, 16, v82
	;; [unrolled: 2-line block ×4, first 2 shown]
	v_lshrrev_b32_e32 v95, 16, v79
	v_cndmask_b32_e64 v110, v78, v94, s3
	v_cndmask_b32_e64 v111, v82, v98, s3
	v_cndmask_b32_e64 v112, v78, v94, s8
	v_cndmask_b32_e64 v113, v82, v98, s8
	v_cndmask_b32_e64 v114, v78, v94, s9
	v_cndmask_b32_e64 v115, v82, v98, s9
	v_cndmask_b32_e64 v78, v78, v94, s10
	v_cndmask_b32_e64 v82, v82, v98, s10
	v_lshrrev_b32_e32 v99, 16, v83
	v_cndmask_b32_e64 v94, v86, v102, s3
	v_cndmask_b32_e64 v98, v90, v106, s3
	;; [unrolled: 1-line block ×15, first 2 shown]
	v_lshrrev_b32_e32 v103, 16, v87
	v_lshrrev_b32_e32 v107, 16, v91
	v_cndmask_b32_e64 v113, v115, v83, s13
	v_cndmask_b32_e64 v82, v94, v87, s4
	;; [unrolled: 1-line block ×7, first 2 shown]
	v_cndmask_b32_e32 v90, v102, v95, vcc_lo
	v_cndmask_b32_e32 v102, v106, v99, vcc_lo
	v_cndmask_b32_e64 v106, v110, v95, s12
	v_cndmask_b32_e64 v110, v111, v99, s12
	;; [unrolled: 1-line block ×4, first 2 shown]
	v_lshrrev_b32_e32 v96, 16, v80
	v_lshrrev_b32_e32 v100, 16, v84
	v_cndmask_b32_e64 v111, v112, v95, s16
	v_cndmask_b32_e64 v112, v113, v99, s16
	v_cndmask_b32_e32 v82, v82, v103, vcc_lo
	v_cndmask_b32_e32 v83, v83, v107, vcc_lo
	v_cndmask_b32_e64 v94, v94, v103, s12
	v_cndmask_b32_e64 v90, v90, v80, s2
	;; [unrolled: 1-line block ×7, first 2 shown]
	v_lshrrev_b32_e32 v104, 16, v88
	v_cndmask_b32_e64 v106, v111, v80, s20
	v_cndmask_b32_e64 v110, v112, v84, s20
	;; [unrolled: 1-line block ×11, first 2 shown]
	v_lshrrev_b32_e32 v97, 16, v81
	v_lshrrev_b32_e32 v101, 16, v85
	v_cndmask_b32_e64 v99, v106, v96, s22
	v_cndmask_b32_e64 v102, v110, v100, s22
	;; [unrolled: 1-line block ×7, first 2 shown]
	v_lshrrev_b32_e32 v105, 16, v89
	v_cndmask_b32_e64 v80, v80, v104, s5
	v_cndmask_b32_e64 v84, v84, v81, s6
	;; [unrolled: 1-line block ×16, first 2 shown]
	v_perm_b32 v81, v79, v78, 0x5040100
	v_perm_b32 v79, v95, v85, 0x5040100
	v_cndmask_b32_e64 v78, v119, v91, s13
	v_cndmask_b32_e64 v85, v117, v91, s11
	;; [unrolled: 1-line block ×3, first 2 shown]
	v_perm_b32 v80, v94, v90, 0x5040100
	v_cndmask_b32_e64 v90, v98, v103, s16
	v_cndmask_b32_e64 v86, v86, v103, s17
	;; [unrolled: 1-line block ×5, first 2 shown]
	v_lshrrev_b32_e32 v108, 16, v92
	v_cndmask_b32_e64 v90, v90, v88, s20
	v_cndmask_b32_e64 v86, v86, v88, s21
	;; [unrolled: 1-line block ×11, first 2 shown]
	v_lshrrev_b32_e32 v109, 16, v93
	v_cndmask_b32_e64 v82, v82, v93, s6
	v_cndmask_b32_e64 v88, v88, v89, s25
	;; [unrolled: 1-line block ×12, first 2 shown]
	v_perm_b32 v78, v84, v83, 0x5040100
	v_perm_b32 v85, v87, v86, 0x5040100
	;; [unrolled: 1-line block ×5, first 2 shown]
	s_mul_i32 s7, s33, 6
	s_mov_b32 s2, exec_lo
	ds_store_b128 v74, v[78:81]
	ds_store_b128 v74, v[82:85] offset:1024
	v_cmpx_gt_u32_e32 6, v0
	s_cbranch_execz .LBB1235_14
; %bb.13:
	s_mul_i32 s3, s7, s30
	s_load_b128 s[8:11], s[0:1], 0x58
	v_add3_u32 v68, s3, s31, v68
	s_delay_alu instid0(VALU_DEP_1) | instskip(NEXT) | instid1(VALU_DEP_1)
	v_mad_u64_u32 v[78:79], null, v68, s34, s[14:15]
	v_ashrrev_i32_e32 v79, 31, v78
	s_delay_alu instid0(VALU_DEP_1) | instskip(SKIP_1) | instid1(VALU_DEP_1)
	v_lshlrev_b64 v[78:79], 2, v[78:79]
	s_waitcnt lgkmcnt(0)
	v_add_co_u32 v80, vcc_lo, s10, v78
	s_delay_alu instid0(VALU_DEP_2)
	v_add_co_ci_u32_e32 v81, vcc_lo, s11, v79, vcc_lo
	v_add_co_u32 v78, vcc_lo, s8, v78
	v_add_co_ci_u32_e32 v79, vcc_lo, s9, v79, vcc_lo
	global_store_b32 v[80:81], v76, off
	global_store_b32 v[78:79], v77, off
.LBB1235_14:
	s_or_b32 exec_lo, exec_lo, s2
	s_waitcnt lgkmcnt(0)
	s_waitcnt_vscnt null, 0x0
	s_barrier
	buffer_gl0_inv
	ds_load_b128 v[84:87], v73
	ds_load_b128 v[88:91], v73 offset:16
	ds_load_b128 v[96:99], v73 offset:2064
	;; [unrolled: 1-line block ×5, first 2 shown]
	v_cmp_eq_u32_e32 vcc_lo, 1, v70
	v_mov_b32_e32 v76, 0
	ds_load_b128 v[112:115], v73 offset:6160
	ds_load_b128 v[108:111], v73 offset:6144
	;; [unrolled: 1-line block ×4, first 2 shown]
	v_cmp_eq_u32_e64 s3, 1, v69
	v_cmp_eq_u32_e64 s2, 1, v72
	v_cmp_eq_u32_e64 s4, 2, v72
	v_mov_b32_e32 v77, v76
	v_mov_b32_e32 v78, v76
	;; [unrolled: 1-line block ×7, first 2 shown]
	v_cmp_eq_u32_e64 s5, 3, v72
	v_cmp_eq_u32_e64 s6, 7, v72
	s_waitcnt lgkmcnt(8)
	s_delay_alu instid0(VALU_DEP_3)
	v_wmma_f32_16x16x16_f16 v[76:83], v[49:56], v[84:91], v[76:83]
	ds_load_b128 v[53:56], v73 offset:10256
	ds_load_b128 v[49:52], v73 offset:10240
	s_waitcnt lgkmcnt(8)
	v_wmma_f32_16x16x16_f16 v[76:83], v[41:48], v[92:99], v[76:83]
	ds_load_b128 v[45:48], v73 offset:12304
	ds_load_b128 v[41:44], v73 offset:12288
	s_waitcnt lgkmcnt(8)
	;; [unrolled: 4-line block ×3, first 2 shown]
	s_barrier
	buffer_gl0_inv
	v_wmma_f32_16x16x16_f16 v[76:83], v[1:8], v[108:115], v[76:83]
	s_delay_alu instid0(VALU_DEP_1) | instskip(NEXT) | instid1(VALU_DEP_1)
	v_wmma_f32_16x16x16_f16 v[76:83], v[9:16], v[116:123], v[76:83]
	v_wmma_f32_16x16x16_f16 v[76:83], v[17:24], v[49:56], v[76:83]
	s_delay_alu instid0(VALU_DEP_1) | instskip(NEXT) | instid1(VALU_DEP_1)
	v_wmma_f32_16x16x16_f16 v[76:83], v[25:32], v[41:48], v[76:83]
	v_wmma_f32_16x16x16_f16 v[76:83], v[57:64], v[33:40], v[76:83]
	s_delay_alu instid0(VALU_DEP_1) | instskip(NEXT) | instid1(VALU_DEP_2)
	v_cvt_f16_f32_e32 v1, v76
	v_cvt_f16_f32_e32 v2, v77
	s_delay_alu instid0(VALU_DEP_3) | instskip(NEXT) | instid1(VALU_DEP_4)
	v_cvt_f16_f32_e32 v3, v78
	v_cvt_f16_f32_e32 v4, v79
	;; [unrolled: 1-line block ×6, first 2 shown]
	v_pack_b32_f16 v1, v1, v2
	v_pack_b32_f16 v2, v3, v4
	;; [unrolled: 1-line block ×3, first 2 shown]
	s_delay_alu instid0(VALU_DEP_4)
	v_pack_b32_f16 v4, v7, v8
	ds_store_b128 v74, v[1:4]
	s_waitcnt lgkmcnt(0)
	s_barrier
	buffer_gl0_inv
	ds_load_b128 v[1:4], v75
	ds_load_b128 v[5:8], v75 offset:16
	s_waitcnt lgkmcnt(1)
	v_lshrrev_b32_e32 v9, 16, v1
	s_waitcnt lgkmcnt(0)
	v_lshrrev_b32_e32 v13, 16, v5
	v_lshrrev_b32_e32 v10, 16, v2
	v_lshrrev_b32_e32 v14, 16, v6
	v_lshrrev_b32_e32 v11, 16, v3
	v_cndmask_b32_e32 v17, v1, v9, vcc_lo
	v_cndmask_b32_e32 v18, v5, v13, vcc_lo
	v_cndmask_b32_e64 v21, v1, v9, s3
	v_cmp_eq_u32_e32 vcc_lo, 1, v71
	v_cndmask_b32_e64 v22, v5, v13, s3
	v_cmp_eq_u32_e64 s3, 2, v70
	v_cndmask_b32_e64 v19, v1, v9, s2
	v_cndmask_b32_e64 v20, v5, v13, s2
	v_cndmask_b32_e32 v1, v1, v9, vcc_lo
	v_cmp_eq_u32_e64 s2, 2, v71
	v_cndmask_b32_e32 v5, v5, v13, vcc_lo
	v_cndmask_b32_e64 v9, v17, v2, s3
	v_cmp_eq_u32_e32 vcc_lo, 3, v70
	v_cndmask_b32_e64 v13, v18, v6, s3
	v_cmp_eq_u32_e64 s3, 2, v69
	v_cndmask_b32_e64 v17, v19, v2, s4
	v_cndmask_b32_e64 v18, v20, v6, s4
	v_cmp_eq_u32_e64 s4, 3, v69
	v_cndmask_b32_e64 v1, v1, v2, s2
	v_cndmask_b32_e64 v19, v21, v2, s3
	;; [unrolled: 1-line block ×4, first 2 shown]
	v_cndmask_b32_e32 v5, v9, v10, vcc_lo
	v_cndmask_b32_e32 v6, v13, v14, vcc_lo
	v_cmp_eq_u32_e32 vcc_lo, 3, v71
	v_cndmask_b32_e64 v9, v17, v10, s5
	v_cndmask_b32_e64 v13, v18, v14, s5
	;; [unrolled: 1-line block ×3, first 2 shown]
	v_cmp_eq_u32_e64 s3, 4, v70
	v_cndmask_b32_e32 v1, v1, v10, vcc_lo
	v_cndmask_b32_e32 v2, v2, v14, vcc_lo
	v_cmp_eq_u32_e32 vcc_lo, 4, v72
	v_lshrrev_b32_e32 v15, 16, v7
	v_lshrrev_b32_e32 v16, 16, v8
	v_cndmask_b32_e64 v17, v19, v10, s4
	v_cmp_eq_u32_e64 s2, 4, v71
	v_cndmask_b32_e64 v5, v5, v3, s3
	v_cndmask_b32_e64 v6, v6, v7, s3
	v_cndmask_b32_e32 v9, v9, v3, vcc_lo
	v_cmp_eq_u32_e64 s3, 5, v72
	v_cndmask_b32_e32 v10, v13, v7, vcc_lo
	v_cmp_eq_u32_e32 vcc_lo, 4, v69
	v_cmp_eq_u32_e64 s4, 5, v70
	v_cndmask_b32_e64 v2, v2, v7, s2
	v_cndmask_b32_e64 v9, v9, v11, s3
	;; [unrolled: 1-line block ×3, first 2 shown]
	v_cndmask_b32_e32 v13, v17, v3, vcc_lo
	v_cmp_eq_u32_e64 s3, 5, v69
	v_cndmask_b32_e32 v14, v18, v7, vcc_lo
	v_cndmask_b32_e64 v1, v1, v3, s2
	v_cmp_eq_u32_e32 vcc_lo, 5, v71
	v_lshrrev_b32_e32 v12, 16, v4
	v_cndmask_b32_e64 v13, v13, v11, s3
	v_cndmask_b32_e64 v3, v14, v15, s3
	v_cmp_eq_u32_e64 s3, 6, v71
	v_cndmask_b32_e32 v1, v1, v11, vcc_lo
	v_cndmask_b32_e64 v5, v5, v11, s4
	v_cmp_eq_u32_e64 s5, 6, v70
	v_cndmask_b32_e64 v6, v6, v15, s4
	v_cmp_eq_u32_e64 s4, 6, v72
	v_cmp_eq_u32_e64 s2, 6, v69
	v_cndmask_b32_e64 v1, v1, v4, s3
	v_cndmask_b32_e32 v2, v2, v15, vcc_lo
	v_cmp_eq_u32_e32 vcc_lo, 7, v71
	v_cndmask_b32_e64 v5, v5, v4, s5
	v_cndmask_b32_e64 v9, v9, v4, s4
	;; [unrolled: 1-line block ×3, first 2 shown]
	v_cmp_eq_u32_e64 s5, 7, v70
	v_cndmask_b32_e32 v1, v1, v12, vcc_lo
	v_cndmask_b32_e64 v7, v13, v4, s2
	v_cndmask_b32_e64 v3, v3, v8, s2
	;; [unrolled: 1-line block ×3, first 2 shown]
	v_cmp_eq_u32_e64 s2, 7, v69
	v_cndmask_b32_e64 v4, v10, v8, s4
	v_cndmask_b32_e64 v5, v5, v12, s5
	;; [unrolled: 1-line block ×3, first 2 shown]
	v_cndmask_b32_e32 v2, v2, v16, vcc_lo
	v_cndmask_b32_e64 v7, v7, v12, s2
	v_cndmask_b32_e64 v3, v3, v16, s2
	;; [unrolled: 1-line block ×4, first 2 shown]
	v_perm_b32 v4, v2, v1, 0x5040100
	s_mov_b32 s2, exec_lo
	v_perm_b32 v3, v3, v7, 0x5040100
	v_perm_b32 v2, v8, v9, 0x5040100
	;; [unrolled: 1-line block ×3, first 2 shown]
	ds_store_b128 v74, v[1:4]
	s_waitcnt lgkmcnt(0)
	s_barrier
	buffer_gl0_inv
	v_cmpx_gt_u32_e32 32, v0
	s_cbranch_execz .LBB1235_2
; %bb.15:
	s_load_b64 s[0:1], s[0:1], 0x68
	s_lshl_b32 s4, s34, 7
	v_or_b32_e32 v3, s31, v66
	s_mul_i32 s2, s4, s30
	v_lshlrev_b32_e32 v0, 10, v0
	s_mul_i32 s2, s2, s7
	v_lshlrev_b32_e32 v1, 4, v67
	s_ashr_i32 s3, s2, 31
	v_mul_lo_u32 v12, v3, s4
	s_lshl_b64 s[2:3], s[2:3], 1
	v_lshlrev_b32_e32 v2, 6, v66
	v_and_b32_e32 v0, 0x3800, v0
	s_delay_alu instid0(VALU_DEP_1) | instskip(NEXT) | instid1(VALU_DEP_4)
	v_or3_b32 v8, v0, v1, v2
	v_ashrrev_i32_e32 v13, 31, v12
	ds_load_b128 v[0:3], v8
	ds_load_b128 v[4:7], v8 offset:128
	ds_load_b128 v[8:11], v8 offset:256
	s_waitcnt lgkmcnt(0)
	s_add_u32 s2, s0, s2
	s_addc_u32 s3, s1, s3
	s_lshl_b32 s0, s14, 7
	s_delay_alu instid0(SALU_CYCLE_1) | instskip(NEXT) | instid1(SALU_CYCLE_1)
	s_ashr_i32 s1, s0, 31
	s_lshl_b64 s[0:1], s[0:1], 1
	s_delay_alu instid0(SALU_CYCLE_1)
	s_add_u32 s0, s2, s0
	s_addc_u32 s1, s3, s1
	s_lshl_b32 s2, s34, 8
	v_add_co_u32 v18, s0, s0, v65
	v_add_nc_u32_e32 v14, s2, v12
	v_lshlrev_b64 v[12:13], 1, v[12:13]
	v_add_co_ci_u32_e64 v19, null, s1, 0, s0
	s_delay_alu instid0(VALU_DEP_3) | instskip(SKIP_1) | instid1(VALU_DEP_4)
	v_add_nc_u32_e32 v16, s2, v14
	v_ashrrev_i32_e32 v15, 31, v14
	v_add_co_u32 v12, vcc_lo, v18, v12
	s_delay_alu instid0(VALU_DEP_4) | instskip(NEXT) | instid1(VALU_DEP_4)
	v_add_co_ci_u32_e32 v13, vcc_lo, v19, v13, vcc_lo
	v_ashrrev_i32_e32 v17, 31, v16
	s_delay_alu instid0(VALU_DEP_4) | instskip(NEXT) | instid1(VALU_DEP_2)
	v_lshlrev_b64 v[14:15], 1, v[14:15]
	v_lshlrev_b64 v[16:17], 1, v[16:17]
	s_delay_alu instid0(VALU_DEP_2) | instskip(NEXT) | instid1(VALU_DEP_3)
	v_add_co_u32 v14, vcc_lo, v18, v14
	v_add_co_ci_u32_e32 v15, vcc_lo, v19, v15, vcc_lo
	s_delay_alu instid0(VALU_DEP_3) | instskip(NEXT) | instid1(VALU_DEP_4)
	v_add_co_u32 v16, vcc_lo, v18, v16
	v_add_co_ci_u32_e32 v17, vcc_lo, v19, v17, vcc_lo
	s_clause 0x2
	global_store_b128 v[12:13], v[0:3], off
	global_store_b128 v[14:15], v[4:7], off
	;; [unrolled: 1-line block ×3, first 2 shown]
	s_nop 0
	s_sendmsg sendmsg(MSG_DEALLOC_VGPRS)
	s_endpgm
	.section	.rodata,"a",@progbits
	.p2align	6, 0x0
	.amdhsa_kernel _Z39paged_attention_ll4mi_QKV_mfma16_kernelIDF16_hLN4vllm18Fp8KVCacheDataTypeE1EhLi16ELi128ELi256ELb0ELi6EL8MFMAType0EEvPKT_PKT0_S8_ifPKiSA_SA_iPKfiiiPfSD_PS3_PT2_iSC_SC_
		.amdhsa_group_segment_fixed_size 17472
		.amdhsa_private_segment_fixed_size 0
		.amdhsa_kernarg_size 400
		.amdhsa_user_sgpr_count 13
		.amdhsa_user_sgpr_dispatch_ptr 0
		.amdhsa_user_sgpr_queue_ptr 0
		.amdhsa_user_sgpr_kernarg_segment_ptr 1
		.amdhsa_user_sgpr_dispatch_id 0
		.amdhsa_user_sgpr_private_segment_size 0
		.amdhsa_wavefront_size32 1
		.amdhsa_uses_dynamic_stack 0
		.amdhsa_enable_private_segment 0
		.amdhsa_system_sgpr_workgroup_id_x 1
		.amdhsa_system_sgpr_workgroup_id_y 1
		.amdhsa_system_sgpr_workgroup_id_z 1
		.amdhsa_system_sgpr_workgroup_info 0
		.amdhsa_system_vgpr_workitem_id 0
		.amdhsa_next_free_vgpr 150
		.amdhsa_next_free_sgpr 36
		.amdhsa_reserve_vcc 1
		.amdhsa_float_round_mode_32 0
		.amdhsa_float_round_mode_16_64 0
		.amdhsa_float_denorm_mode_32 3
		.amdhsa_float_denorm_mode_16_64 3
		.amdhsa_dx10_clamp 1
		.amdhsa_ieee_mode 1
		.amdhsa_fp16_overflow 0
		.amdhsa_workgroup_processor_mode 1
		.amdhsa_memory_ordered 1
		.amdhsa_forward_progress 0
		.amdhsa_shared_vgpr_count 0
		.amdhsa_exception_fp_ieee_invalid_op 0
		.amdhsa_exception_fp_denorm_src 0
		.amdhsa_exception_fp_ieee_div_zero 0
		.amdhsa_exception_fp_ieee_overflow 0
		.amdhsa_exception_fp_ieee_underflow 0
		.amdhsa_exception_fp_ieee_inexact 0
		.amdhsa_exception_int_div_zero 0
	.end_amdhsa_kernel
	.section	.text._Z39paged_attention_ll4mi_QKV_mfma16_kernelIDF16_hLN4vllm18Fp8KVCacheDataTypeE1EhLi16ELi128ELi256ELb0ELi6EL8MFMAType0EEvPKT_PKT0_S8_ifPKiSA_SA_iPKfiiiPfSD_PS3_PT2_iSC_SC_,"axG",@progbits,_Z39paged_attention_ll4mi_QKV_mfma16_kernelIDF16_hLN4vllm18Fp8KVCacheDataTypeE1EhLi16ELi128ELi256ELb0ELi6EL8MFMAType0EEvPKT_PKT0_S8_ifPKiSA_SA_iPKfiiiPfSD_PS3_PT2_iSC_SC_,comdat
.Lfunc_end1235:
	.size	_Z39paged_attention_ll4mi_QKV_mfma16_kernelIDF16_hLN4vllm18Fp8KVCacheDataTypeE1EhLi16ELi128ELi256ELb0ELi6EL8MFMAType0EEvPKT_PKT0_S8_ifPKiSA_SA_iPKfiiiPfSD_PS3_PT2_iSC_SC_, .Lfunc_end1235-_Z39paged_attention_ll4mi_QKV_mfma16_kernelIDF16_hLN4vllm18Fp8KVCacheDataTypeE1EhLi16ELi128ELi256ELb0ELi6EL8MFMAType0EEvPKT_PKT0_S8_ifPKiSA_SA_iPKfiiiPfSD_PS3_PT2_iSC_SC_
                                        ; -- End function
	.section	.AMDGPU.csdata,"",@progbits
; Kernel info:
; codeLenInByte = 6620
; NumSgprs: 38
; NumVgprs: 150
; ScratchSize: 0
; MemoryBound: 0
; FloatMode: 240
; IeeeMode: 1
; LDSByteSize: 17472 bytes/workgroup (compile time only)
; SGPRBlocks: 4
; VGPRBlocks: 18
; NumSGPRsForWavesPerEU: 38
; NumVGPRsForWavesPerEU: 150
; Occupancy: 9
; WaveLimiterHint : 1
; COMPUTE_PGM_RSRC2:SCRATCH_EN: 0
; COMPUTE_PGM_RSRC2:USER_SGPR: 13
; COMPUTE_PGM_RSRC2:TRAP_HANDLER: 0
; COMPUTE_PGM_RSRC2:TGID_X_EN: 1
; COMPUTE_PGM_RSRC2:TGID_Y_EN: 1
; COMPUTE_PGM_RSRC2:TGID_Z_EN: 1
; COMPUTE_PGM_RSRC2:TIDIG_COMP_CNT: 0
	.section	.text._Z39paged_attention_ll4mi_QKV_mfma16_kernelIDF16_hLN4vllm18Fp8KVCacheDataTypeE1EhLi16ELi128ELi256ELb0ELi7EL8MFMAType0EEvPKT_PKT0_S8_ifPKiSA_SA_iPKfiiiPfSD_PS3_PT2_iSC_SC_,"axG",@progbits,_Z39paged_attention_ll4mi_QKV_mfma16_kernelIDF16_hLN4vllm18Fp8KVCacheDataTypeE1EhLi16ELi128ELi256ELb0ELi7EL8MFMAType0EEvPKT_PKT0_S8_ifPKiSA_SA_iPKfiiiPfSD_PS3_PT2_iSC_SC_,comdat
	.protected	_Z39paged_attention_ll4mi_QKV_mfma16_kernelIDF16_hLN4vllm18Fp8KVCacheDataTypeE1EhLi16ELi128ELi256ELb0ELi7EL8MFMAType0EEvPKT_PKT0_S8_ifPKiSA_SA_iPKfiiiPfSD_PS3_PT2_iSC_SC_ ; -- Begin function _Z39paged_attention_ll4mi_QKV_mfma16_kernelIDF16_hLN4vllm18Fp8KVCacheDataTypeE1EhLi16ELi128ELi256ELb0ELi7EL8MFMAType0EEvPKT_PKT0_S8_ifPKiSA_SA_iPKfiiiPfSD_PS3_PT2_iSC_SC_
	.globl	_Z39paged_attention_ll4mi_QKV_mfma16_kernelIDF16_hLN4vllm18Fp8KVCacheDataTypeE1EhLi16ELi128ELi256ELb0ELi7EL8MFMAType0EEvPKT_PKT0_S8_ifPKiSA_SA_iPKfiiiPfSD_PS3_PT2_iSC_SC_
	.p2align	8
	.type	_Z39paged_attention_ll4mi_QKV_mfma16_kernelIDF16_hLN4vllm18Fp8KVCacheDataTypeE1EhLi16ELi128ELi256ELb0ELi7EL8MFMAType0EEvPKT_PKT0_S8_ifPKiSA_SA_iPKfiiiPfSD_PS3_PT2_iSC_SC_,@function
_Z39paged_attention_ll4mi_QKV_mfma16_kernelIDF16_hLN4vllm18Fp8KVCacheDataTypeE1EhLi16ELi128ELi256ELb0ELi7EL8MFMAType0EEvPKT_PKT0_S8_ifPKiSA_SA_iPKfiiiPfSD_PS3_PT2_iSC_SC_: ; @_Z39paged_attention_ll4mi_QKV_mfma16_kernelIDF16_hLN4vllm18Fp8KVCacheDataTypeE1EhLi16ELi128ELi256ELb0ELi7EL8MFMAType0EEvPKT_PKT0_S8_ifPKiSA_SA_iPKfiiiPfSD_PS3_PT2_iSC_SC_
; %bb.0:
	s_load_b64 s[4:5], s[0:1], 0x30
	s_mov_b32 s34, s13
	s_waitcnt lgkmcnt(0)
	s_cmp_lg_u64 s[4:5], 0
	s_cselect_b32 s8, -1, 0
	s_ashr_i32 s35, s13, 31
	s_cmp_eq_u64 s[4:5], 0
	s_cbranch_scc1 .LBB1236_3
; %bb.1:
	s_lshl_b64 s[2:3], s[34:35], 2
	s_delay_alu instid0(SALU_CYCLE_1) | instskip(SKIP_4) | instid1(SALU_CYCLE_1)
	s_add_u32 s2, s4, s2
	s_addc_u32 s3, s5, s3
	s_load_b64 s[2:3], s[2:3], 0x0
	s_waitcnt lgkmcnt(0)
	s_sub_i32 s2, s3, s2
	s_cmp_eq_u32 s2, 1
	s_cselect_b32 s2, -1, 0
	s_delay_alu instid0(SALU_CYCLE_1)
	s_and_not1_b32 vcc_lo, exec_lo, s2
	s_cbranch_vccz .LBB1236_4
.LBB1236_2:
	s_nop 0
	s_sendmsg sendmsg(MSG_DEALLOC_VGPRS)
	s_endpgm
.LBB1236_3:
.LBB1236_4:
	s_load_b64 s[2:3], s[0:1], 0x28
	s_lshl_b64 s[6:7], s[34:35], 2
	s_waitcnt lgkmcnt(0)
	s_add_u32 s2, s2, s6
	s_addc_u32 s3, s3, s7
	s_lshl_b32 s12, s14, 8
	s_load_b32 s24, s[2:3], 0x0
	s_waitcnt lgkmcnt(0)
	s_cmp_ge_i32 s12, s24
	s_cbranch_scc1 .LBB1236_2
; %bb.5:
	s_clause 0x1
	s_load_b128 s[20:23], s[0:1], 0x8
	s_load_b64 s[2:3], s[0:1], 0x20
	s_and_not1_b32 vcc_lo, exec_lo, s8
	s_cbranch_vccnz .LBB1236_7
; %bb.6:
	s_add_u32 s4, s4, s6
	s_addc_u32 s5, s5, s7
	s_load_b32 s5, s[4:5], 0x0
	s_branch .LBB1236_8
.LBB1236_7:
	s_mov_b32 s5, s34
.LBB1236_8:
	s_load_b128 s[16:19], s[0:1], 0x48
	v_and_b32_e32 v68, 15, v0
	v_lshrrev_b32_e32 v69, 5, v0
	v_bfe_u32 v66, v0, 4, 1
	v_and_b32_e32 v70, 31, v0
	v_and_b32_e32 v67, 1, v0
	v_lshlrev_b32_e32 v2, 3, v68
	s_mul_i32 s31, s15, 7
	v_lshl_or_b32 v1, v69, 1, v66
	s_mov_b32 s4, exec_lo
	s_delay_alu instid0(VALU_DEP_2) | instskip(NEXT) | instid1(VALU_DEP_2)
	v_lshlrev_b32_e32 v65, 1, v2
	v_cmpx_gt_u32_e32 7, v1
	s_cbranch_execz .LBB1236_10
; %bb.9:
	s_load_b64 s[6:7], s[0:1], 0x0
	v_add_lshl_u32 v2, v1, s31, 7
	s_waitcnt lgkmcnt(0)
	s_mul_hi_i32 s9, s5, s16
	s_mul_i32 s8, s5, s16
	v_lshlrev_b32_e32 v6, 10, v68
	s_lshl_b64 s[8:9], s[8:9], 1
	v_ashrrev_i32_e32 v3, 31, v2
	v_lshlrev_b32_e32 v1, 6, v1
	v_lshlrev_b32_e32 v7, 10, v67
	v_and_b32_e32 v6, 0x3800, v6
	s_delay_alu instid0(VALU_DEP_4) | instskip(NEXT) | instid1(VALU_DEP_2)
	v_lshlrev_b64 v[2:3], 1, v[2:3]
	v_or3_b32 v1, v6, v7, v1
	s_add_u32 s5, s6, s8
	s_addc_u32 s6, s7, s9
	s_delay_alu instid0(VALU_DEP_2) | instskip(NEXT) | instid1(VALU_DEP_3)
	v_add_co_u32 v2, vcc_lo, s5, v2
	v_add_co_ci_u32_e32 v3, vcc_lo, s6, v3, vcc_lo
	s_delay_alu instid0(VALU_DEP_2) | instskip(NEXT) | instid1(VALU_DEP_2)
	v_add_co_u32 v2, vcc_lo, v2, v65
	v_add_co_ci_u32_e32 v3, vcc_lo, 0, v3, vcc_lo
	global_load_b128 v[2:5], v[2:3], off
	s_waitcnt vmcnt(0)
	ds_store_b128 v1, v[2:5]
.LBB1236_10:
	s_or_b32 exec_lo, exec_lo, s4
	v_and_b32_e32 v1, 0xef, v0
	s_waitcnt lgkmcnt(0)
	s_add_i32 s5, s24, 15
	s_clause 0x1
	s_load_b32 s4, s[0:1], 0x38
	s_load_b32 s33, s[0:1], 0x98
	s_ashr_i32 s6, s5, 31
	v_add_nc_u32_e32 v1, s12, v1
	s_lshr_b32 s6, s6, 28
	s_load_b32 s19, s[0:1], 0x1c
	s_add_i32 s5, s5, s6
	s_waitcnt lgkmcnt(0)
	v_ashrrev_i32_e32 v2, 31, v1
	v_or_b32_e32 v3, 16, v1
	s_ashr_i32 s13, s5, 4
	v_cmp_gt_i32_e32 vcc_lo, s24, v1
	s_add_i32 s13, s13, -1
	v_lshrrev_b32_e32 v2, 28, v2
	s_barrier
	buffer_gl0_inv
	s_mul_i32 s15, s15, s18
	v_add_nc_u32_e32 v4, v1, v2
	s_mul_i32 s4, s34, s4
	s_delay_alu instid0(SALU_CYCLE_1) | instskip(NEXT) | instid1(VALU_DEP_1)
	s_ashr_i32 s5, s4, 31
	v_ashrrev_i32_e32 v4, 4, v4
	v_add_nc_u32_e32 v2, v3, v2
	s_lshl_b64 s[4:5], s[4:5], 2
	s_delay_alu instid0(SALU_CYCLE_1) | instskip(NEXT) | instid1(VALU_DEP_2)
	s_add_u32 s16, s2, s4
	v_cndmask_b32_e32 v1, s13, v4, vcc_lo
	s_delay_alu instid0(VALU_DEP_2)
	v_ashrrev_i32_e32 v2, 4, v2
	v_cmp_gt_i32_e32 vcc_lo, s24, v3
	s_addc_u32 s25, s3, s5
	s_ashr_i32 s18, s15, 31
	s_add_u32 s26, s20, s15
	s_addc_u32 s27, s21, s18
	v_cndmask_b32_e32 v3, s13, v2, vcc_lo
	v_ashrrev_i32_e32 v2, 31, v1
	s_lshl_b32 s2, s14, 4
	s_delay_alu instid0(SALU_CYCLE_1) | instskip(NEXT) | instid1(VALU_DEP_2)
	s_ashr_i32 s3, s2, 31
	v_ashrrev_i32_e32 v4, 31, v3
	s_delay_alu instid0(VALU_DEP_2) | instskip(SKIP_1) | instid1(SALU_CYCLE_1)
	v_lshlrev_b64 v[1:2], 2, v[1:2]
	s_lshl_b64 s[2:3], s[2:3], 2
	s_add_u32 s2, s16, s2
	s_delay_alu instid0(VALU_DEP_2) | instskip(SKIP_1) | instid1(VALU_DEP_2)
	v_lshlrev_b64 v[3:4], 2, v[3:4]
	s_addc_u32 s3, s25, s3
	v_add_co_u32 v1, vcc_lo, s16, v1
	v_add_co_ci_u32_e32 v2, vcc_lo, s25, v2, vcc_lo
	s_delay_alu instid0(VALU_DEP_3) | instskip(NEXT) | instid1(VALU_DEP_4)
	v_add_co_u32 v3, vcc_lo, s16, v3
	v_add_co_ci_u32_e32 v4, vcc_lo, s25, v4, vcc_lo
	s_clause 0x1
	global_load_b32 v5, v[1:2], off
	global_load_b32 v7, v[3:4], off
	s_or_b32 s4, s12, 32
	v_lshlrev_b32_e32 v1, 4, v0
	s_ashr_i32 s5, s4, 4
	s_cmp_lt_i32 s4, s24
	s_cselect_b32 s4, s5, s13
	s_delay_alu instid0(VALU_DEP_1) | instskip(SKIP_1) | instid1(SALU_CYCLE_1)
	v_and_b32_e32 v1, 0xf0, v1
	s_ashr_i32 s5, s4, 31
	s_lshl_b64 s[4:5], s[4:5], 2
	s_delay_alu instid0(SALU_CYCLE_1)
	s_add_u32 s4, s16, s4
	s_addc_u32 s5, s25, s5
	s_or_b32 s6, s12, 64
	v_add_co_u32 v1, s26, s26, v1
	s_ashr_i32 s7, s6, 4
	s_cmp_lt_i32 s6, s24
	v_add_co_ci_u32_e64 v2, null, s27, 0, s26
	s_cselect_b32 s6, s7, s13
	s_delay_alu instid0(SALU_CYCLE_1) | instskip(NEXT) | instid1(SALU_CYCLE_1)
	s_ashr_i32 s7, s6, 31
	s_lshl_b64 s[6:7], s[6:7], 2
	s_delay_alu instid0(SALU_CYCLE_1) | instskip(SKIP_2) | instid1(SALU_CYCLE_1)
	s_add_u32 s6, s16, s6
	s_addc_u32 s7, s25, s7
	s_or_b32 s8, s12, 0x60
	s_ashr_i32 s9, s8, 4
	s_cmp_lt_i32 s8, s24
	s_cselect_b32 s8, s9, s13
	s_delay_alu instid0(SALU_CYCLE_1) | instskip(NEXT) | instid1(SALU_CYCLE_1)
	s_ashr_i32 s9, s8, 31
	s_lshl_b64 s[8:9], s[8:9], 2
	s_delay_alu instid0(SALU_CYCLE_1) | instskip(SKIP_2) | instid1(SALU_CYCLE_1)
	s_add_u32 s8, s16, s8
	s_addc_u32 s9, s25, s9
	s_or_b32 s10, s12, 0x80
	s_ashr_i32 s11, s10, 4
	s_cmp_lt_i32 s10, s24
	;; [unrolled: 10-line block ×3, first 2 shown]
	s_cselect_b32 s20, s21, s13
	s_delay_alu instid0(SALU_CYCLE_1) | instskip(NEXT) | instid1(SALU_CYCLE_1)
	s_ashr_i32 s21, s20, 31
	s_lshl_b64 s[20:21], s[20:21], 2
	s_delay_alu instid0(SALU_CYCLE_1)
	s_add_u32 s20, s16, s20
	s_addc_u32 s21, s25, s21
	s_clause 0x5
	s_load_b32 s26, s[2:3], 0x0
	s_load_b32 s27, s[4:5], 0x0
	;; [unrolled: 1-line block ×6, first 2 shown]
	s_or_b32 s2, s12, 0xc0
	s_mov_b32 s4, 0
	s_ashr_i32 s3, s2, 4
	s_cmp_lt_i32 s2, s24
	s_mov_b32 s11, s4
	s_cselect_b32 s2, s3, s13
	s_mov_b32 s5, s4
	s_ashr_i32 s3, s2, 31
	s_mov_b32 s6, s4
	s_lshl_b64 s[2:3], s[2:3], 2
	s_mov_b32 s7, s4
	s_add_u32 s2, s16, s2
	s_addc_u32 s3, s25, s3
	s_or_b32 s20, s12, 0xe0
	s_mov_b32 s8, s4
	s_ashr_i32 s21, s20, 4
	s_cmp_lt_i32 s20, s24
	s_mov_b32 s9, s4
	s_cselect_b32 s20, s21, s13
	s_mov_b32 s10, s4
	s_ashr_i32 s21, s20, 31
	v_mov_b32_e32 v118, s11
	v_dual_mov_b32 v112, s5 :: v_dual_mov_b32 v117, s10
	v_dual_mov_b32 v116, s9 :: v_dual_mov_b32 v115, s8
	;; [unrolled: 1-line block ×3, first 2 shown]
	v_mov_b32_e32 v111, s4
	s_lshl_b64 s[4:5], s[20:21], 2
	s_delay_alu instid0(SALU_CYCLE_1)
	s_add_u32 s4, s16, s4
	s_addc_u32 s5, s25, s5
	s_add_u32 s6, s22, s15
	s_addc_u32 s7, s23, s18
	s_waitcnt vmcnt(1)
	v_mad_i64_i32 v[3:4], null, v5, s17, v[1:2]
	s_waitcnt vmcnt(0)
	v_mad_i64_i32 v[5:6], null, v7, s17, v[1:2]
	v_mul_lo_u16 v1, v68, 37
	v_lshlrev_b32_e32 v2, 4, v68
	s_clause 0xf
	global_load_b128 v[17:20], v[3:4], off
	global_load_b128 v[21:24], v[3:4], off offset:256
	global_load_b128 v[25:28], v[5:6], off
	global_load_b128 v[29:32], v[5:6], off offset:256
	global_load_b128 v[57:60], v[3:4], off offset:512
	;; [unrolled: 1-line block ×13, first 2 shown]
	v_lshrrev_b16 v1, 8, v1
	s_delay_alu instid0(VALU_DEP_1) | instskip(NEXT) | instid1(VALU_DEP_1)
	v_mul_lo_u16 v1, v1, 7
	v_sub_nc_u16 v1, v68, v1
	s_delay_alu instid0(VALU_DEP_1) | instskip(NEXT) | instid1(VALU_DEP_1)
	v_and_b32_e32 v1, 0xff, v1
	v_lshlrev_b32_e32 v149, 6, v1
	v_lshl_or_b32 v1, v69, 8, v2
	ds_load_b128 v[119:122], v149
	ds_load_b128 v[123:126], v149 offset:1024
	ds_load_b128 v[127:130], v149 offset:2048
	;; [unrolled: 1-line block ×3, first 2 shown]
	s_clause 0x1
	s_load_b32 s2, s[2:3], 0x0
	s_load_b32 s3, s[4:5], 0x0
	v_add_co_u32 v135, s6, s6, v1
	s_delay_alu instid0(VALU_DEP_1) | instskip(SKIP_1) | instid1(VALU_DEP_1)
	v_add_co_ci_u32_e64 v136, null, s7, 0, s6
	s_waitcnt lgkmcnt(0)
	v_mad_i64_i32 v[1:2], null, s26, s17, v[135:136]
	v_mad_i64_i32 v[3:4], null, s27, s17, v[135:136]
	;; [unrolled: 1-line block ×6, first 2 shown]
	s_clause 0x9
	global_load_b128 v[49:52], v[1:2], off
	global_load_b128 v[53:56], v[1:2], off offset:16
	global_load_b128 v[41:44], v[3:4], off
	global_load_b128 v[45:48], v[3:4], off offset:16
	;; [unrolled: 2-line block ×5, first 2 shown]
	v_mad_i64_i32 v[145:146], null, s2, s17, v[135:136]
	v_mad_i64_i32 v[147:148], null, s3, s17, v[135:136]
	s_waitcnt vmcnt(24)
	v_wmma_f32_16x16x16_f16 v[135:142], v[17:24], v[119:126], v[111:118]
	s_waitcnt vmcnt(22)
	v_wmma_f32_16x16x16_f16 v[111:118], v[25:32], v[119:126], v[111:118]
	s_clause 0x3
	global_load_b128 v[17:20], v[143:144], off
	global_load_b128 v[21:24], v[143:144], off offset:16
	global_load_b128 v[25:28], v[145:146], off
	global_load_b128 v[29:32], v[145:146], off offset:16
	v_and_b32_e32 v119, 0xe0, v0
	s_waitcnt vmcnt(24)
	v_wmma_f32_16x16x16_f16 v[135:142], v[57:64], v[127:134], v[135:142]
	s_clause 0x1
	global_load_b128 v[57:60], v[147:148], off
	global_load_b128 v[61:64], v[147:148], off offset:16
	s_waitcnt vmcnt(24)
	v_wmma_f32_16x16x16_f16 v[111:118], v[71:78], v[127:134], v[111:118]
	ds_load_b128 v[71:74], v149 offset:4096
	ds_load_b128 v[75:78], v149 offset:5120
	v_add_nc_u32_e32 v128, s12, v119
	ds_load_b128 v[119:122], v149 offset:6144
	ds_load_b128 v[123:126], v149 offset:7168
	v_mbcnt_lo_u32_b32 v127, -1, 0
	s_waitcnt vmcnt(0) lgkmcnt(0)
	s_barrier
	v_or_b32_e32 v128, v128, v66
	buffer_gl0_inv
	v_xor_b32_e32 v129, 16, v127
	v_or_b32_e32 v130, 4, v128
	v_or_b32_e32 v131, 6, v128
	s_delay_alu instid0(VALU_DEP_3) | instskip(SKIP_4) | instid1(VALU_DEP_4)
	v_cmp_gt_i32_e32 vcc_lo, 32, v129
	v_or_b32_e32 v132, 8, v128
	v_or_b32_e32 v133, 10, v128
	v_cmp_gt_i32_e64 s3, s24, v130
	v_cmp_gt_i32_e64 s4, s24, v131
	;; [unrolled: 1-line block ×3, first 2 shown]
	v_wmma_f32_16x16x16_f16 v[135:142], v[79:86], v[71:78], v[135:142]
	v_wmma_f32_16x16x16_f16 v[111:118], v[87:94], v[71:78], v[111:118]
	v_or_b32_e32 v79, 12, v128
	v_or_b32_e32 v80, 14, v128
	v_cmp_gt_i32_e64 s6, s24, v133
	v_wmma_f32_16x16x16_f16 v[135:142], v[95:102], v[119:126], v[135:142]
	v_wmma_f32_16x16x16_f16 v[111:118], v[103:110], v[119:126], v[111:118]
	v_cndmask_b32_e32 v127, v127, v129, vcc_lo
	v_or_b32_e32 v129, 2, v128
	v_cmp_gt_i32_e32 vcc_lo, s24, v128
	s_delay_alu instid0(VALU_DEP_4) | instskip(SKIP_1) | instid1(VALU_DEP_4)
	v_dual_mul_f32 v87, s19, v136 :: v_dual_mul_f32 v94, s19, v113
	v_mul_f32_e32 v88, s19, v135
	v_cmp_gt_i32_e64 s2, s24, v129
	v_mul_f32_e32 v78, s19, v138
	v_mul_f32_e32 v86, s19, v137
	;; [unrolled: 1-line block ×3, first 2 shown]
	v_cndmask_b32_e32 v88, 0xff7fffff, v88, vcc_lo
	v_cndmask_b32_e64 v87, 0xff7fffff, v87, s2
	v_dual_mul_f32 v77, s19, v139 :: v_dual_mul_f32 v90, s19, v117
	v_cndmask_b32_e64 v86, 0xff7fffff, v86, s3
	v_cndmask_b32_e64 v78, 0xff7fffff, v78, s4
	s_delay_alu instid0(VALU_DEP_4)
	v_max3_f32 v87, v88, 0xff7fffff, v87
	v_or_b32_e32 v81, 16, v128
	v_or_b32_e32 v82, 18, v128
	v_dual_mul_f32 v74, s19, v142 :: v_dual_mul_f32 v75, s19, v141
	v_mul_f32_e32 v96, s19, v111
	v_cndmask_b32_e64 v77, 0xff7fffff, v77, s5
	v_cndmask_b32_e64 v76, 0xff7fffff, v76, s6
	v_max3_f32 v78, v87, v86, v78
	v_cmp_gt_i32_e64 s7, s24, v79
	v_cmp_gt_i32_e64 s8, s24, v80
	v_or_b32_e32 v83, 20, v128
	v_or_b32_e32 v84, 22, v128
	v_mul_f32_e32 v95, s19, v112
	v_cndmask_b32_e64 v75, 0xff7fffff, v75, s7
	v_cndmask_b32_e64 v74, 0xff7fffff, v74, s8
	v_max3_f32 v76, v78, v77, v76
	v_cmp_gt_i32_e64 s9, s24, v81
	v_cmp_gt_i32_e64 s10, s24, v82
	v_or_b32_e32 v85, 24, v128
	v_or_b32_e32 v71, 26, v128
	v_mul_f32_e32 v93, s19, v114
	v_cndmask_b32_e64 v77, 0xff7fffff, v96, s9
	v_cndmask_b32_e64 v78, 0xff7fffff, v95, s10
	v_max3_f32 v74, v76, v75, v74
	v_cmp_gt_i32_e64 s11, s24, v83
	v_cmp_gt_i32_e64 s12, s24, v84
	v_or_b32_e32 v72, 28, v128
	v_or_b32_e32 v73, 30, v128
	v_dual_mul_f32 v91, s19, v116 :: v_dual_mul_f32 v92, s19, v115
	v_cndmask_b32_e64 v75, 0xff7fffff, v94, s11
	v_cndmask_b32_e64 v76, 0xff7fffff, v93, s12
	v_max3_f32 v74, v74, v77, v78
	v_cmp_gt_i32_e64 s13, s24, v85
	v_cmp_gt_i32_e64 s15, s24, v71
	v_mul_f32_e32 v89, s19, v118
	v_cmp_gt_i32_e64 s16, s24, v72
	v_max3_f32 v74, v74, v75, v76
	v_cndmask_b32_e64 v77, 0xff7fffff, v92, s13
	v_cndmask_b32_e64 v71, 0xff7fffff, v91, s15
	v_cmp_gt_i32_e64 s17, s24, v73
	v_cndmask_b32_e64 v72, 0xff7fffff, v90, s16
	s_delay_alu instid0(VALU_DEP_3) | instskip(SKIP_1) | instid1(VALU_DEP_4)
	v_max3_f32 v71, v74, v77, v71
	v_lshlrev_b32_e32 v74, 2, v127
	v_cndmask_b32_e64 v73, 0xff7fffff, v89, s17
	s_delay_alu instid0(VALU_DEP_1) | instskip(SKIP_3) | instid1(VALU_DEP_1)
	v_max3_f32 v71, v71, v72, v73
	ds_bpermute_b32 v72, v74, v71
	s_waitcnt lgkmcnt(0)
	v_max_f32_e32 v72, v72, v72
	v_max_f32_e32 v71, v71, v72
	s_delay_alu instid0(VALU_DEP_1) | instskip(SKIP_4) | instid1(VALU_DEP_4)
	v_fma_f32 v72, s19, v135, -v71
	v_fma_f32 v73, s19, v136, -v71
	;; [unrolled: 1-line block ×5, first 2 shown]
	v_dual_mul_f32 v72, 0x3fb8aa3b, v72 :: v_dual_mul_f32 v73, 0x3fb8aa3b, v73
	s_delay_alu instid0(VALU_DEP_3) | instskip(SKIP_1) | instid1(VALU_DEP_3)
	v_dual_mul_f32 v75, 0x3fb8aa3b, v75 :: v_dual_mul_f32 v76, 0x3fb8aa3b, v76
	v_fma_f32 v80, s19, v141, -v71
	v_exp_f32_e32 v72, v72
	s_delay_alu instid0(VALU_DEP_3) | instskip(NEXT) | instid1(VALU_DEP_2)
	v_exp_f32_e32 v73, v73
	v_exp_f32_e32 v75, v75
	;; [unrolled: 1-line block ×3, first 2 shown]
	v_mul_f32_e32 v82, 0x3fb8aa3b, v80
	s_delay_alu instid0(VALU_DEP_1) | instskip(SKIP_4) | instid1(TRANS32_DEP_3)
	v_exp_f32_e32 v84, v82
	v_cndmask_b32_e32 v79, 0, v72, vcc_lo
	v_fma_f32 v72, s19, v140, -v71
	v_mul_f32_e32 v77, 0x3fb8aa3b, v77
	v_cndmask_b32_e64 v78, 0, v73, s2
	v_cndmask_b32_e64 v81, 0, v75, s3
	s_delay_alu instid0(VALU_DEP_4) | instskip(NEXT) | instid1(VALU_DEP_4)
	v_dual_add_f32 v73, 0, v79 :: v_dual_mul_f32 v72, 0x3fb8aa3b, v72
	v_exp_f32_e32 v77, v77
	v_cndmask_b32_e64 v80, 0, v76, s4
	s_delay_alu instid0(TRANS32_DEP_2) | instskip(NEXT) | instid1(VALU_DEP_3)
	v_cndmask_b32_e64 v85, 0, v84, s7
	v_add_f32_e32 v73, v73, v78
	v_exp_f32_e32 v72, v72
	v_cmp_gt_u32_e64 s2, 16, v70
	s_delay_alu instid0(VALU_DEP_2) | instskip(NEXT) | instid1(TRANS32_DEP_2)
	v_add_f32_e32 v73, v73, v81
	v_cndmask_b32_e64 v83, 0, v77, s5
	s_delay_alu instid0(VALU_DEP_2) | instskip(SKIP_3) | instid1(VALU_DEP_1)
	v_add_f32_e32 v73, v73, v80
	s_waitcnt_depctr 0xfff
	v_cndmask_b32_e64 v82, 0, v72, s6
	v_add_f32_e32 v72, v73, v83
	v_add_f32_e32 v72, v72, v82
	s_delay_alu instid0(VALU_DEP_1)
	v_add_f32_e32 v72, v72, v85
	v_fma_f32 v76, s19, v111, -v71
	v_fma_f32 v75, s19, v142, -v71
	;; [unrolled: 1-line block ×5, first 2 shown]
	s_delay_alu instid0(VALU_DEP_4) | instskip(NEXT) | instid1(VALU_DEP_3)
	v_dual_mul_f32 v76, 0x3fb8aa3b, v76 :: v_dual_mul_f32 v75, 0x3fb8aa3b, v75
	v_mul_f32_e32 v86, 0x3fb8aa3b, v86
	s_delay_alu instid0(VALU_DEP_2) | instskip(NEXT) | instid1(VALU_DEP_2)
	v_exp_f32_e32 v76, v76
	v_exp_f32_e32 v75, v75
	s_delay_alu instid0(VALU_DEP_1) | instskip(NEXT) | instid1(TRANS32_DEP_3)
	v_exp_f32_e32 v88, v86
	v_cndmask_b32_e64 v87, 0, v76, s9
	v_fma_f32 v76, s19, v116, -v71
	v_mul_f32_e32 v77, 0x3fb8aa3b, v77
	s_waitcnt_depctr 0xfff
	v_cndmask_b32_e64 v84, 0, v75, s8
	v_fma_f32 v75, s19, v115, -v71
	v_cndmask_b32_e64 v88, 0, v88, s12
	v_mul_f32_e32 v76, 0x3fb8aa3b, v76
	v_exp_f32_e32 v77, v77
	v_add_f32_e32 v72, v72, v84
	s_delay_alu instid0(VALU_DEP_2) | instskip(NEXT) | instid1(VALU_DEP_1)
	v_exp_f32_e32 v76, v76
	v_add_f32_e32 v72, v72, v87
	s_waitcnt_depctr 0xfff
	v_cndmask_b32_e64 v86, 0, v77, s10
	v_mul_f32_e32 v73, 0x3fb8aa3b, v73
	v_fma_f32 v77, s19, v117, -v71
	v_cndmask_b32_e64 v90, 0, v76, s15
	s_delay_alu instid0(VALU_DEP_4) | instskip(NEXT) | instid1(VALU_DEP_4)
	v_add_f32_e32 v72, v72, v86
	v_exp_f32_e32 v73, v73
	s_waitcnt_depctr 0xfff
	v_cndmask_b32_e64 v89, 0, v73, s11
	s_delay_alu instid0(VALU_DEP_1) | instskip(NEXT) | instid1(VALU_DEP_1)
	v_dual_mul_f32 v75, 0x3fb8aa3b, v75 :: v_dual_add_f32 v72, v72, v89
	v_exp_f32_e32 v75, v75
	v_mul_f32_e32 v73, 0x3fb8aa3b, v77
	v_fma_f32 v77, s19, v118, -v71
	s_delay_alu instid0(VALU_DEP_3) | instskip(NEXT) | instid1(VALU_DEP_3)
	v_add_f32_e32 v72, v72, v88
	v_exp_f32_e32 v73, v73
	s_waitcnt_depctr 0xfff
	v_cndmask_b32_e64 v91, 0, v75, s13
	s_delay_alu instid0(VALU_DEP_1) | instskip(NEXT) | instid1(VALU_DEP_1)
	v_dual_mul_f32 v75, 0x3fb8aa3b, v77 :: v_dual_add_f32 v72, v72, v91
	v_exp_f32_e32 v75, v75
	v_cndmask_b32_e64 v93, 0, v73, s16
	s_delay_alu instid0(VALU_DEP_2) | instskip(NEXT) | instid1(VALU_DEP_1)
	v_add_f32_e32 v72, v72, v90
	v_add_f32_e32 v72, v72, v93
	s_waitcnt_depctr 0xfff
	v_cndmask_b32_e64 v92, 0, v75, s17
	s_delay_alu instid0(VALU_DEP_1)
	v_add_f32_e32 v72, v72, v92
	ds_bpermute_b32 v73, v74, v72
	s_and_saveexec_b32 s3, s2
	s_cbranch_execz .LBB1236_12
; %bb.11:
	v_mul_u32_u24_e32 v70, 0x44, v69
	s_waitcnt lgkmcnt(0)
	v_add_f32_e32 v72, v72, v73
	s_delay_alu instid0(VALU_DEP_2) | instskip(NEXT) | instid1(VALU_DEP_1)
	v_lshl_add_u32 v70, v68, 2, v70
	v_add_nc_u32_e32 v70, 0x4000, v70
	ds_store_2addr_b32 v70, v71, v72 offset1:136
.LBB1236_12:
	s_or_b32 exec_lo, exec_lo, s3
	v_lshlrev_b32_e32 v70, 2, v68
	s_load_b32 s35, s[0:1], 0x94
	s_waitcnt lgkmcnt(0)
	s_barrier
	buffer_gl0_inv
	v_add_nc_u32_e32 v98, 0x4000, v70
	v_cmp_eq_u32_e32 vcc_lo, 1, v69
	v_cmp_eq_u32_e64 s3, 2, v69
	v_cmp_eq_u32_e64 s4, 3, v69
	;; [unrolled: 1-line block ×3, first 2 shown]
	ds_load_2addr_b32 v[70:71], v98 offset1:17
	ds_load_2addr_b32 v[72:73], v98 offset0:34 offset1:51
	ds_load_2addr_b32 v[74:75], v98 offset0:68 offset1:85
	;; [unrolled: 1-line block ×3, first 2 shown]
	v_cmp_eq_u32_e64 s6, 5, v69
	v_cmp_eq_u32_e64 s7, 7, v69
	s_waitcnt lgkmcnt(3)
	v_max3_f32 v76, v70, 0xff7fffff, v71
	s_waitcnt lgkmcnt(2)
	s_delay_alu instid0(VALU_DEP_1) | instskip(SKIP_1) | instid1(VALU_DEP_1)
	v_max3_f32 v76, v76, v72, v73
	s_waitcnt lgkmcnt(1)
	v_max3_f32 v76, v76, v74, v75
	s_waitcnt lgkmcnt(0)
	s_delay_alu instid0(VALU_DEP_1) | instskip(NEXT) | instid1(VALU_DEP_1)
	v_max3_f32 v76, v76, v94, v95
	v_sub_f32_e32 v77, v71, v76
	ds_load_2addr_b32 v[96:97], v98 offset0:136 offset1:153
	v_sub_f32_e32 v74, v74, v76
	v_sub_f32_e32 v70, v70, v76
	;; [unrolled: 1-line block ×3, first 2 shown]
	v_dual_sub_f32 v72, v72, v76 :: v_dual_mul_f32 v77, 0x3fb8aa3b, v77
	s_delay_alu instid0(VALU_DEP_4) | instskip(NEXT) | instid1(VALU_DEP_4)
	v_mul_f32_e32 v103, 0x3fb8aa3b, v74
	v_mul_f32_e32 v99, 0x3fb8aa3b, v70
	ds_load_2addr_b32 v[70:71], v98 offset0:170 offset1:187
	v_dual_mul_f32 v101, 0x3fb8aa3b, v72 :: v_dual_mul_f32 v94, 0x3fb8aa3b, v94
	v_exp_f32_e32 v102, v77
	v_exp_f32_e32 v99, v99
	s_delay_alu instid0(VALU_DEP_1) | instskip(NEXT) | instid1(VALU_DEP_1)
	v_exp_f32_e32 v101, v101
	v_exp_f32_e32 v94, v94
	s_waitcnt lgkmcnt(1)
	s_delay_alu instid0(TRANS32_DEP_3)
	v_fma_f32 v77, v99, v96, 0
	v_sub_f32_e32 v100, v73, v76
	ds_load_2addr_b32 v[72:73], v98 offset0:204 offset1:221
	v_fmac_f32_e32 v77, v102, v97
	v_exp_f32_e32 v97, v103
	s_waitcnt lgkmcnt(1)
	s_delay_alu instid0(VALU_DEP_1)
	v_dual_fmac_f32 v77, v101, v70 :: v_dual_sub_f32 v96, v75, v76
	ds_load_2addr_b32 v[74:75], v98 offset0:238 offset1:255
	v_sub_f32_e32 v70, v95, v76
	s_waitcnt lgkmcnt(0)
	s_barrier
	v_mul_f32_e32 v96, 0x3fb8aa3b, v96
	buffer_gl0_inv
	v_exp_f32_e32 v95, v96
	v_mul_f32_e32 v100, 0x3fb8aa3b, v100
	s_delay_alu instid0(VALU_DEP_1) | instskip(SKIP_3) | instid1(VALU_DEP_2)
	v_exp_f32_e32 v100, v100
	s_waitcnt_depctr 0xfff
	v_dual_fmac_f32 v77, v100, v71 :: v_dual_mul_f32 v70, 0x3fb8aa3b, v70
	v_cndmask_b32_e32 v71, v99, v102, vcc_lo
	v_fmac_f32_e32 v77, v97, v72
	s_delay_alu instid0(VALU_DEP_3) | instskip(NEXT) | instid1(VALU_DEP_1)
	v_exp_f32_e32 v96, v70
	v_fmac_f32_e32 v77, v95, v73
	s_delay_alu instid0(VALU_DEP_1) | instskip(SKIP_2) | instid1(VALU_DEP_1)
	v_fmac_f32_e32 v77, v94, v74
	s_waitcnt_depctr 0xfff
	v_fmac_f32_e32 v77, v96, v75
	v_add_f32_e32 v74, 0x358637bd, v77
	s_delay_alu instid0(VALU_DEP_1) | instskip(SKIP_1) | instid1(VALU_DEP_2)
	v_div_scale_f32 v98, null, v74, v74, 1.0
	v_div_scale_f32 v99, vcc_lo, 1.0, v74, 1.0
	v_rcp_f32_e32 v103, v98
	s_waitcnt_depctr 0xfff
	v_fma_f32 v70, -v98, v103, 1.0
	s_delay_alu instid0(VALU_DEP_1) | instskip(SKIP_2) | instid1(VALU_DEP_2)
	v_fmac_f32_e32 v103, v70, v103
	v_cndmask_b32_e64 v70, v71, v101, s3
	v_cmp_eq_u32_e64 s3, 6, v69
	v_cndmask_b32_e64 v71, v70, v100, s4
	s_delay_alu instid0(VALU_DEP_4) | instskip(NEXT) | instid1(VALU_DEP_2)
	v_dual_mul_f32 v101, v99, v103 :: v_dual_lshlrev_b32 v70, 2, v66
	v_cndmask_b32_e64 v71, v71, v97, s5
	s_delay_alu instid0(VALU_DEP_2) | instskip(NEXT) | instid1(VALU_DEP_3)
	v_or_b32_e32 v72, 1, v70
	v_fma_f32 v100, -v98, v101, v99
	v_cmp_eq_u32_e64 s4, 1, v70
	v_cmp_eq_u32_e64 s5, 2, v70
	v_cndmask_b32_e64 v95, v71, v95, s6
	v_or_b32_e32 v71, 3, v70
	v_fmac_f32_e32 v101, v100, v103
	v_cmp_eq_u32_e64 s9, 1, v72
	v_cmp_eq_u32_e64 s12, 2, v72
	v_cndmask_b32_e64 v94, v95, v94, s3
	v_cmp_eq_u32_e64 s11, 1, v71
	v_fma_f32 v97, -v98, v101, v99
	v_cmp_eq_u32_e64 s16, 2, v71
	v_cmp_eq_u32_e64 s13, 3, v72
	v_cndmask_b32_e64 v94, v94, v96, s7
	v_cmp_eq_u32_e64 s18, 3, v71
	v_div_fmas_f32 v95, v97, v103, v101
	v_cmp_eq_u32_e32 vcc_lo, 3, v70
	v_cmp_eq_u32_e64 s3, 4, v70
	v_cmp_eq_u32_e64 s19, 4, v72
	;; [unrolled: 1-line block ×3, first 2 shown]
	v_div_fixup_f32 v95, v95, v74, 1.0
	v_lshlrev_b32_e32 v73, 6, v68
	v_cmp_eq_u32_e64 s6, 5, v70
	v_cmp_eq_u32_e64 s20, 5, v72
	;; [unrolled: 1-line block ×3, first 2 shown]
	v_mul_f32_e32 v102, v94, v95
	v_lshl_or_b32 v75, v69, 11, v73
	v_or_b32_e32 v69, 2, v70
	v_cmp_eq_u32_e64 s25, 6, v72
	v_cmp_eq_u32_e64 s27, 6, v71
	v_fma_mixlo_f16 v94, v102, v79, 0
	v_fma_mixlo_f16 v95, v102, v81, 0
	v_fma_mixlo_f16 v96, v102, v83, 0
	v_fma_mixlo_f16 v97, v102, v85, 0
	v_fma_mixlo_f16 v98, v102, v87, 0
	v_fma_mixlo_f16 v99, v102, v89, 0
	v_fma_mixlo_f16 v100, v102, v91, 0
	v_fma_mixlo_f16 v101, v102, v93, 0
	v_lshl_or_b32 v74, v66, 4, v75
	v_fma_mixhi_f16 v94, v102, v78, 0
	v_fma_mixhi_f16 v95, v102, v80, 0
	;; [unrolled: 1-line block ×8, first 2 shown]
	ds_store_b128 v74, v[94:97]
	ds_store_b128 v74, v[98:101] offset:1024
	s_waitcnt lgkmcnt(0)
	s_barrier
	buffer_gl0_inv
	ds_load_b128 v[78:81], v75
	ds_load_b128 v[82:85], v75 offset:16
	ds_load_b128 v[86:89], v75 offset:1024
	;; [unrolled: 1-line block ×3, first 2 shown]
	v_cmp_eq_u32_e64 s10, 1, v69
	v_cmp_eq_u32_e64 s15, 2, v69
	;; [unrolled: 1-line block ×11, first 2 shown]
	s_waitcnt lgkmcnt(3)
	v_lshrrev_b32_e32 v94, 16, v78
	s_waitcnt lgkmcnt(2)
	v_lshrrev_b32_e32 v98, 16, v82
	;; [unrolled: 2-line block ×4, first 2 shown]
	v_lshrrev_b32_e32 v95, 16, v79
	v_cndmask_b32_e64 v110, v78, v94, s4
	v_cndmask_b32_e64 v111, v82, v98, s4
	;; [unrolled: 1-line block ×8, first 2 shown]
	v_lshrrev_b32_e32 v99, 16, v83
	v_cndmask_b32_e64 v94, v86, v102, s4
	v_cndmask_b32_e64 v98, v90, v106, s4
	;; [unrolled: 1-line block ×15, first 2 shown]
	v_lshrrev_b32_e32 v103, 16, v87
	v_lshrrev_b32_e32 v107, 16, v91
	v_cndmask_b32_e64 v113, v115, v83, s15
	v_cndmask_b32_e64 v82, v94, v87, s5
	v_cndmask_b32_e64 v83, v98, v91, s5
	v_cndmask_b32_e64 v94, v116, v87, s12
	v_cndmask_b32_e64 v98, v118, v87, s15
	v_cndmask_b32_e64 v86, v86, v87, s16
	v_cndmask_b32_e64 v87, v90, v91, s16
	v_cndmask_b32_e32 v90, v102, v95, vcc_lo
	v_cndmask_b32_e32 v102, v106, v99, vcc_lo
	v_cndmask_b32_e64 v106, v110, v95, s13
	v_cndmask_b32_e64 v110, v111, v99, s13
	;; [unrolled: 1-line block ×4, first 2 shown]
	v_lshrrev_b32_e32 v96, 16, v80
	v_lshrrev_b32_e32 v100, 16, v84
	v_cndmask_b32_e64 v111, v112, v95, s17
	v_cndmask_b32_e64 v112, v113, v99, s17
	v_cndmask_b32_e32 v82, v82, v103, vcc_lo
	v_cndmask_b32_e32 v83, v83, v107, vcc_lo
	v_cndmask_b32_e64 v94, v94, v103, s13
	v_cndmask_b32_e64 v90, v90, v80, s3
	;; [unrolled: 1-line block ×7, first 2 shown]
	v_lshrrev_b32_e32 v104, 16, v88
	v_cndmask_b32_e64 v106, v111, v80, s21
	v_cndmask_b32_e64 v110, v112, v84, s21
	;; [unrolled: 1-line block ×11, first 2 shown]
	v_lshrrev_b32_e32 v97, 16, v81
	v_lshrrev_b32_e32 v101, 16, v85
	v_cndmask_b32_e64 v99, v106, v96, s23
	v_cndmask_b32_e64 v102, v110, v100, s23
	;; [unrolled: 1-line block ×7, first 2 shown]
	v_lshrrev_b32_e32 v105, 16, v89
	v_cndmask_b32_e64 v80, v80, v104, s6
	v_cndmask_b32_e64 v84, v84, v81, s7
	;; [unrolled: 1-line block ×16, first 2 shown]
	v_perm_b32 v81, v79, v78, 0x5040100
	v_perm_b32 v79, v95, v85, 0x5040100
	v_cndmask_b32_e64 v78, v119, v91, s15
	v_cndmask_b32_e64 v85, v117, v91, s12
	;; [unrolled: 1-line block ×3, first 2 shown]
	v_perm_b32 v80, v94, v90, 0x5040100
	v_cndmask_b32_e64 v90, v98, v103, s17
	v_cndmask_b32_e64 v86, v86, v103, s18
	;; [unrolled: 1-line block ×5, first 2 shown]
	v_lshrrev_b32_e32 v108, 16, v92
	v_cndmask_b32_e64 v90, v90, v88, s21
	v_cndmask_b32_e64 v86, v86, v88, s22
	;; [unrolled: 1-line block ×11, first 2 shown]
	v_lshrrev_b32_e32 v109, 16, v93
	v_cndmask_b32_e64 v82, v82, v93, s7
	v_cndmask_b32_e64 v88, v88, v89, s26
	;; [unrolled: 1-line block ×12, first 2 shown]
	v_perm_b32 v78, v84, v83, 0x5040100
	v_perm_b32 v85, v87, v86, 0x5040100
	;; [unrolled: 1-line block ×5, first 2 shown]
	s_mul_i32 s8, s33, 7
	s_mov_b32 s3, exec_lo
	ds_store_b128 v74, v[78:81]
	ds_store_b128 v74, v[82:85] offset:1024
	v_cmpx_gt_u32_e32 7, v0
	s_cbranch_execz .LBB1236_14
; %bb.13:
	s_mul_i32 s4, s8, s34
	s_delay_alu instid0(SALU_CYCLE_1) | instskip(SKIP_1) | instid1(VALU_DEP_1)
	v_add3_u32 v68, s4, s31, v68
	s_load_b128 s[4:7], s[0:1], 0x58
	v_mad_u64_u32 v[78:79], null, v68, s35, s[14:15]
	s_delay_alu instid0(VALU_DEP_1) | instskip(NEXT) | instid1(VALU_DEP_1)
	v_ashrrev_i32_e32 v79, 31, v78
	v_lshlrev_b64 v[78:79], 2, v[78:79]
	s_waitcnt lgkmcnt(0)
	s_delay_alu instid0(VALU_DEP_1) | instskip(NEXT) | instid1(VALU_DEP_2)
	v_add_co_u32 v80, vcc_lo, s6, v78
	v_add_co_ci_u32_e32 v81, vcc_lo, s7, v79, vcc_lo
	v_add_co_u32 v78, vcc_lo, s4, v78
	v_add_co_ci_u32_e32 v79, vcc_lo, s5, v79, vcc_lo
	global_store_b32 v[80:81], v76, off
	global_store_b32 v[78:79], v77, off
.LBB1236_14:
	s_or_b32 exec_lo, exec_lo, s3
	s_waitcnt lgkmcnt(0)
	s_waitcnt_vscnt null, 0x0
	s_barrier
	buffer_gl0_inv
	ds_load_b128 v[84:87], v73
	ds_load_b128 v[88:91], v73 offset:16
	ds_load_b128 v[96:99], v73 offset:2064
	ds_load_b128 v[92:95], v73 offset:2048
	ds_load_b128 v[104:107], v73 offset:4112
	ds_load_b128 v[100:103], v73 offset:4096
	v_cmp_eq_u32_e32 vcc_lo, 1, v70
	v_mov_b32_e32 v76, 0
	ds_load_b128 v[112:115], v73 offset:6160
	ds_load_b128 v[108:111], v73 offset:6144
	;; [unrolled: 1-line block ×4, first 2 shown]
	v_cmp_eq_u32_e64 s4, 1, v69
	v_cmp_eq_u32_e64 s3, 1, v72
	;; [unrolled: 1-line block ×3, first 2 shown]
	v_mov_b32_e32 v77, v76
	v_mov_b32_e32 v78, v76
	;; [unrolled: 1-line block ×7, first 2 shown]
	v_cmp_eq_u32_e64 s6, 3, v72
	v_cmp_eq_u32_e64 s7, 7, v72
	s_waitcnt lgkmcnt(8)
	s_delay_alu instid0(VALU_DEP_3)
	v_wmma_f32_16x16x16_f16 v[76:83], v[49:56], v[84:91], v[76:83]
	ds_load_b128 v[53:56], v73 offset:10256
	ds_load_b128 v[49:52], v73 offset:10240
	s_waitcnt lgkmcnt(8)
	v_wmma_f32_16x16x16_f16 v[76:83], v[41:48], v[92:99], v[76:83]
	ds_load_b128 v[45:48], v73 offset:12304
	ds_load_b128 v[41:44], v73 offset:12288
	s_waitcnt lgkmcnt(8)
	;; [unrolled: 4-line block ×3, first 2 shown]
	s_barrier
	buffer_gl0_inv
	v_wmma_f32_16x16x16_f16 v[76:83], v[1:8], v[108:115], v[76:83]
	s_delay_alu instid0(VALU_DEP_1) | instskip(NEXT) | instid1(VALU_DEP_1)
	v_wmma_f32_16x16x16_f16 v[76:83], v[9:16], v[116:123], v[76:83]
	v_wmma_f32_16x16x16_f16 v[76:83], v[17:24], v[49:56], v[76:83]
	s_delay_alu instid0(VALU_DEP_1) | instskip(NEXT) | instid1(VALU_DEP_1)
	v_wmma_f32_16x16x16_f16 v[76:83], v[25:32], v[41:48], v[76:83]
	v_wmma_f32_16x16x16_f16 v[76:83], v[57:64], v[33:40], v[76:83]
	s_delay_alu instid0(VALU_DEP_1) | instskip(NEXT) | instid1(VALU_DEP_2)
	v_cvt_f16_f32_e32 v1, v76
	v_cvt_f16_f32_e32 v2, v77
	s_delay_alu instid0(VALU_DEP_3) | instskip(NEXT) | instid1(VALU_DEP_4)
	v_cvt_f16_f32_e32 v3, v78
	v_cvt_f16_f32_e32 v4, v79
	;; [unrolled: 1-line block ×6, first 2 shown]
	v_pack_b32_f16 v1, v1, v2
	v_pack_b32_f16 v2, v3, v4
	v_pack_b32_f16 v3, v5, v6
	s_delay_alu instid0(VALU_DEP_4)
	v_pack_b32_f16 v4, v7, v8
	ds_store_b128 v74, v[1:4]
	s_waitcnt lgkmcnt(0)
	s_barrier
	buffer_gl0_inv
	ds_load_b128 v[1:4], v75
	ds_load_b128 v[5:8], v75 offset:16
	s_waitcnt lgkmcnt(1)
	v_lshrrev_b32_e32 v9, 16, v1
	s_waitcnt lgkmcnt(0)
	v_lshrrev_b32_e32 v13, 16, v5
	v_lshrrev_b32_e32 v10, 16, v2
	;; [unrolled: 1-line block ×4, first 2 shown]
	v_cndmask_b32_e32 v17, v1, v9, vcc_lo
	v_cndmask_b32_e32 v18, v5, v13, vcc_lo
	v_cndmask_b32_e64 v21, v1, v9, s4
	v_cmp_eq_u32_e32 vcc_lo, 1, v71
	v_cndmask_b32_e64 v22, v5, v13, s4
	v_cmp_eq_u32_e64 s4, 2, v70
	v_cndmask_b32_e64 v19, v1, v9, s3
	v_cndmask_b32_e64 v20, v5, v13, s3
	v_cndmask_b32_e32 v1, v1, v9, vcc_lo
	v_cmp_eq_u32_e64 s3, 2, v71
	v_cndmask_b32_e32 v5, v5, v13, vcc_lo
	v_cndmask_b32_e64 v9, v17, v2, s4
	v_cmp_eq_u32_e32 vcc_lo, 3, v70
	v_cndmask_b32_e64 v13, v18, v6, s4
	v_cmp_eq_u32_e64 s4, 2, v69
	v_cndmask_b32_e64 v17, v19, v2, s5
	v_cndmask_b32_e64 v18, v20, v6, s5
	v_cmp_eq_u32_e64 s5, 3, v69
	v_cndmask_b32_e64 v1, v1, v2, s3
	v_cndmask_b32_e64 v19, v21, v2, s4
	;; [unrolled: 1-line block ×4, first 2 shown]
	v_cndmask_b32_e32 v5, v9, v10, vcc_lo
	v_cndmask_b32_e32 v6, v13, v14, vcc_lo
	v_cmp_eq_u32_e32 vcc_lo, 3, v71
	v_cndmask_b32_e64 v9, v17, v10, s6
	v_cndmask_b32_e64 v13, v18, v14, s6
	;; [unrolled: 1-line block ×3, first 2 shown]
	v_cmp_eq_u32_e64 s4, 4, v70
	v_cndmask_b32_e32 v1, v1, v10, vcc_lo
	v_cndmask_b32_e32 v2, v2, v14, vcc_lo
	v_cmp_eq_u32_e32 vcc_lo, 4, v72
	v_lshrrev_b32_e32 v15, 16, v7
	v_lshrrev_b32_e32 v16, 16, v8
	v_cndmask_b32_e64 v17, v19, v10, s5
	v_cmp_eq_u32_e64 s3, 4, v71
	v_cndmask_b32_e64 v5, v5, v3, s4
	v_cndmask_b32_e64 v6, v6, v7, s4
	v_cndmask_b32_e32 v9, v9, v3, vcc_lo
	v_cmp_eq_u32_e64 s4, 5, v72
	v_cndmask_b32_e32 v10, v13, v7, vcc_lo
	v_cmp_eq_u32_e32 vcc_lo, 4, v69
	v_cmp_eq_u32_e64 s5, 5, v70
	v_cndmask_b32_e64 v2, v2, v7, s3
	v_cndmask_b32_e64 v9, v9, v11, s4
	;; [unrolled: 1-line block ×3, first 2 shown]
	v_cndmask_b32_e32 v13, v17, v3, vcc_lo
	v_cmp_eq_u32_e64 s4, 5, v69
	v_cndmask_b32_e32 v14, v18, v7, vcc_lo
	v_cndmask_b32_e64 v1, v1, v3, s3
	v_cmp_eq_u32_e32 vcc_lo, 5, v71
	v_lshrrev_b32_e32 v12, 16, v4
	v_cndmask_b32_e64 v13, v13, v11, s4
	v_cndmask_b32_e64 v3, v14, v15, s4
	v_cmp_eq_u32_e64 s4, 6, v71
	v_cndmask_b32_e32 v1, v1, v11, vcc_lo
	v_cndmask_b32_e64 v5, v5, v11, s5
	v_cmp_eq_u32_e64 s6, 6, v70
	v_cndmask_b32_e64 v6, v6, v15, s5
	v_cmp_eq_u32_e64 s5, 6, v72
	v_cmp_eq_u32_e64 s3, 6, v69
	v_cndmask_b32_e64 v1, v1, v4, s4
	v_cndmask_b32_e32 v2, v2, v15, vcc_lo
	v_cmp_eq_u32_e32 vcc_lo, 7, v71
	v_cndmask_b32_e64 v5, v5, v4, s6
	v_cndmask_b32_e64 v9, v9, v4, s5
	;; [unrolled: 1-line block ×3, first 2 shown]
	v_cmp_eq_u32_e64 s6, 7, v70
	v_cndmask_b32_e32 v1, v1, v12, vcc_lo
	v_cndmask_b32_e64 v7, v13, v4, s3
	v_cndmask_b32_e64 v3, v3, v8, s3
	;; [unrolled: 1-line block ×3, first 2 shown]
	v_cmp_eq_u32_e64 s3, 7, v69
	v_cndmask_b32_e64 v4, v10, v8, s5
	v_cndmask_b32_e64 v5, v5, v12, s6
	;; [unrolled: 1-line block ×3, first 2 shown]
	v_cndmask_b32_e32 v2, v2, v16, vcc_lo
	v_cndmask_b32_e64 v7, v7, v12, s3
	v_cndmask_b32_e64 v3, v3, v16, s3
	;; [unrolled: 1-line block ×4, first 2 shown]
	v_perm_b32 v4, v2, v1, 0x5040100
	s_mov_b32 s3, exec_lo
	v_perm_b32 v3, v3, v7, 0x5040100
	v_perm_b32 v2, v8, v9, 0x5040100
	;; [unrolled: 1-line block ×3, first 2 shown]
	ds_store_b128 v74, v[1:4]
	s_waitcnt lgkmcnt(0)
	s_barrier
	buffer_gl0_inv
	v_cmpx_gt_u32_e32 32, v0
	s_cbranch_execz .LBB1236_2
; %bb.15:
	s_load_b64 s[4:5], s[0:1], 0x68
	v_lshlrev_b32_e32 v0, 10, v0
	v_add_nc_u32_e32 v2, s31, v66
	v_lshlrev_b32_e32 v3, 4, v67
	s_lshl_b32 s0, s35, 7
	s_delay_alu instid0(SALU_CYCLE_1) | instskip(NEXT) | instid1(VALU_DEP_2)
	s_mul_i32 s1, s0, s34
	v_mul_lo_u32 v1, v2, s0
	s_delay_alu instid0(VALU_DEP_2)
	v_and_or_b32 v0, 0x3800, v0, v3
	v_add_nc_u32_e32 v3, 2, v2
	s_mul_i32 s6, s1, s8
	v_add_nc_u32_e32 v4, 4, v2
	s_ashr_i32 s7, s6, 31
	v_lshl_or_b32 v11, v66, 6, v0
	s_lshl_b64 s[6:7], s[6:7], 1
	v_mul_lo_u32 v15, v3, s0
	v_mul_lo_u32 v17, v4, s0
	v_ashrrev_i32_e32 v2, 31, v1
	ds_load_b128 v[3:6], v11
	ds_load_b128 v[7:10], v11 offset:128
	ds_load_b128 v[11:14], v11 offset:256
	s_waitcnt lgkmcnt(0)
	s_add_u32 s1, s4, s6
	s_addc_u32 s3, s5, s7
	s_lshl_b32 s4, s14, 7
	v_ashrrev_i32_e32 v16, 31, v15
	s_ashr_i32 s5, s4, 31
	v_lshlrev_b64 v[19:20], 1, v[1:2]
	s_lshl_b64 s[4:5], s[4:5], 1
	v_ashrrev_i32_e32 v18, 31, v17
	s_add_u32 s1, s1, s4
	s_addc_u32 s3, s3, s5
	v_add_co_u32 v1, s1, s1, v65
	s_delay_alu instid0(VALU_DEP_1) | instskip(SKIP_1) | instid1(VALU_DEP_3)
	v_add_co_ci_u32_e64 v2, null, s3, 0, s1
	v_lshlrev_b64 v[15:16], 1, v[15:16]
	v_add_co_u32 v19, vcc_lo, v1, v19
	v_lshlrev_b64 v[17:18], 1, v[17:18]
	s_delay_alu instid0(VALU_DEP_4) | instskip(NEXT) | instid1(VALU_DEP_4)
	v_add_co_ci_u32_e32 v20, vcc_lo, v2, v20, vcc_lo
	v_add_co_u32 v15, vcc_lo, v1, v15
	v_add_co_ci_u32_e32 v16, vcc_lo, v2, v16, vcc_lo
	s_delay_alu instid0(VALU_DEP_4)
	v_add_co_u32 v17, vcc_lo, v1, v17
	v_add_co_ci_u32_e32 v18, vcc_lo, v2, v18, vcc_lo
	s_clause 0x2
	global_store_b128 v[19:20], v[3:6], off
	global_store_b128 v[15:16], v[7:10], off
	;; [unrolled: 1-line block ×3, first 2 shown]
	s_and_b32 exec_lo, exec_lo, s2
	s_cbranch_execz .LBB1236_2
; %bb.16:
	ds_load_b128 v[3:6], v0 offset:384
	s_add_i32 s1, s31, 6
	s_delay_alu instid0(SALU_CYCLE_1) | instskip(NEXT) | instid1(SALU_CYCLE_1)
	s_mul_i32 s0, s1, s0
	s_ashr_i32 s1, s0, 31
	s_delay_alu instid0(SALU_CYCLE_1) | instskip(NEXT) | instid1(SALU_CYCLE_1)
	s_lshl_b64 s[0:1], s[0:1], 1
	v_add_co_u32 v0, vcc_lo, v1, s0
	v_add_co_ci_u32_e32 v1, vcc_lo, s1, v2, vcc_lo
	s_waitcnt lgkmcnt(0)
	global_store_b128 v[0:1], v[3:6], off
	s_nop 0
	s_sendmsg sendmsg(MSG_DEALLOC_VGPRS)
	s_endpgm
	.section	.rodata,"a",@progbits
	.p2align	6, 0x0
	.amdhsa_kernel _Z39paged_attention_ll4mi_QKV_mfma16_kernelIDF16_hLN4vllm18Fp8KVCacheDataTypeE1EhLi16ELi128ELi256ELb0ELi7EL8MFMAType0EEvPKT_PKT0_S8_ifPKiSA_SA_iPKfiiiPfSD_PS3_PT2_iSC_SC_
		.amdhsa_group_segment_fixed_size 17472
		.amdhsa_private_segment_fixed_size 0
		.amdhsa_kernarg_size 400
		.amdhsa_user_sgpr_count 13
		.amdhsa_user_sgpr_dispatch_ptr 0
		.amdhsa_user_sgpr_queue_ptr 0
		.amdhsa_user_sgpr_kernarg_segment_ptr 1
		.amdhsa_user_sgpr_dispatch_id 0
		.amdhsa_user_sgpr_private_segment_size 0
		.amdhsa_wavefront_size32 1
		.amdhsa_uses_dynamic_stack 0
		.amdhsa_enable_private_segment 0
		.amdhsa_system_sgpr_workgroup_id_x 1
		.amdhsa_system_sgpr_workgroup_id_y 1
		.amdhsa_system_sgpr_workgroup_id_z 1
		.amdhsa_system_sgpr_workgroup_info 0
		.amdhsa_system_vgpr_workitem_id 0
		.amdhsa_next_free_vgpr 150
		.amdhsa_next_free_sgpr 36
		.amdhsa_reserve_vcc 1
		.amdhsa_float_round_mode_32 0
		.amdhsa_float_round_mode_16_64 0
		.amdhsa_float_denorm_mode_32 3
		.amdhsa_float_denorm_mode_16_64 3
		.amdhsa_dx10_clamp 1
		.amdhsa_ieee_mode 1
		.amdhsa_fp16_overflow 0
		.amdhsa_workgroup_processor_mode 1
		.amdhsa_memory_ordered 1
		.amdhsa_forward_progress 0
		.amdhsa_shared_vgpr_count 0
		.amdhsa_exception_fp_ieee_invalid_op 0
		.amdhsa_exception_fp_denorm_src 0
		.amdhsa_exception_fp_ieee_div_zero 0
		.amdhsa_exception_fp_ieee_overflow 0
		.amdhsa_exception_fp_ieee_underflow 0
		.amdhsa_exception_fp_ieee_inexact 0
		.amdhsa_exception_int_div_zero 0
	.end_amdhsa_kernel
	.section	.text._Z39paged_attention_ll4mi_QKV_mfma16_kernelIDF16_hLN4vllm18Fp8KVCacheDataTypeE1EhLi16ELi128ELi256ELb0ELi7EL8MFMAType0EEvPKT_PKT0_S8_ifPKiSA_SA_iPKfiiiPfSD_PS3_PT2_iSC_SC_,"axG",@progbits,_Z39paged_attention_ll4mi_QKV_mfma16_kernelIDF16_hLN4vllm18Fp8KVCacheDataTypeE1EhLi16ELi128ELi256ELb0ELi7EL8MFMAType0EEvPKT_PKT0_S8_ifPKiSA_SA_iPKfiiiPfSD_PS3_PT2_iSC_SC_,comdat
.Lfunc_end1236:
	.size	_Z39paged_attention_ll4mi_QKV_mfma16_kernelIDF16_hLN4vllm18Fp8KVCacheDataTypeE1EhLi16ELi128ELi256ELb0ELi7EL8MFMAType0EEvPKT_PKT0_S8_ifPKiSA_SA_iPKfiiiPfSD_PS3_PT2_iSC_SC_, .Lfunc_end1236-_Z39paged_attention_ll4mi_QKV_mfma16_kernelIDF16_hLN4vllm18Fp8KVCacheDataTypeE1EhLi16ELi128ELi256ELb0ELi7EL8MFMAType0EEvPKT_PKT0_S8_ifPKiSA_SA_iPKfiiiPfSD_PS3_PT2_iSC_SC_
                                        ; -- End function
	.section	.AMDGPU.csdata,"",@progbits
; Kernel info:
; codeLenInByte = 6692
; NumSgprs: 38
; NumVgprs: 150
; ScratchSize: 0
; MemoryBound: 0
; FloatMode: 240
; IeeeMode: 1
; LDSByteSize: 17472 bytes/workgroup (compile time only)
; SGPRBlocks: 4
; VGPRBlocks: 18
; NumSGPRsForWavesPerEU: 38
; NumVGPRsForWavesPerEU: 150
; Occupancy: 9
; WaveLimiterHint : 1
; COMPUTE_PGM_RSRC2:SCRATCH_EN: 0
; COMPUTE_PGM_RSRC2:USER_SGPR: 13
; COMPUTE_PGM_RSRC2:TRAP_HANDLER: 0
; COMPUTE_PGM_RSRC2:TGID_X_EN: 1
; COMPUTE_PGM_RSRC2:TGID_Y_EN: 1
; COMPUTE_PGM_RSRC2:TGID_Z_EN: 1
; COMPUTE_PGM_RSRC2:TIDIG_COMP_CNT: 0
	.section	.text._Z39paged_attention_ll4mi_QKV_mfma16_kernelIDF16_hLN4vllm18Fp8KVCacheDataTypeE1EhLi16ELi128ELi256ELb0ELi8EL8MFMAType0EEvPKT_PKT0_S8_ifPKiSA_SA_iPKfiiiPfSD_PS3_PT2_iSC_SC_,"axG",@progbits,_Z39paged_attention_ll4mi_QKV_mfma16_kernelIDF16_hLN4vllm18Fp8KVCacheDataTypeE1EhLi16ELi128ELi256ELb0ELi8EL8MFMAType0EEvPKT_PKT0_S8_ifPKiSA_SA_iPKfiiiPfSD_PS3_PT2_iSC_SC_,comdat
	.protected	_Z39paged_attention_ll4mi_QKV_mfma16_kernelIDF16_hLN4vllm18Fp8KVCacheDataTypeE1EhLi16ELi128ELi256ELb0ELi8EL8MFMAType0EEvPKT_PKT0_S8_ifPKiSA_SA_iPKfiiiPfSD_PS3_PT2_iSC_SC_ ; -- Begin function _Z39paged_attention_ll4mi_QKV_mfma16_kernelIDF16_hLN4vllm18Fp8KVCacheDataTypeE1EhLi16ELi128ELi256ELb0ELi8EL8MFMAType0EEvPKT_PKT0_S8_ifPKiSA_SA_iPKfiiiPfSD_PS3_PT2_iSC_SC_
	.globl	_Z39paged_attention_ll4mi_QKV_mfma16_kernelIDF16_hLN4vllm18Fp8KVCacheDataTypeE1EhLi16ELi128ELi256ELb0ELi8EL8MFMAType0EEvPKT_PKT0_S8_ifPKiSA_SA_iPKfiiiPfSD_PS3_PT2_iSC_SC_
	.p2align	8
	.type	_Z39paged_attention_ll4mi_QKV_mfma16_kernelIDF16_hLN4vllm18Fp8KVCacheDataTypeE1EhLi16ELi128ELi256ELb0ELi8EL8MFMAType0EEvPKT_PKT0_S8_ifPKiSA_SA_iPKfiiiPfSD_PS3_PT2_iSC_SC_,@function
_Z39paged_attention_ll4mi_QKV_mfma16_kernelIDF16_hLN4vllm18Fp8KVCacheDataTypeE1EhLi16ELi128ELi256ELb0ELi8EL8MFMAType0EEvPKT_PKT0_S8_ifPKiSA_SA_iPKfiiiPfSD_PS3_PT2_iSC_SC_: ; @_Z39paged_attention_ll4mi_QKV_mfma16_kernelIDF16_hLN4vllm18Fp8KVCacheDataTypeE1EhLi16ELi128ELi256ELb0ELi8EL8MFMAType0EEvPKT_PKT0_S8_ifPKiSA_SA_iPKfiiiPfSD_PS3_PT2_iSC_SC_
; %bb.0:
	s_load_b64 s[4:5], s[0:1], 0x30
	s_mov_b32 s30, s13
	s_waitcnt lgkmcnt(0)
	s_cmp_lg_u64 s[4:5], 0
	s_cselect_b32 s13, -1, 0
	s_ashr_i32 s31, s30, 31
	s_cmp_eq_u64 s[4:5], 0
	s_cbranch_scc1 .LBB1237_3
; %bb.1:
	s_lshl_b64 s[2:3], s[30:31], 2
	s_delay_alu instid0(SALU_CYCLE_1) | instskip(SKIP_4) | instid1(SALU_CYCLE_1)
	s_add_u32 s2, s4, s2
	s_addc_u32 s3, s5, s3
	s_load_b64 s[2:3], s[2:3], 0x0
	s_waitcnt lgkmcnt(0)
	s_sub_i32 s2, s3, s2
	s_cmp_eq_u32 s2, 1
	s_cselect_b32 s2, -1, 0
	s_delay_alu instid0(SALU_CYCLE_1)
	s_and_not1_b32 vcc_lo, exec_lo, s2
	s_cbranch_vccz .LBB1237_4
.LBB1237_2:
	s_endpgm
.LBB1237_3:
.LBB1237_4:
	s_load_b64 s[2:3], s[0:1], 0x28
	s_lshl_b64 s[6:7], s[30:31], 2
	s_waitcnt lgkmcnt(0)
	s_add_u32 s2, s2, s6
	s_addc_u32 s3, s3, s7
	s_lshl_b32 s12, s14, 8
	s_load_b32 s17, s[2:3], 0x0
	s_waitcnt lgkmcnt(0)
	s_cmp_ge_i32 s12, s17
	s_cbranch_scc1 .LBB1237_2
; %bb.5:
	s_clause 0x1
	s_load_b128 s[8:11], s[0:1], 0x8
	s_load_b64 s[2:3], s[0:1], 0x20
	s_and_not1_b32 vcc_lo, exec_lo, s13
	s_cbranch_vccnz .LBB1237_7
; %bb.6:
	s_add_u32 s4, s4, s6
	s_addc_u32 s5, s5, s7
	s_load_b32 s13, s[4:5], 0x0
	s_branch .LBB1237_8
.LBB1237_7:
	s_mov_b32 s13, s30
.LBB1237_8:
	s_load_b128 s[4:7], s[0:1], 0x48
	v_and_b32_e32 v69, 15, v0
	v_lshrrev_b32_e32 v68, 5, v0
	v_and_b32_e32 v70, 31, v0
	v_and_b32_e32 v67, 1, v0
	v_bfe_u32 v66, v0, 4, 1
	v_lshlrev_b32_e32 v1, 3, v69
	s_lshl_b32 s31, s15, 3
	s_waitcnt lgkmcnt(0)
	s_mov_b32 s7, exec_lo
	s_delay_alu instid0(VALU_DEP_1)
	v_lshlrev_b32_e32 v65, 1, v1
	v_cmpx_gt_u32_e32 0x80, v0
	s_cbranch_execz .LBB1237_10
; %bb.9:
	v_lshl_or_b32 v5, v68, 1, v66
	s_load_b64 s[18:19], s[0:1], 0x0
	s_mul_hi_i32 s21, s13, s4
	s_mul_i32 s20, s13, s4
	v_lshlrev_b32_e32 v6, 10, v69
	v_or_b32_e32 v1, s31, v5
	s_lshl_b64 s[20:21], s[20:21], 1
	v_lshlrev_b32_e32 v5, 6, v5
	v_lshlrev_b32_e32 v7, 10, v67
	v_and_b32_e32 v6, 0x3800, v6
	v_lshlrev_b32_e32 v1, 7, v1
	s_delay_alu instid0(VALU_DEP_2) | instskip(NEXT) | instid1(VALU_DEP_2)
	v_or3_b32 v5, v6, v7, v5
	v_ashrrev_i32_e32 v2, 31, v1
	s_delay_alu instid0(VALU_DEP_1) | instskip(SKIP_3) | instid1(VALU_DEP_1)
	v_lshlrev_b64 v[1:2], 1, v[1:2]
	s_waitcnt lgkmcnt(0)
	s_add_u32 s4, s18, s20
	s_addc_u32 s13, s19, s21
	v_add_co_u32 v1, vcc_lo, s4, v1
	s_delay_alu instid0(VALU_DEP_2) | instskip(NEXT) | instid1(VALU_DEP_2)
	v_add_co_ci_u32_e32 v2, vcc_lo, s13, v2, vcc_lo
	v_add_co_u32 v1, vcc_lo, v1, v65
	s_delay_alu instid0(VALU_DEP_2)
	v_add_co_ci_u32_e32 v2, vcc_lo, 0, v2, vcc_lo
	global_load_b128 v[1:4], v[1:2], off
	s_waitcnt vmcnt(0)
	ds_store_b128 v5, v[1:4]
.LBB1237_10:
	s_or_b32 exec_lo, exec_lo, s7
	v_and_b32_e32 v1, 0xef, v0
	s_add_i32 s4, s17, 15
	s_clause 0x1
	s_load_b32 s7, s[0:1], 0x38
	s_load_b32 s33, s[0:1], 0x98
	s_ashr_i32 s13, s4, 31
	v_add_nc_u32_e32 v1, s12, v1
	s_lshr_b32 s13, s13, 28
	s_load_b32 s18, s[0:1], 0x1c
	s_add_i32 s4, s4, s13
	s_waitcnt lgkmcnt(0)
	v_ashrrev_i32_e32 v2, 31, v1
	v_or_b32_e32 v3, 16, v1
	s_ashr_i32 s4, s4, 4
	v_cmp_gt_i32_e32 vcc_lo, s17, v1
	s_add_i32 s4, s4, -1
	v_lshrrev_b32_e32 v2, 28, v2
	s_barrier
	buffer_gl0_inv
	s_mul_i32 s15, s15, s6
	v_add_nc_u32_e32 v4, v1, v2
	s_mul_i32 s20, s30, s7
	s_delay_alu instid0(SALU_CYCLE_1) | instskip(NEXT) | instid1(VALU_DEP_1)
	s_ashr_i32 s21, s20, 31
	v_ashrrev_i32_e32 v4, 4, v4
	v_add_nc_u32_e32 v2, v3, v2
	s_lshl_b64 s[20:21], s[20:21], 2
	s_delay_alu instid0(SALU_CYCLE_1) | instskip(NEXT) | instid1(VALU_DEP_2)
	s_add_u32 s13, s2, s20
	v_cndmask_b32_e32 v1, s4, v4, vcc_lo
	s_delay_alu instid0(VALU_DEP_2)
	v_ashrrev_i32_e32 v2, 4, v2
	v_cmp_gt_i32_e32 vcc_lo, s17, v3
	s_addc_u32 s16, s3, s21
	s_ashr_i32 s19, s15, 31
	s_add_u32 s26, s8, s15
	s_addc_u32 s27, s9, s19
	v_cndmask_b32_e32 v3, s4, v2, vcc_lo
	v_ashrrev_i32_e32 v2, 31, v1
	s_lshl_b32 s2, s14, 4
	s_delay_alu instid0(SALU_CYCLE_1) | instskip(NEXT) | instid1(VALU_DEP_2)
	s_ashr_i32 s3, s2, 31
	v_ashrrev_i32_e32 v4, 31, v3
	s_delay_alu instid0(VALU_DEP_2) | instskip(SKIP_1) | instid1(SALU_CYCLE_1)
	v_lshlrev_b64 v[1:2], 2, v[1:2]
	s_lshl_b64 s[2:3], s[2:3], 2
	s_add_u32 s2, s13, s2
	s_delay_alu instid0(VALU_DEP_2) | instskip(SKIP_1) | instid1(VALU_DEP_2)
	v_lshlrev_b64 v[3:4], 2, v[3:4]
	s_addc_u32 s3, s16, s3
	v_add_co_u32 v1, vcc_lo, s13, v1
	v_add_co_ci_u32_e32 v2, vcc_lo, s16, v2, vcc_lo
	s_delay_alu instid0(VALU_DEP_3) | instskip(NEXT) | instid1(VALU_DEP_4)
	v_add_co_u32 v3, vcc_lo, s13, v3
	v_add_co_ci_u32_e32 v4, vcc_lo, s16, v4, vcc_lo
	s_clause 0x1
	global_load_b32 v5, v[1:2], off
	global_load_b32 v3, v[3:4], off
	s_or_b32 s6, s12, 32
	s_delay_alu instid0(SALU_CYCLE_1) | instskip(SKIP_2) | instid1(SALU_CYCLE_1)
	s_ashr_i32 s7, s6, 4
	s_cmp_lt_i32 s6, s17
	s_cselect_b32 s6, s7, s4
	s_ashr_i32 s7, s6, 31
	s_delay_alu instid0(SALU_CYCLE_1) | instskip(NEXT) | instid1(SALU_CYCLE_1)
	s_lshl_b64 s[6:7], s[6:7], 2
	s_add_u32 s6, s13, s6
	s_addc_u32 s7, s16, s7
	s_or_b32 s8, s12, 64
	s_delay_alu instid0(SALU_CYCLE_1) | instskip(SKIP_2) | instid1(SALU_CYCLE_1)
	s_ashr_i32 s9, s8, 4
	s_cmp_lt_i32 s8, s17
	s_cselect_b32 s8, s9, s4
	s_ashr_i32 s9, s8, 31
	s_delay_alu instid0(SALU_CYCLE_1) | instskip(NEXT) | instid1(SALU_CYCLE_1)
	s_lshl_b64 s[8:9], s[8:9], 2
	s_add_u32 s8, s13, s8
	s_addc_u32 s9, s16, s9
	;; [unrolled: 10-line block ×5, first 2 shown]
	s_clause 0x5
	s_load_b32 s28, s[2:3], 0x0
	s_load_b32 s29, s[6:7], 0x0
	;; [unrolled: 1-line block ×6, first 2 shown]
	s_mov_b32 s20, 0
	s_or_b32 s2, s12, 0xc0
	s_mov_b32 s21, s20
	s_mov_b32 s22, s20
	;; [unrolled: 1-line block ×5, first 2 shown]
	v_lshlrev_b32_e32 v1, 4, v0
	s_ashr_i32 s3, s2, 4
	s_cmp_lt_i32 s2, s17
	s_cselect_b32 s2, s3, s4
	s_delay_alu instid0(VALU_DEP_1) | instskip(SKIP_1) | instid1(SALU_CYCLE_1)
	v_and_b32_e32 v1, 0xf0, v1
	s_ashr_i32 s3, s2, 31
	s_lshl_b64 s[2:3], s[2:3], 2
	s_delay_alu instid0(VALU_DEP_1) | instskip(NEXT) | instid1(VALU_DEP_1)
	v_add_co_u32 v1, s26, s26, v1
	v_add_co_ci_u32_e64 v2, null, s27, 0, s26
	s_add_u32 s2, s13, s2
	s_addc_u32 s3, s16, s3
	s_or_b32 s6, s12, 0xe0
	s_mov_b32 s27, s20
	s_ashr_i32 s7, s6, 4
	s_cmp_lt_i32 s6, s17
	s_mov_b32 s26, s20
	s_cselect_b32 s6, s7, s4
	v_mov_b32_e32 v102, s27
	v_mov_b32_e32 v96, s21
	s_ashr_i32 s7, s6, 31
	v_mov_b32_e32 v101, s26
	s_lshl_b64 s[6:7], s[6:7], 2
	v_dual_mov_b32 v100, s25 :: v_dual_mov_b32 v99, s24
	v_dual_mov_b32 v98, s23 :: v_dual_mov_b32 v97, s22
	v_mov_b32_e32 v95, s20
	s_waitcnt vmcnt(1)
	v_mad_i64_i32 v[33:34], null, v5, s5, v[1:2]
	s_waitcnt vmcnt(0)
	v_mad_i64_i32 v[35:36], null, v3, s5, v[1:2]
	s_clause 0xf
	global_load_b128 v[1:4], v[33:34], off
	global_load_b128 v[5:8], v[33:34], off offset:256
	global_load_b128 v[9:12], v[35:36], off
	global_load_b128 v[13:16], v[35:36], off offset:256
	global_load_b128 v[17:20], v[33:34], off offset:512
	;; [unrolled: 1-line block ×13, first 2 shown]
	v_and_b32_e32 v33, 7, v0
	v_lshlrev_b32_e32 v34, 4, v69
	s_delay_alu instid0(VALU_DEP_2) | instskip(NEXT) | instid1(VALU_DEP_2)
	v_lshlrev_b32_e32 v139, 6, v33
	v_lshl_or_b32 v41, v68, 8, v34
	ds_load_b128 v[33:36], v139
	ds_load_b128 v[37:40], v139 offset:1024
	ds_load_b128 v[103:106], v139 offset:2048
	;; [unrolled: 1-line block ×3, first 2 shown]
	s_load_b32 s4, s[2:3], 0x0
	s_add_u32 s2, s13, s6
	s_addc_u32 s3, s16, s7
	ds_load_b128 v[111:114], v139 offset:4096
	ds_load_b128 v[115:118], v139 offset:5120
	s_load_b32 s2, s[2:3], 0x0
	s_add_u32 s6, s10, s15
	s_addc_u32 s7, s11, s19
	v_add_co_u32 v127, s6, s6, v41
	s_delay_alu instid0(VALU_DEP_1) | instskip(SKIP_1) | instid1(VALU_DEP_1)
	v_add_co_ci_u32_e64 v128, null, s7, 0, s6
	s_waitcnt lgkmcnt(0)
	v_mad_i64_i32 v[41:42], null, s28, s5, v[127:128]
	v_mad_i64_i32 v[129:130], null, s8, s5, v[127:128]
	;; [unrolled: 1-line block ×7, first 2 shown]
	s_clause 0x3
	global_load_b128 v[49:52], v[41:42], off
	global_load_b128 v[53:56], v[41:42], off offset:16
	global_load_b128 v[41:44], v[45:46], off
	global_load_b128 v[45:48], v[45:46], off offset:16
	s_waitcnt vmcnt(18)
	v_wmma_f32_16x16x16_f16 v[119:126], v[1:8], v[33:40], v[95:102]
	s_waitcnt vmcnt(16)
	v_wmma_f32_16x16x16_f16 v[95:102], v[9:16], v[33:40], v[95:102]
	s_clause 0x3
	global_load_b128 v[33:36], v[129:130], off
	global_load_b128 v[37:40], v[129:130], off offset:16
	global_load_b128 v[1:4], v[131:132], off
	global_load_b128 v[5:8], v[131:132], off offset:16
	s_waitcnt vmcnt(18)
	v_wmma_f32_16x16x16_f16 v[119:126], v[17:24], v[103:110], v[119:126]
	s_clause 0x3
	global_load_b128 v[9:12], v[133:134], off
	global_load_b128 v[13:16], v[133:134], off offset:16
	global_load_b128 v[17:20], v[135:136], off
	global_load_b128 v[21:24], v[135:136], off offset:16
	s_waitcnt vmcnt(20)
	v_wmma_f32_16x16x16_f16 v[95:102], v[25:32], v[103:110], v[95:102]
	v_mad_i64_i32 v[103:104], null, s2, s5, v[127:128]
	s_waitcnt vmcnt(18)
	v_wmma_f32_16x16x16_f16 v[119:126], v[57:64], v[111:118], v[119:126]
	s_clause 0x1
	global_load_b128 v[25:28], v[137:138], off
	global_load_b128 v[29:32], v[137:138], off offset:16
	s_waitcnt vmcnt(18)
	v_wmma_f32_16x16x16_f16 v[95:102], v[71:78], v[111:118], v[95:102]
	s_clause 0x1
	global_load_b128 v[57:60], v[103:104], off
	global_load_b128 v[61:64], v[103:104], off offset:16
	ds_load_b128 v[71:74], v139 offset:6144
	ds_load_b128 v[75:78], v139 offset:7168
	v_mbcnt_lo_u32_b32 v104, -1, 0
	s_waitcnt vmcnt(0) lgkmcnt(0)
	s_barrier
	buffer_gl0_inv
	v_xor_b32_e32 v105, 16, v104
	s_delay_alu instid0(VALU_DEP_1) | instskip(SKIP_4) | instid1(VALU_DEP_2)
	v_cmp_gt_i32_e32 vcc_lo, 32, v105
	v_cndmask_b32_e32 v104, v104, v105, vcc_lo
	v_wmma_f32_16x16x16_f16 v[95:102], v[87:94], v[71:78], v[95:102]
	v_and_b32_e32 v103, 0xe0, v0
	v_wmma_f32_16x16x16_f16 v[119:126], v[79:86], v[71:78], v[119:126]
	v_dual_mul_f32 v90, s18, v101 :: v_dual_add_nc_u32 v103, s12, v103
	s_delay_alu instid0(VALU_DEP_2) | instskip(NEXT) | instid1(VALU_DEP_3)
	v_dual_mul_f32 v94, s18, v97 :: v_dual_mul_f32 v87, s18, v120
	v_dual_mul_f32 v88, s18, v119 :: v_dual_mul_f32 v77, s18, v122
	s_delay_alu instid0(VALU_DEP_3) | instskip(SKIP_3) | instid1(VALU_DEP_4)
	v_or_b32_e32 v103, v103, v66
	v_dual_mul_f32 v78, s18, v121 :: v_dual_mul_f32 v75, s18, v124
	v_dual_mul_f32 v76, s18, v123 :: v_dual_mul_f32 v73, s18, v126
	v_mul_f32_e32 v92, s18, v99
	v_or_b32_e32 v105, 2, v103
	v_or_b32_e32 v106, 4, v103
	;; [unrolled: 1-line block ×3, first 2 shown]
	v_cmp_gt_i32_e64 s2, s17, v103
	v_or_b32_e32 v108, 8, v103
	v_cmp_gt_i32_e32 vcc_lo, s17, v105
	v_or_b32_e32 v109, 10, v103
	v_cmp_gt_i32_e64 s3, s17, v106
	v_cndmask_b32_e64 v88, 0xff7fffff, v88, s2
	v_cmp_gt_i32_e64 s4, s17, v107
	v_cndmask_b32_e32 v87, 0xff7fffff, v87, vcc_lo
	v_or_b32_e32 v79, 12, v103
	v_or_b32_e32 v80, 14, v103
	v_cndmask_b32_e64 v78, 0xff7fffff, v78, s3
	v_cndmask_b32_e64 v77, 0xff7fffff, v77, s4
	v_max3_f32 v87, v88, 0xff7fffff, v87
	v_cmp_gt_i32_e64 s5, s17, v108
	v_cmp_gt_i32_e64 s6, s17, v109
	v_or_b32_e32 v81, 16, v103
	v_or_b32_e32 v82, 18, v103
	v_mul_f32_e32 v74, s18, v125
	v_cndmask_b32_e64 v76, 0xff7fffff, v76, s5
	v_cndmask_b32_e64 v75, 0xff7fffff, v75, s6
	v_max3_f32 v77, v87, v78, v77
	v_cmp_gt_i32_e64 s7, s17, v79
	v_cmp_gt_i32_e64 s8, s17, v80
	v_or_b32_e32 v83, 20, v103
	v_or_b32_e32 v84, 22, v103
	;; [unrolled: 1-line block ×6, first 2 shown]
	v_mul_f32_e32 v105, s18, v96
	v_mul_f32_e32 v103, s18, v95
	v_cndmask_b32_e64 v74, 0xff7fffff, v74, s7
	v_cndmask_b32_e64 v73, 0xff7fffff, v73, s8
	v_max3_f32 v75, v77, v76, v75
	v_cmp_gt_i32_e64 s9, s17, v81
	v_cmp_gt_i32_e64 s10, s17, v82
	v_mul_f32_e32 v93, s18, v98
	v_cmp_gt_i32_e64 s11, s17, v83
	v_max3_f32 v73, v75, v74, v73
	v_cndmask_b32_e64 v76, 0xff7fffff, v103, s9
	v_cndmask_b32_e64 v77, 0xff7fffff, v105, s10
	v_cmp_gt_i32_e64 s12, s17, v84
	v_mul_f32_e32 v91, s18, v100
	v_cndmask_b32_e64 v74, 0xff7fffff, v94, s11
	v_cmp_gt_i32_e64 s13, s17, v85
	v_max3_f32 v73, v73, v76, v77
	v_cndmask_b32_e64 v75, 0xff7fffff, v93, s12
	v_cmp_gt_i32_e64 s15, s17, v86
	v_mul_f32_e32 v89, s18, v102
	v_cndmask_b32_e64 v76, 0xff7fffff, v92, s13
	v_cmp_gt_i32_e64 s16, s17, v71
	v_max3_f32 v73, v73, v74, v75
	v_cndmask_b32_e64 v77, 0xff7fffff, v91, s15
	v_cmp_gt_i32_e64 s17, s17, v72
	v_lshlrev_b32_e32 v74, 2, v104
	v_cndmask_b32_e64 v71, 0xff7fffff, v90, s16
	s_delay_alu instid0(VALU_DEP_4) | instskip(NEXT) | instid1(VALU_DEP_4)
	v_max3_f32 v73, v73, v76, v77
	v_cndmask_b32_e64 v72, 0xff7fffff, v89, s17
	s_delay_alu instid0(VALU_DEP_1) | instskip(SKIP_3) | instid1(VALU_DEP_1)
	v_max3_f32 v71, v73, v71, v72
	ds_bpermute_b32 v72, v74, v71
	s_waitcnt lgkmcnt(0)
	v_max_f32_e32 v72, v72, v72
	v_max_f32_e32 v71, v71, v72
	s_delay_alu instid0(VALU_DEP_1)
	v_fma_f32 v72, s18, v119, -v71
	v_fma_f32 v76, s18, v122, -v71
	;; [unrolled: 1-line block ×5, first 2 shown]
	v_mul_f32_e32 v72, 0x3fb8aa3b, v72
	v_mul_f32_e32 v76, 0x3fb8aa3b, v76
	v_fma_f32 v75, s18, v121, -v71
	v_mul_f32_e32 v79, 0x3fb8aa3b, v77
	v_mul_f32_e32 v87, 0x3fb8aa3b, v86
	v_exp_f32_e32 v72, v72
	v_exp_f32_e32 v76, v76
	v_fma_f32 v81, s18, v125, -v71
	v_exp_f32_e32 v82, v79
	v_exp_f32_e32 v87, v87
	v_fma_f32 v84, s18, v96, -v71
	s_delay_alu instid0(VALU_DEP_2) | instskip(SKIP_3) | instid1(TRANS32_DEP_3)
	v_mul_f32_e32 v81, 0x3fb8aa3b, v81
	v_cndmask_b32_e64 v78, 0, v72, s2
	v_fma_f32 v72, s18, v124, -v71
	v_mul_f32_e32 v73, 0x3fb8aa3b, v73
	v_cndmask_b32_e64 v79, 0, v76, s4
	v_fma_f32 v76, s18, v95, -v71
	s_delay_alu instid0(VALU_DEP_4) | instskip(NEXT) | instid1(VALU_DEP_4)
	v_dual_mul_f32 v75, 0x3fb8aa3b, v75 :: v_dual_mul_f32 v72, 0x3fb8aa3b, v72
	v_exp_f32_e32 v73, v73
	v_cndmask_b32_e64 v87, 0, v87, s12
	s_delay_alu instid0(VALU_DEP_3) | instskip(NEXT) | instid1(VALU_DEP_3)
	v_mul_f32_e32 v76, 0x3fb8aa3b, v76
	v_exp_f32_e32 v75, v75
	v_exp_f32_e32 v72, v72
	;; [unrolled: 1-line block ×3, first 2 shown]
	v_cndmask_b32_e64 v82, 0, v82, s5
	v_mul_f32_e32 v85, 0x3fb8aa3b, v84
	v_exp_f32_e32 v76, v76
	s_mov_b32 s2, exec_lo
	v_cndmask_b32_e32 v77, 0, v73, vcc_lo
	v_add_f32_e32 v73, 0, v78
	v_exp_f32_e32 v85, v85
	v_cndmask_b32_e64 v80, 0, v75, s3
	v_fma_f32 v75, s18, v126, -v71
	v_cndmask_b32_e64 v81, 0, v72, s6
	v_add_f32_e32 v73, v73, v77
	v_cndmask_b32_e64 v84, 0, v83, s7
	v_cndmask_b32_e64 v86, 0, v76, s9
	v_mul_f32_e32 v75, 0x3fb8aa3b, v75
	s_delay_alu instid0(VALU_DEP_4) | instskip(NEXT) | instid1(TRANS32_DEP_1)
	v_add_f32_e32 v73, v73, v80
	v_cndmask_b32_e64 v85, 0, v85, s10
	s_delay_alu instid0(VALU_DEP_3) | instskip(NEXT) | instid1(VALU_DEP_2)
	v_exp_f32_e32 v75, v75
	v_add_f32_e32 v73, v73, v79
	s_delay_alu instid0(VALU_DEP_1) | instskip(SKIP_3) | instid1(VALU_DEP_1)
	v_add_f32_e32 v72, v73, v82
	s_waitcnt_depctr 0xfff
	v_cndmask_b32_e64 v83, 0, v75, s8
	v_add_f32_e32 v72, v72, v81
	v_add_f32_e32 v72, v72, v84
	s_delay_alu instid0(VALU_DEP_1) | instskip(NEXT) | instid1(VALU_DEP_1)
	v_add_f32_e32 v72, v72, v83
	v_add_f32_e32 v72, v72, v86
	s_delay_alu instid0(VALU_DEP_1) | instskip(SKIP_4) | instid1(VALU_DEP_4)
	v_add_f32_e32 v72, v72, v85
	v_fma_f32 v73, s18, v97, -v71
	v_fma_f32 v75, s18, v99, -v71
	;; [unrolled: 1-line block ×4, first 2 shown]
	v_mul_f32_e32 v73, 0x3fb8aa3b, v73
	s_delay_alu instid0(VALU_DEP_3) | instskip(NEXT) | instid1(VALU_DEP_2)
	v_dual_mul_f32 v75, 0x3fb8aa3b, v75 :: v_dual_mul_f32 v76, 0x3fb8aa3b, v76
	v_exp_f32_e32 v73, v73
	s_delay_alu instid0(VALU_DEP_1) | instskip(NEXT) | instid1(VALU_DEP_1)
	v_exp_f32_e32 v75, v75
	v_exp_f32_e32 v76, v76
	s_delay_alu instid0(TRANS32_DEP_3)
	v_cndmask_b32_e64 v88, 0, v73, s11
	v_mul_f32_e32 v73, 0x3fb8aa3b, v89
	v_fma_f32 v89, s18, v102, -v71
	s_waitcnt_depctr 0xfff
	v_cndmask_b32_e64 v90, 0, v75, s13
	v_add_f32_e32 v72, v72, v88
	v_exp_f32_e32 v73, v73
	v_mul_f32_e32 v75, 0x3fb8aa3b, v89
	v_cndmask_b32_e64 v89, 0, v76, s15
	s_delay_alu instid0(VALU_DEP_3) | instskip(NEXT) | instid1(VALU_DEP_3)
	v_add_f32_e32 v72, v72, v87
	v_exp_f32_e32 v75, v75
	s_delay_alu instid0(VALU_DEP_1) | instskip(SKIP_4) | instid1(VALU_DEP_2)
	v_add_f32_e32 v72, v72, v90
	s_waitcnt_depctr 0xfff
	v_cndmask_b32_e64 v92, 0, v73, s16
	v_add_f32_e32 v72, v72, v89
	v_cndmask_b32_e64 v91, 0, v75, s17
	v_add_f32_e32 v72, v72, v92
	s_delay_alu instid0(VALU_DEP_1)
	v_add_f32_e32 v72, v72, v91
	ds_bpermute_b32 v73, v74, v72
	v_cmpx_gt_u32_e32 16, v70
	s_cbranch_execz .LBB1237_12
; %bb.11:
	v_mul_u32_u24_e32 v70, 0x44, v68
	s_waitcnt lgkmcnt(0)
	v_add_f32_e32 v72, v72, v73
	s_delay_alu instid0(VALU_DEP_2) | instskip(NEXT) | instid1(VALU_DEP_1)
	v_lshl_add_u32 v70, v69, 2, v70
	v_add_nc_u32_e32 v70, 0x4000, v70
	ds_store_2addr_b32 v70, v71, v72 offset1:136
.LBB1237_12:
	s_or_b32 exec_lo, exec_lo, s2
	v_lshlrev_b32_e32 v70, 2, v69
	s_load_b32 s34, s[0:1], 0x94
	s_waitcnt lgkmcnt(0)
	s_barrier
	buffer_gl0_inv
	v_add_nc_u32_e32 v74, 0x4000, v70
	v_cmp_eq_u32_e32 vcc_lo, 1, v68
	v_cmp_eq_u32_e64 s2, 2, v68
	v_cmp_eq_u32_e64 s3, 3, v68
	;; [unrolled: 1-line block ×3, first 2 shown]
	ds_load_2addr_b32 v[70:71], v74 offset1:17
	ds_load_2addr_b32 v[72:73], v74 offset0:34 offset1:51
	ds_load_2addr_b32 v[93:94], v74 offset0:68 offset1:85
	;; [unrolled: 1-line block ×3, first 2 shown]
	v_cmp_eq_u32_e64 s5, 5, v68
	v_cmp_eq_u32_e64 s6, 7, v68
	s_waitcnt lgkmcnt(3)
	v_max3_f32 v75, v70, 0xff7fffff, v71
	s_waitcnt lgkmcnt(2)
	s_delay_alu instid0(VALU_DEP_1) | instskip(SKIP_1) | instid1(VALU_DEP_1)
	v_max3_f32 v75, v75, v72, v73
	s_waitcnt lgkmcnt(1)
	v_max3_f32 v75, v75, v93, v94
	s_waitcnt lgkmcnt(0)
	s_delay_alu instid0(VALU_DEP_1) | instskip(NEXT) | instid1(VALU_DEP_1)
	v_max3_f32 v75, v75, v95, v96
	v_sub_f32_e32 v93, v93, v75
	ds_load_2addr_b32 v[97:98], v74 offset0:136 offset1:153
	v_sub_f32_e32 v70, v70, v75
	v_dual_sub_f32 v100, v73, v75 :: v_dual_mul_f32 v103, 0x3fb8aa3b, v93
	s_delay_alu instid0(VALU_DEP_2) | instskip(SKIP_3) | instid1(VALU_DEP_1)
	v_dual_sub_f32 v76, v71, v75 :: v_dual_mul_f32 v99, 0x3fb8aa3b, v70
	ds_load_2addr_b32 v[70:71], v74 offset0:170 offset1:187
	v_mul_f32_e32 v76, 0x3fb8aa3b, v76
	v_exp_f32_e32 v99, v99
	v_exp_f32_e32 v102, v76
	v_mul_f32_e32 v100, 0x3fb8aa3b, v100
	s_waitcnt lgkmcnt(1)
	s_waitcnt_depctr 0xfff
	v_fma_f32 v76, v99, v97, 0
	v_sub_f32_e32 v97, v94, v75
	v_sub_f32_e32 v72, v72, v75
	v_exp_f32_e32 v100, v100
	ds_load_2addr_b32 v[93:94], v74 offset0:238 offset1:255
	v_dual_fmac_f32 v76, v102, v98 :: v_dual_mul_f32 v101, 0x3fb8aa3b, v72
	ds_load_2addr_b32 v[72:73], v74 offset0:204 offset1:221
	v_dual_sub_f32 v74, v95, v75 :: v_dual_mul_f32 v95, 0x3fb8aa3b, v97
	v_exp_f32_e32 v97, v103
	v_exp_f32_e32 v101, v101
	s_waitcnt lgkmcnt(0)
	s_barrier
	v_exp_f32_e32 v95, v95
	buffer_gl0_inv
	v_fmac_f32_e32 v76, v101, v70
	v_sub_f32_e32 v70, v96, v75
	s_delay_alu instid0(VALU_DEP_2) | instskip(NEXT) | instid1(VALU_DEP_2)
	v_fmac_f32_e32 v76, v100, v71
	v_mul_f32_e32 v70, 0x3fb8aa3b, v70
	s_delay_alu instid0(VALU_DEP_2)
	v_dual_cndmask_b32 v71, v99, v102 :: v_dual_fmac_f32 v76, v97, v72
	v_lshlrev_b32_e32 v72, 6, v69
	v_lshlrev_b32_e32 v69, 2, v66
	v_mul_f32_e32 v74, 0x3fb8aa3b, v74
	v_exp_f32_e32 v98, v70
	v_fmac_f32_e32 v76, v95, v73
	s_delay_alu instid0(VALU_DEP_3) | instskip(NEXT) | instid1(VALU_DEP_3)
	v_cmp_eq_u32_e64 s7, 7, v69
	v_exp_f32_e32 v96, v74
	v_lshl_or_b32 v74, v68, 11, v72
	s_waitcnt_depctr 0xfff
	v_fmac_f32_e32 v76, v96, v93
	s_delay_alu instid0(VALU_DEP_1) | instskip(NEXT) | instid1(VALU_DEP_1)
	v_fmac_f32_e32 v76, v98, v94
	v_add_f32_e32 v73, 0x358637bd, v76
	s_delay_alu instid0(VALU_DEP_1) | instskip(SKIP_1) | instid1(VALU_DEP_2)
	v_div_scale_f32 v93, null, v73, v73, 1.0
	v_div_scale_f32 v99, vcc_lo, 1.0, v73, 1.0
	v_rcp_f32_e32 v94, v93
	s_waitcnt_depctr 0xfff
	v_fma_f32 v70, -v93, v94, 1.0
	s_delay_alu instid0(VALU_DEP_1)
	v_fmac_f32_e32 v94, v70, v94
	v_cndmask_b32_e64 v70, v71, v101, s2
	v_cmp_eq_u32_e64 s2, 6, v68
	v_or_b32_e32 v71, 1, v69
	v_or_b32_e32 v68, 2, v69
	v_mul_f32_e32 v101, v99, v94
	v_cndmask_b32_e64 v70, v70, v100, s3
	v_cmp_eq_u32_e64 s3, 1, v69
	v_cmp_eq_u32_e64 s8, 1, v71
	;; [unrolled: 1-line block ×3, first 2 shown]
	v_fma_f32 v100, -v93, v101, v99
	v_cndmask_b32_e64 v70, v70, v97, s4
	v_cmp_eq_u32_e64 s4, 2, v69
	v_cmp_eq_u32_e64 s11, 2, v71
	;; [unrolled: 1-line block ×3, first 2 shown]
	v_fmac_f32_e32 v101, v100, v94
	v_cndmask_b32_e64 v95, v70, v95, s5
	v_or_b32_e32 v70, 3, v69
	v_cmp_eq_u32_e64 s12, 3, v71
	v_cmp_eq_u32_e64 s16, 3, v68
	v_fma_f32 v93, -v93, v101, v99
	v_cndmask_b32_e64 v95, v95, v96, s2
	v_cmp_eq_u32_e64 s10, 1, v70
	v_cmp_eq_u32_e64 s15, 2, v70
	;; [unrolled: 1-line block ×3, first 2 shown]
	v_div_fmas_f32 v93, v93, v94, v101
	v_cndmask_b32_e64 v94, v95, v98, s6
	v_cmp_eq_u32_e32 vcc_lo, 3, v69
	v_cmp_eq_u32_e64 s2, 4, v69
	v_cmp_eq_u32_e64 s18, 4, v71
	v_div_fixup_f32 v93, v93, v73, 1.0
	v_lshl_or_b32 v73, v66, 4, v74
	v_cmp_eq_u32_e64 s21, 4, v70
	v_cmp_eq_u32_e64 s5, 5, v69
	;; [unrolled: 1-line block ×3, first 2 shown]
	v_mul_f32_e32 v101, v94, v93
	v_cmp_eq_u32_e64 s20, 4, v68
	v_cmp_eq_u32_e64 s23, 5, v70
	;; [unrolled: 1-line block ×4, first 2 shown]
	v_fma_mixlo_f16 v93, v101, v78, 0
	v_fma_mixlo_f16 v94, v101, v80, 0
	;; [unrolled: 1-line block ×8, first 2 shown]
	v_fma_mixhi_f16 v93, v101, v77, 0
	v_fma_mixhi_f16 v94, v101, v79, 0
	v_fma_mixhi_f16 v95, v101, v81, 0
	v_fma_mixhi_f16 v96, v101, v83, 0
	v_fma_mixhi_f16 v97, v101, v85, 0
	v_fma_mixhi_f16 v98, v101, v87, 0
	v_fma_mixhi_f16 v99, v101, v89, 0
	v_fma_mixhi_f16 v100, v101, v91, 0
	ds_store_b128 v73, v[93:96]
	ds_store_b128 v73, v[97:100] offset:1024
	s_waitcnt lgkmcnt(0)
	s_barrier
	buffer_gl0_inv
	ds_load_b128 v[77:80], v74
	ds_load_b128 v[81:84], v74 offset:16
	ds_load_b128 v[85:88], v74 offset:1024
	;; [unrolled: 1-line block ×3, first 2 shown]
	v_cmp_eq_u32_e64 s26, 6, v70
	v_cmp_eq_u32_e64 s6, 6, v69
	;; [unrolled: 1-line block ×6, first 2 shown]
	s_waitcnt lgkmcnt(3)
	v_lshrrev_b32_e32 v93, 16, v77
	s_waitcnt lgkmcnt(2)
	v_lshrrev_b32_e32 v97, 16, v81
	;; [unrolled: 2-line block ×4, first 2 shown]
	v_lshrrev_b32_e32 v94, 16, v78
	v_cndmask_b32_e64 v109, v77, v93, s3
	v_cndmask_b32_e64 v110, v81, v97, s3
	;; [unrolled: 1-line block ×8, first 2 shown]
	v_lshrrev_b32_e32 v98, 16, v82
	v_cndmask_b32_e64 v93, v85, v101, s3
	v_cndmask_b32_e64 v97, v89, v105, s3
	;; [unrolled: 1-line block ×15, first 2 shown]
	v_lshrrev_b32_e32 v102, 16, v86
	v_lshrrev_b32_e32 v106, 16, v90
	v_cndmask_b32_e64 v112, v114, v82, s13
	v_cndmask_b32_e64 v81, v93, v86, s4
	;; [unrolled: 1-line block ×7, first 2 shown]
	v_cndmask_b32_e32 v89, v101, v94, vcc_lo
	v_cndmask_b32_e32 v101, v105, v98, vcc_lo
	v_cndmask_b32_e64 v105, v109, v94, s12
	v_cndmask_b32_e64 v109, v110, v98, s12
	;; [unrolled: 1-line block ×4, first 2 shown]
	v_lshrrev_b32_e32 v95, 16, v79
	v_lshrrev_b32_e32 v99, 16, v83
	v_cndmask_b32_e64 v110, v111, v94, s16
	v_cndmask_b32_e64 v111, v112, v98, s16
	v_cndmask_b32_e32 v81, v81, v102, vcc_lo
	v_cndmask_b32_e32 v82, v82, v106, vcc_lo
	v_cndmask_b32_e64 v93, v93, v102, s12
	v_cndmask_b32_e64 v89, v89, v79, s2
	;; [unrolled: 1-line block ×7, first 2 shown]
	v_lshrrev_b32_e32 v103, 16, v87
	v_cndmask_b32_e64 v105, v110, v79, s20
	v_cndmask_b32_e64 v109, v111, v83, s20
	;; [unrolled: 1-line block ×11, first 2 shown]
	v_lshrrev_b32_e32 v96, 16, v80
	v_lshrrev_b32_e32 v100, 16, v84
	v_cndmask_b32_e64 v98, v105, v95, s22
	v_cndmask_b32_e64 v101, v109, v99, s22
	;; [unrolled: 1-line block ×7, first 2 shown]
	v_lshrrev_b32_e32 v104, 16, v88
	v_cndmask_b32_e64 v79, v79, v103, s5
	v_cndmask_b32_e64 v83, v83, v80, s6
	;; [unrolled: 1-line block ×16, first 2 shown]
	v_perm_b32 v80, v78, v77, 0x5040100
	v_perm_b32 v78, v94, v84, 0x5040100
	v_cndmask_b32_e64 v77, v118, v90, s13
	v_cndmask_b32_e64 v84, v116, v90, s11
	v_cndmask_b32_e64 v95, v79, v104, s7
	v_perm_b32 v79, v93, v89, 0x5040100
	v_cndmask_b32_e64 v89, v97, v102, s16
	v_cndmask_b32_e64 v85, v85, v102, s17
	;; [unrolled: 1-line block ×5, first 2 shown]
	v_lshrrev_b32_e32 v107, 16, v91
	v_cndmask_b32_e64 v89, v89, v87, s20
	v_cndmask_b32_e64 v85, v85, v87, s21
	;; [unrolled: 1-line block ×11, first 2 shown]
	v_lshrrev_b32_e32 v108, 16, v92
	v_cndmask_b32_e64 v81, v81, v92, s6
	v_cndmask_b32_e64 v87, v87, v88, s25
	;; [unrolled: 1-line block ×12, first 2 shown]
	v_perm_b32 v77, v83, v82, 0x5040100
	v_perm_b32 v84, v86, v85, 0x5040100
	v_perm_b32 v83, v88, v87, 0x5040100
	v_perm_b32 v82, v89, v96, 0x5040100
	v_perm_b32 v81, v81, v95, 0x5040100
	s_lshl_b32 s7, s33, 3
	s_mov_b32 s2, exec_lo
	ds_store_b128 v73, v[77:80]
	ds_store_b128 v73, v[81:84] offset:1024
	v_cmpx_gt_u32_e32 8, v0
	s_cbranch_execz .LBB1237_14
; %bb.13:
	v_or_b32_e32 v77, s31, v0
	s_load_b128 s[8:11], s[0:1], 0x58
	s_delay_alu instid0(VALU_DEP_1) | instskip(NEXT) | instid1(VALU_DEP_1)
	v_mad_u64_u32 v[78:79], null, s7, s30, v[77:78]
	v_mad_u64_u32 v[79:80], null, v78, s34, s[14:15]
	s_delay_alu instid0(VALU_DEP_1) | instskip(NEXT) | instid1(VALU_DEP_1)
	v_ashrrev_i32_e32 v80, 31, v79
	v_lshlrev_b64 v[77:78], 2, v[79:80]
	s_waitcnt lgkmcnt(0)
	s_delay_alu instid0(VALU_DEP_1) | instskip(NEXT) | instid1(VALU_DEP_2)
	v_add_co_u32 v79, vcc_lo, s10, v77
	v_add_co_ci_u32_e32 v80, vcc_lo, s11, v78, vcc_lo
	v_add_co_u32 v77, vcc_lo, s8, v77
	v_add_co_ci_u32_e32 v78, vcc_lo, s9, v78, vcc_lo
	global_store_b32 v[79:80], v75, off
	global_store_b32 v[77:78], v76, off
.LBB1237_14:
	s_or_b32 exec_lo, exec_lo, s2
	s_waitcnt lgkmcnt(0)
	s_waitcnt_vscnt null, 0x0
	s_barrier
	buffer_gl0_inv
	ds_load_b128 v[83:86], v72
	ds_load_b128 v[87:90], v72 offset:16
	ds_load_b128 v[95:98], v72 offset:2064
	;; [unrolled: 1-line block ×5, first 2 shown]
	v_cmp_eq_u32_e32 vcc_lo, 1, v69
	v_mov_b32_e32 v75, 0
	ds_load_b128 v[111:114], v72 offset:6160
	ds_load_b128 v[107:110], v72 offset:6144
	;; [unrolled: 1-line block ×4, first 2 shown]
	v_cmp_eq_u32_e64 s3, 1, v68
	v_cmp_eq_u32_e64 s2, 1, v71
	;; [unrolled: 1-line block ×3, first 2 shown]
	v_mov_b32_e32 v76, v75
	v_mov_b32_e32 v77, v75
	;; [unrolled: 1-line block ×7, first 2 shown]
	v_cmp_eq_u32_e64 s5, 3, v71
	v_cmp_eq_u32_e64 s6, 7, v71
	s_waitcnt lgkmcnt(8)
	s_delay_alu instid0(VALU_DEP_3)
	v_wmma_f32_16x16x16_f16 v[75:82], v[49:56], v[83:90], v[75:82]
	ds_load_b128 v[53:56], v72 offset:10256
	ds_load_b128 v[49:52], v72 offset:10240
	s_waitcnt lgkmcnt(8)
	v_wmma_f32_16x16x16_f16 v[75:82], v[41:48], v[91:98], v[75:82]
	ds_load_b128 v[45:48], v72 offset:12304
	ds_load_b128 v[41:44], v72 offset:12288
	s_waitcnt lgkmcnt(8)
	;; [unrolled: 4-line block ×3, first 2 shown]
	s_barrier
	buffer_gl0_inv
	v_wmma_f32_16x16x16_f16 v[75:82], v[1:8], v[107:114], v[75:82]
	s_delay_alu instid0(VALU_DEP_1) | instskip(NEXT) | instid1(VALU_DEP_1)
	v_wmma_f32_16x16x16_f16 v[75:82], v[9:16], v[115:122], v[75:82]
	v_wmma_f32_16x16x16_f16 v[75:82], v[17:24], v[49:56], v[75:82]
	s_delay_alu instid0(VALU_DEP_1) | instskip(NEXT) | instid1(VALU_DEP_1)
	v_wmma_f32_16x16x16_f16 v[75:82], v[25:32], v[41:48], v[75:82]
	v_wmma_f32_16x16x16_f16 v[75:82], v[57:64], v[33:40], v[75:82]
	s_delay_alu instid0(VALU_DEP_1) | instskip(NEXT) | instid1(VALU_DEP_2)
	v_cvt_f16_f32_e32 v1, v75
	v_cvt_f16_f32_e32 v2, v76
	s_delay_alu instid0(VALU_DEP_3) | instskip(NEXT) | instid1(VALU_DEP_4)
	v_cvt_f16_f32_e32 v3, v77
	v_cvt_f16_f32_e32 v4, v78
	;; [unrolled: 1-line block ×6, first 2 shown]
	v_pack_b32_f16 v1, v1, v2
	v_pack_b32_f16 v2, v3, v4
	;; [unrolled: 1-line block ×3, first 2 shown]
	s_delay_alu instid0(VALU_DEP_4)
	v_pack_b32_f16 v4, v7, v8
	ds_store_b128 v73, v[1:4]
	s_waitcnt lgkmcnt(0)
	s_barrier
	buffer_gl0_inv
	ds_load_b128 v[1:4], v74
	ds_load_b128 v[5:8], v74 offset:16
	s_waitcnt lgkmcnt(1)
	v_lshrrev_b32_e32 v9, 16, v1
	s_waitcnt lgkmcnt(0)
	v_lshrrev_b32_e32 v13, 16, v5
	v_lshrrev_b32_e32 v10, 16, v2
	;; [unrolled: 1-line block ×4, first 2 shown]
	v_cndmask_b32_e32 v17, v1, v9, vcc_lo
	v_cndmask_b32_e32 v18, v5, v13, vcc_lo
	v_cndmask_b32_e64 v21, v1, v9, s3
	v_cmp_eq_u32_e32 vcc_lo, 1, v70
	v_cndmask_b32_e64 v22, v5, v13, s3
	v_cmp_eq_u32_e64 s3, 2, v69
	v_cndmask_b32_e64 v19, v1, v9, s2
	v_cndmask_b32_e64 v20, v5, v13, s2
	v_cndmask_b32_e32 v1, v1, v9, vcc_lo
	v_cmp_eq_u32_e64 s2, 2, v70
	v_cndmask_b32_e32 v5, v5, v13, vcc_lo
	v_cndmask_b32_e64 v9, v17, v2, s3
	v_cmp_eq_u32_e32 vcc_lo, 3, v69
	v_cndmask_b32_e64 v13, v18, v6, s3
	v_cmp_eq_u32_e64 s3, 2, v68
	v_cndmask_b32_e64 v17, v19, v2, s4
	v_cndmask_b32_e64 v18, v20, v6, s4
	v_cmp_eq_u32_e64 s4, 3, v68
	v_cndmask_b32_e64 v1, v1, v2, s2
	v_cndmask_b32_e64 v19, v21, v2, s3
	;; [unrolled: 1-line block ×4, first 2 shown]
	v_cndmask_b32_e32 v5, v9, v10, vcc_lo
	v_cndmask_b32_e32 v6, v13, v14, vcc_lo
	v_cmp_eq_u32_e32 vcc_lo, 3, v70
	v_cndmask_b32_e64 v9, v17, v10, s5
	v_cndmask_b32_e64 v13, v18, v14, s5
	;; [unrolled: 1-line block ×3, first 2 shown]
	v_cmp_eq_u32_e64 s3, 4, v69
	v_cndmask_b32_e32 v1, v1, v10, vcc_lo
	v_cndmask_b32_e32 v2, v2, v14, vcc_lo
	v_cmp_eq_u32_e32 vcc_lo, 4, v71
	v_lshrrev_b32_e32 v15, 16, v7
	v_lshrrev_b32_e32 v16, 16, v8
	v_cndmask_b32_e64 v17, v19, v10, s4
	v_cmp_eq_u32_e64 s2, 4, v70
	v_cndmask_b32_e64 v5, v5, v3, s3
	v_cndmask_b32_e64 v6, v6, v7, s3
	v_cndmask_b32_e32 v9, v9, v3, vcc_lo
	v_cmp_eq_u32_e64 s3, 5, v71
	v_cndmask_b32_e32 v10, v13, v7, vcc_lo
	v_cmp_eq_u32_e32 vcc_lo, 4, v68
	v_cmp_eq_u32_e64 s4, 5, v69
	v_cndmask_b32_e64 v2, v2, v7, s2
	v_cndmask_b32_e64 v9, v9, v11, s3
	;; [unrolled: 1-line block ×3, first 2 shown]
	v_cndmask_b32_e32 v13, v17, v3, vcc_lo
	v_cmp_eq_u32_e64 s3, 5, v68
	v_cndmask_b32_e32 v14, v18, v7, vcc_lo
	v_cndmask_b32_e64 v1, v1, v3, s2
	v_cmp_eq_u32_e32 vcc_lo, 5, v70
	v_lshrrev_b32_e32 v12, 16, v4
	v_cndmask_b32_e64 v13, v13, v11, s3
	v_cndmask_b32_e64 v3, v14, v15, s3
	v_cmp_eq_u32_e64 s3, 6, v70
	v_cndmask_b32_e32 v1, v1, v11, vcc_lo
	v_cndmask_b32_e64 v5, v5, v11, s4
	v_cmp_eq_u32_e64 s5, 6, v69
	v_cndmask_b32_e64 v6, v6, v15, s4
	v_cmp_eq_u32_e64 s4, 6, v71
	v_cmp_eq_u32_e64 s2, 6, v68
	v_cndmask_b32_e64 v1, v1, v4, s3
	v_cndmask_b32_e32 v2, v2, v15, vcc_lo
	v_cmp_eq_u32_e32 vcc_lo, 7, v70
	v_cndmask_b32_e64 v5, v5, v4, s5
	v_cndmask_b32_e64 v9, v9, v4, s4
	;; [unrolled: 1-line block ×3, first 2 shown]
	v_cmp_eq_u32_e64 s5, 7, v69
	v_cndmask_b32_e32 v1, v1, v12, vcc_lo
	v_cndmask_b32_e64 v7, v13, v4, s2
	v_cndmask_b32_e64 v3, v3, v8, s2
	;; [unrolled: 1-line block ×3, first 2 shown]
	v_cmp_eq_u32_e64 s2, 7, v68
	v_cndmask_b32_e64 v4, v10, v8, s4
	v_cndmask_b32_e64 v5, v5, v12, s5
	;; [unrolled: 1-line block ×3, first 2 shown]
	v_cndmask_b32_e32 v2, v2, v16, vcc_lo
	v_cndmask_b32_e64 v7, v7, v12, s2
	v_cndmask_b32_e64 v3, v3, v16, s2
	;; [unrolled: 1-line block ×4, first 2 shown]
	v_perm_b32 v4, v2, v1, 0x5040100
	s_mov_b32 s2, exec_lo
	v_perm_b32 v3, v3, v7, 0x5040100
	v_perm_b32 v2, v8, v9, 0x5040100
	;; [unrolled: 1-line block ×3, first 2 shown]
	ds_store_b128 v73, v[1:4]
	s_waitcnt lgkmcnt(0)
	s_barrier
	buffer_gl0_inv
	v_cmpx_gt_u32_e32 32, v0
	s_cbranch_execz .LBB1237_2
; %bb.15:
	s_load_b64 s[0:1], s[0:1], 0x68
	s_lshl_b32 s4, s34, 7
	v_or_b32_e32 v2, s31, v66
	s_mul_i32 s2, s4, s30
	v_lshlrev_b32_e32 v1, 10, v0
	s_mul_i32 s2, s2, s7
	v_lshlrev_b32_e32 v3, 4, v67
	v_mul_lo_u32 v0, v2, s4
	s_ashr_i32 s3, s2, 31
	v_lshlrev_b32_e32 v4, 6, v66
	v_and_b32_e32 v1, 0x3800, v1
	v_or_b32_e32 v5, 2, v2
	s_lshl_b64 s[2:3], s[2:3], 1
	v_or_b32_e32 v6, 4, v2
	v_or_b32_e32 v7, 6, v2
	v_or3_b32 v12, v1, v3, v4
	v_ashrrev_i32_e32 v1, 31, v0
	v_mul_lo_u32 v2, v5, s4
	v_mul_lo_u32 v16, v6, s4
	;; [unrolled: 1-line block ×3, first 2 shown]
	s_waitcnt lgkmcnt(0)
	s_add_u32 s2, s0, s2
	s_addc_u32 s3, s1, s3
	s_lshl_b32 s0, s14, 7
	v_lshlrev_b64 v[0:1], 1, v[0:1]
	s_ashr_i32 s1, s0, 31
	v_ashrrev_i32_e32 v3, 31, v2
	s_lshl_b64 s[0:1], s[0:1], 1
	v_ashrrev_i32_e32 v17, 31, v16
	s_add_u32 s0, s2, s0
	s_addc_u32 s1, s3, s1
	v_add_co_u32 v24, s0, s0, v65
	s_delay_alu instid0(VALU_DEP_1) | instskip(SKIP_1) | instid1(VALU_DEP_3)
	v_add_co_ci_u32_e64 v25, null, s1, 0, s0
	v_lshlrev_b64 v[22:23], 1, v[2:3]
	v_add_co_u32 v18, vcc_lo, v24, v0
	s_delay_alu instid0(VALU_DEP_3)
	v_add_co_ci_u32_e32 v19, vcc_lo, v25, v1, vcc_lo
	ds_load_b128 v[0:3], v12
	ds_load_b128 v[4:7], v12 offset:128
	ds_load_b128 v[8:11], v12 offset:256
	;; [unrolled: 1-line block ×3, first 2 shown]
	v_ashrrev_i32_e32 v21, 31, v20
	v_lshlrev_b64 v[16:17], 1, v[16:17]
	v_add_co_u32 v22, vcc_lo, v24, v22
	v_add_co_ci_u32_e32 v23, vcc_lo, v25, v23, vcc_lo
	s_delay_alu instid0(VALU_DEP_4) | instskip(NEXT) | instid1(VALU_DEP_4)
	v_lshlrev_b64 v[20:21], 1, v[20:21]
	v_add_co_u32 v16, vcc_lo, v24, v16
	v_add_co_ci_u32_e32 v17, vcc_lo, v25, v17, vcc_lo
	s_delay_alu instid0(VALU_DEP_3) | instskip(NEXT) | instid1(VALU_DEP_4)
	v_add_co_u32 v20, vcc_lo, v24, v20
	v_add_co_ci_u32_e32 v21, vcc_lo, v25, v21, vcc_lo
	s_waitcnt lgkmcnt(3)
	global_store_b128 v[18:19], v[0:3], off
	s_waitcnt lgkmcnt(2)
	global_store_b128 v[22:23], v[4:7], off
	;; [unrolled: 2-line block ×4, first 2 shown]
	s_nop 0
	s_sendmsg sendmsg(MSG_DEALLOC_VGPRS)
	s_endpgm
	.section	.rodata,"a",@progbits
	.p2align	6, 0x0
	.amdhsa_kernel _Z39paged_attention_ll4mi_QKV_mfma16_kernelIDF16_hLN4vllm18Fp8KVCacheDataTypeE1EhLi16ELi128ELi256ELb0ELi8EL8MFMAType0EEvPKT_PKT0_S8_ifPKiSA_SA_iPKfiiiPfSD_PS3_PT2_iSC_SC_
		.amdhsa_group_segment_fixed_size 17472
		.amdhsa_private_segment_fixed_size 0
		.amdhsa_kernarg_size 400
		.amdhsa_user_sgpr_count 13
		.amdhsa_user_sgpr_dispatch_ptr 0
		.amdhsa_user_sgpr_queue_ptr 0
		.amdhsa_user_sgpr_kernarg_segment_ptr 1
		.amdhsa_user_sgpr_dispatch_id 0
		.amdhsa_user_sgpr_private_segment_size 0
		.amdhsa_wavefront_size32 1
		.amdhsa_uses_dynamic_stack 0
		.amdhsa_enable_private_segment 0
		.amdhsa_system_sgpr_workgroup_id_x 1
		.amdhsa_system_sgpr_workgroup_id_y 1
		.amdhsa_system_sgpr_workgroup_id_z 1
		.amdhsa_system_sgpr_workgroup_info 0
		.amdhsa_system_vgpr_workitem_id 0
		.amdhsa_next_free_vgpr 140
		.amdhsa_next_free_sgpr 36
		.amdhsa_reserve_vcc 1
		.amdhsa_float_round_mode_32 0
		.amdhsa_float_round_mode_16_64 0
		.amdhsa_float_denorm_mode_32 3
		.amdhsa_float_denorm_mode_16_64 3
		.amdhsa_dx10_clamp 1
		.amdhsa_ieee_mode 1
		.amdhsa_fp16_overflow 0
		.amdhsa_workgroup_processor_mode 1
		.amdhsa_memory_ordered 1
		.amdhsa_forward_progress 0
		.amdhsa_shared_vgpr_count 0
		.amdhsa_exception_fp_ieee_invalid_op 0
		.amdhsa_exception_fp_denorm_src 0
		.amdhsa_exception_fp_ieee_div_zero 0
		.amdhsa_exception_fp_ieee_overflow 0
		.amdhsa_exception_fp_ieee_underflow 0
		.amdhsa_exception_fp_ieee_inexact 0
		.amdhsa_exception_int_div_zero 0
	.end_amdhsa_kernel
	.section	.text._Z39paged_attention_ll4mi_QKV_mfma16_kernelIDF16_hLN4vllm18Fp8KVCacheDataTypeE1EhLi16ELi128ELi256ELb0ELi8EL8MFMAType0EEvPKT_PKT0_S8_ifPKiSA_SA_iPKfiiiPfSD_PS3_PT2_iSC_SC_,"axG",@progbits,_Z39paged_attention_ll4mi_QKV_mfma16_kernelIDF16_hLN4vllm18Fp8KVCacheDataTypeE1EhLi16ELi128ELi256ELb0ELi8EL8MFMAType0EEvPKT_PKT0_S8_ifPKiSA_SA_iPKfiiiPfSD_PS3_PT2_iSC_SC_,comdat
.Lfunc_end1237:
	.size	_Z39paged_attention_ll4mi_QKV_mfma16_kernelIDF16_hLN4vllm18Fp8KVCacheDataTypeE1EhLi16ELi128ELi256ELb0ELi8EL8MFMAType0EEvPKT_PKT0_S8_ifPKiSA_SA_iPKfiiiPfSD_PS3_PT2_iSC_SC_, .Lfunc_end1237-_Z39paged_attention_ll4mi_QKV_mfma16_kernelIDF16_hLN4vllm18Fp8KVCacheDataTypeE1EhLi16ELi128ELi256ELb0ELi8EL8MFMAType0EEvPKT_PKT0_S8_ifPKiSA_SA_iPKfiiiPfSD_PS3_PT2_iSC_SC_
                                        ; -- End function
	.section	.AMDGPU.csdata,"",@progbits
; Kernel info:
; codeLenInByte = 6620
; NumSgprs: 38
; NumVgprs: 140
; ScratchSize: 0
; MemoryBound: 0
; FloatMode: 240
; IeeeMode: 1
; LDSByteSize: 17472 bytes/workgroup (compile time only)
; SGPRBlocks: 4
; VGPRBlocks: 17
; NumSGPRsForWavesPerEU: 38
; NumVGPRsForWavesPerEU: 140
; Occupancy: 10
; WaveLimiterHint : 1
; COMPUTE_PGM_RSRC2:SCRATCH_EN: 0
; COMPUTE_PGM_RSRC2:USER_SGPR: 13
; COMPUTE_PGM_RSRC2:TRAP_HANDLER: 0
; COMPUTE_PGM_RSRC2:TGID_X_EN: 1
; COMPUTE_PGM_RSRC2:TGID_Y_EN: 1
; COMPUTE_PGM_RSRC2:TGID_Z_EN: 1
; COMPUTE_PGM_RSRC2:TIDIG_COMP_CNT: 0
	.section	.text._Z39paged_attention_ll4mi_QKV_mfma16_kernelIDF16_hLN4vllm18Fp8KVCacheDataTypeE1EhLi16ELi128ELi256ELb0ELi9EL8MFMAType0EEvPKT_PKT0_S8_ifPKiSA_SA_iPKfiiiPfSD_PS3_PT2_iSC_SC_,"axG",@progbits,_Z39paged_attention_ll4mi_QKV_mfma16_kernelIDF16_hLN4vllm18Fp8KVCacheDataTypeE1EhLi16ELi128ELi256ELb0ELi9EL8MFMAType0EEvPKT_PKT0_S8_ifPKiSA_SA_iPKfiiiPfSD_PS3_PT2_iSC_SC_,comdat
	.protected	_Z39paged_attention_ll4mi_QKV_mfma16_kernelIDF16_hLN4vllm18Fp8KVCacheDataTypeE1EhLi16ELi128ELi256ELb0ELi9EL8MFMAType0EEvPKT_PKT0_S8_ifPKiSA_SA_iPKfiiiPfSD_PS3_PT2_iSC_SC_ ; -- Begin function _Z39paged_attention_ll4mi_QKV_mfma16_kernelIDF16_hLN4vllm18Fp8KVCacheDataTypeE1EhLi16ELi128ELi256ELb0ELi9EL8MFMAType0EEvPKT_PKT0_S8_ifPKiSA_SA_iPKfiiiPfSD_PS3_PT2_iSC_SC_
	.globl	_Z39paged_attention_ll4mi_QKV_mfma16_kernelIDF16_hLN4vllm18Fp8KVCacheDataTypeE1EhLi16ELi128ELi256ELb0ELi9EL8MFMAType0EEvPKT_PKT0_S8_ifPKiSA_SA_iPKfiiiPfSD_PS3_PT2_iSC_SC_
	.p2align	8
	.type	_Z39paged_attention_ll4mi_QKV_mfma16_kernelIDF16_hLN4vllm18Fp8KVCacheDataTypeE1EhLi16ELi128ELi256ELb0ELi9EL8MFMAType0EEvPKT_PKT0_S8_ifPKiSA_SA_iPKfiiiPfSD_PS3_PT2_iSC_SC_,@function
_Z39paged_attention_ll4mi_QKV_mfma16_kernelIDF16_hLN4vllm18Fp8KVCacheDataTypeE1EhLi16ELi128ELi256ELb0ELi9EL8MFMAType0EEvPKT_PKT0_S8_ifPKiSA_SA_iPKfiiiPfSD_PS3_PT2_iSC_SC_: ; @_Z39paged_attention_ll4mi_QKV_mfma16_kernelIDF16_hLN4vllm18Fp8KVCacheDataTypeE1EhLi16ELi128ELi256ELb0ELi9EL8MFMAType0EEvPKT_PKT0_S8_ifPKiSA_SA_iPKfiiiPfSD_PS3_PT2_iSC_SC_
; %bb.0:
	s_load_b64 s[4:5], s[0:1], 0x30
	s_mov_b32 s34, s13
	s_waitcnt lgkmcnt(0)
	s_cmp_lg_u64 s[4:5], 0
	s_cselect_b32 s8, -1, 0
	s_ashr_i32 s35, s13, 31
	s_cmp_eq_u64 s[4:5], 0
	s_cbranch_scc1 .LBB1238_3
; %bb.1:
	s_lshl_b64 s[2:3], s[34:35], 2
	s_delay_alu instid0(SALU_CYCLE_1) | instskip(SKIP_4) | instid1(SALU_CYCLE_1)
	s_add_u32 s2, s4, s2
	s_addc_u32 s3, s5, s3
	s_load_b64 s[2:3], s[2:3], 0x0
	s_waitcnt lgkmcnt(0)
	s_sub_i32 s2, s3, s2
	s_cmp_eq_u32 s2, 1
	s_cselect_b32 s2, -1, 0
	s_delay_alu instid0(SALU_CYCLE_1)
	s_and_not1_b32 vcc_lo, exec_lo, s2
	s_cbranch_vccz .LBB1238_4
.LBB1238_2:
	s_nop 0
	s_sendmsg sendmsg(MSG_DEALLOC_VGPRS)
	s_endpgm
.LBB1238_3:
.LBB1238_4:
	s_load_b64 s[2:3], s[0:1], 0x28
	s_lshl_b64 s[6:7], s[34:35], 2
	s_waitcnt lgkmcnt(0)
	s_add_u32 s2, s2, s6
	s_addc_u32 s3, s3, s7
	s_lshl_b32 s12, s14, 8
	s_load_b32 s24, s[2:3], 0x0
	s_waitcnt lgkmcnt(0)
	s_cmp_ge_i32 s12, s24
	s_cbranch_scc1 .LBB1238_2
; %bb.5:
	s_clause 0x1
	s_load_b128 s[20:23], s[0:1], 0x8
	s_load_b64 s[2:3], s[0:1], 0x20
	s_and_not1_b32 vcc_lo, exec_lo, s8
	s_cbranch_vccnz .LBB1238_7
; %bb.6:
	s_add_u32 s4, s4, s6
	s_addc_u32 s5, s5, s7
	s_load_b32 s5, s[4:5], 0x0
	s_branch .LBB1238_8
.LBB1238_7:
	s_mov_b32 s5, s34
.LBB1238_8:
	s_load_b128 s[16:19], s[0:1], 0x48
	v_and_b32_e32 v68, 15, v0
	v_lshrrev_b32_e32 v69, 5, v0
	v_bfe_u32 v66, v0, 4, 1
	v_and_b32_e32 v70, 31, v0
	v_and_b32_e32 v67, 1, v0
	v_lshlrev_b32_e32 v2, 3, v68
	s_mul_i32 s31, s15, 9
	v_lshl_or_b32 v1, v69, 1, v66
	s_mov_b32 s4, exec_lo
	s_delay_alu instid0(VALU_DEP_2) | instskip(NEXT) | instid1(VALU_DEP_2)
	v_lshlrev_b32_e32 v65, 1, v2
	v_cmpx_gt_u32_e32 9, v1
	s_cbranch_execz .LBB1238_10
; %bb.9:
	s_load_b64 s[6:7], s[0:1], 0x0
	v_add_lshl_u32 v2, v1, s31, 7
	s_waitcnt lgkmcnt(0)
	s_mul_hi_i32 s9, s5, s16
	s_mul_i32 s8, s5, s16
	v_lshlrev_b32_e32 v6, 10, v68
	s_lshl_b64 s[8:9], s[8:9], 1
	v_ashrrev_i32_e32 v3, 31, v2
	v_lshlrev_b32_e32 v1, 6, v1
	v_lshlrev_b32_e32 v7, 10, v67
	v_and_b32_e32 v6, 0x3800, v6
	s_delay_alu instid0(VALU_DEP_4) | instskip(NEXT) | instid1(VALU_DEP_2)
	v_lshlrev_b64 v[2:3], 1, v[2:3]
	v_or3_b32 v1, v6, v7, v1
	s_add_u32 s5, s6, s8
	s_addc_u32 s6, s7, s9
	s_delay_alu instid0(VALU_DEP_2) | instskip(NEXT) | instid1(VALU_DEP_3)
	v_add_co_u32 v2, vcc_lo, s5, v2
	v_add_co_ci_u32_e32 v3, vcc_lo, s6, v3, vcc_lo
	s_delay_alu instid0(VALU_DEP_2) | instskip(NEXT) | instid1(VALU_DEP_2)
	v_add_co_u32 v2, vcc_lo, v2, v65
	v_add_co_ci_u32_e32 v3, vcc_lo, 0, v3, vcc_lo
	global_load_b128 v[2:5], v[2:3], off
	s_waitcnt vmcnt(0)
	ds_store_b128 v1, v[2:5]
.LBB1238_10:
	s_or_b32 exec_lo, exec_lo, s4
	v_and_b32_e32 v1, 0xef, v0
	s_waitcnt lgkmcnt(0)
	s_add_i32 s5, s24, 15
	s_clause 0x1
	s_load_b32 s4, s[0:1], 0x38
	s_load_b32 s33, s[0:1], 0x98
	s_ashr_i32 s6, s5, 31
	v_add_nc_u32_e32 v1, s12, v1
	s_lshr_b32 s6, s6, 28
	s_load_b32 s19, s[0:1], 0x1c
	s_add_i32 s5, s5, s6
	s_waitcnt lgkmcnt(0)
	v_ashrrev_i32_e32 v2, 31, v1
	v_or_b32_e32 v3, 16, v1
	s_ashr_i32 s13, s5, 4
	v_cmp_gt_i32_e32 vcc_lo, s24, v1
	s_add_i32 s13, s13, -1
	v_lshrrev_b32_e32 v2, 28, v2
	s_barrier
	buffer_gl0_inv
	s_mul_i32 s15, s15, s18
	v_add_nc_u32_e32 v4, v1, v2
	s_mul_i32 s4, s34, s4
	s_delay_alu instid0(SALU_CYCLE_1) | instskip(NEXT) | instid1(VALU_DEP_1)
	s_ashr_i32 s5, s4, 31
	v_ashrrev_i32_e32 v4, 4, v4
	v_add_nc_u32_e32 v2, v3, v2
	s_lshl_b64 s[4:5], s[4:5], 2
	s_delay_alu instid0(SALU_CYCLE_1) | instskip(NEXT) | instid1(VALU_DEP_2)
	s_add_u32 s16, s2, s4
	v_cndmask_b32_e32 v1, s13, v4, vcc_lo
	s_delay_alu instid0(VALU_DEP_2)
	v_ashrrev_i32_e32 v2, 4, v2
	v_cmp_gt_i32_e32 vcc_lo, s24, v3
	s_addc_u32 s25, s3, s5
	s_ashr_i32 s18, s15, 31
	s_add_u32 s26, s20, s15
	s_addc_u32 s27, s21, s18
	v_cndmask_b32_e32 v3, s13, v2, vcc_lo
	v_ashrrev_i32_e32 v2, 31, v1
	s_lshl_b32 s2, s14, 4
	s_delay_alu instid0(SALU_CYCLE_1) | instskip(NEXT) | instid1(VALU_DEP_2)
	s_ashr_i32 s3, s2, 31
	v_ashrrev_i32_e32 v4, 31, v3
	s_delay_alu instid0(VALU_DEP_2) | instskip(SKIP_1) | instid1(SALU_CYCLE_1)
	v_lshlrev_b64 v[1:2], 2, v[1:2]
	s_lshl_b64 s[2:3], s[2:3], 2
	s_add_u32 s2, s16, s2
	s_delay_alu instid0(VALU_DEP_2) | instskip(SKIP_1) | instid1(VALU_DEP_2)
	v_lshlrev_b64 v[3:4], 2, v[3:4]
	s_addc_u32 s3, s25, s3
	v_add_co_u32 v1, vcc_lo, s16, v1
	v_add_co_ci_u32_e32 v2, vcc_lo, s25, v2, vcc_lo
	s_delay_alu instid0(VALU_DEP_3) | instskip(NEXT) | instid1(VALU_DEP_4)
	v_add_co_u32 v3, vcc_lo, s16, v3
	v_add_co_ci_u32_e32 v4, vcc_lo, s25, v4, vcc_lo
	s_clause 0x1
	global_load_b32 v5, v[1:2], off
	global_load_b32 v7, v[3:4], off
	s_or_b32 s4, s12, 32
	v_lshlrev_b32_e32 v1, 4, v0
	s_ashr_i32 s5, s4, 4
	s_cmp_lt_i32 s4, s24
	v_cmp_gt_u32_e32 vcc_lo, 9, v68
	s_cselect_b32 s4, s5, s13
	v_and_b32_e32 v1, 0xf0, v1
	s_ashr_i32 s5, s4, 31
	s_delay_alu instid0(SALU_CYCLE_1) | instskip(NEXT) | instid1(SALU_CYCLE_1)
	s_lshl_b64 s[4:5], s[4:5], 2
	s_add_u32 s4, s16, s4
	s_addc_u32 s5, s25, s5
	s_or_b32 s6, s12, 64
	v_add_co_u32 v1, s26, s26, v1
	s_ashr_i32 s7, s6, 4
	s_cmp_lt_i32 s6, s24
	v_add_co_ci_u32_e64 v2, null, s27, 0, s26
	s_cselect_b32 s6, s7, s13
	s_delay_alu instid0(SALU_CYCLE_1) | instskip(NEXT) | instid1(SALU_CYCLE_1)
	s_ashr_i32 s7, s6, 31
	s_lshl_b64 s[6:7], s[6:7], 2
	s_delay_alu instid0(SALU_CYCLE_1) | instskip(SKIP_2) | instid1(SALU_CYCLE_1)
	s_add_u32 s6, s16, s6
	s_addc_u32 s7, s25, s7
	s_or_b32 s8, s12, 0x60
	s_ashr_i32 s9, s8, 4
	s_cmp_lt_i32 s8, s24
	s_cselect_b32 s8, s9, s13
	s_delay_alu instid0(SALU_CYCLE_1) | instskip(NEXT) | instid1(SALU_CYCLE_1)
	s_ashr_i32 s9, s8, 31
	s_lshl_b64 s[8:9], s[8:9], 2
	s_delay_alu instid0(SALU_CYCLE_1) | instskip(SKIP_2) | instid1(SALU_CYCLE_1)
	s_add_u32 s8, s16, s8
	s_addc_u32 s9, s25, s9
	s_or_b32 s10, s12, 0x80
	s_ashr_i32 s11, s10, 4
	s_cmp_lt_i32 s10, s24
	;; [unrolled: 10-line block ×3, first 2 shown]
	s_cselect_b32 s20, s21, s13
	s_delay_alu instid0(SALU_CYCLE_1) | instskip(NEXT) | instid1(SALU_CYCLE_1)
	s_ashr_i32 s21, s20, 31
	s_lshl_b64 s[20:21], s[20:21], 2
	s_delay_alu instid0(SALU_CYCLE_1)
	s_add_u32 s20, s16, s20
	s_addc_u32 s21, s25, s21
	s_clause 0x5
	s_load_b32 s26, s[2:3], 0x0
	s_load_b32 s27, s[4:5], 0x0
	;; [unrolled: 1-line block ×6, first 2 shown]
	s_or_b32 s2, s12, 0xc0
	s_mov_b32 s4, 0
	s_ashr_i32 s3, s2, 4
	s_cmp_lt_i32 s2, s24
	s_mov_b32 s11, s4
	s_cselect_b32 s2, s3, s13
	s_mov_b32 s5, s4
	s_ashr_i32 s3, s2, 31
	s_mov_b32 s6, s4
	s_lshl_b64 s[2:3], s[2:3], 2
	s_mov_b32 s7, s4
	s_add_u32 s2, s16, s2
	s_addc_u32 s3, s25, s3
	s_or_b32 s20, s12, 0xe0
	s_mov_b32 s8, s4
	s_ashr_i32 s21, s20, 4
	s_cmp_lt_i32 s20, s24
	s_mov_b32 s9, s4
	s_cselect_b32 s20, s21, s13
	s_mov_b32 s10, s4
	s_ashr_i32 s21, s20, 31
	v_mov_b32_e32 v118, s11
	v_dual_mov_b32 v112, s5 :: v_dual_mov_b32 v117, s10
	v_dual_mov_b32 v116, s9 :: v_dual_mov_b32 v115, s8
	;; [unrolled: 1-line block ×3, first 2 shown]
	v_mov_b32_e32 v111, s4
	s_lshl_b64 s[4:5], s[20:21], 2
	s_delay_alu instid0(SALU_CYCLE_1)
	s_add_u32 s4, s16, s4
	s_addc_u32 s5, s25, s5
	s_add_u32 s6, s22, s15
	s_addc_u32 s7, s23, s18
	s_waitcnt vmcnt(1)
	v_mad_i64_i32 v[3:4], null, v5, s17, v[1:2]
	s_waitcnt vmcnt(0)
	v_mad_i64_i32 v[5:6], null, v7, s17, v[1:2]
	v_add_nc_u32_e32 v1, -9, v68
	v_lshlrev_b32_e32 v2, 4, v68
	s_clause 0xf
	global_load_b128 v[17:20], v[3:4], off
	global_load_b128 v[21:24], v[3:4], off offset:256
	global_load_b128 v[25:28], v[5:6], off
	global_load_b128 v[29:32], v[5:6], off offset:256
	global_load_b128 v[57:60], v[3:4], off offset:512
	;; [unrolled: 1-line block ×13, first 2 shown]
	v_cndmask_b32_e32 v1, v1, v68, vcc_lo
	s_delay_alu instid0(VALU_DEP_1)
	v_lshlrev_b32_e32 v149, 6, v1
	v_lshl_or_b32 v1, v69, 8, v2
	ds_load_b128 v[119:122], v149
	ds_load_b128 v[123:126], v149 offset:1024
	ds_load_b128 v[127:130], v149 offset:2048
	;; [unrolled: 1-line block ×3, first 2 shown]
	s_clause 0x1
	s_load_b32 s2, s[2:3], 0x0
	s_load_b32 s3, s[4:5], 0x0
	v_add_co_u32 v135, s6, s6, v1
	s_delay_alu instid0(VALU_DEP_1) | instskip(SKIP_1) | instid1(VALU_DEP_1)
	v_add_co_ci_u32_e64 v136, null, s7, 0, s6
	s_waitcnt lgkmcnt(0)
	v_mad_i64_i32 v[1:2], null, s26, s17, v[135:136]
	v_mad_i64_i32 v[3:4], null, s27, s17, v[135:136]
	;; [unrolled: 1-line block ×6, first 2 shown]
	s_clause 0x9
	global_load_b128 v[49:52], v[1:2], off
	global_load_b128 v[53:56], v[1:2], off offset:16
	global_load_b128 v[41:44], v[3:4], off
	global_load_b128 v[45:48], v[3:4], off offset:16
	global_load_b128 v[33:36], v[5:6], off
	global_load_b128 v[37:40], v[5:6], off offset:16
	global_load_b128 v[1:4], v[7:8], off
	global_load_b128 v[5:8], v[7:8], off offset:16
	global_load_b128 v[9:12], v[13:14], off
	global_load_b128 v[13:16], v[13:14], off offset:16
	v_mad_i64_i32 v[145:146], null, s2, s17, v[135:136]
	v_mad_i64_i32 v[147:148], null, s3, s17, v[135:136]
	s_waitcnt vmcnt(24)
	v_wmma_f32_16x16x16_f16 v[135:142], v[17:24], v[119:126], v[111:118]
	s_waitcnt vmcnt(22)
	v_wmma_f32_16x16x16_f16 v[111:118], v[25:32], v[119:126], v[111:118]
	s_clause 0x3
	global_load_b128 v[17:20], v[143:144], off
	global_load_b128 v[21:24], v[143:144], off offset:16
	global_load_b128 v[25:28], v[145:146], off
	global_load_b128 v[29:32], v[145:146], off offset:16
	v_and_b32_e32 v119, 0xe0, v0
	s_waitcnt vmcnt(24)
	v_wmma_f32_16x16x16_f16 v[135:142], v[57:64], v[127:134], v[135:142]
	s_clause 0x1
	global_load_b128 v[57:60], v[147:148], off
	global_load_b128 v[61:64], v[147:148], off offset:16
	s_waitcnt vmcnt(24)
	v_wmma_f32_16x16x16_f16 v[111:118], v[71:78], v[127:134], v[111:118]
	ds_load_b128 v[71:74], v149 offset:4096
	ds_load_b128 v[75:78], v149 offset:5120
	v_add_nc_u32_e32 v128, s12, v119
	ds_load_b128 v[119:122], v149 offset:6144
	ds_load_b128 v[123:126], v149 offset:7168
	v_mbcnt_lo_u32_b32 v127, -1, 0
	s_waitcnt vmcnt(0) lgkmcnt(0)
	s_barrier
	v_or_b32_e32 v128, v128, v66
	buffer_gl0_inv
	v_xor_b32_e32 v129, 16, v127
	v_or_b32_e32 v130, 4, v128
	v_or_b32_e32 v131, 6, v128
	s_delay_alu instid0(VALU_DEP_3) | instskip(SKIP_4) | instid1(VALU_DEP_4)
	v_cmp_gt_i32_e32 vcc_lo, 32, v129
	v_or_b32_e32 v132, 8, v128
	v_or_b32_e32 v133, 10, v128
	v_cmp_gt_i32_e64 s3, s24, v130
	v_cmp_gt_i32_e64 s4, s24, v131
	;; [unrolled: 1-line block ×3, first 2 shown]
	v_wmma_f32_16x16x16_f16 v[135:142], v[79:86], v[71:78], v[135:142]
	v_wmma_f32_16x16x16_f16 v[111:118], v[87:94], v[71:78], v[111:118]
	v_or_b32_e32 v79, 12, v128
	v_or_b32_e32 v80, 14, v128
	v_cmp_gt_i32_e64 s6, s24, v133
	v_wmma_f32_16x16x16_f16 v[135:142], v[95:102], v[119:126], v[135:142]
	v_wmma_f32_16x16x16_f16 v[111:118], v[103:110], v[119:126], v[111:118]
	v_cndmask_b32_e32 v127, v127, v129, vcc_lo
	v_or_b32_e32 v129, 2, v128
	v_cmp_gt_i32_e32 vcc_lo, s24, v128
	v_mul_f32_e32 v88, s19, v135
	v_dual_mul_f32 v92, s19, v115 :: v_dual_mul_f32 v87, s19, v136
	s_delay_alu instid0(VALU_DEP_4)
	v_cmp_gt_i32_e64 s2, s24, v129
	v_mul_f32_e32 v78, s19, v138
	v_mul_f32_e32 v86, s19, v137
	v_cndmask_b32_e32 v88, 0xff7fffff, v88, vcc_lo
	v_mul_f32_e32 v76, s19, v140
	v_cndmask_b32_e64 v87, 0xff7fffff, v87, s2
	v_dual_mul_f32 v77, s19, v139 :: v_dual_mul_f32 v94, s19, v113
	v_cndmask_b32_e64 v86, 0xff7fffff, v86, s3
	v_cndmask_b32_e64 v78, 0xff7fffff, v78, s4
	s_delay_alu instid0(VALU_DEP_4)
	v_max3_f32 v87, v88, 0xff7fffff, v87
	v_or_b32_e32 v81, 16, v128
	v_or_b32_e32 v82, 18, v128
	v_dual_mul_f32 v74, s19, v142 :: v_dual_mul_f32 v75, s19, v141
	v_mul_f32_e32 v96, s19, v111
	v_cndmask_b32_e64 v77, 0xff7fffff, v77, s5
	v_cndmask_b32_e64 v76, 0xff7fffff, v76, s6
	v_max3_f32 v78, v87, v86, v78
	v_cmp_gt_i32_e64 s7, s24, v79
	v_cmp_gt_i32_e64 s8, s24, v80
	v_or_b32_e32 v83, 20, v128
	v_or_b32_e32 v84, 22, v128
	v_mul_f32_e32 v95, s19, v112
	v_cndmask_b32_e64 v75, 0xff7fffff, v75, s7
	v_cndmask_b32_e64 v74, 0xff7fffff, v74, s8
	v_max3_f32 v76, v78, v77, v76
	v_cmp_gt_i32_e64 s9, s24, v81
	v_cmp_gt_i32_e64 s10, s24, v82
	v_or_b32_e32 v85, 24, v128
	v_or_b32_e32 v71, 26, v128
	;; [unrolled: 8-line block ×3, first 2 shown]
	v_mul_f32_e32 v91, s19, v116
	v_cndmask_b32_e64 v75, 0xff7fffff, v94, s11
	v_cndmask_b32_e64 v76, 0xff7fffff, v93, s12
	v_max3_f32 v74, v74, v77, v78
	v_cmp_gt_i32_e64 s13, s24, v85
	v_cmp_gt_i32_e64 s15, s24, v71
	v_dual_mul_f32 v89, s19, v118 :: v_dual_mul_f32 v90, s19, v117
	s_delay_alu instid0(VALU_DEP_4) | instskip(NEXT) | instid1(VALU_DEP_4)
	v_max3_f32 v74, v74, v75, v76
	v_cndmask_b32_e64 v77, 0xff7fffff, v92, s13
	s_delay_alu instid0(VALU_DEP_4) | instskip(SKIP_2) | instid1(VALU_DEP_3)
	v_cndmask_b32_e64 v71, 0xff7fffff, v91, s15
	v_cmp_gt_i32_e64 s16, s24, v72
	v_cmp_gt_i32_e64 s17, s24, v73
	v_max3_f32 v71, v74, v77, v71
	s_delay_alu instid0(VALU_DEP_3) | instskip(NEXT) | instid1(VALU_DEP_3)
	v_cndmask_b32_e64 v72, 0xff7fffff, v90, s16
	v_cndmask_b32_e64 v73, 0xff7fffff, v89, s17
	v_lshlrev_b32_e32 v74, 2, v127
	s_delay_alu instid0(VALU_DEP_2) | instskip(SKIP_3) | instid1(VALU_DEP_1)
	v_max3_f32 v71, v71, v72, v73
	ds_bpermute_b32 v72, v74, v71
	s_waitcnt lgkmcnt(0)
	v_max_f32_e32 v72, v72, v72
	v_max_f32_e32 v71, v71, v72
	s_delay_alu instid0(VALU_DEP_1) | instskip(SKIP_4) | instid1(VALU_DEP_4)
	v_fma_f32 v72, s19, v135, -v71
	v_fma_f32 v73, s19, v136, -v71
	;; [unrolled: 1-line block ×5, first 2 shown]
	v_dual_mul_f32 v72, 0x3fb8aa3b, v72 :: v_dual_mul_f32 v73, 0x3fb8aa3b, v73
	v_fma_f32 v80, s19, v141, -v71
	s_delay_alu instid0(VALU_DEP_3) | instskip(NEXT) | instid1(VALU_DEP_3)
	v_dual_mul_f32 v76, 0x3fb8aa3b, v76 :: v_dual_mul_f32 v77, 0x3fb8aa3b, v77
	v_exp_f32_e32 v72, v72
	s_delay_alu instid0(VALU_DEP_3) | instskip(NEXT) | instid1(VALU_DEP_2)
	v_exp_f32_e32 v73, v73
	v_mul_f32_e32 v82, 0x3fb8aa3b, v80
	s_delay_alu instid0(VALU_DEP_2) | instskip(SKIP_1) | instid1(VALU_DEP_1)
	v_exp_f32_e32 v76, v76
	v_exp_f32_e32 v77, v77
	;; [unrolled: 1-line block ×3, first 2 shown]
	v_cndmask_b32_e32 v79, 0, v72, vcc_lo
	v_fma_f32 v72, s19, v140, -v71
	v_mul_f32_e32 v75, 0x3fb8aa3b, v75
	v_cndmask_b32_e64 v78, 0, v73, s2
	s_delay_alu instid0(TRANS32_DEP_3) | instskip(NEXT) | instid1(VALU_DEP_4)
	v_cndmask_b32_e64 v80, 0, v76, s4
	v_dual_add_f32 v73, 0, v79 :: v_dual_mul_f32 v72, 0x3fb8aa3b, v72
	s_delay_alu instid0(VALU_DEP_4) | instskip(NEXT) | instid1(TRANS32_DEP_3)
	v_exp_f32_e32 v75, v75
	v_cndmask_b32_e64 v83, 0, v77, s5
	s_delay_alu instid0(TRANS32_DEP_2) | instskip(NEXT) | instid1(VALU_DEP_3)
	v_cndmask_b32_e64 v85, 0, v84, s7
	v_add_f32_e32 v73, v73, v78
	v_exp_f32_e32 v72, v72
	v_cmp_gt_u32_e64 s2, 16, v70
	s_waitcnt_depctr 0xfff
	v_cndmask_b32_e64 v81, 0, v75, s3
	v_cndmask_b32_e64 v82, 0, v72, s6
	s_delay_alu instid0(VALU_DEP_2) | instskip(NEXT) | instid1(VALU_DEP_1)
	v_add_f32_e32 v73, v73, v81
	v_add_f32_e32 v73, v73, v80
	s_delay_alu instid0(VALU_DEP_1) | instskip(NEXT) | instid1(VALU_DEP_1)
	v_add_f32_e32 v72, v73, v83
	v_add_f32_e32 v72, v72, v82
	s_delay_alu instid0(VALU_DEP_1)
	v_add_f32_e32 v72, v72, v85
	v_fma_f32 v76, s19, v111, -v71
	v_fma_f32 v75, s19, v142, -v71
	v_fma_f32 v86, s19, v114, -v71
	v_fma_f32 v77, s19, v112, -v71
	v_fma_f32 v73, s19, v113, -v71
	v_mul_f32_e32 v76, 0x3fb8aa3b, v76
	s_delay_alu instid0(VALU_DEP_4) | instskip(NEXT) | instid1(VALU_DEP_2)
	v_mul_f32_e32 v86, 0x3fb8aa3b, v86
	v_exp_f32_e32 v76, v76
	s_delay_alu instid0(VALU_DEP_1)
	v_exp_f32_e32 v88, v86
	s_waitcnt_depctr 0xfff
	v_cndmask_b32_e64 v87, 0, v76, s9
	v_fma_f32 v76, s19, v116, -v71
	v_mul_f32_e32 v75, 0x3fb8aa3b, v75
	v_cndmask_b32_e64 v88, 0, v88, s12
	s_delay_alu instid0(VALU_DEP_3) | instskip(NEXT) | instid1(VALU_DEP_3)
	v_dual_mul_f32 v73, 0x3fb8aa3b, v73 :: v_dual_mul_f32 v76, 0x3fb8aa3b, v76
	v_exp_f32_e32 v75, v75
	s_delay_alu instid0(VALU_DEP_1) | instskip(NEXT) | instid1(VALU_DEP_1)
	v_exp_f32_e32 v73, v73
	v_exp_f32_e32 v76, v76
	s_delay_alu instid0(TRANS32_DEP_3)
	v_cndmask_b32_e64 v84, 0, v75, s8
	v_fma_f32 v75, s19, v115, -v71
	s_waitcnt_depctr 0xfff
	v_cndmask_b32_e64 v89, 0, v73, s11
	v_cndmask_b32_e64 v90, 0, v76, s15
	v_add_f32_e32 v72, v72, v84
	s_delay_alu instid0(VALU_DEP_1) | instskip(NEXT) | instid1(VALU_DEP_1)
	v_dual_add_f32 v72, v72, v87 :: v_dual_mul_f32 v77, 0x3fb8aa3b, v77
	v_exp_f32_e32 v77, v77
	s_waitcnt_depctr 0xfff
	v_cndmask_b32_e64 v86, 0, v77, s10
	v_fma_f32 v77, s19, v117, -v71
	s_delay_alu instid0(VALU_DEP_2) | instskip(NEXT) | instid1(VALU_DEP_1)
	v_dual_add_f32 v72, v72, v86 :: v_dual_mul_f32 v75, 0x3fb8aa3b, v75
	v_add_f32_e32 v72, v72, v89
	s_delay_alu instid0(VALU_DEP_2) | instskip(NEXT) | instid1(VALU_DEP_1)
	v_exp_f32_e32 v75, v75
	v_add_f32_e32 v72, v72, v88
	s_waitcnt_depctr 0xfff
	v_cndmask_b32_e64 v91, 0, v75, s13
	v_mul_f32_e32 v73, 0x3fb8aa3b, v77
	v_fma_f32 v77, s19, v118, -v71
	s_delay_alu instid0(VALU_DEP_3) | instskip(NEXT) | instid1(VALU_DEP_3)
	v_add_f32_e32 v72, v72, v91
	v_exp_f32_e32 v73, v73
	s_delay_alu instid0(VALU_DEP_1) | instskip(NEXT) | instid1(VALU_DEP_1)
	v_dual_mul_f32 v75, 0x3fb8aa3b, v77 :: v_dual_add_f32 v72, v72, v90
	v_exp_f32_e32 v75, v75
	s_waitcnt_depctr 0xfff
	v_cndmask_b32_e64 v93, 0, v73, s16
	s_delay_alu instid0(VALU_DEP_1) | instskip(SKIP_1) | instid1(VALU_DEP_1)
	v_add_f32_e32 v72, v72, v93
	v_cndmask_b32_e64 v92, 0, v75, s17
	v_add_f32_e32 v72, v72, v92
	ds_bpermute_b32 v73, v74, v72
	s_and_saveexec_b32 s3, s2
	s_cbranch_execz .LBB1238_12
; %bb.11:
	v_mul_u32_u24_e32 v70, 0x44, v69
	s_waitcnt lgkmcnt(0)
	v_add_f32_e32 v72, v72, v73
	s_delay_alu instid0(VALU_DEP_2) | instskip(NEXT) | instid1(VALU_DEP_1)
	v_lshl_add_u32 v70, v68, 2, v70
	v_add_nc_u32_e32 v70, 0x4000, v70
	ds_store_2addr_b32 v70, v71, v72 offset1:136
.LBB1238_12:
	s_or_b32 exec_lo, exec_lo, s3
	v_lshlrev_b32_e32 v70, 2, v68
	s_load_b32 s35, s[0:1], 0x94
	s_waitcnt lgkmcnt(0)
	s_barrier
	buffer_gl0_inv
	v_add_nc_u32_e32 v98, 0x4000, v70
	v_cmp_eq_u32_e32 vcc_lo, 1, v69
	v_cmp_eq_u32_e64 s3, 2, v69
	v_cmp_eq_u32_e64 s4, 3, v69
	;; [unrolled: 1-line block ×3, first 2 shown]
	ds_load_2addr_b32 v[70:71], v98 offset1:17
	ds_load_2addr_b32 v[72:73], v98 offset0:34 offset1:51
	ds_load_2addr_b32 v[74:75], v98 offset0:68 offset1:85
	;; [unrolled: 1-line block ×3, first 2 shown]
	v_cmp_eq_u32_e64 s6, 5, v69
	v_cmp_eq_u32_e64 s7, 7, v69
	s_waitcnt lgkmcnt(3)
	v_max3_f32 v76, v70, 0xff7fffff, v71
	s_waitcnt lgkmcnt(2)
	s_delay_alu instid0(VALU_DEP_1) | instskip(SKIP_1) | instid1(VALU_DEP_1)
	v_max3_f32 v76, v76, v72, v73
	s_waitcnt lgkmcnt(1)
	v_max3_f32 v76, v76, v74, v75
	s_waitcnt lgkmcnt(0)
	s_delay_alu instid0(VALU_DEP_1) | instskip(NEXT) | instid1(VALU_DEP_1)
	v_max3_f32 v76, v76, v94, v95
	v_sub_f32_e32 v77, v71, v76
	ds_load_2addr_b32 v[96:97], v98 offset0:136 offset1:153
	v_sub_f32_e32 v74, v74, v76
	v_sub_f32_e32 v70, v70, v76
	v_sub_f32_e32 v94, v94, v76
	v_dual_sub_f32 v72, v72, v76 :: v_dual_mul_f32 v77, 0x3fb8aa3b, v77
	s_delay_alu instid0(VALU_DEP_4) | instskip(NEXT) | instid1(VALU_DEP_4)
	v_mul_f32_e32 v103, 0x3fb8aa3b, v74
	v_mul_f32_e32 v99, 0x3fb8aa3b, v70
	ds_load_2addr_b32 v[70:71], v98 offset0:170 offset1:187
	v_dual_mul_f32 v101, 0x3fb8aa3b, v72 :: v_dual_mul_f32 v94, 0x3fb8aa3b, v94
	v_exp_f32_e32 v102, v77
	v_exp_f32_e32 v99, v99
	s_delay_alu instid0(VALU_DEP_1) | instskip(NEXT) | instid1(VALU_DEP_1)
	v_exp_f32_e32 v101, v101
	v_exp_f32_e32 v94, v94
	s_waitcnt lgkmcnt(1)
	s_delay_alu instid0(TRANS32_DEP_3)
	v_fma_f32 v77, v99, v96, 0
	v_sub_f32_e32 v100, v73, v76
	ds_load_2addr_b32 v[72:73], v98 offset0:204 offset1:221
	v_fmac_f32_e32 v77, v102, v97
	v_exp_f32_e32 v97, v103
	s_waitcnt lgkmcnt(1)
	s_delay_alu instid0(VALU_DEP_1)
	v_dual_fmac_f32 v77, v101, v70 :: v_dual_sub_f32 v96, v75, v76
	ds_load_2addr_b32 v[74:75], v98 offset0:238 offset1:255
	v_sub_f32_e32 v70, v95, v76
	s_waitcnt lgkmcnt(0)
	s_barrier
	v_mul_f32_e32 v96, 0x3fb8aa3b, v96
	buffer_gl0_inv
	v_exp_f32_e32 v95, v96
	v_mul_f32_e32 v100, 0x3fb8aa3b, v100
	s_delay_alu instid0(VALU_DEP_1) | instskip(SKIP_3) | instid1(VALU_DEP_2)
	v_exp_f32_e32 v100, v100
	s_waitcnt_depctr 0xfff
	v_dual_fmac_f32 v77, v100, v71 :: v_dual_mul_f32 v70, 0x3fb8aa3b, v70
	v_cndmask_b32_e32 v71, v99, v102, vcc_lo
	v_fmac_f32_e32 v77, v97, v72
	s_delay_alu instid0(VALU_DEP_3) | instskip(NEXT) | instid1(VALU_DEP_1)
	v_exp_f32_e32 v96, v70
	v_fmac_f32_e32 v77, v95, v73
	s_delay_alu instid0(VALU_DEP_1) | instskip(SKIP_2) | instid1(VALU_DEP_1)
	v_fmac_f32_e32 v77, v94, v74
	s_waitcnt_depctr 0xfff
	v_fmac_f32_e32 v77, v96, v75
	v_add_f32_e32 v74, 0x358637bd, v77
	s_delay_alu instid0(VALU_DEP_1) | instskip(SKIP_1) | instid1(VALU_DEP_2)
	v_div_scale_f32 v98, null, v74, v74, 1.0
	v_div_scale_f32 v99, vcc_lo, 1.0, v74, 1.0
	v_rcp_f32_e32 v103, v98
	s_waitcnt_depctr 0xfff
	v_fma_f32 v70, -v98, v103, 1.0
	s_delay_alu instid0(VALU_DEP_1) | instskip(SKIP_2) | instid1(VALU_DEP_2)
	v_fmac_f32_e32 v103, v70, v103
	v_cndmask_b32_e64 v70, v71, v101, s3
	v_cmp_eq_u32_e64 s3, 6, v69
	v_cndmask_b32_e64 v71, v70, v100, s4
	s_delay_alu instid0(VALU_DEP_4) | instskip(NEXT) | instid1(VALU_DEP_2)
	v_dual_mul_f32 v101, v99, v103 :: v_dual_lshlrev_b32 v70, 2, v66
	v_cndmask_b32_e64 v71, v71, v97, s5
	s_delay_alu instid0(VALU_DEP_2) | instskip(NEXT) | instid1(VALU_DEP_3)
	v_or_b32_e32 v72, 1, v70
	v_fma_f32 v100, -v98, v101, v99
	v_cmp_eq_u32_e64 s4, 1, v70
	v_cmp_eq_u32_e64 s5, 2, v70
	v_cndmask_b32_e64 v95, v71, v95, s6
	v_or_b32_e32 v71, 3, v70
	v_fmac_f32_e32 v101, v100, v103
	v_cmp_eq_u32_e64 s9, 1, v72
	v_cmp_eq_u32_e64 s12, 2, v72
	v_cndmask_b32_e64 v94, v95, v94, s3
	v_cmp_eq_u32_e64 s11, 1, v71
	v_fma_f32 v97, -v98, v101, v99
	v_cmp_eq_u32_e64 s16, 2, v71
	v_cmp_eq_u32_e64 s13, 3, v72
	v_cndmask_b32_e64 v94, v94, v96, s7
	v_cmp_eq_u32_e64 s18, 3, v71
	v_div_fmas_f32 v95, v97, v103, v101
	v_cmp_eq_u32_e32 vcc_lo, 3, v70
	v_cmp_eq_u32_e64 s3, 4, v70
	v_cmp_eq_u32_e64 s19, 4, v72
	;; [unrolled: 1-line block ×3, first 2 shown]
	v_div_fixup_f32 v95, v95, v74, 1.0
	v_lshlrev_b32_e32 v73, 6, v68
	v_cmp_eq_u32_e64 s6, 5, v70
	v_cmp_eq_u32_e64 s20, 5, v72
	;; [unrolled: 1-line block ×3, first 2 shown]
	v_mul_f32_e32 v102, v94, v95
	v_lshl_or_b32 v75, v69, 11, v73
	v_or_b32_e32 v69, 2, v70
	v_cmp_eq_u32_e64 s25, 6, v72
	v_cmp_eq_u32_e64 s27, 6, v71
	v_fma_mixlo_f16 v94, v102, v79, 0
	v_fma_mixlo_f16 v95, v102, v81, 0
	;; [unrolled: 1-line block ×8, first 2 shown]
	v_lshl_or_b32 v74, v66, 4, v75
	v_fma_mixhi_f16 v94, v102, v78, 0
	v_fma_mixhi_f16 v95, v102, v80, 0
	;; [unrolled: 1-line block ×8, first 2 shown]
	ds_store_b128 v74, v[94:97]
	ds_store_b128 v74, v[98:101] offset:1024
	s_waitcnt lgkmcnt(0)
	s_barrier
	buffer_gl0_inv
	ds_load_b128 v[78:81], v75
	ds_load_b128 v[82:85], v75 offset:16
	ds_load_b128 v[86:89], v75 offset:1024
	;; [unrolled: 1-line block ×3, first 2 shown]
	v_cmp_eq_u32_e64 s10, 1, v69
	v_cmp_eq_u32_e64 s15, 2, v69
	;; [unrolled: 1-line block ×11, first 2 shown]
	s_waitcnt lgkmcnt(3)
	v_lshrrev_b32_e32 v94, 16, v78
	s_waitcnt lgkmcnt(2)
	v_lshrrev_b32_e32 v98, 16, v82
	;; [unrolled: 2-line block ×4, first 2 shown]
	v_lshrrev_b32_e32 v95, 16, v79
	v_cndmask_b32_e64 v110, v78, v94, s4
	v_cndmask_b32_e64 v111, v82, v98, s4
	;; [unrolled: 1-line block ×8, first 2 shown]
	v_lshrrev_b32_e32 v99, 16, v83
	v_cndmask_b32_e64 v94, v86, v102, s4
	v_cndmask_b32_e64 v98, v90, v106, s4
	;; [unrolled: 1-line block ×15, first 2 shown]
	v_lshrrev_b32_e32 v103, 16, v87
	v_lshrrev_b32_e32 v107, 16, v91
	v_cndmask_b32_e64 v113, v115, v83, s15
	v_cndmask_b32_e64 v82, v94, v87, s5
	;; [unrolled: 1-line block ×7, first 2 shown]
	v_cndmask_b32_e32 v90, v102, v95, vcc_lo
	v_cndmask_b32_e32 v102, v106, v99, vcc_lo
	v_cndmask_b32_e64 v106, v110, v95, s13
	v_cndmask_b32_e64 v110, v111, v99, s13
	v_cndmask_b32_e64 v78, v78, v95, s18
	v_cndmask_b32_e64 v79, v79, v99, s18
	v_lshrrev_b32_e32 v96, 16, v80
	v_lshrrev_b32_e32 v100, 16, v84
	v_cndmask_b32_e64 v111, v112, v95, s17
	v_cndmask_b32_e64 v112, v113, v99, s17
	v_cndmask_b32_e32 v82, v82, v103, vcc_lo
	v_cndmask_b32_e32 v83, v83, v107, vcc_lo
	v_cndmask_b32_e64 v94, v94, v103, s13
	v_cndmask_b32_e64 v90, v90, v80, s3
	v_cndmask_b32_e64 v95, v102, v84, s3
	v_cndmask_b32_e64 v99, v106, v80, s19
	v_cndmask_b32_e64 v102, v110, v84, s19
	v_cndmask_b32_e64 v78, v78, v80, s22
	v_cndmask_b32_e64 v79, v79, v84, s22
	v_lshrrev_b32_e32 v104, 16, v88
	v_cndmask_b32_e64 v106, v111, v80, s21
	v_cndmask_b32_e64 v110, v112, v84, s21
	v_cndmask_b32_e64 v80, v82, v88, s3
	v_cndmask_b32_e64 v82, v83, v92, s3
	v_cndmask_b32_e64 v83, v94, v88, s19
	v_cndmask_b32_e64 v84, v90, v96, s6
	v_cndmask_b32_e64 v90, v95, v100, s6
	v_cndmask_b32_e64 v94, v99, v96, s20
	v_cndmask_b32_e64 v95, v102, v100, s20
	v_cndmask_b32_e64 v78, v78, v96, s24
	v_cndmask_b32_e64 v79, v79, v100, s24
	v_lshrrev_b32_e32 v97, 16, v81
	v_lshrrev_b32_e32 v101, 16, v85
	v_cndmask_b32_e64 v99, v106, v96, s23
	v_cndmask_b32_e64 v102, v110, v100, s23
	v_cndmask_b32_e64 v83, v83, v104, s20
	v_cndmask_b32_e64 v94, v94, v81, s25
	v_cndmask_b32_e64 v95, v95, v85, s25
	v_cndmask_b32_e64 v78, v78, v81, s27
	v_cndmask_b32_e64 v79, v79, v85, s27
	v_lshrrev_b32_e32 v105, 16, v89
	v_cndmask_b32_e64 v80, v80, v104, s6
	v_cndmask_b32_e64 v84, v84, v81, s7
	;; [unrolled: 1-line block ×16, first 2 shown]
	v_perm_b32 v81, v79, v78, 0x5040100
	v_perm_b32 v79, v95, v85, 0x5040100
	v_cndmask_b32_e64 v78, v119, v91, s15
	v_cndmask_b32_e64 v85, v117, v91, s12
	;; [unrolled: 1-line block ×3, first 2 shown]
	v_perm_b32 v80, v94, v90, 0x5040100
	v_cndmask_b32_e64 v90, v98, v103, s17
	v_cndmask_b32_e64 v86, v86, v103, s18
	;; [unrolled: 1-line block ×5, first 2 shown]
	v_lshrrev_b32_e32 v108, 16, v92
	v_cndmask_b32_e64 v90, v90, v88, s21
	v_cndmask_b32_e64 v86, v86, v88, s22
	v_cndmask_b32_e64 v87, v87, v92, s22
	v_cndmask_b32_e64 v78, v78, v92, s21
	v_cndmask_b32_e64 v85, v85, v92, s19
	v_cndmask_b32_e64 v82, v82, v108, s6
	v_cndmask_b32_e64 v88, v90, v104, s23
	v_cndmask_b32_e64 v86, v86, v104, s24
	v_cndmask_b32_e64 v87, v87, v108, s24
	v_cndmask_b32_e64 v78, v78, v108, s23
	v_cndmask_b32_e64 v85, v85, v108, s20
	v_lshrrev_b32_e32 v109, 16, v93
	v_cndmask_b32_e64 v82, v82, v93, s7
	v_cndmask_b32_e64 v88, v88, v89, s26
	;; [unrolled: 1-line block ×12, first 2 shown]
	v_perm_b32 v78, v84, v83, 0x5040100
	v_perm_b32 v85, v87, v86, 0x5040100
	;; [unrolled: 1-line block ×5, first 2 shown]
	s_mul_i32 s8, s33, 9
	s_mov_b32 s3, exec_lo
	ds_store_b128 v74, v[78:81]
	ds_store_b128 v74, v[82:85] offset:1024
	v_cmpx_gt_u32_e32 9, v0
	s_cbranch_execz .LBB1238_14
; %bb.13:
	s_mul_i32 s4, s8, s34
	s_delay_alu instid0(SALU_CYCLE_1) | instskip(SKIP_1) | instid1(VALU_DEP_1)
	v_add3_u32 v68, s4, s31, v68
	s_load_b128 s[4:7], s[0:1], 0x58
	v_mad_u64_u32 v[78:79], null, v68, s35, s[14:15]
	s_delay_alu instid0(VALU_DEP_1) | instskip(NEXT) | instid1(VALU_DEP_1)
	v_ashrrev_i32_e32 v79, 31, v78
	v_lshlrev_b64 v[78:79], 2, v[78:79]
	s_waitcnt lgkmcnt(0)
	s_delay_alu instid0(VALU_DEP_1) | instskip(NEXT) | instid1(VALU_DEP_2)
	v_add_co_u32 v80, vcc_lo, s6, v78
	v_add_co_ci_u32_e32 v81, vcc_lo, s7, v79, vcc_lo
	v_add_co_u32 v78, vcc_lo, s4, v78
	v_add_co_ci_u32_e32 v79, vcc_lo, s5, v79, vcc_lo
	global_store_b32 v[80:81], v76, off
	global_store_b32 v[78:79], v77, off
.LBB1238_14:
	s_or_b32 exec_lo, exec_lo, s3
	s_waitcnt lgkmcnt(0)
	s_waitcnt_vscnt null, 0x0
	s_barrier
	buffer_gl0_inv
	ds_load_b128 v[84:87], v73
	ds_load_b128 v[88:91], v73 offset:16
	ds_load_b128 v[96:99], v73 offset:2064
	;; [unrolled: 1-line block ×5, first 2 shown]
	v_cmp_eq_u32_e32 vcc_lo, 1, v70
	v_mov_b32_e32 v76, 0
	ds_load_b128 v[112:115], v73 offset:6160
	ds_load_b128 v[108:111], v73 offset:6144
	;; [unrolled: 1-line block ×4, first 2 shown]
	v_cmp_eq_u32_e64 s4, 1, v69
	v_cmp_eq_u32_e64 s3, 1, v72
	;; [unrolled: 1-line block ×3, first 2 shown]
	v_mov_b32_e32 v77, v76
	v_mov_b32_e32 v78, v76
	;; [unrolled: 1-line block ×7, first 2 shown]
	v_cmp_eq_u32_e64 s6, 3, v72
	v_cmp_eq_u32_e64 s7, 7, v72
	s_waitcnt lgkmcnt(8)
	s_delay_alu instid0(VALU_DEP_3)
	v_wmma_f32_16x16x16_f16 v[76:83], v[49:56], v[84:91], v[76:83]
	ds_load_b128 v[53:56], v73 offset:10256
	ds_load_b128 v[49:52], v73 offset:10240
	s_waitcnt lgkmcnt(8)
	v_wmma_f32_16x16x16_f16 v[76:83], v[41:48], v[92:99], v[76:83]
	ds_load_b128 v[45:48], v73 offset:12304
	ds_load_b128 v[41:44], v73 offset:12288
	s_waitcnt lgkmcnt(8)
	;; [unrolled: 4-line block ×3, first 2 shown]
	s_barrier
	buffer_gl0_inv
	v_wmma_f32_16x16x16_f16 v[76:83], v[1:8], v[108:115], v[76:83]
	s_delay_alu instid0(VALU_DEP_1) | instskip(NEXT) | instid1(VALU_DEP_1)
	v_wmma_f32_16x16x16_f16 v[76:83], v[9:16], v[116:123], v[76:83]
	v_wmma_f32_16x16x16_f16 v[76:83], v[17:24], v[49:56], v[76:83]
	s_delay_alu instid0(VALU_DEP_1) | instskip(NEXT) | instid1(VALU_DEP_1)
	v_wmma_f32_16x16x16_f16 v[76:83], v[25:32], v[41:48], v[76:83]
	v_wmma_f32_16x16x16_f16 v[76:83], v[57:64], v[33:40], v[76:83]
	s_delay_alu instid0(VALU_DEP_1) | instskip(NEXT) | instid1(VALU_DEP_2)
	v_cvt_f16_f32_e32 v1, v76
	v_cvt_f16_f32_e32 v2, v77
	s_delay_alu instid0(VALU_DEP_3) | instskip(NEXT) | instid1(VALU_DEP_4)
	v_cvt_f16_f32_e32 v3, v78
	v_cvt_f16_f32_e32 v4, v79
	;; [unrolled: 1-line block ×6, first 2 shown]
	v_pack_b32_f16 v1, v1, v2
	v_pack_b32_f16 v2, v3, v4
	;; [unrolled: 1-line block ×3, first 2 shown]
	s_delay_alu instid0(VALU_DEP_4)
	v_pack_b32_f16 v4, v7, v8
	ds_store_b128 v74, v[1:4]
	s_waitcnt lgkmcnt(0)
	s_barrier
	buffer_gl0_inv
	ds_load_b128 v[1:4], v75
	ds_load_b128 v[5:8], v75 offset:16
	s_waitcnt lgkmcnt(1)
	v_lshrrev_b32_e32 v9, 16, v1
	s_waitcnt lgkmcnt(0)
	v_lshrrev_b32_e32 v13, 16, v5
	v_lshrrev_b32_e32 v10, 16, v2
	;; [unrolled: 1-line block ×4, first 2 shown]
	v_cndmask_b32_e32 v17, v1, v9, vcc_lo
	v_cndmask_b32_e32 v18, v5, v13, vcc_lo
	v_cndmask_b32_e64 v21, v1, v9, s4
	v_cmp_eq_u32_e32 vcc_lo, 1, v71
	v_cndmask_b32_e64 v22, v5, v13, s4
	v_cmp_eq_u32_e64 s4, 2, v70
	v_cndmask_b32_e64 v19, v1, v9, s3
	v_cndmask_b32_e64 v20, v5, v13, s3
	v_cndmask_b32_e32 v1, v1, v9, vcc_lo
	v_cmp_eq_u32_e64 s3, 2, v71
	v_cndmask_b32_e32 v5, v5, v13, vcc_lo
	v_cndmask_b32_e64 v9, v17, v2, s4
	v_cmp_eq_u32_e32 vcc_lo, 3, v70
	v_cndmask_b32_e64 v13, v18, v6, s4
	v_cmp_eq_u32_e64 s4, 2, v69
	v_cndmask_b32_e64 v17, v19, v2, s5
	v_cndmask_b32_e64 v18, v20, v6, s5
	v_cmp_eq_u32_e64 s5, 3, v69
	v_cndmask_b32_e64 v1, v1, v2, s3
	v_cndmask_b32_e64 v19, v21, v2, s4
	;; [unrolled: 1-line block ×4, first 2 shown]
	v_cndmask_b32_e32 v5, v9, v10, vcc_lo
	v_cndmask_b32_e32 v6, v13, v14, vcc_lo
	v_cmp_eq_u32_e32 vcc_lo, 3, v71
	v_cndmask_b32_e64 v9, v17, v10, s6
	v_cndmask_b32_e64 v13, v18, v14, s6
	v_cndmask_b32_e64 v18, v20, v14, s5
	v_cmp_eq_u32_e64 s4, 4, v70
	v_cndmask_b32_e32 v1, v1, v10, vcc_lo
	v_cndmask_b32_e32 v2, v2, v14, vcc_lo
	v_cmp_eq_u32_e32 vcc_lo, 4, v72
	v_lshrrev_b32_e32 v15, 16, v7
	v_lshrrev_b32_e32 v16, 16, v8
	v_cndmask_b32_e64 v17, v19, v10, s5
	v_cmp_eq_u32_e64 s3, 4, v71
	v_cndmask_b32_e64 v5, v5, v3, s4
	v_cndmask_b32_e64 v6, v6, v7, s4
	v_cndmask_b32_e32 v9, v9, v3, vcc_lo
	v_cmp_eq_u32_e64 s4, 5, v72
	v_cndmask_b32_e32 v10, v13, v7, vcc_lo
	v_cmp_eq_u32_e32 vcc_lo, 4, v69
	v_cmp_eq_u32_e64 s5, 5, v70
	v_cndmask_b32_e64 v2, v2, v7, s3
	v_cndmask_b32_e64 v9, v9, v11, s4
	;; [unrolled: 1-line block ×3, first 2 shown]
	v_cndmask_b32_e32 v13, v17, v3, vcc_lo
	v_cmp_eq_u32_e64 s4, 5, v69
	v_cndmask_b32_e32 v14, v18, v7, vcc_lo
	v_cndmask_b32_e64 v1, v1, v3, s3
	v_cmp_eq_u32_e32 vcc_lo, 5, v71
	v_lshrrev_b32_e32 v12, 16, v4
	v_cndmask_b32_e64 v13, v13, v11, s4
	v_cndmask_b32_e64 v3, v14, v15, s4
	v_cmp_eq_u32_e64 s4, 6, v71
	v_cndmask_b32_e32 v1, v1, v11, vcc_lo
	v_cndmask_b32_e64 v5, v5, v11, s5
	v_cmp_eq_u32_e64 s6, 6, v70
	v_cndmask_b32_e64 v6, v6, v15, s5
	v_cmp_eq_u32_e64 s5, 6, v72
	v_cmp_eq_u32_e64 s3, 6, v69
	v_cndmask_b32_e64 v1, v1, v4, s4
	v_cndmask_b32_e32 v2, v2, v15, vcc_lo
	v_cmp_eq_u32_e32 vcc_lo, 7, v71
	v_cndmask_b32_e64 v5, v5, v4, s6
	v_cndmask_b32_e64 v9, v9, v4, s5
	;; [unrolled: 1-line block ×3, first 2 shown]
	v_cmp_eq_u32_e64 s6, 7, v70
	v_cndmask_b32_e32 v1, v1, v12, vcc_lo
	v_cndmask_b32_e64 v7, v13, v4, s3
	v_cndmask_b32_e64 v3, v3, v8, s3
	;; [unrolled: 1-line block ×3, first 2 shown]
	v_cmp_eq_u32_e64 s3, 7, v69
	v_cndmask_b32_e64 v4, v10, v8, s5
	v_cndmask_b32_e64 v5, v5, v12, s6
	;; [unrolled: 1-line block ×3, first 2 shown]
	v_cndmask_b32_e32 v2, v2, v16, vcc_lo
	v_cndmask_b32_e64 v7, v7, v12, s3
	v_cndmask_b32_e64 v3, v3, v16, s3
	;; [unrolled: 1-line block ×4, first 2 shown]
	v_perm_b32 v4, v2, v1, 0x5040100
	s_mov_b32 s3, exec_lo
	v_perm_b32 v3, v3, v7, 0x5040100
	v_perm_b32 v2, v8, v9, 0x5040100
	v_perm_b32 v1, v6, v5, 0x5040100
	ds_store_b128 v74, v[1:4]
	s_waitcnt lgkmcnt(0)
	s_barrier
	buffer_gl0_inv
	v_cmpx_gt_u32_e32 32, v0
	s_cbranch_execz .LBB1238_2
; %bb.15:
	s_load_b64 s[4:5], s[0:1], 0x68
	v_lshlrev_b32_e32 v0, 10, v0
	v_lshlrev_b32_e32 v1, 4, v67
	s_lshl_b32 s0, s35, 7
	v_add_nc_u32_e32 v2, s31, v66
	s_mul_i32 s1, s0, s34
	s_delay_alu instid0(SALU_CYCLE_1) | instskip(SKIP_1) | instid1(VALU_DEP_2)
	s_mul_i32 s6, s1, s8
	v_and_or_b32 v0, 0x3800, v0, v1
	v_mul_lo_u32 v1, v2, s0
	s_ashr_i32 s7, s6, 31
	v_add_nc_u32_e32 v3, 2, v2
	s_lshl_b64 s[6:7], s[6:7], 1
	v_add_nc_u32_e32 v4, 4, v2
	v_add_nc_u32_e32 v5, 6, v2
	v_lshl_or_b32 v15, v66, 6, v0
	v_mul_lo_u32 v3, v3, s0
	v_ashrrev_i32_e32 v2, 31, v1
	v_mul_lo_u32 v19, v4, s0
	v_mul_lo_u32 v21, v5, s0
	s_waitcnt lgkmcnt(0)
	s_add_u32 s1, s4, s6
	s_addc_u32 s3, s5, s7
	s_lshl_b32 s4, s14, 7
	v_lshlrev_b64 v[5:6], 1, v[1:2]
	s_ashr_i32 s5, s4, 31
	v_ashrrev_i32_e32 v4, 31, v3
	s_lshl_b64 s[4:5], s[4:5], 1
	v_ashrrev_i32_e32 v20, 31, v19
	s_add_u32 s1, s1, s4
	s_addc_u32 s3, s3, s5
	v_add_co_u32 v1, s1, s1, v65
	s_delay_alu instid0(VALU_DEP_1) | instskip(SKIP_1) | instid1(VALU_DEP_3)
	v_add_co_ci_u32_e64 v2, null, s3, 0, s1
	v_lshlrev_b64 v[25:26], 1, v[3:4]
	v_add_co_u32 v23, vcc_lo, v1, v5
	s_delay_alu instid0(VALU_DEP_3)
	v_add_co_ci_u32_e32 v24, vcc_lo, v2, v6, vcc_lo
	ds_load_b128 v[3:6], v15
	ds_load_b128 v[7:10], v15 offset:128
	ds_load_b128 v[11:14], v15 offset:256
	;; [unrolled: 1-line block ×3, first 2 shown]
	v_ashrrev_i32_e32 v22, 31, v21
	v_lshlrev_b64 v[19:20], 1, v[19:20]
	v_add_co_u32 v25, vcc_lo, v1, v25
	v_add_co_ci_u32_e32 v26, vcc_lo, v2, v26, vcc_lo
	s_delay_alu instid0(VALU_DEP_4) | instskip(NEXT) | instid1(VALU_DEP_4)
	v_lshlrev_b64 v[21:22], 1, v[21:22]
	v_add_co_u32 v19, vcc_lo, v1, v19
	v_add_co_ci_u32_e32 v20, vcc_lo, v2, v20, vcc_lo
	s_delay_alu instid0(VALU_DEP_3) | instskip(NEXT) | instid1(VALU_DEP_4)
	v_add_co_u32 v21, vcc_lo, v1, v21
	v_add_co_ci_u32_e32 v22, vcc_lo, v2, v22, vcc_lo
	s_waitcnt lgkmcnt(3)
	global_store_b128 v[23:24], v[3:6], off
	s_waitcnt lgkmcnt(2)
	global_store_b128 v[25:26], v[7:10], off
	s_waitcnt lgkmcnt(1)
	global_store_b128 v[19:20], v[11:14], off
	s_waitcnt lgkmcnt(0)
	global_store_b128 v[21:22], v[15:18], off
	s_and_b32 exec_lo, exec_lo, s2
	s_cbranch_execz .LBB1238_2
; %bb.16:
	ds_load_b128 v[3:6], v0 offset:512
	s_add_i32 s1, s31, 8
	s_delay_alu instid0(SALU_CYCLE_1) | instskip(NEXT) | instid1(SALU_CYCLE_1)
	s_mul_i32 s0, s1, s0
	s_ashr_i32 s1, s0, 31
	s_delay_alu instid0(SALU_CYCLE_1) | instskip(NEXT) | instid1(SALU_CYCLE_1)
	s_lshl_b64 s[0:1], s[0:1], 1
	v_add_co_u32 v0, vcc_lo, v1, s0
	v_add_co_ci_u32_e32 v1, vcc_lo, s1, v2, vcc_lo
	s_waitcnt lgkmcnt(0)
	global_store_b128 v[0:1], v[3:6], off
	s_nop 0
	s_sendmsg sendmsg(MSG_DEALLOC_VGPRS)
	s_endpgm
	.section	.rodata,"a",@progbits
	.p2align	6, 0x0
	.amdhsa_kernel _Z39paged_attention_ll4mi_QKV_mfma16_kernelIDF16_hLN4vllm18Fp8KVCacheDataTypeE1EhLi16ELi128ELi256ELb0ELi9EL8MFMAType0EEvPKT_PKT0_S8_ifPKiSA_SA_iPKfiiiPfSD_PS3_PT2_iSC_SC_
		.amdhsa_group_segment_fixed_size 17472
		.amdhsa_private_segment_fixed_size 0
		.amdhsa_kernarg_size 400
		.amdhsa_user_sgpr_count 13
		.amdhsa_user_sgpr_dispatch_ptr 0
		.amdhsa_user_sgpr_queue_ptr 0
		.amdhsa_user_sgpr_kernarg_segment_ptr 1
		.amdhsa_user_sgpr_dispatch_id 0
		.amdhsa_user_sgpr_private_segment_size 0
		.amdhsa_wavefront_size32 1
		.amdhsa_uses_dynamic_stack 0
		.amdhsa_enable_private_segment 0
		.amdhsa_system_sgpr_workgroup_id_x 1
		.amdhsa_system_sgpr_workgroup_id_y 1
		.amdhsa_system_sgpr_workgroup_id_z 1
		.amdhsa_system_sgpr_workgroup_info 0
		.amdhsa_system_vgpr_workitem_id 0
		.amdhsa_next_free_vgpr 150
		.amdhsa_next_free_sgpr 36
		.amdhsa_reserve_vcc 1
		.amdhsa_float_round_mode_32 0
		.amdhsa_float_round_mode_16_64 0
		.amdhsa_float_denorm_mode_32 3
		.amdhsa_float_denorm_mode_16_64 3
		.amdhsa_dx10_clamp 1
		.amdhsa_ieee_mode 1
		.amdhsa_fp16_overflow 0
		.amdhsa_workgroup_processor_mode 1
		.amdhsa_memory_ordered 1
		.amdhsa_forward_progress 0
		.amdhsa_shared_vgpr_count 0
		.amdhsa_exception_fp_ieee_invalid_op 0
		.amdhsa_exception_fp_denorm_src 0
		.amdhsa_exception_fp_ieee_div_zero 0
		.amdhsa_exception_fp_ieee_overflow 0
		.amdhsa_exception_fp_ieee_underflow 0
		.amdhsa_exception_fp_ieee_inexact 0
		.amdhsa_exception_int_div_zero 0
	.end_amdhsa_kernel
	.section	.text._Z39paged_attention_ll4mi_QKV_mfma16_kernelIDF16_hLN4vllm18Fp8KVCacheDataTypeE1EhLi16ELi128ELi256ELb0ELi9EL8MFMAType0EEvPKT_PKT0_S8_ifPKiSA_SA_iPKfiiiPfSD_PS3_PT2_iSC_SC_,"axG",@progbits,_Z39paged_attention_ll4mi_QKV_mfma16_kernelIDF16_hLN4vllm18Fp8KVCacheDataTypeE1EhLi16ELi128ELi256ELb0ELi9EL8MFMAType0EEvPKT_PKT0_S8_ifPKiSA_SA_iPKfiiiPfSD_PS3_PT2_iSC_SC_,comdat
.Lfunc_end1238:
	.size	_Z39paged_attention_ll4mi_QKV_mfma16_kernelIDF16_hLN4vllm18Fp8KVCacheDataTypeE1EhLi16ELi128ELi256ELb0ELi9EL8MFMAType0EEvPKT_PKT0_S8_ifPKiSA_SA_iPKfiiiPfSD_PS3_PT2_iSC_SC_, .Lfunc_end1238-_Z39paged_attention_ll4mi_QKV_mfma16_kernelIDF16_hLN4vllm18Fp8KVCacheDataTypeE1EhLi16ELi128ELi256ELb0ELi9EL8MFMAType0EEvPKT_PKT0_S8_ifPKiSA_SA_iPKfiiiPfSD_PS3_PT2_iSC_SC_
                                        ; -- End function
	.section	.AMDGPU.csdata,"",@progbits
; Kernel info:
; codeLenInByte = 6736
; NumSgprs: 38
; NumVgprs: 150
; ScratchSize: 0
; MemoryBound: 0
; FloatMode: 240
; IeeeMode: 1
; LDSByteSize: 17472 bytes/workgroup (compile time only)
; SGPRBlocks: 4
; VGPRBlocks: 18
; NumSGPRsForWavesPerEU: 38
; NumVGPRsForWavesPerEU: 150
; Occupancy: 9
; WaveLimiterHint : 1
; COMPUTE_PGM_RSRC2:SCRATCH_EN: 0
; COMPUTE_PGM_RSRC2:USER_SGPR: 13
; COMPUTE_PGM_RSRC2:TRAP_HANDLER: 0
; COMPUTE_PGM_RSRC2:TGID_X_EN: 1
; COMPUTE_PGM_RSRC2:TGID_Y_EN: 1
; COMPUTE_PGM_RSRC2:TGID_Z_EN: 1
; COMPUTE_PGM_RSRC2:TIDIG_COMP_CNT: 0
	.section	.text._Z39paged_attention_ll4mi_QKV_mfma16_kernelIDF16_hLN4vllm18Fp8KVCacheDataTypeE1EhLi16ELi128ELi256ELb0ELi10EL8MFMAType0EEvPKT_PKT0_S8_ifPKiSA_SA_iPKfiiiPfSD_PS3_PT2_iSC_SC_,"axG",@progbits,_Z39paged_attention_ll4mi_QKV_mfma16_kernelIDF16_hLN4vllm18Fp8KVCacheDataTypeE1EhLi16ELi128ELi256ELb0ELi10EL8MFMAType0EEvPKT_PKT0_S8_ifPKiSA_SA_iPKfiiiPfSD_PS3_PT2_iSC_SC_,comdat
	.protected	_Z39paged_attention_ll4mi_QKV_mfma16_kernelIDF16_hLN4vllm18Fp8KVCacheDataTypeE1EhLi16ELi128ELi256ELb0ELi10EL8MFMAType0EEvPKT_PKT0_S8_ifPKiSA_SA_iPKfiiiPfSD_PS3_PT2_iSC_SC_ ; -- Begin function _Z39paged_attention_ll4mi_QKV_mfma16_kernelIDF16_hLN4vllm18Fp8KVCacheDataTypeE1EhLi16ELi128ELi256ELb0ELi10EL8MFMAType0EEvPKT_PKT0_S8_ifPKiSA_SA_iPKfiiiPfSD_PS3_PT2_iSC_SC_
	.globl	_Z39paged_attention_ll4mi_QKV_mfma16_kernelIDF16_hLN4vllm18Fp8KVCacheDataTypeE1EhLi16ELi128ELi256ELb0ELi10EL8MFMAType0EEvPKT_PKT0_S8_ifPKiSA_SA_iPKfiiiPfSD_PS3_PT2_iSC_SC_
	.p2align	8
	.type	_Z39paged_attention_ll4mi_QKV_mfma16_kernelIDF16_hLN4vllm18Fp8KVCacheDataTypeE1EhLi16ELi128ELi256ELb0ELi10EL8MFMAType0EEvPKT_PKT0_S8_ifPKiSA_SA_iPKfiiiPfSD_PS3_PT2_iSC_SC_,@function
_Z39paged_attention_ll4mi_QKV_mfma16_kernelIDF16_hLN4vllm18Fp8KVCacheDataTypeE1EhLi16ELi128ELi256ELb0ELi10EL8MFMAType0EEvPKT_PKT0_S8_ifPKiSA_SA_iPKfiiiPfSD_PS3_PT2_iSC_SC_: ; @_Z39paged_attention_ll4mi_QKV_mfma16_kernelIDF16_hLN4vllm18Fp8KVCacheDataTypeE1EhLi16ELi128ELi256ELb0ELi10EL8MFMAType0EEvPKT_PKT0_S8_ifPKiSA_SA_iPKfiiiPfSD_PS3_PT2_iSC_SC_
; %bb.0:
	s_load_b64 s[4:5], s[0:1], 0x30
	s_mov_b32 s30, s13
	s_waitcnt lgkmcnt(0)
	s_cmp_lg_u64 s[4:5], 0
	s_cselect_b32 s8, -1, 0
	s_ashr_i32 s31, s13, 31
	s_cmp_eq_u64 s[4:5], 0
	s_cbranch_scc1 .LBB1239_3
; %bb.1:
	s_lshl_b64 s[2:3], s[30:31], 2
	s_delay_alu instid0(SALU_CYCLE_1) | instskip(SKIP_4) | instid1(SALU_CYCLE_1)
	s_add_u32 s2, s4, s2
	s_addc_u32 s3, s5, s3
	s_load_b64 s[2:3], s[2:3], 0x0
	s_waitcnt lgkmcnt(0)
	s_sub_i32 s2, s3, s2
	s_cmp_eq_u32 s2, 1
	s_cselect_b32 s2, -1, 0
	s_delay_alu instid0(SALU_CYCLE_1)
	s_and_not1_b32 vcc_lo, exec_lo, s2
	s_cbranch_vccz .LBB1239_4
.LBB1239_2:
	s_endpgm
.LBB1239_3:
.LBB1239_4:
	s_load_b64 s[2:3], s[0:1], 0x28
	s_lshl_b64 s[6:7], s[30:31], 2
	s_waitcnt lgkmcnt(0)
	s_add_u32 s2, s2, s6
	s_addc_u32 s3, s3, s7
	s_lshl_b32 s12, s14, 8
	s_load_b32 s24, s[2:3], 0x0
	s_waitcnt lgkmcnt(0)
	s_cmp_ge_i32 s12, s24
	s_cbranch_scc1 .LBB1239_2
; %bb.5:
	s_clause 0x1
	s_load_b128 s[20:23], s[0:1], 0x8
	s_load_b64 s[2:3], s[0:1], 0x20
	s_and_not1_b32 vcc_lo, exec_lo, s8
	s_cbranch_vccnz .LBB1239_7
; %bb.6:
	s_add_u32 s4, s4, s6
	s_addc_u32 s5, s5, s7
	s_load_b32 s5, s[4:5], 0x0
	s_branch .LBB1239_8
.LBB1239_7:
	s_mov_b32 s5, s30
.LBB1239_8:
	s_load_b128 s[16:19], s[0:1], 0x48
	v_and_b32_e32 v68, 15, v0
	v_lshrrev_b32_e32 v69, 5, v0
	v_and_b32_e32 v70, 31, v0
	v_and_b32_e32 v67, 1, v0
	v_bfe_u32 v66, v0, 4, 1
	v_lshlrev_b32_e32 v1, 3, v68
	s_mul_i32 s31, s15, 10
	s_mov_b32 s4, exec_lo
	s_delay_alu instid0(VALU_DEP_1)
	v_lshlrev_b32_e32 v65, 1, v1
	v_cmpx_gt_u32_e32 0xa0, v0
	s_cbranch_execz .LBB1239_10
; %bb.9:
	s_load_b64 s[6:7], s[0:1], 0x0
	v_lshl_or_b32 v5, v69, 1, v66
	s_waitcnt lgkmcnt(0)
	s_mul_hi_i32 s9, s5, s16
	s_mul_i32 s8, s5, s16
	v_lshlrev_b32_e32 v6, 10, v68
	s_lshl_b64 s[8:9], s[8:9], 1
	v_add_lshl_u32 v1, v5, s31, 7
	v_lshlrev_b32_e32 v5, 6, v5
	v_lshlrev_b32_e32 v7, 10, v67
	v_and_b32_e32 v6, 0x3800, v6
	s_delay_alu instid0(VALU_DEP_4) | instskip(NEXT) | instid1(VALU_DEP_2)
	v_ashrrev_i32_e32 v2, 31, v1
	v_or3_b32 v5, v6, v7, v5
	s_delay_alu instid0(VALU_DEP_2) | instskip(SKIP_2) | instid1(VALU_DEP_1)
	v_lshlrev_b64 v[1:2], 1, v[1:2]
	s_add_u32 s5, s6, s8
	s_addc_u32 s6, s7, s9
	v_add_co_u32 v1, vcc_lo, s5, v1
	s_delay_alu instid0(VALU_DEP_2) | instskip(NEXT) | instid1(VALU_DEP_2)
	v_add_co_ci_u32_e32 v2, vcc_lo, s6, v2, vcc_lo
	v_add_co_u32 v1, vcc_lo, v1, v65
	s_delay_alu instid0(VALU_DEP_2)
	v_add_co_ci_u32_e32 v2, vcc_lo, 0, v2, vcc_lo
	global_load_b128 v[1:4], v[1:2], off
	s_waitcnt vmcnt(0)
	ds_store_b128 v5, v[1:4]
.LBB1239_10:
	s_or_b32 exec_lo, exec_lo, s4
	v_and_b32_e32 v1, 0xef, v0
	s_waitcnt lgkmcnt(0)
	s_add_i32 s5, s24, 15
	s_clause 0x1
	s_load_b32 s4, s[0:1], 0x38
	s_load_b32 s33, s[0:1], 0x98
	s_ashr_i32 s6, s5, 31
	v_add_nc_u32_e32 v1, s12, v1
	s_lshr_b32 s6, s6, 28
	s_load_b32 s19, s[0:1], 0x1c
	s_add_i32 s5, s5, s6
	s_waitcnt lgkmcnt(0)
	v_ashrrev_i32_e32 v2, 31, v1
	v_or_b32_e32 v3, 16, v1
	s_ashr_i32 s13, s5, 4
	v_cmp_gt_i32_e32 vcc_lo, s24, v1
	s_add_i32 s13, s13, -1
	v_lshrrev_b32_e32 v2, 28, v2
	s_barrier
	buffer_gl0_inv
	s_mul_i32 s15, s15, s18
	v_add_nc_u32_e32 v4, v1, v2
	s_mul_i32 s4, s30, s4
	s_delay_alu instid0(SALU_CYCLE_1) | instskip(NEXT) | instid1(VALU_DEP_1)
	s_ashr_i32 s5, s4, 31
	v_ashrrev_i32_e32 v4, 4, v4
	v_add_nc_u32_e32 v2, v3, v2
	s_lshl_b64 s[4:5], s[4:5], 2
	s_delay_alu instid0(SALU_CYCLE_1) | instskip(NEXT) | instid1(VALU_DEP_2)
	s_add_u32 s16, s2, s4
	v_cndmask_b32_e32 v1, s13, v4, vcc_lo
	s_delay_alu instid0(VALU_DEP_2)
	v_ashrrev_i32_e32 v2, 4, v2
	v_cmp_gt_i32_e32 vcc_lo, s24, v3
	s_addc_u32 s25, s3, s5
	s_ashr_i32 s18, s15, 31
	s_add_u32 s26, s20, s15
	s_addc_u32 s27, s21, s18
	v_cndmask_b32_e32 v3, s13, v2, vcc_lo
	v_ashrrev_i32_e32 v2, 31, v1
	s_lshl_b32 s2, s14, 4
	s_delay_alu instid0(SALU_CYCLE_1) | instskip(NEXT) | instid1(VALU_DEP_2)
	s_ashr_i32 s3, s2, 31
	v_ashrrev_i32_e32 v4, 31, v3
	s_delay_alu instid0(VALU_DEP_2) | instskip(SKIP_1) | instid1(SALU_CYCLE_1)
	v_lshlrev_b64 v[1:2], 2, v[1:2]
	s_lshl_b64 s[2:3], s[2:3], 2
	s_add_u32 s2, s16, s2
	s_delay_alu instid0(VALU_DEP_2) | instskip(SKIP_1) | instid1(VALU_DEP_2)
	v_lshlrev_b64 v[3:4], 2, v[3:4]
	s_addc_u32 s3, s25, s3
	v_add_co_u32 v1, vcc_lo, s16, v1
	v_add_co_ci_u32_e32 v2, vcc_lo, s25, v2, vcc_lo
	s_delay_alu instid0(VALU_DEP_3) | instskip(NEXT) | instid1(VALU_DEP_4)
	v_add_co_u32 v3, vcc_lo, s16, v3
	v_add_co_ci_u32_e32 v4, vcc_lo, s25, v4, vcc_lo
	s_clause 0x1
	global_load_b32 v5, v[1:2], off
	global_load_b32 v7, v[3:4], off
	s_or_b32 s4, s12, 32
	v_lshlrev_b32_e32 v1, 4, v0
	s_ashr_i32 s5, s4, 4
	s_cmp_lt_i32 s4, s24
	v_cmp_gt_u32_e32 vcc_lo, 10, v68
	s_cselect_b32 s4, s5, s13
	v_and_b32_e32 v1, 0xf0, v1
	s_ashr_i32 s5, s4, 31
	s_delay_alu instid0(SALU_CYCLE_1) | instskip(NEXT) | instid1(SALU_CYCLE_1)
	s_lshl_b64 s[4:5], s[4:5], 2
	s_add_u32 s4, s16, s4
	s_addc_u32 s5, s25, s5
	s_or_b32 s6, s12, 64
	v_add_co_u32 v1, s26, s26, v1
	s_ashr_i32 s7, s6, 4
	s_cmp_lt_i32 s6, s24
	v_add_co_ci_u32_e64 v2, null, s27, 0, s26
	s_cselect_b32 s6, s7, s13
	s_delay_alu instid0(SALU_CYCLE_1) | instskip(NEXT) | instid1(SALU_CYCLE_1)
	s_ashr_i32 s7, s6, 31
	s_lshl_b64 s[6:7], s[6:7], 2
	s_delay_alu instid0(SALU_CYCLE_1) | instskip(SKIP_2) | instid1(SALU_CYCLE_1)
	s_add_u32 s6, s16, s6
	s_addc_u32 s7, s25, s7
	s_or_b32 s8, s12, 0x60
	s_ashr_i32 s9, s8, 4
	s_cmp_lt_i32 s8, s24
	s_cselect_b32 s8, s9, s13
	s_delay_alu instid0(SALU_CYCLE_1) | instskip(NEXT) | instid1(SALU_CYCLE_1)
	s_ashr_i32 s9, s8, 31
	s_lshl_b64 s[8:9], s[8:9], 2
	s_delay_alu instid0(SALU_CYCLE_1) | instskip(SKIP_2) | instid1(SALU_CYCLE_1)
	s_add_u32 s8, s16, s8
	s_addc_u32 s9, s25, s9
	s_or_b32 s10, s12, 0x80
	s_ashr_i32 s11, s10, 4
	s_cmp_lt_i32 s10, s24
	;; [unrolled: 10-line block ×3, first 2 shown]
	s_cselect_b32 s20, s21, s13
	s_delay_alu instid0(SALU_CYCLE_1) | instskip(NEXT) | instid1(SALU_CYCLE_1)
	s_ashr_i32 s21, s20, 31
	s_lshl_b64 s[20:21], s[20:21], 2
	s_delay_alu instid0(SALU_CYCLE_1)
	s_add_u32 s20, s16, s20
	s_addc_u32 s21, s25, s21
	s_clause 0x5
	s_load_b32 s26, s[2:3], 0x0
	s_load_b32 s27, s[4:5], 0x0
	;; [unrolled: 1-line block ×6, first 2 shown]
	s_or_b32 s2, s12, 0xc0
	s_mov_b32 s4, 0
	s_ashr_i32 s3, s2, 4
	s_cmp_lt_i32 s2, s24
	s_mov_b32 s11, s4
	s_cselect_b32 s2, s3, s13
	s_mov_b32 s5, s4
	s_ashr_i32 s3, s2, 31
	s_mov_b32 s6, s4
	s_lshl_b64 s[2:3], s[2:3], 2
	s_mov_b32 s7, s4
	s_add_u32 s2, s16, s2
	s_addc_u32 s3, s25, s3
	s_or_b32 s20, s12, 0xe0
	s_mov_b32 s8, s4
	s_ashr_i32 s21, s20, 4
	s_cmp_lt_i32 s20, s24
	s_mov_b32 s9, s4
	s_cselect_b32 s20, s21, s13
	s_mov_b32 s10, s4
	s_ashr_i32 s21, s20, 31
	v_mov_b32_e32 v118, s11
	v_dual_mov_b32 v112, s5 :: v_dual_mov_b32 v117, s10
	v_dual_mov_b32 v116, s9 :: v_dual_mov_b32 v115, s8
	;; [unrolled: 1-line block ×3, first 2 shown]
	v_mov_b32_e32 v111, s4
	s_lshl_b64 s[4:5], s[20:21], 2
	s_delay_alu instid0(SALU_CYCLE_1)
	s_add_u32 s4, s16, s4
	s_addc_u32 s5, s25, s5
	s_add_u32 s6, s22, s15
	s_addc_u32 s7, s23, s18
	s_waitcnt vmcnt(1)
	v_mad_i64_i32 v[3:4], null, v5, s17, v[1:2]
	s_waitcnt vmcnt(0)
	v_mad_i64_i32 v[5:6], null, v7, s17, v[1:2]
	v_add_nc_u32_e32 v1, -10, v68
	v_lshlrev_b32_e32 v2, 4, v68
	s_clause 0xf
	global_load_b128 v[17:20], v[3:4], off
	global_load_b128 v[21:24], v[3:4], off offset:256
	global_load_b128 v[25:28], v[5:6], off
	global_load_b128 v[29:32], v[5:6], off offset:256
	global_load_b128 v[57:60], v[3:4], off offset:512
	;; [unrolled: 1-line block ×13, first 2 shown]
	v_cndmask_b32_e32 v1, v1, v68, vcc_lo
	s_delay_alu instid0(VALU_DEP_1)
	v_lshlrev_b32_e32 v149, 6, v1
	v_lshl_or_b32 v1, v69, 8, v2
	ds_load_b128 v[119:122], v149
	ds_load_b128 v[123:126], v149 offset:1024
	ds_load_b128 v[127:130], v149 offset:2048
	;; [unrolled: 1-line block ×3, first 2 shown]
	s_clause 0x1
	s_load_b32 s2, s[2:3], 0x0
	s_load_b32 s3, s[4:5], 0x0
	v_add_co_u32 v135, s6, s6, v1
	s_delay_alu instid0(VALU_DEP_1) | instskip(SKIP_1) | instid1(VALU_DEP_1)
	v_add_co_ci_u32_e64 v136, null, s7, 0, s6
	s_waitcnt lgkmcnt(0)
	v_mad_i64_i32 v[1:2], null, s26, s17, v[135:136]
	v_mad_i64_i32 v[3:4], null, s27, s17, v[135:136]
	;; [unrolled: 1-line block ×6, first 2 shown]
	s_clause 0x9
	global_load_b128 v[49:52], v[1:2], off
	global_load_b128 v[53:56], v[1:2], off offset:16
	global_load_b128 v[41:44], v[3:4], off
	global_load_b128 v[45:48], v[3:4], off offset:16
	;; [unrolled: 2-line block ×5, first 2 shown]
	v_mad_i64_i32 v[145:146], null, s2, s17, v[135:136]
	v_mad_i64_i32 v[147:148], null, s3, s17, v[135:136]
	s_waitcnt vmcnt(24)
	v_wmma_f32_16x16x16_f16 v[135:142], v[17:24], v[119:126], v[111:118]
	s_waitcnt vmcnt(22)
	v_wmma_f32_16x16x16_f16 v[111:118], v[25:32], v[119:126], v[111:118]
	s_clause 0x3
	global_load_b128 v[17:20], v[143:144], off
	global_load_b128 v[21:24], v[143:144], off offset:16
	global_load_b128 v[25:28], v[145:146], off
	global_load_b128 v[29:32], v[145:146], off offset:16
	v_and_b32_e32 v119, 0xe0, v0
	s_waitcnt vmcnt(24)
	v_wmma_f32_16x16x16_f16 v[135:142], v[57:64], v[127:134], v[135:142]
	s_clause 0x1
	global_load_b128 v[57:60], v[147:148], off
	global_load_b128 v[61:64], v[147:148], off offset:16
	s_waitcnt vmcnt(24)
	v_wmma_f32_16x16x16_f16 v[111:118], v[71:78], v[127:134], v[111:118]
	ds_load_b128 v[71:74], v149 offset:4096
	ds_load_b128 v[75:78], v149 offset:5120
	v_add_nc_u32_e32 v128, s12, v119
	ds_load_b128 v[119:122], v149 offset:6144
	ds_load_b128 v[123:126], v149 offset:7168
	v_mbcnt_lo_u32_b32 v127, -1, 0
	s_waitcnt vmcnt(0) lgkmcnt(0)
	s_barrier
	v_or_b32_e32 v128, v128, v66
	buffer_gl0_inv
	v_xor_b32_e32 v129, 16, v127
	v_or_b32_e32 v130, 4, v128
	v_or_b32_e32 v131, 6, v128
	s_delay_alu instid0(VALU_DEP_3) | instskip(SKIP_4) | instid1(VALU_DEP_4)
	v_cmp_gt_i32_e32 vcc_lo, 32, v129
	v_or_b32_e32 v132, 8, v128
	v_or_b32_e32 v133, 10, v128
	v_cmp_gt_i32_e64 s3, s24, v130
	v_cmp_gt_i32_e64 s4, s24, v131
	;; [unrolled: 1-line block ×3, first 2 shown]
	v_wmma_f32_16x16x16_f16 v[135:142], v[79:86], v[71:78], v[135:142]
	v_wmma_f32_16x16x16_f16 v[111:118], v[87:94], v[71:78], v[111:118]
	v_or_b32_e32 v79, 12, v128
	v_or_b32_e32 v80, 14, v128
	v_cmp_gt_i32_e64 s6, s24, v133
	v_wmma_f32_16x16x16_f16 v[135:142], v[95:102], v[119:126], v[135:142]
	v_wmma_f32_16x16x16_f16 v[111:118], v[103:110], v[119:126], v[111:118]
	v_cndmask_b32_e32 v127, v127, v129, vcc_lo
	v_or_b32_e32 v129, 2, v128
	v_cmp_gt_i32_e32 vcc_lo, s24, v128
	v_mul_f32_e32 v88, s19, v135
	v_dual_mul_f32 v92, s19, v115 :: v_dual_mul_f32 v87, s19, v136
	s_delay_alu instid0(VALU_DEP_4)
	v_cmp_gt_i32_e64 s2, s24, v129
	v_mul_f32_e32 v78, s19, v138
	v_mul_f32_e32 v86, s19, v137
	v_cndmask_b32_e32 v88, 0xff7fffff, v88, vcc_lo
	v_mul_f32_e32 v76, s19, v140
	v_cndmask_b32_e64 v87, 0xff7fffff, v87, s2
	v_dual_mul_f32 v77, s19, v139 :: v_dual_mul_f32 v94, s19, v113
	v_cndmask_b32_e64 v86, 0xff7fffff, v86, s3
	v_cndmask_b32_e64 v78, 0xff7fffff, v78, s4
	s_delay_alu instid0(VALU_DEP_4)
	v_max3_f32 v87, v88, 0xff7fffff, v87
	v_or_b32_e32 v81, 16, v128
	v_or_b32_e32 v82, 18, v128
	v_dual_mul_f32 v74, s19, v142 :: v_dual_mul_f32 v75, s19, v141
	v_mul_f32_e32 v96, s19, v111
	v_cndmask_b32_e64 v77, 0xff7fffff, v77, s5
	v_cndmask_b32_e64 v76, 0xff7fffff, v76, s6
	v_max3_f32 v78, v87, v86, v78
	v_cmp_gt_i32_e64 s7, s24, v79
	v_cmp_gt_i32_e64 s8, s24, v80
	v_or_b32_e32 v83, 20, v128
	v_or_b32_e32 v84, 22, v128
	v_mul_f32_e32 v95, s19, v112
	v_cndmask_b32_e64 v75, 0xff7fffff, v75, s7
	v_cndmask_b32_e64 v74, 0xff7fffff, v74, s8
	v_max3_f32 v76, v78, v77, v76
	v_cmp_gt_i32_e64 s9, s24, v81
	v_cmp_gt_i32_e64 s10, s24, v82
	v_or_b32_e32 v85, 24, v128
	v_or_b32_e32 v71, 26, v128
	;; [unrolled: 8-line block ×3, first 2 shown]
	v_mul_f32_e32 v91, s19, v116
	v_cndmask_b32_e64 v75, 0xff7fffff, v94, s11
	v_cndmask_b32_e64 v76, 0xff7fffff, v93, s12
	v_max3_f32 v74, v74, v77, v78
	v_cmp_gt_i32_e64 s13, s24, v85
	v_cmp_gt_i32_e64 s15, s24, v71
	v_dual_mul_f32 v89, s19, v118 :: v_dual_mul_f32 v90, s19, v117
	s_delay_alu instid0(VALU_DEP_4) | instskip(NEXT) | instid1(VALU_DEP_4)
	v_max3_f32 v74, v74, v75, v76
	v_cndmask_b32_e64 v77, 0xff7fffff, v92, s13
	s_delay_alu instid0(VALU_DEP_4) | instskip(SKIP_2) | instid1(VALU_DEP_3)
	v_cndmask_b32_e64 v71, 0xff7fffff, v91, s15
	v_cmp_gt_i32_e64 s16, s24, v72
	v_cmp_gt_i32_e64 s17, s24, v73
	v_max3_f32 v71, v74, v77, v71
	s_delay_alu instid0(VALU_DEP_3) | instskip(NEXT) | instid1(VALU_DEP_3)
	v_cndmask_b32_e64 v72, 0xff7fffff, v90, s16
	v_cndmask_b32_e64 v73, 0xff7fffff, v89, s17
	v_lshlrev_b32_e32 v74, 2, v127
	s_delay_alu instid0(VALU_DEP_2) | instskip(SKIP_3) | instid1(VALU_DEP_1)
	v_max3_f32 v71, v71, v72, v73
	ds_bpermute_b32 v72, v74, v71
	s_waitcnt lgkmcnt(0)
	v_max_f32_e32 v72, v72, v72
	v_max_f32_e32 v71, v71, v72
	s_delay_alu instid0(VALU_DEP_1) | instskip(SKIP_4) | instid1(VALU_DEP_4)
	v_fma_f32 v72, s19, v135, -v71
	v_fma_f32 v73, s19, v136, -v71
	;; [unrolled: 1-line block ×5, first 2 shown]
	v_dual_mul_f32 v72, 0x3fb8aa3b, v72 :: v_dual_mul_f32 v73, 0x3fb8aa3b, v73
	v_fma_f32 v80, s19, v141, -v71
	s_delay_alu instid0(VALU_DEP_3) | instskip(NEXT) | instid1(VALU_DEP_3)
	v_dual_mul_f32 v76, 0x3fb8aa3b, v76 :: v_dual_mul_f32 v77, 0x3fb8aa3b, v77
	v_exp_f32_e32 v72, v72
	s_delay_alu instid0(VALU_DEP_3) | instskip(NEXT) | instid1(VALU_DEP_2)
	v_exp_f32_e32 v73, v73
	v_mul_f32_e32 v82, 0x3fb8aa3b, v80
	s_delay_alu instid0(VALU_DEP_2) | instskip(SKIP_1) | instid1(VALU_DEP_1)
	v_exp_f32_e32 v76, v76
	v_exp_f32_e32 v77, v77
	;; [unrolled: 1-line block ×3, first 2 shown]
	v_cndmask_b32_e32 v79, 0, v72, vcc_lo
	v_fma_f32 v72, s19, v140, -v71
	v_mul_f32_e32 v75, 0x3fb8aa3b, v75
	v_cndmask_b32_e64 v78, 0, v73, s2
	s_delay_alu instid0(TRANS32_DEP_3) | instskip(NEXT) | instid1(VALU_DEP_4)
	v_cndmask_b32_e64 v80, 0, v76, s4
	v_dual_add_f32 v73, 0, v79 :: v_dual_mul_f32 v72, 0x3fb8aa3b, v72
	s_delay_alu instid0(VALU_DEP_4) | instskip(NEXT) | instid1(TRANS32_DEP_3)
	v_exp_f32_e32 v75, v75
	v_cndmask_b32_e64 v83, 0, v77, s5
	s_delay_alu instid0(TRANS32_DEP_2) | instskip(NEXT) | instid1(VALU_DEP_3)
	v_cndmask_b32_e64 v85, 0, v84, s7
	v_add_f32_e32 v73, v73, v78
	v_exp_f32_e32 v72, v72
	s_mov_b32 s2, exec_lo
	s_waitcnt_depctr 0xfff
	v_cndmask_b32_e64 v81, 0, v75, s3
	v_cndmask_b32_e64 v82, 0, v72, s6
	s_delay_alu instid0(VALU_DEP_2) | instskip(NEXT) | instid1(VALU_DEP_1)
	v_add_f32_e32 v73, v73, v81
	v_add_f32_e32 v73, v73, v80
	s_delay_alu instid0(VALU_DEP_1) | instskip(NEXT) | instid1(VALU_DEP_1)
	v_add_f32_e32 v72, v73, v83
	v_add_f32_e32 v72, v72, v82
	s_delay_alu instid0(VALU_DEP_1)
	v_add_f32_e32 v72, v72, v85
	v_fma_f32 v76, s19, v111, -v71
	v_fma_f32 v75, s19, v142, -v71
	;; [unrolled: 1-line block ×5, first 2 shown]
	v_mul_f32_e32 v76, 0x3fb8aa3b, v76
	s_delay_alu instid0(VALU_DEP_4) | instskip(NEXT) | instid1(VALU_DEP_2)
	v_mul_f32_e32 v86, 0x3fb8aa3b, v86
	v_exp_f32_e32 v76, v76
	s_delay_alu instid0(VALU_DEP_1)
	v_exp_f32_e32 v88, v86
	s_waitcnt_depctr 0xfff
	v_cndmask_b32_e64 v87, 0, v76, s9
	v_fma_f32 v76, s19, v116, -v71
	v_mul_f32_e32 v75, 0x3fb8aa3b, v75
	v_cndmask_b32_e64 v88, 0, v88, s12
	s_delay_alu instid0(VALU_DEP_3) | instskip(NEXT) | instid1(VALU_DEP_3)
	v_dual_mul_f32 v73, 0x3fb8aa3b, v73 :: v_dual_mul_f32 v76, 0x3fb8aa3b, v76
	v_exp_f32_e32 v75, v75
	s_delay_alu instid0(VALU_DEP_1) | instskip(NEXT) | instid1(VALU_DEP_1)
	v_exp_f32_e32 v73, v73
	v_exp_f32_e32 v76, v76
	s_delay_alu instid0(TRANS32_DEP_3)
	v_cndmask_b32_e64 v84, 0, v75, s8
	v_fma_f32 v75, s19, v115, -v71
	s_waitcnt_depctr 0xfff
	v_cndmask_b32_e64 v89, 0, v73, s11
	v_cndmask_b32_e64 v90, 0, v76, s15
	v_add_f32_e32 v72, v72, v84
	s_delay_alu instid0(VALU_DEP_1) | instskip(NEXT) | instid1(VALU_DEP_1)
	v_dual_add_f32 v72, v72, v87 :: v_dual_mul_f32 v77, 0x3fb8aa3b, v77
	v_exp_f32_e32 v77, v77
	s_waitcnt_depctr 0xfff
	v_cndmask_b32_e64 v86, 0, v77, s10
	v_fma_f32 v77, s19, v117, -v71
	s_delay_alu instid0(VALU_DEP_2) | instskip(NEXT) | instid1(VALU_DEP_1)
	v_dual_add_f32 v72, v72, v86 :: v_dual_mul_f32 v75, 0x3fb8aa3b, v75
	v_add_f32_e32 v72, v72, v89
	s_delay_alu instid0(VALU_DEP_2) | instskip(NEXT) | instid1(VALU_DEP_1)
	v_exp_f32_e32 v75, v75
	v_add_f32_e32 v72, v72, v88
	s_waitcnt_depctr 0xfff
	v_cndmask_b32_e64 v91, 0, v75, s13
	v_mul_f32_e32 v73, 0x3fb8aa3b, v77
	v_fma_f32 v77, s19, v118, -v71
	s_delay_alu instid0(VALU_DEP_3) | instskip(NEXT) | instid1(VALU_DEP_3)
	v_add_f32_e32 v72, v72, v91
	v_exp_f32_e32 v73, v73
	s_delay_alu instid0(VALU_DEP_1) | instskip(NEXT) | instid1(VALU_DEP_1)
	v_dual_mul_f32 v75, 0x3fb8aa3b, v77 :: v_dual_add_f32 v72, v72, v90
	v_exp_f32_e32 v75, v75
	s_waitcnt_depctr 0xfff
	v_cndmask_b32_e64 v93, 0, v73, s16
	s_delay_alu instid0(VALU_DEP_1) | instskip(SKIP_1) | instid1(VALU_DEP_1)
	v_add_f32_e32 v72, v72, v93
	v_cndmask_b32_e64 v92, 0, v75, s17
	v_add_f32_e32 v72, v72, v92
	ds_bpermute_b32 v73, v74, v72
	v_cmpx_gt_u32_e32 16, v70
	s_cbranch_execz .LBB1239_12
; %bb.11:
	v_mul_u32_u24_e32 v70, 0x44, v69
	s_waitcnt lgkmcnt(0)
	v_add_f32_e32 v72, v72, v73
	s_delay_alu instid0(VALU_DEP_2) | instskip(NEXT) | instid1(VALU_DEP_1)
	v_lshl_add_u32 v70, v68, 2, v70
	v_add_nc_u32_e32 v70, 0x4000, v70
	ds_store_2addr_b32 v70, v71, v72 offset1:136
.LBB1239_12:
	s_or_b32 exec_lo, exec_lo, s2
	v_lshlrev_b32_e32 v70, 2, v68
	s_load_b32 s34, s[0:1], 0x94
	s_waitcnt lgkmcnt(0)
	s_barrier
	buffer_gl0_inv
	v_add_nc_u32_e32 v98, 0x4000, v70
	v_cmp_eq_u32_e32 vcc_lo, 1, v69
	v_cmp_eq_u32_e64 s2, 2, v69
	v_cmp_eq_u32_e64 s3, 3, v69
	;; [unrolled: 1-line block ×3, first 2 shown]
	ds_load_2addr_b32 v[70:71], v98 offset1:17
	ds_load_2addr_b32 v[72:73], v98 offset0:34 offset1:51
	ds_load_2addr_b32 v[74:75], v98 offset0:68 offset1:85
	ds_load_2addr_b32 v[94:95], v98 offset0:102 offset1:119
	v_cmp_eq_u32_e64 s5, 5, v69
	v_cmp_eq_u32_e64 s6, 7, v69
	s_waitcnt lgkmcnt(3)
	v_max3_f32 v76, v70, 0xff7fffff, v71
	s_waitcnt lgkmcnt(2)
	s_delay_alu instid0(VALU_DEP_1) | instskip(SKIP_1) | instid1(VALU_DEP_1)
	v_max3_f32 v76, v76, v72, v73
	s_waitcnt lgkmcnt(1)
	v_max3_f32 v76, v76, v74, v75
	s_waitcnt lgkmcnt(0)
	s_delay_alu instid0(VALU_DEP_1) | instskip(NEXT) | instid1(VALU_DEP_1)
	v_max3_f32 v76, v76, v94, v95
	v_sub_f32_e32 v77, v71, v76
	ds_load_2addr_b32 v[96:97], v98 offset0:136 offset1:153
	v_sub_f32_e32 v74, v74, v76
	v_sub_f32_e32 v70, v70, v76
	;; [unrolled: 1-line block ×3, first 2 shown]
	v_dual_sub_f32 v72, v72, v76 :: v_dual_mul_f32 v77, 0x3fb8aa3b, v77
	s_delay_alu instid0(VALU_DEP_4) | instskip(NEXT) | instid1(VALU_DEP_4)
	v_mul_f32_e32 v103, 0x3fb8aa3b, v74
	v_mul_f32_e32 v99, 0x3fb8aa3b, v70
	ds_load_2addr_b32 v[70:71], v98 offset0:170 offset1:187
	v_dual_mul_f32 v101, 0x3fb8aa3b, v72 :: v_dual_mul_f32 v94, 0x3fb8aa3b, v94
	v_exp_f32_e32 v102, v77
	v_exp_f32_e32 v99, v99
	s_delay_alu instid0(VALU_DEP_1) | instskip(NEXT) | instid1(VALU_DEP_1)
	v_exp_f32_e32 v101, v101
	v_exp_f32_e32 v94, v94
	s_waitcnt lgkmcnt(1)
	s_delay_alu instid0(TRANS32_DEP_3)
	v_fma_f32 v77, v99, v96, 0
	v_sub_f32_e32 v100, v73, v76
	ds_load_2addr_b32 v[72:73], v98 offset0:204 offset1:221
	v_fmac_f32_e32 v77, v102, v97
	v_exp_f32_e32 v97, v103
	s_waitcnt lgkmcnt(1)
	s_delay_alu instid0(VALU_DEP_1)
	v_dual_fmac_f32 v77, v101, v70 :: v_dual_sub_f32 v96, v75, v76
	ds_load_2addr_b32 v[74:75], v98 offset0:238 offset1:255
	v_sub_f32_e32 v70, v95, v76
	s_waitcnt lgkmcnt(0)
	s_barrier
	v_mul_f32_e32 v96, 0x3fb8aa3b, v96
	buffer_gl0_inv
	v_exp_f32_e32 v95, v96
	v_mul_f32_e32 v100, 0x3fb8aa3b, v100
	s_delay_alu instid0(VALU_DEP_1) | instskip(SKIP_3) | instid1(VALU_DEP_2)
	v_exp_f32_e32 v100, v100
	s_waitcnt_depctr 0xfff
	v_dual_fmac_f32 v77, v100, v71 :: v_dual_mul_f32 v70, 0x3fb8aa3b, v70
	v_cndmask_b32_e32 v71, v99, v102, vcc_lo
	v_fmac_f32_e32 v77, v97, v72
	s_delay_alu instid0(VALU_DEP_3) | instskip(NEXT) | instid1(VALU_DEP_1)
	v_exp_f32_e32 v96, v70
	v_fmac_f32_e32 v77, v95, v73
	s_delay_alu instid0(VALU_DEP_1) | instskip(SKIP_2) | instid1(VALU_DEP_1)
	v_fmac_f32_e32 v77, v94, v74
	s_waitcnt_depctr 0xfff
	v_fmac_f32_e32 v77, v96, v75
	v_add_f32_e32 v74, 0x358637bd, v77
	s_delay_alu instid0(VALU_DEP_1) | instskip(SKIP_1) | instid1(VALU_DEP_2)
	v_div_scale_f32 v98, null, v74, v74, 1.0
	v_div_scale_f32 v99, vcc_lo, 1.0, v74, 1.0
	v_rcp_f32_e32 v103, v98
	s_waitcnt_depctr 0xfff
	v_fma_f32 v70, -v98, v103, 1.0
	s_delay_alu instid0(VALU_DEP_1) | instskip(SKIP_2) | instid1(VALU_DEP_2)
	v_fmac_f32_e32 v103, v70, v103
	v_cndmask_b32_e64 v70, v71, v101, s2
	v_cmp_eq_u32_e64 s2, 6, v69
	v_cndmask_b32_e64 v71, v70, v100, s3
	s_delay_alu instid0(VALU_DEP_4) | instskip(NEXT) | instid1(VALU_DEP_2)
	v_dual_mul_f32 v101, v99, v103 :: v_dual_lshlrev_b32 v70, 2, v66
	v_cndmask_b32_e64 v71, v71, v97, s4
	s_delay_alu instid0(VALU_DEP_2) | instskip(NEXT) | instid1(VALU_DEP_3)
	v_or_b32_e32 v72, 1, v70
	v_fma_f32 v100, -v98, v101, v99
	v_cmp_eq_u32_e64 s3, 1, v70
	v_cmp_eq_u32_e64 s4, 2, v70
	v_cndmask_b32_e64 v95, v71, v95, s5
	v_or_b32_e32 v71, 3, v70
	v_fmac_f32_e32 v101, v100, v103
	v_cmp_eq_u32_e64 s8, 1, v72
	v_cmp_eq_u32_e64 s11, 2, v72
	v_cndmask_b32_e64 v94, v95, v94, s2
	v_cmp_eq_u32_e64 s10, 1, v71
	v_fma_f32 v97, -v98, v101, v99
	v_cmp_eq_u32_e64 s15, 2, v71
	v_cmp_eq_u32_e64 s12, 3, v72
	v_cndmask_b32_e64 v94, v94, v96, s6
	v_cmp_eq_u32_e64 s17, 3, v71
	v_div_fmas_f32 v95, v97, v103, v101
	v_cmp_eq_u32_e32 vcc_lo, 3, v70
	v_cmp_eq_u32_e64 s2, 4, v70
	v_cmp_eq_u32_e64 s18, 4, v72
	;; [unrolled: 1-line block ×3, first 2 shown]
	v_div_fixup_f32 v95, v95, v74, 1.0
	v_lshlrev_b32_e32 v73, 6, v68
	v_cmp_eq_u32_e64 s5, 5, v70
	v_cmp_eq_u32_e64 s19, 5, v72
	;; [unrolled: 1-line block ×3, first 2 shown]
	v_mul_f32_e32 v102, v94, v95
	v_lshl_or_b32 v75, v69, 11, v73
	v_or_b32_e32 v69, 2, v70
	v_cmp_eq_u32_e64 s24, 6, v72
	v_cmp_eq_u32_e64 s26, 6, v71
	v_fma_mixlo_f16 v94, v102, v79, 0
	v_fma_mixlo_f16 v95, v102, v81, 0
	;; [unrolled: 1-line block ×8, first 2 shown]
	v_lshl_or_b32 v74, v66, 4, v75
	v_fma_mixhi_f16 v94, v102, v78, 0
	v_fma_mixhi_f16 v95, v102, v80, 0
	;; [unrolled: 1-line block ×8, first 2 shown]
	ds_store_b128 v74, v[94:97]
	ds_store_b128 v74, v[98:101] offset:1024
	s_waitcnt lgkmcnt(0)
	s_barrier
	buffer_gl0_inv
	ds_load_b128 v[78:81], v75
	ds_load_b128 v[82:85], v75 offset:16
	ds_load_b128 v[86:89], v75 offset:1024
	ds_load_b128 v[90:93], v75 offset:1040
	v_cmp_eq_u32_e64 s9, 1, v69
	v_cmp_eq_u32_e64 s13, 2, v69
	;; [unrolled: 1-line block ×11, first 2 shown]
	s_waitcnt lgkmcnt(3)
	v_lshrrev_b32_e32 v94, 16, v78
	s_waitcnt lgkmcnt(2)
	v_lshrrev_b32_e32 v98, 16, v82
	;; [unrolled: 2-line block ×4, first 2 shown]
	v_lshrrev_b32_e32 v95, 16, v79
	v_cndmask_b32_e64 v110, v78, v94, s3
	v_cndmask_b32_e64 v111, v82, v98, s3
	;; [unrolled: 1-line block ×8, first 2 shown]
	v_lshrrev_b32_e32 v99, 16, v83
	v_cndmask_b32_e64 v94, v86, v102, s3
	v_cndmask_b32_e64 v98, v90, v106, s3
	v_cndmask_b32_e64 v116, v86, v102, s8
	v_cndmask_b32_e64 v117, v90, v106, s8
	v_cndmask_b32_e64 v118, v86, v102, s9
	v_cndmask_b32_e64 v119, v90, v106, s9
	v_cndmask_b32_e64 v86, v86, v102, s10
	v_cndmask_b32_e64 v90, v90, v106, s10
	v_cndmask_b32_e64 v102, v110, v79, s4
	v_cndmask_b32_e64 v106, v111, v83, s4
	v_cndmask_b32_e64 v110, v112, v79, s11
	v_cndmask_b32_e64 v111, v113, v83, s11
	v_cndmask_b32_e64 v112, v114, v79, s13
	v_cndmask_b32_e64 v78, v78, v79, s15
	v_cndmask_b32_e64 v79, v82, v83, s15
	v_lshrrev_b32_e32 v103, 16, v87
	v_lshrrev_b32_e32 v107, 16, v91
	v_cndmask_b32_e64 v113, v115, v83, s13
	v_cndmask_b32_e64 v82, v94, v87, s4
	;; [unrolled: 1-line block ×7, first 2 shown]
	v_cndmask_b32_e32 v90, v102, v95, vcc_lo
	v_cndmask_b32_e32 v102, v106, v99, vcc_lo
	v_cndmask_b32_e64 v106, v110, v95, s12
	v_cndmask_b32_e64 v110, v111, v99, s12
	;; [unrolled: 1-line block ×4, first 2 shown]
	v_lshrrev_b32_e32 v96, 16, v80
	v_lshrrev_b32_e32 v100, 16, v84
	v_cndmask_b32_e64 v111, v112, v95, s16
	v_cndmask_b32_e64 v112, v113, v99, s16
	v_cndmask_b32_e32 v82, v82, v103, vcc_lo
	v_cndmask_b32_e32 v83, v83, v107, vcc_lo
	v_cndmask_b32_e64 v94, v94, v103, s12
	v_cndmask_b32_e64 v90, v90, v80, s2
	;; [unrolled: 1-line block ×7, first 2 shown]
	v_lshrrev_b32_e32 v104, 16, v88
	v_cndmask_b32_e64 v106, v111, v80, s20
	v_cndmask_b32_e64 v110, v112, v84, s20
	;; [unrolled: 1-line block ×11, first 2 shown]
	v_lshrrev_b32_e32 v97, 16, v81
	v_lshrrev_b32_e32 v101, 16, v85
	v_cndmask_b32_e64 v99, v106, v96, s22
	v_cndmask_b32_e64 v102, v110, v100, s22
	;; [unrolled: 1-line block ×7, first 2 shown]
	v_lshrrev_b32_e32 v105, 16, v89
	v_cndmask_b32_e64 v80, v80, v104, s5
	v_cndmask_b32_e64 v84, v84, v81, s6
	;; [unrolled: 1-line block ×16, first 2 shown]
	v_perm_b32 v81, v79, v78, 0x5040100
	v_perm_b32 v79, v95, v85, 0x5040100
	v_cndmask_b32_e64 v78, v119, v91, s13
	v_cndmask_b32_e64 v85, v117, v91, s11
	;; [unrolled: 1-line block ×3, first 2 shown]
	v_perm_b32 v80, v94, v90, 0x5040100
	v_cndmask_b32_e64 v90, v98, v103, s16
	v_cndmask_b32_e64 v86, v86, v103, s17
	;; [unrolled: 1-line block ×5, first 2 shown]
	v_lshrrev_b32_e32 v108, 16, v92
	v_cndmask_b32_e64 v90, v90, v88, s20
	v_cndmask_b32_e64 v86, v86, v88, s21
	;; [unrolled: 1-line block ×11, first 2 shown]
	v_lshrrev_b32_e32 v109, 16, v93
	v_cndmask_b32_e64 v82, v82, v93, s6
	v_cndmask_b32_e64 v88, v88, v89, s25
	;; [unrolled: 1-line block ×12, first 2 shown]
	v_perm_b32 v78, v84, v83, 0x5040100
	v_perm_b32 v85, v87, v86, 0x5040100
	;; [unrolled: 1-line block ×5, first 2 shown]
	s_mul_i32 s7, s33, 10
	s_mov_b32 s2, exec_lo
	ds_store_b128 v74, v[78:81]
	ds_store_b128 v74, v[82:85] offset:1024
	v_cmpx_gt_u32_e32 10, v0
	s_cbranch_execz .LBB1239_14
; %bb.13:
	s_mul_i32 s3, s7, s30
	s_load_b128 s[8:11], s[0:1], 0x58
	v_add3_u32 v68, s3, s31, v68
	s_delay_alu instid0(VALU_DEP_1) | instskip(NEXT) | instid1(VALU_DEP_1)
	v_mad_u64_u32 v[78:79], null, v68, s34, s[14:15]
	v_ashrrev_i32_e32 v79, 31, v78
	s_delay_alu instid0(VALU_DEP_1) | instskip(SKIP_1) | instid1(VALU_DEP_1)
	v_lshlrev_b64 v[78:79], 2, v[78:79]
	s_waitcnt lgkmcnt(0)
	v_add_co_u32 v80, vcc_lo, s10, v78
	s_delay_alu instid0(VALU_DEP_2)
	v_add_co_ci_u32_e32 v81, vcc_lo, s11, v79, vcc_lo
	v_add_co_u32 v78, vcc_lo, s8, v78
	v_add_co_ci_u32_e32 v79, vcc_lo, s9, v79, vcc_lo
	global_store_b32 v[80:81], v76, off
	global_store_b32 v[78:79], v77, off
.LBB1239_14:
	s_or_b32 exec_lo, exec_lo, s2
	s_waitcnt lgkmcnt(0)
	s_waitcnt_vscnt null, 0x0
	s_barrier
	buffer_gl0_inv
	ds_load_b128 v[84:87], v73
	ds_load_b128 v[88:91], v73 offset:16
	ds_load_b128 v[96:99], v73 offset:2064
	;; [unrolled: 1-line block ×5, first 2 shown]
	v_cmp_eq_u32_e32 vcc_lo, 1, v70
	v_mov_b32_e32 v76, 0
	ds_load_b128 v[112:115], v73 offset:6160
	ds_load_b128 v[108:111], v73 offset:6144
	;; [unrolled: 1-line block ×4, first 2 shown]
	v_cmp_eq_u32_e64 s3, 1, v69
	v_cmp_eq_u32_e64 s2, 1, v72
	;; [unrolled: 1-line block ×3, first 2 shown]
	v_mov_b32_e32 v77, v76
	v_mov_b32_e32 v78, v76
	;; [unrolled: 1-line block ×7, first 2 shown]
	v_cmp_eq_u32_e64 s5, 3, v72
	v_cmp_eq_u32_e64 s6, 7, v72
	s_waitcnt lgkmcnt(8)
	s_delay_alu instid0(VALU_DEP_3)
	v_wmma_f32_16x16x16_f16 v[76:83], v[49:56], v[84:91], v[76:83]
	ds_load_b128 v[53:56], v73 offset:10256
	ds_load_b128 v[49:52], v73 offset:10240
	s_waitcnt lgkmcnt(8)
	v_wmma_f32_16x16x16_f16 v[76:83], v[41:48], v[92:99], v[76:83]
	ds_load_b128 v[45:48], v73 offset:12304
	ds_load_b128 v[41:44], v73 offset:12288
	s_waitcnt lgkmcnt(8)
	;; [unrolled: 4-line block ×3, first 2 shown]
	s_barrier
	buffer_gl0_inv
	v_wmma_f32_16x16x16_f16 v[76:83], v[1:8], v[108:115], v[76:83]
	s_delay_alu instid0(VALU_DEP_1) | instskip(NEXT) | instid1(VALU_DEP_1)
	v_wmma_f32_16x16x16_f16 v[76:83], v[9:16], v[116:123], v[76:83]
	v_wmma_f32_16x16x16_f16 v[76:83], v[17:24], v[49:56], v[76:83]
	s_delay_alu instid0(VALU_DEP_1) | instskip(NEXT) | instid1(VALU_DEP_1)
	v_wmma_f32_16x16x16_f16 v[76:83], v[25:32], v[41:48], v[76:83]
	v_wmma_f32_16x16x16_f16 v[76:83], v[57:64], v[33:40], v[76:83]
	s_delay_alu instid0(VALU_DEP_1) | instskip(NEXT) | instid1(VALU_DEP_2)
	v_cvt_f16_f32_e32 v1, v76
	v_cvt_f16_f32_e32 v2, v77
	s_delay_alu instid0(VALU_DEP_3) | instskip(NEXT) | instid1(VALU_DEP_4)
	v_cvt_f16_f32_e32 v3, v78
	v_cvt_f16_f32_e32 v4, v79
	;; [unrolled: 1-line block ×6, first 2 shown]
	v_pack_b32_f16 v1, v1, v2
	v_pack_b32_f16 v2, v3, v4
	;; [unrolled: 1-line block ×3, first 2 shown]
	s_delay_alu instid0(VALU_DEP_4)
	v_pack_b32_f16 v4, v7, v8
	ds_store_b128 v74, v[1:4]
	s_waitcnt lgkmcnt(0)
	s_barrier
	buffer_gl0_inv
	ds_load_b128 v[1:4], v75
	ds_load_b128 v[5:8], v75 offset:16
	s_waitcnt lgkmcnt(1)
	v_lshrrev_b32_e32 v9, 16, v1
	s_waitcnt lgkmcnt(0)
	v_lshrrev_b32_e32 v13, 16, v5
	v_lshrrev_b32_e32 v10, 16, v2
	;; [unrolled: 1-line block ×4, first 2 shown]
	v_cndmask_b32_e32 v17, v1, v9, vcc_lo
	v_cndmask_b32_e32 v18, v5, v13, vcc_lo
	v_cndmask_b32_e64 v21, v1, v9, s3
	v_cmp_eq_u32_e32 vcc_lo, 1, v71
	v_cndmask_b32_e64 v22, v5, v13, s3
	v_cmp_eq_u32_e64 s3, 2, v70
	v_cndmask_b32_e64 v19, v1, v9, s2
	v_cndmask_b32_e64 v20, v5, v13, s2
	v_cndmask_b32_e32 v1, v1, v9, vcc_lo
	v_cmp_eq_u32_e64 s2, 2, v71
	v_cndmask_b32_e32 v5, v5, v13, vcc_lo
	v_cndmask_b32_e64 v9, v17, v2, s3
	v_cmp_eq_u32_e32 vcc_lo, 3, v70
	v_cndmask_b32_e64 v13, v18, v6, s3
	v_cmp_eq_u32_e64 s3, 2, v69
	v_cndmask_b32_e64 v17, v19, v2, s4
	v_cndmask_b32_e64 v18, v20, v6, s4
	v_cmp_eq_u32_e64 s4, 3, v69
	v_cndmask_b32_e64 v1, v1, v2, s2
	v_cndmask_b32_e64 v19, v21, v2, s3
	;; [unrolled: 1-line block ×4, first 2 shown]
	v_cndmask_b32_e32 v5, v9, v10, vcc_lo
	v_cndmask_b32_e32 v6, v13, v14, vcc_lo
	v_cmp_eq_u32_e32 vcc_lo, 3, v71
	v_cndmask_b32_e64 v9, v17, v10, s5
	v_cndmask_b32_e64 v13, v18, v14, s5
	;; [unrolled: 1-line block ×3, first 2 shown]
	v_cmp_eq_u32_e64 s3, 4, v70
	v_cndmask_b32_e32 v1, v1, v10, vcc_lo
	v_cndmask_b32_e32 v2, v2, v14, vcc_lo
	v_cmp_eq_u32_e32 vcc_lo, 4, v72
	v_lshrrev_b32_e32 v15, 16, v7
	v_lshrrev_b32_e32 v16, 16, v8
	v_cndmask_b32_e64 v17, v19, v10, s4
	v_cmp_eq_u32_e64 s2, 4, v71
	v_cndmask_b32_e64 v5, v5, v3, s3
	v_cndmask_b32_e64 v6, v6, v7, s3
	v_cndmask_b32_e32 v9, v9, v3, vcc_lo
	v_cmp_eq_u32_e64 s3, 5, v72
	v_cndmask_b32_e32 v10, v13, v7, vcc_lo
	v_cmp_eq_u32_e32 vcc_lo, 4, v69
	v_cmp_eq_u32_e64 s4, 5, v70
	v_cndmask_b32_e64 v2, v2, v7, s2
	v_cndmask_b32_e64 v9, v9, v11, s3
	;; [unrolled: 1-line block ×3, first 2 shown]
	v_cndmask_b32_e32 v13, v17, v3, vcc_lo
	v_cmp_eq_u32_e64 s3, 5, v69
	v_cndmask_b32_e32 v14, v18, v7, vcc_lo
	v_cndmask_b32_e64 v1, v1, v3, s2
	v_cmp_eq_u32_e32 vcc_lo, 5, v71
	v_lshrrev_b32_e32 v12, 16, v4
	v_cndmask_b32_e64 v13, v13, v11, s3
	v_cndmask_b32_e64 v3, v14, v15, s3
	v_cmp_eq_u32_e64 s3, 6, v71
	v_cndmask_b32_e32 v1, v1, v11, vcc_lo
	v_cndmask_b32_e64 v5, v5, v11, s4
	v_cmp_eq_u32_e64 s5, 6, v70
	v_cndmask_b32_e64 v6, v6, v15, s4
	v_cmp_eq_u32_e64 s4, 6, v72
	v_cmp_eq_u32_e64 s2, 6, v69
	v_cndmask_b32_e64 v1, v1, v4, s3
	v_cndmask_b32_e32 v2, v2, v15, vcc_lo
	v_cmp_eq_u32_e32 vcc_lo, 7, v71
	v_cndmask_b32_e64 v5, v5, v4, s5
	v_cndmask_b32_e64 v9, v9, v4, s4
	;; [unrolled: 1-line block ×3, first 2 shown]
	v_cmp_eq_u32_e64 s5, 7, v70
	v_cndmask_b32_e32 v1, v1, v12, vcc_lo
	v_cndmask_b32_e64 v7, v13, v4, s2
	v_cndmask_b32_e64 v3, v3, v8, s2
	;; [unrolled: 1-line block ×3, first 2 shown]
	v_cmp_eq_u32_e64 s2, 7, v69
	v_cndmask_b32_e64 v4, v10, v8, s4
	v_cndmask_b32_e64 v5, v5, v12, s5
	;; [unrolled: 1-line block ×3, first 2 shown]
	v_cndmask_b32_e32 v2, v2, v16, vcc_lo
	v_cndmask_b32_e64 v7, v7, v12, s2
	v_cndmask_b32_e64 v3, v3, v16, s2
	;; [unrolled: 1-line block ×4, first 2 shown]
	v_perm_b32 v4, v2, v1, 0x5040100
	s_mov_b32 s2, exec_lo
	v_perm_b32 v3, v3, v7, 0x5040100
	v_perm_b32 v2, v8, v9, 0x5040100
	v_perm_b32 v1, v6, v5, 0x5040100
	ds_store_b128 v74, v[1:4]
	s_waitcnt lgkmcnt(0)
	s_barrier
	buffer_gl0_inv
	v_cmpx_gt_u32_e32 32, v0
	s_cbranch_execz .LBB1239_2
; %bb.15:
	s_load_b64 s[0:1], s[0:1], 0x68
	s_lshl_b32 s4, s34, 7
	v_or_b32_e32 v2, s31, v66
	s_mul_i32 s2, s4, s30
	v_lshlrev_b32_e32 v0, 10, v0
	s_mul_i32 s2, s2, s7
	v_lshlrev_b32_e32 v1, 4, v67
	s_ashr_i32 s3, s2, 31
	v_mul_lo_u32 v20, v2, s4
	s_lshl_b64 s[2:3], s[2:3], 1
	v_lshlrev_b32_e32 v3, 6, v66
	v_and_b32_e32 v0, 0x3800, v0
	s_delay_alu instid0(VALU_DEP_1) | instskip(NEXT) | instid1(VALU_DEP_4)
	v_or3_b32 v16, v0, v1, v3
	v_ashrrev_i32_e32 v21, 31, v20
	ds_load_b128 v[0:3], v16
	ds_load_b128 v[4:7], v16 offset:128
	s_waitcnt lgkmcnt(0)
	s_add_u32 s2, s0, s2
	s_addc_u32 s3, s1, s3
	s_lshl_b32 s0, s14, 7
	ds_load_b128 v[8:11], v16 offset:256
	ds_load_b128 v[12:15], v16 offset:384
	;; [unrolled: 1-line block ×3, first 2 shown]
	s_ashr_i32 s1, s0, 31
	s_delay_alu instid0(SALU_CYCLE_1) | instskip(NEXT) | instid1(SALU_CYCLE_1)
	s_lshl_b64 s[0:1], s[0:1], 1
	s_add_u32 s0, s2, s0
	s_addc_u32 s1, s3, s1
	s_lshl_b32 s2, s34, 8
	v_add_co_u32 v30, s0, s0, v65
	v_add_nc_u32_e32 v22, s2, v20
	v_lshlrev_b64 v[20:21], 1, v[20:21]
	v_add_co_ci_u32_e64 v31, null, s1, 0, s0
	s_delay_alu instid0(VALU_DEP_3) | instskip(SKIP_1) | instid1(VALU_DEP_4)
	v_add_nc_u32_e32 v24, s2, v22
	v_ashrrev_i32_e32 v23, 31, v22
	v_add_co_u32 v20, vcc_lo, v30, v20
	s_delay_alu instid0(VALU_DEP_4) | instskip(NEXT) | instid1(VALU_DEP_4)
	v_add_co_ci_u32_e32 v21, vcc_lo, v31, v21, vcc_lo
	v_add_nc_u32_e32 v26, s2, v24
	v_ashrrev_i32_e32 v25, 31, v24
	v_lshlrev_b64 v[22:23], 1, v[22:23]
	s_delay_alu instid0(VALU_DEP_3) | instskip(SKIP_1) | instid1(VALU_DEP_4)
	v_add_nc_u32_e32 v28, s2, v26
	v_ashrrev_i32_e32 v27, 31, v26
	v_lshlrev_b64 v[24:25], 1, v[24:25]
	s_delay_alu instid0(VALU_DEP_4) | instskip(NEXT) | instid1(VALU_DEP_4)
	v_add_co_u32 v22, vcc_lo, v30, v22
	v_ashrrev_i32_e32 v29, 31, v28
	s_delay_alu instid0(VALU_DEP_4) | instskip(SKIP_2) | instid1(VALU_DEP_4)
	v_lshlrev_b64 v[26:27], 1, v[26:27]
	v_add_co_ci_u32_e32 v23, vcc_lo, v31, v23, vcc_lo
	v_add_co_u32 v24, vcc_lo, v30, v24
	v_lshlrev_b64 v[28:29], 1, v[28:29]
	v_add_co_ci_u32_e32 v25, vcc_lo, v31, v25, vcc_lo
	v_add_co_u32 v26, vcc_lo, v30, v26
	v_add_co_ci_u32_e32 v27, vcc_lo, v31, v27, vcc_lo
	s_delay_alu instid0(VALU_DEP_4)
	v_add_co_u32 v28, vcc_lo, v30, v28
	v_add_co_ci_u32_e32 v29, vcc_lo, v31, v29, vcc_lo
	s_clause 0x1
	global_store_b128 v[20:21], v[0:3], off
	global_store_b128 v[22:23], v[4:7], off
	s_waitcnt lgkmcnt(2)
	global_store_b128 v[24:25], v[8:11], off
	s_waitcnt lgkmcnt(1)
	;; [unrolled: 2-line block ×3, first 2 shown]
	global_store_b128 v[28:29], v[16:19], off
	s_nop 0
	s_sendmsg sendmsg(MSG_DEALLOC_VGPRS)
	s_endpgm
	.section	.rodata,"a",@progbits
	.p2align	6, 0x0
	.amdhsa_kernel _Z39paged_attention_ll4mi_QKV_mfma16_kernelIDF16_hLN4vllm18Fp8KVCacheDataTypeE1EhLi16ELi128ELi256ELb0ELi10EL8MFMAType0EEvPKT_PKT0_S8_ifPKiSA_SA_iPKfiiiPfSD_PS3_PT2_iSC_SC_
		.amdhsa_group_segment_fixed_size 17472
		.amdhsa_private_segment_fixed_size 0
		.amdhsa_kernarg_size 400
		.amdhsa_user_sgpr_count 13
		.amdhsa_user_sgpr_dispatch_ptr 0
		.amdhsa_user_sgpr_queue_ptr 0
		.amdhsa_user_sgpr_kernarg_segment_ptr 1
		.amdhsa_user_sgpr_dispatch_id 0
		.amdhsa_user_sgpr_private_segment_size 0
		.amdhsa_wavefront_size32 1
		.amdhsa_uses_dynamic_stack 0
		.amdhsa_enable_private_segment 0
		.amdhsa_system_sgpr_workgroup_id_x 1
		.amdhsa_system_sgpr_workgroup_id_y 1
		.amdhsa_system_sgpr_workgroup_id_z 1
		.amdhsa_system_sgpr_workgroup_info 0
		.amdhsa_system_vgpr_workitem_id 0
		.amdhsa_next_free_vgpr 150
		.amdhsa_next_free_sgpr 36
		.amdhsa_reserve_vcc 1
		.amdhsa_float_round_mode_32 0
		.amdhsa_float_round_mode_16_64 0
		.amdhsa_float_denorm_mode_32 3
		.amdhsa_float_denorm_mode_16_64 3
		.amdhsa_dx10_clamp 1
		.amdhsa_ieee_mode 1
		.amdhsa_fp16_overflow 0
		.amdhsa_workgroup_processor_mode 1
		.amdhsa_memory_ordered 1
		.amdhsa_forward_progress 0
		.amdhsa_shared_vgpr_count 0
		.amdhsa_exception_fp_ieee_invalid_op 0
		.amdhsa_exception_fp_denorm_src 0
		.amdhsa_exception_fp_ieee_div_zero 0
		.amdhsa_exception_fp_ieee_overflow 0
		.amdhsa_exception_fp_ieee_underflow 0
		.amdhsa_exception_fp_ieee_inexact 0
		.amdhsa_exception_int_div_zero 0
	.end_amdhsa_kernel
	.section	.text._Z39paged_attention_ll4mi_QKV_mfma16_kernelIDF16_hLN4vllm18Fp8KVCacheDataTypeE1EhLi16ELi128ELi256ELb0ELi10EL8MFMAType0EEvPKT_PKT0_S8_ifPKiSA_SA_iPKfiiiPfSD_PS3_PT2_iSC_SC_,"axG",@progbits,_Z39paged_attention_ll4mi_QKV_mfma16_kernelIDF16_hLN4vllm18Fp8KVCacheDataTypeE1EhLi16ELi128ELi256ELb0ELi10EL8MFMAType0EEvPKT_PKT0_S8_ifPKiSA_SA_iPKfiiiPfSD_PS3_PT2_iSC_SC_,comdat
.Lfunc_end1239:
	.size	_Z39paged_attention_ll4mi_QKV_mfma16_kernelIDF16_hLN4vllm18Fp8KVCacheDataTypeE1EhLi16ELi128ELi256ELb0ELi10EL8MFMAType0EEvPKT_PKT0_S8_ifPKiSA_SA_iPKfiiiPfSD_PS3_PT2_iSC_SC_, .Lfunc_end1239-_Z39paged_attention_ll4mi_QKV_mfma16_kernelIDF16_hLN4vllm18Fp8KVCacheDataTypeE1EhLi16ELi128ELi256ELb0ELi10EL8MFMAType0EEvPKT_PKT0_S8_ifPKiSA_SA_iPKfiiiPfSD_PS3_PT2_iSC_SC_
                                        ; -- End function
	.section	.AMDGPU.csdata,"",@progbits
; Kernel info:
; codeLenInByte = 6704
; NumSgprs: 38
; NumVgprs: 150
; ScratchSize: 0
; MemoryBound: 0
; FloatMode: 240
; IeeeMode: 1
; LDSByteSize: 17472 bytes/workgroup (compile time only)
; SGPRBlocks: 4
; VGPRBlocks: 18
; NumSGPRsForWavesPerEU: 38
; NumVGPRsForWavesPerEU: 150
; Occupancy: 9
; WaveLimiterHint : 1
; COMPUTE_PGM_RSRC2:SCRATCH_EN: 0
; COMPUTE_PGM_RSRC2:USER_SGPR: 13
; COMPUTE_PGM_RSRC2:TRAP_HANDLER: 0
; COMPUTE_PGM_RSRC2:TGID_X_EN: 1
; COMPUTE_PGM_RSRC2:TGID_Y_EN: 1
; COMPUTE_PGM_RSRC2:TGID_Z_EN: 1
; COMPUTE_PGM_RSRC2:TIDIG_COMP_CNT: 0
	.section	.text._Z39paged_attention_ll4mi_QKV_mfma16_kernelIDF16_hLN4vllm18Fp8KVCacheDataTypeE1EhLi16ELi128ELi256ELb0ELi11EL8MFMAType0EEvPKT_PKT0_S8_ifPKiSA_SA_iPKfiiiPfSD_PS3_PT2_iSC_SC_,"axG",@progbits,_Z39paged_attention_ll4mi_QKV_mfma16_kernelIDF16_hLN4vllm18Fp8KVCacheDataTypeE1EhLi16ELi128ELi256ELb0ELi11EL8MFMAType0EEvPKT_PKT0_S8_ifPKiSA_SA_iPKfiiiPfSD_PS3_PT2_iSC_SC_,comdat
	.protected	_Z39paged_attention_ll4mi_QKV_mfma16_kernelIDF16_hLN4vllm18Fp8KVCacheDataTypeE1EhLi16ELi128ELi256ELb0ELi11EL8MFMAType0EEvPKT_PKT0_S8_ifPKiSA_SA_iPKfiiiPfSD_PS3_PT2_iSC_SC_ ; -- Begin function _Z39paged_attention_ll4mi_QKV_mfma16_kernelIDF16_hLN4vllm18Fp8KVCacheDataTypeE1EhLi16ELi128ELi256ELb0ELi11EL8MFMAType0EEvPKT_PKT0_S8_ifPKiSA_SA_iPKfiiiPfSD_PS3_PT2_iSC_SC_
	.globl	_Z39paged_attention_ll4mi_QKV_mfma16_kernelIDF16_hLN4vllm18Fp8KVCacheDataTypeE1EhLi16ELi128ELi256ELb0ELi11EL8MFMAType0EEvPKT_PKT0_S8_ifPKiSA_SA_iPKfiiiPfSD_PS3_PT2_iSC_SC_
	.p2align	8
	.type	_Z39paged_attention_ll4mi_QKV_mfma16_kernelIDF16_hLN4vllm18Fp8KVCacheDataTypeE1EhLi16ELi128ELi256ELb0ELi11EL8MFMAType0EEvPKT_PKT0_S8_ifPKiSA_SA_iPKfiiiPfSD_PS3_PT2_iSC_SC_,@function
_Z39paged_attention_ll4mi_QKV_mfma16_kernelIDF16_hLN4vllm18Fp8KVCacheDataTypeE1EhLi16ELi128ELi256ELb0ELi11EL8MFMAType0EEvPKT_PKT0_S8_ifPKiSA_SA_iPKfiiiPfSD_PS3_PT2_iSC_SC_: ; @_Z39paged_attention_ll4mi_QKV_mfma16_kernelIDF16_hLN4vllm18Fp8KVCacheDataTypeE1EhLi16ELi128ELi256ELb0ELi11EL8MFMAType0EEvPKT_PKT0_S8_ifPKiSA_SA_iPKfiiiPfSD_PS3_PT2_iSC_SC_
; %bb.0:
	s_load_b64 s[4:5], s[0:1], 0x30
	s_mov_b32 s34, s13
	s_waitcnt lgkmcnt(0)
	s_cmp_lg_u64 s[4:5], 0
	s_cselect_b32 s8, -1, 0
	s_ashr_i32 s35, s13, 31
	s_cmp_eq_u64 s[4:5], 0
	s_cbranch_scc1 .LBB1240_3
; %bb.1:
	s_lshl_b64 s[2:3], s[34:35], 2
	s_delay_alu instid0(SALU_CYCLE_1) | instskip(SKIP_4) | instid1(SALU_CYCLE_1)
	s_add_u32 s2, s4, s2
	s_addc_u32 s3, s5, s3
	s_load_b64 s[2:3], s[2:3], 0x0
	s_waitcnt lgkmcnt(0)
	s_sub_i32 s2, s3, s2
	s_cmp_eq_u32 s2, 1
	s_cselect_b32 s2, -1, 0
	s_delay_alu instid0(SALU_CYCLE_1)
	s_and_not1_b32 vcc_lo, exec_lo, s2
	s_cbranch_vccz .LBB1240_4
.LBB1240_2:
	s_nop 0
	s_sendmsg sendmsg(MSG_DEALLOC_VGPRS)
	s_endpgm
.LBB1240_3:
.LBB1240_4:
	s_load_b64 s[2:3], s[0:1], 0x28
	s_lshl_b64 s[6:7], s[34:35], 2
	s_waitcnt lgkmcnt(0)
	s_add_u32 s2, s2, s6
	s_addc_u32 s3, s3, s7
	s_lshl_b32 s12, s14, 8
	s_load_b32 s24, s[2:3], 0x0
	s_waitcnt lgkmcnt(0)
	s_cmp_ge_i32 s12, s24
	s_cbranch_scc1 .LBB1240_2
; %bb.5:
	s_clause 0x1
	s_load_b128 s[20:23], s[0:1], 0x8
	s_load_b64 s[2:3], s[0:1], 0x20
	s_and_not1_b32 vcc_lo, exec_lo, s8
	s_cbranch_vccnz .LBB1240_7
; %bb.6:
	s_add_u32 s4, s4, s6
	s_addc_u32 s5, s5, s7
	s_load_b32 s5, s[4:5], 0x0
	s_branch .LBB1240_8
.LBB1240_7:
	s_mov_b32 s5, s34
.LBB1240_8:
	s_load_b128 s[16:19], s[0:1], 0x48
	v_and_b32_e32 v68, 15, v0
	v_lshrrev_b32_e32 v69, 5, v0
	v_bfe_u32 v66, v0, 4, 1
	v_and_b32_e32 v70, 31, v0
	v_and_b32_e32 v67, 1, v0
	v_lshlrev_b32_e32 v2, 3, v68
	s_mul_i32 s31, s15, 11
	v_lshl_or_b32 v1, v69, 1, v66
	s_mov_b32 s4, exec_lo
	s_delay_alu instid0(VALU_DEP_2) | instskip(NEXT) | instid1(VALU_DEP_2)
	v_lshlrev_b32_e32 v65, 1, v2
	v_cmpx_gt_u32_e32 11, v1
	s_cbranch_execz .LBB1240_10
; %bb.9:
	s_load_b64 s[6:7], s[0:1], 0x0
	v_add_lshl_u32 v2, v1, s31, 7
	s_waitcnt lgkmcnt(0)
	s_mul_hi_i32 s9, s5, s16
	s_mul_i32 s8, s5, s16
	v_lshlrev_b32_e32 v6, 10, v68
	s_lshl_b64 s[8:9], s[8:9], 1
	v_ashrrev_i32_e32 v3, 31, v2
	v_lshlrev_b32_e32 v1, 6, v1
	v_lshlrev_b32_e32 v7, 10, v67
	v_and_b32_e32 v6, 0x3800, v6
	s_delay_alu instid0(VALU_DEP_4) | instskip(NEXT) | instid1(VALU_DEP_2)
	v_lshlrev_b64 v[2:3], 1, v[2:3]
	v_or3_b32 v1, v6, v7, v1
	s_add_u32 s5, s6, s8
	s_addc_u32 s6, s7, s9
	s_delay_alu instid0(VALU_DEP_2) | instskip(NEXT) | instid1(VALU_DEP_3)
	v_add_co_u32 v2, vcc_lo, s5, v2
	v_add_co_ci_u32_e32 v3, vcc_lo, s6, v3, vcc_lo
	s_delay_alu instid0(VALU_DEP_2) | instskip(NEXT) | instid1(VALU_DEP_2)
	v_add_co_u32 v2, vcc_lo, v2, v65
	v_add_co_ci_u32_e32 v3, vcc_lo, 0, v3, vcc_lo
	global_load_b128 v[2:5], v[2:3], off
	s_waitcnt vmcnt(0)
	ds_store_b128 v1, v[2:5]
.LBB1240_10:
	s_or_b32 exec_lo, exec_lo, s4
	v_and_b32_e32 v1, 0xef, v0
	s_waitcnt lgkmcnt(0)
	s_add_i32 s5, s24, 15
	s_clause 0x1
	s_load_b32 s4, s[0:1], 0x38
	s_load_b32 s33, s[0:1], 0x98
	s_ashr_i32 s6, s5, 31
	v_add_nc_u32_e32 v1, s12, v1
	s_lshr_b32 s6, s6, 28
	s_load_b32 s19, s[0:1], 0x1c
	s_add_i32 s5, s5, s6
	s_waitcnt lgkmcnt(0)
	v_ashrrev_i32_e32 v2, 31, v1
	v_or_b32_e32 v3, 16, v1
	s_ashr_i32 s13, s5, 4
	v_cmp_gt_i32_e32 vcc_lo, s24, v1
	s_add_i32 s13, s13, -1
	v_lshrrev_b32_e32 v2, 28, v2
	s_barrier
	buffer_gl0_inv
	s_mul_i32 s15, s15, s18
	v_add_nc_u32_e32 v4, v1, v2
	s_mul_i32 s4, s34, s4
	s_delay_alu instid0(SALU_CYCLE_1) | instskip(NEXT) | instid1(VALU_DEP_1)
	s_ashr_i32 s5, s4, 31
	v_ashrrev_i32_e32 v4, 4, v4
	v_add_nc_u32_e32 v2, v3, v2
	s_lshl_b64 s[4:5], s[4:5], 2
	s_delay_alu instid0(SALU_CYCLE_1) | instskip(NEXT) | instid1(VALU_DEP_2)
	s_add_u32 s16, s2, s4
	v_cndmask_b32_e32 v1, s13, v4, vcc_lo
	s_delay_alu instid0(VALU_DEP_2)
	v_ashrrev_i32_e32 v2, 4, v2
	v_cmp_gt_i32_e32 vcc_lo, s24, v3
	s_addc_u32 s25, s3, s5
	s_ashr_i32 s18, s15, 31
	s_add_u32 s26, s20, s15
	s_addc_u32 s27, s21, s18
	v_cndmask_b32_e32 v3, s13, v2, vcc_lo
	v_ashrrev_i32_e32 v2, 31, v1
	s_lshl_b32 s2, s14, 4
	s_delay_alu instid0(SALU_CYCLE_1) | instskip(NEXT) | instid1(VALU_DEP_2)
	s_ashr_i32 s3, s2, 31
	v_ashrrev_i32_e32 v4, 31, v3
	s_delay_alu instid0(VALU_DEP_2) | instskip(SKIP_1) | instid1(SALU_CYCLE_1)
	v_lshlrev_b64 v[1:2], 2, v[1:2]
	s_lshl_b64 s[2:3], s[2:3], 2
	s_add_u32 s2, s16, s2
	s_delay_alu instid0(VALU_DEP_2) | instskip(SKIP_1) | instid1(VALU_DEP_2)
	v_lshlrev_b64 v[3:4], 2, v[3:4]
	s_addc_u32 s3, s25, s3
	v_add_co_u32 v1, vcc_lo, s16, v1
	v_add_co_ci_u32_e32 v2, vcc_lo, s25, v2, vcc_lo
	s_delay_alu instid0(VALU_DEP_3) | instskip(NEXT) | instid1(VALU_DEP_4)
	v_add_co_u32 v3, vcc_lo, s16, v3
	v_add_co_ci_u32_e32 v4, vcc_lo, s25, v4, vcc_lo
	s_clause 0x1
	global_load_b32 v5, v[1:2], off
	global_load_b32 v7, v[3:4], off
	s_or_b32 s4, s12, 32
	v_lshlrev_b32_e32 v1, 4, v0
	s_ashr_i32 s5, s4, 4
	s_cmp_lt_i32 s4, s24
	v_cmp_gt_u32_e32 vcc_lo, 11, v68
	s_cselect_b32 s4, s5, s13
	v_and_b32_e32 v1, 0xf0, v1
	s_ashr_i32 s5, s4, 31
	s_delay_alu instid0(SALU_CYCLE_1) | instskip(NEXT) | instid1(SALU_CYCLE_1)
	s_lshl_b64 s[4:5], s[4:5], 2
	s_add_u32 s4, s16, s4
	s_addc_u32 s5, s25, s5
	s_or_b32 s6, s12, 64
	v_add_co_u32 v1, s26, s26, v1
	s_ashr_i32 s7, s6, 4
	s_cmp_lt_i32 s6, s24
	v_add_co_ci_u32_e64 v2, null, s27, 0, s26
	s_cselect_b32 s6, s7, s13
	s_delay_alu instid0(SALU_CYCLE_1) | instskip(NEXT) | instid1(SALU_CYCLE_1)
	s_ashr_i32 s7, s6, 31
	s_lshl_b64 s[6:7], s[6:7], 2
	s_delay_alu instid0(SALU_CYCLE_1) | instskip(SKIP_2) | instid1(SALU_CYCLE_1)
	s_add_u32 s6, s16, s6
	s_addc_u32 s7, s25, s7
	s_or_b32 s8, s12, 0x60
	s_ashr_i32 s9, s8, 4
	s_cmp_lt_i32 s8, s24
	s_cselect_b32 s8, s9, s13
	s_delay_alu instid0(SALU_CYCLE_1) | instskip(NEXT) | instid1(SALU_CYCLE_1)
	s_ashr_i32 s9, s8, 31
	s_lshl_b64 s[8:9], s[8:9], 2
	s_delay_alu instid0(SALU_CYCLE_1) | instskip(SKIP_2) | instid1(SALU_CYCLE_1)
	s_add_u32 s8, s16, s8
	s_addc_u32 s9, s25, s9
	s_or_b32 s10, s12, 0x80
	s_ashr_i32 s11, s10, 4
	s_cmp_lt_i32 s10, s24
	;; [unrolled: 10-line block ×3, first 2 shown]
	s_cselect_b32 s20, s21, s13
	s_delay_alu instid0(SALU_CYCLE_1) | instskip(NEXT) | instid1(SALU_CYCLE_1)
	s_ashr_i32 s21, s20, 31
	s_lshl_b64 s[20:21], s[20:21], 2
	s_delay_alu instid0(SALU_CYCLE_1)
	s_add_u32 s20, s16, s20
	s_addc_u32 s21, s25, s21
	s_clause 0x5
	s_load_b32 s26, s[2:3], 0x0
	s_load_b32 s27, s[4:5], 0x0
	s_load_b32 s28, s[6:7], 0x0
	s_load_b32 s29, s[8:9], 0x0
	s_load_b32 s30, s[10:11], 0x0
	s_load_b32 s35, s[20:21], 0x0
	s_or_b32 s2, s12, 0xc0
	s_mov_b32 s4, 0
	s_ashr_i32 s3, s2, 4
	s_cmp_lt_i32 s2, s24
	s_mov_b32 s11, s4
	s_cselect_b32 s2, s3, s13
	s_mov_b32 s5, s4
	s_ashr_i32 s3, s2, 31
	s_mov_b32 s6, s4
	s_lshl_b64 s[2:3], s[2:3], 2
	s_mov_b32 s7, s4
	s_add_u32 s2, s16, s2
	s_addc_u32 s3, s25, s3
	s_or_b32 s20, s12, 0xe0
	s_mov_b32 s8, s4
	s_ashr_i32 s21, s20, 4
	s_cmp_lt_i32 s20, s24
	s_mov_b32 s9, s4
	s_cselect_b32 s20, s21, s13
	s_mov_b32 s10, s4
	s_ashr_i32 s21, s20, 31
	v_mov_b32_e32 v118, s11
	v_dual_mov_b32 v112, s5 :: v_dual_mov_b32 v117, s10
	v_dual_mov_b32 v116, s9 :: v_dual_mov_b32 v115, s8
	;; [unrolled: 1-line block ×3, first 2 shown]
	v_mov_b32_e32 v111, s4
	s_lshl_b64 s[4:5], s[20:21], 2
	s_delay_alu instid0(SALU_CYCLE_1)
	s_add_u32 s4, s16, s4
	s_addc_u32 s5, s25, s5
	s_add_u32 s6, s22, s15
	s_addc_u32 s7, s23, s18
	s_waitcnt vmcnt(1)
	v_mad_i64_i32 v[3:4], null, v5, s17, v[1:2]
	s_waitcnt vmcnt(0)
	v_mad_i64_i32 v[5:6], null, v7, s17, v[1:2]
	v_add_nc_u32_e32 v1, -11, v68
	v_lshlrev_b32_e32 v2, 4, v68
	s_clause 0xf
	global_load_b128 v[17:20], v[3:4], off
	global_load_b128 v[21:24], v[3:4], off offset:256
	global_load_b128 v[25:28], v[5:6], off
	global_load_b128 v[29:32], v[5:6], off offset:256
	global_load_b128 v[57:60], v[3:4], off offset:512
	;; [unrolled: 1-line block ×13, first 2 shown]
	v_cndmask_b32_e32 v1, v1, v68, vcc_lo
	s_delay_alu instid0(VALU_DEP_1)
	v_lshlrev_b32_e32 v149, 6, v1
	v_lshl_or_b32 v1, v69, 8, v2
	ds_load_b128 v[119:122], v149
	ds_load_b128 v[123:126], v149 offset:1024
	ds_load_b128 v[127:130], v149 offset:2048
	;; [unrolled: 1-line block ×3, first 2 shown]
	s_clause 0x1
	s_load_b32 s2, s[2:3], 0x0
	s_load_b32 s3, s[4:5], 0x0
	v_add_co_u32 v135, s6, s6, v1
	s_delay_alu instid0(VALU_DEP_1) | instskip(SKIP_1) | instid1(VALU_DEP_1)
	v_add_co_ci_u32_e64 v136, null, s7, 0, s6
	s_waitcnt lgkmcnt(0)
	v_mad_i64_i32 v[1:2], null, s26, s17, v[135:136]
	v_mad_i64_i32 v[3:4], null, s27, s17, v[135:136]
	;; [unrolled: 1-line block ×6, first 2 shown]
	s_clause 0x9
	global_load_b128 v[49:52], v[1:2], off
	global_load_b128 v[53:56], v[1:2], off offset:16
	global_load_b128 v[41:44], v[3:4], off
	global_load_b128 v[45:48], v[3:4], off offset:16
	;; [unrolled: 2-line block ×5, first 2 shown]
	v_mad_i64_i32 v[145:146], null, s2, s17, v[135:136]
	v_mad_i64_i32 v[147:148], null, s3, s17, v[135:136]
	s_waitcnt vmcnt(24)
	v_wmma_f32_16x16x16_f16 v[135:142], v[17:24], v[119:126], v[111:118]
	s_waitcnt vmcnt(22)
	v_wmma_f32_16x16x16_f16 v[111:118], v[25:32], v[119:126], v[111:118]
	s_clause 0x3
	global_load_b128 v[17:20], v[143:144], off
	global_load_b128 v[21:24], v[143:144], off offset:16
	global_load_b128 v[25:28], v[145:146], off
	global_load_b128 v[29:32], v[145:146], off offset:16
	v_and_b32_e32 v119, 0xe0, v0
	s_waitcnt vmcnt(24)
	v_wmma_f32_16x16x16_f16 v[135:142], v[57:64], v[127:134], v[135:142]
	s_clause 0x1
	global_load_b128 v[57:60], v[147:148], off
	global_load_b128 v[61:64], v[147:148], off offset:16
	s_waitcnt vmcnt(24)
	v_wmma_f32_16x16x16_f16 v[111:118], v[71:78], v[127:134], v[111:118]
	ds_load_b128 v[71:74], v149 offset:4096
	ds_load_b128 v[75:78], v149 offset:5120
	v_add_nc_u32_e32 v128, s12, v119
	ds_load_b128 v[119:122], v149 offset:6144
	ds_load_b128 v[123:126], v149 offset:7168
	v_mbcnt_lo_u32_b32 v127, -1, 0
	s_waitcnt vmcnt(0) lgkmcnt(0)
	s_barrier
	v_or_b32_e32 v128, v128, v66
	buffer_gl0_inv
	v_xor_b32_e32 v129, 16, v127
	v_or_b32_e32 v130, 4, v128
	v_or_b32_e32 v131, 6, v128
	s_delay_alu instid0(VALU_DEP_3) | instskip(SKIP_4) | instid1(VALU_DEP_4)
	v_cmp_gt_i32_e32 vcc_lo, 32, v129
	v_or_b32_e32 v132, 8, v128
	v_or_b32_e32 v133, 10, v128
	v_cmp_gt_i32_e64 s3, s24, v130
	v_cmp_gt_i32_e64 s4, s24, v131
	;; [unrolled: 1-line block ×3, first 2 shown]
	v_wmma_f32_16x16x16_f16 v[135:142], v[79:86], v[71:78], v[135:142]
	v_wmma_f32_16x16x16_f16 v[111:118], v[87:94], v[71:78], v[111:118]
	v_or_b32_e32 v79, 12, v128
	v_or_b32_e32 v80, 14, v128
	v_cmp_gt_i32_e64 s6, s24, v133
	v_wmma_f32_16x16x16_f16 v[135:142], v[95:102], v[119:126], v[135:142]
	v_wmma_f32_16x16x16_f16 v[111:118], v[103:110], v[119:126], v[111:118]
	v_cndmask_b32_e32 v127, v127, v129, vcc_lo
	v_or_b32_e32 v129, 2, v128
	v_cmp_gt_i32_e32 vcc_lo, s24, v128
	v_mul_f32_e32 v88, s19, v135
	v_dual_mul_f32 v92, s19, v115 :: v_dual_mul_f32 v87, s19, v136
	s_delay_alu instid0(VALU_DEP_4)
	v_cmp_gt_i32_e64 s2, s24, v129
	v_mul_f32_e32 v78, s19, v138
	v_mul_f32_e32 v86, s19, v137
	v_cndmask_b32_e32 v88, 0xff7fffff, v88, vcc_lo
	v_mul_f32_e32 v76, s19, v140
	v_cndmask_b32_e64 v87, 0xff7fffff, v87, s2
	v_dual_mul_f32 v77, s19, v139 :: v_dual_mul_f32 v94, s19, v113
	v_cndmask_b32_e64 v86, 0xff7fffff, v86, s3
	v_cndmask_b32_e64 v78, 0xff7fffff, v78, s4
	s_delay_alu instid0(VALU_DEP_4)
	v_max3_f32 v87, v88, 0xff7fffff, v87
	v_or_b32_e32 v81, 16, v128
	v_or_b32_e32 v82, 18, v128
	v_dual_mul_f32 v74, s19, v142 :: v_dual_mul_f32 v75, s19, v141
	v_mul_f32_e32 v96, s19, v111
	v_cndmask_b32_e64 v77, 0xff7fffff, v77, s5
	v_cndmask_b32_e64 v76, 0xff7fffff, v76, s6
	v_max3_f32 v78, v87, v86, v78
	v_cmp_gt_i32_e64 s7, s24, v79
	v_cmp_gt_i32_e64 s8, s24, v80
	v_or_b32_e32 v83, 20, v128
	v_or_b32_e32 v84, 22, v128
	v_mul_f32_e32 v95, s19, v112
	v_cndmask_b32_e64 v75, 0xff7fffff, v75, s7
	v_cndmask_b32_e64 v74, 0xff7fffff, v74, s8
	v_max3_f32 v76, v78, v77, v76
	v_cmp_gt_i32_e64 s9, s24, v81
	v_cmp_gt_i32_e64 s10, s24, v82
	v_or_b32_e32 v85, 24, v128
	v_or_b32_e32 v71, 26, v128
	;; [unrolled: 8-line block ×3, first 2 shown]
	v_mul_f32_e32 v91, s19, v116
	v_cndmask_b32_e64 v75, 0xff7fffff, v94, s11
	v_cndmask_b32_e64 v76, 0xff7fffff, v93, s12
	v_max3_f32 v74, v74, v77, v78
	v_cmp_gt_i32_e64 s13, s24, v85
	v_cmp_gt_i32_e64 s15, s24, v71
	v_dual_mul_f32 v89, s19, v118 :: v_dual_mul_f32 v90, s19, v117
	s_delay_alu instid0(VALU_DEP_4) | instskip(NEXT) | instid1(VALU_DEP_4)
	v_max3_f32 v74, v74, v75, v76
	v_cndmask_b32_e64 v77, 0xff7fffff, v92, s13
	s_delay_alu instid0(VALU_DEP_4) | instskip(SKIP_2) | instid1(VALU_DEP_3)
	v_cndmask_b32_e64 v71, 0xff7fffff, v91, s15
	v_cmp_gt_i32_e64 s16, s24, v72
	v_cmp_gt_i32_e64 s17, s24, v73
	v_max3_f32 v71, v74, v77, v71
	s_delay_alu instid0(VALU_DEP_3) | instskip(NEXT) | instid1(VALU_DEP_3)
	v_cndmask_b32_e64 v72, 0xff7fffff, v90, s16
	v_cndmask_b32_e64 v73, 0xff7fffff, v89, s17
	v_lshlrev_b32_e32 v74, 2, v127
	s_delay_alu instid0(VALU_DEP_2) | instskip(SKIP_3) | instid1(VALU_DEP_1)
	v_max3_f32 v71, v71, v72, v73
	ds_bpermute_b32 v72, v74, v71
	s_waitcnt lgkmcnt(0)
	v_max_f32_e32 v72, v72, v72
	v_max_f32_e32 v71, v71, v72
	s_delay_alu instid0(VALU_DEP_1) | instskip(SKIP_4) | instid1(VALU_DEP_4)
	v_fma_f32 v72, s19, v135, -v71
	v_fma_f32 v73, s19, v136, -v71
	;; [unrolled: 1-line block ×5, first 2 shown]
	v_dual_mul_f32 v72, 0x3fb8aa3b, v72 :: v_dual_mul_f32 v73, 0x3fb8aa3b, v73
	v_fma_f32 v80, s19, v141, -v71
	s_delay_alu instid0(VALU_DEP_3) | instskip(NEXT) | instid1(VALU_DEP_3)
	v_dual_mul_f32 v76, 0x3fb8aa3b, v76 :: v_dual_mul_f32 v77, 0x3fb8aa3b, v77
	v_exp_f32_e32 v72, v72
	s_delay_alu instid0(VALU_DEP_3) | instskip(NEXT) | instid1(VALU_DEP_2)
	v_exp_f32_e32 v73, v73
	v_mul_f32_e32 v82, 0x3fb8aa3b, v80
	s_delay_alu instid0(VALU_DEP_2) | instskip(SKIP_1) | instid1(VALU_DEP_1)
	v_exp_f32_e32 v76, v76
	v_exp_f32_e32 v77, v77
	v_exp_f32_e32 v84, v82
	v_cndmask_b32_e32 v79, 0, v72, vcc_lo
	v_fma_f32 v72, s19, v140, -v71
	v_mul_f32_e32 v75, 0x3fb8aa3b, v75
	v_cndmask_b32_e64 v78, 0, v73, s2
	s_delay_alu instid0(TRANS32_DEP_3) | instskip(NEXT) | instid1(VALU_DEP_4)
	v_cndmask_b32_e64 v80, 0, v76, s4
	v_dual_add_f32 v73, 0, v79 :: v_dual_mul_f32 v72, 0x3fb8aa3b, v72
	s_delay_alu instid0(VALU_DEP_4) | instskip(NEXT) | instid1(TRANS32_DEP_3)
	v_exp_f32_e32 v75, v75
	v_cndmask_b32_e64 v83, 0, v77, s5
	s_delay_alu instid0(TRANS32_DEP_2) | instskip(NEXT) | instid1(VALU_DEP_3)
	v_cndmask_b32_e64 v85, 0, v84, s7
	v_add_f32_e32 v73, v73, v78
	v_exp_f32_e32 v72, v72
	v_cmp_gt_u32_e64 s2, 16, v70
	s_waitcnt_depctr 0xfff
	v_cndmask_b32_e64 v81, 0, v75, s3
	v_cndmask_b32_e64 v82, 0, v72, s6
	s_delay_alu instid0(VALU_DEP_2) | instskip(NEXT) | instid1(VALU_DEP_1)
	v_add_f32_e32 v73, v73, v81
	v_add_f32_e32 v73, v73, v80
	s_delay_alu instid0(VALU_DEP_1) | instskip(NEXT) | instid1(VALU_DEP_1)
	v_add_f32_e32 v72, v73, v83
	v_add_f32_e32 v72, v72, v82
	s_delay_alu instid0(VALU_DEP_1)
	v_add_f32_e32 v72, v72, v85
	v_fma_f32 v76, s19, v111, -v71
	v_fma_f32 v75, s19, v142, -v71
	;; [unrolled: 1-line block ×5, first 2 shown]
	v_mul_f32_e32 v76, 0x3fb8aa3b, v76
	s_delay_alu instid0(VALU_DEP_4) | instskip(NEXT) | instid1(VALU_DEP_2)
	v_mul_f32_e32 v86, 0x3fb8aa3b, v86
	v_exp_f32_e32 v76, v76
	s_delay_alu instid0(VALU_DEP_1)
	v_exp_f32_e32 v88, v86
	s_waitcnt_depctr 0xfff
	v_cndmask_b32_e64 v87, 0, v76, s9
	v_fma_f32 v76, s19, v116, -v71
	v_mul_f32_e32 v75, 0x3fb8aa3b, v75
	v_cndmask_b32_e64 v88, 0, v88, s12
	s_delay_alu instid0(VALU_DEP_3) | instskip(NEXT) | instid1(VALU_DEP_3)
	v_dual_mul_f32 v73, 0x3fb8aa3b, v73 :: v_dual_mul_f32 v76, 0x3fb8aa3b, v76
	v_exp_f32_e32 v75, v75
	s_delay_alu instid0(VALU_DEP_1) | instskip(NEXT) | instid1(VALU_DEP_1)
	v_exp_f32_e32 v73, v73
	v_exp_f32_e32 v76, v76
	s_delay_alu instid0(TRANS32_DEP_3)
	v_cndmask_b32_e64 v84, 0, v75, s8
	v_fma_f32 v75, s19, v115, -v71
	s_waitcnt_depctr 0xfff
	v_cndmask_b32_e64 v89, 0, v73, s11
	v_cndmask_b32_e64 v90, 0, v76, s15
	v_add_f32_e32 v72, v72, v84
	s_delay_alu instid0(VALU_DEP_1) | instskip(NEXT) | instid1(VALU_DEP_1)
	v_dual_add_f32 v72, v72, v87 :: v_dual_mul_f32 v77, 0x3fb8aa3b, v77
	v_exp_f32_e32 v77, v77
	s_waitcnt_depctr 0xfff
	v_cndmask_b32_e64 v86, 0, v77, s10
	v_fma_f32 v77, s19, v117, -v71
	s_delay_alu instid0(VALU_DEP_2) | instskip(NEXT) | instid1(VALU_DEP_1)
	v_dual_add_f32 v72, v72, v86 :: v_dual_mul_f32 v75, 0x3fb8aa3b, v75
	v_add_f32_e32 v72, v72, v89
	s_delay_alu instid0(VALU_DEP_2) | instskip(NEXT) | instid1(VALU_DEP_1)
	v_exp_f32_e32 v75, v75
	v_add_f32_e32 v72, v72, v88
	s_waitcnt_depctr 0xfff
	v_cndmask_b32_e64 v91, 0, v75, s13
	v_mul_f32_e32 v73, 0x3fb8aa3b, v77
	v_fma_f32 v77, s19, v118, -v71
	s_delay_alu instid0(VALU_DEP_3) | instskip(NEXT) | instid1(VALU_DEP_3)
	v_add_f32_e32 v72, v72, v91
	v_exp_f32_e32 v73, v73
	s_delay_alu instid0(VALU_DEP_1) | instskip(NEXT) | instid1(VALU_DEP_1)
	v_dual_mul_f32 v75, 0x3fb8aa3b, v77 :: v_dual_add_f32 v72, v72, v90
	v_exp_f32_e32 v75, v75
	s_waitcnt_depctr 0xfff
	v_cndmask_b32_e64 v93, 0, v73, s16
	s_delay_alu instid0(VALU_DEP_1) | instskip(SKIP_1) | instid1(VALU_DEP_1)
	v_add_f32_e32 v72, v72, v93
	v_cndmask_b32_e64 v92, 0, v75, s17
	v_add_f32_e32 v72, v72, v92
	ds_bpermute_b32 v73, v74, v72
	s_and_saveexec_b32 s3, s2
	s_cbranch_execz .LBB1240_12
; %bb.11:
	v_mul_u32_u24_e32 v70, 0x44, v69
	s_waitcnt lgkmcnt(0)
	v_add_f32_e32 v72, v72, v73
	s_delay_alu instid0(VALU_DEP_2) | instskip(NEXT) | instid1(VALU_DEP_1)
	v_lshl_add_u32 v70, v68, 2, v70
	v_add_nc_u32_e32 v70, 0x4000, v70
	ds_store_2addr_b32 v70, v71, v72 offset1:136
.LBB1240_12:
	s_or_b32 exec_lo, exec_lo, s3
	v_lshlrev_b32_e32 v70, 2, v68
	s_load_b32 s35, s[0:1], 0x94
	s_waitcnt lgkmcnt(0)
	s_barrier
	buffer_gl0_inv
	v_add_nc_u32_e32 v98, 0x4000, v70
	v_cmp_eq_u32_e32 vcc_lo, 1, v69
	v_cmp_eq_u32_e64 s3, 2, v69
	v_cmp_eq_u32_e64 s4, 3, v69
	;; [unrolled: 1-line block ×3, first 2 shown]
	ds_load_2addr_b32 v[70:71], v98 offset1:17
	ds_load_2addr_b32 v[72:73], v98 offset0:34 offset1:51
	ds_load_2addr_b32 v[74:75], v98 offset0:68 offset1:85
	;; [unrolled: 1-line block ×3, first 2 shown]
	v_cmp_eq_u32_e64 s6, 5, v69
	v_cmp_eq_u32_e64 s7, 7, v69
	s_waitcnt lgkmcnt(3)
	v_max3_f32 v76, v70, 0xff7fffff, v71
	s_waitcnt lgkmcnt(2)
	s_delay_alu instid0(VALU_DEP_1) | instskip(SKIP_1) | instid1(VALU_DEP_1)
	v_max3_f32 v76, v76, v72, v73
	s_waitcnt lgkmcnt(1)
	v_max3_f32 v76, v76, v74, v75
	s_waitcnt lgkmcnt(0)
	s_delay_alu instid0(VALU_DEP_1) | instskip(NEXT) | instid1(VALU_DEP_1)
	v_max3_f32 v76, v76, v94, v95
	v_sub_f32_e32 v77, v71, v76
	ds_load_2addr_b32 v[96:97], v98 offset0:136 offset1:153
	v_sub_f32_e32 v74, v74, v76
	v_sub_f32_e32 v70, v70, v76
	;; [unrolled: 1-line block ×3, first 2 shown]
	v_dual_sub_f32 v72, v72, v76 :: v_dual_mul_f32 v77, 0x3fb8aa3b, v77
	s_delay_alu instid0(VALU_DEP_4) | instskip(NEXT) | instid1(VALU_DEP_4)
	v_mul_f32_e32 v103, 0x3fb8aa3b, v74
	v_mul_f32_e32 v99, 0x3fb8aa3b, v70
	ds_load_2addr_b32 v[70:71], v98 offset0:170 offset1:187
	v_dual_mul_f32 v101, 0x3fb8aa3b, v72 :: v_dual_mul_f32 v94, 0x3fb8aa3b, v94
	v_exp_f32_e32 v102, v77
	v_exp_f32_e32 v99, v99
	s_delay_alu instid0(VALU_DEP_1) | instskip(NEXT) | instid1(VALU_DEP_1)
	v_exp_f32_e32 v101, v101
	v_exp_f32_e32 v94, v94
	s_waitcnt lgkmcnt(1)
	s_delay_alu instid0(TRANS32_DEP_3)
	v_fma_f32 v77, v99, v96, 0
	v_sub_f32_e32 v100, v73, v76
	ds_load_2addr_b32 v[72:73], v98 offset0:204 offset1:221
	v_fmac_f32_e32 v77, v102, v97
	v_exp_f32_e32 v97, v103
	s_waitcnt lgkmcnt(1)
	s_delay_alu instid0(VALU_DEP_1)
	v_dual_fmac_f32 v77, v101, v70 :: v_dual_sub_f32 v96, v75, v76
	ds_load_2addr_b32 v[74:75], v98 offset0:238 offset1:255
	v_sub_f32_e32 v70, v95, v76
	s_waitcnt lgkmcnt(0)
	s_barrier
	v_mul_f32_e32 v96, 0x3fb8aa3b, v96
	buffer_gl0_inv
	v_exp_f32_e32 v95, v96
	v_mul_f32_e32 v100, 0x3fb8aa3b, v100
	s_delay_alu instid0(VALU_DEP_1) | instskip(SKIP_3) | instid1(VALU_DEP_2)
	v_exp_f32_e32 v100, v100
	s_waitcnt_depctr 0xfff
	v_dual_fmac_f32 v77, v100, v71 :: v_dual_mul_f32 v70, 0x3fb8aa3b, v70
	v_cndmask_b32_e32 v71, v99, v102, vcc_lo
	v_fmac_f32_e32 v77, v97, v72
	s_delay_alu instid0(VALU_DEP_3) | instskip(NEXT) | instid1(VALU_DEP_1)
	v_exp_f32_e32 v96, v70
	v_fmac_f32_e32 v77, v95, v73
	s_delay_alu instid0(VALU_DEP_1) | instskip(SKIP_2) | instid1(VALU_DEP_1)
	v_fmac_f32_e32 v77, v94, v74
	s_waitcnt_depctr 0xfff
	v_fmac_f32_e32 v77, v96, v75
	v_add_f32_e32 v74, 0x358637bd, v77
	s_delay_alu instid0(VALU_DEP_1) | instskip(SKIP_1) | instid1(VALU_DEP_2)
	v_div_scale_f32 v98, null, v74, v74, 1.0
	v_div_scale_f32 v99, vcc_lo, 1.0, v74, 1.0
	v_rcp_f32_e32 v103, v98
	s_waitcnt_depctr 0xfff
	v_fma_f32 v70, -v98, v103, 1.0
	s_delay_alu instid0(VALU_DEP_1) | instskip(SKIP_2) | instid1(VALU_DEP_2)
	v_fmac_f32_e32 v103, v70, v103
	v_cndmask_b32_e64 v70, v71, v101, s3
	v_cmp_eq_u32_e64 s3, 6, v69
	v_cndmask_b32_e64 v71, v70, v100, s4
	s_delay_alu instid0(VALU_DEP_4) | instskip(NEXT) | instid1(VALU_DEP_2)
	v_dual_mul_f32 v101, v99, v103 :: v_dual_lshlrev_b32 v70, 2, v66
	v_cndmask_b32_e64 v71, v71, v97, s5
	s_delay_alu instid0(VALU_DEP_2) | instskip(NEXT) | instid1(VALU_DEP_3)
	v_or_b32_e32 v72, 1, v70
	v_fma_f32 v100, -v98, v101, v99
	v_cmp_eq_u32_e64 s4, 1, v70
	v_cmp_eq_u32_e64 s5, 2, v70
	v_cndmask_b32_e64 v95, v71, v95, s6
	v_or_b32_e32 v71, 3, v70
	v_fmac_f32_e32 v101, v100, v103
	v_cmp_eq_u32_e64 s9, 1, v72
	v_cmp_eq_u32_e64 s12, 2, v72
	v_cndmask_b32_e64 v94, v95, v94, s3
	v_cmp_eq_u32_e64 s11, 1, v71
	v_fma_f32 v97, -v98, v101, v99
	v_cmp_eq_u32_e64 s16, 2, v71
	v_cmp_eq_u32_e64 s13, 3, v72
	v_cndmask_b32_e64 v94, v94, v96, s7
	v_cmp_eq_u32_e64 s18, 3, v71
	v_div_fmas_f32 v95, v97, v103, v101
	v_cmp_eq_u32_e32 vcc_lo, 3, v70
	v_cmp_eq_u32_e64 s3, 4, v70
	v_cmp_eq_u32_e64 s19, 4, v72
	;; [unrolled: 1-line block ×3, first 2 shown]
	v_div_fixup_f32 v95, v95, v74, 1.0
	v_lshlrev_b32_e32 v73, 6, v68
	v_cmp_eq_u32_e64 s6, 5, v70
	v_cmp_eq_u32_e64 s20, 5, v72
	;; [unrolled: 1-line block ×3, first 2 shown]
	v_mul_f32_e32 v102, v94, v95
	v_lshl_or_b32 v75, v69, 11, v73
	v_or_b32_e32 v69, 2, v70
	v_cmp_eq_u32_e64 s25, 6, v72
	v_cmp_eq_u32_e64 s27, 6, v71
	v_fma_mixlo_f16 v94, v102, v79, 0
	v_fma_mixlo_f16 v95, v102, v81, 0
	;; [unrolled: 1-line block ×8, first 2 shown]
	v_lshl_or_b32 v74, v66, 4, v75
	v_fma_mixhi_f16 v94, v102, v78, 0
	v_fma_mixhi_f16 v95, v102, v80, 0
	;; [unrolled: 1-line block ×8, first 2 shown]
	ds_store_b128 v74, v[94:97]
	ds_store_b128 v74, v[98:101] offset:1024
	s_waitcnt lgkmcnt(0)
	s_barrier
	buffer_gl0_inv
	ds_load_b128 v[78:81], v75
	ds_load_b128 v[82:85], v75 offset:16
	ds_load_b128 v[86:89], v75 offset:1024
	;; [unrolled: 1-line block ×3, first 2 shown]
	v_cmp_eq_u32_e64 s10, 1, v69
	v_cmp_eq_u32_e64 s15, 2, v69
	;; [unrolled: 1-line block ×11, first 2 shown]
	s_waitcnt lgkmcnt(3)
	v_lshrrev_b32_e32 v94, 16, v78
	s_waitcnt lgkmcnt(2)
	v_lshrrev_b32_e32 v98, 16, v82
	;; [unrolled: 2-line block ×4, first 2 shown]
	v_lshrrev_b32_e32 v95, 16, v79
	v_cndmask_b32_e64 v110, v78, v94, s4
	v_cndmask_b32_e64 v111, v82, v98, s4
	;; [unrolled: 1-line block ×8, first 2 shown]
	v_lshrrev_b32_e32 v99, 16, v83
	v_cndmask_b32_e64 v94, v86, v102, s4
	v_cndmask_b32_e64 v98, v90, v106, s4
	;; [unrolled: 1-line block ×15, first 2 shown]
	v_lshrrev_b32_e32 v103, 16, v87
	v_lshrrev_b32_e32 v107, 16, v91
	v_cndmask_b32_e64 v113, v115, v83, s15
	v_cndmask_b32_e64 v82, v94, v87, s5
	;; [unrolled: 1-line block ×7, first 2 shown]
	v_cndmask_b32_e32 v90, v102, v95, vcc_lo
	v_cndmask_b32_e32 v102, v106, v99, vcc_lo
	v_cndmask_b32_e64 v106, v110, v95, s13
	v_cndmask_b32_e64 v110, v111, v99, s13
	;; [unrolled: 1-line block ×4, first 2 shown]
	v_lshrrev_b32_e32 v96, 16, v80
	v_lshrrev_b32_e32 v100, 16, v84
	v_cndmask_b32_e64 v111, v112, v95, s17
	v_cndmask_b32_e64 v112, v113, v99, s17
	v_cndmask_b32_e32 v82, v82, v103, vcc_lo
	v_cndmask_b32_e32 v83, v83, v107, vcc_lo
	v_cndmask_b32_e64 v94, v94, v103, s13
	v_cndmask_b32_e64 v90, v90, v80, s3
	;; [unrolled: 1-line block ×7, first 2 shown]
	v_lshrrev_b32_e32 v104, 16, v88
	v_cndmask_b32_e64 v106, v111, v80, s21
	v_cndmask_b32_e64 v110, v112, v84, s21
	;; [unrolled: 1-line block ×11, first 2 shown]
	v_lshrrev_b32_e32 v97, 16, v81
	v_lshrrev_b32_e32 v101, 16, v85
	v_cndmask_b32_e64 v99, v106, v96, s23
	v_cndmask_b32_e64 v102, v110, v100, s23
	;; [unrolled: 1-line block ×7, first 2 shown]
	v_lshrrev_b32_e32 v105, 16, v89
	v_cndmask_b32_e64 v80, v80, v104, s6
	v_cndmask_b32_e64 v84, v84, v81, s7
	;; [unrolled: 1-line block ×16, first 2 shown]
	v_perm_b32 v81, v79, v78, 0x5040100
	v_perm_b32 v79, v95, v85, 0x5040100
	v_cndmask_b32_e64 v78, v119, v91, s15
	v_cndmask_b32_e64 v85, v117, v91, s12
	;; [unrolled: 1-line block ×3, first 2 shown]
	v_perm_b32 v80, v94, v90, 0x5040100
	v_cndmask_b32_e64 v90, v98, v103, s17
	v_cndmask_b32_e64 v86, v86, v103, s18
	;; [unrolled: 1-line block ×5, first 2 shown]
	v_lshrrev_b32_e32 v108, 16, v92
	v_cndmask_b32_e64 v90, v90, v88, s21
	v_cndmask_b32_e64 v86, v86, v88, s22
	;; [unrolled: 1-line block ×11, first 2 shown]
	v_lshrrev_b32_e32 v109, 16, v93
	v_cndmask_b32_e64 v82, v82, v93, s7
	v_cndmask_b32_e64 v88, v88, v89, s26
	;; [unrolled: 1-line block ×12, first 2 shown]
	v_perm_b32 v78, v84, v83, 0x5040100
	v_perm_b32 v85, v87, v86, 0x5040100
	;; [unrolled: 1-line block ×5, first 2 shown]
	s_mul_i32 s8, s33, 11
	s_mov_b32 s3, exec_lo
	ds_store_b128 v74, v[78:81]
	ds_store_b128 v74, v[82:85] offset:1024
	v_cmpx_gt_u32_e32 11, v0
	s_cbranch_execz .LBB1240_14
; %bb.13:
	s_mul_i32 s4, s8, s34
	s_delay_alu instid0(SALU_CYCLE_1) | instskip(SKIP_1) | instid1(VALU_DEP_1)
	v_add3_u32 v68, s4, s31, v68
	s_load_b128 s[4:7], s[0:1], 0x58
	v_mad_u64_u32 v[78:79], null, v68, s35, s[14:15]
	s_delay_alu instid0(VALU_DEP_1) | instskip(NEXT) | instid1(VALU_DEP_1)
	v_ashrrev_i32_e32 v79, 31, v78
	v_lshlrev_b64 v[78:79], 2, v[78:79]
	s_waitcnt lgkmcnt(0)
	s_delay_alu instid0(VALU_DEP_1) | instskip(NEXT) | instid1(VALU_DEP_2)
	v_add_co_u32 v80, vcc_lo, s6, v78
	v_add_co_ci_u32_e32 v81, vcc_lo, s7, v79, vcc_lo
	v_add_co_u32 v78, vcc_lo, s4, v78
	v_add_co_ci_u32_e32 v79, vcc_lo, s5, v79, vcc_lo
	global_store_b32 v[80:81], v76, off
	global_store_b32 v[78:79], v77, off
.LBB1240_14:
	s_or_b32 exec_lo, exec_lo, s3
	s_waitcnt lgkmcnt(0)
	s_waitcnt_vscnt null, 0x0
	s_barrier
	buffer_gl0_inv
	ds_load_b128 v[84:87], v73
	ds_load_b128 v[88:91], v73 offset:16
	ds_load_b128 v[96:99], v73 offset:2064
	;; [unrolled: 1-line block ×5, first 2 shown]
	v_cmp_eq_u32_e32 vcc_lo, 1, v70
	v_mov_b32_e32 v76, 0
	ds_load_b128 v[112:115], v73 offset:6160
	ds_load_b128 v[108:111], v73 offset:6144
	;; [unrolled: 1-line block ×4, first 2 shown]
	v_cmp_eq_u32_e64 s4, 1, v69
	v_cmp_eq_u32_e64 s3, 1, v72
	;; [unrolled: 1-line block ×3, first 2 shown]
	v_mov_b32_e32 v77, v76
	v_mov_b32_e32 v78, v76
	;; [unrolled: 1-line block ×7, first 2 shown]
	v_cmp_eq_u32_e64 s6, 3, v72
	v_cmp_eq_u32_e64 s7, 7, v72
	s_waitcnt lgkmcnt(8)
	s_delay_alu instid0(VALU_DEP_3)
	v_wmma_f32_16x16x16_f16 v[76:83], v[49:56], v[84:91], v[76:83]
	ds_load_b128 v[53:56], v73 offset:10256
	ds_load_b128 v[49:52], v73 offset:10240
	s_waitcnt lgkmcnt(8)
	v_wmma_f32_16x16x16_f16 v[76:83], v[41:48], v[92:99], v[76:83]
	ds_load_b128 v[45:48], v73 offset:12304
	ds_load_b128 v[41:44], v73 offset:12288
	s_waitcnt lgkmcnt(8)
	;; [unrolled: 4-line block ×3, first 2 shown]
	s_barrier
	buffer_gl0_inv
	v_wmma_f32_16x16x16_f16 v[76:83], v[1:8], v[108:115], v[76:83]
	s_delay_alu instid0(VALU_DEP_1) | instskip(NEXT) | instid1(VALU_DEP_1)
	v_wmma_f32_16x16x16_f16 v[76:83], v[9:16], v[116:123], v[76:83]
	v_wmma_f32_16x16x16_f16 v[76:83], v[17:24], v[49:56], v[76:83]
	s_delay_alu instid0(VALU_DEP_1) | instskip(NEXT) | instid1(VALU_DEP_1)
	v_wmma_f32_16x16x16_f16 v[76:83], v[25:32], v[41:48], v[76:83]
	v_wmma_f32_16x16x16_f16 v[76:83], v[57:64], v[33:40], v[76:83]
	s_delay_alu instid0(VALU_DEP_1) | instskip(NEXT) | instid1(VALU_DEP_2)
	v_cvt_f16_f32_e32 v1, v76
	v_cvt_f16_f32_e32 v2, v77
	s_delay_alu instid0(VALU_DEP_3) | instskip(NEXT) | instid1(VALU_DEP_4)
	v_cvt_f16_f32_e32 v3, v78
	v_cvt_f16_f32_e32 v4, v79
	;; [unrolled: 1-line block ×6, first 2 shown]
	v_pack_b32_f16 v1, v1, v2
	v_pack_b32_f16 v2, v3, v4
	;; [unrolled: 1-line block ×3, first 2 shown]
	s_delay_alu instid0(VALU_DEP_4)
	v_pack_b32_f16 v4, v7, v8
	ds_store_b128 v74, v[1:4]
	s_waitcnt lgkmcnt(0)
	s_barrier
	buffer_gl0_inv
	ds_load_b128 v[1:4], v75
	ds_load_b128 v[5:8], v75 offset:16
	s_waitcnt lgkmcnt(1)
	v_lshrrev_b32_e32 v9, 16, v1
	s_waitcnt lgkmcnt(0)
	v_lshrrev_b32_e32 v13, 16, v5
	v_lshrrev_b32_e32 v10, 16, v2
	;; [unrolled: 1-line block ×4, first 2 shown]
	v_cndmask_b32_e32 v17, v1, v9, vcc_lo
	v_cndmask_b32_e32 v18, v5, v13, vcc_lo
	v_cndmask_b32_e64 v21, v1, v9, s4
	v_cmp_eq_u32_e32 vcc_lo, 1, v71
	v_cndmask_b32_e64 v22, v5, v13, s4
	v_cmp_eq_u32_e64 s4, 2, v70
	v_cndmask_b32_e64 v19, v1, v9, s3
	v_cndmask_b32_e64 v20, v5, v13, s3
	v_cndmask_b32_e32 v1, v1, v9, vcc_lo
	v_cmp_eq_u32_e64 s3, 2, v71
	v_cndmask_b32_e32 v5, v5, v13, vcc_lo
	v_cndmask_b32_e64 v9, v17, v2, s4
	v_cmp_eq_u32_e32 vcc_lo, 3, v70
	v_cndmask_b32_e64 v13, v18, v6, s4
	v_cmp_eq_u32_e64 s4, 2, v69
	v_cndmask_b32_e64 v17, v19, v2, s5
	v_cndmask_b32_e64 v18, v20, v6, s5
	v_cmp_eq_u32_e64 s5, 3, v69
	v_cndmask_b32_e64 v1, v1, v2, s3
	v_cndmask_b32_e64 v19, v21, v2, s4
	;; [unrolled: 1-line block ×4, first 2 shown]
	v_cndmask_b32_e32 v5, v9, v10, vcc_lo
	v_cndmask_b32_e32 v6, v13, v14, vcc_lo
	v_cmp_eq_u32_e32 vcc_lo, 3, v71
	v_cndmask_b32_e64 v9, v17, v10, s6
	v_cndmask_b32_e64 v13, v18, v14, s6
	;; [unrolled: 1-line block ×3, first 2 shown]
	v_cmp_eq_u32_e64 s4, 4, v70
	v_cndmask_b32_e32 v1, v1, v10, vcc_lo
	v_cndmask_b32_e32 v2, v2, v14, vcc_lo
	v_cmp_eq_u32_e32 vcc_lo, 4, v72
	v_lshrrev_b32_e32 v15, 16, v7
	v_lshrrev_b32_e32 v16, 16, v8
	v_cndmask_b32_e64 v17, v19, v10, s5
	v_cmp_eq_u32_e64 s3, 4, v71
	v_cndmask_b32_e64 v5, v5, v3, s4
	v_cndmask_b32_e64 v6, v6, v7, s4
	v_cndmask_b32_e32 v9, v9, v3, vcc_lo
	v_cmp_eq_u32_e64 s4, 5, v72
	v_cndmask_b32_e32 v10, v13, v7, vcc_lo
	v_cmp_eq_u32_e32 vcc_lo, 4, v69
	v_cmp_eq_u32_e64 s5, 5, v70
	v_cndmask_b32_e64 v2, v2, v7, s3
	v_cndmask_b32_e64 v9, v9, v11, s4
	;; [unrolled: 1-line block ×3, first 2 shown]
	v_cndmask_b32_e32 v13, v17, v3, vcc_lo
	v_cmp_eq_u32_e64 s4, 5, v69
	v_cndmask_b32_e32 v14, v18, v7, vcc_lo
	v_cndmask_b32_e64 v1, v1, v3, s3
	v_cmp_eq_u32_e32 vcc_lo, 5, v71
	v_lshrrev_b32_e32 v12, 16, v4
	v_cndmask_b32_e64 v13, v13, v11, s4
	v_cndmask_b32_e64 v3, v14, v15, s4
	v_cmp_eq_u32_e64 s4, 6, v71
	v_cndmask_b32_e32 v1, v1, v11, vcc_lo
	v_cndmask_b32_e64 v5, v5, v11, s5
	v_cmp_eq_u32_e64 s6, 6, v70
	v_cndmask_b32_e64 v6, v6, v15, s5
	v_cmp_eq_u32_e64 s5, 6, v72
	v_cmp_eq_u32_e64 s3, 6, v69
	v_cndmask_b32_e64 v1, v1, v4, s4
	v_cndmask_b32_e32 v2, v2, v15, vcc_lo
	v_cmp_eq_u32_e32 vcc_lo, 7, v71
	v_cndmask_b32_e64 v5, v5, v4, s6
	v_cndmask_b32_e64 v9, v9, v4, s5
	;; [unrolled: 1-line block ×3, first 2 shown]
	v_cmp_eq_u32_e64 s6, 7, v70
	v_cndmask_b32_e32 v1, v1, v12, vcc_lo
	v_cndmask_b32_e64 v7, v13, v4, s3
	v_cndmask_b32_e64 v3, v3, v8, s3
	;; [unrolled: 1-line block ×3, first 2 shown]
	v_cmp_eq_u32_e64 s3, 7, v69
	v_cndmask_b32_e64 v4, v10, v8, s5
	v_cndmask_b32_e64 v5, v5, v12, s6
	;; [unrolled: 1-line block ×3, first 2 shown]
	v_cndmask_b32_e32 v2, v2, v16, vcc_lo
	v_cndmask_b32_e64 v7, v7, v12, s3
	v_cndmask_b32_e64 v3, v3, v16, s3
	;; [unrolled: 1-line block ×4, first 2 shown]
	v_perm_b32 v4, v2, v1, 0x5040100
	s_mov_b32 s3, exec_lo
	v_perm_b32 v3, v3, v7, 0x5040100
	v_perm_b32 v2, v8, v9, 0x5040100
	;; [unrolled: 1-line block ×3, first 2 shown]
	ds_store_b128 v74, v[1:4]
	s_waitcnt lgkmcnt(0)
	s_barrier
	buffer_gl0_inv
	v_cmpx_gt_u32_e32 32, v0
	s_cbranch_execz .LBB1240_2
; %bb.15:
	s_load_b64 s[4:5], s[0:1], 0x68
	v_lshlrev_b32_e32 v0, 10, v0
	v_lshlrev_b32_e32 v1, 4, v67
	s_lshl_b32 s0, s35, 7
	v_add_nc_u32_e32 v7, s31, v66
	s_mul_i32 s1, s0, s34
	s_delay_alu instid0(SALU_CYCLE_1) | instskip(SKIP_1) | instid1(VALU_DEP_2)
	s_mul_i32 s6, s1, s8
	v_and_or_b32 v0, 0x3800, v0, v1
	v_mul_lo_u32 v1, v7, s0
	v_add_nc_u32_e32 v2, 2, v7
	s_ashr_i32 s7, s6, 31
	v_add_nc_u32_e32 v4, 4, v7
	s_lshl_b64 s[6:7], s[6:7], 1
	v_add_nc_u32_e32 v8, 6, v7
	v_mul_lo_u32 v3, v2, s0
	v_lshl_or_b32 v19, v66, 6, v0
	v_ashrrev_i32_e32 v2, 31, v1
	v_mul_lo_u32 v11, v4, s0
	v_mul_lo_u32 v25, v8, s0
	s_waitcnt lgkmcnt(0)
	s_add_u32 s1, s4, s6
	s_addc_u32 s3, s5, s7
	s_lshl_b32 s4, s14, 7
	v_lshlrev_b64 v[5:6], 1, v[1:2]
	s_ashr_i32 s5, s4, 31
	v_ashrrev_i32_e32 v4, 31, v3
	s_lshl_b64 s[4:5], s[4:5], 1
	v_ashrrev_i32_e32 v12, 31, v11
	s_add_u32 s1, s1, s4
	s_addc_u32 s3, s3, s5
	v_add_co_u32 v1, s1, s1, v65
	s_delay_alu instid0(VALU_DEP_1) | instskip(SKIP_1) | instid1(VALU_DEP_3)
	v_add_co_ci_u32_e64 v2, null, s3, 0, s1
	v_lshlrev_b64 v[3:4], 1, v[3:4]
	v_add_co_u32 v23, vcc_lo, v1, v5
	v_add_nc_u32_e32 v5, 8, v7
	s_delay_alu instid0(VALU_DEP_4) | instskip(NEXT) | instid1(VALU_DEP_4)
	v_add_co_ci_u32_e32 v24, vcc_lo, v2, v6, vcc_lo
	v_add_co_u32 v27, vcc_lo, v1, v3
	s_delay_alu instid0(VALU_DEP_3)
	v_mul_lo_u32 v29, v5, s0
	v_add_co_ci_u32_e32 v28, vcc_lo, v2, v4, vcc_lo
	ds_load_b128 v[3:6], v19
	ds_load_b128 v[7:10], v19 offset:128
	v_lshlrev_b64 v[31:32], 1, v[11:12]
	ds_load_b128 v[11:14], v19 offset:256
	ds_load_b128 v[15:18], v19 offset:384
	;; [unrolled: 1-line block ×3, first 2 shown]
	v_ashrrev_i32_e32 v26, 31, v25
	v_ashrrev_i32_e32 v30, 31, v29
	v_add_co_u32 v31, vcc_lo, v1, v31
	s_delay_alu instid0(VALU_DEP_3) | instskip(NEXT) | instid1(VALU_DEP_3)
	v_lshlrev_b64 v[25:26], 1, v[25:26]
	v_lshlrev_b64 v[29:30], 1, v[29:30]
	v_add_co_ci_u32_e32 v32, vcc_lo, v2, v32, vcc_lo
	s_delay_alu instid0(VALU_DEP_3) | instskip(NEXT) | instid1(VALU_DEP_4)
	v_add_co_u32 v25, vcc_lo, v1, v25
	v_add_co_ci_u32_e32 v26, vcc_lo, v2, v26, vcc_lo
	s_delay_alu instid0(VALU_DEP_4)
	v_add_co_u32 v29, vcc_lo, v1, v29
	v_add_co_ci_u32_e32 v30, vcc_lo, v2, v30, vcc_lo
	s_waitcnt lgkmcnt(4)
	global_store_b128 v[23:24], v[3:6], off
	s_waitcnt lgkmcnt(3)
	global_store_b128 v[27:28], v[7:10], off
	s_waitcnt lgkmcnt(2)
	global_store_b128 v[31:32], v[11:14], off
	s_waitcnt lgkmcnt(1)
	global_store_b128 v[25:26], v[15:18], off
	s_waitcnt lgkmcnt(0)
	global_store_b128 v[29:30], v[19:22], off
	s_and_b32 exec_lo, exec_lo, s2
	s_cbranch_execz .LBB1240_2
; %bb.16:
	ds_load_b128 v[3:6], v0 offset:640
	s_add_i32 s1, s31, 10
	s_delay_alu instid0(SALU_CYCLE_1) | instskip(NEXT) | instid1(SALU_CYCLE_1)
	s_mul_i32 s0, s1, s0
	s_ashr_i32 s1, s0, 31
	s_delay_alu instid0(SALU_CYCLE_1) | instskip(NEXT) | instid1(SALU_CYCLE_1)
	s_lshl_b64 s[0:1], s[0:1], 1
	v_add_co_u32 v0, vcc_lo, v1, s0
	v_add_co_ci_u32_e32 v1, vcc_lo, s1, v2, vcc_lo
	s_waitcnt lgkmcnt(0)
	global_store_b128 v[0:1], v[3:6], off
	s_nop 0
	s_sendmsg sendmsg(MSG_DEALLOC_VGPRS)
	s_endpgm
	.section	.rodata,"a",@progbits
	.p2align	6, 0x0
	.amdhsa_kernel _Z39paged_attention_ll4mi_QKV_mfma16_kernelIDF16_hLN4vllm18Fp8KVCacheDataTypeE1EhLi16ELi128ELi256ELb0ELi11EL8MFMAType0EEvPKT_PKT0_S8_ifPKiSA_SA_iPKfiiiPfSD_PS3_PT2_iSC_SC_
		.amdhsa_group_segment_fixed_size 17472
		.amdhsa_private_segment_fixed_size 0
		.amdhsa_kernarg_size 400
		.amdhsa_user_sgpr_count 13
		.amdhsa_user_sgpr_dispatch_ptr 0
		.amdhsa_user_sgpr_queue_ptr 0
		.amdhsa_user_sgpr_kernarg_segment_ptr 1
		.amdhsa_user_sgpr_dispatch_id 0
		.amdhsa_user_sgpr_private_segment_size 0
		.amdhsa_wavefront_size32 1
		.amdhsa_uses_dynamic_stack 0
		.amdhsa_enable_private_segment 0
		.amdhsa_system_sgpr_workgroup_id_x 1
		.amdhsa_system_sgpr_workgroup_id_y 1
		.amdhsa_system_sgpr_workgroup_id_z 1
		.amdhsa_system_sgpr_workgroup_info 0
		.amdhsa_system_vgpr_workitem_id 0
		.amdhsa_next_free_vgpr 150
		.amdhsa_next_free_sgpr 36
		.amdhsa_reserve_vcc 1
		.amdhsa_float_round_mode_32 0
		.amdhsa_float_round_mode_16_64 0
		.amdhsa_float_denorm_mode_32 3
		.amdhsa_float_denorm_mode_16_64 3
		.amdhsa_dx10_clamp 1
		.amdhsa_ieee_mode 1
		.amdhsa_fp16_overflow 0
		.amdhsa_workgroup_processor_mode 1
		.amdhsa_memory_ordered 1
		.amdhsa_forward_progress 0
		.amdhsa_shared_vgpr_count 0
		.amdhsa_exception_fp_ieee_invalid_op 0
		.amdhsa_exception_fp_denorm_src 0
		.amdhsa_exception_fp_ieee_div_zero 0
		.amdhsa_exception_fp_ieee_overflow 0
		.amdhsa_exception_fp_ieee_underflow 0
		.amdhsa_exception_fp_ieee_inexact 0
		.amdhsa_exception_int_div_zero 0
	.end_amdhsa_kernel
	.section	.text._Z39paged_attention_ll4mi_QKV_mfma16_kernelIDF16_hLN4vllm18Fp8KVCacheDataTypeE1EhLi16ELi128ELi256ELb0ELi11EL8MFMAType0EEvPKT_PKT0_S8_ifPKiSA_SA_iPKfiiiPfSD_PS3_PT2_iSC_SC_,"axG",@progbits,_Z39paged_attention_ll4mi_QKV_mfma16_kernelIDF16_hLN4vllm18Fp8KVCacheDataTypeE1EhLi16ELi128ELi256ELb0ELi11EL8MFMAType0EEvPKT_PKT0_S8_ifPKiSA_SA_iPKfiiiPfSD_PS3_PT2_iSC_SC_,comdat
.Lfunc_end1240:
	.size	_Z39paged_attention_ll4mi_QKV_mfma16_kernelIDF16_hLN4vllm18Fp8KVCacheDataTypeE1EhLi16ELi128ELi256ELb0ELi11EL8MFMAType0EEvPKT_PKT0_S8_ifPKiSA_SA_iPKfiiiPfSD_PS3_PT2_iSC_SC_, .Lfunc_end1240-_Z39paged_attention_ll4mi_QKV_mfma16_kernelIDF16_hLN4vllm18Fp8KVCacheDataTypeE1EhLi16ELi128ELi256ELb0ELi11EL8MFMAType0EEvPKT_PKT0_S8_ifPKiSA_SA_iPKfiiiPfSD_PS3_PT2_iSC_SC_
                                        ; -- End function
	.section	.AMDGPU.csdata,"",@progbits
; Kernel info:
; codeLenInByte = 6800
; NumSgprs: 38
; NumVgprs: 150
; ScratchSize: 0
; MemoryBound: 0
; FloatMode: 240
; IeeeMode: 1
; LDSByteSize: 17472 bytes/workgroup (compile time only)
; SGPRBlocks: 4
; VGPRBlocks: 18
; NumSGPRsForWavesPerEU: 38
; NumVGPRsForWavesPerEU: 150
; Occupancy: 9
; WaveLimiterHint : 1
; COMPUTE_PGM_RSRC2:SCRATCH_EN: 0
; COMPUTE_PGM_RSRC2:USER_SGPR: 13
; COMPUTE_PGM_RSRC2:TRAP_HANDLER: 0
; COMPUTE_PGM_RSRC2:TGID_X_EN: 1
; COMPUTE_PGM_RSRC2:TGID_Y_EN: 1
; COMPUTE_PGM_RSRC2:TGID_Z_EN: 1
; COMPUTE_PGM_RSRC2:TIDIG_COMP_CNT: 0
	.section	.text._Z39paged_attention_ll4mi_QKV_mfma16_kernelIDF16_hLN4vllm18Fp8KVCacheDataTypeE1EhLi16ELi128ELi256ELb0ELi12EL8MFMAType0EEvPKT_PKT0_S8_ifPKiSA_SA_iPKfiiiPfSD_PS3_PT2_iSC_SC_,"axG",@progbits,_Z39paged_attention_ll4mi_QKV_mfma16_kernelIDF16_hLN4vllm18Fp8KVCacheDataTypeE1EhLi16ELi128ELi256ELb0ELi12EL8MFMAType0EEvPKT_PKT0_S8_ifPKiSA_SA_iPKfiiiPfSD_PS3_PT2_iSC_SC_,comdat
	.protected	_Z39paged_attention_ll4mi_QKV_mfma16_kernelIDF16_hLN4vllm18Fp8KVCacheDataTypeE1EhLi16ELi128ELi256ELb0ELi12EL8MFMAType0EEvPKT_PKT0_S8_ifPKiSA_SA_iPKfiiiPfSD_PS3_PT2_iSC_SC_ ; -- Begin function _Z39paged_attention_ll4mi_QKV_mfma16_kernelIDF16_hLN4vllm18Fp8KVCacheDataTypeE1EhLi16ELi128ELi256ELb0ELi12EL8MFMAType0EEvPKT_PKT0_S8_ifPKiSA_SA_iPKfiiiPfSD_PS3_PT2_iSC_SC_
	.globl	_Z39paged_attention_ll4mi_QKV_mfma16_kernelIDF16_hLN4vllm18Fp8KVCacheDataTypeE1EhLi16ELi128ELi256ELb0ELi12EL8MFMAType0EEvPKT_PKT0_S8_ifPKiSA_SA_iPKfiiiPfSD_PS3_PT2_iSC_SC_
	.p2align	8
	.type	_Z39paged_attention_ll4mi_QKV_mfma16_kernelIDF16_hLN4vllm18Fp8KVCacheDataTypeE1EhLi16ELi128ELi256ELb0ELi12EL8MFMAType0EEvPKT_PKT0_S8_ifPKiSA_SA_iPKfiiiPfSD_PS3_PT2_iSC_SC_,@function
_Z39paged_attention_ll4mi_QKV_mfma16_kernelIDF16_hLN4vllm18Fp8KVCacheDataTypeE1EhLi16ELi128ELi256ELb0ELi12EL8MFMAType0EEvPKT_PKT0_S8_ifPKiSA_SA_iPKfiiiPfSD_PS3_PT2_iSC_SC_: ; @_Z39paged_attention_ll4mi_QKV_mfma16_kernelIDF16_hLN4vllm18Fp8KVCacheDataTypeE1EhLi16ELi128ELi256ELb0ELi12EL8MFMAType0EEvPKT_PKT0_S8_ifPKiSA_SA_iPKfiiiPfSD_PS3_PT2_iSC_SC_
; %bb.0:
	s_load_b64 s[4:5], s[0:1], 0x30
	s_mov_b32 s30, s13
	s_waitcnt lgkmcnt(0)
	s_cmp_lg_u64 s[4:5], 0
	s_cselect_b32 s8, -1, 0
	s_ashr_i32 s31, s13, 31
	s_cmp_eq_u64 s[4:5], 0
	s_cbranch_scc1 .LBB1241_3
; %bb.1:
	s_lshl_b64 s[2:3], s[30:31], 2
	s_delay_alu instid0(SALU_CYCLE_1) | instskip(SKIP_4) | instid1(SALU_CYCLE_1)
	s_add_u32 s2, s4, s2
	s_addc_u32 s3, s5, s3
	s_load_b64 s[2:3], s[2:3], 0x0
	s_waitcnt lgkmcnt(0)
	s_sub_i32 s2, s3, s2
	s_cmp_eq_u32 s2, 1
	s_cselect_b32 s2, -1, 0
	s_delay_alu instid0(SALU_CYCLE_1)
	s_and_not1_b32 vcc_lo, exec_lo, s2
	s_cbranch_vccz .LBB1241_4
.LBB1241_2:
	s_endpgm
.LBB1241_3:
.LBB1241_4:
	s_load_b64 s[2:3], s[0:1], 0x28
	s_lshl_b64 s[6:7], s[30:31], 2
	s_waitcnt lgkmcnt(0)
	s_add_u32 s2, s2, s6
	s_addc_u32 s3, s3, s7
	s_lshl_b32 s12, s14, 8
	s_load_b32 s24, s[2:3], 0x0
	s_waitcnt lgkmcnt(0)
	s_cmp_ge_i32 s12, s24
	s_cbranch_scc1 .LBB1241_2
; %bb.5:
	s_clause 0x1
	s_load_b128 s[20:23], s[0:1], 0x8
	s_load_b64 s[2:3], s[0:1], 0x20
	s_and_not1_b32 vcc_lo, exec_lo, s8
	s_cbranch_vccnz .LBB1241_7
; %bb.6:
	s_add_u32 s4, s4, s6
	s_addc_u32 s5, s5, s7
	s_load_b32 s5, s[4:5], 0x0
	s_branch .LBB1241_8
.LBB1241_7:
	s_mov_b32 s5, s30
.LBB1241_8:
	s_load_b128 s[16:19], s[0:1], 0x48
	v_and_b32_e32 v68, 15, v0
	v_lshrrev_b32_e32 v69, 5, v0
	v_and_b32_e32 v70, 31, v0
	v_and_b32_e32 v67, 1, v0
	v_bfe_u32 v66, v0, 4, 1
	v_lshlrev_b32_e32 v1, 3, v68
	s_mul_i32 s31, s15, 12
	s_mov_b32 s4, exec_lo
	s_delay_alu instid0(VALU_DEP_1)
	v_lshlrev_b32_e32 v65, 1, v1
	v_cmpx_gt_u32_e32 0xc0, v0
	s_cbranch_execz .LBB1241_10
; %bb.9:
	s_load_b64 s[6:7], s[0:1], 0x0
	v_lshl_or_b32 v5, v69, 1, v66
	s_waitcnt lgkmcnt(0)
	s_mul_hi_i32 s9, s5, s16
	s_mul_i32 s8, s5, s16
	v_lshlrev_b32_e32 v6, 10, v68
	s_lshl_b64 s[8:9], s[8:9], 1
	v_add_lshl_u32 v1, v5, s31, 7
	v_lshlrev_b32_e32 v5, 6, v5
	v_lshlrev_b32_e32 v7, 10, v67
	v_and_b32_e32 v6, 0x3800, v6
	s_delay_alu instid0(VALU_DEP_4) | instskip(NEXT) | instid1(VALU_DEP_2)
	v_ashrrev_i32_e32 v2, 31, v1
	v_or3_b32 v5, v6, v7, v5
	s_delay_alu instid0(VALU_DEP_2) | instskip(SKIP_2) | instid1(VALU_DEP_1)
	v_lshlrev_b64 v[1:2], 1, v[1:2]
	s_add_u32 s5, s6, s8
	s_addc_u32 s6, s7, s9
	v_add_co_u32 v1, vcc_lo, s5, v1
	s_delay_alu instid0(VALU_DEP_2) | instskip(NEXT) | instid1(VALU_DEP_2)
	v_add_co_ci_u32_e32 v2, vcc_lo, s6, v2, vcc_lo
	v_add_co_u32 v1, vcc_lo, v1, v65
	s_delay_alu instid0(VALU_DEP_2)
	v_add_co_ci_u32_e32 v2, vcc_lo, 0, v2, vcc_lo
	global_load_b128 v[1:4], v[1:2], off
	s_waitcnt vmcnt(0)
	ds_store_b128 v5, v[1:4]
.LBB1241_10:
	s_or_b32 exec_lo, exec_lo, s4
	v_and_b32_e32 v1, 0xef, v0
	s_waitcnt lgkmcnt(0)
	s_add_i32 s5, s24, 15
	s_clause 0x1
	s_load_b32 s4, s[0:1], 0x38
	s_load_b32 s33, s[0:1], 0x98
	s_ashr_i32 s6, s5, 31
	v_add_nc_u32_e32 v1, s12, v1
	s_lshr_b32 s6, s6, 28
	s_load_b32 s19, s[0:1], 0x1c
	s_add_i32 s5, s5, s6
	s_waitcnt lgkmcnt(0)
	v_ashrrev_i32_e32 v2, 31, v1
	v_or_b32_e32 v3, 16, v1
	s_ashr_i32 s13, s5, 4
	v_cmp_gt_i32_e32 vcc_lo, s24, v1
	s_add_i32 s13, s13, -1
	v_lshrrev_b32_e32 v2, 28, v2
	s_barrier
	buffer_gl0_inv
	s_mul_i32 s15, s15, s18
	v_add_nc_u32_e32 v4, v1, v2
	s_mul_i32 s4, s30, s4
	s_delay_alu instid0(SALU_CYCLE_1) | instskip(NEXT) | instid1(VALU_DEP_1)
	s_ashr_i32 s5, s4, 31
	v_ashrrev_i32_e32 v4, 4, v4
	v_add_nc_u32_e32 v2, v3, v2
	s_lshl_b64 s[4:5], s[4:5], 2
	s_delay_alu instid0(SALU_CYCLE_1) | instskip(NEXT) | instid1(VALU_DEP_2)
	s_add_u32 s16, s2, s4
	v_cndmask_b32_e32 v1, s13, v4, vcc_lo
	s_delay_alu instid0(VALU_DEP_2)
	v_ashrrev_i32_e32 v2, 4, v2
	v_cmp_gt_i32_e32 vcc_lo, s24, v3
	s_addc_u32 s25, s3, s5
	s_ashr_i32 s18, s15, 31
	s_add_u32 s26, s20, s15
	s_addc_u32 s27, s21, s18
	v_cndmask_b32_e32 v3, s13, v2, vcc_lo
	v_ashrrev_i32_e32 v2, 31, v1
	s_lshl_b32 s2, s14, 4
	s_delay_alu instid0(SALU_CYCLE_1) | instskip(NEXT) | instid1(VALU_DEP_2)
	s_ashr_i32 s3, s2, 31
	v_ashrrev_i32_e32 v4, 31, v3
	s_delay_alu instid0(VALU_DEP_2) | instskip(SKIP_1) | instid1(SALU_CYCLE_1)
	v_lshlrev_b64 v[1:2], 2, v[1:2]
	s_lshl_b64 s[2:3], s[2:3], 2
	s_add_u32 s2, s16, s2
	s_delay_alu instid0(VALU_DEP_2) | instskip(SKIP_1) | instid1(VALU_DEP_2)
	v_lshlrev_b64 v[3:4], 2, v[3:4]
	s_addc_u32 s3, s25, s3
	v_add_co_u32 v1, vcc_lo, s16, v1
	v_add_co_ci_u32_e32 v2, vcc_lo, s25, v2, vcc_lo
	s_delay_alu instid0(VALU_DEP_3) | instskip(NEXT) | instid1(VALU_DEP_4)
	v_add_co_u32 v3, vcc_lo, s16, v3
	v_add_co_ci_u32_e32 v4, vcc_lo, s25, v4, vcc_lo
	s_clause 0x1
	global_load_b32 v5, v[1:2], off
	global_load_b32 v7, v[3:4], off
	s_or_b32 s4, s12, 32
	v_lshlrev_b32_e32 v1, 4, v0
	s_ashr_i32 s5, s4, 4
	s_cmp_lt_i32 s4, s24
	v_cmp_gt_u32_e32 vcc_lo, 12, v68
	s_cselect_b32 s4, s5, s13
	v_and_b32_e32 v1, 0xf0, v1
	s_ashr_i32 s5, s4, 31
	s_delay_alu instid0(SALU_CYCLE_1) | instskip(NEXT) | instid1(SALU_CYCLE_1)
	s_lshl_b64 s[4:5], s[4:5], 2
	s_add_u32 s4, s16, s4
	s_addc_u32 s5, s25, s5
	s_or_b32 s6, s12, 64
	v_add_co_u32 v1, s26, s26, v1
	s_ashr_i32 s7, s6, 4
	s_cmp_lt_i32 s6, s24
	v_add_co_ci_u32_e64 v2, null, s27, 0, s26
	s_cselect_b32 s6, s7, s13
	s_delay_alu instid0(SALU_CYCLE_1) | instskip(NEXT) | instid1(SALU_CYCLE_1)
	s_ashr_i32 s7, s6, 31
	s_lshl_b64 s[6:7], s[6:7], 2
	s_delay_alu instid0(SALU_CYCLE_1) | instskip(SKIP_2) | instid1(SALU_CYCLE_1)
	s_add_u32 s6, s16, s6
	s_addc_u32 s7, s25, s7
	s_or_b32 s8, s12, 0x60
	s_ashr_i32 s9, s8, 4
	s_cmp_lt_i32 s8, s24
	s_cselect_b32 s8, s9, s13
	s_delay_alu instid0(SALU_CYCLE_1) | instskip(NEXT) | instid1(SALU_CYCLE_1)
	s_ashr_i32 s9, s8, 31
	s_lshl_b64 s[8:9], s[8:9], 2
	s_delay_alu instid0(SALU_CYCLE_1) | instskip(SKIP_2) | instid1(SALU_CYCLE_1)
	s_add_u32 s8, s16, s8
	s_addc_u32 s9, s25, s9
	s_or_b32 s10, s12, 0x80
	s_ashr_i32 s11, s10, 4
	s_cmp_lt_i32 s10, s24
	;; [unrolled: 10-line block ×3, first 2 shown]
	s_cselect_b32 s20, s21, s13
	s_delay_alu instid0(SALU_CYCLE_1) | instskip(NEXT) | instid1(SALU_CYCLE_1)
	s_ashr_i32 s21, s20, 31
	s_lshl_b64 s[20:21], s[20:21], 2
	s_delay_alu instid0(SALU_CYCLE_1)
	s_add_u32 s20, s16, s20
	s_addc_u32 s21, s25, s21
	s_clause 0x5
	s_load_b32 s26, s[2:3], 0x0
	s_load_b32 s27, s[4:5], 0x0
	;; [unrolled: 1-line block ×6, first 2 shown]
	s_or_b32 s2, s12, 0xc0
	s_mov_b32 s4, 0
	s_ashr_i32 s3, s2, 4
	s_cmp_lt_i32 s2, s24
	s_mov_b32 s11, s4
	s_cselect_b32 s2, s3, s13
	s_mov_b32 s5, s4
	s_ashr_i32 s3, s2, 31
	s_mov_b32 s6, s4
	s_lshl_b64 s[2:3], s[2:3], 2
	s_mov_b32 s7, s4
	s_add_u32 s2, s16, s2
	s_addc_u32 s3, s25, s3
	s_or_b32 s20, s12, 0xe0
	s_mov_b32 s8, s4
	s_ashr_i32 s21, s20, 4
	s_cmp_lt_i32 s20, s24
	s_mov_b32 s9, s4
	s_cselect_b32 s20, s21, s13
	s_mov_b32 s10, s4
	s_ashr_i32 s21, s20, 31
	v_mov_b32_e32 v118, s11
	v_dual_mov_b32 v112, s5 :: v_dual_mov_b32 v117, s10
	v_dual_mov_b32 v116, s9 :: v_dual_mov_b32 v115, s8
	;; [unrolled: 1-line block ×3, first 2 shown]
	v_mov_b32_e32 v111, s4
	s_lshl_b64 s[4:5], s[20:21], 2
	s_delay_alu instid0(SALU_CYCLE_1)
	s_add_u32 s4, s16, s4
	s_addc_u32 s5, s25, s5
	s_add_u32 s6, s22, s15
	s_addc_u32 s7, s23, s18
	s_waitcnt vmcnt(1)
	v_mad_i64_i32 v[3:4], null, v5, s17, v[1:2]
	s_waitcnt vmcnt(0)
	v_mad_i64_i32 v[5:6], null, v7, s17, v[1:2]
	v_add_nc_u32_e32 v1, -12, v68
	v_lshlrev_b32_e32 v2, 4, v68
	s_clause 0xf
	global_load_b128 v[17:20], v[3:4], off
	global_load_b128 v[21:24], v[3:4], off offset:256
	global_load_b128 v[25:28], v[5:6], off
	global_load_b128 v[29:32], v[5:6], off offset:256
	global_load_b128 v[57:60], v[3:4], off offset:512
	;; [unrolled: 1-line block ×13, first 2 shown]
	v_cndmask_b32_e32 v1, v1, v68, vcc_lo
	s_delay_alu instid0(VALU_DEP_1)
	v_lshlrev_b32_e32 v149, 6, v1
	v_lshl_or_b32 v1, v69, 8, v2
	ds_load_b128 v[119:122], v149
	ds_load_b128 v[123:126], v149 offset:1024
	ds_load_b128 v[127:130], v149 offset:2048
	;; [unrolled: 1-line block ×3, first 2 shown]
	s_clause 0x1
	s_load_b32 s2, s[2:3], 0x0
	s_load_b32 s3, s[4:5], 0x0
	v_add_co_u32 v135, s6, s6, v1
	s_delay_alu instid0(VALU_DEP_1) | instskip(SKIP_1) | instid1(VALU_DEP_1)
	v_add_co_ci_u32_e64 v136, null, s7, 0, s6
	s_waitcnt lgkmcnt(0)
	v_mad_i64_i32 v[1:2], null, s26, s17, v[135:136]
	v_mad_i64_i32 v[3:4], null, s27, s17, v[135:136]
	;; [unrolled: 1-line block ×6, first 2 shown]
	s_clause 0x9
	global_load_b128 v[49:52], v[1:2], off
	global_load_b128 v[53:56], v[1:2], off offset:16
	global_load_b128 v[41:44], v[3:4], off
	global_load_b128 v[45:48], v[3:4], off offset:16
	;; [unrolled: 2-line block ×5, first 2 shown]
	v_mad_i64_i32 v[145:146], null, s2, s17, v[135:136]
	v_mad_i64_i32 v[147:148], null, s3, s17, v[135:136]
	s_waitcnt vmcnt(24)
	v_wmma_f32_16x16x16_f16 v[135:142], v[17:24], v[119:126], v[111:118]
	s_waitcnt vmcnt(22)
	v_wmma_f32_16x16x16_f16 v[111:118], v[25:32], v[119:126], v[111:118]
	s_clause 0x3
	global_load_b128 v[17:20], v[143:144], off
	global_load_b128 v[21:24], v[143:144], off offset:16
	global_load_b128 v[25:28], v[145:146], off
	global_load_b128 v[29:32], v[145:146], off offset:16
	v_and_b32_e32 v119, 0xe0, v0
	s_waitcnt vmcnt(24)
	v_wmma_f32_16x16x16_f16 v[135:142], v[57:64], v[127:134], v[135:142]
	s_clause 0x1
	global_load_b128 v[57:60], v[147:148], off
	global_load_b128 v[61:64], v[147:148], off offset:16
	s_waitcnt vmcnt(24)
	v_wmma_f32_16x16x16_f16 v[111:118], v[71:78], v[127:134], v[111:118]
	ds_load_b128 v[71:74], v149 offset:4096
	ds_load_b128 v[75:78], v149 offset:5120
	v_add_nc_u32_e32 v128, s12, v119
	ds_load_b128 v[119:122], v149 offset:6144
	ds_load_b128 v[123:126], v149 offset:7168
	v_mbcnt_lo_u32_b32 v127, -1, 0
	s_waitcnt vmcnt(0) lgkmcnt(0)
	s_barrier
	v_or_b32_e32 v128, v128, v66
	buffer_gl0_inv
	v_xor_b32_e32 v129, 16, v127
	v_or_b32_e32 v130, 4, v128
	v_or_b32_e32 v131, 6, v128
	s_delay_alu instid0(VALU_DEP_3) | instskip(SKIP_4) | instid1(VALU_DEP_4)
	v_cmp_gt_i32_e32 vcc_lo, 32, v129
	v_or_b32_e32 v132, 8, v128
	v_or_b32_e32 v133, 10, v128
	v_cmp_gt_i32_e64 s3, s24, v130
	v_cmp_gt_i32_e64 s4, s24, v131
	;; [unrolled: 1-line block ×3, first 2 shown]
	v_wmma_f32_16x16x16_f16 v[135:142], v[79:86], v[71:78], v[135:142]
	v_wmma_f32_16x16x16_f16 v[111:118], v[87:94], v[71:78], v[111:118]
	v_or_b32_e32 v79, 12, v128
	v_or_b32_e32 v80, 14, v128
	v_cmp_gt_i32_e64 s6, s24, v133
	v_wmma_f32_16x16x16_f16 v[135:142], v[95:102], v[119:126], v[135:142]
	v_wmma_f32_16x16x16_f16 v[111:118], v[103:110], v[119:126], v[111:118]
	v_cndmask_b32_e32 v127, v127, v129, vcc_lo
	v_or_b32_e32 v129, 2, v128
	v_cmp_gt_i32_e32 vcc_lo, s24, v128
	v_mul_f32_e32 v88, s19, v135
	v_dual_mul_f32 v92, s19, v115 :: v_dual_mul_f32 v87, s19, v136
	s_delay_alu instid0(VALU_DEP_4)
	v_cmp_gt_i32_e64 s2, s24, v129
	v_mul_f32_e32 v78, s19, v138
	v_mul_f32_e32 v86, s19, v137
	v_cndmask_b32_e32 v88, 0xff7fffff, v88, vcc_lo
	v_mul_f32_e32 v76, s19, v140
	v_cndmask_b32_e64 v87, 0xff7fffff, v87, s2
	v_dual_mul_f32 v77, s19, v139 :: v_dual_mul_f32 v94, s19, v113
	v_cndmask_b32_e64 v86, 0xff7fffff, v86, s3
	v_cndmask_b32_e64 v78, 0xff7fffff, v78, s4
	s_delay_alu instid0(VALU_DEP_4)
	v_max3_f32 v87, v88, 0xff7fffff, v87
	v_or_b32_e32 v81, 16, v128
	v_or_b32_e32 v82, 18, v128
	v_dual_mul_f32 v74, s19, v142 :: v_dual_mul_f32 v75, s19, v141
	v_mul_f32_e32 v96, s19, v111
	v_cndmask_b32_e64 v77, 0xff7fffff, v77, s5
	v_cndmask_b32_e64 v76, 0xff7fffff, v76, s6
	v_max3_f32 v78, v87, v86, v78
	v_cmp_gt_i32_e64 s7, s24, v79
	v_cmp_gt_i32_e64 s8, s24, v80
	v_or_b32_e32 v83, 20, v128
	v_or_b32_e32 v84, 22, v128
	v_mul_f32_e32 v95, s19, v112
	v_cndmask_b32_e64 v75, 0xff7fffff, v75, s7
	v_cndmask_b32_e64 v74, 0xff7fffff, v74, s8
	v_max3_f32 v76, v78, v77, v76
	v_cmp_gt_i32_e64 s9, s24, v81
	v_cmp_gt_i32_e64 s10, s24, v82
	v_or_b32_e32 v85, 24, v128
	v_or_b32_e32 v71, 26, v128
	;; [unrolled: 8-line block ×3, first 2 shown]
	v_mul_f32_e32 v91, s19, v116
	v_cndmask_b32_e64 v75, 0xff7fffff, v94, s11
	v_cndmask_b32_e64 v76, 0xff7fffff, v93, s12
	v_max3_f32 v74, v74, v77, v78
	v_cmp_gt_i32_e64 s13, s24, v85
	v_cmp_gt_i32_e64 s15, s24, v71
	v_dual_mul_f32 v89, s19, v118 :: v_dual_mul_f32 v90, s19, v117
	s_delay_alu instid0(VALU_DEP_4) | instskip(NEXT) | instid1(VALU_DEP_4)
	v_max3_f32 v74, v74, v75, v76
	v_cndmask_b32_e64 v77, 0xff7fffff, v92, s13
	s_delay_alu instid0(VALU_DEP_4) | instskip(SKIP_2) | instid1(VALU_DEP_3)
	v_cndmask_b32_e64 v71, 0xff7fffff, v91, s15
	v_cmp_gt_i32_e64 s16, s24, v72
	v_cmp_gt_i32_e64 s17, s24, v73
	v_max3_f32 v71, v74, v77, v71
	s_delay_alu instid0(VALU_DEP_3) | instskip(NEXT) | instid1(VALU_DEP_3)
	v_cndmask_b32_e64 v72, 0xff7fffff, v90, s16
	v_cndmask_b32_e64 v73, 0xff7fffff, v89, s17
	v_lshlrev_b32_e32 v74, 2, v127
	s_delay_alu instid0(VALU_DEP_2) | instskip(SKIP_3) | instid1(VALU_DEP_1)
	v_max3_f32 v71, v71, v72, v73
	ds_bpermute_b32 v72, v74, v71
	s_waitcnt lgkmcnt(0)
	v_max_f32_e32 v72, v72, v72
	v_max_f32_e32 v71, v71, v72
	s_delay_alu instid0(VALU_DEP_1) | instskip(SKIP_4) | instid1(VALU_DEP_4)
	v_fma_f32 v72, s19, v135, -v71
	v_fma_f32 v73, s19, v136, -v71
	;; [unrolled: 1-line block ×5, first 2 shown]
	v_dual_mul_f32 v72, 0x3fb8aa3b, v72 :: v_dual_mul_f32 v73, 0x3fb8aa3b, v73
	v_fma_f32 v80, s19, v141, -v71
	s_delay_alu instid0(VALU_DEP_3) | instskip(NEXT) | instid1(VALU_DEP_3)
	v_dual_mul_f32 v76, 0x3fb8aa3b, v76 :: v_dual_mul_f32 v77, 0x3fb8aa3b, v77
	v_exp_f32_e32 v72, v72
	s_delay_alu instid0(VALU_DEP_3) | instskip(NEXT) | instid1(VALU_DEP_2)
	v_exp_f32_e32 v73, v73
	v_mul_f32_e32 v82, 0x3fb8aa3b, v80
	s_delay_alu instid0(VALU_DEP_2) | instskip(SKIP_1) | instid1(VALU_DEP_1)
	v_exp_f32_e32 v76, v76
	v_exp_f32_e32 v77, v77
	;; [unrolled: 1-line block ×3, first 2 shown]
	v_cndmask_b32_e32 v79, 0, v72, vcc_lo
	v_fma_f32 v72, s19, v140, -v71
	v_mul_f32_e32 v75, 0x3fb8aa3b, v75
	v_cndmask_b32_e64 v78, 0, v73, s2
	s_delay_alu instid0(TRANS32_DEP_3) | instskip(NEXT) | instid1(VALU_DEP_4)
	v_cndmask_b32_e64 v80, 0, v76, s4
	v_dual_add_f32 v73, 0, v79 :: v_dual_mul_f32 v72, 0x3fb8aa3b, v72
	s_delay_alu instid0(VALU_DEP_4) | instskip(NEXT) | instid1(TRANS32_DEP_3)
	v_exp_f32_e32 v75, v75
	v_cndmask_b32_e64 v83, 0, v77, s5
	s_delay_alu instid0(TRANS32_DEP_2) | instskip(NEXT) | instid1(VALU_DEP_3)
	v_cndmask_b32_e64 v85, 0, v84, s7
	v_add_f32_e32 v73, v73, v78
	v_exp_f32_e32 v72, v72
	s_mov_b32 s2, exec_lo
	s_waitcnt_depctr 0xfff
	v_cndmask_b32_e64 v81, 0, v75, s3
	v_cndmask_b32_e64 v82, 0, v72, s6
	s_delay_alu instid0(VALU_DEP_2) | instskip(NEXT) | instid1(VALU_DEP_1)
	v_add_f32_e32 v73, v73, v81
	v_add_f32_e32 v73, v73, v80
	s_delay_alu instid0(VALU_DEP_1) | instskip(NEXT) | instid1(VALU_DEP_1)
	v_add_f32_e32 v72, v73, v83
	v_add_f32_e32 v72, v72, v82
	s_delay_alu instid0(VALU_DEP_1)
	v_add_f32_e32 v72, v72, v85
	v_fma_f32 v76, s19, v111, -v71
	v_fma_f32 v75, s19, v142, -v71
	;; [unrolled: 1-line block ×5, first 2 shown]
	v_mul_f32_e32 v76, 0x3fb8aa3b, v76
	s_delay_alu instid0(VALU_DEP_4) | instskip(NEXT) | instid1(VALU_DEP_2)
	v_mul_f32_e32 v86, 0x3fb8aa3b, v86
	v_exp_f32_e32 v76, v76
	s_delay_alu instid0(VALU_DEP_1)
	v_exp_f32_e32 v88, v86
	s_waitcnt_depctr 0xfff
	v_cndmask_b32_e64 v87, 0, v76, s9
	v_fma_f32 v76, s19, v116, -v71
	v_mul_f32_e32 v75, 0x3fb8aa3b, v75
	v_cndmask_b32_e64 v88, 0, v88, s12
	s_delay_alu instid0(VALU_DEP_3) | instskip(NEXT) | instid1(VALU_DEP_3)
	v_dual_mul_f32 v73, 0x3fb8aa3b, v73 :: v_dual_mul_f32 v76, 0x3fb8aa3b, v76
	v_exp_f32_e32 v75, v75
	s_delay_alu instid0(VALU_DEP_1) | instskip(NEXT) | instid1(VALU_DEP_1)
	v_exp_f32_e32 v73, v73
	v_exp_f32_e32 v76, v76
	s_delay_alu instid0(TRANS32_DEP_3)
	v_cndmask_b32_e64 v84, 0, v75, s8
	v_fma_f32 v75, s19, v115, -v71
	s_waitcnt_depctr 0xfff
	v_cndmask_b32_e64 v89, 0, v73, s11
	v_cndmask_b32_e64 v90, 0, v76, s15
	v_add_f32_e32 v72, v72, v84
	s_delay_alu instid0(VALU_DEP_1) | instskip(NEXT) | instid1(VALU_DEP_1)
	v_dual_add_f32 v72, v72, v87 :: v_dual_mul_f32 v77, 0x3fb8aa3b, v77
	v_exp_f32_e32 v77, v77
	s_waitcnt_depctr 0xfff
	v_cndmask_b32_e64 v86, 0, v77, s10
	v_fma_f32 v77, s19, v117, -v71
	s_delay_alu instid0(VALU_DEP_2) | instskip(NEXT) | instid1(VALU_DEP_1)
	v_dual_add_f32 v72, v72, v86 :: v_dual_mul_f32 v75, 0x3fb8aa3b, v75
	v_add_f32_e32 v72, v72, v89
	s_delay_alu instid0(VALU_DEP_2) | instskip(NEXT) | instid1(VALU_DEP_1)
	v_exp_f32_e32 v75, v75
	v_add_f32_e32 v72, v72, v88
	s_waitcnt_depctr 0xfff
	v_cndmask_b32_e64 v91, 0, v75, s13
	v_mul_f32_e32 v73, 0x3fb8aa3b, v77
	v_fma_f32 v77, s19, v118, -v71
	s_delay_alu instid0(VALU_DEP_3) | instskip(NEXT) | instid1(VALU_DEP_3)
	v_add_f32_e32 v72, v72, v91
	v_exp_f32_e32 v73, v73
	s_delay_alu instid0(VALU_DEP_1) | instskip(NEXT) | instid1(VALU_DEP_1)
	v_dual_mul_f32 v75, 0x3fb8aa3b, v77 :: v_dual_add_f32 v72, v72, v90
	v_exp_f32_e32 v75, v75
	s_waitcnt_depctr 0xfff
	v_cndmask_b32_e64 v93, 0, v73, s16
	s_delay_alu instid0(VALU_DEP_1) | instskip(SKIP_1) | instid1(VALU_DEP_1)
	v_add_f32_e32 v72, v72, v93
	v_cndmask_b32_e64 v92, 0, v75, s17
	v_add_f32_e32 v72, v72, v92
	ds_bpermute_b32 v73, v74, v72
	v_cmpx_gt_u32_e32 16, v70
	s_cbranch_execz .LBB1241_12
; %bb.11:
	v_mul_u32_u24_e32 v70, 0x44, v69
	s_waitcnt lgkmcnt(0)
	v_add_f32_e32 v72, v72, v73
	s_delay_alu instid0(VALU_DEP_2) | instskip(NEXT) | instid1(VALU_DEP_1)
	v_lshl_add_u32 v70, v68, 2, v70
	v_add_nc_u32_e32 v70, 0x4000, v70
	ds_store_2addr_b32 v70, v71, v72 offset1:136
.LBB1241_12:
	s_or_b32 exec_lo, exec_lo, s2
	v_lshlrev_b32_e32 v70, 2, v68
	s_load_b32 s34, s[0:1], 0x94
	s_waitcnt lgkmcnt(0)
	s_barrier
	buffer_gl0_inv
	v_add_nc_u32_e32 v98, 0x4000, v70
	v_cmp_eq_u32_e32 vcc_lo, 1, v69
	v_cmp_eq_u32_e64 s2, 2, v69
	v_cmp_eq_u32_e64 s3, 3, v69
	v_cmp_eq_u32_e64 s4, 4, v69
	ds_load_2addr_b32 v[70:71], v98 offset1:17
	ds_load_2addr_b32 v[72:73], v98 offset0:34 offset1:51
	ds_load_2addr_b32 v[74:75], v98 offset0:68 offset1:85
	;; [unrolled: 1-line block ×3, first 2 shown]
	v_cmp_eq_u32_e64 s5, 5, v69
	v_cmp_eq_u32_e64 s6, 7, v69
	s_waitcnt lgkmcnt(3)
	v_max3_f32 v76, v70, 0xff7fffff, v71
	s_waitcnt lgkmcnt(2)
	s_delay_alu instid0(VALU_DEP_1) | instskip(SKIP_1) | instid1(VALU_DEP_1)
	v_max3_f32 v76, v76, v72, v73
	s_waitcnt lgkmcnt(1)
	v_max3_f32 v76, v76, v74, v75
	s_waitcnt lgkmcnt(0)
	s_delay_alu instid0(VALU_DEP_1) | instskip(NEXT) | instid1(VALU_DEP_1)
	v_max3_f32 v76, v76, v94, v95
	v_sub_f32_e32 v77, v71, v76
	ds_load_2addr_b32 v[96:97], v98 offset0:136 offset1:153
	v_sub_f32_e32 v74, v74, v76
	v_sub_f32_e32 v70, v70, v76
	;; [unrolled: 1-line block ×3, first 2 shown]
	v_dual_sub_f32 v72, v72, v76 :: v_dual_mul_f32 v77, 0x3fb8aa3b, v77
	s_delay_alu instid0(VALU_DEP_4) | instskip(NEXT) | instid1(VALU_DEP_4)
	v_mul_f32_e32 v103, 0x3fb8aa3b, v74
	v_mul_f32_e32 v99, 0x3fb8aa3b, v70
	ds_load_2addr_b32 v[70:71], v98 offset0:170 offset1:187
	v_dual_mul_f32 v101, 0x3fb8aa3b, v72 :: v_dual_mul_f32 v94, 0x3fb8aa3b, v94
	v_exp_f32_e32 v102, v77
	v_exp_f32_e32 v99, v99
	s_delay_alu instid0(VALU_DEP_1) | instskip(NEXT) | instid1(VALU_DEP_1)
	v_exp_f32_e32 v101, v101
	v_exp_f32_e32 v94, v94
	s_waitcnt lgkmcnt(1)
	s_delay_alu instid0(TRANS32_DEP_3)
	v_fma_f32 v77, v99, v96, 0
	v_sub_f32_e32 v100, v73, v76
	ds_load_2addr_b32 v[72:73], v98 offset0:204 offset1:221
	v_fmac_f32_e32 v77, v102, v97
	v_exp_f32_e32 v97, v103
	s_waitcnt lgkmcnt(1)
	s_delay_alu instid0(VALU_DEP_1)
	v_dual_fmac_f32 v77, v101, v70 :: v_dual_sub_f32 v96, v75, v76
	ds_load_2addr_b32 v[74:75], v98 offset0:238 offset1:255
	v_sub_f32_e32 v70, v95, v76
	s_waitcnt lgkmcnt(0)
	s_barrier
	v_mul_f32_e32 v96, 0x3fb8aa3b, v96
	buffer_gl0_inv
	v_exp_f32_e32 v95, v96
	v_mul_f32_e32 v100, 0x3fb8aa3b, v100
	s_delay_alu instid0(VALU_DEP_1) | instskip(SKIP_3) | instid1(VALU_DEP_2)
	v_exp_f32_e32 v100, v100
	s_waitcnt_depctr 0xfff
	v_dual_fmac_f32 v77, v100, v71 :: v_dual_mul_f32 v70, 0x3fb8aa3b, v70
	v_cndmask_b32_e32 v71, v99, v102, vcc_lo
	v_fmac_f32_e32 v77, v97, v72
	s_delay_alu instid0(VALU_DEP_3) | instskip(NEXT) | instid1(VALU_DEP_1)
	v_exp_f32_e32 v96, v70
	v_fmac_f32_e32 v77, v95, v73
	s_delay_alu instid0(VALU_DEP_1) | instskip(SKIP_2) | instid1(VALU_DEP_1)
	v_fmac_f32_e32 v77, v94, v74
	s_waitcnt_depctr 0xfff
	v_fmac_f32_e32 v77, v96, v75
	v_add_f32_e32 v74, 0x358637bd, v77
	s_delay_alu instid0(VALU_DEP_1) | instskip(SKIP_1) | instid1(VALU_DEP_2)
	v_div_scale_f32 v98, null, v74, v74, 1.0
	v_div_scale_f32 v99, vcc_lo, 1.0, v74, 1.0
	v_rcp_f32_e32 v103, v98
	s_waitcnt_depctr 0xfff
	v_fma_f32 v70, -v98, v103, 1.0
	s_delay_alu instid0(VALU_DEP_1) | instskip(SKIP_2) | instid1(VALU_DEP_2)
	v_fmac_f32_e32 v103, v70, v103
	v_cndmask_b32_e64 v70, v71, v101, s2
	v_cmp_eq_u32_e64 s2, 6, v69
	v_cndmask_b32_e64 v71, v70, v100, s3
	s_delay_alu instid0(VALU_DEP_4) | instskip(NEXT) | instid1(VALU_DEP_2)
	v_dual_mul_f32 v101, v99, v103 :: v_dual_lshlrev_b32 v70, 2, v66
	v_cndmask_b32_e64 v71, v71, v97, s4
	s_delay_alu instid0(VALU_DEP_2) | instskip(NEXT) | instid1(VALU_DEP_3)
	v_or_b32_e32 v72, 1, v70
	v_fma_f32 v100, -v98, v101, v99
	v_cmp_eq_u32_e64 s3, 1, v70
	v_cmp_eq_u32_e64 s4, 2, v70
	v_cndmask_b32_e64 v95, v71, v95, s5
	v_or_b32_e32 v71, 3, v70
	v_fmac_f32_e32 v101, v100, v103
	v_cmp_eq_u32_e64 s8, 1, v72
	v_cmp_eq_u32_e64 s11, 2, v72
	v_cndmask_b32_e64 v94, v95, v94, s2
	v_cmp_eq_u32_e64 s10, 1, v71
	v_fma_f32 v97, -v98, v101, v99
	v_cmp_eq_u32_e64 s15, 2, v71
	v_cmp_eq_u32_e64 s12, 3, v72
	v_cndmask_b32_e64 v94, v94, v96, s6
	v_cmp_eq_u32_e64 s17, 3, v71
	v_div_fmas_f32 v95, v97, v103, v101
	v_cmp_eq_u32_e32 vcc_lo, 3, v70
	v_cmp_eq_u32_e64 s2, 4, v70
	v_cmp_eq_u32_e64 s18, 4, v72
	;; [unrolled: 1-line block ×3, first 2 shown]
	v_div_fixup_f32 v95, v95, v74, 1.0
	v_lshlrev_b32_e32 v73, 6, v68
	v_cmp_eq_u32_e64 s5, 5, v70
	v_cmp_eq_u32_e64 s19, 5, v72
	;; [unrolled: 1-line block ×3, first 2 shown]
	v_mul_f32_e32 v102, v94, v95
	v_lshl_or_b32 v75, v69, 11, v73
	v_or_b32_e32 v69, 2, v70
	v_cmp_eq_u32_e64 s24, 6, v72
	v_cmp_eq_u32_e64 s26, 6, v71
	v_fma_mixlo_f16 v94, v102, v79, 0
	v_fma_mixlo_f16 v95, v102, v81, 0
	v_fma_mixlo_f16 v96, v102, v83, 0
	v_fma_mixlo_f16 v97, v102, v85, 0
	v_fma_mixlo_f16 v98, v102, v87, 0
	v_fma_mixlo_f16 v99, v102, v89, 0
	v_fma_mixlo_f16 v100, v102, v91, 0
	v_fma_mixlo_f16 v101, v102, v93, 0
	v_lshl_or_b32 v74, v66, 4, v75
	v_fma_mixhi_f16 v94, v102, v78, 0
	v_fma_mixhi_f16 v95, v102, v80, 0
	;; [unrolled: 1-line block ×8, first 2 shown]
	ds_store_b128 v74, v[94:97]
	ds_store_b128 v74, v[98:101] offset:1024
	s_waitcnt lgkmcnt(0)
	s_barrier
	buffer_gl0_inv
	ds_load_b128 v[78:81], v75
	ds_load_b128 v[82:85], v75 offset:16
	ds_load_b128 v[86:89], v75 offset:1024
	;; [unrolled: 1-line block ×3, first 2 shown]
	v_cmp_eq_u32_e64 s9, 1, v69
	v_cmp_eq_u32_e64 s13, 2, v69
	;; [unrolled: 1-line block ×11, first 2 shown]
	s_waitcnt lgkmcnt(3)
	v_lshrrev_b32_e32 v94, 16, v78
	s_waitcnt lgkmcnt(2)
	v_lshrrev_b32_e32 v98, 16, v82
	;; [unrolled: 2-line block ×4, first 2 shown]
	v_lshrrev_b32_e32 v95, 16, v79
	v_cndmask_b32_e64 v110, v78, v94, s3
	v_cndmask_b32_e64 v111, v82, v98, s3
	v_cndmask_b32_e64 v112, v78, v94, s8
	v_cndmask_b32_e64 v113, v82, v98, s8
	v_cndmask_b32_e64 v114, v78, v94, s9
	v_cndmask_b32_e64 v115, v82, v98, s9
	v_cndmask_b32_e64 v78, v78, v94, s10
	v_cndmask_b32_e64 v82, v82, v98, s10
	v_lshrrev_b32_e32 v99, 16, v83
	v_cndmask_b32_e64 v94, v86, v102, s3
	v_cndmask_b32_e64 v98, v90, v106, s3
	v_cndmask_b32_e64 v116, v86, v102, s8
	v_cndmask_b32_e64 v117, v90, v106, s8
	v_cndmask_b32_e64 v118, v86, v102, s9
	v_cndmask_b32_e64 v119, v90, v106, s9
	v_cndmask_b32_e64 v86, v86, v102, s10
	v_cndmask_b32_e64 v90, v90, v106, s10
	v_cndmask_b32_e64 v102, v110, v79, s4
	v_cndmask_b32_e64 v106, v111, v83, s4
	v_cndmask_b32_e64 v110, v112, v79, s11
	v_cndmask_b32_e64 v111, v113, v83, s11
	v_cndmask_b32_e64 v112, v114, v79, s13
	v_cndmask_b32_e64 v78, v78, v79, s15
	v_cndmask_b32_e64 v79, v82, v83, s15
	v_lshrrev_b32_e32 v103, 16, v87
	v_lshrrev_b32_e32 v107, 16, v91
	v_cndmask_b32_e64 v113, v115, v83, s13
	v_cndmask_b32_e64 v82, v94, v87, s4
	;; [unrolled: 1-line block ×7, first 2 shown]
	v_cndmask_b32_e32 v90, v102, v95, vcc_lo
	v_cndmask_b32_e32 v102, v106, v99, vcc_lo
	v_cndmask_b32_e64 v106, v110, v95, s12
	v_cndmask_b32_e64 v110, v111, v99, s12
	;; [unrolled: 1-line block ×4, first 2 shown]
	v_lshrrev_b32_e32 v96, 16, v80
	v_lshrrev_b32_e32 v100, 16, v84
	v_cndmask_b32_e64 v111, v112, v95, s16
	v_cndmask_b32_e64 v112, v113, v99, s16
	v_cndmask_b32_e32 v82, v82, v103, vcc_lo
	v_cndmask_b32_e32 v83, v83, v107, vcc_lo
	v_cndmask_b32_e64 v94, v94, v103, s12
	v_cndmask_b32_e64 v90, v90, v80, s2
	;; [unrolled: 1-line block ×7, first 2 shown]
	v_lshrrev_b32_e32 v104, 16, v88
	v_cndmask_b32_e64 v106, v111, v80, s20
	v_cndmask_b32_e64 v110, v112, v84, s20
	;; [unrolled: 1-line block ×11, first 2 shown]
	v_lshrrev_b32_e32 v97, 16, v81
	v_lshrrev_b32_e32 v101, 16, v85
	v_cndmask_b32_e64 v99, v106, v96, s22
	v_cndmask_b32_e64 v102, v110, v100, s22
	;; [unrolled: 1-line block ×7, first 2 shown]
	v_lshrrev_b32_e32 v105, 16, v89
	v_cndmask_b32_e64 v80, v80, v104, s5
	v_cndmask_b32_e64 v84, v84, v81, s6
	;; [unrolled: 1-line block ×16, first 2 shown]
	v_perm_b32 v81, v79, v78, 0x5040100
	v_perm_b32 v79, v95, v85, 0x5040100
	v_cndmask_b32_e64 v78, v119, v91, s13
	v_cndmask_b32_e64 v85, v117, v91, s11
	;; [unrolled: 1-line block ×3, first 2 shown]
	v_perm_b32 v80, v94, v90, 0x5040100
	v_cndmask_b32_e64 v90, v98, v103, s16
	v_cndmask_b32_e64 v86, v86, v103, s17
	;; [unrolled: 1-line block ×5, first 2 shown]
	v_lshrrev_b32_e32 v108, 16, v92
	v_cndmask_b32_e64 v90, v90, v88, s20
	v_cndmask_b32_e64 v86, v86, v88, s21
	;; [unrolled: 1-line block ×11, first 2 shown]
	v_lshrrev_b32_e32 v109, 16, v93
	v_cndmask_b32_e64 v82, v82, v93, s6
	v_cndmask_b32_e64 v88, v88, v89, s25
	;; [unrolled: 1-line block ×12, first 2 shown]
	v_perm_b32 v78, v84, v83, 0x5040100
	v_perm_b32 v85, v87, v86, 0x5040100
	;; [unrolled: 1-line block ×5, first 2 shown]
	s_mul_i32 s7, s33, 12
	s_mov_b32 s2, exec_lo
	ds_store_b128 v74, v[78:81]
	ds_store_b128 v74, v[82:85] offset:1024
	v_cmpx_gt_u32_e32 12, v0
	s_cbranch_execz .LBB1241_14
; %bb.13:
	s_mul_i32 s3, s7, s30
	s_load_b128 s[8:11], s[0:1], 0x58
	v_add3_u32 v68, s3, s31, v68
	s_delay_alu instid0(VALU_DEP_1) | instskip(NEXT) | instid1(VALU_DEP_1)
	v_mad_u64_u32 v[78:79], null, v68, s34, s[14:15]
	v_ashrrev_i32_e32 v79, 31, v78
	s_delay_alu instid0(VALU_DEP_1) | instskip(SKIP_1) | instid1(VALU_DEP_1)
	v_lshlrev_b64 v[78:79], 2, v[78:79]
	s_waitcnt lgkmcnt(0)
	v_add_co_u32 v80, vcc_lo, s10, v78
	s_delay_alu instid0(VALU_DEP_2)
	v_add_co_ci_u32_e32 v81, vcc_lo, s11, v79, vcc_lo
	v_add_co_u32 v78, vcc_lo, s8, v78
	v_add_co_ci_u32_e32 v79, vcc_lo, s9, v79, vcc_lo
	global_store_b32 v[80:81], v76, off
	global_store_b32 v[78:79], v77, off
.LBB1241_14:
	s_or_b32 exec_lo, exec_lo, s2
	s_waitcnt lgkmcnt(0)
	s_waitcnt_vscnt null, 0x0
	s_barrier
	buffer_gl0_inv
	ds_load_b128 v[84:87], v73
	ds_load_b128 v[88:91], v73 offset:16
	ds_load_b128 v[96:99], v73 offset:2064
	;; [unrolled: 1-line block ×5, first 2 shown]
	v_cmp_eq_u32_e32 vcc_lo, 1, v70
	v_mov_b32_e32 v76, 0
	ds_load_b128 v[112:115], v73 offset:6160
	ds_load_b128 v[108:111], v73 offset:6144
	;; [unrolled: 1-line block ×4, first 2 shown]
	v_cmp_eq_u32_e64 s3, 1, v69
	v_cmp_eq_u32_e64 s2, 1, v72
	;; [unrolled: 1-line block ×3, first 2 shown]
	v_mov_b32_e32 v77, v76
	v_mov_b32_e32 v78, v76
	;; [unrolled: 1-line block ×7, first 2 shown]
	v_cmp_eq_u32_e64 s5, 3, v72
	v_cmp_eq_u32_e64 s6, 7, v72
	s_waitcnt lgkmcnt(8)
	s_delay_alu instid0(VALU_DEP_3)
	v_wmma_f32_16x16x16_f16 v[76:83], v[49:56], v[84:91], v[76:83]
	ds_load_b128 v[53:56], v73 offset:10256
	ds_load_b128 v[49:52], v73 offset:10240
	s_waitcnt lgkmcnt(8)
	v_wmma_f32_16x16x16_f16 v[76:83], v[41:48], v[92:99], v[76:83]
	ds_load_b128 v[45:48], v73 offset:12304
	ds_load_b128 v[41:44], v73 offset:12288
	s_waitcnt lgkmcnt(8)
	;; [unrolled: 4-line block ×3, first 2 shown]
	s_barrier
	buffer_gl0_inv
	v_wmma_f32_16x16x16_f16 v[76:83], v[1:8], v[108:115], v[76:83]
	s_delay_alu instid0(VALU_DEP_1) | instskip(NEXT) | instid1(VALU_DEP_1)
	v_wmma_f32_16x16x16_f16 v[76:83], v[9:16], v[116:123], v[76:83]
	v_wmma_f32_16x16x16_f16 v[76:83], v[17:24], v[49:56], v[76:83]
	s_delay_alu instid0(VALU_DEP_1) | instskip(NEXT) | instid1(VALU_DEP_1)
	v_wmma_f32_16x16x16_f16 v[76:83], v[25:32], v[41:48], v[76:83]
	v_wmma_f32_16x16x16_f16 v[76:83], v[57:64], v[33:40], v[76:83]
	s_delay_alu instid0(VALU_DEP_1) | instskip(NEXT) | instid1(VALU_DEP_2)
	v_cvt_f16_f32_e32 v1, v76
	v_cvt_f16_f32_e32 v2, v77
	s_delay_alu instid0(VALU_DEP_3) | instskip(NEXT) | instid1(VALU_DEP_4)
	v_cvt_f16_f32_e32 v3, v78
	v_cvt_f16_f32_e32 v4, v79
	;; [unrolled: 1-line block ×6, first 2 shown]
	v_pack_b32_f16 v1, v1, v2
	v_pack_b32_f16 v2, v3, v4
	;; [unrolled: 1-line block ×3, first 2 shown]
	s_delay_alu instid0(VALU_DEP_4)
	v_pack_b32_f16 v4, v7, v8
	ds_store_b128 v74, v[1:4]
	s_waitcnt lgkmcnt(0)
	s_barrier
	buffer_gl0_inv
	ds_load_b128 v[1:4], v75
	ds_load_b128 v[5:8], v75 offset:16
	s_waitcnt lgkmcnt(1)
	v_lshrrev_b32_e32 v9, 16, v1
	s_waitcnt lgkmcnt(0)
	v_lshrrev_b32_e32 v13, 16, v5
	v_lshrrev_b32_e32 v10, 16, v2
	;; [unrolled: 1-line block ×4, first 2 shown]
	v_cndmask_b32_e32 v17, v1, v9, vcc_lo
	v_cndmask_b32_e32 v18, v5, v13, vcc_lo
	v_cndmask_b32_e64 v21, v1, v9, s3
	v_cmp_eq_u32_e32 vcc_lo, 1, v71
	v_cndmask_b32_e64 v22, v5, v13, s3
	v_cmp_eq_u32_e64 s3, 2, v70
	v_cndmask_b32_e64 v19, v1, v9, s2
	v_cndmask_b32_e64 v20, v5, v13, s2
	v_cndmask_b32_e32 v1, v1, v9, vcc_lo
	v_cmp_eq_u32_e64 s2, 2, v71
	v_cndmask_b32_e32 v5, v5, v13, vcc_lo
	v_cndmask_b32_e64 v9, v17, v2, s3
	v_cmp_eq_u32_e32 vcc_lo, 3, v70
	v_cndmask_b32_e64 v13, v18, v6, s3
	v_cmp_eq_u32_e64 s3, 2, v69
	v_cndmask_b32_e64 v17, v19, v2, s4
	v_cndmask_b32_e64 v18, v20, v6, s4
	v_cmp_eq_u32_e64 s4, 3, v69
	v_cndmask_b32_e64 v1, v1, v2, s2
	v_cndmask_b32_e64 v19, v21, v2, s3
	;; [unrolled: 1-line block ×4, first 2 shown]
	v_cndmask_b32_e32 v5, v9, v10, vcc_lo
	v_cndmask_b32_e32 v6, v13, v14, vcc_lo
	v_cmp_eq_u32_e32 vcc_lo, 3, v71
	v_cndmask_b32_e64 v9, v17, v10, s5
	v_cndmask_b32_e64 v13, v18, v14, s5
	;; [unrolled: 1-line block ×3, first 2 shown]
	v_cmp_eq_u32_e64 s3, 4, v70
	v_cndmask_b32_e32 v1, v1, v10, vcc_lo
	v_cndmask_b32_e32 v2, v2, v14, vcc_lo
	v_cmp_eq_u32_e32 vcc_lo, 4, v72
	v_lshrrev_b32_e32 v15, 16, v7
	v_lshrrev_b32_e32 v16, 16, v8
	v_cndmask_b32_e64 v17, v19, v10, s4
	v_cmp_eq_u32_e64 s2, 4, v71
	v_cndmask_b32_e64 v5, v5, v3, s3
	v_cndmask_b32_e64 v6, v6, v7, s3
	v_cndmask_b32_e32 v9, v9, v3, vcc_lo
	v_cmp_eq_u32_e64 s3, 5, v72
	v_cndmask_b32_e32 v10, v13, v7, vcc_lo
	v_cmp_eq_u32_e32 vcc_lo, 4, v69
	v_cmp_eq_u32_e64 s4, 5, v70
	v_cndmask_b32_e64 v2, v2, v7, s2
	v_cndmask_b32_e64 v9, v9, v11, s3
	;; [unrolled: 1-line block ×3, first 2 shown]
	v_cndmask_b32_e32 v13, v17, v3, vcc_lo
	v_cmp_eq_u32_e64 s3, 5, v69
	v_cndmask_b32_e32 v14, v18, v7, vcc_lo
	v_cndmask_b32_e64 v1, v1, v3, s2
	v_cmp_eq_u32_e32 vcc_lo, 5, v71
	v_lshrrev_b32_e32 v12, 16, v4
	v_cndmask_b32_e64 v13, v13, v11, s3
	v_cndmask_b32_e64 v3, v14, v15, s3
	v_cmp_eq_u32_e64 s3, 6, v71
	v_cndmask_b32_e32 v1, v1, v11, vcc_lo
	v_cndmask_b32_e64 v5, v5, v11, s4
	v_cmp_eq_u32_e64 s5, 6, v70
	v_cndmask_b32_e64 v6, v6, v15, s4
	v_cmp_eq_u32_e64 s4, 6, v72
	v_cmp_eq_u32_e64 s2, 6, v69
	v_cndmask_b32_e64 v1, v1, v4, s3
	v_cndmask_b32_e32 v2, v2, v15, vcc_lo
	v_cmp_eq_u32_e32 vcc_lo, 7, v71
	v_cndmask_b32_e64 v5, v5, v4, s5
	v_cndmask_b32_e64 v9, v9, v4, s4
	;; [unrolled: 1-line block ×3, first 2 shown]
	v_cmp_eq_u32_e64 s5, 7, v70
	v_cndmask_b32_e32 v1, v1, v12, vcc_lo
	v_cndmask_b32_e64 v7, v13, v4, s2
	v_cndmask_b32_e64 v3, v3, v8, s2
	;; [unrolled: 1-line block ×3, first 2 shown]
	v_cmp_eq_u32_e64 s2, 7, v69
	v_cndmask_b32_e64 v4, v10, v8, s4
	v_cndmask_b32_e64 v5, v5, v12, s5
	;; [unrolled: 1-line block ×3, first 2 shown]
	v_cndmask_b32_e32 v2, v2, v16, vcc_lo
	v_cndmask_b32_e64 v7, v7, v12, s2
	v_cndmask_b32_e64 v3, v3, v16, s2
	v_cndmask_b32_e64 v8, v4, v16, s6
	v_cndmask_b32_e64 v6, v6, v16, s5
	v_perm_b32 v4, v2, v1, 0x5040100
	s_mov_b32 s2, exec_lo
	v_perm_b32 v3, v3, v7, 0x5040100
	v_perm_b32 v2, v8, v9, 0x5040100
	;; [unrolled: 1-line block ×3, first 2 shown]
	ds_store_b128 v74, v[1:4]
	s_waitcnt lgkmcnt(0)
	s_barrier
	buffer_gl0_inv
	v_cmpx_gt_u32_e32 32, v0
	s_cbranch_execz .LBB1241_2
; %bb.15:
	s_load_b64 s[0:1], s[0:1], 0x68
	v_lshlrev_b32_e32 v0, 10, v0
	s_lshl_b32 s4, s34, 7
	v_or_b32_e32 v3, s31, v66
	s_mul_i32 s2, s4, s30
	v_lshlrev_b32_e32 v1, 4, v67
	s_mul_i32 s2, s2, s7
	v_lshlrev_b32_e32 v2, 6, v66
	v_and_b32_e32 v0, 0x3800, v0
	s_ashr_i32 s3, s2, 31
	v_mul_lo_u32 v4, v3, s4
	s_lshl_b64 s[2:3], s[2:3], 1
	s_delay_alu instid0(VALU_DEP_2) | instskip(NEXT) | instid1(VALU_DEP_2)
	v_or3_b32 v16, v0, v1, v2
	v_ashrrev_i32_e32 v5, 31, v4
	ds_load_b128 v[0:3], v16
	s_waitcnt lgkmcnt(0)
	s_add_u32 s2, s0, s2
	s_addc_u32 s3, s1, s3
	s_lshl_b32 s0, s14, 7
	v_lshlrev_b64 v[5:6], 1, v[4:5]
	s_ashr_i32 s1, s0, 31
	s_delay_alu instid0(SALU_CYCLE_1) | instskip(NEXT) | instid1(SALU_CYCLE_1)
	s_lshl_b64 s[0:1], s[0:1], 1
	s_add_u32 s0, s2, s0
	s_addc_u32 s1, s3, s1
	s_lshl_b32 s2, s34, 8
	v_add_co_u32 v30, s0, s0, v65
	v_add_nc_u32_e32 v8, s2, v4
	v_add_co_ci_u32_e64 v31, null, s1, 0, s0
	s_delay_alu instid0(VALU_DEP_3) | instskip(NEXT) | instid1(VALU_DEP_3)
	v_add_co_u32 v12, vcc_lo, v30, v5
	v_add_nc_u32_e32 v10, s2, v8
	v_ashrrev_i32_e32 v9, 31, v8
	s_delay_alu instid0(VALU_DEP_4)
	v_add_co_ci_u32_e32 v13, vcc_lo, v31, v6, vcc_lo
	ds_load_b128 v[4:7], v16 offset:128
	v_ashrrev_i32_e32 v11, 31, v10
	v_lshlrev_b64 v[8:9], 1, v[8:9]
	v_add_nc_u32_e32 v14, s2, v10
	global_store_b128 v[12:13], v[0:3], off
	v_lshlrev_b64 v[0:1], 1, v[10:11]
	v_ashrrev_i32_e32 v15, 31, v14
	v_add_co_u32 v22, vcc_lo, v30, v8
	v_add_nc_u32_e32 v20, s2, v14
	v_add_co_ci_u32_e32 v23, vcc_lo, v31, v9, vcc_lo
	v_add_co_u32 v26, vcc_lo, v30, v0
	v_lshlrev_b64 v[24:25], 1, v[14:15]
	v_add_co_ci_u32_e32 v27, vcc_lo, v31, v1, vcc_lo
	ds_load_b128 v[0:3], v16 offset:256
	ds_load_b128 v[8:11], v16 offset:384
	;; [unrolled: 1-line block ×4, first 2 shown]
	v_add_nc_u32_e32 v28, s2, v20
	v_ashrrev_i32_e32 v21, 31, v20
	v_add_co_u32 v24, vcc_lo, v30, v24
	v_add_co_ci_u32_e32 v25, vcc_lo, v31, v25, vcc_lo
	s_delay_alu instid0(VALU_DEP_4) | instskip(NEXT) | instid1(VALU_DEP_4)
	v_ashrrev_i32_e32 v29, 31, v28
	v_lshlrev_b64 v[20:21], 1, v[20:21]
	s_delay_alu instid0(VALU_DEP_2) | instskip(NEXT) | instid1(VALU_DEP_2)
	v_lshlrev_b64 v[28:29], 1, v[28:29]
	v_add_co_u32 v20, vcc_lo, v30, v20
	s_delay_alu instid0(VALU_DEP_3) | instskip(NEXT) | instid1(VALU_DEP_3)
	v_add_co_ci_u32_e32 v21, vcc_lo, v31, v21, vcc_lo
	v_add_co_u32 v28, vcc_lo, v30, v28
	s_delay_alu instid0(VALU_DEP_4)
	v_add_co_ci_u32_e32 v29, vcc_lo, v31, v29, vcc_lo
	s_waitcnt lgkmcnt(4)
	global_store_b128 v[22:23], v[4:7], off
	s_waitcnt lgkmcnt(3)
	global_store_b128 v[26:27], v[0:3], off
	;; [unrolled: 2-line block ×5, first 2 shown]
	s_nop 0
	s_sendmsg sendmsg(MSG_DEALLOC_VGPRS)
	s_endpgm
	.section	.rodata,"a",@progbits
	.p2align	6, 0x0
	.amdhsa_kernel _Z39paged_attention_ll4mi_QKV_mfma16_kernelIDF16_hLN4vllm18Fp8KVCacheDataTypeE1EhLi16ELi128ELi256ELb0ELi12EL8MFMAType0EEvPKT_PKT0_S8_ifPKiSA_SA_iPKfiiiPfSD_PS3_PT2_iSC_SC_
		.amdhsa_group_segment_fixed_size 17472
		.amdhsa_private_segment_fixed_size 0
		.amdhsa_kernarg_size 400
		.amdhsa_user_sgpr_count 13
		.amdhsa_user_sgpr_dispatch_ptr 0
		.amdhsa_user_sgpr_queue_ptr 0
		.amdhsa_user_sgpr_kernarg_segment_ptr 1
		.amdhsa_user_sgpr_dispatch_id 0
		.amdhsa_user_sgpr_private_segment_size 0
		.amdhsa_wavefront_size32 1
		.amdhsa_uses_dynamic_stack 0
		.amdhsa_enable_private_segment 0
		.amdhsa_system_sgpr_workgroup_id_x 1
		.amdhsa_system_sgpr_workgroup_id_y 1
		.amdhsa_system_sgpr_workgroup_id_z 1
		.amdhsa_system_sgpr_workgroup_info 0
		.amdhsa_system_vgpr_workitem_id 0
		.amdhsa_next_free_vgpr 150
		.amdhsa_next_free_sgpr 36
		.amdhsa_reserve_vcc 1
		.amdhsa_float_round_mode_32 0
		.amdhsa_float_round_mode_16_64 0
		.amdhsa_float_denorm_mode_32 3
		.amdhsa_float_denorm_mode_16_64 3
		.amdhsa_dx10_clamp 1
		.amdhsa_ieee_mode 1
		.amdhsa_fp16_overflow 0
		.amdhsa_workgroup_processor_mode 1
		.amdhsa_memory_ordered 1
		.amdhsa_forward_progress 0
		.amdhsa_shared_vgpr_count 0
		.amdhsa_exception_fp_ieee_invalid_op 0
		.amdhsa_exception_fp_denorm_src 0
		.amdhsa_exception_fp_ieee_div_zero 0
		.amdhsa_exception_fp_ieee_overflow 0
		.amdhsa_exception_fp_ieee_underflow 0
		.amdhsa_exception_fp_ieee_inexact 0
		.amdhsa_exception_int_div_zero 0
	.end_amdhsa_kernel
	.section	.text._Z39paged_attention_ll4mi_QKV_mfma16_kernelIDF16_hLN4vllm18Fp8KVCacheDataTypeE1EhLi16ELi128ELi256ELb0ELi12EL8MFMAType0EEvPKT_PKT0_S8_ifPKiSA_SA_iPKfiiiPfSD_PS3_PT2_iSC_SC_,"axG",@progbits,_Z39paged_attention_ll4mi_QKV_mfma16_kernelIDF16_hLN4vllm18Fp8KVCacheDataTypeE1EhLi16ELi128ELi256ELb0ELi12EL8MFMAType0EEvPKT_PKT0_S8_ifPKiSA_SA_iPKfiiiPfSD_PS3_PT2_iSC_SC_,comdat
.Lfunc_end1241:
	.size	_Z39paged_attention_ll4mi_QKV_mfma16_kernelIDF16_hLN4vllm18Fp8KVCacheDataTypeE1EhLi16ELi128ELi256ELb0ELi12EL8MFMAType0EEvPKT_PKT0_S8_ifPKiSA_SA_iPKfiiiPfSD_PS3_PT2_iSC_SC_, .Lfunc_end1241-_Z39paged_attention_ll4mi_QKV_mfma16_kernelIDF16_hLN4vllm18Fp8KVCacheDataTypeE1EhLi16ELi128ELi256ELb0ELi12EL8MFMAType0EEvPKT_PKT0_S8_ifPKiSA_SA_iPKfiiiPfSD_PS3_PT2_iSC_SC_
                                        ; -- End function
	.section	.AMDGPU.csdata,"",@progbits
; Kernel info:
; codeLenInByte = 6752
; NumSgprs: 38
; NumVgprs: 150
; ScratchSize: 0
; MemoryBound: 0
; FloatMode: 240
; IeeeMode: 1
; LDSByteSize: 17472 bytes/workgroup (compile time only)
; SGPRBlocks: 4
; VGPRBlocks: 18
; NumSGPRsForWavesPerEU: 38
; NumVGPRsForWavesPerEU: 150
; Occupancy: 9
; WaveLimiterHint : 1
; COMPUTE_PGM_RSRC2:SCRATCH_EN: 0
; COMPUTE_PGM_RSRC2:USER_SGPR: 13
; COMPUTE_PGM_RSRC2:TRAP_HANDLER: 0
; COMPUTE_PGM_RSRC2:TGID_X_EN: 1
; COMPUTE_PGM_RSRC2:TGID_Y_EN: 1
; COMPUTE_PGM_RSRC2:TGID_Z_EN: 1
; COMPUTE_PGM_RSRC2:TIDIG_COMP_CNT: 0
	.section	.text._Z39paged_attention_ll4mi_QKV_mfma16_kernelIDF16_hLN4vllm18Fp8KVCacheDataTypeE1EhLi16ELi128ELi256ELb0ELi13EL8MFMAType0EEvPKT_PKT0_S8_ifPKiSA_SA_iPKfiiiPfSD_PS3_PT2_iSC_SC_,"axG",@progbits,_Z39paged_attention_ll4mi_QKV_mfma16_kernelIDF16_hLN4vllm18Fp8KVCacheDataTypeE1EhLi16ELi128ELi256ELb0ELi13EL8MFMAType0EEvPKT_PKT0_S8_ifPKiSA_SA_iPKfiiiPfSD_PS3_PT2_iSC_SC_,comdat
	.protected	_Z39paged_attention_ll4mi_QKV_mfma16_kernelIDF16_hLN4vllm18Fp8KVCacheDataTypeE1EhLi16ELi128ELi256ELb0ELi13EL8MFMAType0EEvPKT_PKT0_S8_ifPKiSA_SA_iPKfiiiPfSD_PS3_PT2_iSC_SC_ ; -- Begin function _Z39paged_attention_ll4mi_QKV_mfma16_kernelIDF16_hLN4vllm18Fp8KVCacheDataTypeE1EhLi16ELi128ELi256ELb0ELi13EL8MFMAType0EEvPKT_PKT0_S8_ifPKiSA_SA_iPKfiiiPfSD_PS3_PT2_iSC_SC_
	.globl	_Z39paged_attention_ll4mi_QKV_mfma16_kernelIDF16_hLN4vllm18Fp8KVCacheDataTypeE1EhLi16ELi128ELi256ELb0ELi13EL8MFMAType0EEvPKT_PKT0_S8_ifPKiSA_SA_iPKfiiiPfSD_PS3_PT2_iSC_SC_
	.p2align	8
	.type	_Z39paged_attention_ll4mi_QKV_mfma16_kernelIDF16_hLN4vllm18Fp8KVCacheDataTypeE1EhLi16ELi128ELi256ELb0ELi13EL8MFMAType0EEvPKT_PKT0_S8_ifPKiSA_SA_iPKfiiiPfSD_PS3_PT2_iSC_SC_,@function
_Z39paged_attention_ll4mi_QKV_mfma16_kernelIDF16_hLN4vllm18Fp8KVCacheDataTypeE1EhLi16ELi128ELi256ELb0ELi13EL8MFMAType0EEvPKT_PKT0_S8_ifPKiSA_SA_iPKfiiiPfSD_PS3_PT2_iSC_SC_: ; @_Z39paged_attention_ll4mi_QKV_mfma16_kernelIDF16_hLN4vllm18Fp8KVCacheDataTypeE1EhLi16ELi128ELi256ELb0ELi13EL8MFMAType0EEvPKT_PKT0_S8_ifPKiSA_SA_iPKfiiiPfSD_PS3_PT2_iSC_SC_
; %bb.0:
	s_load_b64 s[4:5], s[0:1], 0x30
	s_mov_b32 s34, s13
	s_waitcnt lgkmcnt(0)
	s_cmp_lg_u64 s[4:5], 0
	s_cselect_b32 s8, -1, 0
	s_ashr_i32 s35, s13, 31
	s_cmp_eq_u64 s[4:5], 0
	s_cbranch_scc1 .LBB1242_3
; %bb.1:
	s_lshl_b64 s[2:3], s[34:35], 2
	s_delay_alu instid0(SALU_CYCLE_1) | instskip(SKIP_4) | instid1(SALU_CYCLE_1)
	s_add_u32 s2, s4, s2
	s_addc_u32 s3, s5, s3
	s_load_b64 s[2:3], s[2:3], 0x0
	s_waitcnt lgkmcnt(0)
	s_sub_i32 s2, s3, s2
	s_cmp_eq_u32 s2, 1
	s_cselect_b32 s2, -1, 0
	s_delay_alu instid0(SALU_CYCLE_1)
	s_and_not1_b32 vcc_lo, exec_lo, s2
	s_cbranch_vccz .LBB1242_4
.LBB1242_2:
	s_nop 0
	s_sendmsg sendmsg(MSG_DEALLOC_VGPRS)
	s_endpgm
.LBB1242_3:
.LBB1242_4:
	s_load_b64 s[2:3], s[0:1], 0x28
	s_lshl_b64 s[6:7], s[34:35], 2
	s_waitcnt lgkmcnt(0)
	s_add_u32 s2, s2, s6
	s_addc_u32 s3, s3, s7
	s_lshl_b32 s12, s14, 8
	s_load_b32 s24, s[2:3], 0x0
	s_waitcnt lgkmcnt(0)
	s_cmp_ge_i32 s12, s24
	s_cbranch_scc1 .LBB1242_2
; %bb.5:
	s_clause 0x1
	s_load_b128 s[20:23], s[0:1], 0x8
	s_load_b64 s[2:3], s[0:1], 0x20
	s_and_not1_b32 vcc_lo, exec_lo, s8
	s_cbranch_vccnz .LBB1242_7
; %bb.6:
	s_add_u32 s4, s4, s6
	s_addc_u32 s5, s5, s7
	s_load_b32 s5, s[4:5], 0x0
	s_branch .LBB1242_8
.LBB1242_7:
	s_mov_b32 s5, s34
.LBB1242_8:
	s_load_b128 s[16:19], s[0:1], 0x48
	v_and_b32_e32 v68, 15, v0
	v_lshrrev_b32_e32 v69, 5, v0
	v_bfe_u32 v66, v0, 4, 1
	v_and_b32_e32 v70, 31, v0
	v_and_b32_e32 v67, 1, v0
	v_lshlrev_b32_e32 v2, 3, v68
	s_mul_i32 s31, s15, 13
	v_lshl_or_b32 v1, v69, 1, v66
	s_mov_b32 s4, exec_lo
	s_delay_alu instid0(VALU_DEP_2) | instskip(NEXT) | instid1(VALU_DEP_2)
	v_lshlrev_b32_e32 v65, 1, v2
	v_cmpx_gt_u32_e32 13, v1
	s_cbranch_execz .LBB1242_10
; %bb.9:
	s_load_b64 s[6:7], s[0:1], 0x0
	v_add_lshl_u32 v2, v1, s31, 7
	s_waitcnt lgkmcnt(0)
	s_mul_hi_i32 s9, s5, s16
	s_mul_i32 s8, s5, s16
	v_lshlrev_b32_e32 v6, 10, v68
	s_lshl_b64 s[8:9], s[8:9], 1
	v_ashrrev_i32_e32 v3, 31, v2
	v_lshlrev_b32_e32 v1, 6, v1
	v_lshlrev_b32_e32 v7, 10, v67
	v_and_b32_e32 v6, 0x3800, v6
	s_delay_alu instid0(VALU_DEP_4) | instskip(NEXT) | instid1(VALU_DEP_2)
	v_lshlrev_b64 v[2:3], 1, v[2:3]
	v_or3_b32 v1, v6, v7, v1
	s_add_u32 s5, s6, s8
	s_addc_u32 s6, s7, s9
	s_delay_alu instid0(VALU_DEP_2) | instskip(NEXT) | instid1(VALU_DEP_3)
	v_add_co_u32 v2, vcc_lo, s5, v2
	v_add_co_ci_u32_e32 v3, vcc_lo, s6, v3, vcc_lo
	s_delay_alu instid0(VALU_DEP_2) | instskip(NEXT) | instid1(VALU_DEP_2)
	v_add_co_u32 v2, vcc_lo, v2, v65
	v_add_co_ci_u32_e32 v3, vcc_lo, 0, v3, vcc_lo
	global_load_b128 v[2:5], v[2:3], off
	s_waitcnt vmcnt(0)
	ds_store_b128 v1, v[2:5]
.LBB1242_10:
	s_or_b32 exec_lo, exec_lo, s4
	v_and_b32_e32 v1, 0xef, v0
	s_waitcnt lgkmcnt(0)
	s_add_i32 s5, s24, 15
	s_clause 0x1
	s_load_b32 s4, s[0:1], 0x38
	s_load_b32 s33, s[0:1], 0x98
	s_ashr_i32 s6, s5, 31
	v_add_nc_u32_e32 v1, s12, v1
	s_lshr_b32 s6, s6, 28
	s_load_b32 s19, s[0:1], 0x1c
	s_add_i32 s5, s5, s6
	s_waitcnt lgkmcnt(0)
	v_ashrrev_i32_e32 v2, 31, v1
	v_or_b32_e32 v3, 16, v1
	s_ashr_i32 s13, s5, 4
	v_cmp_gt_i32_e32 vcc_lo, s24, v1
	s_add_i32 s13, s13, -1
	v_lshrrev_b32_e32 v2, 28, v2
	s_barrier
	buffer_gl0_inv
	s_mul_i32 s15, s15, s18
	v_add_nc_u32_e32 v4, v1, v2
	s_mul_i32 s4, s34, s4
	s_delay_alu instid0(SALU_CYCLE_1) | instskip(NEXT) | instid1(VALU_DEP_1)
	s_ashr_i32 s5, s4, 31
	v_ashrrev_i32_e32 v4, 4, v4
	v_add_nc_u32_e32 v2, v3, v2
	s_lshl_b64 s[4:5], s[4:5], 2
	s_delay_alu instid0(SALU_CYCLE_1) | instskip(NEXT) | instid1(VALU_DEP_2)
	s_add_u32 s16, s2, s4
	v_cndmask_b32_e32 v1, s13, v4, vcc_lo
	s_delay_alu instid0(VALU_DEP_2)
	v_ashrrev_i32_e32 v2, 4, v2
	v_cmp_gt_i32_e32 vcc_lo, s24, v3
	s_addc_u32 s25, s3, s5
	s_ashr_i32 s18, s15, 31
	s_add_u32 s26, s20, s15
	s_addc_u32 s27, s21, s18
	v_cndmask_b32_e32 v3, s13, v2, vcc_lo
	v_ashrrev_i32_e32 v2, 31, v1
	s_lshl_b32 s2, s14, 4
	s_delay_alu instid0(SALU_CYCLE_1) | instskip(NEXT) | instid1(VALU_DEP_2)
	s_ashr_i32 s3, s2, 31
	v_ashrrev_i32_e32 v4, 31, v3
	s_delay_alu instid0(VALU_DEP_2) | instskip(SKIP_1) | instid1(SALU_CYCLE_1)
	v_lshlrev_b64 v[1:2], 2, v[1:2]
	s_lshl_b64 s[2:3], s[2:3], 2
	s_add_u32 s2, s16, s2
	s_delay_alu instid0(VALU_DEP_2) | instskip(SKIP_1) | instid1(VALU_DEP_2)
	v_lshlrev_b64 v[3:4], 2, v[3:4]
	s_addc_u32 s3, s25, s3
	v_add_co_u32 v1, vcc_lo, s16, v1
	v_add_co_ci_u32_e32 v2, vcc_lo, s25, v2, vcc_lo
	s_delay_alu instid0(VALU_DEP_3) | instskip(NEXT) | instid1(VALU_DEP_4)
	v_add_co_u32 v3, vcc_lo, s16, v3
	v_add_co_ci_u32_e32 v4, vcc_lo, s25, v4, vcc_lo
	s_clause 0x1
	global_load_b32 v5, v[1:2], off
	global_load_b32 v7, v[3:4], off
	s_or_b32 s4, s12, 32
	v_lshlrev_b32_e32 v1, 4, v0
	s_ashr_i32 s5, s4, 4
	s_cmp_lt_i32 s4, s24
	v_cmp_gt_u32_e32 vcc_lo, 13, v68
	s_cselect_b32 s4, s5, s13
	v_and_b32_e32 v1, 0xf0, v1
	s_ashr_i32 s5, s4, 31
	s_delay_alu instid0(SALU_CYCLE_1) | instskip(NEXT) | instid1(SALU_CYCLE_1)
	s_lshl_b64 s[4:5], s[4:5], 2
	s_add_u32 s4, s16, s4
	s_addc_u32 s5, s25, s5
	s_or_b32 s6, s12, 64
	v_add_co_u32 v1, s26, s26, v1
	s_ashr_i32 s7, s6, 4
	s_cmp_lt_i32 s6, s24
	v_add_co_ci_u32_e64 v2, null, s27, 0, s26
	s_cselect_b32 s6, s7, s13
	s_delay_alu instid0(SALU_CYCLE_1) | instskip(NEXT) | instid1(SALU_CYCLE_1)
	s_ashr_i32 s7, s6, 31
	s_lshl_b64 s[6:7], s[6:7], 2
	s_delay_alu instid0(SALU_CYCLE_1) | instskip(SKIP_2) | instid1(SALU_CYCLE_1)
	s_add_u32 s6, s16, s6
	s_addc_u32 s7, s25, s7
	s_or_b32 s8, s12, 0x60
	s_ashr_i32 s9, s8, 4
	s_cmp_lt_i32 s8, s24
	s_cselect_b32 s8, s9, s13
	s_delay_alu instid0(SALU_CYCLE_1) | instskip(NEXT) | instid1(SALU_CYCLE_1)
	s_ashr_i32 s9, s8, 31
	s_lshl_b64 s[8:9], s[8:9], 2
	s_delay_alu instid0(SALU_CYCLE_1) | instskip(SKIP_2) | instid1(SALU_CYCLE_1)
	s_add_u32 s8, s16, s8
	s_addc_u32 s9, s25, s9
	s_or_b32 s10, s12, 0x80
	s_ashr_i32 s11, s10, 4
	s_cmp_lt_i32 s10, s24
	;; [unrolled: 10-line block ×3, first 2 shown]
	s_cselect_b32 s20, s21, s13
	s_delay_alu instid0(SALU_CYCLE_1) | instskip(NEXT) | instid1(SALU_CYCLE_1)
	s_ashr_i32 s21, s20, 31
	s_lshl_b64 s[20:21], s[20:21], 2
	s_delay_alu instid0(SALU_CYCLE_1)
	s_add_u32 s20, s16, s20
	s_addc_u32 s21, s25, s21
	s_clause 0x5
	s_load_b32 s26, s[2:3], 0x0
	s_load_b32 s27, s[4:5], 0x0
	;; [unrolled: 1-line block ×6, first 2 shown]
	s_or_b32 s2, s12, 0xc0
	s_mov_b32 s4, 0
	s_ashr_i32 s3, s2, 4
	s_cmp_lt_i32 s2, s24
	s_mov_b32 s11, s4
	s_cselect_b32 s2, s3, s13
	s_mov_b32 s5, s4
	s_ashr_i32 s3, s2, 31
	s_mov_b32 s6, s4
	s_lshl_b64 s[2:3], s[2:3], 2
	s_mov_b32 s7, s4
	s_add_u32 s2, s16, s2
	s_addc_u32 s3, s25, s3
	s_or_b32 s20, s12, 0xe0
	s_mov_b32 s8, s4
	s_ashr_i32 s21, s20, 4
	s_cmp_lt_i32 s20, s24
	s_mov_b32 s9, s4
	s_cselect_b32 s20, s21, s13
	s_mov_b32 s10, s4
	s_ashr_i32 s21, s20, 31
	v_mov_b32_e32 v118, s11
	v_dual_mov_b32 v112, s5 :: v_dual_mov_b32 v117, s10
	v_dual_mov_b32 v116, s9 :: v_dual_mov_b32 v115, s8
	;; [unrolled: 1-line block ×3, first 2 shown]
	v_mov_b32_e32 v111, s4
	s_lshl_b64 s[4:5], s[20:21], 2
	s_delay_alu instid0(SALU_CYCLE_1)
	s_add_u32 s4, s16, s4
	s_addc_u32 s5, s25, s5
	s_add_u32 s6, s22, s15
	s_addc_u32 s7, s23, s18
	s_waitcnt vmcnt(1)
	v_mad_i64_i32 v[3:4], null, v5, s17, v[1:2]
	s_waitcnt vmcnt(0)
	v_mad_i64_i32 v[5:6], null, v7, s17, v[1:2]
	v_add_nc_u32_e32 v1, -13, v68
	v_lshlrev_b32_e32 v2, 4, v68
	s_clause 0xf
	global_load_b128 v[17:20], v[3:4], off
	global_load_b128 v[21:24], v[3:4], off offset:256
	global_load_b128 v[25:28], v[5:6], off
	global_load_b128 v[29:32], v[5:6], off offset:256
	global_load_b128 v[57:60], v[3:4], off offset:512
	;; [unrolled: 1-line block ×13, first 2 shown]
	v_cndmask_b32_e32 v1, v1, v68, vcc_lo
	s_delay_alu instid0(VALU_DEP_1)
	v_lshlrev_b32_e32 v149, 6, v1
	v_lshl_or_b32 v1, v69, 8, v2
	ds_load_b128 v[119:122], v149
	ds_load_b128 v[123:126], v149 offset:1024
	ds_load_b128 v[127:130], v149 offset:2048
	;; [unrolled: 1-line block ×3, first 2 shown]
	s_clause 0x1
	s_load_b32 s2, s[2:3], 0x0
	s_load_b32 s3, s[4:5], 0x0
	v_add_co_u32 v135, s6, s6, v1
	s_delay_alu instid0(VALU_DEP_1) | instskip(SKIP_1) | instid1(VALU_DEP_1)
	v_add_co_ci_u32_e64 v136, null, s7, 0, s6
	s_waitcnt lgkmcnt(0)
	v_mad_i64_i32 v[1:2], null, s26, s17, v[135:136]
	v_mad_i64_i32 v[3:4], null, s27, s17, v[135:136]
	;; [unrolled: 1-line block ×6, first 2 shown]
	s_clause 0x9
	global_load_b128 v[49:52], v[1:2], off
	global_load_b128 v[53:56], v[1:2], off offset:16
	global_load_b128 v[41:44], v[3:4], off
	global_load_b128 v[45:48], v[3:4], off offset:16
	;; [unrolled: 2-line block ×5, first 2 shown]
	v_mad_i64_i32 v[145:146], null, s2, s17, v[135:136]
	v_mad_i64_i32 v[147:148], null, s3, s17, v[135:136]
	s_waitcnt vmcnt(24)
	v_wmma_f32_16x16x16_f16 v[135:142], v[17:24], v[119:126], v[111:118]
	s_waitcnt vmcnt(22)
	v_wmma_f32_16x16x16_f16 v[111:118], v[25:32], v[119:126], v[111:118]
	s_clause 0x3
	global_load_b128 v[17:20], v[143:144], off
	global_load_b128 v[21:24], v[143:144], off offset:16
	global_load_b128 v[25:28], v[145:146], off
	global_load_b128 v[29:32], v[145:146], off offset:16
	v_and_b32_e32 v119, 0xe0, v0
	s_waitcnt vmcnt(24)
	v_wmma_f32_16x16x16_f16 v[135:142], v[57:64], v[127:134], v[135:142]
	s_clause 0x1
	global_load_b128 v[57:60], v[147:148], off
	global_load_b128 v[61:64], v[147:148], off offset:16
	s_waitcnt vmcnt(24)
	v_wmma_f32_16x16x16_f16 v[111:118], v[71:78], v[127:134], v[111:118]
	ds_load_b128 v[71:74], v149 offset:4096
	ds_load_b128 v[75:78], v149 offset:5120
	v_add_nc_u32_e32 v128, s12, v119
	ds_load_b128 v[119:122], v149 offset:6144
	ds_load_b128 v[123:126], v149 offset:7168
	v_mbcnt_lo_u32_b32 v127, -1, 0
	s_waitcnt vmcnt(0) lgkmcnt(0)
	s_barrier
	v_or_b32_e32 v128, v128, v66
	buffer_gl0_inv
	v_xor_b32_e32 v129, 16, v127
	v_or_b32_e32 v130, 4, v128
	v_or_b32_e32 v131, 6, v128
	s_delay_alu instid0(VALU_DEP_3) | instskip(SKIP_4) | instid1(VALU_DEP_4)
	v_cmp_gt_i32_e32 vcc_lo, 32, v129
	v_or_b32_e32 v132, 8, v128
	v_or_b32_e32 v133, 10, v128
	v_cmp_gt_i32_e64 s3, s24, v130
	v_cmp_gt_i32_e64 s4, s24, v131
	;; [unrolled: 1-line block ×3, first 2 shown]
	v_wmma_f32_16x16x16_f16 v[135:142], v[79:86], v[71:78], v[135:142]
	v_wmma_f32_16x16x16_f16 v[111:118], v[87:94], v[71:78], v[111:118]
	v_or_b32_e32 v79, 12, v128
	v_or_b32_e32 v80, 14, v128
	v_cmp_gt_i32_e64 s6, s24, v133
	v_wmma_f32_16x16x16_f16 v[135:142], v[95:102], v[119:126], v[135:142]
	v_wmma_f32_16x16x16_f16 v[111:118], v[103:110], v[119:126], v[111:118]
	v_cndmask_b32_e32 v127, v127, v129, vcc_lo
	v_or_b32_e32 v129, 2, v128
	v_cmp_gt_i32_e32 vcc_lo, s24, v128
	v_mul_f32_e32 v88, s19, v135
	v_dual_mul_f32 v92, s19, v115 :: v_dual_mul_f32 v87, s19, v136
	s_delay_alu instid0(VALU_DEP_4)
	v_cmp_gt_i32_e64 s2, s24, v129
	v_mul_f32_e32 v78, s19, v138
	v_mul_f32_e32 v86, s19, v137
	v_cndmask_b32_e32 v88, 0xff7fffff, v88, vcc_lo
	v_mul_f32_e32 v76, s19, v140
	v_cndmask_b32_e64 v87, 0xff7fffff, v87, s2
	v_dual_mul_f32 v77, s19, v139 :: v_dual_mul_f32 v94, s19, v113
	v_cndmask_b32_e64 v86, 0xff7fffff, v86, s3
	v_cndmask_b32_e64 v78, 0xff7fffff, v78, s4
	s_delay_alu instid0(VALU_DEP_4)
	v_max3_f32 v87, v88, 0xff7fffff, v87
	v_or_b32_e32 v81, 16, v128
	v_or_b32_e32 v82, 18, v128
	v_dual_mul_f32 v74, s19, v142 :: v_dual_mul_f32 v75, s19, v141
	v_mul_f32_e32 v96, s19, v111
	v_cndmask_b32_e64 v77, 0xff7fffff, v77, s5
	v_cndmask_b32_e64 v76, 0xff7fffff, v76, s6
	v_max3_f32 v78, v87, v86, v78
	v_cmp_gt_i32_e64 s7, s24, v79
	v_cmp_gt_i32_e64 s8, s24, v80
	v_or_b32_e32 v83, 20, v128
	v_or_b32_e32 v84, 22, v128
	v_mul_f32_e32 v95, s19, v112
	v_cndmask_b32_e64 v75, 0xff7fffff, v75, s7
	v_cndmask_b32_e64 v74, 0xff7fffff, v74, s8
	v_max3_f32 v76, v78, v77, v76
	v_cmp_gt_i32_e64 s9, s24, v81
	v_cmp_gt_i32_e64 s10, s24, v82
	v_or_b32_e32 v85, 24, v128
	v_or_b32_e32 v71, 26, v128
	;; [unrolled: 8-line block ×3, first 2 shown]
	v_mul_f32_e32 v91, s19, v116
	v_cndmask_b32_e64 v75, 0xff7fffff, v94, s11
	v_cndmask_b32_e64 v76, 0xff7fffff, v93, s12
	v_max3_f32 v74, v74, v77, v78
	v_cmp_gt_i32_e64 s13, s24, v85
	v_cmp_gt_i32_e64 s15, s24, v71
	v_dual_mul_f32 v89, s19, v118 :: v_dual_mul_f32 v90, s19, v117
	s_delay_alu instid0(VALU_DEP_4) | instskip(NEXT) | instid1(VALU_DEP_4)
	v_max3_f32 v74, v74, v75, v76
	v_cndmask_b32_e64 v77, 0xff7fffff, v92, s13
	s_delay_alu instid0(VALU_DEP_4) | instskip(SKIP_2) | instid1(VALU_DEP_3)
	v_cndmask_b32_e64 v71, 0xff7fffff, v91, s15
	v_cmp_gt_i32_e64 s16, s24, v72
	v_cmp_gt_i32_e64 s17, s24, v73
	v_max3_f32 v71, v74, v77, v71
	s_delay_alu instid0(VALU_DEP_3) | instskip(NEXT) | instid1(VALU_DEP_3)
	v_cndmask_b32_e64 v72, 0xff7fffff, v90, s16
	v_cndmask_b32_e64 v73, 0xff7fffff, v89, s17
	v_lshlrev_b32_e32 v74, 2, v127
	s_delay_alu instid0(VALU_DEP_2) | instskip(SKIP_3) | instid1(VALU_DEP_1)
	v_max3_f32 v71, v71, v72, v73
	ds_bpermute_b32 v72, v74, v71
	s_waitcnt lgkmcnt(0)
	v_max_f32_e32 v72, v72, v72
	v_max_f32_e32 v71, v71, v72
	s_delay_alu instid0(VALU_DEP_1) | instskip(SKIP_4) | instid1(VALU_DEP_4)
	v_fma_f32 v72, s19, v135, -v71
	v_fma_f32 v73, s19, v136, -v71
	;; [unrolled: 1-line block ×5, first 2 shown]
	v_dual_mul_f32 v72, 0x3fb8aa3b, v72 :: v_dual_mul_f32 v73, 0x3fb8aa3b, v73
	v_fma_f32 v80, s19, v141, -v71
	s_delay_alu instid0(VALU_DEP_3) | instskip(NEXT) | instid1(VALU_DEP_3)
	v_dual_mul_f32 v76, 0x3fb8aa3b, v76 :: v_dual_mul_f32 v77, 0x3fb8aa3b, v77
	v_exp_f32_e32 v72, v72
	s_delay_alu instid0(VALU_DEP_3) | instskip(NEXT) | instid1(VALU_DEP_2)
	v_exp_f32_e32 v73, v73
	v_mul_f32_e32 v82, 0x3fb8aa3b, v80
	s_delay_alu instid0(VALU_DEP_2) | instskip(SKIP_1) | instid1(VALU_DEP_1)
	v_exp_f32_e32 v76, v76
	v_exp_f32_e32 v77, v77
	;; [unrolled: 1-line block ×3, first 2 shown]
	v_cndmask_b32_e32 v79, 0, v72, vcc_lo
	v_fma_f32 v72, s19, v140, -v71
	v_mul_f32_e32 v75, 0x3fb8aa3b, v75
	v_cndmask_b32_e64 v78, 0, v73, s2
	s_delay_alu instid0(TRANS32_DEP_3) | instskip(NEXT) | instid1(VALU_DEP_4)
	v_cndmask_b32_e64 v80, 0, v76, s4
	v_dual_add_f32 v73, 0, v79 :: v_dual_mul_f32 v72, 0x3fb8aa3b, v72
	s_delay_alu instid0(VALU_DEP_4) | instskip(NEXT) | instid1(TRANS32_DEP_3)
	v_exp_f32_e32 v75, v75
	v_cndmask_b32_e64 v83, 0, v77, s5
	s_delay_alu instid0(TRANS32_DEP_2) | instskip(NEXT) | instid1(VALU_DEP_3)
	v_cndmask_b32_e64 v85, 0, v84, s7
	v_add_f32_e32 v73, v73, v78
	v_exp_f32_e32 v72, v72
	v_cmp_gt_u32_e64 s2, 16, v70
	s_waitcnt_depctr 0xfff
	v_cndmask_b32_e64 v81, 0, v75, s3
	v_cndmask_b32_e64 v82, 0, v72, s6
	s_delay_alu instid0(VALU_DEP_2) | instskip(NEXT) | instid1(VALU_DEP_1)
	v_add_f32_e32 v73, v73, v81
	v_add_f32_e32 v73, v73, v80
	s_delay_alu instid0(VALU_DEP_1) | instskip(NEXT) | instid1(VALU_DEP_1)
	v_add_f32_e32 v72, v73, v83
	v_add_f32_e32 v72, v72, v82
	s_delay_alu instid0(VALU_DEP_1)
	v_add_f32_e32 v72, v72, v85
	v_fma_f32 v76, s19, v111, -v71
	v_fma_f32 v75, s19, v142, -v71
	;; [unrolled: 1-line block ×5, first 2 shown]
	v_mul_f32_e32 v76, 0x3fb8aa3b, v76
	s_delay_alu instid0(VALU_DEP_4) | instskip(NEXT) | instid1(VALU_DEP_2)
	v_mul_f32_e32 v86, 0x3fb8aa3b, v86
	v_exp_f32_e32 v76, v76
	s_delay_alu instid0(VALU_DEP_1)
	v_exp_f32_e32 v88, v86
	s_waitcnt_depctr 0xfff
	v_cndmask_b32_e64 v87, 0, v76, s9
	v_fma_f32 v76, s19, v116, -v71
	v_mul_f32_e32 v75, 0x3fb8aa3b, v75
	v_cndmask_b32_e64 v88, 0, v88, s12
	s_delay_alu instid0(VALU_DEP_3) | instskip(NEXT) | instid1(VALU_DEP_3)
	v_dual_mul_f32 v73, 0x3fb8aa3b, v73 :: v_dual_mul_f32 v76, 0x3fb8aa3b, v76
	v_exp_f32_e32 v75, v75
	s_delay_alu instid0(VALU_DEP_1) | instskip(NEXT) | instid1(VALU_DEP_1)
	v_exp_f32_e32 v73, v73
	v_exp_f32_e32 v76, v76
	s_delay_alu instid0(TRANS32_DEP_3)
	v_cndmask_b32_e64 v84, 0, v75, s8
	v_fma_f32 v75, s19, v115, -v71
	s_waitcnt_depctr 0xfff
	v_cndmask_b32_e64 v89, 0, v73, s11
	v_cndmask_b32_e64 v90, 0, v76, s15
	v_add_f32_e32 v72, v72, v84
	s_delay_alu instid0(VALU_DEP_1) | instskip(NEXT) | instid1(VALU_DEP_1)
	v_dual_add_f32 v72, v72, v87 :: v_dual_mul_f32 v77, 0x3fb8aa3b, v77
	v_exp_f32_e32 v77, v77
	s_waitcnt_depctr 0xfff
	v_cndmask_b32_e64 v86, 0, v77, s10
	v_fma_f32 v77, s19, v117, -v71
	s_delay_alu instid0(VALU_DEP_2) | instskip(NEXT) | instid1(VALU_DEP_1)
	v_dual_add_f32 v72, v72, v86 :: v_dual_mul_f32 v75, 0x3fb8aa3b, v75
	v_add_f32_e32 v72, v72, v89
	s_delay_alu instid0(VALU_DEP_2) | instskip(NEXT) | instid1(VALU_DEP_1)
	v_exp_f32_e32 v75, v75
	v_add_f32_e32 v72, v72, v88
	s_waitcnt_depctr 0xfff
	v_cndmask_b32_e64 v91, 0, v75, s13
	v_mul_f32_e32 v73, 0x3fb8aa3b, v77
	v_fma_f32 v77, s19, v118, -v71
	s_delay_alu instid0(VALU_DEP_3) | instskip(NEXT) | instid1(VALU_DEP_3)
	v_add_f32_e32 v72, v72, v91
	v_exp_f32_e32 v73, v73
	s_delay_alu instid0(VALU_DEP_1) | instskip(NEXT) | instid1(VALU_DEP_1)
	v_dual_mul_f32 v75, 0x3fb8aa3b, v77 :: v_dual_add_f32 v72, v72, v90
	v_exp_f32_e32 v75, v75
	s_waitcnt_depctr 0xfff
	v_cndmask_b32_e64 v93, 0, v73, s16
	s_delay_alu instid0(VALU_DEP_1) | instskip(SKIP_1) | instid1(VALU_DEP_1)
	v_add_f32_e32 v72, v72, v93
	v_cndmask_b32_e64 v92, 0, v75, s17
	v_add_f32_e32 v72, v72, v92
	ds_bpermute_b32 v73, v74, v72
	s_and_saveexec_b32 s3, s2
	s_cbranch_execz .LBB1242_12
; %bb.11:
	v_mul_u32_u24_e32 v70, 0x44, v69
	s_waitcnt lgkmcnt(0)
	v_add_f32_e32 v72, v72, v73
	s_delay_alu instid0(VALU_DEP_2) | instskip(NEXT) | instid1(VALU_DEP_1)
	v_lshl_add_u32 v70, v68, 2, v70
	v_add_nc_u32_e32 v70, 0x4000, v70
	ds_store_2addr_b32 v70, v71, v72 offset1:136
.LBB1242_12:
	s_or_b32 exec_lo, exec_lo, s3
	v_lshlrev_b32_e32 v70, 2, v68
	s_load_b32 s35, s[0:1], 0x94
	s_waitcnt lgkmcnt(0)
	s_barrier
	buffer_gl0_inv
	v_add_nc_u32_e32 v98, 0x4000, v70
	v_cmp_eq_u32_e32 vcc_lo, 1, v69
	v_cmp_eq_u32_e64 s3, 2, v69
	v_cmp_eq_u32_e64 s4, 3, v69
	;; [unrolled: 1-line block ×3, first 2 shown]
	ds_load_2addr_b32 v[70:71], v98 offset1:17
	ds_load_2addr_b32 v[72:73], v98 offset0:34 offset1:51
	ds_load_2addr_b32 v[74:75], v98 offset0:68 offset1:85
	;; [unrolled: 1-line block ×3, first 2 shown]
	v_cmp_eq_u32_e64 s6, 5, v69
	v_cmp_eq_u32_e64 s7, 7, v69
	s_waitcnt lgkmcnt(3)
	v_max3_f32 v76, v70, 0xff7fffff, v71
	s_waitcnt lgkmcnt(2)
	s_delay_alu instid0(VALU_DEP_1) | instskip(SKIP_1) | instid1(VALU_DEP_1)
	v_max3_f32 v76, v76, v72, v73
	s_waitcnt lgkmcnt(1)
	v_max3_f32 v76, v76, v74, v75
	s_waitcnt lgkmcnt(0)
	s_delay_alu instid0(VALU_DEP_1) | instskip(NEXT) | instid1(VALU_DEP_1)
	v_max3_f32 v76, v76, v94, v95
	v_sub_f32_e32 v77, v71, v76
	ds_load_2addr_b32 v[96:97], v98 offset0:136 offset1:153
	v_sub_f32_e32 v74, v74, v76
	v_sub_f32_e32 v70, v70, v76
	;; [unrolled: 1-line block ×3, first 2 shown]
	v_dual_sub_f32 v72, v72, v76 :: v_dual_mul_f32 v77, 0x3fb8aa3b, v77
	s_delay_alu instid0(VALU_DEP_4) | instskip(NEXT) | instid1(VALU_DEP_4)
	v_mul_f32_e32 v103, 0x3fb8aa3b, v74
	v_mul_f32_e32 v99, 0x3fb8aa3b, v70
	ds_load_2addr_b32 v[70:71], v98 offset0:170 offset1:187
	v_dual_mul_f32 v101, 0x3fb8aa3b, v72 :: v_dual_mul_f32 v94, 0x3fb8aa3b, v94
	v_exp_f32_e32 v102, v77
	v_exp_f32_e32 v99, v99
	s_delay_alu instid0(VALU_DEP_1) | instskip(NEXT) | instid1(VALU_DEP_1)
	v_exp_f32_e32 v101, v101
	v_exp_f32_e32 v94, v94
	s_waitcnt lgkmcnt(1)
	s_delay_alu instid0(TRANS32_DEP_3)
	v_fma_f32 v77, v99, v96, 0
	v_sub_f32_e32 v100, v73, v76
	ds_load_2addr_b32 v[72:73], v98 offset0:204 offset1:221
	v_fmac_f32_e32 v77, v102, v97
	v_exp_f32_e32 v97, v103
	s_waitcnt lgkmcnt(1)
	s_delay_alu instid0(VALU_DEP_1)
	v_dual_fmac_f32 v77, v101, v70 :: v_dual_sub_f32 v96, v75, v76
	ds_load_2addr_b32 v[74:75], v98 offset0:238 offset1:255
	v_sub_f32_e32 v70, v95, v76
	s_waitcnt lgkmcnt(0)
	s_barrier
	v_mul_f32_e32 v96, 0x3fb8aa3b, v96
	buffer_gl0_inv
	v_exp_f32_e32 v95, v96
	v_mul_f32_e32 v100, 0x3fb8aa3b, v100
	s_delay_alu instid0(VALU_DEP_1) | instskip(SKIP_3) | instid1(VALU_DEP_2)
	v_exp_f32_e32 v100, v100
	s_waitcnt_depctr 0xfff
	v_dual_fmac_f32 v77, v100, v71 :: v_dual_mul_f32 v70, 0x3fb8aa3b, v70
	v_cndmask_b32_e32 v71, v99, v102, vcc_lo
	v_fmac_f32_e32 v77, v97, v72
	s_delay_alu instid0(VALU_DEP_3) | instskip(NEXT) | instid1(VALU_DEP_1)
	v_exp_f32_e32 v96, v70
	v_fmac_f32_e32 v77, v95, v73
	s_delay_alu instid0(VALU_DEP_1) | instskip(SKIP_2) | instid1(VALU_DEP_1)
	v_fmac_f32_e32 v77, v94, v74
	s_waitcnt_depctr 0xfff
	v_fmac_f32_e32 v77, v96, v75
	v_add_f32_e32 v74, 0x358637bd, v77
	s_delay_alu instid0(VALU_DEP_1) | instskip(SKIP_1) | instid1(VALU_DEP_2)
	v_div_scale_f32 v98, null, v74, v74, 1.0
	v_div_scale_f32 v99, vcc_lo, 1.0, v74, 1.0
	v_rcp_f32_e32 v103, v98
	s_waitcnt_depctr 0xfff
	v_fma_f32 v70, -v98, v103, 1.0
	s_delay_alu instid0(VALU_DEP_1) | instskip(SKIP_2) | instid1(VALU_DEP_2)
	v_fmac_f32_e32 v103, v70, v103
	v_cndmask_b32_e64 v70, v71, v101, s3
	v_cmp_eq_u32_e64 s3, 6, v69
	v_cndmask_b32_e64 v71, v70, v100, s4
	s_delay_alu instid0(VALU_DEP_4) | instskip(NEXT) | instid1(VALU_DEP_2)
	v_dual_mul_f32 v101, v99, v103 :: v_dual_lshlrev_b32 v70, 2, v66
	v_cndmask_b32_e64 v71, v71, v97, s5
	s_delay_alu instid0(VALU_DEP_2) | instskip(NEXT) | instid1(VALU_DEP_3)
	v_or_b32_e32 v72, 1, v70
	v_fma_f32 v100, -v98, v101, v99
	v_cmp_eq_u32_e64 s4, 1, v70
	v_cmp_eq_u32_e64 s5, 2, v70
	v_cndmask_b32_e64 v95, v71, v95, s6
	v_or_b32_e32 v71, 3, v70
	v_fmac_f32_e32 v101, v100, v103
	v_cmp_eq_u32_e64 s9, 1, v72
	v_cmp_eq_u32_e64 s12, 2, v72
	v_cndmask_b32_e64 v94, v95, v94, s3
	v_cmp_eq_u32_e64 s11, 1, v71
	v_fma_f32 v97, -v98, v101, v99
	v_cmp_eq_u32_e64 s16, 2, v71
	v_cmp_eq_u32_e64 s13, 3, v72
	v_cndmask_b32_e64 v94, v94, v96, s7
	v_cmp_eq_u32_e64 s18, 3, v71
	v_div_fmas_f32 v95, v97, v103, v101
	v_cmp_eq_u32_e32 vcc_lo, 3, v70
	v_cmp_eq_u32_e64 s3, 4, v70
	v_cmp_eq_u32_e64 s19, 4, v72
	;; [unrolled: 1-line block ×3, first 2 shown]
	v_div_fixup_f32 v95, v95, v74, 1.0
	v_lshlrev_b32_e32 v73, 6, v68
	v_cmp_eq_u32_e64 s6, 5, v70
	v_cmp_eq_u32_e64 s20, 5, v72
	;; [unrolled: 1-line block ×3, first 2 shown]
	v_mul_f32_e32 v102, v94, v95
	v_lshl_or_b32 v75, v69, 11, v73
	v_or_b32_e32 v69, 2, v70
	v_cmp_eq_u32_e64 s25, 6, v72
	v_cmp_eq_u32_e64 s27, 6, v71
	v_fma_mixlo_f16 v94, v102, v79, 0
	v_fma_mixlo_f16 v95, v102, v81, 0
	;; [unrolled: 1-line block ×8, first 2 shown]
	v_lshl_or_b32 v74, v66, 4, v75
	v_fma_mixhi_f16 v94, v102, v78, 0
	v_fma_mixhi_f16 v95, v102, v80, 0
	;; [unrolled: 1-line block ×8, first 2 shown]
	ds_store_b128 v74, v[94:97]
	ds_store_b128 v74, v[98:101] offset:1024
	s_waitcnt lgkmcnt(0)
	s_barrier
	buffer_gl0_inv
	ds_load_b128 v[78:81], v75
	ds_load_b128 v[82:85], v75 offset:16
	ds_load_b128 v[86:89], v75 offset:1024
	;; [unrolled: 1-line block ×3, first 2 shown]
	v_cmp_eq_u32_e64 s10, 1, v69
	v_cmp_eq_u32_e64 s15, 2, v69
	;; [unrolled: 1-line block ×11, first 2 shown]
	s_waitcnt lgkmcnt(3)
	v_lshrrev_b32_e32 v94, 16, v78
	s_waitcnt lgkmcnt(2)
	v_lshrrev_b32_e32 v98, 16, v82
	;; [unrolled: 2-line block ×4, first 2 shown]
	v_lshrrev_b32_e32 v95, 16, v79
	v_cndmask_b32_e64 v110, v78, v94, s4
	v_cndmask_b32_e64 v111, v82, v98, s4
	;; [unrolled: 1-line block ×8, first 2 shown]
	v_lshrrev_b32_e32 v99, 16, v83
	v_cndmask_b32_e64 v94, v86, v102, s4
	v_cndmask_b32_e64 v98, v90, v106, s4
	;; [unrolled: 1-line block ×15, first 2 shown]
	v_lshrrev_b32_e32 v103, 16, v87
	v_lshrrev_b32_e32 v107, 16, v91
	v_cndmask_b32_e64 v113, v115, v83, s15
	v_cndmask_b32_e64 v82, v94, v87, s5
	;; [unrolled: 1-line block ×7, first 2 shown]
	v_cndmask_b32_e32 v90, v102, v95, vcc_lo
	v_cndmask_b32_e32 v102, v106, v99, vcc_lo
	v_cndmask_b32_e64 v106, v110, v95, s13
	v_cndmask_b32_e64 v110, v111, v99, s13
	;; [unrolled: 1-line block ×4, first 2 shown]
	v_lshrrev_b32_e32 v96, 16, v80
	v_lshrrev_b32_e32 v100, 16, v84
	v_cndmask_b32_e64 v111, v112, v95, s17
	v_cndmask_b32_e64 v112, v113, v99, s17
	v_cndmask_b32_e32 v82, v82, v103, vcc_lo
	v_cndmask_b32_e32 v83, v83, v107, vcc_lo
	v_cndmask_b32_e64 v94, v94, v103, s13
	v_cndmask_b32_e64 v90, v90, v80, s3
	;; [unrolled: 1-line block ×7, first 2 shown]
	v_lshrrev_b32_e32 v104, 16, v88
	v_cndmask_b32_e64 v106, v111, v80, s21
	v_cndmask_b32_e64 v110, v112, v84, s21
	;; [unrolled: 1-line block ×11, first 2 shown]
	v_lshrrev_b32_e32 v97, 16, v81
	v_lshrrev_b32_e32 v101, 16, v85
	v_cndmask_b32_e64 v99, v106, v96, s23
	v_cndmask_b32_e64 v102, v110, v100, s23
	v_cndmask_b32_e64 v83, v83, v104, s20
	v_cndmask_b32_e64 v94, v94, v81, s25
	v_cndmask_b32_e64 v95, v95, v85, s25
	v_cndmask_b32_e64 v78, v78, v81, s27
	v_cndmask_b32_e64 v79, v79, v85, s27
	v_lshrrev_b32_e32 v105, 16, v89
	v_cndmask_b32_e64 v80, v80, v104, s6
	v_cndmask_b32_e64 v84, v84, v81, s7
	;; [unrolled: 1-line block ×16, first 2 shown]
	v_perm_b32 v81, v79, v78, 0x5040100
	v_perm_b32 v79, v95, v85, 0x5040100
	v_cndmask_b32_e64 v78, v119, v91, s15
	v_cndmask_b32_e64 v85, v117, v91, s12
	;; [unrolled: 1-line block ×3, first 2 shown]
	v_perm_b32 v80, v94, v90, 0x5040100
	v_cndmask_b32_e64 v90, v98, v103, s17
	v_cndmask_b32_e64 v86, v86, v103, s18
	;; [unrolled: 1-line block ×5, first 2 shown]
	v_lshrrev_b32_e32 v108, 16, v92
	v_cndmask_b32_e64 v90, v90, v88, s21
	v_cndmask_b32_e64 v86, v86, v88, s22
	;; [unrolled: 1-line block ×11, first 2 shown]
	v_lshrrev_b32_e32 v109, 16, v93
	v_cndmask_b32_e64 v82, v82, v93, s7
	v_cndmask_b32_e64 v88, v88, v89, s26
	;; [unrolled: 1-line block ×12, first 2 shown]
	v_perm_b32 v78, v84, v83, 0x5040100
	v_perm_b32 v85, v87, v86, 0x5040100
	;; [unrolled: 1-line block ×5, first 2 shown]
	s_mul_i32 s8, s33, 13
	s_mov_b32 s3, exec_lo
	ds_store_b128 v74, v[78:81]
	ds_store_b128 v74, v[82:85] offset:1024
	v_cmpx_gt_u32_e32 13, v0
	s_cbranch_execz .LBB1242_14
; %bb.13:
	s_mul_i32 s4, s8, s34
	s_delay_alu instid0(SALU_CYCLE_1) | instskip(SKIP_1) | instid1(VALU_DEP_1)
	v_add3_u32 v68, s4, s31, v68
	s_load_b128 s[4:7], s[0:1], 0x58
	v_mad_u64_u32 v[78:79], null, v68, s35, s[14:15]
	s_delay_alu instid0(VALU_DEP_1) | instskip(NEXT) | instid1(VALU_DEP_1)
	v_ashrrev_i32_e32 v79, 31, v78
	v_lshlrev_b64 v[78:79], 2, v[78:79]
	s_waitcnt lgkmcnt(0)
	s_delay_alu instid0(VALU_DEP_1) | instskip(NEXT) | instid1(VALU_DEP_2)
	v_add_co_u32 v80, vcc_lo, s6, v78
	v_add_co_ci_u32_e32 v81, vcc_lo, s7, v79, vcc_lo
	v_add_co_u32 v78, vcc_lo, s4, v78
	v_add_co_ci_u32_e32 v79, vcc_lo, s5, v79, vcc_lo
	global_store_b32 v[80:81], v76, off
	global_store_b32 v[78:79], v77, off
.LBB1242_14:
	s_or_b32 exec_lo, exec_lo, s3
	s_waitcnt lgkmcnt(0)
	s_waitcnt_vscnt null, 0x0
	s_barrier
	buffer_gl0_inv
	ds_load_b128 v[84:87], v73
	ds_load_b128 v[88:91], v73 offset:16
	ds_load_b128 v[96:99], v73 offset:2064
	;; [unrolled: 1-line block ×5, first 2 shown]
	v_cmp_eq_u32_e32 vcc_lo, 1, v70
	v_mov_b32_e32 v76, 0
	ds_load_b128 v[112:115], v73 offset:6160
	ds_load_b128 v[108:111], v73 offset:6144
	;; [unrolled: 1-line block ×4, first 2 shown]
	v_cmp_eq_u32_e64 s4, 1, v69
	v_cmp_eq_u32_e64 s3, 1, v72
	;; [unrolled: 1-line block ×3, first 2 shown]
	v_mov_b32_e32 v77, v76
	v_mov_b32_e32 v78, v76
	;; [unrolled: 1-line block ×7, first 2 shown]
	v_cmp_eq_u32_e64 s6, 3, v72
	v_cmp_eq_u32_e64 s7, 7, v72
	s_waitcnt lgkmcnt(8)
	s_delay_alu instid0(VALU_DEP_3)
	v_wmma_f32_16x16x16_f16 v[76:83], v[49:56], v[84:91], v[76:83]
	ds_load_b128 v[53:56], v73 offset:10256
	ds_load_b128 v[49:52], v73 offset:10240
	s_waitcnt lgkmcnt(8)
	v_wmma_f32_16x16x16_f16 v[76:83], v[41:48], v[92:99], v[76:83]
	ds_load_b128 v[45:48], v73 offset:12304
	ds_load_b128 v[41:44], v73 offset:12288
	s_waitcnt lgkmcnt(8)
	;; [unrolled: 4-line block ×3, first 2 shown]
	s_barrier
	buffer_gl0_inv
	v_wmma_f32_16x16x16_f16 v[76:83], v[1:8], v[108:115], v[76:83]
	s_delay_alu instid0(VALU_DEP_1) | instskip(NEXT) | instid1(VALU_DEP_1)
	v_wmma_f32_16x16x16_f16 v[76:83], v[9:16], v[116:123], v[76:83]
	v_wmma_f32_16x16x16_f16 v[76:83], v[17:24], v[49:56], v[76:83]
	s_delay_alu instid0(VALU_DEP_1) | instskip(NEXT) | instid1(VALU_DEP_1)
	v_wmma_f32_16x16x16_f16 v[76:83], v[25:32], v[41:48], v[76:83]
	v_wmma_f32_16x16x16_f16 v[76:83], v[57:64], v[33:40], v[76:83]
	s_delay_alu instid0(VALU_DEP_1) | instskip(NEXT) | instid1(VALU_DEP_2)
	v_cvt_f16_f32_e32 v1, v76
	v_cvt_f16_f32_e32 v2, v77
	s_delay_alu instid0(VALU_DEP_3) | instskip(NEXT) | instid1(VALU_DEP_4)
	v_cvt_f16_f32_e32 v3, v78
	v_cvt_f16_f32_e32 v4, v79
	v_cvt_f16_f32_e32 v5, v80
	v_cvt_f16_f32_e32 v6, v81
	v_cvt_f16_f32_e32 v7, v82
	v_cvt_f16_f32_e32 v8, v83
	v_pack_b32_f16 v1, v1, v2
	v_pack_b32_f16 v2, v3, v4
	;; [unrolled: 1-line block ×3, first 2 shown]
	s_delay_alu instid0(VALU_DEP_4)
	v_pack_b32_f16 v4, v7, v8
	ds_store_b128 v74, v[1:4]
	s_waitcnt lgkmcnt(0)
	s_barrier
	buffer_gl0_inv
	ds_load_b128 v[1:4], v75
	ds_load_b128 v[5:8], v75 offset:16
	s_waitcnt lgkmcnt(1)
	v_lshrrev_b32_e32 v9, 16, v1
	s_waitcnt lgkmcnt(0)
	v_lshrrev_b32_e32 v13, 16, v5
	v_lshrrev_b32_e32 v10, 16, v2
	;; [unrolled: 1-line block ×4, first 2 shown]
	v_cndmask_b32_e32 v17, v1, v9, vcc_lo
	v_cndmask_b32_e32 v18, v5, v13, vcc_lo
	v_cndmask_b32_e64 v21, v1, v9, s4
	v_cmp_eq_u32_e32 vcc_lo, 1, v71
	v_cndmask_b32_e64 v22, v5, v13, s4
	v_cmp_eq_u32_e64 s4, 2, v70
	v_cndmask_b32_e64 v19, v1, v9, s3
	v_cndmask_b32_e64 v20, v5, v13, s3
	v_cndmask_b32_e32 v1, v1, v9, vcc_lo
	v_cmp_eq_u32_e64 s3, 2, v71
	v_cndmask_b32_e32 v5, v5, v13, vcc_lo
	v_cndmask_b32_e64 v9, v17, v2, s4
	v_cmp_eq_u32_e32 vcc_lo, 3, v70
	v_cndmask_b32_e64 v13, v18, v6, s4
	v_cmp_eq_u32_e64 s4, 2, v69
	v_cndmask_b32_e64 v17, v19, v2, s5
	v_cndmask_b32_e64 v18, v20, v6, s5
	v_cmp_eq_u32_e64 s5, 3, v69
	v_cndmask_b32_e64 v1, v1, v2, s3
	v_cndmask_b32_e64 v19, v21, v2, s4
	;; [unrolled: 1-line block ×4, first 2 shown]
	v_cndmask_b32_e32 v5, v9, v10, vcc_lo
	v_cndmask_b32_e32 v6, v13, v14, vcc_lo
	v_cmp_eq_u32_e32 vcc_lo, 3, v71
	v_cndmask_b32_e64 v9, v17, v10, s6
	v_cndmask_b32_e64 v13, v18, v14, s6
	;; [unrolled: 1-line block ×3, first 2 shown]
	v_cmp_eq_u32_e64 s4, 4, v70
	v_cndmask_b32_e32 v1, v1, v10, vcc_lo
	v_cndmask_b32_e32 v2, v2, v14, vcc_lo
	v_cmp_eq_u32_e32 vcc_lo, 4, v72
	v_lshrrev_b32_e32 v15, 16, v7
	v_lshrrev_b32_e32 v16, 16, v8
	v_cndmask_b32_e64 v17, v19, v10, s5
	v_cmp_eq_u32_e64 s3, 4, v71
	v_cndmask_b32_e64 v5, v5, v3, s4
	v_cndmask_b32_e64 v6, v6, v7, s4
	v_cndmask_b32_e32 v9, v9, v3, vcc_lo
	v_cmp_eq_u32_e64 s4, 5, v72
	v_cndmask_b32_e32 v10, v13, v7, vcc_lo
	v_cmp_eq_u32_e32 vcc_lo, 4, v69
	v_cmp_eq_u32_e64 s5, 5, v70
	v_cndmask_b32_e64 v2, v2, v7, s3
	v_cndmask_b32_e64 v9, v9, v11, s4
	v_cndmask_b32_e64 v10, v10, v15, s4
	v_cndmask_b32_e32 v13, v17, v3, vcc_lo
	v_cmp_eq_u32_e64 s4, 5, v69
	v_cndmask_b32_e32 v14, v18, v7, vcc_lo
	v_cndmask_b32_e64 v1, v1, v3, s3
	v_cmp_eq_u32_e32 vcc_lo, 5, v71
	v_lshrrev_b32_e32 v12, 16, v4
	v_cndmask_b32_e64 v13, v13, v11, s4
	v_cndmask_b32_e64 v3, v14, v15, s4
	v_cmp_eq_u32_e64 s4, 6, v71
	v_cndmask_b32_e32 v1, v1, v11, vcc_lo
	v_cndmask_b32_e64 v5, v5, v11, s5
	v_cmp_eq_u32_e64 s6, 6, v70
	v_cndmask_b32_e64 v6, v6, v15, s5
	v_cmp_eq_u32_e64 s5, 6, v72
	v_cmp_eq_u32_e64 s3, 6, v69
	v_cndmask_b32_e64 v1, v1, v4, s4
	v_cndmask_b32_e32 v2, v2, v15, vcc_lo
	v_cmp_eq_u32_e32 vcc_lo, 7, v71
	v_cndmask_b32_e64 v5, v5, v4, s6
	v_cndmask_b32_e64 v9, v9, v4, s5
	;; [unrolled: 1-line block ×3, first 2 shown]
	v_cmp_eq_u32_e64 s6, 7, v70
	v_cndmask_b32_e32 v1, v1, v12, vcc_lo
	v_cndmask_b32_e64 v7, v13, v4, s3
	v_cndmask_b32_e64 v3, v3, v8, s3
	;; [unrolled: 1-line block ×3, first 2 shown]
	v_cmp_eq_u32_e64 s3, 7, v69
	v_cndmask_b32_e64 v4, v10, v8, s5
	v_cndmask_b32_e64 v5, v5, v12, s6
	;; [unrolled: 1-line block ×3, first 2 shown]
	v_cndmask_b32_e32 v2, v2, v16, vcc_lo
	v_cndmask_b32_e64 v7, v7, v12, s3
	v_cndmask_b32_e64 v3, v3, v16, s3
	;; [unrolled: 1-line block ×4, first 2 shown]
	v_perm_b32 v4, v2, v1, 0x5040100
	s_mov_b32 s3, exec_lo
	v_perm_b32 v3, v3, v7, 0x5040100
	v_perm_b32 v2, v8, v9, 0x5040100
	;; [unrolled: 1-line block ×3, first 2 shown]
	ds_store_b128 v74, v[1:4]
	s_waitcnt lgkmcnt(0)
	s_barrier
	buffer_gl0_inv
	v_cmpx_gt_u32_e32 32, v0
	s_cbranch_execz .LBB1242_2
; %bb.15:
	s_load_b64 s[4:5], s[0:1], 0x68
	v_lshlrev_b32_e32 v0, 10, v0
	v_lshlrev_b32_e32 v1, 4, v67
	s_lshl_b32 s0, s35, 7
	v_add_nc_u32_e32 v18, s31, v66
	s_mul_i32 s1, s0, s34
	s_delay_alu instid0(VALU_DEP_2) | instskip(SKIP_1) | instid1(VALU_DEP_2)
	v_and_or_b32 v0, 0x3800, v0, v1
	s_mul_i32 s6, s1, s8
	v_mul_lo_u32 v1, v18, s0
	s_ashr_i32 s7, s6, 31
	v_add_nc_u32_e32 v2, 2, v18
	v_lshl_or_b32 v19, v66, 6, v0
	s_lshl_b64 s[6:7], s[6:7], 1
	v_add_nc_u32_e32 v8, 4, v18
	v_add_nc_u32_e32 v15, 6, v18
	v_mul_lo_u32 v7, v2, s0
	ds_load_b128 v[3:6], v19
	v_ashrrev_i32_e32 v2, 31, v1
	v_mul_lo_u32 v11, v8, s0
	s_waitcnt lgkmcnt(0)
	s_add_u32 s1, s4, s6
	s_addc_u32 s3, s5, s7
	s_lshl_b32 s4, s14, 7
	v_lshlrev_b64 v[9:10], 1, v[1:2]
	s_ashr_i32 s5, s4, 31
	v_ashrrev_i32_e32 v8, 31, v7
	s_lshl_b64 s[4:5], s[4:5], 1
	v_ashrrev_i32_e32 v12, 31, v11
	s_add_u32 s1, s1, s4
	s_addc_u32 s3, s3, s5
	v_add_co_u32 v1, s1, s1, v65
	s_delay_alu instid0(VALU_DEP_1) | instskip(SKIP_1) | instid1(VALU_DEP_3)
	v_add_co_ci_u32_e64 v2, null, s3, 0, s1
	v_mul_lo_u32 v15, v15, s0
	v_add_co_u32 v13, vcc_lo, v1, v9
	s_delay_alu instid0(VALU_DEP_3)
	v_add_co_ci_u32_e32 v14, vcc_lo, v2, v10, vcc_lo
	v_lshlrev_b64 v[16:17], 1, v[7:8]
	ds_load_b128 v[7:10], v19 offset:128
	global_store_b128 v[13:14], v[3:6], off
	v_add_nc_u32_e32 v5, 8, v18
	v_lshlrev_b64 v[3:4], 1, v[11:12]
	v_add_co_u32 v23, vcc_lo, v1, v16
	v_ashrrev_i32_e32 v16, 31, v15
	s_delay_alu instid0(VALU_DEP_4) | instskip(SKIP_3) | instid1(VALU_DEP_3)
	v_mul_lo_u32 v25, v5, s0
	v_add_nc_u32_e32 v5, 10, v18
	v_add_co_ci_u32_e32 v24, vcc_lo, v2, v17, vcc_lo
	v_add_co_u32 v27, vcc_lo, v1, v3
	v_mul_lo_u32 v29, v5, s0
	v_add_co_ci_u32_e32 v28, vcc_lo, v2, v4, vcc_lo
	v_lshlrev_b64 v[31:32], 1, v[15:16]
	ds_load_b128 v[3:6], v19 offset:256
	ds_load_b128 v[11:14], v19 offset:384
	;; [unrolled: 1-line block ×4, first 2 shown]
	v_ashrrev_i32_e32 v26, 31, v25
	v_ashrrev_i32_e32 v30, 31, v29
	v_add_co_u32 v31, vcc_lo, v1, v31
	s_delay_alu instid0(VALU_DEP_3) | instskip(SKIP_1) | instid1(VALU_DEP_4)
	v_lshlrev_b64 v[25:26], 1, v[25:26]
	v_add_co_ci_u32_e32 v32, vcc_lo, v2, v32, vcc_lo
	v_lshlrev_b64 v[29:30], 1, v[29:30]
	s_delay_alu instid0(VALU_DEP_3) | instskip(NEXT) | instid1(VALU_DEP_4)
	v_add_co_u32 v25, vcc_lo, v1, v25
	v_add_co_ci_u32_e32 v26, vcc_lo, v2, v26, vcc_lo
	s_delay_alu instid0(VALU_DEP_3) | instskip(NEXT) | instid1(VALU_DEP_4)
	v_add_co_u32 v29, vcc_lo, v1, v29
	v_add_co_ci_u32_e32 v30, vcc_lo, v2, v30, vcc_lo
	s_waitcnt lgkmcnt(4)
	global_store_b128 v[23:24], v[7:10], off
	s_waitcnt lgkmcnt(3)
	global_store_b128 v[27:28], v[3:6], off
	;; [unrolled: 2-line block ×5, first 2 shown]
	s_and_b32 exec_lo, exec_lo, s2
	s_cbranch_execz .LBB1242_2
; %bb.16:
	ds_load_b128 v[3:6], v0 offset:768
	s_add_i32 s1, s31, 12
	s_delay_alu instid0(SALU_CYCLE_1) | instskip(NEXT) | instid1(SALU_CYCLE_1)
	s_mul_i32 s0, s1, s0
	s_ashr_i32 s1, s0, 31
	s_delay_alu instid0(SALU_CYCLE_1) | instskip(NEXT) | instid1(SALU_CYCLE_1)
	s_lshl_b64 s[0:1], s[0:1], 1
	v_add_co_u32 v0, vcc_lo, v1, s0
	v_add_co_ci_u32_e32 v1, vcc_lo, s1, v2, vcc_lo
	s_waitcnt lgkmcnt(0)
	global_store_b128 v[0:1], v[3:6], off
	s_nop 0
	s_sendmsg sendmsg(MSG_DEALLOC_VGPRS)
	s_endpgm
	.section	.rodata,"a",@progbits
	.p2align	6, 0x0
	.amdhsa_kernel _Z39paged_attention_ll4mi_QKV_mfma16_kernelIDF16_hLN4vllm18Fp8KVCacheDataTypeE1EhLi16ELi128ELi256ELb0ELi13EL8MFMAType0EEvPKT_PKT0_S8_ifPKiSA_SA_iPKfiiiPfSD_PS3_PT2_iSC_SC_
		.amdhsa_group_segment_fixed_size 17472
		.amdhsa_private_segment_fixed_size 0
		.amdhsa_kernarg_size 400
		.amdhsa_user_sgpr_count 13
		.amdhsa_user_sgpr_dispatch_ptr 0
		.amdhsa_user_sgpr_queue_ptr 0
		.amdhsa_user_sgpr_kernarg_segment_ptr 1
		.amdhsa_user_sgpr_dispatch_id 0
		.amdhsa_user_sgpr_private_segment_size 0
		.amdhsa_wavefront_size32 1
		.amdhsa_uses_dynamic_stack 0
		.amdhsa_enable_private_segment 0
		.amdhsa_system_sgpr_workgroup_id_x 1
		.amdhsa_system_sgpr_workgroup_id_y 1
		.amdhsa_system_sgpr_workgroup_id_z 1
		.amdhsa_system_sgpr_workgroup_info 0
		.amdhsa_system_vgpr_workitem_id 0
		.amdhsa_next_free_vgpr 150
		.amdhsa_next_free_sgpr 36
		.amdhsa_reserve_vcc 1
		.amdhsa_float_round_mode_32 0
		.amdhsa_float_round_mode_16_64 0
		.amdhsa_float_denorm_mode_32 3
		.amdhsa_float_denorm_mode_16_64 3
		.amdhsa_dx10_clamp 1
		.amdhsa_ieee_mode 1
		.amdhsa_fp16_overflow 0
		.amdhsa_workgroup_processor_mode 1
		.amdhsa_memory_ordered 1
		.amdhsa_forward_progress 0
		.amdhsa_shared_vgpr_count 0
		.amdhsa_exception_fp_ieee_invalid_op 0
		.amdhsa_exception_fp_denorm_src 0
		.amdhsa_exception_fp_ieee_div_zero 0
		.amdhsa_exception_fp_ieee_overflow 0
		.amdhsa_exception_fp_ieee_underflow 0
		.amdhsa_exception_fp_ieee_inexact 0
		.amdhsa_exception_int_div_zero 0
	.end_amdhsa_kernel
	.section	.text._Z39paged_attention_ll4mi_QKV_mfma16_kernelIDF16_hLN4vllm18Fp8KVCacheDataTypeE1EhLi16ELi128ELi256ELb0ELi13EL8MFMAType0EEvPKT_PKT0_S8_ifPKiSA_SA_iPKfiiiPfSD_PS3_PT2_iSC_SC_,"axG",@progbits,_Z39paged_attention_ll4mi_QKV_mfma16_kernelIDF16_hLN4vllm18Fp8KVCacheDataTypeE1EhLi16ELi128ELi256ELb0ELi13EL8MFMAType0EEvPKT_PKT0_S8_ifPKiSA_SA_iPKfiiiPfSD_PS3_PT2_iSC_SC_,comdat
.Lfunc_end1242:
	.size	_Z39paged_attention_ll4mi_QKV_mfma16_kernelIDF16_hLN4vllm18Fp8KVCacheDataTypeE1EhLi16ELi128ELi256ELb0ELi13EL8MFMAType0EEvPKT_PKT0_S8_ifPKiSA_SA_iPKfiiiPfSD_PS3_PT2_iSC_SC_, .Lfunc_end1242-_Z39paged_attention_ll4mi_QKV_mfma16_kernelIDF16_hLN4vllm18Fp8KVCacheDataTypeE1EhLi16ELi128ELi256ELb0ELi13EL8MFMAType0EEvPKT_PKT0_S8_ifPKiSA_SA_iPKfiiiPfSD_PS3_PT2_iSC_SC_
                                        ; -- End function
	.section	.AMDGPU.csdata,"",@progbits
; Kernel info:
; codeLenInByte = 6852
; NumSgprs: 38
; NumVgprs: 150
; ScratchSize: 0
; MemoryBound: 0
; FloatMode: 240
; IeeeMode: 1
; LDSByteSize: 17472 bytes/workgroup (compile time only)
; SGPRBlocks: 4
; VGPRBlocks: 18
; NumSGPRsForWavesPerEU: 38
; NumVGPRsForWavesPerEU: 150
; Occupancy: 9
; WaveLimiterHint : 1
; COMPUTE_PGM_RSRC2:SCRATCH_EN: 0
; COMPUTE_PGM_RSRC2:USER_SGPR: 13
; COMPUTE_PGM_RSRC2:TRAP_HANDLER: 0
; COMPUTE_PGM_RSRC2:TGID_X_EN: 1
; COMPUTE_PGM_RSRC2:TGID_Y_EN: 1
; COMPUTE_PGM_RSRC2:TGID_Z_EN: 1
; COMPUTE_PGM_RSRC2:TIDIG_COMP_CNT: 0
	.section	.text._Z39paged_attention_ll4mi_QKV_mfma16_kernelIDF16_hLN4vllm18Fp8KVCacheDataTypeE1EhLi16ELi128ELi256ELb0ELi14EL8MFMAType0EEvPKT_PKT0_S8_ifPKiSA_SA_iPKfiiiPfSD_PS3_PT2_iSC_SC_,"axG",@progbits,_Z39paged_attention_ll4mi_QKV_mfma16_kernelIDF16_hLN4vllm18Fp8KVCacheDataTypeE1EhLi16ELi128ELi256ELb0ELi14EL8MFMAType0EEvPKT_PKT0_S8_ifPKiSA_SA_iPKfiiiPfSD_PS3_PT2_iSC_SC_,comdat
	.protected	_Z39paged_attention_ll4mi_QKV_mfma16_kernelIDF16_hLN4vllm18Fp8KVCacheDataTypeE1EhLi16ELi128ELi256ELb0ELi14EL8MFMAType0EEvPKT_PKT0_S8_ifPKiSA_SA_iPKfiiiPfSD_PS3_PT2_iSC_SC_ ; -- Begin function _Z39paged_attention_ll4mi_QKV_mfma16_kernelIDF16_hLN4vllm18Fp8KVCacheDataTypeE1EhLi16ELi128ELi256ELb0ELi14EL8MFMAType0EEvPKT_PKT0_S8_ifPKiSA_SA_iPKfiiiPfSD_PS3_PT2_iSC_SC_
	.globl	_Z39paged_attention_ll4mi_QKV_mfma16_kernelIDF16_hLN4vllm18Fp8KVCacheDataTypeE1EhLi16ELi128ELi256ELb0ELi14EL8MFMAType0EEvPKT_PKT0_S8_ifPKiSA_SA_iPKfiiiPfSD_PS3_PT2_iSC_SC_
	.p2align	8
	.type	_Z39paged_attention_ll4mi_QKV_mfma16_kernelIDF16_hLN4vllm18Fp8KVCacheDataTypeE1EhLi16ELi128ELi256ELb0ELi14EL8MFMAType0EEvPKT_PKT0_S8_ifPKiSA_SA_iPKfiiiPfSD_PS3_PT2_iSC_SC_,@function
_Z39paged_attention_ll4mi_QKV_mfma16_kernelIDF16_hLN4vllm18Fp8KVCacheDataTypeE1EhLi16ELi128ELi256ELb0ELi14EL8MFMAType0EEvPKT_PKT0_S8_ifPKiSA_SA_iPKfiiiPfSD_PS3_PT2_iSC_SC_: ; @_Z39paged_attention_ll4mi_QKV_mfma16_kernelIDF16_hLN4vllm18Fp8KVCacheDataTypeE1EhLi16ELi128ELi256ELb0ELi14EL8MFMAType0EEvPKT_PKT0_S8_ifPKiSA_SA_iPKfiiiPfSD_PS3_PT2_iSC_SC_
; %bb.0:
	s_load_b64 s[4:5], s[0:1], 0x30
	s_mov_b32 s30, s13
	s_waitcnt lgkmcnt(0)
	s_cmp_lg_u64 s[4:5], 0
	s_cselect_b32 s8, -1, 0
	s_ashr_i32 s31, s13, 31
	s_cmp_eq_u64 s[4:5], 0
	s_cbranch_scc1 .LBB1243_3
; %bb.1:
	s_lshl_b64 s[2:3], s[30:31], 2
	s_delay_alu instid0(SALU_CYCLE_1) | instskip(SKIP_4) | instid1(SALU_CYCLE_1)
	s_add_u32 s2, s4, s2
	s_addc_u32 s3, s5, s3
	s_load_b64 s[2:3], s[2:3], 0x0
	s_waitcnt lgkmcnt(0)
	s_sub_i32 s2, s3, s2
	s_cmp_eq_u32 s2, 1
	s_cselect_b32 s2, -1, 0
	s_delay_alu instid0(SALU_CYCLE_1)
	s_and_not1_b32 vcc_lo, exec_lo, s2
	s_cbranch_vccz .LBB1243_4
.LBB1243_2:
	s_endpgm
.LBB1243_3:
.LBB1243_4:
	s_load_b64 s[2:3], s[0:1], 0x28
	s_lshl_b64 s[6:7], s[30:31], 2
	s_waitcnt lgkmcnt(0)
	s_add_u32 s2, s2, s6
	s_addc_u32 s3, s3, s7
	s_lshl_b32 s12, s14, 8
	s_load_b32 s24, s[2:3], 0x0
	s_waitcnt lgkmcnt(0)
	s_cmp_ge_i32 s12, s24
	s_cbranch_scc1 .LBB1243_2
; %bb.5:
	s_clause 0x1
	s_load_b128 s[20:23], s[0:1], 0x8
	s_load_b64 s[2:3], s[0:1], 0x20
	s_and_not1_b32 vcc_lo, exec_lo, s8
	s_cbranch_vccnz .LBB1243_7
; %bb.6:
	s_add_u32 s4, s4, s6
	s_addc_u32 s5, s5, s7
	s_load_b32 s5, s[4:5], 0x0
	s_branch .LBB1243_8
.LBB1243_7:
	s_mov_b32 s5, s30
.LBB1243_8:
	s_load_b128 s[16:19], s[0:1], 0x48
	v_and_b32_e32 v68, 15, v0
	v_lshrrev_b32_e32 v69, 5, v0
	v_and_b32_e32 v70, 31, v0
	v_and_b32_e32 v67, 1, v0
	v_bfe_u32 v66, v0, 4, 1
	v_lshlrev_b32_e32 v1, 3, v68
	s_mul_i32 s31, s15, 14
	s_mov_b32 s4, exec_lo
	s_delay_alu instid0(VALU_DEP_1)
	v_lshlrev_b32_e32 v65, 1, v1
	v_cmpx_gt_u32_e32 0xe0, v0
	s_cbranch_execz .LBB1243_10
; %bb.9:
	s_load_b64 s[6:7], s[0:1], 0x0
	v_lshl_or_b32 v5, v69, 1, v66
	s_waitcnt lgkmcnt(0)
	s_mul_hi_i32 s9, s5, s16
	s_mul_i32 s8, s5, s16
	v_lshlrev_b32_e32 v6, 10, v68
	s_lshl_b64 s[8:9], s[8:9], 1
	v_add_lshl_u32 v1, v5, s31, 7
	v_lshlrev_b32_e32 v5, 6, v5
	v_lshlrev_b32_e32 v7, 10, v67
	v_and_b32_e32 v6, 0x3800, v6
	s_delay_alu instid0(VALU_DEP_4) | instskip(NEXT) | instid1(VALU_DEP_2)
	v_ashrrev_i32_e32 v2, 31, v1
	v_or3_b32 v5, v6, v7, v5
	s_delay_alu instid0(VALU_DEP_2) | instskip(SKIP_2) | instid1(VALU_DEP_1)
	v_lshlrev_b64 v[1:2], 1, v[1:2]
	s_add_u32 s5, s6, s8
	s_addc_u32 s6, s7, s9
	v_add_co_u32 v1, vcc_lo, s5, v1
	s_delay_alu instid0(VALU_DEP_2) | instskip(NEXT) | instid1(VALU_DEP_2)
	v_add_co_ci_u32_e32 v2, vcc_lo, s6, v2, vcc_lo
	v_add_co_u32 v1, vcc_lo, v1, v65
	s_delay_alu instid0(VALU_DEP_2)
	v_add_co_ci_u32_e32 v2, vcc_lo, 0, v2, vcc_lo
	global_load_b128 v[1:4], v[1:2], off
	s_waitcnt vmcnt(0)
	ds_store_b128 v5, v[1:4]
.LBB1243_10:
	s_or_b32 exec_lo, exec_lo, s4
	v_and_b32_e32 v1, 0xef, v0
	s_waitcnt lgkmcnt(0)
	s_add_i32 s5, s24, 15
	s_clause 0x1
	s_load_b32 s4, s[0:1], 0x38
	s_load_b32 s33, s[0:1], 0x98
	s_ashr_i32 s6, s5, 31
	v_add_nc_u32_e32 v1, s12, v1
	s_lshr_b32 s6, s6, 28
	s_load_b32 s19, s[0:1], 0x1c
	s_add_i32 s5, s5, s6
	s_waitcnt lgkmcnt(0)
	v_ashrrev_i32_e32 v2, 31, v1
	v_or_b32_e32 v3, 16, v1
	s_ashr_i32 s13, s5, 4
	v_cmp_gt_i32_e32 vcc_lo, s24, v1
	s_add_i32 s13, s13, -1
	v_lshrrev_b32_e32 v2, 28, v2
	s_barrier
	buffer_gl0_inv
	s_mul_i32 s15, s15, s18
	v_add_nc_u32_e32 v4, v1, v2
	s_mul_i32 s4, s30, s4
	s_delay_alu instid0(SALU_CYCLE_1) | instskip(NEXT) | instid1(VALU_DEP_1)
	s_ashr_i32 s5, s4, 31
	v_ashrrev_i32_e32 v4, 4, v4
	v_add_nc_u32_e32 v2, v3, v2
	s_lshl_b64 s[4:5], s[4:5], 2
	s_delay_alu instid0(SALU_CYCLE_1) | instskip(NEXT) | instid1(VALU_DEP_2)
	s_add_u32 s16, s2, s4
	v_cndmask_b32_e32 v1, s13, v4, vcc_lo
	s_delay_alu instid0(VALU_DEP_2)
	v_ashrrev_i32_e32 v2, 4, v2
	v_cmp_gt_i32_e32 vcc_lo, s24, v3
	s_addc_u32 s25, s3, s5
	s_ashr_i32 s18, s15, 31
	s_add_u32 s26, s20, s15
	s_addc_u32 s27, s21, s18
	v_cndmask_b32_e32 v3, s13, v2, vcc_lo
	v_ashrrev_i32_e32 v2, 31, v1
	s_lshl_b32 s2, s14, 4
	s_delay_alu instid0(SALU_CYCLE_1) | instskip(NEXT) | instid1(VALU_DEP_2)
	s_ashr_i32 s3, s2, 31
	v_ashrrev_i32_e32 v4, 31, v3
	s_delay_alu instid0(VALU_DEP_2) | instskip(SKIP_1) | instid1(SALU_CYCLE_1)
	v_lshlrev_b64 v[1:2], 2, v[1:2]
	s_lshl_b64 s[2:3], s[2:3], 2
	s_add_u32 s2, s16, s2
	s_delay_alu instid0(VALU_DEP_2) | instskip(SKIP_1) | instid1(VALU_DEP_2)
	v_lshlrev_b64 v[3:4], 2, v[3:4]
	s_addc_u32 s3, s25, s3
	v_add_co_u32 v1, vcc_lo, s16, v1
	v_add_co_ci_u32_e32 v2, vcc_lo, s25, v2, vcc_lo
	s_delay_alu instid0(VALU_DEP_3) | instskip(NEXT) | instid1(VALU_DEP_4)
	v_add_co_u32 v3, vcc_lo, s16, v3
	v_add_co_ci_u32_e32 v4, vcc_lo, s25, v4, vcc_lo
	s_clause 0x1
	global_load_b32 v5, v[1:2], off
	global_load_b32 v7, v[3:4], off
	s_or_b32 s4, s12, 32
	v_lshlrev_b32_e32 v1, 4, v0
	s_ashr_i32 s5, s4, 4
	s_cmp_lt_i32 s4, s24
	v_cmp_gt_u32_e32 vcc_lo, 14, v68
	s_cselect_b32 s4, s5, s13
	v_and_b32_e32 v1, 0xf0, v1
	s_ashr_i32 s5, s4, 31
	s_delay_alu instid0(SALU_CYCLE_1) | instskip(NEXT) | instid1(SALU_CYCLE_1)
	s_lshl_b64 s[4:5], s[4:5], 2
	s_add_u32 s4, s16, s4
	s_addc_u32 s5, s25, s5
	s_or_b32 s6, s12, 64
	v_add_co_u32 v1, s26, s26, v1
	s_ashr_i32 s7, s6, 4
	s_cmp_lt_i32 s6, s24
	v_add_co_ci_u32_e64 v2, null, s27, 0, s26
	s_cselect_b32 s6, s7, s13
	s_delay_alu instid0(SALU_CYCLE_1) | instskip(NEXT) | instid1(SALU_CYCLE_1)
	s_ashr_i32 s7, s6, 31
	s_lshl_b64 s[6:7], s[6:7], 2
	s_delay_alu instid0(SALU_CYCLE_1) | instskip(SKIP_2) | instid1(SALU_CYCLE_1)
	s_add_u32 s6, s16, s6
	s_addc_u32 s7, s25, s7
	s_or_b32 s8, s12, 0x60
	s_ashr_i32 s9, s8, 4
	s_cmp_lt_i32 s8, s24
	s_cselect_b32 s8, s9, s13
	s_delay_alu instid0(SALU_CYCLE_1) | instskip(NEXT) | instid1(SALU_CYCLE_1)
	s_ashr_i32 s9, s8, 31
	s_lshl_b64 s[8:9], s[8:9], 2
	s_delay_alu instid0(SALU_CYCLE_1) | instskip(SKIP_2) | instid1(SALU_CYCLE_1)
	s_add_u32 s8, s16, s8
	s_addc_u32 s9, s25, s9
	s_or_b32 s10, s12, 0x80
	s_ashr_i32 s11, s10, 4
	s_cmp_lt_i32 s10, s24
	;; [unrolled: 10-line block ×3, first 2 shown]
	s_cselect_b32 s20, s21, s13
	s_delay_alu instid0(SALU_CYCLE_1) | instskip(NEXT) | instid1(SALU_CYCLE_1)
	s_ashr_i32 s21, s20, 31
	s_lshl_b64 s[20:21], s[20:21], 2
	s_delay_alu instid0(SALU_CYCLE_1)
	s_add_u32 s20, s16, s20
	s_addc_u32 s21, s25, s21
	s_clause 0x5
	s_load_b32 s26, s[2:3], 0x0
	s_load_b32 s27, s[4:5], 0x0
	;; [unrolled: 1-line block ×6, first 2 shown]
	s_or_b32 s2, s12, 0xc0
	s_mov_b32 s4, 0
	s_ashr_i32 s3, s2, 4
	s_cmp_lt_i32 s2, s24
	s_mov_b32 s11, s4
	s_cselect_b32 s2, s3, s13
	s_mov_b32 s5, s4
	s_ashr_i32 s3, s2, 31
	s_mov_b32 s6, s4
	s_lshl_b64 s[2:3], s[2:3], 2
	s_mov_b32 s7, s4
	s_add_u32 s2, s16, s2
	s_addc_u32 s3, s25, s3
	s_or_b32 s20, s12, 0xe0
	s_mov_b32 s8, s4
	s_ashr_i32 s21, s20, 4
	s_cmp_lt_i32 s20, s24
	s_mov_b32 s9, s4
	s_cselect_b32 s20, s21, s13
	s_mov_b32 s10, s4
	s_ashr_i32 s21, s20, 31
	v_mov_b32_e32 v118, s11
	v_dual_mov_b32 v112, s5 :: v_dual_mov_b32 v117, s10
	v_dual_mov_b32 v116, s9 :: v_dual_mov_b32 v115, s8
	;; [unrolled: 1-line block ×3, first 2 shown]
	v_mov_b32_e32 v111, s4
	s_lshl_b64 s[4:5], s[20:21], 2
	s_delay_alu instid0(SALU_CYCLE_1)
	s_add_u32 s4, s16, s4
	s_addc_u32 s5, s25, s5
	s_add_u32 s6, s22, s15
	s_addc_u32 s7, s23, s18
	s_waitcnt vmcnt(1)
	v_mad_i64_i32 v[3:4], null, v5, s17, v[1:2]
	s_waitcnt vmcnt(0)
	v_mad_i64_i32 v[5:6], null, v7, s17, v[1:2]
	v_add_nc_u32_e32 v1, -14, v68
	v_lshlrev_b32_e32 v2, 4, v68
	s_clause 0xf
	global_load_b128 v[17:20], v[3:4], off
	global_load_b128 v[21:24], v[3:4], off offset:256
	global_load_b128 v[25:28], v[5:6], off
	global_load_b128 v[29:32], v[5:6], off offset:256
	global_load_b128 v[57:60], v[3:4], off offset:512
	;; [unrolled: 1-line block ×13, first 2 shown]
	v_cndmask_b32_e32 v1, v1, v68, vcc_lo
	s_delay_alu instid0(VALU_DEP_1)
	v_lshlrev_b32_e32 v149, 6, v1
	v_lshl_or_b32 v1, v69, 8, v2
	ds_load_b128 v[119:122], v149
	ds_load_b128 v[123:126], v149 offset:1024
	ds_load_b128 v[127:130], v149 offset:2048
	;; [unrolled: 1-line block ×3, first 2 shown]
	s_clause 0x1
	s_load_b32 s2, s[2:3], 0x0
	s_load_b32 s3, s[4:5], 0x0
	v_add_co_u32 v135, s6, s6, v1
	s_delay_alu instid0(VALU_DEP_1) | instskip(SKIP_1) | instid1(VALU_DEP_1)
	v_add_co_ci_u32_e64 v136, null, s7, 0, s6
	s_waitcnt lgkmcnt(0)
	v_mad_i64_i32 v[1:2], null, s26, s17, v[135:136]
	v_mad_i64_i32 v[3:4], null, s27, s17, v[135:136]
	v_mad_i64_i32 v[5:6], null, s28, s17, v[135:136]
	v_mad_i64_i32 v[7:8], null, s29, s17, v[135:136]
	v_mad_i64_i32 v[143:144], null, s35, s17, v[135:136]
	v_mad_i64_i32 v[13:14], null, s34, s17, v[135:136]
	s_clause 0x9
	global_load_b128 v[49:52], v[1:2], off
	global_load_b128 v[53:56], v[1:2], off offset:16
	global_load_b128 v[41:44], v[3:4], off
	global_load_b128 v[45:48], v[3:4], off offset:16
	global_load_b128 v[33:36], v[5:6], off
	global_load_b128 v[37:40], v[5:6], off offset:16
	global_load_b128 v[1:4], v[7:8], off
	global_load_b128 v[5:8], v[7:8], off offset:16
	global_load_b128 v[9:12], v[13:14], off
	global_load_b128 v[13:16], v[13:14], off offset:16
	v_mad_i64_i32 v[145:146], null, s2, s17, v[135:136]
	v_mad_i64_i32 v[147:148], null, s3, s17, v[135:136]
	s_waitcnt vmcnt(24)
	v_wmma_f32_16x16x16_f16 v[135:142], v[17:24], v[119:126], v[111:118]
	s_waitcnt vmcnt(22)
	v_wmma_f32_16x16x16_f16 v[111:118], v[25:32], v[119:126], v[111:118]
	s_clause 0x3
	global_load_b128 v[17:20], v[143:144], off
	global_load_b128 v[21:24], v[143:144], off offset:16
	global_load_b128 v[25:28], v[145:146], off
	global_load_b128 v[29:32], v[145:146], off offset:16
	v_and_b32_e32 v119, 0xe0, v0
	s_waitcnt vmcnt(24)
	v_wmma_f32_16x16x16_f16 v[135:142], v[57:64], v[127:134], v[135:142]
	s_clause 0x1
	global_load_b128 v[57:60], v[147:148], off
	global_load_b128 v[61:64], v[147:148], off offset:16
	s_waitcnt vmcnt(24)
	v_wmma_f32_16x16x16_f16 v[111:118], v[71:78], v[127:134], v[111:118]
	ds_load_b128 v[71:74], v149 offset:4096
	ds_load_b128 v[75:78], v149 offset:5120
	v_add_nc_u32_e32 v128, s12, v119
	ds_load_b128 v[119:122], v149 offset:6144
	ds_load_b128 v[123:126], v149 offset:7168
	v_mbcnt_lo_u32_b32 v127, -1, 0
	s_waitcnt vmcnt(0) lgkmcnt(0)
	s_barrier
	v_or_b32_e32 v128, v128, v66
	buffer_gl0_inv
	v_xor_b32_e32 v129, 16, v127
	v_or_b32_e32 v130, 4, v128
	v_or_b32_e32 v131, 6, v128
	s_delay_alu instid0(VALU_DEP_3) | instskip(SKIP_4) | instid1(VALU_DEP_4)
	v_cmp_gt_i32_e32 vcc_lo, 32, v129
	v_or_b32_e32 v132, 8, v128
	v_or_b32_e32 v133, 10, v128
	v_cmp_gt_i32_e64 s3, s24, v130
	v_cmp_gt_i32_e64 s4, s24, v131
	;; [unrolled: 1-line block ×3, first 2 shown]
	v_wmma_f32_16x16x16_f16 v[135:142], v[79:86], v[71:78], v[135:142]
	v_wmma_f32_16x16x16_f16 v[111:118], v[87:94], v[71:78], v[111:118]
	v_or_b32_e32 v79, 12, v128
	v_or_b32_e32 v80, 14, v128
	v_cmp_gt_i32_e64 s6, s24, v133
	v_wmma_f32_16x16x16_f16 v[135:142], v[95:102], v[119:126], v[135:142]
	v_wmma_f32_16x16x16_f16 v[111:118], v[103:110], v[119:126], v[111:118]
	v_cndmask_b32_e32 v127, v127, v129, vcc_lo
	v_or_b32_e32 v129, 2, v128
	v_cmp_gt_i32_e32 vcc_lo, s24, v128
	v_mul_f32_e32 v88, s19, v135
	v_dual_mul_f32 v92, s19, v115 :: v_dual_mul_f32 v87, s19, v136
	s_delay_alu instid0(VALU_DEP_4)
	v_cmp_gt_i32_e64 s2, s24, v129
	v_mul_f32_e32 v78, s19, v138
	v_mul_f32_e32 v86, s19, v137
	v_cndmask_b32_e32 v88, 0xff7fffff, v88, vcc_lo
	v_mul_f32_e32 v76, s19, v140
	v_cndmask_b32_e64 v87, 0xff7fffff, v87, s2
	v_dual_mul_f32 v77, s19, v139 :: v_dual_mul_f32 v94, s19, v113
	v_cndmask_b32_e64 v86, 0xff7fffff, v86, s3
	v_cndmask_b32_e64 v78, 0xff7fffff, v78, s4
	s_delay_alu instid0(VALU_DEP_4)
	v_max3_f32 v87, v88, 0xff7fffff, v87
	v_or_b32_e32 v81, 16, v128
	v_or_b32_e32 v82, 18, v128
	v_dual_mul_f32 v74, s19, v142 :: v_dual_mul_f32 v75, s19, v141
	v_mul_f32_e32 v96, s19, v111
	v_cndmask_b32_e64 v77, 0xff7fffff, v77, s5
	v_cndmask_b32_e64 v76, 0xff7fffff, v76, s6
	v_max3_f32 v78, v87, v86, v78
	v_cmp_gt_i32_e64 s7, s24, v79
	v_cmp_gt_i32_e64 s8, s24, v80
	v_or_b32_e32 v83, 20, v128
	v_or_b32_e32 v84, 22, v128
	v_mul_f32_e32 v95, s19, v112
	v_cndmask_b32_e64 v75, 0xff7fffff, v75, s7
	v_cndmask_b32_e64 v74, 0xff7fffff, v74, s8
	v_max3_f32 v76, v78, v77, v76
	v_cmp_gt_i32_e64 s9, s24, v81
	v_cmp_gt_i32_e64 s10, s24, v82
	v_or_b32_e32 v85, 24, v128
	v_or_b32_e32 v71, 26, v128
	v_mul_f32_e32 v93, s19, v114
	v_cndmask_b32_e64 v77, 0xff7fffff, v96, s9
	v_cndmask_b32_e64 v78, 0xff7fffff, v95, s10
	v_max3_f32 v74, v76, v75, v74
	v_cmp_gt_i32_e64 s11, s24, v83
	v_cmp_gt_i32_e64 s12, s24, v84
	v_or_b32_e32 v72, 28, v128
	v_or_b32_e32 v73, 30, v128
	v_mul_f32_e32 v91, s19, v116
	v_cndmask_b32_e64 v75, 0xff7fffff, v94, s11
	v_cndmask_b32_e64 v76, 0xff7fffff, v93, s12
	v_max3_f32 v74, v74, v77, v78
	v_cmp_gt_i32_e64 s13, s24, v85
	v_cmp_gt_i32_e64 s15, s24, v71
	v_dual_mul_f32 v89, s19, v118 :: v_dual_mul_f32 v90, s19, v117
	s_delay_alu instid0(VALU_DEP_4) | instskip(NEXT) | instid1(VALU_DEP_4)
	v_max3_f32 v74, v74, v75, v76
	v_cndmask_b32_e64 v77, 0xff7fffff, v92, s13
	s_delay_alu instid0(VALU_DEP_4) | instskip(SKIP_2) | instid1(VALU_DEP_3)
	v_cndmask_b32_e64 v71, 0xff7fffff, v91, s15
	v_cmp_gt_i32_e64 s16, s24, v72
	v_cmp_gt_i32_e64 s17, s24, v73
	v_max3_f32 v71, v74, v77, v71
	s_delay_alu instid0(VALU_DEP_3) | instskip(NEXT) | instid1(VALU_DEP_3)
	v_cndmask_b32_e64 v72, 0xff7fffff, v90, s16
	v_cndmask_b32_e64 v73, 0xff7fffff, v89, s17
	v_lshlrev_b32_e32 v74, 2, v127
	s_delay_alu instid0(VALU_DEP_2) | instskip(SKIP_3) | instid1(VALU_DEP_1)
	v_max3_f32 v71, v71, v72, v73
	ds_bpermute_b32 v72, v74, v71
	s_waitcnt lgkmcnt(0)
	v_max_f32_e32 v72, v72, v72
	v_max_f32_e32 v71, v71, v72
	s_delay_alu instid0(VALU_DEP_1) | instskip(SKIP_4) | instid1(VALU_DEP_4)
	v_fma_f32 v72, s19, v135, -v71
	v_fma_f32 v73, s19, v136, -v71
	;; [unrolled: 1-line block ×5, first 2 shown]
	v_dual_mul_f32 v72, 0x3fb8aa3b, v72 :: v_dual_mul_f32 v73, 0x3fb8aa3b, v73
	v_fma_f32 v80, s19, v141, -v71
	s_delay_alu instid0(VALU_DEP_3) | instskip(NEXT) | instid1(VALU_DEP_3)
	v_dual_mul_f32 v76, 0x3fb8aa3b, v76 :: v_dual_mul_f32 v77, 0x3fb8aa3b, v77
	v_exp_f32_e32 v72, v72
	s_delay_alu instid0(VALU_DEP_3) | instskip(NEXT) | instid1(VALU_DEP_2)
	v_exp_f32_e32 v73, v73
	v_mul_f32_e32 v82, 0x3fb8aa3b, v80
	s_delay_alu instid0(VALU_DEP_2) | instskip(SKIP_1) | instid1(VALU_DEP_1)
	v_exp_f32_e32 v76, v76
	v_exp_f32_e32 v77, v77
	;; [unrolled: 1-line block ×3, first 2 shown]
	v_cndmask_b32_e32 v79, 0, v72, vcc_lo
	v_fma_f32 v72, s19, v140, -v71
	v_mul_f32_e32 v75, 0x3fb8aa3b, v75
	v_cndmask_b32_e64 v78, 0, v73, s2
	s_delay_alu instid0(TRANS32_DEP_3) | instskip(NEXT) | instid1(VALU_DEP_4)
	v_cndmask_b32_e64 v80, 0, v76, s4
	v_dual_add_f32 v73, 0, v79 :: v_dual_mul_f32 v72, 0x3fb8aa3b, v72
	s_delay_alu instid0(VALU_DEP_4) | instskip(NEXT) | instid1(TRANS32_DEP_3)
	v_exp_f32_e32 v75, v75
	v_cndmask_b32_e64 v83, 0, v77, s5
	s_delay_alu instid0(TRANS32_DEP_2) | instskip(NEXT) | instid1(VALU_DEP_3)
	v_cndmask_b32_e64 v85, 0, v84, s7
	v_add_f32_e32 v73, v73, v78
	v_exp_f32_e32 v72, v72
	s_mov_b32 s2, exec_lo
	s_waitcnt_depctr 0xfff
	v_cndmask_b32_e64 v81, 0, v75, s3
	v_cndmask_b32_e64 v82, 0, v72, s6
	s_delay_alu instid0(VALU_DEP_2) | instskip(NEXT) | instid1(VALU_DEP_1)
	v_add_f32_e32 v73, v73, v81
	v_add_f32_e32 v73, v73, v80
	s_delay_alu instid0(VALU_DEP_1) | instskip(NEXT) | instid1(VALU_DEP_1)
	v_add_f32_e32 v72, v73, v83
	v_add_f32_e32 v72, v72, v82
	s_delay_alu instid0(VALU_DEP_1)
	v_add_f32_e32 v72, v72, v85
	v_fma_f32 v76, s19, v111, -v71
	v_fma_f32 v75, s19, v142, -v71
	;; [unrolled: 1-line block ×5, first 2 shown]
	v_mul_f32_e32 v76, 0x3fb8aa3b, v76
	s_delay_alu instid0(VALU_DEP_4) | instskip(NEXT) | instid1(VALU_DEP_2)
	v_mul_f32_e32 v86, 0x3fb8aa3b, v86
	v_exp_f32_e32 v76, v76
	s_delay_alu instid0(VALU_DEP_1)
	v_exp_f32_e32 v88, v86
	s_waitcnt_depctr 0xfff
	v_cndmask_b32_e64 v87, 0, v76, s9
	v_fma_f32 v76, s19, v116, -v71
	v_mul_f32_e32 v75, 0x3fb8aa3b, v75
	v_cndmask_b32_e64 v88, 0, v88, s12
	s_delay_alu instid0(VALU_DEP_3) | instskip(NEXT) | instid1(VALU_DEP_3)
	v_dual_mul_f32 v73, 0x3fb8aa3b, v73 :: v_dual_mul_f32 v76, 0x3fb8aa3b, v76
	v_exp_f32_e32 v75, v75
	s_delay_alu instid0(VALU_DEP_1) | instskip(NEXT) | instid1(VALU_DEP_1)
	v_exp_f32_e32 v73, v73
	v_exp_f32_e32 v76, v76
	s_delay_alu instid0(TRANS32_DEP_3)
	v_cndmask_b32_e64 v84, 0, v75, s8
	v_fma_f32 v75, s19, v115, -v71
	s_waitcnt_depctr 0xfff
	v_cndmask_b32_e64 v89, 0, v73, s11
	v_cndmask_b32_e64 v90, 0, v76, s15
	v_add_f32_e32 v72, v72, v84
	s_delay_alu instid0(VALU_DEP_1) | instskip(NEXT) | instid1(VALU_DEP_1)
	v_dual_add_f32 v72, v72, v87 :: v_dual_mul_f32 v77, 0x3fb8aa3b, v77
	v_exp_f32_e32 v77, v77
	s_waitcnt_depctr 0xfff
	v_cndmask_b32_e64 v86, 0, v77, s10
	v_fma_f32 v77, s19, v117, -v71
	s_delay_alu instid0(VALU_DEP_2) | instskip(NEXT) | instid1(VALU_DEP_1)
	v_dual_add_f32 v72, v72, v86 :: v_dual_mul_f32 v75, 0x3fb8aa3b, v75
	v_add_f32_e32 v72, v72, v89
	s_delay_alu instid0(VALU_DEP_2) | instskip(NEXT) | instid1(VALU_DEP_1)
	v_exp_f32_e32 v75, v75
	v_add_f32_e32 v72, v72, v88
	s_waitcnt_depctr 0xfff
	v_cndmask_b32_e64 v91, 0, v75, s13
	v_mul_f32_e32 v73, 0x3fb8aa3b, v77
	v_fma_f32 v77, s19, v118, -v71
	s_delay_alu instid0(VALU_DEP_3) | instskip(NEXT) | instid1(VALU_DEP_3)
	v_add_f32_e32 v72, v72, v91
	v_exp_f32_e32 v73, v73
	s_delay_alu instid0(VALU_DEP_1) | instskip(NEXT) | instid1(VALU_DEP_1)
	v_dual_mul_f32 v75, 0x3fb8aa3b, v77 :: v_dual_add_f32 v72, v72, v90
	v_exp_f32_e32 v75, v75
	s_waitcnt_depctr 0xfff
	v_cndmask_b32_e64 v93, 0, v73, s16
	s_delay_alu instid0(VALU_DEP_1) | instskip(SKIP_1) | instid1(VALU_DEP_1)
	v_add_f32_e32 v72, v72, v93
	v_cndmask_b32_e64 v92, 0, v75, s17
	v_add_f32_e32 v72, v72, v92
	ds_bpermute_b32 v73, v74, v72
	v_cmpx_gt_u32_e32 16, v70
	s_cbranch_execz .LBB1243_12
; %bb.11:
	v_mul_u32_u24_e32 v70, 0x44, v69
	s_waitcnt lgkmcnt(0)
	v_add_f32_e32 v72, v72, v73
	s_delay_alu instid0(VALU_DEP_2) | instskip(NEXT) | instid1(VALU_DEP_1)
	v_lshl_add_u32 v70, v68, 2, v70
	v_add_nc_u32_e32 v70, 0x4000, v70
	ds_store_2addr_b32 v70, v71, v72 offset1:136
.LBB1243_12:
	s_or_b32 exec_lo, exec_lo, s2
	v_lshlrev_b32_e32 v70, 2, v68
	s_load_b32 s34, s[0:1], 0x94
	s_waitcnt lgkmcnt(0)
	s_barrier
	buffer_gl0_inv
	v_add_nc_u32_e32 v98, 0x4000, v70
	v_cmp_eq_u32_e32 vcc_lo, 1, v69
	v_cmp_eq_u32_e64 s2, 2, v69
	v_cmp_eq_u32_e64 s3, 3, v69
	;; [unrolled: 1-line block ×3, first 2 shown]
	ds_load_2addr_b32 v[70:71], v98 offset1:17
	ds_load_2addr_b32 v[72:73], v98 offset0:34 offset1:51
	ds_load_2addr_b32 v[74:75], v98 offset0:68 offset1:85
	;; [unrolled: 1-line block ×3, first 2 shown]
	v_cmp_eq_u32_e64 s5, 5, v69
	v_cmp_eq_u32_e64 s6, 7, v69
	s_waitcnt lgkmcnt(3)
	v_max3_f32 v76, v70, 0xff7fffff, v71
	s_waitcnt lgkmcnt(2)
	s_delay_alu instid0(VALU_DEP_1) | instskip(SKIP_1) | instid1(VALU_DEP_1)
	v_max3_f32 v76, v76, v72, v73
	s_waitcnt lgkmcnt(1)
	v_max3_f32 v76, v76, v74, v75
	s_waitcnt lgkmcnt(0)
	s_delay_alu instid0(VALU_DEP_1) | instskip(NEXT) | instid1(VALU_DEP_1)
	v_max3_f32 v76, v76, v94, v95
	v_sub_f32_e32 v77, v71, v76
	ds_load_2addr_b32 v[96:97], v98 offset0:136 offset1:153
	v_sub_f32_e32 v74, v74, v76
	v_sub_f32_e32 v70, v70, v76
	;; [unrolled: 1-line block ×3, first 2 shown]
	v_dual_sub_f32 v72, v72, v76 :: v_dual_mul_f32 v77, 0x3fb8aa3b, v77
	s_delay_alu instid0(VALU_DEP_4) | instskip(NEXT) | instid1(VALU_DEP_4)
	v_mul_f32_e32 v103, 0x3fb8aa3b, v74
	v_mul_f32_e32 v99, 0x3fb8aa3b, v70
	ds_load_2addr_b32 v[70:71], v98 offset0:170 offset1:187
	v_dual_mul_f32 v101, 0x3fb8aa3b, v72 :: v_dual_mul_f32 v94, 0x3fb8aa3b, v94
	v_exp_f32_e32 v102, v77
	v_exp_f32_e32 v99, v99
	s_delay_alu instid0(VALU_DEP_1) | instskip(NEXT) | instid1(VALU_DEP_1)
	v_exp_f32_e32 v101, v101
	v_exp_f32_e32 v94, v94
	s_waitcnt lgkmcnt(1)
	s_delay_alu instid0(TRANS32_DEP_3)
	v_fma_f32 v77, v99, v96, 0
	v_sub_f32_e32 v100, v73, v76
	ds_load_2addr_b32 v[72:73], v98 offset0:204 offset1:221
	v_fmac_f32_e32 v77, v102, v97
	v_exp_f32_e32 v97, v103
	s_waitcnt lgkmcnt(1)
	s_delay_alu instid0(VALU_DEP_1)
	v_dual_fmac_f32 v77, v101, v70 :: v_dual_sub_f32 v96, v75, v76
	ds_load_2addr_b32 v[74:75], v98 offset0:238 offset1:255
	v_sub_f32_e32 v70, v95, v76
	s_waitcnt lgkmcnt(0)
	s_barrier
	v_mul_f32_e32 v96, 0x3fb8aa3b, v96
	buffer_gl0_inv
	v_exp_f32_e32 v95, v96
	v_mul_f32_e32 v100, 0x3fb8aa3b, v100
	s_delay_alu instid0(VALU_DEP_1) | instskip(SKIP_3) | instid1(VALU_DEP_2)
	v_exp_f32_e32 v100, v100
	s_waitcnt_depctr 0xfff
	v_dual_fmac_f32 v77, v100, v71 :: v_dual_mul_f32 v70, 0x3fb8aa3b, v70
	v_cndmask_b32_e32 v71, v99, v102, vcc_lo
	v_fmac_f32_e32 v77, v97, v72
	s_delay_alu instid0(VALU_DEP_3) | instskip(NEXT) | instid1(VALU_DEP_1)
	v_exp_f32_e32 v96, v70
	v_fmac_f32_e32 v77, v95, v73
	s_delay_alu instid0(VALU_DEP_1) | instskip(SKIP_2) | instid1(VALU_DEP_1)
	v_fmac_f32_e32 v77, v94, v74
	s_waitcnt_depctr 0xfff
	v_fmac_f32_e32 v77, v96, v75
	v_add_f32_e32 v74, 0x358637bd, v77
	s_delay_alu instid0(VALU_DEP_1) | instskip(SKIP_1) | instid1(VALU_DEP_2)
	v_div_scale_f32 v98, null, v74, v74, 1.0
	v_div_scale_f32 v99, vcc_lo, 1.0, v74, 1.0
	v_rcp_f32_e32 v103, v98
	s_waitcnt_depctr 0xfff
	v_fma_f32 v70, -v98, v103, 1.0
	s_delay_alu instid0(VALU_DEP_1) | instskip(SKIP_2) | instid1(VALU_DEP_2)
	v_fmac_f32_e32 v103, v70, v103
	v_cndmask_b32_e64 v70, v71, v101, s2
	v_cmp_eq_u32_e64 s2, 6, v69
	v_cndmask_b32_e64 v71, v70, v100, s3
	s_delay_alu instid0(VALU_DEP_4) | instskip(NEXT) | instid1(VALU_DEP_2)
	v_dual_mul_f32 v101, v99, v103 :: v_dual_lshlrev_b32 v70, 2, v66
	v_cndmask_b32_e64 v71, v71, v97, s4
	s_delay_alu instid0(VALU_DEP_2) | instskip(NEXT) | instid1(VALU_DEP_3)
	v_or_b32_e32 v72, 1, v70
	v_fma_f32 v100, -v98, v101, v99
	v_cmp_eq_u32_e64 s3, 1, v70
	v_cmp_eq_u32_e64 s4, 2, v70
	v_cndmask_b32_e64 v95, v71, v95, s5
	v_or_b32_e32 v71, 3, v70
	v_fmac_f32_e32 v101, v100, v103
	v_cmp_eq_u32_e64 s8, 1, v72
	v_cmp_eq_u32_e64 s11, 2, v72
	v_cndmask_b32_e64 v94, v95, v94, s2
	v_cmp_eq_u32_e64 s10, 1, v71
	v_fma_f32 v97, -v98, v101, v99
	v_cmp_eq_u32_e64 s15, 2, v71
	v_cmp_eq_u32_e64 s12, 3, v72
	v_cndmask_b32_e64 v94, v94, v96, s6
	v_cmp_eq_u32_e64 s17, 3, v71
	v_div_fmas_f32 v95, v97, v103, v101
	v_cmp_eq_u32_e32 vcc_lo, 3, v70
	v_cmp_eq_u32_e64 s2, 4, v70
	v_cmp_eq_u32_e64 s18, 4, v72
	;; [unrolled: 1-line block ×3, first 2 shown]
	v_div_fixup_f32 v95, v95, v74, 1.0
	v_lshlrev_b32_e32 v73, 6, v68
	v_cmp_eq_u32_e64 s5, 5, v70
	v_cmp_eq_u32_e64 s19, 5, v72
	;; [unrolled: 1-line block ×3, first 2 shown]
	v_mul_f32_e32 v102, v94, v95
	v_lshl_or_b32 v75, v69, 11, v73
	v_or_b32_e32 v69, 2, v70
	v_cmp_eq_u32_e64 s24, 6, v72
	v_cmp_eq_u32_e64 s26, 6, v71
	v_fma_mixlo_f16 v94, v102, v79, 0
	v_fma_mixlo_f16 v95, v102, v81, 0
	;; [unrolled: 1-line block ×8, first 2 shown]
	v_lshl_or_b32 v74, v66, 4, v75
	v_fma_mixhi_f16 v94, v102, v78, 0
	v_fma_mixhi_f16 v95, v102, v80, 0
	;; [unrolled: 1-line block ×8, first 2 shown]
	ds_store_b128 v74, v[94:97]
	ds_store_b128 v74, v[98:101] offset:1024
	s_waitcnt lgkmcnt(0)
	s_barrier
	buffer_gl0_inv
	ds_load_b128 v[78:81], v75
	ds_load_b128 v[82:85], v75 offset:16
	ds_load_b128 v[86:89], v75 offset:1024
	;; [unrolled: 1-line block ×3, first 2 shown]
	v_cmp_eq_u32_e64 s9, 1, v69
	v_cmp_eq_u32_e64 s13, 2, v69
	;; [unrolled: 1-line block ×11, first 2 shown]
	s_waitcnt lgkmcnt(3)
	v_lshrrev_b32_e32 v94, 16, v78
	s_waitcnt lgkmcnt(2)
	v_lshrrev_b32_e32 v98, 16, v82
	;; [unrolled: 2-line block ×4, first 2 shown]
	v_lshrrev_b32_e32 v95, 16, v79
	v_cndmask_b32_e64 v110, v78, v94, s3
	v_cndmask_b32_e64 v111, v82, v98, s3
	;; [unrolled: 1-line block ×8, first 2 shown]
	v_lshrrev_b32_e32 v99, 16, v83
	v_cndmask_b32_e64 v94, v86, v102, s3
	v_cndmask_b32_e64 v98, v90, v106, s3
	v_cndmask_b32_e64 v116, v86, v102, s8
	v_cndmask_b32_e64 v117, v90, v106, s8
	v_cndmask_b32_e64 v118, v86, v102, s9
	v_cndmask_b32_e64 v119, v90, v106, s9
	v_cndmask_b32_e64 v86, v86, v102, s10
	v_cndmask_b32_e64 v90, v90, v106, s10
	v_cndmask_b32_e64 v102, v110, v79, s4
	v_cndmask_b32_e64 v106, v111, v83, s4
	v_cndmask_b32_e64 v110, v112, v79, s11
	v_cndmask_b32_e64 v111, v113, v83, s11
	v_cndmask_b32_e64 v112, v114, v79, s13
	v_cndmask_b32_e64 v78, v78, v79, s15
	v_cndmask_b32_e64 v79, v82, v83, s15
	v_lshrrev_b32_e32 v103, 16, v87
	v_lshrrev_b32_e32 v107, 16, v91
	v_cndmask_b32_e64 v113, v115, v83, s13
	v_cndmask_b32_e64 v82, v94, v87, s4
	;; [unrolled: 1-line block ×7, first 2 shown]
	v_cndmask_b32_e32 v90, v102, v95, vcc_lo
	v_cndmask_b32_e32 v102, v106, v99, vcc_lo
	v_cndmask_b32_e64 v106, v110, v95, s12
	v_cndmask_b32_e64 v110, v111, v99, s12
	;; [unrolled: 1-line block ×4, first 2 shown]
	v_lshrrev_b32_e32 v96, 16, v80
	v_lshrrev_b32_e32 v100, 16, v84
	v_cndmask_b32_e64 v111, v112, v95, s16
	v_cndmask_b32_e64 v112, v113, v99, s16
	v_cndmask_b32_e32 v82, v82, v103, vcc_lo
	v_cndmask_b32_e32 v83, v83, v107, vcc_lo
	v_cndmask_b32_e64 v94, v94, v103, s12
	v_cndmask_b32_e64 v90, v90, v80, s2
	;; [unrolled: 1-line block ×7, first 2 shown]
	v_lshrrev_b32_e32 v104, 16, v88
	v_cndmask_b32_e64 v106, v111, v80, s20
	v_cndmask_b32_e64 v110, v112, v84, s20
	v_cndmask_b32_e64 v80, v82, v88, s2
	v_cndmask_b32_e64 v82, v83, v92, s2
	v_cndmask_b32_e64 v83, v94, v88, s18
	v_cndmask_b32_e64 v84, v90, v96, s5
	v_cndmask_b32_e64 v90, v95, v100, s5
	v_cndmask_b32_e64 v94, v99, v96, s19
	v_cndmask_b32_e64 v95, v102, v100, s19
	v_cndmask_b32_e64 v78, v78, v96, s23
	v_cndmask_b32_e64 v79, v79, v100, s23
	v_lshrrev_b32_e32 v97, 16, v81
	v_lshrrev_b32_e32 v101, 16, v85
	v_cndmask_b32_e64 v99, v106, v96, s22
	v_cndmask_b32_e64 v102, v110, v100, s22
	;; [unrolled: 1-line block ×7, first 2 shown]
	v_lshrrev_b32_e32 v105, 16, v89
	v_cndmask_b32_e64 v80, v80, v104, s5
	v_cndmask_b32_e64 v84, v84, v81, s6
	;; [unrolled: 1-line block ×16, first 2 shown]
	v_perm_b32 v81, v79, v78, 0x5040100
	v_perm_b32 v79, v95, v85, 0x5040100
	v_cndmask_b32_e64 v78, v119, v91, s13
	v_cndmask_b32_e64 v85, v117, v91, s11
	;; [unrolled: 1-line block ×3, first 2 shown]
	v_perm_b32 v80, v94, v90, 0x5040100
	v_cndmask_b32_e64 v90, v98, v103, s16
	v_cndmask_b32_e64 v86, v86, v103, s17
	;; [unrolled: 1-line block ×5, first 2 shown]
	v_lshrrev_b32_e32 v108, 16, v92
	v_cndmask_b32_e64 v90, v90, v88, s20
	v_cndmask_b32_e64 v86, v86, v88, s21
	;; [unrolled: 1-line block ×11, first 2 shown]
	v_lshrrev_b32_e32 v109, 16, v93
	v_cndmask_b32_e64 v82, v82, v93, s6
	v_cndmask_b32_e64 v88, v88, v89, s25
	;; [unrolled: 1-line block ×12, first 2 shown]
	v_perm_b32 v78, v84, v83, 0x5040100
	v_perm_b32 v85, v87, v86, 0x5040100
	;; [unrolled: 1-line block ×5, first 2 shown]
	s_mul_i32 s7, s33, 14
	s_mov_b32 s2, exec_lo
	ds_store_b128 v74, v[78:81]
	ds_store_b128 v74, v[82:85] offset:1024
	v_cmpx_gt_u32_e32 14, v0
	s_cbranch_execz .LBB1243_14
; %bb.13:
	s_mul_i32 s3, s7, s30
	s_load_b128 s[8:11], s[0:1], 0x58
	v_add3_u32 v68, s3, s31, v68
	s_delay_alu instid0(VALU_DEP_1) | instskip(NEXT) | instid1(VALU_DEP_1)
	v_mad_u64_u32 v[78:79], null, v68, s34, s[14:15]
	v_ashrrev_i32_e32 v79, 31, v78
	s_delay_alu instid0(VALU_DEP_1) | instskip(SKIP_1) | instid1(VALU_DEP_1)
	v_lshlrev_b64 v[78:79], 2, v[78:79]
	s_waitcnt lgkmcnt(0)
	v_add_co_u32 v80, vcc_lo, s10, v78
	s_delay_alu instid0(VALU_DEP_2)
	v_add_co_ci_u32_e32 v81, vcc_lo, s11, v79, vcc_lo
	v_add_co_u32 v78, vcc_lo, s8, v78
	v_add_co_ci_u32_e32 v79, vcc_lo, s9, v79, vcc_lo
	global_store_b32 v[80:81], v76, off
	global_store_b32 v[78:79], v77, off
.LBB1243_14:
	s_or_b32 exec_lo, exec_lo, s2
	s_waitcnt lgkmcnt(0)
	s_waitcnt_vscnt null, 0x0
	s_barrier
	buffer_gl0_inv
	ds_load_b128 v[84:87], v73
	ds_load_b128 v[88:91], v73 offset:16
	ds_load_b128 v[96:99], v73 offset:2064
	;; [unrolled: 1-line block ×5, first 2 shown]
	v_cmp_eq_u32_e32 vcc_lo, 1, v70
	v_mov_b32_e32 v76, 0
	ds_load_b128 v[112:115], v73 offset:6160
	ds_load_b128 v[108:111], v73 offset:6144
	;; [unrolled: 1-line block ×4, first 2 shown]
	v_cmp_eq_u32_e64 s3, 1, v69
	v_cmp_eq_u32_e64 s2, 1, v72
	;; [unrolled: 1-line block ×3, first 2 shown]
	v_mov_b32_e32 v77, v76
	v_mov_b32_e32 v78, v76
	;; [unrolled: 1-line block ×7, first 2 shown]
	v_cmp_eq_u32_e64 s5, 3, v72
	v_cmp_eq_u32_e64 s6, 7, v72
	s_waitcnt lgkmcnt(8)
	s_delay_alu instid0(VALU_DEP_3)
	v_wmma_f32_16x16x16_f16 v[76:83], v[49:56], v[84:91], v[76:83]
	ds_load_b128 v[53:56], v73 offset:10256
	ds_load_b128 v[49:52], v73 offset:10240
	s_waitcnt lgkmcnt(8)
	v_wmma_f32_16x16x16_f16 v[76:83], v[41:48], v[92:99], v[76:83]
	ds_load_b128 v[45:48], v73 offset:12304
	ds_load_b128 v[41:44], v73 offset:12288
	s_waitcnt lgkmcnt(8)
	;; [unrolled: 4-line block ×3, first 2 shown]
	s_barrier
	buffer_gl0_inv
	v_wmma_f32_16x16x16_f16 v[76:83], v[1:8], v[108:115], v[76:83]
	s_delay_alu instid0(VALU_DEP_1) | instskip(NEXT) | instid1(VALU_DEP_1)
	v_wmma_f32_16x16x16_f16 v[76:83], v[9:16], v[116:123], v[76:83]
	v_wmma_f32_16x16x16_f16 v[76:83], v[17:24], v[49:56], v[76:83]
	s_delay_alu instid0(VALU_DEP_1) | instskip(NEXT) | instid1(VALU_DEP_1)
	v_wmma_f32_16x16x16_f16 v[76:83], v[25:32], v[41:48], v[76:83]
	v_wmma_f32_16x16x16_f16 v[76:83], v[57:64], v[33:40], v[76:83]
	s_delay_alu instid0(VALU_DEP_1) | instskip(NEXT) | instid1(VALU_DEP_2)
	v_cvt_f16_f32_e32 v1, v76
	v_cvt_f16_f32_e32 v2, v77
	s_delay_alu instid0(VALU_DEP_3) | instskip(NEXT) | instid1(VALU_DEP_4)
	v_cvt_f16_f32_e32 v3, v78
	v_cvt_f16_f32_e32 v4, v79
	;; [unrolled: 1-line block ×6, first 2 shown]
	v_pack_b32_f16 v1, v1, v2
	v_pack_b32_f16 v2, v3, v4
	;; [unrolled: 1-line block ×3, first 2 shown]
	s_delay_alu instid0(VALU_DEP_4)
	v_pack_b32_f16 v4, v7, v8
	ds_store_b128 v74, v[1:4]
	s_waitcnt lgkmcnt(0)
	s_barrier
	buffer_gl0_inv
	ds_load_b128 v[1:4], v75
	ds_load_b128 v[5:8], v75 offset:16
	s_waitcnt lgkmcnt(1)
	v_lshrrev_b32_e32 v9, 16, v1
	s_waitcnt lgkmcnt(0)
	v_lshrrev_b32_e32 v13, 16, v5
	v_lshrrev_b32_e32 v10, 16, v2
	;; [unrolled: 1-line block ×4, first 2 shown]
	v_cndmask_b32_e32 v17, v1, v9, vcc_lo
	v_cndmask_b32_e32 v18, v5, v13, vcc_lo
	v_cndmask_b32_e64 v21, v1, v9, s3
	v_cmp_eq_u32_e32 vcc_lo, 1, v71
	v_cndmask_b32_e64 v22, v5, v13, s3
	v_cmp_eq_u32_e64 s3, 2, v70
	v_cndmask_b32_e64 v19, v1, v9, s2
	v_cndmask_b32_e64 v20, v5, v13, s2
	v_cndmask_b32_e32 v1, v1, v9, vcc_lo
	v_cmp_eq_u32_e64 s2, 2, v71
	v_cndmask_b32_e32 v5, v5, v13, vcc_lo
	v_cndmask_b32_e64 v9, v17, v2, s3
	v_cmp_eq_u32_e32 vcc_lo, 3, v70
	v_cndmask_b32_e64 v13, v18, v6, s3
	v_cmp_eq_u32_e64 s3, 2, v69
	v_cndmask_b32_e64 v17, v19, v2, s4
	v_cndmask_b32_e64 v18, v20, v6, s4
	v_cmp_eq_u32_e64 s4, 3, v69
	v_cndmask_b32_e64 v1, v1, v2, s2
	v_cndmask_b32_e64 v19, v21, v2, s3
	;; [unrolled: 1-line block ×4, first 2 shown]
	v_cndmask_b32_e32 v5, v9, v10, vcc_lo
	v_cndmask_b32_e32 v6, v13, v14, vcc_lo
	v_cmp_eq_u32_e32 vcc_lo, 3, v71
	v_cndmask_b32_e64 v9, v17, v10, s5
	v_cndmask_b32_e64 v13, v18, v14, s5
	;; [unrolled: 1-line block ×3, first 2 shown]
	v_cmp_eq_u32_e64 s3, 4, v70
	v_cndmask_b32_e32 v1, v1, v10, vcc_lo
	v_cndmask_b32_e32 v2, v2, v14, vcc_lo
	v_cmp_eq_u32_e32 vcc_lo, 4, v72
	v_lshrrev_b32_e32 v15, 16, v7
	v_lshrrev_b32_e32 v16, 16, v8
	v_cndmask_b32_e64 v17, v19, v10, s4
	v_cmp_eq_u32_e64 s2, 4, v71
	v_cndmask_b32_e64 v5, v5, v3, s3
	v_cndmask_b32_e64 v6, v6, v7, s3
	v_cndmask_b32_e32 v9, v9, v3, vcc_lo
	v_cmp_eq_u32_e64 s3, 5, v72
	v_cndmask_b32_e32 v10, v13, v7, vcc_lo
	v_cmp_eq_u32_e32 vcc_lo, 4, v69
	v_cmp_eq_u32_e64 s4, 5, v70
	v_cndmask_b32_e64 v2, v2, v7, s2
	v_cndmask_b32_e64 v9, v9, v11, s3
	;; [unrolled: 1-line block ×3, first 2 shown]
	v_cndmask_b32_e32 v13, v17, v3, vcc_lo
	v_cmp_eq_u32_e64 s3, 5, v69
	v_cndmask_b32_e32 v14, v18, v7, vcc_lo
	v_cndmask_b32_e64 v1, v1, v3, s2
	v_cmp_eq_u32_e32 vcc_lo, 5, v71
	v_lshrrev_b32_e32 v12, 16, v4
	v_cndmask_b32_e64 v13, v13, v11, s3
	v_cndmask_b32_e64 v3, v14, v15, s3
	v_cmp_eq_u32_e64 s3, 6, v71
	v_cndmask_b32_e32 v1, v1, v11, vcc_lo
	v_cndmask_b32_e64 v5, v5, v11, s4
	v_cmp_eq_u32_e64 s5, 6, v70
	v_cndmask_b32_e64 v6, v6, v15, s4
	v_cmp_eq_u32_e64 s4, 6, v72
	v_cmp_eq_u32_e64 s2, 6, v69
	v_cndmask_b32_e64 v1, v1, v4, s3
	v_cndmask_b32_e32 v2, v2, v15, vcc_lo
	v_cmp_eq_u32_e32 vcc_lo, 7, v71
	v_cndmask_b32_e64 v5, v5, v4, s5
	v_cndmask_b32_e64 v9, v9, v4, s4
	;; [unrolled: 1-line block ×3, first 2 shown]
	v_cmp_eq_u32_e64 s5, 7, v70
	v_cndmask_b32_e32 v1, v1, v12, vcc_lo
	v_cndmask_b32_e64 v7, v13, v4, s2
	v_cndmask_b32_e64 v3, v3, v8, s2
	;; [unrolled: 1-line block ×3, first 2 shown]
	v_cmp_eq_u32_e64 s2, 7, v69
	v_cndmask_b32_e64 v4, v10, v8, s4
	v_cndmask_b32_e64 v5, v5, v12, s5
	;; [unrolled: 1-line block ×3, first 2 shown]
	v_cndmask_b32_e32 v2, v2, v16, vcc_lo
	v_cndmask_b32_e64 v7, v7, v12, s2
	v_cndmask_b32_e64 v3, v3, v16, s2
	;; [unrolled: 1-line block ×4, first 2 shown]
	v_perm_b32 v4, v2, v1, 0x5040100
	s_mov_b32 s2, exec_lo
	v_perm_b32 v3, v3, v7, 0x5040100
	v_perm_b32 v2, v8, v9, 0x5040100
	;; [unrolled: 1-line block ×3, first 2 shown]
	ds_store_b128 v74, v[1:4]
	s_waitcnt lgkmcnt(0)
	s_barrier
	buffer_gl0_inv
	v_cmpx_gt_u32_e32 32, v0
	s_cbranch_execz .LBB1243_2
; %bb.15:
	s_load_b64 s[0:1], s[0:1], 0x68
	v_lshlrev_b32_e32 v0, 10, v0
	s_lshl_b32 s4, s34, 7
	v_or_b32_e32 v3, s31, v66
	s_mul_i32 s2, s4, s30
	v_lshlrev_b32_e32 v1, 4, v67
	v_lshlrev_b32_e32 v2, 6, v66
	v_and_b32_e32 v0, 0x3800, v0
	s_mul_i32 s2, s2, s7
	v_mul_lo_u32 v8, v3, s4
	s_ashr_i32 s3, s2, 31
	s_delay_alu instid0(SALU_CYCLE_1)
	s_lshl_b64 s[2:3], s[2:3], 1
	v_or3_b32 v16, v0, v1, v2
	ds_load_b128 v[0:3], v16
	ds_load_b128 v[4:7], v16 offset:128
	v_ashrrev_i32_e32 v9, 31, v8
	s_waitcnt lgkmcnt(0)
	s_add_u32 s2, s0, s2
	s_addc_u32 s3, s1, s3
	s_lshl_b32 s0, s14, 7
	s_delay_alu instid0(SALU_CYCLE_1) | instskip(SKIP_2) | instid1(SALU_CYCLE_1)
	s_ashr_i32 s1, s0, 31
	v_lshlrev_b64 v[9:10], 1, v[8:9]
	s_lshl_b64 s[0:1], s[0:1], 1
	s_add_u32 s0, s2, s0
	s_addc_u32 s1, s3, s1
	s_lshl_b32 s2, s34, 8
	v_add_co_u32 v30, s0, s0, v65
	v_add_nc_u32_e32 v11, s2, v8
	v_add_co_ci_u32_e64 v31, null, s1, 0, s0
	s_delay_alu instid0(VALU_DEP_3) | instskip(NEXT) | instid1(VALU_DEP_3)
	v_add_co_u32 v9, vcc_lo, v30, v9
	v_add_nc_u32_e32 v8, s2, v11
	s_delay_alu instid0(VALU_DEP_3) | instskip(SKIP_1) | instid1(VALU_DEP_3)
	v_add_co_ci_u32_e32 v10, vcc_lo, v31, v10, vcc_lo
	v_ashrrev_i32_e32 v12, 31, v11
	v_add_nc_u32_e32 v13, s2, v8
	global_store_b128 v[9:10], v[0:3], off
	v_ashrrev_i32_e32 v9, 31, v8
	v_lshlrev_b64 v[11:12], 1, v[11:12]
	v_ashrrev_i32_e32 v14, 31, v13
	v_add_nc_u32_e32 v10, s2, v13
	s_delay_alu instid0(VALU_DEP_4) | instskip(NEXT) | instid1(VALU_DEP_4)
	v_lshlrev_b64 v[2:3], 1, v[8:9]
	v_add_co_u32 v0, vcc_lo, v30, v11
	s_delay_alu instid0(VALU_DEP_4)
	v_lshlrev_b64 v[8:9], 1, v[13:14]
	v_add_co_ci_u32_e32 v1, vcc_lo, v31, v12, vcc_lo
	v_ashrrev_i32_e32 v11, 31, v10
	v_add_co_u32 v22, vcc_lo, v30, v2
	v_add_nc_u32_e32 v20, s2, v10
	v_add_co_ci_u32_e32 v23, vcc_lo, v31, v3, vcc_lo
	v_add_co_u32 v24, vcc_lo, v30, v8
	global_store_b128 v[0:1], v[4:7], off
	v_add_co_ci_u32_e32 v25, vcc_lo, v31, v9, vcc_lo
	ds_load_b128 v[0:3], v16 offset:256
	ds_load_b128 v[4:7], v16 offset:384
	v_lshlrev_b64 v[26:27], 1, v[10:11]
	ds_load_b128 v[8:11], v16 offset:512
	ds_load_b128 v[12:15], v16 offset:640
	;; [unrolled: 1-line block ×3, first 2 shown]
	v_add_nc_u32_e32 v28, s2, v20
	v_ashrrev_i32_e32 v21, 31, v20
	v_add_co_u32 v26, vcc_lo, v30, v26
	s_delay_alu instid0(VALU_DEP_3) | instskip(NEXT) | instid1(VALU_DEP_3)
	v_ashrrev_i32_e32 v29, 31, v28
	v_lshlrev_b64 v[20:21], 1, v[20:21]
	v_add_co_ci_u32_e32 v27, vcc_lo, v31, v27, vcc_lo
	s_delay_alu instid0(VALU_DEP_3) | instskip(NEXT) | instid1(VALU_DEP_3)
	v_lshlrev_b64 v[28:29], 1, v[28:29]
	v_add_co_u32 v20, vcc_lo, v30, v20
	s_delay_alu instid0(VALU_DEP_4) | instskip(NEXT) | instid1(VALU_DEP_3)
	v_add_co_ci_u32_e32 v21, vcc_lo, v31, v21, vcc_lo
	v_add_co_u32 v28, vcc_lo, v30, v28
	s_delay_alu instid0(VALU_DEP_4)
	v_add_co_ci_u32_e32 v29, vcc_lo, v31, v29, vcc_lo
	s_waitcnt lgkmcnt(4)
	global_store_b128 v[22:23], v[0:3], off
	s_waitcnt lgkmcnt(3)
	global_store_b128 v[24:25], v[4:7], off
	;; [unrolled: 2-line block ×5, first 2 shown]
	s_nop 0
	s_sendmsg sendmsg(MSG_DEALLOC_VGPRS)
	s_endpgm
	.section	.rodata,"a",@progbits
	.p2align	6, 0x0
	.amdhsa_kernel _Z39paged_attention_ll4mi_QKV_mfma16_kernelIDF16_hLN4vllm18Fp8KVCacheDataTypeE1EhLi16ELi128ELi256ELb0ELi14EL8MFMAType0EEvPKT_PKT0_S8_ifPKiSA_SA_iPKfiiiPfSD_PS3_PT2_iSC_SC_
		.amdhsa_group_segment_fixed_size 17472
		.amdhsa_private_segment_fixed_size 0
		.amdhsa_kernarg_size 400
		.amdhsa_user_sgpr_count 13
		.amdhsa_user_sgpr_dispatch_ptr 0
		.amdhsa_user_sgpr_queue_ptr 0
		.amdhsa_user_sgpr_kernarg_segment_ptr 1
		.amdhsa_user_sgpr_dispatch_id 0
		.amdhsa_user_sgpr_private_segment_size 0
		.amdhsa_wavefront_size32 1
		.amdhsa_uses_dynamic_stack 0
		.amdhsa_enable_private_segment 0
		.amdhsa_system_sgpr_workgroup_id_x 1
		.amdhsa_system_sgpr_workgroup_id_y 1
		.amdhsa_system_sgpr_workgroup_id_z 1
		.amdhsa_system_sgpr_workgroup_info 0
		.amdhsa_system_vgpr_workitem_id 0
		.amdhsa_next_free_vgpr 150
		.amdhsa_next_free_sgpr 36
		.amdhsa_reserve_vcc 1
		.amdhsa_float_round_mode_32 0
		.amdhsa_float_round_mode_16_64 0
		.amdhsa_float_denorm_mode_32 3
		.amdhsa_float_denorm_mode_16_64 3
		.amdhsa_dx10_clamp 1
		.amdhsa_ieee_mode 1
		.amdhsa_fp16_overflow 0
		.amdhsa_workgroup_processor_mode 1
		.amdhsa_memory_ordered 1
		.amdhsa_forward_progress 0
		.amdhsa_shared_vgpr_count 0
		.amdhsa_exception_fp_ieee_invalid_op 0
		.amdhsa_exception_fp_denorm_src 0
		.amdhsa_exception_fp_ieee_div_zero 0
		.amdhsa_exception_fp_ieee_overflow 0
		.amdhsa_exception_fp_ieee_underflow 0
		.amdhsa_exception_fp_ieee_inexact 0
		.amdhsa_exception_int_div_zero 0
	.end_amdhsa_kernel
	.section	.text._Z39paged_attention_ll4mi_QKV_mfma16_kernelIDF16_hLN4vllm18Fp8KVCacheDataTypeE1EhLi16ELi128ELi256ELb0ELi14EL8MFMAType0EEvPKT_PKT0_S8_ifPKiSA_SA_iPKfiiiPfSD_PS3_PT2_iSC_SC_,"axG",@progbits,_Z39paged_attention_ll4mi_QKV_mfma16_kernelIDF16_hLN4vllm18Fp8KVCacheDataTypeE1EhLi16ELi128ELi256ELb0ELi14EL8MFMAType0EEvPKT_PKT0_S8_ifPKiSA_SA_iPKfiiiPfSD_PS3_PT2_iSC_SC_,comdat
.Lfunc_end1243:
	.size	_Z39paged_attention_ll4mi_QKV_mfma16_kernelIDF16_hLN4vllm18Fp8KVCacheDataTypeE1EhLi16ELi128ELi256ELb0ELi14EL8MFMAType0EEvPKT_PKT0_S8_ifPKiSA_SA_iPKfiiiPfSD_PS3_PT2_iSC_SC_, .Lfunc_end1243-_Z39paged_attention_ll4mi_QKV_mfma16_kernelIDF16_hLN4vllm18Fp8KVCacheDataTypeE1EhLi16ELi128ELi256ELb0ELi14EL8MFMAType0EEvPKT_PKT0_S8_ifPKiSA_SA_iPKfiiiPfSD_PS3_PT2_iSC_SC_
                                        ; -- End function
	.section	.AMDGPU.csdata,"",@progbits
; Kernel info:
; codeLenInByte = 6804
; NumSgprs: 38
; NumVgprs: 150
; ScratchSize: 0
; MemoryBound: 0
; FloatMode: 240
; IeeeMode: 1
; LDSByteSize: 17472 bytes/workgroup (compile time only)
; SGPRBlocks: 4
; VGPRBlocks: 18
; NumSGPRsForWavesPerEU: 38
; NumVGPRsForWavesPerEU: 150
; Occupancy: 9
; WaveLimiterHint : 1
; COMPUTE_PGM_RSRC2:SCRATCH_EN: 0
; COMPUTE_PGM_RSRC2:USER_SGPR: 13
; COMPUTE_PGM_RSRC2:TRAP_HANDLER: 0
; COMPUTE_PGM_RSRC2:TGID_X_EN: 1
; COMPUTE_PGM_RSRC2:TGID_Y_EN: 1
; COMPUTE_PGM_RSRC2:TGID_Z_EN: 1
; COMPUTE_PGM_RSRC2:TIDIG_COMP_CNT: 0
	.section	.text._Z39paged_attention_ll4mi_QKV_mfma16_kernelIDF16_hLN4vllm18Fp8KVCacheDataTypeE1EhLi16ELi128ELi256ELb0ELi15EL8MFMAType0EEvPKT_PKT0_S8_ifPKiSA_SA_iPKfiiiPfSD_PS3_PT2_iSC_SC_,"axG",@progbits,_Z39paged_attention_ll4mi_QKV_mfma16_kernelIDF16_hLN4vllm18Fp8KVCacheDataTypeE1EhLi16ELi128ELi256ELb0ELi15EL8MFMAType0EEvPKT_PKT0_S8_ifPKiSA_SA_iPKfiiiPfSD_PS3_PT2_iSC_SC_,comdat
	.protected	_Z39paged_attention_ll4mi_QKV_mfma16_kernelIDF16_hLN4vllm18Fp8KVCacheDataTypeE1EhLi16ELi128ELi256ELb0ELi15EL8MFMAType0EEvPKT_PKT0_S8_ifPKiSA_SA_iPKfiiiPfSD_PS3_PT2_iSC_SC_ ; -- Begin function _Z39paged_attention_ll4mi_QKV_mfma16_kernelIDF16_hLN4vllm18Fp8KVCacheDataTypeE1EhLi16ELi128ELi256ELb0ELi15EL8MFMAType0EEvPKT_PKT0_S8_ifPKiSA_SA_iPKfiiiPfSD_PS3_PT2_iSC_SC_
	.globl	_Z39paged_attention_ll4mi_QKV_mfma16_kernelIDF16_hLN4vllm18Fp8KVCacheDataTypeE1EhLi16ELi128ELi256ELb0ELi15EL8MFMAType0EEvPKT_PKT0_S8_ifPKiSA_SA_iPKfiiiPfSD_PS3_PT2_iSC_SC_
	.p2align	8
	.type	_Z39paged_attention_ll4mi_QKV_mfma16_kernelIDF16_hLN4vllm18Fp8KVCacheDataTypeE1EhLi16ELi128ELi256ELb0ELi15EL8MFMAType0EEvPKT_PKT0_S8_ifPKiSA_SA_iPKfiiiPfSD_PS3_PT2_iSC_SC_,@function
_Z39paged_attention_ll4mi_QKV_mfma16_kernelIDF16_hLN4vllm18Fp8KVCacheDataTypeE1EhLi16ELi128ELi256ELb0ELi15EL8MFMAType0EEvPKT_PKT0_S8_ifPKiSA_SA_iPKfiiiPfSD_PS3_PT2_iSC_SC_: ; @_Z39paged_attention_ll4mi_QKV_mfma16_kernelIDF16_hLN4vllm18Fp8KVCacheDataTypeE1EhLi16ELi128ELi256ELb0ELi15EL8MFMAType0EEvPKT_PKT0_S8_ifPKiSA_SA_iPKfiiiPfSD_PS3_PT2_iSC_SC_
; %bb.0:
	s_load_b64 s[4:5], s[0:1], 0x30
	s_mov_b32 s34, s13
	s_waitcnt lgkmcnt(0)
	s_cmp_lg_u64 s[4:5], 0
	s_cselect_b32 s8, -1, 0
	s_ashr_i32 s35, s13, 31
	s_cmp_eq_u64 s[4:5], 0
	s_cbranch_scc1 .LBB1244_3
; %bb.1:
	s_lshl_b64 s[2:3], s[34:35], 2
	s_delay_alu instid0(SALU_CYCLE_1) | instskip(SKIP_4) | instid1(SALU_CYCLE_1)
	s_add_u32 s2, s4, s2
	s_addc_u32 s3, s5, s3
	s_load_b64 s[2:3], s[2:3], 0x0
	s_waitcnt lgkmcnt(0)
	s_sub_i32 s2, s3, s2
	s_cmp_eq_u32 s2, 1
	s_cselect_b32 s2, -1, 0
	s_delay_alu instid0(SALU_CYCLE_1)
	s_and_not1_b32 vcc_lo, exec_lo, s2
	s_cbranch_vccz .LBB1244_4
.LBB1244_2:
	s_nop 0
	s_sendmsg sendmsg(MSG_DEALLOC_VGPRS)
	s_endpgm
.LBB1244_3:
.LBB1244_4:
	s_load_b64 s[2:3], s[0:1], 0x28
	s_lshl_b64 s[6:7], s[34:35], 2
	s_waitcnt lgkmcnt(0)
	s_add_u32 s2, s2, s6
	s_addc_u32 s3, s3, s7
	s_lshl_b32 s12, s14, 8
	s_load_b32 s24, s[2:3], 0x0
	s_waitcnt lgkmcnt(0)
	s_cmp_ge_i32 s12, s24
	s_cbranch_scc1 .LBB1244_2
; %bb.5:
	s_clause 0x1
	s_load_b128 s[20:23], s[0:1], 0x8
	s_load_b64 s[2:3], s[0:1], 0x20
	s_and_not1_b32 vcc_lo, exec_lo, s8
	s_cbranch_vccnz .LBB1244_7
; %bb.6:
	s_add_u32 s4, s4, s6
	s_addc_u32 s5, s5, s7
	s_load_b32 s5, s[4:5], 0x0
	s_branch .LBB1244_8
.LBB1244_7:
	s_mov_b32 s5, s34
.LBB1244_8:
	s_load_b128 s[16:19], s[0:1], 0x48
	v_and_b32_e32 v68, 15, v0
	v_lshrrev_b32_e32 v69, 5, v0
	v_bfe_u32 v66, v0, 4, 1
	v_and_b32_e32 v70, 31, v0
	v_and_b32_e32 v67, 1, v0
	v_lshlrev_b32_e32 v2, 3, v68
	s_mul_i32 s31, s15, 15
	v_lshl_or_b32 v1, v69, 1, v66
	s_mov_b32 s4, exec_lo
	s_delay_alu instid0(VALU_DEP_2) | instskip(NEXT) | instid1(VALU_DEP_2)
	v_lshlrev_b32_e32 v65, 1, v2
	v_cmpx_gt_u32_e32 15, v1
	s_cbranch_execz .LBB1244_10
; %bb.9:
	s_load_b64 s[6:7], s[0:1], 0x0
	v_add_lshl_u32 v2, v1, s31, 7
	s_waitcnt lgkmcnt(0)
	s_mul_hi_i32 s9, s5, s16
	s_mul_i32 s8, s5, s16
	v_lshlrev_b32_e32 v6, 10, v68
	s_lshl_b64 s[8:9], s[8:9], 1
	v_ashrrev_i32_e32 v3, 31, v2
	v_lshlrev_b32_e32 v1, 6, v1
	v_lshlrev_b32_e32 v7, 10, v67
	v_and_b32_e32 v6, 0x3800, v6
	s_delay_alu instid0(VALU_DEP_4) | instskip(NEXT) | instid1(VALU_DEP_2)
	v_lshlrev_b64 v[2:3], 1, v[2:3]
	v_or3_b32 v1, v6, v7, v1
	s_add_u32 s5, s6, s8
	s_addc_u32 s6, s7, s9
	s_delay_alu instid0(VALU_DEP_2) | instskip(NEXT) | instid1(VALU_DEP_3)
	v_add_co_u32 v2, vcc_lo, s5, v2
	v_add_co_ci_u32_e32 v3, vcc_lo, s6, v3, vcc_lo
	s_delay_alu instid0(VALU_DEP_2) | instskip(NEXT) | instid1(VALU_DEP_2)
	v_add_co_u32 v2, vcc_lo, v2, v65
	v_add_co_ci_u32_e32 v3, vcc_lo, 0, v3, vcc_lo
	global_load_b128 v[2:5], v[2:3], off
	s_waitcnt vmcnt(0)
	ds_store_b128 v1, v[2:5]
.LBB1244_10:
	s_or_b32 exec_lo, exec_lo, s4
	v_and_b32_e32 v1, 0xef, v0
	s_waitcnt lgkmcnt(0)
	s_add_i32 s5, s24, 15
	s_clause 0x1
	s_load_b32 s4, s[0:1], 0x38
	s_load_b32 s33, s[0:1], 0x98
	s_ashr_i32 s6, s5, 31
	v_add_nc_u32_e32 v1, s12, v1
	s_lshr_b32 s6, s6, 28
	s_load_b32 s19, s[0:1], 0x1c
	s_add_i32 s5, s5, s6
	s_waitcnt lgkmcnt(0)
	v_ashrrev_i32_e32 v2, 31, v1
	v_or_b32_e32 v3, 16, v1
	s_ashr_i32 s13, s5, 4
	v_cmp_gt_i32_e32 vcc_lo, s24, v1
	s_add_i32 s13, s13, -1
	v_lshrrev_b32_e32 v2, 28, v2
	s_barrier
	buffer_gl0_inv
	s_mul_i32 s15, s15, s18
	v_add_nc_u32_e32 v4, v1, v2
	s_mul_i32 s4, s34, s4
	s_delay_alu instid0(SALU_CYCLE_1) | instskip(NEXT) | instid1(VALU_DEP_1)
	s_ashr_i32 s5, s4, 31
	v_ashrrev_i32_e32 v4, 4, v4
	v_add_nc_u32_e32 v2, v3, v2
	s_lshl_b64 s[4:5], s[4:5], 2
	s_delay_alu instid0(SALU_CYCLE_1) | instskip(NEXT) | instid1(VALU_DEP_2)
	s_add_u32 s16, s2, s4
	v_cndmask_b32_e32 v1, s13, v4, vcc_lo
	s_delay_alu instid0(VALU_DEP_2)
	v_ashrrev_i32_e32 v2, 4, v2
	v_cmp_gt_i32_e32 vcc_lo, s24, v3
	s_addc_u32 s25, s3, s5
	s_ashr_i32 s18, s15, 31
	s_add_u32 s26, s20, s15
	s_addc_u32 s27, s21, s18
	v_cndmask_b32_e32 v3, s13, v2, vcc_lo
	v_ashrrev_i32_e32 v2, 31, v1
	s_lshl_b32 s2, s14, 4
	s_delay_alu instid0(SALU_CYCLE_1) | instskip(NEXT) | instid1(VALU_DEP_2)
	s_ashr_i32 s3, s2, 31
	v_ashrrev_i32_e32 v4, 31, v3
	s_delay_alu instid0(VALU_DEP_2) | instskip(SKIP_1) | instid1(SALU_CYCLE_1)
	v_lshlrev_b64 v[1:2], 2, v[1:2]
	s_lshl_b64 s[2:3], s[2:3], 2
	s_add_u32 s2, s16, s2
	s_delay_alu instid0(VALU_DEP_2) | instskip(SKIP_1) | instid1(VALU_DEP_2)
	v_lshlrev_b64 v[3:4], 2, v[3:4]
	s_addc_u32 s3, s25, s3
	v_add_co_u32 v1, vcc_lo, s16, v1
	v_add_co_ci_u32_e32 v2, vcc_lo, s25, v2, vcc_lo
	s_delay_alu instid0(VALU_DEP_3) | instskip(NEXT) | instid1(VALU_DEP_4)
	v_add_co_u32 v3, vcc_lo, s16, v3
	v_add_co_ci_u32_e32 v4, vcc_lo, s25, v4, vcc_lo
	s_clause 0x1
	global_load_b32 v5, v[1:2], off
	global_load_b32 v7, v[3:4], off
	s_or_b32 s4, s12, 32
	v_lshlrev_b32_e32 v1, 4, v0
	s_ashr_i32 s5, s4, 4
	s_cmp_lt_i32 s4, s24
	v_cmp_ne_u32_e32 vcc_lo, 15, v68
	s_cselect_b32 s4, s5, s13
	v_and_b32_e32 v1, 0xf0, v1
	s_ashr_i32 s5, s4, 31
	s_delay_alu instid0(SALU_CYCLE_1) | instskip(NEXT) | instid1(SALU_CYCLE_1)
	s_lshl_b64 s[4:5], s[4:5], 2
	s_add_u32 s4, s16, s4
	s_addc_u32 s5, s25, s5
	s_or_b32 s6, s12, 64
	v_add_co_u32 v1, s26, s26, v1
	s_ashr_i32 s7, s6, 4
	s_cmp_lt_i32 s6, s24
	v_add_co_ci_u32_e64 v2, null, s27, 0, s26
	s_cselect_b32 s6, s7, s13
	s_delay_alu instid0(SALU_CYCLE_1) | instskip(NEXT) | instid1(SALU_CYCLE_1)
	s_ashr_i32 s7, s6, 31
	s_lshl_b64 s[6:7], s[6:7], 2
	s_delay_alu instid0(SALU_CYCLE_1) | instskip(SKIP_2) | instid1(SALU_CYCLE_1)
	s_add_u32 s6, s16, s6
	s_addc_u32 s7, s25, s7
	s_or_b32 s8, s12, 0x60
	s_ashr_i32 s9, s8, 4
	s_cmp_lt_i32 s8, s24
	s_cselect_b32 s8, s9, s13
	s_delay_alu instid0(SALU_CYCLE_1) | instskip(NEXT) | instid1(SALU_CYCLE_1)
	s_ashr_i32 s9, s8, 31
	s_lshl_b64 s[8:9], s[8:9], 2
	s_delay_alu instid0(SALU_CYCLE_1) | instskip(SKIP_2) | instid1(SALU_CYCLE_1)
	s_add_u32 s8, s16, s8
	s_addc_u32 s9, s25, s9
	s_or_b32 s10, s12, 0x80
	s_ashr_i32 s11, s10, 4
	s_cmp_lt_i32 s10, s24
	;; [unrolled: 10-line block ×3, first 2 shown]
	s_cselect_b32 s20, s21, s13
	s_delay_alu instid0(SALU_CYCLE_1) | instskip(NEXT) | instid1(SALU_CYCLE_1)
	s_ashr_i32 s21, s20, 31
	s_lshl_b64 s[20:21], s[20:21], 2
	s_delay_alu instid0(SALU_CYCLE_1)
	s_add_u32 s20, s16, s20
	s_addc_u32 s21, s25, s21
	s_clause 0x5
	s_load_b32 s26, s[2:3], 0x0
	s_load_b32 s27, s[4:5], 0x0
	;; [unrolled: 1-line block ×6, first 2 shown]
	s_or_b32 s2, s12, 0xc0
	s_mov_b32 s4, 0
	s_ashr_i32 s3, s2, 4
	s_cmp_lt_i32 s2, s24
	s_mov_b32 s11, s4
	s_cselect_b32 s2, s3, s13
	s_mov_b32 s5, s4
	s_ashr_i32 s3, s2, 31
	s_mov_b32 s6, s4
	s_lshl_b64 s[2:3], s[2:3], 2
	s_mov_b32 s7, s4
	s_add_u32 s2, s16, s2
	s_addc_u32 s3, s25, s3
	s_or_b32 s20, s12, 0xe0
	s_mov_b32 s8, s4
	s_ashr_i32 s21, s20, 4
	s_cmp_lt_i32 s20, s24
	s_mov_b32 s9, s4
	s_cselect_b32 s20, s21, s13
	s_mov_b32 s10, s4
	s_ashr_i32 s21, s20, 31
	v_mov_b32_e32 v118, s11
	v_dual_mov_b32 v112, s5 :: v_dual_mov_b32 v117, s10
	v_dual_mov_b32 v116, s9 :: v_dual_mov_b32 v115, s8
	;; [unrolled: 1-line block ×3, first 2 shown]
	v_mov_b32_e32 v111, s4
	s_lshl_b64 s[4:5], s[20:21], 2
	s_delay_alu instid0(SALU_CYCLE_1)
	s_add_u32 s4, s16, s4
	s_addc_u32 s5, s25, s5
	s_add_u32 s6, s22, s15
	s_addc_u32 s7, s23, s18
	s_waitcnt vmcnt(1)
	v_mad_i64_i32 v[3:4], null, v5, s17, v[1:2]
	s_waitcnt vmcnt(0)
	v_mad_i64_i32 v[5:6], null, v7, s17, v[1:2]
	v_cndmask_b32_e32 v1, 0, v68, vcc_lo
	v_lshlrev_b32_e32 v2, 4, v68
	s_clause 0xf
	global_load_b128 v[17:20], v[3:4], off
	global_load_b128 v[21:24], v[3:4], off offset:256
	global_load_b128 v[25:28], v[5:6], off
	global_load_b128 v[29:32], v[5:6], off offset:256
	global_load_b128 v[57:60], v[3:4], off offset:512
	;; [unrolled: 1-line block ×13, first 2 shown]
	v_lshlrev_b32_e32 v149, 6, v1
	v_lshl_or_b32 v1, v69, 8, v2
	ds_load_b128 v[119:122], v149
	ds_load_b128 v[123:126], v149 offset:1024
	ds_load_b128 v[127:130], v149 offset:2048
	;; [unrolled: 1-line block ×3, first 2 shown]
	s_clause 0x1
	s_load_b32 s2, s[2:3], 0x0
	s_load_b32 s3, s[4:5], 0x0
	v_add_co_u32 v135, s6, s6, v1
	s_delay_alu instid0(VALU_DEP_1) | instskip(SKIP_1) | instid1(VALU_DEP_1)
	v_add_co_ci_u32_e64 v136, null, s7, 0, s6
	s_waitcnt lgkmcnt(0)
	v_mad_i64_i32 v[1:2], null, s26, s17, v[135:136]
	v_mad_i64_i32 v[3:4], null, s27, s17, v[135:136]
	;; [unrolled: 1-line block ×6, first 2 shown]
	s_clause 0x9
	global_load_b128 v[49:52], v[1:2], off
	global_load_b128 v[53:56], v[1:2], off offset:16
	global_load_b128 v[41:44], v[3:4], off
	global_load_b128 v[45:48], v[3:4], off offset:16
	;; [unrolled: 2-line block ×5, first 2 shown]
	v_mad_i64_i32 v[145:146], null, s2, s17, v[135:136]
	v_mad_i64_i32 v[147:148], null, s3, s17, v[135:136]
	s_waitcnt vmcnt(24)
	v_wmma_f32_16x16x16_f16 v[135:142], v[17:24], v[119:126], v[111:118]
	s_waitcnt vmcnt(22)
	v_wmma_f32_16x16x16_f16 v[111:118], v[25:32], v[119:126], v[111:118]
	s_clause 0x3
	global_load_b128 v[17:20], v[143:144], off
	global_load_b128 v[21:24], v[143:144], off offset:16
	global_load_b128 v[25:28], v[145:146], off
	global_load_b128 v[29:32], v[145:146], off offset:16
	v_and_b32_e32 v119, 0xe0, v0
	s_waitcnt vmcnt(24)
	v_wmma_f32_16x16x16_f16 v[135:142], v[57:64], v[127:134], v[135:142]
	s_clause 0x1
	global_load_b128 v[57:60], v[147:148], off
	global_load_b128 v[61:64], v[147:148], off offset:16
	s_waitcnt vmcnt(24)
	v_wmma_f32_16x16x16_f16 v[111:118], v[71:78], v[127:134], v[111:118]
	ds_load_b128 v[71:74], v149 offset:4096
	ds_load_b128 v[75:78], v149 offset:5120
	v_add_nc_u32_e32 v128, s12, v119
	ds_load_b128 v[119:122], v149 offset:6144
	ds_load_b128 v[123:126], v149 offset:7168
	v_mbcnt_lo_u32_b32 v127, -1, 0
	s_waitcnt vmcnt(0) lgkmcnt(0)
	s_barrier
	v_or_b32_e32 v128, v128, v66
	buffer_gl0_inv
	v_xor_b32_e32 v129, 16, v127
	v_or_b32_e32 v130, 4, v128
	v_or_b32_e32 v131, 6, v128
	s_delay_alu instid0(VALU_DEP_3) | instskip(SKIP_4) | instid1(VALU_DEP_4)
	v_cmp_gt_i32_e32 vcc_lo, 32, v129
	v_or_b32_e32 v132, 8, v128
	v_or_b32_e32 v133, 10, v128
	v_cmp_gt_i32_e64 s3, s24, v130
	v_cmp_gt_i32_e64 s4, s24, v131
	;; [unrolled: 1-line block ×3, first 2 shown]
	v_wmma_f32_16x16x16_f16 v[135:142], v[79:86], v[71:78], v[135:142]
	v_wmma_f32_16x16x16_f16 v[111:118], v[87:94], v[71:78], v[111:118]
	v_or_b32_e32 v79, 12, v128
	v_or_b32_e32 v80, 14, v128
	v_cmp_gt_i32_e64 s6, s24, v133
	v_wmma_f32_16x16x16_f16 v[135:142], v[95:102], v[119:126], v[135:142]
	v_wmma_f32_16x16x16_f16 v[111:118], v[103:110], v[119:126], v[111:118]
	v_cndmask_b32_e32 v127, v127, v129, vcc_lo
	v_or_b32_e32 v129, 2, v128
	v_cmp_gt_i32_e32 vcc_lo, s24, v128
	s_delay_alu instid0(VALU_DEP_4) | instskip(SKIP_1) | instid1(VALU_DEP_4)
	v_dual_mul_f32 v87, s19, v136 :: v_dual_mul_f32 v94, s19, v113
	v_mul_f32_e32 v88, s19, v135
	v_cmp_gt_i32_e64 s2, s24, v129
	v_mul_f32_e32 v78, s19, v138
	v_mul_f32_e32 v86, s19, v137
	;; [unrolled: 1-line block ×3, first 2 shown]
	v_cndmask_b32_e32 v88, 0xff7fffff, v88, vcc_lo
	v_cndmask_b32_e64 v87, 0xff7fffff, v87, s2
	v_dual_mul_f32 v77, s19, v139 :: v_dual_mul_f32 v90, s19, v117
	v_cndmask_b32_e64 v86, 0xff7fffff, v86, s3
	v_cndmask_b32_e64 v78, 0xff7fffff, v78, s4
	s_delay_alu instid0(VALU_DEP_4)
	v_max3_f32 v87, v88, 0xff7fffff, v87
	v_or_b32_e32 v81, 16, v128
	v_or_b32_e32 v82, 18, v128
	v_dual_mul_f32 v74, s19, v142 :: v_dual_mul_f32 v75, s19, v141
	v_mul_f32_e32 v96, s19, v111
	v_cndmask_b32_e64 v77, 0xff7fffff, v77, s5
	v_cndmask_b32_e64 v76, 0xff7fffff, v76, s6
	v_max3_f32 v78, v87, v86, v78
	v_cmp_gt_i32_e64 s7, s24, v79
	v_cmp_gt_i32_e64 s8, s24, v80
	v_or_b32_e32 v83, 20, v128
	v_or_b32_e32 v84, 22, v128
	v_mul_f32_e32 v95, s19, v112
	v_cndmask_b32_e64 v75, 0xff7fffff, v75, s7
	v_cndmask_b32_e64 v74, 0xff7fffff, v74, s8
	v_max3_f32 v76, v78, v77, v76
	v_cmp_gt_i32_e64 s9, s24, v81
	v_cmp_gt_i32_e64 s10, s24, v82
	v_or_b32_e32 v85, 24, v128
	v_or_b32_e32 v71, 26, v128
	;; [unrolled: 8-line block ×3, first 2 shown]
	v_dual_mul_f32 v91, s19, v116 :: v_dual_mul_f32 v92, s19, v115
	v_cndmask_b32_e64 v75, 0xff7fffff, v94, s11
	v_cndmask_b32_e64 v76, 0xff7fffff, v93, s12
	v_max3_f32 v74, v74, v77, v78
	v_cmp_gt_i32_e64 s13, s24, v85
	v_cmp_gt_i32_e64 s15, s24, v71
	v_mul_f32_e32 v89, s19, v118
	v_cmp_gt_i32_e64 s16, s24, v72
	v_max3_f32 v74, v74, v75, v76
	v_cndmask_b32_e64 v77, 0xff7fffff, v92, s13
	v_cndmask_b32_e64 v71, 0xff7fffff, v91, s15
	v_cmp_gt_i32_e64 s17, s24, v73
	v_cndmask_b32_e64 v72, 0xff7fffff, v90, s16
	s_delay_alu instid0(VALU_DEP_3) | instskip(SKIP_1) | instid1(VALU_DEP_4)
	v_max3_f32 v71, v74, v77, v71
	v_lshlrev_b32_e32 v74, 2, v127
	v_cndmask_b32_e64 v73, 0xff7fffff, v89, s17
	s_delay_alu instid0(VALU_DEP_1) | instskip(SKIP_3) | instid1(VALU_DEP_1)
	v_max3_f32 v71, v71, v72, v73
	ds_bpermute_b32 v72, v74, v71
	s_waitcnt lgkmcnt(0)
	v_max_f32_e32 v72, v72, v72
	v_max_f32_e32 v71, v71, v72
	s_delay_alu instid0(VALU_DEP_1) | instskip(SKIP_4) | instid1(VALU_DEP_4)
	v_fma_f32 v72, s19, v135, -v71
	v_fma_f32 v73, s19, v136, -v71
	v_fma_f32 v75, s19, v137, -v71
	v_fma_f32 v76, s19, v138, -v71
	v_fma_f32 v77, s19, v139, -v71
	v_dual_mul_f32 v72, 0x3fb8aa3b, v72 :: v_dual_mul_f32 v73, 0x3fb8aa3b, v73
	s_delay_alu instid0(VALU_DEP_3) | instskip(SKIP_1) | instid1(VALU_DEP_3)
	v_dual_mul_f32 v75, 0x3fb8aa3b, v75 :: v_dual_mul_f32 v76, 0x3fb8aa3b, v76
	v_fma_f32 v80, s19, v141, -v71
	v_exp_f32_e32 v72, v72
	s_delay_alu instid0(VALU_DEP_3) | instskip(NEXT) | instid1(VALU_DEP_2)
	v_exp_f32_e32 v73, v73
	v_exp_f32_e32 v75, v75
	;; [unrolled: 1-line block ×3, first 2 shown]
	v_mul_f32_e32 v82, 0x3fb8aa3b, v80
	s_delay_alu instid0(VALU_DEP_1) | instskip(SKIP_4) | instid1(TRANS32_DEP_3)
	v_exp_f32_e32 v84, v82
	v_cndmask_b32_e32 v79, 0, v72, vcc_lo
	v_fma_f32 v72, s19, v140, -v71
	v_mul_f32_e32 v77, 0x3fb8aa3b, v77
	v_cndmask_b32_e64 v78, 0, v73, s2
	v_cndmask_b32_e64 v81, 0, v75, s3
	s_delay_alu instid0(VALU_DEP_4) | instskip(NEXT) | instid1(VALU_DEP_4)
	v_dual_add_f32 v73, 0, v79 :: v_dual_mul_f32 v72, 0x3fb8aa3b, v72
	v_exp_f32_e32 v77, v77
	v_cndmask_b32_e64 v80, 0, v76, s4
	s_delay_alu instid0(TRANS32_DEP_2) | instskip(NEXT) | instid1(VALU_DEP_3)
	v_cndmask_b32_e64 v85, 0, v84, s7
	v_add_f32_e32 v73, v73, v78
	v_exp_f32_e32 v72, v72
	v_cmp_gt_u32_e64 s2, 16, v70
	s_delay_alu instid0(VALU_DEP_2) | instskip(NEXT) | instid1(TRANS32_DEP_2)
	v_add_f32_e32 v73, v73, v81
	v_cndmask_b32_e64 v83, 0, v77, s5
	s_delay_alu instid0(VALU_DEP_2) | instskip(SKIP_3) | instid1(VALU_DEP_1)
	v_add_f32_e32 v73, v73, v80
	s_waitcnt_depctr 0xfff
	v_cndmask_b32_e64 v82, 0, v72, s6
	v_add_f32_e32 v72, v73, v83
	v_add_f32_e32 v72, v72, v82
	s_delay_alu instid0(VALU_DEP_1)
	v_add_f32_e32 v72, v72, v85
	v_fma_f32 v76, s19, v111, -v71
	v_fma_f32 v75, s19, v142, -v71
	;; [unrolled: 1-line block ×5, first 2 shown]
	s_delay_alu instid0(VALU_DEP_4) | instskip(NEXT) | instid1(VALU_DEP_3)
	v_dual_mul_f32 v76, 0x3fb8aa3b, v76 :: v_dual_mul_f32 v75, 0x3fb8aa3b, v75
	v_mul_f32_e32 v86, 0x3fb8aa3b, v86
	s_delay_alu instid0(VALU_DEP_2) | instskip(NEXT) | instid1(VALU_DEP_2)
	v_exp_f32_e32 v76, v76
	v_exp_f32_e32 v75, v75
	s_delay_alu instid0(VALU_DEP_1) | instskip(NEXT) | instid1(TRANS32_DEP_3)
	v_exp_f32_e32 v88, v86
	v_cndmask_b32_e64 v87, 0, v76, s9
	v_fma_f32 v76, s19, v116, -v71
	v_mul_f32_e32 v77, 0x3fb8aa3b, v77
	s_waitcnt_depctr 0xfff
	v_cndmask_b32_e64 v84, 0, v75, s8
	v_fma_f32 v75, s19, v115, -v71
	v_cndmask_b32_e64 v88, 0, v88, s12
	v_mul_f32_e32 v76, 0x3fb8aa3b, v76
	v_exp_f32_e32 v77, v77
	v_add_f32_e32 v72, v72, v84
	s_delay_alu instid0(VALU_DEP_2) | instskip(NEXT) | instid1(VALU_DEP_1)
	v_exp_f32_e32 v76, v76
	v_add_f32_e32 v72, v72, v87
	s_waitcnt_depctr 0xfff
	v_cndmask_b32_e64 v86, 0, v77, s10
	v_mul_f32_e32 v73, 0x3fb8aa3b, v73
	v_fma_f32 v77, s19, v117, -v71
	v_cndmask_b32_e64 v90, 0, v76, s15
	s_delay_alu instid0(VALU_DEP_4) | instskip(NEXT) | instid1(VALU_DEP_4)
	v_add_f32_e32 v72, v72, v86
	v_exp_f32_e32 v73, v73
	s_waitcnt_depctr 0xfff
	v_cndmask_b32_e64 v89, 0, v73, s11
	s_delay_alu instid0(VALU_DEP_1) | instskip(NEXT) | instid1(VALU_DEP_1)
	v_dual_mul_f32 v75, 0x3fb8aa3b, v75 :: v_dual_add_f32 v72, v72, v89
	v_exp_f32_e32 v75, v75
	v_mul_f32_e32 v73, 0x3fb8aa3b, v77
	v_fma_f32 v77, s19, v118, -v71
	s_delay_alu instid0(VALU_DEP_3) | instskip(NEXT) | instid1(VALU_DEP_3)
	v_add_f32_e32 v72, v72, v88
	v_exp_f32_e32 v73, v73
	s_waitcnt_depctr 0xfff
	v_cndmask_b32_e64 v91, 0, v75, s13
	s_delay_alu instid0(VALU_DEP_1) | instskip(NEXT) | instid1(VALU_DEP_1)
	v_dual_mul_f32 v75, 0x3fb8aa3b, v77 :: v_dual_add_f32 v72, v72, v91
	v_exp_f32_e32 v75, v75
	v_cndmask_b32_e64 v93, 0, v73, s16
	s_delay_alu instid0(VALU_DEP_2) | instskip(NEXT) | instid1(VALU_DEP_1)
	v_add_f32_e32 v72, v72, v90
	v_add_f32_e32 v72, v72, v93
	s_waitcnt_depctr 0xfff
	v_cndmask_b32_e64 v92, 0, v75, s17
	s_delay_alu instid0(VALU_DEP_1)
	v_add_f32_e32 v72, v72, v92
	ds_bpermute_b32 v73, v74, v72
	s_and_saveexec_b32 s3, s2
	s_cbranch_execz .LBB1244_12
; %bb.11:
	v_mul_u32_u24_e32 v70, 0x44, v69
	s_waitcnt lgkmcnt(0)
	v_add_f32_e32 v72, v72, v73
	s_delay_alu instid0(VALU_DEP_2) | instskip(NEXT) | instid1(VALU_DEP_1)
	v_lshl_add_u32 v70, v68, 2, v70
	v_add_nc_u32_e32 v70, 0x4000, v70
	ds_store_2addr_b32 v70, v71, v72 offset1:136
.LBB1244_12:
	s_or_b32 exec_lo, exec_lo, s3
	v_lshlrev_b32_e32 v70, 2, v68
	s_load_b32 s35, s[0:1], 0x94
	s_waitcnt lgkmcnt(0)
	s_barrier
	buffer_gl0_inv
	v_add_nc_u32_e32 v98, 0x4000, v70
	v_cmp_eq_u32_e32 vcc_lo, 1, v69
	v_cmp_eq_u32_e64 s3, 2, v69
	v_cmp_eq_u32_e64 s4, 3, v69
	;; [unrolled: 1-line block ×3, first 2 shown]
	ds_load_2addr_b32 v[70:71], v98 offset1:17
	ds_load_2addr_b32 v[72:73], v98 offset0:34 offset1:51
	ds_load_2addr_b32 v[74:75], v98 offset0:68 offset1:85
	;; [unrolled: 1-line block ×3, first 2 shown]
	v_cmp_eq_u32_e64 s6, 5, v69
	v_cmp_eq_u32_e64 s7, 7, v69
	s_waitcnt lgkmcnt(3)
	v_max3_f32 v76, v70, 0xff7fffff, v71
	s_waitcnt lgkmcnt(2)
	s_delay_alu instid0(VALU_DEP_1) | instskip(SKIP_1) | instid1(VALU_DEP_1)
	v_max3_f32 v76, v76, v72, v73
	s_waitcnt lgkmcnt(1)
	v_max3_f32 v76, v76, v74, v75
	s_waitcnt lgkmcnt(0)
	s_delay_alu instid0(VALU_DEP_1) | instskip(NEXT) | instid1(VALU_DEP_1)
	v_max3_f32 v76, v76, v94, v95
	v_sub_f32_e32 v77, v71, v76
	ds_load_2addr_b32 v[96:97], v98 offset0:136 offset1:153
	v_sub_f32_e32 v74, v74, v76
	v_sub_f32_e32 v70, v70, v76
	;; [unrolled: 1-line block ×3, first 2 shown]
	v_dual_sub_f32 v72, v72, v76 :: v_dual_mul_f32 v77, 0x3fb8aa3b, v77
	s_delay_alu instid0(VALU_DEP_4) | instskip(NEXT) | instid1(VALU_DEP_4)
	v_mul_f32_e32 v103, 0x3fb8aa3b, v74
	v_mul_f32_e32 v99, 0x3fb8aa3b, v70
	ds_load_2addr_b32 v[70:71], v98 offset0:170 offset1:187
	v_dual_mul_f32 v101, 0x3fb8aa3b, v72 :: v_dual_mul_f32 v94, 0x3fb8aa3b, v94
	v_exp_f32_e32 v102, v77
	v_exp_f32_e32 v99, v99
	s_delay_alu instid0(VALU_DEP_1) | instskip(NEXT) | instid1(VALU_DEP_1)
	v_exp_f32_e32 v101, v101
	v_exp_f32_e32 v94, v94
	s_waitcnt lgkmcnt(1)
	s_delay_alu instid0(TRANS32_DEP_3)
	v_fma_f32 v77, v99, v96, 0
	v_sub_f32_e32 v100, v73, v76
	ds_load_2addr_b32 v[72:73], v98 offset0:204 offset1:221
	v_fmac_f32_e32 v77, v102, v97
	v_exp_f32_e32 v97, v103
	s_waitcnt lgkmcnt(1)
	s_delay_alu instid0(VALU_DEP_1)
	v_dual_fmac_f32 v77, v101, v70 :: v_dual_sub_f32 v96, v75, v76
	ds_load_2addr_b32 v[74:75], v98 offset0:238 offset1:255
	v_sub_f32_e32 v70, v95, v76
	s_waitcnt lgkmcnt(0)
	s_barrier
	v_mul_f32_e32 v96, 0x3fb8aa3b, v96
	buffer_gl0_inv
	v_exp_f32_e32 v95, v96
	v_mul_f32_e32 v100, 0x3fb8aa3b, v100
	s_delay_alu instid0(VALU_DEP_1) | instskip(SKIP_3) | instid1(VALU_DEP_2)
	v_exp_f32_e32 v100, v100
	s_waitcnt_depctr 0xfff
	v_dual_fmac_f32 v77, v100, v71 :: v_dual_mul_f32 v70, 0x3fb8aa3b, v70
	v_cndmask_b32_e32 v71, v99, v102, vcc_lo
	v_fmac_f32_e32 v77, v97, v72
	s_delay_alu instid0(VALU_DEP_3) | instskip(NEXT) | instid1(VALU_DEP_1)
	v_exp_f32_e32 v96, v70
	v_fmac_f32_e32 v77, v95, v73
	s_delay_alu instid0(VALU_DEP_1) | instskip(SKIP_2) | instid1(VALU_DEP_1)
	v_fmac_f32_e32 v77, v94, v74
	s_waitcnt_depctr 0xfff
	v_fmac_f32_e32 v77, v96, v75
	v_add_f32_e32 v74, 0x358637bd, v77
	s_delay_alu instid0(VALU_DEP_1) | instskip(SKIP_1) | instid1(VALU_DEP_2)
	v_div_scale_f32 v98, null, v74, v74, 1.0
	v_div_scale_f32 v99, vcc_lo, 1.0, v74, 1.0
	v_rcp_f32_e32 v103, v98
	s_waitcnt_depctr 0xfff
	v_fma_f32 v70, -v98, v103, 1.0
	s_delay_alu instid0(VALU_DEP_1) | instskip(SKIP_2) | instid1(VALU_DEP_2)
	v_fmac_f32_e32 v103, v70, v103
	v_cndmask_b32_e64 v70, v71, v101, s3
	v_cmp_eq_u32_e64 s3, 6, v69
	v_cndmask_b32_e64 v71, v70, v100, s4
	s_delay_alu instid0(VALU_DEP_4) | instskip(NEXT) | instid1(VALU_DEP_2)
	v_dual_mul_f32 v101, v99, v103 :: v_dual_lshlrev_b32 v70, 2, v66
	v_cndmask_b32_e64 v71, v71, v97, s5
	s_delay_alu instid0(VALU_DEP_2) | instskip(NEXT) | instid1(VALU_DEP_3)
	v_or_b32_e32 v72, 1, v70
	v_fma_f32 v100, -v98, v101, v99
	v_cmp_eq_u32_e64 s4, 1, v70
	v_cmp_eq_u32_e64 s5, 2, v70
	v_cndmask_b32_e64 v95, v71, v95, s6
	v_or_b32_e32 v71, 3, v70
	v_fmac_f32_e32 v101, v100, v103
	v_cmp_eq_u32_e64 s9, 1, v72
	v_cmp_eq_u32_e64 s12, 2, v72
	v_cndmask_b32_e64 v94, v95, v94, s3
	v_cmp_eq_u32_e64 s11, 1, v71
	v_fma_f32 v97, -v98, v101, v99
	v_cmp_eq_u32_e64 s16, 2, v71
	v_cmp_eq_u32_e64 s13, 3, v72
	v_cndmask_b32_e64 v94, v94, v96, s7
	v_cmp_eq_u32_e64 s18, 3, v71
	v_div_fmas_f32 v95, v97, v103, v101
	v_cmp_eq_u32_e32 vcc_lo, 3, v70
	v_cmp_eq_u32_e64 s3, 4, v70
	v_cmp_eq_u32_e64 s19, 4, v72
	;; [unrolled: 1-line block ×3, first 2 shown]
	v_div_fixup_f32 v95, v95, v74, 1.0
	v_lshlrev_b32_e32 v73, 6, v68
	v_cmp_eq_u32_e64 s6, 5, v70
	v_cmp_eq_u32_e64 s20, 5, v72
	;; [unrolled: 1-line block ×3, first 2 shown]
	v_mul_f32_e32 v102, v94, v95
	v_lshl_or_b32 v75, v69, 11, v73
	v_or_b32_e32 v69, 2, v70
	v_cmp_eq_u32_e64 s25, 6, v72
	v_cmp_eq_u32_e64 s27, 6, v71
	v_fma_mixlo_f16 v94, v102, v79, 0
	v_fma_mixlo_f16 v95, v102, v81, 0
	;; [unrolled: 1-line block ×8, first 2 shown]
	v_lshl_or_b32 v74, v66, 4, v75
	v_fma_mixhi_f16 v94, v102, v78, 0
	v_fma_mixhi_f16 v95, v102, v80, 0
	v_fma_mixhi_f16 v96, v102, v82, 0
	v_fma_mixhi_f16 v97, v102, v84, 0
	v_fma_mixhi_f16 v98, v102, v86, 0
	v_fma_mixhi_f16 v99, v102, v88, 0
	v_fma_mixhi_f16 v100, v102, v90, 0
	v_fma_mixhi_f16 v101, v102, v92, 0
	ds_store_b128 v74, v[94:97]
	ds_store_b128 v74, v[98:101] offset:1024
	s_waitcnt lgkmcnt(0)
	s_barrier
	buffer_gl0_inv
	ds_load_b128 v[78:81], v75
	ds_load_b128 v[82:85], v75 offset:16
	ds_load_b128 v[86:89], v75 offset:1024
	ds_load_b128 v[90:93], v75 offset:1040
	v_cmp_eq_u32_e64 s10, 1, v69
	v_cmp_eq_u32_e64 s15, 2, v69
	;; [unrolled: 1-line block ×11, first 2 shown]
	s_waitcnt lgkmcnt(3)
	v_lshrrev_b32_e32 v94, 16, v78
	s_waitcnt lgkmcnt(2)
	v_lshrrev_b32_e32 v98, 16, v82
	;; [unrolled: 2-line block ×4, first 2 shown]
	v_lshrrev_b32_e32 v95, 16, v79
	v_cndmask_b32_e64 v110, v78, v94, s4
	v_cndmask_b32_e64 v111, v82, v98, s4
	;; [unrolled: 1-line block ×8, first 2 shown]
	v_lshrrev_b32_e32 v99, 16, v83
	v_cndmask_b32_e64 v94, v86, v102, s4
	v_cndmask_b32_e64 v98, v90, v106, s4
	;; [unrolled: 1-line block ×15, first 2 shown]
	v_lshrrev_b32_e32 v103, 16, v87
	v_lshrrev_b32_e32 v107, 16, v91
	v_cndmask_b32_e64 v113, v115, v83, s15
	v_cndmask_b32_e64 v82, v94, v87, s5
	;; [unrolled: 1-line block ×7, first 2 shown]
	v_cndmask_b32_e32 v90, v102, v95, vcc_lo
	v_cndmask_b32_e32 v102, v106, v99, vcc_lo
	v_cndmask_b32_e64 v106, v110, v95, s13
	v_cndmask_b32_e64 v110, v111, v99, s13
	;; [unrolled: 1-line block ×4, first 2 shown]
	v_lshrrev_b32_e32 v96, 16, v80
	v_lshrrev_b32_e32 v100, 16, v84
	v_cndmask_b32_e64 v111, v112, v95, s17
	v_cndmask_b32_e64 v112, v113, v99, s17
	v_cndmask_b32_e32 v82, v82, v103, vcc_lo
	v_cndmask_b32_e32 v83, v83, v107, vcc_lo
	v_cndmask_b32_e64 v94, v94, v103, s13
	v_cndmask_b32_e64 v90, v90, v80, s3
	;; [unrolled: 1-line block ×7, first 2 shown]
	v_lshrrev_b32_e32 v104, 16, v88
	v_cndmask_b32_e64 v106, v111, v80, s21
	v_cndmask_b32_e64 v110, v112, v84, s21
	;; [unrolled: 1-line block ×11, first 2 shown]
	v_lshrrev_b32_e32 v97, 16, v81
	v_lshrrev_b32_e32 v101, 16, v85
	v_cndmask_b32_e64 v99, v106, v96, s23
	v_cndmask_b32_e64 v102, v110, v100, s23
	;; [unrolled: 1-line block ×7, first 2 shown]
	v_lshrrev_b32_e32 v105, 16, v89
	v_cndmask_b32_e64 v80, v80, v104, s6
	v_cndmask_b32_e64 v84, v84, v81, s7
	v_cndmask_b32_e64 v90, v90, v85, s7
	v_cndmask_b32_e64 v96, v99, v81, s26
	v_cndmask_b32_e64 v99, v102, v85, s26
	v_cndmask_b32_e64 v81, v83, v89, s25
	v_cndmask_b32_e64 v85, v94, v97, s30
	v_cndmask_b32_e64 v78, v78, v97, s29
	v_cndmask_b32_e64 v79, v79, v101, s29
	v_cndmask_b32_e64 v95, v95, v101, s30
	v_cndmask_b32_e64 v80, v80, v89, s7
	v_cndmask_b32_e64 v83, v84, v97, s8
	v_cndmask_b32_e64 v84, v90, v101, s8
	v_cndmask_b32_e64 v90, v96, v97, s28
	v_cndmask_b32_e64 v94, v99, v101, s28
	v_cndmask_b32_e64 v97, v81, v105, s30
	v_perm_b32 v81, v79, v78, 0x5040100
	v_perm_b32 v79, v95, v85, 0x5040100
	v_cndmask_b32_e64 v78, v119, v91, s15
	v_cndmask_b32_e64 v85, v117, v91, s12
	v_cndmask_b32_e64 v96, v80, v105, s8
	v_perm_b32 v80, v94, v90, 0x5040100
	v_cndmask_b32_e64 v90, v98, v103, s17
	v_cndmask_b32_e64 v86, v86, v103, s18
	;; [unrolled: 1-line block ×5, first 2 shown]
	v_lshrrev_b32_e32 v108, 16, v92
	v_cndmask_b32_e64 v90, v90, v88, s21
	v_cndmask_b32_e64 v86, v86, v88, s22
	;; [unrolled: 1-line block ×11, first 2 shown]
	v_lshrrev_b32_e32 v109, 16, v93
	v_cndmask_b32_e64 v82, v82, v93, s7
	v_cndmask_b32_e64 v88, v88, v89, s26
	;; [unrolled: 1-line block ×12, first 2 shown]
	v_perm_b32 v78, v84, v83, 0x5040100
	v_perm_b32 v85, v87, v86, 0x5040100
	v_perm_b32 v84, v89, v88, 0x5040100
	v_perm_b32 v83, v90, v97, 0x5040100
	v_perm_b32 v82, v82, v96, 0x5040100
	s_mul_i32 s8, s33, 15
	s_mov_b32 s3, exec_lo
	ds_store_b128 v74, v[78:81]
	ds_store_b128 v74, v[82:85] offset:1024
	v_cmpx_gt_u32_e32 15, v0
	s_cbranch_execz .LBB1244_14
; %bb.13:
	s_mul_i32 s4, s8, s34
	s_delay_alu instid0(SALU_CYCLE_1) | instskip(SKIP_1) | instid1(VALU_DEP_1)
	v_add3_u32 v68, s4, s31, v68
	s_load_b128 s[4:7], s[0:1], 0x58
	v_mad_u64_u32 v[78:79], null, v68, s35, s[14:15]
	s_delay_alu instid0(VALU_DEP_1) | instskip(NEXT) | instid1(VALU_DEP_1)
	v_ashrrev_i32_e32 v79, 31, v78
	v_lshlrev_b64 v[78:79], 2, v[78:79]
	s_waitcnt lgkmcnt(0)
	s_delay_alu instid0(VALU_DEP_1) | instskip(NEXT) | instid1(VALU_DEP_2)
	v_add_co_u32 v80, vcc_lo, s6, v78
	v_add_co_ci_u32_e32 v81, vcc_lo, s7, v79, vcc_lo
	v_add_co_u32 v78, vcc_lo, s4, v78
	v_add_co_ci_u32_e32 v79, vcc_lo, s5, v79, vcc_lo
	global_store_b32 v[80:81], v76, off
	global_store_b32 v[78:79], v77, off
.LBB1244_14:
	s_or_b32 exec_lo, exec_lo, s3
	s_waitcnt lgkmcnt(0)
	s_waitcnt_vscnt null, 0x0
	s_barrier
	buffer_gl0_inv
	ds_load_b128 v[84:87], v73
	ds_load_b128 v[88:91], v73 offset:16
	ds_load_b128 v[96:99], v73 offset:2064
	;; [unrolled: 1-line block ×5, first 2 shown]
	v_cmp_eq_u32_e32 vcc_lo, 1, v70
	v_mov_b32_e32 v76, 0
	ds_load_b128 v[112:115], v73 offset:6160
	ds_load_b128 v[108:111], v73 offset:6144
	;; [unrolled: 1-line block ×4, first 2 shown]
	v_cmp_eq_u32_e64 s4, 1, v69
	v_cmp_eq_u32_e64 s3, 1, v72
	;; [unrolled: 1-line block ×3, first 2 shown]
	v_mov_b32_e32 v77, v76
	v_mov_b32_e32 v78, v76
	;; [unrolled: 1-line block ×7, first 2 shown]
	v_cmp_eq_u32_e64 s6, 3, v72
	v_cmp_eq_u32_e64 s7, 7, v72
	s_waitcnt lgkmcnt(8)
	s_delay_alu instid0(VALU_DEP_3)
	v_wmma_f32_16x16x16_f16 v[76:83], v[49:56], v[84:91], v[76:83]
	ds_load_b128 v[53:56], v73 offset:10256
	ds_load_b128 v[49:52], v73 offset:10240
	s_waitcnt lgkmcnt(8)
	v_wmma_f32_16x16x16_f16 v[76:83], v[41:48], v[92:99], v[76:83]
	ds_load_b128 v[45:48], v73 offset:12304
	ds_load_b128 v[41:44], v73 offset:12288
	s_waitcnt lgkmcnt(8)
	;; [unrolled: 4-line block ×3, first 2 shown]
	s_barrier
	buffer_gl0_inv
	v_wmma_f32_16x16x16_f16 v[76:83], v[1:8], v[108:115], v[76:83]
	s_delay_alu instid0(VALU_DEP_1) | instskip(NEXT) | instid1(VALU_DEP_1)
	v_wmma_f32_16x16x16_f16 v[76:83], v[9:16], v[116:123], v[76:83]
	v_wmma_f32_16x16x16_f16 v[76:83], v[17:24], v[49:56], v[76:83]
	s_delay_alu instid0(VALU_DEP_1) | instskip(NEXT) | instid1(VALU_DEP_1)
	v_wmma_f32_16x16x16_f16 v[76:83], v[25:32], v[41:48], v[76:83]
	v_wmma_f32_16x16x16_f16 v[76:83], v[57:64], v[33:40], v[76:83]
	s_delay_alu instid0(VALU_DEP_1) | instskip(NEXT) | instid1(VALU_DEP_2)
	v_cvt_f16_f32_e32 v1, v76
	v_cvt_f16_f32_e32 v2, v77
	s_delay_alu instid0(VALU_DEP_3) | instskip(NEXT) | instid1(VALU_DEP_4)
	v_cvt_f16_f32_e32 v3, v78
	v_cvt_f16_f32_e32 v4, v79
	;; [unrolled: 1-line block ×6, first 2 shown]
	v_pack_b32_f16 v1, v1, v2
	v_pack_b32_f16 v2, v3, v4
	;; [unrolled: 1-line block ×3, first 2 shown]
	s_delay_alu instid0(VALU_DEP_4)
	v_pack_b32_f16 v4, v7, v8
	ds_store_b128 v74, v[1:4]
	s_waitcnt lgkmcnt(0)
	s_barrier
	buffer_gl0_inv
	ds_load_b128 v[1:4], v75
	ds_load_b128 v[5:8], v75 offset:16
	s_waitcnt lgkmcnt(1)
	v_lshrrev_b32_e32 v9, 16, v1
	s_waitcnt lgkmcnt(0)
	v_lshrrev_b32_e32 v13, 16, v5
	v_lshrrev_b32_e32 v10, 16, v2
	v_lshrrev_b32_e32 v14, 16, v6
	v_lshrrev_b32_e32 v11, 16, v3
	v_cndmask_b32_e32 v17, v1, v9, vcc_lo
	v_cndmask_b32_e32 v18, v5, v13, vcc_lo
	v_cndmask_b32_e64 v21, v1, v9, s4
	v_cmp_eq_u32_e32 vcc_lo, 1, v71
	v_cndmask_b32_e64 v22, v5, v13, s4
	v_cmp_eq_u32_e64 s4, 2, v70
	v_cndmask_b32_e64 v19, v1, v9, s3
	v_cndmask_b32_e64 v20, v5, v13, s3
	v_cndmask_b32_e32 v1, v1, v9, vcc_lo
	v_cmp_eq_u32_e64 s3, 2, v71
	v_cndmask_b32_e32 v5, v5, v13, vcc_lo
	v_cndmask_b32_e64 v9, v17, v2, s4
	v_cmp_eq_u32_e32 vcc_lo, 3, v70
	v_cndmask_b32_e64 v13, v18, v6, s4
	v_cmp_eq_u32_e64 s4, 2, v69
	v_cndmask_b32_e64 v17, v19, v2, s5
	v_cndmask_b32_e64 v18, v20, v6, s5
	v_cmp_eq_u32_e64 s5, 3, v69
	v_cndmask_b32_e64 v1, v1, v2, s3
	v_cndmask_b32_e64 v19, v21, v2, s4
	;; [unrolled: 1-line block ×4, first 2 shown]
	v_cndmask_b32_e32 v5, v9, v10, vcc_lo
	v_cndmask_b32_e32 v6, v13, v14, vcc_lo
	v_cmp_eq_u32_e32 vcc_lo, 3, v71
	v_cndmask_b32_e64 v9, v17, v10, s6
	v_cndmask_b32_e64 v13, v18, v14, s6
	;; [unrolled: 1-line block ×3, first 2 shown]
	v_cmp_eq_u32_e64 s4, 4, v70
	v_cndmask_b32_e32 v1, v1, v10, vcc_lo
	v_cndmask_b32_e32 v2, v2, v14, vcc_lo
	v_cmp_eq_u32_e32 vcc_lo, 4, v72
	v_lshrrev_b32_e32 v15, 16, v7
	v_lshrrev_b32_e32 v16, 16, v8
	v_cndmask_b32_e64 v17, v19, v10, s5
	v_cmp_eq_u32_e64 s3, 4, v71
	v_cndmask_b32_e64 v5, v5, v3, s4
	v_cndmask_b32_e64 v6, v6, v7, s4
	v_cndmask_b32_e32 v9, v9, v3, vcc_lo
	v_cmp_eq_u32_e64 s4, 5, v72
	v_cndmask_b32_e32 v10, v13, v7, vcc_lo
	v_cmp_eq_u32_e32 vcc_lo, 4, v69
	v_cmp_eq_u32_e64 s5, 5, v70
	v_cndmask_b32_e64 v2, v2, v7, s3
	v_cndmask_b32_e64 v9, v9, v11, s4
	;; [unrolled: 1-line block ×3, first 2 shown]
	v_cndmask_b32_e32 v13, v17, v3, vcc_lo
	v_cmp_eq_u32_e64 s4, 5, v69
	v_cndmask_b32_e32 v14, v18, v7, vcc_lo
	v_cndmask_b32_e64 v1, v1, v3, s3
	v_cmp_eq_u32_e32 vcc_lo, 5, v71
	v_lshrrev_b32_e32 v12, 16, v4
	v_cndmask_b32_e64 v13, v13, v11, s4
	v_cndmask_b32_e64 v3, v14, v15, s4
	v_cmp_eq_u32_e64 s4, 6, v71
	v_cndmask_b32_e32 v1, v1, v11, vcc_lo
	v_cndmask_b32_e64 v5, v5, v11, s5
	v_cmp_eq_u32_e64 s6, 6, v70
	v_cndmask_b32_e64 v6, v6, v15, s5
	v_cmp_eq_u32_e64 s5, 6, v72
	v_cmp_eq_u32_e64 s3, 6, v69
	v_cndmask_b32_e64 v1, v1, v4, s4
	v_cndmask_b32_e32 v2, v2, v15, vcc_lo
	v_cmp_eq_u32_e32 vcc_lo, 7, v71
	v_cndmask_b32_e64 v5, v5, v4, s6
	v_cndmask_b32_e64 v9, v9, v4, s5
	;; [unrolled: 1-line block ×3, first 2 shown]
	v_cmp_eq_u32_e64 s6, 7, v70
	v_cndmask_b32_e32 v1, v1, v12, vcc_lo
	v_cndmask_b32_e64 v7, v13, v4, s3
	v_cndmask_b32_e64 v3, v3, v8, s3
	;; [unrolled: 1-line block ×3, first 2 shown]
	v_cmp_eq_u32_e64 s3, 7, v69
	v_cndmask_b32_e64 v4, v10, v8, s5
	v_cndmask_b32_e64 v5, v5, v12, s6
	;; [unrolled: 1-line block ×3, first 2 shown]
	v_cndmask_b32_e32 v2, v2, v16, vcc_lo
	v_cndmask_b32_e64 v7, v7, v12, s3
	v_cndmask_b32_e64 v3, v3, v16, s3
	;; [unrolled: 1-line block ×4, first 2 shown]
	v_perm_b32 v4, v2, v1, 0x5040100
	s_mov_b32 s3, exec_lo
	v_perm_b32 v3, v3, v7, 0x5040100
	v_perm_b32 v2, v8, v9, 0x5040100
	;; [unrolled: 1-line block ×3, first 2 shown]
	ds_store_b128 v74, v[1:4]
	s_waitcnt lgkmcnt(0)
	s_barrier
	buffer_gl0_inv
	v_cmpx_gt_u32_e32 32, v0
	s_cbranch_execz .LBB1244_2
; %bb.15:
	s_load_b64 s[4:5], s[0:1], 0x68
	v_add_nc_u32_e32 v20, s31, v66
	v_lshlrev_b32_e32 v0, 10, v0
	v_lshlrev_b32_e32 v1, 4, v67
	s_lshl_b32 s0, s35, 7
	s_delay_alu instid0(SALU_CYCLE_1)
	s_mul_i32 s1, s0, s34
	v_add_nc_u32_e32 v2, 2, v20
	s_mul_i32 s6, s1, s8
	v_and_or_b32 v0, 0x3800, v0, v1
	v_mul_lo_u32 v1, v20, s0
	s_ashr_i32 s7, s6, 31
	v_mul_lo_u32 v11, v2, s0
	s_lshl_b64 s[6:7], s[6:7], 1
	v_add_nc_u32_e32 v3, 4, v20
	v_lshl_or_b32 v21, v66, 6, v0
	v_add_nc_u32_e32 v16, 6, v20
	v_ashrrev_i32_e32 v2, 31, v1
	s_delay_alu instid0(VALU_DEP_4)
	v_mul_lo_u32 v13, v3, s0
	s_waitcnt lgkmcnt(0)
	s_add_u32 s1, s4, s6
	s_addc_u32 s3, s5, s7
	s_lshl_b32 s4, s14, 7
	ds_load_b128 v[3:6], v21
	ds_load_b128 v[7:10], v21 offset:128
	s_ashr_i32 s5, s4, 31
	v_ashrrev_i32_e32 v12, 31, v11
	s_lshl_b64 s[4:5], s[4:5], 1
	v_lshlrev_b64 v[14:15], 1, v[1:2]
	s_add_u32 s1, s1, s4
	s_addc_u32 s3, s3, s5
	v_add_co_u32 v1, s1, s1, v65
	s_delay_alu instid0(VALU_DEP_1) | instskip(SKIP_1) | instid1(VALU_DEP_3)
	v_add_co_ci_u32_e64 v2, null, s3, 0, s1
	v_lshlrev_b64 v[11:12], 1, v[11:12]
	v_add_co_u32 v18, vcc_lo, v1, v14
	v_mul_lo_u32 v16, v16, s0
	s_delay_alu instid0(VALU_DEP_4) | instskip(NEXT) | instid1(VALU_DEP_4)
	v_add_co_ci_u32_e32 v19, vcc_lo, v2, v15, vcc_lo
	v_add_co_u32 v11, vcc_lo, v1, v11
	v_ashrrev_i32_e32 v14, 31, v13
	v_add_co_ci_u32_e32 v12, vcc_lo, v2, v12, vcc_lo
	v_add_nc_u32_e32 v15, 8, v20
	v_ashrrev_i32_e32 v17, 31, v16
	s_waitcnt lgkmcnt(1)
	global_store_b128 v[18:19], v[3:6], off
	v_lshlrev_b64 v[3:4], 1, v[13:14]
	s_waitcnt lgkmcnt(0)
	global_store_b128 v[11:12], v[7:10], off
	v_mul_lo_u32 v11, v15, s0
	v_add_nc_u32_e32 v7, 10, v20
	v_lshlrev_b64 v[5:6], 1, v[16:17]
	v_add_co_u32 v23, vcc_lo, v1, v3
	v_add_nc_u32_e32 v3, 12, v20
	s_delay_alu instid0(VALU_DEP_4)
	v_mul_lo_u32 v25, v7, s0
	v_ashrrev_i32_e32 v12, 31, v11
	v_add_co_ci_u32_e32 v24, vcc_lo, v2, v4, vcc_lo
	v_add_co_u32 v27, vcc_lo, v1, v5
	v_mul_lo_u32 v29, v3, s0
	v_add_co_ci_u32_e32 v28, vcc_lo, v2, v6, vcc_lo
	ds_load_b128 v[3:6], v21 offset:256
	ds_load_b128 v[7:10], v21 offset:384
	v_lshlrev_b64 v[31:32], 1, v[11:12]
	ds_load_b128 v[11:14], v21 offset:512
	ds_load_b128 v[15:18], v21 offset:640
	;; [unrolled: 1-line block ×3, first 2 shown]
	v_ashrrev_i32_e32 v26, 31, v25
	v_ashrrev_i32_e32 v30, 31, v29
	v_add_co_u32 v31, vcc_lo, v1, v31
	s_delay_alu instid0(VALU_DEP_3) | instskip(NEXT) | instid1(VALU_DEP_3)
	v_lshlrev_b64 v[25:26], 1, v[25:26]
	v_lshlrev_b64 v[29:30], 1, v[29:30]
	v_add_co_ci_u32_e32 v32, vcc_lo, v2, v32, vcc_lo
	s_delay_alu instid0(VALU_DEP_3) | instskip(NEXT) | instid1(VALU_DEP_4)
	v_add_co_u32 v25, vcc_lo, v1, v25
	v_add_co_ci_u32_e32 v26, vcc_lo, v2, v26, vcc_lo
	s_delay_alu instid0(VALU_DEP_4)
	v_add_co_u32 v29, vcc_lo, v1, v29
	v_add_co_ci_u32_e32 v30, vcc_lo, v2, v30, vcc_lo
	s_waitcnt lgkmcnt(4)
	global_store_b128 v[23:24], v[3:6], off
	s_waitcnt lgkmcnt(3)
	global_store_b128 v[27:28], v[7:10], off
	;; [unrolled: 2-line block ×5, first 2 shown]
	s_and_b32 exec_lo, exec_lo, s2
	s_cbranch_execz .LBB1244_2
; %bb.16:
	ds_load_b128 v[3:6], v0 offset:896
	s_add_i32 s1, s31, 14
	s_delay_alu instid0(SALU_CYCLE_1) | instskip(NEXT) | instid1(SALU_CYCLE_1)
	s_mul_i32 s0, s1, s0
	s_ashr_i32 s1, s0, 31
	s_delay_alu instid0(SALU_CYCLE_1) | instskip(NEXT) | instid1(SALU_CYCLE_1)
	s_lshl_b64 s[0:1], s[0:1], 1
	v_add_co_u32 v0, vcc_lo, v1, s0
	v_add_co_ci_u32_e32 v1, vcc_lo, s1, v2, vcc_lo
	s_waitcnt lgkmcnt(0)
	global_store_b128 v[0:1], v[3:6], off
	s_nop 0
	s_sendmsg sendmsg(MSG_DEALLOC_VGPRS)
	s_endpgm
	.section	.rodata,"a",@progbits
	.p2align	6, 0x0
	.amdhsa_kernel _Z39paged_attention_ll4mi_QKV_mfma16_kernelIDF16_hLN4vllm18Fp8KVCacheDataTypeE1EhLi16ELi128ELi256ELb0ELi15EL8MFMAType0EEvPKT_PKT0_S8_ifPKiSA_SA_iPKfiiiPfSD_PS3_PT2_iSC_SC_
		.amdhsa_group_segment_fixed_size 17472
		.amdhsa_private_segment_fixed_size 0
		.amdhsa_kernarg_size 400
		.amdhsa_user_sgpr_count 13
		.amdhsa_user_sgpr_dispatch_ptr 0
		.amdhsa_user_sgpr_queue_ptr 0
		.amdhsa_user_sgpr_kernarg_segment_ptr 1
		.amdhsa_user_sgpr_dispatch_id 0
		.amdhsa_user_sgpr_private_segment_size 0
		.amdhsa_wavefront_size32 1
		.amdhsa_uses_dynamic_stack 0
		.amdhsa_enable_private_segment 0
		.amdhsa_system_sgpr_workgroup_id_x 1
		.amdhsa_system_sgpr_workgroup_id_y 1
		.amdhsa_system_sgpr_workgroup_id_z 1
		.amdhsa_system_sgpr_workgroup_info 0
		.amdhsa_system_vgpr_workitem_id 0
		.amdhsa_next_free_vgpr 150
		.amdhsa_next_free_sgpr 36
		.amdhsa_reserve_vcc 1
		.amdhsa_float_round_mode_32 0
		.amdhsa_float_round_mode_16_64 0
		.amdhsa_float_denorm_mode_32 3
		.amdhsa_float_denorm_mode_16_64 3
		.amdhsa_dx10_clamp 1
		.amdhsa_ieee_mode 1
		.amdhsa_fp16_overflow 0
		.amdhsa_workgroup_processor_mode 1
		.amdhsa_memory_ordered 1
		.amdhsa_forward_progress 0
		.amdhsa_shared_vgpr_count 0
		.amdhsa_exception_fp_ieee_invalid_op 0
		.amdhsa_exception_fp_denorm_src 0
		.amdhsa_exception_fp_ieee_div_zero 0
		.amdhsa_exception_fp_ieee_overflow 0
		.amdhsa_exception_fp_ieee_underflow 0
		.amdhsa_exception_fp_ieee_inexact 0
		.amdhsa_exception_int_div_zero 0
	.end_amdhsa_kernel
	.section	.text._Z39paged_attention_ll4mi_QKV_mfma16_kernelIDF16_hLN4vllm18Fp8KVCacheDataTypeE1EhLi16ELi128ELi256ELb0ELi15EL8MFMAType0EEvPKT_PKT0_S8_ifPKiSA_SA_iPKfiiiPfSD_PS3_PT2_iSC_SC_,"axG",@progbits,_Z39paged_attention_ll4mi_QKV_mfma16_kernelIDF16_hLN4vllm18Fp8KVCacheDataTypeE1EhLi16ELi128ELi256ELb0ELi15EL8MFMAType0EEvPKT_PKT0_S8_ifPKiSA_SA_iPKfiiiPfSD_PS3_PT2_iSC_SC_,comdat
.Lfunc_end1244:
	.size	_Z39paged_attention_ll4mi_QKV_mfma16_kernelIDF16_hLN4vllm18Fp8KVCacheDataTypeE1EhLi16ELi128ELi256ELb0ELi15EL8MFMAType0EEvPKT_PKT0_S8_ifPKiSA_SA_iPKfiiiPfSD_PS3_PT2_iSC_SC_, .Lfunc_end1244-_Z39paged_attention_ll4mi_QKV_mfma16_kernelIDF16_hLN4vllm18Fp8KVCacheDataTypeE1EhLi16ELi128ELi256ELb0ELi15EL8MFMAType0EEvPKT_PKT0_S8_ifPKiSA_SA_iPKfiiiPfSD_PS3_PT2_iSC_SC_
                                        ; -- End function
	.section	.AMDGPU.csdata,"",@progbits
; Kernel info:
; codeLenInByte = 6892
; NumSgprs: 38
; NumVgprs: 150
; ScratchSize: 0
; MemoryBound: 0
; FloatMode: 240
; IeeeMode: 1
; LDSByteSize: 17472 bytes/workgroup (compile time only)
; SGPRBlocks: 4
; VGPRBlocks: 18
; NumSGPRsForWavesPerEU: 38
; NumVGPRsForWavesPerEU: 150
; Occupancy: 9
; WaveLimiterHint : 1
; COMPUTE_PGM_RSRC2:SCRATCH_EN: 0
; COMPUTE_PGM_RSRC2:USER_SGPR: 13
; COMPUTE_PGM_RSRC2:TRAP_HANDLER: 0
; COMPUTE_PGM_RSRC2:TGID_X_EN: 1
; COMPUTE_PGM_RSRC2:TGID_Y_EN: 1
; COMPUTE_PGM_RSRC2:TGID_Z_EN: 1
; COMPUTE_PGM_RSRC2:TIDIG_COMP_CNT: 0
	.section	.text._Z39paged_attention_ll4mi_QKV_mfma16_kernelIDF16_hLN4vllm18Fp8KVCacheDataTypeE1EhLi16ELi128ELi256ELb0ELi16EL8MFMAType0EEvPKT_PKT0_S8_ifPKiSA_SA_iPKfiiiPfSD_PS3_PT2_iSC_SC_,"axG",@progbits,_Z39paged_attention_ll4mi_QKV_mfma16_kernelIDF16_hLN4vllm18Fp8KVCacheDataTypeE1EhLi16ELi128ELi256ELb0ELi16EL8MFMAType0EEvPKT_PKT0_S8_ifPKiSA_SA_iPKfiiiPfSD_PS3_PT2_iSC_SC_,comdat
	.protected	_Z39paged_attention_ll4mi_QKV_mfma16_kernelIDF16_hLN4vllm18Fp8KVCacheDataTypeE1EhLi16ELi128ELi256ELb0ELi16EL8MFMAType0EEvPKT_PKT0_S8_ifPKiSA_SA_iPKfiiiPfSD_PS3_PT2_iSC_SC_ ; -- Begin function _Z39paged_attention_ll4mi_QKV_mfma16_kernelIDF16_hLN4vllm18Fp8KVCacheDataTypeE1EhLi16ELi128ELi256ELb0ELi16EL8MFMAType0EEvPKT_PKT0_S8_ifPKiSA_SA_iPKfiiiPfSD_PS3_PT2_iSC_SC_
	.globl	_Z39paged_attention_ll4mi_QKV_mfma16_kernelIDF16_hLN4vllm18Fp8KVCacheDataTypeE1EhLi16ELi128ELi256ELb0ELi16EL8MFMAType0EEvPKT_PKT0_S8_ifPKiSA_SA_iPKfiiiPfSD_PS3_PT2_iSC_SC_
	.p2align	8
	.type	_Z39paged_attention_ll4mi_QKV_mfma16_kernelIDF16_hLN4vllm18Fp8KVCacheDataTypeE1EhLi16ELi128ELi256ELb0ELi16EL8MFMAType0EEvPKT_PKT0_S8_ifPKiSA_SA_iPKfiiiPfSD_PS3_PT2_iSC_SC_,@function
_Z39paged_attention_ll4mi_QKV_mfma16_kernelIDF16_hLN4vllm18Fp8KVCacheDataTypeE1EhLi16ELi128ELi256ELb0ELi16EL8MFMAType0EEvPKT_PKT0_S8_ifPKiSA_SA_iPKfiiiPfSD_PS3_PT2_iSC_SC_: ; @_Z39paged_attention_ll4mi_QKV_mfma16_kernelIDF16_hLN4vllm18Fp8KVCacheDataTypeE1EhLi16ELi128ELi256ELb0ELi16EL8MFMAType0EEvPKT_PKT0_S8_ifPKiSA_SA_iPKfiiiPfSD_PS3_PT2_iSC_SC_
; %bb.0:
	s_load_b64 s[4:5], s[0:1], 0x30
	s_mov_b32 s30, s13
	s_waitcnt lgkmcnt(0)
	s_cmp_lg_u64 s[4:5], 0
	s_cselect_b32 s8, -1, 0
	s_ashr_i32 s31, s13, 31
	s_cmp_eq_u64 s[4:5], 0
	s_cbranch_scc1 .LBB1245_3
; %bb.1:
	s_lshl_b64 s[2:3], s[30:31], 2
	s_delay_alu instid0(SALU_CYCLE_1) | instskip(SKIP_4) | instid1(SALU_CYCLE_1)
	s_add_u32 s2, s4, s2
	s_addc_u32 s3, s5, s3
	s_load_b64 s[2:3], s[2:3], 0x0
	s_waitcnt lgkmcnt(0)
	s_sub_i32 s2, s3, s2
	s_cmp_eq_u32 s2, 1
	s_cselect_b32 s2, -1, 0
	s_delay_alu instid0(SALU_CYCLE_1)
	s_and_not1_b32 vcc_lo, exec_lo, s2
	s_cbranch_vccz .LBB1245_4
.LBB1245_2:
	s_endpgm
.LBB1245_3:
.LBB1245_4:
	s_load_b64 s[2:3], s[0:1], 0x28
	s_lshl_b64 s[6:7], s[30:31], 2
	s_waitcnt lgkmcnt(0)
	s_add_u32 s2, s2, s6
	s_addc_u32 s3, s3, s7
	s_lshl_b32 s12, s14, 8
	s_load_b32 s24, s[2:3], 0x0
	s_waitcnt lgkmcnt(0)
	s_cmp_ge_i32 s12, s24
	s_cbranch_scc1 .LBB1245_2
; %bb.5:
	s_clause 0x1
	s_load_b128 s[20:23], s[0:1], 0x8
	s_load_b64 s[2:3], s[0:1], 0x20
	s_and_not1_b32 vcc_lo, exec_lo, s8
	s_cbranch_vccnz .LBB1245_7
; %bb.6:
	s_add_u32 s4, s4, s6
	s_addc_u32 s5, s5, s7
	s_load_b32 s5, s[4:5], 0x0
	s_branch .LBB1245_8
.LBB1245_7:
	s_mov_b32 s5, s30
.LBB1245_8:
	s_load_b128 s[16:19], s[0:1], 0x48
	v_and_b32_e32 v70, 15, v0
	v_lshrrev_b32_e32 v69, 5, v0
	v_and_b32_e32 v71, 31, v0
	v_and_b32_e32 v67, 1, v0
	v_bfe_u32 v66, v0, 4, 1
	v_lshlrev_b32_e32 v1, 3, v70
	s_lshl_b32 s31, s15, 4
	s_mov_b32 s4, exec_lo
	s_delay_alu instid0(VALU_DEP_1)
	v_lshlrev_b32_e32 v65, 1, v1
	v_cmpx_gt_u32_e32 0x100, v0
	s_cbranch_execz .LBB1245_10
; %bb.9:
	v_lshl_or_b32 v5, v69, 1, v66
	s_load_b64 s[6:7], s[0:1], 0x0
	s_waitcnt lgkmcnt(0)
	s_mul_hi_i32 s9, s5, s16
	s_mul_i32 s8, s5, s16
	v_lshlrev_b32_e32 v6, 10, v70
	v_or_b32_e32 v1, s31, v5
	s_lshl_b64 s[8:9], s[8:9], 1
	v_lshlrev_b32_e32 v5, 6, v5
	v_lshlrev_b32_e32 v7, 10, v67
	v_and_b32_e32 v6, 0x3800, v6
	v_lshlrev_b32_e32 v1, 7, v1
	s_delay_alu instid0(VALU_DEP_2) | instskip(NEXT) | instid1(VALU_DEP_2)
	v_or3_b32 v5, v6, v7, v5
	v_ashrrev_i32_e32 v2, 31, v1
	s_delay_alu instid0(VALU_DEP_1) | instskip(SKIP_2) | instid1(VALU_DEP_1)
	v_lshlrev_b64 v[1:2], 1, v[1:2]
	s_add_u32 s5, s6, s8
	s_addc_u32 s6, s7, s9
	v_add_co_u32 v1, vcc_lo, s5, v1
	s_delay_alu instid0(VALU_DEP_2) | instskip(NEXT) | instid1(VALU_DEP_2)
	v_add_co_ci_u32_e32 v2, vcc_lo, s6, v2, vcc_lo
	v_add_co_u32 v1, vcc_lo, v1, v65
	s_delay_alu instid0(VALU_DEP_2)
	v_add_co_ci_u32_e32 v2, vcc_lo, 0, v2, vcc_lo
	global_load_b128 v[1:4], v[1:2], off
	s_waitcnt vmcnt(0)
	ds_store_b128 v5, v[1:4]
.LBB1245_10:
	s_or_b32 exec_lo, exec_lo, s4
	v_and_b32_e32 v1, 0xef, v0
	s_waitcnt lgkmcnt(0)
	s_add_i32 s5, s24, 15
	s_clause 0x1
	s_load_b32 s4, s[0:1], 0x38
	s_load_b32 s33, s[0:1], 0x98
	s_ashr_i32 s6, s5, 31
	v_add_nc_u32_e32 v1, s12, v1
	s_lshr_b32 s6, s6, 28
	s_load_b32 s19, s[0:1], 0x1c
	s_add_i32 s5, s5, s6
	s_waitcnt lgkmcnt(0)
	v_ashrrev_i32_e32 v2, 31, v1
	v_or_b32_e32 v3, 16, v1
	s_ashr_i32 s13, s5, 4
	v_cmp_gt_i32_e32 vcc_lo, s24, v1
	s_add_i32 s13, s13, -1
	v_lshrrev_b32_e32 v2, 28, v2
	s_barrier
	buffer_gl0_inv
	s_mul_i32 s15, s15, s18
	v_lshlrev_b32_e32 v41, 4, v70
	v_add_nc_u32_e32 v4, v1, v2
	s_mul_i32 s4, s30, s4
	s_delay_alu instid0(SALU_CYCLE_1) | instskip(NEXT) | instid1(VALU_DEP_1)
	s_ashr_i32 s5, s4, 31
	v_ashrrev_i32_e32 v4, 4, v4
	v_add_nc_u32_e32 v2, v3, v2
	s_lshl_b64 s[4:5], s[4:5], 2
	v_lshl_or_b32 v41, v69, 8, v41
	s_add_u32 s16, s2, s4
	v_cndmask_b32_e32 v1, s13, v4, vcc_lo
	v_ashrrev_i32_e32 v2, 4, v2
	v_cmp_gt_i32_e32 vcc_lo, s24, v3
	s_addc_u32 s25, s3, s5
	s_ashr_i32 s18, s15, 31
	s_add_u32 s26, s20, s15
	s_addc_u32 s27, s21, s18
	v_cndmask_b32_e32 v3, s13, v2, vcc_lo
	v_ashrrev_i32_e32 v2, 31, v1
	s_lshl_b32 s2, s14, 4
	s_delay_alu instid0(SALU_CYCLE_1) | instskip(NEXT) | instid1(VALU_DEP_2)
	s_ashr_i32 s3, s2, 31
	v_ashrrev_i32_e32 v4, 31, v3
	s_delay_alu instid0(VALU_DEP_2) | instskip(SKIP_1) | instid1(SALU_CYCLE_1)
	v_lshlrev_b64 v[1:2], 2, v[1:2]
	s_lshl_b64 s[2:3], s[2:3], 2
	s_add_u32 s2, s16, s2
	s_delay_alu instid0(VALU_DEP_2) | instskip(SKIP_1) | instid1(VALU_DEP_2)
	v_lshlrev_b64 v[3:4], 2, v[3:4]
	s_addc_u32 s3, s25, s3
	v_add_co_u32 v1, vcc_lo, s16, v1
	v_add_co_ci_u32_e32 v2, vcc_lo, s25, v2, vcc_lo
	s_delay_alu instid0(VALU_DEP_3) | instskip(NEXT) | instid1(VALU_DEP_4)
	v_add_co_u32 v3, vcc_lo, s16, v3
	v_add_co_ci_u32_e32 v4, vcc_lo, s25, v4, vcc_lo
	s_clause 0x1
	global_load_b32 v5, v[1:2], off
	global_load_b32 v3, v[3:4], off
	s_or_b32 s4, s12, 32
	v_lshlrev_b32_e32 v1, 4, v0
	s_ashr_i32 s5, s4, 4
	s_cmp_lt_i32 s4, s24
	s_cselect_b32 s4, s5, s13
	s_delay_alu instid0(VALU_DEP_1) | instskip(SKIP_1) | instid1(SALU_CYCLE_1)
	v_and_b32_e32 v1, 0xf0, v1
	s_ashr_i32 s5, s4, 31
	s_lshl_b64 s[4:5], s[4:5], 2
	s_delay_alu instid0(SALU_CYCLE_1)
	s_add_u32 s4, s16, s4
	s_addc_u32 s5, s25, s5
	s_or_b32 s6, s12, 64
	v_add_co_u32 v1, s26, s26, v1
	s_ashr_i32 s7, s6, 4
	s_cmp_lt_i32 s6, s24
	v_add_co_ci_u32_e64 v2, null, s27, 0, s26
	s_cselect_b32 s6, s7, s13
	s_delay_alu instid0(SALU_CYCLE_1) | instskip(NEXT) | instid1(SALU_CYCLE_1)
	s_ashr_i32 s7, s6, 31
	s_lshl_b64 s[6:7], s[6:7], 2
	s_delay_alu instid0(SALU_CYCLE_1) | instskip(SKIP_2) | instid1(SALU_CYCLE_1)
	s_add_u32 s6, s16, s6
	s_addc_u32 s7, s25, s7
	s_or_b32 s8, s12, 0x60
	s_ashr_i32 s9, s8, 4
	s_cmp_lt_i32 s8, s24
	s_cselect_b32 s8, s9, s13
	s_delay_alu instid0(SALU_CYCLE_1) | instskip(NEXT) | instid1(SALU_CYCLE_1)
	s_ashr_i32 s9, s8, 31
	s_lshl_b64 s[8:9], s[8:9], 2
	s_delay_alu instid0(SALU_CYCLE_1) | instskip(SKIP_2) | instid1(SALU_CYCLE_1)
	s_add_u32 s8, s16, s8
	s_addc_u32 s9, s25, s9
	s_or_b32 s10, s12, 0x80
	s_ashr_i32 s11, s10, 4
	s_cmp_lt_i32 s10, s24
	;; [unrolled: 10-line block ×3, first 2 shown]
	s_cselect_b32 s20, s21, s13
	s_delay_alu instid0(SALU_CYCLE_1) | instskip(NEXT) | instid1(SALU_CYCLE_1)
	s_ashr_i32 s21, s20, 31
	s_lshl_b64 s[20:21], s[20:21], 2
	s_delay_alu instid0(SALU_CYCLE_1)
	s_add_u32 s20, s16, s20
	s_addc_u32 s21, s25, s21
	s_clause 0x5
	s_load_b32 s26, s[2:3], 0x0
	s_load_b32 s27, s[4:5], 0x0
	;; [unrolled: 1-line block ×6, first 2 shown]
	s_or_b32 s2, s12, 0xc0
	s_mov_b32 s4, 0
	s_ashr_i32 s3, s2, 4
	s_cmp_lt_i32 s2, s24
	s_mov_b32 s11, s4
	s_cselect_b32 s2, s3, s13
	s_mov_b32 s5, s4
	s_ashr_i32 s3, s2, 31
	s_mov_b32 s6, s4
	s_lshl_b64 s[2:3], s[2:3], 2
	s_mov_b32 s7, s4
	s_add_u32 s2, s16, s2
	s_mov_b32 s8, s4
	s_mov_b32 s9, s4
	;; [unrolled: 1-line block ×3, first 2 shown]
	s_addc_u32 s3, s25, s3
	s_or_b32 s21, s12, 0xe0
	v_dual_mov_b32 v103, s11 :: v_dual_mov_b32 v96, s4
	v_dual_mov_b32 v101, s9 :: v_dual_lshlrev_b32 v68, 6, v70
	v_mov_b32_e32 v102, s10
	v_dual_mov_b32 v100, s8 :: v_dual_mov_b32 v99, s7
	v_dual_mov_b32 v98, s6 :: v_dual_mov_b32 v97, s5
	s_ashr_i32 s4, s21, 4
	s_cmp_lt_i32 s21, s24
	s_cselect_b32 s4, s4, s13
	s_delay_alu instid0(SALU_CYCLE_1) | instskip(NEXT) | instid1(SALU_CYCLE_1)
	s_ashr_i32 s5, s4, 31
	s_lshl_b64 s[4:5], s[4:5], 2
	s_waitcnt vmcnt(1)
	v_mad_i64_i32 v[33:34], null, v5, s17, v[1:2]
	s_waitcnt vmcnt(0)
	v_mad_i64_i32 v[35:36], null, v3, s17, v[1:2]
	s_clause 0xf
	global_load_b128 v[1:4], v[33:34], off
	global_load_b128 v[5:8], v[33:34], off offset:256
	global_load_b128 v[9:12], v[35:36], off
	global_load_b128 v[13:16], v[35:36], off offset:256
	global_load_b128 v[17:20], v[33:34], off offset:512
	;; [unrolled: 1-line block ×13, first 2 shown]
	ds_load_b128 v[33:36], v68
	ds_load_b128 v[37:40], v68 offset:1024
	ds_load_b128 v[104:107], v68 offset:2048
	;; [unrolled: 1-line block ×3, first 2 shown]
	s_load_b32 s6, s[2:3], 0x0
	s_add_u32 s2, s16, s4
	s_addc_u32 s3, s25, s5
	ds_load_b128 v[112:115], v68 offset:4096
	ds_load_b128 v[116:119], v68 offset:5120
	s_load_b32 s2, s[2:3], 0x0
	s_add_u32 s4, s22, s15
	s_addc_u32 s5, s23, s18
	v_add_co_u32 v128, s4, s4, v41
	s_delay_alu instid0(VALU_DEP_1) | instskip(SKIP_1) | instid1(VALU_DEP_1)
	v_add_co_ci_u32_e64 v129, null, s5, 0, s4
	s_waitcnt lgkmcnt(0)
	v_mad_i64_i32 v[41:42], null, s26, s17, v[128:129]
	v_mad_i64_i32 v[130:131], null, s28, s17, v[128:129]
	;; [unrolled: 1-line block ×7, first 2 shown]
	s_clause 0x3
	global_load_b128 v[49:52], v[41:42], off
	global_load_b128 v[53:56], v[41:42], off offset:16
	global_load_b128 v[41:44], v[45:46], off
	global_load_b128 v[45:48], v[45:46], off offset:16
	s_waitcnt vmcnt(18)
	v_wmma_f32_16x16x16_f16 v[120:127], v[1:8], v[33:40], v[96:103]
	s_waitcnt vmcnt(16)
	v_wmma_f32_16x16x16_f16 v[96:103], v[9:16], v[33:40], v[96:103]
	s_clause 0x3
	global_load_b128 v[33:36], v[130:131], off
	global_load_b128 v[37:40], v[130:131], off offset:16
	global_load_b128 v[1:4], v[132:133], off
	global_load_b128 v[5:8], v[132:133], off offset:16
	s_waitcnt vmcnt(18)
	v_wmma_f32_16x16x16_f16 v[120:127], v[17:24], v[104:111], v[120:127]
	s_clause 0x3
	global_load_b128 v[9:12], v[134:135], off
	global_load_b128 v[13:16], v[134:135], off offset:16
	global_load_b128 v[17:20], v[136:137], off
	global_load_b128 v[21:24], v[136:137], off offset:16
	s_waitcnt vmcnt(20)
	v_wmma_f32_16x16x16_f16 v[96:103], v[25:32], v[104:111], v[96:103]
	v_mad_i64_i32 v[104:105], null, s2, s17, v[128:129]
	s_waitcnt vmcnt(18)
	v_wmma_f32_16x16x16_f16 v[120:127], v[57:64], v[112:119], v[120:127]
	s_clause 0x1
	global_load_b128 v[25:28], v[138:139], off
	global_load_b128 v[29:32], v[138:139], off offset:16
	s_waitcnt vmcnt(18)
	v_wmma_f32_16x16x16_f16 v[96:103], v[72:79], v[112:119], v[96:103]
	s_clause 0x1
	global_load_b128 v[57:60], v[104:105], off
	global_load_b128 v[61:64], v[104:105], off offset:16
	ds_load_b128 v[72:75], v68 offset:6144
	ds_load_b128 v[76:79], v68 offset:7168
	v_and_b32_e32 v104, 0xe0, v0
	v_mbcnt_lo_u32_b32 v105, -1, 0
	s_waitcnt vmcnt(0) lgkmcnt(0)
	s_barrier
	buffer_gl0_inv
	v_add_nc_u32_e32 v104, s12, v104
	v_xor_b32_e32 v106, 16, v105
	s_delay_alu instid0(VALU_DEP_2) | instskip(NEXT) | instid1(VALU_DEP_2)
	v_or_b32_e32 v104, v104, v66
	v_cmp_gt_i32_e32 vcc_lo, 32, v106
	s_delay_alu instid0(VALU_DEP_2)
	v_or_b32_e32 v107, 4, v104
	v_or_b32_e32 v108, 6, v104
	v_cmp_gt_i32_e64 s2, s24, v104
	v_or_b32_e32 v109, 8, v104
	v_wmma_f32_16x16x16_f16 v[120:127], v[80:87], v[72:79], v[120:127]
	v_cndmask_b32_e32 v105, v105, v106, vcc_lo
	v_or_b32_e32 v106, 2, v104
	v_wmma_f32_16x16x16_f16 v[96:103], v[88:95], v[72:79], v[96:103]
	v_or_b32_e32 v80, 10, v104
	v_dual_mul_f32 v90, s19, v120 :: v_dual_mul_f32 v89, s19, v121
	s_delay_alu instid0(VALU_DEP_4) | instskip(NEXT) | instid1(VALU_DEP_4)
	v_cmp_gt_i32_e32 vcc_lo, s24, v106
	v_dual_mul_f32 v94, s19, v100 :: v_dual_mul_f32 v77, s19, v125
	v_dual_mul_f32 v88, s19, v122 :: v_dual_mul_f32 v79, s19, v123
	v_mul_f32_e32 v92, s19, v102
	v_cndmask_b32_e64 v90, 0xff7fffff, v90, s2
	v_cndmask_b32_e32 v89, 0xff7fffff, v89, vcc_lo
	v_cmp_gt_i32_e64 s3, s24, v107
	v_cmp_gt_i32_e64 s4, s24, v108
	v_or_b32_e32 v81, 12, v104
	v_or_b32_e32 v82, 14, v104
	v_mul_f32_e32 v78, s19, v124
	v_cndmask_b32_e64 v88, 0xff7fffff, v88, s3
	v_cndmask_b32_e64 v79, 0xff7fffff, v79, s4
	v_max3_f32 v89, v90, 0xff7fffff, v89
	v_cmp_gt_i32_e64 s5, s24, v109
	v_cmp_gt_i32_e64 s6, s24, v80
	v_or_b32_e32 v83, 16, v104
	v_or_b32_e32 v84, 18, v104
	v_dual_mul_f32 v75, s19, v127 :: v_dual_mul_f32 v76, s19, v126
	v_cndmask_b32_e64 v78, 0xff7fffff, v78, s5
	v_cndmask_b32_e64 v77, 0xff7fffff, v77, s6
	v_max3_f32 v79, v89, v88, v79
	v_cmp_gt_i32_e64 s7, s24, v81
	v_cmp_gt_i32_e64 s8, s24, v82
	v_or_b32_e32 v85, 20, v104
	v_or_b32_e32 v86, 22, v104
	;; [unrolled: 1-line block ×6, first 2 shown]
	v_dual_mul_f32 v95, s19, v99 :: v_dual_mul_f32 v104, s19, v97
	v_mul_f32_e32 v107, s19, v96
	v_cndmask_b32_e64 v76, 0xff7fffff, v76, s7
	v_cndmask_b32_e64 v75, 0xff7fffff, v75, s8
	v_max3_f32 v77, v79, v78, v77
	v_cmp_gt_i32_e64 s9, s24, v83
	v_cmp_gt_i32_e64 s10, s24, v84
	v_dual_mul_f32 v91, s19, v103 :: v_dual_mul_f32 v106, s19, v98
	s_delay_alu instid0(VALU_DEP_4) | instskip(NEXT) | instid1(VALU_DEP_4)
	v_max3_f32 v75, v77, v76, v75
	v_cndmask_b32_e64 v78, 0xff7fffff, v107, s9
	s_delay_alu instid0(VALU_DEP_4)
	v_cndmask_b32_e64 v79, 0xff7fffff, v104, s10
	v_cmp_gt_i32_e64 s11, s24, v85
	v_cmp_gt_i32_e64 s12, s24, v86
	v_mul_f32_e32 v93, s19, v101
	v_cmp_gt_i32_e64 s13, s24, v87
	v_max3_f32 v75, v75, v78, v79
	v_cndmask_b32_e64 v76, 0xff7fffff, v106, s11
	v_cndmask_b32_e64 v77, 0xff7fffff, v95, s12
	v_cmp_gt_i32_e64 s15, s24, v72
	v_cndmask_b32_e64 v78, 0xff7fffff, v94, s13
	v_cmp_gt_i32_e64 s16, s24, v73
	v_cmp_gt_i32_e64 s17, s24, v74
	v_max3_f32 v75, v75, v76, v77
	v_cndmask_b32_e64 v72, 0xff7fffff, v93, s15
	s_delay_alu instid0(VALU_DEP_4) | instskip(NEXT) | instid1(VALU_DEP_4)
	v_cndmask_b32_e64 v73, 0xff7fffff, v92, s16
	v_cndmask_b32_e64 v74, 0xff7fffff, v91, s17
	s_delay_alu instid0(VALU_DEP_3) | instskip(SKIP_1) | instid1(VALU_DEP_2)
	v_max3_f32 v72, v75, v78, v72
	v_lshlrev_b32_e32 v75, 2, v105
	v_max3_f32 v72, v72, v73, v74
	ds_bpermute_b32 v73, v75, v72
	s_waitcnt lgkmcnt(0)
	v_max_f32_e32 v73, v73, v73
	s_delay_alu instid0(VALU_DEP_1) | instskip(NEXT) | instid1(VALU_DEP_1)
	v_max_f32_e32 v72, v72, v73
	v_fma_f32 v76, s19, v122, -v72
	v_fma_f32 v73, s19, v120, -v72
	;; [unrolled: 1-line block ×5, first 2 shown]
	v_mul_f32_e32 v76, 0x3fb8aa3b, v76
	v_fma_f32 v82, s19, v126, -v72
	s_delay_alu instid0(VALU_DEP_4) | instskip(SKIP_1) | instid1(VALU_DEP_4)
	v_dual_mul_f32 v79, 0x3fb8aa3b, v79 :: v_dual_mul_f32 v74, 0x3fb8aa3b, v74
	v_fma_f32 v86, s19, v99, -v72
	v_exp_f32_e32 v76, v76
	s_delay_alu instid0(VALU_DEP_3) | instskip(NEXT) | instid1(VALU_DEP_3)
	v_mul_f32_e32 v82, 0x3fb8aa3b, v82
	v_exp_f32_e32 v83, v79
	v_exp_f32_e32 v74, v74
	v_mul_f32_e32 v88, 0x3fb8aa3b, v86
	v_fma_f32 v91, s19, v103, -v72
	v_exp_f32_e32 v84, v82
	v_fma_f32 v89, s19, v101, -v72
	s_delay_alu instid0(VALU_DEP_3)
	v_exp_f32_e32 v90, v88
	v_cndmask_b32_e64 v80, 0, v76, s3
	v_mul_f32_e32 v73, 0x3fb8aa3b, v73
	v_fma_f32 v76, s19, v127, -v72
	v_mul_f32_e32 v77, 0x3fb8aa3b, v77
	v_cndmask_b32_e64 v82, 0, v83, s5
	v_fma_f32 v83, s19, v97, -v72
	v_exp_f32_e32 v73, v73
	v_mul_f32_e32 v76, 0x3fb8aa3b, v76
	v_exp_f32_e32 v81, v77
	v_cndmask_b32_e64 v84, 0, v84, s7
	v_mul_f32_e32 v83, 0x3fb8aa3b, v83
	v_mul_f32_e32 v89, 0x3fb8aa3b, v89
	v_exp_f32_e32 v76, v76
	s_delay_alu instid0(VALU_DEP_2) | instskip(SKIP_2) | instid1(TRANS32_DEP_3)
	v_exp_f32_e32 v87, v83
	v_cndmask_b32_e64 v78, 0, v73, s2
	v_fma_f32 v73, s19, v125, -v72
	v_cndmask_b32_e64 v79, 0, v81, s4
	v_cndmask_b32_e32 v77, 0, v74, vcc_lo
	v_fma_f32 v81, s19, v96, -v72
	s_delay_alu instid0(VALU_DEP_4) | instskip(NEXT) | instid1(TRANS32_DEP_2)
	v_dual_add_f32 v74, 0, v78 :: v_dual_mul_f32 v73, 0x3fb8aa3b, v73
	v_cndmask_b32_e64 v83, 0, v76, s8
	v_fma_f32 v76, s19, v100, -v72
	s_delay_alu instid0(VALU_DEP_4) | instskip(NEXT) | instid1(VALU_DEP_4)
	v_mul_f32_e32 v85, 0x3fb8aa3b, v81
	v_add_f32_e32 v74, v74, v77
	v_exp_f32_e32 v73, v73
	v_exp_f32_e32 v89, v89
	v_mul_f32_e32 v76, 0x3fb8aa3b, v76
	v_exp_f32_e32 v85, v85
	v_add_f32_e32 v74, v74, v80
	s_mov_b32 s2, exec_lo
	s_delay_alu instid0(VALU_DEP_2) | instskip(NEXT) | instid1(VALU_DEP_1)
	v_exp_f32_e32 v76, v76
	v_add_f32_e32 v74, v74, v79
	v_cndmask_b32_e64 v81, 0, v73, s6
	s_delay_alu instid0(TRANS32_DEP_3)
	v_cndmask_b32_e64 v89, 0, v89, s15
	s_waitcnt_depctr 0xfff
	v_cndmask_b32_e64 v86, 0, v85, s9
	v_cndmask_b32_e64 v85, 0, v87, s10
	v_fma_f32 v87, s19, v102, -v72
	v_add_f32_e32 v73, v74, v82
	v_fma_f32 v74, s19, v98, -v72
	s_delay_alu instid0(VALU_DEP_1) | instskip(NEXT) | instid1(VALU_DEP_1)
	v_mul_f32_e32 v74, 0x3fb8aa3b, v74
	v_exp_f32_e32 v74, v74
	s_waitcnt_depctr 0xfff
	v_cndmask_b32_e64 v88, 0, v74, s11
	v_dual_mul_f32 v74, 0x3fb8aa3b, v87 :: v_dual_add_f32 v73, v73, v81
	v_cndmask_b32_e64 v87, 0, v90, s12
	v_cndmask_b32_e64 v90, 0, v76, s13
	v_mul_f32_e32 v76, 0x3fb8aa3b, v91
	s_delay_alu instid0(VALU_DEP_4) | instskip(SKIP_1) | instid1(VALU_DEP_2)
	v_exp_f32_e32 v74, v74
	v_add_f32_e32 v73, v73, v84
	v_exp_f32_e32 v76, v76
	s_delay_alu instid0(VALU_DEP_1) | instskip(SKIP_4) | instid1(VALU_DEP_2)
	v_add_f32_e32 v73, v73, v83
	s_waitcnt_depctr 0xfff
	v_cndmask_b32_e64 v92, 0, v74, s16
	v_add_f32_e32 v73, v73, v86
	v_cndmask_b32_e64 v91, 0, v76, s17
	v_add_f32_e32 v73, v73, v85
	s_delay_alu instid0(VALU_DEP_1) | instskip(NEXT) | instid1(VALU_DEP_1)
	v_add_f32_e32 v73, v73, v88
	v_add_f32_e32 v73, v73, v87
	s_delay_alu instid0(VALU_DEP_1) | instskip(NEXT) | instid1(VALU_DEP_1)
	v_add_f32_e32 v73, v73, v90
	;; [unrolled: 3-line block ×3, first 2 shown]
	v_add_f32_e32 v73, v73, v91
	ds_bpermute_b32 v74, v75, v73
	v_cmpx_gt_u32_e32 16, v71
	s_cbranch_execz .LBB1245_12
; %bb.11:
	v_mul_u32_u24_e32 v71, 0x44, v69
	s_waitcnt lgkmcnt(0)
	v_add_f32_e32 v73, v73, v74
	s_delay_alu instid0(VALU_DEP_2) | instskip(NEXT) | instid1(VALU_DEP_1)
	v_lshl_add_u32 v71, v70, 2, v71
	v_add_nc_u32_e32 v71, 0x4000, v71
	ds_store_2addr_b32 v71, v72, v73 offset1:136
.LBB1245_12:
	s_or_b32 exec_lo, exec_lo, s2
	v_lshlrev_b32_e32 v70, 2, v70
	s_load_b32 s34, s[0:1], 0x94
	s_waitcnt lgkmcnt(0)
	s_barrier
	buffer_gl0_inv
	v_add_nc_u32_e32 v74, 0x4000, v70
	v_cmp_eq_u32_e32 vcc_lo, 1, v69
	v_cmp_eq_u32_e64 s2, 2, v69
	v_cmp_eq_u32_e64 s3, 3, v69
	;; [unrolled: 1-line block ×3, first 2 shown]
	ds_load_2addr_b32 v[70:71], v74 offset1:17
	ds_load_2addr_b32 v[72:73], v74 offset0:34 offset1:51
	ds_load_2addr_b32 v[93:94], v74 offset0:68 offset1:85
	;; [unrolled: 1-line block ×3, first 2 shown]
	v_cmp_eq_u32_e64 s5, 7, v69
	s_waitcnt lgkmcnt(3)
	v_max3_f32 v75, v70, 0xff7fffff, v71
	s_waitcnt lgkmcnt(2)
	s_delay_alu instid0(VALU_DEP_1) | instskip(SKIP_1) | instid1(VALU_DEP_1)
	v_max3_f32 v75, v75, v72, v73
	s_waitcnt lgkmcnt(1)
	v_max3_f32 v75, v75, v93, v94
	s_waitcnt lgkmcnt(0)
	s_delay_alu instid0(VALU_DEP_1) | instskip(NEXT) | instid1(VALU_DEP_1)
	v_max3_f32 v75, v75, v95, v96
	v_sub_f32_e32 v93, v93, v75
	ds_load_2addr_b32 v[97:98], v74 offset0:136 offset1:153
	v_sub_f32_e32 v70, v70, v75
	v_dual_sub_f32 v100, v73, v75 :: v_dual_mul_f32 v103, 0x3fb8aa3b, v93
	s_delay_alu instid0(VALU_DEP_2) | instskip(SKIP_3) | instid1(VALU_DEP_1)
	v_dual_sub_f32 v76, v71, v75 :: v_dual_mul_f32 v99, 0x3fb8aa3b, v70
	ds_load_2addr_b32 v[70:71], v74 offset0:170 offset1:187
	v_mul_f32_e32 v76, 0x3fb8aa3b, v76
	v_exp_f32_e32 v99, v99
	v_exp_f32_e32 v102, v76
	v_mul_f32_e32 v100, 0x3fb8aa3b, v100
	s_waitcnt lgkmcnt(1)
	s_waitcnt_depctr 0xfff
	v_fma_f32 v76, v99, v97, 0
	v_sub_f32_e32 v97, v94, v75
	v_sub_f32_e32 v72, v72, v75
	v_exp_f32_e32 v100, v100
	ds_load_2addr_b32 v[93:94], v74 offset0:238 offset1:255
	v_dual_fmac_f32 v76, v102, v98 :: v_dual_mul_f32 v101, 0x3fb8aa3b, v72
	ds_load_2addr_b32 v[72:73], v74 offset0:204 offset1:221
	v_dual_sub_f32 v74, v95, v75 :: v_dual_mul_f32 v95, 0x3fb8aa3b, v97
	v_exp_f32_e32 v97, v103
	v_exp_f32_e32 v101, v101
	s_waitcnt lgkmcnt(0)
	s_delay_alu instid0(VALU_DEP_1)
	v_mul_f32_e32 v74, 0x3fb8aa3b, v74
	v_exp_f32_e32 v95, v95
	s_barrier
	buffer_gl0_inv
	v_fmac_f32_e32 v76, v101, v70
	v_sub_f32_e32 v70, v96, v75
	v_exp_f32_e32 v96, v74
	s_delay_alu instid0(VALU_DEP_2) | instskip(NEXT) | instid1(VALU_DEP_2)
	v_fmac_f32_e32 v76, v100, v71
	v_mul_f32_e32 v70, 0x3fb8aa3b, v70
	s_delay_alu instid0(VALU_DEP_2) | instskip(NEXT) | instid1(VALU_DEP_2)
	v_dual_cndmask_b32 v71, v99, v102 :: v_dual_fmac_f32 v76, v97, v72
	v_exp_f32_e32 v98, v70
	s_delay_alu instid0(VALU_DEP_1) | instskip(SKIP_2) | instid1(VALU_DEP_1)
	v_fmac_f32_e32 v76, v95, v73
	s_waitcnt_depctr 0xfff
	v_fmac_f32_e32 v76, v96, v93
	v_fmac_f32_e32 v76, v98, v94
	s_delay_alu instid0(VALU_DEP_1) | instskip(NEXT) | instid1(VALU_DEP_1)
	v_add_f32_e32 v93, 0x358637bd, v76
	v_div_scale_f32 v94, null, v93, v93, 1.0
	v_div_scale_f32 v99, vcc_lo, 1.0, v93, 1.0
	s_delay_alu instid0(VALU_DEP_2) | instskip(SKIP_2) | instid1(VALU_DEP_1)
	v_rcp_f32_e32 v103, v94
	s_waitcnt_depctr 0xfff
	v_fma_f32 v70, -v94, v103, 1.0
	v_fmac_f32_e32 v103, v70, v103
	v_cndmask_b32_e64 v70, v71, v101, s2
	v_cmp_eq_u32_e64 s2, 4, v69
	v_lshlrev_b32_e32 v71, 2, v66
	s_delay_alu instid0(VALU_DEP_4) | instskip(NEXT) | instid1(VALU_DEP_4)
	v_mul_f32_e32 v101, v99, v103
	v_cndmask_b32_e64 v72, v70, v100, s3
	v_cmp_eq_u32_e64 s3, 6, v69
	v_lshl_or_b32 v70, v69, 11, v68
	v_or_b32_e32 v74, 1, v71
	v_fma_f32 v73, -v94, v101, v99
	v_cndmask_b32_e64 v72, v72, v97, s2
	v_cmp_eq_u32_e64 s2, 1, v71
	v_lshl_or_b32 v69, v66, 4, v70
	v_cmp_eq_u32_e64 s8, 1, v74
	v_fmac_f32_e32 v101, v73, v103
	v_cndmask_b32_e64 v95, v72, v95, s4
	v_or_b32_e32 v72, 2, v71
	v_or_b32_e32 v73, 3, v71
	v_cmp_eq_u32_e64 s11, 2, v74
	v_fma_f32 v94, -v94, v101, v99
	v_cndmask_b32_e64 v95, v95, v96, s3
	v_cmp_eq_u32_e64 s9, 1, v72
	v_cmp_eq_u32_e64 s10, 1, v73
	;; [unrolled: 1-line block ×3, first 2 shown]
	v_div_fmas_f32 v94, v94, v103, v101
	v_cndmask_b32_e64 v95, v95, v98, s5
	v_cmp_eq_u32_e32 vcc_lo, 2, v71
	v_cmp_eq_u32_e64 s15, 2, v73
	v_cmp_eq_u32_e64 s17, 3, v73
	v_div_fixup_f32 v93, v94, v93, 1.0
	v_cmp_eq_u32_e64 s3, 3, v71
	v_cmp_eq_u32_e64 s12, 3, v74
	;; [unrolled: 1-line block ×4, first 2 shown]
	v_mul_f32_e32 v101, v95, v93
	v_cmp_eq_u32_e64 s4, 4, v71
	v_cmp_eq_u32_e64 s18, 4, v74
	v_cmp_eq_u32_e64 s20, 4, v72
	v_cmp_eq_u32_e64 s23, 5, v73
	v_fma_mixlo_f16 v93, v101, v78, 0
	v_fma_mixlo_f16 v94, v101, v80, 0
	;; [unrolled: 1-line block ×8, first 2 shown]
	v_fma_mixhi_f16 v93, v101, v77, 0
	v_fma_mixhi_f16 v94, v101, v79, 0
	;; [unrolled: 1-line block ×8, first 2 shown]
	ds_store_b128 v69, v[93:96]
	ds_store_b128 v69, v[97:100] offset:1024
	s_waitcnt lgkmcnt(0)
	s_barrier
	buffer_gl0_inv
	ds_load_b128 v[77:80], v70
	ds_load_b128 v[81:84], v70 offset:16
	ds_load_b128 v[85:88], v70 offset:1024
	;; [unrolled: 1-line block ×3, first 2 shown]
	v_cmp_eq_u32_e64 s5, 5, v71
	v_cmp_eq_u32_e64 s19, 5, v74
	v_cmp_eq_u32_e64 s22, 5, v72
	v_cmp_eq_u32_e64 s26, 6, v73
	v_cmp_eq_u32_e64 s6, 6, v71
	v_cmp_eq_u32_e64 s24, 6, v74
	v_cmp_eq_u32_e64 s25, 6, v72
	v_cmp_eq_u32_e64 s28, 7, v73
	v_cmp_eq_u32_e64 s7, 7, v71
	v_cmp_eq_u32_e64 s27, 7, v72
	v_cmp_eq_u32_e64 s29, 7, v74
	s_waitcnt lgkmcnt(3)
	v_lshrrev_b32_e32 v93, 16, v77
	s_waitcnt lgkmcnt(2)
	v_lshrrev_b32_e32 v97, 16, v81
	;; [unrolled: 2-line block ×4, first 2 shown]
	v_lshrrev_b32_e32 v94, 16, v78
	v_cndmask_b32_e64 v109, v77, v93, s2
	v_cndmask_b32_e64 v110, v81, v97, s2
	;; [unrolled: 1-line block ×8, first 2 shown]
	v_lshrrev_b32_e32 v98, 16, v82
	v_cndmask_b32_e64 v93, v85, v101, s2
	v_cndmask_b32_e64 v97, v89, v105, s2
	;; [unrolled: 1-line block ×5, first 2 shown]
	v_cndmask_b32_e32 v101, v109, v78, vcc_lo
	v_cndmask_b32_e64 v109, v111, v78, s11
	v_cndmask_b32_e64 v111, v113, v78, s13
	;; [unrolled: 1-line block ×4, first 2 shown]
	v_lshrrev_b32_e32 v102, 16, v86
	v_lshrrev_b32_e32 v106, 16, v90
	v_cndmask_b32_e64 v116, v89, v105, s8
	v_cndmask_b32_e64 v118, v89, v105, s9
	;; [unrolled: 1-line block ×3, first 2 shown]
	v_cndmask_b32_e32 v105, v110, v82, vcc_lo
	v_cndmask_b32_e64 v110, v112, v82, s11
	v_cndmask_b32_e64 v112, v114, v82, s13
	v_cndmask_b32_e32 v81, v93, v86, vcc_lo
	v_cndmask_b32_e32 v82, v97, v90, vcc_lo
	v_cndmask_b32_e64 v93, v115, v86, s11
	v_cndmask_b32_e64 v77, v77, v94, s17
	;; [unrolled: 1-line block ×3, first 2 shown]
	v_lshrrev_b32_e32 v95, 16, v79
	v_lshrrev_b32_e32 v99, 16, v83
	v_cndmask_b32_e64 v97, v117, v86, s13
	v_cndmask_b32_e64 v85, v85, v86, s15
	;; [unrolled: 1-line block ×14, first 2 shown]
	v_lshrrev_b32_e32 v103, 16, v87
	v_cndmask_b32_e64 v89, v89, v79, s4
	v_cndmask_b32_e64 v94, v101, v83, s4
	;; [unrolled: 1-line block ×11, first 2 shown]
	v_lshrrev_b32_e32 v96, 16, v80
	v_lshrrev_b32_e32 v100, 16, v84
	v_cndmask_b32_e64 v83, v89, v95, s5
	v_cndmask_b32_e64 v89, v94, v99, s5
	;; [unrolled: 1-line block ×9, first 2 shown]
	v_lshrrev_b32_e32 v104, 16, v88
	v_cndmask_b32_e64 v79, v79, v103, s5
	v_cndmask_b32_e64 v83, v83, v80, s6
	;; [unrolled: 1-line block ×19, first 2 shown]
	v_perm_b32 v80, v78, v77, 0x5040100
	v_cndmask_b32_e64 v77, v116, v90, s11
	v_cndmask_b32_e64 v95, v79, v104, s7
	v_perm_b32 v79, v93, v89, 0x5040100
	v_perm_b32 v78, v94, v84, 0x5040100
	v_cndmask_b32_e64 v84, v97, v102, s16
	v_cndmask_b32_e64 v85, v85, v102, s17
	v_cndmask_b32_e64 v86, v86, v106, s17
	v_cndmask_b32_e64 v89, v113, v106, s16
	v_cndmask_b32_e64 v77, v77, v106, s12
	v_lshrrev_b32_e32 v107, 16, v91
	v_cndmask_b32_e64 v84, v84, v87, s20
	v_cndmask_b32_e64 v85, v85, v87, s21
	;; [unrolled: 1-line block ×11, first 2 shown]
	v_lshrrev_b32_e32 v108, 16, v92
	v_cndmask_b32_e64 v81, v81, v92, s6
	v_cndmask_b32_e64 v84, v84, v88, s25
	;; [unrolled: 1-line block ×12, first 2 shown]
	v_perm_b32 v77, v83, v82, 0x5040100
	v_perm_b32 v84, v85, v84, 0x5040100
	;; [unrolled: 1-line block ×5, first 2 shown]
	s_lshl_b32 s7, s33, 4
	s_mov_b32 s2, exec_lo
	ds_store_b128 v69, v[77:80]
	ds_store_b128 v69, v[81:84] offset:1024
	v_cmpx_gt_u32_e32 16, v0
	s_cbranch_execz .LBB1245_14
; %bb.13:
	v_or_b32_e32 v77, s31, v0
	s_load_b128 s[8:11], s[0:1], 0x58
	s_delay_alu instid0(VALU_DEP_1) | instskip(NEXT) | instid1(VALU_DEP_1)
	v_mad_u64_u32 v[78:79], null, s7, s30, v[77:78]
	v_mad_u64_u32 v[79:80], null, v78, s34, s[14:15]
	s_delay_alu instid0(VALU_DEP_1) | instskip(NEXT) | instid1(VALU_DEP_1)
	v_ashrrev_i32_e32 v80, 31, v79
	v_lshlrev_b64 v[77:78], 2, v[79:80]
	s_waitcnt lgkmcnt(0)
	s_delay_alu instid0(VALU_DEP_1) | instskip(NEXT) | instid1(VALU_DEP_2)
	v_add_co_u32 v79, vcc_lo, s10, v77
	v_add_co_ci_u32_e32 v80, vcc_lo, s11, v78, vcc_lo
	v_add_co_u32 v77, vcc_lo, s8, v77
	v_add_co_ci_u32_e32 v78, vcc_lo, s9, v78, vcc_lo
	global_store_b32 v[79:80], v75, off
	global_store_b32 v[77:78], v76, off
.LBB1245_14:
	s_or_b32 exec_lo, exec_lo, s2
	s_waitcnt lgkmcnt(0)
	s_waitcnt_vscnt null, 0x0
	s_barrier
	buffer_gl0_inv
	ds_load_b128 v[83:86], v68
	ds_load_b128 v[87:90], v68 offset:16
	ds_load_b128 v[95:98], v68 offset:2064
	;; [unrolled: 1-line block ×5, first 2 shown]
	v_cmp_eq_u32_e32 vcc_lo, 1, v71
	v_mov_b32_e32 v75, 0
	ds_load_b128 v[111:114], v68 offset:6160
	ds_load_b128 v[107:110], v68 offset:6144
	;; [unrolled: 1-line block ×4, first 2 shown]
	v_cmp_eq_u32_e64 s3, 1, v72
	v_cmp_eq_u32_e64 s2, 1, v74
	;; [unrolled: 1-line block ×3, first 2 shown]
	v_mov_b32_e32 v76, v75
	v_mov_b32_e32 v77, v75
	;; [unrolled: 1-line block ×7, first 2 shown]
	v_cmp_eq_u32_e64 s5, 3, v74
	v_cmp_eq_u32_e64 s6, 7, v74
	s_waitcnt lgkmcnt(8)
	s_delay_alu instid0(VALU_DEP_3)
	v_wmma_f32_16x16x16_f16 v[75:82], v[49:56], v[83:90], v[75:82]
	ds_load_b128 v[53:56], v68 offset:10256
	ds_load_b128 v[49:52], v68 offset:10240
	s_waitcnt lgkmcnt(8)
	v_wmma_f32_16x16x16_f16 v[75:82], v[41:48], v[91:98], v[75:82]
	ds_load_b128 v[45:48], v68 offset:12304
	ds_load_b128 v[41:44], v68 offset:12288
	s_waitcnt lgkmcnt(8)
	;; [unrolled: 4-line block ×3, first 2 shown]
	s_barrier
	buffer_gl0_inv
	v_wmma_f32_16x16x16_f16 v[75:82], v[1:8], v[107:114], v[75:82]
	s_delay_alu instid0(VALU_DEP_1) | instskip(NEXT) | instid1(VALU_DEP_1)
	v_wmma_f32_16x16x16_f16 v[75:82], v[9:16], v[115:122], v[75:82]
	v_wmma_f32_16x16x16_f16 v[75:82], v[17:24], v[49:56], v[75:82]
	s_delay_alu instid0(VALU_DEP_1) | instskip(NEXT) | instid1(VALU_DEP_1)
	v_wmma_f32_16x16x16_f16 v[75:82], v[25:32], v[41:48], v[75:82]
	v_wmma_f32_16x16x16_f16 v[75:82], v[57:64], v[33:40], v[75:82]
	s_delay_alu instid0(VALU_DEP_1) | instskip(NEXT) | instid1(VALU_DEP_2)
	v_cvt_f16_f32_e32 v1, v75
	v_cvt_f16_f32_e32 v2, v76
	s_delay_alu instid0(VALU_DEP_3) | instskip(NEXT) | instid1(VALU_DEP_4)
	v_cvt_f16_f32_e32 v3, v77
	v_cvt_f16_f32_e32 v4, v78
	;; [unrolled: 1-line block ×6, first 2 shown]
	v_pack_b32_f16 v1, v1, v2
	v_pack_b32_f16 v2, v3, v4
	v_pack_b32_f16 v3, v5, v6
	s_delay_alu instid0(VALU_DEP_4)
	v_pack_b32_f16 v4, v7, v8
	ds_store_b128 v69, v[1:4]
	s_waitcnt lgkmcnt(0)
	s_barrier
	buffer_gl0_inv
	ds_load_b128 v[1:4], v70
	ds_load_b128 v[5:8], v70 offset:16
	s_waitcnt lgkmcnt(1)
	v_lshrrev_b32_e32 v9, 16, v1
	s_waitcnt lgkmcnt(0)
	v_lshrrev_b32_e32 v13, 16, v5
	v_lshrrev_b32_e32 v10, 16, v2
	v_lshrrev_b32_e32 v14, 16, v6
	v_lshrrev_b32_e32 v11, 16, v3
	v_cndmask_b32_e32 v17, v1, v9, vcc_lo
	v_cndmask_b32_e32 v18, v5, v13, vcc_lo
	v_cndmask_b32_e64 v21, v1, v9, s3
	v_cmp_eq_u32_e32 vcc_lo, 1, v73
	v_cndmask_b32_e64 v22, v5, v13, s3
	v_cmp_eq_u32_e64 s3, 2, v71
	v_cndmask_b32_e64 v19, v1, v9, s2
	v_cndmask_b32_e64 v20, v5, v13, s2
	v_cndmask_b32_e32 v1, v1, v9, vcc_lo
	v_cmp_eq_u32_e64 s2, 2, v73
	v_cndmask_b32_e32 v5, v5, v13, vcc_lo
	v_cndmask_b32_e64 v9, v17, v2, s3
	v_cmp_eq_u32_e32 vcc_lo, 3, v71
	v_cndmask_b32_e64 v13, v18, v6, s3
	v_cmp_eq_u32_e64 s3, 2, v72
	v_cndmask_b32_e64 v17, v19, v2, s4
	v_cndmask_b32_e64 v18, v20, v6, s4
	v_cmp_eq_u32_e64 s4, 3, v72
	v_cndmask_b32_e64 v1, v1, v2, s2
	v_cndmask_b32_e64 v19, v21, v2, s3
	;; [unrolled: 1-line block ×4, first 2 shown]
	v_cndmask_b32_e32 v5, v9, v10, vcc_lo
	v_cndmask_b32_e32 v6, v13, v14, vcc_lo
	v_cmp_eq_u32_e32 vcc_lo, 3, v73
	v_cndmask_b32_e64 v9, v17, v10, s5
	v_cndmask_b32_e64 v13, v18, v14, s5
	;; [unrolled: 1-line block ×3, first 2 shown]
	v_cmp_eq_u32_e64 s3, 4, v71
	v_cndmask_b32_e32 v1, v1, v10, vcc_lo
	v_cndmask_b32_e32 v2, v2, v14, vcc_lo
	v_cmp_eq_u32_e32 vcc_lo, 4, v74
	v_lshrrev_b32_e32 v15, 16, v7
	v_lshrrev_b32_e32 v16, 16, v8
	v_cndmask_b32_e64 v17, v19, v10, s4
	v_cmp_eq_u32_e64 s2, 4, v73
	v_cndmask_b32_e64 v5, v5, v3, s3
	v_cndmask_b32_e64 v6, v6, v7, s3
	v_cndmask_b32_e32 v9, v9, v3, vcc_lo
	v_cmp_eq_u32_e64 s3, 5, v74
	v_cndmask_b32_e32 v10, v13, v7, vcc_lo
	v_cmp_eq_u32_e32 vcc_lo, 4, v72
	v_cmp_eq_u32_e64 s4, 5, v71
	v_cndmask_b32_e64 v2, v2, v7, s2
	v_cndmask_b32_e64 v9, v9, v11, s3
	;; [unrolled: 1-line block ×3, first 2 shown]
	v_cndmask_b32_e32 v13, v17, v3, vcc_lo
	v_cmp_eq_u32_e64 s3, 5, v72
	v_cndmask_b32_e32 v14, v18, v7, vcc_lo
	v_cndmask_b32_e64 v1, v1, v3, s2
	v_cmp_eq_u32_e32 vcc_lo, 5, v73
	v_lshrrev_b32_e32 v12, 16, v4
	v_cndmask_b32_e64 v13, v13, v11, s3
	v_cndmask_b32_e64 v3, v14, v15, s3
	v_cmp_eq_u32_e64 s3, 6, v73
	v_cndmask_b32_e32 v1, v1, v11, vcc_lo
	v_cndmask_b32_e64 v5, v5, v11, s4
	v_cmp_eq_u32_e64 s5, 6, v71
	v_cndmask_b32_e64 v6, v6, v15, s4
	v_cmp_eq_u32_e64 s4, 6, v74
	v_cmp_eq_u32_e64 s2, 6, v72
	v_cndmask_b32_e64 v1, v1, v4, s3
	v_cndmask_b32_e32 v2, v2, v15, vcc_lo
	v_cmp_eq_u32_e32 vcc_lo, 7, v73
	v_cndmask_b32_e64 v5, v5, v4, s5
	v_cndmask_b32_e64 v9, v9, v4, s4
	;; [unrolled: 1-line block ×3, first 2 shown]
	v_cmp_eq_u32_e64 s5, 7, v71
	v_cndmask_b32_e32 v1, v1, v12, vcc_lo
	v_cndmask_b32_e64 v7, v13, v4, s2
	v_cndmask_b32_e64 v3, v3, v8, s2
	;; [unrolled: 1-line block ×3, first 2 shown]
	v_cmp_eq_u32_e64 s2, 7, v72
	v_cndmask_b32_e64 v4, v10, v8, s4
	v_cndmask_b32_e64 v5, v5, v12, s5
	v_cndmask_b32_e64 v9, v9, v12, s6
	v_cndmask_b32_e32 v2, v2, v16, vcc_lo
	v_cndmask_b32_e64 v7, v7, v12, s2
	v_cndmask_b32_e64 v3, v3, v16, s2
	;; [unrolled: 1-line block ×4, first 2 shown]
	v_perm_b32 v4, v2, v1, 0x5040100
	s_mov_b32 s2, exec_lo
	v_perm_b32 v3, v3, v7, 0x5040100
	v_perm_b32 v2, v8, v9, 0x5040100
	;; [unrolled: 1-line block ×3, first 2 shown]
	ds_store_b128 v69, v[1:4]
	s_waitcnt lgkmcnt(0)
	s_barrier
	buffer_gl0_inv
	v_cmpx_gt_u32_e32 32, v0
	s_cbranch_execz .LBB1245_2
; %bb.15:
	s_load_b64 s[0:1], s[0:1], 0x68
	v_lshlrev_b32_e32 v0, 10, v0
	s_lshl_b32 s4, s34, 7
	v_or_b32_e32 v23, s31, v66
	s_mul_i32 s2, s4, s30
	v_lshlrev_b32_e32 v1, 4, v67
	v_lshlrev_b32_e32 v2, 6, v66
	s_mul_i32 s2, s2, s7
	v_and_b32_e32 v0, 0x3800, v0
	v_mul_lo_u32 v8, v23, s4
	s_ashr_i32 s3, s2, 31
	v_or_b32_e32 v3, 2, v23
	s_lshl_b64 s[2:3], s[2:3], 1
	v_or3_b32 v27, v0, v1, v2
	v_or_b32_e32 v11, 4, v23
	v_or_b32_e32 v18, 6, v23
	v_mul_lo_u32 v10, v3, s4
	v_ashrrev_i32_e32 v9, 31, v8
	ds_load_b128 v[0:3], v27
	ds_load_b128 v[4:7], v27 offset:128
	v_mul_lo_u32 v12, v11, s4
	s_waitcnt lgkmcnt(0)
	s_add_u32 s2, s0, s2
	s_addc_u32 s3, s1, s3
	s_lshl_b32 s0, s14, 7
	v_lshlrev_b64 v[8:9], 1, v[8:9]
	s_ashr_i32 s1, s0, 31
	v_ashrrev_i32_e32 v11, 31, v10
	s_lshl_b64 s[0:1], s[0:1], 1
	v_ashrrev_i32_e32 v13, 31, v12
	s_add_u32 s0, s2, s0
	s_addc_u32 s1, s3, s1
	v_add_co_u32 v30, s0, s0, v65
	s_delay_alu instid0(VALU_DEP_1) | instskip(SKIP_1) | instid1(VALU_DEP_3)
	v_add_co_ci_u32_e64 v31, null, s1, 0, s0
	v_lshlrev_b64 v[16:17], 1, v[10:11]
	v_add_co_u32 v14, vcc_lo, v30, v8
	s_delay_alu instid0(VALU_DEP_3)
	v_add_co_ci_u32_e32 v15, vcc_lo, v31, v9, vcc_lo
	ds_load_b128 v[8:11], v27 offset:256
	v_mul_lo_u32 v18, v18, s4
	v_or_b32_e32 v19, 8, v23
	v_add_co_u32 v16, vcc_lo, v30, v16
	global_store_b128 v[14:15], v[0:3], off
	v_lshlrev_b64 v[0:1], 1, v[12:13]
	v_add_co_ci_u32_e32 v17, vcc_lo, v31, v17, vcc_lo
	v_mul_lo_u32 v12, v19, s4
	v_ashrrev_i32_e32 v19, 31, v18
	v_or_b32_e32 v14, 10, v23
	global_store_b128 v[16:17], v[4:7], off
	v_add_co_u32 v4, vcc_lo, v30, v0
	v_add_co_ci_u32_e32 v5, vcc_lo, v31, v1, vcc_lo
	ds_load_b128 v[0:3], v27 offset:384
	v_ashrrev_i32_e32 v13, 31, v12
	v_lshlrev_b64 v[6:7], 1, v[18:19]
	v_mul_lo_u32 v14, v14, s4
	s_waitcnt lgkmcnt(1)
	global_store_b128 v[4:5], v[8:11], off
	v_or_b32_e32 v8, 12, v23
	v_lshlrev_b64 v[4:5], 1, v[12:13]
	v_add_co_u32 v20, vcc_lo, v30, v6
	v_or_b32_e32 v6, 14, v23
	v_ashrrev_i32_e32 v15, 31, v14
	v_mul_lo_u32 v22, v8, s4
	v_add_co_ci_u32_e32 v21, vcc_lo, v31, v7, vcc_lo
	v_add_co_u32 v24, vcc_lo, v30, v4
	v_mul_lo_u32 v26, v6, s4
	v_add_co_ci_u32_e32 v25, vcc_lo, v31, v5, vcc_lo
	v_lshlrev_b64 v[28:29], 1, v[14:15]
	ds_load_b128 v[4:7], v27 offset:512
	ds_load_b128 v[8:11], v27 offset:640
	;; [unrolled: 1-line block ×4, first 2 shown]
	v_ashrrev_i32_e32 v23, 31, v22
	v_ashrrev_i32_e32 v27, 31, v26
	v_add_co_u32 v28, vcc_lo, v30, v28
	s_delay_alu instid0(VALU_DEP_3) | instskip(SKIP_1) | instid1(VALU_DEP_4)
	v_lshlrev_b64 v[22:23], 1, v[22:23]
	v_add_co_ci_u32_e32 v29, vcc_lo, v31, v29, vcc_lo
	v_lshlrev_b64 v[26:27], 1, v[26:27]
	s_delay_alu instid0(VALU_DEP_3) | instskip(NEXT) | instid1(VALU_DEP_4)
	v_add_co_u32 v22, vcc_lo, v30, v22
	v_add_co_ci_u32_e32 v23, vcc_lo, v31, v23, vcc_lo
	s_delay_alu instid0(VALU_DEP_3) | instskip(NEXT) | instid1(VALU_DEP_4)
	v_add_co_u32 v26, vcc_lo, v30, v26
	v_add_co_ci_u32_e32 v27, vcc_lo, v31, v27, vcc_lo
	s_waitcnt lgkmcnt(4)
	global_store_b128 v[20:21], v[0:3], off
	s_waitcnt lgkmcnt(3)
	global_store_b128 v[24:25], v[4:7], off
	;; [unrolled: 2-line block ×5, first 2 shown]
	s_nop 0
	s_sendmsg sendmsg(MSG_DEALLOC_VGPRS)
	s_endpgm
	.section	.rodata,"a",@progbits
	.p2align	6, 0x0
	.amdhsa_kernel _Z39paged_attention_ll4mi_QKV_mfma16_kernelIDF16_hLN4vllm18Fp8KVCacheDataTypeE1EhLi16ELi128ELi256ELb0ELi16EL8MFMAType0EEvPKT_PKT0_S8_ifPKiSA_SA_iPKfiiiPfSD_PS3_PT2_iSC_SC_
		.amdhsa_group_segment_fixed_size 17472
		.amdhsa_private_segment_fixed_size 0
		.amdhsa_kernarg_size 400
		.amdhsa_user_sgpr_count 13
		.amdhsa_user_sgpr_dispatch_ptr 0
		.amdhsa_user_sgpr_queue_ptr 0
		.amdhsa_user_sgpr_kernarg_segment_ptr 1
		.amdhsa_user_sgpr_dispatch_id 0
		.amdhsa_user_sgpr_private_segment_size 0
		.amdhsa_wavefront_size32 1
		.amdhsa_uses_dynamic_stack 0
		.amdhsa_enable_private_segment 0
		.amdhsa_system_sgpr_workgroup_id_x 1
		.amdhsa_system_sgpr_workgroup_id_y 1
		.amdhsa_system_sgpr_workgroup_id_z 1
		.amdhsa_system_sgpr_workgroup_info 0
		.amdhsa_system_vgpr_workitem_id 0
		.amdhsa_next_free_vgpr 140
		.amdhsa_next_free_sgpr 35
		.amdhsa_reserve_vcc 1
		.amdhsa_float_round_mode_32 0
		.amdhsa_float_round_mode_16_64 0
		.amdhsa_float_denorm_mode_32 3
		.amdhsa_float_denorm_mode_16_64 3
		.amdhsa_dx10_clamp 1
		.amdhsa_ieee_mode 1
		.amdhsa_fp16_overflow 0
		.amdhsa_workgroup_processor_mode 1
		.amdhsa_memory_ordered 1
		.amdhsa_forward_progress 0
		.amdhsa_shared_vgpr_count 0
		.amdhsa_exception_fp_ieee_invalid_op 0
		.amdhsa_exception_fp_denorm_src 0
		.amdhsa_exception_fp_ieee_div_zero 0
		.amdhsa_exception_fp_ieee_overflow 0
		.amdhsa_exception_fp_ieee_underflow 0
		.amdhsa_exception_fp_ieee_inexact 0
		.amdhsa_exception_int_div_zero 0
	.end_amdhsa_kernel
	.section	.text._Z39paged_attention_ll4mi_QKV_mfma16_kernelIDF16_hLN4vllm18Fp8KVCacheDataTypeE1EhLi16ELi128ELi256ELb0ELi16EL8MFMAType0EEvPKT_PKT0_S8_ifPKiSA_SA_iPKfiiiPfSD_PS3_PT2_iSC_SC_,"axG",@progbits,_Z39paged_attention_ll4mi_QKV_mfma16_kernelIDF16_hLN4vllm18Fp8KVCacheDataTypeE1EhLi16ELi128ELi256ELb0ELi16EL8MFMAType0EEvPKT_PKT0_S8_ifPKiSA_SA_iPKfiiiPfSD_PS3_PT2_iSC_SC_,comdat
.Lfunc_end1245:
	.size	_Z39paged_attention_ll4mi_QKV_mfma16_kernelIDF16_hLN4vllm18Fp8KVCacheDataTypeE1EhLi16ELi128ELi256ELb0ELi16EL8MFMAType0EEvPKT_PKT0_S8_ifPKiSA_SA_iPKfiiiPfSD_PS3_PT2_iSC_SC_, .Lfunc_end1245-_Z39paged_attention_ll4mi_QKV_mfma16_kernelIDF16_hLN4vllm18Fp8KVCacheDataTypeE1EhLi16ELi128ELi256ELb0ELi16EL8MFMAType0EEvPKT_PKT0_S8_ifPKiSA_SA_iPKfiiiPfSD_PS3_PT2_iSC_SC_
                                        ; -- End function
	.section	.AMDGPU.csdata,"",@progbits
; Kernel info:
; codeLenInByte = 6832
; NumSgprs: 37
; NumVgprs: 140
; ScratchSize: 0
; MemoryBound: 0
; FloatMode: 240
; IeeeMode: 1
; LDSByteSize: 17472 bytes/workgroup (compile time only)
; SGPRBlocks: 4
; VGPRBlocks: 17
; NumSGPRsForWavesPerEU: 37
; NumVGPRsForWavesPerEU: 140
; Occupancy: 10
; WaveLimiterHint : 1
; COMPUTE_PGM_RSRC2:SCRATCH_EN: 0
; COMPUTE_PGM_RSRC2:USER_SGPR: 13
; COMPUTE_PGM_RSRC2:TRAP_HANDLER: 0
; COMPUTE_PGM_RSRC2:TGID_X_EN: 1
; COMPUTE_PGM_RSRC2:TGID_Y_EN: 1
; COMPUTE_PGM_RSRC2:TGID_Z_EN: 1
; COMPUTE_PGM_RSRC2:TIDIG_COMP_CNT: 0
	.section	.text._Z39paged_attention_ll4mi_QKV_mfma16_kernelIDF16_hLN4vllm18Fp8KVCacheDataTypeE1EhLi16ELi128ELi256ELb0ELi1EL8MFMAType0EEvPKT_PKT0_S8_ifPKiSA_SA_iPKfiiiPfSD_PS3_PT2_iSC_SC_,"axG",@progbits,_Z39paged_attention_ll4mi_QKV_mfma16_kernelIDF16_hLN4vllm18Fp8KVCacheDataTypeE1EhLi16ELi128ELi256ELb0ELi1EL8MFMAType0EEvPKT_PKT0_S8_ifPKiSA_SA_iPKfiiiPfSD_PS3_PT2_iSC_SC_,comdat
	.protected	_Z39paged_attention_ll4mi_QKV_mfma16_kernelIDF16_hLN4vllm18Fp8KVCacheDataTypeE1EhLi16ELi128ELi256ELb0ELi1EL8MFMAType0EEvPKT_PKT0_S8_ifPKiSA_SA_iPKfiiiPfSD_PS3_PT2_iSC_SC_ ; -- Begin function _Z39paged_attention_ll4mi_QKV_mfma16_kernelIDF16_hLN4vllm18Fp8KVCacheDataTypeE1EhLi16ELi128ELi256ELb0ELi1EL8MFMAType0EEvPKT_PKT0_S8_ifPKiSA_SA_iPKfiiiPfSD_PS3_PT2_iSC_SC_
	.globl	_Z39paged_attention_ll4mi_QKV_mfma16_kernelIDF16_hLN4vllm18Fp8KVCacheDataTypeE1EhLi16ELi128ELi256ELb0ELi1EL8MFMAType0EEvPKT_PKT0_S8_ifPKiSA_SA_iPKfiiiPfSD_PS3_PT2_iSC_SC_
	.p2align	8
	.type	_Z39paged_attention_ll4mi_QKV_mfma16_kernelIDF16_hLN4vllm18Fp8KVCacheDataTypeE1EhLi16ELi128ELi256ELb0ELi1EL8MFMAType0EEvPKT_PKT0_S8_ifPKiSA_SA_iPKfiiiPfSD_PS3_PT2_iSC_SC_,@function
_Z39paged_attention_ll4mi_QKV_mfma16_kernelIDF16_hLN4vllm18Fp8KVCacheDataTypeE1EhLi16ELi128ELi256ELb0ELi1EL8MFMAType0EEvPKT_PKT0_S8_ifPKiSA_SA_iPKfiiiPfSD_PS3_PT2_iSC_SC_: ; @_Z39paged_attention_ll4mi_QKV_mfma16_kernelIDF16_hLN4vllm18Fp8KVCacheDataTypeE1EhLi16ELi128ELi256ELb0ELi1EL8MFMAType0EEvPKT_PKT0_S8_ifPKiSA_SA_iPKfiiiPfSD_PS3_PT2_iSC_SC_
; %bb.0:
	s_load_b64 s[4:5], s[0:1], 0x30
	s_mov_b32 s34, s13
	s_waitcnt lgkmcnt(0)
	s_cmp_lg_u64 s[4:5], 0
	s_cselect_b32 s6, -1, 0
	s_ashr_i32 s35, s13, 31
	s_cmp_eq_u64 s[4:5], 0
	s_cbranch_scc1 .LBB1246_3
; %bb.1:
	s_lshl_b64 s[2:3], s[34:35], 2
	s_delay_alu instid0(SALU_CYCLE_1) | instskip(SKIP_4) | instid1(SALU_CYCLE_1)
	s_add_u32 s2, s4, s2
	s_addc_u32 s3, s5, s3
	s_load_b64 s[2:3], s[2:3], 0x0
	s_waitcnt lgkmcnt(0)
	s_sub_i32 s2, s3, s2
	s_cmp_eq_u32 s2, 1
	s_cselect_b32 s2, -1, 0
	s_delay_alu instid0(SALU_CYCLE_1)
	s_and_not1_b32 vcc_lo, exec_lo, s2
	s_cbranch_vccz .LBB1246_4
.LBB1246_2:
	s_endpgm
.LBB1246_3:
.LBB1246_4:
	s_load_b64 s[2:3], s[0:1], 0x28
	s_lshl_b64 s[8:9], s[34:35], 2
	s_waitcnt lgkmcnt(0)
	s_add_u32 s2, s2, s8
	s_addc_u32 s3, s3, s9
	s_lshl_b32 s12, s14, 8
	s_load_b32 s33, s[2:3], 0x0
	s_waitcnt lgkmcnt(0)
	s_cmp_ge_i32 s12, s33
	s_cbranch_scc1 .LBB1246_2
; %bb.5:
	s_clause 0x1
	s_load_b128 s[56:59], s[0:1], 0x8
	s_load_b64 s[2:3], s[0:1], 0x20
	s_and_not1_b32 vcc_lo, exec_lo, s6
	s_mov_b64 s[6:7], s[34:35]
	s_cbranch_vccnz .LBB1246_7
; %bb.6:
	s_add_u32 s4, s4, s8
	s_addc_u32 s5, s5, s9
	s_load_b32 s6, s[4:5], 0x0
.LBB1246_7:
	s_load_b128 s[52:55], s[0:1], 0x48
	v_and_b32_e32 v65, 15, v0
	s_mov_b32 s13, exec_lo
                                        ; implicit-def: $sgpr36
                                        ; implicit-def: $sgpr24
                                        ; implicit-def: $sgpr16
                                        ; implicit-def: $sgpr4
	s_delay_alu instid0(VALU_DEP_1)
	v_cmpx_eq_u32_e32 0, v65
	s_cbranch_execz .LBB1246_9
; %bb.8:
	s_load_b64 s[4:5], s[0:1], 0x0
	s_waitcnt lgkmcnt(0)
	s_mul_hi_i32 s7, s6, s52
	s_mul_i32 s6, s6, s52
	s_delay_alu instid0(SALU_CYCLE_1) | instskip(NEXT) | instid1(SALU_CYCLE_1)
	s_lshl_b64 s[6:7], s[6:7], 1
	s_add_u32 s6, s4, s6
	s_addc_u32 s7, s5, s7
	s_lshl_b32 s4, s15, 7
	s_delay_alu instid0(SALU_CYCLE_1) | instskip(NEXT) | instid1(SALU_CYCLE_1)
	s_ashr_i32 s5, s4, 31
	s_lshl_b64 s[4:5], s[4:5], 1
	s_delay_alu instid0(SALU_CYCLE_1)
	s_add_u32 s4, s6, s4
	s_addc_u32 s5, s7, s5
	s_clause 0x3
	s_load_b256 s[36:43], s[4:5], 0x0
	s_load_b256 s[24:31], s[4:5], 0x40
	;; [unrolled: 1-line block ×4, first 2 shown]
.LBB1246_9:
	s_or_b32 exec_lo, exec_lo, s13
	v_and_b32_e32 v1, 0xef, v0
	s_add_i32 s13, s33, 15
	s_load_b32 s44, s[0:1], 0x38
	s_ashr_i32 s35, s13, 31
	s_waitcnt lgkmcnt(0)
	s_mul_i32 s62, s15, s54
	v_add_nc_u32_e32 v1, s12, v1
	s_lshr_b32 s35, s35, 28
	v_dual_mov_b32 v105, s31 :: v_dual_mov_b32 v98, s24
	s_add_i32 s13, s13, s35
	s_delay_alu instid0(VALU_DEP_2)
	v_ashrrev_i32_e32 v2, 31, v1
	v_or_b32_e32 v3, 16, v1
	s_ashr_i32 s13, s13, 4
	v_cmp_gt_i32_e32 vcc_lo, s33, v1
	s_add_i32 s13, s13, -1
	v_lshrrev_b32_e32 v2, 28, v2
	s_load_b32 s35, s[0:1], 0x1c
	v_mov_b32_e32 v103, s29
	v_mov_b32_e32 v101, s27
	s_delay_alu instid0(VALU_DEP_3)
	v_dual_mov_b32 v99, s25 :: v_dual_add_nc_u32 v4, v1, v2
	v_lshlrev_b32_e32 v73, 4, v65
	s_mul_i32 s44, s34, s44
	v_lshrrev_b32_e32 v66, 5, v0
	s_ashr_i32 s45, s44, 31
	v_ashrrev_i32_e32 v4, 4, v4
	v_add_nc_u32_e32 v2, v3, v2
	s_lshl_b64 s[44:45], s[44:45], 2
	v_mov_b32_e32 v104, s30
	s_add_u32 s61, s2, s44
	v_cndmask_b32_e32 v1, s13, v4, vcc_lo
	v_ashrrev_i32_e32 v2, 4, v2
	v_cmp_gt_i32_e32 vcc_lo, s33, v3
	s_addc_u32 s60, s3, s45
	s_ashr_i32 s63, s62, 31
	s_add_u32 s52, s56, s62
	s_addc_u32 s56, s57, s63
	v_cndmask_b32_e32 v3, s13, v2, vcc_lo
	v_ashrrev_i32_e32 v2, 31, v1
	s_lshl_b32 s2, s14, 4
	v_mov_b32_e32 v102, s28
	s_ashr_i32 s3, s2, 31
	v_ashrrev_i32_e32 v4, 31, v3
	v_lshlrev_b64 v[1:2], 2, v[1:2]
	s_lshl_b64 s[2:3], s[2:3], 2
	v_mov_b32_e32 v100, s26
	s_add_u32 s2, s61, s2
	v_lshlrev_b64 v[3:4], 2, v[3:4]
	s_addc_u32 s3, s60, s3
	v_add_co_u32 v1, vcc_lo, s61, v1
	v_add_co_ci_u32_e32 v2, vcc_lo, s60, v2, vcc_lo
	s_delay_alu instid0(VALU_DEP_3) | instskip(NEXT) | instid1(VALU_DEP_4)
	v_add_co_u32 v3, vcc_lo, s61, v3
	v_add_co_ci_u32_e32 v4, vcc_lo, s60, v4, vcc_lo
	s_clause 0x1
	global_load_b32 v5, v[1:2], off
	global_load_b32 v3, v[3:4], off
	s_or_b32 s44, s12, 32
	v_lshlrev_b32_e32 v1, 4, v0
	s_ashr_i32 s45, s44, 4
	s_cmp_lt_i32 s44, s33
	s_cselect_b32 s44, s45, s13
	s_delay_alu instid0(VALU_DEP_1) | instskip(SKIP_1) | instid1(SALU_CYCLE_1)
	v_and_b32_e32 v1, 0xf0, v1
	s_ashr_i32 s45, s44, 31
	s_lshl_b64 s[44:45], s[44:45], 2
	s_delay_alu instid0(SALU_CYCLE_1)
	s_add_u32 s44, s61, s44
	s_addc_u32 s45, s60, s45
	s_or_b32 s46, s12, 64
	v_add_co_u32 v1, s52, s52, v1
	s_ashr_i32 s47, s46, 4
	s_cmp_lt_i32 s46, s33
	v_add_co_ci_u32_e64 v2, null, s56, 0, s52
	s_cselect_b32 s46, s47, s13
	s_delay_alu instid0(SALU_CYCLE_1) | instskip(NEXT) | instid1(SALU_CYCLE_1)
	s_ashr_i32 s47, s46, 31
	s_lshl_b64 s[46:47], s[46:47], 2
	s_delay_alu instid0(SALU_CYCLE_1) | instskip(SKIP_2) | instid1(SALU_CYCLE_1)
	s_add_u32 s46, s61, s46
	s_addc_u32 s47, s60, s47
	s_or_b32 s48, s12, 0x60
	s_ashr_i32 s49, s48, 4
	s_cmp_lt_i32 s48, s33
	s_cselect_b32 s48, s49, s13
	s_delay_alu instid0(SALU_CYCLE_1) | instskip(NEXT) | instid1(SALU_CYCLE_1)
	s_ashr_i32 s49, s48, 31
	s_lshl_b64 s[48:49], s[48:49], 2
	s_delay_alu instid0(SALU_CYCLE_1) | instskip(SKIP_2) | instid1(SALU_CYCLE_1)
	s_add_u32 s48, s61, s48
	s_addc_u32 s49, s60, s49
	s_or_b32 s50, s12, 0x80
	s_ashr_i32 s51, s50, 4
	s_cmp_lt_i32 s50, s33
	;; [unrolled: 10-line block ×3, first 2 shown]
	s_cselect_b32 s54, s55, s13
	s_delay_alu instid0(SALU_CYCLE_1) | instskip(NEXT) | instid1(SALU_CYCLE_1)
	s_ashr_i32 s55, s54, 31
	s_lshl_b64 s[54:55], s[54:55], 2
	s_delay_alu instid0(SALU_CYCLE_1)
	s_add_u32 s64, s61, s54
	s_addc_u32 s65, s60, s55
	s_clause 0x5
	s_load_b32 s56, s[2:3], 0x0
	s_load_b32 s3, s[44:45], 0x0
	s_load_b32 s52, s[46:47], 0x0
	s_load_b32 s54, s[48:49], 0x0
	s_load_b32 s55, s[50:51], 0x0
	s_load_b32 s2, s[64:65], 0x0
	s_or_b32 s24, s12, 0xc0
	s_mov_b32 s44, 0
	s_ashr_i32 s25, s24, 4
	s_mov_b32 s45, s44
	s_mov_b32 s46, s44
	;; [unrolled: 1-line block ×7, first 2 shown]
	v_dual_mov_b32 v113, s23 :: v_dual_mov_b32 v112, s22
	v_dual_mov_b32 v111, s21 :: v_dual_mov_b32 v110, s20
	;; [unrolled: 1-line block ×4, first 2 shown]
	v_lshl_or_b32 v41, v66, 8, v73
	v_dual_mov_b32 v121, s51 :: v_dual_mov_b32 v120, s50
	v_dual_mov_b32 v119, s49 :: v_dual_mov_b32 v118, s48
	;; [unrolled: 1-line block ×4, first 2 shown]
	s_cmp_lt_i32 s24, s33
	s_cselect_b32 s16, s25, s13
	s_delay_alu instid0(SALU_CYCLE_1) | instskip(NEXT) | instid1(SALU_CYCLE_1)
	s_ashr_i32 s17, s16, 31
	s_lshl_b64 s[16:17], s[16:17], 2
	s_delay_alu instid0(SALU_CYCLE_1) | instskip(SKIP_2) | instid1(SALU_CYCLE_1)
	s_add_u32 s16, s61, s16
	s_addc_u32 s17, s60, s17
	s_or_b32 s18, s12, 0xe0
	s_ashr_i32 s19, s18, 4
	s_cmp_lt_i32 s18, s33
	s_cselect_b32 s18, s19, s13
	s_delay_alu instid0(SALU_CYCLE_1) | instskip(NEXT) | instid1(SALU_CYCLE_1)
	s_ashr_i32 s19, s18, 31
	s_lshl_b64 s[18:19], s[18:19], 2
	s_delay_alu instid0(SALU_CYCLE_1) | instskip(SKIP_4) | instid1(VALU_DEP_1)
	s_add_u32 s18, s61, s18
	s_addc_u32 s19, s60, s19
	s_add_u32 s13, s58, s62
	s_addc_u32 s20, s59, s63
	v_add_co_u32 v67, s13, s13, v41
	v_add_co_ci_u32_e64 v68, null, s20, 0, s13
	s_waitcnt lgkmcnt(0)
	s_delay_alu instid0(VALU_DEP_1)
	v_mad_i64_i32 v[41:42], null, s56, s53, v[67:68]
	v_mad_i64_i32 v[71:72], null, s54, s53, v[67:68]
	;; [unrolled: 1-line block ×5, first 2 shown]
	s_waitcnt vmcnt(1)
	v_mad_i64_i32 v[33:34], null, v5, s53, v[1:2]
	s_waitcnt vmcnt(0)
	v_mad_i64_i32 v[35:36], null, v3, s53, v[1:2]
	s_clause 0xf
	global_load_b128 v[1:4], v[33:34], off
	global_load_b128 v[5:8], v[33:34], off offset:256
	global_load_b128 v[9:12], v[35:36], off
	global_load_b128 v[13:16], v[35:36], off offset:256
	global_load_b128 v[17:20], v[33:34], off offset:512
	;; [unrolled: 1-line block ×13, first 2 shown]
	v_mov_b32_e32 v33, s36
	v_mov_b32_e32 v35, s38
	;; [unrolled: 1-line block ×4, first 2 shown]
	s_clause 0x1
	s_load_b32 s13, s[16:17], 0x0
	s_load_b32 s16, s[18:19], 0x0
	v_mov_b32_e32 v34, s37
	v_mov_b32_e32 v36, s39
	;; [unrolled: 1-line block ×4, first 2 shown]
	s_waitcnt lgkmcnt(0)
	v_mad_i64_i32 v[132:133], null, s16, s53, v[67:68]
	s_waitcnt vmcnt(14)
	s_delay_alu instid0(VALU_DEP_2)
	v_wmma_f32_16x16x16_f16 v[122:129], v[1:8], v[33:40], v[114:121]
	s_waitcnt vmcnt(12)
	v_wmma_f32_16x16x16_f16 v[114:121], v[9:16], v[33:40], v[114:121]
	s_clause 0x7
	global_load_b128 v[49:52], v[41:42], off
	global_load_b128 v[53:56], v[41:42], off offset:16
	global_load_b128 v[41:44], v[45:46], off
	global_load_b128 v[45:48], v[45:46], off offset:16
	;; [unrolled: 2-line block ×4, first 2 shown]
	v_mad_i64_i32 v[71:72], null, s13, s53, v[67:68]
	v_mad_i64_i32 v[69:70], null, s2, s53, v[67:68]
	s_waitcnt vmcnt(18)
	v_wmma_f32_16x16x16_f16 v[122:129], v[17:24], v[98:105], v[122:129]
	s_waitcnt vmcnt(16)
	v_wmma_f32_16x16x16_f16 v[114:121], v[25:32], v[98:105], v[114:121]
	s_clause 0x3
	global_load_b128 v[9:12], v[130:131], off
	global_load_b128 v[13:16], v[130:131], off offset:16
	global_load_b128 v[17:20], v[69:70], off
	global_load_b128 v[21:24], v[69:70], off offset:16
	s_waitcnt vmcnt(18)
	v_wmma_f32_16x16x16_f16 v[122:129], v[57:64], v[106:113], v[122:129]
	s_clause 0x3
	global_load_b128 v[25:28], v[71:72], off
	global_load_b128 v[29:32], v[71:72], off offset:16
	global_load_b128 v[57:60], v[132:133], off
	global_load_b128 v[61:64], v[132:133], off offset:16
	v_mbcnt_lo_u32_b32 v68, -1, 0
	v_dual_mov_b32 v105, s11 :: v_dual_mov_b32 v104, s10
	v_dual_mov_b32 v103, s9 :: v_dual_mov_b32 v102, s8
	s_delay_alu instid0(VALU_DEP_3) | instskip(SKIP_2) | instid1(VALU_DEP_3)
	v_xor_b32_e32 v69, 16, v68
	v_dual_mov_b32 v101, s7 :: v_dual_mov_b32 v100, s6
	v_dual_mov_b32 v99, s5 :: v_dual_mov_b32 v98, s4
	v_cmp_gt_i32_e32 vcc_lo, 32, v69
	v_and_b32_e32 v67, 0xe0, v0
	s_waitcnt vmcnt(20)
	v_wmma_f32_16x16x16_f16 v[114:121], v[74:81], v[106:113], v[114:121]
	v_bfe_u32 v74, v0, 4, 1
	s_waitcnt vmcnt(18)
	v_wmma_f32_16x16x16_f16 v[122:129], v[82:89], v[98:105], v[122:129]
	v_dual_cndmask_b32 v68, v68, v69 :: v_dual_add_nc_u32 v67, s12, v67
	s_waitcnt vmcnt(0)
	s_barrier
	s_delay_alu instid0(VALU_DEP_2)
	v_mul_f32_e32 v86, s35, v129
	v_mul_f32_e32 v88, s35, v127
	v_or_b32_e32 v67, v67, v74
	v_wmma_f32_16x16x16_f16 v[114:121], v[90:97], v[98:105], v[114:121]
	v_dual_mul_f32 v92, s35, v123 :: v_dual_mul_f32 v93, s35, v122
	v_mul_f32_e32 v90, s35, v125
	s_delay_alu instid0(VALU_DEP_4)
	v_or_b32_e32 v69, 2, v67
	v_or_b32_e32 v70, 4, v67
	;; [unrolled: 1-line block ×3, first 2 shown]
	v_cmp_gt_i32_e64 s2, s33, v67
	v_or_b32_e32 v72, 8, v67
	v_cmp_gt_i32_e32 vcc_lo, s33, v69
	v_or_b32_e32 v75, 10, v67
	v_mul_f32_e32 v91, s35, v124
	v_cndmask_b32_e64 v93, 0xff7fffff, v93, s2
	v_cmp_gt_i32_e64 s3, s33, v70
	v_cndmask_b32_e32 v92, 0xff7fffff, v92, vcc_lo
	v_cmp_gt_i32_e64 s4, s33, v71
	v_or_b32_e32 v76, 12, v67
	v_or_b32_e32 v77, 14, v67
	v_dual_mul_f32 v89, s35, v126 :: v_dual_mul_f32 v98, s35, v117
	v_cndmask_b32_e64 v70, 0xff7fffff, v91, s3
	v_cndmask_b32_e64 v71, 0xff7fffff, v90, s4
	v_max3_f32 v90, v93, 0xff7fffff, v92
	v_cmp_gt_i32_e64 s5, s33, v72
	v_cmp_gt_i32_e64 s6, s33, v75
	v_or_b32_e32 v78, 16, v67
	v_or_b32_e32 v79, 18, v67
	v_dual_mul_f32 v87, s35, v128 :: v_dual_mul_f32 v96, s35, v119
	v_cndmask_b32_e64 v72, 0xff7fffff, v89, s5
	v_cndmask_b32_e64 v75, 0xff7fffff, v88, s6
	v_max3_f32 v70, v90, v70, v71
	v_cmp_gt_i32_e64 s7, s33, v76
	v_cmp_gt_i32_e64 s8, s33, v77
	v_or_b32_e32 v80, 20, v67
	v_or_b32_e32 v81, 22, v67
	;; [unrolled: 1-line block ×6, first 2 shown]
	v_mul_f32_e32 v69, s35, v115
	v_mul_f32_e32 v67, s35, v114
	v_cndmask_b32_e64 v71, 0xff7fffff, v87, s7
	v_cndmask_b32_e64 v76, 0xff7fffff, v86, s8
	v_max3_f32 v70, v70, v72, v75
	v_cmp_gt_i32_e64 s9, s33, v78
	v_cmp_gt_i32_e64 s10, s33, v79
	v_mul_f32_e32 v99, s35, v116
	v_cmp_gt_i32_e64 s11, s33, v80
	v_max3_f32 v70, v70, v71, v76
	v_cndmask_b32_e64 v67, 0xff7fffff, v67, s9
	v_cndmask_b32_e64 v69, 0xff7fffff, v69, s10
	v_cmp_gt_i32_e64 s12, s33, v81
	v_mul_f32_e32 v97, s35, v118
	v_cndmask_b32_e64 v71, 0xff7fffff, v99, s11
	v_cmp_gt_i32_e64 s13, s33, v82
	v_max3_f32 v67, v70, v67, v69
	v_cndmask_b32_e64 v72, 0xff7fffff, v98, s12
	v_cmp_gt_i32_e64 s16, s33, v83
	v_dual_mul_f32 v94, s35, v121 :: v_dual_mul_f32 v95, s35, v120
	v_cndmask_b32_e64 v69, 0xff7fffff, v97, s13
	s_delay_alu instid0(VALU_DEP_4) | instskip(NEXT) | instid1(VALU_DEP_4)
	v_max3_f32 v67, v67, v71, v72
	v_cndmask_b32_e64 v70, 0xff7fffff, v96, s16
	v_cmp_gt_i32_e64 s17, s33, v84
	v_cmp_gt_i32_e64 s18, s33, v85
	v_lshlrev_b32_e32 v75, 2, v68
	buffer_gl0_inv
	v_max3_f32 v67, v67, v69, v70
	v_cndmask_b32_e64 v71, 0xff7fffff, v95, s17
	v_cndmask_b32_e64 v72, 0xff7fffff, v94, s18
	s_delay_alu instid0(VALU_DEP_1) | instskip(SKIP_3) | instid1(VALU_DEP_1)
	v_max3_f32 v67, v67, v71, v72
	ds_bpermute_b32 v68, v75, v67
	s_waitcnt lgkmcnt(0)
	v_max_f32_e32 v68, v68, v68
	v_max_f32_e32 v67, v67, v68
	s_delay_alu instid0(VALU_DEP_1)
	v_fma_f32 v68, s35, v122, -v67
	v_fma_f32 v70, s35, v124, -v67
	;; [unrolled: 1-line block ×5, first 2 shown]
	v_mul_f32_e32 v68, 0x3fb8aa3b, v68
	s_delay_alu instid0(VALU_DEP_4) | instskip(NEXT) | instid1(VALU_DEP_3)
	v_dual_mul_f32 v70, 0x3fb8aa3b, v70 :: v_dual_mul_f32 v69, 0x3fb8aa3b, v69
	v_mul_f32_e32 v72, 0x3fb8aa3b, v72
	s_delay_alu instid0(VALU_DEP_3) | instskip(NEXT) | instid1(VALU_DEP_2)
	v_exp_f32_e32 v68, v68
	v_exp_f32_e32 v76, v70
	s_delay_alu instid0(VALU_DEP_2) | instskip(NEXT) | instid1(VALU_DEP_1)
	v_exp_f32_e32 v69, v69
	v_exp_f32_e32 v79, v72
	v_cndmask_b32_e64 v70, 0, v68, s2
	v_fma_f32 v68, s35, v127, -v67
	s_waitcnt_depctr 0xfff
	v_cndmask_b32_e32 v69, 0, v69, vcc_lo
	v_cndmask_b32_e64 v72, 0, v76, s3
	v_cndmask_b32_e64 v83, 0, v79, s5
	v_dual_add_f32 v77, 0, v70 :: v_dual_mul_f32 v68, 0x3fb8aa3b, v68
	s_mov_b32 s3, exec_lo
	s_delay_alu instid0(VALU_DEP_1) | instskip(NEXT) | instid1(VALU_DEP_2)
	v_add_f32_e32 v76, v77, v69
	v_exp_f32_e32 v68, v68
	s_delay_alu instid0(VALU_DEP_1) | instskip(SKIP_3) | instid1(VALU_DEP_1)
	v_add_f32_e32 v76, v76, v72
	s_waitcnt_depctr 0xfff
	v_cndmask_b32_e64 v82, 0, v68, s6
	v_mul_f32_e32 v71, 0x3fb8aa3b, v71
	v_exp_f32_e32 v71, v71
	s_waitcnt_depctr 0xfff
	v_cndmask_b32_e64 v71, 0, v71, s4
	s_delay_alu instid0(VALU_DEP_1) | instskip(NEXT) | instid1(VALU_DEP_1)
	v_add_f32_e32 v76, v76, v71
	v_add_f32_e32 v68, v76, v83
	v_fma_f32 v78, s35, v128, -v67
	v_fma_f32 v77, s35, v129, -v67
	;; [unrolled: 1-line block ×4, first 2 shown]
	v_add_f32_e32 v68, v68, v82
	v_mul_f32_e32 v78, 0x3fb8aa3b, v78
	v_fma_f32 v76, s35, v116, -v67
	v_mul_f32_e32 v80, 0x3fb8aa3b, v80
	s_delay_alu instid0(VALU_DEP_3) | instskip(NEXT) | instid1(VALU_DEP_2)
	v_exp_f32_e32 v78, v78
	v_mul_f32_e32 v76, 0x3fb8aa3b, v76
	s_delay_alu instid0(VALU_DEP_2) | instskip(NEXT) | instid1(VALU_DEP_1)
	v_exp_f32_e32 v80, v80
	v_exp_f32_e32 v76, v76
	s_delay_alu instid0(TRANS32_DEP_3)
	v_cndmask_b32_e64 v85, 0, v78, s7
	v_fma_f32 v78, s35, v117, -v67
	v_mul_f32_e32 v77, 0x3fb8aa3b, v77
	v_mul_f32_e32 v79, 0x3fb8aa3b, v79
	s_waitcnt_depctr 0xfff
	v_cndmask_b32_e64 v87, 0, v80, s9
	v_add_f32_e32 v68, v68, v85
	v_mul_f32_e32 v78, 0x3fb8aa3b, v78
	v_exp_f32_e32 v77, v77
	v_exp_f32_e32 v79, v79
	v_fma_f32 v80, s35, v119, -v67
	v_cndmask_b32_e64 v89, 0, v76, s11
	v_exp_f32_e32 v78, v78
	s_delay_alu instid0(VALU_DEP_2) | instskip(NEXT) | instid1(TRANS32_DEP_3)
	v_mul_f32_e32 v80, 0x3fb8aa3b, v80
	v_cndmask_b32_e64 v84, 0, v77, s8
	v_fma_f32 v77, s35, v118, -v67
	s_delay_alu instid0(TRANS32_DEP_2)
	v_cndmask_b32_e64 v86, 0, v79, s10
	v_fma_f32 v79, s35, v120, -v67
	s_waitcnt_depctr 0xfff
	v_cndmask_b32_e64 v88, 0, v78, s12
	v_dual_add_f32 v68, v68, v84 :: v_dual_mul_f32 v77, 0x3fb8aa3b, v77
	v_fma_f32 v78, s35, v121, -v67
	v_mul_f32_e32 v76, 0x3fb8aa3b, v79
	v_exp_f32_e32 v79, v80
	s_delay_alu instid0(VALU_DEP_3) | instskip(SKIP_1) | instid1(VALU_DEP_2)
	v_add_f32_e32 v68, v68, v87
	v_exp_f32_e32 v77, v77
	v_exp_f32_e32 v76, v76
	s_delay_alu instid0(TRANS32_DEP_3)
	v_cndmask_b32_e64 v90, 0, v79, s16
	s_waitcnt_depctr 0xfff
	v_cndmask_b32_e64 v91, 0, v77, s13
	v_mul_f32_e32 v77, 0x3fb8aa3b, v78
	v_add_f32_e32 v68, v68, v86
	v_cndmask_b32_e64 v93, 0, v76, s17
	v_and_b32_e32 v76, 31, v0
	s_delay_alu instid0(VALU_DEP_4) | instskip(NEXT) | instid1(VALU_DEP_3)
	v_exp_f32_e32 v77, v77
	v_add_f32_e32 v68, v68, v89
	s_delay_alu instid0(VALU_DEP_2) | instskip(NEXT) | instid1(VALU_DEP_2)
	v_cmp_lt_u32_e64 s2, 15, v76
	v_add_f32_e32 v68, v68, v88
	s_waitcnt_depctr 0xfff
	v_cndmask_b32_e64 v92, 0, v77, s18
	v_add_f32_e32 v68, v68, v91
	s_delay_alu instid0(VALU_DEP_1) | instskip(NEXT) | instid1(VALU_DEP_1)
	v_add_f32_e32 v68, v68, v90
	v_add_f32_e32 v68, v68, v93
	s_delay_alu instid0(VALU_DEP_1)
	v_add_f32_e32 v68, v68, v92
	ds_bpermute_b32 v75, v75, v68
	v_cmpx_gt_u32_e32 16, v76
	s_cbranch_execz .LBB1246_11
; %bb.10:
	v_mul_u32_u24_e32 v76, 0x44, v66
	s_delay_alu instid0(VALU_DEP_1) | instskip(SKIP_1) | instid1(VALU_DEP_1)
	v_lshl_add_u32 v76, v65, 2, v76
	s_waitcnt lgkmcnt(0)
	v_dual_add_f32 v68, v68, v75 :: v_dual_add_nc_u32 v75, 0x4000, v76
	ds_store_2addr_b32 v75, v67, v68 offset1:136
.LBB1246_11:
	s_or_b32 exec_lo, exec_lo, s3
	v_lshlrev_b32_e32 v67, 2, v65
	s_load_b64 s[36:37], s[0:1], 0x94
	s_waitcnt lgkmcnt(0)
	s_barrier
	buffer_gl0_inv
	v_add_nc_u32_e32 v81, 0x4000, v67
	v_cmp_eq_u32_e32 vcc_lo, 1, v66
	v_cmp_eq_u32_e64 s3, 2, v66
	v_cmp_eq_u32_e64 s5, 3, v66
	;; [unrolled: 1-line block ×3, first 2 shown]
	ds_load_2addr_b32 v[75:76], v81 offset1:17
	ds_load_2addr_b32 v[77:78], v81 offset0:34 offset1:51
	ds_load_2addr_b32 v[79:80], v81 offset0:68 offset1:85
	;; [unrolled: 1-line block ×4, first 2 shown]
	v_cmp_eq_u32_e64 s7, 5, v66
	v_cmp_eq_u32_e64 s4, 6, v66
	s_waitcnt lgkmcnt(4)
	v_max3_f32 v67, v75, 0xff7fffff, v76
	s_waitcnt lgkmcnt(3)
	s_delay_alu instid0(VALU_DEP_1) | instskip(SKIP_1) | instid1(VALU_DEP_1)
	v_max3_f32 v67, v67, v77, v78
	s_waitcnt lgkmcnt(2)
	v_max3_f32 v67, v67, v79, v80
	s_waitcnt lgkmcnt(1)
	s_delay_alu instid0(VALU_DEP_1) | instskip(NEXT) | instid1(VALU_DEP_1)
	v_max3_f32 v67, v67, v94, v95
	v_sub_f32_e32 v68, v75, v67
	s_delay_alu instid0(VALU_DEP_1) | instskip(NEXT) | instid1(VALU_DEP_1)
	v_dual_sub_f32 v79, v79, v67 :: v_dual_mul_f32 v68, 0x3fb8aa3b, v68
	v_mul_f32_e32 v102, 0x3fb8aa3b, v79
	s_delay_alu instid0(VALU_DEP_2) | instskip(SKIP_1) | instid1(VALU_DEP_1)
	v_exp_f32_e32 v99, v68
	v_sub_f32_e32 v68, v78, v67
	v_dual_sub_f32 v98, v76, v67 :: v_dual_mul_f32 v101, 0x3fb8aa3b, v68
	s_delay_alu instid0(VALU_DEP_1)
	v_dual_sub_f32 v77, v77, v67 :: v_dual_mul_f32 v98, 0x3fb8aa3b, v98
	s_waitcnt lgkmcnt(0)
	s_waitcnt_depctr 0xfff
	v_fma_f32 v68, v99, v96, 0
	v_sub_f32_e32 v96, v80, v67
	v_mul_f32_e32 v100, 0x3fb8aa3b, v77
	v_exp_f32_e32 v98, v98
	v_exp_f32_e32 v101, v101
	s_delay_alu instid0(VALU_DEP_1) | instskip(NEXT) | instid1(TRANS32_DEP_3)
	v_exp_f32_e32 v100, v100
	v_fmac_f32_e32 v68, v98, v97
	ds_load_2addr_b32 v[75:76], v81 offset0:170 offset1:187
	ds_load_2addr_b32 v[77:78], v81 offset0:204 offset1:221
	;; [unrolled: 1-line block ×3, first 2 shown]
	v_dual_sub_f32 v81, v94, v67 :: v_dual_mul_f32 v94, 0x3fb8aa3b, v96
	v_exp_f32_e32 v96, v102
	s_waitcnt lgkmcnt(0)
	s_barrier
	s_delay_alu instid0(VALU_DEP_1)
	v_mul_f32_e32 v81, 0x3fb8aa3b, v81
	v_exp_f32_e32 v94, v94
	buffer_gl0_inv
	v_fmac_f32_e32 v68, v100, v75
	v_sub_f32_e32 v75, v95, v67
	v_exp_f32_e32 v95, v81
	s_delay_alu instid0(VALU_DEP_1) | instskip(SKIP_1) | instid1(VALU_DEP_2)
	v_dual_fmac_f32 v68, v101, v76 :: v_dual_mul_f32 v75, 0x3fb8aa3b, v75
	v_cndmask_b32_e32 v76, v99, v98, vcc_lo
	v_fmac_f32_e32 v68, v96, v77
	s_delay_alu instid0(VALU_DEP_3) | instskip(NEXT) | instid1(VALU_DEP_1)
	v_exp_f32_e32 v97, v75
	v_fmac_f32_e32 v68, v94, v78
	s_waitcnt_depctr 0xfff
	v_dual_fmac_f32 v68, v95, v79 :: v_dual_lshlrev_b32 v79, 6, v65
	s_delay_alu instid0(VALU_DEP_1) | instskip(NEXT) | instid1(VALU_DEP_2)
	v_dual_mov_b32 v65, 0 :: v_dual_fmac_f32 v68, v97, v80
	v_lshl_or_b32 v81, v66, 11, v79
	s_delay_alu instid0(VALU_DEP_2) | instskip(NEXT) | instid1(VALU_DEP_1)
	v_add_f32_e32 v80, 0x358637bd, v68
	v_div_scale_f32 v102, null, v80, v80, 1.0
	v_div_scale_f32 v98, vcc_lo, 1.0, v80, 1.0
	s_delay_alu instid0(VALU_DEP_2) | instskip(SKIP_2) | instid1(VALU_DEP_1)
	v_rcp_f32_e32 v103, v102
	s_waitcnt_depctr 0xfff
	v_fma_f32 v75, -v102, v103, 1.0
	v_fmac_f32_e32 v103, v75, v103
	v_cndmask_b32_e64 v75, v76, v100, s3
	v_cmp_eq_u32_e64 s3, 7, v66
	s_delay_alu instid0(VALU_DEP_3) | instskip(NEXT) | instid1(VALU_DEP_3)
	v_mul_f32_e32 v99, v98, v103
	v_cndmask_b32_e64 v76, v75, v101, s5
	v_lshlrev_b32_e32 v75, 2, v74
	s_delay_alu instid0(VALU_DEP_3) | instskip(NEXT) | instid1(VALU_DEP_3)
	v_fma_f32 v77, -v102, v99, v98
	v_cndmask_b32_e64 v96, v76, v96, s6
	s_delay_alu instid0(VALU_DEP_3)
	v_or_b32_e32 v78, 1, v75
	v_or_b32_e32 v76, 2, v75
	v_cmp_eq_u32_e64 s5, 1, v75
	v_fmac_f32_e32 v99, v77, v103
	v_cndmask_b32_e64 v66, v96, v94, s7
	v_or_b32_e32 v77, 3, v75
	v_cmp_eq_u32_e64 s9, 1, v78
	v_cmp_eq_u32_e64 s10, 1, v76
	v_fma_f32 v94, -v102, v99, v98
	v_cndmask_b32_e64 v66, v66, v95, s4
	v_cmp_eq_u32_e64 s11, 1, v77
	v_cmp_eq_u32_e64 s6, 2, v75
	;; [unrolled: 1-line block ×3, first 2 shown]
	v_div_fmas_f32 v94, v94, v103, v99
	v_cndmask_b32_e64 v66, v66, v97, s3
	v_cmp_eq_u32_e64 s17, 2, v77
	v_cmp_eq_u32_e32 vcc_lo, 3, v75
	v_cmp_eq_u32_e64 s13, 3, v78
	v_div_fixup_f32 v94, v94, v80, 1.0
	v_lshl_or_b32 v80, v74, 4, v81
	v_cmp_eq_u32_e64 s16, 2, v76
	v_cmp_eq_u32_e64 s19, 3, v77
	;; [unrolled: 1-line block ×3, first 2 shown]
	v_mul_f32_e32 v66, v66, v94
	v_cmp_eq_u32_e64 s18, 3, v76
	v_cmp_eq_u32_e64 s20, 4, v78
	;; [unrolled: 1-line block ×4, first 2 shown]
	v_fma_mixlo_f16 v94, v66, v70, 0
	v_fma_mixlo_f16 v95, v66, v72, 0
	;; [unrolled: 1-line block ×8, first 2 shown]
	v_fma_mixhi_f16 v94, v66, v69, 0
	v_fma_mixhi_f16 v95, v66, v71, 0
	;; [unrolled: 1-line block ×8, first 2 shown]
	ds_store_b128 v80, v[94:97]
	ds_store_b128 v80, v[98:101] offset:1024
	s_waitcnt lgkmcnt(0)
	s_barrier
	buffer_gl0_inv
	ds_load_b128 v[69:72], v81
	ds_load_b128 v[82:85], v81 offset:16
	ds_load_b128 v[86:89], v81 offset:1024
	;; [unrolled: 1-line block ×3, first 2 shown]
	v_cmp_eq_u32_e64 s21, 5, v78
	v_cmp_eq_u32_e64 s22, 4, v76
	;; [unrolled: 1-line block ×12, first 2 shown]
	s_waitcnt lgkmcnt(3)
	v_lshrrev_b32_e32 v66, 16, v69
	s_waitcnt lgkmcnt(2)
	v_lshrrev_b32_e32 v97, 16, v82
	;; [unrolled: 2-line block ×4, first 2 shown]
	v_lshrrev_b32_e32 v94, 16, v70
	v_cndmask_b32_e64 v109, v69, v66, s5
	v_cndmask_b32_e64 v110, v82, v97, s5
	;; [unrolled: 1-line block ×7, first 2 shown]
	v_lshrrev_b32_e32 v98, 16, v83
	v_cndmask_b32_e64 v114, v82, v97, s10
	v_cndmask_b32_e64 v82, v86, v101, s5
	;; [unrolled: 1-line block ×15, first 2 shown]
	v_lshrrev_b32_e32 v102, 16, v87
	v_lshrrev_b32_e32 v106, 16, v91
	v_cndmask_b32_e64 v111, v113, v70, s16
	v_cndmask_b32_e64 v112, v114, v83, s16
	;; [unrolled: 1-line block ×7, first 2 shown]
	v_cndmask_b32_e32 v87, v101, v94, vcc_lo
	v_cndmask_b32_e32 v101, v105, v98, vcc_lo
	v_cndmask_b32_e64 v105, v109, v94, s13
	v_cndmask_b32_e64 v109, v110, v98, s13
	v_cndmask_b32_e64 v66, v66, v94, s19
	v_cndmask_b32_e64 v69, v69, v98, s19
	v_lshrrev_b32_e32 v95, 16, v71
	v_lshrrev_b32_e32 v99, 16, v84
	v_cndmask_b32_e64 v110, v111, v94, s18
	v_cndmask_b32_e64 v111, v112, v98, s18
	v_cndmask_b32_e32 v70, v70, v102, vcc_lo
	v_cndmask_b32_e32 v82, v82, v106, vcc_lo
	v_cndmask_b32_e64 v83, v83, v102, s13
	v_cndmask_b32_e64 v87, v87, v71, s4
	;; [unrolled: 1-line block ×7, first 2 shown]
	v_lshrrev_b32_e32 v103, 16, v88
	v_lshrrev_b32_e32 v107, 16, v92
	v_cndmask_b32_e64 v105, v110, v71, s22
	v_cndmask_b32_e64 v109, v111, v84, s22
	;; [unrolled: 1-line block ×11, first 2 shown]
	v_lshrrev_b32_e32 v96, 16, v72
	v_lshrrev_b32_e32 v100, 16, v85
	v_cndmask_b32_e64 v98, v105, v95, s24
	v_cndmask_b32_e64 v101, v109, v99, s24
	;; [unrolled: 1-line block ×11, first 2 shown]
	v_lshrrev_b32_e32 v104, 16, v89
	v_cndmask_b32_e64 v95, v98, v72, s27
	v_cndmask_b32_e64 v98, v101, v85, s27
	;; [unrolled: 1-line block ×14, first 2 shown]
	v_perm_b32 v72, v69, v66, 0x5040100
	v_perm_b32 v70, v94, v84, 0x5040100
	v_cndmask_b32_e64 v66, v90, v91, s17
	v_cndmask_b32_e64 v69, v118, v91, s16
	;; [unrolled: 1-line block ×4, first 2 shown]
	v_perm_b32 v71, v95, v87, 0x5040100
	v_cndmask_b32_e64 v87, v97, v102, s18
	v_cndmask_b32_e64 v86, v86, v102, s19
	;; [unrolled: 1-line block ×15, first 2 shown]
	v_lshrrev_b32_e32 v108, 16, v93
	v_cndmask_b32_e64 v87, v87, v89, s27
	v_cndmask_b32_e64 v86, v86, v89, s28
	;; [unrolled: 1-line block ×11, first 2 shown]
	v_perm_b32 v69, v83, v82, 0x5040100
	v_perm_b32 v85, v66, v86, 0x5040100
	;; [unrolled: 1-line block ×5, first 2 shown]
	s_mov_b32 s3, exec_lo
	ds_store_b128 v80, v[69:72]
	ds_store_b128 v80, v[82:85] offset:1024
	v_cmpx_eq_u32_e32 0, v0
	s_cbranch_execz .LBB1246_13
; %bb.12:
	s_load_b128 s[4:7], s[0:1], 0x58
	s_mul_i32 s8, s37, s34
	s_delay_alu instid0(SALU_CYCLE_1) | instskip(NEXT) | instid1(SALU_CYCLE_1)
	s_add_i32 s8, s8, s15
	s_mul_i32 s8, s8, s36
	s_delay_alu instid0(SALU_CYCLE_1) | instskip(NEXT) | instid1(SALU_CYCLE_1)
	s_add_i32 s8, s8, s14
	s_ashr_i32 s9, s8, 31
	s_delay_alu instid0(SALU_CYCLE_1)
	s_lshl_b64 s[8:9], s[8:9], 2
	s_waitcnt lgkmcnt(0)
	s_add_u32 s6, s6, s8
	s_addc_u32 s7, s7, s9
	s_add_u32 s4, s4, s8
	s_addc_u32 s5, s5, s9
	s_clause 0x1
	global_store_b32 v65, v67, s[6:7]
	global_store_b32 v65, v68, s[4:5]
.LBB1246_13:
	s_or_b32 exec_lo, exec_lo, s3
	s_waitcnt lgkmcnt(0)
	s_waitcnt_vscnt null, 0x0
	s_barrier
	buffer_gl0_inv
	ds_load_b128 v[82:85], v79
	ds_load_b128 v[86:89], v79 offset:16
	ds_load_b128 v[94:97], v79 offset:2064
	;; [unrolled: 1-line block ×5, first 2 shown]
	v_mov_b32_e32 v66, v65
	v_mov_b32_e32 v67, v65
	;; [unrolled: 1-line block ×7, first 2 shown]
	ds_load_b128 v[110:113], v79 offset:6160
	ds_load_b128 v[106:109], v79 offset:6144
	v_cmp_eq_u32_e32 vcc_lo, 1, v75
	v_cmp_eq_u32_e64 s3, 1, v78
	v_cmp_eq_u32_e64 s4, 1, v77
	;; [unrolled: 1-line block ×5, first 2 shown]
	s_xor_b32 s2, s2, -1
	s_waitcnt lgkmcnt(6)
	v_wmma_f32_16x16x16_f16 v[65:72], v[49:56], v[82:89], v[65:72]
	ds_load_b128 v[53:56], v79 offset:8208
	ds_load_b128 v[49:52], v79 offset:8192
	;; [unrolled: 1-line block ×4, first 2 shown]
	s_waitcnt lgkmcnt(8)
	v_wmma_f32_16x16x16_f16 v[65:72], v[41:48], v[90:97], v[65:72]
	ds_load_b128 v[45:48], v79 offset:12304
	ds_load_b128 v[41:44], v79 offset:12288
	s_waitcnt lgkmcnt(8)
	v_wmma_f32_16x16x16_f16 v[65:72], v[33:40], v[98:105], v[65:72]
	ds_load_b128 v[37:40], v79 offset:14352
	ds_load_b128 v[33:36], v79 offset:14336
	s_waitcnt lgkmcnt(0)
	s_barrier
	buffer_gl0_inv
	v_wmma_f32_16x16x16_f16 v[65:72], v[1:8], v[106:113], v[65:72]
	s_delay_alu instid0(VALU_DEP_1) | instskip(NEXT) | instid1(VALU_DEP_1)
	v_wmma_f32_16x16x16_f16 v[65:72], v[9:16], v[49:56], v[65:72]
	v_wmma_f32_16x16x16_f16 v[65:72], v[17:24], v[82:89], v[65:72]
	s_delay_alu instid0(VALU_DEP_1) | instskip(NEXT) | instid1(VALU_DEP_1)
	v_wmma_f32_16x16x16_f16 v[65:72], v[25:32], v[41:48], v[65:72]
	v_wmma_f32_16x16x16_f16 v[65:72], v[57:64], v[33:40], v[65:72]
	s_delay_alu instid0(VALU_DEP_1) | instskip(NEXT) | instid1(VALU_DEP_2)
	v_cvt_f16_f32_e32 v1, v65
	v_cvt_f16_f32_e32 v2, v66
	s_delay_alu instid0(VALU_DEP_3) | instskip(NEXT) | instid1(VALU_DEP_4)
	v_cvt_f16_f32_e32 v3, v67
	v_cvt_f16_f32_e32 v4, v68
	;; [unrolled: 1-line block ×6, first 2 shown]
	v_pack_b32_f16 v1, v1, v2
	v_pack_b32_f16 v2, v3, v4
	;; [unrolled: 1-line block ×3, first 2 shown]
	s_delay_alu instid0(VALU_DEP_4)
	v_pack_b32_f16 v4, v7, v8
	ds_store_b128 v80, v[1:4]
	s_waitcnt lgkmcnt(0)
	s_barrier
	buffer_gl0_inv
	ds_load_b128 v[1:4], v81
	ds_load_b128 v[5:8], v81 offset:16
	s_waitcnt lgkmcnt(1)
	v_lshrrev_b32_e32 v9, 16, v1
	s_waitcnt lgkmcnt(0)
	v_lshrrev_b32_e32 v13, 16, v5
	v_lshrrev_b32_e32 v16, 16, v8
	;; [unrolled: 1-line block ×4, first 2 shown]
	v_cndmask_b32_e32 v17, v1, v9, vcc_lo
	v_cndmask_b32_e32 v18, v5, v13, vcc_lo
	v_cmp_eq_u32_e32 vcc_lo, 1, v76
	v_cndmask_b32_e64 v19, v1, v9, s3
	v_cndmask_b32_e64 v20, v5, v13, s3
	v_cmp_eq_u32_e64 s3, 2, v76
	v_lshrrev_b32_e32 v11, 16, v3
	v_cndmask_b32_e32 v21, v1, v9, vcc_lo
	v_cndmask_b32_e32 v22, v5, v13, vcc_lo
	v_cndmask_b32_e64 v1, v1, v9, s4
	v_cmp_eq_u32_e32 vcc_lo, 2, v77
	v_cndmask_b32_e64 v5, v5, v13, s4
	v_cmp_eq_u32_e64 s4, 2, v78
	v_cndmask_b32_e64 v9, v17, v2, s5
	v_cndmask_b32_e64 v13, v18, v6, s5
	v_cmp_eq_u32_e64 s5, 3, v78
	v_cndmask_b32_e32 v1, v1, v2, vcc_lo
	v_cndmask_b32_e64 v17, v19, v2, s4
	v_cndmask_b32_e64 v18, v20, v6, s4
	;; [unrolled: 1-line block ×4, first 2 shown]
	v_cndmask_b32_e32 v2, v5, v6, vcc_lo
	v_cmp_eq_u32_e32 vcc_lo, 3, v76
	v_cmp_eq_u32_e64 s4, 3, v77
	v_cndmask_b32_e64 v5, v9, v10, s6
	v_cndmask_b32_e64 v6, v13, v14, s6
	;; [unrolled: 1-line block ×4, first 2 shown]
	v_cndmask_b32_e32 v17, v19, v10, vcc_lo
	v_cmp_eq_u32_e64 s3, 4, v76
	v_cndmask_b32_e32 v18, v20, v14, vcc_lo
	v_cndmask_b32_e64 v1, v1, v10, s4
	v_cmp_eq_u32_e32 vcc_lo, 4, v77
	v_cmp_eq_u32_e64 s5, 4, v75
	v_cndmask_b32_e64 v2, v2, v14, s4
	v_cmp_eq_u32_e64 s4, 4, v78
	v_lshrrev_b32_e32 v15, 16, v7
	v_cmp_eq_u32_e64 s6, 5, v75
	v_cndmask_b32_e64 v5, v5, v3, s5
	v_cndmask_b32_e64 v6, v6, v7, s5
	;; [unrolled: 1-line block ×3, first 2 shown]
	v_cmp_eq_u32_e64 s5, 5, v78
	v_cndmask_b32_e64 v10, v13, v7, s4
	v_cndmask_b32_e64 v13, v17, v3, s3
	;; [unrolled: 1-line block ×3, first 2 shown]
	v_cmp_eq_u32_e64 s4, 5, v76
	v_cndmask_b32_e32 v1, v1, v3, vcc_lo
	v_cndmask_b32_e32 v2, v2, v7, vcc_lo
	v_cmp_eq_u32_e32 vcc_lo, 5, v77
	v_cndmask_b32_e64 v5, v5, v11, s6
	v_cmp_eq_u32_e64 s3, 6, v75
	v_cndmask_b32_e64 v6, v6, v15, s6
	v_cndmask_b32_e64 v9, v9, v11, s5
	;; [unrolled: 1-line block ×4, first 2 shown]
	v_cmp_eq_u32_e64 s5, 6, v78
	v_cndmask_b32_e64 v3, v14, v15, s4
	v_cndmask_b32_e32 v1, v1, v11, vcc_lo
	v_cmp_eq_u32_e64 s4, 6, v77
	v_cndmask_b32_e32 v2, v2, v15, vcc_lo
	v_lshrrev_b32_e32 v12, 16, v4
	v_cndmask_b32_e64 v5, v5, v4, s3
	v_cndmask_b32_e64 v9, v9, v4, s5
	;; [unrolled: 1-line block ×3, first 2 shown]
	v_cmp_eq_u32_e64 s3, 7, v75
	v_cmp_eq_u32_e64 s6, 7, v78
	v_cndmask_b32_e64 v7, v13, v4, s7
	v_cndmask_b32_e64 v3, v3, v8, s7
	;; [unrolled: 1-line block ×3, first 2 shown]
	v_cmp_eq_u32_e32 vcc_lo, 7, v77
	v_cndmask_b32_e64 v2, v2, v8, s4
	v_cmp_eq_u32_e64 s4, 7, v76
	v_cndmask_b32_e64 v4, v10, v8, s5
	v_cndmask_b32_e64 v5, v5, v12, s3
	;; [unrolled: 1-line block ×3, first 2 shown]
	v_cndmask_b32_e32 v2, v2, v16, vcc_lo
	v_cndmask_b32_e64 v7, v7, v12, s4
	v_cndmask_b32_e32 v1, v1, v12, vcc_lo
	v_cndmask_b32_e64 v3, v3, v16, s4
	v_cndmask_b32_e64 v8, v4, v16, s6
	v_cndmask_b32_e64 v6, v6, v16, s3
	v_cmp_gt_u32_e32 vcc_lo, 32, v0
	v_perm_b32 v4, v2, v1, 0x5040100
	v_perm_b32 v3, v3, v7, 0x5040100
	v_perm_b32 v2, v8, v9, 0x5040100
	v_perm_b32 v1, v6, v5, 0x5040100
	s_and_b32 s2, vcc_lo, s2
	ds_store_b128 v80, v[1:4]
	s_waitcnt lgkmcnt(0)
	s_barrier
	buffer_gl0_inv
	s_and_saveexec_b32 s3, s2
	s_cbranch_execz .LBB1246_2
; %bb.14:
	s_load_b64 s[0:1], s[0:1], 0x68
	v_lshlrev_b32_e32 v1, 10, v0
	v_and_b32_e32 v0, 1, v0
	v_lshlrev_b32_e32 v2, 6, v74
	s_lshl_b32 s4, s36, 7
	s_delay_alu instid0(VALU_DEP_3) | instskip(NEXT) | instid1(VALU_DEP_3)
	v_and_b32_e32 v1, 0x3800, v1
	v_lshlrev_b32_e32 v0, 4, v0
	s_mul_i32 s2, s4, s34
	s_delay_alu instid0(SALU_CYCLE_1) | instskip(NEXT) | instid1(VALU_DEP_1)
	s_mul_i32 s2, s2, s37
	v_or3_b32 v0, v1, v2, v0
	s_ashr_i32 s3, s2, 31
	s_delay_alu instid0(SALU_CYCLE_1)
	s_lshl_b64 s[2:3], s[2:3], 1
	ds_load_b128 v[0:3], v0
	s_waitcnt lgkmcnt(0)
	s_add_u32 s5, s0, s2
	s_addc_u32 s3, s1, s3
	s_lshl_b32 s0, s14, 7
	s_mul_i32 s2, s4, s15
	s_ashr_i32 s1, s0, 31
	s_delay_alu instid0(SALU_CYCLE_1) | instskip(NEXT) | instid1(SALU_CYCLE_1)
	s_lshl_b64 s[0:1], s[0:1], 1
	s_add_u32 s4, s5, s0
	s_addc_u32 s5, s3, s1
	s_ashr_i32 s3, s2, 31
	s_delay_alu instid0(SALU_CYCLE_1) | instskip(NEXT) | instid1(SALU_CYCLE_1)
	s_lshl_b64 s[0:1], s[2:3], 1
	s_add_u32 s0, s4, s0
	s_addc_u32 s1, s5, s1
	global_store_b128 v73, v[0:3], s[0:1]
	s_nop 0
	s_sendmsg sendmsg(MSG_DEALLOC_VGPRS)
	s_endpgm
	.section	.rodata,"a",@progbits
	.p2align	6, 0x0
	.amdhsa_kernel _Z39paged_attention_ll4mi_QKV_mfma16_kernelIDF16_hLN4vllm18Fp8KVCacheDataTypeE1EhLi16ELi128ELi256ELb0ELi1EL8MFMAType0EEvPKT_PKT0_S8_ifPKiSA_SA_iPKfiiiPfSD_PS3_PT2_iSC_SC_
		.amdhsa_group_segment_fixed_size 17472
		.amdhsa_private_segment_fixed_size 0
		.amdhsa_kernarg_size 400
		.amdhsa_user_sgpr_count 13
		.amdhsa_user_sgpr_dispatch_ptr 0
		.amdhsa_user_sgpr_queue_ptr 0
		.amdhsa_user_sgpr_kernarg_segment_ptr 1
		.amdhsa_user_sgpr_dispatch_id 0
		.amdhsa_user_sgpr_private_segment_size 0
		.amdhsa_wavefront_size32 1
		.amdhsa_uses_dynamic_stack 0
		.amdhsa_enable_private_segment 0
		.amdhsa_system_sgpr_workgroup_id_x 1
		.amdhsa_system_sgpr_workgroup_id_y 1
		.amdhsa_system_sgpr_workgroup_id_z 1
		.amdhsa_system_sgpr_workgroup_info 0
		.amdhsa_system_vgpr_workitem_id 0
		.amdhsa_next_free_vgpr 134
		.amdhsa_next_free_sgpr 66
		.amdhsa_reserve_vcc 1
		.amdhsa_float_round_mode_32 0
		.amdhsa_float_round_mode_16_64 0
		.amdhsa_float_denorm_mode_32 3
		.amdhsa_float_denorm_mode_16_64 3
		.amdhsa_dx10_clamp 1
		.amdhsa_ieee_mode 1
		.amdhsa_fp16_overflow 0
		.amdhsa_workgroup_processor_mode 1
		.amdhsa_memory_ordered 1
		.amdhsa_forward_progress 0
		.amdhsa_shared_vgpr_count 0
		.amdhsa_exception_fp_ieee_invalid_op 0
		.amdhsa_exception_fp_denorm_src 0
		.amdhsa_exception_fp_ieee_div_zero 0
		.amdhsa_exception_fp_ieee_overflow 0
		.amdhsa_exception_fp_ieee_underflow 0
		.amdhsa_exception_fp_ieee_inexact 0
		.amdhsa_exception_int_div_zero 0
	.end_amdhsa_kernel
	.section	.text._Z39paged_attention_ll4mi_QKV_mfma16_kernelIDF16_hLN4vllm18Fp8KVCacheDataTypeE1EhLi16ELi128ELi256ELb0ELi1EL8MFMAType0EEvPKT_PKT0_S8_ifPKiSA_SA_iPKfiiiPfSD_PS3_PT2_iSC_SC_,"axG",@progbits,_Z39paged_attention_ll4mi_QKV_mfma16_kernelIDF16_hLN4vllm18Fp8KVCacheDataTypeE1EhLi16ELi128ELi256ELb0ELi1EL8MFMAType0EEvPKT_PKT0_S8_ifPKiSA_SA_iPKfiiiPfSD_PS3_PT2_iSC_SC_,comdat
.Lfunc_end1246:
	.size	_Z39paged_attention_ll4mi_QKV_mfma16_kernelIDF16_hLN4vllm18Fp8KVCacheDataTypeE1EhLi16ELi128ELi256ELb0ELi1EL8MFMAType0EEvPKT_PKT0_S8_ifPKiSA_SA_iPKfiiiPfSD_PS3_PT2_iSC_SC_, .Lfunc_end1246-_Z39paged_attention_ll4mi_QKV_mfma16_kernelIDF16_hLN4vllm18Fp8KVCacheDataTypeE1EhLi16ELi128ELi256ELb0ELi1EL8MFMAType0EEvPKT_PKT0_S8_ifPKiSA_SA_iPKfiiiPfSD_PS3_PT2_iSC_SC_
                                        ; -- End function
	.section	.AMDGPU.csdata,"",@progbits
; Kernel info:
; codeLenInByte = 6440
; NumSgprs: 68
; NumVgprs: 134
; ScratchSize: 0
; MemoryBound: 1
; FloatMode: 240
; IeeeMode: 1
; LDSByteSize: 17472 bytes/workgroup (compile time only)
; SGPRBlocks: 8
; VGPRBlocks: 16
; NumSGPRsForWavesPerEU: 68
; NumVGPRsForWavesPerEU: 134
; Occupancy: 10
; WaveLimiterHint : 1
; COMPUTE_PGM_RSRC2:SCRATCH_EN: 0
; COMPUTE_PGM_RSRC2:USER_SGPR: 13
; COMPUTE_PGM_RSRC2:TRAP_HANDLER: 0
; COMPUTE_PGM_RSRC2:TGID_X_EN: 1
; COMPUTE_PGM_RSRC2:TGID_Y_EN: 1
; COMPUTE_PGM_RSRC2:TGID_Z_EN: 1
; COMPUTE_PGM_RSRC2:TIDIG_COMP_CNT: 0
	.section	.text._Z39paged_attention_ll4mi_QKV_mfma16_kernelIDF16_hLN4vllm18Fp8KVCacheDataTypeE1EhLi16ELi128ELi256ELb0ELi2EL8MFMAType0EEvPKT_PKT0_S8_ifPKiSA_SA_iPKfiiiPfSD_PS3_PT2_iSC_SC_,"axG",@progbits,_Z39paged_attention_ll4mi_QKV_mfma16_kernelIDF16_hLN4vllm18Fp8KVCacheDataTypeE1EhLi16ELi128ELi256ELb0ELi2EL8MFMAType0EEvPKT_PKT0_S8_ifPKiSA_SA_iPKfiiiPfSD_PS3_PT2_iSC_SC_,comdat
	.protected	_Z39paged_attention_ll4mi_QKV_mfma16_kernelIDF16_hLN4vllm18Fp8KVCacheDataTypeE1EhLi16ELi128ELi256ELb0ELi2EL8MFMAType0EEvPKT_PKT0_S8_ifPKiSA_SA_iPKfiiiPfSD_PS3_PT2_iSC_SC_ ; -- Begin function _Z39paged_attention_ll4mi_QKV_mfma16_kernelIDF16_hLN4vllm18Fp8KVCacheDataTypeE1EhLi16ELi128ELi256ELb0ELi2EL8MFMAType0EEvPKT_PKT0_S8_ifPKiSA_SA_iPKfiiiPfSD_PS3_PT2_iSC_SC_
	.globl	_Z39paged_attention_ll4mi_QKV_mfma16_kernelIDF16_hLN4vllm18Fp8KVCacheDataTypeE1EhLi16ELi128ELi256ELb0ELi2EL8MFMAType0EEvPKT_PKT0_S8_ifPKiSA_SA_iPKfiiiPfSD_PS3_PT2_iSC_SC_
	.p2align	8
	.type	_Z39paged_attention_ll4mi_QKV_mfma16_kernelIDF16_hLN4vllm18Fp8KVCacheDataTypeE1EhLi16ELi128ELi256ELb0ELi2EL8MFMAType0EEvPKT_PKT0_S8_ifPKiSA_SA_iPKfiiiPfSD_PS3_PT2_iSC_SC_,@function
_Z39paged_attention_ll4mi_QKV_mfma16_kernelIDF16_hLN4vllm18Fp8KVCacheDataTypeE1EhLi16ELi128ELi256ELb0ELi2EL8MFMAType0EEvPKT_PKT0_S8_ifPKiSA_SA_iPKfiiiPfSD_PS3_PT2_iSC_SC_: ; @_Z39paged_attention_ll4mi_QKV_mfma16_kernelIDF16_hLN4vllm18Fp8KVCacheDataTypeE1EhLi16ELi128ELi256ELb0ELi2EL8MFMAType0EEvPKT_PKT0_S8_ifPKiSA_SA_iPKfiiiPfSD_PS3_PT2_iSC_SC_
; %bb.0:
	s_load_b64 s[2:3], s[0:1], 0x30
	s_mov_b32 s34, s13
	s_waitcnt lgkmcnt(0)
	s_cmp_lg_u64 s[2:3], 0
	s_cselect_b32 s8, -1, 0
	s_ashr_i32 s35, s13, 31
	s_cmp_eq_u64 s[2:3], 0
	s_cbranch_scc1 .LBB1247_3
; %bb.1:
	s_lshl_b64 s[4:5], s[34:35], 2
	s_delay_alu instid0(SALU_CYCLE_1) | instskip(SKIP_4) | instid1(SALU_CYCLE_1)
	s_add_u32 s4, s2, s4
	s_addc_u32 s5, s3, s5
	s_load_b64 s[4:5], s[4:5], 0x0
	s_waitcnt lgkmcnt(0)
	s_sub_i32 s4, s5, s4
	s_cmp_eq_u32 s4, 1
	s_cselect_b32 s4, -1, 0
	s_delay_alu instid0(SALU_CYCLE_1)
	s_and_not1_b32 vcc_lo, exec_lo, s4
	s_cbranch_vccz .LBB1247_4
.LBB1247_2:
	s_endpgm
.LBB1247_3:
.LBB1247_4:
	s_load_b64 s[4:5], s[0:1], 0x28
	s_lshl_b64 s[6:7], s[34:35], 2
	s_waitcnt lgkmcnt(0)
	s_add_u32 s4, s4, s6
	s_addc_u32 s5, s5, s7
	s_lshl_b32 s12, s14, 8
	s_load_b32 s24, s[4:5], 0x0
	s_waitcnt lgkmcnt(0)
	s_cmp_ge_i32 s12, s24
	s_cbranch_scc1 .LBB1247_2
; %bb.5:
	s_clause 0x1
	s_load_b128 s[20:23], s[0:1], 0x8
	s_load_b64 s[4:5], s[0:1], 0x20
	s_and_not1_b32 vcc_lo, exec_lo, s8
	s_cbranch_vccnz .LBB1247_7
; %bb.6:
	s_add_u32 s2, s2, s6
	s_addc_u32 s3, s3, s7
	s_load_b32 s3, s[2:3], 0x0
	s_branch .LBB1247_8
.LBB1247_7:
	s_mov_b32 s3, s34
.LBB1247_8:
	s_load_b128 s[16:19], s[0:1], 0x48
	v_and_b32_e32 v70, 15, v0
	v_bfe_u32 v69, v0, 4, 1
	s_lshl_b32 s31, s15, 1
	v_and_b32_e32 v71, 31, v0
	v_and_b32_e32 v68, 1, v0
	v_lshlrev_b32_e32 v1, 3, v70
	v_cmp_gt_u32_e64 s2, 32, v0
	v_or_b32_e32 v67, s31, v69
	v_lshlrev_b32_e32 v66, 6, v69
	s_delay_alu instid0(VALU_DEP_4) | instskip(NEXT) | instid1(VALU_DEP_4)
	v_lshlrev_b32_e32 v65, 1, v1
	s_and_saveexec_b32 s6, s2
	s_cbranch_execz .LBB1247_10
; %bb.9:
	s_load_b64 s[8:9], s[0:1], 0x0
	v_lshlrev_b32_e32 v1, 7, v67
	s_waitcnt lgkmcnt(0)
	s_mul_hi_i32 s11, s3, s16
	s_mul_i32 s10, s3, s16
	v_lshlrev_b32_e32 v5, 10, v70
	s_lshl_b64 s[10:11], s[10:11], 1
	v_ashrrev_i32_e32 v2, 31, v1
	v_lshlrev_b32_e32 v6, 10, v68
	s_delay_alu instid0(VALU_DEP_3) | instskip(NEXT) | instid1(VALU_DEP_3)
	v_and_b32_e32 v5, 0x3800, v5
	v_lshlrev_b64 v[1:2], 1, v[1:2]
	s_delay_alu instid0(VALU_DEP_2) | instskip(SKIP_2) | instid1(VALU_DEP_2)
	v_or3_b32 v5, v5, v6, v66
	s_add_u32 s3, s8, s10
	s_addc_u32 s7, s9, s11
	v_add_co_u32 v1, vcc_lo, s3, v1
	s_delay_alu instid0(VALU_DEP_3) | instskip(NEXT) | instid1(VALU_DEP_2)
	v_add_co_ci_u32_e32 v2, vcc_lo, s7, v2, vcc_lo
	v_add_co_u32 v1, vcc_lo, v1, v65
	s_delay_alu instid0(VALU_DEP_2)
	v_add_co_ci_u32_e32 v2, vcc_lo, 0, v2, vcc_lo
	global_load_b128 v[1:4], v[1:2], off
	s_waitcnt vmcnt(0)
	ds_store_b128 v5, v[1:4]
.LBB1247_10:
	s_or_b32 exec_lo, exec_lo, s6
	v_and_b32_e32 v1, 0xef, v0
	s_waitcnt lgkmcnt(0)
	s_add_i32 s3, s24, 15
	s_clause 0x1
	s_load_b32 s6, s[0:1], 0x38
	s_load_b32 s33, s[0:1], 0x98
	s_ashr_i32 s7, s3, 31
	v_add_nc_u32_e32 v1, s12, v1
	s_lshr_b32 s7, s7, 28
	s_load_b32 s19, s[0:1], 0x1c
	s_add_i32 s3, s3, s7
	s_waitcnt lgkmcnt(0)
	v_ashrrev_i32_e32 v2, 31, v1
	v_or_b32_e32 v3, 16, v1
	s_ashr_i32 s3, s3, 4
	v_cmp_gt_i32_e32 vcc_lo, s24, v1
	s_add_i32 s3, s3, -1
	v_lshrrev_b32_e32 v2, 28, v2
	s_barrier
	buffer_gl0_inv
	s_mul_i32 s15, s15, s18
	v_lshlrev_b32_e32 v145, 6, v68
	v_add_nc_u32_e32 v4, v1, v2
	v_lshrrev_b32_e32 v72, 5, v0
	s_mul_i32 s6, s34, s6
	s_delay_alu instid0(SALU_CYCLE_1) | instskip(NEXT) | instid1(VALU_DEP_2)
	s_ashr_i32 s7, s6, 31
	v_ashrrev_i32_e32 v4, 4, v4
	v_add_nc_u32_e32 v2, v3, v2
	s_lshl_b64 s[6:7], s[6:7], 2
	s_delay_alu instid0(SALU_CYCLE_1) | instskip(NEXT) | instid1(VALU_DEP_2)
	s_add_u32 s13, s4, s6
	v_cndmask_b32_e32 v1, s3, v4, vcc_lo
	s_delay_alu instid0(VALU_DEP_2)
	v_ashrrev_i32_e32 v2, 4, v2
	v_cmp_gt_i32_e32 vcc_lo, s24, v3
	s_addc_u32 s16, s5, s7
	s_ashr_i32 s18, s15, 31
	s_add_u32 s25, s20, s15
	s_addc_u32 s28, s21, s18
	v_cndmask_b32_e32 v3, s3, v2, vcc_lo
	v_ashrrev_i32_e32 v2, 31, v1
	s_lshl_b32 s4, s14, 4
	s_delay_alu instid0(SALU_CYCLE_1) | instskip(NEXT) | instid1(VALU_DEP_2)
	s_ashr_i32 s5, s4, 31
	v_ashrrev_i32_e32 v4, 31, v3
	s_delay_alu instid0(VALU_DEP_2) | instskip(SKIP_1) | instid1(SALU_CYCLE_1)
	v_lshlrev_b64 v[1:2], 2, v[1:2]
	s_lshl_b64 s[4:5], s[4:5], 2
	s_add_u32 s4, s13, s4
	s_delay_alu instid0(VALU_DEP_2) | instskip(SKIP_1) | instid1(VALU_DEP_2)
	v_lshlrev_b64 v[3:4], 2, v[3:4]
	s_addc_u32 s5, s16, s5
	v_add_co_u32 v1, vcc_lo, s13, v1
	v_add_co_ci_u32_e32 v2, vcc_lo, s16, v2, vcc_lo
	s_delay_alu instid0(VALU_DEP_3) | instskip(NEXT) | instid1(VALU_DEP_4)
	v_add_co_u32 v3, vcc_lo, s13, v3
	v_add_co_ci_u32_e32 v4, vcc_lo, s16, v4, vcc_lo
	s_clause 0x1
	global_load_b32 v5, v[1:2], off
	global_load_b32 v7, v[3:4], off
	s_or_b32 s6, s12, 32
	v_lshlrev_b32_e32 v1, 4, v0
	s_ashr_i32 s7, s6, 4
	s_cmp_lt_i32 s6, s24
	s_cselect_b32 s6, s7, s3
	s_delay_alu instid0(VALU_DEP_1) | instskip(SKIP_1) | instid1(SALU_CYCLE_1)
	v_and_b32_e32 v1, 0xf0, v1
	s_ashr_i32 s7, s6, 31
	s_lshl_b64 s[6:7], s[6:7], 2
	s_delay_alu instid0(SALU_CYCLE_1)
	s_add_u32 s6, s13, s6
	s_addc_u32 s7, s16, s7
	s_or_b32 s8, s12, 64
	v_add_co_u32 v1, s25, s25, v1
	s_ashr_i32 s9, s8, 4
	s_cmp_lt_i32 s8, s24
	v_add_co_ci_u32_e64 v2, null, s28, 0, s25
	s_cselect_b32 s8, s9, s3
	s_delay_alu instid0(SALU_CYCLE_1) | instskip(NEXT) | instid1(SALU_CYCLE_1)
	s_ashr_i32 s9, s8, 31
	s_lshl_b64 s[8:9], s[8:9], 2
	s_delay_alu instid0(SALU_CYCLE_1) | instskip(SKIP_2) | instid1(SALU_CYCLE_1)
	s_add_u32 s8, s13, s8
	s_addc_u32 s9, s16, s9
	s_or_b32 s10, s12, 0x60
	s_ashr_i32 s11, s10, 4
	s_cmp_lt_i32 s10, s24
	s_cselect_b32 s10, s11, s3
	s_delay_alu instid0(SALU_CYCLE_1) | instskip(NEXT) | instid1(SALU_CYCLE_1)
	s_ashr_i32 s11, s10, 31
	s_lshl_b64 s[10:11], s[10:11], 2
	s_delay_alu instid0(SALU_CYCLE_1) | instskip(SKIP_2) | instid1(SALU_CYCLE_1)
	s_add_u32 s10, s13, s10
	s_addc_u32 s11, s16, s11
	s_or_b32 s20, s12, 0x80
	s_ashr_i32 s21, s20, 4
	s_cmp_lt_i32 s20, s24
	;; [unrolled: 10-line block ×3, first 2 shown]
	s_cselect_b32 s26, s27, s3
	s_delay_alu instid0(SALU_CYCLE_1) | instskip(NEXT) | instid1(SALU_CYCLE_1)
	s_ashr_i32 s27, s26, 31
	s_lshl_b64 s[26:27], s[26:27], 2
	s_delay_alu instid0(SALU_CYCLE_1)
	s_add_u32 s26, s13, s26
	s_addc_u32 s27, s16, s27
	s_clause 0x5
	s_load_b32 s25, s[4:5], 0x0
	s_load_b32 s28, s[6:7], 0x0
	s_load_b32 s29, s[8:9], 0x0
	s_load_b32 s30, s[10:11], 0x0
	s_load_b32 s35, s[20:21], 0x0
	s_load_b32 s26, s[26:27], 0x0
	s_or_b32 s7, s12, 0xc0
	s_mov_b32 s4, 0
	s_ashr_i32 s8, s7, 4
	s_cmp_lt_i32 s7, s24
	s_mov_b32 s5, s4
	s_cselect_b32 s10, s8, s3
	s_mov_b32 s6, s4
	s_ashr_i32 s11, s10, 31
	s_mov_b32 s7, s4
	s_lshl_b64 s[20:21], s[10:11], 2
	s_mov_b32 s11, s4
	s_add_u32 s20, s13, s20
	s_addc_u32 s21, s16, s21
	s_or_b32 s27, s12, 0xe0
	s_mov_b32 s8, s4
	s_ashr_i32 s36, s27, 4
	s_mov_b32 s9, s4
	s_mov_b32 s10, s4
	s_cmp_lt_i32 s27, s24
	v_mov_b32_e32 v120, s11
	v_dual_mov_b32 v114, s5 :: v_dual_mov_b32 v119, s10
	v_dual_mov_b32 v118, s9 :: v_dual_mov_b32 v117, s8
	;; [unrolled: 1-line block ×3, first 2 shown]
	v_mov_b32_e32 v113, s4
	s_cselect_b32 s4, s36, s3
	s_delay_alu instid0(SALU_CYCLE_1) | instskip(NEXT) | instid1(SALU_CYCLE_1)
	s_ashr_i32 s5, s4, 31
	s_lshl_b64 s[4:5], s[4:5], 2
	s_delay_alu instid0(SALU_CYCLE_1)
	s_add_u32 s4, s13, s4
	s_addc_u32 s5, s16, s5
	s_add_u32 s6, s22, s15
	s_addc_u32 s7, s23, s18
	s_waitcnt vmcnt(1)
	v_mad_i64_i32 v[3:4], null, v5, s17, v[1:2]
	s_waitcnt vmcnt(0)
	v_mad_i64_i32 v[5:6], null, v7, s17, v[1:2]
	v_lshlrev_b32_e32 v1, 4, v70
	s_clause 0xf
	global_load_b128 v[9:12], v[3:4], off
	global_load_b128 v[13:16], v[3:4], off offset:256
	global_load_b128 v[17:20], v[5:6], off
	global_load_b128 v[21:24], v[5:6], off offset:256
	global_load_b128 v[57:60], v[3:4], off offset:512
	;; [unrolled: 1-line block ×13, first 2 shown]
	ds_load_b128 v[25:28], v145
	ds_load_b128 v[29:32], v145 offset:1024
	s_load_b32 s3, s[20:21], 0x0
	ds_load_b128 v[121:124], v145 offset:2048
	ds_load_b128 v[125:128], v145 offset:3072
	s_load_b32 s4, s[4:5], 0x0
	v_lshl_or_b32 v1, v72, 8, v1
	s_delay_alu instid0(VALU_DEP_1) | instskip(NEXT) | instid1(VALU_DEP_1)
	v_add_co_u32 v129, s6, s6, v1
	v_add_co_ci_u32_e64 v130, null, s7, 0, s6
	s_waitcnt lgkmcnt(0)
	s_delay_alu instid0(VALU_DEP_1)
	v_mad_i64_i32 v[1:2], null, s25, s17, v[129:130]
	v_mad_i64_i32 v[3:4], null, s28, s17, v[129:130]
	;; [unrolled: 1-line block ×8, first 2 shown]
	s_clause 0x7
	global_load_b128 v[49:52], v[1:2], off
	global_load_b128 v[53:56], v[1:2], off offset:16
	global_load_b128 v[41:44], v[3:4], off
	global_load_b128 v[45:48], v[3:4], off offset:16
	;; [unrolled: 2-line block ×4, first 2 shown]
	s_waitcnt vmcnt(22)
	v_wmma_f32_16x16x16_f16 v[129:136], v[9:16], v[25:32], v[113:120]
	s_waitcnt vmcnt(20)
	v_wmma_f32_16x16x16_f16 v[113:120], v[17:24], v[25:32], v[113:120]
	s_clause 0x5
	global_load_b128 v[9:12], v[137:138], off
	global_load_b128 v[13:16], v[137:138], off offset:16
	global_load_b128 v[17:20], v[139:140], off
	global_load_b128 v[21:24], v[139:140], off offset:16
	;; [unrolled: 2-line block ×3, first 2 shown]
	v_mbcnt_lo_u32_b32 v137, -1, 0
	s_waitcnt vmcnt(24)
	v_wmma_f32_16x16x16_f16 v[129:136], v[57:64], v[121:128], v[129:136]
	s_clause 0x1
	global_load_b128 v[57:60], v[143:144], off
	global_load_b128 v[61:64], v[143:144], off offset:16
	s_waitcnt vmcnt(24)
	v_wmma_f32_16x16x16_f16 v[113:120], v[73:80], v[121:128], v[113:120]
	ds_load_b128 v[73:76], v145 offset:4096
	ds_load_b128 v[77:80], v145 offset:5120
	v_and_b32_e32 v121, 0xe0, v0
	v_xor_b32_e32 v139, 16, v137
	s_delay_alu instid0(VALU_DEP_2)
	v_add_nc_u32_e32 v138, s12, v121
	ds_load_b128 v[121:124], v145 offset:6144
	ds_load_b128 v[125:128], v145 offset:7168
	v_cmp_gt_i32_e32 vcc_lo, 32, v139
	s_waitcnt vmcnt(0) lgkmcnt(0)
	s_barrier
	v_or_b32_e32 v138, v138, v69
	buffer_gl0_inv
	v_or_b32_e32 v140, 4, v138
	v_or_b32_e32 v141, 6, v138
	v_or_b32_e32 v142, 8, v138
	v_wmma_f32_16x16x16_f16 v[129:136], v[81:88], v[73:80], v[129:136]
	v_wmma_f32_16x16x16_f16 v[113:120], v[89:96], v[73:80], v[113:120]
	v_or_b32_e32 v81, 10, v138
	v_cmp_gt_i32_e64 s4, s24, v140
	v_cmp_gt_i32_e64 s5, s24, v141
	v_or_b32_e32 v82, 12, v138
	v_or_b32_e32 v83, 14, v138
	v_wmma_f32_16x16x16_f16 v[129:136], v[97:104], v[121:128], v[129:136]
	v_wmma_f32_16x16x16_f16 v[113:120], v[105:112], v[121:128], v[113:120]
	v_cndmask_b32_e32 v137, v137, v139, vcc_lo
	v_or_b32_e32 v139, 2, v138
	v_cmp_gt_i32_e32 vcc_lo, s24, v138
	v_mul_f32_e32 v90, s19, v130
	v_dual_mul_f32 v92, s19, v120 :: v_dual_mul_f32 v91, s19, v129
	s_delay_alu instid0(VALU_DEP_4) | instskip(SKIP_2) | instid1(VALU_DEP_4)
	v_cmp_gt_i32_e64 s3, s24, v139
	v_dual_mul_f32 v80, s19, v132 :: v_dual_mul_f32 v89, s19, v131
	v_mul_f32_e32 v78, s19, v134
	v_cndmask_b32_e32 v91, 0xff7fffff, v91, vcc_lo
	s_delay_alu instid0(VALU_DEP_4) | instskip(SKIP_3) | instid1(VALU_DEP_4)
	v_cndmask_b32_e64 v90, 0xff7fffff, v90, s3
	v_dual_mul_f32 v79, s19, v133 :: v_dual_mul_f32 v98, s19, v114
	v_cndmask_b32_e64 v89, 0xff7fffff, v89, s4
	v_cndmask_b32_e64 v80, 0xff7fffff, v80, s5
	v_max3_f32 v90, v91, 0xff7fffff, v90
	v_cmp_gt_i32_e64 s6, s24, v142
	v_cmp_gt_i32_e64 s7, s24, v81
	v_or_b32_e32 v84, 16, v138
	v_or_b32_e32 v85, 18, v138
	v_dual_mul_f32 v76, s19, v136 :: v_dual_mul_f32 v77, s19, v135
	v_mul_f32_e32 v96, s19, v116
	v_cndmask_b32_e64 v79, 0xff7fffff, v79, s6
	v_cndmask_b32_e64 v78, 0xff7fffff, v78, s7
	v_max3_f32 v80, v90, v89, v80
	v_cmp_gt_i32_e64 s8, s24, v82
	v_cmp_gt_i32_e64 s9, s24, v83
	v_or_b32_e32 v86, 20, v138
	v_or_b32_e32 v87, 22, v138
	v_mul_f32_e32 v99, s19, v113
	v_cndmask_b32_e64 v77, 0xff7fffff, v77, s8
	v_cndmask_b32_e64 v76, 0xff7fffff, v76, s9
	v_max3_f32 v78, v80, v79, v78
	v_cmp_gt_i32_e64 s10, s24, v84
	v_cmp_gt_i32_e64 s11, s24, v85
	v_or_b32_e32 v88, 24, v138
	v_or_b32_e32 v73, 26, v138
	;; [unrolled: 8-line block ×3, first 2 shown]
	v_dual_mul_f32 v94, s19, v118 :: v_dual_mul_f32 v95, s19, v117
	v_cndmask_b32_e64 v77, 0xff7fffff, v97, s12
	v_cndmask_b32_e64 v78, 0xff7fffff, v96, s13
	v_max3_f32 v76, v76, v79, v80
	v_cmp_gt_i32_e64 s15, s24, v88
	v_cmp_gt_i32_e64 s16, s24, v73
	v_mul_f32_e32 v93, s19, v119
	v_cmp_gt_i32_e64 s17, s24, v74
	v_max3_f32 v76, v76, v77, v78
	v_cndmask_b32_e64 v79, 0xff7fffff, v95, s15
	v_cndmask_b32_e64 v73, 0xff7fffff, v94, s16
	v_cmp_gt_i32_e64 s18, s24, v75
	v_cndmask_b32_e64 v74, 0xff7fffff, v93, s17
	s_delay_alu instid0(VALU_DEP_3) | instskip(NEXT) | instid1(VALU_DEP_3)
	v_max3_f32 v73, v76, v79, v73
	v_cndmask_b32_e64 v75, 0xff7fffff, v92, s18
	v_lshlrev_b32_e32 v76, 2, v137
	s_delay_alu instid0(VALU_DEP_2) | instskip(SKIP_3) | instid1(VALU_DEP_1)
	v_max3_f32 v73, v73, v74, v75
	ds_bpermute_b32 v74, v76, v73
	s_waitcnt lgkmcnt(0)
	v_max_f32_e32 v74, v74, v74
	v_max_f32_e32 v73, v73, v74
	s_delay_alu instid0(VALU_DEP_1) | instskip(SKIP_4) | instid1(VALU_DEP_4)
	v_fma_f32 v74, s19, v129, -v73
	v_fma_f32 v83, s19, v135, -v73
	;; [unrolled: 1-line block ×5, first 2 shown]
	v_dual_mul_f32 v74, 0x3fb8aa3b, v74 :: v_dual_mul_f32 v83, 0x3fb8aa3b, v83
	s_delay_alu instid0(VALU_DEP_4) | instskip(NEXT) | instid1(VALU_DEP_4)
	v_mul_f32_e32 v75, 0x3fb8aa3b, v75
	v_mul_f32_e32 v77, 0x3fb8aa3b, v77
	v_fma_f32 v80, s19, v133, -v73
	s_delay_alu instid0(VALU_DEP_4)
	v_exp_f32_e32 v74, v74
	v_exp_f32_e32 v85, v83
	;; [unrolled: 1-line block ×3, first 2 shown]
	v_mul_f32_e32 v78, 0x3fb8aa3b, v78
	v_exp_f32_e32 v77, v77
	v_mul_f32_e32 v80, 0x3fb8aa3b, v80
	s_delay_alu instid0(VALU_DEP_2) | instskip(NEXT) | instid1(VALU_DEP_1)
	v_exp_f32_e32 v82, v78
	v_exp_f32_e32 v84, v80
	v_cndmask_b32_e64 v85, 0, v85, s8
	v_cndmask_b32_e32 v79, 0, v74, vcc_lo
	v_fma_f32 v74, s19, v134, -v73
	v_cndmask_b32_e64 v78, 0, v75, s3
	s_delay_alu instid0(TRANS32_DEP_3) | instskip(SKIP_1) | instid1(VALU_DEP_3)
	v_cndmask_b32_e64 v81, 0, v77, s4
	s_mov_b32 s3, exec_lo
	v_dual_add_f32 v75, 0, v79 :: v_dual_mul_f32 v74, 0x3fb8aa3b, v74
	s_delay_alu instid0(TRANS32_DEP_2) | instskip(SKIP_2) | instid1(VALU_DEP_4)
	v_cndmask_b32_e64 v80, 0, v82, s5
	v_fma_f32 v82, s19, v113, -v73
	v_cndmask_b32_e64 v83, 0, v84, s6
	v_add_f32_e32 v75, v75, v78
	v_exp_f32_e32 v74, v74
	s_delay_alu instid0(VALU_DEP_1) | instskip(NEXT) | instid1(VALU_DEP_1)
	v_dual_mul_f32 v86, 0x3fb8aa3b, v82 :: v_dual_add_f32 v75, v75, v81
	v_exp_f32_e32 v86, v86
	s_delay_alu instid0(VALU_DEP_1)
	v_add_f32_e32 v75, v75, v80
	s_waitcnt_depctr 0xfff
	v_cndmask_b32_e64 v82, 0, v74, s7
	v_add_f32_e32 v74, v75, v83
	v_fma_f32 v77, s19, v136, -v73
	v_fma_f32 v90, s19, v118, -v73
	;; [unrolled: 1-line block ×4, first 2 shown]
	s_delay_alu instid0(VALU_DEP_4) | instskip(NEXT) | instid1(VALU_DEP_4)
	v_dual_add_f32 v74, v74, v82 :: v_dual_mul_f32 v77, 0x3fb8aa3b, v77
	v_mul_f32_e32 v90, 0x3fb8aa3b, v90
	s_delay_alu instid0(VALU_DEP_4) | instskip(SKIP_1) | instid1(VALU_DEP_4)
	v_mul_f32_e32 v84, 0x3fb8aa3b, v84
	v_fma_f32 v87, s19, v116, -v73
	v_add_f32_e32 v74, v74, v85
	v_exp_f32_e32 v77, v77
	v_exp_f32_e32 v90, v90
	;; [unrolled: 1-line block ×3, first 2 shown]
	v_mul_f32_e32 v89, 0x3fb8aa3b, v87
	v_cndmask_b32_e64 v87, 0, v86, s10
	v_fma_f32 v92, s19, v120, -v73
	s_delay_alu instid0(VALU_DEP_3) | instskip(SKIP_1) | instid1(TRANS32_DEP_3)
	v_exp_f32_e32 v91, v89
	v_cndmask_b32_e64 v84, 0, v77, s9
	v_cndmask_b32_e64 v90, 0, v90, s16
	v_mul_f32_e32 v75, 0x3fb8aa3b, v75
	v_fma_f32 v77, s19, v117, -v73
	s_delay_alu instid0(TRANS32_DEP_2) | instskip(SKIP_3) | instid1(VALU_DEP_2)
	v_cndmask_b32_e64 v86, 0, v88, s11
	v_add_f32_e32 v74, v74, v84
	v_fma_f32 v88, s19, v119, -v73
	v_exp_f32_e32 v75, v75
	v_dual_mul_f32 v77, 0x3fb8aa3b, v77 :: v_dual_add_f32 v74, v74, v87
	s_delay_alu instid0(VALU_DEP_1) | instskip(NEXT) | instid1(VALU_DEP_1)
	v_exp_f32_e32 v77, v77
	v_add_f32_e32 v74, v74, v86
	s_waitcnt_depctr 0xfff
	v_cndmask_b32_e64 v89, 0, v75, s12
	v_mul_f32_e32 v75, 0x3fb8aa3b, v88
	v_cndmask_b32_e64 v88, 0, v91, s13
	s_delay_alu instid0(VALU_DEP_3) | instskip(NEXT) | instid1(VALU_DEP_3)
	v_add_f32_e32 v74, v74, v89
	v_exp_f32_e32 v75, v75
	v_cndmask_b32_e64 v91, 0, v77, s15
	v_mul_f32_e32 v77, 0x3fb8aa3b, v92
	s_delay_alu instid0(VALU_DEP_3) | instskip(NEXT) | instid1(VALU_DEP_2)
	v_add_f32_e32 v74, v74, v88
	v_exp_f32_e32 v77, v77
	s_delay_alu instid0(VALU_DEP_1) | instskip(SKIP_4) | instid1(VALU_DEP_2)
	v_add_f32_e32 v74, v74, v91
	s_waitcnt_depctr 0xfff
	v_cndmask_b32_e64 v93, 0, v75, s17
	v_add_f32_e32 v74, v74, v90
	v_cndmask_b32_e64 v92, 0, v77, s18
	v_add_f32_e32 v74, v74, v93
	s_delay_alu instid0(VALU_DEP_1)
	v_add_f32_e32 v74, v74, v92
	ds_bpermute_b32 v75, v76, v74
	v_cmpx_gt_u32_e32 16, v71
	s_cbranch_execz .LBB1247_12
; %bb.11:
	v_mul_u32_u24_e32 v71, 0x44, v72
	s_waitcnt lgkmcnt(0)
	v_add_f32_e32 v74, v74, v75
	s_delay_alu instid0(VALU_DEP_2) | instskip(NEXT) | instid1(VALU_DEP_1)
	v_lshl_add_u32 v71, v70, 2, v71
	v_add_nc_u32_e32 v71, 0x4000, v71
	ds_store_2addr_b32 v71, v73, v74 offset1:136
.LBB1247_12:
	s_or_b32 exec_lo, exec_lo, s3
	v_lshlrev_b32_e32 v71, 2, v70
	s_load_b32 s35, s[0:1], 0x94
	s_waitcnt lgkmcnt(0)
	s_barrier
	buffer_gl0_inv
	v_add_nc_u32_e32 v71, 0x4000, v71
	v_cmp_eq_u32_e32 vcc_lo, 1, v72
	v_cmp_eq_u32_e64 s3, 2, v72
	v_cmp_eq_u32_e64 s4, 3, v72
	;; [unrolled: 1-line block ×3, first 2 shown]
	ds_load_2addr_b32 v[73:74], v71 offset1:17
	ds_load_2addr_b32 v[94:95], v71 offset0:34 offset1:51
	ds_load_2addr_b32 v[96:97], v71 offset0:68 offset1:85
	ds_load_2addr_b32 v[98:99], v71 offset0:102 offset1:119
	v_cmp_eq_u32_e64 s6, 5, v72
	v_cmp_eq_u32_e64 s7, 7, v72
	s_waitcnt lgkmcnt(3)
	v_max3_f32 v75, v73, 0xff7fffff, v74
	s_waitcnt lgkmcnt(2)
	s_delay_alu instid0(VALU_DEP_1) | instskip(SKIP_1) | instid1(VALU_DEP_1)
	v_max3_f32 v75, v75, v94, v95
	s_waitcnt lgkmcnt(1)
	v_max3_f32 v75, v75, v96, v97
	s_waitcnt lgkmcnt(0)
	s_delay_alu instid0(VALU_DEP_1) | instskip(NEXT) | instid1(VALU_DEP_1)
	v_max3_f32 v76, v75, v98, v99
	v_sub_f32_e32 v96, v96, v76
	ds_load_2addr_b32 v[100:101], v71 offset0:136 offset1:153
	v_sub_f32_e32 v73, v73, v76
	v_sub_f32_e32 v75, v74, v76
	;; [unrolled: 1-line block ×3, first 2 shown]
	v_mul_f32_e32 v105, 0x3fb8aa3b, v96
	s_delay_alu instid0(VALU_DEP_4)
	v_mul_f32_e32 v77, 0x3fb8aa3b, v73
	ds_load_2addr_b32 v[73:74], v71 offset0:170 offset1:187
	v_mul_f32_e32 v103, 0x3fb8aa3b, v94
	v_exp_f32_e32 v102, v77
	v_sub_f32_e32 v77, v95, v76
	ds_load_2addr_b32 v[94:95], v71 offset0:204 offset1:221
	v_exp_f32_e32 v103, v103
	v_mul_f32_e32 v104, 0x3fb8aa3b, v77
	s_waitcnt lgkmcnt(2)
	v_fma_f32 v77, v102, v100, 0
	v_dual_sub_f32 v100, v97, v76 :: v_dual_mul_f32 v75, 0x3fb8aa3b, v75
	ds_load_2addr_b32 v[96:97], v71 offset0:238 offset1:255
	v_sub_f32_e32 v71, v98, v76
	v_exp_f32_e32 v104, v104
	v_mul_f32_e32 v98, 0x3fb8aa3b, v100
	v_exp_f32_e32 v75, v75
	v_exp_f32_e32 v100, v105
	v_mul_f32_e32 v71, 0x3fb8aa3b, v71
	s_waitcnt lgkmcnt(0)
	v_exp_f32_e32 v98, v98
	s_barrier
	buffer_gl0_inv
	v_fmac_f32_e32 v77, v75, v101
	s_delay_alu instid0(VALU_DEP_1) | instskip(SKIP_2) | instid1(VALU_DEP_2)
	v_fmac_f32_e32 v77, v103, v73
	v_sub_f32_e32 v73, v99, v76
	v_exp_f32_e32 v99, v71
	v_fmac_f32_e32 v77, v104, v74
	s_delay_alu instid0(VALU_DEP_2) | instskip(NEXT) | instid1(VALU_DEP_2)
	v_dual_mul_f32 v73, 0x3fb8aa3b, v73 :: v_dual_lshlrev_b32 v74, 6, v70
	v_dual_fmac_f32 v77, v100, v94 :: v_dual_lshlrev_b32 v70, 2, v69
	s_delay_alu instid0(VALU_DEP_2) | instskip(SKIP_1) | instid1(VALU_DEP_3)
	v_exp_f32_e32 v94, v73
	v_cndmask_b32_e32 v73, v102, v75, vcc_lo
	v_lshl_or_b32 v75, v72, 11, v74
	s_delay_alu instid0(VALU_DEP_3) | instskip(SKIP_1) | instid1(VALU_DEP_3)
	v_cmp_eq_u32_e64 s8, 7, v70
	v_fmac_f32_e32 v77, v98, v95
	v_lshl_or_b32 v69, v69, 4, v75
	s_delay_alu instid0(VALU_DEP_2)
	v_fmac_f32_e32 v77, v99, v96
	s_delay_alu instid0(TRANS32_DEP_1) | instid1(VALU_DEP_1)
	v_fmac_f32_e32 v77, v94, v97
	s_delay_alu instid0(VALU_DEP_1) | instskip(NEXT) | instid1(VALU_DEP_1)
	v_add_f32_e32 v95, 0x358637bd, v77
	v_div_scale_f32 v96, null, v95, v95, 1.0
	v_div_scale_f32 v101, vcc_lo, 1.0, v95, 1.0
	s_delay_alu instid0(VALU_DEP_2) | instskip(SKIP_2) | instid1(VALU_DEP_1)
	v_rcp_f32_e32 v97, v96
	s_waitcnt_depctr 0xfff
	v_fma_f32 v71, -v96, v97, 1.0
	v_fmac_f32_e32 v97, v71, v97
	v_cndmask_b32_e64 v71, v73, v103, s3
	v_cmp_eq_u32_e64 s3, 6, v72
	v_or_b32_e32 v73, 1, v70
	v_or_b32_e32 v72, 3, v70
	v_mul_f32_e32 v102, v101, v97
	v_cndmask_b32_e64 v71, v71, v104, s4
	v_cmp_eq_u32_e64 s4, 1, v70
	v_cmp_eq_u32_e64 s9, 1, v73
	;; [unrolled: 1-line block ×3, first 2 shown]
	v_fma_f32 v103, -v96, v102, v101
	v_cndmask_b32_e64 v100, v71, v100, s5
	v_or_b32_e32 v71, 2, v70
	v_cmp_eq_u32_e64 s5, 2, v70
	v_cmp_eq_u32_e64 s12, 2, v73
	v_fmac_f32_e32 v102, v103, v97
	v_cndmask_b32_e64 v98, v100, v98, s6
	v_cmp_eq_u32_e64 s10, 1, v71
	v_cmp_eq_u32_e64 s15, 2, v71
	;; [unrolled: 1-line block ×3, first 2 shown]
	v_fma_f32 v96, -v96, v102, v101
	v_cndmask_b32_e64 v98, v98, v99, s3
	v_cmp_eq_u32_e64 s13, 3, v73
	v_cmp_eq_u32_e64 s18, 3, v72
	;; [unrolled: 1-line block ×3, first 2 shown]
	v_div_fmas_f32 v96, v96, v97, v102
	v_cndmask_b32_e64 v94, v98, v94, s7
	v_cmp_eq_u32_e32 vcc_lo, 3, v70
	v_cmp_eq_u32_e64 s17, 3, v71
	v_cmp_eq_u32_e64 s19, 4, v73
	v_div_fixup_f32 v95, v96, v95, 1.0
	v_cmp_eq_u32_e64 s22, 4, v72
	v_cmp_eq_u32_e64 s6, 5, v70
	;; [unrolled: 1-line block ×4, first 2 shown]
	v_mul_f32_e32 v102, v94, v95
	v_cmp_eq_u32_e64 s24, 5, v72
	v_cmp_eq_u32_e64 s23, 5, v71
	v_cmp_eq_u32_e64 s25, 6, v73
	v_cmp_eq_u32_e64 s27, 6, v72
	v_fma_mixlo_f16 v94, v102, v79, 0
	v_fma_mixlo_f16 v95, v102, v81, 0
	;; [unrolled: 1-line block ×8, first 2 shown]
	v_fma_mixhi_f16 v94, v102, v78, 0
	v_fma_mixhi_f16 v95, v102, v80, 0
	;; [unrolled: 1-line block ×8, first 2 shown]
	ds_store_b128 v69, v[94:97]
	ds_store_b128 v69, v[98:101] offset:1024
	s_waitcnt lgkmcnt(0)
	s_barrier
	buffer_gl0_inv
	ds_load_b128 v[78:81], v75
	ds_load_b128 v[82:85], v75 offset:16
	ds_load_b128 v[86:89], v75 offset:1024
	;; [unrolled: 1-line block ×3, first 2 shown]
	v_cmp_eq_u32_e64 s7, 6, v70
	v_cmp_eq_u32_e64 s26, 6, v71
	;; [unrolled: 1-line block ×5, first 2 shown]
	s_waitcnt lgkmcnt(3)
	v_lshrrev_b32_e32 v94, 16, v78
	s_waitcnt lgkmcnt(2)
	v_lshrrev_b32_e32 v98, 16, v82
	;; [unrolled: 2-line block ×4, first 2 shown]
	v_lshrrev_b32_e32 v95, 16, v79
	v_cndmask_b32_e64 v110, v78, v94, s4
	v_cndmask_b32_e64 v111, v82, v98, s4
	;; [unrolled: 1-line block ×8, first 2 shown]
	v_lshrrev_b32_e32 v99, 16, v83
	v_cndmask_b32_e64 v94, v86, v102, s4
	v_cndmask_b32_e64 v98, v90, v106, s4
	;; [unrolled: 1-line block ×15, first 2 shown]
	v_lshrrev_b32_e32 v103, 16, v87
	v_lshrrev_b32_e32 v107, 16, v91
	v_cndmask_b32_e64 v113, v115, v83, s15
	v_cndmask_b32_e64 v82, v94, v87, s5
	;; [unrolled: 1-line block ×7, first 2 shown]
	v_cndmask_b32_e32 v90, v102, v95, vcc_lo
	v_cndmask_b32_e32 v102, v106, v99, vcc_lo
	v_cndmask_b32_e64 v106, v110, v95, s13
	v_cndmask_b32_e64 v110, v111, v99, s13
	v_cndmask_b32_e64 v78, v78, v95, s18
	v_cndmask_b32_e64 v79, v79, v99, s18
	v_lshrrev_b32_e32 v96, 16, v80
	v_lshrrev_b32_e32 v100, 16, v84
	v_cndmask_b32_e64 v111, v112, v95, s17
	v_cndmask_b32_e64 v112, v113, v99, s17
	v_cndmask_b32_e32 v82, v82, v103, vcc_lo
	v_cndmask_b32_e32 v83, v83, v107, vcc_lo
	v_cndmask_b32_e64 v94, v94, v103, s13
	v_cndmask_b32_e64 v90, v90, v80, s3
	;; [unrolled: 1-line block ×7, first 2 shown]
	v_lshrrev_b32_e32 v104, 16, v88
	v_cndmask_b32_e64 v106, v111, v80, s21
	v_cndmask_b32_e64 v110, v112, v84, s21
	;; [unrolled: 1-line block ×11, first 2 shown]
	v_lshrrev_b32_e32 v97, 16, v81
	v_lshrrev_b32_e32 v101, 16, v85
	v_cndmask_b32_e64 v99, v106, v96, s23
	v_cndmask_b32_e64 v102, v110, v100, s23
	;; [unrolled: 1-line block ×7, first 2 shown]
	v_lshrrev_b32_e32 v105, 16, v89
	v_cndmask_b32_e64 v80, v80, v104, s6
	v_cndmask_b32_e64 v84, v84, v81, s7
	;; [unrolled: 1-line block ×16, first 2 shown]
	v_perm_b32 v81, v79, v78, 0x5040100
	v_perm_b32 v79, v95, v85, 0x5040100
	v_cndmask_b32_e64 v78, v119, v91, s15
	v_cndmask_b32_e64 v85, v117, v91, s12
	v_cndmask_b32_e64 v96, v80, v105, s8
	v_perm_b32 v80, v94, v90, 0x5040100
	v_cndmask_b32_e64 v90, v98, v103, s17
	v_cndmask_b32_e64 v86, v86, v103, s18
	;; [unrolled: 1-line block ×5, first 2 shown]
	v_lshrrev_b32_e32 v108, 16, v92
	v_cndmask_b32_e64 v90, v90, v88, s21
	v_cndmask_b32_e64 v86, v86, v88, s22
	;; [unrolled: 1-line block ×11, first 2 shown]
	v_lshrrev_b32_e32 v109, 16, v93
	v_cndmask_b32_e64 v82, v82, v93, s7
	v_cndmask_b32_e64 v88, v88, v89, s26
	;; [unrolled: 1-line block ×12, first 2 shown]
	v_perm_b32 v78, v84, v83, 0x5040100
	v_perm_b32 v85, v87, v86, 0x5040100
	;; [unrolled: 1-line block ×5, first 2 shown]
	s_lshl_b32 s8, s33, 1
	s_mov_b32 s3, exec_lo
	ds_store_b128 v69, v[78:81]
	ds_store_b128 v69, v[82:85] offset:1024
	v_cmpx_gt_u32_e32 2, v0
	s_cbranch_execz .LBB1247_14
; %bb.13:
	v_or_b32_e32 v78, s31, v0
	s_load_b128 s[4:7], s[0:1], 0x58
	s_delay_alu instid0(VALU_DEP_1) | instskip(NEXT) | instid1(VALU_DEP_1)
	v_mad_u64_u32 v[79:80], null, s8, s34, v[78:79]
	v_mad_u64_u32 v[80:81], null, v79, s35, s[14:15]
	s_delay_alu instid0(VALU_DEP_1) | instskip(NEXT) | instid1(VALU_DEP_1)
	v_ashrrev_i32_e32 v81, 31, v80
	v_lshlrev_b64 v[78:79], 2, v[80:81]
	s_waitcnt lgkmcnt(0)
	s_delay_alu instid0(VALU_DEP_1) | instskip(NEXT) | instid1(VALU_DEP_2)
	v_add_co_u32 v80, vcc_lo, s6, v78
	v_add_co_ci_u32_e32 v81, vcc_lo, s7, v79, vcc_lo
	v_add_co_u32 v78, vcc_lo, s4, v78
	v_add_co_ci_u32_e32 v79, vcc_lo, s5, v79, vcc_lo
	global_store_b32 v[80:81], v76, off
	global_store_b32 v[78:79], v77, off
.LBB1247_14:
	s_or_b32 exec_lo, exec_lo, s3
	s_waitcnt lgkmcnt(0)
	s_waitcnt_vscnt null, 0x0
	s_barrier
	buffer_gl0_inv
	ds_load_b128 v[84:87], v74
	ds_load_b128 v[88:91], v74 offset:16
	ds_load_b128 v[96:99], v74 offset:2064
	;; [unrolled: 1-line block ×5, first 2 shown]
	v_cmp_eq_u32_e32 vcc_lo, 1, v70
	v_mov_b32_e32 v76, 0
	ds_load_b128 v[112:115], v74 offset:6160
	ds_load_b128 v[108:111], v74 offset:6144
	;; [unrolled: 1-line block ×4, first 2 shown]
	v_cmp_eq_u32_e64 s4, 1, v71
	v_cmp_eq_u32_e64 s3, 1, v73
	;; [unrolled: 1-line block ×3, first 2 shown]
	v_mov_b32_e32 v77, v76
	v_mov_b32_e32 v78, v76
	;; [unrolled: 1-line block ×7, first 2 shown]
	v_cmp_eq_u32_e64 s6, 3, v73
	v_cmp_eq_u32_e64 s7, 7, v73
	s_waitcnt lgkmcnt(8)
	s_delay_alu instid0(VALU_DEP_3)
	v_wmma_f32_16x16x16_f16 v[76:83], v[49:56], v[84:91], v[76:83]
	ds_load_b128 v[53:56], v74 offset:10256
	ds_load_b128 v[49:52], v74 offset:10240
	s_waitcnt lgkmcnt(8)
	v_wmma_f32_16x16x16_f16 v[76:83], v[41:48], v[92:99], v[76:83]
	ds_load_b128 v[45:48], v74 offset:12304
	ds_load_b128 v[41:44], v74 offset:12288
	s_waitcnt lgkmcnt(8)
	;; [unrolled: 4-line block ×3, first 2 shown]
	s_barrier
	buffer_gl0_inv
	v_wmma_f32_16x16x16_f16 v[76:83], v[1:8], v[108:115], v[76:83]
	s_delay_alu instid0(VALU_DEP_1) | instskip(NEXT) | instid1(VALU_DEP_1)
	v_wmma_f32_16x16x16_f16 v[76:83], v[9:16], v[116:123], v[76:83]
	v_wmma_f32_16x16x16_f16 v[76:83], v[17:24], v[49:56], v[76:83]
	s_delay_alu instid0(VALU_DEP_1) | instskip(NEXT) | instid1(VALU_DEP_1)
	v_wmma_f32_16x16x16_f16 v[76:83], v[25:32], v[41:48], v[76:83]
	v_wmma_f32_16x16x16_f16 v[76:83], v[57:64], v[33:40], v[76:83]
	s_delay_alu instid0(VALU_DEP_1) | instskip(NEXT) | instid1(VALU_DEP_2)
	v_cvt_f16_f32_e32 v1, v76
	v_cvt_f16_f32_e32 v2, v77
	s_delay_alu instid0(VALU_DEP_3) | instskip(NEXT) | instid1(VALU_DEP_4)
	v_cvt_f16_f32_e32 v3, v78
	v_cvt_f16_f32_e32 v4, v79
	;; [unrolled: 1-line block ×6, first 2 shown]
	v_pack_b32_f16 v1, v1, v2
	v_pack_b32_f16 v2, v3, v4
	;; [unrolled: 1-line block ×3, first 2 shown]
	s_delay_alu instid0(VALU_DEP_4)
	v_pack_b32_f16 v4, v7, v8
	ds_store_b128 v69, v[1:4]
	s_waitcnt lgkmcnt(0)
	s_barrier
	buffer_gl0_inv
	ds_load_b128 v[1:4], v75
	ds_load_b128 v[5:8], v75 offset:16
	s_waitcnt lgkmcnt(1)
	v_lshrrev_b32_e32 v9, 16, v1
	s_waitcnt lgkmcnt(0)
	v_lshrrev_b32_e32 v13, 16, v5
	v_lshrrev_b32_e32 v10, 16, v2
	;; [unrolled: 1-line block ×4, first 2 shown]
	v_cndmask_b32_e32 v17, v1, v9, vcc_lo
	v_cndmask_b32_e32 v18, v5, v13, vcc_lo
	v_cndmask_b32_e64 v21, v1, v9, s4
	v_cmp_eq_u32_e32 vcc_lo, 1, v72
	v_cndmask_b32_e64 v22, v5, v13, s4
	v_cmp_eq_u32_e64 s4, 2, v70
	v_cndmask_b32_e64 v19, v1, v9, s3
	v_cndmask_b32_e64 v20, v5, v13, s3
	v_cndmask_b32_e32 v1, v1, v9, vcc_lo
	v_cmp_eq_u32_e64 s3, 2, v72
	v_cndmask_b32_e32 v5, v5, v13, vcc_lo
	v_cndmask_b32_e64 v9, v17, v2, s4
	v_cmp_eq_u32_e32 vcc_lo, 3, v70
	v_cndmask_b32_e64 v13, v18, v6, s4
	v_cmp_eq_u32_e64 s4, 2, v71
	v_cndmask_b32_e64 v17, v19, v2, s5
	v_cndmask_b32_e64 v18, v20, v6, s5
	v_cmp_eq_u32_e64 s5, 3, v71
	v_cndmask_b32_e64 v1, v1, v2, s3
	v_cndmask_b32_e64 v19, v21, v2, s4
	;; [unrolled: 1-line block ×4, first 2 shown]
	v_cndmask_b32_e32 v5, v9, v10, vcc_lo
	v_cndmask_b32_e32 v6, v13, v14, vcc_lo
	v_cmp_eq_u32_e32 vcc_lo, 3, v72
	v_cndmask_b32_e64 v9, v17, v10, s6
	v_cndmask_b32_e64 v13, v18, v14, s6
	;; [unrolled: 1-line block ×3, first 2 shown]
	v_cmp_eq_u32_e64 s4, 4, v70
	v_cndmask_b32_e32 v1, v1, v10, vcc_lo
	v_cndmask_b32_e32 v2, v2, v14, vcc_lo
	v_cmp_eq_u32_e32 vcc_lo, 4, v73
	v_lshrrev_b32_e32 v15, 16, v7
	v_lshrrev_b32_e32 v16, 16, v8
	v_cndmask_b32_e64 v17, v19, v10, s5
	v_cmp_eq_u32_e64 s3, 4, v72
	v_cndmask_b32_e64 v5, v5, v3, s4
	v_cndmask_b32_e64 v6, v6, v7, s4
	v_cndmask_b32_e32 v9, v9, v3, vcc_lo
	v_cmp_eq_u32_e64 s4, 5, v73
	v_cndmask_b32_e32 v10, v13, v7, vcc_lo
	v_cmp_eq_u32_e32 vcc_lo, 4, v71
	v_cmp_eq_u32_e64 s5, 5, v70
	v_cndmask_b32_e64 v2, v2, v7, s3
	v_cndmask_b32_e64 v9, v9, v11, s4
	;; [unrolled: 1-line block ×3, first 2 shown]
	v_cndmask_b32_e32 v13, v17, v3, vcc_lo
	v_cmp_eq_u32_e64 s4, 5, v71
	v_cndmask_b32_e32 v14, v18, v7, vcc_lo
	v_cndmask_b32_e64 v1, v1, v3, s3
	v_cmp_eq_u32_e32 vcc_lo, 5, v72
	v_lshrrev_b32_e32 v12, 16, v4
	v_cndmask_b32_e64 v13, v13, v11, s4
	v_cndmask_b32_e64 v3, v14, v15, s4
	v_cmp_eq_u32_e64 s4, 6, v72
	v_cndmask_b32_e32 v1, v1, v11, vcc_lo
	v_cndmask_b32_e64 v5, v5, v11, s5
	v_cmp_eq_u32_e64 s6, 6, v70
	v_cndmask_b32_e64 v6, v6, v15, s5
	v_cmp_eq_u32_e64 s5, 6, v73
	v_cmp_eq_u32_e64 s3, 6, v71
	v_cndmask_b32_e64 v1, v1, v4, s4
	v_cndmask_b32_e32 v2, v2, v15, vcc_lo
	v_cmp_eq_u32_e32 vcc_lo, 7, v72
	v_cndmask_b32_e64 v5, v5, v4, s6
	v_cndmask_b32_e64 v9, v9, v4, s5
	;; [unrolled: 1-line block ×3, first 2 shown]
	v_cmp_eq_u32_e64 s6, 7, v70
	v_cndmask_b32_e32 v1, v1, v12, vcc_lo
	v_cndmask_b32_e64 v7, v13, v4, s3
	v_cndmask_b32_e64 v3, v3, v8, s3
	;; [unrolled: 1-line block ×3, first 2 shown]
	v_cmp_eq_u32_e64 s3, 7, v71
	v_cndmask_b32_e64 v4, v10, v8, s5
	v_cndmask_b32_e64 v5, v5, v12, s6
	;; [unrolled: 1-line block ×3, first 2 shown]
	v_cndmask_b32_e32 v2, v2, v16, vcc_lo
	v_cndmask_b32_e64 v7, v7, v12, s3
	v_cndmask_b32_e64 v3, v3, v16, s3
	;; [unrolled: 1-line block ×4, first 2 shown]
	v_perm_b32 v4, v2, v1, 0x5040100
	s_delay_alu instid0(VALU_DEP_4) | instskip(NEXT) | instid1(VALU_DEP_4)
	v_perm_b32 v3, v3, v7, 0x5040100
	v_perm_b32 v2, v8, v9, 0x5040100
	s_delay_alu instid0(VALU_DEP_4)
	v_perm_b32 v1, v6, v5, 0x5040100
	ds_store_b128 v69, v[1:4]
	s_waitcnt lgkmcnt(0)
	s_barrier
	buffer_gl0_inv
	s_and_saveexec_b32 s3, s2
	s_cbranch_execz .LBB1247_2
; %bb.15:
	s_load_b64 s[0:1], s[0:1], 0x68
	v_lshlrev_b32_e32 v0, 10, v0
	s_lshl_b32 s2, s35, 7
	v_lshlrev_b32_e32 v1, 4, v68
	v_mul_lo_u32 v4, s2, v67
	s_mul_i32 s3, s2, s34
	v_and_b32_e32 v0, 0x3800, v0
	s_mul_i32 s2, s3, s8
	s_delay_alu instid0(SALU_CYCLE_1) | instskip(NEXT) | instid1(VALU_DEP_1)
	s_ashr_i32 s3, s2, 31
	v_or3_b32 v0, v0, v66, v1
	s_lshl_b64 s[2:3], s[2:3], 1
	s_delay_alu instid0(VALU_DEP_3)
	v_ashrrev_i32_e32 v5, 31, v4
	ds_load_b128 v[0:3], v0
	v_lshlrev_b64 v[4:5], 1, v[4:5]
	s_waitcnt lgkmcnt(0)
	s_add_u32 s2, s0, s2
	s_addc_u32 s3, s1, s3
	s_lshl_b32 s0, s14, 7
	s_delay_alu instid0(SALU_CYCLE_1) | instskip(NEXT) | instid1(SALU_CYCLE_1)
	s_ashr_i32 s1, s0, 31
	s_lshl_b64 s[0:1], s[0:1], 1
	s_delay_alu instid0(SALU_CYCLE_1) | instskip(SKIP_3) | instid1(VALU_DEP_2)
	s_add_u32 s0, s2, s0
	s_addc_u32 s1, s3, s1
	v_add_co_u32 v4, vcc_lo, s0, v4
	v_add_co_ci_u32_e32 v5, vcc_lo, s1, v5, vcc_lo
	v_add_co_u32 v4, vcc_lo, v4, v65
	s_delay_alu instid0(VALU_DEP_2)
	v_add_co_ci_u32_e32 v5, vcc_lo, 0, v5, vcc_lo
	global_store_b128 v[4:5], v[0:3], off
	s_nop 0
	s_sendmsg sendmsg(MSG_DEALLOC_VGPRS)
	s_endpgm
	.section	.rodata,"a",@progbits
	.p2align	6, 0x0
	.amdhsa_kernel _Z39paged_attention_ll4mi_QKV_mfma16_kernelIDF16_hLN4vllm18Fp8KVCacheDataTypeE1EhLi16ELi128ELi256ELb0ELi2EL8MFMAType0EEvPKT_PKT0_S8_ifPKiSA_SA_iPKfiiiPfSD_PS3_PT2_iSC_SC_
		.amdhsa_group_segment_fixed_size 17472
		.amdhsa_private_segment_fixed_size 0
		.amdhsa_kernarg_size 400
		.amdhsa_user_sgpr_count 13
		.amdhsa_user_sgpr_dispatch_ptr 0
		.amdhsa_user_sgpr_queue_ptr 0
		.amdhsa_user_sgpr_kernarg_segment_ptr 1
		.amdhsa_user_sgpr_dispatch_id 0
		.amdhsa_user_sgpr_private_segment_size 0
		.amdhsa_wavefront_size32 1
		.amdhsa_uses_dynamic_stack 0
		.amdhsa_enable_private_segment 0
		.amdhsa_system_sgpr_workgroup_id_x 1
		.amdhsa_system_sgpr_workgroup_id_y 1
		.amdhsa_system_sgpr_workgroup_id_z 1
		.amdhsa_system_sgpr_workgroup_info 0
		.amdhsa_system_vgpr_workitem_id 0
		.amdhsa_next_free_vgpr 146
		.amdhsa_next_free_sgpr 37
		.amdhsa_reserve_vcc 1
		.amdhsa_float_round_mode_32 0
		.amdhsa_float_round_mode_16_64 0
		.amdhsa_float_denorm_mode_32 3
		.amdhsa_float_denorm_mode_16_64 3
		.amdhsa_dx10_clamp 1
		.amdhsa_ieee_mode 1
		.amdhsa_fp16_overflow 0
		.amdhsa_workgroup_processor_mode 1
		.amdhsa_memory_ordered 1
		.amdhsa_forward_progress 0
		.amdhsa_shared_vgpr_count 0
		.amdhsa_exception_fp_ieee_invalid_op 0
		.amdhsa_exception_fp_denorm_src 0
		.amdhsa_exception_fp_ieee_div_zero 0
		.amdhsa_exception_fp_ieee_overflow 0
		.amdhsa_exception_fp_ieee_underflow 0
		.amdhsa_exception_fp_ieee_inexact 0
		.amdhsa_exception_int_div_zero 0
	.end_amdhsa_kernel
	.section	.text._Z39paged_attention_ll4mi_QKV_mfma16_kernelIDF16_hLN4vllm18Fp8KVCacheDataTypeE1EhLi16ELi128ELi256ELb0ELi2EL8MFMAType0EEvPKT_PKT0_S8_ifPKiSA_SA_iPKfiiiPfSD_PS3_PT2_iSC_SC_,"axG",@progbits,_Z39paged_attention_ll4mi_QKV_mfma16_kernelIDF16_hLN4vllm18Fp8KVCacheDataTypeE1EhLi16ELi128ELi256ELb0ELi2EL8MFMAType0EEvPKT_PKT0_S8_ifPKiSA_SA_iPKfiiiPfSD_PS3_PT2_iSC_SC_,comdat
.Lfunc_end1247:
	.size	_Z39paged_attention_ll4mi_QKV_mfma16_kernelIDF16_hLN4vllm18Fp8KVCacheDataTypeE1EhLi16ELi128ELi256ELb0ELi2EL8MFMAType0EEvPKT_PKT0_S8_ifPKiSA_SA_iPKfiiiPfSD_PS3_PT2_iSC_SC_, .Lfunc_end1247-_Z39paged_attention_ll4mi_QKV_mfma16_kernelIDF16_hLN4vllm18Fp8KVCacheDataTypeE1EhLi16ELi128ELi256ELb0ELi2EL8MFMAType0EEvPKT_PKT0_S8_ifPKiSA_SA_iPKfiiiPfSD_PS3_PT2_iSC_SC_
                                        ; -- End function
	.section	.AMDGPU.csdata,"",@progbits
; Kernel info:
; codeLenInByte = 6428
; NumSgprs: 39
; NumVgprs: 146
; ScratchSize: 0
; MemoryBound: 0
; FloatMode: 240
; IeeeMode: 1
; LDSByteSize: 17472 bytes/workgroup (compile time only)
; SGPRBlocks: 4
; VGPRBlocks: 18
; NumSGPRsForWavesPerEU: 39
; NumVGPRsForWavesPerEU: 146
; Occupancy: 9
; WaveLimiterHint : 1
; COMPUTE_PGM_RSRC2:SCRATCH_EN: 0
; COMPUTE_PGM_RSRC2:USER_SGPR: 13
; COMPUTE_PGM_RSRC2:TRAP_HANDLER: 0
; COMPUTE_PGM_RSRC2:TGID_X_EN: 1
; COMPUTE_PGM_RSRC2:TGID_Y_EN: 1
; COMPUTE_PGM_RSRC2:TGID_Z_EN: 1
; COMPUTE_PGM_RSRC2:TIDIG_COMP_CNT: 0
	.section	.text._Z39paged_attention_ll4mi_QKV_mfma16_kernelIDF16_hLN4vllm18Fp8KVCacheDataTypeE1EhLi16ELi128ELi256ELb0ELi3EL8MFMAType0EEvPKT_PKT0_S8_ifPKiSA_SA_iPKfiiiPfSD_PS3_PT2_iSC_SC_,"axG",@progbits,_Z39paged_attention_ll4mi_QKV_mfma16_kernelIDF16_hLN4vllm18Fp8KVCacheDataTypeE1EhLi16ELi128ELi256ELb0ELi3EL8MFMAType0EEvPKT_PKT0_S8_ifPKiSA_SA_iPKfiiiPfSD_PS3_PT2_iSC_SC_,comdat
	.protected	_Z39paged_attention_ll4mi_QKV_mfma16_kernelIDF16_hLN4vllm18Fp8KVCacheDataTypeE1EhLi16ELi128ELi256ELb0ELi3EL8MFMAType0EEvPKT_PKT0_S8_ifPKiSA_SA_iPKfiiiPfSD_PS3_PT2_iSC_SC_ ; -- Begin function _Z39paged_attention_ll4mi_QKV_mfma16_kernelIDF16_hLN4vllm18Fp8KVCacheDataTypeE1EhLi16ELi128ELi256ELb0ELi3EL8MFMAType0EEvPKT_PKT0_S8_ifPKiSA_SA_iPKfiiiPfSD_PS3_PT2_iSC_SC_
	.globl	_Z39paged_attention_ll4mi_QKV_mfma16_kernelIDF16_hLN4vllm18Fp8KVCacheDataTypeE1EhLi16ELi128ELi256ELb0ELi3EL8MFMAType0EEvPKT_PKT0_S8_ifPKiSA_SA_iPKfiiiPfSD_PS3_PT2_iSC_SC_
	.p2align	8
	.type	_Z39paged_attention_ll4mi_QKV_mfma16_kernelIDF16_hLN4vllm18Fp8KVCacheDataTypeE1EhLi16ELi128ELi256ELb0ELi3EL8MFMAType0EEvPKT_PKT0_S8_ifPKiSA_SA_iPKfiiiPfSD_PS3_PT2_iSC_SC_,@function
_Z39paged_attention_ll4mi_QKV_mfma16_kernelIDF16_hLN4vllm18Fp8KVCacheDataTypeE1EhLi16ELi128ELi256ELb0ELi3EL8MFMAType0EEvPKT_PKT0_S8_ifPKiSA_SA_iPKfiiiPfSD_PS3_PT2_iSC_SC_: ; @_Z39paged_attention_ll4mi_QKV_mfma16_kernelIDF16_hLN4vllm18Fp8KVCacheDataTypeE1EhLi16ELi128ELi256ELb0ELi3EL8MFMAType0EEvPKT_PKT0_S8_ifPKiSA_SA_iPKfiiiPfSD_PS3_PT2_iSC_SC_
; %bb.0:
	s_load_b64 s[4:5], s[0:1], 0x30
	s_mov_b32 s34, s13
	s_waitcnt lgkmcnt(0)
	s_cmp_lg_u64 s[4:5], 0
	s_cselect_b32 s8, -1, 0
	s_ashr_i32 s35, s13, 31
	s_cmp_eq_u64 s[4:5], 0
	s_cbranch_scc1 .LBB1248_3
; %bb.1:
	s_lshl_b64 s[2:3], s[34:35], 2
	s_delay_alu instid0(SALU_CYCLE_1) | instskip(SKIP_4) | instid1(SALU_CYCLE_1)
	s_add_u32 s2, s4, s2
	s_addc_u32 s3, s5, s3
	s_load_b64 s[2:3], s[2:3], 0x0
	s_waitcnt lgkmcnt(0)
	s_sub_i32 s2, s3, s2
	s_cmp_eq_u32 s2, 1
	s_cselect_b32 s2, -1, 0
	s_delay_alu instid0(SALU_CYCLE_1)
	s_and_not1_b32 vcc_lo, exec_lo, s2
	s_cbranch_vccz .LBB1248_4
.LBB1248_2:
	s_nop 0
	s_sendmsg sendmsg(MSG_DEALLOC_VGPRS)
	s_endpgm
.LBB1248_3:
.LBB1248_4:
	s_load_b64 s[2:3], s[0:1], 0x28
	s_lshl_b64 s[6:7], s[34:35], 2
	s_waitcnt lgkmcnt(0)
	s_add_u32 s2, s2, s6
	s_addc_u32 s3, s3, s7
	s_lshl_b32 s12, s14, 8
	s_load_b32 s24, s[2:3], 0x0
	s_waitcnt lgkmcnt(0)
	s_cmp_ge_i32 s12, s24
	s_cbranch_scc1 .LBB1248_2
; %bb.5:
	s_clause 0x1
	s_load_b128 s[20:23], s[0:1], 0x8
	s_load_b64 s[2:3], s[0:1], 0x20
	s_and_not1_b32 vcc_lo, exec_lo, s8
	s_cbranch_vccnz .LBB1248_7
; %bb.6:
	s_add_u32 s4, s4, s6
	s_addc_u32 s5, s5, s7
	s_load_b32 s5, s[4:5], 0x0
	s_branch .LBB1248_8
.LBB1248_7:
	s_mov_b32 s5, s34
.LBB1248_8:
	s_load_b128 s[16:19], s[0:1], 0x48
	v_and_b32_e32 v68, 15, v0
	v_lshrrev_b32_e32 v69, 5, v0
	v_bfe_u32 v66, v0, 4, 1
	v_and_b32_e32 v70, 31, v0
	v_and_b32_e32 v67, 1, v0
	v_lshlrev_b32_e32 v2, 3, v68
	s_mul_i32 s31, s15, 3
	v_lshl_or_b32 v1, v69, 1, v66
	s_mov_b32 s4, exec_lo
	s_delay_alu instid0(VALU_DEP_2) | instskip(NEXT) | instid1(VALU_DEP_2)
	v_lshlrev_b32_e32 v65, 1, v2
	v_cmpx_gt_u32_e32 3, v1
	s_cbranch_execz .LBB1248_10
; %bb.9:
	s_load_b64 s[6:7], s[0:1], 0x0
	v_add_lshl_u32 v2, v1, s31, 7
	s_waitcnt lgkmcnt(0)
	s_mul_hi_i32 s9, s5, s16
	s_mul_i32 s8, s5, s16
	v_lshlrev_b32_e32 v6, 10, v68
	s_lshl_b64 s[8:9], s[8:9], 1
	v_ashrrev_i32_e32 v3, 31, v2
	v_lshlrev_b32_e32 v1, 6, v1
	v_lshlrev_b32_e32 v7, 10, v67
	v_and_b32_e32 v6, 0x3800, v6
	s_delay_alu instid0(VALU_DEP_4) | instskip(NEXT) | instid1(VALU_DEP_2)
	v_lshlrev_b64 v[2:3], 1, v[2:3]
	v_or3_b32 v1, v6, v7, v1
	s_add_u32 s5, s6, s8
	s_addc_u32 s6, s7, s9
	s_delay_alu instid0(VALU_DEP_2) | instskip(NEXT) | instid1(VALU_DEP_3)
	v_add_co_u32 v2, vcc_lo, s5, v2
	v_add_co_ci_u32_e32 v3, vcc_lo, s6, v3, vcc_lo
	s_delay_alu instid0(VALU_DEP_2) | instskip(NEXT) | instid1(VALU_DEP_2)
	v_add_co_u32 v2, vcc_lo, v2, v65
	v_add_co_ci_u32_e32 v3, vcc_lo, 0, v3, vcc_lo
	global_load_b128 v[2:5], v[2:3], off
	s_waitcnt vmcnt(0)
	ds_store_b128 v1, v[2:5]
.LBB1248_10:
	s_or_b32 exec_lo, exec_lo, s4
	v_and_b32_e32 v1, 0xef, v0
	s_waitcnt lgkmcnt(0)
	s_add_i32 s5, s24, 15
	s_clause 0x1
	s_load_b32 s4, s[0:1], 0x38
	s_load_b32 s33, s[0:1], 0x98
	s_ashr_i32 s6, s5, 31
	v_add_nc_u32_e32 v1, s12, v1
	s_lshr_b32 s6, s6, 28
	s_load_b32 s19, s[0:1], 0x1c
	s_add_i32 s5, s5, s6
	s_waitcnt lgkmcnt(0)
	v_ashrrev_i32_e32 v2, 31, v1
	v_or_b32_e32 v3, 16, v1
	s_ashr_i32 s13, s5, 4
	v_cmp_gt_i32_e32 vcc_lo, s24, v1
	s_add_i32 s13, s13, -1
	v_lshrrev_b32_e32 v2, 28, v2
	s_barrier
	buffer_gl0_inv
	s_mul_i32 s15, s15, s18
	v_add_nc_u32_e32 v4, v1, v2
	s_mul_i32 s4, s34, s4
	s_delay_alu instid0(SALU_CYCLE_1) | instskip(NEXT) | instid1(VALU_DEP_1)
	s_ashr_i32 s5, s4, 31
	v_ashrrev_i32_e32 v4, 4, v4
	v_add_nc_u32_e32 v2, v3, v2
	s_lshl_b64 s[4:5], s[4:5], 2
	s_delay_alu instid0(SALU_CYCLE_1) | instskip(NEXT) | instid1(VALU_DEP_2)
	s_add_u32 s16, s2, s4
	v_cndmask_b32_e32 v1, s13, v4, vcc_lo
	s_delay_alu instid0(VALU_DEP_2)
	v_ashrrev_i32_e32 v2, 4, v2
	v_cmp_gt_i32_e32 vcc_lo, s24, v3
	s_addc_u32 s25, s3, s5
	s_ashr_i32 s18, s15, 31
	s_add_u32 s26, s20, s15
	s_addc_u32 s27, s21, s18
	v_cndmask_b32_e32 v3, s13, v2, vcc_lo
	v_ashrrev_i32_e32 v2, 31, v1
	s_lshl_b32 s2, s14, 4
	s_delay_alu instid0(SALU_CYCLE_1) | instskip(NEXT) | instid1(VALU_DEP_2)
	s_ashr_i32 s3, s2, 31
	v_ashrrev_i32_e32 v4, 31, v3
	s_delay_alu instid0(VALU_DEP_2) | instskip(SKIP_1) | instid1(SALU_CYCLE_1)
	v_lshlrev_b64 v[1:2], 2, v[1:2]
	s_lshl_b64 s[2:3], s[2:3], 2
	s_add_u32 s2, s16, s2
	s_delay_alu instid0(VALU_DEP_2) | instskip(SKIP_1) | instid1(VALU_DEP_2)
	v_lshlrev_b64 v[3:4], 2, v[3:4]
	s_addc_u32 s3, s25, s3
	v_add_co_u32 v1, vcc_lo, s16, v1
	v_add_co_ci_u32_e32 v2, vcc_lo, s25, v2, vcc_lo
	s_delay_alu instid0(VALU_DEP_3) | instskip(NEXT) | instid1(VALU_DEP_4)
	v_add_co_u32 v3, vcc_lo, s16, v3
	v_add_co_ci_u32_e32 v4, vcc_lo, s25, v4, vcc_lo
	s_clause 0x1
	global_load_b32 v5, v[1:2], off
	global_load_b32 v7, v[3:4], off
	s_or_b32 s4, s12, 32
	v_lshlrev_b32_e32 v1, 4, v0
	s_ashr_i32 s5, s4, 4
	s_cmp_lt_i32 s4, s24
	s_cselect_b32 s4, s5, s13
	s_delay_alu instid0(VALU_DEP_1) | instskip(SKIP_1) | instid1(SALU_CYCLE_1)
	v_and_b32_e32 v1, 0xf0, v1
	s_ashr_i32 s5, s4, 31
	s_lshl_b64 s[4:5], s[4:5], 2
	s_delay_alu instid0(SALU_CYCLE_1)
	s_add_u32 s4, s16, s4
	s_addc_u32 s5, s25, s5
	s_or_b32 s6, s12, 64
	v_add_co_u32 v1, s26, s26, v1
	s_ashr_i32 s7, s6, 4
	s_cmp_lt_i32 s6, s24
	v_add_co_ci_u32_e64 v2, null, s27, 0, s26
	s_cselect_b32 s6, s7, s13
	s_delay_alu instid0(SALU_CYCLE_1) | instskip(NEXT) | instid1(SALU_CYCLE_1)
	s_ashr_i32 s7, s6, 31
	s_lshl_b64 s[6:7], s[6:7], 2
	s_delay_alu instid0(SALU_CYCLE_1) | instskip(SKIP_2) | instid1(SALU_CYCLE_1)
	s_add_u32 s6, s16, s6
	s_addc_u32 s7, s25, s7
	s_or_b32 s8, s12, 0x60
	s_ashr_i32 s9, s8, 4
	s_cmp_lt_i32 s8, s24
	s_cselect_b32 s8, s9, s13
	s_delay_alu instid0(SALU_CYCLE_1) | instskip(NEXT) | instid1(SALU_CYCLE_1)
	s_ashr_i32 s9, s8, 31
	s_lshl_b64 s[8:9], s[8:9], 2
	s_delay_alu instid0(SALU_CYCLE_1) | instskip(SKIP_2) | instid1(SALU_CYCLE_1)
	s_add_u32 s8, s16, s8
	s_addc_u32 s9, s25, s9
	s_or_b32 s10, s12, 0x80
	s_ashr_i32 s11, s10, 4
	s_cmp_lt_i32 s10, s24
	s_cselect_b32 s10, s11, s13
	s_delay_alu instid0(SALU_CYCLE_1) | instskip(NEXT) | instid1(SALU_CYCLE_1)
	s_ashr_i32 s11, s10, 31
	s_lshl_b64 s[10:11], s[10:11], 2
	s_delay_alu instid0(SALU_CYCLE_1) | instskip(SKIP_2) | instid1(SALU_CYCLE_1)
	s_add_u32 s10, s16, s10
	s_addc_u32 s11, s25, s11
	s_or_b32 s20, s12, 0xa0
	s_ashr_i32 s21, s20, 4
	s_cmp_lt_i32 s20, s24
	s_cselect_b32 s20, s21, s13
	s_delay_alu instid0(SALU_CYCLE_1) | instskip(NEXT) | instid1(SALU_CYCLE_1)
	s_ashr_i32 s21, s20, 31
	s_lshl_b64 s[20:21], s[20:21], 2
	s_delay_alu instid0(SALU_CYCLE_1)
	s_add_u32 s20, s16, s20
	s_addc_u32 s21, s25, s21
	s_clause 0x5
	s_load_b32 s26, s[2:3], 0x0
	s_load_b32 s27, s[4:5], 0x0
	;; [unrolled: 1-line block ×6, first 2 shown]
	s_or_b32 s2, s12, 0xc0
	s_mov_b32 s4, 0
	s_ashr_i32 s3, s2, 4
	s_cmp_lt_i32 s2, s24
	s_mov_b32 s11, s4
	s_cselect_b32 s2, s3, s13
	s_mov_b32 s5, s4
	s_ashr_i32 s3, s2, 31
	s_mov_b32 s6, s4
	s_lshl_b64 s[2:3], s[2:3], 2
	s_mov_b32 s7, s4
	s_add_u32 s2, s16, s2
	s_addc_u32 s3, s25, s3
	s_or_b32 s20, s12, 0xe0
	s_mov_b32 s8, s4
	s_ashr_i32 s21, s20, 4
	s_cmp_lt_i32 s20, s24
	s_mov_b32 s9, s4
	s_cselect_b32 s20, s21, s13
	s_mov_b32 s10, s4
	s_ashr_i32 s21, s20, 31
	v_mov_b32_e32 v118, s11
	v_dual_mov_b32 v112, s5 :: v_dual_mov_b32 v117, s10
	v_dual_mov_b32 v116, s9 :: v_dual_mov_b32 v115, s8
	;; [unrolled: 1-line block ×3, first 2 shown]
	v_mov_b32_e32 v111, s4
	s_lshl_b64 s[4:5], s[20:21], 2
	s_delay_alu instid0(SALU_CYCLE_1)
	s_add_u32 s4, s16, s4
	s_addc_u32 s5, s25, s5
	s_add_u32 s6, s22, s15
	s_addc_u32 s7, s23, s18
	s_waitcnt vmcnt(1)
	v_mad_i64_i32 v[3:4], null, v5, s17, v[1:2]
	s_waitcnt vmcnt(0)
	v_mad_i64_i32 v[5:6], null, v7, s17, v[1:2]
	v_mul_lo_u16 v1, 0x56, v68
	v_lshlrev_b32_e32 v2, 4, v68
	s_clause 0xf
	global_load_b128 v[17:20], v[3:4], off
	global_load_b128 v[21:24], v[3:4], off offset:256
	global_load_b128 v[25:28], v[5:6], off
	global_load_b128 v[29:32], v[5:6], off offset:256
	global_load_b128 v[57:60], v[3:4], off offset:512
	;; [unrolled: 1-line block ×13, first 2 shown]
	v_lshrrev_b16 v1, 8, v1
	s_delay_alu instid0(VALU_DEP_1) | instskip(NEXT) | instid1(VALU_DEP_1)
	v_mul_lo_u16 v1, v1, 3
	v_sub_nc_u16 v1, v68, v1
	s_delay_alu instid0(VALU_DEP_1) | instskip(NEXT) | instid1(VALU_DEP_1)
	v_and_b32_e32 v1, 0xff, v1
	v_lshlrev_b32_e32 v149, 6, v1
	v_lshl_or_b32 v1, v69, 8, v2
	ds_load_b128 v[119:122], v149
	ds_load_b128 v[123:126], v149 offset:1024
	ds_load_b128 v[127:130], v149 offset:2048
	ds_load_b128 v[131:134], v149 offset:3072
	s_clause 0x1
	s_load_b32 s2, s[2:3], 0x0
	s_load_b32 s3, s[4:5], 0x0
	v_add_co_u32 v135, s6, s6, v1
	s_delay_alu instid0(VALU_DEP_1) | instskip(SKIP_1) | instid1(VALU_DEP_1)
	v_add_co_ci_u32_e64 v136, null, s7, 0, s6
	s_waitcnt lgkmcnt(0)
	v_mad_i64_i32 v[1:2], null, s26, s17, v[135:136]
	v_mad_i64_i32 v[3:4], null, s27, s17, v[135:136]
	;; [unrolled: 1-line block ×6, first 2 shown]
	s_clause 0x9
	global_load_b128 v[49:52], v[1:2], off
	global_load_b128 v[53:56], v[1:2], off offset:16
	global_load_b128 v[41:44], v[3:4], off
	global_load_b128 v[45:48], v[3:4], off offset:16
	global_load_b128 v[33:36], v[5:6], off
	global_load_b128 v[37:40], v[5:6], off offset:16
	global_load_b128 v[1:4], v[7:8], off
	global_load_b128 v[5:8], v[7:8], off offset:16
	global_load_b128 v[9:12], v[13:14], off
	global_load_b128 v[13:16], v[13:14], off offset:16
	v_mad_i64_i32 v[145:146], null, s2, s17, v[135:136]
	v_mad_i64_i32 v[147:148], null, s3, s17, v[135:136]
	s_waitcnt vmcnt(24)
	v_wmma_f32_16x16x16_f16 v[135:142], v[17:24], v[119:126], v[111:118]
	s_waitcnt vmcnt(22)
	v_wmma_f32_16x16x16_f16 v[111:118], v[25:32], v[119:126], v[111:118]
	s_clause 0x3
	global_load_b128 v[17:20], v[143:144], off
	global_load_b128 v[21:24], v[143:144], off offset:16
	global_load_b128 v[25:28], v[145:146], off
	global_load_b128 v[29:32], v[145:146], off offset:16
	v_and_b32_e32 v119, 0xe0, v0
	s_waitcnt vmcnt(24)
	v_wmma_f32_16x16x16_f16 v[135:142], v[57:64], v[127:134], v[135:142]
	s_clause 0x1
	global_load_b128 v[57:60], v[147:148], off
	global_load_b128 v[61:64], v[147:148], off offset:16
	s_waitcnt vmcnt(24)
	v_wmma_f32_16x16x16_f16 v[111:118], v[71:78], v[127:134], v[111:118]
	ds_load_b128 v[71:74], v149 offset:4096
	ds_load_b128 v[75:78], v149 offset:5120
	v_add_nc_u32_e32 v128, s12, v119
	ds_load_b128 v[119:122], v149 offset:6144
	ds_load_b128 v[123:126], v149 offset:7168
	v_mbcnt_lo_u32_b32 v127, -1, 0
	s_waitcnt vmcnt(0) lgkmcnt(0)
	s_barrier
	v_or_b32_e32 v128, v128, v66
	buffer_gl0_inv
	v_xor_b32_e32 v129, 16, v127
	v_or_b32_e32 v130, 4, v128
	v_or_b32_e32 v131, 6, v128
	s_delay_alu instid0(VALU_DEP_3) | instskip(SKIP_4) | instid1(VALU_DEP_4)
	v_cmp_gt_i32_e32 vcc_lo, 32, v129
	v_or_b32_e32 v132, 8, v128
	v_or_b32_e32 v133, 10, v128
	v_cmp_gt_i32_e64 s3, s24, v130
	v_cmp_gt_i32_e64 s4, s24, v131
	;; [unrolled: 1-line block ×3, first 2 shown]
	v_wmma_f32_16x16x16_f16 v[135:142], v[79:86], v[71:78], v[135:142]
	v_wmma_f32_16x16x16_f16 v[111:118], v[87:94], v[71:78], v[111:118]
	v_or_b32_e32 v79, 12, v128
	v_or_b32_e32 v80, 14, v128
	v_cmp_gt_i32_e64 s6, s24, v133
	v_wmma_f32_16x16x16_f16 v[135:142], v[95:102], v[119:126], v[135:142]
	v_wmma_f32_16x16x16_f16 v[111:118], v[103:110], v[119:126], v[111:118]
	v_cndmask_b32_e32 v127, v127, v129, vcc_lo
	v_or_b32_e32 v129, 2, v128
	v_cmp_gt_i32_e32 vcc_lo, s24, v128
	s_delay_alu instid0(VALU_DEP_4) | instskip(SKIP_1) | instid1(VALU_DEP_4)
	v_dual_mul_f32 v87, s19, v136 :: v_dual_mul_f32 v94, s19, v113
	v_mul_f32_e32 v88, s19, v135
	v_cmp_gt_i32_e64 s2, s24, v129
	v_mul_f32_e32 v78, s19, v138
	v_mul_f32_e32 v86, s19, v137
	;; [unrolled: 1-line block ×3, first 2 shown]
	v_cndmask_b32_e32 v88, 0xff7fffff, v88, vcc_lo
	v_cndmask_b32_e64 v87, 0xff7fffff, v87, s2
	v_dual_mul_f32 v77, s19, v139 :: v_dual_mul_f32 v90, s19, v117
	v_cndmask_b32_e64 v86, 0xff7fffff, v86, s3
	v_cndmask_b32_e64 v78, 0xff7fffff, v78, s4
	s_delay_alu instid0(VALU_DEP_4)
	v_max3_f32 v87, v88, 0xff7fffff, v87
	v_or_b32_e32 v81, 16, v128
	v_or_b32_e32 v82, 18, v128
	v_dual_mul_f32 v74, s19, v142 :: v_dual_mul_f32 v75, s19, v141
	v_mul_f32_e32 v96, s19, v111
	v_cndmask_b32_e64 v77, 0xff7fffff, v77, s5
	v_cndmask_b32_e64 v76, 0xff7fffff, v76, s6
	v_max3_f32 v78, v87, v86, v78
	v_cmp_gt_i32_e64 s7, s24, v79
	v_cmp_gt_i32_e64 s8, s24, v80
	v_or_b32_e32 v83, 20, v128
	v_or_b32_e32 v84, 22, v128
	v_mul_f32_e32 v95, s19, v112
	v_cndmask_b32_e64 v75, 0xff7fffff, v75, s7
	v_cndmask_b32_e64 v74, 0xff7fffff, v74, s8
	v_max3_f32 v76, v78, v77, v76
	v_cmp_gt_i32_e64 s9, s24, v81
	v_cmp_gt_i32_e64 s10, s24, v82
	v_or_b32_e32 v85, 24, v128
	v_or_b32_e32 v71, 26, v128
	;; [unrolled: 8-line block ×3, first 2 shown]
	v_dual_mul_f32 v91, s19, v116 :: v_dual_mul_f32 v92, s19, v115
	v_cndmask_b32_e64 v75, 0xff7fffff, v94, s11
	v_cndmask_b32_e64 v76, 0xff7fffff, v93, s12
	v_max3_f32 v74, v74, v77, v78
	v_cmp_gt_i32_e64 s13, s24, v85
	v_cmp_gt_i32_e64 s15, s24, v71
	v_mul_f32_e32 v89, s19, v118
	v_cmp_gt_i32_e64 s16, s24, v72
	v_max3_f32 v74, v74, v75, v76
	v_cndmask_b32_e64 v77, 0xff7fffff, v92, s13
	v_cndmask_b32_e64 v71, 0xff7fffff, v91, s15
	v_cmp_gt_i32_e64 s17, s24, v73
	v_cndmask_b32_e64 v72, 0xff7fffff, v90, s16
	s_delay_alu instid0(VALU_DEP_3) | instskip(SKIP_1) | instid1(VALU_DEP_4)
	v_max3_f32 v71, v74, v77, v71
	v_lshlrev_b32_e32 v74, 2, v127
	v_cndmask_b32_e64 v73, 0xff7fffff, v89, s17
	s_delay_alu instid0(VALU_DEP_1) | instskip(SKIP_3) | instid1(VALU_DEP_1)
	v_max3_f32 v71, v71, v72, v73
	ds_bpermute_b32 v72, v74, v71
	s_waitcnt lgkmcnt(0)
	v_max_f32_e32 v72, v72, v72
	v_max_f32_e32 v71, v71, v72
	s_delay_alu instid0(VALU_DEP_1) | instskip(SKIP_4) | instid1(VALU_DEP_4)
	v_fma_f32 v72, s19, v135, -v71
	v_fma_f32 v73, s19, v136, -v71
	;; [unrolled: 1-line block ×5, first 2 shown]
	v_dual_mul_f32 v72, 0x3fb8aa3b, v72 :: v_dual_mul_f32 v73, 0x3fb8aa3b, v73
	s_delay_alu instid0(VALU_DEP_3) | instskip(SKIP_1) | instid1(VALU_DEP_3)
	v_dual_mul_f32 v75, 0x3fb8aa3b, v75 :: v_dual_mul_f32 v76, 0x3fb8aa3b, v76
	v_fma_f32 v80, s19, v141, -v71
	v_exp_f32_e32 v72, v72
	s_delay_alu instid0(VALU_DEP_3) | instskip(NEXT) | instid1(VALU_DEP_2)
	v_exp_f32_e32 v73, v73
	v_exp_f32_e32 v75, v75
	;; [unrolled: 1-line block ×3, first 2 shown]
	v_mul_f32_e32 v82, 0x3fb8aa3b, v80
	s_delay_alu instid0(VALU_DEP_1) | instskip(SKIP_4) | instid1(TRANS32_DEP_3)
	v_exp_f32_e32 v84, v82
	v_cndmask_b32_e32 v79, 0, v72, vcc_lo
	v_fma_f32 v72, s19, v140, -v71
	v_mul_f32_e32 v77, 0x3fb8aa3b, v77
	v_cndmask_b32_e64 v78, 0, v73, s2
	v_cndmask_b32_e64 v81, 0, v75, s3
	s_delay_alu instid0(VALU_DEP_4) | instskip(NEXT) | instid1(VALU_DEP_4)
	v_dual_add_f32 v73, 0, v79 :: v_dual_mul_f32 v72, 0x3fb8aa3b, v72
	v_exp_f32_e32 v77, v77
	v_cndmask_b32_e64 v80, 0, v76, s4
	s_delay_alu instid0(TRANS32_DEP_2) | instskip(NEXT) | instid1(VALU_DEP_3)
	v_cndmask_b32_e64 v85, 0, v84, s7
	v_add_f32_e32 v73, v73, v78
	v_exp_f32_e32 v72, v72
	v_cmp_gt_u32_e64 s2, 16, v70
	s_delay_alu instid0(VALU_DEP_2) | instskip(NEXT) | instid1(TRANS32_DEP_2)
	v_add_f32_e32 v73, v73, v81
	v_cndmask_b32_e64 v83, 0, v77, s5
	s_delay_alu instid0(VALU_DEP_2) | instskip(SKIP_3) | instid1(VALU_DEP_1)
	v_add_f32_e32 v73, v73, v80
	s_waitcnt_depctr 0xfff
	v_cndmask_b32_e64 v82, 0, v72, s6
	v_add_f32_e32 v72, v73, v83
	v_add_f32_e32 v72, v72, v82
	s_delay_alu instid0(VALU_DEP_1)
	v_add_f32_e32 v72, v72, v85
	v_fma_f32 v76, s19, v111, -v71
	v_fma_f32 v75, s19, v142, -v71
	;; [unrolled: 1-line block ×5, first 2 shown]
	s_delay_alu instid0(VALU_DEP_4) | instskip(NEXT) | instid1(VALU_DEP_3)
	v_dual_mul_f32 v76, 0x3fb8aa3b, v76 :: v_dual_mul_f32 v75, 0x3fb8aa3b, v75
	v_mul_f32_e32 v86, 0x3fb8aa3b, v86
	s_delay_alu instid0(VALU_DEP_2) | instskip(NEXT) | instid1(VALU_DEP_2)
	v_exp_f32_e32 v76, v76
	v_exp_f32_e32 v75, v75
	s_delay_alu instid0(VALU_DEP_1) | instskip(NEXT) | instid1(TRANS32_DEP_3)
	v_exp_f32_e32 v88, v86
	v_cndmask_b32_e64 v87, 0, v76, s9
	v_fma_f32 v76, s19, v116, -v71
	v_mul_f32_e32 v77, 0x3fb8aa3b, v77
	s_waitcnt_depctr 0xfff
	v_cndmask_b32_e64 v84, 0, v75, s8
	v_fma_f32 v75, s19, v115, -v71
	v_cndmask_b32_e64 v88, 0, v88, s12
	v_mul_f32_e32 v76, 0x3fb8aa3b, v76
	v_exp_f32_e32 v77, v77
	v_add_f32_e32 v72, v72, v84
	s_delay_alu instid0(VALU_DEP_2) | instskip(NEXT) | instid1(VALU_DEP_1)
	v_exp_f32_e32 v76, v76
	v_add_f32_e32 v72, v72, v87
	s_waitcnt_depctr 0xfff
	v_cndmask_b32_e64 v86, 0, v77, s10
	v_mul_f32_e32 v73, 0x3fb8aa3b, v73
	v_fma_f32 v77, s19, v117, -v71
	v_cndmask_b32_e64 v90, 0, v76, s15
	s_delay_alu instid0(VALU_DEP_4) | instskip(NEXT) | instid1(VALU_DEP_4)
	v_add_f32_e32 v72, v72, v86
	v_exp_f32_e32 v73, v73
	s_waitcnt_depctr 0xfff
	v_cndmask_b32_e64 v89, 0, v73, s11
	s_delay_alu instid0(VALU_DEP_1) | instskip(NEXT) | instid1(VALU_DEP_1)
	v_dual_mul_f32 v75, 0x3fb8aa3b, v75 :: v_dual_add_f32 v72, v72, v89
	v_exp_f32_e32 v75, v75
	v_mul_f32_e32 v73, 0x3fb8aa3b, v77
	v_fma_f32 v77, s19, v118, -v71
	s_delay_alu instid0(VALU_DEP_3) | instskip(NEXT) | instid1(VALU_DEP_3)
	v_add_f32_e32 v72, v72, v88
	v_exp_f32_e32 v73, v73
	s_waitcnt_depctr 0xfff
	v_cndmask_b32_e64 v91, 0, v75, s13
	s_delay_alu instid0(VALU_DEP_1) | instskip(NEXT) | instid1(VALU_DEP_1)
	v_dual_mul_f32 v75, 0x3fb8aa3b, v77 :: v_dual_add_f32 v72, v72, v91
	v_exp_f32_e32 v75, v75
	v_cndmask_b32_e64 v93, 0, v73, s16
	s_delay_alu instid0(VALU_DEP_2) | instskip(NEXT) | instid1(VALU_DEP_1)
	v_add_f32_e32 v72, v72, v90
	v_add_f32_e32 v72, v72, v93
	s_waitcnt_depctr 0xfff
	v_cndmask_b32_e64 v92, 0, v75, s17
	s_delay_alu instid0(VALU_DEP_1)
	v_add_f32_e32 v72, v72, v92
	ds_bpermute_b32 v73, v74, v72
	s_and_saveexec_b32 s3, s2
	s_cbranch_execz .LBB1248_12
; %bb.11:
	v_mul_u32_u24_e32 v70, 0x44, v69
	s_waitcnt lgkmcnt(0)
	v_add_f32_e32 v72, v72, v73
	s_delay_alu instid0(VALU_DEP_2) | instskip(NEXT) | instid1(VALU_DEP_1)
	v_lshl_add_u32 v70, v68, 2, v70
	v_add_nc_u32_e32 v70, 0x4000, v70
	ds_store_2addr_b32 v70, v71, v72 offset1:136
.LBB1248_12:
	s_or_b32 exec_lo, exec_lo, s3
	v_lshlrev_b32_e32 v70, 2, v68
	s_load_b32 s35, s[0:1], 0x94
	s_waitcnt lgkmcnt(0)
	s_barrier
	buffer_gl0_inv
	v_add_nc_u32_e32 v98, 0x4000, v70
	v_cmp_eq_u32_e32 vcc_lo, 1, v69
	v_cmp_eq_u32_e64 s3, 2, v69
	v_cmp_eq_u32_e64 s4, 3, v69
	v_cmp_eq_u32_e64 s5, 4, v69
	ds_load_2addr_b32 v[70:71], v98 offset1:17
	ds_load_2addr_b32 v[72:73], v98 offset0:34 offset1:51
	ds_load_2addr_b32 v[74:75], v98 offset0:68 offset1:85
	;; [unrolled: 1-line block ×3, first 2 shown]
	v_cmp_eq_u32_e64 s6, 5, v69
	v_cmp_eq_u32_e64 s7, 7, v69
	s_waitcnt lgkmcnt(3)
	v_max3_f32 v76, v70, 0xff7fffff, v71
	s_waitcnt lgkmcnt(2)
	s_delay_alu instid0(VALU_DEP_1) | instskip(SKIP_1) | instid1(VALU_DEP_1)
	v_max3_f32 v76, v76, v72, v73
	s_waitcnt lgkmcnt(1)
	v_max3_f32 v76, v76, v74, v75
	s_waitcnt lgkmcnt(0)
	s_delay_alu instid0(VALU_DEP_1) | instskip(NEXT) | instid1(VALU_DEP_1)
	v_max3_f32 v76, v76, v94, v95
	v_sub_f32_e32 v77, v71, v76
	ds_load_2addr_b32 v[96:97], v98 offset0:136 offset1:153
	v_sub_f32_e32 v74, v74, v76
	v_sub_f32_e32 v70, v70, v76
	;; [unrolled: 1-line block ×3, first 2 shown]
	v_dual_sub_f32 v72, v72, v76 :: v_dual_mul_f32 v77, 0x3fb8aa3b, v77
	s_delay_alu instid0(VALU_DEP_4) | instskip(NEXT) | instid1(VALU_DEP_4)
	v_mul_f32_e32 v103, 0x3fb8aa3b, v74
	v_mul_f32_e32 v99, 0x3fb8aa3b, v70
	ds_load_2addr_b32 v[70:71], v98 offset0:170 offset1:187
	v_dual_mul_f32 v101, 0x3fb8aa3b, v72 :: v_dual_mul_f32 v94, 0x3fb8aa3b, v94
	v_exp_f32_e32 v102, v77
	v_exp_f32_e32 v99, v99
	s_delay_alu instid0(VALU_DEP_1) | instskip(NEXT) | instid1(VALU_DEP_1)
	v_exp_f32_e32 v101, v101
	v_exp_f32_e32 v94, v94
	s_waitcnt lgkmcnt(1)
	s_delay_alu instid0(TRANS32_DEP_3)
	v_fma_f32 v77, v99, v96, 0
	v_sub_f32_e32 v100, v73, v76
	ds_load_2addr_b32 v[72:73], v98 offset0:204 offset1:221
	v_fmac_f32_e32 v77, v102, v97
	v_exp_f32_e32 v97, v103
	s_waitcnt lgkmcnt(1)
	s_delay_alu instid0(VALU_DEP_1)
	v_dual_fmac_f32 v77, v101, v70 :: v_dual_sub_f32 v96, v75, v76
	ds_load_2addr_b32 v[74:75], v98 offset0:238 offset1:255
	v_sub_f32_e32 v70, v95, v76
	s_waitcnt lgkmcnt(0)
	s_barrier
	v_mul_f32_e32 v96, 0x3fb8aa3b, v96
	buffer_gl0_inv
	v_exp_f32_e32 v95, v96
	v_mul_f32_e32 v100, 0x3fb8aa3b, v100
	s_delay_alu instid0(VALU_DEP_1) | instskip(SKIP_3) | instid1(VALU_DEP_2)
	v_exp_f32_e32 v100, v100
	s_waitcnt_depctr 0xfff
	v_dual_fmac_f32 v77, v100, v71 :: v_dual_mul_f32 v70, 0x3fb8aa3b, v70
	v_cndmask_b32_e32 v71, v99, v102, vcc_lo
	v_fmac_f32_e32 v77, v97, v72
	s_delay_alu instid0(VALU_DEP_3) | instskip(NEXT) | instid1(VALU_DEP_1)
	v_exp_f32_e32 v96, v70
	v_fmac_f32_e32 v77, v95, v73
	s_delay_alu instid0(VALU_DEP_1) | instskip(SKIP_2) | instid1(VALU_DEP_1)
	v_fmac_f32_e32 v77, v94, v74
	s_waitcnt_depctr 0xfff
	v_fmac_f32_e32 v77, v96, v75
	v_add_f32_e32 v74, 0x358637bd, v77
	s_delay_alu instid0(VALU_DEP_1) | instskip(SKIP_1) | instid1(VALU_DEP_2)
	v_div_scale_f32 v98, null, v74, v74, 1.0
	v_div_scale_f32 v99, vcc_lo, 1.0, v74, 1.0
	v_rcp_f32_e32 v103, v98
	s_waitcnt_depctr 0xfff
	v_fma_f32 v70, -v98, v103, 1.0
	s_delay_alu instid0(VALU_DEP_1) | instskip(SKIP_2) | instid1(VALU_DEP_2)
	v_fmac_f32_e32 v103, v70, v103
	v_cndmask_b32_e64 v70, v71, v101, s3
	v_cmp_eq_u32_e64 s3, 6, v69
	v_cndmask_b32_e64 v71, v70, v100, s4
	s_delay_alu instid0(VALU_DEP_4) | instskip(NEXT) | instid1(VALU_DEP_2)
	v_dual_mul_f32 v101, v99, v103 :: v_dual_lshlrev_b32 v70, 2, v66
	v_cndmask_b32_e64 v71, v71, v97, s5
	s_delay_alu instid0(VALU_DEP_2) | instskip(NEXT) | instid1(VALU_DEP_3)
	v_or_b32_e32 v72, 1, v70
	v_fma_f32 v100, -v98, v101, v99
	v_cmp_eq_u32_e64 s4, 1, v70
	v_cmp_eq_u32_e64 s5, 2, v70
	v_cndmask_b32_e64 v95, v71, v95, s6
	v_or_b32_e32 v71, 3, v70
	v_fmac_f32_e32 v101, v100, v103
	v_cmp_eq_u32_e64 s9, 1, v72
	v_cmp_eq_u32_e64 s12, 2, v72
	v_cndmask_b32_e64 v94, v95, v94, s3
	v_cmp_eq_u32_e64 s11, 1, v71
	v_fma_f32 v97, -v98, v101, v99
	v_cmp_eq_u32_e64 s16, 2, v71
	v_cmp_eq_u32_e64 s13, 3, v72
	v_cndmask_b32_e64 v94, v94, v96, s7
	v_cmp_eq_u32_e64 s18, 3, v71
	v_div_fmas_f32 v95, v97, v103, v101
	v_cmp_eq_u32_e32 vcc_lo, 3, v70
	v_cmp_eq_u32_e64 s3, 4, v70
	v_cmp_eq_u32_e64 s19, 4, v72
	;; [unrolled: 1-line block ×3, first 2 shown]
	v_div_fixup_f32 v95, v95, v74, 1.0
	v_lshlrev_b32_e32 v73, 6, v68
	v_cmp_eq_u32_e64 s6, 5, v70
	v_cmp_eq_u32_e64 s20, 5, v72
	;; [unrolled: 1-line block ×3, first 2 shown]
	v_mul_f32_e32 v102, v94, v95
	v_lshl_or_b32 v75, v69, 11, v73
	v_or_b32_e32 v69, 2, v70
	v_cmp_eq_u32_e64 s25, 6, v72
	v_cmp_eq_u32_e64 s27, 6, v71
	v_fma_mixlo_f16 v94, v102, v79, 0
	v_fma_mixlo_f16 v95, v102, v81, 0
	;; [unrolled: 1-line block ×8, first 2 shown]
	v_lshl_or_b32 v74, v66, 4, v75
	v_fma_mixhi_f16 v94, v102, v78, 0
	v_fma_mixhi_f16 v95, v102, v80, 0
	;; [unrolled: 1-line block ×8, first 2 shown]
	ds_store_b128 v74, v[94:97]
	ds_store_b128 v74, v[98:101] offset:1024
	s_waitcnt lgkmcnt(0)
	s_barrier
	buffer_gl0_inv
	ds_load_b128 v[78:81], v75
	ds_load_b128 v[82:85], v75 offset:16
	ds_load_b128 v[86:89], v75 offset:1024
	;; [unrolled: 1-line block ×3, first 2 shown]
	v_cmp_eq_u32_e64 s10, 1, v69
	v_cmp_eq_u32_e64 s15, 2, v69
	;; [unrolled: 1-line block ×11, first 2 shown]
	s_waitcnt lgkmcnt(3)
	v_lshrrev_b32_e32 v94, 16, v78
	s_waitcnt lgkmcnt(2)
	v_lshrrev_b32_e32 v98, 16, v82
	s_waitcnt lgkmcnt(1)
	v_lshrrev_b32_e32 v102, 16, v86
	s_waitcnt lgkmcnt(0)
	v_lshrrev_b32_e32 v106, 16, v90
	v_lshrrev_b32_e32 v95, 16, v79
	v_cndmask_b32_e64 v110, v78, v94, s4
	v_cndmask_b32_e64 v111, v82, v98, s4
	;; [unrolled: 1-line block ×8, first 2 shown]
	v_lshrrev_b32_e32 v99, 16, v83
	v_cndmask_b32_e64 v94, v86, v102, s4
	v_cndmask_b32_e64 v98, v90, v106, s4
	;; [unrolled: 1-line block ×15, first 2 shown]
	v_lshrrev_b32_e32 v103, 16, v87
	v_lshrrev_b32_e32 v107, 16, v91
	v_cndmask_b32_e64 v113, v115, v83, s15
	v_cndmask_b32_e64 v82, v94, v87, s5
	;; [unrolled: 1-line block ×7, first 2 shown]
	v_cndmask_b32_e32 v90, v102, v95, vcc_lo
	v_cndmask_b32_e32 v102, v106, v99, vcc_lo
	v_cndmask_b32_e64 v106, v110, v95, s13
	v_cndmask_b32_e64 v110, v111, v99, s13
	;; [unrolled: 1-line block ×4, first 2 shown]
	v_lshrrev_b32_e32 v96, 16, v80
	v_lshrrev_b32_e32 v100, 16, v84
	v_cndmask_b32_e64 v111, v112, v95, s17
	v_cndmask_b32_e64 v112, v113, v99, s17
	v_cndmask_b32_e32 v82, v82, v103, vcc_lo
	v_cndmask_b32_e32 v83, v83, v107, vcc_lo
	v_cndmask_b32_e64 v94, v94, v103, s13
	v_cndmask_b32_e64 v90, v90, v80, s3
	;; [unrolled: 1-line block ×7, first 2 shown]
	v_lshrrev_b32_e32 v104, 16, v88
	v_cndmask_b32_e64 v106, v111, v80, s21
	v_cndmask_b32_e64 v110, v112, v84, s21
	;; [unrolled: 1-line block ×11, first 2 shown]
	v_lshrrev_b32_e32 v97, 16, v81
	v_lshrrev_b32_e32 v101, 16, v85
	v_cndmask_b32_e64 v99, v106, v96, s23
	v_cndmask_b32_e64 v102, v110, v100, s23
	;; [unrolled: 1-line block ×7, first 2 shown]
	v_lshrrev_b32_e32 v105, 16, v89
	v_cndmask_b32_e64 v80, v80, v104, s6
	v_cndmask_b32_e64 v84, v84, v81, s7
	;; [unrolled: 1-line block ×16, first 2 shown]
	v_perm_b32 v81, v79, v78, 0x5040100
	v_perm_b32 v79, v95, v85, 0x5040100
	v_cndmask_b32_e64 v78, v119, v91, s15
	v_cndmask_b32_e64 v85, v117, v91, s12
	;; [unrolled: 1-line block ×3, first 2 shown]
	v_perm_b32 v80, v94, v90, 0x5040100
	v_cndmask_b32_e64 v90, v98, v103, s17
	v_cndmask_b32_e64 v86, v86, v103, s18
	;; [unrolled: 1-line block ×5, first 2 shown]
	v_lshrrev_b32_e32 v108, 16, v92
	v_cndmask_b32_e64 v90, v90, v88, s21
	v_cndmask_b32_e64 v86, v86, v88, s22
	;; [unrolled: 1-line block ×11, first 2 shown]
	v_lshrrev_b32_e32 v109, 16, v93
	v_cndmask_b32_e64 v82, v82, v93, s7
	v_cndmask_b32_e64 v88, v88, v89, s26
	v_cndmask_b32_e64 v86, v86, v89, s27
	v_cndmask_b32_e64 v87, v87, v93, s27
	v_cndmask_b32_e64 v78, v78, v93, s26
	v_cndmask_b32_e64 v85, v85, v93, s25
	v_cndmask_b32_e64 v88, v88, v105, s28
	v_cndmask_b32_e64 v86, v86, v105, s29
	v_cndmask_b32_e64 v87, v87, v109, s29
	v_cndmask_b32_e64 v89, v78, v109, s28
	v_cndmask_b32_e64 v90, v85, v109, s30
	v_cndmask_b32_e64 v82, v82, v109, s8
	v_perm_b32 v78, v84, v83, 0x5040100
	v_perm_b32 v85, v87, v86, 0x5040100
	;; [unrolled: 1-line block ×5, first 2 shown]
	s_mul_i32 s8, s33, 3
	s_mov_b32 s3, exec_lo
	ds_store_b128 v74, v[78:81]
	ds_store_b128 v74, v[82:85] offset:1024
	v_cmpx_gt_u32_e32 3, v0
	s_cbranch_execz .LBB1248_14
; %bb.13:
	s_mul_i32 s4, s8, s34
	s_delay_alu instid0(SALU_CYCLE_1) | instskip(SKIP_1) | instid1(VALU_DEP_1)
	v_add3_u32 v68, s4, s31, v68
	s_load_b128 s[4:7], s[0:1], 0x58
	v_mad_u64_u32 v[78:79], null, v68, s35, s[14:15]
	s_delay_alu instid0(VALU_DEP_1) | instskip(NEXT) | instid1(VALU_DEP_1)
	v_ashrrev_i32_e32 v79, 31, v78
	v_lshlrev_b64 v[78:79], 2, v[78:79]
	s_waitcnt lgkmcnt(0)
	s_delay_alu instid0(VALU_DEP_1) | instskip(NEXT) | instid1(VALU_DEP_2)
	v_add_co_u32 v80, vcc_lo, s6, v78
	v_add_co_ci_u32_e32 v81, vcc_lo, s7, v79, vcc_lo
	v_add_co_u32 v78, vcc_lo, s4, v78
	v_add_co_ci_u32_e32 v79, vcc_lo, s5, v79, vcc_lo
	global_store_b32 v[80:81], v76, off
	global_store_b32 v[78:79], v77, off
.LBB1248_14:
	s_or_b32 exec_lo, exec_lo, s3
	s_waitcnt lgkmcnt(0)
	s_waitcnt_vscnt null, 0x0
	s_barrier
	buffer_gl0_inv
	ds_load_b128 v[84:87], v73
	ds_load_b128 v[88:91], v73 offset:16
	ds_load_b128 v[96:99], v73 offset:2064
	;; [unrolled: 1-line block ×5, first 2 shown]
	v_cmp_eq_u32_e32 vcc_lo, 1, v70
	v_mov_b32_e32 v76, 0
	ds_load_b128 v[112:115], v73 offset:6160
	ds_load_b128 v[108:111], v73 offset:6144
	;; [unrolled: 1-line block ×4, first 2 shown]
	v_cmp_eq_u32_e64 s4, 1, v69
	v_cmp_eq_u32_e64 s3, 1, v72
	;; [unrolled: 1-line block ×3, first 2 shown]
	v_mov_b32_e32 v77, v76
	v_mov_b32_e32 v78, v76
	;; [unrolled: 1-line block ×7, first 2 shown]
	v_cmp_eq_u32_e64 s6, 3, v72
	v_cmp_eq_u32_e64 s7, 7, v72
	s_waitcnt lgkmcnt(8)
	s_delay_alu instid0(VALU_DEP_3)
	v_wmma_f32_16x16x16_f16 v[76:83], v[49:56], v[84:91], v[76:83]
	ds_load_b128 v[53:56], v73 offset:10256
	ds_load_b128 v[49:52], v73 offset:10240
	s_waitcnt lgkmcnt(8)
	v_wmma_f32_16x16x16_f16 v[76:83], v[41:48], v[92:99], v[76:83]
	ds_load_b128 v[45:48], v73 offset:12304
	ds_load_b128 v[41:44], v73 offset:12288
	s_waitcnt lgkmcnt(8)
	;; [unrolled: 4-line block ×3, first 2 shown]
	s_barrier
	buffer_gl0_inv
	v_wmma_f32_16x16x16_f16 v[76:83], v[1:8], v[108:115], v[76:83]
	s_delay_alu instid0(VALU_DEP_1) | instskip(NEXT) | instid1(VALU_DEP_1)
	v_wmma_f32_16x16x16_f16 v[76:83], v[9:16], v[116:123], v[76:83]
	v_wmma_f32_16x16x16_f16 v[76:83], v[17:24], v[49:56], v[76:83]
	s_delay_alu instid0(VALU_DEP_1) | instskip(NEXT) | instid1(VALU_DEP_1)
	v_wmma_f32_16x16x16_f16 v[76:83], v[25:32], v[41:48], v[76:83]
	v_wmma_f32_16x16x16_f16 v[76:83], v[57:64], v[33:40], v[76:83]
	s_delay_alu instid0(VALU_DEP_1) | instskip(NEXT) | instid1(VALU_DEP_2)
	v_cvt_f16_f32_e32 v1, v76
	v_cvt_f16_f32_e32 v2, v77
	s_delay_alu instid0(VALU_DEP_3) | instskip(NEXT) | instid1(VALU_DEP_4)
	v_cvt_f16_f32_e32 v3, v78
	v_cvt_f16_f32_e32 v4, v79
	;; [unrolled: 1-line block ×6, first 2 shown]
	v_pack_b32_f16 v1, v1, v2
	v_pack_b32_f16 v2, v3, v4
	;; [unrolled: 1-line block ×3, first 2 shown]
	s_delay_alu instid0(VALU_DEP_4)
	v_pack_b32_f16 v4, v7, v8
	ds_store_b128 v74, v[1:4]
	s_waitcnt lgkmcnt(0)
	s_barrier
	buffer_gl0_inv
	ds_load_b128 v[1:4], v75
	ds_load_b128 v[5:8], v75 offset:16
	s_waitcnt lgkmcnt(1)
	v_lshrrev_b32_e32 v9, 16, v1
	s_waitcnt lgkmcnt(0)
	v_lshrrev_b32_e32 v13, 16, v5
	v_lshrrev_b32_e32 v10, 16, v2
	;; [unrolled: 1-line block ×4, first 2 shown]
	v_cndmask_b32_e32 v17, v1, v9, vcc_lo
	v_cndmask_b32_e32 v18, v5, v13, vcc_lo
	v_cndmask_b32_e64 v21, v1, v9, s4
	v_cmp_eq_u32_e32 vcc_lo, 1, v71
	v_cndmask_b32_e64 v22, v5, v13, s4
	v_cmp_eq_u32_e64 s4, 2, v70
	v_cndmask_b32_e64 v19, v1, v9, s3
	v_cndmask_b32_e64 v20, v5, v13, s3
	v_cndmask_b32_e32 v1, v1, v9, vcc_lo
	v_cmp_eq_u32_e64 s3, 2, v71
	v_cndmask_b32_e32 v5, v5, v13, vcc_lo
	v_cndmask_b32_e64 v9, v17, v2, s4
	v_cmp_eq_u32_e32 vcc_lo, 3, v70
	v_cndmask_b32_e64 v13, v18, v6, s4
	v_cmp_eq_u32_e64 s4, 2, v69
	v_cndmask_b32_e64 v17, v19, v2, s5
	v_cndmask_b32_e64 v18, v20, v6, s5
	v_cmp_eq_u32_e64 s5, 3, v69
	v_cndmask_b32_e64 v1, v1, v2, s3
	v_cndmask_b32_e64 v19, v21, v2, s4
	;; [unrolled: 1-line block ×4, first 2 shown]
	v_cndmask_b32_e32 v5, v9, v10, vcc_lo
	v_cndmask_b32_e32 v6, v13, v14, vcc_lo
	v_cmp_eq_u32_e32 vcc_lo, 3, v71
	v_cndmask_b32_e64 v9, v17, v10, s6
	v_cndmask_b32_e64 v13, v18, v14, s6
	v_cndmask_b32_e64 v18, v20, v14, s5
	v_cmp_eq_u32_e64 s4, 4, v70
	v_cndmask_b32_e32 v1, v1, v10, vcc_lo
	v_cndmask_b32_e32 v2, v2, v14, vcc_lo
	v_cmp_eq_u32_e32 vcc_lo, 4, v72
	v_lshrrev_b32_e32 v15, 16, v7
	v_lshrrev_b32_e32 v16, 16, v8
	v_cndmask_b32_e64 v17, v19, v10, s5
	v_cmp_eq_u32_e64 s3, 4, v71
	v_cndmask_b32_e64 v5, v5, v3, s4
	v_cndmask_b32_e64 v6, v6, v7, s4
	v_cndmask_b32_e32 v9, v9, v3, vcc_lo
	v_cmp_eq_u32_e64 s4, 5, v72
	v_cndmask_b32_e32 v10, v13, v7, vcc_lo
	v_cmp_eq_u32_e32 vcc_lo, 4, v69
	v_cmp_eq_u32_e64 s5, 5, v70
	v_cndmask_b32_e64 v2, v2, v7, s3
	v_cndmask_b32_e64 v9, v9, v11, s4
	;; [unrolled: 1-line block ×3, first 2 shown]
	v_cndmask_b32_e32 v13, v17, v3, vcc_lo
	v_cmp_eq_u32_e64 s4, 5, v69
	v_cndmask_b32_e32 v14, v18, v7, vcc_lo
	v_cndmask_b32_e64 v1, v1, v3, s3
	v_cmp_eq_u32_e32 vcc_lo, 5, v71
	v_lshrrev_b32_e32 v12, 16, v4
	v_cndmask_b32_e64 v13, v13, v11, s4
	v_cndmask_b32_e64 v3, v14, v15, s4
	v_cmp_eq_u32_e64 s4, 6, v71
	v_cndmask_b32_e32 v1, v1, v11, vcc_lo
	v_cndmask_b32_e64 v5, v5, v11, s5
	v_cmp_eq_u32_e64 s6, 6, v70
	v_cndmask_b32_e64 v6, v6, v15, s5
	v_cmp_eq_u32_e64 s5, 6, v72
	v_cmp_eq_u32_e64 s3, 6, v69
	v_cndmask_b32_e64 v1, v1, v4, s4
	v_cndmask_b32_e32 v2, v2, v15, vcc_lo
	v_cmp_eq_u32_e32 vcc_lo, 7, v71
	v_cndmask_b32_e64 v5, v5, v4, s6
	v_cndmask_b32_e64 v9, v9, v4, s5
	;; [unrolled: 1-line block ×3, first 2 shown]
	v_cmp_eq_u32_e64 s6, 7, v70
	v_cndmask_b32_e32 v1, v1, v12, vcc_lo
	v_cndmask_b32_e64 v7, v13, v4, s3
	v_cndmask_b32_e64 v3, v3, v8, s3
	;; [unrolled: 1-line block ×3, first 2 shown]
	v_cmp_eq_u32_e64 s3, 7, v69
	v_cndmask_b32_e64 v4, v10, v8, s5
	v_cndmask_b32_e64 v5, v5, v12, s6
	v_cndmask_b32_e64 v9, v9, v12, s7
	v_cndmask_b32_e32 v2, v2, v16, vcc_lo
	v_cndmask_b32_e64 v7, v7, v12, s3
	v_cndmask_b32_e64 v3, v3, v16, s3
	;; [unrolled: 1-line block ×4, first 2 shown]
	v_perm_b32 v4, v2, v1, 0x5040100
	s_mov_b32 s3, exec_lo
	v_perm_b32 v3, v3, v7, 0x5040100
	v_perm_b32 v2, v8, v9, 0x5040100
	;; [unrolled: 1-line block ×3, first 2 shown]
	ds_store_b128 v74, v[1:4]
	s_waitcnt lgkmcnt(0)
	s_barrier
	buffer_gl0_inv
	v_cmpx_gt_u32_e32 32, v0
	s_cbranch_execz .LBB1248_2
; %bb.15:
	s_load_b64 s[4:5], s[0:1], 0x68
	v_lshlrev_b32_e32 v0, 10, v0
	v_lshlrev_b32_e32 v2, 4, v67
	v_add_nc_u32_e32 v1, s31, v66
	s_lshl_b32 s0, s35, 7
	s_delay_alu instid0(SALU_CYCLE_1) | instskip(NEXT) | instid1(VALU_DEP_2)
	s_mul_i32 s1, s0, s34
	v_and_or_b32 v0, 0x3800, v0, v2
	s_mul_i32 s6, s1, s8
	v_mul_lo_u32 v1, v1, s0
	s_ashr_i32 s7, s6, 31
	s_delay_alu instid0(VALU_DEP_2) | instskip(SKIP_1) | instid1(VALU_DEP_2)
	v_lshl_or_b32 v3, v66, 6, v0
	s_lshl_b64 s[6:7], s[6:7], 1
	v_ashrrev_i32_e32 v2, 31, v1
	ds_load_b128 v[3:6], v3
	s_waitcnt lgkmcnt(0)
	s_add_u32 s1, s4, s6
	s_addc_u32 s3, s5, s7
	s_lshl_b32 s4, s14, 7
	v_lshlrev_b64 v[7:8], 1, v[1:2]
	s_ashr_i32 s5, s4, 31
	s_delay_alu instid0(SALU_CYCLE_1) | instskip(NEXT) | instid1(SALU_CYCLE_1)
	s_lshl_b64 s[4:5], s[4:5], 1
	s_add_u32 s1, s1, s4
	s_addc_u32 s3, s3, s5
	v_add_co_u32 v1, s1, s1, v65
	s_delay_alu instid0(VALU_DEP_1) | instskip(NEXT) | instid1(VALU_DEP_2)
	v_add_co_ci_u32_e64 v2, null, s3, 0, s1
	v_add_co_u32 v7, vcc_lo, v1, v7
	s_delay_alu instid0(VALU_DEP_2)
	v_add_co_ci_u32_e32 v8, vcc_lo, v2, v8, vcc_lo
	global_store_b128 v[7:8], v[3:6], off
	s_and_b32 exec_lo, exec_lo, s2
	s_cbranch_execz .LBB1248_2
; %bb.16:
	ds_load_b128 v[3:6], v0 offset:128
	s_add_i32 s1, s31, 2
	s_delay_alu instid0(SALU_CYCLE_1) | instskip(NEXT) | instid1(SALU_CYCLE_1)
	s_mul_i32 s0, s1, s0
	s_ashr_i32 s1, s0, 31
	s_delay_alu instid0(SALU_CYCLE_1) | instskip(NEXT) | instid1(SALU_CYCLE_1)
	s_lshl_b64 s[0:1], s[0:1], 1
	v_add_co_u32 v0, vcc_lo, v1, s0
	v_add_co_ci_u32_e32 v1, vcc_lo, s1, v2, vcc_lo
	s_waitcnt lgkmcnt(0)
	global_store_b128 v[0:1], v[3:6], off
	s_nop 0
	s_sendmsg sendmsg(MSG_DEALLOC_VGPRS)
	s_endpgm
	.section	.rodata,"a",@progbits
	.p2align	6, 0x0
	.amdhsa_kernel _Z39paged_attention_ll4mi_QKV_mfma16_kernelIDF16_hLN4vllm18Fp8KVCacheDataTypeE1EhLi16ELi128ELi256ELb0ELi3EL8MFMAType0EEvPKT_PKT0_S8_ifPKiSA_SA_iPKfiiiPfSD_PS3_PT2_iSC_SC_
		.amdhsa_group_segment_fixed_size 17472
		.amdhsa_private_segment_fixed_size 0
		.amdhsa_kernarg_size 400
		.amdhsa_user_sgpr_count 13
		.amdhsa_user_sgpr_dispatch_ptr 0
		.amdhsa_user_sgpr_queue_ptr 0
		.amdhsa_user_sgpr_kernarg_segment_ptr 1
		.amdhsa_user_sgpr_dispatch_id 0
		.amdhsa_user_sgpr_private_segment_size 0
		.amdhsa_wavefront_size32 1
		.amdhsa_uses_dynamic_stack 0
		.amdhsa_enable_private_segment 0
		.amdhsa_system_sgpr_workgroup_id_x 1
		.amdhsa_system_sgpr_workgroup_id_y 1
		.amdhsa_system_sgpr_workgroup_id_z 1
		.amdhsa_system_sgpr_workgroup_info 0
		.amdhsa_system_vgpr_workitem_id 0
		.amdhsa_next_free_vgpr 150
		.amdhsa_next_free_sgpr 36
		.amdhsa_reserve_vcc 1
		.amdhsa_float_round_mode_32 0
		.amdhsa_float_round_mode_16_64 0
		.amdhsa_float_denorm_mode_32 3
		.amdhsa_float_denorm_mode_16_64 3
		.amdhsa_dx10_clamp 1
		.amdhsa_ieee_mode 1
		.amdhsa_fp16_overflow 0
		.amdhsa_workgroup_processor_mode 1
		.amdhsa_memory_ordered 1
		.amdhsa_forward_progress 0
		.amdhsa_shared_vgpr_count 0
		.amdhsa_exception_fp_ieee_invalid_op 0
		.amdhsa_exception_fp_denorm_src 0
		.amdhsa_exception_fp_ieee_div_zero 0
		.amdhsa_exception_fp_ieee_overflow 0
		.amdhsa_exception_fp_ieee_underflow 0
		.amdhsa_exception_fp_ieee_inexact 0
		.amdhsa_exception_int_div_zero 0
	.end_amdhsa_kernel
	.section	.text._Z39paged_attention_ll4mi_QKV_mfma16_kernelIDF16_hLN4vllm18Fp8KVCacheDataTypeE1EhLi16ELi128ELi256ELb0ELi3EL8MFMAType0EEvPKT_PKT0_S8_ifPKiSA_SA_iPKfiiiPfSD_PS3_PT2_iSC_SC_,"axG",@progbits,_Z39paged_attention_ll4mi_QKV_mfma16_kernelIDF16_hLN4vllm18Fp8KVCacheDataTypeE1EhLi16ELi128ELi256ELb0ELi3EL8MFMAType0EEvPKT_PKT0_S8_ifPKiSA_SA_iPKfiiiPfSD_PS3_PT2_iSC_SC_,comdat
.Lfunc_end1248:
	.size	_Z39paged_attention_ll4mi_QKV_mfma16_kernelIDF16_hLN4vllm18Fp8KVCacheDataTypeE1EhLi16ELi128ELi256ELb0ELi3EL8MFMAType0EEvPKT_PKT0_S8_ifPKiSA_SA_iPKfiiiPfSD_PS3_PT2_iSC_SC_, .Lfunc_end1248-_Z39paged_attention_ll4mi_QKV_mfma16_kernelIDF16_hLN4vllm18Fp8KVCacheDataTypeE1EhLi16ELi128ELi256ELb0ELi3EL8MFMAType0EEvPKT_PKT0_S8_ifPKiSA_SA_iPKfiiiPfSD_PS3_PT2_iSC_SC_
                                        ; -- End function
	.section	.AMDGPU.csdata,"",@progbits
; Kernel info:
; codeLenInByte = 6588
; NumSgprs: 38
; NumVgprs: 150
; ScratchSize: 0
; MemoryBound: 0
; FloatMode: 240
; IeeeMode: 1
; LDSByteSize: 17472 bytes/workgroup (compile time only)
; SGPRBlocks: 4
; VGPRBlocks: 18
; NumSGPRsForWavesPerEU: 38
; NumVGPRsForWavesPerEU: 150
; Occupancy: 9
; WaveLimiterHint : 1
; COMPUTE_PGM_RSRC2:SCRATCH_EN: 0
; COMPUTE_PGM_RSRC2:USER_SGPR: 13
; COMPUTE_PGM_RSRC2:TRAP_HANDLER: 0
; COMPUTE_PGM_RSRC2:TGID_X_EN: 1
; COMPUTE_PGM_RSRC2:TGID_Y_EN: 1
; COMPUTE_PGM_RSRC2:TGID_Z_EN: 1
; COMPUTE_PGM_RSRC2:TIDIG_COMP_CNT: 0
	.section	.text._Z39paged_attention_ll4mi_QKV_mfma16_kernelIDF16_hLN4vllm18Fp8KVCacheDataTypeE1EhLi16ELi128ELi256ELb0ELi4EL8MFMAType0EEvPKT_PKT0_S8_ifPKiSA_SA_iPKfiiiPfSD_PS3_PT2_iSC_SC_,"axG",@progbits,_Z39paged_attention_ll4mi_QKV_mfma16_kernelIDF16_hLN4vllm18Fp8KVCacheDataTypeE1EhLi16ELi128ELi256ELb0ELi4EL8MFMAType0EEvPKT_PKT0_S8_ifPKiSA_SA_iPKfiiiPfSD_PS3_PT2_iSC_SC_,comdat
	.protected	_Z39paged_attention_ll4mi_QKV_mfma16_kernelIDF16_hLN4vllm18Fp8KVCacheDataTypeE1EhLi16ELi128ELi256ELb0ELi4EL8MFMAType0EEvPKT_PKT0_S8_ifPKiSA_SA_iPKfiiiPfSD_PS3_PT2_iSC_SC_ ; -- Begin function _Z39paged_attention_ll4mi_QKV_mfma16_kernelIDF16_hLN4vllm18Fp8KVCacheDataTypeE1EhLi16ELi128ELi256ELb0ELi4EL8MFMAType0EEvPKT_PKT0_S8_ifPKiSA_SA_iPKfiiiPfSD_PS3_PT2_iSC_SC_
	.globl	_Z39paged_attention_ll4mi_QKV_mfma16_kernelIDF16_hLN4vllm18Fp8KVCacheDataTypeE1EhLi16ELi128ELi256ELb0ELi4EL8MFMAType0EEvPKT_PKT0_S8_ifPKiSA_SA_iPKfiiiPfSD_PS3_PT2_iSC_SC_
	.p2align	8
	.type	_Z39paged_attention_ll4mi_QKV_mfma16_kernelIDF16_hLN4vllm18Fp8KVCacheDataTypeE1EhLi16ELi128ELi256ELb0ELi4EL8MFMAType0EEvPKT_PKT0_S8_ifPKiSA_SA_iPKfiiiPfSD_PS3_PT2_iSC_SC_,@function
_Z39paged_attention_ll4mi_QKV_mfma16_kernelIDF16_hLN4vllm18Fp8KVCacheDataTypeE1EhLi16ELi128ELi256ELb0ELi4EL8MFMAType0EEvPKT_PKT0_S8_ifPKiSA_SA_iPKfiiiPfSD_PS3_PT2_iSC_SC_: ; @_Z39paged_attention_ll4mi_QKV_mfma16_kernelIDF16_hLN4vllm18Fp8KVCacheDataTypeE1EhLi16ELi128ELi256ELb0ELi4EL8MFMAType0EEvPKT_PKT0_S8_ifPKiSA_SA_iPKfiiiPfSD_PS3_PT2_iSC_SC_
; %bb.0:
	s_load_b64 s[4:5], s[0:1], 0x30
	s_mov_b32 s30, s13
	s_waitcnt lgkmcnt(0)
	s_cmp_lg_u64 s[4:5], 0
	s_cselect_b32 s13, -1, 0
	s_ashr_i32 s31, s30, 31
	s_cmp_eq_u64 s[4:5], 0
	s_cbranch_scc1 .LBB1249_3
; %bb.1:
	s_lshl_b64 s[2:3], s[30:31], 2
	s_delay_alu instid0(SALU_CYCLE_1) | instskip(SKIP_4) | instid1(SALU_CYCLE_1)
	s_add_u32 s2, s4, s2
	s_addc_u32 s3, s5, s3
	s_load_b64 s[2:3], s[2:3], 0x0
	s_waitcnt lgkmcnt(0)
	s_sub_i32 s2, s3, s2
	s_cmp_eq_u32 s2, 1
	s_cselect_b32 s2, -1, 0
	s_delay_alu instid0(SALU_CYCLE_1)
	s_and_not1_b32 vcc_lo, exec_lo, s2
	s_cbranch_vccz .LBB1249_4
.LBB1249_2:
	s_endpgm
.LBB1249_3:
.LBB1249_4:
	s_load_b64 s[2:3], s[0:1], 0x28
	s_lshl_b64 s[6:7], s[30:31], 2
	s_waitcnt lgkmcnt(0)
	s_add_u32 s2, s2, s6
	s_addc_u32 s3, s3, s7
	s_lshl_b32 s12, s14, 8
	s_load_b32 s17, s[2:3], 0x0
	s_waitcnt lgkmcnt(0)
	s_cmp_ge_i32 s12, s17
	s_cbranch_scc1 .LBB1249_2
; %bb.5:
	s_clause 0x1
	s_load_b128 s[8:11], s[0:1], 0x8
	s_load_b64 s[2:3], s[0:1], 0x20
	s_and_not1_b32 vcc_lo, exec_lo, s13
	s_cbranch_vccnz .LBB1249_7
; %bb.6:
	s_add_u32 s4, s4, s6
	s_addc_u32 s5, s5, s7
	s_load_b32 s13, s[4:5], 0x0
	s_branch .LBB1249_8
.LBB1249_7:
	s_mov_b32 s13, s30
.LBB1249_8:
	s_load_b128 s[4:7], s[0:1], 0x48
	v_and_b32_e32 v69, 15, v0
	v_lshrrev_b32_e32 v68, 5, v0
	v_and_b32_e32 v70, 31, v0
	v_and_b32_e32 v67, 1, v0
	v_bfe_u32 v66, v0, 4, 1
	v_lshlrev_b32_e32 v1, 3, v69
	s_lshl_b32 s31, s15, 2
	s_waitcnt lgkmcnt(0)
	s_mov_b32 s7, exec_lo
	s_delay_alu instid0(VALU_DEP_1)
	v_lshlrev_b32_e32 v65, 1, v1
	v_cmpx_gt_u32_e32 64, v0
	s_cbranch_execz .LBB1249_10
; %bb.9:
	v_lshl_or_b32 v5, v68, 1, v66
	s_load_b64 s[18:19], s[0:1], 0x0
	s_mul_hi_i32 s21, s13, s4
	s_mul_i32 s20, s13, s4
	v_lshlrev_b32_e32 v6, 10, v69
	v_or_b32_e32 v1, s31, v5
	s_lshl_b64 s[20:21], s[20:21], 1
	v_lshlrev_b32_e32 v5, 6, v5
	v_lshlrev_b32_e32 v7, 10, v67
	v_and_b32_e32 v6, 0x3800, v6
	v_lshlrev_b32_e32 v1, 7, v1
	s_delay_alu instid0(VALU_DEP_2) | instskip(NEXT) | instid1(VALU_DEP_2)
	v_or3_b32 v5, v6, v7, v5
	v_ashrrev_i32_e32 v2, 31, v1
	s_delay_alu instid0(VALU_DEP_1) | instskip(SKIP_3) | instid1(VALU_DEP_1)
	v_lshlrev_b64 v[1:2], 1, v[1:2]
	s_waitcnt lgkmcnt(0)
	s_add_u32 s4, s18, s20
	s_addc_u32 s13, s19, s21
	v_add_co_u32 v1, vcc_lo, s4, v1
	s_delay_alu instid0(VALU_DEP_2) | instskip(NEXT) | instid1(VALU_DEP_2)
	v_add_co_ci_u32_e32 v2, vcc_lo, s13, v2, vcc_lo
	v_add_co_u32 v1, vcc_lo, v1, v65
	s_delay_alu instid0(VALU_DEP_2)
	v_add_co_ci_u32_e32 v2, vcc_lo, 0, v2, vcc_lo
	global_load_b128 v[1:4], v[1:2], off
	s_waitcnt vmcnt(0)
	ds_store_b128 v5, v[1:4]
.LBB1249_10:
	s_or_b32 exec_lo, exec_lo, s7
	v_and_b32_e32 v1, 0xef, v0
	s_add_i32 s4, s17, 15
	s_clause 0x1
	s_load_b32 s7, s[0:1], 0x38
	s_load_b32 s33, s[0:1], 0x98
	s_ashr_i32 s13, s4, 31
	v_add_nc_u32_e32 v1, s12, v1
	s_lshr_b32 s13, s13, 28
	s_load_b32 s18, s[0:1], 0x1c
	s_add_i32 s4, s4, s13
	s_waitcnt lgkmcnt(0)
	v_ashrrev_i32_e32 v2, 31, v1
	v_or_b32_e32 v3, 16, v1
	s_ashr_i32 s4, s4, 4
	v_cmp_gt_i32_e32 vcc_lo, s17, v1
	s_add_i32 s4, s4, -1
	v_lshrrev_b32_e32 v2, 28, v2
	s_barrier
	buffer_gl0_inv
	s_mul_i32 s15, s15, s6
	v_add_nc_u32_e32 v4, v1, v2
	s_mul_i32 s20, s30, s7
	s_delay_alu instid0(SALU_CYCLE_1) | instskip(NEXT) | instid1(VALU_DEP_1)
	s_ashr_i32 s21, s20, 31
	v_ashrrev_i32_e32 v4, 4, v4
	v_add_nc_u32_e32 v2, v3, v2
	s_lshl_b64 s[20:21], s[20:21], 2
	s_delay_alu instid0(SALU_CYCLE_1) | instskip(NEXT) | instid1(VALU_DEP_2)
	s_add_u32 s13, s2, s20
	v_cndmask_b32_e32 v1, s4, v4, vcc_lo
	s_delay_alu instid0(VALU_DEP_2)
	v_ashrrev_i32_e32 v2, 4, v2
	v_cmp_gt_i32_e32 vcc_lo, s17, v3
	s_addc_u32 s16, s3, s21
	s_ashr_i32 s19, s15, 31
	s_add_u32 s26, s8, s15
	s_addc_u32 s27, s9, s19
	v_cndmask_b32_e32 v3, s4, v2, vcc_lo
	v_ashrrev_i32_e32 v2, 31, v1
	s_lshl_b32 s2, s14, 4
	s_delay_alu instid0(SALU_CYCLE_1) | instskip(NEXT) | instid1(VALU_DEP_2)
	s_ashr_i32 s3, s2, 31
	v_ashrrev_i32_e32 v4, 31, v3
	s_delay_alu instid0(VALU_DEP_2) | instskip(SKIP_1) | instid1(SALU_CYCLE_1)
	v_lshlrev_b64 v[1:2], 2, v[1:2]
	s_lshl_b64 s[2:3], s[2:3], 2
	s_add_u32 s2, s13, s2
	s_delay_alu instid0(VALU_DEP_2) | instskip(SKIP_1) | instid1(VALU_DEP_2)
	v_lshlrev_b64 v[3:4], 2, v[3:4]
	s_addc_u32 s3, s16, s3
	v_add_co_u32 v1, vcc_lo, s13, v1
	v_add_co_ci_u32_e32 v2, vcc_lo, s16, v2, vcc_lo
	s_delay_alu instid0(VALU_DEP_3) | instskip(NEXT) | instid1(VALU_DEP_4)
	v_add_co_u32 v3, vcc_lo, s13, v3
	v_add_co_ci_u32_e32 v4, vcc_lo, s16, v4, vcc_lo
	s_clause 0x1
	global_load_b32 v5, v[1:2], off
	global_load_b32 v3, v[3:4], off
	s_or_b32 s6, s12, 32
	s_delay_alu instid0(SALU_CYCLE_1) | instskip(SKIP_2) | instid1(SALU_CYCLE_1)
	s_ashr_i32 s7, s6, 4
	s_cmp_lt_i32 s6, s17
	s_cselect_b32 s6, s7, s4
	s_ashr_i32 s7, s6, 31
	s_delay_alu instid0(SALU_CYCLE_1) | instskip(NEXT) | instid1(SALU_CYCLE_1)
	s_lshl_b64 s[6:7], s[6:7], 2
	s_add_u32 s6, s13, s6
	s_addc_u32 s7, s16, s7
	s_or_b32 s8, s12, 64
	s_delay_alu instid0(SALU_CYCLE_1) | instskip(SKIP_2) | instid1(SALU_CYCLE_1)
	s_ashr_i32 s9, s8, 4
	s_cmp_lt_i32 s8, s17
	s_cselect_b32 s8, s9, s4
	s_ashr_i32 s9, s8, 31
	s_delay_alu instid0(SALU_CYCLE_1) | instskip(NEXT) | instid1(SALU_CYCLE_1)
	s_lshl_b64 s[8:9], s[8:9], 2
	s_add_u32 s8, s13, s8
	s_addc_u32 s9, s16, s9
	;; [unrolled: 10-line block ×5, first 2 shown]
	s_clause 0x5
	s_load_b32 s28, s[2:3], 0x0
	s_load_b32 s29, s[6:7], 0x0
	;; [unrolled: 1-line block ×6, first 2 shown]
	s_mov_b32 s20, 0
	s_or_b32 s2, s12, 0xc0
	s_mov_b32 s21, s20
	s_mov_b32 s22, s20
	;; [unrolled: 1-line block ×5, first 2 shown]
	v_lshlrev_b32_e32 v1, 4, v0
	s_ashr_i32 s3, s2, 4
	s_cmp_lt_i32 s2, s17
	s_cselect_b32 s2, s3, s4
	s_delay_alu instid0(VALU_DEP_1) | instskip(SKIP_1) | instid1(SALU_CYCLE_1)
	v_and_b32_e32 v1, 0xf0, v1
	s_ashr_i32 s3, s2, 31
	s_lshl_b64 s[2:3], s[2:3], 2
	s_delay_alu instid0(VALU_DEP_1) | instskip(NEXT) | instid1(VALU_DEP_1)
	v_add_co_u32 v1, s26, s26, v1
	v_add_co_ci_u32_e64 v2, null, s27, 0, s26
	s_add_u32 s2, s13, s2
	s_addc_u32 s3, s16, s3
	s_or_b32 s6, s12, 0xe0
	s_mov_b32 s27, s20
	s_ashr_i32 s7, s6, 4
	s_cmp_lt_i32 s6, s17
	s_mov_b32 s26, s20
	s_cselect_b32 s6, s7, s4
	v_mov_b32_e32 v102, s27
	v_mov_b32_e32 v96, s21
	s_ashr_i32 s7, s6, 31
	v_mov_b32_e32 v101, s26
	s_lshl_b64 s[6:7], s[6:7], 2
	v_dual_mov_b32 v100, s25 :: v_dual_mov_b32 v99, s24
	v_dual_mov_b32 v98, s23 :: v_dual_mov_b32 v97, s22
	v_mov_b32_e32 v95, s20
	s_waitcnt vmcnt(1)
	v_mad_i64_i32 v[33:34], null, v5, s5, v[1:2]
	s_waitcnt vmcnt(0)
	v_mad_i64_i32 v[35:36], null, v3, s5, v[1:2]
	s_clause 0xf
	global_load_b128 v[1:4], v[33:34], off
	global_load_b128 v[5:8], v[33:34], off offset:256
	global_load_b128 v[9:12], v[35:36], off
	global_load_b128 v[13:16], v[35:36], off offset:256
	global_load_b128 v[17:20], v[33:34], off offset:512
	;; [unrolled: 1-line block ×13, first 2 shown]
	v_and_b32_e32 v33, 3, v0
	v_lshlrev_b32_e32 v34, 4, v69
	s_delay_alu instid0(VALU_DEP_2) | instskip(NEXT) | instid1(VALU_DEP_2)
	v_lshlrev_b32_e32 v139, 6, v33
	v_lshl_or_b32 v41, v68, 8, v34
	ds_load_b128 v[33:36], v139
	ds_load_b128 v[37:40], v139 offset:1024
	ds_load_b128 v[103:106], v139 offset:2048
	;; [unrolled: 1-line block ×3, first 2 shown]
	s_load_b32 s4, s[2:3], 0x0
	s_add_u32 s2, s13, s6
	s_addc_u32 s3, s16, s7
	ds_load_b128 v[111:114], v139 offset:4096
	ds_load_b128 v[115:118], v139 offset:5120
	s_load_b32 s2, s[2:3], 0x0
	s_add_u32 s6, s10, s15
	s_addc_u32 s7, s11, s19
	v_add_co_u32 v127, s6, s6, v41
	s_delay_alu instid0(VALU_DEP_1) | instskip(SKIP_1) | instid1(VALU_DEP_1)
	v_add_co_ci_u32_e64 v128, null, s7, 0, s6
	s_waitcnt lgkmcnt(0)
	v_mad_i64_i32 v[41:42], null, s28, s5, v[127:128]
	v_mad_i64_i32 v[129:130], null, s8, s5, v[127:128]
	;; [unrolled: 1-line block ×7, first 2 shown]
	s_clause 0x3
	global_load_b128 v[49:52], v[41:42], off
	global_load_b128 v[53:56], v[41:42], off offset:16
	global_load_b128 v[41:44], v[45:46], off
	global_load_b128 v[45:48], v[45:46], off offset:16
	s_waitcnt vmcnt(18)
	v_wmma_f32_16x16x16_f16 v[119:126], v[1:8], v[33:40], v[95:102]
	s_waitcnt vmcnt(16)
	v_wmma_f32_16x16x16_f16 v[95:102], v[9:16], v[33:40], v[95:102]
	s_clause 0x3
	global_load_b128 v[33:36], v[129:130], off
	global_load_b128 v[37:40], v[129:130], off offset:16
	global_load_b128 v[1:4], v[131:132], off
	global_load_b128 v[5:8], v[131:132], off offset:16
	s_waitcnt vmcnt(18)
	v_wmma_f32_16x16x16_f16 v[119:126], v[17:24], v[103:110], v[119:126]
	s_clause 0x3
	global_load_b128 v[9:12], v[133:134], off
	global_load_b128 v[13:16], v[133:134], off offset:16
	global_load_b128 v[17:20], v[135:136], off
	global_load_b128 v[21:24], v[135:136], off offset:16
	s_waitcnt vmcnt(20)
	v_wmma_f32_16x16x16_f16 v[95:102], v[25:32], v[103:110], v[95:102]
	v_mad_i64_i32 v[103:104], null, s2, s5, v[127:128]
	s_waitcnt vmcnt(18)
	v_wmma_f32_16x16x16_f16 v[119:126], v[57:64], v[111:118], v[119:126]
	s_clause 0x1
	global_load_b128 v[25:28], v[137:138], off
	global_load_b128 v[29:32], v[137:138], off offset:16
	s_waitcnt vmcnt(18)
	v_wmma_f32_16x16x16_f16 v[95:102], v[71:78], v[111:118], v[95:102]
	s_clause 0x1
	global_load_b128 v[57:60], v[103:104], off
	global_load_b128 v[61:64], v[103:104], off offset:16
	ds_load_b128 v[71:74], v139 offset:6144
	ds_load_b128 v[75:78], v139 offset:7168
	v_mbcnt_lo_u32_b32 v104, -1, 0
	s_waitcnt vmcnt(0) lgkmcnt(0)
	s_barrier
	buffer_gl0_inv
	v_xor_b32_e32 v105, 16, v104
	s_delay_alu instid0(VALU_DEP_1) | instskip(SKIP_4) | instid1(VALU_DEP_2)
	v_cmp_gt_i32_e32 vcc_lo, 32, v105
	v_cndmask_b32_e32 v104, v104, v105, vcc_lo
	v_wmma_f32_16x16x16_f16 v[95:102], v[87:94], v[71:78], v[95:102]
	v_and_b32_e32 v103, 0xe0, v0
	v_wmma_f32_16x16x16_f16 v[119:126], v[79:86], v[71:78], v[119:126]
	v_dual_mul_f32 v90, s18, v101 :: v_dual_add_nc_u32 v103, s12, v103
	s_delay_alu instid0(VALU_DEP_2) | instskip(NEXT) | instid1(VALU_DEP_3)
	v_dual_mul_f32 v94, s18, v97 :: v_dual_mul_f32 v87, s18, v120
	v_dual_mul_f32 v88, s18, v119 :: v_dual_mul_f32 v77, s18, v122
	s_delay_alu instid0(VALU_DEP_3) | instskip(SKIP_3) | instid1(VALU_DEP_4)
	v_or_b32_e32 v103, v103, v66
	v_dual_mul_f32 v78, s18, v121 :: v_dual_mul_f32 v75, s18, v124
	v_dual_mul_f32 v76, s18, v123 :: v_dual_mul_f32 v73, s18, v126
	v_mul_f32_e32 v92, s18, v99
	v_or_b32_e32 v105, 2, v103
	v_or_b32_e32 v106, 4, v103
	;; [unrolled: 1-line block ×3, first 2 shown]
	v_cmp_gt_i32_e64 s2, s17, v103
	v_or_b32_e32 v108, 8, v103
	v_cmp_gt_i32_e32 vcc_lo, s17, v105
	v_or_b32_e32 v109, 10, v103
	v_cmp_gt_i32_e64 s3, s17, v106
	v_cndmask_b32_e64 v88, 0xff7fffff, v88, s2
	v_cmp_gt_i32_e64 s4, s17, v107
	v_cndmask_b32_e32 v87, 0xff7fffff, v87, vcc_lo
	v_or_b32_e32 v79, 12, v103
	v_or_b32_e32 v80, 14, v103
	v_cndmask_b32_e64 v78, 0xff7fffff, v78, s3
	v_cndmask_b32_e64 v77, 0xff7fffff, v77, s4
	v_max3_f32 v87, v88, 0xff7fffff, v87
	v_cmp_gt_i32_e64 s5, s17, v108
	v_cmp_gt_i32_e64 s6, s17, v109
	v_or_b32_e32 v81, 16, v103
	v_or_b32_e32 v82, 18, v103
	v_mul_f32_e32 v74, s18, v125
	v_cndmask_b32_e64 v76, 0xff7fffff, v76, s5
	v_cndmask_b32_e64 v75, 0xff7fffff, v75, s6
	v_max3_f32 v77, v87, v78, v77
	v_cmp_gt_i32_e64 s7, s17, v79
	v_cmp_gt_i32_e64 s8, s17, v80
	v_or_b32_e32 v83, 20, v103
	v_or_b32_e32 v84, 22, v103
	;; [unrolled: 1-line block ×6, first 2 shown]
	v_mul_f32_e32 v105, s18, v96
	v_mul_f32_e32 v103, s18, v95
	v_cndmask_b32_e64 v74, 0xff7fffff, v74, s7
	v_cndmask_b32_e64 v73, 0xff7fffff, v73, s8
	v_max3_f32 v75, v77, v76, v75
	v_cmp_gt_i32_e64 s9, s17, v81
	v_cmp_gt_i32_e64 s10, s17, v82
	v_mul_f32_e32 v93, s18, v98
	v_cmp_gt_i32_e64 s11, s17, v83
	v_max3_f32 v73, v75, v74, v73
	v_cndmask_b32_e64 v76, 0xff7fffff, v103, s9
	v_cndmask_b32_e64 v77, 0xff7fffff, v105, s10
	v_cmp_gt_i32_e64 s12, s17, v84
	v_mul_f32_e32 v91, s18, v100
	v_cndmask_b32_e64 v74, 0xff7fffff, v94, s11
	v_cmp_gt_i32_e64 s13, s17, v85
	v_max3_f32 v73, v73, v76, v77
	v_cndmask_b32_e64 v75, 0xff7fffff, v93, s12
	v_cmp_gt_i32_e64 s15, s17, v86
	v_mul_f32_e32 v89, s18, v102
	v_cndmask_b32_e64 v76, 0xff7fffff, v92, s13
	v_cmp_gt_i32_e64 s16, s17, v71
	v_max3_f32 v73, v73, v74, v75
	v_cndmask_b32_e64 v77, 0xff7fffff, v91, s15
	v_cmp_gt_i32_e64 s17, s17, v72
	v_lshlrev_b32_e32 v74, 2, v104
	v_cndmask_b32_e64 v71, 0xff7fffff, v90, s16
	s_delay_alu instid0(VALU_DEP_4) | instskip(NEXT) | instid1(VALU_DEP_4)
	v_max3_f32 v73, v73, v76, v77
	v_cndmask_b32_e64 v72, 0xff7fffff, v89, s17
	s_delay_alu instid0(VALU_DEP_1) | instskip(SKIP_3) | instid1(VALU_DEP_1)
	v_max3_f32 v71, v73, v71, v72
	ds_bpermute_b32 v72, v74, v71
	s_waitcnt lgkmcnt(0)
	v_max_f32_e32 v72, v72, v72
	v_max_f32_e32 v71, v71, v72
	s_delay_alu instid0(VALU_DEP_1)
	v_fma_f32 v72, s18, v119, -v71
	v_fma_f32 v76, s18, v122, -v71
	;; [unrolled: 1-line block ×5, first 2 shown]
	v_mul_f32_e32 v72, 0x3fb8aa3b, v72
	v_mul_f32_e32 v76, 0x3fb8aa3b, v76
	v_fma_f32 v75, s18, v121, -v71
	v_mul_f32_e32 v79, 0x3fb8aa3b, v77
	v_mul_f32_e32 v87, 0x3fb8aa3b, v86
	v_exp_f32_e32 v72, v72
	v_exp_f32_e32 v76, v76
	v_fma_f32 v81, s18, v125, -v71
	v_exp_f32_e32 v82, v79
	v_exp_f32_e32 v87, v87
	v_fma_f32 v84, s18, v96, -v71
	s_delay_alu instid0(VALU_DEP_2) | instskip(SKIP_3) | instid1(TRANS32_DEP_3)
	v_mul_f32_e32 v81, 0x3fb8aa3b, v81
	v_cndmask_b32_e64 v78, 0, v72, s2
	v_fma_f32 v72, s18, v124, -v71
	v_mul_f32_e32 v73, 0x3fb8aa3b, v73
	v_cndmask_b32_e64 v79, 0, v76, s4
	v_fma_f32 v76, s18, v95, -v71
	s_delay_alu instid0(VALU_DEP_4) | instskip(NEXT) | instid1(VALU_DEP_4)
	v_dual_mul_f32 v75, 0x3fb8aa3b, v75 :: v_dual_mul_f32 v72, 0x3fb8aa3b, v72
	v_exp_f32_e32 v73, v73
	v_cndmask_b32_e64 v87, 0, v87, s12
	s_delay_alu instid0(VALU_DEP_3) | instskip(NEXT) | instid1(VALU_DEP_3)
	v_mul_f32_e32 v76, 0x3fb8aa3b, v76
	v_exp_f32_e32 v75, v75
	v_exp_f32_e32 v72, v72
	;; [unrolled: 1-line block ×3, first 2 shown]
	v_cndmask_b32_e64 v82, 0, v82, s5
	v_mul_f32_e32 v85, 0x3fb8aa3b, v84
	v_exp_f32_e32 v76, v76
	s_mov_b32 s2, exec_lo
	v_cndmask_b32_e32 v77, 0, v73, vcc_lo
	v_add_f32_e32 v73, 0, v78
	v_exp_f32_e32 v85, v85
	v_cndmask_b32_e64 v80, 0, v75, s3
	v_fma_f32 v75, s18, v126, -v71
	v_cndmask_b32_e64 v81, 0, v72, s6
	v_add_f32_e32 v73, v73, v77
	v_cndmask_b32_e64 v84, 0, v83, s7
	v_cndmask_b32_e64 v86, 0, v76, s9
	v_mul_f32_e32 v75, 0x3fb8aa3b, v75
	s_delay_alu instid0(VALU_DEP_4) | instskip(NEXT) | instid1(TRANS32_DEP_1)
	v_add_f32_e32 v73, v73, v80
	v_cndmask_b32_e64 v85, 0, v85, s10
	s_delay_alu instid0(VALU_DEP_3) | instskip(NEXT) | instid1(VALU_DEP_2)
	v_exp_f32_e32 v75, v75
	v_add_f32_e32 v73, v73, v79
	s_delay_alu instid0(VALU_DEP_1) | instskip(SKIP_3) | instid1(VALU_DEP_1)
	v_add_f32_e32 v72, v73, v82
	s_waitcnt_depctr 0xfff
	v_cndmask_b32_e64 v83, 0, v75, s8
	v_add_f32_e32 v72, v72, v81
	v_add_f32_e32 v72, v72, v84
	s_delay_alu instid0(VALU_DEP_1) | instskip(NEXT) | instid1(VALU_DEP_1)
	v_add_f32_e32 v72, v72, v83
	v_add_f32_e32 v72, v72, v86
	s_delay_alu instid0(VALU_DEP_1) | instskip(SKIP_4) | instid1(VALU_DEP_4)
	v_add_f32_e32 v72, v72, v85
	v_fma_f32 v73, s18, v97, -v71
	v_fma_f32 v75, s18, v99, -v71
	;; [unrolled: 1-line block ×4, first 2 shown]
	v_mul_f32_e32 v73, 0x3fb8aa3b, v73
	s_delay_alu instid0(VALU_DEP_3) | instskip(NEXT) | instid1(VALU_DEP_2)
	v_dual_mul_f32 v75, 0x3fb8aa3b, v75 :: v_dual_mul_f32 v76, 0x3fb8aa3b, v76
	v_exp_f32_e32 v73, v73
	s_delay_alu instid0(VALU_DEP_1) | instskip(NEXT) | instid1(VALU_DEP_1)
	v_exp_f32_e32 v75, v75
	v_exp_f32_e32 v76, v76
	s_delay_alu instid0(TRANS32_DEP_3)
	v_cndmask_b32_e64 v88, 0, v73, s11
	v_mul_f32_e32 v73, 0x3fb8aa3b, v89
	v_fma_f32 v89, s18, v102, -v71
	s_waitcnt_depctr 0xfff
	v_cndmask_b32_e64 v90, 0, v75, s13
	v_add_f32_e32 v72, v72, v88
	v_exp_f32_e32 v73, v73
	v_mul_f32_e32 v75, 0x3fb8aa3b, v89
	v_cndmask_b32_e64 v89, 0, v76, s15
	s_delay_alu instid0(VALU_DEP_3) | instskip(NEXT) | instid1(VALU_DEP_3)
	v_add_f32_e32 v72, v72, v87
	v_exp_f32_e32 v75, v75
	s_delay_alu instid0(VALU_DEP_1) | instskip(SKIP_4) | instid1(VALU_DEP_2)
	v_add_f32_e32 v72, v72, v90
	s_waitcnt_depctr 0xfff
	v_cndmask_b32_e64 v92, 0, v73, s16
	v_add_f32_e32 v72, v72, v89
	v_cndmask_b32_e64 v91, 0, v75, s17
	v_add_f32_e32 v72, v72, v92
	s_delay_alu instid0(VALU_DEP_1)
	v_add_f32_e32 v72, v72, v91
	ds_bpermute_b32 v73, v74, v72
	v_cmpx_gt_u32_e32 16, v70
	s_cbranch_execz .LBB1249_12
; %bb.11:
	v_mul_u32_u24_e32 v70, 0x44, v68
	s_waitcnt lgkmcnt(0)
	v_add_f32_e32 v72, v72, v73
	s_delay_alu instid0(VALU_DEP_2) | instskip(NEXT) | instid1(VALU_DEP_1)
	v_lshl_add_u32 v70, v69, 2, v70
	v_add_nc_u32_e32 v70, 0x4000, v70
	ds_store_2addr_b32 v70, v71, v72 offset1:136
.LBB1249_12:
	s_or_b32 exec_lo, exec_lo, s2
	v_lshlrev_b32_e32 v70, 2, v69
	s_load_b32 s34, s[0:1], 0x94
	s_waitcnt lgkmcnt(0)
	s_barrier
	buffer_gl0_inv
	v_add_nc_u32_e32 v74, 0x4000, v70
	v_cmp_eq_u32_e32 vcc_lo, 1, v68
	v_cmp_eq_u32_e64 s2, 2, v68
	v_cmp_eq_u32_e64 s3, 3, v68
	;; [unrolled: 1-line block ×3, first 2 shown]
	ds_load_2addr_b32 v[70:71], v74 offset1:17
	ds_load_2addr_b32 v[72:73], v74 offset0:34 offset1:51
	ds_load_2addr_b32 v[93:94], v74 offset0:68 offset1:85
	;; [unrolled: 1-line block ×3, first 2 shown]
	v_cmp_eq_u32_e64 s5, 5, v68
	v_cmp_eq_u32_e64 s6, 7, v68
	s_waitcnt lgkmcnt(3)
	v_max3_f32 v75, v70, 0xff7fffff, v71
	s_waitcnt lgkmcnt(2)
	s_delay_alu instid0(VALU_DEP_1) | instskip(SKIP_1) | instid1(VALU_DEP_1)
	v_max3_f32 v75, v75, v72, v73
	s_waitcnt lgkmcnt(1)
	v_max3_f32 v75, v75, v93, v94
	s_waitcnt lgkmcnt(0)
	s_delay_alu instid0(VALU_DEP_1) | instskip(NEXT) | instid1(VALU_DEP_1)
	v_max3_f32 v75, v75, v95, v96
	v_sub_f32_e32 v93, v93, v75
	ds_load_2addr_b32 v[97:98], v74 offset0:136 offset1:153
	v_sub_f32_e32 v70, v70, v75
	v_dual_sub_f32 v100, v73, v75 :: v_dual_mul_f32 v103, 0x3fb8aa3b, v93
	s_delay_alu instid0(VALU_DEP_2) | instskip(SKIP_3) | instid1(VALU_DEP_1)
	v_dual_sub_f32 v76, v71, v75 :: v_dual_mul_f32 v99, 0x3fb8aa3b, v70
	ds_load_2addr_b32 v[70:71], v74 offset0:170 offset1:187
	v_mul_f32_e32 v76, 0x3fb8aa3b, v76
	v_exp_f32_e32 v99, v99
	v_exp_f32_e32 v102, v76
	v_mul_f32_e32 v100, 0x3fb8aa3b, v100
	s_waitcnt lgkmcnt(1)
	s_waitcnt_depctr 0xfff
	v_fma_f32 v76, v99, v97, 0
	v_sub_f32_e32 v97, v94, v75
	v_sub_f32_e32 v72, v72, v75
	v_exp_f32_e32 v100, v100
	ds_load_2addr_b32 v[93:94], v74 offset0:238 offset1:255
	v_dual_fmac_f32 v76, v102, v98 :: v_dual_mul_f32 v101, 0x3fb8aa3b, v72
	ds_load_2addr_b32 v[72:73], v74 offset0:204 offset1:221
	v_dual_sub_f32 v74, v95, v75 :: v_dual_mul_f32 v95, 0x3fb8aa3b, v97
	v_exp_f32_e32 v97, v103
	v_exp_f32_e32 v101, v101
	s_waitcnt lgkmcnt(0)
	s_barrier
	v_exp_f32_e32 v95, v95
	buffer_gl0_inv
	v_fmac_f32_e32 v76, v101, v70
	v_sub_f32_e32 v70, v96, v75
	s_delay_alu instid0(VALU_DEP_2) | instskip(NEXT) | instid1(VALU_DEP_2)
	v_fmac_f32_e32 v76, v100, v71
	v_mul_f32_e32 v70, 0x3fb8aa3b, v70
	s_delay_alu instid0(VALU_DEP_2)
	v_dual_cndmask_b32 v71, v99, v102 :: v_dual_fmac_f32 v76, v97, v72
	v_lshlrev_b32_e32 v72, 6, v69
	v_lshlrev_b32_e32 v69, 2, v66
	v_mul_f32_e32 v74, 0x3fb8aa3b, v74
	v_exp_f32_e32 v98, v70
	v_fmac_f32_e32 v76, v95, v73
	s_delay_alu instid0(VALU_DEP_3) | instskip(NEXT) | instid1(VALU_DEP_3)
	v_cmp_eq_u32_e64 s7, 7, v69
	v_exp_f32_e32 v96, v74
	v_lshl_or_b32 v74, v68, 11, v72
	s_waitcnt_depctr 0xfff
	v_fmac_f32_e32 v76, v96, v93
	s_delay_alu instid0(VALU_DEP_1) | instskip(NEXT) | instid1(VALU_DEP_1)
	v_fmac_f32_e32 v76, v98, v94
	v_add_f32_e32 v73, 0x358637bd, v76
	s_delay_alu instid0(VALU_DEP_1) | instskip(SKIP_1) | instid1(VALU_DEP_2)
	v_div_scale_f32 v93, null, v73, v73, 1.0
	v_div_scale_f32 v99, vcc_lo, 1.0, v73, 1.0
	v_rcp_f32_e32 v94, v93
	s_waitcnt_depctr 0xfff
	v_fma_f32 v70, -v93, v94, 1.0
	s_delay_alu instid0(VALU_DEP_1)
	v_fmac_f32_e32 v94, v70, v94
	v_cndmask_b32_e64 v70, v71, v101, s2
	v_cmp_eq_u32_e64 s2, 6, v68
	v_or_b32_e32 v71, 1, v69
	v_or_b32_e32 v68, 2, v69
	v_mul_f32_e32 v101, v99, v94
	v_cndmask_b32_e64 v70, v70, v100, s3
	v_cmp_eq_u32_e64 s3, 1, v69
	v_cmp_eq_u32_e64 s8, 1, v71
	;; [unrolled: 1-line block ×3, first 2 shown]
	v_fma_f32 v100, -v93, v101, v99
	v_cndmask_b32_e64 v70, v70, v97, s4
	v_cmp_eq_u32_e64 s4, 2, v69
	v_cmp_eq_u32_e64 s11, 2, v71
	;; [unrolled: 1-line block ×3, first 2 shown]
	v_fmac_f32_e32 v101, v100, v94
	v_cndmask_b32_e64 v95, v70, v95, s5
	v_or_b32_e32 v70, 3, v69
	v_cmp_eq_u32_e64 s12, 3, v71
	v_cmp_eq_u32_e64 s16, 3, v68
	v_fma_f32 v93, -v93, v101, v99
	v_cndmask_b32_e64 v95, v95, v96, s2
	v_cmp_eq_u32_e64 s10, 1, v70
	v_cmp_eq_u32_e64 s15, 2, v70
	;; [unrolled: 1-line block ×3, first 2 shown]
	v_div_fmas_f32 v93, v93, v94, v101
	v_cndmask_b32_e64 v94, v95, v98, s6
	v_cmp_eq_u32_e32 vcc_lo, 3, v69
	v_cmp_eq_u32_e64 s2, 4, v69
	v_cmp_eq_u32_e64 s18, 4, v71
	v_div_fixup_f32 v93, v93, v73, 1.0
	v_lshl_or_b32 v73, v66, 4, v74
	v_cmp_eq_u32_e64 s21, 4, v70
	v_cmp_eq_u32_e64 s5, 5, v69
	;; [unrolled: 1-line block ×3, first 2 shown]
	v_mul_f32_e32 v101, v94, v93
	v_cmp_eq_u32_e64 s20, 4, v68
	v_cmp_eq_u32_e64 s23, 5, v70
	;; [unrolled: 1-line block ×4, first 2 shown]
	v_fma_mixlo_f16 v93, v101, v78, 0
	v_fma_mixlo_f16 v94, v101, v80, 0
	;; [unrolled: 1-line block ×8, first 2 shown]
	v_fma_mixhi_f16 v93, v101, v77, 0
	v_fma_mixhi_f16 v94, v101, v79, 0
	;; [unrolled: 1-line block ×8, first 2 shown]
	ds_store_b128 v73, v[93:96]
	ds_store_b128 v73, v[97:100] offset:1024
	s_waitcnt lgkmcnt(0)
	s_barrier
	buffer_gl0_inv
	ds_load_b128 v[77:80], v74
	ds_load_b128 v[81:84], v74 offset:16
	ds_load_b128 v[85:88], v74 offset:1024
	;; [unrolled: 1-line block ×3, first 2 shown]
	v_cmp_eq_u32_e64 s26, 6, v70
	v_cmp_eq_u32_e64 s6, 6, v69
	v_cmp_eq_u32_e64 s25, 6, v68
	v_cmp_eq_u32_e64 s28, 7, v70
	v_cmp_eq_u32_e64 s29, 7, v71
	v_cmp_eq_u32_e64 s27, 7, v68
	s_waitcnt lgkmcnt(3)
	v_lshrrev_b32_e32 v93, 16, v77
	s_waitcnt lgkmcnt(2)
	v_lshrrev_b32_e32 v97, 16, v81
	;; [unrolled: 2-line block ×4, first 2 shown]
	v_lshrrev_b32_e32 v94, 16, v78
	v_cndmask_b32_e64 v109, v77, v93, s3
	v_cndmask_b32_e64 v110, v81, v97, s3
	;; [unrolled: 1-line block ×8, first 2 shown]
	v_lshrrev_b32_e32 v98, 16, v82
	v_cndmask_b32_e64 v93, v85, v101, s3
	v_cndmask_b32_e64 v97, v89, v105, s3
	v_cndmask_b32_e64 v115, v85, v101, s8
	v_cndmask_b32_e64 v116, v89, v105, s8
	v_cndmask_b32_e64 v117, v85, v101, s9
	v_cndmask_b32_e64 v118, v89, v105, s9
	v_cndmask_b32_e64 v85, v85, v101, s10
	v_cndmask_b32_e64 v89, v89, v105, s10
	v_cndmask_b32_e64 v101, v109, v78, s4
	v_cndmask_b32_e64 v105, v110, v82, s4
	v_cndmask_b32_e64 v109, v111, v78, s11
	v_cndmask_b32_e64 v110, v112, v82, s11
	v_cndmask_b32_e64 v111, v113, v78, s13
	v_cndmask_b32_e64 v77, v77, v78, s15
	v_cndmask_b32_e64 v78, v81, v82, s15
	v_lshrrev_b32_e32 v102, 16, v86
	v_lshrrev_b32_e32 v106, 16, v90
	v_cndmask_b32_e64 v112, v114, v82, s13
	v_cndmask_b32_e64 v81, v93, v86, s4
	;; [unrolled: 1-line block ×7, first 2 shown]
	v_cndmask_b32_e32 v89, v101, v94, vcc_lo
	v_cndmask_b32_e32 v101, v105, v98, vcc_lo
	v_cndmask_b32_e64 v105, v109, v94, s12
	v_cndmask_b32_e64 v109, v110, v98, s12
	;; [unrolled: 1-line block ×4, first 2 shown]
	v_lshrrev_b32_e32 v95, 16, v79
	v_lshrrev_b32_e32 v99, 16, v83
	v_cndmask_b32_e64 v110, v111, v94, s16
	v_cndmask_b32_e64 v111, v112, v98, s16
	v_cndmask_b32_e32 v81, v81, v102, vcc_lo
	v_cndmask_b32_e32 v82, v82, v106, vcc_lo
	v_cndmask_b32_e64 v93, v93, v102, s12
	v_cndmask_b32_e64 v89, v89, v79, s2
	;; [unrolled: 1-line block ×7, first 2 shown]
	v_lshrrev_b32_e32 v103, 16, v87
	v_cndmask_b32_e64 v105, v110, v79, s20
	v_cndmask_b32_e64 v109, v111, v83, s20
	;; [unrolled: 1-line block ×11, first 2 shown]
	v_lshrrev_b32_e32 v96, 16, v80
	v_lshrrev_b32_e32 v100, 16, v84
	v_cndmask_b32_e64 v98, v105, v95, s22
	v_cndmask_b32_e64 v101, v109, v99, s22
	v_cndmask_b32_e64 v82, v82, v103, s19
	v_cndmask_b32_e64 v93, v93, v80, s24
	v_cndmask_b32_e64 v94, v94, v84, s24
	v_cndmask_b32_e64 v77, v77, v80, s26
	v_cndmask_b32_e64 v78, v78, v84, s26
	v_lshrrev_b32_e32 v104, 16, v88
	v_cndmask_b32_e64 v79, v79, v103, s5
	v_cndmask_b32_e64 v83, v83, v80, s6
	;; [unrolled: 1-line block ×16, first 2 shown]
	v_perm_b32 v80, v78, v77, 0x5040100
	v_perm_b32 v78, v94, v84, 0x5040100
	v_cndmask_b32_e64 v77, v118, v90, s13
	v_cndmask_b32_e64 v84, v116, v90, s11
	;; [unrolled: 1-line block ×3, first 2 shown]
	v_perm_b32 v79, v93, v89, 0x5040100
	v_cndmask_b32_e64 v89, v97, v102, s16
	v_cndmask_b32_e64 v85, v85, v102, s17
	;; [unrolled: 1-line block ×5, first 2 shown]
	v_lshrrev_b32_e32 v107, 16, v91
	v_cndmask_b32_e64 v89, v89, v87, s20
	v_cndmask_b32_e64 v85, v85, v87, s21
	;; [unrolled: 1-line block ×11, first 2 shown]
	v_lshrrev_b32_e32 v108, 16, v92
	v_cndmask_b32_e64 v81, v81, v92, s6
	v_cndmask_b32_e64 v87, v87, v88, s25
	;; [unrolled: 1-line block ×12, first 2 shown]
	v_perm_b32 v77, v83, v82, 0x5040100
	v_perm_b32 v84, v86, v85, 0x5040100
	;; [unrolled: 1-line block ×5, first 2 shown]
	s_lshl_b32 s7, s33, 2
	s_mov_b32 s2, exec_lo
	ds_store_b128 v73, v[77:80]
	ds_store_b128 v73, v[81:84] offset:1024
	v_cmpx_gt_u32_e32 4, v0
	s_cbranch_execz .LBB1249_14
; %bb.13:
	v_or_b32_e32 v77, s31, v0
	s_load_b128 s[8:11], s[0:1], 0x58
	s_delay_alu instid0(VALU_DEP_1) | instskip(NEXT) | instid1(VALU_DEP_1)
	v_mad_u64_u32 v[78:79], null, s7, s30, v[77:78]
	v_mad_u64_u32 v[79:80], null, v78, s34, s[14:15]
	s_delay_alu instid0(VALU_DEP_1) | instskip(NEXT) | instid1(VALU_DEP_1)
	v_ashrrev_i32_e32 v80, 31, v79
	v_lshlrev_b64 v[77:78], 2, v[79:80]
	s_waitcnt lgkmcnt(0)
	s_delay_alu instid0(VALU_DEP_1) | instskip(NEXT) | instid1(VALU_DEP_2)
	v_add_co_u32 v79, vcc_lo, s10, v77
	v_add_co_ci_u32_e32 v80, vcc_lo, s11, v78, vcc_lo
	v_add_co_u32 v77, vcc_lo, s8, v77
	v_add_co_ci_u32_e32 v78, vcc_lo, s9, v78, vcc_lo
	global_store_b32 v[79:80], v75, off
	global_store_b32 v[77:78], v76, off
.LBB1249_14:
	s_or_b32 exec_lo, exec_lo, s2
	s_waitcnt lgkmcnt(0)
	s_waitcnt_vscnt null, 0x0
	s_barrier
	buffer_gl0_inv
	ds_load_b128 v[83:86], v72
	ds_load_b128 v[87:90], v72 offset:16
	ds_load_b128 v[95:98], v72 offset:2064
	;; [unrolled: 1-line block ×5, first 2 shown]
	v_cmp_eq_u32_e32 vcc_lo, 1, v69
	v_mov_b32_e32 v75, 0
	ds_load_b128 v[111:114], v72 offset:6160
	ds_load_b128 v[107:110], v72 offset:6144
	;; [unrolled: 1-line block ×4, first 2 shown]
	v_cmp_eq_u32_e64 s3, 1, v68
	v_cmp_eq_u32_e64 s2, 1, v71
	v_cmp_eq_u32_e64 s4, 2, v71
	v_mov_b32_e32 v76, v75
	v_mov_b32_e32 v77, v75
	;; [unrolled: 1-line block ×7, first 2 shown]
	v_cmp_eq_u32_e64 s5, 3, v71
	v_cmp_eq_u32_e64 s6, 7, v71
	s_waitcnt lgkmcnt(8)
	s_delay_alu instid0(VALU_DEP_3)
	v_wmma_f32_16x16x16_f16 v[75:82], v[49:56], v[83:90], v[75:82]
	ds_load_b128 v[53:56], v72 offset:10256
	ds_load_b128 v[49:52], v72 offset:10240
	s_waitcnt lgkmcnt(8)
	v_wmma_f32_16x16x16_f16 v[75:82], v[41:48], v[91:98], v[75:82]
	ds_load_b128 v[45:48], v72 offset:12304
	ds_load_b128 v[41:44], v72 offset:12288
	s_waitcnt lgkmcnt(8)
	;; [unrolled: 4-line block ×3, first 2 shown]
	s_barrier
	buffer_gl0_inv
	v_wmma_f32_16x16x16_f16 v[75:82], v[1:8], v[107:114], v[75:82]
	s_delay_alu instid0(VALU_DEP_1) | instskip(NEXT) | instid1(VALU_DEP_1)
	v_wmma_f32_16x16x16_f16 v[75:82], v[9:16], v[115:122], v[75:82]
	v_wmma_f32_16x16x16_f16 v[75:82], v[17:24], v[49:56], v[75:82]
	s_delay_alu instid0(VALU_DEP_1) | instskip(NEXT) | instid1(VALU_DEP_1)
	v_wmma_f32_16x16x16_f16 v[75:82], v[25:32], v[41:48], v[75:82]
	v_wmma_f32_16x16x16_f16 v[75:82], v[57:64], v[33:40], v[75:82]
	s_delay_alu instid0(VALU_DEP_1) | instskip(NEXT) | instid1(VALU_DEP_2)
	v_cvt_f16_f32_e32 v1, v75
	v_cvt_f16_f32_e32 v2, v76
	s_delay_alu instid0(VALU_DEP_3) | instskip(NEXT) | instid1(VALU_DEP_4)
	v_cvt_f16_f32_e32 v3, v77
	v_cvt_f16_f32_e32 v4, v78
	;; [unrolled: 1-line block ×6, first 2 shown]
	v_pack_b32_f16 v1, v1, v2
	v_pack_b32_f16 v2, v3, v4
	;; [unrolled: 1-line block ×3, first 2 shown]
	s_delay_alu instid0(VALU_DEP_4)
	v_pack_b32_f16 v4, v7, v8
	ds_store_b128 v73, v[1:4]
	s_waitcnt lgkmcnt(0)
	s_barrier
	buffer_gl0_inv
	ds_load_b128 v[1:4], v74
	ds_load_b128 v[5:8], v74 offset:16
	s_waitcnt lgkmcnt(1)
	v_lshrrev_b32_e32 v9, 16, v1
	s_waitcnt lgkmcnt(0)
	v_lshrrev_b32_e32 v13, 16, v5
	v_lshrrev_b32_e32 v10, 16, v2
	;; [unrolled: 1-line block ×4, first 2 shown]
	v_cndmask_b32_e32 v17, v1, v9, vcc_lo
	v_cndmask_b32_e32 v18, v5, v13, vcc_lo
	v_cndmask_b32_e64 v21, v1, v9, s3
	v_cmp_eq_u32_e32 vcc_lo, 1, v70
	v_cndmask_b32_e64 v22, v5, v13, s3
	v_cmp_eq_u32_e64 s3, 2, v69
	v_cndmask_b32_e64 v19, v1, v9, s2
	v_cndmask_b32_e64 v20, v5, v13, s2
	v_cndmask_b32_e32 v1, v1, v9, vcc_lo
	v_cmp_eq_u32_e64 s2, 2, v70
	v_cndmask_b32_e32 v5, v5, v13, vcc_lo
	v_cndmask_b32_e64 v9, v17, v2, s3
	v_cmp_eq_u32_e32 vcc_lo, 3, v69
	v_cndmask_b32_e64 v13, v18, v6, s3
	v_cmp_eq_u32_e64 s3, 2, v68
	v_cndmask_b32_e64 v17, v19, v2, s4
	v_cndmask_b32_e64 v18, v20, v6, s4
	v_cmp_eq_u32_e64 s4, 3, v68
	v_cndmask_b32_e64 v1, v1, v2, s2
	v_cndmask_b32_e64 v19, v21, v2, s3
	;; [unrolled: 1-line block ×4, first 2 shown]
	v_cndmask_b32_e32 v5, v9, v10, vcc_lo
	v_cndmask_b32_e32 v6, v13, v14, vcc_lo
	v_cmp_eq_u32_e32 vcc_lo, 3, v70
	v_cndmask_b32_e64 v9, v17, v10, s5
	v_cndmask_b32_e64 v13, v18, v14, s5
	;; [unrolled: 1-line block ×3, first 2 shown]
	v_cmp_eq_u32_e64 s3, 4, v69
	v_cndmask_b32_e32 v1, v1, v10, vcc_lo
	v_cndmask_b32_e32 v2, v2, v14, vcc_lo
	v_cmp_eq_u32_e32 vcc_lo, 4, v71
	v_lshrrev_b32_e32 v15, 16, v7
	v_lshrrev_b32_e32 v16, 16, v8
	v_cndmask_b32_e64 v17, v19, v10, s4
	v_cmp_eq_u32_e64 s2, 4, v70
	v_cndmask_b32_e64 v5, v5, v3, s3
	v_cndmask_b32_e64 v6, v6, v7, s3
	v_cndmask_b32_e32 v9, v9, v3, vcc_lo
	v_cmp_eq_u32_e64 s3, 5, v71
	v_cndmask_b32_e32 v10, v13, v7, vcc_lo
	v_cmp_eq_u32_e32 vcc_lo, 4, v68
	v_cmp_eq_u32_e64 s4, 5, v69
	v_cndmask_b32_e64 v2, v2, v7, s2
	v_cndmask_b32_e64 v9, v9, v11, s3
	;; [unrolled: 1-line block ×3, first 2 shown]
	v_cndmask_b32_e32 v13, v17, v3, vcc_lo
	v_cmp_eq_u32_e64 s3, 5, v68
	v_cndmask_b32_e32 v14, v18, v7, vcc_lo
	v_cndmask_b32_e64 v1, v1, v3, s2
	v_cmp_eq_u32_e32 vcc_lo, 5, v70
	v_lshrrev_b32_e32 v12, 16, v4
	v_cndmask_b32_e64 v13, v13, v11, s3
	v_cndmask_b32_e64 v3, v14, v15, s3
	v_cmp_eq_u32_e64 s3, 6, v70
	v_cndmask_b32_e32 v1, v1, v11, vcc_lo
	v_cndmask_b32_e64 v5, v5, v11, s4
	v_cmp_eq_u32_e64 s5, 6, v69
	v_cndmask_b32_e64 v6, v6, v15, s4
	v_cmp_eq_u32_e64 s4, 6, v71
	v_cmp_eq_u32_e64 s2, 6, v68
	v_cndmask_b32_e64 v1, v1, v4, s3
	v_cndmask_b32_e32 v2, v2, v15, vcc_lo
	v_cmp_eq_u32_e32 vcc_lo, 7, v70
	v_cndmask_b32_e64 v5, v5, v4, s5
	v_cndmask_b32_e64 v9, v9, v4, s4
	;; [unrolled: 1-line block ×3, first 2 shown]
	v_cmp_eq_u32_e64 s5, 7, v69
	v_cndmask_b32_e32 v1, v1, v12, vcc_lo
	v_cndmask_b32_e64 v7, v13, v4, s2
	v_cndmask_b32_e64 v3, v3, v8, s2
	;; [unrolled: 1-line block ×3, first 2 shown]
	v_cmp_eq_u32_e64 s2, 7, v68
	v_cndmask_b32_e64 v4, v10, v8, s4
	v_cndmask_b32_e64 v5, v5, v12, s5
	;; [unrolled: 1-line block ×3, first 2 shown]
	v_cndmask_b32_e32 v2, v2, v16, vcc_lo
	v_cndmask_b32_e64 v7, v7, v12, s2
	v_cndmask_b32_e64 v3, v3, v16, s2
	;; [unrolled: 1-line block ×4, first 2 shown]
	v_perm_b32 v4, v2, v1, 0x5040100
	s_mov_b32 s2, exec_lo
	v_perm_b32 v3, v3, v7, 0x5040100
	v_perm_b32 v2, v8, v9, 0x5040100
	;; [unrolled: 1-line block ×3, first 2 shown]
	ds_store_b128 v73, v[1:4]
	s_waitcnt lgkmcnt(0)
	s_barrier
	buffer_gl0_inv
	v_cmpx_gt_u32_e32 32, v0
	s_cbranch_execz .LBB1249_2
; %bb.15:
	s_load_b64 s[0:1], s[0:1], 0x68
	v_lshlrev_b32_e32 v0, 10, v0
	v_or_b32_e32 v1, s31, v66
	s_lshl_b32 s4, s34, 7
	v_lshlrev_b32_e32 v2, 4, v67
	s_mul_i32 s2, s4, s30
	v_lshlrev_b32_e32 v3, 6, v66
	v_mul_lo_u32 v8, v1, s4
	v_and_b32_e32 v0, 0x3800, v0
	v_or_b32_e32 v1, 2, v1
	s_mul_i32 s2, s2, s7
	s_delay_alu instid0(SALU_CYCLE_1) | instskip(NEXT) | instid1(VALU_DEP_2)
	s_ashr_i32 s3, s2, 31
	v_or3_b32 v4, v0, v2, v3
	s_lshl_b64 s[2:3], s[2:3], 1
	v_mul_lo_u32 v10, v1, s4
	v_ashrrev_i32_e32 v9, 31, v8
	ds_load_b128 v[0:3], v4
	ds_load_b128 v[4:7], v4 offset:128
	s_waitcnt lgkmcnt(0)
	s_add_u32 s2, s0, s2
	s_addc_u32 s3, s1, s3
	s_lshl_b32 s0, s14, 7
	v_ashrrev_i32_e32 v11, 31, v10
	s_ashr_i32 s1, s0, 31
	v_lshlrev_b64 v[8:9], 1, v[8:9]
	s_lshl_b64 s[0:1], s[0:1], 1
	s_delay_alu instid0(SALU_CYCLE_1) | instskip(SKIP_2) | instid1(VALU_DEP_1)
	s_add_u32 s0, s2, s0
	s_addc_u32 s1, s3, s1
	v_add_co_u32 v12, s0, s0, v65
	v_add_co_ci_u32_e64 v13, null, s1, 0, s0
	v_lshlrev_b64 v[10:11], 1, v[10:11]
	s_delay_alu instid0(VALU_DEP_3) | instskip(NEXT) | instid1(VALU_DEP_3)
	v_add_co_u32 v8, vcc_lo, v12, v8
	v_add_co_ci_u32_e32 v9, vcc_lo, v13, v9, vcc_lo
	s_delay_alu instid0(VALU_DEP_3) | instskip(NEXT) | instid1(VALU_DEP_4)
	v_add_co_u32 v10, vcc_lo, v12, v10
	v_add_co_ci_u32_e32 v11, vcc_lo, v13, v11, vcc_lo
	s_clause 0x1
	global_store_b128 v[8:9], v[0:3], off
	global_store_b128 v[10:11], v[4:7], off
	s_nop 0
	s_sendmsg sendmsg(MSG_DEALLOC_VGPRS)
	s_endpgm
	.section	.rodata,"a",@progbits
	.p2align	6, 0x0
	.amdhsa_kernel _Z39paged_attention_ll4mi_QKV_mfma16_kernelIDF16_hLN4vllm18Fp8KVCacheDataTypeE1EhLi16ELi128ELi256ELb0ELi4EL8MFMAType0EEvPKT_PKT0_S8_ifPKiSA_SA_iPKfiiiPfSD_PS3_PT2_iSC_SC_
		.amdhsa_group_segment_fixed_size 17472
		.amdhsa_private_segment_fixed_size 0
		.amdhsa_kernarg_size 400
		.amdhsa_user_sgpr_count 13
		.amdhsa_user_sgpr_dispatch_ptr 0
		.amdhsa_user_sgpr_queue_ptr 0
		.amdhsa_user_sgpr_kernarg_segment_ptr 1
		.amdhsa_user_sgpr_dispatch_id 0
		.amdhsa_user_sgpr_private_segment_size 0
		.amdhsa_wavefront_size32 1
		.amdhsa_uses_dynamic_stack 0
		.amdhsa_enable_private_segment 0
		.amdhsa_system_sgpr_workgroup_id_x 1
		.amdhsa_system_sgpr_workgroup_id_y 1
		.amdhsa_system_sgpr_workgroup_id_z 1
		.amdhsa_system_sgpr_workgroup_info 0
		.amdhsa_system_vgpr_workitem_id 0
		.amdhsa_next_free_vgpr 140
		.amdhsa_next_free_sgpr 36
		.amdhsa_reserve_vcc 1
		.amdhsa_float_round_mode_32 0
		.amdhsa_float_round_mode_16_64 0
		.amdhsa_float_denorm_mode_32 3
		.amdhsa_float_denorm_mode_16_64 3
		.amdhsa_dx10_clamp 1
		.amdhsa_ieee_mode 1
		.amdhsa_fp16_overflow 0
		.amdhsa_workgroup_processor_mode 1
		.amdhsa_memory_ordered 1
		.amdhsa_forward_progress 0
		.amdhsa_shared_vgpr_count 0
		.amdhsa_exception_fp_ieee_invalid_op 0
		.amdhsa_exception_fp_denorm_src 0
		.amdhsa_exception_fp_ieee_div_zero 0
		.amdhsa_exception_fp_ieee_overflow 0
		.amdhsa_exception_fp_ieee_underflow 0
		.amdhsa_exception_fp_ieee_inexact 0
		.amdhsa_exception_int_div_zero 0
	.end_amdhsa_kernel
	.section	.text._Z39paged_attention_ll4mi_QKV_mfma16_kernelIDF16_hLN4vllm18Fp8KVCacheDataTypeE1EhLi16ELi128ELi256ELb0ELi4EL8MFMAType0EEvPKT_PKT0_S8_ifPKiSA_SA_iPKfiiiPfSD_PS3_PT2_iSC_SC_,"axG",@progbits,_Z39paged_attention_ll4mi_QKV_mfma16_kernelIDF16_hLN4vllm18Fp8KVCacheDataTypeE1EhLi16ELi128ELi256ELb0ELi4EL8MFMAType0EEvPKT_PKT0_S8_ifPKiSA_SA_iPKfiiiPfSD_PS3_PT2_iSC_SC_,comdat
.Lfunc_end1249:
	.size	_Z39paged_attention_ll4mi_QKV_mfma16_kernelIDF16_hLN4vllm18Fp8KVCacheDataTypeE1EhLi16ELi128ELi256ELb0ELi4EL8MFMAType0EEvPKT_PKT0_S8_ifPKiSA_SA_iPKfiiiPfSD_PS3_PT2_iSC_SC_, .Lfunc_end1249-_Z39paged_attention_ll4mi_QKV_mfma16_kernelIDF16_hLN4vllm18Fp8KVCacheDataTypeE1EhLi16ELi128ELi256ELb0ELi4EL8MFMAType0EEvPKT_PKT0_S8_ifPKiSA_SA_iPKfiiiPfSD_PS3_PT2_iSC_SC_
                                        ; -- End function
	.section	.AMDGPU.csdata,"",@progbits
; Kernel info:
; codeLenInByte = 6500
; NumSgprs: 38
; NumVgprs: 140
; ScratchSize: 0
; MemoryBound: 0
; FloatMode: 240
; IeeeMode: 1
; LDSByteSize: 17472 bytes/workgroup (compile time only)
; SGPRBlocks: 4
; VGPRBlocks: 17
; NumSGPRsForWavesPerEU: 38
; NumVGPRsForWavesPerEU: 140
; Occupancy: 10
; WaveLimiterHint : 1
; COMPUTE_PGM_RSRC2:SCRATCH_EN: 0
; COMPUTE_PGM_RSRC2:USER_SGPR: 13
; COMPUTE_PGM_RSRC2:TRAP_HANDLER: 0
; COMPUTE_PGM_RSRC2:TGID_X_EN: 1
; COMPUTE_PGM_RSRC2:TGID_Y_EN: 1
; COMPUTE_PGM_RSRC2:TGID_Z_EN: 1
; COMPUTE_PGM_RSRC2:TIDIG_COMP_CNT: 0
	.section	.text._Z39paged_attention_ll4mi_QKV_mfma16_kernelIDF16_hLN4vllm18Fp8KVCacheDataTypeE1EDF16_Li16ELi128ELi256ELb1ELi5EL8MFMAType0EEvPKT_PKT0_S8_ifPKiSA_SA_iPKfiiiPfSD_PS3_PT2_iSC_SC_,"axG",@progbits,_Z39paged_attention_ll4mi_QKV_mfma16_kernelIDF16_hLN4vllm18Fp8KVCacheDataTypeE1EDF16_Li16ELi128ELi256ELb1ELi5EL8MFMAType0EEvPKT_PKT0_S8_ifPKiSA_SA_iPKfiiiPfSD_PS3_PT2_iSC_SC_,comdat
	.protected	_Z39paged_attention_ll4mi_QKV_mfma16_kernelIDF16_hLN4vllm18Fp8KVCacheDataTypeE1EDF16_Li16ELi128ELi256ELb1ELi5EL8MFMAType0EEvPKT_PKT0_S8_ifPKiSA_SA_iPKfiiiPfSD_PS3_PT2_iSC_SC_ ; -- Begin function _Z39paged_attention_ll4mi_QKV_mfma16_kernelIDF16_hLN4vllm18Fp8KVCacheDataTypeE1EDF16_Li16ELi128ELi256ELb1ELi5EL8MFMAType0EEvPKT_PKT0_S8_ifPKiSA_SA_iPKfiiiPfSD_PS3_PT2_iSC_SC_
	.globl	_Z39paged_attention_ll4mi_QKV_mfma16_kernelIDF16_hLN4vllm18Fp8KVCacheDataTypeE1EDF16_Li16ELi128ELi256ELb1ELi5EL8MFMAType0EEvPKT_PKT0_S8_ifPKiSA_SA_iPKfiiiPfSD_PS3_PT2_iSC_SC_
	.p2align	8
	.type	_Z39paged_attention_ll4mi_QKV_mfma16_kernelIDF16_hLN4vllm18Fp8KVCacheDataTypeE1EDF16_Li16ELi128ELi256ELb1ELi5EL8MFMAType0EEvPKT_PKT0_S8_ifPKiSA_SA_iPKfiiiPfSD_PS3_PT2_iSC_SC_,@function
_Z39paged_attention_ll4mi_QKV_mfma16_kernelIDF16_hLN4vllm18Fp8KVCacheDataTypeE1EDF16_Li16ELi128ELi256ELb1ELi5EL8MFMAType0EEvPKT_PKT0_S8_ifPKiSA_SA_iPKfiiiPfSD_PS3_PT2_iSC_SC_: ; @_Z39paged_attention_ll4mi_QKV_mfma16_kernelIDF16_hLN4vllm18Fp8KVCacheDataTypeE1EDF16_Li16ELi128ELi256ELb1ELi5EL8MFMAType0EEvPKT_PKT0_S8_ifPKiSA_SA_iPKfiiiPfSD_PS3_PT2_iSC_SC_
; %bb.0:
	s_load_b64 s[4:5], s[0:1], 0x30
	s_mov_b32 s34, s13
	s_waitcnt lgkmcnt(0)
	s_cmp_lg_u64 s[4:5], 0
	s_cselect_b32 s8, -1, 0
	s_ashr_i32 s35, s13, 31
	s_cmp_eq_u64 s[4:5], 0
	s_cbranch_scc1 .LBB1250_3
; %bb.1:
	s_lshl_b64 s[2:3], s[34:35], 2
	s_delay_alu instid0(SALU_CYCLE_1) | instskip(SKIP_4) | instid1(SALU_CYCLE_1)
	s_add_u32 s2, s4, s2
	s_addc_u32 s3, s5, s3
	s_load_b64 s[2:3], s[2:3], 0x0
	s_waitcnt lgkmcnt(0)
	s_sub_i32 s2, s3, s2
	s_cmp_eq_u32 s2, 1
	s_cselect_b32 s2, -1, 0
	s_delay_alu instid0(SALU_CYCLE_1)
	s_and_not1_b32 vcc_lo, exec_lo, s2
	s_cbranch_vccz .LBB1250_4
.LBB1250_2:
	s_nop 0
	s_sendmsg sendmsg(MSG_DEALLOC_VGPRS)
	s_endpgm
.LBB1250_3:
.LBB1250_4:
	s_load_b64 s[2:3], s[0:1], 0x28
	s_lshl_b64 s[6:7], s[34:35], 2
	s_waitcnt lgkmcnt(0)
	s_add_u32 s2, s2, s6
	s_addc_u32 s3, s3, s7
	s_lshl_b32 s12, s14, 8
	s_load_b32 s24, s[2:3], 0x0
	s_waitcnt lgkmcnt(0)
	s_cmp_ge_i32 s12, s24
	s_cbranch_scc1 .LBB1250_2
; %bb.5:
	s_clause 0x1
	s_load_b128 s[20:23], s[0:1], 0x8
	s_load_b64 s[2:3], s[0:1], 0x20
	s_and_not1_b32 vcc_lo, exec_lo, s8
	s_cbranch_vccnz .LBB1250_7
; %bb.6:
	s_add_u32 s4, s4, s6
	s_addc_u32 s5, s5, s7
	s_load_b32 s5, s[4:5], 0x0
	s_branch .LBB1250_8
.LBB1250_7:
	s_mov_b32 s5, s34
.LBB1250_8:
	s_load_b128 s[16:19], s[0:1], 0x48
	v_and_b32_e32 v68, 15, v0
	v_lshrrev_b32_e32 v69, 5, v0
	v_bfe_u32 v66, v0, 4, 1
	v_and_b32_e32 v70, 31, v0
	v_and_b32_e32 v67, 1, v0
	v_lshlrev_b32_e32 v2, 3, v68
	s_mul_i32 s31, s15, 5
	v_lshl_or_b32 v1, v69, 1, v66
	s_mov_b32 s4, exec_lo
	s_delay_alu instid0(VALU_DEP_2) | instskip(NEXT) | instid1(VALU_DEP_2)
	v_lshlrev_b32_e32 v65, 1, v2
	v_cmpx_gt_u32_e32 5, v1
	s_cbranch_execz .LBB1250_10
; %bb.9:
	s_load_b64 s[6:7], s[0:1], 0x0
	v_add_lshl_u32 v2, v1, s31, 7
	s_waitcnt lgkmcnt(0)
	s_mul_hi_i32 s9, s5, s16
	s_mul_i32 s8, s5, s16
	v_lshlrev_b32_e32 v6, 10, v68
	s_lshl_b64 s[8:9], s[8:9], 1
	v_ashrrev_i32_e32 v3, 31, v2
	v_lshlrev_b32_e32 v1, 6, v1
	v_lshlrev_b32_e32 v7, 10, v67
	v_and_b32_e32 v6, 0x3800, v6
	s_delay_alu instid0(VALU_DEP_4) | instskip(NEXT) | instid1(VALU_DEP_2)
	v_lshlrev_b64 v[2:3], 1, v[2:3]
	v_or3_b32 v1, v6, v7, v1
	s_add_u32 s5, s6, s8
	s_addc_u32 s6, s7, s9
	s_delay_alu instid0(VALU_DEP_2) | instskip(NEXT) | instid1(VALU_DEP_3)
	v_add_co_u32 v2, vcc_lo, s5, v2
	v_add_co_ci_u32_e32 v3, vcc_lo, s6, v3, vcc_lo
	s_delay_alu instid0(VALU_DEP_2) | instskip(NEXT) | instid1(VALU_DEP_2)
	v_add_co_u32 v2, vcc_lo, v2, v65
	v_add_co_ci_u32_e32 v3, vcc_lo, 0, v3, vcc_lo
	global_load_b128 v[2:5], v[2:3], off
	s_waitcnt vmcnt(0)
	ds_store_b128 v1, v[2:5]
.LBB1250_10:
	s_or_b32 exec_lo, exec_lo, s4
	v_and_b32_e32 v1, 0xef, v0
	s_waitcnt lgkmcnt(0)
	s_add_i32 s5, s24, 15
	s_clause 0x1
	s_load_b32 s4, s[0:1], 0x38
	s_load_b32 s33, s[0:1], 0x98
	s_ashr_i32 s6, s5, 31
	v_add_nc_u32_e32 v1, s12, v1
	s_lshr_b32 s6, s6, 28
	s_load_b32 s19, s[0:1], 0x1c
	s_add_i32 s5, s5, s6
	s_waitcnt lgkmcnt(0)
	v_ashrrev_i32_e32 v2, 31, v1
	v_or_b32_e32 v3, 16, v1
	s_ashr_i32 s13, s5, 4
	v_cmp_gt_i32_e32 vcc_lo, s24, v1
	s_add_i32 s13, s13, -1
	v_lshrrev_b32_e32 v2, 28, v2
	s_barrier
	buffer_gl0_inv
	s_mul_i32 s15, s15, s18
	v_add_nc_u32_e32 v4, v1, v2
	s_mul_i32 s4, s34, s4
	s_delay_alu instid0(SALU_CYCLE_1) | instskip(NEXT) | instid1(VALU_DEP_1)
	s_ashr_i32 s5, s4, 31
	v_ashrrev_i32_e32 v4, 4, v4
	v_add_nc_u32_e32 v2, v3, v2
	s_lshl_b64 s[4:5], s[4:5], 2
	s_delay_alu instid0(SALU_CYCLE_1) | instskip(NEXT) | instid1(VALU_DEP_2)
	s_add_u32 s16, s2, s4
	v_cndmask_b32_e32 v1, s13, v4, vcc_lo
	s_delay_alu instid0(VALU_DEP_2)
	v_ashrrev_i32_e32 v2, 4, v2
	v_cmp_gt_i32_e32 vcc_lo, s24, v3
	s_addc_u32 s25, s3, s5
	s_ashr_i32 s18, s15, 31
	s_add_u32 s26, s20, s15
	s_addc_u32 s27, s21, s18
	v_cndmask_b32_e32 v3, s13, v2, vcc_lo
	v_ashrrev_i32_e32 v2, 31, v1
	s_lshl_b32 s2, s14, 4
	s_delay_alu instid0(SALU_CYCLE_1) | instskip(NEXT) | instid1(VALU_DEP_2)
	s_ashr_i32 s3, s2, 31
	v_ashrrev_i32_e32 v4, 31, v3
	s_delay_alu instid0(VALU_DEP_2) | instskip(SKIP_1) | instid1(SALU_CYCLE_1)
	v_lshlrev_b64 v[1:2], 2, v[1:2]
	s_lshl_b64 s[2:3], s[2:3], 2
	s_add_u32 s2, s16, s2
	s_delay_alu instid0(VALU_DEP_2) | instskip(SKIP_1) | instid1(VALU_DEP_2)
	v_lshlrev_b64 v[3:4], 2, v[3:4]
	s_addc_u32 s3, s25, s3
	v_add_co_u32 v1, vcc_lo, s16, v1
	v_add_co_ci_u32_e32 v2, vcc_lo, s25, v2, vcc_lo
	s_delay_alu instid0(VALU_DEP_3) | instskip(NEXT) | instid1(VALU_DEP_4)
	v_add_co_u32 v3, vcc_lo, s16, v3
	v_add_co_ci_u32_e32 v4, vcc_lo, s25, v4, vcc_lo
	s_clause 0x1
	global_load_b32 v5, v[1:2], off
	global_load_b32 v7, v[3:4], off
	s_or_b32 s4, s12, 32
	v_lshlrev_b32_e32 v1, 4, v0
	s_ashr_i32 s5, s4, 4
	s_cmp_lt_i32 s4, s24
	s_cselect_b32 s4, s5, s13
	s_delay_alu instid0(VALU_DEP_1) | instskip(SKIP_1) | instid1(SALU_CYCLE_1)
	v_and_b32_e32 v1, 0xf0, v1
	s_ashr_i32 s5, s4, 31
	s_lshl_b64 s[4:5], s[4:5], 2
	s_delay_alu instid0(SALU_CYCLE_1)
	s_add_u32 s4, s16, s4
	s_addc_u32 s5, s25, s5
	s_or_b32 s6, s12, 64
	v_add_co_u32 v1, s26, s26, v1
	s_ashr_i32 s7, s6, 4
	s_cmp_lt_i32 s6, s24
	v_add_co_ci_u32_e64 v2, null, s27, 0, s26
	s_cselect_b32 s6, s7, s13
	s_delay_alu instid0(SALU_CYCLE_1) | instskip(NEXT) | instid1(SALU_CYCLE_1)
	s_ashr_i32 s7, s6, 31
	s_lshl_b64 s[6:7], s[6:7], 2
	s_delay_alu instid0(SALU_CYCLE_1) | instskip(SKIP_2) | instid1(SALU_CYCLE_1)
	s_add_u32 s6, s16, s6
	s_addc_u32 s7, s25, s7
	s_or_b32 s8, s12, 0x60
	s_ashr_i32 s9, s8, 4
	s_cmp_lt_i32 s8, s24
	s_cselect_b32 s8, s9, s13
	s_delay_alu instid0(SALU_CYCLE_1) | instskip(NEXT) | instid1(SALU_CYCLE_1)
	s_ashr_i32 s9, s8, 31
	s_lshl_b64 s[8:9], s[8:9], 2
	s_delay_alu instid0(SALU_CYCLE_1) | instskip(SKIP_2) | instid1(SALU_CYCLE_1)
	s_add_u32 s8, s16, s8
	s_addc_u32 s9, s25, s9
	s_or_b32 s10, s12, 0x80
	s_ashr_i32 s11, s10, 4
	s_cmp_lt_i32 s10, s24
	;; [unrolled: 10-line block ×3, first 2 shown]
	s_cselect_b32 s20, s21, s13
	s_delay_alu instid0(SALU_CYCLE_1) | instskip(NEXT) | instid1(SALU_CYCLE_1)
	s_ashr_i32 s21, s20, 31
	s_lshl_b64 s[20:21], s[20:21], 2
	s_delay_alu instid0(SALU_CYCLE_1)
	s_add_u32 s20, s16, s20
	s_addc_u32 s21, s25, s21
	s_clause 0x5
	s_load_b32 s26, s[2:3], 0x0
	s_load_b32 s27, s[4:5], 0x0
	;; [unrolled: 1-line block ×6, first 2 shown]
	s_or_b32 s2, s12, 0xc0
	s_mov_b32 s4, 0
	s_ashr_i32 s3, s2, 4
	s_cmp_lt_i32 s2, s24
	s_mov_b32 s11, s4
	s_cselect_b32 s2, s3, s13
	s_mov_b32 s5, s4
	s_ashr_i32 s3, s2, 31
	s_mov_b32 s6, s4
	s_lshl_b64 s[2:3], s[2:3], 2
	s_mov_b32 s7, s4
	s_add_u32 s2, s16, s2
	s_addc_u32 s3, s25, s3
	s_or_b32 s20, s12, 0xe0
	s_mov_b32 s8, s4
	s_ashr_i32 s21, s20, 4
	s_cmp_lt_i32 s20, s24
	s_mov_b32 s9, s4
	s_cselect_b32 s20, s21, s13
	s_mov_b32 s10, s4
	s_ashr_i32 s21, s20, 31
	v_mov_b32_e32 v118, s11
	v_dual_mov_b32 v112, s5 :: v_dual_mov_b32 v117, s10
	v_dual_mov_b32 v116, s9 :: v_dual_mov_b32 v115, s8
	;; [unrolled: 1-line block ×3, first 2 shown]
	v_mov_b32_e32 v111, s4
	s_lshl_b64 s[4:5], s[20:21], 2
	s_delay_alu instid0(SALU_CYCLE_1)
	s_add_u32 s4, s16, s4
	s_addc_u32 s5, s25, s5
	s_add_u32 s6, s22, s15
	s_addc_u32 s7, s23, s18
	s_waitcnt vmcnt(1)
	v_mad_i64_i32 v[3:4], null, v5, s17, v[1:2]
	s_waitcnt vmcnt(0)
	v_mad_i64_i32 v[5:6], null, v7, s17, v[1:2]
	v_mul_lo_u16 v1, v68, 52
	v_lshlrev_b32_e32 v2, 4, v68
	s_clause 0xf
	global_load_b128 v[17:20], v[3:4], off
	global_load_b128 v[21:24], v[3:4], off offset:256
	global_load_b128 v[25:28], v[5:6], off
	global_load_b128 v[29:32], v[5:6], off offset:256
	global_load_b128 v[57:60], v[3:4], off offset:512
	;; [unrolled: 1-line block ×13, first 2 shown]
	v_lshrrev_b16 v1, 8, v1
	s_delay_alu instid0(VALU_DEP_1) | instskip(NEXT) | instid1(VALU_DEP_1)
	v_mul_lo_u16 v1, v1, 5
	v_sub_nc_u16 v1, v68, v1
	s_delay_alu instid0(VALU_DEP_1) | instskip(NEXT) | instid1(VALU_DEP_1)
	v_and_b32_e32 v1, 0xff, v1
	v_lshlrev_b32_e32 v149, 6, v1
	v_lshl_or_b32 v1, v69, 8, v2
	ds_load_b128 v[119:122], v149
	ds_load_b128 v[123:126], v149 offset:1024
	ds_load_b128 v[127:130], v149 offset:2048
	;; [unrolled: 1-line block ×3, first 2 shown]
	s_clause 0x1
	s_load_b32 s2, s[2:3], 0x0
	s_load_b32 s3, s[4:5], 0x0
	v_add_co_u32 v135, s6, s6, v1
	s_delay_alu instid0(VALU_DEP_1) | instskip(SKIP_1) | instid1(VALU_DEP_1)
	v_add_co_ci_u32_e64 v136, null, s7, 0, s6
	s_waitcnt lgkmcnt(0)
	v_mad_i64_i32 v[1:2], null, s26, s17, v[135:136]
	v_mad_i64_i32 v[3:4], null, s27, s17, v[135:136]
	;; [unrolled: 1-line block ×6, first 2 shown]
	s_clause 0x9
	global_load_b128 v[49:52], v[1:2], off
	global_load_b128 v[53:56], v[1:2], off offset:16
	global_load_b128 v[41:44], v[3:4], off
	global_load_b128 v[45:48], v[3:4], off offset:16
	;; [unrolled: 2-line block ×5, first 2 shown]
	v_mad_i64_i32 v[145:146], null, s2, s17, v[135:136]
	v_mad_i64_i32 v[147:148], null, s3, s17, v[135:136]
	s_waitcnt vmcnt(24)
	v_wmma_f32_16x16x16_f16 v[135:142], v[17:24], v[119:126], v[111:118]
	s_waitcnt vmcnt(22)
	v_wmma_f32_16x16x16_f16 v[111:118], v[25:32], v[119:126], v[111:118]
	s_clause 0x3
	global_load_b128 v[17:20], v[143:144], off
	global_load_b128 v[21:24], v[143:144], off offset:16
	global_load_b128 v[25:28], v[145:146], off
	global_load_b128 v[29:32], v[145:146], off offset:16
	v_and_b32_e32 v119, 0xe0, v0
	s_waitcnt vmcnt(24)
	v_wmma_f32_16x16x16_f16 v[135:142], v[57:64], v[127:134], v[135:142]
	s_clause 0x1
	global_load_b128 v[57:60], v[147:148], off
	global_load_b128 v[61:64], v[147:148], off offset:16
	s_waitcnt vmcnt(24)
	v_wmma_f32_16x16x16_f16 v[111:118], v[71:78], v[127:134], v[111:118]
	ds_load_b128 v[71:74], v149 offset:4096
	ds_load_b128 v[75:78], v149 offset:5120
	v_add_nc_u32_e32 v128, s12, v119
	ds_load_b128 v[119:122], v149 offset:6144
	ds_load_b128 v[123:126], v149 offset:7168
	v_mbcnt_lo_u32_b32 v127, -1, 0
	s_waitcnt vmcnt(0) lgkmcnt(0)
	s_barrier
	v_or_b32_e32 v128, v128, v66
	buffer_gl0_inv
	v_xor_b32_e32 v129, 16, v127
	v_or_b32_e32 v130, 4, v128
	v_or_b32_e32 v131, 6, v128
	s_delay_alu instid0(VALU_DEP_3) | instskip(SKIP_4) | instid1(VALU_DEP_4)
	v_cmp_gt_i32_e32 vcc_lo, 32, v129
	v_or_b32_e32 v132, 8, v128
	v_or_b32_e32 v133, 10, v128
	v_cmp_gt_i32_e64 s3, s24, v130
	v_cmp_gt_i32_e64 s4, s24, v131
	v_cmp_gt_i32_e64 s5, s24, v132
	v_wmma_f32_16x16x16_f16 v[135:142], v[79:86], v[71:78], v[135:142]
	v_wmma_f32_16x16x16_f16 v[111:118], v[87:94], v[71:78], v[111:118]
	v_or_b32_e32 v79, 12, v128
	v_or_b32_e32 v80, 14, v128
	v_cmp_gt_i32_e64 s6, s24, v133
	v_wmma_f32_16x16x16_f16 v[135:142], v[95:102], v[119:126], v[135:142]
	v_wmma_f32_16x16x16_f16 v[111:118], v[103:110], v[119:126], v[111:118]
	v_cndmask_b32_e32 v127, v127, v129, vcc_lo
	v_or_b32_e32 v129, 2, v128
	v_cmp_gt_i32_e32 vcc_lo, s24, v128
	s_delay_alu instid0(VALU_DEP_4) | instskip(SKIP_1) | instid1(VALU_DEP_4)
	v_dual_mul_f32 v87, s19, v136 :: v_dual_mul_f32 v94, s19, v113
	v_mul_f32_e32 v88, s19, v135
	v_cmp_gt_i32_e64 s2, s24, v129
	v_mul_f32_e32 v78, s19, v138
	v_mul_f32_e32 v86, s19, v137
	;; [unrolled: 1-line block ×3, first 2 shown]
	v_cndmask_b32_e32 v88, 0xff7fffff, v88, vcc_lo
	v_cndmask_b32_e64 v87, 0xff7fffff, v87, s2
	v_dual_mul_f32 v77, s19, v139 :: v_dual_mul_f32 v90, s19, v117
	v_cndmask_b32_e64 v86, 0xff7fffff, v86, s3
	v_cndmask_b32_e64 v78, 0xff7fffff, v78, s4
	s_delay_alu instid0(VALU_DEP_4)
	v_max3_f32 v87, v88, 0xff7fffff, v87
	v_or_b32_e32 v81, 16, v128
	v_or_b32_e32 v82, 18, v128
	v_dual_mul_f32 v74, s19, v142 :: v_dual_mul_f32 v75, s19, v141
	v_mul_f32_e32 v96, s19, v111
	v_cndmask_b32_e64 v77, 0xff7fffff, v77, s5
	v_cndmask_b32_e64 v76, 0xff7fffff, v76, s6
	v_max3_f32 v78, v87, v86, v78
	v_cmp_gt_i32_e64 s7, s24, v79
	v_cmp_gt_i32_e64 s8, s24, v80
	v_or_b32_e32 v83, 20, v128
	v_or_b32_e32 v84, 22, v128
	v_mul_f32_e32 v95, s19, v112
	v_cndmask_b32_e64 v75, 0xff7fffff, v75, s7
	v_cndmask_b32_e64 v74, 0xff7fffff, v74, s8
	v_max3_f32 v76, v78, v77, v76
	v_cmp_gt_i32_e64 s9, s24, v81
	v_cmp_gt_i32_e64 s10, s24, v82
	v_or_b32_e32 v85, 24, v128
	v_or_b32_e32 v71, 26, v128
	;; [unrolled: 8-line block ×3, first 2 shown]
	v_dual_mul_f32 v91, s19, v116 :: v_dual_mul_f32 v92, s19, v115
	v_cndmask_b32_e64 v75, 0xff7fffff, v94, s11
	v_cndmask_b32_e64 v76, 0xff7fffff, v93, s12
	v_max3_f32 v74, v74, v77, v78
	v_cmp_gt_i32_e64 s13, s24, v85
	v_cmp_gt_i32_e64 s15, s24, v71
	v_mul_f32_e32 v89, s19, v118
	v_cmp_gt_i32_e64 s16, s24, v72
	v_max3_f32 v74, v74, v75, v76
	v_cndmask_b32_e64 v77, 0xff7fffff, v92, s13
	v_cndmask_b32_e64 v71, 0xff7fffff, v91, s15
	v_cmp_gt_i32_e64 s17, s24, v73
	v_cndmask_b32_e64 v72, 0xff7fffff, v90, s16
	s_delay_alu instid0(VALU_DEP_3) | instskip(SKIP_1) | instid1(VALU_DEP_4)
	v_max3_f32 v71, v74, v77, v71
	v_lshlrev_b32_e32 v74, 2, v127
	v_cndmask_b32_e64 v73, 0xff7fffff, v89, s17
	s_delay_alu instid0(VALU_DEP_1) | instskip(SKIP_3) | instid1(VALU_DEP_1)
	v_max3_f32 v71, v71, v72, v73
	ds_bpermute_b32 v72, v74, v71
	s_waitcnt lgkmcnt(0)
	v_max_f32_e32 v72, v72, v72
	v_max_f32_e32 v71, v71, v72
	s_delay_alu instid0(VALU_DEP_1) | instskip(SKIP_4) | instid1(VALU_DEP_4)
	v_fma_f32 v72, s19, v135, -v71
	v_fma_f32 v73, s19, v136, -v71
	;; [unrolled: 1-line block ×5, first 2 shown]
	v_dual_mul_f32 v72, 0x3fb8aa3b, v72 :: v_dual_mul_f32 v73, 0x3fb8aa3b, v73
	s_delay_alu instid0(VALU_DEP_3) | instskip(SKIP_1) | instid1(VALU_DEP_3)
	v_dual_mul_f32 v75, 0x3fb8aa3b, v75 :: v_dual_mul_f32 v76, 0x3fb8aa3b, v76
	v_fma_f32 v80, s19, v141, -v71
	v_exp_f32_e32 v72, v72
	s_delay_alu instid0(VALU_DEP_3) | instskip(NEXT) | instid1(VALU_DEP_2)
	v_exp_f32_e32 v73, v73
	v_exp_f32_e32 v75, v75
	;; [unrolled: 1-line block ×3, first 2 shown]
	v_mul_f32_e32 v82, 0x3fb8aa3b, v80
	s_delay_alu instid0(VALU_DEP_1) | instskip(SKIP_4) | instid1(TRANS32_DEP_3)
	v_exp_f32_e32 v84, v82
	v_cndmask_b32_e32 v79, 0, v72, vcc_lo
	v_fma_f32 v72, s19, v140, -v71
	v_mul_f32_e32 v77, 0x3fb8aa3b, v77
	v_cndmask_b32_e64 v78, 0, v73, s2
	v_cndmask_b32_e64 v81, 0, v75, s3
	s_delay_alu instid0(VALU_DEP_4) | instskip(NEXT) | instid1(VALU_DEP_4)
	v_dual_add_f32 v73, 0, v79 :: v_dual_mul_f32 v72, 0x3fb8aa3b, v72
	v_exp_f32_e32 v77, v77
	v_cndmask_b32_e64 v80, 0, v76, s4
	s_delay_alu instid0(TRANS32_DEP_2) | instskip(NEXT) | instid1(VALU_DEP_3)
	v_cndmask_b32_e64 v85, 0, v84, s7
	v_add_f32_e32 v73, v73, v78
	v_exp_f32_e32 v72, v72
	v_cmp_gt_u32_e64 s2, 16, v70
	s_delay_alu instid0(VALU_DEP_2) | instskip(NEXT) | instid1(TRANS32_DEP_2)
	v_add_f32_e32 v73, v73, v81
	v_cndmask_b32_e64 v83, 0, v77, s5
	s_delay_alu instid0(VALU_DEP_2) | instskip(SKIP_3) | instid1(VALU_DEP_1)
	v_add_f32_e32 v73, v73, v80
	s_waitcnt_depctr 0xfff
	v_cndmask_b32_e64 v82, 0, v72, s6
	v_add_f32_e32 v72, v73, v83
	v_add_f32_e32 v72, v72, v82
	s_delay_alu instid0(VALU_DEP_1)
	v_add_f32_e32 v72, v72, v85
	v_fma_f32 v76, s19, v111, -v71
	v_fma_f32 v75, s19, v142, -v71
	;; [unrolled: 1-line block ×5, first 2 shown]
	s_delay_alu instid0(VALU_DEP_4) | instskip(NEXT) | instid1(VALU_DEP_3)
	v_dual_mul_f32 v76, 0x3fb8aa3b, v76 :: v_dual_mul_f32 v75, 0x3fb8aa3b, v75
	v_mul_f32_e32 v86, 0x3fb8aa3b, v86
	s_delay_alu instid0(VALU_DEP_2) | instskip(NEXT) | instid1(VALU_DEP_2)
	v_exp_f32_e32 v76, v76
	v_exp_f32_e32 v75, v75
	s_delay_alu instid0(VALU_DEP_1) | instskip(NEXT) | instid1(TRANS32_DEP_3)
	v_exp_f32_e32 v88, v86
	v_cndmask_b32_e64 v87, 0, v76, s9
	v_fma_f32 v76, s19, v116, -v71
	v_mul_f32_e32 v77, 0x3fb8aa3b, v77
	s_waitcnt_depctr 0xfff
	v_cndmask_b32_e64 v84, 0, v75, s8
	v_fma_f32 v75, s19, v115, -v71
	v_cndmask_b32_e64 v88, 0, v88, s12
	v_mul_f32_e32 v76, 0x3fb8aa3b, v76
	v_exp_f32_e32 v77, v77
	v_add_f32_e32 v72, v72, v84
	s_delay_alu instid0(VALU_DEP_2) | instskip(NEXT) | instid1(VALU_DEP_1)
	v_exp_f32_e32 v76, v76
	v_add_f32_e32 v72, v72, v87
	s_waitcnt_depctr 0xfff
	v_cndmask_b32_e64 v86, 0, v77, s10
	v_mul_f32_e32 v73, 0x3fb8aa3b, v73
	v_fma_f32 v77, s19, v117, -v71
	v_cndmask_b32_e64 v90, 0, v76, s15
	s_delay_alu instid0(VALU_DEP_4) | instskip(NEXT) | instid1(VALU_DEP_4)
	v_add_f32_e32 v72, v72, v86
	v_exp_f32_e32 v73, v73
	s_waitcnt_depctr 0xfff
	v_cndmask_b32_e64 v89, 0, v73, s11
	s_delay_alu instid0(VALU_DEP_1) | instskip(NEXT) | instid1(VALU_DEP_1)
	v_dual_mul_f32 v75, 0x3fb8aa3b, v75 :: v_dual_add_f32 v72, v72, v89
	v_exp_f32_e32 v75, v75
	v_mul_f32_e32 v73, 0x3fb8aa3b, v77
	v_fma_f32 v77, s19, v118, -v71
	s_delay_alu instid0(VALU_DEP_3) | instskip(NEXT) | instid1(VALU_DEP_3)
	v_add_f32_e32 v72, v72, v88
	v_exp_f32_e32 v73, v73
	s_waitcnt_depctr 0xfff
	v_cndmask_b32_e64 v91, 0, v75, s13
	s_delay_alu instid0(VALU_DEP_1) | instskip(NEXT) | instid1(VALU_DEP_1)
	v_dual_mul_f32 v75, 0x3fb8aa3b, v77 :: v_dual_add_f32 v72, v72, v91
	v_exp_f32_e32 v75, v75
	v_cndmask_b32_e64 v93, 0, v73, s16
	s_delay_alu instid0(VALU_DEP_2) | instskip(NEXT) | instid1(VALU_DEP_1)
	v_add_f32_e32 v72, v72, v90
	v_add_f32_e32 v72, v72, v93
	s_waitcnt_depctr 0xfff
	v_cndmask_b32_e64 v92, 0, v75, s17
	s_delay_alu instid0(VALU_DEP_1)
	v_add_f32_e32 v72, v72, v92
	ds_bpermute_b32 v73, v74, v72
	s_and_saveexec_b32 s3, s2
	s_cbranch_execz .LBB1250_12
; %bb.11:
	v_mul_u32_u24_e32 v70, 0x44, v69
	s_waitcnt lgkmcnt(0)
	v_add_f32_e32 v72, v72, v73
	s_delay_alu instid0(VALU_DEP_2) | instskip(NEXT) | instid1(VALU_DEP_1)
	v_lshl_add_u32 v70, v68, 2, v70
	v_add_nc_u32_e32 v70, 0x4000, v70
	ds_store_2addr_b32 v70, v71, v72 offset1:136
.LBB1250_12:
	s_or_b32 exec_lo, exec_lo, s3
	v_lshlrev_b32_e32 v70, 2, v68
	s_load_b32 s35, s[0:1], 0x94
	s_waitcnt lgkmcnt(0)
	s_barrier
	buffer_gl0_inv
	v_add_nc_u32_e32 v98, 0x4000, v70
	v_cmp_eq_u32_e32 vcc_lo, 1, v69
	v_cmp_eq_u32_e64 s3, 2, v69
	v_cmp_eq_u32_e64 s4, 3, v69
	v_cmp_eq_u32_e64 s5, 4, v69
	ds_load_2addr_b32 v[70:71], v98 offset1:17
	ds_load_2addr_b32 v[72:73], v98 offset0:34 offset1:51
	ds_load_2addr_b32 v[74:75], v98 offset0:68 offset1:85
	;; [unrolled: 1-line block ×3, first 2 shown]
	v_cmp_eq_u32_e64 s6, 5, v69
	v_cmp_eq_u32_e64 s7, 7, v69
	s_waitcnt lgkmcnt(3)
	v_max3_f32 v76, v70, 0xff7fffff, v71
	s_waitcnt lgkmcnt(2)
	s_delay_alu instid0(VALU_DEP_1) | instskip(SKIP_1) | instid1(VALU_DEP_1)
	v_max3_f32 v76, v76, v72, v73
	s_waitcnt lgkmcnt(1)
	v_max3_f32 v76, v76, v74, v75
	s_waitcnt lgkmcnt(0)
	s_delay_alu instid0(VALU_DEP_1) | instskip(NEXT) | instid1(VALU_DEP_1)
	v_max3_f32 v76, v76, v94, v95
	v_sub_f32_e32 v77, v71, v76
	ds_load_2addr_b32 v[96:97], v98 offset0:136 offset1:153
	v_sub_f32_e32 v74, v74, v76
	v_sub_f32_e32 v70, v70, v76
	;; [unrolled: 1-line block ×3, first 2 shown]
	v_dual_sub_f32 v72, v72, v76 :: v_dual_mul_f32 v77, 0x3fb8aa3b, v77
	s_delay_alu instid0(VALU_DEP_4) | instskip(NEXT) | instid1(VALU_DEP_4)
	v_mul_f32_e32 v103, 0x3fb8aa3b, v74
	v_mul_f32_e32 v99, 0x3fb8aa3b, v70
	ds_load_2addr_b32 v[70:71], v98 offset0:170 offset1:187
	v_dual_mul_f32 v101, 0x3fb8aa3b, v72 :: v_dual_mul_f32 v94, 0x3fb8aa3b, v94
	v_exp_f32_e32 v102, v77
	v_exp_f32_e32 v99, v99
	s_delay_alu instid0(VALU_DEP_1) | instskip(NEXT) | instid1(VALU_DEP_1)
	v_exp_f32_e32 v101, v101
	v_exp_f32_e32 v94, v94
	s_waitcnt lgkmcnt(1)
	s_delay_alu instid0(TRANS32_DEP_3)
	v_fma_f32 v77, v99, v96, 0
	v_sub_f32_e32 v100, v73, v76
	ds_load_2addr_b32 v[72:73], v98 offset0:204 offset1:221
	v_fmac_f32_e32 v77, v102, v97
	v_exp_f32_e32 v97, v103
	s_waitcnt lgkmcnt(1)
	s_delay_alu instid0(VALU_DEP_1)
	v_dual_fmac_f32 v77, v101, v70 :: v_dual_sub_f32 v96, v75, v76
	ds_load_2addr_b32 v[74:75], v98 offset0:238 offset1:255
	v_sub_f32_e32 v70, v95, v76
	s_waitcnt lgkmcnt(0)
	s_barrier
	v_mul_f32_e32 v96, 0x3fb8aa3b, v96
	buffer_gl0_inv
	v_exp_f32_e32 v95, v96
	v_mul_f32_e32 v100, 0x3fb8aa3b, v100
	s_delay_alu instid0(VALU_DEP_1) | instskip(SKIP_3) | instid1(VALU_DEP_2)
	v_exp_f32_e32 v100, v100
	s_waitcnt_depctr 0xfff
	v_dual_fmac_f32 v77, v100, v71 :: v_dual_mul_f32 v70, 0x3fb8aa3b, v70
	v_cndmask_b32_e32 v71, v99, v102, vcc_lo
	v_fmac_f32_e32 v77, v97, v72
	s_delay_alu instid0(VALU_DEP_3) | instskip(NEXT) | instid1(VALU_DEP_1)
	v_exp_f32_e32 v96, v70
	v_fmac_f32_e32 v77, v95, v73
	s_delay_alu instid0(VALU_DEP_1) | instskip(SKIP_2) | instid1(VALU_DEP_1)
	v_fmac_f32_e32 v77, v94, v74
	s_waitcnt_depctr 0xfff
	v_fmac_f32_e32 v77, v96, v75
	v_add_f32_e32 v74, 0x358637bd, v77
	s_delay_alu instid0(VALU_DEP_1) | instskip(SKIP_1) | instid1(VALU_DEP_2)
	v_div_scale_f32 v98, null, v74, v74, 1.0
	v_div_scale_f32 v99, vcc_lo, 1.0, v74, 1.0
	v_rcp_f32_e32 v103, v98
	s_waitcnt_depctr 0xfff
	v_fma_f32 v70, -v98, v103, 1.0
	s_delay_alu instid0(VALU_DEP_1) | instskip(SKIP_2) | instid1(VALU_DEP_2)
	v_fmac_f32_e32 v103, v70, v103
	v_cndmask_b32_e64 v70, v71, v101, s3
	v_cmp_eq_u32_e64 s3, 6, v69
	v_cndmask_b32_e64 v71, v70, v100, s4
	s_delay_alu instid0(VALU_DEP_4) | instskip(NEXT) | instid1(VALU_DEP_2)
	v_dual_mul_f32 v101, v99, v103 :: v_dual_lshlrev_b32 v70, 2, v66
	v_cndmask_b32_e64 v71, v71, v97, s5
	s_delay_alu instid0(VALU_DEP_2) | instskip(NEXT) | instid1(VALU_DEP_3)
	v_or_b32_e32 v72, 1, v70
	v_fma_f32 v100, -v98, v101, v99
	v_cmp_eq_u32_e64 s4, 1, v70
	v_cmp_eq_u32_e64 s5, 2, v70
	v_cndmask_b32_e64 v95, v71, v95, s6
	v_or_b32_e32 v71, 3, v70
	v_fmac_f32_e32 v101, v100, v103
	v_cmp_eq_u32_e64 s9, 1, v72
	v_cmp_eq_u32_e64 s12, 2, v72
	v_cndmask_b32_e64 v94, v95, v94, s3
	v_cmp_eq_u32_e64 s11, 1, v71
	v_fma_f32 v97, -v98, v101, v99
	v_cmp_eq_u32_e64 s16, 2, v71
	v_cmp_eq_u32_e64 s13, 3, v72
	v_cndmask_b32_e64 v94, v94, v96, s7
	v_cmp_eq_u32_e64 s18, 3, v71
	v_div_fmas_f32 v95, v97, v103, v101
	v_cmp_eq_u32_e32 vcc_lo, 3, v70
	v_cmp_eq_u32_e64 s3, 4, v70
	v_cmp_eq_u32_e64 s19, 4, v72
	;; [unrolled: 1-line block ×3, first 2 shown]
	v_div_fixup_f32 v95, v95, v74, 1.0
	v_lshlrev_b32_e32 v73, 6, v68
	v_cmp_eq_u32_e64 s6, 5, v70
	v_cmp_eq_u32_e64 s20, 5, v72
	;; [unrolled: 1-line block ×3, first 2 shown]
	v_mul_f32_e32 v102, v94, v95
	v_lshl_or_b32 v75, v69, 11, v73
	v_or_b32_e32 v69, 2, v70
	v_cmp_eq_u32_e64 s25, 6, v72
	v_cmp_eq_u32_e64 s27, 6, v71
	v_fma_mixlo_f16 v94, v102, v79, 0
	v_fma_mixlo_f16 v95, v102, v81, 0
	;; [unrolled: 1-line block ×8, first 2 shown]
	v_lshl_or_b32 v74, v66, 4, v75
	v_fma_mixhi_f16 v94, v102, v78, 0
	v_fma_mixhi_f16 v95, v102, v80, 0
	;; [unrolled: 1-line block ×8, first 2 shown]
	ds_store_b128 v74, v[94:97]
	ds_store_b128 v74, v[98:101] offset:1024
	s_waitcnt lgkmcnt(0)
	s_barrier
	buffer_gl0_inv
	ds_load_b128 v[78:81], v75
	ds_load_b128 v[82:85], v75 offset:16
	ds_load_b128 v[86:89], v75 offset:1024
	;; [unrolled: 1-line block ×3, first 2 shown]
	v_cmp_eq_u32_e64 s10, 1, v69
	v_cmp_eq_u32_e64 s15, 2, v69
	;; [unrolled: 1-line block ×11, first 2 shown]
	s_waitcnt lgkmcnt(3)
	v_lshrrev_b32_e32 v94, 16, v78
	s_waitcnt lgkmcnt(2)
	v_lshrrev_b32_e32 v98, 16, v82
	s_waitcnt lgkmcnt(1)
	v_lshrrev_b32_e32 v102, 16, v86
	s_waitcnt lgkmcnt(0)
	v_lshrrev_b32_e32 v106, 16, v90
	v_lshrrev_b32_e32 v95, 16, v79
	v_cndmask_b32_e64 v110, v78, v94, s4
	v_cndmask_b32_e64 v111, v82, v98, s4
	;; [unrolled: 1-line block ×8, first 2 shown]
	v_lshrrev_b32_e32 v99, 16, v83
	v_cndmask_b32_e64 v94, v86, v102, s4
	v_cndmask_b32_e64 v98, v90, v106, s4
	;; [unrolled: 1-line block ×15, first 2 shown]
	v_lshrrev_b32_e32 v103, 16, v87
	v_lshrrev_b32_e32 v107, 16, v91
	v_cndmask_b32_e64 v113, v115, v83, s15
	v_cndmask_b32_e64 v82, v94, v87, s5
	v_cndmask_b32_e64 v83, v98, v91, s5
	v_cndmask_b32_e64 v94, v116, v87, s12
	v_cndmask_b32_e64 v98, v118, v87, s15
	v_cndmask_b32_e64 v86, v86, v87, s16
	v_cndmask_b32_e64 v87, v90, v91, s16
	v_cndmask_b32_e32 v90, v102, v95, vcc_lo
	v_cndmask_b32_e32 v102, v106, v99, vcc_lo
	v_cndmask_b32_e64 v106, v110, v95, s13
	v_cndmask_b32_e64 v110, v111, v99, s13
	;; [unrolled: 1-line block ×4, first 2 shown]
	v_lshrrev_b32_e32 v96, 16, v80
	v_lshrrev_b32_e32 v100, 16, v84
	v_cndmask_b32_e64 v111, v112, v95, s17
	v_cndmask_b32_e64 v112, v113, v99, s17
	v_cndmask_b32_e32 v82, v82, v103, vcc_lo
	v_cndmask_b32_e32 v83, v83, v107, vcc_lo
	v_cndmask_b32_e64 v94, v94, v103, s13
	v_cndmask_b32_e64 v90, v90, v80, s3
	;; [unrolled: 1-line block ×7, first 2 shown]
	v_lshrrev_b32_e32 v104, 16, v88
	v_cndmask_b32_e64 v106, v111, v80, s21
	v_cndmask_b32_e64 v110, v112, v84, s21
	;; [unrolled: 1-line block ×11, first 2 shown]
	v_lshrrev_b32_e32 v97, 16, v81
	v_lshrrev_b32_e32 v101, 16, v85
	v_cndmask_b32_e64 v99, v106, v96, s23
	v_cndmask_b32_e64 v102, v110, v100, s23
	;; [unrolled: 1-line block ×7, first 2 shown]
	v_lshrrev_b32_e32 v105, 16, v89
	v_cndmask_b32_e64 v80, v80, v104, s6
	v_cndmask_b32_e64 v84, v84, v81, s7
	;; [unrolled: 1-line block ×16, first 2 shown]
	v_perm_b32 v81, v79, v78, 0x5040100
	v_perm_b32 v79, v95, v85, 0x5040100
	v_cndmask_b32_e64 v78, v119, v91, s15
	v_cndmask_b32_e64 v85, v117, v91, s12
	;; [unrolled: 1-line block ×3, first 2 shown]
	v_perm_b32 v80, v94, v90, 0x5040100
	v_cndmask_b32_e64 v90, v98, v103, s17
	v_cndmask_b32_e64 v86, v86, v103, s18
	;; [unrolled: 1-line block ×5, first 2 shown]
	v_lshrrev_b32_e32 v108, 16, v92
	v_cndmask_b32_e64 v90, v90, v88, s21
	v_cndmask_b32_e64 v86, v86, v88, s22
	;; [unrolled: 1-line block ×11, first 2 shown]
	v_lshrrev_b32_e32 v109, 16, v93
	v_cndmask_b32_e64 v82, v82, v93, s7
	v_cndmask_b32_e64 v88, v88, v89, s26
	;; [unrolled: 1-line block ×12, first 2 shown]
	v_perm_b32 v78, v84, v83, 0x5040100
	v_perm_b32 v85, v87, v86, 0x5040100
	;; [unrolled: 1-line block ×5, first 2 shown]
	s_mul_i32 s8, s33, 5
	s_mov_b32 s3, exec_lo
	ds_store_b128 v74, v[78:81]
	ds_store_b128 v74, v[82:85] offset:1024
	v_cmpx_gt_u32_e32 5, v0
	s_cbranch_execz .LBB1250_14
; %bb.13:
	s_mul_i32 s4, s8, s34
	s_delay_alu instid0(SALU_CYCLE_1) | instskip(SKIP_1) | instid1(VALU_DEP_1)
	v_add3_u32 v68, s4, s31, v68
	s_load_b128 s[4:7], s[0:1], 0x58
	v_mad_u64_u32 v[78:79], null, v68, s35, s[14:15]
	s_delay_alu instid0(VALU_DEP_1) | instskip(NEXT) | instid1(VALU_DEP_1)
	v_ashrrev_i32_e32 v79, 31, v78
	v_lshlrev_b64 v[78:79], 2, v[78:79]
	s_waitcnt lgkmcnt(0)
	s_delay_alu instid0(VALU_DEP_1) | instskip(NEXT) | instid1(VALU_DEP_2)
	v_add_co_u32 v80, vcc_lo, s6, v78
	v_add_co_ci_u32_e32 v81, vcc_lo, s7, v79, vcc_lo
	v_add_co_u32 v78, vcc_lo, s4, v78
	v_add_co_ci_u32_e32 v79, vcc_lo, s5, v79, vcc_lo
	global_store_b32 v[80:81], v76, off
	global_store_b32 v[78:79], v77, off
.LBB1250_14:
	s_or_b32 exec_lo, exec_lo, s3
	s_waitcnt lgkmcnt(0)
	s_waitcnt_vscnt null, 0x0
	s_barrier
	buffer_gl0_inv
	ds_load_b128 v[84:87], v73
	ds_load_b128 v[88:91], v73 offset:16
	ds_load_b128 v[96:99], v73 offset:2064
	;; [unrolled: 1-line block ×5, first 2 shown]
	v_cmp_eq_u32_e32 vcc_lo, 1, v70
	v_mov_b32_e32 v76, 0
	ds_load_b128 v[112:115], v73 offset:6160
	ds_load_b128 v[108:111], v73 offset:6144
	;; [unrolled: 1-line block ×4, first 2 shown]
	v_cmp_eq_u32_e64 s4, 1, v69
	v_cmp_eq_u32_e64 s3, 1, v72
	;; [unrolled: 1-line block ×3, first 2 shown]
	v_mov_b32_e32 v77, v76
	v_mov_b32_e32 v78, v76
	v_mov_b32_e32 v79, v76
	v_mov_b32_e32 v80, v76
	v_mov_b32_e32 v81, v76
	v_mov_b32_e32 v82, v76
	v_mov_b32_e32 v83, v76
	v_cmp_eq_u32_e64 s6, 3, v72
	v_cmp_eq_u32_e64 s7, 7, v72
	s_waitcnt lgkmcnt(8)
	s_delay_alu instid0(VALU_DEP_3)
	v_wmma_f32_16x16x16_f16 v[76:83], v[49:56], v[84:91], v[76:83]
	ds_load_b128 v[53:56], v73 offset:10256
	ds_load_b128 v[49:52], v73 offset:10240
	s_waitcnt lgkmcnt(8)
	v_wmma_f32_16x16x16_f16 v[76:83], v[41:48], v[92:99], v[76:83]
	ds_load_b128 v[45:48], v73 offset:12304
	ds_load_b128 v[41:44], v73 offset:12288
	s_waitcnt lgkmcnt(8)
	;; [unrolled: 4-line block ×3, first 2 shown]
	s_barrier
	buffer_gl0_inv
	v_wmma_f32_16x16x16_f16 v[76:83], v[1:8], v[108:115], v[76:83]
	s_delay_alu instid0(VALU_DEP_1) | instskip(NEXT) | instid1(VALU_DEP_1)
	v_wmma_f32_16x16x16_f16 v[76:83], v[9:16], v[116:123], v[76:83]
	v_wmma_f32_16x16x16_f16 v[76:83], v[17:24], v[49:56], v[76:83]
	s_delay_alu instid0(VALU_DEP_1) | instskip(NEXT) | instid1(VALU_DEP_1)
	v_wmma_f32_16x16x16_f16 v[76:83], v[25:32], v[41:48], v[76:83]
	v_wmma_f32_16x16x16_f16 v[76:83], v[57:64], v[33:40], v[76:83]
	s_delay_alu instid0(VALU_DEP_1) | instskip(NEXT) | instid1(VALU_DEP_2)
	v_cvt_f16_f32_e32 v1, v76
	v_cvt_f16_f32_e32 v2, v77
	s_delay_alu instid0(VALU_DEP_3) | instskip(NEXT) | instid1(VALU_DEP_4)
	v_cvt_f16_f32_e32 v3, v78
	v_cvt_f16_f32_e32 v4, v79
	;; [unrolled: 1-line block ×6, first 2 shown]
	v_pack_b32_f16 v1, v1, v2
	v_pack_b32_f16 v2, v3, v4
	;; [unrolled: 1-line block ×3, first 2 shown]
	s_delay_alu instid0(VALU_DEP_4)
	v_pack_b32_f16 v4, v7, v8
	ds_store_b128 v74, v[1:4]
	s_waitcnt lgkmcnt(0)
	s_barrier
	buffer_gl0_inv
	ds_load_b128 v[1:4], v75
	ds_load_b128 v[5:8], v75 offset:16
	s_waitcnt lgkmcnt(1)
	v_lshrrev_b32_e32 v9, 16, v1
	s_waitcnt lgkmcnt(0)
	v_lshrrev_b32_e32 v13, 16, v5
	v_lshrrev_b32_e32 v10, 16, v2
	;; [unrolled: 1-line block ×4, first 2 shown]
	v_cndmask_b32_e32 v17, v1, v9, vcc_lo
	v_cndmask_b32_e32 v18, v5, v13, vcc_lo
	v_cndmask_b32_e64 v21, v1, v9, s4
	v_cmp_eq_u32_e32 vcc_lo, 1, v71
	v_cndmask_b32_e64 v22, v5, v13, s4
	v_cmp_eq_u32_e64 s4, 2, v70
	v_cndmask_b32_e64 v19, v1, v9, s3
	v_cndmask_b32_e64 v20, v5, v13, s3
	v_cndmask_b32_e32 v1, v1, v9, vcc_lo
	v_cmp_eq_u32_e64 s3, 2, v71
	v_cndmask_b32_e32 v5, v5, v13, vcc_lo
	v_cndmask_b32_e64 v9, v17, v2, s4
	v_cmp_eq_u32_e32 vcc_lo, 3, v70
	v_cndmask_b32_e64 v13, v18, v6, s4
	v_cmp_eq_u32_e64 s4, 2, v69
	v_cndmask_b32_e64 v17, v19, v2, s5
	v_cndmask_b32_e64 v18, v20, v6, s5
	v_cmp_eq_u32_e64 s5, 3, v69
	v_cndmask_b32_e64 v1, v1, v2, s3
	v_cndmask_b32_e64 v19, v21, v2, s4
	;; [unrolled: 1-line block ×4, first 2 shown]
	v_cndmask_b32_e32 v5, v9, v10, vcc_lo
	v_cndmask_b32_e32 v6, v13, v14, vcc_lo
	v_cmp_eq_u32_e32 vcc_lo, 3, v71
	v_cndmask_b32_e64 v9, v17, v10, s6
	v_cndmask_b32_e64 v13, v18, v14, s6
	;; [unrolled: 1-line block ×3, first 2 shown]
	v_cmp_eq_u32_e64 s4, 4, v70
	v_cndmask_b32_e32 v1, v1, v10, vcc_lo
	v_cndmask_b32_e32 v2, v2, v14, vcc_lo
	v_cmp_eq_u32_e32 vcc_lo, 4, v72
	v_lshrrev_b32_e32 v15, 16, v7
	v_lshrrev_b32_e32 v16, 16, v8
	v_cndmask_b32_e64 v17, v19, v10, s5
	v_cmp_eq_u32_e64 s3, 4, v71
	v_cndmask_b32_e64 v5, v5, v3, s4
	v_cndmask_b32_e64 v6, v6, v7, s4
	v_cndmask_b32_e32 v9, v9, v3, vcc_lo
	v_cmp_eq_u32_e64 s4, 5, v72
	v_cndmask_b32_e32 v10, v13, v7, vcc_lo
	v_cmp_eq_u32_e32 vcc_lo, 4, v69
	v_cmp_eq_u32_e64 s5, 5, v70
	v_cndmask_b32_e64 v2, v2, v7, s3
	v_cndmask_b32_e64 v9, v9, v11, s4
	;; [unrolled: 1-line block ×3, first 2 shown]
	v_cndmask_b32_e32 v13, v17, v3, vcc_lo
	v_cmp_eq_u32_e64 s4, 5, v69
	v_cndmask_b32_e32 v14, v18, v7, vcc_lo
	v_cndmask_b32_e64 v1, v1, v3, s3
	v_cmp_eq_u32_e32 vcc_lo, 5, v71
	v_lshrrev_b32_e32 v12, 16, v4
	v_cndmask_b32_e64 v13, v13, v11, s4
	v_cndmask_b32_e64 v3, v14, v15, s4
	v_cmp_eq_u32_e64 s4, 6, v71
	v_cndmask_b32_e32 v1, v1, v11, vcc_lo
	v_cndmask_b32_e64 v5, v5, v11, s5
	v_cmp_eq_u32_e64 s6, 6, v70
	v_cndmask_b32_e64 v6, v6, v15, s5
	v_cmp_eq_u32_e64 s5, 6, v72
	v_cmp_eq_u32_e64 s3, 6, v69
	v_cndmask_b32_e64 v1, v1, v4, s4
	v_cndmask_b32_e32 v2, v2, v15, vcc_lo
	v_cmp_eq_u32_e32 vcc_lo, 7, v71
	v_cndmask_b32_e64 v5, v5, v4, s6
	v_cndmask_b32_e64 v9, v9, v4, s5
	;; [unrolled: 1-line block ×3, first 2 shown]
	v_cmp_eq_u32_e64 s6, 7, v70
	v_cndmask_b32_e32 v1, v1, v12, vcc_lo
	v_cndmask_b32_e64 v7, v13, v4, s3
	v_cndmask_b32_e64 v3, v3, v8, s3
	;; [unrolled: 1-line block ×3, first 2 shown]
	v_cmp_eq_u32_e64 s3, 7, v69
	v_cndmask_b32_e64 v4, v10, v8, s5
	v_cndmask_b32_e64 v5, v5, v12, s6
	;; [unrolled: 1-line block ×3, first 2 shown]
	v_cndmask_b32_e32 v2, v2, v16, vcc_lo
	v_cndmask_b32_e64 v7, v7, v12, s3
	v_cndmask_b32_e64 v3, v3, v16, s3
	;; [unrolled: 1-line block ×4, first 2 shown]
	v_perm_b32 v4, v2, v1, 0x5040100
	s_mov_b32 s3, exec_lo
	v_perm_b32 v3, v3, v7, 0x5040100
	v_perm_b32 v2, v8, v9, 0x5040100
	;; [unrolled: 1-line block ×3, first 2 shown]
	ds_store_b128 v74, v[1:4]
	s_waitcnt lgkmcnt(0)
	s_barrier
	buffer_gl0_inv
	v_cmpx_gt_u32_e32 32, v0
	s_cbranch_execz .LBB1250_2
; %bb.15:
	s_load_b64 s[4:5], s[0:1], 0x68
	v_lshlrev_b32_e32 v0, 10, v0
	v_add_nc_u32_e32 v2, s31, v66
	v_lshlrev_b32_e32 v3, 4, v67
	s_lshl_b32 s0, s35, 7
	s_delay_alu instid0(SALU_CYCLE_1) | instskip(NEXT) | instid1(VALU_DEP_2)
	s_mul_i32 s1, s0, s34
	v_mul_lo_u32 v1, v2, s0
	s_delay_alu instid0(VALU_DEP_2) | instskip(SKIP_2) | instid1(SALU_CYCLE_1)
	v_and_or_b32 v0, 0x3800, v0, v3
	v_add_nc_u32_e32 v2, 2, v2
	s_mul_i32 s6, s1, s8
	s_ashr_i32 s7, s6, 31
	s_delay_alu instid0(VALU_DEP_2)
	v_lshl_or_b32 v7, v66, 6, v0
	s_lshl_b64 s[6:7], s[6:7], 1
	v_mul_lo_u32 v11, v2, s0
	v_ashrrev_i32_e32 v2, 31, v1
	ds_load_b128 v[3:6], v7
	ds_load_b128 v[7:10], v7 offset:128
	s_waitcnt lgkmcnt(0)
	s_add_u32 s1, s4, s6
	s_addc_u32 s3, s5, s7
	s_lshl_b32 s4, s14, 7
	v_ashrrev_i32_e32 v12, 31, v11
	s_ashr_i32 s5, s4, 31
	v_lshlrev_b64 v[13:14], 1, v[1:2]
	s_lshl_b64 s[4:5], s[4:5], 1
	s_delay_alu instid0(SALU_CYCLE_1) | instskip(SKIP_2) | instid1(VALU_DEP_1)
	s_add_u32 s1, s1, s4
	s_addc_u32 s3, s3, s5
	v_add_co_u32 v1, s1, s1, v65
	v_add_co_ci_u32_e64 v2, null, s3, 0, s1
	v_lshlrev_b64 v[11:12], 1, v[11:12]
	s_delay_alu instid0(VALU_DEP_3) | instskip(NEXT) | instid1(VALU_DEP_3)
	v_add_co_u32 v13, vcc_lo, v1, v13
	v_add_co_ci_u32_e32 v14, vcc_lo, v2, v14, vcc_lo
	s_delay_alu instid0(VALU_DEP_3) | instskip(NEXT) | instid1(VALU_DEP_4)
	v_add_co_u32 v11, vcc_lo, v1, v11
	v_add_co_ci_u32_e32 v12, vcc_lo, v2, v12, vcc_lo
	s_clause 0x1
	global_store_b128 v[13:14], v[3:6], off
	global_store_b128 v[11:12], v[7:10], off
	s_and_b32 exec_lo, exec_lo, s2
	s_cbranch_execz .LBB1250_2
; %bb.16:
	ds_load_b128 v[3:6], v0 offset:256
	s_add_i32 s1, s31, 4
	s_delay_alu instid0(SALU_CYCLE_1) | instskip(NEXT) | instid1(SALU_CYCLE_1)
	s_mul_i32 s0, s1, s0
	s_ashr_i32 s1, s0, 31
	s_delay_alu instid0(SALU_CYCLE_1) | instskip(NEXT) | instid1(SALU_CYCLE_1)
	s_lshl_b64 s[0:1], s[0:1], 1
	v_add_co_u32 v0, vcc_lo, v1, s0
	v_add_co_ci_u32_e32 v1, vcc_lo, s1, v2, vcc_lo
	s_waitcnt lgkmcnt(0)
	global_store_b128 v[0:1], v[3:6], off
	s_nop 0
	s_sendmsg sendmsg(MSG_DEALLOC_VGPRS)
	s_endpgm
	.section	.rodata,"a",@progbits
	.p2align	6, 0x0
	.amdhsa_kernel _Z39paged_attention_ll4mi_QKV_mfma16_kernelIDF16_hLN4vllm18Fp8KVCacheDataTypeE1EDF16_Li16ELi128ELi256ELb1ELi5EL8MFMAType0EEvPKT_PKT0_S8_ifPKiSA_SA_iPKfiiiPfSD_PS3_PT2_iSC_SC_
		.amdhsa_group_segment_fixed_size 17472
		.amdhsa_private_segment_fixed_size 0
		.amdhsa_kernarg_size 400
		.amdhsa_user_sgpr_count 13
		.amdhsa_user_sgpr_dispatch_ptr 0
		.amdhsa_user_sgpr_queue_ptr 0
		.amdhsa_user_sgpr_kernarg_segment_ptr 1
		.amdhsa_user_sgpr_dispatch_id 0
		.amdhsa_user_sgpr_private_segment_size 0
		.amdhsa_wavefront_size32 1
		.amdhsa_uses_dynamic_stack 0
		.amdhsa_enable_private_segment 0
		.amdhsa_system_sgpr_workgroup_id_x 1
		.amdhsa_system_sgpr_workgroup_id_y 1
		.amdhsa_system_sgpr_workgroup_id_z 1
		.amdhsa_system_sgpr_workgroup_info 0
		.amdhsa_system_vgpr_workitem_id 0
		.amdhsa_next_free_vgpr 150
		.amdhsa_next_free_sgpr 36
		.amdhsa_reserve_vcc 1
		.amdhsa_float_round_mode_32 0
		.amdhsa_float_round_mode_16_64 0
		.amdhsa_float_denorm_mode_32 3
		.amdhsa_float_denorm_mode_16_64 3
		.amdhsa_dx10_clamp 1
		.amdhsa_ieee_mode 1
		.amdhsa_fp16_overflow 0
		.amdhsa_workgroup_processor_mode 1
		.amdhsa_memory_ordered 1
		.amdhsa_forward_progress 0
		.amdhsa_shared_vgpr_count 0
		.amdhsa_exception_fp_ieee_invalid_op 0
		.amdhsa_exception_fp_denorm_src 0
		.amdhsa_exception_fp_ieee_div_zero 0
		.amdhsa_exception_fp_ieee_overflow 0
		.amdhsa_exception_fp_ieee_underflow 0
		.amdhsa_exception_fp_ieee_inexact 0
		.amdhsa_exception_int_div_zero 0
	.end_amdhsa_kernel
	.section	.text._Z39paged_attention_ll4mi_QKV_mfma16_kernelIDF16_hLN4vllm18Fp8KVCacheDataTypeE1EDF16_Li16ELi128ELi256ELb1ELi5EL8MFMAType0EEvPKT_PKT0_S8_ifPKiSA_SA_iPKfiiiPfSD_PS3_PT2_iSC_SC_,"axG",@progbits,_Z39paged_attention_ll4mi_QKV_mfma16_kernelIDF16_hLN4vllm18Fp8KVCacheDataTypeE1EDF16_Li16ELi128ELi256ELb1ELi5EL8MFMAType0EEvPKT_PKT0_S8_ifPKiSA_SA_iPKfiiiPfSD_PS3_PT2_iSC_SC_,comdat
.Lfunc_end1250:
	.size	_Z39paged_attention_ll4mi_QKV_mfma16_kernelIDF16_hLN4vllm18Fp8KVCacheDataTypeE1EDF16_Li16ELi128ELi256ELb1ELi5EL8MFMAType0EEvPKT_PKT0_S8_ifPKiSA_SA_iPKfiiiPfSD_PS3_PT2_iSC_SC_, .Lfunc_end1250-_Z39paged_attention_ll4mi_QKV_mfma16_kernelIDF16_hLN4vllm18Fp8KVCacheDataTypeE1EDF16_Li16ELi128ELi256ELb1ELi5EL8MFMAType0EEvPKT_PKT0_S8_ifPKiSA_SA_iPKfiiiPfSD_PS3_PT2_iSC_SC_
                                        ; -- End function
	.section	.AMDGPU.csdata,"",@progbits
; Kernel info:
; codeLenInByte = 6644
; NumSgprs: 38
; NumVgprs: 150
; ScratchSize: 0
; MemoryBound: 0
; FloatMode: 240
; IeeeMode: 1
; LDSByteSize: 17472 bytes/workgroup (compile time only)
; SGPRBlocks: 4
; VGPRBlocks: 18
; NumSGPRsForWavesPerEU: 38
; NumVGPRsForWavesPerEU: 150
; Occupancy: 9
; WaveLimiterHint : 1
; COMPUTE_PGM_RSRC2:SCRATCH_EN: 0
; COMPUTE_PGM_RSRC2:USER_SGPR: 13
; COMPUTE_PGM_RSRC2:TRAP_HANDLER: 0
; COMPUTE_PGM_RSRC2:TGID_X_EN: 1
; COMPUTE_PGM_RSRC2:TGID_Y_EN: 1
; COMPUTE_PGM_RSRC2:TGID_Z_EN: 1
; COMPUTE_PGM_RSRC2:TIDIG_COMP_CNT: 0
	.section	.text._Z39paged_attention_ll4mi_QKV_mfma16_kernelIDF16_hLN4vllm18Fp8KVCacheDataTypeE1EDF16_Li16ELi128ELi256ELb1ELi6EL8MFMAType0EEvPKT_PKT0_S8_ifPKiSA_SA_iPKfiiiPfSD_PS3_PT2_iSC_SC_,"axG",@progbits,_Z39paged_attention_ll4mi_QKV_mfma16_kernelIDF16_hLN4vllm18Fp8KVCacheDataTypeE1EDF16_Li16ELi128ELi256ELb1ELi6EL8MFMAType0EEvPKT_PKT0_S8_ifPKiSA_SA_iPKfiiiPfSD_PS3_PT2_iSC_SC_,comdat
	.protected	_Z39paged_attention_ll4mi_QKV_mfma16_kernelIDF16_hLN4vllm18Fp8KVCacheDataTypeE1EDF16_Li16ELi128ELi256ELb1ELi6EL8MFMAType0EEvPKT_PKT0_S8_ifPKiSA_SA_iPKfiiiPfSD_PS3_PT2_iSC_SC_ ; -- Begin function _Z39paged_attention_ll4mi_QKV_mfma16_kernelIDF16_hLN4vllm18Fp8KVCacheDataTypeE1EDF16_Li16ELi128ELi256ELb1ELi6EL8MFMAType0EEvPKT_PKT0_S8_ifPKiSA_SA_iPKfiiiPfSD_PS3_PT2_iSC_SC_
	.globl	_Z39paged_attention_ll4mi_QKV_mfma16_kernelIDF16_hLN4vllm18Fp8KVCacheDataTypeE1EDF16_Li16ELi128ELi256ELb1ELi6EL8MFMAType0EEvPKT_PKT0_S8_ifPKiSA_SA_iPKfiiiPfSD_PS3_PT2_iSC_SC_
	.p2align	8
	.type	_Z39paged_attention_ll4mi_QKV_mfma16_kernelIDF16_hLN4vllm18Fp8KVCacheDataTypeE1EDF16_Li16ELi128ELi256ELb1ELi6EL8MFMAType0EEvPKT_PKT0_S8_ifPKiSA_SA_iPKfiiiPfSD_PS3_PT2_iSC_SC_,@function
_Z39paged_attention_ll4mi_QKV_mfma16_kernelIDF16_hLN4vllm18Fp8KVCacheDataTypeE1EDF16_Li16ELi128ELi256ELb1ELi6EL8MFMAType0EEvPKT_PKT0_S8_ifPKiSA_SA_iPKfiiiPfSD_PS3_PT2_iSC_SC_: ; @_Z39paged_attention_ll4mi_QKV_mfma16_kernelIDF16_hLN4vllm18Fp8KVCacheDataTypeE1EDF16_Li16ELi128ELi256ELb1ELi6EL8MFMAType0EEvPKT_PKT0_S8_ifPKiSA_SA_iPKfiiiPfSD_PS3_PT2_iSC_SC_
; %bb.0:
	s_load_b64 s[4:5], s[0:1], 0x30
	s_mov_b32 s30, s13
	s_waitcnt lgkmcnt(0)
	s_cmp_lg_u64 s[4:5], 0
	s_cselect_b32 s8, -1, 0
	s_ashr_i32 s31, s13, 31
	s_cmp_eq_u64 s[4:5], 0
	s_cbranch_scc1 .LBB1251_3
; %bb.1:
	s_lshl_b64 s[2:3], s[30:31], 2
	s_delay_alu instid0(SALU_CYCLE_1) | instskip(SKIP_4) | instid1(SALU_CYCLE_1)
	s_add_u32 s2, s4, s2
	s_addc_u32 s3, s5, s3
	s_load_b64 s[2:3], s[2:3], 0x0
	s_waitcnt lgkmcnt(0)
	s_sub_i32 s2, s3, s2
	s_cmp_eq_u32 s2, 1
	s_cselect_b32 s2, -1, 0
	s_delay_alu instid0(SALU_CYCLE_1)
	s_and_not1_b32 vcc_lo, exec_lo, s2
	s_cbranch_vccz .LBB1251_4
.LBB1251_2:
	s_endpgm
.LBB1251_3:
.LBB1251_4:
	s_load_b64 s[2:3], s[0:1], 0x28
	s_lshl_b64 s[6:7], s[30:31], 2
	s_waitcnt lgkmcnt(0)
	s_add_u32 s2, s2, s6
	s_addc_u32 s3, s3, s7
	s_lshl_b32 s12, s14, 8
	s_load_b32 s24, s[2:3], 0x0
	s_waitcnt lgkmcnt(0)
	s_cmp_ge_i32 s12, s24
	s_cbranch_scc1 .LBB1251_2
; %bb.5:
	s_clause 0x1
	s_load_b128 s[20:23], s[0:1], 0x8
	s_load_b64 s[2:3], s[0:1], 0x20
	s_and_not1_b32 vcc_lo, exec_lo, s8
	s_cbranch_vccnz .LBB1251_7
; %bb.6:
	s_add_u32 s4, s4, s6
	s_addc_u32 s5, s5, s7
	s_load_b32 s5, s[4:5], 0x0
	s_branch .LBB1251_8
.LBB1251_7:
	s_mov_b32 s5, s30
.LBB1251_8:
	s_load_b128 s[16:19], s[0:1], 0x48
	v_and_b32_e32 v68, 15, v0
	v_lshrrev_b32_e32 v69, 5, v0
	v_and_b32_e32 v70, 31, v0
	v_and_b32_e32 v67, 1, v0
	v_bfe_u32 v66, v0, 4, 1
	v_lshlrev_b32_e32 v1, 3, v68
	s_mul_i32 s31, s15, 6
	s_mov_b32 s4, exec_lo
	s_delay_alu instid0(VALU_DEP_1)
	v_lshlrev_b32_e32 v65, 1, v1
	v_cmpx_gt_u32_e32 0x60, v0
	s_cbranch_execz .LBB1251_10
; %bb.9:
	s_load_b64 s[6:7], s[0:1], 0x0
	v_lshl_or_b32 v5, v69, 1, v66
	s_waitcnt lgkmcnt(0)
	s_mul_hi_i32 s9, s5, s16
	s_mul_i32 s8, s5, s16
	v_lshlrev_b32_e32 v6, 10, v68
	s_lshl_b64 s[8:9], s[8:9], 1
	v_add_lshl_u32 v1, v5, s31, 7
	v_lshlrev_b32_e32 v5, 6, v5
	v_lshlrev_b32_e32 v7, 10, v67
	v_and_b32_e32 v6, 0x3800, v6
	s_delay_alu instid0(VALU_DEP_4) | instskip(NEXT) | instid1(VALU_DEP_2)
	v_ashrrev_i32_e32 v2, 31, v1
	v_or3_b32 v5, v6, v7, v5
	s_delay_alu instid0(VALU_DEP_2) | instskip(SKIP_2) | instid1(VALU_DEP_1)
	v_lshlrev_b64 v[1:2], 1, v[1:2]
	s_add_u32 s5, s6, s8
	s_addc_u32 s6, s7, s9
	v_add_co_u32 v1, vcc_lo, s5, v1
	s_delay_alu instid0(VALU_DEP_2) | instskip(NEXT) | instid1(VALU_DEP_2)
	v_add_co_ci_u32_e32 v2, vcc_lo, s6, v2, vcc_lo
	v_add_co_u32 v1, vcc_lo, v1, v65
	s_delay_alu instid0(VALU_DEP_2)
	v_add_co_ci_u32_e32 v2, vcc_lo, 0, v2, vcc_lo
	global_load_b128 v[1:4], v[1:2], off
	s_waitcnt vmcnt(0)
	ds_store_b128 v5, v[1:4]
.LBB1251_10:
	s_or_b32 exec_lo, exec_lo, s4
	v_and_b32_e32 v1, 0xef, v0
	s_waitcnt lgkmcnt(0)
	s_add_i32 s5, s24, 15
	s_clause 0x1
	s_load_b32 s4, s[0:1], 0x38
	s_load_b32 s33, s[0:1], 0x98
	s_ashr_i32 s6, s5, 31
	v_add_nc_u32_e32 v1, s12, v1
	s_lshr_b32 s6, s6, 28
	s_load_b32 s19, s[0:1], 0x1c
	s_add_i32 s5, s5, s6
	s_waitcnt lgkmcnt(0)
	v_ashrrev_i32_e32 v2, 31, v1
	v_or_b32_e32 v3, 16, v1
	s_ashr_i32 s13, s5, 4
	v_cmp_gt_i32_e32 vcc_lo, s24, v1
	s_add_i32 s13, s13, -1
	v_lshrrev_b32_e32 v2, 28, v2
	s_barrier
	buffer_gl0_inv
	s_mul_i32 s15, s15, s18
	v_add_nc_u32_e32 v4, v1, v2
	s_mul_i32 s4, s30, s4
	s_delay_alu instid0(SALU_CYCLE_1) | instskip(NEXT) | instid1(VALU_DEP_1)
	s_ashr_i32 s5, s4, 31
	v_ashrrev_i32_e32 v4, 4, v4
	v_add_nc_u32_e32 v2, v3, v2
	s_lshl_b64 s[4:5], s[4:5], 2
	s_delay_alu instid0(SALU_CYCLE_1) | instskip(NEXT) | instid1(VALU_DEP_2)
	s_add_u32 s16, s2, s4
	v_cndmask_b32_e32 v1, s13, v4, vcc_lo
	s_delay_alu instid0(VALU_DEP_2)
	v_ashrrev_i32_e32 v2, 4, v2
	v_cmp_gt_i32_e32 vcc_lo, s24, v3
	s_addc_u32 s25, s3, s5
	s_ashr_i32 s18, s15, 31
	s_add_u32 s26, s20, s15
	s_addc_u32 s27, s21, s18
	v_cndmask_b32_e32 v3, s13, v2, vcc_lo
	v_ashrrev_i32_e32 v2, 31, v1
	s_lshl_b32 s2, s14, 4
	s_delay_alu instid0(SALU_CYCLE_1) | instskip(NEXT) | instid1(VALU_DEP_2)
	s_ashr_i32 s3, s2, 31
	v_ashrrev_i32_e32 v4, 31, v3
	s_delay_alu instid0(VALU_DEP_2) | instskip(SKIP_1) | instid1(SALU_CYCLE_1)
	v_lshlrev_b64 v[1:2], 2, v[1:2]
	s_lshl_b64 s[2:3], s[2:3], 2
	s_add_u32 s2, s16, s2
	s_delay_alu instid0(VALU_DEP_2) | instskip(SKIP_1) | instid1(VALU_DEP_2)
	v_lshlrev_b64 v[3:4], 2, v[3:4]
	s_addc_u32 s3, s25, s3
	v_add_co_u32 v1, vcc_lo, s16, v1
	v_add_co_ci_u32_e32 v2, vcc_lo, s25, v2, vcc_lo
	s_delay_alu instid0(VALU_DEP_3) | instskip(NEXT) | instid1(VALU_DEP_4)
	v_add_co_u32 v3, vcc_lo, s16, v3
	v_add_co_ci_u32_e32 v4, vcc_lo, s25, v4, vcc_lo
	s_clause 0x1
	global_load_b32 v5, v[1:2], off
	global_load_b32 v7, v[3:4], off
	s_or_b32 s4, s12, 32
	v_lshlrev_b32_e32 v1, 4, v0
	s_ashr_i32 s5, s4, 4
	s_cmp_lt_i32 s4, s24
	s_cselect_b32 s4, s5, s13
	s_delay_alu instid0(VALU_DEP_1) | instskip(SKIP_1) | instid1(SALU_CYCLE_1)
	v_and_b32_e32 v1, 0xf0, v1
	s_ashr_i32 s5, s4, 31
	s_lshl_b64 s[4:5], s[4:5], 2
	s_delay_alu instid0(SALU_CYCLE_1)
	s_add_u32 s4, s16, s4
	s_addc_u32 s5, s25, s5
	s_or_b32 s6, s12, 64
	v_add_co_u32 v1, s26, s26, v1
	s_ashr_i32 s7, s6, 4
	s_cmp_lt_i32 s6, s24
	v_add_co_ci_u32_e64 v2, null, s27, 0, s26
	s_cselect_b32 s6, s7, s13
	s_delay_alu instid0(SALU_CYCLE_1) | instskip(NEXT) | instid1(SALU_CYCLE_1)
	s_ashr_i32 s7, s6, 31
	s_lshl_b64 s[6:7], s[6:7], 2
	s_delay_alu instid0(SALU_CYCLE_1) | instskip(SKIP_2) | instid1(SALU_CYCLE_1)
	s_add_u32 s6, s16, s6
	s_addc_u32 s7, s25, s7
	s_or_b32 s8, s12, 0x60
	s_ashr_i32 s9, s8, 4
	s_cmp_lt_i32 s8, s24
	s_cselect_b32 s8, s9, s13
	s_delay_alu instid0(SALU_CYCLE_1) | instskip(NEXT) | instid1(SALU_CYCLE_1)
	s_ashr_i32 s9, s8, 31
	s_lshl_b64 s[8:9], s[8:9], 2
	s_delay_alu instid0(SALU_CYCLE_1) | instskip(SKIP_2) | instid1(SALU_CYCLE_1)
	s_add_u32 s8, s16, s8
	s_addc_u32 s9, s25, s9
	s_or_b32 s10, s12, 0x80
	s_ashr_i32 s11, s10, 4
	s_cmp_lt_i32 s10, s24
	;; [unrolled: 10-line block ×3, first 2 shown]
	s_cselect_b32 s20, s21, s13
	s_delay_alu instid0(SALU_CYCLE_1) | instskip(NEXT) | instid1(SALU_CYCLE_1)
	s_ashr_i32 s21, s20, 31
	s_lshl_b64 s[20:21], s[20:21], 2
	s_delay_alu instid0(SALU_CYCLE_1)
	s_add_u32 s20, s16, s20
	s_addc_u32 s21, s25, s21
	s_clause 0x5
	s_load_b32 s26, s[2:3], 0x0
	s_load_b32 s27, s[4:5], 0x0
	;; [unrolled: 1-line block ×6, first 2 shown]
	s_or_b32 s2, s12, 0xc0
	s_mov_b32 s4, 0
	s_ashr_i32 s3, s2, 4
	s_cmp_lt_i32 s2, s24
	s_mov_b32 s11, s4
	s_cselect_b32 s2, s3, s13
	s_mov_b32 s5, s4
	s_ashr_i32 s3, s2, 31
	s_mov_b32 s6, s4
	s_lshl_b64 s[2:3], s[2:3], 2
	s_mov_b32 s7, s4
	s_add_u32 s2, s16, s2
	s_addc_u32 s3, s25, s3
	s_or_b32 s20, s12, 0xe0
	s_mov_b32 s8, s4
	s_ashr_i32 s21, s20, 4
	s_cmp_lt_i32 s20, s24
	s_mov_b32 s9, s4
	s_cselect_b32 s20, s21, s13
	s_mov_b32 s10, s4
	s_ashr_i32 s21, s20, 31
	v_mov_b32_e32 v118, s11
	v_dual_mov_b32 v112, s5 :: v_dual_mov_b32 v117, s10
	v_dual_mov_b32 v116, s9 :: v_dual_mov_b32 v115, s8
	;; [unrolled: 1-line block ×3, first 2 shown]
	v_mov_b32_e32 v111, s4
	s_lshl_b64 s[4:5], s[20:21], 2
	s_delay_alu instid0(SALU_CYCLE_1)
	s_add_u32 s4, s16, s4
	s_addc_u32 s5, s25, s5
	s_add_u32 s6, s22, s15
	s_addc_u32 s7, s23, s18
	s_waitcnt vmcnt(1)
	v_mad_i64_i32 v[3:4], null, v5, s17, v[1:2]
	s_waitcnt vmcnt(0)
	v_mad_i64_i32 v[5:6], null, v7, s17, v[1:2]
	v_mul_lo_u16 v1, v68, 43
	v_lshlrev_b32_e32 v2, 4, v68
	s_clause 0xf
	global_load_b128 v[17:20], v[3:4], off
	global_load_b128 v[21:24], v[3:4], off offset:256
	global_load_b128 v[25:28], v[5:6], off
	global_load_b128 v[29:32], v[5:6], off offset:256
	global_load_b128 v[57:60], v[3:4], off offset:512
	;; [unrolled: 1-line block ×13, first 2 shown]
	v_lshrrev_b16 v1, 8, v1
	s_delay_alu instid0(VALU_DEP_1) | instskip(NEXT) | instid1(VALU_DEP_1)
	v_mul_lo_u16 v1, v1, 6
	v_sub_nc_u16 v1, v68, v1
	s_delay_alu instid0(VALU_DEP_1) | instskip(NEXT) | instid1(VALU_DEP_1)
	v_and_b32_e32 v1, 0xff, v1
	v_lshlrev_b32_e32 v149, 6, v1
	v_lshl_or_b32 v1, v69, 8, v2
	ds_load_b128 v[119:122], v149
	ds_load_b128 v[123:126], v149 offset:1024
	ds_load_b128 v[127:130], v149 offset:2048
	;; [unrolled: 1-line block ×3, first 2 shown]
	s_clause 0x1
	s_load_b32 s2, s[2:3], 0x0
	s_load_b32 s3, s[4:5], 0x0
	v_add_co_u32 v135, s6, s6, v1
	s_delay_alu instid0(VALU_DEP_1) | instskip(SKIP_1) | instid1(VALU_DEP_1)
	v_add_co_ci_u32_e64 v136, null, s7, 0, s6
	s_waitcnt lgkmcnt(0)
	v_mad_i64_i32 v[1:2], null, s26, s17, v[135:136]
	v_mad_i64_i32 v[3:4], null, s27, s17, v[135:136]
	;; [unrolled: 1-line block ×6, first 2 shown]
	s_clause 0x9
	global_load_b128 v[49:52], v[1:2], off
	global_load_b128 v[53:56], v[1:2], off offset:16
	global_load_b128 v[41:44], v[3:4], off
	global_load_b128 v[45:48], v[3:4], off offset:16
	;; [unrolled: 2-line block ×5, first 2 shown]
	v_mad_i64_i32 v[145:146], null, s2, s17, v[135:136]
	v_mad_i64_i32 v[147:148], null, s3, s17, v[135:136]
	s_waitcnt vmcnt(24)
	v_wmma_f32_16x16x16_f16 v[135:142], v[17:24], v[119:126], v[111:118]
	s_waitcnt vmcnt(22)
	v_wmma_f32_16x16x16_f16 v[111:118], v[25:32], v[119:126], v[111:118]
	s_clause 0x3
	global_load_b128 v[17:20], v[143:144], off
	global_load_b128 v[21:24], v[143:144], off offset:16
	global_load_b128 v[25:28], v[145:146], off
	global_load_b128 v[29:32], v[145:146], off offset:16
	v_and_b32_e32 v119, 0xe0, v0
	s_waitcnt vmcnt(24)
	v_wmma_f32_16x16x16_f16 v[135:142], v[57:64], v[127:134], v[135:142]
	s_clause 0x1
	global_load_b128 v[57:60], v[147:148], off
	global_load_b128 v[61:64], v[147:148], off offset:16
	s_waitcnt vmcnt(24)
	v_wmma_f32_16x16x16_f16 v[111:118], v[71:78], v[127:134], v[111:118]
	ds_load_b128 v[71:74], v149 offset:4096
	ds_load_b128 v[75:78], v149 offset:5120
	v_add_nc_u32_e32 v128, s12, v119
	ds_load_b128 v[119:122], v149 offset:6144
	ds_load_b128 v[123:126], v149 offset:7168
	v_mbcnt_lo_u32_b32 v127, -1, 0
	s_waitcnt vmcnt(0) lgkmcnt(0)
	s_barrier
	v_or_b32_e32 v128, v128, v66
	buffer_gl0_inv
	v_xor_b32_e32 v129, 16, v127
	v_or_b32_e32 v130, 4, v128
	v_or_b32_e32 v131, 6, v128
	s_delay_alu instid0(VALU_DEP_3) | instskip(SKIP_4) | instid1(VALU_DEP_4)
	v_cmp_gt_i32_e32 vcc_lo, 32, v129
	v_or_b32_e32 v132, 8, v128
	v_or_b32_e32 v133, 10, v128
	v_cmp_gt_i32_e64 s3, s24, v130
	v_cmp_gt_i32_e64 s4, s24, v131
	;; [unrolled: 1-line block ×3, first 2 shown]
	v_wmma_f32_16x16x16_f16 v[135:142], v[79:86], v[71:78], v[135:142]
	v_wmma_f32_16x16x16_f16 v[111:118], v[87:94], v[71:78], v[111:118]
	v_or_b32_e32 v79, 12, v128
	v_or_b32_e32 v80, 14, v128
	v_cmp_gt_i32_e64 s6, s24, v133
	v_wmma_f32_16x16x16_f16 v[135:142], v[95:102], v[119:126], v[135:142]
	v_wmma_f32_16x16x16_f16 v[111:118], v[103:110], v[119:126], v[111:118]
	v_cndmask_b32_e32 v127, v127, v129, vcc_lo
	v_or_b32_e32 v129, 2, v128
	v_cmp_gt_i32_e32 vcc_lo, s24, v128
	s_delay_alu instid0(VALU_DEP_4) | instskip(SKIP_1) | instid1(VALU_DEP_4)
	v_dual_mul_f32 v87, s19, v136 :: v_dual_mul_f32 v94, s19, v113
	v_mul_f32_e32 v88, s19, v135
	v_cmp_gt_i32_e64 s2, s24, v129
	v_mul_f32_e32 v78, s19, v138
	v_mul_f32_e32 v86, s19, v137
	;; [unrolled: 1-line block ×3, first 2 shown]
	v_cndmask_b32_e32 v88, 0xff7fffff, v88, vcc_lo
	v_cndmask_b32_e64 v87, 0xff7fffff, v87, s2
	v_dual_mul_f32 v77, s19, v139 :: v_dual_mul_f32 v90, s19, v117
	v_cndmask_b32_e64 v86, 0xff7fffff, v86, s3
	v_cndmask_b32_e64 v78, 0xff7fffff, v78, s4
	s_delay_alu instid0(VALU_DEP_4)
	v_max3_f32 v87, v88, 0xff7fffff, v87
	v_or_b32_e32 v81, 16, v128
	v_or_b32_e32 v82, 18, v128
	v_dual_mul_f32 v74, s19, v142 :: v_dual_mul_f32 v75, s19, v141
	v_mul_f32_e32 v96, s19, v111
	v_cndmask_b32_e64 v77, 0xff7fffff, v77, s5
	v_cndmask_b32_e64 v76, 0xff7fffff, v76, s6
	v_max3_f32 v78, v87, v86, v78
	v_cmp_gt_i32_e64 s7, s24, v79
	v_cmp_gt_i32_e64 s8, s24, v80
	v_or_b32_e32 v83, 20, v128
	v_or_b32_e32 v84, 22, v128
	v_mul_f32_e32 v95, s19, v112
	v_cndmask_b32_e64 v75, 0xff7fffff, v75, s7
	v_cndmask_b32_e64 v74, 0xff7fffff, v74, s8
	v_max3_f32 v76, v78, v77, v76
	v_cmp_gt_i32_e64 s9, s24, v81
	v_cmp_gt_i32_e64 s10, s24, v82
	v_or_b32_e32 v85, 24, v128
	v_or_b32_e32 v71, 26, v128
	v_mul_f32_e32 v93, s19, v114
	v_cndmask_b32_e64 v77, 0xff7fffff, v96, s9
	v_cndmask_b32_e64 v78, 0xff7fffff, v95, s10
	v_max3_f32 v74, v76, v75, v74
	v_cmp_gt_i32_e64 s11, s24, v83
	v_cmp_gt_i32_e64 s12, s24, v84
	v_or_b32_e32 v72, 28, v128
	v_or_b32_e32 v73, 30, v128
	v_dual_mul_f32 v91, s19, v116 :: v_dual_mul_f32 v92, s19, v115
	v_cndmask_b32_e64 v75, 0xff7fffff, v94, s11
	v_cndmask_b32_e64 v76, 0xff7fffff, v93, s12
	v_max3_f32 v74, v74, v77, v78
	v_cmp_gt_i32_e64 s13, s24, v85
	v_cmp_gt_i32_e64 s15, s24, v71
	v_mul_f32_e32 v89, s19, v118
	v_cmp_gt_i32_e64 s16, s24, v72
	v_max3_f32 v74, v74, v75, v76
	v_cndmask_b32_e64 v77, 0xff7fffff, v92, s13
	v_cndmask_b32_e64 v71, 0xff7fffff, v91, s15
	v_cmp_gt_i32_e64 s17, s24, v73
	v_cndmask_b32_e64 v72, 0xff7fffff, v90, s16
	s_delay_alu instid0(VALU_DEP_3) | instskip(SKIP_1) | instid1(VALU_DEP_4)
	v_max3_f32 v71, v74, v77, v71
	v_lshlrev_b32_e32 v74, 2, v127
	v_cndmask_b32_e64 v73, 0xff7fffff, v89, s17
	s_delay_alu instid0(VALU_DEP_1) | instskip(SKIP_3) | instid1(VALU_DEP_1)
	v_max3_f32 v71, v71, v72, v73
	ds_bpermute_b32 v72, v74, v71
	s_waitcnt lgkmcnt(0)
	v_max_f32_e32 v72, v72, v72
	v_max_f32_e32 v71, v71, v72
	s_delay_alu instid0(VALU_DEP_1) | instskip(SKIP_4) | instid1(VALU_DEP_4)
	v_fma_f32 v72, s19, v135, -v71
	v_fma_f32 v73, s19, v136, -v71
	;; [unrolled: 1-line block ×5, first 2 shown]
	v_dual_mul_f32 v72, 0x3fb8aa3b, v72 :: v_dual_mul_f32 v73, 0x3fb8aa3b, v73
	s_delay_alu instid0(VALU_DEP_3) | instskip(SKIP_1) | instid1(VALU_DEP_3)
	v_dual_mul_f32 v75, 0x3fb8aa3b, v75 :: v_dual_mul_f32 v76, 0x3fb8aa3b, v76
	v_fma_f32 v80, s19, v141, -v71
	v_exp_f32_e32 v72, v72
	s_delay_alu instid0(VALU_DEP_3) | instskip(NEXT) | instid1(VALU_DEP_2)
	v_exp_f32_e32 v73, v73
	v_exp_f32_e32 v75, v75
	;; [unrolled: 1-line block ×3, first 2 shown]
	v_mul_f32_e32 v82, 0x3fb8aa3b, v80
	s_delay_alu instid0(VALU_DEP_1) | instskip(SKIP_4) | instid1(TRANS32_DEP_3)
	v_exp_f32_e32 v84, v82
	v_cndmask_b32_e32 v79, 0, v72, vcc_lo
	v_fma_f32 v72, s19, v140, -v71
	v_mul_f32_e32 v77, 0x3fb8aa3b, v77
	v_cndmask_b32_e64 v78, 0, v73, s2
	v_cndmask_b32_e64 v81, 0, v75, s3
	s_delay_alu instid0(VALU_DEP_4) | instskip(NEXT) | instid1(VALU_DEP_4)
	v_dual_add_f32 v73, 0, v79 :: v_dual_mul_f32 v72, 0x3fb8aa3b, v72
	v_exp_f32_e32 v77, v77
	v_cndmask_b32_e64 v80, 0, v76, s4
	s_delay_alu instid0(TRANS32_DEP_2) | instskip(NEXT) | instid1(VALU_DEP_3)
	v_cndmask_b32_e64 v85, 0, v84, s7
	v_add_f32_e32 v73, v73, v78
	v_exp_f32_e32 v72, v72
	s_mov_b32 s2, exec_lo
	s_delay_alu instid0(VALU_DEP_1) | instskip(SKIP_4) | instid1(VALU_DEP_2)
	v_add_f32_e32 v73, v73, v81
	s_waitcnt_depctr 0xfff
	v_cndmask_b32_e64 v83, 0, v77, s5
	v_add_f32_e32 v73, v73, v80
	v_cndmask_b32_e64 v82, 0, v72, s6
	v_add_f32_e32 v72, v73, v83
	s_delay_alu instid0(VALU_DEP_1) | instskip(NEXT) | instid1(VALU_DEP_1)
	v_add_f32_e32 v72, v72, v82
	v_add_f32_e32 v72, v72, v85
	v_fma_f32 v76, s19, v111, -v71
	v_fma_f32 v75, s19, v142, -v71
	;; [unrolled: 1-line block ×5, first 2 shown]
	s_delay_alu instid0(VALU_DEP_4) | instskip(NEXT) | instid1(VALU_DEP_3)
	v_dual_mul_f32 v76, 0x3fb8aa3b, v76 :: v_dual_mul_f32 v75, 0x3fb8aa3b, v75
	v_mul_f32_e32 v86, 0x3fb8aa3b, v86
	s_delay_alu instid0(VALU_DEP_2) | instskip(NEXT) | instid1(VALU_DEP_2)
	v_exp_f32_e32 v76, v76
	v_exp_f32_e32 v75, v75
	s_delay_alu instid0(VALU_DEP_1) | instskip(NEXT) | instid1(TRANS32_DEP_3)
	v_exp_f32_e32 v88, v86
	v_cndmask_b32_e64 v87, 0, v76, s9
	v_fma_f32 v76, s19, v116, -v71
	v_mul_f32_e32 v77, 0x3fb8aa3b, v77
	s_waitcnt_depctr 0xfff
	v_cndmask_b32_e64 v84, 0, v75, s8
	v_fma_f32 v75, s19, v115, -v71
	v_cndmask_b32_e64 v88, 0, v88, s12
	v_mul_f32_e32 v76, 0x3fb8aa3b, v76
	v_exp_f32_e32 v77, v77
	v_add_f32_e32 v72, v72, v84
	s_delay_alu instid0(VALU_DEP_2) | instskip(NEXT) | instid1(VALU_DEP_1)
	v_exp_f32_e32 v76, v76
	v_add_f32_e32 v72, v72, v87
	s_waitcnt_depctr 0xfff
	v_cndmask_b32_e64 v86, 0, v77, s10
	v_mul_f32_e32 v73, 0x3fb8aa3b, v73
	v_fma_f32 v77, s19, v117, -v71
	v_cndmask_b32_e64 v90, 0, v76, s15
	s_delay_alu instid0(VALU_DEP_4) | instskip(NEXT) | instid1(VALU_DEP_4)
	v_add_f32_e32 v72, v72, v86
	v_exp_f32_e32 v73, v73
	s_waitcnt_depctr 0xfff
	v_cndmask_b32_e64 v89, 0, v73, s11
	s_delay_alu instid0(VALU_DEP_1) | instskip(NEXT) | instid1(VALU_DEP_1)
	v_dual_mul_f32 v75, 0x3fb8aa3b, v75 :: v_dual_add_f32 v72, v72, v89
	v_exp_f32_e32 v75, v75
	v_mul_f32_e32 v73, 0x3fb8aa3b, v77
	v_fma_f32 v77, s19, v118, -v71
	s_delay_alu instid0(VALU_DEP_3) | instskip(NEXT) | instid1(VALU_DEP_3)
	v_add_f32_e32 v72, v72, v88
	v_exp_f32_e32 v73, v73
	s_waitcnt_depctr 0xfff
	v_cndmask_b32_e64 v91, 0, v75, s13
	s_delay_alu instid0(VALU_DEP_1) | instskip(NEXT) | instid1(VALU_DEP_1)
	v_dual_mul_f32 v75, 0x3fb8aa3b, v77 :: v_dual_add_f32 v72, v72, v91
	v_exp_f32_e32 v75, v75
	v_cndmask_b32_e64 v93, 0, v73, s16
	s_delay_alu instid0(VALU_DEP_2) | instskip(NEXT) | instid1(VALU_DEP_1)
	v_add_f32_e32 v72, v72, v90
	v_add_f32_e32 v72, v72, v93
	s_waitcnt_depctr 0xfff
	v_cndmask_b32_e64 v92, 0, v75, s17
	s_delay_alu instid0(VALU_DEP_1)
	v_add_f32_e32 v72, v72, v92
	ds_bpermute_b32 v73, v74, v72
	v_cmpx_gt_u32_e32 16, v70
	s_cbranch_execz .LBB1251_12
; %bb.11:
	v_mul_u32_u24_e32 v70, 0x44, v69
	s_waitcnt lgkmcnt(0)
	v_add_f32_e32 v72, v72, v73
	s_delay_alu instid0(VALU_DEP_2) | instskip(NEXT) | instid1(VALU_DEP_1)
	v_lshl_add_u32 v70, v68, 2, v70
	v_add_nc_u32_e32 v70, 0x4000, v70
	ds_store_2addr_b32 v70, v71, v72 offset1:136
.LBB1251_12:
	s_or_b32 exec_lo, exec_lo, s2
	v_lshlrev_b32_e32 v70, 2, v68
	s_load_b32 s34, s[0:1], 0x94
	s_waitcnt lgkmcnt(0)
	s_barrier
	buffer_gl0_inv
	v_add_nc_u32_e32 v98, 0x4000, v70
	v_cmp_eq_u32_e32 vcc_lo, 1, v69
	v_cmp_eq_u32_e64 s2, 2, v69
	v_cmp_eq_u32_e64 s3, 3, v69
	;; [unrolled: 1-line block ×3, first 2 shown]
	ds_load_2addr_b32 v[70:71], v98 offset1:17
	ds_load_2addr_b32 v[72:73], v98 offset0:34 offset1:51
	ds_load_2addr_b32 v[74:75], v98 offset0:68 offset1:85
	;; [unrolled: 1-line block ×3, first 2 shown]
	v_cmp_eq_u32_e64 s5, 5, v69
	v_cmp_eq_u32_e64 s6, 7, v69
	s_waitcnt lgkmcnt(3)
	v_max3_f32 v76, v70, 0xff7fffff, v71
	s_waitcnt lgkmcnt(2)
	s_delay_alu instid0(VALU_DEP_1) | instskip(SKIP_1) | instid1(VALU_DEP_1)
	v_max3_f32 v76, v76, v72, v73
	s_waitcnt lgkmcnt(1)
	v_max3_f32 v76, v76, v74, v75
	s_waitcnt lgkmcnt(0)
	s_delay_alu instid0(VALU_DEP_1) | instskip(NEXT) | instid1(VALU_DEP_1)
	v_max3_f32 v76, v76, v94, v95
	v_sub_f32_e32 v77, v71, v76
	ds_load_2addr_b32 v[96:97], v98 offset0:136 offset1:153
	v_sub_f32_e32 v74, v74, v76
	v_sub_f32_e32 v70, v70, v76
	;; [unrolled: 1-line block ×3, first 2 shown]
	v_dual_sub_f32 v72, v72, v76 :: v_dual_mul_f32 v77, 0x3fb8aa3b, v77
	s_delay_alu instid0(VALU_DEP_4) | instskip(NEXT) | instid1(VALU_DEP_4)
	v_mul_f32_e32 v103, 0x3fb8aa3b, v74
	v_mul_f32_e32 v99, 0x3fb8aa3b, v70
	ds_load_2addr_b32 v[70:71], v98 offset0:170 offset1:187
	v_dual_mul_f32 v101, 0x3fb8aa3b, v72 :: v_dual_mul_f32 v94, 0x3fb8aa3b, v94
	v_exp_f32_e32 v102, v77
	v_exp_f32_e32 v99, v99
	s_delay_alu instid0(VALU_DEP_1) | instskip(NEXT) | instid1(VALU_DEP_1)
	v_exp_f32_e32 v101, v101
	v_exp_f32_e32 v94, v94
	s_waitcnt lgkmcnt(1)
	s_delay_alu instid0(TRANS32_DEP_3)
	v_fma_f32 v77, v99, v96, 0
	v_sub_f32_e32 v100, v73, v76
	ds_load_2addr_b32 v[72:73], v98 offset0:204 offset1:221
	v_fmac_f32_e32 v77, v102, v97
	v_exp_f32_e32 v97, v103
	s_waitcnt lgkmcnt(1)
	s_delay_alu instid0(VALU_DEP_1)
	v_dual_fmac_f32 v77, v101, v70 :: v_dual_sub_f32 v96, v75, v76
	ds_load_2addr_b32 v[74:75], v98 offset0:238 offset1:255
	v_sub_f32_e32 v70, v95, v76
	s_waitcnt lgkmcnt(0)
	s_barrier
	v_mul_f32_e32 v96, 0x3fb8aa3b, v96
	buffer_gl0_inv
	v_exp_f32_e32 v95, v96
	v_mul_f32_e32 v100, 0x3fb8aa3b, v100
	s_delay_alu instid0(VALU_DEP_1) | instskip(SKIP_3) | instid1(VALU_DEP_2)
	v_exp_f32_e32 v100, v100
	s_waitcnt_depctr 0xfff
	v_dual_fmac_f32 v77, v100, v71 :: v_dual_mul_f32 v70, 0x3fb8aa3b, v70
	v_cndmask_b32_e32 v71, v99, v102, vcc_lo
	v_fmac_f32_e32 v77, v97, v72
	s_delay_alu instid0(VALU_DEP_3) | instskip(NEXT) | instid1(VALU_DEP_1)
	v_exp_f32_e32 v96, v70
	v_fmac_f32_e32 v77, v95, v73
	s_delay_alu instid0(VALU_DEP_1) | instskip(SKIP_2) | instid1(VALU_DEP_1)
	v_fmac_f32_e32 v77, v94, v74
	s_waitcnt_depctr 0xfff
	v_fmac_f32_e32 v77, v96, v75
	v_add_f32_e32 v74, 0x358637bd, v77
	s_delay_alu instid0(VALU_DEP_1) | instskip(SKIP_1) | instid1(VALU_DEP_2)
	v_div_scale_f32 v98, null, v74, v74, 1.0
	v_div_scale_f32 v99, vcc_lo, 1.0, v74, 1.0
	v_rcp_f32_e32 v103, v98
	s_waitcnt_depctr 0xfff
	v_fma_f32 v70, -v98, v103, 1.0
	s_delay_alu instid0(VALU_DEP_1) | instskip(SKIP_2) | instid1(VALU_DEP_2)
	v_fmac_f32_e32 v103, v70, v103
	v_cndmask_b32_e64 v70, v71, v101, s2
	v_cmp_eq_u32_e64 s2, 6, v69
	v_cndmask_b32_e64 v71, v70, v100, s3
	s_delay_alu instid0(VALU_DEP_4) | instskip(NEXT) | instid1(VALU_DEP_2)
	v_dual_mul_f32 v101, v99, v103 :: v_dual_lshlrev_b32 v70, 2, v66
	v_cndmask_b32_e64 v71, v71, v97, s4
	s_delay_alu instid0(VALU_DEP_2) | instskip(NEXT) | instid1(VALU_DEP_3)
	v_or_b32_e32 v72, 1, v70
	v_fma_f32 v100, -v98, v101, v99
	v_cmp_eq_u32_e64 s3, 1, v70
	v_cmp_eq_u32_e64 s4, 2, v70
	v_cndmask_b32_e64 v95, v71, v95, s5
	v_or_b32_e32 v71, 3, v70
	v_fmac_f32_e32 v101, v100, v103
	v_cmp_eq_u32_e64 s8, 1, v72
	v_cmp_eq_u32_e64 s11, 2, v72
	v_cndmask_b32_e64 v94, v95, v94, s2
	v_cmp_eq_u32_e64 s10, 1, v71
	v_fma_f32 v97, -v98, v101, v99
	v_cmp_eq_u32_e64 s15, 2, v71
	v_cmp_eq_u32_e64 s12, 3, v72
	v_cndmask_b32_e64 v94, v94, v96, s6
	v_cmp_eq_u32_e64 s17, 3, v71
	v_div_fmas_f32 v95, v97, v103, v101
	v_cmp_eq_u32_e32 vcc_lo, 3, v70
	v_cmp_eq_u32_e64 s2, 4, v70
	v_cmp_eq_u32_e64 s18, 4, v72
	;; [unrolled: 1-line block ×3, first 2 shown]
	v_div_fixup_f32 v95, v95, v74, 1.0
	v_lshlrev_b32_e32 v73, 6, v68
	v_cmp_eq_u32_e64 s5, 5, v70
	v_cmp_eq_u32_e64 s19, 5, v72
	v_cmp_eq_u32_e64 s23, 5, v71
	v_mul_f32_e32 v102, v94, v95
	v_lshl_or_b32 v75, v69, 11, v73
	v_or_b32_e32 v69, 2, v70
	v_cmp_eq_u32_e64 s24, 6, v72
	v_cmp_eq_u32_e64 s26, 6, v71
	v_fma_mixlo_f16 v94, v102, v79, 0
	v_fma_mixlo_f16 v95, v102, v81, 0
	;; [unrolled: 1-line block ×8, first 2 shown]
	v_lshl_or_b32 v74, v66, 4, v75
	v_fma_mixhi_f16 v94, v102, v78, 0
	v_fma_mixhi_f16 v95, v102, v80, 0
	v_fma_mixhi_f16 v96, v102, v82, 0
	v_fma_mixhi_f16 v97, v102, v84, 0
	v_fma_mixhi_f16 v98, v102, v86, 0
	v_fma_mixhi_f16 v99, v102, v88, 0
	v_fma_mixhi_f16 v100, v102, v90, 0
	v_fma_mixhi_f16 v101, v102, v92, 0
	ds_store_b128 v74, v[94:97]
	ds_store_b128 v74, v[98:101] offset:1024
	s_waitcnt lgkmcnt(0)
	s_barrier
	buffer_gl0_inv
	ds_load_b128 v[78:81], v75
	ds_load_b128 v[82:85], v75 offset:16
	ds_load_b128 v[86:89], v75 offset:1024
	;; [unrolled: 1-line block ×3, first 2 shown]
	v_cmp_eq_u32_e64 s9, 1, v69
	v_cmp_eq_u32_e64 s13, 2, v69
	;; [unrolled: 1-line block ×11, first 2 shown]
	s_waitcnt lgkmcnt(3)
	v_lshrrev_b32_e32 v94, 16, v78
	s_waitcnt lgkmcnt(2)
	v_lshrrev_b32_e32 v98, 16, v82
	;; [unrolled: 2-line block ×4, first 2 shown]
	v_lshrrev_b32_e32 v95, 16, v79
	v_cndmask_b32_e64 v110, v78, v94, s3
	v_cndmask_b32_e64 v111, v82, v98, s3
	;; [unrolled: 1-line block ×8, first 2 shown]
	v_lshrrev_b32_e32 v99, 16, v83
	v_cndmask_b32_e64 v94, v86, v102, s3
	v_cndmask_b32_e64 v98, v90, v106, s3
	;; [unrolled: 1-line block ×15, first 2 shown]
	v_lshrrev_b32_e32 v103, 16, v87
	v_lshrrev_b32_e32 v107, 16, v91
	v_cndmask_b32_e64 v113, v115, v83, s13
	v_cndmask_b32_e64 v82, v94, v87, s4
	;; [unrolled: 1-line block ×7, first 2 shown]
	v_cndmask_b32_e32 v90, v102, v95, vcc_lo
	v_cndmask_b32_e32 v102, v106, v99, vcc_lo
	v_cndmask_b32_e64 v106, v110, v95, s12
	v_cndmask_b32_e64 v110, v111, v99, s12
	;; [unrolled: 1-line block ×4, first 2 shown]
	v_lshrrev_b32_e32 v96, 16, v80
	v_lshrrev_b32_e32 v100, 16, v84
	v_cndmask_b32_e64 v111, v112, v95, s16
	v_cndmask_b32_e64 v112, v113, v99, s16
	v_cndmask_b32_e32 v82, v82, v103, vcc_lo
	v_cndmask_b32_e32 v83, v83, v107, vcc_lo
	v_cndmask_b32_e64 v94, v94, v103, s12
	v_cndmask_b32_e64 v90, v90, v80, s2
	;; [unrolled: 1-line block ×7, first 2 shown]
	v_lshrrev_b32_e32 v104, 16, v88
	v_cndmask_b32_e64 v106, v111, v80, s20
	v_cndmask_b32_e64 v110, v112, v84, s20
	;; [unrolled: 1-line block ×11, first 2 shown]
	v_lshrrev_b32_e32 v97, 16, v81
	v_lshrrev_b32_e32 v101, 16, v85
	v_cndmask_b32_e64 v99, v106, v96, s22
	v_cndmask_b32_e64 v102, v110, v100, s22
	;; [unrolled: 1-line block ×7, first 2 shown]
	v_lshrrev_b32_e32 v105, 16, v89
	v_cndmask_b32_e64 v80, v80, v104, s5
	v_cndmask_b32_e64 v84, v84, v81, s6
	;; [unrolled: 1-line block ×16, first 2 shown]
	v_perm_b32 v81, v79, v78, 0x5040100
	v_perm_b32 v79, v95, v85, 0x5040100
	v_cndmask_b32_e64 v78, v119, v91, s13
	v_cndmask_b32_e64 v85, v117, v91, s11
	;; [unrolled: 1-line block ×3, first 2 shown]
	v_perm_b32 v80, v94, v90, 0x5040100
	v_cndmask_b32_e64 v90, v98, v103, s16
	v_cndmask_b32_e64 v86, v86, v103, s17
	;; [unrolled: 1-line block ×5, first 2 shown]
	v_lshrrev_b32_e32 v108, 16, v92
	v_cndmask_b32_e64 v90, v90, v88, s20
	v_cndmask_b32_e64 v86, v86, v88, s21
	;; [unrolled: 1-line block ×11, first 2 shown]
	v_lshrrev_b32_e32 v109, 16, v93
	v_cndmask_b32_e64 v82, v82, v93, s6
	v_cndmask_b32_e64 v88, v88, v89, s25
	;; [unrolled: 1-line block ×12, first 2 shown]
	v_perm_b32 v78, v84, v83, 0x5040100
	v_perm_b32 v85, v87, v86, 0x5040100
	;; [unrolled: 1-line block ×5, first 2 shown]
	s_mul_i32 s7, s33, 6
	s_mov_b32 s2, exec_lo
	ds_store_b128 v74, v[78:81]
	ds_store_b128 v74, v[82:85] offset:1024
	v_cmpx_gt_u32_e32 6, v0
	s_cbranch_execz .LBB1251_14
; %bb.13:
	s_mul_i32 s3, s7, s30
	s_load_b128 s[8:11], s[0:1], 0x58
	v_add3_u32 v68, s3, s31, v68
	s_delay_alu instid0(VALU_DEP_1) | instskip(NEXT) | instid1(VALU_DEP_1)
	v_mad_u64_u32 v[78:79], null, v68, s34, s[14:15]
	v_ashrrev_i32_e32 v79, 31, v78
	s_delay_alu instid0(VALU_DEP_1) | instskip(SKIP_1) | instid1(VALU_DEP_1)
	v_lshlrev_b64 v[78:79], 2, v[78:79]
	s_waitcnt lgkmcnt(0)
	v_add_co_u32 v80, vcc_lo, s10, v78
	s_delay_alu instid0(VALU_DEP_2)
	v_add_co_ci_u32_e32 v81, vcc_lo, s11, v79, vcc_lo
	v_add_co_u32 v78, vcc_lo, s8, v78
	v_add_co_ci_u32_e32 v79, vcc_lo, s9, v79, vcc_lo
	global_store_b32 v[80:81], v76, off
	global_store_b32 v[78:79], v77, off
.LBB1251_14:
	s_or_b32 exec_lo, exec_lo, s2
	s_waitcnt lgkmcnt(0)
	s_waitcnt_vscnt null, 0x0
	s_barrier
	buffer_gl0_inv
	ds_load_b128 v[84:87], v73
	ds_load_b128 v[88:91], v73 offset:16
	ds_load_b128 v[96:99], v73 offset:2064
	;; [unrolled: 1-line block ×5, first 2 shown]
	v_cmp_eq_u32_e32 vcc_lo, 1, v70
	v_mov_b32_e32 v76, 0
	ds_load_b128 v[112:115], v73 offset:6160
	ds_load_b128 v[108:111], v73 offset:6144
	;; [unrolled: 1-line block ×4, first 2 shown]
	v_cmp_eq_u32_e64 s3, 1, v69
	v_cmp_eq_u32_e64 s2, 1, v72
	;; [unrolled: 1-line block ×3, first 2 shown]
	v_mov_b32_e32 v77, v76
	v_mov_b32_e32 v78, v76
	;; [unrolled: 1-line block ×7, first 2 shown]
	v_cmp_eq_u32_e64 s5, 3, v72
	v_cmp_eq_u32_e64 s6, 7, v72
	s_waitcnt lgkmcnt(8)
	s_delay_alu instid0(VALU_DEP_3)
	v_wmma_f32_16x16x16_f16 v[76:83], v[49:56], v[84:91], v[76:83]
	ds_load_b128 v[53:56], v73 offset:10256
	ds_load_b128 v[49:52], v73 offset:10240
	s_waitcnt lgkmcnt(8)
	v_wmma_f32_16x16x16_f16 v[76:83], v[41:48], v[92:99], v[76:83]
	ds_load_b128 v[45:48], v73 offset:12304
	ds_load_b128 v[41:44], v73 offset:12288
	s_waitcnt lgkmcnt(8)
	;; [unrolled: 4-line block ×3, first 2 shown]
	s_barrier
	buffer_gl0_inv
	v_wmma_f32_16x16x16_f16 v[76:83], v[1:8], v[108:115], v[76:83]
	s_delay_alu instid0(VALU_DEP_1) | instskip(NEXT) | instid1(VALU_DEP_1)
	v_wmma_f32_16x16x16_f16 v[76:83], v[9:16], v[116:123], v[76:83]
	v_wmma_f32_16x16x16_f16 v[76:83], v[17:24], v[49:56], v[76:83]
	s_delay_alu instid0(VALU_DEP_1) | instskip(NEXT) | instid1(VALU_DEP_1)
	v_wmma_f32_16x16x16_f16 v[76:83], v[25:32], v[41:48], v[76:83]
	v_wmma_f32_16x16x16_f16 v[76:83], v[57:64], v[33:40], v[76:83]
	s_delay_alu instid0(VALU_DEP_1) | instskip(NEXT) | instid1(VALU_DEP_2)
	v_cvt_f16_f32_e32 v1, v76
	v_cvt_f16_f32_e32 v2, v77
	s_delay_alu instid0(VALU_DEP_3) | instskip(NEXT) | instid1(VALU_DEP_4)
	v_cvt_f16_f32_e32 v3, v78
	v_cvt_f16_f32_e32 v4, v79
	;; [unrolled: 1-line block ×6, first 2 shown]
	v_pack_b32_f16 v1, v1, v2
	v_pack_b32_f16 v2, v3, v4
	v_pack_b32_f16 v3, v5, v6
	s_delay_alu instid0(VALU_DEP_4)
	v_pack_b32_f16 v4, v7, v8
	ds_store_b128 v74, v[1:4]
	s_waitcnt lgkmcnt(0)
	s_barrier
	buffer_gl0_inv
	ds_load_b128 v[1:4], v75
	ds_load_b128 v[5:8], v75 offset:16
	s_waitcnt lgkmcnt(1)
	v_lshrrev_b32_e32 v9, 16, v1
	s_waitcnt lgkmcnt(0)
	v_lshrrev_b32_e32 v13, 16, v5
	v_lshrrev_b32_e32 v10, 16, v2
	;; [unrolled: 1-line block ×4, first 2 shown]
	v_cndmask_b32_e32 v17, v1, v9, vcc_lo
	v_cndmask_b32_e32 v18, v5, v13, vcc_lo
	v_cndmask_b32_e64 v21, v1, v9, s3
	v_cmp_eq_u32_e32 vcc_lo, 1, v71
	v_cndmask_b32_e64 v22, v5, v13, s3
	v_cmp_eq_u32_e64 s3, 2, v70
	v_cndmask_b32_e64 v19, v1, v9, s2
	v_cndmask_b32_e64 v20, v5, v13, s2
	v_cndmask_b32_e32 v1, v1, v9, vcc_lo
	v_cmp_eq_u32_e64 s2, 2, v71
	v_cndmask_b32_e32 v5, v5, v13, vcc_lo
	v_cndmask_b32_e64 v9, v17, v2, s3
	v_cmp_eq_u32_e32 vcc_lo, 3, v70
	v_cndmask_b32_e64 v13, v18, v6, s3
	v_cmp_eq_u32_e64 s3, 2, v69
	v_cndmask_b32_e64 v17, v19, v2, s4
	v_cndmask_b32_e64 v18, v20, v6, s4
	v_cmp_eq_u32_e64 s4, 3, v69
	v_cndmask_b32_e64 v1, v1, v2, s2
	v_cndmask_b32_e64 v19, v21, v2, s3
	;; [unrolled: 1-line block ×4, first 2 shown]
	v_cndmask_b32_e32 v5, v9, v10, vcc_lo
	v_cndmask_b32_e32 v6, v13, v14, vcc_lo
	v_cmp_eq_u32_e32 vcc_lo, 3, v71
	v_cndmask_b32_e64 v9, v17, v10, s5
	v_cndmask_b32_e64 v13, v18, v14, s5
	;; [unrolled: 1-line block ×3, first 2 shown]
	v_cmp_eq_u32_e64 s3, 4, v70
	v_cndmask_b32_e32 v1, v1, v10, vcc_lo
	v_cndmask_b32_e32 v2, v2, v14, vcc_lo
	v_cmp_eq_u32_e32 vcc_lo, 4, v72
	v_lshrrev_b32_e32 v15, 16, v7
	v_lshrrev_b32_e32 v16, 16, v8
	v_cndmask_b32_e64 v17, v19, v10, s4
	v_cmp_eq_u32_e64 s2, 4, v71
	v_cndmask_b32_e64 v5, v5, v3, s3
	v_cndmask_b32_e64 v6, v6, v7, s3
	v_cndmask_b32_e32 v9, v9, v3, vcc_lo
	v_cmp_eq_u32_e64 s3, 5, v72
	v_cndmask_b32_e32 v10, v13, v7, vcc_lo
	v_cmp_eq_u32_e32 vcc_lo, 4, v69
	v_cmp_eq_u32_e64 s4, 5, v70
	v_cndmask_b32_e64 v2, v2, v7, s2
	v_cndmask_b32_e64 v9, v9, v11, s3
	;; [unrolled: 1-line block ×3, first 2 shown]
	v_cndmask_b32_e32 v13, v17, v3, vcc_lo
	v_cmp_eq_u32_e64 s3, 5, v69
	v_cndmask_b32_e32 v14, v18, v7, vcc_lo
	v_cndmask_b32_e64 v1, v1, v3, s2
	v_cmp_eq_u32_e32 vcc_lo, 5, v71
	v_lshrrev_b32_e32 v12, 16, v4
	v_cndmask_b32_e64 v13, v13, v11, s3
	v_cndmask_b32_e64 v3, v14, v15, s3
	v_cmp_eq_u32_e64 s3, 6, v71
	v_cndmask_b32_e32 v1, v1, v11, vcc_lo
	v_cndmask_b32_e64 v5, v5, v11, s4
	v_cmp_eq_u32_e64 s5, 6, v70
	v_cndmask_b32_e64 v6, v6, v15, s4
	v_cmp_eq_u32_e64 s4, 6, v72
	v_cmp_eq_u32_e64 s2, 6, v69
	v_cndmask_b32_e64 v1, v1, v4, s3
	v_cndmask_b32_e32 v2, v2, v15, vcc_lo
	v_cmp_eq_u32_e32 vcc_lo, 7, v71
	v_cndmask_b32_e64 v5, v5, v4, s5
	v_cndmask_b32_e64 v9, v9, v4, s4
	;; [unrolled: 1-line block ×3, first 2 shown]
	v_cmp_eq_u32_e64 s5, 7, v70
	v_cndmask_b32_e32 v1, v1, v12, vcc_lo
	v_cndmask_b32_e64 v7, v13, v4, s2
	v_cndmask_b32_e64 v3, v3, v8, s2
	;; [unrolled: 1-line block ×3, first 2 shown]
	v_cmp_eq_u32_e64 s2, 7, v69
	v_cndmask_b32_e64 v4, v10, v8, s4
	v_cndmask_b32_e64 v5, v5, v12, s5
	v_cndmask_b32_e64 v9, v9, v12, s6
	v_cndmask_b32_e32 v2, v2, v16, vcc_lo
	v_cndmask_b32_e64 v7, v7, v12, s2
	v_cndmask_b32_e64 v3, v3, v16, s2
	;; [unrolled: 1-line block ×4, first 2 shown]
	v_perm_b32 v4, v2, v1, 0x5040100
	s_mov_b32 s2, exec_lo
	v_perm_b32 v3, v3, v7, 0x5040100
	v_perm_b32 v2, v8, v9, 0x5040100
	;; [unrolled: 1-line block ×3, first 2 shown]
	ds_store_b128 v74, v[1:4]
	s_waitcnt lgkmcnt(0)
	s_barrier
	buffer_gl0_inv
	v_cmpx_gt_u32_e32 32, v0
	s_cbranch_execz .LBB1251_2
; %bb.15:
	s_load_b64 s[0:1], s[0:1], 0x68
	s_lshl_b32 s4, s34, 7
	v_or_b32_e32 v3, s31, v66
	s_mul_i32 s2, s4, s30
	v_lshlrev_b32_e32 v0, 10, v0
	s_mul_i32 s2, s2, s7
	v_lshlrev_b32_e32 v1, 4, v67
	s_ashr_i32 s3, s2, 31
	v_mul_lo_u32 v12, v3, s4
	s_lshl_b64 s[2:3], s[2:3], 1
	v_lshlrev_b32_e32 v2, 6, v66
	v_and_b32_e32 v0, 0x3800, v0
	s_delay_alu instid0(VALU_DEP_1) | instskip(NEXT) | instid1(VALU_DEP_4)
	v_or3_b32 v8, v0, v1, v2
	v_ashrrev_i32_e32 v13, 31, v12
	ds_load_b128 v[0:3], v8
	ds_load_b128 v[4:7], v8 offset:128
	ds_load_b128 v[8:11], v8 offset:256
	s_waitcnt lgkmcnt(0)
	s_add_u32 s2, s0, s2
	s_addc_u32 s3, s1, s3
	s_lshl_b32 s0, s14, 7
	s_delay_alu instid0(SALU_CYCLE_1) | instskip(NEXT) | instid1(SALU_CYCLE_1)
	s_ashr_i32 s1, s0, 31
	s_lshl_b64 s[0:1], s[0:1], 1
	s_delay_alu instid0(SALU_CYCLE_1)
	s_add_u32 s0, s2, s0
	s_addc_u32 s1, s3, s1
	s_lshl_b32 s2, s34, 8
	v_add_co_u32 v18, s0, s0, v65
	v_add_nc_u32_e32 v14, s2, v12
	v_lshlrev_b64 v[12:13], 1, v[12:13]
	v_add_co_ci_u32_e64 v19, null, s1, 0, s0
	s_delay_alu instid0(VALU_DEP_3) | instskip(SKIP_1) | instid1(VALU_DEP_4)
	v_add_nc_u32_e32 v16, s2, v14
	v_ashrrev_i32_e32 v15, 31, v14
	v_add_co_u32 v12, vcc_lo, v18, v12
	s_delay_alu instid0(VALU_DEP_4) | instskip(NEXT) | instid1(VALU_DEP_4)
	v_add_co_ci_u32_e32 v13, vcc_lo, v19, v13, vcc_lo
	v_ashrrev_i32_e32 v17, 31, v16
	s_delay_alu instid0(VALU_DEP_4) | instskip(NEXT) | instid1(VALU_DEP_2)
	v_lshlrev_b64 v[14:15], 1, v[14:15]
	v_lshlrev_b64 v[16:17], 1, v[16:17]
	s_delay_alu instid0(VALU_DEP_2) | instskip(NEXT) | instid1(VALU_DEP_3)
	v_add_co_u32 v14, vcc_lo, v18, v14
	v_add_co_ci_u32_e32 v15, vcc_lo, v19, v15, vcc_lo
	s_delay_alu instid0(VALU_DEP_3) | instskip(NEXT) | instid1(VALU_DEP_4)
	v_add_co_u32 v16, vcc_lo, v18, v16
	v_add_co_ci_u32_e32 v17, vcc_lo, v19, v17, vcc_lo
	s_clause 0x2
	global_store_b128 v[12:13], v[0:3], off
	global_store_b128 v[14:15], v[4:7], off
	global_store_b128 v[16:17], v[8:11], off
	s_nop 0
	s_sendmsg sendmsg(MSG_DEALLOC_VGPRS)
	s_endpgm
	.section	.rodata,"a",@progbits
	.p2align	6, 0x0
	.amdhsa_kernel _Z39paged_attention_ll4mi_QKV_mfma16_kernelIDF16_hLN4vllm18Fp8KVCacheDataTypeE1EDF16_Li16ELi128ELi256ELb1ELi6EL8MFMAType0EEvPKT_PKT0_S8_ifPKiSA_SA_iPKfiiiPfSD_PS3_PT2_iSC_SC_
		.amdhsa_group_segment_fixed_size 17472
		.amdhsa_private_segment_fixed_size 0
		.amdhsa_kernarg_size 400
		.amdhsa_user_sgpr_count 13
		.amdhsa_user_sgpr_dispatch_ptr 0
		.amdhsa_user_sgpr_queue_ptr 0
		.amdhsa_user_sgpr_kernarg_segment_ptr 1
		.amdhsa_user_sgpr_dispatch_id 0
		.amdhsa_user_sgpr_private_segment_size 0
		.amdhsa_wavefront_size32 1
		.amdhsa_uses_dynamic_stack 0
		.amdhsa_enable_private_segment 0
		.amdhsa_system_sgpr_workgroup_id_x 1
		.amdhsa_system_sgpr_workgroup_id_y 1
		.amdhsa_system_sgpr_workgroup_id_z 1
		.amdhsa_system_sgpr_workgroup_info 0
		.amdhsa_system_vgpr_workitem_id 0
		.amdhsa_next_free_vgpr 150
		.amdhsa_next_free_sgpr 36
		.amdhsa_reserve_vcc 1
		.amdhsa_float_round_mode_32 0
		.amdhsa_float_round_mode_16_64 0
		.amdhsa_float_denorm_mode_32 3
		.amdhsa_float_denorm_mode_16_64 3
		.amdhsa_dx10_clamp 1
		.amdhsa_ieee_mode 1
		.amdhsa_fp16_overflow 0
		.amdhsa_workgroup_processor_mode 1
		.amdhsa_memory_ordered 1
		.amdhsa_forward_progress 0
		.amdhsa_shared_vgpr_count 0
		.amdhsa_exception_fp_ieee_invalid_op 0
		.amdhsa_exception_fp_denorm_src 0
		.amdhsa_exception_fp_ieee_div_zero 0
		.amdhsa_exception_fp_ieee_overflow 0
		.amdhsa_exception_fp_ieee_underflow 0
		.amdhsa_exception_fp_ieee_inexact 0
		.amdhsa_exception_int_div_zero 0
	.end_amdhsa_kernel
	.section	.text._Z39paged_attention_ll4mi_QKV_mfma16_kernelIDF16_hLN4vllm18Fp8KVCacheDataTypeE1EDF16_Li16ELi128ELi256ELb1ELi6EL8MFMAType0EEvPKT_PKT0_S8_ifPKiSA_SA_iPKfiiiPfSD_PS3_PT2_iSC_SC_,"axG",@progbits,_Z39paged_attention_ll4mi_QKV_mfma16_kernelIDF16_hLN4vllm18Fp8KVCacheDataTypeE1EDF16_Li16ELi128ELi256ELb1ELi6EL8MFMAType0EEvPKT_PKT0_S8_ifPKiSA_SA_iPKfiiiPfSD_PS3_PT2_iSC_SC_,comdat
.Lfunc_end1251:
	.size	_Z39paged_attention_ll4mi_QKV_mfma16_kernelIDF16_hLN4vllm18Fp8KVCacheDataTypeE1EDF16_Li16ELi128ELi256ELb1ELi6EL8MFMAType0EEvPKT_PKT0_S8_ifPKiSA_SA_iPKfiiiPfSD_PS3_PT2_iSC_SC_, .Lfunc_end1251-_Z39paged_attention_ll4mi_QKV_mfma16_kernelIDF16_hLN4vllm18Fp8KVCacheDataTypeE1EDF16_Li16ELi128ELi256ELb1ELi6EL8MFMAType0EEvPKT_PKT0_S8_ifPKiSA_SA_iPKfiiiPfSD_PS3_PT2_iSC_SC_
                                        ; -- End function
	.section	.AMDGPU.csdata,"",@progbits
; Kernel info:
; codeLenInByte = 6620
; NumSgprs: 38
; NumVgprs: 150
; ScratchSize: 0
; MemoryBound: 0
; FloatMode: 240
; IeeeMode: 1
; LDSByteSize: 17472 bytes/workgroup (compile time only)
; SGPRBlocks: 4
; VGPRBlocks: 18
; NumSGPRsForWavesPerEU: 38
; NumVGPRsForWavesPerEU: 150
; Occupancy: 9
; WaveLimiterHint : 1
; COMPUTE_PGM_RSRC2:SCRATCH_EN: 0
; COMPUTE_PGM_RSRC2:USER_SGPR: 13
; COMPUTE_PGM_RSRC2:TRAP_HANDLER: 0
; COMPUTE_PGM_RSRC2:TGID_X_EN: 1
; COMPUTE_PGM_RSRC2:TGID_Y_EN: 1
; COMPUTE_PGM_RSRC2:TGID_Z_EN: 1
; COMPUTE_PGM_RSRC2:TIDIG_COMP_CNT: 0
	.section	.text._Z39paged_attention_ll4mi_QKV_mfma16_kernelIDF16_hLN4vllm18Fp8KVCacheDataTypeE1EDF16_Li16ELi128ELi256ELb1ELi7EL8MFMAType0EEvPKT_PKT0_S8_ifPKiSA_SA_iPKfiiiPfSD_PS3_PT2_iSC_SC_,"axG",@progbits,_Z39paged_attention_ll4mi_QKV_mfma16_kernelIDF16_hLN4vllm18Fp8KVCacheDataTypeE1EDF16_Li16ELi128ELi256ELb1ELi7EL8MFMAType0EEvPKT_PKT0_S8_ifPKiSA_SA_iPKfiiiPfSD_PS3_PT2_iSC_SC_,comdat
	.protected	_Z39paged_attention_ll4mi_QKV_mfma16_kernelIDF16_hLN4vllm18Fp8KVCacheDataTypeE1EDF16_Li16ELi128ELi256ELb1ELi7EL8MFMAType0EEvPKT_PKT0_S8_ifPKiSA_SA_iPKfiiiPfSD_PS3_PT2_iSC_SC_ ; -- Begin function _Z39paged_attention_ll4mi_QKV_mfma16_kernelIDF16_hLN4vllm18Fp8KVCacheDataTypeE1EDF16_Li16ELi128ELi256ELb1ELi7EL8MFMAType0EEvPKT_PKT0_S8_ifPKiSA_SA_iPKfiiiPfSD_PS3_PT2_iSC_SC_
	.globl	_Z39paged_attention_ll4mi_QKV_mfma16_kernelIDF16_hLN4vllm18Fp8KVCacheDataTypeE1EDF16_Li16ELi128ELi256ELb1ELi7EL8MFMAType0EEvPKT_PKT0_S8_ifPKiSA_SA_iPKfiiiPfSD_PS3_PT2_iSC_SC_
	.p2align	8
	.type	_Z39paged_attention_ll4mi_QKV_mfma16_kernelIDF16_hLN4vllm18Fp8KVCacheDataTypeE1EDF16_Li16ELi128ELi256ELb1ELi7EL8MFMAType0EEvPKT_PKT0_S8_ifPKiSA_SA_iPKfiiiPfSD_PS3_PT2_iSC_SC_,@function
_Z39paged_attention_ll4mi_QKV_mfma16_kernelIDF16_hLN4vllm18Fp8KVCacheDataTypeE1EDF16_Li16ELi128ELi256ELb1ELi7EL8MFMAType0EEvPKT_PKT0_S8_ifPKiSA_SA_iPKfiiiPfSD_PS3_PT2_iSC_SC_: ; @_Z39paged_attention_ll4mi_QKV_mfma16_kernelIDF16_hLN4vllm18Fp8KVCacheDataTypeE1EDF16_Li16ELi128ELi256ELb1ELi7EL8MFMAType0EEvPKT_PKT0_S8_ifPKiSA_SA_iPKfiiiPfSD_PS3_PT2_iSC_SC_
; %bb.0:
	s_load_b64 s[4:5], s[0:1], 0x30
	s_mov_b32 s34, s13
	s_waitcnt lgkmcnt(0)
	s_cmp_lg_u64 s[4:5], 0
	s_cselect_b32 s8, -1, 0
	s_ashr_i32 s35, s13, 31
	s_cmp_eq_u64 s[4:5], 0
	s_cbranch_scc1 .LBB1252_3
; %bb.1:
	s_lshl_b64 s[2:3], s[34:35], 2
	s_delay_alu instid0(SALU_CYCLE_1) | instskip(SKIP_4) | instid1(SALU_CYCLE_1)
	s_add_u32 s2, s4, s2
	s_addc_u32 s3, s5, s3
	s_load_b64 s[2:3], s[2:3], 0x0
	s_waitcnt lgkmcnt(0)
	s_sub_i32 s2, s3, s2
	s_cmp_eq_u32 s2, 1
	s_cselect_b32 s2, -1, 0
	s_delay_alu instid0(SALU_CYCLE_1)
	s_and_not1_b32 vcc_lo, exec_lo, s2
	s_cbranch_vccz .LBB1252_4
.LBB1252_2:
	s_nop 0
	s_sendmsg sendmsg(MSG_DEALLOC_VGPRS)
	s_endpgm
.LBB1252_3:
.LBB1252_4:
	s_load_b64 s[2:3], s[0:1], 0x28
	s_lshl_b64 s[6:7], s[34:35], 2
	s_waitcnt lgkmcnt(0)
	s_add_u32 s2, s2, s6
	s_addc_u32 s3, s3, s7
	s_lshl_b32 s12, s14, 8
	s_load_b32 s24, s[2:3], 0x0
	s_waitcnt lgkmcnt(0)
	s_cmp_ge_i32 s12, s24
	s_cbranch_scc1 .LBB1252_2
; %bb.5:
	s_clause 0x1
	s_load_b128 s[20:23], s[0:1], 0x8
	s_load_b64 s[2:3], s[0:1], 0x20
	s_and_not1_b32 vcc_lo, exec_lo, s8
	s_cbranch_vccnz .LBB1252_7
; %bb.6:
	s_add_u32 s4, s4, s6
	s_addc_u32 s5, s5, s7
	s_load_b32 s5, s[4:5], 0x0
	s_branch .LBB1252_8
.LBB1252_7:
	s_mov_b32 s5, s34
.LBB1252_8:
	s_load_b128 s[16:19], s[0:1], 0x48
	v_and_b32_e32 v68, 15, v0
	v_lshrrev_b32_e32 v69, 5, v0
	v_bfe_u32 v66, v0, 4, 1
	v_and_b32_e32 v70, 31, v0
	v_and_b32_e32 v67, 1, v0
	v_lshlrev_b32_e32 v2, 3, v68
	s_mul_i32 s31, s15, 7
	v_lshl_or_b32 v1, v69, 1, v66
	s_mov_b32 s4, exec_lo
	s_delay_alu instid0(VALU_DEP_2) | instskip(NEXT) | instid1(VALU_DEP_2)
	v_lshlrev_b32_e32 v65, 1, v2
	v_cmpx_gt_u32_e32 7, v1
	s_cbranch_execz .LBB1252_10
; %bb.9:
	s_load_b64 s[6:7], s[0:1], 0x0
	v_add_lshl_u32 v2, v1, s31, 7
	s_waitcnt lgkmcnt(0)
	s_mul_hi_i32 s9, s5, s16
	s_mul_i32 s8, s5, s16
	v_lshlrev_b32_e32 v6, 10, v68
	s_lshl_b64 s[8:9], s[8:9], 1
	v_ashrrev_i32_e32 v3, 31, v2
	v_lshlrev_b32_e32 v1, 6, v1
	v_lshlrev_b32_e32 v7, 10, v67
	v_and_b32_e32 v6, 0x3800, v6
	s_delay_alu instid0(VALU_DEP_4) | instskip(NEXT) | instid1(VALU_DEP_2)
	v_lshlrev_b64 v[2:3], 1, v[2:3]
	v_or3_b32 v1, v6, v7, v1
	s_add_u32 s5, s6, s8
	s_addc_u32 s6, s7, s9
	s_delay_alu instid0(VALU_DEP_2) | instskip(NEXT) | instid1(VALU_DEP_3)
	v_add_co_u32 v2, vcc_lo, s5, v2
	v_add_co_ci_u32_e32 v3, vcc_lo, s6, v3, vcc_lo
	s_delay_alu instid0(VALU_DEP_2) | instskip(NEXT) | instid1(VALU_DEP_2)
	v_add_co_u32 v2, vcc_lo, v2, v65
	v_add_co_ci_u32_e32 v3, vcc_lo, 0, v3, vcc_lo
	global_load_b128 v[2:5], v[2:3], off
	s_waitcnt vmcnt(0)
	ds_store_b128 v1, v[2:5]
.LBB1252_10:
	s_or_b32 exec_lo, exec_lo, s4
	v_and_b32_e32 v1, 0xef, v0
	s_waitcnt lgkmcnt(0)
	s_add_i32 s5, s24, 15
	s_clause 0x1
	s_load_b32 s4, s[0:1], 0x38
	s_load_b32 s33, s[0:1], 0x98
	s_ashr_i32 s6, s5, 31
	v_add_nc_u32_e32 v1, s12, v1
	s_lshr_b32 s6, s6, 28
	s_load_b32 s19, s[0:1], 0x1c
	s_add_i32 s5, s5, s6
	s_waitcnt lgkmcnt(0)
	v_ashrrev_i32_e32 v2, 31, v1
	v_or_b32_e32 v3, 16, v1
	s_ashr_i32 s13, s5, 4
	v_cmp_gt_i32_e32 vcc_lo, s24, v1
	s_add_i32 s13, s13, -1
	v_lshrrev_b32_e32 v2, 28, v2
	s_barrier
	buffer_gl0_inv
	s_mul_i32 s15, s15, s18
	v_add_nc_u32_e32 v4, v1, v2
	s_mul_i32 s4, s34, s4
	s_delay_alu instid0(SALU_CYCLE_1) | instskip(NEXT) | instid1(VALU_DEP_1)
	s_ashr_i32 s5, s4, 31
	v_ashrrev_i32_e32 v4, 4, v4
	v_add_nc_u32_e32 v2, v3, v2
	s_lshl_b64 s[4:5], s[4:5], 2
	s_delay_alu instid0(SALU_CYCLE_1) | instskip(NEXT) | instid1(VALU_DEP_2)
	s_add_u32 s16, s2, s4
	v_cndmask_b32_e32 v1, s13, v4, vcc_lo
	s_delay_alu instid0(VALU_DEP_2)
	v_ashrrev_i32_e32 v2, 4, v2
	v_cmp_gt_i32_e32 vcc_lo, s24, v3
	s_addc_u32 s25, s3, s5
	s_ashr_i32 s18, s15, 31
	s_add_u32 s26, s20, s15
	s_addc_u32 s27, s21, s18
	v_cndmask_b32_e32 v3, s13, v2, vcc_lo
	v_ashrrev_i32_e32 v2, 31, v1
	s_lshl_b32 s2, s14, 4
	s_delay_alu instid0(SALU_CYCLE_1) | instskip(NEXT) | instid1(VALU_DEP_2)
	s_ashr_i32 s3, s2, 31
	v_ashrrev_i32_e32 v4, 31, v3
	s_delay_alu instid0(VALU_DEP_2) | instskip(SKIP_1) | instid1(SALU_CYCLE_1)
	v_lshlrev_b64 v[1:2], 2, v[1:2]
	s_lshl_b64 s[2:3], s[2:3], 2
	s_add_u32 s2, s16, s2
	s_delay_alu instid0(VALU_DEP_2) | instskip(SKIP_1) | instid1(VALU_DEP_2)
	v_lshlrev_b64 v[3:4], 2, v[3:4]
	s_addc_u32 s3, s25, s3
	v_add_co_u32 v1, vcc_lo, s16, v1
	v_add_co_ci_u32_e32 v2, vcc_lo, s25, v2, vcc_lo
	s_delay_alu instid0(VALU_DEP_3) | instskip(NEXT) | instid1(VALU_DEP_4)
	v_add_co_u32 v3, vcc_lo, s16, v3
	v_add_co_ci_u32_e32 v4, vcc_lo, s25, v4, vcc_lo
	s_clause 0x1
	global_load_b32 v5, v[1:2], off
	global_load_b32 v7, v[3:4], off
	s_or_b32 s4, s12, 32
	v_lshlrev_b32_e32 v1, 4, v0
	s_ashr_i32 s5, s4, 4
	s_cmp_lt_i32 s4, s24
	s_cselect_b32 s4, s5, s13
	s_delay_alu instid0(VALU_DEP_1) | instskip(SKIP_1) | instid1(SALU_CYCLE_1)
	v_and_b32_e32 v1, 0xf0, v1
	s_ashr_i32 s5, s4, 31
	s_lshl_b64 s[4:5], s[4:5], 2
	s_delay_alu instid0(SALU_CYCLE_1)
	s_add_u32 s4, s16, s4
	s_addc_u32 s5, s25, s5
	s_or_b32 s6, s12, 64
	v_add_co_u32 v1, s26, s26, v1
	s_ashr_i32 s7, s6, 4
	s_cmp_lt_i32 s6, s24
	v_add_co_ci_u32_e64 v2, null, s27, 0, s26
	s_cselect_b32 s6, s7, s13
	s_delay_alu instid0(SALU_CYCLE_1) | instskip(NEXT) | instid1(SALU_CYCLE_1)
	s_ashr_i32 s7, s6, 31
	s_lshl_b64 s[6:7], s[6:7], 2
	s_delay_alu instid0(SALU_CYCLE_1) | instskip(SKIP_2) | instid1(SALU_CYCLE_1)
	s_add_u32 s6, s16, s6
	s_addc_u32 s7, s25, s7
	s_or_b32 s8, s12, 0x60
	s_ashr_i32 s9, s8, 4
	s_cmp_lt_i32 s8, s24
	s_cselect_b32 s8, s9, s13
	s_delay_alu instid0(SALU_CYCLE_1) | instskip(NEXT) | instid1(SALU_CYCLE_1)
	s_ashr_i32 s9, s8, 31
	s_lshl_b64 s[8:9], s[8:9], 2
	s_delay_alu instid0(SALU_CYCLE_1) | instskip(SKIP_2) | instid1(SALU_CYCLE_1)
	s_add_u32 s8, s16, s8
	s_addc_u32 s9, s25, s9
	s_or_b32 s10, s12, 0x80
	s_ashr_i32 s11, s10, 4
	s_cmp_lt_i32 s10, s24
	s_cselect_b32 s10, s11, s13
	s_delay_alu instid0(SALU_CYCLE_1) | instskip(NEXT) | instid1(SALU_CYCLE_1)
	s_ashr_i32 s11, s10, 31
	s_lshl_b64 s[10:11], s[10:11], 2
	s_delay_alu instid0(SALU_CYCLE_1) | instskip(SKIP_2) | instid1(SALU_CYCLE_1)
	s_add_u32 s10, s16, s10
	s_addc_u32 s11, s25, s11
	s_or_b32 s20, s12, 0xa0
	s_ashr_i32 s21, s20, 4
	s_cmp_lt_i32 s20, s24
	s_cselect_b32 s20, s21, s13
	s_delay_alu instid0(SALU_CYCLE_1) | instskip(NEXT) | instid1(SALU_CYCLE_1)
	s_ashr_i32 s21, s20, 31
	s_lshl_b64 s[20:21], s[20:21], 2
	s_delay_alu instid0(SALU_CYCLE_1)
	s_add_u32 s20, s16, s20
	s_addc_u32 s21, s25, s21
	s_clause 0x5
	s_load_b32 s26, s[2:3], 0x0
	s_load_b32 s27, s[4:5], 0x0
	;; [unrolled: 1-line block ×6, first 2 shown]
	s_or_b32 s2, s12, 0xc0
	s_mov_b32 s4, 0
	s_ashr_i32 s3, s2, 4
	s_cmp_lt_i32 s2, s24
	s_mov_b32 s11, s4
	s_cselect_b32 s2, s3, s13
	s_mov_b32 s5, s4
	s_ashr_i32 s3, s2, 31
	s_mov_b32 s6, s4
	s_lshl_b64 s[2:3], s[2:3], 2
	s_mov_b32 s7, s4
	s_add_u32 s2, s16, s2
	s_addc_u32 s3, s25, s3
	s_or_b32 s20, s12, 0xe0
	s_mov_b32 s8, s4
	s_ashr_i32 s21, s20, 4
	s_cmp_lt_i32 s20, s24
	s_mov_b32 s9, s4
	s_cselect_b32 s20, s21, s13
	s_mov_b32 s10, s4
	s_ashr_i32 s21, s20, 31
	v_mov_b32_e32 v118, s11
	v_dual_mov_b32 v112, s5 :: v_dual_mov_b32 v117, s10
	v_dual_mov_b32 v116, s9 :: v_dual_mov_b32 v115, s8
	;; [unrolled: 1-line block ×3, first 2 shown]
	v_mov_b32_e32 v111, s4
	s_lshl_b64 s[4:5], s[20:21], 2
	s_delay_alu instid0(SALU_CYCLE_1)
	s_add_u32 s4, s16, s4
	s_addc_u32 s5, s25, s5
	s_add_u32 s6, s22, s15
	s_addc_u32 s7, s23, s18
	s_waitcnt vmcnt(1)
	v_mad_i64_i32 v[3:4], null, v5, s17, v[1:2]
	s_waitcnt vmcnt(0)
	v_mad_i64_i32 v[5:6], null, v7, s17, v[1:2]
	v_mul_lo_u16 v1, v68, 37
	v_lshlrev_b32_e32 v2, 4, v68
	s_clause 0xf
	global_load_b128 v[17:20], v[3:4], off
	global_load_b128 v[21:24], v[3:4], off offset:256
	global_load_b128 v[25:28], v[5:6], off
	global_load_b128 v[29:32], v[5:6], off offset:256
	global_load_b128 v[57:60], v[3:4], off offset:512
	;; [unrolled: 1-line block ×13, first 2 shown]
	v_lshrrev_b16 v1, 8, v1
	s_delay_alu instid0(VALU_DEP_1) | instskip(NEXT) | instid1(VALU_DEP_1)
	v_mul_lo_u16 v1, v1, 7
	v_sub_nc_u16 v1, v68, v1
	s_delay_alu instid0(VALU_DEP_1) | instskip(NEXT) | instid1(VALU_DEP_1)
	v_and_b32_e32 v1, 0xff, v1
	v_lshlrev_b32_e32 v149, 6, v1
	v_lshl_or_b32 v1, v69, 8, v2
	ds_load_b128 v[119:122], v149
	ds_load_b128 v[123:126], v149 offset:1024
	ds_load_b128 v[127:130], v149 offset:2048
	;; [unrolled: 1-line block ×3, first 2 shown]
	s_clause 0x1
	s_load_b32 s2, s[2:3], 0x0
	s_load_b32 s3, s[4:5], 0x0
	v_add_co_u32 v135, s6, s6, v1
	s_delay_alu instid0(VALU_DEP_1) | instskip(SKIP_1) | instid1(VALU_DEP_1)
	v_add_co_ci_u32_e64 v136, null, s7, 0, s6
	s_waitcnt lgkmcnt(0)
	v_mad_i64_i32 v[1:2], null, s26, s17, v[135:136]
	v_mad_i64_i32 v[3:4], null, s27, s17, v[135:136]
	;; [unrolled: 1-line block ×6, first 2 shown]
	s_clause 0x9
	global_load_b128 v[49:52], v[1:2], off
	global_load_b128 v[53:56], v[1:2], off offset:16
	global_load_b128 v[41:44], v[3:4], off
	global_load_b128 v[45:48], v[3:4], off offset:16
	;; [unrolled: 2-line block ×5, first 2 shown]
	v_mad_i64_i32 v[145:146], null, s2, s17, v[135:136]
	v_mad_i64_i32 v[147:148], null, s3, s17, v[135:136]
	s_waitcnt vmcnt(24)
	v_wmma_f32_16x16x16_f16 v[135:142], v[17:24], v[119:126], v[111:118]
	s_waitcnt vmcnt(22)
	v_wmma_f32_16x16x16_f16 v[111:118], v[25:32], v[119:126], v[111:118]
	s_clause 0x3
	global_load_b128 v[17:20], v[143:144], off
	global_load_b128 v[21:24], v[143:144], off offset:16
	global_load_b128 v[25:28], v[145:146], off
	global_load_b128 v[29:32], v[145:146], off offset:16
	v_and_b32_e32 v119, 0xe0, v0
	s_waitcnt vmcnt(24)
	v_wmma_f32_16x16x16_f16 v[135:142], v[57:64], v[127:134], v[135:142]
	s_clause 0x1
	global_load_b128 v[57:60], v[147:148], off
	global_load_b128 v[61:64], v[147:148], off offset:16
	s_waitcnt vmcnt(24)
	v_wmma_f32_16x16x16_f16 v[111:118], v[71:78], v[127:134], v[111:118]
	ds_load_b128 v[71:74], v149 offset:4096
	ds_load_b128 v[75:78], v149 offset:5120
	v_add_nc_u32_e32 v128, s12, v119
	ds_load_b128 v[119:122], v149 offset:6144
	ds_load_b128 v[123:126], v149 offset:7168
	v_mbcnt_lo_u32_b32 v127, -1, 0
	s_waitcnt vmcnt(0) lgkmcnt(0)
	s_barrier
	v_or_b32_e32 v128, v128, v66
	buffer_gl0_inv
	v_xor_b32_e32 v129, 16, v127
	v_or_b32_e32 v130, 4, v128
	v_or_b32_e32 v131, 6, v128
	s_delay_alu instid0(VALU_DEP_3) | instskip(SKIP_4) | instid1(VALU_DEP_4)
	v_cmp_gt_i32_e32 vcc_lo, 32, v129
	v_or_b32_e32 v132, 8, v128
	v_or_b32_e32 v133, 10, v128
	v_cmp_gt_i32_e64 s3, s24, v130
	v_cmp_gt_i32_e64 s4, s24, v131
	;; [unrolled: 1-line block ×3, first 2 shown]
	v_wmma_f32_16x16x16_f16 v[135:142], v[79:86], v[71:78], v[135:142]
	v_wmma_f32_16x16x16_f16 v[111:118], v[87:94], v[71:78], v[111:118]
	v_or_b32_e32 v79, 12, v128
	v_or_b32_e32 v80, 14, v128
	v_cmp_gt_i32_e64 s6, s24, v133
	v_wmma_f32_16x16x16_f16 v[135:142], v[95:102], v[119:126], v[135:142]
	v_wmma_f32_16x16x16_f16 v[111:118], v[103:110], v[119:126], v[111:118]
	v_cndmask_b32_e32 v127, v127, v129, vcc_lo
	v_or_b32_e32 v129, 2, v128
	v_cmp_gt_i32_e32 vcc_lo, s24, v128
	s_delay_alu instid0(VALU_DEP_4) | instskip(SKIP_1) | instid1(VALU_DEP_4)
	v_dual_mul_f32 v87, s19, v136 :: v_dual_mul_f32 v94, s19, v113
	v_mul_f32_e32 v88, s19, v135
	v_cmp_gt_i32_e64 s2, s24, v129
	v_mul_f32_e32 v78, s19, v138
	v_mul_f32_e32 v86, s19, v137
	;; [unrolled: 1-line block ×3, first 2 shown]
	v_cndmask_b32_e32 v88, 0xff7fffff, v88, vcc_lo
	v_cndmask_b32_e64 v87, 0xff7fffff, v87, s2
	v_dual_mul_f32 v77, s19, v139 :: v_dual_mul_f32 v90, s19, v117
	v_cndmask_b32_e64 v86, 0xff7fffff, v86, s3
	v_cndmask_b32_e64 v78, 0xff7fffff, v78, s4
	s_delay_alu instid0(VALU_DEP_4)
	v_max3_f32 v87, v88, 0xff7fffff, v87
	v_or_b32_e32 v81, 16, v128
	v_or_b32_e32 v82, 18, v128
	v_dual_mul_f32 v74, s19, v142 :: v_dual_mul_f32 v75, s19, v141
	v_mul_f32_e32 v96, s19, v111
	v_cndmask_b32_e64 v77, 0xff7fffff, v77, s5
	v_cndmask_b32_e64 v76, 0xff7fffff, v76, s6
	v_max3_f32 v78, v87, v86, v78
	v_cmp_gt_i32_e64 s7, s24, v79
	v_cmp_gt_i32_e64 s8, s24, v80
	v_or_b32_e32 v83, 20, v128
	v_or_b32_e32 v84, 22, v128
	v_mul_f32_e32 v95, s19, v112
	v_cndmask_b32_e64 v75, 0xff7fffff, v75, s7
	v_cndmask_b32_e64 v74, 0xff7fffff, v74, s8
	v_max3_f32 v76, v78, v77, v76
	v_cmp_gt_i32_e64 s9, s24, v81
	v_cmp_gt_i32_e64 s10, s24, v82
	v_or_b32_e32 v85, 24, v128
	v_or_b32_e32 v71, 26, v128
	;; [unrolled: 8-line block ×3, first 2 shown]
	v_dual_mul_f32 v91, s19, v116 :: v_dual_mul_f32 v92, s19, v115
	v_cndmask_b32_e64 v75, 0xff7fffff, v94, s11
	v_cndmask_b32_e64 v76, 0xff7fffff, v93, s12
	v_max3_f32 v74, v74, v77, v78
	v_cmp_gt_i32_e64 s13, s24, v85
	v_cmp_gt_i32_e64 s15, s24, v71
	v_mul_f32_e32 v89, s19, v118
	v_cmp_gt_i32_e64 s16, s24, v72
	v_max3_f32 v74, v74, v75, v76
	v_cndmask_b32_e64 v77, 0xff7fffff, v92, s13
	v_cndmask_b32_e64 v71, 0xff7fffff, v91, s15
	v_cmp_gt_i32_e64 s17, s24, v73
	v_cndmask_b32_e64 v72, 0xff7fffff, v90, s16
	s_delay_alu instid0(VALU_DEP_3) | instskip(SKIP_1) | instid1(VALU_DEP_4)
	v_max3_f32 v71, v74, v77, v71
	v_lshlrev_b32_e32 v74, 2, v127
	v_cndmask_b32_e64 v73, 0xff7fffff, v89, s17
	s_delay_alu instid0(VALU_DEP_1) | instskip(SKIP_3) | instid1(VALU_DEP_1)
	v_max3_f32 v71, v71, v72, v73
	ds_bpermute_b32 v72, v74, v71
	s_waitcnt lgkmcnt(0)
	v_max_f32_e32 v72, v72, v72
	v_max_f32_e32 v71, v71, v72
	s_delay_alu instid0(VALU_DEP_1) | instskip(SKIP_4) | instid1(VALU_DEP_4)
	v_fma_f32 v72, s19, v135, -v71
	v_fma_f32 v73, s19, v136, -v71
	;; [unrolled: 1-line block ×5, first 2 shown]
	v_dual_mul_f32 v72, 0x3fb8aa3b, v72 :: v_dual_mul_f32 v73, 0x3fb8aa3b, v73
	s_delay_alu instid0(VALU_DEP_3) | instskip(SKIP_1) | instid1(VALU_DEP_3)
	v_dual_mul_f32 v75, 0x3fb8aa3b, v75 :: v_dual_mul_f32 v76, 0x3fb8aa3b, v76
	v_fma_f32 v80, s19, v141, -v71
	v_exp_f32_e32 v72, v72
	s_delay_alu instid0(VALU_DEP_3) | instskip(NEXT) | instid1(VALU_DEP_2)
	v_exp_f32_e32 v73, v73
	v_exp_f32_e32 v75, v75
	;; [unrolled: 1-line block ×3, first 2 shown]
	v_mul_f32_e32 v82, 0x3fb8aa3b, v80
	s_delay_alu instid0(VALU_DEP_1) | instskip(SKIP_4) | instid1(TRANS32_DEP_3)
	v_exp_f32_e32 v84, v82
	v_cndmask_b32_e32 v79, 0, v72, vcc_lo
	v_fma_f32 v72, s19, v140, -v71
	v_mul_f32_e32 v77, 0x3fb8aa3b, v77
	v_cndmask_b32_e64 v78, 0, v73, s2
	v_cndmask_b32_e64 v81, 0, v75, s3
	s_delay_alu instid0(VALU_DEP_4) | instskip(NEXT) | instid1(VALU_DEP_4)
	v_dual_add_f32 v73, 0, v79 :: v_dual_mul_f32 v72, 0x3fb8aa3b, v72
	v_exp_f32_e32 v77, v77
	v_cndmask_b32_e64 v80, 0, v76, s4
	s_delay_alu instid0(TRANS32_DEP_2) | instskip(NEXT) | instid1(VALU_DEP_3)
	v_cndmask_b32_e64 v85, 0, v84, s7
	v_add_f32_e32 v73, v73, v78
	v_exp_f32_e32 v72, v72
	v_cmp_gt_u32_e64 s2, 16, v70
	s_delay_alu instid0(VALU_DEP_2) | instskip(NEXT) | instid1(TRANS32_DEP_2)
	v_add_f32_e32 v73, v73, v81
	v_cndmask_b32_e64 v83, 0, v77, s5
	s_delay_alu instid0(VALU_DEP_2) | instskip(SKIP_3) | instid1(VALU_DEP_1)
	v_add_f32_e32 v73, v73, v80
	s_waitcnt_depctr 0xfff
	v_cndmask_b32_e64 v82, 0, v72, s6
	v_add_f32_e32 v72, v73, v83
	v_add_f32_e32 v72, v72, v82
	s_delay_alu instid0(VALU_DEP_1)
	v_add_f32_e32 v72, v72, v85
	v_fma_f32 v76, s19, v111, -v71
	v_fma_f32 v75, s19, v142, -v71
	;; [unrolled: 1-line block ×5, first 2 shown]
	s_delay_alu instid0(VALU_DEP_4) | instskip(NEXT) | instid1(VALU_DEP_3)
	v_dual_mul_f32 v76, 0x3fb8aa3b, v76 :: v_dual_mul_f32 v75, 0x3fb8aa3b, v75
	v_mul_f32_e32 v86, 0x3fb8aa3b, v86
	s_delay_alu instid0(VALU_DEP_2) | instskip(NEXT) | instid1(VALU_DEP_2)
	v_exp_f32_e32 v76, v76
	v_exp_f32_e32 v75, v75
	s_delay_alu instid0(VALU_DEP_1) | instskip(NEXT) | instid1(TRANS32_DEP_3)
	v_exp_f32_e32 v88, v86
	v_cndmask_b32_e64 v87, 0, v76, s9
	v_fma_f32 v76, s19, v116, -v71
	v_mul_f32_e32 v77, 0x3fb8aa3b, v77
	s_waitcnt_depctr 0xfff
	v_cndmask_b32_e64 v84, 0, v75, s8
	v_fma_f32 v75, s19, v115, -v71
	v_cndmask_b32_e64 v88, 0, v88, s12
	v_mul_f32_e32 v76, 0x3fb8aa3b, v76
	v_exp_f32_e32 v77, v77
	v_add_f32_e32 v72, v72, v84
	s_delay_alu instid0(VALU_DEP_2) | instskip(NEXT) | instid1(VALU_DEP_1)
	v_exp_f32_e32 v76, v76
	v_add_f32_e32 v72, v72, v87
	s_waitcnt_depctr 0xfff
	v_cndmask_b32_e64 v86, 0, v77, s10
	v_mul_f32_e32 v73, 0x3fb8aa3b, v73
	v_fma_f32 v77, s19, v117, -v71
	v_cndmask_b32_e64 v90, 0, v76, s15
	s_delay_alu instid0(VALU_DEP_4) | instskip(NEXT) | instid1(VALU_DEP_4)
	v_add_f32_e32 v72, v72, v86
	v_exp_f32_e32 v73, v73
	s_waitcnt_depctr 0xfff
	v_cndmask_b32_e64 v89, 0, v73, s11
	s_delay_alu instid0(VALU_DEP_1) | instskip(NEXT) | instid1(VALU_DEP_1)
	v_dual_mul_f32 v75, 0x3fb8aa3b, v75 :: v_dual_add_f32 v72, v72, v89
	v_exp_f32_e32 v75, v75
	v_mul_f32_e32 v73, 0x3fb8aa3b, v77
	v_fma_f32 v77, s19, v118, -v71
	s_delay_alu instid0(VALU_DEP_3) | instskip(NEXT) | instid1(VALU_DEP_3)
	v_add_f32_e32 v72, v72, v88
	v_exp_f32_e32 v73, v73
	s_waitcnt_depctr 0xfff
	v_cndmask_b32_e64 v91, 0, v75, s13
	s_delay_alu instid0(VALU_DEP_1) | instskip(NEXT) | instid1(VALU_DEP_1)
	v_dual_mul_f32 v75, 0x3fb8aa3b, v77 :: v_dual_add_f32 v72, v72, v91
	v_exp_f32_e32 v75, v75
	v_cndmask_b32_e64 v93, 0, v73, s16
	s_delay_alu instid0(VALU_DEP_2) | instskip(NEXT) | instid1(VALU_DEP_1)
	v_add_f32_e32 v72, v72, v90
	v_add_f32_e32 v72, v72, v93
	s_waitcnt_depctr 0xfff
	v_cndmask_b32_e64 v92, 0, v75, s17
	s_delay_alu instid0(VALU_DEP_1)
	v_add_f32_e32 v72, v72, v92
	ds_bpermute_b32 v73, v74, v72
	s_and_saveexec_b32 s3, s2
	s_cbranch_execz .LBB1252_12
; %bb.11:
	v_mul_u32_u24_e32 v70, 0x44, v69
	s_waitcnt lgkmcnt(0)
	v_add_f32_e32 v72, v72, v73
	s_delay_alu instid0(VALU_DEP_2) | instskip(NEXT) | instid1(VALU_DEP_1)
	v_lshl_add_u32 v70, v68, 2, v70
	v_add_nc_u32_e32 v70, 0x4000, v70
	ds_store_2addr_b32 v70, v71, v72 offset1:136
.LBB1252_12:
	s_or_b32 exec_lo, exec_lo, s3
	v_lshlrev_b32_e32 v70, 2, v68
	s_load_b32 s35, s[0:1], 0x94
	s_waitcnt lgkmcnt(0)
	s_barrier
	buffer_gl0_inv
	v_add_nc_u32_e32 v98, 0x4000, v70
	v_cmp_eq_u32_e32 vcc_lo, 1, v69
	v_cmp_eq_u32_e64 s3, 2, v69
	v_cmp_eq_u32_e64 s4, 3, v69
	;; [unrolled: 1-line block ×3, first 2 shown]
	ds_load_2addr_b32 v[70:71], v98 offset1:17
	ds_load_2addr_b32 v[72:73], v98 offset0:34 offset1:51
	ds_load_2addr_b32 v[74:75], v98 offset0:68 offset1:85
	;; [unrolled: 1-line block ×3, first 2 shown]
	v_cmp_eq_u32_e64 s6, 5, v69
	v_cmp_eq_u32_e64 s7, 7, v69
	s_waitcnt lgkmcnt(3)
	v_max3_f32 v76, v70, 0xff7fffff, v71
	s_waitcnt lgkmcnt(2)
	s_delay_alu instid0(VALU_DEP_1) | instskip(SKIP_1) | instid1(VALU_DEP_1)
	v_max3_f32 v76, v76, v72, v73
	s_waitcnt lgkmcnt(1)
	v_max3_f32 v76, v76, v74, v75
	s_waitcnt lgkmcnt(0)
	s_delay_alu instid0(VALU_DEP_1) | instskip(NEXT) | instid1(VALU_DEP_1)
	v_max3_f32 v76, v76, v94, v95
	v_sub_f32_e32 v77, v71, v76
	ds_load_2addr_b32 v[96:97], v98 offset0:136 offset1:153
	v_sub_f32_e32 v74, v74, v76
	v_sub_f32_e32 v70, v70, v76
	;; [unrolled: 1-line block ×3, first 2 shown]
	v_dual_sub_f32 v72, v72, v76 :: v_dual_mul_f32 v77, 0x3fb8aa3b, v77
	s_delay_alu instid0(VALU_DEP_4) | instskip(NEXT) | instid1(VALU_DEP_4)
	v_mul_f32_e32 v103, 0x3fb8aa3b, v74
	v_mul_f32_e32 v99, 0x3fb8aa3b, v70
	ds_load_2addr_b32 v[70:71], v98 offset0:170 offset1:187
	v_dual_mul_f32 v101, 0x3fb8aa3b, v72 :: v_dual_mul_f32 v94, 0x3fb8aa3b, v94
	v_exp_f32_e32 v102, v77
	v_exp_f32_e32 v99, v99
	s_delay_alu instid0(VALU_DEP_1) | instskip(NEXT) | instid1(VALU_DEP_1)
	v_exp_f32_e32 v101, v101
	v_exp_f32_e32 v94, v94
	s_waitcnt lgkmcnt(1)
	s_delay_alu instid0(TRANS32_DEP_3)
	v_fma_f32 v77, v99, v96, 0
	v_sub_f32_e32 v100, v73, v76
	ds_load_2addr_b32 v[72:73], v98 offset0:204 offset1:221
	v_fmac_f32_e32 v77, v102, v97
	v_exp_f32_e32 v97, v103
	s_waitcnt lgkmcnt(1)
	s_delay_alu instid0(VALU_DEP_1)
	v_dual_fmac_f32 v77, v101, v70 :: v_dual_sub_f32 v96, v75, v76
	ds_load_2addr_b32 v[74:75], v98 offset0:238 offset1:255
	v_sub_f32_e32 v70, v95, v76
	s_waitcnt lgkmcnt(0)
	s_barrier
	v_mul_f32_e32 v96, 0x3fb8aa3b, v96
	buffer_gl0_inv
	v_exp_f32_e32 v95, v96
	v_mul_f32_e32 v100, 0x3fb8aa3b, v100
	s_delay_alu instid0(VALU_DEP_1) | instskip(SKIP_3) | instid1(VALU_DEP_2)
	v_exp_f32_e32 v100, v100
	s_waitcnt_depctr 0xfff
	v_dual_fmac_f32 v77, v100, v71 :: v_dual_mul_f32 v70, 0x3fb8aa3b, v70
	v_cndmask_b32_e32 v71, v99, v102, vcc_lo
	v_fmac_f32_e32 v77, v97, v72
	s_delay_alu instid0(VALU_DEP_3) | instskip(NEXT) | instid1(VALU_DEP_1)
	v_exp_f32_e32 v96, v70
	v_fmac_f32_e32 v77, v95, v73
	s_delay_alu instid0(VALU_DEP_1) | instskip(SKIP_2) | instid1(VALU_DEP_1)
	v_fmac_f32_e32 v77, v94, v74
	s_waitcnt_depctr 0xfff
	v_fmac_f32_e32 v77, v96, v75
	v_add_f32_e32 v74, 0x358637bd, v77
	s_delay_alu instid0(VALU_DEP_1) | instskip(SKIP_1) | instid1(VALU_DEP_2)
	v_div_scale_f32 v98, null, v74, v74, 1.0
	v_div_scale_f32 v99, vcc_lo, 1.0, v74, 1.0
	v_rcp_f32_e32 v103, v98
	s_waitcnt_depctr 0xfff
	v_fma_f32 v70, -v98, v103, 1.0
	s_delay_alu instid0(VALU_DEP_1) | instskip(SKIP_2) | instid1(VALU_DEP_2)
	v_fmac_f32_e32 v103, v70, v103
	v_cndmask_b32_e64 v70, v71, v101, s3
	v_cmp_eq_u32_e64 s3, 6, v69
	v_cndmask_b32_e64 v71, v70, v100, s4
	s_delay_alu instid0(VALU_DEP_4) | instskip(NEXT) | instid1(VALU_DEP_2)
	v_dual_mul_f32 v101, v99, v103 :: v_dual_lshlrev_b32 v70, 2, v66
	v_cndmask_b32_e64 v71, v71, v97, s5
	s_delay_alu instid0(VALU_DEP_2) | instskip(NEXT) | instid1(VALU_DEP_3)
	v_or_b32_e32 v72, 1, v70
	v_fma_f32 v100, -v98, v101, v99
	v_cmp_eq_u32_e64 s4, 1, v70
	v_cmp_eq_u32_e64 s5, 2, v70
	v_cndmask_b32_e64 v95, v71, v95, s6
	v_or_b32_e32 v71, 3, v70
	v_fmac_f32_e32 v101, v100, v103
	v_cmp_eq_u32_e64 s9, 1, v72
	v_cmp_eq_u32_e64 s12, 2, v72
	v_cndmask_b32_e64 v94, v95, v94, s3
	v_cmp_eq_u32_e64 s11, 1, v71
	v_fma_f32 v97, -v98, v101, v99
	v_cmp_eq_u32_e64 s16, 2, v71
	v_cmp_eq_u32_e64 s13, 3, v72
	v_cndmask_b32_e64 v94, v94, v96, s7
	v_cmp_eq_u32_e64 s18, 3, v71
	v_div_fmas_f32 v95, v97, v103, v101
	v_cmp_eq_u32_e32 vcc_lo, 3, v70
	v_cmp_eq_u32_e64 s3, 4, v70
	v_cmp_eq_u32_e64 s19, 4, v72
	;; [unrolled: 1-line block ×3, first 2 shown]
	v_div_fixup_f32 v95, v95, v74, 1.0
	v_lshlrev_b32_e32 v73, 6, v68
	v_cmp_eq_u32_e64 s6, 5, v70
	v_cmp_eq_u32_e64 s20, 5, v72
	v_cmp_eq_u32_e64 s24, 5, v71
	v_mul_f32_e32 v102, v94, v95
	v_lshl_or_b32 v75, v69, 11, v73
	v_or_b32_e32 v69, 2, v70
	v_cmp_eq_u32_e64 s25, 6, v72
	v_cmp_eq_u32_e64 s27, 6, v71
	v_fma_mixlo_f16 v94, v102, v79, 0
	v_fma_mixlo_f16 v95, v102, v81, 0
	;; [unrolled: 1-line block ×8, first 2 shown]
	v_lshl_or_b32 v74, v66, 4, v75
	v_fma_mixhi_f16 v94, v102, v78, 0
	v_fma_mixhi_f16 v95, v102, v80, 0
	;; [unrolled: 1-line block ×8, first 2 shown]
	ds_store_b128 v74, v[94:97]
	ds_store_b128 v74, v[98:101] offset:1024
	s_waitcnt lgkmcnt(0)
	s_barrier
	buffer_gl0_inv
	ds_load_b128 v[78:81], v75
	ds_load_b128 v[82:85], v75 offset:16
	ds_load_b128 v[86:89], v75 offset:1024
	;; [unrolled: 1-line block ×3, first 2 shown]
	v_cmp_eq_u32_e64 s10, 1, v69
	v_cmp_eq_u32_e64 s15, 2, v69
	v_cmp_eq_u32_e64 s17, 3, v69
	v_cmp_eq_u32_e64 s21, 4, v69
	v_cmp_eq_u32_e64 s23, 5, v69
	v_cmp_eq_u32_e64 s7, 6, v70
	v_cmp_eq_u32_e64 s26, 6, v69
	v_cmp_eq_u32_e64 s29, 7, v71
	v_cmp_eq_u32_e64 s30, 7, v72
	v_cmp_eq_u32_e64 s8, 7, v70
	v_cmp_eq_u32_e64 s28, 7, v69
	s_waitcnt lgkmcnt(3)
	v_lshrrev_b32_e32 v94, 16, v78
	s_waitcnt lgkmcnt(2)
	v_lshrrev_b32_e32 v98, 16, v82
	;; [unrolled: 2-line block ×4, first 2 shown]
	v_lshrrev_b32_e32 v95, 16, v79
	v_cndmask_b32_e64 v110, v78, v94, s4
	v_cndmask_b32_e64 v111, v82, v98, s4
	;; [unrolled: 1-line block ×8, first 2 shown]
	v_lshrrev_b32_e32 v99, 16, v83
	v_cndmask_b32_e64 v94, v86, v102, s4
	v_cndmask_b32_e64 v98, v90, v106, s4
	;; [unrolled: 1-line block ×15, first 2 shown]
	v_lshrrev_b32_e32 v103, 16, v87
	v_lshrrev_b32_e32 v107, 16, v91
	v_cndmask_b32_e64 v113, v115, v83, s15
	v_cndmask_b32_e64 v82, v94, v87, s5
	;; [unrolled: 1-line block ×7, first 2 shown]
	v_cndmask_b32_e32 v90, v102, v95, vcc_lo
	v_cndmask_b32_e32 v102, v106, v99, vcc_lo
	v_cndmask_b32_e64 v106, v110, v95, s13
	v_cndmask_b32_e64 v110, v111, v99, s13
	;; [unrolled: 1-line block ×4, first 2 shown]
	v_lshrrev_b32_e32 v96, 16, v80
	v_lshrrev_b32_e32 v100, 16, v84
	v_cndmask_b32_e64 v111, v112, v95, s17
	v_cndmask_b32_e64 v112, v113, v99, s17
	v_cndmask_b32_e32 v82, v82, v103, vcc_lo
	v_cndmask_b32_e32 v83, v83, v107, vcc_lo
	v_cndmask_b32_e64 v94, v94, v103, s13
	v_cndmask_b32_e64 v90, v90, v80, s3
	;; [unrolled: 1-line block ×7, first 2 shown]
	v_lshrrev_b32_e32 v104, 16, v88
	v_cndmask_b32_e64 v106, v111, v80, s21
	v_cndmask_b32_e64 v110, v112, v84, s21
	;; [unrolled: 1-line block ×11, first 2 shown]
	v_lshrrev_b32_e32 v97, 16, v81
	v_lshrrev_b32_e32 v101, 16, v85
	v_cndmask_b32_e64 v99, v106, v96, s23
	v_cndmask_b32_e64 v102, v110, v100, s23
	v_cndmask_b32_e64 v83, v83, v104, s20
	v_cndmask_b32_e64 v94, v94, v81, s25
	v_cndmask_b32_e64 v95, v95, v85, s25
	v_cndmask_b32_e64 v78, v78, v81, s27
	v_cndmask_b32_e64 v79, v79, v85, s27
	v_lshrrev_b32_e32 v105, 16, v89
	v_cndmask_b32_e64 v80, v80, v104, s6
	v_cndmask_b32_e64 v84, v84, v81, s7
	v_cndmask_b32_e64 v90, v90, v85, s7
	v_cndmask_b32_e64 v96, v99, v81, s26
	v_cndmask_b32_e64 v99, v102, v85, s26
	v_cndmask_b32_e64 v81, v83, v89, s25
	v_cndmask_b32_e64 v85, v94, v97, s30
	v_cndmask_b32_e64 v78, v78, v97, s29
	v_cndmask_b32_e64 v79, v79, v101, s29
	v_cndmask_b32_e64 v95, v95, v101, s30
	v_cndmask_b32_e64 v80, v80, v89, s7
	v_cndmask_b32_e64 v83, v84, v97, s8
	v_cndmask_b32_e64 v84, v90, v101, s8
	v_cndmask_b32_e64 v90, v96, v97, s28
	v_cndmask_b32_e64 v94, v99, v101, s28
	v_cndmask_b32_e64 v97, v81, v105, s30
	v_perm_b32 v81, v79, v78, 0x5040100
	v_perm_b32 v79, v95, v85, 0x5040100
	v_cndmask_b32_e64 v78, v119, v91, s15
	v_cndmask_b32_e64 v85, v117, v91, s12
	;; [unrolled: 1-line block ×3, first 2 shown]
	v_perm_b32 v80, v94, v90, 0x5040100
	v_cndmask_b32_e64 v90, v98, v103, s17
	v_cndmask_b32_e64 v86, v86, v103, s18
	;; [unrolled: 1-line block ×5, first 2 shown]
	v_lshrrev_b32_e32 v108, 16, v92
	v_cndmask_b32_e64 v90, v90, v88, s21
	v_cndmask_b32_e64 v86, v86, v88, s22
	;; [unrolled: 1-line block ×11, first 2 shown]
	v_lshrrev_b32_e32 v109, 16, v93
	v_cndmask_b32_e64 v82, v82, v93, s7
	v_cndmask_b32_e64 v88, v88, v89, s26
	;; [unrolled: 1-line block ×12, first 2 shown]
	v_perm_b32 v78, v84, v83, 0x5040100
	v_perm_b32 v85, v87, v86, 0x5040100
	;; [unrolled: 1-line block ×5, first 2 shown]
	s_mul_i32 s8, s33, 7
	s_mov_b32 s3, exec_lo
	ds_store_b128 v74, v[78:81]
	ds_store_b128 v74, v[82:85] offset:1024
	v_cmpx_gt_u32_e32 7, v0
	s_cbranch_execz .LBB1252_14
; %bb.13:
	s_mul_i32 s4, s8, s34
	s_delay_alu instid0(SALU_CYCLE_1) | instskip(SKIP_1) | instid1(VALU_DEP_1)
	v_add3_u32 v68, s4, s31, v68
	s_load_b128 s[4:7], s[0:1], 0x58
	v_mad_u64_u32 v[78:79], null, v68, s35, s[14:15]
	s_delay_alu instid0(VALU_DEP_1) | instskip(NEXT) | instid1(VALU_DEP_1)
	v_ashrrev_i32_e32 v79, 31, v78
	v_lshlrev_b64 v[78:79], 2, v[78:79]
	s_waitcnt lgkmcnt(0)
	s_delay_alu instid0(VALU_DEP_1) | instskip(NEXT) | instid1(VALU_DEP_2)
	v_add_co_u32 v80, vcc_lo, s6, v78
	v_add_co_ci_u32_e32 v81, vcc_lo, s7, v79, vcc_lo
	v_add_co_u32 v78, vcc_lo, s4, v78
	v_add_co_ci_u32_e32 v79, vcc_lo, s5, v79, vcc_lo
	global_store_b32 v[80:81], v76, off
	global_store_b32 v[78:79], v77, off
.LBB1252_14:
	s_or_b32 exec_lo, exec_lo, s3
	s_waitcnt lgkmcnt(0)
	s_waitcnt_vscnt null, 0x0
	s_barrier
	buffer_gl0_inv
	ds_load_b128 v[84:87], v73
	ds_load_b128 v[88:91], v73 offset:16
	ds_load_b128 v[96:99], v73 offset:2064
	;; [unrolled: 1-line block ×5, first 2 shown]
	v_cmp_eq_u32_e32 vcc_lo, 1, v70
	v_mov_b32_e32 v76, 0
	ds_load_b128 v[112:115], v73 offset:6160
	ds_load_b128 v[108:111], v73 offset:6144
	;; [unrolled: 1-line block ×4, first 2 shown]
	v_cmp_eq_u32_e64 s4, 1, v69
	v_cmp_eq_u32_e64 s3, 1, v72
	;; [unrolled: 1-line block ×3, first 2 shown]
	v_mov_b32_e32 v77, v76
	v_mov_b32_e32 v78, v76
	v_mov_b32_e32 v79, v76
	v_mov_b32_e32 v80, v76
	v_mov_b32_e32 v81, v76
	v_mov_b32_e32 v82, v76
	v_mov_b32_e32 v83, v76
	v_cmp_eq_u32_e64 s6, 3, v72
	v_cmp_eq_u32_e64 s7, 7, v72
	s_waitcnt lgkmcnt(8)
	s_delay_alu instid0(VALU_DEP_3)
	v_wmma_f32_16x16x16_f16 v[76:83], v[49:56], v[84:91], v[76:83]
	ds_load_b128 v[53:56], v73 offset:10256
	ds_load_b128 v[49:52], v73 offset:10240
	s_waitcnt lgkmcnt(8)
	v_wmma_f32_16x16x16_f16 v[76:83], v[41:48], v[92:99], v[76:83]
	ds_load_b128 v[45:48], v73 offset:12304
	ds_load_b128 v[41:44], v73 offset:12288
	s_waitcnt lgkmcnt(8)
	;; [unrolled: 4-line block ×3, first 2 shown]
	s_barrier
	buffer_gl0_inv
	v_wmma_f32_16x16x16_f16 v[76:83], v[1:8], v[108:115], v[76:83]
	s_delay_alu instid0(VALU_DEP_1) | instskip(NEXT) | instid1(VALU_DEP_1)
	v_wmma_f32_16x16x16_f16 v[76:83], v[9:16], v[116:123], v[76:83]
	v_wmma_f32_16x16x16_f16 v[76:83], v[17:24], v[49:56], v[76:83]
	s_delay_alu instid0(VALU_DEP_1) | instskip(NEXT) | instid1(VALU_DEP_1)
	v_wmma_f32_16x16x16_f16 v[76:83], v[25:32], v[41:48], v[76:83]
	v_wmma_f32_16x16x16_f16 v[76:83], v[57:64], v[33:40], v[76:83]
	s_delay_alu instid0(VALU_DEP_1) | instskip(NEXT) | instid1(VALU_DEP_2)
	v_cvt_f16_f32_e32 v1, v76
	v_cvt_f16_f32_e32 v2, v77
	s_delay_alu instid0(VALU_DEP_3) | instskip(NEXT) | instid1(VALU_DEP_4)
	v_cvt_f16_f32_e32 v3, v78
	v_cvt_f16_f32_e32 v4, v79
	;; [unrolled: 1-line block ×6, first 2 shown]
	v_pack_b32_f16 v1, v1, v2
	v_pack_b32_f16 v2, v3, v4
	;; [unrolled: 1-line block ×3, first 2 shown]
	s_delay_alu instid0(VALU_DEP_4)
	v_pack_b32_f16 v4, v7, v8
	ds_store_b128 v74, v[1:4]
	s_waitcnt lgkmcnt(0)
	s_barrier
	buffer_gl0_inv
	ds_load_b128 v[1:4], v75
	ds_load_b128 v[5:8], v75 offset:16
	s_waitcnt lgkmcnt(1)
	v_lshrrev_b32_e32 v9, 16, v1
	s_waitcnt lgkmcnt(0)
	v_lshrrev_b32_e32 v13, 16, v5
	v_lshrrev_b32_e32 v10, 16, v2
	;; [unrolled: 1-line block ×4, first 2 shown]
	v_cndmask_b32_e32 v17, v1, v9, vcc_lo
	v_cndmask_b32_e32 v18, v5, v13, vcc_lo
	v_cndmask_b32_e64 v21, v1, v9, s4
	v_cmp_eq_u32_e32 vcc_lo, 1, v71
	v_cndmask_b32_e64 v22, v5, v13, s4
	v_cmp_eq_u32_e64 s4, 2, v70
	v_cndmask_b32_e64 v19, v1, v9, s3
	v_cndmask_b32_e64 v20, v5, v13, s3
	v_cndmask_b32_e32 v1, v1, v9, vcc_lo
	v_cmp_eq_u32_e64 s3, 2, v71
	v_cndmask_b32_e32 v5, v5, v13, vcc_lo
	v_cndmask_b32_e64 v9, v17, v2, s4
	v_cmp_eq_u32_e32 vcc_lo, 3, v70
	v_cndmask_b32_e64 v13, v18, v6, s4
	v_cmp_eq_u32_e64 s4, 2, v69
	v_cndmask_b32_e64 v17, v19, v2, s5
	v_cndmask_b32_e64 v18, v20, v6, s5
	v_cmp_eq_u32_e64 s5, 3, v69
	v_cndmask_b32_e64 v1, v1, v2, s3
	v_cndmask_b32_e64 v19, v21, v2, s4
	;; [unrolled: 1-line block ×4, first 2 shown]
	v_cndmask_b32_e32 v5, v9, v10, vcc_lo
	v_cndmask_b32_e32 v6, v13, v14, vcc_lo
	v_cmp_eq_u32_e32 vcc_lo, 3, v71
	v_cndmask_b32_e64 v9, v17, v10, s6
	v_cndmask_b32_e64 v13, v18, v14, s6
	;; [unrolled: 1-line block ×3, first 2 shown]
	v_cmp_eq_u32_e64 s4, 4, v70
	v_cndmask_b32_e32 v1, v1, v10, vcc_lo
	v_cndmask_b32_e32 v2, v2, v14, vcc_lo
	v_cmp_eq_u32_e32 vcc_lo, 4, v72
	v_lshrrev_b32_e32 v15, 16, v7
	v_lshrrev_b32_e32 v16, 16, v8
	v_cndmask_b32_e64 v17, v19, v10, s5
	v_cmp_eq_u32_e64 s3, 4, v71
	v_cndmask_b32_e64 v5, v5, v3, s4
	v_cndmask_b32_e64 v6, v6, v7, s4
	v_cndmask_b32_e32 v9, v9, v3, vcc_lo
	v_cmp_eq_u32_e64 s4, 5, v72
	v_cndmask_b32_e32 v10, v13, v7, vcc_lo
	v_cmp_eq_u32_e32 vcc_lo, 4, v69
	v_cmp_eq_u32_e64 s5, 5, v70
	v_cndmask_b32_e64 v2, v2, v7, s3
	v_cndmask_b32_e64 v9, v9, v11, s4
	;; [unrolled: 1-line block ×3, first 2 shown]
	v_cndmask_b32_e32 v13, v17, v3, vcc_lo
	v_cmp_eq_u32_e64 s4, 5, v69
	v_cndmask_b32_e32 v14, v18, v7, vcc_lo
	v_cndmask_b32_e64 v1, v1, v3, s3
	v_cmp_eq_u32_e32 vcc_lo, 5, v71
	v_lshrrev_b32_e32 v12, 16, v4
	v_cndmask_b32_e64 v13, v13, v11, s4
	v_cndmask_b32_e64 v3, v14, v15, s4
	v_cmp_eq_u32_e64 s4, 6, v71
	v_cndmask_b32_e32 v1, v1, v11, vcc_lo
	v_cndmask_b32_e64 v5, v5, v11, s5
	v_cmp_eq_u32_e64 s6, 6, v70
	v_cndmask_b32_e64 v6, v6, v15, s5
	v_cmp_eq_u32_e64 s5, 6, v72
	v_cmp_eq_u32_e64 s3, 6, v69
	v_cndmask_b32_e64 v1, v1, v4, s4
	v_cndmask_b32_e32 v2, v2, v15, vcc_lo
	v_cmp_eq_u32_e32 vcc_lo, 7, v71
	v_cndmask_b32_e64 v5, v5, v4, s6
	v_cndmask_b32_e64 v9, v9, v4, s5
	;; [unrolled: 1-line block ×3, first 2 shown]
	v_cmp_eq_u32_e64 s6, 7, v70
	v_cndmask_b32_e32 v1, v1, v12, vcc_lo
	v_cndmask_b32_e64 v7, v13, v4, s3
	v_cndmask_b32_e64 v3, v3, v8, s3
	;; [unrolled: 1-line block ×3, first 2 shown]
	v_cmp_eq_u32_e64 s3, 7, v69
	v_cndmask_b32_e64 v4, v10, v8, s5
	v_cndmask_b32_e64 v5, v5, v12, s6
	;; [unrolled: 1-line block ×3, first 2 shown]
	v_cndmask_b32_e32 v2, v2, v16, vcc_lo
	v_cndmask_b32_e64 v7, v7, v12, s3
	v_cndmask_b32_e64 v3, v3, v16, s3
	;; [unrolled: 1-line block ×4, first 2 shown]
	v_perm_b32 v4, v2, v1, 0x5040100
	s_mov_b32 s3, exec_lo
	v_perm_b32 v3, v3, v7, 0x5040100
	v_perm_b32 v2, v8, v9, 0x5040100
	;; [unrolled: 1-line block ×3, first 2 shown]
	ds_store_b128 v74, v[1:4]
	s_waitcnt lgkmcnt(0)
	s_barrier
	buffer_gl0_inv
	v_cmpx_gt_u32_e32 32, v0
	s_cbranch_execz .LBB1252_2
; %bb.15:
	s_load_b64 s[4:5], s[0:1], 0x68
	v_lshlrev_b32_e32 v0, 10, v0
	v_add_nc_u32_e32 v2, s31, v66
	v_lshlrev_b32_e32 v3, 4, v67
	s_lshl_b32 s0, s35, 7
	s_delay_alu instid0(SALU_CYCLE_1) | instskip(NEXT) | instid1(VALU_DEP_2)
	s_mul_i32 s1, s0, s34
	v_mul_lo_u32 v1, v2, s0
	s_delay_alu instid0(VALU_DEP_2)
	v_and_or_b32 v0, 0x3800, v0, v3
	v_add_nc_u32_e32 v3, 2, v2
	s_mul_i32 s6, s1, s8
	v_add_nc_u32_e32 v4, 4, v2
	s_ashr_i32 s7, s6, 31
	v_lshl_or_b32 v11, v66, 6, v0
	s_lshl_b64 s[6:7], s[6:7], 1
	v_mul_lo_u32 v15, v3, s0
	v_mul_lo_u32 v17, v4, s0
	v_ashrrev_i32_e32 v2, 31, v1
	ds_load_b128 v[3:6], v11
	ds_load_b128 v[7:10], v11 offset:128
	ds_load_b128 v[11:14], v11 offset:256
	s_waitcnt lgkmcnt(0)
	s_add_u32 s1, s4, s6
	s_addc_u32 s3, s5, s7
	s_lshl_b32 s4, s14, 7
	v_ashrrev_i32_e32 v16, 31, v15
	s_ashr_i32 s5, s4, 31
	v_lshlrev_b64 v[19:20], 1, v[1:2]
	s_lshl_b64 s[4:5], s[4:5], 1
	v_ashrrev_i32_e32 v18, 31, v17
	s_add_u32 s1, s1, s4
	s_addc_u32 s3, s3, s5
	v_add_co_u32 v1, s1, s1, v65
	s_delay_alu instid0(VALU_DEP_1) | instskip(SKIP_1) | instid1(VALU_DEP_3)
	v_add_co_ci_u32_e64 v2, null, s3, 0, s1
	v_lshlrev_b64 v[15:16], 1, v[15:16]
	v_add_co_u32 v19, vcc_lo, v1, v19
	v_lshlrev_b64 v[17:18], 1, v[17:18]
	s_delay_alu instid0(VALU_DEP_4) | instskip(NEXT) | instid1(VALU_DEP_4)
	v_add_co_ci_u32_e32 v20, vcc_lo, v2, v20, vcc_lo
	v_add_co_u32 v15, vcc_lo, v1, v15
	v_add_co_ci_u32_e32 v16, vcc_lo, v2, v16, vcc_lo
	s_delay_alu instid0(VALU_DEP_4)
	v_add_co_u32 v17, vcc_lo, v1, v17
	v_add_co_ci_u32_e32 v18, vcc_lo, v2, v18, vcc_lo
	s_clause 0x2
	global_store_b128 v[19:20], v[3:6], off
	global_store_b128 v[15:16], v[7:10], off
	;; [unrolled: 1-line block ×3, first 2 shown]
	s_and_b32 exec_lo, exec_lo, s2
	s_cbranch_execz .LBB1252_2
; %bb.16:
	ds_load_b128 v[3:6], v0 offset:384
	s_add_i32 s1, s31, 6
	s_delay_alu instid0(SALU_CYCLE_1) | instskip(NEXT) | instid1(SALU_CYCLE_1)
	s_mul_i32 s0, s1, s0
	s_ashr_i32 s1, s0, 31
	s_delay_alu instid0(SALU_CYCLE_1) | instskip(NEXT) | instid1(SALU_CYCLE_1)
	s_lshl_b64 s[0:1], s[0:1], 1
	v_add_co_u32 v0, vcc_lo, v1, s0
	v_add_co_ci_u32_e32 v1, vcc_lo, s1, v2, vcc_lo
	s_waitcnt lgkmcnt(0)
	global_store_b128 v[0:1], v[3:6], off
	s_nop 0
	s_sendmsg sendmsg(MSG_DEALLOC_VGPRS)
	s_endpgm
	.section	.rodata,"a",@progbits
	.p2align	6, 0x0
	.amdhsa_kernel _Z39paged_attention_ll4mi_QKV_mfma16_kernelIDF16_hLN4vllm18Fp8KVCacheDataTypeE1EDF16_Li16ELi128ELi256ELb1ELi7EL8MFMAType0EEvPKT_PKT0_S8_ifPKiSA_SA_iPKfiiiPfSD_PS3_PT2_iSC_SC_
		.amdhsa_group_segment_fixed_size 17472
		.amdhsa_private_segment_fixed_size 0
		.amdhsa_kernarg_size 400
		.amdhsa_user_sgpr_count 13
		.amdhsa_user_sgpr_dispatch_ptr 0
		.amdhsa_user_sgpr_queue_ptr 0
		.amdhsa_user_sgpr_kernarg_segment_ptr 1
		.amdhsa_user_sgpr_dispatch_id 0
		.amdhsa_user_sgpr_private_segment_size 0
		.amdhsa_wavefront_size32 1
		.amdhsa_uses_dynamic_stack 0
		.amdhsa_enable_private_segment 0
		.amdhsa_system_sgpr_workgroup_id_x 1
		.amdhsa_system_sgpr_workgroup_id_y 1
		.amdhsa_system_sgpr_workgroup_id_z 1
		.amdhsa_system_sgpr_workgroup_info 0
		.amdhsa_system_vgpr_workitem_id 0
		.amdhsa_next_free_vgpr 150
		.amdhsa_next_free_sgpr 36
		.amdhsa_reserve_vcc 1
		.amdhsa_float_round_mode_32 0
		.amdhsa_float_round_mode_16_64 0
		.amdhsa_float_denorm_mode_32 3
		.amdhsa_float_denorm_mode_16_64 3
		.amdhsa_dx10_clamp 1
		.amdhsa_ieee_mode 1
		.amdhsa_fp16_overflow 0
		.amdhsa_workgroup_processor_mode 1
		.amdhsa_memory_ordered 1
		.amdhsa_forward_progress 0
		.amdhsa_shared_vgpr_count 0
		.amdhsa_exception_fp_ieee_invalid_op 0
		.amdhsa_exception_fp_denorm_src 0
		.amdhsa_exception_fp_ieee_div_zero 0
		.amdhsa_exception_fp_ieee_overflow 0
		.amdhsa_exception_fp_ieee_underflow 0
		.amdhsa_exception_fp_ieee_inexact 0
		.amdhsa_exception_int_div_zero 0
	.end_amdhsa_kernel
	.section	.text._Z39paged_attention_ll4mi_QKV_mfma16_kernelIDF16_hLN4vllm18Fp8KVCacheDataTypeE1EDF16_Li16ELi128ELi256ELb1ELi7EL8MFMAType0EEvPKT_PKT0_S8_ifPKiSA_SA_iPKfiiiPfSD_PS3_PT2_iSC_SC_,"axG",@progbits,_Z39paged_attention_ll4mi_QKV_mfma16_kernelIDF16_hLN4vllm18Fp8KVCacheDataTypeE1EDF16_Li16ELi128ELi256ELb1ELi7EL8MFMAType0EEvPKT_PKT0_S8_ifPKiSA_SA_iPKfiiiPfSD_PS3_PT2_iSC_SC_,comdat
.Lfunc_end1252:
	.size	_Z39paged_attention_ll4mi_QKV_mfma16_kernelIDF16_hLN4vllm18Fp8KVCacheDataTypeE1EDF16_Li16ELi128ELi256ELb1ELi7EL8MFMAType0EEvPKT_PKT0_S8_ifPKiSA_SA_iPKfiiiPfSD_PS3_PT2_iSC_SC_, .Lfunc_end1252-_Z39paged_attention_ll4mi_QKV_mfma16_kernelIDF16_hLN4vllm18Fp8KVCacheDataTypeE1EDF16_Li16ELi128ELi256ELb1ELi7EL8MFMAType0EEvPKT_PKT0_S8_ifPKiSA_SA_iPKfiiiPfSD_PS3_PT2_iSC_SC_
                                        ; -- End function
	.section	.AMDGPU.csdata,"",@progbits
; Kernel info:
; codeLenInByte = 6692
; NumSgprs: 38
; NumVgprs: 150
; ScratchSize: 0
; MemoryBound: 0
; FloatMode: 240
; IeeeMode: 1
; LDSByteSize: 17472 bytes/workgroup (compile time only)
; SGPRBlocks: 4
; VGPRBlocks: 18
; NumSGPRsForWavesPerEU: 38
; NumVGPRsForWavesPerEU: 150
; Occupancy: 9
; WaveLimiterHint : 1
; COMPUTE_PGM_RSRC2:SCRATCH_EN: 0
; COMPUTE_PGM_RSRC2:USER_SGPR: 13
; COMPUTE_PGM_RSRC2:TRAP_HANDLER: 0
; COMPUTE_PGM_RSRC2:TGID_X_EN: 1
; COMPUTE_PGM_RSRC2:TGID_Y_EN: 1
; COMPUTE_PGM_RSRC2:TGID_Z_EN: 1
; COMPUTE_PGM_RSRC2:TIDIG_COMP_CNT: 0
	.section	.text._Z39paged_attention_ll4mi_QKV_mfma16_kernelIDF16_hLN4vllm18Fp8KVCacheDataTypeE1EDF16_Li16ELi128ELi256ELb1ELi8EL8MFMAType0EEvPKT_PKT0_S8_ifPKiSA_SA_iPKfiiiPfSD_PS3_PT2_iSC_SC_,"axG",@progbits,_Z39paged_attention_ll4mi_QKV_mfma16_kernelIDF16_hLN4vllm18Fp8KVCacheDataTypeE1EDF16_Li16ELi128ELi256ELb1ELi8EL8MFMAType0EEvPKT_PKT0_S8_ifPKiSA_SA_iPKfiiiPfSD_PS3_PT2_iSC_SC_,comdat
	.protected	_Z39paged_attention_ll4mi_QKV_mfma16_kernelIDF16_hLN4vllm18Fp8KVCacheDataTypeE1EDF16_Li16ELi128ELi256ELb1ELi8EL8MFMAType0EEvPKT_PKT0_S8_ifPKiSA_SA_iPKfiiiPfSD_PS3_PT2_iSC_SC_ ; -- Begin function _Z39paged_attention_ll4mi_QKV_mfma16_kernelIDF16_hLN4vllm18Fp8KVCacheDataTypeE1EDF16_Li16ELi128ELi256ELb1ELi8EL8MFMAType0EEvPKT_PKT0_S8_ifPKiSA_SA_iPKfiiiPfSD_PS3_PT2_iSC_SC_
	.globl	_Z39paged_attention_ll4mi_QKV_mfma16_kernelIDF16_hLN4vllm18Fp8KVCacheDataTypeE1EDF16_Li16ELi128ELi256ELb1ELi8EL8MFMAType0EEvPKT_PKT0_S8_ifPKiSA_SA_iPKfiiiPfSD_PS3_PT2_iSC_SC_
	.p2align	8
	.type	_Z39paged_attention_ll4mi_QKV_mfma16_kernelIDF16_hLN4vllm18Fp8KVCacheDataTypeE1EDF16_Li16ELi128ELi256ELb1ELi8EL8MFMAType0EEvPKT_PKT0_S8_ifPKiSA_SA_iPKfiiiPfSD_PS3_PT2_iSC_SC_,@function
_Z39paged_attention_ll4mi_QKV_mfma16_kernelIDF16_hLN4vllm18Fp8KVCacheDataTypeE1EDF16_Li16ELi128ELi256ELb1ELi8EL8MFMAType0EEvPKT_PKT0_S8_ifPKiSA_SA_iPKfiiiPfSD_PS3_PT2_iSC_SC_: ; @_Z39paged_attention_ll4mi_QKV_mfma16_kernelIDF16_hLN4vllm18Fp8KVCacheDataTypeE1EDF16_Li16ELi128ELi256ELb1ELi8EL8MFMAType0EEvPKT_PKT0_S8_ifPKiSA_SA_iPKfiiiPfSD_PS3_PT2_iSC_SC_
; %bb.0:
	s_load_b64 s[4:5], s[0:1], 0x30
	s_mov_b32 s30, s13
	s_waitcnt lgkmcnt(0)
	s_cmp_lg_u64 s[4:5], 0
	s_cselect_b32 s13, -1, 0
	s_ashr_i32 s31, s30, 31
	s_cmp_eq_u64 s[4:5], 0
	s_cbranch_scc1 .LBB1253_3
; %bb.1:
	s_lshl_b64 s[2:3], s[30:31], 2
	s_delay_alu instid0(SALU_CYCLE_1) | instskip(SKIP_4) | instid1(SALU_CYCLE_1)
	s_add_u32 s2, s4, s2
	s_addc_u32 s3, s5, s3
	s_load_b64 s[2:3], s[2:3], 0x0
	s_waitcnt lgkmcnt(0)
	s_sub_i32 s2, s3, s2
	s_cmp_eq_u32 s2, 1
	s_cselect_b32 s2, -1, 0
	s_delay_alu instid0(SALU_CYCLE_1)
	s_and_not1_b32 vcc_lo, exec_lo, s2
	s_cbranch_vccz .LBB1253_4
.LBB1253_2:
	s_endpgm
.LBB1253_3:
.LBB1253_4:
	s_load_b64 s[2:3], s[0:1], 0x28
	s_lshl_b64 s[6:7], s[30:31], 2
	s_waitcnt lgkmcnt(0)
	s_add_u32 s2, s2, s6
	s_addc_u32 s3, s3, s7
	s_lshl_b32 s12, s14, 8
	s_load_b32 s17, s[2:3], 0x0
	s_waitcnt lgkmcnt(0)
	s_cmp_ge_i32 s12, s17
	s_cbranch_scc1 .LBB1253_2
; %bb.5:
	s_clause 0x1
	s_load_b128 s[8:11], s[0:1], 0x8
	s_load_b64 s[2:3], s[0:1], 0x20
	s_and_not1_b32 vcc_lo, exec_lo, s13
	s_cbranch_vccnz .LBB1253_7
; %bb.6:
	s_add_u32 s4, s4, s6
	s_addc_u32 s5, s5, s7
	s_load_b32 s13, s[4:5], 0x0
	s_branch .LBB1253_8
.LBB1253_7:
	s_mov_b32 s13, s30
.LBB1253_8:
	s_load_b128 s[4:7], s[0:1], 0x48
	v_and_b32_e32 v69, 15, v0
	v_lshrrev_b32_e32 v68, 5, v0
	v_and_b32_e32 v70, 31, v0
	v_and_b32_e32 v67, 1, v0
	v_bfe_u32 v66, v0, 4, 1
	v_lshlrev_b32_e32 v1, 3, v69
	s_lshl_b32 s31, s15, 3
	s_waitcnt lgkmcnt(0)
	s_mov_b32 s7, exec_lo
	s_delay_alu instid0(VALU_DEP_1)
	v_lshlrev_b32_e32 v65, 1, v1
	v_cmpx_gt_u32_e32 0x80, v0
	s_cbranch_execz .LBB1253_10
; %bb.9:
	v_lshl_or_b32 v5, v68, 1, v66
	s_load_b64 s[18:19], s[0:1], 0x0
	s_mul_hi_i32 s21, s13, s4
	s_mul_i32 s20, s13, s4
	v_lshlrev_b32_e32 v6, 10, v69
	v_or_b32_e32 v1, s31, v5
	s_lshl_b64 s[20:21], s[20:21], 1
	v_lshlrev_b32_e32 v5, 6, v5
	v_lshlrev_b32_e32 v7, 10, v67
	v_and_b32_e32 v6, 0x3800, v6
	v_lshlrev_b32_e32 v1, 7, v1
	s_delay_alu instid0(VALU_DEP_2) | instskip(NEXT) | instid1(VALU_DEP_2)
	v_or3_b32 v5, v6, v7, v5
	v_ashrrev_i32_e32 v2, 31, v1
	s_delay_alu instid0(VALU_DEP_1) | instskip(SKIP_3) | instid1(VALU_DEP_1)
	v_lshlrev_b64 v[1:2], 1, v[1:2]
	s_waitcnt lgkmcnt(0)
	s_add_u32 s4, s18, s20
	s_addc_u32 s13, s19, s21
	v_add_co_u32 v1, vcc_lo, s4, v1
	s_delay_alu instid0(VALU_DEP_2) | instskip(NEXT) | instid1(VALU_DEP_2)
	v_add_co_ci_u32_e32 v2, vcc_lo, s13, v2, vcc_lo
	v_add_co_u32 v1, vcc_lo, v1, v65
	s_delay_alu instid0(VALU_DEP_2)
	v_add_co_ci_u32_e32 v2, vcc_lo, 0, v2, vcc_lo
	global_load_b128 v[1:4], v[1:2], off
	s_waitcnt vmcnt(0)
	ds_store_b128 v5, v[1:4]
.LBB1253_10:
	s_or_b32 exec_lo, exec_lo, s7
	v_and_b32_e32 v1, 0xef, v0
	s_add_i32 s4, s17, 15
	s_clause 0x1
	s_load_b32 s7, s[0:1], 0x38
	s_load_b32 s33, s[0:1], 0x98
	s_ashr_i32 s13, s4, 31
	v_add_nc_u32_e32 v1, s12, v1
	s_lshr_b32 s13, s13, 28
	s_load_b32 s18, s[0:1], 0x1c
	s_add_i32 s4, s4, s13
	s_waitcnt lgkmcnt(0)
	v_ashrrev_i32_e32 v2, 31, v1
	v_or_b32_e32 v3, 16, v1
	s_ashr_i32 s4, s4, 4
	v_cmp_gt_i32_e32 vcc_lo, s17, v1
	s_add_i32 s4, s4, -1
	v_lshrrev_b32_e32 v2, 28, v2
	s_barrier
	buffer_gl0_inv
	s_mul_i32 s15, s15, s6
	v_add_nc_u32_e32 v4, v1, v2
	s_mul_i32 s20, s30, s7
	s_delay_alu instid0(SALU_CYCLE_1) | instskip(NEXT) | instid1(VALU_DEP_1)
	s_ashr_i32 s21, s20, 31
	v_ashrrev_i32_e32 v4, 4, v4
	v_add_nc_u32_e32 v2, v3, v2
	s_lshl_b64 s[20:21], s[20:21], 2
	s_delay_alu instid0(SALU_CYCLE_1) | instskip(NEXT) | instid1(VALU_DEP_2)
	s_add_u32 s13, s2, s20
	v_cndmask_b32_e32 v1, s4, v4, vcc_lo
	s_delay_alu instid0(VALU_DEP_2)
	v_ashrrev_i32_e32 v2, 4, v2
	v_cmp_gt_i32_e32 vcc_lo, s17, v3
	s_addc_u32 s16, s3, s21
	s_ashr_i32 s19, s15, 31
	s_add_u32 s26, s8, s15
	s_addc_u32 s27, s9, s19
	v_cndmask_b32_e32 v3, s4, v2, vcc_lo
	v_ashrrev_i32_e32 v2, 31, v1
	s_lshl_b32 s2, s14, 4
	s_delay_alu instid0(SALU_CYCLE_1) | instskip(NEXT) | instid1(VALU_DEP_2)
	s_ashr_i32 s3, s2, 31
	v_ashrrev_i32_e32 v4, 31, v3
	s_delay_alu instid0(VALU_DEP_2) | instskip(SKIP_1) | instid1(SALU_CYCLE_1)
	v_lshlrev_b64 v[1:2], 2, v[1:2]
	s_lshl_b64 s[2:3], s[2:3], 2
	s_add_u32 s2, s13, s2
	s_delay_alu instid0(VALU_DEP_2) | instskip(SKIP_1) | instid1(VALU_DEP_2)
	v_lshlrev_b64 v[3:4], 2, v[3:4]
	s_addc_u32 s3, s16, s3
	v_add_co_u32 v1, vcc_lo, s13, v1
	v_add_co_ci_u32_e32 v2, vcc_lo, s16, v2, vcc_lo
	s_delay_alu instid0(VALU_DEP_3) | instskip(NEXT) | instid1(VALU_DEP_4)
	v_add_co_u32 v3, vcc_lo, s13, v3
	v_add_co_ci_u32_e32 v4, vcc_lo, s16, v4, vcc_lo
	s_clause 0x1
	global_load_b32 v5, v[1:2], off
	global_load_b32 v3, v[3:4], off
	s_or_b32 s6, s12, 32
	s_delay_alu instid0(SALU_CYCLE_1) | instskip(SKIP_2) | instid1(SALU_CYCLE_1)
	s_ashr_i32 s7, s6, 4
	s_cmp_lt_i32 s6, s17
	s_cselect_b32 s6, s7, s4
	s_ashr_i32 s7, s6, 31
	s_delay_alu instid0(SALU_CYCLE_1) | instskip(NEXT) | instid1(SALU_CYCLE_1)
	s_lshl_b64 s[6:7], s[6:7], 2
	s_add_u32 s6, s13, s6
	s_addc_u32 s7, s16, s7
	s_or_b32 s8, s12, 64
	s_delay_alu instid0(SALU_CYCLE_1) | instskip(SKIP_2) | instid1(SALU_CYCLE_1)
	s_ashr_i32 s9, s8, 4
	s_cmp_lt_i32 s8, s17
	s_cselect_b32 s8, s9, s4
	s_ashr_i32 s9, s8, 31
	s_delay_alu instid0(SALU_CYCLE_1) | instskip(NEXT) | instid1(SALU_CYCLE_1)
	s_lshl_b64 s[8:9], s[8:9], 2
	s_add_u32 s8, s13, s8
	s_addc_u32 s9, s16, s9
	;; [unrolled: 10-line block ×5, first 2 shown]
	s_clause 0x5
	s_load_b32 s28, s[2:3], 0x0
	s_load_b32 s29, s[6:7], 0x0
	;; [unrolled: 1-line block ×6, first 2 shown]
	s_mov_b32 s20, 0
	s_or_b32 s2, s12, 0xc0
	s_mov_b32 s21, s20
	s_mov_b32 s22, s20
	s_mov_b32 s23, s20
	s_mov_b32 s24, s20
	s_mov_b32 s25, s20
	v_lshlrev_b32_e32 v1, 4, v0
	s_ashr_i32 s3, s2, 4
	s_cmp_lt_i32 s2, s17
	s_cselect_b32 s2, s3, s4
	s_delay_alu instid0(VALU_DEP_1) | instskip(SKIP_1) | instid1(SALU_CYCLE_1)
	v_and_b32_e32 v1, 0xf0, v1
	s_ashr_i32 s3, s2, 31
	s_lshl_b64 s[2:3], s[2:3], 2
	s_delay_alu instid0(VALU_DEP_1) | instskip(NEXT) | instid1(VALU_DEP_1)
	v_add_co_u32 v1, s26, s26, v1
	v_add_co_ci_u32_e64 v2, null, s27, 0, s26
	s_add_u32 s2, s13, s2
	s_addc_u32 s3, s16, s3
	s_or_b32 s6, s12, 0xe0
	s_mov_b32 s27, s20
	s_ashr_i32 s7, s6, 4
	s_cmp_lt_i32 s6, s17
	s_mov_b32 s26, s20
	s_cselect_b32 s6, s7, s4
	v_mov_b32_e32 v102, s27
	v_mov_b32_e32 v96, s21
	s_ashr_i32 s7, s6, 31
	v_mov_b32_e32 v101, s26
	s_lshl_b64 s[6:7], s[6:7], 2
	v_dual_mov_b32 v100, s25 :: v_dual_mov_b32 v99, s24
	v_dual_mov_b32 v98, s23 :: v_dual_mov_b32 v97, s22
	v_mov_b32_e32 v95, s20
	s_waitcnt vmcnt(1)
	v_mad_i64_i32 v[33:34], null, v5, s5, v[1:2]
	s_waitcnt vmcnt(0)
	v_mad_i64_i32 v[35:36], null, v3, s5, v[1:2]
	s_clause 0xf
	global_load_b128 v[1:4], v[33:34], off
	global_load_b128 v[5:8], v[33:34], off offset:256
	global_load_b128 v[9:12], v[35:36], off
	global_load_b128 v[13:16], v[35:36], off offset:256
	global_load_b128 v[17:20], v[33:34], off offset:512
	global_load_b128 v[21:24], v[33:34], off offset:768
	global_load_b128 v[25:28], v[35:36], off offset:512
	global_load_b128 v[29:32], v[35:36], off offset:768
	global_load_b128 v[57:60], v[33:34], off offset:1024
	global_load_b128 v[61:64], v[33:34], off offset:1280
	global_load_b128 v[71:74], v[35:36], off offset:1024
	global_load_b128 v[75:78], v[35:36], off offset:1280
	global_load_b128 v[79:82], v[33:34], off offset:1536
	global_load_b128 v[83:86], v[33:34], off offset:1792
	global_load_b128 v[87:90], v[35:36], off offset:1536
	global_load_b128 v[91:94], v[35:36], off offset:1792
	v_and_b32_e32 v33, 7, v0
	v_lshlrev_b32_e32 v34, 4, v69
	s_delay_alu instid0(VALU_DEP_2) | instskip(NEXT) | instid1(VALU_DEP_2)
	v_lshlrev_b32_e32 v139, 6, v33
	v_lshl_or_b32 v41, v68, 8, v34
	ds_load_b128 v[33:36], v139
	ds_load_b128 v[37:40], v139 offset:1024
	ds_load_b128 v[103:106], v139 offset:2048
	;; [unrolled: 1-line block ×3, first 2 shown]
	s_load_b32 s4, s[2:3], 0x0
	s_add_u32 s2, s13, s6
	s_addc_u32 s3, s16, s7
	ds_load_b128 v[111:114], v139 offset:4096
	ds_load_b128 v[115:118], v139 offset:5120
	s_load_b32 s2, s[2:3], 0x0
	s_add_u32 s6, s10, s15
	s_addc_u32 s7, s11, s19
	v_add_co_u32 v127, s6, s6, v41
	s_delay_alu instid0(VALU_DEP_1) | instskip(SKIP_1) | instid1(VALU_DEP_1)
	v_add_co_ci_u32_e64 v128, null, s7, 0, s6
	s_waitcnt lgkmcnt(0)
	v_mad_i64_i32 v[41:42], null, s28, s5, v[127:128]
	v_mad_i64_i32 v[129:130], null, s8, s5, v[127:128]
	;; [unrolled: 1-line block ×7, first 2 shown]
	s_clause 0x3
	global_load_b128 v[49:52], v[41:42], off
	global_load_b128 v[53:56], v[41:42], off offset:16
	global_load_b128 v[41:44], v[45:46], off
	global_load_b128 v[45:48], v[45:46], off offset:16
	s_waitcnt vmcnt(18)
	v_wmma_f32_16x16x16_f16 v[119:126], v[1:8], v[33:40], v[95:102]
	s_waitcnt vmcnt(16)
	v_wmma_f32_16x16x16_f16 v[95:102], v[9:16], v[33:40], v[95:102]
	s_clause 0x3
	global_load_b128 v[33:36], v[129:130], off
	global_load_b128 v[37:40], v[129:130], off offset:16
	global_load_b128 v[1:4], v[131:132], off
	global_load_b128 v[5:8], v[131:132], off offset:16
	s_waitcnt vmcnt(18)
	v_wmma_f32_16x16x16_f16 v[119:126], v[17:24], v[103:110], v[119:126]
	s_clause 0x3
	global_load_b128 v[9:12], v[133:134], off
	global_load_b128 v[13:16], v[133:134], off offset:16
	global_load_b128 v[17:20], v[135:136], off
	global_load_b128 v[21:24], v[135:136], off offset:16
	s_waitcnt vmcnt(20)
	v_wmma_f32_16x16x16_f16 v[95:102], v[25:32], v[103:110], v[95:102]
	v_mad_i64_i32 v[103:104], null, s2, s5, v[127:128]
	s_waitcnt vmcnt(18)
	v_wmma_f32_16x16x16_f16 v[119:126], v[57:64], v[111:118], v[119:126]
	s_clause 0x1
	global_load_b128 v[25:28], v[137:138], off
	global_load_b128 v[29:32], v[137:138], off offset:16
	s_waitcnt vmcnt(18)
	v_wmma_f32_16x16x16_f16 v[95:102], v[71:78], v[111:118], v[95:102]
	s_clause 0x1
	global_load_b128 v[57:60], v[103:104], off
	global_load_b128 v[61:64], v[103:104], off offset:16
	ds_load_b128 v[71:74], v139 offset:6144
	ds_load_b128 v[75:78], v139 offset:7168
	v_mbcnt_lo_u32_b32 v104, -1, 0
	s_waitcnt vmcnt(0) lgkmcnt(0)
	s_barrier
	buffer_gl0_inv
	v_xor_b32_e32 v105, 16, v104
	s_delay_alu instid0(VALU_DEP_1) | instskip(SKIP_4) | instid1(VALU_DEP_2)
	v_cmp_gt_i32_e32 vcc_lo, 32, v105
	v_cndmask_b32_e32 v104, v104, v105, vcc_lo
	v_wmma_f32_16x16x16_f16 v[95:102], v[87:94], v[71:78], v[95:102]
	v_and_b32_e32 v103, 0xe0, v0
	v_wmma_f32_16x16x16_f16 v[119:126], v[79:86], v[71:78], v[119:126]
	v_dual_mul_f32 v90, s18, v101 :: v_dual_add_nc_u32 v103, s12, v103
	s_delay_alu instid0(VALU_DEP_2) | instskip(NEXT) | instid1(VALU_DEP_3)
	v_dual_mul_f32 v94, s18, v97 :: v_dual_mul_f32 v87, s18, v120
	v_dual_mul_f32 v88, s18, v119 :: v_dual_mul_f32 v77, s18, v122
	s_delay_alu instid0(VALU_DEP_3) | instskip(SKIP_3) | instid1(VALU_DEP_4)
	v_or_b32_e32 v103, v103, v66
	v_dual_mul_f32 v78, s18, v121 :: v_dual_mul_f32 v75, s18, v124
	v_dual_mul_f32 v76, s18, v123 :: v_dual_mul_f32 v73, s18, v126
	v_mul_f32_e32 v92, s18, v99
	v_or_b32_e32 v105, 2, v103
	v_or_b32_e32 v106, 4, v103
	;; [unrolled: 1-line block ×3, first 2 shown]
	v_cmp_gt_i32_e64 s2, s17, v103
	v_or_b32_e32 v108, 8, v103
	v_cmp_gt_i32_e32 vcc_lo, s17, v105
	v_or_b32_e32 v109, 10, v103
	v_cmp_gt_i32_e64 s3, s17, v106
	v_cndmask_b32_e64 v88, 0xff7fffff, v88, s2
	v_cmp_gt_i32_e64 s4, s17, v107
	v_cndmask_b32_e32 v87, 0xff7fffff, v87, vcc_lo
	v_or_b32_e32 v79, 12, v103
	v_or_b32_e32 v80, 14, v103
	v_cndmask_b32_e64 v78, 0xff7fffff, v78, s3
	v_cndmask_b32_e64 v77, 0xff7fffff, v77, s4
	v_max3_f32 v87, v88, 0xff7fffff, v87
	v_cmp_gt_i32_e64 s5, s17, v108
	v_cmp_gt_i32_e64 s6, s17, v109
	v_or_b32_e32 v81, 16, v103
	v_or_b32_e32 v82, 18, v103
	v_mul_f32_e32 v74, s18, v125
	v_cndmask_b32_e64 v76, 0xff7fffff, v76, s5
	v_cndmask_b32_e64 v75, 0xff7fffff, v75, s6
	v_max3_f32 v77, v87, v78, v77
	v_cmp_gt_i32_e64 s7, s17, v79
	v_cmp_gt_i32_e64 s8, s17, v80
	v_or_b32_e32 v83, 20, v103
	v_or_b32_e32 v84, 22, v103
	;; [unrolled: 1-line block ×6, first 2 shown]
	v_mul_f32_e32 v105, s18, v96
	v_mul_f32_e32 v103, s18, v95
	v_cndmask_b32_e64 v74, 0xff7fffff, v74, s7
	v_cndmask_b32_e64 v73, 0xff7fffff, v73, s8
	v_max3_f32 v75, v77, v76, v75
	v_cmp_gt_i32_e64 s9, s17, v81
	v_cmp_gt_i32_e64 s10, s17, v82
	v_mul_f32_e32 v93, s18, v98
	v_cmp_gt_i32_e64 s11, s17, v83
	v_max3_f32 v73, v75, v74, v73
	v_cndmask_b32_e64 v76, 0xff7fffff, v103, s9
	v_cndmask_b32_e64 v77, 0xff7fffff, v105, s10
	v_cmp_gt_i32_e64 s12, s17, v84
	v_mul_f32_e32 v91, s18, v100
	v_cndmask_b32_e64 v74, 0xff7fffff, v94, s11
	v_cmp_gt_i32_e64 s13, s17, v85
	v_max3_f32 v73, v73, v76, v77
	v_cndmask_b32_e64 v75, 0xff7fffff, v93, s12
	v_cmp_gt_i32_e64 s15, s17, v86
	v_mul_f32_e32 v89, s18, v102
	v_cndmask_b32_e64 v76, 0xff7fffff, v92, s13
	v_cmp_gt_i32_e64 s16, s17, v71
	v_max3_f32 v73, v73, v74, v75
	v_cndmask_b32_e64 v77, 0xff7fffff, v91, s15
	v_cmp_gt_i32_e64 s17, s17, v72
	v_lshlrev_b32_e32 v74, 2, v104
	v_cndmask_b32_e64 v71, 0xff7fffff, v90, s16
	s_delay_alu instid0(VALU_DEP_4) | instskip(NEXT) | instid1(VALU_DEP_4)
	v_max3_f32 v73, v73, v76, v77
	v_cndmask_b32_e64 v72, 0xff7fffff, v89, s17
	s_delay_alu instid0(VALU_DEP_1) | instskip(SKIP_3) | instid1(VALU_DEP_1)
	v_max3_f32 v71, v73, v71, v72
	ds_bpermute_b32 v72, v74, v71
	s_waitcnt lgkmcnt(0)
	v_max_f32_e32 v72, v72, v72
	v_max_f32_e32 v71, v71, v72
	s_delay_alu instid0(VALU_DEP_1)
	v_fma_f32 v72, s18, v119, -v71
	v_fma_f32 v76, s18, v122, -v71
	;; [unrolled: 1-line block ×5, first 2 shown]
	v_mul_f32_e32 v72, 0x3fb8aa3b, v72
	v_mul_f32_e32 v76, 0x3fb8aa3b, v76
	v_fma_f32 v75, s18, v121, -v71
	v_mul_f32_e32 v79, 0x3fb8aa3b, v77
	v_mul_f32_e32 v87, 0x3fb8aa3b, v86
	v_exp_f32_e32 v72, v72
	v_exp_f32_e32 v76, v76
	v_fma_f32 v81, s18, v125, -v71
	v_exp_f32_e32 v82, v79
	v_exp_f32_e32 v87, v87
	v_fma_f32 v84, s18, v96, -v71
	s_delay_alu instid0(VALU_DEP_2) | instskip(SKIP_3) | instid1(TRANS32_DEP_3)
	v_mul_f32_e32 v81, 0x3fb8aa3b, v81
	v_cndmask_b32_e64 v78, 0, v72, s2
	v_fma_f32 v72, s18, v124, -v71
	v_mul_f32_e32 v73, 0x3fb8aa3b, v73
	v_cndmask_b32_e64 v79, 0, v76, s4
	v_fma_f32 v76, s18, v95, -v71
	s_delay_alu instid0(VALU_DEP_4) | instskip(NEXT) | instid1(VALU_DEP_4)
	v_dual_mul_f32 v75, 0x3fb8aa3b, v75 :: v_dual_mul_f32 v72, 0x3fb8aa3b, v72
	v_exp_f32_e32 v73, v73
	v_cndmask_b32_e64 v87, 0, v87, s12
	s_delay_alu instid0(VALU_DEP_3) | instskip(NEXT) | instid1(VALU_DEP_3)
	v_mul_f32_e32 v76, 0x3fb8aa3b, v76
	v_exp_f32_e32 v75, v75
	v_exp_f32_e32 v72, v72
	;; [unrolled: 1-line block ×3, first 2 shown]
	v_cndmask_b32_e64 v82, 0, v82, s5
	v_mul_f32_e32 v85, 0x3fb8aa3b, v84
	v_exp_f32_e32 v76, v76
	s_mov_b32 s2, exec_lo
	v_cndmask_b32_e32 v77, 0, v73, vcc_lo
	v_add_f32_e32 v73, 0, v78
	v_exp_f32_e32 v85, v85
	v_cndmask_b32_e64 v80, 0, v75, s3
	v_fma_f32 v75, s18, v126, -v71
	v_cndmask_b32_e64 v81, 0, v72, s6
	v_add_f32_e32 v73, v73, v77
	v_cndmask_b32_e64 v84, 0, v83, s7
	v_cndmask_b32_e64 v86, 0, v76, s9
	v_mul_f32_e32 v75, 0x3fb8aa3b, v75
	s_delay_alu instid0(VALU_DEP_4) | instskip(NEXT) | instid1(TRANS32_DEP_1)
	v_add_f32_e32 v73, v73, v80
	v_cndmask_b32_e64 v85, 0, v85, s10
	s_delay_alu instid0(VALU_DEP_3) | instskip(NEXT) | instid1(VALU_DEP_2)
	v_exp_f32_e32 v75, v75
	v_add_f32_e32 v73, v73, v79
	s_delay_alu instid0(VALU_DEP_1) | instskip(SKIP_3) | instid1(VALU_DEP_1)
	v_add_f32_e32 v72, v73, v82
	s_waitcnt_depctr 0xfff
	v_cndmask_b32_e64 v83, 0, v75, s8
	v_add_f32_e32 v72, v72, v81
	v_add_f32_e32 v72, v72, v84
	s_delay_alu instid0(VALU_DEP_1) | instskip(NEXT) | instid1(VALU_DEP_1)
	v_add_f32_e32 v72, v72, v83
	v_add_f32_e32 v72, v72, v86
	s_delay_alu instid0(VALU_DEP_1) | instskip(SKIP_4) | instid1(VALU_DEP_4)
	v_add_f32_e32 v72, v72, v85
	v_fma_f32 v73, s18, v97, -v71
	v_fma_f32 v75, s18, v99, -v71
	;; [unrolled: 1-line block ×4, first 2 shown]
	v_mul_f32_e32 v73, 0x3fb8aa3b, v73
	s_delay_alu instid0(VALU_DEP_3) | instskip(NEXT) | instid1(VALU_DEP_2)
	v_dual_mul_f32 v75, 0x3fb8aa3b, v75 :: v_dual_mul_f32 v76, 0x3fb8aa3b, v76
	v_exp_f32_e32 v73, v73
	s_delay_alu instid0(VALU_DEP_1) | instskip(NEXT) | instid1(VALU_DEP_1)
	v_exp_f32_e32 v75, v75
	v_exp_f32_e32 v76, v76
	s_delay_alu instid0(TRANS32_DEP_3)
	v_cndmask_b32_e64 v88, 0, v73, s11
	v_mul_f32_e32 v73, 0x3fb8aa3b, v89
	v_fma_f32 v89, s18, v102, -v71
	s_waitcnt_depctr 0xfff
	v_cndmask_b32_e64 v90, 0, v75, s13
	v_add_f32_e32 v72, v72, v88
	v_exp_f32_e32 v73, v73
	v_mul_f32_e32 v75, 0x3fb8aa3b, v89
	v_cndmask_b32_e64 v89, 0, v76, s15
	s_delay_alu instid0(VALU_DEP_3) | instskip(NEXT) | instid1(VALU_DEP_3)
	v_add_f32_e32 v72, v72, v87
	v_exp_f32_e32 v75, v75
	s_delay_alu instid0(VALU_DEP_1) | instskip(SKIP_4) | instid1(VALU_DEP_2)
	v_add_f32_e32 v72, v72, v90
	s_waitcnt_depctr 0xfff
	v_cndmask_b32_e64 v92, 0, v73, s16
	v_add_f32_e32 v72, v72, v89
	v_cndmask_b32_e64 v91, 0, v75, s17
	v_add_f32_e32 v72, v72, v92
	s_delay_alu instid0(VALU_DEP_1)
	v_add_f32_e32 v72, v72, v91
	ds_bpermute_b32 v73, v74, v72
	v_cmpx_gt_u32_e32 16, v70
	s_cbranch_execz .LBB1253_12
; %bb.11:
	v_mul_u32_u24_e32 v70, 0x44, v68
	s_waitcnt lgkmcnt(0)
	v_add_f32_e32 v72, v72, v73
	s_delay_alu instid0(VALU_DEP_2) | instskip(NEXT) | instid1(VALU_DEP_1)
	v_lshl_add_u32 v70, v69, 2, v70
	v_add_nc_u32_e32 v70, 0x4000, v70
	ds_store_2addr_b32 v70, v71, v72 offset1:136
.LBB1253_12:
	s_or_b32 exec_lo, exec_lo, s2
	v_lshlrev_b32_e32 v70, 2, v69
	s_load_b32 s34, s[0:1], 0x94
	s_waitcnt lgkmcnt(0)
	s_barrier
	buffer_gl0_inv
	v_add_nc_u32_e32 v74, 0x4000, v70
	v_cmp_eq_u32_e32 vcc_lo, 1, v68
	v_cmp_eq_u32_e64 s2, 2, v68
	v_cmp_eq_u32_e64 s3, 3, v68
	;; [unrolled: 1-line block ×3, first 2 shown]
	ds_load_2addr_b32 v[70:71], v74 offset1:17
	ds_load_2addr_b32 v[72:73], v74 offset0:34 offset1:51
	ds_load_2addr_b32 v[93:94], v74 offset0:68 offset1:85
	;; [unrolled: 1-line block ×3, first 2 shown]
	v_cmp_eq_u32_e64 s5, 5, v68
	v_cmp_eq_u32_e64 s6, 7, v68
	s_waitcnt lgkmcnt(3)
	v_max3_f32 v75, v70, 0xff7fffff, v71
	s_waitcnt lgkmcnt(2)
	s_delay_alu instid0(VALU_DEP_1) | instskip(SKIP_1) | instid1(VALU_DEP_1)
	v_max3_f32 v75, v75, v72, v73
	s_waitcnt lgkmcnt(1)
	v_max3_f32 v75, v75, v93, v94
	s_waitcnt lgkmcnt(0)
	s_delay_alu instid0(VALU_DEP_1) | instskip(NEXT) | instid1(VALU_DEP_1)
	v_max3_f32 v75, v75, v95, v96
	v_sub_f32_e32 v93, v93, v75
	ds_load_2addr_b32 v[97:98], v74 offset0:136 offset1:153
	v_sub_f32_e32 v70, v70, v75
	v_dual_sub_f32 v100, v73, v75 :: v_dual_mul_f32 v103, 0x3fb8aa3b, v93
	s_delay_alu instid0(VALU_DEP_2) | instskip(SKIP_3) | instid1(VALU_DEP_1)
	v_dual_sub_f32 v76, v71, v75 :: v_dual_mul_f32 v99, 0x3fb8aa3b, v70
	ds_load_2addr_b32 v[70:71], v74 offset0:170 offset1:187
	v_mul_f32_e32 v76, 0x3fb8aa3b, v76
	v_exp_f32_e32 v99, v99
	v_exp_f32_e32 v102, v76
	v_mul_f32_e32 v100, 0x3fb8aa3b, v100
	s_waitcnt lgkmcnt(1)
	s_waitcnt_depctr 0xfff
	v_fma_f32 v76, v99, v97, 0
	v_sub_f32_e32 v97, v94, v75
	v_sub_f32_e32 v72, v72, v75
	v_exp_f32_e32 v100, v100
	ds_load_2addr_b32 v[93:94], v74 offset0:238 offset1:255
	v_dual_fmac_f32 v76, v102, v98 :: v_dual_mul_f32 v101, 0x3fb8aa3b, v72
	ds_load_2addr_b32 v[72:73], v74 offset0:204 offset1:221
	v_dual_sub_f32 v74, v95, v75 :: v_dual_mul_f32 v95, 0x3fb8aa3b, v97
	v_exp_f32_e32 v97, v103
	v_exp_f32_e32 v101, v101
	s_waitcnt lgkmcnt(0)
	s_barrier
	v_exp_f32_e32 v95, v95
	buffer_gl0_inv
	v_fmac_f32_e32 v76, v101, v70
	v_sub_f32_e32 v70, v96, v75
	s_delay_alu instid0(VALU_DEP_2) | instskip(NEXT) | instid1(VALU_DEP_2)
	v_fmac_f32_e32 v76, v100, v71
	v_mul_f32_e32 v70, 0x3fb8aa3b, v70
	s_delay_alu instid0(VALU_DEP_2)
	v_dual_cndmask_b32 v71, v99, v102 :: v_dual_fmac_f32 v76, v97, v72
	v_lshlrev_b32_e32 v72, 6, v69
	v_lshlrev_b32_e32 v69, 2, v66
	v_mul_f32_e32 v74, 0x3fb8aa3b, v74
	v_exp_f32_e32 v98, v70
	v_fmac_f32_e32 v76, v95, v73
	s_delay_alu instid0(VALU_DEP_3) | instskip(NEXT) | instid1(VALU_DEP_3)
	v_cmp_eq_u32_e64 s7, 7, v69
	v_exp_f32_e32 v96, v74
	v_lshl_or_b32 v74, v68, 11, v72
	s_waitcnt_depctr 0xfff
	v_fmac_f32_e32 v76, v96, v93
	s_delay_alu instid0(VALU_DEP_1) | instskip(NEXT) | instid1(VALU_DEP_1)
	v_fmac_f32_e32 v76, v98, v94
	v_add_f32_e32 v73, 0x358637bd, v76
	s_delay_alu instid0(VALU_DEP_1) | instskip(SKIP_1) | instid1(VALU_DEP_2)
	v_div_scale_f32 v93, null, v73, v73, 1.0
	v_div_scale_f32 v99, vcc_lo, 1.0, v73, 1.0
	v_rcp_f32_e32 v94, v93
	s_waitcnt_depctr 0xfff
	v_fma_f32 v70, -v93, v94, 1.0
	s_delay_alu instid0(VALU_DEP_1)
	v_fmac_f32_e32 v94, v70, v94
	v_cndmask_b32_e64 v70, v71, v101, s2
	v_cmp_eq_u32_e64 s2, 6, v68
	v_or_b32_e32 v71, 1, v69
	v_or_b32_e32 v68, 2, v69
	v_mul_f32_e32 v101, v99, v94
	v_cndmask_b32_e64 v70, v70, v100, s3
	v_cmp_eq_u32_e64 s3, 1, v69
	v_cmp_eq_u32_e64 s8, 1, v71
	;; [unrolled: 1-line block ×3, first 2 shown]
	v_fma_f32 v100, -v93, v101, v99
	v_cndmask_b32_e64 v70, v70, v97, s4
	v_cmp_eq_u32_e64 s4, 2, v69
	v_cmp_eq_u32_e64 s11, 2, v71
	;; [unrolled: 1-line block ×3, first 2 shown]
	v_fmac_f32_e32 v101, v100, v94
	v_cndmask_b32_e64 v95, v70, v95, s5
	v_or_b32_e32 v70, 3, v69
	v_cmp_eq_u32_e64 s12, 3, v71
	v_cmp_eq_u32_e64 s16, 3, v68
	v_fma_f32 v93, -v93, v101, v99
	v_cndmask_b32_e64 v95, v95, v96, s2
	v_cmp_eq_u32_e64 s10, 1, v70
	v_cmp_eq_u32_e64 s15, 2, v70
	;; [unrolled: 1-line block ×3, first 2 shown]
	v_div_fmas_f32 v93, v93, v94, v101
	v_cndmask_b32_e64 v94, v95, v98, s6
	v_cmp_eq_u32_e32 vcc_lo, 3, v69
	v_cmp_eq_u32_e64 s2, 4, v69
	v_cmp_eq_u32_e64 s18, 4, v71
	v_div_fixup_f32 v93, v93, v73, 1.0
	v_lshl_or_b32 v73, v66, 4, v74
	v_cmp_eq_u32_e64 s21, 4, v70
	v_cmp_eq_u32_e64 s5, 5, v69
	;; [unrolled: 1-line block ×3, first 2 shown]
	v_mul_f32_e32 v101, v94, v93
	v_cmp_eq_u32_e64 s20, 4, v68
	v_cmp_eq_u32_e64 s23, 5, v70
	v_cmp_eq_u32_e64 s22, 5, v68
	v_cmp_eq_u32_e64 s24, 6, v71
	v_fma_mixlo_f16 v93, v101, v78, 0
	v_fma_mixlo_f16 v94, v101, v80, 0
	;; [unrolled: 1-line block ×8, first 2 shown]
	v_fma_mixhi_f16 v93, v101, v77, 0
	v_fma_mixhi_f16 v94, v101, v79, 0
	;; [unrolled: 1-line block ×8, first 2 shown]
	ds_store_b128 v73, v[93:96]
	ds_store_b128 v73, v[97:100] offset:1024
	s_waitcnt lgkmcnt(0)
	s_barrier
	buffer_gl0_inv
	ds_load_b128 v[77:80], v74
	ds_load_b128 v[81:84], v74 offset:16
	ds_load_b128 v[85:88], v74 offset:1024
	;; [unrolled: 1-line block ×3, first 2 shown]
	v_cmp_eq_u32_e64 s26, 6, v70
	v_cmp_eq_u32_e64 s6, 6, v69
	;; [unrolled: 1-line block ×6, first 2 shown]
	s_waitcnt lgkmcnt(3)
	v_lshrrev_b32_e32 v93, 16, v77
	s_waitcnt lgkmcnt(2)
	v_lshrrev_b32_e32 v97, 16, v81
	;; [unrolled: 2-line block ×4, first 2 shown]
	v_lshrrev_b32_e32 v94, 16, v78
	v_cndmask_b32_e64 v109, v77, v93, s3
	v_cndmask_b32_e64 v110, v81, v97, s3
	;; [unrolled: 1-line block ×8, first 2 shown]
	v_lshrrev_b32_e32 v98, 16, v82
	v_cndmask_b32_e64 v93, v85, v101, s3
	v_cndmask_b32_e64 v97, v89, v105, s3
	;; [unrolled: 1-line block ×15, first 2 shown]
	v_lshrrev_b32_e32 v102, 16, v86
	v_lshrrev_b32_e32 v106, 16, v90
	v_cndmask_b32_e64 v112, v114, v82, s13
	v_cndmask_b32_e64 v81, v93, v86, s4
	;; [unrolled: 1-line block ×7, first 2 shown]
	v_cndmask_b32_e32 v89, v101, v94, vcc_lo
	v_cndmask_b32_e32 v101, v105, v98, vcc_lo
	v_cndmask_b32_e64 v105, v109, v94, s12
	v_cndmask_b32_e64 v109, v110, v98, s12
	;; [unrolled: 1-line block ×4, first 2 shown]
	v_lshrrev_b32_e32 v95, 16, v79
	v_lshrrev_b32_e32 v99, 16, v83
	v_cndmask_b32_e64 v110, v111, v94, s16
	v_cndmask_b32_e64 v111, v112, v98, s16
	v_cndmask_b32_e32 v81, v81, v102, vcc_lo
	v_cndmask_b32_e32 v82, v82, v106, vcc_lo
	v_cndmask_b32_e64 v93, v93, v102, s12
	v_cndmask_b32_e64 v89, v89, v79, s2
	;; [unrolled: 1-line block ×7, first 2 shown]
	v_lshrrev_b32_e32 v103, 16, v87
	v_cndmask_b32_e64 v105, v110, v79, s20
	v_cndmask_b32_e64 v109, v111, v83, s20
	;; [unrolled: 1-line block ×11, first 2 shown]
	v_lshrrev_b32_e32 v96, 16, v80
	v_lshrrev_b32_e32 v100, 16, v84
	v_cndmask_b32_e64 v98, v105, v95, s22
	v_cndmask_b32_e64 v101, v109, v99, s22
	;; [unrolled: 1-line block ×7, first 2 shown]
	v_lshrrev_b32_e32 v104, 16, v88
	v_cndmask_b32_e64 v79, v79, v103, s5
	v_cndmask_b32_e64 v83, v83, v80, s6
	;; [unrolled: 1-line block ×16, first 2 shown]
	v_perm_b32 v80, v78, v77, 0x5040100
	v_perm_b32 v78, v94, v84, 0x5040100
	v_cndmask_b32_e64 v77, v118, v90, s13
	v_cndmask_b32_e64 v84, v116, v90, s11
	;; [unrolled: 1-line block ×3, first 2 shown]
	v_perm_b32 v79, v93, v89, 0x5040100
	v_cndmask_b32_e64 v89, v97, v102, s16
	v_cndmask_b32_e64 v85, v85, v102, s17
	;; [unrolled: 1-line block ×5, first 2 shown]
	v_lshrrev_b32_e32 v107, 16, v91
	v_cndmask_b32_e64 v89, v89, v87, s20
	v_cndmask_b32_e64 v85, v85, v87, s21
	;; [unrolled: 1-line block ×11, first 2 shown]
	v_lshrrev_b32_e32 v108, 16, v92
	v_cndmask_b32_e64 v81, v81, v92, s6
	v_cndmask_b32_e64 v87, v87, v88, s25
	;; [unrolled: 1-line block ×12, first 2 shown]
	v_perm_b32 v77, v83, v82, 0x5040100
	v_perm_b32 v84, v86, v85, 0x5040100
	;; [unrolled: 1-line block ×5, first 2 shown]
	s_lshl_b32 s7, s33, 3
	s_mov_b32 s2, exec_lo
	ds_store_b128 v73, v[77:80]
	ds_store_b128 v73, v[81:84] offset:1024
	v_cmpx_gt_u32_e32 8, v0
	s_cbranch_execz .LBB1253_14
; %bb.13:
	v_or_b32_e32 v77, s31, v0
	s_load_b128 s[8:11], s[0:1], 0x58
	s_delay_alu instid0(VALU_DEP_1) | instskip(NEXT) | instid1(VALU_DEP_1)
	v_mad_u64_u32 v[78:79], null, s7, s30, v[77:78]
	v_mad_u64_u32 v[79:80], null, v78, s34, s[14:15]
	s_delay_alu instid0(VALU_DEP_1) | instskip(NEXT) | instid1(VALU_DEP_1)
	v_ashrrev_i32_e32 v80, 31, v79
	v_lshlrev_b64 v[77:78], 2, v[79:80]
	s_waitcnt lgkmcnt(0)
	s_delay_alu instid0(VALU_DEP_1) | instskip(NEXT) | instid1(VALU_DEP_2)
	v_add_co_u32 v79, vcc_lo, s10, v77
	v_add_co_ci_u32_e32 v80, vcc_lo, s11, v78, vcc_lo
	v_add_co_u32 v77, vcc_lo, s8, v77
	v_add_co_ci_u32_e32 v78, vcc_lo, s9, v78, vcc_lo
	global_store_b32 v[79:80], v75, off
	global_store_b32 v[77:78], v76, off
.LBB1253_14:
	s_or_b32 exec_lo, exec_lo, s2
	s_waitcnt lgkmcnt(0)
	s_waitcnt_vscnt null, 0x0
	s_barrier
	buffer_gl0_inv
	ds_load_b128 v[83:86], v72
	ds_load_b128 v[87:90], v72 offset:16
	ds_load_b128 v[95:98], v72 offset:2064
	;; [unrolled: 1-line block ×5, first 2 shown]
	v_cmp_eq_u32_e32 vcc_lo, 1, v69
	v_mov_b32_e32 v75, 0
	ds_load_b128 v[111:114], v72 offset:6160
	ds_load_b128 v[107:110], v72 offset:6144
	;; [unrolled: 1-line block ×4, first 2 shown]
	v_cmp_eq_u32_e64 s3, 1, v68
	v_cmp_eq_u32_e64 s2, 1, v71
	;; [unrolled: 1-line block ×3, first 2 shown]
	v_mov_b32_e32 v76, v75
	v_mov_b32_e32 v77, v75
	v_mov_b32_e32 v78, v75
	v_mov_b32_e32 v79, v75
	v_mov_b32_e32 v80, v75
	v_mov_b32_e32 v81, v75
	v_mov_b32_e32 v82, v75
	v_cmp_eq_u32_e64 s5, 3, v71
	v_cmp_eq_u32_e64 s6, 7, v71
	s_waitcnt lgkmcnt(8)
	s_delay_alu instid0(VALU_DEP_3)
	v_wmma_f32_16x16x16_f16 v[75:82], v[49:56], v[83:90], v[75:82]
	ds_load_b128 v[53:56], v72 offset:10256
	ds_load_b128 v[49:52], v72 offset:10240
	s_waitcnt lgkmcnt(8)
	v_wmma_f32_16x16x16_f16 v[75:82], v[41:48], v[91:98], v[75:82]
	ds_load_b128 v[45:48], v72 offset:12304
	ds_load_b128 v[41:44], v72 offset:12288
	s_waitcnt lgkmcnt(8)
	;; [unrolled: 4-line block ×3, first 2 shown]
	s_barrier
	buffer_gl0_inv
	v_wmma_f32_16x16x16_f16 v[75:82], v[1:8], v[107:114], v[75:82]
	s_delay_alu instid0(VALU_DEP_1) | instskip(NEXT) | instid1(VALU_DEP_1)
	v_wmma_f32_16x16x16_f16 v[75:82], v[9:16], v[115:122], v[75:82]
	v_wmma_f32_16x16x16_f16 v[75:82], v[17:24], v[49:56], v[75:82]
	s_delay_alu instid0(VALU_DEP_1) | instskip(NEXT) | instid1(VALU_DEP_1)
	v_wmma_f32_16x16x16_f16 v[75:82], v[25:32], v[41:48], v[75:82]
	v_wmma_f32_16x16x16_f16 v[75:82], v[57:64], v[33:40], v[75:82]
	s_delay_alu instid0(VALU_DEP_1) | instskip(NEXT) | instid1(VALU_DEP_2)
	v_cvt_f16_f32_e32 v1, v75
	v_cvt_f16_f32_e32 v2, v76
	s_delay_alu instid0(VALU_DEP_3) | instskip(NEXT) | instid1(VALU_DEP_4)
	v_cvt_f16_f32_e32 v3, v77
	v_cvt_f16_f32_e32 v4, v78
	;; [unrolled: 1-line block ×6, first 2 shown]
	v_pack_b32_f16 v1, v1, v2
	v_pack_b32_f16 v2, v3, v4
	;; [unrolled: 1-line block ×3, first 2 shown]
	s_delay_alu instid0(VALU_DEP_4)
	v_pack_b32_f16 v4, v7, v8
	ds_store_b128 v73, v[1:4]
	s_waitcnt lgkmcnt(0)
	s_barrier
	buffer_gl0_inv
	ds_load_b128 v[1:4], v74
	ds_load_b128 v[5:8], v74 offset:16
	s_waitcnt lgkmcnt(1)
	v_lshrrev_b32_e32 v9, 16, v1
	s_waitcnt lgkmcnt(0)
	v_lshrrev_b32_e32 v13, 16, v5
	v_lshrrev_b32_e32 v10, 16, v2
	;; [unrolled: 1-line block ×4, first 2 shown]
	v_cndmask_b32_e32 v17, v1, v9, vcc_lo
	v_cndmask_b32_e32 v18, v5, v13, vcc_lo
	v_cndmask_b32_e64 v21, v1, v9, s3
	v_cmp_eq_u32_e32 vcc_lo, 1, v70
	v_cndmask_b32_e64 v22, v5, v13, s3
	v_cmp_eq_u32_e64 s3, 2, v69
	v_cndmask_b32_e64 v19, v1, v9, s2
	v_cndmask_b32_e64 v20, v5, v13, s2
	v_cndmask_b32_e32 v1, v1, v9, vcc_lo
	v_cmp_eq_u32_e64 s2, 2, v70
	v_cndmask_b32_e32 v5, v5, v13, vcc_lo
	v_cndmask_b32_e64 v9, v17, v2, s3
	v_cmp_eq_u32_e32 vcc_lo, 3, v69
	v_cndmask_b32_e64 v13, v18, v6, s3
	v_cmp_eq_u32_e64 s3, 2, v68
	v_cndmask_b32_e64 v17, v19, v2, s4
	v_cndmask_b32_e64 v18, v20, v6, s4
	v_cmp_eq_u32_e64 s4, 3, v68
	v_cndmask_b32_e64 v1, v1, v2, s2
	v_cndmask_b32_e64 v19, v21, v2, s3
	;; [unrolled: 1-line block ×4, first 2 shown]
	v_cndmask_b32_e32 v5, v9, v10, vcc_lo
	v_cndmask_b32_e32 v6, v13, v14, vcc_lo
	v_cmp_eq_u32_e32 vcc_lo, 3, v70
	v_cndmask_b32_e64 v9, v17, v10, s5
	v_cndmask_b32_e64 v13, v18, v14, s5
	;; [unrolled: 1-line block ×3, first 2 shown]
	v_cmp_eq_u32_e64 s3, 4, v69
	v_cndmask_b32_e32 v1, v1, v10, vcc_lo
	v_cndmask_b32_e32 v2, v2, v14, vcc_lo
	v_cmp_eq_u32_e32 vcc_lo, 4, v71
	v_lshrrev_b32_e32 v15, 16, v7
	v_lshrrev_b32_e32 v16, 16, v8
	v_cndmask_b32_e64 v17, v19, v10, s4
	v_cmp_eq_u32_e64 s2, 4, v70
	v_cndmask_b32_e64 v5, v5, v3, s3
	v_cndmask_b32_e64 v6, v6, v7, s3
	v_cndmask_b32_e32 v9, v9, v3, vcc_lo
	v_cmp_eq_u32_e64 s3, 5, v71
	v_cndmask_b32_e32 v10, v13, v7, vcc_lo
	v_cmp_eq_u32_e32 vcc_lo, 4, v68
	v_cmp_eq_u32_e64 s4, 5, v69
	v_cndmask_b32_e64 v2, v2, v7, s2
	v_cndmask_b32_e64 v9, v9, v11, s3
	;; [unrolled: 1-line block ×3, first 2 shown]
	v_cndmask_b32_e32 v13, v17, v3, vcc_lo
	v_cmp_eq_u32_e64 s3, 5, v68
	v_cndmask_b32_e32 v14, v18, v7, vcc_lo
	v_cndmask_b32_e64 v1, v1, v3, s2
	v_cmp_eq_u32_e32 vcc_lo, 5, v70
	v_lshrrev_b32_e32 v12, 16, v4
	v_cndmask_b32_e64 v13, v13, v11, s3
	v_cndmask_b32_e64 v3, v14, v15, s3
	v_cmp_eq_u32_e64 s3, 6, v70
	v_cndmask_b32_e32 v1, v1, v11, vcc_lo
	v_cndmask_b32_e64 v5, v5, v11, s4
	v_cmp_eq_u32_e64 s5, 6, v69
	v_cndmask_b32_e64 v6, v6, v15, s4
	v_cmp_eq_u32_e64 s4, 6, v71
	v_cmp_eq_u32_e64 s2, 6, v68
	v_cndmask_b32_e64 v1, v1, v4, s3
	v_cndmask_b32_e32 v2, v2, v15, vcc_lo
	v_cmp_eq_u32_e32 vcc_lo, 7, v70
	v_cndmask_b32_e64 v5, v5, v4, s5
	v_cndmask_b32_e64 v9, v9, v4, s4
	;; [unrolled: 1-line block ×3, first 2 shown]
	v_cmp_eq_u32_e64 s5, 7, v69
	v_cndmask_b32_e32 v1, v1, v12, vcc_lo
	v_cndmask_b32_e64 v7, v13, v4, s2
	v_cndmask_b32_e64 v3, v3, v8, s2
	;; [unrolled: 1-line block ×3, first 2 shown]
	v_cmp_eq_u32_e64 s2, 7, v68
	v_cndmask_b32_e64 v4, v10, v8, s4
	v_cndmask_b32_e64 v5, v5, v12, s5
	;; [unrolled: 1-line block ×3, first 2 shown]
	v_cndmask_b32_e32 v2, v2, v16, vcc_lo
	v_cndmask_b32_e64 v7, v7, v12, s2
	v_cndmask_b32_e64 v3, v3, v16, s2
	;; [unrolled: 1-line block ×4, first 2 shown]
	v_perm_b32 v4, v2, v1, 0x5040100
	s_mov_b32 s2, exec_lo
	v_perm_b32 v3, v3, v7, 0x5040100
	v_perm_b32 v2, v8, v9, 0x5040100
	;; [unrolled: 1-line block ×3, first 2 shown]
	ds_store_b128 v73, v[1:4]
	s_waitcnt lgkmcnt(0)
	s_barrier
	buffer_gl0_inv
	v_cmpx_gt_u32_e32 32, v0
	s_cbranch_execz .LBB1253_2
; %bb.15:
	s_load_b64 s[0:1], s[0:1], 0x68
	s_lshl_b32 s4, s34, 7
	v_or_b32_e32 v2, s31, v66
	s_mul_i32 s2, s4, s30
	v_lshlrev_b32_e32 v1, 10, v0
	s_mul_i32 s2, s2, s7
	v_lshlrev_b32_e32 v3, 4, v67
	v_mul_lo_u32 v0, v2, s4
	s_ashr_i32 s3, s2, 31
	v_lshlrev_b32_e32 v4, 6, v66
	v_and_b32_e32 v1, 0x3800, v1
	v_or_b32_e32 v5, 2, v2
	s_lshl_b64 s[2:3], s[2:3], 1
	v_or_b32_e32 v6, 4, v2
	v_or_b32_e32 v7, 6, v2
	v_or3_b32 v12, v1, v3, v4
	v_ashrrev_i32_e32 v1, 31, v0
	v_mul_lo_u32 v2, v5, s4
	v_mul_lo_u32 v16, v6, s4
	;; [unrolled: 1-line block ×3, first 2 shown]
	s_waitcnt lgkmcnt(0)
	s_add_u32 s2, s0, s2
	s_addc_u32 s3, s1, s3
	s_lshl_b32 s0, s14, 7
	v_lshlrev_b64 v[0:1], 1, v[0:1]
	s_ashr_i32 s1, s0, 31
	v_ashrrev_i32_e32 v3, 31, v2
	s_lshl_b64 s[0:1], s[0:1], 1
	v_ashrrev_i32_e32 v17, 31, v16
	s_add_u32 s0, s2, s0
	s_addc_u32 s1, s3, s1
	v_add_co_u32 v24, s0, s0, v65
	s_delay_alu instid0(VALU_DEP_1) | instskip(SKIP_1) | instid1(VALU_DEP_3)
	v_add_co_ci_u32_e64 v25, null, s1, 0, s0
	v_lshlrev_b64 v[22:23], 1, v[2:3]
	v_add_co_u32 v18, vcc_lo, v24, v0
	s_delay_alu instid0(VALU_DEP_3)
	v_add_co_ci_u32_e32 v19, vcc_lo, v25, v1, vcc_lo
	ds_load_b128 v[0:3], v12
	ds_load_b128 v[4:7], v12 offset:128
	ds_load_b128 v[8:11], v12 offset:256
	;; [unrolled: 1-line block ×3, first 2 shown]
	v_ashrrev_i32_e32 v21, 31, v20
	v_lshlrev_b64 v[16:17], 1, v[16:17]
	v_add_co_u32 v22, vcc_lo, v24, v22
	v_add_co_ci_u32_e32 v23, vcc_lo, v25, v23, vcc_lo
	s_delay_alu instid0(VALU_DEP_4) | instskip(NEXT) | instid1(VALU_DEP_4)
	v_lshlrev_b64 v[20:21], 1, v[20:21]
	v_add_co_u32 v16, vcc_lo, v24, v16
	v_add_co_ci_u32_e32 v17, vcc_lo, v25, v17, vcc_lo
	s_delay_alu instid0(VALU_DEP_3) | instskip(NEXT) | instid1(VALU_DEP_4)
	v_add_co_u32 v20, vcc_lo, v24, v20
	v_add_co_ci_u32_e32 v21, vcc_lo, v25, v21, vcc_lo
	s_waitcnt lgkmcnt(3)
	global_store_b128 v[18:19], v[0:3], off
	s_waitcnt lgkmcnt(2)
	global_store_b128 v[22:23], v[4:7], off
	;; [unrolled: 2-line block ×4, first 2 shown]
	s_nop 0
	s_sendmsg sendmsg(MSG_DEALLOC_VGPRS)
	s_endpgm
	.section	.rodata,"a",@progbits
	.p2align	6, 0x0
	.amdhsa_kernel _Z39paged_attention_ll4mi_QKV_mfma16_kernelIDF16_hLN4vllm18Fp8KVCacheDataTypeE1EDF16_Li16ELi128ELi256ELb1ELi8EL8MFMAType0EEvPKT_PKT0_S8_ifPKiSA_SA_iPKfiiiPfSD_PS3_PT2_iSC_SC_
		.amdhsa_group_segment_fixed_size 17472
		.amdhsa_private_segment_fixed_size 0
		.amdhsa_kernarg_size 400
		.amdhsa_user_sgpr_count 13
		.amdhsa_user_sgpr_dispatch_ptr 0
		.amdhsa_user_sgpr_queue_ptr 0
		.amdhsa_user_sgpr_kernarg_segment_ptr 1
		.amdhsa_user_sgpr_dispatch_id 0
		.amdhsa_user_sgpr_private_segment_size 0
		.amdhsa_wavefront_size32 1
		.amdhsa_uses_dynamic_stack 0
		.amdhsa_enable_private_segment 0
		.amdhsa_system_sgpr_workgroup_id_x 1
		.amdhsa_system_sgpr_workgroup_id_y 1
		.amdhsa_system_sgpr_workgroup_id_z 1
		.amdhsa_system_sgpr_workgroup_info 0
		.amdhsa_system_vgpr_workitem_id 0
		.amdhsa_next_free_vgpr 140
		.amdhsa_next_free_sgpr 36
		.amdhsa_reserve_vcc 1
		.amdhsa_float_round_mode_32 0
		.amdhsa_float_round_mode_16_64 0
		.amdhsa_float_denorm_mode_32 3
		.amdhsa_float_denorm_mode_16_64 3
		.amdhsa_dx10_clamp 1
		.amdhsa_ieee_mode 1
		.amdhsa_fp16_overflow 0
		.amdhsa_workgroup_processor_mode 1
		.amdhsa_memory_ordered 1
		.amdhsa_forward_progress 0
		.amdhsa_shared_vgpr_count 0
		.amdhsa_exception_fp_ieee_invalid_op 0
		.amdhsa_exception_fp_denorm_src 0
		.amdhsa_exception_fp_ieee_div_zero 0
		.amdhsa_exception_fp_ieee_overflow 0
		.amdhsa_exception_fp_ieee_underflow 0
		.amdhsa_exception_fp_ieee_inexact 0
		.amdhsa_exception_int_div_zero 0
	.end_amdhsa_kernel
	.section	.text._Z39paged_attention_ll4mi_QKV_mfma16_kernelIDF16_hLN4vllm18Fp8KVCacheDataTypeE1EDF16_Li16ELi128ELi256ELb1ELi8EL8MFMAType0EEvPKT_PKT0_S8_ifPKiSA_SA_iPKfiiiPfSD_PS3_PT2_iSC_SC_,"axG",@progbits,_Z39paged_attention_ll4mi_QKV_mfma16_kernelIDF16_hLN4vllm18Fp8KVCacheDataTypeE1EDF16_Li16ELi128ELi256ELb1ELi8EL8MFMAType0EEvPKT_PKT0_S8_ifPKiSA_SA_iPKfiiiPfSD_PS3_PT2_iSC_SC_,comdat
.Lfunc_end1253:
	.size	_Z39paged_attention_ll4mi_QKV_mfma16_kernelIDF16_hLN4vllm18Fp8KVCacheDataTypeE1EDF16_Li16ELi128ELi256ELb1ELi8EL8MFMAType0EEvPKT_PKT0_S8_ifPKiSA_SA_iPKfiiiPfSD_PS3_PT2_iSC_SC_, .Lfunc_end1253-_Z39paged_attention_ll4mi_QKV_mfma16_kernelIDF16_hLN4vllm18Fp8KVCacheDataTypeE1EDF16_Li16ELi128ELi256ELb1ELi8EL8MFMAType0EEvPKT_PKT0_S8_ifPKiSA_SA_iPKfiiiPfSD_PS3_PT2_iSC_SC_
                                        ; -- End function
	.section	.AMDGPU.csdata,"",@progbits
; Kernel info:
; codeLenInByte = 6620
; NumSgprs: 38
; NumVgprs: 140
; ScratchSize: 0
; MemoryBound: 0
; FloatMode: 240
; IeeeMode: 1
; LDSByteSize: 17472 bytes/workgroup (compile time only)
; SGPRBlocks: 4
; VGPRBlocks: 17
; NumSGPRsForWavesPerEU: 38
; NumVGPRsForWavesPerEU: 140
; Occupancy: 10
; WaveLimiterHint : 1
; COMPUTE_PGM_RSRC2:SCRATCH_EN: 0
; COMPUTE_PGM_RSRC2:USER_SGPR: 13
; COMPUTE_PGM_RSRC2:TRAP_HANDLER: 0
; COMPUTE_PGM_RSRC2:TGID_X_EN: 1
; COMPUTE_PGM_RSRC2:TGID_Y_EN: 1
; COMPUTE_PGM_RSRC2:TGID_Z_EN: 1
; COMPUTE_PGM_RSRC2:TIDIG_COMP_CNT: 0
	.section	.text._Z39paged_attention_ll4mi_QKV_mfma16_kernelIDF16_hLN4vllm18Fp8KVCacheDataTypeE1EDF16_Li16ELi128ELi256ELb1ELi9EL8MFMAType0EEvPKT_PKT0_S8_ifPKiSA_SA_iPKfiiiPfSD_PS3_PT2_iSC_SC_,"axG",@progbits,_Z39paged_attention_ll4mi_QKV_mfma16_kernelIDF16_hLN4vllm18Fp8KVCacheDataTypeE1EDF16_Li16ELi128ELi256ELb1ELi9EL8MFMAType0EEvPKT_PKT0_S8_ifPKiSA_SA_iPKfiiiPfSD_PS3_PT2_iSC_SC_,comdat
	.protected	_Z39paged_attention_ll4mi_QKV_mfma16_kernelIDF16_hLN4vllm18Fp8KVCacheDataTypeE1EDF16_Li16ELi128ELi256ELb1ELi9EL8MFMAType0EEvPKT_PKT0_S8_ifPKiSA_SA_iPKfiiiPfSD_PS3_PT2_iSC_SC_ ; -- Begin function _Z39paged_attention_ll4mi_QKV_mfma16_kernelIDF16_hLN4vllm18Fp8KVCacheDataTypeE1EDF16_Li16ELi128ELi256ELb1ELi9EL8MFMAType0EEvPKT_PKT0_S8_ifPKiSA_SA_iPKfiiiPfSD_PS3_PT2_iSC_SC_
	.globl	_Z39paged_attention_ll4mi_QKV_mfma16_kernelIDF16_hLN4vllm18Fp8KVCacheDataTypeE1EDF16_Li16ELi128ELi256ELb1ELi9EL8MFMAType0EEvPKT_PKT0_S8_ifPKiSA_SA_iPKfiiiPfSD_PS3_PT2_iSC_SC_
	.p2align	8
	.type	_Z39paged_attention_ll4mi_QKV_mfma16_kernelIDF16_hLN4vllm18Fp8KVCacheDataTypeE1EDF16_Li16ELi128ELi256ELb1ELi9EL8MFMAType0EEvPKT_PKT0_S8_ifPKiSA_SA_iPKfiiiPfSD_PS3_PT2_iSC_SC_,@function
_Z39paged_attention_ll4mi_QKV_mfma16_kernelIDF16_hLN4vllm18Fp8KVCacheDataTypeE1EDF16_Li16ELi128ELi256ELb1ELi9EL8MFMAType0EEvPKT_PKT0_S8_ifPKiSA_SA_iPKfiiiPfSD_PS3_PT2_iSC_SC_: ; @_Z39paged_attention_ll4mi_QKV_mfma16_kernelIDF16_hLN4vllm18Fp8KVCacheDataTypeE1EDF16_Li16ELi128ELi256ELb1ELi9EL8MFMAType0EEvPKT_PKT0_S8_ifPKiSA_SA_iPKfiiiPfSD_PS3_PT2_iSC_SC_
; %bb.0:
	s_load_b64 s[4:5], s[0:1], 0x30
	s_mov_b32 s34, s13
	s_waitcnt lgkmcnt(0)
	s_cmp_lg_u64 s[4:5], 0
	s_cselect_b32 s8, -1, 0
	s_ashr_i32 s35, s13, 31
	s_cmp_eq_u64 s[4:5], 0
	s_cbranch_scc1 .LBB1254_3
; %bb.1:
	s_lshl_b64 s[2:3], s[34:35], 2
	s_delay_alu instid0(SALU_CYCLE_1) | instskip(SKIP_4) | instid1(SALU_CYCLE_1)
	s_add_u32 s2, s4, s2
	s_addc_u32 s3, s5, s3
	s_load_b64 s[2:3], s[2:3], 0x0
	s_waitcnt lgkmcnt(0)
	s_sub_i32 s2, s3, s2
	s_cmp_eq_u32 s2, 1
	s_cselect_b32 s2, -1, 0
	s_delay_alu instid0(SALU_CYCLE_1)
	s_and_not1_b32 vcc_lo, exec_lo, s2
	s_cbranch_vccz .LBB1254_4
.LBB1254_2:
	s_nop 0
	s_sendmsg sendmsg(MSG_DEALLOC_VGPRS)
	s_endpgm
.LBB1254_3:
.LBB1254_4:
	s_load_b64 s[2:3], s[0:1], 0x28
	s_lshl_b64 s[6:7], s[34:35], 2
	s_waitcnt lgkmcnt(0)
	s_add_u32 s2, s2, s6
	s_addc_u32 s3, s3, s7
	s_lshl_b32 s12, s14, 8
	s_load_b32 s24, s[2:3], 0x0
	s_waitcnt lgkmcnt(0)
	s_cmp_ge_i32 s12, s24
	s_cbranch_scc1 .LBB1254_2
; %bb.5:
	s_clause 0x1
	s_load_b128 s[20:23], s[0:1], 0x8
	s_load_b64 s[2:3], s[0:1], 0x20
	s_and_not1_b32 vcc_lo, exec_lo, s8
	s_cbranch_vccnz .LBB1254_7
; %bb.6:
	s_add_u32 s4, s4, s6
	s_addc_u32 s5, s5, s7
	s_load_b32 s5, s[4:5], 0x0
	s_branch .LBB1254_8
.LBB1254_7:
	s_mov_b32 s5, s34
.LBB1254_8:
	s_load_b128 s[16:19], s[0:1], 0x48
	v_and_b32_e32 v68, 15, v0
	v_lshrrev_b32_e32 v69, 5, v0
	v_bfe_u32 v66, v0, 4, 1
	v_and_b32_e32 v70, 31, v0
	v_and_b32_e32 v67, 1, v0
	v_lshlrev_b32_e32 v2, 3, v68
	s_mul_i32 s31, s15, 9
	v_lshl_or_b32 v1, v69, 1, v66
	s_mov_b32 s4, exec_lo
	s_delay_alu instid0(VALU_DEP_2) | instskip(NEXT) | instid1(VALU_DEP_2)
	v_lshlrev_b32_e32 v65, 1, v2
	v_cmpx_gt_u32_e32 9, v1
	s_cbranch_execz .LBB1254_10
; %bb.9:
	s_load_b64 s[6:7], s[0:1], 0x0
	v_add_lshl_u32 v2, v1, s31, 7
	s_waitcnt lgkmcnt(0)
	s_mul_hi_i32 s9, s5, s16
	s_mul_i32 s8, s5, s16
	v_lshlrev_b32_e32 v6, 10, v68
	s_lshl_b64 s[8:9], s[8:9], 1
	v_ashrrev_i32_e32 v3, 31, v2
	v_lshlrev_b32_e32 v1, 6, v1
	v_lshlrev_b32_e32 v7, 10, v67
	v_and_b32_e32 v6, 0x3800, v6
	s_delay_alu instid0(VALU_DEP_4) | instskip(NEXT) | instid1(VALU_DEP_2)
	v_lshlrev_b64 v[2:3], 1, v[2:3]
	v_or3_b32 v1, v6, v7, v1
	s_add_u32 s5, s6, s8
	s_addc_u32 s6, s7, s9
	s_delay_alu instid0(VALU_DEP_2) | instskip(NEXT) | instid1(VALU_DEP_3)
	v_add_co_u32 v2, vcc_lo, s5, v2
	v_add_co_ci_u32_e32 v3, vcc_lo, s6, v3, vcc_lo
	s_delay_alu instid0(VALU_DEP_2) | instskip(NEXT) | instid1(VALU_DEP_2)
	v_add_co_u32 v2, vcc_lo, v2, v65
	v_add_co_ci_u32_e32 v3, vcc_lo, 0, v3, vcc_lo
	global_load_b128 v[2:5], v[2:3], off
	s_waitcnt vmcnt(0)
	ds_store_b128 v1, v[2:5]
.LBB1254_10:
	s_or_b32 exec_lo, exec_lo, s4
	v_and_b32_e32 v1, 0xef, v0
	s_waitcnt lgkmcnt(0)
	s_add_i32 s5, s24, 15
	s_clause 0x1
	s_load_b32 s4, s[0:1], 0x38
	s_load_b32 s33, s[0:1], 0x98
	s_ashr_i32 s6, s5, 31
	v_add_nc_u32_e32 v1, s12, v1
	s_lshr_b32 s6, s6, 28
	s_load_b32 s19, s[0:1], 0x1c
	s_add_i32 s5, s5, s6
	s_waitcnt lgkmcnt(0)
	v_ashrrev_i32_e32 v2, 31, v1
	v_or_b32_e32 v3, 16, v1
	s_ashr_i32 s13, s5, 4
	v_cmp_gt_i32_e32 vcc_lo, s24, v1
	s_add_i32 s13, s13, -1
	v_lshrrev_b32_e32 v2, 28, v2
	s_barrier
	buffer_gl0_inv
	s_mul_i32 s15, s15, s18
	v_add_nc_u32_e32 v4, v1, v2
	s_mul_i32 s4, s34, s4
	s_delay_alu instid0(SALU_CYCLE_1) | instskip(NEXT) | instid1(VALU_DEP_1)
	s_ashr_i32 s5, s4, 31
	v_ashrrev_i32_e32 v4, 4, v4
	v_add_nc_u32_e32 v2, v3, v2
	s_lshl_b64 s[4:5], s[4:5], 2
	s_delay_alu instid0(SALU_CYCLE_1) | instskip(NEXT) | instid1(VALU_DEP_2)
	s_add_u32 s16, s2, s4
	v_cndmask_b32_e32 v1, s13, v4, vcc_lo
	s_delay_alu instid0(VALU_DEP_2)
	v_ashrrev_i32_e32 v2, 4, v2
	v_cmp_gt_i32_e32 vcc_lo, s24, v3
	s_addc_u32 s25, s3, s5
	s_ashr_i32 s18, s15, 31
	s_add_u32 s26, s20, s15
	s_addc_u32 s27, s21, s18
	v_cndmask_b32_e32 v3, s13, v2, vcc_lo
	v_ashrrev_i32_e32 v2, 31, v1
	s_lshl_b32 s2, s14, 4
	s_delay_alu instid0(SALU_CYCLE_1) | instskip(NEXT) | instid1(VALU_DEP_2)
	s_ashr_i32 s3, s2, 31
	v_ashrrev_i32_e32 v4, 31, v3
	s_delay_alu instid0(VALU_DEP_2) | instskip(SKIP_1) | instid1(SALU_CYCLE_1)
	v_lshlrev_b64 v[1:2], 2, v[1:2]
	s_lshl_b64 s[2:3], s[2:3], 2
	s_add_u32 s2, s16, s2
	s_delay_alu instid0(VALU_DEP_2) | instskip(SKIP_1) | instid1(VALU_DEP_2)
	v_lshlrev_b64 v[3:4], 2, v[3:4]
	s_addc_u32 s3, s25, s3
	v_add_co_u32 v1, vcc_lo, s16, v1
	v_add_co_ci_u32_e32 v2, vcc_lo, s25, v2, vcc_lo
	s_delay_alu instid0(VALU_DEP_3) | instskip(NEXT) | instid1(VALU_DEP_4)
	v_add_co_u32 v3, vcc_lo, s16, v3
	v_add_co_ci_u32_e32 v4, vcc_lo, s25, v4, vcc_lo
	s_clause 0x1
	global_load_b32 v5, v[1:2], off
	global_load_b32 v7, v[3:4], off
	s_or_b32 s4, s12, 32
	v_lshlrev_b32_e32 v1, 4, v0
	s_ashr_i32 s5, s4, 4
	s_cmp_lt_i32 s4, s24
	v_cmp_gt_u32_e32 vcc_lo, 9, v68
	s_cselect_b32 s4, s5, s13
	v_and_b32_e32 v1, 0xf0, v1
	s_ashr_i32 s5, s4, 31
	s_delay_alu instid0(SALU_CYCLE_1) | instskip(NEXT) | instid1(SALU_CYCLE_1)
	s_lshl_b64 s[4:5], s[4:5], 2
	s_add_u32 s4, s16, s4
	s_addc_u32 s5, s25, s5
	s_or_b32 s6, s12, 64
	v_add_co_u32 v1, s26, s26, v1
	s_ashr_i32 s7, s6, 4
	s_cmp_lt_i32 s6, s24
	v_add_co_ci_u32_e64 v2, null, s27, 0, s26
	s_cselect_b32 s6, s7, s13
	s_delay_alu instid0(SALU_CYCLE_1) | instskip(NEXT) | instid1(SALU_CYCLE_1)
	s_ashr_i32 s7, s6, 31
	s_lshl_b64 s[6:7], s[6:7], 2
	s_delay_alu instid0(SALU_CYCLE_1) | instskip(SKIP_2) | instid1(SALU_CYCLE_1)
	s_add_u32 s6, s16, s6
	s_addc_u32 s7, s25, s7
	s_or_b32 s8, s12, 0x60
	s_ashr_i32 s9, s8, 4
	s_cmp_lt_i32 s8, s24
	s_cselect_b32 s8, s9, s13
	s_delay_alu instid0(SALU_CYCLE_1) | instskip(NEXT) | instid1(SALU_CYCLE_1)
	s_ashr_i32 s9, s8, 31
	s_lshl_b64 s[8:9], s[8:9], 2
	s_delay_alu instid0(SALU_CYCLE_1) | instskip(SKIP_2) | instid1(SALU_CYCLE_1)
	s_add_u32 s8, s16, s8
	s_addc_u32 s9, s25, s9
	s_or_b32 s10, s12, 0x80
	s_ashr_i32 s11, s10, 4
	s_cmp_lt_i32 s10, s24
	;; [unrolled: 10-line block ×3, first 2 shown]
	s_cselect_b32 s20, s21, s13
	s_delay_alu instid0(SALU_CYCLE_1) | instskip(NEXT) | instid1(SALU_CYCLE_1)
	s_ashr_i32 s21, s20, 31
	s_lshl_b64 s[20:21], s[20:21], 2
	s_delay_alu instid0(SALU_CYCLE_1)
	s_add_u32 s20, s16, s20
	s_addc_u32 s21, s25, s21
	s_clause 0x5
	s_load_b32 s26, s[2:3], 0x0
	s_load_b32 s27, s[4:5], 0x0
	;; [unrolled: 1-line block ×6, first 2 shown]
	s_or_b32 s2, s12, 0xc0
	s_mov_b32 s4, 0
	s_ashr_i32 s3, s2, 4
	s_cmp_lt_i32 s2, s24
	s_mov_b32 s11, s4
	s_cselect_b32 s2, s3, s13
	s_mov_b32 s5, s4
	s_ashr_i32 s3, s2, 31
	s_mov_b32 s6, s4
	s_lshl_b64 s[2:3], s[2:3], 2
	s_mov_b32 s7, s4
	s_add_u32 s2, s16, s2
	s_addc_u32 s3, s25, s3
	s_or_b32 s20, s12, 0xe0
	s_mov_b32 s8, s4
	s_ashr_i32 s21, s20, 4
	s_cmp_lt_i32 s20, s24
	s_mov_b32 s9, s4
	s_cselect_b32 s20, s21, s13
	s_mov_b32 s10, s4
	s_ashr_i32 s21, s20, 31
	v_mov_b32_e32 v118, s11
	v_dual_mov_b32 v112, s5 :: v_dual_mov_b32 v117, s10
	v_dual_mov_b32 v116, s9 :: v_dual_mov_b32 v115, s8
	;; [unrolled: 1-line block ×3, first 2 shown]
	v_mov_b32_e32 v111, s4
	s_lshl_b64 s[4:5], s[20:21], 2
	s_delay_alu instid0(SALU_CYCLE_1)
	s_add_u32 s4, s16, s4
	s_addc_u32 s5, s25, s5
	s_add_u32 s6, s22, s15
	s_addc_u32 s7, s23, s18
	s_waitcnt vmcnt(1)
	v_mad_i64_i32 v[3:4], null, v5, s17, v[1:2]
	s_waitcnt vmcnt(0)
	v_mad_i64_i32 v[5:6], null, v7, s17, v[1:2]
	v_add_nc_u32_e32 v1, -9, v68
	v_lshlrev_b32_e32 v2, 4, v68
	s_clause 0xf
	global_load_b128 v[17:20], v[3:4], off
	global_load_b128 v[21:24], v[3:4], off offset:256
	global_load_b128 v[25:28], v[5:6], off
	global_load_b128 v[29:32], v[5:6], off offset:256
	global_load_b128 v[57:60], v[3:4], off offset:512
	;; [unrolled: 1-line block ×13, first 2 shown]
	v_cndmask_b32_e32 v1, v1, v68, vcc_lo
	s_delay_alu instid0(VALU_DEP_1)
	v_lshlrev_b32_e32 v149, 6, v1
	v_lshl_or_b32 v1, v69, 8, v2
	ds_load_b128 v[119:122], v149
	ds_load_b128 v[123:126], v149 offset:1024
	ds_load_b128 v[127:130], v149 offset:2048
	;; [unrolled: 1-line block ×3, first 2 shown]
	s_clause 0x1
	s_load_b32 s2, s[2:3], 0x0
	s_load_b32 s3, s[4:5], 0x0
	v_add_co_u32 v135, s6, s6, v1
	s_delay_alu instid0(VALU_DEP_1) | instskip(SKIP_1) | instid1(VALU_DEP_1)
	v_add_co_ci_u32_e64 v136, null, s7, 0, s6
	s_waitcnt lgkmcnt(0)
	v_mad_i64_i32 v[1:2], null, s26, s17, v[135:136]
	v_mad_i64_i32 v[3:4], null, s27, s17, v[135:136]
	;; [unrolled: 1-line block ×6, first 2 shown]
	s_clause 0x9
	global_load_b128 v[49:52], v[1:2], off
	global_load_b128 v[53:56], v[1:2], off offset:16
	global_load_b128 v[41:44], v[3:4], off
	global_load_b128 v[45:48], v[3:4], off offset:16
	;; [unrolled: 2-line block ×5, first 2 shown]
	v_mad_i64_i32 v[145:146], null, s2, s17, v[135:136]
	v_mad_i64_i32 v[147:148], null, s3, s17, v[135:136]
	s_waitcnt vmcnt(24)
	v_wmma_f32_16x16x16_f16 v[135:142], v[17:24], v[119:126], v[111:118]
	s_waitcnt vmcnt(22)
	v_wmma_f32_16x16x16_f16 v[111:118], v[25:32], v[119:126], v[111:118]
	s_clause 0x3
	global_load_b128 v[17:20], v[143:144], off
	global_load_b128 v[21:24], v[143:144], off offset:16
	global_load_b128 v[25:28], v[145:146], off
	global_load_b128 v[29:32], v[145:146], off offset:16
	v_and_b32_e32 v119, 0xe0, v0
	s_waitcnt vmcnt(24)
	v_wmma_f32_16x16x16_f16 v[135:142], v[57:64], v[127:134], v[135:142]
	s_clause 0x1
	global_load_b128 v[57:60], v[147:148], off
	global_load_b128 v[61:64], v[147:148], off offset:16
	s_waitcnt vmcnt(24)
	v_wmma_f32_16x16x16_f16 v[111:118], v[71:78], v[127:134], v[111:118]
	ds_load_b128 v[71:74], v149 offset:4096
	ds_load_b128 v[75:78], v149 offset:5120
	v_add_nc_u32_e32 v128, s12, v119
	ds_load_b128 v[119:122], v149 offset:6144
	ds_load_b128 v[123:126], v149 offset:7168
	v_mbcnt_lo_u32_b32 v127, -1, 0
	s_waitcnt vmcnt(0) lgkmcnt(0)
	s_barrier
	v_or_b32_e32 v128, v128, v66
	buffer_gl0_inv
	v_xor_b32_e32 v129, 16, v127
	v_or_b32_e32 v130, 4, v128
	v_or_b32_e32 v131, 6, v128
	s_delay_alu instid0(VALU_DEP_3) | instskip(SKIP_4) | instid1(VALU_DEP_4)
	v_cmp_gt_i32_e32 vcc_lo, 32, v129
	v_or_b32_e32 v132, 8, v128
	v_or_b32_e32 v133, 10, v128
	v_cmp_gt_i32_e64 s3, s24, v130
	v_cmp_gt_i32_e64 s4, s24, v131
	;; [unrolled: 1-line block ×3, first 2 shown]
	v_wmma_f32_16x16x16_f16 v[135:142], v[79:86], v[71:78], v[135:142]
	v_wmma_f32_16x16x16_f16 v[111:118], v[87:94], v[71:78], v[111:118]
	v_or_b32_e32 v79, 12, v128
	v_or_b32_e32 v80, 14, v128
	v_cmp_gt_i32_e64 s6, s24, v133
	v_wmma_f32_16x16x16_f16 v[135:142], v[95:102], v[119:126], v[135:142]
	v_wmma_f32_16x16x16_f16 v[111:118], v[103:110], v[119:126], v[111:118]
	v_cndmask_b32_e32 v127, v127, v129, vcc_lo
	v_or_b32_e32 v129, 2, v128
	v_cmp_gt_i32_e32 vcc_lo, s24, v128
	v_mul_f32_e32 v88, s19, v135
	v_dual_mul_f32 v92, s19, v115 :: v_dual_mul_f32 v87, s19, v136
	s_delay_alu instid0(VALU_DEP_4)
	v_cmp_gt_i32_e64 s2, s24, v129
	v_mul_f32_e32 v78, s19, v138
	v_mul_f32_e32 v86, s19, v137
	v_cndmask_b32_e32 v88, 0xff7fffff, v88, vcc_lo
	v_mul_f32_e32 v76, s19, v140
	v_cndmask_b32_e64 v87, 0xff7fffff, v87, s2
	v_dual_mul_f32 v77, s19, v139 :: v_dual_mul_f32 v94, s19, v113
	v_cndmask_b32_e64 v86, 0xff7fffff, v86, s3
	v_cndmask_b32_e64 v78, 0xff7fffff, v78, s4
	s_delay_alu instid0(VALU_DEP_4)
	v_max3_f32 v87, v88, 0xff7fffff, v87
	v_or_b32_e32 v81, 16, v128
	v_or_b32_e32 v82, 18, v128
	v_dual_mul_f32 v74, s19, v142 :: v_dual_mul_f32 v75, s19, v141
	v_mul_f32_e32 v96, s19, v111
	v_cndmask_b32_e64 v77, 0xff7fffff, v77, s5
	v_cndmask_b32_e64 v76, 0xff7fffff, v76, s6
	v_max3_f32 v78, v87, v86, v78
	v_cmp_gt_i32_e64 s7, s24, v79
	v_cmp_gt_i32_e64 s8, s24, v80
	v_or_b32_e32 v83, 20, v128
	v_or_b32_e32 v84, 22, v128
	v_mul_f32_e32 v95, s19, v112
	v_cndmask_b32_e64 v75, 0xff7fffff, v75, s7
	v_cndmask_b32_e64 v74, 0xff7fffff, v74, s8
	v_max3_f32 v76, v78, v77, v76
	v_cmp_gt_i32_e64 s9, s24, v81
	v_cmp_gt_i32_e64 s10, s24, v82
	v_or_b32_e32 v85, 24, v128
	v_or_b32_e32 v71, 26, v128
	;; [unrolled: 8-line block ×3, first 2 shown]
	v_mul_f32_e32 v91, s19, v116
	v_cndmask_b32_e64 v75, 0xff7fffff, v94, s11
	v_cndmask_b32_e64 v76, 0xff7fffff, v93, s12
	v_max3_f32 v74, v74, v77, v78
	v_cmp_gt_i32_e64 s13, s24, v85
	v_cmp_gt_i32_e64 s15, s24, v71
	v_dual_mul_f32 v89, s19, v118 :: v_dual_mul_f32 v90, s19, v117
	s_delay_alu instid0(VALU_DEP_4) | instskip(NEXT) | instid1(VALU_DEP_4)
	v_max3_f32 v74, v74, v75, v76
	v_cndmask_b32_e64 v77, 0xff7fffff, v92, s13
	s_delay_alu instid0(VALU_DEP_4) | instskip(SKIP_2) | instid1(VALU_DEP_3)
	v_cndmask_b32_e64 v71, 0xff7fffff, v91, s15
	v_cmp_gt_i32_e64 s16, s24, v72
	v_cmp_gt_i32_e64 s17, s24, v73
	v_max3_f32 v71, v74, v77, v71
	s_delay_alu instid0(VALU_DEP_3) | instskip(NEXT) | instid1(VALU_DEP_3)
	v_cndmask_b32_e64 v72, 0xff7fffff, v90, s16
	v_cndmask_b32_e64 v73, 0xff7fffff, v89, s17
	v_lshlrev_b32_e32 v74, 2, v127
	s_delay_alu instid0(VALU_DEP_2) | instskip(SKIP_3) | instid1(VALU_DEP_1)
	v_max3_f32 v71, v71, v72, v73
	ds_bpermute_b32 v72, v74, v71
	s_waitcnt lgkmcnt(0)
	v_max_f32_e32 v72, v72, v72
	v_max_f32_e32 v71, v71, v72
	s_delay_alu instid0(VALU_DEP_1) | instskip(SKIP_4) | instid1(VALU_DEP_4)
	v_fma_f32 v72, s19, v135, -v71
	v_fma_f32 v73, s19, v136, -v71
	;; [unrolled: 1-line block ×5, first 2 shown]
	v_dual_mul_f32 v72, 0x3fb8aa3b, v72 :: v_dual_mul_f32 v73, 0x3fb8aa3b, v73
	v_fma_f32 v80, s19, v141, -v71
	s_delay_alu instid0(VALU_DEP_3) | instskip(NEXT) | instid1(VALU_DEP_3)
	v_dual_mul_f32 v76, 0x3fb8aa3b, v76 :: v_dual_mul_f32 v77, 0x3fb8aa3b, v77
	v_exp_f32_e32 v72, v72
	s_delay_alu instid0(VALU_DEP_3) | instskip(NEXT) | instid1(VALU_DEP_2)
	v_exp_f32_e32 v73, v73
	v_mul_f32_e32 v82, 0x3fb8aa3b, v80
	s_delay_alu instid0(VALU_DEP_2) | instskip(SKIP_1) | instid1(VALU_DEP_1)
	v_exp_f32_e32 v76, v76
	v_exp_f32_e32 v77, v77
	;; [unrolled: 1-line block ×3, first 2 shown]
	v_cndmask_b32_e32 v79, 0, v72, vcc_lo
	v_fma_f32 v72, s19, v140, -v71
	v_mul_f32_e32 v75, 0x3fb8aa3b, v75
	v_cndmask_b32_e64 v78, 0, v73, s2
	s_delay_alu instid0(TRANS32_DEP_3) | instskip(NEXT) | instid1(VALU_DEP_4)
	v_cndmask_b32_e64 v80, 0, v76, s4
	v_dual_add_f32 v73, 0, v79 :: v_dual_mul_f32 v72, 0x3fb8aa3b, v72
	s_delay_alu instid0(VALU_DEP_4) | instskip(NEXT) | instid1(TRANS32_DEP_3)
	v_exp_f32_e32 v75, v75
	v_cndmask_b32_e64 v83, 0, v77, s5
	s_delay_alu instid0(TRANS32_DEP_2) | instskip(NEXT) | instid1(VALU_DEP_3)
	v_cndmask_b32_e64 v85, 0, v84, s7
	v_add_f32_e32 v73, v73, v78
	v_exp_f32_e32 v72, v72
	v_cmp_gt_u32_e64 s2, 16, v70
	s_waitcnt_depctr 0xfff
	v_cndmask_b32_e64 v81, 0, v75, s3
	v_cndmask_b32_e64 v82, 0, v72, s6
	s_delay_alu instid0(VALU_DEP_2) | instskip(NEXT) | instid1(VALU_DEP_1)
	v_add_f32_e32 v73, v73, v81
	v_add_f32_e32 v73, v73, v80
	s_delay_alu instid0(VALU_DEP_1) | instskip(NEXT) | instid1(VALU_DEP_1)
	v_add_f32_e32 v72, v73, v83
	v_add_f32_e32 v72, v72, v82
	s_delay_alu instid0(VALU_DEP_1)
	v_add_f32_e32 v72, v72, v85
	v_fma_f32 v76, s19, v111, -v71
	v_fma_f32 v75, s19, v142, -v71
	v_fma_f32 v86, s19, v114, -v71
	v_fma_f32 v77, s19, v112, -v71
	v_fma_f32 v73, s19, v113, -v71
	v_mul_f32_e32 v76, 0x3fb8aa3b, v76
	s_delay_alu instid0(VALU_DEP_4) | instskip(NEXT) | instid1(VALU_DEP_2)
	v_mul_f32_e32 v86, 0x3fb8aa3b, v86
	v_exp_f32_e32 v76, v76
	s_delay_alu instid0(VALU_DEP_1)
	v_exp_f32_e32 v88, v86
	s_waitcnt_depctr 0xfff
	v_cndmask_b32_e64 v87, 0, v76, s9
	v_fma_f32 v76, s19, v116, -v71
	v_mul_f32_e32 v75, 0x3fb8aa3b, v75
	v_cndmask_b32_e64 v88, 0, v88, s12
	s_delay_alu instid0(VALU_DEP_3) | instskip(NEXT) | instid1(VALU_DEP_3)
	v_dual_mul_f32 v73, 0x3fb8aa3b, v73 :: v_dual_mul_f32 v76, 0x3fb8aa3b, v76
	v_exp_f32_e32 v75, v75
	s_delay_alu instid0(VALU_DEP_1) | instskip(NEXT) | instid1(VALU_DEP_1)
	v_exp_f32_e32 v73, v73
	v_exp_f32_e32 v76, v76
	s_delay_alu instid0(TRANS32_DEP_3)
	v_cndmask_b32_e64 v84, 0, v75, s8
	v_fma_f32 v75, s19, v115, -v71
	s_waitcnt_depctr 0xfff
	v_cndmask_b32_e64 v89, 0, v73, s11
	v_cndmask_b32_e64 v90, 0, v76, s15
	v_add_f32_e32 v72, v72, v84
	s_delay_alu instid0(VALU_DEP_1) | instskip(NEXT) | instid1(VALU_DEP_1)
	v_dual_add_f32 v72, v72, v87 :: v_dual_mul_f32 v77, 0x3fb8aa3b, v77
	v_exp_f32_e32 v77, v77
	s_waitcnt_depctr 0xfff
	v_cndmask_b32_e64 v86, 0, v77, s10
	v_fma_f32 v77, s19, v117, -v71
	s_delay_alu instid0(VALU_DEP_2) | instskip(NEXT) | instid1(VALU_DEP_1)
	v_dual_add_f32 v72, v72, v86 :: v_dual_mul_f32 v75, 0x3fb8aa3b, v75
	v_add_f32_e32 v72, v72, v89
	s_delay_alu instid0(VALU_DEP_2) | instskip(NEXT) | instid1(VALU_DEP_1)
	v_exp_f32_e32 v75, v75
	v_add_f32_e32 v72, v72, v88
	s_waitcnt_depctr 0xfff
	v_cndmask_b32_e64 v91, 0, v75, s13
	v_mul_f32_e32 v73, 0x3fb8aa3b, v77
	v_fma_f32 v77, s19, v118, -v71
	s_delay_alu instid0(VALU_DEP_3) | instskip(NEXT) | instid1(VALU_DEP_3)
	v_add_f32_e32 v72, v72, v91
	v_exp_f32_e32 v73, v73
	s_delay_alu instid0(VALU_DEP_1) | instskip(NEXT) | instid1(VALU_DEP_1)
	v_dual_mul_f32 v75, 0x3fb8aa3b, v77 :: v_dual_add_f32 v72, v72, v90
	v_exp_f32_e32 v75, v75
	s_waitcnt_depctr 0xfff
	v_cndmask_b32_e64 v93, 0, v73, s16
	s_delay_alu instid0(VALU_DEP_1) | instskip(SKIP_1) | instid1(VALU_DEP_1)
	v_add_f32_e32 v72, v72, v93
	v_cndmask_b32_e64 v92, 0, v75, s17
	v_add_f32_e32 v72, v72, v92
	ds_bpermute_b32 v73, v74, v72
	s_and_saveexec_b32 s3, s2
	s_cbranch_execz .LBB1254_12
; %bb.11:
	v_mul_u32_u24_e32 v70, 0x44, v69
	s_waitcnt lgkmcnt(0)
	v_add_f32_e32 v72, v72, v73
	s_delay_alu instid0(VALU_DEP_2) | instskip(NEXT) | instid1(VALU_DEP_1)
	v_lshl_add_u32 v70, v68, 2, v70
	v_add_nc_u32_e32 v70, 0x4000, v70
	ds_store_2addr_b32 v70, v71, v72 offset1:136
.LBB1254_12:
	s_or_b32 exec_lo, exec_lo, s3
	v_lshlrev_b32_e32 v70, 2, v68
	s_load_b32 s35, s[0:1], 0x94
	s_waitcnt lgkmcnt(0)
	s_barrier
	buffer_gl0_inv
	v_add_nc_u32_e32 v98, 0x4000, v70
	v_cmp_eq_u32_e32 vcc_lo, 1, v69
	v_cmp_eq_u32_e64 s3, 2, v69
	v_cmp_eq_u32_e64 s4, 3, v69
	;; [unrolled: 1-line block ×3, first 2 shown]
	ds_load_2addr_b32 v[70:71], v98 offset1:17
	ds_load_2addr_b32 v[72:73], v98 offset0:34 offset1:51
	ds_load_2addr_b32 v[74:75], v98 offset0:68 offset1:85
	;; [unrolled: 1-line block ×3, first 2 shown]
	v_cmp_eq_u32_e64 s6, 5, v69
	v_cmp_eq_u32_e64 s7, 7, v69
	s_waitcnt lgkmcnt(3)
	v_max3_f32 v76, v70, 0xff7fffff, v71
	s_waitcnt lgkmcnt(2)
	s_delay_alu instid0(VALU_DEP_1) | instskip(SKIP_1) | instid1(VALU_DEP_1)
	v_max3_f32 v76, v76, v72, v73
	s_waitcnt lgkmcnt(1)
	v_max3_f32 v76, v76, v74, v75
	s_waitcnt lgkmcnt(0)
	s_delay_alu instid0(VALU_DEP_1) | instskip(NEXT) | instid1(VALU_DEP_1)
	v_max3_f32 v76, v76, v94, v95
	v_sub_f32_e32 v77, v71, v76
	ds_load_2addr_b32 v[96:97], v98 offset0:136 offset1:153
	v_sub_f32_e32 v74, v74, v76
	v_sub_f32_e32 v70, v70, v76
	;; [unrolled: 1-line block ×3, first 2 shown]
	v_dual_sub_f32 v72, v72, v76 :: v_dual_mul_f32 v77, 0x3fb8aa3b, v77
	s_delay_alu instid0(VALU_DEP_4) | instskip(NEXT) | instid1(VALU_DEP_4)
	v_mul_f32_e32 v103, 0x3fb8aa3b, v74
	v_mul_f32_e32 v99, 0x3fb8aa3b, v70
	ds_load_2addr_b32 v[70:71], v98 offset0:170 offset1:187
	v_dual_mul_f32 v101, 0x3fb8aa3b, v72 :: v_dual_mul_f32 v94, 0x3fb8aa3b, v94
	v_exp_f32_e32 v102, v77
	v_exp_f32_e32 v99, v99
	s_delay_alu instid0(VALU_DEP_1) | instskip(NEXT) | instid1(VALU_DEP_1)
	v_exp_f32_e32 v101, v101
	v_exp_f32_e32 v94, v94
	s_waitcnt lgkmcnt(1)
	s_delay_alu instid0(TRANS32_DEP_3)
	v_fma_f32 v77, v99, v96, 0
	v_sub_f32_e32 v100, v73, v76
	ds_load_2addr_b32 v[72:73], v98 offset0:204 offset1:221
	v_fmac_f32_e32 v77, v102, v97
	v_exp_f32_e32 v97, v103
	s_waitcnt lgkmcnt(1)
	s_delay_alu instid0(VALU_DEP_1)
	v_dual_fmac_f32 v77, v101, v70 :: v_dual_sub_f32 v96, v75, v76
	ds_load_2addr_b32 v[74:75], v98 offset0:238 offset1:255
	v_sub_f32_e32 v70, v95, v76
	s_waitcnt lgkmcnt(0)
	s_barrier
	v_mul_f32_e32 v96, 0x3fb8aa3b, v96
	buffer_gl0_inv
	v_exp_f32_e32 v95, v96
	v_mul_f32_e32 v100, 0x3fb8aa3b, v100
	s_delay_alu instid0(VALU_DEP_1) | instskip(SKIP_3) | instid1(VALU_DEP_2)
	v_exp_f32_e32 v100, v100
	s_waitcnt_depctr 0xfff
	v_dual_fmac_f32 v77, v100, v71 :: v_dual_mul_f32 v70, 0x3fb8aa3b, v70
	v_cndmask_b32_e32 v71, v99, v102, vcc_lo
	v_fmac_f32_e32 v77, v97, v72
	s_delay_alu instid0(VALU_DEP_3) | instskip(NEXT) | instid1(VALU_DEP_1)
	v_exp_f32_e32 v96, v70
	v_fmac_f32_e32 v77, v95, v73
	s_delay_alu instid0(VALU_DEP_1) | instskip(SKIP_2) | instid1(VALU_DEP_1)
	v_fmac_f32_e32 v77, v94, v74
	s_waitcnt_depctr 0xfff
	v_fmac_f32_e32 v77, v96, v75
	v_add_f32_e32 v74, 0x358637bd, v77
	s_delay_alu instid0(VALU_DEP_1) | instskip(SKIP_1) | instid1(VALU_DEP_2)
	v_div_scale_f32 v98, null, v74, v74, 1.0
	v_div_scale_f32 v99, vcc_lo, 1.0, v74, 1.0
	v_rcp_f32_e32 v103, v98
	s_waitcnt_depctr 0xfff
	v_fma_f32 v70, -v98, v103, 1.0
	s_delay_alu instid0(VALU_DEP_1) | instskip(SKIP_2) | instid1(VALU_DEP_2)
	v_fmac_f32_e32 v103, v70, v103
	v_cndmask_b32_e64 v70, v71, v101, s3
	v_cmp_eq_u32_e64 s3, 6, v69
	v_cndmask_b32_e64 v71, v70, v100, s4
	s_delay_alu instid0(VALU_DEP_4) | instskip(NEXT) | instid1(VALU_DEP_2)
	v_dual_mul_f32 v101, v99, v103 :: v_dual_lshlrev_b32 v70, 2, v66
	v_cndmask_b32_e64 v71, v71, v97, s5
	s_delay_alu instid0(VALU_DEP_2) | instskip(NEXT) | instid1(VALU_DEP_3)
	v_or_b32_e32 v72, 1, v70
	v_fma_f32 v100, -v98, v101, v99
	v_cmp_eq_u32_e64 s4, 1, v70
	v_cmp_eq_u32_e64 s5, 2, v70
	v_cndmask_b32_e64 v95, v71, v95, s6
	v_or_b32_e32 v71, 3, v70
	v_fmac_f32_e32 v101, v100, v103
	v_cmp_eq_u32_e64 s9, 1, v72
	v_cmp_eq_u32_e64 s12, 2, v72
	v_cndmask_b32_e64 v94, v95, v94, s3
	v_cmp_eq_u32_e64 s11, 1, v71
	v_fma_f32 v97, -v98, v101, v99
	v_cmp_eq_u32_e64 s16, 2, v71
	v_cmp_eq_u32_e64 s13, 3, v72
	v_cndmask_b32_e64 v94, v94, v96, s7
	v_cmp_eq_u32_e64 s18, 3, v71
	v_div_fmas_f32 v95, v97, v103, v101
	v_cmp_eq_u32_e32 vcc_lo, 3, v70
	v_cmp_eq_u32_e64 s3, 4, v70
	v_cmp_eq_u32_e64 s19, 4, v72
	;; [unrolled: 1-line block ×3, first 2 shown]
	v_div_fixup_f32 v95, v95, v74, 1.0
	v_lshlrev_b32_e32 v73, 6, v68
	v_cmp_eq_u32_e64 s6, 5, v70
	v_cmp_eq_u32_e64 s20, 5, v72
	v_cmp_eq_u32_e64 s24, 5, v71
	v_mul_f32_e32 v102, v94, v95
	v_lshl_or_b32 v75, v69, 11, v73
	v_or_b32_e32 v69, 2, v70
	v_cmp_eq_u32_e64 s25, 6, v72
	v_cmp_eq_u32_e64 s27, 6, v71
	v_fma_mixlo_f16 v94, v102, v79, 0
	v_fma_mixlo_f16 v95, v102, v81, 0
	;; [unrolled: 1-line block ×8, first 2 shown]
	v_lshl_or_b32 v74, v66, 4, v75
	v_fma_mixhi_f16 v94, v102, v78, 0
	v_fma_mixhi_f16 v95, v102, v80, 0
	v_fma_mixhi_f16 v96, v102, v82, 0
	v_fma_mixhi_f16 v97, v102, v84, 0
	v_fma_mixhi_f16 v98, v102, v86, 0
	v_fma_mixhi_f16 v99, v102, v88, 0
	v_fma_mixhi_f16 v100, v102, v90, 0
	v_fma_mixhi_f16 v101, v102, v92, 0
	ds_store_b128 v74, v[94:97]
	ds_store_b128 v74, v[98:101] offset:1024
	s_waitcnt lgkmcnt(0)
	s_barrier
	buffer_gl0_inv
	ds_load_b128 v[78:81], v75
	ds_load_b128 v[82:85], v75 offset:16
	ds_load_b128 v[86:89], v75 offset:1024
	;; [unrolled: 1-line block ×3, first 2 shown]
	v_cmp_eq_u32_e64 s10, 1, v69
	v_cmp_eq_u32_e64 s15, 2, v69
	;; [unrolled: 1-line block ×11, first 2 shown]
	s_waitcnt lgkmcnt(3)
	v_lshrrev_b32_e32 v94, 16, v78
	s_waitcnt lgkmcnt(2)
	v_lshrrev_b32_e32 v98, 16, v82
	;; [unrolled: 2-line block ×4, first 2 shown]
	v_lshrrev_b32_e32 v95, 16, v79
	v_cndmask_b32_e64 v110, v78, v94, s4
	v_cndmask_b32_e64 v111, v82, v98, s4
	v_cndmask_b32_e64 v112, v78, v94, s9
	v_cndmask_b32_e64 v113, v82, v98, s9
	v_cndmask_b32_e64 v114, v78, v94, s10
	v_cndmask_b32_e64 v115, v82, v98, s10
	v_cndmask_b32_e64 v78, v78, v94, s11
	v_cndmask_b32_e64 v82, v82, v98, s11
	v_lshrrev_b32_e32 v99, 16, v83
	v_cndmask_b32_e64 v94, v86, v102, s4
	v_cndmask_b32_e64 v98, v90, v106, s4
	;; [unrolled: 1-line block ×15, first 2 shown]
	v_lshrrev_b32_e32 v103, 16, v87
	v_lshrrev_b32_e32 v107, 16, v91
	v_cndmask_b32_e64 v113, v115, v83, s15
	v_cndmask_b32_e64 v82, v94, v87, s5
	;; [unrolled: 1-line block ×7, first 2 shown]
	v_cndmask_b32_e32 v90, v102, v95, vcc_lo
	v_cndmask_b32_e32 v102, v106, v99, vcc_lo
	v_cndmask_b32_e64 v106, v110, v95, s13
	v_cndmask_b32_e64 v110, v111, v99, s13
	;; [unrolled: 1-line block ×4, first 2 shown]
	v_lshrrev_b32_e32 v96, 16, v80
	v_lshrrev_b32_e32 v100, 16, v84
	v_cndmask_b32_e64 v111, v112, v95, s17
	v_cndmask_b32_e64 v112, v113, v99, s17
	v_cndmask_b32_e32 v82, v82, v103, vcc_lo
	v_cndmask_b32_e32 v83, v83, v107, vcc_lo
	v_cndmask_b32_e64 v94, v94, v103, s13
	v_cndmask_b32_e64 v90, v90, v80, s3
	;; [unrolled: 1-line block ×7, first 2 shown]
	v_lshrrev_b32_e32 v104, 16, v88
	v_cndmask_b32_e64 v106, v111, v80, s21
	v_cndmask_b32_e64 v110, v112, v84, s21
	;; [unrolled: 1-line block ×11, first 2 shown]
	v_lshrrev_b32_e32 v97, 16, v81
	v_lshrrev_b32_e32 v101, 16, v85
	v_cndmask_b32_e64 v99, v106, v96, s23
	v_cndmask_b32_e64 v102, v110, v100, s23
	;; [unrolled: 1-line block ×7, first 2 shown]
	v_lshrrev_b32_e32 v105, 16, v89
	v_cndmask_b32_e64 v80, v80, v104, s6
	v_cndmask_b32_e64 v84, v84, v81, s7
	;; [unrolled: 1-line block ×16, first 2 shown]
	v_perm_b32 v81, v79, v78, 0x5040100
	v_perm_b32 v79, v95, v85, 0x5040100
	v_cndmask_b32_e64 v78, v119, v91, s15
	v_cndmask_b32_e64 v85, v117, v91, s12
	;; [unrolled: 1-line block ×3, first 2 shown]
	v_perm_b32 v80, v94, v90, 0x5040100
	v_cndmask_b32_e64 v90, v98, v103, s17
	v_cndmask_b32_e64 v86, v86, v103, s18
	;; [unrolled: 1-line block ×5, first 2 shown]
	v_lshrrev_b32_e32 v108, 16, v92
	v_cndmask_b32_e64 v90, v90, v88, s21
	v_cndmask_b32_e64 v86, v86, v88, s22
	;; [unrolled: 1-line block ×11, first 2 shown]
	v_lshrrev_b32_e32 v109, 16, v93
	v_cndmask_b32_e64 v82, v82, v93, s7
	v_cndmask_b32_e64 v88, v88, v89, s26
	;; [unrolled: 1-line block ×12, first 2 shown]
	v_perm_b32 v78, v84, v83, 0x5040100
	v_perm_b32 v85, v87, v86, 0x5040100
	;; [unrolled: 1-line block ×5, first 2 shown]
	s_mul_i32 s8, s33, 9
	s_mov_b32 s3, exec_lo
	ds_store_b128 v74, v[78:81]
	ds_store_b128 v74, v[82:85] offset:1024
	v_cmpx_gt_u32_e32 9, v0
	s_cbranch_execz .LBB1254_14
; %bb.13:
	s_mul_i32 s4, s8, s34
	s_delay_alu instid0(SALU_CYCLE_1) | instskip(SKIP_1) | instid1(VALU_DEP_1)
	v_add3_u32 v68, s4, s31, v68
	s_load_b128 s[4:7], s[0:1], 0x58
	v_mad_u64_u32 v[78:79], null, v68, s35, s[14:15]
	s_delay_alu instid0(VALU_DEP_1) | instskip(NEXT) | instid1(VALU_DEP_1)
	v_ashrrev_i32_e32 v79, 31, v78
	v_lshlrev_b64 v[78:79], 2, v[78:79]
	s_waitcnt lgkmcnt(0)
	s_delay_alu instid0(VALU_DEP_1) | instskip(NEXT) | instid1(VALU_DEP_2)
	v_add_co_u32 v80, vcc_lo, s6, v78
	v_add_co_ci_u32_e32 v81, vcc_lo, s7, v79, vcc_lo
	v_add_co_u32 v78, vcc_lo, s4, v78
	v_add_co_ci_u32_e32 v79, vcc_lo, s5, v79, vcc_lo
	global_store_b32 v[80:81], v76, off
	global_store_b32 v[78:79], v77, off
.LBB1254_14:
	s_or_b32 exec_lo, exec_lo, s3
	s_waitcnt lgkmcnt(0)
	s_waitcnt_vscnt null, 0x0
	s_barrier
	buffer_gl0_inv
	ds_load_b128 v[84:87], v73
	ds_load_b128 v[88:91], v73 offset:16
	ds_load_b128 v[96:99], v73 offset:2064
	;; [unrolled: 1-line block ×5, first 2 shown]
	v_cmp_eq_u32_e32 vcc_lo, 1, v70
	v_mov_b32_e32 v76, 0
	ds_load_b128 v[112:115], v73 offset:6160
	ds_load_b128 v[108:111], v73 offset:6144
	;; [unrolled: 1-line block ×4, first 2 shown]
	v_cmp_eq_u32_e64 s4, 1, v69
	v_cmp_eq_u32_e64 s3, 1, v72
	;; [unrolled: 1-line block ×3, first 2 shown]
	v_mov_b32_e32 v77, v76
	v_mov_b32_e32 v78, v76
	;; [unrolled: 1-line block ×7, first 2 shown]
	v_cmp_eq_u32_e64 s6, 3, v72
	v_cmp_eq_u32_e64 s7, 7, v72
	s_waitcnt lgkmcnt(8)
	s_delay_alu instid0(VALU_DEP_3)
	v_wmma_f32_16x16x16_f16 v[76:83], v[49:56], v[84:91], v[76:83]
	ds_load_b128 v[53:56], v73 offset:10256
	ds_load_b128 v[49:52], v73 offset:10240
	s_waitcnt lgkmcnt(8)
	v_wmma_f32_16x16x16_f16 v[76:83], v[41:48], v[92:99], v[76:83]
	ds_load_b128 v[45:48], v73 offset:12304
	ds_load_b128 v[41:44], v73 offset:12288
	s_waitcnt lgkmcnt(8)
	;; [unrolled: 4-line block ×3, first 2 shown]
	s_barrier
	buffer_gl0_inv
	v_wmma_f32_16x16x16_f16 v[76:83], v[1:8], v[108:115], v[76:83]
	s_delay_alu instid0(VALU_DEP_1) | instskip(NEXT) | instid1(VALU_DEP_1)
	v_wmma_f32_16x16x16_f16 v[76:83], v[9:16], v[116:123], v[76:83]
	v_wmma_f32_16x16x16_f16 v[76:83], v[17:24], v[49:56], v[76:83]
	s_delay_alu instid0(VALU_DEP_1) | instskip(NEXT) | instid1(VALU_DEP_1)
	v_wmma_f32_16x16x16_f16 v[76:83], v[25:32], v[41:48], v[76:83]
	v_wmma_f32_16x16x16_f16 v[76:83], v[57:64], v[33:40], v[76:83]
	s_delay_alu instid0(VALU_DEP_1) | instskip(NEXT) | instid1(VALU_DEP_2)
	v_cvt_f16_f32_e32 v1, v76
	v_cvt_f16_f32_e32 v2, v77
	s_delay_alu instid0(VALU_DEP_3) | instskip(NEXT) | instid1(VALU_DEP_4)
	v_cvt_f16_f32_e32 v3, v78
	v_cvt_f16_f32_e32 v4, v79
	;; [unrolled: 1-line block ×6, first 2 shown]
	v_pack_b32_f16 v1, v1, v2
	v_pack_b32_f16 v2, v3, v4
	;; [unrolled: 1-line block ×3, first 2 shown]
	s_delay_alu instid0(VALU_DEP_4)
	v_pack_b32_f16 v4, v7, v8
	ds_store_b128 v74, v[1:4]
	s_waitcnt lgkmcnt(0)
	s_barrier
	buffer_gl0_inv
	ds_load_b128 v[1:4], v75
	ds_load_b128 v[5:8], v75 offset:16
	s_waitcnt lgkmcnt(1)
	v_lshrrev_b32_e32 v9, 16, v1
	s_waitcnt lgkmcnt(0)
	v_lshrrev_b32_e32 v13, 16, v5
	v_lshrrev_b32_e32 v10, 16, v2
	;; [unrolled: 1-line block ×4, first 2 shown]
	v_cndmask_b32_e32 v17, v1, v9, vcc_lo
	v_cndmask_b32_e32 v18, v5, v13, vcc_lo
	v_cndmask_b32_e64 v21, v1, v9, s4
	v_cmp_eq_u32_e32 vcc_lo, 1, v71
	v_cndmask_b32_e64 v22, v5, v13, s4
	v_cmp_eq_u32_e64 s4, 2, v70
	v_cndmask_b32_e64 v19, v1, v9, s3
	v_cndmask_b32_e64 v20, v5, v13, s3
	v_cndmask_b32_e32 v1, v1, v9, vcc_lo
	v_cmp_eq_u32_e64 s3, 2, v71
	v_cndmask_b32_e32 v5, v5, v13, vcc_lo
	v_cndmask_b32_e64 v9, v17, v2, s4
	v_cmp_eq_u32_e32 vcc_lo, 3, v70
	v_cndmask_b32_e64 v13, v18, v6, s4
	v_cmp_eq_u32_e64 s4, 2, v69
	v_cndmask_b32_e64 v17, v19, v2, s5
	v_cndmask_b32_e64 v18, v20, v6, s5
	v_cmp_eq_u32_e64 s5, 3, v69
	v_cndmask_b32_e64 v1, v1, v2, s3
	v_cndmask_b32_e64 v19, v21, v2, s4
	v_cndmask_b32_e64 v20, v22, v6, s4
	v_cndmask_b32_e64 v2, v5, v6, s3
	v_cndmask_b32_e32 v5, v9, v10, vcc_lo
	v_cndmask_b32_e32 v6, v13, v14, vcc_lo
	v_cmp_eq_u32_e32 vcc_lo, 3, v71
	v_cndmask_b32_e64 v9, v17, v10, s6
	v_cndmask_b32_e64 v13, v18, v14, s6
	;; [unrolled: 1-line block ×3, first 2 shown]
	v_cmp_eq_u32_e64 s4, 4, v70
	v_cndmask_b32_e32 v1, v1, v10, vcc_lo
	v_cndmask_b32_e32 v2, v2, v14, vcc_lo
	v_cmp_eq_u32_e32 vcc_lo, 4, v72
	v_lshrrev_b32_e32 v15, 16, v7
	v_lshrrev_b32_e32 v16, 16, v8
	v_cndmask_b32_e64 v17, v19, v10, s5
	v_cmp_eq_u32_e64 s3, 4, v71
	v_cndmask_b32_e64 v5, v5, v3, s4
	v_cndmask_b32_e64 v6, v6, v7, s4
	v_cndmask_b32_e32 v9, v9, v3, vcc_lo
	v_cmp_eq_u32_e64 s4, 5, v72
	v_cndmask_b32_e32 v10, v13, v7, vcc_lo
	v_cmp_eq_u32_e32 vcc_lo, 4, v69
	v_cmp_eq_u32_e64 s5, 5, v70
	v_cndmask_b32_e64 v2, v2, v7, s3
	v_cndmask_b32_e64 v9, v9, v11, s4
	;; [unrolled: 1-line block ×3, first 2 shown]
	v_cndmask_b32_e32 v13, v17, v3, vcc_lo
	v_cmp_eq_u32_e64 s4, 5, v69
	v_cndmask_b32_e32 v14, v18, v7, vcc_lo
	v_cndmask_b32_e64 v1, v1, v3, s3
	v_cmp_eq_u32_e32 vcc_lo, 5, v71
	v_lshrrev_b32_e32 v12, 16, v4
	v_cndmask_b32_e64 v13, v13, v11, s4
	v_cndmask_b32_e64 v3, v14, v15, s4
	v_cmp_eq_u32_e64 s4, 6, v71
	v_cndmask_b32_e32 v1, v1, v11, vcc_lo
	v_cndmask_b32_e64 v5, v5, v11, s5
	v_cmp_eq_u32_e64 s6, 6, v70
	v_cndmask_b32_e64 v6, v6, v15, s5
	v_cmp_eq_u32_e64 s5, 6, v72
	v_cmp_eq_u32_e64 s3, 6, v69
	v_cndmask_b32_e64 v1, v1, v4, s4
	v_cndmask_b32_e32 v2, v2, v15, vcc_lo
	v_cmp_eq_u32_e32 vcc_lo, 7, v71
	v_cndmask_b32_e64 v5, v5, v4, s6
	v_cndmask_b32_e64 v9, v9, v4, s5
	;; [unrolled: 1-line block ×3, first 2 shown]
	v_cmp_eq_u32_e64 s6, 7, v70
	v_cndmask_b32_e32 v1, v1, v12, vcc_lo
	v_cndmask_b32_e64 v7, v13, v4, s3
	v_cndmask_b32_e64 v3, v3, v8, s3
	;; [unrolled: 1-line block ×3, first 2 shown]
	v_cmp_eq_u32_e64 s3, 7, v69
	v_cndmask_b32_e64 v4, v10, v8, s5
	v_cndmask_b32_e64 v5, v5, v12, s6
	;; [unrolled: 1-line block ×3, first 2 shown]
	v_cndmask_b32_e32 v2, v2, v16, vcc_lo
	v_cndmask_b32_e64 v7, v7, v12, s3
	v_cndmask_b32_e64 v3, v3, v16, s3
	;; [unrolled: 1-line block ×4, first 2 shown]
	v_perm_b32 v4, v2, v1, 0x5040100
	s_mov_b32 s3, exec_lo
	v_perm_b32 v3, v3, v7, 0x5040100
	v_perm_b32 v2, v8, v9, 0x5040100
	;; [unrolled: 1-line block ×3, first 2 shown]
	ds_store_b128 v74, v[1:4]
	s_waitcnt lgkmcnt(0)
	s_barrier
	buffer_gl0_inv
	v_cmpx_gt_u32_e32 32, v0
	s_cbranch_execz .LBB1254_2
; %bb.15:
	s_load_b64 s[4:5], s[0:1], 0x68
	v_lshlrev_b32_e32 v0, 10, v0
	v_lshlrev_b32_e32 v1, 4, v67
	s_lshl_b32 s0, s35, 7
	v_add_nc_u32_e32 v2, s31, v66
	s_mul_i32 s1, s0, s34
	s_delay_alu instid0(SALU_CYCLE_1) | instskip(SKIP_1) | instid1(VALU_DEP_2)
	s_mul_i32 s6, s1, s8
	v_and_or_b32 v0, 0x3800, v0, v1
	v_mul_lo_u32 v1, v2, s0
	s_ashr_i32 s7, s6, 31
	v_add_nc_u32_e32 v3, 2, v2
	s_lshl_b64 s[6:7], s[6:7], 1
	v_add_nc_u32_e32 v4, 4, v2
	v_add_nc_u32_e32 v5, 6, v2
	v_lshl_or_b32 v15, v66, 6, v0
	v_mul_lo_u32 v3, v3, s0
	v_ashrrev_i32_e32 v2, 31, v1
	v_mul_lo_u32 v19, v4, s0
	v_mul_lo_u32 v21, v5, s0
	s_waitcnt lgkmcnt(0)
	s_add_u32 s1, s4, s6
	s_addc_u32 s3, s5, s7
	s_lshl_b32 s4, s14, 7
	v_lshlrev_b64 v[5:6], 1, v[1:2]
	s_ashr_i32 s5, s4, 31
	v_ashrrev_i32_e32 v4, 31, v3
	s_lshl_b64 s[4:5], s[4:5], 1
	v_ashrrev_i32_e32 v20, 31, v19
	s_add_u32 s1, s1, s4
	s_addc_u32 s3, s3, s5
	v_add_co_u32 v1, s1, s1, v65
	s_delay_alu instid0(VALU_DEP_1) | instskip(SKIP_1) | instid1(VALU_DEP_3)
	v_add_co_ci_u32_e64 v2, null, s3, 0, s1
	v_lshlrev_b64 v[25:26], 1, v[3:4]
	v_add_co_u32 v23, vcc_lo, v1, v5
	s_delay_alu instid0(VALU_DEP_3)
	v_add_co_ci_u32_e32 v24, vcc_lo, v2, v6, vcc_lo
	ds_load_b128 v[3:6], v15
	ds_load_b128 v[7:10], v15 offset:128
	ds_load_b128 v[11:14], v15 offset:256
	;; [unrolled: 1-line block ×3, first 2 shown]
	v_ashrrev_i32_e32 v22, 31, v21
	v_lshlrev_b64 v[19:20], 1, v[19:20]
	v_add_co_u32 v25, vcc_lo, v1, v25
	v_add_co_ci_u32_e32 v26, vcc_lo, v2, v26, vcc_lo
	s_delay_alu instid0(VALU_DEP_4) | instskip(NEXT) | instid1(VALU_DEP_4)
	v_lshlrev_b64 v[21:22], 1, v[21:22]
	v_add_co_u32 v19, vcc_lo, v1, v19
	v_add_co_ci_u32_e32 v20, vcc_lo, v2, v20, vcc_lo
	s_delay_alu instid0(VALU_DEP_3) | instskip(NEXT) | instid1(VALU_DEP_4)
	v_add_co_u32 v21, vcc_lo, v1, v21
	v_add_co_ci_u32_e32 v22, vcc_lo, v2, v22, vcc_lo
	s_waitcnt lgkmcnt(3)
	global_store_b128 v[23:24], v[3:6], off
	s_waitcnt lgkmcnt(2)
	global_store_b128 v[25:26], v[7:10], off
	;; [unrolled: 2-line block ×4, first 2 shown]
	s_and_b32 exec_lo, exec_lo, s2
	s_cbranch_execz .LBB1254_2
; %bb.16:
	ds_load_b128 v[3:6], v0 offset:512
	s_add_i32 s1, s31, 8
	s_delay_alu instid0(SALU_CYCLE_1) | instskip(NEXT) | instid1(SALU_CYCLE_1)
	s_mul_i32 s0, s1, s0
	s_ashr_i32 s1, s0, 31
	s_delay_alu instid0(SALU_CYCLE_1) | instskip(NEXT) | instid1(SALU_CYCLE_1)
	s_lshl_b64 s[0:1], s[0:1], 1
	v_add_co_u32 v0, vcc_lo, v1, s0
	v_add_co_ci_u32_e32 v1, vcc_lo, s1, v2, vcc_lo
	s_waitcnt lgkmcnt(0)
	global_store_b128 v[0:1], v[3:6], off
	s_nop 0
	s_sendmsg sendmsg(MSG_DEALLOC_VGPRS)
	s_endpgm
	.section	.rodata,"a",@progbits
	.p2align	6, 0x0
	.amdhsa_kernel _Z39paged_attention_ll4mi_QKV_mfma16_kernelIDF16_hLN4vllm18Fp8KVCacheDataTypeE1EDF16_Li16ELi128ELi256ELb1ELi9EL8MFMAType0EEvPKT_PKT0_S8_ifPKiSA_SA_iPKfiiiPfSD_PS3_PT2_iSC_SC_
		.amdhsa_group_segment_fixed_size 17472
		.amdhsa_private_segment_fixed_size 0
		.amdhsa_kernarg_size 400
		.amdhsa_user_sgpr_count 13
		.amdhsa_user_sgpr_dispatch_ptr 0
		.amdhsa_user_sgpr_queue_ptr 0
		.amdhsa_user_sgpr_kernarg_segment_ptr 1
		.amdhsa_user_sgpr_dispatch_id 0
		.amdhsa_user_sgpr_private_segment_size 0
		.amdhsa_wavefront_size32 1
		.amdhsa_uses_dynamic_stack 0
		.amdhsa_enable_private_segment 0
		.amdhsa_system_sgpr_workgroup_id_x 1
		.amdhsa_system_sgpr_workgroup_id_y 1
		.amdhsa_system_sgpr_workgroup_id_z 1
		.amdhsa_system_sgpr_workgroup_info 0
		.amdhsa_system_vgpr_workitem_id 0
		.amdhsa_next_free_vgpr 150
		.amdhsa_next_free_sgpr 36
		.amdhsa_reserve_vcc 1
		.amdhsa_float_round_mode_32 0
		.amdhsa_float_round_mode_16_64 0
		.amdhsa_float_denorm_mode_32 3
		.amdhsa_float_denorm_mode_16_64 3
		.amdhsa_dx10_clamp 1
		.amdhsa_ieee_mode 1
		.amdhsa_fp16_overflow 0
		.amdhsa_workgroup_processor_mode 1
		.amdhsa_memory_ordered 1
		.amdhsa_forward_progress 0
		.amdhsa_shared_vgpr_count 0
		.amdhsa_exception_fp_ieee_invalid_op 0
		.amdhsa_exception_fp_denorm_src 0
		.amdhsa_exception_fp_ieee_div_zero 0
		.amdhsa_exception_fp_ieee_overflow 0
		.amdhsa_exception_fp_ieee_underflow 0
		.amdhsa_exception_fp_ieee_inexact 0
		.amdhsa_exception_int_div_zero 0
	.end_amdhsa_kernel
	.section	.text._Z39paged_attention_ll4mi_QKV_mfma16_kernelIDF16_hLN4vllm18Fp8KVCacheDataTypeE1EDF16_Li16ELi128ELi256ELb1ELi9EL8MFMAType0EEvPKT_PKT0_S8_ifPKiSA_SA_iPKfiiiPfSD_PS3_PT2_iSC_SC_,"axG",@progbits,_Z39paged_attention_ll4mi_QKV_mfma16_kernelIDF16_hLN4vllm18Fp8KVCacheDataTypeE1EDF16_Li16ELi128ELi256ELb1ELi9EL8MFMAType0EEvPKT_PKT0_S8_ifPKiSA_SA_iPKfiiiPfSD_PS3_PT2_iSC_SC_,comdat
.Lfunc_end1254:
	.size	_Z39paged_attention_ll4mi_QKV_mfma16_kernelIDF16_hLN4vllm18Fp8KVCacheDataTypeE1EDF16_Li16ELi128ELi256ELb1ELi9EL8MFMAType0EEvPKT_PKT0_S8_ifPKiSA_SA_iPKfiiiPfSD_PS3_PT2_iSC_SC_, .Lfunc_end1254-_Z39paged_attention_ll4mi_QKV_mfma16_kernelIDF16_hLN4vllm18Fp8KVCacheDataTypeE1EDF16_Li16ELi128ELi256ELb1ELi9EL8MFMAType0EEvPKT_PKT0_S8_ifPKiSA_SA_iPKfiiiPfSD_PS3_PT2_iSC_SC_
                                        ; -- End function
	.section	.AMDGPU.csdata,"",@progbits
; Kernel info:
; codeLenInByte = 6736
; NumSgprs: 38
; NumVgprs: 150
; ScratchSize: 0
; MemoryBound: 0
; FloatMode: 240
; IeeeMode: 1
; LDSByteSize: 17472 bytes/workgroup (compile time only)
; SGPRBlocks: 4
; VGPRBlocks: 18
; NumSGPRsForWavesPerEU: 38
; NumVGPRsForWavesPerEU: 150
; Occupancy: 9
; WaveLimiterHint : 1
; COMPUTE_PGM_RSRC2:SCRATCH_EN: 0
; COMPUTE_PGM_RSRC2:USER_SGPR: 13
; COMPUTE_PGM_RSRC2:TRAP_HANDLER: 0
; COMPUTE_PGM_RSRC2:TGID_X_EN: 1
; COMPUTE_PGM_RSRC2:TGID_Y_EN: 1
; COMPUTE_PGM_RSRC2:TGID_Z_EN: 1
; COMPUTE_PGM_RSRC2:TIDIG_COMP_CNT: 0
	.section	.text._Z39paged_attention_ll4mi_QKV_mfma16_kernelIDF16_hLN4vllm18Fp8KVCacheDataTypeE1EDF16_Li16ELi128ELi256ELb1ELi10EL8MFMAType0EEvPKT_PKT0_S8_ifPKiSA_SA_iPKfiiiPfSD_PS3_PT2_iSC_SC_,"axG",@progbits,_Z39paged_attention_ll4mi_QKV_mfma16_kernelIDF16_hLN4vllm18Fp8KVCacheDataTypeE1EDF16_Li16ELi128ELi256ELb1ELi10EL8MFMAType0EEvPKT_PKT0_S8_ifPKiSA_SA_iPKfiiiPfSD_PS3_PT2_iSC_SC_,comdat
	.protected	_Z39paged_attention_ll4mi_QKV_mfma16_kernelIDF16_hLN4vllm18Fp8KVCacheDataTypeE1EDF16_Li16ELi128ELi256ELb1ELi10EL8MFMAType0EEvPKT_PKT0_S8_ifPKiSA_SA_iPKfiiiPfSD_PS3_PT2_iSC_SC_ ; -- Begin function _Z39paged_attention_ll4mi_QKV_mfma16_kernelIDF16_hLN4vllm18Fp8KVCacheDataTypeE1EDF16_Li16ELi128ELi256ELb1ELi10EL8MFMAType0EEvPKT_PKT0_S8_ifPKiSA_SA_iPKfiiiPfSD_PS3_PT2_iSC_SC_
	.globl	_Z39paged_attention_ll4mi_QKV_mfma16_kernelIDF16_hLN4vllm18Fp8KVCacheDataTypeE1EDF16_Li16ELi128ELi256ELb1ELi10EL8MFMAType0EEvPKT_PKT0_S8_ifPKiSA_SA_iPKfiiiPfSD_PS3_PT2_iSC_SC_
	.p2align	8
	.type	_Z39paged_attention_ll4mi_QKV_mfma16_kernelIDF16_hLN4vllm18Fp8KVCacheDataTypeE1EDF16_Li16ELi128ELi256ELb1ELi10EL8MFMAType0EEvPKT_PKT0_S8_ifPKiSA_SA_iPKfiiiPfSD_PS3_PT2_iSC_SC_,@function
_Z39paged_attention_ll4mi_QKV_mfma16_kernelIDF16_hLN4vllm18Fp8KVCacheDataTypeE1EDF16_Li16ELi128ELi256ELb1ELi10EL8MFMAType0EEvPKT_PKT0_S8_ifPKiSA_SA_iPKfiiiPfSD_PS3_PT2_iSC_SC_: ; @_Z39paged_attention_ll4mi_QKV_mfma16_kernelIDF16_hLN4vllm18Fp8KVCacheDataTypeE1EDF16_Li16ELi128ELi256ELb1ELi10EL8MFMAType0EEvPKT_PKT0_S8_ifPKiSA_SA_iPKfiiiPfSD_PS3_PT2_iSC_SC_
; %bb.0:
	s_load_b64 s[4:5], s[0:1], 0x30
	s_mov_b32 s30, s13
	s_waitcnt lgkmcnt(0)
	s_cmp_lg_u64 s[4:5], 0
	s_cselect_b32 s8, -1, 0
	s_ashr_i32 s31, s13, 31
	s_cmp_eq_u64 s[4:5], 0
	s_cbranch_scc1 .LBB1255_3
; %bb.1:
	s_lshl_b64 s[2:3], s[30:31], 2
	s_delay_alu instid0(SALU_CYCLE_1) | instskip(SKIP_4) | instid1(SALU_CYCLE_1)
	s_add_u32 s2, s4, s2
	s_addc_u32 s3, s5, s3
	s_load_b64 s[2:3], s[2:3], 0x0
	s_waitcnt lgkmcnt(0)
	s_sub_i32 s2, s3, s2
	s_cmp_eq_u32 s2, 1
	s_cselect_b32 s2, -1, 0
	s_delay_alu instid0(SALU_CYCLE_1)
	s_and_not1_b32 vcc_lo, exec_lo, s2
	s_cbranch_vccz .LBB1255_4
.LBB1255_2:
	s_endpgm
.LBB1255_3:
.LBB1255_4:
	s_load_b64 s[2:3], s[0:1], 0x28
	s_lshl_b64 s[6:7], s[30:31], 2
	s_waitcnt lgkmcnt(0)
	s_add_u32 s2, s2, s6
	s_addc_u32 s3, s3, s7
	s_lshl_b32 s12, s14, 8
	s_load_b32 s24, s[2:3], 0x0
	s_waitcnt lgkmcnt(0)
	s_cmp_ge_i32 s12, s24
	s_cbranch_scc1 .LBB1255_2
; %bb.5:
	s_clause 0x1
	s_load_b128 s[20:23], s[0:1], 0x8
	s_load_b64 s[2:3], s[0:1], 0x20
	s_and_not1_b32 vcc_lo, exec_lo, s8
	s_cbranch_vccnz .LBB1255_7
; %bb.6:
	s_add_u32 s4, s4, s6
	s_addc_u32 s5, s5, s7
	s_load_b32 s5, s[4:5], 0x0
	s_branch .LBB1255_8
.LBB1255_7:
	s_mov_b32 s5, s30
.LBB1255_8:
	s_load_b128 s[16:19], s[0:1], 0x48
	v_and_b32_e32 v68, 15, v0
	v_lshrrev_b32_e32 v69, 5, v0
	v_and_b32_e32 v70, 31, v0
	v_and_b32_e32 v67, 1, v0
	v_bfe_u32 v66, v0, 4, 1
	v_lshlrev_b32_e32 v1, 3, v68
	s_mul_i32 s31, s15, 10
	s_mov_b32 s4, exec_lo
	s_delay_alu instid0(VALU_DEP_1)
	v_lshlrev_b32_e32 v65, 1, v1
	v_cmpx_gt_u32_e32 0xa0, v0
	s_cbranch_execz .LBB1255_10
; %bb.9:
	s_load_b64 s[6:7], s[0:1], 0x0
	v_lshl_or_b32 v5, v69, 1, v66
	s_waitcnt lgkmcnt(0)
	s_mul_hi_i32 s9, s5, s16
	s_mul_i32 s8, s5, s16
	v_lshlrev_b32_e32 v6, 10, v68
	s_lshl_b64 s[8:9], s[8:9], 1
	v_add_lshl_u32 v1, v5, s31, 7
	v_lshlrev_b32_e32 v5, 6, v5
	v_lshlrev_b32_e32 v7, 10, v67
	v_and_b32_e32 v6, 0x3800, v6
	s_delay_alu instid0(VALU_DEP_4) | instskip(NEXT) | instid1(VALU_DEP_2)
	v_ashrrev_i32_e32 v2, 31, v1
	v_or3_b32 v5, v6, v7, v5
	s_delay_alu instid0(VALU_DEP_2) | instskip(SKIP_2) | instid1(VALU_DEP_1)
	v_lshlrev_b64 v[1:2], 1, v[1:2]
	s_add_u32 s5, s6, s8
	s_addc_u32 s6, s7, s9
	v_add_co_u32 v1, vcc_lo, s5, v1
	s_delay_alu instid0(VALU_DEP_2) | instskip(NEXT) | instid1(VALU_DEP_2)
	v_add_co_ci_u32_e32 v2, vcc_lo, s6, v2, vcc_lo
	v_add_co_u32 v1, vcc_lo, v1, v65
	s_delay_alu instid0(VALU_DEP_2)
	v_add_co_ci_u32_e32 v2, vcc_lo, 0, v2, vcc_lo
	global_load_b128 v[1:4], v[1:2], off
	s_waitcnt vmcnt(0)
	ds_store_b128 v5, v[1:4]
.LBB1255_10:
	s_or_b32 exec_lo, exec_lo, s4
	v_and_b32_e32 v1, 0xef, v0
	s_waitcnt lgkmcnt(0)
	s_add_i32 s5, s24, 15
	s_clause 0x1
	s_load_b32 s4, s[0:1], 0x38
	s_load_b32 s33, s[0:1], 0x98
	s_ashr_i32 s6, s5, 31
	v_add_nc_u32_e32 v1, s12, v1
	s_lshr_b32 s6, s6, 28
	s_load_b32 s19, s[0:1], 0x1c
	s_add_i32 s5, s5, s6
	s_waitcnt lgkmcnt(0)
	v_ashrrev_i32_e32 v2, 31, v1
	v_or_b32_e32 v3, 16, v1
	s_ashr_i32 s13, s5, 4
	v_cmp_gt_i32_e32 vcc_lo, s24, v1
	s_add_i32 s13, s13, -1
	v_lshrrev_b32_e32 v2, 28, v2
	s_barrier
	buffer_gl0_inv
	s_mul_i32 s15, s15, s18
	v_add_nc_u32_e32 v4, v1, v2
	s_mul_i32 s4, s30, s4
	s_delay_alu instid0(SALU_CYCLE_1) | instskip(NEXT) | instid1(VALU_DEP_1)
	s_ashr_i32 s5, s4, 31
	v_ashrrev_i32_e32 v4, 4, v4
	v_add_nc_u32_e32 v2, v3, v2
	s_lshl_b64 s[4:5], s[4:5], 2
	s_delay_alu instid0(SALU_CYCLE_1) | instskip(NEXT) | instid1(VALU_DEP_2)
	s_add_u32 s16, s2, s4
	v_cndmask_b32_e32 v1, s13, v4, vcc_lo
	s_delay_alu instid0(VALU_DEP_2)
	v_ashrrev_i32_e32 v2, 4, v2
	v_cmp_gt_i32_e32 vcc_lo, s24, v3
	s_addc_u32 s25, s3, s5
	s_ashr_i32 s18, s15, 31
	s_add_u32 s26, s20, s15
	s_addc_u32 s27, s21, s18
	v_cndmask_b32_e32 v3, s13, v2, vcc_lo
	v_ashrrev_i32_e32 v2, 31, v1
	s_lshl_b32 s2, s14, 4
	s_delay_alu instid0(SALU_CYCLE_1) | instskip(NEXT) | instid1(VALU_DEP_2)
	s_ashr_i32 s3, s2, 31
	v_ashrrev_i32_e32 v4, 31, v3
	s_delay_alu instid0(VALU_DEP_2) | instskip(SKIP_1) | instid1(SALU_CYCLE_1)
	v_lshlrev_b64 v[1:2], 2, v[1:2]
	s_lshl_b64 s[2:3], s[2:3], 2
	s_add_u32 s2, s16, s2
	s_delay_alu instid0(VALU_DEP_2) | instskip(SKIP_1) | instid1(VALU_DEP_2)
	v_lshlrev_b64 v[3:4], 2, v[3:4]
	s_addc_u32 s3, s25, s3
	v_add_co_u32 v1, vcc_lo, s16, v1
	v_add_co_ci_u32_e32 v2, vcc_lo, s25, v2, vcc_lo
	s_delay_alu instid0(VALU_DEP_3) | instskip(NEXT) | instid1(VALU_DEP_4)
	v_add_co_u32 v3, vcc_lo, s16, v3
	v_add_co_ci_u32_e32 v4, vcc_lo, s25, v4, vcc_lo
	s_clause 0x1
	global_load_b32 v5, v[1:2], off
	global_load_b32 v7, v[3:4], off
	s_or_b32 s4, s12, 32
	v_lshlrev_b32_e32 v1, 4, v0
	s_ashr_i32 s5, s4, 4
	s_cmp_lt_i32 s4, s24
	v_cmp_gt_u32_e32 vcc_lo, 10, v68
	s_cselect_b32 s4, s5, s13
	v_and_b32_e32 v1, 0xf0, v1
	s_ashr_i32 s5, s4, 31
	s_delay_alu instid0(SALU_CYCLE_1) | instskip(NEXT) | instid1(SALU_CYCLE_1)
	s_lshl_b64 s[4:5], s[4:5], 2
	s_add_u32 s4, s16, s4
	s_addc_u32 s5, s25, s5
	s_or_b32 s6, s12, 64
	v_add_co_u32 v1, s26, s26, v1
	s_ashr_i32 s7, s6, 4
	s_cmp_lt_i32 s6, s24
	v_add_co_ci_u32_e64 v2, null, s27, 0, s26
	s_cselect_b32 s6, s7, s13
	s_delay_alu instid0(SALU_CYCLE_1) | instskip(NEXT) | instid1(SALU_CYCLE_1)
	s_ashr_i32 s7, s6, 31
	s_lshl_b64 s[6:7], s[6:7], 2
	s_delay_alu instid0(SALU_CYCLE_1) | instskip(SKIP_2) | instid1(SALU_CYCLE_1)
	s_add_u32 s6, s16, s6
	s_addc_u32 s7, s25, s7
	s_or_b32 s8, s12, 0x60
	s_ashr_i32 s9, s8, 4
	s_cmp_lt_i32 s8, s24
	s_cselect_b32 s8, s9, s13
	s_delay_alu instid0(SALU_CYCLE_1) | instskip(NEXT) | instid1(SALU_CYCLE_1)
	s_ashr_i32 s9, s8, 31
	s_lshl_b64 s[8:9], s[8:9], 2
	s_delay_alu instid0(SALU_CYCLE_1) | instskip(SKIP_2) | instid1(SALU_CYCLE_1)
	s_add_u32 s8, s16, s8
	s_addc_u32 s9, s25, s9
	s_or_b32 s10, s12, 0x80
	s_ashr_i32 s11, s10, 4
	s_cmp_lt_i32 s10, s24
	;; [unrolled: 10-line block ×3, first 2 shown]
	s_cselect_b32 s20, s21, s13
	s_delay_alu instid0(SALU_CYCLE_1) | instskip(NEXT) | instid1(SALU_CYCLE_1)
	s_ashr_i32 s21, s20, 31
	s_lshl_b64 s[20:21], s[20:21], 2
	s_delay_alu instid0(SALU_CYCLE_1)
	s_add_u32 s20, s16, s20
	s_addc_u32 s21, s25, s21
	s_clause 0x5
	s_load_b32 s26, s[2:3], 0x0
	s_load_b32 s27, s[4:5], 0x0
	;; [unrolled: 1-line block ×6, first 2 shown]
	s_or_b32 s2, s12, 0xc0
	s_mov_b32 s4, 0
	s_ashr_i32 s3, s2, 4
	s_cmp_lt_i32 s2, s24
	s_mov_b32 s11, s4
	s_cselect_b32 s2, s3, s13
	s_mov_b32 s5, s4
	s_ashr_i32 s3, s2, 31
	s_mov_b32 s6, s4
	s_lshl_b64 s[2:3], s[2:3], 2
	s_mov_b32 s7, s4
	s_add_u32 s2, s16, s2
	s_addc_u32 s3, s25, s3
	s_or_b32 s20, s12, 0xe0
	s_mov_b32 s8, s4
	s_ashr_i32 s21, s20, 4
	s_cmp_lt_i32 s20, s24
	s_mov_b32 s9, s4
	s_cselect_b32 s20, s21, s13
	s_mov_b32 s10, s4
	s_ashr_i32 s21, s20, 31
	v_mov_b32_e32 v118, s11
	v_dual_mov_b32 v112, s5 :: v_dual_mov_b32 v117, s10
	v_dual_mov_b32 v116, s9 :: v_dual_mov_b32 v115, s8
	;; [unrolled: 1-line block ×3, first 2 shown]
	v_mov_b32_e32 v111, s4
	s_lshl_b64 s[4:5], s[20:21], 2
	s_delay_alu instid0(SALU_CYCLE_1)
	s_add_u32 s4, s16, s4
	s_addc_u32 s5, s25, s5
	s_add_u32 s6, s22, s15
	s_addc_u32 s7, s23, s18
	s_waitcnt vmcnt(1)
	v_mad_i64_i32 v[3:4], null, v5, s17, v[1:2]
	s_waitcnt vmcnt(0)
	v_mad_i64_i32 v[5:6], null, v7, s17, v[1:2]
	v_add_nc_u32_e32 v1, -10, v68
	v_lshlrev_b32_e32 v2, 4, v68
	s_clause 0xf
	global_load_b128 v[17:20], v[3:4], off
	global_load_b128 v[21:24], v[3:4], off offset:256
	global_load_b128 v[25:28], v[5:6], off
	global_load_b128 v[29:32], v[5:6], off offset:256
	global_load_b128 v[57:60], v[3:4], off offset:512
	;; [unrolled: 1-line block ×13, first 2 shown]
	v_cndmask_b32_e32 v1, v1, v68, vcc_lo
	s_delay_alu instid0(VALU_DEP_1)
	v_lshlrev_b32_e32 v149, 6, v1
	v_lshl_or_b32 v1, v69, 8, v2
	ds_load_b128 v[119:122], v149
	ds_load_b128 v[123:126], v149 offset:1024
	ds_load_b128 v[127:130], v149 offset:2048
	;; [unrolled: 1-line block ×3, first 2 shown]
	s_clause 0x1
	s_load_b32 s2, s[2:3], 0x0
	s_load_b32 s3, s[4:5], 0x0
	v_add_co_u32 v135, s6, s6, v1
	s_delay_alu instid0(VALU_DEP_1) | instskip(SKIP_1) | instid1(VALU_DEP_1)
	v_add_co_ci_u32_e64 v136, null, s7, 0, s6
	s_waitcnt lgkmcnt(0)
	v_mad_i64_i32 v[1:2], null, s26, s17, v[135:136]
	v_mad_i64_i32 v[3:4], null, s27, s17, v[135:136]
	;; [unrolled: 1-line block ×6, first 2 shown]
	s_clause 0x9
	global_load_b128 v[49:52], v[1:2], off
	global_load_b128 v[53:56], v[1:2], off offset:16
	global_load_b128 v[41:44], v[3:4], off
	global_load_b128 v[45:48], v[3:4], off offset:16
	;; [unrolled: 2-line block ×5, first 2 shown]
	v_mad_i64_i32 v[145:146], null, s2, s17, v[135:136]
	v_mad_i64_i32 v[147:148], null, s3, s17, v[135:136]
	s_waitcnt vmcnt(24)
	v_wmma_f32_16x16x16_f16 v[135:142], v[17:24], v[119:126], v[111:118]
	s_waitcnt vmcnt(22)
	v_wmma_f32_16x16x16_f16 v[111:118], v[25:32], v[119:126], v[111:118]
	s_clause 0x3
	global_load_b128 v[17:20], v[143:144], off
	global_load_b128 v[21:24], v[143:144], off offset:16
	global_load_b128 v[25:28], v[145:146], off
	global_load_b128 v[29:32], v[145:146], off offset:16
	v_and_b32_e32 v119, 0xe0, v0
	s_waitcnt vmcnt(24)
	v_wmma_f32_16x16x16_f16 v[135:142], v[57:64], v[127:134], v[135:142]
	s_clause 0x1
	global_load_b128 v[57:60], v[147:148], off
	global_load_b128 v[61:64], v[147:148], off offset:16
	s_waitcnt vmcnt(24)
	v_wmma_f32_16x16x16_f16 v[111:118], v[71:78], v[127:134], v[111:118]
	ds_load_b128 v[71:74], v149 offset:4096
	ds_load_b128 v[75:78], v149 offset:5120
	v_add_nc_u32_e32 v128, s12, v119
	ds_load_b128 v[119:122], v149 offset:6144
	ds_load_b128 v[123:126], v149 offset:7168
	v_mbcnt_lo_u32_b32 v127, -1, 0
	s_waitcnt vmcnt(0) lgkmcnt(0)
	s_barrier
	v_or_b32_e32 v128, v128, v66
	buffer_gl0_inv
	v_xor_b32_e32 v129, 16, v127
	v_or_b32_e32 v130, 4, v128
	v_or_b32_e32 v131, 6, v128
	s_delay_alu instid0(VALU_DEP_3) | instskip(SKIP_4) | instid1(VALU_DEP_4)
	v_cmp_gt_i32_e32 vcc_lo, 32, v129
	v_or_b32_e32 v132, 8, v128
	v_or_b32_e32 v133, 10, v128
	v_cmp_gt_i32_e64 s3, s24, v130
	v_cmp_gt_i32_e64 s4, s24, v131
	;; [unrolled: 1-line block ×3, first 2 shown]
	v_wmma_f32_16x16x16_f16 v[135:142], v[79:86], v[71:78], v[135:142]
	v_wmma_f32_16x16x16_f16 v[111:118], v[87:94], v[71:78], v[111:118]
	v_or_b32_e32 v79, 12, v128
	v_or_b32_e32 v80, 14, v128
	v_cmp_gt_i32_e64 s6, s24, v133
	v_wmma_f32_16x16x16_f16 v[135:142], v[95:102], v[119:126], v[135:142]
	v_wmma_f32_16x16x16_f16 v[111:118], v[103:110], v[119:126], v[111:118]
	v_cndmask_b32_e32 v127, v127, v129, vcc_lo
	v_or_b32_e32 v129, 2, v128
	v_cmp_gt_i32_e32 vcc_lo, s24, v128
	v_mul_f32_e32 v88, s19, v135
	v_dual_mul_f32 v92, s19, v115 :: v_dual_mul_f32 v87, s19, v136
	s_delay_alu instid0(VALU_DEP_4)
	v_cmp_gt_i32_e64 s2, s24, v129
	v_mul_f32_e32 v78, s19, v138
	v_mul_f32_e32 v86, s19, v137
	v_cndmask_b32_e32 v88, 0xff7fffff, v88, vcc_lo
	v_mul_f32_e32 v76, s19, v140
	v_cndmask_b32_e64 v87, 0xff7fffff, v87, s2
	v_dual_mul_f32 v77, s19, v139 :: v_dual_mul_f32 v94, s19, v113
	v_cndmask_b32_e64 v86, 0xff7fffff, v86, s3
	v_cndmask_b32_e64 v78, 0xff7fffff, v78, s4
	s_delay_alu instid0(VALU_DEP_4)
	v_max3_f32 v87, v88, 0xff7fffff, v87
	v_or_b32_e32 v81, 16, v128
	v_or_b32_e32 v82, 18, v128
	v_dual_mul_f32 v74, s19, v142 :: v_dual_mul_f32 v75, s19, v141
	v_mul_f32_e32 v96, s19, v111
	v_cndmask_b32_e64 v77, 0xff7fffff, v77, s5
	v_cndmask_b32_e64 v76, 0xff7fffff, v76, s6
	v_max3_f32 v78, v87, v86, v78
	v_cmp_gt_i32_e64 s7, s24, v79
	v_cmp_gt_i32_e64 s8, s24, v80
	v_or_b32_e32 v83, 20, v128
	v_or_b32_e32 v84, 22, v128
	v_mul_f32_e32 v95, s19, v112
	v_cndmask_b32_e64 v75, 0xff7fffff, v75, s7
	v_cndmask_b32_e64 v74, 0xff7fffff, v74, s8
	v_max3_f32 v76, v78, v77, v76
	v_cmp_gt_i32_e64 s9, s24, v81
	v_cmp_gt_i32_e64 s10, s24, v82
	v_or_b32_e32 v85, 24, v128
	v_or_b32_e32 v71, 26, v128
	;; [unrolled: 8-line block ×3, first 2 shown]
	v_mul_f32_e32 v91, s19, v116
	v_cndmask_b32_e64 v75, 0xff7fffff, v94, s11
	v_cndmask_b32_e64 v76, 0xff7fffff, v93, s12
	v_max3_f32 v74, v74, v77, v78
	v_cmp_gt_i32_e64 s13, s24, v85
	v_cmp_gt_i32_e64 s15, s24, v71
	v_dual_mul_f32 v89, s19, v118 :: v_dual_mul_f32 v90, s19, v117
	s_delay_alu instid0(VALU_DEP_4) | instskip(NEXT) | instid1(VALU_DEP_4)
	v_max3_f32 v74, v74, v75, v76
	v_cndmask_b32_e64 v77, 0xff7fffff, v92, s13
	s_delay_alu instid0(VALU_DEP_4) | instskip(SKIP_2) | instid1(VALU_DEP_3)
	v_cndmask_b32_e64 v71, 0xff7fffff, v91, s15
	v_cmp_gt_i32_e64 s16, s24, v72
	v_cmp_gt_i32_e64 s17, s24, v73
	v_max3_f32 v71, v74, v77, v71
	s_delay_alu instid0(VALU_DEP_3) | instskip(NEXT) | instid1(VALU_DEP_3)
	v_cndmask_b32_e64 v72, 0xff7fffff, v90, s16
	v_cndmask_b32_e64 v73, 0xff7fffff, v89, s17
	v_lshlrev_b32_e32 v74, 2, v127
	s_delay_alu instid0(VALU_DEP_2) | instskip(SKIP_3) | instid1(VALU_DEP_1)
	v_max3_f32 v71, v71, v72, v73
	ds_bpermute_b32 v72, v74, v71
	s_waitcnt lgkmcnt(0)
	v_max_f32_e32 v72, v72, v72
	v_max_f32_e32 v71, v71, v72
	s_delay_alu instid0(VALU_DEP_1) | instskip(SKIP_4) | instid1(VALU_DEP_4)
	v_fma_f32 v72, s19, v135, -v71
	v_fma_f32 v73, s19, v136, -v71
	;; [unrolled: 1-line block ×5, first 2 shown]
	v_dual_mul_f32 v72, 0x3fb8aa3b, v72 :: v_dual_mul_f32 v73, 0x3fb8aa3b, v73
	v_fma_f32 v80, s19, v141, -v71
	s_delay_alu instid0(VALU_DEP_3) | instskip(NEXT) | instid1(VALU_DEP_3)
	v_dual_mul_f32 v76, 0x3fb8aa3b, v76 :: v_dual_mul_f32 v77, 0x3fb8aa3b, v77
	v_exp_f32_e32 v72, v72
	s_delay_alu instid0(VALU_DEP_3) | instskip(NEXT) | instid1(VALU_DEP_2)
	v_exp_f32_e32 v73, v73
	v_mul_f32_e32 v82, 0x3fb8aa3b, v80
	s_delay_alu instid0(VALU_DEP_2) | instskip(SKIP_1) | instid1(VALU_DEP_1)
	v_exp_f32_e32 v76, v76
	v_exp_f32_e32 v77, v77
	;; [unrolled: 1-line block ×3, first 2 shown]
	v_cndmask_b32_e32 v79, 0, v72, vcc_lo
	v_fma_f32 v72, s19, v140, -v71
	v_mul_f32_e32 v75, 0x3fb8aa3b, v75
	v_cndmask_b32_e64 v78, 0, v73, s2
	s_delay_alu instid0(TRANS32_DEP_3) | instskip(NEXT) | instid1(VALU_DEP_4)
	v_cndmask_b32_e64 v80, 0, v76, s4
	v_dual_add_f32 v73, 0, v79 :: v_dual_mul_f32 v72, 0x3fb8aa3b, v72
	s_delay_alu instid0(VALU_DEP_4) | instskip(NEXT) | instid1(TRANS32_DEP_3)
	v_exp_f32_e32 v75, v75
	v_cndmask_b32_e64 v83, 0, v77, s5
	s_delay_alu instid0(TRANS32_DEP_2) | instskip(NEXT) | instid1(VALU_DEP_3)
	v_cndmask_b32_e64 v85, 0, v84, s7
	v_add_f32_e32 v73, v73, v78
	v_exp_f32_e32 v72, v72
	s_mov_b32 s2, exec_lo
	s_waitcnt_depctr 0xfff
	v_cndmask_b32_e64 v81, 0, v75, s3
	v_cndmask_b32_e64 v82, 0, v72, s6
	s_delay_alu instid0(VALU_DEP_2) | instskip(NEXT) | instid1(VALU_DEP_1)
	v_add_f32_e32 v73, v73, v81
	v_add_f32_e32 v73, v73, v80
	s_delay_alu instid0(VALU_DEP_1) | instskip(NEXT) | instid1(VALU_DEP_1)
	v_add_f32_e32 v72, v73, v83
	v_add_f32_e32 v72, v72, v82
	s_delay_alu instid0(VALU_DEP_1)
	v_add_f32_e32 v72, v72, v85
	v_fma_f32 v76, s19, v111, -v71
	v_fma_f32 v75, s19, v142, -v71
	v_fma_f32 v86, s19, v114, -v71
	v_fma_f32 v77, s19, v112, -v71
	v_fma_f32 v73, s19, v113, -v71
	v_mul_f32_e32 v76, 0x3fb8aa3b, v76
	s_delay_alu instid0(VALU_DEP_4) | instskip(NEXT) | instid1(VALU_DEP_2)
	v_mul_f32_e32 v86, 0x3fb8aa3b, v86
	v_exp_f32_e32 v76, v76
	s_delay_alu instid0(VALU_DEP_1)
	v_exp_f32_e32 v88, v86
	s_waitcnt_depctr 0xfff
	v_cndmask_b32_e64 v87, 0, v76, s9
	v_fma_f32 v76, s19, v116, -v71
	v_mul_f32_e32 v75, 0x3fb8aa3b, v75
	v_cndmask_b32_e64 v88, 0, v88, s12
	s_delay_alu instid0(VALU_DEP_3) | instskip(NEXT) | instid1(VALU_DEP_3)
	v_dual_mul_f32 v73, 0x3fb8aa3b, v73 :: v_dual_mul_f32 v76, 0x3fb8aa3b, v76
	v_exp_f32_e32 v75, v75
	s_delay_alu instid0(VALU_DEP_1) | instskip(NEXT) | instid1(VALU_DEP_1)
	v_exp_f32_e32 v73, v73
	v_exp_f32_e32 v76, v76
	s_delay_alu instid0(TRANS32_DEP_3)
	v_cndmask_b32_e64 v84, 0, v75, s8
	v_fma_f32 v75, s19, v115, -v71
	s_waitcnt_depctr 0xfff
	v_cndmask_b32_e64 v89, 0, v73, s11
	v_cndmask_b32_e64 v90, 0, v76, s15
	v_add_f32_e32 v72, v72, v84
	s_delay_alu instid0(VALU_DEP_1) | instskip(NEXT) | instid1(VALU_DEP_1)
	v_dual_add_f32 v72, v72, v87 :: v_dual_mul_f32 v77, 0x3fb8aa3b, v77
	v_exp_f32_e32 v77, v77
	s_waitcnt_depctr 0xfff
	v_cndmask_b32_e64 v86, 0, v77, s10
	v_fma_f32 v77, s19, v117, -v71
	s_delay_alu instid0(VALU_DEP_2) | instskip(NEXT) | instid1(VALU_DEP_1)
	v_dual_add_f32 v72, v72, v86 :: v_dual_mul_f32 v75, 0x3fb8aa3b, v75
	v_add_f32_e32 v72, v72, v89
	s_delay_alu instid0(VALU_DEP_2) | instskip(NEXT) | instid1(VALU_DEP_1)
	v_exp_f32_e32 v75, v75
	v_add_f32_e32 v72, v72, v88
	s_waitcnt_depctr 0xfff
	v_cndmask_b32_e64 v91, 0, v75, s13
	v_mul_f32_e32 v73, 0x3fb8aa3b, v77
	v_fma_f32 v77, s19, v118, -v71
	s_delay_alu instid0(VALU_DEP_3) | instskip(NEXT) | instid1(VALU_DEP_3)
	v_add_f32_e32 v72, v72, v91
	v_exp_f32_e32 v73, v73
	s_delay_alu instid0(VALU_DEP_1) | instskip(NEXT) | instid1(VALU_DEP_1)
	v_dual_mul_f32 v75, 0x3fb8aa3b, v77 :: v_dual_add_f32 v72, v72, v90
	v_exp_f32_e32 v75, v75
	s_waitcnt_depctr 0xfff
	v_cndmask_b32_e64 v93, 0, v73, s16
	s_delay_alu instid0(VALU_DEP_1) | instskip(SKIP_1) | instid1(VALU_DEP_1)
	v_add_f32_e32 v72, v72, v93
	v_cndmask_b32_e64 v92, 0, v75, s17
	v_add_f32_e32 v72, v72, v92
	ds_bpermute_b32 v73, v74, v72
	v_cmpx_gt_u32_e32 16, v70
	s_cbranch_execz .LBB1255_12
; %bb.11:
	v_mul_u32_u24_e32 v70, 0x44, v69
	s_waitcnt lgkmcnt(0)
	v_add_f32_e32 v72, v72, v73
	s_delay_alu instid0(VALU_DEP_2) | instskip(NEXT) | instid1(VALU_DEP_1)
	v_lshl_add_u32 v70, v68, 2, v70
	v_add_nc_u32_e32 v70, 0x4000, v70
	ds_store_2addr_b32 v70, v71, v72 offset1:136
.LBB1255_12:
	s_or_b32 exec_lo, exec_lo, s2
	v_lshlrev_b32_e32 v70, 2, v68
	s_load_b32 s34, s[0:1], 0x94
	s_waitcnt lgkmcnt(0)
	s_barrier
	buffer_gl0_inv
	v_add_nc_u32_e32 v98, 0x4000, v70
	v_cmp_eq_u32_e32 vcc_lo, 1, v69
	v_cmp_eq_u32_e64 s2, 2, v69
	v_cmp_eq_u32_e64 s3, 3, v69
	;; [unrolled: 1-line block ×3, first 2 shown]
	ds_load_2addr_b32 v[70:71], v98 offset1:17
	ds_load_2addr_b32 v[72:73], v98 offset0:34 offset1:51
	ds_load_2addr_b32 v[74:75], v98 offset0:68 offset1:85
	;; [unrolled: 1-line block ×3, first 2 shown]
	v_cmp_eq_u32_e64 s5, 5, v69
	v_cmp_eq_u32_e64 s6, 7, v69
	s_waitcnt lgkmcnt(3)
	v_max3_f32 v76, v70, 0xff7fffff, v71
	s_waitcnt lgkmcnt(2)
	s_delay_alu instid0(VALU_DEP_1) | instskip(SKIP_1) | instid1(VALU_DEP_1)
	v_max3_f32 v76, v76, v72, v73
	s_waitcnt lgkmcnt(1)
	v_max3_f32 v76, v76, v74, v75
	s_waitcnt lgkmcnt(0)
	s_delay_alu instid0(VALU_DEP_1) | instskip(NEXT) | instid1(VALU_DEP_1)
	v_max3_f32 v76, v76, v94, v95
	v_sub_f32_e32 v77, v71, v76
	ds_load_2addr_b32 v[96:97], v98 offset0:136 offset1:153
	v_sub_f32_e32 v74, v74, v76
	v_sub_f32_e32 v70, v70, v76
	;; [unrolled: 1-line block ×3, first 2 shown]
	v_dual_sub_f32 v72, v72, v76 :: v_dual_mul_f32 v77, 0x3fb8aa3b, v77
	s_delay_alu instid0(VALU_DEP_4) | instskip(NEXT) | instid1(VALU_DEP_4)
	v_mul_f32_e32 v103, 0x3fb8aa3b, v74
	v_mul_f32_e32 v99, 0x3fb8aa3b, v70
	ds_load_2addr_b32 v[70:71], v98 offset0:170 offset1:187
	v_dual_mul_f32 v101, 0x3fb8aa3b, v72 :: v_dual_mul_f32 v94, 0x3fb8aa3b, v94
	v_exp_f32_e32 v102, v77
	v_exp_f32_e32 v99, v99
	s_delay_alu instid0(VALU_DEP_1) | instskip(NEXT) | instid1(VALU_DEP_1)
	v_exp_f32_e32 v101, v101
	v_exp_f32_e32 v94, v94
	s_waitcnt lgkmcnt(1)
	s_delay_alu instid0(TRANS32_DEP_3)
	v_fma_f32 v77, v99, v96, 0
	v_sub_f32_e32 v100, v73, v76
	ds_load_2addr_b32 v[72:73], v98 offset0:204 offset1:221
	v_fmac_f32_e32 v77, v102, v97
	v_exp_f32_e32 v97, v103
	s_waitcnt lgkmcnt(1)
	s_delay_alu instid0(VALU_DEP_1)
	v_dual_fmac_f32 v77, v101, v70 :: v_dual_sub_f32 v96, v75, v76
	ds_load_2addr_b32 v[74:75], v98 offset0:238 offset1:255
	v_sub_f32_e32 v70, v95, v76
	s_waitcnt lgkmcnt(0)
	s_barrier
	v_mul_f32_e32 v96, 0x3fb8aa3b, v96
	buffer_gl0_inv
	v_exp_f32_e32 v95, v96
	v_mul_f32_e32 v100, 0x3fb8aa3b, v100
	s_delay_alu instid0(VALU_DEP_1) | instskip(SKIP_3) | instid1(VALU_DEP_2)
	v_exp_f32_e32 v100, v100
	s_waitcnt_depctr 0xfff
	v_dual_fmac_f32 v77, v100, v71 :: v_dual_mul_f32 v70, 0x3fb8aa3b, v70
	v_cndmask_b32_e32 v71, v99, v102, vcc_lo
	v_fmac_f32_e32 v77, v97, v72
	s_delay_alu instid0(VALU_DEP_3) | instskip(NEXT) | instid1(VALU_DEP_1)
	v_exp_f32_e32 v96, v70
	v_fmac_f32_e32 v77, v95, v73
	s_delay_alu instid0(VALU_DEP_1) | instskip(SKIP_2) | instid1(VALU_DEP_1)
	v_fmac_f32_e32 v77, v94, v74
	s_waitcnt_depctr 0xfff
	v_fmac_f32_e32 v77, v96, v75
	v_add_f32_e32 v74, 0x358637bd, v77
	s_delay_alu instid0(VALU_DEP_1) | instskip(SKIP_1) | instid1(VALU_DEP_2)
	v_div_scale_f32 v98, null, v74, v74, 1.0
	v_div_scale_f32 v99, vcc_lo, 1.0, v74, 1.0
	v_rcp_f32_e32 v103, v98
	s_waitcnt_depctr 0xfff
	v_fma_f32 v70, -v98, v103, 1.0
	s_delay_alu instid0(VALU_DEP_1) | instskip(SKIP_2) | instid1(VALU_DEP_2)
	v_fmac_f32_e32 v103, v70, v103
	v_cndmask_b32_e64 v70, v71, v101, s2
	v_cmp_eq_u32_e64 s2, 6, v69
	v_cndmask_b32_e64 v71, v70, v100, s3
	s_delay_alu instid0(VALU_DEP_4) | instskip(NEXT) | instid1(VALU_DEP_2)
	v_dual_mul_f32 v101, v99, v103 :: v_dual_lshlrev_b32 v70, 2, v66
	v_cndmask_b32_e64 v71, v71, v97, s4
	s_delay_alu instid0(VALU_DEP_2) | instskip(NEXT) | instid1(VALU_DEP_3)
	v_or_b32_e32 v72, 1, v70
	v_fma_f32 v100, -v98, v101, v99
	v_cmp_eq_u32_e64 s3, 1, v70
	v_cmp_eq_u32_e64 s4, 2, v70
	v_cndmask_b32_e64 v95, v71, v95, s5
	v_or_b32_e32 v71, 3, v70
	v_fmac_f32_e32 v101, v100, v103
	v_cmp_eq_u32_e64 s8, 1, v72
	v_cmp_eq_u32_e64 s11, 2, v72
	v_cndmask_b32_e64 v94, v95, v94, s2
	v_cmp_eq_u32_e64 s10, 1, v71
	v_fma_f32 v97, -v98, v101, v99
	v_cmp_eq_u32_e64 s15, 2, v71
	v_cmp_eq_u32_e64 s12, 3, v72
	v_cndmask_b32_e64 v94, v94, v96, s6
	v_cmp_eq_u32_e64 s17, 3, v71
	v_div_fmas_f32 v95, v97, v103, v101
	v_cmp_eq_u32_e32 vcc_lo, 3, v70
	v_cmp_eq_u32_e64 s2, 4, v70
	v_cmp_eq_u32_e64 s18, 4, v72
	;; [unrolled: 1-line block ×3, first 2 shown]
	v_div_fixup_f32 v95, v95, v74, 1.0
	v_lshlrev_b32_e32 v73, 6, v68
	v_cmp_eq_u32_e64 s5, 5, v70
	v_cmp_eq_u32_e64 s19, 5, v72
	v_cmp_eq_u32_e64 s23, 5, v71
	v_mul_f32_e32 v102, v94, v95
	v_lshl_or_b32 v75, v69, 11, v73
	v_or_b32_e32 v69, 2, v70
	v_cmp_eq_u32_e64 s24, 6, v72
	v_cmp_eq_u32_e64 s26, 6, v71
	v_fma_mixlo_f16 v94, v102, v79, 0
	v_fma_mixlo_f16 v95, v102, v81, 0
	;; [unrolled: 1-line block ×8, first 2 shown]
	v_lshl_or_b32 v74, v66, 4, v75
	v_fma_mixhi_f16 v94, v102, v78, 0
	v_fma_mixhi_f16 v95, v102, v80, 0
	;; [unrolled: 1-line block ×8, first 2 shown]
	ds_store_b128 v74, v[94:97]
	ds_store_b128 v74, v[98:101] offset:1024
	s_waitcnt lgkmcnt(0)
	s_barrier
	buffer_gl0_inv
	ds_load_b128 v[78:81], v75
	ds_load_b128 v[82:85], v75 offset:16
	ds_load_b128 v[86:89], v75 offset:1024
	;; [unrolled: 1-line block ×3, first 2 shown]
	v_cmp_eq_u32_e64 s9, 1, v69
	v_cmp_eq_u32_e64 s13, 2, v69
	v_cmp_eq_u32_e64 s16, 3, v69
	v_cmp_eq_u32_e64 s20, 4, v69
	v_cmp_eq_u32_e64 s22, 5, v69
	v_cmp_eq_u32_e64 s6, 6, v70
	v_cmp_eq_u32_e64 s25, 6, v69
	v_cmp_eq_u32_e64 s28, 7, v71
	v_cmp_eq_u32_e64 s29, 7, v72
	v_cmp_eq_u32_e64 s7, 7, v70
	v_cmp_eq_u32_e64 s27, 7, v69
	s_waitcnt lgkmcnt(3)
	v_lshrrev_b32_e32 v94, 16, v78
	s_waitcnt lgkmcnt(2)
	v_lshrrev_b32_e32 v98, 16, v82
	;; [unrolled: 2-line block ×4, first 2 shown]
	v_lshrrev_b32_e32 v95, 16, v79
	v_cndmask_b32_e64 v110, v78, v94, s3
	v_cndmask_b32_e64 v111, v82, v98, s3
	;; [unrolled: 1-line block ×8, first 2 shown]
	v_lshrrev_b32_e32 v99, 16, v83
	v_cndmask_b32_e64 v94, v86, v102, s3
	v_cndmask_b32_e64 v98, v90, v106, s3
	;; [unrolled: 1-line block ×15, first 2 shown]
	v_lshrrev_b32_e32 v103, 16, v87
	v_lshrrev_b32_e32 v107, 16, v91
	v_cndmask_b32_e64 v113, v115, v83, s13
	v_cndmask_b32_e64 v82, v94, v87, s4
	;; [unrolled: 1-line block ×7, first 2 shown]
	v_cndmask_b32_e32 v90, v102, v95, vcc_lo
	v_cndmask_b32_e32 v102, v106, v99, vcc_lo
	v_cndmask_b32_e64 v106, v110, v95, s12
	v_cndmask_b32_e64 v110, v111, v99, s12
	;; [unrolled: 1-line block ×4, first 2 shown]
	v_lshrrev_b32_e32 v96, 16, v80
	v_lshrrev_b32_e32 v100, 16, v84
	v_cndmask_b32_e64 v111, v112, v95, s16
	v_cndmask_b32_e64 v112, v113, v99, s16
	v_cndmask_b32_e32 v82, v82, v103, vcc_lo
	v_cndmask_b32_e32 v83, v83, v107, vcc_lo
	v_cndmask_b32_e64 v94, v94, v103, s12
	v_cndmask_b32_e64 v90, v90, v80, s2
	;; [unrolled: 1-line block ×7, first 2 shown]
	v_lshrrev_b32_e32 v104, 16, v88
	v_cndmask_b32_e64 v106, v111, v80, s20
	v_cndmask_b32_e64 v110, v112, v84, s20
	;; [unrolled: 1-line block ×11, first 2 shown]
	v_lshrrev_b32_e32 v97, 16, v81
	v_lshrrev_b32_e32 v101, 16, v85
	v_cndmask_b32_e64 v99, v106, v96, s22
	v_cndmask_b32_e64 v102, v110, v100, s22
	;; [unrolled: 1-line block ×7, first 2 shown]
	v_lshrrev_b32_e32 v105, 16, v89
	v_cndmask_b32_e64 v80, v80, v104, s5
	v_cndmask_b32_e64 v84, v84, v81, s6
	;; [unrolled: 1-line block ×16, first 2 shown]
	v_perm_b32 v81, v79, v78, 0x5040100
	v_perm_b32 v79, v95, v85, 0x5040100
	v_cndmask_b32_e64 v78, v119, v91, s13
	v_cndmask_b32_e64 v85, v117, v91, s11
	;; [unrolled: 1-line block ×3, first 2 shown]
	v_perm_b32 v80, v94, v90, 0x5040100
	v_cndmask_b32_e64 v90, v98, v103, s16
	v_cndmask_b32_e64 v86, v86, v103, s17
	;; [unrolled: 1-line block ×5, first 2 shown]
	v_lshrrev_b32_e32 v108, 16, v92
	v_cndmask_b32_e64 v90, v90, v88, s20
	v_cndmask_b32_e64 v86, v86, v88, s21
	;; [unrolled: 1-line block ×11, first 2 shown]
	v_lshrrev_b32_e32 v109, 16, v93
	v_cndmask_b32_e64 v82, v82, v93, s6
	v_cndmask_b32_e64 v88, v88, v89, s25
	;; [unrolled: 1-line block ×12, first 2 shown]
	v_perm_b32 v78, v84, v83, 0x5040100
	v_perm_b32 v85, v87, v86, 0x5040100
	;; [unrolled: 1-line block ×5, first 2 shown]
	s_mul_i32 s7, s33, 10
	s_mov_b32 s2, exec_lo
	ds_store_b128 v74, v[78:81]
	ds_store_b128 v74, v[82:85] offset:1024
	v_cmpx_gt_u32_e32 10, v0
	s_cbranch_execz .LBB1255_14
; %bb.13:
	s_mul_i32 s3, s7, s30
	s_load_b128 s[8:11], s[0:1], 0x58
	v_add3_u32 v68, s3, s31, v68
	s_delay_alu instid0(VALU_DEP_1) | instskip(NEXT) | instid1(VALU_DEP_1)
	v_mad_u64_u32 v[78:79], null, v68, s34, s[14:15]
	v_ashrrev_i32_e32 v79, 31, v78
	s_delay_alu instid0(VALU_DEP_1) | instskip(SKIP_1) | instid1(VALU_DEP_1)
	v_lshlrev_b64 v[78:79], 2, v[78:79]
	s_waitcnt lgkmcnt(0)
	v_add_co_u32 v80, vcc_lo, s10, v78
	s_delay_alu instid0(VALU_DEP_2)
	v_add_co_ci_u32_e32 v81, vcc_lo, s11, v79, vcc_lo
	v_add_co_u32 v78, vcc_lo, s8, v78
	v_add_co_ci_u32_e32 v79, vcc_lo, s9, v79, vcc_lo
	global_store_b32 v[80:81], v76, off
	global_store_b32 v[78:79], v77, off
.LBB1255_14:
	s_or_b32 exec_lo, exec_lo, s2
	s_waitcnt lgkmcnt(0)
	s_waitcnt_vscnt null, 0x0
	s_barrier
	buffer_gl0_inv
	ds_load_b128 v[84:87], v73
	ds_load_b128 v[88:91], v73 offset:16
	ds_load_b128 v[96:99], v73 offset:2064
	;; [unrolled: 1-line block ×5, first 2 shown]
	v_cmp_eq_u32_e32 vcc_lo, 1, v70
	v_mov_b32_e32 v76, 0
	ds_load_b128 v[112:115], v73 offset:6160
	ds_load_b128 v[108:111], v73 offset:6144
	;; [unrolled: 1-line block ×4, first 2 shown]
	v_cmp_eq_u32_e64 s3, 1, v69
	v_cmp_eq_u32_e64 s2, 1, v72
	;; [unrolled: 1-line block ×3, first 2 shown]
	v_mov_b32_e32 v77, v76
	v_mov_b32_e32 v78, v76
	v_mov_b32_e32 v79, v76
	v_mov_b32_e32 v80, v76
	v_mov_b32_e32 v81, v76
	v_mov_b32_e32 v82, v76
	v_mov_b32_e32 v83, v76
	v_cmp_eq_u32_e64 s5, 3, v72
	v_cmp_eq_u32_e64 s6, 7, v72
	s_waitcnt lgkmcnt(8)
	s_delay_alu instid0(VALU_DEP_3)
	v_wmma_f32_16x16x16_f16 v[76:83], v[49:56], v[84:91], v[76:83]
	ds_load_b128 v[53:56], v73 offset:10256
	ds_load_b128 v[49:52], v73 offset:10240
	s_waitcnt lgkmcnt(8)
	v_wmma_f32_16x16x16_f16 v[76:83], v[41:48], v[92:99], v[76:83]
	ds_load_b128 v[45:48], v73 offset:12304
	ds_load_b128 v[41:44], v73 offset:12288
	s_waitcnt lgkmcnt(8)
	;; [unrolled: 4-line block ×3, first 2 shown]
	s_barrier
	buffer_gl0_inv
	v_wmma_f32_16x16x16_f16 v[76:83], v[1:8], v[108:115], v[76:83]
	s_delay_alu instid0(VALU_DEP_1) | instskip(NEXT) | instid1(VALU_DEP_1)
	v_wmma_f32_16x16x16_f16 v[76:83], v[9:16], v[116:123], v[76:83]
	v_wmma_f32_16x16x16_f16 v[76:83], v[17:24], v[49:56], v[76:83]
	s_delay_alu instid0(VALU_DEP_1) | instskip(NEXT) | instid1(VALU_DEP_1)
	v_wmma_f32_16x16x16_f16 v[76:83], v[25:32], v[41:48], v[76:83]
	v_wmma_f32_16x16x16_f16 v[76:83], v[57:64], v[33:40], v[76:83]
	s_delay_alu instid0(VALU_DEP_1) | instskip(NEXT) | instid1(VALU_DEP_2)
	v_cvt_f16_f32_e32 v1, v76
	v_cvt_f16_f32_e32 v2, v77
	s_delay_alu instid0(VALU_DEP_3) | instskip(NEXT) | instid1(VALU_DEP_4)
	v_cvt_f16_f32_e32 v3, v78
	v_cvt_f16_f32_e32 v4, v79
	;; [unrolled: 1-line block ×6, first 2 shown]
	v_pack_b32_f16 v1, v1, v2
	v_pack_b32_f16 v2, v3, v4
	;; [unrolled: 1-line block ×3, first 2 shown]
	s_delay_alu instid0(VALU_DEP_4)
	v_pack_b32_f16 v4, v7, v8
	ds_store_b128 v74, v[1:4]
	s_waitcnt lgkmcnt(0)
	s_barrier
	buffer_gl0_inv
	ds_load_b128 v[1:4], v75
	ds_load_b128 v[5:8], v75 offset:16
	s_waitcnt lgkmcnt(1)
	v_lshrrev_b32_e32 v9, 16, v1
	s_waitcnt lgkmcnt(0)
	v_lshrrev_b32_e32 v13, 16, v5
	v_lshrrev_b32_e32 v10, 16, v2
	;; [unrolled: 1-line block ×4, first 2 shown]
	v_cndmask_b32_e32 v17, v1, v9, vcc_lo
	v_cndmask_b32_e32 v18, v5, v13, vcc_lo
	v_cndmask_b32_e64 v21, v1, v9, s3
	v_cmp_eq_u32_e32 vcc_lo, 1, v71
	v_cndmask_b32_e64 v22, v5, v13, s3
	v_cmp_eq_u32_e64 s3, 2, v70
	v_cndmask_b32_e64 v19, v1, v9, s2
	v_cndmask_b32_e64 v20, v5, v13, s2
	v_cndmask_b32_e32 v1, v1, v9, vcc_lo
	v_cmp_eq_u32_e64 s2, 2, v71
	v_cndmask_b32_e32 v5, v5, v13, vcc_lo
	v_cndmask_b32_e64 v9, v17, v2, s3
	v_cmp_eq_u32_e32 vcc_lo, 3, v70
	v_cndmask_b32_e64 v13, v18, v6, s3
	v_cmp_eq_u32_e64 s3, 2, v69
	v_cndmask_b32_e64 v17, v19, v2, s4
	v_cndmask_b32_e64 v18, v20, v6, s4
	v_cmp_eq_u32_e64 s4, 3, v69
	v_cndmask_b32_e64 v1, v1, v2, s2
	v_cndmask_b32_e64 v19, v21, v2, s3
	;; [unrolled: 1-line block ×4, first 2 shown]
	v_cndmask_b32_e32 v5, v9, v10, vcc_lo
	v_cndmask_b32_e32 v6, v13, v14, vcc_lo
	v_cmp_eq_u32_e32 vcc_lo, 3, v71
	v_cndmask_b32_e64 v9, v17, v10, s5
	v_cndmask_b32_e64 v13, v18, v14, s5
	;; [unrolled: 1-line block ×3, first 2 shown]
	v_cmp_eq_u32_e64 s3, 4, v70
	v_cndmask_b32_e32 v1, v1, v10, vcc_lo
	v_cndmask_b32_e32 v2, v2, v14, vcc_lo
	v_cmp_eq_u32_e32 vcc_lo, 4, v72
	v_lshrrev_b32_e32 v15, 16, v7
	v_lshrrev_b32_e32 v16, 16, v8
	v_cndmask_b32_e64 v17, v19, v10, s4
	v_cmp_eq_u32_e64 s2, 4, v71
	v_cndmask_b32_e64 v5, v5, v3, s3
	v_cndmask_b32_e64 v6, v6, v7, s3
	v_cndmask_b32_e32 v9, v9, v3, vcc_lo
	v_cmp_eq_u32_e64 s3, 5, v72
	v_cndmask_b32_e32 v10, v13, v7, vcc_lo
	v_cmp_eq_u32_e32 vcc_lo, 4, v69
	v_cmp_eq_u32_e64 s4, 5, v70
	v_cndmask_b32_e64 v2, v2, v7, s2
	v_cndmask_b32_e64 v9, v9, v11, s3
	;; [unrolled: 1-line block ×3, first 2 shown]
	v_cndmask_b32_e32 v13, v17, v3, vcc_lo
	v_cmp_eq_u32_e64 s3, 5, v69
	v_cndmask_b32_e32 v14, v18, v7, vcc_lo
	v_cndmask_b32_e64 v1, v1, v3, s2
	v_cmp_eq_u32_e32 vcc_lo, 5, v71
	v_lshrrev_b32_e32 v12, 16, v4
	v_cndmask_b32_e64 v13, v13, v11, s3
	v_cndmask_b32_e64 v3, v14, v15, s3
	v_cmp_eq_u32_e64 s3, 6, v71
	v_cndmask_b32_e32 v1, v1, v11, vcc_lo
	v_cndmask_b32_e64 v5, v5, v11, s4
	v_cmp_eq_u32_e64 s5, 6, v70
	v_cndmask_b32_e64 v6, v6, v15, s4
	v_cmp_eq_u32_e64 s4, 6, v72
	v_cmp_eq_u32_e64 s2, 6, v69
	v_cndmask_b32_e64 v1, v1, v4, s3
	v_cndmask_b32_e32 v2, v2, v15, vcc_lo
	v_cmp_eq_u32_e32 vcc_lo, 7, v71
	v_cndmask_b32_e64 v5, v5, v4, s5
	v_cndmask_b32_e64 v9, v9, v4, s4
	;; [unrolled: 1-line block ×3, first 2 shown]
	v_cmp_eq_u32_e64 s5, 7, v70
	v_cndmask_b32_e32 v1, v1, v12, vcc_lo
	v_cndmask_b32_e64 v7, v13, v4, s2
	v_cndmask_b32_e64 v3, v3, v8, s2
	v_cndmask_b32_e64 v2, v2, v8, s3
	v_cmp_eq_u32_e64 s2, 7, v69
	v_cndmask_b32_e64 v4, v10, v8, s4
	v_cndmask_b32_e64 v5, v5, v12, s5
	;; [unrolled: 1-line block ×3, first 2 shown]
	v_cndmask_b32_e32 v2, v2, v16, vcc_lo
	v_cndmask_b32_e64 v7, v7, v12, s2
	v_cndmask_b32_e64 v3, v3, v16, s2
	v_cndmask_b32_e64 v8, v4, v16, s6
	v_cndmask_b32_e64 v6, v6, v16, s5
	v_perm_b32 v4, v2, v1, 0x5040100
	s_mov_b32 s2, exec_lo
	v_perm_b32 v3, v3, v7, 0x5040100
	v_perm_b32 v2, v8, v9, 0x5040100
	;; [unrolled: 1-line block ×3, first 2 shown]
	ds_store_b128 v74, v[1:4]
	s_waitcnt lgkmcnt(0)
	s_barrier
	buffer_gl0_inv
	v_cmpx_gt_u32_e32 32, v0
	s_cbranch_execz .LBB1255_2
; %bb.15:
	s_load_b64 s[0:1], s[0:1], 0x68
	s_lshl_b32 s4, s34, 7
	v_or_b32_e32 v2, s31, v66
	s_mul_i32 s2, s4, s30
	v_lshlrev_b32_e32 v0, 10, v0
	s_mul_i32 s2, s2, s7
	v_lshlrev_b32_e32 v1, 4, v67
	s_ashr_i32 s3, s2, 31
	v_mul_lo_u32 v20, v2, s4
	s_lshl_b64 s[2:3], s[2:3], 1
	v_lshlrev_b32_e32 v3, 6, v66
	v_and_b32_e32 v0, 0x3800, v0
	s_delay_alu instid0(VALU_DEP_1) | instskip(NEXT) | instid1(VALU_DEP_4)
	v_or3_b32 v16, v0, v1, v3
	v_ashrrev_i32_e32 v21, 31, v20
	ds_load_b128 v[0:3], v16
	ds_load_b128 v[4:7], v16 offset:128
	s_waitcnt lgkmcnt(0)
	s_add_u32 s2, s0, s2
	s_addc_u32 s3, s1, s3
	s_lshl_b32 s0, s14, 7
	ds_load_b128 v[8:11], v16 offset:256
	ds_load_b128 v[12:15], v16 offset:384
	ds_load_b128 v[16:19], v16 offset:512
	s_ashr_i32 s1, s0, 31
	s_delay_alu instid0(SALU_CYCLE_1) | instskip(NEXT) | instid1(SALU_CYCLE_1)
	s_lshl_b64 s[0:1], s[0:1], 1
	s_add_u32 s0, s2, s0
	s_addc_u32 s1, s3, s1
	s_lshl_b32 s2, s34, 8
	v_add_co_u32 v30, s0, s0, v65
	v_add_nc_u32_e32 v22, s2, v20
	v_lshlrev_b64 v[20:21], 1, v[20:21]
	v_add_co_ci_u32_e64 v31, null, s1, 0, s0
	s_delay_alu instid0(VALU_DEP_3) | instskip(SKIP_1) | instid1(VALU_DEP_4)
	v_add_nc_u32_e32 v24, s2, v22
	v_ashrrev_i32_e32 v23, 31, v22
	v_add_co_u32 v20, vcc_lo, v30, v20
	s_delay_alu instid0(VALU_DEP_4) | instskip(NEXT) | instid1(VALU_DEP_4)
	v_add_co_ci_u32_e32 v21, vcc_lo, v31, v21, vcc_lo
	v_add_nc_u32_e32 v26, s2, v24
	v_ashrrev_i32_e32 v25, 31, v24
	v_lshlrev_b64 v[22:23], 1, v[22:23]
	s_delay_alu instid0(VALU_DEP_3) | instskip(SKIP_1) | instid1(VALU_DEP_4)
	v_add_nc_u32_e32 v28, s2, v26
	v_ashrrev_i32_e32 v27, 31, v26
	v_lshlrev_b64 v[24:25], 1, v[24:25]
	s_delay_alu instid0(VALU_DEP_4) | instskip(NEXT) | instid1(VALU_DEP_4)
	v_add_co_u32 v22, vcc_lo, v30, v22
	v_ashrrev_i32_e32 v29, 31, v28
	s_delay_alu instid0(VALU_DEP_4) | instskip(SKIP_2) | instid1(VALU_DEP_4)
	v_lshlrev_b64 v[26:27], 1, v[26:27]
	v_add_co_ci_u32_e32 v23, vcc_lo, v31, v23, vcc_lo
	v_add_co_u32 v24, vcc_lo, v30, v24
	v_lshlrev_b64 v[28:29], 1, v[28:29]
	v_add_co_ci_u32_e32 v25, vcc_lo, v31, v25, vcc_lo
	v_add_co_u32 v26, vcc_lo, v30, v26
	v_add_co_ci_u32_e32 v27, vcc_lo, v31, v27, vcc_lo
	s_delay_alu instid0(VALU_DEP_4)
	v_add_co_u32 v28, vcc_lo, v30, v28
	v_add_co_ci_u32_e32 v29, vcc_lo, v31, v29, vcc_lo
	s_clause 0x1
	global_store_b128 v[20:21], v[0:3], off
	global_store_b128 v[22:23], v[4:7], off
	s_waitcnt lgkmcnt(2)
	global_store_b128 v[24:25], v[8:11], off
	s_waitcnt lgkmcnt(1)
	;; [unrolled: 2-line block ×3, first 2 shown]
	global_store_b128 v[28:29], v[16:19], off
	s_nop 0
	s_sendmsg sendmsg(MSG_DEALLOC_VGPRS)
	s_endpgm
	.section	.rodata,"a",@progbits
	.p2align	6, 0x0
	.amdhsa_kernel _Z39paged_attention_ll4mi_QKV_mfma16_kernelIDF16_hLN4vllm18Fp8KVCacheDataTypeE1EDF16_Li16ELi128ELi256ELb1ELi10EL8MFMAType0EEvPKT_PKT0_S8_ifPKiSA_SA_iPKfiiiPfSD_PS3_PT2_iSC_SC_
		.amdhsa_group_segment_fixed_size 17472
		.amdhsa_private_segment_fixed_size 0
		.amdhsa_kernarg_size 400
		.amdhsa_user_sgpr_count 13
		.amdhsa_user_sgpr_dispatch_ptr 0
		.amdhsa_user_sgpr_queue_ptr 0
		.amdhsa_user_sgpr_kernarg_segment_ptr 1
		.amdhsa_user_sgpr_dispatch_id 0
		.amdhsa_user_sgpr_private_segment_size 0
		.amdhsa_wavefront_size32 1
		.amdhsa_uses_dynamic_stack 0
		.amdhsa_enable_private_segment 0
		.amdhsa_system_sgpr_workgroup_id_x 1
		.amdhsa_system_sgpr_workgroup_id_y 1
		.amdhsa_system_sgpr_workgroup_id_z 1
		.amdhsa_system_sgpr_workgroup_info 0
		.amdhsa_system_vgpr_workitem_id 0
		.amdhsa_next_free_vgpr 150
		.amdhsa_next_free_sgpr 36
		.amdhsa_reserve_vcc 1
		.amdhsa_float_round_mode_32 0
		.amdhsa_float_round_mode_16_64 0
		.amdhsa_float_denorm_mode_32 3
		.amdhsa_float_denorm_mode_16_64 3
		.amdhsa_dx10_clamp 1
		.amdhsa_ieee_mode 1
		.amdhsa_fp16_overflow 0
		.amdhsa_workgroup_processor_mode 1
		.amdhsa_memory_ordered 1
		.amdhsa_forward_progress 0
		.amdhsa_shared_vgpr_count 0
		.amdhsa_exception_fp_ieee_invalid_op 0
		.amdhsa_exception_fp_denorm_src 0
		.amdhsa_exception_fp_ieee_div_zero 0
		.amdhsa_exception_fp_ieee_overflow 0
		.amdhsa_exception_fp_ieee_underflow 0
		.amdhsa_exception_fp_ieee_inexact 0
		.amdhsa_exception_int_div_zero 0
	.end_amdhsa_kernel
	.section	.text._Z39paged_attention_ll4mi_QKV_mfma16_kernelIDF16_hLN4vllm18Fp8KVCacheDataTypeE1EDF16_Li16ELi128ELi256ELb1ELi10EL8MFMAType0EEvPKT_PKT0_S8_ifPKiSA_SA_iPKfiiiPfSD_PS3_PT2_iSC_SC_,"axG",@progbits,_Z39paged_attention_ll4mi_QKV_mfma16_kernelIDF16_hLN4vllm18Fp8KVCacheDataTypeE1EDF16_Li16ELi128ELi256ELb1ELi10EL8MFMAType0EEvPKT_PKT0_S8_ifPKiSA_SA_iPKfiiiPfSD_PS3_PT2_iSC_SC_,comdat
.Lfunc_end1255:
	.size	_Z39paged_attention_ll4mi_QKV_mfma16_kernelIDF16_hLN4vllm18Fp8KVCacheDataTypeE1EDF16_Li16ELi128ELi256ELb1ELi10EL8MFMAType0EEvPKT_PKT0_S8_ifPKiSA_SA_iPKfiiiPfSD_PS3_PT2_iSC_SC_, .Lfunc_end1255-_Z39paged_attention_ll4mi_QKV_mfma16_kernelIDF16_hLN4vllm18Fp8KVCacheDataTypeE1EDF16_Li16ELi128ELi256ELb1ELi10EL8MFMAType0EEvPKT_PKT0_S8_ifPKiSA_SA_iPKfiiiPfSD_PS3_PT2_iSC_SC_
                                        ; -- End function
	.section	.AMDGPU.csdata,"",@progbits
; Kernel info:
; codeLenInByte = 6704
; NumSgprs: 38
; NumVgprs: 150
; ScratchSize: 0
; MemoryBound: 0
; FloatMode: 240
; IeeeMode: 1
; LDSByteSize: 17472 bytes/workgroup (compile time only)
; SGPRBlocks: 4
; VGPRBlocks: 18
; NumSGPRsForWavesPerEU: 38
; NumVGPRsForWavesPerEU: 150
; Occupancy: 9
; WaveLimiterHint : 1
; COMPUTE_PGM_RSRC2:SCRATCH_EN: 0
; COMPUTE_PGM_RSRC2:USER_SGPR: 13
; COMPUTE_PGM_RSRC2:TRAP_HANDLER: 0
; COMPUTE_PGM_RSRC2:TGID_X_EN: 1
; COMPUTE_PGM_RSRC2:TGID_Y_EN: 1
; COMPUTE_PGM_RSRC2:TGID_Z_EN: 1
; COMPUTE_PGM_RSRC2:TIDIG_COMP_CNT: 0
	.section	.text._Z39paged_attention_ll4mi_QKV_mfma16_kernelIDF16_hLN4vllm18Fp8KVCacheDataTypeE1EDF16_Li16ELi128ELi256ELb1ELi11EL8MFMAType0EEvPKT_PKT0_S8_ifPKiSA_SA_iPKfiiiPfSD_PS3_PT2_iSC_SC_,"axG",@progbits,_Z39paged_attention_ll4mi_QKV_mfma16_kernelIDF16_hLN4vllm18Fp8KVCacheDataTypeE1EDF16_Li16ELi128ELi256ELb1ELi11EL8MFMAType0EEvPKT_PKT0_S8_ifPKiSA_SA_iPKfiiiPfSD_PS3_PT2_iSC_SC_,comdat
	.protected	_Z39paged_attention_ll4mi_QKV_mfma16_kernelIDF16_hLN4vllm18Fp8KVCacheDataTypeE1EDF16_Li16ELi128ELi256ELb1ELi11EL8MFMAType0EEvPKT_PKT0_S8_ifPKiSA_SA_iPKfiiiPfSD_PS3_PT2_iSC_SC_ ; -- Begin function _Z39paged_attention_ll4mi_QKV_mfma16_kernelIDF16_hLN4vllm18Fp8KVCacheDataTypeE1EDF16_Li16ELi128ELi256ELb1ELi11EL8MFMAType0EEvPKT_PKT0_S8_ifPKiSA_SA_iPKfiiiPfSD_PS3_PT2_iSC_SC_
	.globl	_Z39paged_attention_ll4mi_QKV_mfma16_kernelIDF16_hLN4vllm18Fp8KVCacheDataTypeE1EDF16_Li16ELi128ELi256ELb1ELi11EL8MFMAType0EEvPKT_PKT0_S8_ifPKiSA_SA_iPKfiiiPfSD_PS3_PT2_iSC_SC_
	.p2align	8
	.type	_Z39paged_attention_ll4mi_QKV_mfma16_kernelIDF16_hLN4vllm18Fp8KVCacheDataTypeE1EDF16_Li16ELi128ELi256ELb1ELi11EL8MFMAType0EEvPKT_PKT0_S8_ifPKiSA_SA_iPKfiiiPfSD_PS3_PT2_iSC_SC_,@function
_Z39paged_attention_ll4mi_QKV_mfma16_kernelIDF16_hLN4vllm18Fp8KVCacheDataTypeE1EDF16_Li16ELi128ELi256ELb1ELi11EL8MFMAType0EEvPKT_PKT0_S8_ifPKiSA_SA_iPKfiiiPfSD_PS3_PT2_iSC_SC_: ; @_Z39paged_attention_ll4mi_QKV_mfma16_kernelIDF16_hLN4vllm18Fp8KVCacheDataTypeE1EDF16_Li16ELi128ELi256ELb1ELi11EL8MFMAType0EEvPKT_PKT0_S8_ifPKiSA_SA_iPKfiiiPfSD_PS3_PT2_iSC_SC_
; %bb.0:
	s_load_b64 s[4:5], s[0:1], 0x30
	s_mov_b32 s34, s13
	s_waitcnt lgkmcnt(0)
	s_cmp_lg_u64 s[4:5], 0
	s_cselect_b32 s8, -1, 0
	s_ashr_i32 s35, s13, 31
	s_cmp_eq_u64 s[4:5], 0
	s_cbranch_scc1 .LBB1256_3
; %bb.1:
	s_lshl_b64 s[2:3], s[34:35], 2
	s_delay_alu instid0(SALU_CYCLE_1) | instskip(SKIP_4) | instid1(SALU_CYCLE_1)
	s_add_u32 s2, s4, s2
	s_addc_u32 s3, s5, s3
	s_load_b64 s[2:3], s[2:3], 0x0
	s_waitcnt lgkmcnt(0)
	s_sub_i32 s2, s3, s2
	s_cmp_eq_u32 s2, 1
	s_cselect_b32 s2, -1, 0
	s_delay_alu instid0(SALU_CYCLE_1)
	s_and_not1_b32 vcc_lo, exec_lo, s2
	s_cbranch_vccz .LBB1256_4
.LBB1256_2:
	s_nop 0
	s_sendmsg sendmsg(MSG_DEALLOC_VGPRS)
	s_endpgm
.LBB1256_3:
.LBB1256_4:
	s_load_b64 s[2:3], s[0:1], 0x28
	s_lshl_b64 s[6:7], s[34:35], 2
	s_waitcnt lgkmcnt(0)
	s_add_u32 s2, s2, s6
	s_addc_u32 s3, s3, s7
	s_lshl_b32 s12, s14, 8
	s_load_b32 s24, s[2:3], 0x0
	s_waitcnt lgkmcnt(0)
	s_cmp_ge_i32 s12, s24
	s_cbranch_scc1 .LBB1256_2
; %bb.5:
	s_clause 0x1
	s_load_b128 s[20:23], s[0:1], 0x8
	s_load_b64 s[2:3], s[0:1], 0x20
	s_and_not1_b32 vcc_lo, exec_lo, s8
	s_cbranch_vccnz .LBB1256_7
; %bb.6:
	s_add_u32 s4, s4, s6
	s_addc_u32 s5, s5, s7
	s_load_b32 s5, s[4:5], 0x0
	s_branch .LBB1256_8
.LBB1256_7:
	s_mov_b32 s5, s34
.LBB1256_8:
	s_load_b128 s[16:19], s[0:1], 0x48
	v_and_b32_e32 v68, 15, v0
	v_lshrrev_b32_e32 v69, 5, v0
	v_bfe_u32 v66, v0, 4, 1
	v_and_b32_e32 v70, 31, v0
	v_and_b32_e32 v67, 1, v0
	v_lshlrev_b32_e32 v2, 3, v68
	s_mul_i32 s31, s15, 11
	v_lshl_or_b32 v1, v69, 1, v66
	s_mov_b32 s4, exec_lo
	s_delay_alu instid0(VALU_DEP_2) | instskip(NEXT) | instid1(VALU_DEP_2)
	v_lshlrev_b32_e32 v65, 1, v2
	v_cmpx_gt_u32_e32 11, v1
	s_cbranch_execz .LBB1256_10
; %bb.9:
	s_load_b64 s[6:7], s[0:1], 0x0
	v_add_lshl_u32 v2, v1, s31, 7
	s_waitcnt lgkmcnt(0)
	s_mul_hi_i32 s9, s5, s16
	s_mul_i32 s8, s5, s16
	v_lshlrev_b32_e32 v6, 10, v68
	s_lshl_b64 s[8:9], s[8:9], 1
	v_ashrrev_i32_e32 v3, 31, v2
	v_lshlrev_b32_e32 v1, 6, v1
	v_lshlrev_b32_e32 v7, 10, v67
	v_and_b32_e32 v6, 0x3800, v6
	s_delay_alu instid0(VALU_DEP_4) | instskip(NEXT) | instid1(VALU_DEP_2)
	v_lshlrev_b64 v[2:3], 1, v[2:3]
	v_or3_b32 v1, v6, v7, v1
	s_add_u32 s5, s6, s8
	s_addc_u32 s6, s7, s9
	s_delay_alu instid0(VALU_DEP_2) | instskip(NEXT) | instid1(VALU_DEP_3)
	v_add_co_u32 v2, vcc_lo, s5, v2
	v_add_co_ci_u32_e32 v3, vcc_lo, s6, v3, vcc_lo
	s_delay_alu instid0(VALU_DEP_2) | instskip(NEXT) | instid1(VALU_DEP_2)
	v_add_co_u32 v2, vcc_lo, v2, v65
	v_add_co_ci_u32_e32 v3, vcc_lo, 0, v3, vcc_lo
	global_load_b128 v[2:5], v[2:3], off
	s_waitcnt vmcnt(0)
	ds_store_b128 v1, v[2:5]
.LBB1256_10:
	s_or_b32 exec_lo, exec_lo, s4
	v_and_b32_e32 v1, 0xef, v0
	s_waitcnt lgkmcnt(0)
	s_add_i32 s5, s24, 15
	s_clause 0x1
	s_load_b32 s4, s[0:1], 0x38
	s_load_b32 s33, s[0:1], 0x98
	s_ashr_i32 s6, s5, 31
	v_add_nc_u32_e32 v1, s12, v1
	s_lshr_b32 s6, s6, 28
	s_load_b32 s19, s[0:1], 0x1c
	s_add_i32 s5, s5, s6
	s_waitcnt lgkmcnt(0)
	v_ashrrev_i32_e32 v2, 31, v1
	v_or_b32_e32 v3, 16, v1
	s_ashr_i32 s13, s5, 4
	v_cmp_gt_i32_e32 vcc_lo, s24, v1
	s_add_i32 s13, s13, -1
	v_lshrrev_b32_e32 v2, 28, v2
	s_barrier
	buffer_gl0_inv
	s_mul_i32 s15, s15, s18
	v_add_nc_u32_e32 v4, v1, v2
	s_mul_i32 s4, s34, s4
	s_delay_alu instid0(SALU_CYCLE_1) | instskip(NEXT) | instid1(VALU_DEP_1)
	s_ashr_i32 s5, s4, 31
	v_ashrrev_i32_e32 v4, 4, v4
	v_add_nc_u32_e32 v2, v3, v2
	s_lshl_b64 s[4:5], s[4:5], 2
	s_delay_alu instid0(SALU_CYCLE_1) | instskip(NEXT) | instid1(VALU_DEP_2)
	s_add_u32 s16, s2, s4
	v_cndmask_b32_e32 v1, s13, v4, vcc_lo
	s_delay_alu instid0(VALU_DEP_2)
	v_ashrrev_i32_e32 v2, 4, v2
	v_cmp_gt_i32_e32 vcc_lo, s24, v3
	s_addc_u32 s25, s3, s5
	s_ashr_i32 s18, s15, 31
	s_add_u32 s26, s20, s15
	s_addc_u32 s27, s21, s18
	v_cndmask_b32_e32 v3, s13, v2, vcc_lo
	v_ashrrev_i32_e32 v2, 31, v1
	s_lshl_b32 s2, s14, 4
	s_delay_alu instid0(SALU_CYCLE_1) | instskip(NEXT) | instid1(VALU_DEP_2)
	s_ashr_i32 s3, s2, 31
	v_ashrrev_i32_e32 v4, 31, v3
	s_delay_alu instid0(VALU_DEP_2) | instskip(SKIP_1) | instid1(SALU_CYCLE_1)
	v_lshlrev_b64 v[1:2], 2, v[1:2]
	s_lshl_b64 s[2:3], s[2:3], 2
	s_add_u32 s2, s16, s2
	s_delay_alu instid0(VALU_DEP_2) | instskip(SKIP_1) | instid1(VALU_DEP_2)
	v_lshlrev_b64 v[3:4], 2, v[3:4]
	s_addc_u32 s3, s25, s3
	v_add_co_u32 v1, vcc_lo, s16, v1
	v_add_co_ci_u32_e32 v2, vcc_lo, s25, v2, vcc_lo
	s_delay_alu instid0(VALU_DEP_3) | instskip(NEXT) | instid1(VALU_DEP_4)
	v_add_co_u32 v3, vcc_lo, s16, v3
	v_add_co_ci_u32_e32 v4, vcc_lo, s25, v4, vcc_lo
	s_clause 0x1
	global_load_b32 v5, v[1:2], off
	global_load_b32 v7, v[3:4], off
	s_or_b32 s4, s12, 32
	v_lshlrev_b32_e32 v1, 4, v0
	s_ashr_i32 s5, s4, 4
	s_cmp_lt_i32 s4, s24
	v_cmp_gt_u32_e32 vcc_lo, 11, v68
	s_cselect_b32 s4, s5, s13
	v_and_b32_e32 v1, 0xf0, v1
	s_ashr_i32 s5, s4, 31
	s_delay_alu instid0(SALU_CYCLE_1) | instskip(NEXT) | instid1(SALU_CYCLE_1)
	s_lshl_b64 s[4:5], s[4:5], 2
	s_add_u32 s4, s16, s4
	s_addc_u32 s5, s25, s5
	s_or_b32 s6, s12, 64
	v_add_co_u32 v1, s26, s26, v1
	s_ashr_i32 s7, s6, 4
	s_cmp_lt_i32 s6, s24
	v_add_co_ci_u32_e64 v2, null, s27, 0, s26
	s_cselect_b32 s6, s7, s13
	s_delay_alu instid0(SALU_CYCLE_1) | instskip(NEXT) | instid1(SALU_CYCLE_1)
	s_ashr_i32 s7, s6, 31
	s_lshl_b64 s[6:7], s[6:7], 2
	s_delay_alu instid0(SALU_CYCLE_1) | instskip(SKIP_2) | instid1(SALU_CYCLE_1)
	s_add_u32 s6, s16, s6
	s_addc_u32 s7, s25, s7
	s_or_b32 s8, s12, 0x60
	s_ashr_i32 s9, s8, 4
	s_cmp_lt_i32 s8, s24
	s_cselect_b32 s8, s9, s13
	s_delay_alu instid0(SALU_CYCLE_1) | instskip(NEXT) | instid1(SALU_CYCLE_1)
	s_ashr_i32 s9, s8, 31
	s_lshl_b64 s[8:9], s[8:9], 2
	s_delay_alu instid0(SALU_CYCLE_1) | instskip(SKIP_2) | instid1(SALU_CYCLE_1)
	s_add_u32 s8, s16, s8
	s_addc_u32 s9, s25, s9
	s_or_b32 s10, s12, 0x80
	s_ashr_i32 s11, s10, 4
	s_cmp_lt_i32 s10, s24
	;; [unrolled: 10-line block ×3, first 2 shown]
	s_cselect_b32 s20, s21, s13
	s_delay_alu instid0(SALU_CYCLE_1) | instskip(NEXT) | instid1(SALU_CYCLE_1)
	s_ashr_i32 s21, s20, 31
	s_lshl_b64 s[20:21], s[20:21], 2
	s_delay_alu instid0(SALU_CYCLE_1)
	s_add_u32 s20, s16, s20
	s_addc_u32 s21, s25, s21
	s_clause 0x5
	s_load_b32 s26, s[2:3], 0x0
	s_load_b32 s27, s[4:5], 0x0
	;; [unrolled: 1-line block ×6, first 2 shown]
	s_or_b32 s2, s12, 0xc0
	s_mov_b32 s4, 0
	s_ashr_i32 s3, s2, 4
	s_cmp_lt_i32 s2, s24
	s_mov_b32 s11, s4
	s_cselect_b32 s2, s3, s13
	s_mov_b32 s5, s4
	s_ashr_i32 s3, s2, 31
	s_mov_b32 s6, s4
	s_lshl_b64 s[2:3], s[2:3], 2
	s_mov_b32 s7, s4
	s_add_u32 s2, s16, s2
	s_addc_u32 s3, s25, s3
	s_or_b32 s20, s12, 0xe0
	s_mov_b32 s8, s4
	s_ashr_i32 s21, s20, 4
	s_cmp_lt_i32 s20, s24
	s_mov_b32 s9, s4
	s_cselect_b32 s20, s21, s13
	s_mov_b32 s10, s4
	s_ashr_i32 s21, s20, 31
	v_mov_b32_e32 v118, s11
	v_dual_mov_b32 v112, s5 :: v_dual_mov_b32 v117, s10
	v_dual_mov_b32 v116, s9 :: v_dual_mov_b32 v115, s8
	;; [unrolled: 1-line block ×3, first 2 shown]
	v_mov_b32_e32 v111, s4
	s_lshl_b64 s[4:5], s[20:21], 2
	s_delay_alu instid0(SALU_CYCLE_1)
	s_add_u32 s4, s16, s4
	s_addc_u32 s5, s25, s5
	s_add_u32 s6, s22, s15
	s_addc_u32 s7, s23, s18
	s_waitcnt vmcnt(1)
	v_mad_i64_i32 v[3:4], null, v5, s17, v[1:2]
	s_waitcnt vmcnt(0)
	v_mad_i64_i32 v[5:6], null, v7, s17, v[1:2]
	v_add_nc_u32_e32 v1, -11, v68
	v_lshlrev_b32_e32 v2, 4, v68
	s_clause 0xf
	global_load_b128 v[17:20], v[3:4], off
	global_load_b128 v[21:24], v[3:4], off offset:256
	global_load_b128 v[25:28], v[5:6], off
	global_load_b128 v[29:32], v[5:6], off offset:256
	global_load_b128 v[57:60], v[3:4], off offset:512
	;; [unrolled: 1-line block ×13, first 2 shown]
	v_cndmask_b32_e32 v1, v1, v68, vcc_lo
	s_delay_alu instid0(VALU_DEP_1)
	v_lshlrev_b32_e32 v149, 6, v1
	v_lshl_or_b32 v1, v69, 8, v2
	ds_load_b128 v[119:122], v149
	ds_load_b128 v[123:126], v149 offset:1024
	ds_load_b128 v[127:130], v149 offset:2048
	;; [unrolled: 1-line block ×3, first 2 shown]
	s_clause 0x1
	s_load_b32 s2, s[2:3], 0x0
	s_load_b32 s3, s[4:5], 0x0
	v_add_co_u32 v135, s6, s6, v1
	s_delay_alu instid0(VALU_DEP_1) | instskip(SKIP_1) | instid1(VALU_DEP_1)
	v_add_co_ci_u32_e64 v136, null, s7, 0, s6
	s_waitcnt lgkmcnt(0)
	v_mad_i64_i32 v[1:2], null, s26, s17, v[135:136]
	v_mad_i64_i32 v[3:4], null, s27, s17, v[135:136]
	;; [unrolled: 1-line block ×6, first 2 shown]
	s_clause 0x9
	global_load_b128 v[49:52], v[1:2], off
	global_load_b128 v[53:56], v[1:2], off offset:16
	global_load_b128 v[41:44], v[3:4], off
	global_load_b128 v[45:48], v[3:4], off offset:16
	;; [unrolled: 2-line block ×5, first 2 shown]
	v_mad_i64_i32 v[145:146], null, s2, s17, v[135:136]
	v_mad_i64_i32 v[147:148], null, s3, s17, v[135:136]
	s_waitcnt vmcnt(24)
	v_wmma_f32_16x16x16_f16 v[135:142], v[17:24], v[119:126], v[111:118]
	s_waitcnt vmcnt(22)
	v_wmma_f32_16x16x16_f16 v[111:118], v[25:32], v[119:126], v[111:118]
	s_clause 0x3
	global_load_b128 v[17:20], v[143:144], off
	global_load_b128 v[21:24], v[143:144], off offset:16
	global_load_b128 v[25:28], v[145:146], off
	global_load_b128 v[29:32], v[145:146], off offset:16
	v_and_b32_e32 v119, 0xe0, v0
	s_waitcnt vmcnt(24)
	v_wmma_f32_16x16x16_f16 v[135:142], v[57:64], v[127:134], v[135:142]
	s_clause 0x1
	global_load_b128 v[57:60], v[147:148], off
	global_load_b128 v[61:64], v[147:148], off offset:16
	s_waitcnt vmcnt(24)
	v_wmma_f32_16x16x16_f16 v[111:118], v[71:78], v[127:134], v[111:118]
	ds_load_b128 v[71:74], v149 offset:4096
	ds_load_b128 v[75:78], v149 offset:5120
	v_add_nc_u32_e32 v128, s12, v119
	ds_load_b128 v[119:122], v149 offset:6144
	ds_load_b128 v[123:126], v149 offset:7168
	v_mbcnt_lo_u32_b32 v127, -1, 0
	s_waitcnt vmcnt(0) lgkmcnt(0)
	s_barrier
	v_or_b32_e32 v128, v128, v66
	buffer_gl0_inv
	v_xor_b32_e32 v129, 16, v127
	v_or_b32_e32 v130, 4, v128
	v_or_b32_e32 v131, 6, v128
	s_delay_alu instid0(VALU_DEP_3) | instskip(SKIP_4) | instid1(VALU_DEP_4)
	v_cmp_gt_i32_e32 vcc_lo, 32, v129
	v_or_b32_e32 v132, 8, v128
	v_or_b32_e32 v133, 10, v128
	v_cmp_gt_i32_e64 s3, s24, v130
	v_cmp_gt_i32_e64 s4, s24, v131
	;; [unrolled: 1-line block ×3, first 2 shown]
	v_wmma_f32_16x16x16_f16 v[135:142], v[79:86], v[71:78], v[135:142]
	v_wmma_f32_16x16x16_f16 v[111:118], v[87:94], v[71:78], v[111:118]
	v_or_b32_e32 v79, 12, v128
	v_or_b32_e32 v80, 14, v128
	v_cmp_gt_i32_e64 s6, s24, v133
	v_wmma_f32_16x16x16_f16 v[135:142], v[95:102], v[119:126], v[135:142]
	v_wmma_f32_16x16x16_f16 v[111:118], v[103:110], v[119:126], v[111:118]
	v_cndmask_b32_e32 v127, v127, v129, vcc_lo
	v_or_b32_e32 v129, 2, v128
	v_cmp_gt_i32_e32 vcc_lo, s24, v128
	v_mul_f32_e32 v88, s19, v135
	v_dual_mul_f32 v92, s19, v115 :: v_dual_mul_f32 v87, s19, v136
	s_delay_alu instid0(VALU_DEP_4)
	v_cmp_gt_i32_e64 s2, s24, v129
	v_mul_f32_e32 v78, s19, v138
	v_mul_f32_e32 v86, s19, v137
	v_cndmask_b32_e32 v88, 0xff7fffff, v88, vcc_lo
	v_mul_f32_e32 v76, s19, v140
	v_cndmask_b32_e64 v87, 0xff7fffff, v87, s2
	v_dual_mul_f32 v77, s19, v139 :: v_dual_mul_f32 v94, s19, v113
	v_cndmask_b32_e64 v86, 0xff7fffff, v86, s3
	v_cndmask_b32_e64 v78, 0xff7fffff, v78, s4
	s_delay_alu instid0(VALU_DEP_4)
	v_max3_f32 v87, v88, 0xff7fffff, v87
	v_or_b32_e32 v81, 16, v128
	v_or_b32_e32 v82, 18, v128
	v_dual_mul_f32 v74, s19, v142 :: v_dual_mul_f32 v75, s19, v141
	v_mul_f32_e32 v96, s19, v111
	v_cndmask_b32_e64 v77, 0xff7fffff, v77, s5
	v_cndmask_b32_e64 v76, 0xff7fffff, v76, s6
	v_max3_f32 v78, v87, v86, v78
	v_cmp_gt_i32_e64 s7, s24, v79
	v_cmp_gt_i32_e64 s8, s24, v80
	v_or_b32_e32 v83, 20, v128
	v_or_b32_e32 v84, 22, v128
	v_mul_f32_e32 v95, s19, v112
	v_cndmask_b32_e64 v75, 0xff7fffff, v75, s7
	v_cndmask_b32_e64 v74, 0xff7fffff, v74, s8
	v_max3_f32 v76, v78, v77, v76
	v_cmp_gt_i32_e64 s9, s24, v81
	v_cmp_gt_i32_e64 s10, s24, v82
	v_or_b32_e32 v85, 24, v128
	v_or_b32_e32 v71, 26, v128
	;; [unrolled: 8-line block ×3, first 2 shown]
	v_mul_f32_e32 v91, s19, v116
	v_cndmask_b32_e64 v75, 0xff7fffff, v94, s11
	v_cndmask_b32_e64 v76, 0xff7fffff, v93, s12
	v_max3_f32 v74, v74, v77, v78
	v_cmp_gt_i32_e64 s13, s24, v85
	v_cmp_gt_i32_e64 s15, s24, v71
	v_dual_mul_f32 v89, s19, v118 :: v_dual_mul_f32 v90, s19, v117
	s_delay_alu instid0(VALU_DEP_4) | instskip(NEXT) | instid1(VALU_DEP_4)
	v_max3_f32 v74, v74, v75, v76
	v_cndmask_b32_e64 v77, 0xff7fffff, v92, s13
	s_delay_alu instid0(VALU_DEP_4) | instskip(SKIP_2) | instid1(VALU_DEP_3)
	v_cndmask_b32_e64 v71, 0xff7fffff, v91, s15
	v_cmp_gt_i32_e64 s16, s24, v72
	v_cmp_gt_i32_e64 s17, s24, v73
	v_max3_f32 v71, v74, v77, v71
	s_delay_alu instid0(VALU_DEP_3) | instskip(NEXT) | instid1(VALU_DEP_3)
	v_cndmask_b32_e64 v72, 0xff7fffff, v90, s16
	v_cndmask_b32_e64 v73, 0xff7fffff, v89, s17
	v_lshlrev_b32_e32 v74, 2, v127
	s_delay_alu instid0(VALU_DEP_2) | instskip(SKIP_3) | instid1(VALU_DEP_1)
	v_max3_f32 v71, v71, v72, v73
	ds_bpermute_b32 v72, v74, v71
	s_waitcnt lgkmcnt(0)
	v_max_f32_e32 v72, v72, v72
	v_max_f32_e32 v71, v71, v72
	s_delay_alu instid0(VALU_DEP_1) | instskip(SKIP_4) | instid1(VALU_DEP_4)
	v_fma_f32 v72, s19, v135, -v71
	v_fma_f32 v73, s19, v136, -v71
	;; [unrolled: 1-line block ×5, first 2 shown]
	v_dual_mul_f32 v72, 0x3fb8aa3b, v72 :: v_dual_mul_f32 v73, 0x3fb8aa3b, v73
	v_fma_f32 v80, s19, v141, -v71
	s_delay_alu instid0(VALU_DEP_3) | instskip(NEXT) | instid1(VALU_DEP_3)
	v_dual_mul_f32 v76, 0x3fb8aa3b, v76 :: v_dual_mul_f32 v77, 0x3fb8aa3b, v77
	v_exp_f32_e32 v72, v72
	s_delay_alu instid0(VALU_DEP_3) | instskip(NEXT) | instid1(VALU_DEP_2)
	v_exp_f32_e32 v73, v73
	v_mul_f32_e32 v82, 0x3fb8aa3b, v80
	s_delay_alu instid0(VALU_DEP_2) | instskip(SKIP_1) | instid1(VALU_DEP_1)
	v_exp_f32_e32 v76, v76
	v_exp_f32_e32 v77, v77
	;; [unrolled: 1-line block ×3, first 2 shown]
	v_cndmask_b32_e32 v79, 0, v72, vcc_lo
	v_fma_f32 v72, s19, v140, -v71
	v_mul_f32_e32 v75, 0x3fb8aa3b, v75
	v_cndmask_b32_e64 v78, 0, v73, s2
	s_delay_alu instid0(TRANS32_DEP_3) | instskip(NEXT) | instid1(VALU_DEP_4)
	v_cndmask_b32_e64 v80, 0, v76, s4
	v_dual_add_f32 v73, 0, v79 :: v_dual_mul_f32 v72, 0x3fb8aa3b, v72
	s_delay_alu instid0(VALU_DEP_4) | instskip(NEXT) | instid1(TRANS32_DEP_3)
	v_exp_f32_e32 v75, v75
	v_cndmask_b32_e64 v83, 0, v77, s5
	s_delay_alu instid0(TRANS32_DEP_2) | instskip(NEXT) | instid1(VALU_DEP_3)
	v_cndmask_b32_e64 v85, 0, v84, s7
	v_add_f32_e32 v73, v73, v78
	v_exp_f32_e32 v72, v72
	v_cmp_gt_u32_e64 s2, 16, v70
	s_waitcnt_depctr 0xfff
	v_cndmask_b32_e64 v81, 0, v75, s3
	v_cndmask_b32_e64 v82, 0, v72, s6
	s_delay_alu instid0(VALU_DEP_2) | instskip(NEXT) | instid1(VALU_DEP_1)
	v_add_f32_e32 v73, v73, v81
	v_add_f32_e32 v73, v73, v80
	s_delay_alu instid0(VALU_DEP_1) | instskip(NEXT) | instid1(VALU_DEP_1)
	v_add_f32_e32 v72, v73, v83
	v_add_f32_e32 v72, v72, v82
	s_delay_alu instid0(VALU_DEP_1)
	v_add_f32_e32 v72, v72, v85
	v_fma_f32 v76, s19, v111, -v71
	v_fma_f32 v75, s19, v142, -v71
	;; [unrolled: 1-line block ×5, first 2 shown]
	v_mul_f32_e32 v76, 0x3fb8aa3b, v76
	s_delay_alu instid0(VALU_DEP_4) | instskip(NEXT) | instid1(VALU_DEP_2)
	v_mul_f32_e32 v86, 0x3fb8aa3b, v86
	v_exp_f32_e32 v76, v76
	s_delay_alu instid0(VALU_DEP_1)
	v_exp_f32_e32 v88, v86
	s_waitcnt_depctr 0xfff
	v_cndmask_b32_e64 v87, 0, v76, s9
	v_fma_f32 v76, s19, v116, -v71
	v_mul_f32_e32 v75, 0x3fb8aa3b, v75
	v_cndmask_b32_e64 v88, 0, v88, s12
	s_delay_alu instid0(VALU_DEP_3) | instskip(NEXT) | instid1(VALU_DEP_3)
	v_dual_mul_f32 v73, 0x3fb8aa3b, v73 :: v_dual_mul_f32 v76, 0x3fb8aa3b, v76
	v_exp_f32_e32 v75, v75
	s_delay_alu instid0(VALU_DEP_1) | instskip(NEXT) | instid1(VALU_DEP_1)
	v_exp_f32_e32 v73, v73
	v_exp_f32_e32 v76, v76
	s_delay_alu instid0(TRANS32_DEP_3)
	v_cndmask_b32_e64 v84, 0, v75, s8
	v_fma_f32 v75, s19, v115, -v71
	s_waitcnt_depctr 0xfff
	v_cndmask_b32_e64 v89, 0, v73, s11
	v_cndmask_b32_e64 v90, 0, v76, s15
	v_add_f32_e32 v72, v72, v84
	s_delay_alu instid0(VALU_DEP_1) | instskip(NEXT) | instid1(VALU_DEP_1)
	v_dual_add_f32 v72, v72, v87 :: v_dual_mul_f32 v77, 0x3fb8aa3b, v77
	v_exp_f32_e32 v77, v77
	s_waitcnt_depctr 0xfff
	v_cndmask_b32_e64 v86, 0, v77, s10
	v_fma_f32 v77, s19, v117, -v71
	s_delay_alu instid0(VALU_DEP_2) | instskip(NEXT) | instid1(VALU_DEP_1)
	v_dual_add_f32 v72, v72, v86 :: v_dual_mul_f32 v75, 0x3fb8aa3b, v75
	v_add_f32_e32 v72, v72, v89
	s_delay_alu instid0(VALU_DEP_2) | instskip(NEXT) | instid1(VALU_DEP_1)
	v_exp_f32_e32 v75, v75
	v_add_f32_e32 v72, v72, v88
	s_waitcnt_depctr 0xfff
	v_cndmask_b32_e64 v91, 0, v75, s13
	v_mul_f32_e32 v73, 0x3fb8aa3b, v77
	v_fma_f32 v77, s19, v118, -v71
	s_delay_alu instid0(VALU_DEP_3) | instskip(NEXT) | instid1(VALU_DEP_3)
	v_add_f32_e32 v72, v72, v91
	v_exp_f32_e32 v73, v73
	s_delay_alu instid0(VALU_DEP_1) | instskip(NEXT) | instid1(VALU_DEP_1)
	v_dual_mul_f32 v75, 0x3fb8aa3b, v77 :: v_dual_add_f32 v72, v72, v90
	v_exp_f32_e32 v75, v75
	s_waitcnt_depctr 0xfff
	v_cndmask_b32_e64 v93, 0, v73, s16
	s_delay_alu instid0(VALU_DEP_1) | instskip(SKIP_1) | instid1(VALU_DEP_1)
	v_add_f32_e32 v72, v72, v93
	v_cndmask_b32_e64 v92, 0, v75, s17
	v_add_f32_e32 v72, v72, v92
	ds_bpermute_b32 v73, v74, v72
	s_and_saveexec_b32 s3, s2
	s_cbranch_execz .LBB1256_12
; %bb.11:
	v_mul_u32_u24_e32 v70, 0x44, v69
	s_waitcnt lgkmcnt(0)
	v_add_f32_e32 v72, v72, v73
	s_delay_alu instid0(VALU_DEP_2) | instskip(NEXT) | instid1(VALU_DEP_1)
	v_lshl_add_u32 v70, v68, 2, v70
	v_add_nc_u32_e32 v70, 0x4000, v70
	ds_store_2addr_b32 v70, v71, v72 offset1:136
.LBB1256_12:
	s_or_b32 exec_lo, exec_lo, s3
	v_lshlrev_b32_e32 v70, 2, v68
	s_load_b32 s35, s[0:1], 0x94
	s_waitcnt lgkmcnt(0)
	s_barrier
	buffer_gl0_inv
	v_add_nc_u32_e32 v98, 0x4000, v70
	v_cmp_eq_u32_e32 vcc_lo, 1, v69
	v_cmp_eq_u32_e64 s3, 2, v69
	v_cmp_eq_u32_e64 s4, 3, v69
	;; [unrolled: 1-line block ×3, first 2 shown]
	ds_load_2addr_b32 v[70:71], v98 offset1:17
	ds_load_2addr_b32 v[72:73], v98 offset0:34 offset1:51
	ds_load_2addr_b32 v[74:75], v98 offset0:68 offset1:85
	;; [unrolled: 1-line block ×3, first 2 shown]
	v_cmp_eq_u32_e64 s6, 5, v69
	v_cmp_eq_u32_e64 s7, 7, v69
	s_waitcnt lgkmcnt(3)
	v_max3_f32 v76, v70, 0xff7fffff, v71
	s_waitcnt lgkmcnt(2)
	s_delay_alu instid0(VALU_DEP_1) | instskip(SKIP_1) | instid1(VALU_DEP_1)
	v_max3_f32 v76, v76, v72, v73
	s_waitcnt lgkmcnt(1)
	v_max3_f32 v76, v76, v74, v75
	s_waitcnt lgkmcnt(0)
	s_delay_alu instid0(VALU_DEP_1) | instskip(NEXT) | instid1(VALU_DEP_1)
	v_max3_f32 v76, v76, v94, v95
	v_sub_f32_e32 v77, v71, v76
	ds_load_2addr_b32 v[96:97], v98 offset0:136 offset1:153
	v_sub_f32_e32 v74, v74, v76
	v_sub_f32_e32 v70, v70, v76
	;; [unrolled: 1-line block ×3, first 2 shown]
	v_dual_sub_f32 v72, v72, v76 :: v_dual_mul_f32 v77, 0x3fb8aa3b, v77
	s_delay_alu instid0(VALU_DEP_4) | instskip(NEXT) | instid1(VALU_DEP_4)
	v_mul_f32_e32 v103, 0x3fb8aa3b, v74
	v_mul_f32_e32 v99, 0x3fb8aa3b, v70
	ds_load_2addr_b32 v[70:71], v98 offset0:170 offset1:187
	v_dual_mul_f32 v101, 0x3fb8aa3b, v72 :: v_dual_mul_f32 v94, 0x3fb8aa3b, v94
	v_exp_f32_e32 v102, v77
	v_exp_f32_e32 v99, v99
	s_delay_alu instid0(VALU_DEP_1) | instskip(NEXT) | instid1(VALU_DEP_1)
	v_exp_f32_e32 v101, v101
	v_exp_f32_e32 v94, v94
	s_waitcnt lgkmcnt(1)
	s_delay_alu instid0(TRANS32_DEP_3)
	v_fma_f32 v77, v99, v96, 0
	v_sub_f32_e32 v100, v73, v76
	ds_load_2addr_b32 v[72:73], v98 offset0:204 offset1:221
	v_fmac_f32_e32 v77, v102, v97
	v_exp_f32_e32 v97, v103
	s_waitcnt lgkmcnt(1)
	s_delay_alu instid0(VALU_DEP_1)
	v_dual_fmac_f32 v77, v101, v70 :: v_dual_sub_f32 v96, v75, v76
	ds_load_2addr_b32 v[74:75], v98 offset0:238 offset1:255
	v_sub_f32_e32 v70, v95, v76
	s_waitcnt lgkmcnt(0)
	s_barrier
	v_mul_f32_e32 v96, 0x3fb8aa3b, v96
	buffer_gl0_inv
	v_exp_f32_e32 v95, v96
	v_mul_f32_e32 v100, 0x3fb8aa3b, v100
	s_delay_alu instid0(VALU_DEP_1) | instskip(SKIP_3) | instid1(VALU_DEP_2)
	v_exp_f32_e32 v100, v100
	s_waitcnt_depctr 0xfff
	v_dual_fmac_f32 v77, v100, v71 :: v_dual_mul_f32 v70, 0x3fb8aa3b, v70
	v_cndmask_b32_e32 v71, v99, v102, vcc_lo
	v_fmac_f32_e32 v77, v97, v72
	s_delay_alu instid0(VALU_DEP_3) | instskip(NEXT) | instid1(VALU_DEP_1)
	v_exp_f32_e32 v96, v70
	v_fmac_f32_e32 v77, v95, v73
	s_delay_alu instid0(VALU_DEP_1) | instskip(SKIP_2) | instid1(VALU_DEP_1)
	v_fmac_f32_e32 v77, v94, v74
	s_waitcnt_depctr 0xfff
	v_fmac_f32_e32 v77, v96, v75
	v_add_f32_e32 v74, 0x358637bd, v77
	s_delay_alu instid0(VALU_DEP_1) | instskip(SKIP_1) | instid1(VALU_DEP_2)
	v_div_scale_f32 v98, null, v74, v74, 1.0
	v_div_scale_f32 v99, vcc_lo, 1.0, v74, 1.0
	v_rcp_f32_e32 v103, v98
	s_waitcnt_depctr 0xfff
	v_fma_f32 v70, -v98, v103, 1.0
	s_delay_alu instid0(VALU_DEP_1) | instskip(SKIP_2) | instid1(VALU_DEP_2)
	v_fmac_f32_e32 v103, v70, v103
	v_cndmask_b32_e64 v70, v71, v101, s3
	v_cmp_eq_u32_e64 s3, 6, v69
	v_cndmask_b32_e64 v71, v70, v100, s4
	s_delay_alu instid0(VALU_DEP_4) | instskip(NEXT) | instid1(VALU_DEP_2)
	v_dual_mul_f32 v101, v99, v103 :: v_dual_lshlrev_b32 v70, 2, v66
	v_cndmask_b32_e64 v71, v71, v97, s5
	s_delay_alu instid0(VALU_DEP_2) | instskip(NEXT) | instid1(VALU_DEP_3)
	v_or_b32_e32 v72, 1, v70
	v_fma_f32 v100, -v98, v101, v99
	v_cmp_eq_u32_e64 s4, 1, v70
	v_cmp_eq_u32_e64 s5, 2, v70
	v_cndmask_b32_e64 v95, v71, v95, s6
	v_or_b32_e32 v71, 3, v70
	v_fmac_f32_e32 v101, v100, v103
	v_cmp_eq_u32_e64 s9, 1, v72
	v_cmp_eq_u32_e64 s12, 2, v72
	v_cndmask_b32_e64 v94, v95, v94, s3
	v_cmp_eq_u32_e64 s11, 1, v71
	v_fma_f32 v97, -v98, v101, v99
	v_cmp_eq_u32_e64 s16, 2, v71
	v_cmp_eq_u32_e64 s13, 3, v72
	v_cndmask_b32_e64 v94, v94, v96, s7
	v_cmp_eq_u32_e64 s18, 3, v71
	v_div_fmas_f32 v95, v97, v103, v101
	v_cmp_eq_u32_e32 vcc_lo, 3, v70
	v_cmp_eq_u32_e64 s3, 4, v70
	v_cmp_eq_u32_e64 s19, 4, v72
	;; [unrolled: 1-line block ×3, first 2 shown]
	v_div_fixup_f32 v95, v95, v74, 1.0
	v_lshlrev_b32_e32 v73, 6, v68
	v_cmp_eq_u32_e64 s6, 5, v70
	v_cmp_eq_u32_e64 s20, 5, v72
	v_cmp_eq_u32_e64 s24, 5, v71
	v_mul_f32_e32 v102, v94, v95
	v_lshl_or_b32 v75, v69, 11, v73
	v_or_b32_e32 v69, 2, v70
	v_cmp_eq_u32_e64 s25, 6, v72
	v_cmp_eq_u32_e64 s27, 6, v71
	v_fma_mixlo_f16 v94, v102, v79, 0
	v_fma_mixlo_f16 v95, v102, v81, 0
	;; [unrolled: 1-line block ×8, first 2 shown]
	v_lshl_or_b32 v74, v66, 4, v75
	v_fma_mixhi_f16 v94, v102, v78, 0
	v_fma_mixhi_f16 v95, v102, v80, 0
	;; [unrolled: 1-line block ×8, first 2 shown]
	ds_store_b128 v74, v[94:97]
	ds_store_b128 v74, v[98:101] offset:1024
	s_waitcnt lgkmcnt(0)
	s_barrier
	buffer_gl0_inv
	ds_load_b128 v[78:81], v75
	ds_load_b128 v[82:85], v75 offset:16
	ds_load_b128 v[86:89], v75 offset:1024
	;; [unrolled: 1-line block ×3, first 2 shown]
	v_cmp_eq_u32_e64 s10, 1, v69
	v_cmp_eq_u32_e64 s15, 2, v69
	v_cmp_eq_u32_e64 s17, 3, v69
	v_cmp_eq_u32_e64 s21, 4, v69
	v_cmp_eq_u32_e64 s23, 5, v69
	v_cmp_eq_u32_e64 s7, 6, v70
	v_cmp_eq_u32_e64 s26, 6, v69
	v_cmp_eq_u32_e64 s29, 7, v71
	v_cmp_eq_u32_e64 s30, 7, v72
	v_cmp_eq_u32_e64 s8, 7, v70
	v_cmp_eq_u32_e64 s28, 7, v69
	s_waitcnt lgkmcnt(3)
	v_lshrrev_b32_e32 v94, 16, v78
	s_waitcnt lgkmcnt(2)
	v_lshrrev_b32_e32 v98, 16, v82
	;; [unrolled: 2-line block ×4, first 2 shown]
	v_lshrrev_b32_e32 v95, 16, v79
	v_cndmask_b32_e64 v110, v78, v94, s4
	v_cndmask_b32_e64 v111, v82, v98, s4
	;; [unrolled: 1-line block ×8, first 2 shown]
	v_lshrrev_b32_e32 v99, 16, v83
	v_cndmask_b32_e64 v94, v86, v102, s4
	v_cndmask_b32_e64 v98, v90, v106, s4
	;; [unrolled: 1-line block ×15, first 2 shown]
	v_lshrrev_b32_e32 v103, 16, v87
	v_lshrrev_b32_e32 v107, 16, v91
	v_cndmask_b32_e64 v113, v115, v83, s15
	v_cndmask_b32_e64 v82, v94, v87, s5
	;; [unrolled: 1-line block ×7, first 2 shown]
	v_cndmask_b32_e32 v90, v102, v95, vcc_lo
	v_cndmask_b32_e32 v102, v106, v99, vcc_lo
	v_cndmask_b32_e64 v106, v110, v95, s13
	v_cndmask_b32_e64 v110, v111, v99, s13
	;; [unrolled: 1-line block ×4, first 2 shown]
	v_lshrrev_b32_e32 v96, 16, v80
	v_lshrrev_b32_e32 v100, 16, v84
	v_cndmask_b32_e64 v111, v112, v95, s17
	v_cndmask_b32_e64 v112, v113, v99, s17
	v_cndmask_b32_e32 v82, v82, v103, vcc_lo
	v_cndmask_b32_e32 v83, v83, v107, vcc_lo
	v_cndmask_b32_e64 v94, v94, v103, s13
	v_cndmask_b32_e64 v90, v90, v80, s3
	;; [unrolled: 1-line block ×7, first 2 shown]
	v_lshrrev_b32_e32 v104, 16, v88
	v_cndmask_b32_e64 v106, v111, v80, s21
	v_cndmask_b32_e64 v110, v112, v84, s21
	;; [unrolled: 1-line block ×11, first 2 shown]
	v_lshrrev_b32_e32 v97, 16, v81
	v_lshrrev_b32_e32 v101, 16, v85
	v_cndmask_b32_e64 v99, v106, v96, s23
	v_cndmask_b32_e64 v102, v110, v100, s23
	v_cndmask_b32_e64 v83, v83, v104, s20
	v_cndmask_b32_e64 v94, v94, v81, s25
	v_cndmask_b32_e64 v95, v95, v85, s25
	v_cndmask_b32_e64 v78, v78, v81, s27
	v_cndmask_b32_e64 v79, v79, v85, s27
	v_lshrrev_b32_e32 v105, 16, v89
	v_cndmask_b32_e64 v80, v80, v104, s6
	v_cndmask_b32_e64 v84, v84, v81, s7
	;; [unrolled: 1-line block ×16, first 2 shown]
	v_perm_b32 v81, v79, v78, 0x5040100
	v_perm_b32 v79, v95, v85, 0x5040100
	v_cndmask_b32_e64 v78, v119, v91, s15
	v_cndmask_b32_e64 v85, v117, v91, s12
	;; [unrolled: 1-line block ×3, first 2 shown]
	v_perm_b32 v80, v94, v90, 0x5040100
	v_cndmask_b32_e64 v90, v98, v103, s17
	v_cndmask_b32_e64 v86, v86, v103, s18
	;; [unrolled: 1-line block ×5, first 2 shown]
	v_lshrrev_b32_e32 v108, 16, v92
	v_cndmask_b32_e64 v90, v90, v88, s21
	v_cndmask_b32_e64 v86, v86, v88, s22
	;; [unrolled: 1-line block ×11, first 2 shown]
	v_lshrrev_b32_e32 v109, 16, v93
	v_cndmask_b32_e64 v82, v82, v93, s7
	v_cndmask_b32_e64 v88, v88, v89, s26
	;; [unrolled: 1-line block ×12, first 2 shown]
	v_perm_b32 v78, v84, v83, 0x5040100
	v_perm_b32 v85, v87, v86, 0x5040100
	;; [unrolled: 1-line block ×5, first 2 shown]
	s_mul_i32 s8, s33, 11
	s_mov_b32 s3, exec_lo
	ds_store_b128 v74, v[78:81]
	ds_store_b128 v74, v[82:85] offset:1024
	v_cmpx_gt_u32_e32 11, v0
	s_cbranch_execz .LBB1256_14
; %bb.13:
	s_mul_i32 s4, s8, s34
	s_delay_alu instid0(SALU_CYCLE_1) | instskip(SKIP_1) | instid1(VALU_DEP_1)
	v_add3_u32 v68, s4, s31, v68
	s_load_b128 s[4:7], s[0:1], 0x58
	v_mad_u64_u32 v[78:79], null, v68, s35, s[14:15]
	s_delay_alu instid0(VALU_DEP_1) | instskip(NEXT) | instid1(VALU_DEP_1)
	v_ashrrev_i32_e32 v79, 31, v78
	v_lshlrev_b64 v[78:79], 2, v[78:79]
	s_waitcnt lgkmcnt(0)
	s_delay_alu instid0(VALU_DEP_1) | instskip(NEXT) | instid1(VALU_DEP_2)
	v_add_co_u32 v80, vcc_lo, s6, v78
	v_add_co_ci_u32_e32 v81, vcc_lo, s7, v79, vcc_lo
	v_add_co_u32 v78, vcc_lo, s4, v78
	v_add_co_ci_u32_e32 v79, vcc_lo, s5, v79, vcc_lo
	global_store_b32 v[80:81], v76, off
	global_store_b32 v[78:79], v77, off
.LBB1256_14:
	s_or_b32 exec_lo, exec_lo, s3
	s_waitcnt lgkmcnt(0)
	s_waitcnt_vscnt null, 0x0
	s_barrier
	buffer_gl0_inv
	ds_load_b128 v[84:87], v73
	ds_load_b128 v[88:91], v73 offset:16
	ds_load_b128 v[96:99], v73 offset:2064
	;; [unrolled: 1-line block ×5, first 2 shown]
	v_cmp_eq_u32_e32 vcc_lo, 1, v70
	v_mov_b32_e32 v76, 0
	ds_load_b128 v[112:115], v73 offset:6160
	ds_load_b128 v[108:111], v73 offset:6144
	;; [unrolled: 1-line block ×4, first 2 shown]
	v_cmp_eq_u32_e64 s4, 1, v69
	v_cmp_eq_u32_e64 s3, 1, v72
	;; [unrolled: 1-line block ×3, first 2 shown]
	v_mov_b32_e32 v77, v76
	v_mov_b32_e32 v78, v76
	;; [unrolled: 1-line block ×7, first 2 shown]
	v_cmp_eq_u32_e64 s6, 3, v72
	v_cmp_eq_u32_e64 s7, 7, v72
	s_waitcnt lgkmcnt(8)
	s_delay_alu instid0(VALU_DEP_3)
	v_wmma_f32_16x16x16_f16 v[76:83], v[49:56], v[84:91], v[76:83]
	ds_load_b128 v[53:56], v73 offset:10256
	ds_load_b128 v[49:52], v73 offset:10240
	s_waitcnt lgkmcnt(8)
	v_wmma_f32_16x16x16_f16 v[76:83], v[41:48], v[92:99], v[76:83]
	ds_load_b128 v[45:48], v73 offset:12304
	ds_load_b128 v[41:44], v73 offset:12288
	s_waitcnt lgkmcnt(8)
	;; [unrolled: 4-line block ×3, first 2 shown]
	s_barrier
	buffer_gl0_inv
	v_wmma_f32_16x16x16_f16 v[76:83], v[1:8], v[108:115], v[76:83]
	s_delay_alu instid0(VALU_DEP_1) | instskip(NEXT) | instid1(VALU_DEP_1)
	v_wmma_f32_16x16x16_f16 v[76:83], v[9:16], v[116:123], v[76:83]
	v_wmma_f32_16x16x16_f16 v[76:83], v[17:24], v[49:56], v[76:83]
	s_delay_alu instid0(VALU_DEP_1) | instskip(NEXT) | instid1(VALU_DEP_1)
	v_wmma_f32_16x16x16_f16 v[76:83], v[25:32], v[41:48], v[76:83]
	v_wmma_f32_16x16x16_f16 v[76:83], v[57:64], v[33:40], v[76:83]
	s_delay_alu instid0(VALU_DEP_1) | instskip(NEXT) | instid1(VALU_DEP_2)
	v_cvt_f16_f32_e32 v1, v76
	v_cvt_f16_f32_e32 v2, v77
	s_delay_alu instid0(VALU_DEP_3) | instskip(NEXT) | instid1(VALU_DEP_4)
	v_cvt_f16_f32_e32 v3, v78
	v_cvt_f16_f32_e32 v4, v79
	;; [unrolled: 1-line block ×6, first 2 shown]
	v_pack_b32_f16 v1, v1, v2
	v_pack_b32_f16 v2, v3, v4
	;; [unrolled: 1-line block ×3, first 2 shown]
	s_delay_alu instid0(VALU_DEP_4)
	v_pack_b32_f16 v4, v7, v8
	ds_store_b128 v74, v[1:4]
	s_waitcnt lgkmcnt(0)
	s_barrier
	buffer_gl0_inv
	ds_load_b128 v[1:4], v75
	ds_load_b128 v[5:8], v75 offset:16
	s_waitcnt lgkmcnt(1)
	v_lshrrev_b32_e32 v9, 16, v1
	s_waitcnt lgkmcnt(0)
	v_lshrrev_b32_e32 v13, 16, v5
	v_lshrrev_b32_e32 v10, 16, v2
	;; [unrolled: 1-line block ×4, first 2 shown]
	v_cndmask_b32_e32 v17, v1, v9, vcc_lo
	v_cndmask_b32_e32 v18, v5, v13, vcc_lo
	v_cndmask_b32_e64 v21, v1, v9, s4
	v_cmp_eq_u32_e32 vcc_lo, 1, v71
	v_cndmask_b32_e64 v22, v5, v13, s4
	v_cmp_eq_u32_e64 s4, 2, v70
	v_cndmask_b32_e64 v19, v1, v9, s3
	v_cndmask_b32_e64 v20, v5, v13, s3
	v_cndmask_b32_e32 v1, v1, v9, vcc_lo
	v_cmp_eq_u32_e64 s3, 2, v71
	v_cndmask_b32_e32 v5, v5, v13, vcc_lo
	v_cndmask_b32_e64 v9, v17, v2, s4
	v_cmp_eq_u32_e32 vcc_lo, 3, v70
	v_cndmask_b32_e64 v13, v18, v6, s4
	v_cmp_eq_u32_e64 s4, 2, v69
	v_cndmask_b32_e64 v17, v19, v2, s5
	v_cndmask_b32_e64 v18, v20, v6, s5
	v_cmp_eq_u32_e64 s5, 3, v69
	v_cndmask_b32_e64 v1, v1, v2, s3
	v_cndmask_b32_e64 v19, v21, v2, s4
	;; [unrolled: 1-line block ×4, first 2 shown]
	v_cndmask_b32_e32 v5, v9, v10, vcc_lo
	v_cndmask_b32_e32 v6, v13, v14, vcc_lo
	v_cmp_eq_u32_e32 vcc_lo, 3, v71
	v_cndmask_b32_e64 v9, v17, v10, s6
	v_cndmask_b32_e64 v13, v18, v14, s6
	;; [unrolled: 1-line block ×3, first 2 shown]
	v_cmp_eq_u32_e64 s4, 4, v70
	v_cndmask_b32_e32 v1, v1, v10, vcc_lo
	v_cndmask_b32_e32 v2, v2, v14, vcc_lo
	v_cmp_eq_u32_e32 vcc_lo, 4, v72
	v_lshrrev_b32_e32 v15, 16, v7
	v_lshrrev_b32_e32 v16, 16, v8
	v_cndmask_b32_e64 v17, v19, v10, s5
	v_cmp_eq_u32_e64 s3, 4, v71
	v_cndmask_b32_e64 v5, v5, v3, s4
	v_cndmask_b32_e64 v6, v6, v7, s4
	v_cndmask_b32_e32 v9, v9, v3, vcc_lo
	v_cmp_eq_u32_e64 s4, 5, v72
	v_cndmask_b32_e32 v10, v13, v7, vcc_lo
	v_cmp_eq_u32_e32 vcc_lo, 4, v69
	v_cmp_eq_u32_e64 s5, 5, v70
	v_cndmask_b32_e64 v2, v2, v7, s3
	v_cndmask_b32_e64 v9, v9, v11, s4
	;; [unrolled: 1-line block ×3, first 2 shown]
	v_cndmask_b32_e32 v13, v17, v3, vcc_lo
	v_cmp_eq_u32_e64 s4, 5, v69
	v_cndmask_b32_e32 v14, v18, v7, vcc_lo
	v_cndmask_b32_e64 v1, v1, v3, s3
	v_cmp_eq_u32_e32 vcc_lo, 5, v71
	v_lshrrev_b32_e32 v12, 16, v4
	v_cndmask_b32_e64 v13, v13, v11, s4
	v_cndmask_b32_e64 v3, v14, v15, s4
	v_cmp_eq_u32_e64 s4, 6, v71
	v_cndmask_b32_e32 v1, v1, v11, vcc_lo
	v_cndmask_b32_e64 v5, v5, v11, s5
	v_cmp_eq_u32_e64 s6, 6, v70
	v_cndmask_b32_e64 v6, v6, v15, s5
	v_cmp_eq_u32_e64 s5, 6, v72
	v_cmp_eq_u32_e64 s3, 6, v69
	v_cndmask_b32_e64 v1, v1, v4, s4
	v_cndmask_b32_e32 v2, v2, v15, vcc_lo
	v_cmp_eq_u32_e32 vcc_lo, 7, v71
	v_cndmask_b32_e64 v5, v5, v4, s6
	v_cndmask_b32_e64 v9, v9, v4, s5
	;; [unrolled: 1-line block ×3, first 2 shown]
	v_cmp_eq_u32_e64 s6, 7, v70
	v_cndmask_b32_e32 v1, v1, v12, vcc_lo
	v_cndmask_b32_e64 v7, v13, v4, s3
	v_cndmask_b32_e64 v3, v3, v8, s3
	;; [unrolled: 1-line block ×3, first 2 shown]
	v_cmp_eq_u32_e64 s3, 7, v69
	v_cndmask_b32_e64 v4, v10, v8, s5
	v_cndmask_b32_e64 v5, v5, v12, s6
	;; [unrolled: 1-line block ×3, first 2 shown]
	v_cndmask_b32_e32 v2, v2, v16, vcc_lo
	v_cndmask_b32_e64 v7, v7, v12, s3
	v_cndmask_b32_e64 v3, v3, v16, s3
	;; [unrolled: 1-line block ×4, first 2 shown]
	v_perm_b32 v4, v2, v1, 0x5040100
	s_mov_b32 s3, exec_lo
	v_perm_b32 v3, v3, v7, 0x5040100
	v_perm_b32 v2, v8, v9, 0x5040100
	;; [unrolled: 1-line block ×3, first 2 shown]
	ds_store_b128 v74, v[1:4]
	s_waitcnt lgkmcnt(0)
	s_barrier
	buffer_gl0_inv
	v_cmpx_gt_u32_e32 32, v0
	s_cbranch_execz .LBB1256_2
; %bb.15:
	s_load_b64 s[4:5], s[0:1], 0x68
	v_lshlrev_b32_e32 v0, 10, v0
	v_lshlrev_b32_e32 v1, 4, v67
	s_lshl_b32 s0, s35, 7
	v_add_nc_u32_e32 v7, s31, v66
	s_mul_i32 s1, s0, s34
	s_delay_alu instid0(SALU_CYCLE_1) | instskip(SKIP_1) | instid1(VALU_DEP_2)
	s_mul_i32 s6, s1, s8
	v_and_or_b32 v0, 0x3800, v0, v1
	v_mul_lo_u32 v1, v7, s0
	v_add_nc_u32_e32 v2, 2, v7
	s_ashr_i32 s7, s6, 31
	v_add_nc_u32_e32 v4, 4, v7
	s_lshl_b64 s[6:7], s[6:7], 1
	v_add_nc_u32_e32 v8, 6, v7
	v_mul_lo_u32 v3, v2, s0
	v_lshl_or_b32 v19, v66, 6, v0
	v_ashrrev_i32_e32 v2, 31, v1
	v_mul_lo_u32 v11, v4, s0
	v_mul_lo_u32 v25, v8, s0
	s_waitcnt lgkmcnt(0)
	s_add_u32 s1, s4, s6
	s_addc_u32 s3, s5, s7
	s_lshl_b32 s4, s14, 7
	v_lshlrev_b64 v[5:6], 1, v[1:2]
	s_ashr_i32 s5, s4, 31
	v_ashrrev_i32_e32 v4, 31, v3
	s_lshl_b64 s[4:5], s[4:5], 1
	v_ashrrev_i32_e32 v12, 31, v11
	s_add_u32 s1, s1, s4
	s_addc_u32 s3, s3, s5
	v_add_co_u32 v1, s1, s1, v65
	s_delay_alu instid0(VALU_DEP_1) | instskip(SKIP_1) | instid1(VALU_DEP_3)
	v_add_co_ci_u32_e64 v2, null, s3, 0, s1
	v_lshlrev_b64 v[3:4], 1, v[3:4]
	v_add_co_u32 v23, vcc_lo, v1, v5
	v_add_nc_u32_e32 v5, 8, v7
	s_delay_alu instid0(VALU_DEP_4) | instskip(NEXT) | instid1(VALU_DEP_4)
	v_add_co_ci_u32_e32 v24, vcc_lo, v2, v6, vcc_lo
	v_add_co_u32 v27, vcc_lo, v1, v3
	s_delay_alu instid0(VALU_DEP_3)
	v_mul_lo_u32 v29, v5, s0
	v_add_co_ci_u32_e32 v28, vcc_lo, v2, v4, vcc_lo
	ds_load_b128 v[3:6], v19
	ds_load_b128 v[7:10], v19 offset:128
	v_lshlrev_b64 v[31:32], 1, v[11:12]
	ds_load_b128 v[11:14], v19 offset:256
	ds_load_b128 v[15:18], v19 offset:384
	;; [unrolled: 1-line block ×3, first 2 shown]
	v_ashrrev_i32_e32 v26, 31, v25
	v_ashrrev_i32_e32 v30, 31, v29
	v_add_co_u32 v31, vcc_lo, v1, v31
	s_delay_alu instid0(VALU_DEP_3) | instskip(NEXT) | instid1(VALU_DEP_3)
	v_lshlrev_b64 v[25:26], 1, v[25:26]
	v_lshlrev_b64 v[29:30], 1, v[29:30]
	v_add_co_ci_u32_e32 v32, vcc_lo, v2, v32, vcc_lo
	s_delay_alu instid0(VALU_DEP_3) | instskip(NEXT) | instid1(VALU_DEP_4)
	v_add_co_u32 v25, vcc_lo, v1, v25
	v_add_co_ci_u32_e32 v26, vcc_lo, v2, v26, vcc_lo
	s_delay_alu instid0(VALU_DEP_4)
	v_add_co_u32 v29, vcc_lo, v1, v29
	v_add_co_ci_u32_e32 v30, vcc_lo, v2, v30, vcc_lo
	s_waitcnt lgkmcnt(4)
	global_store_b128 v[23:24], v[3:6], off
	s_waitcnt lgkmcnt(3)
	global_store_b128 v[27:28], v[7:10], off
	;; [unrolled: 2-line block ×5, first 2 shown]
	s_and_b32 exec_lo, exec_lo, s2
	s_cbranch_execz .LBB1256_2
; %bb.16:
	ds_load_b128 v[3:6], v0 offset:640
	s_add_i32 s1, s31, 10
	s_delay_alu instid0(SALU_CYCLE_1) | instskip(NEXT) | instid1(SALU_CYCLE_1)
	s_mul_i32 s0, s1, s0
	s_ashr_i32 s1, s0, 31
	s_delay_alu instid0(SALU_CYCLE_1) | instskip(NEXT) | instid1(SALU_CYCLE_1)
	s_lshl_b64 s[0:1], s[0:1], 1
	v_add_co_u32 v0, vcc_lo, v1, s0
	v_add_co_ci_u32_e32 v1, vcc_lo, s1, v2, vcc_lo
	s_waitcnt lgkmcnt(0)
	global_store_b128 v[0:1], v[3:6], off
	s_nop 0
	s_sendmsg sendmsg(MSG_DEALLOC_VGPRS)
	s_endpgm
	.section	.rodata,"a",@progbits
	.p2align	6, 0x0
	.amdhsa_kernel _Z39paged_attention_ll4mi_QKV_mfma16_kernelIDF16_hLN4vllm18Fp8KVCacheDataTypeE1EDF16_Li16ELi128ELi256ELb1ELi11EL8MFMAType0EEvPKT_PKT0_S8_ifPKiSA_SA_iPKfiiiPfSD_PS3_PT2_iSC_SC_
		.amdhsa_group_segment_fixed_size 17472
		.amdhsa_private_segment_fixed_size 0
		.amdhsa_kernarg_size 400
		.amdhsa_user_sgpr_count 13
		.amdhsa_user_sgpr_dispatch_ptr 0
		.amdhsa_user_sgpr_queue_ptr 0
		.amdhsa_user_sgpr_kernarg_segment_ptr 1
		.amdhsa_user_sgpr_dispatch_id 0
		.amdhsa_user_sgpr_private_segment_size 0
		.amdhsa_wavefront_size32 1
		.amdhsa_uses_dynamic_stack 0
		.amdhsa_enable_private_segment 0
		.amdhsa_system_sgpr_workgroup_id_x 1
		.amdhsa_system_sgpr_workgroup_id_y 1
		.amdhsa_system_sgpr_workgroup_id_z 1
		.amdhsa_system_sgpr_workgroup_info 0
		.amdhsa_system_vgpr_workitem_id 0
		.amdhsa_next_free_vgpr 150
		.amdhsa_next_free_sgpr 36
		.amdhsa_reserve_vcc 1
		.amdhsa_float_round_mode_32 0
		.amdhsa_float_round_mode_16_64 0
		.amdhsa_float_denorm_mode_32 3
		.amdhsa_float_denorm_mode_16_64 3
		.amdhsa_dx10_clamp 1
		.amdhsa_ieee_mode 1
		.amdhsa_fp16_overflow 0
		.amdhsa_workgroup_processor_mode 1
		.amdhsa_memory_ordered 1
		.amdhsa_forward_progress 0
		.amdhsa_shared_vgpr_count 0
		.amdhsa_exception_fp_ieee_invalid_op 0
		.amdhsa_exception_fp_denorm_src 0
		.amdhsa_exception_fp_ieee_div_zero 0
		.amdhsa_exception_fp_ieee_overflow 0
		.amdhsa_exception_fp_ieee_underflow 0
		.amdhsa_exception_fp_ieee_inexact 0
		.amdhsa_exception_int_div_zero 0
	.end_amdhsa_kernel
	.section	.text._Z39paged_attention_ll4mi_QKV_mfma16_kernelIDF16_hLN4vllm18Fp8KVCacheDataTypeE1EDF16_Li16ELi128ELi256ELb1ELi11EL8MFMAType0EEvPKT_PKT0_S8_ifPKiSA_SA_iPKfiiiPfSD_PS3_PT2_iSC_SC_,"axG",@progbits,_Z39paged_attention_ll4mi_QKV_mfma16_kernelIDF16_hLN4vllm18Fp8KVCacheDataTypeE1EDF16_Li16ELi128ELi256ELb1ELi11EL8MFMAType0EEvPKT_PKT0_S8_ifPKiSA_SA_iPKfiiiPfSD_PS3_PT2_iSC_SC_,comdat
.Lfunc_end1256:
	.size	_Z39paged_attention_ll4mi_QKV_mfma16_kernelIDF16_hLN4vllm18Fp8KVCacheDataTypeE1EDF16_Li16ELi128ELi256ELb1ELi11EL8MFMAType0EEvPKT_PKT0_S8_ifPKiSA_SA_iPKfiiiPfSD_PS3_PT2_iSC_SC_, .Lfunc_end1256-_Z39paged_attention_ll4mi_QKV_mfma16_kernelIDF16_hLN4vllm18Fp8KVCacheDataTypeE1EDF16_Li16ELi128ELi256ELb1ELi11EL8MFMAType0EEvPKT_PKT0_S8_ifPKiSA_SA_iPKfiiiPfSD_PS3_PT2_iSC_SC_
                                        ; -- End function
	.section	.AMDGPU.csdata,"",@progbits
; Kernel info:
; codeLenInByte = 6800
; NumSgprs: 38
; NumVgprs: 150
; ScratchSize: 0
; MemoryBound: 0
; FloatMode: 240
; IeeeMode: 1
; LDSByteSize: 17472 bytes/workgroup (compile time only)
; SGPRBlocks: 4
; VGPRBlocks: 18
; NumSGPRsForWavesPerEU: 38
; NumVGPRsForWavesPerEU: 150
; Occupancy: 9
; WaveLimiterHint : 1
; COMPUTE_PGM_RSRC2:SCRATCH_EN: 0
; COMPUTE_PGM_RSRC2:USER_SGPR: 13
; COMPUTE_PGM_RSRC2:TRAP_HANDLER: 0
; COMPUTE_PGM_RSRC2:TGID_X_EN: 1
; COMPUTE_PGM_RSRC2:TGID_Y_EN: 1
; COMPUTE_PGM_RSRC2:TGID_Z_EN: 1
; COMPUTE_PGM_RSRC2:TIDIG_COMP_CNT: 0
	.section	.text._Z39paged_attention_ll4mi_QKV_mfma16_kernelIDF16_hLN4vllm18Fp8KVCacheDataTypeE1EDF16_Li16ELi128ELi256ELb1ELi12EL8MFMAType0EEvPKT_PKT0_S8_ifPKiSA_SA_iPKfiiiPfSD_PS3_PT2_iSC_SC_,"axG",@progbits,_Z39paged_attention_ll4mi_QKV_mfma16_kernelIDF16_hLN4vllm18Fp8KVCacheDataTypeE1EDF16_Li16ELi128ELi256ELb1ELi12EL8MFMAType0EEvPKT_PKT0_S8_ifPKiSA_SA_iPKfiiiPfSD_PS3_PT2_iSC_SC_,comdat
	.protected	_Z39paged_attention_ll4mi_QKV_mfma16_kernelIDF16_hLN4vllm18Fp8KVCacheDataTypeE1EDF16_Li16ELi128ELi256ELb1ELi12EL8MFMAType0EEvPKT_PKT0_S8_ifPKiSA_SA_iPKfiiiPfSD_PS3_PT2_iSC_SC_ ; -- Begin function _Z39paged_attention_ll4mi_QKV_mfma16_kernelIDF16_hLN4vllm18Fp8KVCacheDataTypeE1EDF16_Li16ELi128ELi256ELb1ELi12EL8MFMAType0EEvPKT_PKT0_S8_ifPKiSA_SA_iPKfiiiPfSD_PS3_PT2_iSC_SC_
	.globl	_Z39paged_attention_ll4mi_QKV_mfma16_kernelIDF16_hLN4vllm18Fp8KVCacheDataTypeE1EDF16_Li16ELi128ELi256ELb1ELi12EL8MFMAType0EEvPKT_PKT0_S8_ifPKiSA_SA_iPKfiiiPfSD_PS3_PT2_iSC_SC_
	.p2align	8
	.type	_Z39paged_attention_ll4mi_QKV_mfma16_kernelIDF16_hLN4vllm18Fp8KVCacheDataTypeE1EDF16_Li16ELi128ELi256ELb1ELi12EL8MFMAType0EEvPKT_PKT0_S8_ifPKiSA_SA_iPKfiiiPfSD_PS3_PT2_iSC_SC_,@function
_Z39paged_attention_ll4mi_QKV_mfma16_kernelIDF16_hLN4vllm18Fp8KVCacheDataTypeE1EDF16_Li16ELi128ELi256ELb1ELi12EL8MFMAType0EEvPKT_PKT0_S8_ifPKiSA_SA_iPKfiiiPfSD_PS3_PT2_iSC_SC_: ; @_Z39paged_attention_ll4mi_QKV_mfma16_kernelIDF16_hLN4vllm18Fp8KVCacheDataTypeE1EDF16_Li16ELi128ELi256ELb1ELi12EL8MFMAType0EEvPKT_PKT0_S8_ifPKiSA_SA_iPKfiiiPfSD_PS3_PT2_iSC_SC_
; %bb.0:
	s_load_b64 s[4:5], s[0:1], 0x30
	s_mov_b32 s30, s13
	s_waitcnt lgkmcnt(0)
	s_cmp_lg_u64 s[4:5], 0
	s_cselect_b32 s8, -1, 0
	s_ashr_i32 s31, s13, 31
	s_cmp_eq_u64 s[4:5], 0
	s_cbranch_scc1 .LBB1257_3
; %bb.1:
	s_lshl_b64 s[2:3], s[30:31], 2
	s_delay_alu instid0(SALU_CYCLE_1) | instskip(SKIP_4) | instid1(SALU_CYCLE_1)
	s_add_u32 s2, s4, s2
	s_addc_u32 s3, s5, s3
	s_load_b64 s[2:3], s[2:3], 0x0
	s_waitcnt lgkmcnt(0)
	s_sub_i32 s2, s3, s2
	s_cmp_eq_u32 s2, 1
	s_cselect_b32 s2, -1, 0
	s_delay_alu instid0(SALU_CYCLE_1)
	s_and_not1_b32 vcc_lo, exec_lo, s2
	s_cbranch_vccz .LBB1257_4
.LBB1257_2:
	s_endpgm
.LBB1257_3:
.LBB1257_4:
	s_load_b64 s[2:3], s[0:1], 0x28
	s_lshl_b64 s[6:7], s[30:31], 2
	s_waitcnt lgkmcnt(0)
	s_add_u32 s2, s2, s6
	s_addc_u32 s3, s3, s7
	s_lshl_b32 s12, s14, 8
	s_load_b32 s24, s[2:3], 0x0
	s_waitcnt lgkmcnt(0)
	s_cmp_ge_i32 s12, s24
	s_cbranch_scc1 .LBB1257_2
; %bb.5:
	s_clause 0x1
	s_load_b128 s[20:23], s[0:1], 0x8
	s_load_b64 s[2:3], s[0:1], 0x20
	s_and_not1_b32 vcc_lo, exec_lo, s8
	s_cbranch_vccnz .LBB1257_7
; %bb.6:
	s_add_u32 s4, s4, s6
	s_addc_u32 s5, s5, s7
	s_load_b32 s5, s[4:5], 0x0
	s_branch .LBB1257_8
.LBB1257_7:
	s_mov_b32 s5, s30
.LBB1257_8:
	s_load_b128 s[16:19], s[0:1], 0x48
	v_and_b32_e32 v68, 15, v0
	v_lshrrev_b32_e32 v69, 5, v0
	v_and_b32_e32 v70, 31, v0
	v_and_b32_e32 v67, 1, v0
	v_bfe_u32 v66, v0, 4, 1
	v_lshlrev_b32_e32 v1, 3, v68
	s_mul_i32 s31, s15, 12
	s_mov_b32 s4, exec_lo
	s_delay_alu instid0(VALU_DEP_1)
	v_lshlrev_b32_e32 v65, 1, v1
	v_cmpx_gt_u32_e32 0xc0, v0
	s_cbranch_execz .LBB1257_10
; %bb.9:
	s_load_b64 s[6:7], s[0:1], 0x0
	v_lshl_or_b32 v5, v69, 1, v66
	s_waitcnt lgkmcnt(0)
	s_mul_hi_i32 s9, s5, s16
	s_mul_i32 s8, s5, s16
	v_lshlrev_b32_e32 v6, 10, v68
	s_lshl_b64 s[8:9], s[8:9], 1
	v_add_lshl_u32 v1, v5, s31, 7
	v_lshlrev_b32_e32 v5, 6, v5
	v_lshlrev_b32_e32 v7, 10, v67
	v_and_b32_e32 v6, 0x3800, v6
	s_delay_alu instid0(VALU_DEP_4) | instskip(NEXT) | instid1(VALU_DEP_2)
	v_ashrrev_i32_e32 v2, 31, v1
	v_or3_b32 v5, v6, v7, v5
	s_delay_alu instid0(VALU_DEP_2) | instskip(SKIP_2) | instid1(VALU_DEP_1)
	v_lshlrev_b64 v[1:2], 1, v[1:2]
	s_add_u32 s5, s6, s8
	s_addc_u32 s6, s7, s9
	v_add_co_u32 v1, vcc_lo, s5, v1
	s_delay_alu instid0(VALU_DEP_2) | instskip(NEXT) | instid1(VALU_DEP_2)
	v_add_co_ci_u32_e32 v2, vcc_lo, s6, v2, vcc_lo
	v_add_co_u32 v1, vcc_lo, v1, v65
	s_delay_alu instid0(VALU_DEP_2)
	v_add_co_ci_u32_e32 v2, vcc_lo, 0, v2, vcc_lo
	global_load_b128 v[1:4], v[1:2], off
	s_waitcnt vmcnt(0)
	ds_store_b128 v5, v[1:4]
.LBB1257_10:
	s_or_b32 exec_lo, exec_lo, s4
	v_and_b32_e32 v1, 0xef, v0
	s_waitcnt lgkmcnt(0)
	s_add_i32 s5, s24, 15
	s_clause 0x1
	s_load_b32 s4, s[0:1], 0x38
	s_load_b32 s33, s[0:1], 0x98
	s_ashr_i32 s6, s5, 31
	v_add_nc_u32_e32 v1, s12, v1
	s_lshr_b32 s6, s6, 28
	s_load_b32 s19, s[0:1], 0x1c
	s_add_i32 s5, s5, s6
	s_waitcnt lgkmcnt(0)
	v_ashrrev_i32_e32 v2, 31, v1
	v_or_b32_e32 v3, 16, v1
	s_ashr_i32 s13, s5, 4
	v_cmp_gt_i32_e32 vcc_lo, s24, v1
	s_add_i32 s13, s13, -1
	v_lshrrev_b32_e32 v2, 28, v2
	s_barrier
	buffer_gl0_inv
	s_mul_i32 s15, s15, s18
	v_add_nc_u32_e32 v4, v1, v2
	s_mul_i32 s4, s30, s4
	s_delay_alu instid0(SALU_CYCLE_1) | instskip(NEXT) | instid1(VALU_DEP_1)
	s_ashr_i32 s5, s4, 31
	v_ashrrev_i32_e32 v4, 4, v4
	v_add_nc_u32_e32 v2, v3, v2
	s_lshl_b64 s[4:5], s[4:5], 2
	s_delay_alu instid0(SALU_CYCLE_1) | instskip(NEXT) | instid1(VALU_DEP_2)
	s_add_u32 s16, s2, s4
	v_cndmask_b32_e32 v1, s13, v4, vcc_lo
	s_delay_alu instid0(VALU_DEP_2)
	v_ashrrev_i32_e32 v2, 4, v2
	v_cmp_gt_i32_e32 vcc_lo, s24, v3
	s_addc_u32 s25, s3, s5
	s_ashr_i32 s18, s15, 31
	s_add_u32 s26, s20, s15
	s_addc_u32 s27, s21, s18
	v_cndmask_b32_e32 v3, s13, v2, vcc_lo
	v_ashrrev_i32_e32 v2, 31, v1
	s_lshl_b32 s2, s14, 4
	s_delay_alu instid0(SALU_CYCLE_1) | instskip(NEXT) | instid1(VALU_DEP_2)
	s_ashr_i32 s3, s2, 31
	v_ashrrev_i32_e32 v4, 31, v3
	s_delay_alu instid0(VALU_DEP_2) | instskip(SKIP_1) | instid1(SALU_CYCLE_1)
	v_lshlrev_b64 v[1:2], 2, v[1:2]
	s_lshl_b64 s[2:3], s[2:3], 2
	s_add_u32 s2, s16, s2
	s_delay_alu instid0(VALU_DEP_2) | instskip(SKIP_1) | instid1(VALU_DEP_2)
	v_lshlrev_b64 v[3:4], 2, v[3:4]
	s_addc_u32 s3, s25, s3
	v_add_co_u32 v1, vcc_lo, s16, v1
	v_add_co_ci_u32_e32 v2, vcc_lo, s25, v2, vcc_lo
	s_delay_alu instid0(VALU_DEP_3) | instskip(NEXT) | instid1(VALU_DEP_4)
	v_add_co_u32 v3, vcc_lo, s16, v3
	v_add_co_ci_u32_e32 v4, vcc_lo, s25, v4, vcc_lo
	s_clause 0x1
	global_load_b32 v5, v[1:2], off
	global_load_b32 v7, v[3:4], off
	s_or_b32 s4, s12, 32
	v_lshlrev_b32_e32 v1, 4, v0
	s_ashr_i32 s5, s4, 4
	s_cmp_lt_i32 s4, s24
	v_cmp_gt_u32_e32 vcc_lo, 12, v68
	s_cselect_b32 s4, s5, s13
	v_and_b32_e32 v1, 0xf0, v1
	s_ashr_i32 s5, s4, 31
	s_delay_alu instid0(SALU_CYCLE_1) | instskip(NEXT) | instid1(SALU_CYCLE_1)
	s_lshl_b64 s[4:5], s[4:5], 2
	s_add_u32 s4, s16, s4
	s_addc_u32 s5, s25, s5
	s_or_b32 s6, s12, 64
	v_add_co_u32 v1, s26, s26, v1
	s_ashr_i32 s7, s6, 4
	s_cmp_lt_i32 s6, s24
	v_add_co_ci_u32_e64 v2, null, s27, 0, s26
	s_cselect_b32 s6, s7, s13
	s_delay_alu instid0(SALU_CYCLE_1) | instskip(NEXT) | instid1(SALU_CYCLE_1)
	s_ashr_i32 s7, s6, 31
	s_lshl_b64 s[6:7], s[6:7], 2
	s_delay_alu instid0(SALU_CYCLE_1) | instskip(SKIP_2) | instid1(SALU_CYCLE_1)
	s_add_u32 s6, s16, s6
	s_addc_u32 s7, s25, s7
	s_or_b32 s8, s12, 0x60
	s_ashr_i32 s9, s8, 4
	s_cmp_lt_i32 s8, s24
	s_cselect_b32 s8, s9, s13
	s_delay_alu instid0(SALU_CYCLE_1) | instskip(NEXT) | instid1(SALU_CYCLE_1)
	s_ashr_i32 s9, s8, 31
	s_lshl_b64 s[8:9], s[8:9], 2
	s_delay_alu instid0(SALU_CYCLE_1) | instskip(SKIP_2) | instid1(SALU_CYCLE_1)
	s_add_u32 s8, s16, s8
	s_addc_u32 s9, s25, s9
	s_or_b32 s10, s12, 0x80
	s_ashr_i32 s11, s10, 4
	s_cmp_lt_i32 s10, s24
	;; [unrolled: 10-line block ×3, first 2 shown]
	s_cselect_b32 s20, s21, s13
	s_delay_alu instid0(SALU_CYCLE_1) | instskip(NEXT) | instid1(SALU_CYCLE_1)
	s_ashr_i32 s21, s20, 31
	s_lshl_b64 s[20:21], s[20:21], 2
	s_delay_alu instid0(SALU_CYCLE_1)
	s_add_u32 s20, s16, s20
	s_addc_u32 s21, s25, s21
	s_clause 0x5
	s_load_b32 s26, s[2:3], 0x0
	s_load_b32 s27, s[4:5], 0x0
	;; [unrolled: 1-line block ×6, first 2 shown]
	s_or_b32 s2, s12, 0xc0
	s_mov_b32 s4, 0
	s_ashr_i32 s3, s2, 4
	s_cmp_lt_i32 s2, s24
	s_mov_b32 s11, s4
	s_cselect_b32 s2, s3, s13
	s_mov_b32 s5, s4
	s_ashr_i32 s3, s2, 31
	s_mov_b32 s6, s4
	s_lshl_b64 s[2:3], s[2:3], 2
	s_mov_b32 s7, s4
	s_add_u32 s2, s16, s2
	s_addc_u32 s3, s25, s3
	s_or_b32 s20, s12, 0xe0
	s_mov_b32 s8, s4
	s_ashr_i32 s21, s20, 4
	s_cmp_lt_i32 s20, s24
	s_mov_b32 s9, s4
	s_cselect_b32 s20, s21, s13
	s_mov_b32 s10, s4
	s_ashr_i32 s21, s20, 31
	v_mov_b32_e32 v118, s11
	v_dual_mov_b32 v112, s5 :: v_dual_mov_b32 v117, s10
	v_dual_mov_b32 v116, s9 :: v_dual_mov_b32 v115, s8
	;; [unrolled: 1-line block ×3, first 2 shown]
	v_mov_b32_e32 v111, s4
	s_lshl_b64 s[4:5], s[20:21], 2
	s_delay_alu instid0(SALU_CYCLE_1)
	s_add_u32 s4, s16, s4
	s_addc_u32 s5, s25, s5
	s_add_u32 s6, s22, s15
	s_addc_u32 s7, s23, s18
	s_waitcnt vmcnt(1)
	v_mad_i64_i32 v[3:4], null, v5, s17, v[1:2]
	s_waitcnt vmcnt(0)
	v_mad_i64_i32 v[5:6], null, v7, s17, v[1:2]
	v_add_nc_u32_e32 v1, -12, v68
	v_lshlrev_b32_e32 v2, 4, v68
	s_clause 0xf
	global_load_b128 v[17:20], v[3:4], off
	global_load_b128 v[21:24], v[3:4], off offset:256
	global_load_b128 v[25:28], v[5:6], off
	global_load_b128 v[29:32], v[5:6], off offset:256
	global_load_b128 v[57:60], v[3:4], off offset:512
	;; [unrolled: 1-line block ×13, first 2 shown]
	v_cndmask_b32_e32 v1, v1, v68, vcc_lo
	s_delay_alu instid0(VALU_DEP_1)
	v_lshlrev_b32_e32 v149, 6, v1
	v_lshl_or_b32 v1, v69, 8, v2
	ds_load_b128 v[119:122], v149
	ds_load_b128 v[123:126], v149 offset:1024
	ds_load_b128 v[127:130], v149 offset:2048
	;; [unrolled: 1-line block ×3, first 2 shown]
	s_clause 0x1
	s_load_b32 s2, s[2:3], 0x0
	s_load_b32 s3, s[4:5], 0x0
	v_add_co_u32 v135, s6, s6, v1
	s_delay_alu instid0(VALU_DEP_1) | instskip(SKIP_1) | instid1(VALU_DEP_1)
	v_add_co_ci_u32_e64 v136, null, s7, 0, s6
	s_waitcnt lgkmcnt(0)
	v_mad_i64_i32 v[1:2], null, s26, s17, v[135:136]
	v_mad_i64_i32 v[3:4], null, s27, s17, v[135:136]
	;; [unrolled: 1-line block ×6, first 2 shown]
	s_clause 0x9
	global_load_b128 v[49:52], v[1:2], off
	global_load_b128 v[53:56], v[1:2], off offset:16
	global_load_b128 v[41:44], v[3:4], off
	global_load_b128 v[45:48], v[3:4], off offset:16
	;; [unrolled: 2-line block ×5, first 2 shown]
	v_mad_i64_i32 v[145:146], null, s2, s17, v[135:136]
	v_mad_i64_i32 v[147:148], null, s3, s17, v[135:136]
	s_waitcnt vmcnt(24)
	v_wmma_f32_16x16x16_f16 v[135:142], v[17:24], v[119:126], v[111:118]
	s_waitcnt vmcnt(22)
	v_wmma_f32_16x16x16_f16 v[111:118], v[25:32], v[119:126], v[111:118]
	s_clause 0x3
	global_load_b128 v[17:20], v[143:144], off
	global_load_b128 v[21:24], v[143:144], off offset:16
	global_load_b128 v[25:28], v[145:146], off
	global_load_b128 v[29:32], v[145:146], off offset:16
	v_and_b32_e32 v119, 0xe0, v0
	s_waitcnt vmcnt(24)
	v_wmma_f32_16x16x16_f16 v[135:142], v[57:64], v[127:134], v[135:142]
	s_clause 0x1
	global_load_b128 v[57:60], v[147:148], off
	global_load_b128 v[61:64], v[147:148], off offset:16
	s_waitcnt vmcnt(24)
	v_wmma_f32_16x16x16_f16 v[111:118], v[71:78], v[127:134], v[111:118]
	ds_load_b128 v[71:74], v149 offset:4096
	ds_load_b128 v[75:78], v149 offset:5120
	v_add_nc_u32_e32 v128, s12, v119
	ds_load_b128 v[119:122], v149 offset:6144
	ds_load_b128 v[123:126], v149 offset:7168
	v_mbcnt_lo_u32_b32 v127, -1, 0
	s_waitcnt vmcnt(0) lgkmcnt(0)
	s_barrier
	v_or_b32_e32 v128, v128, v66
	buffer_gl0_inv
	v_xor_b32_e32 v129, 16, v127
	v_or_b32_e32 v130, 4, v128
	v_or_b32_e32 v131, 6, v128
	s_delay_alu instid0(VALU_DEP_3) | instskip(SKIP_4) | instid1(VALU_DEP_4)
	v_cmp_gt_i32_e32 vcc_lo, 32, v129
	v_or_b32_e32 v132, 8, v128
	v_or_b32_e32 v133, 10, v128
	v_cmp_gt_i32_e64 s3, s24, v130
	v_cmp_gt_i32_e64 s4, s24, v131
	;; [unrolled: 1-line block ×3, first 2 shown]
	v_wmma_f32_16x16x16_f16 v[135:142], v[79:86], v[71:78], v[135:142]
	v_wmma_f32_16x16x16_f16 v[111:118], v[87:94], v[71:78], v[111:118]
	v_or_b32_e32 v79, 12, v128
	v_or_b32_e32 v80, 14, v128
	v_cmp_gt_i32_e64 s6, s24, v133
	v_wmma_f32_16x16x16_f16 v[135:142], v[95:102], v[119:126], v[135:142]
	v_wmma_f32_16x16x16_f16 v[111:118], v[103:110], v[119:126], v[111:118]
	v_cndmask_b32_e32 v127, v127, v129, vcc_lo
	v_or_b32_e32 v129, 2, v128
	v_cmp_gt_i32_e32 vcc_lo, s24, v128
	v_mul_f32_e32 v88, s19, v135
	v_dual_mul_f32 v92, s19, v115 :: v_dual_mul_f32 v87, s19, v136
	s_delay_alu instid0(VALU_DEP_4)
	v_cmp_gt_i32_e64 s2, s24, v129
	v_mul_f32_e32 v78, s19, v138
	v_mul_f32_e32 v86, s19, v137
	v_cndmask_b32_e32 v88, 0xff7fffff, v88, vcc_lo
	v_mul_f32_e32 v76, s19, v140
	v_cndmask_b32_e64 v87, 0xff7fffff, v87, s2
	v_dual_mul_f32 v77, s19, v139 :: v_dual_mul_f32 v94, s19, v113
	v_cndmask_b32_e64 v86, 0xff7fffff, v86, s3
	v_cndmask_b32_e64 v78, 0xff7fffff, v78, s4
	s_delay_alu instid0(VALU_DEP_4)
	v_max3_f32 v87, v88, 0xff7fffff, v87
	v_or_b32_e32 v81, 16, v128
	v_or_b32_e32 v82, 18, v128
	v_dual_mul_f32 v74, s19, v142 :: v_dual_mul_f32 v75, s19, v141
	v_mul_f32_e32 v96, s19, v111
	v_cndmask_b32_e64 v77, 0xff7fffff, v77, s5
	v_cndmask_b32_e64 v76, 0xff7fffff, v76, s6
	v_max3_f32 v78, v87, v86, v78
	v_cmp_gt_i32_e64 s7, s24, v79
	v_cmp_gt_i32_e64 s8, s24, v80
	v_or_b32_e32 v83, 20, v128
	v_or_b32_e32 v84, 22, v128
	v_mul_f32_e32 v95, s19, v112
	v_cndmask_b32_e64 v75, 0xff7fffff, v75, s7
	v_cndmask_b32_e64 v74, 0xff7fffff, v74, s8
	v_max3_f32 v76, v78, v77, v76
	v_cmp_gt_i32_e64 s9, s24, v81
	v_cmp_gt_i32_e64 s10, s24, v82
	v_or_b32_e32 v85, 24, v128
	v_or_b32_e32 v71, 26, v128
	;; [unrolled: 8-line block ×3, first 2 shown]
	v_mul_f32_e32 v91, s19, v116
	v_cndmask_b32_e64 v75, 0xff7fffff, v94, s11
	v_cndmask_b32_e64 v76, 0xff7fffff, v93, s12
	v_max3_f32 v74, v74, v77, v78
	v_cmp_gt_i32_e64 s13, s24, v85
	v_cmp_gt_i32_e64 s15, s24, v71
	v_dual_mul_f32 v89, s19, v118 :: v_dual_mul_f32 v90, s19, v117
	s_delay_alu instid0(VALU_DEP_4) | instskip(NEXT) | instid1(VALU_DEP_4)
	v_max3_f32 v74, v74, v75, v76
	v_cndmask_b32_e64 v77, 0xff7fffff, v92, s13
	s_delay_alu instid0(VALU_DEP_4) | instskip(SKIP_2) | instid1(VALU_DEP_3)
	v_cndmask_b32_e64 v71, 0xff7fffff, v91, s15
	v_cmp_gt_i32_e64 s16, s24, v72
	v_cmp_gt_i32_e64 s17, s24, v73
	v_max3_f32 v71, v74, v77, v71
	s_delay_alu instid0(VALU_DEP_3) | instskip(NEXT) | instid1(VALU_DEP_3)
	v_cndmask_b32_e64 v72, 0xff7fffff, v90, s16
	v_cndmask_b32_e64 v73, 0xff7fffff, v89, s17
	v_lshlrev_b32_e32 v74, 2, v127
	s_delay_alu instid0(VALU_DEP_2) | instskip(SKIP_3) | instid1(VALU_DEP_1)
	v_max3_f32 v71, v71, v72, v73
	ds_bpermute_b32 v72, v74, v71
	s_waitcnt lgkmcnt(0)
	v_max_f32_e32 v72, v72, v72
	v_max_f32_e32 v71, v71, v72
	s_delay_alu instid0(VALU_DEP_1) | instskip(SKIP_4) | instid1(VALU_DEP_4)
	v_fma_f32 v72, s19, v135, -v71
	v_fma_f32 v73, s19, v136, -v71
	v_fma_f32 v75, s19, v137, -v71
	v_fma_f32 v76, s19, v138, -v71
	v_fma_f32 v77, s19, v139, -v71
	v_dual_mul_f32 v72, 0x3fb8aa3b, v72 :: v_dual_mul_f32 v73, 0x3fb8aa3b, v73
	v_fma_f32 v80, s19, v141, -v71
	s_delay_alu instid0(VALU_DEP_3) | instskip(NEXT) | instid1(VALU_DEP_3)
	v_dual_mul_f32 v76, 0x3fb8aa3b, v76 :: v_dual_mul_f32 v77, 0x3fb8aa3b, v77
	v_exp_f32_e32 v72, v72
	s_delay_alu instid0(VALU_DEP_3) | instskip(NEXT) | instid1(VALU_DEP_2)
	v_exp_f32_e32 v73, v73
	v_mul_f32_e32 v82, 0x3fb8aa3b, v80
	s_delay_alu instid0(VALU_DEP_2) | instskip(SKIP_1) | instid1(VALU_DEP_1)
	v_exp_f32_e32 v76, v76
	v_exp_f32_e32 v77, v77
	v_exp_f32_e32 v84, v82
	v_cndmask_b32_e32 v79, 0, v72, vcc_lo
	v_fma_f32 v72, s19, v140, -v71
	v_mul_f32_e32 v75, 0x3fb8aa3b, v75
	v_cndmask_b32_e64 v78, 0, v73, s2
	s_delay_alu instid0(TRANS32_DEP_3) | instskip(NEXT) | instid1(VALU_DEP_4)
	v_cndmask_b32_e64 v80, 0, v76, s4
	v_dual_add_f32 v73, 0, v79 :: v_dual_mul_f32 v72, 0x3fb8aa3b, v72
	s_delay_alu instid0(VALU_DEP_4) | instskip(NEXT) | instid1(TRANS32_DEP_3)
	v_exp_f32_e32 v75, v75
	v_cndmask_b32_e64 v83, 0, v77, s5
	s_delay_alu instid0(TRANS32_DEP_2) | instskip(NEXT) | instid1(VALU_DEP_3)
	v_cndmask_b32_e64 v85, 0, v84, s7
	v_add_f32_e32 v73, v73, v78
	v_exp_f32_e32 v72, v72
	s_mov_b32 s2, exec_lo
	s_waitcnt_depctr 0xfff
	v_cndmask_b32_e64 v81, 0, v75, s3
	v_cndmask_b32_e64 v82, 0, v72, s6
	s_delay_alu instid0(VALU_DEP_2) | instskip(NEXT) | instid1(VALU_DEP_1)
	v_add_f32_e32 v73, v73, v81
	v_add_f32_e32 v73, v73, v80
	s_delay_alu instid0(VALU_DEP_1) | instskip(NEXT) | instid1(VALU_DEP_1)
	v_add_f32_e32 v72, v73, v83
	v_add_f32_e32 v72, v72, v82
	s_delay_alu instid0(VALU_DEP_1)
	v_add_f32_e32 v72, v72, v85
	v_fma_f32 v76, s19, v111, -v71
	v_fma_f32 v75, s19, v142, -v71
	;; [unrolled: 1-line block ×5, first 2 shown]
	v_mul_f32_e32 v76, 0x3fb8aa3b, v76
	s_delay_alu instid0(VALU_DEP_4) | instskip(NEXT) | instid1(VALU_DEP_2)
	v_mul_f32_e32 v86, 0x3fb8aa3b, v86
	v_exp_f32_e32 v76, v76
	s_delay_alu instid0(VALU_DEP_1)
	v_exp_f32_e32 v88, v86
	s_waitcnt_depctr 0xfff
	v_cndmask_b32_e64 v87, 0, v76, s9
	v_fma_f32 v76, s19, v116, -v71
	v_mul_f32_e32 v75, 0x3fb8aa3b, v75
	v_cndmask_b32_e64 v88, 0, v88, s12
	s_delay_alu instid0(VALU_DEP_3) | instskip(NEXT) | instid1(VALU_DEP_3)
	v_dual_mul_f32 v73, 0x3fb8aa3b, v73 :: v_dual_mul_f32 v76, 0x3fb8aa3b, v76
	v_exp_f32_e32 v75, v75
	s_delay_alu instid0(VALU_DEP_1) | instskip(NEXT) | instid1(VALU_DEP_1)
	v_exp_f32_e32 v73, v73
	v_exp_f32_e32 v76, v76
	s_delay_alu instid0(TRANS32_DEP_3)
	v_cndmask_b32_e64 v84, 0, v75, s8
	v_fma_f32 v75, s19, v115, -v71
	s_waitcnt_depctr 0xfff
	v_cndmask_b32_e64 v89, 0, v73, s11
	v_cndmask_b32_e64 v90, 0, v76, s15
	v_add_f32_e32 v72, v72, v84
	s_delay_alu instid0(VALU_DEP_1) | instskip(NEXT) | instid1(VALU_DEP_1)
	v_dual_add_f32 v72, v72, v87 :: v_dual_mul_f32 v77, 0x3fb8aa3b, v77
	v_exp_f32_e32 v77, v77
	s_waitcnt_depctr 0xfff
	v_cndmask_b32_e64 v86, 0, v77, s10
	v_fma_f32 v77, s19, v117, -v71
	s_delay_alu instid0(VALU_DEP_2) | instskip(NEXT) | instid1(VALU_DEP_1)
	v_dual_add_f32 v72, v72, v86 :: v_dual_mul_f32 v75, 0x3fb8aa3b, v75
	v_add_f32_e32 v72, v72, v89
	s_delay_alu instid0(VALU_DEP_2) | instskip(NEXT) | instid1(VALU_DEP_1)
	v_exp_f32_e32 v75, v75
	v_add_f32_e32 v72, v72, v88
	s_waitcnt_depctr 0xfff
	v_cndmask_b32_e64 v91, 0, v75, s13
	v_mul_f32_e32 v73, 0x3fb8aa3b, v77
	v_fma_f32 v77, s19, v118, -v71
	s_delay_alu instid0(VALU_DEP_3) | instskip(NEXT) | instid1(VALU_DEP_3)
	v_add_f32_e32 v72, v72, v91
	v_exp_f32_e32 v73, v73
	s_delay_alu instid0(VALU_DEP_1) | instskip(NEXT) | instid1(VALU_DEP_1)
	v_dual_mul_f32 v75, 0x3fb8aa3b, v77 :: v_dual_add_f32 v72, v72, v90
	v_exp_f32_e32 v75, v75
	s_waitcnt_depctr 0xfff
	v_cndmask_b32_e64 v93, 0, v73, s16
	s_delay_alu instid0(VALU_DEP_1) | instskip(SKIP_1) | instid1(VALU_DEP_1)
	v_add_f32_e32 v72, v72, v93
	v_cndmask_b32_e64 v92, 0, v75, s17
	v_add_f32_e32 v72, v72, v92
	ds_bpermute_b32 v73, v74, v72
	v_cmpx_gt_u32_e32 16, v70
	s_cbranch_execz .LBB1257_12
; %bb.11:
	v_mul_u32_u24_e32 v70, 0x44, v69
	s_waitcnt lgkmcnt(0)
	v_add_f32_e32 v72, v72, v73
	s_delay_alu instid0(VALU_DEP_2) | instskip(NEXT) | instid1(VALU_DEP_1)
	v_lshl_add_u32 v70, v68, 2, v70
	v_add_nc_u32_e32 v70, 0x4000, v70
	ds_store_2addr_b32 v70, v71, v72 offset1:136
.LBB1257_12:
	s_or_b32 exec_lo, exec_lo, s2
	v_lshlrev_b32_e32 v70, 2, v68
	s_load_b32 s34, s[0:1], 0x94
	s_waitcnt lgkmcnt(0)
	s_barrier
	buffer_gl0_inv
	v_add_nc_u32_e32 v98, 0x4000, v70
	v_cmp_eq_u32_e32 vcc_lo, 1, v69
	v_cmp_eq_u32_e64 s2, 2, v69
	v_cmp_eq_u32_e64 s3, 3, v69
	;; [unrolled: 1-line block ×3, first 2 shown]
	ds_load_2addr_b32 v[70:71], v98 offset1:17
	ds_load_2addr_b32 v[72:73], v98 offset0:34 offset1:51
	ds_load_2addr_b32 v[74:75], v98 offset0:68 offset1:85
	;; [unrolled: 1-line block ×3, first 2 shown]
	v_cmp_eq_u32_e64 s5, 5, v69
	v_cmp_eq_u32_e64 s6, 7, v69
	s_waitcnt lgkmcnt(3)
	v_max3_f32 v76, v70, 0xff7fffff, v71
	s_waitcnt lgkmcnt(2)
	s_delay_alu instid0(VALU_DEP_1) | instskip(SKIP_1) | instid1(VALU_DEP_1)
	v_max3_f32 v76, v76, v72, v73
	s_waitcnt lgkmcnt(1)
	v_max3_f32 v76, v76, v74, v75
	s_waitcnt lgkmcnt(0)
	s_delay_alu instid0(VALU_DEP_1) | instskip(NEXT) | instid1(VALU_DEP_1)
	v_max3_f32 v76, v76, v94, v95
	v_sub_f32_e32 v77, v71, v76
	ds_load_2addr_b32 v[96:97], v98 offset0:136 offset1:153
	v_sub_f32_e32 v74, v74, v76
	v_sub_f32_e32 v70, v70, v76
	;; [unrolled: 1-line block ×3, first 2 shown]
	v_dual_sub_f32 v72, v72, v76 :: v_dual_mul_f32 v77, 0x3fb8aa3b, v77
	s_delay_alu instid0(VALU_DEP_4) | instskip(NEXT) | instid1(VALU_DEP_4)
	v_mul_f32_e32 v103, 0x3fb8aa3b, v74
	v_mul_f32_e32 v99, 0x3fb8aa3b, v70
	ds_load_2addr_b32 v[70:71], v98 offset0:170 offset1:187
	v_dual_mul_f32 v101, 0x3fb8aa3b, v72 :: v_dual_mul_f32 v94, 0x3fb8aa3b, v94
	v_exp_f32_e32 v102, v77
	v_exp_f32_e32 v99, v99
	s_delay_alu instid0(VALU_DEP_1) | instskip(NEXT) | instid1(VALU_DEP_1)
	v_exp_f32_e32 v101, v101
	v_exp_f32_e32 v94, v94
	s_waitcnt lgkmcnt(1)
	s_delay_alu instid0(TRANS32_DEP_3)
	v_fma_f32 v77, v99, v96, 0
	v_sub_f32_e32 v100, v73, v76
	ds_load_2addr_b32 v[72:73], v98 offset0:204 offset1:221
	v_fmac_f32_e32 v77, v102, v97
	v_exp_f32_e32 v97, v103
	s_waitcnt lgkmcnt(1)
	s_delay_alu instid0(VALU_DEP_1)
	v_dual_fmac_f32 v77, v101, v70 :: v_dual_sub_f32 v96, v75, v76
	ds_load_2addr_b32 v[74:75], v98 offset0:238 offset1:255
	v_sub_f32_e32 v70, v95, v76
	s_waitcnt lgkmcnt(0)
	s_barrier
	v_mul_f32_e32 v96, 0x3fb8aa3b, v96
	buffer_gl0_inv
	v_exp_f32_e32 v95, v96
	v_mul_f32_e32 v100, 0x3fb8aa3b, v100
	s_delay_alu instid0(VALU_DEP_1) | instskip(SKIP_3) | instid1(VALU_DEP_2)
	v_exp_f32_e32 v100, v100
	s_waitcnt_depctr 0xfff
	v_dual_fmac_f32 v77, v100, v71 :: v_dual_mul_f32 v70, 0x3fb8aa3b, v70
	v_cndmask_b32_e32 v71, v99, v102, vcc_lo
	v_fmac_f32_e32 v77, v97, v72
	s_delay_alu instid0(VALU_DEP_3) | instskip(NEXT) | instid1(VALU_DEP_1)
	v_exp_f32_e32 v96, v70
	v_fmac_f32_e32 v77, v95, v73
	s_delay_alu instid0(VALU_DEP_1) | instskip(SKIP_2) | instid1(VALU_DEP_1)
	v_fmac_f32_e32 v77, v94, v74
	s_waitcnt_depctr 0xfff
	v_fmac_f32_e32 v77, v96, v75
	v_add_f32_e32 v74, 0x358637bd, v77
	s_delay_alu instid0(VALU_DEP_1) | instskip(SKIP_1) | instid1(VALU_DEP_2)
	v_div_scale_f32 v98, null, v74, v74, 1.0
	v_div_scale_f32 v99, vcc_lo, 1.0, v74, 1.0
	v_rcp_f32_e32 v103, v98
	s_waitcnt_depctr 0xfff
	v_fma_f32 v70, -v98, v103, 1.0
	s_delay_alu instid0(VALU_DEP_1) | instskip(SKIP_2) | instid1(VALU_DEP_2)
	v_fmac_f32_e32 v103, v70, v103
	v_cndmask_b32_e64 v70, v71, v101, s2
	v_cmp_eq_u32_e64 s2, 6, v69
	v_cndmask_b32_e64 v71, v70, v100, s3
	s_delay_alu instid0(VALU_DEP_4) | instskip(NEXT) | instid1(VALU_DEP_2)
	v_dual_mul_f32 v101, v99, v103 :: v_dual_lshlrev_b32 v70, 2, v66
	v_cndmask_b32_e64 v71, v71, v97, s4
	s_delay_alu instid0(VALU_DEP_2) | instskip(NEXT) | instid1(VALU_DEP_3)
	v_or_b32_e32 v72, 1, v70
	v_fma_f32 v100, -v98, v101, v99
	v_cmp_eq_u32_e64 s3, 1, v70
	v_cmp_eq_u32_e64 s4, 2, v70
	v_cndmask_b32_e64 v95, v71, v95, s5
	v_or_b32_e32 v71, 3, v70
	v_fmac_f32_e32 v101, v100, v103
	v_cmp_eq_u32_e64 s8, 1, v72
	v_cmp_eq_u32_e64 s11, 2, v72
	v_cndmask_b32_e64 v94, v95, v94, s2
	v_cmp_eq_u32_e64 s10, 1, v71
	v_fma_f32 v97, -v98, v101, v99
	v_cmp_eq_u32_e64 s15, 2, v71
	v_cmp_eq_u32_e64 s12, 3, v72
	v_cndmask_b32_e64 v94, v94, v96, s6
	v_cmp_eq_u32_e64 s17, 3, v71
	v_div_fmas_f32 v95, v97, v103, v101
	v_cmp_eq_u32_e32 vcc_lo, 3, v70
	v_cmp_eq_u32_e64 s2, 4, v70
	v_cmp_eq_u32_e64 s18, 4, v72
	;; [unrolled: 1-line block ×3, first 2 shown]
	v_div_fixup_f32 v95, v95, v74, 1.0
	v_lshlrev_b32_e32 v73, 6, v68
	v_cmp_eq_u32_e64 s5, 5, v70
	v_cmp_eq_u32_e64 s19, 5, v72
	;; [unrolled: 1-line block ×3, first 2 shown]
	v_mul_f32_e32 v102, v94, v95
	v_lshl_or_b32 v75, v69, 11, v73
	v_or_b32_e32 v69, 2, v70
	v_cmp_eq_u32_e64 s24, 6, v72
	v_cmp_eq_u32_e64 s26, 6, v71
	v_fma_mixlo_f16 v94, v102, v79, 0
	v_fma_mixlo_f16 v95, v102, v81, 0
	v_fma_mixlo_f16 v96, v102, v83, 0
	v_fma_mixlo_f16 v97, v102, v85, 0
	v_fma_mixlo_f16 v98, v102, v87, 0
	v_fma_mixlo_f16 v99, v102, v89, 0
	v_fma_mixlo_f16 v100, v102, v91, 0
	v_fma_mixlo_f16 v101, v102, v93, 0
	v_lshl_or_b32 v74, v66, 4, v75
	v_fma_mixhi_f16 v94, v102, v78, 0
	v_fma_mixhi_f16 v95, v102, v80, 0
	;; [unrolled: 1-line block ×8, first 2 shown]
	ds_store_b128 v74, v[94:97]
	ds_store_b128 v74, v[98:101] offset:1024
	s_waitcnt lgkmcnt(0)
	s_barrier
	buffer_gl0_inv
	ds_load_b128 v[78:81], v75
	ds_load_b128 v[82:85], v75 offset:16
	ds_load_b128 v[86:89], v75 offset:1024
	;; [unrolled: 1-line block ×3, first 2 shown]
	v_cmp_eq_u32_e64 s9, 1, v69
	v_cmp_eq_u32_e64 s13, 2, v69
	;; [unrolled: 1-line block ×11, first 2 shown]
	s_waitcnt lgkmcnt(3)
	v_lshrrev_b32_e32 v94, 16, v78
	s_waitcnt lgkmcnt(2)
	v_lshrrev_b32_e32 v98, 16, v82
	;; [unrolled: 2-line block ×4, first 2 shown]
	v_lshrrev_b32_e32 v95, 16, v79
	v_cndmask_b32_e64 v110, v78, v94, s3
	v_cndmask_b32_e64 v111, v82, v98, s3
	;; [unrolled: 1-line block ×8, first 2 shown]
	v_lshrrev_b32_e32 v99, 16, v83
	v_cndmask_b32_e64 v94, v86, v102, s3
	v_cndmask_b32_e64 v98, v90, v106, s3
	;; [unrolled: 1-line block ×15, first 2 shown]
	v_lshrrev_b32_e32 v103, 16, v87
	v_lshrrev_b32_e32 v107, 16, v91
	v_cndmask_b32_e64 v113, v115, v83, s13
	v_cndmask_b32_e64 v82, v94, v87, s4
	v_cndmask_b32_e64 v83, v98, v91, s4
	v_cndmask_b32_e64 v94, v116, v87, s11
	v_cndmask_b32_e64 v98, v118, v87, s13
	v_cndmask_b32_e64 v86, v86, v87, s15
	v_cndmask_b32_e64 v87, v90, v91, s15
	v_cndmask_b32_e32 v90, v102, v95, vcc_lo
	v_cndmask_b32_e32 v102, v106, v99, vcc_lo
	v_cndmask_b32_e64 v106, v110, v95, s12
	v_cndmask_b32_e64 v110, v111, v99, s12
	;; [unrolled: 1-line block ×4, first 2 shown]
	v_lshrrev_b32_e32 v96, 16, v80
	v_lshrrev_b32_e32 v100, 16, v84
	v_cndmask_b32_e64 v111, v112, v95, s16
	v_cndmask_b32_e64 v112, v113, v99, s16
	v_cndmask_b32_e32 v82, v82, v103, vcc_lo
	v_cndmask_b32_e32 v83, v83, v107, vcc_lo
	v_cndmask_b32_e64 v94, v94, v103, s12
	v_cndmask_b32_e64 v90, v90, v80, s2
	;; [unrolled: 1-line block ×7, first 2 shown]
	v_lshrrev_b32_e32 v104, 16, v88
	v_cndmask_b32_e64 v106, v111, v80, s20
	v_cndmask_b32_e64 v110, v112, v84, s20
	;; [unrolled: 1-line block ×11, first 2 shown]
	v_lshrrev_b32_e32 v97, 16, v81
	v_lshrrev_b32_e32 v101, 16, v85
	v_cndmask_b32_e64 v99, v106, v96, s22
	v_cndmask_b32_e64 v102, v110, v100, s22
	;; [unrolled: 1-line block ×7, first 2 shown]
	v_lshrrev_b32_e32 v105, 16, v89
	v_cndmask_b32_e64 v80, v80, v104, s5
	v_cndmask_b32_e64 v84, v84, v81, s6
	;; [unrolled: 1-line block ×16, first 2 shown]
	v_perm_b32 v81, v79, v78, 0x5040100
	v_perm_b32 v79, v95, v85, 0x5040100
	v_cndmask_b32_e64 v78, v119, v91, s13
	v_cndmask_b32_e64 v85, v117, v91, s11
	;; [unrolled: 1-line block ×3, first 2 shown]
	v_perm_b32 v80, v94, v90, 0x5040100
	v_cndmask_b32_e64 v90, v98, v103, s16
	v_cndmask_b32_e64 v86, v86, v103, s17
	;; [unrolled: 1-line block ×5, first 2 shown]
	v_lshrrev_b32_e32 v108, 16, v92
	v_cndmask_b32_e64 v90, v90, v88, s20
	v_cndmask_b32_e64 v86, v86, v88, s21
	;; [unrolled: 1-line block ×11, first 2 shown]
	v_lshrrev_b32_e32 v109, 16, v93
	v_cndmask_b32_e64 v82, v82, v93, s6
	v_cndmask_b32_e64 v88, v88, v89, s25
	;; [unrolled: 1-line block ×12, first 2 shown]
	v_perm_b32 v78, v84, v83, 0x5040100
	v_perm_b32 v85, v87, v86, 0x5040100
	;; [unrolled: 1-line block ×5, first 2 shown]
	s_mul_i32 s7, s33, 12
	s_mov_b32 s2, exec_lo
	ds_store_b128 v74, v[78:81]
	ds_store_b128 v74, v[82:85] offset:1024
	v_cmpx_gt_u32_e32 12, v0
	s_cbranch_execz .LBB1257_14
; %bb.13:
	s_mul_i32 s3, s7, s30
	s_load_b128 s[8:11], s[0:1], 0x58
	v_add3_u32 v68, s3, s31, v68
	s_delay_alu instid0(VALU_DEP_1) | instskip(NEXT) | instid1(VALU_DEP_1)
	v_mad_u64_u32 v[78:79], null, v68, s34, s[14:15]
	v_ashrrev_i32_e32 v79, 31, v78
	s_delay_alu instid0(VALU_DEP_1) | instskip(SKIP_1) | instid1(VALU_DEP_1)
	v_lshlrev_b64 v[78:79], 2, v[78:79]
	s_waitcnt lgkmcnt(0)
	v_add_co_u32 v80, vcc_lo, s10, v78
	s_delay_alu instid0(VALU_DEP_2)
	v_add_co_ci_u32_e32 v81, vcc_lo, s11, v79, vcc_lo
	v_add_co_u32 v78, vcc_lo, s8, v78
	v_add_co_ci_u32_e32 v79, vcc_lo, s9, v79, vcc_lo
	global_store_b32 v[80:81], v76, off
	global_store_b32 v[78:79], v77, off
.LBB1257_14:
	s_or_b32 exec_lo, exec_lo, s2
	s_waitcnt lgkmcnt(0)
	s_waitcnt_vscnt null, 0x0
	s_barrier
	buffer_gl0_inv
	ds_load_b128 v[84:87], v73
	ds_load_b128 v[88:91], v73 offset:16
	ds_load_b128 v[96:99], v73 offset:2064
	;; [unrolled: 1-line block ×5, first 2 shown]
	v_cmp_eq_u32_e32 vcc_lo, 1, v70
	v_mov_b32_e32 v76, 0
	ds_load_b128 v[112:115], v73 offset:6160
	ds_load_b128 v[108:111], v73 offset:6144
	;; [unrolled: 1-line block ×4, first 2 shown]
	v_cmp_eq_u32_e64 s3, 1, v69
	v_cmp_eq_u32_e64 s2, 1, v72
	;; [unrolled: 1-line block ×3, first 2 shown]
	v_mov_b32_e32 v77, v76
	v_mov_b32_e32 v78, v76
	;; [unrolled: 1-line block ×7, first 2 shown]
	v_cmp_eq_u32_e64 s5, 3, v72
	v_cmp_eq_u32_e64 s6, 7, v72
	s_waitcnt lgkmcnt(8)
	s_delay_alu instid0(VALU_DEP_3)
	v_wmma_f32_16x16x16_f16 v[76:83], v[49:56], v[84:91], v[76:83]
	ds_load_b128 v[53:56], v73 offset:10256
	ds_load_b128 v[49:52], v73 offset:10240
	s_waitcnt lgkmcnt(8)
	v_wmma_f32_16x16x16_f16 v[76:83], v[41:48], v[92:99], v[76:83]
	ds_load_b128 v[45:48], v73 offset:12304
	ds_load_b128 v[41:44], v73 offset:12288
	s_waitcnt lgkmcnt(8)
	;; [unrolled: 4-line block ×3, first 2 shown]
	s_barrier
	buffer_gl0_inv
	v_wmma_f32_16x16x16_f16 v[76:83], v[1:8], v[108:115], v[76:83]
	s_delay_alu instid0(VALU_DEP_1) | instskip(NEXT) | instid1(VALU_DEP_1)
	v_wmma_f32_16x16x16_f16 v[76:83], v[9:16], v[116:123], v[76:83]
	v_wmma_f32_16x16x16_f16 v[76:83], v[17:24], v[49:56], v[76:83]
	s_delay_alu instid0(VALU_DEP_1) | instskip(NEXT) | instid1(VALU_DEP_1)
	v_wmma_f32_16x16x16_f16 v[76:83], v[25:32], v[41:48], v[76:83]
	v_wmma_f32_16x16x16_f16 v[76:83], v[57:64], v[33:40], v[76:83]
	s_delay_alu instid0(VALU_DEP_1) | instskip(NEXT) | instid1(VALU_DEP_2)
	v_cvt_f16_f32_e32 v1, v76
	v_cvt_f16_f32_e32 v2, v77
	s_delay_alu instid0(VALU_DEP_3) | instskip(NEXT) | instid1(VALU_DEP_4)
	v_cvt_f16_f32_e32 v3, v78
	v_cvt_f16_f32_e32 v4, v79
	;; [unrolled: 1-line block ×6, first 2 shown]
	v_pack_b32_f16 v1, v1, v2
	v_pack_b32_f16 v2, v3, v4
	;; [unrolled: 1-line block ×3, first 2 shown]
	s_delay_alu instid0(VALU_DEP_4)
	v_pack_b32_f16 v4, v7, v8
	ds_store_b128 v74, v[1:4]
	s_waitcnt lgkmcnt(0)
	s_barrier
	buffer_gl0_inv
	ds_load_b128 v[1:4], v75
	ds_load_b128 v[5:8], v75 offset:16
	s_waitcnt lgkmcnt(1)
	v_lshrrev_b32_e32 v9, 16, v1
	s_waitcnt lgkmcnt(0)
	v_lshrrev_b32_e32 v13, 16, v5
	v_lshrrev_b32_e32 v10, 16, v2
	;; [unrolled: 1-line block ×4, first 2 shown]
	v_cndmask_b32_e32 v17, v1, v9, vcc_lo
	v_cndmask_b32_e32 v18, v5, v13, vcc_lo
	v_cndmask_b32_e64 v21, v1, v9, s3
	v_cmp_eq_u32_e32 vcc_lo, 1, v71
	v_cndmask_b32_e64 v22, v5, v13, s3
	v_cmp_eq_u32_e64 s3, 2, v70
	v_cndmask_b32_e64 v19, v1, v9, s2
	v_cndmask_b32_e64 v20, v5, v13, s2
	v_cndmask_b32_e32 v1, v1, v9, vcc_lo
	v_cmp_eq_u32_e64 s2, 2, v71
	v_cndmask_b32_e32 v5, v5, v13, vcc_lo
	v_cndmask_b32_e64 v9, v17, v2, s3
	v_cmp_eq_u32_e32 vcc_lo, 3, v70
	v_cndmask_b32_e64 v13, v18, v6, s3
	v_cmp_eq_u32_e64 s3, 2, v69
	v_cndmask_b32_e64 v17, v19, v2, s4
	v_cndmask_b32_e64 v18, v20, v6, s4
	v_cmp_eq_u32_e64 s4, 3, v69
	v_cndmask_b32_e64 v1, v1, v2, s2
	v_cndmask_b32_e64 v19, v21, v2, s3
	;; [unrolled: 1-line block ×4, first 2 shown]
	v_cndmask_b32_e32 v5, v9, v10, vcc_lo
	v_cndmask_b32_e32 v6, v13, v14, vcc_lo
	v_cmp_eq_u32_e32 vcc_lo, 3, v71
	v_cndmask_b32_e64 v9, v17, v10, s5
	v_cndmask_b32_e64 v13, v18, v14, s5
	;; [unrolled: 1-line block ×3, first 2 shown]
	v_cmp_eq_u32_e64 s3, 4, v70
	v_cndmask_b32_e32 v1, v1, v10, vcc_lo
	v_cndmask_b32_e32 v2, v2, v14, vcc_lo
	v_cmp_eq_u32_e32 vcc_lo, 4, v72
	v_lshrrev_b32_e32 v15, 16, v7
	v_lshrrev_b32_e32 v16, 16, v8
	v_cndmask_b32_e64 v17, v19, v10, s4
	v_cmp_eq_u32_e64 s2, 4, v71
	v_cndmask_b32_e64 v5, v5, v3, s3
	v_cndmask_b32_e64 v6, v6, v7, s3
	v_cndmask_b32_e32 v9, v9, v3, vcc_lo
	v_cmp_eq_u32_e64 s3, 5, v72
	v_cndmask_b32_e32 v10, v13, v7, vcc_lo
	v_cmp_eq_u32_e32 vcc_lo, 4, v69
	v_cmp_eq_u32_e64 s4, 5, v70
	v_cndmask_b32_e64 v2, v2, v7, s2
	v_cndmask_b32_e64 v9, v9, v11, s3
	;; [unrolled: 1-line block ×3, first 2 shown]
	v_cndmask_b32_e32 v13, v17, v3, vcc_lo
	v_cmp_eq_u32_e64 s3, 5, v69
	v_cndmask_b32_e32 v14, v18, v7, vcc_lo
	v_cndmask_b32_e64 v1, v1, v3, s2
	v_cmp_eq_u32_e32 vcc_lo, 5, v71
	v_lshrrev_b32_e32 v12, 16, v4
	v_cndmask_b32_e64 v13, v13, v11, s3
	v_cndmask_b32_e64 v3, v14, v15, s3
	v_cmp_eq_u32_e64 s3, 6, v71
	v_cndmask_b32_e32 v1, v1, v11, vcc_lo
	v_cndmask_b32_e64 v5, v5, v11, s4
	v_cmp_eq_u32_e64 s5, 6, v70
	v_cndmask_b32_e64 v6, v6, v15, s4
	v_cmp_eq_u32_e64 s4, 6, v72
	v_cmp_eq_u32_e64 s2, 6, v69
	v_cndmask_b32_e64 v1, v1, v4, s3
	v_cndmask_b32_e32 v2, v2, v15, vcc_lo
	v_cmp_eq_u32_e32 vcc_lo, 7, v71
	v_cndmask_b32_e64 v5, v5, v4, s5
	v_cndmask_b32_e64 v9, v9, v4, s4
	;; [unrolled: 1-line block ×3, first 2 shown]
	v_cmp_eq_u32_e64 s5, 7, v70
	v_cndmask_b32_e32 v1, v1, v12, vcc_lo
	v_cndmask_b32_e64 v7, v13, v4, s2
	v_cndmask_b32_e64 v3, v3, v8, s2
	;; [unrolled: 1-line block ×3, first 2 shown]
	v_cmp_eq_u32_e64 s2, 7, v69
	v_cndmask_b32_e64 v4, v10, v8, s4
	v_cndmask_b32_e64 v5, v5, v12, s5
	v_cndmask_b32_e64 v9, v9, v12, s6
	v_cndmask_b32_e32 v2, v2, v16, vcc_lo
	v_cndmask_b32_e64 v7, v7, v12, s2
	v_cndmask_b32_e64 v3, v3, v16, s2
	;; [unrolled: 1-line block ×4, first 2 shown]
	v_perm_b32 v4, v2, v1, 0x5040100
	s_mov_b32 s2, exec_lo
	v_perm_b32 v3, v3, v7, 0x5040100
	v_perm_b32 v2, v8, v9, 0x5040100
	;; [unrolled: 1-line block ×3, first 2 shown]
	ds_store_b128 v74, v[1:4]
	s_waitcnt lgkmcnt(0)
	s_barrier
	buffer_gl0_inv
	v_cmpx_gt_u32_e32 32, v0
	s_cbranch_execz .LBB1257_2
; %bb.15:
	s_load_b64 s[0:1], s[0:1], 0x68
	v_lshlrev_b32_e32 v0, 10, v0
	s_lshl_b32 s4, s34, 7
	v_or_b32_e32 v3, s31, v66
	s_mul_i32 s2, s4, s30
	v_lshlrev_b32_e32 v1, 4, v67
	s_mul_i32 s2, s2, s7
	v_lshlrev_b32_e32 v2, 6, v66
	v_and_b32_e32 v0, 0x3800, v0
	s_ashr_i32 s3, s2, 31
	v_mul_lo_u32 v4, v3, s4
	s_lshl_b64 s[2:3], s[2:3], 1
	s_delay_alu instid0(VALU_DEP_2) | instskip(NEXT) | instid1(VALU_DEP_2)
	v_or3_b32 v16, v0, v1, v2
	v_ashrrev_i32_e32 v5, 31, v4
	ds_load_b128 v[0:3], v16
	s_waitcnt lgkmcnt(0)
	s_add_u32 s2, s0, s2
	s_addc_u32 s3, s1, s3
	s_lshl_b32 s0, s14, 7
	v_lshlrev_b64 v[5:6], 1, v[4:5]
	s_ashr_i32 s1, s0, 31
	s_delay_alu instid0(SALU_CYCLE_1) | instskip(NEXT) | instid1(SALU_CYCLE_1)
	s_lshl_b64 s[0:1], s[0:1], 1
	s_add_u32 s0, s2, s0
	s_addc_u32 s1, s3, s1
	s_lshl_b32 s2, s34, 8
	v_add_co_u32 v30, s0, s0, v65
	v_add_nc_u32_e32 v8, s2, v4
	v_add_co_ci_u32_e64 v31, null, s1, 0, s0
	s_delay_alu instid0(VALU_DEP_3) | instskip(NEXT) | instid1(VALU_DEP_3)
	v_add_co_u32 v12, vcc_lo, v30, v5
	v_add_nc_u32_e32 v10, s2, v8
	v_ashrrev_i32_e32 v9, 31, v8
	s_delay_alu instid0(VALU_DEP_4)
	v_add_co_ci_u32_e32 v13, vcc_lo, v31, v6, vcc_lo
	ds_load_b128 v[4:7], v16 offset:128
	v_ashrrev_i32_e32 v11, 31, v10
	v_lshlrev_b64 v[8:9], 1, v[8:9]
	v_add_nc_u32_e32 v14, s2, v10
	global_store_b128 v[12:13], v[0:3], off
	v_lshlrev_b64 v[0:1], 1, v[10:11]
	v_ashrrev_i32_e32 v15, 31, v14
	v_add_co_u32 v22, vcc_lo, v30, v8
	v_add_nc_u32_e32 v20, s2, v14
	v_add_co_ci_u32_e32 v23, vcc_lo, v31, v9, vcc_lo
	v_add_co_u32 v26, vcc_lo, v30, v0
	v_lshlrev_b64 v[24:25], 1, v[14:15]
	v_add_co_ci_u32_e32 v27, vcc_lo, v31, v1, vcc_lo
	ds_load_b128 v[0:3], v16 offset:256
	ds_load_b128 v[8:11], v16 offset:384
	;; [unrolled: 1-line block ×4, first 2 shown]
	v_add_nc_u32_e32 v28, s2, v20
	v_ashrrev_i32_e32 v21, 31, v20
	v_add_co_u32 v24, vcc_lo, v30, v24
	v_add_co_ci_u32_e32 v25, vcc_lo, v31, v25, vcc_lo
	s_delay_alu instid0(VALU_DEP_4) | instskip(NEXT) | instid1(VALU_DEP_4)
	v_ashrrev_i32_e32 v29, 31, v28
	v_lshlrev_b64 v[20:21], 1, v[20:21]
	s_delay_alu instid0(VALU_DEP_2) | instskip(NEXT) | instid1(VALU_DEP_2)
	v_lshlrev_b64 v[28:29], 1, v[28:29]
	v_add_co_u32 v20, vcc_lo, v30, v20
	s_delay_alu instid0(VALU_DEP_3) | instskip(NEXT) | instid1(VALU_DEP_3)
	v_add_co_ci_u32_e32 v21, vcc_lo, v31, v21, vcc_lo
	v_add_co_u32 v28, vcc_lo, v30, v28
	s_delay_alu instid0(VALU_DEP_4)
	v_add_co_ci_u32_e32 v29, vcc_lo, v31, v29, vcc_lo
	s_waitcnt lgkmcnt(4)
	global_store_b128 v[22:23], v[4:7], off
	s_waitcnt lgkmcnt(3)
	global_store_b128 v[26:27], v[0:3], off
	;; [unrolled: 2-line block ×5, first 2 shown]
	s_nop 0
	s_sendmsg sendmsg(MSG_DEALLOC_VGPRS)
	s_endpgm
	.section	.rodata,"a",@progbits
	.p2align	6, 0x0
	.amdhsa_kernel _Z39paged_attention_ll4mi_QKV_mfma16_kernelIDF16_hLN4vllm18Fp8KVCacheDataTypeE1EDF16_Li16ELi128ELi256ELb1ELi12EL8MFMAType0EEvPKT_PKT0_S8_ifPKiSA_SA_iPKfiiiPfSD_PS3_PT2_iSC_SC_
		.amdhsa_group_segment_fixed_size 17472
		.amdhsa_private_segment_fixed_size 0
		.amdhsa_kernarg_size 400
		.amdhsa_user_sgpr_count 13
		.amdhsa_user_sgpr_dispatch_ptr 0
		.amdhsa_user_sgpr_queue_ptr 0
		.amdhsa_user_sgpr_kernarg_segment_ptr 1
		.amdhsa_user_sgpr_dispatch_id 0
		.amdhsa_user_sgpr_private_segment_size 0
		.amdhsa_wavefront_size32 1
		.amdhsa_uses_dynamic_stack 0
		.amdhsa_enable_private_segment 0
		.amdhsa_system_sgpr_workgroup_id_x 1
		.amdhsa_system_sgpr_workgroup_id_y 1
		.amdhsa_system_sgpr_workgroup_id_z 1
		.amdhsa_system_sgpr_workgroup_info 0
		.amdhsa_system_vgpr_workitem_id 0
		.amdhsa_next_free_vgpr 150
		.amdhsa_next_free_sgpr 36
		.amdhsa_reserve_vcc 1
		.amdhsa_float_round_mode_32 0
		.amdhsa_float_round_mode_16_64 0
		.amdhsa_float_denorm_mode_32 3
		.amdhsa_float_denorm_mode_16_64 3
		.amdhsa_dx10_clamp 1
		.amdhsa_ieee_mode 1
		.amdhsa_fp16_overflow 0
		.amdhsa_workgroup_processor_mode 1
		.amdhsa_memory_ordered 1
		.amdhsa_forward_progress 0
		.amdhsa_shared_vgpr_count 0
		.amdhsa_exception_fp_ieee_invalid_op 0
		.amdhsa_exception_fp_denorm_src 0
		.amdhsa_exception_fp_ieee_div_zero 0
		.amdhsa_exception_fp_ieee_overflow 0
		.amdhsa_exception_fp_ieee_underflow 0
		.amdhsa_exception_fp_ieee_inexact 0
		.amdhsa_exception_int_div_zero 0
	.end_amdhsa_kernel
	.section	.text._Z39paged_attention_ll4mi_QKV_mfma16_kernelIDF16_hLN4vllm18Fp8KVCacheDataTypeE1EDF16_Li16ELi128ELi256ELb1ELi12EL8MFMAType0EEvPKT_PKT0_S8_ifPKiSA_SA_iPKfiiiPfSD_PS3_PT2_iSC_SC_,"axG",@progbits,_Z39paged_attention_ll4mi_QKV_mfma16_kernelIDF16_hLN4vllm18Fp8KVCacheDataTypeE1EDF16_Li16ELi128ELi256ELb1ELi12EL8MFMAType0EEvPKT_PKT0_S8_ifPKiSA_SA_iPKfiiiPfSD_PS3_PT2_iSC_SC_,comdat
.Lfunc_end1257:
	.size	_Z39paged_attention_ll4mi_QKV_mfma16_kernelIDF16_hLN4vllm18Fp8KVCacheDataTypeE1EDF16_Li16ELi128ELi256ELb1ELi12EL8MFMAType0EEvPKT_PKT0_S8_ifPKiSA_SA_iPKfiiiPfSD_PS3_PT2_iSC_SC_, .Lfunc_end1257-_Z39paged_attention_ll4mi_QKV_mfma16_kernelIDF16_hLN4vllm18Fp8KVCacheDataTypeE1EDF16_Li16ELi128ELi256ELb1ELi12EL8MFMAType0EEvPKT_PKT0_S8_ifPKiSA_SA_iPKfiiiPfSD_PS3_PT2_iSC_SC_
                                        ; -- End function
	.section	.AMDGPU.csdata,"",@progbits
; Kernel info:
; codeLenInByte = 6752
; NumSgprs: 38
; NumVgprs: 150
; ScratchSize: 0
; MemoryBound: 0
; FloatMode: 240
; IeeeMode: 1
; LDSByteSize: 17472 bytes/workgroup (compile time only)
; SGPRBlocks: 4
; VGPRBlocks: 18
; NumSGPRsForWavesPerEU: 38
; NumVGPRsForWavesPerEU: 150
; Occupancy: 9
; WaveLimiterHint : 1
; COMPUTE_PGM_RSRC2:SCRATCH_EN: 0
; COMPUTE_PGM_RSRC2:USER_SGPR: 13
; COMPUTE_PGM_RSRC2:TRAP_HANDLER: 0
; COMPUTE_PGM_RSRC2:TGID_X_EN: 1
; COMPUTE_PGM_RSRC2:TGID_Y_EN: 1
; COMPUTE_PGM_RSRC2:TGID_Z_EN: 1
; COMPUTE_PGM_RSRC2:TIDIG_COMP_CNT: 0
	.section	.text._Z39paged_attention_ll4mi_QKV_mfma16_kernelIDF16_hLN4vllm18Fp8KVCacheDataTypeE1EDF16_Li16ELi128ELi256ELb1ELi13EL8MFMAType0EEvPKT_PKT0_S8_ifPKiSA_SA_iPKfiiiPfSD_PS3_PT2_iSC_SC_,"axG",@progbits,_Z39paged_attention_ll4mi_QKV_mfma16_kernelIDF16_hLN4vllm18Fp8KVCacheDataTypeE1EDF16_Li16ELi128ELi256ELb1ELi13EL8MFMAType0EEvPKT_PKT0_S8_ifPKiSA_SA_iPKfiiiPfSD_PS3_PT2_iSC_SC_,comdat
	.protected	_Z39paged_attention_ll4mi_QKV_mfma16_kernelIDF16_hLN4vllm18Fp8KVCacheDataTypeE1EDF16_Li16ELi128ELi256ELb1ELi13EL8MFMAType0EEvPKT_PKT0_S8_ifPKiSA_SA_iPKfiiiPfSD_PS3_PT2_iSC_SC_ ; -- Begin function _Z39paged_attention_ll4mi_QKV_mfma16_kernelIDF16_hLN4vllm18Fp8KVCacheDataTypeE1EDF16_Li16ELi128ELi256ELb1ELi13EL8MFMAType0EEvPKT_PKT0_S8_ifPKiSA_SA_iPKfiiiPfSD_PS3_PT2_iSC_SC_
	.globl	_Z39paged_attention_ll4mi_QKV_mfma16_kernelIDF16_hLN4vllm18Fp8KVCacheDataTypeE1EDF16_Li16ELi128ELi256ELb1ELi13EL8MFMAType0EEvPKT_PKT0_S8_ifPKiSA_SA_iPKfiiiPfSD_PS3_PT2_iSC_SC_
	.p2align	8
	.type	_Z39paged_attention_ll4mi_QKV_mfma16_kernelIDF16_hLN4vllm18Fp8KVCacheDataTypeE1EDF16_Li16ELi128ELi256ELb1ELi13EL8MFMAType0EEvPKT_PKT0_S8_ifPKiSA_SA_iPKfiiiPfSD_PS3_PT2_iSC_SC_,@function
_Z39paged_attention_ll4mi_QKV_mfma16_kernelIDF16_hLN4vllm18Fp8KVCacheDataTypeE1EDF16_Li16ELi128ELi256ELb1ELi13EL8MFMAType0EEvPKT_PKT0_S8_ifPKiSA_SA_iPKfiiiPfSD_PS3_PT2_iSC_SC_: ; @_Z39paged_attention_ll4mi_QKV_mfma16_kernelIDF16_hLN4vllm18Fp8KVCacheDataTypeE1EDF16_Li16ELi128ELi256ELb1ELi13EL8MFMAType0EEvPKT_PKT0_S8_ifPKiSA_SA_iPKfiiiPfSD_PS3_PT2_iSC_SC_
; %bb.0:
	s_load_b64 s[4:5], s[0:1], 0x30
	s_mov_b32 s34, s13
	s_waitcnt lgkmcnt(0)
	s_cmp_lg_u64 s[4:5], 0
	s_cselect_b32 s8, -1, 0
	s_ashr_i32 s35, s13, 31
	s_cmp_eq_u64 s[4:5], 0
	s_cbranch_scc1 .LBB1258_3
; %bb.1:
	s_lshl_b64 s[2:3], s[34:35], 2
	s_delay_alu instid0(SALU_CYCLE_1) | instskip(SKIP_4) | instid1(SALU_CYCLE_1)
	s_add_u32 s2, s4, s2
	s_addc_u32 s3, s5, s3
	s_load_b64 s[2:3], s[2:3], 0x0
	s_waitcnt lgkmcnt(0)
	s_sub_i32 s2, s3, s2
	s_cmp_eq_u32 s2, 1
	s_cselect_b32 s2, -1, 0
	s_delay_alu instid0(SALU_CYCLE_1)
	s_and_not1_b32 vcc_lo, exec_lo, s2
	s_cbranch_vccz .LBB1258_4
.LBB1258_2:
	s_nop 0
	s_sendmsg sendmsg(MSG_DEALLOC_VGPRS)
	s_endpgm
.LBB1258_3:
.LBB1258_4:
	s_load_b64 s[2:3], s[0:1], 0x28
	s_lshl_b64 s[6:7], s[34:35], 2
	s_waitcnt lgkmcnt(0)
	s_add_u32 s2, s2, s6
	s_addc_u32 s3, s3, s7
	s_lshl_b32 s12, s14, 8
	s_load_b32 s24, s[2:3], 0x0
	s_waitcnt lgkmcnt(0)
	s_cmp_ge_i32 s12, s24
	s_cbranch_scc1 .LBB1258_2
; %bb.5:
	s_clause 0x1
	s_load_b128 s[20:23], s[0:1], 0x8
	s_load_b64 s[2:3], s[0:1], 0x20
	s_and_not1_b32 vcc_lo, exec_lo, s8
	s_cbranch_vccnz .LBB1258_7
; %bb.6:
	s_add_u32 s4, s4, s6
	s_addc_u32 s5, s5, s7
	s_load_b32 s5, s[4:5], 0x0
	s_branch .LBB1258_8
.LBB1258_7:
	s_mov_b32 s5, s34
.LBB1258_8:
	s_load_b128 s[16:19], s[0:1], 0x48
	v_and_b32_e32 v68, 15, v0
	v_lshrrev_b32_e32 v69, 5, v0
	v_bfe_u32 v66, v0, 4, 1
	v_and_b32_e32 v70, 31, v0
	v_and_b32_e32 v67, 1, v0
	v_lshlrev_b32_e32 v2, 3, v68
	s_mul_i32 s31, s15, 13
	v_lshl_or_b32 v1, v69, 1, v66
	s_mov_b32 s4, exec_lo
	s_delay_alu instid0(VALU_DEP_2) | instskip(NEXT) | instid1(VALU_DEP_2)
	v_lshlrev_b32_e32 v65, 1, v2
	v_cmpx_gt_u32_e32 13, v1
	s_cbranch_execz .LBB1258_10
; %bb.9:
	s_load_b64 s[6:7], s[0:1], 0x0
	v_add_lshl_u32 v2, v1, s31, 7
	s_waitcnt lgkmcnt(0)
	s_mul_hi_i32 s9, s5, s16
	s_mul_i32 s8, s5, s16
	v_lshlrev_b32_e32 v6, 10, v68
	s_lshl_b64 s[8:9], s[8:9], 1
	v_ashrrev_i32_e32 v3, 31, v2
	v_lshlrev_b32_e32 v1, 6, v1
	v_lshlrev_b32_e32 v7, 10, v67
	v_and_b32_e32 v6, 0x3800, v6
	s_delay_alu instid0(VALU_DEP_4) | instskip(NEXT) | instid1(VALU_DEP_2)
	v_lshlrev_b64 v[2:3], 1, v[2:3]
	v_or3_b32 v1, v6, v7, v1
	s_add_u32 s5, s6, s8
	s_addc_u32 s6, s7, s9
	s_delay_alu instid0(VALU_DEP_2) | instskip(NEXT) | instid1(VALU_DEP_3)
	v_add_co_u32 v2, vcc_lo, s5, v2
	v_add_co_ci_u32_e32 v3, vcc_lo, s6, v3, vcc_lo
	s_delay_alu instid0(VALU_DEP_2) | instskip(NEXT) | instid1(VALU_DEP_2)
	v_add_co_u32 v2, vcc_lo, v2, v65
	v_add_co_ci_u32_e32 v3, vcc_lo, 0, v3, vcc_lo
	global_load_b128 v[2:5], v[2:3], off
	s_waitcnt vmcnt(0)
	ds_store_b128 v1, v[2:5]
.LBB1258_10:
	s_or_b32 exec_lo, exec_lo, s4
	v_and_b32_e32 v1, 0xef, v0
	s_waitcnt lgkmcnt(0)
	s_add_i32 s5, s24, 15
	s_clause 0x1
	s_load_b32 s4, s[0:1], 0x38
	s_load_b32 s33, s[0:1], 0x98
	s_ashr_i32 s6, s5, 31
	v_add_nc_u32_e32 v1, s12, v1
	s_lshr_b32 s6, s6, 28
	s_load_b32 s19, s[0:1], 0x1c
	s_add_i32 s5, s5, s6
	s_waitcnt lgkmcnt(0)
	v_ashrrev_i32_e32 v2, 31, v1
	v_or_b32_e32 v3, 16, v1
	s_ashr_i32 s13, s5, 4
	v_cmp_gt_i32_e32 vcc_lo, s24, v1
	s_add_i32 s13, s13, -1
	v_lshrrev_b32_e32 v2, 28, v2
	s_barrier
	buffer_gl0_inv
	s_mul_i32 s15, s15, s18
	v_add_nc_u32_e32 v4, v1, v2
	s_mul_i32 s4, s34, s4
	s_delay_alu instid0(SALU_CYCLE_1) | instskip(NEXT) | instid1(VALU_DEP_1)
	s_ashr_i32 s5, s4, 31
	v_ashrrev_i32_e32 v4, 4, v4
	v_add_nc_u32_e32 v2, v3, v2
	s_lshl_b64 s[4:5], s[4:5], 2
	s_delay_alu instid0(SALU_CYCLE_1) | instskip(NEXT) | instid1(VALU_DEP_2)
	s_add_u32 s16, s2, s4
	v_cndmask_b32_e32 v1, s13, v4, vcc_lo
	s_delay_alu instid0(VALU_DEP_2)
	v_ashrrev_i32_e32 v2, 4, v2
	v_cmp_gt_i32_e32 vcc_lo, s24, v3
	s_addc_u32 s25, s3, s5
	s_ashr_i32 s18, s15, 31
	s_add_u32 s26, s20, s15
	s_addc_u32 s27, s21, s18
	v_cndmask_b32_e32 v3, s13, v2, vcc_lo
	v_ashrrev_i32_e32 v2, 31, v1
	s_lshl_b32 s2, s14, 4
	s_delay_alu instid0(SALU_CYCLE_1) | instskip(NEXT) | instid1(VALU_DEP_2)
	s_ashr_i32 s3, s2, 31
	v_ashrrev_i32_e32 v4, 31, v3
	s_delay_alu instid0(VALU_DEP_2) | instskip(SKIP_1) | instid1(SALU_CYCLE_1)
	v_lshlrev_b64 v[1:2], 2, v[1:2]
	s_lshl_b64 s[2:3], s[2:3], 2
	s_add_u32 s2, s16, s2
	s_delay_alu instid0(VALU_DEP_2) | instskip(SKIP_1) | instid1(VALU_DEP_2)
	v_lshlrev_b64 v[3:4], 2, v[3:4]
	s_addc_u32 s3, s25, s3
	v_add_co_u32 v1, vcc_lo, s16, v1
	v_add_co_ci_u32_e32 v2, vcc_lo, s25, v2, vcc_lo
	s_delay_alu instid0(VALU_DEP_3) | instskip(NEXT) | instid1(VALU_DEP_4)
	v_add_co_u32 v3, vcc_lo, s16, v3
	v_add_co_ci_u32_e32 v4, vcc_lo, s25, v4, vcc_lo
	s_clause 0x1
	global_load_b32 v5, v[1:2], off
	global_load_b32 v7, v[3:4], off
	s_or_b32 s4, s12, 32
	v_lshlrev_b32_e32 v1, 4, v0
	s_ashr_i32 s5, s4, 4
	s_cmp_lt_i32 s4, s24
	v_cmp_gt_u32_e32 vcc_lo, 13, v68
	s_cselect_b32 s4, s5, s13
	v_and_b32_e32 v1, 0xf0, v1
	s_ashr_i32 s5, s4, 31
	s_delay_alu instid0(SALU_CYCLE_1) | instskip(NEXT) | instid1(SALU_CYCLE_1)
	s_lshl_b64 s[4:5], s[4:5], 2
	s_add_u32 s4, s16, s4
	s_addc_u32 s5, s25, s5
	s_or_b32 s6, s12, 64
	v_add_co_u32 v1, s26, s26, v1
	s_ashr_i32 s7, s6, 4
	s_cmp_lt_i32 s6, s24
	v_add_co_ci_u32_e64 v2, null, s27, 0, s26
	s_cselect_b32 s6, s7, s13
	s_delay_alu instid0(SALU_CYCLE_1) | instskip(NEXT) | instid1(SALU_CYCLE_1)
	s_ashr_i32 s7, s6, 31
	s_lshl_b64 s[6:7], s[6:7], 2
	s_delay_alu instid0(SALU_CYCLE_1) | instskip(SKIP_2) | instid1(SALU_CYCLE_1)
	s_add_u32 s6, s16, s6
	s_addc_u32 s7, s25, s7
	s_or_b32 s8, s12, 0x60
	s_ashr_i32 s9, s8, 4
	s_cmp_lt_i32 s8, s24
	s_cselect_b32 s8, s9, s13
	s_delay_alu instid0(SALU_CYCLE_1) | instskip(NEXT) | instid1(SALU_CYCLE_1)
	s_ashr_i32 s9, s8, 31
	s_lshl_b64 s[8:9], s[8:9], 2
	s_delay_alu instid0(SALU_CYCLE_1) | instskip(SKIP_2) | instid1(SALU_CYCLE_1)
	s_add_u32 s8, s16, s8
	s_addc_u32 s9, s25, s9
	s_or_b32 s10, s12, 0x80
	s_ashr_i32 s11, s10, 4
	s_cmp_lt_i32 s10, s24
	;; [unrolled: 10-line block ×3, first 2 shown]
	s_cselect_b32 s20, s21, s13
	s_delay_alu instid0(SALU_CYCLE_1) | instskip(NEXT) | instid1(SALU_CYCLE_1)
	s_ashr_i32 s21, s20, 31
	s_lshl_b64 s[20:21], s[20:21], 2
	s_delay_alu instid0(SALU_CYCLE_1)
	s_add_u32 s20, s16, s20
	s_addc_u32 s21, s25, s21
	s_clause 0x5
	s_load_b32 s26, s[2:3], 0x0
	s_load_b32 s27, s[4:5], 0x0
	;; [unrolled: 1-line block ×6, first 2 shown]
	s_or_b32 s2, s12, 0xc0
	s_mov_b32 s4, 0
	s_ashr_i32 s3, s2, 4
	s_cmp_lt_i32 s2, s24
	s_mov_b32 s11, s4
	s_cselect_b32 s2, s3, s13
	s_mov_b32 s5, s4
	s_ashr_i32 s3, s2, 31
	s_mov_b32 s6, s4
	s_lshl_b64 s[2:3], s[2:3], 2
	s_mov_b32 s7, s4
	s_add_u32 s2, s16, s2
	s_addc_u32 s3, s25, s3
	s_or_b32 s20, s12, 0xe0
	s_mov_b32 s8, s4
	s_ashr_i32 s21, s20, 4
	s_cmp_lt_i32 s20, s24
	s_mov_b32 s9, s4
	s_cselect_b32 s20, s21, s13
	s_mov_b32 s10, s4
	s_ashr_i32 s21, s20, 31
	v_mov_b32_e32 v118, s11
	v_dual_mov_b32 v112, s5 :: v_dual_mov_b32 v117, s10
	v_dual_mov_b32 v116, s9 :: v_dual_mov_b32 v115, s8
	;; [unrolled: 1-line block ×3, first 2 shown]
	v_mov_b32_e32 v111, s4
	s_lshl_b64 s[4:5], s[20:21], 2
	s_delay_alu instid0(SALU_CYCLE_1)
	s_add_u32 s4, s16, s4
	s_addc_u32 s5, s25, s5
	s_add_u32 s6, s22, s15
	s_addc_u32 s7, s23, s18
	s_waitcnt vmcnt(1)
	v_mad_i64_i32 v[3:4], null, v5, s17, v[1:2]
	s_waitcnt vmcnt(0)
	v_mad_i64_i32 v[5:6], null, v7, s17, v[1:2]
	v_add_nc_u32_e32 v1, -13, v68
	v_lshlrev_b32_e32 v2, 4, v68
	s_clause 0xf
	global_load_b128 v[17:20], v[3:4], off
	global_load_b128 v[21:24], v[3:4], off offset:256
	global_load_b128 v[25:28], v[5:6], off
	global_load_b128 v[29:32], v[5:6], off offset:256
	global_load_b128 v[57:60], v[3:4], off offset:512
	;; [unrolled: 1-line block ×13, first 2 shown]
	v_cndmask_b32_e32 v1, v1, v68, vcc_lo
	s_delay_alu instid0(VALU_DEP_1)
	v_lshlrev_b32_e32 v149, 6, v1
	v_lshl_or_b32 v1, v69, 8, v2
	ds_load_b128 v[119:122], v149
	ds_load_b128 v[123:126], v149 offset:1024
	ds_load_b128 v[127:130], v149 offset:2048
	;; [unrolled: 1-line block ×3, first 2 shown]
	s_clause 0x1
	s_load_b32 s2, s[2:3], 0x0
	s_load_b32 s3, s[4:5], 0x0
	v_add_co_u32 v135, s6, s6, v1
	s_delay_alu instid0(VALU_DEP_1) | instskip(SKIP_1) | instid1(VALU_DEP_1)
	v_add_co_ci_u32_e64 v136, null, s7, 0, s6
	s_waitcnt lgkmcnt(0)
	v_mad_i64_i32 v[1:2], null, s26, s17, v[135:136]
	v_mad_i64_i32 v[3:4], null, s27, s17, v[135:136]
	;; [unrolled: 1-line block ×6, first 2 shown]
	s_clause 0x9
	global_load_b128 v[49:52], v[1:2], off
	global_load_b128 v[53:56], v[1:2], off offset:16
	global_load_b128 v[41:44], v[3:4], off
	global_load_b128 v[45:48], v[3:4], off offset:16
	;; [unrolled: 2-line block ×5, first 2 shown]
	v_mad_i64_i32 v[145:146], null, s2, s17, v[135:136]
	v_mad_i64_i32 v[147:148], null, s3, s17, v[135:136]
	s_waitcnt vmcnt(24)
	v_wmma_f32_16x16x16_f16 v[135:142], v[17:24], v[119:126], v[111:118]
	s_waitcnt vmcnt(22)
	v_wmma_f32_16x16x16_f16 v[111:118], v[25:32], v[119:126], v[111:118]
	s_clause 0x3
	global_load_b128 v[17:20], v[143:144], off
	global_load_b128 v[21:24], v[143:144], off offset:16
	global_load_b128 v[25:28], v[145:146], off
	global_load_b128 v[29:32], v[145:146], off offset:16
	v_and_b32_e32 v119, 0xe0, v0
	s_waitcnt vmcnt(24)
	v_wmma_f32_16x16x16_f16 v[135:142], v[57:64], v[127:134], v[135:142]
	s_clause 0x1
	global_load_b128 v[57:60], v[147:148], off
	global_load_b128 v[61:64], v[147:148], off offset:16
	s_waitcnt vmcnt(24)
	v_wmma_f32_16x16x16_f16 v[111:118], v[71:78], v[127:134], v[111:118]
	ds_load_b128 v[71:74], v149 offset:4096
	ds_load_b128 v[75:78], v149 offset:5120
	v_add_nc_u32_e32 v128, s12, v119
	ds_load_b128 v[119:122], v149 offset:6144
	ds_load_b128 v[123:126], v149 offset:7168
	v_mbcnt_lo_u32_b32 v127, -1, 0
	s_waitcnt vmcnt(0) lgkmcnt(0)
	s_barrier
	v_or_b32_e32 v128, v128, v66
	buffer_gl0_inv
	v_xor_b32_e32 v129, 16, v127
	v_or_b32_e32 v130, 4, v128
	v_or_b32_e32 v131, 6, v128
	s_delay_alu instid0(VALU_DEP_3) | instskip(SKIP_4) | instid1(VALU_DEP_4)
	v_cmp_gt_i32_e32 vcc_lo, 32, v129
	v_or_b32_e32 v132, 8, v128
	v_or_b32_e32 v133, 10, v128
	v_cmp_gt_i32_e64 s3, s24, v130
	v_cmp_gt_i32_e64 s4, s24, v131
	v_cmp_gt_i32_e64 s5, s24, v132
	v_wmma_f32_16x16x16_f16 v[135:142], v[79:86], v[71:78], v[135:142]
	v_wmma_f32_16x16x16_f16 v[111:118], v[87:94], v[71:78], v[111:118]
	v_or_b32_e32 v79, 12, v128
	v_or_b32_e32 v80, 14, v128
	v_cmp_gt_i32_e64 s6, s24, v133
	v_wmma_f32_16x16x16_f16 v[135:142], v[95:102], v[119:126], v[135:142]
	v_wmma_f32_16x16x16_f16 v[111:118], v[103:110], v[119:126], v[111:118]
	v_cndmask_b32_e32 v127, v127, v129, vcc_lo
	v_or_b32_e32 v129, 2, v128
	v_cmp_gt_i32_e32 vcc_lo, s24, v128
	v_mul_f32_e32 v88, s19, v135
	v_dual_mul_f32 v92, s19, v115 :: v_dual_mul_f32 v87, s19, v136
	s_delay_alu instid0(VALU_DEP_4)
	v_cmp_gt_i32_e64 s2, s24, v129
	v_mul_f32_e32 v78, s19, v138
	v_mul_f32_e32 v86, s19, v137
	v_cndmask_b32_e32 v88, 0xff7fffff, v88, vcc_lo
	v_mul_f32_e32 v76, s19, v140
	v_cndmask_b32_e64 v87, 0xff7fffff, v87, s2
	v_dual_mul_f32 v77, s19, v139 :: v_dual_mul_f32 v94, s19, v113
	v_cndmask_b32_e64 v86, 0xff7fffff, v86, s3
	v_cndmask_b32_e64 v78, 0xff7fffff, v78, s4
	s_delay_alu instid0(VALU_DEP_4)
	v_max3_f32 v87, v88, 0xff7fffff, v87
	v_or_b32_e32 v81, 16, v128
	v_or_b32_e32 v82, 18, v128
	v_dual_mul_f32 v74, s19, v142 :: v_dual_mul_f32 v75, s19, v141
	v_mul_f32_e32 v96, s19, v111
	v_cndmask_b32_e64 v77, 0xff7fffff, v77, s5
	v_cndmask_b32_e64 v76, 0xff7fffff, v76, s6
	v_max3_f32 v78, v87, v86, v78
	v_cmp_gt_i32_e64 s7, s24, v79
	v_cmp_gt_i32_e64 s8, s24, v80
	v_or_b32_e32 v83, 20, v128
	v_or_b32_e32 v84, 22, v128
	v_mul_f32_e32 v95, s19, v112
	v_cndmask_b32_e64 v75, 0xff7fffff, v75, s7
	v_cndmask_b32_e64 v74, 0xff7fffff, v74, s8
	v_max3_f32 v76, v78, v77, v76
	v_cmp_gt_i32_e64 s9, s24, v81
	v_cmp_gt_i32_e64 s10, s24, v82
	v_or_b32_e32 v85, 24, v128
	v_or_b32_e32 v71, 26, v128
	;; [unrolled: 8-line block ×3, first 2 shown]
	v_mul_f32_e32 v91, s19, v116
	v_cndmask_b32_e64 v75, 0xff7fffff, v94, s11
	v_cndmask_b32_e64 v76, 0xff7fffff, v93, s12
	v_max3_f32 v74, v74, v77, v78
	v_cmp_gt_i32_e64 s13, s24, v85
	v_cmp_gt_i32_e64 s15, s24, v71
	v_dual_mul_f32 v89, s19, v118 :: v_dual_mul_f32 v90, s19, v117
	s_delay_alu instid0(VALU_DEP_4) | instskip(NEXT) | instid1(VALU_DEP_4)
	v_max3_f32 v74, v74, v75, v76
	v_cndmask_b32_e64 v77, 0xff7fffff, v92, s13
	s_delay_alu instid0(VALU_DEP_4) | instskip(SKIP_2) | instid1(VALU_DEP_3)
	v_cndmask_b32_e64 v71, 0xff7fffff, v91, s15
	v_cmp_gt_i32_e64 s16, s24, v72
	v_cmp_gt_i32_e64 s17, s24, v73
	v_max3_f32 v71, v74, v77, v71
	s_delay_alu instid0(VALU_DEP_3) | instskip(NEXT) | instid1(VALU_DEP_3)
	v_cndmask_b32_e64 v72, 0xff7fffff, v90, s16
	v_cndmask_b32_e64 v73, 0xff7fffff, v89, s17
	v_lshlrev_b32_e32 v74, 2, v127
	s_delay_alu instid0(VALU_DEP_2) | instskip(SKIP_3) | instid1(VALU_DEP_1)
	v_max3_f32 v71, v71, v72, v73
	ds_bpermute_b32 v72, v74, v71
	s_waitcnt lgkmcnt(0)
	v_max_f32_e32 v72, v72, v72
	v_max_f32_e32 v71, v71, v72
	s_delay_alu instid0(VALU_DEP_1) | instskip(SKIP_4) | instid1(VALU_DEP_4)
	v_fma_f32 v72, s19, v135, -v71
	v_fma_f32 v73, s19, v136, -v71
	;; [unrolled: 1-line block ×5, first 2 shown]
	v_dual_mul_f32 v72, 0x3fb8aa3b, v72 :: v_dual_mul_f32 v73, 0x3fb8aa3b, v73
	v_fma_f32 v80, s19, v141, -v71
	s_delay_alu instid0(VALU_DEP_3) | instskip(NEXT) | instid1(VALU_DEP_3)
	v_dual_mul_f32 v76, 0x3fb8aa3b, v76 :: v_dual_mul_f32 v77, 0x3fb8aa3b, v77
	v_exp_f32_e32 v72, v72
	s_delay_alu instid0(VALU_DEP_3) | instskip(NEXT) | instid1(VALU_DEP_2)
	v_exp_f32_e32 v73, v73
	v_mul_f32_e32 v82, 0x3fb8aa3b, v80
	s_delay_alu instid0(VALU_DEP_2) | instskip(SKIP_1) | instid1(VALU_DEP_1)
	v_exp_f32_e32 v76, v76
	v_exp_f32_e32 v77, v77
	;; [unrolled: 1-line block ×3, first 2 shown]
	v_cndmask_b32_e32 v79, 0, v72, vcc_lo
	v_fma_f32 v72, s19, v140, -v71
	v_mul_f32_e32 v75, 0x3fb8aa3b, v75
	v_cndmask_b32_e64 v78, 0, v73, s2
	s_delay_alu instid0(TRANS32_DEP_3) | instskip(NEXT) | instid1(VALU_DEP_4)
	v_cndmask_b32_e64 v80, 0, v76, s4
	v_dual_add_f32 v73, 0, v79 :: v_dual_mul_f32 v72, 0x3fb8aa3b, v72
	s_delay_alu instid0(VALU_DEP_4) | instskip(NEXT) | instid1(TRANS32_DEP_3)
	v_exp_f32_e32 v75, v75
	v_cndmask_b32_e64 v83, 0, v77, s5
	s_delay_alu instid0(TRANS32_DEP_2) | instskip(NEXT) | instid1(VALU_DEP_3)
	v_cndmask_b32_e64 v85, 0, v84, s7
	v_add_f32_e32 v73, v73, v78
	v_exp_f32_e32 v72, v72
	v_cmp_gt_u32_e64 s2, 16, v70
	s_waitcnt_depctr 0xfff
	v_cndmask_b32_e64 v81, 0, v75, s3
	v_cndmask_b32_e64 v82, 0, v72, s6
	s_delay_alu instid0(VALU_DEP_2) | instskip(NEXT) | instid1(VALU_DEP_1)
	v_add_f32_e32 v73, v73, v81
	v_add_f32_e32 v73, v73, v80
	s_delay_alu instid0(VALU_DEP_1) | instskip(NEXT) | instid1(VALU_DEP_1)
	v_add_f32_e32 v72, v73, v83
	v_add_f32_e32 v72, v72, v82
	s_delay_alu instid0(VALU_DEP_1)
	v_add_f32_e32 v72, v72, v85
	v_fma_f32 v76, s19, v111, -v71
	v_fma_f32 v75, s19, v142, -v71
	;; [unrolled: 1-line block ×5, first 2 shown]
	v_mul_f32_e32 v76, 0x3fb8aa3b, v76
	s_delay_alu instid0(VALU_DEP_4) | instskip(NEXT) | instid1(VALU_DEP_2)
	v_mul_f32_e32 v86, 0x3fb8aa3b, v86
	v_exp_f32_e32 v76, v76
	s_delay_alu instid0(VALU_DEP_1)
	v_exp_f32_e32 v88, v86
	s_waitcnt_depctr 0xfff
	v_cndmask_b32_e64 v87, 0, v76, s9
	v_fma_f32 v76, s19, v116, -v71
	v_mul_f32_e32 v75, 0x3fb8aa3b, v75
	v_cndmask_b32_e64 v88, 0, v88, s12
	s_delay_alu instid0(VALU_DEP_3) | instskip(NEXT) | instid1(VALU_DEP_3)
	v_dual_mul_f32 v73, 0x3fb8aa3b, v73 :: v_dual_mul_f32 v76, 0x3fb8aa3b, v76
	v_exp_f32_e32 v75, v75
	s_delay_alu instid0(VALU_DEP_1) | instskip(NEXT) | instid1(VALU_DEP_1)
	v_exp_f32_e32 v73, v73
	v_exp_f32_e32 v76, v76
	s_delay_alu instid0(TRANS32_DEP_3)
	v_cndmask_b32_e64 v84, 0, v75, s8
	v_fma_f32 v75, s19, v115, -v71
	s_waitcnt_depctr 0xfff
	v_cndmask_b32_e64 v89, 0, v73, s11
	v_cndmask_b32_e64 v90, 0, v76, s15
	v_add_f32_e32 v72, v72, v84
	s_delay_alu instid0(VALU_DEP_1) | instskip(NEXT) | instid1(VALU_DEP_1)
	v_dual_add_f32 v72, v72, v87 :: v_dual_mul_f32 v77, 0x3fb8aa3b, v77
	v_exp_f32_e32 v77, v77
	s_waitcnt_depctr 0xfff
	v_cndmask_b32_e64 v86, 0, v77, s10
	v_fma_f32 v77, s19, v117, -v71
	s_delay_alu instid0(VALU_DEP_2) | instskip(NEXT) | instid1(VALU_DEP_1)
	v_dual_add_f32 v72, v72, v86 :: v_dual_mul_f32 v75, 0x3fb8aa3b, v75
	v_add_f32_e32 v72, v72, v89
	s_delay_alu instid0(VALU_DEP_2) | instskip(NEXT) | instid1(VALU_DEP_1)
	v_exp_f32_e32 v75, v75
	v_add_f32_e32 v72, v72, v88
	s_waitcnt_depctr 0xfff
	v_cndmask_b32_e64 v91, 0, v75, s13
	v_mul_f32_e32 v73, 0x3fb8aa3b, v77
	v_fma_f32 v77, s19, v118, -v71
	s_delay_alu instid0(VALU_DEP_3) | instskip(NEXT) | instid1(VALU_DEP_3)
	v_add_f32_e32 v72, v72, v91
	v_exp_f32_e32 v73, v73
	s_delay_alu instid0(VALU_DEP_1) | instskip(NEXT) | instid1(VALU_DEP_1)
	v_dual_mul_f32 v75, 0x3fb8aa3b, v77 :: v_dual_add_f32 v72, v72, v90
	v_exp_f32_e32 v75, v75
	s_waitcnt_depctr 0xfff
	v_cndmask_b32_e64 v93, 0, v73, s16
	s_delay_alu instid0(VALU_DEP_1) | instskip(SKIP_1) | instid1(VALU_DEP_1)
	v_add_f32_e32 v72, v72, v93
	v_cndmask_b32_e64 v92, 0, v75, s17
	v_add_f32_e32 v72, v72, v92
	ds_bpermute_b32 v73, v74, v72
	s_and_saveexec_b32 s3, s2
	s_cbranch_execz .LBB1258_12
; %bb.11:
	v_mul_u32_u24_e32 v70, 0x44, v69
	s_waitcnt lgkmcnt(0)
	v_add_f32_e32 v72, v72, v73
	s_delay_alu instid0(VALU_DEP_2) | instskip(NEXT) | instid1(VALU_DEP_1)
	v_lshl_add_u32 v70, v68, 2, v70
	v_add_nc_u32_e32 v70, 0x4000, v70
	ds_store_2addr_b32 v70, v71, v72 offset1:136
.LBB1258_12:
	s_or_b32 exec_lo, exec_lo, s3
	v_lshlrev_b32_e32 v70, 2, v68
	s_load_b32 s35, s[0:1], 0x94
	s_waitcnt lgkmcnt(0)
	s_barrier
	buffer_gl0_inv
	v_add_nc_u32_e32 v98, 0x4000, v70
	v_cmp_eq_u32_e32 vcc_lo, 1, v69
	v_cmp_eq_u32_e64 s3, 2, v69
	v_cmp_eq_u32_e64 s4, 3, v69
	v_cmp_eq_u32_e64 s5, 4, v69
	ds_load_2addr_b32 v[70:71], v98 offset1:17
	ds_load_2addr_b32 v[72:73], v98 offset0:34 offset1:51
	ds_load_2addr_b32 v[74:75], v98 offset0:68 offset1:85
	;; [unrolled: 1-line block ×3, first 2 shown]
	v_cmp_eq_u32_e64 s6, 5, v69
	v_cmp_eq_u32_e64 s7, 7, v69
	s_waitcnt lgkmcnt(3)
	v_max3_f32 v76, v70, 0xff7fffff, v71
	s_waitcnt lgkmcnt(2)
	s_delay_alu instid0(VALU_DEP_1) | instskip(SKIP_1) | instid1(VALU_DEP_1)
	v_max3_f32 v76, v76, v72, v73
	s_waitcnt lgkmcnt(1)
	v_max3_f32 v76, v76, v74, v75
	s_waitcnt lgkmcnt(0)
	s_delay_alu instid0(VALU_DEP_1) | instskip(NEXT) | instid1(VALU_DEP_1)
	v_max3_f32 v76, v76, v94, v95
	v_sub_f32_e32 v77, v71, v76
	ds_load_2addr_b32 v[96:97], v98 offset0:136 offset1:153
	v_sub_f32_e32 v74, v74, v76
	v_sub_f32_e32 v70, v70, v76
	;; [unrolled: 1-line block ×3, first 2 shown]
	v_dual_sub_f32 v72, v72, v76 :: v_dual_mul_f32 v77, 0x3fb8aa3b, v77
	s_delay_alu instid0(VALU_DEP_4) | instskip(NEXT) | instid1(VALU_DEP_4)
	v_mul_f32_e32 v103, 0x3fb8aa3b, v74
	v_mul_f32_e32 v99, 0x3fb8aa3b, v70
	ds_load_2addr_b32 v[70:71], v98 offset0:170 offset1:187
	v_dual_mul_f32 v101, 0x3fb8aa3b, v72 :: v_dual_mul_f32 v94, 0x3fb8aa3b, v94
	v_exp_f32_e32 v102, v77
	v_exp_f32_e32 v99, v99
	s_delay_alu instid0(VALU_DEP_1) | instskip(NEXT) | instid1(VALU_DEP_1)
	v_exp_f32_e32 v101, v101
	v_exp_f32_e32 v94, v94
	s_waitcnt lgkmcnt(1)
	s_delay_alu instid0(TRANS32_DEP_3)
	v_fma_f32 v77, v99, v96, 0
	v_sub_f32_e32 v100, v73, v76
	ds_load_2addr_b32 v[72:73], v98 offset0:204 offset1:221
	v_fmac_f32_e32 v77, v102, v97
	v_exp_f32_e32 v97, v103
	s_waitcnt lgkmcnt(1)
	s_delay_alu instid0(VALU_DEP_1)
	v_dual_fmac_f32 v77, v101, v70 :: v_dual_sub_f32 v96, v75, v76
	ds_load_2addr_b32 v[74:75], v98 offset0:238 offset1:255
	v_sub_f32_e32 v70, v95, v76
	s_waitcnt lgkmcnt(0)
	s_barrier
	v_mul_f32_e32 v96, 0x3fb8aa3b, v96
	buffer_gl0_inv
	v_exp_f32_e32 v95, v96
	v_mul_f32_e32 v100, 0x3fb8aa3b, v100
	s_delay_alu instid0(VALU_DEP_1) | instskip(SKIP_3) | instid1(VALU_DEP_2)
	v_exp_f32_e32 v100, v100
	s_waitcnt_depctr 0xfff
	v_dual_fmac_f32 v77, v100, v71 :: v_dual_mul_f32 v70, 0x3fb8aa3b, v70
	v_cndmask_b32_e32 v71, v99, v102, vcc_lo
	v_fmac_f32_e32 v77, v97, v72
	s_delay_alu instid0(VALU_DEP_3) | instskip(NEXT) | instid1(VALU_DEP_1)
	v_exp_f32_e32 v96, v70
	v_fmac_f32_e32 v77, v95, v73
	s_delay_alu instid0(VALU_DEP_1) | instskip(SKIP_2) | instid1(VALU_DEP_1)
	v_fmac_f32_e32 v77, v94, v74
	s_waitcnt_depctr 0xfff
	v_fmac_f32_e32 v77, v96, v75
	v_add_f32_e32 v74, 0x358637bd, v77
	s_delay_alu instid0(VALU_DEP_1) | instskip(SKIP_1) | instid1(VALU_DEP_2)
	v_div_scale_f32 v98, null, v74, v74, 1.0
	v_div_scale_f32 v99, vcc_lo, 1.0, v74, 1.0
	v_rcp_f32_e32 v103, v98
	s_waitcnt_depctr 0xfff
	v_fma_f32 v70, -v98, v103, 1.0
	s_delay_alu instid0(VALU_DEP_1) | instskip(SKIP_2) | instid1(VALU_DEP_2)
	v_fmac_f32_e32 v103, v70, v103
	v_cndmask_b32_e64 v70, v71, v101, s3
	v_cmp_eq_u32_e64 s3, 6, v69
	v_cndmask_b32_e64 v71, v70, v100, s4
	s_delay_alu instid0(VALU_DEP_4) | instskip(NEXT) | instid1(VALU_DEP_2)
	v_dual_mul_f32 v101, v99, v103 :: v_dual_lshlrev_b32 v70, 2, v66
	v_cndmask_b32_e64 v71, v71, v97, s5
	s_delay_alu instid0(VALU_DEP_2) | instskip(NEXT) | instid1(VALU_DEP_3)
	v_or_b32_e32 v72, 1, v70
	v_fma_f32 v100, -v98, v101, v99
	v_cmp_eq_u32_e64 s4, 1, v70
	v_cmp_eq_u32_e64 s5, 2, v70
	v_cndmask_b32_e64 v95, v71, v95, s6
	v_or_b32_e32 v71, 3, v70
	v_fmac_f32_e32 v101, v100, v103
	v_cmp_eq_u32_e64 s9, 1, v72
	v_cmp_eq_u32_e64 s12, 2, v72
	v_cndmask_b32_e64 v94, v95, v94, s3
	v_cmp_eq_u32_e64 s11, 1, v71
	v_fma_f32 v97, -v98, v101, v99
	v_cmp_eq_u32_e64 s16, 2, v71
	v_cmp_eq_u32_e64 s13, 3, v72
	v_cndmask_b32_e64 v94, v94, v96, s7
	v_cmp_eq_u32_e64 s18, 3, v71
	v_div_fmas_f32 v95, v97, v103, v101
	v_cmp_eq_u32_e32 vcc_lo, 3, v70
	v_cmp_eq_u32_e64 s3, 4, v70
	v_cmp_eq_u32_e64 s19, 4, v72
	;; [unrolled: 1-line block ×3, first 2 shown]
	v_div_fixup_f32 v95, v95, v74, 1.0
	v_lshlrev_b32_e32 v73, 6, v68
	v_cmp_eq_u32_e64 s6, 5, v70
	v_cmp_eq_u32_e64 s20, 5, v72
	;; [unrolled: 1-line block ×3, first 2 shown]
	v_mul_f32_e32 v102, v94, v95
	v_lshl_or_b32 v75, v69, 11, v73
	v_or_b32_e32 v69, 2, v70
	v_cmp_eq_u32_e64 s25, 6, v72
	v_cmp_eq_u32_e64 s27, 6, v71
	v_fma_mixlo_f16 v94, v102, v79, 0
	v_fma_mixlo_f16 v95, v102, v81, 0
	;; [unrolled: 1-line block ×8, first 2 shown]
	v_lshl_or_b32 v74, v66, 4, v75
	v_fma_mixhi_f16 v94, v102, v78, 0
	v_fma_mixhi_f16 v95, v102, v80, 0
	;; [unrolled: 1-line block ×8, first 2 shown]
	ds_store_b128 v74, v[94:97]
	ds_store_b128 v74, v[98:101] offset:1024
	s_waitcnt lgkmcnt(0)
	s_barrier
	buffer_gl0_inv
	ds_load_b128 v[78:81], v75
	ds_load_b128 v[82:85], v75 offset:16
	ds_load_b128 v[86:89], v75 offset:1024
	;; [unrolled: 1-line block ×3, first 2 shown]
	v_cmp_eq_u32_e64 s10, 1, v69
	v_cmp_eq_u32_e64 s15, 2, v69
	;; [unrolled: 1-line block ×11, first 2 shown]
	s_waitcnt lgkmcnt(3)
	v_lshrrev_b32_e32 v94, 16, v78
	s_waitcnt lgkmcnt(2)
	v_lshrrev_b32_e32 v98, 16, v82
	;; [unrolled: 2-line block ×4, first 2 shown]
	v_lshrrev_b32_e32 v95, 16, v79
	v_cndmask_b32_e64 v110, v78, v94, s4
	v_cndmask_b32_e64 v111, v82, v98, s4
	v_cndmask_b32_e64 v112, v78, v94, s9
	v_cndmask_b32_e64 v113, v82, v98, s9
	v_cndmask_b32_e64 v114, v78, v94, s10
	v_cndmask_b32_e64 v115, v82, v98, s10
	v_cndmask_b32_e64 v78, v78, v94, s11
	v_cndmask_b32_e64 v82, v82, v98, s11
	v_lshrrev_b32_e32 v99, 16, v83
	v_cndmask_b32_e64 v94, v86, v102, s4
	v_cndmask_b32_e64 v98, v90, v106, s4
	;; [unrolled: 1-line block ×15, first 2 shown]
	v_lshrrev_b32_e32 v103, 16, v87
	v_lshrrev_b32_e32 v107, 16, v91
	v_cndmask_b32_e64 v113, v115, v83, s15
	v_cndmask_b32_e64 v82, v94, v87, s5
	;; [unrolled: 1-line block ×7, first 2 shown]
	v_cndmask_b32_e32 v90, v102, v95, vcc_lo
	v_cndmask_b32_e32 v102, v106, v99, vcc_lo
	v_cndmask_b32_e64 v106, v110, v95, s13
	v_cndmask_b32_e64 v110, v111, v99, s13
	;; [unrolled: 1-line block ×4, first 2 shown]
	v_lshrrev_b32_e32 v96, 16, v80
	v_lshrrev_b32_e32 v100, 16, v84
	v_cndmask_b32_e64 v111, v112, v95, s17
	v_cndmask_b32_e64 v112, v113, v99, s17
	v_cndmask_b32_e32 v82, v82, v103, vcc_lo
	v_cndmask_b32_e32 v83, v83, v107, vcc_lo
	v_cndmask_b32_e64 v94, v94, v103, s13
	v_cndmask_b32_e64 v90, v90, v80, s3
	;; [unrolled: 1-line block ×7, first 2 shown]
	v_lshrrev_b32_e32 v104, 16, v88
	v_cndmask_b32_e64 v106, v111, v80, s21
	v_cndmask_b32_e64 v110, v112, v84, s21
	;; [unrolled: 1-line block ×11, first 2 shown]
	v_lshrrev_b32_e32 v97, 16, v81
	v_lshrrev_b32_e32 v101, 16, v85
	v_cndmask_b32_e64 v99, v106, v96, s23
	v_cndmask_b32_e64 v102, v110, v100, s23
	;; [unrolled: 1-line block ×7, first 2 shown]
	v_lshrrev_b32_e32 v105, 16, v89
	v_cndmask_b32_e64 v80, v80, v104, s6
	v_cndmask_b32_e64 v84, v84, v81, s7
	v_cndmask_b32_e64 v90, v90, v85, s7
	v_cndmask_b32_e64 v96, v99, v81, s26
	v_cndmask_b32_e64 v99, v102, v85, s26
	v_cndmask_b32_e64 v81, v83, v89, s25
	v_cndmask_b32_e64 v85, v94, v97, s30
	v_cndmask_b32_e64 v78, v78, v97, s29
	v_cndmask_b32_e64 v79, v79, v101, s29
	v_cndmask_b32_e64 v95, v95, v101, s30
	v_cndmask_b32_e64 v80, v80, v89, s7
	v_cndmask_b32_e64 v83, v84, v97, s8
	v_cndmask_b32_e64 v84, v90, v101, s8
	v_cndmask_b32_e64 v90, v96, v97, s28
	v_cndmask_b32_e64 v94, v99, v101, s28
	v_cndmask_b32_e64 v97, v81, v105, s30
	v_perm_b32 v81, v79, v78, 0x5040100
	v_perm_b32 v79, v95, v85, 0x5040100
	v_cndmask_b32_e64 v78, v119, v91, s15
	v_cndmask_b32_e64 v85, v117, v91, s12
	;; [unrolled: 1-line block ×3, first 2 shown]
	v_perm_b32 v80, v94, v90, 0x5040100
	v_cndmask_b32_e64 v90, v98, v103, s17
	v_cndmask_b32_e64 v86, v86, v103, s18
	v_cndmask_b32_e64 v87, v87, v107, s18
	v_cndmask_b32_e64 v78, v78, v107, s17
	v_cndmask_b32_e64 v85, v85, v107, s13
	v_lshrrev_b32_e32 v108, 16, v92
	v_cndmask_b32_e64 v90, v90, v88, s21
	v_cndmask_b32_e64 v86, v86, v88, s22
	;; [unrolled: 1-line block ×11, first 2 shown]
	v_lshrrev_b32_e32 v109, 16, v93
	v_cndmask_b32_e64 v82, v82, v93, s7
	v_cndmask_b32_e64 v88, v88, v89, s26
	;; [unrolled: 1-line block ×12, first 2 shown]
	v_perm_b32 v78, v84, v83, 0x5040100
	v_perm_b32 v85, v87, v86, 0x5040100
	;; [unrolled: 1-line block ×5, first 2 shown]
	s_mul_i32 s8, s33, 13
	s_mov_b32 s3, exec_lo
	ds_store_b128 v74, v[78:81]
	ds_store_b128 v74, v[82:85] offset:1024
	v_cmpx_gt_u32_e32 13, v0
	s_cbranch_execz .LBB1258_14
; %bb.13:
	s_mul_i32 s4, s8, s34
	s_delay_alu instid0(SALU_CYCLE_1) | instskip(SKIP_1) | instid1(VALU_DEP_1)
	v_add3_u32 v68, s4, s31, v68
	s_load_b128 s[4:7], s[0:1], 0x58
	v_mad_u64_u32 v[78:79], null, v68, s35, s[14:15]
	s_delay_alu instid0(VALU_DEP_1) | instskip(NEXT) | instid1(VALU_DEP_1)
	v_ashrrev_i32_e32 v79, 31, v78
	v_lshlrev_b64 v[78:79], 2, v[78:79]
	s_waitcnt lgkmcnt(0)
	s_delay_alu instid0(VALU_DEP_1) | instskip(NEXT) | instid1(VALU_DEP_2)
	v_add_co_u32 v80, vcc_lo, s6, v78
	v_add_co_ci_u32_e32 v81, vcc_lo, s7, v79, vcc_lo
	v_add_co_u32 v78, vcc_lo, s4, v78
	v_add_co_ci_u32_e32 v79, vcc_lo, s5, v79, vcc_lo
	global_store_b32 v[80:81], v76, off
	global_store_b32 v[78:79], v77, off
.LBB1258_14:
	s_or_b32 exec_lo, exec_lo, s3
	s_waitcnt lgkmcnt(0)
	s_waitcnt_vscnt null, 0x0
	s_barrier
	buffer_gl0_inv
	ds_load_b128 v[84:87], v73
	ds_load_b128 v[88:91], v73 offset:16
	ds_load_b128 v[96:99], v73 offset:2064
	ds_load_b128 v[92:95], v73 offset:2048
	ds_load_b128 v[104:107], v73 offset:4112
	ds_load_b128 v[100:103], v73 offset:4096
	v_cmp_eq_u32_e32 vcc_lo, 1, v70
	v_mov_b32_e32 v76, 0
	ds_load_b128 v[112:115], v73 offset:6160
	ds_load_b128 v[108:111], v73 offset:6144
	;; [unrolled: 1-line block ×4, first 2 shown]
	v_cmp_eq_u32_e64 s4, 1, v69
	v_cmp_eq_u32_e64 s3, 1, v72
	;; [unrolled: 1-line block ×3, first 2 shown]
	v_mov_b32_e32 v77, v76
	v_mov_b32_e32 v78, v76
	;; [unrolled: 1-line block ×7, first 2 shown]
	v_cmp_eq_u32_e64 s6, 3, v72
	v_cmp_eq_u32_e64 s7, 7, v72
	s_waitcnt lgkmcnt(8)
	s_delay_alu instid0(VALU_DEP_3)
	v_wmma_f32_16x16x16_f16 v[76:83], v[49:56], v[84:91], v[76:83]
	ds_load_b128 v[53:56], v73 offset:10256
	ds_load_b128 v[49:52], v73 offset:10240
	s_waitcnt lgkmcnt(8)
	v_wmma_f32_16x16x16_f16 v[76:83], v[41:48], v[92:99], v[76:83]
	ds_load_b128 v[45:48], v73 offset:12304
	ds_load_b128 v[41:44], v73 offset:12288
	s_waitcnt lgkmcnt(8)
	;; [unrolled: 4-line block ×3, first 2 shown]
	s_barrier
	buffer_gl0_inv
	v_wmma_f32_16x16x16_f16 v[76:83], v[1:8], v[108:115], v[76:83]
	s_delay_alu instid0(VALU_DEP_1) | instskip(NEXT) | instid1(VALU_DEP_1)
	v_wmma_f32_16x16x16_f16 v[76:83], v[9:16], v[116:123], v[76:83]
	v_wmma_f32_16x16x16_f16 v[76:83], v[17:24], v[49:56], v[76:83]
	s_delay_alu instid0(VALU_DEP_1) | instskip(NEXT) | instid1(VALU_DEP_1)
	v_wmma_f32_16x16x16_f16 v[76:83], v[25:32], v[41:48], v[76:83]
	v_wmma_f32_16x16x16_f16 v[76:83], v[57:64], v[33:40], v[76:83]
	s_delay_alu instid0(VALU_DEP_1) | instskip(NEXT) | instid1(VALU_DEP_2)
	v_cvt_f16_f32_e32 v1, v76
	v_cvt_f16_f32_e32 v2, v77
	s_delay_alu instid0(VALU_DEP_3) | instskip(NEXT) | instid1(VALU_DEP_4)
	v_cvt_f16_f32_e32 v3, v78
	v_cvt_f16_f32_e32 v4, v79
	;; [unrolled: 1-line block ×6, first 2 shown]
	v_pack_b32_f16 v1, v1, v2
	v_pack_b32_f16 v2, v3, v4
	v_pack_b32_f16 v3, v5, v6
	s_delay_alu instid0(VALU_DEP_4)
	v_pack_b32_f16 v4, v7, v8
	ds_store_b128 v74, v[1:4]
	s_waitcnt lgkmcnt(0)
	s_barrier
	buffer_gl0_inv
	ds_load_b128 v[1:4], v75
	ds_load_b128 v[5:8], v75 offset:16
	s_waitcnt lgkmcnt(1)
	v_lshrrev_b32_e32 v9, 16, v1
	s_waitcnt lgkmcnt(0)
	v_lshrrev_b32_e32 v13, 16, v5
	v_lshrrev_b32_e32 v10, 16, v2
	;; [unrolled: 1-line block ×4, first 2 shown]
	v_cndmask_b32_e32 v17, v1, v9, vcc_lo
	v_cndmask_b32_e32 v18, v5, v13, vcc_lo
	v_cndmask_b32_e64 v21, v1, v9, s4
	v_cmp_eq_u32_e32 vcc_lo, 1, v71
	v_cndmask_b32_e64 v22, v5, v13, s4
	v_cmp_eq_u32_e64 s4, 2, v70
	v_cndmask_b32_e64 v19, v1, v9, s3
	v_cndmask_b32_e64 v20, v5, v13, s3
	v_cndmask_b32_e32 v1, v1, v9, vcc_lo
	v_cmp_eq_u32_e64 s3, 2, v71
	v_cndmask_b32_e32 v5, v5, v13, vcc_lo
	v_cndmask_b32_e64 v9, v17, v2, s4
	v_cmp_eq_u32_e32 vcc_lo, 3, v70
	v_cndmask_b32_e64 v13, v18, v6, s4
	v_cmp_eq_u32_e64 s4, 2, v69
	v_cndmask_b32_e64 v17, v19, v2, s5
	v_cndmask_b32_e64 v18, v20, v6, s5
	v_cmp_eq_u32_e64 s5, 3, v69
	v_cndmask_b32_e64 v1, v1, v2, s3
	v_cndmask_b32_e64 v19, v21, v2, s4
	;; [unrolled: 1-line block ×4, first 2 shown]
	v_cndmask_b32_e32 v5, v9, v10, vcc_lo
	v_cndmask_b32_e32 v6, v13, v14, vcc_lo
	v_cmp_eq_u32_e32 vcc_lo, 3, v71
	v_cndmask_b32_e64 v9, v17, v10, s6
	v_cndmask_b32_e64 v13, v18, v14, s6
	;; [unrolled: 1-line block ×3, first 2 shown]
	v_cmp_eq_u32_e64 s4, 4, v70
	v_cndmask_b32_e32 v1, v1, v10, vcc_lo
	v_cndmask_b32_e32 v2, v2, v14, vcc_lo
	v_cmp_eq_u32_e32 vcc_lo, 4, v72
	v_lshrrev_b32_e32 v15, 16, v7
	v_lshrrev_b32_e32 v16, 16, v8
	v_cndmask_b32_e64 v17, v19, v10, s5
	v_cmp_eq_u32_e64 s3, 4, v71
	v_cndmask_b32_e64 v5, v5, v3, s4
	v_cndmask_b32_e64 v6, v6, v7, s4
	v_cndmask_b32_e32 v9, v9, v3, vcc_lo
	v_cmp_eq_u32_e64 s4, 5, v72
	v_cndmask_b32_e32 v10, v13, v7, vcc_lo
	v_cmp_eq_u32_e32 vcc_lo, 4, v69
	v_cmp_eq_u32_e64 s5, 5, v70
	v_cndmask_b32_e64 v2, v2, v7, s3
	v_cndmask_b32_e64 v9, v9, v11, s4
	;; [unrolled: 1-line block ×3, first 2 shown]
	v_cndmask_b32_e32 v13, v17, v3, vcc_lo
	v_cmp_eq_u32_e64 s4, 5, v69
	v_cndmask_b32_e32 v14, v18, v7, vcc_lo
	v_cndmask_b32_e64 v1, v1, v3, s3
	v_cmp_eq_u32_e32 vcc_lo, 5, v71
	v_lshrrev_b32_e32 v12, 16, v4
	v_cndmask_b32_e64 v13, v13, v11, s4
	v_cndmask_b32_e64 v3, v14, v15, s4
	v_cmp_eq_u32_e64 s4, 6, v71
	v_cndmask_b32_e32 v1, v1, v11, vcc_lo
	v_cndmask_b32_e64 v5, v5, v11, s5
	v_cmp_eq_u32_e64 s6, 6, v70
	v_cndmask_b32_e64 v6, v6, v15, s5
	v_cmp_eq_u32_e64 s5, 6, v72
	v_cmp_eq_u32_e64 s3, 6, v69
	v_cndmask_b32_e64 v1, v1, v4, s4
	v_cndmask_b32_e32 v2, v2, v15, vcc_lo
	v_cmp_eq_u32_e32 vcc_lo, 7, v71
	v_cndmask_b32_e64 v5, v5, v4, s6
	v_cndmask_b32_e64 v9, v9, v4, s5
	;; [unrolled: 1-line block ×3, first 2 shown]
	v_cmp_eq_u32_e64 s6, 7, v70
	v_cndmask_b32_e32 v1, v1, v12, vcc_lo
	v_cndmask_b32_e64 v7, v13, v4, s3
	v_cndmask_b32_e64 v3, v3, v8, s3
	v_cndmask_b32_e64 v2, v2, v8, s4
	v_cmp_eq_u32_e64 s3, 7, v69
	v_cndmask_b32_e64 v4, v10, v8, s5
	v_cndmask_b32_e64 v5, v5, v12, s6
	;; [unrolled: 1-line block ×3, first 2 shown]
	v_cndmask_b32_e32 v2, v2, v16, vcc_lo
	v_cndmask_b32_e64 v7, v7, v12, s3
	v_cndmask_b32_e64 v3, v3, v16, s3
	v_cndmask_b32_e64 v8, v4, v16, s7
	v_cndmask_b32_e64 v6, v6, v16, s6
	v_perm_b32 v4, v2, v1, 0x5040100
	s_mov_b32 s3, exec_lo
	v_perm_b32 v3, v3, v7, 0x5040100
	v_perm_b32 v2, v8, v9, 0x5040100
	;; [unrolled: 1-line block ×3, first 2 shown]
	ds_store_b128 v74, v[1:4]
	s_waitcnt lgkmcnt(0)
	s_barrier
	buffer_gl0_inv
	v_cmpx_gt_u32_e32 32, v0
	s_cbranch_execz .LBB1258_2
; %bb.15:
	s_load_b64 s[4:5], s[0:1], 0x68
	v_lshlrev_b32_e32 v0, 10, v0
	v_lshlrev_b32_e32 v1, 4, v67
	s_lshl_b32 s0, s35, 7
	v_add_nc_u32_e32 v18, s31, v66
	s_mul_i32 s1, s0, s34
	s_delay_alu instid0(VALU_DEP_2) | instskip(SKIP_1) | instid1(VALU_DEP_2)
	v_and_or_b32 v0, 0x3800, v0, v1
	s_mul_i32 s6, s1, s8
	v_mul_lo_u32 v1, v18, s0
	s_ashr_i32 s7, s6, 31
	v_add_nc_u32_e32 v2, 2, v18
	v_lshl_or_b32 v19, v66, 6, v0
	s_lshl_b64 s[6:7], s[6:7], 1
	v_add_nc_u32_e32 v8, 4, v18
	v_add_nc_u32_e32 v15, 6, v18
	v_mul_lo_u32 v7, v2, s0
	ds_load_b128 v[3:6], v19
	v_ashrrev_i32_e32 v2, 31, v1
	v_mul_lo_u32 v11, v8, s0
	s_waitcnt lgkmcnt(0)
	s_add_u32 s1, s4, s6
	s_addc_u32 s3, s5, s7
	s_lshl_b32 s4, s14, 7
	v_lshlrev_b64 v[9:10], 1, v[1:2]
	s_ashr_i32 s5, s4, 31
	v_ashrrev_i32_e32 v8, 31, v7
	s_lshl_b64 s[4:5], s[4:5], 1
	v_ashrrev_i32_e32 v12, 31, v11
	s_add_u32 s1, s1, s4
	s_addc_u32 s3, s3, s5
	v_add_co_u32 v1, s1, s1, v65
	s_delay_alu instid0(VALU_DEP_1) | instskip(SKIP_1) | instid1(VALU_DEP_3)
	v_add_co_ci_u32_e64 v2, null, s3, 0, s1
	v_mul_lo_u32 v15, v15, s0
	v_add_co_u32 v13, vcc_lo, v1, v9
	s_delay_alu instid0(VALU_DEP_3)
	v_add_co_ci_u32_e32 v14, vcc_lo, v2, v10, vcc_lo
	v_lshlrev_b64 v[16:17], 1, v[7:8]
	ds_load_b128 v[7:10], v19 offset:128
	global_store_b128 v[13:14], v[3:6], off
	v_add_nc_u32_e32 v5, 8, v18
	v_lshlrev_b64 v[3:4], 1, v[11:12]
	v_add_co_u32 v23, vcc_lo, v1, v16
	v_ashrrev_i32_e32 v16, 31, v15
	s_delay_alu instid0(VALU_DEP_4) | instskip(SKIP_3) | instid1(VALU_DEP_3)
	v_mul_lo_u32 v25, v5, s0
	v_add_nc_u32_e32 v5, 10, v18
	v_add_co_ci_u32_e32 v24, vcc_lo, v2, v17, vcc_lo
	v_add_co_u32 v27, vcc_lo, v1, v3
	v_mul_lo_u32 v29, v5, s0
	v_add_co_ci_u32_e32 v28, vcc_lo, v2, v4, vcc_lo
	v_lshlrev_b64 v[31:32], 1, v[15:16]
	ds_load_b128 v[3:6], v19 offset:256
	ds_load_b128 v[11:14], v19 offset:384
	;; [unrolled: 1-line block ×4, first 2 shown]
	v_ashrrev_i32_e32 v26, 31, v25
	v_ashrrev_i32_e32 v30, 31, v29
	v_add_co_u32 v31, vcc_lo, v1, v31
	s_delay_alu instid0(VALU_DEP_3) | instskip(SKIP_1) | instid1(VALU_DEP_4)
	v_lshlrev_b64 v[25:26], 1, v[25:26]
	v_add_co_ci_u32_e32 v32, vcc_lo, v2, v32, vcc_lo
	v_lshlrev_b64 v[29:30], 1, v[29:30]
	s_delay_alu instid0(VALU_DEP_3) | instskip(NEXT) | instid1(VALU_DEP_4)
	v_add_co_u32 v25, vcc_lo, v1, v25
	v_add_co_ci_u32_e32 v26, vcc_lo, v2, v26, vcc_lo
	s_delay_alu instid0(VALU_DEP_3) | instskip(NEXT) | instid1(VALU_DEP_4)
	v_add_co_u32 v29, vcc_lo, v1, v29
	v_add_co_ci_u32_e32 v30, vcc_lo, v2, v30, vcc_lo
	s_waitcnt lgkmcnt(4)
	global_store_b128 v[23:24], v[7:10], off
	s_waitcnt lgkmcnt(3)
	global_store_b128 v[27:28], v[3:6], off
	;; [unrolled: 2-line block ×5, first 2 shown]
	s_and_b32 exec_lo, exec_lo, s2
	s_cbranch_execz .LBB1258_2
; %bb.16:
	ds_load_b128 v[3:6], v0 offset:768
	s_add_i32 s1, s31, 12
	s_delay_alu instid0(SALU_CYCLE_1) | instskip(NEXT) | instid1(SALU_CYCLE_1)
	s_mul_i32 s0, s1, s0
	s_ashr_i32 s1, s0, 31
	s_delay_alu instid0(SALU_CYCLE_1) | instskip(NEXT) | instid1(SALU_CYCLE_1)
	s_lshl_b64 s[0:1], s[0:1], 1
	v_add_co_u32 v0, vcc_lo, v1, s0
	v_add_co_ci_u32_e32 v1, vcc_lo, s1, v2, vcc_lo
	s_waitcnt lgkmcnt(0)
	global_store_b128 v[0:1], v[3:6], off
	s_nop 0
	s_sendmsg sendmsg(MSG_DEALLOC_VGPRS)
	s_endpgm
	.section	.rodata,"a",@progbits
	.p2align	6, 0x0
	.amdhsa_kernel _Z39paged_attention_ll4mi_QKV_mfma16_kernelIDF16_hLN4vllm18Fp8KVCacheDataTypeE1EDF16_Li16ELi128ELi256ELb1ELi13EL8MFMAType0EEvPKT_PKT0_S8_ifPKiSA_SA_iPKfiiiPfSD_PS3_PT2_iSC_SC_
		.amdhsa_group_segment_fixed_size 17472
		.amdhsa_private_segment_fixed_size 0
		.amdhsa_kernarg_size 400
		.amdhsa_user_sgpr_count 13
		.amdhsa_user_sgpr_dispatch_ptr 0
		.amdhsa_user_sgpr_queue_ptr 0
		.amdhsa_user_sgpr_kernarg_segment_ptr 1
		.amdhsa_user_sgpr_dispatch_id 0
		.amdhsa_user_sgpr_private_segment_size 0
		.amdhsa_wavefront_size32 1
		.amdhsa_uses_dynamic_stack 0
		.amdhsa_enable_private_segment 0
		.amdhsa_system_sgpr_workgroup_id_x 1
		.amdhsa_system_sgpr_workgroup_id_y 1
		.amdhsa_system_sgpr_workgroup_id_z 1
		.amdhsa_system_sgpr_workgroup_info 0
		.amdhsa_system_vgpr_workitem_id 0
		.amdhsa_next_free_vgpr 150
		.amdhsa_next_free_sgpr 36
		.amdhsa_reserve_vcc 1
		.amdhsa_float_round_mode_32 0
		.amdhsa_float_round_mode_16_64 0
		.amdhsa_float_denorm_mode_32 3
		.amdhsa_float_denorm_mode_16_64 3
		.amdhsa_dx10_clamp 1
		.amdhsa_ieee_mode 1
		.amdhsa_fp16_overflow 0
		.amdhsa_workgroup_processor_mode 1
		.amdhsa_memory_ordered 1
		.amdhsa_forward_progress 0
		.amdhsa_shared_vgpr_count 0
		.amdhsa_exception_fp_ieee_invalid_op 0
		.amdhsa_exception_fp_denorm_src 0
		.amdhsa_exception_fp_ieee_div_zero 0
		.amdhsa_exception_fp_ieee_overflow 0
		.amdhsa_exception_fp_ieee_underflow 0
		.amdhsa_exception_fp_ieee_inexact 0
		.amdhsa_exception_int_div_zero 0
	.end_amdhsa_kernel
	.section	.text._Z39paged_attention_ll4mi_QKV_mfma16_kernelIDF16_hLN4vllm18Fp8KVCacheDataTypeE1EDF16_Li16ELi128ELi256ELb1ELi13EL8MFMAType0EEvPKT_PKT0_S8_ifPKiSA_SA_iPKfiiiPfSD_PS3_PT2_iSC_SC_,"axG",@progbits,_Z39paged_attention_ll4mi_QKV_mfma16_kernelIDF16_hLN4vllm18Fp8KVCacheDataTypeE1EDF16_Li16ELi128ELi256ELb1ELi13EL8MFMAType0EEvPKT_PKT0_S8_ifPKiSA_SA_iPKfiiiPfSD_PS3_PT2_iSC_SC_,comdat
.Lfunc_end1258:
	.size	_Z39paged_attention_ll4mi_QKV_mfma16_kernelIDF16_hLN4vllm18Fp8KVCacheDataTypeE1EDF16_Li16ELi128ELi256ELb1ELi13EL8MFMAType0EEvPKT_PKT0_S8_ifPKiSA_SA_iPKfiiiPfSD_PS3_PT2_iSC_SC_, .Lfunc_end1258-_Z39paged_attention_ll4mi_QKV_mfma16_kernelIDF16_hLN4vllm18Fp8KVCacheDataTypeE1EDF16_Li16ELi128ELi256ELb1ELi13EL8MFMAType0EEvPKT_PKT0_S8_ifPKiSA_SA_iPKfiiiPfSD_PS3_PT2_iSC_SC_
                                        ; -- End function
	.section	.AMDGPU.csdata,"",@progbits
; Kernel info:
; codeLenInByte = 6852
; NumSgprs: 38
; NumVgprs: 150
; ScratchSize: 0
; MemoryBound: 0
; FloatMode: 240
; IeeeMode: 1
; LDSByteSize: 17472 bytes/workgroup (compile time only)
; SGPRBlocks: 4
; VGPRBlocks: 18
; NumSGPRsForWavesPerEU: 38
; NumVGPRsForWavesPerEU: 150
; Occupancy: 9
; WaveLimiterHint : 1
; COMPUTE_PGM_RSRC2:SCRATCH_EN: 0
; COMPUTE_PGM_RSRC2:USER_SGPR: 13
; COMPUTE_PGM_RSRC2:TRAP_HANDLER: 0
; COMPUTE_PGM_RSRC2:TGID_X_EN: 1
; COMPUTE_PGM_RSRC2:TGID_Y_EN: 1
; COMPUTE_PGM_RSRC2:TGID_Z_EN: 1
; COMPUTE_PGM_RSRC2:TIDIG_COMP_CNT: 0
	.section	.text._Z39paged_attention_ll4mi_QKV_mfma16_kernelIDF16_hLN4vllm18Fp8KVCacheDataTypeE1EDF16_Li16ELi128ELi256ELb1ELi14EL8MFMAType0EEvPKT_PKT0_S8_ifPKiSA_SA_iPKfiiiPfSD_PS3_PT2_iSC_SC_,"axG",@progbits,_Z39paged_attention_ll4mi_QKV_mfma16_kernelIDF16_hLN4vllm18Fp8KVCacheDataTypeE1EDF16_Li16ELi128ELi256ELb1ELi14EL8MFMAType0EEvPKT_PKT0_S8_ifPKiSA_SA_iPKfiiiPfSD_PS3_PT2_iSC_SC_,comdat
	.protected	_Z39paged_attention_ll4mi_QKV_mfma16_kernelIDF16_hLN4vllm18Fp8KVCacheDataTypeE1EDF16_Li16ELi128ELi256ELb1ELi14EL8MFMAType0EEvPKT_PKT0_S8_ifPKiSA_SA_iPKfiiiPfSD_PS3_PT2_iSC_SC_ ; -- Begin function _Z39paged_attention_ll4mi_QKV_mfma16_kernelIDF16_hLN4vllm18Fp8KVCacheDataTypeE1EDF16_Li16ELi128ELi256ELb1ELi14EL8MFMAType0EEvPKT_PKT0_S8_ifPKiSA_SA_iPKfiiiPfSD_PS3_PT2_iSC_SC_
	.globl	_Z39paged_attention_ll4mi_QKV_mfma16_kernelIDF16_hLN4vllm18Fp8KVCacheDataTypeE1EDF16_Li16ELi128ELi256ELb1ELi14EL8MFMAType0EEvPKT_PKT0_S8_ifPKiSA_SA_iPKfiiiPfSD_PS3_PT2_iSC_SC_
	.p2align	8
	.type	_Z39paged_attention_ll4mi_QKV_mfma16_kernelIDF16_hLN4vllm18Fp8KVCacheDataTypeE1EDF16_Li16ELi128ELi256ELb1ELi14EL8MFMAType0EEvPKT_PKT0_S8_ifPKiSA_SA_iPKfiiiPfSD_PS3_PT2_iSC_SC_,@function
_Z39paged_attention_ll4mi_QKV_mfma16_kernelIDF16_hLN4vllm18Fp8KVCacheDataTypeE1EDF16_Li16ELi128ELi256ELb1ELi14EL8MFMAType0EEvPKT_PKT0_S8_ifPKiSA_SA_iPKfiiiPfSD_PS3_PT2_iSC_SC_: ; @_Z39paged_attention_ll4mi_QKV_mfma16_kernelIDF16_hLN4vllm18Fp8KVCacheDataTypeE1EDF16_Li16ELi128ELi256ELb1ELi14EL8MFMAType0EEvPKT_PKT0_S8_ifPKiSA_SA_iPKfiiiPfSD_PS3_PT2_iSC_SC_
; %bb.0:
	s_load_b64 s[4:5], s[0:1], 0x30
	s_mov_b32 s30, s13
	s_waitcnt lgkmcnt(0)
	s_cmp_lg_u64 s[4:5], 0
	s_cselect_b32 s8, -1, 0
	s_ashr_i32 s31, s13, 31
	s_cmp_eq_u64 s[4:5], 0
	s_cbranch_scc1 .LBB1259_3
; %bb.1:
	s_lshl_b64 s[2:3], s[30:31], 2
	s_delay_alu instid0(SALU_CYCLE_1) | instskip(SKIP_4) | instid1(SALU_CYCLE_1)
	s_add_u32 s2, s4, s2
	s_addc_u32 s3, s5, s3
	s_load_b64 s[2:3], s[2:3], 0x0
	s_waitcnt lgkmcnt(0)
	s_sub_i32 s2, s3, s2
	s_cmp_eq_u32 s2, 1
	s_cselect_b32 s2, -1, 0
	s_delay_alu instid0(SALU_CYCLE_1)
	s_and_not1_b32 vcc_lo, exec_lo, s2
	s_cbranch_vccz .LBB1259_4
.LBB1259_2:
	s_endpgm
.LBB1259_3:
.LBB1259_4:
	s_load_b64 s[2:3], s[0:1], 0x28
	s_lshl_b64 s[6:7], s[30:31], 2
	s_waitcnt lgkmcnt(0)
	s_add_u32 s2, s2, s6
	s_addc_u32 s3, s3, s7
	s_lshl_b32 s12, s14, 8
	s_load_b32 s24, s[2:3], 0x0
	s_waitcnt lgkmcnt(0)
	s_cmp_ge_i32 s12, s24
	s_cbranch_scc1 .LBB1259_2
; %bb.5:
	s_clause 0x1
	s_load_b128 s[20:23], s[0:1], 0x8
	s_load_b64 s[2:3], s[0:1], 0x20
	s_and_not1_b32 vcc_lo, exec_lo, s8
	s_cbranch_vccnz .LBB1259_7
; %bb.6:
	s_add_u32 s4, s4, s6
	s_addc_u32 s5, s5, s7
	s_load_b32 s5, s[4:5], 0x0
	s_branch .LBB1259_8
.LBB1259_7:
	s_mov_b32 s5, s30
.LBB1259_8:
	s_load_b128 s[16:19], s[0:1], 0x48
	v_and_b32_e32 v68, 15, v0
	v_lshrrev_b32_e32 v69, 5, v0
	v_and_b32_e32 v70, 31, v0
	v_and_b32_e32 v67, 1, v0
	v_bfe_u32 v66, v0, 4, 1
	v_lshlrev_b32_e32 v1, 3, v68
	s_mul_i32 s31, s15, 14
	s_mov_b32 s4, exec_lo
	s_delay_alu instid0(VALU_DEP_1)
	v_lshlrev_b32_e32 v65, 1, v1
	v_cmpx_gt_u32_e32 0xe0, v0
	s_cbranch_execz .LBB1259_10
; %bb.9:
	s_load_b64 s[6:7], s[0:1], 0x0
	v_lshl_or_b32 v5, v69, 1, v66
	s_waitcnt lgkmcnt(0)
	s_mul_hi_i32 s9, s5, s16
	s_mul_i32 s8, s5, s16
	v_lshlrev_b32_e32 v6, 10, v68
	s_lshl_b64 s[8:9], s[8:9], 1
	v_add_lshl_u32 v1, v5, s31, 7
	v_lshlrev_b32_e32 v5, 6, v5
	v_lshlrev_b32_e32 v7, 10, v67
	v_and_b32_e32 v6, 0x3800, v6
	s_delay_alu instid0(VALU_DEP_4) | instskip(NEXT) | instid1(VALU_DEP_2)
	v_ashrrev_i32_e32 v2, 31, v1
	v_or3_b32 v5, v6, v7, v5
	s_delay_alu instid0(VALU_DEP_2) | instskip(SKIP_2) | instid1(VALU_DEP_1)
	v_lshlrev_b64 v[1:2], 1, v[1:2]
	s_add_u32 s5, s6, s8
	s_addc_u32 s6, s7, s9
	v_add_co_u32 v1, vcc_lo, s5, v1
	s_delay_alu instid0(VALU_DEP_2) | instskip(NEXT) | instid1(VALU_DEP_2)
	v_add_co_ci_u32_e32 v2, vcc_lo, s6, v2, vcc_lo
	v_add_co_u32 v1, vcc_lo, v1, v65
	s_delay_alu instid0(VALU_DEP_2)
	v_add_co_ci_u32_e32 v2, vcc_lo, 0, v2, vcc_lo
	global_load_b128 v[1:4], v[1:2], off
	s_waitcnt vmcnt(0)
	ds_store_b128 v5, v[1:4]
.LBB1259_10:
	s_or_b32 exec_lo, exec_lo, s4
	v_and_b32_e32 v1, 0xef, v0
	s_waitcnt lgkmcnt(0)
	s_add_i32 s5, s24, 15
	s_clause 0x1
	s_load_b32 s4, s[0:1], 0x38
	s_load_b32 s33, s[0:1], 0x98
	s_ashr_i32 s6, s5, 31
	v_add_nc_u32_e32 v1, s12, v1
	s_lshr_b32 s6, s6, 28
	s_load_b32 s19, s[0:1], 0x1c
	s_add_i32 s5, s5, s6
	s_waitcnt lgkmcnt(0)
	v_ashrrev_i32_e32 v2, 31, v1
	v_or_b32_e32 v3, 16, v1
	s_ashr_i32 s13, s5, 4
	v_cmp_gt_i32_e32 vcc_lo, s24, v1
	s_add_i32 s13, s13, -1
	v_lshrrev_b32_e32 v2, 28, v2
	s_barrier
	buffer_gl0_inv
	s_mul_i32 s15, s15, s18
	v_add_nc_u32_e32 v4, v1, v2
	s_mul_i32 s4, s30, s4
	s_delay_alu instid0(SALU_CYCLE_1) | instskip(NEXT) | instid1(VALU_DEP_1)
	s_ashr_i32 s5, s4, 31
	v_ashrrev_i32_e32 v4, 4, v4
	v_add_nc_u32_e32 v2, v3, v2
	s_lshl_b64 s[4:5], s[4:5], 2
	s_delay_alu instid0(SALU_CYCLE_1) | instskip(NEXT) | instid1(VALU_DEP_2)
	s_add_u32 s16, s2, s4
	v_cndmask_b32_e32 v1, s13, v4, vcc_lo
	s_delay_alu instid0(VALU_DEP_2)
	v_ashrrev_i32_e32 v2, 4, v2
	v_cmp_gt_i32_e32 vcc_lo, s24, v3
	s_addc_u32 s25, s3, s5
	s_ashr_i32 s18, s15, 31
	s_add_u32 s26, s20, s15
	s_addc_u32 s27, s21, s18
	v_cndmask_b32_e32 v3, s13, v2, vcc_lo
	v_ashrrev_i32_e32 v2, 31, v1
	s_lshl_b32 s2, s14, 4
	s_delay_alu instid0(SALU_CYCLE_1) | instskip(NEXT) | instid1(VALU_DEP_2)
	s_ashr_i32 s3, s2, 31
	v_ashrrev_i32_e32 v4, 31, v3
	s_delay_alu instid0(VALU_DEP_2) | instskip(SKIP_1) | instid1(SALU_CYCLE_1)
	v_lshlrev_b64 v[1:2], 2, v[1:2]
	s_lshl_b64 s[2:3], s[2:3], 2
	s_add_u32 s2, s16, s2
	s_delay_alu instid0(VALU_DEP_2) | instskip(SKIP_1) | instid1(VALU_DEP_2)
	v_lshlrev_b64 v[3:4], 2, v[3:4]
	s_addc_u32 s3, s25, s3
	v_add_co_u32 v1, vcc_lo, s16, v1
	v_add_co_ci_u32_e32 v2, vcc_lo, s25, v2, vcc_lo
	s_delay_alu instid0(VALU_DEP_3) | instskip(NEXT) | instid1(VALU_DEP_4)
	v_add_co_u32 v3, vcc_lo, s16, v3
	v_add_co_ci_u32_e32 v4, vcc_lo, s25, v4, vcc_lo
	s_clause 0x1
	global_load_b32 v5, v[1:2], off
	global_load_b32 v7, v[3:4], off
	s_or_b32 s4, s12, 32
	v_lshlrev_b32_e32 v1, 4, v0
	s_ashr_i32 s5, s4, 4
	s_cmp_lt_i32 s4, s24
	v_cmp_gt_u32_e32 vcc_lo, 14, v68
	s_cselect_b32 s4, s5, s13
	v_and_b32_e32 v1, 0xf0, v1
	s_ashr_i32 s5, s4, 31
	s_delay_alu instid0(SALU_CYCLE_1) | instskip(NEXT) | instid1(SALU_CYCLE_1)
	s_lshl_b64 s[4:5], s[4:5], 2
	s_add_u32 s4, s16, s4
	s_addc_u32 s5, s25, s5
	s_or_b32 s6, s12, 64
	v_add_co_u32 v1, s26, s26, v1
	s_ashr_i32 s7, s6, 4
	s_cmp_lt_i32 s6, s24
	v_add_co_ci_u32_e64 v2, null, s27, 0, s26
	s_cselect_b32 s6, s7, s13
	s_delay_alu instid0(SALU_CYCLE_1) | instskip(NEXT) | instid1(SALU_CYCLE_1)
	s_ashr_i32 s7, s6, 31
	s_lshl_b64 s[6:7], s[6:7], 2
	s_delay_alu instid0(SALU_CYCLE_1) | instskip(SKIP_2) | instid1(SALU_CYCLE_1)
	s_add_u32 s6, s16, s6
	s_addc_u32 s7, s25, s7
	s_or_b32 s8, s12, 0x60
	s_ashr_i32 s9, s8, 4
	s_cmp_lt_i32 s8, s24
	s_cselect_b32 s8, s9, s13
	s_delay_alu instid0(SALU_CYCLE_1) | instskip(NEXT) | instid1(SALU_CYCLE_1)
	s_ashr_i32 s9, s8, 31
	s_lshl_b64 s[8:9], s[8:9], 2
	s_delay_alu instid0(SALU_CYCLE_1) | instskip(SKIP_2) | instid1(SALU_CYCLE_1)
	s_add_u32 s8, s16, s8
	s_addc_u32 s9, s25, s9
	s_or_b32 s10, s12, 0x80
	s_ashr_i32 s11, s10, 4
	s_cmp_lt_i32 s10, s24
	;; [unrolled: 10-line block ×3, first 2 shown]
	s_cselect_b32 s20, s21, s13
	s_delay_alu instid0(SALU_CYCLE_1) | instskip(NEXT) | instid1(SALU_CYCLE_1)
	s_ashr_i32 s21, s20, 31
	s_lshl_b64 s[20:21], s[20:21], 2
	s_delay_alu instid0(SALU_CYCLE_1)
	s_add_u32 s20, s16, s20
	s_addc_u32 s21, s25, s21
	s_clause 0x5
	s_load_b32 s26, s[2:3], 0x0
	s_load_b32 s27, s[4:5], 0x0
	s_load_b32 s28, s[6:7], 0x0
	s_load_b32 s29, s[8:9], 0x0
	s_load_b32 s34, s[10:11], 0x0
	s_load_b32 s35, s[20:21], 0x0
	s_or_b32 s2, s12, 0xc0
	s_mov_b32 s4, 0
	s_ashr_i32 s3, s2, 4
	s_cmp_lt_i32 s2, s24
	s_mov_b32 s11, s4
	s_cselect_b32 s2, s3, s13
	s_mov_b32 s5, s4
	s_ashr_i32 s3, s2, 31
	s_mov_b32 s6, s4
	s_lshl_b64 s[2:3], s[2:3], 2
	s_mov_b32 s7, s4
	s_add_u32 s2, s16, s2
	s_addc_u32 s3, s25, s3
	s_or_b32 s20, s12, 0xe0
	s_mov_b32 s8, s4
	s_ashr_i32 s21, s20, 4
	s_cmp_lt_i32 s20, s24
	s_mov_b32 s9, s4
	s_cselect_b32 s20, s21, s13
	s_mov_b32 s10, s4
	s_ashr_i32 s21, s20, 31
	v_mov_b32_e32 v118, s11
	v_dual_mov_b32 v112, s5 :: v_dual_mov_b32 v117, s10
	v_dual_mov_b32 v116, s9 :: v_dual_mov_b32 v115, s8
	;; [unrolled: 1-line block ×3, first 2 shown]
	v_mov_b32_e32 v111, s4
	s_lshl_b64 s[4:5], s[20:21], 2
	s_delay_alu instid0(SALU_CYCLE_1)
	s_add_u32 s4, s16, s4
	s_addc_u32 s5, s25, s5
	s_add_u32 s6, s22, s15
	s_addc_u32 s7, s23, s18
	s_waitcnt vmcnt(1)
	v_mad_i64_i32 v[3:4], null, v5, s17, v[1:2]
	s_waitcnt vmcnt(0)
	v_mad_i64_i32 v[5:6], null, v7, s17, v[1:2]
	v_add_nc_u32_e32 v1, -14, v68
	v_lshlrev_b32_e32 v2, 4, v68
	s_clause 0xf
	global_load_b128 v[17:20], v[3:4], off
	global_load_b128 v[21:24], v[3:4], off offset:256
	global_load_b128 v[25:28], v[5:6], off
	global_load_b128 v[29:32], v[5:6], off offset:256
	global_load_b128 v[57:60], v[3:4], off offset:512
	;; [unrolled: 1-line block ×13, first 2 shown]
	v_cndmask_b32_e32 v1, v1, v68, vcc_lo
	s_delay_alu instid0(VALU_DEP_1)
	v_lshlrev_b32_e32 v149, 6, v1
	v_lshl_or_b32 v1, v69, 8, v2
	ds_load_b128 v[119:122], v149
	ds_load_b128 v[123:126], v149 offset:1024
	ds_load_b128 v[127:130], v149 offset:2048
	;; [unrolled: 1-line block ×3, first 2 shown]
	s_clause 0x1
	s_load_b32 s2, s[2:3], 0x0
	s_load_b32 s3, s[4:5], 0x0
	v_add_co_u32 v135, s6, s6, v1
	s_delay_alu instid0(VALU_DEP_1) | instskip(SKIP_1) | instid1(VALU_DEP_1)
	v_add_co_ci_u32_e64 v136, null, s7, 0, s6
	s_waitcnt lgkmcnt(0)
	v_mad_i64_i32 v[1:2], null, s26, s17, v[135:136]
	v_mad_i64_i32 v[3:4], null, s27, s17, v[135:136]
	v_mad_i64_i32 v[5:6], null, s28, s17, v[135:136]
	v_mad_i64_i32 v[7:8], null, s29, s17, v[135:136]
	v_mad_i64_i32 v[143:144], null, s35, s17, v[135:136]
	v_mad_i64_i32 v[13:14], null, s34, s17, v[135:136]
	s_clause 0x9
	global_load_b128 v[49:52], v[1:2], off
	global_load_b128 v[53:56], v[1:2], off offset:16
	global_load_b128 v[41:44], v[3:4], off
	global_load_b128 v[45:48], v[3:4], off offset:16
	;; [unrolled: 2-line block ×5, first 2 shown]
	v_mad_i64_i32 v[145:146], null, s2, s17, v[135:136]
	v_mad_i64_i32 v[147:148], null, s3, s17, v[135:136]
	s_waitcnt vmcnt(24)
	v_wmma_f32_16x16x16_f16 v[135:142], v[17:24], v[119:126], v[111:118]
	s_waitcnt vmcnt(22)
	v_wmma_f32_16x16x16_f16 v[111:118], v[25:32], v[119:126], v[111:118]
	s_clause 0x3
	global_load_b128 v[17:20], v[143:144], off
	global_load_b128 v[21:24], v[143:144], off offset:16
	global_load_b128 v[25:28], v[145:146], off
	global_load_b128 v[29:32], v[145:146], off offset:16
	v_and_b32_e32 v119, 0xe0, v0
	s_waitcnt vmcnt(24)
	v_wmma_f32_16x16x16_f16 v[135:142], v[57:64], v[127:134], v[135:142]
	s_clause 0x1
	global_load_b128 v[57:60], v[147:148], off
	global_load_b128 v[61:64], v[147:148], off offset:16
	s_waitcnt vmcnt(24)
	v_wmma_f32_16x16x16_f16 v[111:118], v[71:78], v[127:134], v[111:118]
	ds_load_b128 v[71:74], v149 offset:4096
	ds_load_b128 v[75:78], v149 offset:5120
	v_add_nc_u32_e32 v128, s12, v119
	ds_load_b128 v[119:122], v149 offset:6144
	ds_load_b128 v[123:126], v149 offset:7168
	v_mbcnt_lo_u32_b32 v127, -1, 0
	s_waitcnt vmcnt(0) lgkmcnt(0)
	s_barrier
	v_or_b32_e32 v128, v128, v66
	buffer_gl0_inv
	v_xor_b32_e32 v129, 16, v127
	v_or_b32_e32 v130, 4, v128
	v_or_b32_e32 v131, 6, v128
	s_delay_alu instid0(VALU_DEP_3) | instskip(SKIP_4) | instid1(VALU_DEP_4)
	v_cmp_gt_i32_e32 vcc_lo, 32, v129
	v_or_b32_e32 v132, 8, v128
	v_or_b32_e32 v133, 10, v128
	v_cmp_gt_i32_e64 s3, s24, v130
	v_cmp_gt_i32_e64 s4, s24, v131
	v_cmp_gt_i32_e64 s5, s24, v132
	v_wmma_f32_16x16x16_f16 v[135:142], v[79:86], v[71:78], v[135:142]
	v_wmma_f32_16x16x16_f16 v[111:118], v[87:94], v[71:78], v[111:118]
	v_or_b32_e32 v79, 12, v128
	v_or_b32_e32 v80, 14, v128
	v_cmp_gt_i32_e64 s6, s24, v133
	v_wmma_f32_16x16x16_f16 v[135:142], v[95:102], v[119:126], v[135:142]
	v_wmma_f32_16x16x16_f16 v[111:118], v[103:110], v[119:126], v[111:118]
	v_cndmask_b32_e32 v127, v127, v129, vcc_lo
	v_or_b32_e32 v129, 2, v128
	v_cmp_gt_i32_e32 vcc_lo, s24, v128
	v_mul_f32_e32 v88, s19, v135
	v_dual_mul_f32 v92, s19, v115 :: v_dual_mul_f32 v87, s19, v136
	s_delay_alu instid0(VALU_DEP_4)
	v_cmp_gt_i32_e64 s2, s24, v129
	v_mul_f32_e32 v78, s19, v138
	v_mul_f32_e32 v86, s19, v137
	v_cndmask_b32_e32 v88, 0xff7fffff, v88, vcc_lo
	v_mul_f32_e32 v76, s19, v140
	v_cndmask_b32_e64 v87, 0xff7fffff, v87, s2
	v_dual_mul_f32 v77, s19, v139 :: v_dual_mul_f32 v94, s19, v113
	v_cndmask_b32_e64 v86, 0xff7fffff, v86, s3
	v_cndmask_b32_e64 v78, 0xff7fffff, v78, s4
	s_delay_alu instid0(VALU_DEP_4)
	v_max3_f32 v87, v88, 0xff7fffff, v87
	v_or_b32_e32 v81, 16, v128
	v_or_b32_e32 v82, 18, v128
	v_dual_mul_f32 v74, s19, v142 :: v_dual_mul_f32 v75, s19, v141
	v_mul_f32_e32 v96, s19, v111
	v_cndmask_b32_e64 v77, 0xff7fffff, v77, s5
	v_cndmask_b32_e64 v76, 0xff7fffff, v76, s6
	v_max3_f32 v78, v87, v86, v78
	v_cmp_gt_i32_e64 s7, s24, v79
	v_cmp_gt_i32_e64 s8, s24, v80
	v_or_b32_e32 v83, 20, v128
	v_or_b32_e32 v84, 22, v128
	v_mul_f32_e32 v95, s19, v112
	v_cndmask_b32_e64 v75, 0xff7fffff, v75, s7
	v_cndmask_b32_e64 v74, 0xff7fffff, v74, s8
	v_max3_f32 v76, v78, v77, v76
	v_cmp_gt_i32_e64 s9, s24, v81
	v_cmp_gt_i32_e64 s10, s24, v82
	v_or_b32_e32 v85, 24, v128
	v_or_b32_e32 v71, 26, v128
	;; [unrolled: 8-line block ×3, first 2 shown]
	v_mul_f32_e32 v91, s19, v116
	v_cndmask_b32_e64 v75, 0xff7fffff, v94, s11
	v_cndmask_b32_e64 v76, 0xff7fffff, v93, s12
	v_max3_f32 v74, v74, v77, v78
	v_cmp_gt_i32_e64 s13, s24, v85
	v_cmp_gt_i32_e64 s15, s24, v71
	v_dual_mul_f32 v89, s19, v118 :: v_dual_mul_f32 v90, s19, v117
	s_delay_alu instid0(VALU_DEP_4) | instskip(NEXT) | instid1(VALU_DEP_4)
	v_max3_f32 v74, v74, v75, v76
	v_cndmask_b32_e64 v77, 0xff7fffff, v92, s13
	s_delay_alu instid0(VALU_DEP_4) | instskip(SKIP_2) | instid1(VALU_DEP_3)
	v_cndmask_b32_e64 v71, 0xff7fffff, v91, s15
	v_cmp_gt_i32_e64 s16, s24, v72
	v_cmp_gt_i32_e64 s17, s24, v73
	v_max3_f32 v71, v74, v77, v71
	s_delay_alu instid0(VALU_DEP_3) | instskip(NEXT) | instid1(VALU_DEP_3)
	v_cndmask_b32_e64 v72, 0xff7fffff, v90, s16
	v_cndmask_b32_e64 v73, 0xff7fffff, v89, s17
	v_lshlrev_b32_e32 v74, 2, v127
	s_delay_alu instid0(VALU_DEP_2) | instskip(SKIP_3) | instid1(VALU_DEP_1)
	v_max3_f32 v71, v71, v72, v73
	ds_bpermute_b32 v72, v74, v71
	s_waitcnt lgkmcnt(0)
	v_max_f32_e32 v72, v72, v72
	v_max_f32_e32 v71, v71, v72
	s_delay_alu instid0(VALU_DEP_1) | instskip(SKIP_4) | instid1(VALU_DEP_4)
	v_fma_f32 v72, s19, v135, -v71
	v_fma_f32 v73, s19, v136, -v71
	;; [unrolled: 1-line block ×5, first 2 shown]
	v_dual_mul_f32 v72, 0x3fb8aa3b, v72 :: v_dual_mul_f32 v73, 0x3fb8aa3b, v73
	v_fma_f32 v80, s19, v141, -v71
	s_delay_alu instid0(VALU_DEP_3) | instskip(NEXT) | instid1(VALU_DEP_3)
	v_dual_mul_f32 v76, 0x3fb8aa3b, v76 :: v_dual_mul_f32 v77, 0x3fb8aa3b, v77
	v_exp_f32_e32 v72, v72
	s_delay_alu instid0(VALU_DEP_3) | instskip(NEXT) | instid1(VALU_DEP_2)
	v_exp_f32_e32 v73, v73
	v_mul_f32_e32 v82, 0x3fb8aa3b, v80
	s_delay_alu instid0(VALU_DEP_2) | instskip(SKIP_1) | instid1(VALU_DEP_1)
	v_exp_f32_e32 v76, v76
	v_exp_f32_e32 v77, v77
	;; [unrolled: 1-line block ×3, first 2 shown]
	v_cndmask_b32_e32 v79, 0, v72, vcc_lo
	v_fma_f32 v72, s19, v140, -v71
	v_mul_f32_e32 v75, 0x3fb8aa3b, v75
	v_cndmask_b32_e64 v78, 0, v73, s2
	s_delay_alu instid0(TRANS32_DEP_3) | instskip(NEXT) | instid1(VALU_DEP_4)
	v_cndmask_b32_e64 v80, 0, v76, s4
	v_dual_add_f32 v73, 0, v79 :: v_dual_mul_f32 v72, 0x3fb8aa3b, v72
	s_delay_alu instid0(VALU_DEP_4) | instskip(NEXT) | instid1(TRANS32_DEP_3)
	v_exp_f32_e32 v75, v75
	v_cndmask_b32_e64 v83, 0, v77, s5
	s_delay_alu instid0(TRANS32_DEP_2) | instskip(NEXT) | instid1(VALU_DEP_3)
	v_cndmask_b32_e64 v85, 0, v84, s7
	v_add_f32_e32 v73, v73, v78
	v_exp_f32_e32 v72, v72
	s_mov_b32 s2, exec_lo
	s_waitcnt_depctr 0xfff
	v_cndmask_b32_e64 v81, 0, v75, s3
	v_cndmask_b32_e64 v82, 0, v72, s6
	s_delay_alu instid0(VALU_DEP_2) | instskip(NEXT) | instid1(VALU_DEP_1)
	v_add_f32_e32 v73, v73, v81
	v_add_f32_e32 v73, v73, v80
	s_delay_alu instid0(VALU_DEP_1) | instskip(NEXT) | instid1(VALU_DEP_1)
	v_add_f32_e32 v72, v73, v83
	v_add_f32_e32 v72, v72, v82
	s_delay_alu instid0(VALU_DEP_1)
	v_add_f32_e32 v72, v72, v85
	v_fma_f32 v76, s19, v111, -v71
	v_fma_f32 v75, s19, v142, -v71
	v_fma_f32 v86, s19, v114, -v71
	v_fma_f32 v77, s19, v112, -v71
	v_fma_f32 v73, s19, v113, -v71
	v_mul_f32_e32 v76, 0x3fb8aa3b, v76
	s_delay_alu instid0(VALU_DEP_4) | instskip(NEXT) | instid1(VALU_DEP_2)
	v_mul_f32_e32 v86, 0x3fb8aa3b, v86
	v_exp_f32_e32 v76, v76
	s_delay_alu instid0(VALU_DEP_1)
	v_exp_f32_e32 v88, v86
	s_waitcnt_depctr 0xfff
	v_cndmask_b32_e64 v87, 0, v76, s9
	v_fma_f32 v76, s19, v116, -v71
	v_mul_f32_e32 v75, 0x3fb8aa3b, v75
	v_cndmask_b32_e64 v88, 0, v88, s12
	s_delay_alu instid0(VALU_DEP_3) | instskip(NEXT) | instid1(VALU_DEP_3)
	v_dual_mul_f32 v73, 0x3fb8aa3b, v73 :: v_dual_mul_f32 v76, 0x3fb8aa3b, v76
	v_exp_f32_e32 v75, v75
	s_delay_alu instid0(VALU_DEP_1) | instskip(NEXT) | instid1(VALU_DEP_1)
	v_exp_f32_e32 v73, v73
	v_exp_f32_e32 v76, v76
	s_delay_alu instid0(TRANS32_DEP_3)
	v_cndmask_b32_e64 v84, 0, v75, s8
	v_fma_f32 v75, s19, v115, -v71
	s_waitcnt_depctr 0xfff
	v_cndmask_b32_e64 v89, 0, v73, s11
	v_cndmask_b32_e64 v90, 0, v76, s15
	v_add_f32_e32 v72, v72, v84
	s_delay_alu instid0(VALU_DEP_1) | instskip(NEXT) | instid1(VALU_DEP_1)
	v_dual_add_f32 v72, v72, v87 :: v_dual_mul_f32 v77, 0x3fb8aa3b, v77
	v_exp_f32_e32 v77, v77
	s_waitcnt_depctr 0xfff
	v_cndmask_b32_e64 v86, 0, v77, s10
	v_fma_f32 v77, s19, v117, -v71
	s_delay_alu instid0(VALU_DEP_2) | instskip(NEXT) | instid1(VALU_DEP_1)
	v_dual_add_f32 v72, v72, v86 :: v_dual_mul_f32 v75, 0x3fb8aa3b, v75
	v_add_f32_e32 v72, v72, v89
	s_delay_alu instid0(VALU_DEP_2) | instskip(NEXT) | instid1(VALU_DEP_1)
	v_exp_f32_e32 v75, v75
	v_add_f32_e32 v72, v72, v88
	s_waitcnt_depctr 0xfff
	v_cndmask_b32_e64 v91, 0, v75, s13
	v_mul_f32_e32 v73, 0x3fb8aa3b, v77
	v_fma_f32 v77, s19, v118, -v71
	s_delay_alu instid0(VALU_DEP_3) | instskip(NEXT) | instid1(VALU_DEP_3)
	v_add_f32_e32 v72, v72, v91
	v_exp_f32_e32 v73, v73
	s_delay_alu instid0(VALU_DEP_1) | instskip(NEXT) | instid1(VALU_DEP_1)
	v_dual_mul_f32 v75, 0x3fb8aa3b, v77 :: v_dual_add_f32 v72, v72, v90
	v_exp_f32_e32 v75, v75
	s_waitcnt_depctr 0xfff
	v_cndmask_b32_e64 v93, 0, v73, s16
	s_delay_alu instid0(VALU_DEP_1) | instskip(SKIP_1) | instid1(VALU_DEP_1)
	v_add_f32_e32 v72, v72, v93
	v_cndmask_b32_e64 v92, 0, v75, s17
	v_add_f32_e32 v72, v72, v92
	ds_bpermute_b32 v73, v74, v72
	v_cmpx_gt_u32_e32 16, v70
	s_cbranch_execz .LBB1259_12
; %bb.11:
	v_mul_u32_u24_e32 v70, 0x44, v69
	s_waitcnt lgkmcnt(0)
	v_add_f32_e32 v72, v72, v73
	s_delay_alu instid0(VALU_DEP_2) | instskip(NEXT) | instid1(VALU_DEP_1)
	v_lshl_add_u32 v70, v68, 2, v70
	v_add_nc_u32_e32 v70, 0x4000, v70
	ds_store_2addr_b32 v70, v71, v72 offset1:136
.LBB1259_12:
	s_or_b32 exec_lo, exec_lo, s2
	v_lshlrev_b32_e32 v70, 2, v68
	s_load_b32 s34, s[0:1], 0x94
	s_waitcnt lgkmcnt(0)
	s_barrier
	buffer_gl0_inv
	v_add_nc_u32_e32 v98, 0x4000, v70
	v_cmp_eq_u32_e32 vcc_lo, 1, v69
	v_cmp_eq_u32_e64 s2, 2, v69
	v_cmp_eq_u32_e64 s3, 3, v69
	;; [unrolled: 1-line block ×3, first 2 shown]
	ds_load_2addr_b32 v[70:71], v98 offset1:17
	ds_load_2addr_b32 v[72:73], v98 offset0:34 offset1:51
	ds_load_2addr_b32 v[74:75], v98 offset0:68 offset1:85
	;; [unrolled: 1-line block ×3, first 2 shown]
	v_cmp_eq_u32_e64 s5, 5, v69
	v_cmp_eq_u32_e64 s6, 7, v69
	s_waitcnt lgkmcnt(3)
	v_max3_f32 v76, v70, 0xff7fffff, v71
	s_waitcnt lgkmcnt(2)
	s_delay_alu instid0(VALU_DEP_1) | instskip(SKIP_1) | instid1(VALU_DEP_1)
	v_max3_f32 v76, v76, v72, v73
	s_waitcnt lgkmcnt(1)
	v_max3_f32 v76, v76, v74, v75
	s_waitcnt lgkmcnt(0)
	s_delay_alu instid0(VALU_DEP_1) | instskip(NEXT) | instid1(VALU_DEP_1)
	v_max3_f32 v76, v76, v94, v95
	v_sub_f32_e32 v77, v71, v76
	ds_load_2addr_b32 v[96:97], v98 offset0:136 offset1:153
	v_sub_f32_e32 v74, v74, v76
	v_sub_f32_e32 v70, v70, v76
	;; [unrolled: 1-line block ×3, first 2 shown]
	v_dual_sub_f32 v72, v72, v76 :: v_dual_mul_f32 v77, 0x3fb8aa3b, v77
	s_delay_alu instid0(VALU_DEP_4) | instskip(NEXT) | instid1(VALU_DEP_4)
	v_mul_f32_e32 v103, 0x3fb8aa3b, v74
	v_mul_f32_e32 v99, 0x3fb8aa3b, v70
	ds_load_2addr_b32 v[70:71], v98 offset0:170 offset1:187
	v_dual_mul_f32 v101, 0x3fb8aa3b, v72 :: v_dual_mul_f32 v94, 0x3fb8aa3b, v94
	v_exp_f32_e32 v102, v77
	v_exp_f32_e32 v99, v99
	s_delay_alu instid0(VALU_DEP_1) | instskip(NEXT) | instid1(VALU_DEP_1)
	v_exp_f32_e32 v101, v101
	v_exp_f32_e32 v94, v94
	s_waitcnt lgkmcnt(1)
	s_delay_alu instid0(TRANS32_DEP_3)
	v_fma_f32 v77, v99, v96, 0
	v_sub_f32_e32 v100, v73, v76
	ds_load_2addr_b32 v[72:73], v98 offset0:204 offset1:221
	v_fmac_f32_e32 v77, v102, v97
	v_exp_f32_e32 v97, v103
	s_waitcnt lgkmcnt(1)
	s_delay_alu instid0(VALU_DEP_1)
	v_dual_fmac_f32 v77, v101, v70 :: v_dual_sub_f32 v96, v75, v76
	ds_load_2addr_b32 v[74:75], v98 offset0:238 offset1:255
	v_sub_f32_e32 v70, v95, v76
	s_waitcnt lgkmcnt(0)
	s_barrier
	v_mul_f32_e32 v96, 0x3fb8aa3b, v96
	buffer_gl0_inv
	v_exp_f32_e32 v95, v96
	v_mul_f32_e32 v100, 0x3fb8aa3b, v100
	s_delay_alu instid0(VALU_DEP_1) | instskip(SKIP_3) | instid1(VALU_DEP_2)
	v_exp_f32_e32 v100, v100
	s_waitcnt_depctr 0xfff
	v_dual_fmac_f32 v77, v100, v71 :: v_dual_mul_f32 v70, 0x3fb8aa3b, v70
	v_cndmask_b32_e32 v71, v99, v102, vcc_lo
	v_fmac_f32_e32 v77, v97, v72
	s_delay_alu instid0(VALU_DEP_3) | instskip(NEXT) | instid1(VALU_DEP_1)
	v_exp_f32_e32 v96, v70
	v_fmac_f32_e32 v77, v95, v73
	s_delay_alu instid0(VALU_DEP_1) | instskip(SKIP_2) | instid1(VALU_DEP_1)
	v_fmac_f32_e32 v77, v94, v74
	s_waitcnt_depctr 0xfff
	v_fmac_f32_e32 v77, v96, v75
	v_add_f32_e32 v74, 0x358637bd, v77
	s_delay_alu instid0(VALU_DEP_1) | instskip(SKIP_1) | instid1(VALU_DEP_2)
	v_div_scale_f32 v98, null, v74, v74, 1.0
	v_div_scale_f32 v99, vcc_lo, 1.0, v74, 1.0
	v_rcp_f32_e32 v103, v98
	s_waitcnt_depctr 0xfff
	v_fma_f32 v70, -v98, v103, 1.0
	s_delay_alu instid0(VALU_DEP_1) | instskip(SKIP_2) | instid1(VALU_DEP_2)
	v_fmac_f32_e32 v103, v70, v103
	v_cndmask_b32_e64 v70, v71, v101, s2
	v_cmp_eq_u32_e64 s2, 6, v69
	v_cndmask_b32_e64 v71, v70, v100, s3
	s_delay_alu instid0(VALU_DEP_4) | instskip(NEXT) | instid1(VALU_DEP_2)
	v_dual_mul_f32 v101, v99, v103 :: v_dual_lshlrev_b32 v70, 2, v66
	v_cndmask_b32_e64 v71, v71, v97, s4
	s_delay_alu instid0(VALU_DEP_2) | instskip(NEXT) | instid1(VALU_DEP_3)
	v_or_b32_e32 v72, 1, v70
	v_fma_f32 v100, -v98, v101, v99
	v_cmp_eq_u32_e64 s3, 1, v70
	v_cmp_eq_u32_e64 s4, 2, v70
	v_cndmask_b32_e64 v95, v71, v95, s5
	v_or_b32_e32 v71, 3, v70
	v_fmac_f32_e32 v101, v100, v103
	v_cmp_eq_u32_e64 s8, 1, v72
	v_cmp_eq_u32_e64 s11, 2, v72
	v_cndmask_b32_e64 v94, v95, v94, s2
	v_cmp_eq_u32_e64 s10, 1, v71
	v_fma_f32 v97, -v98, v101, v99
	v_cmp_eq_u32_e64 s15, 2, v71
	v_cmp_eq_u32_e64 s12, 3, v72
	v_cndmask_b32_e64 v94, v94, v96, s6
	v_cmp_eq_u32_e64 s17, 3, v71
	v_div_fmas_f32 v95, v97, v103, v101
	v_cmp_eq_u32_e32 vcc_lo, 3, v70
	v_cmp_eq_u32_e64 s2, 4, v70
	v_cmp_eq_u32_e64 s18, 4, v72
	;; [unrolled: 1-line block ×3, first 2 shown]
	v_div_fixup_f32 v95, v95, v74, 1.0
	v_lshlrev_b32_e32 v73, 6, v68
	v_cmp_eq_u32_e64 s5, 5, v70
	v_cmp_eq_u32_e64 s19, 5, v72
	;; [unrolled: 1-line block ×3, first 2 shown]
	v_mul_f32_e32 v102, v94, v95
	v_lshl_or_b32 v75, v69, 11, v73
	v_or_b32_e32 v69, 2, v70
	v_cmp_eq_u32_e64 s24, 6, v72
	v_cmp_eq_u32_e64 s26, 6, v71
	v_fma_mixlo_f16 v94, v102, v79, 0
	v_fma_mixlo_f16 v95, v102, v81, 0
	;; [unrolled: 1-line block ×8, first 2 shown]
	v_lshl_or_b32 v74, v66, 4, v75
	v_fma_mixhi_f16 v94, v102, v78, 0
	v_fma_mixhi_f16 v95, v102, v80, 0
	;; [unrolled: 1-line block ×8, first 2 shown]
	ds_store_b128 v74, v[94:97]
	ds_store_b128 v74, v[98:101] offset:1024
	s_waitcnt lgkmcnt(0)
	s_barrier
	buffer_gl0_inv
	ds_load_b128 v[78:81], v75
	ds_load_b128 v[82:85], v75 offset:16
	ds_load_b128 v[86:89], v75 offset:1024
	;; [unrolled: 1-line block ×3, first 2 shown]
	v_cmp_eq_u32_e64 s9, 1, v69
	v_cmp_eq_u32_e64 s13, 2, v69
	;; [unrolled: 1-line block ×11, first 2 shown]
	s_waitcnt lgkmcnt(3)
	v_lshrrev_b32_e32 v94, 16, v78
	s_waitcnt lgkmcnt(2)
	v_lshrrev_b32_e32 v98, 16, v82
	;; [unrolled: 2-line block ×4, first 2 shown]
	v_lshrrev_b32_e32 v95, 16, v79
	v_cndmask_b32_e64 v110, v78, v94, s3
	v_cndmask_b32_e64 v111, v82, v98, s3
	;; [unrolled: 1-line block ×8, first 2 shown]
	v_lshrrev_b32_e32 v99, 16, v83
	v_cndmask_b32_e64 v94, v86, v102, s3
	v_cndmask_b32_e64 v98, v90, v106, s3
	v_cndmask_b32_e64 v116, v86, v102, s8
	v_cndmask_b32_e64 v117, v90, v106, s8
	v_cndmask_b32_e64 v118, v86, v102, s9
	v_cndmask_b32_e64 v119, v90, v106, s9
	v_cndmask_b32_e64 v86, v86, v102, s10
	v_cndmask_b32_e64 v90, v90, v106, s10
	v_cndmask_b32_e64 v102, v110, v79, s4
	v_cndmask_b32_e64 v106, v111, v83, s4
	v_cndmask_b32_e64 v110, v112, v79, s11
	v_cndmask_b32_e64 v111, v113, v83, s11
	v_cndmask_b32_e64 v112, v114, v79, s13
	v_cndmask_b32_e64 v78, v78, v79, s15
	v_cndmask_b32_e64 v79, v82, v83, s15
	v_lshrrev_b32_e32 v103, 16, v87
	v_lshrrev_b32_e32 v107, 16, v91
	v_cndmask_b32_e64 v113, v115, v83, s13
	v_cndmask_b32_e64 v82, v94, v87, s4
	;; [unrolled: 1-line block ×7, first 2 shown]
	v_cndmask_b32_e32 v90, v102, v95, vcc_lo
	v_cndmask_b32_e32 v102, v106, v99, vcc_lo
	v_cndmask_b32_e64 v106, v110, v95, s12
	v_cndmask_b32_e64 v110, v111, v99, s12
	;; [unrolled: 1-line block ×4, first 2 shown]
	v_lshrrev_b32_e32 v96, 16, v80
	v_lshrrev_b32_e32 v100, 16, v84
	v_cndmask_b32_e64 v111, v112, v95, s16
	v_cndmask_b32_e64 v112, v113, v99, s16
	v_cndmask_b32_e32 v82, v82, v103, vcc_lo
	v_cndmask_b32_e32 v83, v83, v107, vcc_lo
	v_cndmask_b32_e64 v94, v94, v103, s12
	v_cndmask_b32_e64 v90, v90, v80, s2
	;; [unrolled: 1-line block ×7, first 2 shown]
	v_lshrrev_b32_e32 v104, 16, v88
	v_cndmask_b32_e64 v106, v111, v80, s20
	v_cndmask_b32_e64 v110, v112, v84, s20
	;; [unrolled: 1-line block ×11, first 2 shown]
	v_lshrrev_b32_e32 v97, 16, v81
	v_lshrrev_b32_e32 v101, 16, v85
	v_cndmask_b32_e64 v99, v106, v96, s22
	v_cndmask_b32_e64 v102, v110, v100, s22
	;; [unrolled: 1-line block ×7, first 2 shown]
	v_lshrrev_b32_e32 v105, 16, v89
	v_cndmask_b32_e64 v80, v80, v104, s5
	v_cndmask_b32_e64 v84, v84, v81, s6
	;; [unrolled: 1-line block ×16, first 2 shown]
	v_perm_b32 v81, v79, v78, 0x5040100
	v_perm_b32 v79, v95, v85, 0x5040100
	v_cndmask_b32_e64 v78, v119, v91, s13
	v_cndmask_b32_e64 v85, v117, v91, s11
	;; [unrolled: 1-line block ×3, first 2 shown]
	v_perm_b32 v80, v94, v90, 0x5040100
	v_cndmask_b32_e64 v90, v98, v103, s16
	v_cndmask_b32_e64 v86, v86, v103, s17
	;; [unrolled: 1-line block ×5, first 2 shown]
	v_lshrrev_b32_e32 v108, 16, v92
	v_cndmask_b32_e64 v90, v90, v88, s20
	v_cndmask_b32_e64 v86, v86, v88, s21
	;; [unrolled: 1-line block ×11, first 2 shown]
	v_lshrrev_b32_e32 v109, 16, v93
	v_cndmask_b32_e64 v82, v82, v93, s6
	v_cndmask_b32_e64 v88, v88, v89, s25
	;; [unrolled: 1-line block ×12, first 2 shown]
	v_perm_b32 v78, v84, v83, 0x5040100
	v_perm_b32 v85, v87, v86, 0x5040100
	;; [unrolled: 1-line block ×5, first 2 shown]
	s_mul_i32 s7, s33, 14
	s_mov_b32 s2, exec_lo
	ds_store_b128 v74, v[78:81]
	ds_store_b128 v74, v[82:85] offset:1024
	v_cmpx_gt_u32_e32 14, v0
	s_cbranch_execz .LBB1259_14
; %bb.13:
	s_mul_i32 s3, s7, s30
	s_load_b128 s[8:11], s[0:1], 0x58
	v_add3_u32 v68, s3, s31, v68
	s_delay_alu instid0(VALU_DEP_1) | instskip(NEXT) | instid1(VALU_DEP_1)
	v_mad_u64_u32 v[78:79], null, v68, s34, s[14:15]
	v_ashrrev_i32_e32 v79, 31, v78
	s_delay_alu instid0(VALU_DEP_1) | instskip(SKIP_1) | instid1(VALU_DEP_1)
	v_lshlrev_b64 v[78:79], 2, v[78:79]
	s_waitcnt lgkmcnt(0)
	v_add_co_u32 v80, vcc_lo, s10, v78
	s_delay_alu instid0(VALU_DEP_2)
	v_add_co_ci_u32_e32 v81, vcc_lo, s11, v79, vcc_lo
	v_add_co_u32 v78, vcc_lo, s8, v78
	v_add_co_ci_u32_e32 v79, vcc_lo, s9, v79, vcc_lo
	global_store_b32 v[80:81], v76, off
	global_store_b32 v[78:79], v77, off
.LBB1259_14:
	s_or_b32 exec_lo, exec_lo, s2
	s_waitcnt lgkmcnt(0)
	s_waitcnt_vscnt null, 0x0
	s_barrier
	buffer_gl0_inv
	ds_load_b128 v[84:87], v73
	ds_load_b128 v[88:91], v73 offset:16
	ds_load_b128 v[96:99], v73 offset:2064
	;; [unrolled: 1-line block ×5, first 2 shown]
	v_cmp_eq_u32_e32 vcc_lo, 1, v70
	v_mov_b32_e32 v76, 0
	ds_load_b128 v[112:115], v73 offset:6160
	ds_load_b128 v[108:111], v73 offset:6144
	;; [unrolled: 1-line block ×4, first 2 shown]
	v_cmp_eq_u32_e64 s3, 1, v69
	v_cmp_eq_u32_e64 s2, 1, v72
	v_cmp_eq_u32_e64 s4, 2, v72
	v_mov_b32_e32 v77, v76
	v_mov_b32_e32 v78, v76
	;; [unrolled: 1-line block ×7, first 2 shown]
	v_cmp_eq_u32_e64 s5, 3, v72
	v_cmp_eq_u32_e64 s6, 7, v72
	s_waitcnt lgkmcnt(8)
	s_delay_alu instid0(VALU_DEP_3)
	v_wmma_f32_16x16x16_f16 v[76:83], v[49:56], v[84:91], v[76:83]
	ds_load_b128 v[53:56], v73 offset:10256
	ds_load_b128 v[49:52], v73 offset:10240
	s_waitcnt lgkmcnt(8)
	v_wmma_f32_16x16x16_f16 v[76:83], v[41:48], v[92:99], v[76:83]
	ds_load_b128 v[45:48], v73 offset:12304
	ds_load_b128 v[41:44], v73 offset:12288
	s_waitcnt lgkmcnt(8)
	;; [unrolled: 4-line block ×3, first 2 shown]
	s_barrier
	buffer_gl0_inv
	v_wmma_f32_16x16x16_f16 v[76:83], v[1:8], v[108:115], v[76:83]
	s_delay_alu instid0(VALU_DEP_1) | instskip(NEXT) | instid1(VALU_DEP_1)
	v_wmma_f32_16x16x16_f16 v[76:83], v[9:16], v[116:123], v[76:83]
	v_wmma_f32_16x16x16_f16 v[76:83], v[17:24], v[49:56], v[76:83]
	s_delay_alu instid0(VALU_DEP_1) | instskip(NEXT) | instid1(VALU_DEP_1)
	v_wmma_f32_16x16x16_f16 v[76:83], v[25:32], v[41:48], v[76:83]
	v_wmma_f32_16x16x16_f16 v[76:83], v[57:64], v[33:40], v[76:83]
	s_delay_alu instid0(VALU_DEP_1) | instskip(NEXT) | instid1(VALU_DEP_2)
	v_cvt_f16_f32_e32 v1, v76
	v_cvt_f16_f32_e32 v2, v77
	s_delay_alu instid0(VALU_DEP_3) | instskip(NEXT) | instid1(VALU_DEP_4)
	v_cvt_f16_f32_e32 v3, v78
	v_cvt_f16_f32_e32 v4, v79
	;; [unrolled: 1-line block ×6, first 2 shown]
	v_pack_b32_f16 v1, v1, v2
	v_pack_b32_f16 v2, v3, v4
	;; [unrolled: 1-line block ×3, first 2 shown]
	s_delay_alu instid0(VALU_DEP_4)
	v_pack_b32_f16 v4, v7, v8
	ds_store_b128 v74, v[1:4]
	s_waitcnt lgkmcnt(0)
	s_barrier
	buffer_gl0_inv
	ds_load_b128 v[1:4], v75
	ds_load_b128 v[5:8], v75 offset:16
	s_waitcnt lgkmcnt(1)
	v_lshrrev_b32_e32 v9, 16, v1
	s_waitcnt lgkmcnt(0)
	v_lshrrev_b32_e32 v13, 16, v5
	v_lshrrev_b32_e32 v10, 16, v2
	;; [unrolled: 1-line block ×4, first 2 shown]
	v_cndmask_b32_e32 v17, v1, v9, vcc_lo
	v_cndmask_b32_e32 v18, v5, v13, vcc_lo
	v_cndmask_b32_e64 v21, v1, v9, s3
	v_cmp_eq_u32_e32 vcc_lo, 1, v71
	v_cndmask_b32_e64 v22, v5, v13, s3
	v_cmp_eq_u32_e64 s3, 2, v70
	v_cndmask_b32_e64 v19, v1, v9, s2
	v_cndmask_b32_e64 v20, v5, v13, s2
	v_cndmask_b32_e32 v1, v1, v9, vcc_lo
	v_cmp_eq_u32_e64 s2, 2, v71
	v_cndmask_b32_e32 v5, v5, v13, vcc_lo
	v_cndmask_b32_e64 v9, v17, v2, s3
	v_cmp_eq_u32_e32 vcc_lo, 3, v70
	v_cndmask_b32_e64 v13, v18, v6, s3
	v_cmp_eq_u32_e64 s3, 2, v69
	v_cndmask_b32_e64 v17, v19, v2, s4
	v_cndmask_b32_e64 v18, v20, v6, s4
	v_cmp_eq_u32_e64 s4, 3, v69
	v_cndmask_b32_e64 v1, v1, v2, s2
	v_cndmask_b32_e64 v19, v21, v2, s3
	;; [unrolled: 1-line block ×4, first 2 shown]
	v_cndmask_b32_e32 v5, v9, v10, vcc_lo
	v_cndmask_b32_e32 v6, v13, v14, vcc_lo
	v_cmp_eq_u32_e32 vcc_lo, 3, v71
	v_cndmask_b32_e64 v9, v17, v10, s5
	v_cndmask_b32_e64 v13, v18, v14, s5
	;; [unrolled: 1-line block ×3, first 2 shown]
	v_cmp_eq_u32_e64 s3, 4, v70
	v_cndmask_b32_e32 v1, v1, v10, vcc_lo
	v_cndmask_b32_e32 v2, v2, v14, vcc_lo
	v_cmp_eq_u32_e32 vcc_lo, 4, v72
	v_lshrrev_b32_e32 v15, 16, v7
	v_lshrrev_b32_e32 v16, 16, v8
	v_cndmask_b32_e64 v17, v19, v10, s4
	v_cmp_eq_u32_e64 s2, 4, v71
	v_cndmask_b32_e64 v5, v5, v3, s3
	v_cndmask_b32_e64 v6, v6, v7, s3
	v_cndmask_b32_e32 v9, v9, v3, vcc_lo
	v_cmp_eq_u32_e64 s3, 5, v72
	v_cndmask_b32_e32 v10, v13, v7, vcc_lo
	v_cmp_eq_u32_e32 vcc_lo, 4, v69
	v_cmp_eq_u32_e64 s4, 5, v70
	v_cndmask_b32_e64 v2, v2, v7, s2
	v_cndmask_b32_e64 v9, v9, v11, s3
	v_cndmask_b32_e64 v10, v10, v15, s3
	v_cndmask_b32_e32 v13, v17, v3, vcc_lo
	v_cmp_eq_u32_e64 s3, 5, v69
	v_cndmask_b32_e32 v14, v18, v7, vcc_lo
	v_cndmask_b32_e64 v1, v1, v3, s2
	v_cmp_eq_u32_e32 vcc_lo, 5, v71
	v_lshrrev_b32_e32 v12, 16, v4
	v_cndmask_b32_e64 v13, v13, v11, s3
	v_cndmask_b32_e64 v3, v14, v15, s3
	v_cmp_eq_u32_e64 s3, 6, v71
	v_cndmask_b32_e32 v1, v1, v11, vcc_lo
	v_cndmask_b32_e64 v5, v5, v11, s4
	v_cmp_eq_u32_e64 s5, 6, v70
	v_cndmask_b32_e64 v6, v6, v15, s4
	v_cmp_eq_u32_e64 s4, 6, v72
	v_cmp_eq_u32_e64 s2, 6, v69
	v_cndmask_b32_e64 v1, v1, v4, s3
	v_cndmask_b32_e32 v2, v2, v15, vcc_lo
	v_cmp_eq_u32_e32 vcc_lo, 7, v71
	v_cndmask_b32_e64 v5, v5, v4, s5
	v_cndmask_b32_e64 v9, v9, v4, s4
	;; [unrolled: 1-line block ×3, first 2 shown]
	v_cmp_eq_u32_e64 s5, 7, v70
	v_cndmask_b32_e32 v1, v1, v12, vcc_lo
	v_cndmask_b32_e64 v7, v13, v4, s2
	v_cndmask_b32_e64 v3, v3, v8, s2
	;; [unrolled: 1-line block ×3, first 2 shown]
	v_cmp_eq_u32_e64 s2, 7, v69
	v_cndmask_b32_e64 v4, v10, v8, s4
	v_cndmask_b32_e64 v5, v5, v12, s5
	;; [unrolled: 1-line block ×3, first 2 shown]
	v_cndmask_b32_e32 v2, v2, v16, vcc_lo
	v_cndmask_b32_e64 v7, v7, v12, s2
	v_cndmask_b32_e64 v3, v3, v16, s2
	;; [unrolled: 1-line block ×4, first 2 shown]
	v_perm_b32 v4, v2, v1, 0x5040100
	s_mov_b32 s2, exec_lo
	v_perm_b32 v3, v3, v7, 0x5040100
	v_perm_b32 v2, v8, v9, 0x5040100
	;; [unrolled: 1-line block ×3, first 2 shown]
	ds_store_b128 v74, v[1:4]
	s_waitcnt lgkmcnt(0)
	s_barrier
	buffer_gl0_inv
	v_cmpx_gt_u32_e32 32, v0
	s_cbranch_execz .LBB1259_2
; %bb.15:
	s_load_b64 s[0:1], s[0:1], 0x68
	v_lshlrev_b32_e32 v0, 10, v0
	s_lshl_b32 s4, s34, 7
	v_or_b32_e32 v3, s31, v66
	s_mul_i32 s2, s4, s30
	v_lshlrev_b32_e32 v1, 4, v67
	v_lshlrev_b32_e32 v2, 6, v66
	v_and_b32_e32 v0, 0x3800, v0
	s_mul_i32 s2, s2, s7
	v_mul_lo_u32 v8, v3, s4
	s_ashr_i32 s3, s2, 31
	s_delay_alu instid0(SALU_CYCLE_1)
	s_lshl_b64 s[2:3], s[2:3], 1
	v_or3_b32 v16, v0, v1, v2
	ds_load_b128 v[0:3], v16
	ds_load_b128 v[4:7], v16 offset:128
	v_ashrrev_i32_e32 v9, 31, v8
	s_waitcnt lgkmcnt(0)
	s_add_u32 s2, s0, s2
	s_addc_u32 s3, s1, s3
	s_lshl_b32 s0, s14, 7
	s_delay_alu instid0(SALU_CYCLE_1) | instskip(SKIP_2) | instid1(SALU_CYCLE_1)
	s_ashr_i32 s1, s0, 31
	v_lshlrev_b64 v[9:10], 1, v[8:9]
	s_lshl_b64 s[0:1], s[0:1], 1
	s_add_u32 s0, s2, s0
	s_addc_u32 s1, s3, s1
	s_lshl_b32 s2, s34, 8
	v_add_co_u32 v30, s0, s0, v65
	v_add_nc_u32_e32 v11, s2, v8
	v_add_co_ci_u32_e64 v31, null, s1, 0, s0
	s_delay_alu instid0(VALU_DEP_3) | instskip(NEXT) | instid1(VALU_DEP_3)
	v_add_co_u32 v9, vcc_lo, v30, v9
	v_add_nc_u32_e32 v8, s2, v11
	s_delay_alu instid0(VALU_DEP_3) | instskip(SKIP_1) | instid1(VALU_DEP_3)
	v_add_co_ci_u32_e32 v10, vcc_lo, v31, v10, vcc_lo
	v_ashrrev_i32_e32 v12, 31, v11
	v_add_nc_u32_e32 v13, s2, v8
	global_store_b128 v[9:10], v[0:3], off
	v_ashrrev_i32_e32 v9, 31, v8
	v_lshlrev_b64 v[11:12], 1, v[11:12]
	v_ashrrev_i32_e32 v14, 31, v13
	v_add_nc_u32_e32 v10, s2, v13
	s_delay_alu instid0(VALU_DEP_4) | instskip(NEXT) | instid1(VALU_DEP_4)
	v_lshlrev_b64 v[2:3], 1, v[8:9]
	v_add_co_u32 v0, vcc_lo, v30, v11
	s_delay_alu instid0(VALU_DEP_4)
	v_lshlrev_b64 v[8:9], 1, v[13:14]
	v_add_co_ci_u32_e32 v1, vcc_lo, v31, v12, vcc_lo
	v_ashrrev_i32_e32 v11, 31, v10
	v_add_co_u32 v22, vcc_lo, v30, v2
	v_add_nc_u32_e32 v20, s2, v10
	v_add_co_ci_u32_e32 v23, vcc_lo, v31, v3, vcc_lo
	v_add_co_u32 v24, vcc_lo, v30, v8
	global_store_b128 v[0:1], v[4:7], off
	v_add_co_ci_u32_e32 v25, vcc_lo, v31, v9, vcc_lo
	ds_load_b128 v[0:3], v16 offset:256
	ds_load_b128 v[4:7], v16 offset:384
	v_lshlrev_b64 v[26:27], 1, v[10:11]
	ds_load_b128 v[8:11], v16 offset:512
	ds_load_b128 v[12:15], v16 offset:640
	;; [unrolled: 1-line block ×3, first 2 shown]
	v_add_nc_u32_e32 v28, s2, v20
	v_ashrrev_i32_e32 v21, 31, v20
	v_add_co_u32 v26, vcc_lo, v30, v26
	s_delay_alu instid0(VALU_DEP_3) | instskip(NEXT) | instid1(VALU_DEP_3)
	v_ashrrev_i32_e32 v29, 31, v28
	v_lshlrev_b64 v[20:21], 1, v[20:21]
	v_add_co_ci_u32_e32 v27, vcc_lo, v31, v27, vcc_lo
	s_delay_alu instid0(VALU_DEP_3) | instskip(NEXT) | instid1(VALU_DEP_3)
	v_lshlrev_b64 v[28:29], 1, v[28:29]
	v_add_co_u32 v20, vcc_lo, v30, v20
	s_delay_alu instid0(VALU_DEP_4) | instskip(NEXT) | instid1(VALU_DEP_3)
	v_add_co_ci_u32_e32 v21, vcc_lo, v31, v21, vcc_lo
	v_add_co_u32 v28, vcc_lo, v30, v28
	s_delay_alu instid0(VALU_DEP_4)
	v_add_co_ci_u32_e32 v29, vcc_lo, v31, v29, vcc_lo
	s_waitcnt lgkmcnt(4)
	global_store_b128 v[22:23], v[0:3], off
	s_waitcnt lgkmcnt(3)
	global_store_b128 v[24:25], v[4:7], off
	;; [unrolled: 2-line block ×5, first 2 shown]
	s_nop 0
	s_sendmsg sendmsg(MSG_DEALLOC_VGPRS)
	s_endpgm
	.section	.rodata,"a",@progbits
	.p2align	6, 0x0
	.amdhsa_kernel _Z39paged_attention_ll4mi_QKV_mfma16_kernelIDF16_hLN4vllm18Fp8KVCacheDataTypeE1EDF16_Li16ELi128ELi256ELb1ELi14EL8MFMAType0EEvPKT_PKT0_S8_ifPKiSA_SA_iPKfiiiPfSD_PS3_PT2_iSC_SC_
		.amdhsa_group_segment_fixed_size 17472
		.amdhsa_private_segment_fixed_size 0
		.amdhsa_kernarg_size 400
		.amdhsa_user_sgpr_count 13
		.amdhsa_user_sgpr_dispatch_ptr 0
		.amdhsa_user_sgpr_queue_ptr 0
		.amdhsa_user_sgpr_kernarg_segment_ptr 1
		.amdhsa_user_sgpr_dispatch_id 0
		.amdhsa_user_sgpr_private_segment_size 0
		.amdhsa_wavefront_size32 1
		.amdhsa_uses_dynamic_stack 0
		.amdhsa_enable_private_segment 0
		.amdhsa_system_sgpr_workgroup_id_x 1
		.amdhsa_system_sgpr_workgroup_id_y 1
		.amdhsa_system_sgpr_workgroup_id_z 1
		.amdhsa_system_sgpr_workgroup_info 0
		.amdhsa_system_vgpr_workitem_id 0
		.amdhsa_next_free_vgpr 150
		.amdhsa_next_free_sgpr 36
		.amdhsa_reserve_vcc 1
		.amdhsa_float_round_mode_32 0
		.amdhsa_float_round_mode_16_64 0
		.amdhsa_float_denorm_mode_32 3
		.amdhsa_float_denorm_mode_16_64 3
		.amdhsa_dx10_clamp 1
		.amdhsa_ieee_mode 1
		.amdhsa_fp16_overflow 0
		.amdhsa_workgroup_processor_mode 1
		.amdhsa_memory_ordered 1
		.amdhsa_forward_progress 0
		.amdhsa_shared_vgpr_count 0
		.amdhsa_exception_fp_ieee_invalid_op 0
		.amdhsa_exception_fp_denorm_src 0
		.amdhsa_exception_fp_ieee_div_zero 0
		.amdhsa_exception_fp_ieee_overflow 0
		.amdhsa_exception_fp_ieee_underflow 0
		.amdhsa_exception_fp_ieee_inexact 0
		.amdhsa_exception_int_div_zero 0
	.end_amdhsa_kernel
	.section	.text._Z39paged_attention_ll4mi_QKV_mfma16_kernelIDF16_hLN4vllm18Fp8KVCacheDataTypeE1EDF16_Li16ELi128ELi256ELb1ELi14EL8MFMAType0EEvPKT_PKT0_S8_ifPKiSA_SA_iPKfiiiPfSD_PS3_PT2_iSC_SC_,"axG",@progbits,_Z39paged_attention_ll4mi_QKV_mfma16_kernelIDF16_hLN4vllm18Fp8KVCacheDataTypeE1EDF16_Li16ELi128ELi256ELb1ELi14EL8MFMAType0EEvPKT_PKT0_S8_ifPKiSA_SA_iPKfiiiPfSD_PS3_PT2_iSC_SC_,comdat
.Lfunc_end1259:
	.size	_Z39paged_attention_ll4mi_QKV_mfma16_kernelIDF16_hLN4vllm18Fp8KVCacheDataTypeE1EDF16_Li16ELi128ELi256ELb1ELi14EL8MFMAType0EEvPKT_PKT0_S8_ifPKiSA_SA_iPKfiiiPfSD_PS3_PT2_iSC_SC_, .Lfunc_end1259-_Z39paged_attention_ll4mi_QKV_mfma16_kernelIDF16_hLN4vllm18Fp8KVCacheDataTypeE1EDF16_Li16ELi128ELi256ELb1ELi14EL8MFMAType0EEvPKT_PKT0_S8_ifPKiSA_SA_iPKfiiiPfSD_PS3_PT2_iSC_SC_
                                        ; -- End function
	.section	.AMDGPU.csdata,"",@progbits
; Kernel info:
; codeLenInByte = 6804
; NumSgprs: 38
; NumVgprs: 150
; ScratchSize: 0
; MemoryBound: 0
; FloatMode: 240
; IeeeMode: 1
; LDSByteSize: 17472 bytes/workgroup (compile time only)
; SGPRBlocks: 4
; VGPRBlocks: 18
; NumSGPRsForWavesPerEU: 38
; NumVGPRsForWavesPerEU: 150
; Occupancy: 9
; WaveLimiterHint : 1
; COMPUTE_PGM_RSRC2:SCRATCH_EN: 0
; COMPUTE_PGM_RSRC2:USER_SGPR: 13
; COMPUTE_PGM_RSRC2:TRAP_HANDLER: 0
; COMPUTE_PGM_RSRC2:TGID_X_EN: 1
; COMPUTE_PGM_RSRC2:TGID_Y_EN: 1
; COMPUTE_PGM_RSRC2:TGID_Z_EN: 1
; COMPUTE_PGM_RSRC2:TIDIG_COMP_CNT: 0
	.section	.text._Z39paged_attention_ll4mi_QKV_mfma16_kernelIDF16_hLN4vllm18Fp8KVCacheDataTypeE1EDF16_Li16ELi128ELi256ELb1ELi15EL8MFMAType0EEvPKT_PKT0_S8_ifPKiSA_SA_iPKfiiiPfSD_PS3_PT2_iSC_SC_,"axG",@progbits,_Z39paged_attention_ll4mi_QKV_mfma16_kernelIDF16_hLN4vllm18Fp8KVCacheDataTypeE1EDF16_Li16ELi128ELi256ELb1ELi15EL8MFMAType0EEvPKT_PKT0_S8_ifPKiSA_SA_iPKfiiiPfSD_PS3_PT2_iSC_SC_,comdat
	.protected	_Z39paged_attention_ll4mi_QKV_mfma16_kernelIDF16_hLN4vllm18Fp8KVCacheDataTypeE1EDF16_Li16ELi128ELi256ELb1ELi15EL8MFMAType0EEvPKT_PKT0_S8_ifPKiSA_SA_iPKfiiiPfSD_PS3_PT2_iSC_SC_ ; -- Begin function _Z39paged_attention_ll4mi_QKV_mfma16_kernelIDF16_hLN4vllm18Fp8KVCacheDataTypeE1EDF16_Li16ELi128ELi256ELb1ELi15EL8MFMAType0EEvPKT_PKT0_S8_ifPKiSA_SA_iPKfiiiPfSD_PS3_PT2_iSC_SC_
	.globl	_Z39paged_attention_ll4mi_QKV_mfma16_kernelIDF16_hLN4vllm18Fp8KVCacheDataTypeE1EDF16_Li16ELi128ELi256ELb1ELi15EL8MFMAType0EEvPKT_PKT0_S8_ifPKiSA_SA_iPKfiiiPfSD_PS3_PT2_iSC_SC_
	.p2align	8
	.type	_Z39paged_attention_ll4mi_QKV_mfma16_kernelIDF16_hLN4vllm18Fp8KVCacheDataTypeE1EDF16_Li16ELi128ELi256ELb1ELi15EL8MFMAType0EEvPKT_PKT0_S8_ifPKiSA_SA_iPKfiiiPfSD_PS3_PT2_iSC_SC_,@function
_Z39paged_attention_ll4mi_QKV_mfma16_kernelIDF16_hLN4vllm18Fp8KVCacheDataTypeE1EDF16_Li16ELi128ELi256ELb1ELi15EL8MFMAType0EEvPKT_PKT0_S8_ifPKiSA_SA_iPKfiiiPfSD_PS3_PT2_iSC_SC_: ; @_Z39paged_attention_ll4mi_QKV_mfma16_kernelIDF16_hLN4vllm18Fp8KVCacheDataTypeE1EDF16_Li16ELi128ELi256ELb1ELi15EL8MFMAType0EEvPKT_PKT0_S8_ifPKiSA_SA_iPKfiiiPfSD_PS3_PT2_iSC_SC_
; %bb.0:
	s_load_b64 s[4:5], s[0:1], 0x30
	s_mov_b32 s34, s13
	s_waitcnt lgkmcnt(0)
	s_cmp_lg_u64 s[4:5], 0
	s_cselect_b32 s8, -1, 0
	s_ashr_i32 s35, s13, 31
	s_cmp_eq_u64 s[4:5], 0
	s_cbranch_scc1 .LBB1260_3
; %bb.1:
	s_lshl_b64 s[2:3], s[34:35], 2
	s_delay_alu instid0(SALU_CYCLE_1) | instskip(SKIP_4) | instid1(SALU_CYCLE_1)
	s_add_u32 s2, s4, s2
	s_addc_u32 s3, s5, s3
	s_load_b64 s[2:3], s[2:3], 0x0
	s_waitcnt lgkmcnt(0)
	s_sub_i32 s2, s3, s2
	s_cmp_eq_u32 s2, 1
	s_cselect_b32 s2, -1, 0
	s_delay_alu instid0(SALU_CYCLE_1)
	s_and_not1_b32 vcc_lo, exec_lo, s2
	s_cbranch_vccz .LBB1260_4
.LBB1260_2:
	s_nop 0
	s_sendmsg sendmsg(MSG_DEALLOC_VGPRS)
	s_endpgm
.LBB1260_3:
.LBB1260_4:
	s_load_b64 s[2:3], s[0:1], 0x28
	s_lshl_b64 s[6:7], s[34:35], 2
	s_waitcnt lgkmcnt(0)
	s_add_u32 s2, s2, s6
	s_addc_u32 s3, s3, s7
	s_lshl_b32 s12, s14, 8
	s_load_b32 s24, s[2:3], 0x0
	s_waitcnt lgkmcnt(0)
	s_cmp_ge_i32 s12, s24
	s_cbranch_scc1 .LBB1260_2
; %bb.5:
	s_clause 0x1
	s_load_b128 s[20:23], s[0:1], 0x8
	s_load_b64 s[2:3], s[0:1], 0x20
	s_and_not1_b32 vcc_lo, exec_lo, s8
	s_cbranch_vccnz .LBB1260_7
; %bb.6:
	s_add_u32 s4, s4, s6
	s_addc_u32 s5, s5, s7
	s_load_b32 s5, s[4:5], 0x0
	s_branch .LBB1260_8
.LBB1260_7:
	s_mov_b32 s5, s34
.LBB1260_8:
	s_load_b128 s[16:19], s[0:1], 0x48
	v_and_b32_e32 v68, 15, v0
	v_lshrrev_b32_e32 v69, 5, v0
	v_bfe_u32 v66, v0, 4, 1
	v_and_b32_e32 v70, 31, v0
	v_and_b32_e32 v67, 1, v0
	v_lshlrev_b32_e32 v2, 3, v68
	s_mul_i32 s31, s15, 15
	v_lshl_or_b32 v1, v69, 1, v66
	s_mov_b32 s4, exec_lo
	s_delay_alu instid0(VALU_DEP_2) | instskip(NEXT) | instid1(VALU_DEP_2)
	v_lshlrev_b32_e32 v65, 1, v2
	v_cmpx_gt_u32_e32 15, v1
	s_cbranch_execz .LBB1260_10
; %bb.9:
	s_load_b64 s[6:7], s[0:1], 0x0
	v_add_lshl_u32 v2, v1, s31, 7
	s_waitcnt lgkmcnt(0)
	s_mul_hi_i32 s9, s5, s16
	s_mul_i32 s8, s5, s16
	v_lshlrev_b32_e32 v6, 10, v68
	s_lshl_b64 s[8:9], s[8:9], 1
	v_ashrrev_i32_e32 v3, 31, v2
	v_lshlrev_b32_e32 v1, 6, v1
	v_lshlrev_b32_e32 v7, 10, v67
	v_and_b32_e32 v6, 0x3800, v6
	s_delay_alu instid0(VALU_DEP_4) | instskip(NEXT) | instid1(VALU_DEP_2)
	v_lshlrev_b64 v[2:3], 1, v[2:3]
	v_or3_b32 v1, v6, v7, v1
	s_add_u32 s5, s6, s8
	s_addc_u32 s6, s7, s9
	s_delay_alu instid0(VALU_DEP_2) | instskip(NEXT) | instid1(VALU_DEP_3)
	v_add_co_u32 v2, vcc_lo, s5, v2
	v_add_co_ci_u32_e32 v3, vcc_lo, s6, v3, vcc_lo
	s_delay_alu instid0(VALU_DEP_2) | instskip(NEXT) | instid1(VALU_DEP_2)
	v_add_co_u32 v2, vcc_lo, v2, v65
	v_add_co_ci_u32_e32 v3, vcc_lo, 0, v3, vcc_lo
	global_load_b128 v[2:5], v[2:3], off
	s_waitcnt vmcnt(0)
	ds_store_b128 v1, v[2:5]
.LBB1260_10:
	s_or_b32 exec_lo, exec_lo, s4
	v_and_b32_e32 v1, 0xef, v0
	s_waitcnt lgkmcnt(0)
	s_add_i32 s5, s24, 15
	s_clause 0x1
	s_load_b32 s4, s[0:1], 0x38
	s_load_b32 s33, s[0:1], 0x98
	s_ashr_i32 s6, s5, 31
	v_add_nc_u32_e32 v1, s12, v1
	s_lshr_b32 s6, s6, 28
	s_load_b32 s19, s[0:1], 0x1c
	s_add_i32 s5, s5, s6
	s_waitcnt lgkmcnt(0)
	v_ashrrev_i32_e32 v2, 31, v1
	v_or_b32_e32 v3, 16, v1
	s_ashr_i32 s13, s5, 4
	v_cmp_gt_i32_e32 vcc_lo, s24, v1
	s_add_i32 s13, s13, -1
	v_lshrrev_b32_e32 v2, 28, v2
	s_barrier
	buffer_gl0_inv
	s_mul_i32 s15, s15, s18
	v_add_nc_u32_e32 v4, v1, v2
	s_mul_i32 s4, s34, s4
	s_delay_alu instid0(SALU_CYCLE_1) | instskip(NEXT) | instid1(VALU_DEP_1)
	s_ashr_i32 s5, s4, 31
	v_ashrrev_i32_e32 v4, 4, v4
	v_add_nc_u32_e32 v2, v3, v2
	s_lshl_b64 s[4:5], s[4:5], 2
	s_delay_alu instid0(SALU_CYCLE_1) | instskip(NEXT) | instid1(VALU_DEP_2)
	s_add_u32 s16, s2, s4
	v_cndmask_b32_e32 v1, s13, v4, vcc_lo
	s_delay_alu instid0(VALU_DEP_2)
	v_ashrrev_i32_e32 v2, 4, v2
	v_cmp_gt_i32_e32 vcc_lo, s24, v3
	s_addc_u32 s25, s3, s5
	s_ashr_i32 s18, s15, 31
	s_add_u32 s26, s20, s15
	s_addc_u32 s27, s21, s18
	v_cndmask_b32_e32 v3, s13, v2, vcc_lo
	v_ashrrev_i32_e32 v2, 31, v1
	s_lshl_b32 s2, s14, 4
	s_delay_alu instid0(SALU_CYCLE_1) | instskip(NEXT) | instid1(VALU_DEP_2)
	s_ashr_i32 s3, s2, 31
	v_ashrrev_i32_e32 v4, 31, v3
	s_delay_alu instid0(VALU_DEP_2) | instskip(SKIP_1) | instid1(SALU_CYCLE_1)
	v_lshlrev_b64 v[1:2], 2, v[1:2]
	s_lshl_b64 s[2:3], s[2:3], 2
	s_add_u32 s2, s16, s2
	s_delay_alu instid0(VALU_DEP_2) | instskip(SKIP_1) | instid1(VALU_DEP_2)
	v_lshlrev_b64 v[3:4], 2, v[3:4]
	s_addc_u32 s3, s25, s3
	v_add_co_u32 v1, vcc_lo, s16, v1
	v_add_co_ci_u32_e32 v2, vcc_lo, s25, v2, vcc_lo
	s_delay_alu instid0(VALU_DEP_3) | instskip(NEXT) | instid1(VALU_DEP_4)
	v_add_co_u32 v3, vcc_lo, s16, v3
	v_add_co_ci_u32_e32 v4, vcc_lo, s25, v4, vcc_lo
	s_clause 0x1
	global_load_b32 v5, v[1:2], off
	global_load_b32 v7, v[3:4], off
	s_or_b32 s4, s12, 32
	v_lshlrev_b32_e32 v1, 4, v0
	s_ashr_i32 s5, s4, 4
	s_cmp_lt_i32 s4, s24
	v_cmp_ne_u32_e32 vcc_lo, 15, v68
	s_cselect_b32 s4, s5, s13
	v_and_b32_e32 v1, 0xf0, v1
	s_ashr_i32 s5, s4, 31
	s_delay_alu instid0(SALU_CYCLE_1) | instskip(NEXT) | instid1(SALU_CYCLE_1)
	s_lshl_b64 s[4:5], s[4:5], 2
	s_add_u32 s4, s16, s4
	s_addc_u32 s5, s25, s5
	s_or_b32 s6, s12, 64
	v_add_co_u32 v1, s26, s26, v1
	s_ashr_i32 s7, s6, 4
	s_cmp_lt_i32 s6, s24
	v_add_co_ci_u32_e64 v2, null, s27, 0, s26
	s_cselect_b32 s6, s7, s13
	s_delay_alu instid0(SALU_CYCLE_1) | instskip(NEXT) | instid1(SALU_CYCLE_1)
	s_ashr_i32 s7, s6, 31
	s_lshl_b64 s[6:7], s[6:7], 2
	s_delay_alu instid0(SALU_CYCLE_1) | instskip(SKIP_2) | instid1(SALU_CYCLE_1)
	s_add_u32 s6, s16, s6
	s_addc_u32 s7, s25, s7
	s_or_b32 s8, s12, 0x60
	s_ashr_i32 s9, s8, 4
	s_cmp_lt_i32 s8, s24
	s_cselect_b32 s8, s9, s13
	s_delay_alu instid0(SALU_CYCLE_1) | instskip(NEXT) | instid1(SALU_CYCLE_1)
	s_ashr_i32 s9, s8, 31
	s_lshl_b64 s[8:9], s[8:9], 2
	s_delay_alu instid0(SALU_CYCLE_1) | instskip(SKIP_2) | instid1(SALU_CYCLE_1)
	s_add_u32 s8, s16, s8
	s_addc_u32 s9, s25, s9
	s_or_b32 s10, s12, 0x80
	s_ashr_i32 s11, s10, 4
	s_cmp_lt_i32 s10, s24
	s_cselect_b32 s10, s11, s13
	s_delay_alu instid0(SALU_CYCLE_1) | instskip(NEXT) | instid1(SALU_CYCLE_1)
	s_ashr_i32 s11, s10, 31
	s_lshl_b64 s[10:11], s[10:11], 2
	s_delay_alu instid0(SALU_CYCLE_1) | instskip(SKIP_2) | instid1(SALU_CYCLE_1)
	s_add_u32 s10, s16, s10
	s_addc_u32 s11, s25, s11
	s_or_b32 s20, s12, 0xa0
	s_ashr_i32 s21, s20, 4
	s_cmp_lt_i32 s20, s24
	s_cselect_b32 s20, s21, s13
	s_delay_alu instid0(SALU_CYCLE_1) | instskip(NEXT) | instid1(SALU_CYCLE_1)
	s_ashr_i32 s21, s20, 31
	s_lshl_b64 s[20:21], s[20:21], 2
	s_delay_alu instid0(SALU_CYCLE_1)
	s_add_u32 s20, s16, s20
	s_addc_u32 s21, s25, s21
	s_clause 0x5
	s_load_b32 s26, s[2:3], 0x0
	s_load_b32 s27, s[4:5], 0x0
	;; [unrolled: 1-line block ×6, first 2 shown]
	s_or_b32 s2, s12, 0xc0
	s_mov_b32 s4, 0
	s_ashr_i32 s3, s2, 4
	s_cmp_lt_i32 s2, s24
	s_mov_b32 s11, s4
	s_cselect_b32 s2, s3, s13
	s_mov_b32 s5, s4
	s_ashr_i32 s3, s2, 31
	s_mov_b32 s6, s4
	s_lshl_b64 s[2:3], s[2:3], 2
	s_mov_b32 s7, s4
	s_add_u32 s2, s16, s2
	s_addc_u32 s3, s25, s3
	s_or_b32 s20, s12, 0xe0
	s_mov_b32 s8, s4
	s_ashr_i32 s21, s20, 4
	s_cmp_lt_i32 s20, s24
	s_mov_b32 s9, s4
	s_cselect_b32 s20, s21, s13
	s_mov_b32 s10, s4
	s_ashr_i32 s21, s20, 31
	v_mov_b32_e32 v118, s11
	v_dual_mov_b32 v112, s5 :: v_dual_mov_b32 v117, s10
	v_dual_mov_b32 v116, s9 :: v_dual_mov_b32 v115, s8
	;; [unrolled: 1-line block ×3, first 2 shown]
	v_mov_b32_e32 v111, s4
	s_lshl_b64 s[4:5], s[20:21], 2
	s_delay_alu instid0(SALU_CYCLE_1)
	s_add_u32 s4, s16, s4
	s_addc_u32 s5, s25, s5
	s_add_u32 s6, s22, s15
	s_addc_u32 s7, s23, s18
	s_waitcnt vmcnt(1)
	v_mad_i64_i32 v[3:4], null, v5, s17, v[1:2]
	s_waitcnt vmcnt(0)
	v_mad_i64_i32 v[5:6], null, v7, s17, v[1:2]
	v_cndmask_b32_e32 v1, 0, v68, vcc_lo
	v_lshlrev_b32_e32 v2, 4, v68
	s_clause 0xf
	global_load_b128 v[17:20], v[3:4], off
	global_load_b128 v[21:24], v[3:4], off offset:256
	global_load_b128 v[25:28], v[5:6], off
	global_load_b128 v[29:32], v[5:6], off offset:256
	global_load_b128 v[57:60], v[3:4], off offset:512
	;; [unrolled: 1-line block ×13, first 2 shown]
	v_lshlrev_b32_e32 v149, 6, v1
	v_lshl_or_b32 v1, v69, 8, v2
	ds_load_b128 v[119:122], v149
	ds_load_b128 v[123:126], v149 offset:1024
	ds_load_b128 v[127:130], v149 offset:2048
	;; [unrolled: 1-line block ×3, first 2 shown]
	s_clause 0x1
	s_load_b32 s2, s[2:3], 0x0
	s_load_b32 s3, s[4:5], 0x0
	v_add_co_u32 v135, s6, s6, v1
	s_delay_alu instid0(VALU_DEP_1) | instskip(SKIP_1) | instid1(VALU_DEP_1)
	v_add_co_ci_u32_e64 v136, null, s7, 0, s6
	s_waitcnt lgkmcnt(0)
	v_mad_i64_i32 v[1:2], null, s26, s17, v[135:136]
	v_mad_i64_i32 v[3:4], null, s27, s17, v[135:136]
	;; [unrolled: 1-line block ×6, first 2 shown]
	s_clause 0x9
	global_load_b128 v[49:52], v[1:2], off
	global_load_b128 v[53:56], v[1:2], off offset:16
	global_load_b128 v[41:44], v[3:4], off
	global_load_b128 v[45:48], v[3:4], off offset:16
	;; [unrolled: 2-line block ×5, first 2 shown]
	v_mad_i64_i32 v[145:146], null, s2, s17, v[135:136]
	v_mad_i64_i32 v[147:148], null, s3, s17, v[135:136]
	s_waitcnt vmcnt(24)
	v_wmma_f32_16x16x16_f16 v[135:142], v[17:24], v[119:126], v[111:118]
	s_waitcnt vmcnt(22)
	v_wmma_f32_16x16x16_f16 v[111:118], v[25:32], v[119:126], v[111:118]
	s_clause 0x3
	global_load_b128 v[17:20], v[143:144], off
	global_load_b128 v[21:24], v[143:144], off offset:16
	global_load_b128 v[25:28], v[145:146], off
	global_load_b128 v[29:32], v[145:146], off offset:16
	v_and_b32_e32 v119, 0xe0, v0
	s_waitcnt vmcnt(24)
	v_wmma_f32_16x16x16_f16 v[135:142], v[57:64], v[127:134], v[135:142]
	s_clause 0x1
	global_load_b128 v[57:60], v[147:148], off
	global_load_b128 v[61:64], v[147:148], off offset:16
	s_waitcnt vmcnt(24)
	v_wmma_f32_16x16x16_f16 v[111:118], v[71:78], v[127:134], v[111:118]
	ds_load_b128 v[71:74], v149 offset:4096
	ds_load_b128 v[75:78], v149 offset:5120
	v_add_nc_u32_e32 v128, s12, v119
	ds_load_b128 v[119:122], v149 offset:6144
	ds_load_b128 v[123:126], v149 offset:7168
	v_mbcnt_lo_u32_b32 v127, -1, 0
	s_waitcnt vmcnt(0) lgkmcnt(0)
	s_barrier
	v_or_b32_e32 v128, v128, v66
	buffer_gl0_inv
	v_xor_b32_e32 v129, 16, v127
	v_or_b32_e32 v130, 4, v128
	v_or_b32_e32 v131, 6, v128
	s_delay_alu instid0(VALU_DEP_3) | instskip(SKIP_4) | instid1(VALU_DEP_4)
	v_cmp_gt_i32_e32 vcc_lo, 32, v129
	v_or_b32_e32 v132, 8, v128
	v_or_b32_e32 v133, 10, v128
	v_cmp_gt_i32_e64 s3, s24, v130
	v_cmp_gt_i32_e64 s4, s24, v131
	;; [unrolled: 1-line block ×3, first 2 shown]
	v_wmma_f32_16x16x16_f16 v[135:142], v[79:86], v[71:78], v[135:142]
	v_wmma_f32_16x16x16_f16 v[111:118], v[87:94], v[71:78], v[111:118]
	v_or_b32_e32 v79, 12, v128
	v_or_b32_e32 v80, 14, v128
	v_cmp_gt_i32_e64 s6, s24, v133
	v_wmma_f32_16x16x16_f16 v[135:142], v[95:102], v[119:126], v[135:142]
	v_wmma_f32_16x16x16_f16 v[111:118], v[103:110], v[119:126], v[111:118]
	v_cndmask_b32_e32 v127, v127, v129, vcc_lo
	v_or_b32_e32 v129, 2, v128
	v_cmp_gt_i32_e32 vcc_lo, s24, v128
	s_delay_alu instid0(VALU_DEP_4) | instskip(SKIP_1) | instid1(VALU_DEP_4)
	v_dual_mul_f32 v87, s19, v136 :: v_dual_mul_f32 v94, s19, v113
	v_mul_f32_e32 v88, s19, v135
	v_cmp_gt_i32_e64 s2, s24, v129
	v_mul_f32_e32 v78, s19, v138
	v_mul_f32_e32 v86, s19, v137
	;; [unrolled: 1-line block ×3, first 2 shown]
	v_cndmask_b32_e32 v88, 0xff7fffff, v88, vcc_lo
	v_cndmask_b32_e64 v87, 0xff7fffff, v87, s2
	v_dual_mul_f32 v77, s19, v139 :: v_dual_mul_f32 v90, s19, v117
	v_cndmask_b32_e64 v86, 0xff7fffff, v86, s3
	v_cndmask_b32_e64 v78, 0xff7fffff, v78, s4
	s_delay_alu instid0(VALU_DEP_4)
	v_max3_f32 v87, v88, 0xff7fffff, v87
	v_or_b32_e32 v81, 16, v128
	v_or_b32_e32 v82, 18, v128
	v_dual_mul_f32 v74, s19, v142 :: v_dual_mul_f32 v75, s19, v141
	v_mul_f32_e32 v96, s19, v111
	v_cndmask_b32_e64 v77, 0xff7fffff, v77, s5
	v_cndmask_b32_e64 v76, 0xff7fffff, v76, s6
	v_max3_f32 v78, v87, v86, v78
	v_cmp_gt_i32_e64 s7, s24, v79
	v_cmp_gt_i32_e64 s8, s24, v80
	v_or_b32_e32 v83, 20, v128
	v_or_b32_e32 v84, 22, v128
	v_mul_f32_e32 v95, s19, v112
	v_cndmask_b32_e64 v75, 0xff7fffff, v75, s7
	v_cndmask_b32_e64 v74, 0xff7fffff, v74, s8
	v_max3_f32 v76, v78, v77, v76
	v_cmp_gt_i32_e64 s9, s24, v81
	v_cmp_gt_i32_e64 s10, s24, v82
	v_or_b32_e32 v85, 24, v128
	v_or_b32_e32 v71, 26, v128
	;; [unrolled: 8-line block ×3, first 2 shown]
	v_dual_mul_f32 v91, s19, v116 :: v_dual_mul_f32 v92, s19, v115
	v_cndmask_b32_e64 v75, 0xff7fffff, v94, s11
	v_cndmask_b32_e64 v76, 0xff7fffff, v93, s12
	v_max3_f32 v74, v74, v77, v78
	v_cmp_gt_i32_e64 s13, s24, v85
	v_cmp_gt_i32_e64 s15, s24, v71
	v_mul_f32_e32 v89, s19, v118
	v_cmp_gt_i32_e64 s16, s24, v72
	v_max3_f32 v74, v74, v75, v76
	v_cndmask_b32_e64 v77, 0xff7fffff, v92, s13
	v_cndmask_b32_e64 v71, 0xff7fffff, v91, s15
	v_cmp_gt_i32_e64 s17, s24, v73
	v_cndmask_b32_e64 v72, 0xff7fffff, v90, s16
	s_delay_alu instid0(VALU_DEP_3) | instskip(SKIP_1) | instid1(VALU_DEP_4)
	v_max3_f32 v71, v74, v77, v71
	v_lshlrev_b32_e32 v74, 2, v127
	v_cndmask_b32_e64 v73, 0xff7fffff, v89, s17
	s_delay_alu instid0(VALU_DEP_1) | instskip(SKIP_3) | instid1(VALU_DEP_1)
	v_max3_f32 v71, v71, v72, v73
	ds_bpermute_b32 v72, v74, v71
	s_waitcnt lgkmcnt(0)
	v_max_f32_e32 v72, v72, v72
	v_max_f32_e32 v71, v71, v72
	s_delay_alu instid0(VALU_DEP_1) | instskip(SKIP_4) | instid1(VALU_DEP_4)
	v_fma_f32 v72, s19, v135, -v71
	v_fma_f32 v73, s19, v136, -v71
	v_fma_f32 v75, s19, v137, -v71
	v_fma_f32 v76, s19, v138, -v71
	v_fma_f32 v77, s19, v139, -v71
	v_dual_mul_f32 v72, 0x3fb8aa3b, v72 :: v_dual_mul_f32 v73, 0x3fb8aa3b, v73
	s_delay_alu instid0(VALU_DEP_3) | instskip(SKIP_1) | instid1(VALU_DEP_3)
	v_dual_mul_f32 v75, 0x3fb8aa3b, v75 :: v_dual_mul_f32 v76, 0x3fb8aa3b, v76
	v_fma_f32 v80, s19, v141, -v71
	v_exp_f32_e32 v72, v72
	s_delay_alu instid0(VALU_DEP_3) | instskip(NEXT) | instid1(VALU_DEP_2)
	v_exp_f32_e32 v73, v73
	v_exp_f32_e32 v75, v75
	;; [unrolled: 1-line block ×3, first 2 shown]
	v_mul_f32_e32 v82, 0x3fb8aa3b, v80
	s_delay_alu instid0(VALU_DEP_1) | instskip(SKIP_4) | instid1(TRANS32_DEP_3)
	v_exp_f32_e32 v84, v82
	v_cndmask_b32_e32 v79, 0, v72, vcc_lo
	v_fma_f32 v72, s19, v140, -v71
	v_mul_f32_e32 v77, 0x3fb8aa3b, v77
	v_cndmask_b32_e64 v78, 0, v73, s2
	v_cndmask_b32_e64 v81, 0, v75, s3
	s_delay_alu instid0(VALU_DEP_4) | instskip(NEXT) | instid1(VALU_DEP_4)
	v_dual_add_f32 v73, 0, v79 :: v_dual_mul_f32 v72, 0x3fb8aa3b, v72
	v_exp_f32_e32 v77, v77
	v_cndmask_b32_e64 v80, 0, v76, s4
	s_delay_alu instid0(TRANS32_DEP_2) | instskip(NEXT) | instid1(VALU_DEP_3)
	v_cndmask_b32_e64 v85, 0, v84, s7
	v_add_f32_e32 v73, v73, v78
	v_exp_f32_e32 v72, v72
	v_cmp_gt_u32_e64 s2, 16, v70
	s_delay_alu instid0(VALU_DEP_2) | instskip(NEXT) | instid1(TRANS32_DEP_2)
	v_add_f32_e32 v73, v73, v81
	v_cndmask_b32_e64 v83, 0, v77, s5
	s_delay_alu instid0(VALU_DEP_2) | instskip(SKIP_3) | instid1(VALU_DEP_1)
	v_add_f32_e32 v73, v73, v80
	s_waitcnt_depctr 0xfff
	v_cndmask_b32_e64 v82, 0, v72, s6
	v_add_f32_e32 v72, v73, v83
	v_add_f32_e32 v72, v72, v82
	s_delay_alu instid0(VALU_DEP_1)
	v_add_f32_e32 v72, v72, v85
	v_fma_f32 v76, s19, v111, -v71
	v_fma_f32 v75, s19, v142, -v71
	;; [unrolled: 1-line block ×5, first 2 shown]
	s_delay_alu instid0(VALU_DEP_4) | instskip(NEXT) | instid1(VALU_DEP_3)
	v_dual_mul_f32 v76, 0x3fb8aa3b, v76 :: v_dual_mul_f32 v75, 0x3fb8aa3b, v75
	v_mul_f32_e32 v86, 0x3fb8aa3b, v86
	s_delay_alu instid0(VALU_DEP_2) | instskip(NEXT) | instid1(VALU_DEP_2)
	v_exp_f32_e32 v76, v76
	v_exp_f32_e32 v75, v75
	s_delay_alu instid0(VALU_DEP_1) | instskip(NEXT) | instid1(TRANS32_DEP_3)
	v_exp_f32_e32 v88, v86
	v_cndmask_b32_e64 v87, 0, v76, s9
	v_fma_f32 v76, s19, v116, -v71
	v_mul_f32_e32 v77, 0x3fb8aa3b, v77
	s_waitcnt_depctr 0xfff
	v_cndmask_b32_e64 v84, 0, v75, s8
	v_fma_f32 v75, s19, v115, -v71
	v_cndmask_b32_e64 v88, 0, v88, s12
	v_mul_f32_e32 v76, 0x3fb8aa3b, v76
	v_exp_f32_e32 v77, v77
	v_add_f32_e32 v72, v72, v84
	s_delay_alu instid0(VALU_DEP_2) | instskip(NEXT) | instid1(VALU_DEP_1)
	v_exp_f32_e32 v76, v76
	v_add_f32_e32 v72, v72, v87
	s_waitcnt_depctr 0xfff
	v_cndmask_b32_e64 v86, 0, v77, s10
	v_mul_f32_e32 v73, 0x3fb8aa3b, v73
	v_fma_f32 v77, s19, v117, -v71
	v_cndmask_b32_e64 v90, 0, v76, s15
	s_delay_alu instid0(VALU_DEP_4) | instskip(NEXT) | instid1(VALU_DEP_4)
	v_add_f32_e32 v72, v72, v86
	v_exp_f32_e32 v73, v73
	s_waitcnt_depctr 0xfff
	v_cndmask_b32_e64 v89, 0, v73, s11
	s_delay_alu instid0(VALU_DEP_1) | instskip(NEXT) | instid1(VALU_DEP_1)
	v_dual_mul_f32 v75, 0x3fb8aa3b, v75 :: v_dual_add_f32 v72, v72, v89
	v_exp_f32_e32 v75, v75
	v_mul_f32_e32 v73, 0x3fb8aa3b, v77
	v_fma_f32 v77, s19, v118, -v71
	s_delay_alu instid0(VALU_DEP_3) | instskip(NEXT) | instid1(VALU_DEP_3)
	v_add_f32_e32 v72, v72, v88
	v_exp_f32_e32 v73, v73
	s_waitcnt_depctr 0xfff
	v_cndmask_b32_e64 v91, 0, v75, s13
	s_delay_alu instid0(VALU_DEP_1) | instskip(NEXT) | instid1(VALU_DEP_1)
	v_dual_mul_f32 v75, 0x3fb8aa3b, v77 :: v_dual_add_f32 v72, v72, v91
	v_exp_f32_e32 v75, v75
	v_cndmask_b32_e64 v93, 0, v73, s16
	s_delay_alu instid0(VALU_DEP_2) | instskip(NEXT) | instid1(VALU_DEP_1)
	v_add_f32_e32 v72, v72, v90
	v_add_f32_e32 v72, v72, v93
	s_waitcnt_depctr 0xfff
	v_cndmask_b32_e64 v92, 0, v75, s17
	s_delay_alu instid0(VALU_DEP_1)
	v_add_f32_e32 v72, v72, v92
	ds_bpermute_b32 v73, v74, v72
	s_and_saveexec_b32 s3, s2
	s_cbranch_execz .LBB1260_12
; %bb.11:
	v_mul_u32_u24_e32 v70, 0x44, v69
	s_waitcnt lgkmcnt(0)
	v_add_f32_e32 v72, v72, v73
	s_delay_alu instid0(VALU_DEP_2) | instskip(NEXT) | instid1(VALU_DEP_1)
	v_lshl_add_u32 v70, v68, 2, v70
	v_add_nc_u32_e32 v70, 0x4000, v70
	ds_store_2addr_b32 v70, v71, v72 offset1:136
.LBB1260_12:
	s_or_b32 exec_lo, exec_lo, s3
	v_lshlrev_b32_e32 v70, 2, v68
	s_load_b32 s35, s[0:1], 0x94
	s_waitcnt lgkmcnt(0)
	s_barrier
	buffer_gl0_inv
	v_add_nc_u32_e32 v98, 0x4000, v70
	v_cmp_eq_u32_e32 vcc_lo, 1, v69
	v_cmp_eq_u32_e64 s3, 2, v69
	v_cmp_eq_u32_e64 s4, 3, v69
	;; [unrolled: 1-line block ×3, first 2 shown]
	ds_load_2addr_b32 v[70:71], v98 offset1:17
	ds_load_2addr_b32 v[72:73], v98 offset0:34 offset1:51
	ds_load_2addr_b32 v[74:75], v98 offset0:68 offset1:85
	;; [unrolled: 1-line block ×3, first 2 shown]
	v_cmp_eq_u32_e64 s6, 5, v69
	v_cmp_eq_u32_e64 s7, 7, v69
	s_waitcnt lgkmcnt(3)
	v_max3_f32 v76, v70, 0xff7fffff, v71
	s_waitcnt lgkmcnt(2)
	s_delay_alu instid0(VALU_DEP_1) | instskip(SKIP_1) | instid1(VALU_DEP_1)
	v_max3_f32 v76, v76, v72, v73
	s_waitcnt lgkmcnt(1)
	v_max3_f32 v76, v76, v74, v75
	s_waitcnt lgkmcnt(0)
	s_delay_alu instid0(VALU_DEP_1) | instskip(NEXT) | instid1(VALU_DEP_1)
	v_max3_f32 v76, v76, v94, v95
	v_sub_f32_e32 v77, v71, v76
	ds_load_2addr_b32 v[96:97], v98 offset0:136 offset1:153
	v_sub_f32_e32 v74, v74, v76
	v_sub_f32_e32 v70, v70, v76
	;; [unrolled: 1-line block ×3, first 2 shown]
	v_dual_sub_f32 v72, v72, v76 :: v_dual_mul_f32 v77, 0x3fb8aa3b, v77
	s_delay_alu instid0(VALU_DEP_4) | instskip(NEXT) | instid1(VALU_DEP_4)
	v_mul_f32_e32 v103, 0x3fb8aa3b, v74
	v_mul_f32_e32 v99, 0x3fb8aa3b, v70
	ds_load_2addr_b32 v[70:71], v98 offset0:170 offset1:187
	v_dual_mul_f32 v101, 0x3fb8aa3b, v72 :: v_dual_mul_f32 v94, 0x3fb8aa3b, v94
	v_exp_f32_e32 v102, v77
	v_exp_f32_e32 v99, v99
	s_delay_alu instid0(VALU_DEP_1) | instskip(NEXT) | instid1(VALU_DEP_1)
	v_exp_f32_e32 v101, v101
	v_exp_f32_e32 v94, v94
	s_waitcnt lgkmcnt(1)
	s_delay_alu instid0(TRANS32_DEP_3)
	v_fma_f32 v77, v99, v96, 0
	v_sub_f32_e32 v100, v73, v76
	ds_load_2addr_b32 v[72:73], v98 offset0:204 offset1:221
	v_fmac_f32_e32 v77, v102, v97
	v_exp_f32_e32 v97, v103
	s_waitcnt lgkmcnt(1)
	s_delay_alu instid0(VALU_DEP_1)
	v_dual_fmac_f32 v77, v101, v70 :: v_dual_sub_f32 v96, v75, v76
	ds_load_2addr_b32 v[74:75], v98 offset0:238 offset1:255
	v_sub_f32_e32 v70, v95, v76
	s_waitcnt lgkmcnt(0)
	s_barrier
	v_mul_f32_e32 v96, 0x3fb8aa3b, v96
	buffer_gl0_inv
	v_exp_f32_e32 v95, v96
	v_mul_f32_e32 v100, 0x3fb8aa3b, v100
	s_delay_alu instid0(VALU_DEP_1) | instskip(SKIP_3) | instid1(VALU_DEP_2)
	v_exp_f32_e32 v100, v100
	s_waitcnt_depctr 0xfff
	v_dual_fmac_f32 v77, v100, v71 :: v_dual_mul_f32 v70, 0x3fb8aa3b, v70
	v_cndmask_b32_e32 v71, v99, v102, vcc_lo
	v_fmac_f32_e32 v77, v97, v72
	s_delay_alu instid0(VALU_DEP_3) | instskip(NEXT) | instid1(VALU_DEP_1)
	v_exp_f32_e32 v96, v70
	v_fmac_f32_e32 v77, v95, v73
	s_delay_alu instid0(VALU_DEP_1) | instskip(SKIP_2) | instid1(VALU_DEP_1)
	v_fmac_f32_e32 v77, v94, v74
	s_waitcnt_depctr 0xfff
	v_fmac_f32_e32 v77, v96, v75
	v_add_f32_e32 v74, 0x358637bd, v77
	s_delay_alu instid0(VALU_DEP_1) | instskip(SKIP_1) | instid1(VALU_DEP_2)
	v_div_scale_f32 v98, null, v74, v74, 1.0
	v_div_scale_f32 v99, vcc_lo, 1.0, v74, 1.0
	v_rcp_f32_e32 v103, v98
	s_waitcnt_depctr 0xfff
	v_fma_f32 v70, -v98, v103, 1.0
	s_delay_alu instid0(VALU_DEP_1) | instskip(SKIP_2) | instid1(VALU_DEP_2)
	v_fmac_f32_e32 v103, v70, v103
	v_cndmask_b32_e64 v70, v71, v101, s3
	v_cmp_eq_u32_e64 s3, 6, v69
	v_cndmask_b32_e64 v71, v70, v100, s4
	s_delay_alu instid0(VALU_DEP_4) | instskip(NEXT) | instid1(VALU_DEP_2)
	v_dual_mul_f32 v101, v99, v103 :: v_dual_lshlrev_b32 v70, 2, v66
	v_cndmask_b32_e64 v71, v71, v97, s5
	s_delay_alu instid0(VALU_DEP_2) | instskip(NEXT) | instid1(VALU_DEP_3)
	v_or_b32_e32 v72, 1, v70
	v_fma_f32 v100, -v98, v101, v99
	v_cmp_eq_u32_e64 s4, 1, v70
	v_cmp_eq_u32_e64 s5, 2, v70
	v_cndmask_b32_e64 v95, v71, v95, s6
	v_or_b32_e32 v71, 3, v70
	v_fmac_f32_e32 v101, v100, v103
	v_cmp_eq_u32_e64 s9, 1, v72
	v_cmp_eq_u32_e64 s12, 2, v72
	v_cndmask_b32_e64 v94, v95, v94, s3
	v_cmp_eq_u32_e64 s11, 1, v71
	v_fma_f32 v97, -v98, v101, v99
	v_cmp_eq_u32_e64 s16, 2, v71
	v_cmp_eq_u32_e64 s13, 3, v72
	v_cndmask_b32_e64 v94, v94, v96, s7
	v_cmp_eq_u32_e64 s18, 3, v71
	v_div_fmas_f32 v95, v97, v103, v101
	v_cmp_eq_u32_e32 vcc_lo, 3, v70
	v_cmp_eq_u32_e64 s3, 4, v70
	v_cmp_eq_u32_e64 s19, 4, v72
	v_cmp_eq_u32_e64 s22, 4, v71
	v_div_fixup_f32 v95, v95, v74, 1.0
	v_lshlrev_b32_e32 v73, 6, v68
	v_cmp_eq_u32_e64 s6, 5, v70
	v_cmp_eq_u32_e64 s20, 5, v72
	;; [unrolled: 1-line block ×3, first 2 shown]
	v_mul_f32_e32 v102, v94, v95
	v_lshl_or_b32 v75, v69, 11, v73
	v_or_b32_e32 v69, 2, v70
	v_cmp_eq_u32_e64 s25, 6, v72
	v_cmp_eq_u32_e64 s27, 6, v71
	v_fma_mixlo_f16 v94, v102, v79, 0
	v_fma_mixlo_f16 v95, v102, v81, 0
	;; [unrolled: 1-line block ×8, first 2 shown]
	v_lshl_or_b32 v74, v66, 4, v75
	v_fma_mixhi_f16 v94, v102, v78, 0
	v_fma_mixhi_f16 v95, v102, v80, 0
	;; [unrolled: 1-line block ×8, first 2 shown]
	ds_store_b128 v74, v[94:97]
	ds_store_b128 v74, v[98:101] offset:1024
	s_waitcnt lgkmcnt(0)
	s_barrier
	buffer_gl0_inv
	ds_load_b128 v[78:81], v75
	ds_load_b128 v[82:85], v75 offset:16
	ds_load_b128 v[86:89], v75 offset:1024
	;; [unrolled: 1-line block ×3, first 2 shown]
	v_cmp_eq_u32_e64 s10, 1, v69
	v_cmp_eq_u32_e64 s15, 2, v69
	;; [unrolled: 1-line block ×11, first 2 shown]
	s_waitcnt lgkmcnt(3)
	v_lshrrev_b32_e32 v94, 16, v78
	s_waitcnt lgkmcnt(2)
	v_lshrrev_b32_e32 v98, 16, v82
	s_waitcnt lgkmcnt(1)
	v_lshrrev_b32_e32 v102, 16, v86
	s_waitcnt lgkmcnt(0)
	v_lshrrev_b32_e32 v106, 16, v90
	v_lshrrev_b32_e32 v95, 16, v79
	v_cndmask_b32_e64 v110, v78, v94, s4
	v_cndmask_b32_e64 v111, v82, v98, s4
	;; [unrolled: 1-line block ×8, first 2 shown]
	v_lshrrev_b32_e32 v99, 16, v83
	v_cndmask_b32_e64 v94, v86, v102, s4
	v_cndmask_b32_e64 v98, v90, v106, s4
	;; [unrolled: 1-line block ×15, first 2 shown]
	v_lshrrev_b32_e32 v103, 16, v87
	v_lshrrev_b32_e32 v107, 16, v91
	v_cndmask_b32_e64 v113, v115, v83, s15
	v_cndmask_b32_e64 v82, v94, v87, s5
	;; [unrolled: 1-line block ×7, first 2 shown]
	v_cndmask_b32_e32 v90, v102, v95, vcc_lo
	v_cndmask_b32_e32 v102, v106, v99, vcc_lo
	v_cndmask_b32_e64 v106, v110, v95, s13
	v_cndmask_b32_e64 v110, v111, v99, s13
	;; [unrolled: 1-line block ×4, first 2 shown]
	v_lshrrev_b32_e32 v96, 16, v80
	v_lshrrev_b32_e32 v100, 16, v84
	v_cndmask_b32_e64 v111, v112, v95, s17
	v_cndmask_b32_e64 v112, v113, v99, s17
	v_cndmask_b32_e32 v82, v82, v103, vcc_lo
	v_cndmask_b32_e32 v83, v83, v107, vcc_lo
	v_cndmask_b32_e64 v94, v94, v103, s13
	v_cndmask_b32_e64 v90, v90, v80, s3
	;; [unrolled: 1-line block ×7, first 2 shown]
	v_lshrrev_b32_e32 v104, 16, v88
	v_cndmask_b32_e64 v106, v111, v80, s21
	v_cndmask_b32_e64 v110, v112, v84, s21
	;; [unrolled: 1-line block ×11, first 2 shown]
	v_lshrrev_b32_e32 v97, 16, v81
	v_lshrrev_b32_e32 v101, 16, v85
	v_cndmask_b32_e64 v99, v106, v96, s23
	v_cndmask_b32_e64 v102, v110, v100, s23
	;; [unrolled: 1-line block ×7, first 2 shown]
	v_lshrrev_b32_e32 v105, 16, v89
	v_cndmask_b32_e64 v80, v80, v104, s6
	v_cndmask_b32_e64 v84, v84, v81, s7
	;; [unrolled: 1-line block ×16, first 2 shown]
	v_perm_b32 v81, v79, v78, 0x5040100
	v_perm_b32 v79, v95, v85, 0x5040100
	v_cndmask_b32_e64 v78, v119, v91, s15
	v_cndmask_b32_e64 v85, v117, v91, s12
	;; [unrolled: 1-line block ×3, first 2 shown]
	v_perm_b32 v80, v94, v90, 0x5040100
	v_cndmask_b32_e64 v90, v98, v103, s17
	v_cndmask_b32_e64 v86, v86, v103, s18
	v_cndmask_b32_e64 v87, v87, v107, s18
	v_cndmask_b32_e64 v78, v78, v107, s17
	v_cndmask_b32_e64 v85, v85, v107, s13
	v_lshrrev_b32_e32 v108, 16, v92
	v_cndmask_b32_e64 v90, v90, v88, s21
	v_cndmask_b32_e64 v86, v86, v88, s22
	;; [unrolled: 1-line block ×11, first 2 shown]
	v_lshrrev_b32_e32 v109, 16, v93
	v_cndmask_b32_e64 v82, v82, v93, s7
	v_cndmask_b32_e64 v88, v88, v89, s26
	;; [unrolled: 1-line block ×12, first 2 shown]
	v_perm_b32 v78, v84, v83, 0x5040100
	v_perm_b32 v85, v87, v86, 0x5040100
	;; [unrolled: 1-line block ×5, first 2 shown]
	s_mul_i32 s8, s33, 15
	s_mov_b32 s3, exec_lo
	ds_store_b128 v74, v[78:81]
	ds_store_b128 v74, v[82:85] offset:1024
	v_cmpx_gt_u32_e32 15, v0
	s_cbranch_execz .LBB1260_14
; %bb.13:
	s_mul_i32 s4, s8, s34
	s_delay_alu instid0(SALU_CYCLE_1) | instskip(SKIP_1) | instid1(VALU_DEP_1)
	v_add3_u32 v68, s4, s31, v68
	s_load_b128 s[4:7], s[0:1], 0x58
	v_mad_u64_u32 v[78:79], null, v68, s35, s[14:15]
	s_delay_alu instid0(VALU_DEP_1) | instskip(NEXT) | instid1(VALU_DEP_1)
	v_ashrrev_i32_e32 v79, 31, v78
	v_lshlrev_b64 v[78:79], 2, v[78:79]
	s_waitcnt lgkmcnt(0)
	s_delay_alu instid0(VALU_DEP_1) | instskip(NEXT) | instid1(VALU_DEP_2)
	v_add_co_u32 v80, vcc_lo, s6, v78
	v_add_co_ci_u32_e32 v81, vcc_lo, s7, v79, vcc_lo
	v_add_co_u32 v78, vcc_lo, s4, v78
	v_add_co_ci_u32_e32 v79, vcc_lo, s5, v79, vcc_lo
	global_store_b32 v[80:81], v76, off
	global_store_b32 v[78:79], v77, off
.LBB1260_14:
	s_or_b32 exec_lo, exec_lo, s3
	s_waitcnt lgkmcnt(0)
	s_waitcnt_vscnt null, 0x0
	s_barrier
	buffer_gl0_inv
	ds_load_b128 v[84:87], v73
	ds_load_b128 v[88:91], v73 offset:16
	ds_load_b128 v[96:99], v73 offset:2064
	;; [unrolled: 1-line block ×5, first 2 shown]
	v_cmp_eq_u32_e32 vcc_lo, 1, v70
	v_mov_b32_e32 v76, 0
	ds_load_b128 v[112:115], v73 offset:6160
	ds_load_b128 v[108:111], v73 offset:6144
	;; [unrolled: 1-line block ×4, first 2 shown]
	v_cmp_eq_u32_e64 s4, 1, v69
	v_cmp_eq_u32_e64 s3, 1, v72
	;; [unrolled: 1-line block ×3, first 2 shown]
	v_mov_b32_e32 v77, v76
	v_mov_b32_e32 v78, v76
	;; [unrolled: 1-line block ×7, first 2 shown]
	v_cmp_eq_u32_e64 s6, 3, v72
	v_cmp_eq_u32_e64 s7, 7, v72
	s_waitcnt lgkmcnt(8)
	s_delay_alu instid0(VALU_DEP_3)
	v_wmma_f32_16x16x16_f16 v[76:83], v[49:56], v[84:91], v[76:83]
	ds_load_b128 v[53:56], v73 offset:10256
	ds_load_b128 v[49:52], v73 offset:10240
	s_waitcnt lgkmcnt(8)
	v_wmma_f32_16x16x16_f16 v[76:83], v[41:48], v[92:99], v[76:83]
	ds_load_b128 v[45:48], v73 offset:12304
	ds_load_b128 v[41:44], v73 offset:12288
	s_waitcnt lgkmcnt(8)
	;; [unrolled: 4-line block ×3, first 2 shown]
	s_barrier
	buffer_gl0_inv
	v_wmma_f32_16x16x16_f16 v[76:83], v[1:8], v[108:115], v[76:83]
	s_delay_alu instid0(VALU_DEP_1) | instskip(NEXT) | instid1(VALU_DEP_1)
	v_wmma_f32_16x16x16_f16 v[76:83], v[9:16], v[116:123], v[76:83]
	v_wmma_f32_16x16x16_f16 v[76:83], v[17:24], v[49:56], v[76:83]
	s_delay_alu instid0(VALU_DEP_1) | instskip(NEXT) | instid1(VALU_DEP_1)
	v_wmma_f32_16x16x16_f16 v[76:83], v[25:32], v[41:48], v[76:83]
	v_wmma_f32_16x16x16_f16 v[76:83], v[57:64], v[33:40], v[76:83]
	s_delay_alu instid0(VALU_DEP_1) | instskip(NEXT) | instid1(VALU_DEP_2)
	v_cvt_f16_f32_e32 v1, v76
	v_cvt_f16_f32_e32 v2, v77
	s_delay_alu instid0(VALU_DEP_3) | instskip(NEXT) | instid1(VALU_DEP_4)
	v_cvt_f16_f32_e32 v3, v78
	v_cvt_f16_f32_e32 v4, v79
	;; [unrolled: 1-line block ×6, first 2 shown]
	v_pack_b32_f16 v1, v1, v2
	v_pack_b32_f16 v2, v3, v4
	;; [unrolled: 1-line block ×3, first 2 shown]
	s_delay_alu instid0(VALU_DEP_4)
	v_pack_b32_f16 v4, v7, v8
	ds_store_b128 v74, v[1:4]
	s_waitcnt lgkmcnt(0)
	s_barrier
	buffer_gl0_inv
	ds_load_b128 v[1:4], v75
	ds_load_b128 v[5:8], v75 offset:16
	s_waitcnt lgkmcnt(1)
	v_lshrrev_b32_e32 v9, 16, v1
	s_waitcnt lgkmcnt(0)
	v_lshrrev_b32_e32 v13, 16, v5
	v_lshrrev_b32_e32 v10, 16, v2
	;; [unrolled: 1-line block ×4, first 2 shown]
	v_cndmask_b32_e32 v17, v1, v9, vcc_lo
	v_cndmask_b32_e32 v18, v5, v13, vcc_lo
	v_cndmask_b32_e64 v21, v1, v9, s4
	v_cmp_eq_u32_e32 vcc_lo, 1, v71
	v_cndmask_b32_e64 v22, v5, v13, s4
	v_cmp_eq_u32_e64 s4, 2, v70
	v_cndmask_b32_e64 v19, v1, v9, s3
	v_cndmask_b32_e64 v20, v5, v13, s3
	v_cndmask_b32_e32 v1, v1, v9, vcc_lo
	v_cmp_eq_u32_e64 s3, 2, v71
	v_cndmask_b32_e32 v5, v5, v13, vcc_lo
	v_cndmask_b32_e64 v9, v17, v2, s4
	v_cmp_eq_u32_e32 vcc_lo, 3, v70
	v_cndmask_b32_e64 v13, v18, v6, s4
	v_cmp_eq_u32_e64 s4, 2, v69
	v_cndmask_b32_e64 v17, v19, v2, s5
	v_cndmask_b32_e64 v18, v20, v6, s5
	v_cmp_eq_u32_e64 s5, 3, v69
	v_cndmask_b32_e64 v1, v1, v2, s3
	v_cndmask_b32_e64 v19, v21, v2, s4
	;; [unrolled: 1-line block ×4, first 2 shown]
	v_cndmask_b32_e32 v5, v9, v10, vcc_lo
	v_cndmask_b32_e32 v6, v13, v14, vcc_lo
	v_cmp_eq_u32_e32 vcc_lo, 3, v71
	v_cndmask_b32_e64 v9, v17, v10, s6
	v_cndmask_b32_e64 v13, v18, v14, s6
	;; [unrolled: 1-line block ×3, first 2 shown]
	v_cmp_eq_u32_e64 s4, 4, v70
	v_cndmask_b32_e32 v1, v1, v10, vcc_lo
	v_cndmask_b32_e32 v2, v2, v14, vcc_lo
	v_cmp_eq_u32_e32 vcc_lo, 4, v72
	v_lshrrev_b32_e32 v15, 16, v7
	v_lshrrev_b32_e32 v16, 16, v8
	v_cndmask_b32_e64 v17, v19, v10, s5
	v_cmp_eq_u32_e64 s3, 4, v71
	v_cndmask_b32_e64 v5, v5, v3, s4
	v_cndmask_b32_e64 v6, v6, v7, s4
	v_cndmask_b32_e32 v9, v9, v3, vcc_lo
	v_cmp_eq_u32_e64 s4, 5, v72
	v_cndmask_b32_e32 v10, v13, v7, vcc_lo
	v_cmp_eq_u32_e32 vcc_lo, 4, v69
	v_cmp_eq_u32_e64 s5, 5, v70
	v_cndmask_b32_e64 v2, v2, v7, s3
	v_cndmask_b32_e64 v9, v9, v11, s4
	;; [unrolled: 1-line block ×3, first 2 shown]
	v_cndmask_b32_e32 v13, v17, v3, vcc_lo
	v_cmp_eq_u32_e64 s4, 5, v69
	v_cndmask_b32_e32 v14, v18, v7, vcc_lo
	v_cndmask_b32_e64 v1, v1, v3, s3
	v_cmp_eq_u32_e32 vcc_lo, 5, v71
	v_lshrrev_b32_e32 v12, 16, v4
	v_cndmask_b32_e64 v13, v13, v11, s4
	v_cndmask_b32_e64 v3, v14, v15, s4
	v_cmp_eq_u32_e64 s4, 6, v71
	v_cndmask_b32_e32 v1, v1, v11, vcc_lo
	v_cndmask_b32_e64 v5, v5, v11, s5
	v_cmp_eq_u32_e64 s6, 6, v70
	v_cndmask_b32_e64 v6, v6, v15, s5
	v_cmp_eq_u32_e64 s5, 6, v72
	v_cmp_eq_u32_e64 s3, 6, v69
	v_cndmask_b32_e64 v1, v1, v4, s4
	v_cndmask_b32_e32 v2, v2, v15, vcc_lo
	v_cmp_eq_u32_e32 vcc_lo, 7, v71
	v_cndmask_b32_e64 v5, v5, v4, s6
	v_cndmask_b32_e64 v9, v9, v4, s5
	;; [unrolled: 1-line block ×3, first 2 shown]
	v_cmp_eq_u32_e64 s6, 7, v70
	v_cndmask_b32_e32 v1, v1, v12, vcc_lo
	v_cndmask_b32_e64 v7, v13, v4, s3
	v_cndmask_b32_e64 v3, v3, v8, s3
	;; [unrolled: 1-line block ×3, first 2 shown]
	v_cmp_eq_u32_e64 s3, 7, v69
	v_cndmask_b32_e64 v4, v10, v8, s5
	v_cndmask_b32_e64 v5, v5, v12, s6
	;; [unrolled: 1-line block ×3, first 2 shown]
	v_cndmask_b32_e32 v2, v2, v16, vcc_lo
	v_cndmask_b32_e64 v7, v7, v12, s3
	v_cndmask_b32_e64 v3, v3, v16, s3
	;; [unrolled: 1-line block ×4, first 2 shown]
	v_perm_b32 v4, v2, v1, 0x5040100
	s_mov_b32 s3, exec_lo
	v_perm_b32 v3, v3, v7, 0x5040100
	v_perm_b32 v2, v8, v9, 0x5040100
	;; [unrolled: 1-line block ×3, first 2 shown]
	ds_store_b128 v74, v[1:4]
	s_waitcnt lgkmcnt(0)
	s_barrier
	buffer_gl0_inv
	v_cmpx_gt_u32_e32 32, v0
	s_cbranch_execz .LBB1260_2
; %bb.15:
	s_load_b64 s[4:5], s[0:1], 0x68
	v_add_nc_u32_e32 v20, s31, v66
	v_lshlrev_b32_e32 v0, 10, v0
	v_lshlrev_b32_e32 v1, 4, v67
	s_lshl_b32 s0, s35, 7
	s_delay_alu instid0(SALU_CYCLE_1)
	s_mul_i32 s1, s0, s34
	v_add_nc_u32_e32 v2, 2, v20
	s_mul_i32 s6, s1, s8
	v_and_or_b32 v0, 0x3800, v0, v1
	v_mul_lo_u32 v1, v20, s0
	s_ashr_i32 s7, s6, 31
	v_mul_lo_u32 v11, v2, s0
	s_lshl_b64 s[6:7], s[6:7], 1
	v_add_nc_u32_e32 v3, 4, v20
	v_lshl_or_b32 v21, v66, 6, v0
	v_add_nc_u32_e32 v16, 6, v20
	v_ashrrev_i32_e32 v2, 31, v1
	s_delay_alu instid0(VALU_DEP_4)
	v_mul_lo_u32 v13, v3, s0
	s_waitcnt lgkmcnt(0)
	s_add_u32 s1, s4, s6
	s_addc_u32 s3, s5, s7
	s_lshl_b32 s4, s14, 7
	ds_load_b128 v[3:6], v21
	ds_load_b128 v[7:10], v21 offset:128
	s_ashr_i32 s5, s4, 31
	v_ashrrev_i32_e32 v12, 31, v11
	s_lshl_b64 s[4:5], s[4:5], 1
	v_lshlrev_b64 v[14:15], 1, v[1:2]
	s_add_u32 s1, s1, s4
	s_addc_u32 s3, s3, s5
	v_add_co_u32 v1, s1, s1, v65
	s_delay_alu instid0(VALU_DEP_1) | instskip(SKIP_1) | instid1(VALU_DEP_3)
	v_add_co_ci_u32_e64 v2, null, s3, 0, s1
	v_lshlrev_b64 v[11:12], 1, v[11:12]
	v_add_co_u32 v18, vcc_lo, v1, v14
	v_mul_lo_u32 v16, v16, s0
	s_delay_alu instid0(VALU_DEP_4) | instskip(NEXT) | instid1(VALU_DEP_4)
	v_add_co_ci_u32_e32 v19, vcc_lo, v2, v15, vcc_lo
	v_add_co_u32 v11, vcc_lo, v1, v11
	v_ashrrev_i32_e32 v14, 31, v13
	v_add_co_ci_u32_e32 v12, vcc_lo, v2, v12, vcc_lo
	v_add_nc_u32_e32 v15, 8, v20
	v_ashrrev_i32_e32 v17, 31, v16
	s_waitcnt lgkmcnt(1)
	global_store_b128 v[18:19], v[3:6], off
	v_lshlrev_b64 v[3:4], 1, v[13:14]
	s_waitcnt lgkmcnt(0)
	global_store_b128 v[11:12], v[7:10], off
	v_mul_lo_u32 v11, v15, s0
	v_add_nc_u32_e32 v7, 10, v20
	v_lshlrev_b64 v[5:6], 1, v[16:17]
	v_add_co_u32 v23, vcc_lo, v1, v3
	v_add_nc_u32_e32 v3, 12, v20
	s_delay_alu instid0(VALU_DEP_4)
	v_mul_lo_u32 v25, v7, s0
	v_ashrrev_i32_e32 v12, 31, v11
	v_add_co_ci_u32_e32 v24, vcc_lo, v2, v4, vcc_lo
	v_add_co_u32 v27, vcc_lo, v1, v5
	v_mul_lo_u32 v29, v3, s0
	v_add_co_ci_u32_e32 v28, vcc_lo, v2, v6, vcc_lo
	ds_load_b128 v[3:6], v21 offset:256
	ds_load_b128 v[7:10], v21 offset:384
	v_lshlrev_b64 v[31:32], 1, v[11:12]
	ds_load_b128 v[11:14], v21 offset:512
	ds_load_b128 v[15:18], v21 offset:640
	;; [unrolled: 1-line block ×3, first 2 shown]
	v_ashrrev_i32_e32 v26, 31, v25
	v_ashrrev_i32_e32 v30, 31, v29
	v_add_co_u32 v31, vcc_lo, v1, v31
	s_delay_alu instid0(VALU_DEP_3) | instskip(NEXT) | instid1(VALU_DEP_3)
	v_lshlrev_b64 v[25:26], 1, v[25:26]
	v_lshlrev_b64 v[29:30], 1, v[29:30]
	v_add_co_ci_u32_e32 v32, vcc_lo, v2, v32, vcc_lo
	s_delay_alu instid0(VALU_DEP_3) | instskip(NEXT) | instid1(VALU_DEP_4)
	v_add_co_u32 v25, vcc_lo, v1, v25
	v_add_co_ci_u32_e32 v26, vcc_lo, v2, v26, vcc_lo
	s_delay_alu instid0(VALU_DEP_4)
	v_add_co_u32 v29, vcc_lo, v1, v29
	v_add_co_ci_u32_e32 v30, vcc_lo, v2, v30, vcc_lo
	s_waitcnt lgkmcnt(4)
	global_store_b128 v[23:24], v[3:6], off
	s_waitcnt lgkmcnt(3)
	global_store_b128 v[27:28], v[7:10], off
	;; [unrolled: 2-line block ×5, first 2 shown]
	s_and_b32 exec_lo, exec_lo, s2
	s_cbranch_execz .LBB1260_2
; %bb.16:
	ds_load_b128 v[3:6], v0 offset:896
	s_add_i32 s1, s31, 14
	s_delay_alu instid0(SALU_CYCLE_1) | instskip(NEXT) | instid1(SALU_CYCLE_1)
	s_mul_i32 s0, s1, s0
	s_ashr_i32 s1, s0, 31
	s_delay_alu instid0(SALU_CYCLE_1) | instskip(NEXT) | instid1(SALU_CYCLE_1)
	s_lshl_b64 s[0:1], s[0:1], 1
	v_add_co_u32 v0, vcc_lo, v1, s0
	v_add_co_ci_u32_e32 v1, vcc_lo, s1, v2, vcc_lo
	s_waitcnt lgkmcnt(0)
	global_store_b128 v[0:1], v[3:6], off
	s_nop 0
	s_sendmsg sendmsg(MSG_DEALLOC_VGPRS)
	s_endpgm
	.section	.rodata,"a",@progbits
	.p2align	6, 0x0
	.amdhsa_kernel _Z39paged_attention_ll4mi_QKV_mfma16_kernelIDF16_hLN4vllm18Fp8KVCacheDataTypeE1EDF16_Li16ELi128ELi256ELb1ELi15EL8MFMAType0EEvPKT_PKT0_S8_ifPKiSA_SA_iPKfiiiPfSD_PS3_PT2_iSC_SC_
		.amdhsa_group_segment_fixed_size 17472
		.amdhsa_private_segment_fixed_size 0
		.amdhsa_kernarg_size 400
		.amdhsa_user_sgpr_count 13
		.amdhsa_user_sgpr_dispatch_ptr 0
		.amdhsa_user_sgpr_queue_ptr 0
		.amdhsa_user_sgpr_kernarg_segment_ptr 1
		.amdhsa_user_sgpr_dispatch_id 0
		.amdhsa_user_sgpr_private_segment_size 0
		.amdhsa_wavefront_size32 1
		.amdhsa_uses_dynamic_stack 0
		.amdhsa_enable_private_segment 0
		.amdhsa_system_sgpr_workgroup_id_x 1
		.amdhsa_system_sgpr_workgroup_id_y 1
		.amdhsa_system_sgpr_workgroup_id_z 1
		.amdhsa_system_sgpr_workgroup_info 0
		.amdhsa_system_vgpr_workitem_id 0
		.amdhsa_next_free_vgpr 150
		.amdhsa_next_free_sgpr 36
		.amdhsa_reserve_vcc 1
		.amdhsa_float_round_mode_32 0
		.amdhsa_float_round_mode_16_64 0
		.amdhsa_float_denorm_mode_32 3
		.amdhsa_float_denorm_mode_16_64 3
		.amdhsa_dx10_clamp 1
		.amdhsa_ieee_mode 1
		.amdhsa_fp16_overflow 0
		.amdhsa_workgroup_processor_mode 1
		.amdhsa_memory_ordered 1
		.amdhsa_forward_progress 0
		.amdhsa_shared_vgpr_count 0
		.amdhsa_exception_fp_ieee_invalid_op 0
		.amdhsa_exception_fp_denorm_src 0
		.amdhsa_exception_fp_ieee_div_zero 0
		.amdhsa_exception_fp_ieee_overflow 0
		.amdhsa_exception_fp_ieee_underflow 0
		.amdhsa_exception_fp_ieee_inexact 0
		.amdhsa_exception_int_div_zero 0
	.end_amdhsa_kernel
	.section	.text._Z39paged_attention_ll4mi_QKV_mfma16_kernelIDF16_hLN4vllm18Fp8KVCacheDataTypeE1EDF16_Li16ELi128ELi256ELb1ELi15EL8MFMAType0EEvPKT_PKT0_S8_ifPKiSA_SA_iPKfiiiPfSD_PS3_PT2_iSC_SC_,"axG",@progbits,_Z39paged_attention_ll4mi_QKV_mfma16_kernelIDF16_hLN4vllm18Fp8KVCacheDataTypeE1EDF16_Li16ELi128ELi256ELb1ELi15EL8MFMAType0EEvPKT_PKT0_S8_ifPKiSA_SA_iPKfiiiPfSD_PS3_PT2_iSC_SC_,comdat
.Lfunc_end1260:
	.size	_Z39paged_attention_ll4mi_QKV_mfma16_kernelIDF16_hLN4vllm18Fp8KVCacheDataTypeE1EDF16_Li16ELi128ELi256ELb1ELi15EL8MFMAType0EEvPKT_PKT0_S8_ifPKiSA_SA_iPKfiiiPfSD_PS3_PT2_iSC_SC_, .Lfunc_end1260-_Z39paged_attention_ll4mi_QKV_mfma16_kernelIDF16_hLN4vllm18Fp8KVCacheDataTypeE1EDF16_Li16ELi128ELi256ELb1ELi15EL8MFMAType0EEvPKT_PKT0_S8_ifPKiSA_SA_iPKfiiiPfSD_PS3_PT2_iSC_SC_
                                        ; -- End function
	.section	.AMDGPU.csdata,"",@progbits
; Kernel info:
; codeLenInByte = 6892
; NumSgprs: 38
; NumVgprs: 150
; ScratchSize: 0
; MemoryBound: 0
; FloatMode: 240
; IeeeMode: 1
; LDSByteSize: 17472 bytes/workgroup (compile time only)
; SGPRBlocks: 4
; VGPRBlocks: 18
; NumSGPRsForWavesPerEU: 38
; NumVGPRsForWavesPerEU: 150
; Occupancy: 9
; WaveLimiterHint : 1
; COMPUTE_PGM_RSRC2:SCRATCH_EN: 0
; COMPUTE_PGM_RSRC2:USER_SGPR: 13
; COMPUTE_PGM_RSRC2:TRAP_HANDLER: 0
; COMPUTE_PGM_RSRC2:TGID_X_EN: 1
; COMPUTE_PGM_RSRC2:TGID_Y_EN: 1
; COMPUTE_PGM_RSRC2:TGID_Z_EN: 1
; COMPUTE_PGM_RSRC2:TIDIG_COMP_CNT: 0
	.section	.text._Z39paged_attention_ll4mi_QKV_mfma16_kernelIDF16_hLN4vllm18Fp8KVCacheDataTypeE1EDF16_Li16ELi128ELi256ELb1ELi16EL8MFMAType0EEvPKT_PKT0_S8_ifPKiSA_SA_iPKfiiiPfSD_PS3_PT2_iSC_SC_,"axG",@progbits,_Z39paged_attention_ll4mi_QKV_mfma16_kernelIDF16_hLN4vllm18Fp8KVCacheDataTypeE1EDF16_Li16ELi128ELi256ELb1ELi16EL8MFMAType0EEvPKT_PKT0_S8_ifPKiSA_SA_iPKfiiiPfSD_PS3_PT2_iSC_SC_,comdat
	.protected	_Z39paged_attention_ll4mi_QKV_mfma16_kernelIDF16_hLN4vllm18Fp8KVCacheDataTypeE1EDF16_Li16ELi128ELi256ELb1ELi16EL8MFMAType0EEvPKT_PKT0_S8_ifPKiSA_SA_iPKfiiiPfSD_PS3_PT2_iSC_SC_ ; -- Begin function _Z39paged_attention_ll4mi_QKV_mfma16_kernelIDF16_hLN4vllm18Fp8KVCacheDataTypeE1EDF16_Li16ELi128ELi256ELb1ELi16EL8MFMAType0EEvPKT_PKT0_S8_ifPKiSA_SA_iPKfiiiPfSD_PS3_PT2_iSC_SC_
	.globl	_Z39paged_attention_ll4mi_QKV_mfma16_kernelIDF16_hLN4vllm18Fp8KVCacheDataTypeE1EDF16_Li16ELi128ELi256ELb1ELi16EL8MFMAType0EEvPKT_PKT0_S8_ifPKiSA_SA_iPKfiiiPfSD_PS3_PT2_iSC_SC_
	.p2align	8
	.type	_Z39paged_attention_ll4mi_QKV_mfma16_kernelIDF16_hLN4vllm18Fp8KVCacheDataTypeE1EDF16_Li16ELi128ELi256ELb1ELi16EL8MFMAType0EEvPKT_PKT0_S8_ifPKiSA_SA_iPKfiiiPfSD_PS3_PT2_iSC_SC_,@function
_Z39paged_attention_ll4mi_QKV_mfma16_kernelIDF16_hLN4vllm18Fp8KVCacheDataTypeE1EDF16_Li16ELi128ELi256ELb1ELi16EL8MFMAType0EEvPKT_PKT0_S8_ifPKiSA_SA_iPKfiiiPfSD_PS3_PT2_iSC_SC_: ; @_Z39paged_attention_ll4mi_QKV_mfma16_kernelIDF16_hLN4vllm18Fp8KVCacheDataTypeE1EDF16_Li16ELi128ELi256ELb1ELi16EL8MFMAType0EEvPKT_PKT0_S8_ifPKiSA_SA_iPKfiiiPfSD_PS3_PT2_iSC_SC_
; %bb.0:
	s_load_b64 s[4:5], s[0:1], 0x30
	s_mov_b32 s30, s13
	s_waitcnt lgkmcnt(0)
	s_cmp_lg_u64 s[4:5], 0
	s_cselect_b32 s8, -1, 0
	s_ashr_i32 s31, s13, 31
	s_cmp_eq_u64 s[4:5], 0
	s_cbranch_scc1 .LBB1261_3
; %bb.1:
	s_lshl_b64 s[2:3], s[30:31], 2
	s_delay_alu instid0(SALU_CYCLE_1) | instskip(SKIP_4) | instid1(SALU_CYCLE_1)
	s_add_u32 s2, s4, s2
	s_addc_u32 s3, s5, s3
	s_load_b64 s[2:3], s[2:3], 0x0
	s_waitcnt lgkmcnt(0)
	s_sub_i32 s2, s3, s2
	s_cmp_eq_u32 s2, 1
	s_cselect_b32 s2, -1, 0
	s_delay_alu instid0(SALU_CYCLE_1)
	s_and_not1_b32 vcc_lo, exec_lo, s2
	s_cbranch_vccz .LBB1261_4
.LBB1261_2:
	s_endpgm
.LBB1261_3:
.LBB1261_4:
	s_load_b64 s[2:3], s[0:1], 0x28
	s_lshl_b64 s[6:7], s[30:31], 2
	s_waitcnt lgkmcnt(0)
	s_add_u32 s2, s2, s6
	s_addc_u32 s3, s3, s7
	s_lshl_b32 s12, s14, 8
	s_load_b32 s24, s[2:3], 0x0
	s_waitcnt lgkmcnt(0)
	s_cmp_ge_i32 s12, s24
	s_cbranch_scc1 .LBB1261_2
; %bb.5:
	s_clause 0x1
	s_load_b128 s[20:23], s[0:1], 0x8
	s_load_b64 s[2:3], s[0:1], 0x20
	s_and_not1_b32 vcc_lo, exec_lo, s8
	s_cbranch_vccnz .LBB1261_7
; %bb.6:
	s_add_u32 s4, s4, s6
	s_addc_u32 s5, s5, s7
	s_load_b32 s5, s[4:5], 0x0
	s_branch .LBB1261_8
.LBB1261_7:
	s_mov_b32 s5, s30
.LBB1261_8:
	s_load_b128 s[16:19], s[0:1], 0x48
	v_and_b32_e32 v70, 15, v0
	v_lshrrev_b32_e32 v69, 5, v0
	v_and_b32_e32 v71, 31, v0
	v_and_b32_e32 v67, 1, v0
	v_bfe_u32 v66, v0, 4, 1
	v_lshlrev_b32_e32 v1, 3, v70
	s_lshl_b32 s31, s15, 4
	s_mov_b32 s4, exec_lo
	s_delay_alu instid0(VALU_DEP_1)
	v_lshlrev_b32_e32 v65, 1, v1
	v_cmpx_gt_u32_e32 0x100, v0
	s_cbranch_execz .LBB1261_10
; %bb.9:
	v_lshl_or_b32 v5, v69, 1, v66
	s_load_b64 s[6:7], s[0:1], 0x0
	s_waitcnt lgkmcnt(0)
	s_mul_hi_i32 s9, s5, s16
	s_mul_i32 s8, s5, s16
	v_lshlrev_b32_e32 v6, 10, v70
	v_or_b32_e32 v1, s31, v5
	s_lshl_b64 s[8:9], s[8:9], 1
	v_lshlrev_b32_e32 v5, 6, v5
	v_lshlrev_b32_e32 v7, 10, v67
	v_and_b32_e32 v6, 0x3800, v6
	v_lshlrev_b32_e32 v1, 7, v1
	s_delay_alu instid0(VALU_DEP_2) | instskip(NEXT) | instid1(VALU_DEP_2)
	v_or3_b32 v5, v6, v7, v5
	v_ashrrev_i32_e32 v2, 31, v1
	s_delay_alu instid0(VALU_DEP_1) | instskip(SKIP_2) | instid1(VALU_DEP_1)
	v_lshlrev_b64 v[1:2], 1, v[1:2]
	s_add_u32 s5, s6, s8
	s_addc_u32 s6, s7, s9
	v_add_co_u32 v1, vcc_lo, s5, v1
	s_delay_alu instid0(VALU_DEP_2) | instskip(NEXT) | instid1(VALU_DEP_2)
	v_add_co_ci_u32_e32 v2, vcc_lo, s6, v2, vcc_lo
	v_add_co_u32 v1, vcc_lo, v1, v65
	s_delay_alu instid0(VALU_DEP_2)
	v_add_co_ci_u32_e32 v2, vcc_lo, 0, v2, vcc_lo
	global_load_b128 v[1:4], v[1:2], off
	s_waitcnt vmcnt(0)
	ds_store_b128 v5, v[1:4]
.LBB1261_10:
	s_or_b32 exec_lo, exec_lo, s4
	v_and_b32_e32 v1, 0xef, v0
	s_waitcnt lgkmcnt(0)
	s_add_i32 s5, s24, 15
	s_clause 0x1
	s_load_b32 s4, s[0:1], 0x38
	s_load_b32 s33, s[0:1], 0x98
	s_ashr_i32 s6, s5, 31
	v_add_nc_u32_e32 v1, s12, v1
	s_lshr_b32 s6, s6, 28
	s_load_b32 s19, s[0:1], 0x1c
	s_add_i32 s5, s5, s6
	s_waitcnt lgkmcnt(0)
	v_ashrrev_i32_e32 v2, 31, v1
	v_or_b32_e32 v3, 16, v1
	s_ashr_i32 s13, s5, 4
	v_cmp_gt_i32_e32 vcc_lo, s24, v1
	s_add_i32 s13, s13, -1
	v_lshrrev_b32_e32 v2, 28, v2
	s_barrier
	buffer_gl0_inv
	s_mul_i32 s15, s15, s18
	v_lshlrev_b32_e32 v41, 4, v70
	v_add_nc_u32_e32 v4, v1, v2
	s_mul_i32 s4, s30, s4
	s_delay_alu instid0(SALU_CYCLE_1) | instskip(NEXT) | instid1(VALU_DEP_1)
	s_ashr_i32 s5, s4, 31
	v_ashrrev_i32_e32 v4, 4, v4
	v_add_nc_u32_e32 v2, v3, v2
	s_lshl_b64 s[4:5], s[4:5], 2
	v_lshl_or_b32 v41, v69, 8, v41
	s_add_u32 s16, s2, s4
	v_cndmask_b32_e32 v1, s13, v4, vcc_lo
	v_ashrrev_i32_e32 v2, 4, v2
	v_cmp_gt_i32_e32 vcc_lo, s24, v3
	s_addc_u32 s25, s3, s5
	s_ashr_i32 s18, s15, 31
	s_add_u32 s26, s20, s15
	s_addc_u32 s27, s21, s18
	v_cndmask_b32_e32 v3, s13, v2, vcc_lo
	v_ashrrev_i32_e32 v2, 31, v1
	s_lshl_b32 s2, s14, 4
	s_delay_alu instid0(SALU_CYCLE_1) | instskip(NEXT) | instid1(VALU_DEP_2)
	s_ashr_i32 s3, s2, 31
	v_ashrrev_i32_e32 v4, 31, v3
	s_delay_alu instid0(VALU_DEP_2) | instskip(SKIP_1) | instid1(SALU_CYCLE_1)
	v_lshlrev_b64 v[1:2], 2, v[1:2]
	s_lshl_b64 s[2:3], s[2:3], 2
	s_add_u32 s2, s16, s2
	s_delay_alu instid0(VALU_DEP_2) | instskip(SKIP_1) | instid1(VALU_DEP_2)
	v_lshlrev_b64 v[3:4], 2, v[3:4]
	s_addc_u32 s3, s25, s3
	v_add_co_u32 v1, vcc_lo, s16, v1
	v_add_co_ci_u32_e32 v2, vcc_lo, s25, v2, vcc_lo
	s_delay_alu instid0(VALU_DEP_3) | instskip(NEXT) | instid1(VALU_DEP_4)
	v_add_co_u32 v3, vcc_lo, s16, v3
	v_add_co_ci_u32_e32 v4, vcc_lo, s25, v4, vcc_lo
	s_clause 0x1
	global_load_b32 v5, v[1:2], off
	global_load_b32 v3, v[3:4], off
	s_or_b32 s4, s12, 32
	v_lshlrev_b32_e32 v1, 4, v0
	s_ashr_i32 s5, s4, 4
	s_cmp_lt_i32 s4, s24
	s_cselect_b32 s4, s5, s13
	s_delay_alu instid0(VALU_DEP_1) | instskip(SKIP_1) | instid1(SALU_CYCLE_1)
	v_and_b32_e32 v1, 0xf0, v1
	s_ashr_i32 s5, s4, 31
	s_lshl_b64 s[4:5], s[4:5], 2
	s_delay_alu instid0(SALU_CYCLE_1)
	s_add_u32 s4, s16, s4
	s_addc_u32 s5, s25, s5
	s_or_b32 s6, s12, 64
	v_add_co_u32 v1, s26, s26, v1
	s_ashr_i32 s7, s6, 4
	s_cmp_lt_i32 s6, s24
	v_add_co_ci_u32_e64 v2, null, s27, 0, s26
	s_cselect_b32 s6, s7, s13
	s_delay_alu instid0(SALU_CYCLE_1) | instskip(NEXT) | instid1(SALU_CYCLE_1)
	s_ashr_i32 s7, s6, 31
	s_lshl_b64 s[6:7], s[6:7], 2
	s_delay_alu instid0(SALU_CYCLE_1) | instskip(SKIP_2) | instid1(SALU_CYCLE_1)
	s_add_u32 s6, s16, s6
	s_addc_u32 s7, s25, s7
	s_or_b32 s8, s12, 0x60
	s_ashr_i32 s9, s8, 4
	s_cmp_lt_i32 s8, s24
	s_cselect_b32 s8, s9, s13
	s_delay_alu instid0(SALU_CYCLE_1) | instskip(NEXT) | instid1(SALU_CYCLE_1)
	s_ashr_i32 s9, s8, 31
	s_lshl_b64 s[8:9], s[8:9], 2
	s_delay_alu instid0(SALU_CYCLE_1) | instskip(SKIP_2) | instid1(SALU_CYCLE_1)
	s_add_u32 s8, s16, s8
	s_addc_u32 s9, s25, s9
	s_or_b32 s10, s12, 0x80
	s_ashr_i32 s11, s10, 4
	s_cmp_lt_i32 s10, s24
	;; [unrolled: 10-line block ×3, first 2 shown]
	s_cselect_b32 s20, s21, s13
	s_delay_alu instid0(SALU_CYCLE_1) | instskip(NEXT) | instid1(SALU_CYCLE_1)
	s_ashr_i32 s21, s20, 31
	s_lshl_b64 s[20:21], s[20:21], 2
	s_delay_alu instid0(SALU_CYCLE_1)
	s_add_u32 s20, s16, s20
	s_addc_u32 s21, s25, s21
	s_clause 0x5
	s_load_b32 s26, s[2:3], 0x0
	s_load_b32 s27, s[4:5], 0x0
	;; [unrolled: 1-line block ×6, first 2 shown]
	s_or_b32 s2, s12, 0xc0
	s_mov_b32 s4, 0
	s_ashr_i32 s3, s2, 4
	s_cmp_lt_i32 s2, s24
	s_mov_b32 s11, s4
	s_cselect_b32 s2, s3, s13
	s_mov_b32 s5, s4
	s_ashr_i32 s3, s2, 31
	s_mov_b32 s6, s4
	s_lshl_b64 s[2:3], s[2:3], 2
	s_mov_b32 s7, s4
	s_add_u32 s2, s16, s2
	s_mov_b32 s8, s4
	s_mov_b32 s9, s4
	;; [unrolled: 1-line block ×3, first 2 shown]
	s_addc_u32 s3, s25, s3
	s_or_b32 s21, s12, 0xe0
	v_dual_mov_b32 v103, s11 :: v_dual_mov_b32 v96, s4
	v_dual_mov_b32 v101, s9 :: v_dual_lshlrev_b32 v68, 6, v70
	v_mov_b32_e32 v102, s10
	v_dual_mov_b32 v100, s8 :: v_dual_mov_b32 v99, s7
	v_dual_mov_b32 v98, s6 :: v_dual_mov_b32 v97, s5
	s_ashr_i32 s4, s21, 4
	s_cmp_lt_i32 s21, s24
	s_cselect_b32 s4, s4, s13
	s_delay_alu instid0(SALU_CYCLE_1) | instskip(NEXT) | instid1(SALU_CYCLE_1)
	s_ashr_i32 s5, s4, 31
	s_lshl_b64 s[4:5], s[4:5], 2
	s_waitcnt vmcnt(1)
	v_mad_i64_i32 v[33:34], null, v5, s17, v[1:2]
	s_waitcnt vmcnt(0)
	v_mad_i64_i32 v[35:36], null, v3, s17, v[1:2]
	s_clause 0xf
	global_load_b128 v[1:4], v[33:34], off
	global_load_b128 v[5:8], v[33:34], off offset:256
	global_load_b128 v[9:12], v[35:36], off
	global_load_b128 v[13:16], v[35:36], off offset:256
	global_load_b128 v[17:20], v[33:34], off offset:512
	global_load_b128 v[21:24], v[33:34], off offset:768
	global_load_b128 v[25:28], v[35:36], off offset:512
	global_load_b128 v[29:32], v[35:36], off offset:768
	global_load_b128 v[57:60], v[33:34], off offset:1024
	global_load_b128 v[61:64], v[33:34], off offset:1280
	global_load_b128 v[72:75], v[35:36], off offset:1024
	global_load_b128 v[76:79], v[35:36], off offset:1280
	global_load_b128 v[80:83], v[33:34], off offset:1536
	global_load_b128 v[84:87], v[33:34], off offset:1792
	global_load_b128 v[88:91], v[35:36], off offset:1536
	global_load_b128 v[92:95], v[35:36], off offset:1792
	ds_load_b128 v[33:36], v68
	ds_load_b128 v[37:40], v68 offset:1024
	ds_load_b128 v[104:107], v68 offset:2048
	;; [unrolled: 1-line block ×3, first 2 shown]
	s_load_b32 s6, s[2:3], 0x0
	s_add_u32 s2, s16, s4
	s_addc_u32 s3, s25, s5
	ds_load_b128 v[112:115], v68 offset:4096
	ds_load_b128 v[116:119], v68 offset:5120
	s_load_b32 s2, s[2:3], 0x0
	s_add_u32 s4, s22, s15
	s_addc_u32 s5, s23, s18
	v_add_co_u32 v128, s4, s4, v41
	s_delay_alu instid0(VALU_DEP_1) | instskip(SKIP_1) | instid1(VALU_DEP_1)
	v_add_co_ci_u32_e64 v129, null, s5, 0, s4
	s_waitcnt lgkmcnt(0)
	v_mad_i64_i32 v[41:42], null, s26, s17, v[128:129]
	v_mad_i64_i32 v[130:131], null, s28, s17, v[128:129]
	;; [unrolled: 1-line block ×7, first 2 shown]
	s_clause 0x3
	global_load_b128 v[49:52], v[41:42], off
	global_load_b128 v[53:56], v[41:42], off offset:16
	global_load_b128 v[41:44], v[45:46], off
	global_load_b128 v[45:48], v[45:46], off offset:16
	s_waitcnt vmcnt(18)
	v_wmma_f32_16x16x16_f16 v[120:127], v[1:8], v[33:40], v[96:103]
	s_waitcnt vmcnt(16)
	v_wmma_f32_16x16x16_f16 v[96:103], v[9:16], v[33:40], v[96:103]
	s_clause 0x3
	global_load_b128 v[33:36], v[130:131], off
	global_load_b128 v[37:40], v[130:131], off offset:16
	global_load_b128 v[1:4], v[132:133], off
	global_load_b128 v[5:8], v[132:133], off offset:16
	s_waitcnt vmcnt(18)
	v_wmma_f32_16x16x16_f16 v[120:127], v[17:24], v[104:111], v[120:127]
	s_clause 0x3
	global_load_b128 v[9:12], v[134:135], off
	global_load_b128 v[13:16], v[134:135], off offset:16
	global_load_b128 v[17:20], v[136:137], off
	global_load_b128 v[21:24], v[136:137], off offset:16
	s_waitcnt vmcnt(20)
	v_wmma_f32_16x16x16_f16 v[96:103], v[25:32], v[104:111], v[96:103]
	v_mad_i64_i32 v[104:105], null, s2, s17, v[128:129]
	s_waitcnt vmcnt(18)
	v_wmma_f32_16x16x16_f16 v[120:127], v[57:64], v[112:119], v[120:127]
	s_clause 0x1
	global_load_b128 v[25:28], v[138:139], off
	global_load_b128 v[29:32], v[138:139], off offset:16
	s_waitcnt vmcnt(18)
	v_wmma_f32_16x16x16_f16 v[96:103], v[72:79], v[112:119], v[96:103]
	s_clause 0x1
	global_load_b128 v[57:60], v[104:105], off
	global_load_b128 v[61:64], v[104:105], off offset:16
	ds_load_b128 v[72:75], v68 offset:6144
	ds_load_b128 v[76:79], v68 offset:7168
	v_and_b32_e32 v104, 0xe0, v0
	v_mbcnt_lo_u32_b32 v105, -1, 0
	s_waitcnt vmcnt(0) lgkmcnt(0)
	s_barrier
	buffer_gl0_inv
	v_add_nc_u32_e32 v104, s12, v104
	v_xor_b32_e32 v106, 16, v105
	s_delay_alu instid0(VALU_DEP_2) | instskip(NEXT) | instid1(VALU_DEP_2)
	v_or_b32_e32 v104, v104, v66
	v_cmp_gt_i32_e32 vcc_lo, 32, v106
	s_delay_alu instid0(VALU_DEP_2)
	v_or_b32_e32 v107, 4, v104
	v_or_b32_e32 v108, 6, v104
	v_cmp_gt_i32_e64 s2, s24, v104
	v_or_b32_e32 v109, 8, v104
	v_wmma_f32_16x16x16_f16 v[120:127], v[80:87], v[72:79], v[120:127]
	v_cndmask_b32_e32 v105, v105, v106, vcc_lo
	v_or_b32_e32 v106, 2, v104
	v_wmma_f32_16x16x16_f16 v[96:103], v[88:95], v[72:79], v[96:103]
	v_or_b32_e32 v80, 10, v104
	v_dual_mul_f32 v90, s19, v120 :: v_dual_mul_f32 v89, s19, v121
	s_delay_alu instid0(VALU_DEP_4) | instskip(NEXT) | instid1(VALU_DEP_4)
	v_cmp_gt_i32_e32 vcc_lo, s24, v106
	v_dual_mul_f32 v94, s19, v100 :: v_dual_mul_f32 v77, s19, v125
	v_dual_mul_f32 v88, s19, v122 :: v_dual_mul_f32 v79, s19, v123
	v_mul_f32_e32 v92, s19, v102
	v_cndmask_b32_e64 v90, 0xff7fffff, v90, s2
	v_cndmask_b32_e32 v89, 0xff7fffff, v89, vcc_lo
	v_cmp_gt_i32_e64 s3, s24, v107
	v_cmp_gt_i32_e64 s4, s24, v108
	v_or_b32_e32 v81, 12, v104
	v_or_b32_e32 v82, 14, v104
	v_mul_f32_e32 v78, s19, v124
	v_cndmask_b32_e64 v88, 0xff7fffff, v88, s3
	v_cndmask_b32_e64 v79, 0xff7fffff, v79, s4
	v_max3_f32 v89, v90, 0xff7fffff, v89
	v_cmp_gt_i32_e64 s5, s24, v109
	v_cmp_gt_i32_e64 s6, s24, v80
	v_or_b32_e32 v83, 16, v104
	v_or_b32_e32 v84, 18, v104
	v_dual_mul_f32 v75, s19, v127 :: v_dual_mul_f32 v76, s19, v126
	v_cndmask_b32_e64 v78, 0xff7fffff, v78, s5
	v_cndmask_b32_e64 v77, 0xff7fffff, v77, s6
	v_max3_f32 v79, v89, v88, v79
	v_cmp_gt_i32_e64 s7, s24, v81
	v_cmp_gt_i32_e64 s8, s24, v82
	v_or_b32_e32 v85, 20, v104
	v_or_b32_e32 v86, 22, v104
	;; [unrolled: 1-line block ×6, first 2 shown]
	v_dual_mul_f32 v95, s19, v99 :: v_dual_mul_f32 v104, s19, v97
	v_mul_f32_e32 v107, s19, v96
	v_cndmask_b32_e64 v76, 0xff7fffff, v76, s7
	v_cndmask_b32_e64 v75, 0xff7fffff, v75, s8
	v_max3_f32 v77, v79, v78, v77
	v_cmp_gt_i32_e64 s9, s24, v83
	v_cmp_gt_i32_e64 s10, s24, v84
	v_dual_mul_f32 v91, s19, v103 :: v_dual_mul_f32 v106, s19, v98
	s_delay_alu instid0(VALU_DEP_4) | instskip(NEXT) | instid1(VALU_DEP_4)
	v_max3_f32 v75, v77, v76, v75
	v_cndmask_b32_e64 v78, 0xff7fffff, v107, s9
	s_delay_alu instid0(VALU_DEP_4)
	v_cndmask_b32_e64 v79, 0xff7fffff, v104, s10
	v_cmp_gt_i32_e64 s11, s24, v85
	v_cmp_gt_i32_e64 s12, s24, v86
	v_mul_f32_e32 v93, s19, v101
	v_cmp_gt_i32_e64 s13, s24, v87
	v_max3_f32 v75, v75, v78, v79
	v_cndmask_b32_e64 v76, 0xff7fffff, v106, s11
	v_cndmask_b32_e64 v77, 0xff7fffff, v95, s12
	v_cmp_gt_i32_e64 s15, s24, v72
	v_cndmask_b32_e64 v78, 0xff7fffff, v94, s13
	v_cmp_gt_i32_e64 s16, s24, v73
	v_cmp_gt_i32_e64 s17, s24, v74
	v_max3_f32 v75, v75, v76, v77
	v_cndmask_b32_e64 v72, 0xff7fffff, v93, s15
	s_delay_alu instid0(VALU_DEP_4) | instskip(NEXT) | instid1(VALU_DEP_4)
	v_cndmask_b32_e64 v73, 0xff7fffff, v92, s16
	v_cndmask_b32_e64 v74, 0xff7fffff, v91, s17
	s_delay_alu instid0(VALU_DEP_3) | instskip(SKIP_1) | instid1(VALU_DEP_2)
	v_max3_f32 v72, v75, v78, v72
	v_lshlrev_b32_e32 v75, 2, v105
	v_max3_f32 v72, v72, v73, v74
	ds_bpermute_b32 v73, v75, v72
	s_waitcnt lgkmcnt(0)
	v_max_f32_e32 v73, v73, v73
	s_delay_alu instid0(VALU_DEP_1) | instskip(NEXT) | instid1(VALU_DEP_1)
	v_max_f32_e32 v72, v72, v73
	v_fma_f32 v76, s19, v122, -v72
	v_fma_f32 v73, s19, v120, -v72
	v_fma_f32 v79, s19, v124, -v72
	v_fma_f32 v74, s19, v121, -v72
	v_fma_f32 v77, s19, v123, -v72
	v_mul_f32_e32 v76, 0x3fb8aa3b, v76
	v_fma_f32 v82, s19, v126, -v72
	s_delay_alu instid0(VALU_DEP_4) | instskip(SKIP_1) | instid1(VALU_DEP_4)
	v_dual_mul_f32 v79, 0x3fb8aa3b, v79 :: v_dual_mul_f32 v74, 0x3fb8aa3b, v74
	v_fma_f32 v86, s19, v99, -v72
	v_exp_f32_e32 v76, v76
	s_delay_alu instid0(VALU_DEP_3) | instskip(NEXT) | instid1(VALU_DEP_3)
	v_mul_f32_e32 v82, 0x3fb8aa3b, v82
	v_exp_f32_e32 v83, v79
	v_exp_f32_e32 v74, v74
	v_mul_f32_e32 v88, 0x3fb8aa3b, v86
	v_fma_f32 v91, s19, v103, -v72
	v_exp_f32_e32 v84, v82
	v_fma_f32 v89, s19, v101, -v72
	s_delay_alu instid0(VALU_DEP_3)
	v_exp_f32_e32 v90, v88
	v_cndmask_b32_e64 v80, 0, v76, s3
	v_mul_f32_e32 v73, 0x3fb8aa3b, v73
	v_fma_f32 v76, s19, v127, -v72
	v_mul_f32_e32 v77, 0x3fb8aa3b, v77
	v_cndmask_b32_e64 v82, 0, v83, s5
	v_fma_f32 v83, s19, v97, -v72
	v_exp_f32_e32 v73, v73
	v_mul_f32_e32 v76, 0x3fb8aa3b, v76
	v_exp_f32_e32 v81, v77
	v_cndmask_b32_e64 v84, 0, v84, s7
	v_mul_f32_e32 v83, 0x3fb8aa3b, v83
	v_mul_f32_e32 v89, 0x3fb8aa3b, v89
	v_exp_f32_e32 v76, v76
	s_delay_alu instid0(VALU_DEP_2) | instskip(SKIP_2) | instid1(TRANS32_DEP_3)
	v_exp_f32_e32 v87, v83
	v_cndmask_b32_e64 v78, 0, v73, s2
	v_fma_f32 v73, s19, v125, -v72
	v_cndmask_b32_e64 v79, 0, v81, s4
	v_cndmask_b32_e32 v77, 0, v74, vcc_lo
	v_fma_f32 v81, s19, v96, -v72
	s_delay_alu instid0(VALU_DEP_4) | instskip(NEXT) | instid1(TRANS32_DEP_2)
	v_dual_add_f32 v74, 0, v78 :: v_dual_mul_f32 v73, 0x3fb8aa3b, v73
	v_cndmask_b32_e64 v83, 0, v76, s8
	v_fma_f32 v76, s19, v100, -v72
	s_delay_alu instid0(VALU_DEP_4) | instskip(NEXT) | instid1(VALU_DEP_4)
	v_mul_f32_e32 v85, 0x3fb8aa3b, v81
	v_add_f32_e32 v74, v74, v77
	v_exp_f32_e32 v73, v73
	v_exp_f32_e32 v89, v89
	v_mul_f32_e32 v76, 0x3fb8aa3b, v76
	v_exp_f32_e32 v85, v85
	v_add_f32_e32 v74, v74, v80
	s_mov_b32 s2, exec_lo
	s_delay_alu instid0(VALU_DEP_2) | instskip(NEXT) | instid1(VALU_DEP_1)
	v_exp_f32_e32 v76, v76
	v_add_f32_e32 v74, v74, v79
	v_cndmask_b32_e64 v81, 0, v73, s6
	s_delay_alu instid0(TRANS32_DEP_3)
	v_cndmask_b32_e64 v89, 0, v89, s15
	s_waitcnt_depctr 0xfff
	v_cndmask_b32_e64 v86, 0, v85, s9
	v_cndmask_b32_e64 v85, 0, v87, s10
	v_fma_f32 v87, s19, v102, -v72
	v_add_f32_e32 v73, v74, v82
	v_fma_f32 v74, s19, v98, -v72
	s_delay_alu instid0(VALU_DEP_1) | instskip(NEXT) | instid1(VALU_DEP_1)
	v_mul_f32_e32 v74, 0x3fb8aa3b, v74
	v_exp_f32_e32 v74, v74
	s_waitcnt_depctr 0xfff
	v_cndmask_b32_e64 v88, 0, v74, s11
	v_dual_mul_f32 v74, 0x3fb8aa3b, v87 :: v_dual_add_f32 v73, v73, v81
	v_cndmask_b32_e64 v87, 0, v90, s12
	v_cndmask_b32_e64 v90, 0, v76, s13
	v_mul_f32_e32 v76, 0x3fb8aa3b, v91
	s_delay_alu instid0(VALU_DEP_4) | instskip(SKIP_1) | instid1(VALU_DEP_2)
	v_exp_f32_e32 v74, v74
	v_add_f32_e32 v73, v73, v84
	v_exp_f32_e32 v76, v76
	s_delay_alu instid0(VALU_DEP_1) | instskip(SKIP_4) | instid1(VALU_DEP_2)
	v_add_f32_e32 v73, v73, v83
	s_waitcnt_depctr 0xfff
	v_cndmask_b32_e64 v92, 0, v74, s16
	v_add_f32_e32 v73, v73, v86
	v_cndmask_b32_e64 v91, 0, v76, s17
	v_add_f32_e32 v73, v73, v85
	s_delay_alu instid0(VALU_DEP_1) | instskip(NEXT) | instid1(VALU_DEP_1)
	v_add_f32_e32 v73, v73, v88
	v_add_f32_e32 v73, v73, v87
	s_delay_alu instid0(VALU_DEP_1) | instskip(NEXT) | instid1(VALU_DEP_1)
	v_add_f32_e32 v73, v73, v90
	;; [unrolled: 3-line block ×3, first 2 shown]
	v_add_f32_e32 v73, v73, v91
	ds_bpermute_b32 v74, v75, v73
	v_cmpx_gt_u32_e32 16, v71
	s_cbranch_execz .LBB1261_12
; %bb.11:
	v_mul_u32_u24_e32 v71, 0x44, v69
	s_waitcnt lgkmcnt(0)
	v_add_f32_e32 v73, v73, v74
	s_delay_alu instid0(VALU_DEP_2) | instskip(NEXT) | instid1(VALU_DEP_1)
	v_lshl_add_u32 v71, v70, 2, v71
	v_add_nc_u32_e32 v71, 0x4000, v71
	ds_store_2addr_b32 v71, v72, v73 offset1:136
.LBB1261_12:
	s_or_b32 exec_lo, exec_lo, s2
	v_lshlrev_b32_e32 v70, 2, v70
	s_load_b32 s34, s[0:1], 0x94
	s_waitcnt lgkmcnt(0)
	s_barrier
	buffer_gl0_inv
	v_add_nc_u32_e32 v74, 0x4000, v70
	v_cmp_eq_u32_e32 vcc_lo, 1, v69
	v_cmp_eq_u32_e64 s2, 2, v69
	v_cmp_eq_u32_e64 s3, 3, v69
	;; [unrolled: 1-line block ×3, first 2 shown]
	ds_load_2addr_b32 v[70:71], v74 offset1:17
	ds_load_2addr_b32 v[72:73], v74 offset0:34 offset1:51
	ds_load_2addr_b32 v[93:94], v74 offset0:68 offset1:85
	;; [unrolled: 1-line block ×3, first 2 shown]
	v_cmp_eq_u32_e64 s5, 7, v69
	s_waitcnt lgkmcnt(3)
	v_max3_f32 v75, v70, 0xff7fffff, v71
	s_waitcnt lgkmcnt(2)
	s_delay_alu instid0(VALU_DEP_1) | instskip(SKIP_1) | instid1(VALU_DEP_1)
	v_max3_f32 v75, v75, v72, v73
	s_waitcnt lgkmcnt(1)
	v_max3_f32 v75, v75, v93, v94
	s_waitcnt lgkmcnt(0)
	s_delay_alu instid0(VALU_DEP_1) | instskip(NEXT) | instid1(VALU_DEP_1)
	v_max3_f32 v75, v75, v95, v96
	v_sub_f32_e32 v93, v93, v75
	ds_load_2addr_b32 v[97:98], v74 offset0:136 offset1:153
	v_sub_f32_e32 v70, v70, v75
	v_dual_sub_f32 v100, v73, v75 :: v_dual_mul_f32 v103, 0x3fb8aa3b, v93
	s_delay_alu instid0(VALU_DEP_2) | instskip(SKIP_3) | instid1(VALU_DEP_1)
	v_dual_sub_f32 v76, v71, v75 :: v_dual_mul_f32 v99, 0x3fb8aa3b, v70
	ds_load_2addr_b32 v[70:71], v74 offset0:170 offset1:187
	v_mul_f32_e32 v76, 0x3fb8aa3b, v76
	v_exp_f32_e32 v99, v99
	v_exp_f32_e32 v102, v76
	v_mul_f32_e32 v100, 0x3fb8aa3b, v100
	s_waitcnt lgkmcnt(1)
	s_waitcnt_depctr 0xfff
	v_fma_f32 v76, v99, v97, 0
	v_sub_f32_e32 v97, v94, v75
	v_sub_f32_e32 v72, v72, v75
	v_exp_f32_e32 v100, v100
	ds_load_2addr_b32 v[93:94], v74 offset0:238 offset1:255
	v_dual_fmac_f32 v76, v102, v98 :: v_dual_mul_f32 v101, 0x3fb8aa3b, v72
	ds_load_2addr_b32 v[72:73], v74 offset0:204 offset1:221
	v_dual_sub_f32 v74, v95, v75 :: v_dual_mul_f32 v95, 0x3fb8aa3b, v97
	v_exp_f32_e32 v97, v103
	v_exp_f32_e32 v101, v101
	s_waitcnt lgkmcnt(0)
	s_delay_alu instid0(VALU_DEP_1)
	v_mul_f32_e32 v74, 0x3fb8aa3b, v74
	v_exp_f32_e32 v95, v95
	s_barrier
	buffer_gl0_inv
	v_fmac_f32_e32 v76, v101, v70
	v_sub_f32_e32 v70, v96, v75
	v_exp_f32_e32 v96, v74
	s_delay_alu instid0(VALU_DEP_2) | instskip(NEXT) | instid1(VALU_DEP_2)
	v_fmac_f32_e32 v76, v100, v71
	v_mul_f32_e32 v70, 0x3fb8aa3b, v70
	s_delay_alu instid0(VALU_DEP_2) | instskip(NEXT) | instid1(VALU_DEP_2)
	v_dual_cndmask_b32 v71, v99, v102 :: v_dual_fmac_f32 v76, v97, v72
	v_exp_f32_e32 v98, v70
	s_delay_alu instid0(VALU_DEP_1) | instskip(SKIP_2) | instid1(VALU_DEP_1)
	v_fmac_f32_e32 v76, v95, v73
	s_waitcnt_depctr 0xfff
	v_fmac_f32_e32 v76, v96, v93
	v_fmac_f32_e32 v76, v98, v94
	s_delay_alu instid0(VALU_DEP_1) | instskip(NEXT) | instid1(VALU_DEP_1)
	v_add_f32_e32 v93, 0x358637bd, v76
	v_div_scale_f32 v94, null, v93, v93, 1.0
	v_div_scale_f32 v99, vcc_lo, 1.0, v93, 1.0
	s_delay_alu instid0(VALU_DEP_2) | instskip(SKIP_2) | instid1(VALU_DEP_1)
	v_rcp_f32_e32 v103, v94
	s_waitcnt_depctr 0xfff
	v_fma_f32 v70, -v94, v103, 1.0
	v_fmac_f32_e32 v103, v70, v103
	v_cndmask_b32_e64 v70, v71, v101, s2
	v_cmp_eq_u32_e64 s2, 4, v69
	v_lshlrev_b32_e32 v71, 2, v66
	s_delay_alu instid0(VALU_DEP_4) | instskip(NEXT) | instid1(VALU_DEP_4)
	v_mul_f32_e32 v101, v99, v103
	v_cndmask_b32_e64 v72, v70, v100, s3
	v_cmp_eq_u32_e64 s3, 6, v69
	v_lshl_or_b32 v70, v69, 11, v68
	v_or_b32_e32 v74, 1, v71
	v_fma_f32 v73, -v94, v101, v99
	v_cndmask_b32_e64 v72, v72, v97, s2
	v_cmp_eq_u32_e64 s2, 1, v71
	v_lshl_or_b32 v69, v66, 4, v70
	v_cmp_eq_u32_e64 s8, 1, v74
	v_fmac_f32_e32 v101, v73, v103
	v_cndmask_b32_e64 v95, v72, v95, s4
	v_or_b32_e32 v72, 2, v71
	v_or_b32_e32 v73, 3, v71
	v_cmp_eq_u32_e64 s11, 2, v74
	v_fma_f32 v94, -v94, v101, v99
	v_cndmask_b32_e64 v95, v95, v96, s3
	v_cmp_eq_u32_e64 s9, 1, v72
	v_cmp_eq_u32_e64 s10, 1, v73
	;; [unrolled: 1-line block ×3, first 2 shown]
	v_div_fmas_f32 v94, v94, v103, v101
	v_cndmask_b32_e64 v95, v95, v98, s5
	v_cmp_eq_u32_e32 vcc_lo, 2, v71
	v_cmp_eq_u32_e64 s15, 2, v73
	v_cmp_eq_u32_e64 s17, 3, v73
	v_div_fixup_f32 v93, v94, v93, 1.0
	v_cmp_eq_u32_e64 s3, 3, v71
	v_cmp_eq_u32_e64 s12, 3, v74
	;; [unrolled: 1-line block ×4, first 2 shown]
	v_mul_f32_e32 v101, v95, v93
	v_cmp_eq_u32_e64 s4, 4, v71
	v_cmp_eq_u32_e64 s18, 4, v74
	;; [unrolled: 1-line block ×4, first 2 shown]
	v_fma_mixlo_f16 v93, v101, v78, 0
	v_fma_mixlo_f16 v94, v101, v80, 0
	;; [unrolled: 1-line block ×8, first 2 shown]
	v_fma_mixhi_f16 v93, v101, v77, 0
	v_fma_mixhi_f16 v94, v101, v79, 0
	;; [unrolled: 1-line block ×8, first 2 shown]
	ds_store_b128 v69, v[93:96]
	ds_store_b128 v69, v[97:100] offset:1024
	s_waitcnt lgkmcnt(0)
	s_barrier
	buffer_gl0_inv
	ds_load_b128 v[77:80], v70
	ds_load_b128 v[81:84], v70 offset:16
	ds_load_b128 v[85:88], v70 offset:1024
	;; [unrolled: 1-line block ×3, first 2 shown]
	v_cmp_eq_u32_e64 s5, 5, v71
	v_cmp_eq_u32_e64 s19, 5, v74
	;; [unrolled: 1-line block ×11, first 2 shown]
	s_waitcnt lgkmcnt(3)
	v_lshrrev_b32_e32 v93, 16, v77
	s_waitcnt lgkmcnt(2)
	v_lshrrev_b32_e32 v97, 16, v81
	;; [unrolled: 2-line block ×4, first 2 shown]
	v_lshrrev_b32_e32 v94, 16, v78
	v_cndmask_b32_e64 v109, v77, v93, s2
	v_cndmask_b32_e64 v110, v81, v97, s2
	;; [unrolled: 1-line block ×8, first 2 shown]
	v_lshrrev_b32_e32 v98, 16, v82
	v_cndmask_b32_e64 v93, v85, v101, s2
	v_cndmask_b32_e64 v97, v89, v105, s2
	;; [unrolled: 1-line block ×5, first 2 shown]
	v_cndmask_b32_e32 v101, v109, v78, vcc_lo
	v_cndmask_b32_e64 v109, v111, v78, s11
	v_cndmask_b32_e64 v111, v113, v78, s13
	;; [unrolled: 1-line block ×4, first 2 shown]
	v_lshrrev_b32_e32 v102, 16, v86
	v_lshrrev_b32_e32 v106, 16, v90
	v_cndmask_b32_e64 v116, v89, v105, s8
	v_cndmask_b32_e64 v118, v89, v105, s9
	;; [unrolled: 1-line block ×3, first 2 shown]
	v_cndmask_b32_e32 v105, v110, v82, vcc_lo
	v_cndmask_b32_e64 v110, v112, v82, s11
	v_cndmask_b32_e64 v112, v114, v82, s13
	v_cndmask_b32_e32 v81, v93, v86, vcc_lo
	v_cndmask_b32_e32 v82, v97, v90, vcc_lo
	v_cndmask_b32_e64 v93, v115, v86, s11
	v_cndmask_b32_e64 v77, v77, v94, s17
	;; [unrolled: 1-line block ×3, first 2 shown]
	v_lshrrev_b32_e32 v95, 16, v79
	v_lshrrev_b32_e32 v99, 16, v83
	v_cndmask_b32_e64 v97, v117, v86, s13
	v_cndmask_b32_e64 v85, v85, v86, s15
	;; [unrolled: 1-line block ×14, first 2 shown]
	v_lshrrev_b32_e32 v103, 16, v87
	v_cndmask_b32_e64 v89, v89, v79, s4
	v_cndmask_b32_e64 v94, v101, v83, s4
	;; [unrolled: 1-line block ×11, first 2 shown]
	v_lshrrev_b32_e32 v96, 16, v80
	v_lshrrev_b32_e32 v100, 16, v84
	v_cndmask_b32_e64 v83, v89, v95, s5
	v_cndmask_b32_e64 v89, v94, v99, s5
	;; [unrolled: 1-line block ×9, first 2 shown]
	v_lshrrev_b32_e32 v104, 16, v88
	v_cndmask_b32_e64 v79, v79, v103, s5
	v_cndmask_b32_e64 v83, v83, v80, s6
	;; [unrolled: 1-line block ×19, first 2 shown]
	v_perm_b32 v80, v78, v77, 0x5040100
	v_cndmask_b32_e64 v77, v116, v90, s11
	v_cndmask_b32_e64 v95, v79, v104, s7
	v_perm_b32 v79, v93, v89, 0x5040100
	v_perm_b32 v78, v94, v84, 0x5040100
	v_cndmask_b32_e64 v84, v97, v102, s16
	v_cndmask_b32_e64 v85, v85, v102, s17
	v_cndmask_b32_e64 v86, v86, v106, s17
	v_cndmask_b32_e64 v89, v113, v106, s16
	v_cndmask_b32_e64 v77, v77, v106, s12
	v_lshrrev_b32_e32 v107, 16, v91
	v_cndmask_b32_e64 v84, v84, v87, s20
	v_cndmask_b32_e64 v85, v85, v87, s21
	;; [unrolled: 1-line block ×11, first 2 shown]
	v_lshrrev_b32_e32 v108, 16, v92
	v_cndmask_b32_e64 v81, v81, v92, s6
	v_cndmask_b32_e64 v84, v84, v88, s25
	;; [unrolled: 1-line block ×12, first 2 shown]
	v_perm_b32 v77, v83, v82, 0x5040100
	v_perm_b32 v84, v85, v84, 0x5040100
	;; [unrolled: 1-line block ×5, first 2 shown]
	s_lshl_b32 s7, s33, 4
	s_mov_b32 s2, exec_lo
	ds_store_b128 v69, v[77:80]
	ds_store_b128 v69, v[81:84] offset:1024
	v_cmpx_gt_u32_e32 16, v0
	s_cbranch_execz .LBB1261_14
; %bb.13:
	v_or_b32_e32 v77, s31, v0
	s_load_b128 s[8:11], s[0:1], 0x58
	s_delay_alu instid0(VALU_DEP_1) | instskip(NEXT) | instid1(VALU_DEP_1)
	v_mad_u64_u32 v[78:79], null, s7, s30, v[77:78]
	v_mad_u64_u32 v[79:80], null, v78, s34, s[14:15]
	s_delay_alu instid0(VALU_DEP_1) | instskip(NEXT) | instid1(VALU_DEP_1)
	v_ashrrev_i32_e32 v80, 31, v79
	v_lshlrev_b64 v[77:78], 2, v[79:80]
	s_waitcnt lgkmcnt(0)
	s_delay_alu instid0(VALU_DEP_1) | instskip(NEXT) | instid1(VALU_DEP_2)
	v_add_co_u32 v79, vcc_lo, s10, v77
	v_add_co_ci_u32_e32 v80, vcc_lo, s11, v78, vcc_lo
	v_add_co_u32 v77, vcc_lo, s8, v77
	v_add_co_ci_u32_e32 v78, vcc_lo, s9, v78, vcc_lo
	global_store_b32 v[79:80], v75, off
	global_store_b32 v[77:78], v76, off
.LBB1261_14:
	s_or_b32 exec_lo, exec_lo, s2
	s_waitcnt lgkmcnt(0)
	s_waitcnt_vscnt null, 0x0
	s_barrier
	buffer_gl0_inv
	ds_load_b128 v[83:86], v68
	ds_load_b128 v[87:90], v68 offset:16
	ds_load_b128 v[95:98], v68 offset:2064
	;; [unrolled: 1-line block ×5, first 2 shown]
	v_cmp_eq_u32_e32 vcc_lo, 1, v71
	v_mov_b32_e32 v75, 0
	ds_load_b128 v[111:114], v68 offset:6160
	ds_load_b128 v[107:110], v68 offset:6144
	;; [unrolled: 1-line block ×4, first 2 shown]
	v_cmp_eq_u32_e64 s3, 1, v72
	v_cmp_eq_u32_e64 s2, 1, v74
	;; [unrolled: 1-line block ×3, first 2 shown]
	v_mov_b32_e32 v76, v75
	v_mov_b32_e32 v77, v75
	;; [unrolled: 1-line block ×7, first 2 shown]
	v_cmp_eq_u32_e64 s5, 3, v74
	v_cmp_eq_u32_e64 s6, 7, v74
	s_waitcnt lgkmcnt(8)
	s_delay_alu instid0(VALU_DEP_3)
	v_wmma_f32_16x16x16_f16 v[75:82], v[49:56], v[83:90], v[75:82]
	ds_load_b128 v[53:56], v68 offset:10256
	ds_load_b128 v[49:52], v68 offset:10240
	s_waitcnt lgkmcnt(8)
	v_wmma_f32_16x16x16_f16 v[75:82], v[41:48], v[91:98], v[75:82]
	ds_load_b128 v[45:48], v68 offset:12304
	ds_load_b128 v[41:44], v68 offset:12288
	s_waitcnt lgkmcnt(8)
	;; [unrolled: 4-line block ×3, first 2 shown]
	s_barrier
	buffer_gl0_inv
	v_wmma_f32_16x16x16_f16 v[75:82], v[1:8], v[107:114], v[75:82]
	s_delay_alu instid0(VALU_DEP_1) | instskip(NEXT) | instid1(VALU_DEP_1)
	v_wmma_f32_16x16x16_f16 v[75:82], v[9:16], v[115:122], v[75:82]
	v_wmma_f32_16x16x16_f16 v[75:82], v[17:24], v[49:56], v[75:82]
	s_delay_alu instid0(VALU_DEP_1) | instskip(NEXT) | instid1(VALU_DEP_1)
	v_wmma_f32_16x16x16_f16 v[75:82], v[25:32], v[41:48], v[75:82]
	v_wmma_f32_16x16x16_f16 v[75:82], v[57:64], v[33:40], v[75:82]
	s_delay_alu instid0(VALU_DEP_1) | instskip(NEXT) | instid1(VALU_DEP_2)
	v_cvt_f16_f32_e32 v1, v75
	v_cvt_f16_f32_e32 v2, v76
	s_delay_alu instid0(VALU_DEP_3) | instskip(NEXT) | instid1(VALU_DEP_4)
	v_cvt_f16_f32_e32 v3, v77
	v_cvt_f16_f32_e32 v4, v78
	;; [unrolled: 1-line block ×6, first 2 shown]
	v_pack_b32_f16 v1, v1, v2
	v_pack_b32_f16 v2, v3, v4
	;; [unrolled: 1-line block ×3, first 2 shown]
	s_delay_alu instid0(VALU_DEP_4)
	v_pack_b32_f16 v4, v7, v8
	ds_store_b128 v69, v[1:4]
	s_waitcnt lgkmcnt(0)
	s_barrier
	buffer_gl0_inv
	ds_load_b128 v[1:4], v70
	ds_load_b128 v[5:8], v70 offset:16
	s_waitcnt lgkmcnt(1)
	v_lshrrev_b32_e32 v9, 16, v1
	s_waitcnt lgkmcnt(0)
	v_lshrrev_b32_e32 v13, 16, v5
	v_lshrrev_b32_e32 v10, 16, v2
	;; [unrolled: 1-line block ×4, first 2 shown]
	v_cndmask_b32_e32 v17, v1, v9, vcc_lo
	v_cndmask_b32_e32 v18, v5, v13, vcc_lo
	v_cndmask_b32_e64 v21, v1, v9, s3
	v_cmp_eq_u32_e32 vcc_lo, 1, v73
	v_cndmask_b32_e64 v22, v5, v13, s3
	v_cmp_eq_u32_e64 s3, 2, v71
	v_cndmask_b32_e64 v19, v1, v9, s2
	v_cndmask_b32_e64 v20, v5, v13, s2
	v_cndmask_b32_e32 v1, v1, v9, vcc_lo
	v_cmp_eq_u32_e64 s2, 2, v73
	v_cndmask_b32_e32 v5, v5, v13, vcc_lo
	v_cndmask_b32_e64 v9, v17, v2, s3
	v_cmp_eq_u32_e32 vcc_lo, 3, v71
	v_cndmask_b32_e64 v13, v18, v6, s3
	v_cmp_eq_u32_e64 s3, 2, v72
	v_cndmask_b32_e64 v17, v19, v2, s4
	v_cndmask_b32_e64 v18, v20, v6, s4
	v_cmp_eq_u32_e64 s4, 3, v72
	v_cndmask_b32_e64 v1, v1, v2, s2
	v_cndmask_b32_e64 v19, v21, v2, s3
	;; [unrolled: 1-line block ×4, first 2 shown]
	v_cndmask_b32_e32 v5, v9, v10, vcc_lo
	v_cndmask_b32_e32 v6, v13, v14, vcc_lo
	v_cmp_eq_u32_e32 vcc_lo, 3, v73
	v_cndmask_b32_e64 v9, v17, v10, s5
	v_cndmask_b32_e64 v13, v18, v14, s5
	;; [unrolled: 1-line block ×3, first 2 shown]
	v_cmp_eq_u32_e64 s3, 4, v71
	v_cndmask_b32_e32 v1, v1, v10, vcc_lo
	v_cndmask_b32_e32 v2, v2, v14, vcc_lo
	v_cmp_eq_u32_e32 vcc_lo, 4, v74
	v_lshrrev_b32_e32 v15, 16, v7
	v_lshrrev_b32_e32 v16, 16, v8
	v_cndmask_b32_e64 v17, v19, v10, s4
	v_cmp_eq_u32_e64 s2, 4, v73
	v_cndmask_b32_e64 v5, v5, v3, s3
	v_cndmask_b32_e64 v6, v6, v7, s3
	v_cndmask_b32_e32 v9, v9, v3, vcc_lo
	v_cmp_eq_u32_e64 s3, 5, v74
	v_cndmask_b32_e32 v10, v13, v7, vcc_lo
	v_cmp_eq_u32_e32 vcc_lo, 4, v72
	v_cmp_eq_u32_e64 s4, 5, v71
	v_cndmask_b32_e64 v2, v2, v7, s2
	v_cndmask_b32_e64 v9, v9, v11, s3
	;; [unrolled: 1-line block ×3, first 2 shown]
	v_cndmask_b32_e32 v13, v17, v3, vcc_lo
	v_cmp_eq_u32_e64 s3, 5, v72
	v_cndmask_b32_e32 v14, v18, v7, vcc_lo
	v_cndmask_b32_e64 v1, v1, v3, s2
	v_cmp_eq_u32_e32 vcc_lo, 5, v73
	v_lshrrev_b32_e32 v12, 16, v4
	v_cndmask_b32_e64 v13, v13, v11, s3
	v_cndmask_b32_e64 v3, v14, v15, s3
	v_cmp_eq_u32_e64 s3, 6, v73
	v_cndmask_b32_e32 v1, v1, v11, vcc_lo
	v_cndmask_b32_e64 v5, v5, v11, s4
	v_cmp_eq_u32_e64 s5, 6, v71
	v_cndmask_b32_e64 v6, v6, v15, s4
	v_cmp_eq_u32_e64 s4, 6, v74
	v_cmp_eq_u32_e64 s2, 6, v72
	v_cndmask_b32_e64 v1, v1, v4, s3
	v_cndmask_b32_e32 v2, v2, v15, vcc_lo
	v_cmp_eq_u32_e32 vcc_lo, 7, v73
	v_cndmask_b32_e64 v5, v5, v4, s5
	v_cndmask_b32_e64 v9, v9, v4, s4
	;; [unrolled: 1-line block ×3, first 2 shown]
	v_cmp_eq_u32_e64 s5, 7, v71
	v_cndmask_b32_e32 v1, v1, v12, vcc_lo
	v_cndmask_b32_e64 v7, v13, v4, s2
	v_cndmask_b32_e64 v3, v3, v8, s2
	;; [unrolled: 1-line block ×3, first 2 shown]
	v_cmp_eq_u32_e64 s2, 7, v72
	v_cndmask_b32_e64 v4, v10, v8, s4
	v_cndmask_b32_e64 v5, v5, v12, s5
	;; [unrolled: 1-line block ×3, first 2 shown]
	v_cndmask_b32_e32 v2, v2, v16, vcc_lo
	v_cndmask_b32_e64 v7, v7, v12, s2
	v_cndmask_b32_e64 v3, v3, v16, s2
	;; [unrolled: 1-line block ×4, first 2 shown]
	v_perm_b32 v4, v2, v1, 0x5040100
	s_mov_b32 s2, exec_lo
	v_perm_b32 v3, v3, v7, 0x5040100
	v_perm_b32 v2, v8, v9, 0x5040100
	;; [unrolled: 1-line block ×3, first 2 shown]
	ds_store_b128 v69, v[1:4]
	s_waitcnt lgkmcnt(0)
	s_barrier
	buffer_gl0_inv
	v_cmpx_gt_u32_e32 32, v0
	s_cbranch_execz .LBB1261_2
; %bb.15:
	s_load_b64 s[0:1], s[0:1], 0x68
	v_lshlrev_b32_e32 v0, 10, v0
	s_lshl_b32 s4, s34, 7
	v_or_b32_e32 v23, s31, v66
	s_mul_i32 s2, s4, s30
	v_lshlrev_b32_e32 v1, 4, v67
	v_lshlrev_b32_e32 v2, 6, v66
	s_mul_i32 s2, s2, s7
	v_and_b32_e32 v0, 0x3800, v0
	v_mul_lo_u32 v8, v23, s4
	s_ashr_i32 s3, s2, 31
	v_or_b32_e32 v3, 2, v23
	s_lshl_b64 s[2:3], s[2:3], 1
	v_or3_b32 v27, v0, v1, v2
	v_or_b32_e32 v11, 4, v23
	v_or_b32_e32 v18, 6, v23
	v_mul_lo_u32 v10, v3, s4
	v_ashrrev_i32_e32 v9, 31, v8
	ds_load_b128 v[0:3], v27
	ds_load_b128 v[4:7], v27 offset:128
	v_mul_lo_u32 v12, v11, s4
	s_waitcnt lgkmcnt(0)
	s_add_u32 s2, s0, s2
	s_addc_u32 s3, s1, s3
	s_lshl_b32 s0, s14, 7
	v_lshlrev_b64 v[8:9], 1, v[8:9]
	s_ashr_i32 s1, s0, 31
	v_ashrrev_i32_e32 v11, 31, v10
	s_lshl_b64 s[0:1], s[0:1], 1
	v_ashrrev_i32_e32 v13, 31, v12
	s_add_u32 s0, s2, s0
	s_addc_u32 s1, s3, s1
	v_add_co_u32 v30, s0, s0, v65
	s_delay_alu instid0(VALU_DEP_1) | instskip(SKIP_1) | instid1(VALU_DEP_3)
	v_add_co_ci_u32_e64 v31, null, s1, 0, s0
	v_lshlrev_b64 v[16:17], 1, v[10:11]
	v_add_co_u32 v14, vcc_lo, v30, v8
	s_delay_alu instid0(VALU_DEP_3)
	v_add_co_ci_u32_e32 v15, vcc_lo, v31, v9, vcc_lo
	ds_load_b128 v[8:11], v27 offset:256
	v_mul_lo_u32 v18, v18, s4
	v_or_b32_e32 v19, 8, v23
	v_add_co_u32 v16, vcc_lo, v30, v16
	global_store_b128 v[14:15], v[0:3], off
	v_lshlrev_b64 v[0:1], 1, v[12:13]
	v_add_co_ci_u32_e32 v17, vcc_lo, v31, v17, vcc_lo
	v_mul_lo_u32 v12, v19, s4
	v_ashrrev_i32_e32 v19, 31, v18
	v_or_b32_e32 v14, 10, v23
	global_store_b128 v[16:17], v[4:7], off
	v_add_co_u32 v4, vcc_lo, v30, v0
	v_add_co_ci_u32_e32 v5, vcc_lo, v31, v1, vcc_lo
	ds_load_b128 v[0:3], v27 offset:384
	v_ashrrev_i32_e32 v13, 31, v12
	v_lshlrev_b64 v[6:7], 1, v[18:19]
	v_mul_lo_u32 v14, v14, s4
	s_waitcnt lgkmcnt(1)
	global_store_b128 v[4:5], v[8:11], off
	v_or_b32_e32 v8, 12, v23
	v_lshlrev_b64 v[4:5], 1, v[12:13]
	v_add_co_u32 v20, vcc_lo, v30, v6
	v_or_b32_e32 v6, 14, v23
	v_ashrrev_i32_e32 v15, 31, v14
	v_mul_lo_u32 v22, v8, s4
	v_add_co_ci_u32_e32 v21, vcc_lo, v31, v7, vcc_lo
	v_add_co_u32 v24, vcc_lo, v30, v4
	v_mul_lo_u32 v26, v6, s4
	v_add_co_ci_u32_e32 v25, vcc_lo, v31, v5, vcc_lo
	v_lshlrev_b64 v[28:29], 1, v[14:15]
	ds_load_b128 v[4:7], v27 offset:512
	ds_load_b128 v[8:11], v27 offset:640
	;; [unrolled: 1-line block ×4, first 2 shown]
	v_ashrrev_i32_e32 v23, 31, v22
	v_ashrrev_i32_e32 v27, 31, v26
	v_add_co_u32 v28, vcc_lo, v30, v28
	s_delay_alu instid0(VALU_DEP_3) | instskip(SKIP_1) | instid1(VALU_DEP_4)
	v_lshlrev_b64 v[22:23], 1, v[22:23]
	v_add_co_ci_u32_e32 v29, vcc_lo, v31, v29, vcc_lo
	v_lshlrev_b64 v[26:27], 1, v[26:27]
	s_delay_alu instid0(VALU_DEP_3) | instskip(NEXT) | instid1(VALU_DEP_4)
	v_add_co_u32 v22, vcc_lo, v30, v22
	v_add_co_ci_u32_e32 v23, vcc_lo, v31, v23, vcc_lo
	s_delay_alu instid0(VALU_DEP_3) | instskip(NEXT) | instid1(VALU_DEP_4)
	v_add_co_u32 v26, vcc_lo, v30, v26
	v_add_co_ci_u32_e32 v27, vcc_lo, v31, v27, vcc_lo
	s_waitcnt lgkmcnt(4)
	global_store_b128 v[20:21], v[0:3], off
	s_waitcnt lgkmcnt(3)
	global_store_b128 v[24:25], v[4:7], off
	s_waitcnt lgkmcnt(2)
	global_store_b128 v[28:29], v[8:11], off
	s_waitcnt lgkmcnt(1)
	global_store_b128 v[22:23], v[12:15], off
	s_waitcnt lgkmcnt(0)
	global_store_b128 v[26:27], v[16:19], off
	s_nop 0
	s_sendmsg sendmsg(MSG_DEALLOC_VGPRS)
	s_endpgm
	.section	.rodata,"a",@progbits
	.p2align	6, 0x0
	.amdhsa_kernel _Z39paged_attention_ll4mi_QKV_mfma16_kernelIDF16_hLN4vllm18Fp8KVCacheDataTypeE1EDF16_Li16ELi128ELi256ELb1ELi16EL8MFMAType0EEvPKT_PKT0_S8_ifPKiSA_SA_iPKfiiiPfSD_PS3_PT2_iSC_SC_
		.amdhsa_group_segment_fixed_size 17472
		.amdhsa_private_segment_fixed_size 0
		.amdhsa_kernarg_size 400
		.amdhsa_user_sgpr_count 13
		.amdhsa_user_sgpr_dispatch_ptr 0
		.amdhsa_user_sgpr_queue_ptr 0
		.amdhsa_user_sgpr_kernarg_segment_ptr 1
		.amdhsa_user_sgpr_dispatch_id 0
		.amdhsa_user_sgpr_private_segment_size 0
		.amdhsa_wavefront_size32 1
		.amdhsa_uses_dynamic_stack 0
		.amdhsa_enable_private_segment 0
		.amdhsa_system_sgpr_workgroup_id_x 1
		.amdhsa_system_sgpr_workgroup_id_y 1
		.amdhsa_system_sgpr_workgroup_id_z 1
		.amdhsa_system_sgpr_workgroup_info 0
		.amdhsa_system_vgpr_workitem_id 0
		.amdhsa_next_free_vgpr 140
		.amdhsa_next_free_sgpr 35
		.amdhsa_reserve_vcc 1
		.amdhsa_float_round_mode_32 0
		.amdhsa_float_round_mode_16_64 0
		.amdhsa_float_denorm_mode_32 3
		.amdhsa_float_denorm_mode_16_64 3
		.amdhsa_dx10_clamp 1
		.amdhsa_ieee_mode 1
		.amdhsa_fp16_overflow 0
		.amdhsa_workgroup_processor_mode 1
		.amdhsa_memory_ordered 1
		.amdhsa_forward_progress 0
		.amdhsa_shared_vgpr_count 0
		.amdhsa_exception_fp_ieee_invalid_op 0
		.amdhsa_exception_fp_denorm_src 0
		.amdhsa_exception_fp_ieee_div_zero 0
		.amdhsa_exception_fp_ieee_overflow 0
		.amdhsa_exception_fp_ieee_underflow 0
		.amdhsa_exception_fp_ieee_inexact 0
		.amdhsa_exception_int_div_zero 0
	.end_amdhsa_kernel
	.section	.text._Z39paged_attention_ll4mi_QKV_mfma16_kernelIDF16_hLN4vllm18Fp8KVCacheDataTypeE1EDF16_Li16ELi128ELi256ELb1ELi16EL8MFMAType0EEvPKT_PKT0_S8_ifPKiSA_SA_iPKfiiiPfSD_PS3_PT2_iSC_SC_,"axG",@progbits,_Z39paged_attention_ll4mi_QKV_mfma16_kernelIDF16_hLN4vllm18Fp8KVCacheDataTypeE1EDF16_Li16ELi128ELi256ELb1ELi16EL8MFMAType0EEvPKT_PKT0_S8_ifPKiSA_SA_iPKfiiiPfSD_PS3_PT2_iSC_SC_,comdat
.Lfunc_end1261:
	.size	_Z39paged_attention_ll4mi_QKV_mfma16_kernelIDF16_hLN4vllm18Fp8KVCacheDataTypeE1EDF16_Li16ELi128ELi256ELb1ELi16EL8MFMAType0EEvPKT_PKT0_S8_ifPKiSA_SA_iPKfiiiPfSD_PS3_PT2_iSC_SC_, .Lfunc_end1261-_Z39paged_attention_ll4mi_QKV_mfma16_kernelIDF16_hLN4vllm18Fp8KVCacheDataTypeE1EDF16_Li16ELi128ELi256ELb1ELi16EL8MFMAType0EEvPKT_PKT0_S8_ifPKiSA_SA_iPKfiiiPfSD_PS3_PT2_iSC_SC_
                                        ; -- End function
	.section	.AMDGPU.csdata,"",@progbits
; Kernel info:
; codeLenInByte = 6832
; NumSgprs: 37
; NumVgprs: 140
; ScratchSize: 0
; MemoryBound: 0
; FloatMode: 240
; IeeeMode: 1
; LDSByteSize: 17472 bytes/workgroup (compile time only)
; SGPRBlocks: 4
; VGPRBlocks: 17
; NumSGPRsForWavesPerEU: 37
; NumVGPRsForWavesPerEU: 140
; Occupancy: 10
; WaveLimiterHint : 1
; COMPUTE_PGM_RSRC2:SCRATCH_EN: 0
; COMPUTE_PGM_RSRC2:USER_SGPR: 13
; COMPUTE_PGM_RSRC2:TRAP_HANDLER: 0
; COMPUTE_PGM_RSRC2:TGID_X_EN: 1
; COMPUTE_PGM_RSRC2:TGID_Y_EN: 1
; COMPUTE_PGM_RSRC2:TGID_Z_EN: 1
; COMPUTE_PGM_RSRC2:TIDIG_COMP_CNT: 0
	.section	.text._Z39paged_attention_ll4mi_QKV_mfma16_kernelIDF16_hLN4vllm18Fp8KVCacheDataTypeE1EDF16_Li16ELi128ELi256ELb1ELi1EL8MFMAType0EEvPKT_PKT0_S8_ifPKiSA_SA_iPKfiiiPfSD_PS3_PT2_iSC_SC_,"axG",@progbits,_Z39paged_attention_ll4mi_QKV_mfma16_kernelIDF16_hLN4vllm18Fp8KVCacheDataTypeE1EDF16_Li16ELi128ELi256ELb1ELi1EL8MFMAType0EEvPKT_PKT0_S8_ifPKiSA_SA_iPKfiiiPfSD_PS3_PT2_iSC_SC_,comdat
	.protected	_Z39paged_attention_ll4mi_QKV_mfma16_kernelIDF16_hLN4vllm18Fp8KVCacheDataTypeE1EDF16_Li16ELi128ELi256ELb1ELi1EL8MFMAType0EEvPKT_PKT0_S8_ifPKiSA_SA_iPKfiiiPfSD_PS3_PT2_iSC_SC_ ; -- Begin function _Z39paged_attention_ll4mi_QKV_mfma16_kernelIDF16_hLN4vllm18Fp8KVCacheDataTypeE1EDF16_Li16ELi128ELi256ELb1ELi1EL8MFMAType0EEvPKT_PKT0_S8_ifPKiSA_SA_iPKfiiiPfSD_PS3_PT2_iSC_SC_
	.globl	_Z39paged_attention_ll4mi_QKV_mfma16_kernelIDF16_hLN4vllm18Fp8KVCacheDataTypeE1EDF16_Li16ELi128ELi256ELb1ELi1EL8MFMAType0EEvPKT_PKT0_S8_ifPKiSA_SA_iPKfiiiPfSD_PS3_PT2_iSC_SC_
	.p2align	8
	.type	_Z39paged_attention_ll4mi_QKV_mfma16_kernelIDF16_hLN4vllm18Fp8KVCacheDataTypeE1EDF16_Li16ELi128ELi256ELb1ELi1EL8MFMAType0EEvPKT_PKT0_S8_ifPKiSA_SA_iPKfiiiPfSD_PS3_PT2_iSC_SC_,@function
_Z39paged_attention_ll4mi_QKV_mfma16_kernelIDF16_hLN4vllm18Fp8KVCacheDataTypeE1EDF16_Li16ELi128ELi256ELb1ELi1EL8MFMAType0EEvPKT_PKT0_S8_ifPKiSA_SA_iPKfiiiPfSD_PS3_PT2_iSC_SC_: ; @_Z39paged_attention_ll4mi_QKV_mfma16_kernelIDF16_hLN4vllm18Fp8KVCacheDataTypeE1EDF16_Li16ELi128ELi256ELb1ELi1EL8MFMAType0EEvPKT_PKT0_S8_ifPKiSA_SA_iPKfiiiPfSD_PS3_PT2_iSC_SC_
; %bb.0:
	s_load_b64 s[4:5], s[0:1], 0x30
	s_mov_b32 s34, s13
	s_waitcnt lgkmcnt(0)
	s_cmp_lg_u64 s[4:5], 0
	s_cselect_b32 s6, -1, 0
	s_ashr_i32 s35, s13, 31
	s_cmp_eq_u64 s[4:5], 0
	s_cbranch_scc1 .LBB1262_3
; %bb.1:
	s_lshl_b64 s[2:3], s[34:35], 2
	s_delay_alu instid0(SALU_CYCLE_1) | instskip(SKIP_4) | instid1(SALU_CYCLE_1)
	s_add_u32 s2, s4, s2
	s_addc_u32 s3, s5, s3
	s_load_b64 s[2:3], s[2:3], 0x0
	s_waitcnt lgkmcnt(0)
	s_sub_i32 s2, s3, s2
	s_cmp_eq_u32 s2, 1
	s_cselect_b32 s2, -1, 0
	s_delay_alu instid0(SALU_CYCLE_1)
	s_and_not1_b32 vcc_lo, exec_lo, s2
	s_cbranch_vccz .LBB1262_4
.LBB1262_2:
	s_endpgm
.LBB1262_3:
.LBB1262_4:
	s_load_b64 s[2:3], s[0:1], 0x28
	s_lshl_b64 s[8:9], s[34:35], 2
	s_waitcnt lgkmcnt(0)
	s_add_u32 s2, s2, s8
	s_addc_u32 s3, s3, s9
	s_lshl_b32 s12, s14, 8
	s_load_b32 s33, s[2:3], 0x0
	s_waitcnt lgkmcnt(0)
	s_cmp_ge_i32 s12, s33
	s_cbranch_scc1 .LBB1262_2
; %bb.5:
	s_clause 0x1
	s_load_b128 s[56:59], s[0:1], 0x8
	s_load_b64 s[2:3], s[0:1], 0x20
	s_and_not1_b32 vcc_lo, exec_lo, s6
	s_mov_b64 s[6:7], s[34:35]
	s_cbranch_vccnz .LBB1262_7
; %bb.6:
	s_add_u32 s4, s4, s8
	s_addc_u32 s5, s5, s9
	s_load_b32 s6, s[4:5], 0x0
.LBB1262_7:
	s_load_b128 s[52:55], s[0:1], 0x48
	v_and_b32_e32 v65, 15, v0
	s_mov_b32 s13, exec_lo
                                        ; implicit-def: $sgpr36
                                        ; implicit-def: $sgpr24
                                        ; implicit-def: $sgpr16
                                        ; implicit-def: $sgpr4
	s_delay_alu instid0(VALU_DEP_1)
	v_cmpx_eq_u32_e32 0, v65
	s_cbranch_execz .LBB1262_9
; %bb.8:
	s_load_b64 s[4:5], s[0:1], 0x0
	s_waitcnt lgkmcnt(0)
	s_mul_hi_i32 s7, s6, s52
	s_mul_i32 s6, s6, s52
	s_delay_alu instid0(SALU_CYCLE_1) | instskip(NEXT) | instid1(SALU_CYCLE_1)
	s_lshl_b64 s[6:7], s[6:7], 1
	s_add_u32 s6, s4, s6
	s_addc_u32 s7, s5, s7
	s_lshl_b32 s4, s15, 7
	s_delay_alu instid0(SALU_CYCLE_1) | instskip(NEXT) | instid1(SALU_CYCLE_1)
	s_ashr_i32 s5, s4, 31
	s_lshl_b64 s[4:5], s[4:5], 1
	s_delay_alu instid0(SALU_CYCLE_1)
	s_add_u32 s4, s6, s4
	s_addc_u32 s5, s7, s5
	s_clause 0x3
	s_load_b256 s[36:43], s[4:5], 0x0
	s_load_b256 s[24:31], s[4:5], 0x40
	;; [unrolled: 1-line block ×4, first 2 shown]
.LBB1262_9:
	s_or_b32 exec_lo, exec_lo, s13
	v_and_b32_e32 v1, 0xef, v0
	s_add_i32 s13, s33, 15
	s_load_b32 s44, s[0:1], 0x38
	s_ashr_i32 s35, s13, 31
	s_waitcnt lgkmcnt(0)
	s_mul_i32 s62, s15, s54
	v_add_nc_u32_e32 v1, s12, v1
	s_lshr_b32 s35, s35, 28
	v_dual_mov_b32 v105, s31 :: v_dual_mov_b32 v98, s24
	s_add_i32 s13, s13, s35
	s_delay_alu instid0(VALU_DEP_2)
	v_ashrrev_i32_e32 v2, 31, v1
	v_or_b32_e32 v3, 16, v1
	s_ashr_i32 s13, s13, 4
	v_cmp_gt_i32_e32 vcc_lo, s33, v1
	s_add_i32 s13, s13, -1
	v_lshrrev_b32_e32 v2, 28, v2
	s_load_b32 s35, s[0:1], 0x1c
	v_mov_b32_e32 v103, s29
	v_mov_b32_e32 v101, s27
	s_delay_alu instid0(VALU_DEP_3)
	v_dual_mov_b32 v99, s25 :: v_dual_add_nc_u32 v4, v1, v2
	v_lshlrev_b32_e32 v73, 4, v65
	s_mul_i32 s44, s34, s44
	v_lshrrev_b32_e32 v66, 5, v0
	s_ashr_i32 s45, s44, 31
	v_ashrrev_i32_e32 v4, 4, v4
	v_add_nc_u32_e32 v2, v3, v2
	s_lshl_b64 s[44:45], s[44:45], 2
	v_mov_b32_e32 v104, s30
	s_add_u32 s61, s2, s44
	v_cndmask_b32_e32 v1, s13, v4, vcc_lo
	v_ashrrev_i32_e32 v2, 4, v2
	v_cmp_gt_i32_e32 vcc_lo, s33, v3
	s_addc_u32 s60, s3, s45
	s_ashr_i32 s63, s62, 31
	s_add_u32 s52, s56, s62
	s_addc_u32 s56, s57, s63
	v_cndmask_b32_e32 v3, s13, v2, vcc_lo
	v_ashrrev_i32_e32 v2, 31, v1
	s_lshl_b32 s2, s14, 4
	v_mov_b32_e32 v102, s28
	s_ashr_i32 s3, s2, 31
	v_ashrrev_i32_e32 v4, 31, v3
	v_lshlrev_b64 v[1:2], 2, v[1:2]
	s_lshl_b64 s[2:3], s[2:3], 2
	v_mov_b32_e32 v100, s26
	s_add_u32 s2, s61, s2
	v_lshlrev_b64 v[3:4], 2, v[3:4]
	s_addc_u32 s3, s60, s3
	v_add_co_u32 v1, vcc_lo, s61, v1
	v_add_co_ci_u32_e32 v2, vcc_lo, s60, v2, vcc_lo
	s_delay_alu instid0(VALU_DEP_3) | instskip(NEXT) | instid1(VALU_DEP_4)
	v_add_co_u32 v3, vcc_lo, s61, v3
	v_add_co_ci_u32_e32 v4, vcc_lo, s60, v4, vcc_lo
	s_clause 0x1
	global_load_b32 v5, v[1:2], off
	global_load_b32 v3, v[3:4], off
	s_or_b32 s44, s12, 32
	v_lshlrev_b32_e32 v1, 4, v0
	s_ashr_i32 s45, s44, 4
	s_cmp_lt_i32 s44, s33
	s_cselect_b32 s44, s45, s13
	s_delay_alu instid0(VALU_DEP_1) | instskip(SKIP_1) | instid1(SALU_CYCLE_1)
	v_and_b32_e32 v1, 0xf0, v1
	s_ashr_i32 s45, s44, 31
	s_lshl_b64 s[44:45], s[44:45], 2
	s_delay_alu instid0(SALU_CYCLE_1)
	s_add_u32 s44, s61, s44
	s_addc_u32 s45, s60, s45
	s_or_b32 s46, s12, 64
	v_add_co_u32 v1, s52, s52, v1
	s_ashr_i32 s47, s46, 4
	s_cmp_lt_i32 s46, s33
	v_add_co_ci_u32_e64 v2, null, s56, 0, s52
	s_cselect_b32 s46, s47, s13
	s_delay_alu instid0(SALU_CYCLE_1) | instskip(NEXT) | instid1(SALU_CYCLE_1)
	s_ashr_i32 s47, s46, 31
	s_lshl_b64 s[46:47], s[46:47], 2
	s_delay_alu instid0(SALU_CYCLE_1) | instskip(SKIP_2) | instid1(SALU_CYCLE_1)
	s_add_u32 s46, s61, s46
	s_addc_u32 s47, s60, s47
	s_or_b32 s48, s12, 0x60
	s_ashr_i32 s49, s48, 4
	s_cmp_lt_i32 s48, s33
	s_cselect_b32 s48, s49, s13
	s_delay_alu instid0(SALU_CYCLE_1) | instskip(NEXT) | instid1(SALU_CYCLE_1)
	s_ashr_i32 s49, s48, 31
	s_lshl_b64 s[48:49], s[48:49], 2
	s_delay_alu instid0(SALU_CYCLE_1) | instskip(SKIP_2) | instid1(SALU_CYCLE_1)
	s_add_u32 s48, s61, s48
	s_addc_u32 s49, s60, s49
	s_or_b32 s50, s12, 0x80
	s_ashr_i32 s51, s50, 4
	s_cmp_lt_i32 s50, s33
	;; [unrolled: 10-line block ×3, first 2 shown]
	s_cselect_b32 s54, s55, s13
	s_delay_alu instid0(SALU_CYCLE_1) | instskip(NEXT) | instid1(SALU_CYCLE_1)
	s_ashr_i32 s55, s54, 31
	s_lshl_b64 s[54:55], s[54:55], 2
	s_delay_alu instid0(SALU_CYCLE_1)
	s_add_u32 s64, s61, s54
	s_addc_u32 s65, s60, s55
	s_clause 0x5
	s_load_b32 s56, s[2:3], 0x0
	s_load_b32 s3, s[44:45], 0x0
	;; [unrolled: 1-line block ×6, first 2 shown]
	s_or_b32 s24, s12, 0xc0
	s_mov_b32 s44, 0
	s_ashr_i32 s25, s24, 4
	s_mov_b32 s45, s44
	s_mov_b32 s46, s44
	;; [unrolled: 1-line block ×7, first 2 shown]
	v_dual_mov_b32 v113, s23 :: v_dual_mov_b32 v112, s22
	v_dual_mov_b32 v111, s21 :: v_dual_mov_b32 v110, s20
	;; [unrolled: 1-line block ×4, first 2 shown]
	v_lshl_or_b32 v41, v66, 8, v73
	v_dual_mov_b32 v121, s51 :: v_dual_mov_b32 v120, s50
	v_dual_mov_b32 v119, s49 :: v_dual_mov_b32 v118, s48
	;; [unrolled: 1-line block ×4, first 2 shown]
	s_cmp_lt_i32 s24, s33
	s_cselect_b32 s16, s25, s13
	s_delay_alu instid0(SALU_CYCLE_1) | instskip(NEXT) | instid1(SALU_CYCLE_1)
	s_ashr_i32 s17, s16, 31
	s_lshl_b64 s[16:17], s[16:17], 2
	s_delay_alu instid0(SALU_CYCLE_1) | instskip(SKIP_2) | instid1(SALU_CYCLE_1)
	s_add_u32 s16, s61, s16
	s_addc_u32 s17, s60, s17
	s_or_b32 s18, s12, 0xe0
	s_ashr_i32 s19, s18, 4
	s_cmp_lt_i32 s18, s33
	s_cselect_b32 s18, s19, s13
	s_delay_alu instid0(SALU_CYCLE_1) | instskip(NEXT) | instid1(SALU_CYCLE_1)
	s_ashr_i32 s19, s18, 31
	s_lshl_b64 s[18:19], s[18:19], 2
	s_delay_alu instid0(SALU_CYCLE_1) | instskip(SKIP_4) | instid1(VALU_DEP_1)
	s_add_u32 s18, s61, s18
	s_addc_u32 s19, s60, s19
	s_add_u32 s13, s58, s62
	s_addc_u32 s20, s59, s63
	v_add_co_u32 v67, s13, s13, v41
	v_add_co_ci_u32_e64 v68, null, s20, 0, s13
	s_waitcnt lgkmcnt(0)
	s_delay_alu instid0(VALU_DEP_1)
	v_mad_i64_i32 v[41:42], null, s56, s53, v[67:68]
	v_mad_i64_i32 v[71:72], null, s54, s53, v[67:68]
	;; [unrolled: 1-line block ×5, first 2 shown]
	s_waitcnt vmcnt(1)
	v_mad_i64_i32 v[33:34], null, v5, s53, v[1:2]
	s_waitcnt vmcnt(0)
	v_mad_i64_i32 v[35:36], null, v3, s53, v[1:2]
	s_clause 0xf
	global_load_b128 v[1:4], v[33:34], off
	global_load_b128 v[5:8], v[33:34], off offset:256
	global_load_b128 v[9:12], v[35:36], off
	global_load_b128 v[13:16], v[35:36], off offset:256
	global_load_b128 v[17:20], v[33:34], off offset:512
	;; [unrolled: 1-line block ×13, first 2 shown]
	v_mov_b32_e32 v33, s36
	v_mov_b32_e32 v35, s38
	;; [unrolled: 1-line block ×4, first 2 shown]
	s_clause 0x1
	s_load_b32 s13, s[16:17], 0x0
	s_load_b32 s16, s[18:19], 0x0
	v_mov_b32_e32 v34, s37
	v_mov_b32_e32 v36, s39
	;; [unrolled: 1-line block ×4, first 2 shown]
	s_waitcnt lgkmcnt(0)
	v_mad_i64_i32 v[132:133], null, s16, s53, v[67:68]
	s_waitcnt vmcnt(14)
	s_delay_alu instid0(VALU_DEP_2)
	v_wmma_f32_16x16x16_f16 v[122:129], v[1:8], v[33:40], v[114:121]
	s_waitcnt vmcnt(12)
	v_wmma_f32_16x16x16_f16 v[114:121], v[9:16], v[33:40], v[114:121]
	s_clause 0x7
	global_load_b128 v[49:52], v[41:42], off
	global_load_b128 v[53:56], v[41:42], off offset:16
	global_load_b128 v[41:44], v[45:46], off
	global_load_b128 v[45:48], v[45:46], off offset:16
	;; [unrolled: 2-line block ×4, first 2 shown]
	v_mad_i64_i32 v[71:72], null, s13, s53, v[67:68]
	v_mad_i64_i32 v[69:70], null, s2, s53, v[67:68]
	s_waitcnt vmcnt(18)
	v_wmma_f32_16x16x16_f16 v[122:129], v[17:24], v[98:105], v[122:129]
	s_waitcnt vmcnt(16)
	v_wmma_f32_16x16x16_f16 v[114:121], v[25:32], v[98:105], v[114:121]
	s_clause 0x3
	global_load_b128 v[9:12], v[130:131], off
	global_load_b128 v[13:16], v[130:131], off offset:16
	global_load_b128 v[17:20], v[69:70], off
	global_load_b128 v[21:24], v[69:70], off offset:16
	s_waitcnt vmcnt(18)
	v_wmma_f32_16x16x16_f16 v[122:129], v[57:64], v[106:113], v[122:129]
	s_clause 0x3
	global_load_b128 v[25:28], v[71:72], off
	global_load_b128 v[29:32], v[71:72], off offset:16
	global_load_b128 v[57:60], v[132:133], off
	global_load_b128 v[61:64], v[132:133], off offset:16
	v_mbcnt_lo_u32_b32 v68, -1, 0
	v_dual_mov_b32 v105, s11 :: v_dual_mov_b32 v104, s10
	v_dual_mov_b32 v103, s9 :: v_dual_mov_b32 v102, s8
	s_delay_alu instid0(VALU_DEP_3) | instskip(SKIP_2) | instid1(VALU_DEP_3)
	v_xor_b32_e32 v69, 16, v68
	v_dual_mov_b32 v101, s7 :: v_dual_mov_b32 v100, s6
	v_dual_mov_b32 v99, s5 :: v_dual_mov_b32 v98, s4
	v_cmp_gt_i32_e32 vcc_lo, 32, v69
	v_and_b32_e32 v67, 0xe0, v0
	s_waitcnt vmcnt(20)
	v_wmma_f32_16x16x16_f16 v[114:121], v[74:81], v[106:113], v[114:121]
	v_bfe_u32 v74, v0, 4, 1
	s_waitcnt vmcnt(18)
	v_wmma_f32_16x16x16_f16 v[122:129], v[82:89], v[98:105], v[122:129]
	v_dual_cndmask_b32 v68, v68, v69 :: v_dual_add_nc_u32 v67, s12, v67
	s_waitcnt vmcnt(0)
	s_barrier
	s_delay_alu instid0(VALU_DEP_2)
	v_mul_f32_e32 v86, s35, v129
	v_mul_f32_e32 v88, s35, v127
	v_or_b32_e32 v67, v67, v74
	v_wmma_f32_16x16x16_f16 v[114:121], v[90:97], v[98:105], v[114:121]
	v_dual_mul_f32 v92, s35, v123 :: v_dual_mul_f32 v93, s35, v122
	v_mul_f32_e32 v90, s35, v125
	s_delay_alu instid0(VALU_DEP_4)
	v_or_b32_e32 v69, 2, v67
	v_or_b32_e32 v70, 4, v67
	;; [unrolled: 1-line block ×3, first 2 shown]
	v_cmp_gt_i32_e64 s2, s33, v67
	v_or_b32_e32 v72, 8, v67
	v_cmp_gt_i32_e32 vcc_lo, s33, v69
	v_or_b32_e32 v75, 10, v67
	v_mul_f32_e32 v91, s35, v124
	v_cndmask_b32_e64 v93, 0xff7fffff, v93, s2
	v_cmp_gt_i32_e64 s3, s33, v70
	v_cndmask_b32_e32 v92, 0xff7fffff, v92, vcc_lo
	v_cmp_gt_i32_e64 s4, s33, v71
	v_or_b32_e32 v76, 12, v67
	v_or_b32_e32 v77, 14, v67
	v_dual_mul_f32 v89, s35, v126 :: v_dual_mul_f32 v98, s35, v117
	v_cndmask_b32_e64 v70, 0xff7fffff, v91, s3
	v_cndmask_b32_e64 v71, 0xff7fffff, v90, s4
	v_max3_f32 v90, v93, 0xff7fffff, v92
	v_cmp_gt_i32_e64 s5, s33, v72
	v_cmp_gt_i32_e64 s6, s33, v75
	v_or_b32_e32 v78, 16, v67
	v_or_b32_e32 v79, 18, v67
	v_dual_mul_f32 v87, s35, v128 :: v_dual_mul_f32 v96, s35, v119
	v_cndmask_b32_e64 v72, 0xff7fffff, v89, s5
	v_cndmask_b32_e64 v75, 0xff7fffff, v88, s6
	v_max3_f32 v70, v90, v70, v71
	v_cmp_gt_i32_e64 s7, s33, v76
	v_cmp_gt_i32_e64 s8, s33, v77
	v_or_b32_e32 v80, 20, v67
	v_or_b32_e32 v81, 22, v67
	v_or_b32_e32 v82, 24, v67
	v_or_b32_e32 v83, 26, v67
	v_or_b32_e32 v84, 28, v67
	v_or_b32_e32 v85, 30, v67
	v_mul_f32_e32 v69, s35, v115
	v_mul_f32_e32 v67, s35, v114
	v_cndmask_b32_e64 v71, 0xff7fffff, v87, s7
	v_cndmask_b32_e64 v76, 0xff7fffff, v86, s8
	v_max3_f32 v70, v70, v72, v75
	v_cmp_gt_i32_e64 s9, s33, v78
	v_cmp_gt_i32_e64 s10, s33, v79
	v_mul_f32_e32 v99, s35, v116
	v_cmp_gt_i32_e64 s11, s33, v80
	v_max3_f32 v70, v70, v71, v76
	v_cndmask_b32_e64 v67, 0xff7fffff, v67, s9
	v_cndmask_b32_e64 v69, 0xff7fffff, v69, s10
	v_cmp_gt_i32_e64 s12, s33, v81
	v_mul_f32_e32 v97, s35, v118
	v_cndmask_b32_e64 v71, 0xff7fffff, v99, s11
	v_cmp_gt_i32_e64 s13, s33, v82
	v_max3_f32 v67, v70, v67, v69
	v_cndmask_b32_e64 v72, 0xff7fffff, v98, s12
	v_cmp_gt_i32_e64 s16, s33, v83
	v_dual_mul_f32 v94, s35, v121 :: v_dual_mul_f32 v95, s35, v120
	v_cndmask_b32_e64 v69, 0xff7fffff, v97, s13
	s_delay_alu instid0(VALU_DEP_4) | instskip(NEXT) | instid1(VALU_DEP_4)
	v_max3_f32 v67, v67, v71, v72
	v_cndmask_b32_e64 v70, 0xff7fffff, v96, s16
	v_cmp_gt_i32_e64 s17, s33, v84
	v_cmp_gt_i32_e64 s18, s33, v85
	v_lshlrev_b32_e32 v75, 2, v68
	buffer_gl0_inv
	v_max3_f32 v67, v67, v69, v70
	v_cndmask_b32_e64 v71, 0xff7fffff, v95, s17
	v_cndmask_b32_e64 v72, 0xff7fffff, v94, s18
	s_delay_alu instid0(VALU_DEP_1) | instskip(SKIP_3) | instid1(VALU_DEP_1)
	v_max3_f32 v67, v67, v71, v72
	ds_bpermute_b32 v68, v75, v67
	s_waitcnt lgkmcnt(0)
	v_max_f32_e32 v68, v68, v68
	v_max_f32_e32 v67, v67, v68
	s_delay_alu instid0(VALU_DEP_1)
	v_fma_f32 v68, s35, v122, -v67
	v_fma_f32 v70, s35, v124, -v67
	;; [unrolled: 1-line block ×5, first 2 shown]
	v_mul_f32_e32 v68, 0x3fb8aa3b, v68
	s_delay_alu instid0(VALU_DEP_4) | instskip(NEXT) | instid1(VALU_DEP_3)
	v_dual_mul_f32 v70, 0x3fb8aa3b, v70 :: v_dual_mul_f32 v69, 0x3fb8aa3b, v69
	v_mul_f32_e32 v72, 0x3fb8aa3b, v72
	s_delay_alu instid0(VALU_DEP_3) | instskip(NEXT) | instid1(VALU_DEP_2)
	v_exp_f32_e32 v68, v68
	v_exp_f32_e32 v76, v70
	s_delay_alu instid0(VALU_DEP_2) | instskip(NEXT) | instid1(VALU_DEP_1)
	v_exp_f32_e32 v69, v69
	v_exp_f32_e32 v79, v72
	v_cndmask_b32_e64 v70, 0, v68, s2
	v_fma_f32 v68, s35, v127, -v67
	s_waitcnt_depctr 0xfff
	v_cndmask_b32_e32 v69, 0, v69, vcc_lo
	v_cndmask_b32_e64 v72, 0, v76, s3
	v_cndmask_b32_e64 v83, 0, v79, s5
	v_dual_add_f32 v77, 0, v70 :: v_dual_mul_f32 v68, 0x3fb8aa3b, v68
	s_mov_b32 s3, exec_lo
	s_delay_alu instid0(VALU_DEP_1) | instskip(NEXT) | instid1(VALU_DEP_2)
	v_add_f32_e32 v76, v77, v69
	v_exp_f32_e32 v68, v68
	s_delay_alu instid0(VALU_DEP_1) | instskip(SKIP_3) | instid1(VALU_DEP_1)
	v_add_f32_e32 v76, v76, v72
	s_waitcnt_depctr 0xfff
	v_cndmask_b32_e64 v82, 0, v68, s6
	v_mul_f32_e32 v71, 0x3fb8aa3b, v71
	v_exp_f32_e32 v71, v71
	s_waitcnt_depctr 0xfff
	v_cndmask_b32_e64 v71, 0, v71, s4
	s_delay_alu instid0(VALU_DEP_1) | instskip(NEXT) | instid1(VALU_DEP_1)
	v_add_f32_e32 v76, v76, v71
	v_add_f32_e32 v68, v76, v83
	v_fma_f32 v78, s35, v128, -v67
	v_fma_f32 v77, s35, v129, -v67
	;; [unrolled: 1-line block ×4, first 2 shown]
	v_add_f32_e32 v68, v68, v82
	v_mul_f32_e32 v78, 0x3fb8aa3b, v78
	v_fma_f32 v76, s35, v116, -v67
	v_mul_f32_e32 v80, 0x3fb8aa3b, v80
	s_delay_alu instid0(VALU_DEP_3) | instskip(NEXT) | instid1(VALU_DEP_2)
	v_exp_f32_e32 v78, v78
	v_mul_f32_e32 v76, 0x3fb8aa3b, v76
	s_delay_alu instid0(VALU_DEP_2) | instskip(NEXT) | instid1(VALU_DEP_1)
	v_exp_f32_e32 v80, v80
	v_exp_f32_e32 v76, v76
	s_delay_alu instid0(TRANS32_DEP_3)
	v_cndmask_b32_e64 v85, 0, v78, s7
	v_fma_f32 v78, s35, v117, -v67
	v_mul_f32_e32 v77, 0x3fb8aa3b, v77
	v_mul_f32_e32 v79, 0x3fb8aa3b, v79
	s_waitcnt_depctr 0xfff
	v_cndmask_b32_e64 v87, 0, v80, s9
	v_add_f32_e32 v68, v68, v85
	v_mul_f32_e32 v78, 0x3fb8aa3b, v78
	v_exp_f32_e32 v77, v77
	v_exp_f32_e32 v79, v79
	v_fma_f32 v80, s35, v119, -v67
	v_cndmask_b32_e64 v89, 0, v76, s11
	v_exp_f32_e32 v78, v78
	s_delay_alu instid0(VALU_DEP_2) | instskip(NEXT) | instid1(TRANS32_DEP_3)
	v_mul_f32_e32 v80, 0x3fb8aa3b, v80
	v_cndmask_b32_e64 v84, 0, v77, s8
	v_fma_f32 v77, s35, v118, -v67
	s_delay_alu instid0(TRANS32_DEP_2)
	v_cndmask_b32_e64 v86, 0, v79, s10
	v_fma_f32 v79, s35, v120, -v67
	s_waitcnt_depctr 0xfff
	v_cndmask_b32_e64 v88, 0, v78, s12
	v_dual_add_f32 v68, v68, v84 :: v_dual_mul_f32 v77, 0x3fb8aa3b, v77
	v_fma_f32 v78, s35, v121, -v67
	v_mul_f32_e32 v76, 0x3fb8aa3b, v79
	v_exp_f32_e32 v79, v80
	s_delay_alu instid0(VALU_DEP_3) | instskip(SKIP_1) | instid1(VALU_DEP_2)
	v_add_f32_e32 v68, v68, v87
	v_exp_f32_e32 v77, v77
	v_exp_f32_e32 v76, v76
	s_delay_alu instid0(TRANS32_DEP_3)
	v_cndmask_b32_e64 v90, 0, v79, s16
	s_waitcnt_depctr 0xfff
	v_cndmask_b32_e64 v91, 0, v77, s13
	v_mul_f32_e32 v77, 0x3fb8aa3b, v78
	v_add_f32_e32 v68, v68, v86
	v_cndmask_b32_e64 v93, 0, v76, s17
	v_and_b32_e32 v76, 31, v0
	s_delay_alu instid0(VALU_DEP_4) | instskip(NEXT) | instid1(VALU_DEP_3)
	v_exp_f32_e32 v77, v77
	v_add_f32_e32 v68, v68, v89
	s_delay_alu instid0(VALU_DEP_2) | instskip(NEXT) | instid1(VALU_DEP_2)
	v_cmp_lt_u32_e64 s2, 15, v76
	v_add_f32_e32 v68, v68, v88
	s_waitcnt_depctr 0xfff
	v_cndmask_b32_e64 v92, 0, v77, s18
	v_add_f32_e32 v68, v68, v91
	s_delay_alu instid0(VALU_DEP_1) | instskip(NEXT) | instid1(VALU_DEP_1)
	v_add_f32_e32 v68, v68, v90
	v_add_f32_e32 v68, v68, v93
	s_delay_alu instid0(VALU_DEP_1)
	v_add_f32_e32 v68, v68, v92
	ds_bpermute_b32 v75, v75, v68
	v_cmpx_gt_u32_e32 16, v76
	s_cbranch_execz .LBB1262_11
; %bb.10:
	v_mul_u32_u24_e32 v76, 0x44, v66
	s_delay_alu instid0(VALU_DEP_1) | instskip(SKIP_1) | instid1(VALU_DEP_1)
	v_lshl_add_u32 v76, v65, 2, v76
	s_waitcnt lgkmcnt(0)
	v_dual_add_f32 v68, v68, v75 :: v_dual_add_nc_u32 v75, 0x4000, v76
	ds_store_2addr_b32 v75, v67, v68 offset1:136
.LBB1262_11:
	s_or_b32 exec_lo, exec_lo, s3
	v_lshlrev_b32_e32 v67, 2, v65
	s_load_b64 s[36:37], s[0:1], 0x94
	s_waitcnt lgkmcnt(0)
	s_barrier
	buffer_gl0_inv
	v_add_nc_u32_e32 v81, 0x4000, v67
	v_cmp_eq_u32_e32 vcc_lo, 1, v66
	v_cmp_eq_u32_e64 s3, 2, v66
	v_cmp_eq_u32_e64 s5, 3, v66
	;; [unrolled: 1-line block ×3, first 2 shown]
	ds_load_2addr_b32 v[75:76], v81 offset1:17
	ds_load_2addr_b32 v[77:78], v81 offset0:34 offset1:51
	ds_load_2addr_b32 v[79:80], v81 offset0:68 offset1:85
	;; [unrolled: 1-line block ×4, first 2 shown]
	v_cmp_eq_u32_e64 s7, 5, v66
	v_cmp_eq_u32_e64 s4, 6, v66
	s_waitcnt lgkmcnt(4)
	v_max3_f32 v67, v75, 0xff7fffff, v76
	s_waitcnt lgkmcnt(3)
	s_delay_alu instid0(VALU_DEP_1) | instskip(SKIP_1) | instid1(VALU_DEP_1)
	v_max3_f32 v67, v67, v77, v78
	s_waitcnt lgkmcnt(2)
	v_max3_f32 v67, v67, v79, v80
	s_waitcnt lgkmcnt(1)
	s_delay_alu instid0(VALU_DEP_1) | instskip(NEXT) | instid1(VALU_DEP_1)
	v_max3_f32 v67, v67, v94, v95
	v_sub_f32_e32 v68, v75, v67
	s_delay_alu instid0(VALU_DEP_1) | instskip(NEXT) | instid1(VALU_DEP_1)
	v_dual_sub_f32 v79, v79, v67 :: v_dual_mul_f32 v68, 0x3fb8aa3b, v68
	v_mul_f32_e32 v102, 0x3fb8aa3b, v79
	s_delay_alu instid0(VALU_DEP_2) | instskip(SKIP_1) | instid1(VALU_DEP_1)
	v_exp_f32_e32 v99, v68
	v_sub_f32_e32 v68, v78, v67
	v_dual_sub_f32 v98, v76, v67 :: v_dual_mul_f32 v101, 0x3fb8aa3b, v68
	s_delay_alu instid0(VALU_DEP_1)
	v_dual_sub_f32 v77, v77, v67 :: v_dual_mul_f32 v98, 0x3fb8aa3b, v98
	s_waitcnt lgkmcnt(0)
	s_waitcnt_depctr 0xfff
	v_fma_f32 v68, v99, v96, 0
	v_sub_f32_e32 v96, v80, v67
	v_mul_f32_e32 v100, 0x3fb8aa3b, v77
	v_exp_f32_e32 v98, v98
	v_exp_f32_e32 v101, v101
	s_delay_alu instid0(VALU_DEP_1) | instskip(NEXT) | instid1(TRANS32_DEP_3)
	v_exp_f32_e32 v100, v100
	v_fmac_f32_e32 v68, v98, v97
	ds_load_2addr_b32 v[75:76], v81 offset0:170 offset1:187
	ds_load_2addr_b32 v[77:78], v81 offset0:204 offset1:221
	;; [unrolled: 1-line block ×3, first 2 shown]
	v_dual_sub_f32 v81, v94, v67 :: v_dual_mul_f32 v94, 0x3fb8aa3b, v96
	v_exp_f32_e32 v96, v102
	s_waitcnt lgkmcnt(0)
	s_barrier
	s_delay_alu instid0(VALU_DEP_1)
	v_mul_f32_e32 v81, 0x3fb8aa3b, v81
	v_exp_f32_e32 v94, v94
	buffer_gl0_inv
	v_fmac_f32_e32 v68, v100, v75
	v_sub_f32_e32 v75, v95, v67
	v_exp_f32_e32 v95, v81
	s_delay_alu instid0(VALU_DEP_1) | instskip(SKIP_1) | instid1(VALU_DEP_2)
	v_dual_fmac_f32 v68, v101, v76 :: v_dual_mul_f32 v75, 0x3fb8aa3b, v75
	v_cndmask_b32_e32 v76, v99, v98, vcc_lo
	v_fmac_f32_e32 v68, v96, v77
	s_delay_alu instid0(VALU_DEP_3) | instskip(NEXT) | instid1(VALU_DEP_1)
	v_exp_f32_e32 v97, v75
	v_fmac_f32_e32 v68, v94, v78
	s_waitcnt_depctr 0xfff
	v_dual_fmac_f32 v68, v95, v79 :: v_dual_lshlrev_b32 v79, 6, v65
	s_delay_alu instid0(VALU_DEP_1) | instskip(NEXT) | instid1(VALU_DEP_2)
	v_dual_mov_b32 v65, 0 :: v_dual_fmac_f32 v68, v97, v80
	v_lshl_or_b32 v81, v66, 11, v79
	s_delay_alu instid0(VALU_DEP_2) | instskip(NEXT) | instid1(VALU_DEP_1)
	v_add_f32_e32 v80, 0x358637bd, v68
	v_div_scale_f32 v102, null, v80, v80, 1.0
	v_div_scale_f32 v98, vcc_lo, 1.0, v80, 1.0
	s_delay_alu instid0(VALU_DEP_2) | instskip(SKIP_2) | instid1(VALU_DEP_1)
	v_rcp_f32_e32 v103, v102
	s_waitcnt_depctr 0xfff
	v_fma_f32 v75, -v102, v103, 1.0
	v_fmac_f32_e32 v103, v75, v103
	v_cndmask_b32_e64 v75, v76, v100, s3
	v_cmp_eq_u32_e64 s3, 7, v66
	s_delay_alu instid0(VALU_DEP_3) | instskip(NEXT) | instid1(VALU_DEP_3)
	v_mul_f32_e32 v99, v98, v103
	v_cndmask_b32_e64 v76, v75, v101, s5
	v_lshlrev_b32_e32 v75, 2, v74
	s_delay_alu instid0(VALU_DEP_3) | instskip(NEXT) | instid1(VALU_DEP_3)
	v_fma_f32 v77, -v102, v99, v98
	v_cndmask_b32_e64 v96, v76, v96, s6
	s_delay_alu instid0(VALU_DEP_3)
	v_or_b32_e32 v78, 1, v75
	v_or_b32_e32 v76, 2, v75
	v_cmp_eq_u32_e64 s5, 1, v75
	v_fmac_f32_e32 v99, v77, v103
	v_cndmask_b32_e64 v66, v96, v94, s7
	v_or_b32_e32 v77, 3, v75
	v_cmp_eq_u32_e64 s9, 1, v78
	v_cmp_eq_u32_e64 s10, 1, v76
	v_fma_f32 v94, -v102, v99, v98
	v_cndmask_b32_e64 v66, v66, v95, s4
	v_cmp_eq_u32_e64 s11, 1, v77
	v_cmp_eq_u32_e64 s6, 2, v75
	v_cmp_eq_u32_e64 s12, 2, v78
	v_div_fmas_f32 v94, v94, v103, v99
	v_cndmask_b32_e64 v66, v66, v97, s3
	v_cmp_eq_u32_e64 s17, 2, v77
	v_cmp_eq_u32_e32 vcc_lo, 3, v75
	v_cmp_eq_u32_e64 s13, 3, v78
	v_div_fixup_f32 v94, v94, v80, 1.0
	v_lshl_or_b32 v80, v74, 4, v81
	v_cmp_eq_u32_e64 s16, 2, v76
	v_cmp_eq_u32_e64 s19, 3, v77
	;; [unrolled: 1-line block ×3, first 2 shown]
	v_mul_f32_e32 v66, v66, v94
	v_cmp_eq_u32_e64 s18, 3, v76
	v_cmp_eq_u32_e64 s20, 4, v78
	;; [unrolled: 1-line block ×4, first 2 shown]
	v_fma_mixlo_f16 v94, v66, v70, 0
	v_fma_mixlo_f16 v95, v66, v72, 0
	;; [unrolled: 1-line block ×8, first 2 shown]
	v_fma_mixhi_f16 v94, v66, v69, 0
	v_fma_mixhi_f16 v95, v66, v71, 0
	;; [unrolled: 1-line block ×8, first 2 shown]
	ds_store_b128 v80, v[94:97]
	ds_store_b128 v80, v[98:101] offset:1024
	s_waitcnt lgkmcnt(0)
	s_barrier
	buffer_gl0_inv
	ds_load_b128 v[69:72], v81
	ds_load_b128 v[82:85], v81 offset:16
	ds_load_b128 v[86:89], v81 offset:1024
	;; [unrolled: 1-line block ×3, first 2 shown]
	v_cmp_eq_u32_e64 s21, 5, v78
	v_cmp_eq_u32_e64 s22, 4, v76
	;; [unrolled: 1-line block ×12, first 2 shown]
	s_waitcnt lgkmcnt(3)
	v_lshrrev_b32_e32 v66, 16, v69
	s_waitcnt lgkmcnt(2)
	v_lshrrev_b32_e32 v97, 16, v82
	;; [unrolled: 2-line block ×4, first 2 shown]
	v_lshrrev_b32_e32 v94, 16, v70
	v_cndmask_b32_e64 v109, v69, v66, s5
	v_cndmask_b32_e64 v110, v82, v97, s5
	;; [unrolled: 1-line block ×7, first 2 shown]
	v_lshrrev_b32_e32 v98, 16, v83
	v_cndmask_b32_e64 v114, v82, v97, s10
	v_cndmask_b32_e64 v82, v86, v101, s5
	;; [unrolled: 1-line block ×15, first 2 shown]
	v_lshrrev_b32_e32 v102, 16, v87
	v_lshrrev_b32_e32 v106, 16, v91
	v_cndmask_b32_e64 v111, v113, v70, s16
	v_cndmask_b32_e64 v112, v114, v83, s16
	;; [unrolled: 1-line block ×7, first 2 shown]
	v_cndmask_b32_e32 v87, v101, v94, vcc_lo
	v_cndmask_b32_e32 v101, v105, v98, vcc_lo
	v_cndmask_b32_e64 v105, v109, v94, s13
	v_cndmask_b32_e64 v109, v110, v98, s13
	;; [unrolled: 1-line block ×4, first 2 shown]
	v_lshrrev_b32_e32 v95, 16, v71
	v_lshrrev_b32_e32 v99, 16, v84
	v_cndmask_b32_e64 v110, v111, v94, s18
	v_cndmask_b32_e64 v111, v112, v98, s18
	v_cndmask_b32_e32 v70, v70, v102, vcc_lo
	v_cndmask_b32_e32 v82, v82, v106, vcc_lo
	v_cndmask_b32_e64 v83, v83, v102, s13
	v_cndmask_b32_e64 v87, v87, v71, s4
	;; [unrolled: 1-line block ×7, first 2 shown]
	v_lshrrev_b32_e32 v103, 16, v88
	v_lshrrev_b32_e32 v107, 16, v92
	v_cndmask_b32_e64 v105, v110, v71, s22
	v_cndmask_b32_e64 v109, v111, v84, s22
	;; [unrolled: 1-line block ×11, first 2 shown]
	v_lshrrev_b32_e32 v96, 16, v72
	v_lshrrev_b32_e32 v100, 16, v85
	v_cndmask_b32_e64 v98, v105, v95, s24
	v_cndmask_b32_e64 v101, v109, v99, s24
	;; [unrolled: 1-line block ×11, first 2 shown]
	v_lshrrev_b32_e32 v104, 16, v89
	v_cndmask_b32_e64 v95, v98, v72, s27
	v_cndmask_b32_e64 v98, v101, v85, s27
	;; [unrolled: 1-line block ×14, first 2 shown]
	v_perm_b32 v72, v69, v66, 0x5040100
	v_perm_b32 v70, v94, v84, 0x5040100
	v_cndmask_b32_e64 v66, v90, v91, s17
	v_cndmask_b32_e64 v69, v118, v91, s16
	;; [unrolled: 1-line block ×4, first 2 shown]
	v_perm_b32 v71, v95, v87, 0x5040100
	v_cndmask_b32_e64 v87, v97, v102, s18
	v_cndmask_b32_e64 v86, v86, v102, s19
	;; [unrolled: 1-line block ×15, first 2 shown]
	v_lshrrev_b32_e32 v108, 16, v93
	v_cndmask_b32_e64 v87, v87, v89, s27
	v_cndmask_b32_e64 v86, v86, v89, s28
	;; [unrolled: 1-line block ×11, first 2 shown]
	v_perm_b32 v69, v83, v82, 0x5040100
	v_perm_b32 v85, v66, v86, 0x5040100
	;; [unrolled: 1-line block ×5, first 2 shown]
	s_mov_b32 s3, exec_lo
	ds_store_b128 v80, v[69:72]
	ds_store_b128 v80, v[82:85] offset:1024
	v_cmpx_eq_u32_e32 0, v0
	s_cbranch_execz .LBB1262_13
; %bb.12:
	s_load_b128 s[4:7], s[0:1], 0x58
	s_mul_i32 s8, s37, s34
	s_delay_alu instid0(SALU_CYCLE_1) | instskip(NEXT) | instid1(SALU_CYCLE_1)
	s_add_i32 s8, s8, s15
	s_mul_i32 s8, s8, s36
	s_delay_alu instid0(SALU_CYCLE_1) | instskip(NEXT) | instid1(SALU_CYCLE_1)
	s_add_i32 s8, s8, s14
	s_ashr_i32 s9, s8, 31
	s_delay_alu instid0(SALU_CYCLE_1)
	s_lshl_b64 s[8:9], s[8:9], 2
	s_waitcnt lgkmcnt(0)
	s_add_u32 s6, s6, s8
	s_addc_u32 s7, s7, s9
	s_add_u32 s4, s4, s8
	s_addc_u32 s5, s5, s9
	s_clause 0x1
	global_store_b32 v65, v67, s[6:7]
	global_store_b32 v65, v68, s[4:5]
.LBB1262_13:
	s_or_b32 exec_lo, exec_lo, s3
	s_waitcnt lgkmcnt(0)
	s_waitcnt_vscnt null, 0x0
	s_barrier
	buffer_gl0_inv
	ds_load_b128 v[82:85], v79
	ds_load_b128 v[86:89], v79 offset:16
	ds_load_b128 v[94:97], v79 offset:2064
	;; [unrolled: 1-line block ×5, first 2 shown]
	v_mov_b32_e32 v66, v65
	v_mov_b32_e32 v67, v65
	v_mov_b32_e32 v68, v65
	v_mov_b32_e32 v69, v65
	v_mov_b32_e32 v70, v65
	v_mov_b32_e32 v71, v65
	v_mov_b32_e32 v72, v65
	ds_load_b128 v[110:113], v79 offset:6160
	ds_load_b128 v[106:109], v79 offset:6144
	v_cmp_eq_u32_e32 vcc_lo, 1, v75
	v_cmp_eq_u32_e64 s3, 1, v78
	v_cmp_eq_u32_e64 s4, 1, v77
	;; [unrolled: 1-line block ×5, first 2 shown]
	s_xor_b32 s2, s2, -1
	s_waitcnt lgkmcnt(6)
	v_wmma_f32_16x16x16_f16 v[65:72], v[49:56], v[82:89], v[65:72]
	ds_load_b128 v[53:56], v79 offset:8208
	ds_load_b128 v[49:52], v79 offset:8192
	ds_load_b128 v[86:89], v79 offset:10256
	ds_load_b128 v[82:85], v79 offset:10240
	s_waitcnt lgkmcnt(8)
	v_wmma_f32_16x16x16_f16 v[65:72], v[41:48], v[90:97], v[65:72]
	ds_load_b128 v[45:48], v79 offset:12304
	ds_load_b128 v[41:44], v79 offset:12288
	s_waitcnt lgkmcnt(8)
	v_wmma_f32_16x16x16_f16 v[65:72], v[33:40], v[98:105], v[65:72]
	ds_load_b128 v[37:40], v79 offset:14352
	ds_load_b128 v[33:36], v79 offset:14336
	s_waitcnt lgkmcnt(0)
	s_barrier
	buffer_gl0_inv
	v_wmma_f32_16x16x16_f16 v[65:72], v[1:8], v[106:113], v[65:72]
	s_delay_alu instid0(VALU_DEP_1) | instskip(NEXT) | instid1(VALU_DEP_1)
	v_wmma_f32_16x16x16_f16 v[65:72], v[9:16], v[49:56], v[65:72]
	v_wmma_f32_16x16x16_f16 v[65:72], v[17:24], v[82:89], v[65:72]
	s_delay_alu instid0(VALU_DEP_1) | instskip(NEXT) | instid1(VALU_DEP_1)
	v_wmma_f32_16x16x16_f16 v[65:72], v[25:32], v[41:48], v[65:72]
	v_wmma_f32_16x16x16_f16 v[65:72], v[57:64], v[33:40], v[65:72]
	s_delay_alu instid0(VALU_DEP_1) | instskip(NEXT) | instid1(VALU_DEP_2)
	v_cvt_f16_f32_e32 v1, v65
	v_cvt_f16_f32_e32 v2, v66
	s_delay_alu instid0(VALU_DEP_3) | instskip(NEXT) | instid1(VALU_DEP_4)
	v_cvt_f16_f32_e32 v3, v67
	v_cvt_f16_f32_e32 v4, v68
	;; [unrolled: 1-line block ×6, first 2 shown]
	v_pack_b32_f16 v1, v1, v2
	v_pack_b32_f16 v2, v3, v4
	;; [unrolled: 1-line block ×3, first 2 shown]
	s_delay_alu instid0(VALU_DEP_4)
	v_pack_b32_f16 v4, v7, v8
	ds_store_b128 v80, v[1:4]
	s_waitcnt lgkmcnt(0)
	s_barrier
	buffer_gl0_inv
	ds_load_b128 v[1:4], v81
	ds_load_b128 v[5:8], v81 offset:16
	s_waitcnt lgkmcnt(1)
	v_lshrrev_b32_e32 v9, 16, v1
	s_waitcnt lgkmcnt(0)
	v_lshrrev_b32_e32 v13, 16, v5
	v_lshrrev_b32_e32 v16, 16, v8
	;; [unrolled: 1-line block ×4, first 2 shown]
	v_cndmask_b32_e32 v17, v1, v9, vcc_lo
	v_cndmask_b32_e32 v18, v5, v13, vcc_lo
	v_cmp_eq_u32_e32 vcc_lo, 1, v76
	v_cndmask_b32_e64 v19, v1, v9, s3
	v_cndmask_b32_e64 v20, v5, v13, s3
	v_cmp_eq_u32_e64 s3, 2, v76
	v_lshrrev_b32_e32 v11, 16, v3
	v_cndmask_b32_e32 v21, v1, v9, vcc_lo
	v_cndmask_b32_e32 v22, v5, v13, vcc_lo
	v_cndmask_b32_e64 v1, v1, v9, s4
	v_cmp_eq_u32_e32 vcc_lo, 2, v77
	v_cndmask_b32_e64 v5, v5, v13, s4
	v_cmp_eq_u32_e64 s4, 2, v78
	v_cndmask_b32_e64 v9, v17, v2, s5
	v_cndmask_b32_e64 v13, v18, v6, s5
	v_cmp_eq_u32_e64 s5, 3, v78
	v_cndmask_b32_e32 v1, v1, v2, vcc_lo
	v_cndmask_b32_e64 v17, v19, v2, s4
	v_cndmask_b32_e64 v18, v20, v6, s4
	v_cndmask_b32_e64 v19, v21, v2, s3
	v_cndmask_b32_e64 v20, v22, v6, s3
	v_cndmask_b32_e32 v2, v5, v6, vcc_lo
	v_cmp_eq_u32_e32 vcc_lo, 3, v76
	v_cmp_eq_u32_e64 s4, 3, v77
	v_cndmask_b32_e64 v5, v9, v10, s6
	v_cndmask_b32_e64 v6, v13, v14, s6
	;; [unrolled: 1-line block ×4, first 2 shown]
	v_cndmask_b32_e32 v17, v19, v10, vcc_lo
	v_cmp_eq_u32_e64 s3, 4, v76
	v_cndmask_b32_e32 v18, v20, v14, vcc_lo
	v_cndmask_b32_e64 v1, v1, v10, s4
	v_cmp_eq_u32_e32 vcc_lo, 4, v77
	v_cmp_eq_u32_e64 s5, 4, v75
	v_cndmask_b32_e64 v2, v2, v14, s4
	v_cmp_eq_u32_e64 s4, 4, v78
	v_lshrrev_b32_e32 v15, 16, v7
	v_cmp_eq_u32_e64 s6, 5, v75
	v_cndmask_b32_e64 v5, v5, v3, s5
	v_cndmask_b32_e64 v6, v6, v7, s5
	;; [unrolled: 1-line block ×3, first 2 shown]
	v_cmp_eq_u32_e64 s5, 5, v78
	v_cndmask_b32_e64 v10, v13, v7, s4
	v_cndmask_b32_e64 v13, v17, v3, s3
	;; [unrolled: 1-line block ×3, first 2 shown]
	v_cmp_eq_u32_e64 s4, 5, v76
	v_cndmask_b32_e32 v1, v1, v3, vcc_lo
	v_cndmask_b32_e32 v2, v2, v7, vcc_lo
	v_cmp_eq_u32_e32 vcc_lo, 5, v77
	v_cndmask_b32_e64 v5, v5, v11, s6
	v_cmp_eq_u32_e64 s3, 6, v75
	v_cndmask_b32_e64 v6, v6, v15, s6
	v_cndmask_b32_e64 v9, v9, v11, s5
	;; [unrolled: 1-line block ×4, first 2 shown]
	v_cmp_eq_u32_e64 s5, 6, v78
	v_cndmask_b32_e64 v3, v14, v15, s4
	v_cndmask_b32_e32 v1, v1, v11, vcc_lo
	v_cmp_eq_u32_e64 s4, 6, v77
	v_cndmask_b32_e32 v2, v2, v15, vcc_lo
	v_lshrrev_b32_e32 v12, 16, v4
	v_cndmask_b32_e64 v5, v5, v4, s3
	v_cndmask_b32_e64 v9, v9, v4, s5
	;; [unrolled: 1-line block ×3, first 2 shown]
	v_cmp_eq_u32_e64 s3, 7, v75
	v_cmp_eq_u32_e64 s6, 7, v78
	v_cndmask_b32_e64 v7, v13, v4, s7
	v_cndmask_b32_e64 v3, v3, v8, s7
	;; [unrolled: 1-line block ×3, first 2 shown]
	v_cmp_eq_u32_e32 vcc_lo, 7, v77
	v_cndmask_b32_e64 v2, v2, v8, s4
	v_cmp_eq_u32_e64 s4, 7, v76
	v_cndmask_b32_e64 v4, v10, v8, s5
	v_cndmask_b32_e64 v5, v5, v12, s3
	;; [unrolled: 1-line block ×3, first 2 shown]
	v_cndmask_b32_e32 v2, v2, v16, vcc_lo
	v_cndmask_b32_e64 v7, v7, v12, s4
	v_cndmask_b32_e32 v1, v1, v12, vcc_lo
	v_cndmask_b32_e64 v3, v3, v16, s4
	v_cndmask_b32_e64 v8, v4, v16, s6
	;; [unrolled: 1-line block ×3, first 2 shown]
	v_cmp_gt_u32_e32 vcc_lo, 32, v0
	v_perm_b32 v4, v2, v1, 0x5040100
	v_perm_b32 v3, v3, v7, 0x5040100
	;; [unrolled: 1-line block ×4, first 2 shown]
	s_and_b32 s2, vcc_lo, s2
	ds_store_b128 v80, v[1:4]
	s_waitcnt lgkmcnt(0)
	s_barrier
	buffer_gl0_inv
	s_and_saveexec_b32 s3, s2
	s_cbranch_execz .LBB1262_2
; %bb.14:
	s_load_b64 s[0:1], s[0:1], 0x68
	v_lshlrev_b32_e32 v1, 10, v0
	v_and_b32_e32 v0, 1, v0
	v_lshlrev_b32_e32 v2, 6, v74
	s_lshl_b32 s4, s36, 7
	s_delay_alu instid0(VALU_DEP_3) | instskip(NEXT) | instid1(VALU_DEP_3)
	v_and_b32_e32 v1, 0x3800, v1
	v_lshlrev_b32_e32 v0, 4, v0
	s_mul_i32 s2, s4, s34
	s_delay_alu instid0(SALU_CYCLE_1) | instskip(NEXT) | instid1(VALU_DEP_1)
	s_mul_i32 s2, s2, s37
	v_or3_b32 v0, v1, v2, v0
	s_ashr_i32 s3, s2, 31
	s_delay_alu instid0(SALU_CYCLE_1)
	s_lshl_b64 s[2:3], s[2:3], 1
	ds_load_b128 v[0:3], v0
	s_waitcnt lgkmcnt(0)
	s_add_u32 s5, s0, s2
	s_addc_u32 s3, s1, s3
	s_lshl_b32 s0, s14, 7
	s_mul_i32 s2, s4, s15
	s_ashr_i32 s1, s0, 31
	s_delay_alu instid0(SALU_CYCLE_1) | instskip(NEXT) | instid1(SALU_CYCLE_1)
	s_lshl_b64 s[0:1], s[0:1], 1
	s_add_u32 s4, s5, s0
	s_addc_u32 s5, s3, s1
	s_ashr_i32 s3, s2, 31
	s_delay_alu instid0(SALU_CYCLE_1) | instskip(NEXT) | instid1(SALU_CYCLE_1)
	s_lshl_b64 s[0:1], s[2:3], 1
	s_add_u32 s0, s4, s0
	s_addc_u32 s1, s5, s1
	global_store_b128 v73, v[0:3], s[0:1]
	s_nop 0
	s_sendmsg sendmsg(MSG_DEALLOC_VGPRS)
	s_endpgm
	.section	.rodata,"a",@progbits
	.p2align	6, 0x0
	.amdhsa_kernel _Z39paged_attention_ll4mi_QKV_mfma16_kernelIDF16_hLN4vllm18Fp8KVCacheDataTypeE1EDF16_Li16ELi128ELi256ELb1ELi1EL8MFMAType0EEvPKT_PKT0_S8_ifPKiSA_SA_iPKfiiiPfSD_PS3_PT2_iSC_SC_
		.amdhsa_group_segment_fixed_size 17472
		.amdhsa_private_segment_fixed_size 0
		.amdhsa_kernarg_size 400
		.amdhsa_user_sgpr_count 13
		.amdhsa_user_sgpr_dispatch_ptr 0
		.amdhsa_user_sgpr_queue_ptr 0
		.amdhsa_user_sgpr_kernarg_segment_ptr 1
		.amdhsa_user_sgpr_dispatch_id 0
		.amdhsa_user_sgpr_private_segment_size 0
		.amdhsa_wavefront_size32 1
		.amdhsa_uses_dynamic_stack 0
		.amdhsa_enable_private_segment 0
		.amdhsa_system_sgpr_workgroup_id_x 1
		.amdhsa_system_sgpr_workgroup_id_y 1
		.amdhsa_system_sgpr_workgroup_id_z 1
		.amdhsa_system_sgpr_workgroup_info 0
		.amdhsa_system_vgpr_workitem_id 0
		.amdhsa_next_free_vgpr 134
		.amdhsa_next_free_sgpr 66
		.amdhsa_reserve_vcc 1
		.amdhsa_float_round_mode_32 0
		.amdhsa_float_round_mode_16_64 0
		.amdhsa_float_denorm_mode_32 3
		.amdhsa_float_denorm_mode_16_64 3
		.amdhsa_dx10_clamp 1
		.amdhsa_ieee_mode 1
		.amdhsa_fp16_overflow 0
		.amdhsa_workgroup_processor_mode 1
		.amdhsa_memory_ordered 1
		.amdhsa_forward_progress 0
		.amdhsa_shared_vgpr_count 0
		.amdhsa_exception_fp_ieee_invalid_op 0
		.amdhsa_exception_fp_denorm_src 0
		.amdhsa_exception_fp_ieee_div_zero 0
		.amdhsa_exception_fp_ieee_overflow 0
		.amdhsa_exception_fp_ieee_underflow 0
		.amdhsa_exception_fp_ieee_inexact 0
		.amdhsa_exception_int_div_zero 0
	.end_amdhsa_kernel
	.section	.text._Z39paged_attention_ll4mi_QKV_mfma16_kernelIDF16_hLN4vllm18Fp8KVCacheDataTypeE1EDF16_Li16ELi128ELi256ELb1ELi1EL8MFMAType0EEvPKT_PKT0_S8_ifPKiSA_SA_iPKfiiiPfSD_PS3_PT2_iSC_SC_,"axG",@progbits,_Z39paged_attention_ll4mi_QKV_mfma16_kernelIDF16_hLN4vllm18Fp8KVCacheDataTypeE1EDF16_Li16ELi128ELi256ELb1ELi1EL8MFMAType0EEvPKT_PKT0_S8_ifPKiSA_SA_iPKfiiiPfSD_PS3_PT2_iSC_SC_,comdat
.Lfunc_end1262:
	.size	_Z39paged_attention_ll4mi_QKV_mfma16_kernelIDF16_hLN4vllm18Fp8KVCacheDataTypeE1EDF16_Li16ELi128ELi256ELb1ELi1EL8MFMAType0EEvPKT_PKT0_S8_ifPKiSA_SA_iPKfiiiPfSD_PS3_PT2_iSC_SC_, .Lfunc_end1262-_Z39paged_attention_ll4mi_QKV_mfma16_kernelIDF16_hLN4vllm18Fp8KVCacheDataTypeE1EDF16_Li16ELi128ELi256ELb1ELi1EL8MFMAType0EEvPKT_PKT0_S8_ifPKiSA_SA_iPKfiiiPfSD_PS3_PT2_iSC_SC_
                                        ; -- End function
	.section	.AMDGPU.csdata,"",@progbits
; Kernel info:
; codeLenInByte = 6440
; NumSgprs: 68
; NumVgprs: 134
; ScratchSize: 0
; MemoryBound: 1
; FloatMode: 240
; IeeeMode: 1
; LDSByteSize: 17472 bytes/workgroup (compile time only)
; SGPRBlocks: 8
; VGPRBlocks: 16
; NumSGPRsForWavesPerEU: 68
; NumVGPRsForWavesPerEU: 134
; Occupancy: 10
; WaveLimiterHint : 1
; COMPUTE_PGM_RSRC2:SCRATCH_EN: 0
; COMPUTE_PGM_RSRC2:USER_SGPR: 13
; COMPUTE_PGM_RSRC2:TRAP_HANDLER: 0
; COMPUTE_PGM_RSRC2:TGID_X_EN: 1
; COMPUTE_PGM_RSRC2:TGID_Y_EN: 1
; COMPUTE_PGM_RSRC2:TGID_Z_EN: 1
; COMPUTE_PGM_RSRC2:TIDIG_COMP_CNT: 0
	.section	.text._Z39paged_attention_ll4mi_QKV_mfma16_kernelIDF16_hLN4vllm18Fp8KVCacheDataTypeE1EDF16_Li16ELi128ELi256ELb1ELi2EL8MFMAType0EEvPKT_PKT0_S8_ifPKiSA_SA_iPKfiiiPfSD_PS3_PT2_iSC_SC_,"axG",@progbits,_Z39paged_attention_ll4mi_QKV_mfma16_kernelIDF16_hLN4vllm18Fp8KVCacheDataTypeE1EDF16_Li16ELi128ELi256ELb1ELi2EL8MFMAType0EEvPKT_PKT0_S8_ifPKiSA_SA_iPKfiiiPfSD_PS3_PT2_iSC_SC_,comdat
	.protected	_Z39paged_attention_ll4mi_QKV_mfma16_kernelIDF16_hLN4vllm18Fp8KVCacheDataTypeE1EDF16_Li16ELi128ELi256ELb1ELi2EL8MFMAType0EEvPKT_PKT0_S8_ifPKiSA_SA_iPKfiiiPfSD_PS3_PT2_iSC_SC_ ; -- Begin function _Z39paged_attention_ll4mi_QKV_mfma16_kernelIDF16_hLN4vllm18Fp8KVCacheDataTypeE1EDF16_Li16ELi128ELi256ELb1ELi2EL8MFMAType0EEvPKT_PKT0_S8_ifPKiSA_SA_iPKfiiiPfSD_PS3_PT2_iSC_SC_
	.globl	_Z39paged_attention_ll4mi_QKV_mfma16_kernelIDF16_hLN4vllm18Fp8KVCacheDataTypeE1EDF16_Li16ELi128ELi256ELb1ELi2EL8MFMAType0EEvPKT_PKT0_S8_ifPKiSA_SA_iPKfiiiPfSD_PS3_PT2_iSC_SC_
	.p2align	8
	.type	_Z39paged_attention_ll4mi_QKV_mfma16_kernelIDF16_hLN4vllm18Fp8KVCacheDataTypeE1EDF16_Li16ELi128ELi256ELb1ELi2EL8MFMAType0EEvPKT_PKT0_S8_ifPKiSA_SA_iPKfiiiPfSD_PS3_PT2_iSC_SC_,@function
_Z39paged_attention_ll4mi_QKV_mfma16_kernelIDF16_hLN4vllm18Fp8KVCacheDataTypeE1EDF16_Li16ELi128ELi256ELb1ELi2EL8MFMAType0EEvPKT_PKT0_S8_ifPKiSA_SA_iPKfiiiPfSD_PS3_PT2_iSC_SC_: ; @_Z39paged_attention_ll4mi_QKV_mfma16_kernelIDF16_hLN4vllm18Fp8KVCacheDataTypeE1EDF16_Li16ELi128ELi256ELb1ELi2EL8MFMAType0EEvPKT_PKT0_S8_ifPKiSA_SA_iPKfiiiPfSD_PS3_PT2_iSC_SC_
; %bb.0:
	s_load_b64 s[2:3], s[0:1], 0x30
	s_mov_b32 s34, s13
	s_waitcnt lgkmcnt(0)
	s_cmp_lg_u64 s[2:3], 0
	s_cselect_b32 s8, -1, 0
	s_ashr_i32 s35, s13, 31
	s_cmp_eq_u64 s[2:3], 0
	s_cbranch_scc1 .LBB1263_3
; %bb.1:
	s_lshl_b64 s[4:5], s[34:35], 2
	s_delay_alu instid0(SALU_CYCLE_1) | instskip(SKIP_4) | instid1(SALU_CYCLE_1)
	s_add_u32 s4, s2, s4
	s_addc_u32 s5, s3, s5
	s_load_b64 s[4:5], s[4:5], 0x0
	s_waitcnt lgkmcnt(0)
	s_sub_i32 s4, s5, s4
	s_cmp_eq_u32 s4, 1
	s_cselect_b32 s4, -1, 0
	s_delay_alu instid0(SALU_CYCLE_1)
	s_and_not1_b32 vcc_lo, exec_lo, s4
	s_cbranch_vccz .LBB1263_4
.LBB1263_2:
	s_endpgm
.LBB1263_3:
.LBB1263_4:
	s_load_b64 s[4:5], s[0:1], 0x28
	s_lshl_b64 s[6:7], s[34:35], 2
	s_waitcnt lgkmcnt(0)
	s_add_u32 s4, s4, s6
	s_addc_u32 s5, s5, s7
	s_lshl_b32 s12, s14, 8
	s_load_b32 s24, s[4:5], 0x0
	s_waitcnt lgkmcnt(0)
	s_cmp_ge_i32 s12, s24
	s_cbranch_scc1 .LBB1263_2
; %bb.5:
	s_clause 0x1
	s_load_b128 s[20:23], s[0:1], 0x8
	s_load_b64 s[4:5], s[0:1], 0x20
	s_and_not1_b32 vcc_lo, exec_lo, s8
	s_cbranch_vccnz .LBB1263_7
; %bb.6:
	s_add_u32 s2, s2, s6
	s_addc_u32 s3, s3, s7
	s_load_b32 s3, s[2:3], 0x0
	s_branch .LBB1263_8
.LBB1263_7:
	s_mov_b32 s3, s34
.LBB1263_8:
	s_load_b128 s[16:19], s[0:1], 0x48
	v_and_b32_e32 v70, 15, v0
	v_bfe_u32 v69, v0, 4, 1
	s_lshl_b32 s31, s15, 1
	v_and_b32_e32 v71, 31, v0
	v_and_b32_e32 v68, 1, v0
	v_lshlrev_b32_e32 v1, 3, v70
	v_cmp_gt_u32_e64 s2, 32, v0
	v_or_b32_e32 v67, s31, v69
	v_lshlrev_b32_e32 v66, 6, v69
	s_delay_alu instid0(VALU_DEP_4) | instskip(NEXT) | instid1(VALU_DEP_4)
	v_lshlrev_b32_e32 v65, 1, v1
	s_and_saveexec_b32 s6, s2
	s_cbranch_execz .LBB1263_10
; %bb.9:
	s_load_b64 s[8:9], s[0:1], 0x0
	v_lshlrev_b32_e32 v1, 7, v67
	s_waitcnt lgkmcnt(0)
	s_mul_hi_i32 s11, s3, s16
	s_mul_i32 s10, s3, s16
	v_lshlrev_b32_e32 v5, 10, v70
	s_lshl_b64 s[10:11], s[10:11], 1
	v_ashrrev_i32_e32 v2, 31, v1
	v_lshlrev_b32_e32 v6, 10, v68
	s_delay_alu instid0(VALU_DEP_3) | instskip(NEXT) | instid1(VALU_DEP_3)
	v_and_b32_e32 v5, 0x3800, v5
	v_lshlrev_b64 v[1:2], 1, v[1:2]
	s_delay_alu instid0(VALU_DEP_2) | instskip(SKIP_2) | instid1(VALU_DEP_2)
	v_or3_b32 v5, v5, v6, v66
	s_add_u32 s3, s8, s10
	s_addc_u32 s7, s9, s11
	v_add_co_u32 v1, vcc_lo, s3, v1
	s_delay_alu instid0(VALU_DEP_3) | instskip(NEXT) | instid1(VALU_DEP_2)
	v_add_co_ci_u32_e32 v2, vcc_lo, s7, v2, vcc_lo
	v_add_co_u32 v1, vcc_lo, v1, v65
	s_delay_alu instid0(VALU_DEP_2)
	v_add_co_ci_u32_e32 v2, vcc_lo, 0, v2, vcc_lo
	global_load_b128 v[1:4], v[1:2], off
	s_waitcnt vmcnt(0)
	ds_store_b128 v5, v[1:4]
.LBB1263_10:
	s_or_b32 exec_lo, exec_lo, s6
	v_and_b32_e32 v1, 0xef, v0
	s_waitcnt lgkmcnt(0)
	s_add_i32 s3, s24, 15
	s_clause 0x1
	s_load_b32 s6, s[0:1], 0x38
	s_load_b32 s33, s[0:1], 0x98
	s_ashr_i32 s7, s3, 31
	v_add_nc_u32_e32 v1, s12, v1
	s_lshr_b32 s7, s7, 28
	s_load_b32 s19, s[0:1], 0x1c
	s_add_i32 s3, s3, s7
	s_waitcnt lgkmcnt(0)
	v_ashrrev_i32_e32 v2, 31, v1
	v_or_b32_e32 v3, 16, v1
	s_ashr_i32 s3, s3, 4
	v_cmp_gt_i32_e32 vcc_lo, s24, v1
	s_add_i32 s3, s3, -1
	v_lshrrev_b32_e32 v2, 28, v2
	s_barrier
	buffer_gl0_inv
	s_mul_i32 s15, s15, s18
	v_lshlrev_b32_e32 v145, 6, v68
	v_add_nc_u32_e32 v4, v1, v2
	v_lshrrev_b32_e32 v72, 5, v0
	s_mul_i32 s6, s34, s6
	s_delay_alu instid0(SALU_CYCLE_1) | instskip(NEXT) | instid1(VALU_DEP_2)
	s_ashr_i32 s7, s6, 31
	v_ashrrev_i32_e32 v4, 4, v4
	v_add_nc_u32_e32 v2, v3, v2
	s_lshl_b64 s[6:7], s[6:7], 2
	s_delay_alu instid0(SALU_CYCLE_1) | instskip(NEXT) | instid1(VALU_DEP_2)
	s_add_u32 s13, s4, s6
	v_cndmask_b32_e32 v1, s3, v4, vcc_lo
	s_delay_alu instid0(VALU_DEP_2)
	v_ashrrev_i32_e32 v2, 4, v2
	v_cmp_gt_i32_e32 vcc_lo, s24, v3
	s_addc_u32 s16, s5, s7
	s_ashr_i32 s18, s15, 31
	s_add_u32 s25, s20, s15
	s_addc_u32 s28, s21, s18
	v_cndmask_b32_e32 v3, s3, v2, vcc_lo
	v_ashrrev_i32_e32 v2, 31, v1
	s_lshl_b32 s4, s14, 4
	s_delay_alu instid0(SALU_CYCLE_1) | instskip(NEXT) | instid1(VALU_DEP_2)
	s_ashr_i32 s5, s4, 31
	v_ashrrev_i32_e32 v4, 31, v3
	s_delay_alu instid0(VALU_DEP_2) | instskip(SKIP_1) | instid1(SALU_CYCLE_1)
	v_lshlrev_b64 v[1:2], 2, v[1:2]
	s_lshl_b64 s[4:5], s[4:5], 2
	s_add_u32 s4, s13, s4
	s_delay_alu instid0(VALU_DEP_2) | instskip(SKIP_1) | instid1(VALU_DEP_2)
	v_lshlrev_b64 v[3:4], 2, v[3:4]
	s_addc_u32 s5, s16, s5
	v_add_co_u32 v1, vcc_lo, s13, v1
	v_add_co_ci_u32_e32 v2, vcc_lo, s16, v2, vcc_lo
	s_delay_alu instid0(VALU_DEP_3) | instskip(NEXT) | instid1(VALU_DEP_4)
	v_add_co_u32 v3, vcc_lo, s13, v3
	v_add_co_ci_u32_e32 v4, vcc_lo, s16, v4, vcc_lo
	s_clause 0x1
	global_load_b32 v5, v[1:2], off
	global_load_b32 v7, v[3:4], off
	s_or_b32 s6, s12, 32
	v_lshlrev_b32_e32 v1, 4, v0
	s_ashr_i32 s7, s6, 4
	s_cmp_lt_i32 s6, s24
	s_cselect_b32 s6, s7, s3
	s_delay_alu instid0(VALU_DEP_1) | instskip(SKIP_1) | instid1(SALU_CYCLE_1)
	v_and_b32_e32 v1, 0xf0, v1
	s_ashr_i32 s7, s6, 31
	s_lshl_b64 s[6:7], s[6:7], 2
	s_delay_alu instid0(SALU_CYCLE_1)
	s_add_u32 s6, s13, s6
	s_addc_u32 s7, s16, s7
	s_or_b32 s8, s12, 64
	v_add_co_u32 v1, s25, s25, v1
	s_ashr_i32 s9, s8, 4
	s_cmp_lt_i32 s8, s24
	v_add_co_ci_u32_e64 v2, null, s28, 0, s25
	s_cselect_b32 s8, s9, s3
	s_delay_alu instid0(SALU_CYCLE_1) | instskip(NEXT) | instid1(SALU_CYCLE_1)
	s_ashr_i32 s9, s8, 31
	s_lshl_b64 s[8:9], s[8:9], 2
	s_delay_alu instid0(SALU_CYCLE_1) | instskip(SKIP_2) | instid1(SALU_CYCLE_1)
	s_add_u32 s8, s13, s8
	s_addc_u32 s9, s16, s9
	s_or_b32 s10, s12, 0x60
	s_ashr_i32 s11, s10, 4
	s_cmp_lt_i32 s10, s24
	s_cselect_b32 s10, s11, s3
	s_delay_alu instid0(SALU_CYCLE_1) | instskip(NEXT) | instid1(SALU_CYCLE_1)
	s_ashr_i32 s11, s10, 31
	s_lshl_b64 s[10:11], s[10:11], 2
	s_delay_alu instid0(SALU_CYCLE_1) | instskip(SKIP_2) | instid1(SALU_CYCLE_1)
	s_add_u32 s10, s13, s10
	s_addc_u32 s11, s16, s11
	s_or_b32 s20, s12, 0x80
	s_ashr_i32 s21, s20, 4
	s_cmp_lt_i32 s20, s24
	;; [unrolled: 10-line block ×3, first 2 shown]
	s_cselect_b32 s26, s27, s3
	s_delay_alu instid0(SALU_CYCLE_1) | instskip(NEXT) | instid1(SALU_CYCLE_1)
	s_ashr_i32 s27, s26, 31
	s_lshl_b64 s[26:27], s[26:27], 2
	s_delay_alu instid0(SALU_CYCLE_1)
	s_add_u32 s26, s13, s26
	s_addc_u32 s27, s16, s27
	s_clause 0x5
	s_load_b32 s25, s[4:5], 0x0
	s_load_b32 s28, s[6:7], 0x0
	s_load_b32 s29, s[8:9], 0x0
	s_load_b32 s30, s[10:11], 0x0
	s_load_b32 s35, s[20:21], 0x0
	s_load_b32 s26, s[26:27], 0x0
	s_or_b32 s7, s12, 0xc0
	s_mov_b32 s4, 0
	s_ashr_i32 s8, s7, 4
	s_cmp_lt_i32 s7, s24
	s_mov_b32 s5, s4
	s_cselect_b32 s10, s8, s3
	s_mov_b32 s6, s4
	s_ashr_i32 s11, s10, 31
	s_mov_b32 s7, s4
	s_lshl_b64 s[20:21], s[10:11], 2
	s_mov_b32 s11, s4
	s_add_u32 s20, s13, s20
	s_addc_u32 s21, s16, s21
	s_or_b32 s27, s12, 0xe0
	s_mov_b32 s8, s4
	s_ashr_i32 s36, s27, 4
	s_mov_b32 s9, s4
	s_mov_b32 s10, s4
	s_cmp_lt_i32 s27, s24
	v_mov_b32_e32 v120, s11
	v_dual_mov_b32 v114, s5 :: v_dual_mov_b32 v119, s10
	v_dual_mov_b32 v118, s9 :: v_dual_mov_b32 v117, s8
	;; [unrolled: 1-line block ×3, first 2 shown]
	v_mov_b32_e32 v113, s4
	s_cselect_b32 s4, s36, s3
	s_delay_alu instid0(SALU_CYCLE_1) | instskip(NEXT) | instid1(SALU_CYCLE_1)
	s_ashr_i32 s5, s4, 31
	s_lshl_b64 s[4:5], s[4:5], 2
	s_delay_alu instid0(SALU_CYCLE_1)
	s_add_u32 s4, s13, s4
	s_addc_u32 s5, s16, s5
	s_add_u32 s6, s22, s15
	s_addc_u32 s7, s23, s18
	s_waitcnt vmcnt(1)
	v_mad_i64_i32 v[3:4], null, v5, s17, v[1:2]
	s_waitcnt vmcnt(0)
	v_mad_i64_i32 v[5:6], null, v7, s17, v[1:2]
	v_lshlrev_b32_e32 v1, 4, v70
	s_clause 0xf
	global_load_b128 v[9:12], v[3:4], off
	global_load_b128 v[13:16], v[3:4], off offset:256
	global_load_b128 v[17:20], v[5:6], off
	global_load_b128 v[21:24], v[5:6], off offset:256
	global_load_b128 v[57:60], v[3:4], off offset:512
	;; [unrolled: 1-line block ×13, first 2 shown]
	ds_load_b128 v[25:28], v145
	ds_load_b128 v[29:32], v145 offset:1024
	s_load_b32 s3, s[20:21], 0x0
	ds_load_b128 v[121:124], v145 offset:2048
	ds_load_b128 v[125:128], v145 offset:3072
	s_load_b32 s4, s[4:5], 0x0
	v_lshl_or_b32 v1, v72, 8, v1
	s_delay_alu instid0(VALU_DEP_1) | instskip(NEXT) | instid1(VALU_DEP_1)
	v_add_co_u32 v129, s6, s6, v1
	v_add_co_ci_u32_e64 v130, null, s7, 0, s6
	s_waitcnt lgkmcnt(0)
	s_delay_alu instid0(VALU_DEP_1)
	v_mad_i64_i32 v[1:2], null, s25, s17, v[129:130]
	v_mad_i64_i32 v[3:4], null, s28, s17, v[129:130]
	;; [unrolled: 1-line block ×8, first 2 shown]
	s_clause 0x7
	global_load_b128 v[49:52], v[1:2], off
	global_load_b128 v[53:56], v[1:2], off offset:16
	global_load_b128 v[41:44], v[3:4], off
	global_load_b128 v[45:48], v[3:4], off offset:16
	;; [unrolled: 2-line block ×4, first 2 shown]
	s_waitcnt vmcnt(22)
	v_wmma_f32_16x16x16_f16 v[129:136], v[9:16], v[25:32], v[113:120]
	s_waitcnt vmcnt(20)
	v_wmma_f32_16x16x16_f16 v[113:120], v[17:24], v[25:32], v[113:120]
	s_clause 0x5
	global_load_b128 v[9:12], v[137:138], off
	global_load_b128 v[13:16], v[137:138], off offset:16
	global_load_b128 v[17:20], v[139:140], off
	global_load_b128 v[21:24], v[139:140], off offset:16
	;; [unrolled: 2-line block ×3, first 2 shown]
	v_mbcnt_lo_u32_b32 v137, -1, 0
	s_waitcnt vmcnt(24)
	v_wmma_f32_16x16x16_f16 v[129:136], v[57:64], v[121:128], v[129:136]
	s_clause 0x1
	global_load_b128 v[57:60], v[143:144], off
	global_load_b128 v[61:64], v[143:144], off offset:16
	s_waitcnt vmcnt(24)
	v_wmma_f32_16x16x16_f16 v[113:120], v[73:80], v[121:128], v[113:120]
	ds_load_b128 v[73:76], v145 offset:4096
	ds_load_b128 v[77:80], v145 offset:5120
	v_and_b32_e32 v121, 0xe0, v0
	v_xor_b32_e32 v139, 16, v137
	s_delay_alu instid0(VALU_DEP_2)
	v_add_nc_u32_e32 v138, s12, v121
	ds_load_b128 v[121:124], v145 offset:6144
	ds_load_b128 v[125:128], v145 offset:7168
	v_cmp_gt_i32_e32 vcc_lo, 32, v139
	s_waitcnt vmcnt(0) lgkmcnt(0)
	s_barrier
	v_or_b32_e32 v138, v138, v69
	buffer_gl0_inv
	v_or_b32_e32 v140, 4, v138
	v_or_b32_e32 v141, 6, v138
	;; [unrolled: 1-line block ×3, first 2 shown]
	v_wmma_f32_16x16x16_f16 v[129:136], v[81:88], v[73:80], v[129:136]
	v_wmma_f32_16x16x16_f16 v[113:120], v[89:96], v[73:80], v[113:120]
	v_or_b32_e32 v81, 10, v138
	v_cmp_gt_i32_e64 s4, s24, v140
	v_cmp_gt_i32_e64 s5, s24, v141
	v_or_b32_e32 v82, 12, v138
	v_or_b32_e32 v83, 14, v138
	v_wmma_f32_16x16x16_f16 v[129:136], v[97:104], v[121:128], v[129:136]
	v_wmma_f32_16x16x16_f16 v[113:120], v[105:112], v[121:128], v[113:120]
	v_cndmask_b32_e32 v137, v137, v139, vcc_lo
	v_or_b32_e32 v139, 2, v138
	v_cmp_gt_i32_e32 vcc_lo, s24, v138
	v_mul_f32_e32 v90, s19, v130
	v_dual_mul_f32 v92, s19, v120 :: v_dual_mul_f32 v91, s19, v129
	s_delay_alu instid0(VALU_DEP_4) | instskip(SKIP_2) | instid1(VALU_DEP_4)
	v_cmp_gt_i32_e64 s3, s24, v139
	v_dual_mul_f32 v80, s19, v132 :: v_dual_mul_f32 v89, s19, v131
	v_mul_f32_e32 v78, s19, v134
	v_cndmask_b32_e32 v91, 0xff7fffff, v91, vcc_lo
	s_delay_alu instid0(VALU_DEP_4) | instskip(SKIP_3) | instid1(VALU_DEP_4)
	v_cndmask_b32_e64 v90, 0xff7fffff, v90, s3
	v_dual_mul_f32 v79, s19, v133 :: v_dual_mul_f32 v98, s19, v114
	v_cndmask_b32_e64 v89, 0xff7fffff, v89, s4
	v_cndmask_b32_e64 v80, 0xff7fffff, v80, s5
	v_max3_f32 v90, v91, 0xff7fffff, v90
	v_cmp_gt_i32_e64 s6, s24, v142
	v_cmp_gt_i32_e64 s7, s24, v81
	v_or_b32_e32 v84, 16, v138
	v_or_b32_e32 v85, 18, v138
	v_dual_mul_f32 v76, s19, v136 :: v_dual_mul_f32 v77, s19, v135
	v_mul_f32_e32 v96, s19, v116
	v_cndmask_b32_e64 v79, 0xff7fffff, v79, s6
	v_cndmask_b32_e64 v78, 0xff7fffff, v78, s7
	v_max3_f32 v80, v90, v89, v80
	v_cmp_gt_i32_e64 s8, s24, v82
	v_cmp_gt_i32_e64 s9, s24, v83
	v_or_b32_e32 v86, 20, v138
	v_or_b32_e32 v87, 22, v138
	v_mul_f32_e32 v99, s19, v113
	v_cndmask_b32_e64 v77, 0xff7fffff, v77, s8
	v_cndmask_b32_e64 v76, 0xff7fffff, v76, s9
	v_max3_f32 v78, v80, v79, v78
	v_cmp_gt_i32_e64 s10, s24, v84
	v_cmp_gt_i32_e64 s11, s24, v85
	v_or_b32_e32 v88, 24, v138
	v_or_b32_e32 v73, 26, v138
	;; [unrolled: 8-line block ×3, first 2 shown]
	v_dual_mul_f32 v94, s19, v118 :: v_dual_mul_f32 v95, s19, v117
	v_cndmask_b32_e64 v77, 0xff7fffff, v97, s12
	v_cndmask_b32_e64 v78, 0xff7fffff, v96, s13
	v_max3_f32 v76, v76, v79, v80
	v_cmp_gt_i32_e64 s15, s24, v88
	v_cmp_gt_i32_e64 s16, s24, v73
	v_mul_f32_e32 v93, s19, v119
	v_cmp_gt_i32_e64 s17, s24, v74
	v_max3_f32 v76, v76, v77, v78
	v_cndmask_b32_e64 v79, 0xff7fffff, v95, s15
	v_cndmask_b32_e64 v73, 0xff7fffff, v94, s16
	v_cmp_gt_i32_e64 s18, s24, v75
	v_cndmask_b32_e64 v74, 0xff7fffff, v93, s17
	s_delay_alu instid0(VALU_DEP_3) | instskip(NEXT) | instid1(VALU_DEP_3)
	v_max3_f32 v73, v76, v79, v73
	v_cndmask_b32_e64 v75, 0xff7fffff, v92, s18
	v_lshlrev_b32_e32 v76, 2, v137
	s_delay_alu instid0(VALU_DEP_2) | instskip(SKIP_3) | instid1(VALU_DEP_1)
	v_max3_f32 v73, v73, v74, v75
	ds_bpermute_b32 v74, v76, v73
	s_waitcnt lgkmcnt(0)
	v_max_f32_e32 v74, v74, v74
	v_max_f32_e32 v73, v73, v74
	s_delay_alu instid0(VALU_DEP_1) | instskip(SKIP_4) | instid1(VALU_DEP_4)
	v_fma_f32 v74, s19, v129, -v73
	v_fma_f32 v83, s19, v135, -v73
	;; [unrolled: 1-line block ×5, first 2 shown]
	v_dual_mul_f32 v74, 0x3fb8aa3b, v74 :: v_dual_mul_f32 v83, 0x3fb8aa3b, v83
	s_delay_alu instid0(VALU_DEP_4) | instskip(NEXT) | instid1(VALU_DEP_4)
	v_mul_f32_e32 v75, 0x3fb8aa3b, v75
	v_mul_f32_e32 v77, 0x3fb8aa3b, v77
	v_fma_f32 v80, s19, v133, -v73
	s_delay_alu instid0(VALU_DEP_4)
	v_exp_f32_e32 v74, v74
	v_exp_f32_e32 v85, v83
	;; [unrolled: 1-line block ×3, first 2 shown]
	v_mul_f32_e32 v78, 0x3fb8aa3b, v78
	v_exp_f32_e32 v77, v77
	v_mul_f32_e32 v80, 0x3fb8aa3b, v80
	s_delay_alu instid0(VALU_DEP_2) | instskip(NEXT) | instid1(VALU_DEP_1)
	v_exp_f32_e32 v82, v78
	v_exp_f32_e32 v84, v80
	v_cndmask_b32_e64 v85, 0, v85, s8
	v_cndmask_b32_e32 v79, 0, v74, vcc_lo
	v_fma_f32 v74, s19, v134, -v73
	v_cndmask_b32_e64 v78, 0, v75, s3
	s_delay_alu instid0(TRANS32_DEP_3) | instskip(SKIP_1) | instid1(VALU_DEP_3)
	v_cndmask_b32_e64 v81, 0, v77, s4
	s_mov_b32 s3, exec_lo
	v_dual_add_f32 v75, 0, v79 :: v_dual_mul_f32 v74, 0x3fb8aa3b, v74
	s_delay_alu instid0(TRANS32_DEP_2) | instskip(SKIP_2) | instid1(VALU_DEP_4)
	v_cndmask_b32_e64 v80, 0, v82, s5
	v_fma_f32 v82, s19, v113, -v73
	v_cndmask_b32_e64 v83, 0, v84, s6
	v_add_f32_e32 v75, v75, v78
	v_exp_f32_e32 v74, v74
	s_delay_alu instid0(VALU_DEP_1) | instskip(NEXT) | instid1(VALU_DEP_1)
	v_dual_mul_f32 v86, 0x3fb8aa3b, v82 :: v_dual_add_f32 v75, v75, v81
	v_exp_f32_e32 v86, v86
	s_delay_alu instid0(VALU_DEP_1)
	v_add_f32_e32 v75, v75, v80
	s_waitcnt_depctr 0xfff
	v_cndmask_b32_e64 v82, 0, v74, s7
	v_add_f32_e32 v74, v75, v83
	v_fma_f32 v77, s19, v136, -v73
	v_fma_f32 v90, s19, v118, -v73
	;; [unrolled: 1-line block ×4, first 2 shown]
	s_delay_alu instid0(VALU_DEP_4) | instskip(NEXT) | instid1(VALU_DEP_4)
	v_dual_add_f32 v74, v74, v82 :: v_dual_mul_f32 v77, 0x3fb8aa3b, v77
	v_mul_f32_e32 v90, 0x3fb8aa3b, v90
	s_delay_alu instid0(VALU_DEP_4) | instskip(SKIP_1) | instid1(VALU_DEP_4)
	v_mul_f32_e32 v84, 0x3fb8aa3b, v84
	v_fma_f32 v87, s19, v116, -v73
	v_add_f32_e32 v74, v74, v85
	v_exp_f32_e32 v77, v77
	v_exp_f32_e32 v90, v90
	;; [unrolled: 1-line block ×3, first 2 shown]
	v_mul_f32_e32 v89, 0x3fb8aa3b, v87
	v_cndmask_b32_e64 v87, 0, v86, s10
	v_fma_f32 v92, s19, v120, -v73
	s_delay_alu instid0(VALU_DEP_3) | instskip(SKIP_1) | instid1(TRANS32_DEP_3)
	v_exp_f32_e32 v91, v89
	v_cndmask_b32_e64 v84, 0, v77, s9
	v_cndmask_b32_e64 v90, 0, v90, s16
	v_mul_f32_e32 v75, 0x3fb8aa3b, v75
	v_fma_f32 v77, s19, v117, -v73
	s_delay_alu instid0(TRANS32_DEP_2) | instskip(SKIP_3) | instid1(VALU_DEP_2)
	v_cndmask_b32_e64 v86, 0, v88, s11
	v_add_f32_e32 v74, v74, v84
	v_fma_f32 v88, s19, v119, -v73
	v_exp_f32_e32 v75, v75
	v_dual_mul_f32 v77, 0x3fb8aa3b, v77 :: v_dual_add_f32 v74, v74, v87
	s_delay_alu instid0(VALU_DEP_1) | instskip(NEXT) | instid1(VALU_DEP_1)
	v_exp_f32_e32 v77, v77
	v_add_f32_e32 v74, v74, v86
	s_waitcnt_depctr 0xfff
	v_cndmask_b32_e64 v89, 0, v75, s12
	v_mul_f32_e32 v75, 0x3fb8aa3b, v88
	v_cndmask_b32_e64 v88, 0, v91, s13
	s_delay_alu instid0(VALU_DEP_3) | instskip(NEXT) | instid1(VALU_DEP_3)
	v_add_f32_e32 v74, v74, v89
	v_exp_f32_e32 v75, v75
	v_cndmask_b32_e64 v91, 0, v77, s15
	v_mul_f32_e32 v77, 0x3fb8aa3b, v92
	s_delay_alu instid0(VALU_DEP_3) | instskip(NEXT) | instid1(VALU_DEP_2)
	v_add_f32_e32 v74, v74, v88
	v_exp_f32_e32 v77, v77
	s_delay_alu instid0(VALU_DEP_1) | instskip(SKIP_4) | instid1(VALU_DEP_2)
	v_add_f32_e32 v74, v74, v91
	s_waitcnt_depctr 0xfff
	v_cndmask_b32_e64 v93, 0, v75, s17
	v_add_f32_e32 v74, v74, v90
	v_cndmask_b32_e64 v92, 0, v77, s18
	v_add_f32_e32 v74, v74, v93
	s_delay_alu instid0(VALU_DEP_1)
	v_add_f32_e32 v74, v74, v92
	ds_bpermute_b32 v75, v76, v74
	v_cmpx_gt_u32_e32 16, v71
	s_cbranch_execz .LBB1263_12
; %bb.11:
	v_mul_u32_u24_e32 v71, 0x44, v72
	s_waitcnt lgkmcnt(0)
	v_add_f32_e32 v74, v74, v75
	s_delay_alu instid0(VALU_DEP_2) | instskip(NEXT) | instid1(VALU_DEP_1)
	v_lshl_add_u32 v71, v70, 2, v71
	v_add_nc_u32_e32 v71, 0x4000, v71
	ds_store_2addr_b32 v71, v73, v74 offset1:136
.LBB1263_12:
	s_or_b32 exec_lo, exec_lo, s3
	v_lshlrev_b32_e32 v71, 2, v70
	s_load_b32 s35, s[0:1], 0x94
	s_waitcnt lgkmcnt(0)
	s_barrier
	buffer_gl0_inv
	v_add_nc_u32_e32 v71, 0x4000, v71
	v_cmp_eq_u32_e32 vcc_lo, 1, v72
	v_cmp_eq_u32_e64 s3, 2, v72
	v_cmp_eq_u32_e64 s4, 3, v72
	;; [unrolled: 1-line block ×3, first 2 shown]
	ds_load_2addr_b32 v[73:74], v71 offset1:17
	ds_load_2addr_b32 v[94:95], v71 offset0:34 offset1:51
	ds_load_2addr_b32 v[96:97], v71 offset0:68 offset1:85
	;; [unrolled: 1-line block ×3, first 2 shown]
	v_cmp_eq_u32_e64 s6, 5, v72
	v_cmp_eq_u32_e64 s7, 7, v72
	s_waitcnt lgkmcnt(3)
	v_max3_f32 v75, v73, 0xff7fffff, v74
	s_waitcnt lgkmcnt(2)
	s_delay_alu instid0(VALU_DEP_1) | instskip(SKIP_1) | instid1(VALU_DEP_1)
	v_max3_f32 v75, v75, v94, v95
	s_waitcnt lgkmcnt(1)
	v_max3_f32 v75, v75, v96, v97
	s_waitcnt lgkmcnt(0)
	s_delay_alu instid0(VALU_DEP_1) | instskip(NEXT) | instid1(VALU_DEP_1)
	v_max3_f32 v76, v75, v98, v99
	v_sub_f32_e32 v96, v96, v76
	ds_load_2addr_b32 v[100:101], v71 offset0:136 offset1:153
	v_sub_f32_e32 v73, v73, v76
	v_sub_f32_e32 v75, v74, v76
	;; [unrolled: 1-line block ×3, first 2 shown]
	v_mul_f32_e32 v105, 0x3fb8aa3b, v96
	s_delay_alu instid0(VALU_DEP_4)
	v_mul_f32_e32 v77, 0x3fb8aa3b, v73
	ds_load_2addr_b32 v[73:74], v71 offset0:170 offset1:187
	v_mul_f32_e32 v103, 0x3fb8aa3b, v94
	v_exp_f32_e32 v102, v77
	v_sub_f32_e32 v77, v95, v76
	ds_load_2addr_b32 v[94:95], v71 offset0:204 offset1:221
	v_exp_f32_e32 v103, v103
	v_mul_f32_e32 v104, 0x3fb8aa3b, v77
	s_waitcnt lgkmcnt(2)
	v_fma_f32 v77, v102, v100, 0
	v_dual_sub_f32 v100, v97, v76 :: v_dual_mul_f32 v75, 0x3fb8aa3b, v75
	ds_load_2addr_b32 v[96:97], v71 offset0:238 offset1:255
	v_sub_f32_e32 v71, v98, v76
	v_exp_f32_e32 v104, v104
	v_mul_f32_e32 v98, 0x3fb8aa3b, v100
	v_exp_f32_e32 v75, v75
	v_exp_f32_e32 v100, v105
	v_mul_f32_e32 v71, 0x3fb8aa3b, v71
	s_waitcnt lgkmcnt(0)
	v_exp_f32_e32 v98, v98
	s_barrier
	buffer_gl0_inv
	v_fmac_f32_e32 v77, v75, v101
	s_delay_alu instid0(VALU_DEP_1) | instskip(SKIP_2) | instid1(VALU_DEP_2)
	v_fmac_f32_e32 v77, v103, v73
	v_sub_f32_e32 v73, v99, v76
	v_exp_f32_e32 v99, v71
	v_fmac_f32_e32 v77, v104, v74
	s_delay_alu instid0(VALU_DEP_2) | instskip(NEXT) | instid1(VALU_DEP_2)
	v_dual_mul_f32 v73, 0x3fb8aa3b, v73 :: v_dual_lshlrev_b32 v74, 6, v70
	v_dual_fmac_f32 v77, v100, v94 :: v_dual_lshlrev_b32 v70, 2, v69
	s_delay_alu instid0(VALU_DEP_2) | instskip(SKIP_1) | instid1(VALU_DEP_3)
	v_exp_f32_e32 v94, v73
	v_cndmask_b32_e32 v73, v102, v75, vcc_lo
	v_lshl_or_b32 v75, v72, 11, v74
	s_delay_alu instid0(VALU_DEP_3) | instskip(SKIP_1) | instid1(VALU_DEP_3)
	v_cmp_eq_u32_e64 s8, 7, v70
	v_fmac_f32_e32 v77, v98, v95
	v_lshl_or_b32 v69, v69, 4, v75
	s_delay_alu instid0(VALU_DEP_2)
	v_fmac_f32_e32 v77, v99, v96
	s_delay_alu instid0(TRANS32_DEP_1) | instid1(VALU_DEP_1)
	v_fmac_f32_e32 v77, v94, v97
	s_delay_alu instid0(VALU_DEP_1) | instskip(NEXT) | instid1(VALU_DEP_1)
	v_add_f32_e32 v95, 0x358637bd, v77
	v_div_scale_f32 v96, null, v95, v95, 1.0
	v_div_scale_f32 v101, vcc_lo, 1.0, v95, 1.0
	s_delay_alu instid0(VALU_DEP_2) | instskip(SKIP_2) | instid1(VALU_DEP_1)
	v_rcp_f32_e32 v97, v96
	s_waitcnt_depctr 0xfff
	v_fma_f32 v71, -v96, v97, 1.0
	v_fmac_f32_e32 v97, v71, v97
	v_cndmask_b32_e64 v71, v73, v103, s3
	v_cmp_eq_u32_e64 s3, 6, v72
	v_or_b32_e32 v73, 1, v70
	v_or_b32_e32 v72, 3, v70
	v_mul_f32_e32 v102, v101, v97
	v_cndmask_b32_e64 v71, v71, v104, s4
	v_cmp_eq_u32_e64 s4, 1, v70
	v_cmp_eq_u32_e64 s9, 1, v73
	;; [unrolled: 1-line block ×3, first 2 shown]
	v_fma_f32 v103, -v96, v102, v101
	v_cndmask_b32_e64 v100, v71, v100, s5
	v_or_b32_e32 v71, 2, v70
	v_cmp_eq_u32_e64 s5, 2, v70
	v_cmp_eq_u32_e64 s12, 2, v73
	v_fmac_f32_e32 v102, v103, v97
	v_cndmask_b32_e64 v98, v100, v98, s6
	v_cmp_eq_u32_e64 s10, 1, v71
	v_cmp_eq_u32_e64 s15, 2, v71
	;; [unrolled: 1-line block ×3, first 2 shown]
	v_fma_f32 v96, -v96, v102, v101
	v_cndmask_b32_e64 v98, v98, v99, s3
	v_cmp_eq_u32_e64 s13, 3, v73
	v_cmp_eq_u32_e64 s18, 3, v72
	;; [unrolled: 1-line block ×3, first 2 shown]
	v_div_fmas_f32 v96, v96, v97, v102
	v_cndmask_b32_e64 v94, v98, v94, s7
	v_cmp_eq_u32_e32 vcc_lo, 3, v70
	v_cmp_eq_u32_e64 s17, 3, v71
	v_cmp_eq_u32_e64 s19, 4, v73
	v_div_fixup_f32 v95, v96, v95, 1.0
	v_cmp_eq_u32_e64 s22, 4, v72
	v_cmp_eq_u32_e64 s6, 5, v70
	v_cmp_eq_u32_e64 s20, 5, v73
	v_cmp_eq_u32_e64 s21, 4, v71
	v_mul_f32_e32 v102, v94, v95
	v_cmp_eq_u32_e64 s24, 5, v72
	v_cmp_eq_u32_e64 s23, 5, v71
	;; [unrolled: 1-line block ×4, first 2 shown]
	v_fma_mixlo_f16 v94, v102, v79, 0
	v_fma_mixlo_f16 v95, v102, v81, 0
	;; [unrolled: 1-line block ×8, first 2 shown]
	v_fma_mixhi_f16 v94, v102, v78, 0
	v_fma_mixhi_f16 v95, v102, v80, 0
	;; [unrolled: 1-line block ×8, first 2 shown]
	ds_store_b128 v69, v[94:97]
	ds_store_b128 v69, v[98:101] offset:1024
	s_waitcnt lgkmcnt(0)
	s_barrier
	buffer_gl0_inv
	ds_load_b128 v[78:81], v75
	ds_load_b128 v[82:85], v75 offset:16
	ds_load_b128 v[86:89], v75 offset:1024
	;; [unrolled: 1-line block ×3, first 2 shown]
	v_cmp_eq_u32_e64 s7, 6, v70
	v_cmp_eq_u32_e64 s26, 6, v71
	;; [unrolled: 1-line block ×5, first 2 shown]
	s_waitcnt lgkmcnt(3)
	v_lshrrev_b32_e32 v94, 16, v78
	s_waitcnt lgkmcnt(2)
	v_lshrrev_b32_e32 v98, 16, v82
	;; [unrolled: 2-line block ×4, first 2 shown]
	v_lshrrev_b32_e32 v95, 16, v79
	v_cndmask_b32_e64 v110, v78, v94, s4
	v_cndmask_b32_e64 v111, v82, v98, s4
	;; [unrolled: 1-line block ×8, first 2 shown]
	v_lshrrev_b32_e32 v99, 16, v83
	v_cndmask_b32_e64 v94, v86, v102, s4
	v_cndmask_b32_e64 v98, v90, v106, s4
	;; [unrolled: 1-line block ×15, first 2 shown]
	v_lshrrev_b32_e32 v103, 16, v87
	v_lshrrev_b32_e32 v107, 16, v91
	v_cndmask_b32_e64 v113, v115, v83, s15
	v_cndmask_b32_e64 v82, v94, v87, s5
	;; [unrolled: 1-line block ×7, first 2 shown]
	v_cndmask_b32_e32 v90, v102, v95, vcc_lo
	v_cndmask_b32_e32 v102, v106, v99, vcc_lo
	v_cndmask_b32_e64 v106, v110, v95, s13
	v_cndmask_b32_e64 v110, v111, v99, s13
	;; [unrolled: 1-line block ×4, first 2 shown]
	v_lshrrev_b32_e32 v96, 16, v80
	v_lshrrev_b32_e32 v100, 16, v84
	v_cndmask_b32_e64 v111, v112, v95, s17
	v_cndmask_b32_e64 v112, v113, v99, s17
	v_cndmask_b32_e32 v82, v82, v103, vcc_lo
	v_cndmask_b32_e32 v83, v83, v107, vcc_lo
	v_cndmask_b32_e64 v94, v94, v103, s13
	v_cndmask_b32_e64 v90, v90, v80, s3
	;; [unrolled: 1-line block ×7, first 2 shown]
	v_lshrrev_b32_e32 v104, 16, v88
	v_cndmask_b32_e64 v106, v111, v80, s21
	v_cndmask_b32_e64 v110, v112, v84, s21
	;; [unrolled: 1-line block ×11, first 2 shown]
	v_lshrrev_b32_e32 v97, 16, v81
	v_lshrrev_b32_e32 v101, 16, v85
	v_cndmask_b32_e64 v99, v106, v96, s23
	v_cndmask_b32_e64 v102, v110, v100, s23
	;; [unrolled: 1-line block ×7, first 2 shown]
	v_lshrrev_b32_e32 v105, 16, v89
	v_cndmask_b32_e64 v80, v80, v104, s6
	v_cndmask_b32_e64 v84, v84, v81, s7
	;; [unrolled: 1-line block ×16, first 2 shown]
	v_perm_b32 v81, v79, v78, 0x5040100
	v_perm_b32 v79, v95, v85, 0x5040100
	v_cndmask_b32_e64 v78, v119, v91, s15
	v_cndmask_b32_e64 v85, v117, v91, s12
	;; [unrolled: 1-line block ×3, first 2 shown]
	v_perm_b32 v80, v94, v90, 0x5040100
	v_cndmask_b32_e64 v90, v98, v103, s17
	v_cndmask_b32_e64 v86, v86, v103, s18
	v_cndmask_b32_e64 v87, v87, v107, s18
	v_cndmask_b32_e64 v78, v78, v107, s17
	v_cndmask_b32_e64 v85, v85, v107, s13
	v_lshrrev_b32_e32 v108, 16, v92
	v_cndmask_b32_e64 v90, v90, v88, s21
	v_cndmask_b32_e64 v86, v86, v88, s22
	;; [unrolled: 1-line block ×11, first 2 shown]
	v_lshrrev_b32_e32 v109, 16, v93
	v_cndmask_b32_e64 v82, v82, v93, s7
	v_cndmask_b32_e64 v88, v88, v89, s26
	;; [unrolled: 1-line block ×12, first 2 shown]
	v_perm_b32 v78, v84, v83, 0x5040100
	v_perm_b32 v85, v87, v86, 0x5040100
	v_perm_b32 v84, v89, v88, 0x5040100
	v_perm_b32 v83, v90, v97, 0x5040100
	v_perm_b32 v82, v82, v96, 0x5040100
	s_lshl_b32 s8, s33, 1
	s_mov_b32 s3, exec_lo
	ds_store_b128 v69, v[78:81]
	ds_store_b128 v69, v[82:85] offset:1024
	v_cmpx_gt_u32_e32 2, v0
	s_cbranch_execz .LBB1263_14
; %bb.13:
	v_or_b32_e32 v78, s31, v0
	s_load_b128 s[4:7], s[0:1], 0x58
	s_delay_alu instid0(VALU_DEP_1) | instskip(NEXT) | instid1(VALU_DEP_1)
	v_mad_u64_u32 v[79:80], null, s8, s34, v[78:79]
	v_mad_u64_u32 v[80:81], null, v79, s35, s[14:15]
	s_delay_alu instid0(VALU_DEP_1) | instskip(NEXT) | instid1(VALU_DEP_1)
	v_ashrrev_i32_e32 v81, 31, v80
	v_lshlrev_b64 v[78:79], 2, v[80:81]
	s_waitcnt lgkmcnt(0)
	s_delay_alu instid0(VALU_DEP_1) | instskip(NEXT) | instid1(VALU_DEP_2)
	v_add_co_u32 v80, vcc_lo, s6, v78
	v_add_co_ci_u32_e32 v81, vcc_lo, s7, v79, vcc_lo
	v_add_co_u32 v78, vcc_lo, s4, v78
	v_add_co_ci_u32_e32 v79, vcc_lo, s5, v79, vcc_lo
	global_store_b32 v[80:81], v76, off
	global_store_b32 v[78:79], v77, off
.LBB1263_14:
	s_or_b32 exec_lo, exec_lo, s3
	s_waitcnt lgkmcnt(0)
	s_waitcnt_vscnt null, 0x0
	s_barrier
	buffer_gl0_inv
	ds_load_b128 v[84:87], v74
	ds_load_b128 v[88:91], v74 offset:16
	ds_load_b128 v[96:99], v74 offset:2064
	ds_load_b128 v[92:95], v74 offset:2048
	ds_load_b128 v[104:107], v74 offset:4112
	ds_load_b128 v[100:103], v74 offset:4096
	v_cmp_eq_u32_e32 vcc_lo, 1, v70
	v_mov_b32_e32 v76, 0
	ds_load_b128 v[112:115], v74 offset:6160
	ds_load_b128 v[108:111], v74 offset:6144
	ds_load_b128 v[120:123], v74 offset:8208
	ds_load_b128 v[116:119], v74 offset:8192
	v_cmp_eq_u32_e64 s4, 1, v71
	v_cmp_eq_u32_e64 s3, 1, v73
	;; [unrolled: 1-line block ×3, first 2 shown]
	v_mov_b32_e32 v77, v76
	v_mov_b32_e32 v78, v76
	;; [unrolled: 1-line block ×7, first 2 shown]
	v_cmp_eq_u32_e64 s6, 3, v73
	v_cmp_eq_u32_e64 s7, 7, v73
	s_waitcnt lgkmcnt(8)
	s_delay_alu instid0(VALU_DEP_3)
	v_wmma_f32_16x16x16_f16 v[76:83], v[49:56], v[84:91], v[76:83]
	ds_load_b128 v[53:56], v74 offset:10256
	ds_load_b128 v[49:52], v74 offset:10240
	s_waitcnt lgkmcnt(8)
	v_wmma_f32_16x16x16_f16 v[76:83], v[41:48], v[92:99], v[76:83]
	ds_load_b128 v[45:48], v74 offset:12304
	ds_load_b128 v[41:44], v74 offset:12288
	s_waitcnt lgkmcnt(8)
	;; [unrolled: 4-line block ×3, first 2 shown]
	s_barrier
	buffer_gl0_inv
	v_wmma_f32_16x16x16_f16 v[76:83], v[1:8], v[108:115], v[76:83]
	s_delay_alu instid0(VALU_DEP_1) | instskip(NEXT) | instid1(VALU_DEP_1)
	v_wmma_f32_16x16x16_f16 v[76:83], v[9:16], v[116:123], v[76:83]
	v_wmma_f32_16x16x16_f16 v[76:83], v[17:24], v[49:56], v[76:83]
	s_delay_alu instid0(VALU_DEP_1) | instskip(NEXT) | instid1(VALU_DEP_1)
	v_wmma_f32_16x16x16_f16 v[76:83], v[25:32], v[41:48], v[76:83]
	v_wmma_f32_16x16x16_f16 v[76:83], v[57:64], v[33:40], v[76:83]
	s_delay_alu instid0(VALU_DEP_1) | instskip(NEXT) | instid1(VALU_DEP_2)
	v_cvt_f16_f32_e32 v1, v76
	v_cvt_f16_f32_e32 v2, v77
	s_delay_alu instid0(VALU_DEP_3) | instskip(NEXT) | instid1(VALU_DEP_4)
	v_cvt_f16_f32_e32 v3, v78
	v_cvt_f16_f32_e32 v4, v79
	;; [unrolled: 1-line block ×6, first 2 shown]
	v_pack_b32_f16 v1, v1, v2
	v_pack_b32_f16 v2, v3, v4
	;; [unrolled: 1-line block ×3, first 2 shown]
	s_delay_alu instid0(VALU_DEP_4)
	v_pack_b32_f16 v4, v7, v8
	ds_store_b128 v69, v[1:4]
	s_waitcnt lgkmcnt(0)
	s_barrier
	buffer_gl0_inv
	ds_load_b128 v[1:4], v75
	ds_load_b128 v[5:8], v75 offset:16
	s_waitcnt lgkmcnt(1)
	v_lshrrev_b32_e32 v9, 16, v1
	s_waitcnt lgkmcnt(0)
	v_lshrrev_b32_e32 v13, 16, v5
	v_lshrrev_b32_e32 v10, 16, v2
	;; [unrolled: 1-line block ×4, first 2 shown]
	v_cndmask_b32_e32 v17, v1, v9, vcc_lo
	v_cndmask_b32_e32 v18, v5, v13, vcc_lo
	v_cndmask_b32_e64 v21, v1, v9, s4
	v_cmp_eq_u32_e32 vcc_lo, 1, v72
	v_cndmask_b32_e64 v22, v5, v13, s4
	v_cmp_eq_u32_e64 s4, 2, v70
	v_cndmask_b32_e64 v19, v1, v9, s3
	v_cndmask_b32_e64 v20, v5, v13, s3
	v_cndmask_b32_e32 v1, v1, v9, vcc_lo
	v_cmp_eq_u32_e64 s3, 2, v72
	v_cndmask_b32_e32 v5, v5, v13, vcc_lo
	v_cndmask_b32_e64 v9, v17, v2, s4
	v_cmp_eq_u32_e32 vcc_lo, 3, v70
	v_cndmask_b32_e64 v13, v18, v6, s4
	v_cmp_eq_u32_e64 s4, 2, v71
	v_cndmask_b32_e64 v17, v19, v2, s5
	v_cndmask_b32_e64 v18, v20, v6, s5
	v_cmp_eq_u32_e64 s5, 3, v71
	v_cndmask_b32_e64 v1, v1, v2, s3
	v_cndmask_b32_e64 v19, v21, v2, s4
	;; [unrolled: 1-line block ×4, first 2 shown]
	v_cndmask_b32_e32 v5, v9, v10, vcc_lo
	v_cndmask_b32_e32 v6, v13, v14, vcc_lo
	v_cmp_eq_u32_e32 vcc_lo, 3, v72
	v_cndmask_b32_e64 v9, v17, v10, s6
	v_cndmask_b32_e64 v13, v18, v14, s6
	;; [unrolled: 1-line block ×3, first 2 shown]
	v_cmp_eq_u32_e64 s4, 4, v70
	v_cndmask_b32_e32 v1, v1, v10, vcc_lo
	v_cndmask_b32_e32 v2, v2, v14, vcc_lo
	v_cmp_eq_u32_e32 vcc_lo, 4, v73
	v_lshrrev_b32_e32 v15, 16, v7
	v_lshrrev_b32_e32 v16, 16, v8
	v_cndmask_b32_e64 v17, v19, v10, s5
	v_cmp_eq_u32_e64 s3, 4, v72
	v_cndmask_b32_e64 v5, v5, v3, s4
	v_cndmask_b32_e64 v6, v6, v7, s4
	v_cndmask_b32_e32 v9, v9, v3, vcc_lo
	v_cmp_eq_u32_e64 s4, 5, v73
	v_cndmask_b32_e32 v10, v13, v7, vcc_lo
	v_cmp_eq_u32_e32 vcc_lo, 4, v71
	v_cmp_eq_u32_e64 s5, 5, v70
	v_cndmask_b32_e64 v2, v2, v7, s3
	v_cndmask_b32_e64 v9, v9, v11, s4
	;; [unrolled: 1-line block ×3, first 2 shown]
	v_cndmask_b32_e32 v13, v17, v3, vcc_lo
	v_cmp_eq_u32_e64 s4, 5, v71
	v_cndmask_b32_e32 v14, v18, v7, vcc_lo
	v_cndmask_b32_e64 v1, v1, v3, s3
	v_cmp_eq_u32_e32 vcc_lo, 5, v72
	v_lshrrev_b32_e32 v12, 16, v4
	v_cndmask_b32_e64 v13, v13, v11, s4
	v_cndmask_b32_e64 v3, v14, v15, s4
	v_cmp_eq_u32_e64 s4, 6, v72
	v_cndmask_b32_e32 v1, v1, v11, vcc_lo
	v_cndmask_b32_e64 v5, v5, v11, s5
	v_cmp_eq_u32_e64 s6, 6, v70
	v_cndmask_b32_e64 v6, v6, v15, s5
	v_cmp_eq_u32_e64 s5, 6, v73
	v_cmp_eq_u32_e64 s3, 6, v71
	v_cndmask_b32_e64 v1, v1, v4, s4
	v_cndmask_b32_e32 v2, v2, v15, vcc_lo
	v_cmp_eq_u32_e32 vcc_lo, 7, v72
	v_cndmask_b32_e64 v5, v5, v4, s6
	v_cndmask_b32_e64 v9, v9, v4, s5
	;; [unrolled: 1-line block ×3, first 2 shown]
	v_cmp_eq_u32_e64 s6, 7, v70
	v_cndmask_b32_e32 v1, v1, v12, vcc_lo
	v_cndmask_b32_e64 v7, v13, v4, s3
	v_cndmask_b32_e64 v3, v3, v8, s3
	;; [unrolled: 1-line block ×3, first 2 shown]
	v_cmp_eq_u32_e64 s3, 7, v71
	v_cndmask_b32_e64 v4, v10, v8, s5
	v_cndmask_b32_e64 v5, v5, v12, s6
	;; [unrolled: 1-line block ×3, first 2 shown]
	v_cndmask_b32_e32 v2, v2, v16, vcc_lo
	v_cndmask_b32_e64 v7, v7, v12, s3
	v_cndmask_b32_e64 v3, v3, v16, s3
	v_cndmask_b32_e64 v8, v4, v16, s7
	v_cndmask_b32_e64 v6, v6, v16, s6
	v_perm_b32 v4, v2, v1, 0x5040100
	s_delay_alu instid0(VALU_DEP_4) | instskip(NEXT) | instid1(VALU_DEP_4)
	v_perm_b32 v3, v3, v7, 0x5040100
	v_perm_b32 v2, v8, v9, 0x5040100
	s_delay_alu instid0(VALU_DEP_4)
	v_perm_b32 v1, v6, v5, 0x5040100
	ds_store_b128 v69, v[1:4]
	s_waitcnt lgkmcnt(0)
	s_barrier
	buffer_gl0_inv
	s_and_saveexec_b32 s3, s2
	s_cbranch_execz .LBB1263_2
; %bb.15:
	s_load_b64 s[0:1], s[0:1], 0x68
	v_lshlrev_b32_e32 v0, 10, v0
	s_lshl_b32 s2, s35, 7
	v_lshlrev_b32_e32 v1, 4, v68
	v_mul_lo_u32 v4, s2, v67
	s_mul_i32 s3, s2, s34
	v_and_b32_e32 v0, 0x3800, v0
	s_mul_i32 s2, s3, s8
	s_delay_alu instid0(SALU_CYCLE_1) | instskip(NEXT) | instid1(VALU_DEP_1)
	s_ashr_i32 s3, s2, 31
	v_or3_b32 v0, v0, v66, v1
	s_lshl_b64 s[2:3], s[2:3], 1
	s_delay_alu instid0(VALU_DEP_3)
	v_ashrrev_i32_e32 v5, 31, v4
	ds_load_b128 v[0:3], v0
	v_lshlrev_b64 v[4:5], 1, v[4:5]
	s_waitcnt lgkmcnt(0)
	s_add_u32 s2, s0, s2
	s_addc_u32 s3, s1, s3
	s_lshl_b32 s0, s14, 7
	s_delay_alu instid0(SALU_CYCLE_1) | instskip(NEXT) | instid1(SALU_CYCLE_1)
	s_ashr_i32 s1, s0, 31
	s_lshl_b64 s[0:1], s[0:1], 1
	s_delay_alu instid0(SALU_CYCLE_1) | instskip(SKIP_3) | instid1(VALU_DEP_2)
	s_add_u32 s0, s2, s0
	s_addc_u32 s1, s3, s1
	v_add_co_u32 v4, vcc_lo, s0, v4
	v_add_co_ci_u32_e32 v5, vcc_lo, s1, v5, vcc_lo
	v_add_co_u32 v4, vcc_lo, v4, v65
	s_delay_alu instid0(VALU_DEP_2)
	v_add_co_ci_u32_e32 v5, vcc_lo, 0, v5, vcc_lo
	global_store_b128 v[4:5], v[0:3], off
	s_nop 0
	s_sendmsg sendmsg(MSG_DEALLOC_VGPRS)
	s_endpgm
	.section	.rodata,"a",@progbits
	.p2align	6, 0x0
	.amdhsa_kernel _Z39paged_attention_ll4mi_QKV_mfma16_kernelIDF16_hLN4vllm18Fp8KVCacheDataTypeE1EDF16_Li16ELi128ELi256ELb1ELi2EL8MFMAType0EEvPKT_PKT0_S8_ifPKiSA_SA_iPKfiiiPfSD_PS3_PT2_iSC_SC_
		.amdhsa_group_segment_fixed_size 17472
		.amdhsa_private_segment_fixed_size 0
		.amdhsa_kernarg_size 400
		.amdhsa_user_sgpr_count 13
		.amdhsa_user_sgpr_dispatch_ptr 0
		.amdhsa_user_sgpr_queue_ptr 0
		.amdhsa_user_sgpr_kernarg_segment_ptr 1
		.amdhsa_user_sgpr_dispatch_id 0
		.amdhsa_user_sgpr_private_segment_size 0
		.amdhsa_wavefront_size32 1
		.amdhsa_uses_dynamic_stack 0
		.amdhsa_enable_private_segment 0
		.amdhsa_system_sgpr_workgroup_id_x 1
		.amdhsa_system_sgpr_workgroup_id_y 1
		.amdhsa_system_sgpr_workgroup_id_z 1
		.amdhsa_system_sgpr_workgroup_info 0
		.amdhsa_system_vgpr_workitem_id 0
		.amdhsa_next_free_vgpr 146
		.amdhsa_next_free_sgpr 37
		.amdhsa_reserve_vcc 1
		.amdhsa_float_round_mode_32 0
		.amdhsa_float_round_mode_16_64 0
		.amdhsa_float_denorm_mode_32 3
		.amdhsa_float_denorm_mode_16_64 3
		.amdhsa_dx10_clamp 1
		.amdhsa_ieee_mode 1
		.amdhsa_fp16_overflow 0
		.amdhsa_workgroup_processor_mode 1
		.amdhsa_memory_ordered 1
		.amdhsa_forward_progress 0
		.amdhsa_shared_vgpr_count 0
		.amdhsa_exception_fp_ieee_invalid_op 0
		.amdhsa_exception_fp_denorm_src 0
		.amdhsa_exception_fp_ieee_div_zero 0
		.amdhsa_exception_fp_ieee_overflow 0
		.amdhsa_exception_fp_ieee_underflow 0
		.amdhsa_exception_fp_ieee_inexact 0
		.amdhsa_exception_int_div_zero 0
	.end_amdhsa_kernel
	.section	.text._Z39paged_attention_ll4mi_QKV_mfma16_kernelIDF16_hLN4vllm18Fp8KVCacheDataTypeE1EDF16_Li16ELi128ELi256ELb1ELi2EL8MFMAType0EEvPKT_PKT0_S8_ifPKiSA_SA_iPKfiiiPfSD_PS3_PT2_iSC_SC_,"axG",@progbits,_Z39paged_attention_ll4mi_QKV_mfma16_kernelIDF16_hLN4vllm18Fp8KVCacheDataTypeE1EDF16_Li16ELi128ELi256ELb1ELi2EL8MFMAType0EEvPKT_PKT0_S8_ifPKiSA_SA_iPKfiiiPfSD_PS3_PT2_iSC_SC_,comdat
.Lfunc_end1263:
	.size	_Z39paged_attention_ll4mi_QKV_mfma16_kernelIDF16_hLN4vllm18Fp8KVCacheDataTypeE1EDF16_Li16ELi128ELi256ELb1ELi2EL8MFMAType0EEvPKT_PKT0_S8_ifPKiSA_SA_iPKfiiiPfSD_PS3_PT2_iSC_SC_, .Lfunc_end1263-_Z39paged_attention_ll4mi_QKV_mfma16_kernelIDF16_hLN4vllm18Fp8KVCacheDataTypeE1EDF16_Li16ELi128ELi256ELb1ELi2EL8MFMAType0EEvPKT_PKT0_S8_ifPKiSA_SA_iPKfiiiPfSD_PS3_PT2_iSC_SC_
                                        ; -- End function
	.section	.AMDGPU.csdata,"",@progbits
; Kernel info:
; codeLenInByte = 6428
; NumSgprs: 39
; NumVgprs: 146
; ScratchSize: 0
; MemoryBound: 0
; FloatMode: 240
; IeeeMode: 1
; LDSByteSize: 17472 bytes/workgroup (compile time only)
; SGPRBlocks: 4
; VGPRBlocks: 18
; NumSGPRsForWavesPerEU: 39
; NumVGPRsForWavesPerEU: 146
; Occupancy: 9
; WaveLimiterHint : 1
; COMPUTE_PGM_RSRC2:SCRATCH_EN: 0
; COMPUTE_PGM_RSRC2:USER_SGPR: 13
; COMPUTE_PGM_RSRC2:TRAP_HANDLER: 0
; COMPUTE_PGM_RSRC2:TGID_X_EN: 1
; COMPUTE_PGM_RSRC2:TGID_Y_EN: 1
; COMPUTE_PGM_RSRC2:TGID_Z_EN: 1
; COMPUTE_PGM_RSRC2:TIDIG_COMP_CNT: 0
	.section	.text._Z39paged_attention_ll4mi_QKV_mfma16_kernelIDF16_hLN4vllm18Fp8KVCacheDataTypeE1EDF16_Li16ELi128ELi256ELb1ELi3EL8MFMAType0EEvPKT_PKT0_S8_ifPKiSA_SA_iPKfiiiPfSD_PS3_PT2_iSC_SC_,"axG",@progbits,_Z39paged_attention_ll4mi_QKV_mfma16_kernelIDF16_hLN4vllm18Fp8KVCacheDataTypeE1EDF16_Li16ELi128ELi256ELb1ELi3EL8MFMAType0EEvPKT_PKT0_S8_ifPKiSA_SA_iPKfiiiPfSD_PS3_PT2_iSC_SC_,comdat
	.protected	_Z39paged_attention_ll4mi_QKV_mfma16_kernelIDF16_hLN4vllm18Fp8KVCacheDataTypeE1EDF16_Li16ELi128ELi256ELb1ELi3EL8MFMAType0EEvPKT_PKT0_S8_ifPKiSA_SA_iPKfiiiPfSD_PS3_PT2_iSC_SC_ ; -- Begin function _Z39paged_attention_ll4mi_QKV_mfma16_kernelIDF16_hLN4vllm18Fp8KVCacheDataTypeE1EDF16_Li16ELi128ELi256ELb1ELi3EL8MFMAType0EEvPKT_PKT0_S8_ifPKiSA_SA_iPKfiiiPfSD_PS3_PT2_iSC_SC_
	.globl	_Z39paged_attention_ll4mi_QKV_mfma16_kernelIDF16_hLN4vllm18Fp8KVCacheDataTypeE1EDF16_Li16ELi128ELi256ELb1ELi3EL8MFMAType0EEvPKT_PKT0_S8_ifPKiSA_SA_iPKfiiiPfSD_PS3_PT2_iSC_SC_
	.p2align	8
	.type	_Z39paged_attention_ll4mi_QKV_mfma16_kernelIDF16_hLN4vllm18Fp8KVCacheDataTypeE1EDF16_Li16ELi128ELi256ELb1ELi3EL8MFMAType0EEvPKT_PKT0_S8_ifPKiSA_SA_iPKfiiiPfSD_PS3_PT2_iSC_SC_,@function
_Z39paged_attention_ll4mi_QKV_mfma16_kernelIDF16_hLN4vllm18Fp8KVCacheDataTypeE1EDF16_Li16ELi128ELi256ELb1ELi3EL8MFMAType0EEvPKT_PKT0_S8_ifPKiSA_SA_iPKfiiiPfSD_PS3_PT2_iSC_SC_: ; @_Z39paged_attention_ll4mi_QKV_mfma16_kernelIDF16_hLN4vllm18Fp8KVCacheDataTypeE1EDF16_Li16ELi128ELi256ELb1ELi3EL8MFMAType0EEvPKT_PKT0_S8_ifPKiSA_SA_iPKfiiiPfSD_PS3_PT2_iSC_SC_
; %bb.0:
	s_load_b64 s[4:5], s[0:1], 0x30
	s_mov_b32 s34, s13
	s_waitcnt lgkmcnt(0)
	s_cmp_lg_u64 s[4:5], 0
	s_cselect_b32 s8, -1, 0
	s_ashr_i32 s35, s13, 31
	s_cmp_eq_u64 s[4:5], 0
	s_cbranch_scc1 .LBB1264_3
; %bb.1:
	s_lshl_b64 s[2:3], s[34:35], 2
	s_delay_alu instid0(SALU_CYCLE_1) | instskip(SKIP_4) | instid1(SALU_CYCLE_1)
	s_add_u32 s2, s4, s2
	s_addc_u32 s3, s5, s3
	s_load_b64 s[2:3], s[2:3], 0x0
	s_waitcnt lgkmcnt(0)
	s_sub_i32 s2, s3, s2
	s_cmp_eq_u32 s2, 1
	s_cselect_b32 s2, -1, 0
	s_delay_alu instid0(SALU_CYCLE_1)
	s_and_not1_b32 vcc_lo, exec_lo, s2
	s_cbranch_vccz .LBB1264_4
.LBB1264_2:
	s_nop 0
	s_sendmsg sendmsg(MSG_DEALLOC_VGPRS)
	s_endpgm
.LBB1264_3:
.LBB1264_4:
	s_load_b64 s[2:3], s[0:1], 0x28
	s_lshl_b64 s[6:7], s[34:35], 2
	s_waitcnt lgkmcnt(0)
	s_add_u32 s2, s2, s6
	s_addc_u32 s3, s3, s7
	s_lshl_b32 s12, s14, 8
	s_load_b32 s24, s[2:3], 0x0
	s_waitcnt lgkmcnt(0)
	s_cmp_ge_i32 s12, s24
	s_cbranch_scc1 .LBB1264_2
; %bb.5:
	s_clause 0x1
	s_load_b128 s[20:23], s[0:1], 0x8
	s_load_b64 s[2:3], s[0:1], 0x20
	s_and_not1_b32 vcc_lo, exec_lo, s8
	s_cbranch_vccnz .LBB1264_7
; %bb.6:
	s_add_u32 s4, s4, s6
	s_addc_u32 s5, s5, s7
	s_load_b32 s5, s[4:5], 0x0
	s_branch .LBB1264_8
.LBB1264_7:
	s_mov_b32 s5, s34
.LBB1264_8:
	s_load_b128 s[16:19], s[0:1], 0x48
	v_and_b32_e32 v68, 15, v0
	v_lshrrev_b32_e32 v69, 5, v0
	v_bfe_u32 v66, v0, 4, 1
	v_and_b32_e32 v70, 31, v0
	v_and_b32_e32 v67, 1, v0
	v_lshlrev_b32_e32 v2, 3, v68
	s_mul_i32 s31, s15, 3
	v_lshl_or_b32 v1, v69, 1, v66
	s_mov_b32 s4, exec_lo
	s_delay_alu instid0(VALU_DEP_2) | instskip(NEXT) | instid1(VALU_DEP_2)
	v_lshlrev_b32_e32 v65, 1, v2
	v_cmpx_gt_u32_e32 3, v1
	s_cbranch_execz .LBB1264_10
; %bb.9:
	s_load_b64 s[6:7], s[0:1], 0x0
	v_add_lshl_u32 v2, v1, s31, 7
	s_waitcnt lgkmcnt(0)
	s_mul_hi_i32 s9, s5, s16
	s_mul_i32 s8, s5, s16
	v_lshlrev_b32_e32 v6, 10, v68
	s_lshl_b64 s[8:9], s[8:9], 1
	v_ashrrev_i32_e32 v3, 31, v2
	v_lshlrev_b32_e32 v1, 6, v1
	v_lshlrev_b32_e32 v7, 10, v67
	v_and_b32_e32 v6, 0x3800, v6
	s_delay_alu instid0(VALU_DEP_4) | instskip(NEXT) | instid1(VALU_DEP_2)
	v_lshlrev_b64 v[2:3], 1, v[2:3]
	v_or3_b32 v1, v6, v7, v1
	s_add_u32 s5, s6, s8
	s_addc_u32 s6, s7, s9
	s_delay_alu instid0(VALU_DEP_2) | instskip(NEXT) | instid1(VALU_DEP_3)
	v_add_co_u32 v2, vcc_lo, s5, v2
	v_add_co_ci_u32_e32 v3, vcc_lo, s6, v3, vcc_lo
	s_delay_alu instid0(VALU_DEP_2) | instskip(NEXT) | instid1(VALU_DEP_2)
	v_add_co_u32 v2, vcc_lo, v2, v65
	v_add_co_ci_u32_e32 v3, vcc_lo, 0, v3, vcc_lo
	global_load_b128 v[2:5], v[2:3], off
	s_waitcnt vmcnt(0)
	ds_store_b128 v1, v[2:5]
.LBB1264_10:
	s_or_b32 exec_lo, exec_lo, s4
	v_and_b32_e32 v1, 0xef, v0
	s_waitcnt lgkmcnt(0)
	s_add_i32 s5, s24, 15
	s_clause 0x1
	s_load_b32 s4, s[0:1], 0x38
	s_load_b32 s33, s[0:1], 0x98
	s_ashr_i32 s6, s5, 31
	v_add_nc_u32_e32 v1, s12, v1
	s_lshr_b32 s6, s6, 28
	s_load_b32 s19, s[0:1], 0x1c
	s_add_i32 s5, s5, s6
	s_waitcnt lgkmcnt(0)
	v_ashrrev_i32_e32 v2, 31, v1
	v_or_b32_e32 v3, 16, v1
	s_ashr_i32 s13, s5, 4
	v_cmp_gt_i32_e32 vcc_lo, s24, v1
	s_add_i32 s13, s13, -1
	v_lshrrev_b32_e32 v2, 28, v2
	s_barrier
	buffer_gl0_inv
	s_mul_i32 s15, s15, s18
	v_add_nc_u32_e32 v4, v1, v2
	s_mul_i32 s4, s34, s4
	s_delay_alu instid0(SALU_CYCLE_1) | instskip(NEXT) | instid1(VALU_DEP_1)
	s_ashr_i32 s5, s4, 31
	v_ashrrev_i32_e32 v4, 4, v4
	v_add_nc_u32_e32 v2, v3, v2
	s_lshl_b64 s[4:5], s[4:5], 2
	s_delay_alu instid0(SALU_CYCLE_1) | instskip(NEXT) | instid1(VALU_DEP_2)
	s_add_u32 s16, s2, s4
	v_cndmask_b32_e32 v1, s13, v4, vcc_lo
	s_delay_alu instid0(VALU_DEP_2)
	v_ashrrev_i32_e32 v2, 4, v2
	v_cmp_gt_i32_e32 vcc_lo, s24, v3
	s_addc_u32 s25, s3, s5
	s_ashr_i32 s18, s15, 31
	s_add_u32 s26, s20, s15
	s_addc_u32 s27, s21, s18
	v_cndmask_b32_e32 v3, s13, v2, vcc_lo
	v_ashrrev_i32_e32 v2, 31, v1
	s_lshl_b32 s2, s14, 4
	s_delay_alu instid0(SALU_CYCLE_1) | instskip(NEXT) | instid1(VALU_DEP_2)
	s_ashr_i32 s3, s2, 31
	v_ashrrev_i32_e32 v4, 31, v3
	s_delay_alu instid0(VALU_DEP_2) | instskip(SKIP_1) | instid1(SALU_CYCLE_1)
	v_lshlrev_b64 v[1:2], 2, v[1:2]
	s_lshl_b64 s[2:3], s[2:3], 2
	s_add_u32 s2, s16, s2
	s_delay_alu instid0(VALU_DEP_2) | instskip(SKIP_1) | instid1(VALU_DEP_2)
	v_lshlrev_b64 v[3:4], 2, v[3:4]
	s_addc_u32 s3, s25, s3
	v_add_co_u32 v1, vcc_lo, s16, v1
	v_add_co_ci_u32_e32 v2, vcc_lo, s25, v2, vcc_lo
	s_delay_alu instid0(VALU_DEP_3) | instskip(NEXT) | instid1(VALU_DEP_4)
	v_add_co_u32 v3, vcc_lo, s16, v3
	v_add_co_ci_u32_e32 v4, vcc_lo, s25, v4, vcc_lo
	s_clause 0x1
	global_load_b32 v5, v[1:2], off
	global_load_b32 v7, v[3:4], off
	s_or_b32 s4, s12, 32
	v_lshlrev_b32_e32 v1, 4, v0
	s_ashr_i32 s5, s4, 4
	s_cmp_lt_i32 s4, s24
	s_cselect_b32 s4, s5, s13
	s_delay_alu instid0(VALU_DEP_1) | instskip(SKIP_1) | instid1(SALU_CYCLE_1)
	v_and_b32_e32 v1, 0xf0, v1
	s_ashr_i32 s5, s4, 31
	s_lshl_b64 s[4:5], s[4:5], 2
	s_delay_alu instid0(SALU_CYCLE_1)
	s_add_u32 s4, s16, s4
	s_addc_u32 s5, s25, s5
	s_or_b32 s6, s12, 64
	v_add_co_u32 v1, s26, s26, v1
	s_ashr_i32 s7, s6, 4
	s_cmp_lt_i32 s6, s24
	v_add_co_ci_u32_e64 v2, null, s27, 0, s26
	s_cselect_b32 s6, s7, s13
	s_delay_alu instid0(SALU_CYCLE_1) | instskip(NEXT) | instid1(SALU_CYCLE_1)
	s_ashr_i32 s7, s6, 31
	s_lshl_b64 s[6:7], s[6:7], 2
	s_delay_alu instid0(SALU_CYCLE_1) | instskip(SKIP_2) | instid1(SALU_CYCLE_1)
	s_add_u32 s6, s16, s6
	s_addc_u32 s7, s25, s7
	s_or_b32 s8, s12, 0x60
	s_ashr_i32 s9, s8, 4
	s_cmp_lt_i32 s8, s24
	s_cselect_b32 s8, s9, s13
	s_delay_alu instid0(SALU_CYCLE_1) | instskip(NEXT) | instid1(SALU_CYCLE_1)
	s_ashr_i32 s9, s8, 31
	s_lshl_b64 s[8:9], s[8:9], 2
	s_delay_alu instid0(SALU_CYCLE_1) | instskip(SKIP_2) | instid1(SALU_CYCLE_1)
	s_add_u32 s8, s16, s8
	s_addc_u32 s9, s25, s9
	s_or_b32 s10, s12, 0x80
	s_ashr_i32 s11, s10, 4
	s_cmp_lt_i32 s10, s24
	;; [unrolled: 10-line block ×3, first 2 shown]
	s_cselect_b32 s20, s21, s13
	s_delay_alu instid0(SALU_CYCLE_1) | instskip(NEXT) | instid1(SALU_CYCLE_1)
	s_ashr_i32 s21, s20, 31
	s_lshl_b64 s[20:21], s[20:21], 2
	s_delay_alu instid0(SALU_CYCLE_1)
	s_add_u32 s20, s16, s20
	s_addc_u32 s21, s25, s21
	s_clause 0x5
	s_load_b32 s26, s[2:3], 0x0
	s_load_b32 s27, s[4:5], 0x0
	;; [unrolled: 1-line block ×6, first 2 shown]
	s_or_b32 s2, s12, 0xc0
	s_mov_b32 s4, 0
	s_ashr_i32 s3, s2, 4
	s_cmp_lt_i32 s2, s24
	s_mov_b32 s11, s4
	s_cselect_b32 s2, s3, s13
	s_mov_b32 s5, s4
	s_ashr_i32 s3, s2, 31
	s_mov_b32 s6, s4
	s_lshl_b64 s[2:3], s[2:3], 2
	s_mov_b32 s7, s4
	s_add_u32 s2, s16, s2
	s_addc_u32 s3, s25, s3
	s_or_b32 s20, s12, 0xe0
	s_mov_b32 s8, s4
	s_ashr_i32 s21, s20, 4
	s_cmp_lt_i32 s20, s24
	s_mov_b32 s9, s4
	s_cselect_b32 s20, s21, s13
	s_mov_b32 s10, s4
	s_ashr_i32 s21, s20, 31
	v_mov_b32_e32 v118, s11
	v_dual_mov_b32 v112, s5 :: v_dual_mov_b32 v117, s10
	v_dual_mov_b32 v116, s9 :: v_dual_mov_b32 v115, s8
	;; [unrolled: 1-line block ×3, first 2 shown]
	v_mov_b32_e32 v111, s4
	s_lshl_b64 s[4:5], s[20:21], 2
	s_delay_alu instid0(SALU_CYCLE_1)
	s_add_u32 s4, s16, s4
	s_addc_u32 s5, s25, s5
	s_add_u32 s6, s22, s15
	s_addc_u32 s7, s23, s18
	s_waitcnt vmcnt(1)
	v_mad_i64_i32 v[3:4], null, v5, s17, v[1:2]
	s_waitcnt vmcnt(0)
	v_mad_i64_i32 v[5:6], null, v7, s17, v[1:2]
	v_mul_lo_u16 v1, 0x56, v68
	v_lshlrev_b32_e32 v2, 4, v68
	s_clause 0xf
	global_load_b128 v[17:20], v[3:4], off
	global_load_b128 v[21:24], v[3:4], off offset:256
	global_load_b128 v[25:28], v[5:6], off
	global_load_b128 v[29:32], v[5:6], off offset:256
	global_load_b128 v[57:60], v[3:4], off offset:512
	;; [unrolled: 1-line block ×13, first 2 shown]
	v_lshrrev_b16 v1, 8, v1
	s_delay_alu instid0(VALU_DEP_1) | instskip(NEXT) | instid1(VALU_DEP_1)
	v_mul_lo_u16 v1, v1, 3
	v_sub_nc_u16 v1, v68, v1
	s_delay_alu instid0(VALU_DEP_1) | instskip(NEXT) | instid1(VALU_DEP_1)
	v_and_b32_e32 v1, 0xff, v1
	v_lshlrev_b32_e32 v149, 6, v1
	v_lshl_or_b32 v1, v69, 8, v2
	ds_load_b128 v[119:122], v149
	ds_load_b128 v[123:126], v149 offset:1024
	ds_load_b128 v[127:130], v149 offset:2048
	;; [unrolled: 1-line block ×3, first 2 shown]
	s_clause 0x1
	s_load_b32 s2, s[2:3], 0x0
	s_load_b32 s3, s[4:5], 0x0
	v_add_co_u32 v135, s6, s6, v1
	s_delay_alu instid0(VALU_DEP_1) | instskip(SKIP_1) | instid1(VALU_DEP_1)
	v_add_co_ci_u32_e64 v136, null, s7, 0, s6
	s_waitcnt lgkmcnt(0)
	v_mad_i64_i32 v[1:2], null, s26, s17, v[135:136]
	v_mad_i64_i32 v[3:4], null, s27, s17, v[135:136]
	;; [unrolled: 1-line block ×6, first 2 shown]
	s_clause 0x9
	global_load_b128 v[49:52], v[1:2], off
	global_load_b128 v[53:56], v[1:2], off offset:16
	global_load_b128 v[41:44], v[3:4], off
	global_load_b128 v[45:48], v[3:4], off offset:16
	;; [unrolled: 2-line block ×5, first 2 shown]
	v_mad_i64_i32 v[145:146], null, s2, s17, v[135:136]
	v_mad_i64_i32 v[147:148], null, s3, s17, v[135:136]
	s_waitcnt vmcnt(24)
	v_wmma_f32_16x16x16_f16 v[135:142], v[17:24], v[119:126], v[111:118]
	s_waitcnt vmcnt(22)
	v_wmma_f32_16x16x16_f16 v[111:118], v[25:32], v[119:126], v[111:118]
	s_clause 0x3
	global_load_b128 v[17:20], v[143:144], off
	global_load_b128 v[21:24], v[143:144], off offset:16
	global_load_b128 v[25:28], v[145:146], off
	global_load_b128 v[29:32], v[145:146], off offset:16
	v_and_b32_e32 v119, 0xe0, v0
	s_waitcnt vmcnt(24)
	v_wmma_f32_16x16x16_f16 v[135:142], v[57:64], v[127:134], v[135:142]
	s_clause 0x1
	global_load_b128 v[57:60], v[147:148], off
	global_load_b128 v[61:64], v[147:148], off offset:16
	s_waitcnt vmcnt(24)
	v_wmma_f32_16x16x16_f16 v[111:118], v[71:78], v[127:134], v[111:118]
	ds_load_b128 v[71:74], v149 offset:4096
	ds_load_b128 v[75:78], v149 offset:5120
	v_add_nc_u32_e32 v128, s12, v119
	ds_load_b128 v[119:122], v149 offset:6144
	ds_load_b128 v[123:126], v149 offset:7168
	v_mbcnt_lo_u32_b32 v127, -1, 0
	s_waitcnt vmcnt(0) lgkmcnt(0)
	s_barrier
	v_or_b32_e32 v128, v128, v66
	buffer_gl0_inv
	v_xor_b32_e32 v129, 16, v127
	v_or_b32_e32 v130, 4, v128
	v_or_b32_e32 v131, 6, v128
	s_delay_alu instid0(VALU_DEP_3) | instskip(SKIP_4) | instid1(VALU_DEP_4)
	v_cmp_gt_i32_e32 vcc_lo, 32, v129
	v_or_b32_e32 v132, 8, v128
	v_or_b32_e32 v133, 10, v128
	v_cmp_gt_i32_e64 s3, s24, v130
	v_cmp_gt_i32_e64 s4, s24, v131
	;; [unrolled: 1-line block ×3, first 2 shown]
	v_wmma_f32_16x16x16_f16 v[135:142], v[79:86], v[71:78], v[135:142]
	v_wmma_f32_16x16x16_f16 v[111:118], v[87:94], v[71:78], v[111:118]
	v_or_b32_e32 v79, 12, v128
	v_or_b32_e32 v80, 14, v128
	v_cmp_gt_i32_e64 s6, s24, v133
	v_wmma_f32_16x16x16_f16 v[135:142], v[95:102], v[119:126], v[135:142]
	v_wmma_f32_16x16x16_f16 v[111:118], v[103:110], v[119:126], v[111:118]
	v_cndmask_b32_e32 v127, v127, v129, vcc_lo
	v_or_b32_e32 v129, 2, v128
	v_cmp_gt_i32_e32 vcc_lo, s24, v128
	s_delay_alu instid0(VALU_DEP_4) | instskip(SKIP_1) | instid1(VALU_DEP_4)
	v_dual_mul_f32 v87, s19, v136 :: v_dual_mul_f32 v94, s19, v113
	v_mul_f32_e32 v88, s19, v135
	v_cmp_gt_i32_e64 s2, s24, v129
	v_mul_f32_e32 v78, s19, v138
	v_mul_f32_e32 v86, s19, v137
	;; [unrolled: 1-line block ×3, first 2 shown]
	v_cndmask_b32_e32 v88, 0xff7fffff, v88, vcc_lo
	v_cndmask_b32_e64 v87, 0xff7fffff, v87, s2
	v_dual_mul_f32 v77, s19, v139 :: v_dual_mul_f32 v90, s19, v117
	v_cndmask_b32_e64 v86, 0xff7fffff, v86, s3
	v_cndmask_b32_e64 v78, 0xff7fffff, v78, s4
	s_delay_alu instid0(VALU_DEP_4)
	v_max3_f32 v87, v88, 0xff7fffff, v87
	v_or_b32_e32 v81, 16, v128
	v_or_b32_e32 v82, 18, v128
	v_dual_mul_f32 v74, s19, v142 :: v_dual_mul_f32 v75, s19, v141
	v_mul_f32_e32 v96, s19, v111
	v_cndmask_b32_e64 v77, 0xff7fffff, v77, s5
	v_cndmask_b32_e64 v76, 0xff7fffff, v76, s6
	v_max3_f32 v78, v87, v86, v78
	v_cmp_gt_i32_e64 s7, s24, v79
	v_cmp_gt_i32_e64 s8, s24, v80
	v_or_b32_e32 v83, 20, v128
	v_or_b32_e32 v84, 22, v128
	v_mul_f32_e32 v95, s19, v112
	v_cndmask_b32_e64 v75, 0xff7fffff, v75, s7
	v_cndmask_b32_e64 v74, 0xff7fffff, v74, s8
	v_max3_f32 v76, v78, v77, v76
	v_cmp_gt_i32_e64 s9, s24, v81
	v_cmp_gt_i32_e64 s10, s24, v82
	v_or_b32_e32 v85, 24, v128
	v_or_b32_e32 v71, 26, v128
	;; [unrolled: 8-line block ×3, first 2 shown]
	v_dual_mul_f32 v91, s19, v116 :: v_dual_mul_f32 v92, s19, v115
	v_cndmask_b32_e64 v75, 0xff7fffff, v94, s11
	v_cndmask_b32_e64 v76, 0xff7fffff, v93, s12
	v_max3_f32 v74, v74, v77, v78
	v_cmp_gt_i32_e64 s13, s24, v85
	v_cmp_gt_i32_e64 s15, s24, v71
	v_mul_f32_e32 v89, s19, v118
	v_cmp_gt_i32_e64 s16, s24, v72
	v_max3_f32 v74, v74, v75, v76
	v_cndmask_b32_e64 v77, 0xff7fffff, v92, s13
	v_cndmask_b32_e64 v71, 0xff7fffff, v91, s15
	v_cmp_gt_i32_e64 s17, s24, v73
	v_cndmask_b32_e64 v72, 0xff7fffff, v90, s16
	s_delay_alu instid0(VALU_DEP_3) | instskip(SKIP_1) | instid1(VALU_DEP_4)
	v_max3_f32 v71, v74, v77, v71
	v_lshlrev_b32_e32 v74, 2, v127
	v_cndmask_b32_e64 v73, 0xff7fffff, v89, s17
	s_delay_alu instid0(VALU_DEP_1) | instskip(SKIP_3) | instid1(VALU_DEP_1)
	v_max3_f32 v71, v71, v72, v73
	ds_bpermute_b32 v72, v74, v71
	s_waitcnt lgkmcnt(0)
	v_max_f32_e32 v72, v72, v72
	v_max_f32_e32 v71, v71, v72
	s_delay_alu instid0(VALU_DEP_1) | instskip(SKIP_4) | instid1(VALU_DEP_4)
	v_fma_f32 v72, s19, v135, -v71
	v_fma_f32 v73, s19, v136, -v71
	;; [unrolled: 1-line block ×5, first 2 shown]
	v_dual_mul_f32 v72, 0x3fb8aa3b, v72 :: v_dual_mul_f32 v73, 0x3fb8aa3b, v73
	s_delay_alu instid0(VALU_DEP_3) | instskip(SKIP_1) | instid1(VALU_DEP_3)
	v_dual_mul_f32 v75, 0x3fb8aa3b, v75 :: v_dual_mul_f32 v76, 0x3fb8aa3b, v76
	v_fma_f32 v80, s19, v141, -v71
	v_exp_f32_e32 v72, v72
	s_delay_alu instid0(VALU_DEP_3) | instskip(NEXT) | instid1(VALU_DEP_2)
	v_exp_f32_e32 v73, v73
	v_exp_f32_e32 v75, v75
	;; [unrolled: 1-line block ×3, first 2 shown]
	v_mul_f32_e32 v82, 0x3fb8aa3b, v80
	s_delay_alu instid0(VALU_DEP_1) | instskip(SKIP_4) | instid1(TRANS32_DEP_3)
	v_exp_f32_e32 v84, v82
	v_cndmask_b32_e32 v79, 0, v72, vcc_lo
	v_fma_f32 v72, s19, v140, -v71
	v_mul_f32_e32 v77, 0x3fb8aa3b, v77
	v_cndmask_b32_e64 v78, 0, v73, s2
	v_cndmask_b32_e64 v81, 0, v75, s3
	s_delay_alu instid0(VALU_DEP_4) | instskip(NEXT) | instid1(VALU_DEP_4)
	v_dual_add_f32 v73, 0, v79 :: v_dual_mul_f32 v72, 0x3fb8aa3b, v72
	v_exp_f32_e32 v77, v77
	v_cndmask_b32_e64 v80, 0, v76, s4
	s_delay_alu instid0(TRANS32_DEP_2) | instskip(NEXT) | instid1(VALU_DEP_3)
	v_cndmask_b32_e64 v85, 0, v84, s7
	v_add_f32_e32 v73, v73, v78
	v_exp_f32_e32 v72, v72
	v_cmp_gt_u32_e64 s2, 16, v70
	s_delay_alu instid0(VALU_DEP_2) | instskip(NEXT) | instid1(TRANS32_DEP_2)
	v_add_f32_e32 v73, v73, v81
	v_cndmask_b32_e64 v83, 0, v77, s5
	s_delay_alu instid0(VALU_DEP_2) | instskip(SKIP_3) | instid1(VALU_DEP_1)
	v_add_f32_e32 v73, v73, v80
	s_waitcnt_depctr 0xfff
	v_cndmask_b32_e64 v82, 0, v72, s6
	v_add_f32_e32 v72, v73, v83
	v_add_f32_e32 v72, v72, v82
	s_delay_alu instid0(VALU_DEP_1)
	v_add_f32_e32 v72, v72, v85
	v_fma_f32 v76, s19, v111, -v71
	v_fma_f32 v75, s19, v142, -v71
	;; [unrolled: 1-line block ×5, first 2 shown]
	s_delay_alu instid0(VALU_DEP_4) | instskip(NEXT) | instid1(VALU_DEP_3)
	v_dual_mul_f32 v76, 0x3fb8aa3b, v76 :: v_dual_mul_f32 v75, 0x3fb8aa3b, v75
	v_mul_f32_e32 v86, 0x3fb8aa3b, v86
	s_delay_alu instid0(VALU_DEP_2) | instskip(NEXT) | instid1(VALU_DEP_2)
	v_exp_f32_e32 v76, v76
	v_exp_f32_e32 v75, v75
	s_delay_alu instid0(VALU_DEP_1) | instskip(NEXT) | instid1(TRANS32_DEP_3)
	v_exp_f32_e32 v88, v86
	v_cndmask_b32_e64 v87, 0, v76, s9
	v_fma_f32 v76, s19, v116, -v71
	v_mul_f32_e32 v77, 0x3fb8aa3b, v77
	s_waitcnt_depctr 0xfff
	v_cndmask_b32_e64 v84, 0, v75, s8
	v_fma_f32 v75, s19, v115, -v71
	v_cndmask_b32_e64 v88, 0, v88, s12
	v_mul_f32_e32 v76, 0x3fb8aa3b, v76
	v_exp_f32_e32 v77, v77
	v_add_f32_e32 v72, v72, v84
	s_delay_alu instid0(VALU_DEP_2) | instskip(NEXT) | instid1(VALU_DEP_1)
	v_exp_f32_e32 v76, v76
	v_add_f32_e32 v72, v72, v87
	s_waitcnt_depctr 0xfff
	v_cndmask_b32_e64 v86, 0, v77, s10
	v_mul_f32_e32 v73, 0x3fb8aa3b, v73
	v_fma_f32 v77, s19, v117, -v71
	v_cndmask_b32_e64 v90, 0, v76, s15
	s_delay_alu instid0(VALU_DEP_4) | instskip(NEXT) | instid1(VALU_DEP_4)
	v_add_f32_e32 v72, v72, v86
	v_exp_f32_e32 v73, v73
	s_waitcnt_depctr 0xfff
	v_cndmask_b32_e64 v89, 0, v73, s11
	s_delay_alu instid0(VALU_DEP_1) | instskip(NEXT) | instid1(VALU_DEP_1)
	v_dual_mul_f32 v75, 0x3fb8aa3b, v75 :: v_dual_add_f32 v72, v72, v89
	v_exp_f32_e32 v75, v75
	v_mul_f32_e32 v73, 0x3fb8aa3b, v77
	v_fma_f32 v77, s19, v118, -v71
	s_delay_alu instid0(VALU_DEP_3) | instskip(NEXT) | instid1(VALU_DEP_3)
	v_add_f32_e32 v72, v72, v88
	v_exp_f32_e32 v73, v73
	s_waitcnt_depctr 0xfff
	v_cndmask_b32_e64 v91, 0, v75, s13
	s_delay_alu instid0(VALU_DEP_1) | instskip(NEXT) | instid1(VALU_DEP_1)
	v_dual_mul_f32 v75, 0x3fb8aa3b, v77 :: v_dual_add_f32 v72, v72, v91
	v_exp_f32_e32 v75, v75
	v_cndmask_b32_e64 v93, 0, v73, s16
	s_delay_alu instid0(VALU_DEP_2) | instskip(NEXT) | instid1(VALU_DEP_1)
	v_add_f32_e32 v72, v72, v90
	v_add_f32_e32 v72, v72, v93
	s_waitcnt_depctr 0xfff
	v_cndmask_b32_e64 v92, 0, v75, s17
	s_delay_alu instid0(VALU_DEP_1)
	v_add_f32_e32 v72, v72, v92
	ds_bpermute_b32 v73, v74, v72
	s_and_saveexec_b32 s3, s2
	s_cbranch_execz .LBB1264_12
; %bb.11:
	v_mul_u32_u24_e32 v70, 0x44, v69
	s_waitcnt lgkmcnt(0)
	v_add_f32_e32 v72, v72, v73
	s_delay_alu instid0(VALU_DEP_2) | instskip(NEXT) | instid1(VALU_DEP_1)
	v_lshl_add_u32 v70, v68, 2, v70
	v_add_nc_u32_e32 v70, 0x4000, v70
	ds_store_2addr_b32 v70, v71, v72 offset1:136
.LBB1264_12:
	s_or_b32 exec_lo, exec_lo, s3
	v_lshlrev_b32_e32 v70, 2, v68
	s_load_b32 s35, s[0:1], 0x94
	s_waitcnt lgkmcnt(0)
	s_barrier
	buffer_gl0_inv
	v_add_nc_u32_e32 v98, 0x4000, v70
	v_cmp_eq_u32_e32 vcc_lo, 1, v69
	v_cmp_eq_u32_e64 s3, 2, v69
	v_cmp_eq_u32_e64 s4, 3, v69
	;; [unrolled: 1-line block ×3, first 2 shown]
	ds_load_2addr_b32 v[70:71], v98 offset1:17
	ds_load_2addr_b32 v[72:73], v98 offset0:34 offset1:51
	ds_load_2addr_b32 v[74:75], v98 offset0:68 offset1:85
	;; [unrolled: 1-line block ×3, first 2 shown]
	v_cmp_eq_u32_e64 s6, 5, v69
	v_cmp_eq_u32_e64 s7, 7, v69
	s_waitcnt lgkmcnt(3)
	v_max3_f32 v76, v70, 0xff7fffff, v71
	s_waitcnt lgkmcnt(2)
	s_delay_alu instid0(VALU_DEP_1) | instskip(SKIP_1) | instid1(VALU_DEP_1)
	v_max3_f32 v76, v76, v72, v73
	s_waitcnt lgkmcnt(1)
	v_max3_f32 v76, v76, v74, v75
	s_waitcnt lgkmcnt(0)
	s_delay_alu instid0(VALU_DEP_1) | instskip(NEXT) | instid1(VALU_DEP_1)
	v_max3_f32 v76, v76, v94, v95
	v_sub_f32_e32 v77, v71, v76
	ds_load_2addr_b32 v[96:97], v98 offset0:136 offset1:153
	v_sub_f32_e32 v74, v74, v76
	v_sub_f32_e32 v70, v70, v76
	;; [unrolled: 1-line block ×3, first 2 shown]
	v_dual_sub_f32 v72, v72, v76 :: v_dual_mul_f32 v77, 0x3fb8aa3b, v77
	s_delay_alu instid0(VALU_DEP_4) | instskip(NEXT) | instid1(VALU_DEP_4)
	v_mul_f32_e32 v103, 0x3fb8aa3b, v74
	v_mul_f32_e32 v99, 0x3fb8aa3b, v70
	ds_load_2addr_b32 v[70:71], v98 offset0:170 offset1:187
	v_dual_mul_f32 v101, 0x3fb8aa3b, v72 :: v_dual_mul_f32 v94, 0x3fb8aa3b, v94
	v_exp_f32_e32 v102, v77
	v_exp_f32_e32 v99, v99
	s_delay_alu instid0(VALU_DEP_1) | instskip(NEXT) | instid1(VALU_DEP_1)
	v_exp_f32_e32 v101, v101
	v_exp_f32_e32 v94, v94
	s_waitcnt lgkmcnt(1)
	s_delay_alu instid0(TRANS32_DEP_3)
	v_fma_f32 v77, v99, v96, 0
	v_sub_f32_e32 v100, v73, v76
	ds_load_2addr_b32 v[72:73], v98 offset0:204 offset1:221
	v_fmac_f32_e32 v77, v102, v97
	v_exp_f32_e32 v97, v103
	s_waitcnt lgkmcnt(1)
	s_delay_alu instid0(VALU_DEP_1)
	v_dual_fmac_f32 v77, v101, v70 :: v_dual_sub_f32 v96, v75, v76
	ds_load_2addr_b32 v[74:75], v98 offset0:238 offset1:255
	v_sub_f32_e32 v70, v95, v76
	s_waitcnt lgkmcnt(0)
	s_barrier
	v_mul_f32_e32 v96, 0x3fb8aa3b, v96
	buffer_gl0_inv
	v_exp_f32_e32 v95, v96
	v_mul_f32_e32 v100, 0x3fb8aa3b, v100
	s_delay_alu instid0(VALU_DEP_1) | instskip(SKIP_3) | instid1(VALU_DEP_2)
	v_exp_f32_e32 v100, v100
	s_waitcnt_depctr 0xfff
	v_dual_fmac_f32 v77, v100, v71 :: v_dual_mul_f32 v70, 0x3fb8aa3b, v70
	v_cndmask_b32_e32 v71, v99, v102, vcc_lo
	v_fmac_f32_e32 v77, v97, v72
	s_delay_alu instid0(VALU_DEP_3) | instskip(NEXT) | instid1(VALU_DEP_1)
	v_exp_f32_e32 v96, v70
	v_fmac_f32_e32 v77, v95, v73
	s_delay_alu instid0(VALU_DEP_1) | instskip(SKIP_2) | instid1(VALU_DEP_1)
	v_fmac_f32_e32 v77, v94, v74
	s_waitcnt_depctr 0xfff
	v_fmac_f32_e32 v77, v96, v75
	v_add_f32_e32 v74, 0x358637bd, v77
	s_delay_alu instid0(VALU_DEP_1) | instskip(SKIP_1) | instid1(VALU_DEP_2)
	v_div_scale_f32 v98, null, v74, v74, 1.0
	v_div_scale_f32 v99, vcc_lo, 1.0, v74, 1.0
	v_rcp_f32_e32 v103, v98
	s_waitcnt_depctr 0xfff
	v_fma_f32 v70, -v98, v103, 1.0
	s_delay_alu instid0(VALU_DEP_1) | instskip(SKIP_2) | instid1(VALU_DEP_2)
	v_fmac_f32_e32 v103, v70, v103
	v_cndmask_b32_e64 v70, v71, v101, s3
	v_cmp_eq_u32_e64 s3, 6, v69
	v_cndmask_b32_e64 v71, v70, v100, s4
	s_delay_alu instid0(VALU_DEP_4) | instskip(NEXT) | instid1(VALU_DEP_2)
	v_dual_mul_f32 v101, v99, v103 :: v_dual_lshlrev_b32 v70, 2, v66
	v_cndmask_b32_e64 v71, v71, v97, s5
	s_delay_alu instid0(VALU_DEP_2) | instskip(NEXT) | instid1(VALU_DEP_3)
	v_or_b32_e32 v72, 1, v70
	v_fma_f32 v100, -v98, v101, v99
	v_cmp_eq_u32_e64 s4, 1, v70
	v_cmp_eq_u32_e64 s5, 2, v70
	v_cndmask_b32_e64 v95, v71, v95, s6
	v_or_b32_e32 v71, 3, v70
	v_fmac_f32_e32 v101, v100, v103
	v_cmp_eq_u32_e64 s9, 1, v72
	v_cmp_eq_u32_e64 s12, 2, v72
	v_cndmask_b32_e64 v94, v95, v94, s3
	v_cmp_eq_u32_e64 s11, 1, v71
	v_fma_f32 v97, -v98, v101, v99
	v_cmp_eq_u32_e64 s16, 2, v71
	v_cmp_eq_u32_e64 s13, 3, v72
	v_cndmask_b32_e64 v94, v94, v96, s7
	v_cmp_eq_u32_e64 s18, 3, v71
	v_div_fmas_f32 v95, v97, v103, v101
	v_cmp_eq_u32_e32 vcc_lo, 3, v70
	v_cmp_eq_u32_e64 s3, 4, v70
	v_cmp_eq_u32_e64 s19, 4, v72
	v_cmp_eq_u32_e64 s22, 4, v71
	v_div_fixup_f32 v95, v95, v74, 1.0
	v_lshlrev_b32_e32 v73, 6, v68
	v_cmp_eq_u32_e64 s6, 5, v70
	v_cmp_eq_u32_e64 s20, 5, v72
	;; [unrolled: 1-line block ×3, first 2 shown]
	v_mul_f32_e32 v102, v94, v95
	v_lshl_or_b32 v75, v69, 11, v73
	v_or_b32_e32 v69, 2, v70
	v_cmp_eq_u32_e64 s25, 6, v72
	v_cmp_eq_u32_e64 s27, 6, v71
	v_fma_mixlo_f16 v94, v102, v79, 0
	v_fma_mixlo_f16 v95, v102, v81, 0
	;; [unrolled: 1-line block ×8, first 2 shown]
	v_lshl_or_b32 v74, v66, 4, v75
	v_fma_mixhi_f16 v94, v102, v78, 0
	v_fma_mixhi_f16 v95, v102, v80, 0
	;; [unrolled: 1-line block ×8, first 2 shown]
	ds_store_b128 v74, v[94:97]
	ds_store_b128 v74, v[98:101] offset:1024
	s_waitcnt lgkmcnt(0)
	s_barrier
	buffer_gl0_inv
	ds_load_b128 v[78:81], v75
	ds_load_b128 v[82:85], v75 offset:16
	ds_load_b128 v[86:89], v75 offset:1024
	ds_load_b128 v[90:93], v75 offset:1040
	v_cmp_eq_u32_e64 s10, 1, v69
	v_cmp_eq_u32_e64 s15, 2, v69
	;; [unrolled: 1-line block ×11, first 2 shown]
	s_waitcnt lgkmcnt(3)
	v_lshrrev_b32_e32 v94, 16, v78
	s_waitcnt lgkmcnt(2)
	v_lshrrev_b32_e32 v98, 16, v82
	;; [unrolled: 2-line block ×4, first 2 shown]
	v_lshrrev_b32_e32 v95, 16, v79
	v_cndmask_b32_e64 v110, v78, v94, s4
	v_cndmask_b32_e64 v111, v82, v98, s4
	;; [unrolled: 1-line block ×8, first 2 shown]
	v_lshrrev_b32_e32 v99, 16, v83
	v_cndmask_b32_e64 v94, v86, v102, s4
	v_cndmask_b32_e64 v98, v90, v106, s4
	;; [unrolled: 1-line block ×15, first 2 shown]
	v_lshrrev_b32_e32 v103, 16, v87
	v_lshrrev_b32_e32 v107, 16, v91
	v_cndmask_b32_e64 v113, v115, v83, s15
	v_cndmask_b32_e64 v82, v94, v87, s5
	;; [unrolled: 1-line block ×7, first 2 shown]
	v_cndmask_b32_e32 v90, v102, v95, vcc_lo
	v_cndmask_b32_e32 v102, v106, v99, vcc_lo
	v_cndmask_b32_e64 v106, v110, v95, s13
	v_cndmask_b32_e64 v110, v111, v99, s13
	;; [unrolled: 1-line block ×4, first 2 shown]
	v_lshrrev_b32_e32 v96, 16, v80
	v_lshrrev_b32_e32 v100, 16, v84
	v_cndmask_b32_e64 v111, v112, v95, s17
	v_cndmask_b32_e64 v112, v113, v99, s17
	v_cndmask_b32_e32 v82, v82, v103, vcc_lo
	v_cndmask_b32_e32 v83, v83, v107, vcc_lo
	v_cndmask_b32_e64 v94, v94, v103, s13
	v_cndmask_b32_e64 v90, v90, v80, s3
	;; [unrolled: 1-line block ×7, first 2 shown]
	v_lshrrev_b32_e32 v104, 16, v88
	v_cndmask_b32_e64 v106, v111, v80, s21
	v_cndmask_b32_e64 v110, v112, v84, s21
	;; [unrolled: 1-line block ×11, first 2 shown]
	v_lshrrev_b32_e32 v97, 16, v81
	v_lshrrev_b32_e32 v101, 16, v85
	v_cndmask_b32_e64 v99, v106, v96, s23
	v_cndmask_b32_e64 v102, v110, v100, s23
	;; [unrolled: 1-line block ×7, first 2 shown]
	v_lshrrev_b32_e32 v105, 16, v89
	v_cndmask_b32_e64 v80, v80, v104, s6
	v_cndmask_b32_e64 v84, v84, v81, s7
	;; [unrolled: 1-line block ×16, first 2 shown]
	v_perm_b32 v81, v79, v78, 0x5040100
	v_perm_b32 v79, v95, v85, 0x5040100
	v_cndmask_b32_e64 v78, v119, v91, s15
	v_cndmask_b32_e64 v85, v117, v91, s12
	;; [unrolled: 1-line block ×3, first 2 shown]
	v_perm_b32 v80, v94, v90, 0x5040100
	v_cndmask_b32_e64 v90, v98, v103, s17
	v_cndmask_b32_e64 v86, v86, v103, s18
	;; [unrolled: 1-line block ×5, first 2 shown]
	v_lshrrev_b32_e32 v108, 16, v92
	v_cndmask_b32_e64 v90, v90, v88, s21
	v_cndmask_b32_e64 v86, v86, v88, s22
	;; [unrolled: 1-line block ×11, first 2 shown]
	v_lshrrev_b32_e32 v109, 16, v93
	v_cndmask_b32_e64 v82, v82, v93, s7
	v_cndmask_b32_e64 v88, v88, v89, s26
	;; [unrolled: 1-line block ×12, first 2 shown]
	v_perm_b32 v78, v84, v83, 0x5040100
	v_perm_b32 v85, v87, v86, 0x5040100
	;; [unrolled: 1-line block ×5, first 2 shown]
	s_mul_i32 s8, s33, 3
	s_mov_b32 s3, exec_lo
	ds_store_b128 v74, v[78:81]
	ds_store_b128 v74, v[82:85] offset:1024
	v_cmpx_gt_u32_e32 3, v0
	s_cbranch_execz .LBB1264_14
; %bb.13:
	s_mul_i32 s4, s8, s34
	s_delay_alu instid0(SALU_CYCLE_1) | instskip(SKIP_1) | instid1(VALU_DEP_1)
	v_add3_u32 v68, s4, s31, v68
	s_load_b128 s[4:7], s[0:1], 0x58
	v_mad_u64_u32 v[78:79], null, v68, s35, s[14:15]
	s_delay_alu instid0(VALU_DEP_1) | instskip(NEXT) | instid1(VALU_DEP_1)
	v_ashrrev_i32_e32 v79, 31, v78
	v_lshlrev_b64 v[78:79], 2, v[78:79]
	s_waitcnt lgkmcnt(0)
	s_delay_alu instid0(VALU_DEP_1) | instskip(NEXT) | instid1(VALU_DEP_2)
	v_add_co_u32 v80, vcc_lo, s6, v78
	v_add_co_ci_u32_e32 v81, vcc_lo, s7, v79, vcc_lo
	v_add_co_u32 v78, vcc_lo, s4, v78
	v_add_co_ci_u32_e32 v79, vcc_lo, s5, v79, vcc_lo
	global_store_b32 v[80:81], v76, off
	global_store_b32 v[78:79], v77, off
.LBB1264_14:
	s_or_b32 exec_lo, exec_lo, s3
	s_waitcnt lgkmcnt(0)
	s_waitcnt_vscnt null, 0x0
	s_barrier
	buffer_gl0_inv
	ds_load_b128 v[84:87], v73
	ds_load_b128 v[88:91], v73 offset:16
	ds_load_b128 v[96:99], v73 offset:2064
	;; [unrolled: 1-line block ×5, first 2 shown]
	v_cmp_eq_u32_e32 vcc_lo, 1, v70
	v_mov_b32_e32 v76, 0
	ds_load_b128 v[112:115], v73 offset:6160
	ds_load_b128 v[108:111], v73 offset:6144
	ds_load_b128 v[120:123], v73 offset:8208
	ds_load_b128 v[116:119], v73 offset:8192
	v_cmp_eq_u32_e64 s4, 1, v69
	v_cmp_eq_u32_e64 s3, 1, v72
	;; [unrolled: 1-line block ×3, first 2 shown]
	v_mov_b32_e32 v77, v76
	v_mov_b32_e32 v78, v76
	;; [unrolled: 1-line block ×7, first 2 shown]
	v_cmp_eq_u32_e64 s6, 3, v72
	v_cmp_eq_u32_e64 s7, 7, v72
	s_waitcnt lgkmcnt(8)
	s_delay_alu instid0(VALU_DEP_3)
	v_wmma_f32_16x16x16_f16 v[76:83], v[49:56], v[84:91], v[76:83]
	ds_load_b128 v[53:56], v73 offset:10256
	ds_load_b128 v[49:52], v73 offset:10240
	s_waitcnt lgkmcnt(8)
	v_wmma_f32_16x16x16_f16 v[76:83], v[41:48], v[92:99], v[76:83]
	ds_load_b128 v[45:48], v73 offset:12304
	ds_load_b128 v[41:44], v73 offset:12288
	s_waitcnt lgkmcnt(8)
	;; [unrolled: 4-line block ×3, first 2 shown]
	s_barrier
	buffer_gl0_inv
	v_wmma_f32_16x16x16_f16 v[76:83], v[1:8], v[108:115], v[76:83]
	s_delay_alu instid0(VALU_DEP_1) | instskip(NEXT) | instid1(VALU_DEP_1)
	v_wmma_f32_16x16x16_f16 v[76:83], v[9:16], v[116:123], v[76:83]
	v_wmma_f32_16x16x16_f16 v[76:83], v[17:24], v[49:56], v[76:83]
	s_delay_alu instid0(VALU_DEP_1) | instskip(NEXT) | instid1(VALU_DEP_1)
	v_wmma_f32_16x16x16_f16 v[76:83], v[25:32], v[41:48], v[76:83]
	v_wmma_f32_16x16x16_f16 v[76:83], v[57:64], v[33:40], v[76:83]
	s_delay_alu instid0(VALU_DEP_1) | instskip(NEXT) | instid1(VALU_DEP_2)
	v_cvt_f16_f32_e32 v1, v76
	v_cvt_f16_f32_e32 v2, v77
	s_delay_alu instid0(VALU_DEP_3) | instskip(NEXT) | instid1(VALU_DEP_4)
	v_cvt_f16_f32_e32 v3, v78
	v_cvt_f16_f32_e32 v4, v79
	;; [unrolled: 1-line block ×6, first 2 shown]
	v_pack_b32_f16 v1, v1, v2
	v_pack_b32_f16 v2, v3, v4
	;; [unrolled: 1-line block ×3, first 2 shown]
	s_delay_alu instid0(VALU_DEP_4)
	v_pack_b32_f16 v4, v7, v8
	ds_store_b128 v74, v[1:4]
	s_waitcnt lgkmcnt(0)
	s_barrier
	buffer_gl0_inv
	ds_load_b128 v[1:4], v75
	ds_load_b128 v[5:8], v75 offset:16
	s_waitcnt lgkmcnt(1)
	v_lshrrev_b32_e32 v9, 16, v1
	s_waitcnt lgkmcnt(0)
	v_lshrrev_b32_e32 v13, 16, v5
	v_lshrrev_b32_e32 v10, 16, v2
	;; [unrolled: 1-line block ×4, first 2 shown]
	v_cndmask_b32_e32 v17, v1, v9, vcc_lo
	v_cndmask_b32_e32 v18, v5, v13, vcc_lo
	v_cndmask_b32_e64 v21, v1, v9, s4
	v_cmp_eq_u32_e32 vcc_lo, 1, v71
	v_cndmask_b32_e64 v22, v5, v13, s4
	v_cmp_eq_u32_e64 s4, 2, v70
	v_cndmask_b32_e64 v19, v1, v9, s3
	v_cndmask_b32_e64 v20, v5, v13, s3
	v_cndmask_b32_e32 v1, v1, v9, vcc_lo
	v_cmp_eq_u32_e64 s3, 2, v71
	v_cndmask_b32_e32 v5, v5, v13, vcc_lo
	v_cndmask_b32_e64 v9, v17, v2, s4
	v_cmp_eq_u32_e32 vcc_lo, 3, v70
	v_cndmask_b32_e64 v13, v18, v6, s4
	v_cmp_eq_u32_e64 s4, 2, v69
	v_cndmask_b32_e64 v17, v19, v2, s5
	v_cndmask_b32_e64 v18, v20, v6, s5
	v_cmp_eq_u32_e64 s5, 3, v69
	v_cndmask_b32_e64 v1, v1, v2, s3
	v_cndmask_b32_e64 v19, v21, v2, s4
	;; [unrolled: 1-line block ×4, first 2 shown]
	v_cndmask_b32_e32 v5, v9, v10, vcc_lo
	v_cndmask_b32_e32 v6, v13, v14, vcc_lo
	v_cmp_eq_u32_e32 vcc_lo, 3, v71
	v_cndmask_b32_e64 v9, v17, v10, s6
	v_cndmask_b32_e64 v13, v18, v14, s6
	;; [unrolled: 1-line block ×3, first 2 shown]
	v_cmp_eq_u32_e64 s4, 4, v70
	v_cndmask_b32_e32 v1, v1, v10, vcc_lo
	v_cndmask_b32_e32 v2, v2, v14, vcc_lo
	v_cmp_eq_u32_e32 vcc_lo, 4, v72
	v_lshrrev_b32_e32 v15, 16, v7
	v_lshrrev_b32_e32 v16, 16, v8
	v_cndmask_b32_e64 v17, v19, v10, s5
	v_cmp_eq_u32_e64 s3, 4, v71
	v_cndmask_b32_e64 v5, v5, v3, s4
	v_cndmask_b32_e64 v6, v6, v7, s4
	v_cndmask_b32_e32 v9, v9, v3, vcc_lo
	v_cmp_eq_u32_e64 s4, 5, v72
	v_cndmask_b32_e32 v10, v13, v7, vcc_lo
	v_cmp_eq_u32_e32 vcc_lo, 4, v69
	v_cmp_eq_u32_e64 s5, 5, v70
	v_cndmask_b32_e64 v2, v2, v7, s3
	v_cndmask_b32_e64 v9, v9, v11, s4
	;; [unrolled: 1-line block ×3, first 2 shown]
	v_cndmask_b32_e32 v13, v17, v3, vcc_lo
	v_cmp_eq_u32_e64 s4, 5, v69
	v_cndmask_b32_e32 v14, v18, v7, vcc_lo
	v_cndmask_b32_e64 v1, v1, v3, s3
	v_cmp_eq_u32_e32 vcc_lo, 5, v71
	v_lshrrev_b32_e32 v12, 16, v4
	v_cndmask_b32_e64 v13, v13, v11, s4
	v_cndmask_b32_e64 v3, v14, v15, s4
	v_cmp_eq_u32_e64 s4, 6, v71
	v_cndmask_b32_e32 v1, v1, v11, vcc_lo
	v_cndmask_b32_e64 v5, v5, v11, s5
	v_cmp_eq_u32_e64 s6, 6, v70
	v_cndmask_b32_e64 v6, v6, v15, s5
	v_cmp_eq_u32_e64 s5, 6, v72
	v_cmp_eq_u32_e64 s3, 6, v69
	v_cndmask_b32_e64 v1, v1, v4, s4
	v_cndmask_b32_e32 v2, v2, v15, vcc_lo
	v_cmp_eq_u32_e32 vcc_lo, 7, v71
	v_cndmask_b32_e64 v5, v5, v4, s6
	v_cndmask_b32_e64 v9, v9, v4, s5
	;; [unrolled: 1-line block ×3, first 2 shown]
	v_cmp_eq_u32_e64 s6, 7, v70
	v_cndmask_b32_e32 v1, v1, v12, vcc_lo
	v_cndmask_b32_e64 v7, v13, v4, s3
	v_cndmask_b32_e64 v3, v3, v8, s3
	;; [unrolled: 1-line block ×3, first 2 shown]
	v_cmp_eq_u32_e64 s3, 7, v69
	v_cndmask_b32_e64 v4, v10, v8, s5
	v_cndmask_b32_e64 v5, v5, v12, s6
	;; [unrolled: 1-line block ×3, first 2 shown]
	v_cndmask_b32_e32 v2, v2, v16, vcc_lo
	v_cndmask_b32_e64 v7, v7, v12, s3
	v_cndmask_b32_e64 v3, v3, v16, s3
	;; [unrolled: 1-line block ×4, first 2 shown]
	v_perm_b32 v4, v2, v1, 0x5040100
	s_mov_b32 s3, exec_lo
	v_perm_b32 v3, v3, v7, 0x5040100
	v_perm_b32 v2, v8, v9, 0x5040100
	v_perm_b32 v1, v6, v5, 0x5040100
	ds_store_b128 v74, v[1:4]
	s_waitcnt lgkmcnt(0)
	s_barrier
	buffer_gl0_inv
	v_cmpx_gt_u32_e32 32, v0
	s_cbranch_execz .LBB1264_2
; %bb.15:
	s_load_b64 s[4:5], s[0:1], 0x68
	v_lshlrev_b32_e32 v0, 10, v0
	v_lshlrev_b32_e32 v2, 4, v67
	v_add_nc_u32_e32 v1, s31, v66
	s_lshl_b32 s0, s35, 7
	s_delay_alu instid0(SALU_CYCLE_1) | instskip(NEXT) | instid1(VALU_DEP_2)
	s_mul_i32 s1, s0, s34
	v_and_or_b32 v0, 0x3800, v0, v2
	s_mul_i32 s6, s1, s8
	v_mul_lo_u32 v1, v1, s0
	s_ashr_i32 s7, s6, 31
	s_delay_alu instid0(VALU_DEP_2) | instskip(SKIP_1) | instid1(VALU_DEP_2)
	v_lshl_or_b32 v3, v66, 6, v0
	s_lshl_b64 s[6:7], s[6:7], 1
	v_ashrrev_i32_e32 v2, 31, v1
	ds_load_b128 v[3:6], v3
	s_waitcnt lgkmcnt(0)
	s_add_u32 s1, s4, s6
	s_addc_u32 s3, s5, s7
	s_lshl_b32 s4, s14, 7
	v_lshlrev_b64 v[7:8], 1, v[1:2]
	s_ashr_i32 s5, s4, 31
	s_delay_alu instid0(SALU_CYCLE_1) | instskip(NEXT) | instid1(SALU_CYCLE_1)
	s_lshl_b64 s[4:5], s[4:5], 1
	s_add_u32 s1, s1, s4
	s_addc_u32 s3, s3, s5
	v_add_co_u32 v1, s1, s1, v65
	s_delay_alu instid0(VALU_DEP_1) | instskip(NEXT) | instid1(VALU_DEP_2)
	v_add_co_ci_u32_e64 v2, null, s3, 0, s1
	v_add_co_u32 v7, vcc_lo, v1, v7
	s_delay_alu instid0(VALU_DEP_2)
	v_add_co_ci_u32_e32 v8, vcc_lo, v2, v8, vcc_lo
	global_store_b128 v[7:8], v[3:6], off
	s_and_b32 exec_lo, exec_lo, s2
	s_cbranch_execz .LBB1264_2
; %bb.16:
	ds_load_b128 v[3:6], v0 offset:128
	s_add_i32 s1, s31, 2
	s_delay_alu instid0(SALU_CYCLE_1) | instskip(NEXT) | instid1(SALU_CYCLE_1)
	s_mul_i32 s0, s1, s0
	s_ashr_i32 s1, s0, 31
	s_delay_alu instid0(SALU_CYCLE_1) | instskip(NEXT) | instid1(SALU_CYCLE_1)
	s_lshl_b64 s[0:1], s[0:1], 1
	v_add_co_u32 v0, vcc_lo, v1, s0
	v_add_co_ci_u32_e32 v1, vcc_lo, s1, v2, vcc_lo
	s_waitcnt lgkmcnt(0)
	global_store_b128 v[0:1], v[3:6], off
	s_nop 0
	s_sendmsg sendmsg(MSG_DEALLOC_VGPRS)
	s_endpgm
	.section	.rodata,"a",@progbits
	.p2align	6, 0x0
	.amdhsa_kernel _Z39paged_attention_ll4mi_QKV_mfma16_kernelIDF16_hLN4vllm18Fp8KVCacheDataTypeE1EDF16_Li16ELi128ELi256ELb1ELi3EL8MFMAType0EEvPKT_PKT0_S8_ifPKiSA_SA_iPKfiiiPfSD_PS3_PT2_iSC_SC_
		.amdhsa_group_segment_fixed_size 17472
		.amdhsa_private_segment_fixed_size 0
		.amdhsa_kernarg_size 400
		.amdhsa_user_sgpr_count 13
		.amdhsa_user_sgpr_dispatch_ptr 0
		.amdhsa_user_sgpr_queue_ptr 0
		.amdhsa_user_sgpr_kernarg_segment_ptr 1
		.amdhsa_user_sgpr_dispatch_id 0
		.amdhsa_user_sgpr_private_segment_size 0
		.amdhsa_wavefront_size32 1
		.amdhsa_uses_dynamic_stack 0
		.amdhsa_enable_private_segment 0
		.amdhsa_system_sgpr_workgroup_id_x 1
		.amdhsa_system_sgpr_workgroup_id_y 1
		.amdhsa_system_sgpr_workgroup_id_z 1
		.amdhsa_system_sgpr_workgroup_info 0
		.amdhsa_system_vgpr_workitem_id 0
		.amdhsa_next_free_vgpr 150
		.amdhsa_next_free_sgpr 36
		.amdhsa_reserve_vcc 1
		.amdhsa_float_round_mode_32 0
		.amdhsa_float_round_mode_16_64 0
		.amdhsa_float_denorm_mode_32 3
		.amdhsa_float_denorm_mode_16_64 3
		.amdhsa_dx10_clamp 1
		.amdhsa_ieee_mode 1
		.amdhsa_fp16_overflow 0
		.amdhsa_workgroup_processor_mode 1
		.amdhsa_memory_ordered 1
		.amdhsa_forward_progress 0
		.amdhsa_shared_vgpr_count 0
		.amdhsa_exception_fp_ieee_invalid_op 0
		.amdhsa_exception_fp_denorm_src 0
		.amdhsa_exception_fp_ieee_div_zero 0
		.amdhsa_exception_fp_ieee_overflow 0
		.amdhsa_exception_fp_ieee_underflow 0
		.amdhsa_exception_fp_ieee_inexact 0
		.amdhsa_exception_int_div_zero 0
	.end_amdhsa_kernel
	.section	.text._Z39paged_attention_ll4mi_QKV_mfma16_kernelIDF16_hLN4vllm18Fp8KVCacheDataTypeE1EDF16_Li16ELi128ELi256ELb1ELi3EL8MFMAType0EEvPKT_PKT0_S8_ifPKiSA_SA_iPKfiiiPfSD_PS3_PT2_iSC_SC_,"axG",@progbits,_Z39paged_attention_ll4mi_QKV_mfma16_kernelIDF16_hLN4vllm18Fp8KVCacheDataTypeE1EDF16_Li16ELi128ELi256ELb1ELi3EL8MFMAType0EEvPKT_PKT0_S8_ifPKiSA_SA_iPKfiiiPfSD_PS3_PT2_iSC_SC_,comdat
.Lfunc_end1264:
	.size	_Z39paged_attention_ll4mi_QKV_mfma16_kernelIDF16_hLN4vllm18Fp8KVCacheDataTypeE1EDF16_Li16ELi128ELi256ELb1ELi3EL8MFMAType0EEvPKT_PKT0_S8_ifPKiSA_SA_iPKfiiiPfSD_PS3_PT2_iSC_SC_, .Lfunc_end1264-_Z39paged_attention_ll4mi_QKV_mfma16_kernelIDF16_hLN4vllm18Fp8KVCacheDataTypeE1EDF16_Li16ELi128ELi256ELb1ELi3EL8MFMAType0EEvPKT_PKT0_S8_ifPKiSA_SA_iPKfiiiPfSD_PS3_PT2_iSC_SC_
                                        ; -- End function
	.section	.AMDGPU.csdata,"",@progbits
; Kernel info:
; codeLenInByte = 6588
; NumSgprs: 38
; NumVgprs: 150
; ScratchSize: 0
; MemoryBound: 0
; FloatMode: 240
; IeeeMode: 1
; LDSByteSize: 17472 bytes/workgroup (compile time only)
; SGPRBlocks: 4
; VGPRBlocks: 18
; NumSGPRsForWavesPerEU: 38
; NumVGPRsForWavesPerEU: 150
; Occupancy: 9
; WaveLimiterHint : 1
; COMPUTE_PGM_RSRC2:SCRATCH_EN: 0
; COMPUTE_PGM_RSRC2:USER_SGPR: 13
; COMPUTE_PGM_RSRC2:TRAP_HANDLER: 0
; COMPUTE_PGM_RSRC2:TGID_X_EN: 1
; COMPUTE_PGM_RSRC2:TGID_Y_EN: 1
; COMPUTE_PGM_RSRC2:TGID_Z_EN: 1
; COMPUTE_PGM_RSRC2:TIDIG_COMP_CNT: 0
	.section	.text._Z39paged_attention_ll4mi_QKV_mfma16_kernelIDF16_hLN4vllm18Fp8KVCacheDataTypeE1EDF16_Li16ELi128ELi256ELb1ELi4EL8MFMAType0EEvPKT_PKT0_S8_ifPKiSA_SA_iPKfiiiPfSD_PS3_PT2_iSC_SC_,"axG",@progbits,_Z39paged_attention_ll4mi_QKV_mfma16_kernelIDF16_hLN4vllm18Fp8KVCacheDataTypeE1EDF16_Li16ELi128ELi256ELb1ELi4EL8MFMAType0EEvPKT_PKT0_S8_ifPKiSA_SA_iPKfiiiPfSD_PS3_PT2_iSC_SC_,comdat
	.protected	_Z39paged_attention_ll4mi_QKV_mfma16_kernelIDF16_hLN4vllm18Fp8KVCacheDataTypeE1EDF16_Li16ELi128ELi256ELb1ELi4EL8MFMAType0EEvPKT_PKT0_S8_ifPKiSA_SA_iPKfiiiPfSD_PS3_PT2_iSC_SC_ ; -- Begin function _Z39paged_attention_ll4mi_QKV_mfma16_kernelIDF16_hLN4vllm18Fp8KVCacheDataTypeE1EDF16_Li16ELi128ELi256ELb1ELi4EL8MFMAType0EEvPKT_PKT0_S8_ifPKiSA_SA_iPKfiiiPfSD_PS3_PT2_iSC_SC_
	.globl	_Z39paged_attention_ll4mi_QKV_mfma16_kernelIDF16_hLN4vllm18Fp8KVCacheDataTypeE1EDF16_Li16ELi128ELi256ELb1ELi4EL8MFMAType0EEvPKT_PKT0_S8_ifPKiSA_SA_iPKfiiiPfSD_PS3_PT2_iSC_SC_
	.p2align	8
	.type	_Z39paged_attention_ll4mi_QKV_mfma16_kernelIDF16_hLN4vllm18Fp8KVCacheDataTypeE1EDF16_Li16ELi128ELi256ELb1ELi4EL8MFMAType0EEvPKT_PKT0_S8_ifPKiSA_SA_iPKfiiiPfSD_PS3_PT2_iSC_SC_,@function
_Z39paged_attention_ll4mi_QKV_mfma16_kernelIDF16_hLN4vllm18Fp8KVCacheDataTypeE1EDF16_Li16ELi128ELi256ELb1ELi4EL8MFMAType0EEvPKT_PKT0_S8_ifPKiSA_SA_iPKfiiiPfSD_PS3_PT2_iSC_SC_: ; @_Z39paged_attention_ll4mi_QKV_mfma16_kernelIDF16_hLN4vllm18Fp8KVCacheDataTypeE1EDF16_Li16ELi128ELi256ELb1ELi4EL8MFMAType0EEvPKT_PKT0_S8_ifPKiSA_SA_iPKfiiiPfSD_PS3_PT2_iSC_SC_
; %bb.0:
	s_load_b64 s[4:5], s[0:1], 0x30
	s_mov_b32 s30, s13
	s_waitcnt lgkmcnt(0)
	s_cmp_lg_u64 s[4:5], 0
	s_cselect_b32 s13, -1, 0
	s_ashr_i32 s31, s30, 31
	s_cmp_eq_u64 s[4:5], 0
	s_cbranch_scc1 .LBB1265_3
; %bb.1:
	s_lshl_b64 s[2:3], s[30:31], 2
	s_delay_alu instid0(SALU_CYCLE_1) | instskip(SKIP_4) | instid1(SALU_CYCLE_1)
	s_add_u32 s2, s4, s2
	s_addc_u32 s3, s5, s3
	s_load_b64 s[2:3], s[2:3], 0x0
	s_waitcnt lgkmcnt(0)
	s_sub_i32 s2, s3, s2
	s_cmp_eq_u32 s2, 1
	s_cselect_b32 s2, -1, 0
	s_delay_alu instid0(SALU_CYCLE_1)
	s_and_not1_b32 vcc_lo, exec_lo, s2
	s_cbranch_vccz .LBB1265_4
.LBB1265_2:
	s_endpgm
.LBB1265_3:
.LBB1265_4:
	s_load_b64 s[2:3], s[0:1], 0x28
	s_lshl_b64 s[6:7], s[30:31], 2
	s_waitcnt lgkmcnt(0)
	s_add_u32 s2, s2, s6
	s_addc_u32 s3, s3, s7
	s_lshl_b32 s12, s14, 8
	s_load_b32 s17, s[2:3], 0x0
	s_waitcnt lgkmcnt(0)
	s_cmp_ge_i32 s12, s17
	s_cbranch_scc1 .LBB1265_2
; %bb.5:
	s_clause 0x1
	s_load_b128 s[8:11], s[0:1], 0x8
	s_load_b64 s[2:3], s[0:1], 0x20
	s_and_not1_b32 vcc_lo, exec_lo, s13
	s_cbranch_vccnz .LBB1265_7
; %bb.6:
	s_add_u32 s4, s4, s6
	s_addc_u32 s5, s5, s7
	s_load_b32 s13, s[4:5], 0x0
	s_branch .LBB1265_8
.LBB1265_7:
	s_mov_b32 s13, s30
.LBB1265_8:
	s_load_b128 s[4:7], s[0:1], 0x48
	v_and_b32_e32 v69, 15, v0
	v_lshrrev_b32_e32 v68, 5, v0
	v_and_b32_e32 v70, 31, v0
	v_and_b32_e32 v67, 1, v0
	v_bfe_u32 v66, v0, 4, 1
	v_lshlrev_b32_e32 v1, 3, v69
	s_lshl_b32 s31, s15, 2
	s_waitcnt lgkmcnt(0)
	s_mov_b32 s7, exec_lo
	s_delay_alu instid0(VALU_DEP_1)
	v_lshlrev_b32_e32 v65, 1, v1
	v_cmpx_gt_u32_e32 64, v0
	s_cbranch_execz .LBB1265_10
; %bb.9:
	v_lshl_or_b32 v5, v68, 1, v66
	s_load_b64 s[18:19], s[0:1], 0x0
	s_mul_hi_i32 s21, s13, s4
	s_mul_i32 s20, s13, s4
	v_lshlrev_b32_e32 v6, 10, v69
	v_or_b32_e32 v1, s31, v5
	s_lshl_b64 s[20:21], s[20:21], 1
	v_lshlrev_b32_e32 v5, 6, v5
	v_lshlrev_b32_e32 v7, 10, v67
	v_and_b32_e32 v6, 0x3800, v6
	v_lshlrev_b32_e32 v1, 7, v1
	s_delay_alu instid0(VALU_DEP_2) | instskip(NEXT) | instid1(VALU_DEP_2)
	v_or3_b32 v5, v6, v7, v5
	v_ashrrev_i32_e32 v2, 31, v1
	s_delay_alu instid0(VALU_DEP_1) | instskip(SKIP_3) | instid1(VALU_DEP_1)
	v_lshlrev_b64 v[1:2], 1, v[1:2]
	s_waitcnt lgkmcnt(0)
	s_add_u32 s4, s18, s20
	s_addc_u32 s13, s19, s21
	v_add_co_u32 v1, vcc_lo, s4, v1
	s_delay_alu instid0(VALU_DEP_2) | instskip(NEXT) | instid1(VALU_DEP_2)
	v_add_co_ci_u32_e32 v2, vcc_lo, s13, v2, vcc_lo
	v_add_co_u32 v1, vcc_lo, v1, v65
	s_delay_alu instid0(VALU_DEP_2)
	v_add_co_ci_u32_e32 v2, vcc_lo, 0, v2, vcc_lo
	global_load_b128 v[1:4], v[1:2], off
	s_waitcnt vmcnt(0)
	ds_store_b128 v5, v[1:4]
.LBB1265_10:
	s_or_b32 exec_lo, exec_lo, s7
	v_and_b32_e32 v1, 0xef, v0
	s_add_i32 s4, s17, 15
	s_clause 0x1
	s_load_b32 s7, s[0:1], 0x38
	s_load_b32 s33, s[0:1], 0x98
	s_ashr_i32 s13, s4, 31
	v_add_nc_u32_e32 v1, s12, v1
	s_lshr_b32 s13, s13, 28
	s_load_b32 s18, s[0:1], 0x1c
	s_add_i32 s4, s4, s13
	s_waitcnt lgkmcnt(0)
	v_ashrrev_i32_e32 v2, 31, v1
	v_or_b32_e32 v3, 16, v1
	s_ashr_i32 s4, s4, 4
	v_cmp_gt_i32_e32 vcc_lo, s17, v1
	s_add_i32 s4, s4, -1
	v_lshrrev_b32_e32 v2, 28, v2
	s_barrier
	buffer_gl0_inv
	s_mul_i32 s15, s15, s6
	v_add_nc_u32_e32 v4, v1, v2
	s_mul_i32 s20, s30, s7
	s_delay_alu instid0(SALU_CYCLE_1) | instskip(NEXT) | instid1(VALU_DEP_1)
	s_ashr_i32 s21, s20, 31
	v_ashrrev_i32_e32 v4, 4, v4
	v_add_nc_u32_e32 v2, v3, v2
	s_lshl_b64 s[20:21], s[20:21], 2
	s_delay_alu instid0(SALU_CYCLE_1) | instskip(NEXT) | instid1(VALU_DEP_2)
	s_add_u32 s13, s2, s20
	v_cndmask_b32_e32 v1, s4, v4, vcc_lo
	s_delay_alu instid0(VALU_DEP_2)
	v_ashrrev_i32_e32 v2, 4, v2
	v_cmp_gt_i32_e32 vcc_lo, s17, v3
	s_addc_u32 s16, s3, s21
	s_ashr_i32 s19, s15, 31
	s_add_u32 s26, s8, s15
	s_addc_u32 s27, s9, s19
	v_cndmask_b32_e32 v3, s4, v2, vcc_lo
	v_ashrrev_i32_e32 v2, 31, v1
	s_lshl_b32 s2, s14, 4
	s_delay_alu instid0(SALU_CYCLE_1) | instskip(NEXT) | instid1(VALU_DEP_2)
	s_ashr_i32 s3, s2, 31
	v_ashrrev_i32_e32 v4, 31, v3
	s_delay_alu instid0(VALU_DEP_2) | instskip(SKIP_1) | instid1(SALU_CYCLE_1)
	v_lshlrev_b64 v[1:2], 2, v[1:2]
	s_lshl_b64 s[2:3], s[2:3], 2
	s_add_u32 s2, s13, s2
	s_delay_alu instid0(VALU_DEP_2) | instskip(SKIP_1) | instid1(VALU_DEP_2)
	v_lshlrev_b64 v[3:4], 2, v[3:4]
	s_addc_u32 s3, s16, s3
	v_add_co_u32 v1, vcc_lo, s13, v1
	v_add_co_ci_u32_e32 v2, vcc_lo, s16, v2, vcc_lo
	s_delay_alu instid0(VALU_DEP_3) | instskip(NEXT) | instid1(VALU_DEP_4)
	v_add_co_u32 v3, vcc_lo, s13, v3
	v_add_co_ci_u32_e32 v4, vcc_lo, s16, v4, vcc_lo
	s_clause 0x1
	global_load_b32 v5, v[1:2], off
	global_load_b32 v3, v[3:4], off
	s_or_b32 s6, s12, 32
	s_delay_alu instid0(SALU_CYCLE_1) | instskip(SKIP_2) | instid1(SALU_CYCLE_1)
	s_ashr_i32 s7, s6, 4
	s_cmp_lt_i32 s6, s17
	s_cselect_b32 s6, s7, s4
	s_ashr_i32 s7, s6, 31
	s_delay_alu instid0(SALU_CYCLE_1) | instskip(NEXT) | instid1(SALU_CYCLE_1)
	s_lshl_b64 s[6:7], s[6:7], 2
	s_add_u32 s6, s13, s6
	s_addc_u32 s7, s16, s7
	s_or_b32 s8, s12, 64
	s_delay_alu instid0(SALU_CYCLE_1) | instskip(SKIP_2) | instid1(SALU_CYCLE_1)
	s_ashr_i32 s9, s8, 4
	s_cmp_lt_i32 s8, s17
	s_cselect_b32 s8, s9, s4
	s_ashr_i32 s9, s8, 31
	s_delay_alu instid0(SALU_CYCLE_1) | instskip(NEXT) | instid1(SALU_CYCLE_1)
	s_lshl_b64 s[8:9], s[8:9], 2
	s_add_u32 s8, s13, s8
	s_addc_u32 s9, s16, s9
	;; [unrolled: 10-line block ×5, first 2 shown]
	s_clause 0x5
	s_load_b32 s28, s[2:3], 0x0
	s_load_b32 s29, s[6:7], 0x0
	;; [unrolled: 1-line block ×6, first 2 shown]
	s_mov_b32 s20, 0
	s_or_b32 s2, s12, 0xc0
	s_mov_b32 s21, s20
	s_mov_b32 s22, s20
	;; [unrolled: 1-line block ×5, first 2 shown]
	v_lshlrev_b32_e32 v1, 4, v0
	s_ashr_i32 s3, s2, 4
	s_cmp_lt_i32 s2, s17
	s_cselect_b32 s2, s3, s4
	s_delay_alu instid0(VALU_DEP_1) | instskip(SKIP_1) | instid1(SALU_CYCLE_1)
	v_and_b32_e32 v1, 0xf0, v1
	s_ashr_i32 s3, s2, 31
	s_lshl_b64 s[2:3], s[2:3], 2
	s_delay_alu instid0(VALU_DEP_1) | instskip(NEXT) | instid1(VALU_DEP_1)
	v_add_co_u32 v1, s26, s26, v1
	v_add_co_ci_u32_e64 v2, null, s27, 0, s26
	s_add_u32 s2, s13, s2
	s_addc_u32 s3, s16, s3
	s_or_b32 s6, s12, 0xe0
	s_mov_b32 s27, s20
	s_ashr_i32 s7, s6, 4
	s_cmp_lt_i32 s6, s17
	s_mov_b32 s26, s20
	s_cselect_b32 s6, s7, s4
	v_mov_b32_e32 v102, s27
	v_mov_b32_e32 v96, s21
	s_ashr_i32 s7, s6, 31
	v_mov_b32_e32 v101, s26
	s_lshl_b64 s[6:7], s[6:7], 2
	v_dual_mov_b32 v100, s25 :: v_dual_mov_b32 v99, s24
	v_dual_mov_b32 v98, s23 :: v_dual_mov_b32 v97, s22
	v_mov_b32_e32 v95, s20
	s_waitcnt vmcnt(1)
	v_mad_i64_i32 v[33:34], null, v5, s5, v[1:2]
	s_waitcnt vmcnt(0)
	v_mad_i64_i32 v[35:36], null, v3, s5, v[1:2]
	s_clause 0xf
	global_load_b128 v[1:4], v[33:34], off
	global_load_b128 v[5:8], v[33:34], off offset:256
	global_load_b128 v[9:12], v[35:36], off
	global_load_b128 v[13:16], v[35:36], off offset:256
	global_load_b128 v[17:20], v[33:34], off offset:512
	;; [unrolled: 1-line block ×13, first 2 shown]
	v_and_b32_e32 v33, 3, v0
	v_lshlrev_b32_e32 v34, 4, v69
	s_delay_alu instid0(VALU_DEP_2) | instskip(NEXT) | instid1(VALU_DEP_2)
	v_lshlrev_b32_e32 v139, 6, v33
	v_lshl_or_b32 v41, v68, 8, v34
	ds_load_b128 v[33:36], v139
	ds_load_b128 v[37:40], v139 offset:1024
	ds_load_b128 v[103:106], v139 offset:2048
	;; [unrolled: 1-line block ×3, first 2 shown]
	s_load_b32 s4, s[2:3], 0x0
	s_add_u32 s2, s13, s6
	s_addc_u32 s3, s16, s7
	ds_load_b128 v[111:114], v139 offset:4096
	ds_load_b128 v[115:118], v139 offset:5120
	s_load_b32 s2, s[2:3], 0x0
	s_add_u32 s6, s10, s15
	s_addc_u32 s7, s11, s19
	v_add_co_u32 v127, s6, s6, v41
	s_delay_alu instid0(VALU_DEP_1) | instskip(SKIP_1) | instid1(VALU_DEP_1)
	v_add_co_ci_u32_e64 v128, null, s7, 0, s6
	s_waitcnt lgkmcnt(0)
	v_mad_i64_i32 v[41:42], null, s28, s5, v[127:128]
	v_mad_i64_i32 v[129:130], null, s8, s5, v[127:128]
	v_mad_i64_i32 v[131:132], null, s9, s5, v[127:128]
	v_mad_i64_i32 v[133:134], null, s34, s5, v[127:128]
	v_mad_i64_i32 v[45:46], null, s29, s5, v[127:128]
	v_mad_i64_i32 v[135:136], null, s35, s5, v[127:128]
	v_mad_i64_i32 v[137:138], null, s4, s5, v[127:128]
	s_clause 0x3
	global_load_b128 v[49:52], v[41:42], off
	global_load_b128 v[53:56], v[41:42], off offset:16
	global_load_b128 v[41:44], v[45:46], off
	global_load_b128 v[45:48], v[45:46], off offset:16
	s_waitcnt vmcnt(18)
	v_wmma_f32_16x16x16_f16 v[119:126], v[1:8], v[33:40], v[95:102]
	s_waitcnt vmcnt(16)
	v_wmma_f32_16x16x16_f16 v[95:102], v[9:16], v[33:40], v[95:102]
	s_clause 0x3
	global_load_b128 v[33:36], v[129:130], off
	global_load_b128 v[37:40], v[129:130], off offset:16
	global_load_b128 v[1:4], v[131:132], off
	global_load_b128 v[5:8], v[131:132], off offset:16
	s_waitcnt vmcnt(18)
	v_wmma_f32_16x16x16_f16 v[119:126], v[17:24], v[103:110], v[119:126]
	s_clause 0x3
	global_load_b128 v[9:12], v[133:134], off
	global_load_b128 v[13:16], v[133:134], off offset:16
	global_load_b128 v[17:20], v[135:136], off
	global_load_b128 v[21:24], v[135:136], off offset:16
	s_waitcnt vmcnt(20)
	v_wmma_f32_16x16x16_f16 v[95:102], v[25:32], v[103:110], v[95:102]
	v_mad_i64_i32 v[103:104], null, s2, s5, v[127:128]
	s_waitcnt vmcnt(18)
	v_wmma_f32_16x16x16_f16 v[119:126], v[57:64], v[111:118], v[119:126]
	s_clause 0x1
	global_load_b128 v[25:28], v[137:138], off
	global_load_b128 v[29:32], v[137:138], off offset:16
	s_waitcnt vmcnt(18)
	v_wmma_f32_16x16x16_f16 v[95:102], v[71:78], v[111:118], v[95:102]
	s_clause 0x1
	global_load_b128 v[57:60], v[103:104], off
	global_load_b128 v[61:64], v[103:104], off offset:16
	ds_load_b128 v[71:74], v139 offset:6144
	ds_load_b128 v[75:78], v139 offset:7168
	v_mbcnt_lo_u32_b32 v104, -1, 0
	s_waitcnt vmcnt(0) lgkmcnt(0)
	s_barrier
	buffer_gl0_inv
	v_xor_b32_e32 v105, 16, v104
	s_delay_alu instid0(VALU_DEP_1) | instskip(SKIP_4) | instid1(VALU_DEP_2)
	v_cmp_gt_i32_e32 vcc_lo, 32, v105
	v_cndmask_b32_e32 v104, v104, v105, vcc_lo
	v_wmma_f32_16x16x16_f16 v[95:102], v[87:94], v[71:78], v[95:102]
	v_and_b32_e32 v103, 0xe0, v0
	v_wmma_f32_16x16x16_f16 v[119:126], v[79:86], v[71:78], v[119:126]
	v_dual_mul_f32 v90, s18, v101 :: v_dual_add_nc_u32 v103, s12, v103
	s_delay_alu instid0(VALU_DEP_2) | instskip(NEXT) | instid1(VALU_DEP_3)
	v_dual_mul_f32 v94, s18, v97 :: v_dual_mul_f32 v87, s18, v120
	v_dual_mul_f32 v88, s18, v119 :: v_dual_mul_f32 v77, s18, v122
	s_delay_alu instid0(VALU_DEP_3) | instskip(SKIP_3) | instid1(VALU_DEP_4)
	v_or_b32_e32 v103, v103, v66
	v_dual_mul_f32 v78, s18, v121 :: v_dual_mul_f32 v75, s18, v124
	v_dual_mul_f32 v76, s18, v123 :: v_dual_mul_f32 v73, s18, v126
	v_mul_f32_e32 v92, s18, v99
	v_or_b32_e32 v105, 2, v103
	v_or_b32_e32 v106, 4, v103
	;; [unrolled: 1-line block ×3, first 2 shown]
	v_cmp_gt_i32_e64 s2, s17, v103
	v_or_b32_e32 v108, 8, v103
	v_cmp_gt_i32_e32 vcc_lo, s17, v105
	v_or_b32_e32 v109, 10, v103
	v_cmp_gt_i32_e64 s3, s17, v106
	v_cndmask_b32_e64 v88, 0xff7fffff, v88, s2
	v_cmp_gt_i32_e64 s4, s17, v107
	v_cndmask_b32_e32 v87, 0xff7fffff, v87, vcc_lo
	v_or_b32_e32 v79, 12, v103
	v_or_b32_e32 v80, 14, v103
	v_cndmask_b32_e64 v78, 0xff7fffff, v78, s3
	v_cndmask_b32_e64 v77, 0xff7fffff, v77, s4
	v_max3_f32 v87, v88, 0xff7fffff, v87
	v_cmp_gt_i32_e64 s5, s17, v108
	v_cmp_gt_i32_e64 s6, s17, v109
	v_or_b32_e32 v81, 16, v103
	v_or_b32_e32 v82, 18, v103
	v_mul_f32_e32 v74, s18, v125
	v_cndmask_b32_e64 v76, 0xff7fffff, v76, s5
	v_cndmask_b32_e64 v75, 0xff7fffff, v75, s6
	v_max3_f32 v77, v87, v78, v77
	v_cmp_gt_i32_e64 s7, s17, v79
	v_cmp_gt_i32_e64 s8, s17, v80
	v_or_b32_e32 v83, 20, v103
	v_or_b32_e32 v84, 22, v103
	;; [unrolled: 1-line block ×6, first 2 shown]
	v_mul_f32_e32 v105, s18, v96
	v_mul_f32_e32 v103, s18, v95
	v_cndmask_b32_e64 v74, 0xff7fffff, v74, s7
	v_cndmask_b32_e64 v73, 0xff7fffff, v73, s8
	v_max3_f32 v75, v77, v76, v75
	v_cmp_gt_i32_e64 s9, s17, v81
	v_cmp_gt_i32_e64 s10, s17, v82
	v_mul_f32_e32 v93, s18, v98
	v_cmp_gt_i32_e64 s11, s17, v83
	v_max3_f32 v73, v75, v74, v73
	v_cndmask_b32_e64 v76, 0xff7fffff, v103, s9
	v_cndmask_b32_e64 v77, 0xff7fffff, v105, s10
	v_cmp_gt_i32_e64 s12, s17, v84
	v_mul_f32_e32 v91, s18, v100
	v_cndmask_b32_e64 v74, 0xff7fffff, v94, s11
	v_cmp_gt_i32_e64 s13, s17, v85
	v_max3_f32 v73, v73, v76, v77
	v_cndmask_b32_e64 v75, 0xff7fffff, v93, s12
	v_cmp_gt_i32_e64 s15, s17, v86
	v_mul_f32_e32 v89, s18, v102
	v_cndmask_b32_e64 v76, 0xff7fffff, v92, s13
	v_cmp_gt_i32_e64 s16, s17, v71
	v_max3_f32 v73, v73, v74, v75
	v_cndmask_b32_e64 v77, 0xff7fffff, v91, s15
	v_cmp_gt_i32_e64 s17, s17, v72
	v_lshlrev_b32_e32 v74, 2, v104
	v_cndmask_b32_e64 v71, 0xff7fffff, v90, s16
	s_delay_alu instid0(VALU_DEP_4) | instskip(NEXT) | instid1(VALU_DEP_4)
	v_max3_f32 v73, v73, v76, v77
	v_cndmask_b32_e64 v72, 0xff7fffff, v89, s17
	s_delay_alu instid0(VALU_DEP_1) | instskip(SKIP_3) | instid1(VALU_DEP_1)
	v_max3_f32 v71, v73, v71, v72
	ds_bpermute_b32 v72, v74, v71
	s_waitcnt lgkmcnt(0)
	v_max_f32_e32 v72, v72, v72
	v_max_f32_e32 v71, v71, v72
	s_delay_alu instid0(VALU_DEP_1)
	v_fma_f32 v72, s18, v119, -v71
	v_fma_f32 v76, s18, v122, -v71
	v_fma_f32 v73, s18, v120, -v71
	v_fma_f32 v77, s18, v123, -v71
	v_fma_f32 v86, s18, v98, -v71
	v_mul_f32_e32 v72, 0x3fb8aa3b, v72
	v_mul_f32_e32 v76, 0x3fb8aa3b, v76
	v_fma_f32 v75, s18, v121, -v71
	v_mul_f32_e32 v79, 0x3fb8aa3b, v77
	v_mul_f32_e32 v87, 0x3fb8aa3b, v86
	v_exp_f32_e32 v72, v72
	v_exp_f32_e32 v76, v76
	v_fma_f32 v81, s18, v125, -v71
	v_exp_f32_e32 v82, v79
	v_exp_f32_e32 v87, v87
	v_fma_f32 v84, s18, v96, -v71
	s_delay_alu instid0(VALU_DEP_2) | instskip(SKIP_3) | instid1(TRANS32_DEP_3)
	v_mul_f32_e32 v81, 0x3fb8aa3b, v81
	v_cndmask_b32_e64 v78, 0, v72, s2
	v_fma_f32 v72, s18, v124, -v71
	v_mul_f32_e32 v73, 0x3fb8aa3b, v73
	v_cndmask_b32_e64 v79, 0, v76, s4
	v_fma_f32 v76, s18, v95, -v71
	s_delay_alu instid0(VALU_DEP_4) | instskip(NEXT) | instid1(VALU_DEP_4)
	v_dual_mul_f32 v75, 0x3fb8aa3b, v75 :: v_dual_mul_f32 v72, 0x3fb8aa3b, v72
	v_exp_f32_e32 v73, v73
	v_cndmask_b32_e64 v87, 0, v87, s12
	s_delay_alu instid0(VALU_DEP_3) | instskip(NEXT) | instid1(VALU_DEP_3)
	v_mul_f32_e32 v76, 0x3fb8aa3b, v76
	v_exp_f32_e32 v75, v75
	v_exp_f32_e32 v72, v72
	;; [unrolled: 1-line block ×3, first 2 shown]
	v_cndmask_b32_e64 v82, 0, v82, s5
	v_mul_f32_e32 v85, 0x3fb8aa3b, v84
	v_exp_f32_e32 v76, v76
	s_mov_b32 s2, exec_lo
	v_cndmask_b32_e32 v77, 0, v73, vcc_lo
	v_add_f32_e32 v73, 0, v78
	v_exp_f32_e32 v85, v85
	v_cndmask_b32_e64 v80, 0, v75, s3
	v_fma_f32 v75, s18, v126, -v71
	v_cndmask_b32_e64 v81, 0, v72, s6
	v_add_f32_e32 v73, v73, v77
	v_cndmask_b32_e64 v84, 0, v83, s7
	v_cndmask_b32_e64 v86, 0, v76, s9
	v_mul_f32_e32 v75, 0x3fb8aa3b, v75
	s_delay_alu instid0(VALU_DEP_4) | instskip(NEXT) | instid1(TRANS32_DEP_1)
	v_add_f32_e32 v73, v73, v80
	v_cndmask_b32_e64 v85, 0, v85, s10
	s_delay_alu instid0(VALU_DEP_3) | instskip(NEXT) | instid1(VALU_DEP_2)
	v_exp_f32_e32 v75, v75
	v_add_f32_e32 v73, v73, v79
	s_delay_alu instid0(VALU_DEP_1) | instskip(SKIP_3) | instid1(VALU_DEP_1)
	v_add_f32_e32 v72, v73, v82
	s_waitcnt_depctr 0xfff
	v_cndmask_b32_e64 v83, 0, v75, s8
	v_add_f32_e32 v72, v72, v81
	v_add_f32_e32 v72, v72, v84
	s_delay_alu instid0(VALU_DEP_1) | instskip(NEXT) | instid1(VALU_DEP_1)
	v_add_f32_e32 v72, v72, v83
	v_add_f32_e32 v72, v72, v86
	s_delay_alu instid0(VALU_DEP_1) | instskip(SKIP_4) | instid1(VALU_DEP_4)
	v_add_f32_e32 v72, v72, v85
	v_fma_f32 v73, s18, v97, -v71
	v_fma_f32 v75, s18, v99, -v71
	;; [unrolled: 1-line block ×4, first 2 shown]
	v_mul_f32_e32 v73, 0x3fb8aa3b, v73
	s_delay_alu instid0(VALU_DEP_3) | instskip(NEXT) | instid1(VALU_DEP_2)
	v_dual_mul_f32 v75, 0x3fb8aa3b, v75 :: v_dual_mul_f32 v76, 0x3fb8aa3b, v76
	v_exp_f32_e32 v73, v73
	s_delay_alu instid0(VALU_DEP_1) | instskip(NEXT) | instid1(VALU_DEP_1)
	v_exp_f32_e32 v75, v75
	v_exp_f32_e32 v76, v76
	s_delay_alu instid0(TRANS32_DEP_3)
	v_cndmask_b32_e64 v88, 0, v73, s11
	v_mul_f32_e32 v73, 0x3fb8aa3b, v89
	v_fma_f32 v89, s18, v102, -v71
	s_waitcnt_depctr 0xfff
	v_cndmask_b32_e64 v90, 0, v75, s13
	v_add_f32_e32 v72, v72, v88
	v_exp_f32_e32 v73, v73
	v_mul_f32_e32 v75, 0x3fb8aa3b, v89
	v_cndmask_b32_e64 v89, 0, v76, s15
	s_delay_alu instid0(VALU_DEP_3) | instskip(NEXT) | instid1(VALU_DEP_3)
	v_add_f32_e32 v72, v72, v87
	v_exp_f32_e32 v75, v75
	s_delay_alu instid0(VALU_DEP_1) | instskip(SKIP_4) | instid1(VALU_DEP_2)
	v_add_f32_e32 v72, v72, v90
	s_waitcnt_depctr 0xfff
	v_cndmask_b32_e64 v92, 0, v73, s16
	v_add_f32_e32 v72, v72, v89
	v_cndmask_b32_e64 v91, 0, v75, s17
	v_add_f32_e32 v72, v72, v92
	s_delay_alu instid0(VALU_DEP_1)
	v_add_f32_e32 v72, v72, v91
	ds_bpermute_b32 v73, v74, v72
	v_cmpx_gt_u32_e32 16, v70
	s_cbranch_execz .LBB1265_12
; %bb.11:
	v_mul_u32_u24_e32 v70, 0x44, v68
	s_waitcnt lgkmcnt(0)
	v_add_f32_e32 v72, v72, v73
	s_delay_alu instid0(VALU_DEP_2) | instskip(NEXT) | instid1(VALU_DEP_1)
	v_lshl_add_u32 v70, v69, 2, v70
	v_add_nc_u32_e32 v70, 0x4000, v70
	ds_store_2addr_b32 v70, v71, v72 offset1:136
.LBB1265_12:
	s_or_b32 exec_lo, exec_lo, s2
	v_lshlrev_b32_e32 v70, 2, v69
	s_load_b32 s34, s[0:1], 0x94
	s_waitcnt lgkmcnt(0)
	s_barrier
	buffer_gl0_inv
	v_add_nc_u32_e32 v74, 0x4000, v70
	v_cmp_eq_u32_e32 vcc_lo, 1, v68
	v_cmp_eq_u32_e64 s2, 2, v68
	v_cmp_eq_u32_e64 s3, 3, v68
	v_cmp_eq_u32_e64 s4, 4, v68
	ds_load_2addr_b32 v[70:71], v74 offset1:17
	ds_load_2addr_b32 v[72:73], v74 offset0:34 offset1:51
	ds_load_2addr_b32 v[93:94], v74 offset0:68 offset1:85
	;; [unrolled: 1-line block ×3, first 2 shown]
	v_cmp_eq_u32_e64 s5, 5, v68
	v_cmp_eq_u32_e64 s6, 7, v68
	s_waitcnt lgkmcnt(3)
	v_max3_f32 v75, v70, 0xff7fffff, v71
	s_waitcnt lgkmcnt(2)
	s_delay_alu instid0(VALU_DEP_1) | instskip(SKIP_1) | instid1(VALU_DEP_1)
	v_max3_f32 v75, v75, v72, v73
	s_waitcnt lgkmcnt(1)
	v_max3_f32 v75, v75, v93, v94
	s_waitcnt lgkmcnt(0)
	s_delay_alu instid0(VALU_DEP_1) | instskip(NEXT) | instid1(VALU_DEP_1)
	v_max3_f32 v75, v75, v95, v96
	v_sub_f32_e32 v93, v93, v75
	ds_load_2addr_b32 v[97:98], v74 offset0:136 offset1:153
	v_sub_f32_e32 v70, v70, v75
	v_dual_sub_f32 v100, v73, v75 :: v_dual_mul_f32 v103, 0x3fb8aa3b, v93
	s_delay_alu instid0(VALU_DEP_2) | instskip(SKIP_3) | instid1(VALU_DEP_1)
	v_dual_sub_f32 v76, v71, v75 :: v_dual_mul_f32 v99, 0x3fb8aa3b, v70
	ds_load_2addr_b32 v[70:71], v74 offset0:170 offset1:187
	v_mul_f32_e32 v76, 0x3fb8aa3b, v76
	v_exp_f32_e32 v99, v99
	v_exp_f32_e32 v102, v76
	v_mul_f32_e32 v100, 0x3fb8aa3b, v100
	s_waitcnt lgkmcnt(1)
	s_waitcnt_depctr 0xfff
	v_fma_f32 v76, v99, v97, 0
	v_sub_f32_e32 v97, v94, v75
	v_sub_f32_e32 v72, v72, v75
	v_exp_f32_e32 v100, v100
	ds_load_2addr_b32 v[93:94], v74 offset0:238 offset1:255
	v_dual_fmac_f32 v76, v102, v98 :: v_dual_mul_f32 v101, 0x3fb8aa3b, v72
	ds_load_2addr_b32 v[72:73], v74 offset0:204 offset1:221
	v_dual_sub_f32 v74, v95, v75 :: v_dual_mul_f32 v95, 0x3fb8aa3b, v97
	v_exp_f32_e32 v97, v103
	v_exp_f32_e32 v101, v101
	s_waitcnt lgkmcnt(0)
	s_barrier
	v_exp_f32_e32 v95, v95
	buffer_gl0_inv
	v_fmac_f32_e32 v76, v101, v70
	v_sub_f32_e32 v70, v96, v75
	s_delay_alu instid0(VALU_DEP_2) | instskip(NEXT) | instid1(VALU_DEP_2)
	v_fmac_f32_e32 v76, v100, v71
	v_mul_f32_e32 v70, 0x3fb8aa3b, v70
	s_delay_alu instid0(VALU_DEP_2)
	v_dual_cndmask_b32 v71, v99, v102 :: v_dual_fmac_f32 v76, v97, v72
	v_lshlrev_b32_e32 v72, 6, v69
	v_lshlrev_b32_e32 v69, 2, v66
	v_mul_f32_e32 v74, 0x3fb8aa3b, v74
	v_exp_f32_e32 v98, v70
	v_fmac_f32_e32 v76, v95, v73
	s_delay_alu instid0(VALU_DEP_3) | instskip(NEXT) | instid1(VALU_DEP_3)
	v_cmp_eq_u32_e64 s7, 7, v69
	v_exp_f32_e32 v96, v74
	v_lshl_or_b32 v74, v68, 11, v72
	s_waitcnt_depctr 0xfff
	v_fmac_f32_e32 v76, v96, v93
	s_delay_alu instid0(VALU_DEP_1) | instskip(NEXT) | instid1(VALU_DEP_1)
	v_fmac_f32_e32 v76, v98, v94
	v_add_f32_e32 v73, 0x358637bd, v76
	s_delay_alu instid0(VALU_DEP_1) | instskip(SKIP_1) | instid1(VALU_DEP_2)
	v_div_scale_f32 v93, null, v73, v73, 1.0
	v_div_scale_f32 v99, vcc_lo, 1.0, v73, 1.0
	v_rcp_f32_e32 v94, v93
	s_waitcnt_depctr 0xfff
	v_fma_f32 v70, -v93, v94, 1.0
	s_delay_alu instid0(VALU_DEP_1)
	v_fmac_f32_e32 v94, v70, v94
	v_cndmask_b32_e64 v70, v71, v101, s2
	v_cmp_eq_u32_e64 s2, 6, v68
	v_or_b32_e32 v71, 1, v69
	v_or_b32_e32 v68, 2, v69
	v_mul_f32_e32 v101, v99, v94
	v_cndmask_b32_e64 v70, v70, v100, s3
	v_cmp_eq_u32_e64 s3, 1, v69
	v_cmp_eq_u32_e64 s8, 1, v71
	;; [unrolled: 1-line block ×3, first 2 shown]
	v_fma_f32 v100, -v93, v101, v99
	v_cndmask_b32_e64 v70, v70, v97, s4
	v_cmp_eq_u32_e64 s4, 2, v69
	v_cmp_eq_u32_e64 s11, 2, v71
	;; [unrolled: 1-line block ×3, first 2 shown]
	v_fmac_f32_e32 v101, v100, v94
	v_cndmask_b32_e64 v95, v70, v95, s5
	v_or_b32_e32 v70, 3, v69
	v_cmp_eq_u32_e64 s12, 3, v71
	v_cmp_eq_u32_e64 s16, 3, v68
	v_fma_f32 v93, -v93, v101, v99
	v_cndmask_b32_e64 v95, v95, v96, s2
	v_cmp_eq_u32_e64 s10, 1, v70
	v_cmp_eq_u32_e64 s15, 2, v70
	;; [unrolled: 1-line block ×3, first 2 shown]
	v_div_fmas_f32 v93, v93, v94, v101
	v_cndmask_b32_e64 v94, v95, v98, s6
	v_cmp_eq_u32_e32 vcc_lo, 3, v69
	v_cmp_eq_u32_e64 s2, 4, v69
	v_cmp_eq_u32_e64 s18, 4, v71
	v_div_fixup_f32 v93, v93, v73, 1.0
	v_lshl_or_b32 v73, v66, 4, v74
	v_cmp_eq_u32_e64 s21, 4, v70
	v_cmp_eq_u32_e64 s5, 5, v69
	;; [unrolled: 1-line block ×3, first 2 shown]
	v_mul_f32_e32 v101, v94, v93
	v_cmp_eq_u32_e64 s20, 4, v68
	v_cmp_eq_u32_e64 s23, 5, v70
	;; [unrolled: 1-line block ×4, first 2 shown]
	v_fma_mixlo_f16 v93, v101, v78, 0
	v_fma_mixlo_f16 v94, v101, v80, 0
	;; [unrolled: 1-line block ×8, first 2 shown]
	v_fma_mixhi_f16 v93, v101, v77, 0
	v_fma_mixhi_f16 v94, v101, v79, 0
	;; [unrolled: 1-line block ×8, first 2 shown]
	ds_store_b128 v73, v[93:96]
	ds_store_b128 v73, v[97:100] offset:1024
	s_waitcnt lgkmcnt(0)
	s_barrier
	buffer_gl0_inv
	ds_load_b128 v[77:80], v74
	ds_load_b128 v[81:84], v74 offset:16
	ds_load_b128 v[85:88], v74 offset:1024
	;; [unrolled: 1-line block ×3, first 2 shown]
	v_cmp_eq_u32_e64 s26, 6, v70
	v_cmp_eq_u32_e64 s6, 6, v69
	;; [unrolled: 1-line block ×6, first 2 shown]
	s_waitcnt lgkmcnt(3)
	v_lshrrev_b32_e32 v93, 16, v77
	s_waitcnt lgkmcnt(2)
	v_lshrrev_b32_e32 v97, 16, v81
	;; [unrolled: 2-line block ×4, first 2 shown]
	v_lshrrev_b32_e32 v94, 16, v78
	v_cndmask_b32_e64 v109, v77, v93, s3
	v_cndmask_b32_e64 v110, v81, v97, s3
	;; [unrolled: 1-line block ×8, first 2 shown]
	v_lshrrev_b32_e32 v98, 16, v82
	v_cndmask_b32_e64 v93, v85, v101, s3
	v_cndmask_b32_e64 v97, v89, v105, s3
	;; [unrolled: 1-line block ×15, first 2 shown]
	v_lshrrev_b32_e32 v102, 16, v86
	v_lshrrev_b32_e32 v106, 16, v90
	v_cndmask_b32_e64 v112, v114, v82, s13
	v_cndmask_b32_e64 v81, v93, v86, s4
	;; [unrolled: 1-line block ×7, first 2 shown]
	v_cndmask_b32_e32 v89, v101, v94, vcc_lo
	v_cndmask_b32_e32 v101, v105, v98, vcc_lo
	v_cndmask_b32_e64 v105, v109, v94, s12
	v_cndmask_b32_e64 v109, v110, v98, s12
	;; [unrolled: 1-line block ×4, first 2 shown]
	v_lshrrev_b32_e32 v95, 16, v79
	v_lshrrev_b32_e32 v99, 16, v83
	v_cndmask_b32_e64 v110, v111, v94, s16
	v_cndmask_b32_e64 v111, v112, v98, s16
	v_cndmask_b32_e32 v81, v81, v102, vcc_lo
	v_cndmask_b32_e32 v82, v82, v106, vcc_lo
	v_cndmask_b32_e64 v93, v93, v102, s12
	v_cndmask_b32_e64 v89, v89, v79, s2
	v_cndmask_b32_e64 v94, v101, v83, s2
	v_cndmask_b32_e64 v98, v105, v79, s18
	v_cndmask_b32_e64 v101, v109, v83, s18
	v_cndmask_b32_e64 v77, v77, v79, s21
	v_cndmask_b32_e64 v78, v78, v83, s21
	v_lshrrev_b32_e32 v103, 16, v87
	v_cndmask_b32_e64 v105, v110, v79, s20
	v_cndmask_b32_e64 v109, v111, v83, s20
	;; [unrolled: 1-line block ×11, first 2 shown]
	v_lshrrev_b32_e32 v96, 16, v80
	v_lshrrev_b32_e32 v100, 16, v84
	v_cndmask_b32_e64 v98, v105, v95, s22
	v_cndmask_b32_e64 v101, v109, v99, s22
	;; [unrolled: 1-line block ×7, first 2 shown]
	v_lshrrev_b32_e32 v104, 16, v88
	v_cndmask_b32_e64 v79, v79, v103, s5
	v_cndmask_b32_e64 v83, v83, v80, s6
	;; [unrolled: 1-line block ×16, first 2 shown]
	v_perm_b32 v80, v78, v77, 0x5040100
	v_perm_b32 v78, v94, v84, 0x5040100
	v_cndmask_b32_e64 v77, v118, v90, s13
	v_cndmask_b32_e64 v84, v116, v90, s11
	;; [unrolled: 1-line block ×3, first 2 shown]
	v_perm_b32 v79, v93, v89, 0x5040100
	v_cndmask_b32_e64 v89, v97, v102, s16
	v_cndmask_b32_e64 v85, v85, v102, s17
	;; [unrolled: 1-line block ×5, first 2 shown]
	v_lshrrev_b32_e32 v107, 16, v91
	v_cndmask_b32_e64 v89, v89, v87, s20
	v_cndmask_b32_e64 v85, v85, v87, s21
	;; [unrolled: 1-line block ×11, first 2 shown]
	v_lshrrev_b32_e32 v108, 16, v92
	v_cndmask_b32_e64 v81, v81, v92, s6
	v_cndmask_b32_e64 v87, v87, v88, s25
	;; [unrolled: 1-line block ×12, first 2 shown]
	v_perm_b32 v77, v83, v82, 0x5040100
	v_perm_b32 v84, v86, v85, 0x5040100
	;; [unrolled: 1-line block ×5, first 2 shown]
	s_lshl_b32 s7, s33, 2
	s_mov_b32 s2, exec_lo
	ds_store_b128 v73, v[77:80]
	ds_store_b128 v73, v[81:84] offset:1024
	v_cmpx_gt_u32_e32 4, v0
	s_cbranch_execz .LBB1265_14
; %bb.13:
	v_or_b32_e32 v77, s31, v0
	s_load_b128 s[8:11], s[0:1], 0x58
	s_delay_alu instid0(VALU_DEP_1) | instskip(NEXT) | instid1(VALU_DEP_1)
	v_mad_u64_u32 v[78:79], null, s7, s30, v[77:78]
	v_mad_u64_u32 v[79:80], null, v78, s34, s[14:15]
	s_delay_alu instid0(VALU_DEP_1) | instskip(NEXT) | instid1(VALU_DEP_1)
	v_ashrrev_i32_e32 v80, 31, v79
	v_lshlrev_b64 v[77:78], 2, v[79:80]
	s_waitcnt lgkmcnt(0)
	s_delay_alu instid0(VALU_DEP_1) | instskip(NEXT) | instid1(VALU_DEP_2)
	v_add_co_u32 v79, vcc_lo, s10, v77
	v_add_co_ci_u32_e32 v80, vcc_lo, s11, v78, vcc_lo
	v_add_co_u32 v77, vcc_lo, s8, v77
	v_add_co_ci_u32_e32 v78, vcc_lo, s9, v78, vcc_lo
	global_store_b32 v[79:80], v75, off
	global_store_b32 v[77:78], v76, off
.LBB1265_14:
	s_or_b32 exec_lo, exec_lo, s2
	s_waitcnt lgkmcnt(0)
	s_waitcnt_vscnt null, 0x0
	s_barrier
	buffer_gl0_inv
	ds_load_b128 v[83:86], v72
	ds_load_b128 v[87:90], v72 offset:16
	ds_load_b128 v[95:98], v72 offset:2064
	;; [unrolled: 1-line block ×5, first 2 shown]
	v_cmp_eq_u32_e32 vcc_lo, 1, v69
	v_mov_b32_e32 v75, 0
	ds_load_b128 v[111:114], v72 offset:6160
	ds_load_b128 v[107:110], v72 offset:6144
	;; [unrolled: 1-line block ×4, first 2 shown]
	v_cmp_eq_u32_e64 s3, 1, v68
	v_cmp_eq_u32_e64 s2, 1, v71
	;; [unrolled: 1-line block ×3, first 2 shown]
	v_mov_b32_e32 v76, v75
	v_mov_b32_e32 v77, v75
	;; [unrolled: 1-line block ×7, first 2 shown]
	v_cmp_eq_u32_e64 s5, 3, v71
	v_cmp_eq_u32_e64 s6, 7, v71
	s_waitcnt lgkmcnt(8)
	s_delay_alu instid0(VALU_DEP_3)
	v_wmma_f32_16x16x16_f16 v[75:82], v[49:56], v[83:90], v[75:82]
	ds_load_b128 v[53:56], v72 offset:10256
	ds_load_b128 v[49:52], v72 offset:10240
	s_waitcnt lgkmcnt(8)
	v_wmma_f32_16x16x16_f16 v[75:82], v[41:48], v[91:98], v[75:82]
	ds_load_b128 v[45:48], v72 offset:12304
	ds_load_b128 v[41:44], v72 offset:12288
	s_waitcnt lgkmcnt(8)
	;; [unrolled: 4-line block ×3, first 2 shown]
	s_barrier
	buffer_gl0_inv
	v_wmma_f32_16x16x16_f16 v[75:82], v[1:8], v[107:114], v[75:82]
	s_delay_alu instid0(VALU_DEP_1) | instskip(NEXT) | instid1(VALU_DEP_1)
	v_wmma_f32_16x16x16_f16 v[75:82], v[9:16], v[115:122], v[75:82]
	v_wmma_f32_16x16x16_f16 v[75:82], v[17:24], v[49:56], v[75:82]
	s_delay_alu instid0(VALU_DEP_1) | instskip(NEXT) | instid1(VALU_DEP_1)
	v_wmma_f32_16x16x16_f16 v[75:82], v[25:32], v[41:48], v[75:82]
	v_wmma_f32_16x16x16_f16 v[75:82], v[57:64], v[33:40], v[75:82]
	s_delay_alu instid0(VALU_DEP_1) | instskip(NEXT) | instid1(VALU_DEP_2)
	v_cvt_f16_f32_e32 v1, v75
	v_cvt_f16_f32_e32 v2, v76
	s_delay_alu instid0(VALU_DEP_3) | instskip(NEXT) | instid1(VALU_DEP_4)
	v_cvt_f16_f32_e32 v3, v77
	v_cvt_f16_f32_e32 v4, v78
	;; [unrolled: 1-line block ×6, first 2 shown]
	v_pack_b32_f16 v1, v1, v2
	v_pack_b32_f16 v2, v3, v4
	;; [unrolled: 1-line block ×3, first 2 shown]
	s_delay_alu instid0(VALU_DEP_4)
	v_pack_b32_f16 v4, v7, v8
	ds_store_b128 v73, v[1:4]
	s_waitcnt lgkmcnt(0)
	s_barrier
	buffer_gl0_inv
	ds_load_b128 v[1:4], v74
	ds_load_b128 v[5:8], v74 offset:16
	s_waitcnt lgkmcnt(1)
	v_lshrrev_b32_e32 v9, 16, v1
	s_waitcnt lgkmcnt(0)
	v_lshrrev_b32_e32 v13, 16, v5
	v_lshrrev_b32_e32 v10, 16, v2
	;; [unrolled: 1-line block ×4, first 2 shown]
	v_cndmask_b32_e32 v17, v1, v9, vcc_lo
	v_cndmask_b32_e32 v18, v5, v13, vcc_lo
	v_cndmask_b32_e64 v21, v1, v9, s3
	v_cmp_eq_u32_e32 vcc_lo, 1, v70
	v_cndmask_b32_e64 v22, v5, v13, s3
	v_cmp_eq_u32_e64 s3, 2, v69
	v_cndmask_b32_e64 v19, v1, v9, s2
	v_cndmask_b32_e64 v20, v5, v13, s2
	v_cndmask_b32_e32 v1, v1, v9, vcc_lo
	v_cmp_eq_u32_e64 s2, 2, v70
	v_cndmask_b32_e32 v5, v5, v13, vcc_lo
	v_cndmask_b32_e64 v9, v17, v2, s3
	v_cmp_eq_u32_e32 vcc_lo, 3, v69
	v_cndmask_b32_e64 v13, v18, v6, s3
	v_cmp_eq_u32_e64 s3, 2, v68
	v_cndmask_b32_e64 v17, v19, v2, s4
	v_cndmask_b32_e64 v18, v20, v6, s4
	v_cmp_eq_u32_e64 s4, 3, v68
	v_cndmask_b32_e64 v1, v1, v2, s2
	v_cndmask_b32_e64 v19, v21, v2, s3
	;; [unrolled: 1-line block ×4, first 2 shown]
	v_cndmask_b32_e32 v5, v9, v10, vcc_lo
	v_cndmask_b32_e32 v6, v13, v14, vcc_lo
	v_cmp_eq_u32_e32 vcc_lo, 3, v70
	v_cndmask_b32_e64 v9, v17, v10, s5
	v_cndmask_b32_e64 v13, v18, v14, s5
	;; [unrolled: 1-line block ×3, first 2 shown]
	v_cmp_eq_u32_e64 s3, 4, v69
	v_cndmask_b32_e32 v1, v1, v10, vcc_lo
	v_cndmask_b32_e32 v2, v2, v14, vcc_lo
	v_cmp_eq_u32_e32 vcc_lo, 4, v71
	v_lshrrev_b32_e32 v15, 16, v7
	v_lshrrev_b32_e32 v16, 16, v8
	v_cndmask_b32_e64 v17, v19, v10, s4
	v_cmp_eq_u32_e64 s2, 4, v70
	v_cndmask_b32_e64 v5, v5, v3, s3
	v_cndmask_b32_e64 v6, v6, v7, s3
	v_cndmask_b32_e32 v9, v9, v3, vcc_lo
	v_cmp_eq_u32_e64 s3, 5, v71
	v_cndmask_b32_e32 v10, v13, v7, vcc_lo
	v_cmp_eq_u32_e32 vcc_lo, 4, v68
	v_cmp_eq_u32_e64 s4, 5, v69
	v_cndmask_b32_e64 v2, v2, v7, s2
	v_cndmask_b32_e64 v9, v9, v11, s3
	;; [unrolled: 1-line block ×3, first 2 shown]
	v_cndmask_b32_e32 v13, v17, v3, vcc_lo
	v_cmp_eq_u32_e64 s3, 5, v68
	v_cndmask_b32_e32 v14, v18, v7, vcc_lo
	v_cndmask_b32_e64 v1, v1, v3, s2
	v_cmp_eq_u32_e32 vcc_lo, 5, v70
	v_lshrrev_b32_e32 v12, 16, v4
	v_cndmask_b32_e64 v13, v13, v11, s3
	v_cndmask_b32_e64 v3, v14, v15, s3
	v_cmp_eq_u32_e64 s3, 6, v70
	v_cndmask_b32_e32 v1, v1, v11, vcc_lo
	v_cndmask_b32_e64 v5, v5, v11, s4
	v_cmp_eq_u32_e64 s5, 6, v69
	v_cndmask_b32_e64 v6, v6, v15, s4
	v_cmp_eq_u32_e64 s4, 6, v71
	v_cmp_eq_u32_e64 s2, 6, v68
	v_cndmask_b32_e64 v1, v1, v4, s3
	v_cndmask_b32_e32 v2, v2, v15, vcc_lo
	v_cmp_eq_u32_e32 vcc_lo, 7, v70
	v_cndmask_b32_e64 v5, v5, v4, s5
	v_cndmask_b32_e64 v9, v9, v4, s4
	;; [unrolled: 1-line block ×3, first 2 shown]
	v_cmp_eq_u32_e64 s5, 7, v69
	v_cndmask_b32_e32 v1, v1, v12, vcc_lo
	v_cndmask_b32_e64 v7, v13, v4, s2
	v_cndmask_b32_e64 v3, v3, v8, s2
	;; [unrolled: 1-line block ×3, first 2 shown]
	v_cmp_eq_u32_e64 s2, 7, v68
	v_cndmask_b32_e64 v4, v10, v8, s4
	v_cndmask_b32_e64 v5, v5, v12, s5
	v_cndmask_b32_e64 v9, v9, v12, s6
	v_cndmask_b32_e32 v2, v2, v16, vcc_lo
	v_cndmask_b32_e64 v7, v7, v12, s2
	v_cndmask_b32_e64 v3, v3, v16, s2
	;; [unrolled: 1-line block ×4, first 2 shown]
	v_perm_b32 v4, v2, v1, 0x5040100
	s_mov_b32 s2, exec_lo
	v_perm_b32 v3, v3, v7, 0x5040100
	v_perm_b32 v2, v8, v9, 0x5040100
	;; [unrolled: 1-line block ×3, first 2 shown]
	ds_store_b128 v73, v[1:4]
	s_waitcnt lgkmcnt(0)
	s_barrier
	buffer_gl0_inv
	v_cmpx_gt_u32_e32 32, v0
	s_cbranch_execz .LBB1265_2
; %bb.15:
	s_load_b64 s[0:1], s[0:1], 0x68
	v_lshlrev_b32_e32 v0, 10, v0
	v_or_b32_e32 v1, s31, v66
	s_lshl_b32 s4, s34, 7
	v_lshlrev_b32_e32 v2, 4, v67
	s_mul_i32 s2, s4, s30
	v_lshlrev_b32_e32 v3, 6, v66
	v_mul_lo_u32 v8, v1, s4
	v_and_b32_e32 v0, 0x3800, v0
	v_or_b32_e32 v1, 2, v1
	s_mul_i32 s2, s2, s7
	s_delay_alu instid0(SALU_CYCLE_1) | instskip(NEXT) | instid1(VALU_DEP_2)
	s_ashr_i32 s3, s2, 31
	v_or3_b32 v4, v0, v2, v3
	s_lshl_b64 s[2:3], s[2:3], 1
	v_mul_lo_u32 v10, v1, s4
	v_ashrrev_i32_e32 v9, 31, v8
	ds_load_b128 v[0:3], v4
	ds_load_b128 v[4:7], v4 offset:128
	s_waitcnt lgkmcnt(0)
	s_add_u32 s2, s0, s2
	s_addc_u32 s3, s1, s3
	s_lshl_b32 s0, s14, 7
	v_ashrrev_i32_e32 v11, 31, v10
	s_ashr_i32 s1, s0, 31
	v_lshlrev_b64 v[8:9], 1, v[8:9]
	s_lshl_b64 s[0:1], s[0:1], 1
	s_delay_alu instid0(SALU_CYCLE_1) | instskip(SKIP_2) | instid1(VALU_DEP_1)
	s_add_u32 s0, s2, s0
	s_addc_u32 s1, s3, s1
	v_add_co_u32 v12, s0, s0, v65
	v_add_co_ci_u32_e64 v13, null, s1, 0, s0
	v_lshlrev_b64 v[10:11], 1, v[10:11]
	s_delay_alu instid0(VALU_DEP_3) | instskip(NEXT) | instid1(VALU_DEP_3)
	v_add_co_u32 v8, vcc_lo, v12, v8
	v_add_co_ci_u32_e32 v9, vcc_lo, v13, v9, vcc_lo
	s_delay_alu instid0(VALU_DEP_3) | instskip(NEXT) | instid1(VALU_DEP_4)
	v_add_co_u32 v10, vcc_lo, v12, v10
	v_add_co_ci_u32_e32 v11, vcc_lo, v13, v11, vcc_lo
	s_clause 0x1
	global_store_b128 v[8:9], v[0:3], off
	global_store_b128 v[10:11], v[4:7], off
	s_nop 0
	s_sendmsg sendmsg(MSG_DEALLOC_VGPRS)
	s_endpgm
	.section	.rodata,"a",@progbits
	.p2align	6, 0x0
	.amdhsa_kernel _Z39paged_attention_ll4mi_QKV_mfma16_kernelIDF16_hLN4vllm18Fp8KVCacheDataTypeE1EDF16_Li16ELi128ELi256ELb1ELi4EL8MFMAType0EEvPKT_PKT0_S8_ifPKiSA_SA_iPKfiiiPfSD_PS3_PT2_iSC_SC_
		.amdhsa_group_segment_fixed_size 17472
		.amdhsa_private_segment_fixed_size 0
		.amdhsa_kernarg_size 400
		.amdhsa_user_sgpr_count 13
		.amdhsa_user_sgpr_dispatch_ptr 0
		.amdhsa_user_sgpr_queue_ptr 0
		.amdhsa_user_sgpr_kernarg_segment_ptr 1
		.amdhsa_user_sgpr_dispatch_id 0
		.amdhsa_user_sgpr_private_segment_size 0
		.amdhsa_wavefront_size32 1
		.amdhsa_uses_dynamic_stack 0
		.amdhsa_enable_private_segment 0
		.amdhsa_system_sgpr_workgroup_id_x 1
		.amdhsa_system_sgpr_workgroup_id_y 1
		.amdhsa_system_sgpr_workgroup_id_z 1
		.amdhsa_system_sgpr_workgroup_info 0
		.amdhsa_system_vgpr_workitem_id 0
		.amdhsa_next_free_vgpr 140
		.amdhsa_next_free_sgpr 36
		.amdhsa_reserve_vcc 1
		.amdhsa_float_round_mode_32 0
		.amdhsa_float_round_mode_16_64 0
		.amdhsa_float_denorm_mode_32 3
		.amdhsa_float_denorm_mode_16_64 3
		.amdhsa_dx10_clamp 1
		.amdhsa_ieee_mode 1
		.amdhsa_fp16_overflow 0
		.amdhsa_workgroup_processor_mode 1
		.amdhsa_memory_ordered 1
		.amdhsa_forward_progress 0
		.amdhsa_shared_vgpr_count 0
		.amdhsa_exception_fp_ieee_invalid_op 0
		.amdhsa_exception_fp_denorm_src 0
		.amdhsa_exception_fp_ieee_div_zero 0
		.amdhsa_exception_fp_ieee_overflow 0
		.amdhsa_exception_fp_ieee_underflow 0
		.amdhsa_exception_fp_ieee_inexact 0
		.amdhsa_exception_int_div_zero 0
	.end_amdhsa_kernel
	.section	.text._Z39paged_attention_ll4mi_QKV_mfma16_kernelIDF16_hLN4vllm18Fp8KVCacheDataTypeE1EDF16_Li16ELi128ELi256ELb1ELi4EL8MFMAType0EEvPKT_PKT0_S8_ifPKiSA_SA_iPKfiiiPfSD_PS3_PT2_iSC_SC_,"axG",@progbits,_Z39paged_attention_ll4mi_QKV_mfma16_kernelIDF16_hLN4vllm18Fp8KVCacheDataTypeE1EDF16_Li16ELi128ELi256ELb1ELi4EL8MFMAType0EEvPKT_PKT0_S8_ifPKiSA_SA_iPKfiiiPfSD_PS3_PT2_iSC_SC_,comdat
.Lfunc_end1265:
	.size	_Z39paged_attention_ll4mi_QKV_mfma16_kernelIDF16_hLN4vllm18Fp8KVCacheDataTypeE1EDF16_Li16ELi128ELi256ELb1ELi4EL8MFMAType0EEvPKT_PKT0_S8_ifPKiSA_SA_iPKfiiiPfSD_PS3_PT2_iSC_SC_, .Lfunc_end1265-_Z39paged_attention_ll4mi_QKV_mfma16_kernelIDF16_hLN4vllm18Fp8KVCacheDataTypeE1EDF16_Li16ELi128ELi256ELb1ELi4EL8MFMAType0EEvPKT_PKT0_S8_ifPKiSA_SA_iPKfiiiPfSD_PS3_PT2_iSC_SC_
                                        ; -- End function
	.section	.AMDGPU.csdata,"",@progbits
; Kernel info:
; codeLenInByte = 6500
; NumSgprs: 38
; NumVgprs: 140
; ScratchSize: 0
; MemoryBound: 0
; FloatMode: 240
; IeeeMode: 1
; LDSByteSize: 17472 bytes/workgroup (compile time only)
; SGPRBlocks: 4
; VGPRBlocks: 17
; NumSGPRsForWavesPerEU: 38
; NumVGPRsForWavesPerEU: 140
; Occupancy: 10
; WaveLimiterHint : 1
; COMPUTE_PGM_RSRC2:SCRATCH_EN: 0
; COMPUTE_PGM_RSRC2:USER_SGPR: 13
; COMPUTE_PGM_RSRC2:TRAP_HANDLER: 0
; COMPUTE_PGM_RSRC2:TGID_X_EN: 1
; COMPUTE_PGM_RSRC2:TGID_Y_EN: 1
; COMPUTE_PGM_RSRC2:TGID_Z_EN: 1
; COMPUTE_PGM_RSRC2:TIDIG_COMP_CNT: 0
	.section	.text._Z39paged_attention_ll4mi_QKV_mfma16_kernelIDF16_hLN4vllm18Fp8KVCacheDataTypeE1EDF16_Li16ELi128ELi256ELb0ELi5EL8MFMAType0EEvPKT_PKT0_S8_ifPKiSA_SA_iPKfiiiPfSD_PS3_PT2_iSC_SC_,"axG",@progbits,_Z39paged_attention_ll4mi_QKV_mfma16_kernelIDF16_hLN4vllm18Fp8KVCacheDataTypeE1EDF16_Li16ELi128ELi256ELb0ELi5EL8MFMAType0EEvPKT_PKT0_S8_ifPKiSA_SA_iPKfiiiPfSD_PS3_PT2_iSC_SC_,comdat
	.protected	_Z39paged_attention_ll4mi_QKV_mfma16_kernelIDF16_hLN4vllm18Fp8KVCacheDataTypeE1EDF16_Li16ELi128ELi256ELb0ELi5EL8MFMAType0EEvPKT_PKT0_S8_ifPKiSA_SA_iPKfiiiPfSD_PS3_PT2_iSC_SC_ ; -- Begin function _Z39paged_attention_ll4mi_QKV_mfma16_kernelIDF16_hLN4vllm18Fp8KVCacheDataTypeE1EDF16_Li16ELi128ELi256ELb0ELi5EL8MFMAType0EEvPKT_PKT0_S8_ifPKiSA_SA_iPKfiiiPfSD_PS3_PT2_iSC_SC_
	.globl	_Z39paged_attention_ll4mi_QKV_mfma16_kernelIDF16_hLN4vllm18Fp8KVCacheDataTypeE1EDF16_Li16ELi128ELi256ELb0ELi5EL8MFMAType0EEvPKT_PKT0_S8_ifPKiSA_SA_iPKfiiiPfSD_PS3_PT2_iSC_SC_
	.p2align	8
	.type	_Z39paged_attention_ll4mi_QKV_mfma16_kernelIDF16_hLN4vllm18Fp8KVCacheDataTypeE1EDF16_Li16ELi128ELi256ELb0ELi5EL8MFMAType0EEvPKT_PKT0_S8_ifPKiSA_SA_iPKfiiiPfSD_PS3_PT2_iSC_SC_,@function
_Z39paged_attention_ll4mi_QKV_mfma16_kernelIDF16_hLN4vllm18Fp8KVCacheDataTypeE1EDF16_Li16ELi128ELi256ELb0ELi5EL8MFMAType0EEvPKT_PKT0_S8_ifPKiSA_SA_iPKfiiiPfSD_PS3_PT2_iSC_SC_: ; @_Z39paged_attention_ll4mi_QKV_mfma16_kernelIDF16_hLN4vllm18Fp8KVCacheDataTypeE1EDF16_Li16ELi128ELi256ELb0ELi5EL8MFMAType0EEvPKT_PKT0_S8_ifPKiSA_SA_iPKfiiiPfSD_PS3_PT2_iSC_SC_
; %bb.0:
	s_load_b64 s[4:5], s[0:1], 0x30
	s_mov_b32 s34, s13
	s_waitcnt lgkmcnt(0)
	s_cmp_lg_u64 s[4:5], 0
	s_cselect_b32 s8, -1, 0
	s_ashr_i32 s35, s13, 31
	s_cmp_eq_u64 s[4:5], 0
	s_cbranch_scc1 .LBB1266_3
; %bb.1:
	s_lshl_b64 s[2:3], s[34:35], 2
	s_delay_alu instid0(SALU_CYCLE_1) | instskip(SKIP_4) | instid1(SALU_CYCLE_1)
	s_add_u32 s2, s4, s2
	s_addc_u32 s3, s5, s3
	s_load_b64 s[2:3], s[2:3], 0x0
	s_waitcnt lgkmcnt(0)
	s_sub_i32 s2, s3, s2
	s_cmp_eq_u32 s2, 1
	s_cselect_b32 s2, -1, 0
	s_delay_alu instid0(SALU_CYCLE_1)
	s_and_not1_b32 vcc_lo, exec_lo, s2
	s_cbranch_vccz .LBB1266_4
.LBB1266_2:
	s_nop 0
	s_sendmsg sendmsg(MSG_DEALLOC_VGPRS)
	s_endpgm
.LBB1266_3:
.LBB1266_4:
	s_load_b64 s[2:3], s[0:1], 0x28
	s_lshl_b64 s[6:7], s[34:35], 2
	s_waitcnt lgkmcnt(0)
	s_add_u32 s2, s2, s6
	s_addc_u32 s3, s3, s7
	s_lshl_b32 s12, s14, 8
	s_load_b32 s24, s[2:3], 0x0
	s_waitcnt lgkmcnt(0)
	s_cmp_ge_i32 s12, s24
	s_cbranch_scc1 .LBB1266_2
; %bb.5:
	s_clause 0x1
	s_load_b128 s[20:23], s[0:1], 0x8
	s_load_b64 s[2:3], s[0:1], 0x20
	s_and_not1_b32 vcc_lo, exec_lo, s8
	s_cbranch_vccnz .LBB1266_7
; %bb.6:
	s_add_u32 s4, s4, s6
	s_addc_u32 s5, s5, s7
	s_load_b32 s5, s[4:5], 0x0
	s_branch .LBB1266_8
.LBB1266_7:
	s_mov_b32 s5, s34
.LBB1266_8:
	s_load_b128 s[16:19], s[0:1], 0x48
	v_and_b32_e32 v68, 15, v0
	v_lshrrev_b32_e32 v69, 5, v0
	v_bfe_u32 v66, v0, 4, 1
	v_and_b32_e32 v70, 31, v0
	v_and_b32_e32 v67, 1, v0
	v_lshlrev_b32_e32 v2, 3, v68
	s_mul_i32 s31, s15, 5
	v_lshl_or_b32 v1, v69, 1, v66
	s_mov_b32 s4, exec_lo
	s_delay_alu instid0(VALU_DEP_2) | instskip(NEXT) | instid1(VALU_DEP_2)
	v_lshlrev_b32_e32 v65, 1, v2
	v_cmpx_gt_u32_e32 5, v1
	s_cbranch_execz .LBB1266_10
; %bb.9:
	s_load_b64 s[6:7], s[0:1], 0x0
	v_add_lshl_u32 v2, v1, s31, 7
	s_waitcnt lgkmcnt(0)
	s_mul_hi_i32 s9, s5, s16
	s_mul_i32 s8, s5, s16
	v_lshlrev_b32_e32 v6, 10, v68
	s_lshl_b64 s[8:9], s[8:9], 1
	v_ashrrev_i32_e32 v3, 31, v2
	v_lshlrev_b32_e32 v1, 6, v1
	v_lshlrev_b32_e32 v7, 10, v67
	v_and_b32_e32 v6, 0x3800, v6
	s_delay_alu instid0(VALU_DEP_4) | instskip(NEXT) | instid1(VALU_DEP_2)
	v_lshlrev_b64 v[2:3], 1, v[2:3]
	v_or3_b32 v1, v6, v7, v1
	s_add_u32 s5, s6, s8
	s_addc_u32 s6, s7, s9
	s_delay_alu instid0(VALU_DEP_2) | instskip(NEXT) | instid1(VALU_DEP_3)
	v_add_co_u32 v2, vcc_lo, s5, v2
	v_add_co_ci_u32_e32 v3, vcc_lo, s6, v3, vcc_lo
	s_delay_alu instid0(VALU_DEP_2) | instskip(NEXT) | instid1(VALU_DEP_2)
	v_add_co_u32 v2, vcc_lo, v2, v65
	v_add_co_ci_u32_e32 v3, vcc_lo, 0, v3, vcc_lo
	global_load_b128 v[2:5], v[2:3], off
	s_waitcnt vmcnt(0)
	ds_store_b128 v1, v[2:5]
.LBB1266_10:
	s_or_b32 exec_lo, exec_lo, s4
	v_and_b32_e32 v1, 0xef, v0
	s_waitcnt lgkmcnt(0)
	s_add_i32 s5, s24, 15
	s_clause 0x1
	s_load_b32 s4, s[0:1], 0x38
	s_load_b32 s33, s[0:1], 0x98
	s_ashr_i32 s6, s5, 31
	v_add_nc_u32_e32 v1, s12, v1
	s_lshr_b32 s6, s6, 28
	s_load_b32 s19, s[0:1], 0x1c
	s_add_i32 s5, s5, s6
	s_waitcnt lgkmcnt(0)
	v_ashrrev_i32_e32 v2, 31, v1
	v_or_b32_e32 v3, 16, v1
	s_ashr_i32 s13, s5, 4
	v_cmp_gt_i32_e32 vcc_lo, s24, v1
	s_add_i32 s13, s13, -1
	v_lshrrev_b32_e32 v2, 28, v2
	s_barrier
	buffer_gl0_inv
	s_mul_i32 s15, s15, s18
	v_add_nc_u32_e32 v4, v1, v2
	s_mul_i32 s4, s34, s4
	s_delay_alu instid0(SALU_CYCLE_1) | instskip(NEXT) | instid1(VALU_DEP_1)
	s_ashr_i32 s5, s4, 31
	v_ashrrev_i32_e32 v4, 4, v4
	v_add_nc_u32_e32 v2, v3, v2
	s_lshl_b64 s[4:5], s[4:5], 2
	s_delay_alu instid0(SALU_CYCLE_1) | instskip(NEXT) | instid1(VALU_DEP_2)
	s_add_u32 s16, s2, s4
	v_cndmask_b32_e32 v1, s13, v4, vcc_lo
	s_delay_alu instid0(VALU_DEP_2)
	v_ashrrev_i32_e32 v2, 4, v2
	v_cmp_gt_i32_e32 vcc_lo, s24, v3
	s_addc_u32 s25, s3, s5
	s_ashr_i32 s18, s15, 31
	s_add_u32 s26, s20, s15
	s_addc_u32 s27, s21, s18
	v_cndmask_b32_e32 v3, s13, v2, vcc_lo
	v_ashrrev_i32_e32 v2, 31, v1
	s_lshl_b32 s2, s14, 4
	s_delay_alu instid0(SALU_CYCLE_1) | instskip(NEXT) | instid1(VALU_DEP_2)
	s_ashr_i32 s3, s2, 31
	v_ashrrev_i32_e32 v4, 31, v3
	s_delay_alu instid0(VALU_DEP_2) | instskip(SKIP_1) | instid1(SALU_CYCLE_1)
	v_lshlrev_b64 v[1:2], 2, v[1:2]
	s_lshl_b64 s[2:3], s[2:3], 2
	s_add_u32 s2, s16, s2
	s_delay_alu instid0(VALU_DEP_2) | instskip(SKIP_1) | instid1(VALU_DEP_2)
	v_lshlrev_b64 v[3:4], 2, v[3:4]
	s_addc_u32 s3, s25, s3
	v_add_co_u32 v1, vcc_lo, s16, v1
	v_add_co_ci_u32_e32 v2, vcc_lo, s25, v2, vcc_lo
	s_delay_alu instid0(VALU_DEP_3) | instskip(NEXT) | instid1(VALU_DEP_4)
	v_add_co_u32 v3, vcc_lo, s16, v3
	v_add_co_ci_u32_e32 v4, vcc_lo, s25, v4, vcc_lo
	s_clause 0x1
	global_load_b32 v5, v[1:2], off
	global_load_b32 v7, v[3:4], off
	s_or_b32 s4, s12, 32
	v_lshlrev_b32_e32 v1, 4, v0
	s_ashr_i32 s5, s4, 4
	s_cmp_lt_i32 s4, s24
	s_cselect_b32 s4, s5, s13
	s_delay_alu instid0(VALU_DEP_1) | instskip(SKIP_1) | instid1(SALU_CYCLE_1)
	v_and_b32_e32 v1, 0xf0, v1
	s_ashr_i32 s5, s4, 31
	s_lshl_b64 s[4:5], s[4:5], 2
	s_delay_alu instid0(SALU_CYCLE_1)
	s_add_u32 s4, s16, s4
	s_addc_u32 s5, s25, s5
	s_or_b32 s6, s12, 64
	v_add_co_u32 v1, s26, s26, v1
	s_ashr_i32 s7, s6, 4
	s_cmp_lt_i32 s6, s24
	v_add_co_ci_u32_e64 v2, null, s27, 0, s26
	s_cselect_b32 s6, s7, s13
	s_delay_alu instid0(SALU_CYCLE_1) | instskip(NEXT) | instid1(SALU_CYCLE_1)
	s_ashr_i32 s7, s6, 31
	s_lshl_b64 s[6:7], s[6:7], 2
	s_delay_alu instid0(SALU_CYCLE_1) | instskip(SKIP_2) | instid1(SALU_CYCLE_1)
	s_add_u32 s6, s16, s6
	s_addc_u32 s7, s25, s7
	s_or_b32 s8, s12, 0x60
	s_ashr_i32 s9, s8, 4
	s_cmp_lt_i32 s8, s24
	s_cselect_b32 s8, s9, s13
	s_delay_alu instid0(SALU_CYCLE_1) | instskip(NEXT) | instid1(SALU_CYCLE_1)
	s_ashr_i32 s9, s8, 31
	s_lshl_b64 s[8:9], s[8:9], 2
	s_delay_alu instid0(SALU_CYCLE_1) | instskip(SKIP_2) | instid1(SALU_CYCLE_1)
	s_add_u32 s8, s16, s8
	s_addc_u32 s9, s25, s9
	s_or_b32 s10, s12, 0x80
	s_ashr_i32 s11, s10, 4
	s_cmp_lt_i32 s10, s24
	;; [unrolled: 10-line block ×3, first 2 shown]
	s_cselect_b32 s20, s21, s13
	s_delay_alu instid0(SALU_CYCLE_1) | instskip(NEXT) | instid1(SALU_CYCLE_1)
	s_ashr_i32 s21, s20, 31
	s_lshl_b64 s[20:21], s[20:21], 2
	s_delay_alu instid0(SALU_CYCLE_1)
	s_add_u32 s20, s16, s20
	s_addc_u32 s21, s25, s21
	s_clause 0x5
	s_load_b32 s26, s[2:3], 0x0
	s_load_b32 s27, s[4:5], 0x0
	;; [unrolled: 1-line block ×6, first 2 shown]
	s_or_b32 s2, s12, 0xc0
	s_mov_b32 s4, 0
	s_ashr_i32 s3, s2, 4
	s_cmp_lt_i32 s2, s24
	s_mov_b32 s11, s4
	s_cselect_b32 s2, s3, s13
	s_mov_b32 s5, s4
	s_ashr_i32 s3, s2, 31
	s_mov_b32 s6, s4
	s_lshl_b64 s[2:3], s[2:3], 2
	s_mov_b32 s7, s4
	s_add_u32 s2, s16, s2
	s_addc_u32 s3, s25, s3
	s_or_b32 s20, s12, 0xe0
	s_mov_b32 s8, s4
	s_ashr_i32 s21, s20, 4
	s_cmp_lt_i32 s20, s24
	s_mov_b32 s9, s4
	s_cselect_b32 s20, s21, s13
	s_mov_b32 s10, s4
	s_ashr_i32 s21, s20, 31
	v_mov_b32_e32 v118, s11
	v_dual_mov_b32 v112, s5 :: v_dual_mov_b32 v117, s10
	v_dual_mov_b32 v116, s9 :: v_dual_mov_b32 v115, s8
	;; [unrolled: 1-line block ×3, first 2 shown]
	v_mov_b32_e32 v111, s4
	s_lshl_b64 s[4:5], s[20:21], 2
	s_delay_alu instid0(SALU_CYCLE_1)
	s_add_u32 s4, s16, s4
	s_addc_u32 s5, s25, s5
	s_add_u32 s6, s22, s15
	s_addc_u32 s7, s23, s18
	s_waitcnt vmcnt(1)
	v_mad_i64_i32 v[3:4], null, v5, s17, v[1:2]
	s_waitcnt vmcnt(0)
	v_mad_i64_i32 v[5:6], null, v7, s17, v[1:2]
	v_mul_lo_u16 v1, v68, 52
	v_lshlrev_b32_e32 v2, 4, v68
	s_clause 0xf
	global_load_b128 v[17:20], v[3:4], off
	global_load_b128 v[21:24], v[3:4], off offset:256
	global_load_b128 v[25:28], v[5:6], off
	global_load_b128 v[29:32], v[5:6], off offset:256
	global_load_b128 v[57:60], v[3:4], off offset:512
	;; [unrolled: 1-line block ×13, first 2 shown]
	v_lshrrev_b16 v1, 8, v1
	s_delay_alu instid0(VALU_DEP_1) | instskip(NEXT) | instid1(VALU_DEP_1)
	v_mul_lo_u16 v1, v1, 5
	v_sub_nc_u16 v1, v68, v1
	s_delay_alu instid0(VALU_DEP_1) | instskip(NEXT) | instid1(VALU_DEP_1)
	v_and_b32_e32 v1, 0xff, v1
	v_lshlrev_b32_e32 v149, 6, v1
	v_lshl_or_b32 v1, v69, 8, v2
	ds_load_b128 v[119:122], v149
	ds_load_b128 v[123:126], v149 offset:1024
	ds_load_b128 v[127:130], v149 offset:2048
	;; [unrolled: 1-line block ×3, first 2 shown]
	s_clause 0x1
	s_load_b32 s2, s[2:3], 0x0
	s_load_b32 s3, s[4:5], 0x0
	v_add_co_u32 v135, s6, s6, v1
	s_delay_alu instid0(VALU_DEP_1) | instskip(SKIP_1) | instid1(VALU_DEP_1)
	v_add_co_ci_u32_e64 v136, null, s7, 0, s6
	s_waitcnt lgkmcnt(0)
	v_mad_i64_i32 v[1:2], null, s26, s17, v[135:136]
	v_mad_i64_i32 v[3:4], null, s27, s17, v[135:136]
	;; [unrolled: 1-line block ×6, first 2 shown]
	s_clause 0x9
	global_load_b128 v[49:52], v[1:2], off
	global_load_b128 v[53:56], v[1:2], off offset:16
	global_load_b128 v[41:44], v[3:4], off
	global_load_b128 v[45:48], v[3:4], off offset:16
	;; [unrolled: 2-line block ×5, first 2 shown]
	v_mad_i64_i32 v[145:146], null, s2, s17, v[135:136]
	v_mad_i64_i32 v[147:148], null, s3, s17, v[135:136]
	s_waitcnt vmcnt(24)
	v_wmma_f32_16x16x16_f16 v[135:142], v[17:24], v[119:126], v[111:118]
	s_waitcnt vmcnt(22)
	v_wmma_f32_16x16x16_f16 v[111:118], v[25:32], v[119:126], v[111:118]
	s_clause 0x3
	global_load_b128 v[17:20], v[143:144], off
	global_load_b128 v[21:24], v[143:144], off offset:16
	global_load_b128 v[25:28], v[145:146], off
	global_load_b128 v[29:32], v[145:146], off offset:16
	v_and_b32_e32 v119, 0xe0, v0
	s_waitcnt vmcnt(24)
	v_wmma_f32_16x16x16_f16 v[135:142], v[57:64], v[127:134], v[135:142]
	s_clause 0x1
	global_load_b128 v[57:60], v[147:148], off
	global_load_b128 v[61:64], v[147:148], off offset:16
	s_waitcnt vmcnt(24)
	v_wmma_f32_16x16x16_f16 v[111:118], v[71:78], v[127:134], v[111:118]
	ds_load_b128 v[71:74], v149 offset:4096
	ds_load_b128 v[75:78], v149 offset:5120
	v_add_nc_u32_e32 v128, s12, v119
	ds_load_b128 v[119:122], v149 offset:6144
	ds_load_b128 v[123:126], v149 offset:7168
	v_mbcnt_lo_u32_b32 v127, -1, 0
	s_waitcnt vmcnt(0) lgkmcnt(0)
	s_barrier
	v_or_b32_e32 v128, v128, v66
	buffer_gl0_inv
	v_xor_b32_e32 v129, 16, v127
	v_or_b32_e32 v130, 4, v128
	v_or_b32_e32 v131, 6, v128
	s_delay_alu instid0(VALU_DEP_3) | instskip(SKIP_4) | instid1(VALU_DEP_4)
	v_cmp_gt_i32_e32 vcc_lo, 32, v129
	v_or_b32_e32 v132, 8, v128
	v_or_b32_e32 v133, 10, v128
	v_cmp_gt_i32_e64 s3, s24, v130
	v_cmp_gt_i32_e64 s4, s24, v131
	;; [unrolled: 1-line block ×3, first 2 shown]
	v_wmma_f32_16x16x16_f16 v[135:142], v[79:86], v[71:78], v[135:142]
	v_wmma_f32_16x16x16_f16 v[111:118], v[87:94], v[71:78], v[111:118]
	v_or_b32_e32 v79, 12, v128
	v_or_b32_e32 v80, 14, v128
	v_cmp_gt_i32_e64 s6, s24, v133
	v_wmma_f32_16x16x16_f16 v[135:142], v[95:102], v[119:126], v[135:142]
	v_wmma_f32_16x16x16_f16 v[111:118], v[103:110], v[119:126], v[111:118]
	v_cndmask_b32_e32 v127, v127, v129, vcc_lo
	v_or_b32_e32 v129, 2, v128
	v_cmp_gt_i32_e32 vcc_lo, s24, v128
	s_delay_alu instid0(VALU_DEP_4) | instskip(SKIP_1) | instid1(VALU_DEP_4)
	v_dual_mul_f32 v87, s19, v136 :: v_dual_mul_f32 v94, s19, v113
	v_mul_f32_e32 v88, s19, v135
	v_cmp_gt_i32_e64 s2, s24, v129
	v_mul_f32_e32 v78, s19, v138
	v_mul_f32_e32 v86, s19, v137
	;; [unrolled: 1-line block ×3, first 2 shown]
	v_cndmask_b32_e32 v88, 0xff7fffff, v88, vcc_lo
	v_cndmask_b32_e64 v87, 0xff7fffff, v87, s2
	v_dual_mul_f32 v77, s19, v139 :: v_dual_mul_f32 v90, s19, v117
	v_cndmask_b32_e64 v86, 0xff7fffff, v86, s3
	v_cndmask_b32_e64 v78, 0xff7fffff, v78, s4
	s_delay_alu instid0(VALU_DEP_4)
	v_max3_f32 v87, v88, 0xff7fffff, v87
	v_or_b32_e32 v81, 16, v128
	v_or_b32_e32 v82, 18, v128
	v_dual_mul_f32 v74, s19, v142 :: v_dual_mul_f32 v75, s19, v141
	v_mul_f32_e32 v96, s19, v111
	v_cndmask_b32_e64 v77, 0xff7fffff, v77, s5
	v_cndmask_b32_e64 v76, 0xff7fffff, v76, s6
	v_max3_f32 v78, v87, v86, v78
	v_cmp_gt_i32_e64 s7, s24, v79
	v_cmp_gt_i32_e64 s8, s24, v80
	v_or_b32_e32 v83, 20, v128
	v_or_b32_e32 v84, 22, v128
	v_mul_f32_e32 v95, s19, v112
	v_cndmask_b32_e64 v75, 0xff7fffff, v75, s7
	v_cndmask_b32_e64 v74, 0xff7fffff, v74, s8
	v_max3_f32 v76, v78, v77, v76
	v_cmp_gt_i32_e64 s9, s24, v81
	v_cmp_gt_i32_e64 s10, s24, v82
	v_or_b32_e32 v85, 24, v128
	v_or_b32_e32 v71, 26, v128
	;; [unrolled: 8-line block ×3, first 2 shown]
	v_dual_mul_f32 v91, s19, v116 :: v_dual_mul_f32 v92, s19, v115
	v_cndmask_b32_e64 v75, 0xff7fffff, v94, s11
	v_cndmask_b32_e64 v76, 0xff7fffff, v93, s12
	v_max3_f32 v74, v74, v77, v78
	v_cmp_gt_i32_e64 s13, s24, v85
	v_cmp_gt_i32_e64 s15, s24, v71
	v_mul_f32_e32 v89, s19, v118
	v_cmp_gt_i32_e64 s16, s24, v72
	v_max3_f32 v74, v74, v75, v76
	v_cndmask_b32_e64 v77, 0xff7fffff, v92, s13
	v_cndmask_b32_e64 v71, 0xff7fffff, v91, s15
	v_cmp_gt_i32_e64 s17, s24, v73
	v_cndmask_b32_e64 v72, 0xff7fffff, v90, s16
	s_delay_alu instid0(VALU_DEP_3) | instskip(SKIP_1) | instid1(VALU_DEP_4)
	v_max3_f32 v71, v74, v77, v71
	v_lshlrev_b32_e32 v74, 2, v127
	v_cndmask_b32_e64 v73, 0xff7fffff, v89, s17
	s_delay_alu instid0(VALU_DEP_1) | instskip(SKIP_3) | instid1(VALU_DEP_1)
	v_max3_f32 v71, v71, v72, v73
	ds_bpermute_b32 v72, v74, v71
	s_waitcnt lgkmcnt(0)
	v_max_f32_e32 v72, v72, v72
	v_max_f32_e32 v71, v71, v72
	s_delay_alu instid0(VALU_DEP_1) | instskip(SKIP_4) | instid1(VALU_DEP_4)
	v_fma_f32 v72, s19, v135, -v71
	v_fma_f32 v73, s19, v136, -v71
	;; [unrolled: 1-line block ×5, first 2 shown]
	v_dual_mul_f32 v72, 0x3fb8aa3b, v72 :: v_dual_mul_f32 v73, 0x3fb8aa3b, v73
	s_delay_alu instid0(VALU_DEP_3) | instskip(SKIP_1) | instid1(VALU_DEP_3)
	v_dual_mul_f32 v75, 0x3fb8aa3b, v75 :: v_dual_mul_f32 v76, 0x3fb8aa3b, v76
	v_fma_f32 v80, s19, v141, -v71
	v_exp_f32_e32 v72, v72
	s_delay_alu instid0(VALU_DEP_3) | instskip(NEXT) | instid1(VALU_DEP_2)
	v_exp_f32_e32 v73, v73
	v_exp_f32_e32 v75, v75
	;; [unrolled: 1-line block ×3, first 2 shown]
	v_mul_f32_e32 v82, 0x3fb8aa3b, v80
	s_delay_alu instid0(VALU_DEP_1) | instskip(SKIP_4) | instid1(TRANS32_DEP_3)
	v_exp_f32_e32 v84, v82
	v_cndmask_b32_e32 v79, 0, v72, vcc_lo
	v_fma_f32 v72, s19, v140, -v71
	v_mul_f32_e32 v77, 0x3fb8aa3b, v77
	v_cndmask_b32_e64 v78, 0, v73, s2
	v_cndmask_b32_e64 v81, 0, v75, s3
	s_delay_alu instid0(VALU_DEP_4) | instskip(NEXT) | instid1(VALU_DEP_4)
	v_dual_add_f32 v73, 0, v79 :: v_dual_mul_f32 v72, 0x3fb8aa3b, v72
	v_exp_f32_e32 v77, v77
	v_cndmask_b32_e64 v80, 0, v76, s4
	s_delay_alu instid0(TRANS32_DEP_2) | instskip(NEXT) | instid1(VALU_DEP_3)
	v_cndmask_b32_e64 v85, 0, v84, s7
	v_add_f32_e32 v73, v73, v78
	v_exp_f32_e32 v72, v72
	v_cmp_gt_u32_e64 s2, 16, v70
	s_delay_alu instid0(VALU_DEP_2) | instskip(NEXT) | instid1(TRANS32_DEP_2)
	v_add_f32_e32 v73, v73, v81
	v_cndmask_b32_e64 v83, 0, v77, s5
	s_delay_alu instid0(VALU_DEP_2) | instskip(SKIP_3) | instid1(VALU_DEP_1)
	v_add_f32_e32 v73, v73, v80
	s_waitcnt_depctr 0xfff
	v_cndmask_b32_e64 v82, 0, v72, s6
	v_add_f32_e32 v72, v73, v83
	v_add_f32_e32 v72, v72, v82
	s_delay_alu instid0(VALU_DEP_1)
	v_add_f32_e32 v72, v72, v85
	v_fma_f32 v76, s19, v111, -v71
	v_fma_f32 v75, s19, v142, -v71
	;; [unrolled: 1-line block ×5, first 2 shown]
	s_delay_alu instid0(VALU_DEP_4) | instskip(NEXT) | instid1(VALU_DEP_3)
	v_dual_mul_f32 v76, 0x3fb8aa3b, v76 :: v_dual_mul_f32 v75, 0x3fb8aa3b, v75
	v_mul_f32_e32 v86, 0x3fb8aa3b, v86
	s_delay_alu instid0(VALU_DEP_2) | instskip(NEXT) | instid1(VALU_DEP_2)
	v_exp_f32_e32 v76, v76
	v_exp_f32_e32 v75, v75
	s_delay_alu instid0(VALU_DEP_1) | instskip(NEXT) | instid1(TRANS32_DEP_3)
	v_exp_f32_e32 v88, v86
	v_cndmask_b32_e64 v87, 0, v76, s9
	v_fma_f32 v76, s19, v116, -v71
	v_mul_f32_e32 v77, 0x3fb8aa3b, v77
	s_waitcnt_depctr 0xfff
	v_cndmask_b32_e64 v84, 0, v75, s8
	v_fma_f32 v75, s19, v115, -v71
	v_cndmask_b32_e64 v88, 0, v88, s12
	v_mul_f32_e32 v76, 0x3fb8aa3b, v76
	v_exp_f32_e32 v77, v77
	v_add_f32_e32 v72, v72, v84
	s_delay_alu instid0(VALU_DEP_2) | instskip(NEXT) | instid1(VALU_DEP_1)
	v_exp_f32_e32 v76, v76
	v_add_f32_e32 v72, v72, v87
	s_waitcnt_depctr 0xfff
	v_cndmask_b32_e64 v86, 0, v77, s10
	v_mul_f32_e32 v73, 0x3fb8aa3b, v73
	v_fma_f32 v77, s19, v117, -v71
	v_cndmask_b32_e64 v90, 0, v76, s15
	s_delay_alu instid0(VALU_DEP_4) | instskip(NEXT) | instid1(VALU_DEP_4)
	v_add_f32_e32 v72, v72, v86
	v_exp_f32_e32 v73, v73
	s_waitcnt_depctr 0xfff
	v_cndmask_b32_e64 v89, 0, v73, s11
	s_delay_alu instid0(VALU_DEP_1) | instskip(NEXT) | instid1(VALU_DEP_1)
	v_dual_mul_f32 v75, 0x3fb8aa3b, v75 :: v_dual_add_f32 v72, v72, v89
	v_exp_f32_e32 v75, v75
	v_mul_f32_e32 v73, 0x3fb8aa3b, v77
	v_fma_f32 v77, s19, v118, -v71
	s_delay_alu instid0(VALU_DEP_3) | instskip(NEXT) | instid1(VALU_DEP_3)
	v_add_f32_e32 v72, v72, v88
	v_exp_f32_e32 v73, v73
	s_waitcnt_depctr 0xfff
	v_cndmask_b32_e64 v91, 0, v75, s13
	s_delay_alu instid0(VALU_DEP_1) | instskip(NEXT) | instid1(VALU_DEP_1)
	v_dual_mul_f32 v75, 0x3fb8aa3b, v77 :: v_dual_add_f32 v72, v72, v91
	v_exp_f32_e32 v75, v75
	v_cndmask_b32_e64 v93, 0, v73, s16
	s_delay_alu instid0(VALU_DEP_2) | instskip(NEXT) | instid1(VALU_DEP_1)
	v_add_f32_e32 v72, v72, v90
	v_add_f32_e32 v72, v72, v93
	s_waitcnt_depctr 0xfff
	v_cndmask_b32_e64 v92, 0, v75, s17
	s_delay_alu instid0(VALU_DEP_1)
	v_add_f32_e32 v72, v72, v92
	ds_bpermute_b32 v73, v74, v72
	s_and_saveexec_b32 s3, s2
	s_cbranch_execz .LBB1266_12
; %bb.11:
	v_mul_u32_u24_e32 v70, 0x44, v69
	s_waitcnt lgkmcnt(0)
	v_add_f32_e32 v72, v72, v73
	s_delay_alu instid0(VALU_DEP_2) | instskip(NEXT) | instid1(VALU_DEP_1)
	v_lshl_add_u32 v70, v68, 2, v70
	v_add_nc_u32_e32 v70, 0x4000, v70
	ds_store_2addr_b32 v70, v71, v72 offset1:136
.LBB1266_12:
	s_or_b32 exec_lo, exec_lo, s3
	v_lshlrev_b32_e32 v70, 2, v68
	s_load_b32 s35, s[0:1], 0x94
	s_waitcnt lgkmcnt(0)
	s_barrier
	buffer_gl0_inv
	v_add_nc_u32_e32 v98, 0x4000, v70
	v_cmp_eq_u32_e32 vcc_lo, 1, v69
	v_cmp_eq_u32_e64 s3, 2, v69
	v_cmp_eq_u32_e64 s4, 3, v69
	;; [unrolled: 1-line block ×3, first 2 shown]
	ds_load_2addr_b32 v[70:71], v98 offset1:17
	ds_load_2addr_b32 v[72:73], v98 offset0:34 offset1:51
	ds_load_2addr_b32 v[74:75], v98 offset0:68 offset1:85
	ds_load_2addr_b32 v[94:95], v98 offset0:102 offset1:119
	v_cmp_eq_u32_e64 s6, 5, v69
	v_cmp_eq_u32_e64 s7, 7, v69
	s_waitcnt lgkmcnt(3)
	v_max3_f32 v76, v70, 0xff7fffff, v71
	s_waitcnt lgkmcnt(2)
	s_delay_alu instid0(VALU_DEP_1) | instskip(SKIP_1) | instid1(VALU_DEP_1)
	v_max3_f32 v76, v76, v72, v73
	s_waitcnt lgkmcnt(1)
	v_max3_f32 v76, v76, v74, v75
	s_waitcnt lgkmcnt(0)
	s_delay_alu instid0(VALU_DEP_1) | instskip(NEXT) | instid1(VALU_DEP_1)
	v_max3_f32 v76, v76, v94, v95
	v_sub_f32_e32 v77, v71, v76
	ds_load_2addr_b32 v[96:97], v98 offset0:136 offset1:153
	v_sub_f32_e32 v74, v74, v76
	v_sub_f32_e32 v70, v70, v76
	;; [unrolled: 1-line block ×3, first 2 shown]
	v_dual_sub_f32 v72, v72, v76 :: v_dual_mul_f32 v77, 0x3fb8aa3b, v77
	s_delay_alu instid0(VALU_DEP_4) | instskip(NEXT) | instid1(VALU_DEP_4)
	v_mul_f32_e32 v103, 0x3fb8aa3b, v74
	v_mul_f32_e32 v99, 0x3fb8aa3b, v70
	ds_load_2addr_b32 v[70:71], v98 offset0:170 offset1:187
	v_dual_mul_f32 v101, 0x3fb8aa3b, v72 :: v_dual_mul_f32 v94, 0x3fb8aa3b, v94
	v_exp_f32_e32 v102, v77
	v_exp_f32_e32 v99, v99
	s_delay_alu instid0(VALU_DEP_1) | instskip(NEXT) | instid1(VALU_DEP_1)
	v_exp_f32_e32 v101, v101
	v_exp_f32_e32 v94, v94
	s_waitcnt lgkmcnt(1)
	s_delay_alu instid0(TRANS32_DEP_3)
	v_fma_f32 v77, v99, v96, 0
	v_sub_f32_e32 v100, v73, v76
	ds_load_2addr_b32 v[72:73], v98 offset0:204 offset1:221
	v_fmac_f32_e32 v77, v102, v97
	v_exp_f32_e32 v97, v103
	s_waitcnt lgkmcnt(1)
	s_delay_alu instid0(VALU_DEP_1)
	v_dual_fmac_f32 v77, v101, v70 :: v_dual_sub_f32 v96, v75, v76
	ds_load_2addr_b32 v[74:75], v98 offset0:238 offset1:255
	v_sub_f32_e32 v70, v95, v76
	s_waitcnt lgkmcnt(0)
	s_barrier
	v_mul_f32_e32 v96, 0x3fb8aa3b, v96
	buffer_gl0_inv
	v_exp_f32_e32 v95, v96
	v_mul_f32_e32 v100, 0x3fb8aa3b, v100
	s_delay_alu instid0(VALU_DEP_1) | instskip(SKIP_3) | instid1(VALU_DEP_2)
	v_exp_f32_e32 v100, v100
	s_waitcnt_depctr 0xfff
	v_dual_fmac_f32 v77, v100, v71 :: v_dual_mul_f32 v70, 0x3fb8aa3b, v70
	v_cndmask_b32_e32 v71, v99, v102, vcc_lo
	v_fmac_f32_e32 v77, v97, v72
	s_delay_alu instid0(VALU_DEP_3) | instskip(NEXT) | instid1(VALU_DEP_1)
	v_exp_f32_e32 v96, v70
	v_fmac_f32_e32 v77, v95, v73
	s_delay_alu instid0(VALU_DEP_1) | instskip(SKIP_2) | instid1(VALU_DEP_1)
	v_fmac_f32_e32 v77, v94, v74
	s_waitcnt_depctr 0xfff
	v_fmac_f32_e32 v77, v96, v75
	v_add_f32_e32 v74, 0x358637bd, v77
	s_delay_alu instid0(VALU_DEP_1) | instskip(SKIP_1) | instid1(VALU_DEP_2)
	v_div_scale_f32 v98, null, v74, v74, 1.0
	v_div_scale_f32 v99, vcc_lo, 1.0, v74, 1.0
	v_rcp_f32_e32 v103, v98
	s_waitcnt_depctr 0xfff
	v_fma_f32 v70, -v98, v103, 1.0
	s_delay_alu instid0(VALU_DEP_1) | instskip(SKIP_2) | instid1(VALU_DEP_2)
	v_fmac_f32_e32 v103, v70, v103
	v_cndmask_b32_e64 v70, v71, v101, s3
	v_cmp_eq_u32_e64 s3, 6, v69
	v_cndmask_b32_e64 v71, v70, v100, s4
	s_delay_alu instid0(VALU_DEP_4) | instskip(NEXT) | instid1(VALU_DEP_2)
	v_dual_mul_f32 v101, v99, v103 :: v_dual_lshlrev_b32 v70, 2, v66
	v_cndmask_b32_e64 v71, v71, v97, s5
	s_delay_alu instid0(VALU_DEP_2) | instskip(NEXT) | instid1(VALU_DEP_3)
	v_or_b32_e32 v72, 1, v70
	v_fma_f32 v100, -v98, v101, v99
	v_cmp_eq_u32_e64 s4, 1, v70
	v_cmp_eq_u32_e64 s5, 2, v70
	v_cndmask_b32_e64 v95, v71, v95, s6
	v_or_b32_e32 v71, 3, v70
	v_fmac_f32_e32 v101, v100, v103
	v_cmp_eq_u32_e64 s9, 1, v72
	v_cmp_eq_u32_e64 s12, 2, v72
	v_cndmask_b32_e64 v94, v95, v94, s3
	v_cmp_eq_u32_e64 s11, 1, v71
	v_fma_f32 v97, -v98, v101, v99
	v_cmp_eq_u32_e64 s16, 2, v71
	v_cmp_eq_u32_e64 s13, 3, v72
	v_cndmask_b32_e64 v94, v94, v96, s7
	v_cmp_eq_u32_e64 s18, 3, v71
	v_div_fmas_f32 v95, v97, v103, v101
	v_cmp_eq_u32_e32 vcc_lo, 3, v70
	v_cmp_eq_u32_e64 s3, 4, v70
	v_cmp_eq_u32_e64 s19, 4, v72
	;; [unrolled: 1-line block ×3, first 2 shown]
	v_div_fixup_f32 v95, v95, v74, 1.0
	v_lshlrev_b32_e32 v73, 6, v68
	v_cmp_eq_u32_e64 s6, 5, v70
	v_cmp_eq_u32_e64 s20, 5, v72
	;; [unrolled: 1-line block ×3, first 2 shown]
	v_mul_f32_e32 v102, v94, v95
	v_lshl_or_b32 v75, v69, 11, v73
	v_or_b32_e32 v69, 2, v70
	v_cmp_eq_u32_e64 s25, 6, v72
	v_cmp_eq_u32_e64 s27, 6, v71
	v_fma_mixlo_f16 v94, v102, v79, 0
	v_fma_mixlo_f16 v95, v102, v81, 0
	;; [unrolled: 1-line block ×8, first 2 shown]
	v_lshl_or_b32 v74, v66, 4, v75
	v_fma_mixhi_f16 v94, v102, v78, 0
	v_fma_mixhi_f16 v95, v102, v80, 0
	;; [unrolled: 1-line block ×8, first 2 shown]
	ds_store_b128 v74, v[94:97]
	ds_store_b128 v74, v[98:101] offset:1024
	s_waitcnt lgkmcnt(0)
	s_barrier
	buffer_gl0_inv
	ds_load_b128 v[78:81], v75
	ds_load_b128 v[82:85], v75 offset:16
	ds_load_b128 v[86:89], v75 offset:1024
	;; [unrolled: 1-line block ×3, first 2 shown]
	v_cmp_eq_u32_e64 s10, 1, v69
	v_cmp_eq_u32_e64 s15, 2, v69
	v_cmp_eq_u32_e64 s17, 3, v69
	v_cmp_eq_u32_e64 s21, 4, v69
	v_cmp_eq_u32_e64 s23, 5, v69
	v_cmp_eq_u32_e64 s7, 6, v70
	v_cmp_eq_u32_e64 s26, 6, v69
	v_cmp_eq_u32_e64 s29, 7, v71
	v_cmp_eq_u32_e64 s30, 7, v72
	v_cmp_eq_u32_e64 s8, 7, v70
	v_cmp_eq_u32_e64 s28, 7, v69
	s_waitcnt lgkmcnt(3)
	v_lshrrev_b32_e32 v94, 16, v78
	s_waitcnt lgkmcnt(2)
	v_lshrrev_b32_e32 v98, 16, v82
	;; [unrolled: 2-line block ×4, first 2 shown]
	v_lshrrev_b32_e32 v95, 16, v79
	v_cndmask_b32_e64 v110, v78, v94, s4
	v_cndmask_b32_e64 v111, v82, v98, s4
	;; [unrolled: 1-line block ×8, first 2 shown]
	v_lshrrev_b32_e32 v99, 16, v83
	v_cndmask_b32_e64 v94, v86, v102, s4
	v_cndmask_b32_e64 v98, v90, v106, s4
	;; [unrolled: 1-line block ×15, first 2 shown]
	v_lshrrev_b32_e32 v103, 16, v87
	v_lshrrev_b32_e32 v107, 16, v91
	v_cndmask_b32_e64 v113, v115, v83, s15
	v_cndmask_b32_e64 v82, v94, v87, s5
	;; [unrolled: 1-line block ×7, first 2 shown]
	v_cndmask_b32_e32 v90, v102, v95, vcc_lo
	v_cndmask_b32_e32 v102, v106, v99, vcc_lo
	v_cndmask_b32_e64 v106, v110, v95, s13
	v_cndmask_b32_e64 v110, v111, v99, s13
	;; [unrolled: 1-line block ×4, first 2 shown]
	v_lshrrev_b32_e32 v96, 16, v80
	v_lshrrev_b32_e32 v100, 16, v84
	v_cndmask_b32_e64 v111, v112, v95, s17
	v_cndmask_b32_e64 v112, v113, v99, s17
	v_cndmask_b32_e32 v82, v82, v103, vcc_lo
	v_cndmask_b32_e32 v83, v83, v107, vcc_lo
	v_cndmask_b32_e64 v94, v94, v103, s13
	v_cndmask_b32_e64 v90, v90, v80, s3
	;; [unrolled: 1-line block ×7, first 2 shown]
	v_lshrrev_b32_e32 v104, 16, v88
	v_cndmask_b32_e64 v106, v111, v80, s21
	v_cndmask_b32_e64 v110, v112, v84, s21
	;; [unrolled: 1-line block ×11, first 2 shown]
	v_lshrrev_b32_e32 v97, 16, v81
	v_lshrrev_b32_e32 v101, 16, v85
	v_cndmask_b32_e64 v99, v106, v96, s23
	v_cndmask_b32_e64 v102, v110, v100, s23
	;; [unrolled: 1-line block ×7, first 2 shown]
	v_lshrrev_b32_e32 v105, 16, v89
	v_cndmask_b32_e64 v80, v80, v104, s6
	v_cndmask_b32_e64 v84, v84, v81, s7
	;; [unrolled: 1-line block ×16, first 2 shown]
	v_perm_b32 v81, v79, v78, 0x5040100
	v_perm_b32 v79, v95, v85, 0x5040100
	v_cndmask_b32_e64 v78, v119, v91, s15
	v_cndmask_b32_e64 v85, v117, v91, s12
	;; [unrolled: 1-line block ×3, first 2 shown]
	v_perm_b32 v80, v94, v90, 0x5040100
	v_cndmask_b32_e64 v90, v98, v103, s17
	v_cndmask_b32_e64 v86, v86, v103, s18
	;; [unrolled: 1-line block ×5, first 2 shown]
	v_lshrrev_b32_e32 v108, 16, v92
	v_cndmask_b32_e64 v90, v90, v88, s21
	v_cndmask_b32_e64 v86, v86, v88, s22
	;; [unrolled: 1-line block ×11, first 2 shown]
	v_lshrrev_b32_e32 v109, 16, v93
	v_cndmask_b32_e64 v82, v82, v93, s7
	v_cndmask_b32_e64 v88, v88, v89, s26
	v_cndmask_b32_e64 v86, v86, v89, s27
	v_cndmask_b32_e64 v87, v87, v93, s27
	v_cndmask_b32_e64 v78, v78, v93, s26
	v_cndmask_b32_e64 v85, v85, v93, s25
	v_cndmask_b32_e64 v88, v88, v105, s28
	v_cndmask_b32_e64 v86, v86, v105, s29
	v_cndmask_b32_e64 v87, v87, v109, s29
	v_cndmask_b32_e64 v89, v78, v109, s28
	v_cndmask_b32_e64 v90, v85, v109, s30
	v_cndmask_b32_e64 v82, v82, v109, s8
	v_perm_b32 v78, v84, v83, 0x5040100
	v_perm_b32 v85, v87, v86, 0x5040100
	;; [unrolled: 1-line block ×5, first 2 shown]
	s_mul_i32 s8, s33, 5
	s_mov_b32 s3, exec_lo
	ds_store_b128 v74, v[78:81]
	ds_store_b128 v74, v[82:85] offset:1024
	v_cmpx_gt_u32_e32 5, v0
	s_cbranch_execz .LBB1266_14
; %bb.13:
	s_mul_i32 s4, s8, s34
	s_delay_alu instid0(SALU_CYCLE_1) | instskip(SKIP_1) | instid1(VALU_DEP_1)
	v_add3_u32 v68, s4, s31, v68
	s_load_b128 s[4:7], s[0:1], 0x58
	v_mad_u64_u32 v[78:79], null, v68, s35, s[14:15]
	s_delay_alu instid0(VALU_DEP_1) | instskip(NEXT) | instid1(VALU_DEP_1)
	v_ashrrev_i32_e32 v79, 31, v78
	v_lshlrev_b64 v[78:79], 2, v[78:79]
	s_waitcnt lgkmcnt(0)
	s_delay_alu instid0(VALU_DEP_1) | instskip(NEXT) | instid1(VALU_DEP_2)
	v_add_co_u32 v80, vcc_lo, s6, v78
	v_add_co_ci_u32_e32 v81, vcc_lo, s7, v79, vcc_lo
	v_add_co_u32 v78, vcc_lo, s4, v78
	v_add_co_ci_u32_e32 v79, vcc_lo, s5, v79, vcc_lo
	global_store_b32 v[80:81], v76, off
	global_store_b32 v[78:79], v77, off
.LBB1266_14:
	s_or_b32 exec_lo, exec_lo, s3
	s_waitcnt lgkmcnt(0)
	s_waitcnt_vscnt null, 0x0
	s_barrier
	buffer_gl0_inv
	ds_load_b128 v[84:87], v73
	ds_load_b128 v[88:91], v73 offset:16
	ds_load_b128 v[96:99], v73 offset:2064
	;; [unrolled: 1-line block ×5, first 2 shown]
	v_cmp_eq_u32_e32 vcc_lo, 1, v70
	v_mov_b32_e32 v76, 0
	ds_load_b128 v[112:115], v73 offset:6160
	ds_load_b128 v[108:111], v73 offset:6144
	ds_load_b128 v[120:123], v73 offset:8208
	ds_load_b128 v[116:119], v73 offset:8192
	v_cmp_eq_u32_e64 s4, 1, v69
	v_cmp_eq_u32_e64 s3, 1, v72
	;; [unrolled: 1-line block ×3, first 2 shown]
	v_mov_b32_e32 v77, v76
	v_mov_b32_e32 v78, v76
	;; [unrolled: 1-line block ×7, first 2 shown]
	v_cmp_eq_u32_e64 s6, 3, v72
	v_cmp_eq_u32_e64 s7, 7, v72
	s_waitcnt lgkmcnt(8)
	s_delay_alu instid0(VALU_DEP_3)
	v_wmma_f32_16x16x16_f16 v[76:83], v[49:56], v[84:91], v[76:83]
	ds_load_b128 v[53:56], v73 offset:10256
	ds_load_b128 v[49:52], v73 offset:10240
	s_waitcnt lgkmcnt(8)
	v_wmma_f32_16x16x16_f16 v[76:83], v[41:48], v[92:99], v[76:83]
	ds_load_b128 v[45:48], v73 offset:12304
	ds_load_b128 v[41:44], v73 offset:12288
	s_waitcnt lgkmcnt(8)
	;; [unrolled: 4-line block ×3, first 2 shown]
	s_barrier
	buffer_gl0_inv
	v_wmma_f32_16x16x16_f16 v[76:83], v[1:8], v[108:115], v[76:83]
	s_delay_alu instid0(VALU_DEP_1) | instskip(NEXT) | instid1(VALU_DEP_1)
	v_wmma_f32_16x16x16_f16 v[76:83], v[9:16], v[116:123], v[76:83]
	v_wmma_f32_16x16x16_f16 v[76:83], v[17:24], v[49:56], v[76:83]
	s_delay_alu instid0(VALU_DEP_1) | instskip(NEXT) | instid1(VALU_DEP_1)
	v_wmma_f32_16x16x16_f16 v[76:83], v[25:32], v[41:48], v[76:83]
	v_wmma_f32_16x16x16_f16 v[76:83], v[57:64], v[33:40], v[76:83]
	s_delay_alu instid0(VALU_DEP_1) | instskip(NEXT) | instid1(VALU_DEP_2)
	v_cvt_f16_f32_e32 v1, v76
	v_cvt_f16_f32_e32 v2, v77
	s_delay_alu instid0(VALU_DEP_3) | instskip(NEXT) | instid1(VALU_DEP_4)
	v_cvt_f16_f32_e32 v3, v78
	v_cvt_f16_f32_e32 v4, v79
	;; [unrolled: 1-line block ×6, first 2 shown]
	v_pack_b32_f16 v1, v1, v2
	v_pack_b32_f16 v2, v3, v4
	;; [unrolled: 1-line block ×3, first 2 shown]
	s_delay_alu instid0(VALU_DEP_4)
	v_pack_b32_f16 v4, v7, v8
	ds_store_b128 v74, v[1:4]
	s_waitcnt lgkmcnt(0)
	s_barrier
	buffer_gl0_inv
	ds_load_b128 v[1:4], v75
	ds_load_b128 v[5:8], v75 offset:16
	s_waitcnt lgkmcnt(1)
	v_lshrrev_b32_e32 v9, 16, v1
	s_waitcnt lgkmcnt(0)
	v_lshrrev_b32_e32 v13, 16, v5
	v_lshrrev_b32_e32 v10, 16, v2
	;; [unrolled: 1-line block ×4, first 2 shown]
	v_cndmask_b32_e32 v17, v1, v9, vcc_lo
	v_cndmask_b32_e32 v18, v5, v13, vcc_lo
	v_cndmask_b32_e64 v21, v1, v9, s4
	v_cmp_eq_u32_e32 vcc_lo, 1, v71
	v_cndmask_b32_e64 v22, v5, v13, s4
	v_cmp_eq_u32_e64 s4, 2, v70
	v_cndmask_b32_e64 v19, v1, v9, s3
	v_cndmask_b32_e64 v20, v5, v13, s3
	v_cndmask_b32_e32 v1, v1, v9, vcc_lo
	v_cmp_eq_u32_e64 s3, 2, v71
	v_cndmask_b32_e32 v5, v5, v13, vcc_lo
	v_cndmask_b32_e64 v9, v17, v2, s4
	v_cmp_eq_u32_e32 vcc_lo, 3, v70
	v_cndmask_b32_e64 v13, v18, v6, s4
	v_cmp_eq_u32_e64 s4, 2, v69
	v_cndmask_b32_e64 v17, v19, v2, s5
	v_cndmask_b32_e64 v18, v20, v6, s5
	v_cmp_eq_u32_e64 s5, 3, v69
	v_cndmask_b32_e64 v1, v1, v2, s3
	v_cndmask_b32_e64 v19, v21, v2, s4
	;; [unrolled: 1-line block ×4, first 2 shown]
	v_cndmask_b32_e32 v5, v9, v10, vcc_lo
	v_cndmask_b32_e32 v6, v13, v14, vcc_lo
	v_cmp_eq_u32_e32 vcc_lo, 3, v71
	v_cndmask_b32_e64 v9, v17, v10, s6
	v_cndmask_b32_e64 v13, v18, v14, s6
	;; [unrolled: 1-line block ×3, first 2 shown]
	v_cmp_eq_u32_e64 s4, 4, v70
	v_cndmask_b32_e32 v1, v1, v10, vcc_lo
	v_cndmask_b32_e32 v2, v2, v14, vcc_lo
	v_cmp_eq_u32_e32 vcc_lo, 4, v72
	v_lshrrev_b32_e32 v15, 16, v7
	v_lshrrev_b32_e32 v16, 16, v8
	v_cndmask_b32_e64 v17, v19, v10, s5
	v_cmp_eq_u32_e64 s3, 4, v71
	v_cndmask_b32_e64 v5, v5, v3, s4
	v_cndmask_b32_e64 v6, v6, v7, s4
	v_cndmask_b32_e32 v9, v9, v3, vcc_lo
	v_cmp_eq_u32_e64 s4, 5, v72
	v_cndmask_b32_e32 v10, v13, v7, vcc_lo
	v_cmp_eq_u32_e32 vcc_lo, 4, v69
	v_cmp_eq_u32_e64 s5, 5, v70
	v_cndmask_b32_e64 v2, v2, v7, s3
	v_cndmask_b32_e64 v9, v9, v11, s4
	;; [unrolled: 1-line block ×3, first 2 shown]
	v_cndmask_b32_e32 v13, v17, v3, vcc_lo
	v_cmp_eq_u32_e64 s4, 5, v69
	v_cndmask_b32_e32 v14, v18, v7, vcc_lo
	v_cndmask_b32_e64 v1, v1, v3, s3
	v_cmp_eq_u32_e32 vcc_lo, 5, v71
	v_lshrrev_b32_e32 v12, 16, v4
	v_cndmask_b32_e64 v13, v13, v11, s4
	v_cndmask_b32_e64 v3, v14, v15, s4
	v_cmp_eq_u32_e64 s4, 6, v71
	v_cndmask_b32_e32 v1, v1, v11, vcc_lo
	v_cndmask_b32_e64 v5, v5, v11, s5
	v_cmp_eq_u32_e64 s6, 6, v70
	v_cndmask_b32_e64 v6, v6, v15, s5
	v_cmp_eq_u32_e64 s5, 6, v72
	v_cmp_eq_u32_e64 s3, 6, v69
	v_cndmask_b32_e64 v1, v1, v4, s4
	v_cndmask_b32_e32 v2, v2, v15, vcc_lo
	v_cmp_eq_u32_e32 vcc_lo, 7, v71
	v_cndmask_b32_e64 v5, v5, v4, s6
	v_cndmask_b32_e64 v9, v9, v4, s5
	;; [unrolled: 1-line block ×3, first 2 shown]
	v_cmp_eq_u32_e64 s6, 7, v70
	v_cndmask_b32_e32 v1, v1, v12, vcc_lo
	v_cndmask_b32_e64 v7, v13, v4, s3
	v_cndmask_b32_e64 v3, v3, v8, s3
	;; [unrolled: 1-line block ×3, first 2 shown]
	v_cmp_eq_u32_e64 s3, 7, v69
	v_cndmask_b32_e64 v4, v10, v8, s5
	v_cndmask_b32_e64 v5, v5, v12, s6
	;; [unrolled: 1-line block ×3, first 2 shown]
	v_cndmask_b32_e32 v2, v2, v16, vcc_lo
	v_cndmask_b32_e64 v7, v7, v12, s3
	v_cndmask_b32_e64 v3, v3, v16, s3
	v_cndmask_b32_e64 v8, v4, v16, s7
	v_cndmask_b32_e64 v6, v6, v16, s6
	v_perm_b32 v4, v2, v1, 0x5040100
	s_mov_b32 s3, exec_lo
	v_perm_b32 v3, v3, v7, 0x5040100
	v_perm_b32 v2, v8, v9, 0x5040100
	;; [unrolled: 1-line block ×3, first 2 shown]
	ds_store_b128 v74, v[1:4]
	s_waitcnt lgkmcnt(0)
	s_barrier
	buffer_gl0_inv
	v_cmpx_gt_u32_e32 32, v0
	s_cbranch_execz .LBB1266_2
; %bb.15:
	s_load_b64 s[4:5], s[0:1], 0x68
	v_lshlrev_b32_e32 v0, 10, v0
	v_add_nc_u32_e32 v2, s31, v66
	v_lshlrev_b32_e32 v3, 4, v67
	s_lshl_b32 s0, s35, 7
	s_delay_alu instid0(SALU_CYCLE_1) | instskip(NEXT) | instid1(VALU_DEP_2)
	s_mul_i32 s1, s0, s34
	v_mul_lo_u32 v1, v2, s0
	s_delay_alu instid0(VALU_DEP_2) | instskip(SKIP_2) | instid1(SALU_CYCLE_1)
	v_and_or_b32 v0, 0x3800, v0, v3
	v_add_nc_u32_e32 v2, 2, v2
	s_mul_i32 s6, s1, s8
	s_ashr_i32 s7, s6, 31
	s_delay_alu instid0(VALU_DEP_2)
	v_lshl_or_b32 v7, v66, 6, v0
	s_lshl_b64 s[6:7], s[6:7], 1
	v_mul_lo_u32 v11, v2, s0
	v_ashrrev_i32_e32 v2, 31, v1
	ds_load_b128 v[3:6], v7
	ds_load_b128 v[7:10], v7 offset:128
	s_waitcnt lgkmcnt(0)
	s_add_u32 s1, s4, s6
	s_addc_u32 s3, s5, s7
	s_lshl_b32 s4, s14, 7
	v_ashrrev_i32_e32 v12, 31, v11
	s_ashr_i32 s5, s4, 31
	v_lshlrev_b64 v[13:14], 1, v[1:2]
	s_lshl_b64 s[4:5], s[4:5], 1
	s_delay_alu instid0(SALU_CYCLE_1) | instskip(SKIP_2) | instid1(VALU_DEP_1)
	s_add_u32 s1, s1, s4
	s_addc_u32 s3, s3, s5
	v_add_co_u32 v1, s1, s1, v65
	v_add_co_ci_u32_e64 v2, null, s3, 0, s1
	v_lshlrev_b64 v[11:12], 1, v[11:12]
	s_delay_alu instid0(VALU_DEP_3) | instskip(NEXT) | instid1(VALU_DEP_3)
	v_add_co_u32 v13, vcc_lo, v1, v13
	v_add_co_ci_u32_e32 v14, vcc_lo, v2, v14, vcc_lo
	s_delay_alu instid0(VALU_DEP_3) | instskip(NEXT) | instid1(VALU_DEP_4)
	v_add_co_u32 v11, vcc_lo, v1, v11
	v_add_co_ci_u32_e32 v12, vcc_lo, v2, v12, vcc_lo
	s_clause 0x1
	global_store_b128 v[13:14], v[3:6], off
	global_store_b128 v[11:12], v[7:10], off
	s_and_b32 exec_lo, exec_lo, s2
	s_cbranch_execz .LBB1266_2
; %bb.16:
	ds_load_b128 v[3:6], v0 offset:256
	s_add_i32 s1, s31, 4
	s_delay_alu instid0(SALU_CYCLE_1) | instskip(NEXT) | instid1(SALU_CYCLE_1)
	s_mul_i32 s0, s1, s0
	s_ashr_i32 s1, s0, 31
	s_delay_alu instid0(SALU_CYCLE_1) | instskip(NEXT) | instid1(SALU_CYCLE_1)
	s_lshl_b64 s[0:1], s[0:1], 1
	v_add_co_u32 v0, vcc_lo, v1, s0
	v_add_co_ci_u32_e32 v1, vcc_lo, s1, v2, vcc_lo
	s_waitcnt lgkmcnt(0)
	global_store_b128 v[0:1], v[3:6], off
	s_nop 0
	s_sendmsg sendmsg(MSG_DEALLOC_VGPRS)
	s_endpgm
	.section	.rodata,"a",@progbits
	.p2align	6, 0x0
	.amdhsa_kernel _Z39paged_attention_ll4mi_QKV_mfma16_kernelIDF16_hLN4vllm18Fp8KVCacheDataTypeE1EDF16_Li16ELi128ELi256ELb0ELi5EL8MFMAType0EEvPKT_PKT0_S8_ifPKiSA_SA_iPKfiiiPfSD_PS3_PT2_iSC_SC_
		.amdhsa_group_segment_fixed_size 17472
		.amdhsa_private_segment_fixed_size 0
		.amdhsa_kernarg_size 400
		.amdhsa_user_sgpr_count 13
		.amdhsa_user_sgpr_dispatch_ptr 0
		.amdhsa_user_sgpr_queue_ptr 0
		.amdhsa_user_sgpr_kernarg_segment_ptr 1
		.amdhsa_user_sgpr_dispatch_id 0
		.amdhsa_user_sgpr_private_segment_size 0
		.amdhsa_wavefront_size32 1
		.amdhsa_uses_dynamic_stack 0
		.amdhsa_enable_private_segment 0
		.amdhsa_system_sgpr_workgroup_id_x 1
		.amdhsa_system_sgpr_workgroup_id_y 1
		.amdhsa_system_sgpr_workgroup_id_z 1
		.amdhsa_system_sgpr_workgroup_info 0
		.amdhsa_system_vgpr_workitem_id 0
		.amdhsa_next_free_vgpr 150
		.amdhsa_next_free_sgpr 36
		.amdhsa_reserve_vcc 1
		.amdhsa_float_round_mode_32 0
		.amdhsa_float_round_mode_16_64 0
		.amdhsa_float_denorm_mode_32 3
		.amdhsa_float_denorm_mode_16_64 3
		.amdhsa_dx10_clamp 1
		.amdhsa_ieee_mode 1
		.amdhsa_fp16_overflow 0
		.amdhsa_workgroup_processor_mode 1
		.amdhsa_memory_ordered 1
		.amdhsa_forward_progress 0
		.amdhsa_shared_vgpr_count 0
		.amdhsa_exception_fp_ieee_invalid_op 0
		.amdhsa_exception_fp_denorm_src 0
		.amdhsa_exception_fp_ieee_div_zero 0
		.amdhsa_exception_fp_ieee_overflow 0
		.amdhsa_exception_fp_ieee_underflow 0
		.amdhsa_exception_fp_ieee_inexact 0
		.amdhsa_exception_int_div_zero 0
	.end_amdhsa_kernel
	.section	.text._Z39paged_attention_ll4mi_QKV_mfma16_kernelIDF16_hLN4vllm18Fp8KVCacheDataTypeE1EDF16_Li16ELi128ELi256ELb0ELi5EL8MFMAType0EEvPKT_PKT0_S8_ifPKiSA_SA_iPKfiiiPfSD_PS3_PT2_iSC_SC_,"axG",@progbits,_Z39paged_attention_ll4mi_QKV_mfma16_kernelIDF16_hLN4vllm18Fp8KVCacheDataTypeE1EDF16_Li16ELi128ELi256ELb0ELi5EL8MFMAType0EEvPKT_PKT0_S8_ifPKiSA_SA_iPKfiiiPfSD_PS3_PT2_iSC_SC_,comdat
.Lfunc_end1266:
	.size	_Z39paged_attention_ll4mi_QKV_mfma16_kernelIDF16_hLN4vllm18Fp8KVCacheDataTypeE1EDF16_Li16ELi128ELi256ELb0ELi5EL8MFMAType0EEvPKT_PKT0_S8_ifPKiSA_SA_iPKfiiiPfSD_PS3_PT2_iSC_SC_, .Lfunc_end1266-_Z39paged_attention_ll4mi_QKV_mfma16_kernelIDF16_hLN4vllm18Fp8KVCacheDataTypeE1EDF16_Li16ELi128ELi256ELb0ELi5EL8MFMAType0EEvPKT_PKT0_S8_ifPKiSA_SA_iPKfiiiPfSD_PS3_PT2_iSC_SC_
                                        ; -- End function
	.section	.AMDGPU.csdata,"",@progbits
; Kernel info:
; codeLenInByte = 6644
; NumSgprs: 38
; NumVgprs: 150
; ScratchSize: 0
; MemoryBound: 0
; FloatMode: 240
; IeeeMode: 1
; LDSByteSize: 17472 bytes/workgroup (compile time only)
; SGPRBlocks: 4
; VGPRBlocks: 18
; NumSGPRsForWavesPerEU: 38
; NumVGPRsForWavesPerEU: 150
; Occupancy: 9
; WaveLimiterHint : 1
; COMPUTE_PGM_RSRC2:SCRATCH_EN: 0
; COMPUTE_PGM_RSRC2:USER_SGPR: 13
; COMPUTE_PGM_RSRC2:TRAP_HANDLER: 0
; COMPUTE_PGM_RSRC2:TGID_X_EN: 1
; COMPUTE_PGM_RSRC2:TGID_Y_EN: 1
; COMPUTE_PGM_RSRC2:TGID_Z_EN: 1
; COMPUTE_PGM_RSRC2:TIDIG_COMP_CNT: 0
	.section	.text._Z39paged_attention_ll4mi_QKV_mfma16_kernelIDF16_hLN4vllm18Fp8KVCacheDataTypeE1EDF16_Li16ELi128ELi256ELb0ELi6EL8MFMAType0EEvPKT_PKT0_S8_ifPKiSA_SA_iPKfiiiPfSD_PS3_PT2_iSC_SC_,"axG",@progbits,_Z39paged_attention_ll4mi_QKV_mfma16_kernelIDF16_hLN4vllm18Fp8KVCacheDataTypeE1EDF16_Li16ELi128ELi256ELb0ELi6EL8MFMAType0EEvPKT_PKT0_S8_ifPKiSA_SA_iPKfiiiPfSD_PS3_PT2_iSC_SC_,comdat
	.protected	_Z39paged_attention_ll4mi_QKV_mfma16_kernelIDF16_hLN4vllm18Fp8KVCacheDataTypeE1EDF16_Li16ELi128ELi256ELb0ELi6EL8MFMAType0EEvPKT_PKT0_S8_ifPKiSA_SA_iPKfiiiPfSD_PS3_PT2_iSC_SC_ ; -- Begin function _Z39paged_attention_ll4mi_QKV_mfma16_kernelIDF16_hLN4vllm18Fp8KVCacheDataTypeE1EDF16_Li16ELi128ELi256ELb0ELi6EL8MFMAType0EEvPKT_PKT0_S8_ifPKiSA_SA_iPKfiiiPfSD_PS3_PT2_iSC_SC_
	.globl	_Z39paged_attention_ll4mi_QKV_mfma16_kernelIDF16_hLN4vllm18Fp8KVCacheDataTypeE1EDF16_Li16ELi128ELi256ELb0ELi6EL8MFMAType0EEvPKT_PKT0_S8_ifPKiSA_SA_iPKfiiiPfSD_PS3_PT2_iSC_SC_
	.p2align	8
	.type	_Z39paged_attention_ll4mi_QKV_mfma16_kernelIDF16_hLN4vllm18Fp8KVCacheDataTypeE1EDF16_Li16ELi128ELi256ELb0ELi6EL8MFMAType0EEvPKT_PKT0_S8_ifPKiSA_SA_iPKfiiiPfSD_PS3_PT2_iSC_SC_,@function
_Z39paged_attention_ll4mi_QKV_mfma16_kernelIDF16_hLN4vllm18Fp8KVCacheDataTypeE1EDF16_Li16ELi128ELi256ELb0ELi6EL8MFMAType0EEvPKT_PKT0_S8_ifPKiSA_SA_iPKfiiiPfSD_PS3_PT2_iSC_SC_: ; @_Z39paged_attention_ll4mi_QKV_mfma16_kernelIDF16_hLN4vllm18Fp8KVCacheDataTypeE1EDF16_Li16ELi128ELi256ELb0ELi6EL8MFMAType0EEvPKT_PKT0_S8_ifPKiSA_SA_iPKfiiiPfSD_PS3_PT2_iSC_SC_
; %bb.0:
	s_load_b64 s[4:5], s[0:1], 0x30
	s_mov_b32 s30, s13
	s_waitcnt lgkmcnt(0)
	s_cmp_lg_u64 s[4:5], 0
	s_cselect_b32 s8, -1, 0
	s_ashr_i32 s31, s13, 31
	s_cmp_eq_u64 s[4:5], 0
	s_cbranch_scc1 .LBB1267_3
; %bb.1:
	s_lshl_b64 s[2:3], s[30:31], 2
	s_delay_alu instid0(SALU_CYCLE_1) | instskip(SKIP_4) | instid1(SALU_CYCLE_1)
	s_add_u32 s2, s4, s2
	s_addc_u32 s3, s5, s3
	s_load_b64 s[2:3], s[2:3], 0x0
	s_waitcnt lgkmcnt(0)
	s_sub_i32 s2, s3, s2
	s_cmp_eq_u32 s2, 1
	s_cselect_b32 s2, -1, 0
	s_delay_alu instid0(SALU_CYCLE_1)
	s_and_not1_b32 vcc_lo, exec_lo, s2
	s_cbranch_vccz .LBB1267_4
.LBB1267_2:
	s_endpgm
.LBB1267_3:
.LBB1267_4:
	s_load_b64 s[2:3], s[0:1], 0x28
	s_lshl_b64 s[6:7], s[30:31], 2
	s_waitcnt lgkmcnt(0)
	s_add_u32 s2, s2, s6
	s_addc_u32 s3, s3, s7
	s_lshl_b32 s12, s14, 8
	s_load_b32 s24, s[2:3], 0x0
	s_waitcnt lgkmcnt(0)
	s_cmp_ge_i32 s12, s24
	s_cbranch_scc1 .LBB1267_2
; %bb.5:
	s_clause 0x1
	s_load_b128 s[20:23], s[0:1], 0x8
	s_load_b64 s[2:3], s[0:1], 0x20
	s_and_not1_b32 vcc_lo, exec_lo, s8
	s_cbranch_vccnz .LBB1267_7
; %bb.6:
	s_add_u32 s4, s4, s6
	s_addc_u32 s5, s5, s7
	s_load_b32 s5, s[4:5], 0x0
	s_branch .LBB1267_8
.LBB1267_7:
	s_mov_b32 s5, s30
.LBB1267_8:
	s_load_b128 s[16:19], s[0:1], 0x48
	v_and_b32_e32 v68, 15, v0
	v_lshrrev_b32_e32 v69, 5, v0
	v_and_b32_e32 v70, 31, v0
	v_and_b32_e32 v67, 1, v0
	v_bfe_u32 v66, v0, 4, 1
	v_lshlrev_b32_e32 v1, 3, v68
	s_mul_i32 s31, s15, 6
	s_mov_b32 s4, exec_lo
	s_delay_alu instid0(VALU_DEP_1)
	v_lshlrev_b32_e32 v65, 1, v1
	v_cmpx_gt_u32_e32 0x60, v0
	s_cbranch_execz .LBB1267_10
; %bb.9:
	s_load_b64 s[6:7], s[0:1], 0x0
	v_lshl_or_b32 v5, v69, 1, v66
	s_waitcnt lgkmcnt(0)
	s_mul_hi_i32 s9, s5, s16
	s_mul_i32 s8, s5, s16
	v_lshlrev_b32_e32 v6, 10, v68
	s_lshl_b64 s[8:9], s[8:9], 1
	v_add_lshl_u32 v1, v5, s31, 7
	v_lshlrev_b32_e32 v5, 6, v5
	v_lshlrev_b32_e32 v7, 10, v67
	v_and_b32_e32 v6, 0x3800, v6
	s_delay_alu instid0(VALU_DEP_4) | instskip(NEXT) | instid1(VALU_DEP_2)
	v_ashrrev_i32_e32 v2, 31, v1
	v_or3_b32 v5, v6, v7, v5
	s_delay_alu instid0(VALU_DEP_2) | instskip(SKIP_2) | instid1(VALU_DEP_1)
	v_lshlrev_b64 v[1:2], 1, v[1:2]
	s_add_u32 s5, s6, s8
	s_addc_u32 s6, s7, s9
	v_add_co_u32 v1, vcc_lo, s5, v1
	s_delay_alu instid0(VALU_DEP_2) | instskip(NEXT) | instid1(VALU_DEP_2)
	v_add_co_ci_u32_e32 v2, vcc_lo, s6, v2, vcc_lo
	v_add_co_u32 v1, vcc_lo, v1, v65
	s_delay_alu instid0(VALU_DEP_2)
	v_add_co_ci_u32_e32 v2, vcc_lo, 0, v2, vcc_lo
	global_load_b128 v[1:4], v[1:2], off
	s_waitcnt vmcnt(0)
	ds_store_b128 v5, v[1:4]
.LBB1267_10:
	s_or_b32 exec_lo, exec_lo, s4
	v_and_b32_e32 v1, 0xef, v0
	s_waitcnt lgkmcnt(0)
	s_add_i32 s5, s24, 15
	s_clause 0x1
	s_load_b32 s4, s[0:1], 0x38
	s_load_b32 s33, s[0:1], 0x98
	s_ashr_i32 s6, s5, 31
	v_add_nc_u32_e32 v1, s12, v1
	s_lshr_b32 s6, s6, 28
	s_load_b32 s19, s[0:1], 0x1c
	s_add_i32 s5, s5, s6
	s_waitcnt lgkmcnt(0)
	v_ashrrev_i32_e32 v2, 31, v1
	v_or_b32_e32 v3, 16, v1
	s_ashr_i32 s13, s5, 4
	v_cmp_gt_i32_e32 vcc_lo, s24, v1
	s_add_i32 s13, s13, -1
	v_lshrrev_b32_e32 v2, 28, v2
	s_barrier
	buffer_gl0_inv
	s_mul_i32 s15, s15, s18
	v_add_nc_u32_e32 v4, v1, v2
	s_mul_i32 s4, s30, s4
	s_delay_alu instid0(SALU_CYCLE_1) | instskip(NEXT) | instid1(VALU_DEP_1)
	s_ashr_i32 s5, s4, 31
	v_ashrrev_i32_e32 v4, 4, v4
	v_add_nc_u32_e32 v2, v3, v2
	s_lshl_b64 s[4:5], s[4:5], 2
	s_delay_alu instid0(SALU_CYCLE_1) | instskip(NEXT) | instid1(VALU_DEP_2)
	s_add_u32 s16, s2, s4
	v_cndmask_b32_e32 v1, s13, v4, vcc_lo
	s_delay_alu instid0(VALU_DEP_2)
	v_ashrrev_i32_e32 v2, 4, v2
	v_cmp_gt_i32_e32 vcc_lo, s24, v3
	s_addc_u32 s25, s3, s5
	s_ashr_i32 s18, s15, 31
	s_add_u32 s26, s20, s15
	s_addc_u32 s27, s21, s18
	v_cndmask_b32_e32 v3, s13, v2, vcc_lo
	v_ashrrev_i32_e32 v2, 31, v1
	s_lshl_b32 s2, s14, 4
	s_delay_alu instid0(SALU_CYCLE_1) | instskip(NEXT) | instid1(VALU_DEP_2)
	s_ashr_i32 s3, s2, 31
	v_ashrrev_i32_e32 v4, 31, v3
	s_delay_alu instid0(VALU_DEP_2) | instskip(SKIP_1) | instid1(SALU_CYCLE_1)
	v_lshlrev_b64 v[1:2], 2, v[1:2]
	s_lshl_b64 s[2:3], s[2:3], 2
	s_add_u32 s2, s16, s2
	s_delay_alu instid0(VALU_DEP_2) | instskip(SKIP_1) | instid1(VALU_DEP_2)
	v_lshlrev_b64 v[3:4], 2, v[3:4]
	s_addc_u32 s3, s25, s3
	v_add_co_u32 v1, vcc_lo, s16, v1
	v_add_co_ci_u32_e32 v2, vcc_lo, s25, v2, vcc_lo
	s_delay_alu instid0(VALU_DEP_3) | instskip(NEXT) | instid1(VALU_DEP_4)
	v_add_co_u32 v3, vcc_lo, s16, v3
	v_add_co_ci_u32_e32 v4, vcc_lo, s25, v4, vcc_lo
	s_clause 0x1
	global_load_b32 v5, v[1:2], off
	global_load_b32 v7, v[3:4], off
	s_or_b32 s4, s12, 32
	v_lshlrev_b32_e32 v1, 4, v0
	s_ashr_i32 s5, s4, 4
	s_cmp_lt_i32 s4, s24
	s_cselect_b32 s4, s5, s13
	s_delay_alu instid0(VALU_DEP_1) | instskip(SKIP_1) | instid1(SALU_CYCLE_1)
	v_and_b32_e32 v1, 0xf0, v1
	s_ashr_i32 s5, s4, 31
	s_lshl_b64 s[4:5], s[4:5], 2
	s_delay_alu instid0(SALU_CYCLE_1)
	s_add_u32 s4, s16, s4
	s_addc_u32 s5, s25, s5
	s_or_b32 s6, s12, 64
	v_add_co_u32 v1, s26, s26, v1
	s_ashr_i32 s7, s6, 4
	s_cmp_lt_i32 s6, s24
	v_add_co_ci_u32_e64 v2, null, s27, 0, s26
	s_cselect_b32 s6, s7, s13
	s_delay_alu instid0(SALU_CYCLE_1) | instskip(NEXT) | instid1(SALU_CYCLE_1)
	s_ashr_i32 s7, s6, 31
	s_lshl_b64 s[6:7], s[6:7], 2
	s_delay_alu instid0(SALU_CYCLE_1) | instskip(SKIP_2) | instid1(SALU_CYCLE_1)
	s_add_u32 s6, s16, s6
	s_addc_u32 s7, s25, s7
	s_or_b32 s8, s12, 0x60
	s_ashr_i32 s9, s8, 4
	s_cmp_lt_i32 s8, s24
	s_cselect_b32 s8, s9, s13
	s_delay_alu instid0(SALU_CYCLE_1) | instskip(NEXT) | instid1(SALU_CYCLE_1)
	s_ashr_i32 s9, s8, 31
	s_lshl_b64 s[8:9], s[8:9], 2
	s_delay_alu instid0(SALU_CYCLE_1) | instskip(SKIP_2) | instid1(SALU_CYCLE_1)
	s_add_u32 s8, s16, s8
	s_addc_u32 s9, s25, s9
	s_or_b32 s10, s12, 0x80
	s_ashr_i32 s11, s10, 4
	s_cmp_lt_i32 s10, s24
	s_cselect_b32 s10, s11, s13
	s_delay_alu instid0(SALU_CYCLE_1) | instskip(NEXT) | instid1(SALU_CYCLE_1)
	s_ashr_i32 s11, s10, 31
	s_lshl_b64 s[10:11], s[10:11], 2
	s_delay_alu instid0(SALU_CYCLE_1) | instskip(SKIP_2) | instid1(SALU_CYCLE_1)
	s_add_u32 s10, s16, s10
	s_addc_u32 s11, s25, s11
	s_or_b32 s20, s12, 0xa0
	s_ashr_i32 s21, s20, 4
	s_cmp_lt_i32 s20, s24
	s_cselect_b32 s20, s21, s13
	s_delay_alu instid0(SALU_CYCLE_1) | instskip(NEXT) | instid1(SALU_CYCLE_1)
	s_ashr_i32 s21, s20, 31
	s_lshl_b64 s[20:21], s[20:21], 2
	s_delay_alu instid0(SALU_CYCLE_1)
	s_add_u32 s20, s16, s20
	s_addc_u32 s21, s25, s21
	s_clause 0x5
	s_load_b32 s26, s[2:3], 0x0
	s_load_b32 s27, s[4:5], 0x0
	;; [unrolled: 1-line block ×6, first 2 shown]
	s_or_b32 s2, s12, 0xc0
	s_mov_b32 s4, 0
	s_ashr_i32 s3, s2, 4
	s_cmp_lt_i32 s2, s24
	s_mov_b32 s11, s4
	s_cselect_b32 s2, s3, s13
	s_mov_b32 s5, s4
	s_ashr_i32 s3, s2, 31
	s_mov_b32 s6, s4
	s_lshl_b64 s[2:3], s[2:3], 2
	s_mov_b32 s7, s4
	s_add_u32 s2, s16, s2
	s_addc_u32 s3, s25, s3
	s_or_b32 s20, s12, 0xe0
	s_mov_b32 s8, s4
	s_ashr_i32 s21, s20, 4
	s_cmp_lt_i32 s20, s24
	s_mov_b32 s9, s4
	s_cselect_b32 s20, s21, s13
	s_mov_b32 s10, s4
	s_ashr_i32 s21, s20, 31
	v_mov_b32_e32 v118, s11
	v_dual_mov_b32 v112, s5 :: v_dual_mov_b32 v117, s10
	v_dual_mov_b32 v116, s9 :: v_dual_mov_b32 v115, s8
	;; [unrolled: 1-line block ×3, first 2 shown]
	v_mov_b32_e32 v111, s4
	s_lshl_b64 s[4:5], s[20:21], 2
	s_delay_alu instid0(SALU_CYCLE_1)
	s_add_u32 s4, s16, s4
	s_addc_u32 s5, s25, s5
	s_add_u32 s6, s22, s15
	s_addc_u32 s7, s23, s18
	s_waitcnt vmcnt(1)
	v_mad_i64_i32 v[3:4], null, v5, s17, v[1:2]
	s_waitcnt vmcnt(0)
	v_mad_i64_i32 v[5:6], null, v7, s17, v[1:2]
	v_mul_lo_u16 v1, v68, 43
	v_lshlrev_b32_e32 v2, 4, v68
	s_clause 0xf
	global_load_b128 v[17:20], v[3:4], off
	global_load_b128 v[21:24], v[3:4], off offset:256
	global_load_b128 v[25:28], v[5:6], off
	global_load_b128 v[29:32], v[5:6], off offset:256
	global_load_b128 v[57:60], v[3:4], off offset:512
	global_load_b128 v[61:64], v[3:4], off offset:768
	global_load_b128 v[71:74], v[5:6], off offset:512
	global_load_b128 v[75:78], v[5:6], off offset:768
	global_load_b128 v[79:82], v[3:4], off offset:1024
	global_load_b128 v[83:86], v[3:4], off offset:1280
	global_load_b128 v[87:90], v[5:6], off offset:1024
	global_load_b128 v[91:94], v[5:6], off offset:1280
	global_load_b128 v[95:98], v[3:4], off offset:1536
	global_load_b128 v[99:102], v[3:4], off offset:1792
	global_load_b128 v[103:106], v[5:6], off offset:1536
	global_load_b128 v[107:110], v[5:6], off offset:1792
	v_lshrrev_b16 v1, 8, v1
	s_delay_alu instid0(VALU_DEP_1) | instskip(NEXT) | instid1(VALU_DEP_1)
	v_mul_lo_u16 v1, v1, 6
	v_sub_nc_u16 v1, v68, v1
	s_delay_alu instid0(VALU_DEP_1) | instskip(NEXT) | instid1(VALU_DEP_1)
	v_and_b32_e32 v1, 0xff, v1
	v_lshlrev_b32_e32 v149, 6, v1
	v_lshl_or_b32 v1, v69, 8, v2
	ds_load_b128 v[119:122], v149
	ds_load_b128 v[123:126], v149 offset:1024
	ds_load_b128 v[127:130], v149 offset:2048
	;; [unrolled: 1-line block ×3, first 2 shown]
	s_clause 0x1
	s_load_b32 s2, s[2:3], 0x0
	s_load_b32 s3, s[4:5], 0x0
	v_add_co_u32 v135, s6, s6, v1
	s_delay_alu instid0(VALU_DEP_1) | instskip(SKIP_1) | instid1(VALU_DEP_1)
	v_add_co_ci_u32_e64 v136, null, s7, 0, s6
	s_waitcnt lgkmcnt(0)
	v_mad_i64_i32 v[1:2], null, s26, s17, v[135:136]
	v_mad_i64_i32 v[3:4], null, s27, s17, v[135:136]
	v_mad_i64_i32 v[5:6], null, s28, s17, v[135:136]
	v_mad_i64_i32 v[7:8], null, s29, s17, v[135:136]
	v_mad_i64_i32 v[143:144], null, s35, s17, v[135:136]
	v_mad_i64_i32 v[13:14], null, s34, s17, v[135:136]
	s_clause 0x9
	global_load_b128 v[49:52], v[1:2], off
	global_load_b128 v[53:56], v[1:2], off offset:16
	global_load_b128 v[41:44], v[3:4], off
	global_load_b128 v[45:48], v[3:4], off offset:16
	;; [unrolled: 2-line block ×5, first 2 shown]
	v_mad_i64_i32 v[145:146], null, s2, s17, v[135:136]
	v_mad_i64_i32 v[147:148], null, s3, s17, v[135:136]
	s_waitcnt vmcnt(24)
	v_wmma_f32_16x16x16_f16 v[135:142], v[17:24], v[119:126], v[111:118]
	s_waitcnt vmcnt(22)
	v_wmma_f32_16x16x16_f16 v[111:118], v[25:32], v[119:126], v[111:118]
	s_clause 0x3
	global_load_b128 v[17:20], v[143:144], off
	global_load_b128 v[21:24], v[143:144], off offset:16
	global_load_b128 v[25:28], v[145:146], off
	global_load_b128 v[29:32], v[145:146], off offset:16
	v_and_b32_e32 v119, 0xe0, v0
	s_waitcnt vmcnt(24)
	v_wmma_f32_16x16x16_f16 v[135:142], v[57:64], v[127:134], v[135:142]
	s_clause 0x1
	global_load_b128 v[57:60], v[147:148], off
	global_load_b128 v[61:64], v[147:148], off offset:16
	s_waitcnt vmcnt(24)
	v_wmma_f32_16x16x16_f16 v[111:118], v[71:78], v[127:134], v[111:118]
	ds_load_b128 v[71:74], v149 offset:4096
	ds_load_b128 v[75:78], v149 offset:5120
	v_add_nc_u32_e32 v128, s12, v119
	ds_load_b128 v[119:122], v149 offset:6144
	ds_load_b128 v[123:126], v149 offset:7168
	v_mbcnt_lo_u32_b32 v127, -1, 0
	s_waitcnt vmcnt(0) lgkmcnt(0)
	s_barrier
	v_or_b32_e32 v128, v128, v66
	buffer_gl0_inv
	v_xor_b32_e32 v129, 16, v127
	v_or_b32_e32 v130, 4, v128
	v_or_b32_e32 v131, 6, v128
	s_delay_alu instid0(VALU_DEP_3) | instskip(SKIP_4) | instid1(VALU_DEP_4)
	v_cmp_gt_i32_e32 vcc_lo, 32, v129
	v_or_b32_e32 v132, 8, v128
	v_or_b32_e32 v133, 10, v128
	v_cmp_gt_i32_e64 s3, s24, v130
	v_cmp_gt_i32_e64 s4, s24, v131
	;; [unrolled: 1-line block ×3, first 2 shown]
	v_wmma_f32_16x16x16_f16 v[135:142], v[79:86], v[71:78], v[135:142]
	v_wmma_f32_16x16x16_f16 v[111:118], v[87:94], v[71:78], v[111:118]
	v_or_b32_e32 v79, 12, v128
	v_or_b32_e32 v80, 14, v128
	v_cmp_gt_i32_e64 s6, s24, v133
	v_wmma_f32_16x16x16_f16 v[135:142], v[95:102], v[119:126], v[135:142]
	v_wmma_f32_16x16x16_f16 v[111:118], v[103:110], v[119:126], v[111:118]
	v_cndmask_b32_e32 v127, v127, v129, vcc_lo
	v_or_b32_e32 v129, 2, v128
	v_cmp_gt_i32_e32 vcc_lo, s24, v128
	s_delay_alu instid0(VALU_DEP_4) | instskip(SKIP_1) | instid1(VALU_DEP_4)
	v_dual_mul_f32 v87, s19, v136 :: v_dual_mul_f32 v94, s19, v113
	v_mul_f32_e32 v88, s19, v135
	v_cmp_gt_i32_e64 s2, s24, v129
	v_mul_f32_e32 v78, s19, v138
	v_mul_f32_e32 v86, s19, v137
	;; [unrolled: 1-line block ×3, first 2 shown]
	v_cndmask_b32_e32 v88, 0xff7fffff, v88, vcc_lo
	v_cndmask_b32_e64 v87, 0xff7fffff, v87, s2
	v_dual_mul_f32 v77, s19, v139 :: v_dual_mul_f32 v90, s19, v117
	v_cndmask_b32_e64 v86, 0xff7fffff, v86, s3
	v_cndmask_b32_e64 v78, 0xff7fffff, v78, s4
	s_delay_alu instid0(VALU_DEP_4)
	v_max3_f32 v87, v88, 0xff7fffff, v87
	v_or_b32_e32 v81, 16, v128
	v_or_b32_e32 v82, 18, v128
	v_dual_mul_f32 v74, s19, v142 :: v_dual_mul_f32 v75, s19, v141
	v_mul_f32_e32 v96, s19, v111
	v_cndmask_b32_e64 v77, 0xff7fffff, v77, s5
	v_cndmask_b32_e64 v76, 0xff7fffff, v76, s6
	v_max3_f32 v78, v87, v86, v78
	v_cmp_gt_i32_e64 s7, s24, v79
	v_cmp_gt_i32_e64 s8, s24, v80
	v_or_b32_e32 v83, 20, v128
	v_or_b32_e32 v84, 22, v128
	v_mul_f32_e32 v95, s19, v112
	v_cndmask_b32_e64 v75, 0xff7fffff, v75, s7
	v_cndmask_b32_e64 v74, 0xff7fffff, v74, s8
	v_max3_f32 v76, v78, v77, v76
	v_cmp_gt_i32_e64 s9, s24, v81
	v_cmp_gt_i32_e64 s10, s24, v82
	v_or_b32_e32 v85, 24, v128
	v_or_b32_e32 v71, 26, v128
	;; [unrolled: 8-line block ×3, first 2 shown]
	v_dual_mul_f32 v91, s19, v116 :: v_dual_mul_f32 v92, s19, v115
	v_cndmask_b32_e64 v75, 0xff7fffff, v94, s11
	v_cndmask_b32_e64 v76, 0xff7fffff, v93, s12
	v_max3_f32 v74, v74, v77, v78
	v_cmp_gt_i32_e64 s13, s24, v85
	v_cmp_gt_i32_e64 s15, s24, v71
	v_mul_f32_e32 v89, s19, v118
	v_cmp_gt_i32_e64 s16, s24, v72
	v_max3_f32 v74, v74, v75, v76
	v_cndmask_b32_e64 v77, 0xff7fffff, v92, s13
	v_cndmask_b32_e64 v71, 0xff7fffff, v91, s15
	v_cmp_gt_i32_e64 s17, s24, v73
	v_cndmask_b32_e64 v72, 0xff7fffff, v90, s16
	s_delay_alu instid0(VALU_DEP_3) | instskip(SKIP_1) | instid1(VALU_DEP_4)
	v_max3_f32 v71, v74, v77, v71
	v_lshlrev_b32_e32 v74, 2, v127
	v_cndmask_b32_e64 v73, 0xff7fffff, v89, s17
	s_delay_alu instid0(VALU_DEP_1) | instskip(SKIP_3) | instid1(VALU_DEP_1)
	v_max3_f32 v71, v71, v72, v73
	ds_bpermute_b32 v72, v74, v71
	s_waitcnt lgkmcnt(0)
	v_max_f32_e32 v72, v72, v72
	v_max_f32_e32 v71, v71, v72
	s_delay_alu instid0(VALU_DEP_1) | instskip(SKIP_4) | instid1(VALU_DEP_4)
	v_fma_f32 v72, s19, v135, -v71
	v_fma_f32 v73, s19, v136, -v71
	;; [unrolled: 1-line block ×5, first 2 shown]
	v_dual_mul_f32 v72, 0x3fb8aa3b, v72 :: v_dual_mul_f32 v73, 0x3fb8aa3b, v73
	s_delay_alu instid0(VALU_DEP_3) | instskip(SKIP_1) | instid1(VALU_DEP_3)
	v_dual_mul_f32 v75, 0x3fb8aa3b, v75 :: v_dual_mul_f32 v76, 0x3fb8aa3b, v76
	v_fma_f32 v80, s19, v141, -v71
	v_exp_f32_e32 v72, v72
	s_delay_alu instid0(VALU_DEP_3) | instskip(NEXT) | instid1(VALU_DEP_2)
	v_exp_f32_e32 v73, v73
	v_exp_f32_e32 v75, v75
	;; [unrolled: 1-line block ×3, first 2 shown]
	v_mul_f32_e32 v82, 0x3fb8aa3b, v80
	s_delay_alu instid0(VALU_DEP_1) | instskip(SKIP_4) | instid1(TRANS32_DEP_3)
	v_exp_f32_e32 v84, v82
	v_cndmask_b32_e32 v79, 0, v72, vcc_lo
	v_fma_f32 v72, s19, v140, -v71
	v_mul_f32_e32 v77, 0x3fb8aa3b, v77
	v_cndmask_b32_e64 v78, 0, v73, s2
	v_cndmask_b32_e64 v81, 0, v75, s3
	s_delay_alu instid0(VALU_DEP_4) | instskip(NEXT) | instid1(VALU_DEP_4)
	v_dual_add_f32 v73, 0, v79 :: v_dual_mul_f32 v72, 0x3fb8aa3b, v72
	v_exp_f32_e32 v77, v77
	v_cndmask_b32_e64 v80, 0, v76, s4
	s_delay_alu instid0(TRANS32_DEP_2) | instskip(NEXT) | instid1(VALU_DEP_3)
	v_cndmask_b32_e64 v85, 0, v84, s7
	v_add_f32_e32 v73, v73, v78
	v_exp_f32_e32 v72, v72
	s_mov_b32 s2, exec_lo
	s_delay_alu instid0(VALU_DEP_1) | instskip(SKIP_4) | instid1(VALU_DEP_2)
	v_add_f32_e32 v73, v73, v81
	s_waitcnt_depctr 0xfff
	v_cndmask_b32_e64 v83, 0, v77, s5
	v_add_f32_e32 v73, v73, v80
	v_cndmask_b32_e64 v82, 0, v72, s6
	v_add_f32_e32 v72, v73, v83
	s_delay_alu instid0(VALU_DEP_1) | instskip(NEXT) | instid1(VALU_DEP_1)
	v_add_f32_e32 v72, v72, v82
	v_add_f32_e32 v72, v72, v85
	v_fma_f32 v76, s19, v111, -v71
	v_fma_f32 v75, s19, v142, -v71
	;; [unrolled: 1-line block ×5, first 2 shown]
	s_delay_alu instid0(VALU_DEP_4) | instskip(NEXT) | instid1(VALU_DEP_3)
	v_dual_mul_f32 v76, 0x3fb8aa3b, v76 :: v_dual_mul_f32 v75, 0x3fb8aa3b, v75
	v_mul_f32_e32 v86, 0x3fb8aa3b, v86
	s_delay_alu instid0(VALU_DEP_2) | instskip(NEXT) | instid1(VALU_DEP_2)
	v_exp_f32_e32 v76, v76
	v_exp_f32_e32 v75, v75
	s_delay_alu instid0(VALU_DEP_1) | instskip(NEXT) | instid1(TRANS32_DEP_3)
	v_exp_f32_e32 v88, v86
	v_cndmask_b32_e64 v87, 0, v76, s9
	v_fma_f32 v76, s19, v116, -v71
	v_mul_f32_e32 v77, 0x3fb8aa3b, v77
	s_waitcnt_depctr 0xfff
	v_cndmask_b32_e64 v84, 0, v75, s8
	v_fma_f32 v75, s19, v115, -v71
	v_cndmask_b32_e64 v88, 0, v88, s12
	v_mul_f32_e32 v76, 0x3fb8aa3b, v76
	v_exp_f32_e32 v77, v77
	v_add_f32_e32 v72, v72, v84
	s_delay_alu instid0(VALU_DEP_2) | instskip(NEXT) | instid1(VALU_DEP_1)
	v_exp_f32_e32 v76, v76
	v_add_f32_e32 v72, v72, v87
	s_waitcnt_depctr 0xfff
	v_cndmask_b32_e64 v86, 0, v77, s10
	v_mul_f32_e32 v73, 0x3fb8aa3b, v73
	v_fma_f32 v77, s19, v117, -v71
	v_cndmask_b32_e64 v90, 0, v76, s15
	s_delay_alu instid0(VALU_DEP_4) | instskip(NEXT) | instid1(VALU_DEP_4)
	v_add_f32_e32 v72, v72, v86
	v_exp_f32_e32 v73, v73
	s_waitcnt_depctr 0xfff
	v_cndmask_b32_e64 v89, 0, v73, s11
	s_delay_alu instid0(VALU_DEP_1) | instskip(NEXT) | instid1(VALU_DEP_1)
	v_dual_mul_f32 v75, 0x3fb8aa3b, v75 :: v_dual_add_f32 v72, v72, v89
	v_exp_f32_e32 v75, v75
	v_mul_f32_e32 v73, 0x3fb8aa3b, v77
	v_fma_f32 v77, s19, v118, -v71
	s_delay_alu instid0(VALU_DEP_3) | instskip(NEXT) | instid1(VALU_DEP_3)
	v_add_f32_e32 v72, v72, v88
	v_exp_f32_e32 v73, v73
	s_waitcnt_depctr 0xfff
	v_cndmask_b32_e64 v91, 0, v75, s13
	s_delay_alu instid0(VALU_DEP_1) | instskip(NEXT) | instid1(VALU_DEP_1)
	v_dual_mul_f32 v75, 0x3fb8aa3b, v77 :: v_dual_add_f32 v72, v72, v91
	v_exp_f32_e32 v75, v75
	v_cndmask_b32_e64 v93, 0, v73, s16
	s_delay_alu instid0(VALU_DEP_2) | instskip(NEXT) | instid1(VALU_DEP_1)
	v_add_f32_e32 v72, v72, v90
	v_add_f32_e32 v72, v72, v93
	s_waitcnt_depctr 0xfff
	v_cndmask_b32_e64 v92, 0, v75, s17
	s_delay_alu instid0(VALU_DEP_1)
	v_add_f32_e32 v72, v72, v92
	ds_bpermute_b32 v73, v74, v72
	v_cmpx_gt_u32_e32 16, v70
	s_cbranch_execz .LBB1267_12
; %bb.11:
	v_mul_u32_u24_e32 v70, 0x44, v69
	s_waitcnt lgkmcnt(0)
	v_add_f32_e32 v72, v72, v73
	s_delay_alu instid0(VALU_DEP_2) | instskip(NEXT) | instid1(VALU_DEP_1)
	v_lshl_add_u32 v70, v68, 2, v70
	v_add_nc_u32_e32 v70, 0x4000, v70
	ds_store_2addr_b32 v70, v71, v72 offset1:136
.LBB1267_12:
	s_or_b32 exec_lo, exec_lo, s2
	v_lshlrev_b32_e32 v70, 2, v68
	s_load_b32 s34, s[0:1], 0x94
	s_waitcnt lgkmcnt(0)
	s_barrier
	buffer_gl0_inv
	v_add_nc_u32_e32 v98, 0x4000, v70
	v_cmp_eq_u32_e32 vcc_lo, 1, v69
	v_cmp_eq_u32_e64 s2, 2, v69
	v_cmp_eq_u32_e64 s3, 3, v69
	;; [unrolled: 1-line block ×3, first 2 shown]
	ds_load_2addr_b32 v[70:71], v98 offset1:17
	ds_load_2addr_b32 v[72:73], v98 offset0:34 offset1:51
	ds_load_2addr_b32 v[74:75], v98 offset0:68 offset1:85
	;; [unrolled: 1-line block ×3, first 2 shown]
	v_cmp_eq_u32_e64 s5, 5, v69
	v_cmp_eq_u32_e64 s6, 7, v69
	s_waitcnt lgkmcnt(3)
	v_max3_f32 v76, v70, 0xff7fffff, v71
	s_waitcnt lgkmcnt(2)
	s_delay_alu instid0(VALU_DEP_1) | instskip(SKIP_1) | instid1(VALU_DEP_1)
	v_max3_f32 v76, v76, v72, v73
	s_waitcnt lgkmcnt(1)
	v_max3_f32 v76, v76, v74, v75
	s_waitcnt lgkmcnt(0)
	s_delay_alu instid0(VALU_DEP_1) | instskip(NEXT) | instid1(VALU_DEP_1)
	v_max3_f32 v76, v76, v94, v95
	v_sub_f32_e32 v77, v71, v76
	ds_load_2addr_b32 v[96:97], v98 offset0:136 offset1:153
	v_sub_f32_e32 v74, v74, v76
	v_sub_f32_e32 v70, v70, v76
	;; [unrolled: 1-line block ×3, first 2 shown]
	v_dual_sub_f32 v72, v72, v76 :: v_dual_mul_f32 v77, 0x3fb8aa3b, v77
	s_delay_alu instid0(VALU_DEP_4) | instskip(NEXT) | instid1(VALU_DEP_4)
	v_mul_f32_e32 v103, 0x3fb8aa3b, v74
	v_mul_f32_e32 v99, 0x3fb8aa3b, v70
	ds_load_2addr_b32 v[70:71], v98 offset0:170 offset1:187
	v_dual_mul_f32 v101, 0x3fb8aa3b, v72 :: v_dual_mul_f32 v94, 0x3fb8aa3b, v94
	v_exp_f32_e32 v102, v77
	v_exp_f32_e32 v99, v99
	s_delay_alu instid0(VALU_DEP_1) | instskip(NEXT) | instid1(VALU_DEP_1)
	v_exp_f32_e32 v101, v101
	v_exp_f32_e32 v94, v94
	s_waitcnt lgkmcnt(1)
	s_delay_alu instid0(TRANS32_DEP_3)
	v_fma_f32 v77, v99, v96, 0
	v_sub_f32_e32 v100, v73, v76
	ds_load_2addr_b32 v[72:73], v98 offset0:204 offset1:221
	v_fmac_f32_e32 v77, v102, v97
	v_exp_f32_e32 v97, v103
	s_waitcnt lgkmcnt(1)
	s_delay_alu instid0(VALU_DEP_1)
	v_dual_fmac_f32 v77, v101, v70 :: v_dual_sub_f32 v96, v75, v76
	ds_load_2addr_b32 v[74:75], v98 offset0:238 offset1:255
	v_sub_f32_e32 v70, v95, v76
	s_waitcnt lgkmcnt(0)
	s_barrier
	v_mul_f32_e32 v96, 0x3fb8aa3b, v96
	buffer_gl0_inv
	v_exp_f32_e32 v95, v96
	v_mul_f32_e32 v100, 0x3fb8aa3b, v100
	s_delay_alu instid0(VALU_DEP_1) | instskip(SKIP_3) | instid1(VALU_DEP_2)
	v_exp_f32_e32 v100, v100
	s_waitcnt_depctr 0xfff
	v_dual_fmac_f32 v77, v100, v71 :: v_dual_mul_f32 v70, 0x3fb8aa3b, v70
	v_cndmask_b32_e32 v71, v99, v102, vcc_lo
	v_fmac_f32_e32 v77, v97, v72
	s_delay_alu instid0(VALU_DEP_3) | instskip(NEXT) | instid1(VALU_DEP_1)
	v_exp_f32_e32 v96, v70
	v_fmac_f32_e32 v77, v95, v73
	s_delay_alu instid0(VALU_DEP_1) | instskip(SKIP_2) | instid1(VALU_DEP_1)
	v_fmac_f32_e32 v77, v94, v74
	s_waitcnt_depctr 0xfff
	v_fmac_f32_e32 v77, v96, v75
	v_add_f32_e32 v74, 0x358637bd, v77
	s_delay_alu instid0(VALU_DEP_1) | instskip(SKIP_1) | instid1(VALU_DEP_2)
	v_div_scale_f32 v98, null, v74, v74, 1.0
	v_div_scale_f32 v99, vcc_lo, 1.0, v74, 1.0
	v_rcp_f32_e32 v103, v98
	s_waitcnt_depctr 0xfff
	v_fma_f32 v70, -v98, v103, 1.0
	s_delay_alu instid0(VALU_DEP_1) | instskip(SKIP_2) | instid1(VALU_DEP_2)
	v_fmac_f32_e32 v103, v70, v103
	v_cndmask_b32_e64 v70, v71, v101, s2
	v_cmp_eq_u32_e64 s2, 6, v69
	v_cndmask_b32_e64 v71, v70, v100, s3
	s_delay_alu instid0(VALU_DEP_4) | instskip(NEXT) | instid1(VALU_DEP_2)
	v_dual_mul_f32 v101, v99, v103 :: v_dual_lshlrev_b32 v70, 2, v66
	v_cndmask_b32_e64 v71, v71, v97, s4
	s_delay_alu instid0(VALU_DEP_2) | instskip(NEXT) | instid1(VALU_DEP_3)
	v_or_b32_e32 v72, 1, v70
	v_fma_f32 v100, -v98, v101, v99
	v_cmp_eq_u32_e64 s3, 1, v70
	v_cmp_eq_u32_e64 s4, 2, v70
	v_cndmask_b32_e64 v95, v71, v95, s5
	v_or_b32_e32 v71, 3, v70
	v_fmac_f32_e32 v101, v100, v103
	v_cmp_eq_u32_e64 s8, 1, v72
	v_cmp_eq_u32_e64 s11, 2, v72
	v_cndmask_b32_e64 v94, v95, v94, s2
	v_cmp_eq_u32_e64 s10, 1, v71
	v_fma_f32 v97, -v98, v101, v99
	v_cmp_eq_u32_e64 s15, 2, v71
	v_cmp_eq_u32_e64 s12, 3, v72
	v_cndmask_b32_e64 v94, v94, v96, s6
	v_cmp_eq_u32_e64 s17, 3, v71
	v_div_fmas_f32 v95, v97, v103, v101
	v_cmp_eq_u32_e32 vcc_lo, 3, v70
	v_cmp_eq_u32_e64 s2, 4, v70
	v_cmp_eq_u32_e64 s18, 4, v72
	;; [unrolled: 1-line block ×3, first 2 shown]
	v_div_fixup_f32 v95, v95, v74, 1.0
	v_lshlrev_b32_e32 v73, 6, v68
	v_cmp_eq_u32_e64 s5, 5, v70
	v_cmp_eq_u32_e64 s19, 5, v72
	;; [unrolled: 1-line block ×3, first 2 shown]
	v_mul_f32_e32 v102, v94, v95
	v_lshl_or_b32 v75, v69, 11, v73
	v_or_b32_e32 v69, 2, v70
	v_cmp_eq_u32_e64 s24, 6, v72
	v_cmp_eq_u32_e64 s26, 6, v71
	v_fma_mixlo_f16 v94, v102, v79, 0
	v_fma_mixlo_f16 v95, v102, v81, 0
	v_fma_mixlo_f16 v96, v102, v83, 0
	v_fma_mixlo_f16 v97, v102, v85, 0
	v_fma_mixlo_f16 v98, v102, v87, 0
	v_fma_mixlo_f16 v99, v102, v89, 0
	v_fma_mixlo_f16 v100, v102, v91, 0
	v_fma_mixlo_f16 v101, v102, v93, 0
	v_lshl_or_b32 v74, v66, 4, v75
	v_fma_mixhi_f16 v94, v102, v78, 0
	v_fma_mixhi_f16 v95, v102, v80, 0
	;; [unrolled: 1-line block ×8, first 2 shown]
	ds_store_b128 v74, v[94:97]
	ds_store_b128 v74, v[98:101] offset:1024
	s_waitcnt lgkmcnt(0)
	s_barrier
	buffer_gl0_inv
	ds_load_b128 v[78:81], v75
	ds_load_b128 v[82:85], v75 offset:16
	ds_load_b128 v[86:89], v75 offset:1024
	ds_load_b128 v[90:93], v75 offset:1040
	v_cmp_eq_u32_e64 s9, 1, v69
	v_cmp_eq_u32_e64 s13, 2, v69
	;; [unrolled: 1-line block ×11, first 2 shown]
	s_waitcnt lgkmcnt(3)
	v_lshrrev_b32_e32 v94, 16, v78
	s_waitcnt lgkmcnt(2)
	v_lshrrev_b32_e32 v98, 16, v82
	;; [unrolled: 2-line block ×4, first 2 shown]
	v_lshrrev_b32_e32 v95, 16, v79
	v_cndmask_b32_e64 v110, v78, v94, s3
	v_cndmask_b32_e64 v111, v82, v98, s3
	;; [unrolled: 1-line block ×8, first 2 shown]
	v_lshrrev_b32_e32 v99, 16, v83
	v_cndmask_b32_e64 v94, v86, v102, s3
	v_cndmask_b32_e64 v98, v90, v106, s3
	;; [unrolled: 1-line block ×15, first 2 shown]
	v_lshrrev_b32_e32 v103, 16, v87
	v_lshrrev_b32_e32 v107, 16, v91
	v_cndmask_b32_e64 v113, v115, v83, s13
	v_cndmask_b32_e64 v82, v94, v87, s4
	;; [unrolled: 1-line block ×7, first 2 shown]
	v_cndmask_b32_e32 v90, v102, v95, vcc_lo
	v_cndmask_b32_e32 v102, v106, v99, vcc_lo
	v_cndmask_b32_e64 v106, v110, v95, s12
	v_cndmask_b32_e64 v110, v111, v99, s12
	;; [unrolled: 1-line block ×4, first 2 shown]
	v_lshrrev_b32_e32 v96, 16, v80
	v_lshrrev_b32_e32 v100, 16, v84
	v_cndmask_b32_e64 v111, v112, v95, s16
	v_cndmask_b32_e64 v112, v113, v99, s16
	v_cndmask_b32_e32 v82, v82, v103, vcc_lo
	v_cndmask_b32_e32 v83, v83, v107, vcc_lo
	v_cndmask_b32_e64 v94, v94, v103, s12
	v_cndmask_b32_e64 v90, v90, v80, s2
	;; [unrolled: 1-line block ×7, first 2 shown]
	v_lshrrev_b32_e32 v104, 16, v88
	v_cndmask_b32_e64 v106, v111, v80, s20
	v_cndmask_b32_e64 v110, v112, v84, s20
	v_cndmask_b32_e64 v80, v82, v88, s2
	v_cndmask_b32_e64 v82, v83, v92, s2
	v_cndmask_b32_e64 v83, v94, v88, s18
	v_cndmask_b32_e64 v84, v90, v96, s5
	v_cndmask_b32_e64 v90, v95, v100, s5
	v_cndmask_b32_e64 v94, v99, v96, s19
	v_cndmask_b32_e64 v95, v102, v100, s19
	v_cndmask_b32_e64 v78, v78, v96, s23
	v_cndmask_b32_e64 v79, v79, v100, s23
	v_lshrrev_b32_e32 v97, 16, v81
	v_lshrrev_b32_e32 v101, 16, v85
	v_cndmask_b32_e64 v99, v106, v96, s22
	v_cndmask_b32_e64 v102, v110, v100, s22
	;; [unrolled: 1-line block ×7, first 2 shown]
	v_lshrrev_b32_e32 v105, 16, v89
	v_cndmask_b32_e64 v80, v80, v104, s5
	v_cndmask_b32_e64 v84, v84, v81, s6
	;; [unrolled: 1-line block ×16, first 2 shown]
	v_perm_b32 v81, v79, v78, 0x5040100
	v_perm_b32 v79, v95, v85, 0x5040100
	v_cndmask_b32_e64 v78, v119, v91, s13
	v_cndmask_b32_e64 v85, v117, v91, s11
	;; [unrolled: 1-line block ×3, first 2 shown]
	v_perm_b32 v80, v94, v90, 0x5040100
	v_cndmask_b32_e64 v90, v98, v103, s16
	v_cndmask_b32_e64 v86, v86, v103, s17
	;; [unrolled: 1-line block ×5, first 2 shown]
	v_lshrrev_b32_e32 v108, 16, v92
	v_cndmask_b32_e64 v90, v90, v88, s20
	v_cndmask_b32_e64 v86, v86, v88, s21
	;; [unrolled: 1-line block ×11, first 2 shown]
	v_lshrrev_b32_e32 v109, 16, v93
	v_cndmask_b32_e64 v82, v82, v93, s6
	v_cndmask_b32_e64 v88, v88, v89, s25
	;; [unrolled: 1-line block ×12, first 2 shown]
	v_perm_b32 v78, v84, v83, 0x5040100
	v_perm_b32 v85, v87, v86, 0x5040100
	;; [unrolled: 1-line block ×5, first 2 shown]
	s_mul_i32 s7, s33, 6
	s_mov_b32 s2, exec_lo
	ds_store_b128 v74, v[78:81]
	ds_store_b128 v74, v[82:85] offset:1024
	v_cmpx_gt_u32_e32 6, v0
	s_cbranch_execz .LBB1267_14
; %bb.13:
	s_mul_i32 s3, s7, s30
	s_load_b128 s[8:11], s[0:1], 0x58
	v_add3_u32 v68, s3, s31, v68
	s_delay_alu instid0(VALU_DEP_1) | instskip(NEXT) | instid1(VALU_DEP_1)
	v_mad_u64_u32 v[78:79], null, v68, s34, s[14:15]
	v_ashrrev_i32_e32 v79, 31, v78
	s_delay_alu instid0(VALU_DEP_1) | instskip(SKIP_1) | instid1(VALU_DEP_1)
	v_lshlrev_b64 v[78:79], 2, v[78:79]
	s_waitcnt lgkmcnt(0)
	v_add_co_u32 v80, vcc_lo, s10, v78
	s_delay_alu instid0(VALU_DEP_2)
	v_add_co_ci_u32_e32 v81, vcc_lo, s11, v79, vcc_lo
	v_add_co_u32 v78, vcc_lo, s8, v78
	v_add_co_ci_u32_e32 v79, vcc_lo, s9, v79, vcc_lo
	global_store_b32 v[80:81], v76, off
	global_store_b32 v[78:79], v77, off
.LBB1267_14:
	s_or_b32 exec_lo, exec_lo, s2
	s_waitcnt lgkmcnt(0)
	s_waitcnt_vscnt null, 0x0
	s_barrier
	buffer_gl0_inv
	ds_load_b128 v[84:87], v73
	ds_load_b128 v[88:91], v73 offset:16
	ds_load_b128 v[96:99], v73 offset:2064
	;; [unrolled: 1-line block ×5, first 2 shown]
	v_cmp_eq_u32_e32 vcc_lo, 1, v70
	v_mov_b32_e32 v76, 0
	ds_load_b128 v[112:115], v73 offset:6160
	ds_load_b128 v[108:111], v73 offset:6144
	;; [unrolled: 1-line block ×4, first 2 shown]
	v_cmp_eq_u32_e64 s3, 1, v69
	v_cmp_eq_u32_e64 s2, 1, v72
	;; [unrolled: 1-line block ×3, first 2 shown]
	v_mov_b32_e32 v77, v76
	v_mov_b32_e32 v78, v76
	;; [unrolled: 1-line block ×7, first 2 shown]
	v_cmp_eq_u32_e64 s5, 3, v72
	v_cmp_eq_u32_e64 s6, 7, v72
	s_waitcnt lgkmcnt(8)
	s_delay_alu instid0(VALU_DEP_3)
	v_wmma_f32_16x16x16_f16 v[76:83], v[49:56], v[84:91], v[76:83]
	ds_load_b128 v[53:56], v73 offset:10256
	ds_load_b128 v[49:52], v73 offset:10240
	s_waitcnt lgkmcnt(8)
	v_wmma_f32_16x16x16_f16 v[76:83], v[41:48], v[92:99], v[76:83]
	ds_load_b128 v[45:48], v73 offset:12304
	ds_load_b128 v[41:44], v73 offset:12288
	s_waitcnt lgkmcnt(8)
	;; [unrolled: 4-line block ×3, first 2 shown]
	s_barrier
	buffer_gl0_inv
	v_wmma_f32_16x16x16_f16 v[76:83], v[1:8], v[108:115], v[76:83]
	s_delay_alu instid0(VALU_DEP_1) | instskip(NEXT) | instid1(VALU_DEP_1)
	v_wmma_f32_16x16x16_f16 v[76:83], v[9:16], v[116:123], v[76:83]
	v_wmma_f32_16x16x16_f16 v[76:83], v[17:24], v[49:56], v[76:83]
	s_delay_alu instid0(VALU_DEP_1) | instskip(NEXT) | instid1(VALU_DEP_1)
	v_wmma_f32_16x16x16_f16 v[76:83], v[25:32], v[41:48], v[76:83]
	v_wmma_f32_16x16x16_f16 v[76:83], v[57:64], v[33:40], v[76:83]
	s_delay_alu instid0(VALU_DEP_1) | instskip(NEXT) | instid1(VALU_DEP_2)
	v_cvt_f16_f32_e32 v1, v76
	v_cvt_f16_f32_e32 v2, v77
	s_delay_alu instid0(VALU_DEP_3) | instskip(NEXT) | instid1(VALU_DEP_4)
	v_cvt_f16_f32_e32 v3, v78
	v_cvt_f16_f32_e32 v4, v79
	;; [unrolled: 1-line block ×6, first 2 shown]
	v_pack_b32_f16 v1, v1, v2
	v_pack_b32_f16 v2, v3, v4
	;; [unrolled: 1-line block ×3, first 2 shown]
	s_delay_alu instid0(VALU_DEP_4)
	v_pack_b32_f16 v4, v7, v8
	ds_store_b128 v74, v[1:4]
	s_waitcnt lgkmcnt(0)
	s_barrier
	buffer_gl0_inv
	ds_load_b128 v[1:4], v75
	ds_load_b128 v[5:8], v75 offset:16
	s_waitcnt lgkmcnt(1)
	v_lshrrev_b32_e32 v9, 16, v1
	s_waitcnt lgkmcnt(0)
	v_lshrrev_b32_e32 v13, 16, v5
	v_lshrrev_b32_e32 v10, 16, v2
	;; [unrolled: 1-line block ×4, first 2 shown]
	v_cndmask_b32_e32 v17, v1, v9, vcc_lo
	v_cndmask_b32_e32 v18, v5, v13, vcc_lo
	v_cndmask_b32_e64 v21, v1, v9, s3
	v_cmp_eq_u32_e32 vcc_lo, 1, v71
	v_cndmask_b32_e64 v22, v5, v13, s3
	v_cmp_eq_u32_e64 s3, 2, v70
	v_cndmask_b32_e64 v19, v1, v9, s2
	v_cndmask_b32_e64 v20, v5, v13, s2
	v_cndmask_b32_e32 v1, v1, v9, vcc_lo
	v_cmp_eq_u32_e64 s2, 2, v71
	v_cndmask_b32_e32 v5, v5, v13, vcc_lo
	v_cndmask_b32_e64 v9, v17, v2, s3
	v_cmp_eq_u32_e32 vcc_lo, 3, v70
	v_cndmask_b32_e64 v13, v18, v6, s3
	v_cmp_eq_u32_e64 s3, 2, v69
	v_cndmask_b32_e64 v17, v19, v2, s4
	v_cndmask_b32_e64 v18, v20, v6, s4
	v_cmp_eq_u32_e64 s4, 3, v69
	v_cndmask_b32_e64 v1, v1, v2, s2
	v_cndmask_b32_e64 v19, v21, v2, s3
	;; [unrolled: 1-line block ×4, first 2 shown]
	v_cndmask_b32_e32 v5, v9, v10, vcc_lo
	v_cndmask_b32_e32 v6, v13, v14, vcc_lo
	v_cmp_eq_u32_e32 vcc_lo, 3, v71
	v_cndmask_b32_e64 v9, v17, v10, s5
	v_cndmask_b32_e64 v13, v18, v14, s5
	;; [unrolled: 1-line block ×3, first 2 shown]
	v_cmp_eq_u32_e64 s3, 4, v70
	v_cndmask_b32_e32 v1, v1, v10, vcc_lo
	v_cndmask_b32_e32 v2, v2, v14, vcc_lo
	v_cmp_eq_u32_e32 vcc_lo, 4, v72
	v_lshrrev_b32_e32 v15, 16, v7
	v_lshrrev_b32_e32 v16, 16, v8
	v_cndmask_b32_e64 v17, v19, v10, s4
	v_cmp_eq_u32_e64 s2, 4, v71
	v_cndmask_b32_e64 v5, v5, v3, s3
	v_cndmask_b32_e64 v6, v6, v7, s3
	v_cndmask_b32_e32 v9, v9, v3, vcc_lo
	v_cmp_eq_u32_e64 s3, 5, v72
	v_cndmask_b32_e32 v10, v13, v7, vcc_lo
	v_cmp_eq_u32_e32 vcc_lo, 4, v69
	v_cmp_eq_u32_e64 s4, 5, v70
	v_cndmask_b32_e64 v2, v2, v7, s2
	v_cndmask_b32_e64 v9, v9, v11, s3
	;; [unrolled: 1-line block ×3, first 2 shown]
	v_cndmask_b32_e32 v13, v17, v3, vcc_lo
	v_cmp_eq_u32_e64 s3, 5, v69
	v_cndmask_b32_e32 v14, v18, v7, vcc_lo
	v_cndmask_b32_e64 v1, v1, v3, s2
	v_cmp_eq_u32_e32 vcc_lo, 5, v71
	v_lshrrev_b32_e32 v12, 16, v4
	v_cndmask_b32_e64 v13, v13, v11, s3
	v_cndmask_b32_e64 v3, v14, v15, s3
	v_cmp_eq_u32_e64 s3, 6, v71
	v_cndmask_b32_e32 v1, v1, v11, vcc_lo
	v_cndmask_b32_e64 v5, v5, v11, s4
	v_cmp_eq_u32_e64 s5, 6, v70
	v_cndmask_b32_e64 v6, v6, v15, s4
	v_cmp_eq_u32_e64 s4, 6, v72
	v_cmp_eq_u32_e64 s2, 6, v69
	v_cndmask_b32_e64 v1, v1, v4, s3
	v_cndmask_b32_e32 v2, v2, v15, vcc_lo
	v_cmp_eq_u32_e32 vcc_lo, 7, v71
	v_cndmask_b32_e64 v5, v5, v4, s5
	v_cndmask_b32_e64 v9, v9, v4, s4
	v_cndmask_b32_e64 v6, v6, v8, s5
	v_cmp_eq_u32_e64 s5, 7, v70
	v_cndmask_b32_e32 v1, v1, v12, vcc_lo
	v_cndmask_b32_e64 v7, v13, v4, s2
	v_cndmask_b32_e64 v3, v3, v8, s2
	v_cndmask_b32_e64 v2, v2, v8, s3
	v_cmp_eq_u32_e64 s2, 7, v69
	v_cndmask_b32_e64 v4, v10, v8, s4
	v_cndmask_b32_e64 v5, v5, v12, s5
	v_cndmask_b32_e64 v9, v9, v12, s6
	v_cndmask_b32_e32 v2, v2, v16, vcc_lo
	v_cndmask_b32_e64 v7, v7, v12, s2
	v_cndmask_b32_e64 v3, v3, v16, s2
	v_cndmask_b32_e64 v8, v4, v16, s6
	v_cndmask_b32_e64 v6, v6, v16, s5
	v_perm_b32 v4, v2, v1, 0x5040100
	s_mov_b32 s2, exec_lo
	v_perm_b32 v3, v3, v7, 0x5040100
	v_perm_b32 v2, v8, v9, 0x5040100
	;; [unrolled: 1-line block ×3, first 2 shown]
	ds_store_b128 v74, v[1:4]
	s_waitcnt lgkmcnt(0)
	s_barrier
	buffer_gl0_inv
	v_cmpx_gt_u32_e32 32, v0
	s_cbranch_execz .LBB1267_2
; %bb.15:
	s_load_b64 s[0:1], s[0:1], 0x68
	s_lshl_b32 s4, s34, 7
	v_or_b32_e32 v3, s31, v66
	s_mul_i32 s2, s4, s30
	v_lshlrev_b32_e32 v0, 10, v0
	s_mul_i32 s2, s2, s7
	v_lshlrev_b32_e32 v1, 4, v67
	s_ashr_i32 s3, s2, 31
	v_mul_lo_u32 v12, v3, s4
	s_lshl_b64 s[2:3], s[2:3], 1
	v_lshlrev_b32_e32 v2, 6, v66
	v_and_b32_e32 v0, 0x3800, v0
	s_delay_alu instid0(VALU_DEP_1) | instskip(NEXT) | instid1(VALU_DEP_4)
	v_or3_b32 v8, v0, v1, v2
	v_ashrrev_i32_e32 v13, 31, v12
	ds_load_b128 v[0:3], v8
	ds_load_b128 v[4:7], v8 offset:128
	ds_load_b128 v[8:11], v8 offset:256
	s_waitcnt lgkmcnt(0)
	s_add_u32 s2, s0, s2
	s_addc_u32 s3, s1, s3
	s_lshl_b32 s0, s14, 7
	s_delay_alu instid0(SALU_CYCLE_1) | instskip(NEXT) | instid1(SALU_CYCLE_1)
	s_ashr_i32 s1, s0, 31
	s_lshl_b64 s[0:1], s[0:1], 1
	s_delay_alu instid0(SALU_CYCLE_1)
	s_add_u32 s0, s2, s0
	s_addc_u32 s1, s3, s1
	s_lshl_b32 s2, s34, 8
	v_add_co_u32 v18, s0, s0, v65
	v_add_nc_u32_e32 v14, s2, v12
	v_lshlrev_b64 v[12:13], 1, v[12:13]
	v_add_co_ci_u32_e64 v19, null, s1, 0, s0
	s_delay_alu instid0(VALU_DEP_3) | instskip(SKIP_1) | instid1(VALU_DEP_4)
	v_add_nc_u32_e32 v16, s2, v14
	v_ashrrev_i32_e32 v15, 31, v14
	v_add_co_u32 v12, vcc_lo, v18, v12
	s_delay_alu instid0(VALU_DEP_4) | instskip(NEXT) | instid1(VALU_DEP_4)
	v_add_co_ci_u32_e32 v13, vcc_lo, v19, v13, vcc_lo
	v_ashrrev_i32_e32 v17, 31, v16
	s_delay_alu instid0(VALU_DEP_4) | instskip(NEXT) | instid1(VALU_DEP_2)
	v_lshlrev_b64 v[14:15], 1, v[14:15]
	v_lshlrev_b64 v[16:17], 1, v[16:17]
	s_delay_alu instid0(VALU_DEP_2) | instskip(NEXT) | instid1(VALU_DEP_3)
	v_add_co_u32 v14, vcc_lo, v18, v14
	v_add_co_ci_u32_e32 v15, vcc_lo, v19, v15, vcc_lo
	s_delay_alu instid0(VALU_DEP_3) | instskip(NEXT) | instid1(VALU_DEP_4)
	v_add_co_u32 v16, vcc_lo, v18, v16
	v_add_co_ci_u32_e32 v17, vcc_lo, v19, v17, vcc_lo
	s_clause 0x2
	global_store_b128 v[12:13], v[0:3], off
	global_store_b128 v[14:15], v[4:7], off
	;; [unrolled: 1-line block ×3, first 2 shown]
	s_nop 0
	s_sendmsg sendmsg(MSG_DEALLOC_VGPRS)
	s_endpgm
	.section	.rodata,"a",@progbits
	.p2align	6, 0x0
	.amdhsa_kernel _Z39paged_attention_ll4mi_QKV_mfma16_kernelIDF16_hLN4vllm18Fp8KVCacheDataTypeE1EDF16_Li16ELi128ELi256ELb0ELi6EL8MFMAType0EEvPKT_PKT0_S8_ifPKiSA_SA_iPKfiiiPfSD_PS3_PT2_iSC_SC_
		.amdhsa_group_segment_fixed_size 17472
		.amdhsa_private_segment_fixed_size 0
		.amdhsa_kernarg_size 400
		.amdhsa_user_sgpr_count 13
		.amdhsa_user_sgpr_dispatch_ptr 0
		.amdhsa_user_sgpr_queue_ptr 0
		.amdhsa_user_sgpr_kernarg_segment_ptr 1
		.amdhsa_user_sgpr_dispatch_id 0
		.amdhsa_user_sgpr_private_segment_size 0
		.amdhsa_wavefront_size32 1
		.amdhsa_uses_dynamic_stack 0
		.amdhsa_enable_private_segment 0
		.amdhsa_system_sgpr_workgroup_id_x 1
		.amdhsa_system_sgpr_workgroup_id_y 1
		.amdhsa_system_sgpr_workgroup_id_z 1
		.amdhsa_system_sgpr_workgroup_info 0
		.amdhsa_system_vgpr_workitem_id 0
		.amdhsa_next_free_vgpr 150
		.amdhsa_next_free_sgpr 36
		.amdhsa_reserve_vcc 1
		.amdhsa_float_round_mode_32 0
		.amdhsa_float_round_mode_16_64 0
		.amdhsa_float_denorm_mode_32 3
		.amdhsa_float_denorm_mode_16_64 3
		.amdhsa_dx10_clamp 1
		.amdhsa_ieee_mode 1
		.amdhsa_fp16_overflow 0
		.amdhsa_workgroup_processor_mode 1
		.amdhsa_memory_ordered 1
		.amdhsa_forward_progress 0
		.amdhsa_shared_vgpr_count 0
		.amdhsa_exception_fp_ieee_invalid_op 0
		.amdhsa_exception_fp_denorm_src 0
		.amdhsa_exception_fp_ieee_div_zero 0
		.amdhsa_exception_fp_ieee_overflow 0
		.amdhsa_exception_fp_ieee_underflow 0
		.amdhsa_exception_fp_ieee_inexact 0
		.amdhsa_exception_int_div_zero 0
	.end_amdhsa_kernel
	.section	.text._Z39paged_attention_ll4mi_QKV_mfma16_kernelIDF16_hLN4vllm18Fp8KVCacheDataTypeE1EDF16_Li16ELi128ELi256ELb0ELi6EL8MFMAType0EEvPKT_PKT0_S8_ifPKiSA_SA_iPKfiiiPfSD_PS3_PT2_iSC_SC_,"axG",@progbits,_Z39paged_attention_ll4mi_QKV_mfma16_kernelIDF16_hLN4vllm18Fp8KVCacheDataTypeE1EDF16_Li16ELi128ELi256ELb0ELi6EL8MFMAType0EEvPKT_PKT0_S8_ifPKiSA_SA_iPKfiiiPfSD_PS3_PT2_iSC_SC_,comdat
.Lfunc_end1267:
	.size	_Z39paged_attention_ll4mi_QKV_mfma16_kernelIDF16_hLN4vllm18Fp8KVCacheDataTypeE1EDF16_Li16ELi128ELi256ELb0ELi6EL8MFMAType0EEvPKT_PKT0_S8_ifPKiSA_SA_iPKfiiiPfSD_PS3_PT2_iSC_SC_, .Lfunc_end1267-_Z39paged_attention_ll4mi_QKV_mfma16_kernelIDF16_hLN4vllm18Fp8KVCacheDataTypeE1EDF16_Li16ELi128ELi256ELb0ELi6EL8MFMAType0EEvPKT_PKT0_S8_ifPKiSA_SA_iPKfiiiPfSD_PS3_PT2_iSC_SC_
                                        ; -- End function
	.section	.AMDGPU.csdata,"",@progbits
; Kernel info:
; codeLenInByte = 6620
; NumSgprs: 38
; NumVgprs: 150
; ScratchSize: 0
; MemoryBound: 0
; FloatMode: 240
; IeeeMode: 1
; LDSByteSize: 17472 bytes/workgroup (compile time only)
; SGPRBlocks: 4
; VGPRBlocks: 18
; NumSGPRsForWavesPerEU: 38
; NumVGPRsForWavesPerEU: 150
; Occupancy: 9
; WaveLimiterHint : 1
; COMPUTE_PGM_RSRC2:SCRATCH_EN: 0
; COMPUTE_PGM_RSRC2:USER_SGPR: 13
; COMPUTE_PGM_RSRC2:TRAP_HANDLER: 0
; COMPUTE_PGM_RSRC2:TGID_X_EN: 1
; COMPUTE_PGM_RSRC2:TGID_Y_EN: 1
; COMPUTE_PGM_RSRC2:TGID_Z_EN: 1
; COMPUTE_PGM_RSRC2:TIDIG_COMP_CNT: 0
	.section	.text._Z39paged_attention_ll4mi_QKV_mfma16_kernelIDF16_hLN4vllm18Fp8KVCacheDataTypeE1EDF16_Li16ELi128ELi256ELb0ELi7EL8MFMAType0EEvPKT_PKT0_S8_ifPKiSA_SA_iPKfiiiPfSD_PS3_PT2_iSC_SC_,"axG",@progbits,_Z39paged_attention_ll4mi_QKV_mfma16_kernelIDF16_hLN4vllm18Fp8KVCacheDataTypeE1EDF16_Li16ELi128ELi256ELb0ELi7EL8MFMAType0EEvPKT_PKT0_S8_ifPKiSA_SA_iPKfiiiPfSD_PS3_PT2_iSC_SC_,comdat
	.protected	_Z39paged_attention_ll4mi_QKV_mfma16_kernelIDF16_hLN4vllm18Fp8KVCacheDataTypeE1EDF16_Li16ELi128ELi256ELb0ELi7EL8MFMAType0EEvPKT_PKT0_S8_ifPKiSA_SA_iPKfiiiPfSD_PS3_PT2_iSC_SC_ ; -- Begin function _Z39paged_attention_ll4mi_QKV_mfma16_kernelIDF16_hLN4vllm18Fp8KVCacheDataTypeE1EDF16_Li16ELi128ELi256ELb0ELi7EL8MFMAType0EEvPKT_PKT0_S8_ifPKiSA_SA_iPKfiiiPfSD_PS3_PT2_iSC_SC_
	.globl	_Z39paged_attention_ll4mi_QKV_mfma16_kernelIDF16_hLN4vllm18Fp8KVCacheDataTypeE1EDF16_Li16ELi128ELi256ELb0ELi7EL8MFMAType0EEvPKT_PKT0_S8_ifPKiSA_SA_iPKfiiiPfSD_PS3_PT2_iSC_SC_
	.p2align	8
	.type	_Z39paged_attention_ll4mi_QKV_mfma16_kernelIDF16_hLN4vllm18Fp8KVCacheDataTypeE1EDF16_Li16ELi128ELi256ELb0ELi7EL8MFMAType0EEvPKT_PKT0_S8_ifPKiSA_SA_iPKfiiiPfSD_PS3_PT2_iSC_SC_,@function
_Z39paged_attention_ll4mi_QKV_mfma16_kernelIDF16_hLN4vllm18Fp8KVCacheDataTypeE1EDF16_Li16ELi128ELi256ELb0ELi7EL8MFMAType0EEvPKT_PKT0_S8_ifPKiSA_SA_iPKfiiiPfSD_PS3_PT2_iSC_SC_: ; @_Z39paged_attention_ll4mi_QKV_mfma16_kernelIDF16_hLN4vllm18Fp8KVCacheDataTypeE1EDF16_Li16ELi128ELi256ELb0ELi7EL8MFMAType0EEvPKT_PKT0_S8_ifPKiSA_SA_iPKfiiiPfSD_PS3_PT2_iSC_SC_
; %bb.0:
	s_load_b64 s[4:5], s[0:1], 0x30
	s_mov_b32 s34, s13
	s_waitcnt lgkmcnt(0)
	s_cmp_lg_u64 s[4:5], 0
	s_cselect_b32 s8, -1, 0
	s_ashr_i32 s35, s13, 31
	s_cmp_eq_u64 s[4:5], 0
	s_cbranch_scc1 .LBB1268_3
; %bb.1:
	s_lshl_b64 s[2:3], s[34:35], 2
	s_delay_alu instid0(SALU_CYCLE_1) | instskip(SKIP_4) | instid1(SALU_CYCLE_1)
	s_add_u32 s2, s4, s2
	s_addc_u32 s3, s5, s3
	s_load_b64 s[2:3], s[2:3], 0x0
	s_waitcnt lgkmcnt(0)
	s_sub_i32 s2, s3, s2
	s_cmp_eq_u32 s2, 1
	s_cselect_b32 s2, -1, 0
	s_delay_alu instid0(SALU_CYCLE_1)
	s_and_not1_b32 vcc_lo, exec_lo, s2
	s_cbranch_vccz .LBB1268_4
.LBB1268_2:
	s_nop 0
	s_sendmsg sendmsg(MSG_DEALLOC_VGPRS)
	s_endpgm
.LBB1268_3:
.LBB1268_4:
	s_load_b64 s[2:3], s[0:1], 0x28
	s_lshl_b64 s[6:7], s[34:35], 2
	s_waitcnt lgkmcnt(0)
	s_add_u32 s2, s2, s6
	s_addc_u32 s3, s3, s7
	s_lshl_b32 s12, s14, 8
	s_load_b32 s24, s[2:3], 0x0
	s_waitcnt lgkmcnt(0)
	s_cmp_ge_i32 s12, s24
	s_cbranch_scc1 .LBB1268_2
; %bb.5:
	s_clause 0x1
	s_load_b128 s[20:23], s[0:1], 0x8
	s_load_b64 s[2:3], s[0:1], 0x20
	s_and_not1_b32 vcc_lo, exec_lo, s8
	s_cbranch_vccnz .LBB1268_7
; %bb.6:
	s_add_u32 s4, s4, s6
	s_addc_u32 s5, s5, s7
	s_load_b32 s5, s[4:5], 0x0
	s_branch .LBB1268_8
.LBB1268_7:
	s_mov_b32 s5, s34
.LBB1268_8:
	s_load_b128 s[16:19], s[0:1], 0x48
	v_and_b32_e32 v68, 15, v0
	v_lshrrev_b32_e32 v69, 5, v0
	v_bfe_u32 v66, v0, 4, 1
	v_and_b32_e32 v70, 31, v0
	v_and_b32_e32 v67, 1, v0
	v_lshlrev_b32_e32 v2, 3, v68
	s_mul_i32 s31, s15, 7
	v_lshl_or_b32 v1, v69, 1, v66
	s_mov_b32 s4, exec_lo
	s_delay_alu instid0(VALU_DEP_2) | instskip(NEXT) | instid1(VALU_DEP_2)
	v_lshlrev_b32_e32 v65, 1, v2
	v_cmpx_gt_u32_e32 7, v1
	s_cbranch_execz .LBB1268_10
; %bb.9:
	s_load_b64 s[6:7], s[0:1], 0x0
	v_add_lshl_u32 v2, v1, s31, 7
	s_waitcnt lgkmcnt(0)
	s_mul_hi_i32 s9, s5, s16
	s_mul_i32 s8, s5, s16
	v_lshlrev_b32_e32 v6, 10, v68
	s_lshl_b64 s[8:9], s[8:9], 1
	v_ashrrev_i32_e32 v3, 31, v2
	v_lshlrev_b32_e32 v1, 6, v1
	v_lshlrev_b32_e32 v7, 10, v67
	v_and_b32_e32 v6, 0x3800, v6
	s_delay_alu instid0(VALU_DEP_4) | instskip(NEXT) | instid1(VALU_DEP_2)
	v_lshlrev_b64 v[2:3], 1, v[2:3]
	v_or3_b32 v1, v6, v7, v1
	s_add_u32 s5, s6, s8
	s_addc_u32 s6, s7, s9
	s_delay_alu instid0(VALU_DEP_2) | instskip(NEXT) | instid1(VALU_DEP_3)
	v_add_co_u32 v2, vcc_lo, s5, v2
	v_add_co_ci_u32_e32 v3, vcc_lo, s6, v3, vcc_lo
	s_delay_alu instid0(VALU_DEP_2) | instskip(NEXT) | instid1(VALU_DEP_2)
	v_add_co_u32 v2, vcc_lo, v2, v65
	v_add_co_ci_u32_e32 v3, vcc_lo, 0, v3, vcc_lo
	global_load_b128 v[2:5], v[2:3], off
	s_waitcnt vmcnt(0)
	ds_store_b128 v1, v[2:5]
.LBB1268_10:
	s_or_b32 exec_lo, exec_lo, s4
	v_and_b32_e32 v1, 0xef, v0
	s_waitcnt lgkmcnt(0)
	s_add_i32 s5, s24, 15
	s_clause 0x1
	s_load_b32 s4, s[0:1], 0x38
	s_load_b32 s33, s[0:1], 0x98
	s_ashr_i32 s6, s5, 31
	v_add_nc_u32_e32 v1, s12, v1
	s_lshr_b32 s6, s6, 28
	s_load_b32 s19, s[0:1], 0x1c
	s_add_i32 s5, s5, s6
	s_waitcnt lgkmcnt(0)
	v_ashrrev_i32_e32 v2, 31, v1
	v_or_b32_e32 v3, 16, v1
	s_ashr_i32 s13, s5, 4
	v_cmp_gt_i32_e32 vcc_lo, s24, v1
	s_add_i32 s13, s13, -1
	v_lshrrev_b32_e32 v2, 28, v2
	s_barrier
	buffer_gl0_inv
	s_mul_i32 s15, s15, s18
	v_add_nc_u32_e32 v4, v1, v2
	s_mul_i32 s4, s34, s4
	s_delay_alu instid0(SALU_CYCLE_1) | instskip(NEXT) | instid1(VALU_DEP_1)
	s_ashr_i32 s5, s4, 31
	v_ashrrev_i32_e32 v4, 4, v4
	v_add_nc_u32_e32 v2, v3, v2
	s_lshl_b64 s[4:5], s[4:5], 2
	s_delay_alu instid0(SALU_CYCLE_1) | instskip(NEXT) | instid1(VALU_DEP_2)
	s_add_u32 s16, s2, s4
	v_cndmask_b32_e32 v1, s13, v4, vcc_lo
	s_delay_alu instid0(VALU_DEP_2)
	v_ashrrev_i32_e32 v2, 4, v2
	v_cmp_gt_i32_e32 vcc_lo, s24, v3
	s_addc_u32 s25, s3, s5
	s_ashr_i32 s18, s15, 31
	s_add_u32 s26, s20, s15
	s_addc_u32 s27, s21, s18
	v_cndmask_b32_e32 v3, s13, v2, vcc_lo
	v_ashrrev_i32_e32 v2, 31, v1
	s_lshl_b32 s2, s14, 4
	s_delay_alu instid0(SALU_CYCLE_1) | instskip(NEXT) | instid1(VALU_DEP_2)
	s_ashr_i32 s3, s2, 31
	v_ashrrev_i32_e32 v4, 31, v3
	s_delay_alu instid0(VALU_DEP_2) | instskip(SKIP_1) | instid1(SALU_CYCLE_1)
	v_lshlrev_b64 v[1:2], 2, v[1:2]
	s_lshl_b64 s[2:3], s[2:3], 2
	s_add_u32 s2, s16, s2
	s_delay_alu instid0(VALU_DEP_2) | instskip(SKIP_1) | instid1(VALU_DEP_2)
	v_lshlrev_b64 v[3:4], 2, v[3:4]
	s_addc_u32 s3, s25, s3
	v_add_co_u32 v1, vcc_lo, s16, v1
	v_add_co_ci_u32_e32 v2, vcc_lo, s25, v2, vcc_lo
	s_delay_alu instid0(VALU_DEP_3) | instskip(NEXT) | instid1(VALU_DEP_4)
	v_add_co_u32 v3, vcc_lo, s16, v3
	v_add_co_ci_u32_e32 v4, vcc_lo, s25, v4, vcc_lo
	s_clause 0x1
	global_load_b32 v5, v[1:2], off
	global_load_b32 v7, v[3:4], off
	s_or_b32 s4, s12, 32
	v_lshlrev_b32_e32 v1, 4, v0
	s_ashr_i32 s5, s4, 4
	s_cmp_lt_i32 s4, s24
	s_cselect_b32 s4, s5, s13
	s_delay_alu instid0(VALU_DEP_1) | instskip(SKIP_1) | instid1(SALU_CYCLE_1)
	v_and_b32_e32 v1, 0xf0, v1
	s_ashr_i32 s5, s4, 31
	s_lshl_b64 s[4:5], s[4:5], 2
	s_delay_alu instid0(SALU_CYCLE_1)
	s_add_u32 s4, s16, s4
	s_addc_u32 s5, s25, s5
	s_or_b32 s6, s12, 64
	v_add_co_u32 v1, s26, s26, v1
	s_ashr_i32 s7, s6, 4
	s_cmp_lt_i32 s6, s24
	v_add_co_ci_u32_e64 v2, null, s27, 0, s26
	s_cselect_b32 s6, s7, s13
	s_delay_alu instid0(SALU_CYCLE_1) | instskip(NEXT) | instid1(SALU_CYCLE_1)
	s_ashr_i32 s7, s6, 31
	s_lshl_b64 s[6:7], s[6:7], 2
	s_delay_alu instid0(SALU_CYCLE_1) | instskip(SKIP_2) | instid1(SALU_CYCLE_1)
	s_add_u32 s6, s16, s6
	s_addc_u32 s7, s25, s7
	s_or_b32 s8, s12, 0x60
	s_ashr_i32 s9, s8, 4
	s_cmp_lt_i32 s8, s24
	s_cselect_b32 s8, s9, s13
	s_delay_alu instid0(SALU_CYCLE_1) | instskip(NEXT) | instid1(SALU_CYCLE_1)
	s_ashr_i32 s9, s8, 31
	s_lshl_b64 s[8:9], s[8:9], 2
	s_delay_alu instid0(SALU_CYCLE_1) | instskip(SKIP_2) | instid1(SALU_CYCLE_1)
	s_add_u32 s8, s16, s8
	s_addc_u32 s9, s25, s9
	s_or_b32 s10, s12, 0x80
	s_ashr_i32 s11, s10, 4
	s_cmp_lt_i32 s10, s24
	;; [unrolled: 10-line block ×3, first 2 shown]
	s_cselect_b32 s20, s21, s13
	s_delay_alu instid0(SALU_CYCLE_1) | instskip(NEXT) | instid1(SALU_CYCLE_1)
	s_ashr_i32 s21, s20, 31
	s_lshl_b64 s[20:21], s[20:21], 2
	s_delay_alu instid0(SALU_CYCLE_1)
	s_add_u32 s20, s16, s20
	s_addc_u32 s21, s25, s21
	s_clause 0x5
	s_load_b32 s26, s[2:3], 0x0
	s_load_b32 s27, s[4:5], 0x0
	;; [unrolled: 1-line block ×6, first 2 shown]
	s_or_b32 s2, s12, 0xc0
	s_mov_b32 s4, 0
	s_ashr_i32 s3, s2, 4
	s_cmp_lt_i32 s2, s24
	s_mov_b32 s11, s4
	s_cselect_b32 s2, s3, s13
	s_mov_b32 s5, s4
	s_ashr_i32 s3, s2, 31
	s_mov_b32 s6, s4
	s_lshl_b64 s[2:3], s[2:3], 2
	s_mov_b32 s7, s4
	s_add_u32 s2, s16, s2
	s_addc_u32 s3, s25, s3
	s_or_b32 s20, s12, 0xe0
	s_mov_b32 s8, s4
	s_ashr_i32 s21, s20, 4
	s_cmp_lt_i32 s20, s24
	s_mov_b32 s9, s4
	s_cselect_b32 s20, s21, s13
	s_mov_b32 s10, s4
	s_ashr_i32 s21, s20, 31
	v_mov_b32_e32 v118, s11
	v_dual_mov_b32 v112, s5 :: v_dual_mov_b32 v117, s10
	v_dual_mov_b32 v116, s9 :: v_dual_mov_b32 v115, s8
	;; [unrolled: 1-line block ×3, first 2 shown]
	v_mov_b32_e32 v111, s4
	s_lshl_b64 s[4:5], s[20:21], 2
	s_delay_alu instid0(SALU_CYCLE_1)
	s_add_u32 s4, s16, s4
	s_addc_u32 s5, s25, s5
	s_add_u32 s6, s22, s15
	s_addc_u32 s7, s23, s18
	s_waitcnt vmcnt(1)
	v_mad_i64_i32 v[3:4], null, v5, s17, v[1:2]
	s_waitcnt vmcnt(0)
	v_mad_i64_i32 v[5:6], null, v7, s17, v[1:2]
	v_mul_lo_u16 v1, v68, 37
	v_lshlrev_b32_e32 v2, 4, v68
	s_clause 0xf
	global_load_b128 v[17:20], v[3:4], off
	global_load_b128 v[21:24], v[3:4], off offset:256
	global_load_b128 v[25:28], v[5:6], off
	global_load_b128 v[29:32], v[5:6], off offset:256
	global_load_b128 v[57:60], v[3:4], off offset:512
	;; [unrolled: 1-line block ×13, first 2 shown]
	v_lshrrev_b16 v1, 8, v1
	s_delay_alu instid0(VALU_DEP_1) | instskip(NEXT) | instid1(VALU_DEP_1)
	v_mul_lo_u16 v1, v1, 7
	v_sub_nc_u16 v1, v68, v1
	s_delay_alu instid0(VALU_DEP_1) | instskip(NEXT) | instid1(VALU_DEP_1)
	v_and_b32_e32 v1, 0xff, v1
	v_lshlrev_b32_e32 v149, 6, v1
	v_lshl_or_b32 v1, v69, 8, v2
	ds_load_b128 v[119:122], v149
	ds_load_b128 v[123:126], v149 offset:1024
	ds_load_b128 v[127:130], v149 offset:2048
	;; [unrolled: 1-line block ×3, first 2 shown]
	s_clause 0x1
	s_load_b32 s2, s[2:3], 0x0
	s_load_b32 s3, s[4:5], 0x0
	v_add_co_u32 v135, s6, s6, v1
	s_delay_alu instid0(VALU_DEP_1) | instskip(SKIP_1) | instid1(VALU_DEP_1)
	v_add_co_ci_u32_e64 v136, null, s7, 0, s6
	s_waitcnt lgkmcnt(0)
	v_mad_i64_i32 v[1:2], null, s26, s17, v[135:136]
	v_mad_i64_i32 v[3:4], null, s27, s17, v[135:136]
	;; [unrolled: 1-line block ×6, first 2 shown]
	s_clause 0x9
	global_load_b128 v[49:52], v[1:2], off
	global_load_b128 v[53:56], v[1:2], off offset:16
	global_load_b128 v[41:44], v[3:4], off
	global_load_b128 v[45:48], v[3:4], off offset:16
	;; [unrolled: 2-line block ×5, first 2 shown]
	v_mad_i64_i32 v[145:146], null, s2, s17, v[135:136]
	v_mad_i64_i32 v[147:148], null, s3, s17, v[135:136]
	s_waitcnt vmcnt(24)
	v_wmma_f32_16x16x16_f16 v[135:142], v[17:24], v[119:126], v[111:118]
	s_waitcnt vmcnt(22)
	v_wmma_f32_16x16x16_f16 v[111:118], v[25:32], v[119:126], v[111:118]
	s_clause 0x3
	global_load_b128 v[17:20], v[143:144], off
	global_load_b128 v[21:24], v[143:144], off offset:16
	global_load_b128 v[25:28], v[145:146], off
	global_load_b128 v[29:32], v[145:146], off offset:16
	v_and_b32_e32 v119, 0xe0, v0
	s_waitcnt vmcnt(24)
	v_wmma_f32_16x16x16_f16 v[135:142], v[57:64], v[127:134], v[135:142]
	s_clause 0x1
	global_load_b128 v[57:60], v[147:148], off
	global_load_b128 v[61:64], v[147:148], off offset:16
	s_waitcnt vmcnt(24)
	v_wmma_f32_16x16x16_f16 v[111:118], v[71:78], v[127:134], v[111:118]
	ds_load_b128 v[71:74], v149 offset:4096
	ds_load_b128 v[75:78], v149 offset:5120
	v_add_nc_u32_e32 v128, s12, v119
	ds_load_b128 v[119:122], v149 offset:6144
	ds_load_b128 v[123:126], v149 offset:7168
	v_mbcnt_lo_u32_b32 v127, -1, 0
	s_waitcnt vmcnt(0) lgkmcnt(0)
	s_barrier
	v_or_b32_e32 v128, v128, v66
	buffer_gl0_inv
	v_xor_b32_e32 v129, 16, v127
	v_or_b32_e32 v130, 4, v128
	v_or_b32_e32 v131, 6, v128
	s_delay_alu instid0(VALU_DEP_3) | instskip(SKIP_4) | instid1(VALU_DEP_4)
	v_cmp_gt_i32_e32 vcc_lo, 32, v129
	v_or_b32_e32 v132, 8, v128
	v_or_b32_e32 v133, 10, v128
	v_cmp_gt_i32_e64 s3, s24, v130
	v_cmp_gt_i32_e64 s4, s24, v131
	;; [unrolled: 1-line block ×3, first 2 shown]
	v_wmma_f32_16x16x16_f16 v[135:142], v[79:86], v[71:78], v[135:142]
	v_wmma_f32_16x16x16_f16 v[111:118], v[87:94], v[71:78], v[111:118]
	v_or_b32_e32 v79, 12, v128
	v_or_b32_e32 v80, 14, v128
	v_cmp_gt_i32_e64 s6, s24, v133
	v_wmma_f32_16x16x16_f16 v[135:142], v[95:102], v[119:126], v[135:142]
	v_wmma_f32_16x16x16_f16 v[111:118], v[103:110], v[119:126], v[111:118]
	v_cndmask_b32_e32 v127, v127, v129, vcc_lo
	v_or_b32_e32 v129, 2, v128
	v_cmp_gt_i32_e32 vcc_lo, s24, v128
	s_delay_alu instid0(VALU_DEP_4) | instskip(SKIP_1) | instid1(VALU_DEP_4)
	v_dual_mul_f32 v87, s19, v136 :: v_dual_mul_f32 v94, s19, v113
	v_mul_f32_e32 v88, s19, v135
	v_cmp_gt_i32_e64 s2, s24, v129
	v_mul_f32_e32 v78, s19, v138
	v_mul_f32_e32 v86, s19, v137
	;; [unrolled: 1-line block ×3, first 2 shown]
	v_cndmask_b32_e32 v88, 0xff7fffff, v88, vcc_lo
	v_cndmask_b32_e64 v87, 0xff7fffff, v87, s2
	v_dual_mul_f32 v77, s19, v139 :: v_dual_mul_f32 v90, s19, v117
	v_cndmask_b32_e64 v86, 0xff7fffff, v86, s3
	v_cndmask_b32_e64 v78, 0xff7fffff, v78, s4
	s_delay_alu instid0(VALU_DEP_4)
	v_max3_f32 v87, v88, 0xff7fffff, v87
	v_or_b32_e32 v81, 16, v128
	v_or_b32_e32 v82, 18, v128
	v_dual_mul_f32 v74, s19, v142 :: v_dual_mul_f32 v75, s19, v141
	v_mul_f32_e32 v96, s19, v111
	v_cndmask_b32_e64 v77, 0xff7fffff, v77, s5
	v_cndmask_b32_e64 v76, 0xff7fffff, v76, s6
	v_max3_f32 v78, v87, v86, v78
	v_cmp_gt_i32_e64 s7, s24, v79
	v_cmp_gt_i32_e64 s8, s24, v80
	v_or_b32_e32 v83, 20, v128
	v_or_b32_e32 v84, 22, v128
	v_mul_f32_e32 v95, s19, v112
	v_cndmask_b32_e64 v75, 0xff7fffff, v75, s7
	v_cndmask_b32_e64 v74, 0xff7fffff, v74, s8
	v_max3_f32 v76, v78, v77, v76
	v_cmp_gt_i32_e64 s9, s24, v81
	v_cmp_gt_i32_e64 s10, s24, v82
	v_or_b32_e32 v85, 24, v128
	v_or_b32_e32 v71, 26, v128
	;; [unrolled: 8-line block ×3, first 2 shown]
	v_dual_mul_f32 v91, s19, v116 :: v_dual_mul_f32 v92, s19, v115
	v_cndmask_b32_e64 v75, 0xff7fffff, v94, s11
	v_cndmask_b32_e64 v76, 0xff7fffff, v93, s12
	v_max3_f32 v74, v74, v77, v78
	v_cmp_gt_i32_e64 s13, s24, v85
	v_cmp_gt_i32_e64 s15, s24, v71
	v_mul_f32_e32 v89, s19, v118
	v_cmp_gt_i32_e64 s16, s24, v72
	v_max3_f32 v74, v74, v75, v76
	v_cndmask_b32_e64 v77, 0xff7fffff, v92, s13
	v_cndmask_b32_e64 v71, 0xff7fffff, v91, s15
	v_cmp_gt_i32_e64 s17, s24, v73
	v_cndmask_b32_e64 v72, 0xff7fffff, v90, s16
	s_delay_alu instid0(VALU_DEP_3) | instskip(SKIP_1) | instid1(VALU_DEP_4)
	v_max3_f32 v71, v74, v77, v71
	v_lshlrev_b32_e32 v74, 2, v127
	v_cndmask_b32_e64 v73, 0xff7fffff, v89, s17
	s_delay_alu instid0(VALU_DEP_1) | instskip(SKIP_3) | instid1(VALU_DEP_1)
	v_max3_f32 v71, v71, v72, v73
	ds_bpermute_b32 v72, v74, v71
	s_waitcnt lgkmcnt(0)
	v_max_f32_e32 v72, v72, v72
	v_max_f32_e32 v71, v71, v72
	s_delay_alu instid0(VALU_DEP_1) | instskip(SKIP_4) | instid1(VALU_DEP_4)
	v_fma_f32 v72, s19, v135, -v71
	v_fma_f32 v73, s19, v136, -v71
	;; [unrolled: 1-line block ×5, first 2 shown]
	v_dual_mul_f32 v72, 0x3fb8aa3b, v72 :: v_dual_mul_f32 v73, 0x3fb8aa3b, v73
	s_delay_alu instid0(VALU_DEP_3) | instskip(SKIP_1) | instid1(VALU_DEP_3)
	v_dual_mul_f32 v75, 0x3fb8aa3b, v75 :: v_dual_mul_f32 v76, 0x3fb8aa3b, v76
	v_fma_f32 v80, s19, v141, -v71
	v_exp_f32_e32 v72, v72
	s_delay_alu instid0(VALU_DEP_3) | instskip(NEXT) | instid1(VALU_DEP_2)
	v_exp_f32_e32 v73, v73
	v_exp_f32_e32 v75, v75
	;; [unrolled: 1-line block ×3, first 2 shown]
	v_mul_f32_e32 v82, 0x3fb8aa3b, v80
	s_delay_alu instid0(VALU_DEP_1) | instskip(SKIP_4) | instid1(TRANS32_DEP_3)
	v_exp_f32_e32 v84, v82
	v_cndmask_b32_e32 v79, 0, v72, vcc_lo
	v_fma_f32 v72, s19, v140, -v71
	v_mul_f32_e32 v77, 0x3fb8aa3b, v77
	v_cndmask_b32_e64 v78, 0, v73, s2
	v_cndmask_b32_e64 v81, 0, v75, s3
	s_delay_alu instid0(VALU_DEP_4) | instskip(NEXT) | instid1(VALU_DEP_4)
	v_dual_add_f32 v73, 0, v79 :: v_dual_mul_f32 v72, 0x3fb8aa3b, v72
	v_exp_f32_e32 v77, v77
	v_cndmask_b32_e64 v80, 0, v76, s4
	s_delay_alu instid0(TRANS32_DEP_2) | instskip(NEXT) | instid1(VALU_DEP_3)
	v_cndmask_b32_e64 v85, 0, v84, s7
	v_add_f32_e32 v73, v73, v78
	v_exp_f32_e32 v72, v72
	v_cmp_gt_u32_e64 s2, 16, v70
	s_delay_alu instid0(VALU_DEP_2) | instskip(NEXT) | instid1(TRANS32_DEP_2)
	v_add_f32_e32 v73, v73, v81
	v_cndmask_b32_e64 v83, 0, v77, s5
	s_delay_alu instid0(VALU_DEP_2) | instskip(SKIP_3) | instid1(VALU_DEP_1)
	v_add_f32_e32 v73, v73, v80
	s_waitcnt_depctr 0xfff
	v_cndmask_b32_e64 v82, 0, v72, s6
	v_add_f32_e32 v72, v73, v83
	v_add_f32_e32 v72, v72, v82
	s_delay_alu instid0(VALU_DEP_1)
	v_add_f32_e32 v72, v72, v85
	v_fma_f32 v76, s19, v111, -v71
	v_fma_f32 v75, s19, v142, -v71
	;; [unrolled: 1-line block ×5, first 2 shown]
	s_delay_alu instid0(VALU_DEP_4) | instskip(NEXT) | instid1(VALU_DEP_3)
	v_dual_mul_f32 v76, 0x3fb8aa3b, v76 :: v_dual_mul_f32 v75, 0x3fb8aa3b, v75
	v_mul_f32_e32 v86, 0x3fb8aa3b, v86
	s_delay_alu instid0(VALU_DEP_2) | instskip(NEXT) | instid1(VALU_DEP_2)
	v_exp_f32_e32 v76, v76
	v_exp_f32_e32 v75, v75
	s_delay_alu instid0(VALU_DEP_1) | instskip(NEXT) | instid1(TRANS32_DEP_3)
	v_exp_f32_e32 v88, v86
	v_cndmask_b32_e64 v87, 0, v76, s9
	v_fma_f32 v76, s19, v116, -v71
	v_mul_f32_e32 v77, 0x3fb8aa3b, v77
	s_waitcnt_depctr 0xfff
	v_cndmask_b32_e64 v84, 0, v75, s8
	v_fma_f32 v75, s19, v115, -v71
	v_cndmask_b32_e64 v88, 0, v88, s12
	v_mul_f32_e32 v76, 0x3fb8aa3b, v76
	v_exp_f32_e32 v77, v77
	v_add_f32_e32 v72, v72, v84
	s_delay_alu instid0(VALU_DEP_2) | instskip(NEXT) | instid1(VALU_DEP_1)
	v_exp_f32_e32 v76, v76
	v_add_f32_e32 v72, v72, v87
	s_waitcnt_depctr 0xfff
	v_cndmask_b32_e64 v86, 0, v77, s10
	v_mul_f32_e32 v73, 0x3fb8aa3b, v73
	v_fma_f32 v77, s19, v117, -v71
	v_cndmask_b32_e64 v90, 0, v76, s15
	s_delay_alu instid0(VALU_DEP_4) | instskip(NEXT) | instid1(VALU_DEP_4)
	v_add_f32_e32 v72, v72, v86
	v_exp_f32_e32 v73, v73
	s_waitcnt_depctr 0xfff
	v_cndmask_b32_e64 v89, 0, v73, s11
	s_delay_alu instid0(VALU_DEP_1) | instskip(NEXT) | instid1(VALU_DEP_1)
	v_dual_mul_f32 v75, 0x3fb8aa3b, v75 :: v_dual_add_f32 v72, v72, v89
	v_exp_f32_e32 v75, v75
	v_mul_f32_e32 v73, 0x3fb8aa3b, v77
	v_fma_f32 v77, s19, v118, -v71
	s_delay_alu instid0(VALU_DEP_3) | instskip(NEXT) | instid1(VALU_DEP_3)
	v_add_f32_e32 v72, v72, v88
	v_exp_f32_e32 v73, v73
	s_waitcnt_depctr 0xfff
	v_cndmask_b32_e64 v91, 0, v75, s13
	s_delay_alu instid0(VALU_DEP_1) | instskip(NEXT) | instid1(VALU_DEP_1)
	v_dual_mul_f32 v75, 0x3fb8aa3b, v77 :: v_dual_add_f32 v72, v72, v91
	v_exp_f32_e32 v75, v75
	v_cndmask_b32_e64 v93, 0, v73, s16
	s_delay_alu instid0(VALU_DEP_2) | instskip(NEXT) | instid1(VALU_DEP_1)
	v_add_f32_e32 v72, v72, v90
	v_add_f32_e32 v72, v72, v93
	s_waitcnt_depctr 0xfff
	v_cndmask_b32_e64 v92, 0, v75, s17
	s_delay_alu instid0(VALU_DEP_1)
	v_add_f32_e32 v72, v72, v92
	ds_bpermute_b32 v73, v74, v72
	s_and_saveexec_b32 s3, s2
	s_cbranch_execz .LBB1268_12
; %bb.11:
	v_mul_u32_u24_e32 v70, 0x44, v69
	s_waitcnt lgkmcnt(0)
	v_add_f32_e32 v72, v72, v73
	s_delay_alu instid0(VALU_DEP_2) | instskip(NEXT) | instid1(VALU_DEP_1)
	v_lshl_add_u32 v70, v68, 2, v70
	v_add_nc_u32_e32 v70, 0x4000, v70
	ds_store_2addr_b32 v70, v71, v72 offset1:136
.LBB1268_12:
	s_or_b32 exec_lo, exec_lo, s3
	v_lshlrev_b32_e32 v70, 2, v68
	s_load_b32 s35, s[0:1], 0x94
	s_waitcnt lgkmcnt(0)
	s_barrier
	buffer_gl0_inv
	v_add_nc_u32_e32 v98, 0x4000, v70
	v_cmp_eq_u32_e32 vcc_lo, 1, v69
	v_cmp_eq_u32_e64 s3, 2, v69
	v_cmp_eq_u32_e64 s4, 3, v69
	;; [unrolled: 1-line block ×3, first 2 shown]
	ds_load_2addr_b32 v[70:71], v98 offset1:17
	ds_load_2addr_b32 v[72:73], v98 offset0:34 offset1:51
	ds_load_2addr_b32 v[74:75], v98 offset0:68 offset1:85
	;; [unrolled: 1-line block ×3, first 2 shown]
	v_cmp_eq_u32_e64 s6, 5, v69
	v_cmp_eq_u32_e64 s7, 7, v69
	s_waitcnt lgkmcnt(3)
	v_max3_f32 v76, v70, 0xff7fffff, v71
	s_waitcnt lgkmcnt(2)
	s_delay_alu instid0(VALU_DEP_1) | instskip(SKIP_1) | instid1(VALU_DEP_1)
	v_max3_f32 v76, v76, v72, v73
	s_waitcnt lgkmcnt(1)
	v_max3_f32 v76, v76, v74, v75
	s_waitcnt lgkmcnt(0)
	s_delay_alu instid0(VALU_DEP_1) | instskip(NEXT) | instid1(VALU_DEP_1)
	v_max3_f32 v76, v76, v94, v95
	v_sub_f32_e32 v77, v71, v76
	ds_load_2addr_b32 v[96:97], v98 offset0:136 offset1:153
	v_sub_f32_e32 v74, v74, v76
	v_sub_f32_e32 v70, v70, v76
	;; [unrolled: 1-line block ×3, first 2 shown]
	v_dual_sub_f32 v72, v72, v76 :: v_dual_mul_f32 v77, 0x3fb8aa3b, v77
	s_delay_alu instid0(VALU_DEP_4) | instskip(NEXT) | instid1(VALU_DEP_4)
	v_mul_f32_e32 v103, 0x3fb8aa3b, v74
	v_mul_f32_e32 v99, 0x3fb8aa3b, v70
	ds_load_2addr_b32 v[70:71], v98 offset0:170 offset1:187
	v_dual_mul_f32 v101, 0x3fb8aa3b, v72 :: v_dual_mul_f32 v94, 0x3fb8aa3b, v94
	v_exp_f32_e32 v102, v77
	v_exp_f32_e32 v99, v99
	s_delay_alu instid0(VALU_DEP_1) | instskip(NEXT) | instid1(VALU_DEP_1)
	v_exp_f32_e32 v101, v101
	v_exp_f32_e32 v94, v94
	s_waitcnt lgkmcnt(1)
	s_delay_alu instid0(TRANS32_DEP_3)
	v_fma_f32 v77, v99, v96, 0
	v_sub_f32_e32 v100, v73, v76
	ds_load_2addr_b32 v[72:73], v98 offset0:204 offset1:221
	v_fmac_f32_e32 v77, v102, v97
	v_exp_f32_e32 v97, v103
	s_waitcnt lgkmcnt(1)
	s_delay_alu instid0(VALU_DEP_1)
	v_dual_fmac_f32 v77, v101, v70 :: v_dual_sub_f32 v96, v75, v76
	ds_load_2addr_b32 v[74:75], v98 offset0:238 offset1:255
	v_sub_f32_e32 v70, v95, v76
	s_waitcnt lgkmcnt(0)
	s_barrier
	v_mul_f32_e32 v96, 0x3fb8aa3b, v96
	buffer_gl0_inv
	v_exp_f32_e32 v95, v96
	v_mul_f32_e32 v100, 0x3fb8aa3b, v100
	s_delay_alu instid0(VALU_DEP_1) | instskip(SKIP_3) | instid1(VALU_DEP_2)
	v_exp_f32_e32 v100, v100
	s_waitcnt_depctr 0xfff
	v_dual_fmac_f32 v77, v100, v71 :: v_dual_mul_f32 v70, 0x3fb8aa3b, v70
	v_cndmask_b32_e32 v71, v99, v102, vcc_lo
	v_fmac_f32_e32 v77, v97, v72
	s_delay_alu instid0(VALU_DEP_3) | instskip(NEXT) | instid1(VALU_DEP_1)
	v_exp_f32_e32 v96, v70
	v_fmac_f32_e32 v77, v95, v73
	s_delay_alu instid0(VALU_DEP_1) | instskip(SKIP_2) | instid1(VALU_DEP_1)
	v_fmac_f32_e32 v77, v94, v74
	s_waitcnt_depctr 0xfff
	v_fmac_f32_e32 v77, v96, v75
	v_add_f32_e32 v74, 0x358637bd, v77
	s_delay_alu instid0(VALU_DEP_1) | instskip(SKIP_1) | instid1(VALU_DEP_2)
	v_div_scale_f32 v98, null, v74, v74, 1.0
	v_div_scale_f32 v99, vcc_lo, 1.0, v74, 1.0
	v_rcp_f32_e32 v103, v98
	s_waitcnt_depctr 0xfff
	v_fma_f32 v70, -v98, v103, 1.0
	s_delay_alu instid0(VALU_DEP_1) | instskip(SKIP_2) | instid1(VALU_DEP_2)
	v_fmac_f32_e32 v103, v70, v103
	v_cndmask_b32_e64 v70, v71, v101, s3
	v_cmp_eq_u32_e64 s3, 6, v69
	v_cndmask_b32_e64 v71, v70, v100, s4
	s_delay_alu instid0(VALU_DEP_4) | instskip(NEXT) | instid1(VALU_DEP_2)
	v_dual_mul_f32 v101, v99, v103 :: v_dual_lshlrev_b32 v70, 2, v66
	v_cndmask_b32_e64 v71, v71, v97, s5
	s_delay_alu instid0(VALU_DEP_2) | instskip(NEXT) | instid1(VALU_DEP_3)
	v_or_b32_e32 v72, 1, v70
	v_fma_f32 v100, -v98, v101, v99
	v_cmp_eq_u32_e64 s4, 1, v70
	v_cmp_eq_u32_e64 s5, 2, v70
	v_cndmask_b32_e64 v95, v71, v95, s6
	v_or_b32_e32 v71, 3, v70
	v_fmac_f32_e32 v101, v100, v103
	v_cmp_eq_u32_e64 s9, 1, v72
	v_cmp_eq_u32_e64 s12, 2, v72
	v_cndmask_b32_e64 v94, v95, v94, s3
	v_cmp_eq_u32_e64 s11, 1, v71
	v_fma_f32 v97, -v98, v101, v99
	v_cmp_eq_u32_e64 s16, 2, v71
	v_cmp_eq_u32_e64 s13, 3, v72
	v_cndmask_b32_e64 v94, v94, v96, s7
	v_cmp_eq_u32_e64 s18, 3, v71
	v_div_fmas_f32 v95, v97, v103, v101
	v_cmp_eq_u32_e32 vcc_lo, 3, v70
	v_cmp_eq_u32_e64 s3, 4, v70
	v_cmp_eq_u32_e64 s19, 4, v72
	;; [unrolled: 1-line block ×3, first 2 shown]
	v_div_fixup_f32 v95, v95, v74, 1.0
	v_lshlrev_b32_e32 v73, 6, v68
	v_cmp_eq_u32_e64 s6, 5, v70
	v_cmp_eq_u32_e64 s20, 5, v72
	;; [unrolled: 1-line block ×3, first 2 shown]
	v_mul_f32_e32 v102, v94, v95
	v_lshl_or_b32 v75, v69, 11, v73
	v_or_b32_e32 v69, 2, v70
	v_cmp_eq_u32_e64 s25, 6, v72
	v_cmp_eq_u32_e64 s27, 6, v71
	v_fma_mixlo_f16 v94, v102, v79, 0
	v_fma_mixlo_f16 v95, v102, v81, 0
	;; [unrolled: 1-line block ×8, first 2 shown]
	v_lshl_or_b32 v74, v66, 4, v75
	v_fma_mixhi_f16 v94, v102, v78, 0
	v_fma_mixhi_f16 v95, v102, v80, 0
	;; [unrolled: 1-line block ×8, first 2 shown]
	ds_store_b128 v74, v[94:97]
	ds_store_b128 v74, v[98:101] offset:1024
	s_waitcnt lgkmcnt(0)
	s_barrier
	buffer_gl0_inv
	ds_load_b128 v[78:81], v75
	ds_load_b128 v[82:85], v75 offset:16
	ds_load_b128 v[86:89], v75 offset:1024
	;; [unrolled: 1-line block ×3, first 2 shown]
	v_cmp_eq_u32_e64 s10, 1, v69
	v_cmp_eq_u32_e64 s15, 2, v69
	v_cmp_eq_u32_e64 s17, 3, v69
	v_cmp_eq_u32_e64 s21, 4, v69
	v_cmp_eq_u32_e64 s23, 5, v69
	v_cmp_eq_u32_e64 s7, 6, v70
	v_cmp_eq_u32_e64 s26, 6, v69
	v_cmp_eq_u32_e64 s29, 7, v71
	v_cmp_eq_u32_e64 s30, 7, v72
	v_cmp_eq_u32_e64 s8, 7, v70
	v_cmp_eq_u32_e64 s28, 7, v69
	s_waitcnt lgkmcnt(3)
	v_lshrrev_b32_e32 v94, 16, v78
	s_waitcnt lgkmcnt(2)
	v_lshrrev_b32_e32 v98, 16, v82
	;; [unrolled: 2-line block ×4, first 2 shown]
	v_lshrrev_b32_e32 v95, 16, v79
	v_cndmask_b32_e64 v110, v78, v94, s4
	v_cndmask_b32_e64 v111, v82, v98, s4
	;; [unrolled: 1-line block ×8, first 2 shown]
	v_lshrrev_b32_e32 v99, 16, v83
	v_cndmask_b32_e64 v94, v86, v102, s4
	v_cndmask_b32_e64 v98, v90, v106, s4
	;; [unrolled: 1-line block ×15, first 2 shown]
	v_lshrrev_b32_e32 v103, 16, v87
	v_lshrrev_b32_e32 v107, 16, v91
	v_cndmask_b32_e64 v113, v115, v83, s15
	v_cndmask_b32_e64 v82, v94, v87, s5
	;; [unrolled: 1-line block ×7, first 2 shown]
	v_cndmask_b32_e32 v90, v102, v95, vcc_lo
	v_cndmask_b32_e32 v102, v106, v99, vcc_lo
	v_cndmask_b32_e64 v106, v110, v95, s13
	v_cndmask_b32_e64 v110, v111, v99, s13
	;; [unrolled: 1-line block ×4, first 2 shown]
	v_lshrrev_b32_e32 v96, 16, v80
	v_lshrrev_b32_e32 v100, 16, v84
	v_cndmask_b32_e64 v111, v112, v95, s17
	v_cndmask_b32_e64 v112, v113, v99, s17
	v_cndmask_b32_e32 v82, v82, v103, vcc_lo
	v_cndmask_b32_e32 v83, v83, v107, vcc_lo
	v_cndmask_b32_e64 v94, v94, v103, s13
	v_cndmask_b32_e64 v90, v90, v80, s3
	;; [unrolled: 1-line block ×7, first 2 shown]
	v_lshrrev_b32_e32 v104, 16, v88
	v_cndmask_b32_e64 v106, v111, v80, s21
	v_cndmask_b32_e64 v110, v112, v84, s21
	;; [unrolled: 1-line block ×11, first 2 shown]
	v_lshrrev_b32_e32 v97, 16, v81
	v_lshrrev_b32_e32 v101, 16, v85
	v_cndmask_b32_e64 v99, v106, v96, s23
	v_cndmask_b32_e64 v102, v110, v100, s23
	;; [unrolled: 1-line block ×7, first 2 shown]
	v_lshrrev_b32_e32 v105, 16, v89
	v_cndmask_b32_e64 v80, v80, v104, s6
	v_cndmask_b32_e64 v84, v84, v81, s7
	;; [unrolled: 1-line block ×16, first 2 shown]
	v_perm_b32 v81, v79, v78, 0x5040100
	v_perm_b32 v79, v95, v85, 0x5040100
	v_cndmask_b32_e64 v78, v119, v91, s15
	v_cndmask_b32_e64 v85, v117, v91, s12
	;; [unrolled: 1-line block ×3, first 2 shown]
	v_perm_b32 v80, v94, v90, 0x5040100
	v_cndmask_b32_e64 v90, v98, v103, s17
	v_cndmask_b32_e64 v86, v86, v103, s18
	v_cndmask_b32_e64 v87, v87, v107, s18
	v_cndmask_b32_e64 v78, v78, v107, s17
	v_cndmask_b32_e64 v85, v85, v107, s13
	v_lshrrev_b32_e32 v108, 16, v92
	v_cndmask_b32_e64 v90, v90, v88, s21
	v_cndmask_b32_e64 v86, v86, v88, s22
	;; [unrolled: 1-line block ×11, first 2 shown]
	v_lshrrev_b32_e32 v109, 16, v93
	v_cndmask_b32_e64 v82, v82, v93, s7
	v_cndmask_b32_e64 v88, v88, v89, s26
	;; [unrolled: 1-line block ×12, first 2 shown]
	v_perm_b32 v78, v84, v83, 0x5040100
	v_perm_b32 v85, v87, v86, 0x5040100
	;; [unrolled: 1-line block ×5, first 2 shown]
	s_mul_i32 s8, s33, 7
	s_mov_b32 s3, exec_lo
	ds_store_b128 v74, v[78:81]
	ds_store_b128 v74, v[82:85] offset:1024
	v_cmpx_gt_u32_e32 7, v0
	s_cbranch_execz .LBB1268_14
; %bb.13:
	s_mul_i32 s4, s8, s34
	s_delay_alu instid0(SALU_CYCLE_1) | instskip(SKIP_1) | instid1(VALU_DEP_1)
	v_add3_u32 v68, s4, s31, v68
	s_load_b128 s[4:7], s[0:1], 0x58
	v_mad_u64_u32 v[78:79], null, v68, s35, s[14:15]
	s_delay_alu instid0(VALU_DEP_1) | instskip(NEXT) | instid1(VALU_DEP_1)
	v_ashrrev_i32_e32 v79, 31, v78
	v_lshlrev_b64 v[78:79], 2, v[78:79]
	s_waitcnt lgkmcnt(0)
	s_delay_alu instid0(VALU_DEP_1) | instskip(NEXT) | instid1(VALU_DEP_2)
	v_add_co_u32 v80, vcc_lo, s6, v78
	v_add_co_ci_u32_e32 v81, vcc_lo, s7, v79, vcc_lo
	v_add_co_u32 v78, vcc_lo, s4, v78
	v_add_co_ci_u32_e32 v79, vcc_lo, s5, v79, vcc_lo
	global_store_b32 v[80:81], v76, off
	global_store_b32 v[78:79], v77, off
.LBB1268_14:
	s_or_b32 exec_lo, exec_lo, s3
	s_waitcnt lgkmcnt(0)
	s_waitcnt_vscnt null, 0x0
	s_barrier
	buffer_gl0_inv
	ds_load_b128 v[84:87], v73
	ds_load_b128 v[88:91], v73 offset:16
	ds_load_b128 v[96:99], v73 offset:2064
	;; [unrolled: 1-line block ×5, first 2 shown]
	v_cmp_eq_u32_e32 vcc_lo, 1, v70
	v_mov_b32_e32 v76, 0
	ds_load_b128 v[112:115], v73 offset:6160
	ds_load_b128 v[108:111], v73 offset:6144
	;; [unrolled: 1-line block ×4, first 2 shown]
	v_cmp_eq_u32_e64 s4, 1, v69
	v_cmp_eq_u32_e64 s3, 1, v72
	;; [unrolled: 1-line block ×3, first 2 shown]
	v_mov_b32_e32 v77, v76
	v_mov_b32_e32 v78, v76
	;; [unrolled: 1-line block ×7, first 2 shown]
	v_cmp_eq_u32_e64 s6, 3, v72
	v_cmp_eq_u32_e64 s7, 7, v72
	s_waitcnt lgkmcnt(8)
	s_delay_alu instid0(VALU_DEP_3)
	v_wmma_f32_16x16x16_f16 v[76:83], v[49:56], v[84:91], v[76:83]
	ds_load_b128 v[53:56], v73 offset:10256
	ds_load_b128 v[49:52], v73 offset:10240
	s_waitcnt lgkmcnt(8)
	v_wmma_f32_16x16x16_f16 v[76:83], v[41:48], v[92:99], v[76:83]
	ds_load_b128 v[45:48], v73 offset:12304
	ds_load_b128 v[41:44], v73 offset:12288
	s_waitcnt lgkmcnt(8)
	;; [unrolled: 4-line block ×3, first 2 shown]
	s_barrier
	buffer_gl0_inv
	v_wmma_f32_16x16x16_f16 v[76:83], v[1:8], v[108:115], v[76:83]
	s_delay_alu instid0(VALU_DEP_1) | instskip(NEXT) | instid1(VALU_DEP_1)
	v_wmma_f32_16x16x16_f16 v[76:83], v[9:16], v[116:123], v[76:83]
	v_wmma_f32_16x16x16_f16 v[76:83], v[17:24], v[49:56], v[76:83]
	s_delay_alu instid0(VALU_DEP_1) | instskip(NEXT) | instid1(VALU_DEP_1)
	v_wmma_f32_16x16x16_f16 v[76:83], v[25:32], v[41:48], v[76:83]
	v_wmma_f32_16x16x16_f16 v[76:83], v[57:64], v[33:40], v[76:83]
	s_delay_alu instid0(VALU_DEP_1) | instskip(NEXT) | instid1(VALU_DEP_2)
	v_cvt_f16_f32_e32 v1, v76
	v_cvt_f16_f32_e32 v2, v77
	s_delay_alu instid0(VALU_DEP_3) | instskip(NEXT) | instid1(VALU_DEP_4)
	v_cvt_f16_f32_e32 v3, v78
	v_cvt_f16_f32_e32 v4, v79
	v_cvt_f16_f32_e32 v5, v80
	v_cvt_f16_f32_e32 v6, v81
	v_cvt_f16_f32_e32 v7, v82
	v_cvt_f16_f32_e32 v8, v83
	v_pack_b32_f16 v1, v1, v2
	v_pack_b32_f16 v2, v3, v4
	;; [unrolled: 1-line block ×3, first 2 shown]
	s_delay_alu instid0(VALU_DEP_4)
	v_pack_b32_f16 v4, v7, v8
	ds_store_b128 v74, v[1:4]
	s_waitcnt lgkmcnt(0)
	s_barrier
	buffer_gl0_inv
	ds_load_b128 v[1:4], v75
	ds_load_b128 v[5:8], v75 offset:16
	s_waitcnt lgkmcnt(1)
	v_lshrrev_b32_e32 v9, 16, v1
	s_waitcnt lgkmcnt(0)
	v_lshrrev_b32_e32 v13, 16, v5
	v_lshrrev_b32_e32 v10, 16, v2
	;; [unrolled: 1-line block ×4, first 2 shown]
	v_cndmask_b32_e32 v17, v1, v9, vcc_lo
	v_cndmask_b32_e32 v18, v5, v13, vcc_lo
	v_cndmask_b32_e64 v21, v1, v9, s4
	v_cmp_eq_u32_e32 vcc_lo, 1, v71
	v_cndmask_b32_e64 v22, v5, v13, s4
	v_cmp_eq_u32_e64 s4, 2, v70
	v_cndmask_b32_e64 v19, v1, v9, s3
	v_cndmask_b32_e64 v20, v5, v13, s3
	v_cndmask_b32_e32 v1, v1, v9, vcc_lo
	v_cmp_eq_u32_e64 s3, 2, v71
	v_cndmask_b32_e32 v5, v5, v13, vcc_lo
	v_cndmask_b32_e64 v9, v17, v2, s4
	v_cmp_eq_u32_e32 vcc_lo, 3, v70
	v_cndmask_b32_e64 v13, v18, v6, s4
	v_cmp_eq_u32_e64 s4, 2, v69
	v_cndmask_b32_e64 v17, v19, v2, s5
	v_cndmask_b32_e64 v18, v20, v6, s5
	v_cmp_eq_u32_e64 s5, 3, v69
	v_cndmask_b32_e64 v1, v1, v2, s3
	v_cndmask_b32_e64 v19, v21, v2, s4
	;; [unrolled: 1-line block ×4, first 2 shown]
	v_cndmask_b32_e32 v5, v9, v10, vcc_lo
	v_cndmask_b32_e32 v6, v13, v14, vcc_lo
	v_cmp_eq_u32_e32 vcc_lo, 3, v71
	v_cndmask_b32_e64 v9, v17, v10, s6
	v_cndmask_b32_e64 v13, v18, v14, s6
	;; [unrolled: 1-line block ×3, first 2 shown]
	v_cmp_eq_u32_e64 s4, 4, v70
	v_cndmask_b32_e32 v1, v1, v10, vcc_lo
	v_cndmask_b32_e32 v2, v2, v14, vcc_lo
	v_cmp_eq_u32_e32 vcc_lo, 4, v72
	v_lshrrev_b32_e32 v15, 16, v7
	v_lshrrev_b32_e32 v16, 16, v8
	v_cndmask_b32_e64 v17, v19, v10, s5
	v_cmp_eq_u32_e64 s3, 4, v71
	v_cndmask_b32_e64 v5, v5, v3, s4
	v_cndmask_b32_e64 v6, v6, v7, s4
	v_cndmask_b32_e32 v9, v9, v3, vcc_lo
	v_cmp_eq_u32_e64 s4, 5, v72
	v_cndmask_b32_e32 v10, v13, v7, vcc_lo
	v_cmp_eq_u32_e32 vcc_lo, 4, v69
	v_cmp_eq_u32_e64 s5, 5, v70
	v_cndmask_b32_e64 v2, v2, v7, s3
	v_cndmask_b32_e64 v9, v9, v11, s4
	v_cndmask_b32_e64 v10, v10, v15, s4
	v_cndmask_b32_e32 v13, v17, v3, vcc_lo
	v_cmp_eq_u32_e64 s4, 5, v69
	v_cndmask_b32_e32 v14, v18, v7, vcc_lo
	v_cndmask_b32_e64 v1, v1, v3, s3
	v_cmp_eq_u32_e32 vcc_lo, 5, v71
	v_lshrrev_b32_e32 v12, 16, v4
	v_cndmask_b32_e64 v13, v13, v11, s4
	v_cndmask_b32_e64 v3, v14, v15, s4
	v_cmp_eq_u32_e64 s4, 6, v71
	v_cndmask_b32_e32 v1, v1, v11, vcc_lo
	v_cndmask_b32_e64 v5, v5, v11, s5
	v_cmp_eq_u32_e64 s6, 6, v70
	v_cndmask_b32_e64 v6, v6, v15, s5
	v_cmp_eq_u32_e64 s5, 6, v72
	v_cmp_eq_u32_e64 s3, 6, v69
	v_cndmask_b32_e64 v1, v1, v4, s4
	v_cndmask_b32_e32 v2, v2, v15, vcc_lo
	v_cmp_eq_u32_e32 vcc_lo, 7, v71
	v_cndmask_b32_e64 v5, v5, v4, s6
	v_cndmask_b32_e64 v9, v9, v4, s5
	;; [unrolled: 1-line block ×3, first 2 shown]
	v_cmp_eq_u32_e64 s6, 7, v70
	v_cndmask_b32_e32 v1, v1, v12, vcc_lo
	v_cndmask_b32_e64 v7, v13, v4, s3
	v_cndmask_b32_e64 v3, v3, v8, s3
	;; [unrolled: 1-line block ×3, first 2 shown]
	v_cmp_eq_u32_e64 s3, 7, v69
	v_cndmask_b32_e64 v4, v10, v8, s5
	v_cndmask_b32_e64 v5, v5, v12, s6
	;; [unrolled: 1-line block ×3, first 2 shown]
	v_cndmask_b32_e32 v2, v2, v16, vcc_lo
	v_cndmask_b32_e64 v7, v7, v12, s3
	v_cndmask_b32_e64 v3, v3, v16, s3
	;; [unrolled: 1-line block ×4, first 2 shown]
	v_perm_b32 v4, v2, v1, 0x5040100
	s_mov_b32 s3, exec_lo
	v_perm_b32 v3, v3, v7, 0x5040100
	v_perm_b32 v2, v8, v9, 0x5040100
	v_perm_b32 v1, v6, v5, 0x5040100
	ds_store_b128 v74, v[1:4]
	s_waitcnt lgkmcnt(0)
	s_barrier
	buffer_gl0_inv
	v_cmpx_gt_u32_e32 32, v0
	s_cbranch_execz .LBB1268_2
; %bb.15:
	s_load_b64 s[4:5], s[0:1], 0x68
	v_lshlrev_b32_e32 v0, 10, v0
	v_add_nc_u32_e32 v2, s31, v66
	v_lshlrev_b32_e32 v3, 4, v67
	s_lshl_b32 s0, s35, 7
	s_delay_alu instid0(SALU_CYCLE_1) | instskip(NEXT) | instid1(VALU_DEP_2)
	s_mul_i32 s1, s0, s34
	v_mul_lo_u32 v1, v2, s0
	s_delay_alu instid0(VALU_DEP_2)
	v_and_or_b32 v0, 0x3800, v0, v3
	v_add_nc_u32_e32 v3, 2, v2
	s_mul_i32 s6, s1, s8
	v_add_nc_u32_e32 v4, 4, v2
	s_ashr_i32 s7, s6, 31
	v_lshl_or_b32 v11, v66, 6, v0
	s_lshl_b64 s[6:7], s[6:7], 1
	v_mul_lo_u32 v15, v3, s0
	v_mul_lo_u32 v17, v4, s0
	v_ashrrev_i32_e32 v2, 31, v1
	ds_load_b128 v[3:6], v11
	ds_load_b128 v[7:10], v11 offset:128
	ds_load_b128 v[11:14], v11 offset:256
	s_waitcnt lgkmcnt(0)
	s_add_u32 s1, s4, s6
	s_addc_u32 s3, s5, s7
	s_lshl_b32 s4, s14, 7
	v_ashrrev_i32_e32 v16, 31, v15
	s_ashr_i32 s5, s4, 31
	v_lshlrev_b64 v[19:20], 1, v[1:2]
	s_lshl_b64 s[4:5], s[4:5], 1
	v_ashrrev_i32_e32 v18, 31, v17
	s_add_u32 s1, s1, s4
	s_addc_u32 s3, s3, s5
	v_add_co_u32 v1, s1, s1, v65
	s_delay_alu instid0(VALU_DEP_1) | instskip(SKIP_1) | instid1(VALU_DEP_3)
	v_add_co_ci_u32_e64 v2, null, s3, 0, s1
	v_lshlrev_b64 v[15:16], 1, v[15:16]
	v_add_co_u32 v19, vcc_lo, v1, v19
	v_lshlrev_b64 v[17:18], 1, v[17:18]
	s_delay_alu instid0(VALU_DEP_4) | instskip(NEXT) | instid1(VALU_DEP_4)
	v_add_co_ci_u32_e32 v20, vcc_lo, v2, v20, vcc_lo
	v_add_co_u32 v15, vcc_lo, v1, v15
	v_add_co_ci_u32_e32 v16, vcc_lo, v2, v16, vcc_lo
	s_delay_alu instid0(VALU_DEP_4)
	v_add_co_u32 v17, vcc_lo, v1, v17
	v_add_co_ci_u32_e32 v18, vcc_lo, v2, v18, vcc_lo
	s_clause 0x2
	global_store_b128 v[19:20], v[3:6], off
	global_store_b128 v[15:16], v[7:10], off
	;; [unrolled: 1-line block ×3, first 2 shown]
	s_and_b32 exec_lo, exec_lo, s2
	s_cbranch_execz .LBB1268_2
; %bb.16:
	ds_load_b128 v[3:6], v0 offset:384
	s_add_i32 s1, s31, 6
	s_delay_alu instid0(SALU_CYCLE_1) | instskip(NEXT) | instid1(SALU_CYCLE_1)
	s_mul_i32 s0, s1, s0
	s_ashr_i32 s1, s0, 31
	s_delay_alu instid0(SALU_CYCLE_1) | instskip(NEXT) | instid1(SALU_CYCLE_1)
	s_lshl_b64 s[0:1], s[0:1], 1
	v_add_co_u32 v0, vcc_lo, v1, s0
	v_add_co_ci_u32_e32 v1, vcc_lo, s1, v2, vcc_lo
	s_waitcnt lgkmcnt(0)
	global_store_b128 v[0:1], v[3:6], off
	s_nop 0
	s_sendmsg sendmsg(MSG_DEALLOC_VGPRS)
	s_endpgm
	.section	.rodata,"a",@progbits
	.p2align	6, 0x0
	.amdhsa_kernel _Z39paged_attention_ll4mi_QKV_mfma16_kernelIDF16_hLN4vllm18Fp8KVCacheDataTypeE1EDF16_Li16ELi128ELi256ELb0ELi7EL8MFMAType0EEvPKT_PKT0_S8_ifPKiSA_SA_iPKfiiiPfSD_PS3_PT2_iSC_SC_
		.amdhsa_group_segment_fixed_size 17472
		.amdhsa_private_segment_fixed_size 0
		.amdhsa_kernarg_size 400
		.amdhsa_user_sgpr_count 13
		.amdhsa_user_sgpr_dispatch_ptr 0
		.amdhsa_user_sgpr_queue_ptr 0
		.amdhsa_user_sgpr_kernarg_segment_ptr 1
		.amdhsa_user_sgpr_dispatch_id 0
		.amdhsa_user_sgpr_private_segment_size 0
		.amdhsa_wavefront_size32 1
		.amdhsa_uses_dynamic_stack 0
		.amdhsa_enable_private_segment 0
		.amdhsa_system_sgpr_workgroup_id_x 1
		.amdhsa_system_sgpr_workgroup_id_y 1
		.amdhsa_system_sgpr_workgroup_id_z 1
		.amdhsa_system_sgpr_workgroup_info 0
		.amdhsa_system_vgpr_workitem_id 0
		.amdhsa_next_free_vgpr 150
		.amdhsa_next_free_sgpr 36
		.amdhsa_reserve_vcc 1
		.amdhsa_float_round_mode_32 0
		.amdhsa_float_round_mode_16_64 0
		.amdhsa_float_denorm_mode_32 3
		.amdhsa_float_denorm_mode_16_64 3
		.amdhsa_dx10_clamp 1
		.amdhsa_ieee_mode 1
		.amdhsa_fp16_overflow 0
		.amdhsa_workgroup_processor_mode 1
		.amdhsa_memory_ordered 1
		.amdhsa_forward_progress 0
		.amdhsa_shared_vgpr_count 0
		.amdhsa_exception_fp_ieee_invalid_op 0
		.amdhsa_exception_fp_denorm_src 0
		.amdhsa_exception_fp_ieee_div_zero 0
		.amdhsa_exception_fp_ieee_overflow 0
		.amdhsa_exception_fp_ieee_underflow 0
		.amdhsa_exception_fp_ieee_inexact 0
		.amdhsa_exception_int_div_zero 0
	.end_amdhsa_kernel
	.section	.text._Z39paged_attention_ll4mi_QKV_mfma16_kernelIDF16_hLN4vllm18Fp8KVCacheDataTypeE1EDF16_Li16ELi128ELi256ELb0ELi7EL8MFMAType0EEvPKT_PKT0_S8_ifPKiSA_SA_iPKfiiiPfSD_PS3_PT2_iSC_SC_,"axG",@progbits,_Z39paged_attention_ll4mi_QKV_mfma16_kernelIDF16_hLN4vllm18Fp8KVCacheDataTypeE1EDF16_Li16ELi128ELi256ELb0ELi7EL8MFMAType0EEvPKT_PKT0_S8_ifPKiSA_SA_iPKfiiiPfSD_PS3_PT2_iSC_SC_,comdat
.Lfunc_end1268:
	.size	_Z39paged_attention_ll4mi_QKV_mfma16_kernelIDF16_hLN4vllm18Fp8KVCacheDataTypeE1EDF16_Li16ELi128ELi256ELb0ELi7EL8MFMAType0EEvPKT_PKT0_S8_ifPKiSA_SA_iPKfiiiPfSD_PS3_PT2_iSC_SC_, .Lfunc_end1268-_Z39paged_attention_ll4mi_QKV_mfma16_kernelIDF16_hLN4vllm18Fp8KVCacheDataTypeE1EDF16_Li16ELi128ELi256ELb0ELi7EL8MFMAType0EEvPKT_PKT0_S8_ifPKiSA_SA_iPKfiiiPfSD_PS3_PT2_iSC_SC_
                                        ; -- End function
	.section	.AMDGPU.csdata,"",@progbits
; Kernel info:
; codeLenInByte = 6692
; NumSgprs: 38
; NumVgprs: 150
; ScratchSize: 0
; MemoryBound: 0
; FloatMode: 240
; IeeeMode: 1
; LDSByteSize: 17472 bytes/workgroup (compile time only)
; SGPRBlocks: 4
; VGPRBlocks: 18
; NumSGPRsForWavesPerEU: 38
; NumVGPRsForWavesPerEU: 150
; Occupancy: 9
; WaveLimiterHint : 1
; COMPUTE_PGM_RSRC2:SCRATCH_EN: 0
; COMPUTE_PGM_RSRC2:USER_SGPR: 13
; COMPUTE_PGM_RSRC2:TRAP_HANDLER: 0
; COMPUTE_PGM_RSRC2:TGID_X_EN: 1
; COMPUTE_PGM_RSRC2:TGID_Y_EN: 1
; COMPUTE_PGM_RSRC2:TGID_Z_EN: 1
; COMPUTE_PGM_RSRC2:TIDIG_COMP_CNT: 0
	.section	.text._Z39paged_attention_ll4mi_QKV_mfma16_kernelIDF16_hLN4vllm18Fp8KVCacheDataTypeE1EDF16_Li16ELi128ELi256ELb0ELi8EL8MFMAType0EEvPKT_PKT0_S8_ifPKiSA_SA_iPKfiiiPfSD_PS3_PT2_iSC_SC_,"axG",@progbits,_Z39paged_attention_ll4mi_QKV_mfma16_kernelIDF16_hLN4vllm18Fp8KVCacheDataTypeE1EDF16_Li16ELi128ELi256ELb0ELi8EL8MFMAType0EEvPKT_PKT0_S8_ifPKiSA_SA_iPKfiiiPfSD_PS3_PT2_iSC_SC_,comdat
	.protected	_Z39paged_attention_ll4mi_QKV_mfma16_kernelIDF16_hLN4vllm18Fp8KVCacheDataTypeE1EDF16_Li16ELi128ELi256ELb0ELi8EL8MFMAType0EEvPKT_PKT0_S8_ifPKiSA_SA_iPKfiiiPfSD_PS3_PT2_iSC_SC_ ; -- Begin function _Z39paged_attention_ll4mi_QKV_mfma16_kernelIDF16_hLN4vllm18Fp8KVCacheDataTypeE1EDF16_Li16ELi128ELi256ELb0ELi8EL8MFMAType0EEvPKT_PKT0_S8_ifPKiSA_SA_iPKfiiiPfSD_PS3_PT2_iSC_SC_
	.globl	_Z39paged_attention_ll4mi_QKV_mfma16_kernelIDF16_hLN4vllm18Fp8KVCacheDataTypeE1EDF16_Li16ELi128ELi256ELb0ELi8EL8MFMAType0EEvPKT_PKT0_S8_ifPKiSA_SA_iPKfiiiPfSD_PS3_PT2_iSC_SC_
	.p2align	8
	.type	_Z39paged_attention_ll4mi_QKV_mfma16_kernelIDF16_hLN4vllm18Fp8KVCacheDataTypeE1EDF16_Li16ELi128ELi256ELb0ELi8EL8MFMAType0EEvPKT_PKT0_S8_ifPKiSA_SA_iPKfiiiPfSD_PS3_PT2_iSC_SC_,@function
_Z39paged_attention_ll4mi_QKV_mfma16_kernelIDF16_hLN4vllm18Fp8KVCacheDataTypeE1EDF16_Li16ELi128ELi256ELb0ELi8EL8MFMAType0EEvPKT_PKT0_S8_ifPKiSA_SA_iPKfiiiPfSD_PS3_PT2_iSC_SC_: ; @_Z39paged_attention_ll4mi_QKV_mfma16_kernelIDF16_hLN4vllm18Fp8KVCacheDataTypeE1EDF16_Li16ELi128ELi256ELb0ELi8EL8MFMAType0EEvPKT_PKT0_S8_ifPKiSA_SA_iPKfiiiPfSD_PS3_PT2_iSC_SC_
; %bb.0:
	s_load_b64 s[4:5], s[0:1], 0x30
	s_mov_b32 s30, s13
	s_waitcnt lgkmcnt(0)
	s_cmp_lg_u64 s[4:5], 0
	s_cselect_b32 s13, -1, 0
	s_ashr_i32 s31, s30, 31
	s_cmp_eq_u64 s[4:5], 0
	s_cbranch_scc1 .LBB1269_3
; %bb.1:
	s_lshl_b64 s[2:3], s[30:31], 2
	s_delay_alu instid0(SALU_CYCLE_1) | instskip(SKIP_4) | instid1(SALU_CYCLE_1)
	s_add_u32 s2, s4, s2
	s_addc_u32 s3, s5, s3
	s_load_b64 s[2:3], s[2:3], 0x0
	s_waitcnt lgkmcnt(0)
	s_sub_i32 s2, s3, s2
	s_cmp_eq_u32 s2, 1
	s_cselect_b32 s2, -1, 0
	s_delay_alu instid0(SALU_CYCLE_1)
	s_and_not1_b32 vcc_lo, exec_lo, s2
	s_cbranch_vccz .LBB1269_4
.LBB1269_2:
	s_endpgm
.LBB1269_3:
.LBB1269_4:
	s_load_b64 s[2:3], s[0:1], 0x28
	s_lshl_b64 s[6:7], s[30:31], 2
	s_waitcnt lgkmcnt(0)
	s_add_u32 s2, s2, s6
	s_addc_u32 s3, s3, s7
	s_lshl_b32 s12, s14, 8
	s_load_b32 s17, s[2:3], 0x0
	s_waitcnt lgkmcnt(0)
	s_cmp_ge_i32 s12, s17
	s_cbranch_scc1 .LBB1269_2
; %bb.5:
	s_clause 0x1
	s_load_b128 s[8:11], s[0:1], 0x8
	s_load_b64 s[2:3], s[0:1], 0x20
	s_and_not1_b32 vcc_lo, exec_lo, s13
	s_cbranch_vccnz .LBB1269_7
; %bb.6:
	s_add_u32 s4, s4, s6
	s_addc_u32 s5, s5, s7
	s_load_b32 s13, s[4:5], 0x0
	s_branch .LBB1269_8
.LBB1269_7:
	s_mov_b32 s13, s30
.LBB1269_8:
	s_load_b128 s[4:7], s[0:1], 0x48
	v_and_b32_e32 v69, 15, v0
	v_lshrrev_b32_e32 v68, 5, v0
	v_and_b32_e32 v70, 31, v0
	v_and_b32_e32 v67, 1, v0
	v_bfe_u32 v66, v0, 4, 1
	v_lshlrev_b32_e32 v1, 3, v69
	s_lshl_b32 s31, s15, 3
	s_waitcnt lgkmcnt(0)
	s_mov_b32 s7, exec_lo
	s_delay_alu instid0(VALU_DEP_1)
	v_lshlrev_b32_e32 v65, 1, v1
	v_cmpx_gt_u32_e32 0x80, v0
	s_cbranch_execz .LBB1269_10
; %bb.9:
	v_lshl_or_b32 v5, v68, 1, v66
	s_load_b64 s[18:19], s[0:1], 0x0
	s_mul_hi_i32 s21, s13, s4
	s_mul_i32 s20, s13, s4
	v_lshlrev_b32_e32 v6, 10, v69
	v_or_b32_e32 v1, s31, v5
	s_lshl_b64 s[20:21], s[20:21], 1
	v_lshlrev_b32_e32 v5, 6, v5
	v_lshlrev_b32_e32 v7, 10, v67
	v_and_b32_e32 v6, 0x3800, v6
	v_lshlrev_b32_e32 v1, 7, v1
	s_delay_alu instid0(VALU_DEP_2) | instskip(NEXT) | instid1(VALU_DEP_2)
	v_or3_b32 v5, v6, v7, v5
	v_ashrrev_i32_e32 v2, 31, v1
	s_delay_alu instid0(VALU_DEP_1) | instskip(SKIP_3) | instid1(VALU_DEP_1)
	v_lshlrev_b64 v[1:2], 1, v[1:2]
	s_waitcnt lgkmcnt(0)
	s_add_u32 s4, s18, s20
	s_addc_u32 s13, s19, s21
	v_add_co_u32 v1, vcc_lo, s4, v1
	s_delay_alu instid0(VALU_DEP_2) | instskip(NEXT) | instid1(VALU_DEP_2)
	v_add_co_ci_u32_e32 v2, vcc_lo, s13, v2, vcc_lo
	v_add_co_u32 v1, vcc_lo, v1, v65
	s_delay_alu instid0(VALU_DEP_2)
	v_add_co_ci_u32_e32 v2, vcc_lo, 0, v2, vcc_lo
	global_load_b128 v[1:4], v[1:2], off
	s_waitcnt vmcnt(0)
	ds_store_b128 v5, v[1:4]
.LBB1269_10:
	s_or_b32 exec_lo, exec_lo, s7
	v_and_b32_e32 v1, 0xef, v0
	s_add_i32 s4, s17, 15
	s_clause 0x1
	s_load_b32 s7, s[0:1], 0x38
	s_load_b32 s33, s[0:1], 0x98
	s_ashr_i32 s13, s4, 31
	v_add_nc_u32_e32 v1, s12, v1
	s_lshr_b32 s13, s13, 28
	s_load_b32 s18, s[0:1], 0x1c
	s_add_i32 s4, s4, s13
	s_waitcnt lgkmcnt(0)
	v_ashrrev_i32_e32 v2, 31, v1
	v_or_b32_e32 v3, 16, v1
	s_ashr_i32 s4, s4, 4
	v_cmp_gt_i32_e32 vcc_lo, s17, v1
	s_add_i32 s4, s4, -1
	v_lshrrev_b32_e32 v2, 28, v2
	s_barrier
	buffer_gl0_inv
	s_mul_i32 s15, s15, s6
	v_add_nc_u32_e32 v4, v1, v2
	s_mul_i32 s20, s30, s7
	s_delay_alu instid0(SALU_CYCLE_1) | instskip(NEXT) | instid1(VALU_DEP_1)
	s_ashr_i32 s21, s20, 31
	v_ashrrev_i32_e32 v4, 4, v4
	v_add_nc_u32_e32 v2, v3, v2
	s_lshl_b64 s[20:21], s[20:21], 2
	s_delay_alu instid0(SALU_CYCLE_1) | instskip(NEXT) | instid1(VALU_DEP_2)
	s_add_u32 s13, s2, s20
	v_cndmask_b32_e32 v1, s4, v4, vcc_lo
	s_delay_alu instid0(VALU_DEP_2)
	v_ashrrev_i32_e32 v2, 4, v2
	v_cmp_gt_i32_e32 vcc_lo, s17, v3
	s_addc_u32 s16, s3, s21
	s_ashr_i32 s19, s15, 31
	s_add_u32 s26, s8, s15
	s_addc_u32 s27, s9, s19
	v_cndmask_b32_e32 v3, s4, v2, vcc_lo
	v_ashrrev_i32_e32 v2, 31, v1
	s_lshl_b32 s2, s14, 4
	s_delay_alu instid0(SALU_CYCLE_1) | instskip(NEXT) | instid1(VALU_DEP_2)
	s_ashr_i32 s3, s2, 31
	v_ashrrev_i32_e32 v4, 31, v3
	s_delay_alu instid0(VALU_DEP_2) | instskip(SKIP_1) | instid1(SALU_CYCLE_1)
	v_lshlrev_b64 v[1:2], 2, v[1:2]
	s_lshl_b64 s[2:3], s[2:3], 2
	s_add_u32 s2, s13, s2
	s_delay_alu instid0(VALU_DEP_2) | instskip(SKIP_1) | instid1(VALU_DEP_2)
	v_lshlrev_b64 v[3:4], 2, v[3:4]
	s_addc_u32 s3, s16, s3
	v_add_co_u32 v1, vcc_lo, s13, v1
	v_add_co_ci_u32_e32 v2, vcc_lo, s16, v2, vcc_lo
	s_delay_alu instid0(VALU_DEP_3) | instskip(NEXT) | instid1(VALU_DEP_4)
	v_add_co_u32 v3, vcc_lo, s13, v3
	v_add_co_ci_u32_e32 v4, vcc_lo, s16, v4, vcc_lo
	s_clause 0x1
	global_load_b32 v5, v[1:2], off
	global_load_b32 v3, v[3:4], off
	s_or_b32 s6, s12, 32
	s_delay_alu instid0(SALU_CYCLE_1) | instskip(SKIP_2) | instid1(SALU_CYCLE_1)
	s_ashr_i32 s7, s6, 4
	s_cmp_lt_i32 s6, s17
	s_cselect_b32 s6, s7, s4
	s_ashr_i32 s7, s6, 31
	s_delay_alu instid0(SALU_CYCLE_1) | instskip(NEXT) | instid1(SALU_CYCLE_1)
	s_lshl_b64 s[6:7], s[6:7], 2
	s_add_u32 s6, s13, s6
	s_addc_u32 s7, s16, s7
	s_or_b32 s8, s12, 64
	s_delay_alu instid0(SALU_CYCLE_1) | instskip(SKIP_2) | instid1(SALU_CYCLE_1)
	s_ashr_i32 s9, s8, 4
	s_cmp_lt_i32 s8, s17
	s_cselect_b32 s8, s9, s4
	s_ashr_i32 s9, s8, 31
	s_delay_alu instid0(SALU_CYCLE_1) | instskip(NEXT) | instid1(SALU_CYCLE_1)
	s_lshl_b64 s[8:9], s[8:9], 2
	s_add_u32 s8, s13, s8
	s_addc_u32 s9, s16, s9
	;; [unrolled: 10-line block ×5, first 2 shown]
	s_clause 0x5
	s_load_b32 s28, s[2:3], 0x0
	s_load_b32 s29, s[6:7], 0x0
	;; [unrolled: 1-line block ×6, first 2 shown]
	s_mov_b32 s20, 0
	s_or_b32 s2, s12, 0xc0
	s_mov_b32 s21, s20
	s_mov_b32 s22, s20
	;; [unrolled: 1-line block ×5, first 2 shown]
	v_lshlrev_b32_e32 v1, 4, v0
	s_ashr_i32 s3, s2, 4
	s_cmp_lt_i32 s2, s17
	s_cselect_b32 s2, s3, s4
	s_delay_alu instid0(VALU_DEP_1) | instskip(SKIP_1) | instid1(SALU_CYCLE_1)
	v_and_b32_e32 v1, 0xf0, v1
	s_ashr_i32 s3, s2, 31
	s_lshl_b64 s[2:3], s[2:3], 2
	s_delay_alu instid0(VALU_DEP_1) | instskip(NEXT) | instid1(VALU_DEP_1)
	v_add_co_u32 v1, s26, s26, v1
	v_add_co_ci_u32_e64 v2, null, s27, 0, s26
	s_add_u32 s2, s13, s2
	s_addc_u32 s3, s16, s3
	s_or_b32 s6, s12, 0xe0
	s_mov_b32 s27, s20
	s_ashr_i32 s7, s6, 4
	s_cmp_lt_i32 s6, s17
	s_mov_b32 s26, s20
	s_cselect_b32 s6, s7, s4
	v_mov_b32_e32 v102, s27
	v_mov_b32_e32 v96, s21
	s_ashr_i32 s7, s6, 31
	v_mov_b32_e32 v101, s26
	s_lshl_b64 s[6:7], s[6:7], 2
	v_dual_mov_b32 v100, s25 :: v_dual_mov_b32 v99, s24
	v_dual_mov_b32 v98, s23 :: v_dual_mov_b32 v97, s22
	v_mov_b32_e32 v95, s20
	s_waitcnt vmcnt(1)
	v_mad_i64_i32 v[33:34], null, v5, s5, v[1:2]
	s_waitcnt vmcnt(0)
	v_mad_i64_i32 v[35:36], null, v3, s5, v[1:2]
	s_clause 0xf
	global_load_b128 v[1:4], v[33:34], off
	global_load_b128 v[5:8], v[33:34], off offset:256
	global_load_b128 v[9:12], v[35:36], off
	global_load_b128 v[13:16], v[35:36], off offset:256
	global_load_b128 v[17:20], v[33:34], off offset:512
	;; [unrolled: 1-line block ×13, first 2 shown]
	v_and_b32_e32 v33, 7, v0
	v_lshlrev_b32_e32 v34, 4, v69
	s_delay_alu instid0(VALU_DEP_2) | instskip(NEXT) | instid1(VALU_DEP_2)
	v_lshlrev_b32_e32 v139, 6, v33
	v_lshl_or_b32 v41, v68, 8, v34
	ds_load_b128 v[33:36], v139
	ds_load_b128 v[37:40], v139 offset:1024
	ds_load_b128 v[103:106], v139 offset:2048
	;; [unrolled: 1-line block ×3, first 2 shown]
	s_load_b32 s4, s[2:3], 0x0
	s_add_u32 s2, s13, s6
	s_addc_u32 s3, s16, s7
	ds_load_b128 v[111:114], v139 offset:4096
	ds_load_b128 v[115:118], v139 offset:5120
	s_load_b32 s2, s[2:3], 0x0
	s_add_u32 s6, s10, s15
	s_addc_u32 s7, s11, s19
	v_add_co_u32 v127, s6, s6, v41
	s_delay_alu instid0(VALU_DEP_1) | instskip(SKIP_1) | instid1(VALU_DEP_1)
	v_add_co_ci_u32_e64 v128, null, s7, 0, s6
	s_waitcnt lgkmcnt(0)
	v_mad_i64_i32 v[41:42], null, s28, s5, v[127:128]
	v_mad_i64_i32 v[129:130], null, s8, s5, v[127:128]
	v_mad_i64_i32 v[131:132], null, s9, s5, v[127:128]
	v_mad_i64_i32 v[133:134], null, s34, s5, v[127:128]
	v_mad_i64_i32 v[45:46], null, s29, s5, v[127:128]
	v_mad_i64_i32 v[135:136], null, s35, s5, v[127:128]
	v_mad_i64_i32 v[137:138], null, s4, s5, v[127:128]
	s_clause 0x3
	global_load_b128 v[49:52], v[41:42], off
	global_load_b128 v[53:56], v[41:42], off offset:16
	global_load_b128 v[41:44], v[45:46], off
	global_load_b128 v[45:48], v[45:46], off offset:16
	s_waitcnt vmcnt(18)
	v_wmma_f32_16x16x16_f16 v[119:126], v[1:8], v[33:40], v[95:102]
	s_waitcnt vmcnt(16)
	v_wmma_f32_16x16x16_f16 v[95:102], v[9:16], v[33:40], v[95:102]
	s_clause 0x3
	global_load_b128 v[33:36], v[129:130], off
	global_load_b128 v[37:40], v[129:130], off offset:16
	global_load_b128 v[1:4], v[131:132], off
	global_load_b128 v[5:8], v[131:132], off offset:16
	s_waitcnt vmcnt(18)
	v_wmma_f32_16x16x16_f16 v[119:126], v[17:24], v[103:110], v[119:126]
	s_clause 0x3
	global_load_b128 v[9:12], v[133:134], off
	global_load_b128 v[13:16], v[133:134], off offset:16
	global_load_b128 v[17:20], v[135:136], off
	global_load_b128 v[21:24], v[135:136], off offset:16
	s_waitcnt vmcnt(20)
	v_wmma_f32_16x16x16_f16 v[95:102], v[25:32], v[103:110], v[95:102]
	v_mad_i64_i32 v[103:104], null, s2, s5, v[127:128]
	s_waitcnt vmcnt(18)
	v_wmma_f32_16x16x16_f16 v[119:126], v[57:64], v[111:118], v[119:126]
	s_clause 0x1
	global_load_b128 v[25:28], v[137:138], off
	global_load_b128 v[29:32], v[137:138], off offset:16
	s_waitcnt vmcnt(18)
	v_wmma_f32_16x16x16_f16 v[95:102], v[71:78], v[111:118], v[95:102]
	s_clause 0x1
	global_load_b128 v[57:60], v[103:104], off
	global_load_b128 v[61:64], v[103:104], off offset:16
	ds_load_b128 v[71:74], v139 offset:6144
	ds_load_b128 v[75:78], v139 offset:7168
	v_mbcnt_lo_u32_b32 v104, -1, 0
	s_waitcnt vmcnt(0) lgkmcnt(0)
	s_barrier
	buffer_gl0_inv
	v_xor_b32_e32 v105, 16, v104
	s_delay_alu instid0(VALU_DEP_1) | instskip(SKIP_4) | instid1(VALU_DEP_2)
	v_cmp_gt_i32_e32 vcc_lo, 32, v105
	v_cndmask_b32_e32 v104, v104, v105, vcc_lo
	v_wmma_f32_16x16x16_f16 v[95:102], v[87:94], v[71:78], v[95:102]
	v_and_b32_e32 v103, 0xe0, v0
	v_wmma_f32_16x16x16_f16 v[119:126], v[79:86], v[71:78], v[119:126]
	v_dual_mul_f32 v90, s18, v101 :: v_dual_add_nc_u32 v103, s12, v103
	s_delay_alu instid0(VALU_DEP_2) | instskip(NEXT) | instid1(VALU_DEP_3)
	v_dual_mul_f32 v94, s18, v97 :: v_dual_mul_f32 v87, s18, v120
	v_dual_mul_f32 v88, s18, v119 :: v_dual_mul_f32 v77, s18, v122
	s_delay_alu instid0(VALU_DEP_3) | instskip(SKIP_3) | instid1(VALU_DEP_4)
	v_or_b32_e32 v103, v103, v66
	v_dual_mul_f32 v78, s18, v121 :: v_dual_mul_f32 v75, s18, v124
	v_dual_mul_f32 v76, s18, v123 :: v_dual_mul_f32 v73, s18, v126
	v_mul_f32_e32 v92, s18, v99
	v_or_b32_e32 v105, 2, v103
	v_or_b32_e32 v106, 4, v103
	;; [unrolled: 1-line block ×3, first 2 shown]
	v_cmp_gt_i32_e64 s2, s17, v103
	v_or_b32_e32 v108, 8, v103
	v_cmp_gt_i32_e32 vcc_lo, s17, v105
	v_or_b32_e32 v109, 10, v103
	v_cmp_gt_i32_e64 s3, s17, v106
	v_cndmask_b32_e64 v88, 0xff7fffff, v88, s2
	v_cmp_gt_i32_e64 s4, s17, v107
	v_cndmask_b32_e32 v87, 0xff7fffff, v87, vcc_lo
	v_or_b32_e32 v79, 12, v103
	v_or_b32_e32 v80, 14, v103
	v_cndmask_b32_e64 v78, 0xff7fffff, v78, s3
	v_cndmask_b32_e64 v77, 0xff7fffff, v77, s4
	v_max3_f32 v87, v88, 0xff7fffff, v87
	v_cmp_gt_i32_e64 s5, s17, v108
	v_cmp_gt_i32_e64 s6, s17, v109
	v_or_b32_e32 v81, 16, v103
	v_or_b32_e32 v82, 18, v103
	v_mul_f32_e32 v74, s18, v125
	v_cndmask_b32_e64 v76, 0xff7fffff, v76, s5
	v_cndmask_b32_e64 v75, 0xff7fffff, v75, s6
	v_max3_f32 v77, v87, v78, v77
	v_cmp_gt_i32_e64 s7, s17, v79
	v_cmp_gt_i32_e64 s8, s17, v80
	v_or_b32_e32 v83, 20, v103
	v_or_b32_e32 v84, 22, v103
	;; [unrolled: 1-line block ×6, first 2 shown]
	v_mul_f32_e32 v105, s18, v96
	v_mul_f32_e32 v103, s18, v95
	v_cndmask_b32_e64 v74, 0xff7fffff, v74, s7
	v_cndmask_b32_e64 v73, 0xff7fffff, v73, s8
	v_max3_f32 v75, v77, v76, v75
	v_cmp_gt_i32_e64 s9, s17, v81
	v_cmp_gt_i32_e64 s10, s17, v82
	v_mul_f32_e32 v93, s18, v98
	v_cmp_gt_i32_e64 s11, s17, v83
	v_max3_f32 v73, v75, v74, v73
	v_cndmask_b32_e64 v76, 0xff7fffff, v103, s9
	v_cndmask_b32_e64 v77, 0xff7fffff, v105, s10
	v_cmp_gt_i32_e64 s12, s17, v84
	v_mul_f32_e32 v91, s18, v100
	v_cndmask_b32_e64 v74, 0xff7fffff, v94, s11
	v_cmp_gt_i32_e64 s13, s17, v85
	v_max3_f32 v73, v73, v76, v77
	v_cndmask_b32_e64 v75, 0xff7fffff, v93, s12
	v_cmp_gt_i32_e64 s15, s17, v86
	v_mul_f32_e32 v89, s18, v102
	v_cndmask_b32_e64 v76, 0xff7fffff, v92, s13
	v_cmp_gt_i32_e64 s16, s17, v71
	v_max3_f32 v73, v73, v74, v75
	v_cndmask_b32_e64 v77, 0xff7fffff, v91, s15
	v_cmp_gt_i32_e64 s17, s17, v72
	v_lshlrev_b32_e32 v74, 2, v104
	v_cndmask_b32_e64 v71, 0xff7fffff, v90, s16
	s_delay_alu instid0(VALU_DEP_4) | instskip(NEXT) | instid1(VALU_DEP_4)
	v_max3_f32 v73, v73, v76, v77
	v_cndmask_b32_e64 v72, 0xff7fffff, v89, s17
	s_delay_alu instid0(VALU_DEP_1) | instskip(SKIP_3) | instid1(VALU_DEP_1)
	v_max3_f32 v71, v73, v71, v72
	ds_bpermute_b32 v72, v74, v71
	s_waitcnt lgkmcnt(0)
	v_max_f32_e32 v72, v72, v72
	v_max_f32_e32 v71, v71, v72
	s_delay_alu instid0(VALU_DEP_1)
	v_fma_f32 v72, s18, v119, -v71
	v_fma_f32 v76, s18, v122, -v71
	;; [unrolled: 1-line block ×5, first 2 shown]
	v_mul_f32_e32 v72, 0x3fb8aa3b, v72
	v_mul_f32_e32 v76, 0x3fb8aa3b, v76
	v_fma_f32 v75, s18, v121, -v71
	v_mul_f32_e32 v79, 0x3fb8aa3b, v77
	v_mul_f32_e32 v87, 0x3fb8aa3b, v86
	v_exp_f32_e32 v72, v72
	v_exp_f32_e32 v76, v76
	v_fma_f32 v81, s18, v125, -v71
	v_exp_f32_e32 v82, v79
	v_exp_f32_e32 v87, v87
	v_fma_f32 v84, s18, v96, -v71
	s_delay_alu instid0(VALU_DEP_2) | instskip(SKIP_3) | instid1(TRANS32_DEP_3)
	v_mul_f32_e32 v81, 0x3fb8aa3b, v81
	v_cndmask_b32_e64 v78, 0, v72, s2
	v_fma_f32 v72, s18, v124, -v71
	v_mul_f32_e32 v73, 0x3fb8aa3b, v73
	v_cndmask_b32_e64 v79, 0, v76, s4
	v_fma_f32 v76, s18, v95, -v71
	s_delay_alu instid0(VALU_DEP_4) | instskip(NEXT) | instid1(VALU_DEP_4)
	v_dual_mul_f32 v75, 0x3fb8aa3b, v75 :: v_dual_mul_f32 v72, 0x3fb8aa3b, v72
	v_exp_f32_e32 v73, v73
	v_cndmask_b32_e64 v87, 0, v87, s12
	s_delay_alu instid0(VALU_DEP_3) | instskip(NEXT) | instid1(VALU_DEP_3)
	v_mul_f32_e32 v76, 0x3fb8aa3b, v76
	v_exp_f32_e32 v75, v75
	v_exp_f32_e32 v72, v72
	;; [unrolled: 1-line block ×3, first 2 shown]
	v_cndmask_b32_e64 v82, 0, v82, s5
	v_mul_f32_e32 v85, 0x3fb8aa3b, v84
	v_exp_f32_e32 v76, v76
	s_mov_b32 s2, exec_lo
	v_cndmask_b32_e32 v77, 0, v73, vcc_lo
	v_add_f32_e32 v73, 0, v78
	v_exp_f32_e32 v85, v85
	v_cndmask_b32_e64 v80, 0, v75, s3
	v_fma_f32 v75, s18, v126, -v71
	v_cndmask_b32_e64 v81, 0, v72, s6
	v_add_f32_e32 v73, v73, v77
	v_cndmask_b32_e64 v84, 0, v83, s7
	v_cndmask_b32_e64 v86, 0, v76, s9
	v_mul_f32_e32 v75, 0x3fb8aa3b, v75
	s_delay_alu instid0(VALU_DEP_4) | instskip(NEXT) | instid1(TRANS32_DEP_1)
	v_add_f32_e32 v73, v73, v80
	v_cndmask_b32_e64 v85, 0, v85, s10
	s_delay_alu instid0(VALU_DEP_3) | instskip(NEXT) | instid1(VALU_DEP_2)
	v_exp_f32_e32 v75, v75
	v_add_f32_e32 v73, v73, v79
	s_delay_alu instid0(VALU_DEP_1) | instskip(SKIP_3) | instid1(VALU_DEP_1)
	v_add_f32_e32 v72, v73, v82
	s_waitcnt_depctr 0xfff
	v_cndmask_b32_e64 v83, 0, v75, s8
	v_add_f32_e32 v72, v72, v81
	v_add_f32_e32 v72, v72, v84
	s_delay_alu instid0(VALU_DEP_1) | instskip(NEXT) | instid1(VALU_DEP_1)
	v_add_f32_e32 v72, v72, v83
	v_add_f32_e32 v72, v72, v86
	s_delay_alu instid0(VALU_DEP_1) | instskip(SKIP_4) | instid1(VALU_DEP_4)
	v_add_f32_e32 v72, v72, v85
	v_fma_f32 v73, s18, v97, -v71
	v_fma_f32 v75, s18, v99, -v71
	;; [unrolled: 1-line block ×4, first 2 shown]
	v_mul_f32_e32 v73, 0x3fb8aa3b, v73
	s_delay_alu instid0(VALU_DEP_3) | instskip(NEXT) | instid1(VALU_DEP_2)
	v_dual_mul_f32 v75, 0x3fb8aa3b, v75 :: v_dual_mul_f32 v76, 0x3fb8aa3b, v76
	v_exp_f32_e32 v73, v73
	s_delay_alu instid0(VALU_DEP_1) | instskip(NEXT) | instid1(VALU_DEP_1)
	v_exp_f32_e32 v75, v75
	v_exp_f32_e32 v76, v76
	s_delay_alu instid0(TRANS32_DEP_3)
	v_cndmask_b32_e64 v88, 0, v73, s11
	v_mul_f32_e32 v73, 0x3fb8aa3b, v89
	v_fma_f32 v89, s18, v102, -v71
	s_waitcnt_depctr 0xfff
	v_cndmask_b32_e64 v90, 0, v75, s13
	v_add_f32_e32 v72, v72, v88
	v_exp_f32_e32 v73, v73
	v_mul_f32_e32 v75, 0x3fb8aa3b, v89
	v_cndmask_b32_e64 v89, 0, v76, s15
	s_delay_alu instid0(VALU_DEP_3) | instskip(NEXT) | instid1(VALU_DEP_3)
	v_add_f32_e32 v72, v72, v87
	v_exp_f32_e32 v75, v75
	s_delay_alu instid0(VALU_DEP_1) | instskip(SKIP_4) | instid1(VALU_DEP_2)
	v_add_f32_e32 v72, v72, v90
	s_waitcnt_depctr 0xfff
	v_cndmask_b32_e64 v92, 0, v73, s16
	v_add_f32_e32 v72, v72, v89
	v_cndmask_b32_e64 v91, 0, v75, s17
	v_add_f32_e32 v72, v72, v92
	s_delay_alu instid0(VALU_DEP_1)
	v_add_f32_e32 v72, v72, v91
	ds_bpermute_b32 v73, v74, v72
	v_cmpx_gt_u32_e32 16, v70
	s_cbranch_execz .LBB1269_12
; %bb.11:
	v_mul_u32_u24_e32 v70, 0x44, v68
	s_waitcnt lgkmcnt(0)
	v_add_f32_e32 v72, v72, v73
	s_delay_alu instid0(VALU_DEP_2) | instskip(NEXT) | instid1(VALU_DEP_1)
	v_lshl_add_u32 v70, v69, 2, v70
	v_add_nc_u32_e32 v70, 0x4000, v70
	ds_store_2addr_b32 v70, v71, v72 offset1:136
.LBB1269_12:
	s_or_b32 exec_lo, exec_lo, s2
	v_lshlrev_b32_e32 v70, 2, v69
	s_load_b32 s34, s[0:1], 0x94
	s_waitcnt lgkmcnt(0)
	s_barrier
	buffer_gl0_inv
	v_add_nc_u32_e32 v74, 0x4000, v70
	v_cmp_eq_u32_e32 vcc_lo, 1, v68
	v_cmp_eq_u32_e64 s2, 2, v68
	v_cmp_eq_u32_e64 s3, 3, v68
	;; [unrolled: 1-line block ×3, first 2 shown]
	ds_load_2addr_b32 v[70:71], v74 offset1:17
	ds_load_2addr_b32 v[72:73], v74 offset0:34 offset1:51
	ds_load_2addr_b32 v[93:94], v74 offset0:68 offset1:85
	;; [unrolled: 1-line block ×3, first 2 shown]
	v_cmp_eq_u32_e64 s5, 5, v68
	v_cmp_eq_u32_e64 s6, 7, v68
	s_waitcnt lgkmcnt(3)
	v_max3_f32 v75, v70, 0xff7fffff, v71
	s_waitcnt lgkmcnt(2)
	s_delay_alu instid0(VALU_DEP_1) | instskip(SKIP_1) | instid1(VALU_DEP_1)
	v_max3_f32 v75, v75, v72, v73
	s_waitcnt lgkmcnt(1)
	v_max3_f32 v75, v75, v93, v94
	s_waitcnt lgkmcnt(0)
	s_delay_alu instid0(VALU_DEP_1) | instskip(NEXT) | instid1(VALU_DEP_1)
	v_max3_f32 v75, v75, v95, v96
	v_sub_f32_e32 v93, v93, v75
	ds_load_2addr_b32 v[97:98], v74 offset0:136 offset1:153
	v_sub_f32_e32 v70, v70, v75
	v_dual_sub_f32 v100, v73, v75 :: v_dual_mul_f32 v103, 0x3fb8aa3b, v93
	s_delay_alu instid0(VALU_DEP_2) | instskip(SKIP_3) | instid1(VALU_DEP_1)
	v_dual_sub_f32 v76, v71, v75 :: v_dual_mul_f32 v99, 0x3fb8aa3b, v70
	ds_load_2addr_b32 v[70:71], v74 offset0:170 offset1:187
	v_mul_f32_e32 v76, 0x3fb8aa3b, v76
	v_exp_f32_e32 v99, v99
	v_exp_f32_e32 v102, v76
	v_mul_f32_e32 v100, 0x3fb8aa3b, v100
	s_waitcnt lgkmcnt(1)
	s_waitcnt_depctr 0xfff
	v_fma_f32 v76, v99, v97, 0
	v_sub_f32_e32 v97, v94, v75
	v_sub_f32_e32 v72, v72, v75
	v_exp_f32_e32 v100, v100
	ds_load_2addr_b32 v[93:94], v74 offset0:238 offset1:255
	v_dual_fmac_f32 v76, v102, v98 :: v_dual_mul_f32 v101, 0x3fb8aa3b, v72
	ds_load_2addr_b32 v[72:73], v74 offset0:204 offset1:221
	v_dual_sub_f32 v74, v95, v75 :: v_dual_mul_f32 v95, 0x3fb8aa3b, v97
	v_exp_f32_e32 v97, v103
	v_exp_f32_e32 v101, v101
	s_waitcnt lgkmcnt(0)
	s_barrier
	v_exp_f32_e32 v95, v95
	buffer_gl0_inv
	v_fmac_f32_e32 v76, v101, v70
	v_sub_f32_e32 v70, v96, v75
	s_delay_alu instid0(VALU_DEP_2) | instskip(NEXT) | instid1(VALU_DEP_2)
	v_fmac_f32_e32 v76, v100, v71
	v_mul_f32_e32 v70, 0x3fb8aa3b, v70
	s_delay_alu instid0(VALU_DEP_2)
	v_dual_cndmask_b32 v71, v99, v102 :: v_dual_fmac_f32 v76, v97, v72
	v_lshlrev_b32_e32 v72, 6, v69
	v_lshlrev_b32_e32 v69, 2, v66
	v_mul_f32_e32 v74, 0x3fb8aa3b, v74
	v_exp_f32_e32 v98, v70
	v_fmac_f32_e32 v76, v95, v73
	s_delay_alu instid0(VALU_DEP_3) | instskip(NEXT) | instid1(VALU_DEP_3)
	v_cmp_eq_u32_e64 s7, 7, v69
	v_exp_f32_e32 v96, v74
	v_lshl_or_b32 v74, v68, 11, v72
	s_waitcnt_depctr 0xfff
	v_fmac_f32_e32 v76, v96, v93
	s_delay_alu instid0(VALU_DEP_1) | instskip(NEXT) | instid1(VALU_DEP_1)
	v_fmac_f32_e32 v76, v98, v94
	v_add_f32_e32 v73, 0x358637bd, v76
	s_delay_alu instid0(VALU_DEP_1) | instskip(SKIP_1) | instid1(VALU_DEP_2)
	v_div_scale_f32 v93, null, v73, v73, 1.0
	v_div_scale_f32 v99, vcc_lo, 1.0, v73, 1.0
	v_rcp_f32_e32 v94, v93
	s_waitcnt_depctr 0xfff
	v_fma_f32 v70, -v93, v94, 1.0
	s_delay_alu instid0(VALU_DEP_1)
	v_fmac_f32_e32 v94, v70, v94
	v_cndmask_b32_e64 v70, v71, v101, s2
	v_cmp_eq_u32_e64 s2, 6, v68
	v_or_b32_e32 v71, 1, v69
	v_or_b32_e32 v68, 2, v69
	v_mul_f32_e32 v101, v99, v94
	v_cndmask_b32_e64 v70, v70, v100, s3
	v_cmp_eq_u32_e64 s3, 1, v69
	v_cmp_eq_u32_e64 s8, 1, v71
	;; [unrolled: 1-line block ×3, first 2 shown]
	v_fma_f32 v100, -v93, v101, v99
	v_cndmask_b32_e64 v70, v70, v97, s4
	v_cmp_eq_u32_e64 s4, 2, v69
	v_cmp_eq_u32_e64 s11, 2, v71
	;; [unrolled: 1-line block ×3, first 2 shown]
	v_fmac_f32_e32 v101, v100, v94
	v_cndmask_b32_e64 v95, v70, v95, s5
	v_or_b32_e32 v70, 3, v69
	v_cmp_eq_u32_e64 s12, 3, v71
	v_cmp_eq_u32_e64 s16, 3, v68
	v_fma_f32 v93, -v93, v101, v99
	v_cndmask_b32_e64 v95, v95, v96, s2
	v_cmp_eq_u32_e64 s10, 1, v70
	v_cmp_eq_u32_e64 s15, 2, v70
	;; [unrolled: 1-line block ×3, first 2 shown]
	v_div_fmas_f32 v93, v93, v94, v101
	v_cndmask_b32_e64 v94, v95, v98, s6
	v_cmp_eq_u32_e32 vcc_lo, 3, v69
	v_cmp_eq_u32_e64 s2, 4, v69
	v_cmp_eq_u32_e64 s18, 4, v71
	v_div_fixup_f32 v93, v93, v73, 1.0
	v_lshl_or_b32 v73, v66, 4, v74
	v_cmp_eq_u32_e64 s21, 4, v70
	v_cmp_eq_u32_e64 s5, 5, v69
	;; [unrolled: 1-line block ×3, first 2 shown]
	v_mul_f32_e32 v101, v94, v93
	v_cmp_eq_u32_e64 s20, 4, v68
	v_cmp_eq_u32_e64 s23, 5, v70
	;; [unrolled: 1-line block ×4, first 2 shown]
	v_fma_mixlo_f16 v93, v101, v78, 0
	v_fma_mixlo_f16 v94, v101, v80, 0
	v_fma_mixlo_f16 v95, v101, v82, 0
	v_fma_mixlo_f16 v96, v101, v84, 0
	v_fma_mixlo_f16 v97, v101, v86, 0
	v_fma_mixlo_f16 v98, v101, v88, 0
	v_fma_mixlo_f16 v99, v101, v90, 0
	v_fma_mixlo_f16 v100, v101, v92, 0
	v_fma_mixhi_f16 v93, v101, v77, 0
	v_fma_mixhi_f16 v94, v101, v79, 0
	;; [unrolled: 1-line block ×8, first 2 shown]
	ds_store_b128 v73, v[93:96]
	ds_store_b128 v73, v[97:100] offset:1024
	s_waitcnt lgkmcnt(0)
	s_barrier
	buffer_gl0_inv
	ds_load_b128 v[77:80], v74
	ds_load_b128 v[81:84], v74 offset:16
	ds_load_b128 v[85:88], v74 offset:1024
	;; [unrolled: 1-line block ×3, first 2 shown]
	v_cmp_eq_u32_e64 s26, 6, v70
	v_cmp_eq_u32_e64 s6, 6, v69
	;; [unrolled: 1-line block ×6, first 2 shown]
	s_waitcnt lgkmcnt(3)
	v_lshrrev_b32_e32 v93, 16, v77
	s_waitcnt lgkmcnt(2)
	v_lshrrev_b32_e32 v97, 16, v81
	;; [unrolled: 2-line block ×4, first 2 shown]
	v_lshrrev_b32_e32 v94, 16, v78
	v_cndmask_b32_e64 v109, v77, v93, s3
	v_cndmask_b32_e64 v110, v81, v97, s3
	;; [unrolled: 1-line block ×8, first 2 shown]
	v_lshrrev_b32_e32 v98, 16, v82
	v_cndmask_b32_e64 v93, v85, v101, s3
	v_cndmask_b32_e64 v97, v89, v105, s3
	;; [unrolled: 1-line block ×15, first 2 shown]
	v_lshrrev_b32_e32 v102, 16, v86
	v_lshrrev_b32_e32 v106, 16, v90
	v_cndmask_b32_e64 v112, v114, v82, s13
	v_cndmask_b32_e64 v81, v93, v86, s4
	;; [unrolled: 1-line block ×7, first 2 shown]
	v_cndmask_b32_e32 v89, v101, v94, vcc_lo
	v_cndmask_b32_e32 v101, v105, v98, vcc_lo
	v_cndmask_b32_e64 v105, v109, v94, s12
	v_cndmask_b32_e64 v109, v110, v98, s12
	;; [unrolled: 1-line block ×4, first 2 shown]
	v_lshrrev_b32_e32 v95, 16, v79
	v_lshrrev_b32_e32 v99, 16, v83
	v_cndmask_b32_e64 v110, v111, v94, s16
	v_cndmask_b32_e64 v111, v112, v98, s16
	v_cndmask_b32_e32 v81, v81, v102, vcc_lo
	v_cndmask_b32_e32 v82, v82, v106, vcc_lo
	v_cndmask_b32_e64 v93, v93, v102, s12
	v_cndmask_b32_e64 v89, v89, v79, s2
	;; [unrolled: 1-line block ×7, first 2 shown]
	v_lshrrev_b32_e32 v103, 16, v87
	v_cndmask_b32_e64 v105, v110, v79, s20
	v_cndmask_b32_e64 v109, v111, v83, s20
	;; [unrolled: 1-line block ×11, first 2 shown]
	v_lshrrev_b32_e32 v96, 16, v80
	v_lshrrev_b32_e32 v100, 16, v84
	v_cndmask_b32_e64 v98, v105, v95, s22
	v_cndmask_b32_e64 v101, v109, v99, s22
	;; [unrolled: 1-line block ×7, first 2 shown]
	v_lshrrev_b32_e32 v104, 16, v88
	v_cndmask_b32_e64 v79, v79, v103, s5
	v_cndmask_b32_e64 v83, v83, v80, s6
	;; [unrolled: 1-line block ×16, first 2 shown]
	v_perm_b32 v80, v78, v77, 0x5040100
	v_perm_b32 v78, v94, v84, 0x5040100
	v_cndmask_b32_e64 v77, v118, v90, s13
	v_cndmask_b32_e64 v84, v116, v90, s11
	;; [unrolled: 1-line block ×3, first 2 shown]
	v_perm_b32 v79, v93, v89, 0x5040100
	v_cndmask_b32_e64 v89, v97, v102, s16
	v_cndmask_b32_e64 v85, v85, v102, s17
	;; [unrolled: 1-line block ×5, first 2 shown]
	v_lshrrev_b32_e32 v107, 16, v91
	v_cndmask_b32_e64 v89, v89, v87, s20
	v_cndmask_b32_e64 v85, v85, v87, s21
	;; [unrolled: 1-line block ×11, first 2 shown]
	v_lshrrev_b32_e32 v108, 16, v92
	v_cndmask_b32_e64 v81, v81, v92, s6
	v_cndmask_b32_e64 v87, v87, v88, s25
	;; [unrolled: 1-line block ×12, first 2 shown]
	v_perm_b32 v77, v83, v82, 0x5040100
	v_perm_b32 v84, v86, v85, 0x5040100
	;; [unrolled: 1-line block ×5, first 2 shown]
	s_lshl_b32 s7, s33, 3
	s_mov_b32 s2, exec_lo
	ds_store_b128 v73, v[77:80]
	ds_store_b128 v73, v[81:84] offset:1024
	v_cmpx_gt_u32_e32 8, v0
	s_cbranch_execz .LBB1269_14
; %bb.13:
	v_or_b32_e32 v77, s31, v0
	s_load_b128 s[8:11], s[0:1], 0x58
	s_delay_alu instid0(VALU_DEP_1) | instskip(NEXT) | instid1(VALU_DEP_1)
	v_mad_u64_u32 v[78:79], null, s7, s30, v[77:78]
	v_mad_u64_u32 v[79:80], null, v78, s34, s[14:15]
	s_delay_alu instid0(VALU_DEP_1) | instskip(NEXT) | instid1(VALU_DEP_1)
	v_ashrrev_i32_e32 v80, 31, v79
	v_lshlrev_b64 v[77:78], 2, v[79:80]
	s_waitcnt lgkmcnt(0)
	s_delay_alu instid0(VALU_DEP_1) | instskip(NEXT) | instid1(VALU_DEP_2)
	v_add_co_u32 v79, vcc_lo, s10, v77
	v_add_co_ci_u32_e32 v80, vcc_lo, s11, v78, vcc_lo
	v_add_co_u32 v77, vcc_lo, s8, v77
	v_add_co_ci_u32_e32 v78, vcc_lo, s9, v78, vcc_lo
	global_store_b32 v[79:80], v75, off
	global_store_b32 v[77:78], v76, off
.LBB1269_14:
	s_or_b32 exec_lo, exec_lo, s2
	s_waitcnt lgkmcnt(0)
	s_waitcnt_vscnt null, 0x0
	s_barrier
	buffer_gl0_inv
	ds_load_b128 v[83:86], v72
	ds_load_b128 v[87:90], v72 offset:16
	ds_load_b128 v[95:98], v72 offset:2064
	;; [unrolled: 1-line block ×5, first 2 shown]
	v_cmp_eq_u32_e32 vcc_lo, 1, v69
	v_mov_b32_e32 v75, 0
	ds_load_b128 v[111:114], v72 offset:6160
	ds_load_b128 v[107:110], v72 offset:6144
	;; [unrolled: 1-line block ×4, first 2 shown]
	v_cmp_eq_u32_e64 s3, 1, v68
	v_cmp_eq_u32_e64 s2, 1, v71
	;; [unrolled: 1-line block ×3, first 2 shown]
	v_mov_b32_e32 v76, v75
	v_mov_b32_e32 v77, v75
	;; [unrolled: 1-line block ×7, first 2 shown]
	v_cmp_eq_u32_e64 s5, 3, v71
	v_cmp_eq_u32_e64 s6, 7, v71
	s_waitcnt lgkmcnt(8)
	s_delay_alu instid0(VALU_DEP_3)
	v_wmma_f32_16x16x16_f16 v[75:82], v[49:56], v[83:90], v[75:82]
	ds_load_b128 v[53:56], v72 offset:10256
	ds_load_b128 v[49:52], v72 offset:10240
	s_waitcnt lgkmcnt(8)
	v_wmma_f32_16x16x16_f16 v[75:82], v[41:48], v[91:98], v[75:82]
	ds_load_b128 v[45:48], v72 offset:12304
	ds_load_b128 v[41:44], v72 offset:12288
	s_waitcnt lgkmcnt(8)
	;; [unrolled: 4-line block ×3, first 2 shown]
	s_barrier
	buffer_gl0_inv
	v_wmma_f32_16x16x16_f16 v[75:82], v[1:8], v[107:114], v[75:82]
	s_delay_alu instid0(VALU_DEP_1) | instskip(NEXT) | instid1(VALU_DEP_1)
	v_wmma_f32_16x16x16_f16 v[75:82], v[9:16], v[115:122], v[75:82]
	v_wmma_f32_16x16x16_f16 v[75:82], v[17:24], v[49:56], v[75:82]
	s_delay_alu instid0(VALU_DEP_1) | instskip(NEXT) | instid1(VALU_DEP_1)
	v_wmma_f32_16x16x16_f16 v[75:82], v[25:32], v[41:48], v[75:82]
	v_wmma_f32_16x16x16_f16 v[75:82], v[57:64], v[33:40], v[75:82]
	s_delay_alu instid0(VALU_DEP_1) | instskip(NEXT) | instid1(VALU_DEP_2)
	v_cvt_f16_f32_e32 v1, v75
	v_cvt_f16_f32_e32 v2, v76
	s_delay_alu instid0(VALU_DEP_3) | instskip(NEXT) | instid1(VALU_DEP_4)
	v_cvt_f16_f32_e32 v3, v77
	v_cvt_f16_f32_e32 v4, v78
	;; [unrolled: 1-line block ×6, first 2 shown]
	v_pack_b32_f16 v1, v1, v2
	v_pack_b32_f16 v2, v3, v4
	;; [unrolled: 1-line block ×3, first 2 shown]
	s_delay_alu instid0(VALU_DEP_4)
	v_pack_b32_f16 v4, v7, v8
	ds_store_b128 v73, v[1:4]
	s_waitcnt lgkmcnt(0)
	s_barrier
	buffer_gl0_inv
	ds_load_b128 v[1:4], v74
	ds_load_b128 v[5:8], v74 offset:16
	s_waitcnt lgkmcnt(1)
	v_lshrrev_b32_e32 v9, 16, v1
	s_waitcnt lgkmcnt(0)
	v_lshrrev_b32_e32 v13, 16, v5
	v_lshrrev_b32_e32 v10, 16, v2
	v_lshrrev_b32_e32 v14, 16, v6
	v_lshrrev_b32_e32 v11, 16, v3
	v_cndmask_b32_e32 v17, v1, v9, vcc_lo
	v_cndmask_b32_e32 v18, v5, v13, vcc_lo
	v_cndmask_b32_e64 v21, v1, v9, s3
	v_cmp_eq_u32_e32 vcc_lo, 1, v70
	v_cndmask_b32_e64 v22, v5, v13, s3
	v_cmp_eq_u32_e64 s3, 2, v69
	v_cndmask_b32_e64 v19, v1, v9, s2
	v_cndmask_b32_e64 v20, v5, v13, s2
	v_cndmask_b32_e32 v1, v1, v9, vcc_lo
	v_cmp_eq_u32_e64 s2, 2, v70
	v_cndmask_b32_e32 v5, v5, v13, vcc_lo
	v_cndmask_b32_e64 v9, v17, v2, s3
	v_cmp_eq_u32_e32 vcc_lo, 3, v69
	v_cndmask_b32_e64 v13, v18, v6, s3
	v_cmp_eq_u32_e64 s3, 2, v68
	v_cndmask_b32_e64 v17, v19, v2, s4
	v_cndmask_b32_e64 v18, v20, v6, s4
	v_cmp_eq_u32_e64 s4, 3, v68
	v_cndmask_b32_e64 v1, v1, v2, s2
	v_cndmask_b32_e64 v19, v21, v2, s3
	;; [unrolled: 1-line block ×4, first 2 shown]
	v_cndmask_b32_e32 v5, v9, v10, vcc_lo
	v_cndmask_b32_e32 v6, v13, v14, vcc_lo
	v_cmp_eq_u32_e32 vcc_lo, 3, v70
	v_cndmask_b32_e64 v9, v17, v10, s5
	v_cndmask_b32_e64 v13, v18, v14, s5
	;; [unrolled: 1-line block ×3, first 2 shown]
	v_cmp_eq_u32_e64 s3, 4, v69
	v_cndmask_b32_e32 v1, v1, v10, vcc_lo
	v_cndmask_b32_e32 v2, v2, v14, vcc_lo
	v_cmp_eq_u32_e32 vcc_lo, 4, v71
	v_lshrrev_b32_e32 v15, 16, v7
	v_lshrrev_b32_e32 v16, 16, v8
	v_cndmask_b32_e64 v17, v19, v10, s4
	v_cmp_eq_u32_e64 s2, 4, v70
	v_cndmask_b32_e64 v5, v5, v3, s3
	v_cndmask_b32_e64 v6, v6, v7, s3
	v_cndmask_b32_e32 v9, v9, v3, vcc_lo
	v_cmp_eq_u32_e64 s3, 5, v71
	v_cndmask_b32_e32 v10, v13, v7, vcc_lo
	v_cmp_eq_u32_e32 vcc_lo, 4, v68
	v_cmp_eq_u32_e64 s4, 5, v69
	v_cndmask_b32_e64 v2, v2, v7, s2
	v_cndmask_b32_e64 v9, v9, v11, s3
	;; [unrolled: 1-line block ×3, first 2 shown]
	v_cndmask_b32_e32 v13, v17, v3, vcc_lo
	v_cmp_eq_u32_e64 s3, 5, v68
	v_cndmask_b32_e32 v14, v18, v7, vcc_lo
	v_cndmask_b32_e64 v1, v1, v3, s2
	v_cmp_eq_u32_e32 vcc_lo, 5, v70
	v_lshrrev_b32_e32 v12, 16, v4
	v_cndmask_b32_e64 v13, v13, v11, s3
	v_cndmask_b32_e64 v3, v14, v15, s3
	v_cmp_eq_u32_e64 s3, 6, v70
	v_cndmask_b32_e32 v1, v1, v11, vcc_lo
	v_cndmask_b32_e64 v5, v5, v11, s4
	v_cmp_eq_u32_e64 s5, 6, v69
	v_cndmask_b32_e64 v6, v6, v15, s4
	v_cmp_eq_u32_e64 s4, 6, v71
	v_cmp_eq_u32_e64 s2, 6, v68
	v_cndmask_b32_e64 v1, v1, v4, s3
	v_cndmask_b32_e32 v2, v2, v15, vcc_lo
	v_cmp_eq_u32_e32 vcc_lo, 7, v70
	v_cndmask_b32_e64 v5, v5, v4, s5
	v_cndmask_b32_e64 v9, v9, v4, s4
	;; [unrolled: 1-line block ×3, first 2 shown]
	v_cmp_eq_u32_e64 s5, 7, v69
	v_cndmask_b32_e32 v1, v1, v12, vcc_lo
	v_cndmask_b32_e64 v7, v13, v4, s2
	v_cndmask_b32_e64 v3, v3, v8, s2
	;; [unrolled: 1-line block ×3, first 2 shown]
	v_cmp_eq_u32_e64 s2, 7, v68
	v_cndmask_b32_e64 v4, v10, v8, s4
	v_cndmask_b32_e64 v5, v5, v12, s5
	;; [unrolled: 1-line block ×3, first 2 shown]
	v_cndmask_b32_e32 v2, v2, v16, vcc_lo
	v_cndmask_b32_e64 v7, v7, v12, s2
	v_cndmask_b32_e64 v3, v3, v16, s2
	;; [unrolled: 1-line block ×4, first 2 shown]
	v_perm_b32 v4, v2, v1, 0x5040100
	s_mov_b32 s2, exec_lo
	v_perm_b32 v3, v3, v7, 0x5040100
	v_perm_b32 v2, v8, v9, 0x5040100
	;; [unrolled: 1-line block ×3, first 2 shown]
	ds_store_b128 v73, v[1:4]
	s_waitcnt lgkmcnt(0)
	s_barrier
	buffer_gl0_inv
	v_cmpx_gt_u32_e32 32, v0
	s_cbranch_execz .LBB1269_2
; %bb.15:
	s_load_b64 s[0:1], s[0:1], 0x68
	s_lshl_b32 s4, s34, 7
	v_or_b32_e32 v2, s31, v66
	s_mul_i32 s2, s4, s30
	v_lshlrev_b32_e32 v1, 10, v0
	s_mul_i32 s2, s2, s7
	v_lshlrev_b32_e32 v3, 4, v67
	v_mul_lo_u32 v0, v2, s4
	s_ashr_i32 s3, s2, 31
	v_lshlrev_b32_e32 v4, 6, v66
	v_and_b32_e32 v1, 0x3800, v1
	v_or_b32_e32 v5, 2, v2
	s_lshl_b64 s[2:3], s[2:3], 1
	v_or_b32_e32 v6, 4, v2
	v_or_b32_e32 v7, 6, v2
	v_or3_b32 v12, v1, v3, v4
	v_ashrrev_i32_e32 v1, 31, v0
	v_mul_lo_u32 v2, v5, s4
	v_mul_lo_u32 v16, v6, s4
	;; [unrolled: 1-line block ×3, first 2 shown]
	s_waitcnt lgkmcnt(0)
	s_add_u32 s2, s0, s2
	s_addc_u32 s3, s1, s3
	s_lshl_b32 s0, s14, 7
	v_lshlrev_b64 v[0:1], 1, v[0:1]
	s_ashr_i32 s1, s0, 31
	v_ashrrev_i32_e32 v3, 31, v2
	s_lshl_b64 s[0:1], s[0:1], 1
	v_ashrrev_i32_e32 v17, 31, v16
	s_add_u32 s0, s2, s0
	s_addc_u32 s1, s3, s1
	v_add_co_u32 v24, s0, s0, v65
	s_delay_alu instid0(VALU_DEP_1) | instskip(SKIP_1) | instid1(VALU_DEP_3)
	v_add_co_ci_u32_e64 v25, null, s1, 0, s0
	v_lshlrev_b64 v[22:23], 1, v[2:3]
	v_add_co_u32 v18, vcc_lo, v24, v0
	s_delay_alu instid0(VALU_DEP_3)
	v_add_co_ci_u32_e32 v19, vcc_lo, v25, v1, vcc_lo
	ds_load_b128 v[0:3], v12
	ds_load_b128 v[4:7], v12 offset:128
	ds_load_b128 v[8:11], v12 offset:256
	;; [unrolled: 1-line block ×3, first 2 shown]
	v_ashrrev_i32_e32 v21, 31, v20
	v_lshlrev_b64 v[16:17], 1, v[16:17]
	v_add_co_u32 v22, vcc_lo, v24, v22
	v_add_co_ci_u32_e32 v23, vcc_lo, v25, v23, vcc_lo
	s_delay_alu instid0(VALU_DEP_4) | instskip(NEXT) | instid1(VALU_DEP_4)
	v_lshlrev_b64 v[20:21], 1, v[20:21]
	v_add_co_u32 v16, vcc_lo, v24, v16
	v_add_co_ci_u32_e32 v17, vcc_lo, v25, v17, vcc_lo
	s_delay_alu instid0(VALU_DEP_3) | instskip(NEXT) | instid1(VALU_DEP_4)
	v_add_co_u32 v20, vcc_lo, v24, v20
	v_add_co_ci_u32_e32 v21, vcc_lo, v25, v21, vcc_lo
	s_waitcnt lgkmcnt(3)
	global_store_b128 v[18:19], v[0:3], off
	s_waitcnt lgkmcnt(2)
	global_store_b128 v[22:23], v[4:7], off
	;; [unrolled: 2-line block ×4, first 2 shown]
	s_nop 0
	s_sendmsg sendmsg(MSG_DEALLOC_VGPRS)
	s_endpgm
	.section	.rodata,"a",@progbits
	.p2align	6, 0x0
	.amdhsa_kernel _Z39paged_attention_ll4mi_QKV_mfma16_kernelIDF16_hLN4vllm18Fp8KVCacheDataTypeE1EDF16_Li16ELi128ELi256ELb0ELi8EL8MFMAType0EEvPKT_PKT0_S8_ifPKiSA_SA_iPKfiiiPfSD_PS3_PT2_iSC_SC_
		.amdhsa_group_segment_fixed_size 17472
		.amdhsa_private_segment_fixed_size 0
		.amdhsa_kernarg_size 400
		.amdhsa_user_sgpr_count 13
		.amdhsa_user_sgpr_dispatch_ptr 0
		.amdhsa_user_sgpr_queue_ptr 0
		.amdhsa_user_sgpr_kernarg_segment_ptr 1
		.amdhsa_user_sgpr_dispatch_id 0
		.amdhsa_user_sgpr_private_segment_size 0
		.amdhsa_wavefront_size32 1
		.amdhsa_uses_dynamic_stack 0
		.amdhsa_enable_private_segment 0
		.amdhsa_system_sgpr_workgroup_id_x 1
		.amdhsa_system_sgpr_workgroup_id_y 1
		.amdhsa_system_sgpr_workgroup_id_z 1
		.amdhsa_system_sgpr_workgroup_info 0
		.amdhsa_system_vgpr_workitem_id 0
		.amdhsa_next_free_vgpr 140
		.amdhsa_next_free_sgpr 36
		.amdhsa_reserve_vcc 1
		.amdhsa_float_round_mode_32 0
		.amdhsa_float_round_mode_16_64 0
		.amdhsa_float_denorm_mode_32 3
		.amdhsa_float_denorm_mode_16_64 3
		.amdhsa_dx10_clamp 1
		.amdhsa_ieee_mode 1
		.amdhsa_fp16_overflow 0
		.amdhsa_workgroup_processor_mode 1
		.amdhsa_memory_ordered 1
		.amdhsa_forward_progress 0
		.amdhsa_shared_vgpr_count 0
		.amdhsa_exception_fp_ieee_invalid_op 0
		.amdhsa_exception_fp_denorm_src 0
		.amdhsa_exception_fp_ieee_div_zero 0
		.amdhsa_exception_fp_ieee_overflow 0
		.amdhsa_exception_fp_ieee_underflow 0
		.amdhsa_exception_fp_ieee_inexact 0
		.amdhsa_exception_int_div_zero 0
	.end_amdhsa_kernel
	.section	.text._Z39paged_attention_ll4mi_QKV_mfma16_kernelIDF16_hLN4vllm18Fp8KVCacheDataTypeE1EDF16_Li16ELi128ELi256ELb0ELi8EL8MFMAType0EEvPKT_PKT0_S8_ifPKiSA_SA_iPKfiiiPfSD_PS3_PT2_iSC_SC_,"axG",@progbits,_Z39paged_attention_ll4mi_QKV_mfma16_kernelIDF16_hLN4vllm18Fp8KVCacheDataTypeE1EDF16_Li16ELi128ELi256ELb0ELi8EL8MFMAType0EEvPKT_PKT0_S8_ifPKiSA_SA_iPKfiiiPfSD_PS3_PT2_iSC_SC_,comdat
.Lfunc_end1269:
	.size	_Z39paged_attention_ll4mi_QKV_mfma16_kernelIDF16_hLN4vllm18Fp8KVCacheDataTypeE1EDF16_Li16ELi128ELi256ELb0ELi8EL8MFMAType0EEvPKT_PKT0_S8_ifPKiSA_SA_iPKfiiiPfSD_PS3_PT2_iSC_SC_, .Lfunc_end1269-_Z39paged_attention_ll4mi_QKV_mfma16_kernelIDF16_hLN4vllm18Fp8KVCacheDataTypeE1EDF16_Li16ELi128ELi256ELb0ELi8EL8MFMAType0EEvPKT_PKT0_S8_ifPKiSA_SA_iPKfiiiPfSD_PS3_PT2_iSC_SC_
                                        ; -- End function
	.section	.AMDGPU.csdata,"",@progbits
; Kernel info:
; codeLenInByte = 6620
; NumSgprs: 38
; NumVgprs: 140
; ScratchSize: 0
; MemoryBound: 0
; FloatMode: 240
; IeeeMode: 1
; LDSByteSize: 17472 bytes/workgroup (compile time only)
; SGPRBlocks: 4
; VGPRBlocks: 17
; NumSGPRsForWavesPerEU: 38
; NumVGPRsForWavesPerEU: 140
; Occupancy: 10
; WaveLimiterHint : 1
; COMPUTE_PGM_RSRC2:SCRATCH_EN: 0
; COMPUTE_PGM_RSRC2:USER_SGPR: 13
; COMPUTE_PGM_RSRC2:TRAP_HANDLER: 0
; COMPUTE_PGM_RSRC2:TGID_X_EN: 1
; COMPUTE_PGM_RSRC2:TGID_Y_EN: 1
; COMPUTE_PGM_RSRC2:TGID_Z_EN: 1
; COMPUTE_PGM_RSRC2:TIDIG_COMP_CNT: 0
	.section	.text._Z39paged_attention_ll4mi_QKV_mfma16_kernelIDF16_hLN4vllm18Fp8KVCacheDataTypeE1EDF16_Li16ELi128ELi256ELb0ELi9EL8MFMAType0EEvPKT_PKT0_S8_ifPKiSA_SA_iPKfiiiPfSD_PS3_PT2_iSC_SC_,"axG",@progbits,_Z39paged_attention_ll4mi_QKV_mfma16_kernelIDF16_hLN4vllm18Fp8KVCacheDataTypeE1EDF16_Li16ELi128ELi256ELb0ELi9EL8MFMAType0EEvPKT_PKT0_S8_ifPKiSA_SA_iPKfiiiPfSD_PS3_PT2_iSC_SC_,comdat
	.protected	_Z39paged_attention_ll4mi_QKV_mfma16_kernelIDF16_hLN4vllm18Fp8KVCacheDataTypeE1EDF16_Li16ELi128ELi256ELb0ELi9EL8MFMAType0EEvPKT_PKT0_S8_ifPKiSA_SA_iPKfiiiPfSD_PS3_PT2_iSC_SC_ ; -- Begin function _Z39paged_attention_ll4mi_QKV_mfma16_kernelIDF16_hLN4vllm18Fp8KVCacheDataTypeE1EDF16_Li16ELi128ELi256ELb0ELi9EL8MFMAType0EEvPKT_PKT0_S8_ifPKiSA_SA_iPKfiiiPfSD_PS3_PT2_iSC_SC_
	.globl	_Z39paged_attention_ll4mi_QKV_mfma16_kernelIDF16_hLN4vllm18Fp8KVCacheDataTypeE1EDF16_Li16ELi128ELi256ELb0ELi9EL8MFMAType0EEvPKT_PKT0_S8_ifPKiSA_SA_iPKfiiiPfSD_PS3_PT2_iSC_SC_
	.p2align	8
	.type	_Z39paged_attention_ll4mi_QKV_mfma16_kernelIDF16_hLN4vllm18Fp8KVCacheDataTypeE1EDF16_Li16ELi128ELi256ELb0ELi9EL8MFMAType0EEvPKT_PKT0_S8_ifPKiSA_SA_iPKfiiiPfSD_PS3_PT2_iSC_SC_,@function
_Z39paged_attention_ll4mi_QKV_mfma16_kernelIDF16_hLN4vllm18Fp8KVCacheDataTypeE1EDF16_Li16ELi128ELi256ELb0ELi9EL8MFMAType0EEvPKT_PKT0_S8_ifPKiSA_SA_iPKfiiiPfSD_PS3_PT2_iSC_SC_: ; @_Z39paged_attention_ll4mi_QKV_mfma16_kernelIDF16_hLN4vllm18Fp8KVCacheDataTypeE1EDF16_Li16ELi128ELi256ELb0ELi9EL8MFMAType0EEvPKT_PKT0_S8_ifPKiSA_SA_iPKfiiiPfSD_PS3_PT2_iSC_SC_
; %bb.0:
	s_load_b64 s[4:5], s[0:1], 0x30
	s_mov_b32 s34, s13
	s_waitcnt lgkmcnt(0)
	s_cmp_lg_u64 s[4:5], 0
	s_cselect_b32 s8, -1, 0
	s_ashr_i32 s35, s13, 31
	s_cmp_eq_u64 s[4:5], 0
	s_cbranch_scc1 .LBB1270_3
; %bb.1:
	s_lshl_b64 s[2:3], s[34:35], 2
	s_delay_alu instid0(SALU_CYCLE_1) | instskip(SKIP_4) | instid1(SALU_CYCLE_1)
	s_add_u32 s2, s4, s2
	s_addc_u32 s3, s5, s3
	s_load_b64 s[2:3], s[2:3], 0x0
	s_waitcnt lgkmcnt(0)
	s_sub_i32 s2, s3, s2
	s_cmp_eq_u32 s2, 1
	s_cselect_b32 s2, -1, 0
	s_delay_alu instid0(SALU_CYCLE_1)
	s_and_not1_b32 vcc_lo, exec_lo, s2
	s_cbranch_vccz .LBB1270_4
.LBB1270_2:
	s_nop 0
	s_sendmsg sendmsg(MSG_DEALLOC_VGPRS)
	s_endpgm
.LBB1270_3:
.LBB1270_4:
	s_load_b64 s[2:3], s[0:1], 0x28
	s_lshl_b64 s[6:7], s[34:35], 2
	s_waitcnt lgkmcnt(0)
	s_add_u32 s2, s2, s6
	s_addc_u32 s3, s3, s7
	s_lshl_b32 s12, s14, 8
	s_load_b32 s24, s[2:3], 0x0
	s_waitcnt lgkmcnt(0)
	s_cmp_ge_i32 s12, s24
	s_cbranch_scc1 .LBB1270_2
; %bb.5:
	s_clause 0x1
	s_load_b128 s[20:23], s[0:1], 0x8
	s_load_b64 s[2:3], s[0:1], 0x20
	s_and_not1_b32 vcc_lo, exec_lo, s8
	s_cbranch_vccnz .LBB1270_7
; %bb.6:
	s_add_u32 s4, s4, s6
	s_addc_u32 s5, s5, s7
	s_load_b32 s5, s[4:5], 0x0
	s_branch .LBB1270_8
.LBB1270_7:
	s_mov_b32 s5, s34
.LBB1270_8:
	s_load_b128 s[16:19], s[0:1], 0x48
	v_and_b32_e32 v68, 15, v0
	v_lshrrev_b32_e32 v69, 5, v0
	v_bfe_u32 v66, v0, 4, 1
	v_and_b32_e32 v70, 31, v0
	v_and_b32_e32 v67, 1, v0
	v_lshlrev_b32_e32 v2, 3, v68
	s_mul_i32 s31, s15, 9
	v_lshl_or_b32 v1, v69, 1, v66
	s_mov_b32 s4, exec_lo
	s_delay_alu instid0(VALU_DEP_2) | instskip(NEXT) | instid1(VALU_DEP_2)
	v_lshlrev_b32_e32 v65, 1, v2
	v_cmpx_gt_u32_e32 9, v1
	s_cbranch_execz .LBB1270_10
; %bb.9:
	s_load_b64 s[6:7], s[0:1], 0x0
	v_add_lshl_u32 v2, v1, s31, 7
	s_waitcnt lgkmcnt(0)
	s_mul_hi_i32 s9, s5, s16
	s_mul_i32 s8, s5, s16
	v_lshlrev_b32_e32 v6, 10, v68
	s_lshl_b64 s[8:9], s[8:9], 1
	v_ashrrev_i32_e32 v3, 31, v2
	v_lshlrev_b32_e32 v1, 6, v1
	v_lshlrev_b32_e32 v7, 10, v67
	v_and_b32_e32 v6, 0x3800, v6
	s_delay_alu instid0(VALU_DEP_4) | instskip(NEXT) | instid1(VALU_DEP_2)
	v_lshlrev_b64 v[2:3], 1, v[2:3]
	v_or3_b32 v1, v6, v7, v1
	s_add_u32 s5, s6, s8
	s_addc_u32 s6, s7, s9
	s_delay_alu instid0(VALU_DEP_2) | instskip(NEXT) | instid1(VALU_DEP_3)
	v_add_co_u32 v2, vcc_lo, s5, v2
	v_add_co_ci_u32_e32 v3, vcc_lo, s6, v3, vcc_lo
	s_delay_alu instid0(VALU_DEP_2) | instskip(NEXT) | instid1(VALU_DEP_2)
	v_add_co_u32 v2, vcc_lo, v2, v65
	v_add_co_ci_u32_e32 v3, vcc_lo, 0, v3, vcc_lo
	global_load_b128 v[2:5], v[2:3], off
	s_waitcnt vmcnt(0)
	ds_store_b128 v1, v[2:5]
.LBB1270_10:
	s_or_b32 exec_lo, exec_lo, s4
	v_and_b32_e32 v1, 0xef, v0
	s_waitcnt lgkmcnt(0)
	s_add_i32 s5, s24, 15
	s_clause 0x1
	s_load_b32 s4, s[0:1], 0x38
	s_load_b32 s33, s[0:1], 0x98
	s_ashr_i32 s6, s5, 31
	v_add_nc_u32_e32 v1, s12, v1
	s_lshr_b32 s6, s6, 28
	s_load_b32 s19, s[0:1], 0x1c
	s_add_i32 s5, s5, s6
	s_waitcnt lgkmcnt(0)
	v_ashrrev_i32_e32 v2, 31, v1
	v_or_b32_e32 v3, 16, v1
	s_ashr_i32 s13, s5, 4
	v_cmp_gt_i32_e32 vcc_lo, s24, v1
	s_add_i32 s13, s13, -1
	v_lshrrev_b32_e32 v2, 28, v2
	s_barrier
	buffer_gl0_inv
	s_mul_i32 s15, s15, s18
	v_add_nc_u32_e32 v4, v1, v2
	s_mul_i32 s4, s34, s4
	s_delay_alu instid0(SALU_CYCLE_1) | instskip(NEXT) | instid1(VALU_DEP_1)
	s_ashr_i32 s5, s4, 31
	v_ashrrev_i32_e32 v4, 4, v4
	v_add_nc_u32_e32 v2, v3, v2
	s_lshl_b64 s[4:5], s[4:5], 2
	s_delay_alu instid0(SALU_CYCLE_1) | instskip(NEXT) | instid1(VALU_DEP_2)
	s_add_u32 s16, s2, s4
	v_cndmask_b32_e32 v1, s13, v4, vcc_lo
	s_delay_alu instid0(VALU_DEP_2)
	v_ashrrev_i32_e32 v2, 4, v2
	v_cmp_gt_i32_e32 vcc_lo, s24, v3
	s_addc_u32 s25, s3, s5
	s_ashr_i32 s18, s15, 31
	s_add_u32 s26, s20, s15
	s_addc_u32 s27, s21, s18
	v_cndmask_b32_e32 v3, s13, v2, vcc_lo
	v_ashrrev_i32_e32 v2, 31, v1
	s_lshl_b32 s2, s14, 4
	s_delay_alu instid0(SALU_CYCLE_1) | instskip(NEXT) | instid1(VALU_DEP_2)
	s_ashr_i32 s3, s2, 31
	v_ashrrev_i32_e32 v4, 31, v3
	s_delay_alu instid0(VALU_DEP_2) | instskip(SKIP_1) | instid1(SALU_CYCLE_1)
	v_lshlrev_b64 v[1:2], 2, v[1:2]
	s_lshl_b64 s[2:3], s[2:3], 2
	s_add_u32 s2, s16, s2
	s_delay_alu instid0(VALU_DEP_2) | instskip(SKIP_1) | instid1(VALU_DEP_2)
	v_lshlrev_b64 v[3:4], 2, v[3:4]
	s_addc_u32 s3, s25, s3
	v_add_co_u32 v1, vcc_lo, s16, v1
	v_add_co_ci_u32_e32 v2, vcc_lo, s25, v2, vcc_lo
	s_delay_alu instid0(VALU_DEP_3) | instskip(NEXT) | instid1(VALU_DEP_4)
	v_add_co_u32 v3, vcc_lo, s16, v3
	v_add_co_ci_u32_e32 v4, vcc_lo, s25, v4, vcc_lo
	s_clause 0x1
	global_load_b32 v5, v[1:2], off
	global_load_b32 v7, v[3:4], off
	s_or_b32 s4, s12, 32
	v_lshlrev_b32_e32 v1, 4, v0
	s_ashr_i32 s5, s4, 4
	s_cmp_lt_i32 s4, s24
	v_cmp_gt_u32_e32 vcc_lo, 9, v68
	s_cselect_b32 s4, s5, s13
	v_and_b32_e32 v1, 0xf0, v1
	s_ashr_i32 s5, s4, 31
	s_delay_alu instid0(SALU_CYCLE_1) | instskip(NEXT) | instid1(SALU_CYCLE_1)
	s_lshl_b64 s[4:5], s[4:5], 2
	s_add_u32 s4, s16, s4
	s_addc_u32 s5, s25, s5
	s_or_b32 s6, s12, 64
	v_add_co_u32 v1, s26, s26, v1
	s_ashr_i32 s7, s6, 4
	s_cmp_lt_i32 s6, s24
	v_add_co_ci_u32_e64 v2, null, s27, 0, s26
	s_cselect_b32 s6, s7, s13
	s_delay_alu instid0(SALU_CYCLE_1) | instskip(NEXT) | instid1(SALU_CYCLE_1)
	s_ashr_i32 s7, s6, 31
	s_lshl_b64 s[6:7], s[6:7], 2
	s_delay_alu instid0(SALU_CYCLE_1) | instskip(SKIP_2) | instid1(SALU_CYCLE_1)
	s_add_u32 s6, s16, s6
	s_addc_u32 s7, s25, s7
	s_or_b32 s8, s12, 0x60
	s_ashr_i32 s9, s8, 4
	s_cmp_lt_i32 s8, s24
	s_cselect_b32 s8, s9, s13
	s_delay_alu instid0(SALU_CYCLE_1) | instskip(NEXT) | instid1(SALU_CYCLE_1)
	s_ashr_i32 s9, s8, 31
	s_lshl_b64 s[8:9], s[8:9], 2
	s_delay_alu instid0(SALU_CYCLE_1) | instskip(SKIP_2) | instid1(SALU_CYCLE_1)
	s_add_u32 s8, s16, s8
	s_addc_u32 s9, s25, s9
	s_or_b32 s10, s12, 0x80
	s_ashr_i32 s11, s10, 4
	s_cmp_lt_i32 s10, s24
	;; [unrolled: 10-line block ×3, first 2 shown]
	s_cselect_b32 s20, s21, s13
	s_delay_alu instid0(SALU_CYCLE_1) | instskip(NEXT) | instid1(SALU_CYCLE_1)
	s_ashr_i32 s21, s20, 31
	s_lshl_b64 s[20:21], s[20:21], 2
	s_delay_alu instid0(SALU_CYCLE_1)
	s_add_u32 s20, s16, s20
	s_addc_u32 s21, s25, s21
	s_clause 0x5
	s_load_b32 s26, s[2:3], 0x0
	s_load_b32 s27, s[4:5], 0x0
	;; [unrolled: 1-line block ×6, first 2 shown]
	s_or_b32 s2, s12, 0xc0
	s_mov_b32 s4, 0
	s_ashr_i32 s3, s2, 4
	s_cmp_lt_i32 s2, s24
	s_mov_b32 s11, s4
	s_cselect_b32 s2, s3, s13
	s_mov_b32 s5, s4
	s_ashr_i32 s3, s2, 31
	s_mov_b32 s6, s4
	s_lshl_b64 s[2:3], s[2:3], 2
	s_mov_b32 s7, s4
	s_add_u32 s2, s16, s2
	s_addc_u32 s3, s25, s3
	s_or_b32 s20, s12, 0xe0
	s_mov_b32 s8, s4
	s_ashr_i32 s21, s20, 4
	s_cmp_lt_i32 s20, s24
	s_mov_b32 s9, s4
	s_cselect_b32 s20, s21, s13
	s_mov_b32 s10, s4
	s_ashr_i32 s21, s20, 31
	v_mov_b32_e32 v118, s11
	v_dual_mov_b32 v112, s5 :: v_dual_mov_b32 v117, s10
	v_dual_mov_b32 v116, s9 :: v_dual_mov_b32 v115, s8
	v_dual_mov_b32 v114, s7 :: v_dual_mov_b32 v113, s6
	v_mov_b32_e32 v111, s4
	s_lshl_b64 s[4:5], s[20:21], 2
	s_delay_alu instid0(SALU_CYCLE_1)
	s_add_u32 s4, s16, s4
	s_addc_u32 s5, s25, s5
	s_add_u32 s6, s22, s15
	s_addc_u32 s7, s23, s18
	s_waitcnt vmcnt(1)
	v_mad_i64_i32 v[3:4], null, v5, s17, v[1:2]
	s_waitcnt vmcnt(0)
	v_mad_i64_i32 v[5:6], null, v7, s17, v[1:2]
	v_add_nc_u32_e32 v1, -9, v68
	v_lshlrev_b32_e32 v2, 4, v68
	s_clause 0xf
	global_load_b128 v[17:20], v[3:4], off
	global_load_b128 v[21:24], v[3:4], off offset:256
	global_load_b128 v[25:28], v[5:6], off
	global_load_b128 v[29:32], v[5:6], off offset:256
	global_load_b128 v[57:60], v[3:4], off offset:512
	;; [unrolled: 1-line block ×13, first 2 shown]
	v_cndmask_b32_e32 v1, v1, v68, vcc_lo
	s_delay_alu instid0(VALU_DEP_1)
	v_lshlrev_b32_e32 v149, 6, v1
	v_lshl_or_b32 v1, v69, 8, v2
	ds_load_b128 v[119:122], v149
	ds_load_b128 v[123:126], v149 offset:1024
	ds_load_b128 v[127:130], v149 offset:2048
	ds_load_b128 v[131:134], v149 offset:3072
	s_clause 0x1
	s_load_b32 s2, s[2:3], 0x0
	s_load_b32 s3, s[4:5], 0x0
	v_add_co_u32 v135, s6, s6, v1
	s_delay_alu instid0(VALU_DEP_1) | instskip(SKIP_1) | instid1(VALU_DEP_1)
	v_add_co_ci_u32_e64 v136, null, s7, 0, s6
	s_waitcnt lgkmcnt(0)
	v_mad_i64_i32 v[1:2], null, s26, s17, v[135:136]
	v_mad_i64_i32 v[3:4], null, s27, s17, v[135:136]
	;; [unrolled: 1-line block ×6, first 2 shown]
	s_clause 0x9
	global_load_b128 v[49:52], v[1:2], off
	global_load_b128 v[53:56], v[1:2], off offset:16
	global_load_b128 v[41:44], v[3:4], off
	global_load_b128 v[45:48], v[3:4], off offset:16
	;; [unrolled: 2-line block ×5, first 2 shown]
	v_mad_i64_i32 v[145:146], null, s2, s17, v[135:136]
	v_mad_i64_i32 v[147:148], null, s3, s17, v[135:136]
	s_waitcnt vmcnt(24)
	v_wmma_f32_16x16x16_f16 v[135:142], v[17:24], v[119:126], v[111:118]
	s_waitcnt vmcnt(22)
	v_wmma_f32_16x16x16_f16 v[111:118], v[25:32], v[119:126], v[111:118]
	s_clause 0x3
	global_load_b128 v[17:20], v[143:144], off
	global_load_b128 v[21:24], v[143:144], off offset:16
	global_load_b128 v[25:28], v[145:146], off
	global_load_b128 v[29:32], v[145:146], off offset:16
	v_and_b32_e32 v119, 0xe0, v0
	s_waitcnt vmcnt(24)
	v_wmma_f32_16x16x16_f16 v[135:142], v[57:64], v[127:134], v[135:142]
	s_clause 0x1
	global_load_b128 v[57:60], v[147:148], off
	global_load_b128 v[61:64], v[147:148], off offset:16
	s_waitcnt vmcnt(24)
	v_wmma_f32_16x16x16_f16 v[111:118], v[71:78], v[127:134], v[111:118]
	ds_load_b128 v[71:74], v149 offset:4096
	ds_load_b128 v[75:78], v149 offset:5120
	v_add_nc_u32_e32 v128, s12, v119
	ds_load_b128 v[119:122], v149 offset:6144
	ds_load_b128 v[123:126], v149 offset:7168
	v_mbcnt_lo_u32_b32 v127, -1, 0
	s_waitcnt vmcnt(0) lgkmcnt(0)
	s_barrier
	v_or_b32_e32 v128, v128, v66
	buffer_gl0_inv
	v_xor_b32_e32 v129, 16, v127
	v_or_b32_e32 v130, 4, v128
	v_or_b32_e32 v131, 6, v128
	s_delay_alu instid0(VALU_DEP_3) | instskip(SKIP_4) | instid1(VALU_DEP_4)
	v_cmp_gt_i32_e32 vcc_lo, 32, v129
	v_or_b32_e32 v132, 8, v128
	v_or_b32_e32 v133, 10, v128
	v_cmp_gt_i32_e64 s3, s24, v130
	v_cmp_gt_i32_e64 s4, s24, v131
	;; [unrolled: 1-line block ×3, first 2 shown]
	v_wmma_f32_16x16x16_f16 v[135:142], v[79:86], v[71:78], v[135:142]
	v_wmma_f32_16x16x16_f16 v[111:118], v[87:94], v[71:78], v[111:118]
	v_or_b32_e32 v79, 12, v128
	v_or_b32_e32 v80, 14, v128
	v_cmp_gt_i32_e64 s6, s24, v133
	v_wmma_f32_16x16x16_f16 v[135:142], v[95:102], v[119:126], v[135:142]
	v_wmma_f32_16x16x16_f16 v[111:118], v[103:110], v[119:126], v[111:118]
	v_cndmask_b32_e32 v127, v127, v129, vcc_lo
	v_or_b32_e32 v129, 2, v128
	v_cmp_gt_i32_e32 vcc_lo, s24, v128
	v_mul_f32_e32 v88, s19, v135
	v_dual_mul_f32 v92, s19, v115 :: v_dual_mul_f32 v87, s19, v136
	s_delay_alu instid0(VALU_DEP_4)
	v_cmp_gt_i32_e64 s2, s24, v129
	v_mul_f32_e32 v78, s19, v138
	v_mul_f32_e32 v86, s19, v137
	v_cndmask_b32_e32 v88, 0xff7fffff, v88, vcc_lo
	v_mul_f32_e32 v76, s19, v140
	v_cndmask_b32_e64 v87, 0xff7fffff, v87, s2
	v_dual_mul_f32 v77, s19, v139 :: v_dual_mul_f32 v94, s19, v113
	v_cndmask_b32_e64 v86, 0xff7fffff, v86, s3
	v_cndmask_b32_e64 v78, 0xff7fffff, v78, s4
	s_delay_alu instid0(VALU_DEP_4)
	v_max3_f32 v87, v88, 0xff7fffff, v87
	v_or_b32_e32 v81, 16, v128
	v_or_b32_e32 v82, 18, v128
	v_dual_mul_f32 v74, s19, v142 :: v_dual_mul_f32 v75, s19, v141
	v_mul_f32_e32 v96, s19, v111
	v_cndmask_b32_e64 v77, 0xff7fffff, v77, s5
	v_cndmask_b32_e64 v76, 0xff7fffff, v76, s6
	v_max3_f32 v78, v87, v86, v78
	v_cmp_gt_i32_e64 s7, s24, v79
	v_cmp_gt_i32_e64 s8, s24, v80
	v_or_b32_e32 v83, 20, v128
	v_or_b32_e32 v84, 22, v128
	v_mul_f32_e32 v95, s19, v112
	v_cndmask_b32_e64 v75, 0xff7fffff, v75, s7
	v_cndmask_b32_e64 v74, 0xff7fffff, v74, s8
	v_max3_f32 v76, v78, v77, v76
	v_cmp_gt_i32_e64 s9, s24, v81
	v_cmp_gt_i32_e64 s10, s24, v82
	v_or_b32_e32 v85, 24, v128
	v_or_b32_e32 v71, 26, v128
	v_mul_f32_e32 v93, s19, v114
	v_cndmask_b32_e64 v77, 0xff7fffff, v96, s9
	v_cndmask_b32_e64 v78, 0xff7fffff, v95, s10
	v_max3_f32 v74, v76, v75, v74
	v_cmp_gt_i32_e64 s11, s24, v83
	v_cmp_gt_i32_e64 s12, s24, v84
	v_or_b32_e32 v72, 28, v128
	v_or_b32_e32 v73, 30, v128
	v_mul_f32_e32 v91, s19, v116
	v_cndmask_b32_e64 v75, 0xff7fffff, v94, s11
	v_cndmask_b32_e64 v76, 0xff7fffff, v93, s12
	v_max3_f32 v74, v74, v77, v78
	v_cmp_gt_i32_e64 s13, s24, v85
	v_cmp_gt_i32_e64 s15, s24, v71
	v_dual_mul_f32 v89, s19, v118 :: v_dual_mul_f32 v90, s19, v117
	s_delay_alu instid0(VALU_DEP_4) | instskip(NEXT) | instid1(VALU_DEP_4)
	v_max3_f32 v74, v74, v75, v76
	v_cndmask_b32_e64 v77, 0xff7fffff, v92, s13
	s_delay_alu instid0(VALU_DEP_4) | instskip(SKIP_2) | instid1(VALU_DEP_3)
	v_cndmask_b32_e64 v71, 0xff7fffff, v91, s15
	v_cmp_gt_i32_e64 s16, s24, v72
	v_cmp_gt_i32_e64 s17, s24, v73
	v_max3_f32 v71, v74, v77, v71
	s_delay_alu instid0(VALU_DEP_3) | instskip(NEXT) | instid1(VALU_DEP_3)
	v_cndmask_b32_e64 v72, 0xff7fffff, v90, s16
	v_cndmask_b32_e64 v73, 0xff7fffff, v89, s17
	v_lshlrev_b32_e32 v74, 2, v127
	s_delay_alu instid0(VALU_DEP_2) | instskip(SKIP_3) | instid1(VALU_DEP_1)
	v_max3_f32 v71, v71, v72, v73
	ds_bpermute_b32 v72, v74, v71
	s_waitcnt lgkmcnt(0)
	v_max_f32_e32 v72, v72, v72
	v_max_f32_e32 v71, v71, v72
	s_delay_alu instid0(VALU_DEP_1) | instskip(SKIP_4) | instid1(VALU_DEP_4)
	v_fma_f32 v72, s19, v135, -v71
	v_fma_f32 v73, s19, v136, -v71
	;; [unrolled: 1-line block ×5, first 2 shown]
	v_dual_mul_f32 v72, 0x3fb8aa3b, v72 :: v_dual_mul_f32 v73, 0x3fb8aa3b, v73
	v_fma_f32 v80, s19, v141, -v71
	s_delay_alu instid0(VALU_DEP_3) | instskip(NEXT) | instid1(VALU_DEP_3)
	v_dual_mul_f32 v76, 0x3fb8aa3b, v76 :: v_dual_mul_f32 v77, 0x3fb8aa3b, v77
	v_exp_f32_e32 v72, v72
	s_delay_alu instid0(VALU_DEP_3) | instskip(NEXT) | instid1(VALU_DEP_2)
	v_exp_f32_e32 v73, v73
	v_mul_f32_e32 v82, 0x3fb8aa3b, v80
	s_delay_alu instid0(VALU_DEP_2) | instskip(SKIP_1) | instid1(VALU_DEP_1)
	v_exp_f32_e32 v76, v76
	v_exp_f32_e32 v77, v77
	;; [unrolled: 1-line block ×3, first 2 shown]
	v_cndmask_b32_e32 v79, 0, v72, vcc_lo
	v_fma_f32 v72, s19, v140, -v71
	v_mul_f32_e32 v75, 0x3fb8aa3b, v75
	v_cndmask_b32_e64 v78, 0, v73, s2
	s_delay_alu instid0(TRANS32_DEP_3) | instskip(NEXT) | instid1(VALU_DEP_4)
	v_cndmask_b32_e64 v80, 0, v76, s4
	v_dual_add_f32 v73, 0, v79 :: v_dual_mul_f32 v72, 0x3fb8aa3b, v72
	s_delay_alu instid0(VALU_DEP_4) | instskip(NEXT) | instid1(TRANS32_DEP_3)
	v_exp_f32_e32 v75, v75
	v_cndmask_b32_e64 v83, 0, v77, s5
	s_delay_alu instid0(TRANS32_DEP_2) | instskip(NEXT) | instid1(VALU_DEP_3)
	v_cndmask_b32_e64 v85, 0, v84, s7
	v_add_f32_e32 v73, v73, v78
	v_exp_f32_e32 v72, v72
	v_cmp_gt_u32_e64 s2, 16, v70
	s_waitcnt_depctr 0xfff
	v_cndmask_b32_e64 v81, 0, v75, s3
	v_cndmask_b32_e64 v82, 0, v72, s6
	s_delay_alu instid0(VALU_DEP_2) | instskip(NEXT) | instid1(VALU_DEP_1)
	v_add_f32_e32 v73, v73, v81
	v_add_f32_e32 v73, v73, v80
	s_delay_alu instid0(VALU_DEP_1) | instskip(NEXT) | instid1(VALU_DEP_1)
	v_add_f32_e32 v72, v73, v83
	v_add_f32_e32 v72, v72, v82
	s_delay_alu instid0(VALU_DEP_1)
	v_add_f32_e32 v72, v72, v85
	v_fma_f32 v76, s19, v111, -v71
	v_fma_f32 v75, s19, v142, -v71
	;; [unrolled: 1-line block ×5, first 2 shown]
	v_mul_f32_e32 v76, 0x3fb8aa3b, v76
	s_delay_alu instid0(VALU_DEP_4) | instskip(NEXT) | instid1(VALU_DEP_2)
	v_mul_f32_e32 v86, 0x3fb8aa3b, v86
	v_exp_f32_e32 v76, v76
	s_delay_alu instid0(VALU_DEP_1)
	v_exp_f32_e32 v88, v86
	s_waitcnt_depctr 0xfff
	v_cndmask_b32_e64 v87, 0, v76, s9
	v_fma_f32 v76, s19, v116, -v71
	v_mul_f32_e32 v75, 0x3fb8aa3b, v75
	v_cndmask_b32_e64 v88, 0, v88, s12
	s_delay_alu instid0(VALU_DEP_3) | instskip(NEXT) | instid1(VALU_DEP_3)
	v_dual_mul_f32 v73, 0x3fb8aa3b, v73 :: v_dual_mul_f32 v76, 0x3fb8aa3b, v76
	v_exp_f32_e32 v75, v75
	s_delay_alu instid0(VALU_DEP_1) | instskip(NEXT) | instid1(VALU_DEP_1)
	v_exp_f32_e32 v73, v73
	v_exp_f32_e32 v76, v76
	s_delay_alu instid0(TRANS32_DEP_3)
	v_cndmask_b32_e64 v84, 0, v75, s8
	v_fma_f32 v75, s19, v115, -v71
	s_waitcnt_depctr 0xfff
	v_cndmask_b32_e64 v89, 0, v73, s11
	v_cndmask_b32_e64 v90, 0, v76, s15
	v_add_f32_e32 v72, v72, v84
	s_delay_alu instid0(VALU_DEP_1) | instskip(NEXT) | instid1(VALU_DEP_1)
	v_dual_add_f32 v72, v72, v87 :: v_dual_mul_f32 v77, 0x3fb8aa3b, v77
	v_exp_f32_e32 v77, v77
	s_waitcnt_depctr 0xfff
	v_cndmask_b32_e64 v86, 0, v77, s10
	v_fma_f32 v77, s19, v117, -v71
	s_delay_alu instid0(VALU_DEP_2) | instskip(NEXT) | instid1(VALU_DEP_1)
	v_dual_add_f32 v72, v72, v86 :: v_dual_mul_f32 v75, 0x3fb8aa3b, v75
	v_add_f32_e32 v72, v72, v89
	s_delay_alu instid0(VALU_DEP_2) | instskip(NEXT) | instid1(VALU_DEP_1)
	v_exp_f32_e32 v75, v75
	v_add_f32_e32 v72, v72, v88
	s_waitcnt_depctr 0xfff
	v_cndmask_b32_e64 v91, 0, v75, s13
	v_mul_f32_e32 v73, 0x3fb8aa3b, v77
	v_fma_f32 v77, s19, v118, -v71
	s_delay_alu instid0(VALU_DEP_3) | instskip(NEXT) | instid1(VALU_DEP_3)
	v_add_f32_e32 v72, v72, v91
	v_exp_f32_e32 v73, v73
	s_delay_alu instid0(VALU_DEP_1) | instskip(NEXT) | instid1(VALU_DEP_1)
	v_dual_mul_f32 v75, 0x3fb8aa3b, v77 :: v_dual_add_f32 v72, v72, v90
	v_exp_f32_e32 v75, v75
	s_waitcnt_depctr 0xfff
	v_cndmask_b32_e64 v93, 0, v73, s16
	s_delay_alu instid0(VALU_DEP_1) | instskip(SKIP_1) | instid1(VALU_DEP_1)
	v_add_f32_e32 v72, v72, v93
	v_cndmask_b32_e64 v92, 0, v75, s17
	v_add_f32_e32 v72, v72, v92
	ds_bpermute_b32 v73, v74, v72
	s_and_saveexec_b32 s3, s2
	s_cbranch_execz .LBB1270_12
; %bb.11:
	v_mul_u32_u24_e32 v70, 0x44, v69
	s_waitcnt lgkmcnt(0)
	v_add_f32_e32 v72, v72, v73
	s_delay_alu instid0(VALU_DEP_2) | instskip(NEXT) | instid1(VALU_DEP_1)
	v_lshl_add_u32 v70, v68, 2, v70
	v_add_nc_u32_e32 v70, 0x4000, v70
	ds_store_2addr_b32 v70, v71, v72 offset1:136
.LBB1270_12:
	s_or_b32 exec_lo, exec_lo, s3
	v_lshlrev_b32_e32 v70, 2, v68
	s_load_b32 s35, s[0:1], 0x94
	s_waitcnt lgkmcnt(0)
	s_barrier
	buffer_gl0_inv
	v_add_nc_u32_e32 v98, 0x4000, v70
	v_cmp_eq_u32_e32 vcc_lo, 1, v69
	v_cmp_eq_u32_e64 s3, 2, v69
	v_cmp_eq_u32_e64 s4, 3, v69
	;; [unrolled: 1-line block ×3, first 2 shown]
	ds_load_2addr_b32 v[70:71], v98 offset1:17
	ds_load_2addr_b32 v[72:73], v98 offset0:34 offset1:51
	ds_load_2addr_b32 v[74:75], v98 offset0:68 offset1:85
	;; [unrolled: 1-line block ×3, first 2 shown]
	v_cmp_eq_u32_e64 s6, 5, v69
	v_cmp_eq_u32_e64 s7, 7, v69
	s_waitcnt lgkmcnt(3)
	v_max3_f32 v76, v70, 0xff7fffff, v71
	s_waitcnt lgkmcnt(2)
	s_delay_alu instid0(VALU_DEP_1) | instskip(SKIP_1) | instid1(VALU_DEP_1)
	v_max3_f32 v76, v76, v72, v73
	s_waitcnt lgkmcnt(1)
	v_max3_f32 v76, v76, v74, v75
	s_waitcnt lgkmcnt(0)
	s_delay_alu instid0(VALU_DEP_1) | instskip(NEXT) | instid1(VALU_DEP_1)
	v_max3_f32 v76, v76, v94, v95
	v_sub_f32_e32 v77, v71, v76
	ds_load_2addr_b32 v[96:97], v98 offset0:136 offset1:153
	v_sub_f32_e32 v74, v74, v76
	v_sub_f32_e32 v70, v70, v76
	;; [unrolled: 1-line block ×3, first 2 shown]
	v_dual_sub_f32 v72, v72, v76 :: v_dual_mul_f32 v77, 0x3fb8aa3b, v77
	s_delay_alu instid0(VALU_DEP_4) | instskip(NEXT) | instid1(VALU_DEP_4)
	v_mul_f32_e32 v103, 0x3fb8aa3b, v74
	v_mul_f32_e32 v99, 0x3fb8aa3b, v70
	ds_load_2addr_b32 v[70:71], v98 offset0:170 offset1:187
	v_dual_mul_f32 v101, 0x3fb8aa3b, v72 :: v_dual_mul_f32 v94, 0x3fb8aa3b, v94
	v_exp_f32_e32 v102, v77
	v_exp_f32_e32 v99, v99
	s_delay_alu instid0(VALU_DEP_1) | instskip(NEXT) | instid1(VALU_DEP_1)
	v_exp_f32_e32 v101, v101
	v_exp_f32_e32 v94, v94
	s_waitcnt lgkmcnt(1)
	s_delay_alu instid0(TRANS32_DEP_3)
	v_fma_f32 v77, v99, v96, 0
	v_sub_f32_e32 v100, v73, v76
	ds_load_2addr_b32 v[72:73], v98 offset0:204 offset1:221
	v_fmac_f32_e32 v77, v102, v97
	v_exp_f32_e32 v97, v103
	s_waitcnt lgkmcnt(1)
	s_delay_alu instid0(VALU_DEP_1)
	v_dual_fmac_f32 v77, v101, v70 :: v_dual_sub_f32 v96, v75, v76
	ds_load_2addr_b32 v[74:75], v98 offset0:238 offset1:255
	v_sub_f32_e32 v70, v95, v76
	s_waitcnt lgkmcnt(0)
	s_barrier
	v_mul_f32_e32 v96, 0x3fb8aa3b, v96
	buffer_gl0_inv
	v_exp_f32_e32 v95, v96
	v_mul_f32_e32 v100, 0x3fb8aa3b, v100
	s_delay_alu instid0(VALU_DEP_1) | instskip(SKIP_3) | instid1(VALU_DEP_2)
	v_exp_f32_e32 v100, v100
	s_waitcnt_depctr 0xfff
	v_dual_fmac_f32 v77, v100, v71 :: v_dual_mul_f32 v70, 0x3fb8aa3b, v70
	v_cndmask_b32_e32 v71, v99, v102, vcc_lo
	v_fmac_f32_e32 v77, v97, v72
	s_delay_alu instid0(VALU_DEP_3) | instskip(NEXT) | instid1(VALU_DEP_1)
	v_exp_f32_e32 v96, v70
	v_fmac_f32_e32 v77, v95, v73
	s_delay_alu instid0(VALU_DEP_1) | instskip(SKIP_2) | instid1(VALU_DEP_1)
	v_fmac_f32_e32 v77, v94, v74
	s_waitcnt_depctr 0xfff
	v_fmac_f32_e32 v77, v96, v75
	v_add_f32_e32 v74, 0x358637bd, v77
	s_delay_alu instid0(VALU_DEP_1) | instskip(SKIP_1) | instid1(VALU_DEP_2)
	v_div_scale_f32 v98, null, v74, v74, 1.0
	v_div_scale_f32 v99, vcc_lo, 1.0, v74, 1.0
	v_rcp_f32_e32 v103, v98
	s_waitcnt_depctr 0xfff
	v_fma_f32 v70, -v98, v103, 1.0
	s_delay_alu instid0(VALU_DEP_1) | instskip(SKIP_2) | instid1(VALU_DEP_2)
	v_fmac_f32_e32 v103, v70, v103
	v_cndmask_b32_e64 v70, v71, v101, s3
	v_cmp_eq_u32_e64 s3, 6, v69
	v_cndmask_b32_e64 v71, v70, v100, s4
	s_delay_alu instid0(VALU_DEP_4) | instskip(NEXT) | instid1(VALU_DEP_2)
	v_dual_mul_f32 v101, v99, v103 :: v_dual_lshlrev_b32 v70, 2, v66
	v_cndmask_b32_e64 v71, v71, v97, s5
	s_delay_alu instid0(VALU_DEP_2) | instskip(NEXT) | instid1(VALU_DEP_3)
	v_or_b32_e32 v72, 1, v70
	v_fma_f32 v100, -v98, v101, v99
	v_cmp_eq_u32_e64 s4, 1, v70
	v_cmp_eq_u32_e64 s5, 2, v70
	v_cndmask_b32_e64 v95, v71, v95, s6
	v_or_b32_e32 v71, 3, v70
	v_fmac_f32_e32 v101, v100, v103
	v_cmp_eq_u32_e64 s9, 1, v72
	v_cmp_eq_u32_e64 s12, 2, v72
	v_cndmask_b32_e64 v94, v95, v94, s3
	v_cmp_eq_u32_e64 s11, 1, v71
	v_fma_f32 v97, -v98, v101, v99
	v_cmp_eq_u32_e64 s16, 2, v71
	v_cmp_eq_u32_e64 s13, 3, v72
	v_cndmask_b32_e64 v94, v94, v96, s7
	v_cmp_eq_u32_e64 s18, 3, v71
	v_div_fmas_f32 v95, v97, v103, v101
	v_cmp_eq_u32_e32 vcc_lo, 3, v70
	v_cmp_eq_u32_e64 s3, 4, v70
	v_cmp_eq_u32_e64 s19, 4, v72
	;; [unrolled: 1-line block ×3, first 2 shown]
	v_div_fixup_f32 v95, v95, v74, 1.0
	v_lshlrev_b32_e32 v73, 6, v68
	v_cmp_eq_u32_e64 s6, 5, v70
	v_cmp_eq_u32_e64 s20, 5, v72
	;; [unrolled: 1-line block ×3, first 2 shown]
	v_mul_f32_e32 v102, v94, v95
	v_lshl_or_b32 v75, v69, 11, v73
	v_or_b32_e32 v69, 2, v70
	v_cmp_eq_u32_e64 s25, 6, v72
	v_cmp_eq_u32_e64 s27, 6, v71
	v_fma_mixlo_f16 v94, v102, v79, 0
	v_fma_mixlo_f16 v95, v102, v81, 0
	;; [unrolled: 1-line block ×8, first 2 shown]
	v_lshl_or_b32 v74, v66, 4, v75
	v_fma_mixhi_f16 v94, v102, v78, 0
	v_fma_mixhi_f16 v95, v102, v80, 0
	;; [unrolled: 1-line block ×8, first 2 shown]
	ds_store_b128 v74, v[94:97]
	ds_store_b128 v74, v[98:101] offset:1024
	s_waitcnt lgkmcnt(0)
	s_barrier
	buffer_gl0_inv
	ds_load_b128 v[78:81], v75
	ds_load_b128 v[82:85], v75 offset:16
	ds_load_b128 v[86:89], v75 offset:1024
	;; [unrolled: 1-line block ×3, first 2 shown]
	v_cmp_eq_u32_e64 s10, 1, v69
	v_cmp_eq_u32_e64 s15, 2, v69
	v_cmp_eq_u32_e64 s17, 3, v69
	v_cmp_eq_u32_e64 s21, 4, v69
	v_cmp_eq_u32_e64 s23, 5, v69
	v_cmp_eq_u32_e64 s7, 6, v70
	v_cmp_eq_u32_e64 s26, 6, v69
	v_cmp_eq_u32_e64 s29, 7, v71
	v_cmp_eq_u32_e64 s30, 7, v72
	v_cmp_eq_u32_e64 s8, 7, v70
	v_cmp_eq_u32_e64 s28, 7, v69
	s_waitcnt lgkmcnt(3)
	v_lshrrev_b32_e32 v94, 16, v78
	s_waitcnt lgkmcnt(2)
	v_lshrrev_b32_e32 v98, 16, v82
	;; [unrolled: 2-line block ×4, first 2 shown]
	v_lshrrev_b32_e32 v95, 16, v79
	v_cndmask_b32_e64 v110, v78, v94, s4
	v_cndmask_b32_e64 v111, v82, v98, s4
	;; [unrolled: 1-line block ×8, first 2 shown]
	v_lshrrev_b32_e32 v99, 16, v83
	v_cndmask_b32_e64 v94, v86, v102, s4
	v_cndmask_b32_e64 v98, v90, v106, s4
	;; [unrolled: 1-line block ×15, first 2 shown]
	v_lshrrev_b32_e32 v103, 16, v87
	v_lshrrev_b32_e32 v107, 16, v91
	v_cndmask_b32_e64 v113, v115, v83, s15
	v_cndmask_b32_e64 v82, v94, v87, s5
	;; [unrolled: 1-line block ×7, first 2 shown]
	v_cndmask_b32_e32 v90, v102, v95, vcc_lo
	v_cndmask_b32_e32 v102, v106, v99, vcc_lo
	v_cndmask_b32_e64 v106, v110, v95, s13
	v_cndmask_b32_e64 v110, v111, v99, s13
	;; [unrolled: 1-line block ×4, first 2 shown]
	v_lshrrev_b32_e32 v96, 16, v80
	v_lshrrev_b32_e32 v100, 16, v84
	v_cndmask_b32_e64 v111, v112, v95, s17
	v_cndmask_b32_e64 v112, v113, v99, s17
	v_cndmask_b32_e32 v82, v82, v103, vcc_lo
	v_cndmask_b32_e32 v83, v83, v107, vcc_lo
	v_cndmask_b32_e64 v94, v94, v103, s13
	v_cndmask_b32_e64 v90, v90, v80, s3
	;; [unrolled: 1-line block ×7, first 2 shown]
	v_lshrrev_b32_e32 v104, 16, v88
	v_cndmask_b32_e64 v106, v111, v80, s21
	v_cndmask_b32_e64 v110, v112, v84, s21
	;; [unrolled: 1-line block ×11, first 2 shown]
	v_lshrrev_b32_e32 v97, 16, v81
	v_lshrrev_b32_e32 v101, 16, v85
	v_cndmask_b32_e64 v99, v106, v96, s23
	v_cndmask_b32_e64 v102, v110, v100, s23
	v_cndmask_b32_e64 v83, v83, v104, s20
	v_cndmask_b32_e64 v94, v94, v81, s25
	v_cndmask_b32_e64 v95, v95, v85, s25
	v_cndmask_b32_e64 v78, v78, v81, s27
	v_cndmask_b32_e64 v79, v79, v85, s27
	v_lshrrev_b32_e32 v105, 16, v89
	v_cndmask_b32_e64 v80, v80, v104, s6
	v_cndmask_b32_e64 v84, v84, v81, s7
	;; [unrolled: 1-line block ×16, first 2 shown]
	v_perm_b32 v81, v79, v78, 0x5040100
	v_perm_b32 v79, v95, v85, 0x5040100
	v_cndmask_b32_e64 v78, v119, v91, s15
	v_cndmask_b32_e64 v85, v117, v91, s12
	;; [unrolled: 1-line block ×3, first 2 shown]
	v_perm_b32 v80, v94, v90, 0x5040100
	v_cndmask_b32_e64 v90, v98, v103, s17
	v_cndmask_b32_e64 v86, v86, v103, s18
	;; [unrolled: 1-line block ×5, first 2 shown]
	v_lshrrev_b32_e32 v108, 16, v92
	v_cndmask_b32_e64 v90, v90, v88, s21
	v_cndmask_b32_e64 v86, v86, v88, s22
	;; [unrolled: 1-line block ×11, first 2 shown]
	v_lshrrev_b32_e32 v109, 16, v93
	v_cndmask_b32_e64 v82, v82, v93, s7
	v_cndmask_b32_e64 v88, v88, v89, s26
	;; [unrolled: 1-line block ×12, first 2 shown]
	v_perm_b32 v78, v84, v83, 0x5040100
	v_perm_b32 v85, v87, v86, 0x5040100
	;; [unrolled: 1-line block ×5, first 2 shown]
	s_mul_i32 s8, s33, 9
	s_mov_b32 s3, exec_lo
	ds_store_b128 v74, v[78:81]
	ds_store_b128 v74, v[82:85] offset:1024
	v_cmpx_gt_u32_e32 9, v0
	s_cbranch_execz .LBB1270_14
; %bb.13:
	s_mul_i32 s4, s8, s34
	s_delay_alu instid0(SALU_CYCLE_1) | instskip(SKIP_1) | instid1(VALU_DEP_1)
	v_add3_u32 v68, s4, s31, v68
	s_load_b128 s[4:7], s[0:1], 0x58
	v_mad_u64_u32 v[78:79], null, v68, s35, s[14:15]
	s_delay_alu instid0(VALU_DEP_1) | instskip(NEXT) | instid1(VALU_DEP_1)
	v_ashrrev_i32_e32 v79, 31, v78
	v_lshlrev_b64 v[78:79], 2, v[78:79]
	s_waitcnt lgkmcnt(0)
	s_delay_alu instid0(VALU_DEP_1) | instskip(NEXT) | instid1(VALU_DEP_2)
	v_add_co_u32 v80, vcc_lo, s6, v78
	v_add_co_ci_u32_e32 v81, vcc_lo, s7, v79, vcc_lo
	v_add_co_u32 v78, vcc_lo, s4, v78
	v_add_co_ci_u32_e32 v79, vcc_lo, s5, v79, vcc_lo
	global_store_b32 v[80:81], v76, off
	global_store_b32 v[78:79], v77, off
.LBB1270_14:
	s_or_b32 exec_lo, exec_lo, s3
	s_waitcnt lgkmcnt(0)
	s_waitcnt_vscnt null, 0x0
	s_barrier
	buffer_gl0_inv
	ds_load_b128 v[84:87], v73
	ds_load_b128 v[88:91], v73 offset:16
	ds_load_b128 v[96:99], v73 offset:2064
	;; [unrolled: 1-line block ×5, first 2 shown]
	v_cmp_eq_u32_e32 vcc_lo, 1, v70
	v_mov_b32_e32 v76, 0
	ds_load_b128 v[112:115], v73 offset:6160
	ds_load_b128 v[108:111], v73 offset:6144
	;; [unrolled: 1-line block ×4, first 2 shown]
	v_cmp_eq_u32_e64 s4, 1, v69
	v_cmp_eq_u32_e64 s3, 1, v72
	;; [unrolled: 1-line block ×3, first 2 shown]
	v_mov_b32_e32 v77, v76
	v_mov_b32_e32 v78, v76
	;; [unrolled: 1-line block ×7, first 2 shown]
	v_cmp_eq_u32_e64 s6, 3, v72
	v_cmp_eq_u32_e64 s7, 7, v72
	s_waitcnt lgkmcnt(8)
	s_delay_alu instid0(VALU_DEP_3)
	v_wmma_f32_16x16x16_f16 v[76:83], v[49:56], v[84:91], v[76:83]
	ds_load_b128 v[53:56], v73 offset:10256
	ds_load_b128 v[49:52], v73 offset:10240
	s_waitcnt lgkmcnt(8)
	v_wmma_f32_16x16x16_f16 v[76:83], v[41:48], v[92:99], v[76:83]
	ds_load_b128 v[45:48], v73 offset:12304
	ds_load_b128 v[41:44], v73 offset:12288
	s_waitcnt lgkmcnt(8)
	;; [unrolled: 4-line block ×3, first 2 shown]
	s_barrier
	buffer_gl0_inv
	v_wmma_f32_16x16x16_f16 v[76:83], v[1:8], v[108:115], v[76:83]
	s_delay_alu instid0(VALU_DEP_1) | instskip(NEXT) | instid1(VALU_DEP_1)
	v_wmma_f32_16x16x16_f16 v[76:83], v[9:16], v[116:123], v[76:83]
	v_wmma_f32_16x16x16_f16 v[76:83], v[17:24], v[49:56], v[76:83]
	s_delay_alu instid0(VALU_DEP_1) | instskip(NEXT) | instid1(VALU_DEP_1)
	v_wmma_f32_16x16x16_f16 v[76:83], v[25:32], v[41:48], v[76:83]
	v_wmma_f32_16x16x16_f16 v[76:83], v[57:64], v[33:40], v[76:83]
	s_delay_alu instid0(VALU_DEP_1) | instskip(NEXT) | instid1(VALU_DEP_2)
	v_cvt_f16_f32_e32 v1, v76
	v_cvt_f16_f32_e32 v2, v77
	s_delay_alu instid0(VALU_DEP_3) | instskip(NEXT) | instid1(VALU_DEP_4)
	v_cvt_f16_f32_e32 v3, v78
	v_cvt_f16_f32_e32 v4, v79
	;; [unrolled: 1-line block ×6, first 2 shown]
	v_pack_b32_f16 v1, v1, v2
	v_pack_b32_f16 v2, v3, v4
	;; [unrolled: 1-line block ×3, first 2 shown]
	s_delay_alu instid0(VALU_DEP_4)
	v_pack_b32_f16 v4, v7, v8
	ds_store_b128 v74, v[1:4]
	s_waitcnt lgkmcnt(0)
	s_barrier
	buffer_gl0_inv
	ds_load_b128 v[1:4], v75
	ds_load_b128 v[5:8], v75 offset:16
	s_waitcnt lgkmcnt(1)
	v_lshrrev_b32_e32 v9, 16, v1
	s_waitcnt lgkmcnt(0)
	v_lshrrev_b32_e32 v13, 16, v5
	v_lshrrev_b32_e32 v10, 16, v2
	;; [unrolled: 1-line block ×4, first 2 shown]
	v_cndmask_b32_e32 v17, v1, v9, vcc_lo
	v_cndmask_b32_e32 v18, v5, v13, vcc_lo
	v_cndmask_b32_e64 v21, v1, v9, s4
	v_cmp_eq_u32_e32 vcc_lo, 1, v71
	v_cndmask_b32_e64 v22, v5, v13, s4
	v_cmp_eq_u32_e64 s4, 2, v70
	v_cndmask_b32_e64 v19, v1, v9, s3
	v_cndmask_b32_e64 v20, v5, v13, s3
	v_cndmask_b32_e32 v1, v1, v9, vcc_lo
	v_cmp_eq_u32_e64 s3, 2, v71
	v_cndmask_b32_e32 v5, v5, v13, vcc_lo
	v_cndmask_b32_e64 v9, v17, v2, s4
	v_cmp_eq_u32_e32 vcc_lo, 3, v70
	v_cndmask_b32_e64 v13, v18, v6, s4
	v_cmp_eq_u32_e64 s4, 2, v69
	v_cndmask_b32_e64 v17, v19, v2, s5
	v_cndmask_b32_e64 v18, v20, v6, s5
	v_cmp_eq_u32_e64 s5, 3, v69
	v_cndmask_b32_e64 v1, v1, v2, s3
	v_cndmask_b32_e64 v19, v21, v2, s4
	;; [unrolled: 1-line block ×4, first 2 shown]
	v_cndmask_b32_e32 v5, v9, v10, vcc_lo
	v_cndmask_b32_e32 v6, v13, v14, vcc_lo
	v_cmp_eq_u32_e32 vcc_lo, 3, v71
	v_cndmask_b32_e64 v9, v17, v10, s6
	v_cndmask_b32_e64 v13, v18, v14, s6
	;; [unrolled: 1-line block ×3, first 2 shown]
	v_cmp_eq_u32_e64 s4, 4, v70
	v_cndmask_b32_e32 v1, v1, v10, vcc_lo
	v_cndmask_b32_e32 v2, v2, v14, vcc_lo
	v_cmp_eq_u32_e32 vcc_lo, 4, v72
	v_lshrrev_b32_e32 v15, 16, v7
	v_lshrrev_b32_e32 v16, 16, v8
	v_cndmask_b32_e64 v17, v19, v10, s5
	v_cmp_eq_u32_e64 s3, 4, v71
	v_cndmask_b32_e64 v5, v5, v3, s4
	v_cndmask_b32_e64 v6, v6, v7, s4
	v_cndmask_b32_e32 v9, v9, v3, vcc_lo
	v_cmp_eq_u32_e64 s4, 5, v72
	v_cndmask_b32_e32 v10, v13, v7, vcc_lo
	v_cmp_eq_u32_e32 vcc_lo, 4, v69
	v_cmp_eq_u32_e64 s5, 5, v70
	v_cndmask_b32_e64 v2, v2, v7, s3
	v_cndmask_b32_e64 v9, v9, v11, s4
	;; [unrolled: 1-line block ×3, first 2 shown]
	v_cndmask_b32_e32 v13, v17, v3, vcc_lo
	v_cmp_eq_u32_e64 s4, 5, v69
	v_cndmask_b32_e32 v14, v18, v7, vcc_lo
	v_cndmask_b32_e64 v1, v1, v3, s3
	v_cmp_eq_u32_e32 vcc_lo, 5, v71
	v_lshrrev_b32_e32 v12, 16, v4
	v_cndmask_b32_e64 v13, v13, v11, s4
	v_cndmask_b32_e64 v3, v14, v15, s4
	v_cmp_eq_u32_e64 s4, 6, v71
	v_cndmask_b32_e32 v1, v1, v11, vcc_lo
	v_cndmask_b32_e64 v5, v5, v11, s5
	v_cmp_eq_u32_e64 s6, 6, v70
	v_cndmask_b32_e64 v6, v6, v15, s5
	v_cmp_eq_u32_e64 s5, 6, v72
	v_cmp_eq_u32_e64 s3, 6, v69
	v_cndmask_b32_e64 v1, v1, v4, s4
	v_cndmask_b32_e32 v2, v2, v15, vcc_lo
	v_cmp_eq_u32_e32 vcc_lo, 7, v71
	v_cndmask_b32_e64 v5, v5, v4, s6
	v_cndmask_b32_e64 v9, v9, v4, s5
	;; [unrolled: 1-line block ×3, first 2 shown]
	v_cmp_eq_u32_e64 s6, 7, v70
	v_cndmask_b32_e32 v1, v1, v12, vcc_lo
	v_cndmask_b32_e64 v7, v13, v4, s3
	v_cndmask_b32_e64 v3, v3, v8, s3
	;; [unrolled: 1-line block ×3, first 2 shown]
	v_cmp_eq_u32_e64 s3, 7, v69
	v_cndmask_b32_e64 v4, v10, v8, s5
	v_cndmask_b32_e64 v5, v5, v12, s6
	;; [unrolled: 1-line block ×3, first 2 shown]
	v_cndmask_b32_e32 v2, v2, v16, vcc_lo
	v_cndmask_b32_e64 v7, v7, v12, s3
	v_cndmask_b32_e64 v3, v3, v16, s3
	;; [unrolled: 1-line block ×4, first 2 shown]
	v_perm_b32 v4, v2, v1, 0x5040100
	s_mov_b32 s3, exec_lo
	v_perm_b32 v3, v3, v7, 0x5040100
	v_perm_b32 v2, v8, v9, 0x5040100
	;; [unrolled: 1-line block ×3, first 2 shown]
	ds_store_b128 v74, v[1:4]
	s_waitcnt lgkmcnt(0)
	s_barrier
	buffer_gl0_inv
	v_cmpx_gt_u32_e32 32, v0
	s_cbranch_execz .LBB1270_2
; %bb.15:
	s_load_b64 s[4:5], s[0:1], 0x68
	v_lshlrev_b32_e32 v0, 10, v0
	v_lshlrev_b32_e32 v1, 4, v67
	s_lshl_b32 s0, s35, 7
	v_add_nc_u32_e32 v2, s31, v66
	s_mul_i32 s1, s0, s34
	s_delay_alu instid0(SALU_CYCLE_1) | instskip(SKIP_1) | instid1(VALU_DEP_2)
	s_mul_i32 s6, s1, s8
	v_and_or_b32 v0, 0x3800, v0, v1
	v_mul_lo_u32 v1, v2, s0
	s_ashr_i32 s7, s6, 31
	v_add_nc_u32_e32 v3, 2, v2
	s_lshl_b64 s[6:7], s[6:7], 1
	v_add_nc_u32_e32 v4, 4, v2
	v_add_nc_u32_e32 v5, 6, v2
	v_lshl_or_b32 v15, v66, 6, v0
	v_mul_lo_u32 v3, v3, s0
	v_ashrrev_i32_e32 v2, 31, v1
	v_mul_lo_u32 v19, v4, s0
	v_mul_lo_u32 v21, v5, s0
	s_waitcnt lgkmcnt(0)
	s_add_u32 s1, s4, s6
	s_addc_u32 s3, s5, s7
	s_lshl_b32 s4, s14, 7
	v_lshlrev_b64 v[5:6], 1, v[1:2]
	s_ashr_i32 s5, s4, 31
	v_ashrrev_i32_e32 v4, 31, v3
	s_lshl_b64 s[4:5], s[4:5], 1
	v_ashrrev_i32_e32 v20, 31, v19
	s_add_u32 s1, s1, s4
	s_addc_u32 s3, s3, s5
	v_add_co_u32 v1, s1, s1, v65
	s_delay_alu instid0(VALU_DEP_1) | instskip(SKIP_1) | instid1(VALU_DEP_3)
	v_add_co_ci_u32_e64 v2, null, s3, 0, s1
	v_lshlrev_b64 v[25:26], 1, v[3:4]
	v_add_co_u32 v23, vcc_lo, v1, v5
	s_delay_alu instid0(VALU_DEP_3)
	v_add_co_ci_u32_e32 v24, vcc_lo, v2, v6, vcc_lo
	ds_load_b128 v[3:6], v15
	ds_load_b128 v[7:10], v15 offset:128
	ds_load_b128 v[11:14], v15 offset:256
	;; [unrolled: 1-line block ×3, first 2 shown]
	v_ashrrev_i32_e32 v22, 31, v21
	v_lshlrev_b64 v[19:20], 1, v[19:20]
	v_add_co_u32 v25, vcc_lo, v1, v25
	v_add_co_ci_u32_e32 v26, vcc_lo, v2, v26, vcc_lo
	s_delay_alu instid0(VALU_DEP_4) | instskip(NEXT) | instid1(VALU_DEP_4)
	v_lshlrev_b64 v[21:22], 1, v[21:22]
	v_add_co_u32 v19, vcc_lo, v1, v19
	v_add_co_ci_u32_e32 v20, vcc_lo, v2, v20, vcc_lo
	s_delay_alu instid0(VALU_DEP_3) | instskip(NEXT) | instid1(VALU_DEP_4)
	v_add_co_u32 v21, vcc_lo, v1, v21
	v_add_co_ci_u32_e32 v22, vcc_lo, v2, v22, vcc_lo
	s_waitcnt lgkmcnt(3)
	global_store_b128 v[23:24], v[3:6], off
	s_waitcnt lgkmcnt(2)
	global_store_b128 v[25:26], v[7:10], off
	;; [unrolled: 2-line block ×4, first 2 shown]
	s_and_b32 exec_lo, exec_lo, s2
	s_cbranch_execz .LBB1270_2
; %bb.16:
	ds_load_b128 v[3:6], v0 offset:512
	s_add_i32 s1, s31, 8
	s_delay_alu instid0(SALU_CYCLE_1) | instskip(NEXT) | instid1(SALU_CYCLE_1)
	s_mul_i32 s0, s1, s0
	s_ashr_i32 s1, s0, 31
	s_delay_alu instid0(SALU_CYCLE_1) | instskip(NEXT) | instid1(SALU_CYCLE_1)
	s_lshl_b64 s[0:1], s[0:1], 1
	v_add_co_u32 v0, vcc_lo, v1, s0
	v_add_co_ci_u32_e32 v1, vcc_lo, s1, v2, vcc_lo
	s_waitcnt lgkmcnt(0)
	global_store_b128 v[0:1], v[3:6], off
	s_nop 0
	s_sendmsg sendmsg(MSG_DEALLOC_VGPRS)
	s_endpgm
	.section	.rodata,"a",@progbits
	.p2align	6, 0x0
	.amdhsa_kernel _Z39paged_attention_ll4mi_QKV_mfma16_kernelIDF16_hLN4vllm18Fp8KVCacheDataTypeE1EDF16_Li16ELi128ELi256ELb0ELi9EL8MFMAType0EEvPKT_PKT0_S8_ifPKiSA_SA_iPKfiiiPfSD_PS3_PT2_iSC_SC_
		.amdhsa_group_segment_fixed_size 17472
		.amdhsa_private_segment_fixed_size 0
		.amdhsa_kernarg_size 400
		.amdhsa_user_sgpr_count 13
		.amdhsa_user_sgpr_dispatch_ptr 0
		.amdhsa_user_sgpr_queue_ptr 0
		.amdhsa_user_sgpr_kernarg_segment_ptr 1
		.amdhsa_user_sgpr_dispatch_id 0
		.amdhsa_user_sgpr_private_segment_size 0
		.amdhsa_wavefront_size32 1
		.amdhsa_uses_dynamic_stack 0
		.amdhsa_enable_private_segment 0
		.amdhsa_system_sgpr_workgroup_id_x 1
		.amdhsa_system_sgpr_workgroup_id_y 1
		.amdhsa_system_sgpr_workgroup_id_z 1
		.amdhsa_system_sgpr_workgroup_info 0
		.amdhsa_system_vgpr_workitem_id 0
		.amdhsa_next_free_vgpr 150
		.amdhsa_next_free_sgpr 36
		.amdhsa_reserve_vcc 1
		.amdhsa_float_round_mode_32 0
		.amdhsa_float_round_mode_16_64 0
		.amdhsa_float_denorm_mode_32 3
		.amdhsa_float_denorm_mode_16_64 3
		.amdhsa_dx10_clamp 1
		.amdhsa_ieee_mode 1
		.amdhsa_fp16_overflow 0
		.amdhsa_workgroup_processor_mode 1
		.amdhsa_memory_ordered 1
		.amdhsa_forward_progress 0
		.amdhsa_shared_vgpr_count 0
		.amdhsa_exception_fp_ieee_invalid_op 0
		.amdhsa_exception_fp_denorm_src 0
		.amdhsa_exception_fp_ieee_div_zero 0
		.amdhsa_exception_fp_ieee_overflow 0
		.amdhsa_exception_fp_ieee_underflow 0
		.amdhsa_exception_fp_ieee_inexact 0
		.amdhsa_exception_int_div_zero 0
	.end_amdhsa_kernel
	.section	.text._Z39paged_attention_ll4mi_QKV_mfma16_kernelIDF16_hLN4vllm18Fp8KVCacheDataTypeE1EDF16_Li16ELi128ELi256ELb0ELi9EL8MFMAType0EEvPKT_PKT0_S8_ifPKiSA_SA_iPKfiiiPfSD_PS3_PT2_iSC_SC_,"axG",@progbits,_Z39paged_attention_ll4mi_QKV_mfma16_kernelIDF16_hLN4vllm18Fp8KVCacheDataTypeE1EDF16_Li16ELi128ELi256ELb0ELi9EL8MFMAType0EEvPKT_PKT0_S8_ifPKiSA_SA_iPKfiiiPfSD_PS3_PT2_iSC_SC_,comdat
.Lfunc_end1270:
	.size	_Z39paged_attention_ll4mi_QKV_mfma16_kernelIDF16_hLN4vllm18Fp8KVCacheDataTypeE1EDF16_Li16ELi128ELi256ELb0ELi9EL8MFMAType0EEvPKT_PKT0_S8_ifPKiSA_SA_iPKfiiiPfSD_PS3_PT2_iSC_SC_, .Lfunc_end1270-_Z39paged_attention_ll4mi_QKV_mfma16_kernelIDF16_hLN4vllm18Fp8KVCacheDataTypeE1EDF16_Li16ELi128ELi256ELb0ELi9EL8MFMAType0EEvPKT_PKT0_S8_ifPKiSA_SA_iPKfiiiPfSD_PS3_PT2_iSC_SC_
                                        ; -- End function
	.section	.AMDGPU.csdata,"",@progbits
; Kernel info:
; codeLenInByte = 6736
; NumSgprs: 38
; NumVgprs: 150
; ScratchSize: 0
; MemoryBound: 0
; FloatMode: 240
; IeeeMode: 1
; LDSByteSize: 17472 bytes/workgroup (compile time only)
; SGPRBlocks: 4
; VGPRBlocks: 18
; NumSGPRsForWavesPerEU: 38
; NumVGPRsForWavesPerEU: 150
; Occupancy: 9
; WaveLimiterHint : 1
; COMPUTE_PGM_RSRC2:SCRATCH_EN: 0
; COMPUTE_PGM_RSRC2:USER_SGPR: 13
; COMPUTE_PGM_RSRC2:TRAP_HANDLER: 0
; COMPUTE_PGM_RSRC2:TGID_X_EN: 1
; COMPUTE_PGM_RSRC2:TGID_Y_EN: 1
; COMPUTE_PGM_RSRC2:TGID_Z_EN: 1
; COMPUTE_PGM_RSRC2:TIDIG_COMP_CNT: 0
	.section	.text._Z39paged_attention_ll4mi_QKV_mfma16_kernelIDF16_hLN4vllm18Fp8KVCacheDataTypeE1EDF16_Li16ELi128ELi256ELb0ELi10EL8MFMAType0EEvPKT_PKT0_S8_ifPKiSA_SA_iPKfiiiPfSD_PS3_PT2_iSC_SC_,"axG",@progbits,_Z39paged_attention_ll4mi_QKV_mfma16_kernelIDF16_hLN4vllm18Fp8KVCacheDataTypeE1EDF16_Li16ELi128ELi256ELb0ELi10EL8MFMAType0EEvPKT_PKT0_S8_ifPKiSA_SA_iPKfiiiPfSD_PS3_PT2_iSC_SC_,comdat
	.protected	_Z39paged_attention_ll4mi_QKV_mfma16_kernelIDF16_hLN4vllm18Fp8KVCacheDataTypeE1EDF16_Li16ELi128ELi256ELb0ELi10EL8MFMAType0EEvPKT_PKT0_S8_ifPKiSA_SA_iPKfiiiPfSD_PS3_PT2_iSC_SC_ ; -- Begin function _Z39paged_attention_ll4mi_QKV_mfma16_kernelIDF16_hLN4vllm18Fp8KVCacheDataTypeE1EDF16_Li16ELi128ELi256ELb0ELi10EL8MFMAType0EEvPKT_PKT0_S8_ifPKiSA_SA_iPKfiiiPfSD_PS3_PT2_iSC_SC_
	.globl	_Z39paged_attention_ll4mi_QKV_mfma16_kernelIDF16_hLN4vllm18Fp8KVCacheDataTypeE1EDF16_Li16ELi128ELi256ELb0ELi10EL8MFMAType0EEvPKT_PKT0_S8_ifPKiSA_SA_iPKfiiiPfSD_PS3_PT2_iSC_SC_
	.p2align	8
	.type	_Z39paged_attention_ll4mi_QKV_mfma16_kernelIDF16_hLN4vllm18Fp8KVCacheDataTypeE1EDF16_Li16ELi128ELi256ELb0ELi10EL8MFMAType0EEvPKT_PKT0_S8_ifPKiSA_SA_iPKfiiiPfSD_PS3_PT2_iSC_SC_,@function
_Z39paged_attention_ll4mi_QKV_mfma16_kernelIDF16_hLN4vllm18Fp8KVCacheDataTypeE1EDF16_Li16ELi128ELi256ELb0ELi10EL8MFMAType0EEvPKT_PKT0_S8_ifPKiSA_SA_iPKfiiiPfSD_PS3_PT2_iSC_SC_: ; @_Z39paged_attention_ll4mi_QKV_mfma16_kernelIDF16_hLN4vllm18Fp8KVCacheDataTypeE1EDF16_Li16ELi128ELi256ELb0ELi10EL8MFMAType0EEvPKT_PKT0_S8_ifPKiSA_SA_iPKfiiiPfSD_PS3_PT2_iSC_SC_
; %bb.0:
	s_load_b64 s[4:5], s[0:1], 0x30
	s_mov_b32 s30, s13
	s_waitcnt lgkmcnt(0)
	s_cmp_lg_u64 s[4:5], 0
	s_cselect_b32 s8, -1, 0
	s_ashr_i32 s31, s13, 31
	s_cmp_eq_u64 s[4:5], 0
	s_cbranch_scc1 .LBB1271_3
; %bb.1:
	s_lshl_b64 s[2:3], s[30:31], 2
	s_delay_alu instid0(SALU_CYCLE_1) | instskip(SKIP_4) | instid1(SALU_CYCLE_1)
	s_add_u32 s2, s4, s2
	s_addc_u32 s3, s5, s3
	s_load_b64 s[2:3], s[2:3], 0x0
	s_waitcnt lgkmcnt(0)
	s_sub_i32 s2, s3, s2
	s_cmp_eq_u32 s2, 1
	s_cselect_b32 s2, -1, 0
	s_delay_alu instid0(SALU_CYCLE_1)
	s_and_not1_b32 vcc_lo, exec_lo, s2
	s_cbranch_vccz .LBB1271_4
.LBB1271_2:
	s_endpgm
.LBB1271_3:
.LBB1271_4:
	s_load_b64 s[2:3], s[0:1], 0x28
	s_lshl_b64 s[6:7], s[30:31], 2
	s_waitcnt lgkmcnt(0)
	s_add_u32 s2, s2, s6
	s_addc_u32 s3, s3, s7
	s_lshl_b32 s12, s14, 8
	s_load_b32 s24, s[2:3], 0x0
	s_waitcnt lgkmcnt(0)
	s_cmp_ge_i32 s12, s24
	s_cbranch_scc1 .LBB1271_2
; %bb.5:
	s_clause 0x1
	s_load_b128 s[20:23], s[0:1], 0x8
	s_load_b64 s[2:3], s[0:1], 0x20
	s_and_not1_b32 vcc_lo, exec_lo, s8
	s_cbranch_vccnz .LBB1271_7
; %bb.6:
	s_add_u32 s4, s4, s6
	s_addc_u32 s5, s5, s7
	s_load_b32 s5, s[4:5], 0x0
	s_branch .LBB1271_8
.LBB1271_7:
	s_mov_b32 s5, s30
.LBB1271_8:
	s_load_b128 s[16:19], s[0:1], 0x48
	v_and_b32_e32 v68, 15, v0
	v_lshrrev_b32_e32 v69, 5, v0
	v_and_b32_e32 v70, 31, v0
	v_and_b32_e32 v67, 1, v0
	v_bfe_u32 v66, v0, 4, 1
	v_lshlrev_b32_e32 v1, 3, v68
	s_mul_i32 s31, s15, 10
	s_mov_b32 s4, exec_lo
	s_delay_alu instid0(VALU_DEP_1)
	v_lshlrev_b32_e32 v65, 1, v1
	v_cmpx_gt_u32_e32 0xa0, v0
	s_cbranch_execz .LBB1271_10
; %bb.9:
	s_load_b64 s[6:7], s[0:1], 0x0
	v_lshl_or_b32 v5, v69, 1, v66
	s_waitcnt lgkmcnt(0)
	s_mul_hi_i32 s9, s5, s16
	s_mul_i32 s8, s5, s16
	v_lshlrev_b32_e32 v6, 10, v68
	s_lshl_b64 s[8:9], s[8:9], 1
	v_add_lshl_u32 v1, v5, s31, 7
	v_lshlrev_b32_e32 v5, 6, v5
	v_lshlrev_b32_e32 v7, 10, v67
	v_and_b32_e32 v6, 0x3800, v6
	s_delay_alu instid0(VALU_DEP_4) | instskip(NEXT) | instid1(VALU_DEP_2)
	v_ashrrev_i32_e32 v2, 31, v1
	v_or3_b32 v5, v6, v7, v5
	s_delay_alu instid0(VALU_DEP_2) | instskip(SKIP_2) | instid1(VALU_DEP_1)
	v_lshlrev_b64 v[1:2], 1, v[1:2]
	s_add_u32 s5, s6, s8
	s_addc_u32 s6, s7, s9
	v_add_co_u32 v1, vcc_lo, s5, v1
	s_delay_alu instid0(VALU_DEP_2) | instskip(NEXT) | instid1(VALU_DEP_2)
	v_add_co_ci_u32_e32 v2, vcc_lo, s6, v2, vcc_lo
	v_add_co_u32 v1, vcc_lo, v1, v65
	s_delay_alu instid0(VALU_DEP_2)
	v_add_co_ci_u32_e32 v2, vcc_lo, 0, v2, vcc_lo
	global_load_b128 v[1:4], v[1:2], off
	s_waitcnt vmcnt(0)
	ds_store_b128 v5, v[1:4]
.LBB1271_10:
	s_or_b32 exec_lo, exec_lo, s4
	v_and_b32_e32 v1, 0xef, v0
	s_waitcnt lgkmcnt(0)
	s_add_i32 s5, s24, 15
	s_clause 0x1
	s_load_b32 s4, s[0:1], 0x38
	s_load_b32 s33, s[0:1], 0x98
	s_ashr_i32 s6, s5, 31
	v_add_nc_u32_e32 v1, s12, v1
	s_lshr_b32 s6, s6, 28
	s_load_b32 s19, s[0:1], 0x1c
	s_add_i32 s5, s5, s6
	s_waitcnt lgkmcnt(0)
	v_ashrrev_i32_e32 v2, 31, v1
	v_or_b32_e32 v3, 16, v1
	s_ashr_i32 s13, s5, 4
	v_cmp_gt_i32_e32 vcc_lo, s24, v1
	s_add_i32 s13, s13, -1
	v_lshrrev_b32_e32 v2, 28, v2
	s_barrier
	buffer_gl0_inv
	s_mul_i32 s15, s15, s18
	v_add_nc_u32_e32 v4, v1, v2
	s_mul_i32 s4, s30, s4
	s_delay_alu instid0(SALU_CYCLE_1) | instskip(NEXT) | instid1(VALU_DEP_1)
	s_ashr_i32 s5, s4, 31
	v_ashrrev_i32_e32 v4, 4, v4
	v_add_nc_u32_e32 v2, v3, v2
	s_lshl_b64 s[4:5], s[4:5], 2
	s_delay_alu instid0(SALU_CYCLE_1) | instskip(NEXT) | instid1(VALU_DEP_2)
	s_add_u32 s16, s2, s4
	v_cndmask_b32_e32 v1, s13, v4, vcc_lo
	s_delay_alu instid0(VALU_DEP_2)
	v_ashrrev_i32_e32 v2, 4, v2
	v_cmp_gt_i32_e32 vcc_lo, s24, v3
	s_addc_u32 s25, s3, s5
	s_ashr_i32 s18, s15, 31
	s_add_u32 s26, s20, s15
	s_addc_u32 s27, s21, s18
	v_cndmask_b32_e32 v3, s13, v2, vcc_lo
	v_ashrrev_i32_e32 v2, 31, v1
	s_lshl_b32 s2, s14, 4
	s_delay_alu instid0(SALU_CYCLE_1) | instskip(NEXT) | instid1(VALU_DEP_2)
	s_ashr_i32 s3, s2, 31
	v_ashrrev_i32_e32 v4, 31, v3
	s_delay_alu instid0(VALU_DEP_2) | instskip(SKIP_1) | instid1(SALU_CYCLE_1)
	v_lshlrev_b64 v[1:2], 2, v[1:2]
	s_lshl_b64 s[2:3], s[2:3], 2
	s_add_u32 s2, s16, s2
	s_delay_alu instid0(VALU_DEP_2) | instskip(SKIP_1) | instid1(VALU_DEP_2)
	v_lshlrev_b64 v[3:4], 2, v[3:4]
	s_addc_u32 s3, s25, s3
	v_add_co_u32 v1, vcc_lo, s16, v1
	v_add_co_ci_u32_e32 v2, vcc_lo, s25, v2, vcc_lo
	s_delay_alu instid0(VALU_DEP_3) | instskip(NEXT) | instid1(VALU_DEP_4)
	v_add_co_u32 v3, vcc_lo, s16, v3
	v_add_co_ci_u32_e32 v4, vcc_lo, s25, v4, vcc_lo
	s_clause 0x1
	global_load_b32 v5, v[1:2], off
	global_load_b32 v7, v[3:4], off
	s_or_b32 s4, s12, 32
	v_lshlrev_b32_e32 v1, 4, v0
	s_ashr_i32 s5, s4, 4
	s_cmp_lt_i32 s4, s24
	v_cmp_gt_u32_e32 vcc_lo, 10, v68
	s_cselect_b32 s4, s5, s13
	v_and_b32_e32 v1, 0xf0, v1
	s_ashr_i32 s5, s4, 31
	s_delay_alu instid0(SALU_CYCLE_1) | instskip(NEXT) | instid1(SALU_CYCLE_1)
	s_lshl_b64 s[4:5], s[4:5], 2
	s_add_u32 s4, s16, s4
	s_addc_u32 s5, s25, s5
	s_or_b32 s6, s12, 64
	v_add_co_u32 v1, s26, s26, v1
	s_ashr_i32 s7, s6, 4
	s_cmp_lt_i32 s6, s24
	v_add_co_ci_u32_e64 v2, null, s27, 0, s26
	s_cselect_b32 s6, s7, s13
	s_delay_alu instid0(SALU_CYCLE_1) | instskip(NEXT) | instid1(SALU_CYCLE_1)
	s_ashr_i32 s7, s6, 31
	s_lshl_b64 s[6:7], s[6:7], 2
	s_delay_alu instid0(SALU_CYCLE_1) | instskip(SKIP_2) | instid1(SALU_CYCLE_1)
	s_add_u32 s6, s16, s6
	s_addc_u32 s7, s25, s7
	s_or_b32 s8, s12, 0x60
	s_ashr_i32 s9, s8, 4
	s_cmp_lt_i32 s8, s24
	s_cselect_b32 s8, s9, s13
	s_delay_alu instid0(SALU_CYCLE_1) | instskip(NEXT) | instid1(SALU_CYCLE_1)
	s_ashr_i32 s9, s8, 31
	s_lshl_b64 s[8:9], s[8:9], 2
	s_delay_alu instid0(SALU_CYCLE_1) | instskip(SKIP_2) | instid1(SALU_CYCLE_1)
	s_add_u32 s8, s16, s8
	s_addc_u32 s9, s25, s9
	s_or_b32 s10, s12, 0x80
	s_ashr_i32 s11, s10, 4
	s_cmp_lt_i32 s10, s24
	;; [unrolled: 10-line block ×3, first 2 shown]
	s_cselect_b32 s20, s21, s13
	s_delay_alu instid0(SALU_CYCLE_1) | instskip(NEXT) | instid1(SALU_CYCLE_1)
	s_ashr_i32 s21, s20, 31
	s_lshl_b64 s[20:21], s[20:21], 2
	s_delay_alu instid0(SALU_CYCLE_1)
	s_add_u32 s20, s16, s20
	s_addc_u32 s21, s25, s21
	s_clause 0x5
	s_load_b32 s26, s[2:3], 0x0
	s_load_b32 s27, s[4:5], 0x0
	s_load_b32 s28, s[6:7], 0x0
	s_load_b32 s29, s[8:9], 0x0
	s_load_b32 s34, s[10:11], 0x0
	s_load_b32 s35, s[20:21], 0x0
	s_or_b32 s2, s12, 0xc0
	s_mov_b32 s4, 0
	s_ashr_i32 s3, s2, 4
	s_cmp_lt_i32 s2, s24
	s_mov_b32 s11, s4
	s_cselect_b32 s2, s3, s13
	s_mov_b32 s5, s4
	s_ashr_i32 s3, s2, 31
	s_mov_b32 s6, s4
	s_lshl_b64 s[2:3], s[2:3], 2
	s_mov_b32 s7, s4
	s_add_u32 s2, s16, s2
	s_addc_u32 s3, s25, s3
	s_or_b32 s20, s12, 0xe0
	s_mov_b32 s8, s4
	s_ashr_i32 s21, s20, 4
	s_cmp_lt_i32 s20, s24
	s_mov_b32 s9, s4
	s_cselect_b32 s20, s21, s13
	s_mov_b32 s10, s4
	s_ashr_i32 s21, s20, 31
	v_mov_b32_e32 v118, s11
	v_dual_mov_b32 v112, s5 :: v_dual_mov_b32 v117, s10
	v_dual_mov_b32 v116, s9 :: v_dual_mov_b32 v115, s8
	;; [unrolled: 1-line block ×3, first 2 shown]
	v_mov_b32_e32 v111, s4
	s_lshl_b64 s[4:5], s[20:21], 2
	s_delay_alu instid0(SALU_CYCLE_1)
	s_add_u32 s4, s16, s4
	s_addc_u32 s5, s25, s5
	s_add_u32 s6, s22, s15
	s_addc_u32 s7, s23, s18
	s_waitcnt vmcnt(1)
	v_mad_i64_i32 v[3:4], null, v5, s17, v[1:2]
	s_waitcnt vmcnt(0)
	v_mad_i64_i32 v[5:6], null, v7, s17, v[1:2]
	v_add_nc_u32_e32 v1, -10, v68
	v_lshlrev_b32_e32 v2, 4, v68
	s_clause 0xf
	global_load_b128 v[17:20], v[3:4], off
	global_load_b128 v[21:24], v[3:4], off offset:256
	global_load_b128 v[25:28], v[5:6], off
	global_load_b128 v[29:32], v[5:6], off offset:256
	global_load_b128 v[57:60], v[3:4], off offset:512
	;; [unrolled: 1-line block ×13, first 2 shown]
	v_cndmask_b32_e32 v1, v1, v68, vcc_lo
	s_delay_alu instid0(VALU_DEP_1)
	v_lshlrev_b32_e32 v149, 6, v1
	v_lshl_or_b32 v1, v69, 8, v2
	ds_load_b128 v[119:122], v149
	ds_load_b128 v[123:126], v149 offset:1024
	ds_load_b128 v[127:130], v149 offset:2048
	ds_load_b128 v[131:134], v149 offset:3072
	s_clause 0x1
	s_load_b32 s2, s[2:3], 0x0
	s_load_b32 s3, s[4:5], 0x0
	v_add_co_u32 v135, s6, s6, v1
	s_delay_alu instid0(VALU_DEP_1) | instskip(SKIP_1) | instid1(VALU_DEP_1)
	v_add_co_ci_u32_e64 v136, null, s7, 0, s6
	s_waitcnt lgkmcnt(0)
	v_mad_i64_i32 v[1:2], null, s26, s17, v[135:136]
	v_mad_i64_i32 v[3:4], null, s27, s17, v[135:136]
	;; [unrolled: 1-line block ×6, first 2 shown]
	s_clause 0x9
	global_load_b128 v[49:52], v[1:2], off
	global_load_b128 v[53:56], v[1:2], off offset:16
	global_load_b128 v[41:44], v[3:4], off
	global_load_b128 v[45:48], v[3:4], off offset:16
	;; [unrolled: 2-line block ×5, first 2 shown]
	v_mad_i64_i32 v[145:146], null, s2, s17, v[135:136]
	v_mad_i64_i32 v[147:148], null, s3, s17, v[135:136]
	s_waitcnt vmcnt(24)
	v_wmma_f32_16x16x16_f16 v[135:142], v[17:24], v[119:126], v[111:118]
	s_waitcnt vmcnt(22)
	v_wmma_f32_16x16x16_f16 v[111:118], v[25:32], v[119:126], v[111:118]
	s_clause 0x3
	global_load_b128 v[17:20], v[143:144], off
	global_load_b128 v[21:24], v[143:144], off offset:16
	global_load_b128 v[25:28], v[145:146], off
	global_load_b128 v[29:32], v[145:146], off offset:16
	v_and_b32_e32 v119, 0xe0, v0
	s_waitcnt vmcnt(24)
	v_wmma_f32_16x16x16_f16 v[135:142], v[57:64], v[127:134], v[135:142]
	s_clause 0x1
	global_load_b128 v[57:60], v[147:148], off
	global_load_b128 v[61:64], v[147:148], off offset:16
	s_waitcnt vmcnt(24)
	v_wmma_f32_16x16x16_f16 v[111:118], v[71:78], v[127:134], v[111:118]
	ds_load_b128 v[71:74], v149 offset:4096
	ds_load_b128 v[75:78], v149 offset:5120
	v_add_nc_u32_e32 v128, s12, v119
	ds_load_b128 v[119:122], v149 offset:6144
	ds_load_b128 v[123:126], v149 offset:7168
	v_mbcnt_lo_u32_b32 v127, -1, 0
	s_waitcnt vmcnt(0) lgkmcnt(0)
	s_barrier
	v_or_b32_e32 v128, v128, v66
	buffer_gl0_inv
	v_xor_b32_e32 v129, 16, v127
	v_or_b32_e32 v130, 4, v128
	v_or_b32_e32 v131, 6, v128
	s_delay_alu instid0(VALU_DEP_3) | instskip(SKIP_4) | instid1(VALU_DEP_4)
	v_cmp_gt_i32_e32 vcc_lo, 32, v129
	v_or_b32_e32 v132, 8, v128
	v_or_b32_e32 v133, 10, v128
	v_cmp_gt_i32_e64 s3, s24, v130
	v_cmp_gt_i32_e64 s4, s24, v131
	;; [unrolled: 1-line block ×3, first 2 shown]
	v_wmma_f32_16x16x16_f16 v[135:142], v[79:86], v[71:78], v[135:142]
	v_wmma_f32_16x16x16_f16 v[111:118], v[87:94], v[71:78], v[111:118]
	v_or_b32_e32 v79, 12, v128
	v_or_b32_e32 v80, 14, v128
	v_cmp_gt_i32_e64 s6, s24, v133
	v_wmma_f32_16x16x16_f16 v[135:142], v[95:102], v[119:126], v[135:142]
	v_wmma_f32_16x16x16_f16 v[111:118], v[103:110], v[119:126], v[111:118]
	v_cndmask_b32_e32 v127, v127, v129, vcc_lo
	v_or_b32_e32 v129, 2, v128
	v_cmp_gt_i32_e32 vcc_lo, s24, v128
	v_mul_f32_e32 v88, s19, v135
	v_dual_mul_f32 v92, s19, v115 :: v_dual_mul_f32 v87, s19, v136
	s_delay_alu instid0(VALU_DEP_4)
	v_cmp_gt_i32_e64 s2, s24, v129
	v_mul_f32_e32 v78, s19, v138
	v_mul_f32_e32 v86, s19, v137
	v_cndmask_b32_e32 v88, 0xff7fffff, v88, vcc_lo
	v_mul_f32_e32 v76, s19, v140
	v_cndmask_b32_e64 v87, 0xff7fffff, v87, s2
	v_dual_mul_f32 v77, s19, v139 :: v_dual_mul_f32 v94, s19, v113
	v_cndmask_b32_e64 v86, 0xff7fffff, v86, s3
	v_cndmask_b32_e64 v78, 0xff7fffff, v78, s4
	s_delay_alu instid0(VALU_DEP_4)
	v_max3_f32 v87, v88, 0xff7fffff, v87
	v_or_b32_e32 v81, 16, v128
	v_or_b32_e32 v82, 18, v128
	v_dual_mul_f32 v74, s19, v142 :: v_dual_mul_f32 v75, s19, v141
	v_mul_f32_e32 v96, s19, v111
	v_cndmask_b32_e64 v77, 0xff7fffff, v77, s5
	v_cndmask_b32_e64 v76, 0xff7fffff, v76, s6
	v_max3_f32 v78, v87, v86, v78
	v_cmp_gt_i32_e64 s7, s24, v79
	v_cmp_gt_i32_e64 s8, s24, v80
	v_or_b32_e32 v83, 20, v128
	v_or_b32_e32 v84, 22, v128
	v_mul_f32_e32 v95, s19, v112
	v_cndmask_b32_e64 v75, 0xff7fffff, v75, s7
	v_cndmask_b32_e64 v74, 0xff7fffff, v74, s8
	v_max3_f32 v76, v78, v77, v76
	v_cmp_gt_i32_e64 s9, s24, v81
	v_cmp_gt_i32_e64 s10, s24, v82
	v_or_b32_e32 v85, 24, v128
	v_or_b32_e32 v71, 26, v128
	;; [unrolled: 8-line block ×3, first 2 shown]
	v_mul_f32_e32 v91, s19, v116
	v_cndmask_b32_e64 v75, 0xff7fffff, v94, s11
	v_cndmask_b32_e64 v76, 0xff7fffff, v93, s12
	v_max3_f32 v74, v74, v77, v78
	v_cmp_gt_i32_e64 s13, s24, v85
	v_cmp_gt_i32_e64 s15, s24, v71
	v_dual_mul_f32 v89, s19, v118 :: v_dual_mul_f32 v90, s19, v117
	s_delay_alu instid0(VALU_DEP_4) | instskip(NEXT) | instid1(VALU_DEP_4)
	v_max3_f32 v74, v74, v75, v76
	v_cndmask_b32_e64 v77, 0xff7fffff, v92, s13
	s_delay_alu instid0(VALU_DEP_4) | instskip(SKIP_2) | instid1(VALU_DEP_3)
	v_cndmask_b32_e64 v71, 0xff7fffff, v91, s15
	v_cmp_gt_i32_e64 s16, s24, v72
	v_cmp_gt_i32_e64 s17, s24, v73
	v_max3_f32 v71, v74, v77, v71
	s_delay_alu instid0(VALU_DEP_3) | instskip(NEXT) | instid1(VALU_DEP_3)
	v_cndmask_b32_e64 v72, 0xff7fffff, v90, s16
	v_cndmask_b32_e64 v73, 0xff7fffff, v89, s17
	v_lshlrev_b32_e32 v74, 2, v127
	s_delay_alu instid0(VALU_DEP_2) | instskip(SKIP_3) | instid1(VALU_DEP_1)
	v_max3_f32 v71, v71, v72, v73
	ds_bpermute_b32 v72, v74, v71
	s_waitcnt lgkmcnt(0)
	v_max_f32_e32 v72, v72, v72
	v_max_f32_e32 v71, v71, v72
	s_delay_alu instid0(VALU_DEP_1) | instskip(SKIP_4) | instid1(VALU_DEP_4)
	v_fma_f32 v72, s19, v135, -v71
	v_fma_f32 v73, s19, v136, -v71
	v_fma_f32 v75, s19, v137, -v71
	v_fma_f32 v76, s19, v138, -v71
	v_fma_f32 v77, s19, v139, -v71
	v_dual_mul_f32 v72, 0x3fb8aa3b, v72 :: v_dual_mul_f32 v73, 0x3fb8aa3b, v73
	v_fma_f32 v80, s19, v141, -v71
	s_delay_alu instid0(VALU_DEP_3) | instskip(NEXT) | instid1(VALU_DEP_3)
	v_dual_mul_f32 v76, 0x3fb8aa3b, v76 :: v_dual_mul_f32 v77, 0x3fb8aa3b, v77
	v_exp_f32_e32 v72, v72
	s_delay_alu instid0(VALU_DEP_3) | instskip(NEXT) | instid1(VALU_DEP_2)
	v_exp_f32_e32 v73, v73
	v_mul_f32_e32 v82, 0x3fb8aa3b, v80
	s_delay_alu instid0(VALU_DEP_2) | instskip(SKIP_1) | instid1(VALU_DEP_1)
	v_exp_f32_e32 v76, v76
	v_exp_f32_e32 v77, v77
	;; [unrolled: 1-line block ×3, first 2 shown]
	v_cndmask_b32_e32 v79, 0, v72, vcc_lo
	v_fma_f32 v72, s19, v140, -v71
	v_mul_f32_e32 v75, 0x3fb8aa3b, v75
	v_cndmask_b32_e64 v78, 0, v73, s2
	s_delay_alu instid0(TRANS32_DEP_3) | instskip(NEXT) | instid1(VALU_DEP_4)
	v_cndmask_b32_e64 v80, 0, v76, s4
	v_dual_add_f32 v73, 0, v79 :: v_dual_mul_f32 v72, 0x3fb8aa3b, v72
	s_delay_alu instid0(VALU_DEP_4) | instskip(NEXT) | instid1(TRANS32_DEP_3)
	v_exp_f32_e32 v75, v75
	v_cndmask_b32_e64 v83, 0, v77, s5
	s_delay_alu instid0(TRANS32_DEP_2) | instskip(NEXT) | instid1(VALU_DEP_3)
	v_cndmask_b32_e64 v85, 0, v84, s7
	v_add_f32_e32 v73, v73, v78
	v_exp_f32_e32 v72, v72
	s_mov_b32 s2, exec_lo
	s_waitcnt_depctr 0xfff
	v_cndmask_b32_e64 v81, 0, v75, s3
	v_cndmask_b32_e64 v82, 0, v72, s6
	s_delay_alu instid0(VALU_DEP_2) | instskip(NEXT) | instid1(VALU_DEP_1)
	v_add_f32_e32 v73, v73, v81
	v_add_f32_e32 v73, v73, v80
	s_delay_alu instid0(VALU_DEP_1) | instskip(NEXT) | instid1(VALU_DEP_1)
	v_add_f32_e32 v72, v73, v83
	v_add_f32_e32 v72, v72, v82
	s_delay_alu instid0(VALU_DEP_1)
	v_add_f32_e32 v72, v72, v85
	v_fma_f32 v76, s19, v111, -v71
	v_fma_f32 v75, s19, v142, -v71
	;; [unrolled: 1-line block ×5, first 2 shown]
	v_mul_f32_e32 v76, 0x3fb8aa3b, v76
	s_delay_alu instid0(VALU_DEP_4) | instskip(NEXT) | instid1(VALU_DEP_2)
	v_mul_f32_e32 v86, 0x3fb8aa3b, v86
	v_exp_f32_e32 v76, v76
	s_delay_alu instid0(VALU_DEP_1)
	v_exp_f32_e32 v88, v86
	s_waitcnt_depctr 0xfff
	v_cndmask_b32_e64 v87, 0, v76, s9
	v_fma_f32 v76, s19, v116, -v71
	v_mul_f32_e32 v75, 0x3fb8aa3b, v75
	v_cndmask_b32_e64 v88, 0, v88, s12
	s_delay_alu instid0(VALU_DEP_3) | instskip(NEXT) | instid1(VALU_DEP_3)
	v_dual_mul_f32 v73, 0x3fb8aa3b, v73 :: v_dual_mul_f32 v76, 0x3fb8aa3b, v76
	v_exp_f32_e32 v75, v75
	s_delay_alu instid0(VALU_DEP_1) | instskip(NEXT) | instid1(VALU_DEP_1)
	v_exp_f32_e32 v73, v73
	v_exp_f32_e32 v76, v76
	s_delay_alu instid0(TRANS32_DEP_3)
	v_cndmask_b32_e64 v84, 0, v75, s8
	v_fma_f32 v75, s19, v115, -v71
	s_waitcnt_depctr 0xfff
	v_cndmask_b32_e64 v89, 0, v73, s11
	v_cndmask_b32_e64 v90, 0, v76, s15
	v_add_f32_e32 v72, v72, v84
	s_delay_alu instid0(VALU_DEP_1) | instskip(NEXT) | instid1(VALU_DEP_1)
	v_dual_add_f32 v72, v72, v87 :: v_dual_mul_f32 v77, 0x3fb8aa3b, v77
	v_exp_f32_e32 v77, v77
	s_waitcnt_depctr 0xfff
	v_cndmask_b32_e64 v86, 0, v77, s10
	v_fma_f32 v77, s19, v117, -v71
	s_delay_alu instid0(VALU_DEP_2) | instskip(NEXT) | instid1(VALU_DEP_1)
	v_dual_add_f32 v72, v72, v86 :: v_dual_mul_f32 v75, 0x3fb8aa3b, v75
	v_add_f32_e32 v72, v72, v89
	s_delay_alu instid0(VALU_DEP_2) | instskip(NEXT) | instid1(VALU_DEP_1)
	v_exp_f32_e32 v75, v75
	v_add_f32_e32 v72, v72, v88
	s_waitcnt_depctr 0xfff
	v_cndmask_b32_e64 v91, 0, v75, s13
	v_mul_f32_e32 v73, 0x3fb8aa3b, v77
	v_fma_f32 v77, s19, v118, -v71
	s_delay_alu instid0(VALU_DEP_3) | instskip(NEXT) | instid1(VALU_DEP_3)
	v_add_f32_e32 v72, v72, v91
	v_exp_f32_e32 v73, v73
	s_delay_alu instid0(VALU_DEP_1) | instskip(NEXT) | instid1(VALU_DEP_1)
	v_dual_mul_f32 v75, 0x3fb8aa3b, v77 :: v_dual_add_f32 v72, v72, v90
	v_exp_f32_e32 v75, v75
	s_waitcnt_depctr 0xfff
	v_cndmask_b32_e64 v93, 0, v73, s16
	s_delay_alu instid0(VALU_DEP_1) | instskip(SKIP_1) | instid1(VALU_DEP_1)
	v_add_f32_e32 v72, v72, v93
	v_cndmask_b32_e64 v92, 0, v75, s17
	v_add_f32_e32 v72, v72, v92
	ds_bpermute_b32 v73, v74, v72
	v_cmpx_gt_u32_e32 16, v70
	s_cbranch_execz .LBB1271_12
; %bb.11:
	v_mul_u32_u24_e32 v70, 0x44, v69
	s_waitcnt lgkmcnt(0)
	v_add_f32_e32 v72, v72, v73
	s_delay_alu instid0(VALU_DEP_2) | instskip(NEXT) | instid1(VALU_DEP_1)
	v_lshl_add_u32 v70, v68, 2, v70
	v_add_nc_u32_e32 v70, 0x4000, v70
	ds_store_2addr_b32 v70, v71, v72 offset1:136
.LBB1271_12:
	s_or_b32 exec_lo, exec_lo, s2
	v_lshlrev_b32_e32 v70, 2, v68
	s_load_b32 s34, s[0:1], 0x94
	s_waitcnt lgkmcnt(0)
	s_barrier
	buffer_gl0_inv
	v_add_nc_u32_e32 v98, 0x4000, v70
	v_cmp_eq_u32_e32 vcc_lo, 1, v69
	v_cmp_eq_u32_e64 s2, 2, v69
	v_cmp_eq_u32_e64 s3, 3, v69
	;; [unrolled: 1-line block ×3, first 2 shown]
	ds_load_2addr_b32 v[70:71], v98 offset1:17
	ds_load_2addr_b32 v[72:73], v98 offset0:34 offset1:51
	ds_load_2addr_b32 v[74:75], v98 offset0:68 offset1:85
	;; [unrolled: 1-line block ×3, first 2 shown]
	v_cmp_eq_u32_e64 s5, 5, v69
	v_cmp_eq_u32_e64 s6, 7, v69
	s_waitcnt lgkmcnt(3)
	v_max3_f32 v76, v70, 0xff7fffff, v71
	s_waitcnt lgkmcnt(2)
	s_delay_alu instid0(VALU_DEP_1) | instskip(SKIP_1) | instid1(VALU_DEP_1)
	v_max3_f32 v76, v76, v72, v73
	s_waitcnt lgkmcnt(1)
	v_max3_f32 v76, v76, v74, v75
	s_waitcnt lgkmcnt(0)
	s_delay_alu instid0(VALU_DEP_1) | instskip(NEXT) | instid1(VALU_DEP_1)
	v_max3_f32 v76, v76, v94, v95
	v_sub_f32_e32 v77, v71, v76
	ds_load_2addr_b32 v[96:97], v98 offset0:136 offset1:153
	v_sub_f32_e32 v74, v74, v76
	v_sub_f32_e32 v70, v70, v76
	;; [unrolled: 1-line block ×3, first 2 shown]
	v_dual_sub_f32 v72, v72, v76 :: v_dual_mul_f32 v77, 0x3fb8aa3b, v77
	s_delay_alu instid0(VALU_DEP_4) | instskip(NEXT) | instid1(VALU_DEP_4)
	v_mul_f32_e32 v103, 0x3fb8aa3b, v74
	v_mul_f32_e32 v99, 0x3fb8aa3b, v70
	ds_load_2addr_b32 v[70:71], v98 offset0:170 offset1:187
	v_dual_mul_f32 v101, 0x3fb8aa3b, v72 :: v_dual_mul_f32 v94, 0x3fb8aa3b, v94
	v_exp_f32_e32 v102, v77
	v_exp_f32_e32 v99, v99
	s_delay_alu instid0(VALU_DEP_1) | instskip(NEXT) | instid1(VALU_DEP_1)
	v_exp_f32_e32 v101, v101
	v_exp_f32_e32 v94, v94
	s_waitcnt lgkmcnt(1)
	s_delay_alu instid0(TRANS32_DEP_3)
	v_fma_f32 v77, v99, v96, 0
	v_sub_f32_e32 v100, v73, v76
	ds_load_2addr_b32 v[72:73], v98 offset0:204 offset1:221
	v_fmac_f32_e32 v77, v102, v97
	v_exp_f32_e32 v97, v103
	s_waitcnt lgkmcnt(1)
	s_delay_alu instid0(VALU_DEP_1)
	v_dual_fmac_f32 v77, v101, v70 :: v_dual_sub_f32 v96, v75, v76
	ds_load_2addr_b32 v[74:75], v98 offset0:238 offset1:255
	v_sub_f32_e32 v70, v95, v76
	s_waitcnt lgkmcnt(0)
	s_barrier
	v_mul_f32_e32 v96, 0x3fb8aa3b, v96
	buffer_gl0_inv
	v_exp_f32_e32 v95, v96
	v_mul_f32_e32 v100, 0x3fb8aa3b, v100
	s_delay_alu instid0(VALU_DEP_1) | instskip(SKIP_3) | instid1(VALU_DEP_2)
	v_exp_f32_e32 v100, v100
	s_waitcnt_depctr 0xfff
	v_dual_fmac_f32 v77, v100, v71 :: v_dual_mul_f32 v70, 0x3fb8aa3b, v70
	v_cndmask_b32_e32 v71, v99, v102, vcc_lo
	v_fmac_f32_e32 v77, v97, v72
	s_delay_alu instid0(VALU_DEP_3) | instskip(NEXT) | instid1(VALU_DEP_1)
	v_exp_f32_e32 v96, v70
	v_fmac_f32_e32 v77, v95, v73
	s_delay_alu instid0(VALU_DEP_1) | instskip(SKIP_2) | instid1(VALU_DEP_1)
	v_fmac_f32_e32 v77, v94, v74
	s_waitcnt_depctr 0xfff
	v_fmac_f32_e32 v77, v96, v75
	v_add_f32_e32 v74, 0x358637bd, v77
	s_delay_alu instid0(VALU_DEP_1) | instskip(SKIP_1) | instid1(VALU_DEP_2)
	v_div_scale_f32 v98, null, v74, v74, 1.0
	v_div_scale_f32 v99, vcc_lo, 1.0, v74, 1.0
	v_rcp_f32_e32 v103, v98
	s_waitcnt_depctr 0xfff
	v_fma_f32 v70, -v98, v103, 1.0
	s_delay_alu instid0(VALU_DEP_1) | instskip(SKIP_2) | instid1(VALU_DEP_2)
	v_fmac_f32_e32 v103, v70, v103
	v_cndmask_b32_e64 v70, v71, v101, s2
	v_cmp_eq_u32_e64 s2, 6, v69
	v_cndmask_b32_e64 v71, v70, v100, s3
	s_delay_alu instid0(VALU_DEP_4) | instskip(NEXT) | instid1(VALU_DEP_2)
	v_dual_mul_f32 v101, v99, v103 :: v_dual_lshlrev_b32 v70, 2, v66
	v_cndmask_b32_e64 v71, v71, v97, s4
	s_delay_alu instid0(VALU_DEP_2) | instskip(NEXT) | instid1(VALU_DEP_3)
	v_or_b32_e32 v72, 1, v70
	v_fma_f32 v100, -v98, v101, v99
	v_cmp_eq_u32_e64 s3, 1, v70
	v_cmp_eq_u32_e64 s4, 2, v70
	v_cndmask_b32_e64 v95, v71, v95, s5
	v_or_b32_e32 v71, 3, v70
	v_fmac_f32_e32 v101, v100, v103
	v_cmp_eq_u32_e64 s8, 1, v72
	v_cmp_eq_u32_e64 s11, 2, v72
	v_cndmask_b32_e64 v94, v95, v94, s2
	v_cmp_eq_u32_e64 s10, 1, v71
	v_fma_f32 v97, -v98, v101, v99
	v_cmp_eq_u32_e64 s15, 2, v71
	v_cmp_eq_u32_e64 s12, 3, v72
	v_cndmask_b32_e64 v94, v94, v96, s6
	v_cmp_eq_u32_e64 s17, 3, v71
	v_div_fmas_f32 v95, v97, v103, v101
	v_cmp_eq_u32_e32 vcc_lo, 3, v70
	v_cmp_eq_u32_e64 s2, 4, v70
	v_cmp_eq_u32_e64 s18, 4, v72
	v_cmp_eq_u32_e64 s21, 4, v71
	v_div_fixup_f32 v95, v95, v74, 1.0
	v_lshlrev_b32_e32 v73, 6, v68
	v_cmp_eq_u32_e64 s5, 5, v70
	v_cmp_eq_u32_e64 s19, 5, v72
	;; [unrolled: 1-line block ×3, first 2 shown]
	v_mul_f32_e32 v102, v94, v95
	v_lshl_or_b32 v75, v69, 11, v73
	v_or_b32_e32 v69, 2, v70
	v_cmp_eq_u32_e64 s24, 6, v72
	v_cmp_eq_u32_e64 s26, 6, v71
	v_fma_mixlo_f16 v94, v102, v79, 0
	v_fma_mixlo_f16 v95, v102, v81, 0
	;; [unrolled: 1-line block ×8, first 2 shown]
	v_lshl_or_b32 v74, v66, 4, v75
	v_fma_mixhi_f16 v94, v102, v78, 0
	v_fma_mixhi_f16 v95, v102, v80, 0
	;; [unrolled: 1-line block ×8, first 2 shown]
	ds_store_b128 v74, v[94:97]
	ds_store_b128 v74, v[98:101] offset:1024
	s_waitcnt lgkmcnt(0)
	s_barrier
	buffer_gl0_inv
	ds_load_b128 v[78:81], v75
	ds_load_b128 v[82:85], v75 offset:16
	ds_load_b128 v[86:89], v75 offset:1024
	;; [unrolled: 1-line block ×3, first 2 shown]
	v_cmp_eq_u32_e64 s9, 1, v69
	v_cmp_eq_u32_e64 s13, 2, v69
	;; [unrolled: 1-line block ×11, first 2 shown]
	s_waitcnt lgkmcnt(3)
	v_lshrrev_b32_e32 v94, 16, v78
	s_waitcnt lgkmcnt(2)
	v_lshrrev_b32_e32 v98, 16, v82
	;; [unrolled: 2-line block ×4, first 2 shown]
	v_lshrrev_b32_e32 v95, 16, v79
	v_cndmask_b32_e64 v110, v78, v94, s3
	v_cndmask_b32_e64 v111, v82, v98, s3
	;; [unrolled: 1-line block ×8, first 2 shown]
	v_lshrrev_b32_e32 v99, 16, v83
	v_cndmask_b32_e64 v94, v86, v102, s3
	v_cndmask_b32_e64 v98, v90, v106, s3
	;; [unrolled: 1-line block ×15, first 2 shown]
	v_lshrrev_b32_e32 v103, 16, v87
	v_lshrrev_b32_e32 v107, 16, v91
	v_cndmask_b32_e64 v113, v115, v83, s13
	v_cndmask_b32_e64 v82, v94, v87, s4
	;; [unrolled: 1-line block ×7, first 2 shown]
	v_cndmask_b32_e32 v90, v102, v95, vcc_lo
	v_cndmask_b32_e32 v102, v106, v99, vcc_lo
	v_cndmask_b32_e64 v106, v110, v95, s12
	v_cndmask_b32_e64 v110, v111, v99, s12
	;; [unrolled: 1-line block ×4, first 2 shown]
	v_lshrrev_b32_e32 v96, 16, v80
	v_lshrrev_b32_e32 v100, 16, v84
	v_cndmask_b32_e64 v111, v112, v95, s16
	v_cndmask_b32_e64 v112, v113, v99, s16
	v_cndmask_b32_e32 v82, v82, v103, vcc_lo
	v_cndmask_b32_e32 v83, v83, v107, vcc_lo
	v_cndmask_b32_e64 v94, v94, v103, s12
	v_cndmask_b32_e64 v90, v90, v80, s2
	;; [unrolled: 1-line block ×7, first 2 shown]
	v_lshrrev_b32_e32 v104, 16, v88
	v_cndmask_b32_e64 v106, v111, v80, s20
	v_cndmask_b32_e64 v110, v112, v84, s20
	;; [unrolled: 1-line block ×11, first 2 shown]
	v_lshrrev_b32_e32 v97, 16, v81
	v_lshrrev_b32_e32 v101, 16, v85
	v_cndmask_b32_e64 v99, v106, v96, s22
	v_cndmask_b32_e64 v102, v110, v100, s22
	;; [unrolled: 1-line block ×7, first 2 shown]
	v_lshrrev_b32_e32 v105, 16, v89
	v_cndmask_b32_e64 v80, v80, v104, s5
	v_cndmask_b32_e64 v84, v84, v81, s6
	;; [unrolled: 1-line block ×16, first 2 shown]
	v_perm_b32 v81, v79, v78, 0x5040100
	v_perm_b32 v79, v95, v85, 0x5040100
	v_cndmask_b32_e64 v78, v119, v91, s13
	v_cndmask_b32_e64 v85, v117, v91, s11
	;; [unrolled: 1-line block ×3, first 2 shown]
	v_perm_b32 v80, v94, v90, 0x5040100
	v_cndmask_b32_e64 v90, v98, v103, s16
	v_cndmask_b32_e64 v86, v86, v103, s17
	;; [unrolled: 1-line block ×5, first 2 shown]
	v_lshrrev_b32_e32 v108, 16, v92
	v_cndmask_b32_e64 v90, v90, v88, s20
	v_cndmask_b32_e64 v86, v86, v88, s21
	;; [unrolled: 1-line block ×11, first 2 shown]
	v_lshrrev_b32_e32 v109, 16, v93
	v_cndmask_b32_e64 v82, v82, v93, s6
	v_cndmask_b32_e64 v88, v88, v89, s25
	;; [unrolled: 1-line block ×12, first 2 shown]
	v_perm_b32 v78, v84, v83, 0x5040100
	v_perm_b32 v85, v87, v86, 0x5040100
	;; [unrolled: 1-line block ×5, first 2 shown]
	s_mul_i32 s7, s33, 10
	s_mov_b32 s2, exec_lo
	ds_store_b128 v74, v[78:81]
	ds_store_b128 v74, v[82:85] offset:1024
	v_cmpx_gt_u32_e32 10, v0
	s_cbranch_execz .LBB1271_14
; %bb.13:
	s_mul_i32 s3, s7, s30
	s_load_b128 s[8:11], s[0:1], 0x58
	v_add3_u32 v68, s3, s31, v68
	s_delay_alu instid0(VALU_DEP_1) | instskip(NEXT) | instid1(VALU_DEP_1)
	v_mad_u64_u32 v[78:79], null, v68, s34, s[14:15]
	v_ashrrev_i32_e32 v79, 31, v78
	s_delay_alu instid0(VALU_DEP_1) | instskip(SKIP_1) | instid1(VALU_DEP_1)
	v_lshlrev_b64 v[78:79], 2, v[78:79]
	s_waitcnt lgkmcnt(0)
	v_add_co_u32 v80, vcc_lo, s10, v78
	s_delay_alu instid0(VALU_DEP_2)
	v_add_co_ci_u32_e32 v81, vcc_lo, s11, v79, vcc_lo
	v_add_co_u32 v78, vcc_lo, s8, v78
	v_add_co_ci_u32_e32 v79, vcc_lo, s9, v79, vcc_lo
	global_store_b32 v[80:81], v76, off
	global_store_b32 v[78:79], v77, off
.LBB1271_14:
	s_or_b32 exec_lo, exec_lo, s2
	s_waitcnt lgkmcnt(0)
	s_waitcnt_vscnt null, 0x0
	s_barrier
	buffer_gl0_inv
	ds_load_b128 v[84:87], v73
	ds_load_b128 v[88:91], v73 offset:16
	ds_load_b128 v[96:99], v73 offset:2064
	;; [unrolled: 1-line block ×5, first 2 shown]
	v_cmp_eq_u32_e32 vcc_lo, 1, v70
	v_mov_b32_e32 v76, 0
	ds_load_b128 v[112:115], v73 offset:6160
	ds_load_b128 v[108:111], v73 offset:6144
	;; [unrolled: 1-line block ×4, first 2 shown]
	v_cmp_eq_u32_e64 s3, 1, v69
	v_cmp_eq_u32_e64 s2, 1, v72
	;; [unrolled: 1-line block ×3, first 2 shown]
	v_mov_b32_e32 v77, v76
	v_mov_b32_e32 v78, v76
	;; [unrolled: 1-line block ×7, first 2 shown]
	v_cmp_eq_u32_e64 s5, 3, v72
	v_cmp_eq_u32_e64 s6, 7, v72
	s_waitcnt lgkmcnt(8)
	s_delay_alu instid0(VALU_DEP_3)
	v_wmma_f32_16x16x16_f16 v[76:83], v[49:56], v[84:91], v[76:83]
	ds_load_b128 v[53:56], v73 offset:10256
	ds_load_b128 v[49:52], v73 offset:10240
	s_waitcnt lgkmcnt(8)
	v_wmma_f32_16x16x16_f16 v[76:83], v[41:48], v[92:99], v[76:83]
	ds_load_b128 v[45:48], v73 offset:12304
	ds_load_b128 v[41:44], v73 offset:12288
	s_waitcnt lgkmcnt(8)
	;; [unrolled: 4-line block ×3, first 2 shown]
	s_barrier
	buffer_gl0_inv
	v_wmma_f32_16x16x16_f16 v[76:83], v[1:8], v[108:115], v[76:83]
	s_delay_alu instid0(VALU_DEP_1) | instskip(NEXT) | instid1(VALU_DEP_1)
	v_wmma_f32_16x16x16_f16 v[76:83], v[9:16], v[116:123], v[76:83]
	v_wmma_f32_16x16x16_f16 v[76:83], v[17:24], v[49:56], v[76:83]
	s_delay_alu instid0(VALU_DEP_1) | instskip(NEXT) | instid1(VALU_DEP_1)
	v_wmma_f32_16x16x16_f16 v[76:83], v[25:32], v[41:48], v[76:83]
	v_wmma_f32_16x16x16_f16 v[76:83], v[57:64], v[33:40], v[76:83]
	s_delay_alu instid0(VALU_DEP_1) | instskip(NEXT) | instid1(VALU_DEP_2)
	v_cvt_f16_f32_e32 v1, v76
	v_cvt_f16_f32_e32 v2, v77
	s_delay_alu instid0(VALU_DEP_3) | instskip(NEXT) | instid1(VALU_DEP_4)
	v_cvt_f16_f32_e32 v3, v78
	v_cvt_f16_f32_e32 v4, v79
	;; [unrolled: 1-line block ×6, first 2 shown]
	v_pack_b32_f16 v1, v1, v2
	v_pack_b32_f16 v2, v3, v4
	;; [unrolled: 1-line block ×3, first 2 shown]
	s_delay_alu instid0(VALU_DEP_4)
	v_pack_b32_f16 v4, v7, v8
	ds_store_b128 v74, v[1:4]
	s_waitcnt lgkmcnt(0)
	s_barrier
	buffer_gl0_inv
	ds_load_b128 v[1:4], v75
	ds_load_b128 v[5:8], v75 offset:16
	s_waitcnt lgkmcnt(1)
	v_lshrrev_b32_e32 v9, 16, v1
	s_waitcnt lgkmcnt(0)
	v_lshrrev_b32_e32 v13, 16, v5
	v_lshrrev_b32_e32 v10, 16, v2
	;; [unrolled: 1-line block ×4, first 2 shown]
	v_cndmask_b32_e32 v17, v1, v9, vcc_lo
	v_cndmask_b32_e32 v18, v5, v13, vcc_lo
	v_cndmask_b32_e64 v21, v1, v9, s3
	v_cmp_eq_u32_e32 vcc_lo, 1, v71
	v_cndmask_b32_e64 v22, v5, v13, s3
	v_cmp_eq_u32_e64 s3, 2, v70
	v_cndmask_b32_e64 v19, v1, v9, s2
	v_cndmask_b32_e64 v20, v5, v13, s2
	v_cndmask_b32_e32 v1, v1, v9, vcc_lo
	v_cmp_eq_u32_e64 s2, 2, v71
	v_cndmask_b32_e32 v5, v5, v13, vcc_lo
	v_cndmask_b32_e64 v9, v17, v2, s3
	v_cmp_eq_u32_e32 vcc_lo, 3, v70
	v_cndmask_b32_e64 v13, v18, v6, s3
	v_cmp_eq_u32_e64 s3, 2, v69
	v_cndmask_b32_e64 v17, v19, v2, s4
	v_cndmask_b32_e64 v18, v20, v6, s4
	v_cmp_eq_u32_e64 s4, 3, v69
	v_cndmask_b32_e64 v1, v1, v2, s2
	v_cndmask_b32_e64 v19, v21, v2, s3
	;; [unrolled: 1-line block ×4, first 2 shown]
	v_cndmask_b32_e32 v5, v9, v10, vcc_lo
	v_cndmask_b32_e32 v6, v13, v14, vcc_lo
	v_cmp_eq_u32_e32 vcc_lo, 3, v71
	v_cndmask_b32_e64 v9, v17, v10, s5
	v_cndmask_b32_e64 v13, v18, v14, s5
	;; [unrolled: 1-line block ×3, first 2 shown]
	v_cmp_eq_u32_e64 s3, 4, v70
	v_cndmask_b32_e32 v1, v1, v10, vcc_lo
	v_cndmask_b32_e32 v2, v2, v14, vcc_lo
	v_cmp_eq_u32_e32 vcc_lo, 4, v72
	v_lshrrev_b32_e32 v15, 16, v7
	v_lshrrev_b32_e32 v16, 16, v8
	v_cndmask_b32_e64 v17, v19, v10, s4
	v_cmp_eq_u32_e64 s2, 4, v71
	v_cndmask_b32_e64 v5, v5, v3, s3
	v_cndmask_b32_e64 v6, v6, v7, s3
	v_cndmask_b32_e32 v9, v9, v3, vcc_lo
	v_cmp_eq_u32_e64 s3, 5, v72
	v_cndmask_b32_e32 v10, v13, v7, vcc_lo
	v_cmp_eq_u32_e32 vcc_lo, 4, v69
	v_cmp_eq_u32_e64 s4, 5, v70
	v_cndmask_b32_e64 v2, v2, v7, s2
	v_cndmask_b32_e64 v9, v9, v11, s3
	;; [unrolled: 1-line block ×3, first 2 shown]
	v_cndmask_b32_e32 v13, v17, v3, vcc_lo
	v_cmp_eq_u32_e64 s3, 5, v69
	v_cndmask_b32_e32 v14, v18, v7, vcc_lo
	v_cndmask_b32_e64 v1, v1, v3, s2
	v_cmp_eq_u32_e32 vcc_lo, 5, v71
	v_lshrrev_b32_e32 v12, 16, v4
	v_cndmask_b32_e64 v13, v13, v11, s3
	v_cndmask_b32_e64 v3, v14, v15, s3
	v_cmp_eq_u32_e64 s3, 6, v71
	v_cndmask_b32_e32 v1, v1, v11, vcc_lo
	v_cndmask_b32_e64 v5, v5, v11, s4
	v_cmp_eq_u32_e64 s5, 6, v70
	v_cndmask_b32_e64 v6, v6, v15, s4
	v_cmp_eq_u32_e64 s4, 6, v72
	v_cmp_eq_u32_e64 s2, 6, v69
	v_cndmask_b32_e64 v1, v1, v4, s3
	v_cndmask_b32_e32 v2, v2, v15, vcc_lo
	v_cmp_eq_u32_e32 vcc_lo, 7, v71
	v_cndmask_b32_e64 v5, v5, v4, s5
	v_cndmask_b32_e64 v9, v9, v4, s4
	;; [unrolled: 1-line block ×3, first 2 shown]
	v_cmp_eq_u32_e64 s5, 7, v70
	v_cndmask_b32_e32 v1, v1, v12, vcc_lo
	v_cndmask_b32_e64 v7, v13, v4, s2
	v_cndmask_b32_e64 v3, v3, v8, s2
	;; [unrolled: 1-line block ×3, first 2 shown]
	v_cmp_eq_u32_e64 s2, 7, v69
	v_cndmask_b32_e64 v4, v10, v8, s4
	v_cndmask_b32_e64 v5, v5, v12, s5
	;; [unrolled: 1-line block ×3, first 2 shown]
	v_cndmask_b32_e32 v2, v2, v16, vcc_lo
	v_cndmask_b32_e64 v7, v7, v12, s2
	v_cndmask_b32_e64 v3, v3, v16, s2
	;; [unrolled: 1-line block ×4, first 2 shown]
	v_perm_b32 v4, v2, v1, 0x5040100
	s_mov_b32 s2, exec_lo
	v_perm_b32 v3, v3, v7, 0x5040100
	v_perm_b32 v2, v8, v9, 0x5040100
	;; [unrolled: 1-line block ×3, first 2 shown]
	ds_store_b128 v74, v[1:4]
	s_waitcnt lgkmcnt(0)
	s_barrier
	buffer_gl0_inv
	v_cmpx_gt_u32_e32 32, v0
	s_cbranch_execz .LBB1271_2
; %bb.15:
	s_load_b64 s[0:1], s[0:1], 0x68
	s_lshl_b32 s4, s34, 7
	v_or_b32_e32 v2, s31, v66
	s_mul_i32 s2, s4, s30
	v_lshlrev_b32_e32 v0, 10, v0
	s_mul_i32 s2, s2, s7
	v_lshlrev_b32_e32 v1, 4, v67
	s_ashr_i32 s3, s2, 31
	v_mul_lo_u32 v20, v2, s4
	s_lshl_b64 s[2:3], s[2:3], 1
	v_lshlrev_b32_e32 v3, 6, v66
	v_and_b32_e32 v0, 0x3800, v0
	s_delay_alu instid0(VALU_DEP_1) | instskip(NEXT) | instid1(VALU_DEP_4)
	v_or3_b32 v16, v0, v1, v3
	v_ashrrev_i32_e32 v21, 31, v20
	ds_load_b128 v[0:3], v16
	ds_load_b128 v[4:7], v16 offset:128
	s_waitcnt lgkmcnt(0)
	s_add_u32 s2, s0, s2
	s_addc_u32 s3, s1, s3
	s_lshl_b32 s0, s14, 7
	ds_load_b128 v[8:11], v16 offset:256
	ds_load_b128 v[12:15], v16 offset:384
	;; [unrolled: 1-line block ×3, first 2 shown]
	s_ashr_i32 s1, s0, 31
	s_delay_alu instid0(SALU_CYCLE_1) | instskip(NEXT) | instid1(SALU_CYCLE_1)
	s_lshl_b64 s[0:1], s[0:1], 1
	s_add_u32 s0, s2, s0
	s_addc_u32 s1, s3, s1
	s_lshl_b32 s2, s34, 8
	v_add_co_u32 v30, s0, s0, v65
	v_add_nc_u32_e32 v22, s2, v20
	v_lshlrev_b64 v[20:21], 1, v[20:21]
	v_add_co_ci_u32_e64 v31, null, s1, 0, s0
	s_delay_alu instid0(VALU_DEP_3) | instskip(SKIP_1) | instid1(VALU_DEP_4)
	v_add_nc_u32_e32 v24, s2, v22
	v_ashrrev_i32_e32 v23, 31, v22
	v_add_co_u32 v20, vcc_lo, v30, v20
	s_delay_alu instid0(VALU_DEP_4) | instskip(NEXT) | instid1(VALU_DEP_4)
	v_add_co_ci_u32_e32 v21, vcc_lo, v31, v21, vcc_lo
	v_add_nc_u32_e32 v26, s2, v24
	v_ashrrev_i32_e32 v25, 31, v24
	v_lshlrev_b64 v[22:23], 1, v[22:23]
	s_delay_alu instid0(VALU_DEP_3) | instskip(SKIP_1) | instid1(VALU_DEP_4)
	v_add_nc_u32_e32 v28, s2, v26
	v_ashrrev_i32_e32 v27, 31, v26
	v_lshlrev_b64 v[24:25], 1, v[24:25]
	s_delay_alu instid0(VALU_DEP_4) | instskip(NEXT) | instid1(VALU_DEP_4)
	v_add_co_u32 v22, vcc_lo, v30, v22
	v_ashrrev_i32_e32 v29, 31, v28
	s_delay_alu instid0(VALU_DEP_4) | instskip(SKIP_2) | instid1(VALU_DEP_4)
	v_lshlrev_b64 v[26:27], 1, v[26:27]
	v_add_co_ci_u32_e32 v23, vcc_lo, v31, v23, vcc_lo
	v_add_co_u32 v24, vcc_lo, v30, v24
	v_lshlrev_b64 v[28:29], 1, v[28:29]
	v_add_co_ci_u32_e32 v25, vcc_lo, v31, v25, vcc_lo
	v_add_co_u32 v26, vcc_lo, v30, v26
	v_add_co_ci_u32_e32 v27, vcc_lo, v31, v27, vcc_lo
	s_delay_alu instid0(VALU_DEP_4)
	v_add_co_u32 v28, vcc_lo, v30, v28
	v_add_co_ci_u32_e32 v29, vcc_lo, v31, v29, vcc_lo
	s_clause 0x1
	global_store_b128 v[20:21], v[0:3], off
	global_store_b128 v[22:23], v[4:7], off
	s_waitcnt lgkmcnt(2)
	global_store_b128 v[24:25], v[8:11], off
	s_waitcnt lgkmcnt(1)
	;; [unrolled: 2-line block ×3, first 2 shown]
	global_store_b128 v[28:29], v[16:19], off
	s_nop 0
	s_sendmsg sendmsg(MSG_DEALLOC_VGPRS)
	s_endpgm
	.section	.rodata,"a",@progbits
	.p2align	6, 0x0
	.amdhsa_kernel _Z39paged_attention_ll4mi_QKV_mfma16_kernelIDF16_hLN4vllm18Fp8KVCacheDataTypeE1EDF16_Li16ELi128ELi256ELb0ELi10EL8MFMAType0EEvPKT_PKT0_S8_ifPKiSA_SA_iPKfiiiPfSD_PS3_PT2_iSC_SC_
		.amdhsa_group_segment_fixed_size 17472
		.amdhsa_private_segment_fixed_size 0
		.amdhsa_kernarg_size 400
		.amdhsa_user_sgpr_count 13
		.amdhsa_user_sgpr_dispatch_ptr 0
		.amdhsa_user_sgpr_queue_ptr 0
		.amdhsa_user_sgpr_kernarg_segment_ptr 1
		.amdhsa_user_sgpr_dispatch_id 0
		.amdhsa_user_sgpr_private_segment_size 0
		.amdhsa_wavefront_size32 1
		.amdhsa_uses_dynamic_stack 0
		.amdhsa_enable_private_segment 0
		.amdhsa_system_sgpr_workgroup_id_x 1
		.amdhsa_system_sgpr_workgroup_id_y 1
		.amdhsa_system_sgpr_workgroup_id_z 1
		.amdhsa_system_sgpr_workgroup_info 0
		.amdhsa_system_vgpr_workitem_id 0
		.amdhsa_next_free_vgpr 150
		.amdhsa_next_free_sgpr 36
		.amdhsa_reserve_vcc 1
		.amdhsa_float_round_mode_32 0
		.amdhsa_float_round_mode_16_64 0
		.amdhsa_float_denorm_mode_32 3
		.amdhsa_float_denorm_mode_16_64 3
		.amdhsa_dx10_clamp 1
		.amdhsa_ieee_mode 1
		.amdhsa_fp16_overflow 0
		.amdhsa_workgroup_processor_mode 1
		.amdhsa_memory_ordered 1
		.amdhsa_forward_progress 0
		.amdhsa_shared_vgpr_count 0
		.amdhsa_exception_fp_ieee_invalid_op 0
		.amdhsa_exception_fp_denorm_src 0
		.amdhsa_exception_fp_ieee_div_zero 0
		.amdhsa_exception_fp_ieee_overflow 0
		.amdhsa_exception_fp_ieee_underflow 0
		.amdhsa_exception_fp_ieee_inexact 0
		.amdhsa_exception_int_div_zero 0
	.end_amdhsa_kernel
	.section	.text._Z39paged_attention_ll4mi_QKV_mfma16_kernelIDF16_hLN4vllm18Fp8KVCacheDataTypeE1EDF16_Li16ELi128ELi256ELb0ELi10EL8MFMAType0EEvPKT_PKT0_S8_ifPKiSA_SA_iPKfiiiPfSD_PS3_PT2_iSC_SC_,"axG",@progbits,_Z39paged_attention_ll4mi_QKV_mfma16_kernelIDF16_hLN4vllm18Fp8KVCacheDataTypeE1EDF16_Li16ELi128ELi256ELb0ELi10EL8MFMAType0EEvPKT_PKT0_S8_ifPKiSA_SA_iPKfiiiPfSD_PS3_PT2_iSC_SC_,comdat
.Lfunc_end1271:
	.size	_Z39paged_attention_ll4mi_QKV_mfma16_kernelIDF16_hLN4vllm18Fp8KVCacheDataTypeE1EDF16_Li16ELi128ELi256ELb0ELi10EL8MFMAType0EEvPKT_PKT0_S8_ifPKiSA_SA_iPKfiiiPfSD_PS3_PT2_iSC_SC_, .Lfunc_end1271-_Z39paged_attention_ll4mi_QKV_mfma16_kernelIDF16_hLN4vllm18Fp8KVCacheDataTypeE1EDF16_Li16ELi128ELi256ELb0ELi10EL8MFMAType0EEvPKT_PKT0_S8_ifPKiSA_SA_iPKfiiiPfSD_PS3_PT2_iSC_SC_
                                        ; -- End function
	.section	.AMDGPU.csdata,"",@progbits
; Kernel info:
; codeLenInByte = 6704
; NumSgprs: 38
; NumVgprs: 150
; ScratchSize: 0
; MemoryBound: 0
; FloatMode: 240
; IeeeMode: 1
; LDSByteSize: 17472 bytes/workgroup (compile time only)
; SGPRBlocks: 4
; VGPRBlocks: 18
; NumSGPRsForWavesPerEU: 38
; NumVGPRsForWavesPerEU: 150
; Occupancy: 9
; WaveLimiterHint : 1
; COMPUTE_PGM_RSRC2:SCRATCH_EN: 0
; COMPUTE_PGM_RSRC2:USER_SGPR: 13
; COMPUTE_PGM_RSRC2:TRAP_HANDLER: 0
; COMPUTE_PGM_RSRC2:TGID_X_EN: 1
; COMPUTE_PGM_RSRC2:TGID_Y_EN: 1
; COMPUTE_PGM_RSRC2:TGID_Z_EN: 1
; COMPUTE_PGM_RSRC2:TIDIG_COMP_CNT: 0
	.section	.text._Z39paged_attention_ll4mi_QKV_mfma16_kernelIDF16_hLN4vllm18Fp8KVCacheDataTypeE1EDF16_Li16ELi128ELi256ELb0ELi11EL8MFMAType0EEvPKT_PKT0_S8_ifPKiSA_SA_iPKfiiiPfSD_PS3_PT2_iSC_SC_,"axG",@progbits,_Z39paged_attention_ll4mi_QKV_mfma16_kernelIDF16_hLN4vllm18Fp8KVCacheDataTypeE1EDF16_Li16ELi128ELi256ELb0ELi11EL8MFMAType0EEvPKT_PKT0_S8_ifPKiSA_SA_iPKfiiiPfSD_PS3_PT2_iSC_SC_,comdat
	.protected	_Z39paged_attention_ll4mi_QKV_mfma16_kernelIDF16_hLN4vllm18Fp8KVCacheDataTypeE1EDF16_Li16ELi128ELi256ELb0ELi11EL8MFMAType0EEvPKT_PKT0_S8_ifPKiSA_SA_iPKfiiiPfSD_PS3_PT2_iSC_SC_ ; -- Begin function _Z39paged_attention_ll4mi_QKV_mfma16_kernelIDF16_hLN4vllm18Fp8KVCacheDataTypeE1EDF16_Li16ELi128ELi256ELb0ELi11EL8MFMAType0EEvPKT_PKT0_S8_ifPKiSA_SA_iPKfiiiPfSD_PS3_PT2_iSC_SC_
	.globl	_Z39paged_attention_ll4mi_QKV_mfma16_kernelIDF16_hLN4vllm18Fp8KVCacheDataTypeE1EDF16_Li16ELi128ELi256ELb0ELi11EL8MFMAType0EEvPKT_PKT0_S8_ifPKiSA_SA_iPKfiiiPfSD_PS3_PT2_iSC_SC_
	.p2align	8
	.type	_Z39paged_attention_ll4mi_QKV_mfma16_kernelIDF16_hLN4vllm18Fp8KVCacheDataTypeE1EDF16_Li16ELi128ELi256ELb0ELi11EL8MFMAType0EEvPKT_PKT0_S8_ifPKiSA_SA_iPKfiiiPfSD_PS3_PT2_iSC_SC_,@function
_Z39paged_attention_ll4mi_QKV_mfma16_kernelIDF16_hLN4vllm18Fp8KVCacheDataTypeE1EDF16_Li16ELi128ELi256ELb0ELi11EL8MFMAType0EEvPKT_PKT0_S8_ifPKiSA_SA_iPKfiiiPfSD_PS3_PT2_iSC_SC_: ; @_Z39paged_attention_ll4mi_QKV_mfma16_kernelIDF16_hLN4vllm18Fp8KVCacheDataTypeE1EDF16_Li16ELi128ELi256ELb0ELi11EL8MFMAType0EEvPKT_PKT0_S8_ifPKiSA_SA_iPKfiiiPfSD_PS3_PT2_iSC_SC_
; %bb.0:
	s_load_b64 s[4:5], s[0:1], 0x30
	s_mov_b32 s34, s13
	s_waitcnt lgkmcnt(0)
	s_cmp_lg_u64 s[4:5], 0
	s_cselect_b32 s8, -1, 0
	s_ashr_i32 s35, s13, 31
	s_cmp_eq_u64 s[4:5], 0
	s_cbranch_scc1 .LBB1272_3
; %bb.1:
	s_lshl_b64 s[2:3], s[34:35], 2
	s_delay_alu instid0(SALU_CYCLE_1) | instskip(SKIP_4) | instid1(SALU_CYCLE_1)
	s_add_u32 s2, s4, s2
	s_addc_u32 s3, s5, s3
	s_load_b64 s[2:3], s[2:3], 0x0
	s_waitcnt lgkmcnt(0)
	s_sub_i32 s2, s3, s2
	s_cmp_eq_u32 s2, 1
	s_cselect_b32 s2, -1, 0
	s_delay_alu instid0(SALU_CYCLE_1)
	s_and_not1_b32 vcc_lo, exec_lo, s2
	s_cbranch_vccz .LBB1272_4
.LBB1272_2:
	s_nop 0
	s_sendmsg sendmsg(MSG_DEALLOC_VGPRS)
	s_endpgm
.LBB1272_3:
.LBB1272_4:
	s_load_b64 s[2:3], s[0:1], 0x28
	s_lshl_b64 s[6:7], s[34:35], 2
	s_waitcnt lgkmcnt(0)
	s_add_u32 s2, s2, s6
	s_addc_u32 s3, s3, s7
	s_lshl_b32 s12, s14, 8
	s_load_b32 s24, s[2:3], 0x0
	s_waitcnt lgkmcnt(0)
	s_cmp_ge_i32 s12, s24
	s_cbranch_scc1 .LBB1272_2
; %bb.5:
	s_clause 0x1
	s_load_b128 s[20:23], s[0:1], 0x8
	s_load_b64 s[2:3], s[0:1], 0x20
	s_and_not1_b32 vcc_lo, exec_lo, s8
	s_cbranch_vccnz .LBB1272_7
; %bb.6:
	s_add_u32 s4, s4, s6
	s_addc_u32 s5, s5, s7
	s_load_b32 s5, s[4:5], 0x0
	s_branch .LBB1272_8
.LBB1272_7:
	s_mov_b32 s5, s34
.LBB1272_8:
	s_load_b128 s[16:19], s[0:1], 0x48
	v_and_b32_e32 v68, 15, v0
	v_lshrrev_b32_e32 v69, 5, v0
	v_bfe_u32 v66, v0, 4, 1
	v_and_b32_e32 v70, 31, v0
	v_and_b32_e32 v67, 1, v0
	v_lshlrev_b32_e32 v2, 3, v68
	s_mul_i32 s31, s15, 11
	v_lshl_or_b32 v1, v69, 1, v66
	s_mov_b32 s4, exec_lo
	s_delay_alu instid0(VALU_DEP_2) | instskip(NEXT) | instid1(VALU_DEP_2)
	v_lshlrev_b32_e32 v65, 1, v2
	v_cmpx_gt_u32_e32 11, v1
	s_cbranch_execz .LBB1272_10
; %bb.9:
	s_load_b64 s[6:7], s[0:1], 0x0
	v_add_lshl_u32 v2, v1, s31, 7
	s_waitcnt lgkmcnt(0)
	s_mul_hi_i32 s9, s5, s16
	s_mul_i32 s8, s5, s16
	v_lshlrev_b32_e32 v6, 10, v68
	s_lshl_b64 s[8:9], s[8:9], 1
	v_ashrrev_i32_e32 v3, 31, v2
	v_lshlrev_b32_e32 v1, 6, v1
	v_lshlrev_b32_e32 v7, 10, v67
	v_and_b32_e32 v6, 0x3800, v6
	s_delay_alu instid0(VALU_DEP_4) | instskip(NEXT) | instid1(VALU_DEP_2)
	v_lshlrev_b64 v[2:3], 1, v[2:3]
	v_or3_b32 v1, v6, v7, v1
	s_add_u32 s5, s6, s8
	s_addc_u32 s6, s7, s9
	s_delay_alu instid0(VALU_DEP_2) | instskip(NEXT) | instid1(VALU_DEP_3)
	v_add_co_u32 v2, vcc_lo, s5, v2
	v_add_co_ci_u32_e32 v3, vcc_lo, s6, v3, vcc_lo
	s_delay_alu instid0(VALU_DEP_2) | instskip(NEXT) | instid1(VALU_DEP_2)
	v_add_co_u32 v2, vcc_lo, v2, v65
	v_add_co_ci_u32_e32 v3, vcc_lo, 0, v3, vcc_lo
	global_load_b128 v[2:5], v[2:3], off
	s_waitcnt vmcnt(0)
	ds_store_b128 v1, v[2:5]
.LBB1272_10:
	s_or_b32 exec_lo, exec_lo, s4
	v_and_b32_e32 v1, 0xef, v0
	s_waitcnt lgkmcnt(0)
	s_add_i32 s5, s24, 15
	s_clause 0x1
	s_load_b32 s4, s[0:1], 0x38
	s_load_b32 s33, s[0:1], 0x98
	s_ashr_i32 s6, s5, 31
	v_add_nc_u32_e32 v1, s12, v1
	s_lshr_b32 s6, s6, 28
	s_load_b32 s19, s[0:1], 0x1c
	s_add_i32 s5, s5, s6
	s_waitcnt lgkmcnt(0)
	v_ashrrev_i32_e32 v2, 31, v1
	v_or_b32_e32 v3, 16, v1
	s_ashr_i32 s13, s5, 4
	v_cmp_gt_i32_e32 vcc_lo, s24, v1
	s_add_i32 s13, s13, -1
	v_lshrrev_b32_e32 v2, 28, v2
	s_barrier
	buffer_gl0_inv
	s_mul_i32 s15, s15, s18
	v_add_nc_u32_e32 v4, v1, v2
	s_mul_i32 s4, s34, s4
	s_delay_alu instid0(SALU_CYCLE_1) | instskip(NEXT) | instid1(VALU_DEP_1)
	s_ashr_i32 s5, s4, 31
	v_ashrrev_i32_e32 v4, 4, v4
	v_add_nc_u32_e32 v2, v3, v2
	s_lshl_b64 s[4:5], s[4:5], 2
	s_delay_alu instid0(SALU_CYCLE_1) | instskip(NEXT) | instid1(VALU_DEP_2)
	s_add_u32 s16, s2, s4
	v_cndmask_b32_e32 v1, s13, v4, vcc_lo
	s_delay_alu instid0(VALU_DEP_2)
	v_ashrrev_i32_e32 v2, 4, v2
	v_cmp_gt_i32_e32 vcc_lo, s24, v3
	s_addc_u32 s25, s3, s5
	s_ashr_i32 s18, s15, 31
	s_add_u32 s26, s20, s15
	s_addc_u32 s27, s21, s18
	v_cndmask_b32_e32 v3, s13, v2, vcc_lo
	v_ashrrev_i32_e32 v2, 31, v1
	s_lshl_b32 s2, s14, 4
	s_delay_alu instid0(SALU_CYCLE_1) | instskip(NEXT) | instid1(VALU_DEP_2)
	s_ashr_i32 s3, s2, 31
	v_ashrrev_i32_e32 v4, 31, v3
	s_delay_alu instid0(VALU_DEP_2) | instskip(SKIP_1) | instid1(SALU_CYCLE_1)
	v_lshlrev_b64 v[1:2], 2, v[1:2]
	s_lshl_b64 s[2:3], s[2:3], 2
	s_add_u32 s2, s16, s2
	s_delay_alu instid0(VALU_DEP_2) | instskip(SKIP_1) | instid1(VALU_DEP_2)
	v_lshlrev_b64 v[3:4], 2, v[3:4]
	s_addc_u32 s3, s25, s3
	v_add_co_u32 v1, vcc_lo, s16, v1
	v_add_co_ci_u32_e32 v2, vcc_lo, s25, v2, vcc_lo
	s_delay_alu instid0(VALU_DEP_3) | instskip(NEXT) | instid1(VALU_DEP_4)
	v_add_co_u32 v3, vcc_lo, s16, v3
	v_add_co_ci_u32_e32 v4, vcc_lo, s25, v4, vcc_lo
	s_clause 0x1
	global_load_b32 v5, v[1:2], off
	global_load_b32 v7, v[3:4], off
	s_or_b32 s4, s12, 32
	v_lshlrev_b32_e32 v1, 4, v0
	s_ashr_i32 s5, s4, 4
	s_cmp_lt_i32 s4, s24
	v_cmp_gt_u32_e32 vcc_lo, 11, v68
	s_cselect_b32 s4, s5, s13
	v_and_b32_e32 v1, 0xf0, v1
	s_ashr_i32 s5, s4, 31
	s_delay_alu instid0(SALU_CYCLE_1) | instskip(NEXT) | instid1(SALU_CYCLE_1)
	s_lshl_b64 s[4:5], s[4:5], 2
	s_add_u32 s4, s16, s4
	s_addc_u32 s5, s25, s5
	s_or_b32 s6, s12, 64
	v_add_co_u32 v1, s26, s26, v1
	s_ashr_i32 s7, s6, 4
	s_cmp_lt_i32 s6, s24
	v_add_co_ci_u32_e64 v2, null, s27, 0, s26
	s_cselect_b32 s6, s7, s13
	s_delay_alu instid0(SALU_CYCLE_1) | instskip(NEXT) | instid1(SALU_CYCLE_1)
	s_ashr_i32 s7, s6, 31
	s_lshl_b64 s[6:7], s[6:7], 2
	s_delay_alu instid0(SALU_CYCLE_1) | instskip(SKIP_2) | instid1(SALU_CYCLE_1)
	s_add_u32 s6, s16, s6
	s_addc_u32 s7, s25, s7
	s_or_b32 s8, s12, 0x60
	s_ashr_i32 s9, s8, 4
	s_cmp_lt_i32 s8, s24
	s_cselect_b32 s8, s9, s13
	s_delay_alu instid0(SALU_CYCLE_1) | instskip(NEXT) | instid1(SALU_CYCLE_1)
	s_ashr_i32 s9, s8, 31
	s_lshl_b64 s[8:9], s[8:9], 2
	s_delay_alu instid0(SALU_CYCLE_1) | instskip(SKIP_2) | instid1(SALU_CYCLE_1)
	s_add_u32 s8, s16, s8
	s_addc_u32 s9, s25, s9
	s_or_b32 s10, s12, 0x80
	s_ashr_i32 s11, s10, 4
	s_cmp_lt_i32 s10, s24
	;; [unrolled: 10-line block ×3, first 2 shown]
	s_cselect_b32 s20, s21, s13
	s_delay_alu instid0(SALU_CYCLE_1) | instskip(NEXT) | instid1(SALU_CYCLE_1)
	s_ashr_i32 s21, s20, 31
	s_lshl_b64 s[20:21], s[20:21], 2
	s_delay_alu instid0(SALU_CYCLE_1)
	s_add_u32 s20, s16, s20
	s_addc_u32 s21, s25, s21
	s_clause 0x5
	s_load_b32 s26, s[2:3], 0x0
	s_load_b32 s27, s[4:5], 0x0
	;; [unrolled: 1-line block ×6, first 2 shown]
	s_or_b32 s2, s12, 0xc0
	s_mov_b32 s4, 0
	s_ashr_i32 s3, s2, 4
	s_cmp_lt_i32 s2, s24
	s_mov_b32 s11, s4
	s_cselect_b32 s2, s3, s13
	s_mov_b32 s5, s4
	s_ashr_i32 s3, s2, 31
	s_mov_b32 s6, s4
	s_lshl_b64 s[2:3], s[2:3], 2
	s_mov_b32 s7, s4
	s_add_u32 s2, s16, s2
	s_addc_u32 s3, s25, s3
	s_or_b32 s20, s12, 0xe0
	s_mov_b32 s8, s4
	s_ashr_i32 s21, s20, 4
	s_cmp_lt_i32 s20, s24
	s_mov_b32 s9, s4
	s_cselect_b32 s20, s21, s13
	s_mov_b32 s10, s4
	s_ashr_i32 s21, s20, 31
	v_mov_b32_e32 v118, s11
	v_dual_mov_b32 v112, s5 :: v_dual_mov_b32 v117, s10
	v_dual_mov_b32 v116, s9 :: v_dual_mov_b32 v115, s8
	;; [unrolled: 1-line block ×3, first 2 shown]
	v_mov_b32_e32 v111, s4
	s_lshl_b64 s[4:5], s[20:21], 2
	s_delay_alu instid0(SALU_CYCLE_1)
	s_add_u32 s4, s16, s4
	s_addc_u32 s5, s25, s5
	s_add_u32 s6, s22, s15
	s_addc_u32 s7, s23, s18
	s_waitcnt vmcnt(1)
	v_mad_i64_i32 v[3:4], null, v5, s17, v[1:2]
	s_waitcnt vmcnt(0)
	v_mad_i64_i32 v[5:6], null, v7, s17, v[1:2]
	v_add_nc_u32_e32 v1, -11, v68
	v_lshlrev_b32_e32 v2, 4, v68
	s_clause 0xf
	global_load_b128 v[17:20], v[3:4], off
	global_load_b128 v[21:24], v[3:4], off offset:256
	global_load_b128 v[25:28], v[5:6], off
	global_load_b128 v[29:32], v[5:6], off offset:256
	global_load_b128 v[57:60], v[3:4], off offset:512
	;; [unrolled: 1-line block ×13, first 2 shown]
	v_cndmask_b32_e32 v1, v1, v68, vcc_lo
	s_delay_alu instid0(VALU_DEP_1)
	v_lshlrev_b32_e32 v149, 6, v1
	v_lshl_or_b32 v1, v69, 8, v2
	ds_load_b128 v[119:122], v149
	ds_load_b128 v[123:126], v149 offset:1024
	ds_load_b128 v[127:130], v149 offset:2048
	;; [unrolled: 1-line block ×3, first 2 shown]
	s_clause 0x1
	s_load_b32 s2, s[2:3], 0x0
	s_load_b32 s3, s[4:5], 0x0
	v_add_co_u32 v135, s6, s6, v1
	s_delay_alu instid0(VALU_DEP_1) | instskip(SKIP_1) | instid1(VALU_DEP_1)
	v_add_co_ci_u32_e64 v136, null, s7, 0, s6
	s_waitcnt lgkmcnt(0)
	v_mad_i64_i32 v[1:2], null, s26, s17, v[135:136]
	v_mad_i64_i32 v[3:4], null, s27, s17, v[135:136]
	;; [unrolled: 1-line block ×6, first 2 shown]
	s_clause 0x9
	global_load_b128 v[49:52], v[1:2], off
	global_load_b128 v[53:56], v[1:2], off offset:16
	global_load_b128 v[41:44], v[3:4], off
	global_load_b128 v[45:48], v[3:4], off offset:16
	;; [unrolled: 2-line block ×5, first 2 shown]
	v_mad_i64_i32 v[145:146], null, s2, s17, v[135:136]
	v_mad_i64_i32 v[147:148], null, s3, s17, v[135:136]
	s_waitcnt vmcnt(24)
	v_wmma_f32_16x16x16_f16 v[135:142], v[17:24], v[119:126], v[111:118]
	s_waitcnt vmcnt(22)
	v_wmma_f32_16x16x16_f16 v[111:118], v[25:32], v[119:126], v[111:118]
	s_clause 0x3
	global_load_b128 v[17:20], v[143:144], off
	global_load_b128 v[21:24], v[143:144], off offset:16
	global_load_b128 v[25:28], v[145:146], off
	global_load_b128 v[29:32], v[145:146], off offset:16
	v_and_b32_e32 v119, 0xe0, v0
	s_waitcnt vmcnt(24)
	v_wmma_f32_16x16x16_f16 v[135:142], v[57:64], v[127:134], v[135:142]
	s_clause 0x1
	global_load_b128 v[57:60], v[147:148], off
	global_load_b128 v[61:64], v[147:148], off offset:16
	s_waitcnt vmcnt(24)
	v_wmma_f32_16x16x16_f16 v[111:118], v[71:78], v[127:134], v[111:118]
	ds_load_b128 v[71:74], v149 offset:4096
	ds_load_b128 v[75:78], v149 offset:5120
	v_add_nc_u32_e32 v128, s12, v119
	ds_load_b128 v[119:122], v149 offset:6144
	ds_load_b128 v[123:126], v149 offset:7168
	v_mbcnt_lo_u32_b32 v127, -1, 0
	s_waitcnt vmcnt(0) lgkmcnt(0)
	s_barrier
	v_or_b32_e32 v128, v128, v66
	buffer_gl0_inv
	v_xor_b32_e32 v129, 16, v127
	v_or_b32_e32 v130, 4, v128
	v_or_b32_e32 v131, 6, v128
	s_delay_alu instid0(VALU_DEP_3) | instskip(SKIP_4) | instid1(VALU_DEP_4)
	v_cmp_gt_i32_e32 vcc_lo, 32, v129
	v_or_b32_e32 v132, 8, v128
	v_or_b32_e32 v133, 10, v128
	v_cmp_gt_i32_e64 s3, s24, v130
	v_cmp_gt_i32_e64 s4, s24, v131
	;; [unrolled: 1-line block ×3, first 2 shown]
	v_wmma_f32_16x16x16_f16 v[135:142], v[79:86], v[71:78], v[135:142]
	v_wmma_f32_16x16x16_f16 v[111:118], v[87:94], v[71:78], v[111:118]
	v_or_b32_e32 v79, 12, v128
	v_or_b32_e32 v80, 14, v128
	v_cmp_gt_i32_e64 s6, s24, v133
	v_wmma_f32_16x16x16_f16 v[135:142], v[95:102], v[119:126], v[135:142]
	v_wmma_f32_16x16x16_f16 v[111:118], v[103:110], v[119:126], v[111:118]
	v_cndmask_b32_e32 v127, v127, v129, vcc_lo
	v_or_b32_e32 v129, 2, v128
	v_cmp_gt_i32_e32 vcc_lo, s24, v128
	v_mul_f32_e32 v88, s19, v135
	v_dual_mul_f32 v92, s19, v115 :: v_dual_mul_f32 v87, s19, v136
	s_delay_alu instid0(VALU_DEP_4)
	v_cmp_gt_i32_e64 s2, s24, v129
	v_mul_f32_e32 v78, s19, v138
	v_mul_f32_e32 v86, s19, v137
	v_cndmask_b32_e32 v88, 0xff7fffff, v88, vcc_lo
	v_mul_f32_e32 v76, s19, v140
	v_cndmask_b32_e64 v87, 0xff7fffff, v87, s2
	v_dual_mul_f32 v77, s19, v139 :: v_dual_mul_f32 v94, s19, v113
	v_cndmask_b32_e64 v86, 0xff7fffff, v86, s3
	v_cndmask_b32_e64 v78, 0xff7fffff, v78, s4
	s_delay_alu instid0(VALU_DEP_4)
	v_max3_f32 v87, v88, 0xff7fffff, v87
	v_or_b32_e32 v81, 16, v128
	v_or_b32_e32 v82, 18, v128
	v_dual_mul_f32 v74, s19, v142 :: v_dual_mul_f32 v75, s19, v141
	v_mul_f32_e32 v96, s19, v111
	v_cndmask_b32_e64 v77, 0xff7fffff, v77, s5
	v_cndmask_b32_e64 v76, 0xff7fffff, v76, s6
	v_max3_f32 v78, v87, v86, v78
	v_cmp_gt_i32_e64 s7, s24, v79
	v_cmp_gt_i32_e64 s8, s24, v80
	v_or_b32_e32 v83, 20, v128
	v_or_b32_e32 v84, 22, v128
	v_mul_f32_e32 v95, s19, v112
	v_cndmask_b32_e64 v75, 0xff7fffff, v75, s7
	v_cndmask_b32_e64 v74, 0xff7fffff, v74, s8
	v_max3_f32 v76, v78, v77, v76
	v_cmp_gt_i32_e64 s9, s24, v81
	v_cmp_gt_i32_e64 s10, s24, v82
	v_or_b32_e32 v85, 24, v128
	v_or_b32_e32 v71, 26, v128
	;; [unrolled: 8-line block ×3, first 2 shown]
	v_mul_f32_e32 v91, s19, v116
	v_cndmask_b32_e64 v75, 0xff7fffff, v94, s11
	v_cndmask_b32_e64 v76, 0xff7fffff, v93, s12
	v_max3_f32 v74, v74, v77, v78
	v_cmp_gt_i32_e64 s13, s24, v85
	v_cmp_gt_i32_e64 s15, s24, v71
	v_dual_mul_f32 v89, s19, v118 :: v_dual_mul_f32 v90, s19, v117
	s_delay_alu instid0(VALU_DEP_4) | instskip(NEXT) | instid1(VALU_DEP_4)
	v_max3_f32 v74, v74, v75, v76
	v_cndmask_b32_e64 v77, 0xff7fffff, v92, s13
	s_delay_alu instid0(VALU_DEP_4) | instskip(SKIP_2) | instid1(VALU_DEP_3)
	v_cndmask_b32_e64 v71, 0xff7fffff, v91, s15
	v_cmp_gt_i32_e64 s16, s24, v72
	v_cmp_gt_i32_e64 s17, s24, v73
	v_max3_f32 v71, v74, v77, v71
	s_delay_alu instid0(VALU_DEP_3) | instskip(NEXT) | instid1(VALU_DEP_3)
	v_cndmask_b32_e64 v72, 0xff7fffff, v90, s16
	v_cndmask_b32_e64 v73, 0xff7fffff, v89, s17
	v_lshlrev_b32_e32 v74, 2, v127
	s_delay_alu instid0(VALU_DEP_2) | instskip(SKIP_3) | instid1(VALU_DEP_1)
	v_max3_f32 v71, v71, v72, v73
	ds_bpermute_b32 v72, v74, v71
	s_waitcnt lgkmcnt(0)
	v_max_f32_e32 v72, v72, v72
	v_max_f32_e32 v71, v71, v72
	s_delay_alu instid0(VALU_DEP_1) | instskip(SKIP_4) | instid1(VALU_DEP_4)
	v_fma_f32 v72, s19, v135, -v71
	v_fma_f32 v73, s19, v136, -v71
	v_fma_f32 v75, s19, v137, -v71
	v_fma_f32 v76, s19, v138, -v71
	v_fma_f32 v77, s19, v139, -v71
	v_dual_mul_f32 v72, 0x3fb8aa3b, v72 :: v_dual_mul_f32 v73, 0x3fb8aa3b, v73
	v_fma_f32 v80, s19, v141, -v71
	s_delay_alu instid0(VALU_DEP_3) | instskip(NEXT) | instid1(VALU_DEP_3)
	v_dual_mul_f32 v76, 0x3fb8aa3b, v76 :: v_dual_mul_f32 v77, 0x3fb8aa3b, v77
	v_exp_f32_e32 v72, v72
	s_delay_alu instid0(VALU_DEP_3) | instskip(NEXT) | instid1(VALU_DEP_2)
	v_exp_f32_e32 v73, v73
	v_mul_f32_e32 v82, 0x3fb8aa3b, v80
	s_delay_alu instid0(VALU_DEP_2) | instskip(SKIP_1) | instid1(VALU_DEP_1)
	v_exp_f32_e32 v76, v76
	v_exp_f32_e32 v77, v77
	;; [unrolled: 1-line block ×3, first 2 shown]
	v_cndmask_b32_e32 v79, 0, v72, vcc_lo
	v_fma_f32 v72, s19, v140, -v71
	v_mul_f32_e32 v75, 0x3fb8aa3b, v75
	v_cndmask_b32_e64 v78, 0, v73, s2
	s_delay_alu instid0(TRANS32_DEP_3) | instskip(NEXT) | instid1(VALU_DEP_4)
	v_cndmask_b32_e64 v80, 0, v76, s4
	v_dual_add_f32 v73, 0, v79 :: v_dual_mul_f32 v72, 0x3fb8aa3b, v72
	s_delay_alu instid0(VALU_DEP_4) | instskip(NEXT) | instid1(TRANS32_DEP_3)
	v_exp_f32_e32 v75, v75
	v_cndmask_b32_e64 v83, 0, v77, s5
	s_delay_alu instid0(TRANS32_DEP_2) | instskip(NEXT) | instid1(VALU_DEP_3)
	v_cndmask_b32_e64 v85, 0, v84, s7
	v_add_f32_e32 v73, v73, v78
	v_exp_f32_e32 v72, v72
	v_cmp_gt_u32_e64 s2, 16, v70
	s_waitcnt_depctr 0xfff
	v_cndmask_b32_e64 v81, 0, v75, s3
	v_cndmask_b32_e64 v82, 0, v72, s6
	s_delay_alu instid0(VALU_DEP_2) | instskip(NEXT) | instid1(VALU_DEP_1)
	v_add_f32_e32 v73, v73, v81
	v_add_f32_e32 v73, v73, v80
	s_delay_alu instid0(VALU_DEP_1) | instskip(NEXT) | instid1(VALU_DEP_1)
	v_add_f32_e32 v72, v73, v83
	v_add_f32_e32 v72, v72, v82
	s_delay_alu instid0(VALU_DEP_1)
	v_add_f32_e32 v72, v72, v85
	v_fma_f32 v76, s19, v111, -v71
	v_fma_f32 v75, s19, v142, -v71
	;; [unrolled: 1-line block ×5, first 2 shown]
	v_mul_f32_e32 v76, 0x3fb8aa3b, v76
	s_delay_alu instid0(VALU_DEP_4) | instskip(NEXT) | instid1(VALU_DEP_2)
	v_mul_f32_e32 v86, 0x3fb8aa3b, v86
	v_exp_f32_e32 v76, v76
	s_delay_alu instid0(VALU_DEP_1)
	v_exp_f32_e32 v88, v86
	s_waitcnt_depctr 0xfff
	v_cndmask_b32_e64 v87, 0, v76, s9
	v_fma_f32 v76, s19, v116, -v71
	v_mul_f32_e32 v75, 0x3fb8aa3b, v75
	v_cndmask_b32_e64 v88, 0, v88, s12
	s_delay_alu instid0(VALU_DEP_3) | instskip(NEXT) | instid1(VALU_DEP_3)
	v_dual_mul_f32 v73, 0x3fb8aa3b, v73 :: v_dual_mul_f32 v76, 0x3fb8aa3b, v76
	v_exp_f32_e32 v75, v75
	s_delay_alu instid0(VALU_DEP_1) | instskip(NEXT) | instid1(VALU_DEP_1)
	v_exp_f32_e32 v73, v73
	v_exp_f32_e32 v76, v76
	s_delay_alu instid0(TRANS32_DEP_3)
	v_cndmask_b32_e64 v84, 0, v75, s8
	v_fma_f32 v75, s19, v115, -v71
	s_waitcnt_depctr 0xfff
	v_cndmask_b32_e64 v89, 0, v73, s11
	v_cndmask_b32_e64 v90, 0, v76, s15
	v_add_f32_e32 v72, v72, v84
	s_delay_alu instid0(VALU_DEP_1) | instskip(NEXT) | instid1(VALU_DEP_1)
	v_dual_add_f32 v72, v72, v87 :: v_dual_mul_f32 v77, 0x3fb8aa3b, v77
	v_exp_f32_e32 v77, v77
	s_waitcnt_depctr 0xfff
	v_cndmask_b32_e64 v86, 0, v77, s10
	v_fma_f32 v77, s19, v117, -v71
	s_delay_alu instid0(VALU_DEP_2) | instskip(NEXT) | instid1(VALU_DEP_1)
	v_dual_add_f32 v72, v72, v86 :: v_dual_mul_f32 v75, 0x3fb8aa3b, v75
	v_add_f32_e32 v72, v72, v89
	s_delay_alu instid0(VALU_DEP_2) | instskip(NEXT) | instid1(VALU_DEP_1)
	v_exp_f32_e32 v75, v75
	v_add_f32_e32 v72, v72, v88
	s_waitcnt_depctr 0xfff
	v_cndmask_b32_e64 v91, 0, v75, s13
	v_mul_f32_e32 v73, 0x3fb8aa3b, v77
	v_fma_f32 v77, s19, v118, -v71
	s_delay_alu instid0(VALU_DEP_3) | instskip(NEXT) | instid1(VALU_DEP_3)
	v_add_f32_e32 v72, v72, v91
	v_exp_f32_e32 v73, v73
	s_delay_alu instid0(VALU_DEP_1) | instskip(NEXT) | instid1(VALU_DEP_1)
	v_dual_mul_f32 v75, 0x3fb8aa3b, v77 :: v_dual_add_f32 v72, v72, v90
	v_exp_f32_e32 v75, v75
	s_waitcnt_depctr 0xfff
	v_cndmask_b32_e64 v93, 0, v73, s16
	s_delay_alu instid0(VALU_DEP_1) | instskip(SKIP_1) | instid1(VALU_DEP_1)
	v_add_f32_e32 v72, v72, v93
	v_cndmask_b32_e64 v92, 0, v75, s17
	v_add_f32_e32 v72, v72, v92
	ds_bpermute_b32 v73, v74, v72
	s_and_saveexec_b32 s3, s2
	s_cbranch_execz .LBB1272_12
; %bb.11:
	v_mul_u32_u24_e32 v70, 0x44, v69
	s_waitcnt lgkmcnt(0)
	v_add_f32_e32 v72, v72, v73
	s_delay_alu instid0(VALU_DEP_2) | instskip(NEXT) | instid1(VALU_DEP_1)
	v_lshl_add_u32 v70, v68, 2, v70
	v_add_nc_u32_e32 v70, 0x4000, v70
	ds_store_2addr_b32 v70, v71, v72 offset1:136
.LBB1272_12:
	s_or_b32 exec_lo, exec_lo, s3
	v_lshlrev_b32_e32 v70, 2, v68
	s_load_b32 s35, s[0:1], 0x94
	s_waitcnt lgkmcnt(0)
	s_barrier
	buffer_gl0_inv
	v_add_nc_u32_e32 v98, 0x4000, v70
	v_cmp_eq_u32_e32 vcc_lo, 1, v69
	v_cmp_eq_u32_e64 s3, 2, v69
	v_cmp_eq_u32_e64 s4, 3, v69
	;; [unrolled: 1-line block ×3, first 2 shown]
	ds_load_2addr_b32 v[70:71], v98 offset1:17
	ds_load_2addr_b32 v[72:73], v98 offset0:34 offset1:51
	ds_load_2addr_b32 v[74:75], v98 offset0:68 offset1:85
	;; [unrolled: 1-line block ×3, first 2 shown]
	v_cmp_eq_u32_e64 s6, 5, v69
	v_cmp_eq_u32_e64 s7, 7, v69
	s_waitcnt lgkmcnt(3)
	v_max3_f32 v76, v70, 0xff7fffff, v71
	s_waitcnt lgkmcnt(2)
	s_delay_alu instid0(VALU_DEP_1) | instskip(SKIP_1) | instid1(VALU_DEP_1)
	v_max3_f32 v76, v76, v72, v73
	s_waitcnt lgkmcnt(1)
	v_max3_f32 v76, v76, v74, v75
	s_waitcnt lgkmcnt(0)
	s_delay_alu instid0(VALU_DEP_1) | instskip(NEXT) | instid1(VALU_DEP_1)
	v_max3_f32 v76, v76, v94, v95
	v_sub_f32_e32 v77, v71, v76
	ds_load_2addr_b32 v[96:97], v98 offset0:136 offset1:153
	v_sub_f32_e32 v74, v74, v76
	v_sub_f32_e32 v70, v70, v76
	;; [unrolled: 1-line block ×3, first 2 shown]
	v_dual_sub_f32 v72, v72, v76 :: v_dual_mul_f32 v77, 0x3fb8aa3b, v77
	s_delay_alu instid0(VALU_DEP_4) | instskip(NEXT) | instid1(VALU_DEP_4)
	v_mul_f32_e32 v103, 0x3fb8aa3b, v74
	v_mul_f32_e32 v99, 0x3fb8aa3b, v70
	ds_load_2addr_b32 v[70:71], v98 offset0:170 offset1:187
	v_dual_mul_f32 v101, 0x3fb8aa3b, v72 :: v_dual_mul_f32 v94, 0x3fb8aa3b, v94
	v_exp_f32_e32 v102, v77
	v_exp_f32_e32 v99, v99
	s_delay_alu instid0(VALU_DEP_1) | instskip(NEXT) | instid1(VALU_DEP_1)
	v_exp_f32_e32 v101, v101
	v_exp_f32_e32 v94, v94
	s_waitcnt lgkmcnt(1)
	s_delay_alu instid0(TRANS32_DEP_3)
	v_fma_f32 v77, v99, v96, 0
	v_sub_f32_e32 v100, v73, v76
	ds_load_2addr_b32 v[72:73], v98 offset0:204 offset1:221
	v_fmac_f32_e32 v77, v102, v97
	v_exp_f32_e32 v97, v103
	s_waitcnt lgkmcnt(1)
	s_delay_alu instid0(VALU_DEP_1)
	v_dual_fmac_f32 v77, v101, v70 :: v_dual_sub_f32 v96, v75, v76
	ds_load_2addr_b32 v[74:75], v98 offset0:238 offset1:255
	v_sub_f32_e32 v70, v95, v76
	s_waitcnt lgkmcnt(0)
	s_barrier
	v_mul_f32_e32 v96, 0x3fb8aa3b, v96
	buffer_gl0_inv
	v_exp_f32_e32 v95, v96
	v_mul_f32_e32 v100, 0x3fb8aa3b, v100
	s_delay_alu instid0(VALU_DEP_1) | instskip(SKIP_3) | instid1(VALU_DEP_2)
	v_exp_f32_e32 v100, v100
	s_waitcnt_depctr 0xfff
	v_dual_fmac_f32 v77, v100, v71 :: v_dual_mul_f32 v70, 0x3fb8aa3b, v70
	v_cndmask_b32_e32 v71, v99, v102, vcc_lo
	v_fmac_f32_e32 v77, v97, v72
	s_delay_alu instid0(VALU_DEP_3) | instskip(NEXT) | instid1(VALU_DEP_1)
	v_exp_f32_e32 v96, v70
	v_fmac_f32_e32 v77, v95, v73
	s_delay_alu instid0(VALU_DEP_1) | instskip(SKIP_2) | instid1(VALU_DEP_1)
	v_fmac_f32_e32 v77, v94, v74
	s_waitcnt_depctr 0xfff
	v_fmac_f32_e32 v77, v96, v75
	v_add_f32_e32 v74, 0x358637bd, v77
	s_delay_alu instid0(VALU_DEP_1) | instskip(SKIP_1) | instid1(VALU_DEP_2)
	v_div_scale_f32 v98, null, v74, v74, 1.0
	v_div_scale_f32 v99, vcc_lo, 1.0, v74, 1.0
	v_rcp_f32_e32 v103, v98
	s_waitcnt_depctr 0xfff
	v_fma_f32 v70, -v98, v103, 1.0
	s_delay_alu instid0(VALU_DEP_1) | instskip(SKIP_2) | instid1(VALU_DEP_2)
	v_fmac_f32_e32 v103, v70, v103
	v_cndmask_b32_e64 v70, v71, v101, s3
	v_cmp_eq_u32_e64 s3, 6, v69
	v_cndmask_b32_e64 v71, v70, v100, s4
	s_delay_alu instid0(VALU_DEP_4) | instskip(NEXT) | instid1(VALU_DEP_2)
	v_dual_mul_f32 v101, v99, v103 :: v_dual_lshlrev_b32 v70, 2, v66
	v_cndmask_b32_e64 v71, v71, v97, s5
	s_delay_alu instid0(VALU_DEP_2) | instskip(NEXT) | instid1(VALU_DEP_3)
	v_or_b32_e32 v72, 1, v70
	v_fma_f32 v100, -v98, v101, v99
	v_cmp_eq_u32_e64 s4, 1, v70
	v_cmp_eq_u32_e64 s5, 2, v70
	v_cndmask_b32_e64 v95, v71, v95, s6
	v_or_b32_e32 v71, 3, v70
	v_fmac_f32_e32 v101, v100, v103
	v_cmp_eq_u32_e64 s9, 1, v72
	v_cmp_eq_u32_e64 s12, 2, v72
	v_cndmask_b32_e64 v94, v95, v94, s3
	v_cmp_eq_u32_e64 s11, 1, v71
	v_fma_f32 v97, -v98, v101, v99
	v_cmp_eq_u32_e64 s16, 2, v71
	v_cmp_eq_u32_e64 s13, 3, v72
	v_cndmask_b32_e64 v94, v94, v96, s7
	v_cmp_eq_u32_e64 s18, 3, v71
	v_div_fmas_f32 v95, v97, v103, v101
	v_cmp_eq_u32_e32 vcc_lo, 3, v70
	v_cmp_eq_u32_e64 s3, 4, v70
	v_cmp_eq_u32_e64 s19, 4, v72
	;; [unrolled: 1-line block ×3, first 2 shown]
	v_div_fixup_f32 v95, v95, v74, 1.0
	v_lshlrev_b32_e32 v73, 6, v68
	v_cmp_eq_u32_e64 s6, 5, v70
	v_cmp_eq_u32_e64 s20, 5, v72
	;; [unrolled: 1-line block ×3, first 2 shown]
	v_mul_f32_e32 v102, v94, v95
	v_lshl_or_b32 v75, v69, 11, v73
	v_or_b32_e32 v69, 2, v70
	v_cmp_eq_u32_e64 s25, 6, v72
	v_cmp_eq_u32_e64 s27, 6, v71
	v_fma_mixlo_f16 v94, v102, v79, 0
	v_fma_mixlo_f16 v95, v102, v81, 0
	v_fma_mixlo_f16 v96, v102, v83, 0
	v_fma_mixlo_f16 v97, v102, v85, 0
	v_fma_mixlo_f16 v98, v102, v87, 0
	v_fma_mixlo_f16 v99, v102, v89, 0
	v_fma_mixlo_f16 v100, v102, v91, 0
	v_fma_mixlo_f16 v101, v102, v93, 0
	v_lshl_or_b32 v74, v66, 4, v75
	v_fma_mixhi_f16 v94, v102, v78, 0
	v_fma_mixhi_f16 v95, v102, v80, 0
	;; [unrolled: 1-line block ×8, first 2 shown]
	ds_store_b128 v74, v[94:97]
	ds_store_b128 v74, v[98:101] offset:1024
	s_waitcnt lgkmcnt(0)
	s_barrier
	buffer_gl0_inv
	ds_load_b128 v[78:81], v75
	ds_load_b128 v[82:85], v75 offset:16
	ds_load_b128 v[86:89], v75 offset:1024
	;; [unrolled: 1-line block ×3, first 2 shown]
	v_cmp_eq_u32_e64 s10, 1, v69
	v_cmp_eq_u32_e64 s15, 2, v69
	;; [unrolled: 1-line block ×11, first 2 shown]
	s_waitcnt lgkmcnt(3)
	v_lshrrev_b32_e32 v94, 16, v78
	s_waitcnt lgkmcnt(2)
	v_lshrrev_b32_e32 v98, 16, v82
	;; [unrolled: 2-line block ×4, first 2 shown]
	v_lshrrev_b32_e32 v95, 16, v79
	v_cndmask_b32_e64 v110, v78, v94, s4
	v_cndmask_b32_e64 v111, v82, v98, s4
	;; [unrolled: 1-line block ×8, first 2 shown]
	v_lshrrev_b32_e32 v99, 16, v83
	v_cndmask_b32_e64 v94, v86, v102, s4
	v_cndmask_b32_e64 v98, v90, v106, s4
	;; [unrolled: 1-line block ×15, first 2 shown]
	v_lshrrev_b32_e32 v103, 16, v87
	v_lshrrev_b32_e32 v107, 16, v91
	v_cndmask_b32_e64 v113, v115, v83, s15
	v_cndmask_b32_e64 v82, v94, v87, s5
	;; [unrolled: 1-line block ×7, first 2 shown]
	v_cndmask_b32_e32 v90, v102, v95, vcc_lo
	v_cndmask_b32_e32 v102, v106, v99, vcc_lo
	v_cndmask_b32_e64 v106, v110, v95, s13
	v_cndmask_b32_e64 v110, v111, v99, s13
	;; [unrolled: 1-line block ×4, first 2 shown]
	v_lshrrev_b32_e32 v96, 16, v80
	v_lshrrev_b32_e32 v100, 16, v84
	v_cndmask_b32_e64 v111, v112, v95, s17
	v_cndmask_b32_e64 v112, v113, v99, s17
	v_cndmask_b32_e32 v82, v82, v103, vcc_lo
	v_cndmask_b32_e32 v83, v83, v107, vcc_lo
	v_cndmask_b32_e64 v94, v94, v103, s13
	v_cndmask_b32_e64 v90, v90, v80, s3
	;; [unrolled: 1-line block ×7, first 2 shown]
	v_lshrrev_b32_e32 v104, 16, v88
	v_cndmask_b32_e64 v106, v111, v80, s21
	v_cndmask_b32_e64 v110, v112, v84, s21
	;; [unrolled: 1-line block ×11, first 2 shown]
	v_lshrrev_b32_e32 v97, 16, v81
	v_lshrrev_b32_e32 v101, 16, v85
	v_cndmask_b32_e64 v99, v106, v96, s23
	v_cndmask_b32_e64 v102, v110, v100, s23
	;; [unrolled: 1-line block ×7, first 2 shown]
	v_lshrrev_b32_e32 v105, 16, v89
	v_cndmask_b32_e64 v80, v80, v104, s6
	v_cndmask_b32_e64 v84, v84, v81, s7
	;; [unrolled: 1-line block ×16, first 2 shown]
	v_perm_b32 v81, v79, v78, 0x5040100
	v_perm_b32 v79, v95, v85, 0x5040100
	v_cndmask_b32_e64 v78, v119, v91, s15
	v_cndmask_b32_e64 v85, v117, v91, s12
	;; [unrolled: 1-line block ×3, first 2 shown]
	v_perm_b32 v80, v94, v90, 0x5040100
	v_cndmask_b32_e64 v90, v98, v103, s17
	v_cndmask_b32_e64 v86, v86, v103, s18
	;; [unrolled: 1-line block ×5, first 2 shown]
	v_lshrrev_b32_e32 v108, 16, v92
	v_cndmask_b32_e64 v90, v90, v88, s21
	v_cndmask_b32_e64 v86, v86, v88, s22
	;; [unrolled: 1-line block ×11, first 2 shown]
	v_lshrrev_b32_e32 v109, 16, v93
	v_cndmask_b32_e64 v82, v82, v93, s7
	v_cndmask_b32_e64 v88, v88, v89, s26
	;; [unrolled: 1-line block ×12, first 2 shown]
	v_perm_b32 v78, v84, v83, 0x5040100
	v_perm_b32 v85, v87, v86, 0x5040100
	;; [unrolled: 1-line block ×5, first 2 shown]
	s_mul_i32 s8, s33, 11
	s_mov_b32 s3, exec_lo
	ds_store_b128 v74, v[78:81]
	ds_store_b128 v74, v[82:85] offset:1024
	v_cmpx_gt_u32_e32 11, v0
	s_cbranch_execz .LBB1272_14
; %bb.13:
	s_mul_i32 s4, s8, s34
	s_delay_alu instid0(SALU_CYCLE_1) | instskip(SKIP_1) | instid1(VALU_DEP_1)
	v_add3_u32 v68, s4, s31, v68
	s_load_b128 s[4:7], s[0:1], 0x58
	v_mad_u64_u32 v[78:79], null, v68, s35, s[14:15]
	s_delay_alu instid0(VALU_DEP_1) | instskip(NEXT) | instid1(VALU_DEP_1)
	v_ashrrev_i32_e32 v79, 31, v78
	v_lshlrev_b64 v[78:79], 2, v[78:79]
	s_waitcnt lgkmcnt(0)
	s_delay_alu instid0(VALU_DEP_1) | instskip(NEXT) | instid1(VALU_DEP_2)
	v_add_co_u32 v80, vcc_lo, s6, v78
	v_add_co_ci_u32_e32 v81, vcc_lo, s7, v79, vcc_lo
	v_add_co_u32 v78, vcc_lo, s4, v78
	v_add_co_ci_u32_e32 v79, vcc_lo, s5, v79, vcc_lo
	global_store_b32 v[80:81], v76, off
	global_store_b32 v[78:79], v77, off
.LBB1272_14:
	s_or_b32 exec_lo, exec_lo, s3
	s_waitcnt lgkmcnt(0)
	s_waitcnt_vscnt null, 0x0
	s_barrier
	buffer_gl0_inv
	ds_load_b128 v[84:87], v73
	ds_load_b128 v[88:91], v73 offset:16
	ds_load_b128 v[96:99], v73 offset:2064
	;; [unrolled: 1-line block ×5, first 2 shown]
	v_cmp_eq_u32_e32 vcc_lo, 1, v70
	v_mov_b32_e32 v76, 0
	ds_load_b128 v[112:115], v73 offset:6160
	ds_load_b128 v[108:111], v73 offset:6144
	ds_load_b128 v[120:123], v73 offset:8208
	ds_load_b128 v[116:119], v73 offset:8192
	v_cmp_eq_u32_e64 s4, 1, v69
	v_cmp_eq_u32_e64 s3, 1, v72
	;; [unrolled: 1-line block ×3, first 2 shown]
	v_mov_b32_e32 v77, v76
	v_mov_b32_e32 v78, v76
	;; [unrolled: 1-line block ×7, first 2 shown]
	v_cmp_eq_u32_e64 s6, 3, v72
	v_cmp_eq_u32_e64 s7, 7, v72
	s_waitcnt lgkmcnt(8)
	s_delay_alu instid0(VALU_DEP_3)
	v_wmma_f32_16x16x16_f16 v[76:83], v[49:56], v[84:91], v[76:83]
	ds_load_b128 v[53:56], v73 offset:10256
	ds_load_b128 v[49:52], v73 offset:10240
	s_waitcnt lgkmcnt(8)
	v_wmma_f32_16x16x16_f16 v[76:83], v[41:48], v[92:99], v[76:83]
	ds_load_b128 v[45:48], v73 offset:12304
	ds_load_b128 v[41:44], v73 offset:12288
	s_waitcnt lgkmcnt(8)
	;; [unrolled: 4-line block ×3, first 2 shown]
	s_barrier
	buffer_gl0_inv
	v_wmma_f32_16x16x16_f16 v[76:83], v[1:8], v[108:115], v[76:83]
	s_delay_alu instid0(VALU_DEP_1) | instskip(NEXT) | instid1(VALU_DEP_1)
	v_wmma_f32_16x16x16_f16 v[76:83], v[9:16], v[116:123], v[76:83]
	v_wmma_f32_16x16x16_f16 v[76:83], v[17:24], v[49:56], v[76:83]
	s_delay_alu instid0(VALU_DEP_1) | instskip(NEXT) | instid1(VALU_DEP_1)
	v_wmma_f32_16x16x16_f16 v[76:83], v[25:32], v[41:48], v[76:83]
	v_wmma_f32_16x16x16_f16 v[76:83], v[57:64], v[33:40], v[76:83]
	s_delay_alu instid0(VALU_DEP_1) | instskip(NEXT) | instid1(VALU_DEP_2)
	v_cvt_f16_f32_e32 v1, v76
	v_cvt_f16_f32_e32 v2, v77
	s_delay_alu instid0(VALU_DEP_3) | instskip(NEXT) | instid1(VALU_DEP_4)
	v_cvt_f16_f32_e32 v3, v78
	v_cvt_f16_f32_e32 v4, v79
	;; [unrolled: 1-line block ×6, first 2 shown]
	v_pack_b32_f16 v1, v1, v2
	v_pack_b32_f16 v2, v3, v4
	;; [unrolled: 1-line block ×3, first 2 shown]
	s_delay_alu instid0(VALU_DEP_4)
	v_pack_b32_f16 v4, v7, v8
	ds_store_b128 v74, v[1:4]
	s_waitcnt lgkmcnt(0)
	s_barrier
	buffer_gl0_inv
	ds_load_b128 v[1:4], v75
	ds_load_b128 v[5:8], v75 offset:16
	s_waitcnt lgkmcnt(1)
	v_lshrrev_b32_e32 v9, 16, v1
	s_waitcnt lgkmcnt(0)
	v_lshrrev_b32_e32 v13, 16, v5
	v_lshrrev_b32_e32 v10, 16, v2
	;; [unrolled: 1-line block ×4, first 2 shown]
	v_cndmask_b32_e32 v17, v1, v9, vcc_lo
	v_cndmask_b32_e32 v18, v5, v13, vcc_lo
	v_cndmask_b32_e64 v21, v1, v9, s4
	v_cmp_eq_u32_e32 vcc_lo, 1, v71
	v_cndmask_b32_e64 v22, v5, v13, s4
	v_cmp_eq_u32_e64 s4, 2, v70
	v_cndmask_b32_e64 v19, v1, v9, s3
	v_cndmask_b32_e64 v20, v5, v13, s3
	v_cndmask_b32_e32 v1, v1, v9, vcc_lo
	v_cmp_eq_u32_e64 s3, 2, v71
	v_cndmask_b32_e32 v5, v5, v13, vcc_lo
	v_cndmask_b32_e64 v9, v17, v2, s4
	v_cmp_eq_u32_e32 vcc_lo, 3, v70
	v_cndmask_b32_e64 v13, v18, v6, s4
	v_cmp_eq_u32_e64 s4, 2, v69
	v_cndmask_b32_e64 v17, v19, v2, s5
	v_cndmask_b32_e64 v18, v20, v6, s5
	v_cmp_eq_u32_e64 s5, 3, v69
	v_cndmask_b32_e64 v1, v1, v2, s3
	v_cndmask_b32_e64 v19, v21, v2, s4
	;; [unrolled: 1-line block ×4, first 2 shown]
	v_cndmask_b32_e32 v5, v9, v10, vcc_lo
	v_cndmask_b32_e32 v6, v13, v14, vcc_lo
	v_cmp_eq_u32_e32 vcc_lo, 3, v71
	v_cndmask_b32_e64 v9, v17, v10, s6
	v_cndmask_b32_e64 v13, v18, v14, s6
	;; [unrolled: 1-line block ×3, first 2 shown]
	v_cmp_eq_u32_e64 s4, 4, v70
	v_cndmask_b32_e32 v1, v1, v10, vcc_lo
	v_cndmask_b32_e32 v2, v2, v14, vcc_lo
	v_cmp_eq_u32_e32 vcc_lo, 4, v72
	v_lshrrev_b32_e32 v15, 16, v7
	v_lshrrev_b32_e32 v16, 16, v8
	v_cndmask_b32_e64 v17, v19, v10, s5
	v_cmp_eq_u32_e64 s3, 4, v71
	v_cndmask_b32_e64 v5, v5, v3, s4
	v_cndmask_b32_e64 v6, v6, v7, s4
	v_cndmask_b32_e32 v9, v9, v3, vcc_lo
	v_cmp_eq_u32_e64 s4, 5, v72
	v_cndmask_b32_e32 v10, v13, v7, vcc_lo
	v_cmp_eq_u32_e32 vcc_lo, 4, v69
	v_cmp_eq_u32_e64 s5, 5, v70
	v_cndmask_b32_e64 v2, v2, v7, s3
	v_cndmask_b32_e64 v9, v9, v11, s4
	;; [unrolled: 1-line block ×3, first 2 shown]
	v_cndmask_b32_e32 v13, v17, v3, vcc_lo
	v_cmp_eq_u32_e64 s4, 5, v69
	v_cndmask_b32_e32 v14, v18, v7, vcc_lo
	v_cndmask_b32_e64 v1, v1, v3, s3
	v_cmp_eq_u32_e32 vcc_lo, 5, v71
	v_lshrrev_b32_e32 v12, 16, v4
	v_cndmask_b32_e64 v13, v13, v11, s4
	v_cndmask_b32_e64 v3, v14, v15, s4
	v_cmp_eq_u32_e64 s4, 6, v71
	v_cndmask_b32_e32 v1, v1, v11, vcc_lo
	v_cndmask_b32_e64 v5, v5, v11, s5
	v_cmp_eq_u32_e64 s6, 6, v70
	v_cndmask_b32_e64 v6, v6, v15, s5
	v_cmp_eq_u32_e64 s5, 6, v72
	v_cmp_eq_u32_e64 s3, 6, v69
	v_cndmask_b32_e64 v1, v1, v4, s4
	v_cndmask_b32_e32 v2, v2, v15, vcc_lo
	v_cmp_eq_u32_e32 vcc_lo, 7, v71
	v_cndmask_b32_e64 v5, v5, v4, s6
	v_cndmask_b32_e64 v9, v9, v4, s5
	;; [unrolled: 1-line block ×3, first 2 shown]
	v_cmp_eq_u32_e64 s6, 7, v70
	v_cndmask_b32_e32 v1, v1, v12, vcc_lo
	v_cndmask_b32_e64 v7, v13, v4, s3
	v_cndmask_b32_e64 v3, v3, v8, s3
	;; [unrolled: 1-line block ×3, first 2 shown]
	v_cmp_eq_u32_e64 s3, 7, v69
	v_cndmask_b32_e64 v4, v10, v8, s5
	v_cndmask_b32_e64 v5, v5, v12, s6
	v_cndmask_b32_e64 v9, v9, v12, s7
	v_cndmask_b32_e32 v2, v2, v16, vcc_lo
	v_cndmask_b32_e64 v7, v7, v12, s3
	v_cndmask_b32_e64 v3, v3, v16, s3
	;; [unrolled: 1-line block ×4, first 2 shown]
	v_perm_b32 v4, v2, v1, 0x5040100
	s_mov_b32 s3, exec_lo
	v_perm_b32 v3, v3, v7, 0x5040100
	v_perm_b32 v2, v8, v9, 0x5040100
	;; [unrolled: 1-line block ×3, first 2 shown]
	ds_store_b128 v74, v[1:4]
	s_waitcnt lgkmcnt(0)
	s_barrier
	buffer_gl0_inv
	v_cmpx_gt_u32_e32 32, v0
	s_cbranch_execz .LBB1272_2
; %bb.15:
	s_load_b64 s[4:5], s[0:1], 0x68
	v_lshlrev_b32_e32 v0, 10, v0
	v_lshlrev_b32_e32 v1, 4, v67
	s_lshl_b32 s0, s35, 7
	v_add_nc_u32_e32 v7, s31, v66
	s_mul_i32 s1, s0, s34
	s_delay_alu instid0(SALU_CYCLE_1) | instskip(SKIP_1) | instid1(VALU_DEP_2)
	s_mul_i32 s6, s1, s8
	v_and_or_b32 v0, 0x3800, v0, v1
	v_mul_lo_u32 v1, v7, s0
	v_add_nc_u32_e32 v2, 2, v7
	s_ashr_i32 s7, s6, 31
	v_add_nc_u32_e32 v4, 4, v7
	s_lshl_b64 s[6:7], s[6:7], 1
	v_add_nc_u32_e32 v8, 6, v7
	v_mul_lo_u32 v3, v2, s0
	v_lshl_or_b32 v19, v66, 6, v0
	v_ashrrev_i32_e32 v2, 31, v1
	v_mul_lo_u32 v11, v4, s0
	v_mul_lo_u32 v25, v8, s0
	s_waitcnt lgkmcnt(0)
	s_add_u32 s1, s4, s6
	s_addc_u32 s3, s5, s7
	s_lshl_b32 s4, s14, 7
	v_lshlrev_b64 v[5:6], 1, v[1:2]
	s_ashr_i32 s5, s4, 31
	v_ashrrev_i32_e32 v4, 31, v3
	s_lshl_b64 s[4:5], s[4:5], 1
	v_ashrrev_i32_e32 v12, 31, v11
	s_add_u32 s1, s1, s4
	s_addc_u32 s3, s3, s5
	v_add_co_u32 v1, s1, s1, v65
	s_delay_alu instid0(VALU_DEP_1) | instskip(SKIP_1) | instid1(VALU_DEP_3)
	v_add_co_ci_u32_e64 v2, null, s3, 0, s1
	v_lshlrev_b64 v[3:4], 1, v[3:4]
	v_add_co_u32 v23, vcc_lo, v1, v5
	v_add_nc_u32_e32 v5, 8, v7
	s_delay_alu instid0(VALU_DEP_4) | instskip(NEXT) | instid1(VALU_DEP_4)
	v_add_co_ci_u32_e32 v24, vcc_lo, v2, v6, vcc_lo
	v_add_co_u32 v27, vcc_lo, v1, v3
	s_delay_alu instid0(VALU_DEP_3)
	v_mul_lo_u32 v29, v5, s0
	v_add_co_ci_u32_e32 v28, vcc_lo, v2, v4, vcc_lo
	ds_load_b128 v[3:6], v19
	ds_load_b128 v[7:10], v19 offset:128
	v_lshlrev_b64 v[31:32], 1, v[11:12]
	ds_load_b128 v[11:14], v19 offset:256
	ds_load_b128 v[15:18], v19 offset:384
	;; [unrolled: 1-line block ×3, first 2 shown]
	v_ashrrev_i32_e32 v26, 31, v25
	v_ashrrev_i32_e32 v30, 31, v29
	v_add_co_u32 v31, vcc_lo, v1, v31
	s_delay_alu instid0(VALU_DEP_3) | instskip(NEXT) | instid1(VALU_DEP_3)
	v_lshlrev_b64 v[25:26], 1, v[25:26]
	v_lshlrev_b64 v[29:30], 1, v[29:30]
	v_add_co_ci_u32_e32 v32, vcc_lo, v2, v32, vcc_lo
	s_delay_alu instid0(VALU_DEP_3) | instskip(NEXT) | instid1(VALU_DEP_4)
	v_add_co_u32 v25, vcc_lo, v1, v25
	v_add_co_ci_u32_e32 v26, vcc_lo, v2, v26, vcc_lo
	s_delay_alu instid0(VALU_DEP_4)
	v_add_co_u32 v29, vcc_lo, v1, v29
	v_add_co_ci_u32_e32 v30, vcc_lo, v2, v30, vcc_lo
	s_waitcnt lgkmcnt(4)
	global_store_b128 v[23:24], v[3:6], off
	s_waitcnt lgkmcnt(3)
	global_store_b128 v[27:28], v[7:10], off
	;; [unrolled: 2-line block ×5, first 2 shown]
	s_and_b32 exec_lo, exec_lo, s2
	s_cbranch_execz .LBB1272_2
; %bb.16:
	ds_load_b128 v[3:6], v0 offset:640
	s_add_i32 s1, s31, 10
	s_delay_alu instid0(SALU_CYCLE_1) | instskip(NEXT) | instid1(SALU_CYCLE_1)
	s_mul_i32 s0, s1, s0
	s_ashr_i32 s1, s0, 31
	s_delay_alu instid0(SALU_CYCLE_1) | instskip(NEXT) | instid1(SALU_CYCLE_1)
	s_lshl_b64 s[0:1], s[0:1], 1
	v_add_co_u32 v0, vcc_lo, v1, s0
	v_add_co_ci_u32_e32 v1, vcc_lo, s1, v2, vcc_lo
	s_waitcnt lgkmcnt(0)
	global_store_b128 v[0:1], v[3:6], off
	s_nop 0
	s_sendmsg sendmsg(MSG_DEALLOC_VGPRS)
	s_endpgm
	.section	.rodata,"a",@progbits
	.p2align	6, 0x0
	.amdhsa_kernel _Z39paged_attention_ll4mi_QKV_mfma16_kernelIDF16_hLN4vllm18Fp8KVCacheDataTypeE1EDF16_Li16ELi128ELi256ELb0ELi11EL8MFMAType0EEvPKT_PKT0_S8_ifPKiSA_SA_iPKfiiiPfSD_PS3_PT2_iSC_SC_
		.amdhsa_group_segment_fixed_size 17472
		.amdhsa_private_segment_fixed_size 0
		.amdhsa_kernarg_size 400
		.amdhsa_user_sgpr_count 13
		.amdhsa_user_sgpr_dispatch_ptr 0
		.amdhsa_user_sgpr_queue_ptr 0
		.amdhsa_user_sgpr_kernarg_segment_ptr 1
		.amdhsa_user_sgpr_dispatch_id 0
		.amdhsa_user_sgpr_private_segment_size 0
		.amdhsa_wavefront_size32 1
		.amdhsa_uses_dynamic_stack 0
		.amdhsa_enable_private_segment 0
		.amdhsa_system_sgpr_workgroup_id_x 1
		.amdhsa_system_sgpr_workgroup_id_y 1
		.amdhsa_system_sgpr_workgroup_id_z 1
		.amdhsa_system_sgpr_workgroup_info 0
		.amdhsa_system_vgpr_workitem_id 0
		.amdhsa_next_free_vgpr 150
		.amdhsa_next_free_sgpr 36
		.amdhsa_reserve_vcc 1
		.amdhsa_float_round_mode_32 0
		.amdhsa_float_round_mode_16_64 0
		.amdhsa_float_denorm_mode_32 3
		.amdhsa_float_denorm_mode_16_64 3
		.amdhsa_dx10_clamp 1
		.amdhsa_ieee_mode 1
		.amdhsa_fp16_overflow 0
		.amdhsa_workgroup_processor_mode 1
		.amdhsa_memory_ordered 1
		.amdhsa_forward_progress 0
		.amdhsa_shared_vgpr_count 0
		.amdhsa_exception_fp_ieee_invalid_op 0
		.amdhsa_exception_fp_denorm_src 0
		.amdhsa_exception_fp_ieee_div_zero 0
		.amdhsa_exception_fp_ieee_overflow 0
		.amdhsa_exception_fp_ieee_underflow 0
		.amdhsa_exception_fp_ieee_inexact 0
		.amdhsa_exception_int_div_zero 0
	.end_amdhsa_kernel
	.section	.text._Z39paged_attention_ll4mi_QKV_mfma16_kernelIDF16_hLN4vllm18Fp8KVCacheDataTypeE1EDF16_Li16ELi128ELi256ELb0ELi11EL8MFMAType0EEvPKT_PKT0_S8_ifPKiSA_SA_iPKfiiiPfSD_PS3_PT2_iSC_SC_,"axG",@progbits,_Z39paged_attention_ll4mi_QKV_mfma16_kernelIDF16_hLN4vllm18Fp8KVCacheDataTypeE1EDF16_Li16ELi128ELi256ELb0ELi11EL8MFMAType0EEvPKT_PKT0_S8_ifPKiSA_SA_iPKfiiiPfSD_PS3_PT2_iSC_SC_,comdat
.Lfunc_end1272:
	.size	_Z39paged_attention_ll4mi_QKV_mfma16_kernelIDF16_hLN4vllm18Fp8KVCacheDataTypeE1EDF16_Li16ELi128ELi256ELb0ELi11EL8MFMAType0EEvPKT_PKT0_S8_ifPKiSA_SA_iPKfiiiPfSD_PS3_PT2_iSC_SC_, .Lfunc_end1272-_Z39paged_attention_ll4mi_QKV_mfma16_kernelIDF16_hLN4vllm18Fp8KVCacheDataTypeE1EDF16_Li16ELi128ELi256ELb0ELi11EL8MFMAType0EEvPKT_PKT0_S8_ifPKiSA_SA_iPKfiiiPfSD_PS3_PT2_iSC_SC_
                                        ; -- End function
	.section	.AMDGPU.csdata,"",@progbits
; Kernel info:
; codeLenInByte = 6800
; NumSgprs: 38
; NumVgprs: 150
; ScratchSize: 0
; MemoryBound: 0
; FloatMode: 240
; IeeeMode: 1
; LDSByteSize: 17472 bytes/workgroup (compile time only)
; SGPRBlocks: 4
; VGPRBlocks: 18
; NumSGPRsForWavesPerEU: 38
; NumVGPRsForWavesPerEU: 150
; Occupancy: 9
; WaveLimiterHint : 1
; COMPUTE_PGM_RSRC2:SCRATCH_EN: 0
; COMPUTE_PGM_RSRC2:USER_SGPR: 13
; COMPUTE_PGM_RSRC2:TRAP_HANDLER: 0
; COMPUTE_PGM_RSRC2:TGID_X_EN: 1
; COMPUTE_PGM_RSRC2:TGID_Y_EN: 1
; COMPUTE_PGM_RSRC2:TGID_Z_EN: 1
; COMPUTE_PGM_RSRC2:TIDIG_COMP_CNT: 0
	.section	.text._Z39paged_attention_ll4mi_QKV_mfma16_kernelIDF16_hLN4vllm18Fp8KVCacheDataTypeE1EDF16_Li16ELi128ELi256ELb0ELi12EL8MFMAType0EEvPKT_PKT0_S8_ifPKiSA_SA_iPKfiiiPfSD_PS3_PT2_iSC_SC_,"axG",@progbits,_Z39paged_attention_ll4mi_QKV_mfma16_kernelIDF16_hLN4vllm18Fp8KVCacheDataTypeE1EDF16_Li16ELi128ELi256ELb0ELi12EL8MFMAType0EEvPKT_PKT0_S8_ifPKiSA_SA_iPKfiiiPfSD_PS3_PT2_iSC_SC_,comdat
	.protected	_Z39paged_attention_ll4mi_QKV_mfma16_kernelIDF16_hLN4vllm18Fp8KVCacheDataTypeE1EDF16_Li16ELi128ELi256ELb0ELi12EL8MFMAType0EEvPKT_PKT0_S8_ifPKiSA_SA_iPKfiiiPfSD_PS3_PT2_iSC_SC_ ; -- Begin function _Z39paged_attention_ll4mi_QKV_mfma16_kernelIDF16_hLN4vllm18Fp8KVCacheDataTypeE1EDF16_Li16ELi128ELi256ELb0ELi12EL8MFMAType0EEvPKT_PKT0_S8_ifPKiSA_SA_iPKfiiiPfSD_PS3_PT2_iSC_SC_
	.globl	_Z39paged_attention_ll4mi_QKV_mfma16_kernelIDF16_hLN4vllm18Fp8KVCacheDataTypeE1EDF16_Li16ELi128ELi256ELb0ELi12EL8MFMAType0EEvPKT_PKT0_S8_ifPKiSA_SA_iPKfiiiPfSD_PS3_PT2_iSC_SC_
	.p2align	8
	.type	_Z39paged_attention_ll4mi_QKV_mfma16_kernelIDF16_hLN4vllm18Fp8KVCacheDataTypeE1EDF16_Li16ELi128ELi256ELb0ELi12EL8MFMAType0EEvPKT_PKT0_S8_ifPKiSA_SA_iPKfiiiPfSD_PS3_PT2_iSC_SC_,@function
_Z39paged_attention_ll4mi_QKV_mfma16_kernelIDF16_hLN4vllm18Fp8KVCacheDataTypeE1EDF16_Li16ELi128ELi256ELb0ELi12EL8MFMAType0EEvPKT_PKT0_S8_ifPKiSA_SA_iPKfiiiPfSD_PS3_PT2_iSC_SC_: ; @_Z39paged_attention_ll4mi_QKV_mfma16_kernelIDF16_hLN4vllm18Fp8KVCacheDataTypeE1EDF16_Li16ELi128ELi256ELb0ELi12EL8MFMAType0EEvPKT_PKT0_S8_ifPKiSA_SA_iPKfiiiPfSD_PS3_PT2_iSC_SC_
; %bb.0:
	s_load_b64 s[4:5], s[0:1], 0x30
	s_mov_b32 s30, s13
	s_waitcnt lgkmcnt(0)
	s_cmp_lg_u64 s[4:5], 0
	s_cselect_b32 s8, -1, 0
	s_ashr_i32 s31, s13, 31
	s_cmp_eq_u64 s[4:5], 0
	s_cbranch_scc1 .LBB1273_3
; %bb.1:
	s_lshl_b64 s[2:3], s[30:31], 2
	s_delay_alu instid0(SALU_CYCLE_1) | instskip(SKIP_4) | instid1(SALU_CYCLE_1)
	s_add_u32 s2, s4, s2
	s_addc_u32 s3, s5, s3
	s_load_b64 s[2:3], s[2:3], 0x0
	s_waitcnt lgkmcnt(0)
	s_sub_i32 s2, s3, s2
	s_cmp_eq_u32 s2, 1
	s_cselect_b32 s2, -1, 0
	s_delay_alu instid0(SALU_CYCLE_1)
	s_and_not1_b32 vcc_lo, exec_lo, s2
	s_cbranch_vccz .LBB1273_4
.LBB1273_2:
	s_endpgm
.LBB1273_3:
.LBB1273_4:
	s_load_b64 s[2:3], s[0:1], 0x28
	s_lshl_b64 s[6:7], s[30:31], 2
	s_waitcnt lgkmcnt(0)
	s_add_u32 s2, s2, s6
	s_addc_u32 s3, s3, s7
	s_lshl_b32 s12, s14, 8
	s_load_b32 s24, s[2:3], 0x0
	s_waitcnt lgkmcnt(0)
	s_cmp_ge_i32 s12, s24
	s_cbranch_scc1 .LBB1273_2
; %bb.5:
	s_clause 0x1
	s_load_b128 s[20:23], s[0:1], 0x8
	s_load_b64 s[2:3], s[0:1], 0x20
	s_and_not1_b32 vcc_lo, exec_lo, s8
	s_cbranch_vccnz .LBB1273_7
; %bb.6:
	s_add_u32 s4, s4, s6
	s_addc_u32 s5, s5, s7
	s_load_b32 s5, s[4:5], 0x0
	s_branch .LBB1273_8
.LBB1273_7:
	s_mov_b32 s5, s30
.LBB1273_8:
	s_load_b128 s[16:19], s[0:1], 0x48
	v_and_b32_e32 v68, 15, v0
	v_lshrrev_b32_e32 v69, 5, v0
	v_and_b32_e32 v70, 31, v0
	v_and_b32_e32 v67, 1, v0
	v_bfe_u32 v66, v0, 4, 1
	v_lshlrev_b32_e32 v1, 3, v68
	s_mul_i32 s31, s15, 12
	s_mov_b32 s4, exec_lo
	s_delay_alu instid0(VALU_DEP_1)
	v_lshlrev_b32_e32 v65, 1, v1
	v_cmpx_gt_u32_e32 0xc0, v0
	s_cbranch_execz .LBB1273_10
; %bb.9:
	s_load_b64 s[6:7], s[0:1], 0x0
	v_lshl_or_b32 v5, v69, 1, v66
	s_waitcnt lgkmcnt(0)
	s_mul_hi_i32 s9, s5, s16
	s_mul_i32 s8, s5, s16
	v_lshlrev_b32_e32 v6, 10, v68
	s_lshl_b64 s[8:9], s[8:9], 1
	v_add_lshl_u32 v1, v5, s31, 7
	v_lshlrev_b32_e32 v5, 6, v5
	v_lshlrev_b32_e32 v7, 10, v67
	v_and_b32_e32 v6, 0x3800, v6
	s_delay_alu instid0(VALU_DEP_4) | instskip(NEXT) | instid1(VALU_DEP_2)
	v_ashrrev_i32_e32 v2, 31, v1
	v_or3_b32 v5, v6, v7, v5
	s_delay_alu instid0(VALU_DEP_2) | instskip(SKIP_2) | instid1(VALU_DEP_1)
	v_lshlrev_b64 v[1:2], 1, v[1:2]
	s_add_u32 s5, s6, s8
	s_addc_u32 s6, s7, s9
	v_add_co_u32 v1, vcc_lo, s5, v1
	s_delay_alu instid0(VALU_DEP_2) | instskip(NEXT) | instid1(VALU_DEP_2)
	v_add_co_ci_u32_e32 v2, vcc_lo, s6, v2, vcc_lo
	v_add_co_u32 v1, vcc_lo, v1, v65
	s_delay_alu instid0(VALU_DEP_2)
	v_add_co_ci_u32_e32 v2, vcc_lo, 0, v2, vcc_lo
	global_load_b128 v[1:4], v[1:2], off
	s_waitcnt vmcnt(0)
	ds_store_b128 v5, v[1:4]
.LBB1273_10:
	s_or_b32 exec_lo, exec_lo, s4
	v_and_b32_e32 v1, 0xef, v0
	s_waitcnt lgkmcnt(0)
	s_add_i32 s5, s24, 15
	s_clause 0x1
	s_load_b32 s4, s[0:1], 0x38
	s_load_b32 s33, s[0:1], 0x98
	s_ashr_i32 s6, s5, 31
	v_add_nc_u32_e32 v1, s12, v1
	s_lshr_b32 s6, s6, 28
	s_load_b32 s19, s[0:1], 0x1c
	s_add_i32 s5, s5, s6
	s_waitcnt lgkmcnt(0)
	v_ashrrev_i32_e32 v2, 31, v1
	v_or_b32_e32 v3, 16, v1
	s_ashr_i32 s13, s5, 4
	v_cmp_gt_i32_e32 vcc_lo, s24, v1
	s_add_i32 s13, s13, -1
	v_lshrrev_b32_e32 v2, 28, v2
	s_barrier
	buffer_gl0_inv
	s_mul_i32 s15, s15, s18
	v_add_nc_u32_e32 v4, v1, v2
	s_mul_i32 s4, s30, s4
	s_delay_alu instid0(SALU_CYCLE_1) | instskip(NEXT) | instid1(VALU_DEP_1)
	s_ashr_i32 s5, s4, 31
	v_ashrrev_i32_e32 v4, 4, v4
	v_add_nc_u32_e32 v2, v3, v2
	s_lshl_b64 s[4:5], s[4:5], 2
	s_delay_alu instid0(SALU_CYCLE_1) | instskip(NEXT) | instid1(VALU_DEP_2)
	s_add_u32 s16, s2, s4
	v_cndmask_b32_e32 v1, s13, v4, vcc_lo
	s_delay_alu instid0(VALU_DEP_2)
	v_ashrrev_i32_e32 v2, 4, v2
	v_cmp_gt_i32_e32 vcc_lo, s24, v3
	s_addc_u32 s25, s3, s5
	s_ashr_i32 s18, s15, 31
	s_add_u32 s26, s20, s15
	s_addc_u32 s27, s21, s18
	v_cndmask_b32_e32 v3, s13, v2, vcc_lo
	v_ashrrev_i32_e32 v2, 31, v1
	s_lshl_b32 s2, s14, 4
	s_delay_alu instid0(SALU_CYCLE_1) | instskip(NEXT) | instid1(VALU_DEP_2)
	s_ashr_i32 s3, s2, 31
	v_ashrrev_i32_e32 v4, 31, v3
	s_delay_alu instid0(VALU_DEP_2) | instskip(SKIP_1) | instid1(SALU_CYCLE_1)
	v_lshlrev_b64 v[1:2], 2, v[1:2]
	s_lshl_b64 s[2:3], s[2:3], 2
	s_add_u32 s2, s16, s2
	s_delay_alu instid0(VALU_DEP_2) | instskip(SKIP_1) | instid1(VALU_DEP_2)
	v_lshlrev_b64 v[3:4], 2, v[3:4]
	s_addc_u32 s3, s25, s3
	v_add_co_u32 v1, vcc_lo, s16, v1
	v_add_co_ci_u32_e32 v2, vcc_lo, s25, v2, vcc_lo
	s_delay_alu instid0(VALU_DEP_3) | instskip(NEXT) | instid1(VALU_DEP_4)
	v_add_co_u32 v3, vcc_lo, s16, v3
	v_add_co_ci_u32_e32 v4, vcc_lo, s25, v4, vcc_lo
	s_clause 0x1
	global_load_b32 v5, v[1:2], off
	global_load_b32 v7, v[3:4], off
	s_or_b32 s4, s12, 32
	v_lshlrev_b32_e32 v1, 4, v0
	s_ashr_i32 s5, s4, 4
	s_cmp_lt_i32 s4, s24
	v_cmp_gt_u32_e32 vcc_lo, 12, v68
	s_cselect_b32 s4, s5, s13
	v_and_b32_e32 v1, 0xf0, v1
	s_ashr_i32 s5, s4, 31
	s_delay_alu instid0(SALU_CYCLE_1) | instskip(NEXT) | instid1(SALU_CYCLE_1)
	s_lshl_b64 s[4:5], s[4:5], 2
	s_add_u32 s4, s16, s4
	s_addc_u32 s5, s25, s5
	s_or_b32 s6, s12, 64
	v_add_co_u32 v1, s26, s26, v1
	s_ashr_i32 s7, s6, 4
	s_cmp_lt_i32 s6, s24
	v_add_co_ci_u32_e64 v2, null, s27, 0, s26
	s_cselect_b32 s6, s7, s13
	s_delay_alu instid0(SALU_CYCLE_1) | instskip(NEXT) | instid1(SALU_CYCLE_1)
	s_ashr_i32 s7, s6, 31
	s_lshl_b64 s[6:7], s[6:7], 2
	s_delay_alu instid0(SALU_CYCLE_1) | instskip(SKIP_2) | instid1(SALU_CYCLE_1)
	s_add_u32 s6, s16, s6
	s_addc_u32 s7, s25, s7
	s_or_b32 s8, s12, 0x60
	s_ashr_i32 s9, s8, 4
	s_cmp_lt_i32 s8, s24
	s_cselect_b32 s8, s9, s13
	s_delay_alu instid0(SALU_CYCLE_1) | instskip(NEXT) | instid1(SALU_CYCLE_1)
	s_ashr_i32 s9, s8, 31
	s_lshl_b64 s[8:9], s[8:9], 2
	s_delay_alu instid0(SALU_CYCLE_1) | instskip(SKIP_2) | instid1(SALU_CYCLE_1)
	s_add_u32 s8, s16, s8
	s_addc_u32 s9, s25, s9
	s_or_b32 s10, s12, 0x80
	s_ashr_i32 s11, s10, 4
	s_cmp_lt_i32 s10, s24
	;; [unrolled: 10-line block ×3, first 2 shown]
	s_cselect_b32 s20, s21, s13
	s_delay_alu instid0(SALU_CYCLE_1) | instskip(NEXT) | instid1(SALU_CYCLE_1)
	s_ashr_i32 s21, s20, 31
	s_lshl_b64 s[20:21], s[20:21], 2
	s_delay_alu instid0(SALU_CYCLE_1)
	s_add_u32 s20, s16, s20
	s_addc_u32 s21, s25, s21
	s_clause 0x5
	s_load_b32 s26, s[2:3], 0x0
	s_load_b32 s27, s[4:5], 0x0
	;; [unrolled: 1-line block ×6, first 2 shown]
	s_or_b32 s2, s12, 0xc0
	s_mov_b32 s4, 0
	s_ashr_i32 s3, s2, 4
	s_cmp_lt_i32 s2, s24
	s_mov_b32 s11, s4
	s_cselect_b32 s2, s3, s13
	s_mov_b32 s5, s4
	s_ashr_i32 s3, s2, 31
	s_mov_b32 s6, s4
	s_lshl_b64 s[2:3], s[2:3], 2
	s_mov_b32 s7, s4
	s_add_u32 s2, s16, s2
	s_addc_u32 s3, s25, s3
	s_or_b32 s20, s12, 0xe0
	s_mov_b32 s8, s4
	s_ashr_i32 s21, s20, 4
	s_cmp_lt_i32 s20, s24
	s_mov_b32 s9, s4
	s_cselect_b32 s20, s21, s13
	s_mov_b32 s10, s4
	s_ashr_i32 s21, s20, 31
	v_mov_b32_e32 v118, s11
	v_dual_mov_b32 v112, s5 :: v_dual_mov_b32 v117, s10
	v_dual_mov_b32 v116, s9 :: v_dual_mov_b32 v115, s8
	v_dual_mov_b32 v114, s7 :: v_dual_mov_b32 v113, s6
	v_mov_b32_e32 v111, s4
	s_lshl_b64 s[4:5], s[20:21], 2
	s_delay_alu instid0(SALU_CYCLE_1)
	s_add_u32 s4, s16, s4
	s_addc_u32 s5, s25, s5
	s_add_u32 s6, s22, s15
	s_addc_u32 s7, s23, s18
	s_waitcnt vmcnt(1)
	v_mad_i64_i32 v[3:4], null, v5, s17, v[1:2]
	s_waitcnt vmcnt(0)
	v_mad_i64_i32 v[5:6], null, v7, s17, v[1:2]
	v_add_nc_u32_e32 v1, -12, v68
	v_lshlrev_b32_e32 v2, 4, v68
	s_clause 0xf
	global_load_b128 v[17:20], v[3:4], off
	global_load_b128 v[21:24], v[3:4], off offset:256
	global_load_b128 v[25:28], v[5:6], off
	global_load_b128 v[29:32], v[5:6], off offset:256
	global_load_b128 v[57:60], v[3:4], off offset:512
	;; [unrolled: 1-line block ×13, first 2 shown]
	v_cndmask_b32_e32 v1, v1, v68, vcc_lo
	s_delay_alu instid0(VALU_DEP_1)
	v_lshlrev_b32_e32 v149, 6, v1
	v_lshl_or_b32 v1, v69, 8, v2
	ds_load_b128 v[119:122], v149
	ds_load_b128 v[123:126], v149 offset:1024
	ds_load_b128 v[127:130], v149 offset:2048
	;; [unrolled: 1-line block ×3, first 2 shown]
	s_clause 0x1
	s_load_b32 s2, s[2:3], 0x0
	s_load_b32 s3, s[4:5], 0x0
	v_add_co_u32 v135, s6, s6, v1
	s_delay_alu instid0(VALU_DEP_1) | instskip(SKIP_1) | instid1(VALU_DEP_1)
	v_add_co_ci_u32_e64 v136, null, s7, 0, s6
	s_waitcnt lgkmcnt(0)
	v_mad_i64_i32 v[1:2], null, s26, s17, v[135:136]
	v_mad_i64_i32 v[3:4], null, s27, s17, v[135:136]
	;; [unrolled: 1-line block ×6, first 2 shown]
	s_clause 0x9
	global_load_b128 v[49:52], v[1:2], off
	global_load_b128 v[53:56], v[1:2], off offset:16
	global_load_b128 v[41:44], v[3:4], off
	global_load_b128 v[45:48], v[3:4], off offset:16
	;; [unrolled: 2-line block ×5, first 2 shown]
	v_mad_i64_i32 v[145:146], null, s2, s17, v[135:136]
	v_mad_i64_i32 v[147:148], null, s3, s17, v[135:136]
	s_waitcnt vmcnt(24)
	v_wmma_f32_16x16x16_f16 v[135:142], v[17:24], v[119:126], v[111:118]
	s_waitcnt vmcnt(22)
	v_wmma_f32_16x16x16_f16 v[111:118], v[25:32], v[119:126], v[111:118]
	s_clause 0x3
	global_load_b128 v[17:20], v[143:144], off
	global_load_b128 v[21:24], v[143:144], off offset:16
	global_load_b128 v[25:28], v[145:146], off
	global_load_b128 v[29:32], v[145:146], off offset:16
	v_and_b32_e32 v119, 0xe0, v0
	s_waitcnt vmcnt(24)
	v_wmma_f32_16x16x16_f16 v[135:142], v[57:64], v[127:134], v[135:142]
	s_clause 0x1
	global_load_b128 v[57:60], v[147:148], off
	global_load_b128 v[61:64], v[147:148], off offset:16
	s_waitcnt vmcnt(24)
	v_wmma_f32_16x16x16_f16 v[111:118], v[71:78], v[127:134], v[111:118]
	ds_load_b128 v[71:74], v149 offset:4096
	ds_load_b128 v[75:78], v149 offset:5120
	v_add_nc_u32_e32 v128, s12, v119
	ds_load_b128 v[119:122], v149 offset:6144
	ds_load_b128 v[123:126], v149 offset:7168
	v_mbcnt_lo_u32_b32 v127, -1, 0
	s_waitcnt vmcnt(0) lgkmcnt(0)
	s_barrier
	v_or_b32_e32 v128, v128, v66
	buffer_gl0_inv
	v_xor_b32_e32 v129, 16, v127
	v_or_b32_e32 v130, 4, v128
	v_or_b32_e32 v131, 6, v128
	s_delay_alu instid0(VALU_DEP_3) | instskip(SKIP_4) | instid1(VALU_DEP_4)
	v_cmp_gt_i32_e32 vcc_lo, 32, v129
	v_or_b32_e32 v132, 8, v128
	v_or_b32_e32 v133, 10, v128
	v_cmp_gt_i32_e64 s3, s24, v130
	v_cmp_gt_i32_e64 s4, s24, v131
	;; [unrolled: 1-line block ×3, first 2 shown]
	v_wmma_f32_16x16x16_f16 v[135:142], v[79:86], v[71:78], v[135:142]
	v_wmma_f32_16x16x16_f16 v[111:118], v[87:94], v[71:78], v[111:118]
	v_or_b32_e32 v79, 12, v128
	v_or_b32_e32 v80, 14, v128
	v_cmp_gt_i32_e64 s6, s24, v133
	v_wmma_f32_16x16x16_f16 v[135:142], v[95:102], v[119:126], v[135:142]
	v_wmma_f32_16x16x16_f16 v[111:118], v[103:110], v[119:126], v[111:118]
	v_cndmask_b32_e32 v127, v127, v129, vcc_lo
	v_or_b32_e32 v129, 2, v128
	v_cmp_gt_i32_e32 vcc_lo, s24, v128
	v_mul_f32_e32 v88, s19, v135
	v_dual_mul_f32 v92, s19, v115 :: v_dual_mul_f32 v87, s19, v136
	s_delay_alu instid0(VALU_DEP_4)
	v_cmp_gt_i32_e64 s2, s24, v129
	v_mul_f32_e32 v78, s19, v138
	v_mul_f32_e32 v86, s19, v137
	v_cndmask_b32_e32 v88, 0xff7fffff, v88, vcc_lo
	v_mul_f32_e32 v76, s19, v140
	v_cndmask_b32_e64 v87, 0xff7fffff, v87, s2
	v_dual_mul_f32 v77, s19, v139 :: v_dual_mul_f32 v94, s19, v113
	v_cndmask_b32_e64 v86, 0xff7fffff, v86, s3
	v_cndmask_b32_e64 v78, 0xff7fffff, v78, s4
	s_delay_alu instid0(VALU_DEP_4)
	v_max3_f32 v87, v88, 0xff7fffff, v87
	v_or_b32_e32 v81, 16, v128
	v_or_b32_e32 v82, 18, v128
	v_dual_mul_f32 v74, s19, v142 :: v_dual_mul_f32 v75, s19, v141
	v_mul_f32_e32 v96, s19, v111
	v_cndmask_b32_e64 v77, 0xff7fffff, v77, s5
	v_cndmask_b32_e64 v76, 0xff7fffff, v76, s6
	v_max3_f32 v78, v87, v86, v78
	v_cmp_gt_i32_e64 s7, s24, v79
	v_cmp_gt_i32_e64 s8, s24, v80
	v_or_b32_e32 v83, 20, v128
	v_or_b32_e32 v84, 22, v128
	v_mul_f32_e32 v95, s19, v112
	v_cndmask_b32_e64 v75, 0xff7fffff, v75, s7
	v_cndmask_b32_e64 v74, 0xff7fffff, v74, s8
	v_max3_f32 v76, v78, v77, v76
	v_cmp_gt_i32_e64 s9, s24, v81
	v_cmp_gt_i32_e64 s10, s24, v82
	v_or_b32_e32 v85, 24, v128
	v_or_b32_e32 v71, 26, v128
	v_mul_f32_e32 v93, s19, v114
	v_cndmask_b32_e64 v77, 0xff7fffff, v96, s9
	v_cndmask_b32_e64 v78, 0xff7fffff, v95, s10
	v_max3_f32 v74, v76, v75, v74
	v_cmp_gt_i32_e64 s11, s24, v83
	v_cmp_gt_i32_e64 s12, s24, v84
	v_or_b32_e32 v72, 28, v128
	v_or_b32_e32 v73, 30, v128
	v_mul_f32_e32 v91, s19, v116
	v_cndmask_b32_e64 v75, 0xff7fffff, v94, s11
	v_cndmask_b32_e64 v76, 0xff7fffff, v93, s12
	v_max3_f32 v74, v74, v77, v78
	v_cmp_gt_i32_e64 s13, s24, v85
	v_cmp_gt_i32_e64 s15, s24, v71
	v_dual_mul_f32 v89, s19, v118 :: v_dual_mul_f32 v90, s19, v117
	s_delay_alu instid0(VALU_DEP_4) | instskip(NEXT) | instid1(VALU_DEP_4)
	v_max3_f32 v74, v74, v75, v76
	v_cndmask_b32_e64 v77, 0xff7fffff, v92, s13
	s_delay_alu instid0(VALU_DEP_4) | instskip(SKIP_2) | instid1(VALU_DEP_3)
	v_cndmask_b32_e64 v71, 0xff7fffff, v91, s15
	v_cmp_gt_i32_e64 s16, s24, v72
	v_cmp_gt_i32_e64 s17, s24, v73
	v_max3_f32 v71, v74, v77, v71
	s_delay_alu instid0(VALU_DEP_3) | instskip(NEXT) | instid1(VALU_DEP_3)
	v_cndmask_b32_e64 v72, 0xff7fffff, v90, s16
	v_cndmask_b32_e64 v73, 0xff7fffff, v89, s17
	v_lshlrev_b32_e32 v74, 2, v127
	s_delay_alu instid0(VALU_DEP_2) | instskip(SKIP_3) | instid1(VALU_DEP_1)
	v_max3_f32 v71, v71, v72, v73
	ds_bpermute_b32 v72, v74, v71
	s_waitcnt lgkmcnt(0)
	v_max_f32_e32 v72, v72, v72
	v_max_f32_e32 v71, v71, v72
	s_delay_alu instid0(VALU_DEP_1) | instskip(SKIP_4) | instid1(VALU_DEP_4)
	v_fma_f32 v72, s19, v135, -v71
	v_fma_f32 v73, s19, v136, -v71
	;; [unrolled: 1-line block ×5, first 2 shown]
	v_dual_mul_f32 v72, 0x3fb8aa3b, v72 :: v_dual_mul_f32 v73, 0x3fb8aa3b, v73
	v_fma_f32 v80, s19, v141, -v71
	s_delay_alu instid0(VALU_DEP_3) | instskip(NEXT) | instid1(VALU_DEP_3)
	v_dual_mul_f32 v76, 0x3fb8aa3b, v76 :: v_dual_mul_f32 v77, 0x3fb8aa3b, v77
	v_exp_f32_e32 v72, v72
	s_delay_alu instid0(VALU_DEP_3) | instskip(NEXT) | instid1(VALU_DEP_2)
	v_exp_f32_e32 v73, v73
	v_mul_f32_e32 v82, 0x3fb8aa3b, v80
	s_delay_alu instid0(VALU_DEP_2) | instskip(SKIP_1) | instid1(VALU_DEP_1)
	v_exp_f32_e32 v76, v76
	v_exp_f32_e32 v77, v77
	;; [unrolled: 1-line block ×3, first 2 shown]
	v_cndmask_b32_e32 v79, 0, v72, vcc_lo
	v_fma_f32 v72, s19, v140, -v71
	v_mul_f32_e32 v75, 0x3fb8aa3b, v75
	v_cndmask_b32_e64 v78, 0, v73, s2
	s_delay_alu instid0(TRANS32_DEP_3) | instskip(NEXT) | instid1(VALU_DEP_4)
	v_cndmask_b32_e64 v80, 0, v76, s4
	v_dual_add_f32 v73, 0, v79 :: v_dual_mul_f32 v72, 0x3fb8aa3b, v72
	s_delay_alu instid0(VALU_DEP_4) | instskip(NEXT) | instid1(TRANS32_DEP_3)
	v_exp_f32_e32 v75, v75
	v_cndmask_b32_e64 v83, 0, v77, s5
	s_delay_alu instid0(TRANS32_DEP_2) | instskip(NEXT) | instid1(VALU_DEP_3)
	v_cndmask_b32_e64 v85, 0, v84, s7
	v_add_f32_e32 v73, v73, v78
	v_exp_f32_e32 v72, v72
	s_mov_b32 s2, exec_lo
	s_waitcnt_depctr 0xfff
	v_cndmask_b32_e64 v81, 0, v75, s3
	v_cndmask_b32_e64 v82, 0, v72, s6
	s_delay_alu instid0(VALU_DEP_2) | instskip(NEXT) | instid1(VALU_DEP_1)
	v_add_f32_e32 v73, v73, v81
	v_add_f32_e32 v73, v73, v80
	s_delay_alu instid0(VALU_DEP_1) | instskip(NEXT) | instid1(VALU_DEP_1)
	v_add_f32_e32 v72, v73, v83
	v_add_f32_e32 v72, v72, v82
	s_delay_alu instid0(VALU_DEP_1)
	v_add_f32_e32 v72, v72, v85
	v_fma_f32 v76, s19, v111, -v71
	v_fma_f32 v75, s19, v142, -v71
	;; [unrolled: 1-line block ×5, first 2 shown]
	v_mul_f32_e32 v76, 0x3fb8aa3b, v76
	s_delay_alu instid0(VALU_DEP_4) | instskip(NEXT) | instid1(VALU_DEP_2)
	v_mul_f32_e32 v86, 0x3fb8aa3b, v86
	v_exp_f32_e32 v76, v76
	s_delay_alu instid0(VALU_DEP_1)
	v_exp_f32_e32 v88, v86
	s_waitcnt_depctr 0xfff
	v_cndmask_b32_e64 v87, 0, v76, s9
	v_fma_f32 v76, s19, v116, -v71
	v_mul_f32_e32 v75, 0x3fb8aa3b, v75
	v_cndmask_b32_e64 v88, 0, v88, s12
	s_delay_alu instid0(VALU_DEP_3) | instskip(NEXT) | instid1(VALU_DEP_3)
	v_dual_mul_f32 v73, 0x3fb8aa3b, v73 :: v_dual_mul_f32 v76, 0x3fb8aa3b, v76
	v_exp_f32_e32 v75, v75
	s_delay_alu instid0(VALU_DEP_1) | instskip(NEXT) | instid1(VALU_DEP_1)
	v_exp_f32_e32 v73, v73
	v_exp_f32_e32 v76, v76
	s_delay_alu instid0(TRANS32_DEP_3)
	v_cndmask_b32_e64 v84, 0, v75, s8
	v_fma_f32 v75, s19, v115, -v71
	s_waitcnt_depctr 0xfff
	v_cndmask_b32_e64 v89, 0, v73, s11
	v_cndmask_b32_e64 v90, 0, v76, s15
	v_add_f32_e32 v72, v72, v84
	s_delay_alu instid0(VALU_DEP_1) | instskip(NEXT) | instid1(VALU_DEP_1)
	v_dual_add_f32 v72, v72, v87 :: v_dual_mul_f32 v77, 0x3fb8aa3b, v77
	v_exp_f32_e32 v77, v77
	s_waitcnt_depctr 0xfff
	v_cndmask_b32_e64 v86, 0, v77, s10
	v_fma_f32 v77, s19, v117, -v71
	s_delay_alu instid0(VALU_DEP_2) | instskip(NEXT) | instid1(VALU_DEP_1)
	v_dual_add_f32 v72, v72, v86 :: v_dual_mul_f32 v75, 0x3fb8aa3b, v75
	v_add_f32_e32 v72, v72, v89
	s_delay_alu instid0(VALU_DEP_2) | instskip(NEXT) | instid1(VALU_DEP_1)
	v_exp_f32_e32 v75, v75
	v_add_f32_e32 v72, v72, v88
	s_waitcnt_depctr 0xfff
	v_cndmask_b32_e64 v91, 0, v75, s13
	v_mul_f32_e32 v73, 0x3fb8aa3b, v77
	v_fma_f32 v77, s19, v118, -v71
	s_delay_alu instid0(VALU_DEP_3) | instskip(NEXT) | instid1(VALU_DEP_3)
	v_add_f32_e32 v72, v72, v91
	v_exp_f32_e32 v73, v73
	s_delay_alu instid0(VALU_DEP_1) | instskip(NEXT) | instid1(VALU_DEP_1)
	v_dual_mul_f32 v75, 0x3fb8aa3b, v77 :: v_dual_add_f32 v72, v72, v90
	v_exp_f32_e32 v75, v75
	s_waitcnt_depctr 0xfff
	v_cndmask_b32_e64 v93, 0, v73, s16
	s_delay_alu instid0(VALU_DEP_1) | instskip(SKIP_1) | instid1(VALU_DEP_1)
	v_add_f32_e32 v72, v72, v93
	v_cndmask_b32_e64 v92, 0, v75, s17
	v_add_f32_e32 v72, v72, v92
	ds_bpermute_b32 v73, v74, v72
	v_cmpx_gt_u32_e32 16, v70
	s_cbranch_execz .LBB1273_12
; %bb.11:
	v_mul_u32_u24_e32 v70, 0x44, v69
	s_waitcnt lgkmcnt(0)
	v_add_f32_e32 v72, v72, v73
	s_delay_alu instid0(VALU_DEP_2) | instskip(NEXT) | instid1(VALU_DEP_1)
	v_lshl_add_u32 v70, v68, 2, v70
	v_add_nc_u32_e32 v70, 0x4000, v70
	ds_store_2addr_b32 v70, v71, v72 offset1:136
.LBB1273_12:
	s_or_b32 exec_lo, exec_lo, s2
	v_lshlrev_b32_e32 v70, 2, v68
	s_load_b32 s34, s[0:1], 0x94
	s_waitcnt lgkmcnt(0)
	s_barrier
	buffer_gl0_inv
	v_add_nc_u32_e32 v98, 0x4000, v70
	v_cmp_eq_u32_e32 vcc_lo, 1, v69
	v_cmp_eq_u32_e64 s2, 2, v69
	v_cmp_eq_u32_e64 s3, 3, v69
	;; [unrolled: 1-line block ×3, first 2 shown]
	ds_load_2addr_b32 v[70:71], v98 offset1:17
	ds_load_2addr_b32 v[72:73], v98 offset0:34 offset1:51
	ds_load_2addr_b32 v[74:75], v98 offset0:68 offset1:85
	;; [unrolled: 1-line block ×3, first 2 shown]
	v_cmp_eq_u32_e64 s5, 5, v69
	v_cmp_eq_u32_e64 s6, 7, v69
	s_waitcnt lgkmcnt(3)
	v_max3_f32 v76, v70, 0xff7fffff, v71
	s_waitcnt lgkmcnt(2)
	s_delay_alu instid0(VALU_DEP_1) | instskip(SKIP_1) | instid1(VALU_DEP_1)
	v_max3_f32 v76, v76, v72, v73
	s_waitcnt lgkmcnt(1)
	v_max3_f32 v76, v76, v74, v75
	s_waitcnt lgkmcnt(0)
	s_delay_alu instid0(VALU_DEP_1) | instskip(NEXT) | instid1(VALU_DEP_1)
	v_max3_f32 v76, v76, v94, v95
	v_sub_f32_e32 v77, v71, v76
	ds_load_2addr_b32 v[96:97], v98 offset0:136 offset1:153
	v_sub_f32_e32 v74, v74, v76
	v_sub_f32_e32 v70, v70, v76
	v_sub_f32_e32 v94, v94, v76
	v_dual_sub_f32 v72, v72, v76 :: v_dual_mul_f32 v77, 0x3fb8aa3b, v77
	s_delay_alu instid0(VALU_DEP_4) | instskip(NEXT) | instid1(VALU_DEP_4)
	v_mul_f32_e32 v103, 0x3fb8aa3b, v74
	v_mul_f32_e32 v99, 0x3fb8aa3b, v70
	ds_load_2addr_b32 v[70:71], v98 offset0:170 offset1:187
	v_dual_mul_f32 v101, 0x3fb8aa3b, v72 :: v_dual_mul_f32 v94, 0x3fb8aa3b, v94
	v_exp_f32_e32 v102, v77
	v_exp_f32_e32 v99, v99
	s_delay_alu instid0(VALU_DEP_1) | instskip(NEXT) | instid1(VALU_DEP_1)
	v_exp_f32_e32 v101, v101
	v_exp_f32_e32 v94, v94
	s_waitcnt lgkmcnt(1)
	s_delay_alu instid0(TRANS32_DEP_3)
	v_fma_f32 v77, v99, v96, 0
	v_sub_f32_e32 v100, v73, v76
	ds_load_2addr_b32 v[72:73], v98 offset0:204 offset1:221
	v_fmac_f32_e32 v77, v102, v97
	v_exp_f32_e32 v97, v103
	s_waitcnt lgkmcnt(1)
	s_delay_alu instid0(VALU_DEP_1)
	v_dual_fmac_f32 v77, v101, v70 :: v_dual_sub_f32 v96, v75, v76
	ds_load_2addr_b32 v[74:75], v98 offset0:238 offset1:255
	v_sub_f32_e32 v70, v95, v76
	s_waitcnt lgkmcnt(0)
	s_barrier
	v_mul_f32_e32 v96, 0x3fb8aa3b, v96
	buffer_gl0_inv
	v_exp_f32_e32 v95, v96
	v_mul_f32_e32 v100, 0x3fb8aa3b, v100
	s_delay_alu instid0(VALU_DEP_1) | instskip(SKIP_3) | instid1(VALU_DEP_2)
	v_exp_f32_e32 v100, v100
	s_waitcnt_depctr 0xfff
	v_dual_fmac_f32 v77, v100, v71 :: v_dual_mul_f32 v70, 0x3fb8aa3b, v70
	v_cndmask_b32_e32 v71, v99, v102, vcc_lo
	v_fmac_f32_e32 v77, v97, v72
	s_delay_alu instid0(VALU_DEP_3) | instskip(NEXT) | instid1(VALU_DEP_1)
	v_exp_f32_e32 v96, v70
	v_fmac_f32_e32 v77, v95, v73
	s_delay_alu instid0(VALU_DEP_1) | instskip(SKIP_2) | instid1(VALU_DEP_1)
	v_fmac_f32_e32 v77, v94, v74
	s_waitcnt_depctr 0xfff
	v_fmac_f32_e32 v77, v96, v75
	v_add_f32_e32 v74, 0x358637bd, v77
	s_delay_alu instid0(VALU_DEP_1) | instskip(SKIP_1) | instid1(VALU_DEP_2)
	v_div_scale_f32 v98, null, v74, v74, 1.0
	v_div_scale_f32 v99, vcc_lo, 1.0, v74, 1.0
	v_rcp_f32_e32 v103, v98
	s_waitcnt_depctr 0xfff
	v_fma_f32 v70, -v98, v103, 1.0
	s_delay_alu instid0(VALU_DEP_1) | instskip(SKIP_2) | instid1(VALU_DEP_2)
	v_fmac_f32_e32 v103, v70, v103
	v_cndmask_b32_e64 v70, v71, v101, s2
	v_cmp_eq_u32_e64 s2, 6, v69
	v_cndmask_b32_e64 v71, v70, v100, s3
	s_delay_alu instid0(VALU_DEP_4) | instskip(NEXT) | instid1(VALU_DEP_2)
	v_dual_mul_f32 v101, v99, v103 :: v_dual_lshlrev_b32 v70, 2, v66
	v_cndmask_b32_e64 v71, v71, v97, s4
	s_delay_alu instid0(VALU_DEP_2) | instskip(NEXT) | instid1(VALU_DEP_3)
	v_or_b32_e32 v72, 1, v70
	v_fma_f32 v100, -v98, v101, v99
	v_cmp_eq_u32_e64 s3, 1, v70
	v_cmp_eq_u32_e64 s4, 2, v70
	v_cndmask_b32_e64 v95, v71, v95, s5
	v_or_b32_e32 v71, 3, v70
	v_fmac_f32_e32 v101, v100, v103
	v_cmp_eq_u32_e64 s8, 1, v72
	v_cmp_eq_u32_e64 s11, 2, v72
	v_cndmask_b32_e64 v94, v95, v94, s2
	v_cmp_eq_u32_e64 s10, 1, v71
	v_fma_f32 v97, -v98, v101, v99
	v_cmp_eq_u32_e64 s15, 2, v71
	v_cmp_eq_u32_e64 s12, 3, v72
	v_cndmask_b32_e64 v94, v94, v96, s6
	v_cmp_eq_u32_e64 s17, 3, v71
	v_div_fmas_f32 v95, v97, v103, v101
	v_cmp_eq_u32_e32 vcc_lo, 3, v70
	v_cmp_eq_u32_e64 s2, 4, v70
	v_cmp_eq_u32_e64 s18, 4, v72
	;; [unrolled: 1-line block ×3, first 2 shown]
	v_div_fixup_f32 v95, v95, v74, 1.0
	v_lshlrev_b32_e32 v73, 6, v68
	v_cmp_eq_u32_e64 s5, 5, v70
	v_cmp_eq_u32_e64 s19, 5, v72
	;; [unrolled: 1-line block ×3, first 2 shown]
	v_mul_f32_e32 v102, v94, v95
	v_lshl_or_b32 v75, v69, 11, v73
	v_or_b32_e32 v69, 2, v70
	v_cmp_eq_u32_e64 s24, 6, v72
	v_cmp_eq_u32_e64 s26, 6, v71
	v_fma_mixlo_f16 v94, v102, v79, 0
	v_fma_mixlo_f16 v95, v102, v81, 0
	;; [unrolled: 1-line block ×8, first 2 shown]
	v_lshl_or_b32 v74, v66, 4, v75
	v_fma_mixhi_f16 v94, v102, v78, 0
	v_fma_mixhi_f16 v95, v102, v80, 0
	;; [unrolled: 1-line block ×8, first 2 shown]
	ds_store_b128 v74, v[94:97]
	ds_store_b128 v74, v[98:101] offset:1024
	s_waitcnt lgkmcnt(0)
	s_barrier
	buffer_gl0_inv
	ds_load_b128 v[78:81], v75
	ds_load_b128 v[82:85], v75 offset:16
	ds_load_b128 v[86:89], v75 offset:1024
	;; [unrolled: 1-line block ×3, first 2 shown]
	v_cmp_eq_u32_e64 s9, 1, v69
	v_cmp_eq_u32_e64 s13, 2, v69
	;; [unrolled: 1-line block ×11, first 2 shown]
	s_waitcnt lgkmcnt(3)
	v_lshrrev_b32_e32 v94, 16, v78
	s_waitcnt lgkmcnt(2)
	v_lshrrev_b32_e32 v98, 16, v82
	;; [unrolled: 2-line block ×4, first 2 shown]
	v_lshrrev_b32_e32 v95, 16, v79
	v_cndmask_b32_e64 v110, v78, v94, s3
	v_cndmask_b32_e64 v111, v82, v98, s3
	;; [unrolled: 1-line block ×8, first 2 shown]
	v_lshrrev_b32_e32 v99, 16, v83
	v_cndmask_b32_e64 v94, v86, v102, s3
	v_cndmask_b32_e64 v98, v90, v106, s3
	;; [unrolled: 1-line block ×15, first 2 shown]
	v_lshrrev_b32_e32 v103, 16, v87
	v_lshrrev_b32_e32 v107, 16, v91
	v_cndmask_b32_e64 v113, v115, v83, s13
	v_cndmask_b32_e64 v82, v94, v87, s4
	;; [unrolled: 1-line block ×7, first 2 shown]
	v_cndmask_b32_e32 v90, v102, v95, vcc_lo
	v_cndmask_b32_e32 v102, v106, v99, vcc_lo
	v_cndmask_b32_e64 v106, v110, v95, s12
	v_cndmask_b32_e64 v110, v111, v99, s12
	;; [unrolled: 1-line block ×4, first 2 shown]
	v_lshrrev_b32_e32 v96, 16, v80
	v_lshrrev_b32_e32 v100, 16, v84
	v_cndmask_b32_e64 v111, v112, v95, s16
	v_cndmask_b32_e64 v112, v113, v99, s16
	v_cndmask_b32_e32 v82, v82, v103, vcc_lo
	v_cndmask_b32_e32 v83, v83, v107, vcc_lo
	v_cndmask_b32_e64 v94, v94, v103, s12
	v_cndmask_b32_e64 v90, v90, v80, s2
	;; [unrolled: 1-line block ×7, first 2 shown]
	v_lshrrev_b32_e32 v104, 16, v88
	v_cndmask_b32_e64 v106, v111, v80, s20
	v_cndmask_b32_e64 v110, v112, v84, s20
	;; [unrolled: 1-line block ×11, first 2 shown]
	v_lshrrev_b32_e32 v97, 16, v81
	v_lshrrev_b32_e32 v101, 16, v85
	v_cndmask_b32_e64 v99, v106, v96, s22
	v_cndmask_b32_e64 v102, v110, v100, s22
	;; [unrolled: 1-line block ×7, first 2 shown]
	v_lshrrev_b32_e32 v105, 16, v89
	v_cndmask_b32_e64 v80, v80, v104, s5
	v_cndmask_b32_e64 v84, v84, v81, s6
	;; [unrolled: 1-line block ×16, first 2 shown]
	v_perm_b32 v81, v79, v78, 0x5040100
	v_perm_b32 v79, v95, v85, 0x5040100
	v_cndmask_b32_e64 v78, v119, v91, s13
	v_cndmask_b32_e64 v85, v117, v91, s11
	;; [unrolled: 1-line block ×3, first 2 shown]
	v_perm_b32 v80, v94, v90, 0x5040100
	v_cndmask_b32_e64 v90, v98, v103, s16
	v_cndmask_b32_e64 v86, v86, v103, s17
	;; [unrolled: 1-line block ×5, first 2 shown]
	v_lshrrev_b32_e32 v108, 16, v92
	v_cndmask_b32_e64 v90, v90, v88, s20
	v_cndmask_b32_e64 v86, v86, v88, s21
	;; [unrolled: 1-line block ×11, first 2 shown]
	v_lshrrev_b32_e32 v109, 16, v93
	v_cndmask_b32_e64 v82, v82, v93, s6
	v_cndmask_b32_e64 v88, v88, v89, s25
	;; [unrolled: 1-line block ×12, first 2 shown]
	v_perm_b32 v78, v84, v83, 0x5040100
	v_perm_b32 v85, v87, v86, 0x5040100
	v_perm_b32 v84, v89, v88, 0x5040100
	v_perm_b32 v83, v90, v97, 0x5040100
	v_perm_b32 v82, v82, v96, 0x5040100
	s_mul_i32 s7, s33, 12
	s_mov_b32 s2, exec_lo
	ds_store_b128 v74, v[78:81]
	ds_store_b128 v74, v[82:85] offset:1024
	v_cmpx_gt_u32_e32 12, v0
	s_cbranch_execz .LBB1273_14
; %bb.13:
	s_mul_i32 s3, s7, s30
	s_load_b128 s[8:11], s[0:1], 0x58
	v_add3_u32 v68, s3, s31, v68
	s_delay_alu instid0(VALU_DEP_1) | instskip(NEXT) | instid1(VALU_DEP_1)
	v_mad_u64_u32 v[78:79], null, v68, s34, s[14:15]
	v_ashrrev_i32_e32 v79, 31, v78
	s_delay_alu instid0(VALU_DEP_1) | instskip(SKIP_1) | instid1(VALU_DEP_1)
	v_lshlrev_b64 v[78:79], 2, v[78:79]
	s_waitcnt lgkmcnt(0)
	v_add_co_u32 v80, vcc_lo, s10, v78
	s_delay_alu instid0(VALU_DEP_2)
	v_add_co_ci_u32_e32 v81, vcc_lo, s11, v79, vcc_lo
	v_add_co_u32 v78, vcc_lo, s8, v78
	v_add_co_ci_u32_e32 v79, vcc_lo, s9, v79, vcc_lo
	global_store_b32 v[80:81], v76, off
	global_store_b32 v[78:79], v77, off
.LBB1273_14:
	s_or_b32 exec_lo, exec_lo, s2
	s_waitcnt lgkmcnt(0)
	s_waitcnt_vscnt null, 0x0
	s_barrier
	buffer_gl0_inv
	ds_load_b128 v[84:87], v73
	ds_load_b128 v[88:91], v73 offset:16
	ds_load_b128 v[96:99], v73 offset:2064
	;; [unrolled: 1-line block ×5, first 2 shown]
	v_cmp_eq_u32_e32 vcc_lo, 1, v70
	v_mov_b32_e32 v76, 0
	ds_load_b128 v[112:115], v73 offset:6160
	ds_load_b128 v[108:111], v73 offset:6144
	;; [unrolled: 1-line block ×4, first 2 shown]
	v_cmp_eq_u32_e64 s3, 1, v69
	v_cmp_eq_u32_e64 s2, 1, v72
	;; [unrolled: 1-line block ×3, first 2 shown]
	v_mov_b32_e32 v77, v76
	v_mov_b32_e32 v78, v76
	;; [unrolled: 1-line block ×7, first 2 shown]
	v_cmp_eq_u32_e64 s5, 3, v72
	v_cmp_eq_u32_e64 s6, 7, v72
	s_waitcnt lgkmcnt(8)
	s_delay_alu instid0(VALU_DEP_3)
	v_wmma_f32_16x16x16_f16 v[76:83], v[49:56], v[84:91], v[76:83]
	ds_load_b128 v[53:56], v73 offset:10256
	ds_load_b128 v[49:52], v73 offset:10240
	s_waitcnt lgkmcnt(8)
	v_wmma_f32_16x16x16_f16 v[76:83], v[41:48], v[92:99], v[76:83]
	ds_load_b128 v[45:48], v73 offset:12304
	ds_load_b128 v[41:44], v73 offset:12288
	s_waitcnt lgkmcnt(8)
	;; [unrolled: 4-line block ×3, first 2 shown]
	s_barrier
	buffer_gl0_inv
	v_wmma_f32_16x16x16_f16 v[76:83], v[1:8], v[108:115], v[76:83]
	s_delay_alu instid0(VALU_DEP_1) | instskip(NEXT) | instid1(VALU_DEP_1)
	v_wmma_f32_16x16x16_f16 v[76:83], v[9:16], v[116:123], v[76:83]
	v_wmma_f32_16x16x16_f16 v[76:83], v[17:24], v[49:56], v[76:83]
	s_delay_alu instid0(VALU_DEP_1) | instskip(NEXT) | instid1(VALU_DEP_1)
	v_wmma_f32_16x16x16_f16 v[76:83], v[25:32], v[41:48], v[76:83]
	v_wmma_f32_16x16x16_f16 v[76:83], v[57:64], v[33:40], v[76:83]
	s_delay_alu instid0(VALU_DEP_1) | instskip(NEXT) | instid1(VALU_DEP_2)
	v_cvt_f16_f32_e32 v1, v76
	v_cvt_f16_f32_e32 v2, v77
	s_delay_alu instid0(VALU_DEP_3) | instskip(NEXT) | instid1(VALU_DEP_4)
	v_cvt_f16_f32_e32 v3, v78
	v_cvt_f16_f32_e32 v4, v79
	;; [unrolled: 1-line block ×6, first 2 shown]
	v_pack_b32_f16 v1, v1, v2
	v_pack_b32_f16 v2, v3, v4
	;; [unrolled: 1-line block ×3, first 2 shown]
	s_delay_alu instid0(VALU_DEP_4)
	v_pack_b32_f16 v4, v7, v8
	ds_store_b128 v74, v[1:4]
	s_waitcnt lgkmcnt(0)
	s_barrier
	buffer_gl0_inv
	ds_load_b128 v[1:4], v75
	ds_load_b128 v[5:8], v75 offset:16
	s_waitcnt lgkmcnt(1)
	v_lshrrev_b32_e32 v9, 16, v1
	s_waitcnt lgkmcnt(0)
	v_lshrrev_b32_e32 v13, 16, v5
	v_lshrrev_b32_e32 v10, 16, v2
	;; [unrolled: 1-line block ×4, first 2 shown]
	v_cndmask_b32_e32 v17, v1, v9, vcc_lo
	v_cndmask_b32_e32 v18, v5, v13, vcc_lo
	v_cndmask_b32_e64 v21, v1, v9, s3
	v_cmp_eq_u32_e32 vcc_lo, 1, v71
	v_cndmask_b32_e64 v22, v5, v13, s3
	v_cmp_eq_u32_e64 s3, 2, v70
	v_cndmask_b32_e64 v19, v1, v9, s2
	v_cndmask_b32_e64 v20, v5, v13, s2
	v_cndmask_b32_e32 v1, v1, v9, vcc_lo
	v_cmp_eq_u32_e64 s2, 2, v71
	v_cndmask_b32_e32 v5, v5, v13, vcc_lo
	v_cndmask_b32_e64 v9, v17, v2, s3
	v_cmp_eq_u32_e32 vcc_lo, 3, v70
	v_cndmask_b32_e64 v13, v18, v6, s3
	v_cmp_eq_u32_e64 s3, 2, v69
	v_cndmask_b32_e64 v17, v19, v2, s4
	v_cndmask_b32_e64 v18, v20, v6, s4
	v_cmp_eq_u32_e64 s4, 3, v69
	v_cndmask_b32_e64 v1, v1, v2, s2
	v_cndmask_b32_e64 v19, v21, v2, s3
	;; [unrolled: 1-line block ×4, first 2 shown]
	v_cndmask_b32_e32 v5, v9, v10, vcc_lo
	v_cndmask_b32_e32 v6, v13, v14, vcc_lo
	v_cmp_eq_u32_e32 vcc_lo, 3, v71
	v_cndmask_b32_e64 v9, v17, v10, s5
	v_cndmask_b32_e64 v13, v18, v14, s5
	v_cndmask_b32_e64 v18, v20, v14, s4
	v_cmp_eq_u32_e64 s3, 4, v70
	v_cndmask_b32_e32 v1, v1, v10, vcc_lo
	v_cndmask_b32_e32 v2, v2, v14, vcc_lo
	v_cmp_eq_u32_e32 vcc_lo, 4, v72
	v_lshrrev_b32_e32 v15, 16, v7
	v_lshrrev_b32_e32 v16, 16, v8
	v_cndmask_b32_e64 v17, v19, v10, s4
	v_cmp_eq_u32_e64 s2, 4, v71
	v_cndmask_b32_e64 v5, v5, v3, s3
	v_cndmask_b32_e64 v6, v6, v7, s3
	v_cndmask_b32_e32 v9, v9, v3, vcc_lo
	v_cmp_eq_u32_e64 s3, 5, v72
	v_cndmask_b32_e32 v10, v13, v7, vcc_lo
	v_cmp_eq_u32_e32 vcc_lo, 4, v69
	v_cmp_eq_u32_e64 s4, 5, v70
	v_cndmask_b32_e64 v2, v2, v7, s2
	v_cndmask_b32_e64 v9, v9, v11, s3
	;; [unrolled: 1-line block ×3, first 2 shown]
	v_cndmask_b32_e32 v13, v17, v3, vcc_lo
	v_cmp_eq_u32_e64 s3, 5, v69
	v_cndmask_b32_e32 v14, v18, v7, vcc_lo
	v_cndmask_b32_e64 v1, v1, v3, s2
	v_cmp_eq_u32_e32 vcc_lo, 5, v71
	v_lshrrev_b32_e32 v12, 16, v4
	v_cndmask_b32_e64 v13, v13, v11, s3
	v_cndmask_b32_e64 v3, v14, v15, s3
	v_cmp_eq_u32_e64 s3, 6, v71
	v_cndmask_b32_e32 v1, v1, v11, vcc_lo
	v_cndmask_b32_e64 v5, v5, v11, s4
	v_cmp_eq_u32_e64 s5, 6, v70
	v_cndmask_b32_e64 v6, v6, v15, s4
	v_cmp_eq_u32_e64 s4, 6, v72
	v_cmp_eq_u32_e64 s2, 6, v69
	v_cndmask_b32_e64 v1, v1, v4, s3
	v_cndmask_b32_e32 v2, v2, v15, vcc_lo
	v_cmp_eq_u32_e32 vcc_lo, 7, v71
	v_cndmask_b32_e64 v5, v5, v4, s5
	v_cndmask_b32_e64 v9, v9, v4, s4
	;; [unrolled: 1-line block ×3, first 2 shown]
	v_cmp_eq_u32_e64 s5, 7, v70
	v_cndmask_b32_e32 v1, v1, v12, vcc_lo
	v_cndmask_b32_e64 v7, v13, v4, s2
	v_cndmask_b32_e64 v3, v3, v8, s2
	v_cndmask_b32_e64 v2, v2, v8, s3
	v_cmp_eq_u32_e64 s2, 7, v69
	v_cndmask_b32_e64 v4, v10, v8, s4
	v_cndmask_b32_e64 v5, v5, v12, s5
	;; [unrolled: 1-line block ×3, first 2 shown]
	v_cndmask_b32_e32 v2, v2, v16, vcc_lo
	v_cndmask_b32_e64 v7, v7, v12, s2
	v_cndmask_b32_e64 v3, v3, v16, s2
	v_cndmask_b32_e64 v8, v4, v16, s6
	v_cndmask_b32_e64 v6, v6, v16, s5
	v_perm_b32 v4, v2, v1, 0x5040100
	s_mov_b32 s2, exec_lo
	v_perm_b32 v3, v3, v7, 0x5040100
	v_perm_b32 v2, v8, v9, 0x5040100
	;; [unrolled: 1-line block ×3, first 2 shown]
	ds_store_b128 v74, v[1:4]
	s_waitcnt lgkmcnt(0)
	s_barrier
	buffer_gl0_inv
	v_cmpx_gt_u32_e32 32, v0
	s_cbranch_execz .LBB1273_2
; %bb.15:
	s_load_b64 s[0:1], s[0:1], 0x68
	v_lshlrev_b32_e32 v0, 10, v0
	s_lshl_b32 s4, s34, 7
	v_or_b32_e32 v3, s31, v66
	s_mul_i32 s2, s4, s30
	v_lshlrev_b32_e32 v1, 4, v67
	s_mul_i32 s2, s2, s7
	v_lshlrev_b32_e32 v2, 6, v66
	v_and_b32_e32 v0, 0x3800, v0
	s_ashr_i32 s3, s2, 31
	v_mul_lo_u32 v4, v3, s4
	s_lshl_b64 s[2:3], s[2:3], 1
	s_delay_alu instid0(VALU_DEP_2) | instskip(NEXT) | instid1(VALU_DEP_2)
	v_or3_b32 v16, v0, v1, v2
	v_ashrrev_i32_e32 v5, 31, v4
	ds_load_b128 v[0:3], v16
	s_waitcnt lgkmcnt(0)
	s_add_u32 s2, s0, s2
	s_addc_u32 s3, s1, s3
	s_lshl_b32 s0, s14, 7
	v_lshlrev_b64 v[5:6], 1, v[4:5]
	s_ashr_i32 s1, s0, 31
	s_delay_alu instid0(SALU_CYCLE_1) | instskip(NEXT) | instid1(SALU_CYCLE_1)
	s_lshl_b64 s[0:1], s[0:1], 1
	s_add_u32 s0, s2, s0
	s_addc_u32 s1, s3, s1
	s_lshl_b32 s2, s34, 8
	v_add_co_u32 v30, s0, s0, v65
	v_add_nc_u32_e32 v8, s2, v4
	v_add_co_ci_u32_e64 v31, null, s1, 0, s0
	s_delay_alu instid0(VALU_DEP_3) | instskip(NEXT) | instid1(VALU_DEP_3)
	v_add_co_u32 v12, vcc_lo, v30, v5
	v_add_nc_u32_e32 v10, s2, v8
	v_ashrrev_i32_e32 v9, 31, v8
	s_delay_alu instid0(VALU_DEP_4)
	v_add_co_ci_u32_e32 v13, vcc_lo, v31, v6, vcc_lo
	ds_load_b128 v[4:7], v16 offset:128
	v_ashrrev_i32_e32 v11, 31, v10
	v_lshlrev_b64 v[8:9], 1, v[8:9]
	v_add_nc_u32_e32 v14, s2, v10
	global_store_b128 v[12:13], v[0:3], off
	v_lshlrev_b64 v[0:1], 1, v[10:11]
	v_ashrrev_i32_e32 v15, 31, v14
	v_add_co_u32 v22, vcc_lo, v30, v8
	v_add_nc_u32_e32 v20, s2, v14
	v_add_co_ci_u32_e32 v23, vcc_lo, v31, v9, vcc_lo
	v_add_co_u32 v26, vcc_lo, v30, v0
	v_lshlrev_b64 v[24:25], 1, v[14:15]
	v_add_co_ci_u32_e32 v27, vcc_lo, v31, v1, vcc_lo
	ds_load_b128 v[0:3], v16 offset:256
	ds_load_b128 v[8:11], v16 offset:384
	;; [unrolled: 1-line block ×4, first 2 shown]
	v_add_nc_u32_e32 v28, s2, v20
	v_ashrrev_i32_e32 v21, 31, v20
	v_add_co_u32 v24, vcc_lo, v30, v24
	v_add_co_ci_u32_e32 v25, vcc_lo, v31, v25, vcc_lo
	s_delay_alu instid0(VALU_DEP_4) | instskip(NEXT) | instid1(VALU_DEP_4)
	v_ashrrev_i32_e32 v29, 31, v28
	v_lshlrev_b64 v[20:21], 1, v[20:21]
	s_delay_alu instid0(VALU_DEP_2) | instskip(NEXT) | instid1(VALU_DEP_2)
	v_lshlrev_b64 v[28:29], 1, v[28:29]
	v_add_co_u32 v20, vcc_lo, v30, v20
	s_delay_alu instid0(VALU_DEP_3) | instskip(NEXT) | instid1(VALU_DEP_3)
	v_add_co_ci_u32_e32 v21, vcc_lo, v31, v21, vcc_lo
	v_add_co_u32 v28, vcc_lo, v30, v28
	s_delay_alu instid0(VALU_DEP_4)
	v_add_co_ci_u32_e32 v29, vcc_lo, v31, v29, vcc_lo
	s_waitcnt lgkmcnt(4)
	global_store_b128 v[22:23], v[4:7], off
	s_waitcnt lgkmcnt(3)
	global_store_b128 v[26:27], v[0:3], off
	;; [unrolled: 2-line block ×5, first 2 shown]
	s_nop 0
	s_sendmsg sendmsg(MSG_DEALLOC_VGPRS)
	s_endpgm
	.section	.rodata,"a",@progbits
	.p2align	6, 0x0
	.amdhsa_kernel _Z39paged_attention_ll4mi_QKV_mfma16_kernelIDF16_hLN4vllm18Fp8KVCacheDataTypeE1EDF16_Li16ELi128ELi256ELb0ELi12EL8MFMAType0EEvPKT_PKT0_S8_ifPKiSA_SA_iPKfiiiPfSD_PS3_PT2_iSC_SC_
		.amdhsa_group_segment_fixed_size 17472
		.amdhsa_private_segment_fixed_size 0
		.amdhsa_kernarg_size 400
		.amdhsa_user_sgpr_count 13
		.amdhsa_user_sgpr_dispatch_ptr 0
		.amdhsa_user_sgpr_queue_ptr 0
		.amdhsa_user_sgpr_kernarg_segment_ptr 1
		.amdhsa_user_sgpr_dispatch_id 0
		.amdhsa_user_sgpr_private_segment_size 0
		.amdhsa_wavefront_size32 1
		.amdhsa_uses_dynamic_stack 0
		.amdhsa_enable_private_segment 0
		.amdhsa_system_sgpr_workgroup_id_x 1
		.amdhsa_system_sgpr_workgroup_id_y 1
		.amdhsa_system_sgpr_workgroup_id_z 1
		.amdhsa_system_sgpr_workgroup_info 0
		.amdhsa_system_vgpr_workitem_id 0
		.amdhsa_next_free_vgpr 150
		.amdhsa_next_free_sgpr 36
		.amdhsa_reserve_vcc 1
		.amdhsa_float_round_mode_32 0
		.amdhsa_float_round_mode_16_64 0
		.amdhsa_float_denorm_mode_32 3
		.amdhsa_float_denorm_mode_16_64 3
		.amdhsa_dx10_clamp 1
		.amdhsa_ieee_mode 1
		.amdhsa_fp16_overflow 0
		.amdhsa_workgroup_processor_mode 1
		.amdhsa_memory_ordered 1
		.amdhsa_forward_progress 0
		.amdhsa_shared_vgpr_count 0
		.amdhsa_exception_fp_ieee_invalid_op 0
		.amdhsa_exception_fp_denorm_src 0
		.amdhsa_exception_fp_ieee_div_zero 0
		.amdhsa_exception_fp_ieee_overflow 0
		.amdhsa_exception_fp_ieee_underflow 0
		.amdhsa_exception_fp_ieee_inexact 0
		.amdhsa_exception_int_div_zero 0
	.end_amdhsa_kernel
	.section	.text._Z39paged_attention_ll4mi_QKV_mfma16_kernelIDF16_hLN4vllm18Fp8KVCacheDataTypeE1EDF16_Li16ELi128ELi256ELb0ELi12EL8MFMAType0EEvPKT_PKT0_S8_ifPKiSA_SA_iPKfiiiPfSD_PS3_PT2_iSC_SC_,"axG",@progbits,_Z39paged_attention_ll4mi_QKV_mfma16_kernelIDF16_hLN4vllm18Fp8KVCacheDataTypeE1EDF16_Li16ELi128ELi256ELb0ELi12EL8MFMAType0EEvPKT_PKT0_S8_ifPKiSA_SA_iPKfiiiPfSD_PS3_PT2_iSC_SC_,comdat
.Lfunc_end1273:
	.size	_Z39paged_attention_ll4mi_QKV_mfma16_kernelIDF16_hLN4vllm18Fp8KVCacheDataTypeE1EDF16_Li16ELi128ELi256ELb0ELi12EL8MFMAType0EEvPKT_PKT0_S8_ifPKiSA_SA_iPKfiiiPfSD_PS3_PT2_iSC_SC_, .Lfunc_end1273-_Z39paged_attention_ll4mi_QKV_mfma16_kernelIDF16_hLN4vllm18Fp8KVCacheDataTypeE1EDF16_Li16ELi128ELi256ELb0ELi12EL8MFMAType0EEvPKT_PKT0_S8_ifPKiSA_SA_iPKfiiiPfSD_PS3_PT2_iSC_SC_
                                        ; -- End function
	.section	.AMDGPU.csdata,"",@progbits
; Kernel info:
; codeLenInByte = 6752
; NumSgprs: 38
; NumVgprs: 150
; ScratchSize: 0
; MemoryBound: 0
; FloatMode: 240
; IeeeMode: 1
; LDSByteSize: 17472 bytes/workgroup (compile time only)
; SGPRBlocks: 4
; VGPRBlocks: 18
; NumSGPRsForWavesPerEU: 38
; NumVGPRsForWavesPerEU: 150
; Occupancy: 9
; WaveLimiterHint : 1
; COMPUTE_PGM_RSRC2:SCRATCH_EN: 0
; COMPUTE_PGM_RSRC2:USER_SGPR: 13
; COMPUTE_PGM_RSRC2:TRAP_HANDLER: 0
; COMPUTE_PGM_RSRC2:TGID_X_EN: 1
; COMPUTE_PGM_RSRC2:TGID_Y_EN: 1
; COMPUTE_PGM_RSRC2:TGID_Z_EN: 1
; COMPUTE_PGM_RSRC2:TIDIG_COMP_CNT: 0
	.section	.text._Z39paged_attention_ll4mi_QKV_mfma16_kernelIDF16_hLN4vllm18Fp8KVCacheDataTypeE1EDF16_Li16ELi128ELi256ELb0ELi13EL8MFMAType0EEvPKT_PKT0_S8_ifPKiSA_SA_iPKfiiiPfSD_PS3_PT2_iSC_SC_,"axG",@progbits,_Z39paged_attention_ll4mi_QKV_mfma16_kernelIDF16_hLN4vllm18Fp8KVCacheDataTypeE1EDF16_Li16ELi128ELi256ELb0ELi13EL8MFMAType0EEvPKT_PKT0_S8_ifPKiSA_SA_iPKfiiiPfSD_PS3_PT2_iSC_SC_,comdat
	.protected	_Z39paged_attention_ll4mi_QKV_mfma16_kernelIDF16_hLN4vllm18Fp8KVCacheDataTypeE1EDF16_Li16ELi128ELi256ELb0ELi13EL8MFMAType0EEvPKT_PKT0_S8_ifPKiSA_SA_iPKfiiiPfSD_PS3_PT2_iSC_SC_ ; -- Begin function _Z39paged_attention_ll4mi_QKV_mfma16_kernelIDF16_hLN4vllm18Fp8KVCacheDataTypeE1EDF16_Li16ELi128ELi256ELb0ELi13EL8MFMAType0EEvPKT_PKT0_S8_ifPKiSA_SA_iPKfiiiPfSD_PS3_PT2_iSC_SC_
	.globl	_Z39paged_attention_ll4mi_QKV_mfma16_kernelIDF16_hLN4vllm18Fp8KVCacheDataTypeE1EDF16_Li16ELi128ELi256ELb0ELi13EL8MFMAType0EEvPKT_PKT0_S8_ifPKiSA_SA_iPKfiiiPfSD_PS3_PT2_iSC_SC_
	.p2align	8
	.type	_Z39paged_attention_ll4mi_QKV_mfma16_kernelIDF16_hLN4vllm18Fp8KVCacheDataTypeE1EDF16_Li16ELi128ELi256ELb0ELi13EL8MFMAType0EEvPKT_PKT0_S8_ifPKiSA_SA_iPKfiiiPfSD_PS3_PT2_iSC_SC_,@function
_Z39paged_attention_ll4mi_QKV_mfma16_kernelIDF16_hLN4vllm18Fp8KVCacheDataTypeE1EDF16_Li16ELi128ELi256ELb0ELi13EL8MFMAType0EEvPKT_PKT0_S8_ifPKiSA_SA_iPKfiiiPfSD_PS3_PT2_iSC_SC_: ; @_Z39paged_attention_ll4mi_QKV_mfma16_kernelIDF16_hLN4vllm18Fp8KVCacheDataTypeE1EDF16_Li16ELi128ELi256ELb0ELi13EL8MFMAType0EEvPKT_PKT0_S8_ifPKiSA_SA_iPKfiiiPfSD_PS3_PT2_iSC_SC_
; %bb.0:
	s_load_b64 s[4:5], s[0:1], 0x30
	s_mov_b32 s34, s13
	s_waitcnt lgkmcnt(0)
	s_cmp_lg_u64 s[4:5], 0
	s_cselect_b32 s8, -1, 0
	s_ashr_i32 s35, s13, 31
	s_cmp_eq_u64 s[4:5], 0
	s_cbranch_scc1 .LBB1274_3
; %bb.1:
	s_lshl_b64 s[2:3], s[34:35], 2
	s_delay_alu instid0(SALU_CYCLE_1) | instskip(SKIP_4) | instid1(SALU_CYCLE_1)
	s_add_u32 s2, s4, s2
	s_addc_u32 s3, s5, s3
	s_load_b64 s[2:3], s[2:3], 0x0
	s_waitcnt lgkmcnt(0)
	s_sub_i32 s2, s3, s2
	s_cmp_eq_u32 s2, 1
	s_cselect_b32 s2, -1, 0
	s_delay_alu instid0(SALU_CYCLE_1)
	s_and_not1_b32 vcc_lo, exec_lo, s2
	s_cbranch_vccz .LBB1274_4
.LBB1274_2:
	s_nop 0
	s_sendmsg sendmsg(MSG_DEALLOC_VGPRS)
	s_endpgm
.LBB1274_3:
.LBB1274_4:
	s_load_b64 s[2:3], s[0:1], 0x28
	s_lshl_b64 s[6:7], s[34:35], 2
	s_waitcnt lgkmcnt(0)
	s_add_u32 s2, s2, s6
	s_addc_u32 s3, s3, s7
	s_lshl_b32 s12, s14, 8
	s_load_b32 s24, s[2:3], 0x0
	s_waitcnt lgkmcnt(0)
	s_cmp_ge_i32 s12, s24
	s_cbranch_scc1 .LBB1274_2
; %bb.5:
	s_clause 0x1
	s_load_b128 s[20:23], s[0:1], 0x8
	s_load_b64 s[2:3], s[0:1], 0x20
	s_and_not1_b32 vcc_lo, exec_lo, s8
	s_cbranch_vccnz .LBB1274_7
; %bb.6:
	s_add_u32 s4, s4, s6
	s_addc_u32 s5, s5, s7
	s_load_b32 s5, s[4:5], 0x0
	s_branch .LBB1274_8
.LBB1274_7:
	s_mov_b32 s5, s34
.LBB1274_8:
	s_load_b128 s[16:19], s[0:1], 0x48
	v_and_b32_e32 v68, 15, v0
	v_lshrrev_b32_e32 v69, 5, v0
	v_bfe_u32 v66, v0, 4, 1
	v_and_b32_e32 v70, 31, v0
	v_and_b32_e32 v67, 1, v0
	v_lshlrev_b32_e32 v2, 3, v68
	s_mul_i32 s31, s15, 13
	v_lshl_or_b32 v1, v69, 1, v66
	s_mov_b32 s4, exec_lo
	s_delay_alu instid0(VALU_DEP_2) | instskip(NEXT) | instid1(VALU_DEP_2)
	v_lshlrev_b32_e32 v65, 1, v2
	v_cmpx_gt_u32_e32 13, v1
	s_cbranch_execz .LBB1274_10
; %bb.9:
	s_load_b64 s[6:7], s[0:1], 0x0
	v_add_lshl_u32 v2, v1, s31, 7
	s_waitcnt lgkmcnt(0)
	s_mul_hi_i32 s9, s5, s16
	s_mul_i32 s8, s5, s16
	v_lshlrev_b32_e32 v6, 10, v68
	s_lshl_b64 s[8:9], s[8:9], 1
	v_ashrrev_i32_e32 v3, 31, v2
	v_lshlrev_b32_e32 v1, 6, v1
	v_lshlrev_b32_e32 v7, 10, v67
	v_and_b32_e32 v6, 0x3800, v6
	s_delay_alu instid0(VALU_DEP_4) | instskip(NEXT) | instid1(VALU_DEP_2)
	v_lshlrev_b64 v[2:3], 1, v[2:3]
	v_or3_b32 v1, v6, v7, v1
	s_add_u32 s5, s6, s8
	s_addc_u32 s6, s7, s9
	s_delay_alu instid0(VALU_DEP_2) | instskip(NEXT) | instid1(VALU_DEP_3)
	v_add_co_u32 v2, vcc_lo, s5, v2
	v_add_co_ci_u32_e32 v3, vcc_lo, s6, v3, vcc_lo
	s_delay_alu instid0(VALU_DEP_2) | instskip(NEXT) | instid1(VALU_DEP_2)
	v_add_co_u32 v2, vcc_lo, v2, v65
	v_add_co_ci_u32_e32 v3, vcc_lo, 0, v3, vcc_lo
	global_load_b128 v[2:5], v[2:3], off
	s_waitcnt vmcnt(0)
	ds_store_b128 v1, v[2:5]
.LBB1274_10:
	s_or_b32 exec_lo, exec_lo, s4
	v_and_b32_e32 v1, 0xef, v0
	s_waitcnt lgkmcnt(0)
	s_add_i32 s5, s24, 15
	s_clause 0x1
	s_load_b32 s4, s[0:1], 0x38
	s_load_b32 s33, s[0:1], 0x98
	s_ashr_i32 s6, s5, 31
	v_add_nc_u32_e32 v1, s12, v1
	s_lshr_b32 s6, s6, 28
	s_load_b32 s19, s[0:1], 0x1c
	s_add_i32 s5, s5, s6
	s_waitcnt lgkmcnt(0)
	v_ashrrev_i32_e32 v2, 31, v1
	v_or_b32_e32 v3, 16, v1
	s_ashr_i32 s13, s5, 4
	v_cmp_gt_i32_e32 vcc_lo, s24, v1
	s_add_i32 s13, s13, -1
	v_lshrrev_b32_e32 v2, 28, v2
	s_barrier
	buffer_gl0_inv
	s_mul_i32 s15, s15, s18
	v_add_nc_u32_e32 v4, v1, v2
	s_mul_i32 s4, s34, s4
	s_delay_alu instid0(SALU_CYCLE_1) | instskip(NEXT) | instid1(VALU_DEP_1)
	s_ashr_i32 s5, s4, 31
	v_ashrrev_i32_e32 v4, 4, v4
	v_add_nc_u32_e32 v2, v3, v2
	s_lshl_b64 s[4:5], s[4:5], 2
	s_delay_alu instid0(SALU_CYCLE_1) | instskip(NEXT) | instid1(VALU_DEP_2)
	s_add_u32 s16, s2, s4
	v_cndmask_b32_e32 v1, s13, v4, vcc_lo
	s_delay_alu instid0(VALU_DEP_2)
	v_ashrrev_i32_e32 v2, 4, v2
	v_cmp_gt_i32_e32 vcc_lo, s24, v3
	s_addc_u32 s25, s3, s5
	s_ashr_i32 s18, s15, 31
	s_add_u32 s26, s20, s15
	s_addc_u32 s27, s21, s18
	v_cndmask_b32_e32 v3, s13, v2, vcc_lo
	v_ashrrev_i32_e32 v2, 31, v1
	s_lshl_b32 s2, s14, 4
	s_delay_alu instid0(SALU_CYCLE_1) | instskip(NEXT) | instid1(VALU_DEP_2)
	s_ashr_i32 s3, s2, 31
	v_ashrrev_i32_e32 v4, 31, v3
	s_delay_alu instid0(VALU_DEP_2) | instskip(SKIP_1) | instid1(SALU_CYCLE_1)
	v_lshlrev_b64 v[1:2], 2, v[1:2]
	s_lshl_b64 s[2:3], s[2:3], 2
	s_add_u32 s2, s16, s2
	s_delay_alu instid0(VALU_DEP_2) | instskip(SKIP_1) | instid1(VALU_DEP_2)
	v_lshlrev_b64 v[3:4], 2, v[3:4]
	s_addc_u32 s3, s25, s3
	v_add_co_u32 v1, vcc_lo, s16, v1
	v_add_co_ci_u32_e32 v2, vcc_lo, s25, v2, vcc_lo
	s_delay_alu instid0(VALU_DEP_3) | instskip(NEXT) | instid1(VALU_DEP_4)
	v_add_co_u32 v3, vcc_lo, s16, v3
	v_add_co_ci_u32_e32 v4, vcc_lo, s25, v4, vcc_lo
	s_clause 0x1
	global_load_b32 v5, v[1:2], off
	global_load_b32 v7, v[3:4], off
	s_or_b32 s4, s12, 32
	v_lshlrev_b32_e32 v1, 4, v0
	s_ashr_i32 s5, s4, 4
	s_cmp_lt_i32 s4, s24
	v_cmp_gt_u32_e32 vcc_lo, 13, v68
	s_cselect_b32 s4, s5, s13
	v_and_b32_e32 v1, 0xf0, v1
	s_ashr_i32 s5, s4, 31
	s_delay_alu instid0(SALU_CYCLE_1) | instskip(NEXT) | instid1(SALU_CYCLE_1)
	s_lshl_b64 s[4:5], s[4:5], 2
	s_add_u32 s4, s16, s4
	s_addc_u32 s5, s25, s5
	s_or_b32 s6, s12, 64
	v_add_co_u32 v1, s26, s26, v1
	s_ashr_i32 s7, s6, 4
	s_cmp_lt_i32 s6, s24
	v_add_co_ci_u32_e64 v2, null, s27, 0, s26
	s_cselect_b32 s6, s7, s13
	s_delay_alu instid0(SALU_CYCLE_1) | instskip(NEXT) | instid1(SALU_CYCLE_1)
	s_ashr_i32 s7, s6, 31
	s_lshl_b64 s[6:7], s[6:7], 2
	s_delay_alu instid0(SALU_CYCLE_1) | instskip(SKIP_2) | instid1(SALU_CYCLE_1)
	s_add_u32 s6, s16, s6
	s_addc_u32 s7, s25, s7
	s_or_b32 s8, s12, 0x60
	s_ashr_i32 s9, s8, 4
	s_cmp_lt_i32 s8, s24
	s_cselect_b32 s8, s9, s13
	s_delay_alu instid0(SALU_CYCLE_1) | instskip(NEXT) | instid1(SALU_CYCLE_1)
	s_ashr_i32 s9, s8, 31
	s_lshl_b64 s[8:9], s[8:9], 2
	s_delay_alu instid0(SALU_CYCLE_1) | instskip(SKIP_2) | instid1(SALU_CYCLE_1)
	s_add_u32 s8, s16, s8
	s_addc_u32 s9, s25, s9
	s_or_b32 s10, s12, 0x80
	s_ashr_i32 s11, s10, 4
	s_cmp_lt_i32 s10, s24
	;; [unrolled: 10-line block ×3, first 2 shown]
	s_cselect_b32 s20, s21, s13
	s_delay_alu instid0(SALU_CYCLE_1) | instskip(NEXT) | instid1(SALU_CYCLE_1)
	s_ashr_i32 s21, s20, 31
	s_lshl_b64 s[20:21], s[20:21], 2
	s_delay_alu instid0(SALU_CYCLE_1)
	s_add_u32 s20, s16, s20
	s_addc_u32 s21, s25, s21
	s_clause 0x5
	s_load_b32 s26, s[2:3], 0x0
	s_load_b32 s27, s[4:5], 0x0
	;; [unrolled: 1-line block ×6, first 2 shown]
	s_or_b32 s2, s12, 0xc0
	s_mov_b32 s4, 0
	s_ashr_i32 s3, s2, 4
	s_cmp_lt_i32 s2, s24
	s_mov_b32 s11, s4
	s_cselect_b32 s2, s3, s13
	s_mov_b32 s5, s4
	s_ashr_i32 s3, s2, 31
	s_mov_b32 s6, s4
	s_lshl_b64 s[2:3], s[2:3], 2
	s_mov_b32 s7, s4
	s_add_u32 s2, s16, s2
	s_addc_u32 s3, s25, s3
	s_or_b32 s20, s12, 0xe0
	s_mov_b32 s8, s4
	s_ashr_i32 s21, s20, 4
	s_cmp_lt_i32 s20, s24
	s_mov_b32 s9, s4
	s_cselect_b32 s20, s21, s13
	s_mov_b32 s10, s4
	s_ashr_i32 s21, s20, 31
	v_mov_b32_e32 v118, s11
	v_dual_mov_b32 v112, s5 :: v_dual_mov_b32 v117, s10
	v_dual_mov_b32 v116, s9 :: v_dual_mov_b32 v115, s8
	;; [unrolled: 1-line block ×3, first 2 shown]
	v_mov_b32_e32 v111, s4
	s_lshl_b64 s[4:5], s[20:21], 2
	s_delay_alu instid0(SALU_CYCLE_1)
	s_add_u32 s4, s16, s4
	s_addc_u32 s5, s25, s5
	s_add_u32 s6, s22, s15
	s_addc_u32 s7, s23, s18
	s_waitcnt vmcnt(1)
	v_mad_i64_i32 v[3:4], null, v5, s17, v[1:2]
	s_waitcnt vmcnt(0)
	v_mad_i64_i32 v[5:6], null, v7, s17, v[1:2]
	v_add_nc_u32_e32 v1, -13, v68
	v_lshlrev_b32_e32 v2, 4, v68
	s_clause 0xf
	global_load_b128 v[17:20], v[3:4], off
	global_load_b128 v[21:24], v[3:4], off offset:256
	global_load_b128 v[25:28], v[5:6], off
	global_load_b128 v[29:32], v[5:6], off offset:256
	global_load_b128 v[57:60], v[3:4], off offset:512
	;; [unrolled: 1-line block ×13, first 2 shown]
	v_cndmask_b32_e32 v1, v1, v68, vcc_lo
	s_delay_alu instid0(VALU_DEP_1)
	v_lshlrev_b32_e32 v149, 6, v1
	v_lshl_or_b32 v1, v69, 8, v2
	ds_load_b128 v[119:122], v149
	ds_load_b128 v[123:126], v149 offset:1024
	ds_load_b128 v[127:130], v149 offset:2048
	;; [unrolled: 1-line block ×3, first 2 shown]
	s_clause 0x1
	s_load_b32 s2, s[2:3], 0x0
	s_load_b32 s3, s[4:5], 0x0
	v_add_co_u32 v135, s6, s6, v1
	s_delay_alu instid0(VALU_DEP_1) | instskip(SKIP_1) | instid1(VALU_DEP_1)
	v_add_co_ci_u32_e64 v136, null, s7, 0, s6
	s_waitcnt lgkmcnt(0)
	v_mad_i64_i32 v[1:2], null, s26, s17, v[135:136]
	v_mad_i64_i32 v[3:4], null, s27, s17, v[135:136]
	;; [unrolled: 1-line block ×6, first 2 shown]
	s_clause 0x9
	global_load_b128 v[49:52], v[1:2], off
	global_load_b128 v[53:56], v[1:2], off offset:16
	global_load_b128 v[41:44], v[3:4], off
	global_load_b128 v[45:48], v[3:4], off offset:16
	global_load_b128 v[33:36], v[5:6], off
	global_load_b128 v[37:40], v[5:6], off offset:16
	global_load_b128 v[1:4], v[7:8], off
	global_load_b128 v[5:8], v[7:8], off offset:16
	global_load_b128 v[9:12], v[13:14], off
	global_load_b128 v[13:16], v[13:14], off offset:16
	v_mad_i64_i32 v[145:146], null, s2, s17, v[135:136]
	v_mad_i64_i32 v[147:148], null, s3, s17, v[135:136]
	s_waitcnt vmcnt(24)
	v_wmma_f32_16x16x16_f16 v[135:142], v[17:24], v[119:126], v[111:118]
	s_waitcnt vmcnt(22)
	v_wmma_f32_16x16x16_f16 v[111:118], v[25:32], v[119:126], v[111:118]
	s_clause 0x3
	global_load_b128 v[17:20], v[143:144], off
	global_load_b128 v[21:24], v[143:144], off offset:16
	global_load_b128 v[25:28], v[145:146], off
	global_load_b128 v[29:32], v[145:146], off offset:16
	v_and_b32_e32 v119, 0xe0, v0
	s_waitcnt vmcnt(24)
	v_wmma_f32_16x16x16_f16 v[135:142], v[57:64], v[127:134], v[135:142]
	s_clause 0x1
	global_load_b128 v[57:60], v[147:148], off
	global_load_b128 v[61:64], v[147:148], off offset:16
	s_waitcnt vmcnt(24)
	v_wmma_f32_16x16x16_f16 v[111:118], v[71:78], v[127:134], v[111:118]
	ds_load_b128 v[71:74], v149 offset:4096
	ds_load_b128 v[75:78], v149 offset:5120
	v_add_nc_u32_e32 v128, s12, v119
	ds_load_b128 v[119:122], v149 offset:6144
	ds_load_b128 v[123:126], v149 offset:7168
	v_mbcnt_lo_u32_b32 v127, -1, 0
	s_waitcnt vmcnt(0) lgkmcnt(0)
	s_barrier
	v_or_b32_e32 v128, v128, v66
	buffer_gl0_inv
	v_xor_b32_e32 v129, 16, v127
	v_or_b32_e32 v130, 4, v128
	v_or_b32_e32 v131, 6, v128
	s_delay_alu instid0(VALU_DEP_3) | instskip(SKIP_4) | instid1(VALU_DEP_4)
	v_cmp_gt_i32_e32 vcc_lo, 32, v129
	v_or_b32_e32 v132, 8, v128
	v_or_b32_e32 v133, 10, v128
	v_cmp_gt_i32_e64 s3, s24, v130
	v_cmp_gt_i32_e64 s4, s24, v131
	;; [unrolled: 1-line block ×3, first 2 shown]
	v_wmma_f32_16x16x16_f16 v[135:142], v[79:86], v[71:78], v[135:142]
	v_wmma_f32_16x16x16_f16 v[111:118], v[87:94], v[71:78], v[111:118]
	v_or_b32_e32 v79, 12, v128
	v_or_b32_e32 v80, 14, v128
	v_cmp_gt_i32_e64 s6, s24, v133
	v_wmma_f32_16x16x16_f16 v[135:142], v[95:102], v[119:126], v[135:142]
	v_wmma_f32_16x16x16_f16 v[111:118], v[103:110], v[119:126], v[111:118]
	v_cndmask_b32_e32 v127, v127, v129, vcc_lo
	v_or_b32_e32 v129, 2, v128
	v_cmp_gt_i32_e32 vcc_lo, s24, v128
	v_mul_f32_e32 v88, s19, v135
	v_dual_mul_f32 v92, s19, v115 :: v_dual_mul_f32 v87, s19, v136
	s_delay_alu instid0(VALU_DEP_4)
	v_cmp_gt_i32_e64 s2, s24, v129
	v_mul_f32_e32 v78, s19, v138
	v_mul_f32_e32 v86, s19, v137
	v_cndmask_b32_e32 v88, 0xff7fffff, v88, vcc_lo
	v_mul_f32_e32 v76, s19, v140
	v_cndmask_b32_e64 v87, 0xff7fffff, v87, s2
	v_dual_mul_f32 v77, s19, v139 :: v_dual_mul_f32 v94, s19, v113
	v_cndmask_b32_e64 v86, 0xff7fffff, v86, s3
	v_cndmask_b32_e64 v78, 0xff7fffff, v78, s4
	s_delay_alu instid0(VALU_DEP_4)
	v_max3_f32 v87, v88, 0xff7fffff, v87
	v_or_b32_e32 v81, 16, v128
	v_or_b32_e32 v82, 18, v128
	v_dual_mul_f32 v74, s19, v142 :: v_dual_mul_f32 v75, s19, v141
	v_mul_f32_e32 v96, s19, v111
	v_cndmask_b32_e64 v77, 0xff7fffff, v77, s5
	v_cndmask_b32_e64 v76, 0xff7fffff, v76, s6
	v_max3_f32 v78, v87, v86, v78
	v_cmp_gt_i32_e64 s7, s24, v79
	v_cmp_gt_i32_e64 s8, s24, v80
	v_or_b32_e32 v83, 20, v128
	v_or_b32_e32 v84, 22, v128
	v_mul_f32_e32 v95, s19, v112
	v_cndmask_b32_e64 v75, 0xff7fffff, v75, s7
	v_cndmask_b32_e64 v74, 0xff7fffff, v74, s8
	v_max3_f32 v76, v78, v77, v76
	v_cmp_gt_i32_e64 s9, s24, v81
	v_cmp_gt_i32_e64 s10, s24, v82
	v_or_b32_e32 v85, 24, v128
	v_or_b32_e32 v71, 26, v128
	;; [unrolled: 8-line block ×3, first 2 shown]
	v_mul_f32_e32 v91, s19, v116
	v_cndmask_b32_e64 v75, 0xff7fffff, v94, s11
	v_cndmask_b32_e64 v76, 0xff7fffff, v93, s12
	v_max3_f32 v74, v74, v77, v78
	v_cmp_gt_i32_e64 s13, s24, v85
	v_cmp_gt_i32_e64 s15, s24, v71
	v_dual_mul_f32 v89, s19, v118 :: v_dual_mul_f32 v90, s19, v117
	s_delay_alu instid0(VALU_DEP_4) | instskip(NEXT) | instid1(VALU_DEP_4)
	v_max3_f32 v74, v74, v75, v76
	v_cndmask_b32_e64 v77, 0xff7fffff, v92, s13
	s_delay_alu instid0(VALU_DEP_4) | instskip(SKIP_2) | instid1(VALU_DEP_3)
	v_cndmask_b32_e64 v71, 0xff7fffff, v91, s15
	v_cmp_gt_i32_e64 s16, s24, v72
	v_cmp_gt_i32_e64 s17, s24, v73
	v_max3_f32 v71, v74, v77, v71
	s_delay_alu instid0(VALU_DEP_3) | instskip(NEXT) | instid1(VALU_DEP_3)
	v_cndmask_b32_e64 v72, 0xff7fffff, v90, s16
	v_cndmask_b32_e64 v73, 0xff7fffff, v89, s17
	v_lshlrev_b32_e32 v74, 2, v127
	s_delay_alu instid0(VALU_DEP_2) | instskip(SKIP_3) | instid1(VALU_DEP_1)
	v_max3_f32 v71, v71, v72, v73
	ds_bpermute_b32 v72, v74, v71
	s_waitcnt lgkmcnt(0)
	v_max_f32_e32 v72, v72, v72
	v_max_f32_e32 v71, v71, v72
	s_delay_alu instid0(VALU_DEP_1) | instskip(SKIP_4) | instid1(VALU_DEP_4)
	v_fma_f32 v72, s19, v135, -v71
	v_fma_f32 v73, s19, v136, -v71
	;; [unrolled: 1-line block ×5, first 2 shown]
	v_dual_mul_f32 v72, 0x3fb8aa3b, v72 :: v_dual_mul_f32 v73, 0x3fb8aa3b, v73
	v_fma_f32 v80, s19, v141, -v71
	s_delay_alu instid0(VALU_DEP_3) | instskip(NEXT) | instid1(VALU_DEP_3)
	v_dual_mul_f32 v76, 0x3fb8aa3b, v76 :: v_dual_mul_f32 v77, 0x3fb8aa3b, v77
	v_exp_f32_e32 v72, v72
	s_delay_alu instid0(VALU_DEP_3) | instskip(NEXT) | instid1(VALU_DEP_2)
	v_exp_f32_e32 v73, v73
	v_mul_f32_e32 v82, 0x3fb8aa3b, v80
	s_delay_alu instid0(VALU_DEP_2) | instskip(SKIP_1) | instid1(VALU_DEP_1)
	v_exp_f32_e32 v76, v76
	v_exp_f32_e32 v77, v77
	;; [unrolled: 1-line block ×3, first 2 shown]
	v_cndmask_b32_e32 v79, 0, v72, vcc_lo
	v_fma_f32 v72, s19, v140, -v71
	v_mul_f32_e32 v75, 0x3fb8aa3b, v75
	v_cndmask_b32_e64 v78, 0, v73, s2
	s_delay_alu instid0(TRANS32_DEP_3) | instskip(NEXT) | instid1(VALU_DEP_4)
	v_cndmask_b32_e64 v80, 0, v76, s4
	v_dual_add_f32 v73, 0, v79 :: v_dual_mul_f32 v72, 0x3fb8aa3b, v72
	s_delay_alu instid0(VALU_DEP_4) | instskip(NEXT) | instid1(TRANS32_DEP_3)
	v_exp_f32_e32 v75, v75
	v_cndmask_b32_e64 v83, 0, v77, s5
	s_delay_alu instid0(TRANS32_DEP_2) | instskip(NEXT) | instid1(VALU_DEP_3)
	v_cndmask_b32_e64 v85, 0, v84, s7
	v_add_f32_e32 v73, v73, v78
	v_exp_f32_e32 v72, v72
	v_cmp_gt_u32_e64 s2, 16, v70
	s_waitcnt_depctr 0xfff
	v_cndmask_b32_e64 v81, 0, v75, s3
	v_cndmask_b32_e64 v82, 0, v72, s6
	s_delay_alu instid0(VALU_DEP_2) | instskip(NEXT) | instid1(VALU_DEP_1)
	v_add_f32_e32 v73, v73, v81
	v_add_f32_e32 v73, v73, v80
	s_delay_alu instid0(VALU_DEP_1) | instskip(NEXT) | instid1(VALU_DEP_1)
	v_add_f32_e32 v72, v73, v83
	v_add_f32_e32 v72, v72, v82
	s_delay_alu instid0(VALU_DEP_1)
	v_add_f32_e32 v72, v72, v85
	v_fma_f32 v76, s19, v111, -v71
	v_fma_f32 v75, s19, v142, -v71
	;; [unrolled: 1-line block ×5, first 2 shown]
	v_mul_f32_e32 v76, 0x3fb8aa3b, v76
	s_delay_alu instid0(VALU_DEP_4) | instskip(NEXT) | instid1(VALU_DEP_2)
	v_mul_f32_e32 v86, 0x3fb8aa3b, v86
	v_exp_f32_e32 v76, v76
	s_delay_alu instid0(VALU_DEP_1)
	v_exp_f32_e32 v88, v86
	s_waitcnt_depctr 0xfff
	v_cndmask_b32_e64 v87, 0, v76, s9
	v_fma_f32 v76, s19, v116, -v71
	v_mul_f32_e32 v75, 0x3fb8aa3b, v75
	v_cndmask_b32_e64 v88, 0, v88, s12
	s_delay_alu instid0(VALU_DEP_3) | instskip(NEXT) | instid1(VALU_DEP_3)
	v_dual_mul_f32 v73, 0x3fb8aa3b, v73 :: v_dual_mul_f32 v76, 0x3fb8aa3b, v76
	v_exp_f32_e32 v75, v75
	s_delay_alu instid0(VALU_DEP_1) | instskip(NEXT) | instid1(VALU_DEP_1)
	v_exp_f32_e32 v73, v73
	v_exp_f32_e32 v76, v76
	s_delay_alu instid0(TRANS32_DEP_3)
	v_cndmask_b32_e64 v84, 0, v75, s8
	v_fma_f32 v75, s19, v115, -v71
	s_waitcnt_depctr 0xfff
	v_cndmask_b32_e64 v89, 0, v73, s11
	v_cndmask_b32_e64 v90, 0, v76, s15
	v_add_f32_e32 v72, v72, v84
	s_delay_alu instid0(VALU_DEP_1) | instskip(NEXT) | instid1(VALU_DEP_1)
	v_dual_add_f32 v72, v72, v87 :: v_dual_mul_f32 v77, 0x3fb8aa3b, v77
	v_exp_f32_e32 v77, v77
	s_waitcnt_depctr 0xfff
	v_cndmask_b32_e64 v86, 0, v77, s10
	v_fma_f32 v77, s19, v117, -v71
	s_delay_alu instid0(VALU_DEP_2) | instskip(NEXT) | instid1(VALU_DEP_1)
	v_dual_add_f32 v72, v72, v86 :: v_dual_mul_f32 v75, 0x3fb8aa3b, v75
	v_add_f32_e32 v72, v72, v89
	s_delay_alu instid0(VALU_DEP_2) | instskip(NEXT) | instid1(VALU_DEP_1)
	v_exp_f32_e32 v75, v75
	v_add_f32_e32 v72, v72, v88
	s_waitcnt_depctr 0xfff
	v_cndmask_b32_e64 v91, 0, v75, s13
	v_mul_f32_e32 v73, 0x3fb8aa3b, v77
	v_fma_f32 v77, s19, v118, -v71
	s_delay_alu instid0(VALU_DEP_3) | instskip(NEXT) | instid1(VALU_DEP_3)
	v_add_f32_e32 v72, v72, v91
	v_exp_f32_e32 v73, v73
	s_delay_alu instid0(VALU_DEP_1) | instskip(NEXT) | instid1(VALU_DEP_1)
	v_dual_mul_f32 v75, 0x3fb8aa3b, v77 :: v_dual_add_f32 v72, v72, v90
	v_exp_f32_e32 v75, v75
	s_waitcnt_depctr 0xfff
	v_cndmask_b32_e64 v93, 0, v73, s16
	s_delay_alu instid0(VALU_DEP_1) | instskip(SKIP_1) | instid1(VALU_DEP_1)
	v_add_f32_e32 v72, v72, v93
	v_cndmask_b32_e64 v92, 0, v75, s17
	v_add_f32_e32 v72, v72, v92
	ds_bpermute_b32 v73, v74, v72
	s_and_saveexec_b32 s3, s2
	s_cbranch_execz .LBB1274_12
; %bb.11:
	v_mul_u32_u24_e32 v70, 0x44, v69
	s_waitcnt lgkmcnt(0)
	v_add_f32_e32 v72, v72, v73
	s_delay_alu instid0(VALU_DEP_2) | instskip(NEXT) | instid1(VALU_DEP_1)
	v_lshl_add_u32 v70, v68, 2, v70
	v_add_nc_u32_e32 v70, 0x4000, v70
	ds_store_2addr_b32 v70, v71, v72 offset1:136
.LBB1274_12:
	s_or_b32 exec_lo, exec_lo, s3
	v_lshlrev_b32_e32 v70, 2, v68
	s_load_b32 s35, s[0:1], 0x94
	s_waitcnt lgkmcnt(0)
	s_barrier
	buffer_gl0_inv
	v_add_nc_u32_e32 v98, 0x4000, v70
	v_cmp_eq_u32_e32 vcc_lo, 1, v69
	v_cmp_eq_u32_e64 s3, 2, v69
	v_cmp_eq_u32_e64 s4, 3, v69
	;; [unrolled: 1-line block ×3, first 2 shown]
	ds_load_2addr_b32 v[70:71], v98 offset1:17
	ds_load_2addr_b32 v[72:73], v98 offset0:34 offset1:51
	ds_load_2addr_b32 v[74:75], v98 offset0:68 offset1:85
	;; [unrolled: 1-line block ×3, first 2 shown]
	v_cmp_eq_u32_e64 s6, 5, v69
	v_cmp_eq_u32_e64 s7, 7, v69
	s_waitcnt lgkmcnt(3)
	v_max3_f32 v76, v70, 0xff7fffff, v71
	s_waitcnt lgkmcnt(2)
	s_delay_alu instid0(VALU_DEP_1) | instskip(SKIP_1) | instid1(VALU_DEP_1)
	v_max3_f32 v76, v76, v72, v73
	s_waitcnt lgkmcnt(1)
	v_max3_f32 v76, v76, v74, v75
	s_waitcnt lgkmcnt(0)
	s_delay_alu instid0(VALU_DEP_1) | instskip(NEXT) | instid1(VALU_DEP_1)
	v_max3_f32 v76, v76, v94, v95
	v_sub_f32_e32 v77, v71, v76
	ds_load_2addr_b32 v[96:97], v98 offset0:136 offset1:153
	v_sub_f32_e32 v74, v74, v76
	v_sub_f32_e32 v70, v70, v76
	;; [unrolled: 1-line block ×3, first 2 shown]
	v_dual_sub_f32 v72, v72, v76 :: v_dual_mul_f32 v77, 0x3fb8aa3b, v77
	s_delay_alu instid0(VALU_DEP_4) | instskip(NEXT) | instid1(VALU_DEP_4)
	v_mul_f32_e32 v103, 0x3fb8aa3b, v74
	v_mul_f32_e32 v99, 0x3fb8aa3b, v70
	ds_load_2addr_b32 v[70:71], v98 offset0:170 offset1:187
	v_dual_mul_f32 v101, 0x3fb8aa3b, v72 :: v_dual_mul_f32 v94, 0x3fb8aa3b, v94
	v_exp_f32_e32 v102, v77
	v_exp_f32_e32 v99, v99
	s_delay_alu instid0(VALU_DEP_1) | instskip(NEXT) | instid1(VALU_DEP_1)
	v_exp_f32_e32 v101, v101
	v_exp_f32_e32 v94, v94
	s_waitcnt lgkmcnt(1)
	s_delay_alu instid0(TRANS32_DEP_3)
	v_fma_f32 v77, v99, v96, 0
	v_sub_f32_e32 v100, v73, v76
	ds_load_2addr_b32 v[72:73], v98 offset0:204 offset1:221
	v_fmac_f32_e32 v77, v102, v97
	v_exp_f32_e32 v97, v103
	s_waitcnt lgkmcnt(1)
	s_delay_alu instid0(VALU_DEP_1)
	v_dual_fmac_f32 v77, v101, v70 :: v_dual_sub_f32 v96, v75, v76
	ds_load_2addr_b32 v[74:75], v98 offset0:238 offset1:255
	v_sub_f32_e32 v70, v95, v76
	s_waitcnt lgkmcnt(0)
	s_barrier
	v_mul_f32_e32 v96, 0x3fb8aa3b, v96
	buffer_gl0_inv
	v_exp_f32_e32 v95, v96
	v_mul_f32_e32 v100, 0x3fb8aa3b, v100
	s_delay_alu instid0(VALU_DEP_1) | instskip(SKIP_3) | instid1(VALU_DEP_2)
	v_exp_f32_e32 v100, v100
	s_waitcnt_depctr 0xfff
	v_dual_fmac_f32 v77, v100, v71 :: v_dual_mul_f32 v70, 0x3fb8aa3b, v70
	v_cndmask_b32_e32 v71, v99, v102, vcc_lo
	v_fmac_f32_e32 v77, v97, v72
	s_delay_alu instid0(VALU_DEP_3) | instskip(NEXT) | instid1(VALU_DEP_1)
	v_exp_f32_e32 v96, v70
	v_fmac_f32_e32 v77, v95, v73
	s_delay_alu instid0(VALU_DEP_1) | instskip(SKIP_2) | instid1(VALU_DEP_1)
	v_fmac_f32_e32 v77, v94, v74
	s_waitcnt_depctr 0xfff
	v_fmac_f32_e32 v77, v96, v75
	v_add_f32_e32 v74, 0x358637bd, v77
	s_delay_alu instid0(VALU_DEP_1) | instskip(SKIP_1) | instid1(VALU_DEP_2)
	v_div_scale_f32 v98, null, v74, v74, 1.0
	v_div_scale_f32 v99, vcc_lo, 1.0, v74, 1.0
	v_rcp_f32_e32 v103, v98
	s_waitcnt_depctr 0xfff
	v_fma_f32 v70, -v98, v103, 1.0
	s_delay_alu instid0(VALU_DEP_1) | instskip(SKIP_2) | instid1(VALU_DEP_2)
	v_fmac_f32_e32 v103, v70, v103
	v_cndmask_b32_e64 v70, v71, v101, s3
	v_cmp_eq_u32_e64 s3, 6, v69
	v_cndmask_b32_e64 v71, v70, v100, s4
	s_delay_alu instid0(VALU_DEP_4) | instskip(NEXT) | instid1(VALU_DEP_2)
	v_dual_mul_f32 v101, v99, v103 :: v_dual_lshlrev_b32 v70, 2, v66
	v_cndmask_b32_e64 v71, v71, v97, s5
	s_delay_alu instid0(VALU_DEP_2) | instskip(NEXT) | instid1(VALU_DEP_3)
	v_or_b32_e32 v72, 1, v70
	v_fma_f32 v100, -v98, v101, v99
	v_cmp_eq_u32_e64 s4, 1, v70
	v_cmp_eq_u32_e64 s5, 2, v70
	v_cndmask_b32_e64 v95, v71, v95, s6
	v_or_b32_e32 v71, 3, v70
	v_fmac_f32_e32 v101, v100, v103
	v_cmp_eq_u32_e64 s9, 1, v72
	v_cmp_eq_u32_e64 s12, 2, v72
	v_cndmask_b32_e64 v94, v95, v94, s3
	v_cmp_eq_u32_e64 s11, 1, v71
	v_fma_f32 v97, -v98, v101, v99
	v_cmp_eq_u32_e64 s16, 2, v71
	v_cmp_eq_u32_e64 s13, 3, v72
	v_cndmask_b32_e64 v94, v94, v96, s7
	v_cmp_eq_u32_e64 s18, 3, v71
	v_div_fmas_f32 v95, v97, v103, v101
	v_cmp_eq_u32_e32 vcc_lo, 3, v70
	v_cmp_eq_u32_e64 s3, 4, v70
	v_cmp_eq_u32_e64 s19, 4, v72
	v_cmp_eq_u32_e64 s22, 4, v71
	v_div_fixup_f32 v95, v95, v74, 1.0
	v_lshlrev_b32_e32 v73, 6, v68
	v_cmp_eq_u32_e64 s6, 5, v70
	v_cmp_eq_u32_e64 s20, 5, v72
	v_cmp_eq_u32_e64 s24, 5, v71
	v_mul_f32_e32 v102, v94, v95
	v_lshl_or_b32 v75, v69, 11, v73
	v_or_b32_e32 v69, 2, v70
	v_cmp_eq_u32_e64 s25, 6, v72
	v_cmp_eq_u32_e64 s27, 6, v71
	v_fma_mixlo_f16 v94, v102, v79, 0
	v_fma_mixlo_f16 v95, v102, v81, 0
	;; [unrolled: 1-line block ×8, first 2 shown]
	v_lshl_or_b32 v74, v66, 4, v75
	v_fma_mixhi_f16 v94, v102, v78, 0
	v_fma_mixhi_f16 v95, v102, v80, 0
	;; [unrolled: 1-line block ×8, first 2 shown]
	ds_store_b128 v74, v[94:97]
	ds_store_b128 v74, v[98:101] offset:1024
	s_waitcnt lgkmcnt(0)
	s_barrier
	buffer_gl0_inv
	ds_load_b128 v[78:81], v75
	ds_load_b128 v[82:85], v75 offset:16
	ds_load_b128 v[86:89], v75 offset:1024
	;; [unrolled: 1-line block ×3, first 2 shown]
	v_cmp_eq_u32_e64 s10, 1, v69
	v_cmp_eq_u32_e64 s15, 2, v69
	;; [unrolled: 1-line block ×11, first 2 shown]
	s_waitcnt lgkmcnt(3)
	v_lshrrev_b32_e32 v94, 16, v78
	s_waitcnt lgkmcnt(2)
	v_lshrrev_b32_e32 v98, 16, v82
	;; [unrolled: 2-line block ×4, first 2 shown]
	v_lshrrev_b32_e32 v95, 16, v79
	v_cndmask_b32_e64 v110, v78, v94, s4
	v_cndmask_b32_e64 v111, v82, v98, s4
	;; [unrolled: 1-line block ×8, first 2 shown]
	v_lshrrev_b32_e32 v99, 16, v83
	v_cndmask_b32_e64 v94, v86, v102, s4
	v_cndmask_b32_e64 v98, v90, v106, s4
	v_cndmask_b32_e64 v116, v86, v102, s9
	v_cndmask_b32_e64 v117, v90, v106, s9
	v_cndmask_b32_e64 v118, v86, v102, s10
	v_cndmask_b32_e64 v119, v90, v106, s10
	v_cndmask_b32_e64 v86, v86, v102, s11
	v_cndmask_b32_e64 v90, v90, v106, s11
	v_cndmask_b32_e64 v102, v110, v79, s5
	v_cndmask_b32_e64 v106, v111, v83, s5
	v_cndmask_b32_e64 v110, v112, v79, s12
	v_cndmask_b32_e64 v111, v113, v83, s12
	v_cndmask_b32_e64 v112, v114, v79, s15
	v_cndmask_b32_e64 v78, v78, v79, s16
	v_cndmask_b32_e64 v79, v82, v83, s16
	v_lshrrev_b32_e32 v103, 16, v87
	v_lshrrev_b32_e32 v107, 16, v91
	v_cndmask_b32_e64 v113, v115, v83, s15
	v_cndmask_b32_e64 v82, v94, v87, s5
	;; [unrolled: 1-line block ×7, first 2 shown]
	v_cndmask_b32_e32 v90, v102, v95, vcc_lo
	v_cndmask_b32_e32 v102, v106, v99, vcc_lo
	v_cndmask_b32_e64 v106, v110, v95, s13
	v_cndmask_b32_e64 v110, v111, v99, s13
	;; [unrolled: 1-line block ×4, first 2 shown]
	v_lshrrev_b32_e32 v96, 16, v80
	v_lshrrev_b32_e32 v100, 16, v84
	v_cndmask_b32_e64 v111, v112, v95, s17
	v_cndmask_b32_e64 v112, v113, v99, s17
	v_cndmask_b32_e32 v82, v82, v103, vcc_lo
	v_cndmask_b32_e32 v83, v83, v107, vcc_lo
	v_cndmask_b32_e64 v94, v94, v103, s13
	v_cndmask_b32_e64 v90, v90, v80, s3
	;; [unrolled: 1-line block ×7, first 2 shown]
	v_lshrrev_b32_e32 v104, 16, v88
	v_cndmask_b32_e64 v106, v111, v80, s21
	v_cndmask_b32_e64 v110, v112, v84, s21
	;; [unrolled: 1-line block ×11, first 2 shown]
	v_lshrrev_b32_e32 v97, 16, v81
	v_lshrrev_b32_e32 v101, 16, v85
	v_cndmask_b32_e64 v99, v106, v96, s23
	v_cndmask_b32_e64 v102, v110, v100, s23
	;; [unrolled: 1-line block ×7, first 2 shown]
	v_lshrrev_b32_e32 v105, 16, v89
	v_cndmask_b32_e64 v80, v80, v104, s6
	v_cndmask_b32_e64 v84, v84, v81, s7
	;; [unrolled: 1-line block ×16, first 2 shown]
	v_perm_b32 v81, v79, v78, 0x5040100
	v_perm_b32 v79, v95, v85, 0x5040100
	v_cndmask_b32_e64 v78, v119, v91, s15
	v_cndmask_b32_e64 v85, v117, v91, s12
	;; [unrolled: 1-line block ×3, first 2 shown]
	v_perm_b32 v80, v94, v90, 0x5040100
	v_cndmask_b32_e64 v90, v98, v103, s17
	v_cndmask_b32_e64 v86, v86, v103, s18
	;; [unrolled: 1-line block ×5, first 2 shown]
	v_lshrrev_b32_e32 v108, 16, v92
	v_cndmask_b32_e64 v90, v90, v88, s21
	v_cndmask_b32_e64 v86, v86, v88, s22
	;; [unrolled: 1-line block ×11, first 2 shown]
	v_lshrrev_b32_e32 v109, 16, v93
	v_cndmask_b32_e64 v82, v82, v93, s7
	v_cndmask_b32_e64 v88, v88, v89, s26
	;; [unrolled: 1-line block ×12, first 2 shown]
	v_perm_b32 v78, v84, v83, 0x5040100
	v_perm_b32 v85, v87, v86, 0x5040100
	;; [unrolled: 1-line block ×5, first 2 shown]
	s_mul_i32 s8, s33, 13
	s_mov_b32 s3, exec_lo
	ds_store_b128 v74, v[78:81]
	ds_store_b128 v74, v[82:85] offset:1024
	v_cmpx_gt_u32_e32 13, v0
	s_cbranch_execz .LBB1274_14
; %bb.13:
	s_mul_i32 s4, s8, s34
	s_delay_alu instid0(SALU_CYCLE_1) | instskip(SKIP_1) | instid1(VALU_DEP_1)
	v_add3_u32 v68, s4, s31, v68
	s_load_b128 s[4:7], s[0:1], 0x58
	v_mad_u64_u32 v[78:79], null, v68, s35, s[14:15]
	s_delay_alu instid0(VALU_DEP_1) | instskip(NEXT) | instid1(VALU_DEP_1)
	v_ashrrev_i32_e32 v79, 31, v78
	v_lshlrev_b64 v[78:79], 2, v[78:79]
	s_waitcnt lgkmcnt(0)
	s_delay_alu instid0(VALU_DEP_1) | instskip(NEXT) | instid1(VALU_DEP_2)
	v_add_co_u32 v80, vcc_lo, s6, v78
	v_add_co_ci_u32_e32 v81, vcc_lo, s7, v79, vcc_lo
	v_add_co_u32 v78, vcc_lo, s4, v78
	v_add_co_ci_u32_e32 v79, vcc_lo, s5, v79, vcc_lo
	global_store_b32 v[80:81], v76, off
	global_store_b32 v[78:79], v77, off
.LBB1274_14:
	s_or_b32 exec_lo, exec_lo, s3
	s_waitcnt lgkmcnt(0)
	s_waitcnt_vscnt null, 0x0
	s_barrier
	buffer_gl0_inv
	ds_load_b128 v[84:87], v73
	ds_load_b128 v[88:91], v73 offset:16
	ds_load_b128 v[96:99], v73 offset:2064
	ds_load_b128 v[92:95], v73 offset:2048
	ds_load_b128 v[104:107], v73 offset:4112
	ds_load_b128 v[100:103], v73 offset:4096
	v_cmp_eq_u32_e32 vcc_lo, 1, v70
	v_mov_b32_e32 v76, 0
	ds_load_b128 v[112:115], v73 offset:6160
	ds_load_b128 v[108:111], v73 offset:6144
	;; [unrolled: 1-line block ×4, first 2 shown]
	v_cmp_eq_u32_e64 s4, 1, v69
	v_cmp_eq_u32_e64 s3, 1, v72
	v_cmp_eq_u32_e64 s5, 2, v72
	v_mov_b32_e32 v77, v76
	v_mov_b32_e32 v78, v76
	;; [unrolled: 1-line block ×7, first 2 shown]
	v_cmp_eq_u32_e64 s6, 3, v72
	v_cmp_eq_u32_e64 s7, 7, v72
	s_waitcnt lgkmcnt(8)
	s_delay_alu instid0(VALU_DEP_3)
	v_wmma_f32_16x16x16_f16 v[76:83], v[49:56], v[84:91], v[76:83]
	ds_load_b128 v[53:56], v73 offset:10256
	ds_load_b128 v[49:52], v73 offset:10240
	s_waitcnt lgkmcnt(8)
	v_wmma_f32_16x16x16_f16 v[76:83], v[41:48], v[92:99], v[76:83]
	ds_load_b128 v[45:48], v73 offset:12304
	ds_load_b128 v[41:44], v73 offset:12288
	s_waitcnt lgkmcnt(8)
	;; [unrolled: 4-line block ×3, first 2 shown]
	s_barrier
	buffer_gl0_inv
	v_wmma_f32_16x16x16_f16 v[76:83], v[1:8], v[108:115], v[76:83]
	s_delay_alu instid0(VALU_DEP_1) | instskip(NEXT) | instid1(VALU_DEP_1)
	v_wmma_f32_16x16x16_f16 v[76:83], v[9:16], v[116:123], v[76:83]
	v_wmma_f32_16x16x16_f16 v[76:83], v[17:24], v[49:56], v[76:83]
	s_delay_alu instid0(VALU_DEP_1) | instskip(NEXT) | instid1(VALU_DEP_1)
	v_wmma_f32_16x16x16_f16 v[76:83], v[25:32], v[41:48], v[76:83]
	v_wmma_f32_16x16x16_f16 v[76:83], v[57:64], v[33:40], v[76:83]
	s_delay_alu instid0(VALU_DEP_1) | instskip(NEXT) | instid1(VALU_DEP_2)
	v_cvt_f16_f32_e32 v1, v76
	v_cvt_f16_f32_e32 v2, v77
	s_delay_alu instid0(VALU_DEP_3) | instskip(NEXT) | instid1(VALU_DEP_4)
	v_cvt_f16_f32_e32 v3, v78
	v_cvt_f16_f32_e32 v4, v79
	;; [unrolled: 1-line block ×6, first 2 shown]
	v_pack_b32_f16 v1, v1, v2
	v_pack_b32_f16 v2, v3, v4
	;; [unrolled: 1-line block ×3, first 2 shown]
	s_delay_alu instid0(VALU_DEP_4)
	v_pack_b32_f16 v4, v7, v8
	ds_store_b128 v74, v[1:4]
	s_waitcnt lgkmcnt(0)
	s_barrier
	buffer_gl0_inv
	ds_load_b128 v[1:4], v75
	ds_load_b128 v[5:8], v75 offset:16
	s_waitcnt lgkmcnt(1)
	v_lshrrev_b32_e32 v9, 16, v1
	s_waitcnt lgkmcnt(0)
	v_lshrrev_b32_e32 v13, 16, v5
	v_lshrrev_b32_e32 v10, 16, v2
	;; [unrolled: 1-line block ×4, first 2 shown]
	v_cndmask_b32_e32 v17, v1, v9, vcc_lo
	v_cndmask_b32_e32 v18, v5, v13, vcc_lo
	v_cndmask_b32_e64 v21, v1, v9, s4
	v_cmp_eq_u32_e32 vcc_lo, 1, v71
	v_cndmask_b32_e64 v22, v5, v13, s4
	v_cmp_eq_u32_e64 s4, 2, v70
	v_cndmask_b32_e64 v19, v1, v9, s3
	v_cndmask_b32_e64 v20, v5, v13, s3
	v_cndmask_b32_e32 v1, v1, v9, vcc_lo
	v_cmp_eq_u32_e64 s3, 2, v71
	v_cndmask_b32_e32 v5, v5, v13, vcc_lo
	v_cndmask_b32_e64 v9, v17, v2, s4
	v_cmp_eq_u32_e32 vcc_lo, 3, v70
	v_cndmask_b32_e64 v13, v18, v6, s4
	v_cmp_eq_u32_e64 s4, 2, v69
	v_cndmask_b32_e64 v17, v19, v2, s5
	v_cndmask_b32_e64 v18, v20, v6, s5
	v_cmp_eq_u32_e64 s5, 3, v69
	v_cndmask_b32_e64 v1, v1, v2, s3
	v_cndmask_b32_e64 v19, v21, v2, s4
	;; [unrolled: 1-line block ×4, first 2 shown]
	v_cndmask_b32_e32 v5, v9, v10, vcc_lo
	v_cndmask_b32_e32 v6, v13, v14, vcc_lo
	v_cmp_eq_u32_e32 vcc_lo, 3, v71
	v_cndmask_b32_e64 v9, v17, v10, s6
	v_cndmask_b32_e64 v13, v18, v14, s6
	;; [unrolled: 1-line block ×3, first 2 shown]
	v_cmp_eq_u32_e64 s4, 4, v70
	v_cndmask_b32_e32 v1, v1, v10, vcc_lo
	v_cndmask_b32_e32 v2, v2, v14, vcc_lo
	v_cmp_eq_u32_e32 vcc_lo, 4, v72
	v_lshrrev_b32_e32 v15, 16, v7
	v_lshrrev_b32_e32 v16, 16, v8
	v_cndmask_b32_e64 v17, v19, v10, s5
	v_cmp_eq_u32_e64 s3, 4, v71
	v_cndmask_b32_e64 v5, v5, v3, s4
	v_cndmask_b32_e64 v6, v6, v7, s4
	v_cndmask_b32_e32 v9, v9, v3, vcc_lo
	v_cmp_eq_u32_e64 s4, 5, v72
	v_cndmask_b32_e32 v10, v13, v7, vcc_lo
	v_cmp_eq_u32_e32 vcc_lo, 4, v69
	v_cmp_eq_u32_e64 s5, 5, v70
	v_cndmask_b32_e64 v2, v2, v7, s3
	v_cndmask_b32_e64 v9, v9, v11, s4
	;; [unrolled: 1-line block ×3, first 2 shown]
	v_cndmask_b32_e32 v13, v17, v3, vcc_lo
	v_cmp_eq_u32_e64 s4, 5, v69
	v_cndmask_b32_e32 v14, v18, v7, vcc_lo
	v_cndmask_b32_e64 v1, v1, v3, s3
	v_cmp_eq_u32_e32 vcc_lo, 5, v71
	v_lshrrev_b32_e32 v12, 16, v4
	v_cndmask_b32_e64 v13, v13, v11, s4
	v_cndmask_b32_e64 v3, v14, v15, s4
	v_cmp_eq_u32_e64 s4, 6, v71
	v_cndmask_b32_e32 v1, v1, v11, vcc_lo
	v_cndmask_b32_e64 v5, v5, v11, s5
	v_cmp_eq_u32_e64 s6, 6, v70
	v_cndmask_b32_e64 v6, v6, v15, s5
	v_cmp_eq_u32_e64 s5, 6, v72
	v_cmp_eq_u32_e64 s3, 6, v69
	v_cndmask_b32_e64 v1, v1, v4, s4
	v_cndmask_b32_e32 v2, v2, v15, vcc_lo
	v_cmp_eq_u32_e32 vcc_lo, 7, v71
	v_cndmask_b32_e64 v5, v5, v4, s6
	v_cndmask_b32_e64 v9, v9, v4, s5
	;; [unrolled: 1-line block ×3, first 2 shown]
	v_cmp_eq_u32_e64 s6, 7, v70
	v_cndmask_b32_e32 v1, v1, v12, vcc_lo
	v_cndmask_b32_e64 v7, v13, v4, s3
	v_cndmask_b32_e64 v3, v3, v8, s3
	;; [unrolled: 1-line block ×3, first 2 shown]
	v_cmp_eq_u32_e64 s3, 7, v69
	v_cndmask_b32_e64 v4, v10, v8, s5
	v_cndmask_b32_e64 v5, v5, v12, s6
	;; [unrolled: 1-line block ×3, first 2 shown]
	v_cndmask_b32_e32 v2, v2, v16, vcc_lo
	v_cndmask_b32_e64 v7, v7, v12, s3
	v_cndmask_b32_e64 v3, v3, v16, s3
	;; [unrolled: 1-line block ×4, first 2 shown]
	v_perm_b32 v4, v2, v1, 0x5040100
	s_mov_b32 s3, exec_lo
	v_perm_b32 v3, v3, v7, 0x5040100
	v_perm_b32 v2, v8, v9, 0x5040100
	;; [unrolled: 1-line block ×3, first 2 shown]
	ds_store_b128 v74, v[1:4]
	s_waitcnt lgkmcnt(0)
	s_barrier
	buffer_gl0_inv
	v_cmpx_gt_u32_e32 32, v0
	s_cbranch_execz .LBB1274_2
; %bb.15:
	s_load_b64 s[4:5], s[0:1], 0x68
	v_lshlrev_b32_e32 v0, 10, v0
	v_lshlrev_b32_e32 v1, 4, v67
	s_lshl_b32 s0, s35, 7
	v_add_nc_u32_e32 v18, s31, v66
	s_mul_i32 s1, s0, s34
	s_delay_alu instid0(VALU_DEP_2) | instskip(SKIP_1) | instid1(VALU_DEP_2)
	v_and_or_b32 v0, 0x3800, v0, v1
	s_mul_i32 s6, s1, s8
	v_mul_lo_u32 v1, v18, s0
	s_ashr_i32 s7, s6, 31
	v_add_nc_u32_e32 v2, 2, v18
	v_lshl_or_b32 v19, v66, 6, v0
	s_lshl_b64 s[6:7], s[6:7], 1
	v_add_nc_u32_e32 v8, 4, v18
	v_add_nc_u32_e32 v15, 6, v18
	v_mul_lo_u32 v7, v2, s0
	ds_load_b128 v[3:6], v19
	v_ashrrev_i32_e32 v2, 31, v1
	v_mul_lo_u32 v11, v8, s0
	s_waitcnt lgkmcnt(0)
	s_add_u32 s1, s4, s6
	s_addc_u32 s3, s5, s7
	s_lshl_b32 s4, s14, 7
	v_lshlrev_b64 v[9:10], 1, v[1:2]
	s_ashr_i32 s5, s4, 31
	v_ashrrev_i32_e32 v8, 31, v7
	s_lshl_b64 s[4:5], s[4:5], 1
	v_ashrrev_i32_e32 v12, 31, v11
	s_add_u32 s1, s1, s4
	s_addc_u32 s3, s3, s5
	v_add_co_u32 v1, s1, s1, v65
	s_delay_alu instid0(VALU_DEP_1) | instskip(SKIP_1) | instid1(VALU_DEP_3)
	v_add_co_ci_u32_e64 v2, null, s3, 0, s1
	v_mul_lo_u32 v15, v15, s0
	v_add_co_u32 v13, vcc_lo, v1, v9
	s_delay_alu instid0(VALU_DEP_3)
	v_add_co_ci_u32_e32 v14, vcc_lo, v2, v10, vcc_lo
	v_lshlrev_b64 v[16:17], 1, v[7:8]
	ds_load_b128 v[7:10], v19 offset:128
	global_store_b128 v[13:14], v[3:6], off
	v_add_nc_u32_e32 v5, 8, v18
	v_lshlrev_b64 v[3:4], 1, v[11:12]
	v_add_co_u32 v23, vcc_lo, v1, v16
	v_ashrrev_i32_e32 v16, 31, v15
	s_delay_alu instid0(VALU_DEP_4) | instskip(SKIP_3) | instid1(VALU_DEP_3)
	v_mul_lo_u32 v25, v5, s0
	v_add_nc_u32_e32 v5, 10, v18
	v_add_co_ci_u32_e32 v24, vcc_lo, v2, v17, vcc_lo
	v_add_co_u32 v27, vcc_lo, v1, v3
	v_mul_lo_u32 v29, v5, s0
	v_add_co_ci_u32_e32 v28, vcc_lo, v2, v4, vcc_lo
	v_lshlrev_b64 v[31:32], 1, v[15:16]
	ds_load_b128 v[3:6], v19 offset:256
	ds_load_b128 v[11:14], v19 offset:384
	;; [unrolled: 1-line block ×4, first 2 shown]
	v_ashrrev_i32_e32 v26, 31, v25
	v_ashrrev_i32_e32 v30, 31, v29
	v_add_co_u32 v31, vcc_lo, v1, v31
	s_delay_alu instid0(VALU_DEP_3) | instskip(SKIP_1) | instid1(VALU_DEP_4)
	v_lshlrev_b64 v[25:26], 1, v[25:26]
	v_add_co_ci_u32_e32 v32, vcc_lo, v2, v32, vcc_lo
	v_lshlrev_b64 v[29:30], 1, v[29:30]
	s_delay_alu instid0(VALU_DEP_3) | instskip(NEXT) | instid1(VALU_DEP_4)
	v_add_co_u32 v25, vcc_lo, v1, v25
	v_add_co_ci_u32_e32 v26, vcc_lo, v2, v26, vcc_lo
	s_delay_alu instid0(VALU_DEP_3) | instskip(NEXT) | instid1(VALU_DEP_4)
	v_add_co_u32 v29, vcc_lo, v1, v29
	v_add_co_ci_u32_e32 v30, vcc_lo, v2, v30, vcc_lo
	s_waitcnt lgkmcnt(4)
	global_store_b128 v[23:24], v[7:10], off
	s_waitcnt lgkmcnt(3)
	global_store_b128 v[27:28], v[3:6], off
	;; [unrolled: 2-line block ×5, first 2 shown]
	s_and_b32 exec_lo, exec_lo, s2
	s_cbranch_execz .LBB1274_2
; %bb.16:
	ds_load_b128 v[3:6], v0 offset:768
	s_add_i32 s1, s31, 12
	s_delay_alu instid0(SALU_CYCLE_1) | instskip(NEXT) | instid1(SALU_CYCLE_1)
	s_mul_i32 s0, s1, s0
	s_ashr_i32 s1, s0, 31
	s_delay_alu instid0(SALU_CYCLE_1) | instskip(NEXT) | instid1(SALU_CYCLE_1)
	s_lshl_b64 s[0:1], s[0:1], 1
	v_add_co_u32 v0, vcc_lo, v1, s0
	v_add_co_ci_u32_e32 v1, vcc_lo, s1, v2, vcc_lo
	s_waitcnt lgkmcnt(0)
	global_store_b128 v[0:1], v[3:6], off
	s_nop 0
	s_sendmsg sendmsg(MSG_DEALLOC_VGPRS)
	s_endpgm
	.section	.rodata,"a",@progbits
	.p2align	6, 0x0
	.amdhsa_kernel _Z39paged_attention_ll4mi_QKV_mfma16_kernelIDF16_hLN4vllm18Fp8KVCacheDataTypeE1EDF16_Li16ELi128ELi256ELb0ELi13EL8MFMAType0EEvPKT_PKT0_S8_ifPKiSA_SA_iPKfiiiPfSD_PS3_PT2_iSC_SC_
		.amdhsa_group_segment_fixed_size 17472
		.amdhsa_private_segment_fixed_size 0
		.amdhsa_kernarg_size 400
		.amdhsa_user_sgpr_count 13
		.amdhsa_user_sgpr_dispatch_ptr 0
		.amdhsa_user_sgpr_queue_ptr 0
		.amdhsa_user_sgpr_kernarg_segment_ptr 1
		.amdhsa_user_sgpr_dispatch_id 0
		.amdhsa_user_sgpr_private_segment_size 0
		.amdhsa_wavefront_size32 1
		.amdhsa_uses_dynamic_stack 0
		.amdhsa_enable_private_segment 0
		.amdhsa_system_sgpr_workgroup_id_x 1
		.amdhsa_system_sgpr_workgroup_id_y 1
		.amdhsa_system_sgpr_workgroup_id_z 1
		.amdhsa_system_sgpr_workgroup_info 0
		.amdhsa_system_vgpr_workitem_id 0
		.amdhsa_next_free_vgpr 150
		.amdhsa_next_free_sgpr 36
		.amdhsa_reserve_vcc 1
		.amdhsa_float_round_mode_32 0
		.amdhsa_float_round_mode_16_64 0
		.amdhsa_float_denorm_mode_32 3
		.amdhsa_float_denorm_mode_16_64 3
		.amdhsa_dx10_clamp 1
		.amdhsa_ieee_mode 1
		.amdhsa_fp16_overflow 0
		.amdhsa_workgroup_processor_mode 1
		.amdhsa_memory_ordered 1
		.amdhsa_forward_progress 0
		.amdhsa_shared_vgpr_count 0
		.amdhsa_exception_fp_ieee_invalid_op 0
		.amdhsa_exception_fp_denorm_src 0
		.amdhsa_exception_fp_ieee_div_zero 0
		.amdhsa_exception_fp_ieee_overflow 0
		.amdhsa_exception_fp_ieee_underflow 0
		.amdhsa_exception_fp_ieee_inexact 0
		.amdhsa_exception_int_div_zero 0
	.end_amdhsa_kernel
	.section	.text._Z39paged_attention_ll4mi_QKV_mfma16_kernelIDF16_hLN4vllm18Fp8KVCacheDataTypeE1EDF16_Li16ELi128ELi256ELb0ELi13EL8MFMAType0EEvPKT_PKT0_S8_ifPKiSA_SA_iPKfiiiPfSD_PS3_PT2_iSC_SC_,"axG",@progbits,_Z39paged_attention_ll4mi_QKV_mfma16_kernelIDF16_hLN4vllm18Fp8KVCacheDataTypeE1EDF16_Li16ELi128ELi256ELb0ELi13EL8MFMAType0EEvPKT_PKT0_S8_ifPKiSA_SA_iPKfiiiPfSD_PS3_PT2_iSC_SC_,comdat
.Lfunc_end1274:
	.size	_Z39paged_attention_ll4mi_QKV_mfma16_kernelIDF16_hLN4vllm18Fp8KVCacheDataTypeE1EDF16_Li16ELi128ELi256ELb0ELi13EL8MFMAType0EEvPKT_PKT0_S8_ifPKiSA_SA_iPKfiiiPfSD_PS3_PT2_iSC_SC_, .Lfunc_end1274-_Z39paged_attention_ll4mi_QKV_mfma16_kernelIDF16_hLN4vllm18Fp8KVCacheDataTypeE1EDF16_Li16ELi128ELi256ELb0ELi13EL8MFMAType0EEvPKT_PKT0_S8_ifPKiSA_SA_iPKfiiiPfSD_PS3_PT2_iSC_SC_
                                        ; -- End function
	.section	.AMDGPU.csdata,"",@progbits
; Kernel info:
; codeLenInByte = 6852
; NumSgprs: 38
; NumVgprs: 150
; ScratchSize: 0
; MemoryBound: 0
; FloatMode: 240
; IeeeMode: 1
; LDSByteSize: 17472 bytes/workgroup (compile time only)
; SGPRBlocks: 4
; VGPRBlocks: 18
; NumSGPRsForWavesPerEU: 38
; NumVGPRsForWavesPerEU: 150
; Occupancy: 9
; WaveLimiterHint : 1
; COMPUTE_PGM_RSRC2:SCRATCH_EN: 0
; COMPUTE_PGM_RSRC2:USER_SGPR: 13
; COMPUTE_PGM_RSRC2:TRAP_HANDLER: 0
; COMPUTE_PGM_RSRC2:TGID_X_EN: 1
; COMPUTE_PGM_RSRC2:TGID_Y_EN: 1
; COMPUTE_PGM_RSRC2:TGID_Z_EN: 1
; COMPUTE_PGM_RSRC2:TIDIG_COMP_CNT: 0
	.section	.text._Z39paged_attention_ll4mi_QKV_mfma16_kernelIDF16_hLN4vllm18Fp8KVCacheDataTypeE1EDF16_Li16ELi128ELi256ELb0ELi14EL8MFMAType0EEvPKT_PKT0_S8_ifPKiSA_SA_iPKfiiiPfSD_PS3_PT2_iSC_SC_,"axG",@progbits,_Z39paged_attention_ll4mi_QKV_mfma16_kernelIDF16_hLN4vllm18Fp8KVCacheDataTypeE1EDF16_Li16ELi128ELi256ELb0ELi14EL8MFMAType0EEvPKT_PKT0_S8_ifPKiSA_SA_iPKfiiiPfSD_PS3_PT2_iSC_SC_,comdat
	.protected	_Z39paged_attention_ll4mi_QKV_mfma16_kernelIDF16_hLN4vllm18Fp8KVCacheDataTypeE1EDF16_Li16ELi128ELi256ELb0ELi14EL8MFMAType0EEvPKT_PKT0_S8_ifPKiSA_SA_iPKfiiiPfSD_PS3_PT2_iSC_SC_ ; -- Begin function _Z39paged_attention_ll4mi_QKV_mfma16_kernelIDF16_hLN4vllm18Fp8KVCacheDataTypeE1EDF16_Li16ELi128ELi256ELb0ELi14EL8MFMAType0EEvPKT_PKT0_S8_ifPKiSA_SA_iPKfiiiPfSD_PS3_PT2_iSC_SC_
	.globl	_Z39paged_attention_ll4mi_QKV_mfma16_kernelIDF16_hLN4vllm18Fp8KVCacheDataTypeE1EDF16_Li16ELi128ELi256ELb0ELi14EL8MFMAType0EEvPKT_PKT0_S8_ifPKiSA_SA_iPKfiiiPfSD_PS3_PT2_iSC_SC_
	.p2align	8
	.type	_Z39paged_attention_ll4mi_QKV_mfma16_kernelIDF16_hLN4vllm18Fp8KVCacheDataTypeE1EDF16_Li16ELi128ELi256ELb0ELi14EL8MFMAType0EEvPKT_PKT0_S8_ifPKiSA_SA_iPKfiiiPfSD_PS3_PT2_iSC_SC_,@function
_Z39paged_attention_ll4mi_QKV_mfma16_kernelIDF16_hLN4vllm18Fp8KVCacheDataTypeE1EDF16_Li16ELi128ELi256ELb0ELi14EL8MFMAType0EEvPKT_PKT0_S8_ifPKiSA_SA_iPKfiiiPfSD_PS3_PT2_iSC_SC_: ; @_Z39paged_attention_ll4mi_QKV_mfma16_kernelIDF16_hLN4vllm18Fp8KVCacheDataTypeE1EDF16_Li16ELi128ELi256ELb0ELi14EL8MFMAType0EEvPKT_PKT0_S8_ifPKiSA_SA_iPKfiiiPfSD_PS3_PT2_iSC_SC_
; %bb.0:
	s_load_b64 s[4:5], s[0:1], 0x30
	s_mov_b32 s30, s13
	s_waitcnt lgkmcnt(0)
	s_cmp_lg_u64 s[4:5], 0
	s_cselect_b32 s8, -1, 0
	s_ashr_i32 s31, s13, 31
	s_cmp_eq_u64 s[4:5], 0
	s_cbranch_scc1 .LBB1275_3
; %bb.1:
	s_lshl_b64 s[2:3], s[30:31], 2
	s_delay_alu instid0(SALU_CYCLE_1) | instskip(SKIP_4) | instid1(SALU_CYCLE_1)
	s_add_u32 s2, s4, s2
	s_addc_u32 s3, s5, s3
	s_load_b64 s[2:3], s[2:3], 0x0
	s_waitcnt lgkmcnt(0)
	s_sub_i32 s2, s3, s2
	s_cmp_eq_u32 s2, 1
	s_cselect_b32 s2, -1, 0
	s_delay_alu instid0(SALU_CYCLE_1)
	s_and_not1_b32 vcc_lo, exec_lo, s2
	s_cbranch_vccz .LBB1275_4
.LBB1275_2:
	s_endpgm
.LBB1275_3:
.LBB1275_4:
	s_load_b64 s[2:3], s[0:1], 0x28
	s_lshl_b64 s[6:7], s[30:31], 2
	s_waitcnt lgkmcnt(0)
	s_add_u32 s2, s2, s6
	s_addc_u32 s3, s3, s7
	s_lshl_b32 s12, s14, 8
	s_load_b32 s24, s[2:3], 0x0
	s_waitcnt lgkmcnt(0)
	s_cmp_ge_i32 s12, s24
	s_cbranch_scc1 .LBB1275_2
; %bb.5:
	s_clause 0x1
	s_load_b128 s[20:23], s[0:1], 0x8
	s_load_b64 s[2:3], s[0:1], 0x20
	s_and_not1_b32 vcc_lo, exec_lo, s8
	s_cbranch_vccnz .LBB1275_7
; %bb.6:
	s_add_u32 s4, s4, s6
	s_addc_u32 s5, s5, s7
	s_load_b32 s5, s[4:5], 0x0
	s_branch .LBB1275_8
.LBB1275_7:
	s_mov_b32 s5, s30
.LBB1275_8:
	s_load_b128 s[16:19], s[0:1], 0x48
	v_and_b32_e32 v68, 15, v0
	v_lshrrev_b32_e32 v69, 5, v0
	v_and_b32_e32 v70, 31, v0
	v_and_b32_e32 v67, 1, v0
	v_bfe_u32 v66, v0, 4, 1
	v_lshlrev_b32_e32 v1, 3, v68
	s_mul_i32 s31, s15, 14
	s_mov_b32 s4, exec_lo
	s_delay_alu instid0(VALU_DEP_1)
	v_lshlrev_b32_e32 v65, 1, v1
	v_cmpx_gt_u32_e32 0xe0, v0
	s_cbranch_execz .LBB1275_10
; %bb.9:
	s_load_b64 s[6:7], s[0:1], 0x0
	v_lshl_or_b32 v5, v69, 1, v66
	s_waitcnt lgkmcnt(0)
	s_mul_hi_i32 s9, s5, s16
	s_mul_i32 s8, s5, s16
	v_lshlrev_b32_e32 v6, 10, v68
	s_lshl_b64 s[8:9], s[8:9], 1
	v_add_lshl_u32 v1, v5, s31, 7
	v_lshlrev_b32_e32 v5, 6, v5
	v_lshlrev_b32_e32 v7, 10, v67
	v_and_b32_e32 v6, 0x3800, v6
	s_delay_alu instid0(VALU_DEP_4) | instskip(NEXT) | instid1(VALU_DEP_2)
	v_ashrrev_i32_e32 v2, 31, v1
	v_or3_b32 v5, v6, v7, v5
	s_delay_alu instid0(VALU_DEP_2) | instskip(SKIP_2) | instid1(VALU_DEP_1)
	v_lshlrev_b64 v[1:2], 1, v[1:2]
	s_add_u32 s5, s6, s8
	s_addc_u32 s6, s7, s9
	v_add_co_u32 v1, vcc_lo, s5, v1
	s_delay_alu instid0(VALU_DEP_2) | instskip(NEXT) | instid1(VALU_DEP_2)
	v_add_co_ci_u32_e32 v2, vcc_lo, s6, v2, vcc_lo
	v_add_co_u32 v1, vcc_lo, v1, v65
	s_delay_alu instid0(VALU_DEP_2)
	v_add_co_ci_u32_e32 v2, vcc_lo, 0, v2, vcc_lo
	global_load_b128 v[1:4], v[1:2], off
	s_waitcnt vmcnt(0)
	ds_store_b128 v5, v[1:4]
.LBB1275_10:
	s_or_b32 exec_lo, exec_lo, s4
	v_and_b32_e32 v1, 0xef, v0
	s_waitcnt lgkmcnt(0)
	s_add_i32 s5, s24, 15
	s_clause 0x1
	s_load_b32 s4, s[0:1], 0x38
	s_load_b32 s33, s[0:1], 0x98
	s_ashr_i32 s6, s5, 31
	v_add_nc_u32_e32 v1, s12, v1
	s_lshr_b32 s6, s6, 28
	s_load_b32 s19, s[0:1], 0x1c
	s_add_i32 s5, s5, s6
	s_waitcnt lgkmcnt(0)
	v_ashrrev_i32_e32 v2, 31, v1
	v_or_b32_e32 v3, 16, v1
	s_ashr_i32 s13, s5, 4
	v_cmp_gt_i32_e32 vcc_lo, s24, v1
	s_add_i32 s13, s13, -1
	v_lshrrev_b32_e32 v2, 28, v2
	s_barrier
	buffer_gl0_inv
	s_mul_i32 s15, s15, s18
	v_add_nc_u32_e32 v4, v1, v2
	s_mul_i32 s4, s30, s4
	s_delay_alu instid0(SALU_CYCLE_1) | instskip(NEXT) | instid1(VALU_DEP_1)
	s_ashr_i32 s5, s4, 31
	v_ashrrev_i32_e32 v4, 4, v4
	v_add_nc_u32_e32 v2, v3, v2
	s_lshl_b64 s[4:5], s[4:5], 2
	s_delay_alu instid0(SALU_CYCLE_1) | instskip(NEXT) | instid1(VALU_DEP_2)
	s_add_u32 s16, s2, s4
	v_cndmask_b32_e32 v1, s13, v4, vcc_lo
	s_delay_alu instid0(VALU_DEP_2)
	v_ashrrev_i32_e32 v2, 4, v2
	v_cmp_gt_i32_e32 vcc_lo, s24, v3
	s_addc_u32 s25, s3, s5
	s_ashr_i32 s18, s15, 31
	s_add_u32 s26, s20, s15
	s_addc_u32 s27, s21, s18
	v_cndmask_b32_e32 v3, s13, v2, vcc_lo
	v_ashrrev_i32_e32 v2, 31, v1
	s_lshl_b32 s2, s14, 4
	s_delay_alu instid0(SALU_CYCLE_1) | instskip(NEXT) | instid1(VALU_DEP_2)
	s_ashr_i32 s3, s2, 31
	v_ashrrev_i32_e32 v4, 31, v3
	s_delay_alu instid0(VALU_DEP_2) | instskip(SKIP_1) | instid1(SALU_CYCLE_1)
	v_lshlrev_b64 v[1:2], 2, v[1:2]
	s_lshl_b64 s[2:3], s[2:3], 2
	s_add_u32 s2, s16, s2
	s_delay_alu instid0(VALU_DEP_2) | instskip(SKIP_1) | instid1(VALU_DEP_2)
	v_lshlrev_b64 v[3:4], 2, v[3:4]
	s_addc_u32 s3, s25, s3
	v_add_co_u32 v1, vcc_lo, s16, v1
	v_add_co_ci_u32_e32 v2, vcc_lo, s25, v2, vcc_lo
	s_delay_alu instid0(VALU_DEP_3) | instskip(NEXT) | instid1(VALU_DEP_4)
	v_add_co_u32 v3, vcc_lo, s16, v3
	v_add_co_ci_u32_e32 v4, vcc_lo, s25, v4, vcc_lo
	s_clause 0x1
	global_load_b32 v5, v[1:2], off
	global_load_b32 v7, v[3:4], off
	s_or_b32 s4, s12, 32
	v_lshlrev_b32_e32 v1, 4, v0
	s_ashr_i32 s5, s4, 4
	s_cmp_lt_i32 s4, s24
	v_cmp_gt_u32_e32 vcc_lo, 14, v68
	s_cselect_b32 s4, s5, s13
	v_and_b32_e32 v1, 0xf0, v1
	s_ashr_i32 s5, s4, 31
	s_delay_alu instid0(SALU_CYCLE_1) | instskip(NEXT) | instid1(SALU_CYCLE_1)
	s_lshl_b64 s[4:5], s[4:5], 2
	s_add_u32 s4, s16, s4
	s_addc_u32 s5, s25, s5
	s_or_b32 s6, s12, 64
	v_add_co_u32 v1, s26, s26, v1
	s_ashr_i32 s7, s6, 4
	s_cmp_lt_i32 s6, s24
	v_add_co_ci_u32_e64 v2, null, s27, 0, s26
	s_cselect_b32 s6, s7, s13
	s_delay_alu instid0(SALU_CYCLE_1) | instskip(NEXT) | instid1(SALU_CYCLE_1)
	s_ashr_i32 s7, s6, 31
	s_lshl_b64 s[6:7], s[6:7], 2
	s_delay_alu instid0(SALU_CYCLE_1) | instskip(SKIP_2) | instid1(SALU_CYCLE_1)
	s_add_u32 s6, s16, s6
	s_addc_u32 s7, s25, s7
	s_or_b32 s8, s12, 0x60
	s_ashr_i32 s9, s8, 4
	s_cmp_lt_i32 s8, s24
	s_cselect_b32 s8, s9, s13
	s_delay_alu instid0(SALU_CYCLE_1) | instskip(NEXT) | instid1(SALU_CYCLE_1)
	s_ashr_i32 s9, s8, 31
	s_lshl_b64 s[8:9], s[8:9], 2
	s_delay_alu instid0(SALU_CYCLE_1) | instskip(SKIP_2) | instid1(SALU_CYCLE_1)
	s_add_u32 s8, s16, s8
	s_addc_u32 s9, s25, s9
	s_or_b32 s10, s12, 0x80
	s_ashr_i32 s11, s10, 4
	s_cmp_lt_i32 s10, s24
	;; [unrolled: 10-line block ×3, first 2 shown]
	s_cselect_b32 s20, s21, s13
	s_delay_alu instid0(SALU_CYCLE_1) | instskip(NEXT) | instid1(SALU_CYCLE_1)
	s_ashr_i32 s21, s20, 31
	s_lshl_b64 s[20:21], s[20:21], 2
	s_delay_alu instid0(SALU_CYCLE_1)
	s_add_u32 s20, s16, s20
	s_addc_u32 s21, s25, s21
	s_clause 0x5
	s_load_b32 s26, s[2:3], 0x0
	s_load_b32 s27, s[4:5], 0x0
	;; [unrolled: 1-line block ×6, first 2 shown]
	s_or_b32 s2, s12, 0xc0
	s_mov_b32 s4, 0
	s_ashr_i32 s3, s2, 4
	s_cmp_lt_i32 s2, s24
	s_mov_b32 s11, s4
	s_cselect_b32 s2, s3, s13
	s_mov_b32 s5, s4
	s_ashr_i32 s3, s2, 31
	s_mov_b32 s6, s4
	s_lshl_b64 s[2:3], s[2:3], 2
	s_mov_b32 s7, s4
	s_add_u32 s2, s16, s2
	s_addc_u32 s3, s25, s3
	s_or_b32 s20, s12, 0xe0
	s_mov_b32 s8, s4
	s_ashr_i32 s21, s20, 4
	s_cmp_lt_i32 s20, s24
	s_mov_b32 s9, s4
	s_cselect_b32 s20, s21, s13
	s_mov_b32 s10, s4
	s_ashr_i32 s21, s20, 31
	v_mov_b32_e32 v118, s11
	v_dual_mov_b32 v112, s5 :: v_dual_mov_b32 v117, s10
	v_dual_mov_b32 v116, s9 :: v_dual_mov_b32 v115, s8
	;; [unrolled: 1-line block ×3, first 2 shown]
	v_mov_b32_e32 v111, s4
	s_lshl_b64 s[4:5], s[20:21], 2
	s_delay_alu instid0(SALU_CYCLE_1)
	s_add_u32 s4, s16, s4
	s_addc_u32 s5, s25, s5
	s_add_u32 s6, s22, s15
	s_addc_u32 s7, s23, s18
	s_waitcnt vmcnt(1)
	v_mad_i64_i32 v[3:4], null, v5, s17, v[1:2]
	s_waitcnt vmcnt(0)
	v_mad_i64_i32 v[5:6], null, v7, s17, v[1:2]
	v_add_nc_u32_e32 v1, -14, v68
	v_lshlrev_b32_e32 v2, 4, v68
	s_clause 0xf
	global_load_b128 v[17:20], v[3:4], off
	global_load_b128 v[21:24], v[3:4], off offset:256
	global_load_b128 v[25:28], v[5:6], off
	global_load_b128 v[29:32], v[5:6], off offset:256
	global_load_b128 v[57:60], v[3:4], off offset:512
	;; [unrolled: 1-line block ×13, first 2 shown]
	v_cndmask_b32_e32 v1, v1, v68, vcc_lo
	s_delay_alu instid0(VALU_DEP_1)
	v_lshlrev_b32_e32 v149, 6, v1
	v_lshl_or_b32 v1, v69, 8, v2
	ds_load_b128 v[119:122], v149
	ds_load_b128 v[123:126], v149 offset:1024
	ds_load_b128 v[127:130], v149 offset:2048
	ds_load_b128 v[131:134], v149 offset:3072
	s_clause 0x1
	s_load_b32 s2, s[2:3], 0x0
	s_load_b32 s3, s[4:5], 0x0
	v_add_co_u32 v135, s6, s6, v1
	s_delay_alu instid0(VALU_DEP_1) | instskip(SKIP_1) | instid1(VALU_DEP_1)
	v_add_co_ci_u32_e64 v136, null, s7, 0, s6
	s_waitcnt lgkmcnt(0)
	v_mad_i64_i32 v[1:2], null, s26, s17, v[135:136]
	v_mad_i64_i32 v[3:4], null, s27, s17, v[135:136]
	;; [unrolled: 1-line block ×6, first 2 shown]
	s_clause 0x9
	global_load_b128 v[49:52], v[1:2], off
	global_load_b128 v[53:56], v[1:2], off offset:16
	global_load_b128 v[41:44], v[3:4], off
	global_load_b128 v[45:48], v[3:4], off offset:16
	;; [unrolled: 2-line block ×5, first 2 shown]
	v_mad_i64_i32 v[145:146], null, s2, s17, v[135:136]
	v_mad_i64_i32 v[147:148], null, s3, s17, v[135:136]
	s_waitcnt vmcnt(24)
	v_wmma_f32_16x16x16_f16 v[135:142], v[17:24], v[119:126], v[111:118]
	s_waitcnt vmcnt(22)
	v_wmma_f32_16x16x16_f16 v[111:118], v[25:32], v[119:126], v[111:118]
	s_clause 0x3
	global_load_b128 v[17:20], v[143:144], off
	global_load_b128 v[21:24], v[143:144], off offset:16
	global_load_b128 v[25:28], v[145:146], off
	global_load_b128 v[29:32], v[145:146], off offset:16
	v_and_b32_e32 v119, 0xe0, v0
	s_waitcnt vmcnt(24)
	v_wmma_f32_16x16x16_f16 v[135:142], v[57:64], v[127:134], v[135:142]
	s_clause 0x1
	global_load_b128 v[57:60], v[147:148], off
	global_load_b128 v[61:64], v[147:148], off offset:16
	s_waitcnt vmcnt(24)
	v_wmma_f32_16x16x16_f16 v[111:118], v[71:78], v[127:134], v[111:118]
	ds_load_b128 v[71:74], v149 offset:4096
	ds_load_b128 v[75:78], v149 offset:5120
	v_add_nc_u32_e32 v128, s12, v119
	ds_load_b128 v[119:122], v149 offset:6144
	ds_load_b128 v[123:126], v149 offset:7168
	v_mbcnt_lo_u32_b32 v127, -1, 0
	s_waitcnt vmcnt(0) lgkmcnt(0)
	s_barrier
	v_or_b32_e32 v128, v128, v66
	buffer_gl0_inv
	v_xor_b32_e32 v129, 16, v127
	v_or_b32_e32 v130, 4, v128
	v_or_b32_e32 v131, 6, v128
	s_delay_alu instid0(VALU_DEP_3) | instskip(SKIP_4) | instid1(VALU_DEP_4)
	v_cmp_gt_i32_e32 vcc_lo, 32, v129
	v_or_b32_e32 v132, 8, v128
	v_or_b32_e32 v133, 10, v128
	v_cmp_gt_i32_e64 s3, s24, v130
	v_cmp_gt_i32_e64 s4, s24, v131
	;; [unrolled: 1-line block ×3, first 2 shown]
	v_wmma_f32_16x16x16_f16 v[135:142], v[79:86], v[71:78], v[135:142]
	v_wmma_f32_16x16x16_f16 v[111:118], v[87:94], v[71:78], v[111:118]
	v_or_b32_e32 v79, 12, v128
	v_or_b32_e32 v80, 14, v128
	v_cmp_gt_i32_e64 s6, s24, v133
	v_wmma_f32_16x16x16_f16 v[135:142], v[95:102], v[119:126], v[135:142]
	v_wmma_f32_16x16x16_f16 v[111:118], v[103:110], v[119:126], v[111:118]
	v_cndmask_b32_e32 v127, v127, v129, vcc_lo
	v_or_b32_e32 v129, 2, v128
	v_cmp_gt_i32_e32 vcc_lo, s24, v128
	v_mul_f32_e32 v88, s19, v135
	v_dual_mul_f32 v92, s19, v115 :: v_dual_mul_f32 v87, s19, v136
	s_delay_alu instid0(VALU_DEP_4)
	v_cmp_gt_i32_e64 s2, s24, v129
	v_mul_f32_e32 v78, s19, v138
	v_mul_f32_e32 v86, s19, v137
	v_cndmask_b32_e32 v88, 0xff7fffff, v88, vcc_lo
	v_mul_f32_e32 v76, s19, v140
	v_cndmask_b32_e64 v87, 0xff7fffff, v87, s2
	v_dual_mul_f32 v77, s19, v139 :: v_dual_mul_f32 v94, s19, v113
	v_cndmask_b32_e64 v86, 0xff7fffff, v86, s3
	v_cndmask_b32_e64 v78, 0xff7fffff, v78, s4
	s_delay_alu instid0(VALU_DEP_4)
	v_max3_f32 v87, v88, 0xff7fffff, v87
	v_or_b32_e32 v81, 16, v128
	v_or_b32_e32 v82, 18, v128
	v_dual_mul_f32 v74, s19, v142 :: v_dual_mul_f32 v75, s19, v141
	v_mul_f32_e32 v96, s19, v111
	v_cndmask_b32_e64 v77, 0xff7fffff, v77, s5
	v_cndmask_b32_e64 v76, 0xff7fffff, v76, s6
	v_max3_f32 v78, v87, v86, v78
	v_cmp_gt_i32_e64 s7, s24, v79
	v_cmp_gt_i32_e64 s8, s24, v80
	v_or_b32_e32 v83, 20, v128
	v_or_b32_e32 v84, 22, v128
	v_mul_f32_e32 v95, s19, v112
	v_cndmask_b32_e64 v75, 0xff7fffff, v75, s7
	v_cndmask_b32_e64 v74, 0xff7fffff, v74, s8
	v_max3_f32 v76, v78, v77, v76
	v_cmp_gt_i32_e64 s9, s24, v81
	v_cmp_gt_i32_e64 s10, s24, v82
	v_or_b32_e32 v85, 24, v128
	v_or_b32_e32 v71, 26, v128
	;; [unrolled: 8-line block ×3, first 2 shown]
	v_mul_f32_e32 v91, s19, v116
	v_cndmask_b32_e64 v75, 0xff7fffff, v94, s11
	v_cndmask_b32_e64 v76, 0xff7fffff, v93, s12
	v_max3_f32 v74, v74, v77, v78
	v_cmp_gt_i32_e64 s13, s24, v85
	v_cmp_gt_i32_e64 s15, s24, v71
	v_dual_mul_f32 v89, s19, v118 :: v_dual_mul_f32 v90, s19, v117
	s_delay_alu instid0(VALU_DEP_4) | instskip(NEXT) | instid1(VALU_DEP_4)
	v_max3_f32 v74, v74, v75, v76
	v_cndmask_b32_e64 v77, 0xff7fffff, v92, s13
	s_delay_alu instid0(VALU_DEP_4) | instskip(SKIP_2) | instid1(VALU_DEP_3)
	v_cndmask_b32_e64 v71, 0xff7fffff, v91, s15
	v_cmp_gt_i32_e64 s16, s24, v72
	v_cmp_gt_i32_e64 s17, s24, v73
	v_max3_f32 v71, v74, v77, v71
	s_delay_alu instid0(VALU_DEP_3) | instskip(NEXT) | instid1(VALU_DEP_3)
	v_cndmask_b32_e64 v72, 0xff7fffff, v90, s16
	v_cndmask_b32_e64 v73, 0xff7fffff, v89, s17
	v_lshlrev_b32_e32 v74, 2, v127
	s_delay_alu instid0(VALU_DEP_2) | instskip(SKIP_3) | instid1(VALU_DEP_1)
	v_max3_f32 v71, v71, v72, v73
	ds_bpermute_b32 v72, v74, v71
	s_waitcnt lgkmcnt(0)
	v_max_f32_e32 v72, v72, v72
	v_max_f32_e32 v71, v71, v72
	s_delay_alu instid0(VALU_DEP_1) | instskip(SKIP_4) | instid1(VALU_DEP_4)
	v_fma_f32 v72, s19, v135, -v71
	v_fma_f32 v73, s19, v136, -v71
	;; [unrolled: 1-line block ×5, first 2 shown]
	v_dual_mul_f32 v72, 0x3fb8aa3b, v72 :: v_dual_mul_f32 v73, 0x3fb8aa3b, v73
	v_fma_f32 v80, s19, v141, -v71
	s_delay_alu instid0(VALU_DEP_3) | instskip(NEXT) | instid1(VALU_DEP_3)
	v_dual_mul_f32 v76, 0x3fb8aa3b, v76 :: v_dual_mul_f32 v77, 0x3fb8aa3b, v77
	v_exp_f32_e32 v72, v72
	s_delay_alu instid0(VALU_DEP_3) | instskip(NEXT) | instid1(VALU_DEP_2)
	v_exp_f32_e32 v73, v73
	v_mul_f32_e32 v82, 0x3fb8aa3b, v80
	s_delay_alu instid0(VALU_DEP_2) | instskip(SKIP_1) | instid1(VALU_DEP_1)
	v_exp_f32_e32 v76, v76
	v_exp_f32_e32 v77, v77
	;; [unrolled: 1-line block ×3, first 2 shown]
	v_cndmask_b32_e32 v79, 0, v72, vcc_lo
	v_fma_f32 v72, s19, v140, -v71
	v_mul_f32_e32 v75, 0x3fb8aa3b, v75
	v_cndmask_b32_e64 v78, 0, v73, s2
	s_delay_alu instid0(TRANS32_DEP_3) | instskip(NEXT) | instid1(VALU_DEP_4)
	v_cndmask_b32_e64 v80, 0, v76, s4
	v_dual_add_f32 v73, 0, v79 :: v_dual_mul_f32 v72, 0x3fb8aa3b, v72
	s_delay_alu instid0(VALU_DEP_4) | instskip(NEXT) | instid1(TRANS32_DEP_3)
	v_exp_f32_e32 v75, v75
	v_cndmask_b32_e64 v83, 0, v77, s5
	s_delay_alu instid0(TRANS32_DEP_2) | instskip(NEXT) | instid1(VALU_DEP_3)
	v_cndmask_b32_e64 v85, 0, v84, s7
	v_add_f32_e32 v73, v73, v78
	v_exp_f32_e32 v72, v72
	s_mov_b32 s2, exec_lo
	s_waitcnt_depctr 0xfff
	v_cndmask_b32_e64 v81, 0, v75, s3
	v_cndmask_b32_e64 v82, 0, v72, s6
	s_delay_alu instid0(VALU_DEP_2) | instskip(NEXT) | instid1(VALU_DEP_1)
	v_add_f32_e32 v73, v73, v81
	v_add_f32_e32 v73, v73, v80
	s_delay_alu instid0(VALU_DEP_1) | instskip(NEXT) | instid1(VALU_DEP_1)
	v_add_f32_e32 v72, v73, v83
	v_add_f32_e32 v72, v72, v82
	s_delay_alu instid0(VALU_DEP_1)
	v_add_f32_e32 v72, v72, v85
	v_fma_f32 v76, s19, v111, -v71
	v_fma_f32 v75, s19, v142, -v71
	;; [unrolled: 1-line block ×5, first 2 shown]
	v_mul_f32_e32 v76, 0x3fb8aa3b, v76
	s_delay_alu instid0(VALU_DEP_4) | instskip(NEXT) | instid1(VALU_DEP_2)
	v_mul_f32_e32 v86, 0x3fb8aa3b, v86
	v_exp_f32_e32 v76, v76
	s_delay_alu instid0(VALU_DEP_1)
	v_exp_f32_e32 v88, v86
	s_waitcnt_depctr 0xfff
	v_cndmask_b32_e64 v87, 0, v76, s9
	v_fma_f32 v76, s19, v116, -v71
	v_mul_f32_e32 v75, 0x3fb8aa3b, v75
	v_cndmask_b32_e64 v88, 0, v88, s12
	s_delay_alu instid0(VALU_DEP_3) | instskip(NEXT) | instid1(VALU_DEP_3)
	v_dual_mul_f32 v73, 0x3fb8aa3b, v73 :: v_dual_mul_f32 v76, 0x3fb8aa3b, v76
	v_exp_f32_e32 v75, v75
	s_delay_alu instid0(VALU_DEP_1) | instskip(NEXT) | instid1(VALU_DEP_1)
	v_exp_f32_e32 v73, v73
	v_exp_f32_e32 v76, v76
	s_delay_alu instid0(TRANS32_DEP_3)
	v_cndmask_b32_e64 v84, 0, v75, s8
	v_fma_f32 v75, s19, v115, -v71
	s_waitcnt_depctr 0xfff
	v_cndmask_b32_e64 v89, 0, v73, s11
	v_cndmask_b32_e64 v90, 0, v76, s15
	v_add_f32_e32 v72, v72, v84
	s_delay_alu instid0(VALU_DEP_1) | instskip(NEXT) | instid1(VALU_DEP_1)
	v_dual_add_f32 v72, v72, v87 :: v_dual_mul_f32 v77, 0x3fb8aa3b, v77
	v_exp_f32_e32 v77, v77
	s_waitcnt_depctr 0xfff
	v_cndmask_b32_e64 v86, 0, v77, s10
	v_fma_f32 v77, s19, v117, -v71
	s_delay_alu instid0(VALU_DEP_2) | instskip(NEXT) | instid1(VALU_DEP_1)
	v_dual_add_f32 v72, v72, v86 :: v_dual_mul_f32 v75, 0x3fb8aa3b, v75
	v_add_f32_e32 v72, v72, v89
	s_delay_alu instid0(VALU_DEP_2) | instskip(NEXT) | instid1(VALU_DEP_1)
	v_exp_f32_e32 v75, v75
	v_add_f32_e32 v72, v72, v88
	s_waitcnt_depctr 0xfff
	v_cndmask_b32_e64 v91, 0, v75, s13
	v_mul_f32_e32 v73, 0x3fb8aa3b, v77
	v_fma_f32 v77, s19, v118, -v71
	s_delay_alu instid0(VALU_DEP_3) | instskip(NEXT) | instid1(VALU_DEP_3)
	v_add_f32_e32 v72, v72, v91
	v_exp_f32_e32 v73, v73
	s_delay_alu instid0(VALU_DEP_1) | instskip(NEXT) | instid1(VALU_DEP_1)
	v_dual_mul_f32 v75, 0x3fb8aa3b, v77 :: v_dual_add_f32 v72, v72, v90
	v_exp_f32_e32 v75, v75
	s_waitcnt_depctr 0xfff
	v_cndmask_b32_e64 v93, 0, v73, s16
	s_delay_alu instid0(VALU_DEP_1) | instskip(SKIP_1) | instid1(VALU_DEP_1)
	v_add_f32_e32 v72, v72, v93
	v_cndmask_b32_e64 v92, 0, v75, s17
	v_add_f32_e32 v72, v72, v92
	ds_bpermute_b32 v73, v74, v72
	v_cmpx_gt_u32_e32 16, v70
	s_cbranch_execz .LBB1275_12
; %bb.11:
	v_mul_u32_u24_e32 v70, 0x44, v69
	s_waitcnt lgkmcnt(0)
	v_add_f32_e32 v72, v72, v73
	s_delay_alu instid0(VALU_DEP_2) | instskip(NEXT) | instid1(VALU_DEP_1)
	v_lshl_add_u32 v70, v68, 2, v70
	v_add_nc_u32_e32 v70, 0x4000, v70
	ds_store_2addr_b32 v70, v71, v72 offset1:136
.LBB1275_12:
	s_or_b32 exec_lo, exec_lo, s2
	v_lshlrev_b32_e32 v70, 2, v68
	s_load_b32 s34, s[0:1], 0x94
	s_waitcnt lgkmcnt(0)
	s_barrier
	buffer_gl0_inv
	v_add_nc_u32_e32 v98, 0x4000, v70
	v_cmp_eq_u32_e32 vcc_lo, 1, v69
	v_cmp_eq_u32_e64 s2, 2, v69
	v_cmp_eq_u32_e64 s3, 3, v69
	;; [unrolled: 1-line block ×3, first 2 shown]
	ds_load_2addr_b32 v[70:71], v98 offset1:17
	ds_load_2addr_b32 v[72:73], v98 offset0:34 offset1:51
	ds_load_2addr_b32 v[74:75], v98 offset0:68 offset1:85
	ds_load_2addr_b32 v[94:95], v98 offset0:102 offset1:119
	v_cmp_eq_u32_e64 s5, 5, v69
	v_cmp_eq_u32_e64 s6, 7, v69
	s_waitcnt lgkmcnt(3)
	v_max3_f32 v76, v70, 0xff7fffff, v71
	s_waitcnt lgkmcnt(2)
	s_delay_alu instid0(VALU_DEP_1) | instskip(SKIP_1) | instid1(VALU_DEP_1)
	v_max3_f32 v76, v76, v72, v73
	s_waitcnt lgkmcnt(1)
	v_max3_f32 v76, v76, v74, v75
	s_waitcnt lgkmcnt(0)
	s_delay_alu instid0(VALU_DEP_1) | instskip(NEXT) | instid1(VALU_DEP_1)
	v_max3_f32 v76, v76, v94, v95
	v_sub_f32_e32 v77, v71, v76
	ds_load_2addr_b32 v[96:97], v98 offset0:136 offset1:153
	v_sub_f32_e32 v74, v74, v76
	v_sub_f32_e32 v70, v70, v76
	v_sub_f32_e32 v94, v94, v76
	v_dual_sub_f32 v72, v72, v76 :: v_dual_mul_f32 v77, 0x3fb8aa3b, v77
	s_delay_alu instid0(VALU_DEP_4) | instskip(NEXT) | instid1(VALU_DEP_4)
	v_mul_f32_e32 v103, 0x3fb8aa3b, v74
	v_mul_f32_e32 v99, 0x3fb8aa3b, v70
	ds_load_2addr_b32 v[70:71], v98 offset0:170 offset1:187
	v_dual_mul_f32 v101, 0x3fb8aa3b, v72 :: v_dual_mul_f32 v94, 0x3fb8aa3b, v94
	v_exp_f32_e32 v102, v77
	v_exp_f32_e32 v99, v99
	s_delay_alu instid0(VALU_DEP_1) | instskip(NEXT) | instid1(VALU_DEP_1)
	v_exp_f32_e32 v101, v101
	v_exp_f32_e32 v94, v94
	s_waitcnt lgkmcnt(1)
	s_delay_alu instid0(TRANS32_DEP_3)
	v_fma_f32 v77, v99, v96, 0
	v_sub_f32_e32 v100, v73, v76
	ds_load_2addr_b32 v[72:73], v98 offset0:204 offset1:221
	v_fmac_f32_e32 v77, v102, v97
	v_exp_f32_e32 v97, v103
	s_waitcnt lgkmcnt(1)
	s_delay_alu instid0(VALU_DEP_1)
	v_dual_fmac_f32 v77, v101, v70 :: v_dual_sub_f32 v96, v75, v76
	ds_load_2addr_b32 v[74:75], v98 offset0:238 offset1:255
	v_sub_f32_e32 v70, v95, v76
	s_waitcnt lgkmcnt(0)
	s_barrier
	v_mul_f32_e32 v96, 0x3fb8aa3b, v96
	buffer_gl0_inv
	v_exp_f32_e32 v95, v96
	v_mul_f32_e32 v100, 0x3fb8aa3b, v100
	s_delay_alu instid0(VALU_DEP_1) | instskip(SKIP_3) | instid1(VALU_DEP_2)
	v_exp_f32_e32 v100, v100
	s_waitcnt_depctr 0xfff
	v_dual_fmac_f32 v77, v100, v71 :: v_dual_mul_f32 v70, 0x3fb8aa3b, v70
	v_cndmask_b32_e32 v71, v99, v102, vcc_lo
	v_fmac_f32_e32 v77, v97, v72
	s_delay_alu instid0(VALU_DEP_3) | instskip(NEXT) | instid1(VALU_DEP_1)
	v_exp_f32_e32 v96, v70
	v_fmac_f32_e32 v77, v95, v73
	s_delay_alu instid0(VALU_DEP_1) | instskip(SKIP_2) | instid1(VALU_DEP_1)
	v_fmac_f32_e32 v77, v94, v74
	s_waitcnt_depctr 0xfff
	v_fmac_f32_e32 v77, v96, v75
	v_add_f32_e32 v74, 0x358637bd, v77
	s_delay_alu instid0(VALU_DEP_1) | instskip(SKIP_1) | instid1(VALU_DEP_2)
	v_div_scale_f32 v98, null, v74, v74, 1.0
	v_div_scale_f32 v99, vcc_lo, 1.0, v74, 1.0
	v_rcp_f32_e32 v103, v98
	s_waitcnt_depctr 0xfff
	v_fma_f32 v70, -v98, v103, 1.0
	s_delay_alu instid0(VALU_DEP_1) | instskip(SKIP_2) | instid1(VALU_DEP_2)
	v_fmac_f32_e32 v103, v70, v103
	v_cndmask_b32_e64 v70, v71, v101, s2
	v_cmp_eq_u32_e64 s2, 6, v69
	v_cndmask_b32_e64 v71, v70, v100, s3
	s_delay_alu instid0(VALU_DEP_4) | instskip(NEXT) | instid1(VALU_DEP_2)
	v_dual_mul_f32 v101, v99, v103 :: v_dual_lshlrev_b32 v70, 2, v66
	v_cndmask_b32_e64 v71, v71, v97, s4
	s_delay_alu instid0(VALU_DEP_2) | instskip(NEXT) | instid1(VALU_DEP_3)
	v_or_b32_e32 v72, 1, v70
	v_fma_f32 v100, -v98, v101, v99
	v_cmp_eq_u32_e64 s3, 1, v70
	v_cmp_eq_u32_e64 s4, 2, v70
	v_cndmask_b32_e64 v95, v71, v95, s5
	v_or_b32_e32 v71, 3, v70
	v_fmac_f32_e32 v101, v100, v103
	v_cmp_eq_u32_e64 s8, 1, v72
	v_cmp_eq_u32_e64 s11, 2, v72
	v_cndmask_b32_e64 v94, v95, v94, s2
	v_cmp_eq_u32_e64 s10, 1, v71
	v_fma_f32 v97, -v98, v101, v99
	v_cmp_eq_u32_e64 s15, 2, v71
	v_cmp_eq_u32_e64 s12, 3, v72
	v_cndmask_b32_e64 v94, v94, v96, s6
	v_cmp_eq_u32_e64 s17, 3, v71
	v_div_fmas_f32 v95, v97, v103, v101
	v_cmp_eq_u32_e32 vcc_lo, 3, v70
	v_cmp_eq_u32_e64 s2, 4, v70
	v_cmp_eq_u32_e64 s18, 4, v72
	;; [unrolled: 1-line block ×3, first 2 shown]
	v_div_fixup_f32 v95, v95, v74, 1.0
	v_lshlrev_b32_e32 v73, 6, v68
	v_cmp_eq_u32_e64 s5, 5, v70
	v_cmp_eq_u32_e64 s19, 5, v72
	;; [unrolled: 1-line block ×3, first 2 shown]
	v_mul_f32_e32 v102, v94, v95
	v_lshl_or_b32 v75, v69, 11, v73
	v_or_b32_e32 v69, 2, v70
	v_cmp_eq_u32_e64 s24, 6, v72
	v_cmp_eq_u32_e64 s26, 6, v71
	v_fma_mixlo_f16 v94, v102, v79, 0
	v_fma_mixlo_f16 v95, v102, v81, 0
	;; [unrolled: 1-line block ×8, first 2 shown]
	v_lshl_or_b32 v74, v66, 4, v75
	v_fma_mixhi_f16 v94, v102, v78, 0
	v_fma_mixhi_f16 v95, v102, v80, 0
	;; [unrolled: 1-line block ×8, first 2 shown]
	ds_store_b128 v74, v[94:97]
	ds_store_b128 v74, v[98:101] offset:1024
	s_waitcnt lgkmcnt(0)
	s_barrier
	buffer_gl0_inv
	ds_load_b128 v[78:81], v75
	ds_load_b128 v[82:85], v75 offset:16
	ds_load_b128 v[86:89], v75 offset:1024
	;; [unrolled: 1-line block ×3, first 2 shown]
	v_cmp_eq_u32_e64 s9, 1, v69
	v_cmp_eq_u32_e64 s13, 2, v69
	v_cmp_eq_u32_e64 s16, 3, v69
	v_cmp_eq_u32_e64 s20, 4, v69
	v_cmp_eq_u32_e64 s22, 5, v69
	v_cmp_eq_u32_e64 s6, 6, v70
	v_cmp_eq_u32_e64 s25, 6, v69
	v_cmp_eq_u32_e64 s28, 7, v71
	v_cmp_eq_u32_e64 s29, 7, v72
	v_cmp_eq_u32_e64 s7, 7, v70
	v_cmp_eq_u32_e64 s27, 7, v69
	s_waitcnt lgkmcnt(3)
	v_lshrrev_b32_e32 v94, 16, v78
	s_waitcnt lgkmcnt(2)
	v_lshrrev_b32_e32 v98, 16, v82
	;; [unrolled: 2-line block ×4, first 2 shown]
	v_lshrrev_b32_e32 v95, 16, v79
	v_cndmask_b32_e64 v110, v78, v94, s3
	v_cndmask_b32_e64 v111, v82, v98, s3
	;; [unrolled: 1-line block ×8, first 2 shown]
	v_lshrrev_b32_e32 v99, 16, v83
	v_cndmask_b32_e64 v94, v86, v102, s3
	v_cndmask_b32_e64 v98, v90, v106, s3
	;; [unrolled: 1-line block ×15, first 2 shown]
	v_lshrrev_b32_e32 v103, 16, v87
	v_lshrrev_b32_e32 v107, 16, v91
	v_cndmask_b32_e64 v113, v115, v83, s13
	v_cndmask_b32_e64 v82, v94, v87, s4
	;; [unrolled: 1-line block ×7, first 2 shown]
	v_cndmask_b32_e32 v90, v102, v95, vcc_lo
	v_cndmask_b32_e32 v102, v106, v99, vcc_lo
	v_cndmask_b32_e64 v106, v110, v95, s12
	v_cndmask_b32_e64 v110, v111, v99, s12
	;; [unrolled: 1-line block ×4, first 2 shown]
	v_lshrrev_b32_e32 v96, 16, v80
	v_lshrrev_b32_e32 v100, 16, v84
	v_cndmask_b32_e64 v111, v112, v95, s16
	v_cndmask_b32_e64 v112, v113, v99, s16
	v_cndmask_b32_e32 v82, v82, v103, vcc_lo
	v_cndmask_b32_e32 v83, v83, v107, vcc_lo
	v_cndmask_b32_e64 v94, v94, v103, s12
	v_cndmask_b32_e64 v90, v90, v80, s2
	;; [unrolled: 1-line block ×7, first 2 shown]
	v_lshrrev_b32_e32 v104, 16, v88
	v_cndmask_b32_e64 v106, v111, v80, s20
	v_cndmask_b32_e64 v110, v112, v84, s20
	v_cndmask_b32_e64 v80, v82, v88, s2
	v_cndmask_b32_e64 v82, v83, v92, s2
	v_cndmask_b32_e64 v83, v94, v88, s18
	v_cndmask_b32_e64 v84, v90, v96, s5
	v_cndmask_b32_e64 v90, v95, v100, s5
	v_cndmask_b32_e64 v94, v99, v96, s19
	v_cndmask_b32_e64 v95, v102, v100, s19
	v_cndmask_b32_e64 v78, v78, v96, s23
	v_cndmask_b32_e64 v79, v79, v100, s23
	v_lshrrev_b32_e32 v97, 16, v81
	v_lshrrev_b32_e32 v101, 16, v85
	v_cndmask_b32_e64 v99, v106, v96, s22
	v_cndmask_b32_e64 v102, v110, v100, s22
	;; [unrolled: 1-line block ×7, first 2 shown]
	v_lshrrev_b32_e32 v105, 16, v89
	v_cndmask_b32_e64 v80, v80, v104, s5
	v_cndmask_b32_e64 v84, v84, v81, s6
	v_cndmask_b32_e64 v90, v90, v85, s6
	v_cndmask_b32_e64 v96, v99, v81, s25
	v_cndmask_b32_e64 v99, v102, v85, s25
	v_cndmask_b32_e64 v81, v83, v89, s24
	v_cndmask_b32_e64 v85, v94, v97, s29
	v_cndmask_b32_e64 v78, v78, v97, s28
	v_cndmask_b32_e64 v79, v79, v101, s28
	v_cndmask_b32_e64 v95, v95, v101, s29
	v_cndmask_b32_e64 v80, v80, v89, s6
	v_cndmask_b32_e64 v83, v84, v97, s7
	v_cndmask_b32_e64 v84, v90, v101, s7
	v_cndmask_b32_e64 v90, v96, v97, s27
	v_cndmask_b32_e64 v94, v99, v101, s27
	v_cndmask_b32_e64 v97, v81, v105, s29
	v_perm_b32 v81, v79, v78, 0x5040100
	v_perm_b32 v79, v95, v85, 0x5040100
	v_cndmask_b32_e64 v78, v119, v91, s13
	v_cndmask_b32_e64 v85, v117, v91, s11
	;; [unrolled: 1-line block ×3, first 2 shown]
	v_perm_b32 v80, v94, v90, 0x5040100
	v_cndmask_b32_e64 v90, v98, v103, s16
	v_cndmask_b32_e64 v86, v86, v103, s17
	;; [unrolled: 1-line block ×5, first 2 shown]
	v_lshrrev_b32_e32 v108, 16, v92
	v_cndmask_b32_e64 v90, v90, v88, s20
	v_cndmask_b32_e64 v86, v86, v88, s21
	;; [unrolled: 1-line block ×11, first 2 shown]
	v_lshrrev_b32_e32 v109, 16, v93
	v_cndmask_b32_e64 v82, v82, v93, s6
	v_cndmask_b32_e64 v88, v88, v89, s25
	;; [unrolled: 1-line block ×12, first 2 shown]
	v_perm_b32 v78, v84, v83, 0x5040100
	v_perm_b32 v85, v87, v86, 0x5040100
	;; [unrolled: 1-line block ×5, first 2 shown]
	s_mul_i32 s7, s33, 14
	s_mov_b32 s2, exec_lo
	ds_store_b128 v74, v[78:81]
	ds_store_b128 v74, v[82:85] offset:1024
	v_cmpx_gt_u32_e32 14, v0
	s_cbranch_execz .LBB1275_14
; %bb.13:
	s_mul_i32 s3, s7, s30
	s_load_b128 s[8:11], s[0:1], 0x58
	v_add3_u32 v68, s3, s31, v68
	s_delay_alu instid0(VALU_DEP_1) | instskip(NEXT) | instid1(VALU_DEP_1)
	v_mad_u64_u32 v[78:79], null, v68, s34, s[14:15]
	v_ashrrev_i32_e32 v79, 31, v78
	s_delay_alu instid0(VALU_DEP_1) | instskip(SKIP_1) | instid1(VALU_DEP_1)
	v_lshlrev_b64 v[78:79], 2, v[78:79]
	s_waitcnt lgkmcnt(0)
	v_add_co_u32 v80, vcc_lo, s10, v78
	s_delay_alu instid0(VALU_DEP_2)
	v_add_co_ci_u32_e32 v81, vcc_lo, s11, v79, vcc_lo
	v_add_co_u32 v78, vcc_lo, s8, v78
	v_add_co_ci_u32_e32 v79, vcc_lo, s9, v79, vcc_lo
	global_store_b32 v[80:81], v76, off
	global_store_b32 v[78:79], v77, off
.LBB1275_14:
	s_or_b32 exec_lo, exec_lo, s2
	s_waitcnt lgkmcnt(0)
	s_waitcnt_vscnt null, 0x0
	s_barrier
	buffer_gl0_inv
	ds_load_b128 v[84:87], v73
	ds_load_b128 v[88:91], v73 offset:16
	ds_load_b128 v[96:99], v73 offset:2064
	;; [unrolled: 1-line block ×5, first 2 shown]
	v_cmp_eq_u32_e32 vcc_lo, 1, v70
	v_mov_b32_e32 v76, 0
	ds_load_b128 v[112:115], v73 offset:6160
	ds_load_b128 v[108:111], v73 offset:6144
	;; [unrolled: 1-line block ×4, first 2 shown]
	v_cmp_eq_u32_e64 s3, 1, v69
	v_cmp_eq_u32_e64 s2, 1, v72
	;; [unrolled: 1-line block ×3, first 2 shown]
	v_mov_b32_e32 v77, v76
	v_mov_b32_e32 v78, v76
	;; [unrolled: 1-line block ×7, first 2 shown]
	v_cmp_eq_u32_e64 s5, 3, v72
	v_cmp_eq_u32_e64 s6, 7, v72
	s_waitcnt lgkmcnt(8)
	s_delay_alu instid0(VALU_DEP_3)
	v_wmma_f32_16x16x16_f16 v[76:83], v[49:56], v[84:91], v[76:83]
	ds_load_b128 v[53:56], v73 offset:10256
	ds_load_b128 v[49:52], v73 offset:10240
	s_waitcnt lgkmcnt(8)
	v_wmma_f32_16x16x16_f16 v[76:83], v[41:48], v[92:99], v[76:83]
	ds_load_b128 v[45:48], v73 offset:12304
	ds_load_b128 v[41:44], v73 offset:12288
	s_waitcnt lgkmcnt(8)
	;; [unrolled: 4-line block ×3, first 2 shown]
	s_barrier
	buffer_gl0_inv
	v_wmma_f32_16x16x16_f16 v[76:83], v[1:8], v[108:115], v[76:83]
	s_delay_alu instid0(VALU_DEP_1) | instskip(NEXT) | instid1(VALU_DEP_1)
	v_wmma_f32_16x16x16_f16 v[76:83], v[9:16], v[116:123], v[76:83]
	v_wmma_f32_16x16x16_f16 v[76:83], v[17:24], v[49:56], v[76:83]
	s_delay_alu instid0(VALU_DEP_1) | instskip(NEXT) | instid1(VALU_DEP_1)
	v_wmma_f32_16x16x16_f16 v[76:83], v[25:32], v[41:48], v[76:83]
	v_wmma_f32_16x16x16_f16 v[76:83], v[57:64], v[33:40], v[76:83]
	s_delay_alu instid0(VALU_DEP_1) | instskip(NEXT) | instid1(VALU_DEP_2)
	v_cvt_f16_f32_e32 v1, v76
	v_cvt_f16_f32_e32 v2, v77
	s_delay_alu instid0(VALU_DEP_3) | instskip(NEXT) | instid1(VALU_DEP_4)
	v_cvt_f16_f32_e32 v3, v78
	v_cvt_f16_f32_e32 v4, v79
	;; [unrolled: 1-line block ×6, first 2 shown]
	v_pack_b32_f16 v1, v1, v2
	v_pack_b32_f16 v2, v3, v4
	;; [unrolled: 1-line block ×3, first 2 shown]
	s_delay_alu instid0(VALU_DEP_4)
	v_pack_b32_f16 v4, v7, v8
	ds_store_b128 v74, v[1:4]
	s_waitcnt lgkmcnt(0)
	s_barrier
	buffer_gl0_inv
	ds_load_b128 v[1:4], v75
	ds_load_b128 v[5:8], v75 offset:16
	s_waitcnt lgkmcnt(1)
	v_lshrrev_b32_e32 v9, 16, v1
	s_waitcnt lgkmcnt(0)
	v_lshrrev_b32_e32 v13, 16, v5
	v_lshrrev_b32_e32 v10, 16, v2
	;; [unrolled: 1-line block ×4, first 2 shown]
	v_cndmask_b32_e32 v17, v1, v9, vcc_lo
	v_cndmask_b32_e32 v18, v5, v13, vcc_lo
	v_cndmask_b32_e64 v21, v1, v9, s3
	v_cmp_eq_u32_e32 vcc_lo, 1, v71
	v_cndmask_b32_e64 v22, v5, v13, s3
	v_cmp_eq_u32_e64 s3, 2, v70
	v_cndmask_b32_e64 v19, v1, v9, s2
	v_cndmask_b32_e64 v20, v5, v13, s2
	v_cndmask_b32_e32 v1, v1, v9, vcc_lo
	v_cmp_eq_u32_e64 s2, 2, v71
	v_cndmask_b32_e32 v5, v5, v13, vcc_lo
	v_cndmask_b32_e64 v9, v17, v2, s3
	v_cmp_eq_u32_e32 vcc_lo, 3, v70
	v_cndmask_b32_e64 v13, v18, v6, s3
	v_cmp_eq_u32_e64 s3, 2, v69
	v_cndmask_b32_e64 v17, v19, v2, s4
	v_cndmask_b32_e64 v18, v20, v6, s4
	v_cmp_eq_u32_e64 s4, 3, v69
	v_cndmask_b32_e64 v1, v1, v2, s2
	v_cndmask_b32_e64 v19, v21, v2, s3
	;; [unrolled: 1-line block ×4, first 2 shown]
	v_cndmask_b32_e32 v5, v9, v10, vcc_lo
	v_cndmask_b32_e32 v6, v13, v14, vcc_lo
	v_cmp_eq_u32_e32 vcc_lo, 3, v71
	v_cndmask_b32_e64 v9, v17, v10, s5
	v_cndmask_b32_e64 v13, v18, v14, s5
	v_cndmask_b32_e64 v18, v20, v14, s4
	v_cmp_eq_u32_e64 s3, 4, v70
	v_cndmask_b32_e32 v1, v1, v10, vcc_lo
	v_cndmask_b32_e32 v2, v2, v14, vcc_lo
	v_cmp_eq_u32_e32 vcc_lo, 4, v72
	v_lshrrev_b32_e32 v15, 16, v7
	v_lshrrev_b32_e32 v16, 16, v8
	v_cndmask_b32_e64 v17, v19, v10, s4
	v_cmp_eq_u32_e64 s2, 4, v71
	v_cndmask_b32_e64 v5, v5, v3, s3
	v_cndmask_b32_e64 v6, v6, v7, s3
	v_cndmask_b32_e32 v9, v9, v3, vcc_lo
	v_cmp_eq_u32_e64 s3, 5, v72
	v_cndmask_b32_e32 v10, v13, v7, vcc_lo
	v_cmp_eq_u32_e32 vcc_lo, 4, v69
	v_cmp_eq_u32_e64 s4, 5, v70
	v_cndmask_b32_e64 v2, v2, v7, s2
	v_cndmask_b32_e64 v9, v9, v11, s3
	;; [unrolled: 1-line block ×3, first 2 shown]
	v_cndmask_b32_e32 v13, v17, v3, vcc_lo
	v_cmp_eq_u32_e64 s3, 5, v69
	v_cndmask_b32_e32 v14, v18, v7, vcc_lo
	v_cndmask_b32_e64 v1, v1, v3, s2
	v_cmp_eq_u32_e32 vcc_lo, 5, v71
	v_lshrrev_b32_e32 v12, 16, v4
	v_cndmask_b32_e64 v13, v13, v11, s3
	v_cndmask_b32_e64 v3, v14, v15, s3
	v_cmp_eq_u32_e64 s3, 6, v71
	v_cndmask_b32_e32 v1, v1, v11, vcc_lo
	v_cndmask_b32_e64 v5, v5, v11, s4
	v_cmp_eq_u32_e64 s5, 6, v70
	v_cndmask_b32_e64 v6, v6, v15, s4
	v_cmp_eq_u32_e64 s4, 6, v72
	v_cmp_eq_u32_e64 s2, 6, v69
	v_cndmask_b32_e64 v1, v1, v4, s3
	v_cndmask_b32_e32 v2, v2, v15, vcc_lo
	v_cmp_eq_u32_e32 vcc_lo, 7, v71
	v_cndmask_b32_e64 v5, v5, v4, s5
	v_cndmask_b32_e64 v9, v9, v4, s4
	;; [unrolled: 1-line block ×3, first 2 shown]
	v_cmp_eq_u32_e64 s5, 7, v70
	v_cndmask_b32_e32 v1, v1, v12, vcc_lo
	v_cndmask_b32_e64 v7, v13, v4, s2
	v_cndmask_b32_e64 v3, v3, v8, s2
	;; [unrolled: 1-line block ×3, first 2 shown]
	v_cmp_eq_u32_e64 s2, 7, v69
	v_cndmask_b32_e64 v4, v10, v8, s4
	v_cndmask_b32_e64 v5, v5, v12, s5
	;; [unrolled: 1-line block ×3, first 2 shown]
	v_cndmask_b32_e32 v2, v2, v16, vcc_lo
	v_cndmask_b32_e64 v7, v7, v12, s2
	v_cndmask_b32_e64 v3, v3, v16, s2
	;; [unrolled: 1-line block ×4, first 2 shown]
	v_perm_b32 v4, v2, v1, 0x5040100
	s_mov_b32 s2, exec_lo
	v_perm_b32 v3, v3, v7, 0x5040100
	v_perm_b32 v2, v8, v9, 0x5040100
	;; [unrolled: 1-line block ×3, first 2 shown]
	ds_store_b128 v74, v[1:4]
	s_waitcnt lgkmcnt(0)
	s_barrier
	buffer_gl0_inv
	v_cmpx_gt_u32_e32 32, v0
	s_cbranch_execz .LBB1275_2
; %bb.15:
	s_load_b64 s[0:1], s[0:1], 0x68
	v_lshlrev_b32_e32 v0, 10, v0
	s_lshl_b32 s4, s34, 7
	v_or_b32_e32 v3, s31, v66
	s_mul_i32 s2, s4, s30
	v_lshlrev_b32_e32 v1, 4, v67
	v_lshlrev_b32_e32 v2, 6, v66
	v_and_b32_e32 v0, 0x3800, v0
	s_mul_i32 s2, s2, s7
	v_mul_lo_u32 v8, v3, s4
	s_ashr_i32 s3, s2, 31
	s_delay_alu instid0(SALU_CYCLE_1)
	s_lshl_b64 s[2:3], s[2:3], 1
	v_or3_b32 v16, v0, v1, v2
	ds_load_b128 v[0:3], v16
	ds_load_b128 v[4:7], v16 offset:128
	v_ashrrev_i32_e32 v9, 31, v8
	s_waitcnt lgkmcnt(0)
	s_add_u32 s2, s0, s2
	s_addc_u32 s3, s1, s3
	s_lshl_b32 s0, s14, 7
	s_delay_alu instid0(SALU_CYCLE_1) | instskip(SKIP_2) | instid1(SALU_CYCLE_1)
	s_ashr_i32 s1, s0, 31
	v_lshlrev_b64 v[9:10], 1, v[8:9]
	s_lshl_b64 s[0:1], s[0:1], 1
	s_add_u32 s0, s2, s0
	s_addc_u32 s1, s3, s1
	s_lshl_b32 s2, s34, 8
	v_add_co_u32 v30, s0, s0, v65
	v_add_nc_u32_e32 v11, s2, v8
	v_add_co_ci_u32_e64 v31, null, s1, 0, s0
	s_delay_alu instid0(VALU_DEP_3) | instskip(NEXT) | instid1(VALU_DEP_3)
	v_add_co_u32 v9, vcc_lo, v30, v9
	v_add_nc_u32_e32 v8, s2, v11
	s_delay_alu instid0(VALU_DEP_3) | instskip(SKIP_1) | instid1(VALU_DEP_3)
	v_add_co_ci_u32_e32 v10, vcc_lo, v31, v10, vcc_lo
	v_ashrrev_i32_e32 v12, 31, v11
	v_add_nc_u32_e32 v13, s2, v8
	global_store_b128 v[9:10], v[0:3], off
	v_ashrrev_i32_e32 v9, 31, v8
	v_lshlrev_b64 v[11:12], 1, v[11:12]
	v_ashrrev_i32_e32 v14, 31, v13
	v_add_nc_u32_e32 v10, s2, v13
	s_delay_alu instid0(VALU_DEP_4) | instskip(NEXT) | instid1(VALU_DEP_4)
	v_lshlrev_b64 v[2:3], 1, v[8:9]
	v_add_co_u32 v0, vcc_lo, v30, v11
	s_delay_alu instid0(VALU_DEP_4)
	v_lshlrev_b64 v[8:9], 1, v[13:14]
	v_add_co_ci_u32_e32 v1, vcc_lo, v31, v12, vcc_lo
	v_ashrrev_i32_e32 v11, 31, v10
	v_add_co_u32 v22, vcc_lo, v30, v2
	v_add_nc_u32_e32 v20, s2, v10
	v_add_co_ci_u32_e32 v23, vcc_lo, v31, v3, vcc_lo
	v_add_co_u32 v24, vcc_lo, v30, v8
	global_store_b128 v[0:1], v[4:7], off
	v_add_co_ci_u32_e32 v25, vcc_lo, v31, v9, vcc_lo
	ds_load_b128 v[0:3], v16 offset:256
	ds_load_b128 v[4:7], v16 offset:384
	v_lshlrev_b64 v[26:27], 1, v[10:11]
	ds_load_b128 v[8:11], v16 offset:512
	ds_load_b128 v[12:15], v16 offset:640
	;; [unrolled: 1-line block ×3, first 2 shown]
	v_add_nc_u32_e32 v28, s2, v20
	v_ashrrev_i32_e32 v21, 31, v20
	v_add_co_u32 v26, vcc_lo, v30, v26
	s_delay_alu instid0(VALU_DEP_3) | instskip(NEXT) | instid1(VALU_DEP_3)
	v_ashrrev_i32_e32 v29, 31, v28
	v_lshlrev_b64 v[20:21], 1, v[20:21]
	v_add_co_ci_u32_e32 v27, vcc_lo, v31, v27, vcc_lo
	s_delay_alu instid0(VALU_DEP_3) | instskip(NEXT) | instid1(VALU_DEP_3)
	v_lshlrev_b64 v[28:29], 1, v[28:29]
	v_add_co_u32 v20, vcc_lo, v30, v20
	s_delay_alu instid0(VALU_DEP_4) | instskip(NEXT) | instid1(VALU_DEP_3)
	v_add_co_ci_u32_e32 v21, vcc_lo, v31, v21, vcc_lo
	v_add_co_u32 v28, vcc_lo, v30, v28
	s_delay_alu instid0(VALU_DEP_4)
	v_add_co_ci_u32_e32 v29, vcc_lo, v31, v29, vcc_lo
	s_waitcnt lgkmcnt(4)
	global_store_b128 v[22:23], v[0:3], off
	s_waitcnt lgkmcnt(3)
	global_store_b128 v[24:25], v[4:7], off
	;; [unrolled: 2-line block ×5, first 2 shown]
	s_nop 0
	s_sendmsg sendmsg(MSG_DEALLOC_VGPRS)
	s_endpgm
	.section	.rodata,"a",@progbits
	.p2align	6, 0x0
	.amdhsa_kernel _Z39paged_attention_ll4mi_QKV_mfma16_kernelIDF16_hLN4vllm18Fp8KVCacheDataTypeE1EDF16_Li16ELi128ELi256ELb0ELi14EL8MFMAType0EEvPKT_PKT0_S8_ifPKiSA_SA_iPKfiiiPfSD_PS3_PT2_iSC_SC_
		.amdhsa_group_segment_fixed_size 17472
		.amdhsa_private_segment_fixed_size 0
		.amdhsa_kernarg_size 400
		.amdhsa_user_sgpr_count 13
		.amdhsa_user_sgpr_dispatch_ptr 0
		.amdhsa_user_sgpr_queue_ptr 0
		.amdhsa_user_sgpr_kernarg_segment_ptr 1
		.amdhsa_user_sgpr_dispatch_id 0
		.amdhsa_user_sgpr_private_segment_size 0
		.amdhsa_wavefront_size32 1
		.amdhsa_uses_dynamic_stack 0
		.amdhsa_enable_private_segment 0
		.amdhsa_system_sgpr_workgroup_id_x 1
		.amdhsa_system_sgpr_workgroup_id_y 1
		.amdhsa_system_sgpr_workgroup_id_z 1
		.amdhsa_system_sgpr_workgroup_info 0
		.amdhsa_system_vgpr_workitem_id 0
		.amdhsa_next_free_vgpr 150
		.amdhsa_next_free_sgpr 36
		.amdhsa_reserve_vcc 1
		.amdhsa_float_round_mode_32 0
		.amdhsa_float_round_mode_16_64 0
		.amdhsa_float_denorm_mode_32 3
		.amdhsa_float_denorm_mode_16_64 3
		.amdhsa_dx10_clamp 1
		.amdhsa_ieee_mode 1
		.amdhsa_fp16_overflow 0
		.amdhsa_workgroup_processor_mode 1
		.amdhsa_memory_ordered 1
		.amdhsa_forward_progress 0
		.amdhsa_shared_vgpr_count 0
		.amdhsa_exception_fp_ieee_invalid_op 0
		.amdhsa_exception_fp_denorm_src 0
		.amdhsa_exception_fp_ieee_div_zero 0
		.amdhsa_exception_fp_ieee_overflow 0
		.amdhsa_exception_fp_ieee_underflow 0
		.amdhsa_exception_fp_ieee_inexact 0
		.amdhsa_exception_int_div_zero 0
	.end_amdhsa_kernel
	.section	.text._Z39paged_attention_ll4mi_QKV_mfma16_kernelIDF16_hLN4vllm18Fp8KVCacheDataTypeE1EDF16_Li16ELi128ELi256ELb0ELi14EL8MFMAType0EEvPKT_PKT0_S8_ifPKiSA_SA_iPKfiiiPfSD_PS3_PT2_iSC_SC_,"axG",@progbits,_Z39paged_attention_ll4mi_QKV_mfma16_kernelIDF16_hLN4vllm18Fp8KVCacheDataTypeE1EDF16_Li16ELi128ELi256ELb0ELi14EL8MFMAType0EEvPKT_PKT0_S8_ifPKiSA_SA_iPKfiiiPfSD_PS3_PT2_iSC_SC_,comdat
.Lfunc_end1275:
	.size	_Z39paged_attention_ll4mi_QKV_mfma16_kernelIDF16_hLN4vllm18Fp8KVCacheDataTypeE1EDF16_Li16ELi128ELi256ELb0ELi14EL8MFMAType0EEvPKT_PKT0_S8_ifPKiSA_SA_iPKfiiiPfSD_PS3_PT2_iSC_SC_, .Lfunc_end1275-_Z39paged_attention_ll4mi_QKV_mfma16_kernelIDF16_hLN4vllm18Fp8KVCacheDataTypeE1EDF16_Li16ELi128ELi256ELb0ELi14EL8MFMAType0EEvPKT_PKT0_S8_ifPKiSA_SA_iPKfiiiPfSD_PS3_PT2_iSC_SC_
                                        ; -- End function
	.section	.AMDGPU.csdata,"",@progbits
; Kernel info:
; codeLenInByte = 6804
; NumSgprs: 38
; NumVgprs: 150
; ScratchSize: 0
; MemoryBound: 0
; FloatMode: 240
; IeeeMode: 1
; LDSByteSize: 17472 bytes/workgroup (compile time only)
; SGPRBlocks: 4
; VGPRBlocks: 18
; NumSGPRsForWavesPerEU: 38
; NumVGPRsForWavesPerEU: 150
; Occupancy: 9
; WaveLimiterHint : 1
; COMPUTE_PGM_RSRC2:SCRATCH_EN: 0
; COMPUTE_PGM_RSRC2:USER_SGPR: 13
; COMPUTE_PGM_RSRC2:TRAP_HANDLER: 0
; COMPUTE_PGM_RSRC2:TGID_X_EN: 1
; COMPUTE_PGM_RSRC2:TGID_Y_EN: 1
; COMPUTE_PGM_RSRC2:TGID_Z_EN: 1
; COMPUTE_PGM_RSRC2:TIDIG_COMP_CNT: 0
	.section	.text._Z39paged_attention_ll4mi_QKV_mfma16_kernelIDF16_hLN4vllm18Fp8KVCacheDataTypeE1EDF16_Li16ELi128ELi256ELb0ELi15EL8MFMAType0EEvPKT_PKT0_S8_ifPKiSA_SA_iPKfiiiPfSD_PS3_PT2_iSC_SC_,"axG",@progbits,_Z39paged_attention_ll4mi_QKV_mfma16_kernelIDF16_hLN4vllm18Fp8KVCacheDataTypeE1EDF16_Li16ELi128ELi256ELb0ELi15EL8MFMAType0EEvPKT_PKT0_S8_ifPKiSA_SA_iPKfiiiPfSD_PS3_PT2_iSC_SC_,comdat
	.protected	_Z39paged_attention_ll4mi_QKV_mfma16_kernelIDF16_hLN4vllm18Fp8KVCacheDataTypeE1EDF16_Li16ELi128ELi256ELb0ELi15EL8MFMAType0EEvPKT_PKT0_S8_ifPKiSA_SA_iPKfiiiPfSD_PS3_PT2_iSC_SC_ ; -- Begin function _Z39paged_attention_ll4mi_QKV_mfma16_kernelIDF16_hLN4vllm18Fp8KVCacheDataTypeE1EDF16_Li16ELi128ELi256ELb0ELi15EL8MFMAType0EEvPKT_PKT0_S8_ifPKiSA_SA_iPKfiiiPfSD_PS3_PT2_iSC_SC_
	.globl	_Z39paged_attention_ll4mi_QKV_mfma16_kernelIDF16_hLN4vllm18Fp8KVCacheDataTypeE1EDF16_Li16ELi128ELi256ELb0ELi15EL8MFMAType0EEvPKT_PKT0_S8_ifPKiSA_SA_iPKfiiiPfSD_PS3_PT2_iSC_SC_
	.p2align	8
	.type	_Z39paged_attention_ll4mi_QKV_mfma16_kernelIDF16_hLN4vllm18Fp8KVCacheDataTypeE1EDF16_Li16ELi128ELi256ELb0ELi15EL8MFMAType0EEvPKT_PKT0_S8_ifPKiSA_SA_iPKfiiiPfSD_PS3_PT2_iSC_SC_,@function
_Z39paged_attention_ll4mi_QKV_mfma16_kernelIDF16_hLN4vllm18Fp8KVCacheDataTypeE1EDF16_Li16ELi128ELi256ELb0ELi15EL8MFMAType0EEvPKT_PKT0_S8_ifPKiSA_SA_iPKfiiiPfSD_PS3_PT2_iSC_SC_: ; @_Z39paged_attention_ll4mi_QKV_mfma16_kernelIDF16_hLN4vllm18Fp8KVCacheDataTypeE1EDF16_Li16ELi128ELi256ELb0ELi15EL8MFMAType0EEvPKT_PKT0_S8_ifPKiSA_SA_iPKfiiiPfSD_PS3_PT2_iSC_SC_
; %bb.0:
	s_load_b64 s[4:5], s[0:1], 0x30
	s_mov_b32 s34, s13
	s_waitcnt lgkmcnt(0)
	s_cmp_lg_u64 s[4:5], 0
	s_cselect_b32 s8, -1, 0
	s_ashr_i32 s35, s13, 31
	s_cmp_eq_u64 s[4:5], 0
	s_cbranch_scc1 .LBB1276_3
; %bb.1:
	s_lshl_b64 s[2:3], s[34:35], 2
	s_delay_alu instid0(SALU_CYCLE_1) | instskip(SKIP_4) | instid1(SALU_CYCLE_1)
	s_add_u32 s2, s4, s2
	s_addc_u32 s3, s5, s3
	s_load_b64 s[2:3], s[2:3], 0x0
	s_waitcnt lgkmcnt(0)
	s_sub_i32 s2, s3, s2
	s_cmp_eq_u32 s2, 1
	s_cselect_b32 s2, -1, 0
	s_delay_alu instid0(SALU_CYCLE_1)
	s_and_not1_b32 vcc_lo, exec_lo, s2
	s_cbranch_vccz .LBB1276_4
.LBB1276_2:
	s_nop 0
	s_sendmsg sendmsg(MSG_DEALLOC_VGPRS)
	s_endpgm
.LBB1276_3:
.LBB1276_4:
	s_load_b64 s[2:3], s[0:1], 0x28
	s_lshl_b64 s[6:7], s[34:35], 2
	s_waitcnt lgkmcnt(0)
	s_add_u32 s2, s2, s6
	s_addc_u32 s3, s3, s7
	s_lshl_b32 s12, s14, 8
	s_load_b32 s24, s[2:3], 0x0
	s_waitcnt lgkmcnt(0)
	s_cmp_ge_i32 s12, s24
	s_cbranch_scc1 .LBB1276_2
; %bb.5:
	s_clause 0x1
	s_load_b128 s[20:23], s[0:1], 0x8
	s_load_b64 s[2:3], s[0:1], 0x20
	s_and_not1_b32 vcc_lo, exec_lo, s8
	s_cbranch_vccnz .LBB1276_7
; %bb.6:
	s_add_u32 s4, s4, s6
	s_addc_u32 s5, s5, s7
	s_load_b32 s5, s[4:5], 0x0
	s_branch .LBB1276_8
.LBB1276_7:
	s_mov_b32 s5, s34
.LBB1276_8:
	s_load_b128 s[16:19], s[0:1], 0x48
	v_and_b32_e32 v68, 15, v0
	v_lshrrev_b32_e32 v69, 5, v0
	v_bfe_u32 v66, v0, 4, 1
	v_and_b32_e32 v70, 31, v0
	v_and_b32_e32 v67, 1, v0
	v_lshlrev_b32_e32 v2, 3, v68
	s_mul_i32 s31, s15, 15
	v_lshl_or_b32 v1, v69, 1, v66
	s_mov_b32 s4, exec_lo
	s_delay_alu instid0(VALU_DEP_2) | instskip(NEXT) | instid1(VALU_DEP_2)
	v_lshlrev_b32_e32 v65, 1, v2
	v_cmpx_gt_u32_e32 15, v1
	s_cbranch_execz .LBB1276_10
; %bb.9:
	s_load_b64 s[6:7], s[0:1], 0x0
	v_add_lshl_u32 v2, v1, s31, 7
	s_waitcnt lgkmcnt(0)
	s_mul_hi_i32 s9, s5, s16
	s_mul_i32 s8, s5, s16
	v_lshlrev_b32_e32 v6, 10, v68
	s_lshl_b64 s[8:9], s[8:9], 1
	v_ashrrev_i32_e32 v3, 31, v2
	v_lshlrev_b32_e32 v1, 6, v1
	v_lshlrev_b32_e32 v7, 10, v67
	v_and_b32_e32 v6, 0x3800, v6
	s_delay_alu instid0(VALU_DEP_4) | instskip(NEXT) | instid1(VALU_DEP_2)
	v_lshlrev_b64 v[2:3], 1, v[2:3]
	v_or3_b32 v1, v6, v7, v1
	s_add_u32 s5, s6, s8
	s_addc_u32 s6, s7, s9
	s_delay_alu instid0(VALU_DEP_2) | instskip(NEXT) | instid1(VALU_DEP_3)
	v_add_co_u32 v2, vcc_lo, s5, v2
	v_add_co_ci_u32_e32 v3, vcc_lo, s6, v3, vcc_lo
	s_delay_alu instid0(VALU_DEP_2) | instskip(NEXT) | instid1(VALU_DEP_2)
	v_add_co_u32 v2, vcc_lo, v2, v65
	v_add_co_ci_u32_e32 v3, vcc_lo, 0, v3, vcc_lo
	global_load_b128 v[2:5], v[2:3], off
	s_waitcnt vmcnt(0)
	ds_store_b128 v1, v[2:5]
.LBB1276_10:
	s_or_b32 exec_lo, exec_lo, s4
	v_and_b32_e32 v1, 0xef, v0
	s_waitcnt lgkmcnt(0)
	s_add_i32 s5, s24, 15
	s_clause 0x1
	s_load_b32 s4, s[0:1], 0x38
	s_load_b32 s33, s[0:1], 0x98
	s_ashr_i32 s6, s5, 31
	v_add_nc_u32_e32 v1, s12, v1
	s_lshr_b32 s6, s6, 28
	s_load_b32 s19, s[0:1], 0x1c
	s_add_i32 s5, s5, s6
	s_waitcnt lgkmcnt(0)
	v_ashrrev_i32_e32 v2, 31, v1
	v_or_b32_e32 v3, 16, v1
	s_ashr_i32 s13, s5, 4
	v_cmp_gt_i32_e32 vcc_lo, s24, v1
	s_add_i32 s13, s13, -1
	v_lshrrev_b32_e32 v2, 28, v2
	s_barrier
	buffer_gl0_inv
	s_mul_i32 s15, s15, s18
	v_add_nc_u32_e32 v4, v1, v2
	s_mul_i32 s4, s34, s4
	s_delay_alu instid0(SALU_CYCLE_1) | instskip(NEXT) | instid1(VALU_DEP_1)
	s_ashr_i32 s5, s4, 31
	v_ashrrev_i32_e32 v4, 4, v4
	v_add_nc_u32_e32 v2, v3, v2
	s_lshl_b64 s[4:5], s[4:5], 2
	s_delay_alu instid0(SALU_CYCLE_1) | instskip(NEXT) | instid1(VALU_DEP_2)
	s_add_u32 s16, s2, s4
	v_cndmask_b32_e32 v1, s13, v4, vcc_lo
	s_delay_alu instid0(VALU_DEP_2)
	v_ashrrev_i32_e32 v2, 4, v2
	v_cmp_gt_i32_e32 vcc_lo, s24, v3
	s_addc_u32 s25, s3, s5
	s_ashr_i32 s18, s15, 31
	s_add_u32 s26, s20, s15
	s_addc_u32 s27, s21, s18
	v_cndmask_b32_e32 v3, s13, v2, vcc_lo
	v_ashrrev_i32_e32 v2, 31, v1
	s_lshl_b32 s2, s14, 4
	s_delay_alu instid0(SALU_CYCLE_1) | instskip(NEXT) | instid1(VALU_DEP_2)
	s_ashr_i32 s3, s2, 31
	v_ashrrev_i32_e32 v4, 31, v3
	s_delay_alu instid0(VALU_DEP_2) | instskip(SKIP_1) | instid1(SALU_CYCLE_1)
	v_lshlrev_b64 v[1:2], 2, v[1:2]
	s_lshl_b64 s[2:3], s[2:3], 2
	s_add_u32 s2, s16, s2
	s_delay_alu instid0(VALU_DEP_2) | instskip(SKIP_1) | instid1(VALU_DEP_2)
	v_lshlrev_b64 v[3:4], 2, v[3:4]
	s_addc_u32 s3, s25, s3
	v_add_co_u32 v1, vcc_lo, s16, v1
	v_add_co_ci_u32_e32 v2, vcc_lo, s25, v2, vcc_lo
	s_delay_alu instid0(VALU_DEP_3) | instskip(NEXT) | instid1(VALU_DEP_4)
	v_add_co_u32 v3, vcc_lo, s16, v3
	v_add_co_ci_u32_e32 v4, vcc_lo, s25, v4, vcc_lo
	s_clause 0x1
	global_load_b32 v5, v[1:2], off
	global_load_b32 v7, v[3:4], off
	s_or_b32 s4, s12, 32
	v_lshlrev_b32_e32 v1, 4, v0
	s_ashr_i32 s5, s4, 4
	s_cmp_lt_i32 s4, s24
	v_cmp_ne_u32_e32 vcc_lo, 15, v68
	s_cselect_b32 s4, s5, s13
	v_and_b32_e32 v1, 0xf0, v1
	s_ashr_i32 s5, s4, 31
	s_delay_alu instid0(SALU_CYCLE_1) | instskip(NEXT) | instid1(SALU_CYCLE_1)
	s_lshl_b64 s[4:5], s[4:5], 2
	s_add_u32 s4, s16, s4
	s_addc_u32 s5, s25, s5
	s_or_b32 s6, s12, 64
	v_add_co_u32 v1, s26, s26, v1
	s_ashr_i32 s7, s6, 4
	s_cmp_lt_i32 s6, s24
	v_add_co_ci_u32_e64 v2, null, s27, 0, s26
	s_cselect_b32 s6, s7, s13
	s_delay_alu instid0(SALU_CYCLE_1) | instskip(NEXT) | instid1(SALU_CYCLE_1)
	s_ashr_i32 s7, s6, 31
	s_lshl_b64 s[6:7], s[6:7], 2
	s_delay_alu instid0(SALU_CYCLE_1) | instskip(SKIP_2) | instid1(SALU_CYCLE_1)
	s_add_u32 s6, s16, s6
	s_addc_u32 s7, s25, s7
	s_or_b32 s8, s12, 0x60
	s_ashr_i32 s9, s8, 4
	s_cmp_lt_i32 s8, s24
	s_cselect_b32 s8, s9, s13
	s_delay_alu instid0(SALU_CYCLE_1) | instskip(NEXT) | instid1(SALU_CYCLE_1)
	s_ashr_i32 s9, s8, 31
	s_lshl_b64 s[8:9], s[8:9], 2
	s_delay_alu instid0(SALU_CYCLE_1) | instskip(SKIP_2) | instid1(SALU_CYCLE_1)
	s_add_u32 s8, s16, s8
	s_addc_u32 s9, s25, s9
	s_or_b32 s10, s12, 0x80
	s_ashr_i32 s11, s10, 4
	s_cmp_lt_i32 s10, s24
	;; [unrolled: 10-line block ×3, first 2 shown]
	s_cselect_b32 s20, s21, s13
	s_delay_alu instid0(SALU_CYCLE_1) | instskip(NEXT) | instid1(SALU_CYCLE_1)
	s_ashr_i32 s21, s20, 31
	s_lshl_b64 s[20:21], s[20:21], 2
	s_delay_alu instid0(SALU_CYCLE_1)
	s_add_u32 s20, s16, s20
	s_addc_u32 s21, s25, s21
	s_clause 0x5
	s_load_b32 s26, s[2:3], 0x0
	s_load_b32 s27, s[4:5], 0x0
	;; [unrolled: 1-line block ×6, first 2 shown]
	s_or_b32 s2, s12, 0xc0
	s_mov_b32 s4, 0
	s_ashr_i32 s3, s2, 4
	s_cmp_lt_i32 s2, s24
	s_mov_b32 s11, s4
	s_cselect_b32 s2, s3, s13
	s_mov_b32 s5, s4
	s_ashr_i32 s3, s2, 31
	s_mov_b32 s6, s4
	s_lshl_b64 s[2:3], s[2:3], 2
	s_mov_b32 s7, s4
	s_add_u32 s2, s16, s2
	s_addc_u32 s3, s25, s3
	s_or_b32 s20, s12, 0xe0
	s_mov_b32 s8, s4
	s_ashr_i32 s21, s20, 4
	s_cmp_lt_i32 s20, s24
	s_mov_b32 s9, s4
	s_cselect_b32 s20, s21, s13
	s_mov_b32 s10, s4
	s_ashr_i32 s21, s20, 31
	v_mov_b32_e32 v118, s11
	v_dual_mov_b32 v112, s5 :: v_dual_mov_b32 v117, s10
	v_dual_mov_b32 v116, s9 :: v_dual_mov_b32 v115, s8
	;; [unrolled: 1-line block ×3, first 2 shown]
	v_mov_b32_e32 v111, s4
	s_lshl_b64 s[4:5], s[20:21], 2
	s_delay_alu instid0(SALU_CYCLE_1)
	s_add_u32 s4, s16, s4
	s_addc_u32 s5, s25, s5
	s_add_u32 s6, s22, s15
	s_addc_u32 s7, s23, s18
	s_waitcnt vmcnt(1)
	v_mad_i64_i32 v[3:4], null, v5, s17, v[1:2]
	s_waitcnt vmcnt(0)
	v_mad_i64_i32 v[5:6], null, v7, s17, v[1:2]
	v_cndmask_b32_e32 v1, 0, v68, vcc_lo
	v_lshlrev_b32_e32 v2, 4, v68
	s_clause 0xf
	global_load_b128 v[17:20], v[3:4], off
	global_load_b128 v[21:24], v[3:4], off offset:256
	global_load_b128 v[25:28], v[5:6], off
	global_load_b128 v[29:32], v[5:6], off offset:256
	global_load_b128 v[57:60], v[3:4], off offset:512
	;; [unrolled: 1-line block ×13, first 2 shown]
	v_lshlrev_b32_e32 v149, 6, v1
	v_lshl_or_b32 v1, v69, 8, v2
	ds_load_b128 v[119:122], v149
	ds_load_b128 v[123:126], v149 offset:1024
	ds_load_b128 v[127:130], v149 offset:2048
	;; [unrolled: 1-line block ×3, first 2 shown]
	s_clause 0x1
	s_load_b32 s2, s[2:3], 0x0
	s_load_b32 s3, s[4:5], 0x0
	v_add_co_u32 v135, s6, s6, v1
	s_delay_alu instid0(VALU_DEP_1) | instskip(SKIP_1) | instid1(VALU_DEP_1)
	v_add_co_ci_u32_e64 v136, null, s7, 0, s6
	s_waitcnt lgkmcnt(0)
	v_mad_i64_i32 v[1:2], null, s26, s17, v[135:136]
	v_mad_i64_i32 v[3:4], null, s27, s17, v[135:136]
	;; [unrolled: 1-line block ×6, first 2 shown]
	s_clause 0x9
	global_load_b128 v[49:52], v[1:2], off
	global_load_b128 v[53:56], v[1:2], off offset:16
	global_load_b128 v[41:44], v[3:4], off
	global_load_b128 v[45:48], v[3:4], off offset:16
	;; [unrolled: 2-line block ×5, first 2 shown]
	v_mad_i64_i32 v[145:146], null, s2, s17, v[135:136]
	v_mad_i64_i32 v[147:148], null, s3, s17, v[135:136]
	s_waitcnt vmcnt(24)
	v_wmma_f32_16x16x16_f16 v[135:142], v[17:24], v[119:126], v[111:118]
	s_waitcnt vmcnt(22)
	v_wmma_f32_16x16x16_f16 v[111:118], v[25:32], v[119:126], v[111:118]
	s_clause 0x3
	global_load_b128 v[17:20], v[143:144], off
	global_load_b128 v[21:24], v[143:144], off offset:16
	global_load_b128 v[25:28], v[145:146], off
	global_load_b128 v[29:32], v[145:146], off offset:16
	v_and_b32_e32 v119, 0xe0, v0
	s_waitcnt vmcnt(24)
	v_wmma_f32_16x16x16_f16 v[135:142], v[57:64], v[127:134], v[135:142]
	s_clause 0x1
	global_load_b128 v[57:60], v[147:148], off
	global_load_b128 v[61:64], v[147:148], off offset:16
	s_waitcnt vmcnt(24)
	v_wmma_f32_16x16x16_f16 v[111:118], v[71:78], v[127:134], v[111:118]
	ds_load_b128 v[71:74], v149 offset:4096
	ds_load_b128 v[75:78], v149 offset:5120
	v_add_nc_u32_e32 v128, s12, v119
	ds_load_b128 v[119:122], v149 offset:6144
	ds_load_b128 v[123:126], v149 offset:7168
	v_mbcnt_lo_u32_b32 v127, -1, 0
	s_waitcnt vmcnt(0) lgkmcnt(0)
	s_barrier
	v_or_b32_e32 v128, v128, v66
	buffer_gl0_inv
	v_xor_b32_e32 v129, 16, v127
	v_or_b32_e32 v130, 4, v128
	v_or_b32_e32 v131, 6, v128
	s_delay_alu instid0(VALU_DEP_3) | instskip(SKIP_4) | instid1(VALU_DEP_4)
	v_cmp_gt_i32_e32 vcc_lo, 32, v129
	v_or_b32_e32 v132, 8, v128
	v_or_b32_e32 v133, 10, v128
	v_cmp_gt_i32_e64 s3, s24, v130
	v_cmp_gt_i32_e64 s4, s24, v131
	;; [unrolled: 1-line block ×3, first 2 shown]
	v_wmma_f32_16x16x16_f16 v[135:142], v[79:86], v[71:78], v[135:142]
	v_wmma_f32_16x16x16_f16 v[111:118], v[87:94], v[71:78], v[111:118]
	v_or_b32_e32 v79, 12, v128
	v_or_b32_e32 v80, 14, v128
	v_cmp_gt_i32_e64 s6, s24, v133
	v_wmma_f32_16x16x16_f16 v[135:142], v[95:102], v[119:126], v[135:142]
	v_wmma_f32_16x16x16_f16 v[111:118], v[103:110], v[119:126], v[111:118]
	v_cndmask_b32_e32 v127, v127, v129, vcc_lo
	v_or_b32_e32 v129, 2, v128
	v_cmp_gt_i32_e32 vcc_lo, s24, v128
	s_delay_alu instid0(VALU_DEP_4) | instskip(SKIP_1) | instid1(VALU_DEP_4)
	v_dual_mul_f32 v87, s19, v136 :: v_dual_mul_f32 v94, s19, v113
	v_mul_f32_e32 v88, s19, v135
	v_cmp_gt_i32_e64 s2, s24, v129
	v_mul_f32_e32 v78, s19, v138
	v_mul_f32_e32 v86, s19, v137
	;; [unrolled: 1-line block ×3, first 2 shown]
	v_cndmask_b32_e32 v88, 0xff7fffff, v88, vcc_lo
	v_cndmask_b32_e64 v87, 0xff7fffff, v87, s2
	v_dual_mul_f32 v77, s19, v139 :: v_dual_mul_f32 v90, s19, v117
	v_cndmask_b32_e64 v86, 0xff7fffff, v86, s3
	v_cndmask_b32_e64 v78, 0xff7fffff, v78, s4
	s_delay_alu instid0(VALU_DEP_4)
	v_max3_f32 v87, v88, 0xff7fffff, v87
	v_or_b32_e32 v81, 16, v128
	v_or_b32_e32 v82, 18, v128
	v_dual_mul_f32 v74, s19, v142 :: v_dual_mul_f32 v75, s19, v141
	v_mul_f32_e32 v96, s19, v111
	v_cndmask_b32_e64 v77, 0xff7fffff, v77, s5
	v_cndmask_b32_e64 v76, 0xff7fffff, v76, s6
	v_max3_f32 v78, v87, v86, v78
	v_cmp_gt_i32_e64 s7, s24, v79
	v_cmp_gt_i32_e64 s8, s24, v80
	v_or_b32_e32 v83, 20, v128
	v_or_b32_e32 v84, 22, v128
	v_mul_f32_e32 v95, s19, v112
	v_cndmask_b32_e64 v75, 0xff7fffff, v75, s7
	v_cndmask_b32_e64 v74, 0xff7fffff, v74, s8
	v_max3_f32 v76, v78, v77, v76
	v_cmp_gt_i32_e64 s9, s24, v81
	v_cmp_gt_i32_e64 s10, s24, v82
	v_or_b32_e32 v85, 24, v128
	v_or_b32_e32 v71, 26, v128
	v_mul_f32_e32 v93, s19, v114
	v_cndmask_b32_e64 v77, 0xff7fffff, v96, s9
	v_cndmask_b32_e64 v78, 0xff7fffff, v95, s10
	v_max3_f32 v74, v76, v75, v74
	v_cmp_gt_i32_e64 s11, s24, v83
	v_cmp_gt_i32_e64 s12, s24, v84
	v_or_b32_e32 v72, 28, v128
	v_or_b32_e32 v73, 30, v128
	v_dual_mul_f32 v91, s19, v116 :: v_dual_mul_f32 v92, s19, v115
	v_cndmask_b32_e64 v75, 0xff7fffff, v94, s11
	v_cndmask_b32_e64 v76, 0xff7fffff, v93, s12
	v_max3_f32 v74, v74, v77, v78
	v_cmp_gt_i32_e64 s13, s24, v85
	v_cmp_gt_i32_e64 s15, s24, v71
	v_mul_f32_e32 v89, s19, v118
	v_cmp_gt_i32_e64 s16, s24, v72
	v_max3_f32 v74, v74, v75, v76
	v_cndmask_b32_e64 v77, 0xff7fffff, v92, s13
	v_cndmask_b32_e64 v71, 0xff7fffff, v91, s15
	v_cmp_gt_i32_e64 s17, s24, v73
	v_cndmask_b32_e64 v72, 0xff7fffff, v90, s16
	s_delay_alu instid0(VALU_DEP_3) | instskip(SKIP_1) | instid1(VALU_DEP_4)
	v_max3_f32 v71, v74, v77, v71
	v_lshlrev_b32_e32 v74, 2, v127
	v_cndmask_b32_e64 v73, 0xff7fffff, v89, s17
	s_delay_alu instid0(VALU_DEP_1) | instskip(SKIP_3) | instid1(VALU_DEP_1)
	v_max3_f32 v71, v71, v72, v73
	ds_bpermute_b32 v72, v74, v71
	s_waitcnt lgkmcnt(0)
	v_max_f32_e32 v72, v72, v72
	v_max_f32_e32 v71, v71, v72
	s_delay_alu instid0(VALU_DEP_1) | instskip(SKIP_4) | instid1(VALU_DEP_4)
	v_fma_f32 v72, s19, v135, -v71
	v_fma_f32 v73, s19, v136, -v71
	;; [unrolled: 1-line block ×5, first 2 shown]
	v_dual_mul_f32 v72, 0x3fb8aa3b, v72 :: v_dual_mul_f32 v73, 0x3fb8aa3b, v73
	s_delay_alu instid0(VALU_DEP_3) | instskip(SKIP_1) | instid1(VALU_DEP_3)
	v_dual_mul_f32 v75, 0x3fb8aa3b, v75 :: v_dual_mul_f32 v76, 0x3fb8aa3b, v76
	v_fma_f32 v80, s19, v141, -v71
	v_exp_f32_e32 v72, v72
	s_delay_alu instid0(VALU_DEP_3) | instskip(NEXT) | instid1(VALU_DEP_2)
	v_exp_f32_e32 v73, v73
	v_exp_f32_e32 v75, v75
	;; [unrolled: 1-line block ×3, first 2 shown]
	v_mul_f32_e32 v82, 0x3fb8aa3b, v80
	s_delay_alu instid0(VALU_DEP_1) | instskip(SKIP_4) | instid1(TRANS32_DEP_3)
	v_exp_f32_e32 v84, v82
	v_cndmask_b32_e32 v79, 0, v72, vcc_lo
	v_fma_f32 v72, s19, v140, -v71
	v_mul_f32_e32 v77, 0x3fb8aa3b, v77
	v_cndmask_b32_e64 v78, 0, v73, s2
	v_cndmask_b32_e64 v81, 0, v75, s3
	s_delay_alu instid0(VALU_DEP_4) | instskip(NEXT) | instid1(VALU_DEP_4)
	v_dual_add_f32 v73, 0, v79 :: v_dual_mul_f32 v72, 0x3fb8aa3b, v72
	v_exp_f32_e32 v77, v77
	v_cndmask_b32_e64 v80, 0, v76, s4
	s_delay_alu instid0(TRANS32_DEP_2) | instskip(NEXT) | instid1(VALU_DEP_3)
	v_cndmask_b32_e64 v85, 0, v84, s7
	v_add_f32_e32 v73, v73, v78
	v_exp_f32_e32 v72, v72
	v_cmp_gt_u32_e64 s2, 16, v70
	s_delay_alu instid0(VALU_DEP_2) | instskip(NEXT) | instid1(TRANS32_DEP_2)
	v_add_f32_e32 v73, v73, v81
	v_cndmask_b32_e64 v83, 0, v77, s5
	s_delay_alu instid0(VALU_DEP_2) | instskip(SKIP_3) | instid1(VALU_DEP_1)
	v_add_f32_e32 v73, v73, v80
	s_waitcnt_depctr 0xfff
	v_cndmask_b32_e64 v82, 0, v72, s6
	v_add_f32_e32 v72, v73, v83
	v_add_f32_e32 v72, v72, v82
	s_delay_alu instid0(VALU_DEP_1)
	v_add_f32_e32 v72, v72, v85
	v_fma_f32 v76, s19, v111, -v71
	v_fma_f32 v75, s19, v142, -v71
	;; [unrolled: 1-line block ×5, first 2 shown]
	s_delay_alu instid0(VALU_DEP_4) | instskip(NEXT) | instid1(VALU_DEP_3)
	v_dual_mul_f32 v76, 0x3fb8aa3b, v76 :: v_dual_mul_f32 v75, 0x3fb8aa3b, v75
	v_mul_f32_e32 v86, 0x3fb8aa3b, v86
	s_delay_alu instid0(VALU_DEP_2) | instskip(NEXT) | instid1(VALU_DEP_2)
	v_exp_f32_e32 v76, v76
	v_exp_f32_e32 v75, v75
	s_delay_alu instid0(VALU_DEP_1) | instskip(NEXT) | instid1(TRANS32_DEP_3)
	v_exp_f32_e32 v88, v86
	v_cndmask_b32_e64 v87, 0, v76, s9
	v_fma_f32 v76, s19, v116, -v71
	v_mul_f32_e32 v77, 0x3fb8aa3b, v77
	s_waitcnt_depctr 0xfff
	v_cndmask_b32_e64 v84, 0, v75, s8
	v_fma_f32 v75, s19, v115, -v71
	v_cndmask_b32_e64 v88, 0, v88, s12
	v_mul_f32_e32 v76, 0x3fb8aa3b, v76
	v_exp_f32_e32 v77, v77
	v_add_f32_e32 v72, v72, v84
	s_delay_alu instid0(VALU_DEP_2) | instskip(NEXT) | instid1(VALU_DEP_1)
	v_exp_f32_e32 v76, v76
	v_add_f32_e32 v72, v72, v87
	s_waitcnt_depctr 0xfff
	v_cndmask_b32_e64 v86, 0, v77, s10
	v_mul_f32_e32 v73, 0x3fb8aa3b, v73
	v_fma_f32 v77, s19, v117, -v71
	v_cndmask_b32_e64 v90, 0, v76, s15
	s_delay_alu instid0(VALU_DEP_4) | instskip(NEXT) | instid1(VALU_DEP_4)
	v_add_f32_e32 v72, v72, v86
	v_exp_f32_e32 v73, v73
	s_waitcnt_depctr 0xfff
	v_cndmask_b32_e64 v89, 0, v73, s11
	s_delay_alu instid0(VALU_DEP_1) | instskip(NEXT) | instid1(VALU_DEP_1)
	v_dual_mul_f32 v75, 0x3fb8aa3b, v75 :: v_dual_add_f32 v72, v72, v89
	v_exp_f32_e32 v75, v75
	v_mul_f32_e32 v73, 0x3fb8aa3b, v77
	v_fma_f32 v77, s19, v118, -v71
	s_delay_alu instid0(VALU_DEP_3) | instskip(NEXT) | instid1(VALU_DEP_3)
	v_add_f32_e32 v72, v72, v88
	v_exp_f32_e32 v73, v73
	s_waitcnt_depctr 0xfff
	v_cndmask_b32_e64 v91, 0, v75, s13
	s_delay_alu instid0(VALU_DEP_1) | instskip(NEXT) | instid1(VALU_DEP_1)
	v_dual_mul_f32 v75, 0x3fb8aa3b, v77 :: v_dual_add_f32 v72, v72, v91
	v_exp_f32_e32 v75, v75
	v_cndmask_b32_e64 v93, 0, v73, s16
	s_delay_alu instid0(VALU_DEP_2) | instskip(NEXT) | instid1(VALU_DEP_1)
	v_add_f32_e32 v72, v72, v90
	v_add_f32_e32 v72, v72, v93
	s_waitcnt_depctr 0xfff
	v_cndmask_b32_e64 v92, 0, v75, s17
	s_delay_alu instid0(VALU_DEP_1)
	v_add_f32_e32 v72, v72, v92
	ds_bpermute_b32 v73, v74, v72
	s_and_saveexec_b32 s3, s2
	s_cbranch_execz .LBB1276_12
; %bb.11:
	v_mul_u32_u24_e32 v70, 0x44, v69
	s_waitcnt lgkmcnt(0)
	v_add_f32_e32 v72, v72, v73
	s_delay_alu instid0(VALU_DEP_2) | instskip(NEXT) | instid1(VALU_DEP_1)
	v_lshl_add_u32 v70, v68, 2, v70
	v_add_nc_u32_e32 v70, 0x4000, v70
	ds_store_2addr_b32 v70, v71, v72 offset1:136
.LBB1276_12:
	s_or_b32 exec_lo, exec_lo, s3
	v_lshlrev_b32_e32 v70, 2, v68
	s_load_b32 s35, s[0:1], 0x94
	s_waitcnt lgkmcnt(0)
	s_barrier
	buffer_gl0_inv
	v_add_nc_u32_e32 v98, 0x4000, v70
	v_cmp_eq_u32_e32 vcc_lo, 1, v69
	v_cmp_eq_u32_e64 s3, 2, v69
	v_cmp_eq_u32_e64 s4, 3, v69
	v_cmp_eq_u32_e64 s5, 4, v69
	ds_load_2addr_b32 v[70:71], v98 offset1:17
	ds_load_2addr_b32 v[72:73], v98 offset0:34 offset1:51
	ds_load_2addr_b32 v[74:75], v98 offset0:68 offset1:85
	;; [unrolled: 1-line block ×3, first 2 shown]
	v_cmp_eq_u32_e64 s6, 5, v69
	v_cmp_eq_u32_e64 s7, 7, v69
	s_waitcnt lgkmcnt(3)
	v_max3_f32 v76, v70, 0xff7fffff, v71
	s_waitcnt lgkmcnt(2)
	s_delay_alu instid0(VALU_DEP_1) | instskip(SKIP_1) | instid1(VALU_DEP_1)
	v_max3_f32 v76, v76, v72, v73
	s_waitcnt lgkmcnt(1)
	v_max3_f32 v76, v76, v74, v75
	s_waitcnt lgkmcnt(0)
	s_delay_alu instid0(VALU_DEP_1) | instskip(NEXT) | instid1(VALU_DEP_1)
	v_max3_f32 v76, v76, v94, v95
	v_sub_f32_e32 v77, v71, v76
	ds_load_2addr_b32 v[96:97], v98 offset0:136 offset1:153
	v_sub_f32_e32 v74, v74, v76
	v_sub_f32_e32 v70, v70, v76
	;; [unrolled: 1-line block ×3, first 2 shown]
	v_dual_sub_f32 v72, v72, v76 :: v_dual_mul_f32 v77, 0x3fb8aa3b, v77
	s_delay_alu instid0(VALU_DEP_4) | instskip(NEXT) | instid1(VALU_DEP_4)
	v_mul_f32_e32 v103, 0x3fb8aa3b, v74
	v_mul_f32_e32 v99, 0x3fb8aa3b, v70
	ds_load_2addr_b32 v[70:71], v98 offset0:170 offset1:187
	v_dual_mul_f32 v101, 0x3fb8aa3b, v72 :: v_dual_mul_f32 v94, 0x3fb8aa3b, v94
	v_exp_f32_e32 v102, v77
	v_exp_f32_e32 v99, v99
	s_delay_alu instid0(VALU_DEP_1) | instskip(NEXT) | instid1(VALU_DEP_1)
	v_exp_f32_e32 v101, v101
	v_exp_f32_e32 v94, v94
	s_waitcnt lgkmcnt(1)
	s_delay_alu instid0(TRANS32_DEP_3)
	v_fma_f32 v77, v99, v96, 0
	v_sub_f32_e32 v100, v73, v76
	ds_load_2addr_b32 v[72:73], v98 offset0:204 offset1:221
	v_fmac_f32_e32 v77, v102, v97
	v_exp_f32_e32 v97, v103
	s_waitcnt lgkmcnt(1)
	s_delay_alu instid0(VALU_DEP_1)
	v_dual_fmac_f32 v77, v101, v70 :: v_dual_sub_f32 v96, v75, v76
	ds_load_2addr_b32 v[74:75], v98 offset0:238 offset1:255
	v_sub_f32_e32 v70, v95, v76
	s_waitcnt lgkmcnt(0)
	s_barrier
	v_mul_f32_e32 v96, 0x3fb8aa3b, v96
	buffer_gl0_inv
	v_exp_f32_e32 v95, v96
	v_mul_f32_e32 v100, 0x3fb8aa3b, v100
	s_delay_alu instid0(VALU_DEP_1) | instskip(SKIP_3) | instid1(VALU_DEP_2)
	v_exp_f32_e32 v100, v100
	s_waitcnt_depctr 0xfff
	v_dual_fmac_f32 v77, v100, v71 :: v_dual_mul_f32 v70, 0x3fb8aa3b, v70
	v_cndmask_b32_e32 v71, v99, v102, vcc_lo
	v_fmac_f32_e32 v77, v97, v72
	s_delay_alu instid0(VALU_DEP_3) | instskip(NEXT) | instid1(VALU_DEP_1)
	v_exp_f32_e32 v96, v70
	v_fmac_f32_e32 v77, v95, v73
	s_delay_alu instid0(VALU_DEP_1) | instskip(SKIP_2) | instid1(VALU_DEP_1)
	v_fmac_f32_e32 v77, v94, v74
	s_waitcnt_depctr 0xfff
	v_fmac_f32_e32 v77, v96, v75
	v_add_f32_e32 v74, 0x358637bd, v77
	s_delay_alu instid0(VALU_DEP_1) | instskip(SKIP_1) | instid1(VALU_DEP_2)
	v_div_scale_f32 v98, null, v74, v74, 1.0
	v_div_scale_f32 v99, vcc_lo, 1.0, v74, 1.0
	v_rcp_f32_e32 v103, v98
	s_waitcnt_depctr 0xfff
	v_fma_f32 v70, -v98, v103, 1.0
	s_delay_alu instid0(VALU_DEP_1) | instskip(SKIP_2) | instid1(VALU_DEP_2)
	v_fmac_f32_e32 v103, v70, v103
	v_cndmask_b32_e64 v70, v71, v101, s3
	v_cmp_eq_u32_e64 s3, 6, v69
	v_cndmask_b32_e64 v71, v70, v100, s4
	s_delay_alu instid0(VALU_DEP_4) | instskip(NEXT) | instid1(VALU_DEP_2)
	v_dual_mul_f32 v101, v99, v103 :: v_dual_lshlrev_b32 v70, 2, v66
	v_cndmask_b32_e64 v71, v71, v97, s5
	s_delay_alu instid0(VALU_DEP_2) | instskip(NEXT) | instid1(VALU_DEP_3)
	v_or_b32_e32 v72, 1, v70
	v_fma_f32 v100, -v98, v101, v99
	v_cmp_eq_u32_e64 s4, 1, v70
	v_cmp_eq_u32_e64 s5, 2, v70
	v_cndmask_b32_e64 v95, v71, v95, s6
	v_or_b32_e32 v71, 3, v70
	v_fmac_f32_e32 v101, v100, v103
	v_cmp_eq_u32_e64 s9, 1, v72
	v_cmp_eq_u32_e64 s12, 2, v72
	v_cndmask_b32_e64 v94, v95, v94, s3
	v_cmp_eq_u32_e64 s11, 1, v71
	v_fma_f32 v97, -v98, v101, v99
	v_cmp_eq_u32_e64 s16, 2, v71
	v_cmp_eq_u32_e64 s13, 3, v72
	v_cndmask_b32_e64 v94, v94, v96, s7
	v_cmp_eq_u32_e64 s18, 3, v71
	v_div_fmas_f32 v95, v97, v103, v101
	v_cmp_eq_u32_e32 vcc_lo, 3, v70
	v_cmp_eq_u32_e64 s3, 4, v70
	v_cmp_eq_u32_e64 s19, 4, v72
	;; [unrolled: 1-line block ×3, first 2 shown]
	v_div_fixup_f32 v95, v95, v74, 1.0
	v_lshlrev_b32_e32 v73, 6, v68
	v_cmp_eq_u32_e64 s6, 5, v70
	v_cmp_eq_u32_e64 s20, 5, v72
	;; [unrolled: 1-line block ×3, first 2 shown]
	v_mul_f32_e32 v102, v94, v95
	v_lshl_or_b32 v75, v69, 11, v73
	v_or_b32_e32 v69, 2, v70
	v_cmp_eq_u32_e64 s25, 6, v72
	v_cmp_eq_u32_e64 s27, 6, v71
	v_fma_mixlo_f16 v94, v102, v79, 0
	v_fma_mixlo_f16 v95, v102, v81, 0
	;; [unrolled: 1-line block ×8, first 2 shown]
	v_lshl_or_b32 v74, v66, 4, v75
	v_fma_mixhi_f16 v94, v102, v78, 0
	v_fma_mixhi_f16 v95, v102, v80, 0
	;; [unrolled: 1-line block ×8, first 2 shown]
	ds_store_b128 v74, v[94:97]
	ds_store_b128 v74, v[98:101] offset:1024
	s_waitcnt lgkmcnt(0)
	s_barrier
	buffer_gl0_inv
	ds_load_b128 v[78:81], v75
	ds_load_b128 v[82:85], v75 offset:16
	ds_load_b128 v[86:89], v75 offset:1024
	ds_load_b128 v[90:93], v75 offset:1040
	v_cmp_eq_u32_e64 s10, 1, v69
	v_cmp_eq_u32_e64 s15, 2, v69
	;; [unrolled: 1-line block ×11, first 2 shown]
	s_waitcnt lgkmcnt(3)
	v_lshrrev_b32_e32 v94, 16, v78
	s_waitcnt lgkmcnt(2)
	v_lshrrev_b32_e32 v98, 16, v82
	;; [unrolled: 2-line block ×4, first 2 shown]
	v_lshrrev_b32_e32 v95, 16, v79
	v_cndmask_b32_e64 v110, v78, v94, s4
	v_cndmask_b32_e64 v111, v82, v98, s4
	;; [unrolled: 1-line block ×8, first 2 shown]
	v_lshrrev_b32_e32 v99, 16, v83
	v_cndmask_b32_e64 v94, v86, v102, s4
	v_cndmask_b32_e64 v98, v90, v106, s4
	;; [unrolled: 1-line block ×15, first 2 shown]
	v_lshrrev_b32_e32 v103, 16, v87
	v_lshrrev_b32_e32 v107, 16, v91
	v_cndmask_b32_e64 v113, v115, v83, s15
	v_cndmask_b32_e64 v82, v94, v87, s5
	;; [unrolled: 1-line block ×7, first 2 shown]
	v_cndmask_b32_e32 v90, v102, v95, vcc_lo
	v_cndmask_b32_e32 v102, v106, v99, vcc_lo
	v_cndmask_b32_e64 v106, v110, v95, s13
	v_cndmask_b32_e64 v110, v111, v99, s13
	;; [unrolled: 1-line block ×4, first 2 shown]
	v_lshrrev_b32_e32 v96, 16, v80
	v_lshrrev_b32_e32 v100, 16, v84
	v_cndmask_b32_e64 v111, v112, v95, s17
	v_cndmask_b32_e64 v112, v113, v99, s17
	v_cndmask_b32_e32 v82, v82, v103, vcc_lo
	v_cndmask_b32_e32 v83, v83, v107, vcc_lo
	v_cndmask_b32_e64 v94, v94, v103, s13
	v_cndmask_b32_e64 v90, v90, v80, s3
	;; [unrolled: 1-line block ×7, first 2 shown]
	v_lshrrev_b32_e32 v104, 16, v88
	v_cndmask_b32_e64 v106, v111, v80, s21
	v_cndmask_b32_e64 v110, v112, v84, s21
	v_cndmask_b32_e64 v80, v82, v88, s3
	v_cndmask_b32_e64 v82, v83, v92, s3
	v_cndmask_b32_e64 v83, v94, v88, s19
	v_cndmask_b32_e64 v84, v90, v96, s6
	v_cndmask_b32_e64 v90, v95, v100, s6
	v_cndmask_b32_e64 v94, v99, v96, s20
	v_cndmask_b32_e64 v95, v102, v100, s20
	v_cndmask_b32_e64 v78, v78, v96, s24
	v_cndmask_b32_e64 v79, v79, v100, s24
	v_lshrrev_b32_e32 v97, 16, v81
	v_lshrrev_b32_e32 v101, 16, v85
	v_cndmask_b32_e64 v99, v106, v96, s23
	v_cndmask_b32_e64 v102, v110, v100, s23
	;; [unrolled: 1-line block ×7, first 2 shown]
	v_lshrrev_b32_e32 v105, 16, v89
	v_cndmask_b32_e64 v80, v80, v104, s6
	v_cndmask_b32_e64 v84, v84, v81, s7
	;; [unrolled: 1-line block ×16, first 2 shown]
	v_perm_b32 v81, v79, v78, 0x5040100
	v_perm_b32 v79, v95, v85, 0x5040100
	v_cndmask_b32_e64 v78, v119, v91, s15
	v_cndmask_b32_e64 v85, v117, v91, s12
	;; [unrolled: 1-line block ×3, first 2 shown]
	v_perm_b32 v80, v94, v90, 0x5040100
	v_cndmask_b32_e64 v90, v98, v103, s17
	v_cndmask_b32_e64 v86, v86, v103, s18
	;; [unrolled: 1-line block ×5, first 2 shown]
	v_lshrrev_b32_e32 v108, 16, v92
	v_cndmask_b32_e64 v90, v90, v88, s21
	v_cndmask_b32_e64 v86, v86, v88, s22
	;; [unrolled: 1-line block ×11, first 2 shown]
	v_lshrrev_b32_e32 v109, 16, v93
	v_cndmask_b32_e64 v82, v82, v93, s7
	v_cndmask_b32_e64 v88, v88, v89, s26
	;; [unrolled: 1-line block ×12, first 2 shown]
	v_perm_b32 v78, v84, v83, 0x5040100
	v_perm_b32 v85, v87, v86, 0x5040100
	v_perm_b32 v84, v89, v88, 0x5040100
	v_perm_b32 v83, v90, v97, 0x5040100
	v_perm_b32 v82, v82, v96, 0x5040100
	s_mul_i32 s8, s33, 15
	s_mov_b32 s3, exec_lo
	ds_store_b128 v74, v[78:81]
	ds_store_b128 v74, v[82:85] offset:1024
	v_cmpx_gt_u32_e32 15, v0
	s_cbranch_execz .LBB1276_14
; %bb.13:
	s_mul_i32 s4, s8, s34
	s_delay_alu instid0(SALU_CYCLE_1) | instskip(SKIP_1) | instid1(VALU_DEP_1)
	v_add3_u32 v68, s4, s31, v68
	s_load_b128 s[4:7], s[0:1], 0x58
	v_mad_u64_u32 v[78:79], null, v68, s35, s[14:15]
	s_delay_alu instid0(VALU_DEP_1) | instskip(NEXT) | instid1(VALU_DEP_1)
	v_ashrrev_i32_e32 v79, 31, v78
	v_lshlrev_b64 v[78:79], 2, v[78:79]
	s_waitcnt lgkmcnt(0)
	s_delay_alu instid0(VALU_DEP_1) | instskip(NEXT) | instid1(VALU_DEP_2)
	v_add_co_u32 v80, vcc_lo, s6, v78
	v_add_co_ci_u32_e32 v81, vcc_lo, s7, v79, vcc_lo
	v_add_co_u32 v78, vcc_lo, s4, v78
	v_add_co_ci_u32_e32 v79, vcc_lo, s5, v79, vcc_lo
	global_store_b32 v[80:81], v76, off
	global_store_b32 v[78:79], v77, off
.LBB1276_14:
	s_or_b32 exec_lo, exec_lo, s3
	s_waitcnt lgkmcnt(0)
	s_waitcnt_vscnt null, 0x0
	s_barrier
	buffer_gl0_inv
	ds_load_b128 v[84:87], v73
	ds_load_b128 v[88:91], v73 offset:16
	ds_load_b128 v[96:99], v73 offset:2064
	;; [unrolled: 1-line block ×5, first 2 shown]
	v_cmp_eq_u32_e32 vcc_lo, 1, v70
	v_mov_b32_e32 v76, 0
	ds_load_b128 v[112:115], v73 offset:6160
	ds_load_b128 v[108:111], v73 offset:6144
	;; [unrolled: 1-line block ×4, first 2 shown]
	v_cmp_eq_u32_e64 s4, 1, v69
	v_cmp_eq_u32_e64 s3, 1, v72
	;; [unrolled: 1-line block ×3, first 2 shown]
	v_mov_b32_e32 v77, v76
	v_mov_b32_e32 v78, v76
	v_mov_b32_e32 v79, v76
	v_mov_b32_e32 v80, v76
	v_mov_b32_e32 v81, v76
	v_mov_b32_e32 v82, v76
	v_mov_b32_e32 v83, v76
	v_cmp_eq_u32_e64 s6, 3, v72
	v_cmp_eq_u32_e64 s7, 7, v72
	s_waitcnt lgkmcnt(8)
	s_delay_alu instid0(VALU_DEP_3)
	v_wmma_f32_16x16x16_f16 v[76:83], v[49:56], v[84:91], v[76:83]
	ds_load_b128 v[53:56], v73 offset:10256
	ds_load_b128 v[49:52], v73 offset:10240
	s_waitcnt lgkmcnt(8)
	v_wmma_f32_16x16x16_f16 v[76:83], v[41:48], v[92:99], v[76:83]
	ds_load_b128 v[45:48], v73 offset:12304
	ds_load_b128 v[41:44], v73 offset:12288
	s_waitcnt lgkmcnt(8)
	;; [unrolled: 4-line block ×3, first 2 shown]
	s_barrier
	buffer_gl0_inv
	v_wmma_f32_16x16x16_f16 v[76:83], v[1:8], v[108:115], v[76:83]
	s_delay_alu instid0(VALU_DEP_1) | instskip(NEXT) | instid1(VALU_DEP_1)
	v_wmma_f32_16x16x16_f16 v[76:83], v[9:16], v[116:123], v[76:83]
	v_wmma_f32_16x16x16_f16 v[76:83], v[17:24], v[49:56], v[76:83]
	s_delay_alu instid0(VALU_DEP_1) | instskip(NEXT) | instid1(VALU_DEP_1)
	v_wmma_f32_16x16x16_f16 v[76:83], v[25:32], v[41:48], v[76:83]
	v_wmma_f32_16x16x16_f16 v[76:83], v[57:64], v[33:40], v[76:83]
	s_delay_alu instid0(VALU_DEP_1) | instskip(NEXT) | instid1(VALU_DEP_2)
	v_cvt_f16_f32_e32 v1, v76
	v_cvt_f16_f32_e32 v2, v77
	s_delay_alu instid0(VALU_DEP_3) | instskip(NEXT) | instid1(VALU_DEP_4)
	v_cvt_f16_f32_e32 v3, v78
	v_cvt_f16_f32_e32 v4, v79
	;; [unrolled: 1-line block ×6, first 2 shown]
	v_pack_b32_f16 v1, v1, v2
	v_pack_b32_f16 v2, v3, v4
	;; [unrolled: 1-line block ×3, first 2 shown]
	s_delay_alu instid0(VALU_DEP_4)
	v_pack_b32_f16 v4, v7, v8
	ds_store_b128 v74, v[1:4]
	s_waitcnt lgkmcnt(0)
	s_barrier
	buffer_gl0_inv
	ds_load_b128 v[1:4], v75
	ds_load_b128 v[5:8], v75 offset:16
	s_waitcnt lgkmcnt(1)
	v_lshrrev_b32_e32 v9, 16, v1
	s_waitcnt lgkmcnt(0)
	v_lshrrev_b32_e32 v13, 16, v5
	v_lshrrev_b32_e32 v10, 16, v2
	;; [unrolled: 1-line block ×4, first 2 shown]
	v_cndmask_b32_e32 v17, v1, v9, vcc_lo
	v_cndmask_b32_e32 v18, v5, v13, vcc_lo
	v_cndmask_b32_e64 v21, v1, v9, s4
	v_cmp_eq_u32_e32 vcc_lo, 1, v71
	v_cndmask_b32_e64 v22, v5, v13, s4
	v_cmp_eq_u32_e64 s4, 2, v70
	v_cndmask_b32_e64 v19, v1, v9, s3
	v_cndmask_b32_e64 v20, v5, v13, s3
	v_cndmask_b32_e32 v1, v1, v9, vcc_lo
	v_cmp_eq_u32_e64 s3, 2, v71
	v_cndmask_b32_e32 v5, v5, v13, vcc_lo
	v_cndmask_b32_e64 v9, v17, v2, s4
	v_cmp_eq_u32_e32 vcc_lo, 3, v70
	v_cndmask_b32_e64 v13, v18, v6, s4
	v_cmp_eq_u32_e64 s4, 2, v69
	v_cndmask_b32_e64 v17, v19, v2, s5
	v_cndmask_b32_e64 v18, v20, v6, s5
	v_cmp_eq_u32_e64 s5, 3, v69
	v_cndmask_b32_e64 v1, v1, v2, s3
	v_cndmask_b32_e64 v19, v21, v2, s4
	;; [unrolled: 1-line block ×4, first 2 shown]
	v_cndmask_b32_e32 v5, v9, v10, vcc_lo
	v_cndmask_b32_e32 v6, v13, v14, vcc_lo
	v_cmp_eq_u32_e32 vcc_lo, 3, v71
	v_cndmask_b32_e64 v9, v17, v10, s6
	v_cndmask_b32_e64 v13, v18, v14, s6
	;; [unrolled: 1-line block ×3, first 2 shown]
	v_cmp_eq_u32_e64 s4, 4, v70
	v_cndmask_b32_e32 v1, v1, v10, vcc_lo
	v_cndmask_b32_e32 v2, v2, v14, vcc_lo
	v_cmp_eq_u32_e32 vcc_lo, 4, v72
	v_lshrrev_b32_e32 v15, 16, v7
	v_lshrrev_b32_e32 v16, 16, v8
	v_cndmask_b32_e64 v17, v19, v10, s5
	v_cmp_eq_u32_e64 s3, 4, v71
	v_cndmask_b32_e64 v5, v5, v3, s4
	v_cndmask_b32_e64 v6, v6, v7, s4
	v_cndmask_b32_e32 v9, v9, v3, vcc_lo
	v_cmp_eq_u32_e64 s4, 5, v72
	v_cndmask_b32_e32 v10, v13, v7, vcc_lo
	v_cmp_eq_u32_e32 vcc_lo, 4, v69
	v_cmp_eq_u32_e64 s5, 5, v70
	v_cndmask_b32_e64 v2, v2, v7, s3
	v_cndmask_b32_e64 v9, v9, v11, s4
	;; [unrolled: 1-line block ×3, first 2 shown]
	v_cndmask_b32_e32 v13, v17, v3, vcc_lo
	v_cmp_eq_u32_e64 s4, 5, v69
	v_cndmask_b32_e32 v14, v18, v7, vcc_lo
	v_cndmask_b32_e64 v1, v1, v3, s3
	v_cmp_eq_u32_e32 vcc_lo, 5, v71
	v_lshrrev_b32_e32 v12, 16, v4
	v_cndmask_b32_e64 v13, v13, v11, s4
	v_cndmask_b32_e64 v3, v14, v15, s4
	v_cmp_eq_u32_e64 s4, 6, v71
	v_cndmask_b32_e32 v1, v1, v11, vcc_lo
	v_cndmask_b32_e64 v5, v5, v11, s5
	v_cmp_eq_u32_e64 s6, 6, v70
	v_cndmask_b32_e64 v6, v6, v15, s5
	v_cmp_eq_u32_e64 s5, 6, v72
	v_cmp_eq_u32_e64 s3, 6, v69
	v_cndmask_b32_e64 v1, v1, v4, s4
	v_cndmask_b32_e32 v2, v2, v15, vcc_lo
	v_cmp_eq_u32_e32 vcc_lo, 7, v71
	v_cndmask_b32_e64 v5, v5, v4, s6
	v_cndmask_b32_e64 v9, v9, v4, s5
	;; [unrolled: 1-line block ×3, first 2 shown]
	v_cmp_eq_u32_e64 s6, 7, v70
	v_cndmask_b32_e32 v1, v1, v12, vcc_lo
	v_cndmask_b32_e64 v7, v13, v4, s3
	v_cndmask_b32_e64 v3, v3, v8, s3
	;; [unrolled: 1-line block ×3, first 2 shown]
	v_cmp_eq_u32_e64 s3, 7, v69
	v_cndmask_b32_e64 v4, v10, v8, s5
	v_cndmask_b32_e64 v5, v5, v12, s6
	;; [unrolled: 1-line block ×3, first 2 shown]
	v_cndmask_b32_e32 v2, v2, v16, vcc_lo
	v_cndmask_b32_e64 v7, v7, v12, s3
	v_cndmask_b32_e64 v3, v3, v16, s3
	;; [unrolled: 1-line block ×4, first 2 shown]
	v_perm_b32 v4, v2, v1, 0x5040100
	s_mov_b32 s3, exec_lo
	v_perm_b32 v3, v3, v7, 0x5040100
	v_perm_b32 v2, v8, v9, 0x5040100
	;; [unrolled: 1-line block ×3, first 2 shown]
	ds_store_b128 v74, v[1:4]
	s_waitcnt lgkmcnt(0)
	s_barrier
	buffer_gl0_inv
	v_cmpx_gt_u32_e32 32, v0
	s_cbranch_execz .LBB1276_2
; %bb.15:
	s_load_b64 s[4:5], s[0:1], 0x68
	v_add_nc_u32_e32 v20, s31, v66
	v_lshlrev_b32_e32 v0, 10, v0
	v_lshlrev_b32_e32 v1, 4, v67
	s_lshl_b32 s0, s35, 7
	s_delay_alu instid0(SALU_CYCLE_1)
	s_mul_i32 s1, s0, s34
	v_add_nc_u32_e32 v2, 2, v20
	s_mul_i32 s6, s1, s8
	v_and_or_b32 v0, 0x3800, v0, v1
	v_mul_lo_u32 v1, v20, s0
	s_ashr_i32 s7, s6, 31
	v_mul_lo_u32 v11, v2, s0
	s_lshl_b64 s[6:7], s[6:7], 1
	v_add_nc_u32_e32 v3, 4, v20
	v_lshl_or_b32 v21, v66, 6, v0
	v_add_nc_u32_e32 v16, 6, v20
	v_ashrrev_i32_e32 v2, 31, v1
	s_delay_alu instid0(VALU_DEP_4)
	v_mul_lo_u32 v13, v3, s0
	s_waitcnt lgkmcnt(0)
	s_add_u32 s1, s4, s6
	s_addc_u32 s3, s5, s7
	s_lshl_b32 s4, s14, 7
	ds_load_b128 v[3:6], v21
	ds_load_b128 v[7:10], v21 offset:128
	s_ashr_i32 s5, s4, 31
	v_ashrrev_i32_e32 v12, 31, v11
	s_lshl_b64 s[4:5], s[4:5], 1
	v_lshlrev_b64 v[14:15], 1, v[1:2]
	s_add_u32 s1, s1, s4
	s_addc_u32 s3, s3, s5
	v_add_co_u32 v1, s1, s1, v65
	s_delay_alu instid0(VALU_DEP_1) | instskip(SKIP_1) | instid1(VALU_DEP_3)
	v_add_co_ci_u32_e64 v2, null, s3, 0, s1
	v_lshlrev_b64 v[11:12], 1, v[11:12]
	v_add_co_u32 v18, vcc_lo, v1, v14
	v_mul_lo_u32 v16, v16, s0
	s_delay_alu instid0(VALU_DEP_4) | instskip(NEXT) | instid1(VALU_DEP_4)
	v_add_co_ci_u32_e32 v19, vcc_lo, v2, v15, vcc_lo
	v_add_co_u32 v11, vcc_lo, v1, v11
	v_ashrrev_i32_e32 v14, 31, v13
	v_add_co_ci_u32_e32 v12, vcc_lo, v2, v12, vcc_lo
	v_add_nc_u32_e32 v15, 8, v20
	v_ashrrev_i32_e32 v17, 31, v16
	s_waitcnt lgkmcnt(1)
	global_store_b128 v[18:19], v[3:6], off
	v_lshlrev_b64 v[3:4], 1, v[13:14]
	s_waitcnt lgkmcnt(0)
	global_store_b128 v[11:12], v[7:10], off
	v_mul_lo_u32 v11, v15, s0
	v_add_nc_u32_e32 v7, 10, v20
	v_lshlrev_b64 v[5:6], 1, v[16:17]
	v_add_co_u32 v23, vcc_lo, v1, v3
	v_add_nc_u32_e32 v3, 12, v20
	s_delay_alu instid0(VALU_DEP_4)
	v_mul_lo_u32 v25, v7, s0
	v_ashrrev_i32_e32 v12, 31, v11
	v_add_co_ci_u32_e32 v24, vcc_lo, v2, v4, vcc_lo
	v_add_co_u32 v27, vcc_lo, v1, v5
	v_mul_lo_u32 v29, v3, s0
	v_add_co_ci_u32_e32 v28, vcc_lo, v2, v6, vcc_lo
	ds_load_b128 v[3:6], v21 offset:256
	ds_load_b128 v[7:10], v21 offset:384
	v_lshlrev_b64 v[31:32], 1, v[11:12]
	ds_load_b128 v[11:14], v21 offset:512
	ds_load_b128 v[15:18], v21 offset:640
	ds_load_b128 v[19:22], v21 offset:768
	v_ashrrev_i32_e32 v26, 31, v25
	v_ashrrev_i32_e32 v30, 31, v29
	v_add_co_u32 v31, vcc_lo, v1, v31
	s_delay_alu instid0(VALU_DEP_3) | instskip(NEXT) | instid1(VALU_DEP_3)
	v_lshlrev_b64 v[25:26], 1, v[25:26]
	v_lshlrev_b64 v[29:30], 1, v[29:30]
	v_add_co_ci_u32_e32 v32, vcc_lo, v2, v32, vcc_lo
	s_delay_alu instid0(VALU_DEP_3) | instskip(NEXT) | instid1(VALU_DEP_4)
	v_add_co_u32 v25, vcc_lo, v1, v25
	v_add_co_ci_u32_e32 v26, vcc_lo, v2, v26, vcc_lo
	s_delay_alu instid0(VALU_DEP_4)
	v_add_co_u32 v29, vcc_lo, v1, v29
	v_add_co_ci_u32_e32 v30, vcc_lo, v2, v30, vcc_lo
	s_waitcnt lgkmcnt(4)
	global_store_b128 v[23:24], v[3:6], off
	s_waitcnt lgkmcnt(3)
	global_store_b128 v[27:28], v[7:10], off
	;; [unrolled: 2-line block ×5, first 2 shown]
	s_and_b32 exec_lo, exec_lo, s2
	s_cbranch_execz .LBB1276_2
; %bb.16:
	ds_load_b128 v[3:6], v0 offset:896
	s_add_i32 s1, s31, 14
	s_delay_alu instid0(SALU_CYCLE_1) | instskip(NEXT) | instid1(SALU_CYCLE_1)
	s_mul_i32 s0, s1, s0
	s_ashr_i32 s1, s0, 31
	s_delay_alu instid0(SALU_CYCLE_1) | instskip(NEXT) | instid1(SALU_CYCLE_1)
	s_lshl_b64 s[0:1], s[0:1], 1
	v_add_co_u32 v0, vcc_lo, v1, s0
	v_add_co_ci_u32_e32 v1, vcc_lo, s1, v2, vcc_lo
	s_waitcnt lgkmcnt(0)
	global_store_b128 v[0:1], v[3:6], off
	s_nop 0
	s_sendmsg sendmsg(MSG_DEALLOC_VGPRS)
	s_endpgm
	.section	.rodata,"a",@progbits
	.p2align	6, 0x0
	.amdhsa_kernel _Z39paged_attention_ll4mi_QKV_mfma16_kernelIDF16_hLN4vllm18Fp8KVCacheDataTypeE1EDF16_Li16ELi128ELi256ELb0ELi15EL8MFMAType0EEvPKT_PKT0_S8_ifPKiSA_SA_iPKfiiiPfSD_PS3_PT2_iSC_SC_
		.amdhsa_group_segment_fixed_size 17472
		.amdhsa_private_segment_fixed_size 0
		.amdhsa_kernarg_size 400
		.amdhsa_user_sgpr_count 13
		.amdhsa_user_sgpr_dispatch_ptr 0
		.amdhsa_user_sgpr_queue_ptr 0
		.amdhsa_user_sgpr_kernarg_segment_ptr 1
		.amdhsa_user_sgpr_dispatch_id 0
		.amdhsa_user_sgpr_private_segment_size 0
		.amdhsa_wavefront_size32 1
		.amdhsa_uses_dynamic_stack 0
		.amdhsa_enable_private_segment 0
		.amdhsa_system_sgpr_workgroup_id_x 1
		.amdhsa_system_sgpr_workgroup_id_y 1
		.amdhsa_system_sgpr_workgroup_id_z 1
		.amdhsa_system_sgpr_workgroup_info 0
		.amdhsa_system_vgpr_workitem_id 0
		.amdhsa_next_free_vgpr 150
		.amdhsa_next_free_sgpr 36
		.amdhsa_reserve_vcc 1
		.amdhsa_float_round_mode_32 0
		.amdhsa_float_round_mode_16_64 0
		.amdhsa_float_denorm_mode_32 3
		.amdhsa_float_denorm_mode_16_64 3
		.amdhsa_dx10_clamp 1
		.amdhsa_ieee_mode 1
		.amdhsa_fp16_overflow 0
		.amdhsa_workgroup_processor_mode 1
		.amdhsa_memory_ordered 1
		.amdhsa_forward_progress 0
		.amdhsa_shared_vgpr_count 0
		.amdhsa_exception_fp_ieee_invalid_op 0
		.amdhsa_exception_fp_denorm_src 0
		.amdhsa_exception_fp_ieee_div_zero 0
		.amdhsa_exception_fp_ieee_overflow 0
		.amdhsa_exception_fp_ieee_underflow 0
		.amdhsa_exception_fp_ieee_inexact 0
		.amdhsa_exception_int_div_zero 0
	.end_amdhsa_kernel
	.section	.text._Z39paged_attention_ll4mi_QKV_mfma16_kernelIDF16_hLN4vllm18Fp8KVCacheDataTypeE1EDF16_Li16ELi128ELi256ELb0ELi15EL8MFMAType0EEvPKT_PKT0_S8_ifPKiSA_SA_iPKfiiiPfSD_PS3_PT2_iSC_SC_,"axG",@progbits,_Z39paged_attention_ll4mi_QKV_mfma16_kernelIDF16_hLN4vllm18Fp8KVCacheDataTypeE1EDF16_Li16ELi128ELi256ELb0ELi15EL8MFMAType0EEvPKT_PKT0_S8_ifPKiSA_SA_iPKfiiiPfSD_PS3_PT2_iSC_SC_,comdat
.Lfunc_end1276:
	.size	_Z39paged_attention_ll4mi_QKV_mfma16_kernelIDF16_hLN4vllm18Fp8KVCacheDataTypeE1EDF16_Li16ELi128ELi256ELb0ELi15EL8MFMAType0EEvPKT_PKT0_S8_ifPKiSA_SA_iPKfiiiPfSD_PS3_PT2_iSC_SC_, .Lfunc_end1276-_Z39paged_attention_ll4mi_QKV_mfma16_kernelIDF16_hLN4vllm18Fp8KVCacheDataTypeE1EDF16_Li16ELi128ELi256ELb0ELi15EL8MFMAType0EEvPKT_PKT0_S8_ifPKiSA_SA_iPKfiiiPfSD_PS3_PT2_iSC_SC_
                                        ; -- End function
	.section	.AMDGPU.csdata,"",@progbits
; Kernel info:
; codeLenInByte = 6892
; NumSgprs: 38
; NumVgprs: 150
; ScratchSize: 0
; MemoryBound: 0
; FloatMode: 240
; IeeeMode: 1
; LDSByteSize: 17472 bytes/workgroup (compile time only)
; SGPRBlocks: 4
; VGPRBlocks: 18
; NumSGPRsForWavesPerEU: 38
; NumVGPRsForWavesPerEU: 150
; Occupancy: 9
; WaveLimiterHint : 1
; COMPUTE_PGM_RSRC2:SCRATCH_EN: 0
; COMPUTE_PGM_RSRC2:USER_SGPR: 13
; COMPUTE_PGM_RSRC2:TRAP_HANDLER: 0
; COMPUTE_PGM_RSRC2:TGID_X_EN: 1
; COMPUTE_PGM_RSRC2:TGID_Y_EN: 1
; COMPUTE_PGM_RSRC2:TGID_Z_EN: 1
; COMPUTE_PGM_RSRC2:TIDIG_COMP_CNT: 0
	.section	.text._Z39paged_attention_ll4mi_QKV_mfma16_kernelIDF16_hLN4vllm18Fp8KVCacheDataTypeE1EDF16_Li16ELi128ELi256ELb0ELi16EL8MFMAType0EEvPKT_PKT0_S8_ifPKiSA_SA_iPKfiiiPfSD_PS3_PT2_iSC_SC_,"axG",@progbits,_Z39paged_attention_ll4mi_QKV_mfma16_kernelIDF16_hLN4vllm18Fp8KVCacheDataTypeE1EDF16_Li16ELi128ELi256ELb0ELi16EL8MFMAType0EEvPKT_PKT0_S8_ifPKiSA_SA_iPKfiiiPfSD_PS3_PT2_iSC_SC_,comdat
	.protected	_Z39paged_attention_ll4mi_QKV_mfma16_kernelIDF16_hLN4vllm18Fp8KVCacheDataTypeE1EDF16_Li16ELi128ELi256ELb0ELi16EL8MFMAType0EEvPKT_PKT0_S8_ifPKiSA_SA_iPKfiiiPfSD_PS3_PT2_iSC_SC_ ; -- Begin function _Z39paged_attention_ll4mi_QKV_mfma16_kernelIDF16_hLN4vllm18Fp8KVCacheDataTypeE1EDF16_Li16ELi128ELi256ELb0ELi16EL8MFMAType0EEvPKT_PKT0_S8_ifPKiSA_SA_iPKfiiiPfSD_PS3_PT2_iSC_SC_
	.globl	_Z39paged_attention_ll4mi_QKV_mfma16_kernelIDF16_hLN4vllm18Fp8KVCacheDataTypeE1EDF16_Li16ELi128ELi256ELb0ELi16EL8MFMAType0EEvPKT_PKT0_S8_ifPKiSA_SA_iPKfiiiPfSD_PS3_PT2_iSC_SC_
	.p2align	8
	.type	_Z39paged_attention_ll4mi_QKV_mfma16_kernelIDF16_hLN4vllm18Fp8KVCacheDataTypeE1EDF16_Li16ELi128ELi256ELb0ELi16EL8MFMAType0EEvPKT_PKT0_S8_ifPKiSA_SA_iPKfiiiPfSD_PS3_PT2_iSC_SC_,@function
_Z39paged_attention_ll4mi_QKV_mfma16_kernelIDF16_hLN4vllm18Fp8KVCacheDataTypeE1EDF16_Li16ELi128ELi256ELb0ELi16EL8MFMAType0EEvPKT_PKT0_S8_ifPKiSA_SA_iPKfiiiPfSD_PS3_PT2_iSC_SC_: ; @_Z39paged_attention_ll4mi_QKV_mfma16_kernelIDF16_hLN4vllm18Fp8KVCacheDataTypeE1EDF16_Li16ELi128ELi256ELb0ELi16EL8MFMAType0EEvPKT_PKT0_S8_ifPKiSA_SA_iPKfiiiPfSD_PS3_PT2_iSC_SC_
; %bb.0:
	s_load_b64 s[4:5], s[0:1], 0x30
	s_mov_b32 s30, s13
	s_waitcnt lgkmcnt(0)
	s_cmp_lg_u64 s[4:5], 0
	s_cselect_b32 s8, -1, 0
	s_ashr_i32 s31, s13, 31
	s_cmp_eq_u64 s[4:5], 0
	s_cbranch_scc1 .LBB1277_3
; %bb.1:
	s_lshl_b64 s[2:3], s[30:31], 2
	s_delay_alu instid0(SALU_CYCLE_1) | instskip(SKIP_4) | instid1(SALU_CYCLE_1)
	s_add_u32 s2, s4, s2
	s_addc_u32 s3, s5, s3
	s_load_b64 s[2:3], s[2:3], 0x0
	s_waitcnt lgkmcnt(0)
	s_sub_i32 s2, s3, s2
	s_cmp_eq_u32 s2, 1
	s_cselect_b32 s2, -1, 0
	s_delay_alu instid0(SALU_CYCLE_1)
	s_and_not1_b32 vcc_lo, exec_lo, s2
	s_cbranch_vccz .LBB1277_4
.LBB1277_2:
	s_endpgm
.LBB1277_3:
.LBB1277_4:
	s_load_b64 s[2:3], s[0:1], 0x28
	s_lshl_b64 s[6:7], s[30:31], 2
	s_waitcnt lgkmcnt(0)
	s_add_u32 s2, s2, s6
	s_addc_u32 s3, s3, s7
	s_lshl_b32 s12, s14, 8
	s_load_b32 s24, s[2:3], 0x0
	s_waitcnt lgkmcnt(0)
	s_cmp_ge_i32 s12, s24
	s_cbranch_scc1 .LBB1277_2
; %bb.5:
	s_clause 0x1
	s_load_b128 s[20:23], s[0:1], 0x8
	s_load_b64 s[2:3], s[0:1], 0x20
	s_and_not1_b32 vcc_lo, exec_lo, s8
	s_cbranch_vccnz .LBB1277_7
; %bb.6:
	s_add_u32 s4, s4, s6
	s_addc_u32 s5, s5, s7
	s_load_b32 s5, s[4:5], 0x0
	s_branch .LBB1277_8
.LBB1277_7:
	s_mov_b32 s5, s30
.LBB1277_8:
	s_load_b128 s[16:19], s[0:1], 0x48
	v_and_b32_e32 v70, 15, v0
	v_lshrrev_b32_e32 v69, 5, v0
	v_and_b32_e32 v71, 31, v0
	v_and_b32_e32 v67, 1, v0
	v_bfe_u32 v66, v0, 4, 1
	v_lshlrev_b32_e32 v1, 3, v70
	s_lshl_b32 s31, s15, 4
	s_mov_b32 s4, exec_lo
	s_delay_alu instid0(VALU_DEP_1)
	v_lshlrev_b32_e32 v65, 1, v1
	v_cmpx_gt_u32_e32 0x100, v0
	s_cbranch_execz .LBB1277_10
; %bb.9:
	v_lshl_or_b32 v5, v69, 1, v66
	s_load_b64 s[6:7], s[0:1], 0x0
	s_waitcnt lgkmcnt(0)
	s_mul_hi_i32 s9, s5, s16
	s_mul_i32 s8, s5, s16
	v_lshlrev_b32_e32 v6, 10, v70
	v_or_b32_e32 v1, s31, v5
	s_lshl_b64 s[8:9], s[8:9], 1
	v_lshlrev_b32_e32 v5, 6, v5
	v_lshlrev_b32_e32 v7, 10, v67
	v_and_b32_e32 v6, 0x3800, v6
	v_lshlrev_b32_e32 v1, 7, v1
	s_delay_alu instid0(VALU_DEP_2) | instskip(NEXT) | instid1(VALU_DEP_2)
	v_or3_b32 v5, v6, v7, v5
	v_ashrrev_i32_e32 v2, 31, v1
	s_delay_alu instid0(VALU_DEP_1) | instskip(SKIP_2) | instid1(VALU_DEP_1)
	v_lshlrev_b64 v[1:2], 1, v[1:2]
	s_add_u32 s5, s6, s8
	s_addc_u32 s6, s7, s9
	v_add_co_u32 v1, vcc_lo, s5, v1
	s_delay_alu instid0(VALU_DEP_2) | instskip(NEXT) | instid1(VALU_DEP_2)
	v_add_co_ci_u32_e32 v2, vcc_lo, s6, v2, vcc_lo
	v_add_co_u32 v1, vcc_lo, v1, v65
	s_delay_alu instid0(VALU_DEP_2)
	v_add_co_ci_u32_e32 v2, vcc_lo, 0, v2, vcc_lo
	global_load_b128 v[1:4], v[1:2], off
	s_waitcnt vmcnt(0)
	ds_store_b128 v5, v[1:4]
.LBB1277_10:
	s_or_b32 exec_lo, exec_lo, s4
	v_and_b32_e32 v1, 0xef, v0
	s_waitcnt lgkmcnt(0)
	s_add_i32 s5, s24, 15
	s_clause 0x1
	s_load_b32 s4, s[0:1], 0x38
	s_load_b32 s33, s[0:1], 0x98
	s_ashr_i32 s6, s5, 31
	v_add_nc_u32_e32 v1, s12, v1
	s_lshr_b32 s6, s6, 28
	s_load_b32 s19, s[0:1], 0x1c
	s_add_i32 s5, s5, s6
	s_waitcnt lgkmcnt(0)
	v_ashrrev_i32_e32 v2, 31, v1
	v_or_b32_e32 v3, 16, v1
	s_ashr_i32 s13, s5, 4
	v_cmp_gt_i32_e32 vcc_lo, s24, v1
	s_add_i32 s13, s13, -1
	v_lshrrev_b32_e32 v2, 28, v2
	s_barrier
	buffer_gl0_inv
	s_mul_i32 s15, s15, s18
	v_lshlrev_b32_e32 v41, 4, v70
	v_add_nc_u32_e32 v4, v1, v2
	s_mul_i32 s4, s30, s4
	s_delay_alu instid0(SALU_CYCLE_1) | instskip(NEXT) | instid1(VALU_DEP_1)
	s_ashr_i32 s5, s4, 31
	v_ashrrev_i32_e32 v4, 4, v4
	v_add_nc_u32_e32 v2, v3, v2
	s_lshl_b64 s[4:5], s[4:5], 2
	v_lshl_or_b32 v41, v69, 8, v41
	s_add_u32 s16, s2, s4
	v_cndmask_b32_e32 v1, s13, v4, vcc_lo
	v_ashrrev_i32_e32 v2, 4, v2
	v_cmp_gt_i32_e32 vcc_lo, s24, v3
	s_addc_u32 s25, s3, s5
	s_ashr_i32 s18, s15, 31
	s_add_u32 s26, s20, s15
	s_addc_u32 s27, s21, s18
	v_cndmask_b32_e32 v3, s13, v2, vcc_lo
	v_ashrrev_i32_e32 v2, 31, v1
	s_lshl_b32 s2, s14, 4
	s_delay_alu instid0(SALU_CYCLE_1) | instskip(NEXT) | instid1(VALU_DEP_2)
	s_ashr_i32 s3, s2, 31
	v_ashrrev_i32_e32 v4, 31, v3
	s_delay_alu instid0(VALU_DEP_2) | instskip(SKIP_1) | instid1(SALU_CYCLE_1)
	v_lshlrev_b64 v[1:2], 2, v[1:2]
	s_lshl_b64 s[2:3], s[2:3], 2
	s_add_u32 s2, s16, s2
	s_delay_alu instid0(VALU_DEP_2) | instskip(SKIP_1) | instid1(VALU_DEP_2)
	v_lshlrev_b64 v[3:4], 2, v[3:4]
	s_addc_u32 s3, s25, s3
	v_add_co_u32 v1, vcc_lo, s16, v1
	v_add_co_ci_u32_e32 v2, vcc_lo, s25, v2, vcc_lo
	s_delay_alu instid0(VALU_DEP_3) | instskip(NEXT) | instid1(VALU_DEP_4)
	v_add_co_u32 v3, vcc_lo, s16, v3
	v_add_co_ci_u32_e32 v4, vcc_lo, s25, v4, vcc_lo
	s_clause 0x1
	global_load_b32 v5, v[1:2], off
	global_load_b32 v3, v[3:4], off
	s_or_b32 s4, s12, 32
	v_lshlrev_b32_e32 v1, 4, v0
	s_ashr_i32 s5, s4, 4
	s_cmp_lt_i32 s4, s24
	s_cselect_b32 s4, s5, s13
	s_delay_alu instid0(VALU_DEP_1) | instskip(SKIP_1) | instid1(SALU_CYCLE_1)
	v_and_b32_e32 v1, 0xf0, v1
	s_ashr_i32 s5, s4, 31
	s_lshl_b64 s[4:5], s[4:5], 2
	s_delay_alu instid0(SALU_CYCLE_1)
	s_add_u32 s4, s16, s4
	s_addc_u32 s5, s25, s5
	s_or_b32 s6, s12, 64
	v_add_co_u32 v1, s26, s26, v1
	s_ashr_i32 s7, s6, 4
	s_cmp_lt_i32 s6, s24
	v_add_co_ci_u32_e64 v2, null, s27, 0, s26
	s_cselect_b32 s6, s7, s13
	s_delay_alu instid0(SALU_CYCLE_1) | instskip(NEXT) | instid1(SALU_CYCLE_1)
	s_ashr_i32 s7, s6, 31
	s_lshl_b64 s[6:7], s[6:7], 2
	s_delay_alu instid0(SALU_CYCLE_1) | instskip(SKIP_2) | instid1(SALU_CYCLE_1)
	s_add_u32 s6, s16, s6
	s_addc_u32 s7, s25, s7
	s_or_b32 s8, s12, 0x60
	s_ashr_i32 s9, s8, 4
	s_cmp_lt_i32 s8, s24
	s_cselect_b32 s8, s9, s13
	s_delay_alu instid0(SALU_CYCLE_1) | instskip(NEXT) | instid1(SALU_CYCLE_1)
	s_ashr_i32 s9, s8, 31
	s_lshl_b64 s[8:9], s[8:9], 2
	s_delay_alu instid0(SALU_CYCLE_1) | instskip(SKIP_2) | instid1(SALU_CYCLE_1)
	s_add_u32 s8, s16, s8
	s_addc_u32 s9, s25, s9
	s_or_b32 s10, s12, 0x80
	s_ashr_i32 s11, s10, 4
	s_cmp_lt_i32 s10, s24
	s_cselect_b32 s10, s11, s13
	s_delay_alu instid0(SALU_CYCLE_1) | instskip(NEXT) | instid1(SALU_CYCLE_1)
	s_ashr_i32 s11, s10, 31
	s_lshl_b64 s[10:11], s[10:11], 2
	s_delay_alu instid0(SALU_CYCLE_1) | instskip(SKIP_2) | instid1(SALU_CYCLE_1)
	s_add_u32 s10, s16, s10
	s_addc_u32 s11, s25, s11
	s_or_b32 s20, s12, 0xa0
	s_ashr_i32 s21, s20, 4
	s_cmp_lt_i32 s20, s24
	s_cselect_b32 s20, s21, s13
	s_delay_alu instid0(SALU_CYCLE_1) | instskip(NEXT) | instid1(SALU_CYCLE_1)
	s_ashr_i32 s21, s20, 31
	s_lshl_b64 s[20:21], s[20:21], 2
	s_delay_alu instid0(SALU_CYCLE_1)
	s_add_u32 s20, s16, s20
	s_addc_u32 s21, s25, s21
	s_clause 0x5
	s_load_b32 s26, s[2:3], 0x0
	s_load_b32 s27, s[4:5], 0x0
	;; [unrolled: 1-line block ×6, first 2 shown]
	s_or_b32 s2, s12, 0xc0
	s_mov_b32 s4, 0
	s_ashr_i32 s3, s2, 4
	s_cmp_lt_i32 s2, s24
	s_mov_b32 s11, s4
	s_cselect_b32 s2, s3, s13
	s_mov_b32 s5, s4
	s_ashr_i32 s3, s2, 31
	s_mov_b32 s6, s4
	s_lshl_b64 s[2:3], s[2:3], 2
	s_mov_b32 s7, s4
	s_add_u32 s2, s16, s2
	s_mov_b32 s8, s4
	s_mov_b32 s9, s4
	;; [unrolled: 1-line block ×3, first 2 shown]
	s_addc_u32 s3, s25, s3
	s_or_b32 s21, s12, 0xe0
	v_dual_mov_b32 v103, s11 :: v_dual_mov_b32 v96, s4
	v_dual_mov_b32 v101, s9 :: v_dual_lshlrev_b32 v68, 6, v70
	v_mov_b32_e32 v102, s10
	v_dual_mov_b32 v100, s8 :: v_dual_mov_b32 v99, s7
	v_dual_mov_b32 v98, s6 :: v_dual_mov_b32 v97, s5
	s_ashr_i32 s4, s21, 4
	s_cmp_lt_i32 s21, s24
	s_cselect_b32 s4, s4, s13
	s_delay_alu instid0(SALU_CYCLE_1) | instskip(NEXT) | instid1(SALU_CYCLE_1)
	s_ashr_i32 s5, s4, 31
	s_lshl_b64 s[4:5], s[4:5], 2
	s_waitcnt vmcnt(1)
	v_mad_i64_i32 v[33:34], null, v5, s17, v[1:2]
	s_waitcnt vmcnt(0)
	v_mad_i64_i32 v[35:36], null, v3, s17, v[1:2]
	s_clause 0xf
	global_load_b128 v[1:4], v[33:34], off
	global_load_b128 v[5:8], v[33:34], off offset:256
	global_load_b128 v[9:12], v[35:36], off
	global_load_b128 v[13:16], v[35:36], off offset:256
	global_load_b128 v[17:20], v[33:34], off offset:512
	;; [unrolled: 1-line block ×13, first 2 shown]
	ds_load_b128 v[33:36], v68
	ds_load_b128 v[37:40], v68 offset:1024
	ds_load_b128 v[104:107], v68 offset:2048
	;; [unrolled: 1-line block ×3, first 2 shown]
	s_load_b32 s6, s[2:3], 0x0
	s_add_u32 s2, s16, s4
	s_addc_u32 s3, s25, s5
	ds_load_b128 v[112:115], v68 offset:4096
	ds_load_b128 v[116:119], v68 offset:5120
	s_load_b32 s2, s[2:3], 0x0
	s_add_u32 s4, s22, s15
	s_addc_u32 s5, s23, s18
	v_add_co_u32 v128, s4, s4, v41
	s_delay_alu instid0(VALU_DEP_1) | instskip(SKIP_1) | instid1(VALU_DEP_1)
	v_add_co_ci_u32_e64 v129, null, s5, 0, s4
	s_waitcnt lgkmcnt(0)
	v_mad_i64_i32 v[41:42], null, s26, s17, v[128:129]
	v_mad_i64_i32 v[130:131], null, s28, s17, v[128:129]
	;; [unrolled: 1-line block ×7, first 2 shown]
	s_clause 0x3
	global_load_b128 v[49:52], v[41:42], off
	global_load_b128 v[53:56], v[41:42], off offset:16
	global_load_b128 v[41:44], v[45:46], off
	global_load_b128 v[45:48], v[45:46], off offset:16
	s_waitcnt vmcnt(18)
	v_wmma_f32_16x16x16_f16 v[120:127], v[1:8], v[33:40], v[96:103]
	s_waitcnt vmcnt(16)
	v_wmma_f32_16x16x16_f16 v[96:103], v[9:16], v[33:40], v[96:103]
	s_clause 0x3
	global_load_b128 v[33:36], v[130:131], off
	global_load_b128 v[37:40], v[130:131], off offset:16
	global_load_b128 v[1:4], v[132:133], off
	global_load_b128 v[5:8], v[132:133], off offset:16
	s_waitcnt vmcnt(18)
	v_wmma_f32_16x16x16_f16 v[120:127], v[17:24], v[104:111], v[120:127]
	s_clause 0x3
	global_load_b128 v[9:12], v[134:135], off
	global_load_b128 v[13:16], v[134:135], off offset:16
	global_load_b128 v[17:20], v[136:137], off
	global_load_b128 v[21:24], v[136:137], off offset:16
	s_waitcnt vmcnt(20)
	v_wmma_f32_16x16x16_f16 v[96:103], v[25:32], v[104:111], v[96:103]
	v_mad_i64_i32 v[104:105], null, s2, s17, v[128:129]
	s_waitcnt vmcnt(18)
	v_wmma_f32_16x16x16_f16 v[120:127], v[57:64], v[112:119], v[120:127]
	s_clause 0x1
	global_load_b128 v[25:28], v[138:139], off
	global_load_b128 v[29:32], v[138:139], off offset:16
	s_waitcnt vmcnt(18)
	v_wmma_f32_16x16x16_f16 v[96:103], v[72:79], v[112:119], v[96:103]
	s_clause 0x1
	global_load_b128 v[57:60], v[104:105], off
	global_load_b128 v[61:64], v[104:105], off offset:16
	ds_load_b128 v[72:75], v68 offset:6144
	ds_load_b128 v[76:79], v68 offset:7168
	v_and_b32_e32 v104, 0xe0, v0
	v_mbcnt_lo_u32_b32 v105, -1, 0
	s_waitcnt vmcnt(0) lgkmcnt(0)
	s_barrier
	buffer_gl0_inv
	v_add_nc_u32_e32 v104, s12, v104
	v_xor_b32_e32 v106, 16, v105
	s_delay_alu instid0(VALU_DEP_2) | instskip(NEXT) | instid1(VALU_DEP_2)
	v_or_b32_e32 v104, v104, v66
	v_cmp_gt_i32_e32 vcc_lo, 32, v106
	s_delay_alu instid0(VALU_DEP_2)
	v_or_b32_e32 v107, 4, v104
	v_or_b32_e32 v108, 6, v104
	v_cmp_gt_i32_e64 s2, s24, v104
	v_or_b32_e32 v109, 8, v104
	v_wmma_f32_16x16x16_f16 v[120:127], v[80:87], v[72:79], v[120:127]
	v_cndmask_b32_e32 v105, v105, v106, vcc_lo
	v_or_b32_e32 v106, 2, v104
	v_wmma_f32_16x16x16_f16 v[96:103], v[88:95], v[72:79], v[96:103]
	v_or_b32_e32 v80, 10, v104
	v_dual_mul_f32 v90, s19, v120 :: v_dual_mul_f32 v89, s19, v121
	s_delay_alu instid0(VALU_DEP_4) | instskip(NEXT) | instid1(VALU_DEP_4)
	v_cmp_gt_i32_e32 vcc_lo, s24, v106
	v_dual_mul_f32 v94, s19, v100 :: v_dual_mul_f32 v77, s19, v125
	v_dual_mul_f32 v88, s19, v122 :: v_dual_mul_f32 v79, s19, v123
	v_mul_f32_e32 v92, s19, v102
	v_cndmask_b32_e64 v90, 0xff7fffff, v90, s2
	v_cndmask_b32_e32 v89, 0xff7fffff, v89, vcc_lo
	v_cmp_gt_i32_e64 s3, s24, v107
	v_cmp_gt_i32_e64 s4, s24, v108
	v_or_b32_e32 v81, 12, v104
	v_or_b32_e32 v82, 14, v104
	v_mul_f32_e32 v78, s19, v124
	v_cndmask_b32_e64 v88, 0xff7fffff, v88, s3
	v_cndmask_b32_e64 v79, 0xff7fffff, v79, s4
	v_max3_f32 v89, v90, 0xff7fffff, v89
	v_cmp_gt_i32_e64 s5, s24, v109
	v_cmp_gt_i32_e64 s6, s24, v80
	v_or_b32_e32 v83, 16, v104
	v_or_b32_e32 v84, 18, v104
	v_dual_mul_f32 v75, s19, v127 :: v_dual_mul_f32 v76, s19, v126
	v_cndmask_b32_e64 v78, 0xff7fffff, v78, s5
	v_cndmask_b32_e64 v77, 0xff7fffff, v77, s6
	v_max3_f32 v79, v89, v88, v79
	v_cmp_gt_i32_e64 s7, s24, v81
	v_cmp_gt_i32_e64 s8, s24, v82
	v_or_b32_e32 v85, 20, v104
	v_or_b32_e32 v86, 22, v104
	;; [unrolled: 1-line block ×6, first 2 shown]
	v_dual_mul_f32 v95, s19, v99 :: v_dual_mul_f32 v104, s19, v97
	v_mul_f32_e32 v107, s19, v96
	v_cndmask_b32_e64 v76, 0xff7fffff, v76, s7
	v_cndmask_b32_e64 v75, 0xff7fffff, v75, s8
	v_max3_f32 v77, v79, v78, v77
	v_cmp_gt_i32_e64 s9, s24, v83
	v_cmp_gt_i32_e64 s10, s24, v84
	v_dual_mul_f32 v91, s19, v103 :: v_dual_mul_f32 v106, s19, v98
	s_delay_alu instid0(VALU_DEP_4) | instskip(NEXT) | instid1(VALU_DEP_4)
	v_max3_f32 v75, v77, v76, v75
	v_cndmask_b32_e64 v78, 0xff7fffff, v107, s9
	s_delay_alu instid0(VALU_DEP_4)
	v_cndmask_b32_e64 v79, 0xff7fffff, v104, s10
	v_cmp_gt_i32_e64 s11, s24, v85
	v_cmp_gt_i32_e64 s12, s24, v86
	v_mul_f32_e32 v93, s19, v101
	v_cmp_gt_i32_e64 s13, s24, v87
	v_max3_f32 v75, v75, v78, v79
	v_cndmask_b32_e64 v76, 0xff7fffff, v106, s11
	v_cndmask_b32_e64 v77, 0xff7fffff, v95, s12
	v_cmp_gt_i32_e64 s15, s24, v72
	v_cndmask_b32_e64 v78, 0xff7fffff, v94, s13
	v_cmp_gt_i32_e64 s16, s24, v73
	v_cmp_gt_i32_e64 s17, s24, v74
	v_max3_f32 v75, v75, v76, v77
	v_cndmask_b32_e64 v72, 0xff7fffff, v93, s15
	s_delay_alu instid0(VALU_DEP_4) | instskip(NEXT) | instid1(VALU_DEP_4)
	v_cndmask_b32_e64 v73, 0xff7fffff, v92, s16
	v_cndmask_b32_e64 v74, 0xff7fffff, v91, s17
	s_delay_alu instid0(VALU_DEP_3) | instskip(SKIP_1) | instid1(VALU_DEP_2)
	v_max3_f32 v72, v75, v78, v72
	v_lshlrev_b32_e32 v75, 2, v105
	v_max3_f32 v72, v72, v73, v74
	ds_bpermute_b32 v73, v75, v72
	s_waitcnt lgkmcnt(0)
	v_max_f32_e32 v73, v73, v73
	s_delay_alu instid0(VALU_DEP_1) | instskip(NEXT) | instid1(VALU_DEP_1)
	v_max_f32_e32 v72, v72, v73
	v_fma_f32 v76, s19, v122, -v72
	v_fma_f32 v73, s19, v120, -v72
	;; [unrolled: 1-line block ×5, first 2 shown]
	v_mul_f32_e32 v76, 0x3fb8aa3b, v76
	v_fma_f32 v82, s19, v126, -v72
	s_delay_alu instid0(VALU_DEP_4) | instskip(SKIP_1) | instid1(VALU_DEP_4)
	v_dual_mul_f32 v79, 0x3fb8aa3b, v79 :: v_dual_mul_f32 v74, 0x3fb8aa3b, v74
	v_fma_f32 v86, s19, v99, -v72
	v_exp_f32_e32 v76, v76
	s_delay_alu instid0(VALU_DEP_3) | instskip(NEXT) | instid1(VALU_DEP_3)
	v_mul_f32_e32 v82, 0x3fb8aa3b, v82
	v_exp_f32_e32 v83, v79
	v_exp_f32_e32 v74, v74
	v_mul_f32_e32 v88, 0x3fb8aa3b, v86
	v_fma_f32 v91, s19, v103, -v72
	v_exp_f32_e32 v84, v82
	v_fma_f32 v89, s19, v101, -v72
	s_delay_alu instid0(VALU_DEP_3)
	v_exp_f32_e32 v90, v88
	v_cndmask_b32_e64 v80, 0, v76, s3
	v_mul_f32_e32 v73, 0x3fb8aa3b, v73
	v_fma_f32 v76, s19, v127, -v72
	v_mul_f32_e32 v77, 0x3fb8aa3b, v77
	v_cndmask_b32_e64 v82, 0, v83, s5
	v_fma_f32 v83, s19, v97, -v72
	v_exp_f32_e32 v73, v73
	v_mul_f32_e32 v76, 0x3fb8aa3b, v76
	v_exp_f32_e32 v81, v77
	v_cndmask_b32_e64 v84, 0, v84, s7
	v_mul_f32_e32 v83, 0x3fb8aa3b, v83
	v_mul_f32_e32 v89, 0x3fb8aa3b, v89
	v_exp_f32_e32 v76, v76
	s_delay_alu instid0(VALU_DEP_2) | instskip(SKIP_2) | instid1(TRANS32_DEP_3)
	v_exp_f32_e32 v87, v83
	v_cndmask_b32_e64 v78, 0, v73, s2
	v_fma_f32 v73, s19, v125, -v72
	v_cndmask_b32_e64 v79, 0, v81, s4
	v_cndmask_b32_e32 v77, 0, v74, vcc_lo
	v_fma_f32 v81, s19, v96, -v72
	s_delay_alu instid0(VALU_DEP_4) | instskip(NEXT) | instid1(TRANS32_DEP_2)
	v_dual_add_f32 v74, 0, v78 :: v_dual_mul_f32 v73, 0x3fb8aa3b, v73
	v_cndmask_b32_e64 v83, 0, v76, s8
	v_fma_f32 v76, s19, v100, -v72
	s_delay_alu instid0(VALU_DEP_4) | instskip(NEXT) | instid1(VALU_DEP_4)
	v_mul_f32_e32 v85, 0x3fb8aa3b, v81
	v_add_f32_e32 v74, v74, v77
	v_exp_f32_e32 v73, v73
	v_exp_f32_e32 v89, v89
	v_mul_f32_e32 v76, 0x3fb8aa3b, v76
	v_exp_f32_e32 v85, v85
	v_add_f32_e32 v74, v74, v80
	s_mov_b32 s2, exec_lo
	s_delay_alu instid0(VALU_DEP_2) | instskip(NEXT) | instid1(VALU_DEP_1)
	v_exp_f32_e32 v76, v76
	v_add_f32_e32 v74, v74, v79
	v_cndmask_b32_e64 v81, 0, v73, s6
	s_delay_alu instid0(TRANS32_DEP_3)
	v_cndmask_b32_e64 v89, 0, v89, s15
	s_waitcnt_depctr 0xfff
	v_cndmask_b32_e64 v86, 0, v85, s9
	v_cndmask_b32_e64 v85, 0, v87, s10
	v_fma_f32 v87, s19, v102, -v72
	v_add_f32_e32 v73, v74, v82
	v_fma_f32 v74, s19, v98, -v72
	s_delay_alu instid0(VALU_DEP_1) | instskip(NEXT) | instid1(VALU_DEP_1)
	v_mul_f32_e32 v74, 0x3fb8aa3b, v74
	v_exp_f32_e32 v74, v74
	s_waitcnt_depctr 0xfff
	v_cndmask_b32_e64 v88, 0, v74, s11
	v_dual_mul_f32 v74, 0x3fb8aa3b, v87 :: v_dual_add_f32 v73, v73, v81
	v_cndmask_b32_e64 v87, 0, v90, s12
	v_cndmask_b32_e64 v90, 0, v76, s13
	v_mul_f32_e32 v76, 0x3fb8aa3b, v91
	s_delay_alu instid0(VALU_DEP_4) | instskip(SKIP_1) | instid1(VALU_DEP_2)
	v_exp_f32_e32 v74, v74
	v_add_f32_e32 v73, v73, v84
	v_exp_f32_e32 v76, v76
	s_delay_alu instid0(VALU_DEP_1) | instskip(SKIP_4) | instid1(VALU_DEP_2)
	v_add_f32_e32 v73, v73, v83
	s_waitcnt_depctr 0xfff
	v_cndmask_b32_e64 v92, 0, v74, s16
	v_add_f32_e32 v73, v73, v86
	v_cndmask_b32_e64 v91, 0, v76, s17
	v_add_f32_e32 v73, v73, v85
	s_delay_alu instid0(VALU_DEP_1) | instskip(NEXT) | instid1(VALU_DEP_1)
	v_add_f32_e32 v73, v73, v88
	v_add_f32_e32 v73, v73, v87
	s_delay_alu instid0(VALU_DEP_1) | instskip(NEXT) | instid1(VALU_DEP_1)
	v_add_f32_e32 v73, v73, v90
	;; [unrolled: 3-line block ×3, first 2 shown]
	v_add_f32_e32 v73, v73, v91
	ds_bpermute_b32 v74, v75, v73
	v_cmpx_gt_u32_e32 16, v71
	s_cbranch_execz .LBB1277_12
; %bb.11:
	v_mul_u32_u24_e32 v71, 0x44, v69
	s_waitcnt lgkmcnt(0)
	v_add_f32_e32 v73, v73, v74
	s_delay_alu instid0(VALU_DEP_2) | instskip(NEXT) | instid1(VALU_DEP_1)
	v_lshl_add_u32 v71, v70, 2, v71
	v_add_nc_u32_e32 v71, 0x4000, v71
	ds_store_2addr_b32 v71, v72, v73 offset1:136
.LBB1277_12:
	s_or_b32 exec_lo, exec_lo, s2
	v_lshlrev_b32_e32 v70, 2, v70
	s_load_b32 s34, s[0:1], 0x94
	s_waitcnt lgkmcnt(0)
	s_barrier
	buffer_gl0_inv
	v_add_nc_u32_e32 v74, 0x4000, v70
	v_cmp_eq_u32_e32 vcc_lo, 1, v69
	v_cmp_eq_u32_e64 s2, 2, v69
	v_cmp_eq_u32_e64 s3, 3, v69
	;; [unrolled: 1-line block ×3, first 2 shown]
	ds_load_2addr_b32 v[70:71], v74 offset1:17
	ds_load_2addr_b32 v[72:73], v74 offset0:34 offset1:51
	ds_load_2addr_b32 v[93:94], v74 offset0:68 offset1:85
	;; [unrolled: 1-line block ×3, first 2 shown]
	v_cmp_eq_u32_e64 s5, 7, v69
	s_waitcnt lgkmcnt(3)
	v_max3_f32 v75, v70, 0xff7fffff, v71
	s_waitcnt lgkmcnt(2)
	s_delay_alu instid0(VALU_DEP_1) | instskip(SKIP_1) | instid1(VALU_DEP_1)
	v_max3_f32 v75, v75, v72, v73
	s_waitcnt lgkmcnt(1)
	v_max3_f32 v75, v75, v93, v94
	s_waitcnt lgkmcnt(0)
	s_delay_alu instid0(VALU_DEP_1) | instskip(NEXT) | instid1(VALU_DEP_1)
	v_max3_f32 v75, v75, v95, v96
	v_sub_f32_e32 v93, v93, v75
	ds_load_2addr_b32 v[97:98], v74 offset0:136 offset1:153
	v_sub_f32_e32 v70, v70, v75
	v_dual_sub_f32 v100, v73, v75 :: v_dual_mul_f32 v103, 0x3fb8aa3b, v93
	s_delay_alu instid0(VALU_DEP_2) | instskip(SKIP_3) | instid1(VALU_DEP_1)
	v_dual_sub_f32 v76, v71, v75 :: v_dual_mul_f32 v99, 0x3fb8aa3b, v70
	ds_load_2addr_b32 v[70:71], v74 offset0:170 offset1:187
	v_mul_f32_e32 v76, 0x3fb8aa3b, v76
	v_exp_f32_e32 v99, v99
	v_exp_f32_e32 v102, v76
	v_mul_f32_e32 v100, 0x3fb8aa3b, v100
	s_waitcnt lgkmcnt(1)
	s_waitcnt_depctr 0xfff
	v_fma_f32 v76, v99, v97, 0
	v_sub_f32_e32 v97, v94, v75
	v_sub_f32_e32 v72, v72, v75
	v_exp_f32_e32 v100, v100
	ds_load_2addr_b32 v[93:94], v74 offset0:238 offset1:255
	v_dual_fmac_f32 v76, v102, v98 :: v_dual_mul_f32 v101, 0x3fb8aa3b, v72
	ds_load_2addr_b32 v[72:73], v74 offset0:204 offset1:221
	v_dual_sub_f32 v74, v95, v75 :: v_dual_mul_f32 v95, 0x3fb8aa3b, v97
	v_exp_f32_e32 v97, v103
	v_exp_f32_e32 v101, v101
	s_waitcnt lgkmcnt(0)
	s_delay_alu instid0(VALU_DEP_1)
	v_mul_f32_e32 v74, 0x3fb8aa3b, v74
	v_exp_f32_e32 v95, v95
	s_barrier
	buffer_gl0_inv
	v_fmac_f32_e32 v76, v101, v70
	v_sub_f32_e32 v70, v96, v75
	v_exp_f32_e32 v96, v74
	s_delay_alu instid0(VALU_DEP_2) | instskip(NEXT) | instid1(VALU_DEP_2)
	v_fmac_f32_e32 v76, v100, v71
	v_mul_f32_e32 v70, 0x3fb8aa3b, v70
	s_delay_alu instid0(VALU_DEP_2) | instskip(NEXT) | instid1(VALU_DEP_2)
	v_dual_cndmask_b32 v71, v99, v102 :: v_dual_fmac_f32 v76, v97, v72
	v_exp_f32_e32 v98, v70
	s_delay_alu instid0(VALU_DEP_1) | instskip(SKIP_2) | instid1(VALU_DEP_1)
	v_fmac_f32_e32 v76, v95, v73
	s_waitcnt_depctr 0xfff
	v_fmac_f32_e32 v76, v96, v93
	v_fmac_f32_e32 v76, v98, v94
	s_delay_alu instid0(VALU_DEP_1) | instskip(NEXT) | instid1(VALU_DEP_1)
	v_add_f32_e32 v93, 0x358637bd, v76
	v_div_scale_f32 v94, null, v93, v93, 1.0
	v_div_scale_f32 v99, vcc_lo, 1.0, v93, 1.0
	s_delay_alu instid0(VALU_DEP_2) | instskip(SKIP_2) | instid1(VALU_DEP_1)
	v_rcp_f32_e32 v103, v94
	s_waitcnt_depctr 0xfff
	v_fma_f32 v70, -v94, v103, 1.0
	v_fmac_f32_e32 v103, v70, v103
	v_cndmask_b32_e64 v70, v71, v101, s2
	v_cmp_eq_u32_e64 s2, 4, v69
	v_lshlrev_b32_e32 v71, 2, v66
	s_delay_alu instid0(VALU_DEP_4) | instskip(NEXT) | instid1(VALU_DEP_4)
	v_mul_f32_e32 v101, v99, v103
	v_cndmask_b32_e64 v72, v70, v100, s3
	v_cmp_eq_u32_e64 s3, 6, v69
	v_lshl_or_b32 v70, v69, 11, v68
	v_or_b32_e32 v74, 1, v71
	v_fma_f32 v73, -v94, v101, v99
	v_cndmask_b32_e64 v72, v72, v97, s2
	v_cmp_eq_u32_e64 s2, 1, v71
	v_lshl_or_b32 v69, v66, 4, v70
	v_cmp_eq_u32_e64 s8, 1, v74
	v_fmac_f32_e32 v101, v73, v103
	v_cndmask_b32_e64 v95, v72, v95, s4
	v_or_b32_e32 v72, 2, v71
	v_or_b32_e32 v73, 3, v71
	v_cmp_eq_u32_e64 s11, 2, v74
	v_fma_f32 v94, -v94, v101, v99
	v_cndmask_b32_e64 v95, v95, v96, s3
	v_cmp_eq_u32_e64 s9, 1, v72
	v_cmp_eq_u32_e64 s10, 1, v73
	;; [unrolled: 1-line block ×3, first 2 shown]
	v_div_fmas_f32 v94, v94, v103, v101
	v_cndmask_b32_e64 v95, v95, v98, s5
	v_cmp_eq_u32_e32 vcc_lo, 2, v71
	v_cmp_eq_u32_e64 s15, 2, v73
	v_cmp_eq_u32_e64 s17, 3, v73
	v_div_fixup_f32 v93, v94, v93, 1.0
	v_cmp_eq_u32_e64 s3, 3, v71
	v_cmp_eq_u32_e64 s12, 3, v74
	;; [unrolled: 1-line block ×4, first 2 shown]
	v_mul_f32_e32 v101, v95, v93
	v_cmp_eq_u32_e64 s4, 4, v71
	v_cmp_eq_u32_e64 s18, 4, v74
	v_cmp_eq_u32_e64 s20, 4, v72
	v_cmp_eq_u32_e64 s23, 5, v73
	v_fma_mixlo_f16 v93, v101, v78, 0
	v_fma_mixlo_f16 v94, v101, v80, 0
	;; [unrolled: 1-line block ×8, first 2 shown]
	v_fma_mixhi_f16 v93, v101, v77, 0
	v_fma_mixhi_f16 v94, v101, v79, 0
	;; [unrolled: 1-line block ×8, first 2 shown]
	ds_store_b128 v69, v[93:96]
	ds_store_b128 v69, v[97:100] offset:1024
	s_waitcnt lgkmcnt(0)
	s_barrier
	buffer_gl0_inv
	ds_load_b128 v[77:80], v70
	ds_load_b128 v[81:84], v70 offset:16
	ds_load_b128 v[85:88], v70 offset:1024
	;; [unrolled: 1-line block ×3, first 2 shown]
	v_cmp_eq_u32_e64 s5, 5, v71
	v_cmp_eq_u32_e64 s19, 5, v74
	;; [unrolled: 1-line block ×11, first 2 shown]
	s_waitcnt lgkmcnt(3)
	v_lshrrev_b32_e32 v93, 16, v77
	s_waitcnt lgkmcnt(2)
	v_lshrrev_b32_e32 v97, 16, v81
	;; [unrolled: 2-line block ×4, first 2 shown]
	v_lshrrev_b32_e32 v94, 16, v78
	v_cndmask_b32_e64 v109, v77, v93, s2
	v_cndmask_b32_e64 v110, v81, v97, s2
	v_cndmask_b32_e64 v111, v77, v93, s8
	v_cndmask_b32_e64 v112, v81, v97, s8
	v_cndmask_b32_e64 v113, v77, v93, s9
	v_cndmask_b32_e64 v114, v81, v97, s9
	v_cndmask_b32_e64 v77, v77, v93, s10
	v_cndmask_b32_e64 v81, v81, v97, s10
	v_lshrrev_b32_e32 v98, 16, v82
	v_cndmask_b32_e64 v93, v85, v101, s2
	v_cndmask_b32_e64 v97, v89, v105, s2
	;; [unrolled: 1-line block ×5, first 2 shown]
	v_cndmask_b32_e32 v101, v109, v78, vcc_lo
	v_cndmask_b32_e64 v109, v111, v78, s11
	v_cndmask_b32_e64 v111, v113, v78, s13
	;; [unrolled: 1-line block ×4, first 2 shown]
	v_lshrrev_b32_e32 v102, 16, v86
	v_lshrrev_b32_e32 v106, 16, v90
	v_cndmask_b32_e64 v116, v89, v105, s8
	v_cndmask_b32_e64 v118, v89, v105, s9
	;; [unrolled: 1-line block ×3, first 2 shown]
	v_cndmask_b32_e32 v105, v110, v82, vcc_lo
	v_cndmask_b32_e64 v110, v112, v82, s11
	v_cndmask_b32_e64 v112, v114, v82, s13
	v_cndmask_b32_e32 v81, v93, v86, vcc_lo
	v_cndmask_b32_e32 v82, v97, v90, vcc_lo
	v_cndmask_b32_e64 v93, v115, v86, s11
	v_cndmask_b32_e64 v77, v77, v94, s17
	;; [unrolled: 1-line block ×3, first 2 shown]
	v_lshrrev_b32_e32 v95, 16, v79
	v_lshrrev_b32_e32 v99, 16, v83
	v_cndmask_b32_e64 v97, v117, v86, s13
	v_cndmask_b32_e64 v85, v85, v86, s15
	;; [unrolled: 1-line block ×14, first 2 shown]
	v_lshrrev_b32_e32 v103, 16, v87
	v_cndmask_b32_e64 v89, v89, v79, s4
	v_cndmask_b32_e64 v94, v101, v83, s4
	;; [unrolled: 1-line block ×11, first 2 shown]
	v_lshrrev_b32_e32 v96, 16, v80
	v_lshrrev_b32_e32 v100, 16, v84
	v_cndmask_b32_e64 v83, v89, v95, s5
	v_cndmask_b32_e64 v89, v94, v99, s5
	;; [unrolled: 1-line block ×9, first 2 shown]
	v_lshrrev_b32_e32 v104, 16, v88
	v_cndmask_b32_e64 v79, v79, v103, s5
	v_cndmask_b32_e64 v83, v83, v80, s6
	;; [unrolled: 1-line block ×19, first 2 shown]
	v_perm_b32 v80, v78, v77, 0x5040100
	v_cndmask_b32_e64 v77, v116, v90, s11
	v_cndmask_b32_e64 v95, v79, v104, s7
	v_perm_b32 v79, v93, v89, 0x5040100
	v_perm_b32 v78, v94, v84, 0x5040100
	v_cndmask_b32_e64 v84, v97, v102, s16
	v_cndmask_b32_e64 v85, v85, v102, s17
	v_cndmask_b32_e64 v86, v86, v106, s17
	v_cndmask_b32_e64 v89, v113, v106, s16
	v_cndmask_b32_e64 v77, v77, v106, s12
	v_lshrrev_b32_e32 v107, 16, v91
	v_cndmask_b32_e64 v84, v84, v87, s20
	v_cndmask_b32_e64 v85, v85, v87, s21
	;; [unrolled: 1-line block ×11, first 2 shown]
	v_lshrrev_b32_e32 v108, 16, v92
	v_cndmask_b32_e64 v81, v81, v92, s6
	v_cndmask_b32_e64 v84, v84, v88, s25
	;; [unrolled: 1-line block ×12, first 2 shown]
	v_perm_b32 v77, v83, v82, 0x5040100
	v_perm_b32 v84, v85, v84, 0x5040100
	;; [unrolled: 1-line block ×5, first 2 shown]
	s_lshl_b32 s7, s33, 4
	s_mov_b32 s2, exec_lo
	ds_store_b128 v69, v[77:80]
	ds_store_b128 v69, v[81:84] offset:1024
	v_cmpx_gt_u32_e32 16, v0
	s_cbranch_execz .LBB1277_14
; %bb.13:
	v_or_b32_e32 v77, s31, v0
	s_load_b128 s[8:11], s[0:1], 0x58
	s_delay_alu instid0(VALU_DEP_1) | instskip(NEXT) | instid1(VALU_DEP_1)
	v_mad_u64_u32 v[78:79], null, s7, s30, v[77:78]
	v_mad_u64_u32 v[79:80], null, v78, s34, s[14:15]
	s_delay_alu instid0(VALU_DEP_1) | instskip(NEXT) | instid1(VALU_DEP_1)
	v_ashrrev_i32_e32 v80, 31, v79
	v_lshlrev_b64 v[77:78], 2, v[79:80]
	s_waitcnt lgkmcnt(0)
	s_delay_alu instid0(VALU_DEP_1) | instskip(NEXT) | instid1(VALU_DEP_2)
	v_add_co_u32 v79, vcc_lo, s10, v77
	v_add_co_ci_u32_e32 v80, vcc_lo, s11, v78, vcc_lo
	v_add_co_u32 v77, vcc_lo, s8, v77
	v_add_co_ci_u32_e32 v78, vcc_lo, s9, v78, vcc_lo
	global_store_b32 v[79:80], v75, off
	global_store_b32 v[77:78], v76, off
.LBB1277_14:
	s_or_b32 exec_lo, exec_lo, s2
	s_waitcnt lgkmcnt(0)
	s_waitcnt_vscnt null, 0x0
	s_barrier
	buffer_gl0_inv
	ds_load_b128 v[83:86], v68
	ds_load_b128 v[87:90], v68 offset:16
	ds_load_b128 v[95:98], v68 offset:2064
	;; [unrolled: 1-line block ×5, first 2 shown]
	v_cmp_eq_u32_e32 vcc_lo, 1, v71
	v_mov_b32_e32 v75, 0
	ds_load_b128 v[111:114], v68 offset:6160
	ds_load_b128 v[107:110], v68 offset:6144
	;; [unrolled: 1-line block ×4, first 2 shown]
	v_cmp_eq_u32_e64 s3, 1, v72
	v_cmp_eq_u32_e64 s2, 1, v74
	;; [unrolled: 1-line block ×3, first 2 shown]
	v_mov_b32_e32 v76, v75
	v_mov_b32_e32 v77, v75
	;; [unrolled: 1-line block ×7, first 2 shown]
	v_cmp_eq_u32_e64 s5, 3, v74
	v_cmp_eq_u32_e64 s6, 7, v74
	s_waitcnt lgkmcnt(8)
	s_delay_alu instid0(VALU_DEP_3)
	v_wmma_f32_16x16x16_f16 v[75:82], v[49:56], v[83:90], v[75:82]
	ds_load_b128 v[53:56], v68 offset:10256
	ds_load_b128 v[49:52], v68 offset:10240
	s_waitcnt lgkmcnt(8)
	v_wmma_f32_16x16x16_f16 v[75:82], v[41:48], v[91:98], v[75:82]
	ds_load_b128 v[45:48], v68 offset:12304
	ds_load_b128 v[41:44], v68 offset:12288
	s_waitcnt lgkmcnt(8)
	v_wmma_f32_16x16x16_f16 v[75:82], v[33:40], v[99:106], v[75:82]
	ds_load_b128 v[37:40], v68 offset:14352
	ds_load_b128 v[33:36], v68 offset:14336
	s_waitcnt lgkmcnt(0)
	s_barrier
	buffer_gl0_inv
	v_wmma_f32_16x16x16_f16 v[75:82], v[1:8], v[107:114], v[75:82]
	s_delay_alu instid0(VALU_DEP_1) | instskip(NEXT) | instid1(VALU_DEP_1)
	v_wmma_f32_16x16x16_f16 v[75:82], v[9:16], v[115:122], v[75:82]
	v_wmma_f32_16x16x16_f16 v[75:82], v[17:24], v[49:56], v[75:82]
	s_delay_alu instid0(VALU_DEP_1) | instskip(NEXT) | instid1(VALU_DEP_1)
	v_wmma_f32_16x16x16_f16 v[75:82], v[25:32], v[41:48], v[75:82]
	v_wmma_f32_16x16x16_f16 v[75:82], v[57:64], v[33:40], v[75:82]
	s_delay_alu instid0(VALU_DEP_1) | instskip(NEXT) | instid1(VALU_DEP_2)
	v_cvt_f16_f32_e32 v1, v75
	v_cvt_f16_f32_e32 v2, v76
	s_delay_alu instid0(VALU_DEP_3) | instskip(NEXT) | instid1(VALU_DEP_4)
	v_cvt_f16_f32_e32 v3, v77
	v_cvt_f16_f32_e32 v4, v78
	;; [unrolled: 1-line block ×6, first 2 shown]
	v_pack_b32_f16 v1, v1, v2
	v_pack_b32_f16 v2, v3, v4
	;; [unrolled: 1-line block ×3, first 2 shown]
	s_delay_alu instid0(VALU_DEP_4)
	v_pack_b32_f16 v4, v7, v8
	ds_store_b128 v69, v[1:4]
	s_waitcnt lgkmcnt(0)
	s_barrier
	buffer_gl0_inv
	ds_load_b128 v[1:4], v70
	ds_load_b128 v[5:8], v70 offset:16
	s_waitcnt lgkmcnt(1)
	v_lshrrev_b32_e32 v9, 16, v1
	s_waitcnt lgkmcnt(0)
	v_lshrrev_b32_e32 v13, 16, v5
	v_lshrrev_b32_e32 v10, 16, v2
	;; [unrolled: 1-line block ×4, first 2 shown]
	v_cndmask_b32_e32 v17, v1, v9, vcc_lo
	v_cndmask_b32_e32 v18, v5, v13, vcc_lo
	v_cndmask_b32_e64 v21, v1, v9, s3
	v_cmp_eq_u32_e32 vcc_lo, 1, v73
	v_cndmask_b32_e64 v22, v5, v13, s3
	v_cmp_eq_u32_e64 s3, 2, v71
	v_cndmask_b32_e64 v19, v1, v9, s2
	v_cndmask_b32_e64 v20, v5, v13, s2
	v_cndmask_b32_e32 v1, v1, v9, vcc_lo
	v_cmp_eq_u32_e64 s2, 2, v73
	v_cndmask_b32_e32 v5, v5, v13, vcc_lo
	v_cndmask_b32_e64 v9, v17, v2, s3
	v_cmp_eq_u32_e32 vcc_lo, 3, v71
	v_cndmask_b32_e64 v13, v18, v6, s3
	v_cmp_eq_u32_e64 s3, 2, v72
	v_cndmask_b32_e64 v17, v19, v2, s4
	v_cndmask_b32_e64 v18, v20, v6, s4
	v_cmp_eq_u32_e64 s4, 3, v72
	v_cndmask_b32_e64 v1, v1, v2, s2
	v_cndmask_b32_e64 v19, v21, v2, s3
	;; [unrolled: 1-line block ×4, first 2 shown]
	v_cndmask_b32_e32 v5, v9, v10, vcc_lo
	v_cndmask_b32_e32 v6, v13, v14, vcc_lo
	v_cmp_eq_u32_e32 vcc_lo, 3, v73
	v_cndmask_b32_e64 v9, v17, v10, s5
	v_cndmask_b32_e64 v13, v18, v14, s5
	;; [unrolled: 1-line block ×3, first 2 shown]
	v_cmp_eq_u32_e64 s3, 4, v71
	v_cndmask_b32_e32 v1, v1, v10, vcc_lo
	v_cndmask_b32_e32 v2, v2, v14, vcc_lo
	v_cmp_eq_u32_e32 vcc_lo, 4, v74
	v_lshrrev_b32_e32 v15, 16, v7
	v_lshrrev_b32_e32 v16, 16, v8
	v_cndmask_b32_e64 v17, v19, v10, s4
	v_cmp_eq_u32_e64 s2, 4, v73
	v_cndmask_b32_e64 v5, v5, v3, s3
	v_cndmask_b32_e64 v6, v6, v7, s3
	v_cndmask_b32_e32 v9, v9, v3, vcc_lo
	v_cmp_eq_u32_e64 s3, 5, v74
	v_cndmask_b32_e32 v10, v13, v7, vcc_lo
	v_cmp_eq_u32_e32 vcc_lo, 4, v72
	v_cmp_eq_u32_e64 s4, 5, v71
	v_cndmask_b32_e64 v2, v2, v7, s2
	v_cndmask_b32_e64 v9, v9, v11, s3
	;; [unrolled: 1-line block ×3, first 2 shown]
	v_cndmask_b32_e32 v13, v17, v3, vcc_lo
	v_cmp_eq_u32_e64 s3, 5, v72
	v_cndmask_b32_e32 v14, v18, v7, vcc_lo
	v_cndmask_b32_e64 v1, v1, v3, s2
	v_cmp_eq_u32_e32 vcc_lo, 5, v73
	v_lshrrev_b32_e32 v12, 16, v4
	v_cndmask_b32_e64 v13, v13, v11, s3
	v_cndmask_b32_e64 v3, v14, v15, s3
	v_cmp_eq_u32_e64 s3, 6, v73
	v_cndmask_b32_e32 v1, v1, v11, vcc_lo
	v_cndmask_b32_e64 v5, v5, v11, s4
	v_cmp_eq_u32_e64 s5, 6, v71
	v_cndmask_b32_e64 v6, v6, v15, s4
	v_cmp_eq_u32_e64 s4, 6, v74
	v_cmp_eq_u32_e64 s2, 6, v72
	v_cndmask_b32_e64 v1, v1, v4, s3
	v_cndmask_b32_e32 v2, v2, v15, vcc_lo
	v_cmp_eq_u32_e32 vcc_lo, 7, v73
	v_cndmask_b32_e64 v5, v5, v4, s5
	v_cndmask_b32_e64 v9, v9, v4, s4
	;; [unrolled: 1-line block ×3, first 2 shown]
	v_cmp_eq_u32_e64 s5, 7, v71
	v_cndmask_b32_e32 v1, v1, v12, vcc_lo
	v_cndmask_b32_e64 v7, v13, v4, s2
	v_cndmask_b32_e64 v3, v3, v8, s2
	;; [unrolled: 1-line block ×3, first 2 shown]
	v_cmp_eq_u32_e64 s2, 7, v72
	v_cndmask_b32_e64 v4, v10, v8, s4
	v_cndmask_b32_e64 v5, v5, v12, s5
	;; [unrolled: 1-line block ×3, first 2 shown]
	v_cndmask_b32_e32 v2, v2, v16, vcc_lo
	v_cndmask_b32_e64 v7, v7, v12, s2
	v_cndmask_b32_e64 v3, v3, v16, s2
	;; [unrolled: 1-line block ×4, first 2 shown]
	v_perm_b32 v4, v2, v1, 0x5040100
	s_mov_b32 s2, exec_lo
	v_perm_b32 v3, v3, v7, 0x5040100
	v_perm_b32 v2, v8, v9, 0x5040100
	;; [unrolled: 1-line block ×3, first 2 shown]
	ds_store_b128 v69, v[1:4]
	s_waitcnt lgkmcnt(0)
	s_barrier
	buffer_gl0_inv
	v_cmpx_gt_u32_e32 32, v0
	s_cbranch_execz .LBB1277_2
; %bb.15:
	s_load_b64 s[0:1], s[0:1], 0x68
	v_lshlrev_b32_e32 v0, 10, v0
	s_lshl_b32 s4, s34, 7
	v_or_b32_e32 v23, s31, v66
	s_mul_i32 s2, s4, s30
	v_lshlrev_b32_e32 v1, 4, v67
	v_lshlrev_b32_e32 v2, 6, v66
	s_mul_i32 s2, s2, s7
	v_and_b32_e32 v0, 0x3800, v0
	v_mul_lo_u32 v8, v23, s4
	s_ashr_i32 s3, s2, 31
	v_or_b32_e32 v3, 2, v23
	s_lshl_b64 s[2:3], s[2:3], 1
	v_or3_b32 v27, v0, v1, v2
	v_or_b32_e32 v11, 4, v23
	v_or_b32_e32 v18, 6, v23
	v_mul_lo_u32 v10, v3, s4
	v_ashrrev_i32_e32 v9, 31, v8
	ds_load_b128 v[0:3], v27
	ds_load_b128 v[4:7], v27 offset:128
	v_mul_lo_u32 v12, v11, s4
	s_waitcnt lgkmcnt(0)
	s_add_u32 s2, s0, s2
	s_addc_u32 s3, s1, s3
	s_lshl_b32 s0, s14, 7
	v_lshlrev_b64 v[8:9], 1, v[8:9]
	s_ashr_i32 s1, s0, 31
	v_ashrrev_i32_e32 v11, 31, v10
	s_lshl_b64 s[0:1], s[0:1], 1
	v_ashrrev_i32_e32 v13, 31, v12
	s_add_u32 s0, s2, s0
	s_addc_u32 s1, s3, s1
	v_add_co_u32 v30, s0, s0, v65
	s_delay_alu instid0(VALU_DEP_1) | instskip(SKIP_1) | instid1(VALU_DEP_3)
	v_add_co_ci_u32_e64 v31, null, s1, 0, s0
	v_lshlrev_b64 v[16:17], 1, v[10:11]
	v_add_co_u32 v14, vcc_lo, v30, v8
	s_delay_alu instid0(VALU_DEP_3)
	v_add_co_ci_u32_e32 v15, vcc_lo, v31, v9, vcc_lo
	ds_load_b128 v[8:11], v27 offset:256
	v_mul_lo_u32 v18, v18, s4
	v_or_b32_e32 v19, 8, v23
	v_add_co_u32 v16, vcc_lo, v30, v16
	global_store_b128 v[14:15], v[0:3], off
	v_lshlrev_b64 v[0:1], 1, v[12:13]
	v_add_co_ci_u32_e32 v17, vcc_lo, v31, v17, vcc_lo
	v_mul_lo_u32 v12, v19, s4
	v_ashrrev_i32_e32 v19, 31, v18
	v_or_b32_e32 v14, 10, v23
	global_store_b128 v[16:17], v[4:7], off
	v_add_co_u32 v4, vcc_lo, v30, v0
	v_add_co_ci_u32_e32 v5, vcc_lo, v31, v1, vcc_lo
	ds_load_b128 v[0:3], v27 offset:384
	v_ashrrev_i32_e32 v13, 31, v12
	v_lshlrev_b64 v[6:7], 1, v[18:19]
	v_mul_lo_u32 v14, v14, s4
	s_waitcnt lgkmcnt(1)
	global_store_b128 v[4:5], v[8:11], off
	v_or_b32_e32 v8, 12, v23
	v_lshlrev_b64 v[4:5], 1, v[12:13]
	v_add_co_u32 v20, vcc_lo, v30, v6
	v_or_b32_e32 v6, 14, v23
	v_ashrrev_i32_e32 v15, 31, v14
	v_mul_lo_u32 v22, v8, s4
	v_add_co_ci_u32_e32 v21, vcc_lo, v31, v7, vcc_lo
	v_add_co_u32 v24, vcc_lo, v30, v4
	v_mul_lo_u32 v26, v6, s4
	v_add_co_ci_u32_e32 v25, vcc_lo, v31, v5, vcc_lo
	v_lshlrev_b64 v[28:29], 1, v[14:15]
	ds_load_b128 v[4:7], v27 offset:512
	ds_load_b128 v[8:11], v27 offset:640
	;; [unrolled: 1-line block ×4, first 2 shown]
	v_ashrrev_i32_e32 v23, 31, v22
	v_ashrrev_i32_e32 v27, 31, v26
	v_add_co_u32 v28, vcc_lo, v30, v28
	s_delay_alu instid0(VALU_DEP_3) | instskip(SKIP_1) | instid1(VALU_DEP_4)
	v_lshlrev_b64 v[22:23], 1, v[22:23]
	v_add_co_ci_u32_e32 v29, vcc_lo, v31, v29, vcc_lo
	v_lshlrev_b64 v[26:27], 1, v[26:27]
	s_delay_alu instid0(VALU_DEP_3) | instskip(NEXT) | instid1(VALU_DEP_4)
	v_add_co_u32 v22, vcc_lo, v30, v22
	v_add_co_ci_u32_e32 v23, vcc_lo, v31, v23, vcc_lo
	s_delay_alu instid0(VALU_DEP_3) | instskip(NEXT) | instid1(VALU_DEP_4)
	v_add_co_u32 v26, vcc_lo, v30, v26
	v_add_co_ci_u32_e32 v27, vcc_lo, v31, v27, vcc_lo
	s_waitcnt lgkmcnt(4)
	global_store_b128 v[20:21], v[0:3], off
	s_waitcnt lgkmcnt(3)
	global_store_b128 v[24:25], v[4:7], off
	;; [unrolled: 2-line block ×5, first 2 shown]
	s_nop 0
	s_sendmsg sendmsg(MSG_DEALLOC_VGPRS)
	s_endpgm
	.section	.rodata,"a",@progbits
	.p2align	6, 0x0
	.amdhsa_kernel _Z39paged_attention_ll4mi_QKV_mfma16_kernelIDF16_hLN4vllm18Fp8KVCacheDataTypeE1EDF16_Li16ELi128ELi256ELb0ELi16EL8MFMAType0EEvPKT_PKT0_S8_ifPKiSA_SA_iPKfiiiPfSD_PS3_PT2_iSC_SC_
		.amdhsa_group_segment_fixed_size 17472
		.amdhsa_private_segment_fixed_size 0
		.amdhsa_kernarg_size 400
		.amdhsa_user_sgpr_count 13
		.amdhsa_user_sgpr_dispatch_ptr 0
		.amdhsa_user_sgpr_queue_ptr 0
		.amdhsa_user_sgpr_kernarg_segment_ptr 1
		.amdhsa_user_sgpr_dispatch_id 0
		.amdhsa_user_sgpr_private_segment_size 0
		.amdhsa_wavefront_size32 1
		.amdhsa_uses_dynamic_stack 0
		.amdhsa_enable_private_segment 0
		.amdhsa_system_sgpr_workgroup_id_x 1
		.amdhsa_system_sgpr_workgroup_id_y 1
		.amdhsa_system_sgpr_workgroup_id_z 1
		.amdhsa_system_sgpr_workgroup_info 0
		.amdhsa_system_vgpr_workitem_id 0
		.amdhsa_next_free_vgpr 140
		.amdhsa_next_free_sgpr 35
		.amdhsa_reserve_vcc 1
		.amdhsa_float_round_mode_32 0
		.amdhsa_float_round_mode_16_64 0
		.amdhsa_float_denorm_mode_32 3
		.amdhsa_float_denorm_mode_16_64 3
		.amdhsa_dx10_clamp 1
		.amdhsa_ieee_mode 1
		.amdhsa_fp16_overflow 0
		.amdhsa_workgroup_processor_mode 1
		.amdhsa_memory_ordered 1
		.amdhsa_forward_progress 0
		.amdhsa_shared_vgpr_count 0
		.amdhsa_exception_fp_ieee_invalid_op 0
		.amdhsa_exception_fp_denorm_src 0
		.amdhsa_exception_fp_ieee_div_zero 0
		.amdhsa_exception_fp_ieee_overflow 0
		.amdhsa_exception_fp_ieee_underflow 0
		.amdhsa_exception_fp_ieee_inexact 0
		.amdhsa_exception_int_div_zero 0
	.end_amdhsa_kernel
	.section	.text._Z39paged_attention_ll4mi_QKV_mfma16_kernelIDF16_hLN4vllm18Fp8KVCacheDataTypeE1EDF16_Li16ELi128ELi256ELb0ELi16EL8MFMAType0EEvPKT_PKT0_S8_ifPKiSA_SA_iPKfiiiPfSD_PS3_PT2_iSC_SC_,"axG",@progbits,_Z39paged_attention_ll4mi_QKV_mfma16_kernelIDF16_hLN4vllm18Fp8KVCacheDataTypeE1EDF16_Li16ELi128ELi256ELb0ELi16EL8MFMAType0EEvPKT_PKT0_S8_ifPKiSA_SA_iPKfiiiPfSD_PS3_PT2_iSC_SC_,comdat
.Lfunc_end1277:
	.size	_Z39paged_attention_ll4mi_QKV_mfma16_kernelIDF16_hLN4vllm18Fp8KVCacheDataTypeE1EDF16_Li16ELi128ELi256ELb0ELi16EL8MFMAType0EEvPKT_PKT0_S8_ifPKiSA_SA_iPKfiiiPfSD_PS3_PT2_iSC_SC_, .Lfunc_end1277-_Z39paged_attention_ll4mi_QKV_mfma16_kernelIDF16_hLN4vllm18Fp8KVCacheDataTypeE1EDF16_Li16ELi128ELi256ELb0ELi16EL8MFMAType0EEvPKT_PKT0_S8_ifPKiSA_SA_iPKfiiiPfSD_PS3_PT2_iSC_SC_
                                        ; -- End function
	.section	.AMDGPU.csdata,"",@progbits
; Kernel info:
; codeLenInByte = 6832
; NumSgprs: 37
; NumVgprs: 140
; ScratchSize: 0
; MemoryBound: 0
; FloatMode: 240
; IeeeMode: 1
; LDSByteSize: 17472 bytes/workgroup (compile time only)
; SGPRBlocks: 4
; VGPRBlocks: 17
; NumSGPRsForWavesPerEU: 37
; NumVGPRsForWavesPerEU: 140
; Occupancy: 10
; WaveLimiterHint : 1
; COMPUTE_PGM_RSRC2:SCRATCH_EN: 0
; COMPUTE_PGM_RSRC2:USER_SGPR: 13
; COMPUTE_PGM_RSRC2:TRAP_HANDLER: 0
; COMPUTE_PGM_RSRC2:TGID_X_EN: 1
; COMPUTE_PGM_RSRC2:TGID_Y_EN: 1
; COMPUTE_PGM_RSRC2:TGID_Z_EN: 1
; COMPUTE_PGM_RSRC2:TIDIG_COMP_CNT: 0
	.section	.text._Z39paged_attention_ll4mi_QKV_mfma16_kernelIDF16_hLN4vllm18Fp8KVCacheDataTypeE1EDF16_Li16ELi128ELi256ELb0ELi1EL8MFMAType0EEvPKT_PKT0_S8_ifPKiSA_SA_iPKfiiiPfSD_PS3_PT2_iSC_SC_,"axG",@progbits,_Z39paged_attention_ll4mi_QKV_mfma16_kernelIDF16_hLN4vllm18Fp8KVCacheDataTypeE1EDF16_Li16ELi128ELi256ELb0ELi1EL8MFMAType0EEvPKT_PKT0_S8_ifPKiSA_SA_iPKfiiiPfSD_PS3_PT2_iSC_SC_,comdat
	.protected	_Z39paged_attention_ll4mi_QKV_mfma16_kernelIDF16_hLN4vllm18Fp8KVCacheDataTypeE1EDF16_Li16ELi128ELi256ELb0ELi1EL8MFMAType0EEvPKT_PKT0_S8_ifPKiSA_SA_iPKfiiiPfSD_PS3_PT2_iSC_SC_ ; -- Begin function _Z39paged_attention_ll4mi_QKV_mfma16_kernelIDF16_hLN4vllm18Fp8KVCacheDataTypeE1EDF16_Li16ELi128ELi256ELb0ELi1EL8MFMAType0EEvPKT_PKT0_S8_ifPKiSA_SA_iPKfiiiPfSD_PS3_PT2_iSC_SC_
	.globl	_Z39paged_attention_ll4mi_QKV_mfma16_kernelIDF16_hLN4vllm18Fp8KVCacheDataTypeE1EDF16_Li16ELi128ELi256ELb0ELi1EL8MFMAType0EEvPKT_PKT0_S8_ifPKiSA_SA_iPKfiiiPfSD_PS3_PT2_iSC_SC_
	.p2align	8
	.type	_Z39paged_attention_ll4mi_QKV_mfma16_kernelIDF16_hLN4vllm18Fp8KVCacheDataTypeE1EDF16_Li16ELi128ELi256ELb0ELi1EL8MFMAType0EEvPKT_PKT0_S8_ifPKiSA_SA_iPKfiiiPfSD_PS3_PT2_iSC_SC_,@function
_Z39paged_attention_ll4mi_QKV_mfma16_kernelIDF16_hLN4vllm18Fp8KVCacheDataTypeE1EDF16_Li16ELi128ELi256ELb0ELi1EL8MFMAType0EEvPKT_PKT0_S8_ifPKiSA_SA_iPKfiiiPfSD_PS3_PT2_iSC_SC_: ; @_Z39paged_attention_ll4mi_QKV_mfma16_kernelIDF16_hLN4vllm18Fp8KVCacheDataTypeE1EDF16_Li16ELi128ELi256ELb0ELi1EL8MFMAType0EEvPKT_PKT0_S8_ifPKiSA_SA_iPKfiiiPfSD_PS3_PT2_iSC_SC_
; %bb.0:
	s_load_b64 s[4:5], s[0:1], 0x30
	s_mov_b32 s34, s13
	s_waitcnt lgkmcnt(0)
	s_cmp_lg_u64 s[4:5], 0
	s_cselect_b32 s6, -1, 0
	s_ashr_i32 s35, s13, 31
	s_cmp_eq_u64 s[4:5], 0
	s_cbranch_scc1 .LBB1278_3
; %bb.1:
	s_lshl_b64 s[2:3], s[34:35], 2
	s_delay_alu instid0(SALU_CYCLE_1) | instskip(SKIP_4) | instid1(SALU_CYCLE_1)
	s_add_u32 s2, s4, s2
	s_addc_u32 s3, s5, s3
	s_load_b64 s[2:3], s[2:3], 0x0
	s_waitcnt lgkmcnt(0)
	s_sub_i32 s2, s3, s2
	s_cmp_eq_u32 s2, 1
	s_cselect_b32 s2, -1, 0
	s_delay_alu instid0(SALU_CYCLE_1)
	s_and_not1_b32 vcc_lo, exec_lo, s2
	s_cbranch_vccz .LBB1278_4
.LBB1278_2:
	s_endpgm
.LBB1278_3:
.LBB1278_4:
	s_load_b64 s[2:3], s[0:1], 0x28
	s_lshl_b64 s[8:9], s[34:35], 2
	s_waitcnt lgkmcnt(0)
	s_add_u32 s2, s2, s8
	s_addc_u32 s3, s3, s9
	s_lshl_b32 s12, s14, 8
	s_load_b32 s33, s[2:3], 0x0
	s_waitcnt lgkmcnt(0)
	s_cmp_ge_i32 s12, s33
	s_cbranch_scc1 .LBB1278_2
; %bb.5:
	s_clause 0x1
	s_load_b128 s[56:59], s[0:1], 0x8
	s_load_b64 s[2:3], s[0:1], 0x20
	s_and_not1_b32 vcc_lo, exec_lo, s6
	s_mov_b64 s[6:7], s[34:35]
	s_cbranch_vccnz .LBB1278_7
; %bb.6:
	s_add_u32 s4, s4, s8
	s_addc_u32 s5, s5, s9
	s_load_b32 s6, s[4:5], 0x0
.LBB1278_7:
	s_load_b128 s[52:55], s[0:1], 0x48
	v_and_b32_e32 v65, 15, v0
	s_mov_b32 s13, exec_lo
                                        ; implicit-def: $sgpr36
                                        ; implicit-def: $sgpr24
                                        ; implicit-def: $sgpr16
                                        ; implicit-def: $sgpr4
	s_delay_alu instid0(VALU_DEP_1)
	v_cmpx_eq_u32_e32 0, v65
	s_cbranch_execz .LBB1278_9
; %bb.8:
	s_load_b64 s[4:5], s[0:1], 0x0
	s_waitcnt lgkmcnt(0)
	s_mul_hi_i32 s7, s6, s52
	s_mul_i32 s6, s6, s52
	s_delay_alu instid0(SALU_CYCLE_1) | instskip(NEXT) | instid1(SALU_CYCLE_1)
	s_lshl_b64 s[6:7], s[6:7], 1
	s_add_u32 s6, s4, s6
	s_addc_u32 s7, s5, s7
	s_lshl_b32 s4, s15, 7
	s_delay_alu instid0(SALU_CYCLE_1) | instskip(NEXT) | instid1(SALU_CYCLE_1)
	s_ashr_i32 s5, s4, 31
	s_lshl_b64 s[4:5], s[4:5], 1
	s_delay_alu instid0(SALU_CYCLE_1)
	s_add_u32 s4, s6, s4
	s_addc_u32 s5, s7, s5
	s_clause 0x3
	s_load_b256 s[36:43], s[4:5], 0x0
	s_load_b256 s[24:31], s[4:5], 0x40
	;; [unrolled: 1-line block ×4, first 2 shown]
.LBB1278_9:
	s_or_b32 exec_lo, exec_lo, s13
	v_and_b32_e32 v1, 0xef, v0
	s_add_i32 s13, s33, 15
	s_load_b32 s44, s[0:1], 0x38
	s_ashr_i32 s35, s13, 31
	s_waitcnt lgkmcnt(0)
	s_mul_i32 s62, s15, s54
	v_add_nc_u32_e32 v1, s12, v1
	s_lshr_b32 s35, s35, 28
	v_dual_mov_b32 v105, s31 :: v_dual_mov_b32 v98, s24
	s_add_i32 s13, s13, s35
	s_delay_alu instid0(VALU_DEP_2)
	v_ashrrev_i32_e32 v2, 31, v1
	v_or_b32_e32 v3, 16, v1
	s_ashr_i32 s13, s13, 4
	v_cmp_gt_i32_e32 vcc_lo, s33, v1
	s_add_i32 s13, s13, -1
	v_lshrrev_b32_e32 v2, 28, v2
	s_load_b32 s35, s[0:1], 0x1c
	v_mov_b32_e32 v103, s29
	v_mov_b32_e32 v101, s27
	s_delay_alu instid0(VALU_DEP_3)
	v_dual_mov_b32 v99, s25 :: v_dual_add_nc_u32 v4, v1, v2
	v_lshlrev_b32_e32 v73, 4, v65
	s_mul_i32 s44, s34, s44
	v_lshrrev_b32_e32 v66, 5, v0
	s_ashr_i32 s45, s44, 31
	v_ashrrev_i32_e32 v4, 4, v4
	v_add_nc_u32_e32 v2, v3, v2
	s_lshl_b64 s[44:45], s[44:45], 2
	v_mov_b32_e32 v104, s30
	s_add_u32 s61, s2, s44
	v_cndmask_b32_e32 v1, s13, v4, vcc_lo
	v_ashrrev_i32_e32 v2, 4, v2
	v_cmp_gt_i32_e32 vcc_lo, s33, v3
	s_addc_u32 s60, s3, s45
	s_ashr_i32 s63, s62, 31
	s_add_u32 s52, s56, s62
	s_addc_u32 s56, s57, s63
	v_cndmask_b32_e32 v3, s13, v2, vcc_lo
	v_ashrrev_i32_e32 v2, 31, v1
	s_lshl_b32 s2, s14, 4
	v_mov_b32_e32 v102, s28
	s_ashr_i32 s3, s2, 31
	v_ashrrev_i32_e32 v4, 31, v3
	v_lshlrev_b64 v[1:2], 2, v[1:2]
	s_lshl_b64 s[2:3], s[2:3], 2
	v_mov_b32_e32 v100, s26
	s_add_u32 s2, s61, s2
	v_lshlrev_b64 v[3:4], 2, v[3:4]
	s_addc_u32 s3, s60, s3
	v_add_co_u32 v1, vcc_lo, s61, v1
	v_add_co_ci_u32_e32 v2, vcc_lo, s60, v2, vcc_lo
	s_delay_alu instid0(VALU_DEP_3) | instskip(NEXT) | instid1(VALU_DEP_4)
	v_add_co_u32 v3, vcc_lo, s61, v3
	v_add_co_ci_u32_e32 v4, vcc_lo, s60, v4, vcc_lo
	s_clause 0x1
	global_load_b32 v5, v[1:2], off
	global_load_b32 v3, v[3:4], off
	s_or_b32 s44, s12, 32
	v_lshlrev_b32_e32 v1, 4, v0
	s_ashr_i32 s45, s44, 4
	s_cmp_lt_i32 s44, s33
	s_cselect_b32 s44, s45, s13
	s_delay_alu instid0(VALU_DEP_1) | instskip(SKIP_1) | instid1(SALU_CYCLE_1)
	v_and_b32_e32 v1, 0xf0, v1
	s_ashr_i32 s45, s44, 31
	s_lshl_b64 s[44:45], s[44:45], 2
	s_delay_alu instid0(SALU_CYCLE_1)
	s_add_u32 s44, s61, s44
	s_addc_u32 s45, s60, s45
	s_or_b32 s46, s12, 64
	v_add_co_u32 v1, s52, s52, v1
	s_ashr_i32 s47, s46, 4
	s_cmp_lt_i32 s46, s33
	v_add_co_ci_u32_e64 v2, null, s56, 0, s52
	s_cselect_b32 s46, s47, s13
	s_delay_alu instid0(SALU_CYCLE_1) | instskip(NEXT) | instid1(SALU_CYCLE_1)
	s_ashr_i32 s47, s46, 31
	s_lshl_b64 s[46:47], s[46:47], 2
	s_delay_alu instid0(SALU_CYCLE_1) | instskip(SKIP_2) | instid1(SALU_CYCLE_1)
	s_add_u32 s46, s61, s46
	s_addc_u32 s47, s60, s47
	s_or_b32 s48, s12, 0x60
	s_ashr_i32 s49, s48, 4
	s_cmp_lt_i32 s48, s33
	s_cselect_b32 s48, s49, s13
	s_delay_alu instid0(SALU_CYCLE_1) | instskip(NEXT) | instid1(SALU_CYCLE_1)
	s_ashr_i32 s49, s48, 31
	s_lshl_b64 s[48:49], s[48:49], 2
	s_delay_alu instid0(SALU_CYCLE_1) | instskip(SKIP_2) | instid1(SALU_CYCLE_1)
	s_add_u32 s48, s61, s48
	s_addc_u32 s49, s60, s49
	s_or_b32 s50, s12, 0x80
	s_ashr_i32 s51, s50, 4
	s_cmp_lt_i32 s50, s33
	;; [unrolled: 10-line block ×3, first 2 shown]
	s_cselect_b32 s54, s55, s13
	s_delay_alu instid0(SALU_CYCLE_1) | instskip(NEXT) | instid1(SALU_CYCLE_1)
	s_ashr_i32 s55, s54, 31
	s_lshl_b64 s[54:55], s[54:55], 2
	s_delay_alu instid0(SALU_CYCLE_1)
	s_add_u32 s64, s61, s54
	s_addc_u32 s65, s60, s55
	s_clause 0x5
	s_load_b32 s56, s[2:3], 0x0
	s_load_b32 s3, s[44:45], 0x0
	s_load_b32 s52, s[46:47], 0x0
	s_load_b32 s54, s[48:49], 0x0
	s_load_b32 s55, s[50:51], 0x0
	s_load_b32 s2, s[64:65], 0x0
	s_or_b32 s24, s12, 0xc0
	s_mov_b32 s44, 0
	s_ashr_i32 s25, s24, 4
	s_mov_b32 s45, s44
	s_mov_b32 s46, s44
	;; [unrolled: 1-line block ×7, first 2 shown]
	v_dual_mov_b32 v113, s23 :: v_dual_mov_b32 v112, s22
	v_dual_mov_b32 v111, s21 :: v_dual_mov_b32 v110, s20
	v_dual_mov_b32 v109, s19 :: v_dual_mov_b32 v108, s18
	v_dual_mov_b32 v107, s17 :: v_dual_mov_b32 v106, s16
	v_lshl_or_b32 v41, v66, 8, v73
	v_dual_mov_b32 v121, s51 :: v_dual_mov_b32 v120, s50
	v_dual_mov_b32 v119, s49 :: v_dual_mov_b32 v118, s48
	;; [unrolled: 1-line block ×4, first 2 shown]
	s_cmp_lt_i32 s24, s33
	s_cselect_b32 s16, s25, s13
	s_delay_alu instid0(SALU_CYCLE_1) | instskip(NEXT) | instid1(SALU_CYCLE_1)
	s_ashr_i32 s17, s16, 31
	s_lshl_b64 s[16:17], s[16:17], 2
	s_delay_alu instid0(SALU_CYCLE_1) | instskip(SKIP_2) | instid1(SALU_CYCLE_1)
	s_add_u32 s16, s61, s16
	s_addc_u32 s17, s60, s17
	s_or_b32 s18, s12, 0xe0
	s_ashr_i32 s19, s18, 4
	s_cmp_lt_i32 s18, s33
	s_cselect_b32 s18, s19, s13
	s_delay_alu instid0(SALU_CYCLE_1) | instskip(NEXT) | instid1(SALU_CYCLE_1)
	s_ashr_i32 s19, s18, 31
	s_lshl_b64 s[18:19], s[18:19], 2
	s_delay_alu instid0(SALU_CYCLE_1) | instskip(SKIP_4) | instid1(VALU_DEP_1)
	s_add_u32 s18, s61, s18
	s_addc_u32 s19, s60, s19
	s_add_u32 s13, s58, s62
	s_addc_u32 s20, s59, s63
	v_add_co_u32 v67, s13, s13, v41
	v_add_co_ci_u32_e64 v68, null, s20, 0, s13
	s_waitcnt lgkmcnt(0)
	s_delay_alu instid0(VALU_DEP_1)
	v_mad_i64_i32 v[41:42], null, s56, s53, v[67:68]
	v_mad_i64_i32 v[71:72], null, s54, s53, v[67:68]
	;; [unrolled: 1-line block ×5, first 2 shown]
	s_waitcnt vmcnt(1)
	v_mad_i64_i32 v[33:34], null, v5, s53, v[1:2]
	s_waitcnt vmcnt(0)
	v_mad_i64_i32 v[35:36], null, v3, s53, v[1:2]
	s_clause 0xf
	global_load_b128 v[1:4], v[33:34], off
	global_load_b128 v[5:8], v[33:34], off offset:256
	global_load_b128 v[9:12], v[35:36], off
	global_load_b128 v[13:16], v[35:36], off offset:256
	global_load_b128 v[17:20], v[33:34], off offset:512
	;; [unrolled: 1-line block ×13, first 2 shown]
	v_mov_b32_e32 v33, s36
	v_mov_b32_e32 v35, s38
	;; [unrolled: 1-line block ×4, first 2 shown]
	s_clause 0x1
	s_load_b32 s13, s[16:17], 0x0
	s_load_b32 s16, s[18:19], 0x0
	v_mov_b32_e32 v34, s37
	v_mov_b32_e32 v36, s39
	;; [unrolled: 1-line block ×4, first 2 shown]
	s_waitcnt lgkmcnt(0)
	v_mad_i64_i32 v[132:133], null, s16, s53, v[67:68]
	s_waitcnt vmcnt(14)
	s_delay_alu instid0(VALU_DEP_2)
	v_wmma_f32_16x16x16_f16 v[122:129], v[1:8], v[33:40], v[114:121]
	s_waitcnt vmcnt(12)
	v_wmma_f32_16x16x16_f16 v[114:121], v[9:16], v[33:40], v[114:121]
	s_clause 0x7
	global_load_b128 v[49:52], v[41:42], off
	global_load_b128 v[53:56], v[41:42], off offset:16
	global_load_b128 v[41:44], v[45:46], off
	global_load_b128 v[45:48], v[45:46], off offset:16
	;; [unrolled: 2-line block ×4, first 2 shown]
	v_mad_i64_i32 v[71:72], null, s13, s53, v[67:68]
	v_mad_i64_i32 v[69:70], null, s2, s53, v[67:68]
	s_waitcnt vmcnt(18)
	v_wmma_f32_16x16x16_f16 v[122:129], v[17:24], v[98:105], v[122:129]
	s_waitcnt vmcnt(16)
	v_wmma_f32_16x16x16_f16 v[114:121], v[25:32], v[98:105], v[114:121]
	s_clause 0x3
	global_load_b128 v[9:12], v[130:131], off
	global_load_b128 v[13:16], v[130:131], off offset:16
	global_load_b128 v[17:20], v[69:70], off
	global_load_b128 v[21:24], v[69:70], off offset:16
	s_waitcnt vmcnt(18)
	v_wmma_f32_16x16x16_f16 v[122:129], v[57:64], v[106:113], v[122:129]
	s_clause 0x3
	global_load_b128 v[25:28], v[71:72], off
	global_load_b128 v[29:32], v[71:72], off offset:16
	global_load_b128 v[57:60], v[132:133], off
	global_load_b128 v[61:64], v[132:133], off offset:16
	v_mbcnt_lo_u32_b32 v68, -1, 0
	v_dual_mov_b32 v105, s11 :: v_dual_mov_b32 v104, s10
	v_dual_mov_b32 v103, s9 :: v_dual_mov_b32 v102, s8
	s_delay_alu instid0(VALU_DEP_3) | instskip(SKIP_2) | instid1(VALU_DEP_3)
	v_xor_b32_e32 v69, 16, v68
	v_dual_mov_b32 v101, s7 :: v_dual_mov_b32 v100, s6
	v_dual_mov_b32 v99, s5 :: v_dual_mov_b32 v98, s4
	v_cmp_gt_i32_e32 vcc_lo, 32, v69
	v_and_b32_e32 v67, 0xe0, v0
	s_waitcnt vmcnt(20)
	v_wmma_f32_16x16x16_f16 v[114:121], v[74:81], v[106:113], v[114:121]
	v_bfe_u32 v74, v0, 4, 1
	s_waitcnt vmcnt(18)
	v_wmma_f32_16x16x16_f16 v[122:129], v[82:89], v[98:105], v[122:129]
	v_dual_cndmask_b32 v68, v68, v69 :: v_dual_add_nc_u32 v67, s12, v67
	s_waitcnt vmcnt(0)
	s_barrier
	s_delay_alu instid0(VALU_DEP_2)
	v_mul_f32_e32 v86, s35, v129
	v_mul_f32_e32 v88, s35, v127
	v_or_b32_e32 v67, v67, v74
	v_wmma_f32_16x16x16_f16 v[114:121], v[90:97], v[98:105], v[114:121]
	v_dual_mul_f32 v92, s35, v123 :: v_dual_mul_f32 v93, s35, v122
	v_mul_f32_e32 v90, s35, v125
	s_delay_alu instid0(VALU_DEP_4)
	v_or_b32_e32 v69, 2, v67
	v_or_b32_e32 v70, 4, v67
	;; [unrolled: 1-line block ×3, first 2 shown]
	v_cmp_gt_i32_e64 s2, s33, v67
	v_or_b32_e32 v72, 8, v67
	v_cmp_gt_i32_e32 vcc_lo, s33, v69
	v_or_b32_e32 v75, 10, v67
	v_mul_f32_e32 v91, s35, v124
	v_cndmask_b32_e64 v93, 0xff7fffff, v93, s2
	v_cmp_gt_i32_e64 s3, s33, v70
	v_cndmask_b32_e32 v92, 0xff7fffff, v92, vcc_lo
	v_cmp_gt_i32_e64 s4, s33, v71
	v_or_b32_e32 v76, 12, v67
	v_or_b32_e32 v77, 14, v67
	v_dual_mul_f32 v89, s35, v126 :: v_dual_mul_f32 v98, s35, v117
	v_cndmask_b32_e64 v70, 0xff7fffff, v91, s3
	v_cndmask_b32_e64 v71, 0xff7fffff, v90, s4
	v_max3_f32 v90, v93, 0xff7fffff, v92
	v_cmp_gt_i32_e64 s5, s33, v72
	v_cmp_gt_i32_e64 s6, s33, v75
	v_or_b32_e32 v78, 16, v67
	v_or_b32_e32 v79, 18, v67
	v_dual_mul_f32 v87, s35, v128 :: v_dual_mul_f32 v96, s35, v119
	v_cndmask_b32_e64 v72, 0xff7fffff, v89, s5
	v_cndmask_b32_e64 v75, 0xff7fffff, v88, s6
	v_max3_f32 v70, v90, v70, v71
	v_cmp_gt_i32_e64 s7, s33, v76
	v_cmp_gt_i32_e64 s8, s33, v77
	v_or_b32_e32 v80, 20, v67
	v_or_b32_e32 v81, 22, v67
	;; [unrolled: 1-line block ×6, first 2 shown]
	v_mul_f32_e32 v69, s35, v115
	v_mul_f32_e32 v67, s35, v114
	v_cndmask_b32_e64 v71, 0xff7fffff, v87, s7
	v_cndmask_b32_e64 v76, 0xff7fffff, v86, s8
	v_max3_f32 v70, v70, v72, v75
	v_cmp_gt_i32_e64 s9, s33, v78
	v_cmp_gt_i32_e64 s10, s33, v79
	v_mul_f32_e32 v99, s35, v116
	v_cmp_gt_i32_e64 s11, s33, v80
	v_max3_f32 v70, v70, v71, v76
	v_cndmask_b32_e64 v67, 0xff7fffff, v67, s9
	v_cndmask_b32_e64 v69, 0xff7fffff, v69, s10
	v_cmp_gt_i32_e64 s12, s33, v81
	v_mul_f32_e32 v97, s35, v118
	v_cndmask_b32_e64 v71, 0xff7fffff, v99, s11
	v_cmp_gt_i32_e64 s13, s33, v82
	v_max3_f32 v67, v70, v67, v69
	v_cndmask_b32_e64 v72, 0xff7fffff, v98, s12
	v_cmp_gt_i32_e64 s16, s33, v83
	v_dual_mul_f32 v94, s35, v121 :: v_dual_mul_f32 v95, s35, v120
	v_cndmask_b32_e64 v69, 0xff7fffff, v97, s13
	s_delay_alu instid0(VALU_DEP_4) | instskip(NEXT) | instid1(VALU_DEP_4)
	v_max3_f32 v67, v67, v71, v72
	v_cndmask_b32_e64 v70, 0xff7fffff, v96, s16
	v_cmp_gt_i32_e64 s17, s33, v84
	v_cmp_gt_i32_e64 s18, s33, v85
	v_lshlrev_b32_e32 v75, 2, v68
	buffer_gl0_inv
	v_max3_f32 v67, v67, v69, v70
	v_cndmask_b32_e64 v71, 0xff7fffff, v95, s17
	v_cndmask_b32_e64 v72, 0xff7fffff, v94, s18
	s_delay_alu instid0(VALU_DEP_1) | instskip(SKIP_3) | instid1(VALU_DEP_1)
	v_max3_f32 v67, v67, v71, v72
	ds_bpermute_b32 v68, v75, v67
	s_waitcnt lgkmcnt(0)
	v_max_f32_e32 v68, v68, v68
	v_max_f32_e32 v67, v67, v68
	s_delay_alu instid0(VALU_DEP_1)
	v_fma_f32 v68, s35, v122, -v67
	v_fma_f32 v70, s35, v124, -v67
	;; [unrolled: 1-line block ×5, first 2 shown]
	v_mul_f32_e32 v68, 0x3fb8aa3b, v68
	s_delay_alu instid0(VALU_DEP_4) | instskip(NEXT) | instid1(VALU_DEP_3)
	v_dual_mul_f32 v70, 0x3fb8aa3b, v70 :: v_dual_mul_f32 v69, 0x3fb8aa3b, v69
	v_mul_f32_e32 v72, 0x3fb8aa3b, v72
	s_delay_alu instid0(VALU_DEP_3) | instskip(NEXT) | instid1(VALU_DEP_2)
	v_exp_f32_e32 v68, v68
	v_exp_f32_e32 v76, v70
	s_delay_alu instid0(VALU_DEP_2) | instskip(NEXT) | instid1(VALU_DEP_1)
	v_exp_f32_e32 v69, v69
	v_exp_f32_e32 v79, v72
	v_cndmask_b32_e64 v70, 0, v68, s2
	v_fma_f32 v68, s35, v127, -v67
	s_waitcnt_depctr 0xfff
	v_cndmask_b32_e32 v69, 0, v69, vcc_lo
	v_cndmask_b32_e64 v72, 0, v76, s3
	v_cndmask_b32_e64 v83, 0, v79, s5
	v_dual_add_f32 v77, 0, v70 :: v_dual_mul_f32 v68, 0x3fb8aa3b, v68
	s_mov_b32 s3, exec_lo
	s_delay_alu instid0(VALU_DEP_1) | instskip(NEXT) | instid1(VALU_DEP_2)
	v_add_f32_e32 v76, v77, v69
	v_exp_f32_e32 v68, v68
	s_delay_alu instid0(VALU_DEP_1) | instskip(SKIP_3) | instid1(VALU_DEP_1)
	v_add_f32_e32 v76, v76, v72
	s_waitcnt_depctr 0xfff
	v_cndmask_b32_e64 v82, 0, v68, s6
	v_mul_f32_e32 v71, 0x3fb8aa3b, v71
	v_exp_f32_e32 v71, v71
	s_waitcnt_depctr 0xfff
	v_cndmask_b32_e64 v71, 0, v71, s4
	s_delay_alu instid0(VALU_DEP_1) | instskip(NEXT) | instid1(VALU_DEP_1)
	v_add_f32_e32 v76, v76, v71
	v_add_f32_e32 v68, v76, v83
	v_fma_f32 v78, s35, v128, -v67
	v_fma_f32 v77, s35, v129, -v67
	v_fma_f32 v80, s35, v114, -v67
	v_fma_f32 v79, s35, v115, -v67
	v_add_f32_e32 v68, v68, v82
	v_mul_f32_e32 v78, 0x3fb8aa3b, v78
	v_fma_f32 v76, s35, v116, -v67
	v_mul_f32_e32 v80, 0x3fb8aa3b, v80
	s_delay_alu instid0(VALU_DEP_3) | instskip(NEXT) | instid1(VALU_DEP_2)
	v_exp_f32_e32 v78, v78
	v_mul_f32_e32 v76, 0x3fb8aa3b, v76
	s_delay_alu instid0(VALU_DEP_2) | instskip(NEXT) | instid1(VALU_DEP_1)
	v_exp_f32_e32 v80, v80
	v_exp_f32_e32 v76, v76
	s_delay_alu instid0(TRANS32_DEP_3)
	v_cndmask_b32_e64 v85, 0, v78, s7
	v_fma_f32 v78, s35, v117, -v67
	v_mul_f32_e32 v77, 0x3fb8aa3b, v77
	v_mul_f32_e32 v79, 0x3fb8aa3b, v79
	s_waitcnt_depctr 0xfff
	v_cndmask_b32_e64 v87, 0, v80, s9
	v_add_f32_e32 v68, v68, v85
	v_mul_f32_e32 v78, 0x3fb8aa3b, v78
	v_exp_f32_e32 v77, v77
	v_exp_f32_e32 v79, v79
	v_fma_f32 v80, s35, v119, -v67
	v_cndmask_b32_e64 v89, 0, v76, s11
	v_exp_f32_e32 v78, v78
	s_delay_alu instid0(VALU_DEP_2) | instskip(NEXT) | instid1(TRANS32_DEP_3)
	v_mul_f32_e32 v80, 0x3fb8aa3b, v80
	v_cndmask_b32_e64 v84, 0, v77, s8
	v_fma_f32 v77, s35, v118, -v67
	s_delay_alu instid0(TRANS32_DEP_2)
	v_cndmask_b32_e64 v86, 0, v79, s10
	v_fma_f32 v79, s35, v120, -v67
	s_waitcnt_depctr 0xfff
	v_cndmask_b32_e64 v88, 0, v78, s12
	v_dual_add_f32 v68, v68, v84 :: v_dual_mul_f32 v77, 0x3fb8aa3b, v77
	v_fma_f32 v78, s35, v121, -v67
	v_mul_f32_e32 v76, 0x3fb8aa3b, v79
	v_exp_f32_e32 v79, v80
	s_delay_alu instid0(VALU_DEP_3) | instskip(SKIP_1) | instid1(VALU_DEP_2)
	v_add_f32_e32 v68, v68, v87
	v_exp_f32_e32 v77, v77
	v_exp_f32_e32 v76, v76
	s_delay_alu instid0(TRANS32_DEP_3)
	v_cndmask_b32_e64 v90, 0, v79, s16
	s_waitcnt_depctr 0xfff
	v_cndmask_b32_e64 v91, 0, v77, s13
	v_mul_f32_e32 v77, 0x3fb8aa3b, v78
	v_add_f32_e32 v68, v68, v86
	v_cndmask_b32_e64 v93, 0, v76, s17
	v_and_b32_e32 v76, 31, v0
	s_delay_alu instid0(VALU_DEP_4) | instskip(NEXT) | instid1(VALU_DEP_3)
	v_exp_f32_e32 v77, v77
	v_add_f32_e32 v68, v68, v89
	s_delay_alu instid0(VALU_DEP_2) | instskip(NEXT) | instid1(VALU_DEP_2)
	v_cmp_lt_u32_e64 s2, 15, v76
	v_add_f32_e32 v68, v68, v88
	s_waitcnt_depctr 0xfff
	v_cndmask_b32_e64 v92, 0, v77, s18
	v_add_f32_e32 v68, v68, v91
	s_delay_alu instid0(VALU_DEP_1) | instskip(NEXT) | instid1(VALU_DEP_1)
	v_add_f32_e32 v68, v68, v90
	v_add_f32_e32 v68, v68, v93
	s_delay_alu instid0(VALU_DEP_1)
	v_add_f32_e32 v68, v68, v92
	ds_bpermute_b32 v75, v75, v68
	v_cmpx_gt_u32_e32 16, v76
	s_cbranch_execz .LBB1278_11
; %bb.10:
	v_mul_u32_u24_e32 v76, 0x44, v66
	s_delay_alu instid0(VALU_DEP_1) | instskip(SKIP_1) | instid1(VALU_DEP_1)
	v_lshl_add_u32 v76, v65, 2, v76
	s_waitcnt lgkmcnt(0)
	v_dual_add_f32 v68, v68, v75 :: v_dual_add_nc_u32 v75, 0x4000, v76
	ds_store_2addr_b32 v75, v67, v68 offset1:136
.LBB1278_11:
	s_or_b32 exec_lo, exec_lo, s3
	v_lshlrev_b32_e32 v67, 2, v65
	s_load_b64 s[36:37], s[0:1], 0x94
	s_waitcnt lgkmcnt(0)
	s_barrier
	buffer_gl0_inv
	v_add_nc_u32_e32 v81, 0x4000, v67
	v_cmp_eq_u32_e32 vcc_lo, 1, v66
	v_cmp_eq_u32_e64 s3, 2, v66
	v_cmp_eq_u32_e64 s5, 3, v66
	;; [unrolled: 1-line block ×3, first 2 shown]
	ds_load_2addr_b32 v[75:76], v81 offset1:17
	ds_load_2addr_b32 v[77:78], v81 offset0:34 offset1:51
	ds_load_2addr_b32 v[79:80], v81 offset0:68 offset1:85
	;; [unrolled: 1-line block ×4, first 2 shown]
	v_cmp_eq_u32_e64 s7, 5, v66
	v_cmp_eq_u32_e64 s4, 6, v66
	s_waitcnt lgkmcnt(4)
	v_max3_f32 v67, v75, 0xff7fffff, v76
	s_waitcnt lgkmcnt(3)
	s_delay_alu instid0(VALU_DEP_1) | instskip(SKIP_1) | instid1(VALU_DEP_1)
	v_max3_f32 v67, v67, v77, v78
	s_waitcnt lgkmcnt(2)
	v_max3_f32 v67, v67, v79, v80
	s_waitcnt lgkmcnt(1)
	s_delay_alu instid0(VALU_DEP_1) | instskip(NEXT) | instid1(VALU_DEP_1)
	v_max3_f32 v67, v67, v94, v95
	v_sub_f32_e32 v68, v75, v67
	s_delay_alu instid0(VALU_DEP_1) | instskip(NEXT) | instid1(VALU_DEP_1)
	v_dual_sub_f32 v79, v79, v67 :: v_dual_mul_f32 v68, 0x3fb8aa3b, v68
	v_mul_f32_e32 v102, 0x3fb8aa3b, v79
	s_delay_alu instid0(VALU_DEP_2) | instskip(SKIP_1) | instid1(VALU_DEP_1)
	v_exp_f32_e32 v99, v68
	v_sub_f32_e32 v68, v78, v67
	v_dual_sub_f32 v98, v76, v67 :: v_dual_mul_f32 v101, 0x3fb8aa3b, v68
	s_delay_alu instid0(VALU_DEP_1)
	v_dual_sub_f32 v77, v77, v67 :: v_dual_mul_f32 v98, 0x3fb8aa3b, v98
	s_waitcnt lgkmcnt(0)
	s_waitcnt_depctr 0xfff
	v_fma_f32 v68, v99, v96, 0
	v_sub_f32_e32 v96, v80, v67
	v_mul_f32_e32 v100, 0x3fb8aa3b, v77
	v_exp_f32_e32 v98, v98
	v_exp_f32_e32 v101, v101
	s_delay_alu instid0(VALU_DEP_1) | instskip(NEXT) | instid1(TRANS32_DEP_3)
	v_exp_f32_e32 v100, v100
	v_fmac_f32_e32 v68, v98, v97
	ds_load_2addr_b32 v[75:76], v81 offset0:170 offset1:187
	ds_load_2addr_b32 v[77:78], v81 offset0:204 offset1:221
	;; [unrolled: 1-line block ×3, first 2 shown]
	v_dual_sub_f32 v81, v94, v67 :: v_dual_mul_f32 v94, 0x3fb8aa3b, v96
	v_exp_f32_e32 v96, v102
	s_waitcnt lgkmcnt(0)
	s_barrier
	s_delay_alu instid0(VALU_DEP_1)
	v_mul_f32_e32 v81, 0x3fb8aa3b, v81
	v_exp_f32_e32 v94, v94
	buffer_gl0_inv
	v_fmac_f32_e32 v68, v100, v75
	v_sub_f32_e32 v75, v95, v67
	v_exp_f32_e32 v95, v81
	s_delay_alu instid0(VALU_DEP_1) | instskip(SKIP_1) | instid1(VALU_DEP_2)
	v_dual_fmac_f32 v68, v101, v76 :: v_dual_mul_f32 v75, 0x3fb8aa3b, v75
	v_cndmask_b32_e32 v76, v99, v98, vcc_lo
	v_fmac_f32_e32 v68, v96, v77
	s_delay_alu instid0(VALU_DEP_3) | instskip(NEXT) | instid1(VALU_DEP_1)
	v_exp_f32_e32 v97, v75
	v_fmac_f32_e32 v68, v94, v78
	s_waitcnt_depctr 0xfff
	v_dual_fmac_f32 v68, v95, v79 :: v_dual_lshlrev_b32 v79, 6, v65
	s_delay_alu instid0(VALU_DEP_1) | instskip(NEXT) | instid1(VALU_DEP_2)
	v_dual_mov_b32 v65, 0 :: v_dual_fmac_f32 v68, v97, v80
	v_lshl_or_b32 v81, v66, 11, v79
	s_delay_alu instid0(VALU_DEP_2) | instskip(NEXT) | instid1(VALU_DEP_1)
	v_add_f32_e32 v80, 0x358637bd, v68
	v_div_scale_f32 v102, null, v80, v80, 1.0
	v_div_scale_f32 v98, vcc_lo, 1.0, v80, 1.0
	s_delay_alu instid0(VALU_DEP_2) | instskip(SKIP_2) | instid1(VALU_DEP_1)
	v_rcp_f32_e32 v103, v102
	s_waitcnt_depctr 0xfff
	v_fma_f32 v75, -v102, v103, 1.0
	v_fmac_f32_e32 v103, v75, v103
	v_cndmask_b32_e64 v75, v76, v100, s3
	v_cmp_eq_u32_e64 s3, 7, v66
	s_delay_alu instid0(VALU_DEP_3) | instskip(NEXT) | instid1(VALU_DEP_3)
	v_mul_f32_e32 v99, v98, v103
	v_cndmask_b32_e64 v76, v75, v101, s5
	v_lshlrev_b32_e32 v75, 2, v74
	s_delay_alu instid0(VALU_DEP_3) | instskip(NEXT) | instid1(VALU_DEP_3)
	v_fma_f32 v77, -v102, v99, v98
	v_cndmask_b32_e64 v96, v76, v96, s6
	s_delay_alu instid0(VALU_DEP_3)
	v_or_b32_e32 v78, 1, v75
	v_or_b32_e32 v76, 2, v75
	v_cmp_eq_u32_e64 s5, 1, v75
	v_fmac_f32_e32 v99, v77, v103
	v_cndmask_b32_e64 v66, v96, v94, s7
	v_or_b32_e32 v77, 3, v75
	v_cmp_eq_u32_e64 s9, 1, v78
	v_cmp_eq_u32_e64 s10, 1, v76
	v_fma_f32 v94, -v102, v99, v98
	v_cndmask_b32_e64 v66, v66, v95, s4
	v_cmp_eq_u32_e64 s11, 1, v77
	v_cmp_eq_u32_e64 s6, 2, v75
	;; [unrolled: 1-line block ×3, first 2 shown]
	v_div_fmas_f32 v94, v94, v103, v99
	v_cndmask_b32_e64 v66, v66, v97, s3
	v_cmp_eq_u32_e64 s17, 2, v77
	v_cmp_eq_u32_e32 vcc_lo, 3, v75
	v_cmp_eq_u32_e64 s13, 3, v78
	v_div_fixup_f32 v94, v94, v80, 1.0
	v_lshl_or_b32 v80, v74, 4, v81
	v_cmp_eq_u32_e64 s16, 2, v76
	v_cmp_eq_u32_e64 s19, 3, v77
	;; [unrolled: 1-line block ×3, first 2 shown]
	v_mul_f32_e32 v66, v66, v94
	v_cmp_eq_u32_e64 s18, 3, v76
	v_cmp_eq_u32_e64 s20, 4, v78
	;; [unrolled: 1-line block ×4, first 2 shown]
	v_fma_mixlo_f16 v94, v66, v70, 0
	v_fma_mixlo_f16 v95, v66, v72, 0
	;; [unrolled: 1-line block ×8, first 2 shown]
	v_fma_mixhi_f16 v94, v66, v69, 0
	v_fma_mixhi_f16 v95, v66, v71, 0
	;; [unrolled: 1-line block ×8, first 2 shown]
	ds_store_b128 v80, v[94:97]
	ds_store_b128 v80, v[98:101] offset:1024
	s_waitcnt lgkmcnt(0)
	s_barrier
	buffer_gl0_inv
	ds_load_b128 v[69:72], v81
	ds_load_b128 v[82:85], v81 offset:16
	ds_load_b128 v[86:89], v81 offset:1024
	ds_load_b128 v[90:93], v81 offset:1040
	v_cmp_eq_u32_e64 s21, 5, v78
	v_cmp_eq_u32_e64 s22, 4, v76
	;; [unrolled: 1-line block ×12, first 2 shown]
	s_waitcnt lgkmcnt(3)
	v_lshrrev_b32_e32 v66, 16, v69
	s_waitcnt lgkmcnt(2)
	v_lshrrev_b32_e32 v97, 16, v82
	;; [unrolled: 2-line block ×4, first 2 shown]
	v_lshrrev_b32_e32 v94, 16, v70
	v_cndmask_b32_e64 v109, v69, v66, s5
	v_cndmask_b32_e64 v110, v82, v97, s5
	v_cndmask_b32_e64 v111, v69, v66, s9
	v_cndmask_b32_e64 v112, v82, v97, s9
	v_cndmask_b32_e64 v113, v69, v66, s10
	v_cndmask_b32_e64 v66, v69, v66, s11
	v_cndmask_b32_e64 v69, v82, v97, s11
	v_lshrrev_b32_e32 v98, 16, v83
	v_cndmask_b32_e64 v114, v82, v97, s10
	v_cndmask_b32_e64 v82, v86, v101, s5
	;; [unrolled: 1-line block ×15, first 2 shown]
	v_lshrrev_b32_e32 v102, 16, v87
	v_lshrrev_b32_e32 v106, 16, v91
	v_cndmask_b32_e64 v111, v113, v70, s16
	v_cndmask_b32_e64 v112, v114, v83, s16
	;; [unrolled: 1-line block ×7, first 2 shown]
	v_cndmask_b32_e32 v87, v101, v94, vcc_lo
	v_cndmask_b32_e32 v101, v105, v98, vcc_lo
	v_cndmask_b32_e64 v105, v109, v94, s13
	v_cndmask_b32_e64 v109, v110, v98, s13
	v_cndmask_b32_e64 v66, v66, v94, s19
	v_cndmask_b32_e64 v69, v69, v98, s19
	v_lshrrev_b32_e32 v95, 16, v71
	v_lshrrev_b32_e32 v99, 16, v84
	v_cndmask_b32_e64 v110, v111, v94, s18
	v_cndmask_b32_e64 v111, v112, v98, s18
	v_cndmask_b32_e32 v70, v70, v102, vcc_lo
	v_cndmask_b32_e32 v82, v82, v106, vcc_lo
	v_cndmask_b32_e64 v83, v83, v102, s13
	v_cndmask_b32_e64 v87, v87, v71, s4
	;; [unrolled: 1-line block ×7, first 2 shown]
	v_lshrrev_b32_e32 v103, 16, v88
	v_lshrrev_b32_e32 v107, 16, v92
	v_cndmask_b32_e64 v105, v110, v71, s22
	v_cndmask_b32_e64 v109, v111, v84, s22
	;; [unrolled: 1-line block ×11, first 2 shown]
	v_lshrrev_b32_e32 v96, 16, v72
	v_lshrrev_b32_e32 v100, 16, v85
	v_cndmask_b32_e64 v98, v105, v95, s24
	v_cndmask_b32_e64 v101, v109, v99, s24
	;; [unrolled: 1-line block ×11, first 2 shown]
	v_lshrrev_b32_e32 v104, 16, v89
	v_cndmask_b32_e64 v95, v98, v72, s27
	v_cndmask_b32_e64 v98, v101, v85, s27
	;; [unrolled: 1-line block ×14, first 2 shown]
	v_perm_b32 v72, v69, v66, 0x5040100
	v_perm_b32 v70, v94, v84, 0x5040100
	v_cndmask_b32_e64 v66, v90, v91, s17
	v_cndmask_b32_e64 v69, v118, v91, s16
	;; [unrolled: 1-line block ×4, first 2 shown]
	v_perm_b32 v71, v95, v87, 0x5040100
	v_cndmask_b32_e64 v87, v97, v102, s18
	v_cndmask_b32_e64 v86, v86, v102, s19
	;; [unrolled: 1-line block ×15, first 2 shown]
	v_lshrrev_b32_e32 v108, 16, v93
	v_cndmask_b32_e64 v87, v87, v89, s27
	v_cndmask_b32_e64 v86, v86, v89, s28
	;; [unrolled: 1-line block ×11, first 2 shown]
	v_perm_b32 v69, v83, v82, 0x5040100
	v_perm_b32 v85, v66, v86, 0x5040100
	;; [unrolled: 1-line block ×5, first 2 shown]
	s_mov_b32 s3, exec_lo
	ds_store_b128 v80, v[69:72]
	ds_store_b128 v80, v[82:85] offset:1024
	v_cmpx_eq_u32_e32 0, v0
	s_cbranch_execz .LBB1278_13
; %bb.12:
	s_load_b128 s[4:7], s[0:1], 0x58
	s_mul_i32 s8, s37, s34
	s_delay_alu instid0(SALU_CYCLE_1) | instskip(NEXT) | instid1(SALU_CYCLE_1)
	s_add_i32 s8, s8, s15
	s_mul_i32 s8, s8, s36
	s_delay_alu instid0(SALU_CYCLE_1) | instskip(NEXT) | instid1(SALU_CYCLE_1)
	s_add_i32 s8, s8, s14
	s_ashr_i32 s9, s8, 31
	s_delay_alu instid0(SALU_CYCLE_1)
	s_lshl_b64 s[8:9], s[8:9], 2
	s_waitcnt lgkmcnt(0)
	s_add_u32 s6, s6, s8
	s_addc_u32 s7, s7, s9
	s_add_u32 s4, s4, s8
	s_addc_u32 s5, s5, s9
	s_clause 0x1
	global_store_b32 v65, v67, s[6:7]
	global_store_b32 v65, v68, s[4:5]
.LBB1278_13:
	s_or_b32 exec_lo, exec_lo, s3
	s_waitcnt lgkmcnt(0)
	s_waitcnt_vscnt null, 0x0
	s_barrier
	buffer_gl0_inv
	ds_load_b128 v[82:85], v79
	ds_load_b128 v[86:89], v79 offset:16
	ds_load_b128 v[94:97], v79 offset:2064
	;; [unrolled: 1-line block ×5, first 2 shown]
	v_mov_b32_e32 v66, v65
	v_mov_b32_e32 v67, v65
	v_mov_b32_e32 v68, v65
	v_mov_b32_e32 v69, v65
	v_mov_b32_e32 v70, v65
	v_mov_b32_e32 v71, v65
	v_mov_b32_e32 v72, v65
	ds_load_b128 v[110:113], v79 offset:6160
	ds_load_b128 v[106:109], v79 offset:6144
	v_cmp_eq_u32_e32 vcc_lo, 1, v75
	v_cmp_eq_u32_e64 s3, 1, v78
	v_cmp_eq_u32_e64 s4, 1, v77
	;; [unrolled: 1-line block ×5, first 2 shown]
	s_xor_b32 s2, s2, -1
	s_waitcnt lgkmcnt(6)
	v_wmma_f32_16x16x16_f16 v[65:72], v[49:56], v[82:89], v[65:72]
	ds_load_b128 v[53:56], v79 offset:8208
	ds_load_b128 v[49:52], v79 offset:8192
	;; [unrolled: 1-line block ×4, first 2 shown]
	s_waitcnt lgkmcnt(8)
	v_wmma_f32_16x16x16_f16 v[65:72], v[41:48], v[90:97], v[65:72]
	ds_load_b128 v[45:48], v79 offset:12304
	ds_load_b128 v[41:44], v79 offset:12288
	s_waitcnt lgkmcnt(8)
	v_wmma_f32_16x16x16_f16 v[65:72], v[33:40], v[98:105], v[65:72]
	ds_load_b128 v[37:40], v79 offset:14352
	ds_load_b128 v[33:36], v79 offset:14336
	s_waitcnt lgkmcnt(0)
	s_barrier
	buffer_gl0_inv
	v_wmma_f32_16x16x16_f16 v[65:72], v[1:8], v[106:113], v[65:72]
	s_delay_alu instid0(VALU_DEP_1) | instskip(NEXT) | instid1(VALU_DEP_1)
	v_wmma_f32_16x16x16_f16 v[65:72], v[9:16], v[49:56], v[65:72]
	v_wmma_f32_16x16x16_f16 v[65:72], v[17:24], v[82:89], v[65:72]
	s_delay_alu instid0(VALU_DEP_1) | instskip(NEXT) | instid1(VALU_DEP_1)
	v_wmma_f32_16x16x16_f16 v[65:72], v[25:32], v[41:48], v[65:72]
	v_wmma_f32_16x16x16_f16 v[65:72], v[57:64], v[33:40], v[65:72]
	s_delay_alu instid0(VALU_DEP_1) | instskip(NEXT) | instid1(VALU_DEP_2)
	v_cvt_f16_f32_e32 v1, v65
	v_cvt_f16_f32_e32 v2, v66
	s_delay_alu instid0(VALU_DEP_3) | instskip(NEXT) | instid1(VALU_DEP_4)
	v_cvt_f16_f32_e32 v3, v67
	v_cvt_f16_f32_e32 v4, v68
	;; [unrolled: 1-line block ×6, first 2 shown]
	v_pack_b32_f16 v1, v1, v2
	v_pack_b32_f16 v2, v3, v4
	;; [unrolled: 1-line block ×3, first 2 shown]
	s_delay_alu instid0(VALU_DEP_4)
	v_pack_b32_f16 v4, v7, v8
	ds_store_b128 v80, v[1:4]
	s_waitcnt lgkmcnt(0)
	s_barrier
	buffer_gl0_inv
	ds_load_b128 v[1:4], v81
	ds_load_b128 v[5:8], v81 offset:16
	s_waitcnt lgkmcnt(1)
	v_lshrrev_b32_e32 v9, 16, v1
	s_waitcnt lgkmcnt(0)
	v_lshrrev_b32_e32 v13, 16, v5
	v_lshrrev_b32_e32 v16, 16, v8
	;; [unrolled: 1-line block ×4, first 2 shown]
	v_cndmask_b32_e32 v17, v1, v9, vcc_lo
	v_cndmask_b32_e32 v18, v5, v13, vcc_lo
	v_cmp_eq_u32_e32 vcc_lo, 1, v76
	v_cndmask_b32_e64 v19, v1, v9, s3
	v_cndmask_b32_e64 v20, v5, v13, s3
	v_cmp_eq_u32_e64 s3, 2, v76
	v_lshrrev_b32_e32 v11, 16, v3
	v_cndmask_b32_e32 v21, v1, v9, vcc_lo
	v_cndmask_b32_e32 v22, v5, v13, vcc_lo
	v_cndmask_b32_e64 v1, v1, v9, s4
	v_cmp_eq_u32_e32 vcc_lo, 2, v77
	v_cndmask_b32_e64 v5, v5, v13, s4
	v_cmp_eq_u32_e64 s4, 2, v78
	v_cndmask_b32_e64 v9, v17, v2, s5
	v_cndmask_b32_e64 v13, v18, v6, s5
	v_cmp_eq_u32_e64 s5, 3, v78
	v_cndmask_b32_e32 v1, v1, v2, vcc_lo
	v_cndmask_b32_e64 v17, v19, v2, s4
	v_cndmask_b32_e64 v18, v20, v6, s4
	v_cndmask_b32_e64 v19, v21, v2, s3
	v_cndmask_b32_e64 v20, v22, v6, s3
	v_cndmask_b32_e32 v2, v5, v6, vcc_lo
	v_cmp_eq_u32_e32 vcc_lo, 3, v76
	v_cmp_eq_u32_e64 s4, 3, v77
	v_cndmask_b32_e64 v5, v9, v10, s6
	v_cndmask_b32_e64 v6, v13, v14, s6
	;; [unrolled: 1-line block ×4, first 2 shown]
	v_cndmask_b32_e32 v17, v19, v10, vcc_lo
	v_cmp_eq_u32_e64 s3, 4, v76
	v_cndmask_b32_e32 v18, v20, v14, vcc_lo
	v_cndmask_b32_e64 v1, v1, v10, s4
	v_cmp_eq_u32_e32 vcc_lo, 4, v77
	v_cmp_eq_u32_e64 s5, 4, v75
	v_cndmask_b32_e64 v2, v2, v14, s4
	v_cmp_eq_u32_e64 s4, 4, v78
	v_lshrrev_b32_e32 v15, 16, v7
	v_cmp_eq_u32_e64 s6, 5, v75
	v_cndmask_b32_e64 v5, v5, v3, s5
	v_cndmask_b32_e64 v6, v6, v7, s5
	;; [unrolled: 1-line block ×3, first 2 shown]
	v_cmp_eq_u32_e64 s5, 5, v78
	v_cndmask_b32_e64 v10, v13, v7, s4
	v_cndmask_b32_e64 v13, v17, v3, s3
	v_cndmask_b32_e64 v14, v18, v7, s3
	v_cmp_eq_u32_e64 s4, 5, v76
	v_cndmask_b32_e32 v1, v1, v3, vcc_lo
	v_cndmask_b32_e32 v2, v2, v7, vcc_lo
	v_cmp_eq_u32_e32 vcc_lo, 5, v77
	v_cndmask_b32_e64 v5, v5, v11, s6
	v_cmp_eq_u32_e64 s3, 6, v75
	v_cndmask_b32_e64 v6, v6, v15, s6
	v_cndmask_b32_e64 v9, v9, v11, s5
	;; [unrolled: 1-line block ×4, first 2 shown]
	v_cmp_eq_u32_e64 s5, 6, v78
	v_cndmask_b32_e64 v3, v14, v15, s4
	v_cndmask_b32_e32 v1, v1, v11, vcc_lo
	v_cmp_eq_u32_e64 s4, 6, v77
	v_cndmask_b32_e32 v2, v2, v15, vcc_lo
	v_lshrrev_b32_e32 v12, 16, v4
	v_cndmask_b32_e64 v5, v5, v4, s3
	v_cndmask_b32_e64 v9, v9, v4, s5
	;; [unrolled: 1-line block ×3, first 2 shown]
	v_cmp_eq_u32_e64 s3, 7, v75
	v_cmp_eq_u32_e64 s6, 7, v78
	v_cndmask_b32_e64 v7, v13, v4, s7
	v_cndmask_b32_e64 v3, v3, v8, s7
	;; [unrolled: 1-line block ×3, first 2 shown]
	v_cmp_eq_u32_e32 vcc_lo, 7, v77
	v_cndmask_b32_e64 v2, v2, v8, s4
	v_cmp_eq_u32_e64 s4, 7, v76
	v_cndmask_b32_e64 v4, v10, v8, s5
	v_cndmask_b32_e64 v5, v5, v12, s3
	;; [unrolled: 1-line block ×3, first 2 shown]
	v_cndmask_b32_e32 v2, v2, v16, vcc_lo
	v_cndmask_b32_e64 v7, v7, v12, s4
	v_cndmask_b32_e32 v1, v1, v12, vcc_lo
	v_cndmask_b32_e64 v3, v3, v16, s4
	v_cndmask_b32_e64 v8, v4, v16, s6
	;; [unrolled: 1-line block ×3, first 2 shown]
	v_cmp_gt_u32_e32 vcc_lo, 32, v0
	v_perm_b32 v4, v2, v1, 0x5040100
	v_perm_b32 v3, v3, v7, 0x5040100
	;; [unrolled: 1-line block ×4, first 2 shown]
	s_and_b32 s2, vcc_lo, s2
	ds_store_b128 v80, v[1:4]
	s_waitcnt lgkmcnt(0)
	s_barrier
	buffer_gl0_inv
	s_and_saveexec_b32 s3, s2
	s_cbranch_execz .LBB1278_2
; %bb.14:
	s_load_b64 s[0:1], s[0:1], 0x68
	v_lshlrev_b32_e32 v1, 10, v0
	v_and_b32_e32 v0, 1, v0
	v_lshlrev_b32_e32 v2, 6, v74
	s_lshl_b32 s4, s36, 7
	s_delay_alu instid0(VALU_DEP_3) | instskip(NEXT) | instid1(VALU_DEP_3)
	v_and_b32_e32 v1, 0x3800, v1
	v_lshlrev_b32_e32 v0, 4, v0
	s_mul_i32 s2, s4, s34
	s_delay_alu instid0(SALU_CYCLE_1) | instskip(NEXT) | instid1(VALU_DEP_1)
	s_mul_i32 s2, s2, s37
	v_or3_b32 v0, v1, v2, v0
	s_ashr_i32 s3, s2, 31
	s_delay_alu instid0(SALU_CYCLE_1)
	s_lshl_b64 s[2:3], s[2:3], 1
	ds_load_b128 v[0:3], v0
	s_waitcnt lgkmcnt(0)
	s_add_u32 s5, s0, s2
	s_addc_u32 s3, s1, s3
	s_lshl_b32 s0, s14, 7
	s_mul_i32 s2, s4, s15
	s_ashr_i32 s1, s0, 31
	s_delay_alu instid0(SALU_CYCLE_1) | instskip(NEXT) | instid1(SALU_CYCLE_1)
	s_lshl_b64 s[0:1], s[0:1], 1
	s_add_u32 s4, s5, s0
	s_addc_u32 s5, s3, s1
	s_ashr_i32 s3, s2, 31
	s_delay_alu instid0(SALU_CYCLE_1) | instskip(NEXT) | instid1(SALU_CYCLE_1)
	s_lshl_b64 s[0:1], s[2:3], 1
	s_add_u32 s0, s4, s0
	s_addc_u32 s1, s5, s1
	global_store_b128 v73, v[0:3], s[0:1]
	s_nop 0
	s_sendmsg sendmsg(MSG_DEALLOC_VGPRS)
	s_endpgm
	.section	.rodata,"a",@progbits
	.p2align	6, 0x0
	.amdhsa_kernel _Z39paged_attention_ll4mi_QKV_mfma16_kernelIDF16_hLN4vllm18Fp8KVCacheDataTypeE1EDF16_Li16ELi128ELi256ELb0ELi1EL8MFMAType0EEvPKT_PKT0_S8_ifPKiSA_SA_iPKfiiiPfSD_PS3_PT2_iSC_SC_
		.amdhsa_group_segment_fixed_size 17472
		.amdhsa_private_segment_fixed_size 0
		.amdhsa_kernarg_size 400
		.amdhsa_user_sgpr_count 13
		.amdhsa_user_sgpr_dispatch_ptr 0
		.amdhsa_user_sgpr_queue_ptr 0
		.amdhsa_user_sgpr_kernarg_segment_ptr 1
		.amdhsa_user_sgpr_dispatch_id 0
		.amdhsa_user_sgpr_private_segment_size 0
		.amdhsa_wavefront_size32 1
		.amdhsa_uses_dynamic_stack 0
		.amdhsa_enable_private_segment 0
		.amdhsa_system_sgpr_workgroup_id_x 1
		.amdhsa_system_sgpr_workgroup_id_y 1
		.amdhsa_system_sgpr_workgroup_id_z 1
		.amdhsa_system_sgpr_workgroup_info 0
		.amdhsa_system_vgpr_workitem_id 0
		.amdhsa_next_free_vgpr 134
		.amdhsa_next_free_sgpr 66
		.amdhsa_reserve_vcc 1
		.amdhsa_float_round_mode_32 0
		.amdhsa_float_round_mode_16_64 0
		.amdhsa_float_denorm_mode_32 3
		.amdhsa_float_denorm_mode_16_64 3
		.amdhsa_dx10_clamp 1
		.amdhsa_ieee_mode 1
		.amdhsa_fp16_overflow 0
		.amdhsa_workgroup_processor_mode 1
		.amdhsa_memory_ordered 1
		.amdhsa_forward_progress 0
		.amdhsa_shared_vgpr_count 0
		.amdhsa_exception_fp_ieee_invalid_op 0
		.amdhsa_exception_fp_denorm_src 0
		.amdhsa_exception_fp_ieee_div_zero 0
		.amdhsa_exception_fp_ieee_overflow 0
		.amdhsa_exception_fp_ieee_underflow 0
		.amdhsa_exception_fp_ieee_inexact 0
		.amdhsa_exception_int_div_zero 0
	.end_amdhsa_kernel
	.section	.text._Z39paged_attention_ll4mi_QKV_mfma16_kernelIDF16_hLN4vllm18Fp8KVCacheDataTypeE1EDF16_Li16ELi128ELi256ELb0ELi1EL8MFMAType0EEvPKT_PKT0_S8_ifPKiSA_SA_iPKfiiiPfSD_PS3_PT2_iSC_SC_,"axG",@progbits,_Z39paged_attention_ll4mi_QKV_mfma16_kernelIDF16_hLN4vllm18Fp8KVCacheDataTypeE1EDF16_Li16ELi128ELi256ELb0ELi1EL8MFMAType0EEvPKT_PKT0_S8_ifPKiSA_SA_iPKfiiiPfSD_PS3_PT2_iSC_SC_,comdat
.Lfunc_end1278:
	.size	_Z39paged_attention_ll4mi_QKV_mfma16_kernelIDF16_hLN4vllm18Fp8KVCacheDataTypeE1EDF16_Li16ELi128ELi256ELb0ELi1EL8MFMAType0EEvPKT_PKT0_S8_ifPKiSA_SA_iPKfiiiPfSD_PS3_PT2_iSC_SC_, .Lfunc_end1278-_Z39paged_attention_ll4mi_QKV_mfma16_kernelIDF16_hLN4vllm18Fp8KVCacheDataTypeE1EDF16_Li16ELi128ELi256ELb0ELi1EL8MFMAType0EEvPKT_PKT0_S8_ifPKiSA_SA_iPKfiiiPfSD_PS3_PT2_iSC_SC_
                                        ; -- End function
	.section	.AMDGPU.csdata,"",@progbits
; Kernel info:
; codeLenInByte = 6440
; NumSgprs: 68
; NumVgprs: 134
; ScratchSize: 0
; MemoryBound: 1
; FloatMode: 240
; IeeeMode: 1
; LDSByteSize: 17472 bytes/workgroup (compile time only)
; SGPRBlocks: 8
; VGPRBlocks: 16
; NumSGPRsForWavesPerEU: 68
; NumVGPRsForWavesPerEU: 134
; Occupancy: 10
; WaveLimiterHint : 1
; COMPUTE_PGM_RSRC2:SCRATCH_EN: 0
; COMPUTE_PGM_RSRC2:USER_SGPR: 13
; COMPUTE_PGM_RSRC2:TRAP_HANDLER: 0
; COMPUTE_PGM_RSRC2:TGID_X_EN: 1
; COMPUTE_PGM_RSRC2:TGID_Y_EN: 1
; COMPUTE_PGM_RSRC2:TGID_Z_EN: 1
; COMPUTE_PGM_RSRC2:TIDIG_COMP_CNT: 0
	.section	.text._Z39paged_attention_ll4mi_QKV_mfma16_kernelIDF16_hLN4vllm18Fp8KVCacheDataTypeE1EDF16_Li16ELi128ELi256ELb0ELi2EL8MFMAType0EEvPKT_PKT0_S8_ifPKiSA_SA_iPKfiiiPfSD_PS3_PT2_iSC_SC_,"axG",@progbits,_Z39paged_attention_ll4mi_QKV_mfma16_kernelIDF16_hLN4vllm18Fp8KVCacheDataTypeE1EDF16_Li16ELi128ELi256ELb0ELi2EL8MFMAType0EEvPKT_PKT0_S8_ifPKiSA_SA_iPKfiiiPfSD_PS3_PT2_iSC_SC_,comdat
	.protected	_Z39paged_attention_ll4mi_QKV_mfma16_kernelIDF16_hLN4vllm18Fp8KVCacheDataTypeE1EDF16_Li16ELi128ELi256ELb0ELi2EL8MFMAType0EEvPKT_PKT0_S8_ifPKiSA_SA_iPKfiiiPfSD_PS3_PT2_iSC_SC_ ; -- Begin function _Z39paged_attention_ll4mi_QKV_mfma16_kernelIDF16_hLN4vllm18Fp8KVCacheDataTypeE1EDF16_Li16ELi128ELi256ELb0ELi2EL8MFMAType0EEvPKT_PKT0_S8_ifPKiSA_SA_iPKfiiiPfSD_PS3_PT2_iSC_SC_
	.globl	_Z39paged_attention_ll4mi_QKV_mfma16_kernelIDF16_hLN4vllm18Fp8KVCacheDataTypeE1EDF16_Li16ELi128ELi256ELb0ELi2EL8MFMAType0EEvPKT_PKT0_S8_ifPKiSA_SA_iPKfiiiPfSD_PS3_PT2_iSC_SC_
	.p2align	8
	.type	_Z39paged_attention_ll4mi_QKV_mfma16_kernelIDF16_hLN4vllm18Fp8KVCacheDataTypeE1EDF16_Li16ELi128ELi256ELb0ELi2EL8MFMAType0EEvPKT_PKT0_S8_ifPKiSA_SA_iPKfiiiPfSD_PS3_PT2_iSC_SC_,@function
_Z39paged_attention_ll4mi_QKV_mfma16_kernelIDF16_hLN4vllm18Fp8KVCacheDataTypeE1EDF16_Li16ELi128ELi256ELb0ELi2EL8MFMAType0EEvPKT_PKT0_S8_ifPKiSA_SA_iPKfiiiPfSD_PS3_PT2_iSC_SC_: ; @_Z39paged_attention_ll4mi_QKV_mfma16_kernelIDF16_hLN4vllm18Fp8KVCacheDataTypeE1EDF16_Li16ELi128ELi256ELb0ELi2EL8MFMAType0EEvPKT_PKT0_S8_ifPKiSA_SA_iPKfiiiPfSD_PS3_PT2_iSC_SC_
; %bb.0:
	s_load_b64 s[2:3], s[0:1], 0x30
	s_mov_b32 s34, s13
	s_waitcnt lgkmcnt(0)
	s_cmp_lg_u64 s[2:3], 0
	s_cselect_b32 s8, -1, 0
	s_ashr_i32 s35, s13, 31
	s_cmp_eq_u64 s[2:3], 0
	s_cbranch_scc1 .LBB1279_3
; %bb.1:
	s_lshl_b64 s[4:5], s[34:35], 2
	s_delay_alu instid0(SALU_CYCLE_1) | instskip(SKIP_4) | instid1(SALU_CYCLE_1)
	s_add_u32 s4, s2, s4
	s_addc_u32 s5, s3, s5
	s_load_b64 s[4:5], s[4:5], 0x0
	s_waitcnt lgkmcnt(0)
	s_sub_i32 s4, s5, s4
	s_cmp_eq_u32 s4, 1
	s_cselect_b32 s4, -1, 0
	s_delay_alu instid0(SALU_CYCLE_1)
	s_and_not1_b32 vcc_lo, exec_lo, s4
	s_cbranch_vccz .LBB1279_4
.LBB1279_2:
	s_endpgm
.LBB1279_3:
.LBB1279_4:
	s_load_b64 s[4:5], s[0:1], 0x28
	s_lshl_b64 s[6:7], s[34:35], 2
	s_waitcnt lgkmcnt(0)
	s_add_u32 s4, s4, s6
	s_addc_u32 s5, s5, s7
	s_lshl_b32 s12, s14, 8
	s_load_b32 s24, s[4:5], 0x0
	s_waitcnt lgkmcnt(0)
	s_cmp_ge_i32 s12, s24
	s_cbranch_scc1 .LBB1279_2
; %bb.5:
	s_clause 0x1
	s_load_b128 s[20:23], s[0:1], 0x8
	s_load_b64 s[4:5], s[0:1], 0x20
	s_and_not1_b32 vcc_lo, exec_lo, s8
	s_cbranch_vccnz .LBB1279_7
; %bb.6:
	s_add_u32 s2, s2, s6
	s_addc_u32 s3, s3, s7
	s_load_b32 s3, s[2:3], 0x0
	s_branch .LBB1279_8
.LBB1279_7:
	s_mov_b32 s3, s34
.LBB1279_8:
	s_load_b128 s[16:19], s[0:1], 0x48
	v_and_b32_e32 v70, 15, v0
	v_bfe_u32 v69, v0, 4, 1
	s_lshl_b32 s31, s15, 1
	v_and_b32_e32 v71, 31, v0
	v_and_b32_e32 v68, 1, v0
	v_lshlrev_b32_e32 v1, 3, v70
	v_cmp_gt_u32_e64 s2, 32, v0
	v_or_b32_e32 v67, s31, v69
	v_lshlrev_b32_e32 v66, 6, v69
	s_delay_alu instid0(VALU_DEP_4) | instskip(NEXT) | instid1(VALU_DEP_4)
	v_lshlrev_b32_e32 v65, 1, v1
	s_and_saveexec_b32 s6, s2
	s_cbranch_execz .LBB1279_10
; %bb.9:
	s_load_b64 s[8:9], s[0:1], 0x0
	v_lshlrev_b32_e32 v1, 7, v67
	s_waitcnt lgkmcnt(0)
	s_mul_hi_i32 s11, s3, s16
	s_mul_i32 s10, s3, s16
	v_lshlrev_b32_e32 v5, 10, v70
	s_lshl_b64 s[10:11], s[10:11], 1
	v_ashrrev_i32_e32 v2, 31, v1
	v_lshlrev_b32_e32 v6, 10, v68
	s_delay_alu instid0(VALU_DEP_3) | instskip(NEXT) | instid1(VALU_DEP_3)
	v_and_b32_e32 v5, 0x3800, v5
	v_lshlrev_b64 v[1:2], 1, v[1:2]
	s_delay_alu instid0(VALU_DEP_2) | instskip(SKIP_2) | instid1(VALU_DEP_2)
	v_or3_b32 v5, v5, v6, v66
	s_add_u32 s3, s8, s10
	s_addc_u32 s7, s9, s11
	v_add_co_u32 v1, vcc_lo, s3, v1
	s_delay_alu instid0(VALU_DEP_3) | instskip(NEXT) | instid1(VALU_DEP_2)
	v_add_co_ci_u32_e32 v2, vcc_lo, s7, v2, vcc_lo
	v_add_co_u32 v1, vcc_lo, v1, v65
	s_delay_alu instid0(VALU_DEP_2)
	v_add_co_ci_u32_e32 v2, vcc_lo, 0, v2, vcc_lo
	global_load_b128 v[1:4], v[1:2], off
	s_waitcnt vmcnt(0)
	ds_store_b128 v5, v[1:4]
.LBB1279_10:
	s_or_b32 exec_lo, exec_lo, s6
	v_and_b32_e32 v1, 0xef, v0
	s_waitcnt lgkmcnt(0)
	s_add_i32 s3, s24, 15
	s_clause 0x1
	s_load_b32 s6, s[0:1], 0x38
	s_load_b32 s33, s[0:1], 0x98
	s_ashr_i32 s7, s3, 31
	v_add_nc_u32_e32 v1, s12, v1
	s_lshr_b32 s7, s7, 28
	s_load_b32 s19, s[0:1], 0x1c
	s_add_i32 s3, s3, s7
	s_waitcnt lgkmcnt(0)
	v_ashrrev_i32_e32 v2, 31, v1
	v_or_b32_e32 v3, 16, v1
	s_ashr_i32 s3, s3, 4
	v_cmp_gt_i32_e32 vcc_lo, s24, v1
	s_add_i32 s3, s3, -1
	v_lshrrev_b32_e32 v2, 28, v2
	s_barrier
	buffer_gl0_inv
	s_mul_i32 s15, s15, s18
	v_lshlrev_b32_e32 v145, 6, v68
	v_add_nc_u32_e32 v4, v1, v2
	v_lshrrev_b32_e32 v72, 5, v0
	s_mul_i32 s6, s34, s6
	s_delay_alu instid0(SALU_CYCLE_1) | instskip(NEXT) | instid1(VALU_DEP_2)
	s_ashr_i32 s7, s6, 31
	v_ashrrev_i32_e32 v4, 4, v4
	v_add_nc_u32_e32 v2, v3, v2
	s_lshl_b64 s[6:7], s[6:7], 2
	s_delay_alu instid0(SALU_CYCLE_1) | instskip(NEXT) | instid1(VALU_DEP_2)
	s_add_u32 s13, s4, s6
	v_cndmask_b32_e32 v1, s3, v4, vcc_lo
	s_delay_alu instid0(VALU_DEP_2)
	v_ashrrev_i32_e32 v2, 4, v2
	v_cmp_gt_i32_e32 vcc_lo, s24, v3
	s_addc_u32 s16, s5, s7
	s_ashr_i32 s18, s15, 31
	s_add_u32 s25, s20, s15
	s_addc_u32 s28, s21, s18
	v_cndmask_b32_e32 v3, s3, v2, vcc_lo
	v_ashrrev_i32_e32 v2, 31, v1
	s_lshl_b32 s4, s14, 4
	s_delay_alu instid0(SALU_CYCLE_1) | instskip(NEXT) | instid1(VALU_DEP_2)
	s_ashr_i32 s5, s4, 31
	v_ashrrev_i32_e32 v4, 31, v3
	s_delay_alu instid0(VALU_DEP_2) | instskip(SKIP_1) | instid1(SALU_CYCLE_1)
	v_lshlrev_b64 v[1:2], 2, v[1:2]
	s_lshl_b64 s[4:5], s[4:5], 2
	s_add_u32 s4, s13, s4
	s_delay_alu instid0(VALU_DEP_2) | instskip(SKIP_1) | instid1(VALU_DEP_2)
	v_lshlrev_b64 v[3:4], 2, v[3:4]
	s_addc_u32 s5, s16, s5
	v_add_co_u32 v1, vcc_lo, s13, v1
	v_add_co_ci_u32_e32 v2, vcc_lo, s16, v2, vcc_lo
	s_delay_alu instid0(VALU_DEP_3) | instskip(NEXT) | instid1(VALU_DEP_4)
	v_add_co_u32 v3, vcc_lo, s13, v3
	v_add_co_ci_u32_e32 v4, vcc_lo, s16, v4, vcc_lo
	s_clause 0x1
	global_load_b32 v5, v[1:2], off
	global_load_b32 v7, v[3:4], off
	s_or_b32 s6, s12, 32
	v_lshlrev_b32_e32 v1, 4, v0
	s_ashr_i32 s7, s6, 4
	s_cmp_lt_i32 s6, s24
	s_cselect_b32 s6, s7, s3
	s_delay_alu instid0(VALU_DEP_1) | instskip(SKIP_1) | instid1(SALU_CYCLE_1)
	v_and_b32_e32 v1, 0xf0, v1
	s_ashr_i32 s7, s6, 31
	s_lshl_b64 s[6:7], s[6:7], 2
	s_delay_alu instid0(SALU_CYCLE_1)
	s_add_u32 s6, s13, s6
	s_addc_u32 s7, s16, s7
	s_or_b32 s8, s12, 64
	v_add_co_u32 v1, s25, s25, v1
	s_ashr_i32 s9, s8, 4
	s_cmp_lt_i32 s8, s24
	v_add_co_ci_u32_e64 v2, null, s28, 0, s25
	s_cselect_b32 s8, s9, s3
	s_delay_alu instid0(SALU_CYCLE_1) | instskip(NEXT) | instid1(SALU_CYCLE_1)
	s_ashr_i32 s9, s8, 31
	s_lshl_b64 s[8:9], s[8:9], 2
	s_delay_alu instid0(SALU_CYCLE_1) | instskip(SKIP_2) | instid1(SALU_CYCLE_1)
	s_add_u32 s8, s13, s8
	s_addc_u32 s9, s16, s9
	s_or_b32 s10, s12, 0x60
	s_ashr_i32 s11, s10, 4
	s_cmp_lt_i32 s10, s24
	s_cselect_b32 s10, s11, s3
	s_delay_alu instid0(SALU_CYCLE_1) | instskip(NEXT) | instid1(SALU_CYCLE_1)
	s_ashr_i32 s11, s10, 31
	s_lshl_b64 s[10:11], s[10:11], 2
	s_delay_alu instid0(SALU_CYCLE_1) | instskip(SKIP_2) | instid1(SALU_CYCLE_1)
	s_add_u32 s10, s13, s10
	s_addc_u32 s11, s16, s11
	s_or_b32 s20, s12, 0x80
	s_ashr_i32 s21, s20, 4
	s_cmp_lt_i32 s20, s24
	;; [unrolled: 10-line block ×3, first 2 shown]
	s_cselect_b32 s26, s27, s3
	s_delay_alu instid0(SALU_CYCLE_1) | instskip(NEXT) | instid1(SALU_CYCLE_1)
	s_ashr_i32 s27, s26, 31
	s_lshl_b64 s[26:27], s[26:27], 2
	s_delay_alu instid0(SALU_CYCLE_1)
	s_add_u32 s26, s13, s26
	s_addc_u32 s27, s16, s27
	s_clause 0x5
	s_load_b32 s25, s[4:5], 0x0
	s_load_b32 s28, s[6:7], 0x0
	;; [unrolled: 1-line block ×6, first 2 shown]
	s_or_b32 s7, s12, 0xc0
	s_mov_b32 s4, 0
	s_ashr_i32 s8, s7, 4
	s_cmp_lt_i32 s7, s24
	s_mov_b32 s5, s4
	s_cselect_b32 s10, s8, s3
	s_mov_b32 s6, s4
	s_ashr_i32 s11, s10, 31
	s_mov_b32 s7, s4
	s_lshl_b64 s[20:21], s[10:11], 2
	s_mov_b32 s11, s4
	s_add_u32 s20, s13, s20
	s_addc_u32 s21, s16, s21
	s_or_b32 s27, s12, 0xe0
	s_mov_b32 s8, s4
	s_ashr_i32 s36, s27, 4
	s_mov_b32 s9, s4
	s_mov_b32 s10, s4
	s_cmp_lt_i32 s27, s24
	v_mov_b32_e32 v120, s11
	v_dual_mov_b32 v114, s5 :: v_dual_mov_b32 v119, s10
	v_dual_mov_b32 v118, s9 :: v_dual_mov_b32 v117, s8
	;; [unrolled: 1-line block ×3, first 2 shown]
	v_mov_b32_e32 v113, s4
	s_cselect_b32 s4, s36, s3
	s_delay_alu instid0(SALU_CYCLE_1) | instskip(NEXT) | instid1(SALU_CYCLE_1)
	s_ashr_i32 s5, s4, 31
	s_lshl_b64 s[4:5], s[4:5], 2
	s_delay_alu instid0(SALU_CYCLE_1)
	s_add_u32 s4, s13, s4
	s_addc_u32 s5, s16, s5
	s_add_u32 s6, s22, s15
	s_addc_u32 s7, s23, s18
	s_waitcnt vmcnt(1)
	v_mad_i64_i32 v[3:4], null, v5, s17, v[1:2]
	s_waitcnt vmcnt(0)
	v_mad_i64_i32 v[5:6], null, v7, s17, v[1:2]
	v_lshlrev_b32_e32 v1, 4, v70
	s_clause 0xf
	global_load_b128 v[9:12], v[3:4], off
	global_load_b128 v[13:16], v[3:4], off offset:256
	global_load_b128 v[17:20], v[5:6], off
	global_load_b128 v[21:24], v[5:6], off offset:256
	global_load_b128 v[57:60], v[3:4], off offset:512
	;; [unrolled: 1-line block ×13, first 2 shown]
	ds_load_b128 v[25:28], v145
	ds_load_b128 v[29:32], v145 offset:1024
	s_load_b32 s3, s[20:21], 0x0
	ds_load_b128 v[121:124], v145 offset:2048
	ds_load_b128 v[125:128], v145 offset:3072
	s_load_b32 s4, s[4:5], 0x0
	v_lshl_or_b32 v1, v72, 8, v1
	s_delay_alu instid0(VALU_DEP_1) | instskip(NEXT) | instid1(VALU_DEP_1)
	v_add_co_u32 v129, s6, s6, v1
	v_add_co_ci_u32_e64 v130, null, s7, 0, s6
	s_waitcnt lgkmcnt(0)
	s_delay_alu instid0(VALU_DEP_1)
	v_mad_i64_i32 v[1:2], null, s25, s17, v[129:130]
	v_mad_i64_i32 v[3:4], null, s28, s17, v[129:130]
	;; [unrolled: 1-line block ×8, first 2 shown]
	s_clause 0x7
	global_load_b128 v[49:52], v[1:2], off
	global_load_b128 v[53:56], v[1:2], off offset:16
	global_load_b128 v[41:44], v[3:4], off
	global_load_b128 v[45:48], v[3:4], off offset:16
	;; [unrolled: 2-line block ×4, first 2 shown]
	s_waitcnt vmcnt(22)
	v_wmma_f32_16x16x16_f16 v[129:136], v[9:16], v[25:32], v[113:120]
	s_waitcnt vmcnt(20)
	v_wmma_f32_16x16x16_f16 v[113:120], v[17:24], v[25:32], v[113:120]
	s_clause 0x5
	global_load_b128 v[9:12], v[137:138], off
	global_load_b128 v[13:16], v[137:138], off offset:16
	global_load_b128 v[17:20], v[139:140], off
	global_load_b128 v[21:24], v[139:140], off offset:16
	;; [unrolled: 2-line block ×3, first 2 shown]
	v_mbcnt_lo_u32_b32 v137, -1, 0
	s_waitcnt vmcnt(24)
	v_wmma_f32_16x16x16_f16 v[129:136], v[57:64], v[121:128], v[129:136]
	s_clause 0x1
	global_load_b128 v[57:60], v[143:144], off
	global_load_b128 v[61:64], v[143:144], off offset:16
	s_waitcnt vmcnt(24)
	v_wmma_f32_16x16x16_f16 v[113:120], v[73:80], v[121:128], v[113:120]
	ds_load_b128 v[73:76], v145 offset:4096
	ds_load_b128 v[77:80], v145 offset:5120
	v_and_b32_e32 v121, 0xe0, v0
	v_xor_b32_e32 v139, 16, v137
	s_delay_alu instid0(VALU_DEP_2)
	v_add_nc_u32_e32 v138, s12, v121
	ds_load_b128 v[121:124], v145 offset:6144
	ds_load_b128 v[125:128], v145 offset:7168
	v_cmp_gt_i32_e32 vcc_lo, 32, v139
	s_waitcnt vmcnt(0) lgkmcnt(0)
	s_barrier
	v_or_b32_e32 v138, v138, v69
	buffer_gl0_inv
	v_or_b32_e32 v140, 4, v138
	v_or_b32_e32 v141, 6, v138
	;; [unrolled: 1-line block ×3, first 2 shown]
	v_wmma_f32_16x16x16_f16 v[129:136], v[81:88], v[73:80], v[129:136]
	v_wmma_f32_16x16x16_f16 v[113:120], v[89:96], v[73:80], v[113:120]
	v_or_b32_e32 v81, 10, v138
	v_cmp_gt_i32_e64 s4, s24, v140
	v_cmp_gt_i32_e64 s5, s24, v141
	v_or_b32_e32 v82, 12, v138
	v_or_b32_e32 v83, 14, v138
	v_wmma_f32_16x16x16_f16 v[129:136], v[97:104], v[121:128], v[129:136]
	v_wmma_f32_16x16x16_f16 v[113:120], v[105:112], v[121:128], v[113:120]
	v_cndmask_b32_e32 v137, v137, v139, vcc_lo
	v_or_b32_e32 v139, 2, v138
	v_cmp_gt_i32_e32 vcc_lo, s24, v138
	v_mul_f32_e32 v90, s19, v130
	v_dual_mul_f32 v92, s19, v120 :: v_dual_mul_f32 v91, s19, v129
	s_delay_alu instid0(VALU_DEP_4) | instskip(SKIP_2) | instid1(VALU_DEP_4)
	v_cmp_gt_i32_e64 s3, s24, v139
	v_dual_mul_f32 v80, s19, v132 :: v_dual_mul_f32 v89, s19, v131
	v_mul_f32_e32 v78, s19, v134
	v_cndmask_b32_e32 v91, 0xff7fffff, v91, vcc_lo
	s_delay_alu instid0(VALU_DEP_4) | instskip(SKIP_3) | instid1(VALU_DEP_4)
	v_cndmask_b32_e64 v90, 0xff7fffff, v90, s3
	v_dual_mul_f32 v79, s19, v133 :: v_dual_mul_f32 v98, s19, v114
	v_cndmask_b32_e64 v89, 0xff7fffff, v89, s4
	v_cndmask_b32_e64 v80, 0xff7fffff, v80, s5
	v_max3_f32 v90, v91, 0xff7fffff, v90
	v_cmp_gt_i32_e64 s6, s24, v142
	v_cmp_gt_i32_e64 s7, s24, v81
	v_or_b32_e32 v84, 16, v138
	v_or_b32_e32 v85, 18, v138
	v_dual_mul_f32 v76, s19, v136 :: v_dual_mul_f32 v77, s19, v135
	v_mul_f32_e32 v96, s19, v116
	v_cndmask_b32_e64 v79, 0xff7fffff, v79, s6
	v_cndmask_b32_e64 v78, 0xff7fffff, v78, s7
	v_max3_f32 v80, v90, v89, v80
	v_cmp_gt_i32_e64 s8, s24, v82
	v_cmp_gt_i32_e64 s9, s24, v83
	v_or_b32_e32 v86, 20, v138
	v_or_b32_e32 v87, 22, v138
	v_mul_f32_e32 v99, s19, v113
	v_cndmask_b32_e64 v77, 0xff7fffff, v77, s8
	v_cndmask_b32_e64 v76, 0xff7fffff, v76, s9
	v_max3_f32 v78, v80, v79, v78
	v_cmp_gt_i32_e64 s10, s24, v84
	v_cmp_gt_i32_e64 s11, s24, v85
	v_or_b32_e32 v88, 24, v138
	v_or_b32_e32 v73, 26, v138
	;; [unrolled: 8-line block ×3, first 2 shown]
	v_dual_mul_f32 v94, s19, v118 :: v_dual_mul_f32 v95, s19, v117
	v_cndmask_b32_e64 v77, 0xff7fffff, v97, s12
	v_cndmask_b32_e64 v78, 0xff7fffff, v96, s13
	v_max3_f32 v76, v76, v79, v80
	v_cmp_gt_i32_e64 s15, s24, v88
	v_cmp_gt_i32_e64 s16, s24, v73
	v_mul_f32_e32 v93, s19, v119
	v_cmp_gt_i32_e64 s17, s24, v74
	v_max3_f32 v76, v76, v77, v78
	v_cndmask_b32_e64 v79, 0xff7fffff, v95, s15
	v_cndmask_b32_e64 v73, 0xff7fffff, v94, s16
	v_cmp_gt_i32_e64 s18, s24, v75
	v_cndmask_b32_e64 v74, 0xff7fffff, v93, s17
	s_delay_alu instid0(VALU_DEP_3) | instskip(NEXT) | instid1(VALU_DEP_3)
	v_max3_f32 v73, v76, v79, v73
	v_cndmask_b32_e64 v75, 0xff7fffff, v92, s18
	v_lshlrev_b32_e32 v76, 2, v137
	s_delay_alu instid0(VALU_DEP_2) | instskip(SKIP_3) | instid1(VALU_DEP_1)
	v_max3_f32 v73, v73, v74, v75
	ds_bpermute_b32 v74, v76, v73
	s_waitcnt lgkmcnt(0)
	v_max_f32_e32 v74, v74, v74
	v_max_f32_e32 v73, v73, v74
	s_delay_alu instid0(VALU_DEP_1) | instskip(SKIP_4) | instid1(VALU_DEP_4)
	v_fma_f32 v74, s19, v129, -v73
	v_fma_f32 v83, s19, v135, -v73
	;; [unrolled: 1-line block ×5, first 2 shown]
	v_dual_mul_f32 v74, 0x3fb8aa3b, v74 :: v_dual_mul_f32 v83, 0x3fb8aa3b, v83
	s_delay_alu instid0(VALU_DEP_4) | instskip(NEXT) | instid1(VALU_DEP_4)
	v_mul_f32_e32 v75, 0x3fb8aa3b, v75
	v_mul_f32_e32 v77, 0x3fb8aa3b, v77
	v_fma_f32 v80, s19, v133, -v73
	s_delay_alu instid0(VALU_DEP_4)
	v_exp_f32_e32 v74, v74
	v_exp_f32_e32 v85, v83
	;; [unrolled: 1-line block ×3, first 2 shown]
	v_mul_f32_e32 v78, 0x3fb8aa3b, v78
	v_exp_f32_e32 v77, v77
	v_mul_f32_e32 v80, 0x3fb8aa3b, v80
	s_delay_alu instid0(VALU_DEP_2) | instskip(NEXT) | instid1(VALU_DEP_1)
	v_exp_f32_e32 v82, v78
	v_exp_f32_e32 v84, v80
	v_cndmask_b32_e64 v85, 0, v85, s8
	v_cndmask_b32_e32 v79, 0, v74, vcc_lo
	v_fma_f32 v74, s19, v134, -v73
	v_cndmask_b32_e64 v78, 0, v75, s3
	s_delay_alu instid0(TRANS32_DEP_3) | instskip(SKIP_1) | instid1(VALU_DEP_3)
	v_cndmask_b32_e64 v81, 0, v77, s4
	s_mov_b32 s3, exec_lo
	v_dual_add_f32 v75, 0, v79 :: v_dual_mul_f32 v74, 0x3fb8aa3b, v74
	s_delay_alu instid0(TRANS32_DEP_2) | instskip(SKIP_2) | instid1(VALU_DEP_4)
	v_cndmask_b32_e64 v80, 0, v82, s5
	v_fma_f32 v82, s19, v113, -v73
	v_cndmask_b32_e64 v83, 0, v84, s6
	v_add_f32_e32 v75, v75, v78
	v_exp_f32_e32 v74, v74
	s_delay_alu instid0(VALU_DEP_1) | instskip(NEXT) | instid1(VALU_DEP_1)
	v_dual_mul_f32 v86, 0x3fb8aa3b, v82 :: v_dual_add_f32 v75, v75, v81
	v_exp_f32_e32 v86, v86
	s_delay_alu instid0(VALU_DEP_1)
	v_add_f32_e32 v75, v75, v80
	s_waitcnt_depctr 0xfff
	v_cndmask_b32_e64 v82, 0, v74, s7
	v_add_f32_e32 v74, v75, v83
	v_fma_f32 v77, s19, v136, -v73
	v_fma_f32 v90, s19, v118, -v73
	v_fma_f32 v84, s19, v114, -v73
	v_fma_f32 v75, s19, v115, -v73
	s_delay_alu instid0(VALU_DEP_4) | instskip(NEXT) | instid1(VALU_DEP_4)
	v_dual_add_f32 v74, v74, v82 :: v_dual_mul_f32 v77, 0x3fb8aa3b, v77
	v_mul_f32_e32 v90, 0x3fb8aa3b, v90
	s_delay_alu instid0(VALU_DEP_4) | instskip(SKIP_1) | instid1(VALU_DEP_4)
	v_mul_f32_e32 v84, 0x3fb8aa3b, v84
	v_fma_f32 v87, s19, v116, -v73
	v_add_f32_e32 v74, v74, v85
	v_exp_f32_e32 v77, v77
	v_exp_f32_e32 v90, v90
	;; [unrolled: 1-line block ×3, first 2 shown]
	v_mul_f32_e32 v89, 0x3fb8aa3b, v87
	v_cndmask_b32_e64 v87, 0, v86, s10
	v_fma_f32 v92, s19, v120, -v73
	s_delay_alu instid0(VALU_DEP_3) | instskip(SKIP_1) | instid1(TRANS32_DEP_3)
	v_exp_f32_e32 v91, v89
	v_cndmask_b32_e64 v84, 0, v77, s9
	v_cndmask_b32_e64 v90, 0, v90, s16
	v_mul_f32_e32 v75, 0x3fb8aa3b, v75
	v_fma_f32 v77, s19, v117, -v73
	s_delay_alu instid0(TRANS32_DEP_2) | instskip(SKIP_3) | instid1(VALU_DEP_2)
	v_cndmask_b32_e64 v86, 0, v88, s11
	v_add_f32_e32 v74, v74, v84
	v_fma_f32 v88, s19, v119, -v73
	v_exp_f32_e32 v75, v75
	v_dual_mul_f32 v77, 0x3fb8aa3b, v77 :: v_dual_add_f32 v74, v74, v87
	s_delay_alu instid0(VALU_DEP_1) | instskip(NEXT) | instid1(VALU_DEP_1)
	v_exp_f32_e32 v77, v77
	v_add_f32_e32 v74, v74, v86
	s_waitcnt_depctr 0xfff
	v_cndmask_b32_e64 v89, 0, v75, s12
	v_mul_f32_e32 v75, 0x3fb8aa3b, v88
	v_cndmask_b32_e64 v88, 0, v91, s13
	s_delay_alu instid0(VALU_DEP_3) | instskip(NEXT) | instid1(VALU_DEP_3)
	v_add_f32_e32 v74, v74, v89
	v_exp_f32_e32 v75, v75
	v_cndmask_b32_e64 v91, 0, v77, s15
	v_mul_f32_e32 v77, 0x3fb8aa3b, v92
	s_delay_alu instid0(VALU_DEP_3) | instskip(NEXT) | instid1(VALU_DEP_2)
	v_add_f32_e32 v74, v74, v88
	v_exp_f32_e32 v77, v77
	s_delay_alu instid0(VALU_DEP_1) | instskip(SKIP_4) | instid1(VALU_DEP_2)
	v_add_f32_e32 v74, v74, v91
	s_waitcnt_depctr 0xfff
	v_cndmask_b32_e64 v93, 0, v75, s17
	v_add_f32_e32 v74, v74, v90
	v_cndmask_b32_e64 v92, 0, v77, s18
	v_add_f32_e32 v74, v74, v93
	s_delay_alu instid0(VALU_DEP_1)
	v_add_f32_e32 v74, v74, v92
	ds_bpermute_b32 v75, v76, v74
	v_cmpx_gt_u32_e32 16, v71
	s_cbranch_execz .LBB1279_12
; %bb.11:
	v_mul_u32_u24_e32 v71, 0x44, v72
	s_waitcnt lgkmcnt(0)
	v_add_f32_e32 v74, v74, v75
	s_delay_alu instid0(VALU_DEP_2) | instskip(NEXT) | instid1(VALU_DEP_1)
	v_lshl_add_u32 v71, v70, 2, v71
	v_add_nc_u32_e32 v71, 0x4000, v71
	ds_store_2addr_b32 v71, v73, v74 offset1:136
.LBB1279_12:
	s_or_b32 exec_lo, exec_lo, s3
	v_lshlrev_b32_e32 v71, 2, v70
	s_load_b32 s35, s[0:1], 0x94
	s_waitcnt lgkmcnt(0)
	s_barrier
	buffer_gl0_inv
	v_add_nc_u32_e32 v71, 0x4000, v71
	v_cmp_eq_u32_e32 vcc_lo, 1, v72
	v_cmp_eq_u32_e64 s3, 2, v72
	v_cmp_eq_u32_e64 s4, 3, v72
	;; [unrolled: 1-line block ×3, first 2 shown]
	ds_load_2addr_b32 v[73:74], v71 offset1:17
	ds_load_2addr_b32 v[94:95], v71 offset0:34 offset1:51
	ds_load_2addr_b32 v[96:97], v71 offset0:68 offset1:85
	;; [unrolled: 1-line block ×3, first 2 shown]
	v_cmp_eq_u32_e64 s6, 5, v72
	v_cmp_eq_u32_e64 s7, 7, v72
	s_waitcnt lgkmcnt(3)
	v_max3_f32 v75, v73, 0xff7fffff, v74
	s_waitcnt lgkmcnt(2)
	s_delay_alu instid0(VALU_DEP_1) | instskip(SKIP_1) | instid1(VALU_DEP_1)
	v_max3_f32 v75, v75, v94, v95
	s_waitcnt lgkmcnt(1)
	v_max3_f32 v75, v75, v96, v97
	s_waitcnt lgkmcnt(0)
	s_delay_alu instid0(VALU_DEP_1) | instskip(NEXT) | instid1(VALU_DEP_1)
	v_max3_f32 v76, v75, v98, v99
	v_sub_f32_e32 v96, v96, v76
	ds_load_2addr_b32 v[100:101], v71 offset0:136 offset1:153
	v_sub_f32_e32 v73, v73, v76
	v_sub_f32_e32 v75, v74, v76
	;; [unrolled: 1-line block ×3, first 2 shown]
	v_mul_f32_e32 v105, 0x3fb8aa3b, v96
	s_delay_alu instid0(VALU_DEP_4)
	v_mul_f32_e32 v77, 0x3fb8aa3b, v73
	ds_load_2addr_b32 v[73:74], v71 offset0:170 offset1:187
	v_mul_f32_e32 v103, 0x3fb8aa3b, v94
	v_exp_f32_e32 v102, v77
	v_sub_f32_e32 v77, v95, v76
	ds_load_2addr_b32 v[94:95], v71 offset0:204 offset1:221
	v_exp_f32_e32 v103, v103
	v_mul_f32_e32 v104, 0x3fb8aa3b, v77
	s_waitcnt lgkmcnt(2)
	v_fma_f32 v77, v102, v100, 0
	v_dual_sub_f32 v100, v97, v76 :: v_dual_mul_f32 v75, 0x3fb8aa3b, v75
	ds_load_2addr_b32 v[96:97], v71 offset0:238 offset1:255
	v_sub_f32_e32 v71, v98, v76
	v_exp_f32_e32 v104, v104
	v_mul_f32_e32 v98, 0x3fb8aa3b, v100
	v_exp_f32_e32 v75, v75
	v_exp_f32_e32 v100, v105
	v_mul_f32_e32 v71, 0x3fb8aa3b, v71
	s_waitcnt lgkmcnt(0)
	v_exp_f32_e32 v98, v98
	s_barrier
	buffer_gl0_inv
	v_fmac_f32_e32 v77, v75, v101
	s_delay_alu instid0(VALU_DEP_1) | instskip(SKIP_2) | instid1(VALU_DEP_2)
	v_fmac_f32_e32 v77, v103, v73
	v_sub_f32_e32 v73, v99, v76
	v_exp_f32_e32 v99, v71
	v_fmac_f32_e32 v77, v104, v74
	s_delay_alu instid0(VALU_DEP_2) | instskip(NEXT) | instid1(VALU_DEP_2)
	v_dual_mul_f32 v73, 0x3fb8aa3b, v73 :: v_dual_lshlrev_b32 v74, 6, v70
	v_dual_fmac_f32 v77, v100, v94 :: v_dual_lshlrev_b32 v70, 2, v69
	s_delay_alu instid0(VALU_DEP_2) | instskip(SKIP_1) | instid1(VALU_DEP_3)
	v_exp_f32_e32 v94, v73
	v_cndmask_b32_e32 v73, v102, v75, vcc_lo
	v_lshl_or_b32 v75, v72, 11, v74
	s_delay_alu instid0(VALU_DEP_3) | instskip(SKIP_1) | instid1(VALU_DEP_3)
	v_cmp_eq_u32_e64 s8, 7, v70
	v_fmac_f32_e32 v77, v98, v95
	v_lshl_or_b32 v69, v69, 4, v75
	s_delay_alu instid0(VALU_DEP_2)
	v_fmac_f32_e32 v77, v99, v96
	s_delay_alu instid0(TRANS32_DEP_1) | instid1(VALU_DEP_1)
	v_fmac_f32_e32 v77, v94, v97
	s_delay_alu instid0(VALU_DEP_1) | instskip(NEXT) | instid1(VALU_DEP_1)
	v_add_f32_e32 v95, 0x358637bd, v77
	v_div_scale_f32 v96, null, v95, v95, 1.0
	v_div_scale_f32 v101, vcc_lo, 1.0, v95, 1.0
	s_delay_alu instid0(VALU_DEP_2) | instskip(SKIP_2) | instid1(VALU_DEP_1)
	v_rcp_f32_e32 v97, v96
	s_waitcnt_depctr 0xfff
	v_fma_f32 v71, -v96, v97, 1.0
	v_fmac_f32_e32 v97, v71, v97
	v_cndmask_b32_e64 v71, v73, v103, s3
	v_cmp_eq_u32_e64 s3, 6, v72
	v_or_b32_e32 v73, 1, v70
	v_or_b32_e32 v72, 3, v70
	v_mul_f32_e32 v102, v101, v97
	v_cndmask_b32_e64 v71, v71, v104, s4
	v_cmp_eq_u32_e64 s4, 1, v70
	v_cmp_eq_u32_e64 s9, 1, v73
	;; [unrolled: 1-line block ×3, first 2 shown]
	v_fma_f32 v103, -v96, v102, v101
	v_cndmask_b32_e64 v100, v71, v100, s5
	v_or_b32_e32 v71, 2, v70
	v_cmp_eq_u32_e64 s5, 2, v70
	v_cmp_eq_u32_e64 s12, 2, v73
	v_fmac_f32_e32 v102, v103, v97
	v_cndmask_b32_e64 v98, v100, v98, s6
	v_cmp_eq_u32_e64 s10, 1, v71
	v_cmp_eq_u32_e64 s15, 2, v71
	;; [unrolled: 1-line block ×3, first 2 shown]
	v_fma_f32 v96, -v96, v102, v101
	v_cndmask_b32_e64 v98, v98, v99, s3
	v_cmp_eq_u32_e64 s13, 3, v73
	v_cmp_eq_u32_e64 s18, 3, v72
	;; [unrolled: 1-line block ×3, first 2 shown]
	v_div_fmas_f32 v96, v96, v97, v102
	v_cndmask_b32_e64 v94, v98, v94, s7
	v_cmp_eq_u32_e32 vcc_lo, 3, v70
	v_cmp_eq_u32_e64 s17, 3, v71
	v_cmp_eq_u32_e64 s19, 4, v73
	v_div_fixup_f32 v95, v96, v95, 1.0
	v_cmp_eq_u32_e64 s22, 4, v72
	v_cmp_eq_u32_e64 s6, 5, v70
	;; [unrolled: 1-line block ×4, first 2 shown]
	v_mul_f32_e32 v102, v94, v95
	v_cmp_eq_u32_e64 s24, 5, v72
	v_cmp_eq_u32_e64 s23, 5, v71
	;; [unrolled: 1-line block ×4, first 2 shown]
	v_fma_mixlo_f16 v94, v102, v79, 0
	v_fma_mixlo_f16 v95, v102, v81, 0
	;; [unrolled: 1-line block ×8, first 2 shown]
	v_fma_mixhi_f16 v94, v102, v78, 0
	v_fma_mixhi_f16 v95, v102, v80, 0
	;; [unrolled: 1-line block ×8, first 2 shown]
	ds_store_b128 v69, v[94:97]
	ds_store_b128 v69, v[98:101] offset:1024
	s_waitcnt lgkmcnt(0)
	s_barrier
	buffer_gl0_inv
	ds_load_b128 v[78:81], v75
	ds_load_b128 v[82:85], v75 offset:16
	ds_load_b128 v[86:89], v75 offset:1024
	;; [unrolled: 1-line block ×3, first 2 shown]
	v_cmp_eq_u32_e64 s7, 6, v70
	v_cmp_eq_u32_e64 s26, 6, v71
	;; [unrolled: 1-line block ×5, first 2 shown]
	s_waitcnt lgkmcnt(3)
	v_lshrrev_b32_e32 v94, 16, v78
	s_waitcnt lgkmcnt(2)
	v_lshrrev_b32_e32 v98, 16, v82
	;; [unrolled: 2-line block ×4, first 2 shown]
	v_lshrrev_b32_e32 v95, 16, v79
	v_cndmask_b32_e64 v110, v78, v94, s4
	v_cndmask_b32_e64 v111, v82, v98, s4
	;; [unrolled: 1-line block ×8, first 2 shown]
	v_lshrrev_b32_e32 v99, 16, v83
	v_cndmask_b32_e64 v94, v86, v102, s4
	v_cndmask_b32_e64 v98, v90, v106, s4
	;; [unrolled: 1-line block ×15, first 2 shown]
	v_lshrrev_b32_e32 v103, 16, v87
	v_lshrrev_b32_e32 v107, 16, v91
	v_cndmask_b32_e64 v113, v115, v83, s15
	v_cndmask_b32_e64 v82, v94, v87, s5
	;; [unrolled: 1-line block ×7, first 2 shown]
	v_cndmask_b32_e32 v90, v102, v95, vcc_lo
	v_cndmask_b32_e32 v102, v106, v99, vcc_lo
	v_cndmask_b32_e64 v106, v110, v95, s13
	v_cndmask_b32_e64 v110, v111, v99, s13
	;; [unrolled: 1-line block ×4, first 2 shown]
	v_lshrrev_b32_e32 v96, 16, v80
	v_lshrrev_b32_e32 v100, 16, v84
	v_cndmask_b32_e64 v111, v112, v95, s17
	v_cndmask_b32_e64 v112, v113, v99, s17
	v_cndmask_b32_e32 v82, v82, v103, vcc_lo
	v_cndmask_b32_e32 v83, v83, v107, vcc_lo
	v_cndmask_b32_e64 v94, v94, v103, s13
	v_cndmask_b32_e64 v90, v90, v80, s3
	;; [unrolled: 1-line block ×7, first 2 shown]
	v_lshrrev_b32_e32 v104, 16, v88
	v_cndmask_b32_e64 v106, v111, v80, s21
	v_cndmask_b32_e64 v110, v112, v84, s21
	;; [unrolled: 1-line block ×11, first 2 shown]
	v_lshrrev_b32_e32 v97, 16, v81
	v_lshrrev_b32_e32 v101, 16, v85
	v_cndmask_b32_e64 v99, v106, v96, s23
	v_cndmask_b32_e64 v102, v110, v100, s23
	;; [unrolled: 1-line block ×7, first 2 shown]
	v_lshrrev_b32_e32 v105, 16, v89
	v_cndmask_b32_e64 v80, v80, v104, s6
	v_cndmask_b32_e64 v84, v84, v81, s7
	;; [unrolled: 1-line block ×16, first 2 shown]
	v_perm_b32 v81, v79, v78, 0x5040100
	v_perm_b32 v79, v95, v85, 0x5040100
	v_cndmask_b32_e64 v78, v119, v91, s15
	v_cndmask_b32_e64 v85, v117, v91, s12
	v_cndmask_b32_e64 v96, v80, v105, s8
	v_perm_b32 v80, v94, v90, 0x5040100
	v_cndmask_b32_e64 v90, v98, v103, s17
	v_cndmask_b32_e64 v86, v86, v103, s18
	;; [unrolled: 1-line block ×5, first 2 shown]
	v_lshrrev_b32_e32 v108, 16, v92
	v_cndmask_b32_e64 v90, v90, v88, s21
	v_cndmask_b32_e64 v86, v86, v88, s22
	;; [unrolled: 1-line block ×11, first 2 shown]
	v_lshrrev_b32_e32 v109, 16, v93
	v_cndmask_b32_e64 v82, v82, v93, s7
	v_cndmask_b32_e64 v88, v88, v89, s26
	;; [unrolled: 1-line block ×12, first 2 shown]
	v_perm_b32 v78, v84, v83, 0x5040100
	v_perm_b32 v85, v87, v86, 0x5040100
	;; [unrolled: 1-line block ×5, first 2 shown]
	s_lshl_b32 s8, s33, 1
	s_mov_b32 s3, exec_lo
	ds_store_b128 v69, v[78:81]
	ds_store_b128 v69, v[82:85] offset:1024
	v_cmpx_gt_u32_e32 2, v0
	s_cbranch_execz .LBB1279_14
; %bb.13:
	v_or_b32_e32 v78, s31, v0
	s_load_b128 s[4:7], s[0:1], 0x58
	s_delay_alu instid0(VALU_DEP_1) | instskip(NEXT) | instid1(VALU_DEP_1)
	v_mad_u64_u32 v[79:80], null, s8, s34, v[78:79]
	v_mad_u64_u32 v[80:81], null, v79, s35, s[14:15]
	s_delay_alu instid0(VALU_DEP_1) | instskip(NEXT) | instid1(VALU_DEP_1)
	v_ashrrev_i32_e32 v81, 31, v80
	v_lshlrev_b64 v[78:79], 2, v[80:81]
	s_waitcnt lgkmcnt(0)
	s_delay_alu instid0(VALU_DEP_1) | instskip(NEXT) | instid1(VALU_DEP_2)
	v_add_co_u32 v80, vcc_lo, s6, v78
	v_add_co_ci_u32_e32 v81, vcc_lo, s7, v79, vcc_lo
	v_add_co_u32 v78, vcc_lo, s4, v78
	v_add_co_ci_u32_e32 v79, vcc_lo, s5, v79, vcc_lo
	global_store_b32 v[80:81], v76, off
	global_store_b32 v[78:79], v77, off
.LBB1279_14:
	s_or_b32 exec_lo, exec_lo, s3
	s_waitcnt lgkmcnt(0)
	s_waitcnt_vscnt null, 0x0
	s_barrier
	buffer_gl0_inv
	ds_load_b128 v[84:87], v74
	ds_load_b128 v[88:91], v74 offset:16
	ds_load_b128 v[96:99], v74 offset:2064
	;; [unrolled: 1-line block ×5, first 2 shown]
	v_cmp_eq_u32_e32 vcc_lo, 1, v70
	v_mov_b32_e32 v76, 0
	ds_load_b128 v[112:115], v74 offset:6160
	ds_load_b128 v[108:111], v74 offset:6144
	;; [unrolled: 1-line block ×4, first 2 shown]
	v_cmp_eq_u32_e64 s4, 1, v71
	v_cmp_eq_u32_e64 s3, 1, v73
	;; [unrolled: 1-line block ×3, first 2 shown]
	v_mov_b32_e32 v77, v76
	v_mov_b32_e32 v78, v76
	;; [unrolled: 1-line block ×7, first 2 shown]
	v_cmp_eq_u32_e64 s6, 3, v73
	v_cmp_eq_u32_e64 s7, 7, v73
	s_waitcnt lgkmcnt(8)
	s_delay_alu instid0(VALU_DEP_3)
	v_wmma_f32_16x16x16_f16 v[76:83], v[49:56], v[84:91], v[76:83]
	ds_load_b128 v[53:56], v74 offset:10256
	ds_load_b128 v[49:52], v74 offset:10240
	s_waitcnt lgkmcnt(8)
	v_wmma_f32_16x16x16_f16 v[76:83], v[41:48], v[92:99], v[76:83]
	ds_load_b128 v[45:48], v74 offset:12304
	ds_load_b128 v[41:44], v74 offset:12288
	s_waitcnt lgkmcnt(8)
	;; [unrolled: 4-line block ×3, first 2 shown]
	s_barrier
	buffer_gl0_inv
	v_wmma_f32_16x16x16_f16 v[76:83], v[1:8], v[108:115], v[76:83]
	s_delay_alu instid0(VALU_DEP_1) | instskip(NEXT) | instid1(VALU_DEP_1)
	v_wmma_f32_16x16x16_f16 v[76:83], v[9:16], v[116:123], v[76:83]
	v_wmma_f32_16x16x16_f16 v[76:83], v[17:24], v[49:56], v[76:83]
	s_delay_alu instid0(VALU_DEP_1) | instskip(NEXT) | instid1(VALU_DEP_1)
	v_wmma_f32_16x16x16_f16 v[76:83], v[25:32], v[41:48], v[76:83]
	v_wmma_f32_16x16x16_f16 v[76:83], v[57:64], v[33:40], v[76:83]
	s_delay_alu instid0(VALU_DEP_1) | instskip(NEXT) | instid1(VALU_DEP_2)
	v_cvt_f16_f32_e32 v1, v76
	v_cvt_f16_f32_e32 v2, v77
	s_delay_alu instid0(VALU_DEP_3) | instskip(NEXT) | instid1(VALU_DEP_4)
	v_cvt_f16_f32_e32 v3, v78
	v_cvt_f16_f32_e32 v4, v79
	;; [unrolled: 1-line block ×6, first 2 shown]
	v_pack_b32_f16 v1, v1, v2
	v_pack_b32_f16 v2, v3, v4
	;; [unrolled: 1-line block ×3, first 2 shown]
	s_delay_alu instid0(VALU_DEP_4)
	v_pack_b32_f16 v4, v7, v8
	ds_store_b128 v69, v[1:4]
	s_waitcnt lgkmcnt(0)
	s_barrier
	buffer_gl0_inv
	ds_load_b128 v[1:4], v75
	ds_load_b128 v[5:8], v75 offset:16
	s_waitcnt lgkmcnt(1)
	v_lshrrev_b32_e32 v9, 16, v1
	s_waitcnt lgkmcnt(0)
	v_lshrrev_b32_e32 v13, 16, v5
	v_lshrrev_b32_e32 v10, 16, v2
	;; [unrolled: 1-line block ×4, first 2 shown]
	v_cndmask_b32_e32 v17, v1, v9, vcc_lo
	v_cndmask_b32_e32 v18, v5, v13, vcc_lo
	v_cndmask_b32_e64 v21, v1, v9, s4
	v_cmp_eq_u32_e32 vcc_lo, 1, v72
	v_cndmask_b32_e64 v22, v5, v13, s4
	v_cmp_eq_u32_e64 s4, 2, v70
	v_cndmask_b32_e64 v19, v1, v9, s3
	v_cndmask_b32_e64 v20, v5, v13, s3
	v_cndmask_b32_e32 v1, v1, v9, vcc_lo
	v_cmp_eq_u32_e64 s3, 2, v72
	v_cndmask_b32_e32 v5, v5, v13, vcc_lo
	v_cndmask_b32_e64 v9, v17, v2, s4
	v_cmp_eq_u32_e32 vcc_lo, 3, v70
	v_cndmask_b32_e64 v13, v18, v6, s4
	v_cmp_eq_u32_e64 s4, 2, v71
	v_cndmask_b32_e64 v17, v19, v2, s5
	v_cndmask_b32_e64 v18, v20, v6, s5
	v_cmp_eq_u32_e64 s5, 3, v71
	v_cndmask_b32_e64 v1, v1, v2, s3
	v_cndmask_b32_e64 v19, v21, v2, s4
	;; [unrolled: 1-line block ×4, first 2 shown]
	v_cndmask_b32_e32 v5, v9, v10, vcc_lo
	v_cndmask_b32_e32 v6, v13, v14, vcc_lo
	v_cmp_eq_u32_e32 vcc_lo, 3, v72
	v_cndmask_b32_e64 v9, v17, v10, s6
	v_cndmask_b32_e64 v13, v18, v14, s6
	;; [unrolled: 1-line block ×3, first 2 shown]
	v_cmp_eq_u32_e64 s4, 4, v70
	v_cndmask_b32_e32 v1, v1, v10, vcc_lo
	v_cndmask_b32_e32 v2, v2, v14, vcc_lo
	v_cmp_eq_u32_e32 vcc_lo, 4, v73
	v_lshrrev_b32_e32 v15, 16, v7
	v_lshrrev_b32_e32 v16, 16, v8
	v_cndmask_b32_e64 v17, v19, v10, s5
	v_cmp_eq_u32_e64 s3, 4, v72
	v_cndmask_b32_e64 v5, v5, v3, s4
	v_cndmask_b32_e64 v6, v6, v7, s4
	v_cndmask_b32_e32 v9, v9, v3, vcc_lo
	v_cmp_eq_u32_e64 s4, 5, v73
	v_cndmask_b32_e32 v10, v13, v7, vcc_lo
	v_cmp_eq_u32_e32 vcc_lo, 4, v71
	v_cmp_eq_u32_e64 s5, 5, v70
	v_cndmask_b32_e64 v2, v2, v7, s3
	v_cndmask_b32_e64 v9, v9, v11, s4
	;; [unrolled: 1-line block ×3, first 2 shown]
	v_cndmask_b32_e32 v13, v17, v3, vcc_lo
	v_cmp_eq_u32_e64 s4, 5, v71
	v_cndmask_b32_e32 v14, v18, v7, vcc_lo
	v_cndmask_b32_e64 v1, v1, v3, s3
	v_cmp_eq_u32_e32 vcc_lo, 5, v72
	v_lshrrev_b32_e32 v12, 16, v4
	v_cndmask_b32_e64 v13, v13, v11, s4
	v_cndmask_b32_e64 v3, v14, v15, s4
	v_cmp_eq_u32_e64 s4, 6, v72
	v_cndmask_b32_e32 v1, v1, v11, vcc_lo
	v_cndmask_b32_e64 v5, v5, v11, s5
	v_cmp_eq_u32_e64 s6, 6, v70
	v_cndmask_b32_e64 v6, v6, v15, s5
	v_cmp_eq_u32_e64 s5, 6, v73
	v_cmp_eq_u32_e64 s3, 6, v71
	v_cndmask_b32_e64 v1, v1, v4, s4
	v_cndmask_b32_e32 v2, v2, v15, vcc_lo
	v_cmp_eq_u32_e32 vcc_lo, 7, v72
	v_cndmask_b32_e64 v5, v5, v4, s6
	v_cndmask_b32_e64 v9, v9, v4, s5
	;; [unrolled: 1-line block ×3, first 2 shown]
	v_cmp_eq_u32_e64 s6, 7, v70
	v_cndmask_b32_e32 v1, v1, v12, vcc_lo
	v_cndmask_b32_e64 v7, v13, v4, s3
	v_cndmask_b32_e64 v3, v3, v8, s3
	;; [unrolled: 1-line block ×3, first 2 shown]
	v_cmp_eq_u32_e64 s3, 7, v71
	v_cndmask_b32_e64 v4, v10, v8, s5
	v_cndmask_b32_e64 v5, v5, v12, s6
	v_cndmask_b32_e64 v9, v9, v12, s7
	v_cndmask_b32_e32 v2, v2, v16, vcc_lo
	v_cndmask_b32_e64 v7, v7, v12, s3
	v_cndmask_b32_e64 v3, v3, v16, s3
	;; [unrolled: 1-line block ×4, first 2 shown]
	v_perm_b32 v4, v2, v1, 0x5040100
	s_delay_alu instid0(VALU_DEP_4) | instskip(NEXT) | instid1(VALU_DEP_4)
	v_perm_b32 v3, v3, v7, 0x5040100
	v_perm_b32 v2, v8, v9, 0x5040100
	s_delay_alu instid0(VALU_DEP_4)
	v_perm_b32 v1, v6, v5, 0x5040100
	ds_store_b128 v69, v[1:4]
	s_waitcnt lgkmcnt(0)
	s_barrier
	buffer_gl0_inv
	s_and_saveexec_b32 s3, s2
	s_cbranch_execz .LBB1279_2
; %bb.15:
	s_load_b64 s[0:1], s[0:1], 0x68
	v_lshlrev_b32_e32 v0, 10, v0
	s_lshl_b32 s2, s35, 7
	v_lshlrev_b32_e32 v1, 4, v68
	v_mul_lo_u32 v4, s2, v67
	s_mul_i32 s3, s2, s34
	v_and_b32_e32 v0, 0x3800, v0
	s_mul_i32 s2, s3, s8
	s_delay_alu instid0(SALU_CYCLE_1) | instskip(NEXT) | instid1(VALU_DEP_1)
	s_ashr_i32 s3, s2, 31
	v_or3_b32 v0, v0, v66, v1
	s_lshl_b64 s[2:3], s[2:3], 1
	s_delay_alu instid0(VALU_DEP_3)
	v_ashrrev_i32_e32 v5, 31, v4
	ds_load_b128 v[0:3], v0
	v_lshlrev_b64 v[4:5], 1, v[4:5]
	s_waitcnt lgkmcnt(0)
	s_add_u32 s2, s0, s2
	s_addc_u32 s3, s1, s3
	s_lshl_b32 s0, s14, 7
	s_delay_alu instid0(SALU_CYCLE_1) | instskip(NEXT) | instid1(SALU_CYCLE_1)
	s_ashr_i32 s1, s0, 31
	s_lshl_b64 s[0:1], s[0:1], 1
	s_delay_alu instid0(SALU_CYCLE_1) | instskip(SKIP_3) | instid1(VALU_DEP_2)
	s_add_u32 s0, s2, s0
	s_addc_u32 s1, s3, s1
	v_add_co_u32 v4, vcc_lo, s0, v4
	v_add_co_ci_u32_e32 v5, vcc_lo, s1, v5, vcc_lo
	v_add_co_u32 v4, vcc_lo, v4, v65
	s_delay_alu instid0(VALU_DEP_2)
	v_add_co_ci_u32_e32 v5, vcc_lo, 0, v5, vcc_lo
	global_store_b128 v[4:5], v[0:3], off
	s_nop 0
	s_sendmsg sendmsg(MSG_DEALLOC_VGPRS)
	s_endpgm
	.section	.rodata,"a",@progbits
	.p2align	6, 0x0
	.amdhsa_kernel _Z39paged_attention_ll4mi_QKV_mfma16_kernelIDF16_hLN4vllm18Fp8KVCacheDataTypeE1EDF16_Li16ELi128ELi256ELb0ELi2EL8MFMAType0EEvPKT_PKT0_S8_ifPKiSA_SA_iPKfiiiPfSD_PS3_PT2_iSC_SC_
		.amdhsa_group_segment_fixed_size 17472
		.amdhsa_private_segment_fixed_size 0
		.amdhsa_kernarg_size 400
		.amdhsa_user_sgpr_count 13
		.amdhsa_user_sgpr_dispatch_ptr 0
		.amdhsa_user_sgpr_queue_ptr 0
		.amdhsa_user_sgpr_kernarg_segment_ptr 1
		.amdhsa_user_sgpr_dispatch_id 0
		.amdhsa_user_sgpr_private_segment_size 0
		.amdhsa_wavefront_size32 1
		.amdhsa_uses_dynamic_stack 0
		.amdhsa_enable_private_segment 0
		.amdhsa_system_sgpr_workgroup_id_x 1
		.amdhsa_system_sgpr_workgroup_id_y 1
		.amdhsa_system_sgpr_workgroup_id_z 1
		.amdhsa_system_sgpr_workgroup_info 0
		.amdhsa_system_vgpr_workitem_id 0
		.amdhsa_next_free_vgpr 146
		.amdhsa_next_free_sgpr 37
		.amdhsa_reserve_vcc 1
		.amdhsa_float_round_mode_32 0
		.amdhsa_float_round_mode_16_64 0
		.amdhsa_float_denorm_mode_32 3
		.amdhsa_float_denorm_mode_16_64 3
		.amdhsa_dx10_clamp 1
		.amdhsa_ieee_mode 1
		.amdhsa_fp16_overflow 0
		.amdhsa_workgroup_processor_mode 1
		.amdhsa_memory_ordered 1
		.amdhsa_forward_progress 0
		.amdhsa_shared_vgpr_count 0
		.amdhsa_exception_fp_ieee_invalid_op 0
		.amdhsa_exception_fp_denorm_src 0
		.amdhsa_exception_fp_ieee_div_zero 0
		.amdhsa_exception_fp_ieee_overflow 0
		.amdhsa_exception_fp_ieee_underflow 0
		.amdhsa_exception_fp_ieee_inexact 0
		.amdhsa_exception_int_div_zero 0
	.end_amdhsa_kernel
	.section	.text._Z39paged_attention_ll4mi_QKV_mfma16_kernelIDF16_hLN4vllm18Fp8KVCacheDataTypeE1EDF16_Li16ELi128ELi256ELb0ELi2EL8MFMAType0EEvPKT_PKT0_S8_ifPKiSA_SA_iPKfiiiPfSD_PS3_PT2_iSC_SC_,"axG",@progbits,_Z39paged_attention_ll4mi_QKV_mfma16_kernelIDF16_hLN4vllm18Fp8KVCacheDataTypeE1EDF16_Li16ELi128ELi256ELb0ELi2EL8MFMAType0EEvPKT_PKT0_S8_ifPKiSA_SA_iPKfiiiPfSD_PS3_PT2_iSC_SC_,comdat
.Lfunc_end1279:
	.size	_Z39paged_attention_ll4mi_QKV_mfma16_kernelIDF16_hLN4vllm18Fp8KVCacheDataTypeE1EDF16_Li16ELi128ELi256ELb0ELi2EL8MFMAType0EEvPKT_PKT0_S8_ifPKiSA_SA_iPKfiiiPfSD_PS3_PT2_iSC_SC_, .Lfunc_end1279-_Z39paged_attention_ll4mi_QKV_mfma16_kernelIDF16_hLN4vllm18Fp8KVCacheDataTypeE1EDF16_Li16ELi128ELi256ELb0ELi2EL8MFMAType0EEvPKT_PKT0_S8_ifPKiSA_SA_iPKfiiiPfSD_PS3_PT2_iSC_SC_
                                        ; -- End function
	.section	.AMDGPU.csdata,"",@progbits
; Kernel info:
; codeLenInByte = 6428
; NumSgprs: 39
; NumVgprs: 146
; ScratchSize: 0
; MemoryBound: 0
; FloatMode: 240
; IeeeMode: 1
; LDSByteSize: 17472 bytes/workgroup (compile time only)
; SGPRBlocks: 4
; VGPRBlocks: 18
; NumSGPRsForWavesPerEU: 39
; NumVGPRsForWavesPerEU: 146
; Occupancy: 9
; WaveLimiterHint : 1
; COMPUTE_PGM_RSRC2:SCRATCH_EN: 0
; COMPUTE_PGM_RSRC2:USER_SGPR: 13
; COMPUTE_PGM_RSRC2:TRAP_HANDLER: 0
; COMPUTE_PGM_RSRC2:TGID_X_EN: 1
; COMPUTE_PGM_RSRC2:TGID_Y_EN: 1
; COMPUTE_PGM_RSRC2:TGID_Z_EN: 1
; COMPUTE_PGM_RSRC2:TIDIG_COMP_CNT: 0
	.section	.text._Z39paged_attention_ll4mi_QKV_mfma16_kernelIDF16_hLN4vllm18Fp8KVCacheDataTypeE1EDF16_Li16ELi128ELi256ELb0ELi3EL8MFMAType0EEvPKT_PKT0_S8_ifPKiSA_SA_iPKfiiiPfSD_PS3_PT2_iSC_SC_,"axG",@progbits,_Z39paged_attention_ll4mi_QKV_mfma16_kernelIDF16_hLN4vllm18Fp8KVCacheDataTypeE1EDF16_Li16ELi128ELi256ELb0ELi3EL8MFMAType0EEvPKT_PKT0_S8_ifPKiSA_SA_iPKfiiiPfSD_PS3_PT2_iSC_SC_,comdat
	.protected	_Z39paged_attention_ll4mi_QKV_mfma16_kernelIDF16_hLN4vllm18Fp8KVCacheDataTypeE1EDF16_Li16ELi128ELi256ELb0ELi3EL8MFMAType0EEvPKT_PKT0_S8_ifPKiSA_SA_iPKfiiiPfSD_PS3_PT2_iSC_SC_ ; -- Begin function _Z39paged_attention_ll4mi_QKV_mfma16_kernelIDF16_hLN4vllm18Fp8KVCacheDataTypeE1EDF16_Li16ELi128ELi256ELb0ELi3EL8MFMAType0EEvPKT_PKT0_S8_ifPKiSA_SA_iPKfiiiPfSD_PS3_PT2_iSC_SC_
	.globl	_Z39paged_attention_ll4mi_QKV_mfma16_kernelIDF16_hLN4vllm18Fp8KVCacheDataTypeE1EDF16_Li16ELi128ELi256ELb0ELi3EL8MFMAType0EEvPKT_PKT0_S8_ifPKiSA_SA_iPKfiiiPfSD_PS3_PT2_iSC_SC_
	.p2align	8
	.type	_Z39paged_attention_ll4mi_QKV_mfma16_kernelIDF16_hLN4vllm18Fp8KVCacheDataTypeE1EDF16_Li16ELi128ELi256ELb0ELi3EL8MFMAType0EEvPKT_PKT0_S8_ifPKiSA_SA_iPKfiiiPfSD_PS3_PT2_iSC_SC_,@function
_Z39paged_attention_ll4mi_QKV_mfma16_kernelIDF16_hLN4vllm18Fp8KVCacheDataTypeE1EDF16_Li16ELi128ELi256ELb0ELi3EL8MFMAType0EEvPKT_PKT0_S8_ifPKiSA_SA_iPKfiiiPfSD_PS3_PT2_iSC_SC_: ; @_Z39paged_attention_ll4mi_QKV_mfma16_kernelIDF16_hLN4vllm18Fp8KVCacheDataTypeE1EDF16_Li16ELi128ELi256ELb0ELi3EL8MFMAType0EEvPKT_PKT0_S8_ifPKiSA_SA_iPKfiiiPfSD_PS3_PT2_iSC_SC_
; %bb.0:
	s_load_b64 s[4:5], s[0:1], 0x30
	s_mov_b32 s34, s13
	s_waitcnt lgkmcnt(0)
	s_cmp_lg_u64 s[4:5], 0
	s_cselect_b32 s8, -1, 0
	s_ashr_i32 s35, s13, 31
	s_cmp_eq_u64 s[4:5], 0
	s_cbranch_scc1 .LBB1280_3
; %bb.1:
	s_lshl_b64 s[2:3], s[34:35], 2
	s_delay_alu instid0(SALU_CYCLE_1) | instskip(SKIP_4) | instid1(SALU_CYCLE_1)
	s_add_u32 s2, s4, s2
	s_addc_u32 s3, s5, s3
	s_load_b64 s[2:3], s[2:3], 0x0
	s_waitcnt lgkmcnt(0)
	s_sub_i32 s2, s3, s2
	s_cmp_eq_u32 s2, 1
	s_cselect_b32 s2, -1, 0
	s_delay_alu instid0(SALU_CYCLE_1)
	s_and_not1_b32 vcc_lo, exec_lo, s2
	s_cbranch_vccz .LBB1280_4
.LBB1280_2:
	s_nop 0
	s_sendmsg sendmsg(MSG_DEALLOC_VGPRS)
	s_endpgm
.LBB1280_3:
.LBB1280_4:
	s_load_b64 s[2:3], s[0:1], 0x28
	s_lshl_b64 s[6:7], s[34:35], 2
	s_waitcnt lgkmcnt(0)
	s_add_u32 s2, s2, s6
	s_addc_u32 s3, s3, s7
	s_lshl_b32 s12, s14, 8
	s_load_b32 s24, s[2:3], 0x0
	s_waitcnt lgkmcnt(0)
	s_cmp_ge_i32 s12, s24
	s_cbranch_scc1 .LBB1280_2
; %bb.5:
	s_clause 0x1
	s_load_b128 s[20:23], s[0:1], 0x8
	s_load_b64 s[2:3], s[0:1], 0x20
	s_and_not1_b32 vcc_lo, exec_lo, s8
	s_cbranch_vccnz .LBB1280_7
; %bb.6:
	s_add_u32 s4, s4, s6
	s_addc_u32 s5, s5, s7
	s_load_b32 s5, s[4:5], 0x0
	s_branch .LBB1280_8
.LBB1280_7:
	s_mov_b32 s5, s34
.LBB1280_8:
	s_load_b128 s[16:19], s[0:1], 0x48
	v_and_b32_e32 v68, 15, v0
	v_lshrrev_b32_e32 v69, 5, v0
	v_bfe_u32 v66, v0, 4, 1
	v_and_b32_e32 v70, 31, v0
	v_and_b32_e32 v67, 1, v0
	v_lshlrev_b32_e32 v2, 3, v68
	s_mul_i32 s31, s15, 3
	v_lshl_or_b32 v1, v69, 1, v66
	s_mov_b32 s4, exec_lo
	s_delay_alu instid0(VALU_DEP_2) | instskip(NEXT) | instid1(VALU_DEP_2)
	v_lshlrev_b32_e32 v65, 1, v2
	v_cmpx_gt_u32_e32 3, v1
	s_cbranch_execz .LBB1280_10
; %bb.9:
	s_load_b64 s[6:7], s[0:1], 0x0
	v_add_lshl_u32 v2, v1, s31, 7
	s_waitcnt lgkmcnt(0)
	s_mul_hi_i32 s9, s5, s16
	s_mul_i32 s8, s5, s16
	v_lshlrev_b32_e32 v6, 10, v68
	s_lshl_b64 s[8:9], s[8:9], 1
	v_ashrrev_i32_e32 v3, 31, v2
	v_lshlrev_b32_e32 v1, 6, v1
	v_lshlrev_b32_e32 v7, 10, v67
	v_and_b32_e32 v6, 0x3800, v6
	s_delay_alu instid0(VALU_DEP_4) | instskip(NEXT) | instid1(VALU_DEP_2)
	v_lshlrev_b64 v[2:3], 1, v[2:3]
	v_or3_b32 v1, v6, v7, v1
	s_add_u32 s5, s6, s8
	s_addc_u32 s6, s7, s9
	s_delay_alu instid0(VALU_DEP_2) | instskip(NEXT) | instid1(VALU_DEP_3)
	v_add_co_u32 v2, vcc_lo, s5, v2
	v_add_co_ci_u32_e32 v3, vcc_lo, s6, v3, vcc_lo
	s_delay_alu instid0(VALU_DEP_2) | instskip(NEXT) | instid1(VALU_DEP_2)
	v_add_co_u32 v2, vcc_lo, v2, v65
	v_add_co_ci_u32_e32 v3, vcc_lo, 0, v3, vcc_lo
	global_load_b128 v[2:5], v[2:3], off
	s_waitcnt vmcnt(0)
	ds_store_b128 v1, v[2:5]
.LBB1280_10:
	s_or_b32 exec_lo, exec_lo, s4
	v_and_b32_e32 v1, 0xef, v0
	s_waitcnt lgkmcnt(0)
	s_add_i32 s5, s24, 15
	s_clause 0x1
	s_load_b32 s4, s[0:1], 0x38
	s_load_b32 s33, s[0:1], 0x98
	s_ashr_i32 s6, s5, 31
	v_add_nc_u32_e32 v1, s12, v1
	s_lshr_b32 s6, s6, 28
	s_load_b32 s19, s[0:1], 0x1c
	s_add_i32 s5, s5, s6
	s_waitcnt lgkmcnt(0)
	v_ashrrev_i32_e32 v2, 31, v1
	v_or_b32_e32 v3, 16, v1
	s_ashr_i32 s13, s5, 4
	v_cmp_gt_i32_e32 vcc_lo, s24, v1
	s_add_i32 s13, s13, -1
	v_lshrrev_b32_e32 v2, 28, v2
	s_barrier
	buffer_gl0_inv
	s_mul_i32 s15, s15, s18
	v_add_nc_u32_e32 v4, v1, v2
	s_mul_i32 s4, s34, s4
	s_delay_alu instid0(SALU_CYCLE_1) | instskip(NEXT) | instid1(VALU_DEP_1)
	s_ashr_i32 s5, s4, 31
	v_ashrrev_i32_e32 v4, 4, v4
	v_add_nc_u32_e32 v2, v3, v2
	s_lshl_b64 s[4:5], s[4:5], 2
	s_delay_alu instid0(SALU_CYCLE_1) | instskip(NEXT) | instid1(VALU_DEP_2)
	s_add_u32 s16, s2, s4
	v_cndmask_b32_e32 v1, s13, v4, vcc_lo
	s_delay_alu instid0(VALU_DEP_2)
	v_ashrrev_i32_e32 v2, 4, v2
	v_cmp_gt_i32_e32 vcc_lo, s24, v3
	s_addc_u32 s25, s3, s5
	s_ashr_i32 s18, s15, 31
	s_add_u32 s26, s20, s15
	s_addc_u32 s27, s21, s18
	v_cndmask_b32_e32 v3, s13, v2, vcc_lo
	v_ashrrev_i32_e32 v2, 31, v1
	s_lshl_b32 s2, s14, 4
	s_delay_alu instid0(SALU_CYCLE_1) | instskip(NEXT) | instid1(VALU_DEP_2)
	s_ashr_i32 s3, s2, 31
	v_ashrrev_i32_e32 v4, 31, v3
	s_delay_alu instid0(VALU_DEP_2) | instskip(SKIP_1) | instid1(SALU_CYCLE_1)
	v_lshlrev_b64 v[1:2], 2, v[1:2]
	s_lshl_b64 s[2:3], s[2:3], 2
	s_add_u32 s2, s16, s2
	s_delay_alu instid0(VALU_DEP_2) | instskip(SKIP_1) | instid1(VALU_DEP_2)
	v_lshlrev_b64 v[3:4], 2, v[3:4]
	s_addc_u32 s3, s25, s3
	v_add_co_u32 v1, vcc_lo, s16, v1
	v_add_co_ci_u32_e32 v2, vcc_lo, s25, v2, vcc_lo
	s_delay_alu instid0(VALU_DEP_3) | instskip(NEXT) | instid1(VALU_DEP_4)
	v_add_co_u32 v3, vcc_lo, s16, v3
	v_add_co_ci_u32_e32 v4, vcc_lo, s25, v4, vcc_lo
	s_clause 0x1
	global_load_b32 v5, v[1:2], off
	global_load_b32 v7, v[3:4], off
	s_or_b32 s4, s12, 32
	v_lshlrev_b32_e32 v1, 4, v0
	s_ashr_i32 s5, s4, 4
	s_cmp_lt_i32 s4, s24
	s_cselect_b32 s4, s5, s13
	s_delay_alu instid0(VALU_DEP_1) | instskip(SKIP_1) | instid1(SALU_CYCLE_1)
	v_and_b32_e32 v1, 0xf0, v1
	s_ashr_i32 s5, s4, 31
	s_lshl_b64 s[4:5], s[4:5], 2
	s_delay_alu instid0(SALU_CYCLE_1)
	s_add_u32 s4, s16, s4
	s_addc_u32 s5, s25, s5
	s_or_b32 s6, s12, 64
	v_add_co_u32 v1, s26, s26, v1
	s_ashr_i32 s7, s6, 4
	s_cmp_lt_i32 s6, s24
	v_add_co_ci_u32_e64 v2, null, s27, 0, s26
	s_cselect_b32 s6, s7, s13
	s_delay_alu instid0(SALU_CYCLE_1) | instskip(NEXT) | instid1(SALU_CYCLE_1)
	s_ashr_i32 s7, s6, 31
	s_lshl_b64 s[6:7], s[6:7], 2
	s_delay_alu instid0(SALU_CYCLE_1) | instskip(SKIP_2) | instid1(SALU_CYCLE_1)
	s_add_u32 s6, s16, s6
	s_addc_u32 s7, s25, s7
	s_or_b32 s8, s12, 0x60
	s_ashr_i32 s9, s8, 4
	s_cmp_lt_i32 s8, s24
	s_cselect_b32 s8, s9, s13
	s_delay_alu instid0(SALU_CYCLE_1) | instskip(NEXT) | instid1(SALU_CYCLE_1)
	s_ashr_i32 s9, s8, 31
	s_lshl_b64 s[8:9], s[8:9], 2
	s_delay_alu instid0(SALU_CYCLE_1) | instskip(SKIP_2) | instid1(SALU_CYCLE_1)
	s_add_u32 s8, s16, s8
	s_addc_u32 s9, s25, s9
	s_or_b32 s10, s12, 0x80
	s_ashr_i32 s11, s10, 4
	s_cmp_lt_i32 s10, s24
	;; [unrolled: 10-line block ×3, first 2 shown]
	s_cselect_b32 s20, s21, s13
	s_delay_alu instid0(SALU_CYCLE_1) | instskip(NEXT) | instid1(SALU_CYCLE_1)
	s_ashr_i32 s21, s20, 31
	s_lshl_b64 s[20:21], s[20:21], 2
	s_delay_alu instid0(SALU_CYCLE_1)
	s_add_u32 s20, s16, s20
	s_addc_u32 s21, s25, s21
	s_clause 0x5
	s_load_b32 s26, s[2:3], 0x0
	s_load_b32 s27, s[4:5], 0x0
	;; [unrolled: 1-line block ×6, first 2 shown]
	s_or_b32 s2, s12, 0xc0
	s_mov_b32 s4, 0
	s_ashr_i32 s3, s2, 4
	s_cmp_lt_i32 s2, s24
	s_mov_b32 s11, s4
	s_cselect_b32 s2, s3, s13
	s_mov_b32 s5, s4
	s_ashr_i32 s3, s2, 31
	s_mov_b32 s6, s4
	s_lshl_b64 s[2:3], s[2:3], 2
	s_mov_b32 s7, s4
	s_add_u32 s2, s16, s2
	s_addc_u32 s3, s25, s3
	s_or_b32 s20, s12, 0xe0
	s_mov_b32 s8, s4
	s_ashr_i32 s21, s20, 4
	s_cmp_lt_i32 s20, s24
	s_mov_b32 s9, s4
	s_cselect_b32 s20, s21, s13
	s_mov_b32 s10, s4
	s_ashr_i32 s21, s20, 31
	v_mov_b32_e32 v118, s11
	v_dual_mov_b32 v112, s5 :: v_dual_mov_b32 v117, s10
	v_dual_mov_b32 v116, s9 :: v_dual_mov_b32 v115, s8
	;; [unrolled: 1-line block ×3, first 2 shown]
	v_mov_b32_e32 v111, s4
	s_lshl_b64 s[4:5], s[20:21], 2
	s_delay_alu instid0(SALU_CYCLE_1)
	s_add_u32 s4, s16, s4
	s_addc_u32 s5, s25, s5
	s_add_u32 s6, s22, s15
	s_addc_u32 s7, s23, s18
	s_waitcnt vmcnt(1)
	v_mad_i64_i32 v[3:4], null, v5, s17, v[1:2]
	s_waitcnt vmcnt(0)
	v_mad_i64_i32 v[5:6], null, v7, s17, v[1:2]
	v_mul_lo_u16 v1, 0x56, v68
	v_lshlrev_b32_e32 v2, 4, v68
	s_clause 0xf
	global_load_b128 v[17:20], v[3:4], off
	global_load_b128 v[21:24], v[3:4], off offset:256
	global_load_b128 v[25:28], v[5:6], off
	global_load_b128 v[29:32], v[5:6], off offset:256
	global_load_b128 v[57:60], v[3:4], off offset:512
	;; [unrolled: 1-line block ×13, first 2 shown]
	v_lshrrev_b16 v1, 8, v1
	s_delay_alu instid0(VALU_DEP_1) | instskip(NEXT) | instid1(VALU_DEP_1)
	v_mul_lo_u16 v1, v1, 3
	v_sub_nc_u16 v1, v68, v1
	s_delay_alu instid0(VALU_DEP_1) | instskip(NEXT) | instid1(VALU_DEP_1)
	v_and_b32_e32 v1, 0xff, v1
	v_lshlrev_b32_e32 v149, 6, v1
	v_lshl_or_b32 v1, v69, 8, v2
	ds_load_b128 v[119:122], v149
	ds_load_b128 v[123:126], v149 offset:1024
	ds_load_b128 v[127:130], v149 offset:2048
	;; [unrolled: 1-line block ×3, first 2 shown]
	s_clause 0x1
	s_load_b32 s2, s[2:3], 0x0
	s_load_b32 s3, s[4:5], 0x0
	v_add_co_u32 v135, s6, s6, v1
	s_delay_alu instid0(VALU_DEP_1) | instskip(SKIP_1) | instid1(VALU_DEP_1)
	v_add_co_ci_u32_e64 v136, null, s7, 0, s6
	s_waitcnt lgkmcnt(0)
	v_mad_i64_i32 v[1:2], null, s26, s17, v[135:136]
	v_mad_i64_i32 v[3:4], null, s27, s17, v[135:136]
	;; [unrolled: 1-line block ×6, first 2 shown]
	s_clause 0x9
	global_load_b128 v[49:52], v[1:2], off
	global_load_b128 v[53:56], v[1:2], off offset:16
	global_load_b128 v[41:44], v[3:4], off
	global_load_b128 v[45:48], v[3:4], off offset:16
	;; [unrolled: 2-line block ×5, first 2 shown]
	v_mad_i64_i32 v[145:146], null, s2, s17, v[135:136]
	v_mad_i64_i32 v[147:148], null, s3, s17, v[135:136]
	s_waitcnt vmcnt(24)
	v_wmma_f32_16x16x16_f16 v[135:142], v[17:24], v[119:126], v[111:118]
	s_waitcnt vmcnt(22)
	v_wmma_f32_16x16x16_f16 v[111:118], v[25:32], v[119:126], v[111:118]
	s_clause 0x3
	global_load_b128 v[17:20], v[143:144], off
	global_load_b128 v[21:24], v[143:144], off offset:16
	global_load_b128 v[25:28], v[145:146], off
	global_load_b128 v[29:32], v[145:146], off offset:16
	v_and_b32_e32 v119, 0xe0, v0
	s_waitcnt vmcnt(24)
	v_wmma_f32_16x16x16_f16 v[135:142], v[57:64], v[127:134], v[135:142]
	s_clause 0x1
	global_load_b128 v[57:60], v[147:148], off
	global_load_b128 v[61:64], v[147:148], off offset:16
	s_waitcnt vmcnt(24)
	v_wmma_f32_16x16x16_f16 v[111:118], v[71:78], v[127:134], v[111:118]
	ds_load_b128 v[71:74], v149 offset:4096
	ds_load_b128 v[75:78], v149 offset:5120
	v_add_nc_u32_e32 v128, s12, v119
	ds_load_b128 v[119:122], v149 offset:6144
	ds_load_b128 v[123:126], v149 offset:7168
	v_mbcnt_lo_u32_b32 v127, -1, 0
	s_waitcnt vmcnt(0) lgkmcnt(0)
	s_barrier
	v_or_b32_e32 v128, v128, v66
	buffer_gl0_inv
	v_xor_b32_e32 v129, 16, v127
	v_or_b32_e32 v130, 4, v128
	v_or_b32_e32 v131, 6, v128
	s_delay_alu instid0(VALU_DEP_3) | instskip(SKIP_4) | instid1(VALU_DEP_4)
	v_cmp_gt_i32_e32 vcc_lo, 32, v129
	v_or_b32_e32 v132, 8, v128
	v_or_b32_e32 v133, 10, v128
	v_cmp_gt_i32_e64 s3, s24, v130
	v_cmp_gt_i32_e64 s4, s24, v131
	;; [unrolled: 1-line block ×3, first 2 shown]
	v_wmma_f32_16x16x16_f16 v[135:142], v[79:86], v[71:78], v[135:142]
	v_wmma_f32_16x16x16_f16 v[111:118], v[87:94], v[71:78], v[111:118]
	v_or_b32_e32 v79, 12, v128
	v_or_b32_e32 v80, 14, v128
	v_cmp_gt_i32_e64 s6, s24, v133
	v_wmma_f32_16x16x16_f16 v[135:142], v[95:102], v[119:126], v[135:142]
	v_wmma_f32_16x16x16_f16 v[111:118], v[103:110], v[119:126], v[111:118]
	v_cndmask_b32_e32 v127, v127, v129, vcc_lo
	v_or_b32_e32 v129, 2, v128
	v_cmp_gt_i32_e32 vcc_lo, s24, v128
	s_delay_alu instid0(VALU_DEP_4) | instskip(SKIP_1) | instid1(VALU_DEP_4)
	v_dual_mul_f32 v87, s19, v136 :: v_dual_mul_f32 v94, s19, v113
	v_mul_f32_e32 v88, s19, v135
	v_cmp_gt_i32_e64 s2, s24, v129
	v_mul_f32_e32 v78, s19, v138
	v_mul_f32_e32 v86, s19, v137
	v_mul_f32_e32 v76, s19, v140
	v_cndmask_b32_e32 v88, 0xff7fffff, v88, vcc_lo
	v_cndmask_b32_e64 v87, 0xff7fffff, v87, s2
	v_dual_mul_f32 v77, s19, v139 :: v_dual_mul_f32 v90, s19, v117
	v_cndmask_b32_e64 v86, 0xff7fffff, v86, s3
	v_cndmask_b32_e64 v78, 0xff7fffff, v78, s4
	s_delay_alu instid0(VALU_DEP_4)
	v_max3_f32 v87, v88, 0xff7fffff, v87
	v_or_b32_e32 v81, 16, v128
	v_or_b32_e32 v82, 18, v128
	v_dual_mul_f32 v74, s19, v142 :: v_dual_mul_f32 v75, s19, v141
	v_mul_f32_e32 v96, s19, v111
	v_cndmask_b32_e64 v77, 0xff7fffff, v77, s5
	v_cndmask_b32_e64 v76, 0xff7fffff, v76, s6
	v_max3_f32 v78, v87, v86, v78
	v_cmp_gt_i32_e64 s7, s24, v79
	v_cmp_gt_i32_e64 s8, s24, v80
	v_or_b32_e32 v83, 20, v128
	v_or_b32_e32 v84, 22, v128
	v_mul_f32_e32 v95, s19, v112
	v_cndmask_b32_e64 v75, 0xff7fffff, v75, s7
	v_cndmask_b32_e64 v74, 0xff7fffff, v74, s8
	v_max3_f32 v76, v78, v77, v76
	v_cmp_gt_i32_e64 s9, s24, v81
	v_cmp_gt_i32_e64 s10, s24, v82
	v_or_b32_e32 v85, 24, v128
	v_or_b32_e32 v71, 26, v128
	;; [unrolled: 8-line block ×3, first 2 shown]
	v_dual_mul_f32 v91, s19, v116 :: v_dual_mul_f32 v92, s19, v115
	v_cndmask_b32_e64 v75, 0xff7fffff, v94, s11
	v_cndmask_b32_e64 v76, 0xff7fffff, v93, s12
	v_max3_f32 v74, v74, v77, v78
	v_cmp_gt_i32_e64 s13, s24, v85
	v_cmp_gt_i32_e64 s15, s24, v71
	v_mul_f32_e32 v89, s19, v118
	v_cmp_gt_i32_e64 s16, s24, v72
	v_max3_f32 v74, v74, v75, v76
	v_cndmask_b32_e64 v77, 0xff7fffff, v92, s13
	v_cndmask_b32_e64 v71, 0xff7fffff, v91, s15
	v_cmp_gt_i32_e64 s17, s24, v73
	v_cndmask_b32_e64 v72, 0xff7fffff, v90, s16
	s_delay_alu instid0(VALU_DEP_3) | instskip(SKIP_1) | instid1(VALU_DEP_4)
	v_max3_f32 v71, v74, v77, v71
	v_lshlrev_b32_e32 v74, 2, v127
	v_cndmask_b32_e64 v73, 0xff7fffff, v89, s17
	s_delay_alu instid0(VALU_DEP_1) | instskip(SKIP_3) | instid1(VALU_DEP_1)
	v_max3_f32 v71, v71, v72, v73
	ds_bpermute_b32 v72, v74, v71
	s_waitcnt lgkmcnt(0)
	v_max_f32_e32 v72, v72, v72
	v_max_f32_e32 v71, v71, v72
	s_delay_alu instid0(VALU_DEP_1) | instskip(SKIP_4) | instid1(VALU_DEP_4)
	v_fma_f32 v72, s19, v135, -v71
	v_fma_f32 v73, s19, v136, -v71
	;; [unrolled: 1-line block ×5, first 2 shown]
	v_dual_mul_f32 v72, 0x3fb8aa3b, v72 :: v_dual_mul_f32 v73, 0x3fb8aa3b, v73
	s_delay_alu instid0(VALU_DEP_3) | instskip(SKIP_1) | instid1(VALU_DEP_3)
	v_dual_mul_f32 v75, 0x3fb8aa3b, v75 :: v_dual_mul_f32 v76, 0x3fb8aa3b, v76
	v_fma_f32 v80, s19, v141, -v71
	v_exp_f32_e32 v72, v72
	s_delay_alu instid0(VALU_DEP_3) | instskip(NEXT) | instid1(VALU_DEP_2)
	v_exp_f32_e32 v73, v73
	v_exp_f32_e32 v75, v75
	;; [unrolled: 1-line block ×3, first 2 shown]
	v_mul_f32_e32 v82, 0x3fb8aa3b, v80
	s_delay_alu instid0(VALU_DEP_1) | instskip(SKIP_4) | instid1(TRANS32_DEP_3)
	v_exp_f32_e32 v84, v82
	v_cndmask_b32_e32 v79, 0, v72, vcc_lo
	v_fma_f32 v72, s19, v140, -v71
	v_mul_f32_e32 v77, 0x3fb8aa3b, v77
	v_cndmask_b32_e64 v78, 0, v73, s2
	v_cndmask_b32_e64 v81, 0, v75, s3
	s_delay_alu instid0(VALU_DEP_4) | instskip(NEXT) | instid1(VALU_DEP_4)
	v_dual_add_f32 v73, 0, v79 :: v_dual_mul_f32 v72, 0x3fb8aa3b, v72
	v_exp_f32_e32 v77, v77
	v_cndmask_b32_e64 v80, 0, v76, s4
	s_delay_alu instid0(TRANS32_DEP_2) | instskip(NEXT) | instid1(VALU_DEP_3)
	v_cndmask_b32_e64 v85, 0, v84, s7
	v_add_f32_e32 v73, v73, v78
	v_exp_f32_e32 v72, v72
	v_cmp_gt_u32_e64 s2, 16, v70
	s_delay_alu instid0(VALU_DEP_2) | instskip(NEXT) | instid1(TRANS32_DEP_2)
	v_add_f32_e32 v73, v73, v81
	v_cndmask_b32_e64 v83, 0, v77, s5
	s_delay_alu instid0(VALU_DEP_2) | instskip(SKIP_3) | instid1(VALU_DEP_1)
	v_add_f32_e32 v73, v73, v80
	s_waitcnt_depctr 0xfff
	v_cndmask_b32_e64 v82, 0, v72, s6
	v_add_f32_e32 v72, v73, v83
	v_add_f32_e32 v72, v72, v82
	s_delay_alu instid0(VALU_DEP_1)
	v_add_f32_e32 v72, v72, v85
	v_fma_f32 v76, s19, v111, -v71
	v_fma_f32 v75, s19, v142, -v71
	;; [unrolled: 1-line block ×5, first 2 shown]
	s_delay_alu instid0(VALU_DEP_4) | instskip(NEXT) | instid1(VALU_DEP_3)
	v_dual_mul_f32 v76, 0x3fb8aa3b, v76 :: v_dual_mul_f32 v75, 0x3fb8aa3b, v75
	v_mul_f32_e32 v86, 0x3fb8aa3b, v86
	s_delay_alu instid0(VALU_DEP_2) | instskip(NEXT) | instid1(VALU_DEP_2)
	v_exp_f32_e32 v76, v76
	v_exp_f32_e32 v75, v75
	s_delay_alu instid0(VALU_DEP_1) | instskip(NEXT) | instid1(TRANS32_DEP_3)
	v_exp_f32_e32 v88, v86
	v_cndmask_b32_e64 v87, 0, v76, s9
	v_fma_f32 v76, s19, v116, -v71
	v_mul_f32_e32 v77, 0x3fb8aa3b, v77
	s_waitcnt_depctr 0xfff
	v_cndmask_b32_e64 v84, 0, v75, s8
	v_fma_f32 v75, s19, v115, -v71
	v_cndmask_b32_e64 v88, 0, v88, s12
	v_mul_f32_e32 v76, 0x3fb8aa3b, v76
	v_exp_f32_e32 v77, v77
	v_add_f32_e32 v72, v72, v84
	s_delay_alu instid0(VALU_DEP_2) | instskip(NEXT) | instid1(VALU_DEP_1)
	v_exp_f32_e32 v76, v76
	v_add_f32_e32 v72, v72, v87
	s_waitcnt_depctr 0xfff
	v_cndmask_b32_e64 v86, 0, v77, s10
	v_mul_f32_e32 v73, 0x3fb8aa3b, v73
	v_fma_f32 v77, s19, v117, -v71
	v_cndmask_b32_e64 v90, 0, v76, s15
	s_delay_alu instid0(VALU_DEP_4) | instskip(NEXT) | instid1(VALU_DEP_4)
	v_add_f32_e32 v72, v72, v86
	v_exp_f32_e32 v73, v73
	s_waitcnt_depctr 0xfff
	v_cndmask_b32_e64 v89, 0, v73, s11
	s_delay_alu instid0(VALU_DEP_1) | instskip(NEXT) | instid1(VALU_DEP_1)
	v_dual_mul_f32 v75, 0x3fb8aa3b, v75 :: v_dual_add_f32 v72, v72, v89
	v_exp_f32_e32 v75, v75
	v_mul_f32_e32 v73, 0x3fb8aa3b, v77
	v_fma_f32 v77, s19, v118, -v71
	s_delay_alu instid0(VALU_DEP_3) | instskip(NEXT) | instid1(VALU_DEP_3)
	v_add_f32_e32 v72, v72, v88
	v_exp_f32_e32 v73, v73
	s_waitcnt_depctr 0xfff
	v_cndmask_b32_e64 v91, 0, v75, s13
	s_delay_alu instid0(VALU_DEP_1) | instskip(NEXT) | instid1(VALU_DEP_1)
	v_dual_mul_f32 v75, 0x3fb8aa3b, v77 :: v_dual_add_f32 v72, v72, v91
	v_exp_f32_e32 v75, v75
	v_cndmask_b32_e64 v93, 0, v73, s16
	s_delay_alu instid0(VALU_DEP_2) | instskip(NEXT) | instid1(VALU_DEP_1)
	v_add_f32_e32 v72, v72, v90
	v_add_f32_e32 v72, v72, v93
	s_waitcnt_depctr 0xfff
	v_cndmask_b32_e64 v92, 0, v75, s17
	s_delay_alu instid0(VALU_DEP_1)
	v_add_f32_e32 v72, v72, v92
	ds_bpermute_b32 v73, v74, v72
	s_and_saveexec_b32 s3, s2
	s_cbranch_execz .LBB1280_12
; %bb.11:
	v_mul_u32_u24_e32 v70, 0x44, v69
	s_waitcnt lgkmcnt(0)
	v_add_f32_e32 v72, v72, v73
	s_delay_alu instid0(VALU_DEP_2) | instskip(NEXT) | instid1(VALU_DEP_1)
	v_lshl_add_u32 v70, v68, 2, v70
	v_add_nc_u32_e32 v70, 0x4000, v70
	ds_store_2addr_b32 v70, v71, v72 offset1:136
.LBB1280_12:
	s_or_b32 exec_lo, exec_lo, s3
	v_lshlrev_b32_e32 v70, 2, v68
	s_load_b32 s35, s[0:1], 0x94
	s_waitcnt lgkmcnt(0)
	s_barrier
	buffer_gl0_inv
	v_add_nc_u32_e32 v98, 0x4000, v70
	v_cmp_eq_u32_e32 vcc_lo, 1, v69
	v_cmp_eq_u32_e64 s3, 2, v69
	v_cmp_eq_u32_e64 s4, 3, v69
	;; [unrolled: 1-line block ×3, first 2 shown]
	ds_load_2addr_b32 v[70:71], v98 offset1:17
	ds_load_2addr_b32 v[72:73], v98 offset0:34 offset1:51
	ds_load_2addr_b32 v[74:75], v98 offset0:68 offset1:85
	;; [unrolled: 1-line block ×3, first 2 shown]
	v_cmp_eq_u32_e64 s6, 5, v69
	v_cmp_eq_u32_e64 s7, 7, v69
	s_waitcnt lgkmcnt(3)
	v_max3_f32 v76, v70, 0xff7fffff, v71
	s_waitcnt lgkmcnt(2)
	s_delay_alu instid0(VALU_DEP_1) | instskip(SKIP_1) | instid1(VALU_DEP_1)
	v_max3_f32 v76, v76, v72, v73
	s_waitcnt lgkmcnt(1)
	v_max3_f32 v76, v76, v74, v75
	s_waitcnt lgkmcnt(0)
	s_delay_alu instid0(VALU_DEP_1) | instskip(NEXT) | instid1(VALU_DEP_1)
	v_max3_f32 v76, v76, v94, v95
	v_sub_f32_e32 v77, v71, v76
	ds_load_2addr_b32 v[96:97], v98 offset0:136 offset1:153
	v_sub_f32_e32 v74, v74, v76
	v_sub_f32_e32 v70, v70, v76
	v_sub_f32_e32 v94, v94, v76
	v_dual_sub_f32 v72, v72, v76 :: v_dual_mul_f32 v77, 0x3fb8aa3b, v77
	s_delay_alu instid0(VALU_DEP_4) | instskip(NEXT) | instid1(VALU_DEP_4)
	v_mul_f32_e32 v103, 0x3fb8aa3b, v74
	v_mul_f32_e32 v99, 0x3fb8aa3b, v70
	ds_load_2addr_b32 v[70:71], v98 offset0:170 offset1:187
	v_dual_mul_f32 v101, 0x3fb8aa3b, v72 :: v_dual_mul_f32 v94, 0x3fb8aa3b, v94
	v_exp_f32_e32 v102, v77
	v_exp_f32_e32 v99, v99
	s_delay_alu instid0(VALU_DEP_1) | instskip(NEXT) | instid1(VALU_DEP_1)
	v_exp_f32_e32 v101, v101
	v_exp_f32_e32 v94, v94
	s_waitcnt lgkmcnt(1)
	s_delay_alu instid0(TRANS32_DEP_3)
	v_fma_f32 v77, v99, v96, 0
	v_sub_f32_e32 v100, v73, v76
	ds_load_2addr_b32 v[72:73], v98 offset0:204 offset1:221
	v_fmac_f32_e32 v77, v102, v97
	v_exp_f32_e32 v97, v103
	s_waitcnt lgkmcnt(1)
	s_delay_alu instid0(VALU_DEP_1)
	v_dual_fmac_f32 v77, v101, v70 :: v_dual_sub_f32 v96, v75, v76
	ds_load_2addr_b32 v[74:75], v98 offset0:238 offset1:255
	v_sub_f32_e32 v70, v95, v76
	s_waitcnt lgkmcnt(0)
	s_barrier
	v_mul_f32_e32 v96, 0x3fb8aa3b, v96
	buffer_gl0_inv
	v_exp_f32_e32 v95, v96
	v_mul_f32_e32 v100, 0x3fb8aa3b, v100
	s_delay_alu instid0(VALU_DEP_1) | instskip(SKIP_3) | instid1(VALU_DEP_2)
	v_exp_f32_e32 v100, v100
	s_waitcnt_depctr 0xfff
	v_dual_fmac_f32 v77, v100, v71 :: v_dual_mul_f32 v70, 0x3fb8aa3b, v70
	v_cndmask_b32_e32 v71, v99, v102, vcc_lo
	v_fmac_f32_e32 v77, v97, v72
	s_delay_alu instid0(VALU_DEP_3) | instskip(NEXT) | instid1(VALU_DEP_1)
	v_exp_f32_e32 v96, v70
	v_fmac_f32_e32 v77, v95, v73
	s_delay_alu instid0(VALU_DEP_1) | instskip(SKIP_2) | instid1(VALU_DEP_1)
	v_fmac_f32_e32 v77, v94, v74
	s_waitcnt_depctr 0xfff
	v_fmac_f32_e32 v77, v96, v75
	v_add_f32_e32 v74, 0x358637bd, v77
	s_delay_alu instid0(VALU_DEP_1) | instskip(SKIP_1) | instid1(VALU_DEP_2)
	v_div_scale_f32 v98, null, v74, v74, 1.0
	v_div_scale_f32 v99, vcc_lo, 1.0, v74, 1.0
	v_rcp_f32_e32 v103, v98
	s_waitcnt_depctr 0xfff
	v_fma_f32 v70, -v98, v103, 1.0
	s_delay_alu instid0(VALU_DEP_1) | instskip(SKIP_2) | instid1(VALU_DEP_2)
	v_fmac_f32_e32 v103, v70, v103
	v_cndmask_b32_e64 v70, v71, v101, s3
	v_cmp_eq_u32_e64 s3, 6, v69
	v_cndmask_b32_e64 v71, v70, v100, s4
	s_delay_alu instid0(VALU_DEP_4) | instskip(NEXT) | instid1(VALU_DEP_2)
	v_dual_mul_f32 v101, v99, v103 :: v_dual_lshlrev_b32 v70, 2, v66
	v_cndmask_b32_e64 v71, v71, v97, s5
	s_delay_alu instid0(VALU_DEP_2) | instskip(NEXT) | instid1(VALU_DEP_3)
	v_or_b32_e32 v72, 1, v70
	v_fma_f32 v100, -v98, v101, v99
	v_cmp_eq_u32_e64 s4, 1, v70
	v_cmp_eq_u32_e64 s5, 2, v70
	v_cndmask_b32_e64 v95, v71, v95, s6
	v_or_b32_e32 v71, 3, v70
	v_fmac_f32_e32 v101, v100, v103
	v_cmp_eq_u32_e64 s9, 1, v72
	v_cmp_eq_u32_e64 s12, 2, v72
	v_cndmask_b32_e64 v94, v95, v94, s3
	v_cmp_eq_u32_e64 s11, 1, v71
	v_fma_f32 v97, -v98, v101, v99
	v_cmp_eq_u32_e64 s16, 2, v71
	v_cmp_eq_u32_e64 s13, 3, v72
	v_cndmask_b32_e64 v94, v94, v96, s7
	v_cmp_eq_u32_e64 s18, 3, v71
	v_div_fmas_f32 v95, v97, v103, v101
	v_cmp_eq_u32_e32 vcc_lo, 3, v70
	v_cmp_eq_u32_e64 s3, 4, v70
	v_cmp_eq_u32_e64 s19, 4, v72
	;; [unrolled: 1-line block ×3, first 2 shown]
	v_div_fixup_f32 v95, v95, v74, 1.0
	v_lshlrev_b32_e32 v73, 6, v68
	v_cmp_eq_u32_e64 s6, 5, v70
	v_cmp_eq_u32_e64 s20, 5, v72
	;; [unrolled: 1-line block ×3, first 2 shown]
	v_mul_f32_e32 v102, v94, v95
	v_lshl_or_b32 v75, v69, 11, v73
	v_or_b32_e32 v69, 2, v70
	v_cmp_eq_u32_e64 s25, 6, v72
	v_cmp_eq_u32_e64 s27, 6, v71
	v_fma_mixlo_f16 v94, v102, v79, 0
	v_fma_mixlo_f16 v95, v102, v81, 0
	;; [unrolled: 1-line block ×8, first 2 shown]
	v_lshl_or_b32 v74, v66, 4, v75
	v_fma_mixhi_f16 v94, v102, v78, 0
	v_fma_mixhi_f16 v95, v102, v80, 0
	;; [unrolled: 1-line block ×8, first 2 shown]
	ds_store_b128 v74, v[94:97]
	ds_store_b128 v74, v[98:101] offset:1024
	s_waitcnt lgkmcnt(0)
	s_barrier
	buffer_gl0_inv
	ds_load_b128 v[78:81], v75
	ds_load_b128 v[82:85], v75 offset:16
	ds_load_b128 v[86:89], v75 offset:1024
	;; [unrolled: 1-line block ×3, first 2 shown]
	v_cmp_eq_u32_e64 s10, 1, v69
	v_cmp_eq_u32_e64 s15, 2, v69
	;; [unrolled: 1-line block ×11, first 2 shown]
	s_waitcnt lgkmcnt(3)
	v_lshrrev_b32_e32 v94, 16, v78
	s_waitcnt lgkmcnt(2)
	v_lshrrev_b32_e32 v98, 16, v82
	;; [unrolled: 2-line block ×4, first 2 shown]
	v_lshrrev_b32_e32 v95, 16, v79
	v_cndmask_b32_e64 v110, v78, v94, s4
	v_cndmask_b32_e64 v111, v82, v98, s4
	;; [unrolled: 1-line block ×8, first 2 shown]
	v_lshrrev_b32_e32 v99, 16, v83
	v_cndmask_b32_e64 v94, v86, v102, s4
	v_cndmask_b32_e64 v98, v90, v106, s4
	;; [unrolled: 1-line block ×15, first 2 shown]
	v_lshrrev_b32_e32 v103, 16, v87
	v_lshrrev_b32_e32 v107, 16, v91
	v_cndmask_b32_e64 v113, v115, v83, s15
	v_cndmask_b32_e64 v82, v94, v87, s5
	;; [unrolled: 1-line block ×7, first 2 shown]
	v_cndmask_b32_e32 v90, v102, v95, vcc_lo
	v_cndmask_b32_e32 v102, v106, v99, vcc_lo
	v_cndmask_b32_e64 v106, v110, v95, s13
	v_cndmask_b32_e64 v110, v111, v99, s13
	;; [unrolled: 1-line block ×4, first 2 shown]
	v_lshrrev_b32_e32 v96, 16, v80
	v_lshrrev_b32_e32 v100, 16, v84
	v_cndmask_b32_e64 v111, v112, v95, s17
	v_cndmask_b32_e64 v112, v113, v99, s17
	v_cndmask_b32_e32 v82, v82, v103, vcc_lo
	v_cndmask_b32_e32 v83, v83, v107, vcc_lo
	v_cndmask_b32_e64 v94, v94, v103, s13
	v_cndmask_b32_e64 v90, v90, v80, s3
	;; [unrolled: 1-line block ×7, first 2 shown]
	v_lshrrev_b32_e32 v104, 16, v88
	v_cndmask_b32_e64 v106, v111, v80, s21
	v_cndmask_b32_e64 v110, v112, v84, s21
	;; [unrolled: 1-line block ×11, first 2 shown]
	v_lshrrev_b32_e32 v97, 16, v81
	v_lshrrev_b32_e32 v101, 16, v85
	v_cndmask_b32_e64 v99, v106, v96, s23
	v_cndmask_b32_e64 v102, v110, v100, s23
	;; [unrolled: 1-line block ×7, first 2 shown]
	v_lshrrev_b32_e32 v105, 16, v89
	v_cndmask_b32_e64 v80, v80, v104, s6
	v_cndmask_b32_e64 v84, v84, v81, s7
	;; [unrolled: 1-line block ×16, first 2 shown]
	v_perm_b32 v81, v79, v78, 0x5040100
	v_perm_b32 v79, v95, v85, 0x5040100
	v_cndmask_b32_e64 v78, v119, v91, s15
	v_cndmask_b32_e64 v85, v117, v91, s12
	;; [unrolled: 1-line block ×3, first 2 shown]
	v_perm_b32 v80, v94, v90, 0x5040100
	v_cndmask_b32_e64 v90, v98, v103, s17
	v_cndmask_b32_e64 v86, v86, v103, s18
	;; [unrolled: 1-line block ×5, first 2 shown]
	v_lshrrev_b32_e32 v108, 16, v92
	v_cndmask_b32_e64 v90, v90, v88, s21
	v_cndmask_b32_e64 v86, v86, v88, s22
	;; [unrolled: 1-line block ×11, first 2 shown]
	v_lshrrev_b32_e32 v109, 16, v93
	v_cndmask_b32_e64 v82, v82, v93, s7
	v_cndmask_b32_e64 v88, v88, v89, s26
	;; [unrolled: 1-line block ×12, first 2 shown]
	v_perm_b32 v78, v84, v83, 0x5040100
	v_perm_b32 v85, v87, v86, 0x5040100
	;; [unrolled: 1-line block ×5, first 2 shown]
	s_mul_i32 s8, s33, 3
	s_mov_b32 s3, exec_lo
	ds_store_b128 v74, v[78:81]
	ds_store_b128 v74, v[82:85] offset:1024
	v_cmpx_gt_u32_e32 3, v0
	s_cbranch_execz .LBB1280_14
; %bb.13:
	s_mul_i32 s4, s8, s34
	s_delay_alu instid0(SALU_CYCLE_1) | instskip(SKIP_1) | instid1(VALU_DEP_1)
	v_add3_u32 v68, s4, s31, v68
	s_load_b128 s[4:7], s[0:1], 0x58
	v_mad_u64_u32 v[78:79], null, v68, s35, s[14:15]
	s_delay_alu instid0(VALU_DEP_1) | instskip(NEXT) | instid1(VALU_DEP_1)
	v_ashrrev_i32_e32 v79, 31, v78
	v_lshlrev_b64 v[78:79], 2, v[78:79]
	s_waitcnt lgkmcnt(0)
	s_delay_alu instid0(VALU_DEP_1) | instskip(NEXT) | instid1(VALU_DEP_2)
	v_add_co_u32 v80, vcc_lo, s6, v78
	v_add_co_ci_u32_e32 v81, vcc_lo, s7, v79, vcc_lo
	v_add_co_u32 v78, vcc_lo, s4, v78
	v_add_co_ci_u32_e32 v79, vcc_lo, s5, v79, vcc_lo
	global_store_b32 v[80:81], v76, off
	global_store_b32 v[78:79], v77, off
.LBB1280_14:
	s_or_b32 exec_lo, exec_lo, s3
	s_waitcnt lgkmcnt(0)
	s_waitcnt_vscnt null, 0x0
	s_barrier
	buffer_gl0_inv
	ds_load_b128 v[84:87], v73
	ds_load_b128 v[88:91], v73 offset:16
	ds_load_b128 v[96:99], v73 offset:2064
	;; [unrolled: 1-line block ×5, first 2 shown]
	v_cmp_eq_u32_e32 vcc_lo, 1, v70
	v_mov_b32_e32 v76, 0
	ds_load_b128 v[112:115], v73 offset:6160
	ds_load_b128 v[108:111], v73 offset:6144
	;; [unrolled: 1-line block ×4, first 2 shown]
	v_cmp_eq_u32_e64 s4, 1, v69
	v_cmp_eq_u32_e64 s3, 1, v72
	;; [unrolled: 1-line block ×3, first 2 shown]
	v_mov_b32_e32 v77, v76
	v_mov_b32_e32 v78, v76
	;; [unrolled: 1-line block ×7, first 2 shown]
	v_cmp_eq_u32_e64 s6, 3, v72
	v_cmp_eq_u32_e64 s7, 7, v72
	s_waitcnt lgkmcnt(8)
	s_delay_alu instid0(VALU_DEP_3)
	v_wmma_f32_16x16x16_f16 v[76:83], v[49:56], v[84:91], v[76:83]
	ds_load_b128 v[53:56], v73 offset:10256
	ds_load_b128 v[49:52], v73 offset:10240
	s_waitcnt lgkmcnt(8)
	v_wmma_f32_16x16x16_f16 v[76:83], v[41:48], v[92:99], v[76:83]
	ds_load_b128 v[45:48], v73 offset:12304
	ds_load_b128 v[41:44], v73 offset:12288
	s_waitcnt lgkmcnt(8)
	;; [unrolled: 4-line block ×3, first 2 shown]
	s_barrier
	buffer_gl0_inv
	v_wmma_f32_16x16x16_f16 v[76:83], v[1:8], v[108:115], v[76:83]
	s_delay_alu instid0(VALU_DEP_1) | instskip(NEXT) | instid1(VALU_DEP_1)
	v_wmma_f32_16x16x16_f16 v[76:83], v[9:16], v[116:123], v[76:83]
	v_wmma_f32_16x16x16_f16 v[76:83], v[17:24], v[49:56], v[76:83]
	s_delay_alu instid0(VALU_DEP_1) | instskip(NEXT) | instid1(VALU_DEP_1)
	v_wmma_f32_16x16x16_f16 v[76:83], v[25:32], v[41:48], v[76:83]
	v_wmma_f32_16x16x16_f16 v[76:83], v[57:64], v[33:40], v[76:83]
	s_delay_alu instid0(VALU_DEP_1) | instskip(NEXT) | instid1(VALU_DEP_2)
	v_cvt_f16_f32_e32 v1, v76
	v_cvt_f16_f32_e32 v2, v77
	s_delay_alu instid0(VALU_DEP_3) | instskip(NEXT) | instid1(VALU_DEP_4)
	v_cvt_f16_f32_e32 v3, v78
	v_cvt_f16_f32_e32 v4, v79
	;; [unrolled: 1-line block ×6, first 2 shown]
	v_pack_b32_f16 v1, v1, v2
	v_pack_b32_f16 v2, v3, v4
	;; [unrolled: 1-line block ×3, first 2 shown]
	s_delay_alu instid0(VALU_DEP_4)
	v_pack_b32_f16 v4, v7, v8
	ds_store_b128 v74, v[1:4]
	s_waitcnt lgkmcnt(0)
	s_barrier
	buffer_gl0_inv
	ds_load_b128 v[1:4], v75
	ds_load_b128 v[5:8], v75 offset:16
	s_waitcnt lgkmcnt(1)
	v_lshrrev_b32_e32 v9, 16, v1
	s_waitcnt lgkmcnt(0)
	v_lshrrev_b32_e32 v13, 16, v5
	v_lshrrev_b32_e32 v10, 16, v2
	;; [unrolled: 1-line block ×4, first 2 shown]
	v_cndmask_b32_e32 v17, v1, v9, vcc_lo
	v_cndmask_b32_e32 v18, v5, v13, vcc_lo
	v_cndmask_b32_e64 v21, v1, v9, s4
	v_cmp_eq_u32_e32 vcc_lo, 1, v71
	v_cndmask_b32_e64 v22, v5, v13, s4
	v_cmp_eq_u32_e64 s4, 2, v70
	v_cndmask_b32_e64 v19, v1, v9, s3
	v_cndmask_b32_e64 v20, v5, v13, s3
	v_cndmask_b32_e32 v1, v1, v9, vcc_lo
	v_cmp_eq_u32_e64 s3, 2, v71
	v_cndmask_b32_e32 v5, v5, v13, vcc_lo
	v_cndmask_b32_e64 v9, v17, v2, s4
	v_cmp_eq_u32_e32 vcc_lo, 3, v70
	v_cndmask_b32_e64 v13, v18, v6, s4
	v_cmp_eq_u32_e64 s4, 2, v69
	v_cndmask_b32_e64 v17, v19, v2, s5
	v_cndmask_b32_e64 v18, v20, v6, s5
	v_cmp_eq_u32_e64 s5, 3, v69
	v_cndmask_b32_e64 v1, v1, v2, s3
	v_cndmask_b32_e64 v19, v21, v2, s4
	;; [unrolled: 1-line block ×4, first 2 shown]
	v_cndmask_b32_e32 v5, v9, v10, vcc_lo
	v_cndmask_b32_e32 v6, v13, v14, vcc_lo
	v_cmp_eq_u32_e32 vcc_lo, 3, v71
	v_cndmask_b32_e64 v9, v17, v10, s6
	v_cndmask_b32_e64 v13, v18, v14, s6
	;; [unrolled: 1-line block ×3, first 2 shown]
	v_cmp_eq_u32_e64 s4, 4, v70
	v_cndmask_b32_e32 v1, v1, v10, vcc_lo
	v_cndmask_b32_e32 v2, v2, v14, vcc_lo
	v_cmp_eq_u32_e32 vcc_lo, 4, v72
	v_lshrrev_b32_e32 v15, 16, v7
	v_lshrrev_b32_e32 v16, 16, v8
	v_cndmask_b32_e64 v17, v19, v10, s5
	v_cmp_eq_u32_e64 s3, 4, v71
	v_cndmask_b32_e64 v5, v5, v3, s4
	v_cndmask_b32_e64 v6, v6, v7, s4
	v_cndmask_b32_e32 v9, v9, v3, vcc_lo
	v_cmp_eq_u32_e64 s4, 5, v72
	v_cndmask_b32_e32 v10, v13, v7, vcc_lo
	v_cmp_eq_u32_e32 vcc_lo, 4, v69
	v_cmp_eq_u32_e64 s5, 5, v70
	v_cndmask_b32_e64 v2, v2, v7, s3
	v_cndmask_b32_e64 v9, v9, v11, s4
	;; [unrolled: 1-line block ×3, first 2 shown]
	v_cndmask_b32_e32 v13, v17, v3, vcc_lo
	v_cmp_eq_u32_e64 s4, 5, v69
	v_cndmask_b32_e32 v14, v18, v7, vcc_lo
	v_cndmask_b32_e64 v1, v1, v3, s3
	v_cmp_eq_u32_e32 vcc_lo, 5, v71
	v_lshrrev_b32_e32 v12, 16, v4
	v_cndmask_b32_e64 v13, v13, v11, s4
	v_cndmask_b32_e64 v3, v14, v15, s4
	v_cmp_eq_u32_e64 s4, 6, v71
	v_cndmask_b32_e32 v1, v1, v11, vcc_lo
	v_cndmask_b32_e64 v5, v5, v11, s5
	v_cmp_eq_u32_e64 s6, 6, v70
	v_cndmask_b32_e64 v6, v6, v15, s5
	v_cmp_eq_u32_e64 s5, 6, v72
	v_cmp_eq_u32_e64 s3, 6, v69
	v_cndmask_b32_e64 v1, v1, v4, s4
	v_cndmask_b32_e32 v2, v2, v15, vcc_lo
	v_cmp_eq_u32_e32 vcc_lo, 7, v71
	v_cndmask_b32_e64 v5, v5, v4, s6
	v_cndmask_b32_e64 v9, v9, v4, s5
	;; [unrolled: 1-line block ×3, first 2 shown]
	v_cmp_eq_u32_e64 s6, 7, v70
	v_cndmask_b32_e32 v1, v1, v12, vcc_lo
	v_cndmask_b32_e64 v7, v13, v4, s3
	v_cndmask_b32_e64 v3, v3, v8, s3
	;; [unrolled: 1-line block ×3, first 2 shown]
	v_cmp_eq_u32_e64 s3, 7, v69
	v_cndmask_b32_e64 v4, v10, v8, s5
	v_cndmask_b32_e64 v5, v5, v12, s6
	;; [unrolled: 1-line block ×3, first 2 shown]
	v_cndmask_b32_e32 v2, v2, v16, vcc_lo
	v_cndmask_b32_e64 v7, v7, v12, s3
	v_cndmask_b32_e64 v3, v3, v16, s3
	;; [unrolled: 1-line block ×4, first 2 shown]
	v_perm_b32 v4, v2, v1, 0x5040100
	s_mov_b32 s3, exec_lo
	v_perm_b32 v3, v3, v7, 0x5040100
	v_perm_b32 v2, v8, v9, 0x5040100
	;; [unrolled: 1-line block ×3, first 2 shown]
	ds_store_b128 v74, v[1:4]
	s_waitcnt lgkmcnt(0)
	s_barrier
	buffer_gl0_inv
	v_cmpx_gt_u32_e32 32, v0
	s_cbranch_execz .LBB1280_2
; %bb.15:
	s_load_b64 s[4:5], s[0:1], 0x68
	v_lshlrev_b32_e32 v0, 10, v0
	v_lshlrev_b32_e32 v2, 4, v67
	v_add_nc_u32_e32 v1, s31, v66
	s_lshl_b32 s0, s35, 7
	s_delay_alu instid0(SALU_CYCLE_1) | instskip(NEXT) | instid1(VALU_DEP_2)
	s_mul_i32 s1, s0, s34
	v_and_or_b32 v0, 0x3800, v0, v2
	s_mul_i32 s6, s1, s8
	v_mul_lo_u32 v1, v1, s0
	s_ashr_i32 s7, s6, 31
	s_delay_alu instid0(VALU_DEP_2) | instskip(SKIP_1) | instid1(VALU_DEP_2)
	v_lshl_or_b32 v3, v66, 6, v0
	s_lshl_b64 s[6:7], s[6:7], 1
	v_ashrrev_i32_e32 v2, 31, v1
	ds_load_b128 v[3:6], v3
	s_waitcnt lgkmcnt(0)
	s_add_u32 s1, s4, s6
	s_addc_u32 s3, s5, s7
	s_lshl_b32 s4, s14, 7
	v_lshlrev_b64 v[7:8], 1, v[1:2]
	s_ashr_i32 s5, s4, 31
	s_delay_alu instid0(SALU_CYCLE_1) | instskip(NEXT) | instid1(SALU_CYCLE_1)
	s_lshl_b64 s[4:5], s[4:5], 1
	s_add_u32 s1, s1, s4
	s_addc_u32 s3, s3, s5
	v_add_co_u32 v1, s1, s1, v65
	s_delay_alu instid0(VALU_DEP_1) | instskip(NEXT) | instid1(VALU_DEP_2)
	v_add_co_ci_u32_e64 v2, null, s3, 0, s1
	v_add_co_u32 v7, vcc_lo, v1, v7
	s_delay_alu instid0(VALU_DEP_2)
	v_add_co_ci_u32_e32 v8, vcc_lo, v2, v8, vcc_lo
	global_store_b128 v[7:8], v[3:6], off
	s_and_b32 exec_lo, exec_lo, s2
	s_cbranch_execz .LBB1280_2
; %bb.16:
	ds_load_b128 v[3:6], v0 offset:128
	s_add_i32 s1, s31, 2
	s_delay_alu instid0(SALU_CYCLE_1) | instskip(NEXT) | instid1(SALU_CYCLE_1)
	s_mul_i32 s0, s1, s0
	s_ashr_i32 s1, s0, 31
	s_delay_alu instid0(SALU_CYCLE_1) | instskip(NEXT) | instid1(SALU_CYCLE_1)
	s_lshl_b64 s[0:1], s[0:1], 1
	v_add_co_u32 v0, vcc_lo, v1, s0
	v_add_co_ci_u32_e32 v1, vcc_lo, s1, v2, vcc_lo
	s_waitcnt lgkmcnt(0)
	global_store_b128 v[0:1], v[3:6], off
	s_nop 0
	s_sendmsg sendmsg(MSG_DEALLOC_VGPRS)
	s_endpgm
	.section	.rodata,"a",@progbits
	.p2align	6, 0x0
	.amdhsa_kernel _Z39paged_attention_ll4mi_QKV_mfma16_kernelIDF16_hLN4vllm18Fp8KVCacheDataTypeE1EDF16_Li16ELi128ELi256ELb0ELi3EL8MFMAType0EEvPKT_PKT0_S8_ifPKiSA_SA_iPKfiiiPfSD_PS3_PT2_iSC_SC_
		.amdhsa_group_segment_fixed_size 17472
		.amdhsa_private_segment_fixed_size 0
		.amdhsa_kernarg_size 400
		.amdhsa_user_sgpr_count 13
		.amdhsa_user_sgpr_dispatch_ptr 0
		.amdhsa_user_sgpr_queue_ptr 0
		.amdhsa_user_sgpr_kernarg_segment_ptr 1
		.amdhsa_user_sgpr_dispatch_id 0
		.amdhsa_user_sgpr_private_segment_size 0
		.amdhsa_wavefront_size32 1
		.amdhsa_uses_dynamic_stack 0
		.amdhsa_enable_private_segment 0
		.amdhsa_system_sgpr_workgroup_id_x 1
		.amdhsa_system_sgpr_workgroup_id_y 1
		.amdhsa_system_sgpr_workgroup_id_z 1
		.amdhsa_system_sgpr_workgroup_info 0
		.amdhsa_system_vgpr_workitem_id 0
		.amdhsa_next_free_vgpr 150
		.amdhsa_next_free_sgpr 36
		.amdhsa_reserve_vcc 1
		.amdhsa_float_round_mode_32 0
		.amdhsa_float_round_mode_16_64 0
		.amdhsa_float_denorm_mode_32 3
		.amdhsa_float_denorm_mode_16_64 3
		.amdhsa_dx10_clamp 1
		.amdhsa_ieee_mode 1
		.amdhsa_fp16_overflow 0
		.amdhsa_workgroup_processor_mode 1
		.amdhsa_memory_ordered 1
		.amdhsa_forward_progress 0
		.amdhsa_shared_vgpr_count 0
		.amdhsa_exception_fp_ieee_invalid_op 0
		.amdhsa_exception_fp_denorm_src 0
		.amdhsa_exception_fp_ieee_div_zero 0
		.amdhsa_exception_fp_ieee_overflow 0
		.amdhsa_exception_fp_ieee_underflow 0
		.amdhsa_exception_fp_ieee_inexact 0
		.amdhsa_exception_int_div_zero 0
	.end_amdhsa_kernel
	.section	.text._Z39paged_attention_ll4mi_QKV_mfma16_kernelIDF16_hLN4vllm18Fp8KVCacheDataTypeE1EDF16_Li16ELi128ELi256ELb0ELi3EL8MFMAType0EEvPKT_PKT0_S8_ifPKiSA_SA_iPKfiiiPfSD_PS3_PT2_iSC_SC_,"axG",@progbits,_Z39paged_attention_ll4mi_QKV_mfma16_kernelIDF16_hLN4vllm18Fp8KVCacheDataTypeE1EDF16_Li16ELi128ELi256ELb0ELi3EL8MFMAType0EEvPKT_PKT0_S8_ifPKiSA_SA_iPKfiiiPfSD_PS3_PT2_iSC_SC_,comdat
.Lfunc_end1280:
	.size	_Z39paged_attention_ll4mi_QKV_mfma16_kernelIDF16_hLN4vllm18Fp8KVCacheDataTypeE1EDF16_Li16ELi128ELi256ELb0ELi3EL8MFMAType0EEvPKT_PKT0_S8_ifPKiSA_SA_iPKfiiiPfSD_PS3_PT2_iSC_SC_, .Lfunc_end1280-_Z39paged_attention_ll4mi_QKV_mfma16_kernelIDF16_hLN4vllm18Fp8KVCacheDataTypeE1EDF16_Li16ELi128ELi256ELb0ELi3EL8MFMAType0EEvPKT_PKT0_S8_ifPKiSA_SA_iPKfiiiPfSD_PS3_PT2_iSC_SC_
                                        ; -- End function
	.section	.AMDGPU.csdata,"",@progbits
; Kernel info:
; codeLenInByte = 6588
; NumSgprs: 38
; NumVgprs: 150
; ScratchSize: 0
; MemoryBound: 0
; FloatMode: 240
; IeeeMode: 1
; LDSByteSize: 17472 bytes/workgroup (compile time only)
; SGPRBlocks: 4
; VGPRBlocks: 18
; NumSGPRsForWavesPerEU: 38
; NumVGPRsForWavesPerEU: 150
; Occupancy: 9
; WaveLimiterHint : 1
; COMPUTE_PGM_RSRC2:SCRATCH_EN: 0
; COMPUTE_PGM_RSRC2:USER_SGPR: 13
; COMPUTE_PGM_RSRC2:TRAP_HANDLER: 0
; COMPUTE_PGM_RSRC2:TGID_X_EN: 1
; COMPUTE_PGM_RSRC2:TGID_Y_EN: 1
; COMPUTE_PGM_RSRC2:TGID_Z_EN: 1
; COMPUTE_PGM_RSRC2:TIDIG_COMP_CNT: 0
	.section	.text._Z39paged_attention_ll4mi_QKV_mfma16_kernelIDF16_hLN4vllm18Fp8KVCacheDataTypeE1EDF16_Li16ELi128ELi256ELb0ELi4EL8MFMAType0EEvPKT_PKT0_S8_ifPKiSA_SA_iPKfiiiPfSD_PS3_PT2_iSC_SC_,"axG",@progbits,_Z39paged_attention_ll4mi_QKV_mfma16_kernelIDF16_hLN4vllm18Fp8KVCacheDataTypeE1EDF16_Li16ELi128ELi256ELb0ELi4EL8MFMAType0EEvPKT_PKT0_S8_ifPKiSA_SA_iPKfiiiPfSD_PS3_PT2_iSC_SC_,comdat
	.protected	_Z39paged_attention_ll4mi_QKV_mfma16_kernelIDF16_hLN4vllm18Fp8KVCacheDataTypeE1EDF16_Li16ELi128ELi256ELb0ELi4EL8MFMAType0EEvPKT_PKT0_S8_ifPKiSA_SA_iPKfiiiPfSD_PS3_PT2_iSC_SC_ ; -- Begin function _Z39paged_attention_ll4mi_QKV_mfma16_kernelIDF16_hLN4vllm18Fp8KVCacheDataTypeE1EDF16_Li16ELi128ELi256ELb0ELi4EL8MFMAType0EEvPKT_PKT0_S8_ifPKiSA_SA_iPKfiiiPfSD_PS3_PT2_iSC_SC_
	.globl	_Z39paged_attention_ll4mi_QKV_mfma16_kernelIDF16_hLN4vllm18Fp8KVCacheDataTypeE1EDF16_Li16ELi128ELi256ELb0ELi4EL8MFMAType0EEvPKT_PKT0_S8_ifPKiSA_SA_iPKfiiiPfSD_PS3_PT2_iSC_SC_
	.p2align	8
	.type	_Z39paged_attention_ll4mi_QKV_mfma16_kernelIDF16_hLN4vllm18Fp8KVCacheDataTypeE1EDF16_Li16ELi128ELi256ELb0ELi4EL8MFMAType0EEvPKT_PKT0_S8_ifPKiSA_SA_iPKfiiiPfSD_PS3_PT2_iSC_SC_,@function
_Z39paged_attention_ll4mi_QKV_mfma16_kernelIDF16_hLN4vllm18Fp8KVCacheDataTypeE1EDF16_Li16ELi128ELi256ELb0ELi4EL8MFMAType0EEvPKT_PKT0_S8_ifPKiSA_SA_iPKfiiiPfSD_PS3_PT2_iSC_SC_: ; @_Z39paged_attention_ll4mi_QKV_mfma16_kernelIDF16_hLN4vllm18Fp8KVCacheDataTypeE1EDF16_Li16ELi128ELi256ELb0ELi4EL8MFMAType0EEvPKT_PKT0_S8_ifPKiSA_SA_iPKfiiiPfSD_PS3_PT2_iSC_SC_
; %bb.0:
	s_load_b64 s[4:5], s[0:1], 0x30
	s_mov_b32 s30, s13
	s_waitcnt lgkmcnt(0)
	s_cmp_lg_u64 s[4:5], 0
	s_cselect_b32 s13, -1, 0
	s_ashr_i32 s31, s30, 31
	s_cmp_eq_u64 s[4:5], 0
	s_cbranch_scc1 .LBB1281_3
; %bb.1:
	s_lshl_b64 s[2:3], s[30:31], 2
	s_delay_alu instid0(SALU_CYCLE_1) | instskip(SKIP_4) | instid1(SALU_CYCLE_1)
	s_add_u32 s2, s4, s2
	s_addc_u32 s3, s5, s3
	s_load_b64 s[2:3], s[2:3], 0x0
	s_waitcnt lgkmcnt(0)
	s_sub_i32 s2, s3, s2
	s_cmp_eq_u32 s2, 1
	s_cselect_b32 s2, -1, 0
	s_delay_alu instid0(SALU_CYCLE_1)
	s_and_not1_b32 vcc_lo, exec_lo, s2
	s_cbranch_vccz .LBB1281_4
.LBB1281_2:
	s_endpgm
.LBB1281_3:
.LBB1281_4:
	s_load_b64 s[2:3], s[0:1], 0x28
	s_lshl_b64 s[6:7], s[30:31], 2
	s_waitcnt lgkmcnt(0)
	s_add_u32 s2, s2, s6
	s_addc_u32 s3, s3, s7
	s_lshl_b32 s12, s14, 8
	s_load_b32 s17, s[2:3], 0x0
	s_waitcnt lgkmcnt(0)
	s_cmp_ge_i32 s12, s17
	s_cbranch_scc1 .LBB1281_2
; %bb.5:
	s_clause 0x1
	s_load_b128 s[8:11], s[0:1], 0x8
	s_load_b64 s[2:3], s[0:1], 0x20
	s_and_not1_b32 vcc_lo, exec_lo, s13
	s_cbranch_vccnz .LBB1281_7
; %bb.6:
	s_add_u32 s4, s4, s6
	s_addc_u32 s5, s5, s7
	s_load_b32 s13, s[4:5], 0x0
	s_branch .LBB1281_8
.LBB1281_7:
	s_mov_b32 s13, s30
.LBB1281_8:
	s_load_b128 s[4:7], s[0:1], 0x48
	v_and_b32_e32 v69, 15, v0
	v_lshrrev_b32_e32 v68, 5, v0
	v_and_b32_e32 v70, 31, v0
	v_and_b32_e32 v67, 1, v0
	v_bfe_u32 v66, v0, 4, 1
	v_lshlrev_b32_e32 v1, 3, v69
	s_lshl_b32 s31, s15, 2
	s_waitcnt lgkmcnt(0)
	s_mov_b32 s7, exec_lo
	s_delay_alu instid0(VALU_DEP_1)
	v_lshlrev_b32_e32 v65, 1, v1
	v_cmpx_gt_u32_e32 64, v0
	s_cbranch_execz .LBB1281_10
; %bb.9:
	v_lshl_or_b32 v5, v68, 1, v66
	s_load_b64 s[18:19], s[0:1], 0x0
	s_mul_hi_i32 s21, s13, s4
	s_mul_i32 s20, s13, s4
	v_lshlrev_b32_e32 v6, 10, v69
	v_or_b32_e32 v1, s31, v5
	s_lshl_b64 s[20:21], s[20:21], 1
	v_lshlrev_b32_e32 v5, 6, v5
	v_lshlrev_b32_e32 v7, 10, v67
	v_and_b32_e32 v6, 0x3800, v6
	v_lshlrev_b32_e32 v1, 7, v1
	s_delay_alu instid0(VALU_DEP_2) | instskip(NEXT) | instid1(VALU_DEP_2)
	v_or3_b32 v5, v6, v7, v5
	v_ashrrev_i32_e32 v2, 31, v1
	s_delay_alu instid0(VALU_DEP_1) | instskip(SKIP_3) | instid1(VALU_DEP_1)
	v_lshlrev_b64 v[1:2], 1, v[1:2]
	s_waitcnt lgkmcnt(0)
	s_add_u32 s4, s18, s20
	s_addc_u32 s13, s19, s21
	v_add_co_u32 v1, vcc_lo, s4, v1
	s_delay_alu instid0(VALU_DEP_2) | instskip(NEXT) | instid1(VALU_DEP_2)
	v_add_co_ci_u32_e32 v2, vcc_lo, s13, v2, vcc_lo
	v_add_co_u32 v1, vcc_lo, v1, v65
	s_delay_alu instid0(VALU_DEP_2)
	v_add_co_ci_u32_e32 v2, vcc_lo, 0, v2, vcc_lo
	global_load_b128 v[1:4], v[1:2], off
	s_waitcnt vmcnt(0)
	ds_store_b128 v5, v[1:4]
.LBB1281_10:
	s_or_b32 exec_lo, exec_lo, s7
	v_and_b32_e32 v1, 0xef, v0
	s_add_i32 s4, s17, 15
	s_clause 0x1
	s_load_b32 s7, s[0:1], 0x38
	s_load_b32 s33, s[0:1], 0x98
	s_ashr_i32 s13, s4, 31
	v_add_nc_u32_e32 v1, s12, v1
	s_lshr_b32 s13, s13, 28
	s_load_b32 s18, s[0:1], 0x1c
	s_add_i32 s4, s4, s13
	s_waitcnt lgkmcnt(0)
	v_ashrrev_i32_e32 v2, 31, v1
	v_or_b32_e32 v3, 16, v1
	s_ashr_i32 s4, s4, 4
	v_cmp_gt_i32_e32 vcc_lo, s17, v1
	s_add_i32 s4, s4, -1
	v_lshrrev_b32_e32 v2, 28, v2
	s_barrier
	buffer_gl0_inv
	s_mul_i32 s15, s15, s6
	v_add_nc_u32_e32 v4, v1, v2
	s_mul_i32 s20, s30, s7
	s_delay_alu instid0(SALU_CYCLE_1) | instskip(NEXT) | instid1(VALU_DEP_1)
	s_ashr_i32 s21, s20, 31
	v_ashrrev_i32_e32 v4, 4, v4
	v_add_nc_u32_e32 v2, v3, v2
	s_lshl_b64 s[20:21], s[20:21], 2
	s_delay_alu instid0(SALU_CYCLE_1) | instskip(NEXT) | instid1(VALU_DEP_2)
	s_add_u32 s13, s2, s20
	v_cndmask_b32_e32 v1, s4, v4, vcc_lo
	s_delay_alu instid0(VALU_DEP_2)
	v_ashrrev_i32_e32 v2, 4, v2
	v_cmp_gt_i32_e32 vcc_lo, s17, v3
	s_addc_u32 s16, s3, s21
	s_ashr_i32 s19, s15, 31
	s_add_u32 s26, s8, s15
	s_addc_u32 s27, s9, s19
	v_cndmask_b32_e32 v3, s4, v2, vcc_lo
	v_ashrrev_i32_e32 v2, 31, v1
	s_lshl_b32 s2, s14, 4
	s_delay_alu instid0(SALU_CYCLE_1) | instskip(NEXT) | instid1(VALU_DEP_2)
	s_ashr_i32 s3, s2, 31
	v_ashrrev_i32_e32 v4, 31, v3
	s_delay_alu instid0(VALU_DEP_2) | instskip(SKIP_1) | instid1(SALU_CYCLE_1)
	v_lshlrev_b64 v[1:2], 2, v[1:2]
	s_lshl_b64 s[2:3], s[2:3], 2
	s_add_u32 s2, s13, s2
	s_delay_alu instid0(VALU_DEP_2) | instskip(SKIP_1) | instid1(VALU_DEP_2)
	v_lshlrev_b64 v[3:4], 2, v[3:4]
	s_addc_u32 s3, s16, s3
	v_add_co_u32 v1, vcc_lo, s13, v1
	v_add_co_ci_u32_e32 v2, vcc_lo, s16, v2, vcc_lo
	s_delay_alu instid0(VALU_DEP_3) | instskip(NEXT) | instid1(VALU_DEP_4)
	v_add_co_u32 v3, vcc_lo, s13, v3
	v_add_co_ci_u32_e32 v4, vcc_lo, s16, v4, vcc_lo
	s_clause 0x1
	global_load_b32 v5, v[1:2], off
	global_load_b32 v3, v[3:4], off
	s_or_b32 s6, s12, 32
	s_delay_alu instid0(SALU_CYCLE_1) | instskip(SKIP_2) | instid1(SALU_CYCLE_1)
	s_ashr_i32 s7, s6, 4
	s_cmp_lt_i32 s6, s17
	s_cselect_b32 s6, s7, s4
	s_ashr_i32 s7, s6, 31
	s_delay_alu instid0(SALU_CYCLE_1) | instskip(NEXT) | instid1(SALU_CYCLE_1)
	s_lshl_b64 s[6:7], s[6:7], 2
	s_add_u32 s6, s13, s6
	s_addc_u32 s7, s16, s7
	s_or_b32 s8, s12, 64
	s_delay_alu instid0(SALU_CYCLE_1) | instskip(SKIP_2) | instid1(SALU_CYCLE_1)
	s_ashr_i32 s9, s8, 4
	s_cmp_lt_i32 s8, s17
	s_cselect_b32 s8, s9, s4
	s_ashr_i32 s9, s8, 31
	s_delay_alu instid0(SALU_CYCLE_1) | instskip(NEXT) | instid1(SALU_CYCLE_1)
	s_lshl_b64 s[8:9], s[8:9], 2
	s_add_u32 s8, s13, s8
	s_addc_u32 s9, s16, s9
	;; [unrolled: 10-line block ×5, first 2 shown]
	s_clause 0x5
	s_load_b32 s28, s[2:3], 0x0
	s_load_b32 s29, s[6:7], 0x0
	;; [unrolled: 1-line block ×6, first 2 shown]
	s_mov_b32 s20, 0
	s_or_b32 s2, s12, 0xc0
	s_mov_b32 s21, s20
	s_mov_b32 s22, s20
	;; [unrolled: 1-line block ×5, first 2 shown]
	v_lshlrev_b32_e32 v1, 4, v0
	s_ashr_i32 s3, s2, 4
	s_cmp_lt_i32 s2, s17
	s_cselect_b32 s2, s3, s4
	s_delay_alu instid0(VALU_DEP_1) | instskip(SKIP_1) | instid1(SALU_CYCLE_1)
	v_and_b32_e32 v1, 0xf0, v1
	s_ashr_i32 s3, s2, 31
	s_lshl_b64 s[2:3], s[2:3], 2
	s_delay_alu instid0(VALU_DEP_1) | instskip(NEXT) | instid1(VALU_DEP_1)
	v_add_co_u32 v1, s26, s26, v1
	v_add_co_ci_u32_e64 v2, null, s27, 0, s26
	s_add_u32 s2, s13, s2
	s_addc_u32 s3, s16, s3
	s_or_b32 s6, s12, 0xe0
	s_mov_b32 s27, s20
	s_ashr_i32 s7, s6, 4
	s_cmp_lt_i32 s6, s17
	s_mov_b32 s26, s20
	s_cselect_b32 s6, s7, s4
	v_mov_b32_e32 v102, s27
	v_mov_b32_e32 v96, s21
	s_ashr_i32 s7, s6, 31
	v_mov_b32_e32 v101, s26
	s_lshl_b64 s[6:7], s[6:7], 2
	v_dual_mov_b32 v100, s25 :: v_dual_mov_b32 v99, s24
	v_dual_mov_b32 v98, s23 :: v_dual_mov_b32 v97, s22
	v_mov_b32_e32 v95, s20
	s_waitcnt vmcnt(1)
	v_mad_i64_i32 v[33:34], null, v5, s5, v[1:2]
	s_waitcnt vmcnt(0)
	v_mad_i64_i32 v[35:36], null, v3, s5, v[1:2]
	s_clause 0xf
	global_load_b128 v[1:4], v[33:34], off
	global_load_b128 v[5:8], v[33:34], off offset:256
	global_load_b128 v[9:12], v[35:36], off
	global_load_b128 v[13:16], v[35:36], off offset:256
	global_load_b128 v[17:20], v[33:34], off offset:512
	;; [unrolled: 1-line block ×13, first 2 shown]
	v_and_b32_e32 v33, 3, v0
	v_lshlrev_b32_e32 v34, 4, v69
	s_delay_alu instid0(VALU_DEP_2) | instskip(NEXT) | instid1(VALU_DEP_2)
	v_lshlrev_b32_e32 v139, 6, v33
	v_lshl_or_b32 v41, v68, 8, v34
	ds_load_b128 v[33:36], v139
	ds_load_b128 v[37:40], v139 offset:1024
	ds_load_b128 v[103:106], v139 offset:2048
	;; [unrolled: 1-line block ×3, first 2 shown]
	s_load_b32 s4, s[2:3], 0x0
	s_add_u32 s2, s13, s6
	s_addc_u32 s3, s16, s7
	ds_load_b128 v[111:114], v139 offset:4096
	ds_load_b128 v[115:118], v139 offset:5120
	s_load_b32 s2, s[2:3], 0x0
	s_add_u32 s6, s10, s15
	s_addc_u32 s7, s11, s19
	v_add_co_u32 v127, s6, s6, v41
	s_delay_alu instid0(VALU_DEP_1) | instskip(SKIP_1) | instid1(VALU_DEP_1)
	v_add_co_ci_u32_e64 v128, null, s7, 0, s6
	s_waitcnt lgkmcnt(0)
	v_mad_i64_i32 v[41:42], null, s28, s5, v[127:128]
	v_mad_i64_i32 v[129:130], null, s8, s5, v[127:128]
	;; [unrolled: 1-line block ×7, first 2 shown]
	s_clause 0x3
	global_load_b128 v[49:52], v[41:42], off
	global_load_b128 v[53:56], v[41:42], off offset:16
	global_load_b128 v[41:44], v[45:46], off
	global_load_b128 v[45:48], v[45:46], off offset:16
	s_waitcnt vmcnt(18)
	v_wmma_f32_16x16x16_f16 v[119:126], v[1:8], v[33:40], v[95:102]
	s_waitcnt vmcnt(16)
	v_wmma_f32_16x16x16_f16 v[95:102], v[9:16], v[33:40], v[95:102]
	s_clause 0x3
	global_load_b128 v[33:36], v[129:130], off
	global_load_b128 v[37:40], v[129:130], off offset:16
	global_load_b128 v[1:4], v[131:132], off
	global_load_b128 v[5:8], v[131:132], off offset:16
	s_waitcnt vmcnt(18)
	v_wmma_f32_16x16x16_f16 v[119:126], v[17:24], v[103:110], v[119:126]
	s_clause 0x3
	global_load_b128 v[9:12], v[133:134], off
	global_load_b128 v[13:16], v[133:134], off offset:16
	global_load_b128 v[17:20], v[135:136], off
	global_load_b128 v[21:24], v[135:136], off offset:16
	s_waitcnt vmcnt(20)
	v_wmma_f32_16x16x16_f16 v[95:102], v[25:32], v[103:110], v[95:102]
	v_mad_i64_i32 v[103:104], null, s2, s5, v[127:128]
	s_waitcnt vmcnt(18)
	v_wmma_f32_16x16x16_f16 v[119:126], v[57:64], v[111:118], v[119:126]
	s_clause 0x1
	global_load_b128 v[25:28], v[137:138], off
	global_load_b128 v[29:32], v[137:138], off offset:16
	s_waitcnt vmcnt(18)
	v_wmma_f32_16x16x16_f16 v[95:102], v[71:78], v[111:118], v[95:102]
	s_clause 0x1
	global_load_b128 v[57:60], v[103:104], off
	global_load_b128 v[61:64], v[103:104], off offset:16
	ds_load_b128 v[71:74], v139 offset:6144
	ds_load_b128 v[75:78], v139 offset:7168
	v_mbcnt_lo_u32_b32 v104, -1, 0
	s_waitcnt vmcnt(0) lgkmcnt(0)
	s_barrier
	buffer_gl0_inv
	v_xor_b32_e32 v105, 16, v104
	s_delay_alu instid0(VALU_DEP_1) | instskip(SKIP_4) | instid1(VALU_DEP_2)
	v_cmp_gt_i32_e32 vcc_lo, 32, v105
	v_cndmask_b32_e32 v104, v104, v105, vcc_lo
	v_wmma_f32_16x16x16_f16 v[95:102], v[87:94], v[71:78], v[95:102]
	v_and_b32_e32 v103, 0xe0, v0
	v_wmma_f32_16x16x16_f16 v[119:126], v[79:86], v[71:78], v[119:126]
	v_dual_mul_f32 v90, s18, v101 :: v_dual_add_nc_u32 v103, s12, v103
	s_delay_alu instid0(VALU_DEP_2) | instskip(NEXT) | instid1(VALU_DEP_3)
	v_dual_mul_f32 v94, s18, v97 :: v_dual_mul_f32 v87, s18, v120
	v_dual_mul_f32 v88, s18, v119 :: v_dual_mul_f32 v77, s18, v122
	s_delay_alu instid0(VALU_DEP_3) | instskip(SKIP_3) | instid1(VALU_DEP_4)
	v_or_b32_e32 v103, v103, v66
	v_dual_mul_f32 v78, s18, v121 :: v_dual_mul_f32 v75, s18, v124
	v_dual_mul_f32 v76, s18, v123 :: v_dual_mul_f32 v73, s18, v126
	v_mul_f32_e32 v92, s18, v99
	v_or_b32_e32 v105, 2, v103
	v_or_b32_e32 v106, 4, v103
	;; [unrolled: 1-line block ×3, first 2 shown]
	v_cmp_gt_i32_e64 s2, s17, v103
	v_or_b32_e32 v108, 8, v103
	v_cmp_gt_i32_e32 vcc_lo, s17, v105
	v_or_b32_e32 v109, 10, v103
	v_cmp_gt_i32_e64 s3, s17, v106
	v_cndmask_b32_e64 v88, 0xff7fffff, v88, s2
	v_cmp_gt_i32_e64 s4, s17, v107
	v_cndmask_b32_e32 v87, 0xff7fffff, v87, vcc_lo
	v_or_b32_e32 v79, 12, v103
	v_or_b32_e32 v80, 14, v103
	v_cndmask_b32_e64 v78, 0xff7fffff, v78, s3
	v_cndmask_b32_e64 v77, 0xff7fffff, v77, s4
	v_max3_f32 v87, v88, 0xff7fffff, v87
	v_cmp_gt_i32_e64 s5, s17, v108
	v_cmp_gt_i32_e64 s6, s17, v109
	v_or_b32_e32 v81, 16, v103
	v_or_b32_e32 v82, 18, v103
	v_mul_f32_e32 v74, s18, v125
	v_cndmask_b32_e64 v76, 0xff7fffff, v76, s5
	v_cndmask_b32_e64 v75, 0xff7fffff, v75, s6
	v_max3_f32 v77, v87, v78, v77
	v_cmp_gt_i32_e64 s7, s17, v79
	v_cmp_gt_i32_e64 s8, s17, v80
	v_or_b32_e32 v83, 20, v103
	v_or_b32_e32 v84, 22, v103
	;; [unrolled: 1-line block ×6, first 2 shown]
	v_mul_f32_e32 v105, s18, v96
	v_mul_f32_e32 v103, s18, v95
	v_cndmask_b32_e64 v74, 0xff7fffff, v74, s7
	v_cndmask_b32_e64 v73, 0xff7fffff, v73, s8
	v_max3_f32 v75, v77, v76, v75
	v_cmp_gt_i32_e64 s9, s17, v81
	v_cmp_gt_i32_e64 s10, s17, v82
	v_mul_f32_e32 v93, s18, v98
	v_cmp_gt_i32_e64 s11, s17, v83
	v_max3_f32 v73, v75, v74, v73
	v_cndmask_b32_e64 v76, 0xff7fffff, v103, s9
	v_cndmask_b32_e64 v77, 0xff7fffff, v105, s10
	v_cmp_gt_i32_e64 s12, s17, v84
	v_mul_f32_e32 v91, s18, v100
	v_cndmask_b32_e64 v74, 0xff7fffff, v94, s11
	v_cmp_gt_i32_e64 s13, s17, v85
	v_max3_f32 v73, v73, v76, v77
	v_cndmask_b32_e64 v75, 0xff7fffff, v93, s12
	v_cmp_gt_i32_e64 s15, s17, v86
	v_mul_f32_e32 v89, s18, v102
	v_cndmask_b32_e64 v76, 0xff7fffff, v92, s13
	v_cmp_gt_i32_e64 s16, s17, v71
	v_max3_f32 v73, v73, v74, v75
	v_cndmask_b32_e64 v77, 0xff7fffff, v91, s15
	v_cmp_gt_i32_e64 s17, s17, v72
	v_lshlrev_b32_e32 v74, 2, v104
	v_cndmask_b32_e64 v71, 0xff7fffff, v90, s16
	s_delay_alu instid0(VALU_DEP_4) | instskip(NEXT) | instid1(VALU_DEP_4)
	v_max3_f32 v73, v73, v76, v77
	v_cndmask_b32_e64 v72, 0xff7fffff, v89, s17
	s_delay_alu instid0(VALU_DEP_1) | instskip(SKIP_3) | instid1(VALU_DEP_1)
	v_max3_f32 v71, v73, v71, v72
	ds_bpermute_b32 v72, v74, v71
	s_waitcnt lgkmcnt(0)
	v_max_f32_e32 v72, v72, v72
	v_max_f32_e32 v71, v71, v72
	s_delay_alu instid0(VALU_DEP_1)
	v_fma_f32 v72, s18, v119, -v71
	v_fma_f32 v76, s18, v122, -v71
	;; [unrolled: 1-line block ×5, first 2 shown]
	v_mul_f32_e32 v72, 0x3fb8aa3b, v72
	v_mul_f32_e32 v76, 0x3fb8aa3b, v76
	v_fma_f32 v75, s18, v121, -v71
	v_mul_f32_e32 v79, 0x3fb8aa3b, v77
	v_mul_f32_e32 v87, 0x3fb8aa3b, v86
	v_exp_f32_e32 v72, v72
	v_exp_f32_e32 v76, v76
	v_fma_f32 v81, s18, v125, -v71
	v_exp_f32_e32 v82, v79
	v_exp_f32_e32 v87, v87
	v_fma_f32 v84, s18, v96, -v71
	s_delay_alu instid0(VALU_DEP_2) | instskip(SKIP_3) | instid1(TRANS32_DEP_3)
	v_mul_f32_e32 v81, 0x3fb8aa3b, v81
	v_cndmask_b32_e64 v78, 0, v72, s2
	v_fma_f32 v72, s18, v124, -v71
	v_mul_f32_e32 v73, 0x3fb8aa3b, v73
	v_cndmask_b32_e64 v79, 0, v76, s4
	v_fma_f32 v76, s18, v95, -v71
	s_delay_alu instid0(VALU_DEP_4) | instskip(NEXT) | instid1(VALU_DEP_4)
	v_dual_mul_f32 v75, 0x3fb8aa3b, v75 :: v_dual_mul_f32 v72, 0x3fb8aa3b, v72
	v_exp_f32_e32 v73, v73
	v_cndmask_b32_e64 v87, 0, v87, s12
	s_delay_alu instid0(VALU_DEP_3) | instskip(NEXT) | instid1(VALU_DEP_3)
	v_mul_f32_e32 v76, 0x3fb8aa3b, v76
	v_exp_f32_e32 v75, v75
	v_exp_f32_e32 v72, v72
	;; [unrolled: 1-line block ×3, first 2 shown]
	v_cndmask_b32_e64 v82, 0, v82, s5
	v_mul_f32_e32 v85, 0x3fb8aa3b, v84
	v_exp_f32_e32 v76, v76
	s_mov_b32 s2, exec_lo
	v_cndmask_b32_e32 v77, 0, v73, vcc_lo
	v_add_f32_e32 v73, 0, v78
	v_exp_f32_e32 v85, v85
	v_cndmask_b32_e64 v80, 0, v75, s3
	v_fma_f32 v75, s18, v126, -v71
	v_cndmask_b32_e64 v81, 0, v72, s6
	v_add_f32_e32 v73, v73, v77
	v_cndmask_b32_e64 v84, 0, v83, s7
	v_cndmask_b32_e64 v86, 0, v76, s9
	v_mul_f32_e32 v75, 0x3fb8aa3b, v75
	s_delay_alu instid0(VALU_DEP_4) | instskip(NEXT) | instid1(TRANS32_DEP_1)
	v_add_f32_e32 v73, v73, v80
	v_cndmask_b32_e64 v85, 0, v85, s10
	s_delay_alu instid0(VALU_DEP_3) | instskip(NEXT) | instid1(VALU_DEP_2)
	v_exp_f32_e32 v75, v75
	v_add_f32_e32 v73, v73, v79
	s_delay_alu instid0(VALU_DEP_1) | instskip(SKIP_3) | instid1(VALU_DEP_1)
	v_add_f32_e32 v72, v73, v82
	s_waitcnt_depctr 0xfff
	v_cndmask_b32_e64 v83, 0, v75, s8
	v_add_f32_e32 v72, v72, v81
	v_add_f32_e32 v72, v72, v84
	s_delay_alu instid0(VALU_DEP_1) | instskip(NEXT) | instid1(VALU_DEP_1)
	v_add_f32_e32 v72, v72, v83
	v_add_f32_e32 v72, v72, v86
	s_delay_alu instid0(VALU_DEP_1) | instskip(SKIP_4) | instid1(VALU_DEP_4)
	v_add_f32_e32 v72, v72, v85
	v_fma_f32 v73, s18, v97, -v71
	v_fma_f32 v75, s18, v99, -v71
	;; [unrolled: 1-line block ×4, first 2 shown]
	v_mul_f32_e32 v73, 0x3fb8aa3b, v73
	s_delay_alu instid0(VALU_DEP_3) | instskip(NEXT) | instid1(VALU_DEP_2)
	v_dual_mul_f32 v75, 0x3fb8aa3b, v75 :: v_dual_mul_f32 v76, 0x3fb8aa3b, v76
	v_exp_f32_e32 v73, v73
	s_delay_alu instid0(VALU_DEP_1) | instskip(NEXT) | instid1(VALU_DEP_1)
	v_exp_f32_e32 v75, v75
	v_exp_f32_e32 v76, v76
	s_delay_alu instid0(TRANS32_DEP_3)
	v_cndmask_b32_e64 v88, 0, v73, s11
	v_mul_f32_e32 v73, 0x3fb8aa3b, v89
	v_fma_f32 v89, s18, v102, -v71
	s_waitcnt_depctr 0xfff
	v_cndmask_b32_e64 v90, 0, v75, s13
	v_add_f32_e32 v72, v72, v88
	v_exp_f32_e32 v73, v73
	v_mul_f32_e32 v75, 0x3fb8aa3b, v89
	v_cndmask_b32_e64 v89, 0, v76, s15
	s_delay_alu instid0(VALU_DEP_3) | instskip(NEXT) | instid1(VALU_DEP_3)
	v_add_f32_e32 v72, v72, v87
	v_exp_f32_e32 v75, v75
	s_delay_alu instid0(VALU_DEP_1) | instskip(SKIP_4) | instid1(VALU_DEP_2)
	v_add_f32_e32 v72, v72, v90
	s_waitcnt_depctr 0xfff
	v_cndmask_b32_e64 v92, 0, v73, s16
	v_add_f32_e32 v72, v72, v89
	v_cndmask_b32_e64 v91, 0, v75, s17
	v_add_f32_e32 v72, v72, v92
	s_delay_alu instid0(VALU_DEP_1)
	v_add_f32_e32 v72, v72, v91
	ds_bpermute_b32 v73, v74, v72
	v_cmpx_gt_u32_e32 16, v70
	s_cbranch_execz .LBB1281_12
; %bb.11:
	v_mul_u32_u24_e32 v70, 0x44, v68
	s_waitcnt lgkmcnt(0)
	v_add_f32_e32 v72, v72, v73
	s_delay_alu instid0(VALU_DEP_2) | instskip(NEXT) | instid1(VALU_DEP_1)
	v_lshl_add_u32 v70, v69, 2, v70
	v_add_nc_u32_e32 v70, 0x4000, v70
	ds_store_2addr_b32 v70, v71, v72 offset1:136
.LBB1281_12:
	s_or_b32 exec_lo, exec_lo, s2
	v_lshlrev_b32_e32 v70, 2, v69
	s_load_b32 s34, s[0:1], 0x94
	s_waitcnt lgkmcnt(0)
	s_barrier
	buffer_gl0_inv
	v_add_nc_u32_e32 v74, 0x4000, v70
	v_cmp_eq_u32_e32 vcc_lo, 1, v68
	v_cmp_eq_u32_e64 s2, 2, v68
	v_cmp_eq_u32_e64 s3, 3, v68
	;; [unrolled: 1-line block ×3, first 2 shown]
	ds_load_2addr_b32 v[70:71], v74 offset1:17
	ds_load_2addr_b32 v[72:73], v74 offset0:34 offset1:51
	ds_load_2addr_b32 v[93:94], v74 offset0:68 offset1:85
	;; [unrolled: 1-line block ×3, first 2 shown]
	v_cmp_eq_u32_e64 s5, 5, v68
	v_cmp_eq_u32_e64 s6, 7, v68
	s_waitcnt lgkmcnt(3)
	v_max3_f32 v75, v70, 0xff7fffff, v71
	s_waitcnt lgkmcnt(2)
	s_delay_alu instid0(VALU_DEP_1) | instskip(SKIP_1) | instid1(VALU_DEP_1)
	v_max3_f32 v75, v75, v72, v73
	s_waitcnt lgkmcnt(1)
	v_max3_f32 v75, v75, v93, v94
	s_waitcnt lgkmcnt(0)
	s_delay_alu instid0(VALU_DEP_1) | instskip(NEXT) | instid1(VALU_DEP_1)
	v_max3_f32 v75, v75, v95, v96
	v_sub_f32_e32 v93, v93, v75
	ds_load_2addr_b32 v[97:98], v74 offset0:136 offset1:153
	v_sub_f32_e32 v70, v70, v75
	v_dual_sub_f32 v100, v73, v75 :: v_dual_mul_f32 v103, 0x3fb8aa3b, v93
	s_delay_alu instid0(VALU_DEP_2) | instskip(SKIP_3) | instid1(VALU_DEP_1)
	v_dual_sub_f32 v76, v71, v75 :: v_dual_mul_f32 v99, 0x3fb8aa3b, v70
	ds_load_2addr_b32 v[70:71], v74 offset0:170 offset1:187
	v_mul_f32_e32 v76, 0x3fb8aa3b, v76
	v_exp_f32_e32 v99, v99
	v_exp_f32_e32 v102, v76
	v_mul_f32_e32 v100, 0x3fb8aa3b, v100
	s_waitcnt lgkmcnt(1)
	s_waitcnt_depctr 0xfff
	v_fma_f32 v76, v99, v97, 0
	v_sub_f32_e32 v97, v94, v75
	v_sub_f32_e32 v72, v72, v75
	v_exp_f32_e32 v100, v100
	ds_load_2addr_b32 v[93:94], v74 offset0:238 offset1:255
	v_dual_fmac_f32 v76, v102, v98 :: v_dual_mul_f32 v101, 0x3fb8aa3b, v72
	ds_load_2addr_b32 v[72:73], v74 offset0:204 offset1:221
	v_dual_sub_f32 v74, v95, v75 :: v_dual_mul_f32 v95, 0x3fb8aa3b, v97
	v_exp_f32_e32 v97, v103
	v_exp_f32_e32 v101, v101
	s_waitcnt lgkmcnt(0)
	s_barrier
	v_exp_f32_e32 v95, v95
	buffer_gl0_inv
	v_fmac_f32_e32 v76, v101, v70
	v_sub_f32_e32 v70, v96, v75
	s_delay_alu instid0(VALU_DEP_2) | instskip(NEXT) | instid1(VALU_DEP_2)
	v_fmac_f32_e32 v76, v100, v71
	v_mul_f32_e32 v70, 0x3fb8aa3b, v70
	s_delay_alu instid0(VALU_DEP_2)
	v_dual_cndmask_b32 v71, v99, v102 :: v_dual_fmac_f32 v76, v97, v72
	v_lshlrev_b32_e32 v72, 6, v69
	v_lshlrev_b32_e32 v69, 2, v66
	v_mul_f32_e32 v74, 0x3fb8aa3b, v74
	v_exp_f32_e32 v98, v70
	v_fmac_f32_e32 v76, v95, v73
	s_delay_alu instid0(VALU_DEP_3) | instskip(NEXT) | instid1(VALU_DEP_3)
	v_cmp_eq_u32_e64 s7, 7, v69
	v_exp_f32_e32 v96, v74
	v_lshl_or_b32 v74, v68, 11, v72
	s_waitcnt_depctr 0xfff
	v_fmac_f32_e32 v76, v96, v93
	s_delay_alu instid0(VALU_DEP_1) | instskip(NEXT) | instid1(VALU_DEP_1)
	v_fmac_f32_e32 v76, v98, v94
	v_add_f32_e32 v73, 0x358637bd, v76
	s_delay_alu instid0(VALU_DEP_1) | instskip(SKIP_1) | instid1(VALU_DEP_2)
	v_div_scale_f32 v93, null, v73, v73, 1.0
	v_div_scale_f32 v99, vcc_lo, 1.0, v73, 1.0
	v_rcp_f32_e32 v94, v93
	s_waitcnt_depctr 0xfff
	v_fma_f32 v70, -v93, v94, 1.0
	s_delay_alu instid0(VALU_DEP_1)
	v_fmac_f32_e32 v94, v70, v94
	v_cndmask_b32_e64 v70, v71, v101, s2
	v_cmp_eq_u32_e64 s2, 6, v68
	v_or_b32_e32 v71, 1, v69
	v_or_b32_e32 v68, 2, v69
	v_mul_f32_e32 v101, v99, v94
	v_cndmask_b32_e64 v70, v70, v100, s3
	v_cmp_eq_u32_e64 s3, 1, v69
	v_cmp_eq_u32_e64 s8, 1, v71
	;; [unrolled: 1-line block ×3, first 2 shown]
	v_fma_f32 v100, -v93, v101, v99
	v_cndmask_b32_e64 v70, v70, v97, s4
	v_cmp_eq_u32_e64 s4, 2, v69
	v_cmp_eq_u32_e64 s11, 2, v71
	;; [unrolled: 1-line block ×3, first 2 shown]
	v_fmac_f32_e32 v101, v100, v94
	v_cndmask_b32_e64 v95, v70, v95, s5
	v_or_b32_e32 v70, 3, v69
	v_cmp_eq_u32_e64 s12, 3, v71
	v_cmp_eq_u32_e64 s16, 3, v68
	v_fma_f32 v93, -v93, v101, v99
	v_cndmask_b32_e64 v95, v95, v96, s2
	v_cmp_eq_u32_e64 s10, 1, v70
	v_cmp_eq_u32_e64 s15, 2, v70
	;; [unrolled: 1-line block ×3, first 2 shown]
	v_div_fmas_f32 v93, v93, v94, v101
	v_cndmask_b32_e64 v94, v95, v98, s6
	v_cmp_eq_u32_e32 vcc_lo, 3, v69
	v_cmp_eq_u32_e64 s2, 4, v69
	v_cmp_eq_u32_e64 s18, 4, v71
	v_div_fixup_f32 v93, v93, v73, 1.0
	v_lshl_or_b32 v73, v66, 4, v74
	v_cmp_eq_u32_e64 s21, 4, v70
	v_cmp_eq_u32_e64 s5, 5, v69
	;; [unrolled: 1-line block ×3, first 2 shown]
	v_mul_f32_e32 v101, v94, v93
	v_cmp_eq_u32_e64 s20, 4, v68
	v_cmp_eq_u32_e64 s23, 5, v70
	;; [unrolled: 1-line block ×4, first 2 shown]
	v_fma_mixlo_f16 v93, v101, v78, 0
	v_fma_mixlo_f16 v94, v101, v80, 0
	;; [unrolled: 1-line block ×8, first 2 shown]
	v_fma_mixhi_f16 v93, v101, v77, 0
	v_fma_mixhi_f16 v94, v101, v79, 0
	;; [unrolled: 1-line block ×8, first 2 shown]
	ds_store_b128 v73, v[93:96]
	ds_store_b128 v73, v[97:100] offset:1024
	s_waitcnt lgkmcnt(0)
	s_barrier
	buffer_gl0_inv
	ds_load_b128 v[77:80], v74
	ds_load_b128 v[81:84], v74 offset:16
	ds_load_b128 v[85:88], v74 offset:1024
	;; [unrolled: 1-line block ×3, first 2 shown]
	v_cmp_eq_u32_e64 s26, 6, v70
	v_cmp_eq_u32_e64 s6, 6, v69
	;; [unrolled: 1-line block ×6, first 2 shown]
	s_waitcnt lgkmcnt(3)
	v_lshrrev_b32_e32 v93, 16, v77
	s_waitcnt lgkmcnt(2)
	v_lshrrev_b32_e32 v97, 16, v81
	;; [unrolled: 2-line block ×4, first 2 shown]
	v_lshrrev_b32_e32 v94, 16, v78
	v_cndmask_b32_e64 v109, v77, v93, s3
	v_cndmask_b32_e64 v110, v81, v97, s3
	;; [unrolled: 1-line block ×8, first 2 shown]
	v_lshrrev_b32_e32 v98, 16, v82
	v_cndmask_b32_e64 v93, v85, v101, s3
	v_cndmask_b32_e64 v97, v89, v105, s3
	;; [unrolled: 1-line block ×15, first 2 shown]
	v_lshrrev_b32_e32 v102, 16, v86
	v_lshrrev_b32_e32 v106, 16, v90
	v_cndmask_b32_e64 v112, v114, v82, s13
	v_cndmask_b32_e64 v81, v93, v86, s4
	;; [unrolled: 1-line block ×7, first 2 shown]
	v_cndmask_b32_e32 v89, v101, v94, vcc_lo
	v_cndmask_b32_e32 v101, v105, v98, vcc_lo
	v_cndmask_b32_e64 v105, v109, v94, s12
	v_cndmask_b32_e64 v109, v110, v98, s12
	;; [unrolled: 1-line block ×4, first 2 shown]
	v_lshrrev_b32_e32 v95, 16, v79
	v_lshrrev_b32_e32 v99, 16, v83
	v_cndmask_b32_e64 v110, v111, v94, s16
	v_cndmask_b32_e64 v111, v112, v98, s16
	v_cndmask_b32_e32 v81, v81, v102, vcc_lo
	v_cndmask_b32_e32 v82, v82, v106, vcc_lo
	v_cndmask_b32_e64 v93, v93, v102, s12
	v_cndmask_b32_e64 v89, v89, v79, s2
	;; [unrolled: 1-line block ×7, first 2 shown]
	v_lshrrev_b32_e32 v103, 16, v87
	v_cndmask_b32_e64 v105, v110, v79, s20
	v_cndmask_b32_e64 v109, v111, v83, s20
	;; [unrolled: 1-line block ×11, first 2 shown]
	v_lshrrev_b32_e32 v96, 16, v80
	v_lshrrev_b32_e32 v100, 16, v84
	v_cndmask_b32_e64 v98, v105, v95, s22
	v_cndmask_b32_e64 v101, v109, v99, s22
	;; [unrolled: 1-line block ×7, first 2 shown]
	v_lshrrev_b32_e32 v104, 16, v88
	v_cndmask_b32_e64 v79, v79, v103, s5
	v_cndmask_b32_e64 v83, v83, v80, s6
	;; [unrolled: 1-line block ×16, first 2 shown]
	v_perm_b32 v80, v78, v77, 0x5040100
	v_perm_b32 v78, v94, v84, 0x5040100
	v_cndmask_b32_e64 v77, v118, v90, s13
	v_cndmask_b32_e64 v84, v116, v90, s11
	;; [unrolled: 1-line block ×3, first 2 shown]
	v_perm_b32 v79, v93, v89, 0x5040100
	v_cndmask_b32_e64 v89, v97, v102, s16
	v_cndmask_b32_e64 v85, v85, v102, s17
	;; [unrolled: 1-line block ×5, first 2 shown]
	v_lshrrev_b32_e32 v107, 16, v91
	v_cndmask_b32_e64 v89, v89, v87, s20
	v_cndmask_b32_e64 v85, v85, v87, s21
	;; [unrolled: 1-line block ×11, first 2 shown]
	v_lshrrev_b32_e32 v108, 16, v92
	v_cndmask_b32_e64 v81, v81, v92, s6
	v_cndmask_b32_e64 v87, v87, v88, s25
	;; [unrolled: 1-line block ×12, first 2 shown]
	v_perm_b32 v77, v83, v82, 0x5040100
	v_perm_b32 v84, v86, v85, 0x5040100
	;; [unrolled: 1-line block ×5, first 2 shown]
	s_lshl_b32 s7, s33, 2
	s_mov_b32 s2, exec_lo
	ds_store_b128 v73, v[77:80]
	ds_store_b128 v73, v[81:84] offset:1024
	v_cmpx_gt_u32_e32 4, v0
	s_cbranch_execz .LBB1281_14
; %bb.13:
	v_or_b32_e32 v77, s31, v0
	s_load_b128 s[8:11], s[0:1], 0x58
	s_delay_alu instid0(VALU_DEP_1) | instskip(NEXT) | instid1(VALU_DEP_1)
	v_mad_u64_u32 v[78:79], null, s7, s30, v[77:78]
	v_mad_u64_u32 v[79:80], null, v78, s34, s[14:15]
	s_delay_alu instid0(VALU_DEP_1) | instskip(NEXT) | instid1(VALU_DEP_1)
	v_ashrrev_i32_e32 v80, 31, v79
	v_lshlrev_b64 v[77:78], 2, v[79:80]
	s_waitcnt lgkmcnt(0)
	s_delay_alu instid0(VALU_DEP_1) | instskip(NEXT) | instid1(VALU_DEP_2)
	v_add_co_u32 v79, vcc_lo, s10, v77
	v_add_co_ci_u32_e32 v80, vcc_lo, s11, v78, vcc_lo
	v_add_co_u32 v77, vcc_lo, s8, v77
	v_add_co_ci_u32_e32 v78, vcc_lo, s9, v78, vcc_lo
	global_store_b32 v[79:80], v75, off
	global_store_b32 v[77:78], v76, off
.LBB1281_14:
	s_or_b32 exec_lo, exec_lo, s2
	s_waitcnt lgkmcnt(0)
	s_waitcnt_vscnt null, 0x0
	s_barrier
	buffer_gl0_inv
	ds_load_b128 v[83:86], v72
	ds_load_b128 v[87:90], v72 offset:16
	ds_load_b128 v[95:98], v72 offset:2064
	;; [unrolled: 1-line block ×5, first 2 shown]
	v_cmp_eq_u32_e32 vcc_lo, 1, v69
	v_mov_b32_e32 v75, 0
	ds_load_b128 v[111:114], v72 offset:6160
	ds_load_b128 v[107:110], v72 offset:6144
	;; [unrolled: 1-line block ×4, first 2 shown]
	v_cmp_eq_u32_e64 s3, 1, v68
	v_cmp_eq_u32_e64 s2, 1, v71
	;; [unrolled: 1-line block ×3, first 2 shown]
	v_mov_b32_e32 v76, v75
	v_mov_b32_e32 v77, v75
	;; [unrolled: 1-line block ×7, first 2 shown]
	v_cmp_eq_u32_e64 s5, 3, v71
	v_cmp_eq_u32_e64 s6, 7, v71
	s_waitcnt lgkmcnt(8)
	s_delay_alu instid0(VALU_DEP_3)
	v_wmma_f32_16x16x16_f16 v[75:82], v[49:56], v[83:90], v[75:82]
	ds_load_b128 v[53:56], v72 offset:10256
	ds_load_b128 v[49:52], v72 offset:10240
	s_waitcnt lgkmcnt(8)
	v_wmma_f32_16x16x16_f16 v[75:82], v[41:48], v[91:98], v[75:82]
	ds_load_b128 v[45:48], v72 offset:12304
	ds_load_b128 v[41:44], v72 offset:12288
	s_waitcnt lgkmcnt(8)
	;; [unrolled: 4-line block ×3, first 2 shown]
	s_barrier
	buffer_gl0_inv
	v_wmma_f32_16x16x16_f16 v[75:82], v[1:8], v[107:114], v[75:82]
	s_delay_alu instid0(VALU_DEP_1) | instskip(NEXT) | instid1(VALU_DEP_1)
	v_wmma_f32_16x16x16_f16 v[75:82], v[9:16], v[115:122], v[75:82]
	v_wmma_f32_16x16x16_f16 v[75:82], v[17:24], v[49:56], v[75:82]
	s_delay_alu instid0(VALU_DEP_1) | instskip(NEXT) | instid1(VALU_DEP_1)
	v_wmma_f32_16x16x16_f16 v[75:82], v[25:32], v[41:48], v[75:82]
	v_wmma_f32_16x16x16_f16 v[75:82], v[57:64], v[33:40], v[75:82]
	s_delay_alu instid0(VALU_DEP_1) | instskip(NEXT) | instid1(VALU_DEP_2)
	v_cvt_f16_f32_e32 v1, v75
	v_cvt_f16_f32_e32 v2, v76
	s_delay_alu instid0(VALU_DEP_3) | instskip(NEXT) | instid1(VALU_DEP_4)
	v_cvt_f16_f32_e32 v3, v77
	v_cvt_f16_f32_e32 v4, v78
	;; [unrolled: 1-line block ×6, first 2 shown]
	v_pack_b32_f16 v1, v1, v2
	v_pack_b32_f16 v2, v3, v4
	;; [unrolled: 1-line block ×3, first 2 shown]
	s_delay_alu instid0(VALU_DEP_4)
	v_pack_b32_f16 v4, v7, v8
	ds_store_b128 v73, v[1:4]
	s_waitcnt lgkmcnt(0)
	s_barrier
	buffer_gl0_inv
	ds_load_b128 v[1:4], v74
	ds_load_b128 v[5:8], v74 offset:16
	s_waitcnt lgkmcnt(1)
	v_lshrrev_b32_e32 v9, 16, v1
	s_waitcnt lgkmcnt(0)
	v_lshrrev_b32_e32 v13, 16, v5
	v_lshrrev_b32_e32 v10, 16, v2
	;; [unrolled: 1-line block ×4, first 2 shown]
	v_cndmask_b32_e32 v17, v1, v9, vcc_lo
	v_cndmask_b32_e32 v18, v5, v13, vcc_lo
	v_cndmask_b32_e64 v21, v1, v9, s3
	v_cmp_eq_u32_e32 vcc_lo, 1, v70
	v_cndmask_b32_e64 v22, v5, v13, s3
	v_cmp_eq_u32_e64 s3, 2, v69
	v_cndmask_b32_e64 v19, v1, v9, s2
	v_cndmask_b32_e64 v20, v5, v13, s2
	v_cndmask_b32_e32 v1, v1, v9, vcc_lo
	v_cmp_eq_u32_e64 s2, 2, v70
	v_cndmask_b32_e32 v5, v5, v13, vcc_lo
	v_cndmask_b32_e64 v9, v17, v2, s3
	v_cmp_eq_u32_e32 vcc_lo, 3, v69
	v_cndmask_b32_e64 v13, v18, v6, s3
	v_cmp_eq_u32_e64 s3, 2, v68
	v_cndmask_b32_e64 v17, v19, v2, s4
	v_cndmask_b32_e64 v18, v20, v6, s4
	v_cmp_eq_u32_e64 s4, 3, v68
	v_cndmask_b32_e64 v1, v1, v2, s2
	v_cndmask_b32_e64 v19, v21, v2, s3
	;; [unrolled: 1-line block ×4, first 2 shown]
	v_cndmask_b32_e32 v5, v9, v10, vcc_lo
	v_cndmask_b32_e32 v6, v13, v14, vcc_lo
	v_cmp_eq_u32_e32 vcc_lo, 3, v70
	v_cndmask_b32_e64 v9, v17, v10, s5
	v_cndmask_b32_e64 v13, v18, v14, s5
	;; [unrolled: 1-line block ×3, first 2 shown]
	v_cmp_eq_u32_e64 s3, 4, v69
	v_cndmask_b32_e32 v1, v1, v10, vcc_lo
	v_cndmask_b32_e32 v2, v2, v14, vcc_lo
	v_cmp_eq_u32_e32 vcc_lo, 4, v71
	v_lshrrev_b32_e32 v15, 16, v7
	v_lshrrev_b32_e32 v16, 16, v8
	v_cndmask_b32_e64 v17, v19, v10, s4
	v_cmp_eq_u32_e64 s2, 4, v70
	v_cndmask_b32_e64 v5, v5, v3, s3
	v_cndmask_b32_e64 v6, v6, v7, s3
	v_cndmask_b32_e32 v9, v9, v3, vcc_lo
	v_cmp_eq_u32_e64 s3, 5, v71
	v_cndmask_b32_e32 v10, v13, v7, vcc_lo
	v_cmp_eq_u32_e32 vcc_lo, 4, v68
	v_cmp_eq_u32_e64 s4, 5, v69
	v_cndmask_b32_e64 v2, v2, v7, s2
	v_cndmask_b32_e64 v9, v9, v11, s3
	;; [unrolled: 1-line block ×3, first 2 shown]
	v_cndmask_b32_e32 v13, v17, v3, vcc_lo
	v_cmp_eq_u32_e64 s3, 5, v68
	v_cndmask_b32_e32 v14, v18, v7, vcc_lo
	v_cndmask_b32_e64 v1, v1, v3, s2
	v_cmp_eq_u32_e32 vcc_lo, 5, v70
	v_lshrrev_b32_e32 v12, 16, v4
	v_cndmask_b32_e64 v13, v13, v11, s3
	v_cndmask_b32_e64 v3, v14, v15, s3
	v_cmp_eq_u32_e64 s3, 6, v70
	v_cndmask_b32_e32 v1, v1, v11, vcc_lo
	v_cndmask_b32_e64 v5, v5, v11, s4
	v_cmp_eq_u32_e64 s5, 6, v69
	v_cndmask_b32_e64 v6, v6, v15, s4
	v_cmp_eq_u32_e64 s4, 6, v71
	v_cmp_eq_u32_e64 s2, 6, v68
	v_cndmask_b32_e64 v1, v1, v4, s3
	v_cndmask_b32_e32 v2, v2, v15, vcc_lo
	v_cmp_eq_u32_e32 vcc_lo, 7, v70
	v_cndmask_b32_e64 v5, v5, v4, s5
	v_cndmask_b32_e64 v9, v9, v4, s4
	;; [unrolled: 1-line block ×3, first 2 shown]
	v_cmp_eq_u32_e64 s5, 7, v69
	v_cndmask_b32_e32 v1, v1, v12, vcc_lo
	v_cndmask_b32_e64 v7, v13, v4, s2
	v_cndmask_b32_e64 v3, v3, v8, s2
	;; [unrolled: 1-line block ×3, first 2 shown]
	v_cmp_eq_u32_e64 s2, 7, v68
	v_cndmask_b32_e64 v4, v10, v8, s4
	v_cndmask_b32_e64 v5, v5, v12, s5
	;; [unrolled: 1-line block ×3, first 2 shown]
	v_cndmask_b32_e32 v2, v2, v16, vcc_lo
	v_cndmask_b32_e64 v7, v7, v12, s2
	v_cndmask_b32_e64 v3, v3, v16, s2
	;; [unrolled: 1-line block ×4, first 2 shown]
	v_perm_b32 v4, v2, v1, 0x5040100
	s_mov_b32 s2, exec_lo
	v_perm_b32 v3, v3, v7, 0x5040100
	v_perm_b32 v2, v8, v9, 0x5040100
	;; [unrolled: 1-line block ×3, first 2 shown]
	ds_store_b128 v73, v[1:4]
	s_waitcnt lgkmcnt(0)
	s_barrier
	buffer_gl0_inv
	v_cmpx_gt_u32_e32 32, v0
	s_cbranch_execz .LBB1281_2
; %bb.15:
	s_load_b64 s[0:1], s[0:1], 0x68
	v_lshlrev_b32_e32 v0, 10, v0
	v_or_b32_e32 v1, s31, v66
	s_lshl_b32 s4, s34, 7
	v_lshlrev_b32_e32 v2, 4, v67
	s_mul_i32 s2, s4, s30
	v_lshlrev_b32_e32 v3, 6, v66
	v_mul_lo_u32 v8, v1, s4
	v_and_b32_e32 v0, 0x3800, v0
	v_or_b32_e32 v1, 2, v1
	s_mul_i32 s2, s2, s7
	s_delay_alu instid0(SALU_CYCLE_1) | instskip(NEXT) | instid1(VALU_DEP_2)
	s_ashr_i32 s3, s2, 31
	v_or3_b32 v4, v0, v2, v3
	s_lshl_b64 s[2:3], s[2:3], 1
	v_mul_lo_u32 v10, v1, s4
	v_ashrrev_i32_e32 v9, 31, v8
	ds_load_b128 v[0:3], v4
	ds_load_b128 v[4:7], v4 offset:128
	s_waitcnt lgkmcnt(0)
	s_add_u32 s2, s0, s2
	s_addc_u32 s3, s1, s3
	s_lshl_b32 s0, s14, 7
	v_ashrrev_i32_e32 v11, 31, v10
	s_ashr_i32 s1, s0, 31
	v_lshlrev_b64 v[8:9], 1, v[8:9]
	s_lshl_b64 s[0:1], s[0:1], 1
	s_delay_alu instid0(SALU_CYCLE_1) | instskip(SKIP_2) | instid1(VALU_DEP_1)
	s_add_u32 s0, s2, s0
	s_addc_u32 s1, s3, s1
	v_add_co_u32 v12, s0, s0, v65
	v_add_co_ci_u32_e64 v13, null, s1, 0, s0
	v_lshlrev_b64 v[10:11], 1, v[10:11]
	s_delay_alu instid0(VALU_DEP_3) | instskip(NEXT) | instid1(VALU_DEP_3)
	v_add_co_u32 v8, vcc_lo, v12, v8
	v_add_co_ci_u32_e32 v9, vcc_lo, v13, v9, vcc_lo
	s_delay_alu instid0(VALU_DEP_3) | instskip(NEXT) | instid1(VALU_DEP_4)
	v_add_co_u32 v10, vcc_lo, v12, v10
	v_add_co_ci_u32_e32 v11, vcc_lo, v13, v11, vcc_lo
	s_clause 0x1
	global_store_b128 v[8:9], v[0:3], off
	global_store_b128 v[10:11], v[4:7], off
	s_nop 0
	s_sendmsg sendmsg(MSG_DEALLOC_VGPRS)
	s_endpgm
	.section	.rodata,"a",@progbits
	.p2align	6, 0x0
	.amdhsa_kernel _Z39paged_attention_ll4mi_QKV_mfma16_kernelIDF16_hLN4vllm18Fp8KVCacheDataTypeE1EDF16_Li16ELi128ELi256ELb0ELi4EL8MFMAType0EEvPKT_PKT0_S8_ifPKiSA_SA_iPKfiiiPfSD_PS3_PT2_iSC_SC_
		.amdhsa_group_segment_fixed_size 17472
		.amdhsa_private_segment_fixed_size 0
		.amdhsa_kernarg_size 400
		.amdhsa_user_sgpr_count 13
		.amdhsa_user_sgpr_dispatch_ptr 0
		.amdhsa_user_sgpr_queue_ptr 0
		.amdhsa_user_sgpr_kernarg_segment_ptr 1
		.amdhsa_user_sgpr_dispatch_id 0
		.amdhsa_user_sgpr_private_segment_size 0
		.amdhsa_wavefront_size32 1
		.amdhsa_uses_dynamic_stack 0
		.amdhsa_enable_private_segment 0
		.amdhsa_system_sgpr_workgroup_id_x 1
		.amdhsa_system_sgpr_workgroup_id_y 1
		.amdhsa_system_sgpr_workgroup_id_z 1
		.amdhsa_system_sgpr_workgroup_info 0
		.amdhsa_system_vgpr_workitem_id 0
		.amdhsa_next_free_vgpr 140
		.amdhsa_next_free_sgpr 36
		.amdhsa_reserve_vcc 1
		.amdhsa_float_round_mode_32 0
		.amdhsa_float_round_mode_16_64 0
		.amdhsa_float_denorm_mode_32 3
		.amdhsa_float_denorm_mode_16_64 3
		.amdhsa_dx10_clamp 1
		.amdhsa_ieee_mode 1
		.amdhsa_fp16_overflow 0
		.amdhsa_workgroup_processor_mode 1
		.amdhsa_memory_ordered 1
		.amdhsa_forward_progress 0
		.amdhsa_shared_vgpr_count 0
		.amdhsa_exception_fp_ieee_invalid_op 0
		.amdhsa_exception_fp_denorm_src 0
		.amdhsa_exception_fp_ieee_div_zero 0
		.amdhsa_exception_fp_ieee_overflow 0
		.amdhsa_exception_fp_ieee_underflow 0
		.amdhsa_exception_fp_ieee_inexact 0
		.amdhsa_exception_int_div_zero 0
	.end_amdhsa_kernel
	.section	.text._Z39paged_attention_ll4mi_QKV_mfma16_kernelIDF16_hLN4vllm18Fp8KVCacheDataTypeE1EDF16_Li16ELi128ELi256ELb0ELi4EL8MFMAType0EEvPKT_PKT0_S8_ifPKiSA_SA_iPKfiiiPfSD_PS3_PT2_iSC_SC_,"axG",@progbits,_Z39paged_attention_ll4mi_QKV_mfma16_kernelIDF16_hLN4vllm18Fp8KVCacheDataTypeE1EDF16_Li16ELi128ELi256ELb0ELi4EL8MFMAType0EEvPKT_PKT0_S8_ifPKiSA_SA_iPKfiiiPfSD_PS3_PT2_iSC_SC_,comdat
.Lfunc_end1281:
	.size	_Z39paged_attention_ll4mi_QKV_mfma16_kernelIDF16_hLN4vllm18Fp8KVCacheDataTypeE1EDF16_Li16ELi128ELi256ELb0ELi4EL8MFMAType0EEvPKT_PKT0_S8_ifPKiSA_SA_iPKfiiiPfSD_PS3_PT2_iSC_SC_, .Lfunc_end1281-_Z39paged_attention_ll4mi_QKV_mfma16_kernelIDF16_hLN4vllm18Fp8KVCacheDataTypeE1EDF16_Li16ELi128ELi256ELb0ELi4EL8MFMAType0EEvPKT_PKT0_S8_ifPKiSA_SA_iPKfiiiPfSD_PS3_PT2_iSC_SC_
                                        ; -- End function
	.section	.AMDGPU.csdata,"",@progbits
; Kernel info:
; codeLenInByte = 6500
; NumSgprs: 38
; NumVgprs: 140
; ScratchSize: 0
; MemoryBound: 0
; FloatMode: 240
; IeeeMode: 1
; LDSByteSize: 17472 bytes/workgroup (compile time only)
; SGPRBlocks: 4
; VGPRBlocks: 17
; NumSGPRsForWavesPerEU: 38
; NumVGPRsForWavesPerEU: 140
; Occupancy: 10
; WaveLimiterHint : 1
; COMPUTE_PGM_RSRC2:SCRATCH_EN: 0
; COMPUTE_PGM_RSRC2:USER_SGPR: 13
; COMPUTE_PGM_RSRC2:TRAP_HANDLER: 0
; COMPUTE_PGM_RSRC2:TGID_X_EN: 1
; COMPUTE_PGM_RSRC2:TGID_Y_EN: 1
; COMPUTE_PGM_RSRC2:TGID_Z_EN: 1
; COMPUTE_PGM_RSRC2:TIDIG_COMP_CNT: 0
	.section	.text._Z39paged_attention_ll4mi_QKV_mfma16_kernelIDF16_hLN4vllm18Fp8KVCacheDataTypeE1EhLi32ELi128ELi256ELb1ELi5EL8MFMAType0EEvPKT_PKT0_S8_ifPKiSA_SA_iPKfiiiPfSD_PS3_PT2_iSC_SC_,"axG",@progbits,_Z39paged_attention_ll4mi_QKV_mfma16_kernelIDF16_hLN4vllm18Fp8KVCacheDataTypeE1EhLi32ELi128ELi256ELb1ELi5EL8MFMAType0EEvPKT_PKT0_S8_ifPKiSA_SA_iPKfiiiPfSD_PS3_PT2_iSC_SC_,comdat
	.protected	_Z39paged_attention_ll4mi_QKV_mfma16_kernelIDF16_hLN4vllm18Fp8KVCacheDataTypeE1EhLi32ELi128ELi256ELb1ELi5EL8MFMAType0EEvPKT_PKT0_S8_ifPKiSA_SA_iPKfiiiPfSD_PS3_PT2_iSC_SC_ ; -- Begin function _Z39paged_attention_ll4mi_QKV_mfma16_kernelIDF16_hLN4vllm18Fp8KVCacheDataTypeE1EhLi32ELi128ELi256ELb1ELi5EL8MFMAType0EEvPKT_PKT0_S8_ifPKiSA_SA_iPKfiiiPfSD_PS3_PT2_iSC_SC_
	.globl	_Z39paged_attention_ll4mi_QKV_mfma16_kernelIDF16_hLN4vllm18Fp8KVCacheDataTypeE1EhLi32ELi128ELi256ELb1ELi5EL8MFMAType0EEvPKT_PKT0_S8_ifPKiSA_SA_iPKfiiiPfSD_PS3_PT2_iSC_SC_
	.p2align	8
	.type	_Z39paged_attention_ll4mi_QKV_mfma16_kernelIDF16_hLN4vllm18Fp8KVCacheDataTypeE1EhLi32ELi128ELi256ELb1ELi5EL8MFMAType0EEvPKT_PKT0_S8_ifPKiSA_SA_iPKfiiiPfSD_PS3_PT2_iSC_SC_,@function
_Z39paged_attention_ll4mi_QKV_mfma16_kernelIDF16_hLN4vllm18Fp8KVCacheDataTypeE1EhLi32ELi128ELi256ELb1ELi5EL8MFMAType0EEvPKT_PKT0_S8_ifPKiSA_SA_iPKfiiiPfSD_PS3_PT2_iSC_SC_: ; @_Z39paged_attention_ll4mi_QKV_mfma16_kernelIDF16_hLN4vllm18Fp8KVCacheDataTypeE1EhLi32ELi128ELi256ELb1ELi5EL8MFMAType0EEvPKT_PKT0_S8_ifPKiSA_SA_iPKfiiiPfSD_PS3_PT2_iSC_SC_
; %bb.0:
	s_load_b64 s[4:5], s[0:1], 0x30
	s_mov_b32 s34, s13
	s_waitcnt lgkmcnt(0)
	s_cmp_lg_u64 s[4:5], 0
	s_cselect_b32 s8, -1, 0
	s_ashr_i32 s35, s13, 31
	s_cmp_eq_u64 s[4:5], 0
	s_cbranch_scc1 .LBB1282_3
; %bb.1:
	s_lshl_b64 s[2:3], s[34:35], 2
	s_delay_alu instid0(SALU_CYCLE_1) | instskip(SKIP_4) | instid1(SALU_CYCLE_1)
	s_add_u32 s2, s4, s2
	s_addc_u32 s3, s5, s3
	s_load_b64 s[2:3], s[2:3], 0x0
	s_waitcnt lgkmcnt(0)
	s_sub_i32 s2, s3, s2
	s_cmp_eq_u32 s2, 1
	s_cselect_b32 s2, -1, 0
	s_delay_alu instid0(SALU_CYCLE_1)
	s_and_not1_b32 vcc_lo, exec_lo, s2
	s_cbranch_vccz .LBB1282_4
.LBB1282_2:
	s_nop 0
	s_sendmsg sendmsg(MSG_DEALLOC_VGPRS)
	s_endpgm
.LBB1282_3:
.LBB1282_4:
	s_load_b64 s[2:3], s[0:1], 0x28
	s_lshl_b64 s[6:7], s[34:35], 2
	s_waitcnt lgkmcnt(0)
	s_add_u32 s2, s2, s6
	s_addc_u32 s3, s3, s7
	s_lshl_b32 s12, s14, 8
	s_load_b32 s24, s[2:3], 0x0
	s_waitcnt lgkmcnt(0)
	s_cmp_ge_i32 s12, s24
	s_cbranch_scc1 .LBB1282_2
; %bb.5:
	s_clause 0x1
	s_load_b128 s[20:23], s[0:1], 0x8
	s_load_b64 s[2:3], s[0:1], 0x20
	s_and_not1_b32 vcc_lo, exec_lo, s8
	s_cbranch_vccnz .LBB1282_7
; %bb.6:
	s_add_u32 s4, s4, s6
	s_addc_u32 s5, s5, s7
	s_load_b32 s5, s[4:5], 0x0
	s_branch .LBB1282_8
.LBB1282_7:
	s_mov_b32 s5, s34
.LBB1282_8:
	s_load_b128 s[16:19], s[0:1], 0x48
	v_and_b32_e32 v68, 15, v0
	v_lshrrev_b32_e32 v69, 5, v0
	v_bfe_u32 v66, v0, 4, 1
	v_and_b32_e32 v70, 31, v0
	v_and_b32_e32 v67, 1, v0
	v_lshlrev_b32_e32 v2, 3, v68
	s_mul_i32 s31, s15, 5
	v_lshl_or_b32 v1, v69, 1, v66
	s_mov_b32 s4, exec_lo
	s_delay_alu instid0(VALU_DEP_2) | instskip(NEXT) | instid1(VALU_DEP_2)
	v_lshlrev_b32_e32 v65, 1, v2
	v_cmpx_gt_u32_e32 5, v1
	s_cbranch_execz .LBB1282_10
; %bb.9:
	s_load_b64 s[6:7], s[0:1], 0x0
	v_add_lshl_u32 v2, v1, s31, 7
	s_waitcnt lgkmcnt(0)
	s_mul_hi_i32 s9, s5, s16
	s_mul_i32 s8, s5, s16
	v_lshlrev_b32_e32 v6, 10, v68
	s_lshl_b64 s[8:9], s[8:9], 1
	v_ashrrev_i32_e32 v3, 31, v2
	v_lshlrev_b32_e32 v1, 6, v1
	v_lshlrev_b32_e32 v7, 10, v67
	v_and_b32_e32 v6, 0x3800, v6
	s_delay_alu instid0(VALU_DEP_4) | instskip(NEXT) | instid1(VALU_DEP_2)
	v_lshlrev_b64 v[2:3], 1, v[2:3]
	v_or3_b32 v1, v6, v7, v1
	s_add_u32 s5, s6, s8
	s_addc_u32 s6, s7, s9
	s_delay_alu instid0(VALU_DEP_2) | instskip(NEXT) | instid1(VALU_DEP_3)
	v_add_co_u32 v2, vcc_lo, s5, v2
	v_add_co_ci_u32_e32 v3, vcc_lo, s6, v3, vcc_lo
	s_delay_alu instid0(VALU_DEP_2) | instskip(NEXT) | instid1(VALU_DEP_2)
	v_add_co_u32 v2, vcc_lo, v2, v65
	v_add_co_ci_u32_e32 v3, vcc_lo, 0, v3, vcc_lo
	global_load_b128 v[2:5], v[2:3], off
	s_waitcnt vmcnt(0)
	ds_store_b128 v1, v[2:5]
.LBB1282_10:
	s_or_b32 exec_lo, exec_lo, s4
	v_and_b32_e32 v1, 0xef, v0
	s_waitcnt lgkmcnt(0)
	s_add_i32 s5, s24, 31
	s_clause 0x1
	s_load_b32 s4, s[0:1], 0x38
	s_load_b32 s33, s[0:1], 0x98
	s_ashr_i32 s6, s5, 31
	v_add_nc_u32_e32 v1, s12, v1
	s_lshr_b32 s6, s6, 27
	s_load_b32 s19, s[0:1], 0x1c
	s_add_i32 s5, s5, s6
	s_waitcnt lgkmcnt(0)
	v_ashrrev_i32_e32 v2, 31, v1
	v_or_b32_e32 v3, 16, v1
	s_ashr_i32 s13, s5, 5
	v_cmp_gt_i32_e32 vcc_lo, s24, v1
	s_add_i32 s13, s13, -1
	v_lshrrev_b32_e32 v2, 27, v2
	s_barrier
	buffer_gl0_inv
	s_mul_i32 s15, s15, s18
	v_add_nc_u32_e32 v4, v1, v2
	s_mul_i32 s4, s34, s4
	s_delay_alu instid0(SALU_CYCLE_1) | instskip(NEXT) | instid1(VALU_DEP_1)
	s_ashr_i32 s5, s4, 31
	v_ashrrev_i32_e32 v4, 5, v4
	v_add_nc_u32_e32 v2, v3, v2
	s_lshl_b64 s[4:5], s[4:5], 2
	s_delay_alu instid0(SALU_CYCLE_1) | instskip(NEXT) | instid1(VALU_DEP_2)
	s_add_u32 s16, s2, s4
	v_cndmask_b32_e32 v1, s13, v4, vcc_lo
	s_delay_alu instid0(VALU_DEP_2)
	v_ashrrev_i32_e32 v2, 5, v2
	v_cmp_gt_i32_e32 vcc_lo, s24, v3
	s_addc_u32 s25, s3, s5
	s_ashr_i32 s18, s15, 31
	s_add_u32 s2, s20, s15
	s_addc_u32 s3, s21, s18
	v_cndmask_b32_e32 v3, s13, v2, vcc_lo
	v_ashrrev_i32_e32 v2, 31, v1
	s_lshl_b32 s4, s14, 3
	s_delay_alu instid0(SALU_CYCLE_1) | instskip(NEXT) | instid1(VALU_DEP_2)
	s_ashr_i32 s5, s4, 31
	v_ashrrev_i32_e32 v4, 31, v3
	s_delay_alu instid0(VALU_DEP_2) | instskip(SKIP_1) | instid1(SALU_CYCLE_1)
	v_lshlrev_b64 v[1:2], 2, v[1:2]
	s_lshl_b64 s[4:5], s[4:5], 2
	s_add_u32 s4, s16, s4
	s_delay_alu instid0(VALU_DEP_2) | instskip(SKIP_1) | instid1(VALU_DEP_2)
	v_lshlrev_b64 v[3:4], 2, v[3:4]
	s_addc_u32 s5, s25, s5
	v_add_co_u32 v1, vcc_lo, s16, v1
	v_add_co_ci_u32_e32 v2, vcc_lo, s25, v2, vcc_lo
	s_delay_alu instid0(VALU_DEP_3) | instskip(NEXT) | instid1(VALU_DEP_4)
	v_add_co_u32 v3, vcc_lo, s16, v3
	v_add_co_ci_u32_e32 v4, vcc_lo, s25, v4, vcc_lo
	s_clause 0x1
	global_load_b32 v5, v[1:2], off
	global_load_b32 v6, v[3:4], off
	s_or_b32 s6, s12, 32
	s_delay_alu instid0(SALU_CYCLE_1) | instskip(SKIP_2) | instid1(SALU_CYCLE_1)
	s_ashr_i32 s7, s6, 5
	s_cmp_lt_i32 s6, s24
	s_cselect_b32 s6, s7, s13
	s_ashr_i32 s7, s6, 31
	s_delay_alu instid0(SALU_CYCLE_1) | instskip(NEXT) | instid1(SALU_CYCLE_1)
	s_lshl_b64 s[6:7], s[6:7], 2
	s_add_u32 s6, s16, s6
	s_addc_u32 s7, s25, s7
	s_or_b32 s8, s12, 64
	s_delay_alu instid0(SALU_CYCLE_1) | instskip(SKIP_2) | instid1(SALU_CYCLE_1)
	s_ashr_i32 s9, s8, 5
	s_cmp_lt_i32 s8, s24
	s_cselect_b32 s8, s9, s13
	s_ashr_i32 s9, s8, 31
	s_delay_alu instid0(SALU_CYCLE_1) | instskip(NEXT) | instid1(SALU_CYCLE_1)
	s_lshl_b64 s[8:9], s[8:9], 2
	s_add_u32 s8, s16, s8
	s_addc_u32 s9, s25, s9
	;; [unrolled: 10-line block ×5, first 2 shown]
	s_clause 0x5
	s_load_b32 s28, s[4:5], 0x0
	s_load_b32 s29, s[6:7], 0x0
	;; [unrolled: 1-line block ×6, first 2 shown]
	s_mov_b32 s4, 0
	s_delay_alu instid0(SALU_CYCLE_1)
	s_mov_b32 s5, s4
	s_mov_b32 s6, s4
	;; [unrolled: 1-line block ×7, first 2 shown]
	s_delay_alu instid0(SALU_CYCLE_1)
	v_dual_mov_b32 v118, s11 :: v_dual_mov_b32 v117, s10
	v_dual_mov_b32 v116, s9 :: v_dual_mov_b32 v115, s8
	v_mov_b32_e32 v113, s6
	v_dual_mov_b32 v111, s4 :: v_dual_mov_b32 v114, s7
	v_mov_b32_e32 v112, s5
	s_waitcnt vmcnt(1)
	v_mad_i64_i32 v[1:2], null, v5, s17, s[2:3]
	v_lshlrev_b32_e32 v5, 4, v68
	s_waitcnt vmcnt(0)
	v_mad_i64_i32 v[3:4], null, v6, s17, s[2:3]
	s_or_b32 s2, s12, 0xc0
	s_delay_alu instid0(SALU_CYCLE_1) | instskip(NEXT) | instid1(VALU_DEP_3)
	s_ashr_i32 s3, s2, 5
	v_add_co_u32 v1, vcc_lo, v1, v5
	s_delay_alu instid0(VALU_DEP_4) | instskip(NEXT) | instid1(VALU_DEP_3)
	v_add_co_ci_u32_e32 v2, vcc_lo, 0, v2, vcc_lo
	v_add_co_u32 v3, vcc_lo, v3, v5
	s_delay_alu instid0(VALU_DEP_4)
	v_add_co_ci_u32_e32 v4, vcc_lo, 0, v4, vcc_lo
	s_clause 0xf
	global_load_b128 v[17:20], v[1:2], off
	global_load_b128 v[21:24], v[1:2], off offset:512
	global_load_b128 v[25:28], v[3:4], off offset:256
	;; [unrolled: 1-line block ×15, first 2 shown]
	v_mul_lo_u16 v1, v68, 52
	s_cmp_lt_i32 s2, s24
	v_lshlrev_b32_e32 v2, 5, v68
	s_cselect_b32 s2, s3, s13
	s_delay_alu instid0(VALU_DEP_2) | instskip(SKIP_1) | instid1(SALU_CYCLE_1)
	v_lshrrev_b16 v1, 8, v1
	s_ashr_i32 s3, s2, 31
	s_lshl_b64 s[2:3], s[2:3], 2
	s_delay_alu instid0(VALU_DEP_1) | instskip(SKIP_3) | instid1(VALU_DEP_1)
	v_mul_lo_u16 v1, v1, 5
	s_add_u32 s2, s16, s2
	s_addc_u32 s3, s25, s3
	s_or_b32 s20, s12, 0xe0
	v_sub_nc_u16 v1, v68, v1
	s_ashr_i32 s21, s20, 5
	s_cmp_lt_i32 s20, s24
	s_cselect_b32 s20, s21, s13
	s_delay_alu instid0(VALU_DEP_1) | instskip(SKIP_1) | instid1(SALU_CYCLE_1)
	v_and_b32_e32 v1, 0xff, v1
	s_ashr_i32 s21, s20, 31
	s_lshl_b64 s[4:5], s[20:21], 2
	s_delay_alu instid0(VALU_DEP_1)
	v_lshlrev_b32_e32 v149, 6, v1
	s_add_u32 s4, s16, s4
	s_addc_u32 s5, s25, s5
	v_lshl_or_b32 v1, v69, 9, v2
	ds_load_b128 v[119:122], v149
	ds_load_b128 v[123:126], v149 offset:1024
	ds_load_b128 v[127:130], v149 offset:2048
	;; [unrolled: 1-line block ×3, first 2 shown]
	s_clause 0x1
	s_load_b32 s2, s[2:3], 0x0
	s_load_b32 s3, s[4:5], 0x0
	s_add_u32 s6, s22, s15
	s_addc_u32 s7, s23, s18
	v_add_co_u32 v135, s6, s6, v1
	s_delay_alu instid0(VALU_DEP_1) | instskip(SKIP_1) | instid1(VALU_DEP_1)
	v_add_co_ci_u32_e64 v136, null, s7, 0, s6
	s_waitcnt lgkmcnt(0)
	v_mad_i64_i32 v[1:2], null, s28, s17, v[135:136]
	v_mad_i64_i32 v[3:4], null, s29, s17, v[135:136]
	;; [unrolled: 1-line block ×6, first 2 shown]
	s_clause 0x9
	global_load_b128 v[49:52], v[1:2], off
	global_load_b128 v[53:56], v[1:2], off offset:16
	global_load_b128 v[41:44], v[3:4], off
	global_load_b128 v[45:48], v[3:4], off offset:16
	;; [unrolled: 2-line block ×5, first 2 shown]
	v_mad_i64_i32 v[145:146], null, s2, s17, v[135:136]
	v_mad_i64_i32 v[147:148], null, s3, s17, v[135:136]
	s_waitcnt vmcnt(24)
	v_wmma_f32_16x16x16_f16 v[135:142], v[17:24], v[119:126], v[111:118]
	s_waitcnt vmcnt(22)
	v_wmma_f32_16x16x16_f16 v[111:118], v[25:32], v[119:126], v[111:118]
	s_clause 0x3
	global_load_b128 v[17:20], v[143:144], off
	global_load_b128 v[21:24], v[143:144], off offset:16
	global_load_b128 v[25:28], v[145:146], off
	global_load_b128 v[29:32], v[145:146], off offset:16
	v_and_b32_e32 v119, 0xe0, v0
	s_waitcnt vmcnt(24)
	v_wmma_f32_16x16x16_f16 v[135:142], v[57:64], v[127:134], v[135:142]
	s_clause 0x1
	global_load_b128 v[57:60], v[147:148], off
	global_load_b128 v[61:64], v[147:148], off offset:16
	s_waitcnt vmcnt(24)
	v_wmma_f32_16x16x16_f16 v[111:118], v[71:78], v[127:134], v[111:118]
	ds_load_b128 v[71:74], v149 offset:4096
	ds_load_b128 v[75:78], v149 offset:5120
	v_add_nc_u32_e32 v128, s12, v119
	ds_load_b128 v[119:122], v149 offset:6144
	ds_load_b128 v[123:126], v149 offset:7168
	v_mbcnt_lo_u32_b32 v127, -1, 0
	s_waitcnt vmcnt(0) lgkmcnt(0)
	s_barrier
	v_or_b32_e32 v128, v128, v66
	buffer_gl0_inv
	v_xor_b32_e32 v129, 16, v127
	v_or_b32_e32 v130, 4, v128
	v_or_b32_e32 v131, 6, v128
	s_delay_alu instid0(VALU_DEP_3) | instskip(SKIP_4) | instid1(VALU_DEP_4)
	v_cmp_gt_i32_e32 vcc_lo, 32, v129
	v_or_b32_e32 v132, 8, v128
	v_or_b32_e32 v133, 10, v128
	v_cmp_gt_i32_e64 s3, s24, v130
	v_cmp_gt_i32_e64 s4, s24, v131
	;; [unrolled: 1-line block ×3, first 2 shown]
	v_wmma_f32_16x16x16_f16 v[135:142], v[79:86], v[71:78], v[135:142]
	v_wmma_f32_16x16x16_f16 v[111:118], v[87:94], v[71:78], v[111:118]
	v_or_b32_e32 v79, 12, v128
	v_or_b32_e32 v80, 14, v128
	v_cmp_gt_i32_e64 s6, s24, v133
	v_wmma_f32_16x16x16_f16 v[135:142], v[95:102], v[119:126], v[135:142]
	v_cndmask_b32_e32 v127, v127, v129, vcc_lo
	v_or_b32_e32 v129, 2, v128
	v_wmma_f32_16x16x16_f16 v[111:118], v[103:110], v[119:126], v[111:118]
	v_cmp_gt_i32_e32 vcc_lo, s24, v128
	v_dual_mul_f32 v88, s19, v135 :: v_dual_mul_f32 v87, s19, v136
	s_delay_alu instid0(VALU_DEP_4) | instskip(NEXT) | instid1(VALU_DEP_4)
	v_cmp_gt_i32_e64 s2, s24, v129
	v_mul_f32_e32 v94, s19, v113
	v_mul_f32_e32 v78, s19, v138
	;; [unrolled: 1-line block ×3, first 2 shown]
	v_cndmask_b32_e32 v88, 0xff7fffff, v88, vcc_lo
	v_cndmask_b32_e64 v87, 0xff7fffff, v87, s2
	v_dual_mul_f32 v76, s19, v140 :: v_dual_mul_f32 v77, s19, v139
	v_mul_f32_e32 v90, s19, v117
	v_cndmask_b32_e64 v86, 0xff7fffff, v86, s3
	v_cndmask_b32_e64 v78, 0xff7fffff, v78, s4
	v_max3_f32 v87, v88, 0xff7fffff, v87
	v_or_b32_e32 v81, 16, v128
	v_or_b32_e32 v82, 18, v128
	v_dual_mul_f32 v74, s19, v142 :: v_dual_mul_f32 v75, s19, v141
	v_mul_f32_e32 v92, s19, v115
	v_cndmask_b32_e64 v77, 0xff7fffff, v77, s5
	v_cndmask_b32_e64 v76, 0xff7fffff, v76, s6
	v_max3_f32 v78, v87, v86, v78
	v_cmp_gt_i32_e64 s7, s24, v79
	v_cmp_gt_i32_e64 s8, s24, v80
	v_or_b32_e32 v83, 20, v128
	v_or_b32_e32 v84, 22, v128
	v_dual_mul_f32 v89, s19, v118 :: v_dual_mul_f32 v96, s19, v111
	v_mul_f32_e32 v95, s19, v112
	v_cndmask_b32_e64 v75, 0xff7fffff, v75, s7
	v_cndmask_b32_e64 v74, 0xff7fffff, v74, s8
	v_max3_f32 v76, v78, v77, v76
	v_cmp_gt_i32_e64 s9, s24, v81
	v_cmp_gt_i32_e64 s10, s24, v82
	v_or_b32_e32 v85, 24, v128
	v_or_b32_e32 v71, 26, v128
	v_mul_f32_e32 v93, s19, v114
	v_cndmask_b32_e64 v77, 0xff7fffff, v96, s9
	v_cndmask_b32_e64 v78, 0xff7fffff, v95, s10
	v_max3_f32 v74, v76, v75, v74
	v_cmp_gt_i32_e64 s11, s24, v83
	v_cmp_gt_i32_e64 s12, s24, v84
	v_or_b32_e32 v72, 28, v128
	v_or_b32_e32 v73, 30, v128
	v_mul_f32_e32 v91, s19, v116
	v_cndmask_b32_e64 v75, 0xff7fffff, v94, s11
	v_cndmask_b32_e64 v76, 0xff7fffff, v93, s12
	v_max3_f32 v74, v74, v77, v78
	v_cmp_gt_i32_e64 s13, s24, v85
	v_cmp_gt_i32_e64 s15, s24, v71
	;; [unrolled: 1-line block ×4, first 2 shown]
	v_max3_f32 v74, v74, v75, v76
	v_cndmask_b32_e64 v77, 0xff7fffff, v92, s13
	v_cndmask_b32_e64 v71, 0xff7fffff, v91, s15
	v_cndmask_b32_e64 v72, 0xff7fffff, v90, s16
	v_cndmask_b32_e64 v73, 0xff7fffff, v89, s17
	s_delay_alu instid0(VALU_DEP_3) | instskip(SKIP_1) | instid1(VALU_DEP_2)
	v_max3_f32 v71, v74, v77, v71
	v_lshlrev_b32_e32 v74, 2, v127
	v_max3_f32 v71, v71, v72, v73
	ds_bpermute_b32 v72, v74, v71
	s_waitcnt lgkmcnt(0)
	v_max_f32_e32 v72, v72, v72
	s_delay_alu instid0(VALU_DEP_1) | instskip(NEXT) | instid1(VALU_DEP_1)
	v_max_f32_e32 v71, v71, v72
	v_fma_f32 v75, s19, v137, -v71
	v_fma_f32 v76, s19, v138, -v71
	;; [unrolled: 1-line block ×5, first 2 shown]
	s_delay_alu instid0(VALU_DEP_4) | instskip(NEXT) | instid1(VALU_DEP_4)
	v_dual_mul_f32 v75, 0x3fb8aa3b, v75 :: v_dual_mul_f32 v76, 0x3fb8aa3b, v76
	v_mul_f32_e32 v72, 0x3fb8aa3b, v72
	v_fma_f32 v77, s19, v139, -v71
	s_delay_alu instid0(VALU_DEP_4) | instskip(NEXT) | instid1(VALU_DEP_4)
	v_mul_f32_e32 v73, 0x3fb8aa3b, v73
	v_exp_f32_e32 v75, v75
	v_exp_f32_e32 v76, v76
	;; [unrolled: 1-line block ×3, first 2 shown]
	s_delay_alu instid0(VALU_DEP_1) | instskip(SKIP_2) | instid1(TRANS32_DEP_3)
	v_exp_f32_e32 v73, v73
	v_cndmask_b32_e64 v81, 0, v75, s3
	v_mul_f32_e32 v82, 0x3fb8aa3b, v80
	v_cndmask_b32_e64 v80, 0, v76, s4
	s_waitcnt_depctr 0xfff
	v_cndmask_b32_e64 v78, 0, v73, s2
	v_cmp_gt_u32_e64 s2, 16, v70
	v_exp_f32_e32 v84, v82
	s_waitcnt_depctr 0xfff
	v_cndmask_b32_e64 v85, 0, v84, s7
	v_cndmask_b32_e32 v79, 0, v72, vcc_lo
	v_fma_f32 v72, s19, v140, -v71
	v_mul_f32_e32 v77, 0x3fb8aa3b, v77
	s_delay_alu instid0(VALU_DEP_2) | instskip(NEXT) | instid1(VALU_DEP_2)
	v_dual_add_f32 v73, 0, v79 :: v_dual_mul_f32 v72, 0x3fb8aa3b, v72
	v_exp_f32_e32 v77, v77
	s_delay_alu instid0(VALU_DEP_1) | instskip(NEXT) | instid1(VALU_DEP_2)
	v_add_f32_e32 v73, v73, v78
	v_exp_f32_e32 v72, v72
	s_delay_alu instid0(VALU_DEP_1) | instskip(SKIP_4) | instid1(VALU_DEP_2)
	v_add_f32_e32 v73, v73, v81
	s_waitcnt_depctr 0xfff
	v_cndmask_b32_e64 v83, 0, v77, s5
	v_add_f32_e32 v73, v73, v80
	v_cndmask_b32_e64 v82, 0, v72, s6
	v_add_f32_e32 v72, v73, v83
	s_delay_alu instid0(VALU_DEP_1)
	v_add_f32_e32 v72, v72, v82
	v_fma_f32 v75, s19, v142, -v71
	v_fma_f32 v76, s19, v111, -v71
	;; [unrolled: 1-line block ×5, first 2 shown]
	s_delay_alu instid0(VALU_DEP_4) | instskip(NEXT) | instid1(VALU_DEP_4)
	v_dual_mul_f32 v75, 0x3fb8aa3b, v75 :: v_dual_mul_f32 v76, 0x3fb8aa3b, v76
	v_mul_f32_e32 v86, 0x3fb8aa3b, v86
	v_add_f32_e32 v72, v72, v85
	s_delay_alu instid0(VALU_DEP_3) | instskip(NEXT) | instid1(VALU_DEP_3)
	v_exp_f32_e32 v75, v75
	v_exp_f32_e32 v76, v76
	s_delay_alu instid0(VALU_DEP_2) | instskip(NEXT) | instid1(TRANS32_DEP_3)
	v_exp_f32_e32 v88, v86
	v_cndmask_b32_e64 v84, 0, v75, s8
	v_mul_f32_e32 v77, 0x3fb8aa3b, v77
	s_waitcnt_depctr 0xfff
	v_cndmask_b32_e64 v87, 0, v76, s9
	v_fma_f32 v76, s19, v116, -v71
	v_dual_mul_f32 v73, 0x3fb8aa3b, v73 :: v_dual_add_f32 v72, v72, v84
	v_exp_f32_e32 v77, v77
	v_fma_f32 v75, s19, v115, -v71
	s_delay_alu instid0(VALU_DEP_3) | instskip(NEXT) | instid1(VALU_DEP_3)
	v_mul_f32_e32 v76, 0x3fb8aa3b, v76
	v_exp_f32_e32 v73, v73
	v_add_f32_e32 v72, v72, v87
	v_cndmask_b32_e64 v88, 0, v88, s12
	s_delay_alu instid0(VALU_DEP_3) | instskip(NEXT) | instid1(TRANS32_DEP_3)
	v_exp_f32_e32 v76, v76
	v_cndmask_b32_e64 v86, 0, v77, s10
	v_mul_f32_e32 v75, 0x3fb8aa3b, v75
	v_fma_f32 v77, s19, v117, -v71
	s_delay_alu instid0(TRANS32_DEP_2) | instskip(NEXT) | instid1(VALU_DEP_4)
	v_cndmask_b32_e64 v89, 0, v73, s11
	v_add_f32_e32 v72, v72, v86
	s_delay_alu instid0(VALU_DEP_4) | instskip(NEXT) | instid1(TRANS32_DEP_2)
	v_exp_f32_e32 v75, v75
	v_cndmask_b32_e64 v90, 0, v76, s15
	s_delay_alu instid0(VALU_DEP_2) | instskip(SKIP_2) | instid1(VALU_DEP_3)
	v_add_f32_e32 v72, v72, v89
	v_mul_f32_e32 v73, 0x3fb8aa3b, v77
	v_fma_f32 v77, s19, v118, -v71
	v_add_f32_e32 v72, v72, v88
	s_delay_alu instid0(VALU_DEP_3) | instskip(NEXT) | instid1(TRANS32_DEP_2)
	v_exp_f32_e32 v73, v73
	v_cndmask_b32_e64 v91, 0, v75, s13
	s_delay_alu instid0(VALU_DEP_1) | instskip(NEXT) | instid1(VALU_DEP_1)
	v_dual_mul_f32 v75, 0x3fb8aa3b, v77 :: v_dual_add_f32 v72, v72, v91
	v_exp_f32_e32 v75, v75
	s_waitcnt_depctr 0xfff
	v_cndmask_b32_e64 v93, 0, v73, s16
	v_add_f32_e32 v72, v72, v90
	s_delay_alu instid0(VALU_DEP_1) | instskip(SKIP_1) | instid1(VALU_DEP_1)
	v_add_f32_e32 v72, v72, v93
	v_cndmask_b32_e64 v92, 0, v75, s17
	v_add_f32_e32 v72, v72, v92
	ds_bpermute_b32 v73, v74, v72
	s_and_saveexec_b32 s3, s2
	s_cbranch_execz .LBB1282_12
; %bb.11:
	v_mul_u32_u24_e32 v70, 0x44, v69
	s_waitcnt lgkmcnt(0)
	v_add_f32_e32 v72, v72, v73
	s_delay_alu instid0(VALU_DEP_2) | instskip(NEXT) | instid1(VALU_DEP_1)
	v_lshl_add_u32 v70, v68, 2, v70
	v_add_nc_u32_e32 v70, 0x4000, v70
	ds_store_2addr_b32 v70, v71, v72 offset1:136
.LBB1282_12:
	s_or_b32 exec_lo, exec_lo, s3
	v_lshlrev_b32_e32 v70, 2, v68
	s_load_b32 s35, s[0:1], 0x94
	s_waitcnt lgkmcnt(0)
	s_barrier
	buffer_gl0_inv
	v_add_nc_u32_e32 v98, 0x4000, v70
	v_cmp_eq_u32_e32 vcc_lo, 1, v69
	v_cmp_eq_u32_e64 s3, 2, v69
	v_cmp_eq_u32_e64 s4, 3, v69
	;; [unrolled: 1-line block ×3, first 2 shown]
	ds_load_2addr_b32 v[70:71], v98 offset1:17
	ds_load_2addr_b32 v[72:73], v98 offset0:34 offset1:51
	ds_load_2addr_b32 v[74:75], v98 offset0:68 offset1:85
	;; [unrolled: 1-line block ×3, first 2 shown]
	v_cmp_eq_u32_e64 s6, 5, v69
	v_cmp_eq_u32_e64 s7, 7, v69
	s_waitcnt lgkmcnt(3)
	v_max3_f32 v76, v70, 0xff7fffff, v71
	s_waitcnt lgkmcnt(2)
	s_delay_alu instid0(VALU_DEP_1) | instskip(SKIP_1) | instid1(VALU_DEP_1)
	v_max3_f32 v76, v76, v72, v73
	s_waitcnt lgkmcnt(1)
	v_max3_f32 v76, v76, v74, v75
	s_waitcnt lgkmcnt(0)
	s_delay_alu instid0(VALU_DEP_1) | instskip(NEXT) | instid1(VALU_DEP_1)
	v_max3_f32 v76, v76, v94, v95
	v_sub_f32_e32 v77, v71, v76
	ds_load_2addr_b32 v[96:97], v98 offset0:136 offset1:153
	v_sub_f32_e32 v74, v74, v76
	v_sub_f32_e32 v70, v70, v76
	;; [unrolled: 1-line block ×3, first 2 shown]
	v_dual_sub_f32 v72, v72, v76 :: v_dual_mul_f32 v77, 0x3fb8aa3b, v77
	s_delay_alu instid0(VALU_DEP_4) | instskip(NEXT) | instid1(VALU_DEP_4)
	v_mul_f32_e32 v103, 0x3fb8aa3b, v74
	v_mul_f32_e32 v99, 0x3fb8aa3b, v70
	ds_load_2addr_b32 v[70:71], v98 offset0:170 offset1:187
	v_dual_mul_f32 v101, 0x3fb8aa3b, v72 :: v_dual_mul_f32 v94, 0x3fb8aa3b, v94
	v_exp_f32_e32 v102, v77
	v_exp_f32_e32 v99, v99
	s_delay_alu instid0(VALU_DEP_1) | instskip(NEXT) | instid1(VALU_DEP_1)
	v_exp_f32_e32 v101, v101
	v_exp_f32_e32 v94, v94
	s_waitcnt lgkmcnt(1)
	s_delay_alu instid0(TRANS32_DEP_3)
	v_fma_f32 v77, v99, v96, 0
	v_sub_f32_e32 v100, v73, v76
	ds_load_2addr_b32 v[72:73], v98 offset0:204 offset1:221
	v_fmac_f32_e32 v77, v102, v97
	v_exp_f32_e32 v97, v103
	s_waitcnt lgkmcnt(1)
	s_delay_alu instid0(VALU_DEP_1)
	v_dual_fmac_f32 v77, v101, v70 :: v_dual_sub_f32 v96, v75, v76
	ds_load_2addr_b32 v[74:75], v98 offset0:238 offset1:255
	v_sub_f32_e32 v70, v95, v76
	s_waitcnt lgkmcnt(0)
	s_barrier
	v_mul_f32_e32 v96, 0x3fb8aa3b, v96
	buffer_gl0_inv
	v_exp_f32_e32 v95, v96
	v_mul_f32_e32 v100, 0x3fb8aa3b, v100
	s_delay_alu instid0(VALU_DEP_1) | instskip(SKIP_3) | instid1(VALU_DEP_2)
	v_exp_f32_e32 v100, v100
	s_waitcnt_depctr 0xfff
	v_dual_fmac_f32 v77, v100, v71 :: v_dual_mul_f32 v70, 0x3fb8aa3b, v70
	v_cndmask_b32_e32 v71, v99, v102, vcc_lo
	v_fmac_f32_e32 v77, v97, v72
	s_delay_alu instid0(VALU_DEP_3) | instskip(NEXT) | instid1(VALU_DEP_1)
	v_exp_f32_e32 v96, v70
	v_fmac_f32_e32 v77, v95, v73
	s_delay_alu instid0(VALU_DEP_1) | instskip(SKIP_2) | instid1(VALU_DEP_1)
	v_fmac_f32_e32 v77, v94, v74
	s_waitcnt_depctr 0xfff
	v_fmac_f32_e32 v77, v96, v75
	v_add_f32_e32 v74, 0x358637bd, v77
	s_delay_alu instid0(VALU_DEP_1) | instskip(SKIP_1) | instid1(VALU_DEP_2)
	v_div_scale_f32 v98, null, v74, v74, 1.0
	v_div_scale_f32 v99, vcc_lo, 1.0, v74, 1.0
	v_rcp_f32_e32 v103, v98
	s_waitcnt_depctr 0xfff
	v_fma_f32 v70, -v98, v103, 1.0
	s_delay_alu instid0(VALU_DEP_1) | instskip(SKIP_2) | instid1(VALU_DEP_2)
	v_fmac_f32_e32 v103, v70, v103
	v_cndmask_b32_e64 v70, v71, v101, s3
	v_cmp_eq_u32_e64 s3, 6, v69
	v_cndmask_b32_e64 v71, v70, v100, s4
	s_delay_alu instid0(VALU_DEP_4) | instskip(NEXT) | instid1(VALU_DEP_2)
	v_dual_mul_f32 v101, v99, v103 :: v_dual_lshlrev_b32 v70, 2, v66
	v_cndmask_b32_e64 v71, v71, v97, s5
	s_delay_alu instid0(VALU_DEP_2) | instskip(NEXT) | instid1(VALU_DEP_3)
	v_or_b32_e32 v72, 1, v70
	v_fma_f32 v100, -v98, v101, v99
	v_cmp_eq_u32_e64 s4, 1, v70
	v_cmp_eq_u32_e64 s5, 2, v70
	v_cndmask_b32_e64 v95, v71, v95, s6
	v_or_b32_e32 v71, 3, v70
	v_fmac_f32_e32 v101, v100, v103
	v_cmp_eq_u32_e64 s9, 1, v72
	v_cmp_eq_u32_e64 s12, 2, v72
	v_cndmask_b32_e64 v94, v95, v94, s3
	v_cmp_eq_u32_e64 s11, 1, v71
	v_fma_f32 v97, -v98, v101, v99
	v_cmp_eq_u32_e64 s16, 2, v71
	v_cmp_eq_u32_e64 s13, 3, v72
	v_cndmask_b32_e64 v94, v94, v96, s7
	v_cmp_eq_u32_e64 s18, 3, v71
	v_div_fmas_f32 v95, v97, v103, v101
	v_cmp_eq_u32_e32 vcc_lo, 3, v70
	v_cmp_eq_u32_e64 s3, 4, v70
	v_cmp_eq_u32_e64 s19, 4, v72
	;; [unrolled: 1-line block ×3, first 2 shown]
	v_div_fixup_f32 v95, v95, v74, 1.0
	v_lshlrev_b32_e32 v73, 6, v68
	v_cmp_eq_u32_e64 s6, 5, v70
	v_cmp_eq_u32_e64 s20, 5, v72
	;; [unrolled: 1-line block ×3, first 2 shown]
	v_mul_f32_e32 v102, v94, v95
	v_lshl_or_b32 v75, v69, 11, v73
	v_or_b32_e32 v69, 2, v70
	v_cmp_eq_u32_e64 s25, 6, v72
	v_cmp_eq_u32_e64 s27, 6, v71
	v_fma_mixlo_f16 v94, v102, v79, 0
	v_fma_mixlo_f16 v95, v102, v81, 0
	;; [unrolled: 1-line block ×8, first 2 shown]
	v_lshl_or_b32 v74, v66, 4, v75
	v_fma_mixhi_f16 v94, v102, v78, 0
	v_fma_mixhi_f16 v95, v102, v80, 0
	;; [unrolled: 1-line block ×8, first 2 shown]
	ds_store_b128 v74, v[94:97]
	ds_store_b128 v74, v[98:101] offset:1024
	s_waitcnt lgkmcnt(0)
	s_barrier
	buffer_gl0_inv
	ds_load_b128 v[78:81], v75
	ds_load_b128 v[82:85], v75 offset:16
	ds_load_b128 v[86:89], v75 offset:1024
	;; [unrolled: 1-line block ×3, first 2 shown]
	v_cmp_eq_u32_e64 s10, 1, v69
	v_cmp_eq_u32_e64 s15, 2, v69
	;; [unrolled: 1-line block ×11, first 2 shown]
	s_waitcnt lgkmcnt(3)
	v_lshrrev_b32_e32 v94, 16, v78
	s_waitcnt lgkmcnt(2)
	v_lshrrev_b32_e32 v98, 16, v82
	s_waitcnt lgkmcnt(1)
	v_lshrrev_b32_e32 v102, 16, v86
	s_waitcnt lgkmcnt(0)
	v_lshrrev_b32_e32 v106, 16, v90
	v_lshrrev_b32_e32 v95, 16, v79
	v_cndmask_b32_e64 v110, v78, v94, s4
	v_cndmask_b32_e64 v111, v82, v98, s4
	;; [unrolled: 1-line block ×8, first 2 shown]
	v_lshrrev_b32_e32 v99, 16, v83
	v_cndmask_b32_e64 v94, v86, v102, s4
	v_cndmask_b32_e64 v98, v90, v106, s4
	;; [unrolled: 1-line block ×15, first 2 shown]
	v_lshrrev_b32_e32 v103, 16, v87
	v_lshrrev_b32_e32 v107, 16, v91
	v_cndmask_b32_e64 v113, v115, v83, s15
	v_cndmask_b32_e64 v82, v94, v87, s5
	;; [unrolled: 1-line block ×7, first 2 shown]
	v_cndmask_b32_e32 v90, v102, v95, vcc_lo
	v_cndmask_b32_e32 v102, v106, v99, vcc_lo
	v_cndmask_b32_e64 v106, v110, v95, s13
	v_cndmask_b32_e64 v110, v111, v99, s13
	;; [unrolled: 1-line block ×4, first 2 shown]
	v_lshrrev_b32_e32 v96, 16, v80
	v_lshrrev_b32_e32 v100, 16, v84
	v_cndmask_b32_e64 v111, v112, v95, s17
	v_cndmask_b32_e64 v112, v113, v99, s17
	v_cndmask_b32_e32 v82, v82, v103, vcc_lo
	v_cndmask_b32_e32 v83, v83, v107, vcc_lo
	v_cndmask_b32_e64 v94, v94, v103, s13
	v_cndmask_b32_e64 v90, v90, v80, s3
	;; [unrolled: 1-line block ×7, first 2 shown]
	v_lshrrev_b32_e32 v104, 16, v88
	v_cndmask_b32_e64 v106, v111, v80, s21
	v_cndmask_b32_e64 v110, v112, v84, s21
	;; [unrolled: 1-line block ×11, first 2 shown]
	v_lshrrev_b32_e32 v97, 16, v81
	v_lshrrev_b32_e32 v101, 16, v85
	v_cndmask_b32_e64 v99, v106, v96, s23
	v_cndmask_b32_e64 v102, v110, v100, s23
	v_cndmask_b32_e64 v83, v83, v104, s20
	v_cndmask_b32_e64 v94, v94, v81, s25
	v_cndmask_b32_e64 v95, v95, v85, s25
	v_cndmask_b32_e64 v78, v78, v81, s27
	v_cndmask_b32_e64 v79, v79, v85, s27
	v_lshrrev_b32_e32 v105, 16, v89
	v_cndmask_b32_e64 v80, v80, v104, s6
	v_cndmask_b32_e64 v84, v84, v81, s7
	v_cndmask_b32_e64 v90, v90, v85, s7
	v_cndmask_b32_e64 v96, v99, v81, s26
	v_cndmask_b32_e64 v99, v102, v85, s26
	v_cndmask_b32_e64 v81, v83, v89, s25
	v_cndmask_b32_e64 v85, v94, v97, s30
	v_cndmask_b32_e64 v78, v78, v97, s29
	v_cndmask_b32_e64 v79, v79, v101, s29
	v_cndmask_b32_e64 v95, v95, v101, s30
	v_cndmask_b32_e64 v80, v80, v89, s7
	v_cndmask_b32_e64 v83, v84, v97, s8
	v_cndmask_b32_e64 v84, v90, v101, s8
	v_cndmask_b32_e64 v90, v96, v97, s28
	v_cndmask_b32_e64 v94, v99, v101, s28
	v_cndmask_b32_e64 v97, v81, v105, s30
	v_perm_b32 v81, v79, v78, 0x5040100
	v_perm_b32 v79, v95, v85, 0x5040100
	v_cndmask_b32_e64 v78, v119, v91, s15
	v_cndmask_b32_e64 v85, v117, v91, s12
	;; [unrolled: 1-line block ×3, first 2 shown]
	v_perm_b32 v80, v94, v90, 0x5040100
	v_cndmask_b32_e64 v90, v98, v103, s17
	v_cndmask_b32_e64 v86, v86, v103, s18
	;; [unrolled: 1-line block ×5, first 2 shown]
	v_lshrrev_b32_e32 v108, 16, v92
	v_cndmask_b32_e64 v90, v90, v88, s21
	v_cndmask_b32_e64 v86, v86, v88, s22
	;; [unrolled: 1-line block ×11, first 2 shown]
	v_lshrrev_b32_e32 v109, 16, v93
	v_cndmask_b32_e64 v82, v82, v93, s7
	v_cndmask_b32_e64 v88, v88, v89, s26
	;; [unrolled: 1-line block ×12, first 2 shown]
	v_perm_b32 v78, v84, v83, 0x5040100
	v_perm_b32 v85, v87, v86, 0x5040100
	;; [unrolled: 1-line block ×5, first 2 shown]
	s_mul_i32 s8, s33, 5
	s_mov_b32 s3, exec_lo
	ds_store_b128 v74, v[78:81]
	ds_store_b128 v74, v[82:85] offset:1024
	v_cmpx_gt_u32_e32 5, v0
	s_cbranch_execz .LBB1282_14
; %bb.13:
	s_mul_i32 s4, s8, s34
	s_delay_alu instid0(SALU_CYCLE_1) | instskip(SKIP_1) | instid1(VALU_DEP_1)
	v_add3_u32 v68, s4, s31, v68
	s_load_b128 s[4:7], s[0:1], 0x58
	v_mad_u64_u32 v[78:79], null, v68, s35, s[14:15]
	s_delay_alu instid0(VALU_DEP_1) | instskip(NEXT) | instid1(VALU_DEP_1)
	v_ashrrev_i32_e32 v79, 31, v78
	v_lshlrev_b64 v[78:79], 2, v[78:79]
	s_waitcnt lgkmcnt(0)
	s_delay_alu instid0(VALU_DEP_1) | instskip(NEXT) | instid1(VALU_DEP_2)
	v_add_co_u32 v80, vcc_lo, s6, v78
	v_add_co_ci_u32_e32 v81, vcc_lo, s7, v79, vcc_lo
	v_add_co_u32 v78, vcc_lo, s4, v78
	v_add_co_ci_u32_e32 v79, vcc_lo, s5, v79, vcc_lo
	global_store_b32 v[80:81], v76, off
	global_store_b32 v[78:79], v77, off
.LBB1282_14:
	s_or_b32 exec_lo, exec_lo, s3
	s_waitcnt lgkmcnt(0)
	s_waitcnt_vscnt null, 0x0
	s_barrier
	buffer_gl0_inv
	ds_load_b128 v[84:87], v73
	ds_load_b128 v[88:91], v73 offset:16
	ds_load_b128 v[96:99], v73 offset:2064
	;; [unrolled: 1-line block ×5, first 2 shown]
	v_cmp_eq_u32_e32 vcc_lo, 1, v70
	v_mov_b32_e32 v76, 0
	ds_load_b128 v[112:115], v73 offset:6160
	ds_load_b128 v[108:111], v73 offset:6144
	;; [unrolled: 1-line block ×4, first 2 shown]
	v_cmp_eq_u32_e64 s4, 1, v69
	v_cmp_eq_u32_e64 s3, 1, v72
	;; [unrolled: 1-line block ×3, first 2 shown]
	v_mov_b32_e32 v77, v76
	v_mov_b32_e32 v78, v76
	;; [unrolled: 1-line block ×7, first 2 shown]
	v_cmp_eq_u32_e64 s6, 3, v72
	v_cmp_eq_u32_e64 s7, 7, v72
	s_waitcnt lgkmcnt(8)
	s_delay_alu instid0(VALU_DEP_3)
	v_wmma_f32_16x16x16_f16 v[76:83], v[49:56], v[84:91], v[76:83]
	ds_load_b128 v[53:56], v73 offset:10256
	ds_load_b128 v[49:52], v73 offset:10240
	s_waitcnt lgkmcnt(8)
	v_wmma_f32_16x16x16_f16 v[76:83], v[41:48], v[92:99], v[76:83]
	ds_load_b128 v[45:48], v73 offset:12304
	ds_load_b128 v[41:44], v73 offset:12288
	s_waitcnt lgkmcnt(8)
	;; [unrolled: 4-line block ×3, first 2 shown]
	s_barrier
	buffer_gl0_inv
	v_wmma_f32_16x16x16_f16 v[76:83], v[1:8], v[108:115], v[76:83]
	s_delay_alu instid0(VALU_DEP_1) | instskip(NEXT) | instid1(VALU_DEP_1)
	v_wmma_f32_16x16x16_f16 v[76:83], v[9:16], v[116:123], v[76:83]
	v_wmma_f32_16x16x16_f16 v[76:83], v[17:24], v[49:56], v[76:83]
	s_delay_alu instid0(VALU_DEP_1) | instskip(NEXT) | instid1(VALU_DEP_1)
	v_wmma_f32_16x16x16_f16 v[76:83], v[25:32], v[41:48], v[76:83]
	v_wmma_f32_16x16x16_f16 v[76:83], v[57:64], v[33:40], v[76:83]
	s_delay_alu instid0(VALU_DEP_1) | instskip(NEXT) | instid1(VALU_DEP_2)
	v_cvt_f16_f32_e32 v1, v76
	v_cvt_f16_f32_e32 v2, v77
	s_delay_alu instid0(VALU_DEP_3) | instskip(NEXT) | instid1(VALU_DEP_4)
	v_cvt_f16_f32_e32 v3, v78
	v_cvt_f16_f32_e32 v4, v79
	;; [unrolled: 1-line block ×6, first 2 shown]
	v_pack_b32_f16 v1, v1, v2
	v_pack_b32_f16 v2, v3, v4
	;; [unrolled: 1-line block ×3, first 2 shown]
	s_delay_alu instid0(VALU_DEP_4)
	v_pack_b32_f16 v4, v7, v8
	ds_store_b128 v74, v[1:4]
	s_waitcnt lgkmcnt(0)
	s_barrier
	buffer_gl0_inv
	ds_load_b128 v[1:4], v75
	ds_load_b128 v[5:8], v75 offset:16
	s_waitcnt lgkmcnt(1)
	v_lshrrev_b32_e32 v9, 16, v1
	s_waitcnt lgkmcnt(0)
	v_lshrrev_b32_e32 v13, 16, v5
	v_lshrrev_b32_e32 v10, 16, v2
	;; [unrolled: 1-line block ×4, first 2 shown]
	v_cndmask_b32_e32 v17, v1, v9, vcc_lo
	v_cndmask_b32_e32 v18, v5, v13, vcc_lo
	v_cndmask_b32_e64 v21, v1, v9, s4
	v_cmp_eq_u32_e32 vcc_lo, 1, v71
	v_cndmask_b32_e64 v22, v5, v13, s4
	v_cmp_eq_u32_e64 s4, 2, v70
	v_cndmask_b32_e64 v19, v1, v9, s3
	v_cndmask_b32_e64 v20, v5, v13, s3
	v_cndmask_b32_e32 v1, v1, v9, vcc_lo
	v_cmp_eq_u32_e64 s3, 2, v71
	v_cndmask_b32_e32 v5, v5, v13, vcc_lo
	v_cndmask_b32_e64 v9, v17, v2, s4
	v_cmp_eq_u32_e32 vcc_lo, 3, v70
	v_cndmask_b32_e64 v13, v18, v6, s4
	v_cmp_eq_u32_e64 s4, 2, v69
	v_cndmask_b32_e64 v17, v19, v2, s5
	v_cndmask_b32_e64 v18, v20, v6, s5
	v_cmp_eq_u32_e64 s5, 3, v69
	v_cndmask_b32_e64 v1, v1, v2, s3
	v_cndmask_b32_e64 v19, v21, v2, s4
	;; [unrolled: 1-line block ×4, first 2 shown]
	v_cndmask_b32_e32 v5, v9, v10, vcc_lo
	v_cndmask_b32_e32 v6, v13, v14, vcc_lo
	v_cmp_eq_u32_e32 vcc_lo, 3, v71
	v_cndmask_b32_e64 v9, v17, v10, s6
	v_cndmask_b32_e64 v13, v18, v14, s6
	v_cndmask_b32_e64 v18, v20, v14, s5
	v_cmp_eq_u32_e64 s4, 4, v70
	v_cndmask_b32_e32 v1, v1, v10, vcc_lo
	v_cndmask_b32_e32 v2, v2, v14, vcc_lo
	v_cmp_eq_u32_e32 vcc_lo, 4, v72
	v_lshrrev_b32_e32 v15, 16, v7
	v_lshrrev_b32_e32 v16, 16, v8
	v_cndmask_b32_e64 v17, v19, v10, s5
	v_cmp_eq_u32_e64 s3, 4, v71
	v_cndmask_b32_e64 v5, v5, v3, s4
	v_cndmask_b32_e64 v6, v6, v7, s4
	v_cndmask_b32_e32 v9, v9, v3, vcc_lo
	v_cmp_eq_u32_e64 s4, 5, v72
	v_cndmask_b32_e32 v10, v13, v7, vcc_lo
	v_cmp_eq_u32_e32 vcc_lo, 4, v69
	v_cmp_eq_u32_e64 s5, 5, v70
	v_cndmask_b32_e64 v2, v2, v7, s3
	v_cndmask_b32_e64 v9, v9, v11, s4
	;; [unrolled: 1-line block ×3, first 2 shown]
	v_cndmask_b32_e32 v13, v17, v3, vcc_lo
	v_cmp_eq_u32_e64 s4, 5, v69
	v_cndmask_b32_e32 v14, v18, v7, vcc_lo
	v_cndmask_b32_e64 v1, v1, v3, s3
	v_cmp_eq_u32_e32 vcc_lo, 5, v71
	v_lshrrev_b32_e32 v12, 16, v4
	v_cndmask_b32_e64 v13, v13, v11, s4
	v_cndmask_b32_e64 v3, v14, v15, s4
	v_cmp_eq_u32_e64 s4, 6, v71
	v_cndmask_b32_e32 v1, v1, v11, vcc_lo
	v_cndmask_b32_e64 v5, v5, v11, s5
	v_cmp_eq_u32_e64 s6, 6, v70
	v_cndmask_b32_e64 v6, v6, v15, s5
	v_cmp_eq_u32_e64 s5, 6, v72
	v_cmp_eq_u32_e64 s3, 6, v69
	v_cndmask_b32_e64 v1, v1, v4, s4
	v_cndmask_b32_e32 v2, v2, v15, vcc_lo
	v_cmp_eq_u32_e32 vcc_lo, 7, v71
	v_cndmask_b32_e64 v5, v5, v4, s6
	v_cndmask_b32_e64 v9, v9, v4, s5
	;; [unrolled: 1-line block ×3, first 2 shown]
	v_cmp_eq_u32_e64 s6, 7, v70
	v_cndmask_b32_e32 v1, v1, v12, vcc_lo
	v_cndmask_b32_e64 v7, v13, v4, s3
	v_cndmask_b32_e64 v3, v3, v8, s3
	;; [unrolled: 1-line block ×3, first 2 shown]
	v_cmp_eq_u32_e64 s3, 7, v69
	v_cndmask_b32_e64 v4, v10, v8, s5
	v_cndmask_b32_e64 v5, v5, v12, s6
	;; [unrolled: 1-line block ×3, first 2 shown]
	v_cndmask_b32_e32 v2, v2, v16, vcc_lo
	v_cndmask_b32_e64 v7, v7, v12, s3
	v_cndmask_b32_e64 v3, v3, v16, s3
	;; [unrolled: 1-line block ×4, first 2 shown]
	v_perm_b32 v4, v2, v1, 0x5040100
	s_mov_b32 s3, exec_lo
	v_perm_b32 v3, v3, v7, 0x5040100
	v_perm_b32 v2, v8, v9, 0x5040100
	;; [unrolled: 1-line block ×3, first 2 shown]
	ds_store_b128 v74, v[1:4]
	s_waitcnt lgkmcnt(0)
	s_barrier
	buffer_gl0_inv
	v_cmpx_gt_u32_e32 32, v0
	s_cbranch_execz .LBB1282_2
; %bb.15:
	s_load_b64 s[4:5], s[0:1], 0x68
	v_lshlrev_b32_e32 v0, 10, v0
	v_add_nc_u32_e32 v2, s31, v66
	v_lshlrev_b32_e32 v3, 4, v67
	s_lshl_b32 s0, s35, 7
	s_delay_alu instid0(SALU_CYCLE_1) | instskip(NEXT) | instid1(VALU_DEP_2)
	s_mul_i32 s1, s0, s34
	v_mul_lo_u32 v1, v2, s0
	s_delay_alu instid0(VALU_DEP_2) | instskip(SKIP_2) | instid1(SALU_CYCLE_1)
	v_and_or_b32 v0, 0x3800, v0, v3
	v_add_nc_u32_e32 v2, 2, v2
	s_mul_i32 s6, s1, s8
	s_ashr_i32 s7, s6, 31
	s_delay_alu instid0(VALU_DEP_2)
	v_lshl_or_b32 v7, v66, 6, v0
	s_lshl_b64 s[6:7], s[6:7], 1
	v_mul_lo_u32 v11, v2, s0
	v_ashrrev_i32_e32 v2, 31, v1
	ds_load_b128 v[3:6], v7
	ds_load_b128 v[7:10], v7 offset:128
	s_waitcnt lgkmcnt(0)
	s_add_u32 s1, s4, s6
	s_addc_u32 s3, s5, s7
	s_lshl_b32 s4, s14, 7
	v_ashrrev_i32_e32 v12, 31, v11
	s_ashr_i32 s5, s4, 31
	v_lshlrev_b64 v[13:14], 1, v[1:2]
	s_lshl_b64 s[4:5], s[4:5], 1
	s_delay_alu instid0(SALU_CYCLE_1) | instskip(SKIP_2) | instid1(VALU_DEP_1)
	s_add_u32 s1, s1, s4
	s_addc_u32 s3, s3, s5
	v_add_co_u32 v1, s1, s1, v65
	v_add_co_ci_u32_e64 v2, null, s3, 0, s1
	v_lshlrev_b64 v[11:12], 1, v[11:12]
	s_delay_alu instid0(VALU_DEP_3) | instskip(NEXT) | instid1(VALU_DEP_3)
	v_add_co_u32 v13, vcc_lo, v1, v13
	v_add_co_ci_u32_e32 v14, vcc_lo, v2, v14, vcc_lo
	s_delay_alu instid0(VALU_DEP_3) | instskip(NEXT) | instid1(VALU_DEP_4)
	v_add_co_u32 v11, vcc_lo, v1, v11
	v_add_co_ci_u32_e32 v12, vcc_lo, v2, v12, vcc_lo
	s_clause 0x1
	global_store_b128 v[13:14], v[3:6], off
	global_store_b128 v[11:12], v[7:10], off
	s_and_b32 exec_lo, exec_lo, s2
	s_cbranch_execz .LBB1282_2
; %bb.16:
	ds_load_b128 v[3:6], v0 offset:256
	s_add_i32 s1, s31, 4
	s_delay_alu instid0(SALU_CYCLE_1) | instskip(NEXT) | instid1(SALU_CYCLE_1)
	s_mul_i32 s0, s1, s0
	s_ashr_i32 s1, s0, 31
	s_delay_alu instid0(SALU_CYCLE_1) | instskip(NEXT) | instid1(SALU_CYCLE_1)
	s_lshl_b64 s[0:1], s[0:1], 1
	v_add_co_u32 v0, vcc_lo, v1, s0
	v_add_co_ci_u32_e32 v1, vcc_lo, s1, v2, vcc_lo
	s_waitcnt lgkmcnt(0)
	global_store_b128 v[0:1], v[3:6], off
	s_nop 0
	s_sendmsg sendmsg(MSG_DEALLOC_VGPRS)
	s_endpgm
	.section	.rodata,"a",@progbits
	.p2align	6, 0x0
	.amdhsa_kernel _Z39paged_attention_ll4mi_QKV_mfma16_kernelIDF16_hLN4vllm18Fp8KVCacheDataTypeE1EhLi32ELi128ELi256ELb1ELi5EL8MFMAType0EEvPKT_PKT0_S8_ifPKiSA_SA_iPKfiiiPfSD_PS3_PT2_iSC_SC_
		.amdhsa_group_segment_fixed_size 17472
		.amdhsa_private_segment_fixed_size 0
		.amdhsa_kernarg_size 400
		.amdhsa_user_sgpr_count 13
		.amdhsa_user_sgpr_dispatch_ptr 0
		.amdhsa_user_sgpr_queue_ptr 0
		.amdhsa_user_sgpr_kernarg_segment_ptr 1
		.amdhsa_user_sgpr_dispatch_id 0
		.amdhsa_user_sgpr_private_segment_size 0
		.amdhsa_wavefront_size32 1
		.amdhsa_uses_dynamic_stack 0
		.amdhsa_enable_private_segment 0
		.amdhsa_system_sgpr_workgroup_id_x 1
		.amdhsa_system_sgpr_workgroup_id_y 1
		.amdhsa_system_sgpr_workgroup_id_z 1
		.amdhsa_system_sgpr_workgroup_info 0
		.amdhsa_system_vgpr_workitem_id 0
		.amdhsa_next_free_vgpr 150
		.amdhsa_next_free_sgpr 37
		.amdhsa_reserve_vcc 1
		.amdhsa_float_round_mode_32 0
		.amdhsa_float_round_mode_16_64 0
		.amdhsa_float_denorm_mode_32 3
		.amdhsa_float_denorm_mode_16_64 3
		.amdhsa_dx10_clamp 1
		.amdhsa_ieee_mode 1
		.amdhsa_fp16_overflow 0
		.amdhsa_workgroup_processor_mode 1
		.amdhsa_memory_ordered 1
		.amdhsa_forward_progress 0
		.amdhsa_shared_vgpr_count 0
		.amdhsa_exception_fp_ieee_invalid_op 0
		.amdhsa_exception_fp_denorm_src 0
		.amdhsa_exception_fp_ieee_div_zero 0
		.amdhsa_exception_fp_ieee_overflow 0
		.amdhsa_exception_fp_ieee_underflow 0
		.amdhsa_exception_fp_ieee_inexact 0
		.amdhsa_exception_int_div_zero 0
	.end_amdhsa_kernel
	.section	.text._Z39paged_attention_ll4mi_QKV_mfma16_kernelIDF16_hLN4vllm18Fp8KVCacheDataTypeE1EhLi32ELi128ELi256ELb1ELi5EL8MFMAType0EEvPKT_PKT0_S8_ifPKiSA_SA_iPKfiiiPfSD_PS3_PT2_iSC_SC_,"axG",@progbits,_Z39paged_attention_ll4mi_QKV_mfma16_kernelIDF16_hLN4vllm18Fp8KVCacheDataTypeE1EhLi32ELi128ELi256ELb1ELi5EL8MFMAType0EEvPKT_PKT0_S8_ifPKiSA_SA_iPKfiiiPfSD_PS3_PT2_iSC_SC_,comdat
.Lfunc_end1282:
	.size	_Z39paged_attention_ll4mi_QKV_mfma16_kernelIDF16_hLN4vllm18Fp8KVCacheDataTypeE1EhLi32ELi128ELi256ELb1ELi5EL8MFMAType0EEvPKT_PKT0_S8_ifPKiSA_SA_iPKfiiiPfSD_PS3_PT2_iSC_SC_, .Lfunc_end1282-_Z39paged_attention_ll4mi_QKV_mfma16_kernelIDF16_hLN4vllm18Fp8KVCacheDataTypeE1EhLi32ELi128ELi256ELb1ELi5EL8MFMAType0EEvPKT_PKT0_S8_ifPKiSA_SA_iPKfiiiPfSD_PS3_PT2_iSC_SC_
                                        ; -- End function
	.section	.AMDGPU.csdata,"",@progbits
; Kernel info:
; codeLenInByte = 6660
; NumSgprs: 39
; NumVgprs: 150
; ScratchSize: 0
; MemoryBound: 0
; FloatMode: 240
; IeeeMode: 1
; LDSByteSize: 17472 bytes/workgroup (compile time only)
; SGPRBlocks: 4
; VGPRBlocks: 18
; NumSGPRsForWavesPerEU: 39
; NumVGPRsForWavesPerEU: 150
; Occupancy: 9
; WaveLimiterHint : 1
; COMPUTE_PGM_RSRC2:SCRATCH_EN: 0
; COMPUTE_PGM_RSRC2:USER_SGPR: 13
; COMPUTE_PGM_RSRC2:TRAP_HANDLER: 0
; COMPUTE_PGM_RSRC2:TGID_X_EN: 1
; COMPUTE_PGM_RSRC2:TGID_Y_EN: 1
; COMPUTE_PGM_RSRC2:TGID_Z_EN: 1
; COMPUTE_PGM_RSRC2:TIDIG_COMP_CNT: 0
	.section	.text._Z39paged_attention_ll4mi_QKV_mfma16_kernelIDF16_hLN4vllm18Fp8KVCacheDataTypeE1EhLi32ELi128ELi256ELb1ELi6EL8MFMAType0EEvPKT_PKT0_S8_ifPKiSA_SA_iPKfiiiPfSD_PS3_PT2_iSC_SC_,"axG",@progbits,_Z39paged_attention_ll4mi_QKV_mfma16_kernelIDF16_hLN4vllm18Fp8KVCacheDataTypeE1EhLi32ELi128ELi256ELb1ELi6EL8MFMAType0EEvPKT_PKT0_S8_ifPKiSA_SA_iPKfiiiPfSD_PS3_PT2_iSC_SC_,comdat
	.protected	_Z39paged_attention_ll4mi_QKV_mfma16_kernelIDF16_hLN4vllm18Fp8KVCacheDataTypeE1EhLi32ELi128ELi256ELb1ELi6EL8MFMAType0EEvPKT_PKT0_S8_ifPKiSA_SA_iPKfiiiPfSD_PS3_PT2_iSC_SC_ ; -- Begin function _Z39paged_attention_ll4mi_QKV_mfma16_kernelIDF16_hLN4vllm18Fp8KVCacheDataTypeE1EhLi32ELi128ELi256ELb1ELi6EL8MFMAType0EEvPKT_PKT0_S8_ifPKiSA_SA_iPKfiiiPfSD_PS3_PT2_iSC_SC_
	.globl	_Z39paged_attention_ll4mi_QKV_mfma16_kernelIDF16_hLN4vllm18Fp8KVCacheDataTypeE1EhLi32ELi128ELi256ELb1ELi6EL8MFMAType0EEvPKT_PKT0_S8_ifPKiSA_SA_iPKfiiiPfSD_PS3_PT2_iSC_SC_
	.p2align	8
	.type	_Z39paged_attention_ll4mi_QKV_mfma16_kernelIDF16_hLN4vllm18Fp8KVCacheDataTypeE1EhLi32ELi128ELi256ELb1ELi6EL8MFMAType0EEvPKT_PKT0_S8_ifPKiSA_SA_iPKfiiiPfSD_PS3_PT2_iSC_SC_,@function
_Z39paged_attention_ll4mi_QKV_mfma16_kernelIDF16_hLN4vllm18Fp8KVCacheDataTypeE1EhLi32ELi128ELi256ELb1ELi6EL8MFMAType0EEvPKT_PKT0_S8_ifPKiSA_SA_iPKfiiiPfSD_PS3_PT2_iSC_SC_: ; @_Z39paged_attention_ll4mi_QKV_mfma16_kernelIDF16_hLN4vllm18Fp8KVCacheDataTypeE1EhLi32ELi128ELi256ELb1ELi6EL8MFMAType0EEvPKT_PKT0_S8_ifPKiSA_SA_iPKfiiiPfSD_PS3_PT2_iSC_SC_
; %bb.0:
	s_load_b64 s[4:5], s[0:1], 0x30
	s_mov_b32 s30, s13
	s_waitcnt lgkmcnt(0)
	s_cmp_lg_u64 s[4:5], 0
	s_cselect_b32 s8, -1, 0
	s_ashr_i32 s31, s13, 31
	s_cmp_eq_u64 s[4:5], 0
	s_cbranch_scc1 .LBB1283_3
; %bb.1:
	s_lshl_b64 s[2:3], s[30:31], 2
	s_delay_alu instid0(SALU_CYCLE_1) | instskip(SKIP_4) | instid1(SALU_CYCLE_1)
	s_add_u32 s2, s4, s2
	s_addc_u32 s3, s5, s3
	s_load_b64 s[2:3], s[2:3], 0x0
	s_waitcnt lgkmcnt(0)
	s_sub_i32 s2, s3, s2
	s_cmp_eq_u32 s2, 1
	s_cselect_b32 s2, -1, 0
	s_delay_alu instid0(SALU_CYCLE_1)
	s_and_not1_b32 vcc_lo, exec_lo, s2
	s_cbranch_vccz .LBB1283_4
.LBB1283_2:
	s_endpgm
.LBB1283_3:
.LBB1283_4:
	s_load_b64 s[2:3], s[0:1], 0x28
	s_lshl_b64 s[6:7], s[30:31], 2
	s_waitcnt lgkmcnt(0)
	s_add_u32 s2, s2, s6
	s_addc_u32 s3, s3, s7
	s_lshl_b32 s12, s14, 8
	s_load_b32 s24, s[2:3], 0x0
	s_waitcnt lgkmcnt(0)
	s_cmp_ge_i32 s12, s24
	s_cbranch_scc1 .LBB1283_2
; %bb.5:
	s_clause 0x1
	s_load_b128 s[20:23], s[0:1], 0x8
	s_load_b64 s[2:3], s[0:1], 0x20
	s_and_not1_b32 vcc_lo, exec_lo, s8
	s_cbranch_vccnz .LBB1283_7
; %bb.6:
	s_add_u32 s4, s4, s6
	s_addc_u32 s5, s5, s7
	s_load_b32 s5, s[4:5], 0x0
	s_branch .LBB1283_8
.LBB1283_7:
	s_mov_b32 s5, s30
.LBB1283_8:
	s_load_b128 s[16:19], s[0:1], 0x48
	v_and_b32_e32 v68, 15, v0
	v_lshrrev_b32_e32 v69, 5, v0
	v_and_b32_e32 v70, 31, v0
	v_and_b32_e32 v67, 1, v0
	v_bfe_u32 v66, v0, 4, 1
	v_lshlrev_b32_e32 v1, 3, v68
	s_mul_i32 s31, s15, 6
	s_mov_b32 s4, exec_lo
	s_delay_alu instid0(VALU_DEP_1)
	v_lshlrev_b32_e32 v65, 1, v1
	v_cmpx_gt_u32_e32 0x60, v0
	s_cbranch_execz .LBB1283_10
; %bb.9:
	s_load_b64 s[6:7], s[0:1], 0x0
	v_lshl_or_b32 v5, v69, 1, v66
	s_waitcnt lgkmcnt(0)
	s_mul_hi_i32 s9, s5, s16
	s_mul_i32 s8, s5, s16
	v_lshlrev_b32_e32 v6, 10, v68
	s_lshl_b64 s[8:9], s[8:9], 1
	v_add_lshl_u32 v1, v5, s31, 7
	v_lshlrev_b32_e32 v5, 6, v5
	v_lshlrev_b32_e32 v7, 10, v67
	v_and_b32_e32 v6, 0x3800, v6
	s_delay_alu instid0(VALU_DEP_4) | instskip(NEXT) | instid1(VALU_DEP_2)
	v_ashrrev_i32_e32 v2, 31, v1
	v_or3_b32 v5, v6, v7, v5
	s_delay_alu instid0(VALU_DEP_2) | instskip(SKIP_2) | instid1(VALU_DEP_1)
	v_lshlrev_b64 v[1:2], 1, v[1:2]
	s_add_u32 s5, s6, s8
	s_addc_u32 s6, s7, s9
	v_add_co_u32 v1, vcc_lo, s5, v1
	s_delay_alu instid0(VALU_DEP_2) | instskip(NEXT) | instid1(VALU_DEP_2)
	v_add_co_ci_u32_e32 v2, vcc_lo, s6, v2, vcc_lo
	v_add_co_u32 v1, vcc_lo, v1, v65
	s_delay_alu instid0(VALU_DEP_2)
	v_add_co_ci_u32_e32 v2, vcc_lo, 0, v2, vcc_lo
	global_load_b128 v[1:4], v[1:2], off
	s_waitcnt vmcnt(0)
	ds_store_b128 v5, v[1:4]
.LBB1283_10:
	s_or_b32 exec_lo, exec_lo, s4
	v_and_b32_e32 v1, 0xef, v0
	s_waitcnt lgkmcnt(0)
	s_add_i32 s5, s24, 31
	s_clause 0x1
	s_load_b32 s4, s[0:1], 0x38
	s_load_b32 s33, s[0:1], 0x98
	s_ashr_i32 s6, s5, 31
	v_add_nc_u32_e32 v1, s12, v1
	s_lshr_b32 s6, s6, 27
	s_load_b32 s19, s[0:1], 0x1c
	s_add_i32 s5, s5, s6
	s_waitcnt lgkmcnt(0)
	v_ashrrev_i32_e32 v2, 31, v1
	v_or_b32_e32 v3, 16, v1
	s_ashr_i32 s13, s5, 5
	v_cmp_gt_i32_e32 vcc_lo, s24, v1
	s_add_i32 s13, s13, -1
	v_lshrrev_b32_e32 v2, 27, v2
	s_barrier
	buffer_gl0_inv
	s_mul_i32 s15, s15, s18
	v_add_nc_u32_e32 v4, v1, v2
	s_mul_i32 s4, s30, s4
	s_delay_alu instid0(SALU_CYCLE_1) | instskip(NEXT) | instid1(VALU_DEP_1)
	s_ashr_i32 s5, s4, 31
	v_ashrrev_i32_e32 v4, 5, v4
	v_add_nc_u32_e32 v2, v3, v2
	s_lshl_b64 s[4:5], s[4:5], 2
	s_delay_alu instid0(SALU_CYCLE_1) | instskip(NEXT) | instid1(VALU_DEP_2)
	s_add_u32 s16, s2, s4
	v_cndmask_b32_e32 v1, s13, v4, vcc_lo
	s_delay_alu instid0(VALU_DEP_2)
	v_ashrrev_i32_e32 v2, 5, v2
	v_cmp_gt_i32_e32 vcc_lo, s24, v3
	s_addc_u32 s25, s3, s5
	s_ashr_i32 s18, s15, 31
	s_add_u32 s2, s20, s15
	s_addc_u32 s3, s21, s18
	v_cndmask_b32_e32 v3, s13, v2, vcc_lo
	v_ashrrev_i32_e32 v2, 31, v1
	s_lshl_b32 s4, s14, 3
	s_delay_alu instid0(SALU_CYCLE_1) | instskip(NEXT) | instid1(VALU_DEP_2)
	s_ashr_i32 s5, s4, 31
	v_ashrrev_i32_e32 v4, 31, v3
	s_delay_alu instid0(VALU_DEP_2) | instskip(SKIP_1) | instid1(SALU_CYCLE_1)
	v_lshlrev_b64 v[1:2], 2, v[1:2]
	s_lshl_b64 s[4:5], s[4:5], 2
	s_add_u32 s4, s16, s4
	s_delay_alu instid0(VALU_DEP_2) | instskip(SKIP_1) | instid1(VALU_DEP_2)
	v_lshlrev_b64 v[3:4], 2, v[3:4]
	s_addc_u32 s5, s25, s5
	v_add_co_u32 v1, vcc_lo, s16, v1
	v_add_co_ci_u32_e32 v2, vcc_lo, s25, v2, vcc_lo
	s_delay_alu instid0(VALU_DEP_3) | instskip(NEXT) | instid1(VALU_DEP_4)
	v_add_co_u32 v3, vcc_lo, s16, v3
	v_add_co_ci_u32_e32 v4, vcc_lo, s25, v4, vcc_lo
	s_clause 0x1
	global_load_b32 v5, v[1:2], off
	global_load_b32 v6, v[3:4], off
	s_or_b32 s6, s12, 32
	s_delay_alu instid0(SALU_CYCLE_1) | instskip(SKIP_2) | instid1(SALU_CYCLE_1)
	s_ashr_i32 s7, s6, 5
	s_cmp_lt_i32 s6, s24
	s_cselect_b32 s6, s7, s13
	s_ashr_i32 s7, s6, 31
	s_delay_alu instid0(SALU_CYCLE_1) | instskip(NEXT) | instid1(SALU_CYCLE_1)
	s_lshl_b64 s[6:7], s[6:7], 2
	s_add_u32 s6, s16, s6
	s_addc_u32 s7, s25, s7
	s_or_b32 s8, s12, 64
	s_delay_alu instid0(SALU_CYCLE_1) | instskip(SKIP_2) | instid1(SALU_CYCLE_1)
	s_ashr_i32 s9, s8, 5
	s_cmp_lt_i32 s8, s24
	s_cselect_b32 s8, s9, s13
	s_ashr_i32 s9, s8, 31
	s_delay_alu instid0(SALU_CYCLE_1) | instskip(NEXT) | instid1(SALU_CYCLE_1)
	s_lshl_b64 s[8:9], s[8:9], 2
	s_add_u32 s8, s16, s8
	s_addc_u32 s9, s25, s9
	s_or_b32 s10, s12, 0x60
	s_delay_alu instid0(SALU_CYCLE_1) | instskip(SKIP_2) | instid1(SALU_CYCLE_1)
	s_ashr_i32 s11, s10, 5
	s_cmp_lt_i32 s10, s24
	s_cselect_b32 s10, s11, s13
	s_ashr_i32 s11, s10, 31
	s_delay_alu instid0(SALU_CYCLE_1) | instskip(NEXT) | instid1(SALU_CYCLE_1)
	s_lshl_b64 s[10:11], s[10:11], 2
	s_add_u32 s10, s16, s10
	s_addc_u32 s11, s25, s11
	s_or_b32 s20, s12, 0x80
	s_delay_alu instid0(SALU_CYCLE_1) | instskip(SKIP_2) | instid1(SALU_CYCLE_1)
	s_ashr_i32 s21, s20, 5
	s_cmp_lt_i32 s20, s24
	s_cselect_b32 s20, s21, s13
	s_ashr_i32 s21, s20, 31
	s_delay_alu instid0(SALU_CYCLE_1) | instskip(NEXT) | instid1(SALU_CYCLE_1)
	s_lshl_b64 s[20:21], s[20:21], 2
	s_add_u32 s20, s16, s20
	s_addc_u32 s21, s25, s21
	s_or_b32 s26, s12, 0xa0
	s_delay_alu instid0(SALU_CYCLE_1) | instskip(SKIP_2) | instid1(SALU_CYCLE_1)
	s_ashr_i32 s27, s26, 5
	s_cmp_lt_i32 s26, s24
	s_cselect_b32 s26, s27, s13
	s_ashr_i32 s27, s26, 31
	s_delay_alu instid0(SALU_CYCLE_1) | instskip(NEXT) | instid1(SALU_CYCLE_1)
	s_lshl_b64 s[26:27], s[26:27], 2
	s_add_u32 s26, s16, s26
	s_addc_u32 s27, s25, s27
	s_clause 0x5
	s_load_b32 s28, s[4:5], 0x0
	s_load_b32 s29, s[6:7], 0x0
	;; [unrolled: 1-line block ×6, first 2 shown]
	s_mov_b32 s4, 0
	s_delay_alu instid0(SALU_CYCLE_1)
	s_mov_b32 s5, s4
	s_mov_b32 s6, s4
	;; [unrolled: 1-line block ×7, first 2 shown]
	s_delay_alu instid0(SALU_CYCLE_1)
	v_dual_mov_b32 v118, s11 :: v_dual_mov_b32 v117, s10
	v_dual_mov_b32 v116, s9 :: v_dual_mov_b32 v115, s8
	v_mov_b32_e32 v113, s6
	v_dual_mov_b32 v111, s4 :: v_dual_mov_b32 v114, s7
	v_mov_b32_e32 v112, s5
	s_waitcnt vmcnt(1)
	v_mad_i64_i32 v[1:2], null, v5, s17, s[2:3]
	v_lshlrev_b32_e32 v5, 4, v68
	s_waitcnt vmcnt(0)
	v_mad_i64_i32 v[3:4], null, v6, s17, s[2:3]
	s_or_b32 s2, s12, 0xc0
	s_delay_alu instid0(SALU_CYCLE_1) | instskip(NEXT) | instid1(VALU_DEP_3)
	s_ashr_i32 s3, s2, 5
	v_add_co_u32 v1, vcc_lo, v1, v5
	s_delay_alu instid0(VALU_DEP_4) | instskip(NEXT) | instid1(VALU_DEP_3)
	v_add_co_ci_u32_e32 v2, vcc_lo, 0, v2, vcc_lo
	v_add_co_u32 v3, vcc_lo, v3, v5
	s_delay_alu instid0(VALU_DEP_4)
	v_add_co_ci_u32_e32 v4, vcc_lo, 0, v4, vcc_lo
	s_clause 0xf
	global_load_b128 v[17:20], v[1:2], off
	global_load_b128 v[21:24], v[1:2], off offset:512
	global_load_b128 v[25:28], v[3:4], off offset:256
	;; [unrolled: 1-line block ×15, first 2 shown]
	v_mul_lo_u16 v1, v68, 43
	s_cmp_lt_i32 s2, s24
	v_lshlrev_b32_e32 v2, 5, v68
	s_cselect_b32 s2, s3, s13
	s_delay_alu instid0(VALU_DEP_2) | instskip(SKIP_1) | instid1(SALU_CYCLE_1)
	v_lshrrev_b16 v1, 8, v1
	s_ashr_i32 s3, s2, 31
	s_lshl_b64 s[2:3], s[2:3], 2
	s_delay_alu instid0(VALU_DEP_1) | instskip(SKIP_3) | instid1(VALU_DEP_1)
	v_mul_lo_u16 v1, v1, 6
	s_add_u32 s2, s16, s2
	s_addc_u32 s3, s25, s3
	s_or_b32 s20, s12, 0xe0
	v_sub_nc_u16 v1, v68, v1
	s_ashr_i32 s21, s20, 5
	s_cmp_lt_i32 s20, s24
	s_cselect_b32 s20, s21, s13
	s_delay_alu instid0(VALU_DEP_1) | instskip(SKIP_1) | instid1(SALU_CYCLE_1)
	v_and_b32_e32 v1, 0xff, v1
	s_ashr_i32 s21, s20, 31
	s_lshl_b64 s[4:5], s[20:21], 2
	s_delay_alu instid0(VALU_DEP_1)
	v_lshlrev_b32_e32 v149, 6, v1
	s_add_u32 s4, s16, s4
	s_addc_u32 s5, s25, s5
	v_lshl_or_b32 v1, v69, 9, v2
	ds_load_b128 v[119:122], v149
	ds_load_b128 v[123:126], v149 offset:1024
	ds_load_b128 v[127:130], v149 offset:2048
	ds_load_b128 v[131:134], v149 offset:3072
	s_clause 0x1
	s_load_b32 s2, s[2:3], 0x0
	s_load_b32 s3, s[4:5], 0x0
	s_add_u32 s6, s22, s15
	s_addc_u32 s7, s23, s18
	v_add_co_u32 v135, s6, s6, v1
	s_delay_alu instid0(VALU_DEP_1) | instskip(SKIP_1) | instid1(VALU_DEP_1)
	v_add_co_ci_u32_e64 v136, null, s7, 0, s6
	s_waitcnt lgkmcnt(0)
	v_mad_i64_i32 v[1:2], null, s28, s17, v[135:136]
	v_mad_i64_i32 v[3:4], null, s29, s17, v[135:136]
	;; [unrolled: 1-line block ×6, first 2 shown]
	s_clause 0x9
	global_load_b128 v[49:52], v[1:2], off
	global_load_b128 v[53:56], v[1:2], off offset:16
	global_load_b128 v[41:44], v[3:4], off
	global_load_b128 v[45:48], v[3:4], off offset:16
	;; [unrolled: 2-line block ×5, first 2 shown]
	v_mad_i64_i32 v[145:146], null, s2, s17, v[135:136]
	v_mad_i64_i32 v[147:148], null, s3, s17, v[135:136]
	s_waitcnt vmcnt(24)
	v_wmma_f32_16x16x16_f16 v[135:142], v[17:24], v[119:126], v[111:118]
	s_waitcnt vmcnt(22)
	v_wmma_f32_16x16x16_f16 v[111:118], v[25:32], v[119:126], v[111:118]
	s_clause 0x3
	global_load_b128 v[17:20], v[143:144], off
	global_load_b128 v[21:24], v[143:144], off offset:16
	global_load_b128 v[25:28], v[145:146], off
	global_load_b128 v[29:32], v[145:146], off offset:16
	v_and_b32_e32 v119, 0xe0, v0
	s_waitcnt vmcnt(24)
	v_wmma_f32_16x16x16_f16 v[135:142], v[57:64], v[127:134], v[135:142]
	s_clause 0x1
	global_load_b128 v[57:60], v[147:148], off
	global_load_b128 v[61:64], v[147:148], off offset:16
	s_waitcnt vmcnt(24)
	v_wmma_f32_16x16x16_f16 v[111:118], v[71:78], v[127:134], v[111:118]
	ds_load_b128 v[71:74], v149 offset:4096
	ds_load_b128 v[75:78], v149 offset:5120
	v_add_nc_u32_e32 v128, s12, v119
	ds_load_b128 v[119:122], v149 offset:6144
	ds_load_b128 v[123:126], v149 offset:7168
	v_mbcnt_lo_u32_b32 v127, -1, 0
	s_waitcnt vmcnt(0) lgkmcnt(0)
	s_barrier
	v_or_b32_e32 v128, v128, v66
	buffer_gl0_inv
	v_xor_b32_e32 v129, 16, v127
	v_or_b32_e32 v130, 4, v128
	v_or_b32_e32 v131, 6, v128
	s_delay_alu instid0(VALU_DEP_3) | instskip(SKIP_4) | instid1(VALU_DEP_4)
	v_cmp_gt_i32_e32 vcc_lo, 32, v129
	v_or_b32_e32 v132, 8, v128
	v_or_b32_e32 v133, 10, v128
	v_cmp_gt_i32_e64 s3, s24, v130
	v_cmp_gt_i32_e64 s4, s24, v131
	;; [unrolled: 1-line block ×3, first 2 shown]
	v_wmma_f32_16x16x16_f16 v[135:142], v[79:86], v[71:78], v[135:142]
	v_wmma_f32_16x16x16_f16 v[111:118], v[87:94], v[71:78], v[111:118]
	v_or_b32_e32 v79, 12, v128
	v_or_b32_e32 v80, 14, v128
	v_cmp_gt_i32_e64 s6, s24, v133
	v_wmma_f32_16x16x16_f16 v[135:142], v[95:102], v[119:126], v[135:142]
	v_cndmask_b32_e32 v127, v127, v129, vcc_lo
	v_or_b32_e32 v129, 2, v128
	v_wmma_f32_16x16x16_f16 v[111:118], v[103:110], v[119:126], v[111:118]
	v_cmp_gt_i32_e32 vcc_lo, s24, v128
	v_dual_mul_f32 v88, s19, v135 :: v_dual_mul_f32 v87, s19, v136
	s_delay_alu instid0(VALU_DEP_4) | instskip(NEXT) | instid1(VALU_DEP_4)
	v_cmp_gt_i32_e64 s2, s24, v129
	v_mul_f32_e32 v94, s19, v113
	v_mul_f32_e32 v78, s19, v138
	;; [unrolled: 1-line block ×3, first 2 shown]
	v_cndmask_b32_e32 v88, 0xff7fffff, v88, vcc_lo
	v_cndmask_b32_e64 v87, 0xff7fffff, v87, s2
	v_dual_mul_f32 v76, s19, v140 :: v_dual_mul_f32 v77, s19, v139
	v_mul_f32_e32 v90, s19, v117
	v_cndmask_b32_e64 v86, 0xff7fffff, v86, s3
	v_cndmask_b32_e64 v78, 0xff7fffff, v78, s4
	v_max3_f32 v87, v88, 0xff7fffff, v87
	v_or_b32_e32 v81, 16, v128
	v_or_b32_e32 v82, 18, v128
	v_dual_mul_f32 v74, s19, v142 :: v_dual_mul_f32 v75, s19, v141
	v_mul_f32_e32 v92, s19, v115
	v_cndmask_b32_e64 v77, 0xff7fffff, v77, s5
	v_cndmask_b32_e64 v76, 0xff7fffff, v76, s6
	v_max3_f32 v78, v87, v86, v78
	v_cmp_gt_i32_e64 s7, s24, v79
	v_cmp_gt_i32_e64 s8, s24, v80
	v_or_b32_e32 v83, 20, v128
	v_or_b32_e32 v84, 22, v128
	v_dual_mul_f32 v89, s19, v118 :: v_dual_mul_f32 v96, s19, v111
	v_mul_f32_e32 v95, s19, v112
	v_cndmask_b32_e64 v75, 0xff7fffff, v75, s7
	v_cndmask_b32_e64 v74, 0xff7fffff, v74, s8
	v_max3_f32 v76, v78, v77, v76
	v_cmp_gt_i32_e64 s9, s24, v81
	v_cmp_gt_i32_e64 s10, s24, v82
	v_or_b32_e32 v85, 24, v128
	v_or_b32_e32 v71, 26, v128
	v_mul_f32_e32 v93, s19, v114
	v_cndmask_b32_e64 v77, 0xff7fffff, v96, s9
	v_cndmask_b32_e64 v78, 0xff7fffff, v95, s10
	v_max3_f32 v74, v76, v75, v74
	v_cmp_gt_i32_e64 s11, s24, v83
	v_cmp_gt_i32_e64 s12, s24, v84
	v_or_b32_e32 v72, 28, v128
	v_or_b32_e32 v73, 30, v128
	v_mul_f32_e32 v91, s19, v116
	v_cndmask_b32_e64 v75, 0xff7fffff, v94, s11
	v_cndmask_b32_e64 v76, 0xff7fffff, v93, s12
	v_max3_f32 v74, v74, v77, v78
	v_cmp_gt_i32_e64 s13, s24, v85
	v_cmp_gt_i32_e64 s15, s24, v71
	;; [unrolled: 1-line block ×4, first 2 shown]
	v_max3_f32 v74, v74, v75, v76
	v_cndmask_b32_e64 v77, 0xff7fffff, v92, s13
	v_cndmask_b32_e64 v71, 0xff7fffff, v91, s15
	;; [unrolled: 1-line block ×4, first 2 shown]
	s_delay_alu instid0(VALU_DEP_3) | instskip(SKIP_1) | instid1(VALU_DEP_2)
	v_max3_f32 v71, v74, v77, v71
	v_lshlrev_b32_e32 v74, 2, v127
	v_max3_f32 v71, v71, v72, v73
	ds_bpermute_b32 v72, v74, v71
	s_waitcnt lgkmcnt(0)
	v_max_f32_e32 v72, v72, v72
	s_delay_alu instid0(VALU_DEP_1) | instskip(NEXT) | instid1(VALU_DEP_1)
	v_max_f32_e32 v71, v71, v72
	v_fma_f32 v75, s19, v137, -v71
	v_fma_f32 v76, s19, v138, -v71
	;; [unrolled: 1-line block ×5, first 2 shown]
	s_delay_alu instid0(VALU_DEP_4) | instskip(NEXT) | instid1(VALU_DEP_4)
	v_dual_mul_f32 v75, 0x3fb8aa3b, v75 :: v_dual_mul_f32 v76, 0x3fb8aa3b, v76
	v_mul_f32_e32 v72, 0x3fb8aa3b, v72
	v_fma_f32 v77, s19, v139, -v71
	s_delay_alu instid0(VALU_DEP_4) | instskip(NEXT) | instid1(VALU_DEP_4)
	v_mul_f32_e32 v73, 0x3fb8aa3b, v73
	v_exp_f32_e32 v75, v75
	v_exp_f32_e32 v76, v76
	;; [unrolled: 1-line block ×3, first 2 shown]
	s_delay_alu instid0(VALU_DEP_1) | instskip(SKIP_2) | instid1(TRANS32_DEP_3)
	v_exp_f32_e32 v73, v73
	v_cndmask_b32_e64 v81, 0, v75, s3
	v_mul_f32_e32 v82, 0x3fb8aa3b, v80
	v_cndmask_b32_e64 v80, 0, v76, s4
	s_waitcnt_depctr 0xfff
	v_cndmask_b32_e64 v78, 0, v73, s2
	s_mov_b32 s2, exec_lo
	v_exp_f32_e32 v84, v82
	s_waitcnt_depctr 0xfff
	v_cndmask_b32_e64 v85, 0, v84, s7
	v_cndmask_b32_e32 v79, 0, v72, vcc_lo
	v_fma_f32 v72, s19, v140, -v71
	v_mul_f32_e32 v77, 0x3fb8aa3b, v77
	s_delay_alu instid0(VALU_DEP_2) | instskip(NEXT) | instid1(VALU_DEP_2)
	v_dual_add_f32 v73, 0, v79 :: v_dual_mul_f32 v72, 0x3fb8aa3b, v72
	v_exp_f32_e32 v77, v77
	s_delay_alu instid0(VALU_DEP_1) | instskip(NEXT) | instid1(VALU_DEP_2)
	v_add_f32_e32 v73, v73, v78
	v_exp_f32_e32 v72, v72
	s_delay_alu instid0(VALU_DEP_1) | instskip(SKIP_4) | instid1(VALU_DEP_2)
	v_add_f32_e32 v73, v73, v81
	s_waitcnt_depctr 0xfff
	v_cndmask_b32_e64 v83, 0, v77, s5
	v_add_f32_e32 v73, v73, v80
	v_cndmask_b32_e64 v82, 0, v72, s6
	v_add_f32_e32 v72, v73, v83
	s_delay_alu instid0(VALU_DEP_1)
	v_add_f32_e32 v72, v72, v82
	v_fma_f32 v75, s19, v142, -v71
	v_fma_f32 v76, s19, v111, -v71
	;; [unrolled: 1-line block ×5, first 2 shown]
	s_delay_alu instid0(VALU_DEP_4) | instskip(NEXT) | instid1(VALU_DEP_4)
	v_dual_mul_f32 v75, 0x3fb8aa3b, v75 :: v_dual_mul_f32 v76, 0x3fb8aa3b, v76
	v_mul_f32_e32 v86, 0x3fb8aa3b, v86
	v_add_f32_e32 v72, v72, v85
	s_delay_alu instid0(VALU_DEP_3) | instskip(NEXT) | instid1(VALU_DEP_3)
	v_exp_f32_e32 v75, v75
	v_exp_f32_e32 v76, v76
	s_delay_alu instid0(VALU_DEP_2) | instskip(NEXT) | instid1(TRANS32_DEP_3)
	v_exp_f32_e32 v88, v86
	v_cndmask_b32_e64 v84, 0, v75, s8
	v_mul_f32_e32 v77, 0x3fb8aa3b, v77
	s_waitcnt_depctr 0xfff
	v_cndmask_b32_e64 v87, 0, v76, s9
	v_fma_f32 v76, s19, v116, -v71
	v_dual_mul_f32 v73, 0x3fb8aa3b, v73 :: v_dual_add_f32 v72, v72, v84
	v_exp_f32_e32 v77, v77
	v_fma_f32 v75, s19, v115, -v71
	s_delay_alu instid0(VALU_DEP_3) | instskip(NEXT) | instid1(VALU_DEP_3)
	v_mul_f32_e32 v76, 0x3fb8aa3b, v76
	v_exp_f32_e32 v73, v73
	v_add_f32_e32 v72, v72, v87
	v_cndmask_b32_e64 v88, 0, v88, s12
	s_delay_alu instid0(VALU_DEP_3) | instskip(NEXT) | instid1(TRANS32_DEP_3)
	v_exp_f32_e32 v76, v76
	v_cndmask_b32_e64 v86, 0, v77, s10
	v_mul_f32_e32 v75, 0x3fb8aa3b, v75
	v_fma_f32 v77, s19, v117, -v71
	s_delay_alu instid0(TRANS32_DEP_2) | instskip(NEXT) | instid1(VALU_DEP_4)
	v_cndmask_b32_e64 v89, 0, v73, s11
	v_add_f32_e32 v72, v72, v86
	s_delay_alu instid0(VALU_DEP_4) | instskip(NEXT) | instid1(TRANS32_DEP_2)
	v_exp_f32_e32 v75, v75
	v_cndmask_b32_e64 v90, 0, v76, s15
	s_delay_alu instid0(VALU_DEP_2) | instskip(SKIP_2) | instid1(VALU_DEP_3)
	v_add_f32_e32 v72, v72, v89
	v_mul_f32_e32 v73, 0x3fb8aa3b, v77
	v_fma_f32 v77, s19, v118, -v71
	v_add_f32_e32 v72, v72, v88
	s_delay_alu instid0(VALU_DEP_3) | instskip(NEXT) | instid1(TRANS32_DEP_2)
	v_exp_f32_e32 v73, v73
	v_cndmask_b32_e64 v91, 0, v75, s13
	s_delay_alu instid0(VALU_DEP_1) | instskip(NEXT) | instid1(VALU_DEP_1)
	v_dual_mul_f32 v75, 0x3fb8aa3b, v77 :: v_dual_add_f32 v72, v72, v91
	v_exp_f32_e32 v75, v75
	s_waitcnt_depctr 0xfff
	v_cndmask_b32_e64 v93, 0, v73, s16
	v_add_f32_e32 v72, v72, v90
	s_delay_alu instid0(VALU_DEP_1) | instskip(SKIP_1) | instid1(VALU_DEP_1)
	v_add_f32_e32 v72, v72, v93
	v_cndmask_b32_e64 v92, 0, v75, s17
	v_add_f32_e32 v72, v72, v92
	ds_bpermute_b32 v73, v74, v72
	v_cmpx_gt_u32_e32 16, v70
	s_cbranch_execz .LBB1283_12
; %bb.11:
	v_mul_u32_u24_e32 v70, 0x44, v69
	s_waitcnt lgkmcnt(0)
	v_add_f32_e32 v72, v72, v73
	s_delay_alu instid0(VALU_DEP_2) | instskip(NEXT) | instid1(VALU_DEP_1)
	v_lshl_add_u32 v70, v68, 2, v70
	v_add_nc_u32_e32 v70, 0x4000, v70
	ds_store_2addr_b32 v70, v71, v72 offset1:136
.LBB1283_12:
	s_or_b32 exec_lo, exec_lo, s2
	v_lshlrev_b32_e32 v70, 2, v68
	s_load_b32 s34, s[0:1], 0x94
	s_waitcnt lgkmcnt(0)
	s_barrier
	buffer_gl0_inv
	v_add_nc_u32_e32 v98, 0x4000, v70
	v_cmp_eq_u32_e32 vcc_lo, 1, v69
	v_cmp_eq_u32_e64 s2, 2, v69
	v_cmp_eq_u32_e64 s3, 3, v69
	;; [unrolled: 1-line block ×3, first 2 shown]
	ds_load_2addr_b32 v[70:71], v98 offset1:17
	ds_load_2addr_b32 v[72:73], v98 offset0:34 offset1:51
	ds_load_2addr_b32 v[74:75], v98 offset0:68 offset1:85
	;; [unrolled: 1-line block ×3, first 2 shown]
	v_cmp_eq_u32_e64 s5, 5, v69
	v_cmp_eq_u32_e64 s6, 7, v69
	s_waitcnt lgkmcnt(3)
	v_max3_f32 v76, v70, 0xff7fffff, v71
	s_waitcnt lgkmcnt(2)
	s_delay_alu instid0(VALU_DEP_1) | instskip(SKIP_1) | instid1(VALU_DEP_1)
	v_max3_f32 v76, v76, v72, v73
	s_waitcnt lgkmcnt(1)
	v_max3_f32 v76, v76, v74, v75
	s_waitcnt lgkmcnt(0)
	s_delay_alu instid0(VALU_DEP_1) | instskip(NEXT) | instid1(VALU_DEP_1)
	v_max3_f32 v76, v76, v94, v95
	v_sub_f32_e32 v77, v71, v76
	ds_load_2addr_b32 v[96:97], v98 offset0:136 offset1:153
	v_sub_f32_e32 v74, v74, v76
	v_sub_f32_e32 v70, v70, v76
	;; [unrolled: 1-line block ×3, first 2 shown]
	v_dual_sub_f32 v72, v72, v76 :: v_dual_mul_f32 v77, 0x3fb8aa3b, v77
	s_delay_alu instid0(VALU_DEP_4) | instskip(NEXT) | instid1(VALU_DEP_4)
	v_mul_f32_e32 v103, 0x3fb8aa3b, v74
	v_mul_f32_e32 v99, 0x3fb8aa3b, v70
	ds_load_2addr_b32 v[70:71], v98 offset0:170 offset1:187
	v_dual_mul_f32 v101, 0x3fb8aa3b, v72 :: v_dual_mul_f32 v94, 0x3fb8aa3b, v94
	v_exp_f32_e32 v102, v77
	v_exp_f32_e32 v99, v99
	s_delay_alu instid0(VALU_DEP_1) | instskip(NEXT) | instid1(VALU_DEP_1)
	v_exp_f32_e32 v101, v101
	v_exp_f32_e32 v94, v94
	s_waitcnt lgkmcnt(1)
	s_delay_alu instid0(TRANS32_DEP_3)
	v_fma_f32 v77, v99, v96, 0
	v_sub_f32_e32 v100, v73, v76
	ds_load_2addr_b32 v[72:73], v98 offset0:204 offset1:221
	v_fmac_f32_e32 v77, v102, v97
	v_exp_f32_e32 v97, v103
	s_waitcnt lgkmcnt(1)
	s_delay_alu instid0(VALU_DEP_1)
	v_dual_fmac_f32 v77, v101, v70 :: v_dual_sub_f32 v96, v75, v76
	ds_load_2addr_b32 v[74:75], v98 offset0:238 offset1:255
	v_sub_f32_e32 v70, v95, v76
	s_waitcnt lgkmcnt(0)
	s_barrier
	v_mul_f32_e32 v96, 0x3fb8aa3b, v96
	buffer_gl0_inv
	v_exp_f32_e32 v95, v96
	v_mul_f32_e32 v100, 0x3fb8aa3b, v100
	s_delay_alu instid0(VALU_DEP_1) | instskip(SKIP_3) | instid1(VALU_DEP_2)
	v_exp_f32_e32 v100, v100
	s_waitcnt_depctr 0xfff
	v_dual_fmac_f32 v77, v100, v71 :: v_dual_mul_f32 v70, 0x3fb8aa3b, v70
	v_cndmask_b32_e32 v71, v99, v102, vcc_lo
	v_fmac_f32_e32 v77, v97, v72
	s_delay_alu instid0(VALU_DEP_3) | instskip(NEXT) | instid1(VALU_DEP_1)
	v_exp_f32_e32 v96, v70
	v_fmac_f32_e32 v77, v95, v73
	s_delay_alu instid0(VALU_DEP_1) | instskip(SKIP_2) | instid1(VALU_DEP_1)
	v_fmac_f32_e32 v77, v94, v74
	s_waitcnt_depctr 0xfff
	v_fmac_f32_e32 v77, v96, v75
	v_add_f32_e32 v74, 0x358637bd, v77
	s_delay_alu instid0(VALU_DEP_1) | instskip(SKIP_1) | instid1(VALU_DEP_2)
	v_div_scale_f32 v98, null, v74, v74, 1.0
	v_div_scale_f32 v99, vcc_lo, 1.0, v74, 1.0
	v_rcp_f32_e32 v103, v98
	s_waitcnt_depctr 0xfff
	v_fma_f32 v70, -v98, v103, 1.0
	s_delay_alu instid0(VALU_DEP_1) | instskip(SKIP_2) | instid1(VALU_DEP_2)
	v_fmac_f32_e32 v103, v70, v103
	v_cndmask_b32_e64 v70, v71, v101, s2
	v_cmp_eq_u32_e64 s2, 6, v69
	v_cndmask_b32_e64 v71, v70, v100, s3
	s_delay_alu instid0(VALU_DEP_4) | instskip(NEXT) | instid1(VALU_DEP_2)
	v_dual_mul_f32 v101, v99, v103 :: v_dual_lshlrev_b32 v70, 2, v66
	v_cndmask_b32_e64 v71, v71, v97, s4
	s_delay_alu instid0(VALU_DEP_2) | instskip(NEXT) | instid1(VALU_DEP_3)
	v_or_b32_e32 v72, 1, v70
	v_fma_f32 v100, -v98, v101, v99
	v_cmp_eq_u32_e64 s3, 1, v70
	v_cmp_eq_u32_e64 s4, 2, v70
	v_cndmask_b32_e64 v95, v71, v95, s5
	v_or_b32_e32 v71, 3, v70
	v_fmac_f32_e32 v101, v100, v103
	v_cmp_eq_u32_e64 s8, 1, v72
	v_cmp_eq_u32_e64 s11, 2, v72
	v_cndmask_b32_e64 v94, v95, v94, s2
	v_cmp_eq_u32_e64 s10, 1, v71
	v_fma_f32 v97, -v98, v101, v99
	v_cmp_eq_u32_e64 s15, 2, v71
	v_cmp_eq_u32_e64 s12, 3, v72
	v_cndmask_b32_e64 v94, v94, v96, s6
	v_cmp_eq_u32_e64 s17, 3, v71
	v_div_fmas_f32 v95, v97, v103, v101
	v_cmp_eq_u32_e32 vcc_lo, 3, v70
	v_cmp_eq_u32_e64 s2, 4, v70
	v_cmp_eq_u32_e64 s18, 4, v72
	;; [unrolled: 1-line block ×3, first 2 shown]
	v_div_fixup_f32 v95, v95, v74, 1.0
	v_lshlrev_b32_e32 v73, 6, v68
	v_cmp_eq_u32_e64 s5, 5, v70
	v_cmp_eq_u32_e64 s19, 5, v72
	;; [unrolled: 1-line block ×3, first 2 shown]
	v_mul_f32_e32 v102, v94, v95
	v_lshl_or_b32 v75, v69, 11, v73
	v_or_b32_e32 v69, 2, v70
	v_cmp_eq_u32_e64 s24, 6, v72
	v_cmp_eq_u32_e64 s26, 6, v71
	v_fma_mixlo_f16 v94, v102, v79, 0
	v_fma_mixlo_f16 v95, v102, v81, 0
	;; [unrolled: 1-line block ×8, first 2 shown]
	v_lshl_or_b32 v74, v66, 4, v75
	v_fma_mixhi_f16 v94, v102, v78, 0
	v_fma_mixhi_f16 v95, v102, v80, 0
	;; [unrolled: 1-line block ×8, first 2 shown]
	ds_store_b128 v74, v[94:97]
	ds_store_b128 v74, v[98:101] offset:1024
	s_waitcnt lgkmcnt(0)
	s_barrier
	buffer_gl0_inv
	ds_load_b128 v[78:81], v75
	ds_load_b128 v[82:85], v75 offset:16
	ds_load_b128 v[86:89], v75 offset:1024
	;; [unrolled: 1-line block ×3, first 2 shown]
	v_cmp_eq_u32_e64 s9, 1, v69
	v_cmp_eq_u32_e64 s13, 2, v69
	;; [unrolled: 1-line block ×11, first 2 shown]
	s_waitcnt lgkmcnt(3)
	v_lshrrev_b32_e32 v94, 16, v78
	s_waitcnt lgkmcnt(2)
	v_lshrrev_b32_e32 v98, 16, v82
	;; [unrolled: 2-line block ×4, first 2 shown]
	v_lshrrev_b32_e32 v95, 16, v79
	v_cndmask_b32_e64 v110, v78, v94, s3
	v_cndmask_b32_e64 v111, v82, v98, s3
	;; [unrolled: 1-line block ×8, first 2 shown]
	v_lshrrev_b32_e32 v99, 16, v83
	v_cndmask_b32_e64 v94, v86, v102, s3
	v_cndmask_b32_e64 v98, v90, v106, s3
	;; [unrolled: 1-line block ×15, first 2 shown]
	v_lshrrev_b32_e32 v103, 16, v87
	v_lshrrev_b32_e32 v107, 16, v91
	v_cndmask_b32_e64 v113, v115, v83, s13
	v_cndmask_b32_e64 v82, v94, v87, s4
	;; [unrolled: 1-line block ×7, first 2 shown]
	v_cndmask_b32_e32 v90, v102, v95, vcc_lo
	v_cndmask_b32_e32 v102, v106, v99, vcc_lo
	v_cndmask_b32_e64 v106, v110, v95, s12
	v_cndmask_b32_e64 v110, v111, v99, s12
	;; [unrolled: 1-line block ×4, first 2 shown]
	v_lshrrev_b32_e32 v96, 16, v80
	v_lshrrev_b32_e32 v100, 16, v84
	v_cndmask_b32_e64 v111, v112, v95, s16
	v_cndmask_b32_e64 v112, v113, v99, s16
	v_cndmask_b32_e32 v82, v82, v103, vcc_lo
	v_cndmask_b32_e32 v83, v83, v107, vcc_lo
	v_cndmask_b32_e64 v94, v94, v103, s12
	v_cndmask_b32_e64 v90, v90, v80, s2
	;; [unrolled: 1-line block ×7, first 2 shown]
	v_lshrrev_b32_e32 v104, 16, v88
	v_cndmask_b32_e64 v106, v111, v80, s20
	v_cndmask_b32_e64 v110, v112, v84, s20
	v_cndmask_b32_e64 v80, v82, v88, s2
	v_cndmask_b32_e64 v82, v83, v92, s2
	v_cndmask_b32_e64 v83, v94, v88, s18
	v_cndmask_b32_e64 v84, v90, v96, s5
	v_cndmask_b32_e64 v90, v95, v100, s5
	v_cndmask_b32_e64 v94, v99, v96, s19
	v_cndmask_b32_e64 v95, v102, v100, s19
	v_cndmask_b32_e64 v78, v78, v96, s23
	v_cndmask_b32_e64 v79, v79, v100, s23
	v_lshrrev_b32_e32 v97, 16, v81
	v_lshrrev_b32_e32 v101, 16, v85
	v_cndmask_b32_e64 v99, v106, v96, s22
	v_cndmask_b32_e64 v102, v110, v100, s22
	;; [unrolled: 1-line block ×7, first 2 shown]
	v_lshrrev_b32_e32 v105, 16, v89
	v_cndmask_b32_e64 v80, v80, v104, s5
	v_cndmask_b32_e64 v84, v84, v81, s6
	;; [unrolled: 1-line block ×16, first 2 shown]
	v_perm_b32 v81, v79, v78, 0x5040100
	v_perm_b32 v79, v95, v85, 0x5040100
	v_cndmask_b32_e64 v78, v119, v91, s13
	v_cndmask_b32_e64 v85, v117, v91, s11
	;; [unrolled: 1-line block ×3, first 2 shown]
	v_perm_b32 v80, v94, v90, 0x5040100
	v_cndmask_b32_e64 v90, v98, v103, s16
	v_cndmask_b32_e64 v86, v86, v103, s17
	;; [unrolled: 1-line block ×5, first 2 shown]
	v_lshrrev_b32_e32 v108, 16, v92
	v_cndmask_b32_e64 v90, v90, v88, s20
	v_cndmask_b32_e64 v86, v86, v88, s21
	;; [unrolled: 1-line block ×11, first 2 shown]
	v_lshrrev_b32_e32 v109, 16, v93
	v_cndmask_b32_e64 v82, v82, v93, s6
	v_cndmask_b32_e64 v88, v88, v89, s25
	;; [unrolled: 1-line block ×12, first 2 shown]
	v_perm_b32 v78, v84, v83, 0x5040100
	v_perm_b32 v85, v87, v86, 0x5040100
	;; [unrolled: 1-line block ×5, first 2 shown]
	s_mul_i32 s7, s33, 6
	s_mov_b32 s2, exec_lo
	ds_store_b128 v74, v[78:81]
	ds_store_b128 v74, v[82:85] offset:1024
	v_cmpx_gt_u32_e32 6, v0
	s_cbranch_execz .LBB1283_14
; %bb.13:
	s_mul_i32 s3, s7, s30
	s_load_b128 s[8:11], s[0:1], 0x58
	v_add3_u32 v68, s3, s31, v68
	s_delay_alu instid0(VALU_DEP_1) | instskip(NEXT) | instid1(VALU_DEP_1)
	v_mad_u64_u32 v[78:79], null, v68, s34, s[14:15]
	v_ashrrev_i32_e32 v79, 31, v78
	s_delay_alu instid0(VALU_DEP_1) | instskip(SKIP_1) | instid1(VALU_DEP_1)
	v_lshlrev_b64 v[78:79], 2, v[78:79]
	s_waitcnt lgkmcnt(0)
	v_add_co_u32 v80, vcc_lo, s10, v78
	s_delay_alu instid0(VALU_DEP_2)
	v_add_co_ci_u32_e32 v81, vcc_lo, s11, v79, vcc_lo
	v_add_co_u32 v78, vcc_lo, s8, v78
	v_add_co_ci_u32_e32 v79, vcc_lo, s9, v79, vcc_lo
	global_store_b32 v[80:81], v76, off
	global_store_b32 v[78:79], v77, off
.LBB1283_14:
	s_or_b32 exec_lo, exec_lo, s2
	s_waitcnt lgkmcnt(0)
	s_waitcnt_vscnt null, 0x0
	s_barrier
	buffer_gl0_inv
	ds_load_b128 v[84:87], v73
	ds_load_b128 v[88:91], v73 offset:16
	ds_load_b128 v[96:99], v73 offset:2064
	;; [unrolled: 1-line block ×5, first 2 shown]
	v_cmp_eq_u32_e32 vcc_lo, 1, v70
	v_mov_b32_e32 v76, 0
	ds_load_b128 v[112:115], v73 offset:6160
	ds_load_b128 v[108:111], v73 offset:6144
	;; [unrolled: 1-line block ×4, first 2 shown]
	v_cmp_eq_u32_e64 s3, 1, v69
	v_cmp_eq_u32_e64 s2, 1, v72
	v_cmp_eq_u32_e64 s4, 2, v72
	v_mov_b32_e32 v77, v76
	v_mov_b32_e32 v78, v76
	;; [unrolled: 1-line block ×7, first 2 shown]
	v_cmp_eq_u32_e64 s5, 3, v72
	v_cmp_eq_u32_e64 s6, 7, v72
	s_waitcnt lgkmcnt(8)
	s_delay_alu instid0(VALU_DEP_3)
	v_wmma_f32_16x16x16_f16 v[76:83], v[49:56], v[84:91], v[76:83]
	ds_load_b128 v[53:56], v73 offset:10256
	ds_load_b128 v[49:52], v73 offset:10240
	s_waitcnt lgkmcnt(8)
	v_wmma_f32_16x16x16_f16 v[76:83], v[41:48], v[92:99], v[76:83]
	ds_load_b128 v[45:48], v73 offset:12304
	ds_load_b128 v[41:44], v73 offset:12288
	s_waitcnt lgkmcnt(8)
	;; [unrolled: 4-line block ×3, first 2 shown]
	s_barrier
	buffer_gl0_inv
	v_wmma_f32_16x16x16_f16 v[76:83], v[1:8], v[108:115], v[76:83]
	s_delay_alu instid0(VALU_DEP_1) | instskip(NEXT) | instid1(VALU_DEP_1)
	v_wmma_f32_16x16x16_f16 v[76:83], v[9:16], v[116:123], v[76:83]
	v_wmma_f32_16x16x16_f16 v[76:83], v[17:24], v[49:56], v[76:83]
	s_delay_alu instid0(VALU_DEP_1) | instskip(NEXT) | instid1(VALU_DEP_1)
	v_wmma_f32_16x16x16_f16 v[76:83], v[25:32], v[41:48], v[76:83]
	v_wmma_f32_16x16x16_f16 v[76:83], v[57:64], v[33:40], v[76:83]
	s_delay_alu instid0(VALU_DEP_1) | instskip(NEXT) | instid1(VALU_DEP_2)
	v_cvt_f16_f32_e32 v1, v76
	v_cvt_f16_f32_e32 v2, v77
	s_delay_alu instid0(VALU_DEP_3) | instskip(NEXT) | instid1(VALU_DEP_4)
	v_cvt_f16_f32_e32 v3, v78
	v_cvt_f16_f32_e32 v4, v79
	;; [unrolled: 1-line block ×6, first 2 shown]
	v_pack_b32_f16 v1, v1, v2
	v_pack_b32_f16 v2, v3, v4
	;; [unrolled: 1-line block ×3, first 2 shown]
	s_delay_alu instid0(VALU_DEP_4)
	v_pack_b32_f16 v4, v7, v8
	ds_store_b128 v74, v[1:4]
	s_waitcnt lgkmcnt(0)
	s_barrier
	buffer_gl0_inv
	ds_load_b128 v[1:4], v75
	ds_load_b128 v[5:8], v75 offset:16
	s_waitcnt lgkmcnt(1)
	v_lshrrev_b32_e32 v9, 16, v1
	s_waitcnt lgkmcnt(0)
	v_lshrrev_b32_e32 v13, 16, v5
	v_lshrrev_b32_e32 v10, 16, v2
	;; [unrolled: 1-line block ×4, first 2 shown]
	v_cndmask_b32_e32 v17, v1, v9, vcc_lo
	v_cndmask_b32_e32 v18, v5, v13, vcc_lo
	v_cndmask_b32_e64 v21, v1, v9, s3
	v_cmp_eq_u32_e32 vcc_lo, 1, v71
	v_cndmask_b32_e64 v22, v5, v13, s3
	v_cmp_eq_u32_e64 s3, 2, v70
	v_cndmask_b32_e64 v19, v1, v9, s2
	v_cndmask_b32_e64 v20, v5, v13, s2
	v_cndmask_b32_e32 v1, v1, v9, vcc_lo
	v_cmp_eq_u32_e64 s2, 2, v71
	v_cndmask_b32_e32 v5, v5, v13, vcc_lo
	v_cndmask_b32_e64 v9, v17, v2, s3
	v_cmp_eq_u32_e32 vcc_lo, 3, v70
	v_cndmask_b32_e64 v13, v18, v6, s3
	v_cmp_eq_u32_e64 s3, 2, v69
	v_cndmask_b32_e64 v17, v19, v2, s4
	v_cndmask_b32_e64 v18, v20, v6, s4
	v_cmp_eq_u32_e64 s4, 3, v69
	v_cndmask_b32_e64 v1, v1, v2, s2
	v_cndmask_b32_e64 v19, v21, v2, s3
	;; [unrolled: 1-line block ×4, first 2 shown]
	v_cndmask_b32_e32 v5, v9, v10, vcc_lo
	v_cndmask_b32_e32 v6, v13, v14, vcc_lo
	v_cmp_eq_u32_e32 vcc_lo, 3, v71
	v_cndmask_b32_e64 v9, v17, v10, s5
	v_cndmask_b32_e64 v13, v18, v14, s5
	;; [unrolled: 1-line block ×3, first 2 shown]
	v_cmp_eq_u32_e64 s3, 4, v70
	v_cndmask_b32_e32 v1, v1, v10, vcc_lo
	v_cndmask_b32_e32 v2, v2, v14, vcc_lo
	v_cmp_eq_u32_e32 vcc_lo, 4, v72
	v_lshrrev_b32_e32 v15, 16, v7
	v_lshrrev_b32_e32 v16, 16, v8
	v_cndmask_b32_e64 v17, v19, v10, s4
	v_cmp_eq_u32_e64 s2, 4, v71
	v_cndmask_b32_e64 v5, v5, v3, s3
	v_cndmask_b32_e64 v6, v6, v7, s3
	v_cndmask_b32_e32 v9, v9, v3, vcc_lo
	v_cmp_eq_u32_e64 s3, 5, v72
	v_cndmask_b32_e32 v10, v13, v7, vcc_lo
	v_cmp_eq_u32_e32 vcc_lo, 4, v69
	v_cmp_eq_u32_e64 s4, 5, v70
	v_cndmask_b32_e64 v2, v2, v7, s2
	v_cndmask_b32_e64 v9, v9, v11, s3
	;; [unrolled: 1-line block ×3, first 2 shown]
	v_cndmask_b32_e32 v13, v17, v3, vcc_lo
	v_cmp_eq_u32_e64 s3, 5, v69
	v_cndmask_b32_e32 v14, v18, v7, vcc_lo
	v_cndmask_b32_e64 v1, v1, v3, s2
	v_cmp_eq_u32_e32 vcc_lo, 5, v71
	v_lshrrev_b32_e32 v12, 16, v4
	v_cndmask_b32_e64 v13, v13, v11, s3
	v_cndmask_b32_e64 v3, v14, v15, s3
	v_cmp_eq_u32_e64 s3, 6, v71
	v_cndmask_b32_e32 v1, v1, v11, vcc_lo
	v_cndmask_b32_e64 v5, v5, v11, s4
	v_cmp_eq_u32_e64 s5, 6, v70
	v_cndmask_b32_e64 v6, v6, v15, s4
	v_cmp_eq_u32_e64 s4, 6, v72
	v_cmp_eq_u32_e64 s2, 6, v69
	v_cndmask_b32_e64 v1, v1, v4, s3
	v_cndmask_b32_e32 v2, v2, v15, vcc_lo
	v_cmp_eq_u32_e32 vcc_lo, 7, v71
	v_cndmask_b32_e64 v5, v5, v4, s5
	v_cndmask_b32_e64 v9, v9, v4, s4
	;; [unrolled: 1-line block ×3, first 2 shown]
	v_cmp_eq_u32_e64 s5, 7, v70
	v_cndmask_b32_e32 v1, v1, v12, vcc_lo
	v_cndmask_b32_e64 v7, v13, v4, s2
	v_cndmask_b32_e64 v3, v3, v8, s2
	;; [unrolled: 1-line block ×3, first 2 shown]
	v_cmp_eq_u32_e64 s2, 7, v69
	v_cndmask_b32_e64 v4, v10, v8, s4
	v_cndmask_b32_e64 v5, v5, v12, s5
	;; [unrolled: 1-line block ×3, first 2 shown]
	v_cndmask_b32_e32 v2, v2, v16, vcc_lo
	v_cndmask_b32_e64 v7, v7, v12, s2
	v_cndmask_b32_e64 v3, v3, v16, s2
	;; [unrolled: 1-line block ×4, first 2 shown]
	v_perm_b32 v4, v2, v1, 0x5040100
	s_mov_b32 s2, exec_lo
	v_perm_b32 v3, v3, v7, 0x5040100
	v_perm_b32 v2, v8, v9, 0x5040100
	v_perm_b32 v1, v6, v5, 0x5040100
	ds_store_b128 v74, v[1:4]
	s_waitcnt lgkmcnt(0)
	s_barrier
	buffer_gl0_inv
	v_cmpx_gt_u32_e32 32, v0
	s_cbranch_execz .LBB1283_2
; %bb.15:
	s_load_b64 s[0:1], s[0:1], 0x68
	s_lshl_b32 s4, s34, 7
	v_or_b32_e32 v3, s31, v66
	s_mul_i32 s2, s4, s30
	v_lshlrev_b32_e32 v0, 10, v0
	s_mul_i32 s2, s2, s7
	v_lshlrev_b32_e32 v1, 4, v67
	s_ashr_i32 s3, s2, 31
	v_mul_lo_u32 v12, v3, s4
	s_lshl_b64 s[2:3], s[2:3], 1
	v_lshlrev_b32_e32 v2, 6, v66
	v_and_b32_e32 v0, 0x3800, v0
	s_delay_alu instid0(VALU_DEP_1) | instskip(NEXT) | instid1(VALU_DEP_4)
	v_or3_b32 v8, v0, v1, v2
	v_ashrrev_i32_e32 v13, 31, v12
	ds_load_b128 v[0:3], v8
	ds_load_b128 v[4:7], v8 offset:128
	ds_load_b128 v[8:11], v8 offset:256
	s_waitcnt lgkmcnt(0)
	s_add_u32 s2, s0, s2
	s_addc_u32 s3, s1, s3
	s_lshl_b32 s0, s14, 7
	s_delay_alu instid0(SALU_CYCLE_1) | instskip(NEXT) | instid1(SALU_CYCLE_1)
	s_ashr_i32 s1, s0, 31
	s_lshl_b64 s[0:1], s[0:1], 1
	s_delay_alu instid0(SALU_CYCLE_1)
	s_add_u32 s0, s2, s0
	s_addc_u32 s1, s3, s1
	s_lshl_b32 s2, s34, 8
	v_add_co_u32 v18, s0, s0, v65
	v_add_nc_u32_e32 v14, s2, v12
	v_lshlrev_b64 v[12:13], 1, v[12:13]
	v_add_co_ci_u32_e64 v19, null, s1, 0, s0
	s_delay_alu instid0(VALU_DEP_3) | instskip(SKIP_1) | instid1(VALU_DEP_4)
	v_add_nc_u32_e32 v16, s2, v14
	v_ashrrev_i32_e32 v15, 31, v14
	v_add_co_u32 v12, vcc_lo, v18, v12
	s_delay_alu instid0(VALU_DEP_4) | instskip(NEXT) | instid1(VALU_DEP_4)
	v_add_co_ci_u32_e32 v13, vcc_lo, v19, v13, vcc_lo
	v_ashrrev_i32_e32 v17, 31, v16
	s_delay_alu instid0(VALU_DEP_4) | instskip(NEXT) | instid1(VALU_DEP_2)
	v_lshlrev_b64 v[14:15], 1, v[14:15]
	v_lshlrev_b64 v[16:17], 1, v[16:17]
	s_delay_alu instid0(VALU_DEP_2) | instskip(NEXT) | instid1(VALU_DEP_3)
	v_add_co_u32 v14, vcc_lo, v18, v14
	v_add_co_ci_u32_e32 v15, vcc_lo, v19, v15, vcc_lo
	s_delay_alu instid0(VALU_DEP_3) | instskip(NEXT) | instid1(VALU_DEP_4)
	v_add_co_u32 v16, vcc_lo, v18, v16
	v_add_co_ci_u32_e32 v17, vcc_lo, v19, v17, vcc_lo
	s_clause 0x2
	global_store_b128 v[12:13], v[0:3], off
	global_store_b128 v[14:15], v[4:7], off
	;; [unrolled: 1-line block ×3, first 2 shown]
	s_nop 0
	s_sendmsg sendmsg(MSG_DEALLOC_VGPRS)
	s_endpgm
	.section	.rodata,"a",@progbits
	.p2align	6, 0x0
	.amdhsa_kernel _Z39paged_attention_ll4mi_QKV_mfma16_kernelIDF16_hLN4vllm18Fp8KVCacheDataTypeE1EhLi32ELi128ELi256ELb1ELi6EL8MFMAType0EEvPKT_PKT0_S8_ifPKiSA_SA_iPKfiiiPfSD_PS3_PT2_iSC_SC_
		.amdhsa_group_segment_fixed_size 17472
		.amdhsa_private_segment_fixed_size 0
		.amdhsa_kernarg_size 400
		.amdhsa_user_sgpr_count 13
		.amdhsa_user_sgpr_dispatch_ptr 0
		.amdhsa_user_sgpr_queue_ptr 0
		.amdhsa_user_sgpr_kernarg_segment_ptr 1
		.amdhsa_user_sgpr_dispatch_id 0
		.amdhsa_user_sgpr_private_segment_size 0
		.amdhsa_wavefront_size32 1
		.amdhsa_uses_dynamic_stack 0
		.amdhsa_enable_private_segment 0
		.amdhsa_system_sgpr_workgroup_id_x 1
		.amdhsa_system_sgpr_workgroup_id_y 1
		.amdhsa_system_sgpr_workgroup_id_z 1
		.amdhsa_system_sgpr_workgroup_info 0
		.amdhsa_system_vgpr_workitem_id 0
		.amdhsa_next_free_vgpr 150
		.amdhsa_next_free_sgpr 37
		.amdhsa_reserve_vcc 1
		.amdhsa_float_round_mode_32 0
		.amdhsa_float_round_mode_16_64 0
		.amdhsa_float_denorm_mode_32 3
		.amdhsa_float_denorm_mode_16_64 3
		.amdhsa_dx10_clamp 1
		.amdhsa_ieee_mode 1
		.amdhsa_fp16_overflow 0
		.amdhsa_workgroup_processor_mode 1
		.amdhsa_memory_ordered 1
		.amdhsa_forward_progress 0
		.amdhsa_shared_vgpr_count 0
		.amdhsa_exception_fp_ieee_invalid_op 0
		.amdhsa_exception_fp_denorm_src 0
		.amdhsa_exception_fp_ieee_div_zero 0
		.amdhsa_exception_fp_ieee_overflow 0
		.amdhsa_exception_fp_ieee_underflow 0
		.amdhsa_exception_fp_ieee_inexact 0
		.amdhsa_exception_int_div_zero 0
	.end_amdhsa_kernel
	.section	.text._Z39paged_attention_ll4mi_QKV_mfma16_kernelIDF16_hLN4vllm18Fp8KVCacheDataTypeE1EhLi32ELi128ELi256ELb1ELi6EL8MFMAType0EEvPKT_PKT0_S8_ifPKiSA_SA_iPKfiiiPfSD_PS3_PT2_iSC_SC_,"axG",@progbits,_Z39paged_attention_ll4mi_QKV_mfma16_kernelIDF16_hLN4vllm18Fp8KVCacheDataTypeE1EhLi32ELi128ELi256ELb1ELi6EL8MFMAType0EEvPKT_PKT0_S8_ifPKiSA_SA_iPKfiiiPfSD_PS3_PT2_iSC_SC_,comdat
.Lfunc_end1283:
	.size	_Z39paged_attention_ll4mi_QKV_mfma16_kernelIDF16_hLN4vllm18Fp8KVCacheDataTypeE1EhLi32ELi128ELi256ELb1ELi6EL8MFMAType0EEvPKT_PKT0_S8_ifPKiSA_SA_iPKfiiiPfSD_PS3_PT2_iSC_SC_, .Lfunc_end1283-_Z39paged_attention_ll4mi_QKV_mfma16_kernelIDF16_hLN4vllm18Fp8KVCacheDataTypeE1EhLi32ELi128ELi256ELb1ELi6EL8MFMAType0EEvPKT_PKT0_S8_ifPKiSA_SA_iPKfiiiPfSD_PS3_PT2_iSC_SC_
                                        ; -- End function
	.section	.AMDGPU.csdata,"",@progbits
; Kernel info:
; codeLenInByte = 6640
; NumSgprs: 39
; NumVgprs: 150
; ScratchSize: 0
; MemoryBound: 0
; FloatMode: 240
; IeeeMode: 1
; LDSByteSize: 17472 bytes/workgroup (compile time only)
; SGPRBlocks: 4
; VGPRBlocks: 18
; NumSGPRsForWavesPerEU: 39
; NumVGPRsForWavesPerEU: 150
; Occupancy: 9
; WaveLimiterHint : 1
; COMPUTE_PGM_RSRC2:SCRATCH_EN: 0
; COMPUTE_PGM_RSRC2:USER_SGPR: 13
; COMPUTE_PGM_RSRC2:TRAP_HANDLER: 0
; COMPUTE_PGM_RSRC2:TGID_X_EN: 1
; COMPUTE_PGM_RSRC2:TGID_Y_EN: 1
; COMPUTE_PGM_RSRC2:TGID_Z_EN: 1
; COMPUTE_PGM_RSRC2:TIDIG_COMP_CNT: 0
	.section	.text._Z39paged_attention_ll4mi_QKV_mfma16_kernelIDF16_hLN4vllm18Fp8KVCacheDataTypeE1EhLi32ELi128ELi256ELb1ELi7EL8MFMAType0EEvPKT_PKT0_S8_ifPKiSA_SA_iPKfiiiPfSD_PS3_PT2_iSC_SC_,"axG",@progbits,_Z39paged_attention_ll4mi_QKV_mfma16_kernelIDF16_hLN4vllm18Fp8KVCacheDataTypeE1EhLi32ELi128ELi256ELb1ELi7EL8MFMAType0EEvPKT_PKT0_S8_ifPKiSA_SA_iPKfiiiPfSD_PS3_PT2_iSC_SC_,comdat
	.protected	_Z39paged_attention_ll4mi_QKV_mfma16_kernelIDF16_hLN4vllm18Fp8KVCacheDataTypeE1EhLi32ELi128ELi256ELb1ELi7EL8MFMAType0EEvPKT_PKT0_S8_ifPKiSA_SA_iPKfiiiPfSD_PS3_PT2_iSC_SC_ ; -- Begin function _Z39paged_attention_ll4mi_QKV_mfma16_kernelIDF16_hLN4vllm18Fp8KVCacheDataTypeE1EhLi32ELi128ELi256ELb1ELi7EL8MFMAType0EEvPKT_PKT0_S8_ifPKiSA_SA_iPKfiiiPfSD_PS3_PT2_iSC_SC_
	.globl	_Z39paged_attention_ll4mi_QKV_mfma16_kernelIDF16_hLN4vllm18Fp8KVCacheDataTypeE1EhLi32ELi128ELi256ELb1ELi7EL8MFMAType0EEvPKT_PKT0_S8_ifPKiSA_SA_iPKfiiiPfSD_PS3_PT2_iSC_SC_
	.p2align	8
	.type	_Z39paged_attention_ll4mi_QKV_mfma16_kernelIDF16_hLN4vllm18Fp8KVCacheDataTypeE1EhLi32ELi128ELi256ELb1ELi7EL8MFMAType0EEvPKT_PKT0_S8_ifPKiSA_SA_iPKfiiiPfSD_PS3_PT2_iSC_SC_,@function
_Z39paged_attention_ll4mi_QKV_mfma16_kernelIDF16_hLN4vllm18Fp8KVCacheDataTypeE1EhLi32ELi128ELi256ELb1ELi7EL8MFMAType0EEvPKT_PKT0_S8_ifPKiSA_SA_iPKfiiiPfSD_PS3_PT2_iSC_SC_: ; @_Z39paged_attention_ll4mi_QKV_mfma16_kernelIDF16_hLN4vllm18Fp8KVCacheDataTypeE1EhLi32ELi128ELi256ELb1ELi7EL8MFMAType0EEvPKT_PKT0_S8_ifPKiSA_SA_iPKfiiiPfSD_PS3_PT2_iSC_SC_
; %bb.0:
	s_load_b64 s[4:5], s[0:1], 0x30
	s_mov_b32 s34, s13
	s_waitcnt lgkmcnt(0)
	s_cmp_lg_u64 s[4:5], 0
	s_cselect_b32 s8, -1, 0
	s_ashr_i32 s35, s13, 31
	s_cmp_eq_u64 s[4:5], 0
	s_cbranch_scc1 .LBB1284_3
; %bb.1:
	s_lshl_b64 s[2:3], s[34:35], 2
	s_delay_alu instid0(SALU_CYCLE_1) | instskip(SKIP_4) | instid1(SALU_CYCLE_1)
	s_add_u32 s2, s4, s2
	s_addc_u32 s3, s5, s3
	s_load_b64 s[2:3], s[2:3], 0x0
	s_waitcnt lgkmcnt(0)
	s_sub_i32 s2, s3, s2
	s_cmp_eq_u32 s2, 1
	s_cselect_b32 s2, -1, 0
	s_delay_alu instid0(SALU_CYCLE_1)
	s_and_not1_b32 vcc_lo, exec_lo, s2
	s_cbranch_vccz .LBB1284_4
.LBB1284_2:
	s_nop 0
	s_sendmsg sendmsg(MSG_DEALLOC_VGPRS)
	s_endpgm
.LBB1284_3:
.LBB1284_4:
	s_load_b64 s[2:3], s[0:1], 0x28
	s_lshl_b64 s[6:7], s[34:35], 2
	s_waitcnt lgkmcnt(0)
	s_add_u32 s2, s2, s6
	s_addc_u32 s3, s3, s7
	s_lshl_b32 s12, s14, 8
	s_load_b32 s24, s[2:3], 0x0
	s_waitcnt lgkmcnt(0)
	s_cmp_ge_i32 s12, s24
	s_cbranch_scc1 .LBB1284_2
; %bb.5:
	s_clause 0x1
	s_load_b128 s[20:23], s[0:1], 0x8
	s_load_b64 s[2:3], s[0:1], 0x20
	s_and_not1_b32 vcc_lo, exec_lo, s8
	s_cbranch_vccnz .LBB1284_7
; %bb.6:
	s_add_u32 s4, s4, s6
	s_addc_u32 s5, s5, s7
	s_load_b32 s5, s[4:5], 0x0
	s_branch .LBB1284_8
.LBB1284_7:
	s_mov_b32 s5, s34
.LBB1284_8:
	s_load_b128 s[16:19], s[0:1], 0x48
	v_and_b32_e32 v68, 15, v0
	v_lshrrev_b32_e32 v69, 5, v0
	v_bfe_u32 v66, v0, 4, 1
	v_and_b32_e32 v70, 31, v0
	v_and_b32_e32 v67, 1, v0
	v_lshlrev_b32_e32 v2, 3, v68
	s_mul_i32 s31, s15, 7
	v_lshl_or_b32 v1, v69, 1, v66
	s_mov_b32 s4, exec_lo
	s_delay_alu instid0(VALU_DEP_2) | instskip(NEXT) | instid1(VALU_DEP_2)
	v_lshlrev_b32_e32 v65, 1, v2
	v_cmpx_gt_u32_e32 7, v1
	s_cbranch_execz .LBB1284_10
; %bb.9:
	s_load_b64 s[6:7], s[0:1], 0x0
	v_add_lshl_u32 v2, v1, s31, 7
	s_waitcnt lgkmcnt(0)
	s_mul_hi_i32 s9, s5, s16
	s_mul_i32 s8, s5, s16
	v_lshlrev_b32_e32 v6, 10, v68
	s_lshl_b64 s[8:9], s[8:9], 1
	v_ashrrev_i32_e32 v3, 31, v2
	v_lshlrev_b32_e32 v1, 6, v1
	v_lshlrev_b32_e32 v7, 10, v67
	v_and_b32_e32 v6, 0x3800, v6
	s_delay_alu instid0(VALU_DEP_4) | instskip(NEXT) | instid1(VALU_DEP_2)
	v_lshlrev_b64 v[2:3], 1, v[2:3]
	v_or3_b32 v1, v6, v7, v1
	s_add_u32 s5, s6, s8
	s_addc_u32 s6, s7, s9
	s_delay_alu instid0(VALU_DEP_2) | instskip(NEXT) | instid1(VALU_DEP_3)
	v_add_co_u32 v2, vcc_lo, s5, v2
	v_add_co_ci_u32_e32 v3, vcc_lo, s6, v3, vcc_lo
	s_delay_alu instid0(VALU_DEP_2) | instskip(NEXT) | instid1(VALU_DEP_2)
	v_add_co_u32 v2, vcc_lo, v2, v65
	v_add_co_ci_u32_e32 v3, vcc_lo, 0, v3, vcc_lo
	global_load_b128 v[2:5], v[2:3], off
	s_waitcnt vmcnt(0)
	ds_store_b128 v1, v[2:5]
.LBB1284_10:
	s_or_b32 exec_lo, exec_lo, s4
	v_and_b32_e32 v1, 0xef, v0
	s_waitcnt lgkmcnt(0)
	s_add_i32 s5, s24, 31
	s_clause 0x1
	s_load_b32 s4, s[0:1], 0x38
	s_load_b32 s33, s[0:1], 0x98
	s_ashr_i32 s6, s5, 31
	v_add_nc_u32_e32 v1, s12, v1
	s_lshr_b32 s6, s6, 27
	s_load_b32 s19, s[0:1], 0x1c
	s_add_i32 s5, s5, s6
	s_waitcnt lgkmcnt(0)
	v_ashrrev_i32_e32 v2, 31, v1
	v_or_b32_e32 v3, 16, v1
	s_ashr_i32 s13, s5, 5
	v_cmp_gt_i32_e32 vcc_lo, s24, v1
	s_add_i32 s13, s13, -1
	v_lshrrev_b32_e32 v2, 27, v2
	s_barrier
	buffer_gl0_inv
	s_mul_i32 s15, s15, s18
	v_add_nc_u32_e32 v4, v1, v2
	s_mul_i32 s4, s34, s4
	s_delay_alu instid0(SALU_CYCLE_1) | instskip(NEXT) | instid1(VALU_DEP_1)
	s_ashr_i32 s5, s4, 31
	v_ashrrev_i32_e32 v4, 5, v4
	v_add_nc_u32_e32 v2, v3, v2
	s_lshl_b64 s[4:5], s[4:5], 2
	s_delay_alu instid0(SALU_CYCLE_1) | instskip(NEXT) | instid1(VALU_DEP_2)
	s_add_u32 s16, s2, s4
	v_cndmask_b32_e32 v1, s13, v4, vcc_lo
	s_delay_alu instid0(VALU_DEP_2)
	v_ashrrev_i32_e32 v2, 5, v2
	v_cmp_gt_i32_e32 vcc_lo, s24, v3
	s_addc_u32 s25, s3, s5
	s_ashr_i32 s18, s15, 31
	s_add_u32 s2, s20, s15
	s_addc_u32 s3, s21, s18
	v_cndmask_b32_e32 v3, s13, v2, vcc_lo
	v_ashrrev_i32_e32 v2, 31, v1
	s_lshl_b32 s4, s14, 3
	s_delay_alu instid0(SALU_CYCLE_1) | instskip(NEXT) | instid1(VALU_DEP_2)
	s_ashr_i32 s5, s4, 31
	v_ashrrev_i32_e32 v4, 31, v3
	s_delay_alu instid0(VALU_DEP_2) | instskip(SKIP_1) | instid1(SALU_CYCLE_1)
	v_lshlrev_b64 v[1:2], 2, v[1:2]
	s_lshl_b64 s[4:5], s[4:5], 2
	s_add_u32 s4, s16, s4
	s_delay_alu instid0(VALU_DEP_2) | instskip(SKIP_1) | instid1(VALU_DEP_2)
	v_lshlrev_b64 v[3:4], 2, v[3:4]
	s_addc_u32 s5, s25, s5
	v_add_co_u32 v1, vcc_lo, s16, v1
	v_add_co_ci_u32_e32 v2, vcc_lo, s25, v2, vcc_lo
	s_delay_alu instid0(VALU_DEP_3) | instskip(NEXT) | instid1(VALU_DEP_4)
	v_add_co_u32 v3, vcc_lo, s16, v3
	v_add_co_ci_u32_e32 v4, vcc_lo, s25, v4, vcc_lo
	s_clause 0x1
	global_load_b32 v5, v[1:2], off
	global_load_b32 v6, v[3:4], off
	s_or_b32 s6, s12, 32
	s_delay_alu instid0(SALU_CYCLE_1) | instskip(SKIP_2) | instid1(SALU_CYCLE_1)
	s_ashr_i32 s7, s6, 5
	s_cmp_lt_i32 s6, s24
	s_cselect_b32 s6, s7, s13
	s_ashr_i32 s7, s6, 31
	s_delay_alu instid0(SALU_CYCLE_1) | instskip(NEXT) | instid1(SALU_CYCLE_1)
	s_lshl_b64 s[6:7], s[6:7], 2
	s_add_u32 s6, s16, s6
	s_addc_u32 s7, s25, s7
	s_or_b32 s8, s12, 64
	s_delay_alu instid0(SALU_CYCLE_1) | instskip(SKIP_2) | instid1(SALU_CYCLE_1)
	s_ashr_i32 s9, s8, 5
	s_cmp_lt_i32 s8, s24
	s_cselect_b32 s8, s9, s13
	s_ashr_i32 s9, s8, 31
	s_delay_alu instid0(SALU_CYCLE_1) | instskip(NEXT) | instid1(SALU_CYCLE_1)
	s_lshl_b64 s[8:9], s[8:9], 2
	s_add_u32 s8, s16, s8
	s_addc_u32 s9, s25, s9
	;; [unrolled: 10-line block ×5, first 2 shown]
	s_clause 0x5
	s_load_b32 s28, s[4:5], 0x0
	s_load_b32 s29, s[6:7], 0x0
	;; [unrolled: 1-line block ×6, first 2 shown]
	s_mov_b32 s4, 0
	s_delay_alu instid0(SALU_CYCLE_1)
	s_mov_b32 s5, s4
	s_mov_b32 s6, s4
	s_mov_b32 s7, s4
	s_mov_b32 s8, s4
	s_mov_b32 s9, s4
	s_mov_b32 s10, s4
	s_mov_b32 s11, s4
	s_delay_alu instid0(SALU_CYCLE_1)
	v_dual_mov_b32 v118, s11 :: v_dual_mov_b32 v117, s10
	v_dual_mov_b32 v116, s9 :: v_dual_mov_b32 v115, s8
	v_mov_b32_e32 v113, s6
	v_dual_mov_b32 v111, s4 :: v_dual_mov_b32 v114, s7
	v_mov_b32_e32 v112, s5
	s_waitcnt vmcnt(1)
	v_mad_i64_i32 v[1:2], null, v5, s17, s[2:3]
	v_lshlrev_b32_e32 v5, 4, v68
	s_waitcnt vmcnt(0)
	v_mad_i64_i32 v[3:4], null, v6, s17, s[2:3]
	s_or_b32 s2, s12, 0xc0
	s_delay_alu instid0(SALU_CYCLE_1) | instskip(NEXT) | instid1(VALU_DEP_3)
	s_ashr_i32 s3, s2, 5
	v_add_co_u32 v1, vcc_lo, v1, v5
	s_delay_alu instid0(VALU_DEP_4) | instskip(NEXT) | instid1(VALU_DEP_3)
	v_add_co_ci_u32_e32 v2, vcc_lo, 0, v2, vcc_lo
	v_add_co_u32 v3, vcc_lo, v3, v5
	s_delay_alu instid0(VALU_DEP_4)
	v_add_co_ci_u32_e32 v4, vcc_lo, 0, v4, vcc_lo
	s_clause 0xf
	global_load_b128 v[17:20], v[1:2], off
	global_load_b128 v[21:24], v[1:2], off offset:512
	global_load_b128 v[25:28], v[3:4], off offset:256
	;; [unrolled: 1-line block ×15, first 2 shown]
	v_mul_lo_u16 v1, v68, 37
	s_cmp_lt_i32 s2, s24
	v_lshlrev_b32_e32 v2, 5, v68
	s_cselect_b32 s2, s3, s13
	s_delay_alu instid0(VALU_DEP_2) | instskip(SKIP_1) | instid1(SALU_CYCLE_1)
	v_lshrrev_b16 v1, 8, v1
	s_ashr_i32 s3, s2, 31
	s_lshl_b64 s[2:3], s[2:3], 2
	s_delay_alu instid0(VALU_DEP_1) | instskip(SKIP_3) | instid1(VALU_DEP_1)
	v_mul_lo_u16 v1, v1, 7
	s_add_u32 s2, s16, s2
	s_addc_u32 s3, s25, s3
	s_or_b32 s20, s12, 0xe0
	v_sub_nc_u16 v1, v68, v1
	s_ashr_i32 s21, s20, 5
	s_cmp_lt_i32 s20, s24
	s_cselect_b32 s20, s21, s13
	s_delay_alu instid0(VALU_DEP_1) | instskip(SKIP_1) | instid1(SALU_CYCLE_1)
	v_and_b32_e32 v1, 0xff, v1
	s_ashr_i32 s21, s20, 31
	s_lshl_b64 s[4:5], s[20:21], 2
	s_delay_alu instid0(VALU_DEP_1)
	v_lshlrev_b32_e32 v149, 6, v1
	s_add_u32 s4, s16, s4
	s_addc_u32 s5, s25, s5
	v_lshl_or_b32 v1, v69, 9, v2
	ds_load_b128 v[119:122], v149
	ds_load_b128 v[123:126], v149 offset:1024
	ds_load_b128 v[127:130], v149 offset:2048
	;; [unrolled: 1-line block ×3, first 2 shown]
	s_clause 0x1
	s_load_b32 s2, s[2:3], 0x0
	s_load_b32 s3, s[4:5], 0x0
	s_add_u32 s6, s22, s15
	s_addc_u32 s7, s23, s18
	v_add_co_u32 v135, s6, s6, v1
	s_delay_alu instid0(VALU_DEP_1) | instskip(SKIP_1) | instid1(VALU_DEP_1)
	v_add_co_ci_u32_e64 v136, null, s7, 0, s6
	s_waitcnt lgkmcnt(0)
	v_mad_i64_i32 v[1:2], null, s28, s17, v[135:136]
	v_mad_i64_i32 v[3:4], null, s29, s17, v[135:136]
	;; [unrolled: 1-line block ×6, first 2 shown]
	s_clause 0x9
	global_load_b128 v[49:52], v[1:2], off
	global_load_b128 v[53:56], v[1:2], off offset:16
	global_load_b128 v[41:44], v[3:4], off
	global_load_b128 v[45:48], v[3:4], off offset:16
	;; [unrolled: 2-line block ×5, first 2 shown]
	v_mad_i64_i32 v[145:146], null, s2, s17, v[135:136]
	v_mad_i64_i32 v[147:148], null, s3, s17, v[135:136]
	s_waitcnt vmcnt(24)
	v_wmma_f32_16x16x16_f16 v[135:142], v[17:24], v[119:126], v[111:118]
	s_waitcnt vmcnt(22)
	v_wmma_f32_16x16x16_f16 v[111:118], v[25:32], v[119:126], v[111:118]
	s_clause 0x3
	global_load_b128 v[17:20], v[143:144], off
	global_load_b128 v[21:24], v[143:144], off offset:16
	global_load_b128 v[25:28], v[145:146], off
	global_load_b128 v[29:32], v[145:146], off offset:16
	v_and_b32_e32 v119, 0xe0, v0
	s_waitcnt vmcnt(24)
	v_wmma_f32_16x16x16_f16 v[135:142], v[57:64], v[127:134], v[135:142]
	s_clause 0x1
	global_load_b128 v[57:60], v[147:148], off
	global_load_b128 v[61:64], v[147:148], off offset:16
	s_waitcnt vmcnt(24)
	v_wmma_f32_16x16x16_f16 v[111:118], v[71:78], v[127:134], v[111:118]
	ds_load_b128 v[71:74], v149 offset:4096
	ds_load_b128 v[75:78], v149 offset:5120
	v_add_nc_u32_e32 v128, s12, v119
	ds_load_b128 v[119:122], v149 offset:6144
	ds_load_b128 v[123:126], v149 offset:7168
	v_mbcnt_lo_u32_b32 v127, -1, 0
	s_waitcnt vmcnt(0) lgkmcnt(0)
	s_barrier
	v_or_b32_e32 v128, v128, v66
	buffer_gl0_inv
	v_xor_b32_e32 v129, 16, v127
	v_or_b32_e32 v130, 4, v128
	v_or_b32_e32 v131, 6, v128
	s_delay_alu instid0(VALU_DEP_3) | instskip(SKIP_4) | instid1(VALU_DEP_4)
	v_cmp_gt_i32_e32 vcc_lo, 32, v129
	v_or_b32_e32 v132, 8, v128
	v_or_b32_e32 v133, 10, v128
	v_cmp_gt_i32_e64 s3, s24, v130
	v_cmp_gt_i32_e64 s4, s24, v131
	;; [unrolled: 1-line block ×3, first 2 shown]
	v_wmma_f32_16x16x16_f16 v[135:142], v[79:86], v[71:78], v[135:142]
	v_wmma_f32_16x16x16_f16 v[111:118], v[87:94], v[71:78], v[111:118]
	v_or_b32_e32 v79, 12, v128
	v_or_b32_e32 v80, 14, v128
	v_cmp_gt_i32_e64 s6, s24, v133
	v_wmma_f32_16x16x16_f16 v[135:142], v[95:102], v[119:126], v[135:142]
	v_cndmask_b32_e32 v127, v127, v129, vcc_lo
	v_or_b32_e32 v129, 2, v128
	v_wmma_f32_16x16x16_f16 v[111:118], v[103:110], v[119:126], v[111:118]
	v_cmp_gt_i32_e32 vcc_lo, s24, v128
	v_dual_mul_f32 v88, s19, v135 :: v_dual_mul_f32 v87, s19, v136
	s_delay_alu instid0(VALU_DEP_4) | instskip(NEXT) | instid1(VALU_DEP_4)
	v_cmp_gt_i32_e64 s2, s24, v129
	v_mul_f32_e32 v94, s19, v113
	v_mul_f32_e32 v78, s19, v138
	;; [unrolled: 1-line block ×3, first 2 shown]
	v_cndmask_b32_e32 v88, 0xff7fffff, v88, vcc_lo
	v_cndmask_b32_e64 v87, 0xff7fffff, v87, s2
	v_dual_mul_f32 v76, s19, v140 :: v_dual_mul_f32 v77, s19, v139
	v_mul_f32_e32 v90, s19, v117
	v_cndmask_b32_e64 v86, 0xff7fffff, v86, s3
	v_cndmask_b32_e64 v78, 0xff7fffff, v78, s4
	v_max3_f32 v87, v88, 0xff7fffff, v87
	v_or_b32_e32 v81, 16, v128
	v_or_b32_e32 v82, 18, v128
	v_dual_mul_f32 v74, s19, v142 :: v_dual_mul_f32 v75, s19, v141
	v_mul_f32_e32 v92, s19, v115
	v_cndmask_b32_e64 v77, 0xff7fffff, v77, s5
	v_cndmask_b32_e64 v76, 0xff7fffff, v76, s6
	v_max3_f32 v78, v87, v86, v78
	v_cmp_gt_i32_e64 s7, s24, v79
	v_cmp_gt_i32_e64 s8, s24, v80
	v_or_b32_e32 v83, 20, v128
	v_or_b32_e32 v84, 22, v128
	v_dual_mul_f32 v89, s19, v118 :: v_dual_mul_f32 v96, s19, v111
	v_mul_f32_e32 v95, s19, v112
	v_cndmask_b32_e64 v75, 0xff7fffff, v75, s7
	v_cndmask_b32_e64 v74, 0xff7fffff, v74, s8
	v_max3_f32 v76, v78, v77, v76
	v_cmp_gt_i32_e64 s9, s24, v81
	v_cmp_gt_i32_e64 s10, s24, v82
	v_or_b32_e32 v85, 24, v128
	v_or_b32_e32 v71, 26, v128
	v_mul_f32_e32 v93, s19, v114
	v_cndmask_b32_e64 v77, 0xff7fffff, v96, s9
	v_cndmask_b32_e64 v78, 0xff7fffff, v95, s10
	v_max3_f32 v74, v76, v75, v74
	v_cmp_gt_i32_e64 s11, s24, v83
	v_cmp_gt_i32_e64 s12, s24, v84
	v_or_b32_e32 v72, 28, v128
	v_or_b32_e32 v73, 30, v128
	v_mul_f32_e32 v91, s19, v116
	v_cndmask_b32_e64 v75, 0xff7fffff, v94, s11
	v_cndmask_b32_e64 v76, 0xff7fffff, v93, s12
	v_max3_f32 v74, v74, v77, v78
	v_cmp_gt_i32_e64 s13, s24, v85
	v_cmp_gt_i32_e64 s15, s24, v71
	;; [unrolled: 1-line block ×4, first 2 shown]
	v_max3_f32 v74, v74, v75, v76
	v_cndmask_b32_e64 v77, 0xff7fffff, v92, s13
	v_cndmask_b32_e64 v71, 0xff7fffff, v91, s15
	;; [unrolled: 1-line block ×4, first 2 shown]
	s_delay_alu instid0(VALU_DEP_3) | instskip(SKIP_1) | instid1(VALU_DEP_2)
	v_max3_f32 v71, v74, v77, v71
	v_lshlrev_b32_e32 v74, 2, v127
	v_max3_f32 v71, v71, v72, v73
	ds_bpermute_b32 v72, v74, v71
	s_waitcnt lgkmcnt(0)
	v_max_f32_e32 v72, v72, v72
	s_delay_alu instid0(VALU_DEP_1) | instskip(NEXT) | instid1(VALU_DEP_1)
	v_max_f32_e32 v71, v71, v72
	v_fma_f32 v75, s19, v137, -v71
	v_fma_f32 v76, s19, v138, -v71
	;; [unrolled: 1-line block ×5, first 2 shown]
	s_delay_alu instid0(VALU_DEP_4) | instskip(NEXT) | instid1(VALU_DEP_4)
	v_dual_mul_f32 v75, 0x3fb8aa3b, v75 :: v_dual_mul_f32 v76, 0x3fb8aa3b, v76
	v_mul_f32_e32 v72, 0x3fb8aa3b, v72
	v_fma_f32 v77, s19, v139, -v71
	s_delay_alu instid0(VALU_DEP_4) | instskip(NEXT) | instid1(VALU_DEP_4)
	v_mul_f32_e32 v73, 0x3fb8aa3b, v73
	v_exp_f32_e32 v75, v75
	v_exp_f32_e32 v76, v76
	;; [unrolled: 1-line block ×3, first 2 shown]
	s_delay_alu instid0(VALU_DEP_1) | instskip(SKIP_2) | instid1(TRANS32_DEP_3)
	v_exp_f32_e32 v73, v73
	v_cndmask_b32_e64 v81, 0, v75, s3
	v_mul_f32_e32 v82, 0x3fb8aa3b, v80
	v_cndmask_b32_e64 v80, 0, v76, s4
	s_waitcnt_depctr 0xfff
	v_cndmask_b32_e64 v78, 0, v73, s2
	v_cmp_gt_u32_e64 s2, 16, v70
	v_exp_f32_e32 v84, v82
	s_waitcnt_depctr 0xfff
	v_cndmask_b32_e64 v85, 0, v84, s7
	v_cndmask_b32_e32 v79, 0, v72, vcc_lo
	v_fma_f32 v72, s19, v140, -v71
	v_mul_f32_e32 v77, 0x3fb8aa3b, v77
	s_delay_alu instid0(VALU_DEP_2) | instskip(NEXT) | instid1(VALU_DEP_2)
	v_dual_add_f32 v73, 0, v79 :: v_dual_mul_f32 v72, 0x3fb8aa3b, v72
	v_exp_f32_e32 v77, v77
	s_delay_alu instid0(VALU_DEP_1) | instskip(NEXT) | instid1(VALU_DEP_2)
	v_add_f32_e32 v73, v73, v78
	v_exp_f32_e32 v72, v72
	s_delay_alu instid0(VALU_DEP_1) | instskip(SKIP_4) | instid1(VALU_DEP_2)
	v_add_f32_e32 v73, v73, v81
	s_waitcnt_depctr 0xfff
	v_cndmask_b32_e64 v83, 0, v77, s5
	v_add_f32_e32 v73, v73, v80
	v_cndmask_b32_e64 v82, 0, v72, s6
	v_add_f32_e32 v72, v73, v83
	s_delay_alu instid0(VALU_DEP_1)
	v_add_f32_e32 v72, v72, v82
	v_fma_f32 v75, s19, v142, -v71
	v_fma_f32 v76, s19, v111, -v71
	;; [unrolled: 1-line block ×5, first 2 shown]
	s_delay_alu instid0(VALU_DEP_4) | instskip(NEXT) | instid1(VALU_DEP_4)
	v_dual_mul_f32 v75, 0x3fb8aa3b, v75 :: v_dual_mul_f32 v76, 0x3fb8aa3b, v76
	v_mul_f32_e32 v86, 0x3fb8aa3b, v86
	v_add_f32_e32 v72, v72, v85
	s_delay_alu instid0(VALU_DEP_3) | instskip(NEXT) | instid1(VALU_DEP_3)
	v_exp_f32_e32 v75, v75
	v_exp_f32_e32 v76, v76
	s_delay_alu instid0(VALU_DEP_2) | instskip(NEXT) | instid1(TRANS32_DEP_3)
	v_exp_f32_e32 v88, v86
	v_cndmask_b32_e64 v84, 0, v75, s8
	v_mul_f32_e32 v77, 0x3fb8aa3b, v77
	s_waitcnt_depctr 0xfff
	v_cndmask_b32_e64 v87, 0, v76, s9
	v_fma_f32 v76, s19, v116, -v71
	v_dual_mul_f32 v73, 0x3fb8aa3b, v73 :: v_dual_add_f32 v72, v72, v84
	v_exp_f32_e32 v77, v77
	v_fma_f32 v75, s19, v115, -v71
	s_delay_alu instid0(VALU_DEP_3) | instskip(NEXT) | instid1(VALU_DEP_3)
	v_mul_f32_e32 v76, 0x3fb8aa3b, v76
	v_exp_f32_e32 v73, v73
	v_add_f32_e32 v72, v72, v87
	v_cndmask_b32_e64 v88, 0, v88, s12
	s_delay_alu instid0(VALU_DEP_3) | instskip(NEXT) | instid1(TRANS32_DEP_3)
	v_exp_f32_e32 v76, v76
	v_cndmask_b32_e64 v86, 0, v77, s10
	v_mul_f32_e32 v75, 0x3fb8aa3b, v75
	v_fma_f32 v77, s19, v117, -v71
	s_delay_alu instid0(TRANS32_DEP_2) | instskip(NEXT) | instid1(VALU_DEP_4)
	v_cndmask_b32_e64 v89, 0, v73, s11
	v_add_f32_e32 v72, v72, v86
	s_delay_alu instid0(VALU_DEP_4) | instskip(NEXT) | instid1(TRANS32_DEP_2)
	v_exp_f32_e32 v75, v75
	v_cndmask_b32_e64 v90, 0, v76, s15
	s_delay_alu instid0(VALU_DEP_2) | instskip(SKIP_2) | instid1(VALU_DEP_3)
	v_add_f32_e32 v72, v72, v89
	v_mul_f32_e32 v73, 0x3fb8aa3b, v77
	v_fma_f32 v77, s19, v118, -v71
	v_add_f32_e32 v72, v72, v88
	s_delay_alu instid0(VALU_DEP_3) | instskip(NEXT) | instid1(TRANS32_DEP_2)
	v_exp_f32_e32 v73, v73
	v_cndmask_b32_e64 v91, 0, v75, s13
	s_delay_alu instid0(VALU_DEP_1) | instskip(NEXT) | instid1(VALU_DEP_1)
	v_dual_mul_f32 v75, 0x3fb8aa3b, v77 :: v_dual_add_f32 v72, v72, v91
	v_exp_f32_e32 v75, v75
	s_waitcnt_depctr 0xfff
	v_cndmask_b32_e64 v93, 0, v73, s16
	v_add_f32_e32 v72, v72, v90
	s_delay_alu instid0(VALU_DEP_1) | instskip(SKIP_1) | instid1(VALU_DEP_1)
	v_add_f32_e32 v72, v72, v93
	v_cndmask_b32_e64 v92, 0, v75, s17
	v_add_f32_e32 v72, v72, v92
	ds_bpermute_b32 v73, v74, v72
	s_and_saveexec_b32 s3, s2
	s_cbranch_execz .LBB1284_12
; %bb.11:
	v_mul_u32_u24_e32 v70, 0x44, v69
	s_waitcnt lgkmcnt(0)
	v_add_f32_e32 v72, v72, v73
	s_delay_alu instid0(VALU_DEP_2) | instskip(NEXT) | instid1(VALU_DEP_1)
	v_lshl_add_u32 v70, v68, 2, v70
	v_add_nc_u32_e32 v70, 0x4000, v70
	ds_store_2addr_b32 v70, v71, v72 offset1:136
.LBB1284_12:
	s_or_b32 exec_lo, exec_lo, s3
	v_lshlrev_b32_e32 v70, 2, v68
	s_load_b32 s35, s[0:1], 0x94
	s_waitcnt lgkmcnt(0)
	s_barrier
	buffer_gl0_inv
	v_add_nc_u32_e32 v98, 0x4000, v70
	v_cmp_eq_u32_e32 vcc_lo, 1, v69
	v_cmp_eq_u32_e64 s3, 2, v69
	v_cmp_eq_u32_e64 s4, 3, v69
	;; [unrolled: 1-line block ×3, first 2 shown]
	ds_load_2addr_b32 v[70:71], v98 offset1:17
	ds_load_2addr_b32 v[72:73], v98 offset0:34 offset1:51
	ds_load_2addr_b32 v[74:75], v98 offset0:68 offset1:85
	;; [unrolled: 1-line block ×3, first 2 shown]
	v_cmp_eq_u32_e64 s6, 5, v69
	v_cmp_eq_u32_e64 s7, 7, v69
	s_waitcnt lgkmcnt(3)
	v_max3_f32 v76, v70, 0xff7fffff, v71
	s_waitcnt lgkmcnt(2)
	s_delay_alu instid0(VALU_DEP_1) | instskip(SKIP_1) | instid1(VALU_DEP_1)
	v_max3_f32 v76, v76, v72, v73
	s_waitcnt lgkmcnt(1)
	v_max3_f32 v76, v76, v74, v75
	s_waitcnt lgkmcnt(0)
	s_delay_alu instid0(VALU_DEP_1) | instskip(NEXT) | instid1(VALU_DEP_1)
	v_max3_f32 v76, v76, v94, v95
	v_sub_f32_e32 v77, v71, v76
	ds_load_2addr_b32 v[96:97], v98 offset0:136 offset1:153
	v_sub_f32_e32 v74, v74, v76
	v_sub_f32_e32 v70, v70, v76
	;; [unrolled: 1-line block ×3, first 2 shown]
	v_dual_sub_f32 v72, v72, v76 :: v_dual_mul_f32 v77, 0x3fb8aa3b, v77
	s_delay_alu instid0(VALU_DEP_4) | instskip(NEXT) | instid1(VALU_DEP_4)
	v_mul_f32_e32 v103, 0x3fb8aa3b, v74
	v_mul_f32_e32 v99, 0x3fb8aa3b, v70
	ds_load_2addr_b32 v[70:71], v98 offset0:170 offset1:187
	v_dual_mul_f32 v101, 0x3fb8aa3b, v72 :: v_dual_mul_f32 v94, 0x3fb8aa3b, v94
	v_exp_f32_e32 v102, v77
	v_exp_f32_e32 v99, v99
	s_delay_alu instid0(VALU_DEP_1) | instskip(NEXT) | instid1(VALU_DEP_1)
	v_exp_f32_e32 v101, v101
	v_exp_f32_e32 v94, v94
	s_waitcnt lgkmcnt(1)
	s_delay_alu instid0(TRANS32_DEP_3)
	v_fma_f32 v77, v99, v96, 0
	v_sub_f32_e32 v100, v73, v76
	ds_load_2addr_b32 v[72:73], v98 offset0:204 offset1:221
	v_fmac_f32_e32 v77, v102, v97
	v_exp_f32_e32 v97, v103
	s_waitcnt lgkmcnt(1)
	s_delay_alu instid0(VALU_DEP_1)
	v_dual_fmac_f32 v77, v101, v70 :: v_dual_sub_f32 v96, v75, v76
	ds_load_2addr_b32 v[74:75], v98 offset0:238 offset1:255
	v_sub_f32_e32 v70, v95, v76
	s_waitcnt lgkmcnt(0)
	s_barrier
	v_mul_f32_e32 v96, 0x3fb8aa3b, v96
	buffer_gl0_inv
	v_exp_f32_e32 v95, v96
	v_mul_f32_e32 v100, 0x3fb8aa3b, v100
	s_delay_alu instid0(VALU_DEP_1) | instskip(SKIP_3) | instid1(VALU_DEP_2)
	v_exp_f32_e32 v100, v100
	s_waitcnt_depctr 0xfff
	v_dual_fmac_f32 v77, v100, v71 :: v_dual_mul_f32 v70, 0x3fb8aa3b, v70
	v_cndmask_b32_e32 v71, v99, v102, vcc_lo
	v_fmac_f32_e32 v77, v97, v72
	s_delay_alu instid0(VALU_DEP_3) | instskip(NEXT) | instid1(VALU_DEP_1)
	v_exp_f32_e32 v96, v70
	v_fmac_f32_e32 v77, v95, v73
	s_delay_alu instid0(VALU_DEP_1) | instskip(SKIP_2) | instid1(VALU_DEP_1)
	v_fmac_f32_e32 v77, v94, v74
	s_waitcnt_depctr 0xfff
	v_fmac_f32_e32 v77, v96, v75
	v_add_f32_e32 v74, 0x358637bd, v77
	s_delay_alu instid0(VALU_DEP_1) | instskip(SKIP_1) | instid1(VALU_DEP_2)
	v_div_scale_f32 v98, null, v74, v74, 1.0
	v_div_scale_f32 v99, vcc_lo, 1.0, v74, 1.0
	v_rcp_f32_e32 v103, v98
	s_waitcnt_depctr 0xfff
	v_fma_f32 v70, -v98, v103, 1.0
	s_delay_alu instid0(VALU_DEP_1) | instskip(SKIP_2) | instid1(VALU_DEP_2)
	v_fmac_f32_e32 v103, v70, v103
	v_cndmask_b32_e64 v70, v71, v101, s3
	v_cmp_eq_u32_e64 s3, 6, v69
	v_cndmask_b32_e64 v71, v70, v100, s4
	s_delay_alu instid0(VALU_DEP_4) | instskip(NEXT) | instid1(VALU_DEP_2)
	v_dual_mul_f32 v101, v99, v103 :: v_dual_lshlrev_b32 v70, 2, v66
	v_cndmask_b32_e64 v71, v71, v97, s5
	s_delay_alu instid0(VALU_DEP_2) | instskip(NEXT) | instid1(VALU_DEP_3)
	v_or_b32_e32 v72, 1, v70
	v_fma_f32 v100, -v98, v101, v99
	v_cmp_eq_u32_e64 s4, 1, v70
	v_cmp_eq_u32_e64 s5, 2, v70
	v_cndmask_b32_e64 v95, v71, v95, s6
	v_or_b32_e32 v71, 3, v70
	v_fmac_f32_e32 v101, v100, v103
	v_cmp_eq_u32_e64 s9, 1, v72
	v_cmp_eq_u32_e64 s12, 2, v72
	v_cndmask_b32_e64 v94, v95, v94, s3
	v_cmp_eq_u32_e64 s11, 1, v71
	v_fma_f32 v97, -v98, v101, v99
	v_cmp_eq_u32_e64 s16, 2, v71
	v_cmp_eq_u32_e64 s13, 3, v72
	v_cndmask_b32_e64 v94, v94, v96, s7
	v_cmp_eq_u32_e64 s18, 3, v71
	v_div_fmas_f32 v95, v97, v103, v101
	v_cmp_eq_u32_e32 vcc_lo, 3, v70
	v_cmp_eq_u32_e64 s3, 4, v70
	v_cmp_eq_u32_e64 s19, 4, v72
	v_cmp_eq_u32_e64 s22, 4, v71
	v_div_fixup_f32 v95, v95, v74, 1.0
	v_lshlrev_b32_e32 v73, 6, v68
	v_cmp_eq_u32_e64 s6, 5, v70
	v_cmp_eq_u32_e64 s20, 5, v72
	;; [unrolled: 1-line block ×3, first 2 shown]
	v_mul_f32_e32 v102, v94, v95
	v_lshl_or_b32 v75, v69, 11, v73
	v_or_b32_e32 v69, 2, v70
	v_cmp_eq_u32_e64 s25, 6, v72
	v_cmp_eq_u32_e64 s27, 6, v71
	v_fma_mixlo_f16 v94, v102, v79, 0
	v_fma_mixlo_f16 v95, v102, v81, 0
	;; [unrolled: 1-line block ×8, first 2 shown]
	v_lshl_or_b32 v74, v66, 4, v75
	v_fma_mixhi_f16 v94, v102, v78, 0
	v_fma_mixhi_f16 v95, v102, v80, 0
	;; [unrolled: 1-line block ×8, first 2 shown]
	ds_store_b128 v74, v[94:97]
	ds_store_b128 v74, v[98:101] offset:1024
	s_waitcnt lgkmcnt(0)
	s_barrier
	buffer_gl0_inv
	ds_load_b128 v[78:81], v75
	ds_load_b128 v[82:85], v75 offset:16
	ds_load_b128 v[86:89], v75 offset:1024
	;; [unrolled: 1-line block ×3, first 2 shown]
	v_cmp_eq_u32_e64 s10, 1, v69
	v_cmp_eq_u32_e64 s15, 2, v69
	;; [unrolled: 1-line block ×11, first 2 shown]
	s_waitcnt lgkmcnt(3)
	v_lshrrev_b32_e32 v94, 16, v78
	s_waitcnt lgkmcnt(2)
	v_lshrrev_b32_e32 v98, 16, v82
	;; [unrolled: 2-line block ×4, first 2 shown]
	v_lshrrev_b32_e32 v95, 16, v79
	v_cndmask_b32_e64 v110, v78, v94, s4
	v_cndmask_b32_e64 v111, v82, v98, s4
	;; [unrolled: 1-line block ×8, first 2 shown]
	v_lshrrev_b32_e32 v99, 16, v83
	v_cndmask_b32_e64 v94, v86, v102, s4
	v_cndmask_b32_e64 v98, v90, v106, s4
	;; [unrolled: 1-line block ×15, first 2 shown]
	v_lshrrev_b32_e32 v103, 16, v87
	v_lshrrev_b32_e32 v107, 16, v91
	v_cndmask_b32_e64 v113, v115, v83, s15
	v_cndmask_b32_e64 v82, v94, v87, s5
	;; [unrolled: 1-line block ×7, first 2 shown]
	v_cndmask_b32_e32 v90, v102, v95, vcc_lo
	v_cndmask_b32_e32 v102, v106, v99, vcc_lo
	v_cndmask_b32_e64 v106, v110, v95, s13
	v_cndmask_b32_e64 v110, v111, v99, s13
	;; [unrolled: 1-line block ×4, first 2 shown]
	v_lshrrev_b32_e32 v96, 16, v80
	v_lshrrev_b32_e32 v100, 16, v84
	v_cndmask_b32_e64 v111, v112, v95, s17
	v_cndmask_b32_e64 v112, v113, v99, s17
	v_cndmask_b32_e32 v82, v82, v103, vcc_lo
	v_cndmask_b32_e32 v83, v83, v107, vcc_lo
	v_cndmask_b32_e64 v94, v94, v103, s13
	v_cndmask_b32_e64 v90, v90, v80, s3
	;; [unrolled: 1-line block ×7, first 2 shown]
	v_lshrrev_b32_e32 v104, 16, v88
	v_cndmask_b32_e64 v106, v111, v80, s21
	v_cndmask_b32_e64 v110, v112, v84, s21
	;; [unrolled: 1-line block ×11, first 2 shown]
	v_lshrrev_b32_e32 v97, 16, v81
	v_lshrrev_b32_e32 v101, 16, v85
	v_cndmask_b32_e64 v99, v106, v96, s23
	v_cndmask_b32_e64 v102, v110, v100, s23
	;; [unrolled: 1-line block ×7, first 2 shown]
	v_lshrrev_b32_e32 v105, 16, v89
	v_cndmask_b32_e64 v80, v80, v104, s6
	v_cndmask_b32_e64 v84, v84, v81, s7
	;; [unrolled: 1-line block ×16, first 2 shown]
	v_perm_b32 v81, v79, v78, 0x5040100
	v_perm_b32 v79, v95, v85, 0x5040100
	v_cndmask_b32_e64 v78, v119, v91, s15
	v_cndmask_b32_e64 v85, v117, v91, s12
	;; [unrolled: 1-line block ×3, first 2 shown]
	v_perm_b32 v80, v94, v90, 0x5040100
	v_cndmask_b32_e64 v90, v98, v103, s17
	v_cndmask_b32_e64 v86, v86, v103, s18
	;; [unrolled: 1-line block ×5, first 2 shown]
	v_lshrrev_b32_e32 v108, 16, v92
	v_cndmask_b32_e64 v90, v90, v88, s21
	v_cndmask_b32_e64 v86, v86, v88, s22
	;; [unrolled: 1-line block ×11, first 2 shown]
	v_lshrrev_b32_e32 v109, 16, v93
	v_cndmask_b32_e64 v82, v82, v93, s7
	v_cndmask_b32_e64 v88, v88, v89, s26
	;; [unrolled: 1-line block ×12, first 2 shown]
	v_perm_b32 v78, v84, v83, 0x5040100
	v_perm_b32 v85, v87, v86, 0x5040100
	;; [unrolled: 1-line block ×5, first 2 shown]
	s_mul_i32 s8, s33, 7
	s_mov_b32 s3, exec_lo
	ds_store_b128 v74, v[78:81]
	ds_store_b128 v74, v[82:85] offset:1024
	v_cmpx_gt_u32_e32 7, v0
	s_cbranch_execz .LBB1284_14
; %bb.13:
	s_mul_i32 s4, s8, s34
	s_delay_alu instid0(SALU_CYCLE_1) | instskip(SKIP_1) | instid1(VALU_DEP_1)
	v_add3_u32 v68, s4, s31, v68
	s_load_b128 s[4:7], s[0:1], 0x58
	v_mad_u64_u32 v[78:79], null, v68, s35, s[14:15]
	s_delay_alu instid0(VALU_DEP_1) | instskip(NEXT) | instid1(VALU_DEP_1)
	v_ashrrev_i32_e32 v79, 31, v78
	v_lshlrev_b64 v[78:79], 2, v[78:79]
	s_waitcnt lgkmcnt(0)
	s_delay_alu instid0(VALU_DEP_1) | instskip(NEXT) | instid1(VALU_DEP_2)
	v_add_co_u32 v80, vcc_lo, s6, v78
	v_add_co_ci_u32_e32 v81, vcc_lo, s7, v79, vcc_lo
	v_add_co_u32 v78, vcc_lo, s4, v78
	v_add_co_ci_u32_e32 v79, vcc_lo, s5, v79, vcc_lo
	global_store_b32 v[80:81], v76, off
	global_store_b32 v[78:79], v77, off
.LBB1284_14:
	s_or_b32 exec_lo, exec_lo, s3
	s_waitcnt lgkmcnt(0)
	s_waitcnt_vscnt null, 0x0
	s_barrier
	buffer_gl0_inv
	ds_load_b128 v[84:87], v73
	ds_load_b128 v[88:91], v73 offset:16
	ds_load_b128 v[96:99], v73 offset:2064
	;; [unrolled: 1-line block ×5, first 2 shown]
	v_cmp_eq_u32_e32 vcc_lo, 1, v70
	v_mov_b32_e32 v76, 0
	ds_load_b128 v[112:115], v73 offset:6160
	ds_load_b128 v[108:111], v73 offset:6144
	;; [unrolled: 1-line block ×4, first 2 shown]
	v_cmp_eq_u32_e64 s4, 1, v69
	v_cmp_eq_u32_e64 s3, 1, v72
	;; [unrolled: 1-line block ×3, first 2 shown]
	v_mov_b32_e32 v77, v76
	v_mov_b32_e32 v78, v76
	;; [unrolled: 1-line block ×7, first 2 shown]
	v_cmp_eq_u32_e64 s6, 3, v72
	v_cmp_eq_u32_e64 s7, 7, v72
	s_waitcnt lgkmcnt(8)
	s_delay_alu instid0(VALU_DEP_3)
	v_wmma_f32_16x16x16_f16 v[76:83], v[49:56], v[84:91], v[76:83]
	ds_load_b128 v[53:56], v73 offset:10256
	ds_load_b128 v[49:52], v73 offset:10240
	s_waitcnt lgkmcnt(8)
	v_wmma_f32_16x16x16_f16 v[76:83], v[41:48], v[92:99], v[76:83]
	ds_load_b128 v[45:48], v73 offset:12304
	ds_load_b128 v[41:44], v73 offset:12288
	s_waitcnt lgkmcnt(8)
	;; [unrolled: 4-line block ×3, first 2 shown]
	s_barrier
	buffer_gl0_inv
	v_wmma_f32_16x16x16_f16 v[76:83], v[1:8], v[108:115], v[76:83]
	s_delay_alu instid0(VALU_DEP_1) | instskip(NEXT) | instid1(VALU_DEP_1)
	v_wmma_f32_16x16x16_f16 v[76:83], v[9:16], v[116:123], v[76:83]
	v_wmma_f32_16x16x16_f16 v[76:83], v[17:24], v[49:56], v[76:83]
	s_delay_alu instid0(VALU_DEP_1) | instskip(NEXT) | instid1(VALU_DEP_1)
	v_wmma_f32_16x16x16_f16 v[76:83], v[25:32], v[41:48], v[76:83]
	v_wmma_f32_16x16x16_f16 v[76:83], v[57:64], v[33:40], v[76:83]
	s_delay_alu instid0(VALU_DEP_1) | instskip(NEXT) | instid1(VALU_DEP_2)
	v_cvt_f16_f32_e32 v1, v76
	v_cvt_f16_f32_e32 v2, v77
	s_delay_alu instid0(VALU_DEP_3) | instskip(NEXT) | instid1(VALU_DEP_4)
	v_cvt_f16_f32_e32 v3, v78
	v_cvt_f16_f32_e32 v4, v79
	;; [unrolled: 1-line block ×6, first 2 shown]
	v_pack_b32_f16 v1, v1, v2
	v_pack_b32_f16 v2, v3, v4
	;; [unrolled: 1-line block ×3, first 2 shown]
	s_delay_alu instid0(VALU_DEP_4)
	v_pack_b32_f16 v4, v7, v8
	ds_store_b128 v74, v[1:4]
	s_waitcnt lgkmcnt(0)
	s_barrier
	buffer_gl0_inv
	ds_load_b128 v[1:4], v75
	ds_load_b128 v[5:8], v75 offset:16
	s_waitcnt lgkmcnt(1)
	v_lshrrev_b32_e32 v9, 16, v1
	s_waitcnt lgkmcnt(0)
	v_lshrrev_b32_e32 v13, 16, v5
	v_lshrrev_b32_e32 v10, 16, v2
	v_lshrrev_b32_e32 v14, 16, v6
	v_lshrrev_b32_e32 v11, 16, v3
	v_cndmask_b32_e32 v17, v1, v9, vcc_lo
	v_cndmask_b32_e32 v18, v5, v13, vcc_lo
	v_cndmask_b32_e64 v21, v1, v9, s4
	v_cmp_eq_u32_e32 vcc_lo, 1, v71
	v_cndmask_b32_e64 v22, v5, v13, s4
	v_cmp_eq_u32_e64 s4, 2, v70
	v_cndmask_b32_e64 v19, v1, v9, s3
	v_cndmask_b32_e64 v20, v5, v13, s3
	v_cndmask_b32_e32 v1, v1, v9, vcc_lo
	v_cmp_eq_u32_e64 s3, 2, v71
	v_cndmask_b32_e32 v5, v5, v13, vcc_lo
	v_cndmask_b32_e64 v9, v17, v2, s4
	v_cmp_eq_u32_e32 vcc_lo, 3, v70
	v_cndmask_b32_e64 v13, v18, v6, s4
	v_cmp_eq_u32_e64 s4, 2, v69
	v_cndmask_b32_e64 v17, v19, v2, s5
	v_cndmask_b32_e64 v18, v20, v6, s5
	v_cmp_eq_u32_e64 s5, 3, v69
	v_cndmask_b32_e64 v1, v1, v2, s3
	v_cndmask_b32_e64 v19, v21, v2, s4
	;; [unrolled: 1-line block ×4, first 2 shown]
	v_cndmask_b32_e32 v5, v9, v10, vcc_lo
	v_cndmask_b32_e32 v6, v13, v14, vcc_lo
	v_cmp_eq_u32_e32 vcc_lo, 3, v71
	v_cndmask_b32_e64 v9, v17, v10, s6
	v_cndmask_b32_e64 v13, v18, v14, s6
	v_cndmask_b32_e64 v18, v20, v14, s5
	v_cmp_eq_u32_e64 s4, 4, v70
	v_cndmask_b32_e32 v1, v1, v10, vcc_lo
	v_cndmask_b32_e32 v2, v2, v14, vcc_lo
	v_cmp_eq_u32_e32 vcc_lo, 4, v72
	v_lshrrev_b32_e32 v15, 16, v7
	v_lshrrev_b32_e32 v16, 16, v8
	v_cndmask_b32_e64 v17, v19, v10, s5
	v_cmp_eq_u32_e64 s3, 4, v71
	v_cndmask_b32_e64 v5, v5, v3, s4
	v_cndmask_b32_e64 v6, v6, v7, s4
	v_cndmask_b32_e32 v9, v9, v3, vcc_lo
	v_cmp_eq_u32_e64 s4, 5, v72
	v_cndmask_b32_e32 v10, v13, v7, vcc_lo
	v_cmp_eq_u32_e32 vcc_lo, 4, v69
	v_cmp_eq_u32_e64 s5, 5, v70
	v_cndmask_b32_e64 v2, v2, v7, s3
	v_cndmask_b32_e64 v9, v9, v11, s4
	v_cndmask_b32_e64 v10, v10, v15, s4
	v_cndmask_b32_e32 v13, v17, v3, vcc_lo
	v_cmp_eq_u32_e64 s4, 5, v69
	v_cndmask_b32_e32 v14, v18, v7, vcc_lo
	v_cndmask_b32_e64 v1, v1, v3, s3
	v_cmp_eq_u32_e32 vcc_lo, 5, v71
	v_lshrrev_b32_e32 v12, 16, v4
	v_cndmask_b32_e64 v13, v13, v11, s4
	v_cndmask_b32_e64 v3, v14, v15, s4
	v_cmp_eq_u32_e64 s4, 6, v71
	v_cndmask_b32_e32 v1, v1, v11, vcc_lo
	v_cndmask_b32_e64 v5, v5, v11, s5
	v_cmp_eq_u32_e64 s6, 6, v70
	v_cndmask_b32_e64 v6, v6, v15, s5
	v_cmp_eq_u32_e64 s5, 6, v72
	v_cmp_eq_u32_e64 s3, 6, v69
	v_cndmask_b32_e64 v1, v1, v4, s4
	v_cndmask_b32_e32 v2, v2, v15, vcc_lo
	v_cmp_eq_u32_e32 vcc_lo, 7, v71
	v_cndmask_b32_e64 v5, v5, v4, s6
	v_cndmask_b32_e64 v9, v9, v4, s5
	;; [unrolled: 1-line block ×3, first 2 shown]
	v_cmp_eq_u32_e64 s6, 7, v70
	v_cndmask_b32_e32 v1, v1, v12, vcc_lo
	v_cndmask_b32_e64 v7, v13, v4, s3
	v_cndmask_b32_e64 v3, v3, v8, s3
	v_cndmask_b32_e64 v2, v2, v8, s4
	v_cmp_eq_u32_e64 s3, 7, v69
	v_cndmask_b32_e64 v4, v10, v8, s5
	v_cndmask_b32_e64 v5, v5, v12, s6
	;; [unrolled: 1-line block ×3, first 2 shown]
	v_cndmask_b32_e32 v2, v2, v16, vcc_lo
	v_cndmask_b32_e64 v7, v7, v12, s3
	v_cndmask_b32_e64 v3, v3, v16, s3
	;; [unrolled: 1-line block ×4, first 2 shown]
	v_perm_b32 v4, v2, v1, 0x5040100
	s_mov_b32 s3, exec_lo
	v_perm_b32 v3, v3, v7, 0x5040100
	v_perm_b32 v2, v8, v9, 0x5040100
	;; [unrolled: 1-line block ×3, first 2 shown]
	ds_store_b128 v74, v[1:4]
	s_waitcnt lgkmcnt(0)
	s_barrier
	buffer_gl0_inv
	v_cmpx_gt_u32_e32 32, v0
	s_cbranch_execz .LBB1284_2
; %bb.15:
	s_load_b64 s[4:5], s[0:1], 0x68
	v_lshlrev_b32_e32 v0, 10, v0
	v_add_nc_u32_e32 v2, s31, v66
	v_lshlrev_b32_e32 v3, 4, v67
	s_lshl_b32 s0, s35, 7
	s_delay_alu instid0(SALU_CYCLE_1) | instskip(NEXT) | instid1(VALU_DEP_2)
	s_mul_i32 s1, s0, s34
	v_mul_lo_u32 v1, v2, s0
	s_delay_alu instid0(VALU_DEP_2)
	v_and_or_b32 v0, 0x3800, v0, v3
	v_add_nc_u32_e32 v3, 2, v2
	s_mul_i32 s6, s1, s8
	v_add_nc_u32_e32 v4, 4, v2
	s_ashr_i32 s7, s6, 31
	v_lshl_or_b32 v11, v66, 6, v0
	s_lshl_b64 s[6:7], s[6:7], 1
	v_mul_lo_u32 v15, v3, s0
	v_mul_lo_u32 v17, v4, s0
	v_ashrrev_i32_e32 v2, 31, v1
	ds_load_b128 v[3:6], v11
	ds_load_b128 v[7:10], v11 offset:128
	ds_load_b128 v[11:14], v11 offset:256
	s_waitcnt lgkmcnt(0)
	s_add_u32 s1, s4, s6
	s_addc_u32 s3, s5, s7
	s_lshl_b32 s4, s14, 7
	v_ashrrev_i32_e32 v16, 31, v15
	s_ashr_i32 s5, s4, 31
	v_lshlrev_b64 v[19:20], 1, v[1:2]
	s_lshl_b64 s[4:5], s[4:5], 1
	v_ashrrev_i32_e32 v18, 31, v17
	s_add_u32 s1, s1, s4
	s_addc_u32 s3, s3, s5
	v_add_co_u32 v1, s1, s1, v65
	s_delay_alu instid0(VALU_DEP_1) | instskip(SKIP_1) | instid1(VALU_DEP_3)
	v_add_co_ci_u32_e64 v2, null, s3, 0, s1
	v_lshlrev_b64 v[15:16], 1, v[15:16]
	v_add_co_u32 v19, vcc_lo, v1, v19
	v_lshlrev_b64 v[17:18], 1, v[17:18]
	s_delay_alu instid0(VALU_DEP_4) | instskip(NEXT) | instid1(VALU_DEP_4)
	v_add_co_ci_u32_e32 v20, vcc_lo, v2, v20, vcc_lo
	v_add_co_u32 v15, vcc_lo, v1, v15
	v_add_co_ci_u32_e32 v16, vcc_lo, v2, v16, vcc_lo
	s_delay_alu instid0(VALU_DEP_4)
	v_add_co_u32 v17, vcc_lo, v1, v17
	v_add_co_ci_u32_e32 v18, vcc_lo, v2, v18, vcc_lo
	s_clause 0x2
	global_store_b128 v[19:20], v[3:6], off
	global_store_b128 v[15:16], v[7:10], off
	global_store_b128 v[17:18], v[11:14], off
	s_and_b32 exec_lo, exec_lo, s2
	s_cbranch_execz .LBB1284_2
; %bb.16:
	ds_load_b128 v[3:6], v0 offset:384
	s_add_i32 s1, s31, 6
	s_delay_alu instid0(SALU_CYCLE_1) | instskip(NEXT) | instid1(SALU_CYCLE_1)
	s_mul_i32 s0, s1, s0
	s_ashr_i32 s1, s0, 31
	s_delay_alu instid0(SALU_CYCLE_1) | instskip(NEXT) | instid1(SALU_CYCLE_1)
	s_lshl_b64 s[0:1], s[0:1], 1
	v_add_co_u32 v0, vcc_lo, v1, s0
	v_add_co_ci_u32_e32 v1, vcc_lo, s1, v2, vcc_lo
	s_waitcnt lgkmcnt(0)
	global_store_b128 v[0:1], v[3:6], off
	s_nop 0
	s_sendmsg sendmsg(MSG_DEALLOC_VGPRS)
	s_endpgm
	.section	.rodata,"a",@progbits
	.p2align	6, 0x0
	.amdhsa_kernel _Z39paged_attention_ll4mi_QKV_mfma16_kernelIDF16_hLN4vllm18Fp8KVCacheDataTypeE1EhLi32ELi128ELi256ELb1ELi7EL8MFMAType0EEvPKT_PKT0_S8_ifPKiSA_SA_iPKfiiiPfSD_PS3_PT2_iSC_SC_
		.amdhsa_group_segment_fixed_size 17472
		.amdhsa_private_segment_fixed_size 0
		.amdhsa_kernarg_size 400
		.amdhsa_user_sgpr_count 13
		.amdhsa_user_sgpr_dispatch_ptr 0
		.amdhsa_user_sgpr_queue_ptr 0
		.amdhsa_user_sgpr_kernarg_segment_ptr 1
		.amdhsa_user_sgpr_dispatch_id 0
		.amdhsa_user_sgpr_private_segment_size 0
		.amdhsa_wavefront_size32 1
		.amdhsa_uses_dynamic_stack 0
		.amdhsa_enable_private_segment 0
		.amdhsa_system_sgpr_workgroup_id_x 1
		.amdhsa_system_sgpr_workgroup_id_y 1
		.amdhsa_system_sgpr_workgroup_id_z 1
		.amdhsa_system_sgpr_workgroup_info 0
		.amdhsa_system_vgpr_workitem_id 0
		.amdhsa_next_free_vgpr 150
		.amdhsa_next_free_sgpr 37
		.amdhsa_reserve_vcc 1
		.amdhsa_float_round_mode_32 0
		.amdhsa_float_round_mode_16_64 0
		.amdhsa_float_denorm_mode_32 3
		.amdhsa_float_denorm_mode_16_64 3
		.amdhsa_dx10_clamp 1
		.amdhsa_ieee_mode 1
		.amdhsa_fp16_overflow 0
		.amdhsa_workgroup_processor_mode 1
		.amdhsa_memory_ordered 1
		.amdhsa_forward_progress 0
		.amdhsa_shared_vgpr_count 0
		.amdhsa_exception_fp_ieee_invalid_op 0
		.amdhsa_exception_fp_denorm_src 0
		.amdhsa_exception_fp_ieee_div_zero 0
		.amdhsa_exception_fp_ieee_overflow 0
		.amdhsa_exception_fp_ieee_underflow 0
		.amdhsa_exception_fp_ieee_inexact 0
		.amdhsa_exception_int_div_zero 0
	.end_amdhsa_kernel
	.section	.text._Z39paged_attention_ll4mi_QKV_mfma16_kernelIDF16_hLN4vllm18Fp8KVCacheDataTypeE1EhLi32ELi128ELi256ELb1ELi7EL8MFMAType0EEvPKT_PKT0_S8_ifPKiSA_SA_iPKfiiiPfSD_PS3_PT2_iSC_SC_,"axG",@progbits,_Z39paged_attention_ll4mi_QKV_mfma16_kernelIDF16_hLN4vllm18Fp8KVCacheDataTypeE1EhLi32ELi128ELi256ELb1ELi7EL8MFMAType0EEvPKT_PKT0_S8_ifPKiSA_SA_iPKfiiiPfSD_PS3_PT2_iSC_SC_,comdat
.Lfunc_end1284:
	.size	_Z39paged_attention_ll4mi_QKV_mfma16_kernelIDF16_hLN4vllm18Fp8KVCacheDataTypeE1EhLi32ELi128ELi256ELb1ELi7EL8MFMAType0EEvPKT_PKT0_S8_ifPKiSA_SA_iPKfiiiPfSD_PS3_PT2_iSC_SC_, .Lfunc_end1284-_Z39paged_attention_ll4mi_QKV_mfma16_kernelIDF16_hLN4vllm18Fp8KVCacheDataTypeE1EhLi32ELi128ELi256ELb1ELi7EL8MFMAType0EEvPKT_PKT0_S8_ifPKiSA_SA_iPKfiiiPfSD_PS3_PT2_iSC_SC_
                                        ; -- End function
	.section	.AMDGPU.csdata,"",@progbits
; Kernel info:
; codeLenInByte = 6708
; NumSgprs: 39
; NumVgprs: 150
; ScratchSize: 0
; MemoryBound: 0
; FloatMode: 240
; IeeeMode: 1
; LDSByteSize: 17472 bytes/workgroup (compile time only)
; SGPRBlocks: 4
; VGPRBlocks: 18
; NumSGPRsForWavesPerEU: 39
; NumVGPRsForWavesPerEU: 150
; Occupancy: 9
; WaveLimiterHint : 1
; COMPUTE_PGM_RSRC2:SCRATCH_EN: 0
; COMPUTE_PGM_RSRC2:USER_SGPR: 13
; COMPUTE_PGM_RSRC2:TRAP_HANDLER: 0
; COMPUTE_PGM_RSRC2:TGID_X_EN: 1
; COMPUTE_PGM_RSRC2:TGID_Y_EN: 1
; COMPUTE_PGM_RSRC2:TGID_Z_EN: 1
; COMPUTE_PGM_RSRC2:TIDIG_COMP_CNT: 0
	.section	.text._Z39paged_attention_ll4mi_QKV_mfma16_kernelIDF16_hLN4vllm18Fp8KVCacheDataTypeE1EhLi32ELi128ELi256ELb1ELi8EL8MFMAType0EEvPKT_PKT0_S8_ifPKiSA_SA_iPKfiiiPfSD_PS3_PT2_iSC_SC_,"axG",@progbits,_Z39paged_attention_ll4mi_QKV_mfma16_kernelIDF16_hLN4vllm18Fp8KVCacheDataTypeE1EhLi32ELi128ELi256ELb1ELi8EL8MFMAType0EEvPKT_PKT0_S8_ifPKiSA_SA_iPKfiiiPfSD_PS3_PT2_iSC_SC_,comdat
	.protected	_Z39paged_attention_ll4mi_QKV_mfma16_kernelIDF16_hLN4vllm18Fp8KVCacheDataTypeE1EhLi32ELi128ELi256ELb1ELi8EL8MFMAType0EEvPKT_PKT0_S8_ifPKiSA_SA_iPKfiiiPfSD_PS3_PT2_iSC_SC_ ; -- Begin function _Z39paged_attention_ll4mi_QKV_mfma16_kernelIDF16_hLN4vllm18Fp8KVCacheDataTypeE1EhLi32ELi128ELi256ELb1ELi8EL8MFMAType0EEvPKT_PKT0_S8_ifPKiSA_SA_iPKfiiiPfSD_PS3_PT2_iSC_SC_
	.globl	_Z39paged_attention_ll4mi_QKV_mfma16_kernelIDF16_hLN4vllm18Fp8KVCacheDataTypeE1EhLi32ELi128ELi256ELb1ELi8EL8MFMAType0EEvPKT_PKT0_S8_ifPKiSA_SA_iPKfiiiPfSD_PS3_PT2_iSC_SC_
	.p2align	8
	.type	_Z39paged_attention_ll4mi_QKV_mfma16_kernelIDF16_hLN4vllm18Fp8KVCacheDataTypeE1EhLi32ELi128ELi256ELb1ELi8EL8MFMAType0EEvPKT_PKT0_S8_ifPKiSA_SA_iPKfiiiPfSD_PS3_PT2_iSC_SC_,@function
_Z39paged_attention_ll4mi_QKV_mfma16_kernelIDF16_hLN4vllm18Fp8KVCacheDataTypeE1EhLi32ELi128ELi256ELb1ELi8EL8MFMAType0EEvPKT_PKT0_S8_ifPKiSA_SA_iPKfiiiPfSD_PS3_PT2_iSC_SC_: ; @_Z39paged_attention_ll4mi_QKV_mfma16_kernelIDF16_hLN4vllm18Fp8KVCacheDataTypeE1EhLi32ELi128ELi256ELb1ELi8EL8MFMAType0EEvPKT_PKT0_S8_ifPKiSA_SA_iPKfiiiPfSD_PS3_PT2_iSC_SC_
; %bb.0:
	s_load_b64 s[4:5], s[0:1], 0x30
	s_mov_b32 s30, s13
	s_waitcnt lgkmcnt(0)
	s_cmp_lg_u64 s[4:5], 0
	s_cselect_b32 s13, -1, 0
	s_ashr_i32 s31, s30, 31
	s_cmp_eq_u64 s[4:5], 0
	s_cbranch_scc1 .LBB1285_3
; %bb.1:
	s_lshl_b64 s[2:3], s[30:31], 2
	s_delay_alu instid0(SALU_CYCLE_1) | instskip(SKIP_4) | instid1(SALU_CYCLE_1)
	s_add_u32 s2, s4, s2
	s_addc_u32 s3, s5, s3
	s_load_b64 s[2:3], s[2:3], 0x0
	s_waitcnt lgkmcnt(0)
	s_sub_i32 s2, s3, s2
	s_cmp_eq_u32 s2, 1
	s_cselect_b32 s2, -1, 0
	s_delay_alu instid0(SALU_CYCLE_1)
	s_and_not1_b32 vcc_lo, exec_lo, s2
	s_cbranch_vccz .LBB1285_4
.LBB1285_2:
	s_endpgm
.LBB1285_3:
.LBB1285_4:
	s_load_b64 s[2:3], s[0:1], 0x28
	s_lshl_b64 s[6:7], s[30:31], 2
	s_waitcnt lgkmcnt(0)
	s_add_u32 s2, s2, s6
	s_addc_u32 s3, s3, s7
	s_lshl_b32 s12, s14, 8
	s_load_b32 s17, s[2:3], 0x0
	s_waitcnt lgkmcnt(0)
	s_cmp_ge_i32 s12, s17
	s_cbranch_scc1 .LBB1285_2
; %bb.5:
	s_clause 0x1
	s_load_b128 s[8:11], s[0:1], 0x8
	s_load_b64 s[2:3], s[0:1], 0x20
	s_and_not1_b32 vcc_lo, exec_lo, s13
	s_cbranch_vccnz .LBB1285_7
; %bb.6:
	s_add_u32 s4, s4, s6
	s_addc_u32 s5, s5, s7
	s_load_b32 s13, s[4:5], 0x0
	s_branch .LBB1285_8
.LBB1285_7:
	s_mov_b32 s13, s30
.LBB1285_8:
	s_load_b128 s[4:7], s[0:1], 0x48
	v_and_b32_e32 v69, 15, v0
	v_lshrrev_b32_e32 v68, 5, v0
	v_and_b32_e32 v70, 31, v0
	v_and_b32_e32 v67, 1, v0
	v_bfe_u32 v66, v0, 4, 1
	v_lshlrev_b32_e32 v1, 3, v69
	s_lshl_b32 s31, s15, 3
	s_waitcnt lgkmcnt(0)
	s_mov_b32 s7, exec_lo
	s_delay_alu instid0(VALU_DEP_1)
	v_lshlrev_b32_e32 v65, 1, v1
	v_cmpx_gt_u32_e32 0x80, v0
	s_cbranch_execz .LBB1285_10
; %bb.9:
	v_lshl_or_b32 v5, v68, 1, v66
	s_load_b64 s[18:19], s[0:1], 0x0
	s_mul_hi_i32 s21, s13, s4
	s_mul_i32 s20, s13, s4
	v_lshlrev_b32_e32 v6, 10, v69
	v_or_b32_e32 v1, s31, v5
	s_lshl_b64 s[20:21], s[20:21], 1
	v_lshlrev_b32_e32 v5, 6, v5
	v_lshlrev_b32_e32 v7, 10, v67
	v_and_b32_e32 v6, 0x3800, v6
	v_lshlrev_b32_e32 v1, 7, v1
	s_delay_alu instid0(VALU_DEP_2) | instskip(NEXT) | instid1(VALU_DEP_2)
	v_or3_b32 v5, v6, v7, v5
	v_ashrrev_i32_e32 v2, 31, v1
	s_delay_alu instid0(VALU_DEP_1) | instskip(SKIP_3) | instid1(VALU_DEP_1)
	v_lshlrev_b64 v[1:2], 1, v[1:2]
	s_waitcnt lgkmcnt(0)
	s_add_u32 s4, s18, s20
	s_addc_u32 s13, s19, s21
	v_add_co_u32 v1, vcc_lo, s4, v1
	s_delay_alu instid0(VALU_DEP_2) | instskip(NEXT) | instid1(VALU_DEP_2)
	v_add_co_ci_u32_e32 v2, vcc_lo, s13, v2, vcc_lo
	v_add_co_u32 v1, vcc_lo, v1, v65
	s_delay_alu instid0(VALU_DEP_2)
	v_add_co_ci_u32_e32 v2, vcc_lo, 0, v2, vcc_lo
	global_load_b128 v[1:4], v[1:2], off
	s_waitcnt vmcnt(0)
	ds_store_b128 v5, v[1:4]
.LBB1285_10:
	s_or_b32 exec_lo, exec_lo, s7
	v_and_b32_e32 v1, 0xef, v0
	s_add_i32 s4, s17, 31
	s_clause 0x1
	s_load_b32 s7, s[0:1], 0x38
	s_load_b32 s33, s[0:1], 0x98
	s_ashr_i32 s13, s4, 31
	v_add_nc_u32_e32 v1, s12, v1
	s_lshr_b32 s13, s13, 27
	s_load_b32 s18, s[0:1], 0x1c
	s_add_i32 s4, s4, s13
	s_waitcnt lgkmcnt(0)
	v_ashrrev_i32_e32 v2, 31, v1
	v_or_b32_e32 v3, 16, v1
	s_ashr_i32 s4, s4, 5
	v_cmp_gt_i32_e32 vcc_lo, s17, v1
	s_add_i32 s4, s4, -1
	v_lshrrev_b32_e32 v2, 27, v2
	s_barrier
	buffer_gl0_inv
	s_mul_i32 s15, s15, s6
	v_add_nc_u32_e32 v4, v1, v2
	s_mul_i32 s20, s30, s7
	s_delay_alu instid0(SALU_CYCLE_1) | instskip(NEXT) | instid1(VALU_DEP_1)
	s_ashr_i32 s21, s20, 31
	v_ashrrev_i32_e32 v4, 5, v4
	v_add_nc_u32_e32 v2, v3, v2
	s_lshl_b64 s[20:21], s[20:21], 2
	s_delay_alu instid0(SALU_CYCLE_1) | instskip(NEXT) | instid1(VALU_DEP_2)
	s_add_u32 s13, s2, s20
	v_cndmask_b32_e32 v1, s4, v4, vcc_lo
	s_delay_alu instid0(VALU_DEP_2)
	v_ashrrev_i32_e32 v2, 5, v2
	v_cmp_gt_i32_e32 vcc_lo, s17, v3
	s_addc_u32 s16, s3, s21
	s_ashr_i32 s19, s15, 31
	s_add_u32 s2, s8, s15
	s_addc_u32 s3, s9, s19
	v_cndmask_b32_e32 v3, s4, v2, vcc_lo
	v_ashrrev_i32_e32 v2, 31, v1
	s_lshl_b32 s6, s14, 3
	s_delay_alu instid0(SALU_CYCLE_1) | instskip(NEXT) | instid1(VALU_DEP_2)
	s_ashr_i32 s7, s6, 31
	v_ashrrev_i32_e32 v4, 31, v3
	s_delay_alu instid0(VALU_DEP_2) | instskip(SKIP_1) | instid1(SALU_CYCLE_1)
	v_lshlrev_b64 v[1:2], 2, v[1:2]
	s_lshl_b64 s[6:7], s[6:7], 2
	s_add_u32 s6, s13, s6
	s_delay_alu instid0(VALU_DEP_2) | instskip(SKIP_1) | instid1(VALU_DEP_2)
	v_lshlrev_b64 v[3:4], 2, v[3:4]
	s_addc_u32 s7, s16, s7
	v_add_co_u32 v1, vcc_lo, s13, v1
	v_add_co_ci_u32_e32 v2, vcc_lo, s16, v2, vcc_lo
	s_delay_alu instid0(VALU_DEP_3) | instskip(NEXT) | instid1(VALU_DEP_4)
	v_add_co_u32 v3, vcc_lo, s13, v3
	v_add_co_ci_u32_e32 v4, vcc_lo, s16, v4, vcc_lo
	s_clause 0x1
	global_load_b32 v5, v[1:2], off
	global_load_b32 v6, v[3:4], off
	s_or_b32 s8, s12, 32
	s_delay_alu instid0(SALU_CYCLE_1) | instskip(SKIP_2) | instid1(SALU_CYCLE_1)
	s_ashr_i32 s9, s8, 5
	s_cmp_lt_i32 s8, s17
	s_cselect_b32 s8, s9, s4
	s_ashr_i32 s9, s8, 31
	s_delay_alu instid0(SALU_CYCLE_1) | instskip(NEXT) | instid1(SALU_CYCLE_1)
	s_lshl_b64 s[8:9], s[8:9], 2
	s_add_u32 s8, s13, s8
	s_addc_u32 s9, s16, s9
	s_or_b32 s20, s12, 64
	s_delay_alu instid0(SALU_CYCLE_1) | instskip(SKIP_2) | instid1(SALU_CYCLE_1)
	s_ashr_i32 s21, s20, 5
	s_cmp_lt_i32 s20, s17
	s_cselect_b32 s20, s21, s4
	s_ashr_i32 s21, s20, 31
	s_delay_alu instid0(SALU_CYCLE_1) | instskip(NEXT) | instid1(SALU_CYCLE_1)
	s_lshl_b64 s[20:21], s[20:21], 2
	s_add_u32 s20, s13, s20
	s_addc_u32 s21, s16, s21
	;; [unrolled: 10-line block ×5, first 2 shown]
	s_clause 0x5
	s_load_b32 s28, s[6:7], 0x0
	s_load_b32 s8, s[8:9], 0x0
	;; [unrolled: 1-line block ×6, first 2 shown]
	s_mov_b32 s20, 0
	s_delay_alu instid0(SALU_CYCLE_1)
	s_mov_b32 s21, s20
	s_mov_b32 s22, s20
	;; [unrolled: 1-line block ×7, first 2 shown]
	s_delay_alu instid0(SALU_CYCLE_1)
	v_dual_mov_b32 v102, s27 :: v_dual_mov_b32 v101, s26
	v_dual_mov_b32 v100, s25 :: v_dual_mov_b32 v99, s24
	v_mov_b32_e32 v97, s22
	v_dual_mov_b32 v95, s20 :: v_dual_mov_b32 v98, s23
	v_mov_b32_e32 v96, s21
	s_waitcnt vmcnt(1)
	v_mad_i64_i32 v[1:2], null, v5, s5, s[2:3]
	v_lshlrev_b32_e32 v5, 4, v69
	s_waitcnt vmcnt(0)
	v_mad_i64_i32 v[3:4], null, v6, s5, s[2:3]
	s_or_b32 s2, s12, 0xc0
	s_delay_alu instid0(SALU_CYCLE_1) | instskip(NEXT) | instid1(VALU_DEP_3)
	s_ashr_i32 s3, s2, 5
	v_add_co_u32 v33, vcc_lo, v1, v5
	s_delay_alu instid0(VALU_DEP_4) | instskip(NEXT) | instid1(VALU_DEP_3)
	v_add_co_ci_u32_e32 v34, vcc_lo, 0, v2, vcc_lo
	v_add_co_u32 v35, vcc_lo, v3, v5
	s_delay_alu instid0(VALU_DEP_4)
	v_add_co_ci_u32_e32 v36, vcc_lo, 0, v4, vcc_lo
	s_clause 0xf
	global_load_b128 v[1:4], v[33:34], off
	global_load_b128 v[5:8], v[33:34], off offset:512
	global_load_b128 v[9:12], v[35:36], off offset:256
	;; [unrolled: 1-line block ×15, first 2 shown]
	s_cmp_lt_i32 s2, s17
	v_and_b32_e32 v33, 7, v0
	s_cselect_b32 s2, s3, s4
	v_lshlrev_b32_e32 v34, 5, v69
	s_ashr_i32 s3, s2, 31
	s_delay_alu instid0(SALU_CYCLE_1)
	s_lshl_b64 s[2:3], s[2:3], 2
	v_lshlrev_b32_e32 v139, 6, v33
	s_add_u32 s2, s13, s2
	s_addc_u32 s3, s16, s3
	s_or_b32 s6, s12, 0xe0
	v_lshl_or_b32 v41, v68, 9, v34
	s_ashr_i32 s7, s6, 5
	s_cmp_lt_i32 s6, s17
	ds_load_b128 v[33:36], v139
	ds_load_b128 v[37:40], v139 offset:1024
	s_cselect_b32 s6, s7, s4
	ds_load_b128 v[103:106], v139 offset:2048
	ds_load_b128 v[107:110], v139 offset:3072
	s_ashr_i32 s7, s6, 31
	s_load_b32 s4, s[2:3], 0x0
	s_lshl_b64 s[6:7], s[6:7], 2
	ds_load_b128 v[111:114], v139 offset:4096
	ds_load_b128 v[115:118], v139 offset:5120
	s_add_u32 s2, s13, s6
	s_addc_u32 s3, s16, s7
	s_add_u32 s6, s10, s15
	s_load_b32 s2, s[2:3], 0x0
	s_addc_u32 s7, s11, s19
	v_add_co_u32 v127, s6, s6, v41
	s_delay_alu instid0(VALU_DEP_1) | instskip(SKIP_1) | instid1(VALU_DEP_1)
	v_add_co_ci_u32_e64 v128, null, s7, 0, s6
	s_waitcnt lgkmcnt(0)
	v_mad_i64_i32 v[41:42], null, s28, s5, v[127:128]
	v_mad_i64_i32 v[129:130], null, s9, s5, v[127:128]
	;; [unrolled: 1-line block ×7, first 2 shown]
	s_clause 0x3
	global_load_b128 v[49:52], v[41:42], off
	global_load_b128 v[53:56], v[41:42], off offset:16
	global_load_b128 v[41:44], v[45:46], off
	global_load_b128 v[45:48], v[45:46], off offset:16
	s_waitcnt vmcnt(18)
	v_wmma_f32_16x16x16_f16 v[119:126], v[1:8], v[33:40], v[95:102]
	s_waitcnt vmcnt(16)
	v_wmma_f32_16x16x16_f16 v[95:102], v[9:16], v[33:40], v[95:102]
	s_clause 0x3
	global_load_b128 v[33:36], v[129:130], off
	global_load_b128 v[37:40], v[129:130], off offset:16
	global_load_b128 v[1:4], v[131:132], off
	global_load_b128 v[5:8], v[131:132], off offset:16
	s_waitcnt vmcnt(18)
	v_wmma_f32_16x16x16_f16 v[119:126], v[17:24], v[103:110], v[119:126]
	s_clause 0x3
	global_load_b128 v[9:12], v[133:134], off
	global_load_b128 v[13:16], v[133:134], off offset:16
	global_load_b128 v[17:20], v[135:136], off
	global_load_b128 v[21:24], v[135:136], off offset:16
	s_waitcnt vmcnt(20)
	v_wmma_f32_16x16x16_f16 v[95:102], v[25:32], v[103:110], v[95:102]
	v_mad_i64_i32 v[103:104], null, s2, s5, v[127:128]
	s_waitcnt vmcnt(18)
	v_wmma_f32_16x16x16_f16 v[119:126], v[57:64], v[111:118], v[119:126]
	s_clause 0x3
	global_load_b128 v[25:28], v[137:138], off
	global_load_b128 v[29:32], v[137:138], off offset:16
	global_load_b128 v[57:60], v[103:104], off
	global_load_b128 v[61:64], v[103:104], off offset:16
	s_waitcnt vmcnt(20)
	v_wmma_f32_16x16x16_f16 v[95:102], v[71:78], v[111:118], v[95:102]
	ds_load_b128 v[71:74], v139 offset:6144
	ds_load_b128 v[75:78], v139 offset:7168
	v_mbcnt_lo_u32_b32 v104, -1, 0
	s_waitcnt vmcnt(0) lgkmcnt(0)
	s_barrier
	buffer_gl0_inv
	v_xor_b32_e32 v105, 16, v104
	s_delay_alu instid0(VALU_DEP_1) | instskip(SKIP_4) | instid1(VALU_DEP_2)
	v_cmp_gt_i32_e32 vcc_lo, 32, v105
	v_cndmask_b32_e32 v104, v104, v105, vcc_lo
	v_wmma_f32_16x16x16_f16 v[119:126], v[79:86], v[71:78], v[119:126]
	v_and_b32_e32 v103, 0xe0, v0
	v_wmma_f32_16x16x16_f16 v[95:102], v[87:94], v[71:78], v[95:102]
	v_dual_mul_f32 v78, s18, v121 :: v_dual_add_nc_u32 v103, s12, v103
	s_delay_alu instid0(VALU_DEP_2) | instskip(SKIP_1) | instid1(VALU_DEP_3)
	v_dual_mul_f32 v90, s18, v101 :: v_dual_mul_f32 v87, s18, v120
	v_dual_mul_f32 v88, s18, v119 :: v_dual_mul_f32 v77, s18, v122
	v_or_b32_e32 v103, v103, v66
	v_dual_mul_f32 v75, s18, v124 :: v_dual_mul_f32 v94, s18, v97
	v_dual_mul_f32 v76, s18, v123 :: v_dual_mul_f32 v73, s18, v126
	v_mul_f32_e32 v92, s18, v99
	s_delay_alu instid0(VALU_DEP_4)
	v_or_b32_e32 v105, 2, v103
	v_or_b32_e32 v106, 4, v103
	;; [unrolled: 1-line block ×3, first 2 shown]
	v_cmp_gt_i32_e64 s2, s17, v103
	v_or_b32_e32 v108, 8, v103
	v_cmp_gt_i32_e32 vcc_lo, s17, v105
	v_or_b32_e32 v109, 10, v103
	v_cmp_gt_i32_e64 s3, s17, v106
	v_cndmask_b32_e64 v88, 0xff7fffff, v88, s2
	v_cmp_gt_i32_e64 s4, s17, v107
	v_cndmask_b32_e32 v87, 0xff7fffff, v87, vcc_lo
	v_or_b32_e32 v79, 12, v103
	v_or_b32_e32 v80, 14, v103
	v_cndmask_b32_e64 v78, 0xff7fffff, v78, s3
	v_cndmask_b32_e64 v77, 0xff7fffff, v77, s4
	v_max3_f32 v87, v88, 0xff7fffff, v87
	v_cmp_gt_i32_e64 s5, s17, v108
	v_cmp_gt_i32_e64 s6, s17, v109
	v_or_b32_e32 v81, 16, v103
	v_or_b32_e32 v82, 18, v103
	v_mul_f32_e32 v74, s18, v125
	v_cndmask_b32_e64 v76, 0xff7fffff, v76, s5
	v_cndmask_b32_e64 v75, 0xff7fffff, v75, s6
	v_max3_f32 v77, v87, v78, v77
	v_cmp_gt_i32_e64 s7, s17, v79
	v_cmp_gt_i32_e64 s8, s17, v80
	v_or_b32_e32 v83, 20, v103
	v_or_b32_e32 v84, 22, v103
	v_or_b32_e32 v85, 24, v103
	v_or_b32_e32 v86, 26, v103
	v_or_b32_e32 v71, 28, v103
	v_or_b32_e32 v72, 30, v103
	v_mul_f32_e32 v105, s18, v96
	v_mul_f32_e32 v103, s18, v95
	v_cndmask_b32_e64 v74, 0xff7fffff, v74, s7
	v_cndmask_b32_e64 v73, 0xff7fffff, v73, s8
	v_max3_f32 v75, v77, v76, v75
	v_cmp_gt_i32_e64 s9, s17, v81
	v_cmp_gt_i32_e64 s10, s17, v82
	v_mul_f32_e32 v93, s18, v98
	v_cmp_gt_i32_e64 s11, s17, v83
	v_max3_f32 v73, v75, v74, v73
	v_cndmask_b32_e64 v76, 0xff7fffff, v103, s9
	v_cndmask_b32_e64 v77, 0xff7fffff, v105, s10
	v_cmp_gt_i32_e64 s12, s17, v84
	v_mul_f32_e32 v91, s18, v100
	v_cndmask_b32_e64 v74, 0xff7fffff, v94, s11
	v_cmp_gt_i32_e64 s13, s17, v85
	v_max3_f32 v73, v73, v76, v77
	v_cndmask_b32_e64 v75, 0xff7fffff, v93, s12
	v_cmp_gt_i32_e64 s15, s17, v86
	v_mul_f32_e32 v89, s18, v102
	v_cndmask_b32_e64 v76, 0xff7fffff, v92, s13
	v_cmp_gt_i32_e64 s16, s17, v71
	v_max3_f32 v73, v73, v74, v75
	v_cndmask_b32_e64 v77, 0xff7fffff, v91, s15
	v_cmp_gt_i32_e64 s17, s17, v72
	v_lshlrev_b32_e32 v74, 2, v104
	v_cndmask_b32_e64 v71, 0xff7fffff, v90, s16
	s_delay_alu instid0(VALU_DEP_4) | instskip(NEXT) | instid1(VALU_DEP_4)
	v_max3_f32 v73, v73, v76, v77
	v_cndmask_b32_e64 v72, 0xff7fffff, v89, s17
	s_delay_alu instid0(VALU_DEP_1) | instskip(SKIP_3) | instid1(VALU_DEP_1)
	v_max3_f32 v71, v73, v71, v72
	ds_bpermute_b32 v72, v74, v71
	s_waitcnt lgkmcnt(0)
	v_max_f32_e32 v72, v72, v72
	v_max_f32_e32 v71, v71, v72
	s_delay_alu instid0(VALU_DEP_1)
	v_fma_f32 v72, s18, v119, -v71
	v_fma_f32 v76, s18, v122, -v71
	;; [unrolled: 1-line block ×5, first 2 shown]
	v_mul_f32_e32 v72, 0x3fb8aa3b, v72
	v_mul_f32_e32 v76, 0x3fb8aa3b, v76
	v_fma_f32 v75, s18, v121, -v71
	v_mul_f32_e32 v79, 0x3fb8aa3b, v77
	v_mul_f32_e32 v85, 0x3fb8aa3b, v84
	v_exp_f32_e32 v72, v72
	v_exp_f32_e32 v76, v76
	v_fma_f32 v86, s18, v98, -v71
	v_exp_f32_e32 v82, v79
	v_exp_f32_e32 v85, v85
	v_fma_f32 v81, s18, v125, -v71
	s_delay_alu instid0(VALU_DEP_2) | instskip(SKIP_3) | instid1(TRANS32_DEP_3)
	v_mul_f32_e32 v87, 0x3fb8aa3b, v86
	v_cndmask_b32_e64 v78, 0, v72, s2
	v_fma_f32 v72, s18, v124, -v71
	v_mul_f32_e32 v73, 0x3fb8aa3b, v73
	v_cndmask_b32_e64 v79, 0, v76, s4
	v_fma_f32 v76, s18, v95, -v71
	s_delay_alu instid0(VALU_DEP_4) | instskip(NEXT) | instid1(VALU_DEP_4)
	v_dual_mul_f32 v75, 0x3fb8aa3b, v75 :: v_dual_mul_f32 v72, 0x3fb8aa3b, v72
	v_exp_f32_e32 v73, v73
	v_exp_f32_e32 v87, v87
	s_delay_alu instid0(VALU_DEP_2) | instskip(NEXT) | instid1(VALU_DEP_2)
	v_mul_f32_e32 v76, 0x3fb8aa3b, v76
	v_exp_f32_e32 v75, v75
	v_cndmask_b32_e64 v85, 0, v85, s10
	v_mul_f32_e32 v81, 0x3fb8aa3b, v81
	v_exp_f32_e32 v72, v72
	v_cndmask_b32_e64 v82, 0, v82, s5
	v_exp_f32_e32 v76, v76
	s_mov_b32 s2, exec_lo
	v_cndmask_b32_e32 v77, 0, v73, vcc_lo
	v_add_f32_e32 v73, 0, v78
	v_cndmask_b32_e64 v87, 0, v87, s12
	v_cndmask_b32_e64 v80, 0, v75, s3
	v_fma_f32 v75, s18, v126, -v71
	v_exp_f32_e32 v83, v81
	v_add_f32_e32 v73, v73, v77
	v_cndmask_b32_e64 v81, 0, v72, s6
	v_cndmask_b32_e64 v86, 0, v76, s9
	v_mul_f32_e32 v75, 0x3fb8aa3b, v75
	s_delay_alu instid0(VALU_DEP_4) | instskip(NEXT) | instid1(VALU_DEP_2)
	v_add_f32_e32 v73, v73, v80
	v_exp_f32_e32 v75, v75
	s_delay_alu instid0(TRANS32_DEP_2) | instskip(NEXT) | instid1(VALU_DEP_2)
	v_cndmask_b32_e64 v84, 0, v83, s7
	v_add_f32_e32 v73, v73, v79
	s_delay_alu instid0(VALU_DEP_1) | instskip(SKIP_3) | instid1(VALU_DEP_1)
	v_add_f32_e32 v72, v73, v82
	s_waitcnt_depctr 0xfff
	v_cndmask_b32_e64 v83, 0, v75, s8
	v_add_f32_e32 v72, v72, v81
	v_add_f32_e32 v72, v72, v84
	s_delay_alu instid0(VALU_DEP_1) | instskip(NEXT) | instid1(VALU_DEP_1)
	v_add_f32_e32 v72, v72, v83
	v_add_f32_e32 v72, v72, v86
	v_fma_f32 v73, s18, v97, -v71
	v_fma_f32 v75, s18, v99, -v71
	;; [unrolled: 1-line block ×4, first 2 shown]
	v_add_f32_e32 v72, v72, v85
	v_mul_f32_e32 v73, 0x3fb8aa3b, v73
	s_delay_alu instid0(VALU_DEP_4) | instskip(NEXT) | instid1(VALU_DEP_2)
	v_dual_mul_f32 v75, 0x3fb8aa3b, v75 :: v_dual_mul_f32 v76, 0x3fb8aa3b, v76
	v_exp_f32_e32 v73, v73
	s_delay_alu instid0(VALU_DEP_1) | instskip(NEXT) | instid1(VALU_DEP_1)
	v_exp_f32_e32 v75, v75
	v_exp_f32_e32 v76, v76
	s_delay_alu instid0(TRANS32_DEP_3)
	v_cndmask_b32_e64 v88, 0, v73, s11
	v_mul_f32_e32 v73, 0x3fb8aa3b, v89
	v_fma_f32 v89, s18, v102, -v71
	s_waitcnt_depctr 0xfff
	v_cndmask_b32_e64 v90, 0, v75, s13
	v_add_f32_e32 v72, v72, v88
	v_exp_f32_e32 v73, v73
	v_mul_f32_e32 v75, 0x3fb8aa3b, v89
	v_cndmask_b32_e64 v89, 0, v76, s15
	s_delay_alu instid0(VALU_DEP_3) | instskip(NEXT) | instid1(VALU_DEP_3)
	v_add_f32_e32 v72, v72, v87
	v_exp_f32_e32 v75, v75
	s_delay_alu instid0(VALU_DEP_1) | instskip(SKIP_4) | instid1(VALU_DEP_2)
	v_add_f32_e32 v72, v72, v90
	s_waitcnt_depctr 0xfff
	v_cndmask_b32_e64 v92, 0, v73, s16
	v_add_f32_e32 v72, v72, v89
	v_cndmask_b32_e64 v91, 0, v75, s17
	v_add_f32_e32 v72, v72, v92
	s_delay_alu instid0(VALU_DEP_1)
	v_add_f32_e32 v72, v72, v91
	ds_bpermute_b32 v73, v74, v72
	v_cmpx_gt_u32_e32 16, v70
	s_cbranch_execz .LBB1285_12
; %bb.11:
	v_mul_u32_u24_e32 v70, 0x44, v68
	s_waitcnt lgkmcnt(0)
	v_add_f32_e32 v72, v72, v73
	s_delay_alu instid0(VALU_DEP_2) | instskip(NEXT) | instid1(VALU_DEP_1)
	v_lshl_add_u32 v70, v69, 2, v70
	v_add_nc_u32_e32 v70, 0x4000, v70
	ds_store_2addr_b32 v70, v71, v72 offset1:136
.LBB1285_12:
	s_or_b32 exec_lo, exec_lo, s2
	v_lshlrev_b32_e32 v70, 2, v69
	s_load_b32 s34, s[0:1], 0x94
	s_waitcnt lgkmcnt(0)
	s_barrier
	buffer_gl0_inv
	v_add_nc_u32_e32 v74, 0x4000, v70
	v_cmp_eq_u32_e32 vcc_lo, 1, v68
	v_cmp_eq_u32_e64 s2, 2, v68
	v_cmp_eq_u32_e64 s3, 3, v68
	;; [unrolled: 1-line block ×3, first 2 shown]
	ds_load_2addr_b32 v[70:71], v74 offset1:17
	ds_load_2addr_b32 v[72:73], v74 offset0:34 offset1:51
	ds_load_2addr_b32 v[93:94], v74 offset0:68 offset1:85
	;; [unrolled: 1-line block ×3, first 2 shown]
	v_cmp_eq_u32_e64 s5, 5, v68
	v_cmp_eq_u32_e64 s6, 7, v68
	s_waitcnt lgkmcnt(3)
	v_max3_f32 v75, v70, 0xff7fffff, v71
	s_waitcnt lgkmcnt(2)
	s_delay_alu instid0(VALU_DEP_1) | instskip(SKIP_1) | instid1(VALU_DEP_1)
	v_max3_f32 v75, v75, v72, v73
	s_waitcnt lgkmcnt(1)
	v_max3_f32 v75, v75, v93, v94
	s_waitcnt lgkmcnt(0)
	s_delay_alu instid0(VALU_DEP_1) | instskip(NEXT) | instid1(VALU_DEP_1)
	v_max3_f32 v75, v75, v95, v96
	v_sub_f32_e32 v93, v93, v75
	ds_load_2addr_b32 v[97:98], v74 offset0:136 offset1:153
	v_sub_f32_e32 v70, v70, v75
	v_dual_sub_f32 v100, v73, v75 :: v_dual_mul_f32 v103, 0x3fb8aa3b, v93
	s_delay_alu instid0(VALU_DEP_2) | instskip(SKIP_3) | instid1(VALU_DEP_1)
	v_dual_sub_f32 v76, v71, v75 :: v_dual_mul_f32 v99, 0x3fb8aa3b, v70
	ds_load_2addr_b32 v[70:71], v74 offset0:170 offset1:187
	v_mul_f32_e32 v76, 0x3fb8aa3b, v76
	v_exp_f32_e32 v99, v99
	v_exp_f32_e32 v102, v76
	v_mul_f32_e32 v100, 0x3fb8aa3b, v100
	s_waitcnt lgkmcnt(1)
	s_waitcnt_depctr 0xfff
	v_fma_f32 v76, v99, v97, 0
	v_sub_f32_e32 v97, v94, v75
	v_sub_f32_e32 v72, v72, v75
	v_exp_f32_e32 v100, v100
	ds_load_2addr_b32 v[93:94], v74 offset0:238 offset1:255
	v_dual_fmac_f32 v76, v102, v98 :: v_dual_mul_f32 v101, 0x3fb8aa3b, v72
	ds_load_2addr_b32 v[72:73], v74 offset0:204 offset1:221
	v_dual_sub_f32 v74, v95, v75 :: v_dual_mul_f32 v95, 0x3fb8aa3b, v97
	v_exp_f32_e32 v97, v103
	v_exp_f32_e32 v101, v101
	s_waitcnt lgkmcnt(0)
	s_barrier
	v_exp_f32_e32 v95, v95
	buffer_gl0_inv
	v_fmac_f32_e32 v76, v101, v70
	v_sub_f32_e32 v70, v96, v75
	s_delay_alu instid0(VALU_DEP_2) | instskip(NEXT) | instid1(VALU_DEP_2)
	v_fmac_f32_e32 v76, v100, v71
	v_mul_f32_e32 v70, 0x3fb8aa3b, v70
	s_delay_alu instid0(VALU_DEP_2)
	v_dual_cndmask_b32 v71, v99, v102 :: v_dual_fmac_f32 v76, v97, v72
	v_lshlrev_b32_e32 v72, 6, v69
	v_lshlrev_b32_e32 v69, 2, v66
	v_mul_f32_e32 v74, 0x3fb8aa3b, v74
	v_exp_f32_e32 v98, v70
	v_fmac_f32_e32 v76, v95, v73
	s_delay_alu instid0(VALU_DEP_3) | instskip(NEXT) | instid1(VALU_DEP_3)
	v_cmp_eq_u32_e64 s7, 7, v69
	v_exp_f32_e32 v96, v74
	v_lshl_or_b32 v74, v68, 11, v72
	s_waitcnt_depctr 0xfff
	v_fmac_f32_e32 v76, v96, v93
	s_delay_alu instid0(VALU_DEP_1) | instskip(NEXT) | instid1(VALU_DEP_1)
	v_fmac_f32_e32 v76, v98, v94
	v_add_f32_e32 v73, 0x358637bd, v76
	s_delay_alu instid0(VALU_DEP_1) | instskip(SKIP_1) | instid1(VALU_DEP_2)
	v_div_scale_f32 v93, null, v73, v73, 1.0
	v_div_scale_f32 v99, vcc_lo, 1.0, v73, 1.0
	v_rcp_f32_e32 v94, v93
	s_waitcnt_depctr 0xfff
	v_fma_f32 v70, -v93, v94, 1.0
	s_delay_alu instid0(VALU_DEP_1)
	v_fmac_f32_e32 v94, v70, v94
	v_cndmask_b32_e64 v70, v71, v101, s2
	v_cmp_eq_u32_e64 s2, 6, v68
	v_or_b32_e32 v71, 1, v69
	v_or_b32_e32 v68, 2, v69
	v_mul_f32_e32 v101, v99, v94
	v_cndmask_b32_e64 v70, v70, v100, s3
	v_cmp_eq_u32_e64 s3, 1, v69
	v_cmp_eq_u32_e64 s8, 1, v71
	;; [unrolled: 1-line block ×3, first 2 shown]
	v_fma_f32 v100, -v93, v101, v99
	v_cndmask_b32_e64 v70, v70, v97, s4
	v_cmp_eq_u32_e64 s4, 2, v69
	v_cmp_eq_u32_e64 s11, 2, v71
	;; [unrolled: 1-line block ×3, first 2 shown]
	v_fmac_f32_e32 v101, v100, v94
	v_cndmask_b32_e64 v95, v70, v95, s5
	v_or_b32_e32 v70, 3, v69
	v_cmp_eq_u32_e64 s12, 3, v71
	v_cmp_eq_u32_e64 s16, 3, v68
	v_fma_f32 v93, -v93, v101, v99
	v_cndmask_b32_e64 v95, v95, v96, s2
	v_cmp_eq_u32_e64 s10, 1, v70
	v_cmp_eq_u32_e64 s15, 2, v70
	;; [unrolled: 1-line block ×3, first 2 shown]
	v_div_fmas_f32 v93, v93, v94, v101
	v_cndmask_b32_e64 v94, v95, v98, s6
	v_cmp_eq_u32_e32 vcc_lo, 3, v69
	v_cmp_eq_u32_e64 s2, 4, v69
	v_cmp_eq_u32_e64 s18, 4, v71
	v_div_fixup_f32 v93, v93, v73, 1.0
	v_lshl_or_b32 v73, v66, 4, v74
	v_cmp_eq_u32_e64 s21, 4, v70
	v_cmp_eq_u32_e64 s5, 5, v69
	;; [unrolled: 1-line block ×3, first 2 shown]
	v_mul_f32_e32 v101, v94, v93
	v_cmp_eq_u32_e64 s20, 4, v68
	v_cmp_eq_u32_e64 s23, 5, v70
	;; [unrolled: 1-line block ×4, first 2 shown]
	v_fma_mixlo_f16 v93, v101, v78, 0
	v_fma_mixlo_f16 v94, v101, v80, 0
	;; [unrolled: 1-line block ×8, first 2 shown]
	v_fma_mixhi_f16 v93, v101, v77, 0
	v_fma_mixhi_f16 v94, v101, v79, 0
	v_fma_mixhi_f16 v95, v101, v81, 0
	v_fma_mixhi_f16 v96, v101, v83, 0
	v_fma_mixhi_f16 v97, v101, v85, 0
	v_fma_mixhi_f16 v98, v101, v87, 0
	v_fma_mixhi_f16 v99, v101, v89, 0
	v_fma_mixhi_f16 v100, v101, v91, 0
	ds_store_b128 v73, v[93:96]
	ds_store_b128 v73, v[97:100] offset:1024
	s_waitcnt lgkmcnt(0)
	s_barrier
	buffer_gl0_inv
	ds_load_b128 v[77:80], v74
	ds_load_b128 v[81:84], v74 offset:16
	ds_load_b128 v[85:88], v74 offset:1024
	;; [unrolled: 1-line block ×3, first 2 shown]
	v_cmp_eq_u32_e64 s26, 6, v70
	v_cmp_eq_u32_e64 s6, 6, v69
	v_cmp_eq_u32_e64 s25, 6, v68
	v_cmp_eq_u32_e64 s28, 7, v70
	v_cmp_eq_u32_e64 s29, 7, v71
	v_cmp_eq_u32_e64 s27, 7, v68
	s_waitcnt lgkmcnt(3)
	v_lshrrev_b32_e32 v93, 16, v77
	s_waitcnt lgkmcnt(2)
	v_lshrrev_b32_e32 v97, 16, v81
	;; [unrolled: 2-line block ×4, first 2 shown]
	v_lshrrev_b32_e32 v94, 16, v78
	v_cndmask_b32_e64 v109, v77, v93, s3
	v_cndmask_b32_e64 v110, v81, v97, s3
	;; [unrolled: 1-line block ×8, first 2 shown]
	v_lshrrev_b32_e32 v98, 16, v82
	v_cndmask_b32_e64 v93, v85, v101, s3
	v_cndmask_b32_e64 v97, v89, v105, s3
	;; [unrolled: 1-line block ×15, first 2 shown]
	v_lshrrev_b32_e32 v102, 16, v86
	v_lshrrev_b32_e32 v106, 16, v90
	v_cndmask_b32_e64 v112, v114, v82, s13
	v_cndmask_b32_e64 v81, v93, v86, s4
	;; [unrolled: 1-line block ×7, first 2 shown]
	v_cndmask_b32_e32 v89, v101, v94, vcc_lo
	v_cndmask_b32_e32 v101, v105, v98, vcc_lo
	v_cndmask_b32_e64 v105, v109, v94, s12
	v_cndmask_b32_e64 v109, v110, v98, s12
	;; [unrolled: 1-line block ×4, first 2 shown]
	v_lshrrev_b32_e32 v95, 16, v79
	v_lshrrev_b32_e32 v99, 16, v83
	v_cndmask_b32_e64 v110, v111, v94, s16
	v_cndmask_b32_e64 v111, v112, v98, s16
	v_cndmask_b32_e32 v81, v81, v102, vcc_lo
	v_cndmask_b32_e32 v82, v82, v106, vcc_lo
	v_cndmask_b32_e64 v93, v93, v102, s12
	v_cndmask_b32_e64 v89, v89, v79, s2
	;; [unrolled: 1-line block ×7, first 2 shown]
	v_lshrrev_b32_e32 v103, 16, v87
	v_cndmask_b32_e64 v105, v110, v79, s20
	v_cndmask_b32_e64 v109, v111, v83, s20
	;; [unrolled: 1-line block ×11, first 2 shown]
	v_lshrrev_b32_e32 v96, 16, v80
	v_lshrrev_b32_e32 v100, 16, v84
	v_cndmask_b32_e64 v98, v105, v95, s22
	v_cndmask_b32_e64 v101, v109, v99, s22
	;; [unrolled: 1-line block ×7, first 2 shown]
	v_lshrrev_b32_e32 v104, 16, v88
	v_cndmask_b32_e64 v79, v79, v103, s5
	v_cndmask_b32_e64 v83, v83, v80, s6
	;; [unrolled: 1-line block ×16, first 2 shown]
	v_perm_b32 v80, v78, v77, 0x5040100
	v_perm_b32 v78, v94, v84, 0x5040100
	v_cndmask_b32_e64 v77, v118, v90, s13
	v_cndmask_b32_e64 v84, v116, v90, s11
	;; [unrolled: 1-line block ×3, first 2 shown]
	v_perm_b32 v79, v93, v89, 0x5040100
	v_cndmask_b32_e64 v89, v97, v102, s16
	v_cndmask_b32_e64 v85, v85, v102, s17
	;; [unrolled: 1-line block ×5, first 2 shown]
	v_lshrrev_b32_e32 v107, 16, v91
	v_cndmask_b32_e64 v89, v89, v87, s20
	v_cndmask_b32_e64 v85, v85, v87, s21
	;; [unrolled: 1-line block ×11, first 2 shown]
	v_lshrrev_b32_e32 v108, 16, v92
	v_cndmask_b32_e64 v81, v81, v92, s6
	v_cndmask_b32_e64 v87, v87, v88, s25
	;; [unrolled: 1-line block ×12, first 2 shown]
	v_perm_b32 v77, v83, v82, 0x5040100
	v_perm_b32 v84, v86, v85, 0x5040100
	;; [unrolled: 1-line block ×5, first 2 shown]
	s_lshl_b32 s7, s33, 3
	s_mov_b32 s2, exec_lo
	ds_store_b128 v73, v[77:80]
	ds_store_b128 v73, v[81:84] offset:1024
	v_cmpx_gt_u32_e32 8, v0
	s_cbranch_execz .LBB1285_14
; %bb.13:
	v_or_b32_e32 v77, s31, v0
	s_load_b128 s[8:11], s[0:1], 0x58
	s_delay_alu instid0(VALU_DEP_1) | instskip(NEXT) | instid1(VALU_DEP_1)
	v_mad_u64_u32 v[78:79], null, s7, s30, v[77:78]
	v_mad_u64_u32 v[79:80], null, v78, s34, s[14:15]
	s_delay_alu instid0(VALU_DEP_1) | instskip(NEXT) | instid1(VALU_DEP_1)
	v_ashrrev_i32_e32 v80, 31, v79
	v_lshlrev_b64 v[77:78], 2, v[79:80]
	s_waitcnt lgkmcnt(0)
	s_delay_alu instid0(VALU_DEP_1) | instskip(NEXT) | instid1(VALU_DEP_2)
	v_add_co_u32 v79, vcc_lo, s10, v77
	v_add_co_ci_u32_e32 v80, vcc_lo, s11, v78, vcc_lo
	v_add_co_u32 v77, vcc_lo, s8, v77
	v_add_co_ci_u32_e32 v78, vcc_lo, s9, v78, vcc_lo
	global_store_b32 v[79:80], v75, off
	global_store_b32 v[77:78], v76, off
.LBB1285_14:
	s_or_b32 exec_lo, exec_lo, s2
	s_waitcnt lgkmcnt(0)
	s_waitcnt_vscnt null, 0x0
	s_barrier
	buffer_gl0_inv
	ds_load_b128 v[83:86], v72
	ds_load_b128 v[87:90], v72 offset:16
	ds_load_b128 v[95:98], v72 offset:2064
	;; [unrolled: 1-line block ×5, first 2 shown]
	v_cmp_eq_u32_e32 vcc_lo, 1, v69
	v_mov_b32_e32 v75, 0
	ds_load_b128 v[111:114], v72 offset:6160
	ds_load_b128 v[107:110], v72 offset:6144
	;; [unrolled: 1-line block ×4, first 2 shown]
	v_cmp_eq_u32_e64 s3, 1, v68
	v_cmp_eq_u32_e64 s2, 1, v71
	;; [unrolled: 1-line block ×3, first 2 shown]
	v_mov_b32_e32 v76, v75
	v_mov_b32_e32 v77, v75
	;; [unrolled: 1-line block ×7, first 2 shown]
	v_cmp_eq_u32_e64 s5, 3, v71
	v_cmp_eq_u32_e64 s6, 7, v71
	s_waitcnt lgkmcnt(8)
	s_delay_alu instid0(VALU_DEP_3)
	v_wmma_f32_16x16x16_f16 v[75:82], v[49:56], v[83:90], v[75:82]
	ds_load_b128 v[53:56], v72 offset:10256
	ds_load_b128 v[49:52], v72 offset:10240
	s_waitcnt lgkmcnt(8)
	v_wmma_f32_16x16x16_f16 v[75:82], v[41:48], v[91:98], v[75:82]
	ds_load_b128 v[45:48], v72 offset:12304
	ds_load_b128 v[41:44], v72 offset:12288
	s_waitcnt lgkmcnt(8)
	;; [unrolled: 4-line block ×3, first 2 shown]
	s_barrier
	buffer_gl0_inv
	v_wmma_f32_16x16x16_f16 v[75:82], v[1:8], v[107:114], v[75:82]
	s_delay_alu instid0(VALU_DEP_1) | instskip(NEXT) | instid1(VALU_DEP_1)
	v_wmma_f32_16x16x16_f16 v[75:82], v[9:16], v[115:122], v[75:82]
	v_wmma_f32_16x16x16_f16 v[75:82], v[17:24], v[49:56], v[75:82]
	s_delay_alu instid0(VALU_DEP_1) | instskip(NEXT) | instid1(VALU_DEP_1)
	v_wmma_f32_16x16x16_f16 v[75:82], v[25:32], v[41:48], v[75:82]
	v_wmma_f32_16x16x16_f16 v[75:82], v[57:64], v[33:40], v[75:82]
	s_delay_alu instid0(VALU_DEP_1) | instskip(NEXT) | instid1(VALU_DEP_2)
	v_cvt_f16_f32_e32 v1, v75
	v_cvt_f16_f32_e32 v2, v76
	s_delay_alu instid0(VALU_DEP_3) | instskip(NEXT) | instid1(VALU_DEP_4)
	v_cvt_f16_f32_e32 v3, v77
	v_cvt_f16_f32_e32 v4, v78
	;; [unrolled: 1-line block ×6, first 2 shown]
	v_pack_b32_f16 v1, v1, v2
	v_pack_b32_f16 v2, v3, v4
	;; [unrolled: 1-line block ×3, first 2 shown]
	s_delay_alu instid0(VALU_DEP_4)
	v_pack_b32_f16 v4, v7, v8
	ds_store_b128 v73, v[1:4]
	s_waitcnt lgkmcnt(0)
	s_barrier
	buffer_gl0_inv
	ds_load_b128 v[1:4], v74
	ds_load_b128 v[5:8], v74 offset:16
	s_waitcnt lgkmcnt(1)
	v_lshrrev_b32_e32 v9, 16, v1
	s_waitcnt lgkmcnt(0)
	v_lshrrev_b32_e32 v13, 16, v5
	v_lshrrev_b32_e32 v10, 16, v2
	;; [unrolled: 1-line block ×4, first 2 shown]
	v_cndmask_b32_e32 v17, v1, v9, vcc_lo
	v_cndmask_b32_e32 v18, v5, v13, vcc_lo
	v_cndmask_b32_e64 v21, v1, v9, s3
	v_cmp_eq_u32_e32 vcc_lo, 1, v70
	v_cndmask_b32_e64 v22, v5, v13, s3
	v_cmp_eq_u32_e64 s3, 2, v69
	v_cndmask_b32_e64 v19, v1, v9, s2
	v_cndmask_b32_e64 v20, v5, v13, s2
	v_cndmask_b32_e32 v1, v1, v9, vcc_lo
	v_cmp_eq_u32_e64 s2, 2, v70
	v_cndmask_b32_e32 v5, v5, v13, vcc_lo
	v_cndmask_b32_e64 v9, v17, v2, s3
	v_cmp_eq_u32_e32 vcc_lo, 3, v69
	v_cndmask_b32_e64 v13, v18, v6, s3
	v_cmp_eq_u32_e64 s3, 2, v68
	v_cndmask_b32_e64 v17, v19, v2, s4
	v_cndmask_b32_e64 v18, v20, v6, s4
	v_cmp_eq_u32_e64 s4, 3, v68
	v_cndmask_b32_e64 v1, v1, v2, s2
	v_cndmask_b32_e64 v19, v21, v2, s3
	;; [unrolled: 1-line block ×4, first 2 shown]
	v_cndmask_b32_e32 v5, v9, v10, vcc_lo
	v_cndmask_b32_e32 v6, v13, v14, vcc_lo
	v_cmp_eq_u32_e32 vcc_lo, 3, v70
	v_cndmask_b32_e64 v9, v17, v10, s5
	v_cndmask_b32_e64 v13, v18, v14, s5
	;; [unrolled: 1-line block ×3, first 2 shown]
	v_cmp_eq_u32_e64 s3, 4, v69
	v_cndmask_b32_e32 v1, v1, v10, vcc_lo
	v_cndmask_b32_e32 v2, v2, v14, vcc_lo
	v_cmp_eq_u32_e32 vcc_lo, 4, v71
	v_lshrrev_b32_e32 v15, 16, v7
	v_lshrrev_b32_e32 v16, 16, v8
	v_cndmask_b32_e64 v17, v19, v10, s4
	v_cmp_eq_u32_e64 s2, 4, v70
	v_cndmask_b32_e64 v5, v5, v3, s3
	v_cndmask_b32_e64 v6, v6, v7, s3
	v_cndmask_b32_e32 v9, v9, v3, vcc_lo
	v_cmp_eq_u32_e64 s3, 5, v71
	v_cndmask_b32_e32 v10, v13, v7, vcc_lo
	v_cmp_eq_u32_e32 vcc_lo, 4, v68
	v_cmp_eq_u32_e64 s4, 5, v69
	v_cndmask_b32_e64 v2, v2, v7, s2
	v_cndmask_b32_e64 v9, v9, v11, s3
	;; [unrolled: 1-line block ×3, first 2 shown]
	v_cndmask_b32_e32 v13, v17, v3, vcc_lo
	v_cmp_eq_u32_e64 s3, 5, v68
	v_cndmask_b32_e32 v14, v18, v7, vcc_lo
	v_cndmask_b32_e64 v1, v1, v3, s2
	v_cmp_eq_u32_e32 vcc_lo, 5, v70
	v_lshrrev_b32_e32 v12, 16, v4
	v_cndmask_b32_e64 v13, v13, v11, s3
	v_cndmask_b32_e64 v3, v14, v15, s3
	v_cmp_eq_u32_e64 s3, 6, v70
	v_cndmask_b32_e32 v1, v1, v11, vcc_lo
	v_cndmask_b32_e64 v5, v5, v11, s4
	v_cmp_eq_u32_e64 s5, 6, v69
	v_cndmask_b32_e64 v6, v6, v15, s4
	v_cmp_eq_u32_e64 s4, 6, v71
	v_cmp_eq_u32_e64 s2, 6, v68
	v_cndmask_b32_e64 v1, v1, v4, s3
	v_cndmask_b32_e32 v2, v2, v15, vcc_lo
	v_cmp_eq_u32_e32 vcc_lo, 7, v70
	v_cndmask_b32_e64 v5, v5, v4, s5
	v_cndmask_b32_e64 v9, v9, v4, s4
	;; [unrolled: 1-line block ×3, first 2 shown]
	v_cmp_eq_u32_e64 s5, 7, v69
	v_cndmask_b32_e32 v1, v1, v12, vcc_lo
	v_cndmask_b32_e64 v7, v13, v4, s2
	v_cndmask_b32_e64 v3, v3, v8, s2
	;; [unrolled: 1-line block ×3, first 2 shown]
	v_cmp_eq_u32_e64 s2, 7, v68
	v_cndmask_b32_e64 v4, v10, v8, s4
	v_cndmask_b32_e64 v5, v5, v12, s5
	;; [unrolled: 1-line block ×3, first 2 shown]
	v_cndmask_b32_e32 v2, v2, v16, vcc_lo
	v_cndmask_b32_e64 v7, v7, v12, s2
	v_cndmask_b32_e64 v3, v3, v16, s2
	;; [unrolled: 1-line block ×4, first 2 shown]
	v_perm_b32 v4, v2, v1, 0x5040100
	s_mov_b32 s2, exec_lo
	v_perm_b32 v3, v3, v7, 0x5040100
	v_perm_b32 v2, v8, v9, 0x5040100
	;; [unrolled: 1-line block ×3, first 2 shown]
	ds_store_b128 v73, v[1:4]
	s_waitcnt lgkmcnt(0)
	s_barrier
	buffer_gl0_inv
	v_cmpx_gt_u32_e32 32, v0
	s_cbranch_execz .LBB1285_2
; %bb.15:
	s_load_b64 s[0:1], s[0:1], 0x68
	s_lshl_b32 s4, s34, 7
	v_or_b32_e32 v2, s31, v66
	s_mul_i32 s2, s4, s30
	v_lshlrev_b32_e32 v1, 10, v0
	s_mul_i32 s2, s2, s7
	v_lshlrev_b32_e32 v3, 4, v67
	v_mul_lo_u32 v0, v2, s4
	s_ashr_i32 s3, s2, 31
	v_lshlrev_b32_e32 v4, 6, v66
	v_and_b32_e32 v1, 0x3800, v1
	v_or_b32_e32 v5, 2, v2
	s_lshl_b64 s[2:3], s[2:3], 1
	v_or_b32_e32 v6, 4, v2
	v_or_b32_e32 v7, 6, v2
	v_or3_b32 v12, v1, v3, v4
	v_ashrrev_i32_e32 v1, 31, v0
	v_mul_lo_u32 v2, v5, s4
	v_mul_lo_u32 v16, v6, s4
	;; [unrolled: 1-line block ×3, first 2 shown]
	s_waitcnt lgkmcnt(0)
	s_add_u32 s2, s0, s2
	s_addc_u32 s3, s1, s3
	s_lshl_b32 s0, s14, 7
	v_lshlrev_b64 v[0:1], 1, v[0:1]
	s_ashr_i32 s1, s0, 31
	v_ashrrev_i32_e32 v3, 31, v2
	s_lshl_b64 s[0:1], s[0:1], 1
	v_ashrrev_i32_e32 v17, 31, v16
	s_add_u32 s0, s2, s0
	s_addc_u32 s1, s3, s1
	v_add_co_u32 v24, s0, s0, v65
	s_delay_alu instid0(VALU_DEP_1) | instskip(SKIP_1) | instid1(VALU_DEP_3)
	v_add_co_ci_u32_e64 v25, null, s1, 0, s0
	v_lshlrev_b64 v[22:23], 1, v[2:3]
	v_add_co_u32 v18, vcc_lo, v24, v0
	s_delay_alu instid0(VALU_DEP_3)
	v_add_co_ci_u32_e32 v19, vcc_lo, v25, v1, vcc_lo
	ds_load_b128 v[0:3], v12
	ds_load_b128 v[4:7], v12 offset:128
	ds_load_b128 v[8:11], v12 offset:256
	;; [unrolled: 1-line block ×3, first 2 shown]
	v_ashrrev_i32_e32 v21, 31, v20
	v_lshlrev_b64 v[16:17], 1, v[16:17]
	v_add_co_u32 v22, vcc_lo, v24, v22
	v_add_co_ci_u32_e32 v23, vcc_lo, v25, v23, vcc_lo
	s_delay_alu instid0(VALU_DEP_4) | instskip(NEXT) | instid1(VALU_DEP_4)
	v_lshlrev_b64 v[20:21], 1, v[20:21]
	v_add_co_u32 v16, vcc_lo, v24, v16
	v_add_co_ci_u32_e32 v17, vcc_lo, v25, v17, vcc_lo
	s_delay_alu instid0(VALU_DEP_3) | instskip(NEXT) | instid1(VALU_DEP_4)
	v_add_co_u32 v20, vcc_lo, v24, v20
	v_add_co_ci_u32_e32 v21, vcc_lo, v25, v21, vcc_lo
	s_waitcnt lgkmcnt(3)
	global_store_b128 v[18:19], v[0:3], off
	s_waitcnt lgkmcnt(2)
	global_store_b128 v[22:23], v[4:7], off
	;; [unrolled: 2-line block ×4, first 2 shown]
	s_nop 0
	s_sendmsg sendmsg(MSG_DEALLOC_VGPRS)
	s_endpgm
	.section	.rodata,"a",@progbits
	.p2align	6, 0x0
	.amdhsa_kernel _Z39paged_attention_ll4mi_QKV_mfma16_kernelIDF16_hLN4vllm18Fp8KVCacheDataTypeE1EhLi32ELi128ELi256ELb1ELi8EL8MFMAType0EEvPKT_PKT0_S8_ifPKiSA_SA_iPKfiiiPfSD_PS3_PT2_iSC_SC_
		.amdhsa_group_segment_fixed_size 17472
		.amdhsa_private_segment_fixed_size 0
		.amdhsa_kernarg_size 400
		.amdhsa_user_sgpr_count 13
		.amdhsa_user_sgpr_dispatch_ptr 0
		.amdhsa_user_sgpr_queue_ptr 0
		.amdhsa_user_sgpr_kernarg_segment_ptr 1
		.amdhsa_user_sgpr_dispatch_id 0
		.amdhsa_user_sgpr_private_segment_size 0
		.amdhsa_wavefront_size32 1
		.amdhsa_uses_dynamic_stack 0
		.amdhsa_enable_private_segment 0
		.amdhsa_system_sgpr_workgroup_id_x 1
		.amdhsa_system_sgpr_workgroup_id_y 1
		.amdhsa_system_sgpr_workgroup_id_z 1
		.amdhsa_system_sgpr_workgroup_info 0
		.amdhsa_system_vgpr_workitem_id 0
		.amdhsa_next_free_vgpr 140
		.amdhsa_next_free_sgpr 36
		.amdhsa_reserve_vcc 1
		.amdhsa_float_round_mode_32 0
		.amdhsa_float_round_mode_16_64 0
		.amdhsa_float_denorm_mode_32 3
		.amdhsa_float_denorm_mode_16_64 3
		.amdhsa_dx10_clamp 1
		.amdhsa_ieee_mode 1
		.amdhsa_fp16_overflow 0
		.amdhsa_workgroup_processor_mode 1
		.amdhsa_memory_ordered 1
		.amdhsa_forward_progress 0
		.amdhsa_shared_vgpr_count 0
		.amdhsa_exception_fp_ieee_invalid_op 0
		.amdhsa_exception_fp_denorm_src 0
		.amdhsa_exception_fp_ieee_div_zero 0
		.amdhsa_exception_fp_ieee_overflow 0
		.amdhsa_exception_fp_ieee_underflow 0
		.amdhsa_exception_fp_ieee_inexact 0
		.amdhsa_exception_int_div_zero 0
	.end_amdhsa_kernel
	.section	.text._Z39paged_attention_ll4mi_QKV_mfma16_kernelIDF16_hLN4vllm18Fp8KVCacheDataTypeE1EhLi32ELi128ELi256ELb1ELi8EL8MFMAType0EEvPKT_PKT0_S8_ifPKiSA_SA_iPKfiiiPfSD_PS3_PT2_iSC_SC_,"axG",@progbits,_Z39paged_attention_ll4mi_QKV_mfma16_kernelIDF16_hLN4vllm18Fp8KVCacheDataTypeE1EhLi32ELi128ELi256ELb1ELi8EL8MFMAType0EEvPKT_PKT0_S8_ifPKiSA_SA_iPKfiiiPfSD_PS3_PT2_iSC_SC_,comdat
.Lfunc_end1285:
	.size	_Z39paged_attention_ll4mi_QKV_mfma16_kernelIDF16_hLN4vllm18Fp8KVCacheDataTypeE1EhLi32ELi128ELi256ELb1ELi8EL8MFMAType0EEvPKT_PKT0_S8_ifPKiSA_SA_iPKfiiiPfSD_PS3_PT2_iSC_SC_, .Lfunc_end1285-_Z39paged_attention_ll4mi_QKV_mfma16_kernelIDF16_hLN4vllm18Fp8KVCacheDataTypeE1EhLi32ELi128ELi256ELb1ELi8EL8MFMAType0EEvPKT_PKT0_S8_ifPKiSA_SA_iPKfiiiPfSD_PS3_PT2_iSC_SC_
                                        ; -- End function
	.section	.AMDGPU.csdata,"",@progbits
; Kernel info:
; codeLenInByte = 6624
; NumSgprs: 38
; NumVgprs: 140
; ScratchSize: 0
; MemoryBound: 0
; FloatMode: 240
; IeeeMode: 1
; LDSByteSize: 17472 bytes/workgroup (compile time only)
; SGPRBlocks: 4
; VGPRBlocks: 17
; NumSGPRsForWavesPerEU: 38
; NumVGPRsForWavesPerEU: 140
; Occupancy: 10
; WaveLimiterHint : 1
; COMPUTE_PGM_RSRC2:SCRATCH_EN: 0
; COMPUTE_PGM_RSRC2:USER_SGPR: 13
; COMPUTE_PGM_RSRC2:TRAP_HANDLER: 0
; COMPUTE_PGM_RSRC2:TGID_X_EN: 1
; COMPUTE_PGM_RSRC2:TGID_Y_EN: 1
; COMPUTE_PGM_RSRC2:TGID_Z_EN: 1
; COMPUTE_PGM_RSRC2:TIDIG_COMP_CNT: 0
	.section	.text._Z39paged_attention_ll4mi_QKV_mfma16_kernelIDF16_hLN4vllm18Fp8KVCacheDataTypeE1EhLi32ELi128ELi256ELb1ELi9EL8MFMAType0EEvPKT_PKT0_S8_ifPKiSA_SA_iPKfiiiPfSD_PS3_PT2_iSC_SC_,"axG",@progbits,_Z39paged_attention_ll4mi_QKV_mfma16_kernelIDF16_hLN4vllm18Fp8KVCacheDataTypeE1EhLi32ELi128ELi256ELb1ELi9EL8MFMAType0EEvPKT_PKT0_S8_ifPKiSA_SA_iPKfiiiPfSD_PS3_PT2_iSC_SC_,comdat
	.protected	_Z39paged_attention_ll4mi_QKV_mfma16_kernelIDF16_hLN4vllm18Fp8KVCacheDataTypeE1EhLi32ELi128ELi256ELb1ELi9EL8MFMAType0EEvPKT_PKT0_S8_ifPKiSA_SA_iPKfiiiPfSD_PS3_PT2_iSC_SC_ ; -- Begin function _Z39paged_attention_ll4mi_QKV_mfma16_kernelIDF16_hLN4vllm18Fp8KVCacheDataTypeE1EhLi32ELi128ELi256ELb1ELi9EL8MFMAType0EEvPKT_PKT0_S8_ifPKiSA_SA_iPKfiiiPfSD_PS3_PT2_iSC_SC_
	.globl	_Z39paged_attention_ll4mi_QKV_mfma16_kernelIDF16_hLN4vllm18Fp8KVCacheDataTypeE1EhLi32ELi128ELi256ELb1ELi9EL8MFMAType0EEvPKT_PKT0_S8_ifPKiSA_SA_iPKfiiiPfSD_PS3_PT2_iSC_SC_
	.p2align	8
	.type	_Z39paged_attention_ll4mi_QKV_mfma16_kernelIDF16_hLN4vllm18Fp8KVCacheDataTypeE1EhLi32ELi128ELi256ELb1ELi9EL8MFMAType0EEvPKT_PKT0_S8_ifPKiSA_SA_iPKfiiiPfSD_PS3_PT2_iSC_SC_,@function
_Z39paged_attention_ll4mi_QKV_mfma16_kernelIDF16_hLN4vllm18Fp8KVCacheDataTypeE1EhLi32ELi128ELi256ELb1ELi9EL8MFMAType0EEvPKT_PKT0_S8_ifPKiSA_SA_iPKfiiiPfSD_PS3_PT2_iSC_SC_: ; @_Z39paged_attention_ll4mi_QKV_mfma16_kernelIDF16_hLN4vllm18Fp8KVCacheDataTypeE1EhLi32ELi128ELi256ELb1ELi9EL8MFMAType0EEvPKT_PKT0_S8_ifPKiSA_SA_iPKfiiiPfSD_PS3_PT2_iSC_SC_
; %bb.0:
	s_load_b64 s[4:5], s[0:1], 0x30
	s_mov_b32 s34, s13
	s_waitcnt lgkmcnt(0)
	s_cmp_lg_u64 s[4:5], 0
	s_cselect_b32 s8, -1, 0
	s_ashr_i32 s35, s13, 31
	s_cmp_eq_u64 s[4:5], 0
	s_cbranch_scc1 .LBB1286_3
; %bb.1:
	s_lshl_b64 s[2:3], s[34:35], 2
	s_delay_alu instid0(SALU_CYCLE_1) | instskip(SKIP_4) | instid1(SALU_CYCLE_1)
	s_add_u32 s2, s4, s2
	s_addc_u32 s3, s5, s3
	s_load_b64 s[2:3], s[2:3], 0x0
	s_waitcnt lgkmcnt(0)
	s_sub_i32 s2, s3, s2
	s_cmp_eq_u32 s2, 1
	s_cselect_b32 s2, -1, 0
	s_delay_alu instid0(SALU_CYCLE_1)
	s_and_not1_b32 vcc_lo, exec_lo, s2
	s_cbranch_vccz .LBB1286_4
.LBB1286_2:
	s_nop 0
	s_sendmsg sendmsg(MSG_DEALLOC_VGPRS)
	s_endpgm
.LBB1286_3:
.LBB1286_4:
	s_load_b64 s[2:3], s[0:1], 0x28
	s_lshl_b64 s[6:7], s[34:35], 2
	s_waitcnt lgkmcnt(0)
	s_add_u32 s2, s2, s6
	s_addc_u32 s3, s3, s7
	s_lshl_b32 s12, s14, 8
	s_load_b32 s24, s[2:3], 0x0
	s_waitcnt lgkmcnt(0)
	s_cmp_ge_i32 s12, s24
	s_cbranch_scc1 .LBB1286_2
; %bb.5:
	s_clause 0x1
	s_load_b128 s[20:23], s[0:1], 0x8
	s_load_b64 s[2:3], s[0:1], 0x20
	s_and_not1_b32 vcc_lo, exec_lo, s8
	s_cbranch_vccnz .LBB1286_7
; %bb.6:
	s_add_u32 s4, s4, s6
	s_addc_u32 s5, s5, s7
	s_load_b32 s5, s[4:5], 0x0
	s_branch .LBB1286_8
.LBB1286_7:
	s_mov_b32 s5, s34
.LBB1286_8:
	s_load_b128 s[16:19], s[0:1], 0x48
	v_and_b32_e32 v68, 15, v0
	v_lshrrev_b32_e32 v69, 5, v0
	v_bfe_u32 v66, v0, 4, 1
	v_and_b32_e32 v70, 31, v0
	v_and_b32_e32 v67, 1, v0
	v_lshlrev_b32_e32 v2, 3, v68
	s_mul_i32 s31, s15, 9
	v_lshl_or_b32 v1, v69, 1, v66
	s_mov_b32 s4, exec_lo
	s_delay_alu instid0(VALU_DEP_2) | instskip(NEXT) | instid1(VALU_DEP_2)
	v_lshlrev_b32_e32 v65, 1, v2
	v_cmpx_gt_u32_e32 9, v1
	s_cbranch_execz .LBB1286_10
; %bb.9:
	s_load_b64 s[6:7], s[0:1], 0x0
	v_add_lshl_u32 v2, v1, s31, 7
	s_waitcnt lgkmcnt(0)
	s_mul_hi_i32 s9, s5, s16
	s_mul_i32 s8, s5, s16
	v_lshlrev_b32_e32 v6, 10, v68
	s_lshl_b64 s[8:9], s[8:9], 1
	v_ashrrev_i32_e32 v3, 31, v2
	v_lshlrev_b32_e32 v1, 6, v1
	v_lshlrev_b32_e32 v7, 10, v67
	v_and_b32_e32 v6, 0x3800, v6
	s_delay_alu instid0(VALU_DEP_4) | instskip(NEXT) | instid1(VALU_DEP_2)
	v_lshlrev_b64 v[2:3], 1, v[2:3]
	v_or3_b32 v1, v6, v7, v1
	s_add_u32 s5, s6, s8
	s_addc_u32 s6, s7, s9
	s_delay_alu instid0(VALU_DEP_2) | instskip(NEXT) | instid1(VALU_DEP_3)
	v_add_co_u32 v2, vcc_lo, s5, v2
	v_add_co_ci_u32_e32 v3, vcc_lo, s6, v3, vcc_lo
	s_delay_alu instid0(VALU_DEP_2) | instskip(NEXT) | instid1(VALU_DEP_2)
	v_add_co_u32 v2, vcc_lo, v2, v65
	v_add_co_ci_u32_e32 v3, vcc_lo, 0, v3, vcc_lo
	global_load_b128 v[2:5], v[2:3], off
	s_waitcnt vmcnt(0)
	ds_store_b128 v1, v[2:5]
.LBB1286_10:
	s_or_b32 exec_lo, exec_lo, s4
	v_and_b32_e32 v1, 0xef, v0
	s_waitcnt lgkmcnt(0)
	s_add_i32 s5, s24, 31
	s_clause 0x1
	s_load_b32 s4, s[0:1], 0x38
	s_load_b32 s33, s[0:1], 0x98
	s_ashr_i32 s6, s5, 31
	v_add_nc_u32_e32 v1, s12, v1
	s_lshr_b32 s6, s6, 27
	s_load_b32 s19, s[0:1], 0x1c
	s_add_i32 s5, s5, s6
	s_waitcnt lgkmcnt(0)
	v_ashrrev_i32_e32 v2, 31, v1
	v_or_b32_e32 v3, 16, v1
	s_ashr_i32 s13, s5, 5
	v_cmp_gt_i32_e32 vcc_lo, s24, v1
	s_add_i32 s13, s13, -1
	v_lshrrev_b32_e32 v2, 27, v2
	s_barrier
	buffer_gl0_inv
	s_mul_i32 s15, s15, s18
	v_add_nc_u32_e32 v4, v1, v2
	s_mul_i32 s4, s34, s4
	s_delay_alu instid0(SALU_CYCLE_1) | instskip(NEXT) | instid1(VALU_DEP_1)
	s_ashr_i32 s5, s4, 31
	v_ashrrev_i32_e32 v4, 5, v4
	v_add_nc_u32_e32 v2, v3, v2
	s_lshl_b64 s[4:5], s[4:5], 2
	s_delay_alu instid0(SALU_CYCLE_1) | instskip(NEXT) | instid1(VALU_DEP_2)
	s_add_u32 s16, s2, s4
	v_cndmask_b32_e32 v1, s13, v4, vcc_lo
	s_delay_alu instid0(VALU_DEP_2)
	v_ashrrev_i32_e32 v2, 5, v2
	v_cmp_gt_i32_e32 vcc_lo, s24, v3
	s_addc_u32 s25, s3, s5
	s_ashr_i32 s18, s15, 31
	s_add_u32 s2, s20, s15
	s_addc_u32 s3, s21, s18
	v_cndmask_b32_e32 v3, s13, v2, vcc_lo
	v_ashrrev_i32_e32 v2, 31, v1
	s_lshl_b32 s4, s14, 3
	s_delay_alu instid0(SALU_CYCLE_1) | instskip(NEXT) | instid1(VALU_DEP_2)
	s_ashr_i32 s5, s4, 31
	v_ashrrev_i32_e32 v4, 31, v3
	s_delay_alu instid0(VALU_DEP_2) | instskip(SKIP_1) | instid1(SALU_CYCLE_1)
	v_lshlrev_b64 v[1:2], 2, v[1:2]
	s_lshl_b64 s[4:5], s[4:5], 2
	s_add_u32 s4, s16, s4
	s_delay_alu instid0(VALU_DEP_2) | instskip(SKIP_1) | instid1(VALU_DEP_2)
	v_lshlrev_b64 v[3:4], 2, v[3:4]
	s_addc_u32 s5, s25, s5
	v_add_co_u32 v1, vcc_lo, s16, v1
	v_add_co_ci_u32_e32 v2, vcc_lo, s25, v2, vcc_lo
	s_delay_alu instid0(VALU_DEP_3) | instskip(NEXT) | instid1(VALU_DEP_4)
	v_add_co_u32 v3, vcc_lo, s16, v3
	v_add_co_ci_u32_e32 v4, vcc_lo, s25, v4, vcc_lo
	s_clause 0x1
	global_load_b32 v5, v[1:2], off
	global_load_b32 v6, v[3:4], off
	s_or_b32 s6, s12, 32
	s_delay_alu instid0(SALU_CYCLE_1) | instskip(SKIP_2) | instid1(SALU_CYCLE_1)
	s_ashr_i32 s7, s6, 5
	s_cmp_lt_i32 s6, s24
	s_cselect_b32 s6, s7, s13
	s_ashr_i32 s7, s6, 31
	s_delay_alu instid0(SALU_CYCLE_1) | instskip(NEXT) | instid1(SALU_CYCLE_1)
	s_lshl_b64 s[6:7], s[6:7], 2
	s_add_u32 s6, s16, s6
	s_addc_u32 s7, s25, s7
	s_or_b32 s8, s12, 64
	s_delay_alu instid0(SALU_CYCLE_1) | instskip(SKIP_2) | instid1(SALU_CYCLE_1)
	s_ashr_i32 s9, s8, 5
	s_cmp_lt_i32 s8, s24
	s_cselect_b32 s8, s9, s13
	s_ashr_i32 s9, s8, 31
	s_delay_alu instid0(SALU_CYCLE_1) | instskip(NEXT) | instid1(SALU_CYCLE_1)
	s_lshl_b64 s[8:9], s[8:9], 2
	s_add_u32 s8, s16, s8
	s_addc_u32 s9, s25, s9
	;; [unrolled: 10-line block ×5, first 2 shown]
	s_clause 0x5
	s_load_b32 s28, s[4:5], 0x0
	s_load_b32 s29, s[6:7], 0x0
	;; [unrolled: 1-line block ×6, first 2 shown]
	s_mov_b32 s4, 0
	s_delay_alu instid0(SALU_CYCLE_1)
	s_mov_b32 s5, s4
	s_mov_b32 s6, s4
	;; [unrolled: 1-line block ×7, first 2 shown]
	s_delay_alu instid0(SALU_CYCLE_1)
	v_dual_mov_b32 v118, s11 :: v_dual_mov_b32 v117, s10
	v_dual_mov_b32 v116, s9 :: v_dual_mov_b32 v115, s8
	v_mov_b32_e32 v113, s6
	v_dual_mov_b32 v111, s4 :: v_dual_mov_b32 v114, s7
	v_mov_b32_e32 v112, s5
	s_waitcnt vmcnt(1)
	v_mad_i64_i32 v[1:2], null, v5, s17, s[2:3]
	v_lshlrev_b32_e32 v5, 4, v68
	s_waitcnt vmcnt(0)
	v_mad_i64_i32 v[3:4], null, v6, s17, s[2:3]
	s_or_b32 s2, s12, 0xc0
	s_delay_alu instid0(SALU_CYCLE_1) | instskip(NEXT) | instid1(VALU_DEP_3)
	s_ashr_i32 s3, s2, 5
	v_add_co_u32 v1, vcc_lo, v1, v5
	s_delay_alu instid0(VALU_DEP_4) | instskip(NEXT) | instid1(VALU_DEP_3)
	v_add_co_ci_u32_e32 v2, vcc_lo, 0, v2, vcc_lo
	v_add_co_u32 v3, vcc_lo, v3, v5
	s_delay_alu instid0(VALU_DEP_4)
	v_add_co_ci_u32_e32 v4, vcc_lo, 0, v4, vcc_lo
	s_clause 0xf
	global_load_b128 v[17:20], v[1:2], off
	global_load_b128 v[21:24], v[1:2], off offset:512
	global_load_b128 v[25:28], v[3:4], off offset:256
	;; [unrolled: 1-line block ×15, first 2 shown]
	s_cmp_lt_i32 s2, s24
	v_add_nc_u32_e32 v1, -9, v68
	s_cselect_b32 s2, s3, s13
	v_cmp_gt_u32_e32 vcc_lo, 9, v68
	s_ashr_i32 s3, s2, 31
	v_lshlrev_b32_e32 v2, 5, v68
	s_lshl_b64 s[2:3], s[2:3], 2
	s_delay_alu instid0(SALU_CYCLE_1)
	s_add_u32 s2, s16, s2
	s_addc_u32 s3, s25, s3
	s_or_b32 s20, s12, 0xe0
	v_cndmask_b32_e32 v1, v1, v68, vcc_lo
	s_ashr_i32 s21, s20, 5
	s_cmp_lt_i32 s20, s24
	s_cselect_b32 s20, s21, s13
	s_delay_alu instid0(VALU_DEP_1)
	v_lshlrev_b32_e32 v149, 6, v1
	s_ashr_i32 s21, s20, 31
	v_lshl_or_b32 v1, v69, 9, v2
	s_lshl_b64 s[4:5], s[20:21], 2
	ds_load_b128 v[119:122], v149
	ds_load_b128 v[123:126], v149 offset:1024
	s_add_u32 s4, s16, s4
	s_addc_u32 s5, s25, s5
	ds_load_b128 v[127:130], v149 offset:2048
	ds_load_b128 v[131:134], v149 offset:3072
	s_clause 0x1
	s_load_b32 s2, s[2:3], 0x0
	s_load_b32 s3, s[4:5], 0x0
	s_add_u32 s6, s22, s15
	s_addc_u32 s7, s23, s18
	v_add_co_u32 v135, s6, s6, v1
	s_delay_alu instid0(VALU_DEP_1) | instskip(SKIP_1) | instid1(VALU_DEP_1)
	v_add_co_ci_u32_e64 v136, null, s7, 0, s6
	s_waitcnt lgkmcnt(0)
	v_mad_i64_i32 v[1:2], null, s28, s17, v[135:136]
	v_mad_i64_i32 v[3:4], null, s29, s17, v[135:136]
	;; [unrolled: 1-line block ×6, first 2 shown]
	s_clause 0x9
	global_load_b128 v[49:52], v[1:2], off
	global_load_b128 v[53:56], v[1:2], off offset:16
	global_load_b128 v[41:44], v[3:4], off
	global_load_b128 v[45:48], v[3:4], off offset:16
	;; [unrolled: 2-line block ×5, first 2 shown]
	v_mad_i64_i32 v[145:146], null, s2, s17, v[135:136]
	v_mad_i64_i32 v[147:148], null, s3, s17, v[135:136]
	s_waitcnt vmcnt(24)
	v_wmma_f32_16x16x16_f16 v[135:142], v[17:24], v[119:126], v[111:118]
	s_waitcnt vmcnt(22)
	v_wmma_f32_16x16x16_f16 v[111:118], v[25:32], v[119:126], v[111:118]
	s_clause 0x3
	global_load_b128 v[17:20], v[143:144], off
	global_load_b128 v[21:24], v[143:144], off offset:16
	global_load_b128 v[25:28], v[145:146], off
	global_load_b128 v[29:32], v[145:146], off offset:16
	v_and_b32_e32 v119, 0xe0, v0
	s_waitcnt vmcnt(24)
	v_wmma_f32_16x16x16_f16 v[135:142], v[57:64], v[127:134], v[135:142]
	s_clause 0x1
	global_load_b128 v[57:60], v[147:148], off
	global_load_b128 v[61:64], v[147:148], off offset:16
	s_waitcnt vmcnt(24)
	v_wmma_f32_16x16x16_f16 v[111:118], v[71:78], v[127:134], v[111:118]
	ds_load_b128 v[71:74], v149 offset:4096
	ds_load_b128 v[75:78], v149 offset:5120
	v_add_nc_u32_e32 v128, s12, v119
	ds_load_b128 v[119:122], v149 offset:6144
	ds_load_b128 v[123:126], v149 offset:7168
	v_mbcnt_lo_u32_b32 v127, -1, 0
	s_waitcnt vmcnt(0) lgkmcnt(0)
	s_barrier
	v_or_b32_e32 v128, v128, v66
	buffer_gl0_inv
	v_xor_b32_e32 v129, 16, v127
	v_or_b32_e32 v130, 4, v128
	v_or_b32_e32 v131, 6, v128
	s_delay_alu instid0(VALU_DEP_3) | instskip(SKIP_4) | instid1(VALU_DEP_4)
	v_cmp_gt_i32_e32 vcc_lo, 32, v129
	v_or_b32_e32 v132, 8, v128
	v_or_b32_e32 v133, 10, v128
	v_cmp_gt_i32_e64 s3, s24, v130
	v_cmp_gt_i32_e64 s4, s24, v131
	;; [unrolled: 1-line block ×3, first 2 shown]
	v_wmma_f32_16x16x16_f16 v[135:142], v[79:86], v[71:78], v[135:142]
	v_wmma_f32_16x16x16_f16 v[111:118], v[87:94], v[71:78], v[111:118]
	v_or_b32_e32 v79, 12, v128
	v_or_b32_e32 v80, 14, v128
	v_cmp_gt_i32_e64 s6, s24, v133
	v_wmma_f32_16x16x16_f16 v[135:142], v[95:102], v[119:126], v[135:142]
	v_wmma_f32_16x16x16_f16 v[111:118], v[103:110], v[119:126], v[111:118]
	v_cndmask_b32_e32 v127, v127, v129, vcc_lo
	v_or_b32_e32 v129, 2, v128
	v_cmp_gt_i32_e32 vcc_lo, s24, v128
	s_delay_alu instid0(VALU_DEP_4) | instskip(SKIP_1) | instid1(VALU_DEP_4)
	v_dual_mul_f32 v87, s19, v136 :: v_dual_mul_f32 v94, s19, v113
	v_mul_f32_e32 v88, s19, v135
	v_cmp_gt_i32_e64 s2, s24, v129
	v_mul_f32_e32 v78, s19, v138
	v_mul_f32_e32 v86, s19, v137
	;; [unrolled: 1-line block ×3, first 2 shown]
	v_cndmask_b32_e32 v88, 0xff7fffff, v88, vcc_lo
	v_cndmask_b32_e64 v87, 0xff7fffff, v87, s2
	v_dual_mul_f32 v77, s19, v139 :: v_dual_mul_f32 v90, s19, v117
	v_cndmask_b32_e64 v86, 0xff7fffff, v86, s3
	v_cndmask_b32_e64 v78, 0xff7fffff, v78, s4
	s_delay_alu instid0(VALU_DEP_4)
	v_max3_f32 v87, v88, 0xff7fffff, v87
	v_or_b32_e32 v81, 16, v128
	v_or_b32_e32 v82, 18, v128
	v_dual_mul_f32 v74, s19, v142 :: v_dual_mul_f32 v75, s19, v141
	v_mul_f32_e32 v96, s19, v111
	v_cndmask_b32_e64 v77, 0xff7fffff, v77, s5
	v_cndmask_b32_e64 v76, 0xff7fffff, v76, s6
	v_max3_f32 v78, v87, v86, v78
	v_cmp_gt_i32_e64 s7, s24, v79
	v_cmp_gt_i32_e64 s8, s24, v80
	v_or_b32_e32 v83, 20, v128
	v_or_b32_e32 v84, 22, v128
	v_mul_f32_e32 v95, s19, v112
	v_cndmask_b32_e64 v75, 0xff7fffff, v75, s7
	v_cndmask_b32_e64 v74, 0xff7fffff, v74, s8
	v_max3_f32 v76, v78, v77, v76
	v_cmp_gt_i32_e64 s9, s24, v81
	v_cmp_gt_i32_e64 s10, s24, v82
	v_or_b32_e32 v85, 24, v128
	v_or_b32_e32 v71, 26, v128
	;; [unrolled: 8-line block ×3, first 2 shown]
	v_dual_mul_f32 v91, s19, v116 :: v_dual_mul_f32 v92, s19, v115
	v_cndmask_b32_e64 v75, 0xff7fffff, v94, s11
	v_cndmask_b32_e64 v76, 0xff7fffff, v93, s12
	v_max3_f32 v74, v74, v77, v78
	v_cmp_gt_i32_e64 s13, s24, v85
	v_cmp_gt_i32_e64 s15, s24, v71
	v_mul_f32_e32 v89, s19, v118
	v_cmp_gt_i32_e64 s16, s24, v72
	v_max3_f32 v74, v74, v75, v76
	v_cndmask_b32_e64 v77, 0xff7fffff, v92, s13
	v_cndmask_b32_e64 v71, 0xff7fffff, v91, s15
	v_cmp_gt_i32_e64 s17, s24, v73
	v_cndmask_b32_e64 v72, 0xff7fffff, v90, s16
	s_delay_alu instid0(VALU_DEP_3) | instskip(SKIP_1) | instid1(VALU_DEP_4)
	v_max3_f32 v71, v74, v77, v71
	v_lshlrev_b32_e32 v74, 2, v127
	v_cndmask_b32_e64 v73, 0xff7fffff, v89, s17
	s_delay_alu instid0(VALU_DEP_1) | instskip(SKIP_3) | instid1(VALU_DEP_1)
	v_max3_f32 v71, v71, v72, v73
	ds_bpermute_b32 v72, v74, v71
	s_waitcnt lgkmcnt(0)
	v_max_f32_e32 v72, v72, v72
	v_max_f32_e32 v71, v71, v72
	s_delay_alu instid0(VALU_DEP_1) | instskip(SKIP_4) | instid1(VALU_DEP_4)
	v_fma_f32 v72, s19, v135, -v71
	v_fma_f32 v73, s19, v136, -v71
	;; [unrolled: 1-line block ×5, first 2 shown]
	v_dual_mul_f32 v72, 0x3fb8aa3b, v72 :: v_dual_mul_f32 v73, 0x3fb8aa3b, v73
	s_delay_alu instid0(VALU_DEP_3) | instskip(SKIP_1) | instid1(VALU_DEP_3)
	v_dual_mul_f32 v75, 0x3fb8aa3b, v75 :: v_dual_mul_f32 v76, 0x3fb8aa3b, v76
	v_fma_f32 v80, s19, v141, -v71
	v_exp_f32_e32 v72, v72
	s_delay_alu instid0(VALU_DEP_3) | instskip(NEXT) | instid1(VALU_DEP_2)
	v_exp_f32_e32 v73, v73
	v_exp_f32_e32 v75, v75
	;; [unrolled: 1-line block ×3, first 2 shown]
	v_mul_f32_e32 v82, 0x3fb8aa3b, v80
	s_delay_alu instid0(VALU_DEP_1) | instskip(SKIP_4) | instid1(TRANS32_DEP_3)
	v_exp_f32_e32 v84, v82
	v_cndmask_b32_e32 v79, 0, v72, vcc_lo
	v_fma_f32 v72, s19, v140, -v71
	v_mul_f32_e32 v77, 0x3fb8aa3b, v77
	v_cndmask_b32_e64 v78, 0, v73, s2
	v_cndmask_b32_e64 v81, 0, v75, s3
	s_delay_alu instid0(VALU_DEP_4) | instskip(NEXT) | instid1(VALU_DEP_4)
	v_dual_add_f32 v73, 0, v79 :: v_dual_mul_f32 v72, 0x3fb8aa3b, v72
	v_exp_f32_e32 v77, v77
	v_cndmask_b32_e64 v80, 0, v76, s4
	s_delay_alu instid0(TRANS32_DEP_2) | instskip(NEXT) | instid1(VALU_DEP_3)
	v_cndmask_b32_e64 v85, 0, v84, s7
	v_add_f32_e32 v73, v73, v78
	v_exp_f32_e32 v72, v72
	v_cmp_gt_u32_e64 s2, 16, v70
	s_delay_alu instid0(VALU_DEP_2) | instskip(NEXT) | instid1(TRANS32_DEP_2)
	v_add_f32_e32 v73, v73, v81
	v_cndmask_b32_e64 v83, 0, v77, s5
	s_delay_alu instid0(VALU_DEP_2) | instskip(SKIP_3) | instid1(VALU_DEP_1)
	v_add_f32_e32 v73, v73, v80
	s_waitcnt_depctr 0xfff
	v_cndmask_b32_e64 v82, 0, v72, s6
	v_add_f32_e32 v72, v73, v83
	v_add_f32_e32 v72, v72, v82
	s_delay_alu instid0(VALU_DEP_1)
	v_add_f32_e32 v72, v72, v85
	v_fma_f32 v76, s19, v111, -v71
	v_fma_f32 v75, s19, v142, -v71
	;; [unrolled: 1-line block ×5, first 2 shown]
	s_delay_alu instid0(VALU_DEP_4) | instskip(NEXT) | instid1(VALU_DEP_3)
	v_dual_mul_f32 v76, 0x3fb8aa3b, v76 :: v_dual_mul_f32 v75, 0x3fb8aa3b, v75
	v_mul_f32_e32 v86, 0x3fb8aa3b, v86
	s_delay_alu instid0(VALU_DEP_2) | instskip(NEXT) | instid1(VALU_DEP_2)
	v_exp_f32_e32 v76, v76
	v_exp_f32_e32 v75, v75
	s_delay_alu instid0(VALU_DEP_1) | instskip(NEXT) | instid1(TRANS32_DEP_3)
	v_exp_f32_e32 v88, v86
	v_cndmask_b32_e64 v87, 0, v76, s9
	v_fma_f32 v76, s19, v116, -v71
	v_mul_f32_e32 v77, 0x3fb8aa3b, v77
	s_waitcnt_depctr 0xfff
	v_cndmask_b32_e64 v84, 0, v75, s8
	v_fma_f32 v75, s19, v115, -v71
	v_cndmask_b32_e64 v88, 0, v88, s12
	v_mul_f32_e32 v76, 0x3fb8aa3b, v76
	v_exp_f32_e32 v77, v77
	v_add_f32_e32 v72, v72, v84
	s_delay_alu instid0(VALU_DEP_2) | instskip(NEXT) | instid1(VALU_DEP_1)
	v_exp_f32_e32 v76, v76
	v_add_f32_e32 v72, v72, v87
	s_waitcnt_depctr 0xfff
	v_cndmask_b32_e64 v86, 0, v77, s10
	v_mul_f32_e32 v73, 0x3fb8aa3b, v73
	v_fma_f32 v77, s19, v117, -v71
	v_cndmask_b32_e64 v90, 0, v76, s15
	s_delay_alu instid0(VALU_DEP_4) | instskip(NEXT) | instid1(VALU_DEP_4)
	v_add_f32_e32 v72, v72, v86
	v_exp_f32_e32 v73, v73
	s_waitcnt_depctr 0xfff
	v_cndmask_b32_e64 v89, 0, v73, s11
	s_delay_alu instid0(VALU_DEP_1) | instskip(NEXT) | instid1(VALU_DEP_1)
	v_dual_mul_f32 v75, 0x3fb8aa3b, v75 :: v_dual_add_f32 v72, v72, v89
	v_exp_f32_e32 v75, v75
	v_mul_f32_e32 v73, 0x3fb8aa3b, v77
	v_fma_f32 v77, s19, v118, -v71
	s_delay_alu instid0(VALU_DEP_3) | instskip(NEXT) | instid1(VALU_DEP_3)
	v_add_f32_e32 v72, v72, v88
	v_exp_f32_e32 v73, v73
	s_waitcnt_depctr 0xfff
	v_cndmask_b32_e64 v91, 0, v75, s13
	s_delay_alu instid0(VALU_DEP_1) | instskip(NEXT) | instid1(VALU_DEP_1)
	v_dual_mul_f32 v75, 0x3fb8aa3b, v77 :: v_dual_add_f32 v72, v72, v91
	v_exp_f32_e32 v75, v75
	v_cndmask_b32_e64 v93, 0, v73, s16
	s_delay_alu instid0(VALU_DEP_2) | instskip(NEXT) | instid1(VALU_DEP_1)
	v_add_f32_e32 v72, v72, v90
	v_add_f32_e32 v72, v72, v93
	s_waitcnt_depctr 0xfff
	v_cndmask_b32_e64 v92, 0, v75, s17
	s_delay_alu instid0(VALU_DEP_1)
	v_add_f32_e32 v72, v72, v92
	ds_bpermute_b32 v73, v74, v72
	s_and_saveexec_b32 s3, s2
	s_cbranch_execz .LBB1286_12
; %bb.11:
	v_mul_u32_u24_e32 v70, 0x44, v69
	s_waitcnt lgkmcnt(0)
	v_add_f32_e32 v72, v72, v73
	s_delay_alu instid0(VALU_DEP_2) | instskip(NEXT) | instid1(VALU_DEP_1)
	v_lshl_add_u32 v70, v68, 2, v70
	v_add_nc_u32_e32 v70, 0x4000, v70
	ds_store_2addr_b32 v70, v71, v72 offset1:136
.LBB1286_12:
	s_or_b32 exec_lo, exec_lo, s3
	v_lshlrev_b32_e32 v70, 2, v68
	s_load_b32 s35, s[0:1], 0x94
	s_waitcnt lgkmcnt(0)
	s_barrier
	buffer_gl0_inv
	v_add_nc_u32_e32 v98, 0x4000, v70
	v_cmp_eq_u32_e32 vcc_lo, 1, v69
	v_cmp_eq_u32_e64 s3, 2, v69
	v_cmp_eq_u32_e64 s4, 3, v69
	;; [unrolled: 1-line block ×3, first 2 shown]
	ds_load_2addr_b32 v[70:71], v98 offset1:17
	ds_load_2addr_b32 v[72:73], v98 offset0:34 offset1:51
	ds_load_2addr_b32 v[74:75], v98 offset0:68 offset1:85
	;; [unrolled: 1-line block ×3, first 2 shown]
	v_cmp_eq_u32_e64 s6, 5, v69
	v_cmp_eq_u32_e64 s7, 7, v69
	s_waitcnt lgkmcnt(3)
	v_max3_f32 v76, v70, 0xff7fffff, v71
	s_waitcnt lgkmcnt(2)
	s_delay_alu instid0(VALU_DEP_1) | instskip(SKIP_1) | instid1(VALU_DEP_1)
	v_max3_f32 v76, v76, v72, v73
	s_waitcnt lgkmcnt(1)
	v_max3_f32 v76, v76, v74, v75
	s_waitcnt lgkmcnt(0)
	s_delay_alu instid0(VALU_DEP_1) | instskip(NEXT) | instid1(VALU_DEP_1)
	v_max3_f32 v76, v76, v94, v95
	v_sub_f32_e32 v77, v71, v76
	ds_load_2addr_b32 v[96:97], v98 offset0:136 offset1:153
	v_sub_f32_e32 v74, v74, v76
	v_sub_f32_e32 v70, v70, v76
	v_sub_f32_e32 v94, v94, v76
	v_dual_sub_f32 v72, v72, v76 :: v_dual_mul_f32 v77, 0x3fb8aa3b, v77
	s_delay_alu instid0(VALU_DEP_4) | instskip(NEXT) | instid1(VALU_DEP_4)
	v_mul_f32_e32 v103, 0x3fb8aa3b, v74
	v_mul_f32_e32 v99, 0x3fb8aa3b, v70
	ds_load_2addr_b32 v[70:71], v98 offset0:170 offset1:187
	v_dual_mul_f32 v101, 0x3fb8aa3b, v72 :: v_dual_mul_f32 v94, 0x3fb8aa3b, v94
	v_exp_f32_e32 v102, v77
	v_exp_f32_e32 v99, v99
	s_delay_alu instid0(VALU_DEP_1) | instskip(NEXT) | instid1(VALU_DEP_1)
	v_exp_f32_e32 v101, v101
	v_exp_f32_e32 v94, v94
	s_waitcnt lgkmcnt(1)
	s_delay_alu instid0(TRANS32_DEP_3)
	v_fma_f32 v77, v99, v96, 0
	v_sub_f32_e32 v100, v73, v76
	ds_load_2addr_b32 v[72:73], v98 offset0:204 offset1:221
	v_fmac_f32_e32 v77, v102, v97
	v_exp_f32_e32 v97, v103
	s_waitcnt lgkmcnt(1)
	s_delay_alu instid0(VALU_DEP_1)
	v_dual_fmac_f32 v77, v101, v70 :: v_dual_sub_f32 v96, v75, v76
	ds_load_2addr_b32 v[74:75], v98 offset0:238 offset1:255
	v_sub_f32_e32 v70, v95, v76
	s_waitcnt lgkmcnt(0)
	s_barrier
	v_mul_f32_e32 v96, 0x3fb8aa3b, v96
	buffer_gl0_inv
	v_exp_f32_e32 v95, v96
	v_mul_f32_e32 v100, 0x3fb8aa3b, v100
	s_delay_alu instid0(VALU_DEP_1) | instskip(SKIP_3) | instid1(VALU_DEP_2)
	v_exp_f32_e32 v100, v100
	s_waitcnt_depctr 0xfff
	v_dual_fmac_f32 v77, v100, v71 :: v_dual_mul_f32 v70, 0x3fb8aa3b, v70
	v_cndmask_b32_e32 v71, v99, v102, vcc_lo
	v_fmac_f32_e32 v77, v97, v72
	s_delay_alu instid0(VALU_DEP_3) | instskip(NEXT) | instid1(VALU_DEP_1)
	v_exp_f32_e32 v96, v70
	v_fmac_f32_e32 v77, v95, v73
	s_delay_alu instid0(VALU_DEP_1) | instskip(SKIP_2) | instid1(VALU_DEP_1)
	v_fmac_f32_e32 v77, v94, v74
	s_waitcnt_depctr 0xfff
	v_fmac_f32_e32 v77, v96, v75
	v_add_f32_e32 v74, 0x358637bd, v77
	s_delay_alu instid0(VALU_DEP_1) | instskip(SKIP_1) | instid1(VALU_DEP_2)
	v_div_scale_f32 v98, null, v74, v74, 1.0
	v_div_scale_f32 v99, vcc_lo, 1.0, v74, 1.0
	v_rcp_f32_e32 v103, v98
	s_waitcnt_depctr 0xfff
	v_fma_f32 v70, -v98, v103, 1.0
	s_delay_alu instid0(VALU_DEP_1) | instskip(SKIP_2) | instid1(VALU_DEP_2)
	v_fmac_f32_e32 v103, v70, v103
	v_cndmask_b32_e64 v70, v71, v101, s3
	v_cmp_eq_u32_e64 s3, 6, v69
	v_cndmask_b32_e64 v71, v70, v100, s4
	s_delay_alu instid0(VALU_DEP_4) | instskip(NEXT) | instid1(VALU_DEP_2)
	v_dual_mul_f32 v101, v99, v103 :: v_dual_lshlrev_b32 v70, 2, v66
	v_cndmask_b32_e64 v71, v71, v97, s5
	s_delay_alu instid0(VALU_DEP_2) | instskip(NEXT) | instid1(VALU_DEP_3)
	v_or_b32_e32 v72, 1, v70
	v_fma_f32 v100, -v98, v101, v99
	v_cmp_eq_u32_e64 s4, 1, v70
	v_cmp_eq_u32_e64 s5, 2, v70
	v_cndmask_b32_e64 v95, v71, v95, s6
	v_or_b32_e32 v71, 3, v70
	v_fmac_f32_e32 v101, v100, v103
	v_cmp_eq_u32_e64 s9, 1, v72
	v_cmp_eq_u32_e64 s12, 2, v72
	v_cndmask_b32_e64 v94, v95, v94, s3
	v_cmp_eq_u32_e64 s11, 1, v71
	v_fma_f32 v97, -v98, v101, v99
	v_cmp_eq_u32_e64 s16, 2, v71
	v_cmp_eq_u32_e64 s13, 3, v72
	v_cndmask_b32_e64 v94, v94, v96, s7
	v_cmp_eq_u32_e64 s18, 3, v71
	v_div_fmas_f32 v95, v97, v103, v101
	v_cmp_eq_u32_e32 vcc_lo, 3, v70
	v_cmp_eq_u32_e64 s3, 4, v70
	v_cmp_eq_u32_e64 s19, 4, v72
	;; [unrolled: 1-line block ×3, first 2 shown]
	v_div_fixup_f32 v95, v95, v74, 1.0
	v_lshlrev_b32_e32 v73, 6, v68
	v_cmp_eq_u32_e64 s6, 5, v70
	v_cmp_eq_u32_e64 s20, 5, v72
	;; [unrolled: 1-line block ×3, first 2 shown]
	v_mul_f32_e32 v102, v94, v95
	v_lshl_or_b32 v75, v69, 11, v73
	v_or_b32_e32 v69, 2, v70
	v_cmp_eq_u32_e64 s25, 6, v72
	v_cmp_eq_u32_e64 s27, 6, v71
	v_fma_mixlo_f16 v94, v102, v79, 0
	v_fma_mixlo_f16 v95, v102, v81, 0
	v_fma_mixlo_f16 v96, v102, v83, 0
	v_fma_mixlo_f16 v97, v102, v85, 0
	v_fma_mixlo_f16 v98, v102, v87, 0
	v_fma_mixlo_f16 v99, v102, v89, 0
	v_fma_mixlo_f16 v100, v102, v91, 0
	v_fma_mixlo_f16 v101, v102, v93, 0
	v_lshl_or_b32 v74, v66, 4, v75
	v_fma_mixhi_f16 v94, v102, v78, 0
	v_fma_mixhi_f16 v95, v102, v80, 0
	;; [unrolled: 1-line block ×8, first 2 shown]
	ds_store_b128 v74, v[94:97]
	ds_store_b128 v74, v[98:101] offset:1024
	s_waitcnt lgkmcnt(0)
	s_barrier
	buffer_gl0_inv
	ds_load_b128 v[78:81], v75
	ds_load_b128 v[82:85], v75 offset:16
	ds_load_b128 v[86:89], v75 offset:1024
	;; [unrolled: 1-line block ×3, first 2 shown]
	v_cmp_eq_u32_e64 s10, 1, v69
	v_cmp_eq_u32_e64 s15, 2, v69
	;; [unrolled: 1-line block ×11, first 2 shown]
	s_waitcnt lgkmcnt(3)
	v_lshrrev_b32_e32 v94, 16, v78
	s_waitcnt lgkmcnt(2)
	v_lshrrev_b32_e32 v98, 16, v82
	;; [unrolled: 2-line block ×4, first 2 shown]
	v_lshrrev_b32_e32 v95, 16, v79
	v_cndmask_b32_e64 v110, v78, v94, s4
	v_cndmask_b32_e64 v111, v82, v98, s4
	;; [unrolled: 1-line block ×8, first 2 shown]
	v_lshrrev_b32_e32 v99, 16, v83
	v_cndmask_b32_e64 v94, v86, v102, s4
	v_cndmask_b32_e64 v98, v90, v106, s4
	;; [unrolled: 1-line block ×15, first 2 shown]
	v_lshrrev_b32_e32 v103, 16, v87
	v_lshrrev_b32_e32 v107, 16, v91
	v_cndmask_b32_e64 v113, v115, v83, s15
	v_cndmask_b32_e64 v82, v94, v87, s5
	;; [unrolled: 1-line block ×7, first 2 shown]
	v_cndmask_b32_e32 v90, v102, v95, vcc_lo
	v_cndmask_b32_e32 v102, v106, v99, vcc_lo
	v_cndmask_b32_e64 v106, v110, v95, s13
	v_cndmask_b32_e64 v110, v111, v99, s13
	;; [unrolled: 1-line block ×4, first 2 shown]
	v_lshrrev_b32_e32 v96, 16, v80
	v_lshrrev_b32_e32 v100, 16, v84
	v_cndmask_b32_e64 v111, v112, v95, s17
	v_cndmask_b32_e64 v112, v113, v99, s17
	v_cndmask_b32_e32 v82, v82, v103, vcc_lo
	v_cndmask_b32_e32 v83, v83, v107, vcc_lo
	v_cndmask_b32_e64 v94, v94, v103, s13
	v_cndmask_b32_e64 v90, v90, v80, s3
	;; [unrolled: 1-line block ×7, first 2 shown]
	v_lshrrev_b32_e32 v104, 16, v88
	v_cndmask_b32_e64 v106, v111, v80, s21
	v_cndmask_b32_e64 v110, v112, v84, s21
	;; [unrolled: 1-line block ×11, first 2 shown]
	v_lshrrev_b32_e32 v97, 16, v81
	v_lshrrev_b32_e32 v101, 16, v85
	v_cndmask_b32_e64 v99, v106, v96, s23
	v_cndmask_b32_e64 v102, v110, v100, s23
	v_cndmask_b32_e64 v83, v83, v104, s20
	v_cndmask_b32_e64 v94, v94, v81, s25
	v_cndmask_b32_e64 v95, v95, v85, s25
	v_cndmask_b32_e64 v78, v78, v81, s27
	v_cndmask_b32_e64 v79, v79, v85, s27
	v_lshrrev_b32_e32 v105, 16, v89
	v_cndmask_b32_e64 v80, v80, v104, s6
	v_cndmask_b32_e64 v84, v84, v81, s7
	;; [unrolled: 1-line block ×16, first 2 shown]
	v_perm_b32 v81, v79, v78, 0x5040100
	v_perm_b32 v79, v95, v85, 0x5040100
	v_cndmask_b32_e64 v78, v119, v91, s15
	v_cndmask_b32_e64 v85, v117, v91, s12
	v_cndmask_b32_e64 v96, v80, v105, s8
	v_perm_b32 v80, v94, v90, 0x5040100
	v_cndmask_b32_e64 v90, v98, v103, s17
	v_cndmask_b32_e64 v86, v86, v103, s18
	;; [unrolled: 1-line block ×5, first 2 shown]
	v_lshrrev_b32_e32 v108, 16, v92
	v_cndmask_b32_e64 v90, v90, v88, s21
	v_cndmask_b32_e64 v86, v86, v88, s22
	;; [unrolled: 1-line block ×11, first 2 shown]
	v_lshrrev_b32_e32 v109, 16, v93
	v_cndmask_b32_e64 v82, v82, v93, s7
	v_cndmask_b32_e64 v88, v88, v89, s26
	;; [unrolled: 1-line block ×12, first 2 shown]
	v_perm_b32 v78, v84, v83, 0x5040100
	v_perm_b32 v85, v87, v86, 0x5040100
	;; [unrolled: 1-line block ×5, first 2 shown]
	s_mul_i32 s8, s33, 9
	s_mov_b32 s3, exec_lo
	ds_store_b128 v74, v[78:81]
	ds_store_b128 v74, v[82:85] offset:1024
	v_cmpx_gt_u32_e32 9, v0
	s_cbranch_execz .LBB1286_14
; %bb.13:
	s_mul_i32 s4, s8, s34
	s_delay_alu instid0(SALU_CYCLE_1) | instskip(SKIP_1) | instid1(VALU_DEP_1)
	v_add3_u32 v68, s4, s31, v68
	s_load_b128 s[4:7], s[0:1], 0x58
	v_mad_u64_u32 v[78:79], null, v68, s35, s[14:15]
	s_delay_alu instid0(VALU_DEP_1) | instskip(NEXT) | instid1(VALU_DEP_1)
	v_ashrrev_i32_e32 v79, 31, v78
	v_lshlrev_b64 v[78:79], 2, v[78:79]
	s_waitcnt lgkmcnt(0)
	s_delay_alu instid0(VALU_DEP_1) | instskip(NEXT) | instid1(VALU_DEP_2)
	v_add_co_u32 v80, vcc_lo, s6, v78
	v_add_co_ci_u32_e32 v81, vcc_lo, s7, v79, vcc_lo
	v_add_co_u32 v78, vcc_lo, s4, v78
	v_add_co_ci_u32_e32 v79, vcc_lo, s5, v79, vcc_lo
	global_store_b32 v[80:81], v76, off
	global_store_b32 v[78:79], v77, off
.LBB1286_14:
	s_or_b32 exec_lo, exec_lo, s3
	s_waitcnt lgkmcnt(0)
	s_waitcnt_vscnt null, 0x0
	s_barrier
	buffer_gl0_inv
	ds_load_b128 v[84:87], v73
	ds_load_b128 v[88:91], v73 offset:16
	ds_load_b128 v[96:99], v73 offset:2064
	;; [unrolled: 1-line block ×5, first 2 shown]
	v_cmp_eq_u32_e32 vcc_lo, 1, v70
	v_mov_b32_e32 v76, 0
	ds_load_b128 v[112:115], v73 offset:6160
	ds_load_b128 v[108:111], v73 offset:6144
	ds_load_b128 v[120:123], v73 offset:8208
	ds_load_b128 v[116:119], v73 offset:8192
	v_cmp_eq_u32_e64 s4, 1, v69
	v_cmp_eq_u32_e64 s3, 1, v72
	;; [unrolled: 1-line block ×3, first 2 shown]
	v_mov_b32_e32 v77, v76
	v_mov_b32_e32 v78, v76
	;; [unrolled: 1-line block ×7, first 2 shown]
	v_cmp_eq_u32_e64 s6, 3, v72
	v_cmp_eq_u32_e64 s7, 7, v72
	s_waitcnt lgkmcnt(8)
	s_delay_alu instid0(VALU_DEP_3)
	v_wmma_f32_16x16x16_f16 v[76:83], v[49:56], v[84:91], v[76:83]
	ds_load_b128 v[53:56], v73 offset:10256
	ds_load_b128 v[49:52], v73 offset:10240
	s_waitcnt lgkmcnt(8)
	v_wmma_f32_16x16x16_f16 v[76:83], v[41:48], v[92:99], v[76:83]
	ds_load_b128 v[45:48], v73 offset:12304
	ds_load_b128 v[41:44], v73 offset:12288
	s_waitcnt lgkmcnt(8)
	;; [unrolled: 4-line block ×3, first 2 shown]
	s_barrier
	buffer_gl0_inv
	v_wmma_f32_16x16x16_f16 v[76:83], v[1:8], v[108:115], v[76:83]
	s_delay_alu instid0(VALU_DEP_1) | instskip(NEXT) | instid1(VALU_DEP_1)
	v_wmma_f32_16x16x16_f16 v[76:83], v[9:16], v[116:123], v[76:83]
	v_wmma_f32_16x16x16_f16 v[76:83], v[17:24], v[49:56], v[76:83]
	s_delay_alu instid0(VALU_DEP_1) | instskip(NEXT) | instid1(VALU_DEP_1)
	v_wmma_f32_16x16x16_f16 v[76:83], v[25:32], v[41:48], v[76:83]
	v_wmma_f32_16x16x16_f16 v[76:83], v[57:64], v[33:40], v[76:83]
	s_delay_alu instid0(VALU_DEP_1) | instskip(NEXT) | instid1(VALU_DEP_2)
	v_cvt_f16_f32_e32 v1, v76
	v_cvt_f16_f32_e32 v2, v77
	s_delay_alu instid0(VALU_DEP_3) | instskip(NEXT) | instid1(VALU_DEP_4)
	v_cvt_f16_f32_e32 v3, v78
	v_cvt_f16_f32_e32 v4, v79
	;; [unrolled: 1-line block ×6, first 2 shown]
	v_pack_b32_f16 v1, v1, v2
	v_pack_b32_f16 v2, v3, v4
	;; [unrolled: 1-line block ×3, first 2 shown]
	s_delay_alu instid0(VALU_DEP_4)
	v_pack_b32_f16 v4, v7, v8
	ds_store_b128 v74, v[1:4]
	s_waitcnt lgkmcnt(0)
	s_barrier
	buffer_gl0_inv
	ds_load_b128 v[1:4], v75
	ds_load_b128 v[5:8], v75 offset:16
	s_waitcnt lgkmcnt(1)
	v_lshrrev_b32_e32 v9, 16, v1
	s_waitcnt lgkmcnt(0)
	v_lshrrev_b32_e32 v13, 16, v5
	v_lshrrev_b32_e32 v10, 16, v2
	;; [unrolled: 1-line block ×4, first 2 shown]
	v_cndmask_b32_e32 v17, v1, v9, vcc_lo
	v_cndmask_b32_e32 v18, v5, v13, vcc_lo
	v_cndmask_b32_e64 v21, v1, v9, s4
	v_cmp_eq_u32_e32 vcc_lo, 1, v71
	v_cndmask_b32_e64 v22, v5, v13, s4
	v_cmp_eq_u32_e64 s4, 2, v70
	v_cndmask_b32_e64 v19, v1, v9, s3
	v_cndmask_b32_e64 v20, v5, v13, s3
	v_cndmask_b32_e32 v1, v1, v9, vcc_lo
	v_cmp_eq_u32_e64 s3, 2, v71
	v_cndmask_b32_e32 v5, v5, v13, vcc_lo
	v_cndmask_b32_e64 v9, v17, v2, s4
	v_cmp_eq_u32_e32 vcc_lo, 3, v70
	v_cndmask_b32_e64 v13, v18, v6, s4
	v_cmp_eq_u32_e64 s4, 2, v69
	v_cndmask_b32_e64 v17, v19, v2, s5
	v_cndmask_b32_e64 v18, v20, v6, s5
	v_cmp_eq_u32_e64 s5, 3, v69
	v_cndmask_b32_e64 v1, v1, v2, s3
	v_cndmask_b32_e64 v19, v21, v2, s4
	;; [unrolled: 1-line block ×4, first 2 shown]
	v_cndmask_b32_e32 v5, v9, v10, vcc_lo
	v_cndmask_b32_e32 v6, v13, v14, vcc_lo
	v_cmp_eq_u32_e32 vcc_lo, 3, v71
	v_cndmask_b32_e64 v9, v17, v10, s6
	v_cndmask_b32_e64 v13, v18, v14, s6
	;; [unrolled: 1-line block ×3, first 2 shown]
	v_cmp_eq_u32_e64 s4, 4, v70
	v_cndmask_b32_e32 v1, v1, v10, vcc_lo
	v_cndmask_b32_e32 v2, v2, v14, vcc_lo
	v_cmp_eq_u32_e32 vcc_lo, 4, v72
	v_lshrrev_b32_e32 v15, 16, v7
	v_lshrrev_b32_e32 v16, 16, v8
	v_cndmask_b32_e64 v17, v19, v10, s5
	v_cmp_eq_u32_e64 s3, 4, v71
	v_cndmask_b32_e64 v5, v5, v3, s4
	v_cndmask_b32_e64 v6, v6, v7, s4
	v_cndmask_b32_e32 v9, v9, v3, vcc_lo
	v_cmp_eq_u32_e64 s4, 5, v72
	v_cndmask_b32_e32 v10, v13, v7, vcc_lo
	v_cmp_eq_u32_e32 vcc_lo, 4, v69
	v_cmp_eq_u32_e64 s5, 5, v70
	v_cndmask_b32_e64 v2, v2, v7, s3
	v_cndmask_b32_e64 v9, v9, v11, s4
	;; [unrolled: 1-line block ×3, first 2 shown]
	v_cndmask_b32_e32 v13, v17, v3, vcc_lo
	v_cmp_eq_u32_e64 s4, 5, v69
	v_cndmask_b32_e32 v14, v18, v7, vcc_lo
	v_cndmask_b32_e64 v1, v1, v3, s3
	v_cmp_eq_u32_e32 vcc_lo, 5, v71
	v_lshrrev_b32_e32 v12, 16, v4
	v_cndmask_b32_e64 v13, v13, v11, s4
	v_cndmask_b32_e64 v3, v14, v15, s4
	v_cmp_eq_u32_e64 s4, 6, v71
	v_cndmask_b32_e32 v1, v1, v11, vcc_lo
	v_cndmask_b32_e64 v5, v5, v11, s5
	v_cmp_eq_u32_e64 s6, 6, v70
	v_cndmask_b32_e64 v6, v6, v15, s5
	v_cmp_eq_u32_e64 s5, 6, v72
	v_cmp_eq_u32_e64 s3, 6, v69
	v_cndmask_b32_e64 v1, v1, v4, s4
	v_cndmask_b32_e32 v2, v2, v15, vcc_lo
	v_cmp_eq_u32_e32 vcc_lo, 7, v71
	v_cndmask_b32_e64 v5, v5, v4, s6
	v_cndmask_b32_e64 v9, v9, v4, s5
	;; [unrolled: 1-line block ×3, first 2 shown]
	v_cmp_eq_u32_e64 s6, 7, v70
	v_cndmask_b32_e32 v1, v1, v12, vcc_lo
	v_cndmask_b32_e64 v7, v13, v4, s3
	v_cndmask_b32_e64 v3, v3, v8, s3
	v_cndmask_b32_e64 v2, v2, v8, s4
	v_cmp_eq_u32_e64 s3, 7, v69
	v_cndmask_b32_e64 v4, v10, v8, s5
	v_cndmask_b32_e64 v5, v5, v12, s6
	;; [unrolled: 1-line block ×3, first 2 shown]
	v_cndmask_b32_e32 v2, v2, v16, vcc_lo
	v_cndmask_b32_e64 v7, v7, v12, s3
	v_cndmask_b32_e64 v3, v3, v16, s3
	;; [unrolled: 1-line block ×4, first 2 shown]
	v_perm_b32 v4, v2, v1, 0x5040100
	s_mov_b32 s3, exec_lo
	v_perm_b32 v3, v3, v7, 0x5040100
	v_perm_b32 v2, v8, v9, 0x5040100
	;; [unrolled: 1-line block ×3, first 2 shown]
	ds_store_b128 v74, v[1:4]
	s_waitcnt lgkmcnt(0)
	s_barrier
	buffer_gl0_inv
	v_cmpx_gt_u32_e32 32, v0
	s_cbranch_execz .LBB1286_2
; %bb.15:
	s_load_b64 s[4:5], s[0:1], 0x68
	v_lshlrev_b32_e32 v0, 10, v0
	v_lshlrev_b32_e32 v1, 4, v67
	s_lshl_b32 s0, s35, 7
	v_add_nc_u32_e32 v2, s31, v66
	s_mul_i32 s1, s0, s34
	s_delay_alu instid0(SALU_CYCLE_1) | instskip(SKIP_1) | instid1(VALU_DEP_2)
	s_mul_i32 s6, s1, s8
	v_and_or_b32 v0, 0x3800, v0, v1
	v_mul_lo_u32 v1, v2, s0
	s_ashr_i32 s7, s6, 31
	v_add_nc_u32_e32 v3, 2, v2
	s_lshl_b64 s[6:7], s[6:7], 1
	v_add_nc_u32_e32 v4, 4, v2
	v_add_nc_u32_e32 v5, 6, v2
	v_lshl_or_b32 v15, v66, 6, v0
	v_mul_lo_u32 v3, v3, s0
	v_ashrrev_i32_e32 v2, 31, v1
	v_mul_lo_u32 v19, v4, s0
	v_mul_lo_u32 v21, v5, s0
	s_waitcnt lgkmcnt(0)
	s_add_u32 s1, s4, s6
	s_addc_u32 s3, s5, s7
	s_lshl_b32 s4, s14, 7
	v_lshlrev_b64 v[5:6], 1, v[1:2]
	s_ashr_i32 s5, s4, 31
	v_ashrrev_i32_e32 v4, 31, v3
	s_lshl_b64 s[4:5], s[4:5], 1
	v_ashrrev_i32_e32 v20, 31, v19
	s_add_u32 s1, s1, s4
	s_addc_u32 s3, s3, s5
	v_add_co_u32 v1, s1, s1, v65
	s_delay_alu instid0(VALU_DEP_1) | instskip(SKIP_1) | instid1(VALU_DEP_3)
	v_add_co_ci_u32_e64 v2, null, s3, 0, s1
	v_lshlrev_b64 v[25:26], 1, v[3:4]
	v_add_co_u32 v23, vcc_lo, v1, v5
	s_delay_alu instid0(VALU_DEP_3)
	v_add_co_ci_u32_e32 v24, vcc_lo, v2, v6, vcc_lo
	ds_load_b128 v[3:6], v15
	ds_load_b128 v[7:10], v15 offset:128
	ds_load_b128 v[11:14], v15 offset:256
	;; [unrolled: 1-line block ×3, first 2 shown]
	v_ashrrev_i32_e32 v22, 31, v21
	v_lshlrev_b64 v[19:20], 1, v[19:20]
	v_add_co_u32 v25, vcc_lo, v1, v25
	v_add_co_ci_u32_e32 v26, vcc_lo, v2, v26, vcc_lo
	s_delay_alu instid0(VALU_DEP_4) | instskip(NEXT) | instid1(VALU_DEP_4)
	v_lshlrev_b64 v[21:22], 1, v[21:22]
	v_add_co_u32 v19, vcc_lo, v1, v19
	v_add_co_ci_u32_e32 v20, vcc_lo, v2, v20, vcc_lo
	s_delay_alu instid0(VALU_DEP_3) | instskip(NEXT) | instid1(VALU_DEP_4)
	v_add_co_u32 v21, vcc_lo, v1, v21
	v_add_co_ci_u32_e32 v22, vcc_lo, v2, v22, vcc_lo
	s_waitcnt lgkmcnt(3)
	global_store_b128 v[23:24], v[3:6], off
	s_waitcnt lgkmcnt(2)
	global_store_b128 v[25:26], v[7:10], off
	s_waitcnt lgkmcnt(1)
	global_store_b128 v[19:20], v[11:14], off
	s_waitcnt lgkmcnt(0)
	global_store_b128 v[21:22], v[15:18], off
	s_and_b32 exec_lo, exec_lo, s2
	s_cbranch_execz .LBB1286_2
; %bb.16:
	ds_load_b128 v[3:6], v0 offset:512
	s_add_i32 s1, s31, 8
	s_delay_alu instid0(SALU_CYCLE_1) | instskip(NEXT) | instid1(SALU_CYCLE_1)
	s_mul_i32 s0, s1, s0
	s_ashr_i32 s1, s0, 31
	s_delay_alu instid0(SALU_CYCLE_1) | instskip(NEXT) | instid1(SALU_CYCLE_1)
	s_lshl_b64 s[0:1], s[0:1], 1
	v_add_co_u32 v0, vcc_lo, v1, s0
	v_add_co_ci_u32_e32 v1, vcc_lo, s1, v2, vcc_lo
	s_waitcnt lgkmcnt(0)
	global_store_b128 v[0:1], v[3:6], off
	s_nop 0
	s_sendmsg sendmsg(MSG_DEALLOC_VGPRS)
	s_endpgm
	.section	.rodata,"a",@progbits
	.p2align	6, 0x0
	.amdhsa_kernel _Z39paged_attention_ll4mi_QKV_mfma16_kernelIDF16_hLN4vllm18Fp8KVCacheDataTypeE1EhLi32ELi128ELi256ELb1ELi9EL8MFMAType0EEvPKT_PKT0_S8_ifPKiSA_SA_iPKfiiiPfSD_PS3_PT2_iSC_SC_
		.amdhsa_group_segment_fixed_size 17472
		.amdhsa_private_segment_fixed_size 0
		.amdhsa_kernarg_size 400
		.amdhsa_user_sgpr_count 13
		.amdhsa_user_sgpr_dispatch_ptr 0
		.amdhsa_user_sgpr_queue_ptr 0
		.amdhsa_user_sgpr_kernarg_segment_ptr 1
		.amdhsa_user_sgpr_dispatch_id 0
		.amdhsa_user_sgpr_private_segment_size 0
		.amdhsa_wavefront_size32 1
		.amdhsa_uses_dynamic_stack 0
		.amdhsa_enable_private_segment 0
		.amdhsa_system_sgpr_workgroup_id_x 1
		.amdhsa_system_sgpr_workgroup_id_y 1
		.amdhsa_system_sgpr_workgroup_id_z 1
		.amdhsa_system_sgpr_workgroup_info 0
		.amdhsa_system_vgpr_workitem_id 0
		.amdhsa_next_free_vgpr 150
		.amdhsa_next_free_sgpr 37
		.amdhsa_reserve_vcc 1
		.amdhsa_float_round_mode_32 0
		.amdhsa_float_round_mode_16_64 0
		.amdhsa_float_denorm_mode_32 3
		.amdhsa_float_denorm_mode_16_64 3
		.amdhsa_dx10_clamp 1
		.amdhsa_ieee_mode 1
		.amdhsa_fp16_overflow 0
		.amdhsa_workgroup_processor_mode 1
		.amdhsa_memory_ordered 1
		.amdhsa_forward_progress 0
		.amdhsa_shared_vgpr_count 0
		.amdhsa_exception_fp_ieee_invalid_op 0
		.amdhsa_exception_fp_denorm_src 0
		.amdhsa_exception_fp_ieee_div_zero 0
		.amdhsa_exception_fp_ieee_overflow 0
		.amdhsa_exception_fp_ieee_underflow 0
		.amdhsa_exception_fp_ieee_inexact 0
		.amdhsa_exception_int_div_zero 0
	.end_amdhsa_kernel
	.section	.text._Z39paged_attention_ll4mi_QKV_mfma16_kernelIDF16_hLN4vllm18Fp8KVCacheDataTypeE1EhLi32ELi128ELi256ELb1ELi9EL8MFMAType0EEvPKT_PKT0_S8_ifPKiSA_SA_iPKfiiiPfSD_PS3_PT2_iSC_SC_,"axG",@progbits,_Z39paged_attention_ll4mi_QKV_mfma16_kernelIDF16_hLN4vllm18Fp8KVCacheDataTypeE1EhLi32ELi128ELi256ELb1ELi9EL8MFMAType0EEvPKT_PKT0_S8_ifPKiSA_SA_iPKfiiiPfSD_PS3_PT2_iSC_SC_,comdat
.Lfunc_end1286:
	.size	_Z39paged_attention_ll4mi_QKV_mfma16_kernelIDF16_hLN4vllm18Fp8KVCacheDataTypeE1EhLi32ELi128ELi256ELb1ELi9EL8MFMAType0EEvPKT_PKT0_S8_ifPKiSA_SA_iPKfiiiPfSD_PS3_PT2_iSC_SC_, .Lfunc_end1286-_Z39paged_attention_ll4mi_QKV_mfma16_kernelIDF16_hLN4vllm18Fp8KVCacheDataTypeE1EhLi32ELi128ELi256ELb1ELi9EL8MFMAType0EEvPKT_PKT0_S8_ifPKiSA_SA_iPKfiiiPfSD_PS3_PT2_iSC_SC_
                                        ; -- End function
	.section	.AMDGPU.csdata,"",@progbits
; Kernel info:
; codeLenInByte = 6744
; NumSgprs: 39
; NumVgprs: 150
; ScratchSize: 0
; MemoryBound: 0
; FloatMode: 240
; IeeeMode: 1
; LDSByteSize: 17472 bytes/workgroup (compile time only)
; SGPRBlocks: 4
; VGPRBlocks: 18
; NumSGPRsForWavesPerEU: 39
; NumVGPRsForWavesPerEU: 150
; Occupancy: 9
; WaveLimiterHint : 1
; COMPUTE_PGM_RSRC2:SCRATCH_EN: 0
; COMPUTE_PGM_RSRC2:USER_SGPR: 13
; COMPUTE_PGM_RSRC2:TRAP_HANDLER: 0
; COMPUTE_PGM_RSRC2:TGID_X_EN: 1
; COMPUTE_PGM_RSRC2:TGID_Y_EN: 1
; COMPUTE_PGM_RSRC2:TGID_Z_EN: 1
; COMPUTE_PGM_RSRC2:TIDIG_COMP_CNT: 0
	.section	.text._Z39paged_attention_ll4mi_QKV_mfma16_kernelIDF16_hLN4vllm18Fp8KVCacheDataTypeE1EhLi32ELi128ELi256ELb1ELi10EL8MFMAType0EEvPKT_PKT0_S8_ifPKiSA_SA_iPKfiiiPfSD_PS3_PT2_iSC_SC_,"axG",@progbits,_Z39paged_attention_ll4mi_QKV_mfma16_kernelIDF16_hLN4vllm18Fp8KVCacheDataTypeE1EhLi32ELi128ELi256ELb1ELi10EL8MFMAType0EEvPKT_PKT0_S8_ifPKiSA_SA_iPKfiiiPfSD_PS3_PT2_iSC_SC_,comdat
	.protected	_Z39paged_attention_ll4mi_QKV_mfma16_kernelIDF16_hLN4vllm18Fp8KVCacheDataTypeE1EhLi32ELi128ELi256ELb1ELi10EL8MFMAType0EEvPKT_PKT0_S8_ifPKiSA_SA_iPKfiiiPfSD_PS3_PT2_iSC_SC_ ; -- Begin function _Z39paged_attention_ll4mi_QKV_mfma16_kernelIDF16_hLN4vllm18Fp8KVCacheDataTypeE1EhLi32ELi128ELi256ELb1ELi10EL8MFMAType0EEvPKT_PKT0_S8_ifPKiSA_SA_iPKfiiiPfSD_PS3_PT2_iSC_SC_
	.globl	_Z39paged_attention_ll4mi_QKV_mfma16_kernelIDF16_hLN4vllm18Fp8KVCacheDataTypeE1EhLi32ELi128ELi256ELb1ELi10EL8MFMAType0EEvPKT_PKT0_S8_ifPKiSA_SA_iPKfiiiPfSD_PS3_PT2_iSC_SC_
	.p2align	8
	.type	_Z39paged_attention_ll4mi_QKV_mfma16_kernelIDF16_hLN4vllm18Fp8KVCacheDataTypeE1EhLi32ELi128ELi256ELb1ELi10EL8MFMAType0EEvPKT_PKT0_S8_ifPKiSA_SA_iPKfiiiPfSD_PS3_PT2_iSC_SC_,@function
_Z39paged_attention_ll4mi_QKV_mfma16_kernelIDF16_hLN4vllm18Fp8KVCacheDataTypeE1EhLi32ELi128ELi256ELb1ELi10EL8MFMAType0EEvPKT_PKT0_S8_ifPKiSA_SA_iPKfiiiPfSD_PS3_PT2_iSC_SC_: ; @_Z39paged_attention_ll4mi_QKV_mfma16_kernelIDF16_hLN4vllm18Fp8KVCacheDataTypeE1EhLi32ELi128ELi256ELb1ELi10EL8MFMAType0EEvPKT_PKT0_S8_ifPKiSA_SA_iPKfiiiPfSD_PS3_PT2_iSC_SC_
; %bb.0:
	s_load_b64 s[4:5], s[0:1], 0x30
	s_mov_b32 s30, s13
	s_waitcnt lgkmcnt(0)
	s_cmp_lg_u64 s[4:5], 0
	s_cselect_b32 s8, -1, 0
	s_ashr_i32 s31, s13, 31
	s_cmp_eq_u64 s[4:5], 0
	s_cbranch_scc1 .LBB1287_3
; %bb.1:
	s_lshl_b64 s[2:3], s[30:31], 2
	s_delay_alu instid0(SALU_CYCLE_1) | instskip(SKIP_4) | instid1(SALU_CYCLE_1)
	s_add_u32 s2, s4, s2
	s_addc_u32 s3, s5, s3
	s_load_b64 s[2:3], s[2:3], 0x0
	s_waitcnt lgkmcnt(0)
	s_sub_i32 s2, s3, s2
	s_cmp_eq_u32 s2, 1
	s_cselect_b32 s2, -1, 0
	s_delay_alu instid0(SALU_CYCLE_1)
	s_and_not1_b32 vcc_lo, exec_lo, s2
	s_cbranch_vccz .LBB1287_4
.LBB1287_2:
	s_endpgm
.LBB1287_3:
.LBB1287_4:
	s_load_b64 s[2:3], s[0:1], 0x28
	s_lshl_b64 s[6:7], s[30:31], 2
	s_waitcnt lgkmcnt(0)
	s_add_u32 s2, s2, s6
	s_addc_u32 s3, s3, s7
	s_lshl_b32 s12, s14, 8
	s_load_b32 s24, s[2:3], 0x0
	s_waitcnt lgkmcnt(0)
	s_cmp_ge_i32 s12, s24
	s_cbranch_scc1 .LBB1287_2
; %bb.5:
	s_clause 0x1
	s_load_b128 s[20:23], s[0:1], 0x8
	s_load_b64 s[2:3], s[0:1], 0x20
	s_and_not1_b32 vcc_lo, exec_lo, s8
	s_cbranch_vccnz .LBB1287_7
; %bb.6:
	s_add_u32 s4, s4, s6
	s_addc_u32 s5, s5, s7
	s_load_b32 s5, s[4:5], 0x0
	s_branch .LBB1287_8
.LBB1287_7:
	s_mov_b32 s5, s30
.LBB1287_8:
	s_load_b128 s[16:19], s[0:1], 0x48
	v_and_b32_e32 v68, 15, v0
	v_lshrrev_b32_e32 v69, 5, v0
	v_and_b32_e32 v70, 31, v0
	v_and_b32_e32 v67, 1, v0
	v_bfe_u32 v66, v0, 4, 1
	v_lshlrev_b32_e32 v1, 3, v68
	s_mul_i32 s31, s15, 10
	s_mov_b32 s4, exec_lo
	s_delay_alu instid0(VALU_DEP_1)
	v_lshlrev_b32_e32 v65, 1, v1
	v_cmpx_gt_u32_e32 0xa0, v0
	s_cbranch_execz .LBB1287_10
; %bb.9:
	s_load_b64 s[6:7], s[0:1], 0x0
	v_lshl_or_b32 v5, v69, 1, v66
	s_waitcnt lgkmcnt(0)
	s_mul_hi_i32 s9, s5, s16
	s_mul_i32 s8, s5, s16
	v_lshlrev_b32_e32 v6, 10, v68
	s_lshl_b64 s[8:9], s[8:9], 1
	v_add_lshl_u32 v1, v5, s31, 7
	v_lshlrev_b32_e32 v5, 6, v5
	v_lshlrev_b32_e32 v7, 10, v67
	v_and_b32_e32 v6, 0x3800, v6
	s_delay_alu instid0(VALU_DEP_4) | instskip(NEXT) | instid1(VALU_DEP_2)
	v_ashrrev_i32_e32 v2, 31, v1
	v_or3_b32 v5, v6, v7, v5
	s_delay_alu instid0(VALU_DEP_2) | instskip(SKIP_2) | instid1(VALU_DEP_1)
	v_lshlrev_b64 v[1:2], 1, v[1:2]
	s_add_u32 s5, s6, s8
	s_addc_u32 s6, s7, s9
	v_add_co_u32 v1, vcc_lo, s5, v1
	s_delay_alu instid0(VALU_DEP_2) | instskip(NEXT) | instid1(VALU_DEP_2)
	v_add_co_ci_u32_e32 v2, vcc_lo, s6, v2, vcc_lo
	v_add_co_u32 v1, vcc_lo, v1, v65
	s_delay_alu instid0(VALU_DEP_2)
	v_add_co_ci_u32_e32 v2, vcc_lo, 0, v2, vcc_lo
	global_load_b128 v[1:4], v[1:2], off
	s_waitcnt vmcnt(0)
	ds_store_b128 v5, v[1:4]
.LBB1287_10:
	s_or_b32 exec_lo, exec_lo, s4
	v_and_b32_e32 v1, 0xef, v0
	s_waitcnt lgkmcnt(0)
	s_add_i32 s5, s24, 31
	s_clause 0x1
	s_load_b32 s4, s[0:1], 0x38
	s_load_b32 s33, s[0:1], 0x98
	s_ashr_i32 s6, s5, 31
	v_add_nc_u32_e32 v1, s12, v1
	s_lshr_b32 s6, s6, 27
	s_load_b32 s19, s[0:1], 0x1c
	s_add_i32 s5, s5, s6
	s_waitcnt lgkmcnt(0)
	v_ashrrev_i32_e32 v2, 31, v1
	v_or_b32_e32 v3, 16, v1
	s_ashr_i32 s13, s5, 5
	v_cmp_gt_i32_e32 vcc_lo, s24, v1
	s_add_i32 s13, s13, -1
	v_lshrrev_b32_e32 v2, 27, v2
	s_barrier
	buffer_gl0_inv
	s_mul_i32 s15, s15, s18
	v_add_nc_u32_e32 v4, v1, v2
	s_mul_i32 s4, s30, s4
	s_delay_alu instid0(SALU_CYCLE_1) | instskip(NEXT) | instid1(VALU_DEP_1)
	s_ashr_i32 s5, s4, 31
	v_ashrrev_i32_e32 v4, 5, v4
	v_add_nc_u32_e32 v2, v3, v2
	s_lshl_b64 s[4:5], s[4:5], 2
	s_delay_alu instid0(SALU_CYCLE_1) | instskip(NEXT) | instid1(VALU_DEP_2)
	s_add_u32 s16, s2, s4
	v_cndmask_b32_e32 v1, s13, v4, vcc_lo
	s_delay_alu instid0(VALU_DEP_2)
	v_ashrrev_i32_e32 v2, 5, v2
	v_cmp_gt_i32_e32 vcc_lo, s24, v3
	s_addc_u32 s25, s3, s5
	s_ashr_i32 s18, s15, 31
	s_add_u32 s2, s20, s15
	s_addc_u32 s3, s21, s18
	v_cndmask_b32_e32 v3, s13, v2, vcc_lo
	v_ashrrev_i32_e32 v2, 31, v1
	s_lshl_b32 s4, s14, 3
	s_delay_alu instid0(SALU_CYCLE_1) | instskip(NEXT) | instid1(VALU_DEP_2)
	s_ashr_i32 s5, s4, 31
	v_ashrrev_i32_e32 v4, 31, v3
	s_delay_alu instid0(VALU_DEP_2) | instskip(SKIP_1) | instid1(SALU_CYCLE_1)
	v_lshlrev_b64 v[1:2], 2, v[1:2]
	s_lshl_b64 s[4:5], s[4:5], 2
	s_add_u32 s4, s16, s4
	s_delay_alu instid0(VALU_DEP_2) | instskip(SKIP_1) | instid1(VALU_DEP_2)
	v_lshlrev_b64 v[3:4], 2, v[3:4]
	s_addc_u32 s5, s25, s5
	v_add_co_u32 v1, vcc_lo, s16, v1
	v_add_co_ci_u32_e32 v2, vcc_lo, s25, v2, vcc_lo
	s_delay_alu instid0(VALU_DEP_3) | instskip(NEXT) | instid1(VALU_DEP_4)
	v_add_co_u32 v3, vcc_lo, s16, v3
	v_add_co_ci_u32_e32 v4, vcc_lo, s25, v4, vcc_lo
	s_clause 0x1
	global_load_b32 v5, v[1:2], off
	global_load_b32 v6, v[3:4], off
	s_or_b32 s6, s12, 32
	s_delay_alu instid0(SALU_CYCLE_1) | instskip(SKIP_2) | instid1(SALU_CYCLE_1)
	s_ashr_i32 s7, s6, 5
	s_cmp_lt_i32 s6, s24
	s_cselect_b32 s6, s7, s13
	s_ashr_i32 s7, s6, 31
	s_delay_alu instid0(SALU_CYCLE_1) | instskip(NEXT) | instid1(SALU_CYCLE_1)
	s_lshl_b64 s[6:7], s[6:7], 2
	s_add_u32 s6, s16, s6
	s_addc_u32 s7, s25, s7
	s_or_b32 s8, s12, 64
	s_delay_alu instid0(SALU_CYCLE_1) | instskip(SKIP_2) | instid1(SALU_CYCLE_1)
	s_ashr_i32 s9, s8, 5
	s_cmp_lt_i32 s8, s24
	s_cselect_b32 s8, s9, s13
	s_ashr_i32 s9, s8, 31
	s_delay_alu instid0(SALU_CYCLE_1) | instskip(NEXT) | instid1(SALU_CYCLE_1)
	s_lshl_b64 s[8:9], s[8:9], 2
	s_add_u32 s8, s16, s8
	s_addc_u32 s9, s25, s9
	s_or_b32 s10, s12, 0x60
	s_delay_alu instid0(SALU_CYCLE_1) | instskip(SKIP_2) | instid1(SALU_CYCLE_1)
	s_ashr_i32 s11, s10, 5
	s_cmp_lt_i32 s10, s24
	s_cselect_b32 s10, s11, s13
	s_ashr_i32 s11, s10, 31
	s_delay_alu instid0(SALU_CYCLE_1) | instskip(NEXT) | instid1(SALU_CYCLE_1)
	s_lshl_b64 s[10:11], s[10:11], 2
	s_add_u32 s10, s16, s10
	s_addc_u32 s11, s25, s11
	s_or_b32 s20, s12, 0x80
	s_delay_alu instid0(SALU_CYCLE_1) | instskip(SKIP_2) | instid1(SALU_CYCLE_1)
	s_ashr_i32 s21, s20, 5
	s_cmp_lt_i32 s20, s24
	s_cselect_b32 s20, s21, s13
	s_ashr_i32 s21, s20, 31
	s_delay_alu instid0(SALU_CYCLE_1) | instskip(NEXT) | instid1(SALU_CYCLE_1)
	s_lshl_b64 s[20:21], s[20:21], 2
	s_add_u32 s20, s16, s20
	s_addc_u32 s21, s25, s21
	s_or_b32 s26, s12, 0xa0
	s_delay_alu instid0(SALU_CYCLE_1) | instskip(SKIP_2) | instid1(SALU_CYCLE_1)
	s_ashr_i32 s27, s26, 5
	s_cmp_lt_i32 s26, s24
	s_cselect_b32 s26, s27, s13
	s_ashr_i32 s27, s26, 31
	s_delay_alu instid0(SALU_CYCLE_1) | instskip(NEXT) | instid1(SALU_CYCLE_1)
	s_lshl_b64 s[26:27], s[26:27], 2
	s_add_u32 s26, s16, s26
	s_addc_u32 s27, s25, s27
	s_clause 0x5
	s_load_b32 s28, s[4:5], 0x0
	s_load_b32 s29, s[6:7], 0x0
	;; [unrolled: 1-line block ×6, first 2 shown]
	s_mov_b32 s4, 0
	s_delay_alu instid0(SALU_CYCLE_1)
	s_mov_b32 s5, s4
	s_mov_b32 s6, s4
	;; [unrolled: 1-line block ×7, first 2 shown]
	s_delay_alu instid0(SALU_CYCLE_1)
	v_dual_mov_b32 v118, s11 :: v_dual_mov_b32 v117, s10
	v_dual_mov_b32 v116, s9 :: v_dual_mov_b32 v115, s8
	v_mov_b32_e32 v113, s6
	v_dual_mov_b32 v111, s4 :: v_dual_mov_b32 v114, s7
	v_mov_b32_e32 v112, s5
	s_waitcnt vmcnt(1)
	v_mad_i64_i32 v[1:2], null, v5, s17, s[2:3]
	v_lshlrev_b32_e32 v5, 4, v68
	s_waitcnt vmcnt(0)
	v_mad_i64_i32 v[3:4], null, v6, s17, s[2:3]
	s_or_b32 s2, s12, 0xc0
	s_delay_alu instid0(SALU_CYCLE_1) | instskip(NEXT) | instid1(VALU_DEP_3)
	s_ashr_i32 s3, s2, 5
	v_add_co_u32 v1, vcc_lo, v1, v5
	s_delay_alu instid0(VALU_DEP_4) | instskip(NEXT) | instid1(VALU_DEP_3)
	v_add_co_ci_u32_e32 v2, vcc_lo, 0, v2, vcc_lo
	v_add_co_u32 v3, vcc_lo, v3, v5
	s_delay_alu instid0(VALU_DEP_4)
	v_add_co_ci_u32_e32 v4, vcc_lo, 0, v4, vcc_lo
	s_clause 0xf
	global_load_b128 v[17:20], v[1:2], off
	global_load_b128 v[21:24], v[1:2], off offset:512
	global_load_b128 v[25:28], v[3:4], off offset:256
	;; [unrolled: 1-line block ×15, first 2 shown]
	s_cmp_lt_i32 s2, s24
	v_add_nc_u32_e32 v1, -10, v68
	s_cselect_b32 s2, s3, s13
	v_cmp_gt_u32_e32 vcc_lo, 10, v68
	s_ashr_i32 s3, s2, 31
	v_lshlrev_b32_e32 v2, 5, v68
	s_lshl_b64 s[2:3], s[2:3], 2
	s_delay_alu instid0(SALU_CYCLE_1)
	s_add_u32 s2, s16, s2
	s_addc_u32 s3, s25, s3
	s_or_b32 s20, s12, 0xe0
	v_cndmask_b32_e32 v1, v1, v68, vcc_lo
	s_ashr_i32 s21, s20, 5
	s_cmp_lt_i32 s20, s24
	s_cselect_b32 s20, s21, s13
	s_delay_alu instid0(VALU_DEP_1)
	v_lshlrev_b32_e32 v149, 6, v1
	s_ashr_i32 s21, s20, 31
	v_lshl_or_b32 v1, v69, 9, v2
	s_lshl_b64 s[4:5], s[20:21], 2
	ds_load_b128 v[119:122], v149
	ds_load_b128 v[123:126], v149 offset:1024
	s_add_u32 s4, s16, s4
	s_addc_u32 s5, s25, s5
	ds_load_b128 v[127:130], v149 offset:2048
	ds_load_b128 v[131:134], v149 offset:3072
	s_clause 0x1
	s_load_b32 s2, s[2:3], 0x0
	s_load_b32 s3, s[4:5], 0x0
	s_add_u32 s6, s22, s15
	s_addc_u32 s7, s23, s18
	v_add_co_u32 v135, s6, s6, v1
	s_delay_alu instid0(VALU_DEP_1) | instskip(SKIP_1) | instid1(VALU_DEP_1)
	v_add_co_ci_u32_e64 v136, null, s7, 0, s6
	s_waitcnt lgkmcnt(0)
	v_mad_i64_i32 v[1:2], null, s28, s17, v[135:136]
	v_mad_i64_i32 v[3:4], null, s29, s17, v[135:136]
	;; [unrolled: 1-line block ×6, first 2 shown]
	s_clause 0x9
	global_load_b128 v[49:52], v[1:2], off
	global_load_b128 v[53:56], v[1:2], off offset:16
	global_load_b128 v[41:44], v[3:4], off
	global_load_b128 v[45:48], v[3:4], off offset:16
	;; [unrolled: 2-line block ×5, first 2 shown]
	v_mad_i64_i32 v[145:146], null, s2, s17, v[135:136]
	v_mad_i64_i32 v[147:148], null, s3, s17, v[135:136]
	s_waitcnt vmcnt(24)
	v_wmma_f32_16x16x16_f16 v[135:142], v[17:24], v[119:126], v[111:118]
	s_waitcnt vmcnt(22)
	v_wmma_f32_16x16x16_f16 v[111:118], v[25:32], v[119:126], v[111:118]
	s_clause 0x3
	global_load_b128 v[17:20], v[143:144], off
	global_load_b128 v[21:24], v[143:144], off offset:16
	global_load_b128 v[25:28], v[145:146], off
	global_load_b128 v[29:32], v[145:146], off offset:16
	v_and_b32_e32 v119, 0xe0, v0
	s_waitcnt vmcnt(24)
	v_wmma_f32_16x16x16_f16 v[135:142], v[57:64], v[127:134], v[135:142]
	s_clause 0x1
	global_load_b128 v[57:60], v[147:148], off
	global_load_b128 v[61:64], v[147:148], off offset:16
	s_waitcnt vmcnt(24)
	v_wmma_f32_16x16x16_f16 v[111:118], v[71:78], v[127:134], v[111:118]
	ds_load_b128 v[71:74], v149 offset:4096
	ds_load_b128 v[75:78], v149 offset:5120
	v_add_nc_u32_e32 v128, s12, v119
	ds_load_b128 v[119:122], v149 offset:6144
	ds_load_b128 v[123:126], v149 offset:7168
	v_mbcnt_lo_u32_b32 v127, -1, 0
	s_waitcnt vmcnt(0) lgkmcnt(0)
	s_barrier
	v_or_b32_e32 v128, v128, v66
	buffer_gl0_inv
	v_xor_b32_e32 v129, 16, v127
	v_or_b32_e32 v130, 4, v128
	v_or_b32_e32 v131, 6, v128
	s_delay_alu instid0(VALU_DEP_3) | instskip(SKIP_4) | instid1(VALU_DEP_4)
	v_cmp_gt_i32_e32 vcc_lo, 32, v129
	v_or_b32_e32 v132, 8, v128
	v_or_b32_e32 v133, 10, v128
	v_cmp_gt_i32_e64 s3, s24, v130
	v_cmp_gt_i32_e64 s4, s24, v131
	;; [unrolled: 1-line block ×3, first 2 shown]
	v_wmma_f32_16x16x16_f16 v[135:142], v[79:86], v[71:78], v[135:142]
	v_wmma_f32_16x16x16_f16 v[111:118], v[87:94], v[71:78], v[111:118]
	v_or_b32_e32 v79, 12, v128
	v_or_b32_e32 v80, 14, v128
	v_cmp_gt_i32_e64 s6, s24, v133
	v_wmma_f32_16x16x16_f16 v[135:142], v[95:102], v[119:126], v[135:142]
	v_wmma_f32_16x16x16_f16 v[111:118], v[103:110], v[119:126], v[111:118]
	v_cndmask_b32_e32 v127, v127, v129, vcc_lo
	v_or_b32_e32 v129, 2, v128
	v_cmp_gt_i32_e32 vcc_lo, s24, v128
	s_delay_alu instid0(VALU_DEP_4) | instskip(SKIP_1) | instid1(VALU_DEP_4)
	v_dual_mul_f32 v87, s19, v136 :: v_dual_mul_f32 v94, s19, v113
	v_mul_f32_e32 v88, s19, v135
	v_cmp_gt_i32_e64 s2, s24, v129
	v_mul_f32_e32 v78, s19, v138
	v_mul_f32_e32 v86, s19, v137
	;; [unrolled: 1-line block ×3, first 2 shown]
	v_cndmask_b32_e32 v88, 0xff7fffff, v88, vcc_lo
	v_cndmask_b32_e64 v87, 0xff7fffff, v87, s2
	v_dual_mul_f32 v77, s19, v139 :: v_dual_mul_f32 v90, s19, v117
	v_cndmask_b32_e64 v86, 0xff7fffff, v86, s3
	v_cndmask_b32_e64 v78, 0xff7fffff, v78, s4
	s_delay_alu instid0(VALU_DEP_4)
	v_max3_f32 v87, v88, 0xff7fffff, v87
	v_or_b32_e32 v81, 16, v128
	v_or_b32_e32 v82, 18, v128
	v_dual_mul_f32 v74, s19, v142 :: v_dual_mul_f32 v75, s19, v141
	v_mul_f32_e32 v96, s19, v111
	v_cndmask_b32_e64 v77, 0xff7fffff, v77, s5
	v_cndmask_b32_e64 v76, 0xff7fffff, v76, s6
	v_max3_f32 v78, v87, v86, v78
	v_cmp_gt_i32_e64 s7, s24, v79
	v_cmp_gt_i32_e64 s8, s24, v80
	v_or_b32_e32 v83, 20, v128
	v_or_b32_e32 v84, 22, v128
	v_mul_f32_e32 v95, s19, v112
	v_cndmask_b32_e64 v75, 0xff7fffff, v75, s7
	v_cndmask_b32_e64 v74, 0xff7fffff, v74, s8
	v_max3_f32 v76, v78, v77, v76
	v_cmp_gt_i32_e64 s9, s24, v81
	v_cmp_gt_i32_e64 s10, s24, v82
	v_or_b32_e32 v85, 24, v128
	v_or_b32_e32 v71, 26, v128
	;; [unrolled: 8-line block ×3, first 2 shown]
	v_dual_mul_f32 v91, s19, v116 :: v_dual_mul_f32 v92, s19, v115
	v_cndmask_b32_e64 v75, 0xff7fffff, v94, s11
	v_cndmask_b32_e64 v76, 0xff7fffff, v93, s12
	v_max3_f32 v74, v74, v77, v78
	v_cmp_gt_i32_e64 s13, s24, v85
	v_cmp_gt_i32_e64 s15, s24, v71
	v_mul_f32_e32 v89, s19, v118
	v_cmp_gt_i32_e64 s16, s24, v72
	v_max3_f32 v74, v74, v75, v76
	v_cndmask_b32_e64 v77, 0xff7fffff, v92, s13
	v_cndmask_b32_e64 v71, 0xff7fffff, v91, s15
	v_cmp_gt_i32_e64 s17, s24, v73
	v_cndmask_b32_e64 v72, 0xff7fffff, v90, s16
	s_delay_alu instid0(VALU_DEP_3) | instskip(SKIP_1) | instid1(VALU_DEP_4)
	v_max3_f32 v71, v74, v77, v71
	v_lshlrev_b32_e32 v74, 2, v127
	v_cndmask_b32_e64 v73, 0xff7fffff, v89, s17
	s_delay_alu instid0(VALU_DEP_1) | instskip(SKIP_3) | instid1(VALU_DEP_1)
	v_max3_f32 v71, v71, v72, v73
	ds_bpermute_b32 v72, v74, v71
	s_waitcnt lgkmcnt(0)
	v_max_f32_e32 v72, v72, v72
	v_max_f32_e32 v71, v71, v72
	s_delay_alu instid0(VALU_DEP_1) | instskip(SKIP_4) | instid1(VALU_DEP_4)
	v_fma_f32 v72, s19, v135, -v71
	v_fma_f32 v73, s19, v136, -v71
	;; [unrolled: 1-line block ×5, first 2 shown]
	v_dual_mul_f32 v72, 0x3fb8aa3b, v72 :: v_dual_mul_f32 v73, 0x3fb8aa3b, v73
	s_delay_alu instid0(VALU_DEP_3) | instskip(SKIP_1) | instid1(VALU_DEP_3)
	v_dual_mul_f32 v75, 0x3fb8aa3b, v75 :: v_dual_mul_f32 v76, 0x3fb8aa3b, v76
	v_fma_f32 v80, s19, v141, -v71
	v_exp_f32_e32 v72, v72
	s_delay_alu instid0(VALU_DEP_3) | instskip(NEXT) | instid1(VALU_DEP_2)
	v_exp_f32_e32 v73, v73
	v_exp_f32_e32 v75, v75
	;; [unrolled: 1-line block ×3, first 2 shown]
	v_mul_f32_e32 v82, 0x3fb8aa3b, v80
	s_delay_alu instid0(VALU_DEP_1) | instskip(SKIP_4) | instid1(TRANS32_DEP_3)
	v_exp_f32_e32 v84, v82
	v_cndmask_b32_e32 v79, 0, v72, vcc_lo
	v_fma_f32 v72, s19, v140, -v71
	v_mul_f32_e32 v77, 0x3fb8aa3b, v77
	v_cndmask_b32_e64 v78, 0, v73, s2
	v_cndmask_b32_e64 v81, 0, v75, s3
	s_delay_alu instid0(VALU_DEP_4) | instskip(NEXT) | instid1(VALU_DEP_4)
	v_dual_add_f32 v73, 0, v79 :: v_dual_mul_f32 v72, 0x3fb8aa3b, v72
	v_exp_f32_e32 v77, v77
	v_cndmask_b32_e64 v80, 0, v76, s4
	s_delay_alu instid0(TRANS32_DEP_2) | instskip(NEXT) | instid1(VALU_DEP_3)
	v_cndmask_b32_e64 v85, 0, v84, s7
	v_add_f32_e32 v73, v73, v78
	v_exp_f32_e32 v72, v72
	s_mov_b32 s2, exec_lo
	s_delay_alu instid0(VALU_DEP_1) | instskip(SKIP_4) | instid1(VALU_DEP_2)
	v_add_f32_e32 v73, v73, v81
	s_waitcnt_depctr 0xfff
	v_cndmask_b32_e64 v83, 0, v77, s5
	v_add_f32_e32 v73, v73, v80
	v_cndmask_b32_e64 v82, 0, v72, s6
	v_add_f32_e32 v72, v73, v83
	s_delay_alu instid0(VALU_DEP_1) | instskip(NEXT) | instid1(VALU_DEP_1)
	v_add_f32_e32 v72, v72, v82
	v_add_f32_e32 v72, v72, v85
	v_fma_f32 v76, s19, v111, -v71
	v_fma_f32 v75, s19, v142, -v71
	;; [unrolled: 1-line block ×5, first 2 shown]
	s_delay_alu instid0(VALU_DEP_4) | instskip(NEXT) | instid1(VALU_DEP_3)
	v_dual_mul_f32 v76, 0x3fb8aa3b, v76 :: v_dual_mul_f32 v75, 0x3fb8aa3b, v75
	v_mul_f32_e32 v86, 0x3fb8aa3b, v86
	s_delay_alu instid0(VALU_DEP_2) | instskip(NEXT) | instid1(VALU_DEP_2)
	v_exp_f32_e32 v76, v76
	v_exp_f32_e32 v75, v75
	s_delay_alu instid0(VALU_DEP_1) | instskip(NEXT) | instid1(TRANS32_DEP_3)
	v_exp_f32_e32 v88, v86
	v_cndmask_b32_e64 v87, 0, v76, s9
	v_fma_f32 v76, s19, v116, -v71
	v_mul_f32_e32 v77, 0x3fb8aa3b, v77
	s_waitcnt_depctr 0xfff
	v_cndmask_b32_e64 v84, 0, v75, s8
	v_fma_f32 v75, s19, v115, -v71
	v_cndmask_b32_e64 v88, 0, v88, s12
	v_mul_f32_e32 v76, 0x3fb8aa3b, v76
	v_exp_f32_e32 v77, v77
	v_add_f32_e32 v72, v72, v84
	s_delay_alu instid0(VALU_DEP_2) | instskip(NEXT) | instid1(VALU_DEP_1)
	v_exp_f32_e32 v76, v76
	v_add_f32_e32 v72, v72, v87
	s_waitcnt_depctr 0xfff
	v_cndmask_b32_e64 v86, 0, v77, s10
	v_mul_f32_e32 v73, 0x3fb8aa3b, v73
	v_fma_f32 v77, s19, v117, -v71
	v_cndmask_b32_e64 v90, 0, v76, s15
	s_delay_alu instid0(VALU_DEP_4) | instskip(NEXT) | instid1(VALU_DEP_4)
	v_add_f32_e32 v72, v72, v86
	v_exp_f32_e32 v73, v73
	s_waitcnt_depctr 0xfff
	v_cndmask_b32_e64 v89, 0, v73, s11
	s_delay_alu instid0(VALU_DEP_1) | instskip(NEXT) | instid1(VALU_DEP_1)
	v_dual_mul_f32 v75, 0x3fb8aa3b, v75 :: v_dual_add_f32 v72, v72, v89
	v_exp_f32_e32 v75, v75
	v_mul_f32_e32 v73, 0x3fb8aa3b, v77
	v_fma_f32 v77, s19, v118, -v71
	s_delay_alu instid0(VALU_DEP_3) | instskip(NEXT) | instid1(VALU_DEP_3)
	v_add_f32_e32 v72, v72, v88
	v_exp_f32_e32 v73, v73
	s_waitcnt_depctr 0xfff
	v_cndmask_b32_e64 v91, 0, v75, s13
	s_delay_alu instid0(VALU_DEP_1) | instskip(NEXT) | instid1(VALU_DEP_1)
	v_dual_mul_f32 v75, 0x3fb8aa3b, v77 :: v_dual_add_f32 v72, v72, v91
	v_exp_f32_e32 v75, v75
	v_cndmask_b32_e64 v93, 0, v73, s16
	s_delay_alu instid0(VALU_DEP_2) | instskip(NEXT) | instid1(VALU_DEP_1)
	v_add_f32_e32 v72, v72, v90
	v_add_f32_e32 v72, v72, v93
	s_waitcnt_depctr 0xfff
	v_cndmask_b32_e64 v92, 0, v75, s17
	s_delay_alu instid0(VALU_DEP_1)
	v_add_f32_e32 v72, v72, v92
	ds_bpermute_b32 v73, v74, v72
	v_cmpx_gt_u32_e32 16, v70
	s_cbranch_execz .LBB1287_12
; %bb.11:
	v_mul_u32_u24_e32 v70, 0x44, v69
	s_waitcnt lgkmcnt(0)
	v_add_f32_e32 v72, v72, v73
	s_delay_alu instid0(VALU_DEP_2) | instskip(NEXT) | instid1(VALU_DEP_1)
	v_lshl_add_u32 v70, v68, 2, v70
	v_add_nc_u32_e32 v70, 0x4000, v70
	ds_store_2addr_b32 v70, v71, v72 offset1:136
.LBB1287_12:
	s_or_b32 exec_lo, exec_lo, s2
	v_lshlrev_b32_e32 v70, 2, v68
	s_load_b32 s34, s[0:1], 0x94
	s_waitcnt lgkmcnt(0)
	s_barrier
	buffer_gl0_inv
	v_add_nc_u32_e32 v98, 0x4000, v70
	v_cmp_eq_u32_e32 vcc_lo, 1, v69
	v_cmp_eq_u32_e64 s2, 2, v69
	v_cmp_eq_u32_e64 s3, 3, v69
	;; [unrolled: 1-line block ×3, first 2 shown]
	ds_load_2addr_b32 v[70:71], v98 offset1:17
	ds_load_2addr_b32 v[72:73], v98 offset0:34 offset1:51
	ds_load_2addr_b32 v[74:75], v98 offset0:68 offset1:85
	;; [unrolled: 1-line block ×3, first 2 shown]
	v_cmp_eq_u32_e64 s5, 5, v69
	v_cmp_eq_u32_e64 s6, 7, v69
	s_waitcnt lgkmcnt(3)
	v_max3_f32 v76, v70, 0xff7fffff, v71
	s_waitcnt lgkmcnt(2)
	s_delay_alu instid0(VALU_DEP_1) | instskip(SKIP_1) | instid1(VALU_DEP_1)
	v_max3_f32 v76, v76, v72, v73
	s_waitcnt lgkmcnt(1)
	v_max3_f32 v76, v76, v74, v75
	s_waitcnt lgkmcnt(0)
	s_delay_alu instid0(VALU_DEP_1) | instskip(NEXT) | instid1(VALU_DEP_1)
	v_max3_f32 v76, v76, v94, v95
	v_sub_f32_e32 v77, v71, v76
	ds_load_2addr_b32 v[96:97], v98 offset0:136 offset1:153
	v_sub_f32_e32 v74, v74, v76
	v_sub_f32_e32 v70, v70, v76
	;; [unrolled: 1-line block ×3, first 2 shown]
	v_dual_sub_f32 v72, v72, v76 :: v_dual_mul_f32 v77, 0x3fb8aa3b, v77
	s_delay_alu instid0(VALU_DEP_4) | instskip(NEXT) | instid1(VALU_DEP_4)
	v_mul_f32_e32 v103, 0x3fb8aa3b, v74
	v_mul_f32_e32 v99, 0x3fb8aa3b, v70
	ds_load_2addr_b32 v[70:71], v98 offset0:170 offset1:187
	v_dual_mul_f32 v101, 0x3fb8aa3b, v72 :: v_dual_mul_f32 v94, 0x3fb8aa3b, v94
	v_exp_f32_e32 v102, v77
	v_exp_f32_e32 v99, v99
	s_delay_alu instid0(VALU_DEP_1) | instskip(NEXT) | instid1(VALU_DEP_1)
	v_exp_f32_e32 v101, v101
	v_exp_f32_e32 v94, v94
	s_waitcnt lgkmcnt(1)
	s_delay_alu instid0(TRANS32_DEP_3)
	v_fma_f32 v77, v99, v96, 0
	v_sub_f32_e32 v100, v73, v76
	ds_load_2addr_b32 v[72:73], v98 offset0:204 offset1:221
	v_fmac_f32_e32 v77, v102, v97
	v_exp_f32_e32 v97, v103
	s_waitcnt lgkmcnt(1)
	s_delay_alu instid0(VALU_DEP_1)
	v_dual_fmac_f32 v77, v101, v70 :: v_dual_sub_f32 v96, v75, v76
	ds_load_2addr_b32 v[74:75], v98 offset0:238 offset1:255
	v_sub_f32_e32 v70, v95, v76
	s_waitcnt lgkmcnt(0)
	s_barrier
	v_mul_f32_e32 v96, 0x3fb8aa3b, v96
	buffer_gl0_inv
	v_exp_f32_e32 v95, v96
	v_mul_f32_e32 v100, 0x3fb8aa3b, v100
	s_delay_alu instid0(VALU_DEP_1) | instskip(SKIP_3) | instid1(VALU_DEP_2)
	v_exp_f32_e32 v100, v100
	s_waitcnt_depctr 0xfff
	v_dual_fmac_f32 v77, v100, v71 :: v_dual_mul_f32 v70, 0x3fb8aa3b, v70
	v_cndmask_b32_e32 v71, v99, v102, vcc_lo
	v_fmac_f32_e32 v77, v97, v72
	s_delay_alu instid0(VALU_DEP_3) | instskip(NEXT) | instid1(VALU_DEP_1)
	v_exp_f32_e32 v96, v70
	v_fmac_f32_e32 v77, v95, v73
	s_delay_alu instid0(VALU_DEP_1) | instskip(SKIP_2) | instid1(VALU_DEP_1)
	v_fmac_f32_e32 v77, v94, v74
	s_waitcnt_depctr 0xfff
	v_fmac_f32_e32 v77, v96, v75
	v_add_f32_e32 v74, 0x358637bd, v77
	s_delay_alu instid0(VALU_DEP_1) | instskip(SKIP_1) | instid1(VALU_DEP_2)
	v_div_scale_f32 v98, null, v74, v74, 1.0
	v_div_scale_f32 v99, vcc_lo, 1.0, v74, 1.0
	v_rcp_f32_e32 v103, v98
	s_waitcnt_depctr 0xfff
	v_fma_f32 v70, -v98, v103, 1.0
	s_delay_alu instid0(VALU_DEP_1) | instskip(SKIP_2) | instid1(VALU_DEP_2)
	v_fmac_f32_e32 v103, v70, v103
	v_cndmask_b32_e64 v70, v71, v101, s2
	v_cmp_eq_u32_e64 s2, 6, v69
	v_cndmask_b32_e64 v71, v70, v100, s3
	s_delay_alu instid0(VALU_DEP_4) | instskip(NEXT) | instid1(VALU_DEP_2)
	v_dual_mul_f32 v101, v99, v103 :: v_dual_lshlrev_b32 v70, 2, v66
	v_cndmask_b32_e64 v71, v71, v97, s4
	s_delay_alu instid0(VALU_DEP_2) | instskip(NEXT) | instid1(VALU_DEP_3)
	v_or_b32_e32 v72, 1, v70
	v_fma_f32 v100, -v98, v101, v99
	v_cmp_eq_u32_e64 s3, 1, v70
	v_cmp_eq_u32_e64 s4, 2, v70
	v_cndmask_b32_e64 v95, v71, v95, s5
	v_or_b32_e32 v71, 3, v70
	v_fmac_f32_e32 v101, v100, v103
	v_cmp_eq_u32_e64 s8, 1, v72
	v_cmp_eq_u32_e64 s11, 2, v72
	v_cndmask_b32_e64 v94, v95, v94, s2
	v_cmp_eq_u32_e64 s10, 1, v71
	v_fma_f32 v97, -v98, v101, v99
	v_cmp_eq_u32_e64 s15, 2, v71
	v_cmp_eq_u32_e64 s12, 3, v72
	v_cndmask_b32_e64 v94, v94, v96, s6
	v_cmp_eq_u32_e64 s17, 3, v71
	v_div_fmas_f32 v95, v97, v103, v101
	v_cmp_eq_u32_e32 vcc_lo, 3, v70
	v_cmp_eq_u32_e64 s2, 4, v70
	v_cmp_eq_u32_e64 s18, 4, v72
	;; [unrolled: 1-line block ×3, first 2 shown]
	v_div_fixup_f32 v95, v95, v74, 1.0
	v_lshlrev_b32_e32 v73, 6, v68
	v_cmp_eq_u32_e64 s5, 5, v70
	v_cmp_eq_u32_e64 s19, 5, v72
	;; [unrolled: 1-line block ×3, first 2 shown]
	v_mul_f32_e32 v102, v94, v95
	v_lshl_or_b32 v75, v69, 11, v73
	v_or_b32_e32 v69, 2, v70
	v_cmp_eq_u32_e64 s24, 6, v72
	v_cmp_eq_u32_e64 s26, 6, v71
	v_fma_mixlo_f16 v94, v102, v79, 0
	v_fma_mixlo_f16 v95, v102, v81, 0
	;; [unrolled: 1-line block ×8, first 2 shown]
	v_lshl_or_b32 v74, v66, 4, v75
	v_fma_mixhi_f16 v94, v102, v78, 0
	v_fma_mixhi_f16 v95, v102, v80, 0
	;; [unrolled: 1-line block ×8, first 2 shown]
	ds_store_b128 v74, v[94:97]
	ds_store_b128 v74, v[98:101] offset:1024
	s_waitcnt lgkmcnt(0)
	s_barrier
	buffer_gl0_inv
	ds_load_b128 v[78:81], v75
	ds_load_b128 v[82:85], v75 offset:16
	ds_load_b128 v[86:89], v75 offset:1024
	;; [unrolled: 1-line block ×3, first 2 shown]
	v_cmp_eq_u32_e64 s9, 1, v69
	v_cmp_eq_u32_e64 s13, 2, v69
	;; [unrolled: 1-line block ×11, first 2 shown]
	s_waitcnt lgkmcnt(3)
	v_lshrrev_b32_e32 v94, 16, v78
	s_waitcnt lgkmcnt(2)
	v_lshrrev_b32_e32 v98, 16, v82
	;; [unrolled: 2-line block ×4, first 2 shown]
	v_lshrrev_b32_e32 v95, 16, v79
	v_cndmask_b32_e64 v110, v78, v94, s3
	v_cndmask_b32_e64 v111, v82, v98, s3
	;; [unrolled: 1-line block ×8, first 2 shown]
	v_lshrrev_b32_e32 v99, 16, v83
	v_cndmask_b32_e64 v94, v86, v102, s3
	v_cndmask_b32_e64 v98, v90, v106, s3
	;; [unrolled: 1-line block ×15, first 2 shown]
	v_lshrrev_b32_e32 v103, 16, v87
	v_lshrrev_b32_e32 v107, 16, v91
	v_cndmask_b32_e64 v113, v115, v83, s13
	v_cndmask_b32_e64 v82, v94, v87, s4
	;; [unrolled: 1-line block ×7, first 2 shown]
	v_cndmask_b32_e32 v90, v102, v95, vcc_lo
	v_cndmask_b32_e32 v102, v106, v99, vcc_lo
	v_cndmask_b32_e64 v106, v110, v95, s12
	v_cndmask_b32_e64 v110, v111, v99, s12
	;; [unrolled: 1-line block ×4, first 2 shown]
	v_lshrrev_b32_e32 v96, 16, v80
	v_lshrrev_b32_e32 v100, 16, v84
	v_cndmask_b32_e64 v111, v112, v95, s16
	v_cndmask_b32_e64 v112, v113, v99, s16
	v_cndmask_b32_e32 v82, v82, v103, vcc_lo
	v_cndmask_b32_e32 v83, v83, v107, vcc_lo
	v_cndmask_b32_e64 v94, v94, v103, s12
	v_cndmask_b32_e64 v90, v90, v80, s2
	;; [unrolled: 1-line block ×7, first 2 shown]
	v_lshrrev_b32_e32 v104, 16, v88
	v_cndmask_b32_e64 v106, v111, v80, s20
	v_cndmask_b32_e64 v110, v112, v84, s20
	;; [unrolled: 1-line block ×11, first 2 shown]
	v_lshrrev_b32_e32 v97, 16, v81
	v_lshrrev_b32_e32 v101, 16, v85
	v_cndmask_b32_e64 v99, v106, v96, s22
	v_cndmask_b32_e64 v102, v110, v100, s22
	;; [unrolled: 1-line block ×7, first 2 shown]
	v_lshrrev_b32_e32 v105, 16, v89
	v_cndmask_b32_e64 v80, v80, v104, s5
	v_cndmask_b32_e64 v84, v84, v81, s6
	;; [unrolled: 1-line block ×16, first 2 shown]
	v_perm_b32 v81, v79, v78, 0x5040100
	v_perm_b32 v79, v95, v85, 0x5040100
	v_cndmask_b32_e64 v78, v119, v91, s13
	v_cndmask_b32_e64 v85, v117, v91, s11
	;; [unrolled: 1-line block ×3, first 2 shown]
	v_perm_b32 v80, v94, v90, 0x5040100
	v_cndmask_b32_e64 v90, v98, v103, s16
	v_cndmask_b32_e64 v86, v86, v103, s17
	;; [unrolled: 1-line block ×5, first 2 shown]
	v_lshrrev_b32_e32 v108, 16, v92
	v_cndmask_b32_e64 v90, v90, v88, s20
	v_cndmask_b32_e64 v86, v86, v88, s21
	;; [unrolled: 1-line block ×11, first 2 shown]
	v_lshrrev_b32_e32 v109, 16, v93
	v_cndmask_b32_e64 v82, v82, v93, s6
	v_cndmask_b32_e64 v88, v88, v89, s25
	;; [unrolled: 1-line block ×12, first 2 shown]
	v_perm_b32 v78, v84, v83, 0x5040100
	v_perm_b32 v85, v87, v86, 0x5040100
	;; [unrolled: 1-line block ×5, first 2 shown]
	s_mul_i32 s7, s33, 10
	s_mov_b32 s2, exec_lo
	ds_store_b128 v74, v[78:81]
	ds_store_b128 v74, v[82:85] offset:1024
	v_cmpx_gt_u32_e32 10, v0
	s_cbranch_execz .LBB1287_14
; %bb.13:
	s_mul_i32 s3, s7, s30
	s_load_b128 s[8:11], s[0:1], 0x58
	v_add3_u32 v68, s3, s31, v68
	s_delay_alu instid0(VALU_DEP_1) | instskip(NEXT) | instid1(VALU_DEP_1)
	v_mad_u64_u32 v[78:79], null, v68, s34, s[14:15]
	v_ashrrev_i32_e32 v79, 31, v78
	s_delay_alu instid0(VALU_DEP_1) | instskip(SKIP_1) | instid1(VALU_DEP_1)
	v_lshlrev_b64 v[78:79], 2, v[78:79]
	s_waitcnt lgkmcnt(0)
	v_add_co_u32 v80, vcc_lo, s10, v78
	s_delay_alu instid0(VALU_DEP_2)
	v_add_co_ci_u32_e32 v81, vcc_lo, s11, v79, vcc_lo
	v_add_co_u32 v78, vcc_lo, s8, v78
	v_add_co_ci_u32_e32 v79, vcc_lo, s9, v79, vcc_lo
	global_store_b32 v[80:81], v76, off
	global_store_b32 v[78:79], v77, off
.LBB1287_14:
	s_or_b32 exec_lo, exec_lo, s2
	s_waitcnt lgkmcnt(0)
	s_waitcnt_vscnt null, 0x0
	s_barrier
	buffer_gl0_inv
	ds_load_b128 v[84:87], v73
	ds_load_b128 v[88:91], v73 offset:16
	ds_load_b128 v[96:99], v73 offset:2064
	;; [unrolled: 1-line block ×5, first 2 shown]
	v_cmp_eq_u32_e32 vcc_lo, 1, v70
	v_mov_b32_e32 v76, 0
	ds_load_b128 v[112:115], v73 offset:6160
	ds_load_b128 v[108:111], v73 offset:6144
	;; [unrolled: 1-line block ×4, first 2 shown]
	v_cmp_eq_u32_e64 s3, 1, v69
	v_cmp_eq_u32_e64 s2, 1, v72
	v_cmp_eq_u32_e64 s4, 2, v72
	v_mov_b32_e32 v77, v76
	v_mov_b32_e32 v78, v76
	;; [unrolled: 1-line block ×7, first 2 shown]
	v_cmp_eq_u32_e64 s5, 3, v72
	v_cmp_eq_u32_e64 s6, 7, v72
	s_waitcnt lgkmcnt(8)
	s_delay_alu instid0(VALU_DEP_3)
	v_wmma_f32_16x16x16_f16 v[76:83], v[49:56], v[84:91], v[76:83]
	ds_load_b128 v[53:56], v73 offset:10256
	ds_load_b128 v[49:52], v73 offset:10240
	s_waitcnt lgkmcnt(8)
	v_wmma_f32_16x16x16_f16 v[76:83], v[41:48], v[92:99], v[76:83]
	ds_load_b128 v[45:48], v73 offset:12304
	ds_load_b128 v[41:44], v73 offset:12288
	s_waitcnt lgkmcnt(8)
	;; [unrolled: 4-line block ×3, first 2 shown]
	s_barrier
	buffer_gl0_inv
	v_wmma_f32_16x16x16_f16 v[76:83], v[1:8], v[108:115], v[76:83]
	s_delay_alu instid0(VALU_DEP_1) | instskip(NEXT) | instid1(VALU_DEP_1)
	v_wmma_f32_16x16x16_f16 v[76:83], v[9:16], v[116:123], v[76:83]
	v_wmma_f32_16x16x16_f16 v[76:83], v[17:24], v[49:56], v[76:83]
	s_delay_alu instid0(VALU_DEP_1) | instskip(NEXT) | instid1(VALU_DEP_1)
	v_wmma_f32_16x16x16_f16 v[76:83], v[25:32], v[41:48], v[76:83]
	v_wmma_f32_16x16x16_f16 v[76:83], v[57:64], v[33:40], v[76:83]
	s_delay_alu instid0(VALU_DEP_1) | instskip(NEXT) | instid1(VALU_DEP_2)
	v_cvt_f16_f32_e32 v1, v76
	v_cvt_f16_f32_e32 v2, v77
	s_delay_alu instid0(VALU_DEP_3) | instskip(NEXT) | instid1(VALU_DEP_4)
	v_cvt_f16_f32_e32 v3, v78
	v_cvt_f16_f32_e32 v4, v79
	;; [unrolled: 1-line block ×6, first 2 shown]
	v_pack_b32_f16 v1, v1, v2
	v_pack_b32_f16 v2, v3, v4
	;; [unrolled: 1-line block ×3, first 2 shown]
	s_delay_alu instid0(VALU_DEP_4)
	v_pack_b32_f16 v4, v7, v8
	ds_store_b128 v74, v[1:4]
	s_waitcnt lgkmcnt(0)
	s_barrier
	buffer_gl0_inv
	ds_load_b128 v[1:4], v75
	ds_load_b128 v[5:8], v75 offset:16
	s_waitcnt lgkmcnt(1)
	v_lshrrev_b32_e32 v9, 16, v1
	s_waitcnt lgkmcnt(0)
	v_lshrrev_b32_e32 v13, 16, v5
	v_lshrrev_b32_e32 v10, 16, v2
	v_lshrrev_b32_e32 v14, 16, v6
	v_lshrrev_b32_e32 v11, 16, v3
	v_cndmask_b32_e32 v17, v1, v9, vcc_lo
	v_cndmask_b32_e32 v18, v5, v13, vcc_lo
	v_cndmask_b32_e64 v21, v1, v9, s3
	v_cmp_eq_u32_e32 vcc_lo, 1, v71
	v_cndmask_b32_e64 v22, v5, v13, s3
	v_cmp_eq_u32_e64 s3, 2, v70
	v_cndmask_b32_e64 v19, v1, v9, s2
	v_cndmask_b32_e64 v20, v5, v13, s2
	v_cndmask_b32_e32 v1, v1, v9, vcc_lo
	v_cmp_eq_u32_e64 s2, 2, v71
	v_cndmask_b32_e32 v5, v5, v13, vcc_lo
	v_cndmask_b32_e64 v9, v17, v2, s3
	v_cmp_eq_u32_e32 vcc_lo, 3, v70
	v_cndmask_b32_e64 v13, v18, v6, s3
	v_cmp_eq_u32_e64 s3, 2, v69
	v_cndmask_b32_e64 v17, v19, v2, s4
	v_cndmask_b32_e64 v18, v20, v6, s4
	v_cmp_eq_u32_e64 s4, 3, v69
	v_cndmask_b32_e64 v1, v1, v2, s2
	v_cndmask_b32_e64 v19, v21, v2, s3
	;; [unrolled: 1-line block ×4, first 2 shown]
	v_cndmask_b32_e32 v5, v9, v10, vcc_lo
	v_cndmask_b32_e32 v6, v13, v14, vcc_lo
	v_cmp_eq_u32_e32 vcc_lo, 3, v71
	v_cndmask_b32_e64 v9, v17, v10, s5
	v_cndmask_b32_e64 v13, v18, v14, s5
	;; [unrolled: 1-line block ×3, first 2 shown]
	v_cmp_eq_u32_e64 s3, 4, v70
	v_cndmask_b32_e32 v1, v1, v10, vcc_lo
	v_cndmask_b32_e32 v2, v2, v14, vcc_lo
	v_cmp_eq_u32_e32 vcc_lo, 4, v72
	v_lshrrev_b32_e32 v15, 16, v7
	v_lshrrev_b32_e32 v16, 16, v8
	v_cndmask_b32_e64 v17, v19, v10, s4
	v_cmp_eq_u32_e64 s2, 4, v71
	v_cndmask_b32_e64 v5, v5, v3, s3
	v_cndmask_b32_e64 v6, v6, v7, s3
	v_cndmask_b32_e32 v9, v9, v3, vcc_lo
	v_cmp_eq_u32_e64 s3, 5, v72
	v_cndmask_b32_e32 v10, v13, v7, vcc_lo
	v_cmp_eq_u32_e32 vcc_lo, 4, v69
	v_cmp_eq_u32_e64 s4, 5, v70
	v_cndmask_b32_e64 v2, v2, v7, s2
	v_cndmask_b32_e64 v9, v9, v11, s3
	;; [unrolled: 1-line block ×3, first 2 shown]
	v_cndmask_b32_e32 v13, v17, v3, vcc_lo
	v_cmp_eq_u32_e64 s3, 5, v69
	v_cndmask_b32_e32 v14, v18, v7, vcc_lo
	v_cndmask_b32_e64 v1, v1, v3, s2
	v_cmp_eq_u32_e32 vcc_lo, 5, v71
	v_lshrrev_b32_e32 v12, 16, v4
	v_cndmask_b32_e64 v13, v13, v11, s3
	v_cndmask_b32_e64 v3, v14, v15, s3
	v_cmp_eq_u32_e64 s3, 6, v71
	v_cndmask_b32_e32 v1, v1, v11, vcc_lo
	v_cndmask_b32_e64 v5, v5, v11, s4
	v_cmp_eq_u32_e64 s5, 6, v70
	v_cndmask_b32_e64 v6, v6, v15, s4
	v_cmp_eq_u32_e64 s4, 6, v72
	v_cmp_eq_u32_e64 s2, 6, v69
	v_cndmask_b32_e64 v1, v1, v4, s3
	v_cndmask_b32_e32 v2, v2, v15, vcc_lo
	v_cmp_eq_u32_e32 vcc_lo, 7, v71
	v_cndmask_b32_e64 v5, v5, v4, s5
	v_cndmask_b32_e64 v9, v9, v4, s4
	;; [unrolled: 1-line block ×3, first 2 shown]
	v_cmp_eq_u32_e64 s5, 7, v70
	v_cndmask_b32_e32 v1, v1, v12, vcc_lo
	v_cndmask_b32_e64 v7, v13, v4, s2
	v_cndmask_b32_e64 v3, v3, v8, s2
	;; [unrolled: 1-line block ×3, first 2 shown]
	v_cmp_eq_u32_e64 s2, 7, v69
	v_cndmask_b32_e64 v4, v10, v8, s4
	v_cndmask_b32_e64 v5, v5, v12, s5
	;; [unrolled: 1-line block ×3, first 2 shown]
	v_cndmask_b32_e32 v2, v2, v16, vcc_lo
	v_cndmask_b32_e64 v7, v7, v12, s2
	v_cndmask_b32_e64 v3, v3, v16, s2
	;; [unrolled: 1-line block ×4, first 2 shown]
	v_perm_b32 v4, v2, v1, 0x5040100
	s_mov_b32 s2, exec_lo
	v_perm_b32 v3, v3, v7, 0x5040100
	v_perm_b32 v2, v8, v9, 0x5040100
	;; [unrolled: 1-line block ×3, first 2 shown]
	ds_store_b128 v74, v[1:4]
	s_waitcnt lgkmcnt(0)
	s_barrier
	buffer_gl0_inv
	v_cmpx_gt_u32_e32 32, v0
	s_cbranch_execz .LBB1287_2
; %bb.15:
	s_load_b64 s[0:1], s[0:1], 0x68
	s_lshl_b32 s4, s34, 7
	v_or_b32_e32 v2, s31, v66
	s_mul_i32 s2, s4, s30
	v_lshlrev_b32_e32 v0, 10, v0
	s_mul_i32 s2, s2, s7
	v_lshlrev_b32_e32 v1, 4, v67
	s_ashr_i32 s3, s2, 31
	v_mul_lo_u32 v20, v2, s4
	s_lshl_b64 s[2:3], s[2:3], 1
	v_lshlrev_b32_e32 v3, 6, v66
	v_and_b32_e32 v0, 0x3800, v0
	s_delay_alu instid0(VALU_DEP_1) | instskip(NEXT) | instid1(VALU_DEP_4)
	v_or3_b32 v16, v0, v1, v3
	v_ashrrev_i32_e32 v21, 31, v20
	ds_load_b128 v[0:3], v16
	ds_load_b128 v[4:7], v16 offset:128
	s_waitcnt lgkmcnt(0)
	s_add_u32 s2, s0, s2
	s_addc_u32 s3, s1, s3
	s_lshl_b32 s0, s14, 7
	ds_load_b128 v[8:11], v16 offset:256
	ds_load_b128 v[12:15], v16 offset:384
	;; [unrolled: 1-line block ×3, first 2 shown]
	s_ashr_i32 s1, s0, 31
	s_delay_alu instid0(SALU_CYCLE_1) | instskip(NEXT) | instid1(SALU_CYCLE_1)
	s_lshl_b64 s[0:1], s[0:1], 1
	s_add_u32 s0, s2, s0
	s_addc_u32 s1, s3, s1
	s_lshl_b32 s2, s34, 8
	v_add_co_u32 v30, s0, s0, v65
	v_add_nc_u32_e32 v22, s2, v20
	v_lshlrev_b64 v[20:21], 1, v[20:21]
	v_add_co_ci_u32_e64 v31, null, s1, 0, s0
	s_delay_alu instid0(VALU_DEP_3) | instskip(SKIP_1) | instid1(VALU_DEP_4)
	v_add_nc_u32_e32 v24, s2, v22
	v_ashrrev_i32_e32 v23, 31, v22
	v_add_co_u32 v20, vcc_lo, v30, v20
	s_delay_alu instid0(VALU_DEP_4) | instskip(NEXT) | instid1(VALU_DEP_4)
	v_add_co_ci_u32_e32 v21, vcc_lo, v31, v21, vcc_lo
	v_add_nc_u32_e32 v26, s2, v24
	v_ashrrev_i32_e32 v25, 31, v24
	v_lshlrev_b64 v[22:23], 1, v[22:23]
	s_delay_alu instid0(VALU_DEP_3) | instskip(SKIP_1) | instid1(VALU_DEP_4)
	v_add_nc_u32_e32 v28, s2, v26
	v_ashrrev_i32_e32 v27, 31, v26
	v_lshlrev_b64 v[24:25], 1, v[24:25]
	s_delay_alu instid0(VALU_DEP_4) | instskip(NEXT) | instid1(VALU_DEP_4)
	v_add_co_u32 v22, vcc_lo, v30, v22
	v_ashrrev_i32_e32 v29, 31, v28
	s_delay_alu instid0(VALU_DEP_4) | instskip(SKIP_2) | instid1(VALU_DEP_4)
	v_lshlrev_b64 v[26:27], 1, v[26:27]
	v_add_co_ci_u32_e32 v23, vcc_lo, v31, v23, vcc_lo
	v_add_co_u32 v24, vcc_lo, v30, v24
	v_lshlrev_b64 v[28:29], 1, v[28:29]
	v_add_co_ci_u32_e32 v25, vcc_lo, v31, v25, vcc_lo
	v_add_co_u32 v26, vcc_lo, v30, v26
	v_add_co_ci_u32_e32 v27, vcc_lo, v31, v27, vcc_lo
	s_delay_alu instid0(VALU_DEP_4)
	v_add_co_u32 v28, vcc_lo, v30, v28
	v_add_co_ci_u32_e32 v29, vcc_lo, v31, v29, vcc_lo
	s_clause 0x1
	global_store_b128 v[20:21], v[0:3], off
	global_store_b128 v[22:23], v[4:7], off
	s_waitcnt lgkmcnt(2)
	global_store_b128 v[24:25], v[8:11], off
	s_waitcnt lgkmcnt(1)
	;; [unrolled: 2-line block ×3, first 2 shown]
	global_store_b128 v[28:29], v[16:19], off
	s_nop 0
	s_sendmsg sendmsg(MSG_DEALLOC_VGPRS)
	s_endpgm
	.section	.rodata,"a",@progbits
	.p2align	6, 0x0
	.amdhsa_kernel _Z39paged_attention_ll4mi_QKV_mfma16_kernelIDF16_hLN4vllm18Fp8KVCacheDataTypeE1EhLi32ELi128ELi256ELb1ELi10EL8MFMAType0EEvPKT_PKT0_S8_ifPKiSA_SA_iPKfiiiPfSD_PS3_PT2_iSC_SC_
		.amdhsa_group_segment_fixed_size 17472
		.amdhsa_private_segment_fixed_size 0
		.amdhsa_kernarg_size 400
		.amdhsa_user_sgpr_count 13
		.amdhsa_user_sgpr_dispatch_ptr 0
		.amdhsa_user_sgpr_queue_ptr 0
		.amdhsa_user_sgpr_kernarg_segment_ptr 1
		.amdhsa_user_sgpr_dispatch_id 0
		.amdhsa_user_sgpr_private_segment_size 0
		.amdhsa_wavefront_size32 1
		.amdhsa_uses_dynamic_stack 0
		.amdhsa_enable_private_segment 0
		.amdhsa_system_sgpr_workgroup_id_x 1
		.amdhsa_system_sgpr_workgroup_id_y 1
		.amdhsa_system_sgpr_workgroup_id_z 1
		.amdhsa_system_sgpr_workgroup_info 0
		.amdhsa_system_vgpr_workitem_id 0
		.amdhsa_next_free_vgpr 150
		.amdhsa_next_free_sgpr 37
		.amdhsa_reserve_vcc 1
		.amdhsa_float_round_mode_32 0
		.amdhsa_float_round_mode_16_64 0
		.amdhsa_float_denorm_mode_32 3
		.amdhsa_float_denorm_mode_16_64 3
		.amdhsa_dx10_clamp 1
		.amdhsa_ieee_mode 1
		.amdhsa_fp16_overflow 0
		.amdhsa_workgroup_processor_mode 1
		.amdhsa_memory_ordered 1
		.amdhsa_forward_progress 0
		.amdhsa_shared_vgpr_count 0
		.amdhsa_exception_fp_ieee_invalid_op 0
		.amdhsa_exception_fp_denorm_src 0
		.amdhsa_exception_fp_ieee_div_zero 0
		.amdhsa_exception_fp_ieee_overflow 0
		.amdhsa_exception_fp_ieee_underflow 0
		.amdhsa_exception_fp_ieee_inexact 0
		.amdhsa_exception_int_div_zero 0
	.end_amdhsa_kernel
	.section	.text._Z39paged_attention_ll4mi_QKV_mfma16_kernelIDF16_hLN4vllm18Fp8KVCacheDataTypeE1EhLi32ELi128ELi256ELb1ELi10EL8MFMAType0EEvPKT_PKT0_S8_ifPKiSA_SA_iPKfiiiPfSD_PS3_PT2_iSC_SC_,"axG",@progbits,_Z39paged_attention_ll4mi_QKV_mfma16_kernelIDF16_hLN4vllm18Fp8KVCacheDataTypeE1EhLi32ELi128ELi256ELb1ELi10EL8MFMAType0EEvPKT_PKT0_S8_ifPKiSA_SA_iPKfiiiPfSD_PS3_PT2_iSC_SC_,comdat
.Lfunc_end1287:
	.size	_Z39paged_attention_ll4mi_QKV_mfma16_kernelIDF16_hLN4vllm18Fp8KVCacheDataTypeE1EhLi32ELi128ELi256ELb1ELi10EL8MFMAType0EEvPKT_PKT0_S8_ifPKiSA_SA_iPKfiiiPfSD_PS3_PT2_iSC_SC_, .Lfunc_end1287-_Z39paged_attention_ll4mi_QKV_mfma16_kernelIDF16_hLN4vllm18Fp8KVCacheDataTypeE1EhLi32ELi128ELi256ELb1ELi10EL8MFMAType0EEvPKT_PKT0_S8_ifPKiSA_SA_iPKfiiiPfSD_PS3_PT2_iSC_SC_
                                        ; -- End function
	.section	.AMDGPU.csdata,"",@progbits
; Kernel info:
; codeLenInByte = 6708
; NumSgprs: 39
; NumVgprs: 150
; ScratchSize: 0
; MemoryBound: 0
; FloatMode: 240
; IeeeMode: 1
; LDSByteSize: 17472 bytes/workgroup (compile time only)
; SGPRBlocks: 4
; VGPRBlocks: 18
; NumSGPRsForWavesPerEU: 39
; NumVGPRsForWavesPerEU: 150
; Occupancy: 9
; WaveLimiterHint : 1
; COMPUTE_PGM_RSRC2:SCRATCH_EN: 0
; COMPUTE_PGM_RSRC2:USER_SGPR: 13
; COMPUTE_PGM_RSRC2:TRAP_HANDLER: 0
; COMPUTE_PGM_RSRC2:TGID_X_EN: 1
; COMPUTE_PGM_RSRC2:TGID_Y_EN: 1
; COMPUTE_PGM_RSRC2:TGID_Z_EN: 1
; COMPUTE_PGM_RSRC2:TIDIG_COMP_CNT: 0
	.section	.text._Z39paged_attention_ll4mi_QKV_mfma16_kernelIDF16_hLN4vllm18Fp8KVCacheDataTypeE1EhLi32ELi128ELi256ELb1ELi11EL8MFMAType0EEvPKT_PKT0_S8_ifPKiSA_SA_iPKfiiiPfSD_PS3_PT2_iSC_SC_,"axG",@progbits,_Z39paged_attention_ll4mi_QKV_mfma16_kernelIDF16_hLN4vllm18Fp8KVCacheDataTypeE1EhLi32ELi128ELi256ELb1ELi11EL8MFMAType0EEvPKT_PKT0_S8_ifPKiSA_SA_iPKfiiiPfSD_PS3_PT2_iSC_SC_,comdat
	.protected	_Z39paged_attention_ll4mi_QKV_mfma16_kernelIDF16_hLN4vllm18Fp8KVCacheDataTypeE1EhLi32ELi128ELi256ELb1ELi11EL8MFMAType0EEvPKT_PKT0_S8_ifPKiSA_SA_iPKfiiiPfSD_PS3_PT2_iSC_SC_ ; -- Begin function _Z39paged_attention_ll4mi_QKV_mfma16_kernelIDF16_hLN4vllm18Fp8KVCacheDataTypeE1EhLi32ELi128ELi256ELb1ELi11EL8MFMAType0EEvPKT_PKT0_S8_ifPKiSA_SA_iPKfiiiPfSD_PS3_PT2_iSC_SC_
	.globl	_Z39paged_attention_ll4mi_QKV_mfma16_kernelIDF16_hLN4vllm18Fp8KVCacheDataTypeE1EhLi32ELi128ELi256ELb1ELi11EL8MFMAType0EEvPKT_PKT0_S8_ifPKiSA_SA_iPKfiiiPfSD_PS3_PT2_iSC_SC_
	.p2align	8
	.type	_Z39paged_attention_ll4mi_QKV_mfma16_kernelIDF16_hLN4vllm18Fp8KVCacheDataTypeE1EhLi32ELi128ELi256ELb1ELi11EL8MFMAType0EEvPKT_PKT0_S8_ifPKiSA_SA_iPKfiiiPfSD_PS3_PT2_iSC_SC_,@function
_Z39paged_attention_ll4mi_QKV_mfma16_kernelIDF16_hLN4vllm18Fp8KVCacheDataTypeE1EhLi32ELi128ELi256ELb1ELi11EL8MFMAType0EEvPKT_PKT0_S8_ifPKiSA_SA_iPKfiiiPfSD_PS3_PT2_iSC_SC_: ; @_Z39paged_attention_ll4mi_QKV_mfma16_kernelIDF16_hLN4vllm18Fp8KVCacheDataTypeE1EhLi32ELi128ELi256ELb1ELi11EL8MFMAType0EEvPKT_PKT0_S8_ifPKiSA_SA_iPKfiiiPfSD_PS3_PT2_iSC_SC_
; %bb.0:
	s_load_b64 s[4:5], s[0:1], 0x30
	s_mov_b32 s34, s13
	s_waitcnt lgkmcnt(0)
	s_cmp_lg_u64 s[4:5], 0
	s_cselect_b32 s8, -1, 0
	s_ashr_i32 s35, s13, 31
	s_cmp_eq_u64 s[4:5], 0
	s_cbranch_scc1 .LBB1288_3
; %bb.1:
	s_lshl_b64 s[2:3], s[34:35], 2
	s_delay_alu instid0(SALU_CYCLE_1) | instskip(SKIP_4) | instid1(SALU_CYCLE_1)
	s_add_u32 s2, s4, s2
	s_addc_u32 s3, s5, s3
	s_load_b64 s[2:3], s[2:3], 0x0
	s_waitcnt lgkmcnt(0)
	s_sub_i32 s2, s3, s2
	s_cmp_eq_u32 s2, 1
	s_cselect_b32 s2, -1, 0
	s_delay_alu instid0(SALU_CYCLE_1)
	s_and_not1_b32 vcc_lo, exec_lo, s2
	s_cbranch_vccz .LBB1288_4
.LBB1288_2:
	s_nop 0
	s_sendmsg sendmsg(MSG_DEALLOC_VGPRS)
	s_endpgm
.LBB1288_3:
.LBB1288_4:
	s_load_b64 s[2:3], s[0:1], 0x28
	s_lshl_b64 s[6:7], s[34:35], 2
	s_waitcnt lgkmcnt(0)
	s_add_u32 s2, s2, s6
	s_addc_u32 s3, s3, s7
	s_lshl_b32 s12, s14, 8
	s_load_b32 s24, s[2:3], 0x0
	s_waitcnt lgkmcnt(0)
	s_cmp_ge_i32 s12, s24
	s_cbranch_scc1 .LBB1288_2
; %bb.5:
	s_clause 0x1
	s_load_b128 s[20:23], s[0:1], 0x8
	s_load_b64 s[2:3], s[0:1], 0x20
	s_and_not1_b32 vcc_lo, exec_lo, s8
	s_cbranch_vccnz .LBB1288_7
; %bb.6:
	s_add_u32 s4, s4, s6
	s_addc_u32 s5, s5, s7
	s_load_b32 s5, s[4:5], 0x0
	s_branch .LBB1288_8
.LBB1288_7:
	s_mov_b32 s5, s34
.LBB1288_8:
	s_load_b128 s[16:19], s[0:1], 0x48
	v_and_b32_e32 v68, 15, v0
	v_lshrrev_b32_e32 v69, 5, v0
	v_bfe_u32 v66, v0, 4, 1
	v_and_b32_e32 v70, 31, v0
	v_and_b32_e32 v67, 1, v0
	v_lshlrev_b32_e32 v2, 3, v68
	s_mul_i32 s31, s15, 11
	v_lshl_or_b32 v1, v69, 1, v66
	s_mov_b32 s4, exec_lo
	s_delay_alu instid0(VALU_DEP_2) | instskip(NEXT) | instid1(VALU_DEP_2)
	v_lshlrev_b32_e32 v65, 1, v2
	v_cmpx_gt_u32_e32 11, v1
	s_cbranch_execz .LBB1288_10
; %bb.9:
	s_load_b64 s[6:7], s[0:1], 0x0
	v_add_lshl_u32 v2, v1, s31, 7
	s_waitcnt lgkmcnt(0)
	s_mul_hi_i32 s9, s5, s16
	s_mul_i32 s8, s5, s16
	v_lshlrev_b32_e32 v6, 10, v68
	s_lshl_b64 s[8:9], s[8:9], 1
	v_ashrrev_i32_e32 v3, 31, v2
	v_lshlrev_b32_e32 v1, 6, v1
	v_lshlrev_b32_e32 v7, 10, v67
	v_and_b32_e32 v6, 0x3800, v6
	s_delay_alu instid0(VALU_DEP_4) | instskip(NEXT) | instid1(VALU_DEP_2)
	v_lshlrev_b64 v[2:3], 1, v[2:3]
	v_or3_b32 v1, v6, v7, v1
	s_add_u32 s5, s6, s8
	s_addc_u32 s6, s7, s9
	s_delay_alu instid0(VALU_DEP_2) | instskip(NEXT) | instid1(VALU_DEP_3)
	v_add_co_u32 v2, vcc_lo, s5, v2
	v_add_co_ci_u32_e32 v3, vcc_lo, s6, v3, vcc_lo
	s_delay_alu instid0(VALU_DEP_2) | instskip(NEXT) | instid1(VALU_DEP_2)
	v_add_co_u32 v2, vcc_lo, v2, v65
	v_add_co_ci_u32_e32 v3, vcc_lo, 0, v3, vcc_lo
	global_load_b128 v[2:5], v[2:3], off
	s_waitcnt vmcnt(0)
	ds_store_b128 v1, v[2:5]
.LBB1288_10:
	s_or_b32 exec_lo, exec_lo, s4
	v_and_b32_e32 v1, 0xef, v0
	s_waitcnt lgkmcnt(0)
	s_add_i32 s5, s24, 31
	s_clause 0x1
	s_load_b32 s4, s[0:1], 0x38
	s_load_b32 s33, s[0:1], 0x98
	s_ashr_i32 s6, s5, 31
	v_add_nc_u32_e32 v1, s12, v1
	s_lshr_b32 s6, s6, 27
	s_load_b32 s19, s[0:1], 0x1c
	s_add_i32 s5, s5, s6
	s_waitcnt lgkmcnt(0)
	v_ashrrev_i32_e32 v2, 31, v1
	v_or_b32_e32 v3, 16, v1
	s_ashr_i32 s13, s5, 5
	v_cmp_gt_i32_e32 vcc_lo, s24, v1
	s_add_i32 s13, s13, -1
	v_lshrrev_b32_e32 v2, 27, v2
	s_barrier
	buffer_gl0_inv
	s_mul_i32 s15, s15, s18
	v_add_nc_u32_e32 v4, v1, v2
	s_mul_i32 s4, s34, s4
	s_delay_alu instid0(SALU_CYCLE_1) | instskip(NEXT) | instid1(VALU_DEP_1)
	s_ashr_i32 s5, s4, 31
	v_ashrrev_i32_e32 v4, 5, v4
	v_add_nc_u32_e32 v2, v3, v2
	s_lshl_b64 s[4:5], s[4:5], 2
	s_delay_alu instid0(SALU_CYCLE_1) | instskip(NEXT) | instid1(VALU_DEP_2)
	s_add_u32 s16, s2, s4
	v_cndmask_b32_e32 v1, s13, v4, vcc_lo
	s_delay_alu instid0(VALU_DEP_2)
	v_ashrrev_i32_e32 v2, 5, v2
	v_cmp_gt_i32_e32 vcc_lo, s24, v3
	s_addc_u32 s25, s3, s5
	s_ashr_i32 s18, s15, 31
	s_add_u32 s2, s20, s15
	s_addc_u32 s3, s21, s18
	v_cndmask_b32_e32 v3, s13, v2, vcc_lo
	v_ashrrev_i32_e32 v2, 31, v1
	s_lshl_b32 s4, s14, 3
	s_delay_alu instid0(SALU_CYCLE_1) | instskip(NEXT) | instid1(VALU_DEP_2)
	s_ashr_i32 s5, s4, 31
	v_ashrrev_i32_e32 v4, 31, v3
	s_delay_alu instid0(VALU_DEP_2) | instskip(SKIP_1) | instid1(SALU_CYCLE_1)
	v_lshlrev_b64 v[1:2], 2, v[1:2]
	s_lshl_b64 s[4:5], s[4:5], 2
	s_add_u32 s4, s16, s4
	s_delay_alu instid0(VALU_DEP_2) | instskip(SKIP_1) | instid1(VALU_DEP_2)
	v_lshlrev_b64 v[3:4], 2, v[3:4]
	s_addc_u32 s5, s25, s5
	v_add_co_u32 v1, vcc_lo, s16, v1
	v_add_co_ci_u32_e32 v2, vcc_lo, s25, v2, vcc_lo
	s_delay_alu instid0(VALU_DEP_3) | instskip(NEXT) | instid1(VALU_DEP_4)
	v_add_co_u32 v3, vcc_lo, s16, v3
	v_add_co_ci_u32_e32 v4, vcc_lo, s25, v4, vcc_lo
	s_clause 0x1
	global_load_b32 v5, v[1:2], off
	global_load_b32 v6, v[3:4], off
	s_or_b32 s6, s12, 32
	s_delay_alu instid0(SALU_CYCLE_1) | instskip(SKIP_2) | instid1(SALU_CYCLE_1)
	s_ashr_i32 s7, s6, 5
	s_cmp_lt_i32 s6, s24
	s_cselect_b32 s6, s7, s13
	s_ashr_i32 s7, s6, 31
	s_delay_alu instid0(SALU_CYCLE_1) | instskip(NEXT) | instid1(SALU_CYCLE_1)
	s_lshl_b64 s[6:7], s[6:7], 2
	s_add_u32 s6, s16, s6
	s_addc_u32 s7, s25, s7
	s_or_b32 s8, s12, 64
	s_delay_alu instid0(SALU_CYCLE_1) | instskip(SKIP_2) | instid1(SALU_CYCLE_1)
	s_ashr_i32 s9, s8, 5
	s_cmp_lt_i32 s8, s24
	s_cselect_b32 s8, s9, s13
	s_ashr_i32 s9, s8, 31
	s_delay_alu instid0(SALU_CYCLE_1) | instskip(NEXT) | instid1(SALU_CYCLE_1)
	s_lshl_b64 s[8:9], s[8:9], 2
	s_add_u32 s8, s16, s8
	s_addc_u32 s9, s25, s9
	;; [unrolled: 10-line block ×5, first 2 shown]
	s_clause 0x5
	s_load_b32 s28, s[4:5], 0x0
	s_load_b32 s29, s[6:7], 0x0
	;; [unrolled: 1-line block ×6, first 2 shown]
	s_mov_b32 s4, 0
	s_delay_alu instid0(SALU_CYCLE_1)
	s_mov_b32 s5, s4
	s_mov_b32 s6, s4
	;; [unrolled: 1-line block ×7, first 2 shown]
	s_delay_alu instid0(SALU_CYCLE_1)
	v_dual_mov_b32 v118, s11 :: v_dual_mov_b32 v117, s10
	v_dual_mov_b32 v116, s9 :: v_dual_mov_b32 v115, s8
	v_mov_b32_e32 v113, s6
	v_dual_mov_b32 v111, s4 :: v_dual_mov_b32 v114, s7
	v_mov_b32_e32 v112, s5
	s_waitcnt vmcnt(1)
	v_mad_i64_i32 v[1:2], null, v5, s17, s[2:3]
	v_lshlrev_b32_e32 v5, 4, v68
	s_waitcnt vmcnt(0)
	v_mad_i64_i32 v[3:4], null, v6, s17, s[2:3]
	s_or_b32 s2, s12, 0xc0
	s_delay_alu instid0(SALU_CYCLE_1) | instskip(NEXT) | instid1(VALU_DEP_3)
	s_ashr_i32 s3, s2, 5
	v_add_co_u32 v1, vcc_lo, v1, v5
	s_delay_alu instid0(VALU_DEP_4) | instskip(NEXT) | instid1(VALU_DEP_3)
	v_add_co_ci_u32_e32 v2, vcc_lo, 0, v2, vcc_lo
	v_add_co_u32 v3, vcc_lo, v3, v5
	s_delay_alu instid0(VALU_DEP_4)
	v_add_co_ci_u32_e32 v4, vcc_lo, 0, v4, vcc_lo
	s_clause 0xf
	global_load_b128 v[17:20], v[1:2], off
	global_load_b128 v[21:24], v[1:2], off offset:512
	global_load_b128 v[25:28], v[3:4], off offset:256
	;; [unrolled: 1-line block ×15, first 2 shown]
	s_cmp_lt_i32 s2, s24
	v_add_nc_u32_e32 v1, -11, v68
	s_cselect_b32 s2, s3, s13
	v_cmp_gt_u32_e32 vcc_lo, 11, v68
	s_ashr_i32 s3, s2, 31
	v_lshlrev_b32_e32 v2, 5, v68
	s_lshl_b64 s[2:3], s[2:3], 2
	s_delay_alu instid0(SALU_CYCLE_1)
	s_add_u32 s2, s16, s2
	s_addc_u32 s3, s25, s3
	s_or_b32 s20, s12, 0xe0
	v_cndmask_b32_e32 v1, v1, v68, vcc_lo
	s_ashr_i32 s21, s20, 5
	s_cmp_lt_i32 s20, s24
	s_cselect_b32 s20, s21, s13
	s_delay_alu instid0(VALU_DEP_1)
	v_lshlrev_b32_e32 v149, 6, v1
	s_ashr_i32 s21, s20, 31
	v_lshl_or_b32 v1, v69, 9, v2
	s_lshl_b64 s[4:5], s[20:21], 2
	ds_load_b128 v[119:122], v149
	ds_load_b128 v[123:126], v149 offset:1024
	s_add_u32 s4, s16, s4
	s_addc_u32 s5, s25, s5
	ds_load_b128 v[127:130], v149 offset:2048
	ds_load_b128 v[131:134], v149 offset:3072
	s_clause 0x1
	s_load_b32 s2, s[2:3], 0x0
	s_load_b32 s3, s[4:5], 0x0
	s_add_u32 s6, s22, s15
	s_addc_u32 s7, s23, s18
	v_add_co_u32 v135, s6, s6, v1
	s_delay_alu instid0(VALU_DEP_1) | instskip(SKIP_1) | instid1(VALU_DEP_1)
	v_add_co_ci_u32_e64 v136, null, s7, 0, s6
	s_waitcnt lgkmcnt(0)
	v_mad_i64_i32 v[1:2], null, s28, s17, v[135:136]
	v_mad_i64_i32 v[3:4], null, s29, s17, v[135:136]
	;; [unrolled: 1-line block ×6, first 2 shown]
	s_clause 0x9
	global_load_b128 v[49:52], v[1:2], off
	global_load_b128 v[53:56], v[1:2], off offset:16
	global_load_b128 v[41:44], v[3:4], off
	global_load_b128 v[45:48], v[3:4], off offset:16
	;; [unrolled: 2-line block ×5, first 2 shown]
	v_mad_i64_i32 v[145:146], null, s2, s17, v[135:136]
	v_mad_i64_i32 v[147:148], null, s3, s17, v[135:136]
	s_waitcnt vmcnt(24)
	v_wmma_f32_16x16x16_f16 v[135:142], v[17:24], v[119:126], v[111:118]
	s_waitcnt vmcnt(22)
	v_wmma_f32_16x16x16_f16 v[111:118], v[25:32], v[119:126], v[111:118]
	s_clause 0x3
	global_load_b128 v[17:20], v[143:144], off
	global_load_b128 v[21:24], v[143:144], off offset:16
	global_load_b128 v[25:28], v[145:146], off
	global_load_b128 v[29:32], v[145:146], off offset:16
	v_and_b32_e32 v119, 0xe0, v0
	s_waitcnt vmcnt(24)
	v_wmma_f32_16x16x16_f16 v[135:142], v[57:64], v[127:134], v[135:142]
	s_clause 0x1
	global_load_b128 v[57:60], v[147:148], off
	global_load_b128 v[61:64], v[147:148], off offset:16
	s_waitcnt vmcnt(24)
	v_wmma_f32_16x16x16_f16 v[111:118], v[71:78], v[127:134], v[111:118]
	ds_load_b128 v[71:74], v149 offset:4096
	ds_load_b128 v[75:78], v149 offset:5120
	v_add_nc_u32_e32 v128, s12, v119
	ds_load_b128 v[119:122], v149 offset:6144
	ds_load_b128 v[123:126], v149 offset:7168
	v_mbcnt_lo_u32_b32 v127, -1, 0
	s_waitcnt vmcnt(0) lgkmcnt(0)
	s_barrier
	v_or_b32_e32 v128, v128, v66
	buffer_gl0_inv
	v_xor_b32_e32 v129, 16, v127
	v_or_b32_e32 v130, 4, v128
	v_or_b32_e32 v131, 6, v128
	s_delay_alu instid0(VALU_DEP_3) | instskip(SKIP_4) | instid1(VALU_DEP_4)
	v_cmp_gt_i32_e32 vcc_lo, 32, v129
	v_or_b32_e32 v132, 8, v128
	v_or_b32_e32 v133, 10, v128
	v_cmp_gt_i32_e64 s3, s24, v130
	v_cmp_gt_i32_e64 s4, s24, v131
	;; [unrolled: 1-line block ×3, first 2 shown]
	v_wmma_f32_16x16x16_f16 v[135:142], v[79:86], v[71:78], v[135:142]
	v_wmma_f32_16x16x16_f16 v[111:118], v[87:94], v[71:78], v[111:118]
	v_or_b32_e32 v79, 12, v128
	v_or_b32_e32 v80, 14, v128
	v_cmp_gt_i32_e64 s6, s24, v133
	v_wmma_f32_16x16x16_f16 v[135:142], v[95:102], v[119:126], v[135:142]
	v_wmma_f32_16x16x16_f16 v[111:118], v[103:110], v[119:126], v[111:118]
	v_cndmask_b32_e32 v127, v127, v129, vcc_lo
	v_or_b32_e32 v129, 2, v128
	v_cmp_gt_i32_e32 vcc_lo, s24, v128
	s_delay_alu instid0(VALU_DEP_4) | instskip(SKIP_1) | instid1(VALU_DEP_4)
	v_dual_mul_f32 v87, s19, v136 :: v_dual_mul_f32 v94, s19, v113
	v_mul_f32_e32 v88, s19, v135
	v_cmp_gt_i32_e64 s2, s24, v129
	v_mul_f32_e32 v78, s19, v138
	v_mul_f32_e32 v86, s19, v137
	v_mul_f32_e32 v76, s19, v140
	v_cndmask_b32_e32 v88, 0xff7fffff, v88, vcc_lo
	v_cndmask_b32_e64 v87, 0xff7fffff, v87, s2
	v_dual_mul_f32 v77, s19, v139 :: v_dual_mul_f32 v90, s19, v117
	v_cndmask_b32_e64 v86, 0xff7fffff, v86, s3
	v_cndmask_b32_e64 v78, 0xff7fffff, v78, s4
	s_delay_alu instid0(VALU_DEP_4)
	v_max3_f32 v87, v88, 0xff7fffff, v87
	v_or_b32_e32 v81, 16, v128
	v_or_b32_e32 v82, 18, v128
	v_dual_mul_f32 v74, s19, v142 :: v_dual_mul_f32 v75, s19, v141
	v_mul_f32_e32 v96, s19, v111
	v_cndmask_b32_e64 v77, 0xff7fffff, v77, s5
	v_cndmask_b32_e64 v76, 0xff7fffff, v76, s6
	v_max3_f32 v78, v87, v86, v78
	v_cmp_gt_i32_e64 s7, s24, v79
	v_cmp_gt_i32_e64 s8, s24, v80
	v_or_b32_e32 v83, 20, v128
	v_or_b32_e32 v84, 22, v128
	v_mul_f32_e32 v95, s19, v112
	v_cndmask_b32_e64 v75, 0xff7fffff, v75, s7
	v_cndmask_b32_e64 v74, 0xff7fffff, v74, s8
	v_max3_f32 v76, v78, v77, v76
	v_cmp_gt_i32_e64 s9, s24, v81
	v_cmp_gt_i32_e64 s10, s24, v82
	v_or_b32_e32 v85, 24, v128
	v_or_b32_e32 v71, 26, v128
	;; [unrolled: 8-line block ×3, first 2 shown]
	v_dual_mul_f32 v91, s19, v116 :: v_dual_mul_f32 v92, s19, v115
	v_cndmask_b32_e64 v75, 0xff7fffff, v94, s11
	v_cndmask_b32_e64 v76, 0xff7fffff, v93, s12
	v_max3_f32 v74, v74, v77, v78
	v_cmp_gt_i32_e64 s13, s24, v85
	v_cmp_gt_i32_e64 s15, s24, v71
	v_mul_f32_e32 v89, s19, v118
	v_cmp_gt_i32_e64 s16, s24, v72
	v_max3_f32 v74, v74, v75, v76
	v_cndmask_b32_e64 v77, 0xff7fffff, v92, s13
	v_cndmask_b32_e64 v71, 0xff7fffff, v91, s15
	v_cmp_gt_i32_e64 s17, s24, v73
	v_cndmask_b32_e64 v72, 0xff7fffff, v90, s16
	s_delay_alu instid0(VALU_DEP_3) | instskip(SKIP_1) | instid1(VALU_DEP_4)
	v_max3_f32 v71, v74, v77, v71
	v_lshlrev_b32_e32 v74, 2, v127
	v_cndmask_b32_e64 v73, 0xff7fffff, v89, s17
	s_delay_alu instid0(VALU_DEP_1) | instskip(SKIP_3) | instid1(VALU_DEP_1)
	v_max3_f32 v71, v71, v72, v73
	ds_bpermute_b32 v72, v74, v71
	s_waitcnt lgkmcnt(0)
	v_max_f32_e32 v72, v72, v72
	v_max_f32_e32 v71, v71, v72
	s_delay_alu instid0(VALU_DEP_1) | instskip(SKIP_4) | instid1(VALU_DEP_4)
	v_fma_f32 v72, s19, v135, -v71
	v_fma_f32 v73, s19, v136, -v71
	;; [unrolled: 1-line block ×5, first 2 shown]
	v_dual_mul_f32 v72, 0x3fb8aa3b, v72 :: v_dual_mul_f32 v73, 0x3fb8aa3b, v73
	s_delay_alu instid0(VALU_DEP_3) | instskip(SKIP_1) | instid1(VALU_DEP_3)
	v_dual_mul_f32 v75, 0x3fb8aa3b, v75 :: v_dual_mul_f32 v76, 0x3fb8aa3b, v76
	v_fma_f32 v80, s19, v141, -v71
	v_exp_f32_e32 v72, v72
	s_delay_alu instid0(VALU_DEP_3) | instskip(NEXT) | instid1(VALU_DEP_2)
	v_exp_f32_e32 v73, v73
	v_exp_f32_e32 v75, v75
	;; [unrolled: 1-line block ×3, first 2 shown]
	v_mul_f32_e32 v82, 0x3fb8aa3b, v80
	s_delay_alu instid0(VALU_DEP_1) | instskip(SKIP_4) | instid1(TRANS32_DEP_3)
	v_exp_f32_e32 v84, v82
	v_cndmask_b32_e32 v79, 0, v72, vcc_lo
	v_fma_f32 v72, s19, v140, -v71
	v_mul_f32_e32 v77, 0x3fb8aa3b, v77
	v_cndmask_b32_e64 v78, 0, v73, s2
	v_cndmask_b32_e64 v81, 0, v75, s3
	s_delay_alu instid0(VALU_DEP_4) | instskip(NEXT) | instid1(VALU_DEP_4)
	v_dual_add_f32 v73, 0, v79 :: v_dual_mul_f32 v72, 0x3fb8aa3b, v72
	v_exp_f32_e32 v77, v77
	v_cndmask_b32_e64 v80, 0, v76, s4
	s_delay_alu instid0(TRANS32_DEP_2) | instskip(NEXT) | instid1(VALU_DEP_3)
	v_cndmask_b32_e64 v85, 0, v84, s7
	v_add_f32_e32 v73, v73, v78
	v_exp_f32_e32 v72, v72
	v_cmp_gt_u32_e64 s2, 16, v70
	s_delay_alu instid0(VALU_DEP_2) | instskip(NEXT) | instid1(TRANS32_DEP_2)
	v_add_f32_e32 v73, v73, v81
	v_cndmask_b32_e64 v83, 0, v77, s5
	s_delay_alu instid0(VALU_DEP_2) | instskip(SKIP_3) | instid1(VALU_DEP_1)
	v_add_f32_e32 v73, v73, v80
	s_waitcnt_depctr 0xfff
	v_cndmask_b32_e64 v82, 0, v72, s6
	v_add_f32_e32 v72, v73, v83
	v_add_f32_e32 v72, v72, v82
	s_delay_alu instid0(VALU_DEP_1)
	v_add_f32_e32 v72, v72, v85
	v_fma_f32 v76, s19, v111, -v71
	v_fma_f32 v75, s19, v142, -v71
	;; [unrolled: 1-line block ×5, first 2 shown]
	s_delay_alu instid0(VALU_DEP_4) | instskip(NEXT) | instid1(VALU_DEP_3)
	v_dual_mul_f32 v76, 0x3fb8aa3b, v76 :: v_dual_mul_f32 v75, 0x3fb8aa3b, v75
	v_mul_f32_e32 v86, 0x3fb8aa3b, v86
	s_delay_alu instid0(VALU_DEP_2) | instskip(NEXT) | instid1(VALU_DEP_2)
	v_exp_f32_e32 v76, v76
	v_exp_f32_e32 v75, v75
	s_delay_alu instid0(VALU_DEP_1) | instskip(NEXT) | instid1(TRANS32_DEP_3)
	v_exp_f32_e32 v88, v86
	v_cndmask_b32_e64 v87, 0, v76, s9
	v_fma_f32 v76, s19, v116, -v71
	v_mul_f32_e32 v77, 0x3fb8aa3b, v77
	s_waitcnt_depctr 0xfff
	v_cndmask_b32_e64 v84, 0, v75, s8
	v_fma_f32 v75, s19, v115, -v71
	v_cndmask_b32_e64 v88, 0, v88, s12
	v_mul_f32_e32 v76, 0x3fb8aa3b, v76
	v_exp_f32_e32 v77, v77
	v_add_f32_e32 v72, v72, v84
	s_delay_alu instid0(VALU_DEP_2) | instskip(NEXT) | instid1(VALU_DEP_1)
	v_exp_f32_e32 v76, v76
	v_add_f32_e32 v72, v72, v87
	s_waitcnt_depctr 0xfff
	v_cndmask_b32_e64 v86, 0, v77, s10
	v_mul_f32_e32 v73, 0x3fb8aa3b, v73
	v_fma_f32 v77, s19, v117, -v71
	v_cndmask_b32_e64 v90, 0, v76, s15
	s_delay_alu instid0(VALU_DEP_4) | instskip(NEXT) | instid1(VALU_DEP_4)
	v_add_f32_e32 v72, v72, v86
	v_exp_f32_e32 v73, v73
	s_waitcnt_depctr 0xfff
	v_cndmask_b32_e64 v89, 0, v73, s11
	s_delay_alu instid0(VALU_DEP_1) | instskip(NEXT) | instid1(VALU_DEP_1)
	v_dual_mul_f32 v75, 0x3fb8aa3b, v75 :: v_dual_add_f32 v72, v72, v89
	v_exp_f32_e32 v75, v75
	v_mul_f32_e32 v73, 0x3fb8aa3b, v77
	v_fma_f32 v77, s19, v118, -v71
	s_delay_alu instid0(VALU_DEP_3) | instskip(NEXT) | instid1(VALU_DEP_3)
	v_add_f32_e32 v72, v72, v88
	v_exp_f32_e32 v73, v73
	s_waitcnt_depctr 0xfff
	v_cndmask_b32_e64 v91, 0, v75, s13
	s_delay_alu instid0(VALU_DEP_1) | instskip(NEXT) | instid1(VALU_DEP_1)
	v_dual_mul_f32 v75, 0x3fb8aa3b, v77 :: v_dual_add_f32 v72, v72, v91
	v_exp_f32_e32 v75, v75
	v_cndmask_b32_e64 v93, 0, v73, s16
	s_delay_alu instid0(VALU_DEP_2) | instskip(NEXT) | instid1(VALU_DEP_1)
	v_add_f32_e32 v72, v72, v90
	v_add_f32_e32 v72, v72, v93
	s_waitcnt_depctr 0xfff
	v_cndmask_b32_e64 v92, 0, v75, s17
	s_delay_alu instid0(VALU_DEP_1)
	v_add_f32_e32 v72, v72, v92
	ds_bpermute_b32 v73, v74, v72
	s_and_saveexec_b32 s3, s2
	s_cbranch_execz .LBB1288_12
; %bb.11:
	v_mul_u32_u24_e32 v70, 0x44, v69
	s_waitcnt lgkmcnt(0)
	v_add_f32_e32 v72, v72, v73
	s_delay_alu instid0(VALU_DEP_2) | instskip(NEXT) | instid1(VALU_DEP_1)
	v_lshl_add_u32 v70, v68, 2, v70
	v_add_nc_u32_e32 v70, 0x4000, v70
	ds_store_2addr_b32 v70, v71, v72 offset1:136
.LBB1288_12:
	s_or_b32 exec_lo, exec_lo, s3
	v_lshlrev_b32_e32 v70, 2, v68
	s_load_b32 s35, s[0:1], 0x94
	s_waitcnt lgkmcnt(0)
	s_barrier
	buffer_gl0_inv
	v_add_nc_u32_e32 v98, 0x4000, v70
	v_cmp_eq_u32_e32 vcc_lo, 1, v69
	v_cmp_eq_u32_e64 s3, 2, v69
	v_cmp_eq_u32_e64 s4, 3, v69
	;; [unrolled: 1-line block ×3, first 2 shown]
	ds_load_2addr_b32 v[70:71], v98 offset1:17
	ds_load_2addr_b32 v[72:73], v98 offset0:34 offset1:51
	ds_load_2addr_b32 v[74:75], v98 offset0:68 offset1:85
	;; [unrolled: 1-line block ×3, first 2 shown]
	v_cmp_eq_u32_e64 s6, 5, v69
	v_cmp_eq_u32_e64 s7, 7, v69
	s_waitcnt lgkmcnt(3)
	v_max3_f32 v76, v70, 0xff7fffff, v71
	s_waitcnt lgkmcnt(2)
	s_delay_alu instid0(VALU_DEP_1) | instskip(SKIP_1) | instid1(VALU_DEP_1)
	v_max3_f32 v76, v76, v72, v73
	s_waitcnt lgkmcnt(1)
	v_max3_f32 v76, v76, v74, v75
	s_waitcnt lgkmcnt(0)
	s_delay_alu instid0(VALU_DEP_1) | instskip(NEXT) | instid1(VALU_DEP_1)
	v_max3_f32 v76, v76, v94, v95
	v_sub_f32_e32 v77, v71, v76
	ds_load_2addr_b32 v[96:97], v98 offset0:136 offset1:153
	v_sub_f32_e32 v74, v74, v76
	v_sub_f32_e32 v70, v70, v76
	;; [unrolled: 1-line block ×3, first 2 shown]
	v_dual_sub_f32 v72, v72, v76 :: v_dual_mul_f32 v77, 0x3fb8aa3b, v77
	s_delay_alu instid0(VALU_DEP_4) | instskip(NEXT) | instid1(VALU_DEP_4)
	v_mul_f32_e32 v103, 0x3fb8aa3b, v74
	v_mul_f32_e32 v99, 0x3fb8aa3b, v70
	ds_load_2addr_b32 v[70:71], v98 offset0:170 offset1:187
	v_dual_mul_f32 v101, 0x3fb8aa3b, v72 :: v_dual_mul_f32 v94, 0x3fb8aa3b, v94
	v_exp_f32_e32 v102, v77
	v_exp_f32_e32 v99, v99
	s_delay_alu instid0(VALU_DEP_1) | instskip(NEXT) | instid1(VALU_DEP_1)
	v_exp_f32_e32 v101, v101
	v_exp_f32_e32 v94, v94
	s_waitcnt lgkmcnt(1)
	s_delay_alu instid0(TRANS32_DEP_3)
	v_fma_f32 v77, v99, v96, 0
	v_sub_f32_e32 v100, v73, v76
	ds_load_2addr_b32 v[72:73], v98 offset0:204 offset1:221
	v_fmac_f32_e32 v77, v102, v97
	v_exp_f32_e32 v97, v103
	s_waitcnt lgkmcnt(1)
	s_delay_alu instid0(VALU_DEP_1)
	v_dual_fmac_f32 v77, v101, v70 :: v_dual_sub_f32 v96, v75, v76
	ds_load_2addr_b32 v[74:75], v98 offset0:238 offset1:255
	v_sub_f32_e32 v70, v95, v76
	s_waitcnt lgkmcnt(0)
	s_barrier
	v_mul_f32_e32 v96, 0x3fb8aa3b, v96
	buffer_gl0_inv
	v_exp_f32_e32 v95, v96
	v_mul_f32_e32 v100, 0x3fb8aa3b, v100
	s_delay_alu instid0(VALU_DEP_1) | instskip(SKIP_3) | instid1(VALU_DEP_2)
	v_exp_f32_e32 v100, v100
	s_waitcnt_depctr 0xfff
	v_dual_fmac_f32 v77, v100, v71 :: v_dual_mul_f32 v70, 0x3fb8aa3b, v70
	v_cndmask_b32_e32 v71, v99, v102, vcc_lo
	v_fmac_f32_e32 v77, v97, v72
	s_delay_alu instid0(VALU_DEP_3) | instskip(NEXT) | instid1(VALU_DEP_1)
	v_exp_f32_e32 v96, v70
	v_fmac_f32_e32 v77, v95, v73
	s_delay_alu instid0(VALU_DEP_1) | instskip(SKIP_2) | instid1(VALU_DEP_1)
	v_fmac_f32_e32 v77, v94, v74
	s_waitcnt_depctr 0xfff
	v_fmac_f32_e32 v77, v96, v75
	v_add_f32_e32 v74, 0x358637bd, v77
	s_delay_alu instid0(VALU_DEP_1) | instskip(SKIP_1) | instid1(VALU_DEP_2)
	v_div_scale_f32 v98, null, v74, v74, 1.0
	v_div_scale_f32 v99, vcc_lo, 1.0, v74, 1.0
	v_rcp_f32_e32 v103, v98
	s_waitcnt_depctr 0xfff
	v_fma_f32 v70, -v98, v103, 1.0
	s_delay_alu instid0(VALU_DEP_1) | instskip(SKIP_2) | instid1(VALU_DEP_2)
	v_fmac_f32_e32 v103, v70, v103
	v_cndmask_b32_e64 v70, v71, v101, s3
	v_cmp_eq_u32_e64 s3, 6, v69
	v_cndmask_b32_e64 v71, v70, v100, s4
	s_delay_alu instid0(VALU_DEP_4) | instskip(NEXT) | instid1(VALU_DEP_2)
	v_dual_mul_f32 v101, v99, v103 :: v_dual_lshlrev_b32 v70, 2, v66
	v_cndmask_b32_e64 v71, v71, v97, s5
	s_delay_alu instid0(VALU_DEP_2) | instskip(NEXT) | instid1(VALU_DEP_3)
	v_or_b32_e32 v72, 1, v70
	v_fma_f32 v100, -v98, v101, v99
	v_cmp_eq_u32_e64 s4, 1, v70
	v_cmp_eq_u32_e64 s5, 2, v70
	v_cndmask_b32_e64 v95, v71, v95, s6
	v_or_b32_e32 v71, 3, v70
	v_fmac_f32_e32 v101, v100, v103
	v_cmp_eq_u32_e64 s9, 1, v72
	v_cmp_eq_u32_e64 s12, 2, v72
	v_cndmask_b32_e64 v94, v95, v94, s3
	v_cmp_eq_u32_e64 s11, 1, v71
	v_fma_f32 v97, -v98, v101, v99
	v_cmp_eq_u32_e64 s16, 2, v71
	v_cmp_eq_u32_e64 s13, 3, v72
	v_cndmask_b32_e64 v94, v94, v96, s7
	v_cmp_eq_u32_e64 s18, 3, v71
	v_div_fmas_f32 v95, v97, v103, v101
	v_cmp_eq_u32_e32 vcc_lo, 3, v70
	v_cmp_eq_u32_e64 s3, 4, v70
	v_cmp_eq_u32_e64 s19, 4, v72
	;; [unrolled: 1-line block ×3, first 2 shown]
	v_div_fixup_f32 v95, v95, v74, 1.0
	v_lshlrev_b32_e32 v73, 6, v68
	v_cmp_eq_u32_e64 s6, 5, v70
	v_cmp_eq_u32_e64 s20, 5, v72
	v_cmp_eq_u32_e64 s24, 5, v71
	v_mul_f32_e32 v102, v94, v95
	v_lshl_or_b32 v75, v69, 11, v73
	v_or_b32_e32 v69, 2, v70
	v_cmp_eq_u32_e64 s25, 6, v72
	v_cmp_eq_u32_e64 s27, 6, v71
	v_fma_mixlo_f16 v94, v102, v79, 0
	v_fma_mixlo_f16 v95, v102, v81, 0
	;; [unrolled: 1-line block ×8, first 2 shown]
	v_lshl_or_b32 v74, v66, 4, v75
	v_fma_mixhi_f16 v94, v102, v78, 0
	v_fma_mixhi_f16 v95, v102, v80, 0
	;; [unrolled: 1-line block ×8, first 2 shown]
	ds_store_b128 v74, v[94:97]
	ds_store_b128 v74, v[98:101] offset:1024
	s_waitcnt lgkmcnt(0)
	s_barrier
	buffer_gl0_inv
	ds_load_b128 v[78:81], v75
	ds_load_b128 v[82:85], v75 offset:16
	ds_load_b128 v[86:89], v75 offset:1024
	ds_load_b128 v[90:93], v75 offset:1040
	v_cmp_eq_u32_e64 s10, 1, v69
	v_cmp_eq_u32_e64 s15, 2, v69
	;; [unrolled: 1-line block ×11, first 2 shown]
	s_waitcnt lgkmcnt(3)
	v_lshrrev_b32_e32 v94, 16, v78
	s_waitcnt lgkmcnt(2)
	v_lshrrev_b32_e32 v98, 16, v82
	;; [unrolled: 2-line block ×4, first 2 shown]
	v_lshrrev_b32_e32 v95, 16, v79
	v_cndmask_b32_e64 v110, v78, v94, s4
	v_cndmask_b32_e64 v111, v82, v98, s4
	;; [unrolled: 1-line block ×8, first 2 shown]
	v_lshrrev_b32_e32 v99, 16, v83
	v_cndmask_b32_e64 v94, v86, v102, s4
	v_cndmask_b32_e64 v98, v90, v106, s4
	;; [unrolled: 1-line block ×15, first 2 shown]
	v_lshrrev_b32_e32 v103, 16, v87
	v_lshrrev_b32_e32 v107, 16, v91
	v_cndmask_b32_e64 v113, v115, v83, s15
	v_cndmask_b32_e64 v82, v94, v87, s5
	;; [unrolled: 1-line block ×7, first 2 shown]
	v_cndmask_b32_e32 v90, v102, v95, vcc_lo
	v_cndmask_b32_e32 v102, v106, v99, vcc_lo
	v_cndmask_b32_e64 v106, v110, v95, s13
	v_cndmask_b32_e64 v110, v111, v99, s13
	;; [unrolled: 1-line block ×4, first 2 shown]
	v_lshrrev_b32_e32 v96, 16, v80
	v_lshrrev_b32_e32 v100, 16, v84
	v_cndmask_b32_e64 v111, v112, v95, s17
	v_cndmask_b32_e64 v112, v113, v99, s17
	v_cndmask_b32_e32 v82, v82, v103, vcc_lo
	v_cndmask_b32_e32 v83, v83, v107, vcc_lo
	v_cndmask_b32_e64 v94, v94, v103, s13
	v_cndmask_b32_e64 v90, v90, v80, s3
	;; [unrolled: 1-line block ×7, first 2 shown]
	v_lshrrev_b32_e32 v104, 16, v88
	v_cndmask_b32_e64 v106, v111, v80, s21
	v_cndmask_b32_e64 v110, v112, v84, s21
	;; [unrolled: 1-line block ×11, first 2 shown]
	v_lshrrev_b32_e32 v97, 16, v81
	v_lshrrev_b32_e32 v101, 16, v85
	v_cndmask_b32_e64 v99, v106, v96, s23
	v_cndmask_b32_e64 v102, v110, v100, s23
	v_cndmask_b32_e64 v83, v83, v104, s20
	v_cndmask_b32_e64 v94, v94, v81, s25
	v_cndmask_b32_e64 v95, v95, v85, s25
	v_cndmask_b32_e64 v78, v78, v81, s27
	v_cndmask_b32_e64 v79, v79, v85, s27
	v_lshrrev_b32_e32 v105, 16, v89
	v_cndmask_b32_e64 v80, v80, v104, s6
	v_cndmask_b32_e64 v84, v84, v81, s7
	v_cndmask_b32_e64 v90, v90, v85, s7
	v_cndmask_b32_e64 v96, v99, v81, s26
	v_cndmask_b32_e64 v99, v102, v85, s26
	v_cndmask_b32_e64 v81, v83, v89, s25
	v_cndmask_b32_e64 v85, v94, v97, s30
	v_cndmask_b32_e64 v78, v78, v97, s29
	v_cndmask_b32_e64 v79, v79, v101, s29
	v_cndmask_b32_e64 v95, v95, v101, s30
	v_cndmask_b32_e64 v80, v80, v89, s7
	v_cndmask_b32_e64 v83, v84, v97, s8
	v_cndmask_b32_e64 v84, v90, v101, s8
	v_cndmask_b32_e64 v90, v96, v97, s28
	v_cndmask_b32_e64 v94, v99, v101, s28
	v_cndmask_b32_e64 v97, v81, v105, s30
	v_perm_b32 v81, v79, v78, 0x5040100
	v_perm_b32 v79, v95, v85, 0x5040100
	v_cndmask_b32_e64 v78, v119, v91, s15
	v_cndmask_b32_e64 v85, v117, v91, s12
	;; [unrolled: 1-line block ×3, first 2 shown]
	v_perm_b32 v80, v94, v90, 0x5040100
	v_cndmask_b32_e64 v90, v98, v103, s17
	v_cndmask_b32_e64 v86, v86, v103, s18
	v_cndmask_b32_e64 v87, v87, v107, s18
	v_cndmask_b32_e64 v78, v78, v107, s17
	v_cndmask_b32_e64 v85, v85, v107, s13
	v_lshrrev_b32_e32 v108, 16, v92
	v_cndmask_b32_e64 v90, v90, v88, s21
	v_cndmask_b32_e64 v86, v86, v88, s22
	;; [unrolled: 1-line block ×11, first 2 shown]
	v_lshrrev_b32_e32 v109, 16, v93
	v_cndmask_b32_e64 v82, v82, v93, s7
	v_cndmask_b32_e64 v88, v88, v89, s26
	;; [unrolled: 1-line block ×12, first 2 shown]
	v_perm_b32 v78, v84, v83, 0x5040100
	v_perm_b32 v85, v87, v86, 0x5040100
	;; [unrolled: 1-line block ×5, first 2 shown]
	s_mul_i32 s8, s33, 11
	s_mov_b32 s3, exec_lo
	ds_store_b128 v74, v[78:81]
	ds_store_b128 v74, v[82:85] offset:1024
	v_cmpx_gt_u32_e32 11, v0
	s_cbranch_execz .LBB1288_14
; %bb.13:
	s_mul_i32 s4, s8, s34
	s_delay_alu instid0(SALU_CYCLE_1) | instskip(SKIP_1) | instid1(VALU_DEP_1)
	v_add3_u32 v68, s4, s31, v68
	s_load_b128 s[4:7], s[0:1], 0x58
	v_mad_u64_u32 v[78:79], null, v68, s35, s[14:15]
	s_delay_alu instid0(VALU_DEP_1) | instskip(NEXT) | instid1(VALU_DEP_1)
	v_ashrrev_i32_e32 v79, 31, v78
	v_lshlrev_b64 v[78:79], 2, v[78:79]
	s_waitcnt lgkmcnt(0)
	s_delay_alu instid0(VALU_DEP_1) | instskip(NEXT) | instid1(VALU_DEP_2)
	v_add_co_u32 v80, vcc_lo, s6, v78
	v_add_co_ci_u32_e32 v81, vcc_lo, s7, v79, vcc_lo
	v_add_co_u32 v78, vcc_lo, s4, v78
	v_add_co_ci_u32_e32 v79, vcc_lo, s5, v79, vcc_lo
	global_store_b32 v[80:81], v76, off
	global_store_b32 v[78:79], v77, off
.LBB1288_14:
	s_or_b32 exec_lo, exec_lo, s3
	s_waitcnt lgkmcnt(0)
	s_waitcnt_vscnt null, 0x0
	s_barrier
	buffer_gl0_inv
	ds_load_b128 v[84:87], v73
	ds_load_b128 v[88:91], v73 offset:16
	ds_load_b128 v[96:99], v73 offset:2064
	;; [unrolled: 1-line block ×5, first 2 shown]
	v_cmp_eq_u32_e32 vcc_lo, 1, v70
	v_mov_b32_e32 v76, 0
	ds_load_b128 v[112:115], v73 offset:6160
	ds_load_b128 v[108:111], v73 offset:6144
	;; [unrolled: 1-line block ×4, first 2 shown]
	v_cmp_eq_u32_e64 s4, 1, v69
	v_cmp_eq_u32_e64 s3, 1, v72
	;; [unrolled: 1-line block ×3, first 2 shown]
	v_mov_b32_e32 v77, v76
	v_mov_b32_e32 v78, v76
	;; [unrolled: 1-line block ×7, first 2 shown]
	v_cmp_eq_u32_e64 s6, 3, v72
	v_cmp_eq_u32_e64 s7, 7, v72
	s_waitcnt lgkmcnt(8)
	s_delay_alu instid0(VALU_DEP_3)
	v_wmma_f32_16x16x16_f16 v[76:83], v[49:56], v[84:91], v[76:83]
	ds_load_b128 v[53:56], v73 offset:10256
	ds_load_b128 v[49:52], v73 offset:10240
	s_waitcnt lgkmcnt(8)
	v_wmma_f32_16x16x16_f16 v[76:83], v[41:48], v[92:99], v[76:83]
	ds_load_b128 v[45:48], v73 offset:12304
	ds_load_b128 v[41:44], v73 offset:12288
	s_waitcnt lgkmcnt(8)
	;; [unrolled: 4-line block ×3, first 2 shown]
	s_barrier
	buffer_gl0_inv
	v_wmma_f32_16x16x16_f16 v[76:83], v[1:8], v[108:115], v[76:83]
	s_delay_alu instid0(VALU_DEP_1) | instskip(NEXT) | instid1(VALU_DEP_1)
	v_wmma_f32_16x16x16_f16 v[76:83], v[9:16], v[116:123], v[76:83]
	v_wmma_f32_16x16x16_f16 v[76:83], v[17:24], v[49:56], v[76:83]
	s_delay_alu instid0(VALU_DEP_1) | instskip(NEXT) | instid1(VALU_DEP_1)
	v_wmma_f32_16x16x16_f16 v[76:83], v[25:32], v[41:48], v[76:83]
	v_wmma_f32_16x16x16_f16 v[76:83], v[57:64], v[33:40], v[76:83]
	s_delay_alu instid0(VALU_DEP_1) | instskip(NEXT) | instid1(VALU_DEP_2)
	v_cvt_f16_f32_e32 v1, v76
	v_cvt_f16_f32_e32 v2, v77
	s_delay_alu instid0(VALU_DEP_3) | instskip(NEXT) | instid1(VALU_DEP_4)
	v_cvt_f16_f32_e32 v3, v78
	v_cvt_f16_f32_e32 v4, v79
	;; [unrolled: 1-line block ×6, first 2 shown]
	v_pack_b32_f16 v1, v1, v2
	v_pack_b32_f16 v2, v3, v4
	;; [unrolled: 1-line block ×3, first 2 shown]
	s_delay_alu instid0(VALU_DEP_4)
	v_pack_b32_f16 v4, v7, v8
	ds_store_b128 v74, v[1:4]
	s_waitcnt lgkmcnt(0)
	s_barrier
	buffer_gl0_inv
	ds_load_b128 v[1:4], v75
	ds_load_b128 v[5:8], v75 offset:16
	s_waitcnt lgkmcnt(1)
	v_lshrrev_b32_e32 v9, 16, v1
	s_waitcnt lgkmcnt(0)
	v_lshrrev_b32_e32 v13, 16, v5
	v_lshrrev_b32_e32 v10, 16, v2
	;; [unrolled: 1-line block ×4, first 2 shown]
	v_cndmask_b32_e32 v17, v1, v9, vcc_lo
	v_cndmask_b32_e32 v18, v5, v13, vcc_lo
	v_cndmask_b32_e64 v21, v1, v9, s4
	v_cmp_eq_u32_e32 vcc_lo, 1, v71
	v_cndmask_b32_e64 v22, v5, v13, s4
	v_cmp_eq_u32_e64 s4, 2, v70
	v_cndmask_b32_e64 v19, v1, v9, s3
	v_cndmask_b32_e64 v20, v5, v13, s3
	v_cndmask_b32_e32 v1, v1, v9, vcc_lo
	v_cmp_eq_u32_e64 s3, 2, v71
	v_cndmask_b32_e32 v5, v5, v13, vcc_lo
	v_cndmask_b32_e64 v9, v17, v2, s4
	v_cmp_eq_u32_e32 vcc_lo, 3, v70
	v_cndmask_b32_e64 v13, v18, v6, s4
	v_cmp_eq_u32_e64 s4, 2, v69
	v_cndmask_b32_e64 v17, v19, v2, s5
	v_cndmask_b32_e64 v18, v20, v6, s5
	v_cmp_eq_u32_e64 s5, 3, v69
	v_cndmask_b32_e64 v1, v1, v2, s3
	v_cndmask_b32_e64 v19, v21, v2, s4
	;; [unrolled: 1-line block ×4, first 2 shown]
	v_cndmask_b32_e32 v5, v9, v10, vcc_lo
	v_cndmask_b32_e32 v6, v13, v14, vcc_lo
	v_cmp_eq_u32_e32 vcc_lo, 3, v71
	v_cndmask_b32_e64 v9, v17, v10, s6
	v_cndmask_b32_e64 v13, v18, v14, s6
	;; [unrolled: 1-line block ×3, first 2 shown]
	v_cmp_eq_u32_e64 s4, 4, v70
	v_cndmask_b32_e32 v1, v1, v10, vcc_lo
	v_cndmask_b32_e32 v2, v2, v14, vcc_lo
	v_cmp_eq_u32_e32 vcc_lo, 4, v72
	v_lshrrev_b32_e32 v15, 16, v7
	v_lshrrev_b32_e32 v16, 16, v8
	v_cndmask_b32_e64 v17, v19, v10, s5
	v_cmp_eq_u32_e64 s3, 4, v71
	v_cndmask_b32_e64 v5, v5, v3, s4
	v_cndmask_b32_e64 v6, v6, v7, s4
	v_cndmask_b32_e32 v9, v9, v3, vcc_lo
	v_cmp_eq_u32_e64 s4, 5, v72
	v_cndmask_b32_e32 v10, v13, v7, vcc_lo
	v_cmp_eq_u32_e32 vcc_lo, 4, v69
	v_cmp_eq_u32_e64 s5, 5, v70
	v_cndmask_b32_e64 v2, v2, v7, s3
	v_cndmask_b32_e64 v9, v9, v11, s4
	;; [unrolled: 1-line block ×3, first 2 shown]
	v_cndmask_b32_e32 v13, v17, v3, vcc_lo
	v_cmp_eq_u32_e64 s4, 5, v69
	v_cndmask_b32_e32 v14, v18, v7, vcc_lo
	v_cndmask_b32_e64 v1, v1, v3, s3
	v_cmp_eq_u32_e32 vcc_lo, 5, v71
	v_lshrrev_b32_e32 v12, 16, v4
	v_cndmask_b32_e64 v13, v13, v11, s4
	v_cndmask_b32_e64 v3, v14, v15, s4
	v_cmp_eq_u32_e64 s4, 6, v71
	v_cndmask_b32_e32 v1, v1, v11, vcc_lo
	v_cndmask_b32_e64 v5, v5, v11, s5
	v_cmp_eq_u32_e64 s6, 6, v70
	v_cndmask_b32_e64 v6, v6, v15, s5
	v_cmp_eq_u32_e64 s5, 6, v72
	v_cmp_eq_u32_e64 s3, 6, v69
	v_cndmask_b32_e64 v1, v1, v4, s4
	v_cndmask_b32_e32 v2, v2, v15, vcc_lo
	v_cmp_eq_u32_e32 vcc_lo, 7, v71
	v_cndmask_b32_e64 v5, v5, v4, s6
	v_cndmask_b32_e64 v9, v9, v4, s5
	;; [unrolled: 1-line block ×3, first 2 shown]
	v_cmp_eq_u32_e64 s6, 7, v70
	v_cndmask_b32_e32 v1, v1, v12, vcc_lo
	v_cndmask_b32_e64 v7, v13, v4, s3
	v_cndmask_b32_e64 v3, v3, v8, s3
	;; [unrolled: 1-line block ×3, first 2 shown]
	v_cmp_eq_u32_e64 s3, 7, v69
	v_cndmask_b32_e64 v4, v10, v8, s5
	v_cndmask_b32_e64 v5, v5, v12, s6
	;; [unrolled: 1-line block ×3, first 2 shown]
	v_cndmask_b32_e32 v2, v2, v16, vcc_lo
	v_cndmask_b32_e64 v7, v7, v12, s3
	v_cndmask_b32_e64 v3, v3, v16, s3
	v_cndmask_b32_e64 v8, v4, v16, s7
	v_cndmask_b32_e64 v6, v6, v16, s6
	v_perm_b32 v4, v2, v1, 0x5040100
	s_mov_b32 s3, exec_lo
	v_perm_b32 v3, v3, v7, 0x5040100
	v_perm_b32 v2, v8, v9, 0x5040100
	;; [unrolled: 1-line block ×3, first 2 shown]
	ds_store_b128 v74, v[1:4]
	s_waitcnt lgkmcnt(0)
	s_barrier
	buffer_gl0_inv
	v_cmpx_gt_u32_e32 32, v0
	s_cbranch_execz .LBB1288_2
; %bb.15:
	s_load_b64 s[4:5], s[0:1], 0x68
	v_lshlrev_b32_e32 v0, 10, v0
	v_lshlrev_b32_e32 v1, 4, v67
	s_lshl_b32 s0, s35, 7
	v_add_nc_u32_e32 v7, s31, v66
	s_mul_i32 s1, s0, s34
	s_delay_alu instid0(SALU_CYCLE_1) | instskip(SKIP_1) | instid1(VALU_DEP_2)
	s_mul_i32 s6, s1, s8
	v_and_or_b32 v0, 0x3800, v0, v1
	v_mul_lo_u32 v1, v7, s0
	v_add_nc_u32_e32 v2, 2, v7
	s_ashr_i32 s7, s6, 31
	v_add_nc_u32_e32 v4, 4, v7
	s_lshl_b64 s[6:7], s[6:7], 1
	v_add_nc_u32_e32 v8, 6, v7
	v_mul_lo_u32 v3, v2, s0
	v_lshl_or_b32 v19, v66, 6, v0
	v_ashrrev_i32_e32 v2, 31, v1
	v_mul_lo_u32 v11, v4, s0
	v_mul_lo_u32 v25, v8, s0
	s_waitcnt lgkmcnt(0)
	s_add_u32 s1, s4, s6
	s_addc_u32 s3, s5, s7
	s_lshl_b32 s4, s14, 7
	v_lshlrev_b64 v[5:6], 1, v[1:2]
	s_ashr_i32 s5, s4, 31
	v_ashrrev_i32_e32 v4, 31, v3
	s_lshl_b64 s[4:5], s[4:5], 1
	v_ashrrev_i32_e32 v12, 31, v11
	s_add_u32 s1, s1, s4
	s_addc_u32 s3, s3, s5
	v_add_co_u32 v1, s1, s1, v65
	s_delay_alu instid0(VALU_DEP_1) | instskip(SKIP_1) | instid1(VALU_DEP_3)
	v_add_co_ci_u32_e64 v2, null, s3, 0, s1
	v_lshlrev_b64 v[3:4], 1, v[3:4]
	v_add_co_u32 v23, vcc_lo, v1, v5
	v_add_nc_u32_e32 v5, 8, v7
	s_delay_alu instid0(VALU_DEP_4) | instskip(NEXT) | instid1(VALU_DEP_4)
	v_add_co_ci_u32_e32 v24, vcc_lo, v2, v6, vcc_lo
	v_add_co_u32 v27, vcc_lo, v1, v3
	s_delay_alu instid0(VALU_DEP_3)
	v_mul_lo_u32 v29, v5, s0
	v_add_co_ci_u32_e32 v28, vcc_lo, v2, v4, vcc_lo
	ds_load_b128 v[3:6], v19
	ds_load_b128 v[7:10], v19 offset:128
	v_lshlrev_b64 v[31:32], 1, v[11:12]
	ds_load_b128 v[11:14], v19 offset:256
	ds_load_b128 v[15:18], v19 offset:384
	;; [unrolled: 1-line block ×3, first 2 shown]
	v_ashrrev_i32_e32 v26, 31, v25
	v_ashrrev_i32_e32 v30, 31, v29
	v_add_co_u32 v31, vcc_lo, v1, v31
	s_delay_alu instid0(VALU_DEP_3) | instskip(NEXT) | instid1(VALU_DEP_3)
	v_lshlrev_b64 v[25:26], 1, v[25:26]
	v_lshlrev_b64 v[29:30], 1, v[29:30]
	v_add_co_ci_u32_e32 v32, vcc_lo, v2, v32, vcc_lo
	s_delay_alu instid0(VALU_DEP_3) | instskip(NEXT) | instid1(VALU_DEP_4)
	v_add_co_u32 v25, vcc_lo, v1, v25
	v_add_co_ci_u32_e32 v26, vcc_lo, v2, v26, vcc_lo
	s_delay_alu instid0(VALU_DEP_4)
	v_add_co_u32 v29, vcc_lo, v1, v29
	v_add_co_ci_u32_e32 v30, vcc_lo, v2, v30, vcc_lo
	s_waitcnt lgkmcnt(4)
	global_store_b128 v[23:24], v[3:6], off
	s_waitcnt lgkmcnt(3)
	global_store_b128 v[27:28], v[7:10], off
	;; [unrolled: 2-line block ×5, first 2 shown]
	s_and_b32 exec_lo, exec_lo, s2
	s_cbranch_execz .LBB1288_2
; %bb.16:
	ds_load_b128 v[3:6], v0 offset:640
	s_add_i32 s1, s31, 10
	s_delay_alu instid0(SALU_CYCLE_1) | instskip(NEXT) | instid1(SALU_CYCLE_1)
	s_mul_i32 s0, s1, s0
	s_ashr_i32 s1, s0, 31
	s_delay_alu instid0(SALU_CYCLE_1) | instskip(NEXT) | instid1(SALU_CYCLE_1)
	s_lshl_b64 s[0:1], s[0:1], 1
	v_add_co_u32 v0, vcc_lo, v1, s0
	v_add_co_ci_u32_e32 v1, vcc_lo, s1, v2, vcc_lo
	s_waitcnt lgkmcnt(0)
	global_store_b128 v[0:1], v[3:6], off
	s_nop 0
	s_sendmsg sendmsg(MSG_DEALLOC_VGPRS)
	s_endpgm
	.section	.rodata,"a",@progbits
	.p2align	6, 0x0
	.amdhsa_kernel _Z39paged_attention_ll4mi_QKV_mfma16_kernelIDF16_hLN4vllm18Fp8KVCacheDataTypeE1EhLi32ELi128ELi256ELb1ELi11EL8MFMAType0EEvPKT_PKT0_S8_ifPKiSA_SA_iPKfiiiPfSD_PS3_PT2_iSC_SC_
		.amdhsa_group_segment_fixed_size 17472
		.amdhsa_private_segment_fixed_size 0
		.amdhsa_kernarg_size 400
		.amdhsa_user_sgpr_count 13
		.amdhsa_user_sgpr_dispatch_ptr 0
		.amdhsa_user_sgpr_queue_ptr 0
		.amdhsa_user_sgpr_kernarg_segment_ptr 1
		.amdhsa_user_sgpr_dispatch_id 0
		.amdhsa_user_sgpr_private_segment_size 0
		.amdhsa_wavefront_size32 1
		.amdhsa_uses_dynamic_stack 0
		.amdhsa_enable_private_segment 0
		.amdhsa_system_sgpr_workgroup_id_x 1
		.amdhsa_system_sgpr_workgroup_id_y 1
		.amdhsa_system_sgpr_workgroup_id_z 1
		.amdhsa_system_sgpr_workgroup_info 0
		.amdhsa_system_vgpr_workitem_id 0
		.amdhsa_next_free_vgpr 150
		.amdhsa_next_free_sgpr 37
		.amdhsa_reserve_vcc 1
		.amdhsa_float_round_mode_32 0
		.amdhsa_float_round_mode_16_64 0
		.amdhsa_float_denorm_mode_32 3
		.amdhsa_float_denorm_mode_16_64 3
		.amdhsa_dx10_clamp 1
		.amdhsa_ieee_mode 1
		.amdhsa_fp16_overflow 0
		.amdhsa_workgroup_processor_mode 1
		.amdhsa_memory_ordered 1
		.amdhsa_forward_progress 0
		.amdhsa_shared_vgpr_count 0
		.amdhsa_exception_fp_ieee_invalid_op 0
		.amdhsa_exception_fp_denorm_src 0
		.amdhsa_exception_fp_ieee_div_zero 0
		.amdhsa_exception_fp_ieee_overflow 0
		.amdhsa_exception_fp_ieee_underflow 0
		.amdhsa_exception_fp_ieee_inexact 0
		.amdhsa_exception_int_div_zero 0
	.end_amdhsa_kernel
	.section	.text._Z39paged_attention_ll4mi_QKV_mfma16_kernelIDF16_hLN4vllm18Fp8KVCacheDataTypeE1EhLi32ELi128ELi256ELb1ELi11EL8MFMAType0EEvPKT_PKT0_S8_ifPKiSA_SA_iPKfiiiPfSD_PS3_PT2_iSC_SC_,"axG",@progbits,_Z39paged_attention_ll4mi_QKV_mfma16_kernelIDF16_hLN4vllm18Fp8KVCacheDataTypeE1EhLi32ELi128ELi256ELb1ELi11EL8MFMAType0EEvPKT_PKT0_S8_ifPKiSA_SA_iPKfiiiPfSD_PS3_PT2_iSC_SC_,comdat
.Lfunc_end1288:
	.size	_Z39paged_attention_ll4mi_QKV_mfma16_kernelIDF16_hLN4vllm18Fp8KVCacheDataTypeE1EhLi32ELi128ELi256ELb1ELi11EL8MFMAType0EEvPKT_PKT0_S8_ifPKiSA_SA_iPKfiiiPfSD_PS3_PT2_iSC_SC_, .Lfunc_end1288-_Z39paged_attention_ll4mi_QKV_mfma16_kernelIDF16_hLN4vllm18Fp8KVCacheDataTypeE1EhLi32ELi128ELi256ELb1ELi11EL8MFMAType0EEvPKT_PKT0_S8_ifPKiSA_SA_iPKfiiiPfSD_PS3_PT2_iSC_SC_
                                        ; -- End function
	.section	.AMDGPU.csdata,"",@progbits
; Kernel info:
; codeLenInByte = 6808
; NumSgprs: 39
; NumVgprs: 150
; ScratchSize: 0
; MemoryBound: 0
; FloatMode: 240
; IeeeMode: 1
; LDSByteSize: 17472 bytes/workgroup (compile time only)
; SGPRBlocks: 4
; VGPRBlocks: 18
; NumSGPRsForWavesPerEU: 39
; NumVGPRsForWavesPerEU: 150
; Occupancy: 9
; WaveLimiterHint : 1
; COMPUTE_PGM_RSRC2:SCRATCH_EN: 0
; COMPUTE_PGM_RSRC2:USER_SGPR: 13
; COMPUTE_PGM_RSRC2:TRAP_HANDLER: 0
; COMPUTE_PGM_RSRC2:TGID_X_EN: 1
; COMPUTE_PGM_RSRC2:TGID_Y_EN: 1
; COMPUTE_PGM_RSRC2:TGID_Z_EN: 1
; COMPUTE_PGM_RSRC2:TIDIG_COMP_CNT: 0
	.section	.text._Z39paged_attention_ll4mi_QKV_mfma16_kernelIDF16_hLN4vllm18Fp8KVCacheDataTypeE1EhLi32ELi128ELi256ELb1ELi12EL8MFMAType0EEvPKT_PKT0_S8_ifPKiSA_SA_iPKfiiiPfSD_PS3_PT2_iSC_SC_,"axG",@progbits,_Z39paged_attention_ll4mi_QKV_mfma16_kernelIDF16_hLN4vllm18Fp8KVCacheDataTypeE1EhLi32ELi128ELi256ELb1ELi12EL8MFMAType0EEvPKT_PKT0_S8_ifPKiSA_SA_iPKfiiiPfSD_PS3_PT2_iSC_SC_,comdat
	.protected	_Z39paged_attention_ll4mi_QKV_mfma16_kernelIDF16_hLN4vllm18Fp8KVCacheDataTypeE1EhLi32ELi128ELi256ELb1ELi12EL8MFMAType0EEvPKT_PKT0_S8_ifPKiSA_SA_iPKfiiiPfSD_PS3_PT2_iSC_SC_ ; -- Begin function _Z39paged_attention_ll4mi_QKV_mfma16_kernelIDF16_hLN4vllm18Fp8KVCacheDataTypeE1EhLi32ELi128ELi256ELb1ELi12EL8MFMAType0EEvPKT_PKT0_S8_ifPKiSA_SA_iPKfiiiPfSD_PS3_PT2_iSC_SC_
	.globl	_Z39paged_attention_ll4mi_QKV_mfma16_kernelIDF16_hLN4vllm18Fp8KVCacheDataTypeE1EhLi32ELi128ELi256ELb1ELi12EL8MFMAType0EEvPKT_PKT0_S8_ifPKiSA_SA_iPKfiiiPfSD_PS3_PT2_iSC_SC_
	.p2align	8
	.type	_Z39paged_attention_ll4mi_QKV_mfma16_kernelIDF16_hLN4vllm18Fp8KVCacheDataTypeE1EhLi32ELi128ELi256ELb1ELi12EL8MFMAType0EEvPKT_PKT0_S8_ifPKiSA_SA_iPKfiiiPfSD_PS3_PT2_iSC_SC_,@function
_Z39paged_attention_ll4mi_QKV_mfma16_kernelIDF16_hLN4vllm18Fp8KVCacheDataTypeE1EhLi32ELi128ELi256ELb1ELi12EL8MFMAType0EEvPKT_PKT0_S8_ifPKiSA_SA_iPKfiiiPfSD_PS3_PT2_iSC_SC_: ; @_Z39paged_attention_ll4mi_QKV_mfma16_kernelIDF16_hLN4vllm18Fp8KVCacheDataTypeE1EhLi32ELi128ELi256ELb1ELi12EL8MFMAType0EEvPKT_PKT0_S8_ifPKiSA_SA_iPKfiiiPfSD_PS3_PT2_iSC_SC_
; %bb.0:
	s_load_b64 s[4:5], s[0:1], 0x30
	s_mov_b32 s30, s13
	s_waitcnt lgkmcnt(0)
	s_cmp_lg_u64 s[4:5], 0
	s_cselect_b32 s8, -1, 0
	s_ashr_i32 s31, s13, 31
	s_cmp_eq_u64 s[4:5], 0
	s_cbranch_scc1 .LBB1289_3
; %bb.1:
	s_lshl_b64 s[2:3], s[30:31], 2
	s_delay_alu instid0(SALU_CYCLE_1) | instskip(SKIP_4) | instid1(SALU_CYCLE_1)
	s_add_u32 s2, s4, s2
	s_addc_u32 s3, s5, s3
	s_load_b64 s[2:3], s[2:3], 0x0
	s_waitcnt lgkmcnt(0)
	s_sub_i32 s2, s3, s2
	s_cmp_eq_u32 s2, 1
	s_cselect_b32 s2, -1, 0
	s_delay_alu instid0(SALU_CYCLE_1)
	s_and_not1_b32 vcc_lo, exec_lo, s2
	s_cbranch_vccz .LBB1289_4
.LBB1289_2:
	s_endpgm
.LBB1289_3:
.LBB1289_4:
	s_load_b64 s[2:3], s[0:1], 0x28
	s_lshl_b64 s[6:7], s[30:31], 2
	s_waitcnt lgkmcnt(0)
	s_add_u32 s2, s2, s6
	s_addc_u32 s3, s3, s7
	s_lshl_b32 s12, s14, 8
	s_load_b32 s24, s[2:3], 0x0
	s_waitcnt lgkmcnt(0)
	s_cmp_ge_i32 s12, s24
	s_cbranch_scc1 .LBB1289_2
; %bb.5:
	s_clause 0x1
	s_load_b128 s[20:23], s[0:1], 0x8
	s_load_b64 s[2:3], s[0:1], 0x20
	s_and_not1_b32 vcc_lo, exec_lo, s8
	s_cbranch_vccnz .LBB1289_7
; %bb.6:
	s_add_u32 s4, s4, s6
	s_addc_u32 s5, s5, s7
	s_load_b32 s5, s[4:5], 0x0
	s_branch .LBB1289_8
.LBB1289_7:
	s_mov_b32 s5, s30
.LBB1289_8:
	s_load_b128 s[16:19], s[0:1], 0x48
	v_and_b32_e32 v68, 15, v0
	v_lshrrev_b32_e32 v69, 5, v0
	v_and_b32_e32 v70, 31, v0
	v_and_b32_e32 v67, 1, v0
	v_bfe_u32 v66, v0, 4, 1
	v_lshlrev_b32_e32 v1, 3, v68
	s_mul_i32 s31, s15, 12
	s_mov_b32 s4, exec_lo
	s_delay_alu instid0(VALU_DEP_1)
	v_lshlrev_b32_e32 v65, 1, v1
	v_cmpx_gt_u32_e32 0xc0, v0
	s_cbranch_execz .LBB1289_10
; %bb.9:
	s_load_b64 s[6:7], s[0:1], 0x0
	v_lshl_or_b32 v5, v69, 1, v66
	s_waitcnt lgkmcnt(0)
	s_mul_hi_i32 s9, s5, s16
	s_mul_i32 s8, s5, s16
	v_lshlrev_b32_e32 v6, 10, v68
	s_lshl_b64 s[8:9], s[8:9], 1
	v_add_lshl_u32 v1, v5, s31, 7
	v_lshlrev_b32_e32 v5, 6, v5
	v_lshlrev_b32_e32 v7, 10, v67
	v_and_b32_e32 v6, 0x3800, v6
	s_delay_alu instid0(VALU_DEP_4) | instskip(NEXT) | instid1(VALU_DEP_2)
	v_ashrrev_i32_e32 v2, 31, v1
	v_or3_b32 v5, v6, v7, v5
	s_delay_alu instid0(VALU_DEP_2) | instskip(SKIP_2) | instid1(VALU_DEP_1)
	v_lshlrev_b64 v[1:2], 1, v[1:2]
	s_add_u32 s5, s6, s8
	s_addc_u32 s6, s7, s9
	v_add_co_u32 v1, vcc_lo, s5, v1
	s_delay_alu instid0(VALU_DEP_2) | instskip(NEXT) | instid1(VALU_DEP_2)
	v_add_co_ci_u32_e32 v2, vcc_lo, s6, v2, vcc_lo
	v_add_co_u32 v1, vcc_lo, v1, v65
	s_delay_alu instid0(VALU_DEP_2)
	v_add_co_ci_u32_e32 v2, vcc_lo, 0, v2, vcc_lo
	global_load_b128 v[1:4], v[1:2], off
	s_waitcnt vmcnt(0)
	ds_store_b128 v5, v[1:4]
.LBB1289_10:
	s_or_b32 exec_lo, exec_lo, s4
	v_and_b32_e32 v1, 0xef, v0
	s_waitcnt lgkmcnt(0)
	s_add_i32 s5, s24, 31
	s_clause 0x1
	s_load_b32 s4, s[0:1], 0x38
	s_load_b32 s33, s[0:1], 0x98
	s_ashr_i32 s6, s5, 31
	v_add_nc_u32_e32 v1, s12, v1
	s_lshr_b32 s6, s6, 27
	s_load_b32 s19, s[0:1], 0x1c
	s_add_i32 s5, s5, s6
	s_waitcnt lgkmcnt(0)
	v_ashrrev_i32_e32 v2, 31, v1
	v_or_b32_e32 v3, 16, v1
	s_ashr_i32 s13, s5, 5
	v_cmp_gt_i32_e32 vcc_lo, s24, v1
	s_add_i32 s13, s13, -1
	v_lshrrev_b32_e32 v2, 27, v2
	s_barrier
	buffer_gl0_inv
	s_mul_i32 s15, s15, s18
	v_add_nc_u32_e32 v4, v1, v2
	s_mul_i32 s4, s30, s4
	s_delay_alu instid0(SALU_CYCLE_1) | instskip(NEXT) | instid1(VALU_DEP_1)
	s_ashr_i32 s5, s4, 31
	v_ashrrev_i32_e32 v4, 5, v4
	v_add_nc_u32_e32 v2, v3, v2
	s_lshl_b64 s[4:5], s[4:5], 2
	s_delay_alu instid0(SALU_CYCLE_1) | instskip(NEXT) | instid1(VALU_DEP_2)
	s_add_u32 s16, s2, s4
	v_cndmask_b32_e32 v1, s13, v4, vcc_lo
	s_delay_alu instid0(VALU_DEP_2)
	v_ashrrev_i32_e32 v2, 5, v2
	v_cmp_gt_i32_e32 vcc_lo, s24, v3
	s_addc_u32 s25, s3, s5
	s_ashr_i32 s18, s15, 31
	s_add_u32 s2, s20, s15
	s_addc_u32 s3, s21, s18
	v_cndmask_b32_e32 v3, s13, v2, vcc_lo
	v_ashrrev_i32_e32 v2, 31, v1
	s_lshl_b32 s4, s14, 3
	s_delay_alu instid0(SALU_CYCLE_1) | instskip(NEXT) | instid1(VALU_DEP_2)
	s_ashr_i32 s5, s4, 31
	v_ashrrev_i32_e32 v4, 31, v3
	s_delay_alu instid0(VALU_DEP_2) | instskip(SKIP_1) | instid1(SALU_CYCLE_1)
	v_lshlrev_b64 v[1:2], 2, v[1:2]
	s_lshl_b64 s[4:5], s[4:5], 2
	s_add_u32 s4, s16, s4
	s_delay_alu instid0(VALU_DEP_2) | instskip(SKIP_1) | instid1(VALU_DEP_2)
	v_lshlrev_b64 v[3:4], 2, v[3:4]
	s_addc_u32 s5, s25, s5
	v_add_co_u32 v1, vcc_lo, s16, v1
	v_add_co_ci_u32_e32 v2, vcc_lo, s25, v2, vcc_lo
	s_delay_alu instid0(VALU_DEP_3) | instskip(NEXT) | instid1(VALU_DEP_4)
	v_add_co_u32 v3, vcc_lo, s16, v3
	v_add_co_ci_u32_e32 v4, vcc_lo, s25, v4, vcc_lo
	s_clause 0x1
	global_load_b32 v5, v[1:2], off
	global_load_b32 v6, v[3:4], off
	s_or_b32 s6, s12, 32
	s_delay_alu instid0(SALU_CYCLE_1) | instskip(SKIP_2) | instid1(SALU_CYCLE_1)
	s_ashr_i32 s7, s6, 5
	s_cmp_lt_i32 s6, s24
	s_cselect_b32 s6, s7, s13
	s_ashr_i32 s7, s6, 31
	s_delay_alu instid0(SALU_CYCLE_1) | instskip(NEXT) | instid1(SALU_CYCLE_1)
	s_lshl_b64 s[6:7], s[6:7], 2
	s_add_u32 s6, s16, s6
	s_addc_u32 s7, s25, s7
	s_or_b32 s8, s12, 64
	s_delay_alu instid0(SALU_CYCLE_1) | instskip(SKIP_2) | instid1(SALU_CYCLE_1)
	s_ashr_i32 s9, s8, 5
	s_cmp_lt_i32 s8, s24
	s_cselect_b32 s8, s9, s13
	s_ashr_i32 s9, s8, 31
	s_delay_alu instid0(SALU_CYCLE_1) | instskip(NEXT) | instid1(SALU_CYCLE_1)
	s_lshl_b64 s[8:9], s[8:9], 2
	s_add_u32 s8, s16, s8
	s_addc_u32 s9, s25, s9
	;; [unrolled: 10-line block ×5, first 2 shown]
	s_clause 0x5
	s_load_b32 s28, s[4:5], 0x0
	s_load_b32 s29, s[6:7], 0x0
	;; [unrolled: 1-line block ×6, first 2 shown]
	s_mov_b32 s4, 0
	s_delay_alu instid0(SALU_CYCLE_1)
	s_mov_b32 s5, s4
	s_mov_b32 s6, s4
	;; [unrolled: 1-line block ×7, first 2 shown]
	s_delay_alu instid0(SALU_CYCLE_1)
	v_dual_mov_b32 v118, s11 :: v_dual_mov_b32 v117, s10
	v_dual_mov_b32 v116, s9 :: v_dual_mov_b32 v115, s8
	v_mov_b32_e32 v113, s6
	v_dual_mov_b32 v111, s4 :: v_dual_mov_b32 v114, s7
	v_mov_b32_e32 v112, s5
	s_waitcnt vmcnt(1)
	v_mad_i64_i32 v[1:2], null, v5, s17, s[2:3]
	v_lshlrev_b32_e32 v5, 4, v68
	s_waitcnt vmcnt(0)
	v_mad_i64_i32 v[3:4], null, v6, s17, s[2:3]
	s_or_b32 s2, s12, 0xc0
	s_delay_alu instid0(SALU_CYCLE_1) | instskip(NEXT) | instid1(VALU_DEP_3)
	s_ashr_i32 s3, s2, 5
	v_add_co_u32 v1, vcc_lo, v1, v5
	s_delay_alu instid0(VALU_DEP_4) | instskip(NEXT) | instid1(VALU_DEP_3)
	v_add_co_ci_u32_e32 v2, vcc_lo, 0, v2, vcc_lo
	v_add_co_u32 v3, vcc_lo, v3, v5
	s_delay_alu instid0(VALU_DEP_4)
	v_add_co_ci_u32_e32 v4, vcc_lo, 0, v4, vcc_lo
	s_clause 0xf
	global_load_b128 v[17:20], v[1:2], off
	global_load_b128 v[21:24], v[1:2], off offset:512
	global_load_b128 v[25:28], v[3:4], off offset:256
	;; [unrolled: 1-line block ×15, first 2 shown]
	s_cmp_lt_i32 s2, s24
	v_add_nc_u32_e32 v1, -12, v68
	s_cselect_b32 s2, s3, s13
	v_cmp_gt_u32_e32 vcc_lo, 12, v68
	s_ashr_i32 s3, s2, 31
	v_lshlrev_b32_e32 v2, 5, v68
	s_lshl_b64 s[2:3], s[2:3], 2
	s_delay_alu instid0(SALU_CYCLE_1)
	s_add_u32 s2, s16, s2
	s_addc_u32 s3, s25, s3
	s_or_b32 s20, s12, 0xe0
	v_cndmask_b32_e32 v1, v1, v68, vcc_lo
	s_ashr_i32 s21, s20, 5
	s_cmp_lt_i32 s20, s24
	s_cselect_b32 s20, s21, s13
	s_delay_alu instid0(VALU_DEP_1)
	v_lshlrev_b32_e32 v149, 6, v1
	s_ashr_i32 s21, s20, 31
	v_lshl_or_b32 v1, v69, 9, v2
	s_lshl_b64 s[4:5], s[20:21], 2
	ds_load_b128 v[119:122], v149
	ds_load_b128 v[123:126], v149 offset:1024
	s_add_u32 s4, s16, s4
	s_addc_u32 s5, s25, s5
	ds_load_b128 v[127:130], v149 offset:2048
	ds_load_b128 v[131:134], v149 offset:3072
	s_clause 0x1
	s_load_b32 s2, s[2:3], 0x0
	s_load_b32 s3, s[4:5], 0x0
	s_add_u32 s6, s22, s15
	s_addc_u32 s7, s23, s18
	v_add_co_u32 v135, s6, s6, v1
	s_delay_alu instid0(VALU_DEP_1) | instskip(SKIP_1) | instid1(VALU_DEP_1)
	v_add_co_ci_u32_e64 v136, null, s7, 0, s6
	s_waitcnt lgkmcnt(0)
	v_mad_i64_i32 v[1:2], null, s28, s17, v[135:136]
	v_mad_i64_i32 v[3:4], null, s29, s17, v[135:136]
	;; [unrolled: 1-line block ×6, first 2 shown]
	s_clause 0x9
	global_load_b128 v[49:52], v[1:2], off
	global_load_b128 v[53:56], v[1:2], off offset:16
	global_load_b128 v[41:44], v[3:4], off
	global_load_b128 v[45:48], v[3:4], off offset:16
	;; [unrolled: 2-line block ×5, first 2 shown]
	v_mad_i64_i32 v[145:146], null, s2, s17, v[135:136]
	v_mad_i64_i32 v[147:148], null, s3, s17, v[135:136]
	s_waitcnt vmcnt(24)
	v_wmma_f32_16x16x16_f16 v[135:142], v[17:24], v[119:126], v[111:118]
	s_waitcnt vmcnt(22)
	v_wmma_f32_16x16x16_f16 v[111:118], v[25:32], v[119:126], v[111:118]
	s_clause 0x3
	global_load_b128 v[17:20], v[143:144], off
	global_load_b128 v[21:24], v[143:144], off offset:16
	global_load_b128 v[25:28], v[145:146], off
	global_load_b128 v[29:32], v[145:146], off offset:16
	v_and_b32_e32 v119, 0xe0, v0
	s_waitcnt vmcnt(24)
	v_wmma_f32_16x16x16_f16 v[135:142], v[57:64], v[127:134], v[135:142]
	s_clause 0x1
	global_load_b128 v[57:60], v[147:148], off
	global_load_b128 v[61:64], v[147:148], off offset:16
	s_waitcnt vmcnt(24)
	v_wmma_f32_16x16x16_f16 v[111:118], v[71:78], v[127:134], v[111:118]
	ds_load_b128 v[71:74], v149 offset:4096
	ds_load_b128 v[75:78], v149 offset:5120
	v_add_nc_u32_e32 v128, s12, v119
	ds_load_b128 v[119:122], v149 offset:6144
	ds_load_b128 v[123:126], v149 offset:7168
	v_mbcnt_lo_u32_b32 v127, -1, 0
	s_waitcnt vmcnt(0) lgkmcnt(0)
	s_barrier
	v_or_b32_e32 v128, v128, v66
	buffer_gl0_inv
	v_xor_b32_e32 v129, 16, v127
	v_or_b32_e32 v130, 4, v128
	v_or_b32_e32 v131, 6, v128
	s_delay_alu instid0(VALU_DEP_3) | instskip(SKIP_4) | instid1(VALU_DEP_4)
	v_cmp_gt_i32_e32 vcc_lo, 32, v129
	v_or_b32_e32 v132, 8, v128
	v_or_b32_e32 v133, 10, v128
	v_cmp_gt_i32_e64 s3, s24, v130
	v_cmp_gt_i32_e64 s4, s24, v131
	;; [unrolled: 1-line block ×3, first 2 shown]
	v_wmma_f32_16x16x16_f16 v[135:142], v[79:86], v[71:78], v[135:142]
	v_wmma_f32_16x16x16_f16 v[111:118], v[87:94], v[71:78], v[111:118]
	v_or_b32_e32 v79, 12, v128
	v_or_b32_e32 v80, 14, v128
	v_cmp_gt_i32_e64 s6, s24, v133
	v_wmma_f32_16x16x16_f16 v[135:142], v[95:102], v[119:126], v[135:142]
	v_wmma_f32_16x16x16_f16 v[111:118], v[103:110], v[119:126], v[111:118]
	v_cndmask_b32_e32 v127, v127, v129, vcc_lo
	v_or_b32_e32 v129, 2, v128
	v_cmp_gt_i32_e32 vcc_lo, s24, v128
	s_delay_alu instid0(VALU_DEP_4) | instskip(SKIP_1) | instid1(VALU_DEP_4)
	v_dual_mul_f32 v87, s19, v136 :: v_dual_mul_f32 v94, s19, v113
	v_mul_f32_e32 v88, s19, v135
	v_cmp_gt_i32_e64 s2, s24, v129
	v_mul_f32_e32 v78, s19, v138
	v_mul_f32_e32 v86, s19, v137
	;; [unrolled: 1-line block ×3, first 2 shown]
	v_cndmask_b32_e32 v88, 0xff7fffff, v88, vcc_lo
	v_cndmask_b32_e64 v87, 0xff7fffff, v87, s2
	v_dual_mul_f32 v77, s19, v139 :: v_dual_mul_f32 v90, s19, v117
	v_cndmask_b32_e64 v86, 0xff7fffff, v86, s3
	v_cndmask_b32_e64 v78, 0xff7fffff, v78, s4
	s_delay_alu instid0(VALU_DEP_4)
	v_max3_f32 v87, v88, 0xff7fffff, v87
	v_or_b32_e32 v81, 16, v128
	v_or_b32_e32 v82, 18, v128
	v_dual_mul_f32 v74, s19, v142 :: v_dual_mul_f32 v75, s19, v141
	v_mul_f32_e32 v96, s19, v111
	v_cndmask_b32_e64 v77, 0xff7fffff, v77, s5
	v_cndmask_b32_e64 v76, 0xff7fffff, v76, s6
	v_max3_f32 v78, v87, v86, v78
	v_cmp_gt_i32_e64 s7, s24, v79
	v_cmp_gt_i32_e64 s8, s24, v80
	v_or_b32_e32 v83, 20, v128
	v_or_b32_e32 v84, 22, v128
	v_mul_f32_e32 v95, s19, v112
	v_cndmask_b32_e64 v75, 0xff7fffff, v75, s7
	v_cndmask_b32_e64 v74, 0xff7fffff, v74, s8
	v_max3_f32 v76, v78, v77, v76
	v_cmp_gt_i32_e64 s9, s24, v81
	v_cmp_gt_i32_e64 s10, s24, v82
	v_or_b32_e32 v85, 24, v128
	v_or_b32_e32 v71, 26, v128
	;; [unrolled: 8-line block ×3, first 2 shown]
	v_dual_mul_f32 v91, s19, v116 :: v_dual_mul_f32 v92, s19, v115
	v_cndmask_b32_e64 v75, 0xff7fffff, v94, s11
	v_cndmask_b32_e64 v76, 0xff7fffff, v93, s12
	v_max3_f32 v74, v74, v77, v78
	v_cmp_gt_i32_e64 s13, s24, v85
	v_cmp_gt_i32_e64 s15, s24, v71
	v_mul_f32_e32 v89, s19, v118
	v_cmp_gt_i32_e64 s16, s24, v72
	v_max3_f32 v74, v74, v75, v76
	v_cndmask_b32_e64 v77, 0xff7fffff, v92, s13
	v_cndmask_b32_e64 v71, 0xff7fffff, v91, s15
	v_cmp_gt_i32_e64 s17, s24, v73
	v_cndmask_b32_e64 v72, 0xff7fffff, v90, s16
	s_delay_alu instid0(VALU_DEP_3) | instskip(SKIP_1) | instid1(VALU_DEP_4)
	v_max3_f32 v71, v74, v77, v71
	v_lshlrev_b32_e32 v74, 2, v127
	v_cndmask_b32_e64 v73, 0xff7fffff, v89, s17
	s_delay_alu instid0(VALU_DEP_1) | instskip(SKIP_3) | instid1(VALU_DEP_1)
	v_max3_f32 v71, v71, v72, v73
	ds_bpermute_b32 v72, v74, v71
	s_waitcnt lgkmcnt(0)
	v_max_f32_e32 v72, v72, v72
	v_max_f32_e32 v71, v71, v72
	s_delay_alu instid0(VALU_DEP_1) | instskip(SKIP_4) | instid1(VALU_DEP_4)
	v_fma_f32 v72, s19, v135, -v71
	v_fma_f32 v73, s19, v136, -v71
	;; [unrolled: 1-line block ×5, first 2 shown]
	v_dual_mul_f32 v72, 0x3fb8aa3b, v72 :: v_dual_mul_f32 v73, 0x3fb8aa3b, v73
	s_delay_alu instid0(VALU_DEP_3) | instskip(SKIP_1) | instid1(VALU_DEP_3)
	v_dual_mul_f32 v75, 0x3fb8aa3b, v75 :: v_dual_mul_f32 v76, 0x3fb8aa3b, v76
	v_fma_f32 v80, s19, v141, -v71
	v_exp_f32_e32 v72, v72
	s_delay_alu instid0(VALU_DEP_3) | instskip(NEXT) | instid1(VALU_DEP_2)
	v_exp_f32_e32 v73, v73
	v_exp_f32_e32 v75, v75
	;; [unrolled: 1-line block ×3, first 2 shown]
	v_mul_f32_e32 v82, 0x3fb8aa3b, v80
	s_delay_alu instid0(VALU_DEP_1) | instskip(SKIP_4) | instid1(TRANS32_DEP_3)
	v_exp_f32_e32 v84, v82
	v_cndmask_b32_e32 v79, 0, v72, vcc_lo
	v_fma_f32 v72, s19, v140, -v71
	v_mul_f32_e32 v77, 0x3fb8aa3b, v77
	v_cndmask_b32_e64 v78, 0, v73, s2
	v_cndmask_b32_e64 v81, 0, v75, s3
	s_delay_alu instid0(VALU_DEP_4) | instskip(NEXT) | instid1(VALU_DEP_4)
	v_dual_add_f32 v73, 0, v79 :: v_dual_mul_f32 v72, 0x3fb8aa3b, v72
	v_exp_f32_e32 v77, v77
	v_cndmask_b32_e64 v80, 0, v76, s4
	s_delay_alu instid0(TRANS32_DEP_2) | instskip(NEXT) | instid1(VALU_DEP_3)
	v_cndmask_b32_e64 v85, 0, v84, s7
	v_add_f32_e32 v73, v73, v78
	v_exp_f32_e32 v72, v72
	s_mov_b32 s2, exec_lo
	s_delay_alu instid0(VALU_DEP_1) | instskip(SKIP_4) | instid1(VALU_DEP_2)
	v_add_f32_e32 v73, v73, v81
	s_waitcnt_depctr 0xfff
	v_cndmask_b32_e64 v83, 0, v77, s5
	v_add_f32_e32 v73, v73, v80
	v_cndmask_b32_e64 v82, 0, v72, s6
	v_add_f32_e32 v72, v73, v83
	s_delay_alu instid0(VALU_DEP_1) | instskip(NEXT) | instid1(VALU_DEP_1)
	v_add_f32_e32 v72, v72, v82
	v_add_f32_e32 v72, v72, v85
	v_fma_f32 v76, s19, v111, -v71
	v_fma_f32 v75, s19, v142, -v71
	;; [unrolled: 1-line block ×5, first 2 shown]
	s_delay_alu instid0(VALU_DEP_4) | instskip(NEXT) | instid1(VALU_DEP_3)
	v_dual_mul_f32 v76, 0x3fb8aa3b, v76 :: v_dual_mul_f32 v75, 0x3fb8aa3b, v75
	v_mul_f32_e32 v86, 0x3fb8aa3b, v86
	s_delay_alu instid0(VALU_DEP_2) | instskip(NEXT) | instid1(VALU_DEP_2)
	v_exp_f32_e32 v76, v76
	v_exp_f32_e32 v75, v75
	s_delay_alu instid0(VALU_DEP_1) | instskip(NEXT) | instid1(TRANS32_DEP_3)
	v_exp_f32_e32 v88, v86
	v_cndmask_b32_e64 v87, 0, v76, s9
	v_fma_f32 v76, s19, v116, -v71
	v_mul_f32_e32 v77, 0x3fb8aa3b, v77
	s_waitcnt_depctr 0xfff
	v_cndmask_b32_e64 v84, 0, v75, s8
	v_fma_f32 v75, s19, v115, -v71
	v_cndmask_b32_e64 v88, 0, v88, s12
	v_mul_f32_e32 v76, 0x3fb8aa3b, v76
	v_exp_f32_e32 v77, v77
	v_add_f32_e32 v72, v72, v84
	s_delay_alu instid0(VALU_DEP_2) | instskip(NEXT) | instid1(VALU_DEP_1)
	v_exp_f32_e32 v76, v76
	v_add_f32_e32 v72, v72, v87
	s_waitcnt_depctr 0xfff
	v_cndmask_b32_e64 v86, 0, v77, s10
	v_mul_f32_e32 v73, 0x3fb8aa3b, v73
	v_fma_f32 v77, s19, v117, -v71
	v_cndmask_b32_e64 v90, 0, v76, s15
	s_delay_alu instid0(VALU_DEP_4) | instskip(NEXT) | instid1(VALU_DEP_4)
	v_add_f32_e32 v72, v72, v86
	v_exp_f32_e32 v73, v73
	s_waitcnt_depctr 0xfff
	v_cndmask_b32_e64 v89, 0, v73, s11
	s_delay_alu instid0(VALU_DEP_1) | instskip(NEXT) | instid1(VALU_DEP_1)
	v_dual_mul_f32 v75, 0x3fb8aa3b, v75 :: v_dual_add_f32 v72, v72, v89
	v_exp_f32_e32 v75, v75
	v_mul_f32_e32 v73, 0x3fb8aa3b, v77
	v_fma_f32 v77, s19, v118, -v71
	s_delay_alu instid0(VALU_DEP_3) | instskip(NEXT) | instid1(VALU_DEP_3)
	v_add_f32_e32 v72, v72, v88
	v_exp_f32_e32 v73, v73
	s_waitcnt_depctr 0xfff
	v_cndmask_b32_e64 v91, 0, v75, s13
	s_delay_alu instid0(VALU_DEP_1) | instskip(NEXT) | instid1(VALU_DEP_1)
	v_dual_mul_f32 v75, 0x3fb8aa3b, v77 :: v_dual_add_f32 v72, v72, v91
	v_exp_f32_e32 v75, v75
	v_cndmask_b32_e64 v93, 0, v73, s16
	s_delay_alu instid0(VALU_DEP_2) | instskip(NEXT) | instid1(VALU_DEP_1)
	v_add_f32_e32 v72, v72, v90
	v_add_f32_e32 v72, v72, v93
	s_waitcnt_depctr 0xfff
	v_cndmask_b32_e64 v92, 0, v75, s17
	s_delay_alu instid0(VALU_DEP_1)
	v_add_f32_e32 v72, v72, v92
	ds_bpermute_b32 v73, v74, v72
	v_cmpx_gt_u32_e32 16, v70
	s_cbranch_execz .LBB1289_12
; %bb.11:
	v_mul_u32_u24_e32 v70, 0x44, v69
	s_waitcnt lgkmcnt(0)
	v_add_f32_e32 v72, v72, v73
	s_delay_alu instid0(VALU_DEP_2) | instskip(NEXT) | instid1(VALU_DEP_1)
	v_lshl_add_u32 v70, v68, 2, v70
	v_add_nc_u32_e32 v70, 0x4000, v70
	ds_store_2addr_b32 v70, v71, v72 offset1:136
.LBB1289_12:
	s_or_b32 exec_lo, exec_lo, s2
	v_lshlrev_b32_e32 v70, 2, v68
	s_load_b32 s34, s[0:1], 0x94
	s_waitcnt lgkmcnt(0)
	s_barrier
	buffer_gl0_inv
	v_add_nc_u32_e32 v98, 0x4000, v70
	v_cmp_eq_u32_e32 vcc_lo, 1, v69
	v_cmp_eq_u32_e64 s2, 2, v69
	v_cmp_eq_u32_e64 s3, 3, v69
	;; [unrolled: 1-line block ×3, first 2 shown]
	ds_load_2addr_b32 v[70:71], v98 offset1:17
	ds_load_2addr_b32 v[72:73], v98 offset0:34 offset1:51
	ds_load_2addr_b32 v[74:75], v98 offset0:68 offset1:85
	;; [unrolled: 1-line block ×3, first 2 shown]
	v_cmp_eq_u32_e64 s5, 5, v69
	v_cmp_eq_u32_e64 s6, 7, v69
	s_waitcnt lgkmcnt(3)
	v_max3_f32 v76, v70, 0xff7fffff, v71
	s_waitcnt lgkmcnt(2)
	s_delay_alu instid0(VALU_DEP_1) | instskip(SKIP_1) | instid1(VALU_DEP_1)
	v_max3_f32 v76, v76, v72, v73
	s_waitcnt lgkmcnt(1)
	v_max3_f32 v76, v76, v74, v75
	s_waitcnt lgkmcnt(0)
	s_delay_alu instid0(VALU_DEP_1) | instskip(NEXT) | instid1(VALU_DEP_1)
	v_max3_f32 v76, v76, v94, v95
	v_sub_f32_e32 v77, v71, v76
	ds_load_2addr_b32 v[96:97], v98 offset0:136 offset1:153
	v_sub_f32_e32 v74, v74, v76
	v_sub_f32_e32 v70, v70, v76
	;; [unrolled: 1-line block ×3, first 2 shown]
	v_dual_sub_f32 v72, v72, v76 :: v_dual_mul_f32 v77, 0x3fb8aa3b, v77
	s_delay_alu instid0(VALU_DEP_4) | instskip(NEXT) | instid1(VALU_DEP_4)
	v_mul_f32_e32 v103, 0x3fb8aa3b, v74
	v_mul_f32_e32 v99, 0x3fb8aa3b, v70
	ds_load_2addr_b32 v[70:71], v98 offset0:170 offset1:187
	v_dual_mul_f32 v101, 0x3fb8aa3b, v72 :: v_dual_mul_f32 v94, 0x3fb8aa3b, v94
	v_exp_f32_e32 v102, v77
	v_exp_f32_e32 v99, v99
	s_delay_alu instid0(VALU_DEP_1) | instskip(NEXT) | instid1(VALU_DEP_1)
	v_exp_f32_e32 v101, v101
	v_exp_f32_e32 v94, v94
	s_waitcnt lgkmcnt(1)
	s_delay_alu instid0(TRANS32_DEP_3)
	v_fma_f32 v77, v99, v96, 0
	v_sub_f32_e32 v100, v73, v76
	ds_load_2addr_b32 v[72:73], v98 offset0:204 offset1:221
	v_fmac_f32_e32 v77, v102, v97
	v_exp_f32_e32 v97, v103
	s_waitcnt lgkmcnt(1)
	s_delay_alu instid0(VALU_DEP_1)
	v_dual_fmac_f32 v77, v101, v70 :: v_dual_sub_f32 v96, v75, v76
	ds_load_2addr_b32 v[74:75], v98 offset0:238 offset1:255
	v_sub_f32_e32 v70, v95, v76
	s_waitcnt lgkmcnt(0)
	s_barrier
	v_mul_f32_e32 v96, 0x3fb8aa3b, v96
	buffer_gl0_inv
	v_exp_f32_e32 v95, v96
	v_mul_f32_e32 v100, 0x3fb8aa3b, v100
	s_delay_alu instid0(VALU_DEP_1) | instskip(SKIP_3) | instid1(VALU_DEP_2)
	v_exp_f32_e32 v100, v100
	s_waitcnt_depctr 0xfff
	v_dual_fmac_f32 v77, v100, v71 :: v_dual_mul_f32 v70, 0x3fb8aa3b, v70
	v_cndmask_b32_e32 v71, v99, v102, vcc_lo
	v_fmac_f32_e32 v77, v97, v72
	s_delay_alu instid0(VALU_DEP_3) | instskip(NEXT) | instid1(VALU_DEP_1)
	v_exp_f32_e32 v96, v70
	v_fmac_f32_e32 v77, v95, v73
	s_delay_alu instid0(VALU_DEP_1) | instskip(SKIP_2) | instid1(VALU_DEP_1)
	v_fmac_f32_e32 v77, v94, v74
	s_waitcnt_depctr 0xfff
	v_fmac_f32_e32 v77, v96, v75
	v_add_f32_e32 v74, 0x358637bd, v77
	s_delay_alu instid0(VALU_DEP_1) | instskip(SKIP_1) | instid1(VALU_DEP_2)
	v_div_scale_f32 v98, null, v74, v74, 1.0
	v_div_scale_f32 v99, vcc_lo, 1.0, v74, 1.0
	v_rcp_f32_e32 v103, v98
	s_waitcnt_depctr 0xfff
	v_fma_f32 v70, -v98, v103, 1.0
	s_delay_alu instid0(VALU_DEP_1) | instskip(SKIP_2) | instid1(VALU_DEP_2)
	v_fmac_f32_e32 v103, v70, v103
	v_cndmask_b32_e64 v70, v71, v101, s2
	v_cmp_eq_u32_e64 s2, 6, v69
	v_cndmask_b32_e64 v71, v70, v100, s3
	s_delay_alu instid0(VALU_DEP_4) | instskip(NEXT) | instid1(VALU_DEP_2)
	v_dual_mul_f32 v101, v99, v103 :: v_dual_lshlrev_b32 v70, 2, v66
	v_cndmask_b32_e64 v71, v71, v97, s4
	s_delay_alu instid0(VALU_DEP_2) | instskip(NEXT) | instid1(VALU_DEP_3)
	v_or_b32_e32 v72, 1, v70
	v_fma_f32 v100, -v98, v101, v99
	v_cmp_eq_u32_e64 s3, 1, v70
	v_cmp_eq_u32_e64 s4, 2, v70
	v_cndmask_b32_e64 v95, v71, v95, s5
	v_or_b32_e32 v71, 3, v70
	v_fmac_f32_e32 v101, v100, v103
	v_cmp_eq_u32_e64 s8, 1, v72
	v_cmp_eq_u32_e64 s11, 2, v72
	v_cndmask_b32_e64 v94, v95, v94, s2
	v_cmp_eq_u32_e64 s10, 1, v71
	v_fma_f32 v97, -v98, v101, v99
	v_cmp_eq_u32_e64 s15, 2, v71
	v_cmp_eq_u32_e64 s12, 3, v72
	v_cndmask_b32_e64 v94, v94, v96, s6
	v_cmp_eq_u32_e64 s17, 3, v71
	v_div_fmas_f32 v95, v97, v103, v101
	v_cmp_eq_u32_e32 vcc_lo, 3, v70
	v_cmp_eq_u32_e64 s2, 4, v70
	v_cmp_eq_u32_e64 s18, 4, v72
	;; [unrolled: 1-line block ×3, first 2 shown]
	v_div_fixup_f32 v95, v95, v74, 1.0
	v_lshlrev_b32_e32 v73, 6, v68
	v_cmp_eq_u32_e64 s5, 5, v70
	v_cmp_eq_u32_e64 s19, 5, v72
	;; [unrolled: 1-line block ×3, first 2 shown]
	v_mul_f32_e32 v102, v94, v95
	v_lshl_or_b32 v75, v69, 11, v73
	v_or_b32_e32 v69, 2, v70
	v_cmp_eq_u32_e64 s24, 6, v72
	v_cmp_eq_u32_e64 s26, 6, v71
	v_fma_mixlo_f16 v94, v102, v79, 0
	v_fma_mixlo_f16 v95, v102, v81, 0
	;; [unrolled: 1-line block ×8, first 2 shown]
	v_lshl_or_b32 v74, v66, 4, v75
	v_fma_mixhi_f16 v94, v102, v78, 0
	v_fma_mixhi_f16 v95, v102, v80, 0
	;; [unrolled: 1-line block ×8, first 2 shown]
	ds_store_b128 v74, v[94:97]
	ds_store_b128 v74, v[98:101] offset:1024
	s_waitcnt lgkmcnt(0)
	s_barrier
	buffer_gl0_inv
	ds_load_b128 v[78:81], v75
	ds_load_b128 v[82:85], v75 offset:16
	ds_load_b128 v[86:89], v75 offset:1024
	;; [unrolled: 1-line block ×3, first 2 shown]
	v_cmp_eq_u32_e64 s9, 1, v69
	v_cmp_eq_u32_e64 s13, 2, v69
	;; [unrolled: 1-line block ×11, first 2 shown]
	s_waitcnt lgkmcnt(3)
	v_lshrrev_b32_e32 v94, 16, v78
	s_waitcnt lgkmcnt(2)
	v_lshrrev_b32_e32 v98, 16, v82
	;; [unrolled: 2-line block ×4, first 2 shown]
	v_lshrrev_b32_e32 v95, 16, v79
	v_cndmask_b32_e64 v110, v78, v94, s3
	v_cndmask_b32_e64 v111, v82, v98, s3
	;; [unrolled: 1-line block ×8, first 2 shown]
	v_lshrrev_b32_e32 v99, 16, v83
	v_cndmask_b32_e64 v94, v86, v102, s3
	v_cndmask_b32_e64 v98, v90, v106, s3
	v_cndmask_b32_e64 v116, v86, v102, s8
	v_cndmask_b32_e64 v117, v90, v106, s8
	v_cndmask_b32_e64 v118, v86, v102, s9
	v_cndmask_b32_e64 v119, v90, v106, s9
	v_cndmask_b32_e64 v86, v86, v102, s10
	v_cndmask_b32_e64 v90, v90, v106, s10
	v_cndmask_b32_e64 v102, v110, v79, s4
	v_cndmask_b32_e64 v106, v111, v83, s4
	v_cndmask_b32_e64 v110, v112, v79, s11
	v_cndmask_b32_e64 v111, v113, v83, s11
	v_cndmask_b32_e64 v112, v114, v79, s13
	v_cndmask_b32_e64 v78, v78, v79, s15
	v_cndmask_b32_e64 v79, v82, v83, s15
	v_lshrrev_b32_e32 v103, 16, v87
	v_lshrrev_b32_e32 v107, 16, v91
	v_cndmask_b32_e64 v113, v115, v83, s13
	v_cndmask_b32_e64 v82, v94, v87, s4
	;; [unrolled: 1-line block ×7, first 2 shown]
	v_cndmask_b32_e32 v90, v102, v95, vcc_lo
	v_cndmask_b32_e32 v102, v106, v99, vcc_lo
	v_cndmask_b32_e64 v106, v110, v95, s12
	v_cndmask_b32_e64 v110, v111, v99, s12
	;; [unrolled: 1-line block ×4, first 2 shown]
	v_lshrrev_b32_e32 v96, 16, v80
	v_lshrrev_b32_e32 v100, 16, v84
	v_cndmask_b32_e64 v111, v112, v95, s16
	v_cndmask_b32_e64 v112, v113, v99, s16
	v_cndmask_b32_e32 v82, v82, v103, vcc_lo
	v_cndmask_b32_e32 v83, v83, v107, vcc_lo
	v_cndmask_b32_e64 v94, v94, v103, s12
	v_cndmask_b32_e64 v90, v90, v80, s2
	;; [unrolled: 1-line block ×7, first 2 shown]
	v_lshrrev_b32_e32 v104, 16, v88
	v_cndmask_b32_e64 v106, v111, v80, s20
	v_cndmask_b32_e64 v110, v112, v84, s20
	;; [unrolled: 1-line block ×11, first 2 shown]
	v_lshrrev_b32_e32 v97, 16, v81
	v_lshrrev_b32_e32 v101, 16, v85
	v_cndmask_b32_e64 v99, v106, v96, s22
	v_cndmask_b32_e64 v102, v110, v100, s22
	;; [unrolled: 1-line block ×7, first 2 shown]
	v_lshrrev_b32_e32 v105, 16, v89
	v_cndmask_b32_e64 v80, v80, v104, s5
	v_cndmask_b32_e64 v84, v84, v81, s6
	;; [unrolled: 1-line block ×16, first 2 shown]
	v_perm_b32 v81, v79, v78, 0x5040100
	v_perm_b32 v79, v95, v85, 0x5040100
	v_cndmask_b32_e64 v78, v119, v91, s13
	v_cndmask_b32_e64 v85, v117, v91, s11
	;; [unrolled: 1-line block ×3, first 2 shown]
	v_perm_b32 v80, v94, v90, 0x5040100
	v_cndmask_b32_e64 v90, v98, v103, s16
	v_cndmask_b32_e64 v86, v86, v103, s17
	v_cndmask_b32_e64 v87, v87, v107, s17
	v_cndmask_b32_e64 v78, v78, v107, s16
	v_cndmask_b32_e64 v85, v85, v107, s12
	v_lshrrev_b32_e32 v108, 16, v92
	v_cndmask_b32_e64 v90, v90, v88, s20
	v_cndmask_b32_e64 v86, v86, v88, s21
	;; [unrolled: 1-line block ×11, first 2 shown]
	v_lshrrev_b32_e32 v109, 16, v93
	v_cndmask_b32_e64 v82, v82, v93, s6
	v_cndmask_b32_e64 v88, v88, v89, s25
	;; [unrolled: 1-line block ×12, first 2 shown]
	v_perm_b32 v78, v84, v83, 0x5040100
	v_perm_b32 v85, v87, v86, 0x5040100
	;; [unrolled: 1-line block ×5, first 2 shown]
	s_mul_i32 s7, s33, 12
	s_mov_b32 s2, exec_lo
	ds_store_b128 v74, v[78:81]
	ds_store_b128 v74, v[82:85] offset:1024
	v_cmpx_gt_u32_e32 12, v0
	s_cbranch_execz .LBB1289_14
; %bb.13:
	s_mul_i32 s3, s7, s30
	s_load_b128 s[8:11], s[0:1], 0x58
	v_add3_u32 v68, s3, s31, v68
	s_delay_alu instid0(VALU_DEP_1) | instskip(NEXT) | instid1(VALU_DEP_1)
	v_mad_u64_u32 v[78:79], null, v68, s34, s[14:15]
	v_ashrrev_i32_e32 v79, 31, v78
	s_delay_alu instid0(VALU_DEP_1) | instskip(SKIP_1) | instid1(VALU_DEP_1)
	v_lshlrev_b64 v[78:79], 2, v[78:79]
	s_waitcnt lgkmcnt(0)
	v_add_co_u32 v80, vcc_lo, s10, v78
	s_delay_alu instid0(VALU_DEP_2)
	v_add_co_ci_u32_e32 v81, vcc_lo, s11, v79, vcc_lo
	v_add_co_u32 v78, vcc_lo, s8, v78
	v_add_co_ci_u32_e32 v79, vcc_lo, s9, v79, vcc_lo
	global_store_b32 v[80:81], v76, off
	global_store_b32 v[78:79], v77, off
.LBB1289_14:
	s_or_b32 exec_lo, exec_lo, s2
	s_waitcnt lgkmcnt(0)
	s_waitcnt_vscnt null, 0x0
	s_barrier
	buffer_gl0_inv
	ds_load_b128 v[84:87], v73
	ds_load_b128 v[88:91], v73 offset:16
	ds_load_b128 v[96:99], v73 offset:2064
	;; [unrolled: 1-line block ×5, first 2 shown]
	v_cmp_eq_u32_e32 vcc_lo, 1, v70
	v_mov_b32_e32 v76, 0
	ds_load_b128 v[112:115], v73 offset:6160
	ds_load_b128 v[108:111], v73 offset:6144
	;; [unrolled: 1-line block ×4, first 2 shown]
	v_cmp_eq_u32_e64 s3, 1, v69
	v_cmp_eq_u32_e64 s2, 1, v72
	;; [unrolled: 1-line block ×3, first 2 shown]
	v_mov_b32_e32 v77, v76
	v_mov_b32_e32 v78, v76
	;; [unrolled: 1-line block ×7, first 2 shown]
	v_cmp_eq_u32_e64 s5, 3, v72
	v_cmp_eq_u32_e64 s6, 7, v72
	s_waitcnt lgkmcnt(8)
	s_delay_alu instid0(VALU_DEP_3)
	v_wmma_f32_16x16x16_f16 v[76:83], v[49:56], v[84:91], v[76:83]
	ds_load_b128 v[53:56], v73 offset:10256
	ds_load_b128 v[49:52], v73 offset:10240
	s_waitcnt lgkmcnt(8)
	v_wmma_f32_16x16x16_f16 v[76:83], v[41:48], v[92:99], v[76:83]
	ds_load_b128 v[45:48], v73 offset:12304
	ds_load_b128 v[41:44], v73 offset:12288
	s_waitcnt lgkmcnt(8)
	;; [unrolled: 4-line block ×3, first 2 shown]
	s_barrier
	buffer_gl0_inv
	v_wmma_f32_16x16x16_f16 v[76:83], v[1:8], v[108:115], v[76:83]
	s_delay_alu instid0(VALU_DEP_1) | instskip(NEXT) | instid1(VALU_DEP_1)
	v_wmma_f32_16x16x16_f16 v[76:83], v[9:16], v[116:123], v[76:83]
	v_wmma_f32_16x16x16_f16 v[76:83], v[17:24], v[49:56], v[76:83]
	s_delay_alu instid0(VALU_DEP_1) | instskip(NEXT) | instid1(VALU_DEP_1)
	v_wmma_f32_16x16x16_f16 v[76:83], v[25:32], v[41:48], v[76:83]
	v_wmma_f32_16x16x16_f16 v[76:83], v[57:64], v[33:40], v[76:83]
	s_delay_alu instid0(VALU_DEP_1) | instskip(NEXT) | instid1(VALU_DEP_2)
	v_cvt_f16_f32_e32 v1, v76
	v_cvt_f16_f32_e32 v2, v77
	s_delay_alu instid0(VALU_DEP_3) | instskip(NEXT) | instid1(VALU_DEP_4)
	v_cvt_f16_f32_e32 v3, v78
	v_cvt_f16_f32_e32 v4, v79
	;; [unrolled: 1-line block ×6, first 2 shown]
	v_pack_b32_f16 v1, v1, v2
	v_pack_b32_f16 v2, v3, v4
	;; [unrolled: 1-line block ×3, first 2 shown]
	s_delay_alu instid0(VALU_DEP_4)
	v_pack_b32_f16 v4, v7, v8
	ds_store_b128 v74, v[1:4]
	s_waitcnt lgkmcnt(0)
	s_barrier
	buffer_gl0_inv
	ds_load_b128 v[1:4], v75
	ds_load_b128 v[5:8], v75 offset:16
	s_waitcnt lgkmcnt(1)
	v_lshrrev_b32_e32 v9, 16, v1
	s_waitcnt lgkmcnt(0)
	v_lshrrev_b32_e32 v13, 16, v5
	v_lshrrev_b32_e32 v10, 16, v2
	;; [unrolled: 1-line block ×4, first 2 shown]
	v_cndmask_b32_e32 v17, v1, v9, vcc_lo
	v_cndmask_b32_e32 v18, v5, v13, vcc_lo
	v_cndmask_b32_e64 v21, v1, v9, s3
	v_cmp_eq_u32_e32 vcc_lo, 1, v71
	v_cndmask_b32_e64 v22, v5, v13, s3
	v_cmp_eq_u32_e64 s3, 2, v70
	v_cndmask_b32_e64 v19, v1, v9, s2
	v_cndmask_b32_e64 v20, v5, v13, s2
	v_cndmask_b32_e32 v1, v1, v9, vcc_lo
	v_cmp_eq_u32_e64 s2, 2, v71
	v_cndmask_b32_e32 v5, v5, v13, vcc_lo
	v_cndmask_b32_e64 v9, v17, v2, s3
	v_cmp_eq_u32_e32 vcc_lo, 3, v70
	v_cndmask_b32_e64 v13, v18, v6, s3
	v_cmp_eq_u32_e64 s3, 2, v69
	v_cndmask_b32_e64 v17, v19, v2, s4
	v_cndmask_b32_e64 v18, v20, v6, s4
	v_cmp_eq_u32_e64 s4, 3, v69
	v_cndmask_b32_e64 v1, v1, v2, s2
	v_cndmask_b32_e64 v19, v21, v2, s3
	;; [unrolled: 1-line block ×4, first 2 shown]
	v_cndmask_b32_e32 v5, v9, v10, vcc_lo
	v_cndmask_b32_e32 v6, v13, v14, vcc_lo
	v_cmp_eq_u32_e32 vcc_lo, 3, v71
	v_cndmask_b32_e64 v9, v17, v10, s5
	v_cndmask_b32_e64 v13, v18, v14, s5
	;; [unrolled: 1-line block ×3, first 2 shown]
	v_cmp_eq_u32_e64 s3, 4, v70
	v_cndmask_b32_e32 v1, v1, v10, vcc_lo
	v_cndmask_b32_e32 v2, v2, v14, vcc_lo
	v_cmp_eq_u32_e32 vcc_lo, 4, v72
	v_lshrrev_b32_e32 v15, 16, v7
	v_lshrrev_b32_e32 v16, 16, v8
	v_cndmask_b32_e64 v17, v19, v10, s4
	v_cmp_eq_u32_e64 s2, 4, v71
	v_cndmask_b32_e64 v5, v5, v3, s3
	v_cndmask_b32_e64 v6, v6, v7, s3
	v_cndmask_b32_e32 v9, v9, v3, vcc_lo
	v_cmp_eq_u32_e64 s3, 5, v72
	v_cndmask_b32_e32 v10, v13, v7, vcc_lo
	v_cmp_eq_u32_e32 vcc_lo, 4, v69
	v_cmp_eq_u32_e64 s4, 5, v70
	v_cndmask_b32_e64 v2, v2, v7, s2
	v_cndmask_b32_e64 v9, v9, v11, s3
	;; [unrolled: 1-line block ×3, first 2 shown]
	v_cndmask_b32_e32 v13, v17, v3, vcc_lo
	v_cmp_eq_u32_e64 s3, 5, v69
	v_cndmask_b32_e32 v14, v18, v7, vcc_lo
	v_cndmask_b32_e64 v1, v1, v3, s2
	v_cmp_eq_u32_e32 vcc_lo, 5, v71
	v_lshrrev_b32_e32 v12, 16, v4
	v_cndmask_b32_e64 v13, v13, v11, s3
	v_cndmask_b32_e64 v3, v14, v15, s3
	v_cmp_eq_u32_e64 s3, 6, v71
	v_cndmask_b32_e32 v1, v1, v11, vcc_lo
	v_cndmask_b32_e64 v5, v5, v11, s4
	v_cmp_eq_u32_e64 s5, 6, v70
	v_cndmask_b32_e64 v6, v6, v15, s4
	v_cmp_eq_u32_e64 s4, 6, v72
	v_cmp_eq_u32_e64 s2, 6, v69
	v_cndmask_b32_e64 v1, v1, v4, s3
	v_cndmask_b32_e32 v2, v2, v15, vcc_lo
	v_cmp_eq_u32_e32 vcc_lo, 7, v71
	v_cndmask_b32_e64 v5, v5, v4, s5
	v_cndmask_b32_e64 v9, v9, v4, s4
	v_cndmask_b32_e64 v6, v6, v8, s5
	v_cmp_eq_u32_e64 s5, 7, v70
	v_cndmask_b32_e32 v1, v1, v12, vcc_lo
	v_cndmask_b32_e64 v7, v13, v4, s2
	v_cndmask_b32_e64 v3, v3, v8, s2
	;; [unrolled: 1-line block ×3, first 2 shown]
	v_cmp_eq_u32_e64 s2, 7, v69
	v_cndmask_b32_e64 v4, v10, v8, s4
	v_cndmask_b32_e64 v5, v5, v12, s5
	;; [unrolled: 1-line block ×3, first 2 shown]
	v_cndmask_b32_e32 v2, v2, v16, vcc_lo
	v_cndmask_b32_e64 v7, v7, v12, s2
	v_cndmask_b32_e64 v3, v3, v16, s2
	;; [unrolled: 1-line block ×4, first 2 shown]
	v_perm_b32 v4, v2, v1, 0x5040100
	s_mov_b32 s2, exec_lo
	v_perm_b32 v3, v3, v7, 0x5040100
	v_perm_b32 v2, v8, v9, 0x5040100
	;; [unrolled: 1-line block ×3, first 2 shown]
	ds_store_b128 v74, v[1:4]
	s_waitcnt lgkmcnt(0)
	s_barrier
	buffer_gl0_inv
	v_cmpx_gt_u32_e32 32, v0
	s_cbranch_execz .LBB1289_2
; %bb.15:
	s_load_b64 s[0:1], s[0:1], 0x68
	v_lshlrev_b32_e32 v0, 10, v0
	s_lshl_b32 s4, s34, 7
	v_or_b32_e32 v3, s31, v66
	s_mul_i32 s2, s4, s30
	v_lshlrev_b32_e32 v1, 4, v67
	s_mul_i32 s2, s2, s7
	v_lshlrev_b32_e32 v2, 6, v66
	v_and_b32_e32 v0, 0x3800, v0
	s_ashr_i32 s3, s2, 31
	v_mul_lo_u32 v4, v3, s4
	s_lshl_b64 s[2:3], s[2:3], 1
	s_delay_alu instid0(VALU_DEP_2) | instskip(NEXT) | instid1(VALU_DEP_2)
	v_or3_b32 v16, v0, v1, v2
	v_ashrrev_i32_e32 v5, 31, v4
	ds_load_b128 v[0:3], v16
	s_waitcnt lgkmcnt(0)
	s_add_u32 s2, s0, s2
	s_addc_u32 s3, s1, s3
	s_lshl_b32 s0, s14, 7
	v_lshlrev_b64 v[5:6], 1, v[4:5]
	s_ashr_i32 s1, s0, 31
	s_delay_alu instid0(SALU_CYCLE_1) | instskip(NEXT) | instid1(SALU_CYCLE_1)
	s_lshl_b64 s[0:1], s[0:1], 1
	s_add_u32 s0, s2, s0
	s_addc_u32 s1, s3, s1
	s_lshl_b32 s2, s34, 8
	v_add_co_u32 v30, s0, s0, v65
	v_add_nc_u32_e32 v8, s2, v4
	v_add_co_ci_u32_e64 v31, null, s1, 0, s0
	s_delay_alu instid0(VALU_DEP_3) | instskip(NEXT) | instid1(VALU_DEP_3)
	v_add_co_u32 v12, vcc_lo, v30, v5
	v_add_nc_u32_e32 v10, s2, v8
	v_ashrrev_i32_e32 v9, 31, v8
	s_delay_alu instid0(VALU_DEP_4)
	v_add_co_ci_u32_e32 v13, vcc_lo, v31, v6, vcc_lo
	ds_load_b128 v[4:7], v16 offset:128
	v_ashrrev_i32_e32 v11, 31, v10
	v_lshlrev_b64 v[8:9], 1, v[8:9]
	v_add_nc_u32_e32 v14, s2, v10
	global_store_b128 v[12:13], v[0:3], off
	v_lshlrev_b64 v[0:1], 1, v[10:11]
	v_ashrrev_i32_e32 v15, 31, v14
	v_add_co_u32 v22, vcc_lo, v30, v8
	v_add_nc_u32_e32 v20, s2, v14
	v_add_co_ci_u32_e32 v23, vcc_lo, v31, v9, vcc_lo
	v_add_co_u32 v26, vcc_lo, v30, v0
	v_lshlrev_b64 v[24:25], 1, v[14:15]
	v_add_co_ci_u32_e32 v27, vcc_lo, v31, v1, vcc_lo
	ds_load_b128 v[0:3], v16 offset:256
	ds_load_b128 v[8:11], v16 offset:384
	;; [unrolled: 1-line block ×4, first 2 shown]
	v_add_nc_u32_e32 v28, s2, v20
	v_ashrrev_i32_e32 v21, 31, v20
	v_add_co_u32 v24, vcc_lo, v30, v24
	v_add_co_ci_u32_e32 v25, vcc_lo, v31, v25, vcc_lo
	s_delay_alu instid0(VALU_DEP_4) | instskip(NEXT) | instid1(VALU_DEP_4)
	v_ashrrev_i32_e32 v29, 31, v28
	v_lshlrev_b64 v[20:21], 1, v[20:21]
	s_delay_alu instid0(VALU_DEP_2) | instskip(NEXT) | instid1(VALU_DEP_2)
	v_lshlrev_b64 v[28:29], 1, v[28:29]
	v_add_co_u32 v20, vcc_lo, v30, v20
	s_delay_alu instid0(VALU_DEP_3) | instskip(NEXT) | instid1(VALU_DEP_3)
	v_add_co_ci_u32_e32 v21, vcc_lo, v31, v21, vcc_lo
	v_add_co_u32 v28, vcc_lo, v30, v28
	s_delay_alu instid0(VALU_DEP_4)
	v_add_co_ci_u32_e32 v29, vcc_lo, v31, v29, vcc_lo
	s_waitcnt lgkmcnt(4)
	global_store_b128 v[22:23], v[4:7], off
	s_waitcnt lgkmcnt(3)
	global_store_b128 v[26:27], v[0:3], off
	s_waitcnt lgkmcnt(2)
	global_store_b128 v[24:25], v[8:11], off
	s_waitcnt lgkmcnt(1)
	global_store_b128 v[20:21], v[12:15], off
	s_waitcnt lgkmcnt(0)
	global_store_b128 v[28:29], v[16:19], off
	s_nop 0
	s_sendmsg sendmsg(MSG_DEALLOC_VGPRS)
	s_endpgm
	.section	.rodata,"a",@progbits
	.p2align	6, 0x0
	.amdhsa_kernel _Z39paged_attention_ll4mi_QKV_mfma16_kernelIDF16_hLN4vllm18Fp8KVCacheDataTypeE1EhLi32ELi128ELi256ELb1ELi12EL8MFMAType0EEvPKT_PKT0_S8_ifPKiSA_SA_iPKfiiiPfSD_PS3_PT2_iSC_SC_
		.amdhsa_group_segment_fixed_size 17472
		.amdhsa_private_segment_fixed_size 0
		.amdhsa_kernarg_size 400
		.amdhsa_user_sgpr_count 13
		.amdhsa_user_sgpr_dispatch_ptr 0
		.amdhsa_user_sgpr_queue_ptr 0
		.amdhsa_user_sgpr_kernarg_segment_ptr 1
		.amdhsa_user_sgpr_dispatch_id 0
		.amdhsa_user_sgpr_private_segment_size 0
		.amdhsa_wavefront_size32 1
		.amdhsa_uses_dynamic_stack 0
		.amdhsa_enable_private_segment 0
		.amdhsa_system_sgpr_workgroup_id_x 1
		.amdhsa_system_sgpr_workgroup_id_y 1
		.amdhsa_system_sgpr_workgroup_id_z 1
		.amdhsa_system_sgpr_workgroup_info 0
		.amdhsa_system_vgpr_workitem_id 0
		.amdhsa_next_free_vgpr 150
		.amdhsa_next_free_sgpr 37
		.amdhsa_reserve_vcc 1
		.amdhsa_float_round_mode_32 0
		.amdhsa_float_round_mode_16_64 0
		.amdhsa_float_denorm_mode_32 3
		.amdhsa_float_denorm_mode_16_64 3
		.amdhsa_dx10_clamp 1
		.amdhsa_ieee_mode 1
		.amdhsa_fp16_overflow 0
		.amdhsa_workgroup_processor_mode 1
		.amdhsa_memory_ordered 1
		.amdhsa_forward_progress 0
		.amdhsa_shared_vgpr_count 0
		.amdhsa_exception_fp_ieee_invalid_op 0
		.amdhsa_exception_fp_denorm_src 0
		.amdhsa_exception_fp_ieee_div_zero 0
		.amdhsa_exception_fp_ieee_overflow 0
		.amdhsa_exception_fp_ieee_underflow 0
		.amdhsa_exception_fp_ieee_inexact 0
		.amdhsa_exception_int_div_zero 0
	.end_amdhsa_kernel
	.section	.text._Z39paged_attention_ll4mi_QKV_mfma16_kernelIDF16_hLN4vllm18Fp8KVCacheDataTypeE1EhLi32ELi128ELi256ELb1ELi12EL8MFMAType0EEvPKT_PKT0_S8_ifPKiSA_SA_iPKfiiiPfSD_PS3_PT2_iSC_SC_,"axG",@progbits,_Z39paged_attention_ll4mi_QKV_mfma16_kernelIDF16_hLN4vllm18Fp8KVCacheDataTypeE1EhLi32ELi128ELi256ELb1ELi12EL8MFMAType0EEvPKT_PKT0_S8_ifPKiSA_SA_iPKfiiiPfSD_PS3_PT2_iSC_SC_,comdat
.Lfunc_end1289:
	.size	_Z39paged_attention_ll4mi_QKV_mfma16_kernelIDF16_hLN4vllm18Fp8KVCacheDataTypeE1EhLi32ELi128ELi256ELb1ELi12EL8MFMAType0EEvPKT_PKT0_S8_ifPKiSA_SA_iPKfiiiPfSD_PS3_PT2_iSC_SC_, .Lfunc_end1289-_Z39paged_attention_ll4mi_QKV_mfma16_kernelIDF16_hLN4vllm18Fp8KVCacheDataTypeE1EhLi32ELi128ELi256ELb1ELi12EL8MFMAType0EEvPKT_PKT0_S8_ifPKiSA_SA_iPKfiiiPfSD_PS3_PT2_iSC_SC_
                                        ; -- End function
	.section	.AMDGPU.csdata,"",@progbits
; Kernel info:
; codeLenInByte = 6756
; NumSgprs: 39
; NumVgprs: 150
; ScratchSize: 0
; MemoryBound: 0
; FloatMode: 240
; IeeeMode: 1
; LDSByteSize: 17472 bytes/workgroup (compile time only)
; SGPRBlocks: 4
; VGPRBlocks: 18
; NumSGPRsForWavesPerEU: 39
; NumVGPRsForWavesPerEU: 150
; Occupancy: 9
; WaveLimiterHint : 1
; COMPUTE_PGM_RSRC2:SCRATCH_EN: 0
; COMPUTE_PGM_RSRC2:USER_SGPR: 13
; COMPUTE_PGM_RSRC2:TRAP_HANDLER: 0
; COMPUTE_PGM_RSRC2:TGID_X_EN: 1
; COMPUTE_PGM_RSRC2:TGID_Y_EN: 1
; COMPUTE_PGM_RSRC2:TGID_Z_EN: 1
; COMPUTE_PGM_RSRC2:TIDIG_COMP_CNT: 0
	.section	.text._Z39paged_attention_ll4mi_QKV_mfma16_kernelIDF16_hLN4vllm18Fp8KVCacheDataTypeE1EhLi32ELi128ELi256ELb1ELi13EL8MFMAType0EEvPKT_PKT0_S8_ifPKiSA_SA_iPKfiiiPfSD_PS3_PT2_iSC_SC_,"axG",@progbits,_Z39paged_attention_ll4mi_QKV_mfma16_kernelIDF16_hLN4vllm18Fp8KVCacheDataTypeE1EhLi32ELi128ELi256ELb1ELi13EL8MFMAType0EEvPKT_PKT0_S8_ifPKiSA_SA_iPKfiiiPfSD_PS3_PT2_iSC_SC_,comdat
	.protected	_Z39paged_attention_ll4mi_QKV_mfma16_kernelIDF16_hLN4vllm18Fp8KVCacheDataTypeE1EhLi32ELi128ELi256ELb1ELi13EL8MFMAType0EEvPKT_PKT0_S8_ifPKiSA_SA_iPKfiiiPfSD_PS3_PT2_iSC_SC_ ; -- Begin function _Z39paged_attention_ll4mi_QKV_mfma16_kernelIDF16_hLN4vllm18Fp8KVCacheDataTypeE1EhLi32ELi128ELi256ELb1ELi13EL8MFMAType0EEvPKT_PKT0_S8_ifPKiSA_SA_iPKfiiiPfSD_PS3_PT2_iSC_SC_
	.globl	_Z39paged_attention_ll4mi_QKV_mfma16_kernelIDF16_hLN4vllm18Fp8KVCacheDataTypeE1EhLi32ELi128ELi256ELb1ELi13EL8MFMAType0EEvPKT_PKT0_S8_ifPKiSA_SA_iPKfiiiPfSD_PS3_PT2_iSC_SC_
	.p2align	8
	.type	_Z39paged_attention_ll4mi_QKV_mfma16_kernelIDF16_hLN4vllm18Fp8KVCacheDataTypeE1EhLi32ELi128ELi256ELb1ELi13EL8MFMAType0EEvPKT_PKT0_S8_ifPKiSA_SA_iPKfiiiPfSD_PS3_PT2_iSC_SC_,@function
_Z39paged_attention_ll4mi_QKV_mfma16_kernelIDF16_hLN4vllm18Fp8KVCacheDataTypeE1EhLi32ELi128ELi256ELb1ELi13EL8MFMAType0EEvPKT_PKT0_S8_ifPKiSA_SA_iPKfiiiPfSD_PS3_PT2_iSC_SC_: ; @_Z39paged_attention_ll4mi_QKV_mfma16_kernelIDF16_hLN4vllm18Fp8KVCacheDataTypeE1EhLi32ELi128ELi256ELb1ELi13EL8MFMAType0EEvPKT_PKT0_S8_ifPKiSA_SA_iPKfiiiPfSD_PS3_PT2_iSC_SC_
; %bb.0:
	s_load_b64 s[4:5], s[0:1], 0x30
	s_mov_b32 s34, s13
	s_waitcnt lgkmcnt(0)
	s_cmp_lg_u64 s[4:5], 0
	s_cselect_b32 s8, -1, 0
	s_ashr_i32 s35, s13, 31
	s_cmp_eq_u64 s[4:5], 0
	s_cbranch_scc1 .LBB1290_3
; %bb.1:
	s_lshl_b64 s[2:3], s[34:35], 2
	s_delay_alu instid0(SALU_CYCLE_1) | instskip(SKIP_4) | instid1(SALU_CYCLE_1)
	s_add_u32 s2, s4, s2
	s_addc_u32 s3, s5, s3
	s_load_b64 s[2:3], s[2:3], 0x0
	s_waitcnt lgkmcnt(0)
	s_sub_i32 s2, s3, s2
	s_cmp_eq_u32 s2, 1
	s_cselect_b32 s2, -1, 0
	s_delay_alu instid0(SALU_CYCLE_1)
	s_and_not1_b32 vcc_lo, exec_lo, s2
	s_cbranch_vccz .LBB1290_4
.LBB1290_2:
	s_nop 0
	s_sendmsg sendmsg(MSG_DEALLOC_VGPRS)
	s_endpgm
.LBB1290_3:
.LBB1290_4:
	s_load_b64 s[2:3], s[0:1], 0x28
	s_lshl_b64 s[6:7], s[34:35], 2
	s_waitcnt lgkmcnt(0)
	s_add_u32 s2, s2, s6
	s_addc_u32 s3, s3, s7
	s_lshl_b32 s12, s14, 8
	s_load_b32 s24, s[2:3], 0x0
	s_waitcnt lgkmcnt(0)
	s_cmp_ge_i32 s12, s24
	s_cbranch_scc1 .LBB1290_2
; %bb.5:
	s_clause 0x1
	s_load_b128 s[20:23], s[0:1], 0x8
	s_load_b64 s[2:3], s[0:1], 0x20
	s_and_not1_b32 vcc_lo, exec_lo, s8
	s_cbranch_vccnz .LBB1290_7
; %bb.6:
	s_add_u32 s4, s4, s6
	s_addc_u32 s5, s5, s7
	s_load_b32 s5, s[4:5], 0x0
	s_branch .LBB1290_8
.LBB1290_7:
	s_mov_b32 s5, s34
.LBB1290_8:
	s_load_b128 s[16:19], s[0:1], 0x48
	v_and_b32_e32 v68, 15, v0
	v_lshrrev_b32_e32 v69, 5, v0
	v_bfe_u32 v66, v0, 4, 1
	v_and_b32_e32 v70, 31, v0
	v_and_b32_e32 v67, 1, v0
	v_lshlrev_b32_e32 v2, 3, v68
	s_mul_i32 s31, s15, 13
	v_lshl_or_b32 v1, v69, 1, v66
	s_mov_b32 s4, exec_lo
	s_delay_alu instid0(VALU_DEP_2) | instskip(NEXT) | instid1(VALU_DEP_2)
	v_lshlrev_b32_e32 v65, 1, v2
	v_cmpx_gt_u32_e32 13, v1
	s_cbranch_execz .LBB1290_10
; %bb.9:
	s_load_b64 s[6:7], s[0:1], 0x0
	v_add_lshl_u32 v2, v1, s31, 7
	s_waitcnt lgkmcnt(0)
	s_mul_hi_i32 s9, s5, s16
	s_mul_i32 s8, s5, s16
	v_lshlrev_b32_e32 v6, 10, v68
	s_lshl_b64 s[8:9], s[8:9], 1
	v_ashrrev_i32_e32 v3, 31, v2
	v_lshlrev_b32_e32 v1, 6, v1
	v_lshlrev_b32_e32 v7, 10, v67
	v_and_b32_e32 v6, 0x3800, v6
	s_delay_alu instid0(VALU_DEP_4) | instskip(NEXT) | instid1(VALU_DEP_2)
	v_lshlrev_b64 v[2:3], 1, v[2:3]
	v_or3_b32 v1, v6, v7, v1
	s_add_u32 s5, s6, s8
	s_addc_u32 s6, s7, s9
	s_delay_alu instid0(VALU_DEP_2) | instskip(NEXT) | instid1(VALU_DEP_3)
	v_add_co_u32 v2, vcc_lo, s5, v2
	v_add_co_ci_u32_e32 v3, vcc_lo, s6, v3, vcc_lo
	s_delay_alu instid0(VALU_DEP_2) | instskip(NEXT) | instid1(VALU_DEP_2)
	v_add_co_u32 v2, vcc_lo, v2, v65
	v_add_co_ci_u32_e32 v3, vcc_lo, 0, v3, vcc_lo
	global_load_b128 v[2:5], v[2:3], off
	s_waitcnt vmcnt(0)
	ds_store_b128 v1, v[2:5]
.LBB1290_10:
	s_or_b32 exec_lo, exec_lo, s4
	v_and_b32_e32 v1, 0xef, v0
	s_waitcnt lgkmcnt(0)
	s_add_i32 s5, s24, 31
	s_clause 0x1
	s_load_b32 s4, s[0:1], 0x38
	s_load_b32 s33, s[0:1], 0x98
	s_ashr_i32 s6, s5, 31
	v_add_nc_u32_e32 v1, s12, v1
	s_lshr_b32 s6, s6, 27
	s_load_b32 s19, s[0:1], 0x1c
	s_add_i32 s5, s5, s6
	s_waitcnt lgkmcnt(0)
	v_ashrrev_i32_e32 v2, 31, v1
	v_or_b32_e32 v3, 16, v1
	s_ashr_i32 s13, s5, 5
	v_cmp_gt_i32_e32 vcc_lo, s24, v1
	s_add_i32 s13, s13, -1
	v_lshrrev_b32_e32 v2, 27, v2
	s_barrier
	buffer_gl0_inv
	s_mul_i32 s15, s15, s18
	v_add_nc_u32_e32 v4, v1, v2
	s_mul_i32 s4, s34, s4
	s_delay_alu instid0(SALU_CYCLE_1) | instskip(NEXT) | instid1(VALU_DEP_1)
	s_ashr_i32 s5, s4, 31
	v_ashrrev_i32_e32 v4, 5, v4
	v_add_nc_u32_e32 v2, v3, v2
	s_lshl_b64 s[4:5], s[4:5], 2
	s_delay_alu instid0(SALU_CYCLE_1) | instskip(NEXT) | instid1(VALU_DEP_2)
	s_add_u32 s16, s2, s4
	v_cndmask_b32_e32 v1, s13, v4, vcc_lo
	s_delay_alu instid0(VALU_DEP_2)
	v_ashrrev_i32_e32 v2, 5, v2
	v_cmp_gt_i32_e32 vcc_lo, s24, v3
	s_addc_u32 s25, s3, s5
	s_ashr_i32 s18, s15, 31
	s_add_u32 s2, s20, s15
	s_addc_u32 s3, s21, s18
	v_cndmask_b32_e32 v3, s13, v2, vcc_lo
	v_ashrrev_i32_e32 v2, 31, v1
	s_lshl_b32 s4, s14, 3
	s_delay_alu instid0(SALU_CYCLE_1) | instskip(NEXT) | instid1(VALU_DEP_2)
	s_ashr_i32 s5, s4, 31
	v_ashrrev_i32_e32 v4, 31, v3
	s_delay_alu instid0(VALU_DEP_2) | instskip(SKIP_1) | instid1(SALU_CYCLE_1)
	v_lshlrev_b64 v[1:2], 2, v[1:2]
	s_lshl_b64 s[4:5], s[4:5], 2
	s_add_u32 s4, s16, s4
	s_delay_alu instid0(VALU_DEP_2) | instskip(SKIP_1) | instid1(VALU_DEP_2)
	v_lshlrev_b64 v[3:4], 2, v[3:4]
	s_addc_u32 s5, s25, s5
	v_add_co_u32 v1, vcc_lo, s16, v1
	v_add_co_ci_u32_e32 v2, vcc_lo, s25, v2, vcc_lo
	s_delay_alu instid0(VALU_DEP_3) | instskip(NEXT) | instid1(VALU_DEP_4)
	v_add_co_u32 v3, vcc_lo, s16, v3
	v_add_co_ci_u32_e32 v4, vcc_lo, s25, v4, vcc_lo
	s_clause 0x1
	global_load_b32 v5, v[1:2], off
	global_load_b32 v6, v[3:4], off
	s_or_b32 s6, s12, 32
	s_delay_alu instid0(SALU_CYCLE_1) | instskip(SKIP_2) | instid1(SALU_CYCLE_1)
	s_ashr_i32 s7, s6, 5
	s_cmp_lt_i32 s6, s24
	s_cselect_b32 s6, s7, s13
	s_ashr_i32 s7, s6, 31
	s_delay_alu instid0(SALU_CYCLE_1) | instskip(NEXT) | instid1(SALU_CYCLE_1)
	s_lshl_b64 s[6:7], s[6:7], 2
	s_add_u32 s6, s16, s6
	s_addc_u32 s7, s25, s7
	s_or_b32 s8, s12, 64
	s_delay_alu instid0(SALU_CYCLE_1) | instskip(SKIP_2) | instid1(SALU_CYCLE_1)
	s_ashr_i32 s9, s8, 5
	s_cmp_lt_i32 s8, s24
	s_cselect_b32 s8, s9, s13
	s_ashr_i32 s9, s8, 31
	s_delay_alu instid0(SALU_CYCLE_1) | instskip(NEXT) | instid1(SALU_CYCLE_1)
	s_lshl_b64 s[8:9], s[8:9], 2
	s_add_u32 s8, s16, s8
	s_addc_u32 s9, s25, s9
	;; [unrolled: 10-line block ×5, first 2 shown]
	s_clause 0x5
	s_load_b32 s28, s[4:5], 0x0
	s_load_b32 s29, s[6:7], 0x0
	;; [unrolled: 1-line block ×6, first 2 shown]
	s_mov_b32 s4, 0
	s_delay_alu instid0(SALU_CYCLE_1)
	s_mov_b32 s5, s4
	s_mov_b32 s6, s4
	;; [unrolled: 1-line block ×7, first 2 shown]
	s_delay_alu instid0(SALU_CYCLE_1)
	v_dual_mov_b32 v118, s11 :: v_dual_mov_b32 v117, s10
	v_dual_mov_b32 v116, s9 :: v_dual_mov_b32 v115, s8
	v_mov_b32_e32 v113, s6
	v_dual_mov_b32 v111, s4 :: v_dual_mov_b32 v114, s7
	v_mov_b32_e32 v112, s5
	s_waitcnt vmcnt(1)
	v_mad_i64_i32 v[1:2], null, v5, s17, s[2:3]
	v_lshlrev_b32_e32 v5, 4, v68
	s_waitcnt vmcnt(0)
	v_mad_i64_i32 v[3:4], null, v6, s17, s[2:3]
	s_or_b32 s2, s12, 0xc0
	s_delay_alu instid0(SALU_CYCLE_1) | instskip(NEXT) | instid1(VALU_DEP_3)
	s_ashr_i32 s3, s2, 5
	v_add_co_u32 v1, vcc_lo, v1, v5
	s_delay_alu instid0(VALU_DEP_4) | instskip(NEXT) | instid1(VALU_DEP_3)
	v_add_co_ci_u32_e32 v2, vcc_lo, 0, v2, vcc_lo
	v_add_co_u32 v3, vcc_lo, v3, v5
	s_delay_alu instid0(VALU_DEP_4)
	v_add_co_ci_u32_e32 v4, vcc_lo, 0, v4, vcc_lo
	s_clause 0xf
	global_load_b128 v[17:20], v[1:2], off
	global_load_b128 v[21:24], v[1:2], off offset:512
	global_load_b128 v[25:28], v[3:4], off offset:256
	;; [unrolled: 1-line block ×15, first 2 shown]
	s_cmp_lt_i32 s2, s24
	v_add_nc_u32_e32 v1, -13, v68
	s_cselect_b32 s2, s3, s13
	v_cmp_gt_u32_e32 vcc_lo, 13, v68
	s_ashr_i32 s3, s2, 31
	v_lshlrev_b32_e32 v2, 5, v68
	s_lshl_b64 s[2:3], s[2:3], 2
	s_delay_alu instid0(SALU_CYCLE_1)
	s_add_u32 s2, s16, s2
	s_addc_u32 s3, s25, s3
	s_or_b32 s20, s12, 0xe0
	v_cndmask_b32_e32 v1, v1, v68, vcc_lo
	s_ashr_i32 s21, s20, 5
	s_cmp_lt_i32 s20, s24
	s_cselect_b32 s20, s21, s13
	s_delay_alu instid0(VALU_DEP_1)
	v_lshlrev_b32_e32 v149, 6, v1
	s_ashr_i32 s21, s20, 31
	v_lshl_or_b32 v1, v69, 9, v2
	s_lshl_b64 s[4:5], s[20:21], 2
	ds_load_b128 v[119:122], v149
	ds_load_b128 v[123:126], v149 offset:1024
	s_add_u32 s4, s16, s4
	s_addc_u32 s5, s25, s5
	ds_load_b128 v[127:130], v149 offset:2048
	ds_load_b128 v[131:134], v149 offset:3072
	s_clause 0x1
	s_load_b32 s2, s[2:3], 0x0
	s_load_b32 s3, s[4:5], 0x0
	s_add_u32 s6, s22, s15
	s_addc_u32 s7, s23, s18
	v_add_co_u32 v135, s6, s6, v1
	s_delay_alu instid0(VALU_DEP_1) | instskip(SKIP_1) | instid1(VALU_DEP_1)
	v_add_co_ci_u32_e64 v136, null, s7, 0, s6
	s_waitcnt lgkmcnt(0)
	v_mad_i64_i32 v[1:2], null, s28, s17, v[135:136]
	v_mad_i64_i32 v[3:4], null, s29, s17, v[135:136]
	;; [unrolled: 1-line block ×6, first 2 shown]
	s_clause 0x9
	global_load_b128 v[49:52], v[1:2], off
	global_load_b128 v[53:56], v[1:2], off offset:16
	global_load_b128 v[41:44], v[3:4], off
	global_load_b128 v[45:48], v[3:4], off offset:16
	;; [unrolled: 2-line block ×5, first 2 shown]
	v_mad_i64_i32 v[145:146], null, s2, s17, v[135:136]
	v_mad_i64_i32 v[147:148], null, s3, s17, v[135:136]
	s_waitcnt vmcnt(24)
	v_wmma_f32_16x16x16_f16 v[135:142], v[17:24], v[119:126], v[111:118]
	s_waitcnt vmcnt(22)
	v_wmma_f32_16x16x16_f16 v[111:118], v[25:32], v[119:126], v[111:118]
	s_clause 0x3
	global_load_b128 v[17:20], v[143:144], off
	global_load_b128 v[21:24], v[143:144], off offset:16
	global_load_b128 v[25:28], v[145:146], off
	global_load_b128 v[29:32], v[145:146], off offset:16
	v_and_b32_e32 v119, 0xe0, v0
	s_waitcnt vmcnt(24)
	v_wmma_f32_16x16x16_f16 v[135:142], v[57:64], v[127:134], v[135:142]
	s_clause 0x1
	global_load_b128 v[57:60], v[147:148], off
	global_load_b128 v[61:64], v[147:148], off offset:16
	s_waitcnt vmcnt(24)
	v_wmma_f32_16x16x16_f16 v[111:118], v[71:78], v[127:134], v[111:118]
	ds_load_b128 v[71:74], v149 offset:4096
	ds_load_b128 v[75:78], v149 offset:5120
	v_add_nc_u32_e32 v128, s12, v119
	ds_load_b128 v[119:122], v149 offset:6144
	ds_load_b128 v[123:126], v149 offset:7168
	v_mbcnt_lo_u32_b32 v127, -1, 0
	s_waitcnt vmcnt(0) lgkmcnt(0)
	s_barrier
	v_or_b32_e32 v128, v128, v66
	buffer_gl0_inv
	v_xor_b32_e32 v129, 16, v127
	v_or_b32_e32 v130, 4, v128
	v_or_b32_e32 v131, 6, v128
	s_delay_alu instid0(VALU_DEP_3) | instskip(SKIP_4) | instid1(VALU_DEP_4)
	v_cmp_gt_i32_e32 vcc_lo, 32, v129
	v_or_b32_e32 v132, 8, v128
	v_or_b32_e32 v133, 10, v128
	v_cmp_gt_i32_e64 s3, s24, v130
	v_cmp_gt_i32_e64 s4, s24, v131
	;; [unrolled: 1-line block ×3, first 2 shown]
	v_wmma_f32_16x16x16_f16 v[135:142], v[79:86], v[71:78], v[135:142]
	v_wmma_f32_16x16x16_f16 v[111:118], v[87:94], v[71:78], v[111:118]
	v_or_b32_e32 v79, 12, v128
	v_or_b32_e32 v80, 14, v128
	v_cmp_gt_i32_e64 s6, s24, v133
	v_wmma_f32_16x16x16_f16 v[135:142], v[95:102], v[119:126], v[135:142]
	v_wmma_f32_16x16x16_f16 v[111:118], v[103:110], v[119:126], v[111:118]
	v_cndmask_b32_e32 v127, v127, v129, vcc_lo
	v_or_b32_e32 v129, 2, v128
	v_cmp_gt_i32_e32 vcc_lo, s24, v128
	s_delay_alu instid0(VALU_DEP_4) | instskip(SKIP_1) | instid1(VALU_DEP_4)
	v_dual_mul_f32 v87, s19, v136 :: v_dual_mul_f32 v94, s19, v113
	v_mul_f32_e32 v88, s19, v135
	v_cmp_gt_i32_e64 s2, s24, v129
	v_mul_f32_e32 v78, s19, v138
	v_mul_f32_e32 v86, s19, v137
	;; [unrolled: 1-line block ×3, first 2 shown]
	v_cndmask_b32_e32 v88, 0xff7fffff, v88, vcc_lo
	v_cndmask_b32_e64 v87, 0xff7fffff, v87, s2
	v_dual_mul_f32 v77, s19, v139 :: v_dual_mul_f32 v90, s19, v117
	v_cndmask_b32_e64 v86, 0xff7fffff, v86, s3
	v_cndmask_b32_e64 v78, 0xff7fffff, v78, s4
	s_delay_alu instid0(VALU_DEP_4)
	v_max3_f32 v87, v88, 0xff7fffff, v87
	v_or_b32_e32 v81, 16, v128
	v_or_b32_e32 v82, 18, v128
	v_dual_mul_f32 v74, s19, v142 :: v_dual_mul_f32 v75, s19, v141
	v_mul_f32_e32 v96, s19, v111
	v_cndmask_b32_e64 v77, 0xff7fffff, v77, s5
	v_cndmask_b32_e64 v76, 0xff7fffff, v76, s6
	v_max3_f32 v78, v87, v86, v78
	v_cmp_gt_i32_e64 s7, s24, v79
	v_cmp_gt_i32_e64 s8, s24, v80
	v_or_b32_e32 v83, 20, v128
	v_or_b32_e32 v84, 22, v128
	v_mul_f32_e32 v95, s19, v112
	v_cndmask_b32_e64 v75, 0xff7fffff, v75, s7
	v_cndmask_b32_e64 v74, 0xff7fffff, v74, s8
	v_max3_f32 v76, v78, v77, v76
	v_cmp_gt_i32_e64 s9, s24, v81
	v_cmp_gt_i32_e64 s10, s24, v82
	v_or_b32_e32 v85, 24, v128
	v_or_b32_e32 v71, 26, v128
	;; [unrolled: 8-line block ×3, first 2 shown]
	v_dual_mul_f32 v91, s19, v116 :: v_dual_mul_f32 v92, s19, v115
	v_cndmask_b32_e64 v75, 0xff7fffff, v94, s11
	v_cndmask_b32_e64 v76, 0xff7fffff, v93, s12
	v_max3_f32 v74, v74, v77, v78
	v_cmp_gt_i32_e64 s13, s24, v85
	v_cmp_gt_i32_e64 s15, s24, v71
	v_mul_f32_e32 v89, s19, v118
	v_cmp_gt_i32_e64 s16, s24, v72
	v_max3_f32 v74, v74, v75, v76
	v_cndmask_b32_e64 v77, 0xff7fffff, v92, s13
	v_cndmask_b32_e64 v71, 0xff7fffff, v91, s15
	v_cmp_gt_i32_e64 s17, s24, v73
	v_cndmask_b32_e64 v72, 0xff7fffff, v90, s16
	s_delay_alu instid0(VALU_DEP_3) | instskip(SKIP_1) | instid1(VALU_DEP_4)
	v_max3_f32 v71, v74, v77, v71
	v_lshlrev_b32_e32 v74, 2, v127
	v_cndmask_b32_e64 v73, 0xff7fffff, v89, s17
	s_delay_alu instid0(VALU_DEP_1) | instskip(SKIP_3) | instid1(VALU_DEP_1)
	v_max3_f32 v71, v71, v72, v73
	ds_bpermute_b32 v72, v74, v71
	s_waitcnt lgkmcnt(0)
	v_max_f32_e32 v72, v72, v72
	v_max_f32_e32 v71, v71, v72
	s_delay_alu instid0(VALU_DEP_1) | instskip(SKIP_4) | instid1(VALU_DEP_4)
	v_fma_f32 v72, s19, v135, -v71
	v_fma_f32 v73, s19, v136, -v71
	;; [unrolled: 1-line block ×5, first 2 shown]
	v_dual_mul_f32 v72, 0x3fb8aa3b, v72 :: v_dual_mul_f32 v73, 0x3fb8aa3b, v73
	s_delay_alu instid0(VALU_DEP_3) | instskip(SKIP_1) | instid1(VALU_DEP_3)
	v_dual_mul_f32 v75, 0x3fb8aa3b, v75 :: v_dual_mul_f32 v76, 0x3fb8aa3b, v76
	v_fma_f32 v80, s19, v141, -v71
	v_exp_f32_e32 v72, v72
	s_delay_alu instid0(VALU_DEP_3) | instskip(NEXT) | instid1(VALU_DEP_2)
	v_exp_f32_e32 v73, v73
	v_exp_f32_e32 v75, v75
	;; [unrolled: 1-line block ×3, first 2 shown]
	v_mul_f32_e32 v82, 0x3fb8aa3b, v80
	s_delay_alu instid0(VALU_DEP_1) | instskip(SKIP_4) | instid1(TRANS32_DEP_3)
	v_exp_f32_e32 v84, v82
	v_cndmask_b32_e32 v79, 0, v72, vcc_lo
	v_fma_f32 v72, s19, v140, -v71
	v_mul_f32_e32 v77, 0x3fb8aa3b, v77
	v_cndmask_b32_e64 v78, 0, v73, s2
	v_cndmask_b32_e64 v81, 0, v75, s3
	s_delay_alu instid0(VALU_DEP_4) | instskip(NEXT) | instid1(VALU_DEP_4)
	v_dual_add_f32 v73, 0, v79 :: v_dual_mul_f32 v72, 0x3fb8aa3b, v72
	v_exp_f32_e32 v77, v77
	v_cndmask_b32_e64 v80, 0, v76, s4
	s_delay_alu instid0(TRANS32_DEP_2) | instskip(NEXT) | instid1(VALU_DEP_3)
	v_cndmask_b32_e64 v85, 0, v84, s7
	v_add_f32_e32 v73, v73, v78
	v_exp_f32_e32 v72, v72
	v_cmp_gt_u32_e64 s2, 16, v70
	s_delay_alu instid0(VALU_DEP_2) | instskip(NEXT) | instid1(TRANS32_DEP_2)
	v_add_f32_e32 v73, v73, v81
	v_cndmask_b32_e64 v83, 0, v77, s5
	s_delay_alu instid0(VALU_DEP_2) | instskip(SKIP_3) | instid1(VALU_DEP_1)
	v_add_f32_e32 v73, v73, v80
	s_waitcnt_depctr 0xfff
	v_cndmask_b32_e64 v82, 0, v72, s6
	v_add_f32_e32 v72, v73, v83
	v_add_f32_e32 v72, v72, v82
	s_delay_alu instid0(VALU_DEP_1)
	v_add_f32_e32 v72, v72, v85
	v_fma_f32 v76, s19, v111, -v71
	v_fma_f32 v75, s19, v142, -v71
	;; [unrolled: 1-line block ×5, first 2 shown]
	s_delay_alu instid0(VALU_DEP_4) | instskip(NEXT) | instid1(VALU_DEP_3)
	v_dual_mul_f32 v76, 0x3fb8aa3b, v76 :: v_dual_mul_f32 v75, 0x3fb8aa3b, v75
	v_mul_f32_e32 v86, 0x3fb8aa3b, v86
	s_delay_alu instid0(VALU_DEP_2) | instskip(NEXT) | instid1(VALU_DEP_2)
	v_exp_f32_e32 v76, v76
	v_exp_f32_e32 v75, v75
	s_delay_alu instid0(VALU_DEP_1) | instskip(NEXT) | instid1(TRANS32_DEP_3)
	v_exp_f32_e32 v88, v86
	v_cndmask_b32_e64 v87, 0, v76, s9
	v_fma_f32 v76, s19, v116, -v71
	v_mul_f32_e32 v77, 0x3fb8aa3b, v77
	s_waitcnt_depctr 0xfff
	v_cndmask_b32_e64 v84, 0, v75, s8
	v_fma_f32 v75, s19, v115, -v71
	v_cndmask_b32_e64 v88, 0, v88, s12
	v_mul_f32_e32 v76, 0x3fb8aa3b, v76
	v_exp_f32_e32 v77, v77
	v_add_f32_e32 v72, v72, v84
	s_delay_alu instid0(VALU_DEP_2) | instskip(NEXT) | instid1(VALU_DEP_1)
	v_exp_f32_e32 v76, v76
	v_add_f32_e32 v72, v72, v87
	s_waitcnt_depctr 0xfff
	v_cndmask_b32_e64 v86, 0, v77, s10
	v_mul_f32_e32 v73, 0x3fb8aa3b, v73
	v_fma_f32 v77, s19, v117, -v71
	v_cndmask_b32_e64 v90, 0, v76, s15
	s_delay_alu instid0(VALU_DEP_4) | instskip(NEXT) | instid1(VALU_DEP_4)
	v_add_f32_e32 v72, v72, v86
	v_exp_f32_e32 v73, v73
	s_waitcnt_depctr 0xfff
	v_cndmask_b32_e64 v89, 0, v73, s11
	s_delay_alu instid0(VALU_DEP_1) | instskip(NEXT) | instid1(VALU_DEP_1)
	v_dual_mul_f32 v75, 0x3fb8aa3b, v75 :: v_dual_add_f32 v72, v72, v89
	v_exp_f32_e32 v75, v75
	v_mul_f32_e32 v73, 0x3fb8aa3b, v77
	v_fma_f32 v77, s19, v118, -v71
	s_delay_alu instid0(VALU_DEP_3) | instskip(NEXT) | instid1(VALU_DEP_3)
	v_add_f32_e32 v72, v72, v88
	v_exp_f32_e32 v73, v73
	s_waitcnt_depctr 0xfff
	v_cndmask_b32_e64 v91, 0, v75, s13
	s_delay_alu instid0(VALU_DEP_1) | instskip(NEXT) | instid1(VALU_DEP_1)
	v_dual_mul_f32 v75, 0x3fb8aa3b, v77 :: v_dual_add_f32 v72, v72, v91
	v_exp_f32_e32 v75, v75
	v_cndmask_b32_e64 v93, 0, v73, s16
	s_delay_alu instid0(VALU_DEP_2) | instskip(NEXT) | instid1(VALU_DEP_1)
	v_add_f32_e32 v72, v72, v90
	v_add_f32_e32 v72, v72, v93
	s_waitcnt_depctr 0xfff
	v_cndmask_b32_e64 v92, 0, v75, s17
	s_delay_alu instid0(VALU_DEP_1)
	v_add_f32_e32 v72, v72, v92
	ds_bpermute_b32 v73, v74, v72
	s_and_saveexec_b32 s3, s2
	s_cbranch_execz .LBB1290_12
; %bb.11:
	v_mul_u32_u24_e32 v70, 0x44, v69
	s_waitcnt lgkmcnt(0)
	v_add_f32_e32 v72, v72, v73
	s_delay_alu instid0(VALU_DEP_2) | instskip(NEXT) | instid1(VALU_DEP_1)
	v_lshl_add_u32 v70, v68, 2, v70
	v_add_nc_u32_e32 v70, 0x4000, v70
	ds_store_2addr_b32 v70, v71, v72 offset1:136
.LBB1290_12:
	s_or_b32 exec_lo, exec_lo, s3
	v_lshlrev_b32_e32 v70, 2, v68
	s_load_b32 s35, s[0:1], 0x94
	s_waitcnt lgkmcnt(0)
	s_barrier
	buffer_gl0_inv
	v_add_nc_u32_e32 v98, 0x4000, v70
	v_cmp_eq_u32_e32 vcc_lo, 1, v69
	v_cmp_eq_u32_e64 s3, 2, v69
	v_cmp_eq_u32_e64 s4, 3, v69
	;; [unrolled: 1-line block ×3, first 2 shown]
	ds_load_2addr_b32 v[70:71], v98 offset1:17
	ds_load_2addr_b32 v[72:73], v98 offset0:34 offset1:51
	ds_load_2addr_b32 v[74:75], v98 offset0:68 offset1:85
	;; [unrolled: 1-line block ×3, first 2 shown]
	v_cmp_eq_u32_e64 s6, 5, v69
	v_cmp_eq_u32_e64 s7, 7, v69
	s_waitcnt lgkmcnt(3)
	v_max3_f32 v76, v70, 0xff7fffff, v71
	s_waitcnt lgkmcnt(2)
	s_delay_alu instid0(VALU_DEP_1) | instskip(SKIP_1) | instid1(VALU_DEP_1)
	v_max3_f32 v76, v76, v72, v73
	s_waitcnt lgkmcnt(1)
	v_max3_f32 v76, v76, v74, v75
	s_waitcnt lgkmcnt(0)
	s_delay_alu instid0(VALU_DEP_1) | instskip(NEXT) | instid1(VALU_DEP_1)
	v_max3_f32 v76, v76, v94, v95
	v_sub_f32_e32 v77, v71, v76
	ds_load_2addr_b32 v[96:97], v98 offset0:136 offset1:153
	v_sub_f32_e32 v74, v74, v76
	v_sub_f32_e32 v70, v70, v76
	v_sub_f32_e32 v94, v94, v76
	v_dual_sub_f32 v72, v72, v76 :: v_dual_mul_f32 v77, 0x3fb8aa3b, v77
	s_delay_alu instid0(VALU_DEP_4) | instskip(NEXT) | instid1(VALU_DEP_4)
	v_mul_f32_e32 v103, 0x3fb8aa3b, v74
	v_mul_f32_e32 v99, 0x3fb8aa3b, v70
	ds_load_2addr_b32 v[70:71], v98 offset0:170 offset1:187
	v_dual_mul_f32 v101, 0x3fb8aa3b, v72 :: v_dual_mul_f32 v94, 0x3fb8aa3b, v94
	v_exp_f32_e32 v102, v77
	v_exp_f32_e32 v99, v99
	s_delay_alu instid0(VALU_DEP_1) | instskip(NEXT) | instid1(VALU_DEP_1)
	v_exp_f32_e32 v101, v101
	v_exp_f32_e32 v94, v94
	s_waitcnt lgkmcnt(1)
	s_delay_alu instid0(TRANS32_DEP_3)
	v_fma_f32 v77, v99, v96, 0
	v_sub_f32_e32 v100, v73, v76
	ds_load_2addr_b32 v[72:73], v98 offset0:204 offset1:221
	v_fmac_f32_e32 v77, v102, v97
	v_exp_f32_e32 v97, v103
	s_waitcnt lgkmcnt(1)
	s_delay_alu instid0(VALU_DEP_1)
	v_dual_fmac_f32 v77, v101, v70 :: v_dual_sub_f32 v96, v75, v76
	ds_load_2addr_b32 v[74:75], v98 offset0:238 offset1:255
	v_sub_f32_e32 v70, v95, v76
	s_waitcnt lgkmcnt(0)
	s_barrier
	v_mul_f32_e32 v96, 0x3fb8aa3b, v96
	buffer_gl0_inv
	v_exp_f32_e32 v95, v96
	v_mul_f32_e32 v100, 0x3fb8aa3b, v100
	s_delay_alu instid0(VALU_DEP_1) | instskip(SKIP_3) | instid1(VALU_DEP_2)
	v_exp_f32_e32 v100, v100
	s_waitcnt_depctr 0xfff
	v_dual_fmac_f32 v77, v100, v71 :: v_dual_mul_f32 v70, 0x3fb8aa3b, v70
	v_cndmask_b32_e32 v71, v99, v102, vcc_lo
	v_fmac_f32_e32 v77, v97, v72
	s_delay_alu instid0(VALU_DEP_3) | instskip(NEXT) | instid1(VALU_DEP_1)
	v_exp_f32_e32 v96, v70
	v_fmac_f32_e32 v77, v95, v73
	s_delay_alu instid0(VALU_DEP_1) | instskip(SKIP_2) | instid1(VALU_DEP_1)
	v_fmac_f32_e32 v77, v94, v74
	s_waitcnt_depctr 0xfff
	v_fmac_f32_e32 v77, v96, v75
	v_add_f32_e32 v74, 0x358637bd, v77
	s_delay_alu instid0(VALU_DEP_1) | instskip(SKIP_1) | instid1(VALU_DEP_2)
	v_div_scale_f32 v98, null, v74, v74, 1.0
	v_div_scale_f32 v99, vcc_lo, 1.0, v74, 1.0
	v_rcp_f32_e32 v103, v98
	s_waitcnt_depctr 0xfff
	v_fma_f32 v70, -v98, v103, 1.0
	s_delay_alu instid0(VALU_DEP_1) | instskip(SKIP_2) | instid1(VALU_DEP_2)
	v_fmac_f32_e32 v103, v70, v103
	v_cndmask_b32_e64 v70, v71, v101, s3
	v_cmp_eq_u32_e64 s3, 6, v69
	v_cndmask_b32_e64 v71, v70, v100, s4
	s_delay_alu instid0(VALU_DEP_4) | instskip(NEXT) | instid1(VALU_DEP_2)
	v_dual_mul_f32 v101, v99, v103 :: v_dual_lshlrev_b32 v70, 2, v66
	v_cndmask_b32_e64 v71, v71, v97, s5
	s_delay_alu instid0(VALU_DEP_2) | instskip(NEXT) | instid1(VALU_DEP_3)
	v_or_b32_e32 v72, 1, v70
	v_fma_f32 v100, -v98, v101, v99
	v_cmp_eq_u32_e64 s4, 1, v70
	v_cmp_eq_u32_e64 s5, 2, v70
	v_cndmask_b32_e64 v95, v71, v95, s6
	v_or_b32_e32 v71, 3, v70
	v_fmac_f32_e32 v101, v100, v103
	v_cmp_eq_u32_e64 s9, 1, v72
	v_cmp_eq_u32_e64 s12, 2, v72
	v_cndmask_b32_e64 v94, v95, v94, s3
	v_cmp_eq_u32_e64 s11, 1, v71
	v_fma_f32 v97, -v98, v101, v99
	v_cmp_eq_u32_e64 s16, 2, v71
	v_cmp_eq_u32_e64 s13, 3, v72
	v_cndmask_b32_e64 v94, v94, v96, s7
	v_cmp_eq_u32_e64 s18, 3, v71
	v_div_fmas_f32 v95, v97, v103, v101
	v_cmp_eq_u32_e32 vcc_lo, 3, v70
	v_cmp_eq_u32_e64 s3, 4, v70
	v_cmp_eq_u32_e64 s19, 4, v72
	;; [unrolled: 1-line block ×3, first 2 shown]
	v_div_fixup_f32 v95, v95, v74, 1.0
	v_lshlrev_b32_e32 v73, 6, v68
	v_cmp_eq_u32_e64 s6, 5, v70
	v_cmp_eq_u32_e64 s20, 5, v72
	;; [unrolled: 1-line block ×3, first 2 shown]
	v_mul_f32_e32 v102, v94, v95
	v_lshl_or_b32 v75, v69, 11, v73
	v_or_b32_e32 v69, 2, v70
	v_cmp_eq_u32_e64 s25, 6, v72
	v_cmp_eq_u32_e64 s27, 6, v71
	v_fma_mixlo_f16 v94, v102, v79, 0
	v_fma_mixlo_f16 v95, v102, v81, 0
	;; [unrolled: 1-line block ×8, first 2 shown]
	v_lshl_or_b32 v74, v66, 4, v75
	v_fma_mixhi_f16 v94, v102, v78, 0
	v_fma_mixhi_f16 v95, v102, v80, 0
	;; [unrolled: 1-line block ×8, first 2 shown]
	ds_store_b128 v74, v[94:97]
	ds_store_b128 v74, v[98:101] offset:1024
	s_waitcnt lgkmcnt(0)
	s_barrier
	buffer_gl0_inv
	ds_load_b128 v[78:81], v75
	ds_load_b128 v[82:85], v75 offset:16
	ds_load_b128 v[86:89], v75 offset:1024
	;; [unrolled: 1-line block ×3, first 2 shown]
	v_cmp_eq_u32_e64 s10, 1, v69
	v_cmp_eq_u32_e64 s15, 2, v69
	;; [unrolled: 1-line block ×11, first 2 shown]
	s_waitcnt lgkmcnt(3)
	v_lshrrev_b32_e32 v94, 16, v78
	s_waitcnt lgkmcnt(2)
	v_lshrrev_b32_e32 v98, 16, v82
	;; [unrolled: 2-line block ×4, first 2 shown]
	v_lshrrev_b32_e32 v95, 16, v79
	v_cndmask_b32_e64 v110, v78, v94, s4
	v_cndmask_b32_e64 v111, v82, v98, s4
	;; [unrolled: 1-line block ×8, first 2 shown]
	v_lshrrev_b32_e32 v99, 16, v83
	v_cndmask_b32_e64 v94, v86, v102, s4
	v_cndmask_b32_e64 v98, v90, v106, s4
	;; [unrolled: 1-line block ×15, first 2 shown]
	v_lshrrev_b32_e32 v103, 16, v87
	v_lshrrev_b32_e32 v107, 16, v91
	v_cndmask_b32_e64 v113, v115, v83, s15
	v_cndmask_b32_e64 v82, v94, v87, s5
	;; [unrolled: 1-line block ×7, first 2 shown]
	v_cndmask_b32_e32 v90, v102, v95, vcc_lo
	v_cndmask_b32_e32 v102, v106, v99, vcc_lo
	v_cndmask_b32_e64 v106, v110, v95, s13
	v_cndmask_b32_e64 v110, v111, v99, s13
	;; [unrolled: 1-line block ×4, first 2 shown]
	v_lshrrev_b32_e32 v96, 16, v80
	v_lshrrev_b32_e32 v100, 16, v84
	v_cndmask_b32_e64 v111, v112, v95, s17
	v_cndmask_b32_e64 v112, v113, v99, s17
	v_cndmask_b32_e32 v82, v82, v103, vcc_lo
	v_cndmask_b32_e32 v83, v83, v107, vcc_lo
	v_cndmask_b32_e64 v94, v94, v103, s13
	v_cndmask_b32_e64 v90, v90, v80, s3
	;; [unrolled: 1-line block ×7, first 2 shown]
	v_lshrrev_b32_e32 v104, 16, v88
	v_cndmask_b32_e64 v106, v111, v80, s21
	v_cndmask_b32_e64 v110, v112, v84, s21
	;; [unrolled: 1-line block ×11, first 2 shown]
	v_lshrrev_b32_e32 v97, 16, v81
	v_lshrrev_b32_e32 v101, 16, v85
	v_cndmask_b32_e64 v99, v106, v96, s23
	v_cndmask_b32_e64 v102, v110, v100, s23
	;; [unrolled: 1-line block ×7, first 2 shown]
	v_lshrrev_b32_e32 v105, 16, v89
	v_cndmask_b32_e64 v80, v80, v104, s6
	v_cndmask_b32_e64 v84, v84, v81, s7
	;; [unrolled: 1-line block ×16, first 2 shown]
	v_perm_b32 v81, v79, v78, 0x5040100
	v_perm_b32 v79, v95, v85, 0x5040100
	v_cndmask_b32_e64 v78, v119, v91, s15
	v_cndmask_b32_e64 v85, v117, v91, s12
	;; [unrolled: 1-line block ×3, first 2 shown]
	v_perm_b32 v80, v94, v90, 0x5040100
	v_cndmask_b32_e64 v90, v98, v103, s17
	v_cndmask_b32_e64 v86, v86, v103, s18
	;; [unrolled: 1-line block ×5, first 2 shown]
	v_lshrrev_b32_e32 v108, 16, v92
	v_cndmask_b32_e64 v90, v90, v88, s21
	v_cndmask_b32_e64 v86, v86, v88, s22
	;; [unrolled: 1-line block ×11, first 2 shown]
	v_lshrrev_b32_e32 v109, 16, v93
	v_cndmask_b32_e64 v82, v82, v93, s7
	v_cndmask_b32_e64 v88, v88, v89, s26
	;; [unrolled: 1-line block ×12, first 2 shown]
	v_perm_b32 v78, v84, v83, 0x5040100
	v_perm_b32 v85, v87, v86, 0x5040100
	;; [unrolled: 1-line block ×5, first 2 shown]
	s_mul_i32 s8, s33, 13
	s_mov_b32 s3, exec_lo
	ds_store_b128 v74, v[78:81]
	ds_store_b128 v74, v[82:85] offset:1024
	v_cmpx_gt_u32_e32 13, v0
	s_cbranch_execz .LBB1290_14
; %bb.13:
	s_mul_i32 s4, s8, s34
	s_delay_alu instid0(SALU_CYCLE_1) | instskip(SKIP_1) | instid1(VALU_DEP_1)
	v_add3_u32 v68, s4, s31, v68
	s_load_b128 s[4:7], s[0:1], 0x58
	v_mad_u64_u32 v[78:79], null, v68, s35, s[14:15]
	s_delay_alu instid0(VALU_DEP_1) | instskip(NEXT) | instid1(VALU_DEP_1)
	v_ashrrev_i32_e32 v79, 31, v78
	v_lshlrev_b64 v[78:79], 2, v[78:79]
	s_waitcnt lgkmcnt(0)
	s_delay_alu instid0(VALU_DEP_1) | instskip(NEXT) | instid1(VALU_DEP_2)
	v_add_co_u32 v80, vcc_lo, s6, v78
	v_add_co_ci_u32_e32 v81, vcc_lo, s7, v79, vcc_lo
	v_add_co_u32 v78, vcc_lo, s4, v78
	v_add_co_ci_u32_e32 v79, vcc_lo, s5, v79, vcc_lo
	global_store_b32 v[80:81], v76, off
	global_store_b32 v[78:79], v77, off
.LBB1290_14:
	s_or_b32 exec_lo, exec_lo, s3
	s_waitcnt lgkmcnt(0)
	s_waitcnt_vscnt null, 0x0
	s_barrier
	buffer_gl0_inv
	ds_load_b128 v[84:87], v73
	ds_load_b128 v[88:91], v73 offset:16
	ds_load_b128 v[96:99], v73 offset:2064
	;; [unrolled: 1-line block ×5, first 2 shown]
	v_cmp_eq_u32_e32 vcc_lo, 1, v70
	v_mov_b32_e32 v76, 0
	ds_load_b128 v[112:115], v73 offset:6160
	ds_load_b128 v[108:111], v73 offset:6144
	;; [unrolled: 1-line block ×4, first 2 shown]
	v_cmp_eq_u32_e64 s4, 1, v69
	v_cmp_eq_u32_e64 s3, 1, v72
	;; [unrolled: 1-line block ×3, first 2 shown]
	v_mov_b32_e32 v77, v76
	v_mov_b32_e32 v78, v76
	;; [unrolled: 1-line block ×7, first 2 shown]
	v_cmp_eq_u32_e64 s6, 3, v72
	v_cmp_eq_u32_e64 s7, 7, v72
	s_waitcnt lgkmcnt(8)
	s_delay_alu instid0(VALU_DEP_3)
	v_wmma_f32_16x16x16_f16 v[76:83], v[49:56], v[84:91], v[76:83]
	ds_load_b128 v[53:56], v73 offset:10256
	ds_load_b128 v[49:52], v73 offset:10240
	s_waitcnt lgkmcnt(8)
	v_wmma_f32_16x16x16_f16 v[76:83], v[41:48], v[92:99], v[76:83]
	ds_load_b128 v[45:48], v73 offset:12304
	ds_load_b128 v[41:44], v73 offset:12288
	s_waitcnt lgkmcnt(8)
	;; [unrolled: 4-line block ×3, first 2 shown]
	s_barrier
	buffer_gl0_inv
	v_wmma_f32_16x16x16_f16 v[76:83], v[1:8], v[108:115], v[76:83]
	s_delay_alu instid0(VALU_DEP_1) | instskip(NEXT) | instid1(VALU_DEP_1)
	v_wmma_f32_16x16x16_f16 v[76:83], v[9:16], v[116:123], v[76:83]
	v_wmma_f32_16x16x16_f16 v[76:83], v[17:24], v[49:56], v[76:83]
	s_delay_alu instid0(VALU_DEP_1) | instskip(NEXT) | instid1(VALU_DEP_1)
	v_wmma_f32_16x16x16_f16 v[76:83], v[25:32], v[41:48], v[76:83]
	v_wmma_f32_16x16x16_f16 v[76:83], v[57:64], v[33:40], v[76:83]
	s_delay_alu instid0(VALU_DEP_1) | instskip(NEXT) | instid1(VALU_DEP_2)
	v_cvt_f16_f32_e32 v1, v76
	v_cvt_f16_f32_e32 v2, v77
	s_delay_alu instid0(VALU_DEP_3) | instskip(NEXT) | instid1(VALU_DEP_4)
	v_cvt_f16_f32_e32 v3, v78
	v_cvt_f16_f32_e32 v4, v79
	;; [unrolled: 1-line block ×6, first 2 shown]
	v_pack_b32_f16 v1, v1, v2
	v_pack_b32_f16 v2, v3, v4
	;; [unrolled: 1-line block ×3, first 2 shown]
	s_delay_alu instid0(VALU_DEP_4)
	v_pack_b32_f16 v4, v7, v8
	ds_store_b128 v74, v[1:4]
	s_waitcnt lgkmcnt(0)
	s_barrier
	buffer_gl0_inv
	ds_load_b128 v[1:4], v75
	ds_load_b128 v[5:8], v75 offset:16
	s_waitcnt lgkmcnt(1)
	v_lshrrev_b32_e32 v9, 16, v1
	s_waitcnt lgkmcnt(0)
	v_lshrrev_b32_e32 v13, 16, v5
	v_lshrrev_b32_e32 v10, 16, v2
	;; [unrolled: 1-line block ×4, first 2 shown]
	v_cndmask_b32_e32 v17, v1, v9, vcc_lo
	v_cndmask_b32_e32 v18, v5, v13, vcc_lo
	v_cndmask_b32_e64 v21, v1, v9, s4
	v_cmp_eq_u32_e32 vcc_lo, 1, v71
	v_cndmask_b32_e64 v22, v5, v13, s4
	v_cmp_eq_u32_e64 s4, 2, v70
	v_cndmask_b32_e64 v19, v1, v9, s3
	v_cndmask_b32_e64 v20, v5, v13, s3
	v_cndmask_b32_e32 v1, v1, v9, vcc_lo
	v_cmp_eq_u32_e64 s3, 2, v71
	v_cndmask_b32_e32 v5, v5, v13, vcc_lo
	v_cndmask_b32_e64 v9, v17, v2, s4
	v_cmp_eq_u32_e32 vcc_lo, 3, v70
	v_cndmask_b32_e64 v13, v18, v6, s4
	v_cmp_eq_u32_e64 s4, 2, v69
	v_cndmask_b32_e64 v17, v19, v2, s5
	v_cndmask_b32_e64 v18, v20, v6, s5
	v_cmp_eq_u32_e64 s5, 3, v69
	v_cndmask_b32_e64 v1, v1, v2, s3
	v_cndmask_b32_e64 v19, v21, v2, s4
	;; [unrolled: 1-line block ×4, first 2 shown]
	v_cndmask_b32_e32 v5, v9, v10, vcc_lo
	v_cndmask_b32_e32 v6, v13, v14, vcc_lo
	v_cmp_eq_u32_e32 vcc_lo, 3, v71
	v_cndmask_b32_e64 v9, v17, v10, s6
	v_cndmask_b32_e64 v13, v18, v14, s6
	;; [unrolled: 1-line block ×3, first 2 shown]
	v_cmp_eq_u32_e64 s4, 4, v70
	v_cndmask_b32_e32 v1, v1, v10, vcc_lo
	v_cndmask_b32_e32 v2, v2, v14, vcc_lo
	v_cmp_eq_u32_e32 vcc_lo, 4, v72
	v_lshrrev_b32_e32 v15, 16, v7
	v_lshrrev_b32_e32 v16, 16, v8
	v_cndmask_b32_e64 v17, v19, v10, s5
	v_cmp_eq_u32_e64 s3, 4, v71
	v_cndmask_b32_e64 v5, v5, v3, s4
	v_cndmask_b32_e64 v6, v6, v7, s4
	v_cndmask_b32_e32 v9, v9, v3, vcc_lo
	v_cmp_eq_u32_e64 s4, 5, v72
	v_cndmask_b32_e32 v10, v13, v7, vcc_lo
	v_cmp_eq_u32_e32 vcc_lo, 4, v69
	v_cmp_eq_u32_e64 s5, 5, v70
	v_cndmask_b32_e64 v2, v2, v7, s3
	v_cndmask_b32_e64 v9, v9, v11, s4
	;; [unrolled: 1-line block ×3, first 2 shown]
	v_cndmask_b32_e32 v13, v17, v3, vcc_lo
	v_cmp_eq_u32_e64 s4, 5, v69
	v_cndmask_b32_e32 v14, v18, v7, vcc_lo
	v_cndmask_b32_e64 v1, v1, v3, s3
	v_cmp_eq_u32_e32 vcc_lo, 5, v71
	v_lshrrev_b32_e32 v12, 16, v4
	v_cndmask_b32_e64 v13, v13, v11, s4
	v_cndmask_b32_e64 v3, v14, v15, s4
	v_cmp_eq_u32_e64 s4, 6, v71
	v_cndmask_b32_e32 v1, v1, v11, vcc_lo
	v_cndmask_b32_e64 v5, v5, v11, s5
	v_cmp_eq_u32_e64 s6, 6, v70
	v_cndmask_b32_e64 v6, v6, v15, s5
	v_cmp_eq_u32_e64 s5, 6, v72
	v_cmp_eq_u32_e64 s3, 6, v69
	v_cndmask_b32_e64 v1, v1, v4, s4
	v_cndmask_b32_e32 v2, v2, v15, vcc_lo
	v_cmp_eq_u32_e32 vcc_lo, 7, v71
	v_cndmask_b32_e64 v5, v5, v4, s6
	v_cndmask_b32_e64 v9, v9, v4, s5
	;; [unrolled: 1-line block ×3, first 2 shown]
	v_cmp_eq_u32_e64 s6, 7, v70
	v_cndmask_b32_e32 v1, v1, v12, vcc_lo
	v_cndmask_b32_e64 v7, v13, v4, s3
	v_cndmask_b32_e64 v3, v3, v8, s3
	;; [unrolled: 1-line block ×3, first 2 shown]
	v_cmp_eq_u32_e64 s3, 7, v69
	v_cndmask_b32_e64 v4, v10, v8, s5
	v_cndmask_b32_e64 v5, v5, v12, s6
	;; [unrolled: 1-line block ×3, first 2 shown]
	v_cndmask_b32_e32 v2, v2, v16, vcc_lo
	v_cndmask_b32_e64 v7, v7, v12, s3
	v_cndmask_b32_e64 v3, v3, v16, s3
	;; [unrolled: 1-line block ×4, first 2 shown]
	v_perm_b32 v4, v2, v1, 0x5040100
	s_mov_b32 s3, exec_lo
	v_perm_b32 v3, v3, v7, 0x5040100
	v_perm_b32 v2, v8, v9, 0x5040100
	;; [unrolled: 1-line block ×3, first 2 shown]
	ds_store_b128 v74, v[1:4]
	s_waitcnt lgkmcnt(0)
	s_barrier
	buffer_gl0_inv
	v_cmpx_gt_u32_e32 32, v0
	s_cbranch_execz .LBB1290_2
; %bb.15:
	s_load_b64 s[4:5], s[0:1], 0x68
	v_lshlrev_b32_e32 v0, 10, v0
	v_lshlrev_b32_e32 v1, 4, v67
	s_lshl_b32 s0, s35, 7
	v_add_nc_u32_e32 v18, s31, v66
	s_mul_i32 s1, s0, s34
	s_delay_alu instid0(VALU_DEP_2) | instskip(SKIP_1) | instid1(VALU_DEP_2)
	v_and_or_b32 v0, 0x3800, v0, v1
	s_mul_i32 s6, s1, s8
	v_mul_lo_u32 v1, v18, s0
	s_ashr_i32 s7, s6, 31
	v_add_nc_u32_e32 v2, 2, v18
	v_lshl_or_b32 v19, v66, 6, v0
	s_lshl_b64 s[6:7], s[6:7], 1
	v_add_nc_u32_e32 v8, 4, v18
	v_add_nc_u32_e32 v15, 6, v18
	v_mul_lo_u32 v7, v2, s0
	ds_load_b128 v[3:6], v19
	v_ashrrev_i32_e32 v2, 31, v1
	v_mul_lo_u32 v11, v8, s0
	s_waitcnt lgkmcnt(0)
	s_add_u32 s1, s4, s6
	s_addc_u32 s3, s5, s7
	s_lshl_b32 s4, s14, 7
	v_lshlrev_b64 v[9:10], 1, v[1:2]
	s_ashr_i32 s5, s4, 31
	v_ashrrev_i32_e32 v8, 31, v7
	s_lshl_b64 s[4:5], s[4:5], 1
	v_ashrrev_i32_e32 v12, 31, v11
	s_add_u32 s1, s1, s4
	s_addc_u32 s3, s3, s5
	v_add_co_u32 v1, s1, s1, v65
	s_delay_alu instid0(VALU_DEP_1) | instskip(SKIP_1) | instid1(VALU_DEP_3)
	v_add_co_ci_u32_e64 v2, null, s3, 0, s1
	v_mul_lo_u32 v15, v15, s0
	v_add_co_u32 v13, vcc_lo, v1, v9
	s_delay_alu instid0(VALU_DEP_3)
	v_add_co_ci_u32_e32 v14, vcc_lo, v2, v10, vcc_lo
	v_lshlrev_b64 v[16:17], 1, v[7:8]
	ds_load_b128 v[7:10], v19 offset:128
	global_store_b128 v[13:14], v[3:6], off
	v_add_nc_u32_e32 v5, 8, v18
	v_lshlrev_b64 v[3:4], 1, v[11:12]
	v_add_co_u32 v23, vcc_lo, v1, v16
	v_ashrrev_i32_e32 v16, 31, v15
	s_delay_alu instid0(VALU_DEP_4) | instskip(SKIP_3) | instid1(VALU_DEP_3)
	v_mul_lo_u32 v25, v5, s0
	v_add_nc_u32_e32 v5, 10, v18
	v_add_co_ci_u32_e32 v24, vcc_lo, v2, v17, vcc_lo
	v_add_co_u32 v27, vcc_lo, v1, v3
	v_mul_lo_u32 v29, v5, s0
	v_add_co_ci_u32_e32 v28, vcc_lo, v2, v4, vcc_lo
	v_lshlrev_b64 v[31:32], 1, v[15:16]
	ds_load_b128 v[3:6], v19 offset:256
	ds_load_b128 v[11:14], v19 offset:384
	ds_load_b128 v[15:18], v19 offset:512
	ds_load_b128 v[19:22], v19 offset:640
	v_ashrrev_i32_e32 v26, 31, v25
	v_ashrrev_i32_e32 v30, 31, v29
	v_add_co_u32 v31, vcc_lo, v1, v31
	s_delay_alu instid0(VALU_DEP_3) | instskip(SKIP_1) | instid1(VALU_DEP_4)
	v_lshlrev_b64 v[25:26], 1, v[25:26]
	v_add_co_ci_u32_e32 v32, vcc_lo, v2, v32, vcc_lo
	v_lshlrev_b64 v[29:30], 1, v[29:30]
	s_delay_alu instid0(VALU_DEP_3) | instskip(NEXT) | instid1(VALU_DEP_4)
	v_add_co_u32 v25, vcc_lo, v1, v25
	v_add_co_ci_u32_e32 v26, vcc_lo, v2, v26, vcc_lo
	s_delay_alu instid0(VALU_DEP_3) | instskip(NEXT) | instid1(VALU_DEP_4)
	v_add_co_u32 v29, vcc_lo, v1, v29
	v_add_co_ci_u32_e32 v30, vcc_lo, v2, v30, vcc_lo
	s_waitcnt lgkmcnt(4)
	global_store_b128 v[23:24], v[7:10], off
	s_waitcnt lgkmcnt(3)
	global_store_b128 v[27:28], v[3:6], off
	;; [unrolled: 2-line block ×5, first 2 shown]
	s_and_b32 exec_lo, exec_lo, s2
	s_cbranch_execz .LBB1290_2
; %bb.16:
	ds_load_b128 v[3:6], v0 offset:768
	s_add_i32 s1, s31, 12
	s_delay_alu instid0(SALU_CYCLE_1) | instskip(NEXT) | instid1(SALU_CYCLE_1)
	s_mul_i32 s0, s1, s0
	s_ashr_i32 s1, s0, 31
	s_delay_alu instid0(SALU_CYCLE_1) | instskip(NEXT) | instid1(SALU_CYCLE_1)
	s_lshl_b64 s[0:1], s[0:1], 1
	v_add_co_u32 v0, vcc_lo, v1, s0
	v_add_co_ci_u32_e32 v1, vcc_lo, s1, v2, vcc_lo
	s_waitcnt lgkmcnt(0)
	global_store_b128 v[0:1], v[3:6], off
	s_nop 0
	s_sendmsg sendmsg(MSG_DEALLOC_VGPRS)
	s_endpgm
	.section	.rodata,"a",@progbits
	.p2align	6, 0x0
	.amdhsa_kernel _Z39paged_attention_ll4mi_QKV_mfma16_kernelIDF16_hLN4vllm18Fp8KVCacheDataTypeE1EhLi32ELi128ELi256ELb1ELi13EL8MFMAType0EEvPKT_PKT0_S8_ifPKiSA_SA_iPKfiiiPfSD_PS3_PT2_iSC_SC_
		.amdhsa_group_segment_fixed_size 17472
		.amdhsa_private_segment_fixed_size 0
		.amdhsa_kernarg_size 400
		.amdhsa_user_sgpr_count 13
		.amdhsa_user_sgpr_dispatch_ptr 0
		.amdhsa_user_sgpr_queue_ptr 0
		.amdhsa_user_sgpr_kernarg_segment_ptr 1
		.amdhsa_user_sgpr_dispatch_id 0
		.amdhsa_user_sgpr_private_segment_size 0
		.amdhsa_wavefront_size32 1
		.amdhsa_uses_dynamic_stack 0
		.amdhsa_enable_private_segment 0
		.amdhsa_system_sgpr_workgroup_id_x 1
		.amdhsa_system_sgpr_workgroup_id_y 1
		.amdhsa_system_sgpr_workgroup_id_z 1
		.amdhsa_system_sgpr_workgroup_info 0
		.amdhsa_system_vgpr_workitem_id 0
		.amdhsa_next_free_vgpr 150
		.amdhsa_next_free_sgpr 37
		.amdhsa_reserve_vcc 1
		.amdhsa_float_round_mode_32 0
		.amdhsa_float_round_mode_16_64 0
		.amdhsa_float_denorm_mode_32 3
		.amdhsa_float_denorm_mode_16_64 3
		.amdhsa_dx10_clamp 1
		.amdhsa_ieee_mode 1
		.amdhsa_fp16_overflow 0
		.amdhsa_workgroup_processor_mode 1
		.amdhsa_memory_ordered 1
		.amdhsa_forward_progress 0
		.amdhsa_shared_vgpr_count 0
		.amdhsa_exception_fp_ieee_invalid_op 0
		.amdhsa_exception_fp_denorm_src 0
		.amdhsa_exception_fp_ieee_div_zero 0
		.amdhsa_exception_fp_ieee_overflow 0
		.amdhsa_exception_fp_ieee_underflow 0
		.amdhsa_exception_fp_ieee_inexact 0
		.amdhsa_exception_int_div_zero 0
	.end_amdhsa_kernel
	.section	.text._Z39paged_attention_ll4mi_QKV_mfma16_kernelIDF16_hLN4vllm18Fp8KVCacheDataTypeE1EhLi32ELi128ELi256ELb1ELi13EL8MFMAType0EEvPKT_PKT0_S8_ifPKiSA_SA_iPKfiiiPfSD_PS3_PT2_iSC_SC_,"axG",@progbits,_Z39paged_attention_ll4mi_QKV_mfma16_kernelIDF16_hLN4vllm18Fp8KVCacheDataTypeE1EhLi32ELi128ELi256ELb1ELi13EL8MFMAType0EEvPKT_PKT0_S8_ifPKiSA_SA_iPKfiiiPfSD_PS3_PT2_iSC_SC_,comdat
.Lfunc_end1290:
	.size	_Z39paged_attention_ll4mi_QKV_mfma16_kernelIDF16_hLN4vllm18Fp8KVCacheDataTypeE1EhLi32ELi128ELi256ELb1ELi13EL8MFMAType0EEvPKT_PKT0_S8_ifPKiSA_SA_iPKfiiiPfSD_PS3_PT2_iSC_SC_, .Lfunc_end1290-_Z39paged_attention_ll4mi_QKV_mfma16_kernelIDF16_hLN4vllm18Fp8KVCacheDataTypeE1EhLi32ELi128ELi256ELb1ELi13EL8MFMAType0EEvPKT_PKT0_S8_ifPKiSA_SA_iPKfiiiPfSD_PS3_PT2_iSC_SC_
                                        ; -- End function
	.section	.AMDGPU.csdata,"",@progbits
; Kernel info:
; codeLenInByte = 6860
; NumSgprs: 39
; NumVgprs: 150
; ScratchSize: 0
; MemoryBound: 0
; FloatMode: 240
; IeeeMode: 1
; LDSByteSize: 17472 bytes/workgroup (compile time only)
; SGPRBlocks: 4
; VGPRBlocks: 18
; NumSGPRsForWavesPerEU: 39
; NumVGPRsForWavesPerEU: 150
; Occupancy: 9
; WaveLimiterHint : 1
; COMPUTE_PGM_RSRC2:SCRATCH_EN: 0
; COMPUTE_PGM_RSRC2:USER_SGPR: 13
; COMPUTE_PGM_RSRC2:TRAP_HANDLER: 0
; COMPUTE_PGM_RSRC2:TGID_X_EN: 1
; COMPUTE_PGM_RSRC2:TGID_Y_EN: 1
; COMPUTE_PGM_RSRC2:TGID_Z_EN: 1
; COMPUTE_PGM_RSRC2:TIDIG_COMP_CNT: 0
	.section	.text._Z39paged_attention_ll4mi_QKV_mfma16_kernelIDF16_hLN4vllm18Fp8KVCacheDataTypeE1EhLi32ELi128ELi256ELb1ELi14EL8MFMAType0EEvPKT_PKT0_S8_ifPKiSA_SA_iPKfiiiPfSD_PS3_PT2_iSC_SC_,"axG",@progbits,_Z39paged_attention_ll4mi_QKV_mfma16_kernelIDF16_hLN4vllm18Fp8KVCacheDataTypeE1EhLi32ELi128ELi256ELb1ELi14EL8MFMAType0EEvPKT_PKT0_S8_ifPKiSA_SA_iPKfiiiPfSD_PS3_PT2_iSC_SC_,comdat
	.protected	_Z39paged_attention_ll4mi_QKV_mfma16_kernelIDF16_hLN4vllm18Fp8KVCacheDataTypeE1EhLi32ELi128ELi256ELb1ELi14EL8MFMAType0EEvPKT_PKT0_S8_ifPKiSA_SA_iPKfiiiPfSD_PS3_PT2_iSC_SC_ ; -- Begin function _Z39paged_attention_ll4mi_QKV_mfma16_kernelIDF16_hLN4vllm18Fp8KVCacheDataTypeE1EhLi32ELi128ELi256ELb1ELi14EL8MFMAType0EEvPKT_PKT0_S8_ifPKiSA_SA_iPKfiiiPfSD_PS3_PT2_iSC_SC_
	.globl	_Z39paged_attention_ll4mi_QKV_mfma16_kernelIDF16_hLN4vllm18Fp8KVCacheDataTypeE1EhLi32ELi128ELi256ELb1ELi14EL8MFMAType0EEvPKT_PKT0_S8_ifPKiSA_SA_iPKfiiiPfSD_PS3_PT2_iSC_SC_
	.p2align	8
	.type	_Z39paged_attention_ll4mi_QKV_mfma16_kernelIDF16_hLN4vllm18Fp8KVCacheDataTypeE1EhLi32ELi128ELi256ELb1ELi14EL8MFMAType0EEvPKT_PKT0_S8_ifPKiSA_SA_iPKfiiiPfSD_PS3_PT2_iSC_SC_,@function
_Z39paged_attention_ll4mi_QKV_mfma16_kernelIDF16_hLN4vllm18Fp8KVCacheDataTypeE1EhLi32ELi128ELi256ELb1ELi14EL8MFMAType0EEvPKT_PKT0_S8_ifPKiSA_SA_iPKfiiiPfSD_PS3_PT2_iSC_SC_: ; @_Z39paged_attention_ll4mi_QKV_mfma16_kernelIDF16_hLN4vllm18Fp8KVCacheDataTypeE1EhLi32ELi128ELi256ELb1ELi14EL8MFMAType0EEvPKT_PKT0_S8_ifPKiSA_SA_iPKfiiiPfSD_PS3_PT2_iSC_SC_
; %bb.0:
	s_load_b64 s[4:5], s[0:1], 0x30
	s_mov_b32 s30, s13
	s_waitcnt lgkmcnt(0)
	s_cmp_lg_u64 s[4:5], 0
	s_cselect_b32 s8, -1, 0
	s_ashr_i32 s31, s13, 31
	s_cmp_eq_u64 s[4:5], 0
	s_cbranch_scc1 .LBB1291_3
; %bb.1:
	s_lshl_b64 s[2:3], s[30:31], 2
	s_delay_alu instid0(SALU_CYCLE_1) | instskip(SKIP_4) | instid1(SALU_CYCLE_1)
	s_add_u32 s2, s4, s2
	s_addc_u32 s3, s5, s3
	s_load_b64 s[2:3], s[2:3], 0x0
	s_waitcnt lgkmcnt(0)
	s_sub_i32 s2, s3, s2
	s_cmp_eq_u32 s2, 1
	s_cselect_b32 s2, -1, 0
	s_delay_alu instid0(SALU_CYCLE_1)
	s_and_not1_b32 vcc_lo, exec_lo, s2
	s_cbranch_vccz .LBB1291_4
.LBB1291_2:
	s_endpgm
.LBB1291_3:
.LBB1291_4:
	s_load_b64 s[2:3], s[0:1], 0x28
	s_lshl_b64 s[6:7], s[30:31], 2
	s_waitcnt lgkmcnt(0)
	s_add_u32 s2, s2, s6
	s_addc_u32 s3, s3, s7
	s_lshl_b32 s12, s14, 8
	s_load_b32 s24, s[2:3], 0x0
	s_waitcnt lgkmcnt(0)
	s_cmp_ge_i32 s12, s24
	s_cbranch_scc1 .LBB1291_2
; %bb.5:
	s_clause 0x1
	s_load_b128 s[20:23], s[0:1], 0x8
	s_load_b64 s[2:3], s[0:1], 0x20
	s_and_not1_b32 vcc_lo, exec_lo, s8
	s_cbranch_vccnz .LBB1291_7
; %bb.6:
	s_add_u32 s4, s4, s6
	s_addc_u32 s5, s5, s7
	s_load_b32 s5, s[4:5], 0x0
	s_branch .LBB1291_8
.LBB1291_7:
	s_mov_b32 s5, s30
.LBB1291_8:
	s_load_b128 s[16:19], s[0:1], 0x48
	v_and_b32_e32 v68, 15, v0
	v_lshrrev_b32_e32 v69, 5, v0
	v_and_b32_e32 v70, 31, v0
	v_and_b32_e32 v67, 1, v0
	v_bfe_u32 v66, v0, 4, 1
	v_lshlrev_b32_e32 v1, 3, v68
	s_mul_i32 s31, s15, 14
	s_mov_b32 s4, exec_lo
	s_delay_alu instid0(VALU_DEP_1)
	v_lshlrev_b32_e32 v65, 1, v1
	v_cmpx_gt_u32_e32 0xe0, v0
	s_cbranch_execz .LBB1291_10
; %bb.9:
	s_load_b64 s[6:7], s[0:1], 0x0
	v_lshl_or_b32 v5, v69, 1, v66
	s_waitcnt lgkmcnt(0)
	s_mul_hi_i32 s9, s5, s16
	s_mul_i32 s8, s5, s16
	v_lshlrev_b32_e32 v6, 10, v68
	s_lshl_b64 s[8:9], s[8:9], 1
	v_add_lshl_u32 v1, v5, s31, 7
	v_lshlrev_b32_e32 v5, 6, v5
	v_lshlrev_b32_e32 v7, 10, v67
	v_and_b32_e32 v6, 0x3800, v6
	s_delay_alu instid0(VALU_DEP_4) | instskip(NEXT) | instid1(VALU_DEP_2)
	v_ashrrev_i32_e32 v2, 31, v1
	v_or3_b32 v5, v6, v7, v5
	s_delay_alu instid0(VALU_DEP_2) | instskip(SKIP_2) | instid1(VALU_DEP_1)
	v_lshlrev_b64 v[1:2], 1, v[1:2]
	s_add_u32 s5, s6, s8
	s_addc_u32 s6, s7, s9
	v_add_co_u32 v1, vcc_lo, s5, v1
	s_delay_alu instid0(VALU_DEP_2) | instskip(NEXT) | instid1(VALU_DEP_2)
	v_add_co_ci_u32_e32 v2, vcc_lo, s6, v2, vcc_lo
	v_add_co_u32 v1, vcc_lo, v1, v65
	s_delay_alu instid0(VALU_DEP_2)
	v_add_co_ci_u32_e32 v2, vcc_lo, 0, v2, vcc_lo
	global_load_b128 v[1:4], v[1:2], off
	s_waitcnt vmcnt(0)
	ds_store_b128 v5, v[1:4]
.LBB1291_10:
	s_or_b32 exec_lo, exec_lo, s4
	v_and_b32_e32 v1, 0xef, v0
	s_waitcnt lgkmcnt(0)
	s_add_i32 s5, s24, 31
	s_clause 0x1
	s_load_b32 s4, s[0:1], 0x38
	s_load_b32 s33, s[0:1], 0x98
	s_ashr_i32 s6, s5, 31
	v_add_nc_u32_e32 v1, s12, v1
	s_lshr_b32 s6, s6, 27
	s_load_b32 s19, s[0:1], 0x1c
	s_add_i32 s5, s5, s6
	s_waitcnt lgkmcnt(0)
	v_ashrrev_i32_e32 v2, 31, v1
	v_or_b32_e32 v3, 16, v1
	s_ashr_i32 s13, s5, 5
	v_cmp_gt_i32_e32 vcc_lo, s24, v1
	s_add_i32 s13, s13, -1
	v_lshrrev_b32_e32 v2, 27, v2
	s_barrier
	buffer_gl0_inv
	s_mul_i32 s15, s15, s18
	v_add_nc_u32_e32 v4, v1, v2
	s_mul_i32 s4, s30, s4
	s_delay_alu instid0(SALU_CYCLE_1) | instskip(NEXT) | instid1(VALU_DEP_1)
	s_ashr_i32 s5, s4, 31
	v_ashrrev_i32_e32 v4, 5, v4
	v_add_nc_u32_e32 v2, v3, v2
	s_lshl_b64 s[4:5], s[4:5], 2
	s_delay_alu instid0(SALU_CYCLE_1) | instskip(NEXT) | instid1(VALU_DEP_2)
	s_add_u32 s16, s2, s4
	v_cndmask_b32_e32 v1, s13, v4, vcc_lo
	s_delay_alu instid0(VALU_DEP_2)
	v_ashrrev_i32_e32 v2, 5, v2
	v_cmp_gt_i32_e32 vcc_lo, s24, v3
	s_addc_u32 s25, s3, s5
	s_ashr_i32 s18, s15, 31
	s_add_u32 s2, s20, s15
	s_addc_u32 s3, s21, s18
	v_cndmask_b32_e32 v3, s13, v2, vcc_lo
	v_ashrrev_i32_e32 v2, 31, v1
	s_lshl_b32 s4, s14, 3
	s_delay_alu instid0(SALU_CYCLE_1) | instskip(NEXT) | instid1(VALU_DEP_2)
	s_ashr_i32 s5, s4, 31
	v_ashrrev_i32_e32 v4, 31, v3
	s_delay_alu instid0(VALU_DEP_2) | instskip(SKIP_1) | instid1(SALU_CYCLE_1)
	v_lshlrev_b64 v[1:2], 2, v[1:2]
	s_lshl_b64 s[4:5], s[4:5], 2
	s_add_u32 s4, s16, s4
	s_delay_alu instid0(VALU_DEP_2) | instskip(SKIP_1) | instid1(VALU_DEP_2)
	v_lshlrev_b64 v[3:4], 2, v[3:4]
	s_addc_u32 s5, s25, s5
	v_add_co_u32 v1, vcc_lo, s16, v1
	v_add_co_ci_u32_e32 v2, vcc_lo, s25, v2, vcc_lo
	s_delay_alu instid0(VALU_DEP_3) | instskip(NEXT) | instid1(VALU_DEP_4)
	v_add_co_u32 v3, vcc_lo, s16, v3
	v_add_co_ci_u32_e32 v4, vcc_lo, s25, v4, vcc_lo
	s_clause 0x1
	global_load_b32 v5, v[1:2], off
	global_load_b32 v6, v[3:4], off
	s_or_b32 s6, s12, 32
	s_delay_alu instid0(SALU_CYCLE_1) | instskip(SKIP_2) | instid1(SALU_CYCLE_1)
	s_ashr_i32 s7, s6, 5
	s_cmp_lt_i32 s6, s24
	s_cselect_b32 s6, s7, s13
	s_ashr_i32 s7, s6, 31
	s_delay_alu instid0(SALU_CYCLE_1) | instskip(NEXT) | instid1(SALU_CYCLE_1)
	s_lshl_b64 s[6:7], s[6:7], 2
	s_add_u32 s6, s16, s6
	s_addc_u32 s7, s25, s7
	s_or_b32 s8, s12, 64
	s_delay_alu instid0(SALU_CYCLE_1) | instskip(SKIP_2) | instid1(SALU_CYCLE_1)
	s_ashr_i32 s9, s8, 5
	s_cmp_lt_i32 s8, s24
	s_cselect_b32 s8, s9, s13
	s_ashr_i32 s9, s8, 31
	s_delay_alu instid0(SALU_CYCLE_1) | instskip(NEXT) | instid1(SALU_CYCLE_1)
	s_lshl_b64 s[8:9], s[8:9], 2
	s_add_u32 s8, s16, s8
	s_addc_u32 s9, s25, s9
	;; [unrolled: 10-line block ×5, first 2 shown]
	s_clause 0x5
	s_load_b32 s28, s[4:5], 0x0
	s_load_b32 s29, s[6:7], 0x0
	s_load_b32 s34, s[8:9], 0x0
	s_load_b32 s35, s[10:11], 0x0
	s_load_b32 s36, s[20:21], 0x0
	s_load_b32 s26, s[26:27], 0x0
	s_mov_b32 s4, 0
	s_delay_alu instid0(SALU_CYCLE_1)
	s_mov_b32 s5, s4
	s_mov_b32 s6, s4
	s_mov_b32 s7, s4
	s_mov_b32 s8, s4
	s_mov_b32 s9, s4
	s_mov_b32 s10, s4
	s_mov_b32 s11, s4
	s_delay_alu instid0(SALU_CYCLE_1)
	v_dual_mov_b32 v118, s11 :: v_dual_mov_b32 v117, s10
	v_dual_mov_b32 v116, s9 :: v_dual_mov_b32 v115, s8
	v_mov_b32_e32 v113, s6
	v_dual_mov_b32 v111, s4 :: v_dual_mov_b32 v114, s7
	v_mov_b32_e32 v112, s5
	s_waitcnt vmcnt(1)
	v_mad_i64_i32 v[1:2], null, v5, s17, s[2:3]
	v_lshlrev_b32_e32 v5, 4, v68
	s_waitcnt vmcnt(0)
	v_mad_i64_i32 v[3:4], null, v6, s17, s[2:3]
	s_or_b32 s2, s12, 0xc0
	s_delay_alu instid0(SALU_CYCLE_1) | instskip(NEXT) | instid1(VALU_DEP_3)
	s_ashr_i32 s3, s2, 5
	v_add_co_u32 v1, vcc_lo, v1, v5
	s_delay_alu instid0(VALU_DEP_4) | instskip(NEXT) | instid1(VALU_DEP_3)
	v_add_co_ci_u32_e32 v2, vcc_lo, 0, v2, vcc_lo
	v_add_co_u32 v3, vcc_lo, v3, v5
	s_delay_alu instid0(VALU_DEP_4)
	v_add_co_ci_u32_e32 v4, vcc_lo, 0, v4, vcc_lo
	s_clause 0xf
	global_load_b128 v[17:20], v[1:2], off
	global_load_b128 v[21:24], v[1:2], off offset:512
	global_load_b128 v[25:28], v[3:4], off offset:256
	;; [unrolled: 1-line block ×15, first 2 shown]
	s_cmp_lt_i32 s2, s24
	v_add_nc_u32_e32 v1, -14, v68
	s_cselect_b32 s2, s3, s13
	v_cmp_gt_u32_e32 vcc_lo, 14, v68
	s_ashr_i32 s3, s2, 31
	v_lshlrev_b32_e32 v2, 5, v68
	s_lshl_b64 s[2:3], s[2:3], 2
	s_delay_alu instid0(SALU_CYCLE_1)
	s_add_u32 s2, s16, s2
	s_addc_u32 s3, s25, s3
	s_or_b32 s20, s12, 0xe0
	v_cndmask_b32_e32 v1, v1, v68, vcc_lo
	s_ashr_i32 s21, s20, 5
	s_cmp_lt_i32 s20, s24
	s_cselect_b32 s20, s21, s13
	s_delay_alu instid0(VALU_DEP_1)
	v_lshlrev_b32_e32 v149, 6, v1
	s_ashr_i32 s21, s20, 31
	v_lshl_or_b32 v1, v69, 9, v2
	s_lshl_b64 s[4:5], s[20:21], 2
	ds_load_b128 v[119:122], v149
	ds_load_b128 v[123:126], v149 offset:1024
	s_add_u32 s4, s16, s4
	s_addc_u32 s5, s25, s5
	ds_load_b128 v[127:130], v149 offset:2048
	ds_load_b128 v[131:134], v149 offset:3072
	s_clause 0x1
	s_load_b32 s2, s[2:3], 0x0
	s_load_b32 s3, s[4:5], 0x0
	s_add_u32 s6, s22, s15
	s_addc_u32 s7, s23, s18
	v_add_co_u32 v135, s6, s6, v1
	s_delay_alu instid0(VALU_DEP_1) | instskip(SKIP_1) | instid1(VALU_DEP_1)
	v_add_co_ci_u32_e64 v136, null, s7, 0, s6
	s_waitcnt lgkmcnt(0)
	v_mad_i64_i32 v[1:2], null, s28, s17, v[135:136]
	v_mad_i64_i32 v[3:4], null, s29, s17, v[135:136]
	;; [unrolled: 1-line block ×6, first 2 shown]
	s_clause 0x9
	global_load_b128 v[49:52], v[1:2], off
	global_load_b128 v[53:56], v[1:2], off offset:16
	global_load_b128 v[41:44], v[3:4], off
	global_load_b128 v[45:48], v[3:4], off offset:16
	;; [unrolled: 2-line block ×5, first 2 shown]
	v_mad_i64_i32 v[145:146], null, s2, s17, v[135:136]
	v_mad_i64_i32 v[147:148], null, s3, s17, v[135:136]
	s_waitcnt vmcnt(24)
	v_wmma_f32_16x16x16_f16 v[135:142], v[17:24], v[119:126], v[111:118]
	s_waitcnt vmcnt(22)
	v_wmma_f32_16x16x16_f16 v[111:118], v[25:32], v[119:126], v[111:118]
	s_clause 0x3
	global_load_b128 v[17:20], v[143:144], off
	global_load_b128 v[21:24], v[143:144], off offset:16
	global_load_b128 v[25:28], v[145:146], off
	global_load_b128 v[29:32], v[145:146], off offset:16
	v_and_b32_e32 v119, 0xe0, v0
	s_waitcnt vmcnt(24)
	v_wmma_f32_16x16x16_f16 v[135:142], v[57:64], v[127:134], v[135:142]
	s_clause 0x1
	global_load_b128 v[57:60], v[147:148], off
	global_load_b128 v[61:64], v[147:148], off offset:16
	s_waitcnt vmcnt(24)
	v_wmma_f32_16x16x16_f16 v[111:118], v[71:78], v[127:134], v[111:118]
	ds_load_b128 v[71:74], v149 offset:4096
	ds_load_b128 v[75:78], v149 offset:5120
	v_add_nc_u32_e32 v128, s12, v119
	ds_load_b128 v[119:122], v149 offset:6144
	ds_load_b128 v[123:126], v149 offset:7168
	v_mbcnt_lo_u32_b32 v127, -1, 0
	s_waitcnt vmcnt(0) lgkmcnt(0)
	s_barrier
	v_or_b32_e32 v128, v128, v66
	buffer_gl0_inv
	v_xor_b32_e32 v129, 16, v127
	v_or_b32_e32 v130, 4, v128
	v_or_b32_e32 v131, 6, v128
	s_delay_alu instid0(VALU_DEP_3) | instskip(SKIP_4) | instid1(VALU_DEP_4)
	v_cmp_gt_i32_e32 vcc_lo, 32, v129
	v_or_b32_e32 v132, 8, v128
	v_or_b32_e32 v133, 10, v128
	v_cmp_gt_i32_e64 s3, s24, v130
	v_cmp_gt_i32_e64 s4, s24, v131
	;; [unrolled: 1-line block ×3, first 2 shown]
	v_wmma_f32_16x16x16_f16 v[135:142], v[79:86], v[71:78], v[135:142]
	v_wmma_f32_16x16x16_f16 v[111:118], v[87:94], v[71:78], v[111:118]
	v_or_b32_e32 v79, 12, v128
	v_or_b32_e32 v80, 14, v128
	v_cmp_gt_i32_e64 s6, s24, v133
	v_wmma_f32_16x16x16_f16 v[135:142], v[95:102], v[119:126], v[135:142]
	v_wmma_f32_16x16x16_f16 v[111:118], v[103:110], v[119:126], v[111:118]
	v_cndmask_b32_e32 v127, v127, v129, vcc_lo
	v_or_b32_e32 v129, 2, v128
	v_cmp_gt_i32_e32 vcc_lo, s24, v128
	s_delay_alu instid0(VALU_DEP_4) | instskip(SKIP_1) | instid1(VALU_DEP_4)
	v_dual_mul_f32 v87, s19, v136 :: v_dual_mul_f32 v94, s19, v113
	v_mul_f32_e32 v88, s19, v135
	v_cmp_gt_i32_e64 s2, s24, v129
	v_mul_f32_e32 v78, s19, v138
	v_mul_f32_e32 v86, s19, v137
	;; [unrolled: 1-line block ×3, first 2 shown]
	v_cndmask_b32_e32 v88, 0xff7fffff, v88, vcc_lo
	v_cndmask_b32_e64 v87, 0xff7fffff, v87, s2
	v_dual_mul_f32 v77, s19, v139 :: v_dual_mul_f32 v90, s19, v117
	v_cndmask_b32_e64 v86, 0xff7fffff, v86, s3
	v_cndmask_b32_e64 v78, 0xff7fffff, v78, s4
	s_delay_alu instid0(VALU_DEP_4)
	v_max3_f32 v87, v88, 0xff7fffff, v87
	v_or_b32_e32 v81, 16, v128
	v_or_b32_e32 v82, 18, v128
	v_dual_mul_f32 v74, s19, v142 :: v_dual_mul_f32 v75, s19, v141
	v_mul_f32_e32 v96, s19, v111
	v_cndmask_b32_e64 v77, 0xff7fffff, v77, s5
	v_cndmask_b32_e64 v76, 0xff7fffff, v76, s6
	v_max3_f32 v78, v87, v86, v78
	v_cmp_gt_i32_e64 s7, s24, v79
	v_cmp_gt_i32_e64 s8, s24, v80
	v_or_b32_e32 v83, 20, v128
	v_or_b32_e32 v84, 22, v128
	v_mul_f32_e32 v95, s19, v112
	v_cndmask_b32_e64 v75, 0xff7fffff, v75, s7
	v_cndmask_b32_e64 v74, 0xff7fffff, v74, s8
	v_max3_f32 v76, v78, v77, v76
	v_cmp_gt_i32_e64 s9, s24, v81
	v_cmp_gt_i32_e64 s10, s24, v82
	v_or_b32_e32 v85, 24, v128
	v_or_b32_e32 v71, 26, v128
	;; [unrolled: 8-line block ×3, first 2 shown]
	v_dual_mul_f32 v91, s19, v116 :: v_dual_mul_f32 v92, s19, v115
	v_cndmask_b32_e64 v75, 0xff7fffff, v94, s11
	v_cndmask_b32_e64 v76, 0xff7fffff, v93, s12
	v_max3_f32 v74, v74, v77, v78
	v_cmp_gt_i32_e64 s13, s24, v85
	v_cmp_gt_i32_e64 s15, s24, v71
	v_mul_f32_e32 v89, s19, v118
	v_cmp_gt_i32_e64 s16, s24, v72
	v_max3_f32 v74, v74, v75, v76
	v_cndmask_b32_e64 v77, 0xff7fffff, v92, s13
	v_cndmask_b32_e64 v71, 0xff7fffff, v91, s15
	v_cmp_gt_i32_e64 s17, s24, v73
	v_cndmask_b32_e64 v72, 0xff7fffff, v90, s16
	s_delay_alu instid0(VALU_DEP_3) | instskip(SKIP_1) | instid1(VALU_DEP_4)
	v_max3_f32 v71, v74, v77, v71
	v_lshlrev_b32_e32 v74, 2, v127
	v_cndmask_b32_e64 v73, 0xff7fffff, v89, s17
	s_delay_alu instid0(VALU_DEP_1) | instskip(SKIP_3) | instid1(VALU_DEP_1)
	v_max3_f32 v71, v71, v72, v73
	ds_bpermute_b32 v72, v74, v71
	s_waitcnt lgkmcnt(0)
	v_max_f32_e32 v72, v72, v72
	v_max_f32_e32 v71, v71, v72
	s_delay_alu instid0(VALU_DEP_1) | instskip(SKIP_4) | instid1(VALU_DEP_4)
	v_fma_f32 v72, s19, v135, -v71
	v_fma_f32 v73, s19, v136, -v71
	;; [unrolled: 1-line block ×5, first 2 shown]
	v_dual_mul_f32 v72, 0x3fb8aa3b, v72 :: v_dual_mul_f32 v73, 0x3fb8aa3b, v73
	s_delay_alu instid0(VALU_DEP_3) | instskip(SKIP_1) | instid1(VALU_DEP_3)
	v_dual_mul_f32 v75, 0x3fb8aa3b, v75 :: v_dual_mul_f32 v76, 0x3fb8aa3b, v76
	v_fma_f32 v80, s19, v141, -v71
	v_exp_f32_e32 v72, v72
	s_delay_alu instid0(VALU_DEP_3) | instskip(NEXT) | instid1(VALU_DEP_2)
	v_exp_f32_e32 v73, v73
	v_exp_f32_e32 v75, v75
	;; [unrolled: 1-line block ×3, first 2 shown]
	v_mul_f32_e32 v82, 0x3fb8aa3b, v80
	s_delay_alu instid0(VALU_DEP_1) | instskip(SKIP_4) | instid1(TRANS32_DEP_3)
	v_exp_f32_e32 v84, v82
	v_cndmask_b32_e32 v79, 0, v72, vcc_lo
	v_fma_f32 v72, s19, v140, -v71
	v_mul_f32_e32 v77, 0x3fb8aa3b, v77
	v_cndmask_b32_e64 v78, 0, v73, s2
	v_cndmask_b32_e64 v81, 0, v75, s3
	s_delay_alu instid0(VALU_DEP_4) | instskip(NEXT) | instid1(VALU_DEP_4)
	v_dual_add_f32 v73, 0, v79 :: v_dual_mul_f32 v72, 0x3fb8aa3b, v72
	v_exp_f32_e32 v77, v77
	v_cndmask_b32_e64 v80, 0, v76, s4
	s_delay_alu instid0(TRANS32_DEP_2) | instskip(NEXT) | instid1(VALU_DEP_3)
	v_cndmask_b32_e64 v85, 0, v84, s7
	v_add_f32_e32 v73, v73, v78
	v_exp_f32_e32 v72, v72
	s_mov_b32 s2, exec_lo
	s_delay_alu instid0(VALU_DEP_1) | instskip(SKIP_4) | instid1(VALU_DEP_2)
	v_add_f32_e32 v73, v73, v81
	s_waitcnt_depctr 0xfff
	v_cndmask_b32_e64 v83, 0, v77, s5
	v_add_f32_e32 v73, v73, v80
	v_cndmask_b32_e64 v82, 0, v72, s6
	v_add_f32_e32 v72, v73, v83
	s_delay_alu instid0(VALU_DEP_1) | instskip(NEXT) | instid1(VALU_DEP_1)
	v_add_f32_e32 v72, v72, v82
	v_add_f32_e32 v72, v72, v85
	v_fma_f32 v76, s19, v111, -v71
	v_fma_f32 v75, s19, v142, -v71
	;; [unrolled: 1-line block ×5, first 2 shown]
	s_delay_alu instid0(VALU_DEP_4) | instskip(NEXT) | instid1(VALU_DEP_3)
	v_dual_mul_f32 v76, 0x3fb8aa3b, v76 :: v_dual_mul_f32 v75, 0x3fb8aa3b, v75
	v_mul_f32_e32 v86, 0x3fb8aa3b, v86
	s_delay_alu instid0(VALU_DEP_2) | instskip(NEXT) | instid1(VALU_DEP_2)
	v_exp_f32_e32 v76, v76
	v_exp_f32_e32 v75, v75
	s_delay_alu instid0(VALU_DEP_1) | instskip(NEXT) | instid1(TRANS32_DEP_3)
	v_exp_f32_e32 v88, v86
	v_cndmask_b32_e64 v87, 0, v76, s9
	v_fma_f32 v76, s19, v116, -v71
	v_mul_f32_e32 v77, 0x3fb8aa3b, v77
	s_waitcnt_depctr 0xfff
	v_cndmask_b32_e64 v84, 0, v75, s8
	v_fma_f32 v75, s19, v115, -v71
	v_cndmask_b32_e64 v88, 0, v88, s12
	v_mul_f32_e32 v76, 0x3fb8aa3b, v76
	v_exp_f32_e32 v77, v77
	v_add_f32_e32 v72, v72, v84
	s_delay_alu instid0(VALU_DEP_2) | instskip(NEXT) | instid1(VALU_DEP_1)
	v_exp_f32_e32 v76, v76
	v_add_f32_e32 v72, v72, v87
	s_waitcnt_depctr 0xfff
	v_cndmask_b32_e64 v86, 0, v77, s10
	v_mul_f32_e32 v73, 0x3fb8aa3b, v73
	v_fma_f32 v77, s19, v117, -v71
	v_cndmask_b32_e64 v90, 0, v76, s15
	s_delay_alu instid0(VALU_DEP_4) | instskip(NEXT) | instid1(VALU_DEP_4)
	v_add_f32_e32 v72, v72, v86
	v_exp_f32_e32 v73, v73
	s_waitcnt_depctr 0xfff
	v_cndmask_b32_e64 v89, 0, v73, s11
	s_delay_alu instid0(VALU_DEP_1) | instskip(NEXT) | instid1(VALU_DEP_1)
	v_dual_mul_f32 v75, 0x3fb8aa3b, v75 :: v_dual_add_f32 v72, v72, v89
	v_exp_f32_e32 v75, v75
	v_mul_f32_e32 v73, 0x3fb8aa3b, v77
	v_fma_f32 v77, s19, v118, -v71
	s_delay_alu instid0(VALU_DEP_3) | instskip(NEXT) | instid1(VALU_DEP_3)
	v_add_f32_e32 v72, v72, v88
	v_exp_f32_e32 v73, v73
	s_waitcnt_depctr 0xfff
	v_cndmask_b32_e64 v91, 0, v75, s13
	s_delay_alu instid0(VALU_DEP_1) | instskip(NEXT) | instid1(VALU_DEP_1)
	v_dual_mul_f32 v75, 0x3fb8aa3b, v77 :: v_dual_add_f32 v72, v72, v91
	v_exp_f32_e32 v75, v75
	v_cndmask_b32_e64 v93, 0, v73, s16
	s_delay_alu instid0(VALU_DEP_2) | instskip(NEXT) | instid1(VALU_DEP_1)
	v_add_f32_e32 v72, v72, v90
	v_add_f32_e32 v72, v72, v93
	s_waitcnt_depctr 0xfff
	v_cndmask_b32_e64 v92, 0, v75, s17
	s_delay_alu instid0(VALU_DEP_1)
	v_add_f32_e32 v72, v72, v92
	ds_bpermute_b32 v73, v74, v72
	v_cmpx_gt_u32_e32 16, v70
	s_cbranch_execz .LBB1291_12
; %bb.11:
	v_mul_u32_u24_e32 v70, 0x44, v69
	s_waitcnt lgkmcnt(0)
	v_add_f32_e32 v72, v72, v73
	s_delay_alu instid0(VALU_DEP_2) | instskip(NEXT) | instid1(VALU_DEP_1)
	v_lshl_add_u32 v70, v68, 2, v70
	v_add_nc_u32_e32 v70, 0x4000, v70
	ds_store_2addr_b32 v70, v71, v72 offset1:136
.LBB1291_12:
	s_or_b32 exec_lo, exec_lo, s2
	v_lshlrev_b32_e32 v70, 2, v68
	s_load_b32 s34, s[0:1], 0x94
	s_waitcnt lgkmcnt(0)
	s_barrier
	buffer_gl0_inv
	v_add_nc_u32_e32 v98, 0x4000, v70
	v_cmp_eq_u32_e32 vcc_lo, 1, v69
	v_cmp_eq_u32_e64 s2, 2, v69
	v_cmp_eq_u32_e64 s3, 3, v69
	;; [unrolled: 1-line block ×3, first 2 shown]
	ds_load_2addr_b32 v[70:71], v98 offset1:17
	ds_load_2addr_b32 v[72:73], v98 offset0:34 offset1:51
	ds_load_2addr_b32 v[74:75], v98 offset0:68 offset1:85
	;; [unrolled: 1-line block ×3, first 2 shown]
	v_cmp_eq_u32_e64 s5, 5, v69
	v_cmp_eq_u32_e64 s6, 7, v69
	s_waitcnt lgkmcnt(3)
	v_max3_f32 v76, v70, 0xff7fffff, v71
	s_waitcnt lgkmcnt(2)
	s_delay_alu instid0(VALU_DEP_1) | instskip(SKIP_1) | instid1(VALU_DEP_1)
	v_max3_f32 v76, v76, v72, v73
	s_waitcnt lgkmcnt(1)
	v_max3_f32 v76, v76, v74, v75
	s_waitcnt lgkmcnt(0)
	s_delay_alu instid0(VALU_DEP_1) | instskip(NEXT) | instid1(VALU_DEP_1)
	v_max3_f32 v76, v76, v94, v95
	v_sub_f32_e32 v77, v71, v76
	ds_load_2addr_b32 v[96:97], v98 offset0:136 offset1:153
	v_sub_f32_e32 v74, v74, v76
	v_sub_f32_e32 v70, v70, v76
	;; [unrolled: 1-line block ×3, first 2 shown]
	v_dual_sub_f32 v72, v72, v76 :: v_dual_mul_f32 v77, 0x3fb8aa3b, v77
	s_delay_alu instid0(VALU_DEP_4) | instskip(NEXT) | instid1(VALU_DEP_4)
	v_mul_f32_e32 v103, 0x3fb8aa3b, v74
	v_mul_f32_e32 v99, 0x3fb8aa3b, v70
	ds_load_2addr_b32 v[70:71], v98 offset0:170 offset1:187
	v_dual_mul_f32 v101, 0x3fb8aa3b, v72 :: v_dual_mul_f32 v94, 0x3fb8aa3b, v94
	v_exp_f32_e32 v102, v77
	v_exp_f32_e32 v99, v99
	s_delay_alu instid0(VALU_DEP_1) | instskip(NEXT) | instid1(VALU_DEP_1)
	v_exp_f32_e32 v101, v101
	v_exp_f32_e32 v94, v94
	s_waitcnt lgkmcnt(1)
	s_delay_alu instid0(TRANS32_DEP_3)
	v_fma_f32 v77, v99, v96, 0
	v_sub_f32_e32 v100, v73, v76
	ds_load_2addr_b32 v[72:73], v98 offset0:204 offset1:221
	v_fmac_f32_e32 v77, v102, v97
	v_exp_f32_e32 v97, v103
	s_waitcnt lgkmcnt(1)
	s_delay_alu instid0(VALU_DEP_1)
	v_dual_fmac_f32 v77, v101, v70 :: v_dual_sub_f32 v96, v75, v76
	ds_load_2addr_b32 v[74:75], v98 offset0:238 offset1:255
	v_sub_f32_e32 v70, v95, v76
	s_waitcnt lgkmcnt(0)
	s_barrier
	v_mul_f32_e32 v96, 0x3fb8aa3b, v96
	buffer_gl0_inv
	v_exp_f32_e32 v95, v96
	v_mul_f32_e32 v100, 0x3fb8aa3b, v100
	s_delay_alu instid0(VALU_DEP_1) | instskip(SKIP_3) | instid1(VALU_DEP_2)
	v_exp_f32_e32 v100, v100
	s_waitcnt_depctr 0xfff
	v_dual_fmac_f32 v77, v100, v71 :: v_dual_mul_f32 v70, 0x3fb8aa3b, v70
	v_cndmask_b32_e32 v71, v99, v102, vcc_lo
	v_fmac_f32_e32 v77, v97, v72
	s_delay_alu instid0(VALU_DEP_3) | instskip(NEXT) | instid1(VALU_DEP_1)
	v_exp_f32_e32 v96, v70
	v_fmac_f32_e32 v77, v95, v73
	s_delay_alu instid0(VALU_DEP_1) | instskip(SKIP_2) | instid1(VALU_DEP_1)
	v_fmac_f32_e32 v77, v94, v74
	s_waitcnt_depctr 0xfff
	v_fmac_f32_e32 v77, v96, v75
	v_add_f32_e32 v74, 0x358637bd, v77
	s_delay_alu instid0(VALU_DEP_1) | instskip(SKIP_1) | instid1(VALU_DEP_2)
	v_div_scale_f32 v98, null, v74, v74, 1.0
	v_div_scale_f32 v99, vcc_lo, 1.0, v74, 1.0
	v_rcp_f32_e32 v103, v98
	s_waitcnt_depctr 0xfff
	v_fma_f32 v70, -v98, v103, 1.0
	s_delay_alu instid0(VALU_DEP_1) | instskip(SKIP_2) | instid1(VALU_DEP_2)
	v_fmac_f32_e32 v103, v70, v103
	v_cndmask_b32_e64 v70, v71, v101, s2
	v_cmp_eq_u32_e64 s2, 6, v69
	v_cndmask_b32_e64 v71, v70, v100, s3
	s_delay_alu instid0(VALU_DEP_4) | instskip(NEXT) | instid1(VALU_DEP_2)
	v_dual_mul_f32 v101, v99, v103 :: v_dual_lshlrev_b32 v70, 2, v66
	v_cndmask_b32_e64 v71, v71, v97, s4
	s_delay_alu instid0(VALU_DEP_2) | instskip(NEXT) | instid1(VALU_DEP_3)
	v_or_b32_e32 v72, 1, v70
	v_fma_f32 v100, -v98, v101, v99
	v_cmp_eq_u32_e64 s3, 1, v70
	v_cmp_eq_u32_e64 s4, 2, v70
	v_cndmask_b32_e64 v95, v71, v95, s5
	v_or_b32_e32 v71, 3, v70
	v_fmac_f32_e32 v101, v100, v103
	v_cmp_eq_u32_e64 s8, 1, v72
	v_cmp_eq_u32_e64 s11, 2, v72
	v_cndmask_b32_e64 v94, v95, v94, s2
	v_cmp_eq_u32_e64 s10, 1, v71
	v_fma_f32 v97, -v98, v101, v99
	v_cmp_eq_u32_e64 s15, 2, v71
	v_cmp_eq_u32_e64 s12, 3, v72
	v_cndmask_b32_e64 v94, v94, v96, s6
	v_cmp_eq_u32_e64 s17, 3, v71
	v_div_fmas_f32 v95, v97, v103, v101
	v_cmp_eq_u32_e32 vcc_lo, 3, v70
	v_cmp_eq_u32_e64 s2, 4, v70
	v_cmp_eq_u32_e64 s18, 4, v72
	;; [unrolled: 1-line block ×3, first 2 shown]
	v_div_fixup_f32 v95, v95, v74, 1.0
	v_lshlrev_b32_e32 v73, 6, v68
	v_cmp_eq_u32_e64 s5, 5, v70
	v_cmp_eq_u32_e64 s19, 5, v72
	v_cmp_eq_u32_e64 s23, 5, v71
	v_mul_f32_e32 v102, v94, v95
	v_lshl_or_b32 v75, v69, 11, v73
	v_or_b32_e32 v69, 2, v70
	v_cmp_eq_u32_e64 s24, 6, v72
	v_cmp_eq_u32_e64 s26, 6, v71
	v_fma_mixlo_f16 v94, v102, v79, 0
	v_fma_mixlo_f16 v95, v102, v81, 0
	v_fma_mixlo_f16 v96, v102, v83, 0
	v_fma_mixlo_f16 v97, v102, v85, 0
	v_fma_mixlo_f16 v98, v102, v87, 0
	v_fma_mixlo_f16 v99, v102, v89, 0
	v_fma_mixlo_f16 v100, v102, v91, 0
	v_fma_mixlo_f16 v101, v102, v93, 0
	v_lshl_or_b32 v74, v66, 4, v75
	v_fma_mixhi_f16 v94, v102, v78, 0
	v_fma_mixhi_f16 v95, v102, v80, 0
	;; [unrolled: 1-line block ×8, first 2 shown]
	ds_store_b128 v74, v[94:97]
	ds_store_b128 v74, v[98:101] offset:1024
	s_waitcnt lgkmcnt(0)
	s_barrier
	buffer_gl0_inv
	ds_load_b128 v[78:81], v75
	ds_load_b128 v[82:85], v75 offset:16
	ds_load_b128 v[86:89], v75 offset:1024
	;; [unrolled: 1-line block ×3, first 2 shown]
	v_cmp_eq_u32_e64 s9, 1, v69
	v_cmp_eq_u32_e64 s13, 2, v69
	;; [unrolled: 1-line block ×11, first 2 shown]
	s_waitcnt lgkmcnt(3)
	v_lshrrev_b32_e32 v94, 16, v78
	s_waitcnt lgkmcnt(2)
	v_lshrrev_b32_e32 v98, 16, v82
	;; [unrolled: 2-line block ×4, first 2 shown]
	v_lshrrev_b32_e32 v95, 16, v79
	v_cndmask_b32_e64 v110, v78, v94, s3
	v_cndmask_b32_e64 v111, v82, v98, s3
	;; [unrolled: 1-line block ×8, first 2 shown]
	v_lshrrev_b32_e32 v99, 16, v83
	v_cndmask_b32_e64 v94, v86, v102, s3
	v_cndmask_b32_e64 v98, v90, v106, s3
	v_cndmask_b32_e64 v116, v86, v102, s8
	v_cndmask_b32_e64 v117, v90, v106, s8
	v_cndmask_b32_e64 v118, v86, v102, s9
	v_cndmask_b32_e64 v119, v90, v106, s9
	v_cndmask_b32_e64 v86, v86, v102, s10
	v_cndmask_b32_e64 v90, v90, v106, s10
	v_cndmask_b32_e64 v102, v110, v79, s4
	v_cndmask_b32_e64 v106, v111, v83, s4
	v_cndmask_b32_e64 v110, v112, v79, s11
	v_cndmask_b32_e64 v111, v113, v83, s11
	v_cndmask_b32_e64 v112, v114, v79, s13
	v_cndmask_b32_e64 v78, v78, v79, s15
	v_cndmask_b32_e64 v79, v82, v83, s15
	v_lshrrev_b32_e32 v103, 16, v87
	v_lshrrev_b32_e32 v107, 16, v91
	v_cndmask_b32_e64 v113, v115, v83, s13
	v_cndmask_b32_e64 v82, v94, v87, s4
	;; [unrolled: 1-line block ×7, first 2 shown]
	v_cndmask_b32_e32 v90, v102, v95, vcc_lo
	v_cndmask_b32_e32 v102, v106, v99, vcc_lo
	v_cndmask_b32_e64 v106, v110, v95, s12
	v_cndmask_b32_e64 v110, v111, v99, s12
	;; [unrolled: 1-line block ×4, first 2 shown]
	v_lshrrev_b32_e32 v96, 16, v80
	v_lshrrev_b32_e32 v100, 16, v84
	v_cndmask_b32_e64 v111, v112, v95, s16
	v_cndmask_b32_e64 v112, v113, v99, s16
	v_cndmask_b32_e32 v82, v82, v103, vcc_lo
	v_cndmask_b32_e32 v83, v83, v107, vcc_lo
	v_cndmask_b32_e64 v94, v94, v103, s12
	v_cndmask_b32_e64 v90, v90, v80, s2
	;; [unrolled: 1-line block ×7, first 2 shown]
	v_lshrrev_b32_e32 v104, 16, v88
	v_cndmask_b32_e64 v106, v111, v80, s20
	v_cndmask_b32_e64 v110, v112, v84, s20
	;; [unrolled: 1-line block ×11, first 2 shown]
	v_lshrrev_b32_e32 v97, 16, v81
	v_lshrrev_b32_e32 v101, 16, v85
	v_cndmask_b32_e64 v99, v106, v96, s22
	v_cndmask_b32_e64 v102, v110, v100, s22
	;; [unrolled: 1-line block ×7, first 2 shown]
	v_lshrrev_b32_e32 v105, 16, v89
	v_cndmask_b32_e64 v80, v80, v104, s5
	v_cndmask_b32_e64 v84, v84, v81, s6
	;; [unrolled: 1-line block ×16, first 2 shown]
	v_perm_b32 v81, v79, v78, 0x5040100
	v_perm_b32 v79, v95, v85, 0x5040100
	v_cndmask_b32_e64 v78, v119, v91, s13
	v_cndmask_b32_e64 v85, v117, v91, s11
	;; [unrolled: 1-line block ×3, first 2 shown]
	v_perm_b32 v80, v94, v90, 0x5040100
	v_cndmask_b32_e64 v90, v98, v103, s16
	v_cndmask_b32_e64 v86, v86, v103, s17
	;; [unrolled: 1-line block ×5, first 2 shown]
	v_lshrrev_b32_e32 v108, 16, v92
	v_cndmask_b32_e64 v90, v90, v88, s20
	v_cndmask_b32_e64 v86, v86, v88, s21
	;; [unrolled: 1-line block ×11, first 2 shown]
	v_lshrrev_b32_e32 v109, 16, v93
	v_cndmask_b32_e64 v82, v82, v93, s6
	v_cndmask_b32_e64 v88, v88, v89, s25
	;; [unrolled: 1-line block ×12, first 2 shown]
	v_perm_b32 v78, v84, v83, 0x5040100
	v_perm_b32 v85, v87, v86, 0x5040100
	;; [unrolled: 1-line block ×5, first 2 shown]
	s_mul_i32 s7, s33, 14
	s_mov_b32 s2, exec_lo
	ds_store_b128 v74, v[78:81]
	ds_store_b128 v74, v[82:85] offset:1024
	v_cmpx_gt_u32_e32 14, v0
	s_cbranch_execz .LBB1291_14
; %bb.13:
	s_mul_i32 s3, s7, s30
	s_load_b128 s[8:11], s[0:1], 0x58
	v_add3_u32 v68, s3, s31, v68
	s_delay_alu instid0(VALU_DEP_1) | instskip(NEXT) | instid1(VALU_DEP_1)
	v_mad_u64_u32 v[78:79], null, v68, s34, s[14:15]
	v_ashrrev_i32_e32 v79, 31, v78
	s_delay_alu instid0(VALU_DEP_1) | instskip(SKIP_1) | instid1(VALU_DEP_1)
	v_lshlrev_b64 v[78:79], 2, v[78:79]
	s_waitcnt lgkmcnt(0)
	v_add_co_u32 v80, vcc_lo, s10, v78
	s_delay_alu instid0(VALU_DEP_2)
	v_add_co_ci_u32_e32 v81, vcc_lo, s11, v79, vcc_lo
	v_add_co_u32 v78, vcc_lo, s8, v78
	v_add_co_ci_u32_e32 v79, vcc_lo, s9, v79, vcc_lo
	global_store_b32 v[80:81], v76, off
	global_store_b32 v[78:79], v77, off
.LBB1291_14:
	s_or_b32 exec_lo, exec_lo, s2
	s_waitcnt lgkmcnt(0)
	s_waitcnt_vscnt null, 0x0
	s_barrier
	buffer_gl0_inv
	ds_load_b128 v[84:87], v73
	ds_load_b128 v[88:91], v73 offset:16
	ds_load_b128 v[96:99], v73 offset:2064
	;; [unrolled: 1-line block ×5, first 2 shown]
	v_cmp_eq_u32_e32 vcc_lo, 1, v70
	v_mov_b32_e32 v76, 0
	ds_load_b128 v[112:115], v73 offset:6160
	ds_load_b128 v[108:111], v73 offset:6144
	;; [unrolled: 1-line block ×4, first 2 shown]
	v_cmp_eq_u32_e64 s3, 1, v69
	v_cmp_eq_u32_e64 s2, 1, v72
	;; [unrolled: 1-line block ×3, first 2 shown]
	v_mov_b32_e32 v77, v76
	v_mov_b32_e32 v78, v76
	;; [unrolled: 1-line block ×7, first 2 shown]
	v_cmp_eq_u32_e64 s5, 3, v72
	v_cmp_eq_u32_e64 s6, 7, v72
	s_waitcnt lgkmcnt(8)
	s_delay_alu instid0(VALU_DEP_3)
	v_wmma_f32_16x16x16_f16 v[76:83], v[49:56], v[84:91], v[76:83]
	ds_load_b128 v[53:56], v73 offset:10256
	ds_load_b128 v[49:52], v73 offset:10240
	s_waitcnt lgkmcnt(8)
	v_wmma_f32_16x16x16_f16 v[76:83], v[41:48], v[92:99], v[76:83]
	ds_load_b128 v[45:48], v73 offset:12304
	ds_load_b128 v[41:44], v73 offset:12288
	s_waitcnt lgkmcnt(8)
	v_wmma_f32_16x16x16_f16 v[76:83], v[33:40], v[100:107], v[76:83]
	ds_load_b128 v[37:40], v73 offset:14352
	ds_load_b128 v[33:36], v73 offset:14336
	s_waitcnt lgkmcnt(0)
	s_barrier
	buffer_gl0_inv
	v_wmma_f32_16x16x16_f16 v[76:83], v[1:8], v[108:115], v[76:83]
	s_delay_alu instid0(VALU_DEP_1) | instskip(NEXT) | instid1(VALU_DEP_1)
	v_wmma_f32_16x16x16_f16 v[76:83], v[9:16], v[116:123], v[76:83]
	v_wmma_f32_16x16x16_f16 v[76:83], v[17:24], v[49:56], v[76:83]
	s_delay_alu instid0(VALU_DEP_1) | instskip(NEXT) | instid1(VALU_DEP_1)
	v_wmma_f32_16x16x16_f16 v[76:83], v[25:32], v[41:48], v[76:83]
	v_wmma_f32_16x16x16_f16 v[76:83], v[57:64], v[33:40], v[76:83]
	s_delay_alu instid0(VALU_DEP_1) | instskip(NEXT) | instid1(VALU_DEP_2)
	v_cvt_f16_f32_e32 v1, v76
	v_cvt_f16_f32_e32 v2, v77
	s_delay_alu instid0(VALU_DEP_3) | instskip(NEXT) | instid1(VALU_DEP_4)
	v_cvt_f16_f32_e32 v3, v78
	v_cvt_f16_f32_e32 v4, v79
	;; [unrolled: 1-line block ×6, first 2 shown]
	v_pack_b32_f16 v1, v1, v2
	v_pack_b32_f16 v2, v3, v4
	;; [unrolled: 1-line block ×3, first 2 shown]
	s_delay_alu instid0(VALU_DEP_4)
	v_pack_b32_f16 v4, v7, v8
	ds_store_b128 v74, v[1:4]
	s_waitcnt lgkmcnt(0)
	s_barrier
	buffer_gl0_inv
	ds_load_b128 v[1:4], v75
	ds_load_b128 v[5:8], v75 offset:16
	s_waitcnt lgkmcnt(1)
	v_lshrrev_b32_e32 v9, 16, v1
	s_waitcnt lgkmcnt(0)
	v_lshrrev_b32_e32 v13, 16, v5
	v_lshrrev_b32_e32 v10, 16, v2
	v_lshrrev_b32_e32 v14, 16, v6
	v_lshrrev_b32_e32 v11, 16, v3
	v_cndmask_b32_e32 v17, v1, v9, vcc_lo
	v_cndmask_b32_e32 v18, v5, v13, vcc_lo
	v_cndmask_b32_e64 v21, v1, v9, s3
	v_cmp_eq_u32_e32 vcc_lo, 1, v71
	v_cndmask_b32_e64 v22, v5, v13, s3
	v_cmp_eq_u32_e64 s3, 2, v70
	v_cndmask_b32_e64 v19, v1, v9, s2
	v_cndmask_b32_e64 v20, v5, v13, s2
	v_cndmask_b32_e32 v1, v1, v9, vcc_lo
	v_cmp_eq_u32_e64 s2, 2, v71
	v_cndmask_b32_e32 v5, v5, v13, vcc_lo
	v_cndmask_b32_e64 v9, v17, v2, s3
	v_cmp_eq_u32_e32 vcc_lo, 3, v70
	v_cndmask_b32_e64 v13, v18, v6, s3
	v_cmp_eq_u32_e64 s3, 2, v69
	v_cndmask_b32_e64 v17, v19, v2, s4
	v_cndmask_b32_e64 v18, v20, v6, s4
	v_cmp_eq_u32_e64 s4, 3, v69
	v_cndmask_b32_e64 v1, v1, v2, s2
	v_cndmask_b32_e64 v19, v21, v2, s3
	;; [unrolled: 1-line block ×4, first 2 shown]
	v_cndmask_b32_e32 v5, v9, v10, vcc_lo
	v_cndmask_b32_e32 v6, v13, v14, vcc_lo
	v_cmp_eq_u32_e32 vcc_lo, 3, v71
	v_cndmask_b32_e64 v9, v17, v10, s5
	v_cndmask_b32_e64 v13, v18, v14, s5
	;; [unrolled: 1-line block ×3, first 2 shown]
	v_cmp_eq_u32_e64 s3, 4, v70
	v_cndmask_b32_e32 v1, v1, v10, vcc_lo
	v_cndmask_b32_e32 v2, v2, v14, vcc_lo
	v_cmp_eq_u32_e32 vcc_lo, 4, v72
	v_lshrrev_b32_e32 v15, 16, v7
	v_lshrrev_b32_e32 v16, 16, v8
	v_cndmask_b32_e64 v17, v19, v10, s4
	v_cmp_eq_u32_e64 s2, 4, v71
	v_cndmask_b32_e64 v5, v5, v3, s3
	v_cndmask_b32_e64 v6, v6, v7, s3
	v_cndmask_b32_e32 v9, v9, v3, vcc_lo
	v_cmp_eq_u32_e64 s3, 5, v72
	v_cndmask_b32_e32 v10, v13, v7, vcc_lo
	v_cmp_eq_u32_e32 vcc_lo, 4, v69
	v_cmp_eq_u32_e64 s4, 5, v70
	v_cndmask_b32_e64 v2, v2, v7, s2
	v_cndmask_b32_e64 v9, v9, v11, s3
	;; [unrolled: 1-line block ×3, first 2 shown]
	v_cndmask_b32_e32 v13, v17, v3, vcc_lo
	v_cmp_eq_u32_e64 s3, 5, v69
	v_cndmask_b32_e32 v14, v18, v7, vcc_lo
	v_cndmask_b32_e64 v1, v1, v3, s2
	v_cmp_eq_u32_e32 vcc_lo, 5, v71
	v_lshrrev_b32_e32 v12, 16, v4
	v_cndmask_b32_e64 v13, v13, v11, s3
	v_cndmask_b32_e64 v3, v14, v15, s3
	v_cmp_eq_u32_e64 s3, 6, v71
	v_cndmask_b32_e32 v1, v1, v11, vcc_lo
	v_cndmask_b32_e64 v5, v5, v11, s4
	v_cmp_eq_u32_e64 s5, 6, v70
	v_cndmask_b32_e64 v6, v6, v15, s4
	v_cmp_eq_u32_e64 s4, 6, v72
	v_cmp_eq_u32_e64 s2, 6, v69
	v_cndmask_b32_e64 v1, v1, v4, s3
	v_cndmask_b32_e32 v2, v2, v15, vcc_lo
	v_cmp_eq_u32_e32 vcc_lo, 7, v71
	v_cndmask_b32_e64 v5, v5, v4, s5
	v_cndmask_b32_e64 v9, v9, v4, s4
	;; [unrolled: 1-line block ×3, first 2 shown]
	v_cmp_eq_u32_e64 s5, 7, v70
	v_cndmask_b32_e32 v1, v1, v12, vcc_lo
	v_cndmask_b32_e64 v7, v13, v4, s2
	v_cndmask_b32_e64 v3, v3, v8, s2
	;; [unrolled: 1-line block ×3, first 2 shown]
	v_cmp_eq_u32_e64 s2, 7, v69
	v_cndmask_b32_e64 v4, v10, v8, s4
	v_cndmask_b32_e64 v5, v5, v12, s5
	;; [unrolled: 1-line block ×3, first 2 shown]
	v_cndmask_b32_e32 v2, v2, v16, vcc_lo
	v_cndmask_b32_e64 v7, v7, v12, s2
	v_cndmask_b32_e64 v3, v3, v16, s2
	;; [unrolled: 1-line block ×4, first 2 shown]
	v_perm_b32 v4, v2, v1, 0x5040100
	s_mov_b32 s2, exec_lo
	v_perm_b32 v3, v3, v7, 0x5040100
	v_perm_b32 v2, v8, v9, 0x5040100
	;; [unrolled: 1-line block ×3, first 2 shown]
	ds_store_b128 v74, v[1:4]
	s_waitcnt lgkmcnt(0)
	s_barrier
	buffer_gl0_inv
	v_cmpx_gt_u32_e32 32, v0
	s_cbranch_execz .LBB1291_2
; %bb.15:
	s_load_b64 s[0:1], s[0:1], 0x68
	v_lshlrev_b32_e32 v0, 10, v0
	s_lshl_b32 s4, s34, 7
	v_or_b32_e32 v3, s31, v66
	s_mul_i32 s2, s4, s30
	v_lshlrev_b32_e32 v1, 4, v67
	v_lshlrev_b32_e32 v2, 6, v66
	v_and_b32_e32 v0, 0x3800, v0
	s_mul_i32 s2, s2, s7
	v_mul_lo_u32 v8, v3, s4
	s_ashr_i32 s3, s2, 31
	s_delay_alu instid0(SALU_CYCLE_1)
	s_lshl_b64 s[2:3], s[2:3], 1
	v_or3_b32 v16, v0, v1, v2
	ds_load_b128 v[0:3], v16
	ds_load_b128 v[4:7], v16 offset:128
	v_ashrrev_i32_e32 v9, 31, v8
	s_waitcnt lgkmcnt(0)
	s_add_u32 s2, s0, s2
	s_addc_u32 s3, s1, s3
	s_lshl_b32 s0, s14, 7
	s_delay_alu instid0(SALU_CYCLE_1) | instskip(SKIP_2) | instid1(SALU_CYCLE_1)
	s_ashr_i32 s1, s0, 31
	v_lshlrev_b64 v[9:10], 1, v[8:9]
	s_lshl_b64 s[0:1], s[0:1], 1
	s_add_u32 s0, s2, s0
	s_addc_u32 s1, s3, s1
	s_lshl_b32 s2, s34, 8
	v_add_co_u32 v30, s0, s0, v65
	v_add_nc_u32_e32 v11, s2, v8
	v_add_co_ci_u32_e64 v31, null, s1, 0, s0
	s_delay_alu instid0(VALU_DEP_3) | instskip(NEXT) | instid1(VALU_DEP_3)
	v_add_co_u32 v9, vcc_lo, v30, v9
	v_add_nc_u32_e32 v8, s2, v11
	s_delay_alu instid0(VALU_DEP_3) | instskip(SKIP_1) | instid1(VALU_DEP_3)
	v_add_co_ci_u32_e32 v10, vcc_lo, v31, v10, vcc_lo
	v_ashrrev_i32_e32 v12, 31, v11
	v_add_nc_u32_e32 v13, s2, v8
	global_store_b128 v[9:10], v[0:3], off
	v_ashrrev_i32_e32 v9, 31, v8
	v_lshlrev_b64 v[11:12], 1, v[11:12]
	v_ashrrev_i32_e32 v14, 31, v13
	v_add_nc_u32_e32 v10, s2, v13
	s_delay_alu instid0(VALU_DEP_4) | instskip(NEXT) | instid1(VALU_DEP_4)
	v_lshlrev_b64 v[2:3], 1, v[8:9]
	v_add_co_u32 v0, vcc_lo, v30, v11
	s_delay_alu instid0(VALU_DEP_4)
	v_lshlrev_b64 v[8:9], 1, v[13:14]
	v_add_co_ci_u32_e32 v1, vcc_lo, v31, v12, vcc_lo
	v_ashrrev_i32_e32 v11, 31, v10
	v_add_co_u32 v22, vcc_lo, v30, v2
	v_add_nc_u32_e32 v20, s2, v10
	v_add_co_ci_u32_e32 v23, vcc_lo, v31, v3, vcc_lo
	v_add_co_u32 v24, vcc_lo, v30, v8
	global_store_b128 v[0:1], v[4:7], off
	v_add_co_ci_u32_e32 v25, vcc_lo, v31, v9, vcc_lo
	ds_load_b128 v[0:3], v16 offset:256
	ds_load_b128 v[4:7], v16 offset:384
	v_lshlrev_b64 v[26:27], 1, v[10:11]
	ds_load_b128 v[8:11], v16 offset:512
	ds_load_b128 v[12:15], v16 offset:640
	;; [unrolled: 1-line block ×3, first 2 shown]
	v_add_nc_u32_e32 v28, s2, v20
	v_ashrrev_i32_e32 v21, 31, v20
	v_add_co_u32 v26, vcc_lo, v30, v26
	s_delay_alu instid0(VALU_DEP_3) | instskip(NEXT) | instid1(VALU_DEP_3)
	v_ashrrev_i32_e32 v29, 31, v28
	v_lshlrev_b64 v[20:21], 1, v[20:21]
	v_add_co_ci_u32_e32 v27, vcc_lo, v31, v27, vcc_lo
	s_delay_alu instid0(VALU_DEP_3) | instskip(NEXT) | instid1(VALU_DEP_3)
	v_lshlrev_b64 v[28:29], 1, v[28:29]
	v_add_co_u32 v20, vcc_lo, v30, v20
	s_delay_alu instid0(VALU_DEP_4) | instskip(NEXT) | instid1(VALU_DEP_3)
	v_add_co_ci_u32_e32 v21, vcc_lo, v31, v21, vcc_lo
	v_add_co_u32 v28, vcc_lo, v30, v28
	s_delay_alu instid0(VALU_DEP_4)
	v_add_co_ci_u32_e32 v29, vcc_lo, v31, v29, vcc_lo
	s_waitcnt lgkmcnt(4)
	global_store_b128 v[22:23], v[0:3], off
	s_waitcnt lgkmcnt(3)
	global_store_b128 v[24:25], v[4:7], off
	;; [unrolled: 2-line block ×5, first 2 shown]
	s_nop 0
	s_sendmsg sendmsg(MSG_DEALLOC_VGPRS)
	s_endpgm
	.section	.rodata,"a",@progbits
	.p2align	6, 0x0
	.amdhsa_kernel _Z39paged_attention_ll4mi_QKV_mfma16_kernelIDF16_hLN4vllm18Fp8KVCacheDataTypeE1EhLi32ELi128ELi256ELb1ELi14EL8MFMAType0EEvPKT_PKT0_S8_ifPKiSA_SA_iPKfiiiPfSD_PS3_PT2_iSC_SC_
		.amdhsa_group_segment_fixed_size 17472
		.amdhsa_private_segment_fixed_size 0
		.amdhsa_kernarg_size 400
		.amdhsa_user_sgpr_count 13
		.amdhsa_user_sgpr_dispatch_ptr 0
		.amdhsa_user_sgpr_queue_ptr 0
		.amdhsa_user_sgpr_kernarg_segment_ptr 1
		.amdhsa_user_sgpr_dispatch_id 0
		.amdhsa_user_sgpr_private_segment_size 0
		.amdhsa_wavefront_size32 1
		.amdhsa_uses_dynamic_stack 0
		.amdhsa_enable_private_segment 0
		.amdhsa_system_sgpr_workgroup_id_x 1
		.amdhsa_system_sgpr_workgroup_id_y 1
		.amdhsa_system_sgpr_workgroup_id_z 1
		.amdhsa_system_sgpr_workgroup_info 0
		.amdhsa_system_vgpr_workitem_id 0
		.amdhsa_next_free_vgpr 150
		.amdhsa_next_free_sgpr 37
		.amdhsa_reserve_vcc 1
		.amdhsa_float_round_mode_32 0
		.amdhsa_float_round_mode_16_64 0
		.amdhsa_float_denorm_mode_32 3
		.amdhsa_float_denorm_mode_16_64 3
		.amdhsa_dx10_clamp 1
		.amdhsa_ieee_mode 1
		.amdhsa_fp16_overflow 0
		.amdhsa_workgroup_processor_mode 1
		.amdhsa_memory_ordered 1
		.amdhsa_forward_progress 0
		.amdhsa_shared_vgpr_count 0
		.amdhsa_exception_fp_ieee_invalid_op 0
		.amdhsa_exception_fp_denorm_src 0
		.amdhsa_exception_fp_ieee_div_zero 0
		.amdhsa_exception_fp_ieee_overflow 0
		.amdhsa_exception_fp_ieee_underflow 0
		.amdhsa_exception_fp_ieee_inexact 0
		.amdhsa_exception_int_div_zero 0
	.end_amdhsa_kernel
	.section	.text._Z39paged_attention_ll4mi_QKV_mfma16_kernelIDF16_hLN4vllm18Fp8KVCacheDataTypeE1EhLi32ELi128ELi256ELb1ELi14EL8MFMAType0EEvPKT_PKT0_S8_ifPKiSA_SA_iPKfiiiPfSD_PS3_PT2_iSC_SC_,"axG",@progbits,_Z39paged_attention_ll4mi_QKV_mfma16_kernelIDF16_hLN4vllm18Fp8KVCacheDataTypeE1EhLi32ELi128ELi256ELb1ELi14EL8MFMAType0EEvPKT_PKT0_S8_ifPKiSA_SA_iPKfiiiPfSD_PS3_PT2_iSC_SC_,comdat
.Lfunc_end1291:
	.size	_Z39paged_attention_ll4mi_QKV_mfma16_kernelIDF16_hLN4vllm18Fp8KVCacheDataTypeE1EhLi32ELi128ELi256ELb1ELi14EL8MFMAType0EEvPKT_PKT0_S8_ifPKiSA_SA_iPKfiiiPfSD_PS3_PT2_iSC_SC_, .Lfunc_end1291-_Z39paged_attention_ll4mi_QKV_mfma16_kernelIDF16_hLN4vllm18Fp8KVCacheDataTypeE1EhLi32ELi128ELi256ELb1ELi14EL8MFMAType0EEvPKT_PKT0_S8_ifPKiSA_SA_iPKfiiiPfSD_PS3_PT2_iSC_SC_
                                        ; -- End function
	.section	.AMDGPU.csdata,"",@progbits
; Kernel info:
; codeLenInByte = 6808
; NumSgprs: 39
; NumVgprs: 150
; ScratchSize: 0
; MemoryBound: 0
; FloatMode: 240
; IeeeMode: 1
; LDSByteSize: 17472 bytes/workgroup (compile time only)
; SGPRBlocks: 4
; VGPRBlocks: 18
; NumSGPRsForWavesPerEU: 39
; NumVGPRsForWavesPerEU: 150
; Occupancy: 9
; WaveLimiterHint : 1
; COMPUTE_PGM_RSRC2:SCRATCH_EN: 0
; COMPUTE_PGM_RSRC2:USER_SGPR: 13
; COMPUTE_PGM_RSRC2:TRAP_HANDLER: 0
; COMPUTE_PGM_RSRC2:TGID_X_EN: 1
; COMPUTE_PGM_RSRC2:TGID_Y_EN: 1
; COMPUTE_PGM_RSRC2:TGID_Z_EN: 1
; COMPUTE_PGM_RSRC2:TIDIG_COMP_CNT: 0
	.section	.text._Z39paged_attention_ll4mi_QKV_mfma16_kernelIDF16_hLN4vllm18Fp8KVCacheDataTypeE1EhLi32ELi128ELi256ELb1ELi15EL8MFMAType0EEvPKT_PKT0_S8_ifPKiSA_SA_iPKfiiiPfSD_PS3_PT2_iSC_SC_,"axG",@progbits,_Z39paged_attention_ll4mi_QKV_mfma16_kernelIDF16_hLN4vllm18Fp8KVCacheDataTypeE1EhLi32ELi128ELi256ELb1ELi15EL8MFMAType0EEvPKT_PKT0_S8_ifPKiSA_SA_iPKfiiiPfSD_PS3_PT2_iSC_SC_,comdat
	.protected	_Z39paged_attention_ll4mi_QKV_mfma16_kernelIDF16_hLN4vllm18Fp8KVCacheDataTypeE1EhLi32ELi128ELi256ELb1ELi15EL8MFMAType0EEvPKT_PKT0_S8_ifPKiSA_SA_iPKfiiiPfSD_PS3_PT2_iSC_SC_ ; -- Begin function _Z39paged_attention_ll4mi_QKV_mfma16_kernelIDF16_hLN4vllm18Fp8KVCacheDataTypeE1EhLi32ELi128ELi256ELb1ELi15EL8MFMAType0EEvPKT_PKT0_S8_ifPKiSA_SA_iPKfiiiPfSD_PS3_PT2_iSC_SC_
	.globl	_Z39paged_attention_ll4mi_QKV_mfma16_kernelIDF16_hLN4vllm18Fp8KVCacheDataTypeE1EhLi32ELi128ELi256ELb1ELi15EL8MFMAType0EEvPKT_PKT0_S8_ifPKiSA_SA_iPKfiiiPfSD_PS3_PT2_iSC_SC_
	.p2align	8
	.type	_Z39paged_attention_ll4mi_QKV_mfma16_kernelIDF16_hLN4vllm18Fp8KVCacheDataTypeE1EhLi32ELi128ELi256ELb1ELi15EL8MFMAType0EEvPKT_PKT0_S8_ifPKiSA_SA_iPKfiiiPfSD_PS3_PT2_iSC_SC_,@function
_Z39paged_attention_ll4mi_QKV_mfma16_kernelIDF16_hLN4vllm18Fp8KVCacheDataTypeE1EhLi32ELi128ELi256ELb1ELi15EL8MFMAType0EEvPKT_PKT0_S8_ifPKiSA_SA_iPKfiiiPfSD_PS3_PT2_iSC_SC_: ; @_Z39paged_attention_ll4mi_QKV_mfma16_kernelIDF16_hLN4vllm18Fp8KVCacheDataTypeE1EhLi32ELi128ELi256ELb1ELi15EL8MFMAType0EEvPKT_PKT0_S8_ifPKiSA_SA_iPKfiiiPfSD_PS3_PT2_iSC_SC_
; %bb.0:
	s_load_b64 s[4:5], s[0:1], 0x30
	s_mov_b32 s34, s13
	s_waitcnt lgkmcnt(0)
	s_cmp_lg_u64 s[4:5], 0
	s_cselect_b32 s8, -1, 0
	s_ashr_i32 s35, s13, 31
	s_cmp_eq_u64 s[4:5], 0
	s_cbranch_scc1 .LBB1292_3
; %bb.1:
	s_lshl_b64 s[2:3], s[34:35], 2
	s_delay_alu instid0(SALU_CYCLE_1) | instskip(SKIP_4) | instid1(SALU_CYCLE_1)
	s_add_u32 s2, s4, s2
	s_addc_u32 s3, s5, s3
	s_load_b64 s[2:3], s[2:3], 0x0
	s_waitcnt lgkmcnt(0)
	s_sub_i32 s2, s3, s2
	s_cmp_eq_u32 s2, 1
	s_cselect_b32 s2, -1, 0
	s_delay_alu instid0(SALU_CYCLE_1)
	s_and_not1_b32 vcc_lo, exec_lo, s2
	s_cbranch_vccz .LBB1292_4
.LBB1292_2:
	s_nop 0
	s_sendmsg sendmsg(MSG_DEALLOC_VGPRS)
	s_endpgm
.LBB1292_3:
.LBB1292_4:
	s_load_b64 s[2:3], s[0:1], 0x28
	s_lshl_b64 s[6:7], s[34:35], 2
	s_waitcnt lgkmcnt(0)
	s_add_u32 s2, s2, s6
	s_addc_u32 s3, s3, s7
	s_lshl_b32 s12, s14, 8
	s_load_b32 s24, s[2:3], 0x0
	s_waitcnt lgkmcnt(0)
	s_cmp_ge_i32 s12, s24
	s_cbranch_scc1 .LBB1292_2
; %bb.5:
	s_clause 0x1
	s_load_b128 s[20:23], s[0:1], 0x8
	s_load_b64 s[2:3], s[0:1], 0x20
	s_and_not1_b32 vcc_lo, exec_lo, s8
	s_cbranch_vccnz .LBB1292_7
; %bb.6:
	s_add_u32 s4, s4, s6
	s_addc_u32 s5, s5, s7
	s_load_b32 s5, s[4:5], 0x0
	s_branch .LBB1292_8
.LBB1292_7:
	s_mov_b32 s5, s34
.LBB1292_8:
	s_load_b128 s[16:19], s[0:1], 0x48
	v_and_b32_e32 v68, 15, v0
	v_lshrrev_b32_e32 v69, 5, v0
	v_bfe_u32 v66, v0, 4, 1
	v_and_b32_e32 v70, 31, v0
	v_and_b32_e32 v67, 1, v0
	v_lshlrev_b32_e32 v2, 3, v68
	s_mul_i32 s31, s15, 15
	v_lshl_or_b32 v1, v69, 1, v66
	s_mov_b32 s4, exec_lo
	s_delay_alu instid0(VALU_DEP_2) | instskip(NEXT) | instid1(VALU_DEP_2)
	v_lshlrev_b32_e32 v65, 1, v2
	v_cmpx_gt_u32_e32 15, v1
	s_cbranch_execz .LBB1292_10
; %bb.9:
	s_load_b64 s[6:7], s[0:1], 0x0
	v_add_lshl_u32 v2, v1, s31, 7
	s_waitcnt lgkmcnt(0)
	s_mul_hi_i32 s9, s5, s16
	s_mul_i32 s8, s5, s16
	v_lshlrev_b32_e32 v6, 10, v68
	s_lshl_b64 s[8:9], s[8:9], 1
	v_ashrrev_i32_e32 v3, 31, v2
	v_lshlrev_b32_e32 v1, 6, v1
	v_lshlrev_b32_e32 v7, 10, v67
	v_and_b32_e32 v6, 0x3800, v6
	s_delay_alu instid0(VALU_DEP_4) | instskip(NEXT) | instid1(VALU_DEP_2)
	v_lshlrev_b64 v[2:3], 1, v[2:3]
	v_or3_b32 v1, v6, v7, v1
	s_add_u32 s5, s6, s8
	s_addc_u32 s6, s7, s9
	s_delay_alu instid0(VALU_DEP_2) | instskip(NEXT) | instid1(VALU_DEP_3)
	v_add_co_u32 v2, vcc_lo, s5, v2
	v_add_co_ci_u32_e32 v3, vcc_lo, s6, v3, vcc_lo
	s_delay_alu instid0(VALU_DEP_2) | instskip(NEXT) | instid1(VALU_DEP_2)
	v_add_co_u32 v2, vcc_lo, v2, v65
	v_add_co_ci_u32_e32 v3, vcc_lo, 0, v3, vcc_lo
	global_load_b128 v[2:5], v[2:3], off
	s_waitcnt vmcnt(0)
	ds_store_b128 v1, v[2:5]
.LBB1292_10:
	s_or_b32 exec_lo, exec_lo, s4
	v_and_b32_e32 v1, 0xef, v0
	s_waitcnt lgkmcnt(0)
	s_add_i32 s5, s24, 31
	s_clause 0x1
	s_load_b32 s4, s[0:1], 0x38
	s_load_b32 s33, s[0:1], 0x98
	s_ashr_i32 s6, s5, 31
	v_add_nc_u32_e32 v1, s12, v1
	s_lshr_b32 s6, s6, 27
	s_load_b32 s19, s[0:1], 0x1c
	s_add_i32 s5, s5, s6
	s_waitcnt lgkmcnt(0)
	v_ashrrev_i32_e32 v2, 31, v1
	v_or_b32_e32 v3, 16, v1
	s_ashr_i32 s13, s5, 5
	v_cmp_gt_i32_e32 vcc_lo, s24, v1
	s_add_i32 s13, s13, -1
	v_lshrrev_b32_e32 v2, 27, v2
	s_barrier
	buffer_gl0_inv
	s_mul_i32 s15, s15, s18
	v_add_nc_u32_e32 v4, v1, v2
	s_mul_i32 s4, s34, s4
	s_delay_alu instid0(SALU_CYCLE_1) | instskip(NEXT) | instid1(VALU_DEP_1)
	s_ashr_i32 s5, s4, 31
	v_ashrrev_i32_e32 v4, 5, v4
	v_add_nc_u32_e32 v2, v3, v2
	s_lshl_b64 s[4:5], s[4:5], 2
	s_delay_alu instid0(SALU_CYCLE_1) | instskip(NEXT) | instid1(VALU_DEP_2)
	s_add_u32 s16, s2, s4
	v_cndmask_b32_e32 v1, s13, v4, vcc_lo
	s_delay_alu instid0(VALU_DEP_2)
	v_ashrrev_i32_e32 v2, 5, v2
	v_cmp_gt_i32_e32 vcc_lo, s24, v3
	s_addc_u32 s25, s3, s5
	s_ashr_i32 s18, s15, 31
	s_add_u32 s2, s20, s15
	s_addc_u32 s3, s21, s18
	v_cndmask_b32_e32 v3, s13, v2, vcc_lo
	v_ashrrev_i32_e32 v2, 31, v1
	s_lshl_b32 s4, s14, 3
	s_delay_alu instid0(SALU_CYCLE_1) | instskip(NEXT) | instid1(VALU_DEP_2)
	s_ashr_i32 s5, s4, 31
	v_ashrrev_i32_e32 v4, 31, v3
	s_delay_alu instid0(VALU_DEP_2) | instskip(SKIP_1) | instid1(SALU_CYCLE_1)
	v_lshlrev_b64 v[1:2], 2, v[1:2]
	s_lshl_b64 s[4:5], s[4:5], 2
	s_add_u32 s4, s16, s4
	s_delay_alu instid0(VALU_DEP_2) | instskip(SKIP_1) | instid1(VALU_DEP_2)
	v_lshlrev_b64 v[3:4], 2, v[3:4]
	s_addc_u32 s5, s25, s5
	v_add_co_u32 v1, vcc_lo, s16, v1
	v_add_co_ci_u32_e32 v2, vcc_lo, s25, v2, vcc_lo
	s_delay_alu instid0(VALU_DEP_3) | instskip(NEXT) | instid1(VALU_DEP_4)
	v_add_co_u32 v3, vcc_lo, s16, v3
	v_add_co_ci_u32_e32 v4, vcc_lo, s25, v4, vcc_lo
	s_clause 0x1
	global_load_b32 v5, v[1:2], off
	global_load_b32 v6, v[3:4], off
	s_or_b32 s6, s12, 32
	s_delay_alu instid0(SALU_CYCLE_1) | instskip(SKIP_2) | instid1(SALU_CYCLE_1)
	s_ashr_i32 s7, s6, 5
	s_cmp_lt_i32 s6, s24
	s_cselect_b32 s6, s7, s13
	s_ashr_i32 s7, s6, 31
	s_delay_alu instid0(SALU_CYCLE_1) | instskip(NEXT) | instid1(SALU_CYCLE_1)
	s_lshl_b64 s[6:7], s[6:7], 2
	s_add_u32 s6, s16, s6
	s_addc_u32 s7, s25, s7
	s_or_b32 s8, s12, 64
	s_delay_alu instid0(SALU_CYCLE_1) | instskip(SKIP_2) | instid1(SALU_CYCLE_1)
	s_ashr_i32 s9, s8, 5
	s_cmp_lt_i32 s8, s24
	s_cselect_b32 s8, s9, s13
	s_ashr_i32 s9, s8, 31
	s_delay_alu instid0(SALU_CYCLE_1) | instskip(NEXT) | instid1(SALU_CYCLE_1)
	s_lshl_b64 s[8:9], s[8:9], 2
	s_add_u32 s8, s16, s8
	s_addc_u32 s9, s25, s9
	;; [unrolled: 10-line block ×5, first 2 shown]
	s_clause 0x5
	s_load_b32 s28, s[4:5], 0x0
	s_load_b32 s29, s[6:7], 0x0
	;; [unrolled: 1-line block ×6, first 2 shown]
	s_mov_b32 s4, 0
	s_delay_alu instid0(SALU_CYCLE_1)
	s_mov_b32 s5, s4
	s_mov_b32 s6, s4
	;; [unrolled: 1-line block ×7, first 2 shown]
	s_delay_alu instid0(SALU_CYCLE_1)
	v_dual_mov_b32 v118, s11 :: v_dual_mov_b32 v117, s10
	v_dual_mov_b32 v116, s9 :: v_dual_mov_b32 v115, s8
	v_mov_b32_e32 v113, s6
	v_dual_mov_b32 v111, s4 :: v_dual_mov_b32 v114, s7
	v_mov_b32_e32 v112, s5
	s_waitcnt vmcnt(1)
	v_mad_i64_i32 v[1:2], null, v5, s17, s[2:3]
	v_lshlrev_b32_e32 v5, 4, v68
	s_waitcnt vmcnt(0)
	v_mad_i64_i32 v[3:4], null, v6, s17, s[2:3]
	s_or_b32 s2, s12, 0xc0
	s_delay_alu instid0(SALU_CYCLE_1) | instskip(NEXT) | instid1(VALU_DEP_3)
	s_ashr_i32 s3, s2, 5
	v_add_co_u32 v1, vcc_lo, v1, v5
	s_delay_alu instid0(VALU_DEP_4) | instskip(NEXT) | instid1(VALU_DEP_3)
	v_add_co_ci_u32_e32 v2, vcc_lo, 0, v2, vcc_lo
	v_add_co_u32 v3, vcc_lo, v3, v5
	s_delay_alu instid0(VALU_DEP_4)
	v_add_co_ci_u32_e32 v4, vcc_lo, 0, v4, vcc_lo
	s_clause 0xf
	global_load_b128 v[17:20], v[1:2], off
	global_load_b128 v[21:24], v[1:2], off offset:512
	global_load_b128 v[25:28], v[3:4], off offset:256
	;; [unrolled: 1-line block ×15, first 2 shown]
	s_cmp_lt_i32 s2, s24
	v_cmp_ne_u32_e32 vcc_lo, 15, v68
	s_cselect_b32 s2, s3, s13
	v_lshlrev_b32_e32 v2, 5, v68
	s_ashr_i32 s3, s2, 31
	s_delay_alu instid0(SALU_CYCLE_1) | instskip(SKIP_4) | instid1(SALU_CYCLE_1)
	s_lshl_b64 s[2:3], s[2:3], 2
	v_cndmask_b32_e32 v1, 0, v68, vcc_lo
	s_add_u32 s2, s16, s2
	s_addc_u32 s3, s25, s3
	s_or_b32 s20, s12, 0xe0
	s_ashr_i32 s21, s20, 5
	s_cmp_lt_i32 s20, s24
	v_lshlrev_b32_e32 v149, 6, v1
	s_cselect_b32 s20, s21, s13
	v_lshl_or_b32 v1, v69, 9, v2
	s_ashr_i32 s21, s20, 31
	ds_load_b128 v[119:122], v149
	ds_load_b128 v[123:126], v149 offset:1024
	s_lshl_b64 s[4:5], s[20:21], 2
	ds_load_b128 v[127:130], v149 offset:2048
	ds_load_b128 v[131:134], v149 offset:3072
	s_add_u32 s4, s16, s4
	s_addc_u32 s5, s25, s5
	s_clause 0x1
	s_load_b32 s2, s[2:3], 0x0
	s_load_b32 s3, s[4:5], 0x0
	s_add_u32 s6, s22, s15
	s_addc_u32 s7, s23, s18
	v_add_co_u32 v135, s6, s6, v1
	s_delay_alu instid0(VALU_DEP_1) | instskip(SKIP_1) | instid1(VALU_DEP_1)
	v_add_co_ci_u32_e64 v136, null, s7, 0, s6
	s_waitcnt lgkmcnt(0)
	v_mad_i64_i32 v[1:2], null, s28, s17, v[135:136]
	v_mad_i64_i32 v[3:4], null, s29, s17, v[135:136]
	;; [unrolled: 1-line block ×6, first 2 shown]
	s_clause 0x9
	global_load_b128 v[49:52], v[1:2], off
	global_load_b128 v[53:56], v[1:2], off offset:16
	global_load_b128 v[41:44], v[3:4], off
	global_load_b128 v[45:48], v[3:4], off offset:16
	;; [unrolled: 2-line block ×5, first 2 shown]
	v_mad_i64_i32 v[145:146], null, s2, s17, v[135:136]
	v_mad_i64_i32 v[147:148], null, s3, s17, v[135:136]
	s_waitcnt vmcnt(24)
	v_wmma_f32_16x16x16_f16 v[135:142], v[17:24], v[119:126], v[111:118]
	s_waitcnt vmcnt(22)
	v_wmma_f32_16x16x16_f16 v[111:118], v[25:32], v[119:126], v[111:118]
	s_clause 0x3
	global_load_b128 v[17:20], v[143:144], off
	global_load_b128 v[21:24], v[143:144], off offset:16
	global_load_b128 v[25:28], v[145:146], off
	global_load_b128 v[29:32], v[145:146], off offset:16
	v_and_b32_e32 v119, 0xe0, v0
	s_waitcnt vmcnt(24)
	v_wmma_f32_16x16x16_f16 v[135:142], v[57:64], v[127:134], v[135:142]
	s_clause 0x1
	global_load_b128 v[57:60], v[147:148], off
	global_load_b128 v[61:64], v[147:148], off offset:16
	s_waitcnt vmcnt(24)
	v_wmma_f32_16x16x16_f16 v[111:118], v[71:78], v[127:134], v[111:118]
	ds_load_b128 v[71:74], v149 offset:4096
	ds_load_b128 v[75:78], v149 offset:5120
	v_add_nc_u32_e32 v128, s12, v119
	ds_load_b128 v[119:122], v149 offset:6144
	ds_load_b128 v[123:126], v149 offset:7168
	v_mbcnt_lo_u32_b32 v127, -1, 0
	s_waitcnt vmcnt(0) lgkmcnt(0)
	s_barrier
	v_or_b32_e32 v128, v128, v66
	buffer_gl0_inv
	v_xor_b32_e32 v129, 16, v127
	v_or_b32_e32 v130, 4, v128
	v_or_b32_e32 v131, 6, v128
	s_delay_alu instid0(VALU_DEP_3) | instskip(SKIP_4) | instid1(VALU_DEP_4)
	v_cmp_gt_i32_e32 vcc_lo, 32, v129
	v_or_b32_e32 v132, 8, v128
	v_or_b32_e32 v133, 10, v128
	v_cmp_gt_i32_e64 s3, s24, v130
	v_cmp_gt_i32_e64 s4, s24, v131
	;; [unrolled: 1-line block ×3, first 2 shown]
	v_wmma_f32_16x16x16_f16 v[135:142], v[79:86], v[71:78], v[135:142]
	v_wmma_f32_16x16x16_f16 v[111:118], v[87:94], v[71:78], v[111:118]
	v_or_b32_e32 v79, 12, v128
	v_or_b32_e32 v80, 14, v128
	v_cmp_gt_i32_e64 s6, s24, v133
	v_wmma_f32_16x16x16_f16 v[135:142], v[95:102], v[119:126], v[135:142]
	v_cndmask_b32_e32 v127, v127, v129, vcc_lo
	v_or_b32_e32 v129, 2, v128
	v_wmma_f32_16x16x16_f16 v[111:118], v[103:110], v[119:126], v[111:118]
	v_cmp_gt_i32_e32 vcc_lo, s24, v128
	v_dual_mul_f32 v88, s19, v135 :: v_dual_mul_f32 v87, s19, v136
	s_delay_alu instid0(VALU_DEP_4) | instskip(NEXT) | instid1(VALU_DEP_4)
	v_cmp_gt_i32_e64 s2, s24, v129
	v_mul_f32_e32 v94, s19, v113
	v_mul_f32_e32 v78, s19, v138
	;; [unrolled: 1-line block ×3, first 2 shown]
	v_cndmask_b32_e32 v88, 0xff7fffff, v88, vcc_lo
	v_cndmask_b32_e64 v87, 0xff7fffff, v87, s2
	v_dual_mul_f32 v76, s19, v140 :: v_dual_mul_f32 v77, s19, v139
	v_mul_f32_e32 v90, s19, v117
	v_cndmask_b32_e64 v86, 0xff7fffff, v86, s3
	v_cndmask_b32_e64 v78, 0xff7fffff, v78, s4
	v_max3_f32 v87, v88, 0xff7fffff, v87
	v_or_b32_e32 v81, 16, v128
	v_or_b32_e32 v82, 18, v128
	v_dual_mul_f32 v74, s19, v142 :: v_dual_mul_f32 v75, s19, v141
	v_mul_f32_e32 v92, s19, v115
	v_cndmask_b32_e64 v77, 0xff7fffff, v77, s5
	v_cndmask_b32_e64 v76, 0xff7fffff, v76, s6
	v_max3_f32 v78, v87, v86, v78
	v_cmp_gt_i32_e64 s7, s24, v79
	v_cmp_gt_i32_e64 s8, s24, v80
	v_or_b32_e32 v83, 20, v128
	v_or_b32_e32 v84, 22, v128
	v_dual_mul_f32 v89, s19, v118 :: v_dual_mul_f32 v96, s19, v111
	v_mul_f32_e32 v95, s19, v112
	v_cndmask_b32_e64 v75, 0xff7fffff, v75, s7
	v_cndmask_b32_e64 v74, 0xff7fffff, v74, s8
	v_max3_f32 v76, v78, v77, v76
	v_cmp_gt_i32_e64 s9, s24, v81
	v_cmp_gt_i32_e64 s10, s24, v82
	v_or_b32_e32 v85, 24, v128
	v_or_b32_e32 v71, 26, v128
	v_mul_f32_e32 v93, s19, v114
	v_cndmask_b32_e64 v77, 0xff7fffff, v96, s9
	v_cndmask_b32_e64 v78, 0xff7fffff, v95, s10
	v_max3_f32 v74, v76, v75, v74
	v_cmp_gt_i32_e64 s11, s24, v83
	v_cmp_gt_i32_e64 s12, s24, v84
	v_or_b32_e32 v72, 28, v128
	v_or_b32_e32 v73, 30, v128
	v_mul_f32_e32 v91, s19, v116
	v_cndmask_b32_e64 v75, 0xff7fffff, v94, s11
	v_cndmask_b32_e64 v76, 0xff7fffff, v93, s12
	v_max3_f32 v74, v74, v77, v78
	v_cmp_gt_i32_e64 s13, s24, v85
	v_cmp_gt_i32_e64 s15, s24, v71
	;; [unrolled: 1-line block ×4, first 2 shown]
	v_max3_f32 v74, v74, v75, v76
	v_cndmask_b32_e64 v77, 0xff7fffff, v92, s13
	v_cndmask_b32_e64 v71, 0xff7fffff, v91, s15
	;; [unrolled: 1-line block ×4, first 2 shown]
	s_delay_alu instid0(VALU_DEP_3) | instskip(SKIP_1) | instid1(VALU_DEP_2)
	v_max3_f32 v71, v74, v77, v71
	v_lshlrev_b32_e32 v74, 2, v127
	v_max3_f32 v71, v71, v72, v73
	ds_bpermute_b32 v72, v74, v71
	s_waitcnt lgkmcnt(0)
	v_max_f32_e32 v72, v72, v72
	s_delay_alu instid0(VALU_DEP_1) | instskip(NEXT) | instid1(VALU_DEP_1)
	v_max_f32_e32 v71, v71, v72
	v_fma_f32 v75, s19, v137, -v71
	v_fma_f32 v76, s19, v138, -v71
	;; [unrolled: 1-line block ×5, first 2 shown]
	s_delay_alu instid0(VALU_DEP_4) | instskip(NEXT) | instid1(VALU_DEP_4)
	v_dual_mul_f32 v75, 0x3fb8aa3b, v75 :: v_dual_mul_f32 v76, 0x3fb8aa3b, v76
	v_mul_f32_e32 v72, 0x3fb8aa3b, v72
	v_fma_f32 v77, s19, v139, -v71
	s_delay_alu instid0(VALU_DEP_4) | instskip(NEXT) | instid1(VALU_DEP_4)
	v_mul_f32_e32 v73, 0x3fb8aa3b, v73
	v_exp_f32_e32 v75, v75
	v_exp_f32_e32 v76, v76
	;; [unrolled: 1-line block ×3, first 2 shown]
	s_delay_alu instid0(VALU_DEP_1) | instskip(SKIP_2) | instid1(TRANS32_DEP_3)
	v_exp_f32_e32 v73, v73
	v_cndmask_b32_e64 v81, 0, v75, s3
	v_mul_f32_e32 v82, 0x3fb8aa3b, v80
	v_cndmask_b32_e64 v80, 0, v76, s4
	s_waitcnt_depctr 0xfff
	v_cndmask_b32_e64 v78, 0, v73, s2
	v_cmp_gt_u32_e64 s2, 16, v70
	v_exp_f32_e32 v84, v82
	s_waitcnt_depctr 0xfff
	v_cndmask_b32_e64 v85, 0, v84, s7
	v_cndmask_b32_e32 v79, 0, v72, vcc_lo
	v_fma_f32 v72, s19, v140, -v71
	v_mul_f32_e32 v77, 0x3fb8aa3b, v77
	s_delay_alu instid0(VALU_DEP_2) | instskip(NEXT) | instid1(VALU_DEP_2)
	v_dual_add_f32 v73, 0, v79 :: v_dual_mul_f32 v72, 0x3fb8aa3b, v72
	v_exp_f32_e32 v77, v77
	s_delay_alu instid0(VALU_DEP_1) | instskip(NEXT) | instid1(VALU_DEP_2)
	v_add_f32_e32 v73, v73, v78
	v_exp_f32_e32 v72, v72
	s_delay_alu instid0(VALU_DEP_1) | instskip(SKIP_4) | instid1(VALU_DEP_2)
	v_add_f32_e32 v73, v73, v81
	s_waitcnt_depctr 0xfff
	v_cndmask_b32_e64 v83, 0, v77, s5
	v_add_f32_e32 v73, v73, v80
	v_cndmask_b32_e64 v82, 0, v72, s6
	v_add_f32_e32 v72, v73, v83
	s_delay_alu instid0(VALU_DEP_1)
	v_add_f32_e32 v72, v72, v82
	v_fma_f32 v75, s19, v142, -v71
	v_fma_f32 v76, s19, v111, -v71
	;; [unrolled: 1-line block ×5, first 2 shown]
	s_delay_alu instid0(VALU_DEP_4) | instskip(NEXT) | instid1(VALU_DEP_4)
	v_dual_mul_f32 v75, 0x3fb8aa3b, v75 :: v_dual_mul_f32 v76, 0x3fb8aa3b, v76
	v_mul_f32_e32 v86, 0x3fb8aa3b, v86
	v_add_f32_e32 v72, v72, v85
	s_delay_alu instid0(VALU_DEP_3) | instskip(NEXT) | instid1(VALU_DEP_3)
	v_exp_f32_e32 v75, v75
	v_exp_f32_e32 v76, v76
	s_delay_alu instid0(VALU_DEP_2) | instskip(NEXT) | instid1(TRANS32_DEP_3)
	v_exp_f32_e32 v88, v86
	v_cndmask_b32_e64 v84, 0, v75, s8
	v_mul_f32_e32 v77, 0x3fb8aa3b, v77
	s_waitcnt_depctr 0xfff
	v_cndmask_b32_e64 v87, 0, v76, s9
	v_fma_f32 v76, s19, v116, -v71
	v_dual_mul_f32 v73, 0x3fb8aa3b, v73 :: v_dual_add_f32 v72, v72, v84
	v_exp_f32_e32 v77, v77
	v_fma_f32 v75, s19, v115, -v71
	s_delay_alu instid0(VALU_DEP_3) | instskip(NEXT) | instid1(VALU_DEP_3)
	v_mul_f32_e32 v76, 0x3fb8aa3b, v76
	v_exp_f32_e32 v73, v73
	v_add_f32_e32 v72, v72, v87
	v_cndmask_b32_e64 v88, 0, v88, s12
	s_delay_alu instid0(VALU_DEP_3) | instskip(NEXT) | instid1(TRANS32_DEP_3)
	v_exp_f32_e32 v76, v76
	v_cndmask_b32_e64 v86, 0, v77, s10
	v_mul_f32_e32 v75, 0x3fb8aa3b, v75
	v_fma_f32 v77, s19, v117, -v71
	s_delay_alu instid0(TRANS32_DEP_2) | instskip(NEXT) | instid1(VALU_DEP_4)
	v_cndmask_b32_e64 v89, 0, v73, s11
	v_add_f32_e32 v72, v72, v86
	s_delay_alu instid0(VALU_DEP_4) | instskip(NEXT) | instid1(TRANS32_DEP_2)
	v_exp_f32_e32 v75, v75
	v_cndmask_b32_e64 v90, 0, v76, s15
	s_delay_alu instid0(VALU_DEP_2) | instskip(SKIP_2) | instid1(VALU_DEP_3)
	v_add_f32_e32 v72, v72, v89
	v_mul_f32_e32 v73, 0x3fb8aa3b, v77
	v_fma_f32 v77, s19, v118, -v71
	v_add_f32_e32 v72, v72, v88
	s_delay_alu instid0(VALU_DEP_3) | instskip(NEXT) | instid1(TRANS32_DEP_2)
	v_exp_f32_e32 v73, v73
	v_cndmask_b32_e64 v91, 0, v75, s13
	s_delay_alu instid0(VALU_DEP_1) | instskip(NEXT) | instid1(VALU_DEP_1)
	v_dual_mul_f32 v75, 0x3fb8aa3b, v77 :: v_dual_add_f32 v72, v72, v91
	v_exp_f32_e32 v75, v75
	s_waitcnt_depctr 0xfff
	v_cndmask_b32_e64 v93, 0, v73, s16
	v_add_f32_e32 v72, v72, v90
	s_delay_alu instid0(VALU_DEP_1) | instskip(SKIP_1) | instid1(VALU_DEP_1)
	v_add_f32_e32 v72, v72, v93
	v_cndmask_b32_e64 v92, 0, v75, s17
	v_add_f32_e32 v72, v72, v92
	ds_bpermute_b32 v73, v74, v72
	s_and_saveexec_b32 s3, s2
	s_cbranch_execz .LBB1292_12
; %bb.11:
	v_mul_u32_u24_e32 v70, 0x44, v69
	s_waitcnt lgkmcnt(0)
	v_add_f32_e32 v72, v72, v73
	s_delay_alu instid0(VALU_DEP_2) | instskip(NEXT) | instid1(VALU_DEP_1)
	v_lshl_add_u32 v70, v68, 2, v70
	v_add_nc_u32_e32 v70, 0x4000, v70
	ds_store_2addr_b32 v70, v71, v72 offset1:136
.LBB1292_12:
	s_or_b32 exec_lo, exec_lo, s3
	v_lshlrev_b32_e32 v70, 2, v68
	s_load_b32 s35, s[0:1], 0x94
	s_waitcnt lgkmcnt(0)
	s_barrier
	buffer_gl0_inv
	v_add_nc_u32_e32 v98, 0x4000, v70
	v_cmp_eq_u32_e32 vcc_lo, 1, v69
	v_cmp_eq_u32_e64 s3, 2, v69
	v_cmp_eq_u32_e64 s4, 3, v69
	;; [unrolled: 1-line block ×3, first 2 shown]
	ds_load_2addr_b32 v[70:71], v98 offset1:17
	ds_load_2addr_b32 v[72:73], v98 offset0:34 offset1:51
	ds_load_2addr_b32 v[74:75], v98 offset0:68 offset1:85
	;; [unrolled: 1-line block ×3, first 2 shown]
	v_cmp_eq_u32_e64 s6, 5, v69
	v_cmp_eq_u32_e64 s7, 7, v69
	s_waitcnt lgkmcnt(3)
	v_max3_f32 v76, v70, 0xff7fffff, v71
	s_waitcnt lgkmcnt(2)
	s_delay_alu instid0(VALU_DEP_1) | instskip(SKIP_1) | instid1(VALU_DEP_1)
	v_max3_f32 v76, v76, v72, v73
	s_waitcnt lgkmcnt(1)
	v_max3_f32 v76, v76, v74, v75
	s_waitcnt lgkmcnt(0)
	s_delay_alu instid0(VALU_DEP_1) | instskip(NEXT) | instid1(VALU_DEP_1)
	v_max3_f32 v76, v76, v94, v95
	v_sub_f32_e32 v77, v71, v76
	ds_load_2addr_b32 v[96:97], v98 offset0:136 offset1:153
	v_sub_f32_e32 v74, v74, v76
	v_sub_f32_e32 v70, v70, v76
	;; [unrolled: 1-line block ×3, first 2 shown]
	v_dual_sub_f32 v72, v72, v76 :: v_dual_mul_f32 v77, 0x3fb8aa3b, v77
	s_delay_alu instid0(VALU_DEP_4) | instskip(NEXT) | instid1(VALU_DEP_4)
	v_mul_f32_e32 v103, 0x3fb8aa3b, v74
	v_mul_f32_e32 v99, 0x3fb8aa3b, v70
	ds_load_2addr_b32 v[70:71], v98 offset0:170 offset1:187
	v_dual_mul_f32 v101, 0x3fb8aa3b, v72 :: v_dual_mul_f32 v94, 0x3fb8aa3b, v94
	v_exp_f32_e32 v102, v77
	v_exp_f32_e32 v99, v99
	s_delay_alu instid0(VALU_DEP_1) | instskip(NEXT) | instid1(VALU_DEP_1)
	v_exp_f32_e32 v101, v101
	v_exp_f32_e32 v94, v94
	s_waitcnt lgkmcnt(1)
	s_delay_alu instid0(TRANS32_DEP_3)
	v_fma_f32 v77, v99, v96, 0
	v_sub_f32_e32 v100, v73, v76
	ds_load_2addr_b32 v[72:73], v98 offset0:204 offset1:221
	v_fmac_f32_e32 v77, v102, v97
	v_exp_f32_e32 v97, v103
	s_waitcnt lgkmcnt(1)
	s_delay_alu instid0(VALU_DEP_1)
	v_dual_fmac_f32 v77, v101, v70 :: v_dual_sub_f32 v96, v75, v76
	ds_load_2addr_b32 v[74:75], v98 offset0:238 offset1:255
	v_sub_f32_e32 v70, v95, v76
	s_waitcnt lgkmcnt(0)
	s_barrier
	v_mul_f32_e32 v96, 0x3fb8aa3b, v96
	buffer_gl0_inv
	v_exp_f32_e32 v95, v96
	v_mul_f32_e32 v100, 0x3fb8aa3b, v100
	s_delay_alu instid0(VALU_DEP_1) | instskip(SKIP_3) | instid1(VALU_DEP_2)
	v_exp_f32_e32 v100, v100
	s_waitcnt_depctr 0xfff
	v_dual_fmac_f32 v77, v100, v71 :: v_dual_mul_f32 v70, 0x3fb8aa3b, v70
	v_cndmask_b32_e32 v71, v99, v102, vcc_lo
	v_fmac_f32_e32 v77, v97, v72
	s_delay_alu instid0(VALU_DEP_3) | instskip(NEXT) | instid1(VALU_DEP_1)
	v_exp_f32_e32 v96, v70
	v_fmac_f32_e32 v77, v95, v73
	s_delay_alu instid0(VALU_DEP_1) | instskip(SKIP_2) | instid1(VALU_DEP_1)
	v_fmac_f32_e32 v77, v94, v74
	s_waitcnt_depctr 0xfff
	v_fmac_f32_e32 v77, v96, v75
	v_add_f32_e32 v74, 0x358637bd, v77
	s_delay_alu instid0(VALU_DEP_1) | instskip(SKIP_1) | instid1(VALU_DEP_2)
	v_div_scale_f32 v98, null, v74, v74, 1.0
	v_div_scale_f32 v99, vcc_lo, 1.0, v74, 1.0
	v_rcp_f32_e32 v103, v98
	s_waitcnt_depctr 0xfff
	v_fma_f32 v70, -v98, v103, 1.0
	s_delay_alu instid0(VALU_DEP_1) | instskip(SKIP_2) | instid1(VALU_DEP_2)
	v_fmac_f32_e32 v103, v70, v103
	v_cndmask_b32_e64 v70, v71, v101, s3
	v_cmp_eq_u32_e64 s3, 6, v69
	v_cndmask_b32_e64 v71, v70, v100, s4
	s_delay_alu instid0(VALU_DEP_4) | instskip(NEXT) | instid1(VALU_DEP_2)
	v_dual_mul_f32 v101, v99, v103 :: v_dual_lshlrev_b32 v70, 2, v66
	v_cndmask_b32_e64 v71, v71, v97, s5
	s_delay_alu instid0(VALU_DEP_2) | instskip(NEXT) | instid1(VALU_DEP_3)
	v_or_b32_e32 v72, 1, v70
	v_fma_f32 v100, -v98, v101, v99
	v_cmp_eq_u32_e64 s4, 1, v70
	v_cmp_eq_u32_e64 s5, 2, v70
	v_cndmask_b32_e64 v95, v71, v95, s6
	v_or_b32_e32 v71, 3, v70
	v_fmac_f32_e32 v101, v100, v103
	v_cmp_eq_u32_e64 s9, 1, v72
	v_cmp_eq_u32_e64 s12, 2, v72
	v_cndmask_b32_e64 v94, v95, v94, s3
	v_cmp_eq_u32_e64 s11, 1, v71
	v_fma_f32 v97, -v98, v101, v99
	v_cmp_eq_u32_e64 s16, 2, v71
	v_cmp_eq_u32_e64 s13, 3, v72
	v_cndmask_b32_e64 v94, v94, v96, s7
	v_cmp_eq_u32_e64 s18, 3, v71
	v_div_fmas_f32 v95, v97, v103, v101
	v_cmp_eq_u32_e32 vcc_lo, 3, v70
	v_cmp_eq_u32_e64 s3, 4, v70
	v_cmp_eq_u32_e64 s19, 4, v72
	v_cmp_eq_u32_e64 s22, 4, v71
	v_div_fixup_f32 v95, v95, v74, 1.0
	v_lshlrev_b32_e32 v73, 6, v68
	v_cmp_eq_u32_e64 s6, 5, v70
	v_cmp_eq_u32_e64 s20, 5, v72
	;; [unrolled: 1-line block ×3, first 2 shown]
	v_mul_f32_e32 v102, v94, v95
	v_lshl_or_b32 v75, v69, 11, v73
	v_or_b32_e32 v69, 2, v70
	v_cmp_eq_u32_e64 s25, 6, v72
	v_cmp_eq_u32_e64 s27, 6, v71
	v_fma_mixlo_f16 v94, v102, v79, 0
	v_fma_mixlo_f16 v95, v102, v81, 0
	;; [unrolled: 1-line block ×8, first 2 shown]
	v_lshl_or_b32 v74, v66, 4, v75
	v_fma_mixhi_f16 v94, v102, v78, 0
	v_fma_mixhi_f16 v95, v102, v80, 0
	;; [unrolled: 1-line block ×8, first 2 shown]
	ds_store_b128 v74, v[94:97]
	ds_store_b128 v74, v[98:101] offset:1024
	s_waitcnt lgkmcnt(0)
	s_barrier
	buffer_gl0_inv
	ds_load_b128 v[78:81], v75
	ds_load_b128 v[82:85], v75 offset:16
	ds_load_b128 v[86:89], v75 offset:1024
	;; [unrolled: 1-line block ×3, first 2 shown]
	v_cmp_eq_u32_e64 s10, 1, v69
	v_cmp_eq_u32_e64 s15, 2, v69
	;; [unrolled: 1-line block ×11, first 2 shown]
	s_waitcnt lgkmcnt(3)
	v_lshrrev_b32_e32 v94, 16, v78
	s_waitcnt lgkmcnt(2)
	v_lshrrev_b32_e32 v98, 16, v82
	;; [unrolled: 2-line block ×4, first 2 shown]
	v_lshrrev_b32_e32 v95, 16, v79
	v_cndmask_b32_e64 v110, v78, v94, s4
	v_cndmask_b32_e64 v111, v82, v98, s4
	;; [unrolled: 1-line block ×8, first 2 shown]
	v_lshrrev_b32_e32 v99, 16, v83
	v_cndmask_b32_e64 v94, v86, v102, s4
	v_cndmask_b32_e64 v98, v90, v106, s4
	;; [unrolled: 1-line block ×15, first 2 shown]
	v_lshrrev_b32_e32 v103, 16, v87
	v_lshrrev_b32_e32 v107, 16, v91
	v_cndmask_b32_e64 v113, v115, v83, s15
	v_cndmask_b32_e64 v82, v94, v87, s5
	;; [unrolled: 1-line block ×7, first 2 shown]
	v_cndmask_b32_e32 v90, v102, v95, vcc_lo
	v_cndmask_b32_e32 v102, v106, v99, vcc_lo
	v_cndmask_b32_e64 v106, v110, v95, s13
	v_cndmask_b32_e64 v110, v111, v99, s13
	;; [unrolled: 1-line block ×4, first 2 shown]
	v_lshrrev_b32_e32 v96, 16, v80
	v_lshrrev_b32_e32 v100, 16, v84
	v_cndmask_b32_e64 v111, v112, v95, s17
	v_cndmask_b32_e64 v112, v113, v99, s17
	v_cndmask_b32_e32 v82, v82, v103, vcc_lo
	v_cndmask_b32_e32 v83, v83, v107, vcc_lo
	v_cndmask_b32_e64 v94, v94, v103, s13
	v_cndmask_b32_e64 v90, v90, v80, s3
	;; [unrolled: 1-line block ×7, first 2 shown]
	v_lshrrev_b32_e32 v104, 16, v88
	v_cndmask_b32_e64 v106, v111, v80, s21
	v_cndmask_b32_e64 v110, v112, v84, s21
	;; [unrolled: 1-line block ×11, first 2 shown]
	v_lshrrev_b32_e32 v97, 16, v81
	v_lshrrev_b32_e32 v101, 16, v85
	v_cndmask_b32_e64 v99, v106, v96, s23
	v_cndmask_b32_e64 v102, v110, v100, s23
	;; [unrolled: 1-line block ×7, first 2 shown]
	v_lshrrev_b32_e32 v105, 16, v89
	v_cndmask_b32_e64 v80, v80, v104, s6
	v_cndmask_b32_e64 v84, v84, v81, s7
	;; [unrolled: 1-line block ×16, first 2 shown]
	v_perm_b32 v81, v79, v78, 0x5040100
	v_perm_b32 v79, v95, v85, 0x5040100
	v_cndmask_b32_e64 v78, v119, v91, s15
	v_cndmask_b32_e64 v85, v117, v91, s12
	;; [unrolled: 1-line block ×3, first 2 shown]
	v_perm_b32 v80, v94, v90, 0x5040100
	v_cndmask_b32_e64 v90, v98, v103, s17
	v_cndmask_b32_e64 v86, v86, v103, s18
	v_cndmask_b32_e64 v87, v87, v107, s18
	v_cndmask_b32_e64 v78, v78, v107, s17
	v_cndmask_b32_e64 v85, v85, v107, s13
	v_lshrrev_b32_e32 v108, 16, v92
	v_cndmask_b32_e64 v90, v90, v88, s21
	v_cndmask_b32_e64 v86, v86, v88, s22
	;; [unrolled: 1-line block ×11, first 2 shown]
	v_lshrrev_b32_e32 v109, 16, v93
	v_cndmask_b32_e64 v82, v82, v93, s7
	v_cndmask_b32_e64 v88, v88, v89, s26
	;; [unrolled: 1-line block ×12, first 2 shown]
	v_perm_b32 v78, v84, v83, 0x5040100
	v_perm_b32 v85, v87, v86, 0x5040100
	;; [unrolled: 1-line block ×5, first 2 shown]
	s_mul_i32 s8, s33, 15
	s_mov_b32 s3, exec_lo
	ds_store_b128 v74, v[78:81]
	ds_store_b128 v74, v[82:85] offset:1024
	v_cmpx_gt_u32_e32 15, v0
	s_cbranch_execz .LBB1292_14
; %bb.13:
	s_mul_i32 s4, s8, s34
	s_delay_alu instid0(SALU_CYCLE_1) | instskip(SKIP_1) | instid1(VALU_DEP_1)
	v_add3_u32 v68, s4, s31, v68
	s_load_b128 s[4:7], s[0:1], 0x58
	v_mad_u64_u32 v[78:79], null, v68, s35, s[14:15]
	s_delay_alu instid0(VALU_DEP_1) | instskip(NEXT) | instid1(VALU_DEP_1)
	v_ashrrev_i32_e32 v79, 31, v78
	v_lshlrev_b64 v[78:79], 2, v[78:79]
	s_waitcnt lgkmcnt(0)
	s_delay_alu instid0(VALU_DEP_1) | instskip(NEXT) | instid1(VALU_DEP_2)
	v_add_co_u32 v80, vcc_lo, s6, v78
	v_add_co_ci_u32_e32 v81, vcc_lo, s7, v79, vcc_lo
	v_add_co_u32 v78, vcc_lo, s4, v78
	v_add_co_ci_u32_e32 v79, vcc_lo, s5, v79, vcc_lo
	global_store_b32 v[80:81], v76, off
	global_store_b32 v[78:79], v77, off
.LBB1292_14:
	s_or_b32 exec_lo, exec_lo, s3
	s_waitcnt lgkmcnt(0)
	s_waitcnt_vscnt null, 0x0
	s_barrier
	buffer_gl0_inv
	ds_load_b128 v[84:87], v73
	ds_load_b128 v[88:91], v73 offset:16
	ds_load_b128 v[96:99], v73 offset:2064
	;; [unrolled: 1-line block ×5, first 2 shown]
	v_cmp_eq_u32_e32 vcc_lo, 1, v70
	v_mov_b32_e32 v76, 0
	ds_load_b128 v[112:115], v73 offset:6160
	ds_load_b128 v[108:111], v73 offset:6144
	;; [unrolled: 1-line block ×4, first 2 shown]
	v_cmp_eq_u32_e64 s4, 1, v69
	v_cmp_eq_u32_e64 s3, 1, v72
	;; [unrolled: 1-line block ×3, first 2 shown]
	v_mov_b32_e32 v77, v76
	v_mov_b32_e32 v78, v76
	;; [unrolled: 1-line block ×7, first 2 shown]
	v_cmp_eq_u32_e64 s6, 3, v72
	v_cmp_eq_u32_e64 s7, 7, v72
	s_waitcnt lgkmcnt(8)
	s_delay_alu instid0(VALU_DEP_3)
	v_wmma_f32_16x16x16_f16 v[76:83], v[49:56], v[84:91], v[76:83]
	ds_load_b128 v[53:56], v73 offset:10256
	ds_load_b128 v[49:52], v73 offset:10240
	s_waitcnt lgkmcnt(8)
	v_wmma_f32_16x16x16_f16 v[76:83], v[41:48], v[92:99], v[76:83]
	ds_load_b128 v[45:48], v73 offset:12304
	ds_load_b128 v[41:44], v73 offset:12288
	s_waitcnt lgkmcnt(8)
	;; [unrolled: 4-line block ×3, first 2 shown]
	s_barrier
	buffer_gl0_inv
	v_wmma_f32_16x16x16_f16 v[76:83], v[1:8], v[108:115], v[76:83]
	s_delay_alu instid0(VALU_DEP_1) | instskip(NEXT) | instid1(VALU_DEP_1)
	v_wmma_f32_16x16x16_f16 v[76:83], v[9:16], v[116:123], v[76:83]
	v_wmma_f32_16x16x16_f16 v[76:83], v[17:24], v[49:56], v[76:83]
	s_delay_alu instid0(VALU_DEP_1) | instskip(NEXT) | instid1(VALU_DEP_1)
	v_wmma_f32_16x16x16_f16 v[76:83], v[25:32], v[41:48], v[76:83]
	v_wmma_f32_16x16x16_f16 v[76:83], v[57:64], v[33:40], v[76:83]
	s_delay_alu instid0(VALU_DEP_1) | instskip(NEXT) | instid1(VALU_DEP_2)
	v_cvt_f16_f32_e32 v1, v76
	v_cvt_f16_f32_e32 v2, v77
	s_delay_alu instid0(VALU_DEP_3) | instskip(NEXT) | instid1(VALU_DEP_4)
	v_cvt_f16_f32_e32 v3, v78
	v_cvt_f16_f32_e32 v4, v79
	;; [unrolled: 1-line block ×6, first 2 shown]
	v_pack_b32_f16 v1, v1, v2
	v_pack_b32_f16 v2, v3, v4
	;; [unrolled: 1-line block ×3, first 2 shown]
	s_delay_alu instid0(VALU_DEP_4)
	v_pack_b32_f16 v4, v7, v8
	ds_store_b128 v74, v[1:4]
	s_waitcnt lgkmcnt(0)
	s_barrier
	buffer_gl0_inv
	ds_load_b128 v[1:4], v75
	ds_load_b128 v[5:8], v75 offset:16
	s_waitcnt lgkmcnt(1)
	v_lshrrev_b32_e32 v9, 16, v1
	s_waitcnt lgkmcnt(0)
	v_lshrrev_b32_e32 v13, 16, v5
	v_lshrrev_b32_e32 v10, 16, v2
	v_lshrrev_b32_e32 v14, 16, v6
	v_lshrrev_b32_e32 v11, 16, v3
	v_cndmask_b32_e32 v17, v1, v9, vcc_lo
	v_cndmask_b32_e32 v18, v5, v13, vcc_lo
	v_cndmask_b32_e64 v21, v1, v9, s4
	v_cmp_eq_u32_e32 vcc_lo, 1, v71
	v_cndmask_b32_e64 v22, v5, v13, s4
	v_cmp_eq_u32_e64 s4, 2, v70
	v_cndmask_b32_e64 v19, v1, v9, s3
	v_cndmask_b32_e64 v20, v5, v13, s3
	v_cndmask_b32_e32 v1, v1, v9, vcc_lo
	v_cmp_eq_u32_e64 s3, 2, v71
	v_cndmask_b32_e32 v5, v5, v13, vcc_lo
	v_cndmask_b32_e64 v9, v17, v2, s4
	v_cmp_eq_u32_e32 vcc_lo, 3, v70
	v_cndmask_b32_e64 v13, v18, v6, s4
	v_cmp_eq_u32_e64 s4, 2, v69
	v_cndmask_b32_e64 v17, v19, v2, s5
	v_cndmask_b32_e64 v18, v20, v6, s5
	v_cmp_eq_u32_e64 s5, 3, v69
	v_cndmask_b32_e64 v1, v1, v2, s3
	v_cndmask_b32_e64 v19, v21, v2, s4
	v_cndmask_b32_e64 v20, v22, v6, s4
	v_cndmask_b32_e64 v2, v5, v6, s3
	v_cndmask_b32_e32 v5, v9, v10, vcc_lo
	v_cndmask_b32_e32 v6, v13, v14, vcc_lo
	v_cmp_eq_u32_e32 vcc_lo, 3, v71
	v_cndmask_b32_e64 v9, v17, v10, s6
	v_cndmask_b32_e64 v13, v18, v14, s6
	;; [unrolled: 1-line block ×3, first 2 shown]
	v_cmp_eq_u32_e64 s4, 4, v70
	v_cndmask_b32_e32 v1, v1, v10, vcc_lo
	v_cndmask_b32_e32 v2, v2, v14, vcc_lo
	v_cmp_eq_u32_e32 vcc_lo, 4, v72
	v_lshrrev_b32_e32 v15, 16, v7
	v_lshrrev_b32_e32 v16, 16, v8
	v_cndmask_b32_e64 v17, v19, v10, s5
	v_cmp_eq_u32_e64 s3, 4, v71
	v_cndmask_b32_e64 v5, v5, v3, s4
	v_cndmask_b32_e64 v6, v6, v7, s4
	v_cndmask_b32_e32 v9, v9, v3, vcc_lo
	v_cmp_eq_u32_e64 s4, 5, v72
	v_cndmask_b32_e32 v10, v13, v7, vcc_lo
	v_cmp_eq_u32_e32 vcc_lo, 4, v69
	v_cmp_eq_u32_e64 s5, 5, v70
	v_cndmask_b32_e64 v2, v2, v7, s3
	v_cndmask_b32_e64 v9, v9, v11, s4
	;; [unrolled: 1-line block ×3, first 2 shown]
	v_cndmask_b32_e32 v13, v17, v3, vcc_lo
	v_cmp_eq_u32_e64 s4, 5, v69
	v_cndmask_b32_e32 v14, v18, v7, vcc_lo
	v_cndmask_b32_e64 v1, v1, v3, s3
	v_cmp_eq_u32_e32 vcc_lo, 5, v71
	v_lshrrev_b32_e32 v12, 16, v4
	v_cndmask_b32_e64 v13, v13, v11, s4
	v_cndmask_b32_e64 v3, v14, v15, s4
	v_cmp_eq_u32_e64 s4, 6, v71
	v_cndmask_b32_e32 v1, v1, v11, vcc_lo
	v_cndmask_b32_e64 v5, v5, v11, s5
	v_cmp_eq_u32_e64 s6, 6, v70
	v_cndmask_b32_e64 v6, v6, v15, s5
	v_cmp_eq_u32_e64 s5, 6, v72
	v_cmp_eq_u32_e64 s3, 6, v69
	v_cndmask_b32_e64 v1, v1, v4, s4
	v_cndmask_b32_e32 v2, v2, v15, vcc_lo
	v_cmp_eq_u32_e32 vcc_lo, 7, v71
	v_cndmask_b32_e64 v5, v5, v4, s6
	v_cndmask_b32_e64 v9, v9, v4, s5
	;; [unrolled: 1-line block ×3, first 2 shown]
	v_cmp_eq_u32_e64 s6, 7, v70
	v_cndmask_b32_e32 v1, v1, v12, vcc_lo
	v_cndmask_b32_e64 v7, v13, v4, s3
	v_cndmask_b32_e64 v3, v3, v8, s3
	;; [unrolled: 1-line block ×3, first 2 shown]
	v_cmp_eq_u32_e64 s3, 7, v69
	v_cndmask_b32_e64 v4, v10, v8, s5
	v_cndmask_b32_e64 v5, v5, v12, s6
	;; [unrolled: 1-line block ×3, first 2 shown]
	v_cndmask_b32_e32 v2, v2, v16, vcc_lo
	v_cndmask_b32_e64 v7, v7, v12, s3
	v_cndmask_b32_e64 v3, v3, v16, s3
	v_cndmask_b32_e64 v8, v4, v16, s7
	v_cndmask_b32_e64 v6, v6, v16, s6
	v_perm_b32 v4, v2, v1, 0x5040100
	s_mov_b32 s3, exec_lo
	v_perm_b32 v3, v3, v7, 0x5040100
	v_perm_b32 v2, v8, v9, 0x5040100
	;; [unrolled: 1-line block ×3, first 2 shown]
	ds_store_b128 v74, v[1:4]
	s_waitcnt lgkmcnt(0)
	s_barrier
	buffer_gl0_inv
	v_cmpx_gt_u32_e32 32, v0
	s_cbranch_execz .LBB1292_2
; %bb.15:
	s_load_b64 s[4:5], s[0:1], 0x68
	v_add_nc_u32_e32 v20, s31, v66
	v_lshlrev_b32_e32 v0, 10, v0
	v_lshlrev_b32_e32 v1, 4, v67
	s_lshl_b32 s0, s35, 7
	s_delay_alu instid0(SALU_CYCLE_1)
	s_mul_i32 s1, s0, s34
	v_add_nc_u32_e32 v2, 2, v20
	s_mul_i32 s6, s1, s8
	v_and_or_b32 v0, 0x3800, v0, v1
	v_mul_lo_u32 v1, v20, s0
	s_ashr_i32 s7, s6, 31
	v_mul_lo_u32 v11, v2, s0
	s_lshl_b64 s[6:7], s[6:7], 1
	v_add_nc_u32_e32 v3, 4, v20
	v_lshl_or_b32 v21, v66, 6, v0
	v_add_nc_u32_e32 v16, 6, v20
	v_ashrrev_i32_e32 v2, 31, v1
	s_delay_alu instid0(VALU_DEP_4)
	v_mul_lo_u32 v13, v3, s0
	s_waitcnt lgkmcnt(0)
	s_add_u32 s1, s4, s6
	s_addc_u32 s3, s5, s7
	s_lshl_b32 s4, s14, 7
	ds_load_b128 v[3:6], v21
	ds_load_b128 v[7:10], v21 offset:128
	s_ashr_i32 s5, s4, 31
	v_ashrrev_i32_e32 v12, 31, v11
	s_lshl_b64 s[4:5], s[4:5], 1
	v_lshlrev_b64 v[14:15], 1, v[1:2]
	s_add_u32 s1, s1, s4
	s_addc_u32 s3, s3, s5
	v_add_co_u32 v1, s1, s1, v65
	s_delay_alu instid0(VALU_DEP_1) | instskip(SKIP_1) | instid1(VALU_DEP_3)
	v_add_co_ci_u32_e64 v2, null, s3, 0, s1
	v_lshlrev_b64 v[11:12], 1, v[11:12]
	v_add_co_u32 v18, vcc_lo, v1, v14
	v_mul_lo_u32 v16, v16, s0
	s_delay_alu instid0(VALU_DEP_4) | instskip(NEXT) | instid1(VALU_DEP_4)
	v_add_co_ci_u32_e32 v19, vcc_lo, v2, v15, vcc_lo
	v_add_co_u32 v11, vcc_lo, v1, v11
	v_ashrrev_i32_e32 v14, 31, v13
	v_add_co_ci_u32_e32 v12, vcc_lo, v2, v12, vcc_lo
	v_add_nc_u32_e32 v15, 8, v20
	v_ashrrev_i32_e32 v17, 31, v16
	s_waitcnt lgkmcnt(1)
	global_store_b128 v[18:19], v[3:6], off
	v_lshlrev_b64 v[3:4], 1, v[13:14]
	s_waitcnt lgkmcnt(0)
	global_store_b128 v[11:12], v[7:10], off
	v_mul_lo_u32 v11, v15, s0
	v_add_nc_u32_e32 v7, 10, v20
	v_lshlrev_b64 v[5:6], 1, v[16:17]
	v_add_co_u32 v23, vcc_lo, v1, v3
	v_add_nc_u32_e32 v3, 12, v20
	s_delay_alu instid0(VALU_DEP_4)
	v_mul_lo_u32 v25, v7, s0
	v_ashrrev_i32_e32 v12, 31, v11
	v_add_co_ci_u32_e32 v24, vcc_lo, v2, v4, vcc_lo
	v_add_co_u32 v27, vcc_lo, v1, v5
	v_mul_lo_u32 v29, v3, s0
	v_add_co_ci_u32_e32 v28, vcc_lo, v2, v6, vcc_lo
	ds_load_b128 v[3:6], v21 offset:256
	ds_load_b128 v[7:10], v21 offset:384
	v_lshlrev_b64 v[31:32], 1, v[11:12]
	ds_load_b128 v[11:14], v21 offset:512
	ds_load_b128 v[15:18], v21 offset:640
	;; [unrolled: 1-line block ×3, first 2 shown]
	v_ashrrev_i32_e32 v26, 31, v25
	v_ashrrev_i32_e32 v30, 31, v29
	v_add_co_u32 v31, vcc_lo, v1, v31
	s_delay_alu instid0(VALU_DEP_3) | instskip(NEXT) | instid1(VALU_DEP_3)
	v_lshlrev_b64 v[25:26], 1, v[25:26]
	v_lshlrev_b64 v[29:30], 1, v[29:30]
	v_add_co_ci_u32_e32 v32, vcc_lo, v2, v32, vcc_lo
	s_delay_alu instid0(VALU_DEP_3) | instskip(NEXT) | instid1(VALU_DEP_4)
	v_add_co_u32 v25, vcc_lo, v1, v25
	v_add_co_ci_u32_e32 v26, vcc_lo, v2, v26, vcc_lo
	s_delay_alu instid0(VALU_DEP_4)
	v_add_co_u32 v29, vcc_lo, v1, v29
	v_add_co_ci_u32_e32 v30, vcc_lo, v2, v30, vcc_lo
	s_waitcnt lgkmcnt(4)
	global_store_b128 v[23:24], v[3:6], off
	s_waitcnt lgkmcnt(3)
	global_store_b128 v[27:28], v[7:10], off
	;; [unrolled: 2-line block ×5, first 2 shown]
	s_and_b32 exec_lo, exec_lo, s2
	s_cbranch_execz .LBB1292_2
; %bb.16:
	ds_load_b128 v[3:6], v0 offset:896
	s_add_i32 s1, s31, 14
	s_delay_alu instid0(SALU_CYCLE_1) | instskip(NEXT) | instid1(SALU_CYCLE_1)
	s_mul_i32 s0, s1, s0
	s_ashr_i32 s1, s0, 31
	s_delay_alu instid0(SALU_CYCLE_1) | instskip(NEXT) | instid1(SALU_CYCLE_1)
	s_lshl_b64 s[0:1], s[0:1], 1
	v_add_co_u32 v0, vcc_lo, v1, s0
	v_add_co_ci_u32_e32 v1, vcc_lo, s1, v2, vcc_lo
	s_waitcnt lgkmcnt(0)
	global_store_b128 v[0:1], v[3:6], off
	s_nop 0
	s_sendmsg sendmsg(MSG_DEALLOC_VGPRS)
	s_endpgm
	.section	.rodata,"a",@progbits
	.p2align	6, 0x0
	.amdhsa_kernel _Z39paged_attention_ll4mi_QKV_mfma16_kernelIDF16_hLN4vllm18Fp8KVCacheDataTypeE1EhLi32ELi128ELi256ELb1ELi15EL8MFMAType0EEvPKT_PKT0_S8_ifPKiSA_SA_iPKfiiiPfSD_PS3_PT2_iSC_SC_
		.amdhsa_group_segment_fixed_size 17472
		.amdhsa_private_segment_fixed_size 0
		.amdhsa_kernarg_size 400
		.amdhsa_user_sgpr_count 13
		.amdhsa_user_sgpr_dispatch_ptr 0
		.amdhsa_user_sgpr_queue_ptr 0
		.amdhsa_user_sgpr_kernarg_segment_ptr 1
		.amdhsa_user_sgpr_dispatch_id 0
		.amdhsa_user_sgpr_private_segment_size 0
		.amdhsa_wavefront_size32 1
		.amdhsa_uses_dynamic_stack 0
		.amdhsa_enable_private_segment 0
		.amdhsa_system_sgpr_workgroup_id_x 1
		.amdhsa_system_sgpr_workgroup_id_y 1
		.amdhsa_system_sgpr_workgroup_id_z 1
		.amdhsa_system_sgpr_workgroup_info 0
		.amdhsa_system_vgpr_workitem_id 0
		.amdhsa_next_free_vgpr 150
		.amdhsa_next_free_sgpr 37
		.amdhsa_reserve_vcc 1
		.amdhsa_float_round_mode_32 0
		.amdhsa_float_round_mode_16_64 0
		.amdhsa_float_denorm_mode_32 3
		.amdhsa_float_denorm_mode_16_64 3
		.amdhsa_dx10_clamp 1
		.amdhsa_ieee_mode 1
		.amdhsa_fp16_overflow 0
		.amdhsa_workgroup_processor_mode 1
		.amdhsa_memory_ordered 1
		.amdhsa_forward_progress 0
		.amdhsa_shared_vgpr_count 0
		.amdhsa_exception_fp_ieee_invalid_op 0
		.amdhsa_exception_fp_denorm_src 0
		.amdhsa_exception_fp_ieee_div_zero 0
		.amdhsa_exception_fp_ieee_overflow 0
		.amdhsa_exception_fp_ieee_underflow 0
		.amdhsa_exception_fp_ieee_inexact 0
		.amdhsa_exception_int_div_zero 0
	.end_amdhsa_kernel
	.section	.text._Z39paged_attention_ll4mi_QKV_mfma16_kernelIDF16_hLN4vllm18Fp8KVCacheDataTypeE1EhLi32ELi128ELi256ELb1ELi15EL8MFMAType0EEvPKT_PKT0_S8_ifPKiSA_SA_iPKfiiiPfSD_PS3_PT2_iSC_SC_,"axG",@progbits,_Z39paged_attention_ll4mi_QKV_mfma16_kernelIDF16_hLN4vllm18Fp8KVCacheDataTypeE1EhLi32ELi128ELi256ELb1ELi15EL8MFMAType0EEvPKT_PKT0_S8_ifPKiSA_SA_iPKfiiiPfSD_PS3_PT2_iSC_SC_,comdat
.Lfunc_end1292:
	.size	_Z39paged_attention_ll4mi_QKV_mfma16_kernelIDF16_hLN4vllm18Fp8KVCacheDataTypeE1EhLi32ELi128ELi256ELb1ELi15EL8MFMAType0EEvPKT_PKT0_S8_ifPKiSA_SA_iPKfiiiPfSD_PS3_PT2_iSC_SC_, .Lfunc_end1292-_Z39paged_attention_ll4mi_QKV_mfma16_kernelIDF16_hLN4vllm18Fp8KVCacheDataTypeE1EhLi32ELi128ELi256ELb1ELi15EL8MFMAType0EEvPKT_PKT0_S8_ifPKiSA_SA_iPKfiiiPfSD_PS3_PT2_iSC_SC_
                                        ; -- End function
	.section	.AMDGPU.csdata,"",@progbits
; Kernel info:
; codeLenInByte = 6908
; NumSgprs: 39
; NumVgprs: 150
; ScratchSize: 0
; MemoryBound: 0
; FloatMode: 240
; IeeeMode: 1
; LDSByteSize: 17472 bytes/workgroup (compile time only)
; SGPRBlocks: 4
; VGPRBlocks: 18
; NumSGPRsForWavesPerEU: 39
; NumVGPRsForWavesPerEU: 150
; Occupancy: 9
; WaveLimiterHint : 1
; COMPUTE_PGM_RSRC2:SCRATCH_EN: 0
; COMPUTE_PGM_RSRC2:USER_SGPR: 13
; COMPUTE_PGM_RSRC2:TRAP_HANDLER: 0
; COMPUTE_PGM_RSRC2:TGID_X_EN: 1
; COMPUTE_PGM_RSRC2:TGID_Y_EN: 1
; COMPUTE_PGM_RSRC2:TGID_Z_EN: 1
; COMPUTE_PGM_RSRC2:TIDIG_COMP_CNT: 0
	.section	.text._Z39paged_attention_ll4mi_QKV_mfma16_kernelIDF16_hLN4vllm18Fp8KVCacheDataTypeE1EhLi32ELi128ELi256ELb1ELi16EL8MFMAType0EEvPKT_PKT0_S8_ifPKiSA_SA_iPKfiiiPfSD_PS3_PT2_iSC_SC_,"axG",@progbits,_Z39paged_attention_ll4mi_QKV_mfma16_kernelIDF16_hLN4vllm18Fp8KVCacheDataTypeE1EhLi32ELi128ELi256ELb1ELi16EL8MFMAType0EEvPKT_PKT0_S8_ifPKiSA_SA_iPKfiiiPfSD_PS3_PT2_iSC_SC_,comdat
	.protected	_Z39paged_attention_ll4mi_QKV_mfma16_kernelIDF16_hLN4vllm18Fp8KVCacheDataTypeE1EhLi32ELi128ELi256ELb1ELi16EL8MFMAType0EEvPKT_PKT0_S8_ifPKiSA_SA_iPKfiiiPfSD_PS3_PT2_iSC_SC_ ; -- Begin function _Z39paged_attention_ll4mi_QKV_mfma16_kernelIDF16_hLN4vllm18Fp8KVCacheDataTypeE1EhLi32ELi128ELi256ELb1ELi16EL8MFMAType0EEvPKT_PKT0_S8_ifPKiSA_SA_iPKfiiiPfSD_PS3_PT2_iSC_SC_
	.globl	_Z39paged_attention_ll4mi_QKV_mfma16_kernelIDF16_hLN4vllm18Fp8KVCacheDataTypeE1EhLi32ELi128ELi256ELb1ELi16EL8MFMAType0EEvPKT_PKT0_S8_ifPKiSA_SA_iPKfiiiPfSD_PS3_PT2_iSC_SC_
	.p2align	8
	.type	_Z39paged_attention_ll4mi_QKV_mfma16_kernelIDF16_hLN4vllm18Fp8KVCacheDataTypeE1EhLi32ELi128ELi256ELb1ELi16EL8MFMAType0EEvPKT_PKT0_S8_ifPKiSA_SA_iPKfiiiPfSD_PS3_PT2_iSC_SC_,@function
_Z39paged_attention_ll4mi_QKV_mfma16_kernelIDF16_hLN4vllm18Fp8KVCacheDataTypeE1EhLi32ELi128ELi256ELb1ELi16EL8MFMAType0EEvPKT_PKT0_S8_ifPKiSA_SA_iPKfiiiPfSD_PS3_PT2_iSC_SC_: ; @_Z39paged_attention_ll4mi_QKV_mfma16_kernelIDF16_hLN4vllm18Fp8KVCacheDataTypeE1EhLi32ELi128ELi256ELb1ELi16EL8MFMAType0EEvPKT_PKT0_S8_ifPKiSA_SA_iPKfiiiPfSD_PS3_PT2_iSC_SC_
; %bb.0:
	s_load_b64 s[4:5], s[0:1], 0x30
	s_mov_b32 s30, s13
	s_waitcnt lgkmcnt(0)
	s_cmp_lg_u64 s[4:5], 0
	s_cselect_b32 s8, -1, 0
	s_ashr_i32 s31, s13, 31
	s_cmp_eq_u64 s[4:5], 0
	s_cbranch_scc1 .LBB1293_3
; %bb.1:
	s_lshl_b64 s[2:3], s[30:31], 2
	s_delay_alu instid0(SALU_CYCLE_1) | instskip(SKIP_4) | instid1(SALU_CYCLE_1)
	s_add_u32 s2, s4, s2
	s_addc_u32 s3, s5, s3
	s_load_b64 s[2:3], s[2:3], 0x0
	s_waitcnt lgkmcnt(0)
	s_sub_i32 s2, s3, s2
	s_cmp_eq_u32 s2, 1
	s_cselect_b32 s2, -1, 0
	s_delay_alu instid0(SALU_CYCLE_1)
	s_and_not1_b32 vcc_lo, exec_lo, s2
	s_cbranch_vccz .LBB1293_4
.LBB1293_2:
	s_endpgm
.LBB1293_3:
.LBB1293_4:
	s_load_b64 s[2:3], s[0:1], 0x28
	s_lshl_b64 s[6:7], s[30:31], 2
	s_waitcnt lgkmcnt(0)
	s_add_u32 s2, s2, s6
	s_addc_u32 s3, s3, s7
	s_lshl_b32 s12, s14, 8
	s_load_b32 s24, s[2:3], 0x0
	s_waitcnt lgkmcnt(0)
	s_cmp_ge_i32 s12, s24
	s_cbranch_scc1 .LBB1293_2
; %bb.5:
	s_clause 0x1
	s_load_b128 s[20:23], s[0:1], 0x8
	s_load_b64 s[2:3], s[0:1], 0x20
	s_and_not1_b32 vcc_lo, exec_lo, s8
	s_cbranch_vccnz .LBB1293_7
; %bb.6:
	s_add_u32 s4, s4, s6
	s_addc_u32 s5, s5, s7
	s_load_b32 s5, s[4:5], 0x0
	s_branch .LBB1293_8
.LBB1293_7:
	s_mov_b32 s5, s30
.LBB1293_8:
	s_load_b128 s[16:19], s[0:1], 0x48
	v_and_b32_e32 v70, 15, v0
	v_lshrrev_b32_e32 v69, 5, v0
	v_and_b32_e32 v71, 31, v0
	v_and_b32_e32 v67, 1, v0
	v_bfe_u32 v66, v0, 4, 1
	v_lshlrev_b32_e32 v1, 3, v70
	s_lshl_b32 s31, s15, 4
	s_mov_b32 s4, exec_lo
	s_delay_alu instid0(VALU_DEP_1)
	v_lshlrev_b32_e32 v65, 1, v1
	v_cmpx_gt_u32_e32 0x100, v0
	s_cbranch_execz .LBB1293_10
; %bb.9:
	v_lshl_or_b32 v5, v69, 1, v66
	s_load_b64 s[6:7], s[0:1], 0x0
	s_waitcnt lgkmcnt(0)
	s_mul_hi_i32 s9, s5, s16
	s_mul_i32 s8, s5, s16
	v_lshlrev_b32_e32 v6, 10, v70
	v_or_b32_e32 v1, s31, v5
	s_lshl_b64 s[8:9], s[8:9], 1
	v_lshlrev_b32_e32 v5, 6, v5
	v_lshlrev_b32_e32 v7, 10, v67
	v_and_b32_e32 v6, 0x3800, v6
	v_lshlrev_b32_e32 v1, 7, v1
	s_delay_alu instid0(VALU_DEP_2) | instskip(NEXT) | instid1(VALU_DEP_2)
	v_or3_b32 v5, v6, v7, v5
	v_ashrrev_i32_e32 v2, 31, v1
	s_delay_alu instid0(VALU_DEP_1) | instskip(SKIP_2) | instid1(VALU_DEP_1)
	v_lshlrev_b64 v[1:2], 1, v[1:2]
	s_add_u32 s5, s6, s8
	s_addc_u32 s6, s7, s9
	v_add_co_u32 v1, vcc_lo, s5, v1
	s_delay_alu instid0(VALU_DEP_2) | instskip(NEXT) | instid1(VALU_DEP_2)
	v_add_co_ci_u32_e32 v2, vcc_lo, s6, v2, vcc_lo
	v_add_co_u32 v1, vcc_lo, v1, v65
	s_delay_alu instid0(VALU_DEP_2)
	v_add_co_ci_u32_e32 v2, vcc_lo, 0, v2, vcc_lo
	global_load_b128 v[1:4], v[1:2], off
	s_waitcnt vmcnt(0)
	ds_store_b128 v5, v[1:4]
.LBB1293_10:
	s_or_b32 exec_lo, exec_lo, s4
	v_and_b32_e32 v1, 0xef, v0
	s_waitcnt lgkmcnt(0)
	s_add_i32 s5, s24, 31
	s_clause 0x1
	s_load_b32 s4, s[0:1], 0x38
	s_load_b32 s33, s[0:1], 0x98
	s_ashr_i32 s6, s5, 31
	v_add_nc_u32_e32 v1, s12, v1
	s_lshr_b32 s6, s6, 27
	s_load_b32 s19, s[0:1], 0x1c
	s_add_i32 s5, s5, s6
	s_waitcnt lgkmcnt(0)
	v_ashrrev_i32_e32 v2, 31, v1
	v_or_b32_e32 v3, 16, v1
	s_ashr_i32 s13, s5, 5
	v_cmp_gt_i32_e32 vcc_lo, s24, v1
	s_add_i32 s13, s13, -1
	v_lshrrev_b32_e32 v2, 27, v2
	s_barrier
	buffer_gl0_inv
	s_mul_i32 s35, s15, s18
	v_add_nc_u32_e32 v4, v1, v2
	s_mul_i32 s4, s30, s4
	s_delay_alu instid0(SALU_CYCLE_1) | instskip(NEXT) | instid1(VALU_DEP_1)
	s_ashr_i32 s5, s4, 31
	v_ashrrev_i32_e32 v4, 5, v4
	v_add_nc_u32_e32 v2, v3, v2
	s_lshl_b64 s[4:5], s[4:5], 2
	s_delay_alu instid0(SALU_CYCLE_1) | instskip(NEXT) | instid1(VALU_DEP_2)
	s_add_u32 s25, s2, s4
	v_cndmask_b32_e32 v1, s13, v4, vcc_lo
	s_delay_alu instid0(VALU_DEP_2)
	v_ashrrev_i32_e32 v2, 5, v2
	v_cmp_gt_i32_e32 vcc_lo, s24, v3
	s_addc_u32 s34, s3, s5
	s_ashr_i32 s36, s35, 31
	s_add_u32 s4, s20, s35
	s_addc_u32 s5, s21, s36
	v_cndmask_b32_e32 v3, s13, v2, vcc_lo
	v_ashrrev_i32_e32 v2, 31, v1
	s_lshl_b32 s2, s14, 3
	s_delay_alu instid0(SALU_CYCLE_1) | instskip(NEXT) | instid1(VALU_DEP_2)
	s_ashr_i32 s3, s2, 31
	v_ashrrev_i32_e32 v4, 31, v3
	s_delay_alu instid0(VALU_DEP_2) | instskip(SKIP_1) | instid1(SALU_CYCLE_1)
	v_lshlrev_b64 v[1:2], 2, v[1:2]
	s_lshl_b64 s[2:3], s[2:3], 2
	s_add_u32 s2, s25, s2
	s_delay_alu instid0(VALU_DEP_2) | instskip(SKIP_1) | instid1(VALU_DEP_2)
	v_lshlrev_b64 v[3:4], 2, v[3:4]
	s_addc_u32 s3, s34, s3
	v_add_co_u32 v1, vcc_lo, s25, v1
	v_add_co_ci_u32_e32 v2, vcc_lo, s34, v2, vcc_lo
	s_delay_alu instid0(VALU_DEP_3) | instskip(NEXT) | instid1(VALU_DEP_4)
	v_add_co_u32 v3, vcc_lo, s25, v3
	v_add_co_ci_u32_e32 v4, vcc_lo, s34, v4, vcc_lo
	s_clause 0x1
	global_load_b32 v5, v[1:2], off
	global_load_b32 v6, v[3:4], off
	s_or_b32 s6, s12, 32
	s_delay_alu instid0(SALU_CYCLE_1) | instskip(SKIP_2) | instid1(SALU_CYCLE_1)
	s_ashr_i32 s7, s6, 5
	s_cmp_lt_i32 s6, s24
	s_cselect_b32 s6, s7, s13
	s_ashr_i32 s7, s6, 31
	s_delay_alu instid0(SALU_CYCLE_1) | instskip(NEXT) | instid1(SALU_CYCLE_1)
	s_lshl_b64 s[6:7], s[6:7], 2
	s_add_u32 s6, s25, s6
	s_addc_u32 s7, s34, s7
	s_or_b32 s8, s12, 64
	s_delay_alu instid0(SALU_CYCLE_1) | instskip(SKIP_2) | instid1(SALU_CYCLE_1)
	s_ashr_i32 s9, s8, 5
	s_cmp_lt_i32 s8, s24
	s_cselect_b32 s8, s9, s13
	s_ashr_i32 s9, s8, 31
	s_delay_alu instid0(SALU_CYCLE_1) | instskip(NEXT) | instid1(SALU_CYCLE_1)
	s_lshl_b64 s[8:9], s[8:9], 2
	s_add_u32 s8, s25, s8
	s_addc_u32 s9, s34, s9
	;; [unrolled: 10-line block ×5, first 2 shown]
	s_clause 0x5
	s_load_b32 s20, s[2:3], 0x0
	s_load_b32 s2, s[6:7], 0x0
	s_load_b32 s3, s[8:9], 0x0
	s_load_b32 s15, s[10:11], 0x0
	s_load_b32 s16, s[26:27], 0x0
	s_load_b32 s18, s[28:29], 0x0
	s_or_b32 s8, s12, 0xc0
	s_delay_alu instid0(SALU_CYCLE_1) | instskip(SKIP_2) | instid1(SALU_CYCLE_1)
	s_ashr_i32 s9, s8, 5
	s_cmp_lt_i32 s8, s24
	s_cselect_b32 s26, s9, s13
	s_ashr_i32 s27, s26, 31
	s_delay_alu instid0(SALU_CYCLE_1) | instskip(NEXT) | instid1(SALU_CYCLE_1)
	s_lshl_b64 s[26:27], s[26:27], 2
	s_add_u32 s26, s25, s26
	s_addc_u32 s27, s34, s27
	s_or_b32 s21, s12, 0xe0
	s_waitcnt vmcnt(1)
	v_mad_i64_i32 v[1:2], null, v5, s17, s[4:5]
	s_waitcnt vmcnt(0)
	v_mad_i64_i32 v[3:4], null, v6, s17, s[4:5]
	s_mov_b32 s4, 0
	s_delay_alu instid0(SALU_CYCLE_1)
	s_mov_b32 s5, s4
	s_mov_b32 s6, s4
	s_mov_b32 s7, s4
	s_mov_b32 s8, s4
	s_mov_b32 s9, s4
	s_mov_b32 s10, s4
	s_mov_b32 s11, s4
	v_lshlrev_b32_e32 v5, 4, v70
	v_dual_mov_b32 v103, s11 :: v_dual_mov_b32 v98, s6
	v_dual_mov_b32 v101, s9 :: v_dual_lshlrev_b32 v68, 6, v70
	s_delay_alu instid0(VALU_DEP_3)
	v_add_co_u32 v33, vcc_lo, v1, v5
	v_add_co_ci_u32_e32 v34, vcc_lo, 0, v2, vcc_lo
	v_add_co_u32 v35, vcc_lo, v3, v5
	v_add_co_ci_u32_e32 v36, vcc_lo, 0, v4, vcc_lo
	s_clause 0xf
	global_load_b128 v[1:4], v[33:34], off
	global_load_b128 v[5:8], v[33:34], off offset:512
	global_load_b128 v[9:12], v[35:36], off offset:256
	global_load_b128 v[13:16], v[35:36], off offset:768
	global_load_b128 v[17:20], v[33:34], off offset:1024
	global_load_b128 v[21:24], v[33:34], off offset:1536
	global_load_b128 v[25:28], v[35:36], off offset:1280
	global_load_b128 v[29:32], v[35:36], off offset:1792
	global_load_b128 v[57:60], v[33:34], off offset:2048
	global_load_b128 v[61:64], v[33:34], off offset:2560
	global_load_b128 v[72:75], v[35:36], off offset:2304
	global_load_b128 v[76:79], v[35:36], off offset:2816
	global_load_b128 v[80:83], v[33:34], off offset:3072
	global_load_b128 v[84:87], v[33:34], off offset:3584
	global_load_b128 v[88:91], v[35:36], off offset:3328
	global_load_b128 v[92:95], v[35:36], off offset:3840
	v_dual_mov_b32 v96, s4 :: v_dual_lshlrev_b32 v41, 5, v70
	v_mov_b32_e32 v102, s10
	v_dual_mov_b32 v100, s8 :: v_dual_mov_b32 v99, s7
	v_mov_b32_e32 v97, s5
	s_ashr_i32 s4, s21, 5
	s_cmp_lt_i32 s21, s24
	ds_load_b128 v[33:36], v68
	ds_load_b128 v[37:40], v68 offset:1024
	s_cselect_b32 s4, s4, s13
	ds_load_b128 v[104:107], v68 offset:2048
	ds_load_b128 v[108:111], v68 offset:3072
	s_ashr_i32 s5, s4, 31
	s_load_b32 s6, s[26:27], 0x0
	s_lshl_b64 s[4:5], s[4:5], 2
	ds_load_b128 v[112:115], v68 offset:4096
	ds_load_b128 v[116:119], v68 offset:5120
	s_add_u32 s4, s25, s4
	s_addc_u32 s5, s34, s5
	v_lshl_or_b32 v41, v69, 9, v41
	s_load_b32 s4, s[4:5], 0x0
	s_add_u32 s7, s22, s35
	s_addc_u32 s8, s23, s36
	s_delay_alu instid0(VALU_DEP_1) | instskip(NEXT) | instid1(VALU_DEP_1)
	v_add_co_u32 v128, s7, s7, v41
	v_add_co_ci_u32_e64 v129, null, s8, 0, s7
	s_waitcnt lgkmcnt(0)
	s_delay_alu instid0(VALU_DEP_1)
	v_mad_i64_i32 v[41:42], null, s20, s17, v[128:129]
	v_mad_i64_i32 v[130:131], null, s3, s17, v[128:129]
	v_mad_i64_i32 v[132:133], null, s15, s17, v[128:129]
	v_mad_i64_i32 v[134:135], null, s16, s17, v[128:129]
	v_mad_i64_i32 v[45:46], null, s2, s17, v[128:129]
	v_mad_i64_i32 v[136:137], null, s18, s17, v[128:129]
	v_mad_i64_i32 v[138:139], null, s6, s17, v[128:129]
	s_clause 0x3
	global_load_b128 v[49:52], v[41:42], off
	global_load_b128 v[53:56], v[41:42], off offset:16
	global_load_b128 v[41:44], v[45:46], off
	global_load_b128 v[45:48], v[45:46], off offset:16
	s_waitcnt vmcnt(18)
	v_wmma_f32_16x16x16_f16 v[120:127], v[1:8], v[33:40], v[96:103]
	s_waitcnt vmcnt(16)
	v_wmma_f32_16x16x16_f16 v[96:103], v[9:16], v[33:40], v[96:103]
	s_clause 0x3
	global_load_b128 v[33:36], v[130:131], off
	global_load_b128 v[37:40], v[130:131], off offset:16
	global_load_b128 v[1:4], v[132:133], off
	global_load_b128 v[5:8], v[132:133], off offset:16
	s_waitcnt vmcnt(18)
	v_wmma_f32_16x16x16_f16 v[120:127], v[17:24], v[104:111], v[120:127]
	s_clause 0x3
	global_load_b128 v[9:12], v[134:135], off
	global_load_b128 v[13:16], v[134:135], off offset:16
	global_load_b128 v[17:20], v[136:137], off
	global_load_b128 v[21:24], v[136:137], off offset:16
	s_waitcnt vmcnt(20)
	v_wmma_f32_16x16x16_f16 v[96:103], v[25:32], v[104:111], v[96:103]
	v_mad_i64_i32 v[104:105], null, s4, s17, v[128:129]
	s_waitcnt vmcnt(18)
	v_wmma_f32_16x16x16_f16 v[120:127], v[57:64], v[112:119], v[120:127]
	s_clause 0x3
	global_load_b128 v[25:28], v[138:139], off
	global_load_b128 v[29:32], v[138:139], off offset:16
	global_load_b128 v[57:60], v[104:105], off
	global_load_b128 v[61:64], v[104:105], off offset:16
	s_waitcnt vmcnt(20)
	v_wmma_f32_16x16x16_f16 v[96:103], v[72:79], v[112:119], v[96:103]
	ds_load_b128 v[72:75], v68 offset:6144
	ds_load_b128 v[76:79], v68 offset:7168
	v_and_b32_e32 v104, 0xe0, v0
	v_mbcnt_lo_u32_b32 v105, -1, 0
	s_waitcnt vmcnt(0) lgkmcnt(0)
	s_barrier
	buffer_gl0_inv
	v_add_nc_u32_e32 v104, s12, v104
	v_xor_b32_e32 v106, 16, v105
	s_delay_alu instid0(VALU_DEP_2) | instskip(NEXT) | instid1(VALU_DEP_2)
	v_or_b32_e32 v104, v104, v66
	v_cmp_gt_i32_e32 vcc_lo, 32, v106
	s_delay_alu instid0(VALU_DEP_2)
	v_or_b32_e32 v107, 4, v104
	v_or_b32_e32 v108, 6, v104
	v_cmp_gt_i32_e64 s2, s24, v104
	v_or_b32_e32 v109, 8, v104
	v_wmma_f32_16x16x16_f16 v[120:127], v[80:87], v[72:79], v[120:127]
	v_cndmask_b32_e32 v105, v105, v106, vcc_lo
	v_or_b32_e32 v106, 2, v104
	v_wmma_f32_16x16x16_f16 v[96:103], v[88:95], v[72:79], v[96:103]
	v_or_b32_e32 v80, 10, v104
	v_dual_mul_f32 v78, s19, v124 :: v_dual_mul_f32 v79, s19, v123
	v_dual_mul_f32 v90, s19, v120 :: v_dual_mul_f32 v89, s19, v121
	s_delay_alu instid0(VALU_DEP_4) | instskip(SKIP_2) | instid1(VALU_DEP_4)
	v_mul_f32_e32 v92, s19, v102
	v_cmp_gt_i32_e32 vcc_lo, s24, v106
	v_dual_mul_f32 v77, s19, v125 :: v_dual_mul_f32 v88, s19, v122
	v_cndmask_b32_e64 v90, 0xff7fffff, v90, s2
	v_cmp_gt_i32_e64 s3, s24, v107
	v_cndmask_b32_e32 v89, 0xff7fffff, v89, vcc_lo
	v_cmp_gt_i32_e64 s4, s24, v108
	v_or_b32_e32 v81, 12, v104
	v_or_b32_e32 v82, 14, v104
	v_cndmask_b32_e64 v88, 0xff7fffff, v88, s3
	v_max3_f32 v89, v90, 0xff7fffff, v89
	v_cndmask_b32_e64 v79, 0xff7fffff, v79, s4
	v_cmp_gt_i32_e64 s5, s24, v109
	v_cmp_gt_i32_e64 s6, s24, v80
	v_or_b32_e32 v83, 16, v104
	v_or_b32_e32 v84, 18, v104
	v_dual_mul_f32 v75, s19, v127 :: v_dual_mul_f32 v76, s19, v126
	v_cndmask_b32_e64 v78, 0xff7fffff, v78, s5
	v_cndmask_b32_e64 v77, 0xff7fffff, v77, s6
	v_max3_f32 v79, v89, v88, v79
	v_cmp_gt_i32_e64 s7, s24, v81
	v_cmp_gt_i32_e64 s8, s24, v82
	v_or_b32_e32 v85, 20, v104
	v_or_b32_e32 v86, 22, v104
	;; [unrolled: 1-line block ×6, first 2 shown]
	v_dual_mul_f32 v95, s19, v99 :: v_dual_mul_f32 v104, s19, v97
	v_mul_f32_e32 v107, s19, v96
	v_cndmask_b32_e64 v76, 0xff7fffff, v76, s7
	v_cndmask_b32_e64 v75, 0xff7fffff, v75, s8
	v_max3_f32 v77, v79, v78, v77
	v_cmp_gt_i32_e64 s9, s24, v83
	v_cmp_gt_i32_e64 s10, s24, v84
	v_dual_mul_f32 v93, s19, v101 :: v_dual_mul_f32 v106, s19, v98
	s_delay_alu instid0(VALU_DEP_4) | instskip(NEXT) | instid1(VALU_DEP_4)
	v_max3_f32 v75, v77, v76, v75
	v_cndmask_b32_e64 v78, 0xff7fffff, v107, s9
	s_delay_alu instid0(VALU_DEP_4) | instskip(SKIP_3) | instid1(VALU_DEP_4)
	v_cndmask_b32_e64 v79, 0xff7fffff, v104, s10
	v_cmp_gt_i32_e64 s11, s24, v85
	v_cmp_gt_i32_e64 s12, s24, v86
	v_dual_mul_f32 v91, s19, v103 :: v_dual_mul_f32 v94, s19, v100
	v_max3_f32 v75, v75, v78, v79
	s_delay_alu instid0(VALU_DEP_4) | instskip(NEXT) | instid1(VALU_DEP_4)
	v_cndmask_b32_e64 v76, 0xff7fffff, v106, s11
	v_cndmask_b32_e64 v77, 0xff7fffff, v95, s12
	v_cmp_gt_i32_e64 s13, s24, v87
	v_cmp_gt_i32_e64 s15, s24, v72
	;; [unrolled: 1-line block ×4, first 2 shown]
	v_max3_f32 v75, v75, v76, v77
	v_cndmask_b32_e64 v78, 0xff7fffff, v94, s13
	v_cndmask_b32_e64 v72, 0xff7fffff, v93, s15
	;; [unrolled: 1-line block ×4, first 2 shown]
	s_delay_alu instid0(VALU_DEP_3) | instskip(SKIP_1) | instid1(VALU_DEP_2)
	v_max3_f32 v72, v75, v78, v72
	v_lshlrev_b32_e32 v75, 2, v105
	v_max3_f32 v72, v72, v73, v74
	ds_bpermute_b32 v73, v75, v72
	s_waitcnt lgkmcnt(0)
	v_max_f32_e32 v73, v73, v73
	s_delay_alu instid0(VALU_DEP_1) | instskip(NEXT) | instid1(VALU_DEP_1)
	v_max_f32_e32 v72, v72, v73
	v_fma_f32 v76, s19, v122, -v72
	v_fma_f32 v73, s19, v120, -v72
	;; [unrolled: 1-line block ×5, first 2 shown]
	v_mul_f32_e32 v76, 0x3fb8aa3b, v76
	v_fma_f32 v82, s19, v126, -v72
	v_mul_f32_e32 v74, 0x3fb8aa3b, v74
	v_fma_f32 v86, s19, v99, -v72
	v_fma_f32 v91, s19, v103, -v72
	v_exp_f32_e32 v76, v76
	v_mul_f32_e32 v82, 0x3fb8aa3b, v82
	v_exp_f32_e32 v74, v74
	v_mul_f32_e32 v88, 0x3fb8aa3b, v86
	v_fma_f32 v89, s19, v101, -v72
	s_delay_alu instid0(VALU_DEP_3) | instskip(NEXT) | instid1(VALU_DEP_2)
	v_exp_f32_e32 v84, v82
	v_exp_f32_e32 v90, v88
	s_delay_alu instid0(VALU_DEP_1)
	v_mul_f32_e32 v89, 0x3fb8aa3b, v89
	v_cndmask_b32_e64 v80, 0, v76, s3
	v_mul_f32_e32 v73, 0x3fb8aa3b, v73
	v_fma_f32 v76, s19, v127, -v72
	v_mul_f32_e32 v77, 0x3fb8aa3b, v77
	v_exp_f32_e32 v89, v89
	s_delay_alu instid0(VALU_DEP_3) | instskip(NEXT) | instid1(VALU_DEP_2)
	v_exp_f32_e32 v73, v73
	v_mul_f32_e32 v76, 0x3fb8aa3b, v76
	s_delay_alu instid0(VALU_DEP_2) | instskip(SKIP_2) | instid1(VALU_DEP_3)
	v_exp_f32_e32 v81, v77
	v_cndmask_b32_e32 v77, 0, v74, vcc_lo
	v_cndmask_b32_e64 v84, 0, v84, s7
	v_exp_f32_e32 v76, v76
	v_cndmask_b32_e64 v89, 0, v89, s15
	s_delay_alu instid0(TRANS32_DEP_3) | instskip(SKIP_2) | instid1(VALU_DEP_2)
	v_cndmask_b32_e64 v78, 0, v73, s2
	v_fma_f32 v73, s19, v125, -v72
	s_mov_b32 s2, exec_lo
	v_dual_add_f32 v74, 0, v78 :: v_dual_mul_f32 v79, 0x3fb8aa3b, v79
	s_delay_alu instid0(VALU_DEP_2) | instskip(NEXT) | instid1(VALU_DEP_2)
	v_mul_f32_e32 v73, 0x3fb8aa3b, v73
	v_add_f32_e32 v74, v74, v77
	s_delay_alu instid0(VALU_DEP_3) | instskip(NEXT) | instid1(VALU_DEP_2)
	v_exp_f32_e32 v83, v79
	v_exp_f32_e32 v73, v73
	v_cndmask_b32_e64 v79, 0, v81, s4
	v_fma_f32 v81, s19, v96, -v72
	s_delay_alu instid0(VALU_DEP_1) | instskip(NEXT) | instid1(VALU_DEP_1)
	v_dual_add_f32 v74, v74, v80 :: v_dual_mul_f32 v85, 0x3fb8aa3b, v81
	v_add_f32_e32 v74, v74, v79
	s_waitcnt_depctr 0xfff
	v_cndmask_b32_e64 v82, 0, v83, s5
	v_fma_f32 v83, s19, v97, -v72
	v_cndmask_b32_e64 v81, 0, v73, s6
	v_exp_f32_e32 v85, v85
	s_delay_alu instid0(VALU_DEP_2) | instskip(NEXT) | instid1(VALU_DEP_1)
	v_mul_f32_e32 v83, 0x3fb8aa3b, v83
	v_exp_f32_e32 v87, v83
	v_cndmask_b32_e64 v83, 0, v76, s8
	v_fma_f32 v76, s19, v100, -v72
	v_add_f32_e32 v73, v74, v82
	v_fma_f32 v74, s19, v98, -v72
	s_delay_alu instid0(TRANS32_DEP_2) | instskip(NEXT) | instid1(VALU_DEP_4)
	v_cndmask_b32_e64 v86, 0, v85, s9
	v_mul_f32_e32 v76, 0x3fb8aa3b, v76
	s_delay_alu instid0(VALU_DEP_3) | instskip(NEXT) | instid1(TRANS32_DEP_1)
	v_mul_f32_e32 v74, 0x3fb8aa3b, v74
	v_cndmask_b32_e64 v85, 0, v87, s10
	v_fma_f32 v87, s19, v102, -v72
	v_add_f32_e32 v73, v73, v81
	v_exp_f32_e32 v76, v76
	v_exp_f32_e32 v74, v74
	s_waitcnt_depctr 0xfff
	v_cndmask_b32_e64 v88, 0, v74, s11
	v_dual_mul_f32 v74, 0x3fb8aa3b, v87 :: v_dual_add_f32 v73, v73, v84
	v_cndmask_b32_e64 v87, 0, v90, s12
	v_cndmask_b32_e64 v90, 0, v76, s13
	v_mul_f32_e32 v76, 0x3fb8aa3b, v91
	s_delay_alu instid0(VALU_DEP_4) | instskip(SKIP_1) | instid1(VALU_DEP_2)
	v_exp_f32_e32 v74, v74
	v_add_f32_e32 v73, v73, v83
	v_exp_f32_e32 v76, v76
	s_delay_alu instid0(VALU_DEP_1) | instskip(SKIP_4) | instid1(VALU_DEP_2)
	v_add_f32_e32 v73, v73, v86
	s_waitcnt_depctr 0xfff
	v_cndmask_b32_e64 v92, 0, v74, s16
	v_add_f32_e32 v73, v73, v85
	v_cndmask_b32_e64 v91, 0, v76, s17
	v_add_f32_e32 v73, v73, v88
	s_delay_alu instid0(VALU_DEP_1) | instskip(NEXT) | instid1(VALU_DEP_1)
	v_add_f32_e32 v73, v73, v87
	v_add_f32_e32 v73, v73, v90
	s_delay_alu instid0(VALU_DEP_1) | instskip(NEXT) | instid1(VALU_DEP_1)
	v_add_f32_e32 v73, v73, v89
	v_add_f32_e32 v73, v73, v92
	s_delay_alu instid0(VALU_DEP_1)
	v_add_f32_e32 v73, v73, v91
	ds_bpermute_b32 v74, v75, v73
	v_cmpx_gt_u32_e32 16, v71
	s_cbranch_execz .LBB1293_12
; %bb.11:
	v_mul_u32_u24_e32 v71, 0x44, v69
	s_waitcnt lgkmcnt(0)
	v_add_f32_e32 v73, v73, v74
	s_delay_alu instid0(VALU_DEP_2) | instskip(NEXT) | instid1(VALU_DEP_1)
	v_lshl_add_u32 v71, v70, 2, v71
	v_add_nc_u32_e32 v71, 0x4000, v71
	ds_store_2addr_b32 v71, v72, v73 offset1:136
.LBB1293_12:
	s_or_b32 exec_lo, exec_lo, s2
	v_lshlrev_b32_e32 v70, 2, v70
	s_load_b32 s34, s[0:1], 0x94
	s_waitcnt lgkmcnt(0)
	s_barrier
	buffer_gl0_inv
	v_add_nc_u32_e32 v74, 0x4000, v70
	v_cmp_eq_u32_e32 vcc_lo, 1, v69
	v_cmp_eq_u32_e64 s2, 2, v69
	v_cmp_eq_u32_e64 s3, 3, v69
	;; [unrolled: 1-line block ×3, first 2 shown]
	ds_load_2addr_b32 v[70:71], v74 offset1:17
	ds_load_2addr_b32 v[72:73], v74 offset0:34 offset1:51
	ds_load_2addr_b32 v[93:94], v74 offset0:68 offset1:85
	;; [unrolled: 1-line block ×3, first 2 shown]
	v_cmp_eq_u32_e64 s5, 7, v69
	s_waitcnt lgkmcnt(3)
	v_max3_f32 v75, v70, 0xff7fffff, v71
	s_waitcnt lgkmcnt(2)
	s_delay_alu instid0(VALU_DEP_1) | instskip(SKIP_1) | instid1(VALU_DEP_1)
	v_max3_f32 v75, v75, v72, v73
	s_waitcnt lgkmcnt(1)
	v_max3_f32 v75, v75, v93, v94
	s_waitcnt lgkmcnt(0)
	s_delay_alu instid0(VALU_DEP_1) | instskip(NEXT) | instid1(VALU_DEP_1)
	v_max3_f32 v75, v75, v95, v96
	v_sub_f32_e32 v93, v93, v75
	ds_load_2addr_b32 v[97:98], v74 offset0:136 offset1:153
	v_sub_f32_e32 v70, v70, v75
	v_dual_sub_f32 v100, v73, v75 :: v_dual_mul_f32 v103, 0x3fb8aa3b, v93
	s_delay_alu instid0(VALU_DEP_2) | instskip(SKIP_3) | instid1(VALU_DEP_1)
	v_dual_sub_f32 v76, v71, v75 :: v_dual_mul_f32 v99, 0x3fb8aa3b, v70
	ds_load_2addr_b32 v[70:71], v74 offset0:170 offset1:187
	v_mul_f32_e32 v76, 0x3fb8aa3b, v76
	v_exp_f32_e32 v99, v99
	v_exp_f32_e32 v102, v76
	v_mul_f32_e32 v100, 0x3fb8aa3b, v100
	s_waitcnt lgkmcnt(1)
	s_waitcnt_depctr 0xfff
	v_fma_f32 v76, v99, v97, 0
	v_sub_f32_e32 v97, v94, v75
	v_sub_f32_e32 v72, v72, v75
	v_exp_f32_e32 v100, v100
	ds_load_2addr_b32 v[93:94], v74 offset0:238 offset1:255
	v_dual_fmac_f32 v76, v102, v98 :: v_dual_mul_f32 v101, 0x3fb8aa3b, v72
	ds_load_2addr_b32 v[72:73], v74 offset0:204 offset1:221
	v_dual_sub_f32 v74, v95, v75 :: v_dual_mul_f32 v95, 0x3fb8aa3b, v97
	v_exp_f32_e32 v97, v103
	v_exp_f32_e32 v101, v101
	s_waitcnt lgkmcnt(0)
	s_delay_alu instid0(VALU_DEP_1)
	v_mul_f32_e32 v74, 0x3fb8aa3b, v74
	v_exp_f32_e32 v95, v95
	s_barrier
	buffer_gl0_inv
	v_fmac_f32_e32 v76, v101, v70
	v_sub_f32_e32 v70, v96, v75
	v_exp_f32_e32 v96, v74
	s_delay_alu instid0(VALU_DEP_2) | instskip(NEXT) | instid1(VALU_DEP_2)
	v_fmac_f32_e32 v76, v100, v71
	v_mul_f32_e32 v70, 0x3fb8aa3b, v70
	s_delay_alu instid0(VALU_DEP_2) | instskip(NEXT) | instid1(VALU_DEP_2)
	v_dual_cndmask_b32 v71, v99, v102 :: v_dual_fmac_f32 v76, v97, v72
	v_exp_f32_e32 v98, v70
	s_delay_alu instid0(VALU_DEP_1) | instskip(SKIP_2) | instid1(VALU_DEP_1)
	v_fmac_f32_e32 v76, v95, v73
	s_waitcnt_depctr 0xfff
	v_fmac_f32_e32 v76, v96, v93
	v_fmac_f32_e32 v76, v98, v94
	s_delay_alu instid0(VALU_DEP_1) | instskip(NEXT) | instid1(VALU_DEP_1)
	v_add_f32_e32 v93, 0x358637bd, v76
	v_div_scale_f32 v94, null, v93, v93, 1.0
	v_div_scale_f32 v99, vcc_lo, 1.0, v93, 1.0
	s_delay_alu instid0(VALU_DEP_2) | instskip(SKIP_2) | instid1(VALU_DEP_1)
	v_rcp_f32_e32 v103, v94
	s_waitcnt_depctr 0xfff
	v_fma_f32 v70, -v94, v103, 1.0
	v_fmac_f32_e32 v103, v70, v103
	v_cndmask_b32_e64 v70, v71, v101, s2
	v_cmp_eq_u32_e64 s2, 4, v69
	v_lshlrev_b32_e32 v71, 2, v66
	s_delay_alu instid0(VALU_DEP_4) | instskip(NEXT) | instid1(VALU_DEP_4)
	v_mul_f32_e32 v101, v99, v103
	v_cndmask_b32_e64 v72, v70, v100, s3
	v_cmp_eq_u32_e64 s3, 6, v69
	v_lshl_or_b32 v70, v69, 11, v68
	v_or_b32_e32 v74, 1, v71
	v_fma_f32 v73, -v94, v101, v99
	v_cndmask_b32_e64 v72, v72, v97, s2
	v_cmp_eq_u32_e64 s2, 1, v71
	v_lshl_or_b32 v69, v66, 4, v70
	v_cmp_eq_u32_e64 s8, 1, v74
	v_fmac_f32_e32 v101, v73, v103
	v_cndmask_b32_e64 v95, v72, v95, s4
	v_or_b32_e32 v72, 2, v71
	v_or_b32_e32 v73, 3, v71
	v_cmp_eq_u32_e64 s11, 2, v74
	v_fma_f32 v94, -v94, v101, v99
	v_cndmask_b32_e64 v95, v95, v96, s3
	v_cmp_eq_u32_e64 s9, 1, v72
	v_cmp_eq_u32_e64 s10, 1, v73
	v_cmp_eq_u32_e64 s13, 2, v72
	v_div_fmas_f32 v94, v94, v103, v101
	v_cndmask_b32_e64 v95, v95, v98, s5
	v_cmp_eq_u32_e32 vcc_lo, 2, v71
	v_cmp_eq_u32_e64 s15, 2, v73
	v_cmp_eq_u32_e64 s17, 3, v73
	v_div_fixup_f32 v93, v94, v93, 1.0
	v_cmp_eq_u32_e64 s3, 3, v71
	v_cmp_eq_u32_e64 s12, 3, v74
	;; [unrolled: 1-line block ×4, first 2 shown]
	v_mul_f32_e32 v101, v95, v93
	v_cmp_eq_u32_e64 s4, 4, v71
	v_cmp_eq_u32_e64 s18, 4, v74
	;; [unrolled: 1-line block ×4, first 2 shown]
	v_fma_mixlo_f16 v93, v101, v78, 0
	v_fma_mixlo_f16 v94, v101, v80, 0
	;; [unrolled: 1-line block ×8, first 2 shown]
	v_fma_mixhi_f16 v93, v101, v77, 0
	v_fma_mixhi_f16 v94, v101, v79, 0
	;; [unrolled: 1-line block ×8, first 2 shown]
	ds_store_b128 v69, v[93:96]
	ds_store_b128 v69, v[97:100] offset:1024
	s_waitcnt lgkmcnt(0)
	s_barrier
	buffer_gl0_inv
	ds_load_b128 v[77:80], v70
	ds_load_b128 v[81:84], v70 offset:16
	ds_load_b128 v[85:88], v70 offset:1024
	;; [unrolled: 1-line block ×3, first 2 shown]
	v_cmp_eq_u32_e64 s5, 5, v71
	v_cmp_eq_u32_e64 s19, 5, v74
	;; [unrolled: 1-line block ×11, first 2 shown]
	s_waitcnt lgkmcnt(3)
	v_lshrrev_b32_e32 v93, 16, v77
	s_waitcnt lgkmcnt(2)
	v_lshrrev_b32_e32 v97, 16, v81
	;; [unrolled: 2-line block ×4, first 2 shown]
	v_lshrrev_b32_e32 v94, 16, v78
	v_cndmask_b32_e64 v109, v77, v93, s2
	v_cndmask_b32_e64 v110, v81, v97, s2
	;; [unrolled: 1-line block ×8, first 2 shown]
	v_lshrrev_b32_e32 v98, 16, v82
	v_cndmask_b32_e64 v93, v85, v101, s2
	v_cndmask_b32_e64 v97, v89, v105, s2
	;; [unrolled: 1-line block ×5, first 2 shown]
	v_cndmask_b32_e32 v101, v109, v78, vcc_lo
	v_cndmask_b32_e64 v109, v111, v78, s11
	v_cndmask_b32_e64 v111, v113, v78, s13
	;; [unrolled: 1-line block ×4, first 2 shown]
	v_lshrrev_b32_e32 v102, 16, v86
	v_lshrrev_b32_e32 v106, 16, v90
	v_cndmask_b32_e64 v116, v89, v105, s8
	v_cndmask_b32_e64 v118, v89, v105, s9
	;; [unrolled: 1-line block ×3, first 2 shown]
	v_cndmask_b32_e32 v105, v110, v82, vcc_lo
	v_cndmask_b32_e64 v110, v112, v82, s11
	v_cndmask_b32_e64 v112, v114, v82, s13
	v_cndmask_b32_e32 v81, v93, v86, vcc_lo
	v_cndmask_b32_e32 v82, v97, v90, vcc_lo
	v_cndmask_b32_e64 v93, v115, v86, s11
	v_cndmask_b32_e64 v77, v77, v94, s17
	;; [unrolled: 1-line block ×3, first 2 shown]
	v_lshrrev_b32_e32 v95, 16, v79
	v_lshrrev_b32_e32 v99, 16, v83
	v_cndmask_b32_e64 v97, v117, v86, s13
	v_cndmask_b32_e64 v85, v85, v86, s15
	;; [unrolled: 1-line block ×14, first 2 shown]
	v_lshrrev_b32_e32 v103, 16, v87
	v_cndmask_b32_e64 v89, v89, v79, s4
	v_cndmask_b32_e64 v94, v101, v83, s4
	;; [unrolled: 1-line block ×11, first 2 shown]
	v_lshrrev_b32_e32 v96, 16, v80
	v_lshrrev_b32_e32 v100, 16, v84
	v_cndmask_b32_e64 v83, v89, v95, s5
	v_cndmask_b32_e64 v89, v94, v99, s5
	;; [unrolled: 1-line block ×9, first 2 shown]
	v_lshrrev_b32_e32 v104, 16, v88
	v_cndmask_b32_e64 v79, v79, v103, s5
	v_cndmask_b32_e64 v83, v83, v80, s6
	;; [unrolled: 1-line block ×19, first 2 shown]
	v_perm_b32 v80, v78, v77, 0x5040100
	v_cndmask_b32_e64 v77, v116, v90, s11
	v_cndmask_b32_e64 v95, v79, v104, s7
	v_perm_b32 v79, v93, v89, 0x5040100
	v_perm_b32 v78, v94, v84, 0x5040100
	v_cndmask_b32_e64 v84, v97, v102, s16
	v_cndmask_b32_e64 v85, v85, v102, s17
	;; [unrolled: 1-line block ×5, first 2 shown]
	v_lshrrev_b32_e32 v107, 16, v91
	v_cndmask_b32_e64 v84, v84, v87, s20
	v_cndmask_b32_e64 v85, v85, v87, s21
	;; [unrolled: 1-line block ×11, first 2 shown]
	v_lshrrev_b32_e32 v108, 16, v92
	v_cndmask_b32_e64 v81, v81, v92, s6
	v_cndmask_b32_e64 v84, v84, v88, s25
	;; [unrolled: 1-line block ×12, first 2 shown]
	v_perm_b32 v77, v83, v82, 0x5040100
	v_perm_b32 v84, v85, v84, 0x5040100
	;; [unrolled: 1-line block ×5, first 2 shown]
	s_lshl_b32 s7, s33, 4
	s_mov_b32 s2, exec_lo
	ds_store_b128 v69, v[77:80]
	ds_store_b128 v69, v[81:84] offset:1024
	v_cmpx_gt_u32_e32 16, v0
	s_cbranch_execz .LBB1293_14
; %bb.13:
	v_or_b32_e32 v77, s31, v0
	s_load_b128 s[8:11], s[0:1], 0x58
	s_delay_alu instid0(VALU_DEP_1) | instskip(NEXT) | instid1(VALU_DEP_1)
	v_mad_u64_u32 v[78:79], null, s7, s30, v[77:78]
	v_mad_u64_u32 v[79:80], null, v78, s34, s[14:15]
	s_delay_alu instid0(VALU_DEP_1) | instskip(NEXT) | instid1(VALU_DEP_1)
	v_ashrrev_i32_e32 v80, 31, v79
	v_lshlrev_b64 v[77:78], 2, v[79:80]
	s_waitcnt lgkmcnt(0)
	s_delay_alu instid0(VALU_DEP_1) | instskip(NEXT) | instid1(VALU_DEP_2)
	v_add_co_u32 v79, vcc_lo, s10, v77
	v_add_co_ci_u32_e32 v80, vcc_lo, s11, v78, vcc_lo
	v_add_co_u32 v77, vcc_lo, s8, v77
	v_add_co_ci_u32_e32 v78, vcc_lo, s9, v78, vcc_lo
	global_store_b32 v[79:80], v75, off
	global_store_b32 v[77:78], v76, off
.LBB1293_14:
	s_or_b32 exec_lo, exec_lo, s2
	s_waitcnt lgkmcnt(0)
	s_waitcnt_vscnt null, 0x0
	s_barrier
	buffer_gl0_inv
	ds_load_b128 v[83:86], v68
	ds_load_b128 v[87:90], v68 offset:16
	ds_load_b128 v[95:98], v68 offset:2064
	;; [unrolled: 1-line block ×5, first 2 shown]
	v_cmp_eq_u32_e32 vcc_lo, 1, v71
	v_mov_b32_e32 v75, 0
	ds_load_b128 v[111:114], v68 offset:6160
	ds_load_b128 v[107:110], v68 offset:6144
	;; [unrolled: 1-line block ×4, first 2 shown]
	v_cmp_eq_u32_e64 s3, 1, v72
	v_cmp_eq_u32_e64 s2, 1, v74
	;; [unrolled: 1-line block ×3, first 2 shown]
	v_mov_b32_e32 v76, v75
	v_mov_b32_e32 v77, v75
	;; [unrolled: 1-line block ×7, first 2 shown]
	v_cmp_eq_u32_e64 s5, 3, v74
	v_cmp_eq_u32_e64 s6, 7, v74
	s_waitcnt lgkmcnt(8)
	s_delay_alu instid0(VALU_DEP_3)
	v_wmma_f32_16x16x16_f16 v[75:82], v[49:56], v[83:90], v[75:82]
	ds_load_b128 v[53:56], v68 offset:10256
	ds_load_b128 v[49:52], v68 offset:10240
	s_waitcnt lgkmcnt(8)
	v_wmma_f32_16x16x16_f16 v[75:82], v[41:48], v[91:98], v[75:82]
	ds_load_b128 v[45:48], v68 offset:12304
	ds_load_b128 v[41:44], v68 offset:12288
	s_waitcnt lgkmcnt(8)
	;; [unrolled: 4-line block ×3, first 2 shown]
	s_barrier
	buffer_gl0_inv
	v_wmma_f32_16x16x16_f16 v[75:82], v[1:8], v[107:114], v[75:82]
	s_delay_alu instid0(VALU_DEP_1) | instskip(NEXT) | instid1(VALU_DEP_1)
	v_wmma_f32_16x16x16_f16 v[75:82], v[9:16], v[115:122], v[75:82]
	v_wmma_f32_16x16x16_f16 v[75:82], v[17:24], v[49:56], v[75:82]
	s_delay_alu instid0(VALU_DEP_1) | instskip(NEXT) | instid1(VALU_DEP_1)
	v_wmma_f32_16x16x16_f16 v[75:82], v[25:32], v[41:48], v[75:82]
	v_wmma_f32_16x16x16_f16 v[75:82], v[57:64], v[33:40], v[75:82]
	s_delay_alu instid0(VALU_DEP_1) | instskip(NEXT) | instid1(VALU_DEP_2)
	v_cvt_f16_f32_e32 v1, v75
	v_cvt_f16_f32_e32 v2, v76
	s_delay_alu instid0(VALU_DEP_3) | instskip(NEXT) | instid1(VALU_DEP_4)
	v_cvt_f16_f32_e32 v3, v77
	v_cvt_f16_f32_e32 v4, v78
	v_cvt_f16_f32_e32 v5, v79
	v_cvt_f16_f32_e32 v6, v80
	v_cvt_f16_f32_e32 v7, v81
	v_cvt_f16_f32_e32 v8, v82
	v_pack_b32_f16 v1, v1, v2
	v_pack_b32_f16 v2, v3, v4
	;; [unrolled: 1-line block ×3, first 2 shown]
	s_delay_alu instid0(VALU_DEP_4)
	v_pack_b32_f16 v4, v7, v8
	ds_store_b128 v69, v[1:4]
	s_waitcnt lgkmcnt(0)
	s_barrier
	buffer_gl0_inv
	ds_load_b128 v[1:4], v70
	ds_load_b128 v[5:8], v70 offset:16
	s_waitcnt lgkmcnt(1)
	v_lshrrev_b32_e32 v9, 16, v1
	s_waitcnt lgkmcnt(0)
	v_lshrrev_b32_e32 v13, 16, v5
	v_lshrrev_b32_e32 v10, 16, v2
	;; [unrolled: 1-line block ×4, first 2 shown]
	v_cndmask_b32_e32 v17, v1, v9, vcc_lo
	v_cndmask_b32_e32 v18, v5, v13, vcc_lo
	v_cndmask_b32_e64 v21, v1, v9, s3
	v_cmp_eq_u32_e32 vcc_lo, 1, v73
	v_cndmask_b32_e64 v22, v5, v13, s3
	v_cmp_eq_u32_e64 s3, 2, v71
	v_cndmask_b32_e64 v19, v1, v9, s2
	v_cndmask_b32_e64 v20, v5, v13, s2
	v_cndmask_b32_e32 v1, v1, v9, vcc_lo
	v_cmp_eq_u32_e64 s2, 2, v73
	v_cndmask_b32_e32 v5, v5, v13, vcc_lo
	v_cndmask_b32_e64 v9, v17, v2, s3
	v_cmp_eq_u32_e32 vcc_lo, 3, v71
	v_cndmask_b32_e64 v13, v18, v6, s3
	v_cmp_eq_u32_e64 s3, 2, v72
	v_cndmask_b32_e64 v17, v19, v2, s4
	v_cndmask_b32_e64 v18, v20, v6, s4
	v_cmp_eq_u32_e64 s4, 3, v72
	v_cndmask_b32_e64 v1, v1, v2, s2
	v_cndmask_b32_e64 v19, v21, v2, s3
	;; [unrolled: 1-line block ×4, first 2 shown]
	v_cndmask_b32_e32 v5, v9, v10, vcc_lo
	v_cndmask_b32_e32 v6, v13, v14, vcc_lo
	v_cmp_eq_u32_e32 vcc_lo, 3, v73
	v_cndmask_b32_e64 v9, v17, v10, s5
	v_cndmask_b32_e64 v13, v18, v14, s5
	v_cndmask_b32_e64 v18, v20, v14, s4
	v_cmp_eq_u32_e64 s3, 4, v71
	v_cndmask_b32_e32 v1, v1, v10, vcc_lo
	v_cndmask_b32_e32 v2, v2, v14, vcc_lo
	v_cmp_eq_u32_e32 vcc_lo, 4, v74
	v_lshrrev_b32_e32 v15, 16, v7
	v_lshrrev_b32_e32 v16, 16, v8
	v_cndmask_b32_e64 v17, v19, v10, s4
	v_cmp_eq_u32_e64 s2, 4, v73
	v_cndmask_b32_e64 v5, v5, v3, s3
	v_cndmask_b32_e64 v6, v6, v7, s3
	v_cndmask_b32_e32 v9, v9, v3, vcc_lo
	v_cmp_eq_u32_e64 s3, 5, v74
	v_cndmask_b32_e32 v10, v13, v7, vcc_lo
	v_cmp_eq_u32_e32 vcc_lo, 4, v72
	v_cmp_eq_u32_e64 s4, 5, v71
	v_cndmask_b32_e64 v2, v2, v7, s2
	v_cndmask_b32_e64 v9, v9, v11, s3
	;; [unrolled: 1-line block ×3, first 2 shown]
	v_cndmask_b32_e32 v13, v17, v3, vcc_lo
	v_cmp_eq_u32_e64 s3, 5, v72
	v_cndmask_b32_e32 v14, v18, v7, vcc_lo
	v_cndmask_b32_e64 v1, v1, v3, s2
	v_cmp_eq_u32_e32 vcc_lo, 5, v73
	v_lshrrev_b32_e32 v12, 16, v4
	v_cndmask_b32_e64 v13, v13, v11, s3
	v_cndmask_b32_e64 v3, v14, v15, s3
	v_cmp_eq_u32_e64 s3, 6, v73
	v_cndmask_b32_e32 v1, v1, v11, vcc_lo
	v_cndmask_b32_e64 v5, v5, v11, s4
	v_cmp_eq_u32_e64 s5, 6, v71
	v_cndmask_b32_e64 v6, v6, v15, s4
	v_cmp_eq_u32_e64 s4, 6, v74
	v_cmp_eq_u32_e64 s2, 6, v72
	v_cndmask_b32_e64 v1, v1, v4, s3
	v_cndmask_b32_e32 v2, v2, v15, vcc_lo
	v_cmp_eq_u32_e32 vcc_lo, 7, v73
	v_cndmask_b32_e64 v5, v5, v4, s5
	v_cndmask_b32_e64 v9, v9, v4, s4
	;; [unrolled: 1-line block ×3, first 2 shown]
	v_cmp_eq_u32_e64 s5, 7, v71
	v_cndmask_b32_e32 v1, v1, v12, vcc_lo
	v_cndmask_b32_e64 v7, v13, v4, s2
	v_cndmask_b32_e64 v3, v3, v8, s2
	;; [unrolled: 1-line block ×3, first 2 shown]
	v_cmp_eq_u32_e64 s2, 7, v72
	v_cndmask_b32_e64 v4, v10, v8, s4
	v_cndmask_b32_e64 v5, v5, v12, s5
	;; [unrolled: 1-line block ×3, first 2 shown]
	v_cndmask_b32_e32 v2, v2, v16, vcc_lo
	v_cndmask_b32_e64 v7, v7, v12, s2
	v_cndmask_b32_e64 v3, v3, v16, s2
	v_cndmask_b32_e64 v8, v4, v16, s6
	v_cndmask_b32_e64 v6, v6, v16, s5
	v_perm_b32 v4, v2, v1, 0x5040100
	s_mov_b32 s2, exec_lo
	v_perm_b32 v3, v3, v7, 0x5040100
	v_perm_b32 v2, v8, v9, 0x5040100
	;; [unrolled: 1-line block ×3, first 2 shown]
	ds_store_b128 v69, v[1:4]
	s_waitcnt lgkmcnt(0)
	s_barrier
	buffer_gl0_inv
	v_cmpx_gt_u32_e32 32, v0
	s_cbranch_execz .LBB1293_2
; %bb.15:
	s_load_b64 s[0:1], s[0:1], 0x68
	v_lshlrev_b32_e32 v0, 10, v0
	s_lshl_b32 s4, s34, 7
	v_or_b32_e32 v23, s31, v66
	s_mul_i32 s2, s4, s30
	v_lshlrev_b32_e32 v1, 4, v67
	v_lshlrev_b32_e32 v2, 6, v66
	s_mul_i32 s2, s2, s7
	v_and_b32_e32 v0, 0x3800, v0
	v_mul_lo_u32 v8, v23, s4
	s_ashr_i32 s3, s2, 31
	v_or_b32_e32 v3, 2, v23
	s_lshl_b64 s[2:3], s[2:3], 1
	v_or3_b32 v27, v0, v1, v2
	v_or_b32_e32 v11, 4, v23
	v_or_b32_e32 v18, 6, v23
	v_mul_lo_u32 v10, v3, s4
	v_ashrrev_i32_e32 v9, 31, v8
	ds_load_b128 v[0:3], v27
	ds_load_b128 v[4:7], v27 offset:128
	v_mul_lo_u32 v12, v11, s4
	s_waitcnt lgkmcnt(0)
	s_add_u32 s2, s0, s2
	s_addc_u32 s3, s1, s3
	s_lshl_b32 s0, s14, 7
	v_lshlrev_b64 v[8:9], 1, v[8:9]
	s_ashr_i32 s1, s0, 31
	v_ashrrev_i32_e32 v11, 31, v10
	s_lshl_b64 s[0:1], s[0:1], 1
	v_ashrrev_i32_e32 v13, 31, v12
	s_add_u32 s0, s2, s0
	s_addc_u32 s1, s3, s1
	v_add_co_u32 v30, s0, s0, v65
	s_delay_alu instid0(VALU_DEP_1) | instskip(SKIP_1) | instid1(VALU_DEP_3)
	v_add_co_ci_u32_e64 v31, null, s1, 0, s0
	v_lshlrev_b64 v[16:17], 1, v[10:11]
	v_add_co_u32 v14, vcc_lo, v30, v8
	s_delay_alu instid0(VALU_DEP_3)
	v_add_co_ci_u32_e32 v15, vcc_lo, v31, v9, vcc_lo
	ds_load_b128 v[8:11], v27 offset:256
	v_mul_lo_u32 v18, v18, s4
	v_or_b32_e32 v19, 8, v23
	v_add_co_u32 v16, vcc_lo, v30, v16
	global_store_b128 v[14:15], v[0:3], off
	v_lshlrev_b64 v[0:1], 1, v[12:13]
	v_add_co_ci_u32_e32 v17, vcc_lo, v31, v17, vcc_lo
	v_mul_lo_u32 v12, v19, s4
	v_ashrrev_i32_e32 v19, 31, v18
	v_or_b32_e32 v14, 10, v23
	global_store_b128 v[16:17], v[4:7], off
	v_add_co_u32 v4, vcc_lo, v30, v0
	v_add_co_ci_u32_e32 v5, vcc_lo, v31, v1, vcc_lo
	ds_load_b128 v[0:3], v27 offset:384
	v_ashrrev_i32_e32 v13, 31, v12
	v_lshlrev_b64 v[6:7], 1, v[18:19]
	v_mul_lo_u32 v14, v14, s4
	s_waitcnt lgkmcnt(1)
	global_store_b128 v[4:5], v[8:11], off
	v_or_b32_e32 v8, 12, v23
	v_lshlrev_b64 v[4:5], 1, v[12:13]
	v_add_co_u32 v20, vcc_lo, v30, v6
	v_or_b32_e32 v6, 14, v23
	v_ashrrev_i32_e32 v15, 31, v14
	v_mul_lo_u32 v22, v8, s4
	v_add_co_ci_u32_e32 v21, vcc_lo, v31, v7, vcc_lo
	v_add_co_u32 v24, vcc_lo, v30, v4
	v_mul_lo_u32 v26, v6, s4
	v_add_co_ci_u32_e32 v25, vcc_lo, v31, v5, vcc_lo
	v_lshlrev_b64 v[28:29], 1, v[14:15]
	ds_load_b128 v[4:7], v27 offset:512
	ds_load_b128 v[8:11], v27 offset:640
	;; [unrolled: 1-line block ×4, first 2 shown]
	v_ashrrev_i32_e32 v23, 31, v22
	v_ashrrev_i32_e32 v27, 31, v26
	v_add_co_u32 v28, vcc_lo, v30, v28
	s_delay_alu instid0(VALU_DEP_3) | instskip(SKIP_1) | instid1(VALU_DEP_4)
	v_lshlrev_b64 v[22:23], 1, v[22:23]
	v_add_co_ci_u32_e32 v29, vcc_lo, v31, v29, vcc_lo
	v_lshlrev_b64 v[26:27], 1, v[26:27]
	s_delay_alu instid0(VALU_DEP_3) | instskip(NEXT) | instid1(VALU_DEP_4)
	v_add_co_u32 v22, vcc_lo, v30, v22
	v_add_co_ci_u32_e32 v23, vcc_lo, v31, v23, vcc_lo
	s_delay_alu instid0(VALU_DEP_3) | instskip(NEXT) | instid1(VALU_DEP_4)
	v_add_co_u32 v26, vcc_lo, v30, v26
	v_add_co_ci_u32_e32 v27, vcc_lo, v31, v27, vcc_lo
	s_waitcnt lgkmcnt(4)
	global_store_b128 v[20:21], v[0:3], off
	s_waitcnt lgkmcnt(3)
	global_store_b128 v[24:25], v[4:7], off
	;; [unrolled: 2-line block ×5, first 2 shown]
	s_nop 0
	s_sendmsg sendmsg(MSG_DEALLOC_VGPRS)
	s_endpgm
	.section	.rodata,"a",@progbits
	.p2align	6, 0x0
	.amdhsa_kernel _Z39paged_attention_ll4mi_QKV_mfma16_kernelIDF16_hLN4vllm18Fp8KVCacheDataTypeE1EhLi32ELi128ELi256ELb1ELi16EL8MFMAType0EEvPKT_PKT0_S8_ifPKiSA_SA_iPKfiiiPfSD_PS3_PT2_iSC_SC_
		.amdhsa_group_segment_fixed_size 17472
		.amdhsa_private_segment_fixed_size 0
		.amdhsa_kernarg_size 400
		.amdhsa_user_sgpr_count 13
		.amdhsa_user_sgpr_dispatch_ptr 0
		.amdhsa_user_sgpr_queue_ptr 0
		.amdhsa_user_sgpr_kernarg_segment_ptr 1
		.amdhsa_user_sgpr_dispatch_id 0
		.amdhsa_user_sgpr_private_segment_size 0
		.amdhsa_wavefront_size32 1
		.amdhsa_uses_dynamic_stack 0
		.amdhsa_enable_private_segment 0
		.amdhsa_system_sgpr_workgroup_id_x 1
		.amdhsa_system_sgpr_workgroup_id_y 1
		.amdhsa_system_sgpr_workgroup_id_z 1
		.amdhsa_system_sgpr_workgroup_info 0
		.amdhsa_system_vgpr_workitem_id 0
		.amdhsa_next_free_vgpr 140
		.amdhsa_next_free_sgpr 37
		.amdhsa_reserve_vcc 1
		.amdhsa_float_round_mode_32 0
		.amdhsa_float_round_mode_16_64 0
		.amdhsa_float_denorm_mode_32 3
		.amdhsa_float_denorm_mode_16_64 3
		.amdhsa_dx10_clamp 1
		.amdhsa_ieee_mode 1
		.amdhsa_fp16_overflow 0
		.amdhsa_workgroup_processor_mode 1
		.amdhsa_memory_ordered 1
		.amdhsa_forward_progress 0
		.amdhsa_shared_vgpr_count 0
		.amdhsa_exception_fp_ieee_invalid_op 0
		.amdhsa_exception_fp_denorm_src 0
		.amdhsa_exception_fp_ieee_div_zero 0
		.amdhsa_exception_fp_ieee_overflow 0
		.amdhsa_exception_fp_ieee_underflow 0
		.amdhsa_exception_fp_ieee_inexact 0
		.amdhsa_exception_int_div_zero 0
	.end_amdhsa_kernel
	.section	.text._Z39paged_attention_ll4mi_QKV_mfma16_kernelIDF16_hLN4vllm18Fp8KVCacheDataTypeE1EhLi32ELi128ELi256ELb1ELi16EL8MFMAType0EEvPKT_PKT0_S8_ifPKiSA_SA_iPKfiiiPfSD_PS3_PT2_iSC_SC_,"axG",@progbits,_Z39paged_attention_ll4mi_QKV_mfma16_kernelIDF16_hLN4vllm18Fp8KVCacheDataTypeE1EhLi32ELi128ELi256ELb1ELi16EL8MFMAType0EEvPKT_PKT0_S8_ifPKiSA_SA_iPKfiiiPfSD_PS3_PT2_iSC_SC_,comdat
.Lfunc_end1293:
	.size	_Z39paged_attention_ll4mi_QKV_mfma16_kernelIDF16_hLN4vllm18Fp8KVCacheDataTypeE1EhLi32ELi128ELi256ELb1ELi16EL8MFMAType0EEvPKT_PKT0_S8_ifPKiSA_SA_iPKfiiiPfSD_PS3_PT2_iSC_SC_, .Lfunc_end1293-_Z39paged_attention_ll4mi_QKV_mfma16_kernelIDF16_hLN4vllm18Fp8KVCacheDataTypeE1EhLi32ELi128ELi256ELb1ELi16EL8MFMAType0EEvPKT_PKT0_S8_ifPKiSA_SA_iPKfiiiPfSD_PS3_PT2_iSC_SC_
                                        ; -- End function
	.section	.AMDGPU.csdata,"",@progbits
; Kernel info:
; codeLenInByte = 6864
; NumSgprs: 39
; NumVgprs: 140
; ScratchSize: 0
; MemoryBound: 0
; FloatMode: 240
; IeeeMode: 1
; LDSByteSize: 17472 bytes/workgroup (compile time only)
; SGPRBlocks: 4
; VGPRBlocks: 17
; NumSGPRsForWavesPerEU: 39
; NumVGPRsForWavesPerEU: 140
; Occupancy: 10
; WaveLimiterHint : 1
; COMPUTE_PGM_RSRC2:SCRATCH_EN: 0
; COMPUTE_PGM_RSRC2:USER_SGPR: 13
; COMPUTE_PGM_RSRC2:TRAP_HANDLER: 0
; COMPUTE_PGM_RSRC2:TGID_X_EN: 1
; COMPUTE_PGM_RSRC2:TGID_Y_EN: 1
; COMPUTE_PGM_RSRC2:TGID_Z_EN: 1
; COMPUTE_PGM_RSRC2:TIDIG_COMP_CNT: 0
	.section	.text._Z39paged_attention_ll4mi_QKV_mfma16_kernelIDF16_hLN4vllm18Fp8KVCacheDataTypeE1EhLi32ELi128ELi256ELb1ELi1EL8MFMAType0EEvPKT_PKT0_S8_ifPKiSA_SA_iPKfiiiPfSD_PS3_PT2_iSC_SC_,"axG",@progbits,_Z39paged_attention_ll4mi_QKV_mfma16_kernelIDF16_hLN4vllm18Fp8KVCacheDataTypeE1EhLi32ELi128ELi256ELb1ELi1EL8MFMAType0EEvPKT_PKT0_S8_ifPKiSA_SA_iPKfiiiPfSD_PS3_PT2_iSC_SC_,comdat
	.protected	_Z39paged_attention_ll4mi_QKV_mfma16_kernelIDF16_hLN4vllm18Fp8KVCacheDataTypeE1EhLi32ELi128ELi256ELb1ELi1EL8MFMAType0EEvPKT_PKT0_S8_ifPKiSA_SA_iPKfiiiPfSD_PS3_PT2_iSC_SC_ ; -- Begin function _Z39paged_attention_ll4mi_QKV_mfma16_kernelIDF16_hLN4vllm18Fp8KVCacheDataTypeE1EhLi32ELi128ELi256ELb1ELi1EL8MFMAType0EEvPKT_PKT0_S8_ifPKiSA_SA_iPKfiiiPfSD_PS3_PT2_iSC_SC_
	.globl	_Z39paged_attention_ll4mi_QKV_mfma16_kernelIDF16_hLN4vllm18Fp8KVCacheDataTypeE1EhLi32ELi128ELi256ELb1ELi1EL8MFMAType0EEvPKT_PKT0_S8_ifPKiSA_SA_iPKfiiiPfSD_PS3_PT2_iSC_SC_
	.p2align	8
	.type	_Z39paged_attention_ll4mi_QKV_mfma16_kernelIDF16_hLN4vllm18Fp8KVCacheDataTypeE1EhLi32ELi128ELi256ELb1ELi1EL8MFMAType0EEvPKT_PKT0_S8_ifPKiSA_SA_iPKfiiiPfSD_PS3_PT2_iSC_SC_,@function
_Z39paged_attention_ll4mi_QKV_mfma16_kernelIDF16_hLN4vllm18Fp8KVCacheDataTypeE1EhLi32ELi128ELi256ELb1ELi1EL8MFMAType0EEvPKT_PKT0_S8_ifPKiSA_SA_iPKfiiiPfSD_PS3_PT2_iSC_SC_: ; @_Z39paged_attention_ll4mi_QKV_mfma16_kernelIDF16_hLN4vllm18Fp8KVCacheDataTypeE1EhLi32ELi128ELi256ELb1ELi1EL8MFMAType0EEvPKT_PKT0_S8_ifPKiSA_SA_iPKfiiiPfSD_PS3_PT2_iSC_SC_
; %bb.0:
	s_load_b64 s[4:5], s[0:1], 0x30
	s_mov_b32 s34, s13
	s_waitcnt lgkmcnt(0)
	s_cmp_lg_u64 s[4:5], 0
	s_cselect_b32 s6, -1, 0
	s_ashr_i32 s35, s13, 31
	s_cmp_eq_u64 s[4:5], 0
	s_cbranch_scc1 .LBB1294_3
; %bb.1:
	s_lshl_b64 s[2:3], s[34:35], 2
	s_delay_alu instid0(SALU_CYCLE_1) | instskip(SKIP_4) | instid1(SALU_CYCLE_1)
	s_add_u32 s2, s4, s2
	s_addc_u32 s3, s5, s3
	s_load_b64 s[2:3], s[2:3], 0x0
	s_waitcnt lgkmcnt(0)
	s_sub_i32 s2, s3, s2
	s_cmp_eq_u32 s2, 1
	s_cselect_b32 s2, -1, 0
	s_delay_alu instid0(SALU_CYCLE_1)
	s_and_not1_b32 vcc_lo, exec_lo, s2
	s_cbranch_vccz .LBB1294_4
.LBB1294_2:
	s_endpgm
.LBB1294_3:
.LBB1294_4:
	s_load_b64 s[2:3], s[0:1], 0x28
	s_lshl_b64 s[8:9], s[34:35], 2
	s_waitcnt lgkmcnt(0)
	s_add_u32 s2, s2, s8
	s_addc_u32 s3, s3, s9
	s_lshl_b32 s12, s14, 8
	s_load_b32 s33, s[2:3], 0x0
	s_waitcnt lgkmcnt(0)
	s_cmp_ge_i32 s12, s33
	s_cbranch_scc1 .LBB1294_2
; %bb.5:
	s_clause 0x1
	s_load_b128 s[56:59], s[0:1], 0x8
	s_load_b64 s[2:3], s[0:1], 0x20
	s_and_not1_b32 vcc_lo, exec_lo, s6
	s_mov_b64 s[6:7], s[34:35]
	s_cbranch_vccnz .LBB1294_7
; %bb.6:
	s_add_u32 s4, s4, s8
	s_addc_u32 s5, s5, s9
	s_load_b32 s6, s[4:5], 0x0
.LBB1294_7:
	s_load_b128 s[52:55], s[0:1], 0x48
	v_and_b32_e32 v65, 15, v0
	s_mov_b32 s13, exec_lo
                                        ; implicit-def: $sgpr36
                                        ; implicit-def: $sgpr24
                                        ; implicit-def: $sgpr16
                                        ; implicit-def: $sgpr4
	s_delay_alu instid0(VALU_DEP_1)
	v_cmpx_eq_u32_e32 0, v65
	s_cbranch_execz .LBB1294_9
; %bb.8:
	s_load_b64 s[4:5], s[0:1], 0x0
	s_waitcnt lgkmcnt(0)
	s_mul_hi_i32 s7, s6, s52
	s_mul_i32 s6, s6, s52
	s_delay_alu instid0(SALU_CYCLE_1) | instskip(NEXT) | instid1(SALU_CYCLE_1)
	s_lshl_b64 s[6:7], s[6:7], 1
	s_add_u32 s6, s4, s6
	s_addc_u32 s7, s5, s7
	s_lshl_b32 s4, s15, 7
	s_delay_alu instid0(SALU_CYCLE_1) | instskip(NEXT) | instid1(SALU_CYCLE_1)
	s_ashr_i32 s5, s4, 31
	s_lshl_b64 s[4:5], s[4:5], 1
	s_delay_alu instid0(SALU_CYCLE_1)
	s_add_u32 s4, s6, s4
	s_addc_u32 s5, s7, s5
	s_clause 0x3
	s_load_b256 s[36:43], s[4:5], 0x0
	s_load_b256 s[24:31], s[4:5], 0x40
	s_load_b256 s[16:23], s[4:5], 0x80
	s_load_b256 s[4:11], s[4:5], 0xc0
.LBB1294_9:
	s_or_b32 exec_lo, exec_lo, s13
	v_and_b32_e32 v1, 0xef, v0
	s_add_i32 s13, s33, 31
	s_load_b32 s44, s[0:1], 0x38
	s_ashr_i32 s35, s13, 31
	s_waitcnt lgkmcnt(0)
	s_mul_i32 s62, s15, s54
	v_add_nc_u32_e32 v1, s12, v1
	s_lshr_b32 s35, s35, 27
	v_lshlrev_b32_e32 v73, 4, v65
	s_add_i32 s13, s13, s35
	s_load_b32 s35, s[0:1], 0x1c
	v_ashrrev_i32_e32 v2, 31, v1
	v_or_b32_e32 v3, 16, v1
	s_ashr_i32 s13, s13, 5
	v_cmp_gt_i32_e32 vcc_lo, s33, v1
	s_add_i32 s13, s13, -1
	v_lshrrev_b32_e32 v2, 27, v2
	v_dual_mov_b32 v105, s31 :: v_dual_mov_b32 v100, s26
	v_dual_mov_b32 v103, s29 :: v_dual_mov_b32 v98, s24
	s_delay_alu instid0(VALU_DEP_3) | instskip(SKIP_3) | instid1(VALU_DEP_2)
	v_dual_mov_b32 v101, s27 :: v_dual_add_nc_u32 v4, v1, v2
	s_mul_i32 s44, s34, s44
	v_mov_b32_e32 v99, s25
	s_ashr_i32 s45, s44, 31
	v_ashrrev_i32_e32 v4, 5, v4
	v_add_nc_u32_e32 v2, v3, v2
	s_lshl_b64 s[44:45], s[44:45], 2
	v_dual_mov_b32 v113, s23 :: v_dual_mov_b32 v106, s16
	s_delay_alu instid0(VALU_DEP_3) | instskip(NEXT) | instid1(VALU_DEP_3)
	v_cndmask_b32_e32 v1, s13, v4, vcc_lo
	v_ashrrev_i32_e32 v2, 5, v2
	v_cmp_gt_i32_e32 vcc_lo, s33, v3
	s_add_u32 s61, s2, s44
	s_addc_u32 s60, s3, s45
	s_ashr_i32 s63, s62, 31
	s_add_u32 s44, s56, s62
	v_cndmask_b32_e32 v3, s13, v2, vcc_lo
	v_ashrrev_i32_e32 v2, 31, v1
	s_addc_u32 s45, s57, s63
	s_lshl_b32 s2, s14, 3
	v_dual_mov_b32 v108, s18 :: v_dual_lshlrev_b32 v41, 5, v65
	v_ashrrev_i32_e32 v4, 31, v3
	v_lshlrev_b64 v[1:2], 2, v[1:2]
	s_ashr_i32 s3, s2, 31
	v_mov_b32_e32 v112, s22
	s_lshl_b64 s[2:3], s[2:3], 2
	v_lshlrev_b64 v[3:4], 2, v[3:4]
	s_add_u32 s2, s61, s2
	v_add_co_u32 v1, vcc_lo, s61, v1
	v_add_co_ci_u32_e32 v2, vcc_lo, s60, v2, vcc_lo
	s_delay_alu instid0(VALU_DEP_3) | instskip(NEXT) | instid1(VALU_DEP_4)
	v_add_co_u32 v3, vcc_lo, s61, v3
	v_add_co_ci_u32_e32 v4, vcc_lo, s60, v4, vcc_lo
	s_clause 0x1
	global_load_b32 v5, v[1:2], off
	global_load_b32 v6, v[3:4], off
	s_addc_u32 s3, s60, s3
	s_or_b32 s46, s12, 32
	v_mov_b32_e32 v110, s20
	s_ashr_i32 s47, s46, 5
	s_cmp_lt_i32 s46, s33
	v_lshrrev_b32_e32 v66, 5, v0
	s_cselect_b32 s46, s47, s13
	v_mov_b32_e32 v104, s30
	s_ashr_i32 s47, s46, 31
	v_mov_b32_e32 v102, s28
	s_lshl_b64 s[46:47], s[46:47], 2
	v_lshl_or_b32 v41, v66, 9, v41
	s_add_u32 s46, s61, s46
	s_addc_u32 s47, s60, s47
	s_or_b32 s48, s12, 64
	s_delay_alu instid0(SALU_CYCLE_1) | instskip(SKIP_2) | instid1(SALU_CYCLE_1)
	s_ashr_i32 s49, s48, 5
	s_cmp_lt_i32 s48, s33
	s_cselect_b32 s48, s49, s13
	s_ashr_i32 s49, s48, 31
	s_delay_alu instid0(SALU_CYCLE_1) | instskip(NEXT) | instid1(SALU_CYCLE_1)
	s_lshl_b64 s[48:49], s[48:49], 2
	s_add_u32 s48, s61, s48
	s_addc_u32 s49, s60, s49
	s_or_b32 s50, s12, 0x60
	s_delay_alu instid0(SALU_CYCLE_1) | instskip(SKIP_2) | instid1(SALU_CYCLE_1)
	s_ashr_i32 s51, s50, 5
	s_cmp_lt_i32 s50, s33
	s_cselect_b32 s50, s51, s13
	s_ashr_i32 s51, s50, 31
	s_delay_alu instid0(SALU_CYCLE_1) | instskip(NEXT) | instid1(SALU_CYCLE_1)
	s_lshl_b64 s[50:51], s[50:51], 2
	;; [unrolled: 10-line block ×4, first 2 shown]
	s_add_u32 s66, s61, s54
	s_addc_u32 s67, s60, s55
	s_clause 0x5
	s_load_b32 s56, s[2:3], 0x0
	s_load_b32 s3, s[46:47], 0x0
	;; [unrolled: 1-line block ×6, first 2 shown]
	s_or_b32 s24, s12, 0xc0
	s_delay_alu instid0(SALU_CYCLE_1)
	s_ashr_i32 s25, s24, 5
	s_cmp_lt_i32 s24, s33
	s_waitcnt vmcnt(1)
	v_mad_i64_i32 v[1:2], null, v5, s53, s[44:45]
	s_waitcnt vmcnt(0)
	v_mad_i64_i32 v[3:4], null, v6, s53, s[44:45]
	s_mov_b32 s44, 0
	s_delay_alu instid0(SALU_CYCLE_1) | instskip(SKIP_1) | instid1(VALU_DEP_2)
	s_mov_b32 s45, s44
	s_mov_b32 s46, s44
	v_add_co_u32 v33, vcc_lo, v1, v73
	s_delay_alu instid0(VALU_DEP_3) | instskip(NEXT) | instid1(VALU_DEP_3)
	v_add_co_ci_u32_e32 v34, vcc_lo, 0, v2, vcc_lo
	v_add_co_u32 v35, vcc_lo, v3, v73
	s_delay_alu instid0(VALU_DEP_4)
	v_add_co_ci_u32_e32 v36, vcc_lo, 0, v4, vcc_lo
	s_clause 0xf
	global_load_b128 v[1:4], v[33:34], off
	global_load_b128 v[5:8], v[33:34], off offset:512
	global_load_b128 v[9:12], v[35:36], off offset:256
	;; [unrolled: 1-line block ×15, first 2 shown]
	v_mov_b32_e32 v33, s36
	v_mov_b32_e32 v37, s40
	;; [unrolled: 1-line block ×3, first 2 shown]
	s_mov_b32 s47, s44
	s_mov_b32 s48, s44
	s_mov_b32 s49, s44
	s_mov_b32 s50, s44
	s_mov_b32 s51, s44
	v_mov_b32_e32 v111, s21
	v_mov_b32_e32 v109, s19
	;; [unrolled: 1-line block ×3, first 2 shown]
	s_cselect_b32 s16, s25, s13
	v_dual_mov_b32 v121, s51 :: v_dual_mov_b32 v114, s44
	s_ashr_i32 s17, s16, 31
	v_mov_b32_e32 v34, s37
	s_lshl_b64 s[16:17], s[16:17], 2
	v_dual_mov_b32 v35, s38 :: v_dual_mov_b32 v40, s43
	s_add_u32 s16, s61, s16
	s_addc_u32 s17, s60, s17
	s_or_b32 s18, s12, 0xe0
	v_mov_b32_e32 v36, s39
	s_ashr_i32 s19, s18, 5
	s_cmp_lt_i32 s18, s33
	v_mov_b32_e32 v38, s41
	s_cselect_b32 s18, s19, s13
	v_mov_b32_e32 v120, s50
	s_ashr_i32 s19, s18, 31
	v_mov_b32_e32 v119, s49
	s_lshl_b64 s[18:19], s[18:19], 2
	v_mov_b32_e32 v118, s48
	s_add_u32 s18, s61, s18
	s_addc_u32 s19, s60, s19
	s_add_u32 s13, s58, s62
	s_addc_u32 s20, s59, s63
	v_add_co_u32 v67, s13, s13, v41
	s_delay_alu instid0(VALU_DEP_1)
	v_add_co_ci_u32_e64 v68, null, s20, 0, s13
	s_clause 0x1
	s_load_b32 s13, s[16:17], 0x0
	s_load_b32 s16, s[18:19], 0x0
	v_dual_mov_b32 v117, s47 :: v_dual_mov_b32 v116, s46
	s_waitcnt lgkmcnt(0)
	v_mad_i64_i32 v[41:42], null, s56, s53, v[67:68]
	v_mad_i64_i32 v[71:72], null, s54, s53, v[67:68]
	v_mov_b32_e32 v115, s45
	v_mad_i64_i32 v[45:46], null, s3, s53, v[67:68]
	v_mad_i64_i32 v[69:70], null, s52, s53, v[67:68]
	;; [unrolled: 1-line block ×4, first 2 shown]
	s_waitcnt vmcnt(14)
	v_wmma_f32_16x16x16_f16 v[122:129], v[1:8], v[33:40], v[114:121]
	s_waitcnt vmcnt(12)
	v_wmma_f32_16x16x16_f16 v[114:121], v[9:16], v[33:40], v[114:121]
	s_clause 0x7
	global_load_b128 v[49:52], v[41:42], off
	global_load_b128 v[53:56], v[41:42], off offset:16
	global_load_b128 v[41:44], v[45:46], off
	global_load_b128 v[45:48], v[45:46], off offset:16
	;; [unrolled: 2-line block ×4, first 2 shown]
	v_mad_i64_i32 v[71:72], null, s13, s53, v[67:68]
	v_mad_i64_i32 v[69:70], null, s2, s53, v[67:68]
	s_waitcnt vmcnt(18)
	v_wmma_f32_16x16x16_f16 v[122:129], v[17:24], v[98:105], v[122:129]
	s_waitcnt vmcnt(16)
	v_wmma_f32_16x16x16_f16 v[114:121], v[25:32], v[98:105], v[114:121]
	s_clause 0x3
	global_load_b128 v[9:12], v[130:131], off
	global_load_b128 v[13:16], v[130:131], off offset:16
	global_load_b128 v[17:20], v[69:70], off
	global_load_b128 v[21:24], v[69:70], off offset:16
	s_waitcnt vmcnt(18)
	v_wmma_f32_16x16x16_f16 v[122:129], v[57:64], v[106:113], v[122:129]
	s_clause 0x3
	global_load_b128 v[25:28], v[71:72], off
	global_load_b128 v[29:32], v[71:72], off offset:16
	global_load_b128 v[57:60], v[132:133], off
	global_load_b128 v[61:64], v[132:133], off offset:16
	v_mbcnt_lo_u32_b32 v68, -1, 0
	v_and_b32_e32 v67, 0xe0, v0
	v_mov_b32_e32 v105, s11
	s_waitcnt vmcnt(20)
	v_wmma_f32_16x16x16_f16 v[114:121], v[74:81], v[106:113], v[114:121]
	v_bfe_u32 v74, v0, 4, 1
	v_xor_b32_e32 v69, 16, v68
	v_mov_b32_e32 v98, s4
	v_dual_mov_b32 v104, s10 :: v_dual_mov_b32 v103, s9
	v_mov_b32_e32 v102, s8
	s_delay_alu instid0(VALU_DEP_4) | instskip(SKIP_3) | instid1(VALU_DEP_3)
	v_cmp_gt_i32_e32 vcc_lo, 32, v69
	v_add_nc_u32_e32 v67, s12, v67
	v_dual_mov_b32 v101, s7 :: v_dual_mov_b32 v100, s6
	v_dual_mov_b32 v99, s5 :: v_dual_cndmask_b32 v68, v68, v69
	v_or_b32_e32 v67, v67, v74
	s_waitcnt vmcnt(0)
	s_barrier
	s_delay_alu instid0(VALU_DEP_2)
	v_wmma_f32_16x16x16_f16 v[122:129], v[82:89], v[98:105], v[122:129]
	buffer_gl0_inv
	v_or_b32_e32 v69, 2, v67
	v_or_b32_e32 v70, 4, v67
	;; [unrolled: 1-line block ×3, first 2 shown]
	v_mul_f32_e32 v86, s35, v129
	v_mul_f32_e32 v88, s35, v127
	v_wmma_f32_16x16x16_f16 v[114:121], v[90:97], v[98:105], v[114:121]
	v_dual_mul_f32 v92, s35, v123 :: v_dual_mul_f32 v93, s35, v122
	v_cmp_gt_i32_e32 vcc_lo, s33, v69
	v_cmp_gt_i32_e64 s2, s33, v67
	v_or_b32_e32 v72, 8, v67
	v_or_b32_e32 v75, 10, v67
	v_dual_mul_f32 v90, s35, v125 :: v_dual_mul_f32 v91, s35, v124
	v_mul_f32_e32 v98, s35, v117
	v_cndmask_b32_e64 v93, 0xff7fffff, v93, s2
	v_cndmask_b32_e32 v92, 0xff7fffff, v92, vcc_lo
	v_cmp_gt_i32_e64 s3, s33, v70
	v_cmp_gt_i32_e64 s4, s33, v71
	v_or_b32_e32 v76, 12, v67
	v_or_b32_e32 v77, 14, v67
	v_dual_mul_f32 v89, s35, v126 :: v_dual_mul_f32 v96, s35, v119
	v_cndmask_b32_e64 v70, 0xff7fffff, v91, s3
	v_cndmask_b32_e64 v71, 0xff7fffff, v90, s4
	v_max3_f32 v90, v93, 0xff7fffff, v92
	v_cmp_gt_i32_e64 s5, s33, v72
	v_cmp_gt_i32_e64 s6, s33, v75
	v_or_b32_e32 v78, 16, v67
	v_or_b32_e32 v79, 18, v67
	v_dual_mul_f32 v87, s35, v128 :: v_dual_mul_f32 v94, s35, v121
	v_cndmask_b32_e64 v72, 0xff7fffff, v89, s5
	v_cndmask_b32_e64 v75, 0xff7fffff, v88, s6
	v_max3_f32 v70, v90, v70, v71
	v_cmp_gt_i32_e64 s7, s33, v76
	v_cmp_gt_i32_e64 s8, s33, v77
	v_or_b32_e32 v80, 20, v67
	v_or_b32_e32 v81, 22, v67
	;; [unrolled: 1-line block ×6, first 2 shown]
	v_mul_f32_e32 v69, s35, v115
	v_mul_f32_e32 v67, s35, v114
	v_cndmask_b32_e64 v71, 0xff7fffff, v87, s7
	v_cndmask_b32_e64 v76, 0xff7fffff, v86, s8
	v_max3_f32 v70, v70, v72, v75
	v_cmp_gt_i32_e64 s9, s33, v78
	v_cmp_gt_i32_e64 s10, s33, v79
	v_mul_f32_e32 v99, s35, v116
	v_cmp_gt_i32_e64 s11, s33, v80
	v_max3_f32 v70, v70, v71, v76
	v_cndmask_b32_e64 v67, 0xff7fffff, v67, s9
	v_cndmask_b32_e64 v69, 0xff7fffff, v69, s10
	v_cmp_gt_i32_e64 s12, s33, v81
	v_mul_f32_e32 v97, s35, v118
	v_cndmask_b32_e64 v71, 0xff7fffff, v99, s11
	v_cmp_gt_i32_e64 s13, s33, v82
	v_max3_f32 v67, v70, v67, v69
	v_cndmask_b32_e64 v72, 0xff7fffff, v98, s12
	v_cmp_gt_i32_e64 s16, s33, v83
	v_mul_f32_e32 v95, s35, v120
	v_cndmask_b32_e64 v69, 0xff7fffff, v97, s13
	v_cmp_gt_i32_e64 s17, s33, v84
	v_max3_f32 v67, v67, v71, v72
	v_cndmask_b32_e64 v70, 0xff7fffff, v96, s16
	v_cmp_gt_i32_e64 s18, s33, v85
	v_lshlrev_b32_e32 v75, 2, v68
	v_cndmask_b32_e64 v71, 0xff7fffff, v95, s17
	s_delay_alu instid0(VALU_DEP_4) | instskip(NEXT) | instid1(VALU_DEP_4)
	v_max3_f32 v67, v67, v69, v70
	v_cndmask_b32_e64 v72, 0xff7fffff, v94, s18
	s_delay_alu instid0(VALU_DEP_1) | instskip(SKIP_3) | instid1(VALU_DEP_1)
	v_max3_f32 v67, v67, v71, v72
	ds_bpermute_b32 v68, v75, v67
	s_waitcnt lgkmcnt(0)
	v_max_f32_e32 v68, v68, v68
	v_max_f32_e32 v67, v67, v68
	s_delay_alu instid0(VALU_DEP_1) | instskip(SKIP_4) | instid1(VALU_DEP_4)
	v_fma_f32 v68, s35, v122, -v67
	v_fma_f32 v69, s35, v123, -v67
	v_fma_f32 v72, s35, v126, -v67
	v_fma_f32 v70, s35, v124, -v67
	v_fma_f32 v71, s35, v125, -v67
	v_dual_mul_f32 v68, 0x3fb8aa3b, v68 :: v_dual_mul_f32 v69, 0x3fb8aa3b, v69
	s_delay_alu instid0(VALU_DEP_4) | instskip(NEXT) | instid1(VALU_DEP_3)
	v_mul_f32_e32 v72, 0x3fb8aa3b, v72
	v_dual_mul_f32 v70, 0x3fb8aa3b, v70 :: v_dual_mul_f32 v71, 0x3fb8aa3b, v71
	s_delay_alu instid0(VALU_DEP_3) | instskip(NEXT) | instid1(VALU_DEP_3)
	v_exp_f32_e32 v68, v68
	v_exp_f32_e32 v69, v69
	s_delay_alu instid0(VALU_DEP_2) | instskip(NEXT) | instid1(VALU_DEP_1)
	v_exp_f32_e32 v79, v72
	v_exp_f32_e32 v76, v70
	;; [unrolled: 1-line block ×3, first 2 shown]
	v_cndmask_b32_e64 v70, 0, v68, s2
	s_delay_alu instid0(TRANS32_DEP_3)
	v_cndmask_b32_e64 v83, 0, v79, s5
	v_cndmask_b32_e32 v69, 0, v69, vcc_lo
	s_waitcnt_depctr 0xfff
	v_cndmask_b32_e64 v72, 0, v76, s3
	v_add_f32_e32 v77, 0, v70
	v_cndmask_b32_e64 v71, 0, v71, s4
	s_mov_b32 s3, exec_lo
	s_delay_alu instid0(VALU_DEP_2) | instskip(NEXT) | instid1(VALU_DEP_1)
	v_add_f32_e32 v76, v77, v69
	v_add_f32_e32 v76, v76, v72
	s_delay_alu instid0(VALU_DEP_1)
	v_add_f32_e32 v76, v76, v71
	v_fma_f32 v68, s35, v127, -v67
	v_fma_f32 v78, s35, v128, -v67
	;; [unrolled: 1-line block ×5, first 2 shown]
	v_mul_f32_e32 v68, 0x3fb8aa3b, v68
	v_mul_f32_e32 v78, 0x3fb8aa3b, v78
	s_delay_alu instid0(VALU_DEP_4) | instskip(NEXT) | instid1(VALU_DEP_3)
	v_mul_f32_e32 v80, 0x3fb8aa3b, v80
	v_exp_f32_e32 v68, v68
	s_delay_alu instid0(VALU_DEP_2) | instskip(NEXT) | instid1(VALU_DEP_1)
	v_exp_f32_e32 v78, v78
	v_exp_f32_e32 v80, v80
	s_delay_alu instid0(TRANS32_DEP_3)
	v_cndmask_b32_e64 v82, 0, v68, s6
	v_add_f32_e32 v68, v76, v83
	v_fma_f32 v76, s35, v116, -v67
	v_mul_f32_e32 v77, 0x3fb8aa3b, v77
	s_waitcnt_depctr 0xfff
	v_cndmask_b32_e64 v85, 0, v78, s7
	v_fma_f32 v78, s35, v117, -v67
	v_add_f32_e32 v68, v68, v82
	v_mul_f32_e32 v76, 0x3fb8aa3b, v76
	v_exp_f32_e32 v77, v77
	v_mul_f32_e32 v79, 0x3fb8aa3b, v79
	v_cndmask_b32_e64 v87, 0, v80, s9
	v_add_f32_e32 v68, v68, v85
	v_exp_f32_e32 v76, v76
	v_fma_f32 v80, s35, v119, -v67
	v_exp_f32_e32 v79, v79
	s_delay_alu instid0(TRANS32_DEP_3) | instskip(SKIP_3) | instid1(TRANS32_DEP_2)
	v_cndmask_b32_e64 v84, 0, v77, s8
	v_fma_f32 v77, s35, v118, -v67
	v_mul_f32_e32 v78, 0x3fb8aa3b, v78
	v_mul_f32_e32 v80, 0x3fb8aa3b, v80
	v_cndmask_b32_e64 v89, 0, v76, s11
	s_delay_alu instid0(VALU_DEP_4) | instskip(NEXT) | instid1(VALU_DEP_4)
	v_mul_f32_e32 v77, 0x3fb8aa3b, v77
	v_exp_f32_e32 v78, v78
	s_delay_alu instid0(TRANS32_DEP_2) | instskip(SKIP_1) | instid1(VALU_DEP_3)
	v_cndmask_b32_e64 v86, 0, v79, s10
	v_fma_f32 v79, s35, v120, -v67
	v_exp_f32_e32 v77, v77
	s_delay_alu instid0(VALU_DEP_1) | instskip(SKIP_1) | instid1(TRANS32_DEP_3)
	v_mul_f32_e32 v76, 0x3fb8aa3b, v79
	v_exp_f32_e32 v79, v80
	v_cndmask_b32_e64 v88, 0, v78, s12
	v_fma_f32 v78, s35, v121, -v67
	v_add_f32_e32 v68, v68, v84
	v_exp_f32_e32 v76, v76
	s_delay_alu instid0(TRANS32_DEP_3) | instskip(NEXT) | instid1(VALU_DEP_2)
	v_cndmask_b32_e64 v91, 0, v77, s13
	v_dual_mul_f32 v77, 0x3fb8aa3b, v78 :: v_dual_add_f32 v68, v68, v87
	s_delay_alu instid0(TRANS32_DEP_2) | instskip(NEXT) | instid1(VALU_DEP_2)
	v_cndmask_b32_e64 v90, 0, v79, s16
	v_exp_f32_e32 v77, v77
	s_delay_alu instid0(VALU_DEP_2) | instskip(SKIP_4) | instid1(VALU_DEP_2)
	v_add_f32_e32 v68, v68, v86
	s_waitcnt_depctr 0xfff
	v_cndmask_b32_e64 v93, 0, v76, s17
	v_and_b32_e32 v76, 31, v0
	v_add_f32_e32 v68, v68, v89
	v_cmp_lt_u32_e64 s2, 15, v76
	v_cndmask_b32_e64 v92, 0, v77, s18
	s_delay_alu instid0(VALU_DEP_3) | instskip(NEXT) | instid1(VALU_DEP_1)
	v_add_f32_e32 v68, v68, v88
	v_add_f32_e32 v68, v68, v91
	s_delay_alu instid0(VALU_DEP_1) | instskip(NEXT) | instid1(VALU_DEP_1)
	v_add_f32_e32 v68, v68, v90
	v_add_f32_e32 v68, v68, v93
	s_delay_alu instid0(VALU_DEP_1)
	v_add_f32_e32 v68, v68, v92
	ds_bpermute_b32 v75, v75, v68
	v_cmpx_gt_u32_e32 16, v76
	s_cbranch_execz .LBB1294_11
; %bb.10:
	v_mul_u32_u24_e32 v76, 0x44, v66
	s_delay_alu instid0(VALU_DEP_1) | instskip(SKIP_1) | instid1(VALU_DEP_1)
	v_lshl_add_u32 v76, v65, 2, v76
	s_waitcnt lgkmcnt(0)
	v_dual_add_f32 v68, v68, v75 :: v_dual_add_nc_u32 v75, 0x4000, v76
	ds_store_2addr_b32 v75, v67, v68 offset1:136
.LBB1294_11:
	s_or_b32 exec_lo, exec_lo, s3
	v_lshlrev_b32_e32 v67, 2, v65
	s_load_b64 s[36:37], s[0:1], 0x94
	s_waitcnt lgkmcnt(0)
	s_barrier
	buffer_gl0_inv
	v_add_nc_u32_e32 v81, 0x4000, v67
	v_cmp_eq_u32_e32 vcc_lo, 1, v66
	v_cmp_eq_u32_e64 s3, 2, v66
	v_cmp_eq_u32_e64 s5, 3, v66
	;; [unrolled: 1-line block ×3, first 2 shown]
	ds_load_2addr_b32 v[75:76], v81 offset1:17
	ds_load_2addr_b32 v[77:78], v81 offset0:34 offset1:51
	ds_load_2addr_b32 v[79:80], v81 offset0:68 offset1:85
	;; [unrolled: 1-line block ×4, first 2 shown]
	v_cmp_eq_u32_e64 s7, 5, v66
	v_cmp_eq_u32_e64 s4, 6, v66
	s_waitcnt lgkmcnt(4)
	v_max3_f32 v67, v75, 0xff7fffff, v76
	s_waitcnt lgkmcnt(3)
	s_delay_alu instid0(VALU_DEP_1) | instskip(SKIP_1) | instid1(VALU_DEP_1)
	v_max3_f32 v67, v67, v77, v78
	s_waitcnt lgkmcnt(2)
	v_max3_f32 v67, v67, v79, v80
	s_waitcnt lgkmcnt(1)
	s_delay_alu instid0(VALU_DEP_1) | instskip(NEXT) | instid1(VALU_DEP_1)
	v_max3_f32 v67, v67, v94, v95
	v_sub_f32_e32 v68, v75, v67
	s_delay_alu instid0(VALU_DEP_1) | instskip(NEXT) | instid1(VALU_DEP_1)
	v_dual_sub_f32 v79, v79, v67 :: v_dual_mul_f32 v68, 0x3fb8aa3b, v68
	v_mul_f32_e32 v102, 0x3fb8aa3b, v79
	s_delay_alu instid0(VALU_DEP_2) | instskip(SKIP_1) | instid1(VALU_DEP_1)
	v_exp_f32_e32 v99, v68
	v_sub_f32_e32 v68, v78, v67
	v_dual_sub_f32 v98, v76, v67 :: v_dual_mul_f32 v101, 0x3fb8aa3b, v68
	s_delay_alu instid0(VALU_DEP_1)
	v_dual_sub_f32 v77, v77, v67 :: v_dual_mul_f32 v98, 0x3fb8aa3b, v98
	s_waitcnt lgkmcnt(0)
	s_waitcnt_depctr 0xfff
	v_fma_f32 v68, v99, v96, 0
	v_sub_f32_e32 v96, v80, v67
	v_mul_f32_e32 v100, 0x3fb8aa3b, v77
	v_exp_f32_e32 v98, v98
	v_exp_f32_e32 v101, v101
	s_delay_alu instid0(VALU_DEP_1) | instskip(NEXT) | instid1(TRANS32_DEP_3)
	v_exp_f32_e32 v100, v100
	v_fmac_f32_e32 v68, v98, v97
	ds_load_2addr_b32 v[75:76], v81 offset0:170 offset1:187
	ds_load_2addr_b32 v[77:78], v81 offset0:204 offset1:221
	;; [unrolled: 1-line block ×3, first 2 shown]
	v_dual_sub_f32 v81, v94, v67 :: v_dual_mul_f32 v94, 0x3fb8aa3b, v96
	v_exp_f32_e32 v96, v102
	s_waitcnt lgkmcnt(0)
	s_barrier
	s_delay_alu instid0(VALU_DEP_1)
	v_mul_f32_e32 v81, 0x3fb8aa3b, v81
	v_exp_f32_e32 v94, v94
	buffer_gl0_inv
	v_fmac_f32_e32 v68, v100, v75
	v_sub_f32_e32 v75, v95, v67
	v_exp_f32_e32 v95, v81
	s_delay_alu instid0(VALU_DEP_1) | instskip(SKIP_1) | instid1(VALU_DEP_2)
	v_dual_fmac_f32 v68, v101, v76 :: v_dual_mul_f32 v75, 0x3fb8aa3b, v75
	v_cndmask_b32_e32 v76, v99, v98, vcc_lo
	v_fmac_f32_e32 v68, v96, v77
	s_delay_alu instid0(VALU_DEP_3) | instskip(NEXT) | instid1(VALU_DEP_1)
	v_exp_f32_e32 v97, v75
	v_fmac_f32_e32 v68, v94, v78
	s_waitcnt_depctr 0xfff
	v_dual_fmac_f32 v68, v95, v79 :: v_dual_lshlrev_b32 v79, 6, v65
	s_delay_alu instid0(VALU_DEP_1) | instskip(NEXT) | instid1(VALU_DEP_2)
	v_dual_mov_b32 v65, 0 :: v_dual_fmac_f32 v68, v97, v80
	v_lshl_or_b32 v81, v66, 11, v79
	s_delay_alu instid0(VALU_DEP_2) | instskip(NEXT) | instid1(VALU_DEP_1)
	v_add_f32_e32 v80, 0x358637bd, v68
	v_div_scale_f32 v102, null, v80, v80, 1.0
	v_div_scale_f32 v98, vcc_lo, 1.0, v80, 1.0
	s_delay_alu instid0(VALU_DEP_2) | instskip(SKIP_2) | instid1(VALU_DEP_1)
	v_rcp_f32_e32 v103, v102
	s_waitcnt_depctr 0xfff
	v_fma_f32 v75, -v102, v103, 1.0
	v_fmac_f32_e32 v103, v75, v103
	v_cndmask_b32_e64 v75, v76, v100, s3
	v_cmp_eq_u32_e64 s3, 7, v66
	s_delay_alu instid0(VALU_DEP_3) | instskip(NEXT) | instid1(VALU_DEP_3)
	v_mul_f32_e32 v99, v98, v103
	v_cndmask_b32_e64 v76, v75, v101, s5
	v_lshlrev_b32_e32 v75, 2, v74
	s_delay_alu instid0(VALU_DEP_3) | instskip(NEXT) | instid1(VALU_DEP_3)
	v_fma_f32 v77, -v102, v99, v98
	v_cndmask_b32_e64 v96, v76, v96, s6
	s_delay_alu instid0(VALU_DEP_3)
	v_or_b32_e32 v78, 1, v75
	v_or_b32_e32 v76, 2, v75
	v_cmp_eq_u32_e64 s5, 1, v75
	v_fmac_f32_e32 v99, v77, v103
	v_cndmask_b32_e64 v66, v96, v94, s7
	v_or_b32_e32 v77, 3, v75
	v_cmp_eq_u32_e64 s9, 1, v78
	v_cmp_eq_u32_e64 s10, 1, v76
	v_fma_f32 v94, -v102, v99, v98
	v_cndmask_b32_e64 v66, v66, v95, s4
	v_cmp_eq_u32_e64 s11, 1, v77
	v_cmp_eq_u32_e64 s6, 2, v75
	v_cmp_eq_u32_e64 s12, 2, v78
	v_div_fmas_f32 v94, v94, v103, v99
	v_cndmask_b32_e64 v66, v66, v97, s3
	v_cmp_eq_u32_e64 s17, 2, v77
	v_cmp_eq_u32_e32 vcc_lo, 3, v75
	v_cmp_eq_u32_e64 s13, 3, v78
	v_div_fixup_f32 v94, v94, v80, 1.0
	v_lshl_or_b32 v80, v74, 4, v81
	v_cmp_eq_u32_e64 s16, 2, v76
	v_cmp_eq_u32_e64 s19, 3, v77
	;; [unrolled: 1-line block ×3, first 2 shown]
	v_mul_f32_e32 v66, v66, v94
	v_cmp_eq_u32_e64 s18, 3, v76
	v_cmp_eq_u32_e64 s20, 4, v78
	v_cmp_eq_u32_e64 s23, 4, v77
	v_cmp_eq_u32_e64 s7, 5, v75
	v_fma_mixlo_f16 v94, v66, v70, 0
	v_fma_mixlo_f16 v95, v66, v72, 0
	;; [unrolled: 1-line block ×8, first 2 shown]
	v_fma_mixhi_f16 v94, v66, v69, 0
	v_fma_mixhi_f16 v95, v66, v71, 0
	v_fma_mixhi_f16 v96, v66, v82, 0
	v_fma_mixhi_f16 v97, v66, v84, 0
	v_fma_mixhi_f16 v98, v66, v86, 0
	v_fma_mixhi_f16 v99, v66, v88, 0
	v_fma_mixhi_f16 v100, v66, v90, 0
	v_fma_mixhi_f16 v101, v66, v92, 0
	ds_store_b128 v80, v[94:97]
	ds_store_b128 v80, v[98:101] offset:1024
	s_waitcnt lgkmcnt(0)
	s_barrier
	buffer_gl0_inv
	ds_load_b128 v[69:72], v81
	ds_load_b128 v[82:85], v81 offset:16
	ds_load_b128 v[86:89], v81 offset:1024
	;; [unrolled: 1-line block ×3, first 2 shown]
	v_cmp_eq_u32_e64 s21, 5, v78
	v_cmp_eq_u32_e64 s22, 4, v76
	;; [unrolled: 1-line block ×12, first 2 shown]
	s_waitcnt lgkmcnt(3)
	v_lshrrev_b32_e32 v66, 16, v69
	s_waitcnt lgkmcnt(2)
	v_lshrrev_b32_e32 v97, 16, v82
	;; [unrolled: 2-line block ×4, first 2 shown]
	v_lshrrev_b32_e32 v94, 16, v70
	v_cndmask_b32_e64 v109, v69, v66, s5
	v_cndmask_b32_e64 v110, v82, v97, s5
	;; [unrolled: 1-line block ×7, first 2 shown]
	v_lshrrev_b32_e32 v98, 16, v83
	v_cndmask_b32_e64 v114, v82, v97, s10
	v_cndmask_b32_e64 v82, v86, v101, s5
	;; [unrolled: 1-line block ×15, first 2 shown]
	v_lshrrev_b32_e32 v102, 16, v87
	v_lshrrev_b32_e32 v106, 16, v91
	v_cndmask_b32_e64 v111, v113, v70, s16
	v_cndmask_b32_e64 v112, v114, v83, s16
	;; [unrolled: 1-line block ×7, first 2 shown]
	v_cndmask_b32_e32 v87, v101, v94, vcc_lo
	v_cndmask_b32_e32 v101, v105, v98, vcc_lo
	v_cndmask_b32_e64 v105, v109, v94, s13
	v_cndmask_b32_e64 v109, v110, v98, s13
	;; [unrolled: 1-line block ×4, first 2 shown]
	v_lshrrev_b32_e32 v95, 16, v71
	v_lshrrev_b32_e32 v99, 16, v84
	v_cndmask_b32_e64 v110, v111, v94, s18
	v_cndmask_b32_e64 v111, v112, v98, s18
	v_cndmask_b32_e32 v70, v70, v102, vcc_lo
	v_cndmask_b32_e32 v82, v82, v106, vcc_lo
	v_cndmask_b32_e64 v83, v83, v102, s13
	v_cndmask_b32_e64 v87, v87, v71, s4
	;; [unrolled: 1-line block ×7, first 2 shown]
	v_lshrrev_b32_e32 v103, 16, v88
	v_lshrrev_b32_e32 v107, 16, v92
	v_cndmask_b32_e64 v105, v110, v71, s22
	v_cndmask_b32_e64 v109, v111, v84, s22
	v_cndmask_b32_e64 v70, v70, v88, s4
	v_cndmask_b32_e64 v71, v82, v92, s4
	v_cndmask_b32_e64 v82, v83, v88, s20
	v_cndmask_b32_e64 v83, v87, v95, s7
	v_cndmask_b32_e64 v84, v94, v99, s7
	v_cndmask_b32_e64 v87, v98, v95, s21
	v_cndmask_b32_e64 v94, v101, v99, s21
	v_cndmask_b32_e64 v66, v66, v95, s25
	v_cndmask_b32_e64 v69, v69, v99, s25
	v_lshrrev_b32_e32 v96, 16, v72
	v_lshrrev_b32_e32 v100, 16, v85
	v_cndmask_b32_e64 v98, v105, v95, s24
	v_cndmask_b32_e64 v101, v109, v99, s24
	;; [unrolled: 1-line block ×11, first 2 shown]
	v_lshrrev_b32_e32 v104, 16, v89
	v_cndmask_b32_e64 v95, v98, v72, s27
	v_cndmask_b32_e64 v98, v101, v85, s27
	;; [unrolled: 1-line block ×14, first 2 shown]
	v_perm_b32 v72, v69, v66, 0x5040100
	v_perm_b32 v70, v94, v84, 0x5040100
	v_cndmask_b32_e64 v66, v90, v91, s17
	v_cndmask_b32_e64 v69, v118, v91, s16
	;; [unrolled: 1-line block ×4, first 2 shown]
	v_perm_b32 v71, v95, v87, 0x5040100
	v_cndmask_b32_e64 v87, v97, v102, s18
	v_cndmask_b32_e64 v86, v86, v102, s19
	;; [unrolled: 1-line block ×15, first 2 shown]
	v_lshrrev_b32_e32 v108, 16, v93
	v_cndmask_b32_e64 v87, v87, v89, s27
	v_cndmask_b32_e64 v86, v86, v89, s28
	v_cndmask_b32_e64 v66, v66, v93, s28
	v_cndmask_b32_e64 v69, v69, v93, s27
	v_cndmask_b32_e64 v84, v84, v93, s26
	v_cndmask_b32_e64 v87, v87, v104, s29
	v_cndmask_b32_e64 v86, v86, v104, s30
	v_cndmask_b32_e64 v66, v66, v108, s30
	v_cndmask_b32_e64 v88, v69, v108, s29
	v_cndmask_b32_e64 v89, v84, v108, s31
	v_cndmask_b32_e64 v90, v85, v108, s8
	v_perm_b32 v69, v83, v82, 0x5040100
	v_perm_b32 v85, v66, v86, 0x5040100
	v_perm_b32 v84, v88, v87, 0x5040100
	v_perm_b32 v83, v89, v98, 0x5040100
	v_perm_b32 v82, v90, v96, 0x5040100
	s_mov_b32 s3, exec_lo
	ds_store_b128 v80, v[69:72]
	ds_store_b128 v80, v[82:85] offset:1024
	v_cmpx_eq_u32_e32 0, v0
	s_cbranch_execz .LBB1294_13
; %bb.12:
	s_load_b128 s[4:7], s[0:1], 0x58
	s_mul_i32 s8, s37, s34
	s_delay_alu instid0(SALU_CYCLE_1) | instskip(NEXT) | instid1(SALU_CYCLE_1)
	s_add_i32 s8, s8, s15
	s_mul_i32 s8, s8, s36
	s_delay_alu instid0(SALU_CYCLE_1) | instskip(NEXT) | instid1(SALU_CYCLE_1)
	s_add_i32 s8, s8, s14
	s_ashr_i32 s9, s8, 31
	s_delay_alu instid0(SALU_CYCLE_1)
	s_lshl_b64 s[8:9], s[8:9], 2
	s_waitcnt lgkmcnt(0)
	s_add_u32 s6, s6, s8
	s_addc_u32 s7, s7, s9
	s_add_u32 s4, s4, s8
	s_addc_u32 s5, s5, s9
	s_clause 0x1
	global_store_b32 v65, v67, s[6:7]
	global_store_b32 v65, v68, s[4:5]
.LBB1294_13:
	s_or_b32 exec_lo, exec_lo, s3
	s_waitcnt lgkmcnt(0)
	s_waitcnt_vscnt null, 0x0
	s_barrier
	buffer_gl0_inv
	ds_load_b128 v[82:85], v79
	ds_load_b128 v[86:89], v79 offset:16
	ds_load_b128 v[94:97], v79 offset:2064
	;; [unrolled: 1-line block ×5, first 2 shown]
	v_mov_b32_e32 v66, v65
	v_mov_b32_e32 v67, v65
	;; [unrolled: 1-line block ×7, first 2 shown]
	ds_load_b128 v[110:113], v79 offset:6160
	ds_load_b128 v[106:109], v79 offset:6144
	v_cmp_eq_u32_e32 vcc_lo, 1, v75
	v_cmp_eq_u32_e64 s3, 1, v78
	v_cmp_eq_u32_e64 s4, 1, v77
	;; [unrolled: 1-line block ×5, first 2 shown]
	s_xor_b32 s2, s2, -1
	s_waitcnt lgkmcnt(6)
	v_wmma_f32_16x16x16_f16 v[65:72], v[49:56], v[82:89], v[65:72]
	ds_load_b128 v[53:56], v79 offset:8208
	ds_load_b128 v[49:52], v79 offset:8192
	;; [unrolled: 1-line block ×4, first 2 shown]
	s_waitcnt lgkmcnt(8)
	v_wmma_f32_16x16x16_f16 v[65:72], v[41:48], v[90:97], v[65:72]
	ds_load_b128 v[45:48], v79 offset:12304
	ds_load_b128 v[41:44], v79 offset:12288
	s_waitcnt lgkmcnt(8)
	v_wmma_f32_16x16x16_f16 v[65:72], v[33:40], v[98:105], v[65:72]
	ds_load_b128 v[37:40], v79 offset:14352
	ds_load_b128 v[33:36], v79 offset:14336
	s_waitcnt lgkmcnt(0)
	s_barrier
	buffer_gl0_inv
	v_wmma_f32_16x16x16_f16 v[65:72], v[1:8], v[106:113], v[65:72]
	s_delay_alu instid0(VALU_DEP_1) | instskip(NEXT) | instid1(VALU_DEP_1)
	v_wmma_f32_16x16x16_f16 v[65:72], v[9:16], v[49:56], v[65:72]
	v_wmma_f32_16x16x16_f16 v[65:72], v[17:24], v[82:89], v[65:72]
	s_delay_alu instid0(VALU_DEP_1) | instskip(NEXT) | instid1(VALU_DEP_1)
	v_wmma_f32_16x16x16_f16 v[65:72], v[25:32], v[41:48], v[65:72]
	v_wmma_f32_16x16x16_f16 v[65:72], v[57:64], v[33:40], v[65:72]
	s_delay_alu instid0(VALU_DEP_1) | instskip(NEXT) | instid1(VALU_DEP_2)
	v_cvt_f16_f32_e32 v1, v65
	v_cvt_f16_f32_e32 v2, v66
	s_delay_alu instid0(VALU_DEP_3) | instskip(NEXT) | instid1(VALU_DEP_4)
	v_cvt_f16_f32_e32 v3, v67
	v_cvt_f16_f32_e32 v4, v68
	;; [unrolled: 1-line block ×6, first 2 shown]
	v_pack_b32_f16 v1, v1, v2
	v_pack_b32_f16 v2, v3, v4
	;; [unrolled: 1-line block ×3, first 2 shown]
	s_delay_alu instid0(VALU_DEP_4)
	v_pack_b32_f16 v4, v7, v8
	ds_store_b128 v80, v[1:4]
	s_waitcnt lgkmcnt(0)
	s_barrier
	buffer_gl0_inv
	ds_load_b128 v[1:4], v81
	ds_load_b128 v[5:8], v81 offset:16
	s_waitcnt lgkmcnt(1)
	v_lshrrev_b32_e32 v9, 16, v1
	s_waitcnt lgkmcnt(0)
	v_lshrrev_b32_e32 v13, 16, v5
	v_lshrrev_b32_e32 v16, 16, v8
	;; [unrolled: 1-line block ×4, first 2 shown]
	v_cndmask_b32_e32 v17, v1, v9, vcc_lo
	v_cndmask_b32_e32 v18, v5, v13, vcc_lo
	v_cmp_eq_u32_e32 vcc_lo, 1, v76
	v_cndmask_b32_e64 v19, v1, v9, s3
	v_cndmask_b32_e64 v20, v5, v13, s3
	v_cmp_eq_u32_e64 s3, 2, v76
	v_lshrrev_b32_e32 v11, 16, v3
	v_cndmask_b32_e32 v21, v1, v9, vcc_lo
	v_cndmask_b32_e32 v22, v5, v13, vcc_lo
	v_cndmask_b32_e64 v1, v1, v9, s4
	v_cmp_eq_u32_e32 vcc_lo, 2, v77
	v_cndmask_b32_e64 v5, v5, v13, s4
	v_cmp_eq_u32_e64 s4, 2, v78
	v_cndmask_b32_e64 v9, v17, v2, s5
	v_cndmask_b32_e64 v13, v18, v6, s5
	v_cmp_eq_u32_e64 s5, 3, v78
	v_cndmask_b32_e32 v1, v1, v2, vcc_lo
	v_cndmask_b32_e64 v17, v19, v2, s4
	v_cndmask_b32_e64 v18, v20, v6, s4
	;; [unrolled: 1-line block ×4, first 2 shown]
	v_cndmask_b32_e32 v2, v5, v6, vcc_lo
	v_cmp_eq_u32_e32 vcc_lo, 3, v76
	v_cmp_eq_u32_e64 s4, 3, v77
	v_cndmask_b32_e64 v5, v9, v10, s6
	v_cndmask_b32_e64 v6, v13, v14, s6
	;; [unrolled: 1-line block ×4, first 2 shown]
	v_cndmask_b32_e32 v17, v19, v10, vcc_lo
	v_cmp_eq_u32_e64 s3, 4, v76
	v_cndmask_b32_e32 v18, v20, v14, vcc_lo
	v_cndmask_b32_e64 v1, v1, v10, s4
	v_cmp_eq_u32_e32 vcc_lo, 4, v77
	v_cmp_eq_u32_e64 s5, 4, v75
	v_cndmask_b32_e64 v2, v2, v14, s4
	v_cmp_eq_u32_e64 s4, 4, v78
	v_lshrrev_b32_e32 v15, 16, v7
	v_cmp_eq_u32_e64 s6, 5, v75
	v_cndmask_b32_e64 v5, v5, v3, s5
	v_cndmask_b32_e64 v6, v6, v7, s5
	;; [unrolled: 1-line block ×3, first 2 shown]
	v_cmp_eq_u32_e64 s5, 5, v78
	v_cndmask_b32_e64 v10, v13, v7, s4
	v_cndmask_b32_e64 v13, v17, v3, s3
	;; [unrolled: 1-line block ×3, first 2 shown]
	v_cmp_eq_u32_e64 s4, 5, v76
	v_cndmask_b32_e32 v1, v1, v3, vcc_lo
	v_cndmask_b32_e32 v2, v2, v7, vcc_lo
	v_cmp_eq_u32_e32 vcc_lo, 5, v77
	v_cndmask_b32_e64 v5, v5, v11, s6
	v_cmp_eq_u32_e64 s3, 6, v75
	v_cndmask_b32_e64 v6, v6, v15, s6
	v_cndmask_b32_e64 v9, v9, v11, s5
	;; [unrolled: 1-line block ×4, first 2 shown]
	v_cmp_eq_u32_e64 s5, 6, v78
	v_cndmask_b32_e64 v3, v14, v15, s4
	v_cndmask_b32_e32 v1, v1, v11, vcc_lo
	v_cmp_eq_u32_e64 s4, 6, v77
	v_cndmask_b32_e32 v2, v2, v15, vcc_lo
	v_lshrrev_b32_e32 v12, 16, v4
	v_cndmask_b32_e64 v5, v5, v4, s3
	v_cndmask_b32_e64 v9, v9, v4, s5
	;; [unrolled: 1-line block ×3, first 2 shown]
	v_cmp_eq_u32_e64 s3, 7, v75
	v_cmp_eq_u32_e64 s6, 7, v78
	v_cndmask_b32_e64 v7, v13, v4, s7
	v_cndmask_b32_e64 v3, v3, v8, s7
	;; [unrolled: 1-line block ×3, first 2 shown]
	v_cmp_eq_u32_e32 vcc_lo, 7, v77
	v_cndmask_b32_e64 v2, v2, v8, s4
	v_cmp_eq_u32_e64 s4, 7, v76
	v_cndmask_b32_e64 v4, v10, v8, s5
	v_cndmask_b32_e64 v5, v5, v12, s3
	;; [unrolled: 1-line block ×3, first 2 shown]
	v_cndmask_b32_e32 v2, v2, v16, vcc_lo
	v_cndmask_b32_e64 v7, v7, v12, s4
	v_cndmask_b32_e32 v1, v1, v12, vcc_lo
	v_cndmask_b32_e64 v3, v3, v16, s4
	v_cndmask_b32_e64 v8, v4, v16, s6
	;; [unrolled: 1-line block ×3, first 2 shown]
	v_cmp_gt_u32_e32 vcc_lo, 32, v0
	v_perm_b32 v4, v2, v1, 0x5040100
	v_perm_b32 v3, v3, v7, 0x5040100
	;; [unrolled: 1-line block ×4, first 2 shown]
	s_and_b32 s2, vcc_lo, s2
	ds_store_b128 v80, v[1:4]
	s_waitcnt lgkmcnt(0)
	s_barrier
	buffer_gl0_inv
	s_and_saveexec_b32 s3, s2
	s_cbranch_execz .LBB1294_2
; %bb.14:
	s_load_b64 s[0:1], s[0:1], 0x68
	v_lshlrev_b32_e32 v1, 10, v0
	v_and_b32_e32 v0, 1, v0
	v_lshlrev_b32_e32 v2, 6, v74
	s_lshl_b32 s4, s36, 7
	s_delay_alu instid0(VALU_DEP_3) | instskip(NEXT) | instid1(VALU_DEP_3)
	v_and_b32_e32 v1, 0x3800, v1
	v_lshlrev_b32_e32 v0, 4, v0
	s_mul_i32 s2, s4, s34
	s_delay_alu instid0(SALU_CYCLE_1) | instskip(NEXT) | instid1(VALU_DEP_1)
	s_mul_i32 s2, s2, s37
	v_or3_b32 v0, v1, v2, v0
	s_ashr_i32 s3, s2, 31
	s_delay_alu instid0(SALU_CYCLE_1)
	s_lshl_b64 s[2:3], s[2:3], 1
	ds_load_b128 v[0:3], v0
	s_waitcnt lgkmcnt(0)
	s_add_u32 s5, s0, s2
	s_addc_u32 s3, s1, s3
	s_lshl_b32 s0, s14, 7
	s_mul_i32 s2, s4, s15
	s_ashr_i32 s1, s0, 31
	s_delay_alu instid0(SALU_CYCLE_1) | instskip(NEXT) | instid1(SALU_CYCLE_1)
	s_lshl_b64 s[0:1], s[0:1], 1
	s_add_u32 s4, s5, s0
	s_addc_u32 s5, s3, s1
	s_ashr_i32 s3, s2, 31
	s_delay_alu instid0(SALU_CYCLE_1) | instskip(NEXT) | instid1(SALU_CYCLE_1)
	s_lshl_b64 s[0:1], s[2:3], 1
	s_add_u32 s0, s4, s0
	s_addc_u32 s1, s5, s1
	global_store_b128 v73, v[0:3], s[0:1]
	s_nop 0
	s_sendmsg sendmsg(MSG_DEALLOC_VGPRS)
	s_endpgm
	.section	.rodata,"a",@progbits
	.p2align	6, 0x0
	.amdhsa_kernel _Z39paged_attention_ll4mi_QKV_mfma16_kernelIDF16_hLN4vllm18Fp8KVCacheDataTypeE1EhLi32ELi128ELi256ELb1ELi1EL8MFMAType0EEvPKT_PKT0_S8_ifPKiSA_SA_iPKfiiiPfSD_PS3_PT2_iSC_SC_
		.amdhsa_group_segment_fixed_size 17472
		.amdhsa_private_segment_fixed_size 0
		.amdhsa_kernarg_size 400
		.amdhsa_user_sgpr_count 13
		.amdhsa_user_sgpr_dispatch_ptr 0
		.amdhsa_user_sgpr_queue_ptr 0
		.amdhsa_user_sgpr_kernarg_segment_ptr 1
		.amdhsa_user_sgpr_dispatch_id 0
		.amdhsa_user_sgpr_private_segment_size 0
		.amdhsa_wavefront_size32 1
		.amdhsa_uses_dynamic_stack 0
		.amdhsa_enable_private_segment 0
		.amdhsa_system_sgpr_workgroup_id_x 1
		.amdhsa_system_sgpr_workgroup_id_y 1
		.amdhsa_system_sgpr_workgroup_id_z 1
		.amdhsa_system_sgpr_workgroup_info 0
		.amdhsa_system_vgpr_workitem_id 0
		.amdhsa_next_free_vgpr 134
		.amdhsa_next_free_sgpr 68
		.amdhsa_reserve_vcc 1
		.amdhsa_float_round_mode_32 0
		.amdhsa_float_round_mode_16_64 0
		.amdhsa_float_denorm_mode_32 3
		.amdhsa_float_denorm_mode_16_64 3
		.amdhsa_dx10_clamp 1
		.amdhsa_ieee_mode 1
		.amdhsa_fp16_overflow 0
		.amdhsa_workgroup_processor_mode 1
		.amdhsa_memory_ordered 1
		.amdhsa_forward_progress 0
		.amdhsa_shared_vgpr_count 0
		.amdhsa_exception_fp_ieee_invalid_op 0
		.amdhsa_exception_fp_denorm_src 0
		.amdhsa_exception_fp_ieee_div_zero 0
		.amdhsa_exception_fp_ieee_overflow 0
		.amdhsa_exception_fp_ieee_underflow 0
		.amdhsa_exception_fp_ieee_inexact 0
		.amdhsa_exception_int_div_zero 0
	.end_amdhsa_kernel
	.section	.text._Z39paged_attention_ll4mi_QKV_mfma16_kernelIDF16_hLN4vllm18Fp8KVCacheDataTypeE1EhLi32ELi128ELi256ELb1ELi1EL8MFMAType0EEvPKT_PKT0_S8_ifPKiSA_SA_iPKfiiiPfSD_PS3_PT2_iSC_SC_,"axG",@progbits,_Z39paged_attention_ll4mi_QKV_mfma16_kernelIDF16_hLN4vllm18Fp8KVCacheDataTypeE1EhLi32ELi128ELi256ELb1ELi1EL8MFMAType0EEvPKT_PKT0_S8_ifPKiSA_SA_iPKfiiiPfSD_PS3_PT2_iSC_SC_,comdat
.Lfunc_end1294:
	.size	_Z39paged_attention_ll4mi_QKV_mfma16_kernelIDF16_hLN4vllm18Fp8KVCacheDataTypeE1EhLi32ELi128ELi256ELb1ELi1EL8MFMAType0EEvPKT_PKT0_S8_ifPKiSA_SA_iPKfiiiPfSD_PS3_PT2_iSC_SC_, .Lfunc_end1294-_Z39paged_attention_ll4mi_QKV_mfma16_kernelIDF16_hLN4vllm18Fp8KVCacheDataTypeE1EhLi32ELi128ELi256ELb1ELi1EL8MFMAType0EEvPKT_PKT0_S8_ifPKiSA_SA_iPKfiiiPfSD_PS3_PT2_iSC_SC_
                                        ; -- End function
	.section	.AMDGPU.csdata,"",@progbits
; Kernel info:
; codeLenInByte = 6404
; NumSgprs: 70
; NumVgprs: 134
; ScratchSize: 0
; MemoryBound: 1
; FloatMode: 240
; IeeeMode: 1
; LDSByteSize: 17472 bytes/workgroup (compile time only)
; SGPRBlocks: 8
; VGPRBlocks: 16
; NumSGPRsForWavesPerEU: 70
; NumVGPRsForWavesPerEU: 134
; Occupancy: 10
; WaveLimiterHint : 1
; COMPUTE_PGM_RSRC2:SCRATCH_EN: 0
; COMPUTE_PGM_RSRC2:USER_SGPR: 13
; COMPUTE_PGM_RSRC2:TRAP_HANDLER: 0
; COMPUTE_PGM_RSRC2:TGID_X_EN: 1
; COMPUTE_PGM_RSRC2:TGID_Y_EN: 1
; COMPUTE_PGM_RSRC2:TGID_Z_EN: 1
; COMPUTE_PGM_RSRC2:TIDIG_COMP_CNT: 0
	.section	.text._Z39paged_attention_ll4mi_QKV_mfma16_kernelIDF16_hLN4vllm18Fp8KVCacheDataTypeE1EhLi32ELi128ELi256ELb1ELi2EL8MFMAType0EEvPKT_PKT0_S8_ifPKiSA_SA_iPKfiiiPfSD_PS3_PT2_iSC_SC_,"axG",@progbits,_Z39paged_attention_ll4mi_QKV_mfma16_kernelIDF16_hLN4vllm18Fp8KVCacheDataTypeE1EhLi32ELi128ELi256ELb1ELi2EL8MFMAType0EEvPKT_PKT0_S8_ifPKiSA_SA_iPKfiiiPfSD_PS3_PT2_iSC_SC_,comdat
	.protected	_Z39paged_attention_ll4mi_QKV_mfma16_kernelIDF16_hLN4vllm18Fp8KVCacheDataTypeE1EhLi32ELi128ELi256ELb1ELi2EL8MFMAType0EEvPKT_PKT0_S8_ifPKiSA_SA_iPKfiiiPfSD_PS3_PT2_iSC_SC_ ; -- Begin function _Z39paged_attention_ll4mi_QKV_mfma16_kernelIDF16_hLN4vllm18Fp8KVCacheDataTypeE1EhLi32ELi128ELi256ELb1ELi2EL8MFMAType0EEvPKT_PKT0_S8_ifPKiSA_SA_iPKfiiiPfSD_PS3_PT2_iSC_SC_
	.globl	_Z39paged_attention_ll4mi_QKV_mfma16_kernelIDF16_hLN4vllm18Fp8KVCacheDataTypeE1EhLi32ELi128ELi256ELb1ELi2EL8MFMAType0EEvPKT_PKT0_S8_ifPKiSA_SA_iPKfiiiPfSD_PS3_PT2_iSC_SC_
	.p2align	8
	.type	_Z39paged_attention_ll4mi_QKV_mfma16_kernelIDF16_hLN4vllm18Fp8KVCacheDataTypeE1EhLi32ELi128ELi256ELb1ELi2EL8MFMAType0EEvPKT_PKT0_S8_ifPKiSA_SA_iPKfiiiPfSD_PS3_PT2_iSC_SC_,@function
_Z39paged_attention_ll4mi_QKV_mfma16_kernelIDF16_hLN4vllm18Fp8KVCacheDataTypeE1EhLi32ELi128ELi256ELb1ELi2EL8MFMAType0EEvPKT_PKT0_S8_ifPKiSA_SA_iPKfiiiPfSD_PS3_PT2_iSC_SC_: ; @_Z39paged_attention_ll4mi_QKV_mfma16_kernelIDF16_hLN4vllm18Fp8KVCacheDataTypeE1EhLi32ELi128ELi256ELb1ELi2EL8MFMAType0EEvPKT_PKT0_S8_ifPKiSA_SA_iPKfiiiPfSD_PS3_PT2_iSC_SC_
; %bb.0:
	s_load_b64 s[2:3], s[0:1], 0x30
	s_mov_b32 s34, s13
	s_waitcnt lgkmcnt(0)
	s_cmp_lg_u64 s[2:3], 0
	s_cselect_b32 s8, -1, 0
	s_ashr_i32 s35, s13, 31
	s_cmp_eq_u64 s[2:3], 0
	s_cbranch_scc1 .LBB1295_3
; %bb.1:
	s_lshl_b64 s[4:5], s[34:35], 2
	s_delay_alu instid0(SALU_CYCLE_1) | instskip(SKIP_4) | instid1(SALU_CYCLE_1)
	s_add_u32 s4, s2, s4
	s_addc_u32 s5, s3, s5
	s_load_b64 s[4:5], s[4:5], 0x0
	s_waitcnt lgkmcnt(0)
	s_sub_i32 s4, s5, s4
	s_cmp_eq_u32 s4, 1
	s_cselect_b32 s4, -1, 0
	s_delay_alu instid0(SALU_CYCLE_1)
	s_and_not1_b32 vcc_lo, exec_lo, s4
	s_cbranch_vccz .LBB1295_4
.LBB1295_2:
	s_endpgm
.LBB1295_3:
.LBB1295_4:
	s_load_b64 s[4:5], s[0:1], 0x28
	s_lshl_b64 s[6:7], s[34:35], 2
	s_waitcnt lgkmcnt(0)
	s_add_u32 s4, s4, s6
	s_addc_u32 s5, s5, s7
	s_lshl_b32 s12, s14, 8
	s_load_b32 s24, s[4:5], 0x0
	s_waitcnt lgkmcnt(0)
	s_cmp_ge_i32 s12, s24
	s_cbranch_scc1 .LBB1295_2
; %bb.5:
	s_clause 0x1
	s_load_b128 s[20:23], s[0:1], 0x8
	s_load_b64 s[4:5], s[0:1], 0x20
	s_and_not1_b32 vcc_lo, exec_lo, s8
	s_cbranch_vccnz .LBB1295_7
; %bb.6:
	s_add_u32 s2, s2, s6
	s_addc_u32 s3, s3, s7
	s_load_b32 s3, s[2:3], 0x0
	s_branch .LBB1295_8
.LBB1295_7:
	s_mov_b32 s3, s34
.LBB1295_8:
	s_load_b128 s[16:19], s[0:1], 0x48
	v_and_b32_e32 v70, 15, v0
	v_bfe_u32 v69, v0, 4, 1
	s_lshl_b32 s31, s15, 1
	v_and_b32_e32 v71, 31, v0
	v_and_b32_e32 v68, 1, v0
	v_lshlrev_b32_e32 v1, 3, v70
	v_cmp_gt_u32_e64 s2, 32, v0
	v_or_b32_e32 v67, s31, v69
	v_lshlrev_b32_e32 v66, 6, v69
	s_delay_alu instid0(VALU_DEP_4) | instskip(NEXT) | instid1(VALU_DEP_4)
	v_lshlrev_b32_e32 v65, 1, v1
	s_and_saveexec_b32 s6, s2
	s_cbranch_execz .LBB1295_10
; %bb.9:
	s_load_b64 s[8:9], s[0:1], 0x0
	v_lshlrev_b32_e32 v1, 7, v67
	s_waitcnt lgkmcnt(0)
	s_mul_hi_i32 s11, s3, s16
	s_mul_i32 s10, s3, s16
	v_lshlrev_b32_e32 v5, 10, v70
	s_lshl_b64 s[10:11], s[10:11], 1
	v_ashrrev_i32_e32 v2, 31, v1
	v_lshlrev_b32_e32 v6, 10, v68
	s_delay_alu instid0(VALU_DEP_3) | instskip(NEXT) | instid1(VALU_DEP_3)
	v_and_b32_e32 v5, 0x3800, v5
	v_lshlrev_b64 v[1:2], 1, v[1:2]
	s_delay_alu instid0(VALU_DEP_2) | instskip(SKIP_2) | instid1(VALU_DEP_2)
	v_or3_b32 v5, v5, v6, v66
	s_add_u32 s3, s8, s10
	s_addc_u32 s7, s9, s11
	v_add_co_u32 v1, vcc_lo, s3, v1
	s_delay_alu instid0(VALU_DEP_3) | instskip(NEXT) | instid1(VALU_DEP_2)
	v_add_co_ci_u32_e32 v2, vcc_lo, s7, v2, vcc_lo
	v_add_co_u32 v1, vcc_lo, v1, v65
	s_delay_alu instid0(VALU_DEP_2)
	v_add_co_ci_u32_e32 v2, vcc_lo, 0, v2, vcc_lo
	global_load_b128 v[1:4], v[1:2], off
	s_waitcnt vmcnt(0)
	ds_store_b128 v5, v[1:4]
.LBB1295_10:
	s_or_b32 exec_lo, exec_lo, s6
	v_and_b32_e32 v1, 0xef, v0
	s_waitcnt lgkmcnt(0)
	s_add_i32 s3, s24, 31
	s_clause 0x1
	s_load_b32 s6, s[0:1], 0x38
	s_load_b32 s33, s[0:1], 0x98
	s_ashr_i32 s7, s3, 31
	v_add_nc_u32_e32 v1, s12, v1
	s_lshr_b32 s7, s7, 27
	s_load_b32 s19, s[0:1], 0x1c
	s_add_i32 s3, s3, s7
	s_waitcnt lgkmcnt(0)
	v_ashrrev_i32_e32 v2, 31, v1
	v_or_b32_e32 v3, 16, v1
	s_ashr_i32 s3, s3, 5
	v_cmp_gt_i32_e32 vcc_lo, s24, v1
	s_add_i32 s3, s3, -1
	v_lshrrev_b32_e32 v2, 27, v2
	s_barrier
	buffer_gl0_inv
	s_mul_i32 s35, s15, s18
	v_lshrrev_b32_e32 v72, 5, v0
	v_add_nc_u32_e32 v4, v1, v2
	s_mul_i32 s6, s34, s6
	s_delay_alu instid0(SALU_CYCLE_1) | instskip(NEXT) | instid1(VALU_DEP_1)
	s_ashr_i32 s7, s6, 31
	v_ashrrev_i32_e32 v4, 5, v4
	v_add_nc_u32_e32 v2, v3, v2
	s_lshl_b64 s[6:7], s[6:7], 2
	s_delay_alu instid0(SALU_CYCLE_1) | instskip(NEXT) | instid1(VALU_DEP_2)
	s_add_u32 s25, s4, s6
	v_cndmask_b32_e32 v1, s3, v4, vcc_lo
	s_delay_alu instid0(VALU_DEP_2)
	v_ashrrev_i32_e32 v2, 5, v2
	v_cmp_gt_i32_e32 vcc_lo, s24, v3
	s_addc_u32 s30, s5, s7
	s_ashr_i32 s38, s35, 31
	s_add_u32 s4, s20, s35
	s_addc_u32 s5, s21, s38
	v_cndmask_b32_e32 v3, s3, v2, vcc_lo
	v_ashrrev_i32_e32 v2, 31, v1
	s_lshl_b32 s6, s14, 3
	s_delay_alu instid0(SALU_CYCLE_1) | instskip(NEXT) | instid1(VALU_DEP_2)
	s_ashr_i32 s7, s6, 31
	v_ashrrev_i32_e32 v4, 31, v3
	s_delay_alu instid0(VALU_DEP_2) | instskip(SKIP_1) | instid1(SALU_CYCLE_1)
	v_lshlrev_b64 v[1:2], 2, v[1:2]
	s_lshl_b64 s[6:7], s[6:7], 2
	s_add_u32 s6, s25, s6
	s_delay_alu instid0(VALU_DEP_2) | instskip(SKIP_1) | instid1(VALU_DEP_2)
	v_lshlrev_b64 v[3:4], 2, v[3:4]
	s_addc_u32 s7, s30, s7
	v_add_co_u32 v1, vcc_lo, s25, v1
	v_add_co_ci_u32_e32 v2, vcc_lo, s30, v2, vcc_lo
	s_delay_alu instid0(VALU_DEP_3) | instskip(NEXT) | instid1(VALU_DEP_4)
	v_add_co_u32 v3, vcc_lo, s25, v3
	v_add_co_ci_u32_e32 v4, vcc_lo, s30, v4, vcc_lo
	s_clause 0x1
	global_load_b32 v5, v[1:2], off
	global_load_b32 v6, v[3:4], off
	s_or_b32 s8, s12, 32
	s_delay_alu instid0(SALU_CYCLE_1) | instskip(SKIP_2) | instid1(SALU_CYCLE_1)
	s_ashr_i32 s9, s8, 5
	s_cmp_lt_i32 s8, s24
	s_cselect_b32 s8, s9, s3
	s_ashr_i32 s9, s8, 31
	s_delay_alu instid0(SALU_CYCLE_1) | instskip(NEXT) | instid1(SALU_CYCLE_1)
	s_lshl_b64 s[8:9], s[8:9], 2
	s_add_u32 s8, s25, s8
	s_addc_u32 s9, s30, s9
	s_or_b32 s10, s12, 64
	s_delay_alu instid0(SALU_CYCLE_1) | instskip(SKIP_2) | instid1(SALU_CYCLE_1)
	s_ashr_i32 s11, s10, 5
	s_cmp_lt_i32 s10, s24
	s_cselect_b32 s10, s11, s3
	s_ashr_i32 s11, s10, 31
	s_delay_alu instid0(SALU_CYCLE_1) | instskip(NEXT) | instid1(SALU_CYCLE_1)
	s_lshl_b64 s[10:11], s[10:11], 2
	s_add_u32 s10, s25, s10
	s_addc_u32 s11, s30, s11
	;; [unrolled: 10-line block ×5, first 2 shown]
	s_clause 0x5
	s_load_b32 s21, s[6:7], 0x0
	s_load_b32 s13, s[8:9], 0x0
	s_load_b32 s15, s[10:11], 0x0
	s_load_b32 s16, s[26:27], 0x0
	s_load_b32 s18, s[28:29], 0x0
	s_load_b32 s20, s[36:37], 0x0
	s_or_b32 s7, s12, 0xc0
	s_delay_alu instid0(SALU_CYCLE_1) | instskip(SKIP_2) | instid1(SALU_CYCLE_1)
	s_ashr_i32 s8, s7, 5
	s_cmp_lt_i32 s7, s24
	s_cselect_b32 s10, s8, s3
	s_ashr_i32 s11, s10, 31
	s_delay_alu instid0(SALU_CYCLE_1) | instskip(NEXT) | instid1(SALU_CYCLE_1)
	s_lshl_b64 s[26:27], s[10:11], 2
	s_add_u32 s26, s25, s26
	s_addc_u32 s27, s30, s27
	s_or_b32 s28, s12, 0xe0
	s_delay_alu instid0(SALU_CYCLE_1)
	s_ashr_i32 s29, s28, 5
	s_cmp_lt_i32 s28, s24
	s_waitcnt vmcnt(1)
	v_mad_i64_i32 v[1:2], null, v5, s17, s[4:5]
	s_waitcnt vmcnt(0)
	v_mad_i64_i32 v[3:4], null, v6, s17, s[4:5]
	s_mov_b32 s4, 0
	s_delay_alu instid0(SALU_CYCLE_1)
	s_mov_b32 s5, s4
	s_mov_b32 s6, s4
	;; [unrolled: 1-line block ×7, first 2 shown]
	s_delay_alu instid0(SALU_CYCLE_1) | instskip(SKIP_2) | instid1(VALU_DEP_3)
	v_dual_mov_b32 v120, s11 :: v_dual_lshlrev_b32 v5, 4, v70
	v_dual_mov_b32 v116, s7 :: v_dual_lshlrev_b32 v145, 6, v68
	v_mov_b32_e32 v114, s5
	v_add_co_u32 v1, vcc_lo, v1, v5
	v_add_co_ci_u32_e32 v2, vcc_lo, 0, v2, vcc_lo
	v_add_co_u32 v3, vcc_lo, v3, v5
	v_add_co_ci_u32_e32 v4, vcc_lo, 0, v4, vcc_lo
	s_clause 0xf
	global_load_b128 v[9:12], v[1:2], off
	global_load_b128 v[13:16], v[1:2], off offset:512
	global_load_b128 v[17:20], v[3:4], off offset:256
	;; [unrolled: 1-line block ×15, first 2 shown]
	v_dual_mov_b32 v119, s10 :: v_dual_mov_b32 v118, s9
	v_mov_b32_e32 v117, s8
	v_mov_b32_e32 v115, s6
	;; [unrolled: 1-line block ×3, first 2 shown]
	s_cselect_b32 s4, s29, s3
	v_lshlrev_b32_e32 v1, 5, v70
	s_ashr_i32 s5, s4, 31
	ds_load_b128 v[25:28], v145
	ds_load_b128 v[29:32], v145 offset:1024
	s_lshl_b64 s[4:5], s[4:5], 2
	s_load_b32 s3, s[26:27], 0x0
	s_add_u32 s4, s25, s4
	s_addc_u32 s5, s30, s5
	ds_load_b128 v[121:124], v145 offset:2048
	ds_load_b128 v[125:128], v145 offset:3072
	s_load_b32 s4, s[4:5], 0x0
	v_lshl_or_b32 v1, v72, 9, v1
	s_add_u32 s6, s22, s35
	s_addc_u32 s7, s23, s38
	s_delay_alu instid0(VALU_DEP_1) | instskip(NEXT) | instid1(VALU_DEP_1)
	v_add_co_u32 v129, s6, s6, v1
	v_add_co_ci_u32_e64 v130, null, s7, 0, s6
	s_waitcnt lgkmcnt(0)
	s_delay_alu instid0(VALU_DEP_1)
	v_mad_i64_i32 v[1:2], null, s21, s17, v[129:130]
	v_mad_i64_i32 v[3:4], null, s13, s17, v[129:130]
	;; [unrolled: 1-line block ×8, first 2 shown]
	s_clause 0x7
	global_load_b128 v[49:52], v[1:2], off
	global_load_b128 v[53:56], v[1:2], off offset:16
	global_load_b128 v[41:44], v[3:4], off
	global_load_b128 v[45:48], v[3:4], off offset:16
	;; [unrolled: 2-line block ×4, first 2 shown]
	s_waitcnt vmcnt(22)
	v_wmma_f32_16x16x16_f16 v[129:136], v[9:16], v[25:32], v[113:120]
	s_waitcnt vmcnt(20)
	v_wmma_f32_16x16x16_f16 v[113:120], v[17:24], v[25:32], v[113:120]
	s_clause 0x5
	global_load_b128 v[9:12], v[137:138], off
	global_load_b128 v[13:16], v[137:138], off offset:16
	global_load_b128 v[17:20], v[139:140], off
	global_load_b128 v[21:24], v[139:140], off offset:16
	;; [unrolled: 2-line block ×3, first 2 shown]
	v_mbcnt_lo_u32_b32 v137, -1, 0
	s_waitcnt vmcnt(24)
	v_wmma_f32_16x16x16_f16 v[129:136], v[57:64], v[121:128], v[129:136]
	s_clause 0x1
	global_load_b128 v[57:60], v[143:144], off
	global_load_b128 v[61:64], v[143:144], off offset:16
	s_waitcnt vmcnt(24)
	v_wmma_f32_16x16x16_f16 v[113:120], v[73:80], v[121:128], v[113:120]
	ds_load_b128 v[73:76], v145 offset:4096
	ds_load_b128 v[77:80], v145 offset:5120
	v_and_b32_e32 v121, 0xe0, v0
	v_xor_b32_e32 v139, 16, v137
	s_delay_alu instid0(VALU_DEP_2)
	v_add_nc_u32_e32 v138, s12, v121
	ds_load_b128 v[121:124], v145 offset:6144
	ds_load_b128 v[125:128], v145 offset:7168
	v_cmp_gt_i32_e32 vcc_lo, 32, v139
	s_waitcnt vmcnt(0) lgkmcnt(0)
	s_barrier
	v_or_b32_e32 v138, v138, v69
	buffer_gl0_inv
	v_or_b32_e32 v140, 4, v138
	v_or_b32_e32 v141, 6, v138
	v_or_b32_e32 v142, 8, v138
	v_wmma_f32_16x16x16_f16 v[129:136], v[81:88], v[73:80], v[129:136]
	v_wmma_f32_16x16x16_f16 v[113:120], v[89:96], v[73:80], v[113:120]
	v_or_b32_e32 v81, 10, v138
	v_cmp_gt_i32_e64 s4, s24, v140
	v_cmp_gt_i32_e64 s5, s24, v141
	v_or_b32_e32 v82, 12, v138
	v_or_b32_e32 v83, 14, v138
	v_wmma_f32_16x16x16_f16 v[129:136], v[97:104], v[121:128], v[129:136]
	v_wmma_f32_16x16x16_f16 v[113:120], v[105:112], v[121:128], v[113:120]
	v_cndmask_b32_e32 v137, v137, v139, vcc_lo
	v_or_b32_e32 v139, 2, v138
	v_cmp_gt_i32_e32 vcc_lo, s24, v138
	v_mul_f32_e32 v90, s19, v130
	v_dual_mul_f32 v92, s19, v120 :: v_dual_mul_f32 v91, s19, v129
	s_delay_alu instid0(VALU_DEP_4) | instskip(SKIP_2) | instid1(VALU_DEP_4)
	v_cmp_gt_i32_e64 s3, s24, v139
	v_dual_mul_f32 v80, s19, v132 :: v_dual_mul_f32 v89, s19, v131
	v_mul_f32_e32 v98, s19, v114
	v_cndmask_b32_e32 v91, 0xff7fffff, v91, vcc_lo
	s_delay_alu instid0(VALU_DEP_4)
	v_cndmask_b32_e64 v90, 0xff7fffff, v90, s3
	v_dual_mul_f32 v78, s19, v134 :: v_dual_mul_f32 v79, s19, v133
	v_mul_f32_e32 v96, s19, v116
	v_cndmask_b32_e64 v89, 0xff7fffff, v89, s4
	v_cndmask_b32_e64 v80, 0xff7fffff, v80, s5
	v_max3_f32 v90, v91, 0xff7fffff, v90
	v_cmp_gt_i32_e64 s6, s24, v142
	v_cmp_gt_i32_e64 s7, s24, v81
	v_or_b32_e32 v84, 16, v138
	v_or_b32_e32 v85, 18, v138
	v_dual_mul_f32 v76, s19, v136 :: v_dual_mul_f32 v77, s19, v135
	v_mul_f32_e32 v94, s19, v118
	v_cndmask_b32_e64 v79, 0xff7fffff, v79, s6
	v_cndmask_b32_e64 v78, 0xff7fffff, v78, s7
	v_max3_f32 v80, v90, v89, v80
	v_cmp_gt_i32_e64 s8, s24, v82
	v_cmp_gt_i32_e64 s9, s24, v83
	v_or_b32_e32 v86, 20, v138
	v_or_b32_e32 v87, 22, v138
	v_mul_f32_e32 v99, s19, v113
	v_cndmask_b32_e64 v77, 0xff7fffff, v77, s8
	v_cndmask_b32_e64 v76, 0xff7fffff, v76, s9
	v_max3_f32 v78, v80, v79, v78
	v_cmp_gt_i32_e64 s10, s24, v84
	v_cmp_gt_i32_e64 s11, s24, v85
	v_or_b32_e32 v88, 24, v138
	v_or_b32_e32 v73, 26, v138
	;; [unrolled: 8-line block ×3, first 2 shown]
	v_mul_f32_e32 v95, s19, v117
	v_cndmask_b32_e64 v77, 0xff7fffff, v97, s12
	v_cndmask_b32_e64 v78, 0xff7fffff, v96, s13
	v_max3_f32 v76, v76, v79, v80
	v_cmp_gt_i32_e64 s15, s24, v88
	v_cmp_gt_i32_e64 s16, s24, v73
	v_mul_f32_e32 v93, s19, v119
	v_cmp_gt_i32_e64 s17, s24, v74
	v_max3_f32 v76, v76, v77, v78
	v_cndmask_b32_e64 v79, 0xff7fffff, v95, s15
	v_cndmask_b32_e64 v73, 0xff7fffff, v94, s16
	v_cmp_gt_i32_e64 s18, s24, v75
	v_cndmask_b32_e64 v74, 0xff7fffff, v93, s17
	s_delay_alu instid0(VALU_DEP_3) | instskip(NEXT) | instid1(VALU_DEP_3)
	v_max3_f32 v73, v76, v79, v73
	v_cndmask_b32_e64 v75, 0xff7fffff, v92, s18
	v_lshlrev_b32_e32 v76, 2, v137
	s_delay_alu instid0(VALU_DEP_2) | instskip(SKIP_3) | instid1(VALU_DEP_1)
	v_max3_f32 v73, v73, v74, v75
	ds_bpermute_b32 v74, v76, v73
	s_waitcnt lgkmcnt(0)
	v_max_f32_e32 v74, v74, v74
	v_max_f32_e32 v73, v73, v74
	s_delay_alu instid0(VALU_DEP_1)
	v_fma_f32 v78, s19, v132, -v73
	v_fma_f32 v74, s19, v129, -v73
	;; [unrolled: 1-line block ×5, first 2 shown]
	v_mul_f32_e32 v78, 0x3fb8aa3b, v78
	v_mul_f32_e32 v74, 0x3fb8aa3b, v74
	s_delay_alu instid0(VALU_DEP_4) | instskip(SKIP_1) | instid1(VALU_DEP_4)
	v_dual_mul_f32 v80, 0x3fb8aa3b, v80 :: v_dual_mul_f32 v83, 0x3fb8aa3b, v83
	v_fma_f32 v77, s19, v131, -v73
	v_exp_f32_e32 v82, v78
	s_delay_alu instid0(VALU_DEP_3) | instskip(NEXT) | instid1(VALU_DEP_2)
	v_exp_f32_e32 v74, v74
	v_exp_f32_e32 v84, v80
	;; [unrolled: 1-line block ×3, first 2 shown]
	v_mul_f32_e32 v77, 0x3fb8aa3b, v77
	s_delay_alu instid0(VALU_DEP_1)
	v_exp_f32_e32 v77, v77
	v_cndmask_b32_e64 v80, 0, v82, s5
	v_fma_f32 v82, s19, v113, -v73
	v_mul_f32_e32 v75, 0x3fb8aa3b, v75
	s_waitcnt_depctr 0xfff
	v_cndmask_b32_e64 v85, 0, v85, s8
	v_cndmask_b32_e32 v79, 0, v74, vcc_lo
	v_fma_f32 v74, s19, v134, -v73
	v_mul_f32_e32 v86, 0x3fb8aa3b, v82
	v_exp_f32_e32 v75, v75
	v_cndmask_b32_e64 v83, 0, v84, s6
	v_cndmask_b32_e64 v81, 0, v77, s4
	v_mul_f32_e32 v74, 0x3fb8aa3b, v74
	v_exp_f32_e32 v86, v86
	s_delay_alu instid0(VALU_DEP_1) | instskip(NEXT) | instid1(TRANS32_DEP_3)
	v_exp_f32_e32 v74, v74
	v_cndmask_b32_e64 v78, 0, v75, s3
	v_add_f32_e32 v75, 0, v79
	s_mov_b32 s3, exec_lo
	s_delay_alu instid0(VALU_DEP_1) | instskip(SKIP_3) | instid1(VALU_DEP_1)
	v_add_f32_e32 v75, v75, v78
	s_waitcnt_depctr 0xfff
	v_cndmask_b32_e64 v82, 0, v74, s7
	v_add_f32_e32 v75, v75, v81
	v_add_f32_e32 v75, v75, v80
	s_delay_alu instid0(VALU_DEP_1)
	v_add_f32_e32 v74, v75, v83
	v_fma_f32 v90, s19, v118, -v73
	v_fma_f32 v84, s19, v114, -v73
	;; [unrolled: 1-line block ×5, first 2 shown]
	v_mul_f32_e32 v90, 0x3fb8aa3b, v90
	v_mul_f32_e32 v84, 0x3fb8aa3b, v84
	s_delay_alu instid0(VALU_DEP_4) | instskip(SKIP_1) | instid1(VALU_DEP_4)
	v_dual_add_f32 v74, v74, v82 :: v_dual_mul_f32 v89, 0x3fb8aa3b, v87
	v_cndmask_b32_e64 v87, 0, v86, s10
	v_exp_f32_e32 v90, v90
	s_delay_alu instid0(VALU_DEP_3) | instskip(NEXT) | instid1(VALU_DEP_2)
	v_exp_f32_e32 v88, v84
	v_add_f32_e32 v74, v74, v85
	v_exp_f32_e32 v91, v89
	v_fma_f32 v92, s19, v120, -v73
	s_delay_alu instid0(TRANS32_DEP_3)
	v_cndmask_b32_e64 v90, 0, v90, s16
	v_mul_f32_e32 v75, 0x3fb8aa3b, v75
	s_waitcnt_depctr 0xfff
	v_cndmask_b32_e64 v86, 0, v88, s11
	v_fma_f32 v88, s19, v119, -v73
	v_exp_f32_e32 v75, v75
	s_waitcnt_depctr 0xfff
	v_cndmask_b32_e64 v89, 0, v75, s12
	v_mul_f32_e32 v75, 0x3fb8aa3b, v88
	v_cndmask_b32_e64 v88, 0, v91, s13
	v_mul_f32_e32 v77, 0x3fb8aa3b, v77
	s_delay_alu instid0(VALU_DEP_3) | instskip(NEXT) | instid1(VALU_DEP_1)
	v_exp_f32_e32 v75, v75
	v_exp_f32_e32 v77, v77
	s_waitcnt_depctr 0xfff
	v_cndmask_b32_e64 v93, 0, v75, s17
	v_cndmask_b32_e64 v84, 0, v77, s9
	v_fma_f32 v77, s19, v117, -v73
	s_delay_alu instid0(VALU_DEP_2) | instskip(NEXT) | instid1(VALU_DEP_1)
	v_add_f32_e32 v74, v74, v84
	v_add_f32_e32 v74, v74, v87
	s_delay_alu instid0(VALU_DEP_1) | instskip(NEXT) | instid1(VALU_DEP_1)
	v_add_f32_e32 v74, v74, v86
	v_add_f32_e32 v74, v74, v89
	s_delay_alu instid0(VALU_DEP_1) | instskip(NEXT) | instid1(VALU_DEP_1)
	v_dual_add_f32 v74, v74, v88 :: v_dual_mul_f32 v77, 0x3fb8aa3b, v77
	v_exp_f32_e32 v77, v77
	s_waitcnt_depctr 0xfff
	v_cndmask_b32_e64 v91, 0, v77, s15
	s_delay_alu instid0(VALU_DEP_1) | instskip(NEXT) | instid1(VALU_DEP_1)
	v_dual_mul_f32 v77, 0x3fb8aa3b, v92 :: v_dual_add_f32 v74, v74, v91
	v_exp_f32_e32 v77, v77
	s_delay_alu instid0(VALU_DEP_1) | instskip(NEXT) | instid1(VALU_DEP_1)
	v_add_f32_e32 v74, v74, v90
	v_add_f32_e32 v74, v74, v93
	s_waitcnt_depctr 0xfff
	v_cndmask_b32_e64 v92, 0, v77, s18
	s_delay_alu instid0(VALU_DEP_1)
	v_add_f32_e32 v74, v74, v92
	ds_bpermute_b32 v75, v76, v74
	v_cmpx_gt_u32_e32 16, v71
	s_cbranch_execz .LBB1295_12
; %bb.11:
	v_mul_u32_u24_e32 v71, 0x44, v72
	s_waitcnt lgkmcnt(0)
	v_add_f32_e32 v74, v74, v75
	s_delay_alu instid0(VALU_DEP_2) | instskip(NEXT) | instid1(VALU_DEP_1)
	v_lshl_add_u32 v71, v70, 2, v71
	v_add_nc_u32_e32 v71, 0x4000, v71
	ds_store_2addr_b32 v71, v73, v74 offset1:136
.LBB1295_12:
	s_or_b32 exec_lo, exec_lo, s3
	v_lshlrev_b32_e32 v71, 2, v70
	s_load_b32 s35, s[0:1], 0x94
	s_waitcnt lgkmcnt(0)
	s_barrier
	buffer_gl0_inv
	v_add_nc_u32_e32 v71, 0x4000, v71
	v_cmp_eq_u32_e32 vcc_lo, 1, v72
	v_cmp_eq_u32_e64 s3, 2, v72
	v_cmp_eq_u32_e64 s4, 3, v72
	v_cmp_eq_u32_e64 s5, 4, v72
	ds_load_2addr_b32 v[73:74], v71 offset1:17
	ds_load_2addr_b32 v[94:95], v71 offset0:34 offset1:51
	ds_load_2addr_b32 v[96:97], v71 offset0:68 offset1:85
	;; [unrolled: 1-line block ×3, first 2 shown]
	v_cmp_eq_u32_e64 s6, 5, v72
	v_cmp_eq_u32_e64 s7, 7, v72
	s_waitcnt lgkmcnt(3)
	v_max3_f32 v75, v73, 0xff7fffff, v74
	s_waitcnt lgkmcnt(2)
	s_delay_alu instid0(VALU_DEP_1) | instskip(SKIP_1) | instid1(VALU_DEP_1)
	v_max3_f32 v75, v75, v94, v95
	s_waitcnt lgkmcnt(1)
	v_max3_f32 v75, v75, v96, v97
	s_waitcnt lgkmcnt(0)
	s_delay_alu instid0(VALU_DEP_1) | instskip(NEXT) | instid1(VALU_DEP_1)
	v_max3_f32 v76, v75, v98, v99
	v_sub_f32_e32 v96, v96, v76
	ds_load_2addr_b32 v[100:101], v71 offset0:136 offset1:153
	v_sub_f32_e32 v73, v73, v76
	v_sub_f32_e32 v75, v74, v76
	v_sub_f32_e32 v94, v94, v76
	v_mul_f32_e32 v105, 0x3fb8aa3b, v96
	s_delay_alu instid0(VALU_DEP_4)
	v_mul_f32_e32 v77, 0x3fb8aa3b, v73
	ds_load_2addr_b32 v[73:74], v71 offset0:170 offset1:187
	v_mul_f32_e32 v103, 0x3fb8aa3b, v94
	v_exp_f32_e32 v102, v77
	v_sub_f32_e32 v77, v95, v76
	ds_load_2addr_b32 v[94:95], v71 offset0:204 offset1:221
	v_exp_f32_e32 v103, v103
	v_mul_f32_e32 v104, 0x3fb8aa3b, v77
	s_waitcnt lgkmcnt(2)
	v_fma_f32 v77, v102, v100, 0
	v_dual_sub_f32 v100, v97, v76 :: v_dual_mul_f32 v75, 0x3fb8aa3b, v75
	ds_load_2addr_b32 v[96:97], v71 offset0:238 offset1:255
	v_sub_f32_e32 v71, v98, v76
	v_exp_f32_e32 v104, v104
	v_mul_f32_e32 v98, 0x3fb8aa3b, v100
	v_exp_f32_e32 v75, v75
	v_exp_f32_e32 v100, v105
	v_mul_f32_e32 v71, 0x3fb8aa3b, v71
	s_waitcnt lgkmcnt(0)
	v_exp_f32_e32 v98, v98
	s_barrier
	buffer_gl0_inv
	v_fmac_f32_e32 v77, v75, v101
	s_delay_alu instid0(VALU_DEP_1) | instskip(SKIP_2) | instid1(VALU_DEP_2)
	v_fmac_f32_e32 v77, v103, v73
	v_sub_f32_e32 v73, v99, v76
	v_exp_f32_e32 v99, v71
	v_fmac_f32_e32 v77, v104, v74
	s_delay_alu instid0(VALU_DEP_2) | instskip(NEXT) | instid1(VALU_DEP_2)
	v_dual_mul_f32 v73, 0x3fb8aa3b, v73 :: v_dual_lshlrev_b32 v74, 6, v70
	v_dual_fmac_f32 v77, v100, v94 :: v_dual_lshlrev_b32 v70, 2, v69
	s_delay_alu instid0(VALU_DEP_2) | instskip(SKIP_1) | instid1(VALU_DEP_3)
	v_exp_f32_e32 v94, v73
	v_cndmask_b32_e32 v73, v102, v75, vcc_lo
	v_lshl_or_b32 v75, v72, 11, v74
	s_delay_alu instid0(VALU_DEP_3) | instskip(SKIP_1) | instid1(VALU_DEP_3)
	v_cmp_eq_u32_e64 s8, 7, v70
	v_fmac_f32_e32 v77, v98, v95
	v_lshl_or_b32 v69, v69, 4, v75
	s_delay_alu instid0(VALU_DEP_2)
	v_fmac_f32_e32 v77, v99, v96
	s_delay_alu instid0(TRANS32_DEP_1) | instid1(VALU_DEP_1)
	v_fmac_f32_e32 v77, v94, v97
	s_delay_alu instid0(VALU_DEP_1) | instskip(NEXT) | instid1(VALU_DEP_1)
	v_add_f32_e32 v95, 0x358637bd, v77
	v_div_scale_f32 v96, null, v95, v95, 1.0
	v_div_scale_f32 v101, vcc_lo, 1.0, v95, 1.0
	s_delay_alu instid0(VALU_DEP_2) | instskip(SKIP_2) | instid1(VALU_DEP_1)
	v_rcp_f32_e32 v97, v96
	s_waitcnt_depctr 0xfff
	v_fma_f32 v71, -v96, v97, 1.0
	v_fmac_f32_e32 v97, v71, v97
	v_cndmask_b32_e64 v71, v73, v103, s3
	v_cmp_eq_u32_e64 s3, 6, v72
	v_or_b32_e32 v73, 1, v70
	v_or_b32_e32 v72, 3, v70
	v_mul_f32_e32 v102, v101, v97
	v_cndmask_b32_e64 v71, v71, v104, s4
	v_cmp_eq_u32_e64 s4, 1, v70
	v_cmp_eq_u32_e64 s9, 1, v73
	;; [unrolled: 1-line block ×3, first 2 shown]
	v_fma_f32 v103, -v96, v102, v101
	v_cndmask_b32_e64 v100, v71, v100, s5
	v_or_b32_e32 v71, 2, v70
	v_cmp_eq_u32_e64 s5, 2, v70
	v_cmp_eq_u32_e64 s12, 2, v73
	v_fmac_f32_e32 v102, v103, v97
	v_cndmask_b32_e64 v98, v100, v98, s6
	v_cmp_eq_u32_e64 s10, 1, v71
	v_cmp_eq_u32_e64 s15, 2, v71
	;; [unrolled: 1-line block ×3, first 2 shown]
	v_fma_f32 v96, -v96, v102, v101
	v_cndmask_b32_e64 v98, v98, v99, s3
	v_cmp_eq_u32_e64 s13, 3, v73
	v_cmp_eq_u32_e64 s18, 3, v72
	;; [unrolled: 1-line block ×3, first 2 shown]
	v_div_fmas_f32 v96, v96, v97, v102
	v_cndmask_b32_e64 v94, v98, v94, s7
	v_cmp_eq_u32_e32 vcc_lo, 3, v70
	v_cmp_eq_u32_e64 s17, 3, v71
	v_cmp_eq_u32_e64 s19, 4, v73
	v_div_fixup_f32 v95, v96, v95, 1.0
	v_cmp_eq_u32_e64 s22, 4, v72
	v_cmp_eq_u32_e64 s6, 5, v70
	;; [unrolled: 1-line block ×4, first 2 shown]
	v_mul_f32_e32 v102, v94, v95
	v_cmp_eq_u32_e64 s24, 5, v72
	v_cmp_eq_u32_e64 s23, 5, v71
	;; [unrolled: 1-line block ×4, first 2 shown]
	v_fma_mixlo_f16 v94, v102, v79, 0
	v_fma_mixlo_f16 v95, v102, v81, 0
	;; [unrolled: 1-line block ×8, first 2 shown]
	v_fma_mixhi_f16 v94, v102, v78, 0
	v_fma_mixhi_f16 v95, v102, v80, 0
	;; [unrolled: 1-line block ×8, first 2 shown]
	ds_store_b128 v69, v[94:97]
	ds_store_b128 v69, v[98:101] offset:1024
	s_waitcnt lgkmcnt(0)
	s_barrier
	buffer_gl0_inv
	ds_load_b128 v[78:81], v75
	ds_load_b128 v[82:85], v75 offset:16
	ds_load_b128 v[86:89], v75 offset:1024
	ds_load_b128 v[90:93], v75 offset:1040
	v_cmp_eq_u32_e64 s7, 6, v70
	v_cmp_eq_u32_e64 s26, 6, v71
	;; [unrolled: 1-line block ×5, first 2 shown]
	s_waitcnt lgkmcnt(3)
	v_lshrrev_b32_e32 v94, 16, v78
	s_waitcnt lgkmcnt(2)
	v_lshrrev_b32_e32 v98, 16, v82
	s_waitcnt lgkmcnt(1)
	v_lshrrev_b32_e32 v102, 16, v86
	s_waitcnt lgkmcnt(0)
	v_lshrrev_b32_e32 v106, 16, v90
	v_lshrrev_b32_e32 v95, 16, v79
	v_cndmask_b32_e64 v110, v78, v94, s4
	v_cndmask_b32_e64 v111, v82, v98, s4
	;; [unrolled: 1-line block ×8, first 2 shown]
	v_lshrrev_b32_e32 v99, 16, v83
	v_cndmask_b32_e64 v94, v86, v102, s4
	v_cndmask_b32_e64 v98, v90, v106, s4
	;; [unrolled: 1-line block ×15, first 2 shown]
	v_lshrrev_b32_e32 v103, 16, v87
	v_lshrrev_b32_e32 v107, 16, v91
	v_cndmask_b32_e64 v113, v115, v83, s15
	v_cndmask_b32_e64 v82, v94, v87, s5
	;; [unrolled: 1-line block ×7, first 2 shown]
	v_cndmask_b32_e32 v90, v102, v95, vcc_lo
	v_cndmask_b32_e32 v102, v106, v99, vcc_lo
	v_cndmask_b32_e64 v106, v110, v95, s13
	v_cndmask_b32_e64 v110, v111, v99, s13
	v_cndmask_b32_e64 v78, v78, v95, s18
	v_cndmask_b32_e64 v79, v79, v99, s18
	v_lshrrev_b32_e32 v96, 16, v80
	v_lshrrev_b32_e32 v100, 16, v84
	v_cndmask_b32_e64 v111, v112, v95, s17
	v_cndmask_b32_e64 v112, v113, v99, s17
	v_cndmask_b32_e32 v82, v82, v103, vcc_lo
	v_cndmask_b32_e32 v83, v83, v107, vcc_lo
	v_cndmask_b32_e64 v94, v94, v103, s13
	v_cndmask_b32_e64 v90, v90, v80, s3
	;; [unrolled: 1-line block ×7, first 2 shown]
	v_lshrrev_b32_e32 v104, 16, v88
	v_cndmask_b32_e64 v106, v111, v80, s21
	v_cndmask_b32_e64 v110, v112, v84, s21
	;; [unrolled: 1-line block ×11, first 2 shown]
	v_lshrrev_b32_e32 v97, 16, v81
	v_lshrrev_b32_e32 v101, 16, v85
	v_cndmask_b32_e64 v99, v106, v96, s23
	v_cndmask_b32_e64 v102, v110, v100, s23
	;; [unrolled: 1-line block ×7, first 2 shown]
	v_lshrrev_b32_e32 v105, 16, v89
	v_cndmask_b32_e64 v80, v80, v104, s6
	v_cndmask_b32_e64 v84, v84, v81, s7
	;; [unrolled: 1-line block ×16, first 2 shown]
	v_perm_b32 v81, v79, v78, 0x5040100
	v_perm_b32 v79, v95, v85, 0x5040100
	v_cndmask_b32_e64 v78, v119, v91, s15
	v_cndmask_b32_e64 v85, v117, v91, s12
	;; [unrolled: 1-line block ×3, first 2 shown]
	v_perm_b32 v80, v94, v90, 0x5040100
	v_cndmask_b32_e64 v90, v98, v103, s17
	v_cndmask_b32_e64 v86, v86, v103, s18
	;; [unrolled: 1-line block ×5, first 2 shown]
	v_lshrrev_b32_e32 v108, 16, v92
	v_cndmask_b32_e64 v90, v90, v88, s21
	v_cndmask_b32_e64 v86, v86, v88, s22
	;; [unrolled: 1-line block ×11, first 2 shown]
	v_lshrrev_b32_e32 v109, 16, v93
	v_cndmask_b32_e64 v82, v82, v93, s7
	v_cndmask_b32_e64 v88, v88, v89, s26
	;; [unrolled: 1-line block ×12, first 2 shown]
	v_perm_b32 v78, v84, v83, 0x5040100
	v_perm_b32 v85, v87, v86, 0x5040100
	;; [unrolled: 1-line block ×5, first 2 shown]
	s_lshl_b32 s8, s33, 1
	s_mov_b32 s3, exec_lo
	ds_store_b128 v69, v[78:81]
	ds_store_b128 v69, v[82:85] offset:1024
	v_cmpx_gt_u32_e32 2, v0
	s_cbranch_execz .LBB1295_14
; %bb.13:
	v_or_b32_e32 v78, s31, v0
	s_load_b128 s[4:7], s[0:1], 0x58
	s_delay_alu instid0(VALU_DEP_1) | instskip(NEXT) | instid1(VALU_DEP_1)
	v_mad_u64_u32 v[79:80], null, s8, s34, v[78:79]
	v_mad_u64_u32 v[80:81], null, v79, s35, s[14:15]
	s_delay_alu instid0(VALU_DEP_1) | instskip(NEXT) | instid1(VALU_DEP_1)
	v_ashrrev_i32_e32 v81, 31, v80
	v_lshlrev_b64 v[78:79], 2, v[80:81]
	s_waitcnt lgkmcnt(0)
	s_delay_alu instid0(VALU_DEP_1) | instskip(NEXT) | instid1(VALU_DEP_2)
	v_add_co_u32 v80, vcc_lo, s6, v78
	v_add_co_ci_u32_e32 v81, vcc_lo, s7, v79, vcc_lo
	v_add_co_u32 v78, vcc_lo, s4, v78
	v_add_co_ci_u32_e32 v79, vcc_lo, s5, v79, vcc_lo
	global_store_b32 v[80:81], v76, off
	global_store_b32 v[78:79], v77, off
.LBB1295_14:
	s_or_b32 exec_lo, exec_lo, s3
	s_waitcnt lgkmcnt(0)
	s_waitcnt_vscnt null, 0x0
	s_barrier
	buffer_gl0_inv
	ds_load_b128 v[84:87], v74
	ds_load_b128 v[88:91], v74 offset:16
	ds_load_b128 v[96:99], v74 offset:2064
	;; [unrolled: 1-line block ×5, first 2 shown]
	v_cmp_eq_u32_e32 vcc_lo, 1, v70
	v_mov_b32_e32 v76, 0
	ds_load_b128 v[112:115], v74 offset:6160
	ds_load_b128 v[108:111], v74 offset:6144
	;; [unrolled: 1-line block ×4, first 2 shown]
	v_cmp_eq_u32_e64 s4, 1, v71
	v_cmp_eq_u32_e64 s3, 1, v73
	;; [unrolled: 1-line block ×3, first 2 shown]
	v_mov_b32_e32 v77, v76
	v_mov_b32_e32 v78, v76
	;; [unrolled: 1-line block ×7, first 2 shown]
	v_cmp_eq_u32_e64 s6, 3, v73
	v_cmp_eq_u32_e64 s7, 7, v73
	s_waitcnt lgkmcnt(8)
	s_delay_alu instid0(VALU_DEP_3)
	v_wmma_f32_16x16x16_f16 v[76:83], v[49:56], v[84:91], v[76:83]
	ds_load_b128 v[53:56], v74 offset:10256
	ds_load_b128 v[49:52], v74 offset:10240
	s_waitcnt lgkmcnt(8)
	v_wmma_f32_16x16x16_f16 v[76:83], v[41:48], v[92:99], v[76:83]
	ds_load_b128 v[45:48], v74 offset:12304
	ds_load_b128 v[41:44], v74 offset:12288
	s_waitcnt lgkmcnt(8)
	;; [unrolled: 4-line block ×3, first 2 shown]
	s_barrier
	buffer_gl0_inv
	v_wmma_f32_16x16x16_f16 v[76:83], v[1:8], v[108:115], v[76:83]
	s_delay_alu instid0(VALU_DEP_1) | instskip(NEXT) | instid1(VALU_DEP_1)
	v_wmma_f32_16x16x16_f16 v[76:83], v[9:16], v[116:123], v[76:83]
	v_wmma_f32_16x16x16_f16 v[76:83], v[17:24], v[49:56], v[76:83]
	s_delay_alu instid0(VALU_DEP_1) | instskip(NEXT) | instid1(VALU_DEP_1)
	v_wmma_f32_16x16x16_f16 v[76:83], v[25:32], v[41:48], v[76:83]
	v_wmma_f32_16x16x16_f16 v[76:83], v[57:64], v[33:40], v[76:83]
	s_delay_alu instid0(VALU_DEP_1) | instskip(NEXT) | instid1(VALU_DEP_2)
	v_cvt_f16_f32_e32 v1, v76
	v_cvt_f16_f32_e32 v2, v77
	s_delay_alu instid0(VALU_DEP_3) | instskip(NEXT) | instid1(VALU_DEP_4)
	v_cvt_f16_f32_e32 v3, v78
	v_cvt_f16_f32_e32 v4, v79
	v_cvt_f16_f32_e32 v5, v80
	v_cvt_f16_f32_e32 v6, v81
	v_cvt_f16_f32_e32 v7, v82
	v_cvt_f16_f32_e32 v8, v83
	v_pack_b32_f16 v1, v1, v2
	v_pack_b32_f16 v2, v3, v4
	;; [unrolled: 1-line block ×3, first 2 shown]
	s_delay_alu instid0(VALU_DEP_4)
	v_pack_b32_f16 v4, v7, v8
	ds_store_b128 v69, v[1:4]
	s_waitcnt lgkmcnt(0)
	s_barrier
	buffer_gl0_inv
	ds_load_b128 v[1:4], v75
	ds_load_b128 v[5:8], v75 offset:16
	s_waitcnt lgkmcnt(1)
	v_lshrrev_b32_e32 v9, 16, v1
	s_waitcnt lgkmcnt(0)
	v_lshrrev_b32_e32 v13, 16, v5
	v_lshrrev_b32_e32 v10, 16, v2
	;; [unrolled: 1-line block ×4, first 2 shown]
	v_cndmask_b32_e32 v17, v1, v9, vcc_lo
	v_cndmask_b32_e32 v18, v5, v13, vcc_lo
	v_cndmask_b32_e64 v21, v1, v9, s4
	v_cmp_eq_u32_e32 vcc_lo, 1, v72
	v_cndmask_b32_e64 v22, v5, v13, s4
	v_cmp_eq_u32_e64 s4, 2, v70
	v_cndmask_b32_e64 v19, v1, v9, s3
	v_cndmask_b32_e64 v20, v5, v13, s3
	v_cndmask_b32_e32 v1, v1, v9, vcc_lo
	v_cmp_eq_u32_e64 s3, 2, v72
	v_cndmask_b32_e32 v5, v5, v13, vcc_lo
	v_cndmask_b32_e64 v9, v17, v2, s4
	v_cmp_eq_u32_e32 vcc_lo, 3, v70
	v_cndmask_b32_e64 v13, v18, v6, s4
	v_cmp_eq_u32_e64 s4, 2, v71
	v_cndmask_b32_e64 v17, v19, v2, s5
	v_cndmask_b32_e64 v18, v20, v6, s5
	v_cmp_eq_u32_e64 s5, 3, v71
	v_cndmask_b32_e64 v1, v1, v2, s3
	v_cndmask_b32_e64 v19, v21, v2, s4
	;; [unrolled: 1-line block ×4, first 2 shown]
	v_cndmask_b32_e32 v5, v9, v10, vcc_lo
	v_cndmask_b32_e32 v6, v13, v14, vcc_lo
	v_cmp_eq_u32_e32 vcc_lo, 3, v72
	v_cndmask_b32_e64 v9, v17, v10, s6
	v_cndmask_b32_e64 v13, v18, v14, s6
	;; [unrolled: 1-line block ×3, first 2 shown]
	v_cmp_eq_u32_e64 s4, 4, v70
	v_cndmask_b32_e32 v1, v1, v10, vcc_lo
	v_cndmask_b32_e32 v2, v2, v14, vcc_lo
	v_cmp_eq_u32_e32 vcc_lo, 4, v73
	v_lshrrev_b32_e32 v15, 16, v7
	v_lshrrev_b32_e32 v16, 16, v8
	v_cndmask_b32_e64 v17, v19, v10, s5
	v_cmp_eq_u32_e64 s3, 4, v72
	v_cndmask_b32_e64 v5, v5, v3, s4
	v_cndmask_b32_e64 v6, v6, v7, s4
	v_cndmask_b32_e32 v9, v9, v3, vcc_lo
	v_cmp_eq_u32_e64 s4, 5, v73
	v_cndmask_b32_e32 v10, v13, v7, vcc_lo
	v_cmp_eq_u32_e32 vcc_lo, 4, v71
	v_cmp_eq_u32_e64 s5, 5, v70
	v_cndmask_b32_e64 v2, v2, v7, s3
	v_cndmask_b32_e64 v9, v9, v11, s4
	;; [unrolled: 1-line block ×3, first 2 shown]
	v_cndmask_b32_e32 v13, v17, v3, vcc_lo
	v_cmp_eq_u32_e64 s4, 5, v71
	v_cndmask_b32_e32 v14, v18, v7, vcc_lo
	v_cndmask_b32_e64 v1, v1, v3, s3
	v_cmp_eq_u32_e32 vcc_lo, 5, v72
	v_lshrrev_b32_e32 v12, 16, v4
	v_cndmask_b32_e64 v13, v13, v11, s4
	v_cndmask_b32_e64 v3, v14, v15, s4
	v_cmp_eq_u32_e64 s4, 6, v72
	v_cndmask_b32_e32 v1, v1, v11, vcc_lo
	v_cndmask_b32_e64 v5, v5, v11, s5
	v_cmp_eq_u32_e64 s6, 6, v70
	v_cndmask_b32_e64 v6, v6, v15, s5
	v_cmp_eq_u32_e64 s5, 6, v73
	v_cmp_eq_u32_e64 s3, 6, v71
	v_cndmask_b32_e64 v1, v1, v4, s4
	v_cndmask_b32_e32 v2, v2, v15, vcc_lo
	v_cmp_eq_u32_e32 vcc_lo, 7, v72
	v_cndmask_b32_e64 v5, v5, v4, s6
	v_cndmask_b32_e64 v9, v9, v4, s5
	;; [unrolled: 1-line block ×3, first 2 shown]
	v_cmp_eq_u32_e64 s6, 7, v70
	v_cndmask_b32_e32 v1, v1, v12, vcc_lo
	v_cndmask_b32_e64 v7, v13, v4, s3
	v_cndmask_b32_e64 v3, v3, v8, s3
	;; [unrolled: 1-line block ×3, first 2 shown]
	v_cmp_eq_u32_e64 s3, 7, v71
	v_cndmask_b32_e64 v4, v10, v8, s5
	v_cndmask_b32_e64 v5, v5, v12, s6
	;; [unrolled: 1-line block ×3, first 2 shown]
	v_cndmask_b32_e32 v2, v2, v16, vcc_lo
	v_cndmask_b32_e64 v7, v7, v12, s3
	v_cndmask_b32_e64 v3, v3, v16, s3
	;; [unrolled: 1-line block ×4, first 2 shown]
	v_perm_b32 v4, v2, v1, 0x5040100
	s_delay_alu instid0(VALU_DEP_4) | instskip(NEXT) | instid1(VALU_DEP_4)
	v_perm_b32 v3, v3, v7, 0x5040100
	v_perm_b32 v2, v8, v9, 0x5040100
	s_delay_alu instid0(VALU_DEP_4)
	v_perm_b32 v1, v6, v5, 0x5040100
	ds_store_b128 v69, v[1:4]
	s_waitcnt lgkmcnt(0)
	s_barrier
	buffer_gl0_inv
	s_and_saveexec_b32 s3, s2
	s_cbranch_execz .LBB1295_2
; %bb.15:
	s_load_b64 s[0:1], s[0:1], 0x68
	v_lshlrev_b32_e32 v0, 10, v0
	s_lshl_b32 s2, s35, 7
	v_lshlrev_b32_e32 v1, 4, v68
	v_mul_lo_u32 v4, s2, v67
	s_mul_i32 s3, s2, s34
	v_and_b32_e32 v0, 0x3800, v0
	s_mul_i32 s2, s3, s8
	s_delay_alu instid0(SALU_CYCLE_1) | instskip(NEXT) | instid1(VALU_DEP_1)
	s_ashr_i32 s3, s2, 31
	v_or3_b32 v0, v0, v66, v1
	s_lshl_b64 s[2:3], s[2:3], 1
	s_delay_alu instid0(VALU_DEP_3)
	v_ashrrev_i32_e32 v5, 31, v4
	ds_load_b128 v[0:3], v0
	v_lshlrev_b64 v[4:5], 1, v[4:5]
	s_waitcnt lgkmcnt(0)
	s_add_u32 s2, s0, s2
	s_addc_u32 s3, s1, s3
	s_lshl_b32 s0, s14, 7
	s_delay_alu instid0(SALU_CYCLE_1) | instskip(NEXT) | instid1(SALU_CYCLE_1)
	s_ashr_i32 s1, s0, 31
	s_lshl_b64 s[0:1], s[0:1], 1
	s_delay_alu instid0(SALU_CYCLE_1) | instskip(SKIP_3) | instid1(VALU_DEP_2)
	s_add_u32 s0, s2, s0
	s_addc_u32 s1, s3, s1
	v_add_co_u32 v4, vcc_lo, s0, v4
	v_add_co_ci_u32_e32 v5, vcc_lo, s1, v5, vcc_lo
	v_add_co_u32 v4, vcc_lo, v4, v65
	s_delay_alu instid0(VALU_DEP_2)
	v_add_co_ci_u32_e32 v5, vcc_lo, 0, v5, vcc_lo
	global_store_b128 v[4:5], v[0:3], off
	s_nop 0
	s_sendmsg sendmsg(MSG_DEALLOC_VGPRS)
	s_endpgm
	.section	.rodata,"a",@progbits
	.p2align	6, 0x0
	.amdhsa_kernel _Z39paged_attention_ll4mi_QKV_mfma16_kernelIDF16_hLN4vllm18Fp8KVCacheDataTypeE1EhLi32ELi128ELi256ELb1ELi2EL8MFMAType0EEvPKT_PKT0_S8_ifPKiSA_SA_iPKfiiiPfSD_PS3_PT2_iSC_SC_
		.amdhsa_group_segment_fixed_size 17472
		.amdhsa_private_segment_fixed_size 0
		.amdhsa_kernarg_size 400
		.amdhsa_user_sgpr_count 13
		.amdhsa_user_sgpr_dispatch_ptr 0
		.amdhsa_user_sgpr_queue_ptr 0
		.amdhsa_user_sgpr_kernarg_segment_ptr 1
		.amdhsa_user_sgpr_dispatch_id 0
		.amdhsa_user_sgpr_private_segment_size 0
		.amdhsa_wavefront_size32 1
		.amdhsa_uses_dynamic_stack 0
		.amdhsa_enable_private_segment 0
		.amdhsa_system_sgpr_workgroup_id_x 1
		.amdhsa_system_sgpr_workgroup_id_y 1
		.amdhsa_system_sgpr_workgroup_id_z 1
		.amdhsa_system_sgpr_workgroup_info 0
		.amdhsa_system_vgpr_workitem_id 0
		.amdhsa_next_free_vgpr 146
		.amdhsa_next_free_sgpr 39
		.amdhsa_reserve_vcc 1
		.amdhsa_float_round_mode_32 0
		.amdhsa_float_round_mode_16_64 0
		.amdhsa_float_denorm_mode_32 3
		.amdhsa_float_denorm_mode_16_64 3
		.amdhsa_dx10_clamp 1
		.amdhsa_ieee_mode 1
		.amdhsa_fp16_overflow 0
		.amdhsa_workgroup_processor_mode 1
		.amdhsa_memory_ordered 1
		.amdhsa_forward_progress 0
		.amdhsa_shared_vgpr_count 0
		.amdhsa_exception_fp_ieee_invalid_op 0
		.amdhsa_exception_fp_denorm_src 0
		.amdhsa_exception_fp_ieee_div_zero 0
		.amdhsa_exception_fp_ieee_overflow 0
		.amdhsa_exception_fp_ieee_underflow 0
		.amdhsa_exception_fp_ieee_inexact 0
		.amdhsa_exception_int_div_zero 0
	.end_amdhsa_kernel
	.section	.text._Z39paged_attention_ll4mi_QKV_mfma16_kernelIDF16_hLN4vllm18Fp8KVCacheDataTypeE1EhLi32ELi128ELi256ELb1ELi2EL8MFMAType0EEvPKT_PKT0_S8_ifPKiSA_SA_iPKfiiiPfSD_PS3_PT2_iSC_SC_,"axG",@progbits,_Z39paged_attention_ll4mi_QKV_mfma16_kernelIDF16_hLN4vllm18Fp8KVCacheDataTypeE1EhLi32ELi128ELi256ELb1ELi2EL8MFMAType0EEvPKT_PKT0_S8_ifPKiSA_SA_iPKfiiiPfSD_PS3_PT2_iSC_SC_,comdat
.Lfunc_end1295:
	.size	_Z39paged_attention_ll4mi_QKV_mfma16_kernelIDF16_hLN4vllm18Fp8KVCacheDataTypeE1EhLi32ELi128ELi256ELb1ELi2EL8MFMAType0EEvPKT_PKT0_S8_ifPKiSA_SA_iPKfiiiPfSD_PS3_PT2_iSC_SC_, .Lfunc_end1295-_Z39paged_attention_ll4mi_QKV_mfma16_kernelIDF16_hLN4vllm18Fp8KVCacheDataTypeE1EhLi32ELi128ELi256ELb1ELi2EL8MFMAType0EEvPKT_PKT0_S8_ifPKiSA_SA_iPKfiiiPfSD_PS3_PT2_iSC_SC_
                                        ; -- End function
	.section	.AMDGPU.csdata,"",@progbits
; Kernel info:
; codeLenInByte = 6456
; NumSgprs: 41
; NumVgprs: 146
; ScratchSize: 0
; MemoryBound: 0
; FloatMode: 240
; IeeeMode: 1
; LDSByteSize: 17472 bytes/workgroup (compile time only)
; SGPRBlocks: 5
; VGPRBlocks: 18
; NumSGPRsForWavesPerEU: 41
; NumVGPRsForWavesPerEU: 146
; Occupancy: 9
; WaveLimiterHint : 1
; COMPUTE_PGM_RSRC2:SCRATCH_EN: 0
; COMPUTE_PGM_RSRC2:USER_SGPR: 13
; COMPUTE_PGM_RSRC2:TRAP_HANDLER: 0
; COMPUTE_PGM_RSRC2:TGID_X_EN: 1
; COMPUTE_PGM_RSRC2:TGID_Y_EN: 1
; COMPUTE_PGM_RSRC2:TGID_Z_EN: 1
; COMPUTE_PGM_RSRC2:TIDIG_COMP_CNT: 0
	.section	.text._Z39paged_attention_ll4mi_QKV_mfma16_kernelIDF16_hLN4vllm18Fp8KVCacheDataTypeE1EhLi32ELi128ELi256ELb1ELi3EL8MFMAType0EEvPKT_PKT0_S8_ifPKiSA_SA_iPKfiiiPfSD_PS3_PT2_iSC_SC_,"axG",@progbits,_Z39paged_attention_ll4mi_QKV_mfma16_kernelIDF16_hLN4vllm18Fp8KVCacheDataTypeE1EhLi32ELi128ELi256ELb1ELi3EL8MFMAType0EEvPKT_PKT0_S8_ifPKiSA_SA_iPKfiiiPfSD_PS3_PT2_iSC_SC_,comdat
	.protected	_Z39paged_attention_ll4mi_QKV_mfma16_kernelIDF16_hLN4vllm18Fp8KVCacheDataTypeE1EhLi32ELi128ELi256ELb1ELi3EL8MFMAType0EEvPKT_PKT0_S8_ifPKiSA_SA_iPKfiiiPfSD_PS3_PT2_iSC_SC_ ; -- Begin function _Z39paged_attention_ll4mi_QKV_mfma16_kernelIDF16_hLN4vllm18Fp8KVCacheDataTypeE1EhLi32ELi128ELi256ELb1ELi3EL8MFMAType0EEvPKT_PKT0_S8_ifPKiSA_SA_iPKfiiiPfSD_PS3_PT2_iSC_SC_
	.globl	_Z39paged_attention_ll4mi_QKV_mfma16_kernelIDF16_hLN4vllm18Fp8KVCacheDataTypeE1EhLi32ELi128ELi256ELb1ELi3EL8MFMAType0EEvPKT_PKT0_S8_ifPKiSA_SA_iPKfiiiPfSD_PS3_PT2_iSC_SC_
	.p2align	8
	.type	_Z39paged_attention_ll4mi_QKV_mfma16_kernelIDF16_hLN4vllm18Fp8KVCacheDataTypeE1EhLi32ELi128ELi256ELb1ELi3EL8MFMAType0EEvPKT_PKT0_S8_ifPKiSA_SA_iPKfiiiPfSD_PS3_PT2_iSC_SC_,@function
_Z39paged_attention_ll4mi_QKV_mfma16_kernelIDF16_hLN4vllm18Fp8KVCacheDataTypeE1EhLi32ELi128ELi256ELb1ELi3EL8MFMAType0EEvPKT_PKT0_S8_ifPKiSA_SA_iPKfiiiPfSD_PS3_PT2_iSC_SC_: ; @_Z39paged_attention_ll4mi_QKV_mfma16_kernelIDF16_hLN4vllm18Fp8KVCacheDataTypeE1EhLi32ELi128ELi256ELb1ELi3EL8MFMAType0EEvPKT_PKT0_S8_ifPKiSA_SA_iPKfiiiPfSD_PS3_PT2_iSC_SC_
; %bb.0:
	s_load_b64 s[4:5], s[0:1], 0x30
	s_mov_b32 s34, s13
	s_waitcnt lgkmcnt(0)
	s_cmp_lg_u64 s[4:5], 0
	s_cselect_b32 s8, -1, 0
	s_ashr_i32 s35, s13, 31
	s_cmp_eq_u64 s[4:5], 0
	s_cbranch_scc1 .LBB1296_3
; %bb.1:
	s_lshl_b64 s[2:3], s[34:35], 2
	s_delay_alu instid0(SALU_CYCLE_1) | instskip(SKIP_4) | instid1(SALU_CYCLE_1)
	s_add_u32 s2, s4, s2
	s_addc_u32 s3, s5, s3
	s_load_b64 s[2:3], s[2:3], 0x0
	s_waitcnt lgkmcnt(0)
	s_sub_i32 s2, s3, s2
	s_cmp_eq_u32 s2, 1
	s_cselect_b32 s2, -1, 0
	s_delay_alu instid0(SALU_CYCLE_1)
	s_and_not1_b32 vcc_lo, exec_lo, s2
	s_cbranch_vccz .LBB1296_4
.LBB1296_2:
	s_nop 0
	s_sendmsg sendmsg(MSG_DEALLOC_VGPRS)
	s_endpgm
.LBB1296_3:
.LBB1296_4:
	s_load_b64 s[2:3], s[0:1], 0x28
	s_lshl_b64 s[6:7], s[34:35], 2
	s_waitcnt lgkmcnt(0)
	s_add_u32 s2, s2, s6
	s_addc_u32 s3, s3, s7
	s_lshl_b32 s12, s14, 8
	s_load_b32 s24, s[2:3], 0x0
	s_waitcnt lgkmcnt(0)
	s_cmp_ge_i32 s12, s24
	s_cbranch_scc1 .LBB1296_2
; %bb.5:
	s_clause 0x1
	s_load_b128 s[20:23], s[0:1], 0x8
	s_load_b64 s[2:3], s[0:1], 0x20
	s_and_not1_b32 vcc_lo, exec_lo, s8
	s_cbranch_vccnz .LBB1296_7
; %bb.6:
	s_add_u32 s4, s4, s6
	s_addc_u32 s5, s5, s7
	s_load_b32 s5, s[4:5], 0x0
	s_branch .LBB1296_8
.LBB1296_7:
	s_mov_b32 s5, s34
.LBB1296_8:
	s_load_b128 s[16:19], s[0:1], 0x48
	v_and_b32_e32 v68, 15, v0
	v_lshrrev_b32_e32 v69, 5, v0
	v_bfe_u32 v66, v0, 4, 1
	v_and_b32_e32 v70, 31, v0
	v_and_b32_e32 v67, 1, v0
	v_lshlrev_b32_e32 v2, 3, v68
	s_mul_i32 s31, s15, 3
	v_lshl_or_b32 v1, v69, 1, v66
	s_mov_b32 s4, exec_lo
	s_delay_alu instid0(VALU_DEP_2) | instskip(NEXT) | instid1(VALU_DEP_2)
	v_lshlrev_b32_e32 v65, 1, v2
	v_cmpx_gt_u32_e32 3, v1
	s_cbranch_execz .LBB1296_10
; %bb.9:
	s_load_b64 s[6:7], s[0:1], 0x0
	v_add_lshl_u32 v2, v1, s31, 7
	s_waitcnt lgkmcnt(0)
	s_mul_hi_i32 s9, s5, s16
	s_mul_i32 s8, s5, s16
	v_lshlrev_b32_e32 v6, 10, v68
	s_lshl_b64 s[8:9], s[8:9], 1
	v_ashrrev_i32_e32 v3, 31, v2
	v_lshlrev_b32_e32 v1, 6, v1
	v_lshlrev_b32_e32 v7, 10, v67
	v_and_b32_e32 v6, 0x3800, v6
	s_delay_alu instid0(VALU_DEP_4) | instskip(NEXT) | instid1(VALU_DEP_2)
	v_lshlrev_b64 v[2:3], 1, v[2:3]
	v_or3_b32 v1, v6, v7, v1
	s_add_u32 s5, s6, s8
	s_addc_u32 s6, s7, s9
	s_delay_alu instid0(VALU_DEP_2) | instskip(NEXT) | instid1(VALU_DEP_3)
	v_add_co_u32 v2, vcc_lo, s5, v2
	v_add_co_ci_u32_e32 v3, vcc_lo, s6, v3, vcc_lo
	s_delay_alu instid0(VALU_DEP_2) | instskip(NEXT) | instid1(VALU_DEP_2)
	v_add_co_u32 v2, vcc_lo, v2, v65
	v_add_co_ci_u32_e32 v3, vcc_lo, 0, v3, vcc_lo
	global_load_b128 v[2:5], v[2:3], off
	s_waitcnt vmcnt(0)
	ds_store_b128 v1, v[2:5]
.LBB1296_10:
	s_or_b32 exec_lo, exec_lo, s4
	v_and_b32_e32 v1, 0xef, v0
	s_waitcnt lgkmcnt(0)
	s_add_i32 s5, s24, 31
	s_clause 0x1
	s_load_b32 s4, s[0:1], 0x38
	s_load_b32 s33, s[0:1], 0x98
	s_ashr_i32 s6, s5, 31
	v_add_nc_u32_e32 v1, s12, v1
	s_lshr_b32 s6, s6, 27
	s_load_b32 s19, s[0:1], 0x1c
	s_add_i32 s5, s5, s6
	s_waitcnt lgkmcnt(0)
	v_ashrrev_i32_e32 v2, 31, v1
	v_or_b32_e32 v3, 16, v1
	s_ashr_i32 s13, s5, 5
	v_cmp_gt_i32_e32 vcc_lo, s24, v1
	s_add_i32 s13, s13, -1
	v_lshrrev_b32_e32 v2, 27, v2
	s_barrier
	buffer_gl0_inv
	s_mul_i32 s15, s15, s18
	v_add_nc_u32_e32 v4, v1, v2
	s_mul_i32 s4, s34, s4
	s_delay_alu instid0(SALU_CYCLE_1) | instskip(NEXT) | instid1(VALU_DEP_1)
	s_ashr_i32 s5, s4, 31
	v_ashrrev_i32_e32 v4, 5, v4
	v_add_nc_u32_e32 v2, v3, v2
	s_lshl_b64 s[4:5], s[4:5], 2
	s_delay_alu instid0(SALU_CYCLE_1) | instskip(NEXT) | instid1(VALU_DEP_2)
	s_add_u32 s16, s2, s4
	v_cndmask_b32_e32 v1, s13, v4, vcc_lo
	s_delay_alu instid0(VALU_DEP_2)
	v_ashrrev_i32_e32 v2, 5, v2
	v_cmp_gt_i32_e32 vcc_lo, s24, v3
	s_addc_u32 s25, s3, s5
	s_ashr_i32 s18, s15, 31
	s_add_u32 s2, s20, s15
	s_addc_u32 s3, s21, s18
	v_cndmask_b32_e32 v3, s13, v2, vcc_lo
	v_ashrrev_i32_e32 v2, 31, v1
	s_lshl_b32 s4, s14, 3
	s_delay_alu instid0(SALU_CYCLE_1) | instskip(NEXT) | instid1(VALU_DEP_2)
	s_ashr_i32 s5, s4, 31
	v_ashrrev_i32_e32 v4, 31, v3
	s_delay_alu instid0(VALU_DEP_2) | instskip(SKIP_1) | instid1(SALU_CYCLE_1)
	v_lshlrev_b64 v[1:2], 2, v[1:2]
	s_lshl_b64 s[4:5], s[4:5], 2
	s_add_u32 s4, s16, s4
	s_delay_alu instid0(VALU_DEP_2) | instskip(SKIP_1) | instid1(VALU_DEP_2)
	v_lshlrev_b64 v[3:4], 2, v[3:4]
	s_addc_u32 s5, s25, s5
	v_add_co_u32 v1, vcc_lo, s16, v1
	v_add_co_ci_u32_e32 v2, vcc_lo, s25, v2, vcc_lo
	s_delay_alu instid0(VALU_DEP_3) | instskip(NEXT) | instid1(VALU_DEP_4)
	v_add_co_u32 v3, vcc_lo, s16, v3
	v_add_co_ci_u32_e32 v4, vcc_lo, s25, v4, vcc_lo
	s_clause 0x1
	global_load_b32 v5, v[1:2], off
	global_load_b32 v6, v[3:4], off
	s_or_b32 s6, s12, 32
	s_delay_alu instid0(SALU_CYCLE_1) | instskip(SKIP_2) | instid1(SALU_CYCLE_1)
	s_ashr_i32 s7, s6, 5
	s_cmp_lt_i32 s6, s24
	s_cselect_b32 s6, s7, s13
	s_ashr_i32 s7, s6, 31
	s_delay_alu instid0(SALU_CYCLE_1) | instskip(NEXT) | instid1(SALU_CYCLE_1)
	s_lshl_b64 s[6:7], s[6:7], 2
	s_add_u32 s6, s16, s6
	s_addc_u32 s7, s25, s7
	s_or_b32 s8, s12, 64
	s_delay_alu instid0(SALU_CYCLE_1) | instskip(SKIP_2) | instid1(SALU_CYCLE_1)
	s_ashr_i32 s9, s8, 5
	s_cmp_lt_i32 s8, s24
	s_cselect_b32 s8, s9, s13
	s_ashr_i32 s9, s8, 31
	s_delay_alu instid0(SALU_CYCLE_1) | instskip(NEXT) | instid1(SALU_CYCLE_1)
	s_lshl_b64 s[8:9], s[8:9], 2
	s_add_u32 s8, s16, s8
	s_addc_u32 s9, s25, s9
	;; [unrolled: 10-line block ×5, first 2 shown]
	s_clause 0x5
	s_load_b32 s28, s[4:5], 0x0
	s_load_b32 s29, s[6:7], 0x0
	;; [unrolled: 1-line block ×6, first 2 shown]
	s_mov_b32 s4, 0
	s_delay_alu instid0(SALU_CYCLE_1)
	s_mov_b32 s5, s4
	s_mov_b32 s6, s4
	;; [unrolled: 1-line block ×7, first 2 shown]
	s_delay_alu instid0(SALU_CYCLE_1)
	v_dual_mov_b32 v118, s11 :: v_dual_mov_b32 v117, s10
	v_dual_mov_b32 v116, s9 :: v_dual_mov_b32 v115, s8
	v_mov_b32_e32 v113, s6
	v_dual_mov_b32 v111, s4 :: v_dual_mov_b32 v114, s7
	v_mov_b32_e32 v112, s5
	s_waitcnt vmcnt(1)
	v_mad_i64_i32 v[1:2], null, v5, s17, s[2:3]
	v_lshlrev_b32_e32 v5, 4, v68
	s_waitcnt vmcnt(0)
	v_mad_i64_i32 v[3:4], null, v6, s17, s[2:3]
	s_or_b32 s2, s12, 0xc0
	s_delay_alu instid0(SALU_CYCLE_1) | instskip(NEXT) | instid1(VALU_DEP_3)
	s_ashr_i32 s3, s2, 5
	v_add_co_u32 v1, vcc_lo, v1, v5
	s_delay_alu instid0(VALU_DEP_4) | instskip(NEXT) | instid1(VALU_DEP_3)
	v_add_co_ci_u32_e32 v2, vcc_lo, 0, v2, vcc_lo
	v_add_co_u32 v3, vcc_lo, v3, v5
	s_delay_alu instid0(VALU_DEP_4)
	v_add_co_ci_u32_e32 v4, vcc_lo, 0, v4, vcc_lo
	s_clause 0xf
	global_load_b128 v[17:20], v[1:2], off
	global_load_b128 v[21:24], v[1:2], off offset:512
	global_load_b128 v[25:28], v[3:4], off offset:256
	;; [unrolled: 1-line block ×15, first 2 shown]
	v_mul_lo_u16 v1, 0x56, v68
	s_cmp_lt_i32 s2, s24
	v_lshlrev_b32_e32 v2, 5, v68
	s_cselect_b32 s2, s3, s13
	s_delay_alu instid0(VALU_DEP_2) | instskip(SKIP_1) | instid1(SALU_CYCLE_1)
	v_lshrrev_b16 v1, 8, v1
	s_ashr_i32 s3, s2, 31
	s_lshl_b64 s[2:3], s[2:3], 2
	s_delay_alu instid0(VALU_DEP_1) | instskip(SKIP_3) | instid1(VALU_DEP_1)
	v_mul_lo_u16 v1, v1, 3
	s_add_u32 s2, s16, s2
	s_addc_u32 s3, s25, s3
	s_or_b32 s20, s12, 0xe0
	v_sub_nc_u16 v1, v68, v1
	s_ashr_i32 s21, s20, 5
	s_cmp_lt_i32 s20, s24
	s_cselect_b32 s20, s21, s13
	s_delay_alu instid0(VALU_DEP_1) | instskip(SKIP_1) | instid1(SALU_CYCLE_1)
	v_and_b32_e32 v1, 0xff, v1
	s_ashr_i32 s21, s20, 31
	s_lshl_b64 s[4:5], s[20:21], 2
	s_delay_alu instid0(VALU_DEP_1)
	v_lshlrev_b32_e32 v149, 6, v1
	s_add_u32 s4, s16, s4
	s_addc_u32 s5, s25, s5
	v_lshl_or_b32 v1, v69, 9, v2
	ds_load_b128 v[119:122], v149
	ds_load_b128 v[123:126], v149 offset:1024
	ds_load_b128 v[127:130], v149 offset:2048
	;; [unrolled: 1-line block ×3, first 2 shown]
	s_clause 0x1
	s_load_b32 s2, s[2:3], 0x0
	s_load_b32 s3, s[4:5], 0x0
	s_add_u32 s6, s22, s15
	s_addc_u32 s7, s23, s18
	v_add_co_u32 v135, s6, s6, v1
	s_delay_alu instid0(VALU_DEP_1) | instskip(SKIP_1) | instid1(VALU_DEP_1)
	v_add_co_ci_u32_e64 v136, null, s7, 0, s6
	s_waitcnt lgkmcnt(0)
	v_mad_i64_i32 v[1:2], null, s28, s17, v[135:136]
	v_mad_i64_i32 v[3:4], null, s29, s17, v[135:136]
	;; [unrolled: 1-line block ×6, first 2 shown]
	s_clause 0x9
	global_load_b128 v[49:52], v[1:2], off
	global_load_b128 v[53:56], v[1:2], off offset:16
	global_load_b128 v[41:44], v[3:4], off
	global_load_b128 v[45:48], v[3:4], off offset:16
	;; [unrolled: 2-line block ×5, first 2 shown]
	v_mad_i64_i32 v[145:146], null, s2, s17, v[135:136]
	v_mad_i64_i32 v[147:148], null, s3, s17, v[135:136]
	s_waitcnt vmcnt(24)
	v_wmma_f32_16x16x16_f16 v[135:142], v[17:24], v[119:126], v[111:118]
	s_waitcnt vmcnt(22)
	v_wmma_f32_16x16x16_f16 v[111:118], v[25:32], v[119:126], v[111:118]
	s_clause 0x3
	global_load_b128 v[17:20], v[143:144], off
	global_load_b128 v[21:24], v[143:144], off offset:16
	global_load_b128 v[25:28], v[145:146], off
	global_load_b128 v[29:32], v[145:146], off offset:16
	v_and_b32_e32 v119, 0xe0, v0
	s_waitcnt vmcnt(24)
	v_wmma_f32_16x16x16_f16 v[135:142], v[57:64], v[127:134], v[135:142]
	s_clause 0x1
	global_load_b128 v[57:60], v[147:148], off
	global_load_b128 v[61:64], v[147:148], off offset:16
	s_waitcnt vmcnt(24)
	v_wmma_f32_16x16x16_f16 v[111:118], v[71:78], v[127:134], v[111:118]
	ds_load_b128 v[71:74], v149 offset:4096
	ds_load_b128 v[75:78], v149 offset:5120
	v_add_nc_u32_e32 v128, s12, v119
	ds_load_b128 v[119:122], v149 offset:6144
	ds_load_b128 v[123:126], v149 offset:7168
	v_mbcnt_lo_u32_b32 v127, -1, 0
	s_waitcnt vmcnt(0) lgkmcnt(0)
	s_barrier
	v_or_b32_e32 v128, v128, v66
	buffer_gl0_inv
	v_xor_b32_e32 v129, 16, v127
	v_or_b32_e32 v130, 4, v128
	v_or_b32_e32 v131, 6, v128
	s_delay_alu instid0(VALU_DEP_3) | instskip(SKIP_4) | instid1(VALU_DEP_4)
	v_cmp_gt_i32_e32 vcc_lo, 32, v129
	v_or_b32_e32 v132, 8, v128
	v_or_b32_e32 v133, 10, v128
	v_cmp_gt_i32_e64 s3, s24, v130
	v_cmp_gt_i32_e64 s4, s24, v131
	v_cmp_gt_i32_e64 s5, s24, v132
	v_wmma_f32_16x16x16_f16 v[135:142], v[79:86], v[71:78], v[135:142]
	v_wmma_f32_16x16x16_f16 v[111:118], v[87:94], v[71:78], v[111:118]
	v_or_b32_e32 v79, 12, v128
	v_or_b32_e32 v80, 14, v128
	v_cmp_gt_i32_e64 s6, s24, v133
	v_wmma_f32_16x16x16_f16 v[135:142], v[95:102], v[119:126], v[135:142]
	v_cndmask_b32_e32 v127, v127, v129, vcc_lo
	v_or_b32_e32 v129, 2, v128
	v_wmma_f32_16x16x16_f16 v[111:118], v[103:110], v[119:126], v[111:118]
	v_cmp_gt_i32_e32 vcc_lo, s24, v128
	v_dual_mul_f32 v88, s19, v135 :: v_dual_mul_f32 v87, s19, v136
	s_delay_alu instid0(VALU_DEP_4) | instskip(NEXT) | instid1(VALU_DEP_4)
	v_cmp_gt_i32_e64 s2, s24, v129
	v_mul_f32_e32 v94, s19, v113
	v_mul_f32_e32 v78, s19, v138
	;; [unrolled: 1-line block ×3, first 2 shown]
	v_cndmask_b32_e32 v88, 0xff7fffff, v88, vcc_lo
	v_cndmask_b32_e64 v87, 0xff7fffff, v87, s2
	v_dual_mul_f32 v76, s19, v140 :: v_dual_mul_f32 v77, s19, v139
	v_mul_f32_e32 v90, s19, v117
	v_cndmask_b32_e64 v86, 0xff7fffff, v86, s3
	v_cndmask_b32_e64 v78, 0xff7fffff, v78, s4
	v_max3_f32 v87, v88, 0xff7fffff, v87
	v_or_b32_e32 v81, 16, v128
	v_or_b32_e32 v82, 18, v128
	v_dual_mul_f32 v74, s19, v142 :: v_dual_mul_f32 v75, s19, v141
	v_mul_f32_e32 v92, s19, v115
	v_cndmask_b32_e64 v77, 0xff7fffff, v77, s5
	v_cndmask_b32_e64 v76, 0xff7fffff, v76, s6
	v_max3_f32 v78, v87, v86, v78
	v_cmp_gt_i32_e64 s7, s24, v79
	v_cmp_gt_i32_e64 s8, s24, v80
	v_or_b32_e32 v83, 20, v128
	v_or_b32_e32 v84, 22, v128
	v_dual_mul_f32 v89, s19, v118 :: v_dual_mul_f32 v96, s19, v111
	v_mul_f32_e32 v95, s19, v112
	v_cndmask_b32_e64 v75, 0xff7fffff, v75, s7
	v_cndmask_b32_e64 v74, 0xff7fffff, v74, s8
	v_max3_f32 v76, v78, v77, v76
	v_cmp_gt_i32_e64 s9, s24, v81
	v_cmp_gt_i32_e64 s10, s24, v82
	v_or_b32_e32 v85, 24, v128
	v_or_b32_e32 v71, 26, v128
	v_mul_f32_e32 v93, s19, v114
	v_cndmask_b32_e64 v77, 0xff7fffff, v96, s9
	v_cndmask_b32_e64 v78, 0xff7fffff, v95, s10
	v_max3_f32 v74, v76, v75, v74
	v_cmp_gt_i32_e64 s11, s24, v83
	v_cmp_gt_i32_e64 s12, s24, v84
	v_or_b32_e32 v72, 28, v128
	v_or_b32_e32 v73, 30, v128
	v_mul_f32_e32 v91, s19, v116
	v_cndmask_b32_e64 v75, 0xff7fffff, v94, s11
	v_cndmask_b32_e64 v76, 0xff7fffff, v93, s12
	v_max3_f32 v74, v74, v77, v78
	v_cmp_gt_i32_e64 s13, s24, v85
	v_cmp_gt_i32_e64 s15, s24, v71
	;; [unrolled: 1-line block ×4, first 2 shown]
	v_max3_f32 v74, v74, v75, v76
	v_cndmask_b32_e64 v77, 0xff7fffff, v92, s13
	v_cndmask_b32_e64 v71, 0xff7fffff, v91, s15
	;; [unrolled: 1-line block ×4, first 2 shown]
	s_delay_alu instid0(VALU_DEP_3) | instskip(SKIP_1) | instid1(VALU_DEP_2)
	v_max3_f32 v71, v74, v77, v71
	v_lshlrev_b32_e32 v74, 2, v127
	v_max3_f32 v71, v71, v72, v73
	ds_bpermute_b32 v72, v74, v71
	s_waitcnt lgkmcnt(0)
	v_max_f32_e32 v72, v72, v72
	s_delay_alu instid0(VALU_DEP_1) | instskip(NEXT) | instid1(VALU_DEP_1)
	v_max_f32_e32 v71, v71, v72
	v_fma_f32 v75, s19, v137, -v71
	v_fma_f32 v76, s19, v138, -v71
	;; [unrolled: 1-line block ×5, first 2 shown]
	s_delay_alu instid0(VALU_DEP_4) | instskip(NEXT) | instid1(VALU_DEP_4)
	v_dual_mul_f32 v75, 0x3fb8aa3b, v75 :: v_dual_mul_f32 v76, 0x3fb8aa3b, v76
	v_mul_f32_e32 v72, 0x3fb8aa3b, v72
	v_fma_f32 v77, s19, v139, -v71
	s_delay_alu instid0(VALU_DEP_4) | instskip(NEXT) | instid1(VALU_DEP_4)
	v_mul_f32_e32 v73, 0x3fb8aa3b, v73
	v_exp_f32_e32 v75, v75
	v_exp_f32_e32 v76, v76
	;; [unrolled: 1-line block ×3, first 2 shown]
	s_delay_alu instid0(VALU_DEP_1) | instskip(SKIP_2) | instid1(TRANS32_DEP_3)
	v_exp_f32_e32 v73, v73
	v_cndmask_b32_e64 v81, 0, v75, s3
	v_mul_f32_e32 v82, 0x3fb8aa3b, v80
	v_cndmask_b32_e64 v80, 0, v76, s4
	s_waitcnt_depctr 0xfff
	v_cndmask_b32_e64 v78, 0, v73, s2
	v_cmp_gt_u32_e64 s2, 16, v70
	v_exp_f32_e32 v84, v82
	s_waitcnt_depctr 0xfff
	v_cndmask_b32_e64 v85, 0, v84, s7
	v_cndmask_b32_e32 v79, 0, v72, vcc_lo
	v_fma_f32 v72, s19, v140, -v71
	v_mul_f32_e32 v77, 0x3fb8aa3b, v77
	s_delay_alu instid0(VALU_DEP_2) | instskip(NEXT) | instid1(VALU_DEP_2)
	v_dual_add_f32 v73, 0, v79 :: v_dual_mul_f32 v72, 0x3fb8aa3b, v72
	v_exp_f32_e32 v77, v77
	s_delay_alu instid0(VALU_DEP_1) | instskip(NEXT) | instid1(VALU_DEP_2)
	v_add_f32_e32 v73, v73, v78
	v_exp_f32_e32 v72, v72
	s_delay_alu instid0(VALU_DEP_1) | instskip(SKIP_4) | instid1(VALU_DEP_2)
	v_add_f32_e32 v73, v73, v81
	s_waitcnt_depctr 0xfff
	v_cndmask_b32_e64 v83, 0, v77, s5
	v_add_f32_e32 v73, v73, v80
	v_cndmask_b32_e64 v82, 0, v72, s6
	v_add_f32_e32 v72, v73, v83
	s_delay_alu instid0(VALU_DEP_1)
	v_add_f32_e32 v72, v72, v82
	v_fma_f32 v75, s19, v142, -v71
	v_fma_f32 v76, s19, v111, -v71
	v_fma_f32 v86, s19, v114, -v71
	v_fma_f32 v77, s19, v112, -v71
	v_fma_f32 v73, s19, v113, -v71
	s_delay_alu instid0(VALU_DEP_4) | instskip(NEXT) | instid1(VALU_DEP_4)
	v_dual_mul_f32 v75, 0x3fb8aa3b, v75 :: v_dual_mul_f32 v76, 0x3fb8aa3b, v76
	v_mul_f32_e32 v86, 0x3fb8aa3b, v86
	v_add_f32_e32 v72, v72, v85
	s_delay_alu instid0(VALU_DEP_3) | instskip(NEXT) | instid1(VALU_DEP_3)
	v_exp_f32_e32 v75, v75
	v_exp_f32_e32 v76, v76
	s_delay_alu instid0(VALU_DEP_2) | instskip(NEXT) | instid1(TRANS32_DEP_3)
	v_exp_f32_e32 v88, v86
	v_cndmask_b32_e64 v84, 0, v75, s8
	v_mul_f32_e32 v77, 0x3fb8aa3b, v77
	s_waitcnt_depctr 0xfff
	v_cndmask_b32_e64 v87, 0, v76, s9
	v_fma_f32 v76, s19, v116, -v71
	v_dual_mul_f32 v73, 0x3fb8aa3b, v73 :: v_dual_add_f32 v72, v72, v84
	v_exp_f32_e32 v77, v77
	v_fma_f32 v75, s19, v115, -v71
	s_delay_alu instid0(VALU_DEP_3) | instskip(NEXT) | instid1(VALU_DEP_3)
	v_mul_f32_e32 v76, 0x3fb8aa3b, v76
	v_exp_f32_e32 v73, v73
	v_add_f32_e32 v72, v72, v87
	v_cndmask_b32_e64 v88, 0, v88, s12
	s_delay_alu instid0(VALU_DEP_3) | instskip(NEXT) | instid1(TRANS32_DEP_3)
	v_exp_f32_e32 v76, v76
	v_cndmask_b32_e64 v86, 0, v77, s10
	v_mul_f32_e32 v75, 0x3fb8aa3b, v75
	v_fma_f32 v77, s19, v117, -v71
	s_delay_alu instid0(TRANS32_DEP_2) | instskip(NEXT) | instid1(VALU_DEP_4)
	v_cndmask_b32_e64 v89, 0, v73, s11
	v_add_f32_e32 v72, v72, v86
	s_delay_alu instid0(VALU_DEP_4) | instskip(NEXT) | instid1(TRANS32_DEP_2)
	v_exp_f32_e32 v75, v75
	v_cndmask_b32_e64 v90, 0, v76, s15
	s_delay_alu instid0(VALU_DEP_2) | instskip(SKIP_2) | instid1(VALU_DEP_3)
	v_add_f32_e32 v72, v72, v89
	v_mul_f32_e32 v73, 0x3fb8aa3b, v77
	v_fma_f32 v77, s19, v118, -v71
	v_add_f32_e32 v72, v72, v88
	s_delay_alu instid0(VALU_DEP_3) | instskip(NEXT) | instid1(TRANS32_DEP_2)
	v_exp_f32_e32 v73, v73
	v_cndmask_b32_e64 v91, 0, v75, s13
	s_delay_alu instid0(VALU_DEP_1) | instskip(NEXT) | instid1(VALU_DEP_1)
	v_dual_mul_f32 v75, 0x3fb8aa3b, v77 :: v_dual_add_f32 v72, v72, v91
	v_exp_f32_e32 v75, v75
	s_waitcnt_depctr 0xfff
	v_cndmask_b32_e64 v93, 0, v73, s16
	v_add_f32_e32 v72, v72, v90
	s_delay_alu instid0(VALU_DEP_1) | instskip(SKIP_1) | instid1(VALU_DEP_1)
	v_add_f32_e32 v72, v72, v93
	v_cndmask_b32_e64 v92, 0, v75, s17
	v_add_f32_e32 v72, v72, v92
	ds_bpermute_b32 v73, v74, v72
	s_and_saveexec_b32 s3, s2
	s_cbranch_execz .LBB1296_12
; %bb.11:
	v_mul_u32_u24_e32 v70, 0x44, v69
	s_waitcnt lgkmcnt(0)
	v_add_f32_e32 v72, v72, v73
	s_delay_alu instid0(VALU_DEP_2) | instskip(NEXT) | instid1(VALU_DEP_1)
	v_lshl_add_u32 v70, v68, 2, v70
	v_add_nc_u32_e32 v70, 0x4000, v70
	ds_store_2addr_b32 v70, v71, v72 offset1:136
.LBB1296_12:
	s_or_b32 exec_lo, exec_lo, s3
	v_lshlrev_b32_e32 v70, 2, v68
	s_load_b32 s35, s[0:1], 0x94
	s_waitcnt lgkmcnt(0)
	s_barrier
	buffer_gl0_inv
	v_add_nc_u32_e32 v98, 0x4000, v70
	v_cmp_eq_u32_e32 vcc_lo, 1, v69
	v_cmp_eq_u32_e64 s3, 2, v69
	v_cmp_eq_u32_e64 s4, 3, v69
	;; [unrolled: 1-line block ×3, first 2 shown]
	ds_load_2addr_b32 v[70:71], v98 offset1:17
	ds_load_2addr_b32 v[72:73], v98 offset0:34 offset1:51
	ds_load_2addr_b32 v[74:75], v98 offset0:68 offset1:85
	;; [unrolled: 1-line block ×3, first 2 shown]
	v_cmp_eq_u32_e64 s6, 5, v69
	v_cmp_eq_u32_e64 s7, 7, v69
	s_waitcnt lgkmcnt(3)
	v_max3_f32 v76, v70, 0xff7fffff, v71
	s_waitcnt lgkmcnt(2)
	s_delay_alu instid0(VALU_DEP_1) | instskip(SKIP_1) | instid1(VALU_DEP_1)
	v_max3_f32 v76, v76, v72, v73
	s_waitcnt lgkmcnt(1)
	v_max3_f32 v76, v76, v74, v75
	s_waitcnt lgkmcnt(0)
	s_delay_alu instid0(VALU_DEP_1) | instskip(NEXT) | instid1(VALU_DEP_1)
	v_max3_f32 v76, v76, v94, v95
	v_sub_f32_e32 v77, v71, v76
	ds_load_2addr_b32 v[96:97], v98 offset0:136 offset1:153
	v_sub_f32_e32 v74, v74, v76
	v_sub_f32_e32 v70, v70, v76
	;; [unrolled: 1-line block ×3, first 2 shown]
	v_dual_sub_f32 v72, v72, v76 :: v_dual_mul_f32 v77, 0x3fb8aa3b, v77
	s_delay_alu instid0(VALU_DEP_4) | instskip(NEXT) | instid1(VALU_DEP_4)
	v_mul_f32_e32 v103, 0x3fb8aa3b, v74
	v_mul_f32_e32 v99, 0x3fb8aa3b, v70
	ds_load_2addr_b32 v[70:71], v98 offset0:170 offset1:187
	v_dual_mul_f32 v101, 0x3fb8aa3b, v72 :: v_dual_mul_f32 v94, 0x3fb8aa3b, v94
	v_exp_f32_e32 v102, v77
	v_exp_f32_e32 v99, v99
	s_delay_alu instid0(VALU_DEP_1) | instskip(NEXT) | instid1(VALU_DEP_1)
	v_exp_f32_e32 v101, v101
	v_exp_f32_e32 v94, v94
	s_waitcnt lgkmcnt(1)
	s_delay_alu instid0(TRANS32_DEP_3)
	v_fma_f32 v77, v99, v96, 0
	v_sub_f32_e32 v100, v73, v76
	ds_load_2addr_b32 v[72:73], v98 offset0:204 offset1:221
	v_fmac_f32_e32 v77, v102, v97
	v_exp_f32_e32 v97, v103
	s_waitcnt lgkmcnt(1)
	s_delay_alu instid0(VALU_DEP_1)
	v_dual_fmac_f32 v77, v101, v70 :: v_dual_sub_f32 v96, v75, v76
	ds_load_2addr_b32 v[74:75], v98 offset0:238 offset1:255
	v_sub_f32_e32 v70, v95, v76
	s_waitcnt lgkmcnt(0)
	s_barrier
	v_mul_f32_e32 v96, 0x3fb8aa3b, v96
	buffer_gl0_inv
	v_exp_f32_e32 v95, v96
	v_mul_f32_e32 v100, 0x3fb8aa3b, v100
	s_delay_alu instid0(VALU_DEP_1) | instskip(SKIP_3) | instid1(VALU_DEP_2)
	v_exp_f32_e32 v100, v100
	s_waitcnt_depctr 0xfff
	v_dual_fmac_f32 v77, v100, v71 :: v_dual_mul_f32 v70, 0x3fb8aa3b, v70
	v_cndmask_b32_e32 v71, v99, v102, vcc_lo
	v_fmac_f32_e32 v77, v97, v72
	s_delay_alu instid0(VALU_DEP_3) | instskip(NEXT) | instid1(VALU_DEP_1)
	v_exp_f32_e32 v96, v70
	v_fmac_f32_e32 v77, v95, v73
	s_delay_alu instid0(VALU_DEP_1) | instskip(SKIP_2) | instid1(VALU_DEP_1)
	v_fmac_f32_e32 v77, v94, v74
	s_waitcnt_depctr 0xfff
	v_fmac_f32_e32 v77, v96, v75
	v_add_f32_e32 v74, 0x358637bd, v77
	s_delay_alu instid0(VALU_DEP_1) | instskip(SKIP_1) | instid1(VALU_DEP_2)
	v_div_scale_f32 v98, null, v74, v74, 1.0
	v_div_scale_f32 v99, vcc_lo, 1.0, v74, 1.0
	v_rcp_f32_e32 v103, v98
	s_waitcnt_depctr 0xfff
	v_fma_f32 v70, -v98, v103, 1.0
	s_delay_alu instid0(VALU_DEP_1) | instskip(SKIP_2) | instid1(VALU_DEP_2)
	v_fmac_f32_e32 v103, v70, v103
	v_cndmask_b32_e64 v70, v71, v101, s3
	v_cmp_eq_u32_e64 s3, 6, v69
	v_cndmask_b32_e64 v71, v70, v100, s4
	s_delay_alu instid0(VALU_DEP_4) | instskip(NEXT) | instid1(VALU_DEP_2)
	v_dual_mul_f32 v101, v99, v103 :: v_dual_lshlrev_b32 v70, 2, v66
	v_cndmask_b32_e64 v71, v71, v97, s5
	s_delay_alu instid0(VALU_DEP_2) | instskip(NEXT) | instid1(VALU_DEP_3)
	v_or_b32_e32 v72, 1, v70
	v_fma_f32 v100, -v98, v101, v99
	v_cmp_eq_u32_e64 s4, 1, v70
	v_cmp_eq_u32_e64 s5, 2, v70
	v_cndmask_b32_e64 v95, v71, v95, s6
	v_or_b32_e32 v71, 3, v70
	v_fmac_f32_e32 v101, v100, v103
	v_cmp_eq_u32_e64 s9, 1, v72
	v_cmp_eq_u32_e64 s12, 2, v72
	v_cndmask_b32_e64 v94, v95, v94, s3
	v_cmp_eq_u32_e64 s11, 1, v71
	v_fma_f32 v97, -v98, v101, v99
	v_cmp_eq_u32_e64 s16, 2, v71
	v_cmp_eq_u32_e64 s13, 3, v72
	v_cndmask_b32_e64 v94, v94, v96, s7
	v_cmp_eq_u32_e64 s18, 3, v71
	v_div_fmas_f32 v95, v97, v103, v101
	v_cmp_eq_u32_e32 vcc_lo, 3, v70
	v_cmp_eq_u32_e64 s3, 4, v70
	v_cmp_eq_u32_e64 s19, 4, v72
	;; [unrolled: 1-line block ×3, first 2 shown]
	v_div_fixup_f32 v95, v95, v74, 1.0
	v_lshlrev_b32_e32 v73, 6, v68
	v_cmp_eq_u32_e64 s6, 5, v70
	v_cmp_eq_u32_e64 s20, 5, v72
	v_cmp_eq_u32_e64 s24, 5, v71
	v_mul_f32_e32 v102, v94, v95
	v_lshl_or_b32 v75, v69, 11, v73
	v_or_b32_e32 v69, 2, v70
	v_cmp_eq_u32_e64 s25, 6, v72
	v_cmp_eq_u32_e64 s27, 6, v71
	v_fma_mixlo_f16 v94, v102, v79, 0
	v_fma_mixlo_f16 v95, v102, v81, 0
	;; [unrolled: 1-line block ×8, first 2 shown]
	v_lshl_or_b32 v74, v66, 4, v75
	v_fma_mixhi_f16 v94, v102, v78, 0
	v_fma_mixhi_f16 v95, v102, v80, 0
	;; [unrolled: 1-line block ×8, first 2 shown]
	ds_store_b128 v74, v[94:97]
	ds_store_b128 v74, v[98:101] offset:1024
	s_waitcnt lgkmcnt(0)
	s_barrier
	buffer_gl0_inv
	ds_load_b128 v[78:81], v75
	ds_load_b128 v[82:85], v75 offset:16
	ds_load_b128 v[86:89], v75 offset:1024
	;; [unrolled: 1-line block ×3, first 2 shown]
	v_cmp_eq_u32_e64 s10, 1, v69
	v_cmp_eq_u32_e64 s15, 2, v69
	;; [unrolled: 1-line block ×11, first 2 shown]
	s_waitcnt lgkmcnt(3)
	v_lshrrev_b32_e32 v94, 16, v78
	s_waitcnt lgkmcnt(2)
	v_lshrrev_b32_e32 v98, 16, v82
	;; [unrolled: 2-line block ×4, first 2 shown]
	v_lshrrev_b32_e32 v95, 16, v79
	v_cndmask_b32_e64 v110, v78, v94, s4
	v_cndmask_b32_e64 v111, v82, v98, s4
	;; [unrolled: 1-line block ×8, first 2 shown]
	v_lshrrev_b32_e32 v99, 16, v83
	v_cndmask_b32_e64 v94, v86, v102, s4
	v_cndmask_b32_e64 v98, v90, v106, s4
	;; [unrolled: 1-line block ×15, first 2 shown]
	v_lshrrev_b32_e32 v103, 16, v87
	v_lshrrev_b32_e32 v107, 16, v91
	v_cndmask_b32_e64 v113, v115, v83, s15
	v_cndmask_b32_e64 v82, v94, v87, s5
	;; [unrolled: 1-line block ×7, first 2 shown]
	v_cndmask_b32_e32 v90, v102, v95, vcc_lo
	v_cndmask_b32_e32 v102, v106, v99, vcc_lo
	v_cndmask_b32_e64 v106, v110, v95, s13
	v_cndmask_b32_e64 v110, v111, v99, s13
	;; [unrolled: 1-line block ×4, first 2 shown]
	v_lshrrev_b32_e32 v96, 16, v80
	v_lshrrev_b32_e32 v100, 16, v84
	v_cndmask_b32_e64 v111, v112, v95, s17
	v_cndmask_b32_e64 v112, v113, v99, s17
	v_cndmask_b32_e32 v82, v82, v103, vcc_lo
	v_cndmask_b32_e32 v83, v83, v107, vcc_lo
	v_cndmask_b32_e64 v94, v94, v103, s13
	v_cndmask_b32_e64 v90, v90, v80, s3
	;; [unrolled: 1-line block ×7, first 2 shown]
	v_lshrrev_b32_e32 v104, 16, v88
	v_cndmask_b32_e64 v106, v111, v80, s21
	v_cndmask_b32_e64 v110, v112, v84, s21
	;; [unrolled: 1-line block ×11, first 2 shown]
	v_lshrrev_b32_e32 v97, 16, v81
	v_lshrrev_b32_e32 v101, 16, v85
	v_cndmask_b32_e64 v99, v106, v96, s23
	v_cndmask_b32_e64 v102, v110, v100, s23
	;; [unrolled: 1-line block ×7, first 2 shown]
	v_lshrrev_b32_e32 v105, 16, v89
	v_cndmask_b32_e64 v80, v80, v104, s6
	v_cndmask_b32_e64 v84, v84, v81, s7
	;; [unrolled: 1-line block ×16, first 2 shown]
	v_perm_b32 v81, v79, v78, 0x5040100
	v_perm_b32 v79, v95, v85, 0x5040100
	v_cndmask_b32_e64 v78, v119, v91, s15
	v_cndmask_b32_e64 v85, v117, v91, s12
	;; [unrolled: 1-line block ×3, first 2 shown]
	v_perm_b32 v80, v94, v90, 0x5040100
	v_cndmask_b32_e64 v90, v98, v103, s17
	v_cndmask_b32_e64 v86, v86, v103, s18
	;; [unrolled: 1-line block ×5, first 2 shown]
	v_lshrrev_b32_e32 v108, 16, v92
	v_cndmask_b32_e64 v90, v90, v88, s21
	v_cndmask_b32_e64 v86, v86, v88, s22
	;; [unrolled: 1-line block ×11, first 2 shown]
	v_lshrrev_b32_e32 v109, 16, v93
	v_cndmask_b32_e64 v82, v82, v93, s7
	v_cndmask_b32_e64 v88, v88, v89, s26
	;; [unrolled: 1-line block ×12, first 2 shown]
	v_perm_b32 v78, v84, v83, 0x5040100
	v_perm_b32 v85, v87, v86, 0x5040100
	v_perm_b32 v84, v89, v88, 0x5040100
	v_perm_b32 v83, v90, v97, 0x5040100
	v_perm_b32 v82, v82, v96, 0x5040100
	s_mul_i32 s8, s33, 3
	s_mov_b32 s3, exec_lo
	ds_store_b128 v74, v[78:81]
	ds_store_b128 v74, v[82:85] offset:1024
	v_cmpx_gt_u32_e32 3, v0
	s_cbranch_execz .LBB1296_14
; %bb.13:
	s_mul_i32 s4, s8, s34
	s_delay_alu instid0(SALU_CYCLE_1) | instskip(SKIP_1) | instid1(VALU_DEP_1)
	v_add3_u32 v68, s4, s31, v68
	s_load_b128 s[4:7], s[0:1], 0x58
	v_mad_u64_u32 v[78:79], null, v68, s35, s[14:15]
	s_delay_alu instid0(VALU_DEP_1) | instskip(NEXT) | instid1(VALU_DEP_1)
	v_ashrrev_i32_e32 v79, 31, v78
	v_lshlrev_b64 v[78:79], 2, v[78:79]
	s_waitcnt lgkmcnt(0)
	s_delay_alu instid0(VALU_DEP_1) | instskip(NEXT) | instid1(VALU_DEP_2)
	v_add_co_u32 v80, vcc_lo, s6, v78
	v_add_co_ci_u32_e32 v81, vcc_lo, s7, v79, vcc_lo
	v_add_co_u32 v78, vcc_lo, s4, v78
	v_add_co_ci_u32_e32 v79, vcc_lo, s5, v79, vcc_lo
	global_store_b32 v[80:81], v76, off
	global_store_b32 v[78:79], v77, off
.LBB1296_14:
	s_or_b32 exec_lo, exec_lo, s3
	s_waitcnt lgkmcnt(0)
	s_waitcnt_vscnt null, 0x0
	s_barrier
	buffer_gl0_inv
	ds_load_b128 v[84:87], v73
	ds_load_b128 v[88:91], v73 offset:16
	ds_load_b128 v[96:99], v73 offset:2064
	;; [unrolled: 1-line block ×5, first 2 shown]
	v_cmp_eq_u32_e32 vcc_lo, 1, v70
	v_mov_b32_e32 v76, 0
	ds_load_b128 v[112:115], v73 offset:6160
	ds_load_b128 v[108:111], v73 offset:6144
	;; [unrolled: 1-line block ×4, first 2 shown]
	v_cmp_eq_u32_e64 s4, 1, v69
	v_cmp_eq_u32_e64 s3, 1, v72
	;; [unrolled: 1-line block ×3, first 2 shown]
	v_mov_b32_e32 v77, v76
	v_mov_b32_e32 v78, v76
	;; [unrolled: 1-line block ×7, first 2 shown]
	v_cmp_eq_u32_e64 s6, 3, v72
	v_cmp_eq_u32_e64 s7, 7, v72
	s_waitcnt lgkmcnt(8)
	s_delay_alu instid0(VALU_DEP_3)
	v_wmma_f32_16x16x16_f16 v[76:83], v[49:56], v[84:91], v[76:83]
	ds_load_b128 v[53:56], v73 offset:10256
	ds_load_b128 v[49:52], v73 offset:10240
	s_waitcnt lgkmcnt(8)
	v_wmma_f32_16x16x16_f16 v[76:83], v[41:48], v[92:99], v[76:83]
	ds_load_b128 v[45:48], v73 offset:12304
	ds_load_b128 v[41:44], v73 offset:12288
	s_waitcnt lgkmcnt(8)
	;; [unrolled: 4-line block ×3, first 2 shown]
	s_barrier
	buffer_gl0_inv
	v_wmma_f32_16x16x16_f16 v[76:83], v[1:8], v[108:115], v[76:83]
	s_delay_alu instid0(VALU_DEP_1) | instskip(NEXT) | instid1(VALU_DEP_1)
	v_wmma_f32_16x16x16_f16 v[76:83], v[9:16], v[116:123], v[76:83]
	v_wmma_f32_16x16x16_f16 v[76:83], v[17:24], v[49:56], v[76:83]
	s_delay_alu instid0(VALU_DEP_1) | instskip(NEXT) | instid1(VALU_DEP_1)
	v_wmma_f32_16x16x16_f16 v[76:83], v[25:32], v[41:48], v[76:83]
	v_wmma_f32_16x16x16_f16 v[76:83], v[57:64], v[33:40], v[76:83]
	s_delay_alu instid0(VALU_DEP_1) | instskip(NEXT) | instid1(VALU_DEP_2)
	v_cvt_f16_f32_e32 v1, v76
	v_cvt_f16_f32_e32 v2, v77
	s_delay_alu instid0(VALU_DEP_3) | instskip(NEXT) | instid1(VALU_DEP_4)
	v_cvt_f16_f32_e32 v3, v78
	v_cvt_f16_f32_e32 v4, v79
	;; [unrolled: 1-line block ×6, first 2 shown]
	v_pack_b32_f16 v1, v1, v2
	v_pack_b32_f16 v2, v3, v4
	v_pack_b32_f16 v3, v5, v6
	s_delay_alu instid0(VALU_DEP_4)
	v_pack_b32_f16 v4, v7, v8
	ds_store_b128 v74, v[1:4]
	s_waitcnt lgkmcnt(0)
	s_barrier
	buffer_gl0_inv
	ds_load_b128 v[1:4], v75
	ds_load_b128 v[5:8], v75 offset:16
	s_waitcnt lgkmcnt(1)
	v_lshrrev_b32_e32 v9, 16, v1
	s_waitcnt lgkmcnt(0)
	v_lshrrev_b32_e32 v13, 16, v5
	v_lshrrev_b32_e32 v10, 16, v2
	;; [unrolled: 1-line block ×4, first 2 shown]
	v_cndmask_b32_e32 v17, v1, v9, vcc_lo
	v_cndmask_b32_e32 v18, v5, v13, vcc_lo
	v_cndmask_b32_e64 v21, v1, v9, s4
	v_cmp_eq_u32_e32 vcc_lo, 1, v71
	v_cndmask_b32_e64 v22, v5, v13, s4
	v_cmp_eq_u32_e64 s4, 2, v70
	v_cndmask_b32_e64 v19, v1, v9, s3
	v_cndmask_b32_e64 v20, v5, v13, s3
	v_cndmask_b32_e32 v1, v1, v9, vcc_lo
	v_cmp_eq_u32_e64 s3, 2, v71
	v_cndmask_b32_e32 v5, v5, v13, vcc_lo
	v_cndmask_b32_e64 v9, v17, v2, s4
	v_cmp_eq_u32_e32 vcc_lo, 3, v70
	v_cndmask_b32_e64 v13, v18, v6, s4
	v_cmp_eq_u32_e64 s4, 2, v69
	v_cndmask_b32_e64 v17, v19, v2, s5
	v_cndmask_b32_e64 v18, v20, v6, s5
	v_cmp_eq_u32_e64 s5, 3, v69
	v_cndmask_b32_e64 v1, v1, v2, s3
	v_cndmask_b32_e64 v19, v21, v2, s4
	;; [unrolled: 1-line block ×4, first 2 shown]
	v_cndmask_b32_e32 v5, v9, v10, vcc_lo
	v_cndmask_b32_e32 v6, v13, v14, vcc_lo
	v_cmp_eq_u32_e32 vcc_lo, 3, v71
	v_cndmask_b32_e64 v9, v17, v10, s6
	v_cndmask_b32_e64 v13, v18, v14, s6
	;; [unrolled: 1-line block ×3, first 2 shown]
	v_cmp_eq_u32_e64 s4, 4, v70
	v_cndmask_b32_e32 v1, v1, v10, vcc_lo
	v_cndmask_b32_e32 v2, v2, v14, vcc_lo
	v_cmp_eq_u32_e32 vcc_lo, 4, v72
	v_lshrrev_b32_e32 v15, 16, v7
	v_lshrrev_b32_e32 v16, 16, v8
	v_cndmask_b32_e64 v17, v19, v10, s5
	v_cmp_eq_u32_e64 s3, 4, v71
	v_cndmask_b32_e64 v5, v5, v3, s4
	v_cndmask_b32_e64 v6, v6, v7, s4
	v_cndmask_b32_e32 v9, v9, v3, vcc_lo
	v_cmp_eq_u32_e64 s4, 5, v72
	v_cndmask_b32_e32 v10, v13, v7, vcc_lo
	v_cmp_eq_u32_e32 vcc_lo, 4, v69
	v_cmp_eq_u32_e64 s5, 5, v70
	v_cndmask_b32_e64 v2, v2, v7, s3
	v_cndmask_b32_e64 v9, v9, v11, s4
	;; [unrolled: 1-line block ×3, first 2 shown]
	v_cndmask_b32_e32 v13, v17, v3, vcc_lo
	v_cmp_eq_u32_e64 s4, 5, v69
	v_cndmask_b32_e32 v14, v18, v7, vcc_lo
	v_cndmask_b32_e64 v1, v1, v3, s3
	v_cmp_eq_u32_e32 vcc_lo, 5, v71
	v_lshrrev_b32_e32 v12, 16, v4
	v_cndmask_b32_e64 v13, v13, v11, s4
	v_cndmask_b32_e64 v3, v14, v15, s4
	v_cmp_eq_u32_e64 s4, 6, v71
	v_cndmask_b32_e32 v1, v1, v11, vcc_lo
	v_cndmask_b32_e64 v5, v5, v11, s5
	v_cmp_eq_u32_e64 s6, 6, v70
	v_cndmask_b32_e64 v6, v6, v15, s5
	v_cmp_eq_u32_e64 s5, 6, v72
	v_cmp_eq_u32_e64 s3, 6, v69
	v_cndmask_b32_e64 v1, v1, v4, s4
	v_cndmask_b32_e32 v2, v2, v15, vcc_lo
	v_cmp_eq_u32_e32 vcc_lo, 7, v71
	v_cndmask_b32_e64 v5, v5, v4, s6
	v_cndmask_b32_e64 v9, v9, v4, s5
	;; [unrolled: 1-line block ×3, first 2 shown]
	v_cmp_eq_u32_e64 s6, 7, v70
	v_cndmask_b32_e32 v1, v1, v12, vcc_lo
	v_cndmask_b32_e64 v7, v13, v4, s3
	v_cndmask_b32_e64 v3, v3, v8, s3
	;; [unrolled: 1-line block ×3, first 2 shown]
	v_cmp_eq_u32_e64 s3, 7, v69
	v_cndmask_b32_e64 v4, v10, v8, s5
	v_cndmask_b32_e64 v5, v5, v12, s6
	;; [unrolled: 1-line block ×3, first 2 shown]
	v_cndmask_b32_e32 v2, v2, v16, vcc_lo
	v_cndmask_b32_e64 v7, v7, v12, s3
	v_cndmask_b32_e64 v3, v3, v16, s3
	;; [unrolled: 1-line block ×4, first 2 shown]
	v_perm_b32 v4, v2, v1, 0x5040100
	s_mov_b32 s3, exec_lo
	v_perm_b32 v3, v3, v7, 0x5040100
	v_perm_b32 v2, v8, v9, 0x5040100
	;; [unrolled: 1-line block ×3, first 2 shown]
	ds_store_b128 v74, v[1:4]
	s_waitcnt lgkmcnt(0)
	s_barrier
	buffer_gl0_inv
	v_cmpx_gt_u32_e32 32, v0
	s_cbranch_execz .LBB1296_2
; %bb.15:
	s_load_b64 s[4:5], s[0:1], 0x68
	v_lshlrev_b32_e32 v0, 10, v0
	v_lshlrev_b32_e32 v2, 4, v67
	v_add_nc_u32_e32 v1, s31, v66
	s_lshl_b32 s0, s35, 7
	s_delay_alu instid0(SALU_CYCLE_1) | instskip(NEXT) | instid1(VALU_DEP_2)
	s_mul_i32 s1, s0, s34
	v_and_or_b32 v0, 0x3800, v0, v2
	s_mul_i32 s6, s1, s8
	v_mul_lo_u32 v1, v1, s0
	s_ashr_i32 s7, s6, 31
	s_delay_alu instid0(VALU_DEP_2) | instskip(SKIP_1) | instid1(VALU_DEP_2)
	v_lshl_or_b32 v3, v66, 6, v0
	s_lshl_b64 s[6:7], s[6:7], 1
	v_ashrrev_i32_e32 v2, 31, v1
	ds_load_b128 v[3:6], v3
	s_waitcnt lgkmcnt(0)
	s_add_u32 s1, s4, s6
	s_addc_u32 s3, s5, s7
	s_lshl_b32 s4, s14, 7
	v_lshlrev_b64 v[7:8], 1, v[1:2]
	s_ashr_i32 s5, s4, 31
	s_delay_alu instid0(SALU_CYCLE_1) | instskip(NEXT) | instid1(SALU_CYCLE_1)
	s_lshl_b64 s[4:5], s[4:5], 1
	s_add_u32 s1, s1, s4
	s_addc_u32 s3, s3, s5
	v_add_co_u32 v1, s1, s1, v65
	s_delay_alu instid0(VALU_DEP_1) | instskip(NEXT) | instid1(VALU_DEP_2)
	v_add_co_ci_u32_e64 v2, null, s3, 0, s1
	v_add_co_u32 v7, vcc_lo, v1, v7
	s_delay_alu instid0(VALU_DEP_2)
	v_add_co_ci_u32_e32 v8, vcc_lo, v2, v8, vcc_lo
	global_store_b128 v[7:8], v[3:6], off
	s_and_b32 exec_lo, exec_lo, s2
	s_cbranch_execz .LBB1296_2
; %bb.16:
	ds_load_b128 v[3:6], v0 offset:128
	s_add_i32 s1, s31, 2
	s_delay_alu instid0(SALU_CYCLE_1) | instskip(NEXT) | instid1(SALU_CYCLE_1)
	s_mul_i32 s0, s1, s0
	s_ashr_i32 s1, s0, 31
	s_delay_alu instid0(SALU_CYCLE_1) | instskip(NEXT) | instid1(SALU_CYCLE_1)
	s_lshl_b64 s[0:1], s[0:1], 1
	v_add_co_u32 v0, vcc_lo, v1, s0
	v_add_co_ci_u32_e32 v1, vcc_lo, s1, v2, vcc_lo
	s_waitcnt lgkmcnt(0)
	global_store_b128 v[0:1], v[3:6], off
	s_nop 0
	s_sendmsg sendmsg(MSG_DEALLOC_VGPRS)
	s_endpgm
	.section	.rodata,"a",@progbits
	.p2align	6, 0x0
	.amdhsa_kernel _Z39paged_attention_ll4mi_QKV_mfma16_kernelIDF16_hLN4vllm18Fp8KVCacheDataTypeE1EhLi32ELi128ELi256ELb1ELi3EL8MFMAType0EEvPKT_PKT0_S8_ifPKiSA_SA_iPKfiiiPfSD_PS3_PT2_iSC_SC_
		.amdhsa_group_segment_fixed_size 17472
		.amdhsa_private_segment_fixed_size 0
		.amdhsa_kernarg_size 400
		.amdhsa_user_sgpr_count 13
		.amdhsa_user_sgpr_dispatch_ptr 0
		.amdhsa_user_sgpr_queue_ptr 0
		.amdhsa_user_sgpr_kernarg_segment_ptr 1
		.amdhsa_user_sgpr_dispatch_id 0
		.amdhsa_user_sgpr_private_segment_size 0
		.amdhsa_wavefront_size32 1
		.amdhsa_uses_dynamic_stack 0
		.amdhsa_enable_private_segment 0
		.amdhsa_system_sgpr_workgroup_id_x 1
		.amdhsa_system_sgpr_workgroup_id_y 1
		.amdhsa_system_sgpr_workgroup_id_z 1
		.amdhsa_system_sgpr_workgroup_info 0
		.amdhsa_system_vgpr_workitem_id 0
		.amdhsa_next_free_vgpr 150
		.amdhsa_next_free_sgpr 37
		.amdhsa_reserve_vcc 1
		.amdhsa_float_round_mode_32 0
		.amdhsa_float_round_mode_16_64 0
		.amdhsa_float_denorm_mode_32 3
		.amdhsa_float_denorm_mode_16_64 3
		.amdhsa_dx10_clamp 1
		.amdhsa_ieee_mode 1
		.amdhsa_fp16_overflow 0
		.amdhsa_workgroup_processor_mode 1
		.amdhsa_memory_ordered 1
		.amdhsa_forward_progress 0
		.amdhsa_shared_vgpr_count 0
		.amdhsa_exception_fp_ieee_invalid_op 0
		.amdhsa_exception_fp_denorm_src 0
		.amdhsa_exception_fp_ieee_div_zero 0
		.amdhsa_exception_fp_ieee_overflow 0
		.amdhsa_exception_fp_ieee_underflow 0
		.amdhsa_exception_fp_ieee_inexact 0
		.amdhsa_exception_int_div_zero 0
	.end_amdhsa_kernel
	.section	.text._Z39paged_attention_ll4mi_QKV_mfma16_kernelIDF16_hLN4vllm18Fp8KVCacheDataTypeE1EhLi32ELi128ELi256ELb1ELi3EL8MFMAType0EEvPKT_PKT0_S8_ifPKiSA_SA_iPKfiiiPfSD_PS3_PT2_iSC_SC_,"axG",@progbits,_Z39paged_attention_ll4mi_QKV_mfma16_kernelIDF16_hLN4vllm18Fp8KVCacheDataTypeE1EhLi32ELi128ELi256ELb1ELi3EL8MFMAType0EEvPKT_PKT0_S8_ifPKiSA_SA_iPKfiiiPfSD_PS3_PT2_iSC_SC_,comdat
.Lfunc_end1296:
	.size	_Z39paged_attention_ll4mi_QKV_mfma16_kernelIDF16_hLN4vllm18Fp8KVCacheDataTypeE1EhLi32ELi128ELi256ELb1ELi3EL8MFMAType0EEvPKT_PKT0_S8_ifPKiSA_SA_iPKfiiiPfSD_PS3_PT2_iSC_SC_, .Lfunc_end1296-_Z39paged_attention_ll4mi_QKV_mfma16_kernelIDF16_hLN4vllm18Fp8KVCacheDataTypeE1EhLi32ELi128ELi256ELb1ELi3EL8MFMAType0EEvPKT_PKT0_S8_ifPKiSA_SA_iPKfiiiPfSD_PS3_PT2_iSC_SC_
                                        ; -- End function
	.section	.AMDGPU.csdata,"",@progbits
; Kernel info:
; codeLenInByte = 6604
; NumSgprs: 39
; NumVgprs: 150
; ScratchSize: 0
; MemoryBound: 0
; FloatMode: 240
; IeeeMode: 1
; LDSByteSize: 17472 bytes/workgroup (compile time only)
; SGPRBlocks: 4
; VGPRBlocks: 18
; NumSGPRsForWavesPerEU: 39
; NumVGPRsForWavesPerEU: 150
; Occupancy: 9
; WaveLimiterHint : 1
; COMPUTE_PGM_RSRC2:SCRATCH_EN: 0
; COMPUTE_PGM_RSRC2:USER_SGPR: 13
; COMPUTE_PGM_RSRC2:TRAP_HANDLER: 0
; COMPUTE_PGM_RSRC2:TGID_X_EN: 1
; COMPUTE_PGM_RSRC2:TGID_Y_EN: 1
; COMPUTE_PGM_RSRC2:TGID_Z_EN: 1
; COMPUTE_PGM_RSRC2:TIDIG_COMP_CNT: 0
	.section	.text._Z39paged_attention_ll4mi_QKV_mfma16_kernelIDF16_hLN4vllm18Fp8KVCacheDataTypeE1EhLi32ELi128ELi256ELb1ELi4EL8MFMAType0EEvPKT_PKT0_S8_ifPKiSA_SA_iPKfiiiPfSD_PS3_PT2_iSC_SC_,"axG",@progbits,_Z39paged_attention_ll4mi_QKV_mfma16_kernelIDF16_hLN4vllm18Fp8KVCacheDataTypeE1EhLi32ELi128ELi256ELb1ELi4EL8MFMAType0EEvPKT_PKT0_S8_ifPKiSA_SA_iPKfiiiPfSD_PS3_PT2_iSC_SC_,comdat
	.protected	_Z39paged_attention_ll4mi_QKV_mfma16_kernelIDF16_hLN4vllm18Fp8KVCacheDataTypeE1EhLi32ELi128ELi256ELb1ELi4EL8MFMAType0EEvPKT_PKT0_S8_ifPKiSA_SA_iPKfiiiPfSD_PS3_PT2_iSC_SC_ ; -- Begin function _Z39paged_attention_ll4mi_QKV_mfma16_kernelIDF16_hLN4vllm18Fp8KVCacheDataTypeE1EhLi32ELi128ELi256ELb1ELi4EL8MFMAType0EEvPKT_PKT0_S8_ifPKiSA_SA_iPKfiiiPfSD_PS3_PT2_iSC_SC_
	.globl	_Z39paged_attention_ll4mi_QKV_mfma16_kernelIDF16_hLN4vllm18Fp8KVCacheDataTypeE1EhLi32ELi128ELi256ELb1ELi4EL8MFMAType0EEvPKT_PKT0_S8_ifPKiSA_SA_iPKfiiiPfSD_PS3_PT2_iSC_SC_
	.p2align	8
	.type	_Z39paged_attention_ll4mi_QKV_mfma16_kernelIDF16_hLN4vllm18Fp8KVCacheDataTypeE1EhLi32ELi128ELi256ELb1ELi4EL8MFMAType0EEvPKT_PKT0_S8_ifPKiSA_SA_iPKfiiiPfSD_PS3_PT2_iSC_SC_,@function
_Z39paged_attention_ll4mi_QKV_mfma16_kernelIDF16_hLN4vllm18Fp8KVCacheDataTypeE1EhLi32ELi128ELi256ELb1ELi4EL8MFMAType0EEvPKT_PKT0_S8_ifPKiSA_SA_iPKfiiiPfSD_PS3_PT2_iSC_SC_: ; @_Z39paged_attention_ll4mi_QKV_mfma16_kernelIDF16_hLN4vllm18Fp8KVCacheDataTypeE1EhLi32ELi128ELi256ELb1ELi4EL8MFMAType0EEvPKT_PKT0_S8_ifPKiSA_SA_iPKfiiiPfSD_PS3_PT2_iSC_SC_
; %bb.0:
	s_load_b64 s[4:5], s[0:1], 0x30
	s_mov_b32 s30, s13
	s_waitcnt lgkmcnt(0)
	s_cmp_lg_u64 s[4:5], 0
	s_cselect_b32 s13, -1, 0
	s_ashr_i32 s31, s30, 31
	s_cmp_eq_u64 s[4:5], 0
	s_cbranch_scc1 .LBB1297_3
; %bb.1:
	s_lshl_b64 s[2:3], s[30:31], 2
	s_delay_alu instid0(SALU_CYCLE_1) | instskip(SKIP_4) | instid1(SALU_CYCLE_1)
	s_add_u32 s2, s4, s2
	s_addc_u32 s3, s5, s3
	s_load_b64 s[2:3], s[2:3], 0x0
	s_waitcnt lgkmcnt(0)
	s_sub_i32 s2, s3, s2
	s_cmp_eq_u32 s2, 1
	s_cselect_b32 s2, -1, 0
	s_delay_alu instid0(SALU_CYCLE_1)
	s_and_not1_b32 vcc_lo, exec_lo, s2
	s_cbranch_vccz .LBB1297_4
.LBB1297_2:
	s_endpgm
.LBB1297_3:
.LBB1297_4:
	s_load_b64 s[2:3], s[0:1], 0x28
	s_lshl_b64 s[6:7], s[30:31], 2
	s_waitcnt lgkmcnt(0)
	s_add_u32 s2, s2, s6
	s_addc_u32 s3, s3, s7
	s_lshl_b32 s12, s14, 8
	s_load_b32 s17, s[2:3], 0x0
	s_waitcnt lgkmcnt(0)
	s_cmp_ge_i32 s12, s17
	s_cbranch_scc1 .LBB1297_2
; %bb.5:
	s_clause 0x1
	s_load_b128 s[8:11], s[0:1], 0x8
	s_load_b64 s[2:3], s[0:1], 0x20
	s_and_not1_b32 vcc_lo, exec_lo, s13
	s_cbranch_vccnz .LBB1297_7
; %bb.6:
	s_add_u32 s4, s4, s6
	s_addc_u32 s5, s5, s7
	s_load_b32 s13, s[4:5], 0x0
	s_branch .LBB1297_8
.LBB1297_7:
	s_mov_b32 s13, s30
.LBB1297_8:
	s_load_b128 s[4:7], s[0:1], 0x48
	v_and_b32_e32 v69, 15, v0
	v_lshrrev_b32_e32 v68, 5, v0
	v_and_b32_e32 v70, 31, v0
	v_and_b32_e32 v67, 1, v0
	v_bfe_u32 v66, v0, 4, 1
	v_lshlrev_b32_e32 v1, 3, v69
	s_lshl_b32 s31, s15, 2
	s_waitcnt lgkmcnt(0)
	s_mov_b32 s7, exec_lo
	s_delay_alu instid0(VALU_DEP_1)
	v_lshlrev_b32_e32 v65, 1, v1
	v_cmpx_gt_u32_e32 64, v0
	s_cbranch_execz .LBB1297_10
; %bb.9:
	v_lshl_or_b32 v5, v68, 1, v66
	s_load_b64 s[18:19], s[0:1], 0x0
	s_mul_hi_i32 s21, s13, s4
	s_mul_i32 s20, s13, s4
	v_lshlrev_b32_e32 v6, 10, v69
	v_or_b32_e32 v1, s31, v5
	s_lshl_b64 s[20:21], s[20:21], 1
	v_lshlrev_b32_e32 v5, 6, v5
	v_lshlrev_b32_e32 v7, 10, v67
	v_and_b32_e32 v6, 0x3800, v6
	v_lshlrev_b32_e32 v1, 7, v1
	s_delay_alu instid0(VALU_DEP_2) | instskip(NEXT) | instid1(VALU_DEP_2)
	v_or3_b32 v5, v6, v7, v5
	v_ashrrev_i32_e32 v2, 31, v1
	s_delay_alu instid0(VALU_DEP_1) | instskip(SKIP_3) | instid1(VALU_DEP_1)
	v_lshlrev_b64 v[1:2], 1, v[1:2]
	s_waitcnt lgkmcnt(0)
	s_add_u32 s4, s18, s20
	s_addc_u32 s13, s19, s21
	v_add_co_u32 v1, vcc_lo, s4, v1
	s_delay_alu instid0(VALU_DEP_2) | instskip(NEXT) | instid1(VALU_DEP_2)
	v_add_co_ci_u32_e32 v2, vcc_lo, s13, v2, vcc_lo
	v_add_co_u32 v1, vcc_lo, v1, v65
	s_delay_alu instid0(VALU_DEP_2)
	v_add_co_ci_u32_e32 v2, vcc_lo, 0, v2, vcc_lo
	global_load_b128 v[1:4], v[1:2], off
	s_waitcnt vmcnt(0)
	ds_store_b128 v5, v[1:4]
.LBB1297_10:
	s_or_b32 exec_lo, exec_lo, s7
	v_and_b32_e32 v1, 0xef, v0
	s_add_i32 s4, s17, 31
	s_clause 0x1
	s_load_b32 s7, s[0:1], 0x38
	s_load_b32 s33, s[0:1], 0x98
	s_ashr_i32 s13, s4, 31
	v_add_nc_u32_e32 v1, s12, v1
	s_lshr_b32 s13, s13, 27
	s_load_b32 s18, s[0:1], 0x1c
	s_add_i32 s4, s4, s13
	s_waitcnt lgkmcnt(0)
	v_ashrrev_i32_e32 v2, 31, v1
	v_or_b32_e32 v3, 16, v1
	s_ashr_i32 s4, s4, 5
	v_cmp_gt_i32_e32 vcc_lo, s17, v1
	s_add_i32 s4, s4, -1
	v_lshrrev_b32_e32 v2, 27, v2
	s_barrier
	buffer_gl0_inv
	s_mul_i32 s15, s15, s6
	v_add_nc_u32_e32 v4, v1, v2
	s_mul_i32 s20, s30, s7
	s_delay_alu instid0(SALU_CYCLE_1) | instskip(NEXT) | instid1(VALU_DEP_1)
	s_ashr_i32 s21, s20, 31
	v_ashrrev_i32_e32 v4, 5, v4
	v_add_nc_u32_e32 v2, v3, v2
	s_lshl_b64 s[20:21], s[20:21], 2
	s_delay_alu instid0(SALU_CYCLE_1) | instskip(NEXT) | instid1(VALU_DEP_2)
	s_add_u32 s13, s2, s20
	v_cndmask_b32_e32 v1, s4, v4, vcc_lo
	s_delay_alu instid0(VALU_DEP_2)
	v_ashrrev_i32_e32 v2, 5, v2
	v_cmp_gt_i32_e32 vcc_lo, s17, v3
	s_addc_u32 s16, s3, s21
	s_ashr_i32 s19, s15, 31
	s_add_u32 s2, s8, s15
	s_addc_u32 s3, s9, s19
	v_cndmask_b32_e32 v3, s4, v2, vcc_lo
	v_ashrrev_i32_e32 v2, 31, v1
	s_lshl_b32 s6, s14, 3
	s_delay_alu instid0(SALU_CYCLE_1) | instskip(NEXT) | instid1(VALU_DEP_2)
	s_ashr_i32 s7, s6, 31
	v_ashrrev_i32_e32 v4, 31, v3
	s_delay_alu instid0(VALU_DEP_2) | instskip(SKIP_1) | instid1(SALU_CYCLE_1)
	v_lshlrev_b64 v[1:2], 2, v[1:2]
	s_lshl_b64 s[6:7], s[6:7], 2
	s_add_u32 s6, s13, s6
	s_delay_alu instid0(VALU_DEP_2) | instskip(SKIP_1) | instid1(VALU_DEP_2)
	v_lshlrev_b64 v[3:4], 2, v[3:4]
	s_addc_u32 s7, s16, s7
	v_add_co_u32 v1, vcc_lo, s13, v1
	v_add_co_ci_u32_e32 v2, vcc_lo, s16, v2, vcc_lo
	s_delay_alu instid0(VALU_DEP_3) | instskip(NEXT) | instid1(VALU_DEP_4)
	v_add_co_u32 v3, vcc_lo, s13, v3
	v_add_co_ci_u32_e32 v4, vcc_lo, s16, v4, vcc_lo
	s_clause 0x1
	global_load_b32 v5, v[1:2], off
	global_load_b32 v6, v[3:4], off
	s_or_b32 s8, s12, 32
	s_delay_alu instid0(SALU_CYCLE_1) | instskip(SKIP_2) | instid1(SALU_CYCLE_1)
	s_ashr_i32 s9, s8, 5
	s_cmp_lt_i32 s8, s17
	s_cselect_b32 s8, s9, s4
	s_ashr_i32 s9, s8, 31
	s_delay_alu instid0(SALU_CYCLE_1) | instskip(NEXT) | instid1(SALU_CYCLE_1)
	s_lshl_b64 s[8:9], s[8:9], 2
	s_add_u32 s8, s13, s8
	s_addc_u32 s9, s16, s9
	s_or_b32 s20, s12, 64
	s_delay_alu instid0(SALU_CYCLE_1) | instskip(SKIP_2) | instid1(SALU_CYCLE_1)
	s_ashr_i32 s21, s20, 5
	s_cmp_lt_i32 s20, s17
	s_cselect_b32 s20, s21, s4
	s_ashr_i32 s21, s20, 31
	s_delay_alu instid0(SALU_CYCLE_1) | instskip(NEXT) | instid1(SALU_CYCLE_1)
	s_lshl_b64 s[20:21], s[20:21], 2
	s_add_u32 s20, s13, s20
	s_addc_u32 s21, s16, s21
	;; [unrolled: 10-line block ×5, first 2 shown]
	s_clause 0x5
	s_load_b32 s28, s[6:7], 0x0
	s_load_b32 s8, s[8:9], 0x0
	;; [unrolled: 1-line block ×6, first 2 shown]
	s_mov_b32 s20, 0
	s_delay_alu instid0(SALU_CYCLE_1)
	s_mov_b32 s21, s20
	s_mov_b32 s22, s20
	;; [unrolled: 1-line block ×7, first 2 shown]
	s_delay_alu instid0(SALU_CYCLE_1)
	v_dual_mov_b32 v102, s27 :: v_dual_mov_b32 v101, s26
	v_dual_mov_b32 v100, s25 :: v_dual_mov_b32 v99, s24
	v_mov_b32_e32 v97, s22
	v_dual_mov_b32 v95, s20 :: v_dual_mov_b32 v98, s23
	v_mov_b32_e32 v96, s21
	s_waitcnt vmcnt(1)
	v_mad_i64_i32 v[1:2], null, v5, s5, s[2:3]
	v_lshlrev_b32_e32 v5, 4, v69
	s_waitcnt vmcnt(0)
	v_mad_i64_i32 v[3:4], null, v6, s5, s[2:3]
	s_or_b32 s2, s12, 0xc0
	s_delay_alu instid0(SALU_CYCLE_1) | instskip(NEXT) | instid1(VALU_DEP_3)
	s_ashr_i32 s3, s2, 5
	v_add_co_u32 v33, vcc_lo, v1, v5
	s_delay_alu instid0(VALU_DEP_4) | instskip(NEXT) | instid1(VALU_DEP_3)
	v_add_co_ci_u32_e32 v34, vcc_lo, 0, v2, vcc_lo
	v_add_co_u32 v35, vcc_lo, v3, v5
	s_delay_alu instid0(VALU_DEP_4)
	v_add_co_ci_u32_e32 v36, vcc_lo, 0, v4, vcc_lo
	s_clause 0xf
	global_load_b128 v[1:4], v[33:34], off
	global_load_b128 v[5:8], v[33:34], off offset:512
	global_load_b128 v[9:12], v[35:36], off offset:256
	global_load_b128 v[13:16], v[35:36], off offset:768
	global_load_b128 v[17:20], v[33:34], off offset:1024
	global_load_b128 v[21:24], v[33:34], off offset:1536
	global_load_b128 v[25:28], v[35:36], off offset:1280
	global_load_b128 v[29:32], v[35:36], off offset:1792
	global_load_b128 v[57:60], v[33:34], off offset:2048
	global_load_b128 v[61:64], v[33:34], off offset:2560
	global_load_b128 v[71:74], v[35:36], off offset:2304
	global_load_b128 v[75:78], v[35:36], off offset:2816
	global_load_b128 v[79:82], v[33:34], off offset:3072
	global_load_b128 v[83:86], v[33:34], off offset:3584
	global_load_b128 v[87:90], v[35:36], off offset:3328
	global_load_b128 v[91:94], v[35:36], off offset:3840
	s_cmp_lt_i32 s2, s17
	v_and_b32_e32 v33, 3, v0
	s_cselect_b32 s2, s3, s4
	v_lshlrev_b32_e32 v34, 5, v69
	s_ashr_i32 s3, s2, 31
	s_delay_alu instid0(SALU_CYCLE_1)
	s_lshl_b64 s[2:3], s[2:3], 2
	v_lshlrev_b32_e32 v139, 6, v33
	s_add_u32 s2, s13, s2
	s_addc_u32 s3, s16, s3
	s_or_b32 s6, s12, 0xe0
	v_lshl_or_b32 v41, v68, 9, v34
	s_ashr_i32 s7, s6, 5
	s_cmp_lt_i32 s6, s17
	ds_load_b128 v[33:36], v139
	ds_load_b128 v[37:40], v139 offset:1024
	s_cselect_b32 s6, s7, s4
	ds_load_b128 v[103:106], v139 offset:2048
	ds_load_b128 v[107:110], v139 offset:3072
	s_ashr_i32 s7, s6, 31
	s_load_b32 s4, s[2:3], 0x0
	s_lshl_b64 s[6:7], s[6:7], 2
	ds_load_b128 v[111:114], v139 offset:4096
	ds_load_b128 v[115:118], v139 offset:5120
	s_add_u32 s2, s13, s6
	s_addc_u32 s3, s16, s7
	s_add_u32 s6, s10, s15
	s_load_b32 s2, s[2:3], 0x0
	s_addc_u32 s7, s11, s19
	v_add_co_u32 v127, s6, s6, v41
	s_delay_alu instid0(VALU_DEP_1) | instskip(SKIP_1) | instid1(VALU_DEP_1)
	v_add_co_ci_u32_e64 v128, null, s7, 0, s6
	s_waitcnt lgkmcnt(0)
	v_mad_i64_i32 v[41:42], null, s28, s5, v[127:128]
	v_mad_i64_i32 v[129:130], null, s9, s5, v[127:128]
	v_mad_i64_i32 v[131:132], null, s29, s5, v[127:128]
	v_mad_i64_i32 v[133:134], null, s34, s5, v[127:128]
	v_mad_i64_i32 v[45:46], null, s8, s5, v[127:128]
	v_mad_i64_i32 v[135:136], null, s35, s5, v[127:128]
	v_mad_i64_i32 v[137:138], null, s4, s5, v[127:128]
	s_clause 0x3
	global_load_b128 v[49:52], v[41:42], off
	global_load_b128 v[53:56], v[41:42], off offset:16
	global_load_b128 v[41:44], v[45:46], off
	global_load_b128 v[45:48], v[45:46], off offset:16
	s_waitcnt vmcnt(18)
	v_wmma_f32_16x16x16_f16 v[119:126], v[1:8], v[33:40], v[95:102]
	s_waitcnt vmcnt(16)
	v_wmma_f32_16x16x16_f16 v[95:102], v[9:16], v[33:40], v[95:102]
	s_clause 0x3
	global_load_b128 v[33:36], v[129:130], off
	global_load_b128 v[37:40], v[129:130], off offset:16
	global_load_b128 v[1:4], v[131:132], off
	global_load_b128 v[5:8], v[131:132], off offset:16
	s_waitcnt vmcnt(18)
	v_wmma_f32_16x16x16_f16 v[119:126], v[17:24], v[103:110], v[119:126]
	s_clause 0x3
	global_load_b128 v[9:12], v[133:134], off
	global_load_b128 v[13:16], v[133:134], off offset:16
	global_load_b128 v[17:20], v[135:136], off
	global_load_b128 v[21:24], v[135:136], off offset:16
	s_waitcnt vmcnt(20)
	v_wmma_f32_16x16x16_f16 v[95:102], v[25:32], v[103:110], v[95:102]
	v_mad_i64_i32 v[103:104], null, s2, s5, v[127:128]
	s_waitcnt vmcnt(18)
	v_wmma_f32_16x16x16_f16 v[119:126], v[57:64], v[111:118], v[119:126]
	s_clause 0x3
	global_load_b128 v[25:28], v[137:138], off
	global_load_b128 v[29:32], v[137:138], off offset:16
	global_load_b128 v[57:60], v[103:104], off
	global_load_b128 v[61:64], v[103:104], off offset:16
	s_waitcnt vmcnt(20)
	v_wmma_f32_16x16x16_f16 v[95:102], v[71:78], v[111:118], v[95:102]
	ds_load_b128 v[71:74], v139 offset:6144
	ds_load_b128 v[75:78], v139 offset:7168
	v_mbcnt_lo_u32_b32 v104, -1, 0
	s_waitcnt vmcnt(0) lgkmcnt(0)
	s_barrier
	buffer_gl0_inv
	v_xor_b32_e32 v105, 16, v104
	s_delay_alu instid0(VALU_DEP_1) | instskip(SKIP_4) | instid1(VALU_DEP_2)
	v_cmp_gt_i32_e32 vcc_lo, 32, v105
	v_cndmask_b32_e32 v104, v104, v105, vcc_lo
	v_wmma_f32_16x16x16_f16 v[119:126], v[79:86], v[71:78], v[119:126]
	v_and_b32_e32 v103, 0xe0, v0
	v_wmma_f32_16x16x16_f16 v[95:102], v[87:94], v[71:78], v[95:102]
	v_dual_mul_f32 v78, s18, v121 :: v_dual_add_nc_u32 v103, s12, v103
	s_delay_alu instid0(VALU_DEP_2) | instskip(SKIP_1) | instid1(VALU_DEP_3)
	v_dual_mul_f32 v90, s18, v101 :: v_dual_mul_f32 v87, s18, v120
	v_dual_mul_f32 v88, s18, v119 :: v_dual_mul_f32 v77, s18, v122
	v_or_b32_e32 v103, v103, v66
	v_dual_mul_f32 v75, s18, v124 :: v_dual_mul_f32 v94, s18, v97
	v_dual_mul_f32 v76, s18, v123 :: v_dual_mul_f32 v73, s18, v126
	v_mul_f32_e32 v92, s18, v99
	s_delay_alu instid0(VALU_DEP_4)
	v_or_b32_e32 v105, 2, v103
	v_or_b32_e32 v106, 4, v103
	;; [unrolled: 1-line block ×3, first 2 shown]
	v_cmp_gt_i32_e64 s2, s17, v103
	v_or_b32_e32 v108, 8, v103
	v_cmp_gt_i32_e32 vcc_lo, s17, v105
	v_or_b32_e32 v109, 10, v103
	v_cmp_gt_i32_e64 s3, s17, v106
	v_cndmask_b32_e64 v88, 0xff7fffff, v88, s2
	v_cmp_gt_i32_e64 s4, s17, v107
	v_cndmask_b32_e32 v87, 0xff7fffff, v87, vcc_lo
	v_or_b32_e32 v79, 12, v103
	v_or_b32_e32 v80, 14, v103
	v_cndmask_b32_e64 v78, 0xff7fffff, v78, s3
	v_cndmask_b32_e64 v77, 0xff7fffff, v77, s4
	v_max3_f32 v87, v88, 0xff7fffff, v87
	v_cmp_gt_i32_e64 s5, s17, v108
	v_cmp_gt_i32_e64 s6, s17, v109
	v_or_b32_e32 v81, 16, v103
	v_or_b32_e32 v82, 18, v103
	v_mul_f32_e32 v74, s18, v125
	v_cndmask_b32_e64 v76, 0xff7fffff, v76, s5
	v_cndmask_b32_e64 v75, 0xff7fffff, v75, s6
	v_max3_f32 v77, v87, v78, v77
	v_cmp_gt_i32_e64 s7, s17, v79
	v_cmp_gt_i32_e64 s8, s17, v80
	v_or_b32_e32 v83, 20, v103
	v_or_b32_e32 v84, 22, v103
	;; [unrolled: 1-line block ×6, first 2 shown]
	v_mul_f32_e32 v105, s18, v96
	v_mul_f32_e32 v103, s18, v95
	v_cndmask_b32_e64 v74, 0xff7fffff, v74, s7
	v_cndmask_b32_e64 v73, 0xff7fffff, v73, s8
	v_max3_f32 v75, v77, v76, v75
	v_cmp_gt_i32_e64 s9, s17, v81
	v_cmp_gt_i32_e64 s10, s17, v82
	v_mul_f32_e32 v93, s18, v98
	v_cmp_gt_i32_e64 s11, s17, v83
	v_max3_f32 v73, v75, v74, v73
	v_cndmask_b32_e64 v76, 0xff7fffff, v103, s9
	v_cndmask_b32_e64 v77, 0xff7fffff, v105, s10
	v_cmp_gt_i32_e64 s12, s17, v84
	v_mul_f32_e32 v91, s18, v100
	v_cndmask_b32_e64 v74, 0xff7fffff, v94, s11
	v_cmp_gt_i32_e64 s13, s17, v85
	v_max3_f32 v73, v73, v76, v77
	v_cndmask_b32_e64 v75, 0xff7fffff, v93, s12
	v_cmp_gt_i32_e64 s15, s17, v86
	v_mul_f32_e32 v89, s18, v102
	v_cndmask_b32_e64 v76, 0xff7fffff, v92, s13
	v_cmp_gt_i32_e64 s16, s17, v71
	v_max3_f32 v73, v73, v74, v75
	v_cndmask_b32_e64 v77, 0xff7fffff, v91, s15
	v_cmp_gt_i32_e64 s17, s17, v72
	v_lshlrev_b32_e32 v74, 2, v104
	v_cndmask_b32_e64 v71, 0xff7fffff, v90, s16
	s_delay_alu instid0(VALU_DEP_4) | instskip(NEXT) | instid1(VALU_DEP_4)
	v_max3_f32 v73, v73, v76, v77
	v_cndmask_b32_e64 v72, 0xff7fffff, v89, s17
	s_delay_alu instid0(VALU_DEP_1) | instskip(SKIP_3) | instid1(VALU_DEP_1)
	v_max3_f32 v71, v73, v71, v72
	ds_bpermute_b32 v72, v74, v71
	s_waitcnt lgkmcnt(0)
	v_max_f32_e32 v72, v72, v72
	v_max_f32_e32 v71, v71, v72
	s_delay_alu instid0(VALU_DEP_1)
	v_fma_f32 v72, s18, v119, -v71
	v_fma_f32 v76, s18, v122, -v71
	;; [unrolled: 1-line block ×5, first 2 shown]
	v_mul_f32_e32 v72, 0x3fb8aa3b, v72
	v_mul_f32_e32 v76, 0x3fb8aa3b, v76
	v_fma_f32 v75, s18, v121, -v71
	v_mul_f32_e32 v79, 0x3fb8aa3b, v77
	v_mul_f32_e32 v85, 0x3fb8aa3b, v84
	v_exp_f32_e32 v72, v72
	v_exp_f32_e32 v76, v76
	v_fma_f32 v86, s18, v98, -v71
	v_exp_f32_e32 v82, v79
	v_exp_f32_e32 v85, v85
	v_fma_f32 v81, s18, v125, -v71
	s_delay_alu instid0(VALU_DEP_2) | instskip(SKIP_3) | instid1(TRANS32_DEP_3)
	v_mul_f32_e32 v87, 0x3fb8aa3b, v86
	v_cndmask_b32_e64 v78, 0, v72, s2
	v_fma_f32 v72, s18, v124, -v71
	v_mul_f32_e32 v73, 0x3fb8aa3b, v73
	v_cndmask_b32_e64 v79, 0, v76, s4
	v_fma_f32 v76, s18, v95, -v71
	s_delay_alu instid0(VALU_DEP_4) | instskip(NEXT) | instid1(VALU_DEP_4)
	v_dual_mul_f32 v75, 0x3fb8aa3b, v75 :: v_dual_mul_f32 v72, 0x3fb8aa3b, v72
	v_exp_f32_e32 v73, v73
	v_exp_f32_e32 v87, v87
	s_delay_alu instid0(VALU_DEP_2) | instskip(NEXT) | instid1(VALU_DEP_2)
	v_mul_f32_e32 v76, 0x3fb8aa3b, v76
	v_exp_f32_e32 v75, v75
	v_cndmask_b32_e64 v85, 0, v85, s10
	v_mul_f32_e32 v81, 0x3fb8aa3b, v81
	v_exp_f32_e32 v72, v72
	v_cndmask_b32_e64 v82, 0, v82, s5
	v_exp_f32_e32 v76, v76
	s_mov_b32 s2, exec_lo
	v_cndmask_b32_e32 v77, 0, v73, vcc_lo
	v_add_f32_e32 v73, 0, v78
	v_cndmask_b32_e64 v87, 0, v87, s12
	v_cndmask_b32_e64 v80, 0, v75, s3
	v_fma_f32 v75, s18, v126, -v71
	v_exp_f32_e32 v83, v81
	v_add_f32_e32 v73, v73, v77
	v_cndmask_b32_e64 v81, 0, v72, s6
	v_cndmask_b32_e64 v86, 0, v76, s9
	v_mul_f32_e32 v75, 0x3fb8aa3b, v75
	s_delay_alu instid0(VALU_DEP_4) | instskip(NEXT) | instid1(VALU_DEP_2)
	v_add_f32_e32 v73, v73, v80
	v_exp_f32_e32 v75, v75
	s_delay_alu instid0(TRANS32_DEP_2) | instskip(NEXT) | instid1(VALU_DEP_2)
	v_cndmask_b32_e64 v84, 0, v83, s7
	v_add_f32_e32 v73, v73, v79
	s_delay_alu instid0(VALU_DEP_1) | instskip(SKIP_3) | instid1(VALU_DEP_1)
	v_add_f32_e32 v72, v73, v82
	s_waitcnt_depctr 0xfff
	v_cndmask_b32_e64 v83, 0, v75, s8
	v_add_f32_e32 v72, v72, v81
	v_add_f32_e32 v72, v72, v84
	s_delay_alu instid0(VALU_DEP_1) | instskip(NEXT) | instid1(VALU_DEP_1)
	v_add_f32_e32 v72, v72, v83
	v_add_f32_e32 v72, v72, v86
	v_fma_f32 v73, s18, v97, -v71
	v_fma_f32 v75, s18, v99, -v71
	;; [unrolled: 1-line block ×4, first 2 shown]
	v_add_f32_e32 v72, v72, v85
	v_mul_f32_e32 v73, 0x3fb8aa3b, v73
	s_delay_alu instid0(VALU_DEP_4) | instskip(NEXT) | instid1(VALU_DEP_2)
	v_dual_mul_f32 v75, 0x3fb8aa3b, v75 :: v_dual_mul_f32 v76, 0x3fb8aa3b, v76
	v_exp_f32_e32 v73, v73
	s_delay_alu instid0(VALU_DEP_1) | instskip(NEXT) | instid1(VALU_DEP_1)
	v_exp_f32_e32 v75, v75
	v_exp_f32_e32 v76, v76
	s_delay_alu instid0(TRANS32_DEP_3)
	v_cndmask_b32_e64 v88, 0, v73, s11
	v_mul_f32_e32 v73, 0x3fb8aa3b, v89
	v_fma_f32 v89, s18, v102, -v71
	s_waitcnt_depctr 0xfff
	v_cndmask_b32_e64 v90, 0, v75, s13
	v_add_f32_e32 v72, v72, v88
	v_exp_f32_e32 v73, v73
	v_mul_f32_e32 v75, 0x3fb8aa3b, v89
	v_cndmask_b32_e64 v89, 0, v76, s15
	s_delay_alu instid0(VALU_DEP_3) | instskip(NEXT) | instid1(VALU_DEP_3)
	v_add_f32_e32 v72, v72, v87
	v_exp_f32_e32 v75, v75
	s_delay_alu instid0(VALU_DEP_1) | instskip(SKIP_4) | instid1(VALU_DEP_2)
	v_add_f32_e32 v72, v72, v90
	s_waitcnt_depctr 0xfff
	v_cndmask_b32_e64 v92, 0, v73, s16
	v_add_f32_e32 v72, v72, v89
	v_cndmask_b32_e64 v91, 0, v75, s17
	v_add_f32_e32 v72, v72, v92
	s_delay_alu instid0(VALU_DEP_1)
	v_add_f32_e32 v72, v72, v91
	ds_bpermute_b32 v73, v74, v72
	v_cmpx_gt_u32_e32 16, v70
	s_cbranch_execz .LBB1297_12
; %bb.11:
	v_mul_u32_u24_e32 v70, 0x44, v68
	s_waitcnt lgkmcnt(0)
	v_add_f32_e32 v72, v72, v73
	s_delay_alu instid0(VALU_DEP_2) | instskip(NEXT) | instid1(VALU_DEP_1)
	v_lshl_add_u32 v70, v69, 2, v70
	v_add_nc_u32_e32 v70, 0x4000, v70
	ds_store_2addr_b32 v70, v71, v72 offset1:136
.LBB1297_12:
	s_or_b32 exec_lo, exec_lo, s2
	v_lshlrev_b32_e32 v70, 2, v69
	s_load_b32 s34, s[0:1], 0x94
	s_waitcnt lgkmcnt(0)
	s_barrier
	buffer_gl0_inv
	v_add_nc_u32_e32 v74, 0x4000, v70
	v_cmp_eq_u32_e32 vcc_lo, 1, v68
	v_cmp_eq_u32_e64 s2, 2, v68
	v_cmp_eq_u32_e64 s3, 3, v68
	;; [unrolled: 1-line block ×3, first 2 shown]
	ds_load_2addr_b32 v[70:71], v74 offset1:17
	ds_load_2addr_b32 v[72:73], v74 offset0:34 offset1:51
	ds_load_2addr_b32 v[93:94], v74 offset0:68 offset1:85
	;; [unrolled: 1-line block ×3, first 2 shown]
	v_cmp_eq_u32_e64 s5, 5, v68
	v_cmp_eq_u32_e64 s6, 7, v68
	s_waitcnt lgkmcnt(3)
	v_max3_f32 v75, v70, 0xff7fffff, v71
	s_waitcnt lgkmcnt(2)
	s_delay_alu instid0(VALU_DEP_1) | instskip(SKIP_1) | instid1(VALU_DEP_1)
	v_max3_f32 v75, v75, v72, v73
	s_waitcnt lgkmcnt(1)
	v_max3_f32 v75, v75, v93, v94
	s_waitcnt lgkmcnt(0)
	s_delay_alu instid0(VALU_DEP_1) | instskip(NEXT) | instid1(VALU_DEP_1)
	v_max3_f32 v75, v75, v95, v96
	v_sub_f32_e32 v93, v93, v75
	ds_load_2addr_b32 v[97:98], v74 offset0:136 offset1:153
	v_sub_f32_e32 v70, v70, v75
	v_dual_sub_f32 v100, v73, v75 :: v_dual_mul_f32 v103, 0x3fb8aa3b, v93
	s_delay_alu instid0(VALU_DEP_2) | instskip(SKIP_3) | instid1(VALU_DEP_1)
	v_dual_sub_f32 v76, v71, v75 :: v_dual_mul_f32 v99, 0x3fb8aa3b, v70
	ds_load_2addr_b32 v[70:71], v74 offset0:170 offset1:187
	v_mul_f32_e32 v76, 0x3fb8aa3b, v76
	v_exp_f32_e32 v99, v99
	v_exp_f32_e32 v102, v76
	v_mul_f32_e32 v100, 0x3fb8aa3b, v100
	s_waitcnt lgkmcnt(1)
	s_waitcnt_depctr 0xfff
	v_fma_f32 v76, v99, v97, 0
	v_sub_f32_e32 v97, v94, v75
	v_sub_f32_e32 v72, v72, v75
	v_exp_f32_e32 v100, v100
	ds_load_2addr_b32 v[93:94], v74 offset0:238 offset1:255
	v_dual_fmac_f32 v76, v102, v98 :: v_dual_mul_f32 v101, 0x3fb8aa3b, v72
	ds_load_2addr_b32 v[72:73], v74 offset0:204 offset1:221
	v_dual_sub_f32 v74, v95, v75 :: v_dual_mul_f32 v95, 0x3fb8aa3b, v97
	v_exp_f32_e32 v97, v103
	v_exp_f32_e32 v101, v101
	s_waitcnt lgkmcnt(0)
	s_barrier
	v_exp_f32_e32 v95, v95
	buffer_gl0_inv
	v_fmac_f32_e32 v76, v101, v70
	v_sub_f32_e32 v70, v96, v75
	s_delay_alu instid0(VALU_DEP_2) | instskip(NEXT) | instid1(VALU_DEP_2)
	v_fmac_f32_e32 v76, v100, v71
	v_mul_f32_e32 v70, 0x3fb8aa3b, v70
	s_delay_alu instid0(VALU_DEP_2)
	v_dual_cndmask_b32 v71, v99, v102 :: v_dual_fmac_f32 v76, v97, v72
	v_lshlrev_b32_e32 v72, 6, v69
	v_lshlrev_b32_e32 v69, 2, v66
	v_mul_f32_e32 v74, 0x3fb8aa3b, v74
	v_exp_f32_e32 v98, v70
	v_fmac_f32_e32 v76, v95, v73
	s_delay_alu instid0(VALU_DEP_3) | instskip(NEXT) | instid1(VALU_DEP_3)
	v_cmp_eq_u32_e64 s7, 7, v69
	v_exp_f32_e32 v96, v74
	v_lshl_or_b32 v74, v68, 11, v72
	s_waitcnt_depctr 0xfff
	v_fmac_f32_e32 v76, v96, v93
	s_delay_alu instid0(VALU_DEP_1) | instskip(NEXT) | instid1(VALU_DEP_1)
	v_fmac_f32_e32 v76, v98, v94
	v_add_f32_e32 v73, 0x358637bd, v76
	s_delay_alu instid0(VALU_DEP_1) | instskip(SKIP_1) | instid1(VALU_DEP_2)
	v_div_scale_f32 v93, null, v73, v73, 1.0
	v_div_scale_f32 v99, vcc_lo, 1.0, v73, 1.0
	v_rcp_f32_e32 v94, v93
	s_waitcnt_depctr 0xfff
	v_fma_f32 v70, -v93, v94, 1.0
	s_delay_alu instid0(VALU_DEP_1)
	v_fmac_f32_e32 v94, v70, v94
	v_cndmask_b32_e64 v70, v71, v101, s2
	v_cmp_eq_u32_e64 s2, 6, v68
	v_or_b32_e32 v71, 1, v69
	v_or_b32_e32 v68, 2, v69
	v_mul_f32_e32 v101, v99, v94
	v_cndmask_b32_e64 v70, v70, v100, s3
	v_cmp_eq_u32_e64 s3, 1, v69
	v_cmp_eq_u32_e64 s8, 1, v71
	;; [unrolled: 1-line block ×3, first 2 shown]
	v_fma_f32 v100, -v93, v101, v99
	v_cndmask_b32_e64 v70, v70, v97, s4
	v_cmp_eq_u32_e64 s4, 2, v69
	v_cmp_eq_u32_e64 s11, 2, v71
	v_cmp_eq_u32_e64 s13, 2, v68
	v_fmac_f32_e32 v101, v100, v94
	v_cndmask_b32_e64 v95, v70, v95, s5
	v_or_b32_e32 v70, 3, v69
	v_cmp_eq_u32_e64 s12, 3, v71
	v_cmp_eq_u32_e64 s16, 3, v68
	v_fma_f32 v93, -v93, v101, v99
	v_cndmask_b32_e64 v95, v95, v96, s2
	v_cmp_eq_u32_e64 s10, 1, v70
	v_cmp_eq_u32_e64 s15, 2, v70
	;; [unrolled: 1-line block ×3, first 2 shown]
	v_div_fmas_f32 v93, v93, v94, v101
	v_cndmask_b32_e64 v94, v95, v98, s6
	v_cmp_eq_u32_e32 vcc_lo, 3, v69
	v_cmp_eq_u32_e64 s2, 4, v69
	v_cmp_eq_u32_e64 s18, 4, v71
	v_div_fixup_f32 v93, v93, v73, 1.0
	v_lshl_or_b32 v73, v66, 4, v74
	v_cmp_eq_u32_e64 s21, 4, v70
	v_cmp_eq_u32_e64 s5, 5, v69
	;; [unrolled: 1-line block ×3, first 2 shown]
	v_mul_f32_e32 v101, v94, v93
	v_cmp_eq_u32_e64 s20, 4, v68
	v_cmp_eq_u32_e64 s23, 5, v70
	;; [unrolled: 1-line block ×4, first 2 shown]
	v_fma_mixlo_f16 v93, v101, v78, 0
	v_fma_mixlo_f16 v94, v101, v80, 0
	;; [unrolled: 1-line block ×8, first 2 shown]
	v_fma_mixhi_f16 v93, v101, v77, 0
	v_fma_mixhi_f16 v94, v101, v79, 0
	;; [unrolled: 1-line block ×8, first 2 shown]
	ds_store_b128 v73, v[93:96]
	ds_store_b128 v73, v[97:100] offset:1024
	s_waitcnt lgkmcnt(0)
	s_barrier
	buffer_gl0_inv
	ds_load_b128 v[77:80], v74
	ds_load_b128 v[81:84], v74 offset:16
	ds_load_b128 v[85:88], v74 offset:1024
	;; [unrolled: 1-line block ×3, first 2 shown]
	v_cmp_eq_u32_e64 s26, 6, v70
	v_cmp_eq_u32_e64 s6, 6, v69
	;; [unrolled: 1-line block ×6, first 2 shown]
	s_waitcnt lgkmcnt(3)
	v_lshrrev_b32_e32 v93, 16, v77
	s_waitcnt lgkmcnt(2)
	v_lshrrev_b32_e32 v97, 16, v81
	;; [unrolled: 2-line block ×4, first 2 shown]
	v_lshrrev_b32_e32 v94, 16, v78
	v_cndmask_b32_e64 v109, v77, v93, s3
	v_cndmask_b32_e64 v110, v81, v97, s3
	;; [unrolled: 1-line block ×8, first 2 shown]
	v_lshrrev_b32_e32 v98, 16, v82
	v_cndmask_b32_e64 v93, v85, v101, s3
	v_cndmask_b32_e64 v97, v89, v105, s3
	;; [unrolled: 1-line block ×15, first 2 shown]
	v_lshrrev_b32_e32 v102, 16, v86
	v_lshrrev_b32_e32 v106, 16, v90
	v_cndmask_b32_e64 v112, v114, v82, s13
	v_cndmask_b32_e64 v81, v93, v86, s4
	;; [unrolled: 1-line block ×7, first 2 shown]
	v_cndmask_b32_e32 v89, v101, v94, vcc_lo
	v_cndmask_b32_e32 v101, v105, v98, vcc_lo
	v_cndmask_b32_e64 v105, v109, v94, s12
	v_cndmask_b32_e64 v109, v110, v98, s12
	;; [unrolled: 1-line block ×4, first 2 shown]
	v_lshrrev_b32_e32 v95, 16, v79
	v_lshrrev_b32_e32 v99, 16, v83
	v_cndmask_b32_e64 v110, v111, v94, s16
	v_cndmask_b32_e64 v111, v112, v98, s16
	v_cndmask_b32_e32 v81, v81, v102, vcc_lo
	v_cndmask_b32_e32 v82, v82, v106, vcc_lo
	v_cndmask_b32_e64 v93, v93, v102, s12
	v_cndmask_b32_e64 v89, v89, v79, s2
	v_cndmask_b32_e64 v94, v101, v83, s2
	v_cndmask_b32_e64 v98, v105, v79, s18
	v_cndmask_b32_e64 v101, v109, v83, s18
	v_cndmask_b32_e64 v77, v77, v79, s21
	v_cndmask_b32_e64 v78, v78, v83, s21
	v_lshrrev_b32_e32 v103, 16, v87
	v_cndmask_b32_e64 v105, v110, v79, s20
	v_cndmask_b32_e64 v109, v111, v83, s20
	v_cndmask_b32_e64 v79, v81, v87, s2
	v_cndmask_b32_e64 v81, v82, v91, s2
	v_cndmask_b32_e64 v82, v93, v87, s18
	v_cndmask_b32_e64 v83, v89, v95, s5
	v_cndmask_b32_e64 v89, v94, v99, s5
	v_cndmask_b32_e64 v93, v98, v95, s19
	v_cndmask_b32_e64 v94, v101, v99, s19
	v_cndmask_b32_e64 v77, v77, v95, s23
	v_cndmask_b32_e64 v78, v78, v99, s23
	v_lshrrev_b32_e32 v96, 16, v80
	v_lshrrev_b32_e32 v100, 16, v84
	v_cndmask_b32_e64 v98, v105, v95, s22
	v_cndmask_b32_e64 v101, v109, v99, s22
	;; [unrolled: 1-line block ×7, first 2 shown]
	v_lshrrev_b32_e32 v104, 16, v88
	v_cndmask_b32_e64 v79, v79, v103, s5
	v_cndmask_b32_e64 v83, v83, v80, s6
	;; [unrolled: 1-line block ×16, first 2 shown]
	v_perm_b32 v80, v78, v77, 0x5040100
	v_perm_b32 v78, v94, v84, 0x5040100
	v_cndmask_b32_e64 v77, v118, v90, s13
	v_cndmask_b32_e64 v84, v116, v90, s11
	;; [unrolled: 1-line block ×3, first 2 shown]
	v_perm_b32 v79, v93, v89, 0x5040100
	v_cndmask_b32_e64 v89, v97, v102, s16
	v_cndmask_b32_e64 v85, v85, v102, s17
	;; [unrolled: 1-line block ×5, first 2 shown]
	v_lshrrev_b32_e32 v107, 16, v91
	v_cndmask_b32_e64 v89, v89, v87, s20
	v_cndmask_b32_e64 v85, v85, v87, s21
	;; [unrolled: 1-line block ×11, first 2 shown]
	v_lshrrev_b32_e32 v108, 16, v92
	v_cndmask_b32_e64 v81, v81, v92, s6
	v_cndmask_b32_e64 v87, v87, v88, s25
	;; [unrolled: 1-line block ×12, first 2 shown]
	v_perm_b32 v77, v83, v82, 0x5040100
	v_perm_b32 v84, v86, v85, 0x5040100
	;; [unrolled: 1-line block ×5, first 2 shown]
	s_lshl_b32 s7, s33, 2
	s_mov_b32 s2, exec_lo
	ds_store_b128 v73, v[77:80]
	ds_store_b128 v73, v[81:84] offset:1024
	v_cmpx_gt_u32_e32 4, v0
	s_cbranch_execz .LBB1297_14
; %bb.13:
	v_or_b32_e32 v77, s31, v0
	s_load_b128 s[8:11], s[0:1], 0x58
	s_delay_alu instid0(VALU_DEP_1) | instskip(NEXT) | instid1(VALU_DEP_1)
	v_mad_u64_u32 v[78:79], null, s7, s30, v[77:78]
	v_mad_u64_u32 v[79:80], null, v78, s34, s[14:15]
	s_delay_alu instid0(VALU_DEP_1) | instskip(NEXT) | instid1(VALU_DEP_1)
	v_ashrrev_i32_e32 v80, 31, v79
	v_lshlrev_b64 v[77:78], 2, v[79:80]
	s_waitcnt lgkmcnt(0)
	s_delay_alu instid0(VALU_DEP_1) | instskip(NEXT) | instid1(VALU_DEP_2)
	v_add_co_u32 v79, vcc_lo, s10, v77
	v_add_co_ci_u32_e32 v80, vcc_lo, s11, v78, vcc_lo
	v_add_co_u32 v77, vcc_lo, s8, v77
	v_add_co_ci_u32_e32 v78, vcc_lo, s9, v78, vcc_lo
	global_store_b32 v[79:80], v75, off
	global_store_b32 v[77:78], v76, off
.LBB1297_14:
	s_or_b32 exec_lo, exec_lo, s2
	s_waitcnt lgkmcnt(0)
	s_waitcnt_vscnt null, 0x0
	s_barrier
	buffer_gl0_inv
	ds_load_b128 v[83:86], v72
	ds_load_b128 v[87:90], v72 offset:16
	ds_load_b128 v[95:98], v72 offset:2064
	;; [unrolled: 1-line block ×5, first 2 shown]
	v_cmp_eq_u32_e32 vcc_lo, 1, v69
	v_mov_b32_e32 v75, 0
	ds_load_b128 v[111:114], v72 offset:6160
	ds_load_b128 v[107:110], v72 offset:6144
	;; [unrolled: 1-line block ×4, first 2 shown]
	v_cmp_eq_u32_e64 s3, 1, v68
	v_cmp_eq_u32_e64 s2, 1, v71
	;; [unrolled: 1-line block ×3, first 2 shown]
	v_mov_b32_e32 v76, v75
	v_mov_b32_e32 v77, v75
	;; [unrolled: 1-line block ×7, first 2 shown]
	v_cmp_eq_u32_e64 s5, 3, v71
	v_cmp_eq_u32_e64 s6, 7, v71
	s_waitcnt lgkmcnt(8)
	s_delay_alu instid0(VALU_DEP_3)
	v_wmma_f32_16x16x16_f16 v[75:82], v[49:56], v[83:90], v[75:82]
	ds_load_b128 v[53:56], v72 offset:10256
	ds_load_b128 v[49:52], v72 offset:10240
	s_waitcnt lgkmcnt(8)
	v_wmma_f32_16x16x16_f16 v[75:82], v[41:48], v[91:98], v[75:82]
	ds_load_b128 v[45:48], v72 offset:12304
	ds_load_b128 v[41:44], v72 offset:12288
	s_waitcnt lgkmcnt(8)
	;; [unrolled: 4-line block ×3, first 2 shown]
	s_barrier
	buffer_gl0_inv
	v_wmma_f32_16x16x16_f16 v[75:82], v[1:8], v[107:114], v[75:82]
	s_delay_alu instid0(VALU_DEP_1) | instskip(NEXT) | instid1(VALU_DEP_1)
	v_wmma_f32_16x16x16_f16 v[75:82], v[9:16], v[115:122], v[75:82]
	v_wmma_f32_16x16x16_f16 v[75:82], v[17:24], v[49:56], v[75:82]
	s_delay_alu instid0(VALU_DEP_1) | instskip(NEXT) | instid1(VALU_DEP_1)
	v_wmma_f32_16x16x16_f16 v[75:82], v[25:32], v[41:48], v[75:82]
	v_wmma_f32_16x16x16_f16 v[75:82], v[57:64], v[33:40], v[75:82]
	s_delay_alu instid0(VALU_DEP_1) | instskip(NEXT) | instid1(VALU_DEP_2)
	v_cvt_f16_f32_e32 v1, v75
	v_cvt_f16_f32_e32 v2, v76
	s_delay_alu instid0(VALU_DEP_3) | instskip(NEXT) | instid1(VALU_DEP_4)
	v_cvt_f16_f32_e32 v3, v77
	v_cvt_f16_f32_e32 v4, v78
	;; [unrolled: 1-line block ×6, first 2 shown]
	v_pack_b32_f16 v1, v1, v2
	v_pack_b32_f16 v2, v3, v4
	;; [unrolled: 1-line block ×3, first 2 shown]
	s_delay_alu instid0(VALU_DEP_4)
	v_pack_b32_f16 v4, v7, v8
	ds_store_b128 v73, v[1:4]
	s_waitcnt lgkmcnt(0)
	s_barrier
	buffer_gl0_inv
	ds_load_b128 v[1:4], v74
	ds_load_b128 v[5:8], v74 offset:16
	s_waitcnt lgkmcnt(1)
	v_lshrrev_b32_e32 v9, 16, v1
	s_waitcnt lgkmcnt(0)
	v_lshrrev_b32_e32 v13, 16, v5
	v_lshrrev_b32_e32 v10, 16, v2
	;; [unrolled: 1-line block ×4, first 2 shown]
	v_cndmask_b32_e32 v17, v1, v9, vcc_lo
	v_cndmask_b32_e32 v18, v5, v13, vcc_lo
	v_cndmask_b32_e64 v21, v1, v9, s3
	v_cmp_eq_u32_e32 vcc_lo, 1, v70
	v_cndmask_b32_e64 v22, v5, v13, s3
	v_cmp_eq_u32_e64 s3, 2, v69
	v_cndmask_b32_e64 v19, v1, v9, s2
	v_cndmask_b32_e64 v20, v5, v13, s2
	v_cndmask_b32_e32 v1, v1, v9, vcc_lo
	v_cmp_eq_u32_e64 s2, 2, v70
	v_cndmask_b32_e32 v5, v5, v13, vcc_lo
	v_cndmask_b32_e64 v9, v17, v2, s3
	v_cmp_eq_u32_e32 vcc_lo, 3, v69
	v_cndmask_b32_e64 v13, v18, v6, s3
	v_cmp_eq_u32_e64 s3, 2, v68
	v_cndmask_b32_e64 v17, v19, v2, s4
	v_cndmask_b32_e64 v18, v20, v6, s4
	v_cmp_eq_u32_e64 s4, 3, v68
	v_cndmask_b32_e64 v1, v1, v2, s2
	v_cndmask_b32_e64 v19, v21, v2, s3
	;; [unrolled: 1-line block ×4, first 2 shown]
	v_cndmask_b32_e32 v5, v9, v10, vcc_lo
	v_cndmask_b32_e32 v6, v13, v14, vcc_lo
	v_cmp_eq_u32_e32 vcc_lo, 3, v70
	v_cndmask_b32_e64 v9, v17, v10, s5
	v_cndmask_b32_e64 v13, v18, v14, s5
	;; [unrolled: 1-line block ×3, first 2 shown]
	v_cmp_eq_u32_e64 s3, 4, v69
	v_cndmask_b32_e32 v1, v1, v10, vcc_lo
	v_cndmask_b32_e32 v2, v2, v14, vcc_lo
	v_cmp_eq_u32_e32 vcc_lo, 4, v71
	v_lshrrev_b32_e32 v15, 16, v7
	v_lshrrev_b32_e32 v16, 16, v8
	v_cndmask_b32_e64 v17, v19, v10, s4
	v_cmp_eq_u32_e64 s2, 4, v70
	v_cndmask_b32_e64 v5, v5, v3, s3
	v_cndmask_b32_e64 v6, v6, v7, s3
	v_cndmask_b32_e32 v9, v9, v3, vcc_lo
	v_cmp_eq_u32_e64 s3, 5, v71
	v_cndmask_b32_e32 v10, v13, v7, vcc_lo
	v_cmp_eq_u32_e32 vcc_lo, 4, v68
	v_cmp_eq_u32_e64 s4, 5, v69
	v_cndmask_b32_e64 v2, v2, v7, s2
	v_cndmask_b32_e64 v9, v9, v11, s3
	v_cndmask_b32_e64 v10, v10, v15, s3
	v_cndmask_b32_e32 v13, v17, v3, vcc_lo
	v_cmp_eq_u32_e64 s3, 5, v68
	v_cndmask_b32_e32 v14, v18, v7, vcc_lo
	v_cndmask_b32_e64 v1, v1, v3, s2
	v_cmp_eq_u32_e32 vcc_lo, 5, v70
	v_lshrrev_b32_e32 v12, 16, v4
	v_cndmask_b32_e64 v13, v13, v11, s3
	v_cndmask_b32_e64 v3, v14, v15, s3
	v_cmp_eq_u32_e64 s3, 6, v70
	v_cndmask_b32_e32 v1, v1, v11, vcc_lo
	v_cndmask_b32_e64 v5, v5, v11, s4
	v_cmp_eq_u32_e64 s5, 6, v69
	v_cndmask_b32_e64 v6, v6, v15, s4
	v_cmp_eq_u32_e64 s4, 6, v71
	v_cmp_eq_u32_e64 s2, 6, v68
	v_cndmask_b32_e64 v1, v1, v4, s3
	v_cndmask_b32_e32 v2, v2, v15, vcc_lo
	v_cmp_eq_u32_e32 vcc_lo, 7, v70
	v_cndmask_b32_e64 v5, v5, v4, s5
	v_cndmask_b32_e64 v9, v9, v4, s4
	;; [unrolled: 1-line block ×3, first 2 shown]
	v_cmp_eq_u32_e64 s5, 7, v69
	v_cndmask_b32_e32 v1, v1, v12, vcc_lo
	v_cndmask_b32_e64 v7, v13, v4, s2
	v_cndmask_b32_e64 v3, v3, v8, s2
	;; [unrolled: 1-line block ×3, first 2 shown]
	v_cmp_eq_u32_e64 s2, 7, v68
	v_cndmask_b32_e64 v4, v10, v8, s4
	v_cndmask_b32_e64 v5, v5, v12, s5
	;; [unrolled: 1-line block ×3, first 2 shown]
	v_cndmask_b32_e32 v2, v2, v16, vcc_lo
	v_cndmask_b32_e64 v7, v7, v12, s2
	v_cndmask_b32_e64 v3, v3, v16, s2
	;; [unrolled: 1-line block ×4, first 2 shown]
	v_perm_b32 v4, v2, v1, 0x5040100
	s_mov_b32 s2, exec_lo
	v_perm_b32 v3, v3, v7, 0x5040100
	v_perm_b32 v2, v8, v9, 0x5040100
	;; [unrolled: 1-line block ×3, first 2 shown]
	ds_store_b128 v73, v[1:4]
	s_waitcnt lgkmcnt(0)
	s_barrier
	buffer_gl0_inv
	v_cmpx_gt_u32_e32 32, v0
	s_cbranch_execz .LBB1297_2
; %bb.15:
	s_load_b64 s[0:1], s[0:1], 0x68
	v_lshlrev_b32_e32 v0, 10, v0
	v_or_b32_e32 v1, s31, v66
	s_lshl_b32 s4, s34, 7
	v_lshlrev_b32_e32 v2, 4, v67
	s_mul_i32 s2, s4, s30
	v_lshlrev_b32_e32 v3, 6, v66
	v_mul_lo_u32 v8, v1, s4
	v_and_b32_e32 v0, 0x3800, v0
	v_or_b32_e32 v1, 2, v1
	s_mul_i32 s2, s2, s7
	s_delay_alu instid0(SALU_CYCLE_1) | instskip(NEXT) | instid1(VALU_DEP_2)
	s_ashr_i32 s3, s2, 31
	v_or3_b32 v4, v0, v2, v3
	s_lshl_b64 s[2:3], s[2:3], 1
	v_mul_lo_u32 v10, v1, s4
	v_ashrrev_i32_e32 v9, 31, v8
	ds_load_b128 v[0:3], v4
	ds_load_b128 v[4:7], v4 offset:128
	s_waitcnt lgkmcnt(0)
	s_add_u32 s2, s0, s2
	s_addc_u32 s3, s1, s3
	s_lshl_b32 s0, s14, 7
	v_ashrrev_i32_e32 v11, 31, v10
	s_ashr_i32 s1, s0, 31
	v_lshlrev_b64 v[8:9], 1, v[8:9]
	s_lshl_b64 s[0:1], s[0:1], 1
	s_delay_alu instid0(SALU_CYCLE_1) | instskip(SKIP_2) | instid1(VALU_DEP_1)
	s_add_u32 s0, s2, s0
	s_addc_u32 s1, s3, s1
	v_add_co_u32 v12, s0, s0, v65
	v_add_co_ci_u32_e64 v13, null, s1, 0, s0
	v_lshlrev_b64 v[10:11], 1, v[10:11]
	s_delay_alu instid0(VALU_DEP_3) | instskip(NEXT) | instid1(VALU_DEP_3)
	v_add_co_u32 v8, vcc_lo, v12, v8
	v_add_co_ci_u32_e32 v9, vcc_lo, v13, v9, vcc_lo
	s_delay_alu instid0(VALU_DEP_3) | instskip(NEXT) | instid1(VALU_DEP_4)
	v_add_co_u32 v10, vcc_lo, v12, v10
	v_add_co_ci_u32_e32 v11, vcc_lo, v13, v11, vcc_lo
	s_clause 0x1
	global_store_b128 v[8:9], v[0:3], off
	global_store_b128 v[10:11], v[4:7], off
	s_nop 0
	s_sendmsg sendmsg(MSG_DEALLOC_VGPRS)
	s_endpgm
	.section	.rodata,"a",@progbits
	.p2align	6, 0x0
	.amdhsa_kernel _Z39paged_attention_ll4mi_QKV_mfma16_kernelIDF16_hLN4vllm18Fp8KVCacheDataTypeE1EhLi32ELi128ELi256ELb1ELi4EL8MFMAType0EEvPKT_PKT0_S8_ifPKiSA_SA_iPKfiiiPfSD_PS3_PT2_iSC_SC_
		.amdhsa_group_segment_fixed_size 17472
		.amdhsa_private_segment_fixed_size 0
		.amdhsa_kernarg_size 400
		.amdhsa_user_sgpr_count 13
		.amdhsa_user_sgpr_dispatch_ptr 0
		.amdhsa_user_sgpr_queue_ptr 0
		.amdhsa_user_sgpr_kernarg_segment_ptr 1
		.amdhsa_user_sgpr_dispatch_id 0
		.amdhsa_user_sgpr_private_segment_size 0
		.amdhsa_wavefront_size32 1
		.amdhsa_uses_dynamic_stack 0
		.amdhsa_enable_private_segment 0
		.amdhsa_system_sgpr_workgroup_id_x 1
		.amdhsa_system_sgpr_workgroup_id_y 1
		.amdhsa_system_sgpr_workgroup_id_z 1
		.amdhsa_system_sgpr_workgroup_info 0
		.amdhsa_system_vgpr_workitem_id 0
		.amdhsa_next_free_vgpr 140
		.amdhsa_next_free_sgpr 36
		.amdhsa_reserve_vcc 1
		.amdhsa_float_round_mode_32 0
		.amdhsa_float_round_mode_16_64 0
		.amdhsa_float_denorm_mode_32 3
		.amdhsa_float_denorm_mode_16_64 3
		.amdhsa_dx10_clamp 1
		.amdhsa_ieee_mode 1
		.amdhsa_fp16_overflow 0
		.amdhsa_workgroup_processor_mode 1
		.amdhsa_memory_ordered 1
		.amdhsa_forward_progress 0
		.amdhsa_shared_vgpr_count 0
		.amdhsa_exception_fp_ieee_invalid_op 0
		.amdhsa_exception_fp_denorm_src 0
		.amdhsa_exception_fp_ieee_div_zero 0
		.amdhsa_exception_fp_ieee_overflow 0
		.amdhsa_exception_fp_ieee_underflow 0
		.amdhsa_exception_fp_ieee_inexact 0
		.amdhsa_exception_int_div_zero 0
	.end_amdhsa_kernel
	.section	.text._Z39paged_attention_ll4mi_QKV_mfma16_kernelIDF16_hLN4vllm18Fp8KVCacheDataTypeE1EhLi32ELi128ELi256ELb1ELi4EL8MFMAType0EEvPKT_PKT0_S8_ifPKiSA_SA_iPKfiiiPfSD_PS3_PT2_iSC_SC_,"axG",@progbits,_Z39paged_attention_ll4mi_QKV_mfma16_kernelIDF16_hLN4vllm18Fp8KVCacheDataTypeE1EhLi32ELi128ELi256ELb1ELi4EL8MFMAType0EEvPKT_PKT0_S8_ifPKiSA_SA_iPKfiiiPfSD_PS3_PT2_iSC_SC_,comdat
.Lfunc_end1297:
	.size	_Z39paged_attention_ll4mi_QKV_mfma16_kernelIDF16_hLN4vllm18Fp8KVCacheDataTypeE1EhLi32ELi128ELi256ELb1ELi4EL8MFMAType0EEvPKT_PKT0_S8_ifPKiSA_SA_iPKfiiiPfSD_PS3_PT2_iSC_SC_, .Lfunc_end1297-_Z39paged_attention_ll4mi_QKV_mfma16_kernelIDF16_hLN4vllm18Fp8KVCacheDataTypeE1EhLi32ELi128ELi256ELb1ELi4EL8MFMAType0EEvPKT_PKT0_S8_ifPKiSA_SA_iPKfiiiPfSD_PS3_PT2_iSC_SC_
                                        ; -- End function
	.section	.AMDGPU.csdata,"",@progbits
; Kernel info:
; codeLenInByte = 6504
; NumSgprs: 38
; NumVgprs: 140
; ScratchSize: 0
; MemoryBound: 0
; FloatMode: 240
; IeeeMode: 1
; LDSByteSize: 17472 bytes/workgroup (compile time only)
; SGPRBlocks: 4
; VGPRBlocks: 17
; NumSGPRsForWavesPerEU: 38
; NumVGPRsForWavesPerEU: 140
; Occupancy: 10
; WaveLimiterHint : 1
; COMPUTE_PGM_RSRC2:SCRATCH_EN: 0
; COMPUTE_PGM_RSRC2:USER_SGPR: 13
; COMPUTE_PGM_RSRC2:TRAP_HANDLER: 0
; COMPUTE_PGM_RSRC2:TGID_X_EN: 1
; COMPUTE_PGM_RSRC2:TGID_Y_EN: 1
; COMPUTE_PGM_RSRC2:TGID_Z_EN: 1
; COMPUTE_PGM_RSRC2:TIDIG_COMP_CNT: 0
	.section	.text._Z39paged_attention_ll4mi_QKV_mfma16_kernelIDF16_hLN4vllm18Fp8KVCacheDataTypeE1EhLi32ELi128ELi256ELb0ELi5EL8MFMAType0EEvPKT_PKT0_S8_ifPKiSA_SA_iPKfiiiPfSD_PS3_PT2_iSC_SC_,"axG",@progbits,_Z39paged_attention_ll4mi_QKV_mfma16_kernelIDF16_hLN4vllm18Fp8KVCacheDataTypeE1EhLi32ELi128ELi256ELb0ELi5EL8MFMAType0EEvPKT_PKT0_S8_ifPKiSA_SA_iPKfiiiPfSD_PS3_PT2_iSC_SC_,comdat
	.protected	_Z39paged_attention_ll4mi_QKV_mfma16_kernelIDF16_hLN4vllm18Fp8KVCacheDataTypeE1EhLi32ELi128ELi256ELb0ELi5EL8MFMAType0EEvPKT_PKT0_S8_ifPKiSA_SA_iPKfiiiPfSD_PS3_PT2_iSC_SC_ ; -- Begin function _Z39paged_attention_ll4mi_QKV_mfma16_kernelIDF16_hLN4vllm18Fp8KVCacheDataTypeE1EhLi32ELi128ELi256ELb0ELi5EL8MFMAType0EEvPKT_PKT0_S8_ifPKiSA_SA_iPKfiiiPfSD_PS3_PT2_iSC_SC_
	.globl	_Z39paged_attention_ll4mi_QKV_mfma16_kernelIDF16_hLN4vllm18Fp8KVCacheDataTypeE1EhLi32ELi128ELi256ELb0ELi5EL8MFMAType0EEvPKT_PKT0_S8_ifPKiSA_SA_iPKfiiiPfSD_PS3_PT2_iSC_SC_
	.p2align	8
	.type	_Z39paged_attention_ll4mi_QKV_mfma16_kernelIDF16_hLN4vllm18Fp8KVCacheDataTypeE1EhLi32ELi128ELi256ELb0ELi5EL8MFMAType0EEvPKT_PKT0_S8_ifPKiSA_SA_iPKfiiiPfSD_PS3_PT2_iSC_SC_,@function
_Z39paged_attention_ll4mi_QKV_mfma16_kernelIDF16_hLN4vllm18Fp8KVCacheDataTypeE1EhLi32ELi128ELi256ELb0ELi5EL8MFMAType0EEvPKT_PKT0_S8_ifPKiSA_SA_iPKfiiiPfSD_PS3_PT2_iSC_SC_: ; @_Z39paged_attention_ll4mi_QKV_mfma16_kernelIDF16_hLN4vllm18Fp8KVCacheDataTypeE1EhLi32ELi128ELi256ELb0ELi5EL8MFMAType0EEvPKT_PKT0_S8_ifPKiSA_SA_iPKfiiiPfSD_PS3_PT2_iSC_SC_
; %bb.0:
	s_load_b64 s[4:5], s[0:1], 0x30
	s_mov_b32 s34, s13
	s_waitcnt lgkmcnt(0)
	s_cmp_lg_u64 s[4:5], 0
	s_cselect_b32 s8, -1, 0
	s_ashr_i32 s35, s13, 31
	s_cmp_eq_u64 s[4:5], 0
	s_cbranch_scc1 .LBB1298_3
; %bb.1:
	s_lshl_b64 s[2:3], s[34:35], 2
	s_delay_alu instid0(SALU_CYCLE_1) | instskip(SKIP_4) | instid1(SALU_CYCLE_1)
	s_add_u32 s2, s4, s2
	s_addc_u32 s3, s5, s3
	s_load_b64 s[2:3], s[2:3], 0x0
	s_waitcnt lgkmcnt(0)
	s_sub_i32 s2, s3, s2
	s_cmp_eq_u32 s2, 1
	s_cselect_b32 s2, -1, 0
	s_delay_alu instid0(SALU_CYCLE_1)
	s_and_not1_b32 vcc_lo, exec_lo, s2
	s_cbranch_vccz .LBB1298_4
.LBB1298_2:
	s_nop 0
	s_sendmsg sendmsg(MSG_DEALLOC_VGPRS)
	s_endpgm
.LBB1298_3:
.LBB1298_4:
	s_load_b64 s[2:3], s[0:1], 0x28
	s_lshl_b64 s[6:7], s[34:35], 2
	s_waitcnt lgkmcnt(0)
	s_add_u32 s2, s2, s6
	s_addc_u32 s3, s3, s7
	s_lshl_b32 s12, s14, 8
	s_load_b32 s24, s[2:3], 0x0
	s_waitcnt lgkmcnt(0)
	s_cmp_ge_i32 s12, s24
	s_cbranch_scc1 .LBB1298_2
; %bb.5:
	s_clause 0x1
	s_load_b128 s[20:23], s[0:1], 0x8
	s_load_b64 s[2:3], s[0:1], 0x20
	s_and_not1_b32 vcc_lo, exec_lo, s8
	s_cbranch_vccnz .LBB1298_7
; %bb.6:
	s_add_u32 s4, s4, s6
	s_addc_u32 s5, s5, s7
	s_load_b32 s5, s[4:5], 0x0
	s_branch .LBB1298_8
.LBB1298_7:
	s_mov_b32 s5, s34
.LBB1298_8:
	s_load_b128 s[16:19], s[0:1], 0x48
	v_and_b32_e32 v68, 15, v0
	v_lshrrev_b32_e32 v69, 5, v0
	v_bfe_u32 v66, v0, 4, 1
	v_and_b32_e32 v70, 31, v0
	v_and_b32_e32 v67, 1, v0
	v_lshlrev_b32_e32 v2, 3, v68
	s_mul_i32 s31, s15, 5
	v_lshl_or_b32 v1, v69, 1, v66
	s_mov_b32 s4, exec_lo
	s_delay_alu instid0(VALU_DEP_2) | instskip(NEXT) | instid1(VALU_DEP_2)
	v_lshlrev_b32_e32 v65, 1, v2
	v_cmpx_gt_u32_e32 5, v1
	s_cbranch_execz .LBB1298_10
; %bb.9:
	s_load_b64 s[6:7], s[0:1], 0x0
	v_add_lshl_u32 v2, v1, s31, 7
	s_waitcnt lgkmcnt(0)
	s_mul_hi_i32 s9, s5, s16
	s_mul_i32 s8, s5, s16
	v_lshlrev_b32_e32 v6, 10, v68
	s_lshl_b64 s[8:9], s[8:9], 1
	v_ashrrev_i32_e32 v3, 31, v2
	v_lshlrev_b32_e32 v1, 6, v1
	v_lshlrev_b32_e32 v7, 10, v67
	v_and_b32_e32 v6, 0x3800, v6
	s_delay_alu instid0(VALU_DEP_4) | instskip(NEXT) | instid1(VALU_DEP_2)
	v_lshlrev_b64 v[2:3], 1, v[2:3]
	v_or3_b32 v1, v6, v7, v1
	s_add_u32 s5, s6, s8
	s_addc_u32 s6, s7, s9
	s_delay_alu instid0(VALU_DEP_2) | instskip(NEXT) | instid1(VALU_DEP_3)
	v_add_co_u32 v2, vcc_lo, s5, v2
	v_add_co_ci_u32_e32 v3, vcc_lo, s6, v3, vcc_lo
	s_delay_alu instid0(VALU_DEP_2) | instskip(NEXT) | instid1(VALU_DEP_2)
	v_add_co_u32 v2, vcc_lo, v2, v65
	v_add_co_ci_u32_e32 v3, vcc_lo, 0, v3, vcc_lo
	global_load_b128 v[2:5], v[2:3], off
	s_waitcnt vmcnt(0)
	ds_store_b128 v1, v[2:5]
.LBB1298_10:
	s_or_b32 exec_lo, exec_lo, s4
	v_and_b32_e32 v1, 0xef, v0
	s_waitcnt lgkmcnt(0)
	s_add_i32 s5, s24, 31
	s_clause 0x1
	s_load_b32 s4, s[0:1], 0x38
	s_load_b32 s33, s[0:1], 0x98
	s_ashr_i32 s6, s5, 31
	v_add_nc_u32_e32 v1, s12, v1
	s_lshr_b32 s6, s6, 27
	s_load_b32 s19, s[0:1], 0x1c
	s_add_i32 s5, s5, s6
	s_waitcnt lgkmcnt(0)
	v_ashrrev_i32_e32 v2, 31, v1
	v_or_b32_e32 v3, 16, v1
	s_ashr_i32 s13, s5, 5
	v_cmp_gt_i32_e32 vcc_lo, s24, v1
	s_add_i32 s13, s13, -1
	v_lshrrev_b32_e32 v2, 27, v2
	s_barrier
	buffer_gl0_inv
	s_mul_i32 s15, s15, s18
	v_add_nc_u32_e32 v4, v1, v2
	s_mul_i32 s4, s34, s4
	s_delay_alu instid0(SALU_CYCLE_1) | instskip(NEXT) | instid1(VALU_DEP_1)
	s_ashr_i32 s5, s4, 31
	v_ashrrev_i32_e32 v4, 5, v4
	v_add_nc_u32_e32 v2, v3, v2
	s_lshl_b64 s[4:5], s[4:5], 2
	s_delay_alu instid0(SALU_CYCLE_1) | instskip(NEXT) | instid1(VALU_DEP_2)
	s_add_u32 s16, s2, s4
	v_cndmask_b32_e32 v1, s13, v4, vcc_lo
	s_delay_alu instid0(VALU_DEP_2)
	v_ashrrev_i32_e32 v2, 5, v2
	v_cmp_gt_i32_e32 vcc_lo, s24, v3
	s_addc_u32 s25, s3, s5
	s_ashr_i32 s18, s15, 31
	s_add_u32 s2, s20, s15
	s_addc_u32 s3, s21, s18
	v_cndmask_b32_e32 v3, s13, v2, vcc_lo
	v_ashrrev_i32_e32 v2, 31, v1
	s_lshl_b32 s4, s14, 3
	s_delay_alu instid0(SALU_CYCLE_1) | instskip(NEXT) | instid1(VALU_DEP_2)
	s_ashr_i32 s5, s4, 31
	v_ashrrev_i32_e32 v4, 31, v3
	s_delay_alu instid0(VALU_DEP_2) | instskip(SKIP_1) | instid1(SALU_CYCLE_1)
	v_lshlrev_b64 v[1:2], 2, v[1:2]
	s_lshl_b64 s[4:5], s[4:5], 2
	s_add_u32 s4, s16, s4
	s_delay_alu instid0(VALU_DEP_2) | instskip(SKIP_1) | instid1(VALU_DEP_2)
	v_lshlrev_b64 v[3:4], 2, v[3:4]
	s_addc_u32 s5, s25, s5
	v_add_co_u32 v1, vcc_lo, s16, v1
	v_add_co_ci_u32_e32 v2, vcc_lo, s25, v2, vcc_lo
	s_delay_alu instid0(VALU_DEP_3) | instskip(NEXT) | instid1(VALU_DEP_4)
	v_add_co_u32 v3, vcc_lo, s16, v3
	v_add_co_ci_u32_e32 v4, vcc_lo, s25, v4, vcc_lo
	s_clause 0x1
	global_load_b32 v5, v[1:2], off
	global_load_b32 v6, v[3:4], off
	s_or_b32 s6, s12, 32
	s_delay_alu instid0(SALU_CYCLE_1) | instskip(SKIP_2) | instid1(SALU_CYCLE_1)
	s_ashr_i32 s7, s6, 5
	s_cmp_lt_i32 s6, s24
	s_cselect_b32 s6, s7, s13
	s_ashr_i32 s7, s6, 31
	s_delay_alu instid0(SALU_CYCLE_1) | instskip(NEXT) | instid1(SALU_CYCLE_1)
	s_lshl_b64 s[6:7], s[6:7], 2
	s_add_u32 s6, s16, s6
	s_addc_u32 s7, s25, s7
	s_or_b32 s8, s12, 64
	s_delay_alu instid0(SALU_CYCLE_1) | instskip(SKIP_2) | instid1(SALU_CYCLE_1)
	s_ashr_i32 s9, s8, 5
	s_cmp_lt_i32 s8, s24
	s_cselect_b32 s8, s9, s13
	s_ashr_i32 s9, s8, 31
	s_delay_alu instid0(SALU_CYCLE_1) | instskip(NEXT) | instid1(SALU_CYCLE_1)
	s_lshl_b64 s[8:9], s[8:9], 2
	s_add_u32 s8, s16, s8
	s_addc_u32 s9, s25, s9
	;; [unrolled: 10-line block ×5, first 2 shown]
	s_clause 0x5
	s_load_b32 s28, s[4:5], 0x0
	s_load_b32 s29, s[6:7], 0x0
	;; [unrolled: 1-line block ×6, first 2 shown]
	s_mov_b32 s4, 0
	s_delay_alu instid0(SALU_CYCLE_1)
	s_mov_b32 s5, s4
	s_mov_b32 s6, s4
	;; [unrolled: 1-line block ×7, first 2 shown]
	s_delay_alu instid0(SALU_CYCLE_1)
	v_dual_mov_b32 v118, s11 :: v_dual_mov_b32 v117, s10
	v_dual_mov_b32 v116, s9 :: v_dual_mov_b32 v115, s8
	v_mov_b32_e32 v113, s6
	v_dual_mov_b32 v111, s4 :: v_dual_mov_b32 v114, s7
	v_mov_b32_e32 v112, s5
	s_waitcnt vmcnt(1)
	v_mad_i64_i32 v[1:2], null, v5, s17, s[2:3]
	v_lshlrev_b32_e32 v5, 4, v68
	s_waitcnt vmcnt(0)
	v_mad_i64_i32 v[3:4], null, v6, s17, s[2:3]
	s_or_b32 s2, s12, 0xc0
	s_delay_alu instid0(SALU_CYCLE_1) | instskip(NEXT) | instid1(VALU_DEP_3)
	s_ashr_i32 s3, s2, 5
	v_add_co_u32 v1, vcc_lo, v1, v5
	s_delay_alu instid0(VALU_DEP_4) | instskip(NEXT) | instid1(VALU_DEP_3)
	v_add_co_ci_u32_e32 v2, vcc_lo, 0, v2, vcc_lo
	v_add_co_u32 v3, vcc_lo, v3, v5
	s_delay_alu instid0(VALU_DEP_4)
	v_add_co_ci_u32_e32 v4, vcc_lo, 0, v4, vcc_lo
	s_clause 0xf
	global_load_b128 v[17:20], v[1:2], off
	global_load_b128 v[21:24], v[1:2], off offset:512
	global_load_b128 v[25:28], v[3:4], off offset:256
	;; [unrolled: 1-line block ×15, first 2 shown]
	v_mul_lo_u16 v1, v68, 52
	s_cmp_lt_i32 s2, s24
	v_lshlrev_b32_e32 v2, 5, v68
	s_cselect_b32 s2, s3, s13
	s_delay_alu instid0(VALU_DEP_2) | instskip(SKIP_1) | instid1(SALU_CYCLE_1)
	v_lshrrev_b16 v1, 8, v1
	s_ashr_i32 s3, s2, 31
	s_lshl_b64 s[2:3], s[2:3], 2
	s_delay_alu instid0(VALU_DEP_1) | instskip(SKIP_3) | instid1(VALU_DEP_1)
	v_mul_lo_u16 v1, v1, 5
	s_add_u32 s2, s16, s2
	s_addc_u32 s3, s25, s3
	s_or_b32 s20, s12, 0xe0
	v_sub_nc_u16 v1, v68, v1
	s_ashr_i32 s21, s20, 5
	s_cmp_lt_i32 s20, s24
	s_cselect_b32 s20, s21, s13
	s_delay_alu instid0(VALU_DEP_1) | instskip(SKIP_1) | instid1(SALU_CYCLE_1)
	v_and_b32_e32 v1, 0xff, v1
	s_ashr_i32 s21, s20, 31
	s_lshl_b64 s[4:5], s[20:21], 2
	s_delay_alu instid0(VALU_DEP_1)
	v_lshlrev_b32_e32 v149, 6, v1
	s_add_u32 s4, s16, s4
	s_addc_u32 s5, s25, s5
	v_lshl_or_b32 v1, v69, 9, v2
	ds_load_b128 v[119:122], v149
	ds_load_b128 v[123:126], v149 offset:1024
	ds_load_b128 v[127:130], v149 offset:2048
	;; [unrolled: 1-line block ×3, first 2 shown]
	s_clause 0x1
	s_load_b32 s2, s[2:3], 0x0
	s_load_b32 s3, s[4:5], 0x0
	s_add_u32 s6, s22, s15
	s_addc_u32 s7, s23, s18
	v_add_co_u32 v135, s6, s6, v1
	s_delay_alu instid0(VALU_DEP_1) | instskip(SKIP_1) | instid1(VALU_DEP_1)
	v_add_co_ci_u32_e64 v136, null, s7, 0, s6
	s_waitcnt lgkmcnt(0)
	v_mad_i64_i32 v[1:2], null, s28, s17, v[135:136]
	v_mad_i64_i32 v[3:4], null, s29, s17, v[135:136]
	;; [unrolled: 1-line block ×6, first 2 shown]
	s_clause 0x9
	global_load_b128 v[49:52], v[1:2], off
	global_load_b128 v[53:56], v[1:2], off offset:16
	global_load_b128 v[41:44], v[3:4], off
	global_load_b128 v[45:48], v[3:4], off offset:16
	;; [unrolled: 2-line block ×5, first 2 shown]
	v_mad_i64_i32 v[145:146], null, s2, s17, v[135:136]
	v_mad_i64_i32 v[147:148], null, s3, s17, v[135:136]
	s_waitcnt vmcnt(24)
	v_wmma_f32_16x16x16_f16 v[135:142], v[17:24], v[119:126], v[111:118]
	s_waitcnt vmcnt(22)
	v_wmma_f32_16x16x16_f16 v[111:118], v[25:32], v[119:126], v[111:118]
	s_clause 0x3
	global_load_b128 v[17:20], v[143:144], off
	global_load_b128 v[21:24], v[143:144], off offset:16
	global_load_b128 v[25:28], v[145:146], off
	global_load_b128 v[29:32], v[145:146], off offset:16
	v_and_b32_e32 v119, 0xe0, v0
	s_waitcnt vmcnt(24)
	v_wmma_f32_16x16x16_f16 v[135:142], v[57:64], v[127:134], v[135:142]
	s_clause 0x1
	global_load_b128 v[57:60], v[147:148], off
	global_load_b128 v[61:64], v[147:148], off offset:16
	s_waitcnt vmcnt(24)
	v_wmma_f32_16x16x16_f16 v[111:118], v[71:78], v[127:134], v[111:118]
	ds_load_b128 v[71:74], v149 offset:4096
	ds_load_b128 v[75:78], v149 offset:5120
	v_add_nc_u32_e32 v128, s12, v119
	ds_load_b128 v[119:122], v149 offset:6144
	ds_load_b128 v[123:126], v149 offset:7168
	v_mbcnt_lo_u32_b32 v127, -1, 0
	s_waitcnt vmcnt(0) lgkmcnt(0)
	s_barrier
	v_or_b32_e32 v128, v128, v66
	buffer_gl0_inv
	v_xor_b32_e32 v129, 16, v127
	v_or_b32_e32 v130, 4, v128
	v_or_b32_e32 v131, 6, v128
	s_delay_alu instid0(VALU_DEP_3) | instskip(SKIP_4) | instid1(VALU_DEP_4)
	v_cmp_gt_i32_e32 vcc_lo, 32, v129
	v_or_b32_e32 v132, 8, v128
	v_or_b32_e32 v133, 10, v128
	v_cmp_gt_i32_e64 s3, s24, v130
	v_cmp_gt_i32_e64 s4, s24, v131
	;; [unrolled: 1-line block ×3, first 2 shown]
	v_wmma_f32_16x16x16_f16 v[135:142], v[79:86], v[71:78], v[135:142]
	v_wmma_f32_16x16x16_f16 v[111:118], v[87:94], v[71:78], v[111:118]
	v_or_b32_e32 v79, 12, v128
	v_or_b32_e32 v80, 14, v128
	v_cmp_gt_i32_e64 s6, s24, v133
	v_wmma_f32_16x16x16_f16 v[135:142], v[95:102], v[119:126], v[135:142]
	v_cndmask_b32_e32 v127, v127, v129, vcc_lo
	v_or_b32_e32 v129, 2, v128
	v_wmma_f32_16x16x16_f16 v[111:118], v[103:110], v[119:126], v[111:118]
	v_cmp_gt_i32_e32 vcc_lo, s24, v128
	v_dual_mul_f32 v88, s19, v135 :: v_dual_mul_f32 v87, s19, v136
	s_delay_alu instid0(VALU_DEP_4) | instskip(NEXT) | instid1(VALU_DEP_4)
	v_cmp_gt_i32_e64 s2, s24, v129
	v_mul_f32_e32 v94, s19, v113
	v_mul_f32_e32 v78, s19, v138
	;; [unrolled: 1-line block ×3, first 2 shown]
	v_cndmask_b32_e32 v88, 0xff7fffff, v88, vcc_lo
	v_cndmask_b32_e64 v87, 0xff7fffff, v87, s2
	v_dual_mul_f32 v76, s19, v140 :: v_dual_mul_f32 v77, s19, v139
	v_mul_f32_e32 v90, s19, v117
	v_cndmask_b32_e64 v86, 0xff7fffff, v86, s3
	v_cndmask_b32_e64 v78, 0xff7fffff, v78, s4
	v_max3_f32 v87, v88, 0xff7fffff, v87
	v_or_b32_e32 v81, 16, v128
	v_or_b32_e32 v82, 18, v128
	v_dual_mul_f32 v74, s19, v142 :: v_dual_mul_f32 v75, s19, v141
	v_mul_f32_e32 v92, s19, v115
	v_cndmask_b32_e64 v77, 0xff7fffff, v77, s5
	v_cndmask_b32_e64 v76, 0xff7fffff, v76, s6
	v_max3_f32 v78, v87, v86, v78
	v_cmp_gt_i32_e64 s7, s24, v79
	v_cmp_gt_i32_e64 s8, s24, v80
	v_or_b32_e32 v83, 20, v128
	v_or_b32_e32 v84, 22, v128
	v_dual_mul_f32 v89, s19, v118 :: v_dual_mul_f32 v96, s19, v111
	v_mul_f32_e32 v95, s19, v112
	v_cndmask_b32_e64 v75, 0xff7fffff, v75, s7
	v_cndmask_b32_e64 v74, 0xff7fffff, v74, s8
	v_max3_f32 v76, v78, v77, v76
	v_cmp_gt_i32_e64 s9, s24, v81
	v_cmp_gt_i32_e64 s10, s24, v82
	v_or_b32_e32 v85, 24, v128
	v_or_b32_e32 v71, 26, v128
	v_mul_f32_e32 v93, s19, v114
	v_cndmask_b32_e64 v77, 0xff7fffff, v96, s9
	v_cndmask_b32_e64 v78, 0xff7fffff, v95, s10
	v_max3_f32 v74, v76, v75, v74
	v_cmp_gt_i32_e64 s11, s24, v83
	v_cmp_gt_i32_e64 s12, s24, v84
	v_or_b32_e32 v72, 28, v128
	v_or_b32_e32 v73, 30, v128
	v_mul_f32_e32 v91, s19, v116
	v_cndmask_b32_e64 v75, 0xff7fffff, v94, s11
	v_cndmask_b32_e64 v76, 0xff7fffff, v93, s12
	v_max3_f32 v74, v74, v77, v78
	v_cmp_gt_i32_e64 s13, s24, v85
	v_cmp_gt_i32_e64 s15, s24, v71
	;; [unrolled: 1-line block ×4, first 2 shown]
	v_max3_f32 v74, v74, v75, v76
	v_cndmask_b32_e64 v77, 0xff7fffff, v92, s13
	v_cndmask_b32_e64 v71, 0xff7fffff, v91, s15
	;; [unrolled: 1-line block ×4, first 2 shown]
	s_delay_alu instid0(VALU_DEP_3) | instskip(SKIP_1) | instid1(VALU_DEP_2)
	v_max3_f32 v71, v74, v77, v71
	v_lshlrev_b32_e32 v74, 2, v127
	v_max3_f32 v71, v71, v72, v73
	ds_bpermute_b32 v72, v74, v71
	s_waitcnt lgkmcnt(0)
	v_max_f32_e32 v72, v72, v72
	s_delay_alu instid0(VALU_DEP_1) | instskip(NEXT) | instid1(VALU_DEP_1)
	v_max_f32_e32 v71, v71, v72
	v_fma_f32 v75, s19, v137, -v71
	v_fma_f32 v76, s19, v138, -v71
	;; [unrolled: 1-line block ×5, first 2 shown]
	s_delay_alu instid0(VALU_DEP_4) | instskip(NEXT) | instid1(VALU_DEP_4)
	v_dual_mul_f32 v75, 0x3fb8aa3b, v75 :: v_dual_mul_f32 v76, 0x3fb8aa3b, v76
	v_mul_f32_e32 v72, 0x3fb8aa3b, v72
	v_fma_f32 v77, s19, v139, -v71
	s_delay_alu instid0(VALU_DEP_4) | instskip(NEXT) | instid1(VALU_DEP_4)
	v_mul_f32_e32 v73, 0x3fb8aa3b, v73
	v_exp_f32_e32 v75, v75
	v_exp_f32_e32 v76, v76
	;; [unrolled: 1-line block ×3, first 2 shown]
	s_delay_alu instid0(VALU_DEP_1) | instskip(SKIP_2) | instid1(TRANS32_DEP_3)
	v_exp_f32_e32 v73, v73
	v_cndmask_b32_e64 v81, 0, v75, s3
	v_mul_f32_e32 v82, 0x3fb8aa3b, v80
	v_cndmask_b32_e64 v80, 0, v76, s4
	s_waitcnt_depctr 0xfff
	v_cndmask_b32_e64 v78, 0, v73, s2
	v_cmp_gt_u32_e64 s2, 16, v70
	v_exp_f32_e32 v84, v82
	s_waitcnt_depctr 0xfff
	v_cndmask_b32_e64 v85, 0, v84, s7
	v_cndmask_b32_e32 v79, 0, v72, vcc_lo
	v_fma_f32 v72, s19, v140, -v71
	v_mul_f32_e32 v77, 0x3fb8aa3b, v77
	s_delay_alu instid0(VALU_DEP_2) | instskip(NEXT) | instid1(VALU_DEP_2)
	v_dual_add_f32 v73, 0, v79 :: v_dual_mul_f32 v72, 0x3fb8aa3b, v72
	v_exp_f32_e32 v77, v77
	s_delay_alu instid0(VALU_DEP_1) | instskip(NEXT) | instid1(VALU_DEP_2)
	v_add_f32_e32 v73, v73, v78
	v_exp_f32_e32 v72, v72
	s_delay_alu instid0(VALU_DEP_1) | instskip(SKIP_4) | instid1(VALU_DEP_2)
	v_add_f32_e32 v73, v73, v81
	s_waitcnt_depctr 0xfff
	v_cndmask_b32_e64 v83, 0, v77, s5
	v_add_f32_e32 v73, v73, v80
	v_cndmask_b32_e64 v82, 0, v72, s6
	v_add_f32_e32 v72, v73, v83
	s_delay_alu instid0(VALU_DEP_1)
	v_add_f32_e32 v72, v72, v82
	v_fma_f32 v75, s19, v142, -v71
	v_fma_f32 v76, s19, v111, -v71
	;; [unrolled: 1-line block ×5, first 2 shown]
	s_delay_alu instid0(VALU_DEP_4) | instskip(NEXT) | instid1(VALU_DEP_4)
	v_dual_mul_f32 v75, 0x3fb8aa3b, v75 :: v_dual_mul_f32 v76, 0x3fb8aa3b, v76
	v_mul_f32_e32 v86, 0x3fb8aa3b, v86
	v_add_f32_e32 v72, v72, v85
	s_delay_alu instid0(VALU_DEP_3) | instskip(NEXT) | instid1(VALU_DEP_3)
	v_exp_f32_e32 v75, v75
	v_exp_f32_e32 v76, v76
	s_delay_alu instid0(VALU_DEP_2) | instskip(NEXT) | instid1(TRANS32_DEP_3)
	v_exp_f32_e32 v88, v86
	v_cndmask_b32_e64 v84, 0, v75, s8
	v_mul_f32_e32 v77, 0x3fb8aa3b, v77
	s_waitcnt_depctr 0xfff
	v_cndmask_b32_e64 v87, 0, v76, s9
	v_fma_f32 v76, s19, v116, -v71
	v_dual_mul_f32 v73, 0x3fb8aa3b, v73 :: v_dual_add_f32 v72, v72, v84
	v_exp_f32_e32 v77, v77
	v_fma_f32 v75, s19, v115, -v71
	s_delay_alu instid0(VALU_DEP_3) | instskip(NEXT) | instid1(VALU_DEP_3)
	v_mul_f32_e32 v76, 0x3fb8aa3b, v76
	v_exp_f32_e32 v73, v73
	v_add_f32_e32 v72, v72, v87
	v_cndmask_b32_e64 v88, 0, v88, s12
	s_delay_alu instid0(VALU_DEP_3) | instskip(NEXT) | instid1(TRANS32_DEP_3)
	v_exp_f32_e32 v76, v76
	v_cndmask_b32_e64 v86, 0, v77, s10
	v_mul_f32_e32 v75, 0x3fb8aa3b, v75
	v_fma_f32 v77, s19, v117, -v71
	s_delay_alu instid0(TRANS32_DEP_2) | instskip(NEXT) | instid1(VALU_DEP_4)
	v_cndmask_b32_e64 v89, 0, v73, s11
	v_add_f32_e32 v72, v72, v86
	s_delay_alu instid0(VALU_DEP_4) | instskip(NEXT) | instid1(TRANS32_DEP_2)
	v_exp_f32_e32 v75, v75
	v_cndmask_b32_e64 v90, 0, v76, s15
	s_delay_alu instid0(VALU_DEP_2) | instskip(SKIP_2) | instid1(VALU_DEP_3)
	v_add_f32_e32 v72, v72, v89
	v_mul_f32_e32 v73, 0x3fb8aa3b, v77
	v_fma_f32 v77, s19, v118, -v71
	v_add_f32_e32 v72, v72, v88
	s_delay_alu instid0(VALU_DEP_3) | instskip(NEXT) | instid1(TRANS32_DEP_2)
	v_exp_f32_e32 v73, v73
	v_cndmask_b32_e64 v91, 0, v75, s13
	s_delay_alu instid0(VALU_DEP_1) | instskip(NEXT) | instid1(VALU_DEP_1)
	v_dual_mul_f32 v75, 0x3fb8aa3b, v77 :: v_dual_add_f32 v72, v72, v91
	v_exp_f32_e32 v75, v75
	s_waitcnt_depctr 0xfff
	v_cndmask_b32_e64 v93, 0, v73, s16
	v_add_f32_e32 v72, v72, v90
	s_delay_alu instid0(VALU_DEP_1) | instskip(SKIP_1) | instid1(VALU_DEP_1)
	v_add_f32_e32 v72, v72, v93
	v_cndmask_b32_e64 v92, 0, v75, s17
	v_add_f32_e32 v72, v72, v92
	ds_bpermute_b32 v73, v74, v72
	s_and_saveexec_b32 s3, s2
	s_cbranch_execz .LBB1298_12
; %bb.11:
	v_mul_u32_u24_e32 v70, 0x44, v69
	s_waitcnt lgkmcnt(0)
	v_add_f32_e32 v72, v72, v73
	s_delay_alu instid0(VALU_DEP_2) | instskip(NEXT) | instid1(VALU_DEP_1)
	v_lshl_add_u32 v70, v68, 2, v70
	v_add_nc_u32_e32 v70, 0x4000, v70
	ds_store_2addr_b32 v70, v71, v72 offset1:136
.LBB1298_12:
	s_or_b32 exec_lo, exec_lo, s3
	v_lshlrev_b32_e32 v70, 2, v68
	s_load_b32 s35, s[0:1], 0x94
	s_waitcnt lgkmcnt(0)
	s_barrier
	buffer_gl0_inv
	v_add_nc_u32_e32 v98, 0x4000, v70
	v_cmp_eq_u32_e32 vcc_lo, 1, v69
	v_cmp_eq_u32_e64 s3, 2, v69
	v_cmp_eq_u32_e64 s4, 3, v69
	;; [unrolled: 1-line block ×3, first 2 shown]
	ds_load_2addr_b32 v[70:71], v98 offset1:17
	ds_load_2addr_b32 v[72:73], v98 offset0:34 offset1:51
	ds_load_2addr_b32 v[74:75], v98 offset0:68 offset1:85
	;; [unrolled: 1-line block ×3, first 2 shown]
	v_cmp_eq_u32_e64 s6, 5, v69
	v_cmp_eq_u32_e64 s7, 7, v69
	s_waitcnt lgkmcnt(3)
	v_max3_f32 v76, v70, 0xff7fffff, v71
	s_waitcnt lgkmcnt(2)
	s_delay_alu instid0(VALU_DEP_1) | instskip(SKIP_1) | instid1(VALU_DEP_1)
	v_max3_f32 v76, v76, v72, v73
	s_waitcnt lgkmcnt(1)
	v_max3_f32 v76, v76, v74, v75
	s_waitcnt lgkmcnt(0)
	s_delay_alu instid0(VALU_DEP_1) | instskip(NEXT) | instid1(VALU_DEP_1)
	v_max3_f32 v76, v76, v94, v95
	v_sub_f32_e32 v77, v71, v76
	ds_load_2addr_b32 v[96:97], v98 offset0:136 offset1:153
	v_sub_f32_e32 v74, v74, v76
	v_sub_f32_e32 v70, v70, v76
	;; [unrolled: 1-line block ×3, first 2 shown]
	v_dual_sub_f32 v72, v72, v76 :: v_dual_mul_f32 v77, 0x3fb8aa3b, v77
	s_delay_alu instid0(VALU_DEP_4) | instskip(NEXT) | instid1(VALU_DEP_4)
	v_mul_f32_e32 v103, 0x3fb8aa3b, v74
	v_mul_f32_e32 v99, 0x3fb8aa3b, v70
	ds_load_2addr_b32 v[70:71], v98 offset0:170 offset1:187
	v_dual_mul_f32 v101, 0x3fb8aa3b, v72 :: v_dual_mul_f32 v94, 0x3fb8aa3b, v94
	v_exp_f32_e32 v102, v77
	v_exp_f32_e32 v99, v99
	s_delay_alu instid0(VALU_DEP_1) | instskip(NEXT) | instid1(VALU_DEP_1)
	v_exp_f32_e32 v101, v101
	v_exp_f32_e32 v94, v94
	s_waitcnt lgkmcnt(1)
	s_delay_alu instid0(TRANS32_DEP_3)
	v_fma_f32 v77, v99, v96, 0
	v_sub_f32_e32 v100, v73, v76
	ds_load_2addr_b32 v[72:73], v98 offset0:204 offset1:221
	v_fmac_f32_e32 v77, v102, v97
	v_exp_f32_e32 v97, v103
	s_waitcnt lgkmcnt(1)
	s_delay_alu instid0(VALU_DEP_1)
	v_dual_fmac_f32 v77, v101, v70 :: v_dual_sub_f32 v96, v75, v76
	ds_load_2addr_b32 v[74:75], v98 offset0:238 offset1:255
	v_sub_f32_e32 v70, v95, v76
	s_waitcnt lgkmcnt(0)
	s_barrier
	v_mul_f32_e32 v96, 0x3fb8aa3b, v96
	buffer_gl0_inv
	v_exp_f32_e32 v95, v96
	v_mul_f32_e32 v100, 0x3fb8aa3b, v100
	s_delay_alu instid0(VALU_DEP_1) | instskip(SKIP_3) | instid1(VALU_DEP_2)
	v_exp_f32_e32 v100, v100
	s_waitcnt_depctr 0xfff
	v_dual_fmac_f32 v77, v100, v71 :: v_dual_mul_f32 v70, 0x3fb8aa3b, v70
	v_cndmask_b32_e32 v71, v99, v102, vcc_lo
	v_fmac_f32_e32 v77, v97, v72
	s_delay_alu instid0(VALU_DEP_3) | instskip(NEXT) | instid1(VALU_DEP_1)
	v_exp_f32_e32 v96, v70
	v_fmac_f32_e32 v77, v95, v73
	s_delay_alu instid0(VALU_DEP_1) | instskip(SKIP_2) | instid1(VALU_DEP_1)
	v_fmac_f32_e32 v77, v94, v74
	s_waitcnt_depctr 0xfff
	v_fmac_f32_e32 v77, v96, v75
	v_add_f32_e32 v74, 0x358637bd, v77
	s_delay_alu instid0(VALU_DEP_1) | instskip(SKIP_1) | instid1(VALU_DEP_2)
	v_div_scale_f32 v98, null, v74, v74, 1.0
	v_div_scale_f32 v99, vcc_lo, 1.0, v74, 1.0
	v_rcp_f32_e32 v103, v98
	s_waitcnt_depctr 0xfff
	v_fma_f32 v70, -v98, v103, 1.0
	s_delay_alu instid0(VALU_DEP_1) | instskip(SKIP_2) | instid1(VALU_DEP_2)
	v_fmac_f32_e32 v103, v70, v103
	v_cndmask_b32_e64 v70, v71, v101, s3
	v_cmp_eq_u32_e64 s3, 6, v69
	v_cndmask_b32_e64 v71, v70, v100, s4
	s_delay_alu instid0(VALU_DEP_4) | instskip(NEXT) | instid1(VALU_DEP_2)
	v_dual_mul_f32 v101, v99, v103 :: v_dual_lshlrev_b32 v70, 2, v66
	v_cndmask_b32_e64 v71, v71, v97, s5
	s_delay_alu instid0(VALU_DEP_2) | instskip(NEXT) | instid1(VALU_DEP_3)
	v_or_b32_e32 v72, 1, v70
	v_fma_f32 v100, -v98, v101, v99
	v_cmp_eq_u32_e64 s4, 1, v70
	v_cmp_eq_u32_e64 s5, 2, v70
	v_cndmask_b32_e64 v95, v71, v95, s6
	v_or_b32_e32 v71, 3, v70
	v_fmac_f32_e32 v101, v100, v103
	v_cmp_eq_u32_e64 s9, 1, v72
	v_cmp_eq_u32_e64 s12, 2, v72
	v_cndmask_b32_e64 v94, v95, v94, s3
	v_cmp_eq_u32_e64 s11, 1, v71
	v_fma_f32 v97, -v98, v101, v99
	v_cmp_eq_u32_e64 s16, 2, v71
	v_cmp_eq_u32_e64 s13, 3, v72
	v_cndmask_b32_e64 v94, v94, v96, s7
	v_cmp_eq_u32_e64 s18, 3, v71
	v_div_fmas_f32 v95, v97, v103, v101
	v_cmp_eq_u32_e32 vcc_lo, 3, v70
	v_cmp_eq_u32_e64 s3, 4, v70
	v_cmp_eq_u32_e64 s19, 4, v72
	;; [unrolled: 1-line block ×3, first 2 shown]
	v_div_fixup_f32 v95, v95, v74, 1.0
	v_lshlrev_b32_e32 v73, 6, v68
	v_cmp_eq_u32_e64 s6, 5, v70
	v_cmp_eq_u32_e64 s20, 5, v72
	;; [unrolled: 1-line block ×3, first 2 shown]
	v_mul_f32_e32 v102, v94, v95
	v_lshl_or_b32 v75, v69, 11, v73
	v_or_b32_e32 v69, 2, v70
	v_cmp_eq_u32_e64 s25, 6, v72
	v_cmp_eq_u32_e64 s27, 6, v71
	v_fma_mixlo_f16 v94, v102, v79, 0
	v_fma_mixlo_f16 v95, v102, v81, 0
	;; [unrolled: 1-line block ×8, first 2 shown]
	v_lshl_or_b32 v74, v66, 4, v75
	v_fma_mixhi_f16 v94, v102, v78, 0
	v_fma_mixhi_f16 v95, v102, v80, 0
	;; [unrolled: 1-line block ×8, first 2 shown]
	ds_store_b128 v74, v[94:97]
	ds_store_b128 v74, v[98:101] offset:1024
	s_waitcnt lgkmcnt(0)
	s_barrier
	buffer_gl0_inv
	ds_load_b128 v[78:81], v75
	ds_load_b128 v[82:85], v75 offset:16
	ds_load_b128 v[86:89], v75 offset:1024
	;; [unrolled: 1-line block ×3, first 2 shown]
	v_cmp_eq_u32_e64 s10, 1, v69
	v_cmp_eq_u32_e64 s15, 2, v69
	;; [unrolled: 1-line block ×11, first 2 shown]
	s_waitcnt lgkmcnt(3)
	v_lshrrev_b32_e32 v94, 16, v78
	s_waitcnt lgkmcnt(2)
	v_lshrrev_b32_e32 v98, 16, v82
	;; [unrolled: 2-line block ×4, first 2 shown]
	v_lshrrev_b32_e32 v95, 16, v79
	v_cndmask_b32_e64 v110, v78, v94, s4
	v_cndmask_b32_e64 v111, v82, v98, s4
	;; [unrolled: 1-line block ×8, first 2 shown]
	v_lshrrev_b32_e32 v99, 16, v83
	v_cndmask_b32_e64 v94, v86, v102, s4
	v_cndmask_b32_e64 v98, v90, v106, s4
	;; [unrolled: 1-line block ×15, first 2 shown]
	v_lshrrev_b32_e32 v103, 16, v87
	v_lshrrev_b32_e32 v107, 16, v91
	v_cndmask_b32_e64 v113, v115, v83, s15
	v_cndmask_b32_e64 v82, v94, v87, s5
	;; [unrolled: 1-line block ×7, first 2 shown]
	v_cndmask_b32_e32 v90, v102, v95, vcc_lo
	v_cndmask_b32_e32 v102, v106, v99, vcc_lo
	v_cndmask_b32_e64 v106, v110, v95, s13
	v_cndmask_b32_e64 v110, v111, v99, s13
	;; [unrolled: 1-line block ×4, first 2 shown]
	v_lshrrev_b32_e32 v96, 16, v80
	v_lshrrev_b32_e32 v100, 16, v84
	v_cndmask_b32_e64 v111, v112, v95, s17
	v_cndmask_b32_e64 v112, v113, v99, s17
	v_cndmask_b32_e32 v82, v82, v103, vcc_lo
	v_cndmask_b32_e32 v83, v83, v107, vcc_lo
	v_cndmask_b32_e64 v94, v94, v103, s13
	v_cndmask_b32_e64 v90, v90, v80, s3
	;; [unrolled: 1-line block ×7, first 2 shown]
	v_lshrrev_b32_e32 v104, 16, v88
	v_cndmask_b32_e64 v106, v111, v80, s21
	v_cndmask_b32_e64 v110, v112, v84, s21
	v_cndmask_b32_e64 v80, v82, v88, s3
	v_cndmask_b32_e64 v82, v83, v92, s3
	v_cndmask_b32_e64 v83, v94, v88, s19
	v_cndmask_b32_e64 v84, v90, v96, s6
	v_cndmask_b32_e64 v90, v95, v100, s6
	v_cndmask_b32_e64 v94, v99, v96, s20
	v_cndmask_b32_e64 v95, v102, v100, s20
	v_cndmask_b32_e64 v78, v78, v96, s24
	v_cndmask_b32_e64 v79, v79, v100, s24
	v_lshrrev_b32_e32 v97, 16, v81
	v_lshrrev_b32_e32 v101, 16, v85
	v_cndmask_b32_e64 v99, v106, v96, s23
	v_cndmask_b32_e64 v102, v110, v100, s23
	;; [unrolled: 1-line block ×7, first 2 shown]
	v_lshrrev_b32_e32 v105, 16, v89
	v_cndmask_b32_e64 v80, v80, v104, s6
	v_cndmask_b32_e64 v84, v84, v81, s7
	v_cndmask_b32_e64 v90, v90, v85, s7
	v_cndmask_b32_e64 v96, v99, v81, s26
	v_cndmask_b32_e64 v99, v102, v85, s26
	v_cndmask_b32_e64 v81, v83, v89, s25
	v_cndmask_b32_e64 v85, v94, v97, s30
	v_cndmask_b32_e64 v78, v78, v97, s29
	v_cndmask_b32_e64 v79, v79, v101, s29
	v_cndmask_b32_e64 v95, v95, v101, s30
	v_cndmask_b32_e64 v80, v80, v89, s7
	v_cndmask_b32_e64 v83, v84, v97, s8
	v_cndmask_b32_e64 v84, v90, v101, s8
	v_cndmask_b32_e64 v90, v96, v97, s28
	v_cndmask_b32_e64 v94, v99, v101, s28
	v_cndmask_b32_e64 v97, v81, v105, s30
	v_perm_b32 v81, v79, v78, 0x5040100
	v_perm_b32 v79, v95, v85, 0x5040100
	v_cndmask_b32_e64 v78, v119, v91, s15
	v_cndmask_b32_e64 v85, v117, v91, s12
	;; [unrolled: 1-line block ×3, first 2 shown]
	v_perm_b32 v80, v94, v90, 0x5040100
	v_cndmask_b32_e64 v90, v98, v103, s17
	v_cndmask_b32_e64 v86, v86, v103, s18
	;; [unrolled: 1-line block ×5, first 2 shown]
	v_lshrrev_b32_e32 v108, 16, v92
	v_cndmask_b32_e64 v90, v90, v88, s21
	v_cndmask_b32_e64 v86, v86, v88, s22
	;; [unrolled: 1-line block ×11, first 2 shown]
	v_lshrrev_b32_e32 v109, 16, v93
	v_cndmask_b32_e64 v82, v82, v93, s7
	v_cndmask_b32_e64 v88, v88, v89, s26
	;; [unrolled: 1-line block ×12, first 2 shown]
	v_perm_b32 v78, v84, v83, 0x5040100
	v_perm_b32 v85, v87, v86, 0x5040100
	;; [unrolled: 1-line block ×5, first 2 shown]
	s_mul_i32 s8, s33, 5
	s_mov_b32 s3, exec_lo
	ds_store_b128 v74, v[78:81]
	ds_store_b128 v74, v[82:85] offset:1024
	v_cmpx_gt_u32_e32 5, v0
	s_cbranch_execz .LBB1298_14
; %bb.13:
	s_mul_i32 s4, s8, s34
	s_delay_alu instid0(SALU_CYCLE_1) | instskip(SKIP_1) | instid1(VALU_DEP_1)
	v_add3_u32 v68, s4, s31, v68
	s_load_b128 s[4:7], s[0:1], 0x58
	v_mad_u64_u32 v[78:79], null, v68, s35, s[14:15]
	s_delay_alu instid0(VALU_DEP_1) | instskip(NEXT) | instid1(VALU_DEP_1)
	v_ashrrev_i32_e32 v79, 31, v78
	v_lshlrev_b64 v[78:79], 2, v[78:79]
	s_waitcnt lgkmcnt(0)
	s_delay_alu instid0(VALU_DEP_1) | instskip(NEXT) | instid1(VALU_DEP_2)
	v_add_co_u32 v80, vcc_lo, s6, v78
	v_add_co_ci_u32_e32 v81, vcc_lo, s7, v79, vcc_lo
	v_add_co_u32 v78, vcc_lo, s4, v78
	v_add_co_ci_u32_e32 v79, vcc_lo, s5, v79, vcc_lo
	global_store_b32 v[80:81], v76, off
	global_store_b32 v[78:79], v77, off
.LBB1298_14:
	s_or_b32 exec_lo, exec_lo, s3
	s_waitcnt lgkmcnt(0)
	s_waitcnt_vscnt null, 0x0
	s_barrier
	buffer_gl0_inv
	ds_load_b128 v[84:87], v73
	ds_load_b128 v[88:91], v73 offset:16
	ds_load_b128 v[96:99], v73 offset:2064
	;; [unrolled: 1-line block ×5, first 2 shown]
	v_cmp_eq_u32_e32 vcc_lo, 1, v70
	v_mov_b32_e32 v76, 0
	ds_load_b128 v[112:115], v73 offset:6160
	ds_load_b128 v[108:111], v73 offset:6144
	;; [unrolled: 1-line block ×4, first 2 shown]
	v_cmp_eq_u32_e64 s4, 1, v69
	v_cmp_eq_u32_e64 s3, 1, v72
	;; [unrolled: 1-line block ×3, first 2 shown]
	v_mov_b32_e32 v77, v76
	v_mov_b32_e32 v78, v76
	v_mov_b32_e32 v79, v76
	v_mov_b32_e32 v80, v76
	v_mov_b32_e32 v81, v76
	v_mov_b32_e32 v82, v76
	v_mov_b32_e32 v83, v76
	v_cmp_eq_u32_e64 s6, 3, v72
	v_cmp_eq_u32_e64 s7, 7, v72
	s_waitcnt lgkmcnt(8)
	s_delay_alu instid0(VALU_DEP_3)
	v_wmma_f32_16x16x16_f16 v[76:83], v[49:56], v[84:91], v[76:83]
	ds_load_b128 v[53:56], v73 offset:10256
	ds_load_b128 v[49:52], v73 offset:10240
	s_waitcnt lgkmcnt(8)
	v_wmma_f32_16x16x16_f16 v[76:83], v[41:48], v[92:99], v[76:83]
	ds_load_b128 v[45:48], v73 offset:12304
	ds_load_b128 v[41:44], v73 offset:12288
	s_waitcnt lgkmcnt(8)
	;; [unrolled: 4-line block ×3, first 2 shown]
	s_barrier
	buffer_gl0_inv
	v_wmma_f32_16x16x16_f16 v[76:83], v[1:8], v[108:115], v[76:83]
	s_delay_alu instid0(VALU_DEP_1) | instskip(NEXT) | instid1(VALU_DEP_1)
	v_wmma_f32_16x16x16_f16 v[76:83], v[9:16], v[116:123], v[76:83]
	v_wmma_f32_16x16x16_f16 v[76:83], v[17:24], v[49:56], v[76:83]
	s_delay_alu instid0(VALU_DEP_1) | instskip(NEXT) | instid1(VALU_DEP_1)
	v_wmma_f32_16x16x16_f16 v[76:83], v[25:32], v[41:48], v[76:83]
	v_wmma_f32_16x16x16_f16 v[76:83], v[57:64], v[33:40], v[76:83]
	s_delay_alu instid0(VALU_DEP_1) | instskip(NEXT) | instid1(VALU_DEP_2)
	v_cvt_f16_f32_e32 v1, v76
	v_cvt_f16_f32_e32 v2, v77
	s_delay_alu instid0(VALU_DEP_3) | instskip(NEXT) | instid1(VALU_DEP_4)
	v_cvt_f16_f32_e32 v3, v78
	v_cvt_f16_f32_e32 v4, v79
	;; [unrolled: 1-line block ×6, first 2 shown]
	v_pack_b32_f16 v1, v1, v2
	v_pack_b32_f16 v2, v3, v4
	;; [unrolled: 1-line block ×3, first 2 shown]
	s_delay_alu instid0(VALU_DEP_4)
	v_pack_b32_f16 v4, v7, v8
	ds_store_b128 v74, v[1:4]
	s_waitcnt lgkmcnt(0)
	s_barrier
	buffer_gl0_inv
	ds_load_b128 v[1:4], v75
	ds_load_b128 v[5:8], v75 offset:16
	s_waitcnt lgkmcnt(1)
	v_lshrrev_b32_e32 v9, 16, v1
	s_waitcnt lgkmcnt(0)
	v_lshrrev_b32_e32 v13, 16, v5
	v_lshrrev_b32_e32 v10, 16, v2
	;; [unrolled: 1-line block ×4, first 2 shown]
	v_cndmask_b32_e32 v17, v1, v9, vcc_lo
	v_cndmask_b32_e32 v18, v5, v13, vcc_lo
	v_cndmask_b32_e64 v21, v1, v9, s4
	v_cmp_eq_u32_e32 vcc_lo, 1, v71
	v_cndmask_b32_e64 v22, v5, v13, s4
	v_cmp_eq_u32_e64 s4, 2, v70
	v_cndmask_b32_e64 v19, v1, v9, s3
	v_cndmask_b32_e64 v20, v5, v13, s3
	v_cndmask_b32_e32 v1, v1, v9, vcc_lo
	v_cmp_eq_u32_e64 s3, 2, v71
	v_cndmask_b32_e32 v5, v5, v13, vcc_lo
	v_cndmask_b32_e64 v9, v17, v2, s4
	v_cmp_eq_u32_e32 vcc_lo, 3, v70
	v_cndmask_b32_e64 v13, v18, v6, s4
	v_cmp_eq_u32_e64 s4, 2, v69
	v_cndmask_b32_e64 v17, v19, v2, s5
	v_cndmask_b32_e64 v18, v20, v6, s5
	v_cmp_eq_u32_e64 s5, 3, v69
	v_cndmask_b32_e64 v1, v1, v2, s3
	v_cndmask_b32_e64 v19, v21, v2, s4
	;; [unrolled: 1-line block ×4, first 2 shown]
	v_cndmask_b32_e32 v5, v9, v10, vcc_lo
	v_cndmask_b32_e32 v6, v13, v14, vcc_lo
	v_cmp_eq_u32_e32 vcc_lo, 3, v71
	v_cndmask_b32_e64 v9, v17, v10, s6
	v_cndmask_b32_e64 v13, v18, v14, s6
	;; [unrolled: 1-line block ×3, first 2 shown]
	v_cmp_eq_u32_e64 s4, 4, v70
	v_cndmask_b32_e32 v1, v1, v10, vcc_lo
	v_cndmask_b32_e32 v2, v2, v14, vcc_lo
	v_cmp_eq_u32_e32 vcc_lo, 4, v72
	v_lshrrev_b32_e32 v15, 16, v7
	v_lshrrev_b32_e32 v16, 16, v8
	v_cndmask_b32_e64 v17, v19, v10, s5
	v_cmp_eq_u32_e64 s3, 4, v71
	v_cndmask_b32_e64 v5, v5, v3, s4
	v_cndmask_b32_e64 v6, v6, v7, s4
	v_cndmask_b32_e32 v9, v9, v3, vcc_lo
	v_cmp_eq_u32_e64 s4, 5, v72
	v_cndmask_b32_e32 v10, v13, v7, vcc_lo
	v_cmp_eq_u32_e32 vcc_lo, 4, v69
	v_cmp_eq_u32_e64 s5, 5, v70
	v_cndmask_b32_e64 v2, v2, v7, s3
	v_cndmask_b32_e64 v9, v9, v11, s4
	;; [unrolled: 1-line block ×3, first 2 shown]
	v_cndmask_b32_e32 v13, v17, v3, vcc_lo
	v_cmp_eq_u32_e64 s4, 5, v69
	v_cndmask_b32_e32 v14, v18, v7, vcc_lo
	v_cndmask_b32_e64 v1, v1, v3, s3
	v_cmp_eq_u32_e32 vcc_lo, 5, v71
	v_lshrrev_b32_e32 v12, 16, v4
	v_cndmask_b32_e64 v13, v13, v11, s4
	v_cndmask_b32_e64 v3, v14, v15, s4
	v_cmp_eq_u32_e64 s4, 6, v71
	v_cndmask_b32_e32 v1, v1, v11, vcc_lo
	v_cndmask_b32_e64 v5, v5, v11, s5
	v_cmp_eq_u32_e64 s6, 6, v70
	v_cndmask_b32_e64 v6, v6, v15, s5
	v_cmp_eq_u32_e64 s5, 6, v72
	v_cmp_eq_u32_e64 s3, 6, v69
	v_cndmask_b32_e64 v1, v1, v4, s4
	v_cndmask_b32_e32 v2, v2, v15, vcc_lo
	v_cmp_eq_u32_e32 vcc_lo, 7, v71
	v_cndmask_b32_e64 v5, v5, v4, s6
	v_cndmask_b32_e64 v9, v9, v4, s5
	;; [unrolled: 1-line block ×3, first 2 shown]
	v_cmp_eq_u32_e64 s6, 7, v70
	v_cndmask_b32_e32 v1, v1, v12, vcc_lo
	v_cndmask_b32_e64 v7, v13, v4, s3
	v_cndmask_b32_e64 v3, v3, v8, s3
	;; [unrolled: 1-line block ×3, first 2 shown]
	v_cmp_eq_u32_e64 s3, 7, v69
	v_cndmask_b32_e64 v4, v10, v8, s5
	v_cndmask_b32_e64 v5, v5, v12, s6
	;; [unrolled: 1-line block ×3, first 2 shown]
	v_cndmask_b32_e32 v2, v2, v16, vcc_lo
	v_cndmask_b32_e64 v7, v7, v12, s3
	v_cndmask_b32_e64 v3, v3, v16, s3
	;; [unrolled: 1-line block ×4, first 2 shown]
	v_perm_b32 v4, v2, v1, 0x5040100
	s_mov_b32 s3, exec_lo
	v_perm_b32 v3, v3, v7, 0x5040100
	v_perm_b32 v2, v8, v9, 0x5040100
	;; [unrolled: 1-line block ×3, first 2 shown]
	ds_store_b128 v74, v[1:4]
	s_waitcnt lgkmcnt(0)
	s_barrier
	buffer_gl0_inv
	v_cmpx_gt_u32_e32 32, v0
	s_cbranch_execz .LBB1298_2
; %bb.15:
	s_load_b64 s[4:5], s[0:1], 0x68
	v_lshlrev_b32_e32 v0, 10, v0
	v_add_nc_u32_e32 v2, s31, v66
	v_lshlrev_b32_e32 v3, 4, v67
	s_lshl_b32 s0, s35, 7
	s_delay_alu instid0(SALU_CYCLE_1) | instskip(NEXT) | instid1(VALU_DEP_2)
	s_mul_i32 s1, s0, s34
	v_mul_lo_u32 v1, v2, s0
	s_delay_alu instid0(VALU_DEP_2) | instskip(SKIP_2) | instid1(SALU_CYCLE_1)
	v_and_or_b32 v0, 0x3800, v0, v3
	v_add_nc_u32_e32 v2, 2, v2
	s_mul_i32 s6, s1, s8
	s_ashr_i32 s7, s6, 31
	s_delay_alu instid0(VALU_DEP_2)
	v_lshl_or_b32 v7, v66, 6, v0
	s_lshl_b64 s[6:7], s[6:7], 1
	v_mul_lo_u32 v11, v2, s0
	v_ashrrev_i32_e32 v2, 31, v1
	ds_load_b128 v[3:6], v7
	ds_load_b128 v[7:10], v7 offset:128
	s_waitcnt lgkmcnt(0)
	s_add_u32 s1, s4, s6
	s_addc_u32 s3, s5, s7
	s_lshl_b32 s4, s14, 7
	v_ashrrev_i32_e32 v12, 31, v11
	s_ashr_i32 s5, s4, 31
	v_lshlrev_b64 v[13:14], 1, v[1:2]
	s_lshl_b64 s[4:5], s[4:5], 1
	s_delay_alu instid0(SALU_CYCLE_1) | instskip(SKIP_2) | instid1(VALU_DEP_1)
	s_add_u32 s1, s1, s4
	s_addc_u32 s3, s3, s5
	v_add_co_u32 v1, s1, s1, v65
	v_add_co_ci_u32_e64 v2, null, s3, 0, s1
	v_lshlrev_b64 v[11:12], 1, v[11:12]
	s_delay_alu instid0(VALU_DEP_3) | instskip(NEXT) | instid1(VALU_DEP_3)
	v_add_co_u32 v13, vcc_lo, v1, v13
	v_add_co_ci_u32_e32 v14, vcc_lo, v2, v14, vcc_lo
	s_delay_alu instid0(VALU_DEP_3) | instskip(NEXT) | instid1(VALU_DEP_4)
	v_add_co_u32 v11, vcc_lo, v1, v11
	v_add_co_ci_u32_e32 v12, vcc_lo, v2, v12, vcc_lo
	s_clause 0x1
	global_store_b128 v[13:14], v[3:6], off
	global_store_b128 v[11:12], v[7:10], off
	s_and_b32 exec_lo, exec_lo, s2
	s_cbranch_execz .LBB1298_2
; %bb.16:
	ds_load_b128 v[3:6], v0 offset:256
	s_add_i32 s1, s31, 4
	s_delay_alu instid0(SALU_CYCLE_1) | instskip(NEXT) | instid1(SALU_CYCLE_1)
	s_mul_i32 s0, s1, s0
	s_ashr_i32 s1, s0, 31
	s_delay_alu instid0(SALU_CYCLE_1) | instskip(NEXT) | instid1(SALU_CYCLE_1)
	s_lshl_b64 s[0:1], s[0:1], 1
	v_add_co_u32 v0, vcc_lo, v1, s0
	v_add_co_ci_u32_e32 v1, vcc_lo, s1, v2, vcc_lo
	s_waitcnt lgkmcnt(0)
	global_store_b128 v[0:1], v[3:6], off
	s_nop 0
	s_sendmsg sendmsg(MSG_DEALLOC_VGPRS)
	s_endpgm
	.section	.rodata,"a",@progbits
	.p2align	6, 0x0
	.amdhsa_kernel _Z39paged_attention_ll4mi_QKV_mfma16_kernelIDF16_hLN4vllm18Fp8KVCacheDataTypeE1EhLi32ELi128ELi256ELb0ELi5EL8MFMAType0EEvPKT_PKT0_S8_ifPKiSA_SA_iPKfiiiPfSD_PS3_PT2_iSC_SC_
		.amdhsa_group_segment_fixed_size 17472
		.amdhsa_private_segment_fixed_size 0
		.amdhsa_kernarg_size 400
		.amdhsa_user_sgpr_count 13
		.amdhsa_user_sgpr_dispatch_ptr 0
		.amdhsa_user_sgpr_queue_ptr 0
		.amdhsa_user_sgpr_kernarg_segment_ptr 1
		.amdhsa_user_sgpr_dispatch_id 0
		.amdhsa_user_sgpr_private_segment_size 0
		.amdhsa_wavefront_size32 1
		.amdhsa_uses_dynamic_stack 0
		.amdhsa_enable_private_segment 0
		.amdhsa_system_sgpr_workgroup_id_x 1
		.amdhsa_system_sgpr_workgroup_id_y 1
		.amdhsa_system_sgpr_workgroup_id_z 1
		.amdhsa_system_sgpr_workgroup_info 0
		.amdhsa_system_vgpr_workitem_id 0
		.amdhsa_next_free_vgpr 150
		.amdhsa_next_free_sgpr 37
		.amdhsa_reserve_vcc 1
		.amdhsa_float_round_mode_32 0
		.amdhsa_float_round_mode_16_64 0
		.amdhsa_float_denorm_mode_32 3
		.amdhsa_float_denorm_mode_16_64 3
		.amdhsa_dx10_clamp 1
		.amdhsa_ieee_mode 1
		.amdhsa_fp16_overflow 0
		.amdhsa_workgroup_processor_mode 1
		.amdhsa_memory_ordered 1
		.amdhsa_forward_progress 0
		.amdhsa_shared_vgpr_count 0
		.amdhsa_exception_fp_ieee_invalid_op 0
		.amdhsa_exception_fp_denorm_src 0
		.amdhsa_exception_fp_ieee_div_zero 0
		.amdhsa_exception_fp_ieee_overflow 0
		.amdhsa_exception_fp_ieee_underflow 0
		.amdhsa_exception_fp_ieee_inexact 0
		.amdhsa_exception_int_div_zero 0
	.end_amdhsa_kernel
	.section	.text._Z39paged_attention_ll4mi_QKV_mfma16_kernelIDF16_hLN4vllm18Fp8KVCacheDataTypeE1EhLi32ELi128ELi256ELb0ELi5EL8MFMAType0EEvPKT_PKT0_S8_ifPKiSA_SA_iPKfiiiPfSD_PS3_PT2_iSC_SC_,"axG",@progbits,_Z39paged_attention_ll4mi_QKV_mfma16_kernelIDF16_hLN4vllm18Fp8KVCacheDataTypeE1EhLi32ELi128ELi256ELb0ELi5EL8MFMAType0EEvPKT_PKT0_S8_ifPKiSA_SA_iPKfiiiPfSD_PS3_PT2_iSC_SC_,comdat
.Lfunc_end1298:
	.size	_Z39paged_attention_ll4mi_QKV_mfma16_kernelIDF16_hLN4vllm18Fp8KVCacheDataTypeE1EhLi32ELi128ELi256ELb0ELi5EL8MFMAType0EEvPKT_PKT0_S8_ifPKiSA_SA_iPKfiiiPfSD_PS3_PT2_iSC_SC_, .Lfunc_end1298-_Z39paged_attention_ll4mi_QKV_mfma16_kernelIDF16_hLN4vllm18Fp8KVCacheDataTypeE1EhLi32ELi128ELi256ELb0ELi5EL8MFMAType0EEvPKT_PKT0_S8_ifPKiSA_SA_iPKfiiiPfSD_PS3_PT2_iSC_SC_
                                        ; -- End function
	.section	.AMDGPU.csdata,"",@progbits
; Kernel info:
; codeLenInByte = 6660
; NumSgprs: 39
; NumVgprs: 150
; ScratchSize: 0
; MemoryBound: 0
; FloatMode: 240
; IeeeMode: 1
; LDSByteSize: 17472 bytes/workgroup (compile time only)
; SGPRBlocks: 4
; VGPRBlocks: 18
; NumSGPRsForWavesPerEU: 39
; NumVGPRsForWavesPerEU: 150
; Occupancy: 9
; WaveLimiterHint : 1
; COMPUTE_PGM_RSRC2:SCRATCH_EN: 0
; COMPUTE_PGM_RSRC2:USER_SGPR: 13
; COMPUTE_PGM_RSRC2:TRAP_HANDLER: 0
; COMPUTE_PGM_RSRC2:TGID_X_EN: 1
; COMPUTE_PGM_RSRC2:TGID_Y_EN: 1
; COMPUTE_PGM_RSRC2:TGID_Z_EN: 1
; COMPUTE_PGM_RSRC2:TIDIG_COMP_CNT: 0
	.section	.text._Z39paged_attention_ll4mi_QKV_mfma16_kernelIDF16_hLN4vllm18Fp8KVCacheDataTypeE1EhLi32ELi128ELi256ELb0ELi6EL8MFMAType0EEvPKT_PKT0_S8_ifPKiSA_SA_iPKfiiiPfSD_PS3_PT2_iSC_SC_,"axG",@progbits,_Z39paged_attention_ll4mi_QKV_mfma16_kernelIDF16_hLN4vllm18Fp8KVCacheDataTypeE1EhLi32ELi128ELi256ELb0ELi6EL8MFMAType0EEvPKT_PKT0_S8_ifPKiSA_SA_iPKfiiiPfSD_PS3_PT2_iSC_SC_,comdat
	.protected	_Z39paged_attention_ll4mi_QKV_mfma16_kernelIDF16_hLN4vllm18Fp8KVCacheDataTypeE1EhLi32ELi128ELi256ELb0ELi6EL8MFMAType0EEvPKT_PKT0_S8_ifPKiSA_SA_iPKfiiiPfSD_PS3_PT2_iSC_SC_ ; -- Begin function _Z39paged_attention_ll4mi_QKV_mfma16_kernelIDF16_hLN4vllm18Fp8KVCacheDataTypeE1EhLi32ELi128ELi256ELb0ELi6EL8MFMAType0EEvPKT_PKT0_S8_ifPKiSA_SA_iPKfiiiPfSD_PS3_PT2_iSC_SC_
	.globl	_Z39paged_attention_ll4mi_QKV_mfma16_kernelIDF16_hLN4vllm18Fp8KVCacheDataTypeE1EhLi32ELi128ELi256ELb0ELi6EL8MFMAType0EEvPKT_PKT0_S8_ifPKiSA_SA_iPKfiiiPfSD_PS3_PT2_iSC_SC_
	.p2align	8
	.type	_Z39paged_attention_ll4mi_QKV_mfma16_kernelIDF16_hLN4vllm18Fp8KVCacheDataTypeE1EhLi32ELi128ELi256ELb0ELi6EL8MFMAType0EEvPKT_PKT0_S8_ifPKiSA_SA_iPKfiiiPfSD_PS3_PT2_iSC_SC_,@function
_Z39paged_attention_ll4mi_QKV_mfma16_kernelIDF16_hLN4vllm18Fp8KVCacheDataTypeE1EhLi32ELi128ELi256ELb0ELi6EL8MFMAType0EEvPKT_PKT0_S8_ifPKiSA_SA_iPKfiiiPfSD_PS3_PT2_iSC_SC_: ; @_Z39paged_attention_ll4mi_QKV_mfma16_kernelIDF16_hLN4vllm18Fp8KVCacheDataTypeE1EhLi32ELi128ELi256ELb0ELi6EL8MFMAType0EEvPKT_PKT0_S8_ifPKiSA_SA_iPKfiiiPfSD_PS3_PT2_iSC_SC_
; %bb.0:
	s_load_b64 s[4:5], s[0:1], 0x30
	s_mov_b32 s30, s13
	s_waitcnt lgkmcnt(0)
	s_cmp_lg_u64 s[4:5], 0
	s_cselect_b32 s8, -1, 0
	s_ashr_i32 s31, s13, 31
	s_cmp_eq_u64 s[4:5], 0
	s_cbranch_scc1 .LBB1299_3
; %bb.1:
	s_lshl_b64 s[2:3], s[30:31], 2
	s_delay_alu instid0(SALU_CYCLE_1) | instskip(SKIP_4) | instid1(SALU_CYCLE_1)
	s_add_u32 s2, s4, s2
	s_addc_u32 s3, s5, s3
	s_load_b64 s[2:3], s[2:3], 0x0
	s_waitcnt lgkmcnt(0)
	s_sub_i32 s2, s3, s2
	s_cmp_eq_u32 s2, 1
	s_cselect_b32 s2, -1, 0
	s_delay_alu instid0(SALU_CYCLE_1)
	s_and_not1_b32 vcc_lo, exec_lo, s2
	s_cbranch_vccz .LBB1299_4
.LBB1299_2:
	s_endpgm
.LBB1299_3:
.LBB1299_4:
	s_load_b64 s[2:3], s[0:1], 0x28
	s_lshl_b64 s[6:7], s[30:31], 2
	s_waitcnt lgkmcnt(0)
	s_add_u32 s2, s2, s6
	s_addc_u32 s3, s3, s7
	s_lshl_b32 s12, s14, 8
	s_load_b32 s24, s[2:3], 0x0
	s_waitcnt lgkmcnt(0)
	s_cmp_ge_i32 s12, s24
	s_cbranch_scc1 .LBB1299_2
; %bb.5:
	s_clause 0x1
	s_load_b128 s[20:23], s[0:1], 0x8
	s_load_b64 s[2:3], s[0:1], 0x20
	s_and_not1_b32 vcc_lo, exec_lo, s8
	s_cbranch_vccnz .LBB1299_7
; %bb.6:
	s_add_u32 s4, s4, s6
	s_addc_u32 s5, s5, s7
	s_load_b32 s5, s[4:5], 0x0
	s_branch .LBB1299_8
.LBB1299_7:
	s_mov_b32 s5, s30
.LBB1299_8:
	s_load_b128 s[16:19], s[0:1], 0x48
	v_and_b32_e32 v68, 15, v0
	v_lshrrev_b32_e32 v69, 5, v0
	v_and_b32_e32 v70, 31, v0
	v_and_b32_e32 v67, 1, v0
	v_bfe_u32 v66, v0, 4, 1
	v_lshlrev_b32_e32 v1, 3, v68
	s_mul_i32 s31, s15, 6
	s_mov_b32 s4, exec_lo
	s_delay_alu instid0(VALU_DEP_1)
	v_lshlrev_b32_e32 v65, 1, v1
	v_cmpx_gt_u32_e32 0x60, v0
	s_cbranch_execz .LBB1299_10
; %bb.9:
	s_load_b64 s[6:7], s[0:1], 0x0
	v_lshl_or_b32 v5, v69, 1, v66
	s_waitcnt lgkmcnt(0)
	s_mul_hi_i32 s9, s5, s16
	s_mul_i32 s8, s5, s16
	v_lshlrev_b32_e32 v6, 10, v68
	s_lshl_b64 s[8:9], s[8:9], 1
	v_add_lshl_u32 v1, v5, s31, 7
	v_lshlrev_b32_e32 v5, 6, v5
	v_lshlrev_b32_e32 v7, 10, v67
	v_and_b32_e32 v6, 0x3800, v6
	s_delay_alu instid0(VALU_DEP_4) | instskip(NEXT) | instid1(VALU_DEP_2)
	v_ashrrev_i32_e32 v2, 31, v1
	v_or3_b32 v5, v6, v7, v5
	s_delay_alu instid0(VALU_DEP_2) | instskip(SKIP_2) | instid1(VALU_DEP_1)
	v_lshlrev_b64 v[1:2], 1, v[1:2]
	s_add_u32 s5, s6, s8
	s_addc_u32 s6, s7, s9
	v_add_co_u32 v1, vcc_lo, s5, v1
	s_delay_alu instid0(VALU_DEP_2) | instskip(NEXT) | instid1(VALU_DEP_2)
	v_add_co_ci_u32_e32 v2, vcc_lo, s6, v2, vcc_lo
	v_add_co_u32 v1, vcc_lo, v1, v65
	s_delay_alu instid0(VALU_DEP_2)
	v_add_co_ci_u32_e32 v2, vcc_lo, 0, v2, vcc_lo
	global_load_b128 v[1:4], v[1:2], off
	s_waitcnt vmcnt(0)
	ds_store_b128 v5, v[1:4]
.LBB1299_10:
	s_or_b32 exec_lo, exec_lo, s4
	v_and_b32_e32 v1, 0xef, v0
	s_waitcnt lgkmcnt(0)
	s_add_i32 s5, s24, 31
	s_clause 0x1
	s_load_b32 s4, s[0:1], 0x38
	s_load_b32 s33, s[0:1], 0x98
	s_ashr_i32 s6, s5, 31
	v_add_nc_u32_e32 v1, s12, v1
	s_lshr_b32 s6, s6, 27
	s_load_b32 s19, s[0:1], 0x1c
	s_add_i32 s5, s5, s6
	s_waitcnt lgkmcnt(0)
	v_ashrrev_i32_e32 v2, 31, v1
	v_or_b32_e32 v3, 16, v1
	s_ashr_i32 s13, s5, 5
	v_cmp_gt_i32_e32 vcc_lo, s24, v1
	s_add_i32 s13, s13, -1
	v_lshrrev_b32_e32 v2, 27, v2
	s_barrier
	buffer_gl0_inv
	s_mul_i32 s15, s15, s18
	v_add_nc_u32_e32 v4, v1, v2
	s_mul_i32 s4, s30, s4
	s_delay_alu instid0(SALU_CYCLE_1) | instskip(NEXT) | instid1(VALU_DEP_1)
	s_ashr_i32 s5, s4, 31
	v_ashrrev_i32_e32 v4, 5, v4
	v_add_nc_u32_e32 v2, v3, v2
	s_lshl_b64 s[4:5], s[4:5], 2
	s_delay_alu instid0(SALU_CYCLE_1) | instskip(NEXT) | instid1(VALU_DEP_2)
	s_add_u32 s16, s2, s4
	v_cndmask_b32_e32 v1, s13, v4, vcc_lo
	s_delay_alu instid0(VALU_DEP_2)
	v_ashrrev_i32_e32 v2, 5, v2
	v_cmp_gt_i32_e32 vcc_lo, s24, v3
	s_addc_u32 s25, s3, s5
	s_ashr_i32 s18, s15, 31
	s_add_u32 s2, s20, s15
	s_addc_u32 s3, s21, s18
	v_cndmask_b32_e32 v3, s13, v2, vcc_lo
	v_ashrrev_i32_e32 v2, 31, v1
	s_lshl_b32 s4, s14, 3
	s_delay_alu instid0(SALU_CYCLE_1) | instskip(NEXT) | instid1(VALU_DEP_2)
	s_ashr_i32 s5, s4, 31
	v_ashrrev_i32_e32 v4, 31, v3
	s_delay_alu instid0(VALU_DEP_2) | instskip(SKIP_1) | instid1(SALU_CYCLE_1)
	v_lshlrev_b64 v[1:2], 2, v[1:2]
	s_lshl_b64 s[4:5], s[4:5], 2
	s_add_u32 s4, s16, s4
	s_delay_alu instid0(VALU_DEP_2) | instskip(SKIP_1) | instid1(VALU_DEP_2)
	v_lshlrev_b64 v[3:4], 2, v[3:4]
	s_addc_u32 s5, s25, s5
	v_add_co_u32 v1, vcc_lo, s16, v1
	v_add_co_ci_u32_e32 v2, vcc_lo, s25, v2, vcc_lo
	s_delay_alu instid0(VALU_DEP_3) | instskip(NEXT) | instid1(VALU_DEP_4)
	v_add_co_u32 v3, vcc_lo, s16, v3
	v_add_co_ci_u32_e32 v4, vcc_lo, s25, v4, vcc_lo
	s_clause 0x1
	global_load_b32 v5, v[1:2], off
	global_load_b32 v6, v[3:4], off
	s_or_b32 s6, s12, 32
	s_delay_alu instid0(SALU_CYCLE_1) | instskip(SKIP_2) | instid1(SALU_CYCLE_1)
	s_ashr_i32 s7, s6, 5
	s_cmp_lt_i32 s6, s24
	s_cselect_b32 s6, s7, s13
	s_ashr_i32 s7, s6, 31
	s_delay_alu instid0(SALU_CYCLE_1) | instskip(NEXT) | instid1(SALU_CYCLE_1)
	s_lshl_b64 s[6:7], s[6:7], 2
	s_add_u32 s6, s16, s6
	s_addc_u32 s7, s25, s7
	s_or_b32 s8, s12, 64
	s_delay_alu instid0(SALU_CYCLE_1) | instskip(SKIP_2) | instid1(SALU_CYCLE_1)
	s_ashr_i32 s9, s8, 5
	s_cmp_lt_i32 s8, s24
	s_cselect_b32 s8, s9, s13
	s_ashr_i32 s9, s8, 31
	s_delay_alu instid0(SALU_CYCLE_1) | instskip(NEXT) | instid1(SALU_CYCLE_1)
	s_lshl_b64 s[8:9], s[8:9], 2
	s_add_u32 s8, s16, s8
	s_addc_u32 s9, s25, s9
	s_or_b32 s10, s12, 0x60
	s_delay_alu instid0(SALU_CYCLE_1) | instskip(SKIP_2) | instid1(SALU_CYCLE_1)
	s_ashr_i32 s11, s10, 5
	s_cmp_lt_i32 s10, s24
	s_cselect_b32 s10, s11, s13
	s_ashr_i32 s11, s10, 31
	s_delay_alu instid0(SALU_CYCLE_1) | instskip(NEXT) | instid1(SALU_CYCLE_1)
	s_lshl_b64 s[10:11], s[10:11], 2
	s_add_u32 s10, s16, s10
	s_addc_u32 s11, s25, s11
	s_or_b32 s20, s12, 0x80
	s_delay_alu instid0(SALU_CYCLE_1) | instskip(SKIP_2) | instid1(SALU_CYCLE_1)
	s_ashr_i32 s21, s20, 5
	s_cmp_lt_i32 s20, s24
	s_cselect_b32 s20, s21, s13
	s_ashr_i32 s21, s20, 31
	s_delay_alu instid0(SALU_CYCLE_1) | instskip(NEXT) | instid1(SALU_CYCLE_1)
	s_lshl_b64 s[20:21], s[20:21], 2
	s_add_u32 s20, s16, s20
	s_addc_u32 s21, s25, s21
	s_or_b32 s26, s12, 0xa0
	s_delay_alu instid0(SALU_CYCLE_1) | instskip(SKIP_2) | instid1(SALU_CYCLE_1)
	s_ashr_i32 s27, s26, 5
	s_cmp_lt_i32 s26, s24
	s_cselect_b32 s26, s27, s13
	s_ashr_i32 s27, s26, 31
	s_delay_alu instid0(SALU_CYCLE_1) | instskip(NEXT) | instid1(SALU_CYCLE_1)
	s_lshl_b64 s[26:27], s[26:27], 2
	s_add_u32 s26, s16, s26
	s_addc_u32 s27, s25, s27
	s_clause 0x5
	s_load_b32 s28, s[4:5], 0x0
	s_load_b32 s29, s[6:7], 0x0
	;; [unrolled: 1-line block ×6, first 2 shown]
	s_mov_b32 s4, 0
	s_delay_alu instid0(SALU_CYCLE_1)
	s_mov_b32 s5, s4
	s_mov_b32 s6, s4
	;; [unrolled: 1-line block ×7, first 2 shown]
	s_delay_alu instid0(SALU_CYCLE_1)
	v_dual_mov_b32 v118, s11 :: v_dual_mov_b32 v117, s10
	v_dual_mov_b32 v116, s9 :: v_dual_mov_b32 v115, s8
	v_mov_b32_e32 v113, s6
	v_dual_mov_b32 v111, s4 :: v_dual_mov_b32 v114, s7
	v_mov_b32_e32 v112, s5
	s_waitcnt vmcnt(1)
	v_mad_i64_i32 v[1:2], null, v5, s17, s[2:3]
	v_lshlrev_b32_e32 v5, 4, v68
	s_waitcnt vmcnt(0)
	v_mad_i64_i32 v[3:4], null, v6, s17, s[2:3]
	s_or_b32 s2, s12, 0xc0
	s_delay_alu instid0(SALU_CYCLE_1) | instskip(NEXT) | instid1(VALU_DEP_3)
	s_ashr_i32 s3, s2, 5
	v_add_co_u32 v1, vcc_lo, v1, v5
	s_delay_alu instid0(VALU_DEP_4) | instskip(NEXT) | instid1(VALU_DEP_3)
	v_add_co_ci_u32_e32 v2, vcc_lo, 0, v2, vcc_lo
	v_add_co_u32 v3, vcc_lo, v3, v5
	s_delay_alu instid0(VALU_DEP_4)
	v_add_co_ci_u32_e32 v4, vcc_lo, 0, v4, vcc_lo
	s_clause 0xf
	global_load_b128 v[17:20], v[1:2], off
	global_load_b128 v[21:24], v[1:2], off offset:512
	global_load_b128 v[25:28], v[3:4], off offset:256
	;; [unrolled: 1-line block ×15, first 2 shown]
	v_mul_lo_u16 v1, v68, 43
	s_cmp_lt_i32 s2, s24
	v_lshlrev_b32_e32 v2, 5, v68
	s_cselect_b32 s2, s3, s13
	s_delay_alu instid0(VALU_DEP_2) | instskip(SKIP_1) | instid1(SALU_CYCLE_1)
	v_lshrrev_b16 v1, 8, v1
	s_ashr_i32 s3, s2, 31
	s_lshl_b64 s[2:3], s[2:3], 2
	s_delay_alu instid0(VALU_DEP_1) | instskip(SKIP_3) | instid1(VALU_DEP_1)
	v_mul_lo_u16 v1, v1, 6
	s_add_u32 s2, s16, s2
	s_addc_u32 s3, s25, s3
	s_or_b32 s20, s12, 0xe0
	v_sub_nc_u16 v1, v68, v1
	s_ashr_i32 s21, s20, 5
	s_cmp_lt_i32 s20, s24
	s_cselect_b32 s20, s21, s13
	s_delay_alu instid0(VALU_DEP_1) | instskip(SKIP_1) | instid1(SALU_CYCLE_1)
	v_and_b32_e32 v1, 0xff, v1
	s_ashr_i32 s21, s20, 31
	s_lshl_b64 s[4:5], s[20:21], 2
	s_delay_alu instid0(VALU_DEP_1)
	v_lshlrev_b32_e32 v149, 6, v1
	s_add_u32 s4, s16, s4
	s_addc_u32 s5, s25, s5
	v_lshl_or_b32 v1, v69, 9, v2
	ds_load_b128 v[119:122], v149
	ds_load_b128 v[123:126], v149 offset:1024
	ds_load_b128 v[127:130], v149 offset:2048
	;; [unrolled: 1-line block ×3, first 2 shown]
	s_clause 0x1
	s_load_b32 s2, s[2:3], 0x0
	s_load_b32 s3, s[4:5], 0x0
	s_add_u32 s6, s22, s15
	s_addc_u32 s7, s23, s18
	v_add_co_u32 v135, s6, s6, v1
	s_delay_alu instid0(VALU_DEP_1) | instskip(SKIP_1) | instid1(VALU_DEP_1)
	v_add_co_ci_u32_e64 v136, null, s7, 0, s6
	s_waitcnt lgkmcnt(0)
	v_mad_i64_i32 v[1:2], null, s28, s17, v[135:136]
	v_mad_i64_i32 v[3:4], null, s29, s17, v[135:136]
	;; [unrolled: 1-line block ×6, first 2 shown]
	s_clause 0x9
	global_load_b128 v[49:52], v[1:2], off
	global_load_b128 v[53:56], v[1:2], off offset:16
	global_load_b128 v[41:44], v[3:4], off
	global_load_b128 v[45:48], v[3:4], off offset:16
	;; [unrolled: 2-line block ×5, first 2 shown]
	v_mad_i64_i32 v[145:146], null, s2, s17, v[135:136]
	v_mad_i64_i32 v[147:148], null, s3, s17, v[135:136]
	s_waitcnt vmcnt(24)
	v_wmma_f32_16x16x16_f16 v[135:142], v[17:24], v[119:126], v[111:118]
	s_waitcnt vmcnt(22)
	v_wmma_f32_16x16x16_f16 v[111:118], v[25:32], v[119:126], v[111:118]
	s_clause 0x3
	global_load_b128 v[17:20], v[143:144], off
	global_load_b128 v[21:24], v[143:144], off offset:16
	global_load_b128 v[25:28], v[145:146], off
	global_load_b128 v[29:32], v[145:146], off offset:16
	v_and_b32_e32 v119, 0xe0, v0
	s_waitcnt vmcnt(24)
	v_wmma_f32_16x16x16_f16 v[135:142], v[57:64], v[127:134], v[135:142]
	s_clause 0x1
	global_load_b128 v[57:60], v[147:148], off
	global_load_b128 v[61:64], v[147:148], off offset:16
	s_waitcnt vmcnt(24)
	v_wmma_f32_16x16x16_f16 v[111:118], v[71:78], v[127:134], v[111:118]
	ds_load_b128 v[71:74], v149 offset:4096
	ds_load_b128 v[75:78], v149 offset:5120
	v_add_nc_u32_e32 v128, s12, v119
	ds_load_b128 v[119:122], v149 offset:6144
	ds_load_b128 v[123:126], v149 offset:7168
	v_mbcnt_lo_u32_b32 v127, -1, 0
	s_waitcnt vmcnt(0) lgkmcnt(0)
	s_barrier
	v_or_b32_e32 v128, v128, v66
	buffer_gl0_inv
	v_xor_b32_e32 v129, 16, v127
	v_or_b32_e32 v130, 4, v128
	v_or_b32_e32 v131, 6, v128
	s_delay_alu instid0(VALU_DEP_3) | instskip(SKIP_4) | instid1(VALU_DEP_4)
	v_cmp_gt_i32_e32 vcc_lo, 32, v129
	v_or_b32_e32 v132, 8, v128
	v_or_b32_e32 v133, 10, v128
	v_cmp_gt_i32_e64 s3, s24, v130
	v_cmp_gt_i32_e64 s4, s24, v131
	v_cmp_gt_i32_e64 s5, s24, v132
	v_wmma_f32_16x16x16_f16 v[135:142], v[79:86], v[71:78], v[135:142]
	v_wmma_f32_16x16x16_f16 v[111:118], v[87:94], v[71:78], v[111:118]
	v_or_b32_e32 v79, 12, v128
	v_or_b32_e32 v80, 14, v128
	v_cmp_gt_i32_e64 s6, s24, v133
	v_wmma_f32_16x16x16_f16 v[135:142], v[95:102], v[119:126], v[135:142]
	v_cndmask_b32_e32 v127, v127, v129, vcc_lo
	v_or_b32_e32 v129, 2, v128
	v_wmma_f32_16x16x16_f16 v[111:118], v[103:110], v[119:126], v[111:118]
	v_cmp_gt_i32_e32 vcc_lo, s24, v128
	v_dual_mul_f32 v88, s19, v135 :: v_dual_mul_f32 v87, s19, v136
	s_delay_alu instid0(VALU_DEP_4) | instskip(NEXT) | instid1(VALU_DEP_4)
	v_cmp_gt_i32_e64 s2, s24, v129
	v_mul_f32_e32 v94, s19, v113
	v_mul_f32_e32 v78, s19, v138
	;; [unrolled: 1-line block ×3, first 2 shown]
	v_cndmask_b32_e32 v88, 0xff7fffff, v88, vcc_lo
	v_cndmask_b32_e64 v87, 0xff7fffff, v87, s2
	v_dual_mul_f32 v76, s19, v140 :: v_dual_mul_f32 v77, s19, v139
	v_mul_f32_e32 v90, s19, v117
	v_cndmask_b32_e64 v86, 0xff7fffff, v86, s3
	v_cndmask_b32_e64 v78, 0xff7fffff, v78, s4
	v_max3_f32 v87, v88, 0xff7fffff, v87
	v_or_b32_e32 v81, 16, v128
	v_or_b32_e32 v82, 18, v128
	v_dual_mul_f32 v74, s19, v142 :: v_dual_mul_f32 v75, s19, v141
	v_mul_f32_e32 v92, s19, v115
	v_cndmask_b32_e64 v77, 0xff7fffff, v77, s5
	v_cndmask_b32_e64 v76, 0xff7fffff, v76, s6
	v_max3_f32 v78, v87, v86, v78
	v_cmp_gt_i32_e64 s7, s24, v79
	v_cmp_gt_i32_e64 s8, s24, v80
	v_or_b32_e32 v83, 20, v128
	v_or_b32_e32 v84, 22, v128
	v_dual_mul_f32 v89, s19, v118 :: v_dual_mul_f32 v96, s19, v111
	v_mul_f32_e32 v95, s19, v112
	v_cndmask_b32_e64 v75, 0xff7fffff, v75, s7
	v_cndmask_b32_e64 v74, 0xff7fffff, v74, s8
	v_max3_f32 v76, v78, v77, v76
	v_cmp_gt_i32_e64 s9, s24, v81
	v_cmp_gt_i32_e64 s10, s24, v82
	v_or_b32_e32 v85, 24, v128
	v_or_b32_e32 v71, 26, v128
	v_mul_f32_e32 v93, s19, v114
	v_cndmask_b32_e64 v77, 0xff7fffff, v96, s9
	v_cndmask_b32_e64 v78, 0xff7fffff, v95, s10
	v_max3_f32 v74, v76, v75, v74
	v_cmp_gt_i32_e64 s11, s24, v83
	v_cmp_gt_i32_e64 s12, s24, v84
	v_or_b32_e32 v72, 28, v128
	v_or_b32_e32 v73, 30, v128
	v_mul_f32_e32 v91, s19, v116
	v_cndmask_b32_e64 v75, 0xff7fffff, v94, s11
	v_cndmask_b32_e64 v76, 0xff7fffff, v93, s12
	v_max3_f32 v74, v74, v77, v78
	v_cmp_gt_i32_e64 s13, s24, v85
	v_cmp_gt_i32_e64 s15, s24, v71
	;; [unrolled: 1-line block ×4, first 2 shown]
	v_max3_f32 v74, v74, v75, v76
	v_cndmask_b32_e64 v77, 0xff7fffff, v92, s13
	v_cndmask_b32_e64 v71, 0xff7fffff, v91, s15
	;; [unrolled: 1-line block ×4, first 2 shown]
	s_delay_alu instid0(VALU_DEP_3) | instskip(SKIP_1) | instid1(VALU_DEP_2)
	v_max3_f32 v71, v74, v77, v71
	v_lshlrev_b32_e32 v74, 2, v127
	v_max3_f32 v71, v71, v72, v73
	ds_bpermute_b32 v72, v74, v71
	s_waitcnt lgkmcnt(0)
	v_max_f32_e32 v72, v72, v72
	s_delay_alu instid0(VALU_DEP_1) | instskip(NEXT) | instid1(VALU_DEP_1)
	v_max_f32_e32 v71, v71, v72
	v_fma_f32 v75, s19, v137, -v71
	v_fma_f32 v76, s19, v138, -v71
	;; [unrolled: 1-line block ×5, first 2 shown]
	s_delay_alu instid0(VALU_DEP_4) | instskip(NEXT) | instid1(VALU_DEP_4)
	v_dual_mul_f32 v75, 0x3fb8aa3b, v75 :: v_dual_mul_f32 v76, 0x3fb8aa3b, v76
	v_mul_f32_e32 v72, 0x3fb8aa3b, v72
	v_fma_f32 v77, s19, v139, -v71
	s_delay_alu instid0(VALU_DEP_4) | instskip(NEXT) | instid1(VALU_DEP_4)
	v_mul_f32_e32 v73, 0x3fb8aa3b, v73
	v_exp_f32_e32 v75, v75
	v_exp_f32_e32 v76, v76
	;; [unrolled: 1-line block ×3, first 2 shown]
	s_delay_alu instid0(VALU_DEP_1) | instskip(SKIP_2) | instid1(TRANS32_DEP_3)
	v_exp_f32_e32 v73, v73
	v_cndmask_b32_e64 v81, 0, v75, s3
	v_mul_f32_e32 v82, 0x3fb8aa3b, v80
	v_cndmask_b32_e64 v80, 0, v76, s4
	s_waitcnt_depctr 0xfff
	v_cndmask_b32_e64 v78, 0, v73, s2
	s_mov_b32 s2, exec_lo
	v_exp_f32_e32 v84, v82
	s_waitcnt_depctr 0xfff
	v_cndmask_b32_e64 v85, 0, v84, s7
	v_cndmask_b32_e32 v79, 0, v72, vcc_lo
	v_fma_f32 v72, s19, v140, -v71
	v_mul_f32_e32 v77, 0x3fb8aa3b, v77
	s_delay_alu instid0(VALU_DEP_2) | instskip(NEXT) | instid1(VALU_DEP_2)
	v_dual_add_f32 v73, 0, v79 :: v_dual_mul_f32 v72, 0x3fb8aa3b, v72
	v_exp_f32_e32 v77, v77
	s_delay_alu instid0(VALU_DEP_1) | instskip(NEXT) | instid1(VALU_DEP_2)
	v_add_f32_e32 v73, v73, v78
	v_exp_f32_e32 v72, v72
	s_delay_alu instid0(VALU_DEP_1) | instskip(SKIP_4) | instid1(VALU_DEP_2)
	v_add_f32_e32 v73, v73, v81
	s_waitcnt_depctr 0xfff
	v_cndmask_b32_e64 v83, 0, v77, s5
	v_add_f32_e32 v73, v73, v80
	v_cndmask_b32_e64 v82, 0, v72, s6
	v_add_f32_e32 v72, v73, v83
	s_delay_alu instid0(VALU_DEP_1)
	v_add_f32_e32 v72, v72, v82
	v_fma_f32 v75, s19, v142, -v71
	v_fma_f32 v76, s19, v111, -v71
	;; [unrolled: 1-line block ×5, first 2 shown]
	s_delay_alu instid0(VALU_DEP_4) | instskip(NEXT) | instid1(VALU_DEP_4)
	v_dual_mul_f32 v75, 0x3fb8aa3b, v75 :: v_dual_mul_f32 v76, 0x3fb8aa3b, v76
	v_mul_f32_e32 v86, 0x3fb8aa3b, v86
	v_add_f32_e32 v72, v72, v85
	s_delay_alu instid0(VALU_DEP_3) | instskip(NEXT) | instid1(VALU_DEP_3)
	v_exp_f32_e32 v75, v75
	v_exp_f32_e32 v76, v76
	s_delay_alu instid0(VALU_DEP_2) | instskip(NEXT) | instid1(TRANS32_DEP_3)
	v_exp_f32_e32 v88, v86
	v_cndmask_b32_e64 v84, 0, v75, s8
	v_mul_f32_e32 v77, 0x3fb8aa3b, v77
	s_waitcnt_depctr 0xfff
	v_cndmask_b32_e64 v87, 0, v76, s9
	v_fma_f32 v76, s19, v116, -v71
	v_dual_mul_f32 v73, 0x3fb8aa3b, v73 :: v_dual_add_f32 v72, v72, v84
	v_exp_f32_e32 v77, v77
	v_fma_f32 v75, s19, v115, -v71
	s_delay_alu instid0(VALU_DEP_3) | instskip(NEXT) | instid1(VALU_DEP_3)
	v_mul_f32_e32 v76, 0x3fb8aa3b, v76
	v_exp_f32_e32 v73, v73
	v_add_f32_e32 v72, v72, v87
	v_cndmask_b32_e64 v88, 0, v88, s12
	s_delay_alu instid0(VALU_DEP_3) | instskip(NEXT) | instid1(TRANS32_DEP_3)
	v_exp_f32_e32 v76, v76
	v_cndmask_b32_e64 v86, 0, v77, s10
	v_mul_f32_e32 v75, 0x3fb8aa3b, v75
	v_fma_f32 v77, s19, v117, -v71
	s_delay_alu instid0(TRANS32_DEP_2) | instskip(NEXT) | instid1(VALU_DEP_4)
	v_cndmask_b32_e64 v89, 0, v73, s11
	v_add_f32_e32 v72, v72, v86
	s_delay_alu instid0(VALU_DEP_4) | instskip(NEXT) | instid1(TRANS32_DEP_2)
	v_exp_f32_e32 v75, v75
	v_cndmask_b32_e64 v90, 0, v76, s15
	s_delay_alu instid0(VALU_DEP_2) | instskip(SKIP_2) | instid1(VALU_DEP_3)
	v_add_f32_e32 v72, v72, v89
	v_mul_f32_e32 v73, 0x3fb8aa3b, v77
	v_fma_f32 v77, s19, v118, -v71
	v_add_f32_e32 v72, v72, v88
	s_delay_alu instid0(VALU_DEP_3) | instskip(NEXT) | instid1(TRANS32_DEP_2)
	v_exp_f32_e32 v73, v73
	v_cndmask_b32_e64 v91, 0, v75, s13
	s_delay_alu instid0(VALU_DEP_1) | instskip(NEXT) | instid1(VALU_DEP_1)
	v_dual_mul_f32 v75, 0x3fb8aa3b, v77 :: v_dual_add_f32 v72, v72, v91
	v_exp_f32_e32 v75, v75
	s_waitcnt_depctr 0xfff
	v_cndmask_b32_e64 v93, 0, v73, s16
	v_add_f32_e32 v72, v72, v90
	s_delay_alu instid0(VALU_DEP_1) | instskip(SKIP_1) | instid1(VALU_DEP_1)
	v_add_f32_e32 v72, v72, v93
	v_cndmask_b32_e64 v92, 0, v75, s17
	v_add_f32_e32 v72, v72, v92
	ds_bpermute_b32 v73, v74, v72
	v_cmpx_gt_u32_e32 16, v70
	s_cbranch_execz .LBB1299_12
; %bb.11:
	v_mul_u32_u24_e32 v70, 0x44, v69
	s_waitcnt lgkmcnt(0)
	v_add_f32_e32 v72, v72, v73
	s_delay_alu instid0(VALU_DEP_2) | instskip(NEXT) | instid1(VALU_DEP_1)
	v_lshl_add_u32 v70, v68, 2, v70
	v_add_nc_u32_e32 v70, 0x4000, v70
	ds_store_2addr_b32 v70, v71, v72 offset1:136
.LBB1299_12:
	s_or_b32 exec_lo, exec_lo, s2
	v_lshlrev_b32_e32 v70, 2, v68
	s_load_b32 s34, s[0:1], 0x94
	s_waitcnt lgkmcnt(0)
	s_barrier
	buffer_gl0_inv
	v_add_nc_u32_e32 v98, 0x4000, v70
	v_cmp_eq_u32_e32 vcc_lo, 1, v69
	v_cmp_eq_u32_e64 s2, 2, v69
	v_cmp_eq_u32_e64 s3, 3, v69
	;; [unrolled: 1-line block ×3, first 2 shown]
	ds_load_2addr_b32 v[70:71], v98 offset1:17
	ds_load_2addr_b32 v[72:73], v98 offset0:34 offset1:51
	ds_load_2addr_b32 v[74:75], v98 offset0:68 offset1:85
	;; [unrolled: 1-line block ×3, first 2 shown]
	v_cmp_eq_u32_e64 s5, 5, v69
	v_cmp_eq_u32_e64 s6, 7, v69
	s_waitcnt lgkmcnt(3)
	v_max3_f32 v76, v70, 0xff7fffff, v71
	s_waitcnt lgkmcnt(2)
	s_delay_alu instid0(VALU_DEP_1) | instskip(SKIP_1) | instid1(VALU_DEP_1)
	v_max3_f32 v76, v76, v72, v73
	s_waitcnt lgkmcnt(1)
	v_max3_f32 v76, v76, v74, v75
	s_waitcnt lgkmcnt(0)
	s_delay_alu instid0(VALU_DEP_1) | instskip(NEXT) | instid1(VALU_DEP_1)
	v_max3_f32 v76, v76, v94, v95
	v_sub_f32_e32 v77, v71, v76
	ds_load_2addr_b32 v[96:97], v98 offset0:136 offset1:153
	v_sub_f32_e32 v74, v74, v76
	v_sub_f32_e32 v70, v70, v76
	;; [unrolled: 1-line block ×3, first 2 shown]
	v_dual_sub_f32 v72, v72, v76 :: v_dual_mul_f32 v77, 0x3fb8aa3b, v77
	s_delay_alu instid0(VALU_DEP_4) | instskip(NEXT) | instid1(VALU_DEP_4)
	v_mul_f32_e32 v103, 0x3fb8aa3b, v74
	v_mul_f32_e32 v99, 0x3fb8aa3b, v70
	ds_load_2addr_b32 v[70:71], v98 offset0:170 offset1:187
	v_dual_mul_f32 v101, 0x3fb8aa3b, v72 :: v_dual_mul_f32 v94, 0x3fb8aa3b, v94
	v_exp_f32_e32 v102, v77
	v_exp_f32_e32 v99, v99
	s_delay_alu instid0(VALU_DEP_1) | instskip(NEXT) | instid1(VALU_DEP_1)
	v_exp_f32_e32 v101, v101
	v_exp_f32_e32 v94, v94
	s_waitcnt lgkmcnt(1)
	s_delay_alu instid0(TRANS32_DEP_3)
	v_fma_f32 v77, v99, v96, 0
	v_sub_f32_e32 v100, v73, v76
	ds_load_2addr_b32 v[72:73], v98 offset0:204 offset1:221
	v_fmac_f32_e32 v77, v102, v97
	v_exp_f32_e32 v97, v103
	s_waitcnt lgkmcnt(1)
	s_delay_alu instid0(VALU_DEP_1)
	v_dual_fmac_f32 v77, v101, v70 :: v_dual_sub_f32 v96, v75, v76
	ds_load_2addr_b32 v[74:75], v98 offset0:238 offset1:255
	v_sub_f32_e32 v70, v95, v76
	s_waitcnt lgkmcnt(0)
	s_barrier
	v_mul_f32_e32 v96, 0x3fb8aa3b, v96
	buffer_gl0_inv
	v_exp_f32_e32 v95, v96
	v_mul_f32_e32 v100, 0x3fb8aa3b, v100
	s_delay_alu instid0(VALU_DEP_1) | instskip(SKIP_3) | instid1(VALU_DEP_2)
	v_exp_f32_e32 v100, v100
	s_waitcnt_depctr 0xfff
	v_dual_fmac_f32 v77, v100, v71 :: v_dual_mul_f32 v70, 0x3fb8aa3b, v70
	v_cndmask_b32_e32 v71, v99, v102, vcc_lo
	v_fmac_f32_e32 v77, v97, v72
	s_delay_alu instid0(VALU_DEP_3) | instskip(NEXT) | instid1(VALU_DEP_1)
	v_exp_f32_e32 v96, v70
	v_fmac_f32_e32 v77, v95, v73
	s_delay_alu instid0(VALU_DEP_1) | instskip(SKIP_2) | instid1(VALU_DEP_1)
	v_fmac_f32_e32 v77, v94, v74
	s_waitcnt_depctr 0xfff
	v_fmac_f32_e32 v77, v96, v75
	v_add_f32_e32 v74, 0x358637bd, v77
	s_delay_alu instid0(VALU_DEP_1) | instskip(SKIP_1) | instid1(VALU_DEP_2)
	v_div_scale_f32 v98, null, v74, v74, 1.0
	v_div_scale_f32 v99, vcc_lo, 1.0, v74, 1.0
	v_rcp_f32_e32 v103, v98
	s_waitcnt_depctr 0xfff
	v_fma_f32 v70, -v98, v103, 1.0
	s_delay_alu instid0(VALU_DEP_1) | instskip(SKIP_2) | instid1(VALU_DEP_2)
	v_fmac_f32_e32 v103, v70, v103
	v_cndmask_b32_e64 v70, v71, v101, s2
	v_cmp_eq_u32_e64 s2, 6, v69
	v_cndmask_b32_e64 v71, v70, v100, s3
	s_delay_alu instid0(VALU_DEP_4) | instskip(NEXT) | instid1(VALU_DEP_2)
	v_dual_mul_f32 v101, v99, v103 :: v_dual_lshlrev_b32 v70, 2, v66
	v_cndmask_b32_e64 v71, v71, v97, s4
	s_delay_alu instid0(VALU_DEP_2) | instskip(NEXT) | instid1(VALU_DEP_3)
	v_or_b32_e32 v72, 1, v70
	v_fma_f32 v100, -v98, v101, v99
	v_cmp_eq_u32_e64 s3, 1, v70
	v_cmp_eq_u32_e64 s4, 2, v70
	v_cndmask_b32_e64 v95, v71, v95, s5
	v_or_b32_e32 v71, 3, v70
	v_fmac_f32_e32 v101, v100, v103
	v_cmp_eq_u32_e64 s8, 1, v72
	v_cmp_eq_u32_e64 s11, 2, v72
	v_cndmask_b32_e64 v94, v95, v94, s2
	v_cmp_eq_u32_e64 s10, 1, v71
	v_fma_f32 v97, -v98, v101, v99
	v_cmp_eq_u32_e64 s15, 2, v71
	v_cmp_eq_u32_e64 s12, 3, v72
	v_cndmask_b32_e64 v94, v94, v96, s6
	v_cmp_eq_u32_e64 s17, 3, v71
	v_div_fmas_f32 v95, v97, v103, v101
	v_cmp_eq_u32_e32 vcc_lo, 3, v70
	v_cmp_eq_u32_e64 s2, 4, v70
	v_cmp_eq_u32_e64 s18, 4, v72
	;; [unrolled: 1-line block ×3, first 2 shown]
	v_div_fixup_f32 v95, v95, v74, 1.0
	v_lshlrev_b32_e32 v73, 6, v68
	v_cmp_eq_u32_e64 s5, 5, v70
	v_cmp_eq_u32_e64 s19, 5, v72
	;; [unrolled: 1-line block ×3, first 2 shown]
	v_mul_f32_e32 v102, v94, v95
	v_lshl_or_b32 v75, v69, 11, v73
	v_or_b32_e32 v69, 2, v70
	v_cmp_eq_u32_e64 s24, 6, v72
	v_cmp_eq_u32_e64 s26, 6, v71
	v_fma_mixlo_f16 v94, v102, v79, 0
	v_fma_mixlo_f16 v95, v102, v81, 0
	;; [unrolled: 1-line block ×8, first 2 shown]
	v_lshl_or_b32 v74, v66, 4, v75
	v_fma_mixhi_f16 v94, v102, v78, 0
	v_fma_mixhi_f16 v95, v102, v80, 0
	;; [unrolled: 1-line block ×8, first 2 shown]
	ds_store_b128 v74, v[94:97]
	ds_store_b128 v74, v[98:101] offset:1024
	s_waitcnt lgkmcnt(0)
	s_barrier
	buffer_gl0_inv
	ds_load_b128 v[78:81], v75
	ds_load_b128 v[82:85], v75 offset:16
	ds_load_b128 v[86:89], v75 offset:1024
	;; [unrolled: 1-line block ×3, first 2 shown]
	v_cmp_eq_u32_e64 s9, 1, v69
	v_cmp_eq_u32_e64 s13, 2, v69
	;; [unrolled: 1-line block ×11, first 2 shown]
	s_waitcnt lgkmcnt(3)
	v_lshrrev_b32_e32 v94, 16, v78
	s_waitcnt lgkmcnt(2)
	v_lshrrev_b32_e32 v98, 16, v82
	;; [unrolled: 2-line block ×4, first 2 shown]
	v_lshrrev_b32_e32 v95, 16, v79
	v_cndmask_b32_e64 v110, v78, v94, s3
	v_cndmask_b32_e64 v111, v82, v98, s3
	;; [unrolled: 1-line block ×8, first 2 shown]
	v_lshrrev_b32_e32 v99, 16, v83
	v_cndmask_b32_e64 v94, v86, v102, s3
	v_cndmask_b32_e64 v98, v90, v106, s3
	;; [unrolled: 1-line block ×15, first 2 shown]
	v_lshrrev_b32_e32 v103, 16, v87
	v_lshrrev_b32_e32 v107, 16, v91
	v_cndmask_b32_e64 v113, v115, v83, s13
	v_cndmask_b32_e64 v82, v94, v87, s4
	;; [unrolled: 1-line block ×7, first 2 shown]
	v_cndmask_b32_e32 v90, v102, v95, vcc_lo
	v_cndmask_b32_e32 v102, v106, v99, vcc_lo
	v_cndmask_b32_e64 v106, v110, v95, s12
	v_cndmask_b32_e64 v110, v111, v99, s12
	;; [unrolled: 1-line block ×4, first 2 shown]
	v_lshrrev_b32_e32 v96, 16, v80
	v_lshrrev_b32_e32 v100, 16, v84
	v_cndmask_b32_e64 v111, v112, v95, s16
	v_cndmask_b32_e64 v112, v113, v99, s16
	v_cndmask_b32_e32 v82, v82, v103, vcc_lo
	v_cndmask_b32_e32 v83, v83, v107, vcc_lo
	v_cndmask_b32_e64 v94, v94, v103, s12
	v_cndmask_b32_e64 v90, v90, v80, s2
	;; [unrolled: 1-line block ×7, first 2 shown]
	v_lshrrev_b32_e32 v104, 16, v88
	v_cndmask_b32_e64 v106, v111, v80, s20
	v_cndmask_b32_e64 v110, v112, v84, s20
	;; [unrolled: 1-line block ×11, first 2 shown]
	v_lshrrev_b32_e32 v97, 16, v81
	v_lshrrev_b32_e32 v101, 16, v85
	v_cndmask_b32_e64 v99, v106, v96, s22
	v_cndmask_b32_e64 v102, v110, v100, s22
	;; [unrolled: 1-line block ×7, first 2 shown]
	v_lshrrev_b32_e32 v105, 16, v89
	v_cndmask_b32_e64 v80, v80, v104, s5
	v_cndmask_b32_e64 v84, v84, v81, s6
	;; [unrolled: 1-line block ×16, first 2 shown]
	v_perm_b32 v81, v79, v78, 0x5040100
	v_perm_b32 v79, v95, v85, 0x5040100
	v_cndmask_b32_e64 v78, v119, v91, s13
	v_cndmask_b32_e64 v85, v117, v91, s11
	;; [unrolled: 1-line block ×3, first 2 shown]
	v_perm_b32 v80, v94, v90, 0x5040100
	v_cndmask_b32_e64 v90, v98, v103, s16
	v_cndmask_b32_e64 v86, v86, v103, s17
	;; [unrolled: 1-line block ×5, first 2 shown]
	v_lshrrev_b32_e32 v108, 16, v92
	v_cndmask_b32_e64 v90, v90, v88, s20
	v_cndmask_b32_e64 v86, v86, v88, s21
	;; [unrolled: 1-line block ×11, first 2 shown]
	v_lshrrev_b32_e32 v109, 16, v93
	v_cndmask_b32_e64 v82, v82, v93, s6
	v_cndmask_b32_e64 v88, v88, v89, s25
	;; [unrolled: 1-line block ×12, first 2 shown]
	v_perm_b32 v78, v84, v83, 0x5040100
	v_perm_b32 v85, v87, v86, 0x5040100
	;; [unrolled: 1-line block ×5, first 2 shown]
	s_mul_i32 s7, s33, 6
	s_mov_b32 s2, exec_lo
	ds_store_b128 v74, v[78:81]
	ds_store_b128 v74, v[82:85] offset:1024
	v_cmpx_gt_u32_e32 6, v0
	s_cbranch_execz .LBB1299_14
; %bb.13:
	s_mul_i32 s3, s7, s30
	s_load_b128 s[8:11], s[0:1], 0x58
	v_add3_u32 v68, s3, s31, v68
	s_delay_alu instid0(VALU_DEP_1) | instskip(NEXT) | instid1(VALU_DEP_1)
	v_mad_u64_u32 v[78:79], null, v68, s34, s[14:15]
	v_ashrrev_i32_e32 v79, 31, v78
	s_delay_alu instid0(VALU_DEP_1) | instskip(SKIP_1) | instid1(VALU_DEP_1)
	v_lshlrev_b64 v[78:79], 2, v[78:79]
	s_waitcnt lgkmcnt(0)
	v_add_co_u32 v80, vcc_lo, s10, v78
	s_delay_alu instid0(VALU_DEP_2)
	v_add_co_ci_u32_e32 v81, vcc_lo, s11, v79, vcc_lo
	v_add_co_u32 v78, vcc_lo, s8, v78
	v_add_co_ci_u32_e32 v79, vcc_lo, s9, v79, vcc_lo
	global_store_b32 v[80:81], v76, off
	global_store_b32 v[78:79], v77, off
.LBB1299_14:
	s_or_b32 exec_lo, exec_lo, s2
	s_waitcnt lgkmcnt(0)
	s_waitcnt_vscnt null, 0x0
	s_barrier
	buffer_gl0_inv
	ds_load_b128 v[84:87], v73
	ds_load_b128 v[88:91], v73 offset:16
	ds_load_b128 v[96:99], v73 offset:2064
	;; [unrolled: 1-line block ×5, first 2 shown]
	v_cmp_eq_u32_e32 vcc_lo, 1, v70
	v_mov_b32_e32 v76, 0
	ds_load_b128 v[112:115], v73 offset:6160
	ds_load_b128 v[108:111], v73 offset:6144
	;; [unrolled: 1-line block ×4, first 2 shown]
	v_cmp_eq_u32_e64 s3, 1, v69
	v_cmp_eq_u32_e64 s2, 1, v72
	;; [unrolled: 1-line block ×3, first 2 shown]
	v_mov_b32_e32 v77, v76
	v_mov_b32_e32 v78, v76
	v_mov_b32_e32 v79, v76
	v_mov_b32_e32 v80, v76
	v_mov_b32_e32 v81, v76
	v_mov_b32_e32 v82, v76
	v_mov_b32_e32 v83, v76
	v_cmp_eq_u32_e64 s5, 3, v72
	v_cmp_eq_u32_e64 s6, 7, v72
	s_waitcnt lgkmcnt(8)
	s_delay_alu instid0(VALU_DEP_3)
	v_wmma_f32_16x16x16_f16 v[76:83], v[49:56], v[84:91], v[76:83]
	ds_load_b128 v[53:56], v73 offset:10256
	ds_load_b128 v[49:52], v73 offset:10240
	s_waitcnt lgkmcnt(8)
	v_wmma_f32_16x16x16_f16 v[76:83], v[41:48], v[92:99], v[76:83]
	ds_load_b128 v[45:48], v73 offset:12304
	ds_load_b128 v[41:44], v73 offset:12288
	s_waitcnt lgkmcnt(8)
	;; [unrolled: 4-line block ×3, first 2 shown]
	s_barrier
	buffer_gl0_inv
	v_wmma_f32_16x16x16_f16 v[76:83], v[1:8], v[108:115], v[76:83]
	s_delay_alu instid0(VALU_DEP_1) | instskip(NEXT) | instid1(VALU_DEP_1)
	v_wmma_f32_16x16x16_f16 v[76:83], v[9:16], v[116:123], v[76:83]
	v_wmma_f32_16x16x16_f16 v[76:83], v[17:24], v[49:56], v[76:83]
	s_delay_alu instid0(VALU_DEP_1) | instskip(NEXT) | instid1(VALU_DEP_1)
	v_wmma_f32_16x16x16_f16 v[76:83], v[25:32], v[41:48], v[76:83]
	v_wmma_f32_16x16x16_f16 v[76:83], v[57:64], v[33:40], v[76:83]
	s_delay_alu instid0(VALU_DEP_1) | instskip(NEXT) | instid1(VALU_DEP_2)
	v_cvt_f16_f32_e32 v1, v76
	v_cvt_f16_f32_e32 v2, v77
	s_delay_alu instid0(VALU_DEP_3) | instskip(NEXT) | instid1(VALU_DEP_4)
	v_cvt_f16_f32_e32 v3, v78
	v_cvt_f16_f32_e32 v4, v79
	;; [unrolled: 1-line block ×6, first 2 shown]
	v_pack_b32_f16 v1, v1, v2
	v_pack_b32_f16 v2, v3, v4
	v_pack_b32_f16 v3, v5, v6
	s_delay_alu instid0(VALU_DEP_4)
	v_pack_b32_f16 v4, v7, v8
	ds_store_b128 v74, v[1:4]
	s_waitcnt lgkmcnt(0)
	s_barrier
	buffer_gl0_inv
	ds_load_b128 v[1:4], v75
	ds_load_b128 v[5:8], v75 offset:16
	s_waitcnt lgkmcnt(1)
	v_lshrrev_b32_e32 v9, 16, v1
	s_waitcnt lgkmcnt(0)
	v_lshrrev_b32_e32 v13, 16, v5
	v_lshrrev_b32_e32 v10, 16, v2
	;; [unrolled: 1-line block ×4, first 2 shown]
	v_cndmask_b32_e32 v17, v1, v9, vcc_lo
	v_cndmask_b32_e32 v18, v5, v13, vcc_lo
	v_cndmask_b32_e64 v21, v1, v9, s3
	v_cmp_eq_u32_e32 vcc_lo, 1, v71
	v_cndmask_b32_e64 v22, v5, v13, s3
	v_cmp_eq_u32_e64 s3, 2, v70
	v_cndmask_b32_e64 v19, v1, v9, s2
	v_cndmask_b32_e64 v20, v5, v13, s2
	v_cndmask_b32_e32 v1, v1, v9, vcc_lo
	v_cmp_eq_u32_e64 s2, 2, v71
	v_cndmask_b32_e32 v5, v5, v13, vcc_lo
	v_cndmask_b32_e64 v9, v17, v2, s3
	v_cmp_eq_u32_e32 vcc_lo, 3, v70
	v_cndmask_b32_e64 v13, v18, v6, s3
	v_cmp_eq_u32_e64 s3, 2, v69
	v_cndmask_b32_e64 v17, v19, v2, s4
	v_cndmask_b32_e64 v18, v20, v6, s4
	v_cmp_eq_u32_e64 s4, 3, v69
	v_cndmask_b32_e64 v1, v1, v2, s2
	v_cndmask_b32_e64 v19, v21, v2, s3
	;; [unrolled: 1-line block ×4, first 2 shown]
	v_cndmask_b32_e32 v5, v9, v10, vcc_lo
	v_cndmask_b32_e32 v6, v13, v14, vcc_lo
	v_cmp_eq_u32_e32 vcc_lo, 3, v71
	v_cndmask_b32_e64 v9, v17, v10, s5
	v_cndmask_b32_e64 v13, v18, v14, s5
	;; [unrolled: 1-line block ×3, first 2 shown]
	v_cmp_eq_u32_e64 s3, 4, v70
	v_cndmask_b32_e32 v1, v1, v10, vcc_lo
	v_cndmask_b32_e32 v2, v2, v14, vcc_lo
	v_cmp_eq_u32_e32 vcc_lo, 4, v72
	v_lshrrev_b32_e32 v15, 16, v7
	v_lshrrev_b32_e32 v16, 16, v8
	v_cndmask_b32_e64 v17, v19, v10, s4
	v_cmp_eq_u32_e64 s2, 4, v71
	v_cndmask_b32_e64 v5, v5, v3, s3
	v_cndmask_b32_e64 v6, v6, v7, s3
	v_cndmask_b32_e32 v9, v9, v3, vcc_lo
	v_cmp_eq_u32_e64 s3, 5, v72
	v_cndmask_b32_e32 v10, v13, v7, vcc_lo
	v_cmp_eq_u32_e32 vcc_lo, 4, v69
	v_cmp_eq_u32_e64 s4, 5, v70
	v_cndmask_b32_e64 v2, v2, v7, s2
	v_cndmask_b32_e64 v9, v9, v11, s3
	;; [unrolled: 1-line block ×3, first 2 shown]
	v_cndmask_b32_e32 v13, v17, v3, vcc_lo
	v_cmp_eq_u32_e64 s3, 5, v69
	v_cndmask_b32_e32 v14, v18, v7, vcc_lo
	v_cndmask_b32_e64 v1, v1, v3, s2
	v_cmp_eq_u32_e32 vcc_lo, 5, v71
	v_lshrrev_b32_e32 v12, 16, v4
	v_cndmask_b32_e64 v13, v13, v11, s3
	v_cndmask_b32_e64 v3, v14, v15, s3
	v_cmp_eq_u32_e64 s3, 6, v71
	v_cndmask_b32_e32 v1, v1, v11, vcc_lo
	v_cndmask_b32_e64 v5, v5, v11, s4
	v_cmp_eq_u32_e64 s5, 6, v70
	v_cndmask_b32_e64 v6, v6, v15, s4
	v_cmp_eq_u32_e64 s4, 6, v72
	v_cmp_eq_u32_e64 s2, 6, v69
	v_cndmask_b32_e64 v1, v1, v4, s3
	v_cndmask_b32_e32 v2, v2, v15, vcc_lo
	v_cmp_eq_u32_e32 vcc_lo, 7, v71
	v_cndmask_b32_e64 v5, v5, v4, s5
	v_cndmask_b32_e64 v9, v9, v4, s4
	;; [unrolled: 1-line block ×3, first 2 shown]
	v_cmp_eq_u32_e64 s5, 7, v70
	v_cndmask_b32_e32 v1, v1, v12, vcc_lo
	v_cndmask_b32_e64 v7, v13, v4, s2
	v_cndmask_b32_e64 v3, v3, v8, s2
	;; [unrolled: 1-line block ×3, first 2 shown]
	v_cmp_eq_u32_e64 s2, 7, v69
	v_cndmask_b32_e64 v4, v10, v8, s4
	v_cndmask_b32_e64 v5, v5, v12, s5
	;; [unrolled: 1-line block ×3, first 2 shown]
	v_cndmask_b32_e32 v2, v2, v16, vcc_lo
	v_cndmask_b32_e64 v7, v7, v12, s2
	v_cndmask_b32_e64 v3, v3, v16, s2
	;; [unrolled: 1-line block ×4, first 2 shown]
	v_perm_b32 v4, v2, v1, 0x5040100
	s_mov_b32 s2, exec_lo
	v_perm_b32 v3, v3, v7, 0x5040100
	v_perm_b32 v2, v8, v9, 0x5040100
	;; [unrolled: 1-line block ×3, first 2 shown]
	ds_store_b128 v74, v[1:4]
	s_waitcnt lgkmcnt(0)
	s_barrier
	buffer_gl0_inv
	v_cmpx_gt_u32_e32 32, v0
	s_cbranch_execz .LBB1299_2
; %bb.15:
	s_load_b64 s[0:1], s[0:1], 0x68
	s_lshl_b32 s4, s34, 7
	v_or_b32_e32 v3, s31, v66
	s_mul_i32 s2, s4, s30
	v_lshlrev_b32_e32 v0, 10, v0
	s_mul_i32 s2, s2, s7
	v_lshlrev_b32_e32 v1, 4, v67
	s_ashr_i32 s3, s2, 31
	v_mul_lo_u32 v12, v3, s4
	s_lshl_b64 s[2:3], s[2:3], 1
	v_lshlrev_b32_e32 v2, 6, v66
	v_and_b32_e32 v0, 0x3800, v0
	s_delay_alu instid0(VALU_DEP_1) | instskip(NEXT) | instid1(VALU_DEP_4)
	v_or3_b32 v8, v0, v1, v2
	v_ashrrev_i32_e32 v13, 31, v12
	ds_load_b128 v[0:3], v8
	ds_load_b128 v[4:7], v8 offset:128
	ds_load_b128 v[8:11], v8 offset:256
	s_waitcnt lgkmcnt(0)
	s_add_u32 s2, s0, s2
	s_addc_u32 s3, s1, s3
	s_lshl_b32 s0, s14, 7
	s_delay_alu instid0(SALU_CYCLE_1) | instskip(NEXT) | instid1(SALU_CYCLE_1)
	s_ashr_i32 s1, s0, 31
	s_lshl_b64 s[0:1], s[0:1], 1
	s_delay_alu instid0(SALU_CYCLE_1)
	s_add_u32 s0, s2, s0
	s_addc_u32 s1, s3, s1
	s_lshl_b32 s2, s34, 8
	v_add_co_u32 v18, s0, s0, v65
	v_add_nc_u32_e32 v14, s2, v12
	v_lshlrev_b64 v[12:13], 1, v[12:13]
	v_add_co_ci_u32_e64 v19, null, s1, 0, s0
	s_delay_alu instid0(VALU_DEP_3) | instskip(SKIP_1) | instid1(VALU_DEP_4)
	v_add_nc_u32_e32 v16, s2, v14
	v_ashrrev_i32_e32 v15, 31, v14
	v_add_co_u32 v12, vcc_lo, v18, v12
	s_delay_alu instid0(VALU_DEP_4) | instskip(NEXT) | instid1(VALU_DEP_4)
	v_add_co_ci_u32_e32 v13, vcc_lo, v19, v13, vcc_lo
	v_ashrrev_i32_e32 v17, 31, v16
	s_delay_alu instid0(VALU_DEP_4) | instskip(NEXT) | instid1(VALU_DEP_2)
	v_lshlrev_b64 v[14:15], 1, v[14:15]
	v_lshlrev_b64 v[16:17], 1, v[16:17]
	s_delay_alu instid0(VALU_DEP_2) | instskip(NEXT) | instid1(VALU_DEP_3)
	v_add_co_u32 v14, vcc_lo, v18, v14
	v_add_co_ci_u32_e32 v15, vcc_lo, v19, v15, vcc_lo
	s_delay_alu instid0(VALU_DEP_3) | instskip(NEXT) | instid1(VALU_DEP_4)
	v_add_co_u32 v16, vcc_lo, v18, v16
	v_add_co_ci_u32_e32 v17, vcc_lo, v19, v17, vcc_lo
	s_clause 0x2
	global_store_b128 v[12:13], v[0:3], off
	global_store_b128 v[14:15], v[4:7], off
	;; [unrolled: 1-line block ×3, first 2 shown]
	s_nop 0
	s_sendmsg sendmsg(MSG_DEALLOC_VGPRS)
	s_endpgm
	.section	.rodata,"a",@progbits
	.p2align	6, 0x0
	.amdhsa_kernel _Z39paged_attention_ll4mi_QKV_mfma16_kernelIDF16_hLN4vllm18Fp8KVCacheDataTypeE1EhLi32ELi128ELi256ELb0ELi6EL8MFMAType0EEvPKT_PKT0_S8_ifPKiSA_SA_iPKfiiiPfSD_PS3_PT2_iSC_SC_
		.amdhsa_group_segment_fixed_size 17472
		.amdhsa_private_segment_fixed_size 0
		.amdhsa_kernarg_size 400
		.amdhsa_user_sgpr_count 13
		.amdhsa_user_sgpr_dispatch_ptr 0
		.amdhsa_user_sgpr_queue_ptr 0
		.amdhsa_user_sgpr_kernarg_segment_ptr 1
		.amdhsa_user_sgpr_dispatch_id 0
		.amdhsa_user_sgpr_private_segment_size 0
		.amdhsa_wavefront_size32 1
		.amdhsa_uses_dynamic_stack 0
		.amdhsa_enable_private_segment 0
		.amdhsa_system_sgpr_workgroup_id_x 1
		.amdhsa_system_sgpr_workgroup_id_y 1
		.amdhsa_system_sgpr_workgroup_id_z 1
		.amdhsa_system_sgpr_workgroup_info 0
		.amdhsa_system_vgpr_workitem_id 0
		.amdhsa_next_free_vgpr 150
		.amdhsa_next_free_sgpr 37
		.amdhsa_reserve_vcc 1
		.amdhsa_float_round_mode_32 0
		.amdhsa_float_round_mode_16_64 0
		.amdhsa_float_denorm_mode_32 3
		.amdhsa_float_denorm_mode_16_64 3
		.amdhsa_dx10_clamp 1
		.amdhsa_ieee_mode 1
		.amdhsa_fp16_overflow 0
		.amdhsa_workgroup_processor_mode 1
		.amdhsa_memory_ordered 1
		.amdhsa_forward_progress 0
		.amdhsa_shared_vgpr_count 0
		.amdhsa_exception_fp_ieee_invalid_op 0
		.amdhsa_exception_fp_denorm_src 0
		.amdhsa_exception_fp_ieee_div_zero 0
		.amdhsa_exception_fp_ieee_overflow 0
		.amdhsa_exception_fp_ieee_underflow 0
		.amdhsa_exception_fp_ieee_inexact 0
		.amdhsa_exception_int_div_zero 0
	.end_amdhsa_kernel
	.section	.text._Z39paged_attention_ll4mi_QKV_mfma16_kernelIDF16_hLN4vllm18Fp8KVCacheDataTypeE1EhLi32ELi128ELi256ELb0ELi6EL8MFMAType0EEvPKT_PKT0_S8_ifPKiSA_SA_iPKfiiiPfSD_PS3_PT2_iSC_SC_,"axG",@progbits,_Z39paged_attention_ll4mi_QKV_mfma16_kernelIDF16_hLN4vllm18Fp8KVCacheDataTypeE1EhLi32ELi128ELi256ELb0ELi6EL8MFMAType0EEvPKT_PKT0_S8_ifPKiSA_SA_iPKfiiiPfSD_PS3_PT2_iSC_SC_,comdat
.Lfunc_end1299:
	.size	_Z39paged_attention_ll4mi_QKV_mfma16_kernelIDF16_hLN4vllm18Fp8KVCacheDataTypeE1EhLi32ELi128ELi256ELb0ELi6EL8MFMAType0EEvPKT_PKT0_S8_ifPKiSA_SA_iPKfiiiPfSD_PS3_PT2_iSC_SC_, .Lfunc_end1299-_Z39paged_attention_ll4mi_QKV_mfma16_kernelIDF16_hLN4vllm18Fp8KVCacheDataTypeE1EhLi32ELi128ELi256ELb0ELi6EL8MFMAType0EEvPKT_PKT0_S8_ifPKiSA_SA_iPKfiiiPfSD_PS3_PT2_iSC_SC_
                                        ; -- End function
	.section	.AMDGPU.csdata,"",@progbits
; Kernel info:
; codeLenInByte = 6640
; NumSgprs: 39
; NumVgprs: 150
; ScratchSize: 0
; MemoryBound: 0
; FloatMode: 240
; IeeeMode: 1
; LDSByteSize: 17472 bytes/workgroup (compile time only)
; SGPRBlocks: 4
; VGPRBlocks: 18
; NumSGPRsForWavesPerEU: 39
; NumVGPRsForWavesPerEU: 150
; Occupancy: 9
; WaveLimiterHint : 1
; COMPUTE_PGM_RSRC2:SCRATCH_EN: 0
; COMPUTE_PGM_RSRC2:USER_SGPR: 13
; COMPUTE_PGM_RSRC2:TRAP_HANDLER: 0
; COMPUTE_PGM_RSRC2:TGID_X_EN: 1
; COMPUTE_PGM_RSRC2:TGID_Y_EN: 1
; COMPUTE_PGM_RSRC2:TGID_Z_EN: 1
; COMPUTE_PGM_RSRC2:TIDIG_COMP_CNT: 0
	.section	.text._Z39paged_attention_ll4mi_QKV_mfma16_kernelIDF16_hLN4vllm18Fp8KVCacheDataTypeE1EhLi32ELi128ELi256ELb0ELi7EL8MFMAType0EEvPKT_PKT0_S8_ifPKiSA_SA_iPKfiiiPfSD_PS3_PT2_iSC_SC_,"axG",@progbits,_Z39paged_attention_ll4mi_QKV_mfma16_kernelIDF16_hLN4vllm18Fp8KVCacheDataTypeE1EhLi32ELi128ELi256ELb0ELi7EL8MFMAType0EEvPKT_PKT0_S8_ifPKiSA_SA_iPKfiiiPfSD_PS3_PT2_iSC_SC_,comdat
	.protected	_Z39paged_attention_ll4mi_QKV_mfma16_kernelIDF16_hLN4vllm18Fp8KVCacheDataTypeE1EhLi32ELi128ELi256ELb0ELi7EL8MFMAType0EEvPKT_PKT0_S8_ifPKiSA_SA_iPKfiiiPfSD_PS3_PT2_iSC_SC_ ; -- Begin function _Z39paged_attention_ll4mi_QKV_mfma16_kernelIDF16_hLN4vllm18Fp8KVCacheDataTypeE1EhLi32ELi128ELi256ELb0ELi7EL8MFMAType0EEvPKT_PKT0_S8_ifPKiSA_SA_iPKfiiiPfSD_PS3_PT2_iSC_SC_
	.globl	_Z39paged_attention_ll4mi_QKV_mfma16_kernelIDF16_hLN4vllm18Fp8KVCacheDataTypeE1EhLi32ELi128ELi256ELb0ELi7EL8MFMAType0EEvPKT_PKT0_S8_ifPKiSA_SA_iPKfiiiPfSD_PS3_PT2_iSC_SC_
	.p2align	8
	.type	_Z39paged_attention_ll4mi_QKV_mfma16_kernelIDF16_hLN4vllm18Fp8KVCacheDataTypeE1EhLi32ELi128ELi256ELb0ELi7EL8MFMAType0EEvPKT_PKT0_S8_ifPKiSA_SA_iPKfiiiPfSD_PS3_PT2_iSC_SC_,@function
_Z39paged_attention_ll4mi_QKV_mfma16_kernelIDF16_hLN4vllm18Fp8KVCacheDataTypeE1EhLi32ELi128ELi256ELb0ELi7EL8MFMAType0EEvPKT_PKT0_S8_ifPKiSA_SA_iPKfiiiPfSD_PS3_PT2_iSC_SC_: ; @_Z39paged_attention_ll4mi_QKV_mfma16_kernelIDF16_hLN4vllm18Fp8KVCacheDataTypeE1EhLi32ELi128ELi256ELb0ELi7EL8MFMAType0EEvPKT_PKT0_S8_ifPKiSA_SA_iPKfiiiPfSD_PS3_PT2_iSC_SC_
; %bb.0:
	s_load_b64 s[4:5], s[0:1], 0x30
	s_mov_b32 s34, s13
	s_waitcnt lgkmcnt(0)
	s_cmp_lg_u64 s[4:5], 0
	s_cselect_b32 s8, -1, 0
	s_ashr_i32 s35, s13, 31
	s_cmp_eq_u64 s[4:5], 0
	s_cbranch_scc1 .LBB1300_3
; %bb.1:
	s_lshl_b64 s[2:3], s[34:35], 2
	s_delay_alu instid0(SALU_CYCLE_1) | instskip(SKIP_4) | instid1(SALU_CYCLE_1)
	s_add_u32 s2, s4, s2
	s_addc_u32 s3, s5, s3
	s_load_b64 s[2:3], s[2:3], 0x0
	s_waitcnt lgkmcnt(0)
	s_sub_i32 s2, s3, s2
	s_cmp_eq_u32 s2, 1
	s_cselect_b32 s2, -1, 0
	s_delay_alu instid0(SALU_CYCLE_1)
	s_and_not1_b32 vcc_lo, exec_lo, s2
	s_cbranch_vccz .LBB1300_4
.LBB1300_2:
	s_nop 0
	s_sendmsg sendmsg(MSG_DEALLOC_VGPRS)
	s_endpgm
.LBB1300_3:
.LBB1300_4:
	s_load_b64 s[2:3], s[0:1], 0x28
	s_lshl_b64 s[6:7], s[34:35], 2
	s_waitcnt lgkmcnt(0)
	s_add_u32 s2, s2, s6
	s_addc_u32 s3, s3, s7
	s_lshl_b32 s12, s14, 8
	s_load_b32 s24, s[2:3], 0x0
	s_waitcnt lgkmcnt(0)
	s_cmp_ge_i32 s12, s24
	s_cbranch_scc1 .LBB1300_2
; %bb.5:
	s_clause 0x1
	s_load_b128 s[20:23], s[0:1], 0x8
	s_load_b64 s[2:3], s[0:1], 0x20
	s_and_not1_b32 vcc_lo, exec_lo, s8
	s_cbranch_vccnz .LBB1300_7
; %bb.6:
	s_add_u32 s4, s4, s6
	s_addc_u32 s5, s5, s7
	s_load_b32 s5, s[4:5], 0x0
	s_branch .LBB1300_8
.LBB1300_7:
	s_mov_b32 s5, s34
.LBB1300_8:
	s_load_b128 s[16:19], s[0:1], 0x48
	v_and_b32_e32 v68, 15, v0
	v_lshrrev_b32_e32 v69, 5, v0
	v_bfe_u32 v66, v0, 4, 1
	v_and_b32_e32 v70, 31, v0
	v_and_b32_e32 v67, 1, v0
	v_lshlrev_b32_e32 v2, 3, v68
	s_mul_i32 s31, s15, 7
	v_lshl_or_b32 v1, v69, 1, v66
	s_mov_b32 s4, exec_lo
	s_delay_alu instid0(VALU_DEP_2) | instskip(NEXT) | instid1(VALU_DEP_2)
	v_lshlrev_b32_e32 v65, 1, v2
	v_cmpx_gt_u32_e32 7, v1
	s_cbranch_execz .LBB1300_10
; %bb.9:
	s_load_b64 s[6:7], s[0:1], 0x0
	v_add_lshl_u32 v2, v1, s31, 7
	s_waitcnt lgkmcnt(0)
	s_mul_hi_i32 s9, s5, s16
	s_mul_i32 s8, s5, s16
	v_lshlrev_b32_e32 v6, 10, v68
	s_lshl_b64 s[8:9], s[8:9], 1
	v_ashrrev_i32_e32 v3, 31, v2
	v_lshlrev_b32_e32 v1, 6, v1
	v_lshlrev_b32_e32 v7, 10, v67
	v_and_b32_e32 v6, 0x3800, v6
	s_delay_alu instid0(VALU_DEP_4) | instskip(NEXT) | instid1(VALU_DEP_2)
	v_lshlrev_b64 v[2:3], 1, v[2:3]
	v_or3_b32 v1, v6, v7, v1
	s_add_u32 s5, s6, s8
	s_addc_u32 s6, s7, s9
	s_delay_alu instid0(VALU_DEP_2) | instskip(NEXT) | instid1(VALU_DEP_3)
	v_add_co_u32 v2, vcc_lo, s5, v2
	v_add_co_ci_u32_e32 v3, vcc_lo, s6, v3, vcc_lo
	s_delay_alu instid0(VALU_DEP_2) | instskip(NEXT) | instid1(VALU_DEP_2)
	v_add_co_u32 v2, vcc_lo, v2, v65
	v_add_co_ci_u32_e32 v3, vcc_lo, 0, v3, vcc_lo
	global_load_b128 v[2:5], v[2:3], off
	s_waitcnt vmcnt(0)
	ds_store_b128 v1, v[2:5]
.LBB1300_10:
	s_or_b32 exec_lo, exec_lo, s4
	v_and_b32_e32 v1, 0xef, v0
	s_waitcnt lgkmcnt(0)
	s_add_i32 s5, s24, 31
	s_clause 0x1
	s_load_b32 s4, s[0:1], 0x38
	s_load_b32 s33, s[0:1], 0x98
	s_ashr_i32 s6, s5, 31
	v_add_nc_u32_e32 v1, s12, v1
	s_lshr_b32 s6, s6, 27
	s_load_b32 s19, s[0:1], 0x1c
	s_add_i32 s5, s5, s6
	s_waitcnt lgkmcnt(0)
	v_ashrrev_i32_e32 v2, 31, v1
	v_or_b32_e32 v3, 16, v1
	s_ashr_i32 s13, s5, 5
	v_cmp_gt_i32_e32 vcc_lo, s24, v1
	s_add_i32 s13, s13, -1
	v_lshrrev_b32_e32 v2, 27, v2
	s_barrier
	buffer_gl0_inv
	s_mul_i32 s15, s15, s18
	v_add_nc_u32_e32 v4, v1, v2
	s_mul_i32 s4, s34, s4
	s_delay_alu instid0(SALU_CYCLE_1) | instskip(NEXT) | instid1(VALU_DEP_1)
	s_ashr_i32 s5, s4, 31
	v_ashrrev_i32_e32 v4, 5, v4
	v_add_nc_u32_e32 v2, v3, v2
	s_lshl_b64 s[4:5], s[4:5], 2
	s_delay_alu instid0(SALU_CYCLE_1) | instskip(NEXT) | instid1(VALU_DEP_2)
	s_add_u32 s16, s2, s4
	v_cndmask_b32_e32 v1, s13, v4, vcc_lo
	s_delay_alu instid0(VALU_DEP_2)
	v_ashrrev_i32_e32 v2, 5, v2
	v_cmp_gt_i32_e32 vcc_lo, s24, v3
	s_addc_u32 s25, s3, s5
	s_ashr_i32 s18, s15, 31
	s_add_u32 s2, s20, s15
	s_addc_u32 s3, s21, s18
	v_cndmask_b32_e32 v3, s13, v2, vcc_lo
	v_ashrrev_i32_e32 v2, 31, v1
	s_lshl_b32 s4, s14, 3
	s_delay_alu instid0(SALU_CYCLE_1) | instskip(NEXT) | instid1(VALU_DEP_2)
	s_ashr_i32 s5, s4, 31
	v_ashrrev_i32_e32 v4, 31, v3
	s_delay_alu instid0(VALU_DEP_2) | instskip(SKIP_1) | instid1(SALU_CYCLE_1)
	v_lshlrev_b64 v[1:2], 2, v[1:2]
	s_lshl_b64 s[4:5], s[4:5], 2
	s_add_u32 s4, s16, s4
	s_delay_alu instid0(VALU_DEP_2) | instskip(SKIP_1) | instid1(VALU_DEP_2)
	v_lshlrev_b64 v[3:4], 2, v[3:4]
	s_addc_u32 s5, s25, s5
	v_add_co_u32 v1, vcc_lo, s16, v1
	v_add_co_ci_u32_e32 v2, vcc_lo, s25, v2, vcc_lo
	s_delay_alu instid0(VALU_DEP_3) | instskip(NEXT) | instid1(VALU_DEP_4)
	v_add_co_u32 v3, vcc_lo, s16, v3
	v_add_co_ci_u32_e32 v4, vcc_lo, s25, v4, vcc_lo
	s_clause 0x1
	global_load_b32 v5, v[1:2], off
	global_load_b32 v6, v[3:4], off
	s_or_b32 s6, s12, 32
	s_delay_alu instid0(SALU_CYCLE_1) | instskip(SKIP_2) | instid1(SALU_CYCLE_1)
	s_ashr_i32 s7, s6, 5
	s_cmp_lt_i32 s6, s24
	s_cselect_b32 s6, s7, s13
	s_ashr_i32 s7, s6, 31
	s_delay_alu instid0(SALU_CYCLE_1) | instskip(NEXT) | instid1(SALU_CYCLE_1)
	s_lshl_b64 s[6:7], s[6:7], 2
	s_add_u32 s6, s16, s6
	s_addc_u32 s7, s25, s7
	s_or_b32 s8, s12, 64
	s_delay_alu instid0(SALU_CYCLE_1) | instskip(SKIP_2) | instid1(SALU_CYCLE_1)
	s_ashr_i32 s9, s8, 5
	s_cmp_lt_i32 s8, s24
	s_cselect_b32 s8, s9, s13
	s_ashr_i32 s9, s8, 31
	s_delay_alu instid0(SALU_CYCLE_1) | instskip(NEXT) | instid1(SALU_CYCLE_1)
	s_lshl_b64 s[8:9], s[8:9], 2
	s_add_u32 s8, s16, s8
	s_addc_u32 s9, s25, s9
	;; [unrolled: 10-line block ×5, first 2 shown]
	s_clause 0x5
	s_load_b32 s28, s[4:5], 0x0
	s_load_b32 s29, s[6:7], 0x0
	;; [unrolled: 1-line block ×6, first 2 shown]
	s_mov_b32 s4, 0
	s_delay_alu instid0(SALU_CYCLE_1)
	s_mov_b32 s5, s4
	s_mov_b32 s6, s4
	;; [unrolled: 1-line block ×7, first 2 shown]
	s_delay_alu instid0(SALU_CYCLE_1)
	v_dual_mov_b32 v118, s11 :: v_dual_mov_b32 v117, s10
	v_dual_mov_b32 v116, s9 :: v_dual_mov_b32 v115, s8
	v_mov_b32_e32 v113, s6
	v_dual_mov_b32 v111, s4 :: v_dual_mov_b32 v114, s7
	v_mov_b32_e32 v112, s5
	s_waitcnt vmcnt(1)
	v_mad_i64_i32 v[1:2], null, v5, s17, s[2:3]
	v_lshlrev_b32_e32 v5, 4, v68
	s_waitcnt vmcnt(0)
	v_mad_i64_i32 v[3:4], null, v6, s17, s[2:3]
	s_or_b32 s2, s12, 0xc0
	s_delay_alu instid0(SALU_CYCLE_1) | instskip(NEXT) | instid1(VALU_DEP_3)
	s_ashr_i32 s3, s2, 5
	v_add_co_u32 v1, vcc_lo, v1, v5
	s_delay_alu instid0(VALU_DEP_4) | instskip(NEXT) | instid1(VALU_DEP_3)
	v_add_co_ci_u32_e32 v2, vcc_lo, 0, v2, vcc_lo
	v_add_co_u32 v3, vcc_lo, v3, v5
	s_delay_alu instid0(VALU_DEP_4)
	v_add_co_ci_u32_e32 v4, vcc_lo, 0, v4, vcc_lo
	s_clause 0xf
	global_load_b128 v[17:20], v[1:2], off
	global_load_b128 v[21:24], v[1:2], off offset:512
	global_load_b128 v[25:28], v[3:4], off offset:256
	;; [unrolled: 1-line block ×15, first 2 shown]
	v_mul_lo_u16 v1, v68, 37
	s_cmp_lt_i32 s2, s24
	v_lshlrev_b32_e32 v2, 5, v68
	s_cselect_b32 s2, s3, s13
	s_delay_alu instid0(VALU_DEP_2) | instskip(SKIP_1) | instid1(SALU_CYCLE_1)
	v_lshrrev_b16 v1, 8, v1
	s_ashr_i32 s3, s2, 31
	s_lshl_b64 s[2:3], s[2:3], 2
	s_delay_alu instid0(VALU_DEP_1) | instskip(SKIP_3) | instid1(VALU_DEP_1)
	v_mul_lo_u16 v1, v1, 7
	s_add_u32 s2, s16, s2
	s_addc_u32 s3, s25, s3
	s_or_b32 s20, s12, 0xe0
	v_sub_nc_u16 v1, v68, v1
	s_ashr_i32 s21, s20, 5
	s_cmp_lt_i32 s20, s24
	s_cselect_b32 s20, s21, s13
	s_delay_alu instid0(VALU_DEP_1) | instskip(SKIP_1) | instid1(SALU_CYCLE_1)
	v_and_b32_e32 v1, 0xff, v1
	s_ashr_i32 s21, s20, 31
	s_lshl_b64 s[4:5], s[20:21], 2
	s_delay_alu instid0(VALU_DEP_1)
	v_lshlrev_b32_e32 v149, 6, v1
	s_add_u32 s4, s16, s4
	s_addc_u32 s5, s25, s5
	v_lshl_or_b32 v1, v69, 9, v2
	ds_load_b128 v[119:122], v149
	ds_load_b128 v[123:126], v149 offset:1024
	ds_load_b128 v[127:130], v149 offset:2048
	;; [unrolled: 1-line block ×3, first 2 shown]
	s_clause 0x1
	s_load_b32 s2, s[2:3], 0x0
	s_load_b32 s3, s[4:5], 0x0
	s_add_u32 s6, s22, s15
	s_addc_u32 s7, s23, s18
	v_add_co_u32 v135, s6, s6, v1
	s_delay_alu instid0(VALU_DEP_1) | instskip(SKIP_1) | instid1(VALU_DEP_1)
	v_add_co_ci_u32_e64 v136, null, s7, 0, s6
	s_waitcnt lgkmcnt(0)
	v_mad_i64_i32 v[1:2], null, s28, s17, v[135:136]
	v_mad_i64_i32 v[3:4], null, s29, s17, v[135:136]
	;; [unrolled: 1-line block ×6, first 2 shown]
	s_clause 0x9
	global_load_b128 v[49:52], v[1:2], off
	global_load_b128 v[53:56], v[1:2], off offset:16
	global_load_b128 v[41:44], v[3:4], off
	global_load_b128 v[45:48], v[3:4], off offset:16
	;; [unrolled: 2-line block ×5, first 2 shown]
	v_mad_i64_i32 v[145:146], null, s2, s17, v[135:136]
	v_mad_i64_i32 v[147:148], null, s3, s17, v[135:136]
	s_waitcnt vmcnt(24)
	v_wmma_f32_16x16x16_f16 v[135:142], v[17:24], v[119:126], v[111:118]
	s_waitcnt vmcnt(22)
	v_wmma_f32_16x16x16_f16 v[111:118], v[25:32], v[119:126], v[111:118]
	s_clause 0x3
	global_load_b128 v[17:20], v[143:144], off
	global_load_b128 v[21:24], v[143:144], off offset:16
	global_load_b128 v[25:28], v[145:146], off
	global_load_b128 v[29:32], v[145:146], off offset:16
	v_and_b32_e32 v119, 0xe0, v0
	s_waitcnt vmcnt(24)
	v_wmma_f32_16x16x16_f16 v[135:142], v[57:64], v[127:134], v[135:142]
	s_clause 0x1
	global_load_b128 v[57:60], v[147:148], off
	global_load_b128 v[61:64], v[147:148], off offset:16
	s_waitcnt vmcnt(24)
	v_wmma_f32_16x16x16_f16 v[111:118], v[71:78], v[127:134], v[111:118]
	ds_load_b128 v[71:74], v149 offset:4096
	ds_load_b128 v[75:78], v149 offset:5120
	v_add_nc_u32_e32 v128, s12, v119
	ds_load_b128 v[119:122], v149 offset:6144
	ds_load_b128 v[123:126], v149 offset:7168
	v_mbcnt_lo_u32_b32 v127, -1, 0
	s_waitcnt vmcnt(0) lgkmcnt(0)
	s_barrier
	v_or_b32_e32 v128, v128, v66
	buffer_gl0_inv
	v_xor_b32_e32 v129, 16, v127
	v_or_b32_e32 v130, 4, v128
	v_or_b32_e32 v131, 6, v128
	s_delay_alu instid0(VALU_DEP_3) | instskip(SKIP_4) | instid1(VALU_DEP_4)
	v_cmp_gt_i32_e32 vcc_lo, 32, v129
	v_or_b32_e32 v132, 8, v128
	v_or_b32_e32 v133, 10, v128
	v_cmp_gt_i32_e64 s3, s24, v130
	v_cmp_gt_i32_e64 s4, s24, v131
	;; [unrolled: 1-line block ×3, first 2 shown]
	v_wmma_f32_16x16x16_f16 v[135:142], v[79:86], v[71:78], v[135:142]
	v_wmma_f32_16x16x16_f16 v[111:118], v[87:94], v[71:78], v[111:118]
	v_or_b32_e32 v79, 12, v128
	v_or_b32_e32 v80, 14, v128
	v_cmp_gt_i32_e64 s6, s24, v133
	v_wmma_f32_16x16x16_f16 v[135:142], v[95:102], v[119:126], v[135:142]
	v_cndmask_b32_e32 v127, v127, v129, vcc_lo
	v_or_b32_e32 v129, 2, v128
	v_wmma_f32_16x16x16_f16 v[111:118], v[103:110], v[119:126], v[111:118]
	v_cmp_gt_i32_e32 vcc_lo, s24, v128
	v_dual_mul_f32 v88, s19, v135 :: v_dual_mul_f32 v87, s19, v136
	s_delay_alu instid0(VALU_DEP_4) | instskip(NEXT) | instid1(VALU_DEP_4)
	v_cmp_gt_i32_e64 s2, s24, v129
	v_mul_f32_e32 v94, s19, v113
	v_mul_f32_e32 v78, s19, v138
	;; [unrolled: 1-line block ×3, first 2 shown]
	v_cndmask_b32_e32 v88, 0xff7fffff, v88, vcc_lo
	v_cndmask_b32_e64 v87, 0xff7fffff, v87, s2
	v_dual_mul_f32 v76, s19, v140 :: v_dual_mul_f32 v77, s19, v139
	v_mul_f32_e32 v90, s19, v117
	v_cndmask_b32_e64 v86, 0xff7fffff, v86, s3
	v_cndmask_b32_e64 v78, 0xff7fffff, v78, s4
	v_max3_f32 v87, v88, 0xff7fffff, v87
	v_or_b32_e32 v81, 16, v128
	v_or_b32_e32 v82, 18, v128
	v_dual_mul_f32 v74, s19, v142 :: v_dual_mul_f32 v75, s19, v141
	v_mul_f32_e32 v92, s19, v115
	v_cndmask_b32_e64 v77, 0xff7fffff, v77, s5
	v_cndmask_b32_e64 v76, 0xff7fffff, v76, s6
	v_max3_f32 v78, v87, v86, v78
	v_cmp_gt_i32_e64 s7, s24, v79
	v_cmp_gt_i32_e64 s8, s24, v80
	v_or_b32_e32 v83, 20, v128
	v_or_b32_e32 v84, 22, v128
	v_dual_mul_f32 v89, s19, v118 :: v_dual_mul_f32 v96, s19, v111
	v_mul_f32_e32 v95, s19, v112
	v_cndmask_b32_e64 v75, 0xff7fffff, v75, s7
	v_cndmask_b32_e64 v74, 0xff7fffff, v74, s8
	v_max3_f32 v76, v78, v77, v76
	v_cmp_gt_i32_e64 s9, s24, v81
	v_cmp_gt_i32_e64 s10, s24, v82
	v_or_b32_e32 v85, 24, v128
	v_or_b32_e32 v71, 26, v128
	v_mul_f32_e32 v93, s19, v114
	v_cndmask_b32_e64 v77, 0xff7fffff, v96, s9
	v_cndmask_b32_e64 v78, 0xff7fffff, v95, s10
	v_max3_f32 v74, v76, v75, v74
	v_cmp_gt_i32_e64 s11, s24, v83
	v_cmp_gt_i32_e64 s12, s24, v84
	v_or_b32_e32 v72, 28, v128
	v_or_b32_e32 v73, 30, v128
	v_mul_f32_e32 v91, s19, v116
	v_cndmask_b32_e64 v75, 0xff7fffff, v94, s11
	v_cndmask_b32_e64 v76, 0xff7fffff, v93, s12
	v_max3_f32 v74, v74, v77, v78
	v_cmp_gt_i32_e64 s13, s24, v85
	v_cmp_gt_i32_e64 s15, s24, v71
	;; [unrolled: 1-line block ×4, first 2 shown]
	v_max3_f32 v74, v74, v75, v76
	v_cndmask_b32_e64 v77, 0xff7fffff, v92, s13
	v_cndmask_b32_e64 v71, 0xff7fffff, v91, s15
	;; [unrolled: 1-line block ×4, first 2 shown]
	s_delay_alu instid0(VALU_DEP_3) | instskip(SKIP_1) | instid1(VALU_DEP_2)
	v_max3_f32 v71, v74, v77, v71
	v_lshlrev_b32_e32 v74, 2, v127
	v_max3_f32 v71, v71, v72, v73
	ds_bpermute_b32 v72, v74, v71
	s_waitcnt lgkmcnt(0)
	v_max_f32_e32 v72, v72, v72
	s_delay_alu instid0(VALU_DEP_1) | instskip(NEXT) | instid1(VALU_DEP_1)
	v_max_f32_e32 v71, v71, v72
	v_fma_f32 v75, s19, v137, -v71
	v_fma_f32 v76, s19, v138, -v71
	;; [unrolled: 1-line block ×5, first 2 shown]
	s_delay_alu instid0(VALU_DEP_4) | instskip(NEXT) | instid1(VALU_DEP_4)
	v_dual_mul_f32 v75, 0x3fb8aa3b, v75 :: v_dual_mul_f32 v76, 0x3fb8aa3b, v76
	v_mul_f32_e32 v72, 0x3fb8aa3b, v72
	v_fma_f32 v77, s19, v139, -v71
	s_delay_alu instid0(VALU_DEP_4) | instskip(NEXT) | instid1(VALU_DEP_4)
	v_mul_f32_e32 v73, 0x3fb8aa3b, v73
	v_exp_f32_e32 v75, v75
	v_exp_f32_e32 v76, v76
	;; [unrolled: 1-line block ×3, first 2 shown]
	s_delay_alu instid0(VALU_DEP_1) | instskip(SKIP_2) | instid1(TRANS32_DEP_3)
	v_exp_f32_e32 v73, v73
	v_cndmask_b32_e64 v81, 0, v75, s3
	v_mul_f32_e32 v82, 0x3fb8aa3b, v80
	v_cndmask_b32_e64 v80, 0, v76, s4
	s_waitcnt_depctr 0xfff
	v_cndmask_b32_e64 v78, 0, v73, s2
	v_cmp_gt_u32_e64 s2, 16, v70
	v_exp_f32_e32 v84, v82
	s_waitcnt_depctr 0xfff
	v_cndmask_b32_e64 v85, 0, v84, s7
	v_cndmask_b32_e32 v79, 0, v72, vcc_lo
	v_fma_f32 v72, s19, v140, -v71
	v_mul_f32_e32 v77, 0x3fb8aa3b, v77
	s_delay_alu instid0(VALU_DEP_2) | instskip(NEXT) | instid1(VALU_DEP_2)
	v_dual_add_f32 v73, 0, v79 :: v_dual_mul_f32 v72, 0x3fb8aa3b, v72
	v_exp_f32_e32 v77, v77
	s_delay_alu instid0(VALU_DEP_1) | instskip(NEXT) | instid1(VALU_DEP_2)
	v_add_f32_e32 v73, v73, v78
	v_exp_f32_e32 v72, v72
	s_delay_alu instid0(VALU_DEP_1) | instskip(SKIP_4) | instid1(VALU_DEP_2)
	v_add_f32_e32 v73, v73, v81
	s_waitcnt_depctr 0xfff
	v_cndmask_b32_e64 v83, 0, v77, s5
	v_add_f32_e32 v73, v73, v80
	v_cndmask_b32_e64 v82, 0, v72, s6
	v_add_f32_e32 v72, v73, v83
	s_delay_alu instid0(VALU_DEP_1)
	v_add_f32_e32 v72, v72, v82
	v_fma_f32 v75, s19, v142, -v71
	v_fma_f32 v76, s19, v111, -v71
	;; [unrolled: 1-line block ×5, first 2 shown]
	s_delay_alu instid0(VALU_DEP_4) | instskip(NEXT) | instid1(VALU_DEP_4)
	v_dual_mul_f32 v75, 0x3fb8aa3b, v75 :: v_dual_mul_f32 v76, 0x3fb8aa3b, v76
	v_mul_f32_e32 v86, 0x3fb8aa3b, v86
	v_add_f32_e32 v72, v72, v85
	s_delay_alu instid0(VALU_DEP_3) | instskip(NEXT) | instid1(VALU_DEP_3)
	v_exp_f32_e32 v75, v75
	v_exp_f32_e32 v76, v76
	s_delay_alu instid0(VALU_DEP_2) | instskip(NEXT) | instid1(TRANS32_DEP_3)
	v_exp_f32_e32 v88, v86
	v_cndmask_b32_e64 v84, 0, v75, s8
	v_mul_f32_e32 v77, 0x3fb8aa3b, v77
	s_waitcnt_depctr 0xfff
	v_cndmask_b32_e64 v87, 0, v76, s9
	v_fma_f32 v76, s19, v116, -v71
	v_dual_mul_f32 v73, 0x3fb8aa3b, v73 :: v_dual_add_f32 v72, v72, v84
	v_exp_f32_e32 v77, v77
	v_fma_f32 v75, s19, v115, -v71
	s_delay_alu instid0(VALU_DEP_3) | instskip(NEXT) | instid1(VALU_DEP_3)
	v_mul_f32_e32 v76, 0x3fb8aa3b, v76
	v_exp_f32_e32 v73, v73
	v_add_f32_e32 v72, v72, v87
	v_cndmask_b32_e64 v88, 0, v88, s12
	s_delay_alu instid0(VALU_DEP_3) | instskip(NEXT) | instid1(TRANS32_DEP_3)
	v_exp_f32_e32 v76, v76
	v_cndmask_b32_e64 v86, 0, v77, s10
	v_mul_f32_e32 v75, 0x3fb8aa3b, v75
	v_fma_f32 v77, s19, v117, -v71
	s_delay_alu instid0(TRANS32_DEP_2) | instskip(NEXT) | instid1(VALU_DEP_4)
	v_cndmask_b32_e64 v89, 0, v73, s11
	v_add_f32_e32 v72, v72, v86
	s_delay_alu instid0(VALU_DEP_4) | instskip(NEXT) | instid1(TRANS32_DEP_2)
	v_exp_f32_e32 v75, v75
	v_cndmask_b32_e64 v90, 0, v76, s15
	s_delay_alu instid0(VALU_DEP_2) | instskip(SKIP_2) | instid1(VALU_DEP_3)
	v_add_f32_e32 v72, v72, v89
	v_mul_f32_e32 v73, 0x3fb8aa3b, v77
	v_fma_f32 v77, s19, v118, -v71
	v_add_f32_e32 v72, v72, v88
	s_delay_alu instid0(VALU_DEP_3) | instskip(NEXT) | instid1(TRANS32_DEP_2)
	v_exp_f32_e32 v73, v73
	v_cndmask_b32_e64 v91, 0, v75, s13
	s_delay_alu instid0(VALU_DEP_1) | instskip(NEXT) | instid1(VALU_DEP_1)
	v_dual_mul_f32 v75, 0x3fb8aa3b, v77 :: v_dual_add_f32 v72, v72, v91
	v_exp_f32_e32 v75, v75
	s_waitcnt_depctr 0xfff
	v_cndmask_b32_e64 v93, 0, v73, s16
	v_add_f32_e32 v72, v72, v90
	s_delay_alu instid0(VALU_DEP_1) | instskip(SKIP_1) | instid1(VALU_DEP_1)
	v_add_f32_e32 v72, v72, v93
	v_cndmask_b32_e64 v92, 0, v75, s17
	v_add_f32_e32 v72, v72, v92
	ds_bpermute_b32 v73, v74, v72
	s_and_saveexec_b32 s3, s2
	s_cbranch_execz .LBB1300_12
; %bb.11:
	v_mul_u32_u24_e32 v70, 0x44, v69
	s_waitcnt lgkmcnt(0)
	v_add_f32_e32 v72, v72, v73
	s_delay_alu instid0(VALU_DEP_2) | instskip(NEXT) | instid1(VALU_DEP_1)
	v_lshl_add_u32 v70, v68, 2, v70
	v_add_nc_u32_e32 v70, 0x4000, v70
	ds_store_2addr_b32 v70, v71, v72 offset1:136
.LBB1300_12:
	s_or_b32 exec_lo, exec_lo, s3
	v_lshlrev_b32_e32 v70, 2, v68
	s_load_b32 s35, s[0:1], 0x94
	s_waitcnt lgkmcnt(0)
	s_barrier
	buffer_gl0_inv
	v_add_nc_u32_e32 v98, 0x4000, v70
	v_cmp_eq_u32_e32 vcc_lo, 1, v69
	v_cmp_eq_u32_e64 s3, 2, v69
	v_cmp_eq_u32_e64 s4, 3, v69
	;; [unrolled: 1-line block ×3, first 2 shown]
	ds_load_2addr_b32 v[70:71], v98 offset1:17
	ds_load_2addr_b32 v[72:73], v98 offset0:34 offset1:51
	ds_load_2addr_b32 v[74:75], v98 offset0:68 offset1:85
	;; [unrolled: 1-line block ×3, first 2 shown]
	v_cmp_eq_u32_e64 s6, 5, v69
	v_cmp_eq_u32_e64 s7, 7, v69
	s_waitcnt lgkmcnt(3)
	v_max3_f32 v76, v70, 0xff7fffff, v71
	s_waitcnt lgkmcnt(2)
	s_delay_alu instid0(VALU_DEP_1) | instskip(SKIP_1) | instid1(VALU_DEP_1)
	v_max3_f32 v76, v76, v72, v73
	s_waitcnt lgkmcnt(1)
	v_max3_f32 v76, v76, v74, v75
	s_waitcnt lgkmcnt(0)
	s_delay_alu instid0(VALU_DEP_1) | instskip(NEXT) | instid1(VALU_DEP_1)
	v_max3_f32 v76, v76, v94, v95
	v_sub_f32_e32 v77, v71, v76
	ds_load_2addr_b32 v[96:97], v98 offset0:136 offset1:153
	v_sub_f32_e32 v74, v74, v76
	v_sub_f32_e32 v70, v70, v76
	;; [unrolled: 1-line block ×3, first 2 shown]
	v_dual_sub_f32 v72, v72, v76 :: v_dual_mul_f32 v77, 0x3fb8aa3b, v77
	s_delay_alu instid0(VALU_DEP_4) | instskip(NEXT) | instid1(VALU_DEP_4)
	v_mul_f32_e32 v103, 0x3fb8aa3b, v74
	v_mul_f32_e32 v99, 0x3fb8aa3b, v70
	ds_load_2addr_b32 v[70:71], v98 offset0:170 offset1:187
	v_dual_mul_f32 v101, 0x3fb8aa3b, v72 :: v_dual_mul_f32 v94, 0x3fb8aa3b, v94
	v_exp_f32_e32 v102, v77
	v_exp_f32_e32 v99, v99
	s_delay_alu instid0(VALU_DEP_1) | instskip(NEXT) | instid1(VALU_DEP_1)
	v_exp_f32_e32 v101, v101
	v_exp_f32_e32 v94, v94
	s_waitcnt lgkmcnt(1)
	s_delay_alu instid0(TRANS32_DEP_3)
	v_fma_f32 v77, v99, v96, 0
	v_sub_f32_e32 v100, v73, v76
	ds_load_2addr_b32 v[72:73], v98 offset0:204 offset1:221
	v_fmac_f32_e32 v77, v102, v97
	v_exp_f32_e32 v97, v103
	s_waitcnt lgkmcnt(1)
	s_delay_alu instid0(VALU_DEP_1)
	v_dual_fmac_f32 v77, v101, v70 :: v_dual_sub_f32 v96, v75, v76
	ds_load_2addr_b32 v[74:75], v98 offset0:238 offset1:255
	v_sub_f32_e32 v70, v95, v76
	s_waitcnt lgkmcnt(0)
	s_barrier
	v_mul_f32_e32 v96, 0x3fb8aa3b, v96
	buffer_gl0_inv
	v_exp_f32_e32 v95, v96
	v_mul_f32_e32 v100, 0x3fb8aa3b, v100
	s_delay_alu instid0(VALU_DEP_1) | instskip(SKIP_3) | instid1(VALU_DEP_2)
	v_exp_f32_e32 v100, v100
	s_waitcnt_depctr 0xfff
	v_dual_fmac_f32 v77, v100, v71 :: v_dual_mul_f32 v70, 0x3fb8aa3b, v70
	v_cndmask_b32_e32 v71, v99, v102, vcc_lo
	v_fmac_f32_e32 v77, v97, v72
	s_delay_alu instid0(VALU_DEP_3) | instskip(NEXT) | instid1(VALU_DEP_1)
	v_exp_f32_e32 v96, v70
	v_fmac_f32_e32 v77, v95, v73
	s_delay_alu instid0(VALU_DEP_1) | instskip(SKIP_2) | instid1(VALU_DEP_1)
	v_fmac_f32_e32 v77, v94, v74
	s_waitcnt_depctr 0xfff
	v_fmac_f32_e32 v77, v96, v75
	v_add_f32_e32 v74, 0x358637bd, v77
	s_delay_alu instid0(VALU_DEP_1) | instskip(SKIP_1) | instid1(VALU_DEP_2)
	v_div_scale_f32 v98, null, v74, v74, 1.0
	v_div_scale_f32 v99, vcc_lo, 1.0, v74, 1.0
	v_rcp_f32_e32 v103, v98
	s_waitcnt_depctr 0xfff
	v_fma_f32 v70, -v98, v103, 1.0
	s_delay_alu instid0(VALU_DEP_1) | instskip(SKIP_2) | instid1(VALU_DEP_2)
	v_fmac_f32_e32 v103, v70, v103
	v_cndmask_b32_e64 v70, v71, v101, s3
	v_cmp_eq_u32_e64 s3, 6, v69
	v_cndmask_b32_e64 v71, v70, v100, s4
	s_delay_alu instid0(VALU_DEP_4) | instskip(NEXT) | instid1(VALU_DEP_2)
	v_dual_mul_f32 v101, v99, v103 :: v_dual_lshlrev_b32 v70, 2, v66
	v_cndmask_b32_e64 v71, v71, v97, s5
	s_delay_alu instid0(VALU_DEP_2) | instskip(NEXT) | instid1(VALU_DEP_3)
	v_or_b32_e32 v72, 1, v70
	v_fma_f32 v100, -v98, v101, v99
	v_cmp_eq_u32_e64 s4, 1, v70
	v_cmp_eq_u32_e64 s5, 2, v70
	v_cndmask_b32_e64 v95, v71, v95, s6
	v_or_b32_e32 v71, 3, v70
	v_fmac_f32_e32 v101, v100, v103
	v_cmp_eq_u32_e64 s9, 1, v72
	v_cmp_eq_u32_e64 s12, 2, v72
	v_cndmask_b32_e64 v94, v95, v94, s3
	v_cmp_eq_u32_e64 s11, 1, v71
	v_fma_f32 v97, -v98, v101, v99
	v_cmp_eq_u32_e64 s16, 2, v71
	v_cmp_eq_u32_e64 s13, 3, v72
	v_cndmask_b32_e64 v94, v94, v96, s7
	v_cmp_eq_u32_e64 s18, 3, v71
	v_div_fmas_f32 v95, v97, v103, v101
	v_cmp_eq_u32_e32 vcc_lo, 3, v70
	v_cmp_eq_u32_e64 s3, 4, v70
	v_cmp_eq_u32_e64 s19, 4, v72
	v_cmp_eq_u32_e64 s22, 4, v71
	v_div_fixup_f32 v95, v95, v74, 1.0
	v_lshlrev_b32_e32 v73, 6, v68
	v_cmp_eq_u32_e64 s6, 5, v70
	v_cmp_eq_u32_e64 s20, 5, v72
	;; [unrolled: 1-line block ×3, first 2 shown]
	v_mul_f32_e32 v102, v94, v95
	v_lshl_or_b32 v75, v69, 11, v73
	v_or_b32_e32 v69, 2, v70
	v_cmp_eq_u32_e64 s25, 6, v72
	v_cmp_eq_u32_e64 s27, 6, v71
	v_fma_mixlo_f16 v94, v102, v79, 0
	v_fma_mixlo_f16 v95, v102, v81, 0
	;; [unrolled: 1-line block ×8, first 2 shown]
	v_lshl_or_b32 v74, v66, 4, v75
	v_fma_mixhi_f16 v94, v102, v78, 0
	v_fma_mixhi_f16 v95, v102, v80, 0
	;; [unrolled: 1-line block ×8, first 2 shown]
	ds_store_b128 v74, v[94:97]
	ds_store_b128 v74, v[98:101] offset:1024
	s_waitcnt lgkmcnt(0)
	s_barrier
	buffer_gl0_inv
	ds_load_b128 v[78:81], v75
	ds_load_b128 v[82:85], v75 offset:16
	ds_load_b128 v[86:89], v75 offset:1024
	;; [unrolled: 1-line block ×3, first 2 shown]
	v_cmp_eq_u32_e64 s10, 1, v69
	v_cmp_eq_u32_e64 s15, 2, v69
	;; [unrolled: 1-line block ×11, first 2 shown]
	s_waitcnt lgkmcnt(3)
	v_lshrrev_b32_e32 v94, 16, v78
	s_waitcnt lgkmcnt(2)
	v_lshrrev_b32_e32 v98, 16, v82
	;; [unrolled: 2-line block ×4, first 2 shown]
	v_lshrrev_b32_e32 v95, 16, v79
	v_cndmask_b32_e64 v110, v78, v94, s4
	v_cndmask_b32_e64 v111, v82, v98, s4
	;; [unrolled: 1-line block ×8, first 2 shown]
	v_lshrrev_b32_e32 v99, 16, v83
	v_cndmask_b32_e64 v94, v86, v102, s4
	v_cndmask_b32_e64 v98, v90, v106, s4
	;; [unrolled: 1-line block ×15, first 2 shown]
	v_lshrrev_b32_e32 v103, 16, v87
	v_lshrrev_b32_e32 v107, 16, v91
	v_cndmask_b32_e64 v113, v115, v83, s15
	v_cndmask_b32_e64 v82, v94, v87, s5
	;; [unrolled: 1-line block ×7, first 2 shown]
	v_cndmask_b32_e32 v90, v102, v95, vcc_lo
	v_cndmask_b32_e32 v102, v106, v99, vcc_lo
	v_cndmask_b32_e64 v106, v110, v95, s13
	v_cndmask_b32_e64 v110, v111, v99, s13
	;; [unrolled: 1-line block ×4, first 2 shown]
	v_lshrrev_b32_e32 v96, 16, v80
	v_lshrrev_b32_e32 v100, 16, v84
	v_cndmask_b32_e64 v111, v112, v95, s17
	v_cndmask_b32_e64 v112, v113, v99, s17
	v_cndmask_b32_e32 v82, v82, v103, vcc_lo
	v_cndmask_b32_e32 v83, v83, v107, vcc_lo
	v_cndmask_b32_e64 v94, v94, v103, s13
	v_cndmask_b32_e64 v90, v90, v80, s3
	;; [unrolled: 1-line block ×7, first 2 shown]
	v_lshrrev_b32_e32 v104, 16, v88
	v_cndmask_b32_e64 v106, v111, v80, s21
	v_cndmask_b32_e64 v110, v112, v84, s21
	;; [unrolled: 1-line block ×11, first 2 shown]
	v_lshrrev_b32_e32 v97, 16, v81
	v_lshrrev_b32_e32 v101, 16, v85
	v_cndmask_b32_e64 v99, v106, v96, s23
	v_cndmask_b32_e64 v102, v110, v100, s23
	;; [unrolled: 1-line block ×7, first 2 shown]
	v_lshrrev_b32_e32 v105, 16, v89
	v_cndmask_b32_e64 v80, v80, v104, s6
	v_cndmask_b32_e64 v84, v84, v81, s7
	;; [unrolled: 1-line block ×16, first 2 shown]
	v_perm_b32 v81, v79, v78, 0x5040100
	v_perm_b32 v79, v95, v85, 0x5040100
	v_cndmask_b32_e64 v78, v119, v91, s15
	v_cndmask_b32_e64 v85, v117, v91, s12
	;; [unrolled: 1-line block ×3, first 2 shown]
	v_perm_b32 v80, v94, v90, 0x5040100
	v_cndmask_b32_e64 v90, v98, v103, s17
	v_cndmask_b32_e64 v86, v86, v103, s18
	;; [unrolled: 1-line block ×5, first 2 shown]
	v_lshrrev_b32_e32 v108, 16, v92
	v_cndmask_b32_e64 v90, v90, v88, s21
	v_cndmask_b32_e64 v86, v86, v88, s22
	;; [unrolled: 1-line block ×11, first 2 shown]
	v_lshrrev_b32_e32 v109, 16, v93
	v_cndmask_b32_e64 v82, v82, v93, s7
	v_cndmask_b32_e64 v88, v88, v89, s26
	;; [unrolled: 1-line block ×12, first 2 shown]
	v_perm_b32 v78, v84, v83, 0x5040100
	v_perm_b32 v85, v87, v86, 0x5040100
	;; [unrolled: 1-line block ×5, first 2 shown]
	s_mul_i32 s8, s33, 7
	s_mov_b32 s3, exec_lo
	ds_store_b128 v74, v[78:81]
	ds_store_b128 v74, v[82:85] offset:1024
	v_cmpx_gt_u32_e32 7, v0
	s_cbranch_execz .LBB1300_14
; %bb.13:
	s_mul_i32 s4, s8, s34
	s_delay_alu instid0(SALU_CYCLE_1) | instskip(SKIP_1) | instid1(VALU_DEP_1)
	v_add3_u32 v68, s4, s31, v68
	s_load_b128 s[4:7], s[0:1], 0x58
	v_mad_u64_u32 v[78:79], null, v68, s35, s[14:15]
	s_delay_alu instid0(VALU_DEP_1) | instskip(NEXT) | instid1(VALU_DEP_1)
	v_ashrrev_i32_e32 v79, 31, v78
	v_lshlrev_b64 v[78:79], 2, v[78:79]
	s_waitcnt lgkmcnt(0)
	s_delay_alu instid0(VALU_DEP_1) | instskip(NEXT) | instid1(VALU_DEP_2)
	v_add_co_u32 v80, vcc_lo, s6, v78
	v_add_co_ci_u32_e32 v81, vcc_lo, s7, v79, vcc_lo
	v_add_co_u32 v78, vcc_lo, s4, v78
	v_add_co_ci_u32_e32 v79, vcc_lo, s5, v79, vcc_lo
	global_store_b32 v[80:81], v76, off
	global_store_b32 v[78:79], v77, off
.LBB1300_14:
	s_or_b32 exec_lo, exec_lo, s3
	s_waitcnt lgkmcnt(0)
	s_waitcnt_vscnt null, 0x0
	s_barrier
	buffer_gl0_inv
	ds_load_b128 v[84:87], v73
	ds_load_b128 v[88:91], v73 offset:16
	ds_load_b128 v[96:99], v73 offset:2064
	;; [unrolled: 1-line block ×5, first 2 shown]
	v_cmp_eq_u32_e32 vcc_lo, 1, v70
	v_mov_b32_e32 v76, 0
	ds_load_b128 v[112:115], v73 offset:6160
	ds_load_b128 v[108:111], v73 offset:6144
	;; [unrolled: 1-line block ×4, first 2 shown]
	v_cmp_eq_u32_e64 s4, 1, v69
	v_cmp_eq_u32_e64 s3, 1, v72
	;; [unrolled: 1-line block ×3, first 2 shown]
	v_mov_b32_e32 v77, v76
	v_mov_b32_e32 v78, v76
	;; [unrolled: 1-line block ×7, first 2 shown]
	v_cmp_eq_u32_e64 s6, 3, v72
	v_cmp_eq_u32_e64 s7, 7, v72
	s_waitcnt lgkmcnt(8)
	s_delay_alu instid0(VALU_DEP_3)
	v_wmma_f32_16x16x16_f16 v[76:83], v[49:56], v[84:91], v[76:83]
	ds_load_b128 v[53:56], v73 offset:10256
	ds_load_b128 v[49:52], v73 offset:10240
	s_waitcnt lgkmcnt(8)
	v_wmma_f32_16x16x16_f16 v[76:83], v[41:48], v[92:99], v[76:83]
	ds_load_b128 v[45:48], v73 offset:12304
	ds_load_b128 v[41:44], v73 offset:12288
	s_waitcnt lgkmcnt(8)
	;; [unrolled: 4-line block ×3, first 2 shown]
	s_barrier
	buffer_gl0_inv
	v_wmma_f32_16x16x16_f16 v[76:83], v[1:8], v[108:115], v[76:83]
	s_delay_alu instid0(VALU_DEP_1) | instskip(NEXT) | instid1(VALU_DEP_1)
	v_wmma_f32_16x16x16_f16 v[76:83], v[9:16], v[116:123], v[76:83]
	v_wmma_f32_16x16x16_f16 v[76:83], v[17:24], v[49:56], v[76:83]
	s_delay_alu instid0(VALU_DEP_1) | instskip(NEXT) | instid1(VALU_DEP_1)
	v_wmma_f32_16x16x16_f16 v[76:83], v[25:32], v[41:48], v[76:83]
	v_wmma_f32_16x16x16_f16 v[76:83], v[57:64], v[33:40], v[76:83]
	s_delay_alu instid0(VALU_DEP_1) | instskip(NEXT) | instid1(VALU_DEP_2)
	v_cvt_f16_f32_e32 v1, v76
	v_cvt_f16_f32_e32 v2, v77
	s_delay_alu instid0(VALU_DEP_3) | instskip(NEXT) | instid1(VALU_DEP_4)
	v_cvt_f16_f32_e32 v3, v78
	v_cvt_f16_f32_e32 v4, v79
	;; [unrolled: 1-line block ×6, first 2 shown]
	v_pack_b32_f16 v1, v1, v2
	v_pack_b32_f16 v2, v3, v4
	;; [unrolled: 1-line block ×3, first 2 shown]
	s_delay_alu instid0(VALU_DEP_4)
	v_pack_b32_f16 v4, v7, v8
	ds_store_b128 v74, v[1:4]
	s_waitcnt lgkmcnt(0)
	s_barrier
	buffer_gl0_inv
	ds_load_b128 v[1:4], v75
	ds_load_b128 v[5:8], v75 offset:16
	s_waitcnt lgkmcnt(1)
	v_lshrrev_b32_e32 v9, 16, v1
	s_waitcnt lgkmcnt(0)
	v_lshrrev_b32_e32 v13, 16, v5
	v_lshrrev_b32_e32 v10, 16, v2
	;; [unrolled: 1-line block ×4, first 2 shown]
	v_cndmask_b32_e32 v17, v1, v9, vcc_lo
	v_cndmask_b32_e32 v18, v5, v13, vcc_lo
	v_cndmask_b32_e64 v21, v1, v9, s4
	v_cmp_eq_u32_e32 vcc_lo, 1, v71
	v_cndmask_b32_e64 v22, v5, v13, s4
	v_cmp_eq_u32_e64 s4, 2, v70
	v_cndmask_b32_e64 v19, v1, v9, s3
	v_cndmask_b32_e64 v20, v5, v13, s3
	v_cndmask_b32_e32 v1, v1, v9, vcc_lo
	v_cmp_eq_u32_e64 s3, 2, v71
	v_cndmask_b32_e32 v5, v5, v13, vcc_lo
	v_cndmask_b32_e64 v9, v17, v2, s4
	v_cmp_eq_u32_e32 vcc_lo, 3, v70
	v_cndmask_b32_e64 v13, v18, v6, s4
	v_cmp_eq_u32_e64 s4, 2, v69
	v_cndmask_b32_e64 v17, v19, v2, s5
	v_cndmask_b32_e64 v18, v20, v6, s5
	v_cmp_eq_u32_e64 s5, 3, v69
	v_cndmask_b32_e64 v1, v1, v2, s3
	v_cndmask_b32_e64 v19, v21, v2, s4
	;; [unrolled: 1-line block ×4, first 2 shown]
	v_cndmask_b32_e32 v5, v9, v10, vcc_lo
	v_cndmask_b32_e32 v6, v13, v14, vcc_lo
	v_cmp_eq_u32_e32 vcc_lo, 3, v71
	v_cndmask_b32_e64 v9, v17, v10, s6
	v_cndmask_b32_e64 v13, v18, v14, s6
	;; [unrolled: 1-line block ×3, first 2 shown]
	v_cmp_eq_u32_e64 s4, 4, v70
	v_cndmask_b32_e32 v1, v1, v10, vcc_lo
	v_cndmask_b32_e32 v2, v2, v14, vcc_lo
	v_cmp_eq_u32_e32 vcc_lo, 4, v72
	v_lshrrev_b32_e32 v15, 16, v7
	v_lshrrev_b32_e32 v16, 16, v8
	v_cndmask_b32_e64 v17, v19, v10, s5
	v_cmp_eq_u32_e64 s3, 4, v71
	v_cndmask_b32_e64 v5, v5, v3, s4
	v_cndmask_b32_e64 v6, v6, v7, s4
	v_cndmask_b32_e32 v9, v9, v3, vcc_lo
	v_cmp_eq_u32_e64 s4, 5, v72
	v_cndmask_b32_e32 v10, v13, v7, vcc_lo
	v_cmp_eq_u32_e32 vcc_lo, 4, v69
	v_cmp_eq_u32_e64 s5, 5, v70
	v_cndmask_b32_e64 v2, v2, v7, s3
	v_cndmask_b32_e64 v9, v9, v11, s4
	;; [unrolled: 1-line block ×3, first 2 shown]
	v_cndmask_b32_e32 v13, v17, v3, vcc_lo
	v_cmp_eq_u32_e64 s4, 5, v69
	v_cndmask_b32_e32 v14, v18, v7, vcc_lo
	v_cndmask_b32_e64 v1, v1, v3, s3
	v_cmp_eq_u32_e32 vcc_lo, 5, v71
	v_lshrrev_b32_e32 v12, 16, v4
	v_cndmask_b32_e64 v13, v13, v11, s4
	v_cndmask_b32_e64 v3, v14, v15, s4
	v_cmp_eq_u32_e64 s4, 6, v71
	v_cndmask_b32_e32 v1, v1, v11, vcc_lo
	v_cndmask_b32_e64 v5, v5, v11, s5
	v_cmp_eq_u32_e64 s6, 6, v70
	v_cndmask_b32_e64 v6, v6, v15, s5
	v_cmp_eq_u32_e64 s5, 6, v72
	v_cmp_eq_u32_e64 s3, 6, v69
	v_cndmask_b32_e64 v1, v1, v4, s4
	v_cndmask_b32_e32 v2, v2, v15, vcc_lo
	v_cmp_eq_u32_e32 vcc_lo, 7, v71
	v_cndmask_b32_e64 v5, v5, v4, s6
	v_cndmask_b32_e64 v9, v9, v4, s5
	;; [unrolled: 1-line block ×3, first 2 shown]
	v_cmp_eq_u32_e64 s6, 7, v70
	v_cndmask_b32_e32 v1, v1, v12, vcc_lo
	v_cndmask_b32_e64 v7, v13, v4, s3
	v_cndmask_b32_e64 v3, v3, v8, s3
	;; [unrolled: 1-line block ×3, first 2 shown]
	v_cmp_eq_u32_e64 s3, 7, v69
	v_cndmask_b32_e64 v4, v10, v8, s5
	v_cndmask_b32_e64 v5, v5, v12, s6
	;; [unrolled: 1-line block ×3, first 2 shown]
	v_cndmask_b32_e32 v2, v2, v16, vcc_lo
	v_cndmask_b32_e64 v7, v7, v12, s3
	v_cndmask_b32_e64 v3, v3, v16, s3
	;; [unrolled: 1-line block ×4, first 2 shown]
	v_perm_b32 v4, v2, v1, 0x5040100
	s_mov_b32 s3, exec_lo
	v_perm_b32 v3, v3, v7, 0x5040100
	v_perm_b32 v2, v8, v9, 0x5040100
	;; [unrolled: 1-line block ×3, first 2 shown]
	ds_store_b128 v74, v[1:4]
	s_waitcnt lgkmcnt(0)
	s_barrier
	buffer_gl0_inv
	v_cmpx_gt_u32_e32 32, v0
	s_cbranch_execz .LBB1300_2
; %bb.15:
	s_load_b64 s[4:5], s[0:1], 0x68
	v_lshlrev_b32_e32 v0, 10, v0
	v_add_nc_u32_e32 v2, s31, v66
	v_lshlrev_b32_e32 v3, 4, v67
	s_lshl_b32 s0, s35, 7
	s_delay_alu instid0(SALU_CYCLE_1) | instskip(NEXT) | instid1(VALU_DEP_2)
	s_mul_i32 s1, s0, s34
	v_mul_lo_u32 v1, v2, s0
	s_delay_alu instid0(VALU_DEP_2)
	v_and_or_b32 v0, 0x3800, v0, v3
	v_add_nc_u32_e32 v3, 2, v2
	s_mul_i32 s6, s1, s8
	v_add_nc_u32_e32 v4, 4, v2
	s_ashr_i32 s7, s6, 31
	v_lshl_or_b32 v11, v66, 6, v0
	s_lshl_b64 s[6:7], s[6:7], 1
	v_mul_lo_u32 v15, v3, s0
	v_mul_lo_u32 v17, v4, s0
	v_ashrrev_i32_e32 v2, 31, v1
	ds_load_b128 v[3:6], v11
	ds_load_b128 v[7:10], v11 offset:128
	ds_load_b128 v[11:14], v11 offset:256
	s_waitcnt lgkmcnt(0)
	s_add_u32 s1, s4, s6
	s_addc_u32 s3, s5, s7
	s_lshl_b32 s4, s14, 7
	v_ashrrev_i32_e32 v16, 31, v15
	s_ashr_i32 s5, s4, 31
	v_lshlrev_b64 v[19:20], 1, v[1:2]
	s_lshl_b64 s[4:5], s[4:5], 1
	v_ashrrev_i32_e32 v18, 31, v17
	s_add_u32 s1, s1, s4
	s_addc_u32 s3, s3, s5
	v_add_co_u32 v1, s1, s1, v65
	s_delay_alu instid0(VALU_DEP_1) | instskip(SKIP_1) | instid1(VALU_DEP_3)
	v_add_co_ci_u32_e64 v2, null, s3, 0, s1
	v_lshlrev_b64 v[15:16], 1, v[15:16]
	v_add_co_u32 v19, vcc_lo, v1, v19
	v_lshlrev_b64 v[17:18], 1, v[17:18]
	s_delay_alu instid0(VALU_DEP_4) | instskip(NEXT) | instid1(VALU_DEP_4)
	v_add_co_ci_u32_e32 v20, vcc_lo, v2, v20, vcc_lo
	v_add_co_u32 v15, vcc_lo, v1, v15
	v_add_co_ci_u32_e32 v16, vcc_lo, v2, v16, vcc_lo
	s_delay_alu instid0(VALU_DEP_4)
	v_add_co_u32 v17, vcc_lo, v1, v17
	v_add_co_ci_u32_e32 v18, vcc_lo, v2, v18, vcc_lo
	s_clause 0x2
	global_store_b128 v[19:20], v[3:6], off
	global_store_b128 v[15:16], v[7:10], off
	;; [unrolled: 1-line block ×3, first 2 shown]
	s_and_b32 exec_lo, exec_lo, s2
	s_cbranch_execz .LBB1300_2
; %bb.16:
	ds_load_b128 v[3:6], v0 offset:384
	s_add_i32 s1, s31, 6
	s_delay_alu instid0(SALU_CYCLE_1) | instskip(NEXT) | instid1(SALU_CYCLE_1)
	s_mul_i32 s0, s1, s0
	s_ashr_i32 s1, s0, 31
	s_delay_alu instid0(SALU_CYCLE_1) | instskip(NEXT) | instid1(SALU_CYCLE_1)
	s_lshl_b64 s[0:1], s[0:1], 1
	v_add_co_u32 v0, vcc_lo, v1, s0
	v_add_co_ci_u32_e32 v1, vcc_lo, s1, v2, vcc_lo
	s_waitcnt lgkmcnt(0)
	global_store_b128 v[0:1], v[3:6], off
	s_nop 0
	s_sendmsg sendmsg(MSG_DEALLOC_VGPRS)
	s_endpgm
	.section	.rodata,"a",@progbits
	.p2align	6, 0x0
	.amdhsa_kernel _Z39paged_attention_ll4mi_QKV_mfma16_kernelIDF16_hLN4vllm18Fp8KVCacheDataTypeE1EhLi32ELi128ELi256ELb0ELi7EL8MFMAType0EEvPKT_PKT0_S8_ifPKiSA_SA_iPKfiiiPfSD_PS3_PT2_iSC_SC_
		.amdhsa_group_segment_fixed_size 17472
		.amdhsa_private_segment_fixed_size 0
		.amdhsa_kernarg_size 400
		.amdhsa_user_sgpr_count 13
		.amdhsa_user_sgpr_dispatch_ptr 0
		.amdhsa_user_sgpr_queue_ptr 0
		.amdhsa_user_sgpr_kernarg_segment_ptr 1
		.amdhsa_user_sgpr_dispatch_id 0
		.amdhsa_user_sgpr_private_segment_size 0
		.amdhsa_wavefront_size32 1
		.amdhsa_uses_dynamic_stack 0
		.amdhsa_enable_private_segment 0
		.amdhsa_system_sgpr_workgroup_id_x 1
		.amdhsa_system_sgpr_workgroup_id_y 1
		.amdhsa_system_sgpr_workgroup_id_z 1
		.amdhsa_system_sgpr_workgroup_info 0
		.amdhsa_system_vgpr_workitem_id 0
		.amdhsa_next_free_vgpr 150
		.amdhsa_next_free_sgpr 37
		.amdhsa_reserve_vcc 1
		.amdhsa_float_round_mode_32 0
		.amdhsa_float_round_mode_16_64 0
		.amdhsa_float_denorm_mode_32 3
		.amdhsa_float_denorm_mode_16_64 3
		.amdhsa_dx10_clamp 1
		.amdhsa_ieee_mode 1
		.amdhsa_fp16_overflow 0
		.amdhsa_workgroup_processor_mode 1
		.amdhsa_memory_ordered 1
		.amdhsa_forward_progress 0
		.amdhsa_shared_vgpr_count 0
		.amdhsa_exception_fp_ieee_invalid_op 0
		.amdhsa_exception_fp_denorm_src 0
		.amdhsa_exception_fp_ieee_div_zero 0
		.amdhsa_exception_fp_ieee_overflow 0
		.amdhsa_exception_fp_ieee_underflow 0
		.amdhsa_exception_fp_ieee_inexact 0
		.amdhsa_exception_int_div_zero 0
	.end_amdhsa_kernel
	.section	.text._Z39paged_attention_ll4mi_QKV_mfma16_kernelIDF16_hLN4vllm18Fp8KVCacheDataTypeE1EhLi32ELi128ELi256ELb0ELi7EL8MFMAType0EEvPKT_PKT0_S8_ifPKiSA_SA_iPKfiiiPfSD_PS3_PT2_iSC_SC_,"axG",@progbits,_Z39paged_attention_ll4mi_QKV_mfma16_kernelIDF16_hLN4vllm18Fp8KVCacheDataTypeE1EhLi32ELi128ELi256ELb0ELi7EL8MFMAType0EEvPKT_PKT0_S8_ifPKiSA_SA_iPKfiiiPfSD_PS3_PT2_iSC_SC_,comdat
.Lfunc_end1300:
	.size	_Z39paged_attention_ll4mi_QKV_mfma16_kernelIDF16_hLN4vllm18Fp8KVCacheDataTypeE1EhLi32ELi128ELi256ELb0ELi7EL8MFMAType0EEvPKT_PKT0_S8_ifPKiSA_SA_iPKfiiiPfSD_PS3_PT2_iSC_SC_, .Lfunc_end1300-_Z39paged_attention_ll4mi_QKV_mfma16_kernelIDF16_hLN4vllm18Fp8KVCacheDataTypeE1EhLi32ELi128ELi256ELb0ELi7EL8MFMAType0EEvPKT_PKT0_S8_ifPKiSA_SA_iPKfiiiPfSD_PS3_PT2_iSC_SC_
                                        ; -- End function
	.section	.AMDGPU.csdata,"",@progbits
; Kernel info:
; codeLenInByte = 6708
; NumSgprs: 39
; NumVgprs: 150
; ScratchSize: 0
; MemoryBound: 0
; FloatMode: 240
; IeeeMode: 1
; LDSByteSize: 17472 bytes/workgroup (compile time only)
; SGPRBlocks: 4
; VGPRBlocks: 18
; NumSGPRsForWavesPerEU: 39
; NumVGPRsForWavesPerEU: 150
; Occupancy: 9
; WaveLimiterHint : 1
; COMPUTE_PGM_RSRC2:SCRATCH_EN: 0
; COMPUTE_PGM_RSRC2:USER_SGPR: 13
; COMPUTE_PGM_RSRC2:TRAP_HANDLER: 0
; COMPUTE_PGM_RSRC2:TGID_X_EN: 1
; COMPUTE_PGM_RSRC2:TGID_Y_EN: 1
; COMPUTE_PGM_RSRC2:TGID_Z_EN: 1
; COMPUTE_PGM_RSRC2:TIDIG_COMP_CNT: 0
	.section	.text._Z39paged_attention_ll4mi_QKV_mfma16_kernelIDF16_hLN4vllm18Fp8KVCacheDataTypeE1EhLi32ELi128ELi256ELb0ELi8EL8MFMAType0EEvPKT_PKT0_S8_ifPKiSA_SA_iPKfiiiPfSD_PS3_PT2_iSC_SC_,"axG",@progbits,_Z39paged_attention_ll4mi_QKV_mfma16_kernelIDF16_hLN4vllm18Fp8KVCacheDataTypeE1EhLi32ELi128ELi256ELb0ELi8EL8MFMAType0EEvPKT_PKT0_S8_ifPKiSA_SA_iPKfiiiPfSD_PS3_PT2_iSC_SC_,comdat
	.protected	_Z39paged_attention_ll4mi_QKV_mfma16_kernelIDF16_hLN4vllm18Fp8KVCacheDataTypeE1EhLi32ELi128ELi256ELb0ELi8EL8MFMAType0EEvPKT_PKT0_S8_ifPKiSA_SA_iPKfiiiPfSD_PS3_PT2_iSC_SC_ ; -- Begin function _Z39paged_attention_ll4mi_QKV_mfma16_kernelIDF16_hLN4vllm18Fp8KVCacheDataTypeE1EhLi32ELi128ELi256ELb0ELi8EL8MFMAType0EEvPKT_PKT0_S8_ifPKiSA_SA_iPKfiiiPfSD_PS3_PT2_iSC_SC_
	.globl	_Z39paged_attention_ll4mi_QKV_mfma16_kernelIDF16_hLN4vllm18Fp8KVCacheDataTypeE1EhLi32ELi128ELi256ELb0ELi8EL8MFMAType0EEvPKT_PKT0_S8_ifPKiSA_SA_iPKfiiiPfSD_PS3_PT2_iSC_SC_
	.p2align	8
	.type	_Z39paged_attention_ll4mi_QKV_mfma16_kernelIDF16_hLN4vllm18Fp8KVCacheDataTypeE1EhLi32ELi128ELi256ELb0ELi8EL8MFMAType0EEvPKT_PKT0_S8_ifPKiSA_SA_iPKfiiiPfSD_PS3_PT2_iSC_SC_,@function
_Z39paged_attention_ll4mi_QKV_mfma16_kernelIDF16_hLN4vllm18Fp8KVCacheDataTypeE1EhLi32ELi128ELi256ELb0ELi8EL8MFMAType0EEvPKT_PKT0_S8_ifPKiSA_SA_iPKfiiiPfSD_PS3_PT2_iSC_SC_: ; @_Z39paged_attention_ll4mi_QKV_mfma16_kernelIDF16_hLN4vllm18Fp8KVCacheDataTypeE1EhLi32ELi128ELi256ELb0ELi8EL8MFMAType0EEvPKT_PKT0_S8_ifPKiSA_SA_iPKfiiiPfSD_PS3_PT2_iSC_SC_
; %bb.0:
	s_load_b64 s[4:5], s[0:1], 0x30
	s_mov_b32 s30, s13
	s_waitcnt lgkmcnt(0)
	s_cmp_lg_u64 s[4:5], 0
	s_cselect_b32 s13, -1, 0
	s_ashr_i32 s31, s30, 31
	s_cmp_eq_u64 s[4:5], 0
	s_cbranch_scc1 .LBB1301_3
; %bb.1:
	s_lshl_b64 s[2:3], s[30:31], 2
	s_delay_alu instid0(SALU_CYCLE_1) | instskip(SKIP_4) | instid1(SALU_CYCLE_1)
	s_add_u32 s2, s4, s2
	s_addc_u32 s3, s5, s3
	s_load_b64 s[2:3], s[2:3], 0x0
	s_waitcnt lgkmcnt(0)
	s_sub_i32 s2, s3, s2
	s_cmp_eq_u32 s2, 1
	s_cselect_b32 s2, -1, 0
	s_delay_alu instid0(SALU_CYCLE_1)
	s_and_not1_b32 vcc_lo, exec_lo, s2
	s_cbranch_vccz .LBB1301_4
.LBB1301_2:
	s_endpgm
.LBB1301_3:
.LBB1301_4:
	s_load_b64 s[2:3], s[0:1], 0x28
	s_lshl_b64 s[6:7], s[30:31], 2
	s_waitcnt lgkmcnt(0)
	s_add_u32 s2, s2, s6
	s_addc_u32 s3, s3, s7
	s_lshl_b32 s12, s14, 8
	s_load_b32 s17, s[2:3], 0x0
	s_waitcnt lgkmcnt(0)
	s_cmp_ge_i32 s12, s17
	s_cbranch_scc1 .LBB1301_2
; %bb.5:
	s_clause 0x1
	s_load_b128 s[8:11], s[0:1], 0x8
	s_load_b64 s[2:3], s[0:1], 0x20
	s_and_not1_b32 vcc_lo, exec_lo, s13
	s_cbranch_vccnz .LBB1301_7
; %bb.6:
	s_add_u32 s4, s4, s6
	s_addc_u32 s5, s5, s7
	s_load_b32 s13, s[4:5], 0x0
	s_branch .LBB1301_8
.LBB1301_7:
	s_mov_b32 s13, s30
.LBB1301_8:
	s_load_b128 s[4:7], s[0:1], 0x48
	v_and_b32_e32 v69, 15, v0
	v_lshrrev_b32_e32 v68, 5, v0
	v_and_b32_e32 v70, 31, v0
	v_and_b32_e32 v67, 1, v0
	v_bfe_u32 v66, v0, 4, 1
	v_lshlrev_b32_e32 v1, 3, v69
	s_lshl_b32 s31, s15, 3
	s_waitcnt lgkmcnt(0)
	s_mov_b32 s7, exec_lo
	s_delay_alu instid0(VALU_DEP_1)
	v_lshlrev_b32_e32 v65, 1, v1
	v_cmpx_gt_u32_e32 0x80, v0
	s_cbranch_execz .LBB1301_10
; %bb.9:
	v_lshl_or_b32 v5, v68, 1, v66
	s_load_b64 s[18:19], s[0:1], 0x0
	s_mul_hi_i32 s21, s13, s4
	s_mul_i32 s20, s13, s4
	v_lshlrev_b32_e32 v6, 10, v69
	v_or_b32_e32 v1, s31, v5
	s_lshl_b64 s[20:21], s[20:21], 1
	v_lshlrev_b32_e32 v5, 6, v5
	v_lshlrev_b32_e32 v7, 10, v67
	v_and_b32_e32 v6, 0x3800, v6
	v_lshlrev_b32_e32 v1, 7, v1
	s_delay_alu instid0(VALU_DEP_2) | instskip(NEXT) | instid1(VALU_DEP_2)
	v_or3_b32 v5, v6, v7, v5
	v_ashrrev_i32_e32 v2, 31, v1
	s_delay_alu instid0(VALU_DEP_1) | instskip(SKIP_3) | instid1(VALU_DEP_1)
	v_lshlrev_b64 v[1:2], 1, v[1:2]
	s_waitcnt lgkmcnt(0)
	s_add_u32 s4, s18, s20
	s_addc_u32 s13, s19, s21
	v_add_co_u32 v1, vcc_lo, s4, v1
	s_delay_alu instid0(VALU_DEP_2) | instskip(NEXT) | instid1(VALU_DEP_2)
	v_add_co_ci_u32_e32 v2, vcc_lo, s13, v2, vcc_lo
	v_add_co_u32 v1, vcc_lo, v1, v65
	s_delay_alu instid0(VALU_DEP_2)
	v_add_co_ci_u32_e32 v2, vcc_lo, 0, v2, vcc_lo
	global_load_b128 v[1:4], v[1:2], off
	s_waitcnt vmcnt(0)
	ds_store_b128 v5, v[1:4]
.LBB1301_10:
	s_or_b32 exec_lo, exec_lo, s7
	v_and_b32_e32 v1, 0xef, v0
	s_add_i32 s4, s17, 31
	s_clause 0x1
	s_load_b32 s7, s[0:1], 0x38
	s_load_b32 s33, s[0:1], 0x98
	s_ashr_i32 s13, s4, 31
	v_add_nc_u32_e32 v1, s12, v1
	s_lshr_b32 s13, s13, 27
	s_load_b32 s18, s[0:1], 0x1c
	s_add_i32 s4, s4, s13
	s_waitcnt lgkmcnt(0)
	v_ashrrev_i32_e32 v2, 31, v1
	v_or_b32_e32 v3, 16, v1
	s_ashr_i32 s4, s4, 5
	v_cmp_gt_i32_e32 vcc_lo, s17, v1
	s_add_i32 s4, s4, -1
	v_lshrrev_b32_e32 v2, 27, v2
	s_barrier
	buffer_gl0_inv
	s_mul_i32 s15, s15, s6
	v_add_nc_u32_e32 v4, v1, v2
	s_mul_i32 s20, s30, s7
	s_delay_alu instid0(SALU_CYCLE_1) | instskip(NEXT) | instid1(VALU_DEP_1)
	s_ashr_i32 s21, s20, 31
	v_ashrrev_i32_e32 v4, 5, v4
	v_add_nc_u32_e32 v2, v3, v2
	s_lshl_b64 s[20:21], s[20:21], 2
	s_delay_alu instid0(SALU_CYCLE_1) | instskip(NEXT) | instid1(VALU_DEP_2)
	s_add_u32 s13, s2, s20
	v_cndmask_b32_e32 v1, s4, v4, vcc_lo
	s_delay_alu instid0(VALU_DEP_2)
	v_ashrrev_i32_e32 v2, 5, v2
	v_cmp_gt_i32_e32 vcc_lo, s17, v3
	s_addc_u32 s16, s3, s21
	s_ashr_i32 s19, s15, 31
	s_add_u32 s2, s8, s15
	s_addc_u32 s3, s9, s19
	v_cndmask_b32_e32 v3, s4, v2, vcc_lo
	v_ashrrev_i32_e32 v2, 31, v1
	s_lshl_b32 s6, s14, 3
	s_delay_alu instid0(SALU_CYCLE_1) | instskip(NEXT) | instid1(VALU_DEP_2)
	s_ashr_i32 s7, s6, 31
	v_ashrrev_i32_e32 v4, 31, v3
	s_delay_alu instid0(VALU_DEP_2) | instskip(SKIP_1) | instid1(SALU_CYCLE_1)
	v_lshlrev_b64 v[1:2], 2, v[1:2]
	s_lshl_b64 s[6:7], s[6:7], 2
	s_add_u32 s6, s13, s6
	s_delay_alu instid0(VALU_DEP_2) | instskip(SKIP_1) | instid1(VALU_DEP_2)
	v_lshlrev_b64 v[3:4], 2, v[3:4]
	s_addc_u32 s7, s16, s7
	v_add_co_u32 v1, vcc_lo, s13, v1
	v_add_co_ci_u32_e32 v2, vcc_lo, s16, v2, vcc_lo
	s_delay_alu instid0(VALU_DEP_3) | instskip(NEXT) | instid1(VALU_DEP_4)
	v_add_co_u32 v3, vcc_lo, s13, v3
	v_add_co_ci_u32_e32 v4, vcc_lo, s16, v4, vcc_lo
	s_clause 0x1
	global_load_b32 v5, v[1:2], off
	global_load_b32 v6, v[3:4], off
	s_or_b32 s8, s12, 32
	s_delay_alu instid0(SALU_CYCLE_1) | instskip(SKIP_2) | instid1(SALU_CYCLE_1)
	s_ashr_i32 s9, s8, 5
	s_cmp_lt_i32 s8, s17
	s_cselect_b32 s8, s9, s4
	s_ashr_i32 s9, s8, 31
	s_delay_alu instid0(SALU_CYCLE_1) | instskip(NEXT) | instid1(SALU_CYCLE_1)
	s_lshl_b64 s[8:9], s[8:9], 2
	s_add_u32 s8, s13, s8
	s_addc_u32 s9, s16, s9
	s_or_b32 s20, s12, 64
	s_delay_alu instid0(SALU_CYCLE_1) | instskip(SKIP_2) | instid1(SALU_CYCLE_1)
	s_ashr_i32 s21, s20, 5
	s_cmp_lt_i32 s20, s17
	s_cselect_b32 s20, s21, s4
	s_ashr_i32 s21, s20, 31
	s_delay_alu instid0(SALU_CYCLE_1) | instskip(NEXT) | instid1(SALU_CYCLE_1)
	s_lshl_b64 s[20:21], s[20:21], 2
	s_add_u32 s20, s13, s20
	s_addc_u32 s21, s16, s21
	;; [unrolled: 10-line block ×5, first 2 shown]
	s_clause 0x5
	s_load_b32 s28, s[6:7], 0x0
	s_load_b32 s8, s[8:9], 0x0
	;; [unrolled: 1-line block ×6, first 2 shown]
	s_mov_b32 s20, 0
	s_delay_alu instid0(SALU_CYCLE_1)
	s_mov_b32 s21, s20
	s_mov_b32 s22, s20
	;; [unrolled: 1-line block ×7, first 2 shown]
	s_delay_alu instid0(SALU_CYCLE_1)
	v_dual_mov_b32 v102, s27 :: v_dual_mov_b32 v101, s26
	v_dual_mov_b32 v100, s25 :: v_dual_mov_b32 v99, s24
	v_mov_b32_e32 v97, s22
	v_dual_mov_b32 v95, s20 :: v_dual_mov_b32 v98, s23
	v_mov_b32_e32 v96, s21
	s_waitcnt vmcnt(1)
	v_mad_i64_i32 v[1:2], null, v5, s5, s[2:3]
	v_lshlrev_b32_e32 v5, 4, v69
	s_waitcnt vmcnt(0)
	v_mad_i64_i32 v[3:4], null, v6, s5, s[2:3]
	s_or_b32 s2, s12, 0xc0
	s_delay_alu instid0(SALU_CYCLE_1) | instskip(NEXT) | instid1(VALU_DEP_3)
	s_ashr_i32 s3, s2, 5
	v_add_co_u32 v33, vcc_lo, v1, v5
	s_delay_alu instid0(VALU_DEP_4) | instskip(NEXT) | instid1(VALU_DEP_3)
	v_add_co_ci_u32_e32 v34, vcc_lo, 0, v2, vcc_lo
	v_add_co_u32 v35, vcc_lo, v3, v5
	s_delay_alu instid0(VALU_DEP_4)
	v_add_co_ci_u32_e32 v36, vcc_lo, 0, v4, vcc_lo
	s_clause 0xf
	global_load_b128 v[1:4], v[33:34], off
	global_load_b128 v[5:8], v[33:34], off offset:512
	global_load_b128 v[9:12], v[35:36], off offset:256
	;; [unrolled: 1-line block ×15, first 2 shown]
	s_cmp_lt_i32 s2, s17
	v_and_b32_e32 v33, 7, v0
	s_cselect_b32 s2, s3, s4
	v_lshlrev_b32_e32 v34, 5, v69
	s_ashr_i32 s3, s2, 31
	s_delay_alu instid0(SALU_CYCLE_1)
	s_lshl_b64 s[2:3], s[2:3], 2
	v_lshlrev_b32_e32 v139, 6, v33
	s_add_u32 s2, s13, s2
	s_addc_u32 s3, s16, s3
	s_or_b32 s6, s12, 0xe0
	v_lshl_or_b32 v41, v68, 9, v34
	s_ashr_i32 s7, s6, 5
	s_cmp_lt_i32 s6, s17
	ds_load_b128 v[33:36], v139
	ds_load_b128 v[37:40], v139 offset:1024
	s_cselect_b32 s6, s7, s4
	ds_load_b128 v[103:106], v139 offset:2048
	ds_load_b128 v[107:110], v139 offset:3072
	s_ashr_i32 s7, s6, 31
	s_load_b32 s4, s[2:3], 0x0
	s_lshl_b64 s[6:7], s[6:7], 2
	ds_load_b128 v[111:114], v139 offset:4096
	ds_load_b128 v[115:118], v139 offset:5120
	s_add_u32 s2, s13, s6
	s_addc_u32 s3, s16, s7
	s_add_u32 s6, s10, s15
	s_load_b32 s2, s[2:3], 0x0
	s_addc_u32 s7, s11, s19
	v_add_co_u32 v127, s6, s6, v41
	s_delay_alu instid0(VALU_DEP_1) | instskip(SKIP_1) | instid1(VALU_DEP_1)
	v_add_co_ci_u32_e64 v128, null, s7, 0, s6
	s_waitcnt lgkmcnt(0)
	v_mad_i64_i32 v[41:42], null, s28, s5, v[127:128]
	v_mad_i64_i32 v[129:130], null, s9, s5, v[127:128]
	v_mad_i64_i32 v[131:132], null, s29, s5, v[127:128]
	v_mad_i64_i32 v[133:134], null, s34, s5, v[127:128]
	v_mad_i64_i32 v[45:46], null, s8, s5, v[127:128]
	v_mad_i64_i32 v[135:136], null, s35, s5, v[127:128]
	v_mad_i64_i32 v[137:138], null, s4, s5, v[127:128]
	s_clause 0x3
	global_load_b128 v[49:52], v[41:42], off
	global_load_b128 v[53:56], v[41:42], off offset:16
	global_load_b128 v[41:44], v[45:46], off
	global_load_b128 v[45:48], v[45:46], off offset:16
	s_waitcnt vmcnt(18)
	v_wmma_f32_16x16x16_f16 v[119:126], v[1:8], v[33:40], v[95:102]
	s_waitcnt vmcnt(16)
	v_wmma_f32_16x16x16_f16 v[95:102], v[9:16], v[33:40], v[95:102]
	s_clause 0x3
	global_load_b128 v[33:36], v[129:130], off
	global_load_b128 v[37:40], v[129:130], off offset:16
	global_load_b128 v[1:4], v[131:132], off
	global_load_b128 v[5:8], v[131:132], off offset:16
	s_waitcnt vmcnt(18)
	v_wmma_f32_16x16x16_f16 v[119:126], v[17:24], v[103:110], v[119:126]
	s_clause 0x3
	global_load_b128 v[9:12], v[133:134], off
	global_load_b128 v[13:16], v[133:134], off offset:16
	global_load_b128 v[17:20], v[135:136], off
	global_load_b128 v[21:24], v[135:136], off offset:16
	s_waitcnt vmcnt(20)
	v_wmma_f32_16x16x16_f16 v[95:102], v[25:32], v[103:110], v[95:102]
	v_mad_i64_i32 v[103:104], null, s2, s5, v[127:128]
	s_waitcnt vmcnt(18)
	v_wmma_f32_16x16x16_f16 v[119:126], v[57:64], v[111:118], v[119:126]
	s_clause 0x3
	global_load_b128 v[25:28], v[137:138], off
	global_load_b128 v[29:32], v[137:138], off offset:16
	global_load_b128 v[57:60], v[103:104], off
	global_load_b128 v[61:64], v[103:104], off offset:16
	s_waitcnt vmcnt(20)
	v_wmma_f32_16x16x16_f16 v[95:102], v[71:78], v[111:118], v[95:102]
	ds_load_b128 v[71:74], v139 offset:6144
	ds_load_b128 v[75:78], v139 offset:7168
	v_mbcnt_lo_u32_b32 v104, -1, 0
	s_waitcnt vmcnt(0) lgkmcnt(0)
	s_barrier
	buffer_gl0_inv
	v_xor_b32_e32 v105, 16, v104
	s_delay_alu instid0(VALU_DEP_1) | instskip(SKIP_4) | instid1(VALU_DEP_2)
	v_cmp_gt_i32_e32 vcc_lo, 32, v105
	v_cndmask_b32_e32 v104, v104, v105, vcc_lo
	v_wmma_f32_16x16x16_f16 v[119:126], v[79:86], v[71:78], v[119:126]
	v_and_b32_e32 v103, 0xe0, v0
	v_wmma_f32_16x16x16_f16 v[95:102], v[87:94], v[71:78], v[95:102]
	v_dual_mul_f32 v78, s18, v121 :: v_dual_add_nc_u32 v103, s12, v103
	s_delay_alu instid0(VALU_DEP_2) | instskip(SKIP_1) | instid1(VALU_DEP_3)
	v_dual_mul_f32 v90, s18, v101 :: v_dual_mul_f32 v87, s18, v120
	v_dual_mul_f32 v88, s18, v119 :: v_dual_mul_f32 v77, s18, v122
	v_or_b32_e32 v103, v103, v66
	v_dual_mul_f32 v75, s18, v124 :: v_dual_mul_f32 v94, s18, v97
	v_dual_mul_f32 v76, s18, v123 :: v_dual_mul_f32 v73, s18, v126
	v_mul_f32_e32 v92, s18, v99
	s_delay_alu instid0(VALU_DEP_4)
	v_or_b32_e32 v105, 2, v103
	v_or_b32_e32 v106, 4, v103
	;; [unrolled: 1-line block ×3, first 2 shown]
	v_cmp_gt_i32_e64 s2, s17, v103
	v_or_b32_e32 v108, 8, v103
	v_cmp_gt_i32_e32 vcc_lo, s17, v105
	v_or_b32_e32 v109, 10, v103
	v_cmp_gt_i32_e64 s3, s17, v106
	v_cndmask_b32_e64 v88, 0xff7fffff, v88, s2
	v_cmp_gt_i32_e64 s4, s17, v107
	v_cndmask_b32_e32 v87, 0xff7fffff, v87, vcc_lo
	v_or_b32_e32 v79, 12, v103
	v_or_b32_e32 v80, 14, v103
	v_cndmask_b32_e64 v78, 0xff7fffff, v78, s3
	v_cndmask_b32_e64 v77, 0xff7fffff, v77, s4
	v_max3_f32 v87, v88, 0xff7fffff, v87
	v_cmp_gt_i32_e64 s5, s17, v108
	v_cmp_gt_i32_e64 s6, s17, v109
	v_or_b32_e32 v81, 16, v103
	v_or_b32_e32 v82, 18, v103
	v_mul_f32_e32 v74, s18, v125
	v_cndmask_b32_e64 v76, 0xff7fffff, v76, s5
	v_cndmask_b32_e64 v75, 0xff7fffff, v75, s6
	v_max3_f32 v77, v87, v78, v77
	v_cmp_gt_i32_e64 s7, s17, v79
	v_cmp_gt_i32_e64 s8, s17, v80
	v_or_b32_e32 v83, 20, v103
	v_or_b32_e32 v84, 22, v103
	;; [unrolled: 1-line block ×6, first 2 shown]
	v_mul_f32_e32 v105, s18, v96
	v_mul_f32_e32 v103, s18, v95
	v_cndmask_b32_e64 v74, 0xff7fffff, v74, s7
	v_cndmask_b32_e64 v73, 0xff7fffff, v73, s8
	v_max3_f32 v75, v77, v76, v75
	v_cmp_gt_i32_e64 s9, s17, v81
	v_cmp_gt_i32_e64 s10, s17, v82
	v_mul_f32_e32 v93, s18, v98
	v_cmp_gt_i32_e64 s11, s17, v83
	v_max3_f32 v73, v75, v74, v73
	v_cndmask_b32_e64 v76, 0xff7fffff, v103, s9
	v_cndmask_b32_e64 v77, 0xff7fffff, v105, s10
	v_cmp_gt_i32_e64 s12, s17, v84
	v_mul_f32_e32 v91, s18, v100
	v_cndmask_b32_e64 v74, 0xff7fffff, v94, s11
	v_cmp_gt_i32_e64 s13, s17, v85
	v_max3_f32 v73, v73, v76, v77
	v_cndmask_b32_e64 v75, 0xff7fffff, v93, s12
	v_cmp_gt_i32_e64 s15, s17, v86
	v_mul_f32_e32 v89, s18, v102
	v_cndmask_b32_e64 v76, 0xff7fffff, v92, s13
	v_cmp_gt_i32_e64 s16, s17, v71
	v_max3_f32 v73, v73, v74, v75
	v_cndmask_b32_e64 v77, 0xff7fffff, v91, s15
	v_cmp_gt_i32_e64 s17, s17, v72
	v_lshlrev_b32_e32 v74, 2, v104
	v_cndmask_b32_e64 v71, 0xff7fffff, v90, s16
	s_delay_alu instid0(VALU_DEP_4) | instskip(NEXT) | instid1(VALU_DEP_4)
	v_max3_f32 v73, v73, v76, v77
	v_cndmask_b32_e64 v72, 0xff7fffff, v89, s17
	s_delay_alu instid0(VALU_DEP_1) | instskip(SKIP_3) | instid1(VALU_DEP_1)
	v_max3_f32 v71, v73, v71, v72
	ds_bpermute_b32 v72, v74, v71
	s_waitcnt lgkmcnt(0)
	v_max_f32_e32 v72, v72, v72
	v_max_f32_e32 v71, v71, v72
	s_delay_alu instid0(VALU_DEP_1)
	v_fma_f32 v72, s18, v119, -v71
	v_fma_f32 v76, s18, v122, -v71
	;; [unrolled: 1-line block ×5, first 2 shown]
	v_mul_f32_e32 v72, 0x3fb8aa3b, v72
	v_mul_f32_e32 v76, 0x3fb8aa3b, v76
	v_fma_f32 v75, s18, v121, -v71
	v_mul_f32_e32 v79, 0x3fb8aa3b, v77
	v_mul_f32_e32 v85, 0x3fb8aa3b, v84
	v_exp_f32_e32 v72, v72
	v_exp_f32_e32 v76, v76
	v_fma_f32 v86, s18, v98, -v71
	v_exp_f32_e32 v82, v79
	v_exp_f32_e32 v85, v85
	v_fma_f32 v81, s18, v125, -v71
	s_delay_alu instid0(VALU_DEP_2) | instskip(SKIP_3) | instid1(TRANS32_DEP_3)
	v_mul_f32_e32 v87, 0x3fb8aa3b, v86
	v_cndmask_b32_e64 v78, 0, v72, s2
	v_fma_f32 v72, s18, v124, -v71
	v_mul_f32_e32 v73, 0x3fb8aa3b, v73
	v_cndmask_b32_e64 v79, 0, v76, s4
	v_fma_f32 v76, s18, v95, -v71
	s_delay_alu instid0(VALU_DEP_4) | instskip(NEXT) | instid1(VALU_DEP_4)
	v_dual_mul_f32 v75, 0x3fb8aa3b, v75 :: v_dual_mul_f32 v72, 0x3fb8aa3b, v72
	v_exp_f32_e32 v73, v73
	v_exp_f32_e32 v87, v87
	s_delay_alu instid0(VALU_DEP_2) | instskip(NEXT) | instid1(VALU_DEP_2)
	v_mul_f32_e32 v76, 0x3fb8aa3b, v76
	v_exp_f32_e32 v75, v75
	v_cndmask_b32_e64 v85, 0, v85, s10
	v_mul_f32_e32 v81, 0x3fb8aa3b, v81
	v_exp_f32_e32 v72, v72
	v_cndmask_b32_e64 v82, 0, v82, s5
	v_exp_f32_e32 v76, v76
	s_mov_b32 s2, exec_lo
	v_cndmask_b32_e32 v77, 0, v73, vcc_lo
	v_add_f32_e32 v73, 0, v78
	v_cndmask_b32_e64 v87, 0, v87, s12
	v_cndmask_b32_e64 v80, 0, v75, s3
	v_fma_f32 v75, s18, v126, -v71
	v_exp_f32_e32 v83, v81
	v_add_f32_e32 v73, v73, v77
	v_cndmask_b32_e64 v81, 0, v72, s6
	v_cndmask_b32_e64 v86, 0, v76, s9
	v_mul_f32_e32 v75, 0x3fb8aa3b, v75
	s_delay_alu instid0(VALU_DEP_4) | instskip(NEXT) | instid1(VALU_DEP_2)
	v_add_f32_e32 v73, v73, v80
	v_exp_f32_e32 v75, v75
	s_delay_alu instid0(TRANS32_DEP_2) | instskip(NEXT) | instid1(VALU_DEP_2)
	v_cndmask_b32_e64 v84, 0, v83, s7
	v_add_f32_e32 v73, v73, v79
	s_delay_alu instid0(VALU_DEP_1) | instskip(SKIP_3) | instid1(VALU_DEP_1)
	v_add_f32_e32 v72, v73, v82
	s_waitcnt_depctr 0xfff
	v_cndmask_b32_e64 v83, 0, v75, s8
	v_add_f32_e32 v72, v72, v81
	v_add_f32_e32 v72, v72, v84
	s_delay_alu instid0(VALU_DEP_1) | instskip(NEXT) | instid1(VALU_DEP_1)
	v_add_f32_e32 v72, v72, v83
	v_add_f32_e32 v72, v72, v86
	v_fma_f32 v73, s18, v97, -v71
	v_fma_f32 v75, s18, v99, -v71
	;; [unrolled: 1-line block ×4, first 2 shown]
	v_add_f32_e32 v72, v72, v85
	v_mul_f32_e32 v73, 0x3fb8aa3b, v73
	s_delay_alu instid0(VALU_DEP_4) | instskip(NEXT) | instid1(VALU_DEP_2)
	v_dual_mul_f32 v75, 0x3fb8aa3b, v75 :: v_dual_mul_f32 v76, 0x3fb8aa3b, v76
	v_exp_f32_e32 v73, v73
	s_delay_alu instid0(VALU_DEP_1) | instskip(NEXT) | instid1(VALU_DEP_1)
	v_exp_f32_e32 v75, v75
	v_exp_f32_e32 v76, v76
	s_delay_alu instid0(TRANS32_DEP_3)
	v_cndmask_b32_e64 v88, 0, v73, s11
	v_mul_f32_e32 v73, 0x3fb8aa3b, v89
	v_fma_f32 v89, s18, v102, -v71
	s_waitcnt_depctr 0xfff
	v_cndmask_b32_e64 v90, 0, v75, s13
	v_add_f32_e32 v72, v72, v88
	v_exp_f32_e32 v73, v73
	v_mul_f32_e32 v75, 0x3fb8aa3b, v89
	v_cndmask_b32_e64 v89, 0, v76, s15
	s_delay_alu instid0(VALU_DEP_3) | instskip(NEXT) | instid1(VALU_DEP_3)
	v_add_f32_e32 v72, v72, v87
	v_exp_f32_e32 v75, v75
	s_delay_alu instid0(VALU_DEP_1) | instskip(SKIP_4) | instid1(VALU_DEP_2)
	v_add_f32_e32 v72, v72, v90
	s_waitcnt_depctr 0xfff
	v_cndmask_b32_e64 v92, 0, v73, s16
	v_add_f32_e32 v72, v72, v89
	v_cndmask_b32_e64 v91, 0, v75, s17
	v_add_f32_e32 v72, v72, v92
	s_delay_alu instid0(VALU_DEP_1)
	v_add_f32_e32 v72, v72, v91
	ds_bpermute_b32 v73, v74, v72
	v_cmpx_gt_u32_e32 16, v70
	s_cbranch_execz .LBB1301_12
; %bb.11:
	v_mul_u32_u24_e32 v70, 0x44, v68
	s_waitcnt lgkmcnt(0)
	v_add_f32_e32 v72, v72, v73
	s_delay_alu instid0(VALU_DEP_2) | instskip(NEXT) | instid1(VALU_DEP_1)
	v_lshl_add_u32 v70, v69, 2, v70
	v_add_nc_u32_e32 v70, 0x4000, v70
	ds_store_2addr_b32 v70, v71, v72 offset1:136
.LBB1301_12:
	s_or_b32 exec_lo, exec_lo, s2
	v_lshlrev_b32_e32 v70, 2, v69
	s_load_b32 s34, s[0:1], 0x94
	s_waitcnt lgkmcnt(0)
	s_barrier
	buffer_gl0_inv
	v_add_nc_u32_e32 v74, 0x4000, v70
	v_cmp_eq_u32_e32 vcc_lo, 1, v68
	v_cmp_eq_u32_e64 s2, 2, v68
	v_cmp_eq_u32_e64 s3, 3, v68
	v_cmp_eq_u32_e64 s4, 4, v68
	ds_load_2addr_b32 v[70:71], v74 offset1:17
	ds_load_2addr_b32 v[72:73], v74 offset0:34 offset1:51
	ds_load_2addr_b32 v[93:94], v74 offset0:68 offset1:85
	ds_load_2addr_b32 v[95:96], v74 offset0:102 offset1:119
	v_cmp_eq_u32_e64 s5, 5, v68
	v_cmp_eq_u32_e64 s6, 7, v68
	s_waitcnt lgkmcnt(3)
	v_max3_f32 v75, v70, 0xff7fffff, v71
	s_waitcnt lgkmcnt(2)
	s_delay_alu instid0(VALU_DEP_1) | instskip(SKIP_1) | instid1(VALU_DEP_1)
	v_max3_f32 v75, v75, v72, v73
	s_waitcnt lgkmcnt(1)
	v_max3_f32 v75, v75, v93, v94
	s_waitcnt lgkmcnt(0)
	s_delay_alu instid0(VALU_DEP_1) | instskip(NEXT) | instid1(VALU_DEP_1)
	v_max3_f32 v75, v75, v95, v96
	v_sub_f32_e32 v93, v93, v75
	ds_load_2addr_b32 v[97:98], v74 offset0:136 offset1:153
	v_sub_f32_e32 v70, v70, v75
	v_dual_sub_f32 v100, v73, v75 :: v_dual_mul_f32 v103, 0x3fb8aa3b, v93
	s_delay_alu instid0(VALU_DEP_2) | instskip(SKIP_3) | instid1(VALU_DEP_1)
	v_dual_sub_f32 v76, v71, v75 :: v_dual_mul_f32 v99, 0x3fb8aa3b, v70
	ds_load_2addr_b32 v[70:71], v74 offset0:170 offset1:187
	v_mul_f32_e32 v76, 0x3fb8aa3b, v76
	v_exp_f32_e32 v99, v99
	v_exp_f32_e32 v102, v76
	v_mul_f32_e32 v100, 0x3fb8aa3b, v100
	s_waitcnt lgkmcnt(1)
	s_waitcnt_depctr 0xfff
	v_fma_f32 v76, v99, v97, 0
	v_sub_f32_e32 v97, v94, v75
	v_sub_f32_e32 v72, v72, v75
	v_exp_f32_e32 v100, v100
	ds_load_2addr_b32 v[93:94], v74 offset0:238 offset1:255
	v_dual_fmac_f32 v76, v102, v98 :: v_dual_mul_f32 v101, 0x3fb8aa3b, v72
	ds_load_2addr_b32 v[72:73], v74 offset0:204 offset1:221
	v_dual_sub_f32 v74, v95, v75 :: v_dual_mul_f32 v95, 0x3fb8aa3b, v97
	v_exp_f32_e32 v97, v103
	v_exp_f32_e32 v101, v101
	s_waitcnt lgkmcnt(0)
	s_barrier
	v_exp_f32_e32 v95, v95
	buffer_gl0_inv
	v_fmac_f32_e32 v76, v101, v70
	v_sub_f32_e32 v70, v96, v75
	s_delay_alu instid0(VALU_DEP_2) | instskip(NEXT) | instid1(VALU_DEP_2)
	v_fmac_f32_e32 v76, v100, v71
	v_mul_f32_e32 v70, 0x3fb8aa3b, v70
	s_delay_alu instid0(VALU_DEP_2)
	v_dual_cndmask_b32 v71, v99, v102 :: v_dual_fmac_f32 v76, v97, v72
	v_lshlrev_b32_e32 v72, 6, v69
	v_lshlrev_b32_e32 v69, 2, v66
	v_mul_f32_e32 v74, 0x3fb8aa3b, v74
	v_exp_f32_e32 v98, v70
	v_fmac_f32_e32 v76, v95, v73
	s_delay_alu instid0(VALU_DEP_3) | instskip(NEXT) | instid1(VALU_DEP_3)
	v_cmp_eq_u32_e64 s7, 7, v69
	v_exp_f32_e32 v96, v74
	v_lshl_or_b32 v74, v68, 11, v72
	s_waitcnt_depctr 0xfff
	v_fmac_f32_e32 v76, v96, v93
	s_delay_alu instid0(VALU_DEP_1) | instskip(NEXT) | instid1(VALU_DEP_1)
	v_fmac_f32_e32 v76, v98, v94
	v_add_f32_e32 v73, 0x358637bd, v76
	s_delay_alu instid0(VALU_DEP_1) | instskip(SKIP_1) | instid1(VALU_DEP_2)
	v_div_scale_f32 v93, null, v73, v73, 1.0
	v_div_scale_f32 v99, vcc_lo, 1.0, v73, 1.0
	v_rcp_f32_e32 v94, v93
	s_waitcnt_depctr 0xfff
	v_fma_f32 v70, -v93, v94, 1.0
	s_delay_alu instid0(VALU_DEP_1)
	v_fmac_f32_e32 v94, v70, v94
	v_cndmask_b32_e64 v70, v71, v101, s2
	v_cmp_eq_u32_e64 s2, 6, v68
	v_or_b32_e32 v71, 1, v69
	v_or_b32_e32 v68, 2, v69
	v_mul_f32_e32 v101, v99, v94
	v_cndmask_b32_e64 v70, v70, v100, s3
	v_cmp_eq_u32_e64 s3, 1, v69
	v_cmp_eq_u32_e64 s8, 1, v71
	;; [unrolled: 1-line block ×3, first 2 shown]
	v_fma_f32 v100, -v93, v101, v99
	v_cndmask_b32_e64 v70, v70, v97, s4
	v_cmp_eq_u32_e64 s4, 2, v69
	v_cmp_eq_u32_e64 s11, 2, v71
	;; [unrolled: 1-line block ×3, first 2 shown]
	v_fmac_f32_e32 v101, v100, v94
	v_cndmask_b32_e64 v95, v70, v95, s5
	v_or_b32_e32 v70, 3, v69
	v_cmp_eq_u32_e64 s12, 3, v71
	v_cmp_eq_u32_e64 s16, 3, v68
	v_fma_f32 v93, -v93, v101, v99
	v_cndmask_b32_e64 v95, v95, v96, s2
	v_cmp_eq_u32_e64 s10, 1, v70
	v_cmp_eq_u32_e64 s15, 2, v70
	;; [unrolled: 1-line block ×3, first 2 shown]
	v_div_fmas_f32 v93, v93, v94, v101
	v_cndmask_b32_e64 v94, v95, v98, s6
	v_cmp_eq_u32_e32 vcc_lo, 3, v69
	v_cmp_eq_u32_e64 s2, 4, v69
	v_cmp_eq_u32_e64 s18, 4, v71
	v_div_fixup_f32 v93, v93, v73, 1.0
	v_lshl_or_b32 v73, v66, 4, v74
	v_cmp_eq_u32_e64 s21, 4, v70
	v_cmp_eq_u32_e64 s5, 5, v69
	;; [unrolled: 1-line block ×3, first 2 shown]
	v_mul_f32_e32 v101, v94, v93
	v_cmp_eq_u32_e64 s20, 4, v68
	v_cmp_eq_u32_e64 s23, 5, v70
	;; [unrolled: 1-line block ×4, first 2 shown]
	v_fma_mixlo_f16 v93, v101, v78, 0
	v_fma_mixlo_f16 v94, v101, v80, 0
	;; [unrolled: 1-line block ×8, first 2 shown]
	v_fma_mixhi_f16 v93, v101, v77, 0
	v_fma_mixhi_f16 v94, v101, v79, 0
	;; [unrolled: 1-line block ×8, first 2 shown]
	ds_store_b128 v73, v[93:96]
	ds_store_b128 v73, v[97:100] offset:1024
	s_waitcnt lgkmcnt(0)
	s_barrier
	buffer_gl0_inv
	ds_load_b128 v[77:80], v74
	ds_load_b128 v[81:84], v74 offset:16
	ds_load_b128 v[85:88], v74 offset:1024
	;; [unrolled: 1-line block ×3, first 2 shown]
	v_cmp_eq_u32_e64 s26, 6, v70
	v_cmp_eq_u32_e64 s6, 6, v69
	;; [unrolled: 1-line block ×6, first 2 shown]
	s_waitcnt lgkmcnt(3)
	v_lshrrev_b32_e32 v93, 16, v77
	s_waitcnt lgkmcnt(2)
	v_lshrrev_b32_e32 v97, 16, v81
	;; [unrolled: 2-line block ×4, first 2 shown]
	v_lshrrev_b32_e32 v94, 16, v78
	v_cndmask_b32_e64 v109, v77, v93, s3
	v_cndmask_b32_e64 v110, v81, v97, s3
	;; [unrolled: 1-line block ×8, first 2 shown]
	v_lshrrev_b32_e32 v98, 16, v82
	v_cndmask_b32_e64 v93, v85, v101, s3
	v_cndmask_b32_e64 v97, v89, v105, s3
	v_cndmask_b32_e64 v115, v85, v101, s8
	v_cndmask_b32_e64 v116, v89, v105, s8
	v_cndmask_b32_e64 v117, v85, v101, s9
	v_cndmask_b32_e64 v118, v89, v105, s9
	v_cndmask_b32_e64 v85, v85, v101, s10
	v_cndmask_b32_e64 v89, v89, v105, s10
	v_cndmask_b32_e64 v101, v109, v78, s4
	v_cndmask_b32_e64 v105, v110, v82, s4
	v_cndmask_b32_e64 v109, v111, v78, s11
	v_cndmask_b32_e64 v110, v112, v82, s11
	v_cndmask_b32_e64 v111, v113, v78, s13
	v_cndmask_b32_e64 v77, v77, v78, s15
	v_cndmask_b32_e64 v78, v81, v82, s15
	v_lshrrev_b32_e32 v102, 16, v86
	v_lshrrev_b32_e32 v106, 16, v90
	v_cndmask_b32_e64 v112, v114, v82, s13
	v_cndmask_b32_e64 v81, v93, v86, s4
	;; [unrolled: 1-line block ×7, first 2 shown]
	v_cndmask_b32_e32 v89, v101, v94, vcc_lo
	v_cndmask_b32_e32 v101, v105, v98, vcc_lo
	v_cndmask_b32_e64 v105, v109, v94, s12
	v_cndmask_b32_e64 v109, v110, v98, s12
	;; [unrolled: 1-line block ×4, first 2 shown]
	v_lshrrev_b32_e32 v95, 16, v79
	v_lshrrev_b32_e32 v99, 16, v83
	v_cndmask_b32_e64 v110, v111, v94, s16
	v_cndmask_b32_e64 v111, v112, v98, s16
	v_cndmask_b32_e32 v81, v81, v102, vcc_lo
	v_cndmask_b32_e32 v82, v82, v106, vcc_lo
	v_cndmask_b32_e64 v93, v93, v102, s12
	v_cndmask_b32_e64 v89, v89, v79, s2
	;; [unrolled: 1-line block ×7, first 2 shown]
	v_lshrrev_b32_e32 v103, 16, v87
	v_cndmask_b32_e64 v105, v110, v79, s20
	v_cndmask_b32_e64 v109, v111, v83, s20
	;; [unrolled: 1-line block ×11, first 2 shown]
	v_lshrrev_b32_e32 v96, 16, v80
	v_lshrrev_b32_e32 v100, 16, v84
	v_cndmask_b32_e64 v98, v105, v95, s22
	v_cndmask_b32_e64 v101, v109, v99, s22
	;; [unrolled: 1-line block ×7, first 2 shown]
	v_lshrrev_b32_e32 v104, 16, v88
	v_cndmask_b32_e64 v79, v79, v103, s5
	v_cndmask_b32_e64 v83, v83, v80, s6
	;; [unrolled: 1-line block ×16, first 2 shown]
	v_perm_b32 v80, v78, v77, 0x5040100
	v_perm_b32 v78, v94, v84, 0x5040100
	v_cndmask_b32_e64 v77, v118, v90, s13
	v_cndmask_b32_e64 v84, v116, v90, s11
	;; [unrolled: 1-line block ×3, first 2 shown]
	v_perm_b32 v79, v93, v89, 0x5040100
	v_cndmask_b32_e64 v89, v97, v102, s16
	v_cndmask_b32_e64 v85, v85, v102, s17
	;; [unrolled: 1-line block ×5, first 2 shown]
	v_lshrrev_b32_e32 v107, 16, v91
	v_cndmask_b32_e64 v89, v89, v87, s20
	v_cndmask_b32_e64 v85, v85, v87, s21
	;; [unrolled: 1-line block ×11, first 2 shown]
	v_lshrrev_b32_e32 v108, 16, v92
	v_cndmask_b32_e64 v81, v81, v92, s6
	v_cndmask_b32_e64 v87, v87, v88, s25
	;; [unrolled: 1-line block ×12, first 2 shown]
	v_perm_b32 v77, v83, v82, 0x5040100
	v_perm_b32 v84, v86, v85, 0x5040100
	;; [unrolled: 1-line block ×5, first 2 shown]
	s_lshl_b32 s7, s33, 3
	s_mov_b32 s2, exec_lo
	ds_store_b128 v73, v[77:80]
	ds_store_b128 v73, v[81:84] offset:1024
	v_cmpx_gt_u32_e32 8, v0
	s_cbranch_execz .LBB1301_14
; %bb.13:
	v_or_b32_e32 v77, s31, v0
	s_load_b128 s[8:11], s[0:1], 0x58
	s_delay_alu instid0(VALU_DEP_1) | instskip(NEXT) | instid1(VALU_DEP_1)
	v_mad_u64_u32 v[78:79], null, s7, s30, v[77:78]
	v_mad_u64_u32 v[79:80], null, v78, s34, s[14:15]
	s_delay_alu instid0(VALU_DEP_1) | instskip(NEXT) | instid1(VALU_DEP_1)
	v_ashrrev_i32_e32 v80, 31, v79
	v_lshlrev_b64 v[77:78], 2, v[79:80]
	s_waitcnt lgkmcnt(0)
	s_delay_alu instid0(VALU_DEP_1) | instskip(NEXT) | instid1(VALU_DEP_2)
	v_add_co_u32 v79, vcc_lo, s10, v77
	v_add_co_ci_u32_e32 v80, vcc_lo, s11, v78, vcc_lo
	v_add_co_u32 v77, vcc_lo, s8, v77
	v_add_co_ci_u32_e32 v78, vcc_lo, s9, v78, vcc_lo
	global_store_b32 v[79:80], v75, off
	global_store_b32 v[77:78], v76, off
.LBB1301_14:
	s_or_b32 exec_lo, exec_lo, s2
	s_waitcnt lgkmcnt(0)
	s_waitcnt_vscnt null, 0x0
	s_barrier
	buffer_gl0_inv
	ds_load_b128 v[83:86], v72
	ds_load_b128 v[87:90], v72 offset:16
	ds_load_b128 v[95:98], v72 offset:2064
	;; [unrolled: 1-line block ×5, first 2 shown]
	v_cmp_eq_u32_e32 vcc_lo, 1, v69
	v_mov_b32_e32 v75, 0
	ds_load_b128 v[111:114], v72 offset:6160
	ds_load_b128 v[107:110], v72 offset:6144
	;; [unrolled: 1-line block ×4, first 2 shown]
	v_cmp_eq_u32_e64 s3, 1, v68
	v_cmp_eq_u32_e64 s2, 1, v71
	;; [unrolled: 1-line block ×3, first 2 shown]
	v_mov_b32_e32 v76, v75
	v_mov_b32_e32 v77, v75
	;; [unrolled: 1-line block ×7, first 2 shown]
	v_cmp_eq_u32_e64 s5, 3, v71
	v_cmp_eq_u32_e64 s6, 7, v71
	s_waitcnt lgkmcnt(8)
	s_delay_alu instid0(VALU_DEP_3)
	v_wmma_f32_16x16x16_f16 v[75:82], v[49:56], v[83:90], v[75:82]
	ds_load_b128 v[53:56], v72 offset:10256
	ds_load_b128 v[49:52], v72 offset:10240
	s_waitcnt lgkmcnt(8)
	v_wmma_f32_16x16x16_f16 v[75:82], v[41:48], v[91:98], v[75:82]
	ds_load_b128 v[45:48], v72 offset:12304
	ds_load_b128 v[41:44], v72 offset:12288
	s_waitcnt lgkmcnt(8)
	;; [unrolled: 4-line block ×3, first 2 shown]
	s_barrier
	buffer_gl0_inv
	v_wmma_f32_16x16x16_f16 v[75:82], v[1:8], v[107:114], v[75:82]
	s_delay_alu instid0(VALU_DEP_1) | instskip(NEXT) | instid1(VALU_DEP_1)
	v_wmma_f32_16x16x16_f16 v[75:82], v[9:16], v[115:122], v[75:82]
	v_wmma_f32_16x16x16_f16 v[75:82], v[17:24], v[49:56], v[75:82]
	s_delay_alu instid0(VALU_DEP_1) | instskip(NEXT) | instid1(VALU_DEP_1)
	v_wmma_f32_16x16x16_f16 v[75:82], v[25:32], v[41:48], v[75:82]
	v_wmma_f32_16x16x16_f16 v[75:82], v[57:64], v[33:40], v[75:82]
	s_delay_alu instid0(VALU_DEP_1) | instskip(NEXT) | instid1(VALU_DEP_2)
	v_cvt_f16_f32_e32 v1, v75
	v_cvt_f16_f32_e32 v2, v76
	s_delay_alu instid0(VALU_DEP_3) | instskip(NEXT) | instid1(VALU_DEP_4)
	v_cvt_f16_f32_e32 v3, v77
	v_cvt_f16_f32_e32 v4, v78
	;; [unrolled: 1-line block ×6, first 2 shown]
	v_pack_b32_f16 v1, v1, v2
	v_pack_b32_f16 v2, v3, v4
	;; [unrolled: 1-line block ×3, first 2 shown]
	s_delay_alu instid0(VALU_DEP_4)
	v_pack_b32_f16 v4, v7, v8
	ds_store_b128 v73, v[1:4]
	s_waitcnt lgkmcnt(0)
	s_barrier
	buffer_gl0_inv
	ds_load_b128 v[1:4], v74
	ds_load_b128 v[5:8], v74 offset:16
	s_waitcnt lgkmcnt(1)
	v_lshrrev_b32_e32 v9, 16, v1
	s_waitcnt lgkmcnt(0)
	v_lshrrev_b32_e32 v13, 16, v5
	v_lshrrev_b32_e32 v10, 16, v2
	;; [unrolled: 1-line block ×4, first 2 shown]
	v_cndmask_b32_e32 v17, v1, v9, vcc_lo
	v_cndmask_b32_e32 v18, v5, v13, vcc_lo
	v_cndmask_b32_e64 v21, v1, v9, s3
	v_cmp_eq_u32_e32 vcc_lo, 1, v70
	v_cndmask_b32_e64 v22, v5, v13, s3
	v_cmp_eq_u32_e64 s3, 2, v69
	v_cndmask_b32_e64 v19, v1, v9, s2
	v_cndmask_b32_e64 v20, v5, v13, s2
	v_cndmask_b32_e32 v1, v1, v9, vcc_lo
	v_cmp_eq_u32_e64 s2, 2, v70
	v_cndmask_b32_e32 v5, v5, v13, vcc_lo
	v_cndmask_b32_e64 v9, v17, v2, s3
	v_cmp_eq_u32_e32 vcc_lo, 3, v69
	v_cndmask_b32_e64 v13, v18, v6, s3
	v_cmp_eq_u32_e64 s3, 2, v68
	v_cndmask_b32_e64 v17, v19, v2, s4
	v_cndmask_b32_e64 v18, v20, v6, s4
	v_cmp_eq_u32_e64 s4, 3, v68
	v_cndmask_b32_e64 v1, v1, v2, s2
	v_cndmask_b32_e64 v19, v21, v2, s3
	;; [unrolled: 1-line block ×4, first 2 shown]
	v_cndmask_b32_e32 v5, v9, v10, vcc_lo
	v_cndmask_b32_e32 v6, v13, v14, vcc_lo
	v_cmp_eq_u32_e32 vcc_lo, 3, v70
	v_cndmask_b32_e64 v9, v17, v10, s5
	v_cndmask_b32_e64 v13, v18, v14, s5
	;; [unrolled: 1-line block ×3, first 2 shown]
	v_cmp_eq_u32_e64 s3, 4, v69
	v_cndmask_b32_e32 v1, v1, v10, vcc_lo
	v_cndmask_b32_e32 v2, v2, v14, vcc_lo
	v_cmp_eq_u32_e32 vcc_lo, 4, v71
	v_lshrrev_b32_e32 v15, 16, v7
	v_lshrrev_b32_e32 v16, 16, v8
	v_cndmask_b32_e64 v17, v19, v10, s4
	v_cmp_eq_u32_e64 s2, 4, v70
	v_cndmask_b32_e64 v5, v5, v3, s3
	v_cndmask_b32_e64 v6, v6, v7, s3
	v_cndmask_b32_e32 v9, v9, v3, vcc_lo
	v_cmp_eq_u32_e64 s3, 5, v71
	v_cndmask_b32_e32 v10, v13, v7, vcc_lo
	v_cmp_eq_u32_e32 vcc_lo, 4, v68
	v_cmp_eq_u32_e64 s4, 5, v69
	v_cndmask_b32_e64 v2, v2, v7, s2
	v_cndmask_b32_e64 v9, v9, v11, s3
	;; [unrolled: 1-line block ×3, first 2 shown]
	v_cndmask_b32_e32 v13, v17, v3, vcc_lo
	v_cmp_eq_u32_e64 s3, 5, v68
	v_cndmask_b32_e32 v14, v18, v7, vcc_lo
	v_cndmask_b32_e64 v1, v1, v3, s2
	v_cmp_eq_u32_e32 vcc_lo, 5, v70
	v_lshrrev_b32_e32 v12, 16, v4
	v_cndmask_b32_e64 v13, v13, v11, s3
	v_cndmask_b32_e64 v3, v14, v15, s3
	v_cmp_eq_u32_e64 s3, 6, v70
	v_cndmask_b32_e32 v1, v1, v11, vcc_lo
	v_cndmask_b32_e64 v5, v5, v11, s4
	v_cmp_eq_u32_e64 s5, 6, v69
	v_cndmask_b32_e64 v6, v6, v15, s4
	v_cmp_eq_u32_e64 s4, 6, v71
	v_cmp_eq_u32_e64 s2, 6, v68
	v_cndmask_b32_e64 v1, v1, v4, s3
	v_cndmask_b32_e32 v2, v2, v15, vcc_lo
	v_cmp_eq_u32_e32 vcc_lo, 7, v70
	v_cndmask_b32_e64 v5, v5, v4, s5
	v_cndmask_b32_e64 v9, v9, v4, s4
	;; [unrolled: 1-line block ×3, first 2 shown]
	v_cmp_eq_u32_e64 s5, 7, v69
	v_cndmask_b32_e32 v1, v1, v12, vcc_lo
	v_cndmask_b32_e64 v7, v13, v4, s2
	v_cndmask_b32_e64 v3, v3, v8, s2
	;; [unrolled: 1-line block ×3, first 2 shown]
	v_cmp_eq_u32_e64 s2, 7, v68
	v_cndmask_b32_e64 v4, v10, v8, s4
	v_cndmask_b32_e64 v5, v5, v12, s5
	;; [unrolled: 1-line block ×3, first 2 shown]
	v_cndmask_b32_e32 v2, v2, v16, vcc_lo
	v_cndmask_b32_e64 v7, v7, v12, s2
	v_cndmask_b32_e64 v3, v3, v16, s2
	;; [unrolled: 1-line block ×4, first 2 shown]
	v_perm_b32 v4, v2, v1, 0x5040100
	s_mov_b32 s2, exec_lo
	v_perm_b32 v3, v3, v7, 0x5040100
	v_perm_b32 v2, v8, v9, 0x5040100
	;; [unrolled: 1-line block ×3, first 2 shown]
	ds_store_b128 v73, v[1:4]
	s_waitcnt lgkmcnt(0)
	s_barrier
	buffer_gl0_inv
	v_cmpx_gt_u32_e32 32, v0
	s_cbranch_execz .LBB1301_2
; %bb.15:
	s_load_b64 s[0:1], s[0:1], 0x68
	s_lshl_b32 s4, s34, 7
	v_or_b32_e32 v2, s31, v66
	s_mul_i32 s2, s4, s30
	v_lshlrev_b32_e32 v1, 10, v0
	s_mul_i32 s2, s2, s7
	v_lshlrev_b32_e32 v3, 4, v67
	v_mul_lo_u32 v0, v2, s4
	s_ashr_i32 s3, s2, 31
	v_lshlrev_b32_e32 v4, 6, v66
	v_and_b32_e32 v1, 0x3800, v1
	v_or_b32_e32 v5, 2, v2
	s_lshl_b64 s[2:3], s[2:3], 1
	v_or_b32_e32 v6, 4, v2
	v_or_b32_e32 v7, 6, v2
	v_or3_b32 v12, v1, v3, v4
	v_ashrrev_i32_e32 v1, 31, v0
	v_mul_lo_u32 v2, v5, s4
	v_mul_lo_u32 v16, v6, s4
	;; [unrolled: 1-line block ×3, first 2 shown]
	s_waitcnt lgkmcnt(0)
	s_add_u32 s2, s0, s2
	s_addc_u32 s3, s1, s3
	s_lshl_b32 s0, s14, 7
	v_lshlrev_b64 v[0:1], 1, v[0:1]
	s_ashr_i32 s1, s0, 31
	v_ashrrev_i32_e32 v3, 31, v2
	s_lshl_b64 s[0:1], s[0:1], 1
	v_ashrrev_i32_e32 v17, 31, v16
	s_add_u32 s0, s2, s0
	s_addc_u32 s1, s3, s1
	v_add_co_u32 v24, s0, s0, v65
	s_delay_alu instid0(VALU_DEP_1) | instskip(SKIP_1) | instid1(VALU_DEP_3)
	v_add_co_ci_u32_e64 v25, null, s1, 0, s0
	v_lshlrev_b64 v[22:23], 1, v[2:3]
	v_add_co_u32 v18, vcc_lo, v24, v0
	s_delay_alu instid0(VALU_DEP_3)
	v_add_co_ci_u32_e32 v19, vcc_lo, v25, v1, vcc_lo
	ds_load_b128 v[0:3], v12
	ds_load_b128 v[4:7], v12 offset:128
	ds_load_b128 v[8:11], v12 offset:256
	;; [unrolled: 1-line block ×3, first 2 shown]
	v_ashrrev_i32_e32 v21, 31, v20
	v_lshlrev_b64 v[16:17], 1, v[16:17]
	v_add_co_u32 v22, vcc_lo, v24, v22
	v_add_co_ci_u32_e32 v23, vcc_lo, v25, v23, vcc_lo
	s_delay_alu instid0(VALU_DEP_4) | instskip(NEXT) | instid1(VALU_DEP_4)
	v_lshlrev_b64 v[20:21], 1, v[20:21]
	v_add_co_u32 v16, vcc_lo, v24, v16
	v_add_co_ci_u32_e32 v17, vcc_lo, v25, v17, vcc_lo
	s_delay_alu instid0(VALU_DEP_3) | instskip(NEXT) | instid1(VALU_DEP_4)
	v_add_co_u32 v20, vcc_lo, v24, v20
	v_add_co_ci_u32_e32 v21, vcc_lo, v25, v21, vcc_lo
	s_waitcnt lgkmcnt(3)
	global_store_b128 v[18:19], v[0:3], off
	s_waitcnt lgkmcnt(2)
	global_store_b128 v[22:23], v[4:7], off
	;; [unrolled: 2-line block ×4, first 2 shown]
	s_nop 0
	s_sendmsg sendmsg(MSG_DEALLOC_VGPRS)
	s_endpgm
	.section	.rodata,"a",@progbits
	.p2align	6, 0x0
	.amdhsa_kernel _Z39paged_attention_ll4mi_QKV_mfma16_kernelIDF16_hLN4vllm18Fp8KVCacheDataTypeE1EhLi32ELi128ELi256ELb0ELi8EL8MFMAType0EEvPKT_PKT0_S8_ifPKiSA_SA_iPKfiiiPfSD_PS3_PT2_iSC_SC_
		.amdhsa_group_segment_fixed_size 17472
		.amdhsa_private_segment_fixed_size 0
		.amdhsa_kernarg_size 400
		.amdhsa_user_sgpr_count 13
		.amdhsa_user_sgpr_dispatch_ptr 0
		.amdhsa_user_sgpr_queue_ptr 0
		.amdhsa_user_sgpr_kernarg_segment_ptr 1
		.amdhsa_user_sgpr_dispatch_id 0
		.amdhsa_user_sgpr_private_segment_size 0
		.amdhsa_wavefront_size32 1
		.amdhsa_uses_dynamic_stack 0
		.amdhsa_enable_private_segment 0
		.amdhsa_system_sgpr_workgroup_id_x 1
		.amdhsa_system_sgpr_workgroup_id_y 1
		.amdhsa_system_sgpr_workgroup_id_z 1
		.amdhsa_system_sgpr_workgroup_info 0
		.amdhsa_system_vgpr_workitem_id 0
		.amdhsa_next_free_vgpr 140
		.amdhsa_next_free_sgpr 36
		.amdhsa_reserve_vcc 1
		.amdhsa_float_round_mode_32 0
		.amdhsa_float_round_mode_16_64 0
		.amdhsa_float_denorm_mode_32 3
		.amdhsa_float_denorm_mode_16_64 3
		.amdhsa_dx10_clamp 1
		.amdhsa_ieee_mode 1
		.amdhsa_fp16_overflow 0
		.amdhsa_workgroup_processor_mode 1
		.amdhsa_memory_ordered 1
		.amdhsa_forward_progress 0
		.amdhsa_shared_vgpr_count 0
		.amdhsa_exception_fp_ieee_invalid_op 0
		.amdhsa_exception_fp_denorm_src 0
		.amdhsa_exception_fp_ieee_div_zero 0
		.amdhsa_exception_fp_ieee_overflow 0
		.amdhsa_exception_fp_ieee_underflow 0
		.amdhsa_exception_fp_ieee_inexact 0
		.amdhsa_exception_int_div_zero 0
	.end_amdhsa_kernel
	.section	.text._Z39paged_attention_ll4mi_QKV_mfma16_kernelIDF16_hLN4vllm18Fp8KVCacheDataTypeE1EhLi32ELi128ELi256ELb0ELi8EL8MFMAType0EEvPKT_PKT0_S8_ifPKiSA_SA_iPKfiiiPfSD_PS3_PT2_iSC_SC_,"axG",@progbits,_Z39paged_attention_ll4mi_QKV_mfma16_kernelIDF16_hLN4vllm18Fp8KVCacheDataTypeE1EhLi32ELi128ELi256ELb0ELi8EL8MFMAType0EEvPKT_PKT0_S8_ifPKiSA_SA_iPKfiiiPfSD_PS3_PT2_iSC_SC_,comdat
.Lfunc_end1301:
	.size	_Z39paged_attention_ll4mi_QKV_mfma16_kernelIDF16_hLN4vllm18Fp8KVCacheDataTypeE1EhLi32ELi128ELi256ELb0ELi8EL8MFMAType0EEvPKT_PKT0_S8_ifPKiSA_SA_iPKfiiiPfSD_PS3_PT2_iSC_SC_, .Lfunc_end1301-_Z39paged_attention_ll4mi_QKV_mfma16_kernelIDF16_hLN4vllm18Fp8KVCacheDataTypeE1EhLi32ELi128ELi256ELb0ELi8EL8MFMAType0EEvPKT_PKT0_S8_ifPKiSA_SA_iPKfiiiPfSD_PS3_PT2_iSC_SC_
                                        ; -- End function
	.section	.AMDGPU.csdata,"",@progbits
; Kernel info:
; codeLenInByte = 6624
; NumSgprs: 38
; NumVgprs: 140
; ScratchSize: 0
; MemoryBound: 0
; FloatMode: 240
; IeeeMode: 1
; LDSByteSize: 17472 bytes/workgroup (compile time only)
; SGPRBlocks: 4
; VGPRBlocks: 17
; NumSGPRsForWavesPerEU: 38
; NumVGPRsForWavesPerEU: 140
; Occupancy: 10
; WaveLimiterHint : 1
; COMPUTE_PGM_RSRC2:SCRATCH_EN: 0
; COMPUTE_PGM_RSRC2:USER_SGPR: 13
; COMPUTE_PGM_RSRC2:TRAP_HANDLER: 0
; COMPUTE_PGM_RSRC2:TGID_X_EN: 1
; COMPUTE_PGM_RSRC2:TGID_Y_EN: 1
; COMPUTE_PGM_RSRC2:TGID_Z_EN: 1
; COMPUTE_PGM_RSRC2:TIDIG_COMP_CNT: 0
	.section	.text._Z39paged_attention_ll4mi_QKV_mfma16_kernelIDF16_hLN4vllm18Fp8KVCacheDataTypeE1EhLi32ELi128ELi256ELb0ELi9EL8MFMAType0EEvPKT_PKT0_S8_ifPKiSA_SA_iPKfiiiPfSD_PS3_PT2_iSC_SC_,"axG",@progbits,_Z39paged_attention_ll4mi_QKV_mfma16_kernelIDF16_hLN4vllm18Fp8KVCacheDataTypeE1EhLi32ELi128ELi256ELb0ELi9EL8MFMAType0EEvPKT_PKT0_S8_ifPKiSA_SA_iPKfiiiPfSD_PS3_PT2_iSC_SC_,comdat
	.protected	_Z39paged_attention_ll4mi_QKV_mfma16_kernelIDF16_hLN4vllm18Fp8KVCacheDataTypeE1EhLi32ELi128ELi256ELb0ELi9EL8MFMAType0EEvPKT_PKT0_S8_ifPKiSA_SA_iPKfiiiPfSD_PS3_PT2_iSC_SC_ ; -- Begin function _Z39paged_attention_ll4mi_QKV_mfma16_kernelIDF16_hLN4vllm18Fp8KVCacheDataTypeE1EhLi32ELi128ELi256ELb0ELi9EL8MFMAType0EEvPKT_PKT0_S8_ifPKiSA_SA_iPKfiiiPfSD_PS3_PT2_iSC_SC_
	.globl	_Z39paged_attention_ll4mi_QKV_mfma16_kernelIDF16_hLN4vllm18Fp8KVCacheDataTypeE1EhLi32ELi128ELi256ELb0ELi9EL8MFMAType0EEvPKT_PKT0_S8_ifPKiSA_SA_iPKfiiiPfSD_PS3_PT2_iSC_SC_
	.p2align	8
	.type	_Z39paged_attention_ll4mi_QKV_mfma16_kernelIDF16_hLN4vllm18Fp8KVCacheDataTypeE1EhLi32ELi128ELi256ELb0ELi9EL8MFMAType0EEvPKT_PKT0_S8_ifPKiSA_SA_iPKfiiiPfSD_PS3_PT2_iSC_SC_,@function
_Z39paged_attention_ll4mi_QKV_mfma16_kernelIDF16_hLN4vllm18Fp8KVCacheDataTypeE1EhLi32ELi128ELi256ELb0ELi9EL8MFMAType0EEvPKT_PKT0_S8_ifPKiSA_SA_iPKfiiiPfSD_PS3_PT2_iSC_SC_: ; @_Z39paged_attention_ll4mi_QKV_mfma16_kernelIDF16_hLN4vllm18Fp8KVCacheDataTypeE1EhLi32ELi128ELi256ELb0ELi9EL8MFMAType0EEvPKT_PKT0_S8_ifPKiSA_SA_iPKfiiiPfSD_PS3_PT2_iSC_SC_
; %bb.0:
	s_load_b64 s[4:5], s[0:1], 0x30
	s_mov_b32 s34, s13
	s_waitcnt lgkmcnt(0)
	s_cmp_lg_u64 s[4:5], 0
	s_cselect_b32 s8, -1, 0
	s_ashr_i32 s35, s13, 31
	s_cmp_eq_u64 s[4:5], 0
	s_cbranch_scc1 .LBB1302_3
; %bb.1:
	s_lshl_b64 s[2:3], s[34:35], 2
	s_delay_alu instid0(SALU_CYCLE_1) | instskip(SKIP_4) | instid1(SALU_CYCLE_1)
	s_add_u32 s2, s4, s2
	s_addc_u32 s3, s5, s3
	s_load_b64 s[2:3], s[2:3], 0x0
	s_waitcnt lgkmcnt(0)
	s_sub_i32 s2, s3, s2
	s_cmp_eq_u32 s2, 1
	s_cselect_b32 s2, -1, 0
	s_delay_alu instid0(SALU_CYCLE_1)
	s_and_not1_b32 vcc_lo, exec_lo, s2
	s_cbranch_vccz .LBB1302_4
.LBB1302_2:
	s_nop 0
	s_sendmsg sendmsg(MSG_DEALLOC_VGPRS)
	s_endpgm
.LBB1302_3:
.LBB1302_4:
	s_load_b64 s[2:3], s[0:1], 0x28
	s_lshl_b64 s[6:7], s[34:35], 2
	s_waitcnt lgkmcnt(0)
	s_add_u32 s2, s2, s6
	s_addc_u32 s3, s3, s7
	s_lshl_b32 s12, s14, 8
	s_load_b32 s24, s[2:3], 0x0
	s_waitcnt lgkmcnt(0)
	s_cmp_ge_i32 s12, s24
	s_cbranch_scc1 .LBB1302_2
; %bb.5:
	s_clause 0x1
	s_load_b128 s[20:23], s[0:1], 0x8
	s_load_b64 s[2:3], s[0:1], 0x20
	s_and_not1_b32 vcc_lo, exec_lo, s8
	s_cbranch_vccnz .LBB1302_7
; %bb.6:
	s_add_u32 s4, s4, s6
	s_addc_u32 s5, s5, s7
	s_load_b32 s5, s[4:5], 0x0
	s_branch .LBB1302_8
.LBB1302_7:
	s_mov_b32 s5, s34
.LBB1302_8:
	s_load_b128 s[16:19], s[0:1], 0x48
	v_and_b32_e32 v68, 15, v0
	v_lshrrev_b32_e32 v69, 5, v0
	v_bfe_u32 v66, v0, 4, 1
	v_and_b32_e32 v70, 31, v0
	v_and_b32_e32 v67, 1, v0
	v_lshlrev_b32_e32 v2, 3, v68
	s_mul_i32 s31, s15, 9
	v_lshl_or_b32 v1, v69, 1, v66
	s_mov_b32 s4, exec_lo
	s_delay_alu instid0(VALU_DEP_2) | instskip(NEXT) | instid1(VALU_DEP_2)
	v_lshlrev_b32_e32 v65, 1, v2
	v_cmpx_gt_u32_e32 9, v1
	s_cbranch_execz .LBB1302_10
; %bb.9:
	s_load_b64 s[6:7], s[0:1], 0x0
	v_add_lshl_u32 v2, v1, s31, 7
	s_waitcnt lgkmcnt(0)
	s_mul_hi_i32 s9, s5, s16
	s_mul_i32 s8, s5, s16
	v_lshlrev_b32_e32 v6, 10, v68
	s_lshl_b64 s[8:9], s[8:9], 1
	v_ashrrev_i32_e32 v3, 31, v2
	v_lshlrev_b32_e32 v1, 6, v1
	v_lshlrev_b32_e32 v7, 10, v67
	v_and_b32_e32 v6, 0x3800, v6
	s_delay_alu instid0(VALU_DEP_4) | instskip(NEXT) | instid1(VALU_DEP_2)
	v_lshlrev_b64 v[2:3], 1, v[2:3]
	v_or3_b32 v1, v6, v7, v1
	s_add_u32 s5, s6, s8
	s_addc_u32 s6, s7, s9
	s_delay_alu instid0(VALU_DEP_2) | instskip(NEXT) | instid1(VALU_DEP_3)
	v_add_co_u32 v2, vcc_lo, s5, v2
	v_add_co_ci_u32_e32 v3, vcc_lo, s6, v3, vcc_lo
	s_delay_alu instid0(VALU_DEP_2) | instskip(NEXT) | instid1(VALU_DEP_2)
	v_add_co_u32 v2, vcc_lo, v2, v65
	v_add_co_ci_u32_e32 v3, vcc_lo, 0, v3, vcc_lo
	global_load_b128 v[2:5], v[2:3], off
	s_waitcnt vmcnt(0)
	ds_store_b128 v1, v[2:5]
.LBB1302_10:
	s_or_b32 exec_lo, exec_lo, s4
	v_and_b32_e32 v1, 0xef, v0
	s_waitcnt lgkmcnt(0)
	s_add_i32 s5, s24, 31
	s_clause 0x1
	s_load_b32 s4, s[0:1], 0x38
	s_load_b32 s33, s[0:1], 0x98
	s_ashr_i32 s6, s5, 31
	v_add_nc_u32_e32 v1, s12, v1
	s_lshr_b32 s6, s6, 27
	s_load_b32 s19, s[0:1], 0x1c
	s_add_i32 s5, s5, s6
	s_waitcnt lgkmcnt(0)
	v_ashrrev_i32_e32 v2, 31, v1
	v_or_b32_e32 v3, 16, v1
	s_ashr_i32 s13, s5, 5
	v_cmp_gt_i32_e32 vcc_lo, s24, v1
	s_add_i32 s13, s13, -1
	v_lshrrev_b32_e32 v2, 27, v2
	s_barrier
	buffer_gl0_inv
	s_mul_i32 s15, s15, s18
	v_add_nc_u32_e32 v4, v1, v2
	s_mul_i32 s4, s34, s4
	s_delay_alu instid0(SALU_CYCLE_1) | instskip(NEXT) | instid1(VALU_DEP_1)
	s_ashr_i32 s5, s4, 31
	v_ashrrev_i32_e32 v4, 5, v4
	v_add_nc_u32_e32 v2, v3, v2
	s_lshl_b64 s[4:5], s[4:5], 2
	s_delay_alu instid0(SALU_CYCLE_1) | instskip(NEXT) | instid1(VALU_DEP_2)
	s_add_u32 s16, s2, s4
	v_cndmask_b32_e32 v1, s13, v4, vcc_lo
	s_delay_alu instid0(VALU_DEP_2)
	v_ashrrev_i32_e32 v2, 5, v2
	v_cmp_gt_i32_e32 vcc_lo, s24, v3
	s_addc_u32 s25, s3, s5
	s_ashr_i32 s18, s15, 31
	s_add_u32 s2, s20, s15
	s_addc_u32 s3, s21, s18
	v_cndmask_b32_e32 v3, s13, v2, vcc_lo
	v_ashrrev_i32_e32 v2, 31, v1
	s_lshl_b32 s4, s14, 3
	s_delay_alu instid0(SALU_CYCLE_1) | instskip(NEXT) | instid1(VALU_DEP_2)
	s_ashr_i32 s5, s4, 31
	v_ashrrev_i32_e32 v4, 31, v3
	s_delay_alu instid0(VALU_DEP_2) | instskip(SKIP_1) | instid1(SALU_CYCLE_1)
	v_lshlrev_b64 v[1:2], 2, v[1:2]
	s_lshl_b64 s[4:5], s[4:5], 2
	s_add_u32 s4, s16, s4
	s_delay_alu instid0(VALU_DEP_2) | instskip(SKIP_1) | instid1(VALU_DEP_2)
	v_lshlrev_b64 v[3:4], 2, v[3:4]
	s_addc_u32 s5, s25, s5
	v_add_co_u32 v1, vcc_lo, s16, v1
	v_add_co_ci_u32_e32 v2, vcc_lo, s25, v2, vcc_lo
	s_delay_alu instid0(VALU_DEP_3) | instskip(NEXT) | instid1(VALU_DEP_4)
	v_add_co_u32 v3, vcc_lo, s16, v3
	v_add_co_ci_u32_e32 v4, vcc_lo, s25, v4, vcc_lo
	s_clause 0x1
	global_load_b32 v5, v[1:2], off
	global_load_b32 v6, v[3:4], off
	s_or_b32 s6, s12, 32
	s_delay_alu instid0(SALU_CYCLE_1) | instskip(SKIP_2) | instid1(SALU_CYCLE_1)
	s_ashr_i32 s7, s6, 5
	s_cmp_lt_i32 s6, s24
	s_cselect_b32 s6, s7, s13
	s_ashr_i32 s7, s6, 31
	s_delay_alu instid0(SALU_CYCLE_1) | instskip(NEXT) | instid1(SALU_CYCLE_1)
	s_lshl_b64 s[6:7], s[6:7], 2
	s_add_u32 s6, s16, s6
	s_addc_u32 s7, s25, s7
	s_or_b32 s8, s12, 64
	s_delay_alu instid0(SALU_CYCLE_1) | instskip(SKIP_2) | instid1(SALU_CYCLE_1)
	s_ashr_i32 s9, s8, 5
	s_cmp_lt_i32 s8, s24
	s_cselect_b32 s8, s9, s13
	s_ashr_i32 s9, s8, 31
	s_delay_alu instid0(SALU_CYCLE_1) | instskip(NEXT) | instid1(SALU_CYCLE_1)
	s_lshl_b64 s[8:9], s[8:9], 2
	s_add_u32 s8, s16, s8
	s_addc_u32 s9, s25, s9
	;; [unrolled: 10-line block ×5, first 2 shown]
	s_clause 0x5
	s_load_b32 s28, s[4:5], 0x0
	s_load_b32 s29, s[6:7], 0x0
	;; [unrolled: 1-line block ×6, first 2 shown]
	s_mov_b32 s4, 0
	s_delay_alu instid0(SALU_CYCLE_1)
	s_mov_b32 s5, s4
	s_mov_b32 s6, s4
	;; [unrolled: 1-line block ×7, first 2 shown]
	s_delay_alu instid0(SALU_CYCLE_1)
	v_dual_mov_b32 v118, s11 :: v_dual_mov_b32 v117, s10
	v_dual_mov_b32 v116, s9 :: v_dual_mov_b32 v115, s8
	v_mov_b32_e32 v113, s6
	v_dual_mov_b32 v111, s4 :: v_dual_mov_b32 v114, s7
	v_mov_b32_e32 v112, s5
	s_waitcnt vmcnt(1)
	v_mad_i64_i32 v[1:2], null, v5, s17, s[2:3]
	v_lshlrev_b32_e32 v5, 4, v68
	s_waitcnt vmcnt(0)
	v_mad_i64_i32 v[3:4], null, v6, s17, s[2:3]
	s_or_b32 s2, s12, 0xc0
	s_delay_alu instid0(SALU_CYCLE_1) | instskip(NEXT) | instid1(VALU_DEP_3)
	s_ashr_i32 s3, s2, 5
	v_add_co_u32 v1, vcc_lo, v1, v5
	s_delay_alu instid0(VALU_DEP_4) | instskip(NEXT) | instid1(VALU_DEP_3)
	v_add_co_ci_u32_e32 v2, vcc_lo, 0, v2, vcc_lo
	v_add_co_u32 v3, vcc_lo, v3, v5
	s_delay_alu instid0(VALU_DEP_4)
	v_add_co_ci_u32_e32 v4, vcc_lo, 0, v4, vcc_lo
	s_clause 0xf
	global_load_b128 v[17:20], v[1:2], off
	global_load_b128 v[21:24], v[1:2], off offset:512
	global_load_b128 v[25:28], v[3:4], off offset:256
	global_load_b128 v[29:32], v[3:4], off offset:768
	global_load_b128 v[57:60], v[1:2], off offset:1024
	global_load_b128 v[61:64], v[1:2], off offset:1536
	global_load_b128 v[71:74], v[3:4], off offset:1280
	global_load_b128 v[75:78], v[3:4], off offset:1792
	global_load_b128 v[79:82], v[1:2], off offset:2048
	global_load_b128 v[83:86], v[1:2], off offset:2560
	global_load_b128 v[87:90], v[3:4], off offset:2304
	global_load_b128 v[91:94], v[3:4], off offset:2816
	global_load_b128 v[95:98], v[1:2], off offset:3072
	global_load_b128 v[99:102], v[1:2], off offset:3584
	global_load_b128 v[103:106], v[3:4], off offset:3328
	global_load_b128 v[107:110], v[3:4], off offset:3840
	s_cmp_lt_i32 s2, s24
	v_add_nc_u32_e32 v1, -9, v68
	s_cselect_b32 s2, s3, s13
	v_cmp_gt_u32_e32 vcc_lo, 9, v68
	s_ashr_i32 s3, s2, 31
	v_lshlrev_b32_e32 v2, 5, v68
	s_lshl_b64 s[2:3], s[2:3], 2
	s_delay_alu instid0(SALU_CYCLE_1)
	s_add_u32 s2, s16, s2
	s_addc_u32 s3, s25, s3
	s_or_b32 s20, s12, 0xe0
	v_cndmask_b32_e32 v1, v1, v68, vcc_lo
	s_ashr_i32 s21, s20, 5
	s_cmp_lt_i32 s20, s24
	s_cselect_b32 s20, s21, s13
	s_delay_alu instid0(VALU_DEP_1)
	v_lshlrev_b32_e32 v149, 6, v1
	s_ashr_i32 s21, s20, 31
	v_lshl_or_b32 v1, v69, 9, v2
	s_lshl_b64 s[4:5], s[20:21], 2
	ds_load_b128 v[119:122], v149
	ds_load_b128 v[123:126], v149 offset:1024
	s_add_u32 s4, s16, s4
	s_addc_u32 s5, s25, s5
	ds_load_b128 v[127:130], v149 offset:2048
	ds_load_b128 v[131:134], v149 offset:3072
	s_clause 0x1
	s_load_b32 s2, s[2:3], 0x0
	s_load_b32 s3, s[4:5], 0x0
	s_add_u32 s6, s22, s15
	s_addc_u32 s7, s23, s18
	v_add_co_u32 v135, s6, s6, v1
	s_delay_alu instid0(VALU_DEP_1) | instskip(SKIP_1) | instid1(VALU_DEP_1)
	v_add_co_ci_u32_e64 v136, null, s7, 0, s6
	s_waitcnt lgkmcnt(0)
	v_mad_i64_i32 v[1:2], null, s28, s17, v[135:136]
	v_mad_i64_i32 v[3:4], null, s29, s17, v[135:136]
	;; [unrolled: 1-line block ×6, first 2 shown]
	s_clause 0x9
	global_load_b128 v[49:52], v[1:2], off
	global_load_b128 v[53:56], v[1:2], off offset:16
	global_load_b128 v[41:44], v[3:4], off
	global_load_b128 v[45:48], v[3:4], off offset:16
	;; [unrolled: 2-line block ×5, first 2 shown]
	v_mad_i64_i32 v[145:146], null, s2, s17, v[135:136]
	v_mad_i64_i32 v[147:148], null, s3, s17, v[135:136]
	s_waitcnt vmcnt(24)
	v_wmma_f32_16x16x16_f16 v[135:142], v[17:24], v[119:126], v[111:118]
	s_waitcnt vmcnt(22)
	v_wmma_f32_16x16x16_f16 v[111:118], v[25:32], v[119:126], v[111:118]
	s_clause 0x3
	global_load_b128 v[17:20], v[143:144], off
	global_load_b128 v[21:24], v[143:144], off offset:16
	global_load_b128 v[25:28], v[145:146], off
	global_load_b128 v[29:32], v[145:146], off offset:16
	v_and_b32_e32 v119, 0xe0, v0
	s_waitcnt vmcnt(24)
	v_wmma_f32_16x16x16_f16 v[135:142], v[57:64], v[127:134], v[135:142]
	s_clause 0x1
	global_load_b128 v[57:60], v[147:148], off
	global_load_b128 v[61:64], v[147:148], off offset:16
	s_waitcnt vmcnt(24)
	v_wmma_f32_16x16x16_f16 v[111:118], v[71:78], v[127:134], v[111:118]
	ds_load_b128 v[71:74], v149 offset:4096
	ds_load_b128 v[75:78], v149 offset:5120
	v_add_nc_u32_e32 v128, s12, v119
	ds_load_b128 v[119:122], v149 offset:6144
	ds_load_b128 v[123:126], v149 offset:7168
	v_mbcnt_lo_u32_b32 v127, -1, 0
	s_waitcnt vmcnt(0) lgkmcnt(0)
	s_barrier
	v_or_b32_e32 v128, v128, v66
	buffer_gl0_inv
	v_xor_b32_e32 v129, 16, v127
	v_or_b32_e32 v130, 4, v128
	v_or_b32_e32 v131, 6, v128
	s_delay_alu instid0(VALU_DEP_3) | instskip(SKIP_4) | instid1(VALU_DEP_4)
	v_cmp_gt_i32_e32 vcc_lo, 32, v129
	v_or_b32_e32 v132, 8, v128
	v_or_b32_e32 v133, 10, v128
	v_cmp_gt_i32_e64 s3, s24, v130
	v_cmp_gt_i32_e64 s4, s24, v131
	;; [unrolled: 1-line block ×3, first 2 shown]
	v_wmma_f32_16x16x16_f16 v[135:142], v[79:86], v[71:78], v[135:142]
	v_wmma_f32_16x16x16_f16 v[111:118], v[87:94], v[71:78], v[111:118]
	v_or_b32_e32 v79, 12, v128
	v_or_b32_e32 v80, 14, v128
	v_cmp_gt_i32_e64 s6, s24, v133
	v_wmma_f32_16x16x16_f16 v[135:142], v[95:102], v[119:126], v[135:142]
	v_wmma_f32_16x16x16_f16 v[111:118], v[103:110], v[119:126], v[111:118]
	v_cndmask_b32_e32 v127, v127, v129, vcc_lo
	v_or_b32_e32 v129, 2, v128
	v_cmp_gt_i32_e32 vcc_lo, s24, v128
	s_delay_alu instid0(VALU_DEP_4) | instskip(SKIP_1) | instid1(VALU_DEP_4)
	v_dual_mul_f32 v87, s19, v136 :: v_dual_mul_f32 v94, s19, v113
	v_mul_f32_e32 v88, s19, v135
	v_cmp_gt_i32_e64 s2, s24, v129
	v_mul_f32_e32 v78, s19, v138
	v_mul_f32_e32 v86, s19, v137
	v_mul_f32_e32 v76, s19, v140
	v_cndmask_b32_e32 v88, 0xff7fffff, v88, vcc_lo
	v_cndmask_b32_e64 v87, 0xff7fffff, v87, s2
	v_dual_mul_f32 v77, s19, v139 :: v_dual_mul_f32 v90, s19, v117
	v_cndmask_b32_e64 v86, 0xff7fffff, v86, s3
	v_cndmask_b32_e64 v78, 0xff7fffff, v78, s4
	s_delay_alu instid0(VALU_DEP_4)
	v_max3_f32 v87, v88, 0xff7fffff, v87
	v_or_b32_e32 v81, 16, v128
	v_or_b32_e32 v82, 18, v128
	v_dual_mul_f32 v74, s19, v142 :: v_dual_mul_f32 v75, s19, v141
	v_mul_f32_e32 v96, s19, v111
	v_cndmask_b32_e64 v77, 0xff7fffff, v77, s5
	v_cndmask_b32_e64 v76, 0xff7fffff, v76, s6
	v_max3_f32 v78, v87, v86, v78
	v_cmp_gt_i32_e64 s7, s24, v79
	v_cmp_gt_i32_e64 s8, s24, v80
	v_or_b32_e32 v83, 20, v128
	v_or_b32_e32 v84, 22, v128
	v_mul_f32_e32 v95, s19, v112
	v_cndmask_b32_e64 v75, 0xff7fffff, v75, s7
	v_cndmask_b32_e64 v74, 0xff7fffff, v74, s8
	v_max3_f32 v76, v78, v77, v76
	v_cmp_gt_i32_e64 s9, s24, v81
	v_cmp_gt_i32_e64 s10, s24, v82
	v_or_b32_e32 v85, 24, v128
	v_or_b32_e32 v71, 26, v128
	;; [unrolled: 8-line block ×3, first 2 shown]
	v_dual_mul_f32 v91, s19, v116 :: v_dual_mul_f32 v92, s19, v115
	v_cndmask_b32_e64 v75, 0xff7fffff, v94, s11
	v_cndmask_b32_e64 v76, 0xff7fffff, v93, s12
	v_max3_f32 v74, v74, v77, v78
	v_cmp_gt_i32_e64 s13, s24, v85
	v_cmp_gt_i32_e64 s15, s24, v71
	v_mul_f32_e32 v89, s19, v118
	v_cmp_gt_i32_e64 s16, s24, v72
	v_max3_f32 v74, v74, v75, v76
	v_cndmask_b32_e64 v77, 0xff7fffff, v92, s13
	v_cndmask_b32_e64 v71, 0xff7fffff, v91, s15
	v_cmp_gt_i32_e64 s17, s24, v73
	v_cndmask_b32_e64 v72, 0xff7fffff, v90, s16
	s_delay_alu instid0(VALU_DEP_3) | instskip(SKIP_1) | instid1(VALU_DEP_4)
	v_max3_f32 v71, v74, v77, v71
	v_lshlrev_b32_e32 v74, 2, v127
	v_cndmask_b32_e64 v73, 0xff7fffff, v89, s17
	s_delay_alu instid0(VALU_DEP_1) | instskip(SKIP_3) | instid1(VALU_DEP_1)
	v_max3_f32 v71, v71, v72, v73
	ds_bpermute_b32 v72, v74, v71
	s_waitcnt lgkmcnt(0)
	v_max_f32_e32 v72, v72, v72
	v_max_f32_e32 v71, v71, v72
	s_delay_alu instid0(VALU_DEP_1) | instskip(SKIP_4) | instid1(VALU_DEP_4)
	v_fma_f32 v72, s19, v135, -v71
	v_fma_f32 v73, s19, v136, -v71
	;; [unrolled: 1-line block ×5, first 2 shown]
	v_dual_mul_f32 v72, 0x3fb8aa3b, v72 :: v_dual_mul_f32 v73, 0x3fb8aa3b, v73
	s_delay_alu instid0(VALU_DEP_3) | instskip(SKIP_1) | instid1(VALU_DEP_3)
	v_dual_mul_f32 v75, 0x3fb8aa3b, v75 :: v_dual_mul_f32 v76, 0x3fb8aa3b, v76
	v_fma_f32 v80, s19, v141, -v71
	v_exp_f32_e32 v72, v72
	s_delay_alu instid0(VALU_DEP_3) | instskip(NEXT) | instid1(VALU_DEP_2)
	v_exp_f32_e32 v73, v73
	v_exp_f32_e32 v75, v75
	;; [unrolled: 1-line block ×3, first 2 shown]
	v_mul_f32_e32 v82, 0x3fb8aa3b, v80
	s_delay_alu instid0(VALU_DEP_1) | instskip(SKIP_4) | instid1(TRANS32_DEP_3)
	v_exp_f32_e32 v84, v82
	v_cndmask_b32_e32 v79, 0, v72, vcc_lo
	v_fma_f32 v72, s19, v140, -v71
	v_mul_f32_e32 v77, 0x3fb8aa3b, v77
	v_cndmask_b32_e64 v78, 0, v73, s2
	v_cndmask_b32_e64 v81, 0, v75, s3
	s_delay_alu instid0(VALU_DEP_4) | instskip(NEXT) | instid1(VALU_DEP_4)
	v_dual_add_f32 v73, 0, v79 :: v_dual_mul_f32 v72, 0x3fb8aa3b, v72
	v_exp_f32_e32 v77, v77
	v_cndmask_b32_e64 v80, 0, v76, s4
	s_delay_alu instid0(TRANS32_DEP_2) | instskip(NEXT) | instid1(VALU_DEP_3)
	v_cndmask_b32_e64 v85, 0, v84, s7
	v_add_f32_e32 v73, v73, v78
	v_exp_f32_e32 v72, v72
	v_cmp_gt_u32_e64 s2, 16, v70
	s_delay_alu instid0(VALU_DEP_2) | instskip(NEXT) | instid1(TRANS32_DEP_2)
	v_add_f32_e32 v73, v73, v81
	v_cndmask_b32_e64 v83, 0, v77, s5
	s_delay_alu instid0(VALU_DEP_2) | instskip(SKIP_3) | instid1(VALU_DEP_1)
	v_add_f32_e32 v73, v73, v80
	s_waitcnt_depctr 0xfff
	v_cndmask_b32_e64 v82, 0, v72, s6
	v_add_f32_e32 v72, v73, v83
	v_add_f32_e32 v72, v72, v82
	s_delay_alu instid0(VALU_DEP_1)
	v_add_f32_e32 v72, v72, v85
	v_fma_f32 v76, s19, v111, -v71
	v_fma_f32 v75, s19, v142, -v71
	;; [unrolled: 1-line block ×5, first 2 shown]
	s_delay_alu instid0(VALU_DEP_4) | instskip(NEXT) | instid1(VALU_DEP_3)
	v_dual_mul_f32 v76, 0x3fb8aa3b, v76 :: v_dual_mul_f32 v75, 0x3fb8aa3b, v75
	v_mul_f32_e32 v86, 0x3fb8aa3b, v86
	s_delay_alu instid0(VALU_DEP_2) | instskip(NEXT) | instid1(VALU_DEP_2)
	v_exp_f32_e32 v76, v76
	v_exp_f32_e32 v75, v75
	s_delay_alu instid0(VALU_DEP_1) | instskip(NEXT) | instid1(TRANS32_DEP_3)
	v_exp_f32_e32 v88, v86
	v_cndmask_b32_e64 v87, 0, v76, s9
	v_fma_f32 v76, s19, v116, -v71
	v_mul_f32_e32 v77, 0x3fb8aa3b, v77
	s_waitcnt_depctr 0xfff
	v_cndmask_b32_e64 v84, 0, v75, s8
	v_fma_f32 v75, s19, v115, -v71
	v_cndmask_b32_e64 v88, 0, v88, s12
	v_mul_f32_e32 v76, 0x3fb8aa3b, v76
	v_exp_f32_e32 v77, v77
	v_add_f32_e32 v72, v72, v84
	s_delay_alu instid0(VALU_DEP_2) | instskip(NEXT) | instid1(VALU_DEP_1)
	v_exp_f32_e32 v76, v76
	v_add_f32_e32 v72, v72, v87
	s_waitcnt_depctr 0xfff
	v_cndmask_b32_e64 v86, 0, v77, s10
	v_mul_f32_e32 v73, 0x3fb8aa3b, v73
	v_fma_f32 v77, s19, v117, -v71
	v_cndmask_b32_e64 v90, 0, v76, s15
	s_delay_alu instid0(VALU_DEP_4) | instskip(NEXT) | instid1(VALU_DEP_4)
	v_add_f32_e32 v72, v72, v86
	v_exp_f32_e32 v73, v73
	s_waitcnt_depctr 0xfff
	v_cndmask_b32_e64 v89, 0, v73, s11
	s_delay_alu instid0(VALU_DEP_1) | instskip(NEXT) | instid1(VALU_DEP_1)
	v_dual_mul_f32 v75, 0x3fb8aa3b, v75 :: v_dual_add_f32 v72, v72, v89
	v_exp_f32_e32 v75, v75
	v_mul_f32_e32 v73, 0x3fb8aa3b, v77
	v_fma_f32 v77, s19, v118, -v71
	s_delay_alu instid0(VALU_DEP_3) | instskip(NEXT) | instid1(VALU_DEP_3)
	v_add_f32_e32 v72, v72, v88
	v_exp_f32_e32 v73, v73
	s_waitcnt_depctr 0xfff
	v_cndmask_b32_e64 v91, 0, v75, s13
	s_delay_alu instid0(VALU_DEP_1) | instskip(NEXT) | instid1(VALU_DEP_1)
	v_dual_mul_f32 v75, 0x3fb8aa3b, v77 :: v_dual_add_f32 v72, v72, v91
	v_exp_f32_e32 v75, v75
	v_cndmask_b32_e64 v93, 0, v73, s16
	s_delay_alu instid0(VALU_DEP_2) | instskip(NEXT) | instid1(VALU_DEP_1)
	v_add_f32_e32 v72, v72, v90
	v_add_f32_e32 v72, v72, v93
	s_waitcnt_depctr 0xfff
	v_cndmask_b32_e64 v92, 0, v75, s17
	s_delay_alu instid0(VALU_DEP_1)
	v_add_f32_e32 v72, v72, v92
	ds_bpermute_b32 v73, v74, v72
	s_and_saveexec_b32 s3, s2
	s_cbranch_execz .LBB1302_12
; %bb.11:
	v_mul_u32_u24_e32 v70, 0x44, v69
	s_waitcnt lgkmcnt(0)
	v_add_f32_e32 v72, v72, v73
	s_delay_alu instid0(VALU_DEP_2) | instskip(NEXT) | instid1(VALU_DEP_1)
	v_lshl_add_u32 v70, v68, 2, v70
	v_add_nc_u32_e32 v70, 0x4000, v70
	ds_store_2addr_b32 v70, v71, v72 offset1:136
.LBB1302_12:
	s_or_b32 exec_lo, exec_lo, s3
	v_lshlrev_b32_e32 v70, 2, v68
	s_load_b32 s35, s[0:1], 0x94
	s_waitcnt lgkmcnt(0)
	s_barrier
	buffer_gl0_inv
	v_add_nc_u32_e32 v98, 0x4000, v70
	v_cmp_eq_u32_e32 vcc_lo, 1, v69
	v_cmp_eq_u32_e64 s3, 2, v69
	v_cmp_eq_u32_e64 s4, 3, v69
	;; [unrolled: 1-line block ×3, first 2 shown]
	ds_load_2addr_b32 v[70:71], v98 offset1:17
	ds_load_2addr_b32 v[72:73], v98 offset0:34 offset1:51
	ds_load_2addr_b32 v[74:75], v98 offset0:68 offset1:85
	;; [unrolled: 1-line block ×3, first 2 shown]
	v_cmp_eq_u32_e64 s6, 5, v69
	v_cmp_eq_u32_e64 s7, 7, v69
	s_waitcnt lgkmcnt(3)
	v_max3_f32 v76, v70, 0xff7fffff, v71
	s_waitcnt lgkmcnt(2)
	s_delay_alu instid0(VALU_DEP_1) | instskip(SKIP_1) | instid1(VALU_DEP_1)
	v_max3_f32 v76, v76, v72, v73
	s_waitcnt lgkmcnt(1)
	v_max3_f32 v76, v76, v74, v75
	s_waitcnt lgkmcnt(0)
	s_delay_alu instid0(VALU_DEP_1) | instskip(NEXT) | instid1(VALU_DEP_1)
	v_max3_f32 v76, v76, v94, v95
	v_sub_f32_e32 v77, v71, v76
	ds_load_2addr_b32 v[96:97], v98 offset0:136 offset1:153
	v_sub_f32_e32 v74, v74, v76
	v_sub_f32_e32 v70, v70, v76
	;; [unrolled: 1-line block ×3, first 2 shown]
	v_dual_sub_f32 v72, v72, v76 :: v_dual_mul_f32 v77, 0x3fb8aa3b, v77
	s_delay_alu instid0(VALU_DEP_4) | instskip(NEXT) | instid1(VALU_DEP_4)
	v_mul_f32_e32 v103, 0x3fb8aa3b, v74
	v_mul_f32_e32 v99, 0x3fb8aa3b, v70
	ds_load_2addr_b32 v[70:71], v98 offset0:170 offset1:187
	v_dual_mul_f32 v101, 0x3fb8aa3b, v72 :: v_dual_mul_f32 v94, 0x3fb8aa3b, v94
	v_exp_f32_e32 v102, v77
	v_exp_f32_e32 v99, v99
	s_delay_alu instid0(VALU_DEP_1) | instskip(NEXT) | instid1(VALU_DEP_1)
	v_exp_f32_e32 v101, v101
	v_exp_f32_e32 v94, v94
	s_waitcnt lgkmcnt(1)
	s_delay_alu instid0(TRANS32_DEP_3)
	v_fma_f32 v77, v99, v96, 0
	v_sub_f32_e32 v100, v73, v76
	ds_load_2addr_b32 v[72:73], v98 offset0:204 offset1:221
	v_fmac_f32_e32 v77, v102, v97
	v_exp_f32_e32 v97, v103
	s_waitcnt lgkmcnt(1)
	s_delay_alu instid0(VALU_DEP_1)
	v_dual_fmac_f32 v77, v101, v70 :: v_dual_sub_f32 v96, v75, v76
	ds_load_2addr_b32 v[74:75], v98 offset0:238 offset1:255
	v_sub_f32_e32 v70, v95, v76
	s_waitcnt lgkmcnt(0)
	s_barrier
	v_mul_f32_e32 v96, 0x3fb8aa3b, v96
	buffer_gl0_inv
	v_exp_f32_e32 v95, v96
	v_mul_f32_e32 v100, 0x3fb8aa3b, v100
	s_delay_alu instid0(VALU_DEP_1) | instskip(SKIP_3) | instid1(VALU_DEP_2)
	v_exp_f32_e32 v100, v100
	s_waitcnt_depctr 0xfff
	v_dual_fmac_f32 v77, v100, v71 :: v_dual_mul_f32 v70, 0x3fb8aa3b, v70
	v_cndmask_b32_e32 v71, v99, v102, vcc_lo
	v_fmac_f32_e32 v77, v97, v72
	s_delay_alu instid0(VALU_DEP_3) | instskip(NEXT) | instid1(VALU_DEP_1)
	v_exp_f32_e32 v96, v70
	v_fmac_f32_e32 v77, v95, v73
	s_delay_alu instid0(VALU_DEP_1) | instskip(SKIP_2) | instid1(VALU_DEP_1)
	v_fmac_f32_e32 v77, v94, v74
	s_waitcnt_depctr 0xfff
	v_fmac_f32_e32 v77, v96, v75
	v_add_f32_e32 v74, 0x358637bd, v77
	s_delay_alu instid0(VALU_DEP_1) | instskip(SKIP_1) | instid1(VALU_DEP_2)
	v_div_scale_f32 v98, null, v74, v74, 1.0
	v_div_scale_f32 v99, vcc_lo, 1.0, v74, 1.0
	v_rcp_f32_e32 v103, v98
	s_waitcnt_depctr 0xfff
	v_fma_f32 v70, -v98, v103, 1.0
	s_delay_alu instid0(VALU_DEP_1) | instskip(SKIP_2) | instid1(VALU_DEP_2)
	v_fmac_f32_e32 v103, v70, v103
	v_cndmask_b32_e64 v70, v71, v101, s3
	v_cmp_eq_u32_e64 s3, 6, v69
	v_cndmask_b32_e64 v71, v70, v100, s4
	s_delay_alu instid0(VALU_DEP_4) | instskip(NEXT) | instid1(VALU_DEP_2)
	v_dual_mul_f32 v101, v99, v103 :: v_dual_lshlrev_b32 v70, 2, v66
	v_cndmask_b32_e64 v71, v71, v97, s5
	s_delay_alu instid0(VALU_DEP_2) | instskip(NEXT) | instid1(VALU_DEP_3)
	v_or_b32_e32 v72, 1, v70
	v_fma_f32 v100, -v98, v101, v99
	v_cmp_eq_u32_e64 s4, 1, v70
	v_cmp_eq_u32_e64 s5, 2, v70
	v_cndmask_b32_e64 v95, v71, v95, s6
	v_or_b32_e32 v71, 3, v70
	v_fmac_f32_e32 v101, v100, v103
	v_cmp_eq_u32_e64 s9, 1, v72
	v_cmp_eq_u32_e64 s12, 2, v72
	v_cndmask_b32_e64 v94, v95, v94, s3
	v_cmp_eq_u32_e64 s11, 1, v71
	v_fma_f32 v97, -v98, v101, v99
	v_cmp_eq_u32_e64 s16, 2, v71
	v_cmp_eq_u32_e64 s13, 3, v72
	v_cndmask_b32_e64 v94, v94, v96, s7
	v_cmp_eq_u32_e64 s18, 3, v71
	v_div_fmas_f32 v95, v97, v103, v101
	v_cmp_eq_u32_e32 vcc_lo, 3, v70
	v_cmp_eq_u32_e64 s3, 4, v70
	v_cmp_eq_u32_e64 s19, 4, v72
	;; [unrolled: 1-line block ×3, first 2 shown]
	v_div_fixup_f32 v95, v95, v74, 1.0
	v_lshlrev_b32_e32 v73, 6, v68
	v_cmp_eq_u32_e64 s6, 5, v70
	v_cmp_eq_u32_e64 s20, 5, v72
	;; [unrolled: 1-line block ×3, first 2 shown]
	v_mul_f32_e32 v102, v94, v95
	v_lshl_or_b32 v75, v69, 11, v73
	v_or_b32_e32 v69, 2, v70
	v_cmp_eq_u32_e64 s25, 6, v72
	v_cmp_eq_u32_e64 s27, 6, v71
	v_fma_mixlo_f16 v94, v102, v79, 0
	v_fma_mixlo_f16 v95, v102, v81, 0
	;; [unrolled: 1-line block ×8, first 2 shown]
	v_lshl_or_b32 v74, v66, 4, v75
	v_fma_mixhi_f16 v94, v102, v78, 0
	v_fma_mixhi_f16 v95, v102, v80, 0
	v_fma_mixhi_f16 v96, v102, v82, 0
	v_fma_mixhi_f16 v97, v102, v84, 0
	v_fma_mixhi_f16 v98, v102, v86, 0
	v_fma_mixhi_f16 v99, v102, v88, 0
	v_fma_mixhi_f16 v100, v102, v90, 0
	v_fma_mixhi_f16 v101, v102, v92, 0
	ds_store_b128 v74, v[94:97]
	ds_store_b128 v74, v[98:101] offset:1024
	s_waitcnt lgkmcnt(0)
	s_barrier
	buffer_gl0_inv
	ds_load_b128 v[78:81], v75
	ds_load_b128 v[82:85], v75 offset:16
	ds_load_b128 v[86:89], v75 offset:1024
	;; [unrolled: 1-line block ×3, first 2 shown]
	v_cmp_eq_u32_e64 s10, 1, v69
	v_cmp_eq_u32_e64 s15, 2, v69
	;; [unrolled: 1-line block ×11, first 2 shown]
	s_waitcnt lgkmcnt(3)
	v_lshrrev_b32_e32 v94, 16, v78
	s_waitcnt lgkmcnt(2)
	v_lshrrev_b32_e32 v98, 16, v82
	;; [unrolled: 2-line block ×4, first 2 shown]
	v_lshrrev_b32_e32 v95, 16, v79
	v_cndmask_b32_e64 v110, v78, v94, s4
	v_cndmask_b32_e64 v111, v82, v98, s4
	;; [unrolled: 1-line block ×8, first 2 shown]
	v_lshrrev_b32_e32 v99, 16, v83
	v_cndmask_b32_e64 v94, v86, v102, s4
	v_cndmask_b32_e64 v98, v90, v106, s4
	;; [unrolled: 1-line block ×15, first 2 shown]
	v_lshrrev_b32_e32 v103, 16, v87
	v_lshrrev_b32_e32 v107, 16, v91
	v_cndmask_b32_e64 v113, v115, v83, s15
	v_cndmask_b32_e64 v82, v94, v87, s5
	;; [unrolled: 1-line block ×7, first 2 shown]
	v_cndmask_b32_e32 v90, v102, v95, vcc_lo
	v_cndmask_b32_e32 v102, v106, v99, vcc_lo
	v_cndmask_b32_e64 v106, v110, v95, s13
	v_cndmask_b32_e64 v110, v111, v99, s13
	;; [unrolled: 1-line block ×4, first 2 shown]
	v_lshrrev_b32_e32 v96, 16, v80
	v_lshrrev_b32_e32 v100, 16, v84
	v_cndmask_b32_e64 v111, v112, v95, s17
	v_cndmask_b32_e64 v112, v113, v99, s17
	v_cndmask_b32_e32 v82, v82, v103, vcc_lo
	v_cndmask_b32_e32 v83, v83, v107, vcc_lo
	v_cndmask_b32_e64 v94, v94, v103, s13
	v_cndmask_b32_e64 v90, v90, v80, s3
	;; [unrolled: 1-line block ×7, first 2 shown]
	v_lshrrev_b32_e32 v104, 16, v88
	v_cndmask_b32_e64 v106, v111, v80, s21
	v_cndmask_b32_e64 v110, v112, v84, s21
	v_cndmask_b32_e64 v80, v82, v88, s3
	v_cndmask_b32_e64 v82, v83, v92, s3
	v_cndmask_b32_e64 v83, v94, v88, s19
	v_cndmask_b32_e64 v84, v90, v96, s6
	v_cndmask_b32_e64 v90, v95, v100, s6
	v_cndmask_b32_e64 v94, v99, v96, s20
	v_cndmask_b32_e64 v95, v102, v100, s20
	v_cndmask_b32_e64 v78, v78, v96, s24
	v_cndmask_b32_e64 v79, v79, v100, s24
	v_lshrrev_b32_e32 v97, 16, v81
	v_lshrrev_b32_e32 v101, 16, v85
	v_cndmask_b32_e64 v99, v106, v96, s23
	v_cndmask_b32_e64 v102, v110, v100, s23
	;; [unrolled: 1-line block ×7, first 2 shown]
	v_lshrrev_b32_e32 v105, 16, v89
	v_cndmask_b32_e64 v80, v80, v104, s6
	v_cndmask_b32_e64 v84, v84, v81, s7
	;; [unrolled: 1-line block ×16, first 2 shown]
	v_perm_b32 v81, v79, v78, 0x5040100
	v_perm_b32 v79, v95, v85, 0x5040100
	v_cndmask_b32_e64 v78, v119, v91, s15
	v_cndmask_b32_e64 v85, v117, v91, s12
	;; [unrolled: 1-line block ×3, first 2 shown]
	v_perm_b32 v80, v94, v90, 0x5040100
	v_cndmask_b32_e64 v90, v98, v103, s17
	v_cndmask_b32_e64 v86, v86, v103, s18
	;; [unrolled: 1-line block ×5, first 2 shown]
	v_lshrrev_b32_e32 v108, 16, v92
	v_cndmask_b32_e64 v90, v90, v88, s21
	v_cndmask_b32_e64 v86, v86, v88, s22
	v_cndmask_b32_e64 v87, v87, v92, s22
	v_cndmask_b32_e64 v78, v78, v92, s21
	v_cndmask_b32_e64 v85, v85, v92, s19
	v_cndmask_b32_e64 v82, v82, v108, s6
	v_cndmask_b32_e64 v88, v90, v104, s23
	v_cndmask_b32_e64 v86, v86, v104, s24
	v_cndmask_b32_e64 v87, v87, v108, s24
	v_cndmask_b32_e64 v78, v78, v108, s23
	v_cndmask_b32_e64 v85, v85, v108, s20
	v_lshrrev_b32_e32 v109, 16, v93
	v_cndmask_b32_e64 v82, v82, v93, s7
	v_cndmask_b32_e64 v88, v88, v89, s26
	;; [unrolled: 1-line block ×12, first 2 shown]
	v_perm_b32 v78, v84, v83, 0x5040100
	v_perm_b32 v85, v87, v86, 0x5040100
	;; [unrolled: 1-line block ×5, first 2 shown]
	s_mul_i32 s8, s33, 9
	s_mov_b32 s3, exec_lo
	ds_store_b128 v74, v[78:81]
	ds_store_b128 v74, v[82:85] offset:1024
	v_cmpx_gt_u32_e32 9, v0
	s_cbranch_execz .LBB1302_14
; %bb.13:
	s_mul_i32 s4, s8, s34
	s_delay_alu instid0(SALU_CYCLE_1) | instskip(SKIP_1) | instid1(VALU_DEP_1)
	v_add3_u32 v68, s4, s31, v68
	s_load_b128 s[4:7], s[0:1], 0x58
	v_mad_u64_u32 v[78:79], null, v68, s35, s[14:15]
	s_delay_alu instid0(VALU_DEP_1) | instskip(NEXT) | instid1(VALU_DEP_1)
	v_ashrrev_i32_e32 v79, 31, v78
	v_lshlrev_b64 v[78:79], 2, v[78:79]
	s_waitcnt lgkmcnt(0)
	s_delay_alu instid0(VALU_DEP_1) | instskip(NEXT) | instid1(VALU_DEP_2)
	v_add_co_u32 v80, vcc_lo, s6, v78
	v_add_co_ci_u32_e32 v81, vcc_lo, s7, v79, vcc_lo
	v_add_co_u32 v78, vcc_lo, s4, v78
	v_add_co_ci_u32_e32 v79, vcc_lo, s5, v79, vcc_lo
	global_store_b32 v[80:81], v76, off
	global_store_b32 v[78:79], v77, off
.LBB1302_14:
	s_or_b32 exec_lo, exec_lo, s3
	s_waitcnt lgkmcnt(0)
	s_waitcnt_vscnt null, 0x0
	s_barrier
	buffer_gl0_inv
	ds_load_b128 v[84:87], v73
	ds_load_b128 v[88:91], v73 offset:16
	ds_load_b128 v[96:99], v73 offset:2064
	;; [unrolled: 1-line block ×5, first 2 shown]
	v_cmp_eq_u32_e32 vcc_lo, 1, v70
	v_mov_b32_e32 v76, 0
	ds_load_b128 v[112:115], v73 offset:6160
	ds_load_b128 v[108:111], v73 offset:6144
	;; [unrolled: 1-line block ×4, first 2 shown]
	v_cmp_eq_u32_e64 s4, 1, v69
	v_cmp_eq_u32_e64 s3, 1, v72
	v_cmp_eq_u32_e64 s5, 2, v72
	v_mov_b32_e32 v77, v76
	v_mov_b32_e32 v78, v76
	;; [unrolled: 1-line block ×7, first 2 shown]
	v_cmp_eq_u32_e64 s6, 3, v72
	v_cmp_eq_u32_e64 s7, 7, v72
	s_waitcnt lgkmcnt(8)
	s_delay_alu instid0(VALU_DEP_3)
	v_wmma_f32_16x16x16_f16 v[76:83], v[49:56], v[84:91], v[76:83]
	ds_load_b128 v[53:56], v73 offset:10256
	ds_load_b128 v[49:52], v73 offset:10240
	s_waitcnt lgkmcnt(8)
	v_wmma_f32_16x16x16_f16 v[76:83], v[41:48], v[92:99], v[76:83]
	ds_load_b128 v[45:48], v73 offset:12304
	ds_load_b128 v[41:44], v73 offset:12288
	s_waitcnt lgkmcnt(8)
	;; [unrolled: 4-line block ×3, first 2 shown]
	s_barrier
	buffer_gl0_inv
	v_wmma_f32_16x16x16_f16 v[76:83], v[1:8], v[108:115], v[76:83]
	s_delay_alu instid0(VALU_DEP_1) | instskip(NEXT) | instid1(VALU_DEP_1)
	v_wmma_f32_16x16x16_f16 v[76:83], v[9:16], v[116:123], v[76:83]
	v_wmma_f32_16x16x16_f16 v[76:83], v[17:24], v[49:56], v[76:83]
	s_delay_alu instid0(VALU_DEP_1) | instskip(NEXT) | instid1(VALU_DEP_1)
	v_wmma_f32_16x16x16_f16 v[76:83], v[25:32], v[41:48], v[76:83]
	v_wmma_f32_16x16x16_f16 v[76:83], v[57:64], v[33:40], v[76:83]
	s_delay_alu instid0(VALU_DEP_1) | instskip(NEXT) | instid1(VALU_DEP_2)
	v_cvt_f16_f32_e32 v1, v76
	v_cvt_f16_f32_e32 v2, v77
	s_delay_alu instid0(VALU_DEP_3) | instskip(NEXT) | instid1(VALU_DEP_4)
	v_cvt_f16_f32_e32 v3, v78
	v_cvt_f16_f32_e32 v4, v79
	;; [unrolled: 1-line block ×6, first 2 shown]
	v_pack_b32_f16 v1, v1, v2
	v_pack_b32_f16 v2, v3, v4
	;; [unrolled: 1-line block ×3, first 2 shown]
	s_delay_alu instid0(VALU_DEP_4)
	v_pack_b32_f16 v4, v7, v8
	ds_store_b128 v74, v[1:4]
	s_waitcnt lgkmcnt(0)
	s_barrier
	buffer_gl0_inv
	ds_load_b128 v[1:4], v75
	ds_load_b128 v[5:8], v75 offset:16
	s_waitcnt lgkmcnt(1)
	v_lshrrev_b32_e32 v9, 16, v1
	s_waitcnt lgkmcnt(0)
	v_lshrrev_b32_e32 v13, 16, v5
	v_lshrrev_b32_e32 v10, 16, v2
	;; [unrolled: 1-line block ×4, first 2 shown]
	v_cndmask_b32_e32 v17, v1, v9, vcc_lo
	v_cndmask_b32_e32 v18, v5, v13, vcc_lo
	v_cndmask_b32_e64 v21, v1, v9, s4
	v_cmp_eq_u32_e32 vcc_lo, 1, v71
	v_cndmask_b32_e64 v22, v5, v13, s4
	v_cmp_eq_u32_e64 s4, 2, v70
	v_cndmask_b32_e64 v19, v1, v9, s3
	v_cndmask_b32_e64 v20, v5, v13, s3
	v_cndmask_b32_e32 v1, v1, v9, vcc_lo
	v_cmp_eq_u32_e64 s3, 2, v71
	v_cndmask_b32_e32 v5, v5, v13, vcc_lo
	v_cndmask_b32_e64 v9, v17, v2, s4
	v_cmp_eq_u32_e32 vcc_lo, 3, v70
	v_cndmask_b32_e64 v13, v18, v6, s4
	v_cmp_eq_u32_e64 s4, 2, v69
	v_cndmask_b32_e64 v17, v19, v2, s5
	v_cndmask_b32_e64 v18, v20, v6, s5
	v_cmp_eq_u32_e64 s5, 3, v69
	v_cndmask_b32_e64 v1, v1, v2, s3
	v_cndmask_b32_e64 v19, v21, v2, s4
	;; [unrolled: 1-line block ×4, first 2 shown]
	v_cndmask_b32_e32 v5, v9, v10, vcc_lo
	v_cndmask_b32_e32 v6, v13, v14, vcc_lo
	v_cmp_eq_u32_e32 vcc_lo, 3, v71
	v_cndmask_b32_e64 v9, v17, v10, s6
	v_cndmask_b32_e64 v13, v18, v14, s6
	;; [unrolled: 1-line block ×3, first 2 shown]
	v_cmp_eq_u32_e64 s4, 4, v70
	v_cndmask_b32_e32 v1, v1, v10, vcc_lo
	v_cndmask_b32_e32 v2, v2, v14, vcc_lo
	v_cmp_eq_u32_e32 vcc_lo, 4, v72
	v_lshrrev_b32_e32 v15, 16, v7
	v_lshrrev_b32_e32 v16, 16, v8
	v_cndmask_b32_e64 v17, v19, v10, s5
	v_cmp_eq_u32_e64 s3, 4, v71
	v_cndmask_b32_e64 v5, v5, v3, s4
	v_cndmask_b32_e64 v6, v6, v7, s4
	v_cndmask_b32_e32 v9, v9, v3, vcc_lo
	v_cmp_eq_u32_e64 s4, 5, v72
	v_cndmask_b32_e32 v10, v13, v7, vcc_lo
	v_cmp_eq_u32_e32 vcc_lo, 4, v69
	v_cmp_eq_u32_e64 s5, 5, v70
	v_cndmask_b32_e64 v2, v2, v7, s3
	v_cndmask_b32_e64 v9, v9, v11, s4
	;; [unrolled: 1-line block ×3, first 2 shown]
	v_cndmask_b32_e32 v13, v17, v3, vcc_lo
	v_cmp_eq_u32_e64 s4, 5, v69
	v_cndmask_b32_e32 v14, v18, v7, vcc_lo
	v_cndmask_b32_e64 v1, v1, v3, s3
	v_cmp_eq_u32_e32 vcc_lo, 5, v71
	v_lshrrev_b32_e32 v12, 16, v4
	v_cndmask_b32_e64 v13, v13, v11, s4
	v_cndmask_b32_e64 v3, v14, v15, s4
	v_cmp_eq_u32_e64 s4, 6, v71
	v_cndmask_b32_e32 v1, v1, v11, vcc_lo
	v_cndmask_b32_e64 v5, v5, v11, s5
	v_cmp_eq_u32_e64 s6, 6, v70
	v_cndmask_b32_e64 v6, v6, v15, s5
	v_cmp_eq_u32_e64 s5, 6, v72
	v_cmp_eq_u32_e64 s3, 6, v69
	v_cndmask_b32_e64 v1, v1, v4, s4
	v_cndmask_b32_e32 v2, v2, v15, vcc_lo
	v_cmp_eq_u32_e32 vcc_lo, 7, v71
	v_cndmask_b32_e64 v5, v5, v4, s6
	v_cndmask_b32_e64 v9, v9, v4, s5
	;; [unrolled: 1-line block ×3, first 2 shown]
	v_cmp_eq_u32_e64 s6, 7, v70
	v_cndmask_b32_e32 v1, v1, v12, vcc_lo
	v_cndmask_b32_e64 v7, v13, v4, s3
	v_cndmask_b32_e64 v3, v3, v8, s3
	;; [unrolled: 1-line block ×3, first 2 shown]
	v_cmp_eq_u32_e64 s3, 7, v69
	v_cndmask_b32_e64 v4, v10, v8, s5
	v_cndmask_b32_e64 v5, v5, v12, s6
	;; [unrolled: 1-line block ×3, first 2 shown]
	v_cndmask_b32_e32 v2, v2, v16, vcc_lo
	v_cndmask_b32_e64 v7, v7, v12, s3
	v_cndmask_b32_e64 v3, v3, v16, s3
	;; [unrolled: 1-line block ×4, first 2 shown]
	v_perm_b32 v4, v2, v1, 0x5040100
	s_mov_b32 s3, exec_lo
	v_perm_b32 v3, v3, v7, 0x5040100
	v_perm_b32 v2, v8, v9, 0x5040100
	;; [unrolled: 1-line block ×3, first 2 shown]
	ds_store_b128 v74, v[1:4]
	s_waitcnt lgkmcnt(0)
	s_barrier
	buffer_gl0_inv
	v_cmpx_gt_u32_e32 32, v0
	s_cbranch_execz .LBB1302_2
; %bb.15:
	s_load_b64 s[4:5], s[0:1], 0x68
	v_lshlrev_b32_e32 v0, 10, v0
	v_lshlrev_b32_e32 v1, 4, v67
	s_lshl_b32 s0, s35, 7
	v_add_nc_u32_e32 v2, s31, v66
	s_mul_i32 s1, s0, s34
	s_delay_alu instid0(SALU_CYCLE_1) | instskip(SKIP_1) | instid1(VALU_DEP_2)
	s_mul_i32 s6, s1, s8
	v_and_or_b32 v0, 0x3800, v0, v1
	v_mul_lo_u32 v1, v2, s0
	s_ashr_i32 s7, s6, 31
	v_add_nc_u32_e32 v3, 2, v2
	s_lshl_b64 s[6:7], s[6:7], 1
	v_add_nc_u32_e32 v4, 4, v2
	v_add_nc_u32_e32 v5, 6, v2
	v_lshl_or_b32 v15, v66, 6, v0
	v_mul_lo_u32 v3, v3, s0
	v_ashrrev_i32_e32 v2, 31, v1
	v_mul_lo_u32 v19, v4, s0
	v_mul_lo_u32 v21, v5, s0
	s_waitcnt lgkmcnt(0)
	s_add_u32 s1, s4, s6
	s_addc_u32 s3, s5, s7
	s_lshl_b32 s4, s14, 7
	v_lshlrev_b64 v[5:6], 1, v[1:2]
	s_ashr_i32 s5, s4, 31
	v_ashrrev_i32_e32 v4, 31, v3
	s_lshl_b64 s[4:5], s[4:5], 1
	v_ashrrev_i32_e32 v20, 31, v19
	s_add_u32 s1, s1, s4
	s_addc_u32 s3, s3, s5
	v_add_co_u32 v1, s1, s1, v65
	s_delay_alu instid0(VALU_DEP_1) | instskip(SKIP_1) | instid1(VALU_DEP_3)
	v_add_co_ci_u32_e64 v2, null, s3, 0, s1
	v_lshlrev_b64 v[25:26], 1, v[3:4]
	v_add_co_u32 v23, vcc_lo, v1, v5
	s_delay_alu instid0(VALU_DEP_3)
	v_add_co_ci_u32_e32 v24, vcc_lo, v2, v6, vcc_lo
	ds_load_b128 v[3:6], v15
	ds_load_b128 v[7:10], v15 offset:128
	ds_load_b128 v[11:14], v15 offset:256
	;; [unrolled: 1-line block ×3, first 2 shown]
	v_ashrrev_i32_e32 v22, 31, v21
	v_lshlrev_b64 v[19:20], 1, v[19:20]
	v_add_co_u32 v25, vcc_lo, v1, v25
	v_add_co_ci_u32_e32 v26, vcc_lo, v2, v26, vcc_lo
	s_delay_alu instid0(VALU_DEP_4) | instskip(NEXT) | instid1(VALU_DEP_4)
	v_lshlrev_b64 v[21:22], 1, v[21:22]
	v_add_co_u32 v19, vcc_lo, v1, v19
	v_add_co_ci_u32_e32 v20, vcc_lo, v2, v20, vcc_lo
	s_delay_alu instid0(VALU_DEP_3) | instskip(NEXT) | instid1(VALU_DEP_4)
	v_add_co_u32 v21, vcc_lo, v1, v21
	v_add_co_ci_u32_e32 v22, vcc_lo, v2, v22, vcc_lo
	s_waitcnt lgkmcnt(3)
	global_store_b128 v[23:24], v[3:6], off
	s_waitcnt lgkmcnt(2)
	global_store_b128 v[25:26], v[7:10], off
	;; [unrolled: 2-line block ×4, first 2 shown]
	s_and_b32 exec_lo, exec_lo, s2
	s_cbranch_execz .LBB1302_2
; %bb.16:
	ds_load_b128 v[3:6], v0 offset:512
	s_add_i32 s1, s31, 8
	s_delay_alu instid0(SALU_CYCLE_1) | instskip(NEXT) | instid1(SALU_CYCLE_1)
	s_mul_i32 s0, s1, s0
	s_ashr_i32 s1, s0, 31
	s_delay_alu instid0(SALU_CYCLE_1) | instskip(NEXT) | instid1(SALU_CYCLE_1)
	s_lshl_b64 s[0:1], s[0:1], 1
	v_add_co_u32 v0, vcc_lo, v1, s0
	v_add_co_ci_u32_e32 v1, vcc_lo, s1, v2, vcc_lo
	s_waitcnt lgkmcnt(0)
	global_store_b128 v[0:1], v[3:6], off
	s_nop 0
	s_sendmsg sendmsg(MSG_DEALLOC_VGPRS)
	s_endpgm
	.section	.rodata,"a",@progbits
	.p2align	6, 0x0
	.amdhsa_kernel _Z39paged_attention_ll4mi_QKV_mfma16_kernelIDF16_hLN4vllm18Fp8KVCacheDataTypeE1EhLi32ELi128ELi256ELb0ELi9EL8MFMAType0EEvPKT_PKT0_S8_ifPKiSA_SA_iPKfiiiPfSD_PS3_PT2_iSC_SC_
		.amdhsa_group_segment_fixed_size 17472
		.amdhsa_private_segment_fixed_size 0
		.amdhsa_kernarg_size 400
		.amdhsa_user_sgpr_count 13
		.amdhsa_user_sgpr_dispatch_ptr 0
		.amdhsa_user_sgpr_queue_ptr 0
		.amdhsa_user_sgpr_kernarg_segment_ptr 1
		.amdhsa_user_sgpr_dispatch_id 0
		.amdhsa_user_sgpr_private_segment_size 0
		.amdhsa_wavefront_size32 1
		.amdhsa_uses_dynamic_stack 0
		.amdhsa_enable_private_segment 0
		.amdhsa_system_sgpr_workgroup_id_x 1
		.amdhsa_system_sgpr_workgroup_id_y 1
		.amdhsa_system_sgpr_workgroup_id_z 1
		.amdhsa_system_sgpr_workgroup_info 0
		.amdhsa_system_vgpr_workitem_id 0
		.amdhsa_next_free_vgpr 150
		.amdhsa_next_free_sgpr 37
		.amdhsa_reserve_vcc 1
		.amdhsa_float_round_mode_32 0
		.amdhsa_float_round_mode_16_64 0
		.amdhsa_float_denorm_mode_32 3
		.amdhsa_float_denorm_mode_16_64 3
		.amdhsa_dx10_clamp 1
		.amdhsa_ieee_mode 1
		.amdhsa_fp16_overflow 0
		.amdhsa_workgroup_processor_mode 1
		.amdhsa_memory_ordered 1
		.amdhsa_forward_progress 0
		.amdhsa_shared_vgpr_count 0
		.amdhsa_exception_fp_ieee_invalid_op 0
		.amdhsa_exception_fp_denorm_src 0
		.amdhsa_exception_fp_ieee_div_zero 0
		.amdhsa_exception_fp_ieee_overflow 0
		.amdhsa_exception_fp_ieee_underflow 0
		.amdhsa_exception_fp_ieee_inexact 0
		.amdhsa_exception_int_div_zero 0
	.end_amdhsa_kernel
	.section	.text._Z39paged_attention_ll4mi_QKV_mfma16_kernelIDF16_hLN4vllm18Fp8KVCacheDataTypeE1EhLi32ELi128ELi256ELb0ELi9EL8MFMAType0EEvPKT_PKT0_S8_ifPKiSA_SA_iPKfiiiPfSD_PS3_PT2_iSC_SC_,"axG",@progbits,_Z39paged_attention_ll4mi_QKV_mfma16_kernelIDF16_hLN4vllm18Fp8KVCacheDataTypeE1EhLi32ELi128ELi256ELb0ELi9EL8MFMAType0EEvPKT_PKT0_S8_ifPKiSA_SA_iPKfiiiPfSD_PS3_PT2_iSC_SC_,comdat
.Lfunc_end1302:
	.size	_Z39paged_attention_ll4mi_QKV_mfma16_kernelIDF16_hLN4vllm18Fp8KVCacheDataTypeE1EhLi32ELi128ELi256ELb0ELi9EL8MFMAType0EEvPKT_PKT0_S8_ifPKiSA_SA_iPKfiiiPfSD_PS3_PT2_iSC_SC_, .Lfunc_end1302-_Z39paged_attention_ll4mi_QKV_mfma16_kernelIDF16_hLN4vllm18Fp8KVCacheDataTypeE1EhLi32ELi128ELi256ELb0ELi9EL8MFMAType0EEvPKT_PKT0_S8_ifPKiSA_SA_iPKfiiiPfSD_PS3_PT2_iSC_SC_
                                        ; -- End function
	.section	.AMDGPU.csdata,"",@progbits
; Kernel info:
; codeLenInByte = 6744
; NumSgprs: 39
; NumVgprs: 150
; ScratchSize: 0
; MemoryBound: 0
; FloatMode: 240
; IeeeMode: 1
; LDSByteSize: 17472 bytes/workgroup (compile time only)
; SGPRBlocks: 4
; VGPRBlocks: 18
; NumSGPRsForWavesPerEU: 39
; NumVGPRsForWavesPerEU: 150
; Occupancy: 9
; WaveLimiterHint : 1
; COMPUTE_PGM_RSRC2:SCRATCH_EN: 0
; COMPUTE_PGM_RSRC2:USER_SGPR: 13
; COMPUTE_PGM_RSRC2:TRAP_HANDLER: 0
; COMPUTE_PGM_RSRC2:TGID_X_EN: 1
; COMPUTE_PGM_RSRC2:TGID_Y_EN: 1
; COMPUTE_PGM_RSRC2:TGID_Z_EN: 1
; COMPUTE_PGM_RSRC2:TIDIG_COMP_CNT: 0
	.section	.text._Z39paged_attention_ll4mi_QKV_mfma16_kernelIDF16_hLN4vllm18Fp8KVCacheDataTypeE1EhLi32ELi128ELi256ELb0ELi10EL8MFMAType0EEvPKT_PKT0_S8_ifPKiSA_SA_iPKfiiiPfSD_PS3_PT2_iSC_SC_,"axG",@progbits,_Z39paged_attention_ll4mi_QKV_mfma16_kernelIDF16_hLN4vllm18Fp8KVCacheDataTypeE1EhLi32ELi128ELi256ELb0ELi10EL8MFMAType0EEvPKT_PKT0_S8_ifPKiSA_SA_iPKfiiiPfSD_PS3_PT2_iSC_SC_,comdat
	.protected	_Z39paged_attention_ll4mi_QKV_mfma16_kernelIDF16_hLN4vllm18Fp8KVCacheDataTypeE1EhLi32ELi128ELi256ELb0ELi10EL8MFMAType0EEvPKT_PKT0_S8_ifPKiSA_SA_iPKfiiiPfSD_PS3_PT2_iSC_SC_ ; -- Begin function _Z39paged_attention_ll4mi_QKV_mfma16_kernelIDF16_hLN4vllm18Fp8KVCacheDataTypeE1EhLi32ELi128ELi256ELb0ELi10EL8MFMAType0EEvPKT_PKT0_S8_ifPKiSA_SA_iPKfiiiPfSD_PS3_PT2_iSC_SC_
	.globl	_Z39paged_attention_ll4mi_QKV_mfma16_kernelIDF16_hLN4vllm18Fp8KVCacheDataTypeE1EhLi32ELi128ELi256ELb0ELi10EL8MFMAType0EEvPKT_PKT0_S8_ifPKiSA_SA_iPKfiiiPfSD_PS3_PT2_iSC_SC_
	.p2align	8
	.type	_Z39paged_attention_ll4mi_QKV_mfma16_kernelIDF16_hLN4vllm18Fp8KVCacheDataTypeE1EhLi32ELi128ELi256ELb0ELi10EL8MFMAType0EEvPKT_PKT0_S8_ifPKiSA_SA_iPKfiiiPfSD_PS3_PT2_iSC_SC_,@function
_Z39paged_attention_ll4mi_QKV_mfma16_kernelIDF16_hLN4vllm18Fp8KVCacheDataTypeE1EhLi32ELi128ELi256ELb0ELi10EL8MFMAType0EEvPKT_PKT0_S8_ifPKiSA_SA_iPKfiiiPfSD_PS3_PT2_iSC_SC_: ; @_Z39paged_attention_ll4mi_QKV_mfma16_kernelIDF16_hLN4vllm18Fp8KVCacheDataTypeE1EhLi32ELi128ELi256ELb0ELi10EL8MFMAType0EEvPKT_PKT0_S8_ifPKiSA_SA_iPKfiiiPfSD_PS3_PT2_iSC_SC_
; %bb.0:
	s_load_b64 s[4:5], s[0:1], 0x30
	s_mov_b32 s30, s13
	s_waitcnt lgkmcnt(0)
	s_cmp_lg_u64 s[4:5], 0
	s_cselect_b32 s8, -1, 0
	s_ashr_i32 s31, s13, 31
	s_cmp_eq_u64 s[4:5], 0
	s_cbranch_scc1 .LBB1303_3
; %bb.1:
	s_lshl_b64 s[2:3], s[30:31], 2
	s_delay_alu instid0(SALU_CYCLE_1) | instskip(SKIP_4) | instid1(SALU_CYCLE_1)
	s_add_u32 s2, s4, s2
	s_addc_u32 s3, s5, s3
	s_load_b64 s[2:3], s[2:3], 0x0
	s_waitcnt lgkmcnt(0)
	s_sub_i32 s2, s3, s2
	s_cmp_eq_u32 s2, 1
	s_cselect_b32 s2, -1, 0
	s_delay_alu instid0(SALU_CYCLE_1)
	s_and_not1_b32 vcc_lo, exec_lo, s2
	s_cbranch_vccz .LBB1303_4
.LBB1303_2:
	s_endpgm
.LBB1303_3:
.LBB1303_4:
	s_load_b64 s[2:3], s[0:1], 0x28
	s_lshl_b64 s[6:7], s[30:31], 2
	s_waitcnt lgkmcnt(0)
	s_add_u32 s2, s2, s6
	s_addc_u32 s3, s3, s7
	s_lshl_b32 s12, s14, 8
	s_load_b32 s24, s[2:3], 0x0
	s_waitcnt lgkmcnt(0)
	s_cmp_ge_i32 s12, s24
	s_cbranch_scc1 .LBB1303_2
; %bb.5:
	s_clause 0x1
	s_load_b128 s[20:23], s[0:1], 0x8
	s_load_b64 s[2:3], s[0:1], 0x20
	s_and_not1_b32 vcc_lo, exec_lo, s8
	s_cbranch_vccnz .LBB1303_7
; %bb.6:
	s_add_u32 s4, s4, s6
	s_addc_u32 s5, s5, s7
	s_load_b32 s5, s[4:5], 0x0
	s_branch .LBB1303_8
.LBB1303_7:
	s_mov_b32 s5, s30
.LBB1303_8:
	s_load_b128 s[16:19], s[0:1], 0x48
	v_and_b32_e32 v68, 15, v0
	v_lshrrev_b32_e32 v69, 5, v0
	v_and_b32_e32 v70, 31, v0
	v_and_b32_e32 v67, 1, v0
	v_bfe_u32 v66, v0, 4, 1
	v_lshlrev_b32_e32 v1, 3, v68
	s_mul_i32 s31, s15, 10
	s_mov_b32 s4, exec_lo
	s_delay_alu instid0(VALU_DEP_1)
	v_lshlrev_b32_e32 v65, 1, v1
	v_cmpx_gt_u32_e32 0xa0, v0
	s_cbranch_execz .LBB1303_10
; %bb.9:
	s_load_b64 s[6:7], s[0:1], 0x0
	v_lshl_or_b32 v5, v69, 1, v66
	s_waitcnt lgkmcnt(0)
	s_mul_hi_i32 s9, s5, s16
	s_mul_i32 s8, s5, s16
	v_lshlrev_b32_e32 v6, 10, v68
	s_lshl_b64 s[8:9], s[8:9], 1
	v_add_lshl_u32 v1, v5, s31, 7
	v_lshlrev_b32_e32 v5, 6, v5
	v_lshlrev_b32_e32 v7, 10, v67
	v_and_b32_e32 v6, 0x3800, v6
	s_delay_alu instid0(VALU_DEP_4) | instskip(NEXT) | instid1(VALU_DEP_2)
	v_ashrrev_i32_e32 v2, 31, v1
	v_or3_b32 v5, v6, v7, v5
	s_delay_alu instid0(VALU_DEP_2) | instskip(SKIP_2) | instid1(VALU_DEP_1)
	v_lshlrev_b64 v[1:2], 1, v[1:2]
	s_add_u32 s5, s6, s8
	s_addc_u32 s6, s7, s9
	v_add_co_u32 v1, vcc_lo, s5, v1
	s_delay_alu instid0(VALU_DEP_2) | instskip(NEXT) | instid1(VALU_DEP_2)
	v_add_co_ci_u32_e32 v2, vcc_lo, s6, v2, vcc_lo
	v_add_co_u32 v1, vcc_lo, v1, v65
	s_delay_alu instid0(VALU_DEP_2)
	v_add_co_ci_u32_e32 v2, vcc_lo, 0, v2, vcc_lo
	global_load_b128 v[1:4], v[1:2], off
	s_waitcnt vmcnt(0)
	ds_store_b128 v5, v[1:4]
.LBB1303_10:
	s_or_b32 exec_lo, exec_lo, s4
	v_and_b32_e32 v1, 0xef, v0
	s_waitcnt lgkmcnt(0)
	s_add_i32 s5, s24, 31
	s_clause 0x1
	s_load_b32 s4, s[0:1], 0x38
	s_load_b32 s33, s[0:1], 0x98
	s_ashr_i32 s6, s5, 31
	v_add_nc_u32_e32 v1, s12, v1
	s_lshr_b32 s6, s6, 27
	s_load_b32 s19, s[0:1], 0x1c
	s_add_i32 s5, s5, s6
	s_waitcnt lgkmcnt(0)
	v_ashrrev_i32_e32 v2, 31, v1
	v_or_b32_e32 v3, 16, v1
	s_ashr_i32 s13, s5, 5
	v_cmp_gt_i32_e32 vcc_lo, s24, v1
	s_add_i32 s13, s13, -1
	v_lshrrev_b32_e32 v2, 27, v2
	s_barrier
	buffer_gl0_inv
	s_mul_i32 s15, s15, s18
	v_add_nc_u32_e32 v4, v1, v2
	s_mul_i32 s4, s30, s4
	s_delay_alu instid0(SALU_CYCLE_1) | instskip(NEXT) | instid1(VALU_DEP_1)
	s_ashr_i32 s5, s4, 31
	v_ashrrev_i32_e32 v4, 5, v4
	v_add_nc_u32_e32 v2, v3, v2
	s_lshl_b64 s[4:5], s[4:5], 2
	s_delay_alu instid0(SALU_CYCLE_1) | instskip(NEXT) | instid1(VALU_DEP_2)
	s_add_u32 s16, s2, s4
	v_cndmask_b32_e32 v1, s13, v4, vcc_lo
	s_delay_alu instid0(VALU_DEP_2)
	v_ashrrev_i32_e32 v2, 5, v2
	v_cmp_gt_i32_e32 vcc_lo, s24, v3
	s_addc_u32 s25, s3, s5
	s_ashr_i32 s18, s15, 31
	s_add_u32 s2, s20, s15
	s_addc_u32 s3, s21, s18
	v_cndmask_b32_e32 v3, s13, v2, vcc_lo
	v_ashrrev_i32_e32 v2, 31, v1
	s_lshl_b32 s4, s14, 3
	s_delay_alu instid0(SALU_CYCLE_1) | instskip(NEXT) | instid1(VALU_DEP_2)
	s_ashr_i32 s5, s4, 31
	v_ashrrev_i32_e32 v4, 31, v3
	s_delay_alu instid0(VALU_DEP_2) | instskip(SKIP_1) | instid1(SALU_CYCLE_1)
	v_lshlrev_b64 v[1:2], 2, v[1:2]
	s_lshl_b64 s[4:5], s[4:5], 2
	s_add_u32 s4, s16, s4
	s_delay_alu instid0(VALU_DEP_2) | instskip(SKIP_1) | instid1(VALU_DEP_2)
	v_lshlrev_b64 v[3:4], 2, v[3:4]
	s_addc_u32 s5, s25, s5
	v_add_co_u32 v1, vcc_lo, s16, v1
	v_add_co_ci_u32_e32 v2, vcc_lo, s25, v2, vcc_lo
	s_delay_alu instid0(VALU_DEP_3) | instskip(NEXT) | instid1(VALU_DEP_4)
	v_add_co_u32 v3, vcc_lo, s16, v3
	v_add_co_ci_u32_e32 v4, vcc_lo, s25, v4, vcc_lo
	s_clause 0x1
	global_load_b32 v5, v[1:2], off
	global_load_b32 v6, v[3:4], off
	s_or_b32 s6, s12, 32
	s_delay_alu instid0(SALU_CYCLE_1) | instskip(SKIP_2) | instid1(SALU_CYCLE_1)
	s_ashr_i32 s7, s6, 5
	s_cmp_lt_i32 s6, s24
	s_cselect_b32 s6, s7, s13
	s_ashr_i32 s7, s6, 31
	s_delay_alu instid0(SALU_CYCLE_1) | instskip(NEXT) | instid1(SALU_CYCLE_1)
	s_lshl_b64 s[6:7], s[6:7], 2
	s_add_u32 s6, s16, s6
	s_addc_u32 s7, s25, s7
	s_or_b32 s8, s12, 64
	s_delay_alu instid0(SALU_CYCLE_1) | instskip(SKIP_2) | instid1(SALU_CYCLE_1)
	s_ashr_i32 s9, s8, 5
	s_cmp_lt_i32 s8, s24
	s_cselect_b32 s8, s9, s13
	s_ashr_i32 s9, s8, 31
	s_delay_alu instid0(SALU_CYCLE_1) | instskip(NEXT) | instid1(SALU_CYCLE_1)
	s_lshl_b64 s[8:9], s[8:9], 2
	s_add_u32 s8, s16, s8
	s_addc_u32 s9, s25, s9
	;; [unrolled: 10-line block ×5, first 2 shown]
	s_clause 0x5
	s_load_b32 s28, s[4:5], 0x0
	s_load_b32 s29, s[6:7], 0x0
	;; [unrolled: 1-line block ×6, first 2 shown]
	s_mov_b32 s4, 0
	s_delay_alu instid0(SALU_CYCLE_1)
	s_mov_b32 s5, s4
	s_mov_b32 s6, s4
	;; [unrolled: 1-line block ×7, first 2 shown]
	s_delay_alu instid0(SALU_CYCLE_1)
	v_dual_mov_b32 v118, s11 :: v_dual_mov_b32 v117, s10
	v_dual_mov_b32 v116, s9 :: v_dual_mov_b32 v115, s8
	v_mov_b32_e32 v113, s6
	v_dual_mov_b32 v111, s4 :: v_dual_mov_b32 v114, s7
	v_mov_b32_e32 v112, s5
	s_waitcnt vmcnt(1)
	v_mad_i64_i32 v[1:2], null, v5, s17, s[2:3]
	v_lshlrev_b32_e32 v5, 4, v68
	s_waitcnt vmcnt(0)
	v_mad_i64_i32 v[3:4], null, v6, s17, s[2:3]
	s_or_b32 s2, s12, 0xc0
	s_delay_alu instid0(SALU_CYCLE_1) | instskip(NEXT) | instid1(VALU_DEP_3)
	s_ashr_i32 s3, s2, 5
	v_add_co_u32 v1, vcc_lo, v1, v5
	s_delay_alu instid0(VALU_DEP_4) | instskip(NEXT) | instid1(VALU_DEP_3)
	v_add_co_ci_u32_e32 v2, vcc_lo, 0, v2, vcc_lo
	v_add_co_u32 v3, vcc_lo, v3, v5
	s_delay_alu instid0(VALU_DEP_4)
	v_add_co_ci_u32_e32 v4, vcc_lo, 0, v4, vcc_lo
	s_clause 0xf
	global_load_b128 v[17:20], v[1:2], off
	global_load_b128 v[21:24], v[1:2], off offset:512
	global_load_b128 v[25:28], v[3:4], off offset:256
	;; [unrolled: 1-line block ×15, first 2 shown]
	s_cmp_lt_i32 s2, s24
	v_add_nc_u32_e32 v1, -10, v68
	s_cselect_b32 s2, s3, s13
	v_cmp_gt_u32_e32 vcc_lo, 10, v68
	s_ashr_i32 s3, s2, 31
	v_lshlrev_b32_e32 v2, 5, v68
	s_lshl_b64 s[2:3], s[2:3], 2
	s_delay_alu instid0(SALU_CYCLE_1)
	s_add_u32 s2, s16, s2
	s_addc_u32 s3, s25, s3
	s_or_b32 s20, s12, 0xe0
	v_cndmask_b32_e32 v1, v1, v68, vcc_lo
	s_ashr_i32 s21, s20, 5
	s_cmp_lt_i32 s20, s24
	s_cselect_b32 s20, s21, s13
	s_delay_alu instid0(VALU_DEP_1)
	v_lshlrev_b32_e32 v149, 6, v1
	s_ashr_i32 s21, s20, 31
	v_lshl_or_b32 v1, v69, 9, v2
	s_lshl_b64 s[4:5], s[20:21], 2
	ds_load_b128 v[119:122], v149
	ds_load_b128 v[123:126], v149 offset:1024
	s_add_u32 s4, s16, s4
	s_addc_u32 s5, s25, s5
	ds_load_b128 v[127:130], v149 offset:2048
	ds_load_b128 v[131:134], v149 offset:3072
	s_clause 0x1
	s_load_b32 s2, s[2:3], 0x0
	s_load_b32 s3, s[4:5], 0x0
	s_add_u32 s6, s22, s15
	s_addc_u32 s7, s23, s18
	v_add_co_u32 v135, s6, s6, v1
	s_delay_alu instid0(VALU_DEP_1) | instskip(SKIP_1) | instid1(VALU_DEP_1)
	v_add_co_ci_u32_e64 v136, null, s7, 0, s6
	s_waitcnt lgkmcnt(0)
	v_mad_i64_i32 v[1:2], null, s28, s17, v[135:136]
	v_mad_i64_i32 v[3:4], null, s29, s17, v[135:136]
	;; [unrolled: 1-line block ×6, first 2 shown]
	s_clause 0x9
	global_load_b128 v[49:52], v[1:2], off
	global_load_b128 v[53:56], v[1:2], off offset:16
	global_load_b128 v[41:44], v[3:4], off
	global_load_b128 v[45:48], v[3:4], off offset:16
	;; [unrolled: 2-line block ×5, first 2 shown]
	v_mad_i64_i32 v[145:146], null, s2, s17, v[135:136]
	v_mad_i64_i32 v[147:148], null, s3, s17, v[135:136]
	s_waitcnt vmcnt(24)
	v_wmma_f32_16x16x16_f16 v[135:142], v[17:24], v[119:126], v[111:118]
	s_waitcnt vmcnt(22)
	v_wmma_f32_16x16x16_f16 v[111:118], v[25:32], v[119:126], v[111:118]
	s_clause 0x3
	global_load_b128 v[17:20], v[143:144], off
	global_load_b128 v[21:24], v[143:144], off offset:16
	global_load_b128 v[25:28], v[145:146], off
	global_load_b128 v[29:32], v[145:146], off offset:16
	v_and_b32_e32 v119, 0xe0, v0
	s_waitcnt vmcnt(24)
	v_wmma_f32_16x16x16_f16 v[135:142], v[57:64], v[127:134], v[135:142]
	s_clause 0x1
	global_load_b128 v[57:60], v[147:148], off
	global_load_b128 v[61:64], v[147:148], off offset:16
	s_waitcnt vmcnt(24)
	v_wmma_f32_16x16x16_f16 v[111:118], v[71:78], v[127:134], v[111:118]
	ds_load_b128 v[71:74], v149 offset:4096
	ds_load_b128 v[75:78], v149 offset:5120
	v_add_nc_u32_e32 v128, s12, v119
	ds_load_b128 v[119:122], v149 offset:6144
	ds_load_b128 v[123:126], v149 offset:7168
	v_mbcnt_lo_u32_b32 v127, -1, 0
	s_waitcnt vmcnt(0) lgkmcnt(0)
	s_barrier
	v_or_b32_e32 v128, v128, v66
	buffer_gl0_inv
	v_xor_b32_e32 v129, 16, v127
	v_or_b32_e32 v130, 4, v128
	v_or_b32_e32 v131, 6, v128
	s_delay_alu instid0(VALU_DEP_3) | instskip(SKIP_4) | instid1(VALU_DEP_4)
	v_cmp_gt_i32_e32 vcc_lo, 32, v129
	v_or_b32_e32 v132, 8, v128
	v_or_b32_e32 v133, 10, v128
	v_cmp_gt_i32_e64 s3, s24, v130
	v_cmp_gt_i32_e64 s4, s24, v131
	;; [unrolled: 1-line block ×3, first 2 shown]
	v_wmma_f32_16x16x16_f16 v[135:142], v[79:86], v[71:78], v[135:142]
	v_wmma_f32_16x16x16_f16 v[111:118], v[87:94], v[71:78], v[111:118]
	v_or_b32_e32 v79, 12, v128
	v_or_b32_e32 v80, 14, v128
	v_cmp_gt_i32_e64 s6, s24, v133
	v_wmma_f32_16x16x16_f16 v[135:142], v[95:102], v[119:126], v[135:142]
	v_wmma_f32_16x16x16_f16 v[111:118], v[103:110], v[119:126], v[111:118]
	v_cndmask_b32_e32 v127, v127, v129, vcc_lo
	v_or_b32_e32 v129, 2, v128
	v_cmp_gt_i32_e32 vcc_lo, s24, v128
	s_delay_alu instid0(VALU_DEP_4) | instskip(SKIP_1) | instid1(VALU_DEP_4)
	v_dual_mul_f32 v87, s19, v136 :: v_dual_mul_f32 v94, s19, v113
	v_mul_f32_e32 v88, s19, v135
	v_cmp_gt_i32_e64 s2, s24, v129
	v_mul_f32_e32 v78, s19, v138
	v_mul_f32_e32 v86, s19, v137
	;; [unrolled: 1-line block ×3, first 2 shown]
	v_cndmask_b32_e32 v88, 0xff7fffff, v88, vcc_lo
	v_cndmask_b32_e64 v87, 0xff7fffff, v87, s2
	v_dual_mul_f32 v77, s19, v139 :: v_dual_mul_f32 v90, s19, v117
	v_cndmask_b32_e64 v86, 0xff7fffff, v86, s3
	v_cndmask_b32_e64 v78, 0xff7fffff, v78, s4
	s_delay_alu instid0(VALU_DEP_4)
	v_max3_f32 v87, v88, 0xff7fffff, v87
	v_or_b32_e32 v81, 16, v128
	v_or_b32_e32 v82, 18, v128
	v_dual_mul_f32 v74, s19, v142 :: v_dual_mul_f32 v75, s19, v141
	v_mul_f32_e32 v96, s19, v111
	v_cndmask_b32_e64 v77, 0xff7fffff, v77, s5
	v_cndmask_b32_e64 v76, 0xff7fffff, v76, s6
	v_max3_f32 v78, v87, v86, v78
	v_cmp_gt_i32_e64 s7, s24, v79
	v_cmp_gt_i32_e64 s8, s24, v80
	v_or_b32_e32 v83, 20, v128
	v_or_b32_e32 v84, 22, v128
	v_mul_f32_e32 v95, s19, v112
	v_cndmask_b32_e64 v75, 0xff7fffff, v75, s7
	v_cndmask_b32_e64 v74, 0xff7fffff, v74, s8
	v_max3_f32 v76, v78, v77, v76
	v_cmp_gt_i32_e64 s9, s24, v81
	v_cmp_gt_i32_e64 s10, s24, v82
	v_or_b32_e32 v85, 24, v128
	v_or_b32_e32 v71, 26, v128
	;; [unrolled: 8-line block ×3, first 2 shown]
	v_dual_mul_f32 v91, s19, v116 :: v_dual_mul_f32 v92, s19, v115
	v_cndmask_b32_e64 v75, 0xff7fffff, v94, s11
	v_cndmask_b32_e64 v76, 0xff7fffff, v93, s12
	v_max3_f32 v74, v74, v77, v78
	v_cmp_gt_i32_e64 s13, s24, v85
	v_cmp_gt_i32_e64 s15, s24, v71
	v_mul_f32_e32 v89, s19, v118
	v_cmp_gt_i32_e64 s16, s24, v72
	v_max3_f32 v74, v74, v75, v76
	v_cndmask_b32_e64 v77, 0xff7fffff, v92, s13
	v_cndmask_b32_e64 v71, 0xff7fffff, v91, s15
	v_cmp_gt_i32_e64 s17, s24, v73
	v_cndmask_b32_e64 v72, 0xff7fffff, v90, s16
	s_delay_alu instid0(VALU_DEP_3) | instskip(SKIP_1) | instid1(VALU_DEP_4)
	v_max3_f32 v71, v74, v77, v71
	v_lshlrev_b32_e32 v74, 2, v127
	v_cndmask_b32_e64 v73, 0xff7fffff, v89, s17
	s_delay_alu instid0(VALU_DEP_1) | instskip(SKIP_3) | instid1(VALU_DEP_1)
	v_max3_f32 v71, v71, v72, v73
	ds_bpermute_b32 v72, v74, v71
	s_waitcnt lgkmcnt(0)
	v_max_f32_e32 v72, v72, v72
	v_max_f32_e32 v71, v71, v72
	s_delay_alu instid0(VALU_DEP_1) | instskip(SKIP_4) | instid1(VALU_DEP_4)
	v_fma_f32 v72, s19, v135, -v71
	v_fma_f32 v73, s19, v136, -v71
	;; [unrolled: 1-line block ×5, first 2 shown]
	v_dual_mul_f32 v72, 0x3fb8aa3b, v72 :: v_dual_mul_f32 v73, 0x3fb8aa3b, v73
	s_delay_alu instid0(VALU_DEP_3) | instskip(SKIP_1) | instid1(VALU_DEP_3)
	v_dual_mul_f32 v75, 0x3fb8aa3b, v75 :: v_dual_mul_f32 v76, 0x3fb8aa3b, v76
	v_fma_f32 v80, s19, v141, -v71
	v_exp_f32_e32 v72, v72
	s_delay_alu instid0(VALU_DEP_3) | instskip(NEXT) | instid1(VALU_DEP_2)
	v_exp_f32_e32 v73, v73
	v_exp_f32_e32 v75, v75
	;; [unrolled: 1-line block ×3, first 2 shown]
	v_mul_f32_e32 v82, 0x3fb8aa3b, v80
	s_delay_alu instid0(VALU_DEP_1) | instskip(SKIP_4) | instid1(TRANS32_DEP_3)
	v_exp_f32_e32 v84, v82
	v_cndmask_b32_e32 v79, 0, v72, vcc_lo
	v_fma_f32 v72, s19, v140, -v71
	v_mul_f32_e32 v77, 0x3fb8aa3b, v77
	v_cndmask_b32_e64 v78, 0, v73, s2
	v_cndmask_b32_e64 v81, 0, v75, s3
	s_delay_alu instid0(VALU_DEP_4) | instskip(NEXT) | instid1(VALU_DEP_4)
	v_dual_add_f32 v73, 0, v79 :: v_dual_mul_f32 v72, 0x3fb8aa3b, v72
	v_exp_f32_e32 v77, v77
	v_cndmask_b32_e64 v80, 0, v76, s4
	s_delay_alu instid0(TRANS32_DEP_2) | instskip(NEXT) | instid1(VALU_DEP_3)
	v_cndmask_b32_e64 v85, 0, v84, s7
	v_add_f32_e32 v73, v73, v78
	v_exp_f32_e32 v72, v72
	s_mov_b32 s2, exec_lo
	s_delay_alu instid0(VALU_DEP_1) | instskip(SKIP_4) | instid1(VALU_DEP_2)
	v_add_f32_e32 v73, v73, v81
	s_waitcnt_depctr 0xfff
	v_cndmask_b32_e64 v83, 0, v77, s5
	v_add_f32_e32 v73, v73, v80
	v_cndmask_b32_e64 v82, 0, v72, s6
	v_add_f32_e32 v72, v73, v83
	s_delay_alu instid0(VALU_DEP_1) | instskip(NEXT) | instid1(VALU_DEP_1)
	v_add_f32_e32 v72, v72, v82
	v_add_f32_e32 v72, v72, v85
	v_fma_f32 v76, s19, v111, -v71
	v_fma_f32 v75, s19, v142, -v71
	;; [unrolled: 1-line block ×5, first 2 shown]
	s_delay_alu instid0(VALU_DEP_4) | instskip(NEXT) | instid1(VALU_DEP_3)
	v_dual_mul_f32 v76, 0x3fb8aa3b, v76 :: v_dual_mul_f32 v75, 0x3fb8aa3b, v75
	v_mul_f32_e32 v86, 0x3fb8aa3b, v86
	s_delay_alu instid0(VALU_DEP_2) | instskip(NEXT) | instid1(VALU_DEP_2)
	v_exp_f32_e32 v76, v76
	v_exp_f32_e32 v75, v75
	s_delay_alu instid0(VALU_DEP_1) | instskip(NEXT) | instid1(TRANS32_DEP_3)
	v_exp_f32_e32 v88, v86
	v_cndmask_b32_e64 v87, 0, v76, s9
	v_fma_f32 v76, s19, v116, -v71
	v_mul_f32_e32 v77, 0x3fb8aa3b, v77
	s_waitcnt_depctr 0xfff
	v_cndmask_b32_e64 v84, 0, v75, s8
	v_fma_f32 v75, s19, v115, -v71
	v_cndmask_b32_e64 v88, 0, v88, s12
	v_mul_f32_e32 v76, 0x3fb8aa3b, v76
	v_exp_f32_e32 v77, v77
	v_add_f32_e32 v72, v72, v84
	s_delay_alu instid0(VALU_DEP_2) | instskip(NEXT) | instid1(VALU_DEP_1)
	v_exp_f32_e32 v76, v76
	v_add_f32_e32 v72, v72, v87
	s_waitcnt_depctr 0xfff
	v_cndmask_b32_e64 v86, 0, v77, s10
	v_mul_f32_e32 v73, 0x3fb8aa3b, v73
	v_fma_f32 v77, s19, v117, -v71
	v_cndmask_b32_e64 v90, 0, v76, s15
	s_delay_alu instid0(VALU_DEP_4) | instskip(NEXT) | instid1(VALU_DEP_4)
	v_add_f32_e32 v72, v72, v86
	v_exp_f32_e32 v73, v73
	s_waitcnt_depctr 0xfff
	v_cndmask_b32_e64 v89, 0, v73, s11
	s_delay_alu instid0(VALU_DEP_1) | instskip(NEXT) | instid1(VALU_DEP_1)
	v_dual_mul_f32 v75, 0x3fb8aa3b, v75 :: v_dual_add_f32 v72, v72, v89
	v_exp_f32_e32 v75, v75
	v_mul_f32_e32 v73, 0x3fb8aa3b, v77
	v_fma_f32 v77, s19, v118, -v71
	s_delay_alu instid0(VALU_DEP_3) | instskip(NEXT) | instid1(VALU_DEP_3)
	v_add_f32_e32 v72, v72, v88
	v_exp_f32_e32 v73, v73
	s_waitcnt_depctr 0xfff
	v_cndmask_b32_e64 v91, 0, v75, s13
	s_delay_alu instid0(VALU_DEP_1) | instskip(NEXT) | instid1(VALU_DEP_1)
	v_dual_mul_f32 v75, 0x3fb8aa3b, v77 :: v_dual_add_f32 v72, v72, v91
	v_exp_f32_e32 v75, v75
	v_cndmask_b32_e64 v93, 0, v73, s16
	s_delay_alu instid0(VALU_DEP_2) | instskip(NEXT) | instid1(VALU_DEP_1)
	v_add_f32_e32 v72, v72, v90
	v_add_f32_e32 v72, v72, v93
	s_waitcnt_depctr 0xfff
	v_cndmask_b32_e64 v92, 0, v75, s17
	s_delay_alu instid0(VALU_DEP_1)
	v_add_f32_e32 v72, v72, v92
	ds_bpermute_b32 v73, v74, v72
	v_cmpx_gt_u32_e32 16, v70
	s_cbranch_execz .LBB1303_12
; %bb.11:
	v_mul_u32_u24_e32 v70, 0x44, v69
	s_waitcnt lgkmcnt(0)
	v_add_f32_e32 v72, v72, v73
	s_delay_alu instid0(VALU_DEP_2) | instskip(NEXT) | instid1(VALU_DEP_1)
	v_lshl_add_u32 v70, v68, 2, v70
	v_add_nc_u32_e32 v70, 0x4000, v70
	ds_store_2addr_b32 v70, v71, v72 offset1:136
.LBB1303_12:
	s_or_b32 exec_lo, exec_lo, s2
	v_lshlrev_b32_e32 v70, 2, v68
	s_load_b32 s34, s[0:1], 0x94
	s_waitcnt lgkmcnt(0)
	s_barrier
	buffer_gl0_inv
	v_add_nc_u32_e32 v98, 0x4000, v70
	v_cmp_eq_u32_e32 vcc_lo, 1, v69
	v_cmp_eq_u32_e64 s2, 2, v69
	v_cmp_eq_u32_e64 s3, 3, v69
	;; [unrolled: 1-line block ×3, first 2 shown]
	ds_load_2addr_b32 v[70:71], v98 offset1:17
	ds_load_2addr_b32 v[72:73], v98 offset0:34 offset1:51
	ds_load_2addr_b32 v[74:75], v98 offset0:68 offset1:85
	;; [unrolled: 1-line block ×3, first 2 shown]
	v_cmp_eq_u32_e64 s5, 5, v69
	v_cmp_eq_u32_e64 s6, 7, v69
	s_waitcnt lgkmcnt(3)
	v_max3_f32 v76, v70, 0xff7fffff, v71
	s_waitcnt lgkmcnt(2)
	s_delay_alu instid0(VALU_DEP_1) | instskip(SKIP_1) | instid1(VALU_DEP_1)
	v_max3_f32 v76, v76, v72, v73
	s_waitcnt lgkmcnt(1)
	v_max3_f32 v76, v76, v74, v75
	s_waitcnt lgkmcnt(0)
	s_delay_alu instid0(VALU_DEP_1) | instskip(NEXT) | instid1(VALU_DEP_1)
	v_max3_f32 v76, v76, v94, v95
	v_sub_f32_e32 v77, v71, v76
	ds_load_2addr_b32 v[96:97], v98 offset0:136 offset1:153
	v_sub_f32_e32 v74, v74, v76
	v_sub_f32_e32 v70, v70, v76
	v_sub_f32_e32 v94, v94, v76
	v_dual_sub_f32 v72, v72, v76 :: v_dual_mul_f32 v77, 0x3fb8aa3b, v77
	s_delay_alu instid0(VALU_DEP_4) | instskip(NEXT) | instid1(VALU_DEP_4)
	v_mul_f32_e32 v103, 0x3fb8aa3b, v74
	v_mul_f32_e32 v99, 0x3fb8aa3b, v70
	ds_load_2addr_b32 v[70:71], v98 offset0:170 offset1:187
	v_dual_mul_f32 v101, 0x3fb8aa3b, v72 :: v_dual_mul_f32 v94, 0x3fb8aa3b, v94
	v_exp_f32_e32 v102, v77
	v_exp_f32_e32 v99, v99
	s_delay_alu instid0(VALU_DEP_1) | instskip(NEXT) | instid1(VALU_DEP_1)
	v_exp_f32_e32 v101, v101
	v_exp_f32_e32 v94, v94
	s_waitcnt lgkmcnt(1)
	s_delay_alu instid0(TRANS32_DEP_3)
	v_fma_f32 v77, v99, v96, 0
	v_sub_f32_e32 v100, v73, v76
	ds_load_2addr_b32 v[72:73], v98 offset0:204 offset1:221
	v_fmac_f32_e32 v77, v102, v97
	v_exp_f32_e32 v97, v103
	s_waitcnt lgkmcnt(1)
	s_delay_alu instid0(VALU_DEP_1)
	v_dual_fmac_f32 v77, v101, v70 :: v_dual_sub_f32 v96, v75, v76
	ds_load_2addr_b32 v[74:75], v98 offset0:238 offset1:255
	v_sub_f32_e32 v70, v95, v76
	s_waitcnt lgkmcnt(0)
	s_barrier
	v_mul_f32_e32 v96, 0x3fb8aa3b, v96
	buffer_gl0_inv
	v_exp_f32_e32 v95, v96
	v_mul_f32_e32 v100, 0x3fb8aa3b, v100
	s_delay_alu instid0(VALU_DEP_1) | instskip(SKIP_3) | instid1(VALU_DEP_2)
	v_exp_f32_e32 v100, v100
	s_waitcnt_depctr 0xfff
	v_dual_fmac_f32 v77, v100, v71 :: v_dual_mul_f32 v70, 0x3fb8aa3b, v70
	v_cndmask_b32_e32 v71, v99, v102, vcc_lo
	v_fmac_f32_e32 v77, v97, v72
	s_delay_alu instid0(VALU_DEP_3) | instskip(NEXT) | instid1(VALU_DEP_1)
	v_exp_f32_e32 v96, v70
	v_fmac_f32_e32 v77, v95, v73
	s_delay_alu instid0(VALU_DEP_1) | instskip(SKIP_2) | instid1(VALU_DEP_1)
	v_fmac_f32_e32 v77, v94, v74
	s_waitcnt_depctr 0xfff
	v_fmac_f32_e32 v77, v96, v75
	v_add_f32_e32 v74, 0x358637bd, v77
	s_delay_alu instid0(VALU_DEP_1) | instskip(SKIP_1) | instid1(VALU_DEP_2)
	v_div_scale_f32 v98, null, v74, v74, 1.0
	v_div_scale_f32 v99, vcc_lo, 1.0, v74, 1.0
	v_rcp_f32_e32 v103, v98
	s_waitcnt_depctr 0xfff
	v_fma_f32 v70, -v98, v103, 1.0
	s_delay_alu instid0(VALU_DEP_1) | instskip(SKIP_2) | instid1(VALU_DEP_2)
	v_fmac_f32_e32 v103, v70, v103
	v_cndmask_b32_e64 v70, v71, v101, s2
	v_cmp_eq_u32_e64 s2, 6, v69
	v_cndmask_b32_e64 v71, v70, v100, s3
	s_delay_alu instid0(VALU_DEP_4) | instskip(NEXT) | instid1(VALU_DEP_2)
	v_dual_mul_f32 v101, v99, v103 :: v_dual_lshlrev_b32 v70, 2, v66
	v_cndmask_b32_e64 v71, v71, v97, s4
	s_delay_alu instid0(VALU_DEP_2) | instskip(NEXT) | instid1(VALU_DEP_3)
	v_or_b32_e32 v72, 1, v70
	v_fma_f32 v100, -v98, v101, v99
	v_cmp_eq_u32_e64 s3, 1, v70
	v_cmp_eq_u32_e64 s4, 2, v70
	v_cndmask_b32_e64 v95, v71, v95, s5
	v_or_b32_e32 v71, 3, v70
	v_fmac_f32_e32 v101, v100, v103
	v_cmp_eq_u32_e64 s8, 1, v72
	v_cmp_eq_u32_e64 s11, 2, v72
	v_cndmask_b32_e64 v94, v95, v94, s2
	v_cmp_eq_u32_e64 s10, 1, v71
	v_fma_f32 v97, -v98, v101, v99
	v_cmp_eq_u32_e64 s15, 2, v71
	v_cmp_eq_u32_e64 s12, 3, v72
	v_cndmask_b32_e64 v94, v94, v96, s6
	v_cmp_eq_u32_e64 s17, 3, v71
	v_div_fmas_f32 v95, v97, v103, v101
	v_cmp_eq_u32_e32 vcc_lo, 3, v70
	v_cmp_eq_u32_e64 s2, 4, v70
	v_cmp_eq_u32_e64 s18, 4, v72
	;; [unrolled: 1-line block ×3, first 2 shown]
	v_div_fixup_f32 v95, v95, v74, 1.0
	v_lshlrev_b32_e32 v73, 6, v68
	v_cmp_eq_u32_e64 s5, 5, v70
	v_cmp_eq_u32_e64 s19, 5, v72
	v_cmp_eq_u32_e64 s23, 5, v71
	v_mul_f32_e32 v102, v94, v95
	v_lshl_or_b32 v75, v69, 11, v73
	v_or_b32_e32 v69, 2, v70
	v_cmp_eq_u32_e64 s24, 6, v72
	v_cmp_eq_u32_e64 s26, 6, v71
	v_fma_mixlo_f16 v94, v102, v79, 0
	v_fma_mixlo_f16 v95, v102, v81, 0
	;; [unrolled: 1-line block ×8, first 2 shown]
	v_lshl_or_b32 v74, v66, 4, v75
	v_fma_mixhi_f16 v94, v102, v78, 0
	v_fma_mixhi_f16 v95, v102, v80, 0
	;; [unrolled: 1-line block ×8, first 2 shown]
	ds_store_b128 v74, v[94:97]
	ds_store_b128 v74, v[98:101] offset:1024
	s_waitcnt lgkmcnt(0)
	s_barrier
	buffer_gl0_inv
	ds_load_b128 v[78:81], v75
	ds_load_b128 v[82:85], v75 offset:16
	ds_load_b128 v[86:89], v75 offset:1024
	;; [unrolled: 1-line block ×3, first 2 shown]
	v_cmp_eq_u32_e64 s9, 1, v69
	v_cmp_eq_u32_e64 s13, 2, v69
	;; [unrolled: 1-line block ×11, first 2 shown]
	s_waitcnt lgkmcnt(3)
	v_lshrrev_b32_e32 v94, 16, v78
	s_waitcnt lgkmcnt(2)
	v_lshrrev_b32_e32 v98, 16, v82
	;; [unrolled: 2-line block ×4, first 2 shown]
	v_lshrrev_b32_e32 v95, 16, v79
	v_cndmask_b32_e64 v110, v78, v94, s3
	v_cndmask_b32_e64 v111, v82, v98, s3
	;; [unrolled: 1-line block ×8, first 2 shown]
	v_lshrrev_b32_e32 v99, 16, v83
	v_cndmask_b32_e64 v94, v86, v102, s3
	v_cndmask_b32_e64 v98, v90, v106, s3
	;; [unrolled: 1-line block ×15, first 2 shown]
	v_lshrrev_b32_e32 v103, 16, v87
	v_lshrrev_b32_e32 v107, 16, v91
	v_cndmask_b32_e64 v113, v115, v83, s13
	v_cndmask_b32_e64 v82, v94, v87, s4
	;; [unrolled: 1-line block ×7, first 2 shown]
	v_cndmask_b32_e32 v90, v102, v95, vcc_lo
	v_cndmask_b32_e32 v102, v106, v99, vcc_lo
	v_cndmask_b32_e64 v106, v110, v95, s12
	v_cndmask_b32_e64 v110, v111, v99, s12
	;; [unrolled: 1-line block ×4, first 2 shown]
	v_lshrrev_b32_e32 v96, 16, v80
	v_lshrrev_b32_e32 v100, 16, v84
	v_cndmask_b32_e64 v111, v112, v95, s16
	v_cndmask_b32_e64 v112, v113, v99, s16
	v_cndmask_b32_e32 v82, v82, v103, vcc_lo
	v_cndmask_b32_e32 v83, v83, v107, vcc_lo
	v_cndmask_b32_e64 v94, v94, v103, s12
	v_cndmask_b32_e64 v90, v90, v80, s2
	;; [unrolled: 1-line block ×7, first 2 shown]
	v_lshrrev_b32_e32 v104, 16, v88
	v_cndmask_b32_e64 v106, v111, v80, s20
	v_cndmask_b32_e64 v110, v112, v84, s20
	;; [unrolled: 1-line block ×11, first 2 shown]
	v_lshrrev_b32_e32 v97, 16, v81
	v_lshrrev_b32_e32 v101, 16, v85
	v_cndmask_b32_e64 v99, v106, v96, s22
	v_cndmask_b32_e64 v102, v110, v100, s22
	;; [unrolled: 1-line block ×7, first 2 shown]
	v_lshrrev_b32_e32 v105, 16, v89
	v_cndmask_b32_e64 v80, v80, v104, s5
	v_cndmask_b32_e64 v84, v84, v81, s6
	;; [unrolled: 1-line block ×16, first 2 shown]
	v_perm_b32 v81, v79, v78, 0x5040100
	v_perm_b32 v79, v95, v85, 0x5040100
	v_cndmask_b32_e64 v78, v119, v91, s13
	v_cndmask_b32_e64 v85, v117, v91, s11
	;; [unrolled: 1-line block ×3, first 2 shown]
	v_perm_b32 v80, v94, v90, 0x5040100
	v_cndmask_b32_e64 v90, v98, v103, s16
	v_cndmask_b32_e64 v86, v86, v103, s17
	;; [unrolled: 1-line block ×5, first 2 shown]
	v_lshrrev_b32_e32 v108, 16, v92
	v_cndmask_b32_e64 v90, v90, v88, s20
	v_cndmask_b32_e64 v86, v86, v88, s21
	;; [unrolled: 1-line block ×11, first 2 shown]
	v_lshrrev_b32_e32 v109, 16, v93
	v_cndmask_b32_e64 v82, v82, v93, s6
	v_cndmask_b32_e64 v88, v88, v89, s25
	;; [unrolled: 1-line block ×12, first 2 shown]
	v_perm_b32 v78, v84, v83, 0x5040100
	v_perm_b32 v85, v87, v86, 0x5040100
	;; [unrolled: 1-line block ×5, first 2 shown]
	s_mul_i32 s7, s33, 10
	s_mov_b32 s2, exec_lo
	ds_store_b128 v74, v[78:81]
	ds_store_b128 v74, v[82:85] offset:1024
	v_cmpx_gt_u32_e32 10, v0
	s_cbranch_execz .LBB1303_14
; %bb.13:
	s_mul_i32 s3, s7, s30
	s_load_b128 s[8:11], s[0:1], 0x58
	v_add3_u32 v68, s3, s31, v68
	s_delay_alu instid0(VALU_DEP_1) | instskip(NEXT) | instid1(VALU_DEP_1)
	v_mad_u64_u32 v[78:79], null, v68, s34, s[14:15]
	v_ashrrev_i32_e32 v79, 31, v78
	s_delay_alu instid0(VALU_DEP_1) | instskip(SKIP_1) | instid1(VALU_DEP_1)
	v_lshlrev_b64 v[78:79], 2, v[78:79]
	s_waitcnt lgkmcnt(0)
	v_add_co_u32 v80, vcc_lo, s10, v78
	s_delay_alu instid0(VALU_DEP_2)
	v_add_co_ci_u32_e32 v81, vcc_lo, s11, v79, vcc_lo
	v_add_co_u32 v78, vcc_lo, s8, v78
	v_add_co_ci_u32_e32 v79, vcc_lo, s9, v79, vcc_lo
	global_store_b32 v[80:81], v76, off
	global_store_b32 v[78:79], v77, off
.LBB1303_14:
	s_or_b32 exec_lo, exec_lo, s2
	s_waitcnt lgkmcnt(0)
	s_waitcnt_vscnt null, 0x0
	s_barrier
	buffer_gl0_inv
	ds_load_b128 v[84:87], v73
	ds_load_b128 v[88:91], v73 offset:16
	ds_load_b128 v[96:99], v73 offset:2064
	;; [unrolled: 1-line block ×5, first 2 shown]
	v_cmp_eq_u32_e32 vcc_lo, 1, v70
	v_mov_b32_e32 v76, 0
	ds_load_b128 v[112:115], v73 offset:6160
	ds_load_b128 v[108:111], v73 offset:6144
	ds_load_b128 v[120:123], v73 offset:8208
	ds_load_b128 v[116:119], v73 offset:8192
	v_cmp_eq_u32_e64 s3, 1, v69
	v_cmp_eq_u32_e64 s2, 1, v72
	;; [unrolled: 1-line block ×3, first 2 shown]
	v_mov_b32_e32 v77, v76
	v_mov_b32_e32 v78, v76
	;; [unrolled: 1-line block ×7, first 2 shown]
	v_cmp_eq_u32_e64 s5, 3, v72
	v_cmp_eq_u32_e64 s6, 7, v72
	s_waitcnt lgkmcnt(8)
	s_delay_alu instid0(VALU_DEP_3)
	v_wmma_f32_16x16x16_f16 v[76:83], v[49:56], v[84:91], v[76:83]
	ds_load_b128 v[53:56], v73 offset:10256
	ds_load_b128 v[49:52], v73 offset:10240
	s_waitcnt lgkmcnt(8)
	v_wmma_f32_16x16x16_f16 v[76:83], v[41:48], v[92:99], v[76:83]
	ds_load_b128 v[45:48], v73 offset:12304
	ds_load_b128 v[41:44], v73 offset:12288
	s_waitcnt lgkmcnt(8)
	v_wmma_f32_16x16x16_f16 v[76:83], v[33:40], v[100:107], v[76:83]
	ds_load_b128 v[37:40], v73 offset:14352
	ds_load_b128 v[33:36], v73 offset:14336
	s_waitcnt lgkmcnt(0)
	s_barrier
	buffer_gl0_inv
	v_wmma_f32_16x16x16_f16 v[76:83], v[1:8], v[108:115], v[76:83]
	s_delay_alu instid0(VALU_DEP_1) | instskip(NEXT) | instid1(VALU_DEP_1)
	v_wmma_f32_16x16x16_f16 v[76:83], v[9:16], v[116:123], v[76:83]
	v_wmma_f32_16x16x16_f16 v[76:83], v[17:24], v[49:56], v[76:83]
	s_delay_alu instid0(VALU_DEP_1) | instskip(NEXT) | instid1(VALU_DEP_1)
	v_wmma_f32_16x16x16_f16 v[76:83], v[25:32], v[41:48], v[76:83]
	v_wmma_f32_16x16x16_f16 v[76:83], v[57:64], v[33:40], v[76:83]
	s_delay_alu instid0(VALU_DEP_1) | instskip(NEXT) | instid1(VALU_DEP_2)
	v_cvt_f16_f32_e32 v1, v76
	v_cvt_f16_f32_e32 v2, v77
	s_delay_alu instid0(VALU_DEP_3) | instskip(NEXT) | instid1(VALU_DEP_4)
	v_cvt_f16_f32_e32 v3, v78
	v_cvt_f16_f32_e32 v4, v79
	v_cvt_f16_f32_e32 v5, v80
	v_cvt_f16_f32_e32 v6, v81
	v_cvt_f16_f32_e32 v7, v82
	v_cvt_f16_f32_e32 v8, v83
	v_pack_b32_f16 v1, v1, v2
	v_pack_b32_f16 v2, v3, v4
	;; [unrolled: 1-line block ×3, first 2 shown]
	s_delay_alu instid0(VALU_DEP_4)
	v_pack_b32_f16 v4, v7, v8
	ds_store_b128 v74, v[1:4]
	s_waitcnt lgkmcnt(0)
	s_barrier
	buffer_gl0_inv
	ds_load_b128 v[1:4], v75
	ds_load_b128 v[5:8], v75 offset:16
	s_waitcnt lgkmcnt(1)
	v_lshrrev_b32_e32 v9, 16, v1
	s_waitcnt lgkmcnt(0)
	v_lshrrev_b32_e32 v13, 16, v5
	v_lshrrev_b32_e32 v10, 16, v2
	;; [unrolled: 1-line block ×4, first 2 shown]
	v_cndmask_b32_e32 v17, v1, v9, vcc_lo
	v_cndmask_b32_e32 v18, v5, v13, vcc_lo
	v_cndmask_b32_e64 v21, v1, v9, s3
	v_cmp_eq_u32_e32 vcc_lo, 1, v71
	v_cndmask_b32_e64 v22, v5, v13, s3
	v_cmp_eq_u32_e64 s3, 2, v70
	v_cndmask_b32_e64 v19, v1, v9, s2
	v_cndmask_b32_e64 v20, v5, v13, s2
	v_cndmask_b32_e32 v1, v1, v9, vcc_lo
	v_cmp_eq_u32_e64 s2, 2, v71
	v_cndmask_b32_e32 v5, v5, v13, vcc_lo
	v_cndmask_b32_e64 v9, v17, v2, s3
	v_cmp_eq_u32_e32 vcc_lo, 3, v70
	v_cndmask_b32_e64 v13, v18, v6, s3
	v_cmp_eq_u32_e64 s3, 2, v69
	v_cndmask_b32_e64 v17, v19, v2, s4
	v_cndmask_b32_e64 v18, v20, v6, s4
	v_cmp_eq_u32_e64 s4, 3, v69
	v_cndmask_b32_e64 v1, v1, v2, s2
	v_cndmask_b32_e64 v19, v21, v2, s3
	;; [unrolled: 1-line block ×4, first 2 shown]
	v_cndmask_b32_e32 v5, v9, v10, vcc_lo
	v_cndmask_b32_e32 v6, v13, v14, vcc_lo
	v_cmp_eq_u32_e32 vcc_lo, 3, v71
	v_cndmask_b32_e64 v9, v17, v10, s5
	v_cndmask_b32_e64 v13, v18, v14, s5
	;; [unrolled: 1-line block ×3, first 2 shown]
	v_cmp_eq_u32_e64 s3, 4, v70
	v_cndmask_b32_e32 v1, v1, v10, vcc_lo
	v_cndmask_b32_e32 v2, v2, v14, vcc_lo
	v_cmp_eq_u32_e32 vcc_lo, 4, v72
	v_lshrrev_b32_e32 v15, 16, v7
	v_lshrrev_b32_e32 v16, 16, v8
	v_cndmask_b32_e64 v17, v19, v10, s4
	v_cmp_eq_u32_e64 s2, 4, v71
	v_cndmask_b32_e64 v5, v5, v3, s3
	v_cndmask_b32_e64 v6, v6, v7, s3
	v_cndmask_b32_e32 v9, v9, v3, vcc_lo
	v_cmp_eq_u32_e64 s3, 5, v72
	v_cndmask_b32_e32 v10, v13, v7, vcc_lo
	v_cmp_eq_u32_e32 vcc_lo, 4, v69
	v_cmp_eq_u32_e64 s4, 5, v70
	v_cndmask_b32_e64 v2, v2, v7, s2
	v_cndmask_b32_e64 v9, v9, v11, s3
	;; [unrolled: 1-line block ×3, first 2 shown]
	v_cndmask_b32_e32 v13, v17, v3, vcc_lo
	v_cmp_eq_u32_e64 s3, 5, v69
	v_cndmask_b32_e32 v14, v18, v7, vcc_lo
	v_cndmask_b32_e64 v1, v1, v3, s2
	v_cmp_eq_u32_e32 vcc_lo, 5, v71
	v_lshrrev_b32_e32 v12, 16, v4
	v_cndmask_b32_e64 v13, v13, v11, s3
	v_cndmask_b32_e64 v3, v14, v15, s3
	v_cmp_eq_u32_e64 s3, 6, v71
	v_cndmask_b32_e32 v1, v1, v11, vcc_lo
	v_cndmask_b32_e64 v5, v5, v11, s4
	v_cmp_eq_u32_e64 s5, 6, v70
	v_cndmask_b32_e64 v6, v6, v15, s4
	v_cmp_eq_u32_e64 s4, 6, v72
	v_cmp_eq_u32_e64 s2, 6, v69
	v_cndmask_b32_e64 v1, v1, v4, s3
	v_cndmask_b32_e32 v2, v2, v15, vcc_lo
	v_cmp_eq_u32_e32 vcc_lo, 7, v71
	v_cndmask_b32_e64 v5, v5, v4, s5
	v_cndmask_b32_e64 v9, v9, v4, s4
	;; [unrolled: 1-line block ×3, first 2 shown]
	v_cmp_eq_u32_e64 s5, 7, v70
	v_cndmask_b32_e32 v1, v1, v12, vcc_lo
	v_cndmask_b32_e64 v7, v13, v4, s2
	v_cndmask_b32_e64 v3, v3, v8, s2
	;; [unrolled: 1-line block ×3, first 2 shown]
	v_cmp_eq_u32_e64 s2, 7, v69
	v_cndmask_b32_e64 v4, v10, v8, s4
	v_cndmask_b32_e64 v5, v5, v12, s5
	;; [unrolled: 1-line block ×3, first 2 shown]
	v_cndmask_b32_e32 v2, v2, v16, vcc_lo
	v_cndmask_b32_e64 v7, v7, v12, s2
	v_cndmask_b32_e64 v3, v3, v16, s2
	;; [unrolled: 1-line block ×4, first 2 shown]
	v_perm_b32 v4, v2, v1, 0x5040100
	s_mov_b32 s2, exec_lo
	v_perm_b32 v3, v3, v7, 0x5040100
	v_perm_b32 v2, v8, v9, 0x5040100
	;; [unrolled: 1-line block ×3, first 2 shown]
	ds_store_b128 v74, v[1:4]
	s_waitcnt lgkmcnt(0)
	s_barrier
	buffer_gl0_inv
	v_cmpx_gt_u32_e32 32, v0
	s_cbranch_execz .LBB1303_2
; %bb.15:
	s_load_b64 s[0:1], s[0:1], 0x68
	s_lshl_b32 s4, s34, 7
	v_or_b32_e32 v2, s31, v66
	s_mul_i32 s2, s4, s30
	v_lshlrev_b32_e32 v0, 10, v0
	s_mul_i32 s2, s2, s7
	v_lshlrev_b32_e32 v1, 4, v67
	s_ashr_i32 s3, s2, 31
	v_mul_lo_u32 v20, v2, s4
	s_lshl_b64 s[2:3], s[2:3], 1
	v_lshlrev_b32_e32 v3, 6, v66
	v_and_b32_e32 v0, 0x3800, v0
	s_delay_alu instid0(VALU_DEP_1) | instskip(NEXT) | instid1(VALU_DEP_4)
	v_or3_b32 v16, v0, v1, v3
	v_ashrrev_i32_e32 v21, 31, v20
	ds_load_b128 v[0:3], v16
	ds_load_b128 v[4:7], v16 offset:128
	s_waitcnt lgkmcnt(0)
	s_add_u32 s2, s0, s2
	s_addc_u32 s3, s1, s3
	s_lshl_b32 s0, s14, 7
	ds_load_b128 v[8:11], v16 offset:256
	ds_load_b128 v[12:15], v16 offset:384
	;; [unrolled: 1-line block ×3, first 2 shown]
	s_ashr_i32 s1, s0, 31
	s_delay_alu instid0(SALU_CYCLE_1) | instskip(NEXT) | instid1(SALU_CYCLE_1)
	s_lshl_b64 s[0:1], s[0:1], 1
	s_add_u32 s0, s2, s0
	s_addc_u32 s1, s3, s1
	s_lshl_b32 s2, s34, 8
	v_add_co_u32 v30, s0, s0, v65
	v_add_nc_u32_e32 v22, s2, v20
	v_lshlrev_b64 v[20:21], 1, v[20:21]
	v_add_co_ci_u32_e64 v31, null, s1, 0, s0
	s_delay_alu instid0(VALU_DEP_3) | instskip(SKIP_1) | instid1(VALU_DEP_4)
	v_add_nc_u32_e32 v24, s2, v22
	v_ashrrev_i32_e32 v23, 31, v22
	v_add_co_u32 v20, vcc_lo, v30, v20
	s_delay_alu instid0(VALU_DEP_4) | instskip(NEXT) | instid1(VALU_DEP_4)
	v_add_co_ci_u32_e32 v21, vcc_lo, v31, v21, vcc_lo
	v_add_nc_u32_e32 v26, s2, v24
	v_ashrrev_i32_e32 v25, 31, v24
	v_lshlrev_b64 v[22:23], 1, v[22:23]
	s_delay_alu instid0(VALU_DEP_3) | instskip(SKIP_1) | instid1(VALU_DEP_4)
	v_add_nc_u32_e32 v28, s2, v26
	v_ashrrev_i32_e32 v27, 31, v26
	v_lshlrev_b64 v[24:25], 1, v[24:25]
	s_delay_alu instid0(VALU_DEP_4) | instskip(NEXT) | instid1(VALU_DEP_4)
	v_add_co_u32 v22, vcc_lo, v30, v22
	v_ashrrev_i32_e32 v29, 31, v28
	s_delay_alu instid0(VALU_DEP_4) | instskip(SKIP_2) | instid1(VALU_DEP_4)
	v_lshlrev_b64 v[26:27], 1, v[26:27]
	v_add_co_ci_u32_e32 v23, vcc_lo, v31, v23, vcc_lo
	v_add_co_u32 v24, vcc_lo, v30, v24
	v_lshlrev_b64 v[28:29], 1, v[28:29]
	v_add_co_ci_u32_e32 v25, vcc_lo, v31, v25, vcc_lo
	v_add_co_u32 v26, vcc_lo, v30, v26
	v_add_co_ci_u32_e32 v27, vcc_lo, v31, v27, vcc_lo
	s_delay_alu instid0(VALU_DEP_4)
	v_add_co_u32 v28, vcc_lo, v30, v28
	v_add_co_ci_u32_e32 v29, vcc_lo, v31, v29, vcc_lo
	s_clause 0x1
	global_store_b128 v[20:21], v[0:3], off
	global_store_b128 v[22:23], v[4:7], off
	s_waitcnt lgkmcnt(2)
	global_store_b128 v[24:25], v[8:11], off
	s_waitcnt lgkmcnt(1)
	;; [unrolled: 2-line block ×3, first 2 shown]
	global_store_b128 v[28:29], v[16:19], off
	s_nop 0
	s_sendmsg sendmsg(MSG_DEALLOC_VGPRS)
	s_endpgm
	.section	.rodata,"a",@progbits
	.p2align	6, 0x0
	.amdhsa_kernel _Z39paged_attention_ll4mi_QKV_mfma16_kernelIDF16_hLN4vllm18Fp8KVCacheDataTypeE1EhLi32ELi128ELi256ELb0ELi10EL8MFMAType0EEvPKT_PKT0_S8_ifPKiSA_SA_iPKfiiiPfSD_PS3_PT2_iSC_SC_
		.amdhsa_group_segment_fixed_size 17472
		.amdhsa_private_segment_fixed_size 0
		.amdhsa_kernarg_size 400
		.amdhsa_user_sgpr_count 13
		.amdhsa_user_sgpr_dispatch_ptr 0
		.amdhsa_user_sgpr_queue_ptr 0
		.amdhsa_user_sgpr_kernarg_segment_ptr 1
		.amdhsa_user_sgpr_dispatch_id 0
		.amdhsa_user_sgpr_private_segment_size 0
		.amdhsa_wavefront_size32 1
		.amdhsa_uses_dynamic_stack 0
		.amdhsa_enable_private_segment 0
		.amdhsa_system_sgpr_workgroup_id_x 1
		.amdhsa_system_sgpr_workgroup_id_y 1
		.amdhsa_system_sgpr_workgroup_id_z 1
		.amdhsa_system_sgpr_workgroup_info 0
		.amdhsa_system_vgpr_workitem_id 0
		.amdhsa_next_free_vgpr 150
		.amdhsa_next_free_sgpr 37
		.amdhsa_reserve_vcc 1
		.amdhsa_float_round_mode_32 0
		.amdhsa_float_round_mode_16_64 0
		.amdhsa_float_denorm_mode_32 3
		.amdhsa_float_denorm_mode_16_64 3
		.amdhsa_dx10_clamp 1
		.amdhsa_ieee_mode 1
		.amdhsa_fp16_overflow 0
		.amdhsa_workgroup_processor_mode 1
		.amdhsa_memory_ordered 1
		.amdhsa_forward_progress 0
		.amdhsa_shared_vgpr_count 0
		.amdhsa_exception_fp_ieee_invalid_op 0
		.amdhsa_exception_fp_denorm_src 0
		.amdhsa_exception_fp_ieee_div_zero 0
		.amdhsa_exception_fp_ieee_overflow 0
		.amdhsa_exception_fp_ieee_underflow 0
		.amdhsa_exception_fp_ieee_inexact 0
		.amdhsa_exception_int_div_zero 0
	.end_amdhsa_kernel
	.section	.text._Z39paged_attention_ll4mi_QKV_mfma16_kernelIDF16_hLN4vllm18Fp8KVCacheDataTypeE1EhLi32ELi128ELi256ELb0ELi10EL8MFMAType0EEvPKT_PKT0_S8_ifPKiSA_SA_iPKfiiiPfSD_PS3_PT2_iSC_SC_,"axG",@progbits,_Z39paged_attention_ll4mi_QKV_mfma16_kernelIDF16_hLN4vllm18Fp8KVCacheDataTypeE1EhLi32ELi128ELi256ELb0ELi10EL8MFMAType0EEvPKT_PKT0_S8_ifPKiSA_SA_iPKfiiiPfSD_PS3_PT2_iSC_SC_,comdat
.Lfunc_end1303:
	.size	_Z39paged_attention_ll4mi_QKV_mfma16_kernelIDF16_hLN4vllm18Fp8KVCacheDataTypeE1EhLi32ELi128ELi256ELb0ELi10EL8MFMAType0EEvPKT_PKT0_S8_ifPKiSA_SA_iPKfiiiPfSD_PS3_PT2_iSC_SC_, .Lfunc_end1303-_Z39paged_attention_ll4mi_QKV_mfma16_kernelIDF16_hLN4vllm18Fp8KVCacheDataTypeE1EhLi32ELi128ELi256ELb0ELi10EL8MFMAType0EEvPKT_PKT0_S8_ifPKiSA_SA_iPKfiiiPfSD_PS3_PT2_iSC_SC_
                                        ; -- End function
	.section	.AMDGPU.csdata,"",@progbits
; Kernel info:
; codeLenInByte = 6708
; NumSgprs: 39
; NumVgprs: 150
; ScratchSize: 0
; MemoryBound: 0
; FloatMode: 240
; IeeeMode: 1
; LDSByteSize: 17472 bytes/workgroup (compile time only)
; SGPRBlocks: 4
; VGPRBlocks: 18
; NumSGPRsForWavesPerEU: 39
; NumVGPRsForWavesPerEU: 150
; Occupancy: 9
; WaveLimiterHint : 1
; COMPUTE_PGM_RSRC2:SCRATCH_EN: 0
; COMPUTE_PGM_RSRC2:USER_SGPR: 13
; COMPUTE_PGM_RSRC2:TRAP_HANDLER: 0
; COMPUTE_PGM_RSRC2:TGID_X_EN: 1
; COMPUTE_PGM_RSRC2:TGID_Y_EN: 1
; COMPUTE_PGM_RSRC2:TGID_Z_EN: 1
; COMPUTE_PGM_RSRC2:TIDIG_COMP_CNT: 0
	.section	.text._Z39paged_attention_ll4mi_QKV_mfma16_kernelIDF16_hLN4vllm18Fp8KVCacheDataTypeE1EhLi32ELi128ELi256ELb0ELi11EL8MFMAType0EEvPKT_PKT0_S8_ifPKiSA_SA_iPKfiiiPfSD_PS3_PT2_iSC_SC_,"axG",@progbits,_Z39paged_attention_ll4mi_QKV_mfma16_kernelIDF16_hLN4vllm18Fp8KVCacheDataTypeE1EhLi32ELi128ELi256ELb0ELi11EL8MFMAType0EEvPKT_PKT0_S8_ifPKiSA_SA_iPKfiiiPfSD_PS3_PT2_iSC_SC_,comdat
	.protected	_Z39paged_attention_ll4mi_QKV_mfma16_kernelIDF16_hLN4vllm18Fp8KVCacheDataTypeE1EhLi32ELi128ELi256ELb0ELi11EL8MFMAType0EEvPKT_PKT0_S8_ifPKiSA_SA_iPKfiiiPfSD_PS3_PT2_iSC_SC_ ; -- Begin function _Z39paged_attention_ll4mi_QKV_mfma16_kernelIDF16_hLN4vllm18Fp8KVCacheDataTypeE1EhLi32ELi128ELi256ELb0ELi11EL8MFMAType0EEvPKT_PKT0_S8_ifPKiSA_SA_iPKfiiiPfSD_PS3_PT2_iSC_SC_
	.globl	_Z39paged_attention_ll4mi_QKV_mfma16_kernelIDF16_hLN4vllm18Fp8KVCacheDataTypeE1EhLi32ELi128ELi256ELb0ELi11EL8MFMAType0EEvPKT_PKT0_S8_ifPKiSA_SA_iPKfiiiPfSD_PS3_PT2_iSC_SC_
	.p2align	8
	.type	_Z39paged_attention_ll4mi_QKV_mfma16_kernelIDF16_hLN4vllm18Fp8KVCacheDataTypeE1EhLi32ELi128ELi256ELb0ELi11EL8MFMAType0EEvPKT_PKT0_S8_ifPKiSA_SA_iPKfiiiPfSD_PS3_PT2_iSC_SC_,@function
_Z39paged_attention_ll4mi_QKV_mfma16_kernelIDF16_hLN4vllm18Fp8KVCacheDataTypeE1EhLi32ELi128ELi256ELb0ELi11EL8MFMAType0EEvPKT_PKT0_S8_ifPKiSA_SA_iPKfiiiPfSD_PS3_PT2_iSC_SC_: ; @_Z39paged_attention_ll4mi_QKV_mfma16_kernelIDF16_hLN4vllm18Fp8KVCacheDataTypeE1EhLi32ELi128ELi256ELb0ELi11EL8MFMAType0EEvPKT_PKT0_S8_ifPKiSA_SA_iPKfiiiPfSD_PS3_PT2_iSC_SC_
; %bb.0:
	s_load_b64 s[4:5], s[0:1], 0x30
	s_mov_b32 s34, s13
	s_waitcnt lgkmcnt(0)
	s_cmp_lg_u64 s[4:5], 0
	s_cselect_b32 s8, -1, 0
	s_ashr_i32 s35, s13, 31
	s_cmp_eq_u64 s[4:5], 0
	s_cbranch_scc1 .LBB1304_3
; %bb.1:
	s_lshl_b64 s[2:3], s[34:35], 2
	s_delay_alu instid0(SALU_CYCLE_1) | instskip(SKIP_4) | instid1(SALU_CYCLE_1)
	s_add_u32 s2, s4, s2
	s_addc_u32 s3, s5, s3
	s_load_b64 s[2:3], s[2:3], 0x0
	s_waitcnt lgkmcnt(0)
	s_sub_i32 s2, s3, s2
	s_cmp_eq_u32 s2, 1
	s_cselect_b32 s2, -1, 0
	s_delay_alu instid0(SALU_CYCLE_1)
	s_and_not1_b32 vcc_lo, exec_lo, s2
	s_cbranch_vccz .LBB1304_4
.LBB1304_2:
	s_nop 0
	s_sendmsg sendmsg(MSG_DEALLOC_VGPRS)
	s_endpgm
.LBB1304_3:
.LBB1304_4:
	s_load_b64 s[2:3], s[0:1], 0x28
	s_lshl_b64 s[6:7], s[34:35], 2
	s_waitcnt lgkmcnt(0)
	s_add_u32 s2, s2, s6
	s_addc_u32 s3, s3, s7
	s_lshl_b32 s12, s14, 8
	s_load_b32 s24, s[2:3], 0x0
	s_waitcnt lgkmcnt(0)
	s_cmp_ge_i32 s12, s24
	s_cbranch_scc1 .LBB1304_2
; %bb.5:
	s_clause 0x1
	s_load_b128 s[20:23], s[0:1], 0x8
	s_load_b64 s[2:3], s[0:1], 0x20
	s_and_not1_b32 vcc_lo, exec_lo, s8
	s_cbranch_vccnz .LBB1304_7
; %bb.6:
	s_add_u32 s4, s4, s6
	s_addc_u32 s5, s5, s7
	s_load_b32 s5, s[4:5], 0x0
	s_branch .LBB1304_8
.LBB1304_7:
	s_mov_b32 s5, s34
.LBB1304_8:
	s_load_b128 s[16:19], s[0:1], 0x48
	v_and_b32_e32 v68, 15, v0
	v_lshrrev_b32_e32 v69, 5, v0
	v_bfe_u32 v66, v0, 4, 1
	v_and_b32_e32 v70, 31, v0
	v_and_b32_e32 v67, 1, v0
	v_lshlrev_b32_e32 v2, 3, v68
	s_mul_i32 s31, s15, 11
	v_lshl_or_b32 v1, v69, 1, v66
	s_mov_b32 s4, exec_lo
	s_delay_alu instid0(VALU_DEP_2) | instskip(NEXT) | instid1(VALU_DEP_2)
	v_lshlrev_b32_e32 v65, 1, v2
	v_cmpx_gt_u32_e32 11, v1
	s_cbranch_execz .LBB1304_10
; %bb.9:
	s_load_b64 s[6:7], s[0:1], 0x0
	v_add_lshl_u32 v2, v1, s31, 7
	s_waitcnt lgkmcnt(0)
	s_mul_hi_i32 s9, s5, s16
	s_mul_i32 s8, s5, s16
	v_lshlrev_b32_e32 v6, 10, v68
	s_lshl_b64 s[8:9], s[8:9], 1
	v_ashrrev_i32_e32 v3, 31, v2
	v_lshlrev_b32_e32 v1, 6, v1
	v_lshlrev_b32_e32 v7, 10, v67
	v_and_b32_e32 v6, 0x3800, v6
	s_delay_alu instid0(VALU_DEP_4) | instskip(NEXT) | instid1(VALU_DEP_2)
	v_lshlrev_b64 v[2:3], 1, v[2:3]
	v_or3_b32 v1, v6, v7, v1
	s_add_u32 s5, s6, s8
	s_addc_u32 s6, s7, s9
	s_delay_alu instid0(VALU_DEP_2) | instskip(NEXT) | instid1(VALU_DEP_3)
	v_add_co_u32 v2, vcc_lo, s5, v2
	v_add_co_ci_u32_e32 v3, vcc_lo, s6, v3, vcc_lo
	s_delay_alu instid0(VALU_DEP_2) | instskip(NEXT) | instid1(VALU_DEP_2)
	v_add_co_u32 v2, vcc_lo, v2, v65
	v_add_co_ci_u32_e32 v3, vcc_lo, 0, v3, vcc_lo
	global_load_b128 v[2:5], v[2:3], off
	s_waitcnt vmcnt(0)
	ds_store_b128 v1, v[2:5]
.LBB1304_10:
	s_or_b32 exec_lo, exec_lo, s4
	v_and_b32_e32 v1, 0xef, v0
	s_waitcnt lgkmcnt(0)
	s_add_i32 s5, s24, 31
	s_clause 0x1
	s_load_b32 s4, s[0:1], 0x38
	s_load_b32 s33, s[0:1], 0x98
	s_ashr_i32 s6, s5, 31
	v_add_nc_u32_e32 v1, s12, v1
	s_lshr_b32 s6, s6, 27
	s_load_b32 s19, s[0:1], 0x1c
	s_add_i32 s5, s5, s6
	s_waitcnt lgkmcnt(0)
	v_ashrrev_i32_e32 v2, 31, v1
	v_or_b32_e32 v3, 16, v1
	s_ashr_i32 s13, s5, 5
	v_cmp_gt_i32_e32 vcc_lo, s24, v1
	s_add_i32 s13, s13, -1
	v_lshrrev_b32_e32 v2, 27, v2
	s_barrier
	buffer_gl0_inv
	s_mul_i32 s15, s15, s18
	v_add_nc_u32_e32 v4, v1, v2
	s_mul_i32 s4, s34, s4
	s_delay_alu instid0(SALU_CYCLE_1) | instskip(NEXT) | instid1(VALU_DEP_1)
	s_ashr_i32 s5, s4, 31
	v_ashrrev_i32_e32 v4, 5, v4
	v_add_nc_u32_e32 v2, v3, v2
	s_lshl_b64 s[4:5], s[4:5], 2
	s_delay_alu instid0(SALU_CYCLE_1) | instskip(NEXT) | instid1(VALU_DEP_2)
	s_add_u32 s16, s2, s4
	v_cndmask_b32_e32 v1, s13, v4, vcc_lo
	s_delay_alu instid0(VALU_DEP_2)
	v_ashrrev_i32_e32 v2, 5, v2
	v_cmp_gt_i32_e32 vcc_lo, s24, v3
	s_addc_u32 s25, s3, s5
	s_ashr_i32 s18, s15, 31
	s_add_u32 s2, s20, s15
	s_addc_u32 s3, s21, s18
	v_cndmask_b32_e32 v3, s13, v2, vcc_lo
	v_ashrrev_i32_e32 v2, 31, v1
	s_lshl_b32 s4, s14, 3
	s_delay_alu instid0(SALU_CYCLE_1) | instskip(NEXT) | instid1(VALU_DEP_2)
	s_ashr_i32 s5, s4, 31
	v_ashrrev_i32_e32 v4, 31, v3
	s_delay_alu instid0(VALU_DEP_2) | instskip(SKIP_1) | instid1(SALU_CYCLE_1)
	v_lshlrev_b64 v[1:2], 2, v[1:2]
	s_lshl_b64 s[4:5], s[4:5], 2
	s_add_u32 s4, s16, s4
	s_delay_alu instid0(VALU_DEP_2) | instskip(SKIP_1) | instid1(VALU_DEP_2)
	v_lshlrev_b64 v[3:4], 2, v[3:4]
	s_addc_u32 s5, s25, s5
	v_add_co_u32 v1, vcc_lo, s16, v1
	v_add_co_ci_u32_e32 v2, vcc_lo, s25, v2, vcc_lo
	s_delay_alu instid0(VALU_DEP_3) | instskip(NEXT) | instid1(VALU_DEP_4)
	v_add_co_u32 v3, vcc_lo, s16, v3
	v_add_co_ci_u32_e32 v4, vcc_lo, s25, v4, vcc_lo
	s_clause 0x1
	global_load_b32 v5, v[1:2], off
	global_load_b32 v6, v[3:4], off
	s_or_b32 s6, s12, 32
	s_delay_alu instid0(SALU_CYCLE_1) | instskip(SKIP_2) | instid1(SALU_CYCLE_1)
	s_ashr_i32 s7, s6, 5
	s_cmp_lt_i32 s6, s24
	s_cselect_b32 s6, s7, s13
	s_ashr_i32 s7, s6, 31
	s_delay_alu instid0(SALU_CYCLE_1) | instskip(NEXT) | instid1(SALU_CYCLE_1)
	s_lshl_b64 s[6:7], s[6:7], 2
	s_add_u32 s6, s16, s6
	s_addc_u32 s7, s25, s7
	s_or_b32 s8, s12, 64
	s_delay_alu instid0(SALU_CYCLE_1) | instskip(SKIP_2) | instid1(SALU_CYCLE_1)
	s_ashr_i32 s9, s8, 5
	s_cmp_lt_i32 s8, s24
	s_cselect_b32 s8, s9, s13
	s_ashr_i32 s9, s8, 31
	s_delay_alu instid0(SALU_CYCLE_1) | instskip(NEXT) | instid1(SALU_CYCLE_1)
	s_lshl_b64 s[8:9], s[8:9], 2
	s_add_u32 s8, s16, s8
	s_addc_u32 s9, s25, s9
	;; [unrolled: 10-line block ×5, first 2 shown]
	s_clause 0x5
	s_load_b32 s28, s[4:5], 0x0
	s_load_b32 s29, s[6:7], 0x0
	;; [unrolled: 1-line block ×6, first 2 shown]
	s_mov_b32 s4, 0
	s_delay_alu instid0(SALU_CYCLE_1)
	s_mov_b32 s5, s4
	s_mov_b32 s6, s4
	s_mov_b32 s7, s4
	s_mov_b32 s8, s4
	s_mov_b32 s9, s4
	s_mov_b32 s10, s4
	s_mov_b32 s11, s4
	s_delay_alu instid0(SALU_CYCLE_1)
	v_dual_mov_b32 v118, s11 :: v_dual_mov_b32 v117, s10
	v_dual_mov_b32 v116, s9 :: v_dual_mov_b32 v115, s8
	v_mov_b32_e32 v113, s6
	v_dual_mov_b32 v111, s4 :: v_dual_mov_b32 v114, s7
	v_mov_b32_e32 v112, s5
	s_waitcnt vmcnt(1)
	v_mad_i64_i32 v[1:2], null, v5, s17, s[2:3]
	v_lshlrev_b32_e32 v5, 4, v68
	s_waitcnt vmcnt(0)
	v_mad_i64_i32 v[3:4], null, v6, s17, s[2:3]
	s_or_b32 s2, s12, 0xc0
	s_delay_alu instid0(SALU_CYCLE_1) | instskip(NEXT) | instid1(VALU_DEP_3)
	s_ashr_i32 s3, s2, 5
	v_add_co_u32 v1, vcc_lo, v1, v5
	s_delay_alu instid0(VALU_DEP_4) | instskip(NEXT) | instid1(VALU_DEP_3)
	v_add_co_ci_u32_e32 v2, vcc_lo, 0, v2, vcc_lo
	v_add_co_u32 v3, vcc_lo, v3, v5
	s_delay_alu instid0(VALU_DEP_4)
	v_add_co_ci_u32_e32 v4, vcc_lo, 0, v4, vcc_lo
	s_clause 0xf
	global_load_b128 v[17:20], v[1:2], off
	global_load_b128 v[21:24], v[1:2], off offset:512
	global_load_b128 v[25:28], v[3:4], off offset:256
	;; [unrolled: 1-line block ×15, first 2 shown]
	s_cmp_lt_i32 s2, s24
	v_add_nc_u32_e32 v1, -11, v68
	s_cselect_b32 s2, s3, s13
	v_cmp_gt_u32_e32 vcc_lo, 11, v68
	s_ashr_i32 s3, s2, 31
	v_lshlrev_b32_e32 v2, 5, v68
	s_lshl_b64 s[2:3], s[2:3], 2
	s_delay_alu instid0(SALU_CYCLE_1)
	s_add_u32 s2, s16, s2
	s_addc_u32 s3, s25, s3
	s_or_b32 s20, s12, 0xe0
	v_cndmask_b32_e32 v1, v1, v68, vcc_lo
	s_ashr_i32 s21, s20, 5
	s_cmp_lt_i32 s20, s24
	s_cselect_b32 s20, s21, s13
	s_delay_alu instid0(VALU_DEP_1)
	v_lshlrev_b32_e32 v149, 6, v1
	s_ashr_i32 s21, s20, 31
	v_lshl_or_b32 v1, v69, 9, v2
	s_lshl_b64 s[4:5], s[20:21], 2
	ds_load_b128 v[119:122], v149
	ds_load_b128 v[123:126], v149 offset:1024
	s_add_u32 s4, s16, s4
	s_addc_u32 s5, s25, s5
	ds_load_b128 v[127:130], v149 offset:2048
	ds_load_b128 v[131:134], v149 offset:3072
	s_clause 0x1
	s_load_b32 s2, s[2:3], 0x0
	s_load_b32 s3, s[4:5], 0x0
	s_add_u32 s6, s22, s15
	s_addc_u32 s7, s23, s18
	v_add_co_u32 v135, s6, s6, v1
	s_delay_alu instid0(VALU_DEP_1) | instskip(SKIP_1) | instid1(VALU_DEP_1)
	v_add_co_ci_u32_e64 v136, null, s7, 0, s6
	s_waitcnt lgkmcnt(0)
	v_mad_i64_i32 v[1:2], null, s28, s17, v[135:136]
	v_mad_i64_i32 v[3:4], null, s29, s17, v[135:136]
	;; [unrolled: 1-line block ×6, first 2 shown]
	s_clause 0x9
	global_load_b128 v[49:52], v[1:2], off
	global_load_b128 v[53:56], v[1:2], off offset:16
	global_load_b128 v[41:44], v[3:4], off
	global_load_b128 v[45:48], v[3:4], off offset:16
	;; [unrolled: 2-line block ×5, first 2 shown]
	v_mad_i64_i32 v[145:146], null, s2, s17, v[135:136]
	v_mad_i64_i32 v[147:148], null, s3, s17, v[135:136]
	s_waitcnt vmcnt(24)
	v_wmma_f32_16x16x16_f16 v[135:142], v[17:24], v[119:126], v[111:118]
	s_waitcnt vmcnt(22)
	v_wmma_f32_16x16x16_f16 v[111:118], v[25:32], v[119:126], v[111:118]
	s_clause 0x3
	global_load_b128 v[17:20], v[143:144], off
	global_load_b128 v[21:24], v[143:144], off offset:16
	global_load_b128 v[25:28], v[145:146], off
	global_load_b128 v[29:32], v[145:146], off offset:16
	v_and_b32_e32 v119, 0xe0, v0
	s_waitcnt vmcnt(24)
	v_wmma_f32_16x16x16_f16 v[135:142], v[57:64], v[127:134], v[135:142]
	s_clause 0x1
	global_load_b128 v[57:60], v[147:148], off
	global_load_b128 v[61:64], v[147:148], off offset:16
	s_waitcnt vmcnt(24)
	v_wmma_f32_16x16x16_f16 v[111:118], v[71:78], v[127:134], v[111:118]
	ds_load_b128 v[71:74], v149 offset:4096
	ds_load_b128 v[75:78], v149 offset:5120
	v_add_nc_u32_e32 v128, s12, v119
	ds_load_b128 v[119:122], v149 offset:6144
	ds_load_b128 v[123:126], v149 offset:7168
	v_mbcnt_lo_u32_b32 v127, -1, 0
	s_waitcnt vmcnt(0) lgkmcnt(0)
	s_barrier
	v_or_b32_e32 v128, v128, v66
	buffer_gl0_inv
	v_xor_b32_e32 v129, 16, v127
	v_or_b32_e32 v130, 4, v128
	v_or_b32_e32 v131, 6, v128
	s_delay_alu instid0(VALU_DEP_3) | instskip(SKIP_4) | instid1(VALU_DEP_4)
	v_cmp_gt_i32_e32 vcc_lo, 32, v129
	v_or_b32_e32 v132, 8, v128
	v_or_b32_e32 v133, 10, v128
	v_cmp_gt_i32_e64 s3, s24, v130
	v_cmp_gt_i32_e64 s4, s24, v131
	;; [unrolled: 1-line block ×3, first 2 shown]
	v_wmma_f32_16x16x16_f16 v[135:142], v[79:86], v[71:78], v[135:142]
	v_wmma_f32_16x16x16_f16 v[111:118], v[87:94], v[71:78], v[111:118]
	v_or_b32_e32 v79, 12, v128
	v_or_b32_e32 v80, 14, v128
	v_cmp_gt_i32_e64 s6, s24, v133
	v_wmma_f32_16x16x16_f16 v[135:142], v[95:102], v[119:126], v[135:142]
	v_wmma_f32_16x16x16_f16 v[111:118], v[103:110], v[119:126], v[111:118]
	v_cndmask_b32_e32 v127, v127, v129, vcc_lo
	v_or_b32_e32 v129, 2, v128
	v_cmp_gt_i32_e32 vcc_lo, s24, v128
	s_delay_alu instid0(VALU_DEP_4) | instskip(SKIP_1) | instid1(VALU_DEP_4)
	v_dual_mul_f32 v87, s19, v136 :: v_dual_mul_f32 v94, s19, v113
	v_mul_f32_e32 v88, s19, v135
	v_cmp_gt_i32_e64 s2, s24, v129
	v_mul_f32_e32 v78, s19, v138
	v_mul_f32_e32 v86, s19, v137
	v_mul_f32_e32 v76, s19, v140
	v_cndmask_b32_e32 v88, 0xff7fffff, v88, vcc_lo
	v_cndmask_b32_e64 v87, 0xff7fffff, v87, s2
	v_dual_mul_f32 v77, s19, v139 :: v_dual_mul_f32 v90, s19, v117
	v_cndmask_b32_e64 v86, 0xff7fffff, v86, s3
	v_cndmask_b32_e64 v78, 0xff7fffff, v78, s4
	s_delay_alu instid0(VALU_DEP_4)
	v_max3_f32 v87, v88, 0xff7fffff, v87
	v_or_b32_e32 v81, 16, v128
	v_or_b32_e32 v82, 18, v128
	v_dual_mul_f32 v74, s19, v142 :: v_dual_mul_f32 v75, s19, v141
	v_mul_f32_e32 v96, s19, v111
	v_cndmask_b32_e64 v77, 0xff7fffff, v77, s5
	v_cndmask_b32_e64 v76, 0xff7fffff, v76, s6
	v_max3_f32 v78, v87, v86, v78
	v_cmp_gt_i32_e64 s7, s24, v79
	v_cmp_gt_i32_e64 s8, s24, v80
	v_or_b32_e32 v83, 20, v128
	v_or_b32_e32 v84, 22, v128
	v_mul_f32_e32 v95, s19, v112
	v_cndmask_b32_e64 v75, 0xff7fffff, v75, s7
	v_cndmask_b32_e64 v74, 0xff7fffff, v74, s8
	v_max3_f32 v76, v78, v77, v76
	v_cmp_gt_i32_e64 s9, s24, v81
	v_cmp_gt_i32_e64 s10, s24, v82
	v_or_b32_e32 v85, 24, v128
	v_or_b32_e32 v71, 26, v128
	;; [unrolled: 8-line block ×3, first 2 shown]
	v_dual_mul_f32 v91, s19, v116 :: v_dual_mul_f32 v92, s19, v115
	v_cndmask_b32_e64 v75, 0xff7fffff, v94, s11
	v_cndmask_b32_e64 v76, 0xff7fffff, v93, s12
	v_max3_f32 v74, v74, v77, v78
	v_cmp_gt_i32_e64 s13, s24, v85
	v_cmp_gt_i32_e64 s15, s24, v71
	v_mul_f32_e32 v89, s19, v118
	v_cmp_gt_i32_e64 s16, s24, v72
	v_max3_f32 v74, v74, v75, v76
	v_cndmask_b32_e64 v77, 0xff7fffff, v92, s13
	v_cndmask_b32_e64 v71, 0xff7fffff, v91, s15
	v_cmp_gt_i32_e64 s17, s24, v73
	v_cndmask_b32_e64 v72, 0xff7fffff, v90, s16
	s_delay_alu instid0(VALU_DEP_3) | instskip(SKIP_1) | instid1(VALU_DEP_4)
	v_max3_f32 v71, v74, v77, v71
	v_lshlrev_b32_e32 v74, 2, v127
	v_cndmask_b32_e64 v73, 0xff7fffff, v89, s17
	s_delay_alu instid0(VALU_DEP_1) | instskip(SKIP_3) | instid1(VALU_DEP_1)
	v_max3_f32 v71, v71, v72, v73
	ds_bpermute_b32 v72, v74, v71
	s_waitcnt lgkmcnt(0)
	v_max_f32_e32 v72, v72, v72
	v_max_f32_e32 v71, v71, v72
	s_delay_alu instid0(VALU_DEP_1) | instskip(SKIP_4) | instid1(VALU_DEP_4)
	v_fma_f32 v72, s19, v135, -v71
	v_fma_f32 v73, s19, v136, -v71
	;; [unrolled: 1-line block ×5, first 2 shown]
	v_dual_mul_f32 v72, 0x3fb8aa3b, v72 :: v_dual_mul_f32 v73, 0x3fb8aa3b, v73
	s_delay_alu instid0(VALU_DEP_3) | instskip(SKIP_1) | instid1(VALU_DEP_3)
	v_dual_mul_f32 v75, 0x3fb8aa3b, v75 :: v_dual_mul_f32 v76, 0x3fb8aa3b, v76
	v_fma_f32 v80, s19, v141, -v71
	v_exp_f32_e32 v72, v72
	s_delay_alu instid0(VALU_DEP_3) | instskip(NEXT) | instid1(VALU_DEP_2)
	v_exp_f32_e32 v73, v73
	v_exp_f32_e32 v75, v75
	;; [unrolled: 1-line block ×3, first 2 shown]
	v_mul_f32_e32 v82, 0x3fb8aa3b, v80
	s_delay_alu instid0(VALU_DEP_1) | instskip(SKIP_4) | instid1(TRANS32_DEP_3)
	v_exp_f32_e32 v84, v82
	v_cndmask_b32_e32 v79, 0, v72, vcc_lo
	v_fma_f32 v72, s19, v140, -v71
	v_mul_f32_e32 v77, 0x3fb8aa3b, v77
	v_cndmask_b32_e64 v78, 0, v73, s2
	v_cndmask_b32_e64 v81, 0, v75, s3
	s_delay_alu instid0(VALU_DEP_4) | instskip(NEXT) | instid1(VALU_DEP_4)
	v_dual_add_f32 v73, 0, v79 :: v_dual_mul_f32 v72, 0x3fb8aa3b, v72
	v_exp_f32_e32 v77, v77
	v_cndmask_b32_e64 v80, 0, v76, s4
	s_delay_alu instid0(TRANS32_DEP_2) | instskip(NEXT) | instid1(VALU_DEP_3)
	v_cndmask_b32_e64 v85, 0, v84, s7
	v_add_f32_e32 v73, v73, v78
	v_exp_f32_e32 v72, v72
	v_cmp_gt_u32_e64 s2, 16, v70
	s_delay_alu instid0(VALU_DEP_2) | instskip(NEXT) | instid1(TRANS32_DEP_2)
	v_add_f32_e32 v73, v73, v81
	v_cndmask_b32_e64 v83, 0, v77, s5
	s_delay_alu instid0(VALU_DEP_2) | instskip(SKIP_3) | instid1(VALU_DEP_1)
	v_add_f32_e32 v73, v73, v80
	s_waitcnt_depctr 0xfff
	v_cndmask_b32_e64 v82, 0, v72, s6
	v_add_f32_e32 v72, v73, v83
	v_add_f32_e32 v72, v72, v82
	s_delay_alu instid0(VALU_DEP_1)
	v_add_f32_e32 v72, v72, v85
	v_fma_f32 v76, s19, v111, -v71
	v_fma_f32 v75, s19, v142, -v71
	;; [unrolled: 1-line block ×5, first 2 shown]
	s_delay_alu instid0(VALU_DEP_4) | instskip(NEXT) | instid1(VALU_DEP_3)
	v_dual_mul_f32 v76, 0x3fb8aa3b, v76 :: v_dual_mul_f32 v75, 0x3fb8aa3b, v75
	v_mul_f32_e32 v86, 0x3fb8aa3b, v86
	s_delay_alu instid0(VALU_DEP_2) | instskip(NEXT) | instid1(VALU_DEP_2)
	v_exp_f32_e32 v76, v76
	v_exp_f32_e32 v75, v75
	s_delay_alu instid0(VALU_DEP_1) | instskip(NEXT) | instid1(TRANS32_DEP_3)
	v_exp_f32_e32 v88, v86
	v_cndmask_b32_e64 v87, 0, v76, s9
	v_fma_f32 v76, s19, v116, -v71
	v_mul_f32_e32 v77, 0x3fb8aa3b, v77
	s_waitcnt_depctr 0xfff
	v_cndmask_b32_e64 v84, 0, v75, s8
	v_fma_f32 v75, s19, v115, -v71
	v_cndmask_b32_e64 v88, 0, v88, s12
	v_mul_f32_e32 v76, 0x3fb8aa3b, v76
	v_exp_f32_e32 v77, v77
	v_add_f32_e32 v72, v72, v84
	s_delay_alu instid0(VALU_DEP_2) | instskip(NEXT) | instid1(VALU_DEP_1)
	v_exp_f32_e32 v76, v76
	v_add_f32_e32 v72, v72, v87
	s_waitcnt_depctr 0xfff
	v_cndmask_b32_e64 v86, 0, v77, s10
	v_mul_f32_e32 v73, 0x3fb8aa3b, v73
	v_fma_f32 v77, s19, v117, -v71
	v_cndmask_b32_e64 v90, 0, v76, s15
	s_delay_alu instid0(VALU_DEP_4) | instskip(NEXT) | instid1(VALU_DEP_4)
	v_add_f32_e32 v72, v72, v86
	v_exp_f32_e32 v73, v73
	s_waitcnt_depctr 0xfff
	v_cndmask_b32_e64 v89, 0, v73, s11
	s_delay_alu instid0(VALU_DEP_1) | instskip(NEXT) | instid1(VALU_DEP_1)
	v_dual_mul_f32 v75, 0x3fb8aa3b, v75 :: v_dual_add_f32 v72, v72, v89
	v_exp_f32_e32 v75, v75
	v_mul_f32_e32 v73, 0x3fb8aa3b, v77
	v_fma_f32 v77, s19, v118, -v71
	s_delay_alu instid0(VALU_DEP_3) | instskip(NEXT) | instid1(VALU_DEP_3)
	v_add_f32_e32 v72, v72, v88
	v_exp_f32_e32 v73, v73
	s_waitcnt_depctr 0xfff
	v_cndmask_b32_e64 v91, 0, v75, s13
	s_delay_alu instid0(VALU_DEP_1) | instskip(NEXT) | instid1(VALU_DEP_1)
	v_dual_mul_f32 v75, 0x3fb8aa3b, v77 :: v_dual_add_f32 v72, v72, v91
	v_exp_f32_e32 v75, v75
	v_cndmask_b32_e64 v93, 0, v73, s16
	s_delay_alu instid0(VALU_DEP_2) | instskip(NEXT) | instid1(VALU_DEP_1)
	v_add_f32_e32 v72, v72, v90
	v_add_f32_e32 v72, v72, v93
	s_waitcnt_depctr 0xfff
	v_cndmask_b32_e64 v92, 0, v75, s17
	s_delay_alu instid0(VALU_DEP_1)
	v_add_f32_e32 v72, v72, v92
	ds_bpermute_b32 v73, v74, v72
	s_and_saveexec_b32 s3, s2
	s_cbranch_execz .LBB1304_12
; %bb.11:
	v_mul_u32_u24_e32 v70, 0x44, v69
	s_waitcnt lgkmcnt(0)
	v_add_f32_e32 v72, v72, v73
	s_delay_alu instid0(VALU_DEP_2) | instskip(NEXT) | instid1(VALU_DEP_1)
	v_lshl_add_u32 v70, v68, 2, v70
	v_add_nc_u32_e32 v70, 0x4000, v70
	ds_store_2addr_b32 v70, v71, v72 offset1:136
.LBB1304_12:
	s_or_b32 exec_lo, exec_lo, s3
	v_lshlrev_b32_e32 v70, 2, v68
	s_load_b32 s35, s[0:1], 0x94
	s_waitcnt lgkmcnt(0)
	s_barrier
	buffer_gl0_inv
	v_add_nc_u32_e32 v98, 0x4000, v70
	v_cmp_eq_u32_e32 vcc_lo, 1, v69
	v_cmp_eq_u32_e64 s3, 2, v69
	v_cmp_eq_u32_e64 s4, 3, v69
	;; [unrolled: 1-line block ×3, first 2 shown]
	ds_load_2addr_b32 v[70:71], v98 offset1:17
	ds_load_2addr_b32 v[72:73], v98 offset0:34 offset1:51
	ds_load_2addr_b32 v[74:75], v98 offset0:68 offset1:85
	;; [unrolled: 1-line block ×3, first 2 shown]
	v_cmp_eq_u32_e64 s6, 5, v69
	v_cmp_eq_u32_e64 s7, 7, v69
	s_waitcnt lgkmcnt(3)
	v_max3_f32 v76, v70, 0xff7fffff, v71
	s_waitcnt lgkmcnt(2)
	s_delay_alu instid0(VALU_DEP_1) | instskip(SKIP_1) | instid1(VALU_DEP_1)
	v_max3_f32 v76, v76, v72, v73
	s_waitcnt lgkmcnt(1)
	v_max3_f32 v76, v76, v74, v75
	s_waitcnt lgkmcnt(0)
	s_delay_alu instid0(VALU_DEP_1) | instskip(NEXT) | instid1(VALU_DEP_1)
	v_max3_f32 v76, v76, v94, v95
	v_sub_f32_e32 v77, v71, v76
	ds_load_2addr_b32 v[96:97], v98 offset0:136 offset1:153
	v_sub_f32_e32 v74, v74, v76
	v_sub_f32_e32 v70, v70, v76
	v_sub_f32_e32 v94, v94, v76
	v_dual_sub_f32 v72, v72, v76 :: v_dual_mul_f32 v77, 0x3fb8aa3b, v77
	s_delay_alu instid0(VALU_DEP_4) | instskip(NEXT) | instid1(VALU_DEP_4)
	v_mul_f32_e32 v103, 0x3fb8aa3b, v74
	v_mul_f32_e32 v99, 0x3fb8aa3b, v70
	ds_load_2addr_b32 v[70:71], v98 offset0:170 offset1:187
	v_dual_mul_f32 v101, 0x3fb8aa3b, v72 :: v_dual_mul_f32 v94, 0x3fb8aa3b, v94
	v_exp_f32_e32 v102, v77
	v_exp_f32_e32 v99, v99
	s_delay_alu instid0(VALU_DEP_1) | instskip(NEXT) | instid1(VALU_DEP_1)
	v_exp_f32_e32 v101, v101
	v_exp_f32_e32 v94, v94
	s_waitcnt lgkmcnt(1)
	s_delay_alu instid0(TRANS32_DEP_3)
	v_fma_f32 v77, v99, v96, 0
	v_sub_f32_e32 v100, v73, v76
	ds_load_2addr_b32 v[72:73], v98 offset0:204 offset1:221
	v_fmac_f32_e32 v77, v102, v97
	v_exp_f32_e32 v97, v103
	s_waitcnt lgkmcnt(1)
	s_delay_alu instid0(VALU_DEP_1)
	v_dual_fmac_f32 v77, v101, v70 :: v_dual_sub_f32 v96, v75, v76
	ds_load_2addr_b32 v[74:75], v98 offset0:238 offset1:255
	v_sub_f32_e32 v70, v95, v76
	s_waitcnt lgkmcnt(0)
	s_barrier
	v_mul_f32_e32 v96, 0x3fb8aa3b, v96
	buffer_gl0_inv
	v_exp_f32_e32 v95, v96
	v_mul_f32_e32 v100, 0x3fb8aa3b, v100
	s_delay_alu instid0(VALU_DEP_1) | instskip(SKIP_3) | instid1(VALU_DEP_2)
	v_exp_f32_e32 v100, v100
	s_waitcnt_depctr 0xfff
	v_dual_fmac_f32 v77, v100, v71 :: v_dual_mul_f32 v70, 0x3fb8aa3b, v70
	v_cndmask_b32_e32 v71, v99, v102, vcc_lo
	v_fmac_f32_e32 v77, v97, v72
	s_delay_alu instid0(VALU_DEP_3) | instskip(NEXT) | instid1(VALU_DEP_1)
	v_exp_f32_e32 v96, v70
	v_fmac_f32_e32 v77, v95, v73
	s_delay_alu instid0(VALU_DEP_1) | instskip(SKIP_2) | instid1(VALU_DEP_1)
	v_fmac_f32_e32 v77, v94, v74
	s_waitcnt_depctr 0xfff
	v_fmac_f32_e32 v77, v96, v75
	v_add_f32_e32 v74, 0x358637bd, v77
	s_delay_alu instid0(VALU_DEP_1) | instskip(SKIP_1) | instid1(VALU_DEP_2)
	v_div_scale_f32 v98, null, v74, v74, 1.0
	v_div_scale_f32 v99, vcc_lo, 1.0, v74, 1.0
	v_rcp_f32_e32 v103, v98
	s_waitcnt_depctr 0xfff
	v_fma_f32 v70, -v98, v103, 1.0
	s_delay_alu instid0(VALU_DEP_1) | instskip(SKIP_2) | instid1(VALU_DEP_2)
	v_fmac_f32_e32 v103, v70, v103
	v_cndmask_b32_e64 v70, v71, v101, s3
	v_cmp_eq_u32_e64 s3, 6, v69
	v_cndmask_b32_e64 v71, v70, v100, s4
	s_delay_alu instid0(VALU_DEP_4) | instskip(NEXT) | instid1(VALU_DEP_2)
	v_dual_mul_f32 v101, v99, v103 :: v_dual_lshlrev_b32 v70, 2, v66
	v_cndmask_b32_e64 v71, v71, v97, s5
	s_delay_alu instid0(VALU_DEP_2) | instskip(NEXT) | instid1(VALU_DEP_3)
	v_or_b32_e32 v72, 1, v70
	v_fma_f32 v100, -v98, v101, v99
	v_cmp_eq_u32_e64 s4, 1, v70
	v_cmp_eq_u32_e64 s5, 2, v70
	v_cndmask_b32_e64 v95, v71, v95, s6
	v_or_b32_e32 v71, 3, v70
	v_fmac_f32_e32 v101, v100, v103
	v_cmp_eq_u32_e64 s9, 1, v72
	v_cmp_eq_u32_e64 s12, 2, v72
	v_cndmask_b32_e64 v94, v95, v94, s3
	v_cmp_eq_u32_e64 s11, 1, v71
	v_fma_f32 v97, -v98, v101, v99
	v_cmp_eq_u32_e64 s16, 2, v71
	v_cmp_eq_u32_e64 s13, 3, v72
	v_cndmask_b32_e64 v94, v94, v96, s7
	v_cmp_eq_u32_e64 s18, 3, v71
	v_div_fmas_f32 v95, v97, v103, v101
	v_cmp_eq_u32_e32 vcc_lo, 3, v70
	v_cmp_eq_u32_e64 s3, 4, v70
	v_cmp_eq_u32_e64 s19, 4, v72
	v_cmp_eq_u32_e64 s22, 4, v71
	v_div_fixup_f32 v95, v95, v74, 1.0
	v_lshlrev_b32_e32 v73, 6, v68
	v_cmp_eq_u32_e64 s6, 5, v70
	v_cmp_eq_u32_e64 s20, 5, v72
	;; [unrolled: 1-line block ×3, first 2 shown]
	v_mul_f32_e32 v102, v94, v95
	v_lshl_or_b32 v75, v69, 11, v73
	v_or_b32_e32 v69, 2, v70
	v_cmp_eq_u32_e64 s25, 6, v72
	v_cmp_eq_u32_e64 s27, 6, v71
	v_fma_mixlo_f16 v94, v102, v79, 0
	v_fma_mixlo_f16 v95, v102, v81, 0
	;; [unrolled: 1-line block ×8, first 2 shown]
	v_lshl_or_b32 v74, v66, 4, v75
	v_fma_mixhi_f16 v94, v102, v78, 0
	v_fma_mixhi_f16 v95, v102, v80, 0
	;; [unrolled: 1-line block ×8, first 2 shown]
	ds_store_b128 v74, v[94:97]
	ds_store_b128 v74, v[98:101] offset:1024
	s_waitcnt lgkmcnt(0)
	s_barrier
	buffer_gl0_inv
	ds_load_b128 v[78:81], v75
	ds_load_b128 v[82:85], v75 offset:16
	ds_load_b128 v[86:89], v75 offset:1024
	;; [unrolled: 1-line block ×3, first 2 shown]
	v_cmp_eq_u32_e64 s10, 1, v69
	v_cmp_eq_u32_e64 s15, 2, v69
	;; [unrolled: 1-line block ×11, first 2 shown]
	s_waitcnt lgkmcnt(3)
	v_lshrrev_b32_e32 v94, 16, v78
	s_waitcnt lgkmcnt(2)
	v_lshrrev_b32_e32 v98, 16, v82
	s_waitcnt lgkmcnt(1)
	v_lshrrev_b32_e32 v102, 16, v86
	s_waitcnt lgkmcnt(0)
	v_lshrrev_b32_e32 v106, 16, v90
	v_lshrrev_b32_e32 v95, 16, v79
	v_cndmask_b32_e64 v110, v78, v94, s4
	v_cndmask_b32_e64 v111, v82, v98, s4
	;; [unrolled: 1-line block ×8, first 2 shown]
	v_lshrrev_b32_e32 v99, 16, v83
	v_cndmask_b32_e64 v94, v86, v102, s4
	v_cndmask_b32_e64 v98, v90, v106, s4
	;; [unrolled: 1-line block ×15, first 2 shown]
	v_lshrrev_b32_e32 v103, 16, v87
	v_lshrrev_b32_e32 v107, 16, v91
	v_cndmask_b32_e64 v113, v115, v83, s15
	v_cndmask_b32_e64 v82, v94, v87, s5
	;; [unrolled: 1-line block ×7, first 2 shown]
	v_cndmask_b32_e32 v90, v102, v95, vcc_lo
	v_cndmask_b32_e32 v102, v106, v99, vcc_lo
	v_cndmask_b32_e64 v106, v110, v95, s13
	v_cndmask_b32_e64 v110, v111, v99, s13
	;; [unrolled: 1-line block ×4, first 2 shown]
	v_lshrrev_b32_e32 v96, 16, v80
	v_lshrrev_b32_e32 v100, 16, v84
	v_cndmask_b32_e64 v111, v112, v95, s17
	v_cndmask_b32_e64 v112, v113, v99, s17
	v_cndmask_b32_e32 v82, v82, v103, vcc_lo
	v_cndmask_b32_e32 v83, v83, v107, vcc_lo
	v_cndmask_b32_e64 v94, v94, v103, s13
	v_cndmask_b32_e64 v90, v90, v80, s3
	;; [unrolled: 1-line block ×7, first 2 shown]
	v_lshrrev_b32_e32 v104, 16, v88
	v_cndmask_b32_e64 v106, v111, v80, s21
	v_cndmask_b32_e64 v110, v112, v84, s21
	;; [unrolled: 1-line block ×11, first 2 shown]
	v_lshrrev_b32_e32 v97, 16, v81
	v_lshrrev_b32_e32 v101, 16, v85
	v_cndmask_b32_e64 v99, v106, v96, s23
	v_cndmask_b32_e64 v102, v110, v100, s23
	;; [unrolled: 1-line block ×7, first 2 shown]
	v_lshrrev_b32_e32 v105, 16, v89
	v_cndmask_b32_e64 v80, v80, v104, s6
	v_cndmask_b32_e64 v84, v84, v81, s7
	;; [unrolled: 1-line block ×16, first 2 shown]
	v_perm_b32 v81, v79, v78, 0x5040100
	v_perm_b32 v79, v95, v85, 0x5040100
	v_cndmask_b32_e64 v78, v119, v91, s15
	v_cndmask_b32_e64 v85, v117, v91, s12
	v_cndmask_b32_e64 v96, v80, v105, s8
	v_perm_b32 v80, v94, v90, 0x5040100
	v_cndmask_b32_e64 v90, v98, v103, s17
	v_cndmask_b32_e64 v86, v86, v103, s18
	v_cndmask_b32_e64 v87, v87, v107, s18
	v_cndmask_b32_e64 v78, v78, v107, s17
	v_cndmask_b32_e64 v85, v85, v107, s13
	v_lshrrev_b32_e32 v108, 16, v92
	v_cndmask_b32_e64 v90, v90, v88, s21
	v_cndmask_b32_e64 v86, v86, v88, s22
	;; [unrolled: 1-line block ×11, first 2 shown]
	v_lshrrev_b32_e32 v109, 16, v93
	v_cndmask_b32_e64 v82, v82, v93, s7
	v_cndmask_b32_e64 v88, v88, v89, s26
	;; [unrolled: 1-line block ×12, first 2 shown]
	v_perm_b32 v78, v84, v83, 0x5040100
	v_perm_b32 v85, v87, v86, 0x5040100
	;; [unrolled: 1-line block ×5, first 2 shown]
	s_mul_i32 s8, s33, 11
	s_mov_b32 s3, exec_lo
	ds_store_b128 v74, v[78:81]
	ds_store_b128 v74, v[82:85] offset:1024
	v_cmpx_gt_u32_e32 11, v0
	s_cbranch_execz .LBB1304_14
; %bb.13:
	s_mul_i32 s4, s8, s34
	s_delay_alu instid0(SALU_CYCLE_1) | instskip(SKIP_1) | instid1(VALU_DEP_1)
	v_add3_u32 v68, s4, s31, v68
	s_load_b128 s[4:7], s[0:1], 0x58
	v_mad_u64_u32 v[78:79], null, v68, s35, s[14:15]
	s_delay_alu instid0(VALU_DEP_1) | instskip(NEXT) | instid1(VALU_DEP_1)
	v_ashrrev_i32_e32 v79, 31, v78
	v_lshlrev_b64 v[78:79], 2, v[78:79]
	s_waitcnt lgkmcnt(0)
	s_delay_alu instid0(VALU_DEP_1) | instskip(NEXT) | instid1(VALU_DEP_2)
	v_add_co_u32 v80, vcc_lo, s6, v78
	v_add_co_ci_u32_e32 v81, vcc_lo, s7, v79, vcc_lo
	v_add_co_u32 v78, vcc_lo, s4, v78
	v_add_co_ci_u32_e32 v79, vcc_lo, s5, v79, vcc_lo
	global_store_b32 v[80:81], v76, off
	global_store_b32 v[78:79], v77, off
.LBB1304_14:
	s_or_b32 exec_lo, exec_lo, s3
	s_waitcnt lgkmcnt(0)
	s_waitcnt_vscnt null, 0x0
	s_barrier
	buffer_gl0_inv
	ds_load_b128 v[84:87], v73
	ds_load_b128 v[88:91], v73 offset:16
	ds_load_b128 v[96:99], v73 offset:2064
	;; [unrolled: 1-line block ×5, first 2 shown]
	v_cmp_eq_u32_e32 vcc_lo, 1, v70
	v_mov_b32_e32 v76, 0
	ds_load_b128 v[112:115], v73 offset:6160
	ds_load_b128 v[108:111], v73 offset:6144
	;; [unrolled: 1-line block ×4, first 2 shown]
	v_cmp_eq_u32_e64 s4, 1, v69
	v_cmp_eq_u32_e64 s3, 1, v72
	;; [unrolled: 1-line block ×3, first 2 shown]
	v_mov_b32_e32 v77, v76
	v_mov_b32_e32 v78, v76
	v_mov_b32_e32 v79, v76
	v_mov_b32_e32 v80, v76
	v_mov_b32_e32 v81, v76
	v_mov_b32_e32 v82, v76
	v_mov_b32_e32 v83, v76
	v_cmp_eq_u32_e64 s6, 3, v72
	v_cmp_eq_u32_e64 s7, 7, v72
	s_waitcnt lgkmcnt(8)
	s_delay_alu instid0(VALU_DEP_3)
	v_wmma_f32_16x16x16_f16 v[76:83], v[49:56], v[84:91], v[76:83]
	ds_load_b128 v[53:56], v73 offset:10256
	ds_load_b128 v[49:52], v73 offset:10240
	s_waitcnt lgkmcnt(8)
	v_wmma_f32_16x16x16_f16 v[76:83], v[41:48], v[92:99], v[76:83]
	ds_load_b128 v[45:48], v73 offset:12304
	ds_load_b128 v[41:44], v73 offset:12288
	s_waitcnt lgkmcnt(8)
	;; [unrolled: 4-line block ×3, first 2 shown]
	s_barrier
	buffer_gl0_inv
	v_wmma_f32_16x16x16_f16 v[76:83], v[1:8], v[108:115], v[76:83]
	s_delay_alu instid0(VALU_DEP_1) | instskip(NEXT) | instid1(VALU_DEP_1)
	v_wmma_f32_16x16x16_f16 v[76:83], v[9:16], v[116:123], v[76:83]
	v_wmma_f32_16x16x16_f16 v[76:83], v[17:24], v[49:56], v[76:83]
	s_delay_alu instid0(VALU_DEP_1) | instskip(NEXT) | instid1(VALU_DEP_1)
	v_wmma_f32_16x16x16_f16 v[76:83], v[25:32], v[41:48], v[76:83]
	v_wmma_f32_16x16x16_f16 v[76:83], v[57:64], v[33:40], v[76:83]
	s_delay_alu instid0(VALU_DEP_1) | instskip(NEXT) | instid1(VALU_DEP_2)
	v_cvt_f16_f32_e32 v1, v76
	v_cvt_f16_f32_e32 v2, v77
	s_delay_alu instid0(VALU_DEP_3) | instskip(NEXT) | instid1(VALU_DEP_4)
	v_cvt_f16_f32_e32 v3, v78
	v_cvt_f16_f32_e32 v4, v79
	;; [unrolled: 1-line block ×6, first 2 shown]
	v_pack_b32_f16 v1, v1, v2
	v_pack_b32_f16 v2, v3, v4
	;; [unrolled: 1-line block ×3, first 2 shown]
	s_delay_alu instid0(VALU_DEP_4)
	v_pack_b32_f16 v4, v7, v8
	ds_store_b128 v74, v[1:4]
	s_waitcnt lgkmcnt(0)
	s_barrier
	buffer_gl0_inv
	ds_load_b128 v[1:4], v75
	ds_load_b128 v[5:8], v75 offset:16
	s_waitcnt lgkmcnt(1)
	v_lshrrev_b32_e32 v9, 16, v1
	s_waitcnt lgkmcnt(0)
	v_lshrrev_b32_e32 v13, 16, v5
	v_lshrrev_b32_e32 v10, 16, v2
	;; [unrolled: 1-line block ×4, first 2 shown]
	v_cndmask_b32_e32 v17, v1, v9, vcc_lo
	v_cndmask_b32_e32 v18, v5, v13, vcc_lo
	v_cndmask_b32_e64 v21, v1, v9, s4
	v_cmp_eq_u32_e32 vcc_lo, 1, v71
	v_cndmask_b32_e64 v22, v5, v13, s4
	v_cmp_eq_u32_e64 s4, 2, v70
	v_cndmask_b32_e64 v19, v1, v9, s3
	v_cndmask_b32_e64 v20, v5, v13, s3
	v_cndmask_b32_e32 v1, v1, v9, vcc_lo
	v_cmp_eq_u32_e64 s3, 2, v71
	v_cndmask_b32_e32 v5, v5, v13, vcc_lo
	v_cndmask_b32_e64 v9, v17, v2, s4
	v_cmp_eq_u32_e32 vcc_lo, 3, v70
	v_cndmask_b32_e64 v13, v18, v6, s4
	v_cmp_eq_u32_e64 s4, 2, v69
	v_cndmask_b32_e64 v17, v19, v2, s5
	v_cndmask_b32_e64 v18, v20, v6, s5
	v_cmp_eq_u32_e64 s5, 3, v69
	v_cndmask_b32_e64 v1, v1, v2, s3
	v_cndmask_b32_e64 v19, v21, v2, s4
	;; [unrolled: 1-line block ×4, first 2 shown]
	v_cndmask_b32_e32 v5, v9, v10, vcc_lo
	v_cndmask_b32_e32 v6, v13, v14, vcc_lo
	v_cmp_eq_u32_e32 vcc_lo, 3, v71
	v_cndmask_b32_e64 v9, v17, v10, s6
	v_cndmask_b32_e64 v13, v18, v14, s6
	;; [unrolled: 1-line block ×3, first 2 shown]
	v_cmp_eq_u32_e64 s4, 4, v70
	v_cndmask_b32_e32 v1, v1, v10, vcc_lo
	v_cndmask_b32_e32 v2, v2, v14, vcc_lo
	v_cmp_eq_u32_e32 vcc_lo, 4, v72
	v_lshrrev_b32_e32 v15, 16, v7
	v_lshrrev_b32_e32 v16, 16, v8
	v_cndmask_b32_e64 v17, v19, v10, s5
	v_cmp_eq_u32_e64 s3, 4, v71
	v_cndmask_b32_e64 v5, v5, v3, s4
	v_cndmask_b32_e64 v6, v6, v7, s4
	v_cndmask_b32_e32 v9, v9, v3, vcc_lo
	v_cmp_eq_u32_e64 s4, 5, v72
	v_cndmask_b32_e32 v10, v13, v7, vcc_lo
	v_cmp_eq_u32_e32 vcc_lo, 4, v69
	v_cmp_eq_u32_e64 s5, 5, v70
	v_cndmask_b32_e64 v2, v2, v7, s3
	v_cndmask_b32_e64 v9, v9, v11, s4
	;; [unrolled: 1-line block ×3, first 2 shown]
	v_cndmask_b32_e32 v13, v17, v3, vcc_lo
	v_cmp_eq_u32_e64 s4, 5, v69
	v_cndmask_b32_e32 v14, v18, v7, vcc_lo
	v_cndmask_b32_e64 v1, v1, v3, s3
	v_cmp_eq_u32_e32 vcc_lo, 5, v71
	v_lshrrev_b32_e32 v12, 16, v4
	v_cndmask_b32_e64 v13, v13, v11, s4
	v_cndmask_b32_e64 v3, v14, v15, s4
	v_cmp_eq_u32_e64 s4, 6, v71
	v_cndmask_b32_e32 v1, v1, v11, vcc_lo
	v_cndmask_b32_e64 v5, v5, v11, s5
	v_cmp_eq_u32_e64 s6, 6, v70
	v_cndmask_b32_e64 v6, v6, v15, s5
	v_cmp_eq_u32_e64 s5, 6, v72
	v_cmp_eq_u32_e64 s3, 6, v69
	v_cndmask_b32_e64 v1, v1, v4, s4
	v_cndmask_b32_e32 v2, v2, v15, vcc_lo
	v_cmp_eq_u32_e32 vcc_lo, 7, v71
	v_cndmask_b32_e64 v5, v5, v4, s6
	v_cndmask_b32_e64 v9, v9, v4, s5
	;; [unrolled: 1-line block ×3, first 2 shown]
	v_cmp_eq_u32_e64 s6, 7, v70
	v_cndmask_b32_e32 v1, v1, v12, vcc_lo
	v_cndmask_b32_e64 v7, v13, v4, s3
	v_cndmask_b32_e64 v3, v3, v8, s3
	;; [unrolled: 1-line block ×3, first 2 shown]
	v_cmp_eq_u32_e64 s3, 7, v69
	v_cndmask_b32_e64 v4, v10, v8, s5
	v_cndmask_b32_e64 v5, v5, v12, s6
	;; [unrolled: 1-line block ×3, first 2 shown]
	v_cndmask_b32_e32 v2, v2, v16, vcc_lo
	v_cndmask_b32_e64 v7, v7, v12, s3
	v_cndmask_b32_e64 v3, v3, v16, s3
	;; [unrolled: 1-line block ×4, first 2 shown]
	v_perm_b32 v4, v2, v1, 0x5040100
	s_mov_b32 s3, exec_lo
	v_perm_b32 v3, v3, v7, 0x5040100
	v_perm_b32 v2, v8, v9, 0x5040100
	;; [unrolled: 1-line block ×3, first 2 shown]
	ds_store_b128 v74, v[1:4]
	s_waitcnt lgkmcnt(0)
	s_barrier
	buffer_gl0_inv
	v_cmpx_gt_u32_e32 32, v0
	s_cbranch_execz .LBB1304_2
; %bb.15:
	s_load_b64 s[4:5], s[0:1], 0x68
	v_lshlrev_b32_e32 v0, 10, v0
	v_lshlrev_b32_e32 v1, 4, v67
	s_lshl_b32 s0, s35, 7
	v_add_nc_u32_e32 v7, s31, v66
	s_mul_i32 s1, s0, s34
	s_delay_alu instid0(SALU_CYCLE_1) | instskip(SKIP_1) | instid1(VALU_DEP_2)
	s_mul_i32 s6, s1, s8
	v_and_or_b32 v0, 0x3800, v0, v1
	v_mul_lo_u32 v1, v7, s0
	v_add_nc_u32_e32 v2, 2, v7
	s_ashr_i32 s7, s6, 31
	v_add_nc_u32_e32 v4, 4, v7
	s_lshl_b64 s[6:7], s[6:7], 1
	v_add_nc_u32_e32 v8, 6, v7
	v_mul_lo_u32 v3, v2, s0
	v_lshl_or_b32 v19, v66, 6, v0
	v_ashrrev_i32_e32 v2, 31, v1
	v_mul_lo_u32 v11, v4, s0
	v_mul_lo_u32 v25, v8, s0
	s_waitcnt lgkmcnt(0)
	s_add_u32 s1, s4, s6
	s_addc_u32 s3, s5, s7
	s_lshl_b32 s4, s14, 7
	v_lshlrev_b64 v[5:6], 1, v[1:2]
	s_ashr_i32 s5, s4, 31
	v_ashrrev_i32_e32 v4, 31, v3
	s_lshl_b64 s[4:5], s[4:5], 1
	v_ashrrev_i32_e32 v12, 31, v11
	s_add_u32 s1, s1, s4
	s_addc_u32 s3, s3, s5
	v_add_co_u32 v1, s1, s1, v65
	s_delay_alu instid0(VALU_DEP_1) | instskip(SKIP_1) | instid1(VALU_DEP_3)
	v_add_co_ci_u32_e64 v2, null, s3, 0, s1
	v_lshlrev_b64 v[3:4], 1, v[3:4]
	v_add_co_u32 v23, vcc_lo, v1, v5
	v_add_nc_u32_e32 v5, 8, v7
	s_delay_alu instid0(VALU_DEP_4) | instskip(NEXT) | instid1(VALU_DEP_4)
	v_add_co_ci_u32_e32 v24, vcc_lo, v2, v6, vcc_lo
	v_add_co_u32 v27, vcc_lo, v1, v3
	s_delay_alu instid0(VALU_DEP_3)
	v_mul_lo_u32 v29, v5, s0
	v_add_co_ci_u32_e32 v28, vcc_lo, v2, v4, vcc_lo
	ds_load_b128 v[3:6], v19
	ds_load_b128 v[7:10], v19 offset:128
	v_lshlrev_b64 v[31:32], 1, v[11:12]
	ds_load_b128 v[11:14], v19 offset:256
	ds_load_b128 v[15:18], v19 offset:384
	;; [unrolled: 1-line block ×3, first 2 shown]
	v_ashrrev_i32_e32 v26, 31, v25
	v_ashrrev_i32_e32 v30, 31, v29
	v_add_co_u32 v31, vcc_lo, v1, v31
	s_delay_alu instid0(VALU_DEP_3) | instskip(NEXT) | instid1(VALU_DEP_3)
	v_lshlrev_b64 v[25:26], 1, v[25:26]
	v_lshlrev_b64 v[29:30], 1, v[29:30]
	v_add_co_ci_u32_e32 v32, vcc_lo, v2, v32, vcc_lo
	s_delay_alu instid0(VALU_DEP_3) | instskip(NEXT) | instid1(VALU_DEP_4)
	v_add_co_u32 v25, vcc_lo, v1, v25
	v_add_co_ci_u32_e32 v26, vcc_lo, v2, v26, vcc_lo
	s_delay_alu instid0(VALU_DEP_4)
	v_add_co_u32 v29, vcc_lo, v1, v29
	v_add_co_ci_u32_e32 v30, vcc_lo, v2, v30, vcc_lo
	s_waitcnt lgkmcnt(4)
	global_store_b128 v[23:24], v[3:6], off
	s_waitcnt lgkmcnt(3)
	global_store_b128 v[27:28], v[7:10], off
	;; [unrolled: 2-line block ×5, first 2 shown]
	s_and_b32 exec_lo, exec_lo, s2
	s_cbranch_execz .LBB1304_2
; %bb.16:
	ds_load_b128 v[3:6], v0 offset:640
	s_add_i32 s1, s31, 10
	s_delay_alu instid0(SALU_CYCLE_1) | instskip(NEXT) | instid1(SALU_CYCLE_1)
	s_mul_i32 s0, s1, s0
	s_ashr_i32 s1, s0, 31
	s_delay_alu instid0(SALU_CYCLE_1) | instskip(NEXT) | instid1(SALU_CYCLE_1)
	s_lshl_b64 s[0:1], s[0:1], 1
	v_add_co_u32 v0, vcc_lo, v1, s0
	v_add_co_ci_u32_e32 v1, vcc_lo, s1, v2, vcc_lo
	s_waitcnt lgkmcnt(0)
	global_store_b128 v[0:1], v[3:6], off
	s_nop 0
	s_sendmsg sendmsg(MSG_DEALLOC_VGPRS)
	s_endpgm
	.section	.rodata,"a",@progbits
	.p2align	6, 0x0
	.amdhsa_kernel _Z39paged_attention_ll4mi_QKV_mfma16_kernelIDF16_hLN4vllm18Fp8KVCacheDataTypeE1EhLi32ELi128ELi256ELb0ELi11EL8MFMAType0EEvPKT_PKT0_S8_ifPKiSA_SA_iPKfiiiPfSD_PS3_PT2_iSC_SC_
		.amdhsa_group_segment_fixed_size 17472
		.amdhsa_private_segment_fixed_size 0
		.amdhsa_kernarg_size 400
		.amdhsa_user_sgpr_count 13
		.amdhsa_user_sgpr_dispatch_ptr 0
		.amdhsa_user_sgpr_queue_ptr 0
		.amdhsa_user_sgpr_kernarg_segment_ptr 1
		.amdhsa_user_sgpr_dispatch_id 0
		.amdhsa_user_sgpr_private_segment_size 0
		.amdhsa_wavefront_size32 1
		.amdhsa_uses_dynamic_stack 0
		.amdhsa_enable_private_segment 0
		.amdhsa_system_sgpr_workgroup_id_x 1
		.amdhsa_system_sgpr_workgroup_id_y 1
		.amdhsa_system_sgpr_workgroup_id_z 1
		.amdhsa_system_sgpr_workgroup_info 0
		.amdhsa_system_vgpr_workitem_id 0
		.amdhsa_next_free_vgpr 150
		.amdhsa_next_free_sgpr 37
		.amdhsa_reserve_vcc 1
		.amdhsa_float_round_mode_32 0
		.amdhsa_float_round_mode_16_64 0
		.amdhsa_float_denorm_mode_32 3
		.amdhsa_float_denorm_mode_16_64 3
		.amdhsa_dx10_clamp 1
		.amdhsa_ieee_mode 1
		.amdhsa_fp16_overflow 0
		.amdhsa_workgroup_processor_mode 1
		.amdhsa_memory_ordered 1
		.amdhsa_forward_progress 0
		.amdhsa_shared_vgpr_count 0
		.amdhsa_exception_fp_ieee_invalid_op 0
		.amdhsa_exception_fp_denorm_src 0
		.amdhsa_exception_fp_ieee_div_zero 0
		.amdhsa_exception_fp_ieee_overflow 0
		.amdhsa_exception_fp_ieee_underflow 0
		.amdhsa_exception_fp_ieee_inexact 0
		.amdhsa_exception_int_div_zero 0
	.end_amdhsa_kernel
	.section	.text._Z39paged_attention_ll4mi_QKV_mfma16_kernelIDF16_hLN4vllm18Fp8KVCacheDataTypeE1EhLi32ELi128ELi256ELb0ELi11EL8MFMAType0EEvPKT_PKT0_S8_ifPKiSA_SA_iPKfiiiPfSD_PS3_PT2_iSC_SC_,"axG",@progbits,_Z39paged_attention_ll4mi_QKV_mfma16_kernelIDF16_hLN4vllm18Fp8KVCacheDataTypeE1EhLi32ELi128ELi256ELb0ELi11EL8MFMAType0EEvPKT_PKT0_S8_ifPKiSA_SA_iPKfiiiPfSD_PS3_PT2_iSC_SC_,comdat
.Lfunc_end1304:
	.size	_Z39paged_attention_ll4mi_QKV_mfma16_kernelIDF16_hLN4vllm18Fp8KVCacheDataTypeE1EhLi32ELi128ELi256ELb0ELi11EL8MFMAType0EEvPKT_PKT0_S8_ifPKiSA_SA_iPKfiiiPfSD_PS3_PT2_iSC_SC_, .Lfunc_end1304-_Z39paged_attention_ll4mi_QKV_mfma16_kernelIDF16_hLN4vllm18Fp8KVCacheDataTypeE1EhLi32ELi128ELi256ELb0ELi11EL8MFMAType0EEvPKT_PKT0_S8_ifPKiSA_SA_iPKfiiiPfSD_PS3_PT2_iSC_SC_
                                        ; -- End function
	.section	.AMDGPU.csdata,"",@progbits
; Kernel info:
; codeLenInByte = 6808
; NumSgprs: 39
; NumVgprs: 150
; ScratchSize: 0
; MemoryBound: 0
; FloatMode: 240
; IeeeMode: 1
; LDSByteSize: 17472 bytes/workgroup (compile time only)
; SGPRBlocks: 4
; VGPRBlocks: 18
; NumSGPRsForWavesPerEU: 39
; NumVGPRsForWavesPerEU: 150
; Occupancy: 9
; WaveLimiterHint : 1
; COMPUTE_PGM_RSRC2:SCRATCH_EN: 0
; COMPUTE_PGM_RSRC2:USER_SGPR: 13
; COMPUTE_PGM_RSRC2:TRAP_HANDLER: 0
; COMPUTE_PGM_RSRC2:TGID_X_EN: 1
; COMPUTE_PGM_RSRC2:TGID_Y_EN: 1
; COMPUTE_PGM_RSRC2:TGID_Z_EN: 1
; COMPUTE_PGM_RSRC2:TIDIG_COMP_CNT: 0
	.section	.text._Z39paged_attention_ll4mi_QKV_mfma16_kernelIDF16_hLN4vllm18Fp8KVCacheDataTypeE1EhLi32ELi128ELi256ELb0ELi12EL8MFMAType0EEvPKT_PKT0_S8_ifPKiSA_SA_iPKfiiiPfSD_PS3_PT2_iSC_SC_,"axG",@progbits,_Z39paged_attention_ll4mi_QKV_mfma16_kernelIDF16_hLN4vllm18Fp8KVCacheDataTypeE1EhLi32ELi128ELi256ELb0ELi12EL8MFMAType0EEvPKT_PKT0_S8_ifPKiSA_SA_iPKfiiiPfSD_PS3_PT2_iSC_SC_,comdat
	.protected	_Z39paged_attention_ll4mi_QKV_mfma16_kernelIDF16_hLN4vllm18Fp8KVCacheDataTypeE1EhLi32ELi128ELi256ELb0ELi12EL8MFMAType0EEvPKT_PKT0_S8_ifPKiSA_SA_iPKfiiiPfSD_PS3_PT2_iSC_SC_ ; -- Begin function _Z39paged_attention_ll4mi_QKV_mfma16_kernelIDF16_hLN4vllm18Fp8KVCacheDataTypeE1EhLi32ELi128ELi256ELb0ELi12EL8MFMAType0EEvPKT_PKT0_S8_ifPKiSA_SA_iPKfiiiPfSD_PS3_PT2_iSC_SC_
	.globl	_Z39paged_attention_ll4mi_QKV_mfma16_kernelIDF16_hLN4vllm18Fp8KVCacheDataTypeE1EhLi32ELi128ELi256ELb0ELi12EL8MFMAType0EEvPKT_PKT0_S8_ifPKiSA_SA_iPKfiiiPfSD_PS3_PT2_iSC_SC_
	.p2align	8
	.type	_Z39paged_attention_ll4mi_QKV_mfma16_kernelIDF16_hLN4vllm18Fp8KVCacheDataTypeE1EhLi32ELi128ELi256ELb0ELi12EL8MFMAType0EEvPKT_PKT0_S8_ifPKiSA_SA_iPKfiiiPfSD_PS3_PT2_iSC_SC_,@function
_Z39paged_attention_ll4mi_QKV_mfma16_kernelIDF16_hLN4vllm18Fp8KVCacheDataTypeE1EhLi32ELi128ELi256ELb0ELi12EL8MFMAType0EEvPKT_PKT0_S8_ifPKiSA_SA_iPKfiiiPfSD_PS3_PT2_iSC_SC_: ; @_Z39paged_attention_ll4mi_QKV_mfma16_kernelIDF16_hLN4vllm18Fp8KVCacheDataTypeE1EhLi32ELi128ELi256ELb0ELi12EL8MFMAType0EEvPKT_PKT0_S8_ifPKiSA_SA_iPKfiiiPfSD_PS3_PT2_iSC_SC_
; %bb.0:
	s_load_b64 s[4:5], s[0:1], 0x30
	s_mov_b32 s30, s13
	s_waitcnt lgkmcnt(0)
	s_cmp_lg_u64 s[4:5], 0
	s_cselect_b32 s8, -1, 0
	s_ashr_i32 s31, s13, 31
	s_cmp_eq_u64 s[4:5], 0
	s_cbranch_scc1 .LBB1305_3
; %bb.1:
	s_lshl_b64 s[2:3], s[30:31], 2
	s_delay_alu instid0(SALU_CYCLE_1) | instskip(SKIP_4) | instid1(SALU_CYCLE_1)
	s_add_u32 s2, s4, s2
	s_addc_u32 s3, s5, s3
	s_load_b64 s[2:3], s[2:3], 0x0
	s_waitcnt lgkmcnt(0)
	s_sub_i32 s2, s3, s2
	s_cmp_eq_u32 s2, 1
	s_cselect_b32 s2, -1, 0
	s_delay_alu instid0(SALU_CYCLE_1)
	s_and_not1_b32 vcc_lo, exec_lo, s2
	s_cbranch_vccz .LBB1305_4
.LBB1305_2:
	s_endpgm
.LBB1305_3:
.LBB1305_4:
	s_load_b64 s[2:3], s[0:1], 0x28
	s_lshl_b64 s[6:7], s[30:31], 2
	s_waitcnt lgkmcnt(0)
	s_add_u32 s2, s2, s6
	s_addc_u32 s3, s3, s7
	s_lshl_b32 s12, s14, 8
	s_load_b32 s24, s[2:3], 0x0
	s_waitcnt lgkmcnt(0)
	s_cmp_ge_i32 s12, s24
	s_cbranch_scc1 .LBB1305_2
; %bb.5:
	s_clause 0x1
	s_load_b128 s[20:23], s[0:1], 0x8
	s_load_b64 s[2:3], s[0:1], 0x20
	s_and_not1_b32 vcc_lo, exec_lo, s8
	s_cbranch_vccnz .LBB1305_7
; %bb.6:
	s_add_u32 s4, s4, s6
	s_addc_u32 s5, s5, s7
	s_load_b32 s5, s[4:5], 0x0
	s_branch .LBB1305_8
.LBB1305_7:
	s_mov_b32 s5, s30
.LBB1305_8:
	s_load_b128 s[16:19], s[0:1], 0x48
	v_and_b32_e32 v68, 15, v0
	v_lshrrev_b32_e32 v69, 5, v0
	v_and_b32_e32 v70, 31, v0
	v_and_b32_e32 v67, 1, v0
	v_bfe_u32 v66, v0, 4, 1
	v_lshlrev_b32_e32 v1, 3, v68
	s_mul_i32 s31, s15, 12
	s_mov_b32 s4, exec_lo
	s_delay_alu instid0(VALU_DEP_1)
	v_lshlrev_b32_e32 v65, 1, v1
	v_cmpx_gt_u32_e32 0xc0, v0
	s_cbranch_execz .LBB1305_10
; %bb.9:
	s_load_b64 s[6:7], s[0:1], 0x0
	v_lshl_or_b32 v5, v69, 1, v66
	s_waitcnt lgkmcnt(0)
	s_mul_hi_i32 s9, s5, s16
	s_mul_i32 s8, s5, s16
	v_lshlrev_b32_e32 v6, 10, v68
	s_lshl_b64 s[8:9], s[8:9], 1
	v_add_lshl_u32 v1, v5, s31, 7
	v_lshlrev_b32_e32 v5, 6, v5
	v_lshlrev_b32_e32 v7, 10, v67
	v_and_b32_e32 v6, 0x3800, v6
	s_delay_alu instid0(VALU_DEP_4) | instskip(NEXT) | instid1(VALU_DEP_2)
	v_ashrrev_i32_e32 v2, 31, v1
	v_or3_b32 v5, v6, v7, v5
	s_delay_alu instid0(VALU_DEP_2) | instskip(SKIP_2) | instid1(VALU_DEP_1)
	v_lshlrev_b64 v[1:2], 1, v[1:2]
	s_add_u32 s5, s6, s8
	s_addc_u32 s6, s7, s9
	v_add_co_u32 v1, vcc_lo, s5, v1
	s_delay_alu instid0(VALU_DEP_2) | instskip(NEXT) | instid1(VALU_DEP_2)
	v_add_co_ci_u32_e32 v2, vcc_lo, s6, v2, vcc_lo
	v_add_co_u32 v1, vcc_lo, v1, v65
	s_delay_alu instid0(VALU_DEP_2)
	v_add_co_ci_u32_e32 v2, vcc_lo, 0, v2, vcc_lo
	global_load_b128 v[1:4], v[1:2], off
	s_waitcnt vmcnt(0)
	ds_store_b128 v5, v[1:4]
.LBB1305_10:
	s_or_b32 exec_lo, exec_lo, s4
	v_and_b32_e32 v1, 0xef, v0
	s_waitcnt lgkmcnt(0)
	s_add_i32 s5, s24, 31
	s_clause 0x1
	s_load_b32 s4, s[0:1], 0x38
	s_load_b32 s33, s[0:1], 0x98
	s_ashr_i32 s6, s5, 31
	v_add_nc_u32_e32 v1, s12, v1
	s_lshr_b32 s6, s6, 27
	s_load_b32 s19, s[0:1], 0x1c
	s_add_i32 s5, s5, s6
	s_waitcnt lgkmcnt(0)
	v_ashrrev_i32_e32 v2, 31, v1
	v_or_b32_e32 v3, 16, v1
	s_ashr_i32 s13, s5, 5
	v_cmp_gt_i32_e32 vcc_lo, s24, v1
	s_add_i32 s13, s13, -1
	v_lshrrev_b32_e32 v2, 27, v2
	s_barrier
	buffer_gl0_inv
	s_mul_i32 s15, s15, s18
	v_add_nc_u32_e32 v4, v1, v2
	s_mul_i32 s4, s30, s4
	s_delay_alu instid0(SALU_CYCLE_1) | instskip(NEXT) | instid1(VALU_DEP_1)
	s_ashr_i32 s5, s4, 31
	v_ashrrev_i32_e32 v4, 5, v4
	v_add_nc_u32_e32 v2, v3, v2
	s_lshl_b64 s[4:5], s[4:5], 2
	s_delay_alu instid0(SALU_CYCLE_1) | instskip(NEXT) | instid1(VALU_DEP_2)
	s_add_u32 s16, s2, s4
	v_cndmask_b32_e32 v1, s13, v4, vcc_lo
	s_delay_alu instid0(VALU_DEP_2)
	v_ashrrev_i32_e32 v2, 5, v2
	v_cmp_gt_i32_e32 vcc_lo, s24, v3
	s_addc_u32 s25, s3, s5
	s_ashr_i32 s18, s15, 31
	s_add_u32 s2, s20, s15
	s_addc_u32 s3, s21, s18
	v_cndmask_b32_e32 v3, s13, v2, vcc_lo
	v_ashrrev_i32_e32 v2, 31, v1
	s_lshl_b32 s4, s14, 3
	s_delay_alu instid0(SALU_CYCLE_1) | instskip(NEXT) | instid1(VALU_DEP_2)
	s_ashr_i32 s5, s4, 31
	v_ashrrev_i32_e32 v4, 31, v3
	s_delay_alu instid0(VALU_DEP_2) | instskip(SKIP_1) | instid1(SALU_CYCLE_1)
	v_lshlrev_b64 v[1:2], 2, v[1:2]
	s_lshl_b64 s[4:5], s[4:5], 2
	s_add_u32 s4, s16, s4
	s_delay_alu instid0(VALU_DEP_2) | instskip(SKIP_1) | instid1(VALU_DEP_2)
	v_lshlrev_b64 v[3:4], 2, v[3:4]
	s_addc_u32 s5, s25, s5
	v_add_co_u32 v1, vcc_lo, s16, v1
	v_add_co_ci_u32_e32 v2, vcc_lo, s25, v2, vcc_lo
	s_delay_alu instid0(VALU_DEP_3) | instskip(NEXT) | instid1(VALU_DEP_4)
	v_add_co_u32 v3, vcc_lo, s16, v3
	v_add_co_ci_u32_e32 v4, vcc_lo, s25, v4, vcc_lo
	s_clause 0x1
	global_load_b32 v5, v[1:2], off
	global_load_b32 v6, v[3:4], off
	s_or_b32 s6, s12, 32
	s_delay_alu instid0(SALU_CYCLE_1) | instskip(SKIP_2) | instid1(SALU_CYCLE_1)
	s_ashr_i32 s7, s6, 5
	s_cmp_lt_i32 s6, s24
	s_cselect_b32 s6, s7, s13
	s_ashr_i32 s7, s6, 31
	s_delay_alu instid0(SALU_CYCLE_1) | instskip(NEXT) | instid1(SALU_CYCLE_1)
	s_lshl_b64 s[6:7], s[6:7], 2
	s_add_u32 s6, s16, s6
	s_addc_u32 s7, s25, s7
	s_or_b32 s8, s12, 64
	s_delay_alu instid0(SALU_CYCLE_1) | instskip(SKIP_2) | instid1(SALU_CYCLE_1)
	s_ashr_i32 s9, s8, 5
	s_cmp_lt_i32 s8, s24
	s_cselect_b32 s8, s9, s13
	s_ashr_i32 s9, s8, 31
	s_delay_alu instid0(SALU_CYCLE_1) | instskip(NEXT) | instid1(SALU_CYCLE_1)
	s_lshl_b64 s[8:9], s[8:9], 2
	s_add_u32 s8, s16, s8
	s_addc_u32 s9, s25, s9
	s_or_b32 s10, s12, 0x60
	s_delay_alu instid0(SALU_CYCLE_1) | instskip(SKIP_2) | instid1(SALU_CYCLE_1)
	s_ashr_i32 s11, s10, 5
	s_cmp_lt_i32 s10, s24
	s_cselect_b32 s10, s11, s13
	s_ashr_i32 s11, s10, 31
	s_delay_alu instid0(SALU_CYCLE_1) | instskip(NEXT) | instid1(SALU_CYCLE_1)
	s_lshl_b64 s[10:11], s[10:11], 2
	s_add_u32 s10, s16, s10
	s_addc_u32 s11, s25, s11
	s_or_b32 s20, s12, 0x80
	s_delay_alu instid0(SALU_CYCLE_1) | instskip(SKIP_2) | instid1(SALU_CYCLE_1)
	s_ashr_i32 s21, s20, 5
	s_cmp_lt_i32 s20, s24
	s_cselect_b32 s20, s21, s13
	s_ashr_i32 s21, s20, 31
	s_delay_alu instid0(SALU_CYCLE_1) | instskip(NEXT) | instid1(SALU_CYCLE_1)
	s_lshl_b64 s[20:21], s[20:21], 2
	s_add_u32 s20, s16, s20
	s_addc_u32 s21, s25, s21
	s_or_b32 s26, s12, 0xa0
	s_delay_alu instid0(SALU_CYCLE_1) | instskip(SKIP_2) | instid1(SALU_CYCLE_1)
	s_ashr_i32 s27, s26, 5
	s_cmp_lt_i32 s26, s24
	s_cselect_b32 s26, s27, s13
	s_ashr_i32 s27, s26, 31
	s_delay_alu instid0(SALU_CYCLE_1) | instskip(NEXT) | instid1(SALU_CYCLE_1)
	s_lshl_b64 s[26:27], s[26:27], 2
	s_add_u32 s26, s16, s26
	s_addc_u32 s27, s25, s27
	s_clause 0x5
	s_load_b32 s28, s[4:5], 0x0
	s_load_b32 s29, s[6:7], 0x0
	;; [unrolled: 1-line block ×6, first 2 shown]
	s_mov_b32 s4, 0
	s_delay_alu instid0(SALU_CYCLE_1)
	s_mov_b32 s5, s4
	s_mov_b32 s6, s4
	;; [unrolled: 1-line block ×7, first 2 shown]
	s_delay_alu instid0(SALU_CYCLE_1)
	v_dual_mov_b32 v118, s11 :: v_dual_mov_b32 v117, s10
	v_dual_mov_b32 v116, s9 :: v_dual_mov_b32 v115, s8
	v_mov_b32_e32 v113, s6
	v_dual_mov_b32 v111, s4 :: v_dual_mov_b32 v114, s7
	v_mov_b32_e32 v112, s5
	s_waitcnt vmcnt(1)
	v_mad_i64_i32 v[1:2], null, v5, s17, s[2:3]
	v_lshlrev_b32_e32 v5, 4, v68
	s_waitcnt vmcnt(0)
	v_mad_i64_i32 v[3:4], null, v6, s17, s[2:3]
	s_or_b32 s2, s12, 0xc0
	s_delay_alu instid0(SALU_CYCLE_1) | instskip(NEXT) | instid1(VALU_DEP_3)
	s_ashr_i32 s3, s2, 5
	v_add_co_u32 v1, vcc_lo, v1, v5
	s_delay_alu instid0(VALU_DEP_4) | instskip(NEXT) | instid1(VALU_DEP_3)
	v_add_co_ci_u32_e32 v2, vcc_lo, 0, v2, vcc_lo
	v_add_co_u32 v3, vcc_lo, v3, v5
	s_delay_alu instid0(VALU_DEP_4)
	v_add_co_ci_u32_e32 v4, vcc_lo, 0, v4, vcc_lo
	s_clause 0xf
	global_load_b128 v[17:20], v[1:2], off
	global_load_b128 v[21:24], v[1:2], off offset:512
	global_load_b128 v[25:28], v[3:4], off offset:256
	global_load_b128 v[29:32], v[3:4], off offset:768
	global_load_b128 v[57:60], v[1:2], off offset:1024
	global_load_b128 v[61:64], v[1:2], off offset:1536
	global_load_b128 v[71:74], v[3:4], off offset:1280
	global_load_b128 v[75:78], v[3:4], off offset:1792
	global_load_b128 v[79:82], v[1:2], off offset:2048
	global_load_b128 v[83:86], v[1:2], off offset:2560
	global_load_b128 v[87:90], v[3:4], off offset:2304
	global_load_b128 v[91:94], v[3:4], off offset:2816
	global_load_b128 v[95:98], v[1:2], off offset:3072
	global_load_b128 v[99:102], v[1:2], off offset:3584
	global_load_b128 v[103:106], v[3:4], off offset:3328
	global_load_b128 v[107:110], v[3:4], off offset:3840
	s_cmp_lt_i32 s2, s24
	v_add_nc_u32_e32 v1, -12, v68
	s_cselect_b32 s2, s3, s13
	v_cmp_gt_u32_e32 vcc_lo, 12, v68
	s_ashr_i32 s3, s2, 31
	v_lshlrev_b32_e32 v2, 5, v68
	s_lshl_b64 s[2:3], s[2:3], 2
	s_delay_alu instid0(SALU_CYCLE_1)
	s_add_u32 s2, s16, s2
	s_addc_u32 s3, s25, s3
	s_or_b32 s20, s12, 0xe0
	v_cndmask_b32_e32 v1, v1, v68, vcc_lo
	s_ashr_i32 s21, s20, 5
	s_cmp_lt_i32 s20, s24
	s_cselect_b32 s20, s21, s13
	s_delay_alu instid0(VALU_DEP_1)
	v_lshlrev_b32_e32 v149, 6, v1
	s_ashr_i32 s21, s20, 31
	v_lshl_or_b32 v1, v69, 9, v2
	s_lshl_b64 s[4:5], s[20:21], 2
	ds_load_b128 v[119:122], v149
	ds_load_b128 v[123:126], v149 offset:1024
	s_add_u32 s4, s16, s4
	s_addc_u32 s5, s25, s5
	ds_load_b128 v[127:130], v149 offset:2048
	ds_load_b128 v[131:134], v149 offset:3072
	s_clause 0x1
	s_load_b32 s2, s[2:3], 0x0
	s_load_b32 s3, s[4:5], 0x0
	s_add_u32 s6, s22, s15
	s_addc_u32 s7, s23, s18
	v_add_co_u32 v135, s6, s6, v1
	s_delay_alu instid0(VALU_DEP_1) | instskip(SKIP_1) | instid1(VALU_DEP_1)
	v_add_co_ci_u32_e64 v136, null, s7, 0, s6
	s_waitcnt lgkmcnt(0)
	v_mad_i64_i32 v[1:2], null, s28, s17, v[135:136]
	v_mad_i64_i32 v[3:4], null, s29, s17, v[135:136]
	;; [unrolled: 1-line block ×6, first 2 shown]
	s_clause 0x9
	global_load_b128 v[49:52], v[1:2], off
	global_load_b128 v[53:56], v[1:2], off offset:16
	global_load_b128 v[41:44], v[3:4], off
	global_load_b128 v[45:48], v[3:4], off offset:16
	global_load_b128 v[33:36], v[5:6], off
	global_load_b128 v[37:40], v[5:6], off offset:16
	global_load_b128 v[1:4], v[7:8], off
	global_load_b128 v[5:8], v[7:8], off offset:16
	global_load_b128 v[9:12], v[13:14], off
	global_load_b128 v[13:16], v[13:14], off offset:16
	v_mad_i64_i32 v[145:146], null, s2, s17, v[135:136]
	v_mad_i64_i32 v[147:148], null, s3, s17, v[135:136]
	s_waitcnt vmcnt(24)
	v_wmma_f32_16x16x16_f16 v[135:142], v[17:24], v[119:126], v[111:118]
	s_waitcnt vmcnt(22)
	v_wmma_f32_16x16x16_f16 v[111:118], v[25:32], v[119:126], v[111:118]
	s_clause 0x3
	global_load_b128 v[17:20], v[143:144], off
	global_load_b128 v[21:24], v[143:144], off offset:16
	global_load_b128 v[25:28], v[145:146], off
	global_load_b128 v[29:32], v[145:146], off offset:16
	v_and_b32_e32 v119, 0xe0, v0
	s_waitcnt vmcnt(24)
	v_wmma_f32_16x16x16_f16 v[135:142], v[57:64], v[127:134], v[135:142]
	s_clause 0x1
	global_load_b128 v[57:60], v[147:148], off
	global_load_b128 v[61:64], v[147:148], off offset:16
	s_waitcnt vmcnt(24)
	v_wmma_f32_16x16x16_f16 v[111:118], v[71:78], v[127:134], v[111:118]
	ds_load_b128 v[71:74], v149 offset:4096
	ds_load_b128 v[75:78], v149 offset:5120
	v_add_nc_u32_e32 v128, s12, v119
	ds_load_b128 v[119:122], v149 offset:6144
	ds_load_b128 v[123:126], v149 offset:7168
	v_mbcnt_lo_u32_b32 v127, -1, 0
	s_waitcnt vmcnt(0) lgkmcnt(0)
	s_barrier
	v_or_b32_e32 v128, v128, v66
	buffer_gl0_inv
	v_xor_b32_e32 v129, 16, v127
	v_or_b32_e32 v130, 4, v128
	v_or_b32_e32 v131, 6, v128
	s_delay_alu instid0(VALU_DEP_3) | instskip(SKIP_4) | instid1(VALU_DEP_4)
	v_cmp_gt_i32_e32 vcc_lo, 32, v129
	v_or_b32_e32 v132, 8, v128
	v_or_b32_e32 v133, 10, v128
	v_cmp_gt_i32_e64 s3, s24, v130
	v_cmp_gt_i32_e64 s4, s24, v131
	;; [unrolled: 1-line block ×3, first 2 shown]
	v_wmma_f32_16x16x16_f16 v[135:142], v[79:86], v[71:78], v[135:142]
	v_wmma_f32_16x16x16_f16 v[111:118], v[87:94], v[71:78], v[111:118]
	v_or_b32_e32 v79, 12, v128
	v_or_b32_e32 v80, 14, v128
	v_cmp_gt_i32_e64 s6, s24, v133
	v_wmma_f32_16x16x16_f16 v[135:142], v[95:102], v[119:126], v[135:142]
	v_wmma_f32_16x16x16_f16 v[111:118], v[103:110], v[119:126], v[111:118]
	v_cndmask_b32_e32 v127, v127, v129, vcc_lo
	v_or_b32_e32 v129, 2, v128
	v_cmp_gt_i32_e32 vcc_lo, s24, v128
	s_delay_alu instid0(VALU_DEP_4) | instskip(SKIP_1) | instid1(VALU_DEP_4)
	v_dual_mul_f32 v87, s19, v136 :: v_dual_mul_f32 v94, s19, v113
	v_mul_f32_e32 v88, s19, v135
	v_cmp_gt_i32_e64 s2, s24, v129
	v_mul_f32_e32 v78, s19, v138
	v_mul_f32_e32 v86, s19, v137
	;; [unrolled: 1-line block ×3, first 2 shown]
	v_cndmask_b32_e32 v88, 0xff7fffff, v88, vcc_lo
	v_cndmask_b32_e64 v87, 0xff7fffff, v87, s2
	v_dual_mul_f32 v77, s19, v139 :: v_dual_mul_f32 v90, s19, v117
	v_cndmask_b32_e64 v86, 0xff7fffff, v86, s3
	v_cndmask_b32_e64 v78, 0xff7fffff, v78, s4
	s_delay_alu instid0(VALU_DEP_4)
	v_max3_f32 v87, v88, 0xff7fffff, v87
	v_or_b32_e32 v81, 16, v128
	v_or_b32_e32 v82, 18, v128
	v_dual_mul_f32 v74, s19, v142 :: v_dual_mul_f32 v75, s19, v141
	v_mul_f32_e32 v96, s19, v111
	v_cndmask_b32_e64 v77, 0xff7fffff, v77, s5
	v_cndmask_b32_e64 v76, 0xff7fffff, v76, s6
	v_max3_f32 v78, v87, v86, v78
	v_cmp_gt_i32_e64 s7, s24, v79
	v_cmp_gt_i32_e64 s8, s24, v80
	v_or_b32_e32 v83, 20, v128
	v_or_b32_e32 v84, 22, v128
	v_mul_f32_e32 v95, s19, v112
	v_cndmask_b32_e64 v75, 0xff7fffff, v75, s7
	v_cndmask_b32_e64 v74, 0xff7fffff, v74, s8
	v_max3_f32 v76, v78, v77, v76
	v_cmp_gt_i32_e64 s9, s24, v81
	v_cmp_gt_i32_e64 s10, s24, v82
	v_or_b32_e32 v85, 24, v128
	v_or_b32_e32 v71, 26, v128
	;; [unrolled: 8-line block ×3, first 2 shown]
	v_dual_mul_f32 v91, s19, v116 :: v_dual_mul_f32 v92, s19, v115
	v_cndmask_b32_e64 v75, 0xff7fffff, v94, s11
	v_cndmask_b32_e64 v76, 0xff7fffff, v93, s12
	v_max3_f32 v74, v74, v77, v78
	v_cmp_gt_i32_e64 s13, s24, v85
	v_cmp_gt_i32_e64 s15, s24, v71
	v_mul_f32_e32 v89, s19, v118
	v_cmp_gt_i32_e64 s16, s24, v72
	v_max3_f32 v74, v74, v75, v76
	v_cndmask_b32_e64 v77, 0xff7fffff, v92, s13
	v_cndmask_b32_e64 v71, 0xff7fffff, v91, s15
	v_cmp_gt_i32_e64 s17, s24, v73
	v_cndmask_b32_e64 v72, 0xff7fffff, v90, s16
	s_delay_alu instid0(VALU_DEP_3) | instskip(SKIP_1) | instid1(VALU_DEP_4)
	v_max3_f32 v71, v74, v77, v71
	v_lshlrev_b32_e32 v74, 2, v127
	v_cndmask_b32_e64 v73, 0xff7fffff, v89, s17
	s_delay_alu instid0(VALU_DEP_1) | instskip(SKIP_3) | instid1(VALU_DEP_1)
	v_max3_f32 v71, v71, v72, v73
	ds_bpermute_b32 v72, v74, v71
	s_waitcnt lgkmcnt(0)
	v_max_f32_e32 v72, v72, v72
	v_max_f32_e32 v71, v71, v72
	s_delay_alu instid0(VALU_DEP_1) | instskip(SKIP_4) | instid1(VALU_DEP_4)
	v_fma_f32 v72, s19, v135, -v71
	v_fma_f32 v73, s19, v136, -v71
	;; [unrolled: 1-line block ×5, first 2 shown]
	v_dual_mul_f32 v72, 0x3fb8aa3b, v72 :: v_dual_mul_f32 v73, 0x3fb8aa3b, v73
	s_delay_alu instid0(VALU_DEP_3) | instskip(SKIP_1) | instid1(VALU_DEP_3)
	v_dual_mul_f32 v75, 0x3fb8aa3b, v75 :: v_dual_mul_f32 v76, 0x3fb8aa3b, v76
	v_fma_f32 v80, s19, v141, -v71
	v_exp_f32_e32 v72, v72
	s_delay_alu instid0(VALU_DEP_3) | instskip(NEXT) | instid1(VALU_DEP_2)
	v_exp_f32_e32 v73, v73
	v_exp_f32_e32 v75, v75
	;; [unrolled: 1-line block ×3, first 2 shown]
	v_mul_f32_e32 v82, 0x3fb8aa3b, v80
	s_delay_alu instid0(VALU_DEP_1) | instskip(SKIP_4) | instid1(TRANS32_DEP_3)
	v_exp_f32_e32 v84, v82
	v_cndmask_b32_e32 v79, 0, v72, vcc_lo
	v_fma_f32 v72, s19, v140, -v71
	v_mul_f32_e32 v77, 0x3fb8aa3b, v77
	v_cndmask_b32_e64 v78, 0, v73, s2
	v_cndmask_b32_e64 v81, 0, v75, s3
	s_delay_alu instid0(VALU_DEP_4) | instskip(NEXT) | instid1(VALU_DEP_4)
	v_dual_add_f32 v73, 0, v79 :: v_dual_mul_f32 v72, 0x3fb8aa3b, v72
	v_exp_f32_e32 v77, v77
	v_cndmask_b32_e64 v80, 0, v76, s4
	s_delay_alu instid0(TRANS32_DEP_2) | instskip(NEXT) | instid1(VALU_DEP_3)
	v_cndmask_b32_e64 v85, 0, v84, s7
	v_add_f32_e32 v73, v73, v78
	v_exp_f32_e32 v72, v72
	s_mov_b32 s2, exec_lo
	s_delay_alu instid0(VALU_DEP_1) | instskip(SKIP_4) | instid1(VALU_DEP_2)
	v_add_f32_e32 v73, v73, v81
	s_waitcnt_depctr 0xfff
	v_cndmask_b32_e64 v83, 0, v77, s5
	v_add_f32_e32 v73, v73, v80
	v_cndmask_b32_e64 v82, 0, v72, s6
	v_add_f32_e32 v72, v73, v83
	s_delay_alu instid0(VALU_DEP_1) | instskip(NEXT) | instid1(VALU_DEP_1)
	v_add_f32_e32 v72, v72, v82
	v_add_f32_e32 v72, v72, v85
	v_fma_f32 v76, s19, v111, -v71
	v_fma_f32 v75, s19, v142, -v71
	;; [unrolled: 1-line block ×5, first 2 shown]
	s_delay_alu instid0(VALU_DEP_4) | instskip(NEXT) | instid1(VALU_DEP_3)
	v_dual_mul_f32 v76, 0x3fb8aa3b, v76 :: v_dual_mul_f32 v75, 0x3fb8aa3b, v75
	v_mul_f32_e32 v86, 0x3fb8aa3b, v86
	s_delay_alu instid0(VALU_DEP_2) | instskip(NEXT) | instid1(VALU_DEP_2)
	v_exp_f32_e32 v76, v76
	v_exp_f32_e32 v75, v75
	s_delay_alu instid0(VALU_DEP_1) | instskip(NEXT) | instid1(TRANS32_DEP_3)
	v_exp_f32_e32 v88, v86
	v_cndmask_b32_e64 v87, 0, v76, s9
	v_fma_f32 v76, s19, v116, -v71
	v_mul_f32_e32 v77, 0x3fb8aa3b, v77
	s_waitcnt_depctr 0xfff
	v_cndmask_b32_e64 v84, 0, v75, s8
	v_fma_f32 v75, s19, v115, -v71
	v_cndmask_b32_e64 v88, 0, v88, s12
	v_mul_f32_e32 v76, 0x3fb8aa3b, v76
	v_exp_f32_e32 v77, v77
	v_add_f32_e32 v72, v72, v84
	s_delay_alu instid0(VALU_DEP_2) | instskip(NEXT) | instid1(VALU_DEP_1)
	v_exp_f32_e32 v76, v76
	v_add_f32_e32 v72, v72, v87
	s_waitcnt_depctr 0xfff
	v_cndmask_b32_e64 v86, 0, v77, s10
	v_mul_f32_e32 v73, 0x3fb8aa3b, v73
	v_fma_f32 v77, s19, v117, -v71
	v_cndmask_b32_e64 v90, 0, v76, s15
	s_delay_alu instid0(VALU_DEP_4) | instskip(NEXT) | instid1(VALU_DEP_4)
	v_add_f32_e32 v72, v72, v86
	v_exp_f32_e32 v73, v73
	s_waitcnt_depctr 0xfff
	v_cndmask_b32_e64 v89, 0, v73, s11
	s_delay_alu instid0(VALU_DEP_1) | instskip(NEXT) | instid1(VALU_DEP_1)
	v_dual_mul_f32 v75, 0x3fb8aa3b, v75 :: v_dual_add_f32 v72, v72, v89
	v_exp_f32_e32 v75, v75
	v_mul_f32_e32 v73, 0x3fb8aa3b, v77
	v_fma_f32 v77, s19, v118, -v71
	s_delay_alu instid0(VALU_DEP_3) | instskip(NEXT) | instid1(VALU_DEP_3)
	v_add_f32_e32 v72, v72, v88
	v_exp_f32_e32 v73, v73
	s_waitcnt_depctr 0xfff
	v_cndmask_b32_e64 v91, 0, v75, s13
	s_delay_alu instid0(VALU_DEP_1) | instskip(NEXT) | instid1(VALU_DEP_1)
	v_dual_mul_f32 v75, 0x3fb8aa3b, v77 :: v_dual_add_f32 v72, v72, v91
	v_exp_f32_e32 v75, v75
	v_cndmask_b32_e64 v93, 0, v73, s16
	s_delay_alu instid0(VALU_DEP_2) | instskip(NEXT) | instid1(VALU_DEP_1)
	v_add_f32_e32 v72, v72, v90
	v_add_f32_e32 v72, v72, v93
	s_waitcnt_depctr 0xfff
	v_cndmask_b32_e64 v92, 0, v75, s17
	s_delay_alu instid0(VALU_DEP_1)
	v_add_f32_e32 v72, v72, v92
	ds_bpermute_b32 v73, v74, v72
	v_cmpx_gt_u32_e32 16, v70
	s_cbranch_execz .LBB1305_12
; %bb.11:
	v_mul_u32_u24_e32 v70, 0x44, v69
	s_waitcnt lgkmcnt(0)
	v_add_f32_e32 v72, v72, v73
	s_delay_alu instid0(VALU_DEP_2) | instskip(NEXT) | instid1(VALU_DEP_1)
	v_lshl_add_u32 v70, v68, 2, v70
	v_add_nc_u32_e32 v70, 0x4000, v70
	ds_store_2addr_b32 v70, v71, v72 offset1:136
.LBB1305_12:
	s_or_b32 exec_lo, exec_lo, s2
	v_lshlrev_b32_e32 v70, 2, v68
	s_load_b32 s34, s[0:1], 0x94
	s_waitcnt lgkmcnt(0)
	s_barrier
	buffer_gl0_inv
	v_add_nc_u32_e32 v98, 0x4000, v70
	v_cmp_eq_u32_e32 vcc_lo, 1, v69
	v_cmp_eq_u32_e64 s2, 2, v69
	v_cmp_eq_u32_e64 s3, 3, v69
	;; [unrolled: 1-line block ×3, first 2 shown]
	ds_load_2addr_b32 v[70:71], v98 offset1:17
	ds_load_2addr_b32 v[72:73], v98 offset0:34 offset1:51
	ds_load_2addr_b32 v[74:75], v98 offset0:68 offset1:85
	;; [unrolled: 1-line block ×3, first 2 shown]
	v_cmp_eq_u32_e64 s5, 5, v69
	v_cmp_eq_u32_e64 s6, 7, v69
	s_waitcnt lgkmcnt(3)
	v_max3_f32 v76, v70, 0xff7fffff, v71
	s_waitcnt lgkmcnt(2)
	s_delay_alu instid0(VALU_DEP_1) | instskip(SKIP_1) | instid1(VALU_DEP_1)
	v_max3_f32 v76, v76, v72, v73
	s_waitcnt lgkmcnt(1)
	v_max3_f32 v76, v76, v74, v75
	s_waitcnt lgkmcnt(0)
	s_delay_alu instid0(VALU_DEP_1) | instskip(NEXT) | instid1(VALU_DEP_1)
	v_max3_f32 v76, v76, v94, v95
	v_sub_f32_e32 v77, v71, v76
	ds_load_2addr_b32 v[96:97], v98 offset0:136 offset1:153
	v_sub_f32_e32 v74, v74, v76
	v_sub_f32_e32 v70, v70, v76
	v_sub_f32_e32 v94, v94, v76
	v_dual_sub_f32 v72, v72, v76 :: v_dual_mul_f32 v77, 0x3fb8aa3b, v77
	s_delay_alu instid0(VALU_DEP_4) | instskip(NEXT) | instid1(VALU_DEP_4)
	v_mul_f32_e32 v103, 0x3fb8aa3b, v74
	v_mul_f32_e32 v99, 0x3fb8aa3b, v70
	ds_load_2addr_b32 v[70:71], v98 offset0:170 offset1:187
	v_dual_mul_f32 v101, 0x3fb8aa3b, v72 :: v_dual_mul_f32 v94, 0x3fb8aa3b, v94
	v_exp_f32_e32 v102, v77
	v_exp_f32_e32 v99, v99
	s_delay_alu instid0(VALU_DEP_1) | instskip(NEXT) | instid1(VALU_DEP_1)
	v_exp_f32_e32 v101, v101
	v_exp_f32_e32 v94, v94
	s_waitcnt lgkmcnt(1)
	s_delay_alu instid0(TRANS32_DEP_3)
	v_fma_f32 v77, v99, v96, 0
	v_sub_f32_e32 v100, v73, v76
	ds_load_2addr_b32 v[72:73], v98 offset0:204 offset1:221
	v_fmac_f32_e32 v77, v102, v97
	v_exp_f32_e32 v97, v103
	s_waitcnt lgkmcnt(1)
	s_delay_alu instid0(VALU_DEP_1)
	v_dual_fmac_f32 v77, v101, v70 :: v_dual_sub_f32 v96, v75, v76
	ds_load_2addr_b32 v[74:75], v98 offset0:238 offset1:255
	v_sub_f32_e32 v70, v95, v76
	s_waitcnt lgkmcnt(0)
	s_barrier
	v_mul_f32_e32 v96, 0x3fb8aa3b, v96
	buffer_gl0_inv
	v_exp_f32_e32 v95, v96
	v_mul_f32_e32 v100, 0x3fb8aa3b, v100
	s_delay_alu instid0(VALU_DEP_1) | instskip(SKIP_3) | instid1(VALU_DEP_2)
	v_exp_f32_e32 v100, v100
	s_waitcnt_depctr 0xfff
	v_dual_fmac_f32 v77, v100, v71 :: v_dual_mul_f32 v70, 0x3fb8aa3b, v70
	v_cndmask_b32_e32 v71, v99, v102, vcc_lo
	v_fmac_f32_e32 v77, v97, v72
	s_delay_alu instid0(VALU_DEP_3) | instskip(NEXT) | instid1(VALU_DEP_1)
	v_exp_f32_e32 v96, v70
	v_fmac_f32_e32 v77, v95, v73
	s_delay_alu instid0(VALU_DEP_1) | instskip(SKIP_2) | instid1(VALU_DEP_1)
	v_fmac_f32_e32 v77, v94, v74
	s_waitcnt_depctr 0xfff
	v_fmac_f32_e32 v77, v96, v75
	v_add_f32_e32 v74, 0x358637bd, v77
	s_delay_alu instid0(VALU_DEP_1) | instskip(SKIP_1) | instid1(VALU_DEP_2)
	v_div_scale_f32 v98, null, v74, v74, 1.0
	v_div_scale_f32 v99, vcc_lo, 1.0, v74, 1.0
	v_rcp_f32_e32 v103, v98
	s_waitcnt_depctr 0xfff
	v_fma_f32 v70, -v98, v103, 1.0
	s_delay_alu instid0(VALU_DEP_1) | instskip(SKIP_2) | instid1(VALU_DEP_2)
	v_fmac_f32_e32 v103, v70, v103
	v_cndmask_b32_e64 v70, v71, v101, s2
	v_cmp_eq_u32_e64 s2, 6, v69
	v_cndmask_b32_e64 v71, v70, v100, s3
	s_delay_alu instid0(VALU_DEP_4) | instskip(NEXT) | instid1(VALU_DEP_2)
	v_dual_mul_f32 v101, v99, v103 :: v_dual_lshlrev_b32 v70, 2, v66
	v_cndmask_b32_e64 v71, v71, v97, s4
	s_delay_alu instid0(VALU_DEP_2) | instskip(NEXT) | instid1(VALU_DEP_3)
	v_or_b32_e32 v72, 1, v70
	v_fma_f32 v100, -v98, v101, v99
	v_cmp_eq_u32_e64 s3, 1, v70
	v_cmp_eq_u32_e64 s4, 2, v70
	v_cndmask_b32_e64 v95, v71, v95, s5
	v_or_b32_e32 v71, 3, v70
	v_fmac_f32_e32 v101, v100, v103
	v_cmp_eq_u32_e64 s8, 1, v72
	v_cmp_eq_u32_e64 s11, 2, v72
	v_cndmask_b32_e64 v94, v95, v94, s2
	v_cmp_eq_u32_e64 s10, 1, v71
	v_fma_f32 v97, -v98, v101, v99
	v_cmp_eq_u32_e64 s15, 2, v71
	v_cmp_eq_u32_e64 s12, 3, v72
	v_cndmask_b32_e64 v94, v94, v96, s6
	v_cmp_eq_u32_e64 s17, 3, v71
	v_div_fmas_f32 v95, v97, v103, v101
	v_cmp_eq_u32_e32 vcc_lo, 3, v70
	v_cmp_eq_u32_e64 s2, 4, v70
	v_cmp_eq_u32_e64 s18, 4, v72
	v_cmp_eq_u32_e64 s21, 4, v71
	v_div_fixup_f32 v95, v95, v74, 1.0
	v_lshlrev_b32_e32 v73, 6, v68
	v_cmp_eq_u32_e64 s5, 5, v70
	v_cmp_eq_u32_e64 s19, 5, v72
	;; [unrolled: 1-line block ×3, first 2 shown]
	v_mul_f32_e32 v102, v94, v95
	v_lshl_or_b32 v75, v69, 11, v73
	v_or_b32_e32 v69, 2, v70
	v_cmp_eq_u32_e64 s24, 6, v72
	v_cmp_eq_u32_e64 s26, 6, v71
	v_fma_mixlo_f16 v94, v102, v79, 0
	v_fma_mixlo_f16 v95, v102, v81, 0
	;; [unrolled: 1-line block ×8, first 2 shown]
	v_lshl_or_b32 v74, v66, 4, v75
	v_fma_mixhi_f16 v94, v102, v78, 0
	v_fma_mixhi_f16 v95, v102, v80, 0
	;; [unrolled: 1-line block ×8, first 2 shown]
	ds_store_b128 v74, v[94:97]
	ds_store_b128 v74, v[98:101] offset:1024
	s_waitcnt lgkmcnt(0)
	s_barrier
	buffer_gl0_inv
	ds_load_b128 v[78:81], v75
	ds_load_b128 v[82:85], v75 offset:16
	ds_load_b128 v[86:89], v75 offset:1024
	;; [unrolled: 1-line block ×3, first 2 shown]
	v_cmp_eq_u32_e64 s9, 1, v69
	v_cmp_eq_u32_e64 s13, 2, v69
	;; [unrolled: 1-line block ×11, first 2 shown]
	s_waitcnt lgkmcnt(3)
	v_lshrrev_b32_e32 v94, 16, v78
	s_waitcnt lgkmcnt(2)
	v_lshrrev_b32_e32 v98, 16, v82
	;; [unrolled: 2-line block ×4, first 2 shown]
	v_lshrrev_b32_e32 v95, 16, v79
	v_cndmask_b32_e64 v110, v78, v94, s3
	v_cndmask_b32_e64 v111, v82, v98, s3
	;; [unrolled: 1-line block ×8, first 2 shown]
	v_lshrrev_b32_e32 v99, 16, v83
	v_cndmask_b32_e64 v94, v86, v102, s3
	v_cndmask_b32_e64 v98, v90, v106, s3
	;; [unrolled: 1-line block ×15, first 2 shown]
	v_lshrrev_b32_e32 v103, 16, v87
	v_lshrrev_b32_e32 v107, 16, v91
	v_cndmask_b32_e64 v113, v115, v83, s13
	v_cndmask_b32_e64 v82, v94, v87, s4
	;; [unrolled: 1-line block ×7, first 2 shown]
	v_cndmask_b32_e32 v90, v102, v95, vcc_lo
	v_cndmask_b32_e32 v102, v106, v99, vcc_lo
	v_cndmask_b32_e64 v106, v110, v95, s12
	v_cndmask_b32_e64 v110, v111, v99, s12
	;; [unrolled: 1-line block ×4, first 2 shown]
	v_lshrrev_b32_e32 v96, 16, v80
	v_lshrrev_b32_e32 v100, 16, v84
	v_cndmask_b32_e64 v111, v112, v95, s16
	v_cndmask_b32_e64 v112, v113, v99, s16
	v_cndmask_b32_e32 v82, v82, v103, vcc_lo
	v_cndmask_b32_e32 v83, v83, v107, vcc_lo
	v_cndmask_b32_e64 v94, v94, v103, s12
	v_cndmask_b32_e64 v90, v90, v80, s2
	v_cndmask_b32_e64 v95, v102, v84, s2
	v_cndmask_b32_e64 v99, v106, v80, s18
	v_cndmask_b32_e64 v102, v110, v84, s18
	v_cndmask_b32_e64 v78, v78, v80, s21
	v_cndmask_b32_e64 v79, v79, v84, s21
	v_lshrrev_b32_e32 v104, 16, v88
	v_cndmask_b32_e64 v106, v111, v80, s20
	v_cndmask_b32_e64 v110, v112, v84, s20
	v_cndmask_b32_e64 v80, v82, v88, s2
	v_cndmask_b32_e64 v82, v83, v92, s2
	v_cndmask_b32_e64 v83, v94, v88, s18
	v_cndmask_b32_e64 v84, v90, v96, s5
	v_cndmask_b32_e64 v90, v95, v100, s5
	v_cndmask_b32_e64 v94, v99, v96, s19
	v_cndmask_b32_e64 v95, v102, v100, s19
	v_cndmask_b32_e64 v78, v78, v96, s23
	v_cndmask_b32_e64 v79, v79, v100, s23
	v_lshrrev_b32_e32 v97, 16, v81
	v_lshrrev_b32_e32 v101, 16, v85
	v_cndmask_b32_e64 v99, v106, v96, s22
	v_cndmask_b32_e64 v102, v110, v100, s22
	;; [unrolled: 1-line block ×7, first 2 shown]
	v_lshrrev_b32_e32 v105, 16, v89
	v_cndmask_b32_e64 v80, v80, v104, s5
	v_cndmask_b32_e64 v84, v84, v81, s6
	;; [unrolled: 1-line block ×16, first 2 shown]
	v_perm_b32 v81, v79, v78, 0x5040100
	v_perm_b32 v79, v95, v85, 0x5040100
	v_cndmask_b32_e64 v78, v119, v91, s13
	v_cndmask_b32_e64 v85, v117, v91, s11
	;; [unrolled: 1-line block ×3, first 2 shown]
	v_perm_b32 v80, v94, v90, 0x5040100
	v_cndmask_b32_e64 v90, v98, v103, s16
	v_cndmask_b32_e64 v86, v86, v103, s17
	;; [unrolled: 1-line block ×5, first 2 shown]
	v_lshrrev_b32_e32 v108, 16, v92
	v_cndmask_b32_e64 v90, v90, v88, s20
	v_cndmask_b32_e64 v86, v86, v88, s21
	;; [unrolled: 1-line block ×11, first 2 shown]
	v_lshrrev_b32_e32 v109, 16, v93
	v_cndmask_b32_e64 v82, v82, v93, s6
	v_cndmask_b32_e64 v88, v88, v89, s25
	v_cndmask_b32_e64 v86, v86, v89, s26
	v_cndmask_b32_e64 v87, v87, v93, s26
	v_cndmask_b32_e64 v78, v78, v93, s25
	v_cndmask_b32_e64 v85, v85, v93, s24
	v_cndmask_b32_e64 v88, v88, v105, s27
	v_cndmask_b32_e64 v86, v86, v105, s28
	v_cndmask_b32_e64 v87, v87, v109, s28
	v_cndmask_b32_e64 v89, v78, v109, s27
	v_cndmask_b32_e64 v90, v85, v109, s29
	v_cndmask_b32_e64 v82, v82, v109, s7
	v_perm_b32 v78, v84, v83, 0x5040100
	v_perm_b32 v85, v87, v86, 0x5040100
	;; [unrolled: 1-line block ×5, first 2 shown]
	s_mul_i32 s7, s33, 12
	s_mov_b32 s2, exec_lo
	ds_store_b128 v74, v[78:81]
	ds_store_b128 v74, v[82:85] offset:1024
	v_cmpx_gt_u32_e32 12, v0
	s_cbranch_execz .LBB1305_14
; %bb.13:
	s_mul_i32 s3, s7, s30
	s_load_b128 s[8:11], s[0:1], 0x58
	v_add3_u32 v68, s3, s31, v68
	s_delay_alu instid0(VALU_DEP_1) | instskip(NEXT) | instid1(VALU_DEP_1)
	v_mad_u64_u32 v[78:79], null, v68, s34, s[14:15]
	v_ashrrev_i32_e32 v79, 31, v78
	s_delay_alu instid0(VALU_DEP_1) | instskip(SKIP_1) | instid1(VALU_DEP_1)
	v_lshlrev_b64 v[78:79], 2, v[78:79]
	s_waitcnt lgkmcnt(0)
	v_add_co_u32 v80, vcc_lo, s10, v78
	s_delay_alu instid0(VALU_DEP_2)
	v_add_co_ci_u32_e32 v81, vcc_lo, s11, v79, vcc_lo
	v_add_co_u32 v78, vcc_lo, s8, v78
	v_add_co_ci_u32_e32 v79, vcc_lo, s9, v79, vcc_lo
	global_store_b32 v[80:81], v76, off
	global_store_b32 v[78:79], v77, off
.LBB1305_14:
	s_or_b32 exec_lo, exec_lo, s2
	s_waitcnt lgkmcnt(0)
	s_waitcnt_vscnt null, 0x0
	s_barrier
	buffer_gl0_inv
	ds_load_b128 v[84:87], v73
	ds_load_b128 v[88:91], v73 offset:16
	ds_load_b128 v[96:99], v73 offset:2064
	;; [unrolled: 1-line block ×5, first 2 shown]
	v_cmp_eq_u32_e32 vcc_lo, 1, v70
	v_mov_b32_e32 v76, 0
	ds_load_b128 v[112:115], v73 offset:6160
	ds_load_b128 v[108:111], v73 offset:6144
	;; [unrolled: 1-line block ×4, first 2 shown]
	v_cmp_eq_u32_e64 s3, 1, v69
	v_cmp_eq_u32_e64 s2, 1, v72
	;; [unrolled: 1-line block ×3, first 2 shown]
	v_mov_b32_e32 v77, v76
	v_mov_b32_e32 v78, v76
	;; [unrolled: 1-line block ×7, first 2 shown]
	v_cmp_eq_u32_e64 s5, 3, v72
	v_cmp_eq_u32_e64 s6, 7, v72
	s_waitcnt lgkmcnt(8)
	s_delay_alu instid0(VALU_DEP_3)
	v_wmma_f32_16x16x16_f16 v[76:83], v[49:56], v[84:91], v[76:83]
	ds_load_b128 v[53:56], v73 offset:10256
	ds_load_b128 v[49:52], v73 offset:10240
	s_waitcnt lgkmcnt(8)
	v_wmma_f32_16x16x16_f16 v[76:83], v[41:48], v[92:99], v[76:83]
	ds_load_b128 v[45:48], v73 offset:12304
	ds_load_b128 v[41:44], v73 offset:12288
	s_waitcnt lgkmcnt(8)
	;; [unrolled: 4-line block ×3, first 2 shown]
	s_barrier
	buffer_gl0_inv
	v_wmma_f32_16x16x16_f16 v[76:83], v[1:8], v[108:115], v[76:83]
	s_delay_alu instid0(VALU_DEP_1) | instskip(NEXT) | instid1(VALU_DEP_1)
	v_wmma_f32_16x16x16_f16 v[76:83], v[9:16], v[116:123], v[76:83]
	v_wmma_f32_16x16x16_f16 v[76:83], v[17:24], v[49:56], v[76:83]
	s_delay_alu instid0(VALU_DEP_1) | instskip(NEXT) | instid1(VALU_DEP_1)
	v_wmma_f32_16x16x16_f16 v[76:83], v[25:32], v[41:48], v[76:83]
	v_wmma_f32_16x16x16_f16 v[76:83], v[57:64], v[33:40], v[76:83]
	s_delay_alu instid0(VALU_DEP_1) | instskip(NEXT) | instid1(VALU_DEP_2)
	v_cvt_f16_f32_e32 v1, v76
	v_cvt_f16_f32_e32 v2, v77
	s_delay_alu instid0(VALU_DEP_3) | instskip(NEXT) | instid1(VALU_DEP_4)
	v_cvt_f16_f32_e32 v3, v78
	v_cvt_f16_f32_e32 v4, v79
	;; [unrolled: 1-line block ×6, first 2 shown]
	v_pack_b32_f16 v1, v1, v2
	v_pack_b32_f16 v2, v3, v4
	;; [unrolled: 1-line block ×3, first 2 shown]
	s_delay_alu instid0(VALU_DEP_4)
	v_pack_b32_f16 v4, v7, v8
	ds_store_b128 v74, v[1:4]
	s_waitcnt lgkmcnt(0)
	s_barrier
	buffer_gl0_inv
	ds_load_b128 v[1:4], v75
	ds_load_b128 v[5:8], v75 offset:16
	s_waitcnt lgkmcnt(1)
	v_lshrrev_b32_e32 v9, 16, v1
	s_waitcnt lgkmcnt(0)
	v_lshrrev_b32_e32 v13, 16, v5
	v_lshrrev_b32_e32 v10, 16, v2
	;; [unrolled: 1-line block ×4, first 2 shown]
	v_cndmask_b32_e32 v17, v1, v9, vcc_lo
	v_cndmask_b32_e32 v18, v5, v13, vcc_lo
	v_cndmask_b32_e64 v21, v1, v9, s3
	v_cmp_eq_u32_e32 vcc_lo, 1, v71
	v_cndmask_b32_e64 v22, v5, v13, s3
	v_cmp_eq_u32_e64 s3, 2, v70
	v_cndmask_b32_e64 v19, v1, v9, s2
	v_cndmask_b32_e64 v20, v5, v13, s2
	v_cndmask_b32_e32 v1, v1, v9, vcc_lo
	v_cmp_eq_u32_e64 s2, 2, v71
	v_cndmask_b32_e32 v5, v5, v13, vcc_lo
	v_cndmask_b32_e64 v9, v17, v2, s3
	v_cmp_eq_u32_e32 vcc_lo, 3, v70
	v_cndmask_b32_e64 v13, v18, v6, s3
	v_cmp_eq_u32_e64 s3, 2, v69
	v_cndmask_b32_e64 v17, v19, v2, s4
	v_cndmask_b32_e64 v18, v20, v6, s4
	v_cmp_eq_u32_e64 s4, 3, v69
	v_cndmask_b32_e64 v1, v1, v2, s2
	v_cndmask_b32_e64 v19, v21, v2, s3
	;; [unrolled: 1-line block ×4, first 2 shown]
	v_cndmask_b32_e32 v5, v9, v10, vcc_lo
	v_cndmask_b32_e32 v6, v13, v14, vcc_lo
	v_cmp_eq_u32_e32 vcc_lo, 3, v71
	v_cndmask_b32_e64 v9, v17, v10, s5
	v_cndmask_b32_e64 v13, v18, v14, s5
	v_cndmask_b32_e64 v18, v20, v14, s4
	v_cmp_eq_u32_e64 s3, 4, v70
	v_cndmask_b32_e32 v1, v1, v10, vcc_lo
	v_cndmask_b32_e32 v2, v2, v14, vcc_lo
	v_cmp_eq_u32_e32 vcc_lo, 4, v72
	v_lshrrev_b32_e32 v15, 16, v7
	v_lshrrev_b32_e32 v16, 16, v8
	v_cndmask_b32_e64 v17, v19, v10, s4
	v_cmp_eq_u32_e64 s2, 4, v71
	v_cndmask_b32_e64 v5, v5, v3, s3
	v_cndmask_b32_e64 v6, v6, v7, s3
	v_cndmask_b32_e32 v9, v9, v3, vcc_lo
	v_cmp_eq_u32_e64 s3, 5, v72
	v_cndmask_b32_e32 v10, v13, v7, vcc_lo
	v_cmp_eq_u32_e32 vcc_lo, 4, v69
	v_cmp_eq_u32_e64 s4, 5, v70
	v_cndmask_b32_e64 v2, v2, v7, s2
	v_cndmask_b32_e64 v9, v9, v11, s3
	;; [unrolled: 1-line block ×3, first 2 shown]
	v_cndmask_b32_e32 v13, v17, v3, vcc_lo
	v_cmp_eq_u32_e64 s3, 5, v69
	v_cndmask_b32_e32 v14, v18, v7, vcc_lo
	v_cndmask_b32_e64 v1, v1, v3, s2
	v_cmp_eq_u32_e32 vcc_lo, 5, v71
	v_lshrrev_b32_e32 v12, 16, v4
	v_cndmask_b32_e64 v13, v13, v11, s3
	v_cndmask_b32_e64 v3, v14, v15, s3
	v_cmp_eq_u32_e64 s3, 6, v71
	v_cndmask_b32_e32 v1, v1, v11, vcc_lo
	v_cndmask_b32_e64 v5, v5, v11, s4
	v_cmp_eq_u32_e64 s5, 6, v70
	v_cndmask_b32_e64 v6, v6, v15, s4
	v_cmp_eq_u32_e64 s4, 6, v72
	v_cmp_eq_u32_e64 s2, 6, v69
	v_cndmask_b32_e64 v1, v1, v4, s3
	v_cndmask_b32_e32 v2, v2, v15, vcc_lo
	v_cmp_eq_u32_e32 vcc_lo, 7, v71
	v_cndmask_b32_e64 v5, v5, v4, s5
	v_cndmask_b32_e64 v9, v9, v4, s4
	;; [unrolled: 1-line block ×3, first 2 shown]
	v_cmp_eq_u32_e64 s5, 7, v70
	v_cndmask_b32_e32 v1, v1, v12, vcc_lo
	v_cndmask_b32_e64 v7, v13, v4, s2
	v_cndmask_b32_e64 v3, v3, v8, s2
	;; [unrolled: 1-line block ×3, first 2 shown]
	v_cmp_eq_u32_e64 s2, 7, v69
	v_cndmask_b32_e64 v4, v10, v8, s4
	v_cndmask_b32_e64 v5, v5, v12, s5
	;; [unrolled: 1-line block ×3, first 2 shown]
	v_cndmask_b32_e32 v2, v2, v16, vcc_lo
	v_cndmask_b32_e64 v7, v7, v12, s2
	v_cndmask_b32_e64 v3, v3, v16, s2
	;; [unrolled: 1-line block ×4, first 2 shown]
	v_perm_b32 v4, v2, v1, 0x5040100
	s_mov_b32 s2, exec_lo
	v_perm_b32 v3, v3, v7, 0x5040100
	v_perm_b32 v2, v8, v9, 0x5040100
	;; [unrolled: 1-line block ×3, first 2 shown]
	ds_store_b128 v74, v[1:4]
	s_waitcnt lgkmcnt(0)
	s_barrier
	buffer_gl0_inv
	v_cmpx_gt_u32_e32 32, v0
	s_cbranch_execz .LBB1305_2
; %bb.15:
	s_load_b64 s[0:1], s[0:1], 0x68
	v_lshlrev_b32_e32 v0, 10, v0
	s_lshl_b32 s4, s34, 7
	v_or_b32_e32 v3, s31, v66
	s_mul_i32 s2, s4, s30
	v_lshlrev_b32_e32 v1, 4, v67
	s_mul_i32 s2, s2, s7
	v_lshlrev_b32_e32 v2, 6, v66
	v_and_b32_e32 v0, 0x3800, v0
	s_ashr_i32 s3, s2, 31
	v_mul_lo_u32 v4, v3, s4
	s_lshl_b64 s[2:3], s[2:3], 1
	s_delay_alu instid0(VALU_DEP_2) | instskip(NEXT) | instid1(VALU_DEP_2)
	v_or3_b32 v16, v0, v1, v2
	v_ashrrev_i32_e32 v5, 31, v4
	ds_load_b128 v[0:3], v16
	s_waitcnt lgkmcnt(0)
	s_add_u32 s2, s0, s2
	s_addc_u32 s3, s1, s3
	s_lshl_b32 s0, s14, 7
	v_lshlrev_b64 v[5:6], 1, v[4:5]
	s_ashr_i32 s1, s0, 31
	s_delay_alu instid0(SALU_CYCLE_1) | instskip(NEXT) | instid1(SALU_CYCLE_1)
	s_lshl_b64 s[0:1], s[0:1], 1
	s_add_u32 s0, s2, s0
	s_addc_u32 s1, s3, s1
	s_lshl_b32 s2, s34, 8
	v_add_co_u32 v30, s0, s0, v65
	v_add_nc_u32_e32 v8, s2, v4
	v_add_co_ci_u32_e64 v31, null, s1, 0, s0
	s_delay_alu instid0(VALU_DEP_3) | instskip(NEXT) | instid1(VALU_DEP_3)
	v_add_co_u32 v12, vcc_lo, v30, v5
	v_add_nc_u32_e32 v10, s2, v8
	v_ashrrev_i32_e32 v9, 31, v8
	s_delay_alu instid0(VALU_DEP_4)
	v_add_co_ci_u32_e32 v13, vcc_lo, v31, v6, vcc_lo
	ds_load_b128 v[4:7], v16 offset:128
	v_ashrrev_i32_e32 v11, 31, v10
	v_lshlrev_b64 v[8:9], 1, v[8:9]
	v_add_nc_u32_e32 v14, s2, v10
	global_store_b128 v[12:13], v[0:3], off
	v_lshlrev_b64 v[0:1], 1, v[10:11]
	v_ashrrev_i32_e32 v15, 31, v14
	v_add_co_u32 v22, vcc_lo, v30, v8
	v_add_nc_u32_e32 v20, s2, v14
	v_add_co_ci_u32_e32 v23, vcc_lo, v31, v9, vcc_lo
	v_add_co_u32 v26, vcc_lo, v30, v0
	v_lshlrev_b64 v[24:25], 1, v[14:15]
	v_add_co_ci_u32_e32 v27, vcc_lo, v31, v1, vcc_lo
	ds_load_b128 v[0:3], v16 offset:256
	ds_load_b128 v[8:11], v16 offset:384
	;; [unrolled: 1-line block ×4, first 2 shown]
	v_add_nc_u32_e32 v28, s2, v20
	v_ashrrev_i32_e32 v21, 31, v20
	v_add_co_u32 v24, vcc_lo, v30, v24
	v_add_co_ci_u32_e32 v25, vcc_lo, v31, v25, vcc_lo
	s_delay_alu instid0(VALU_DEP_4) | instskip(NEXT) | instid1(VALU_DEP_4)
	v_ashrrev_i32_e32 v29, 31, v28
	v_lshlrev_b64 v[20:21], 1, v[20:21]
	s_delay_alu instid0(VALU_DEP_2) | instskip(NEXT) | instid1(VALU_DEP_2)
	v_lshlrev_b64 v[28:29], 1, v[28:29]
	v_add_co_u32 v20, vcc_lo, v30, v20
	s_delay_alu instid0(VALU_DEP_3) | instskip(NEXT) | instid1(VALU_DEP_3)
	v_add_co_ci_u32_e32 v21, vcc_lo, v31, v21, vcc_lo
	v_add_co_u32 v28, vcc_lo, v30, v28
	s_delay_alu instid0(VALU_DEP_4)
	v_add_co_ci_u32_e32 v29, vcc_lo, v31, v29, vcc_lo
	s_waitcnt lgkmcnt(4)
	global_store_b128 v[22:23], v[4:7], off
	s_waitcnt lgkmcnt(3)
	global_store_b128 v[26:27], v[0:3], off
	;; [unrolled: 2-line block ×5, first 2 shown]
	s_nop 0
	s_sendmsg sendmsg(MSG_DEALLOC_VGPRS)
	s_endpgm
	.section	.rodata,"a",@progbits
	.p2align	6, 0x0
	.amdhsa_kernel _Z39paged_attention_ll4mi_QKV_mfma16_kernelIDF16_hLN4vllm18Fp8KVCacheDataTypeE1EhLi32ELi128ELi256ELb0ELi12EL8MFMAType0EEvPKT_PKT0_S8_ifPKiSA_SA_iPKfiiiPfSD_PS3_PT2_iSC_SC_
		.amdhsa_group_segment_fixed_size 17472
		.amdhsa_private_segment_fixed_size 0
		.amdhsa_kernarg_size 400
		.amdhsa_user_sgpr_count 13
		.amdhsa_user_sgpr_dispatch_ptr 0
		.amdhsa_user_sgpr_queue_ptr 0
		.amdhsa_user_sgpr_kernarg_segment_ptr 1
		.amdhsa_user_sgpr_dispatch_id 0
		.amdhsa_user_sgpr_private_segment_size 0
		.amdhsa_wavefront_size32 1
		.amdhsa_uses_dynamic_stack 0
		.amdhsa_enable_private_segment 0
		.amdhsa_system_sgpr_workgroup_id_x 1
		.amdhsa_system_sgpr_workgroup_id_y 1
		.amdhsa_system_sgpr_workgroup_id_z 1
		.amdhsa_system_sgpr_workgroup_info 0
		.amdhsa_system_vgpr_workitem_id 0
		.amdhsa_next_free_vgpr 150
		.amdhsa_next_free_sgpr 37
		.amdhsa_reserve_vcc 1
		.amdhsa_float_round_mode_32 0
		.amdhsa_float_round_mode_16_64 0
		.amdhsa_float_denorm_mode_32 3
		.amdhsa_float_denorm_mode_16_64 3
		.amdhsa_dx10_clamp 1
		.amdhsa_ieee_mode 1
		.amdhsa_fp16_overflow 0
		.amdhsa_workgroup_processor_mode 1
		.amdhsa_memory_ordered 1
		.amdhsa_forward_progress 0
		.amdhsa_shared_vgpr_count 0
		.amdhsa_exception_fp_ieee_invalid_op 0
		.amdhsa_exception_fp_denorm_src 0
		.amdhsa_exception_fp_ieee_div_zero 0
		.amdhsa_exception_fp_ieee_overflow 0
		.amdhsa_exception_fp_ieee_underflow 0
		.amdhsa_exception_fp_ieee_inexact 0
		.amdhsa_exception_int_div_zero 0
	.end_amdhsa_kernel
	.section	.text._Z39paged_attention_ll4mi_QKV_mfma16_kernelIDF16_hLN4vllm18Fp8KVCacheDataTypeE1EhLi32ELi128ELi256ELb0ELi12EL8MFMAType0EEvPKT_PKT0_S8_ifPKiSA_SA_iPKfiiiPfSD_PS3_PT2_iSC_SC_,"axG",@progbits,_Z39paged_attention_ll4mi_QKV_mfma16_kernelIDF16_hLN4vllm18Fp8KVCacheDataTypeE1EhLi32ELi128ELi256ELb0ELi12EL8MFMAType0EEvPKT_PKT0_S8_ifPKiSA_SA_iPKfiiiPfSD_PS3_PT2_iSC_SC_,comdat
.Lfunc_end1305:
	.size	_Z39paged_attention_ll4mi_QKV_mfma16_kernelIDF16_hLN4vllm18Fp8KVCacheDataTypeE1EhLi32ELi128ELi256ELb0ELi12EL8MFMAType0EEvPKT_PKT0_S8_ifPKiSA_SA_iPKfiiiPfSD_PS3_PT2_iSC_SC_, .Lfunc_end1305-_Z39paged_attention_ll4mi_QKV_mfma16_kernelIDF16_hLN4vllm18Fp8KVCacheDataTypeE1EhLi32ELi128ELi256ELb0ELi12EL8MFMAType0EEvPKT_PKT0_S8_ifPKiSA_SA_iPKfiiiPfSD_PS3_PT2_iSC_SC_
                                        ; -- End function
	.section	.AMDGPU.csdata,"",@progbits
; Kernel info:
; codeLenInByte = 6756
; NumSgprs: 39
; NumVgprs: 150
; ScratchSize: 0
; MemoryBound: 0
; FloatMode: 240
; IeeeMode: 1
; LDSByteSize: 17472 bytes/workgroup (compile time only)
; SGPRBlocks: 4
; VGPRBlocks: 18
; NumSGPRsForWavesPerEU: 39
; NumVGPRsForWavesPerEU: 150
; Occupancy: 9
; WaveLimiterHint : 1
; COMPUTE_PGM_RSRC2:SCRATCH_EN: 0
; COMPUTE_PGM_RSRC2:USER_SGPR: 13
; COMPUTE_PGM_RSRC2:TRAP_HANDLER: 0
; COMPUTE_PGM_RSRC2:TGID_X_EN: 1
; COMPUTE_PGM_RSRC2:TGID_Y_EN: 1
; COMPUTE_PGM_RSRC2:TGID_Z_EN: 1
; COMPUTE_PGM_RSRC2:TIDIG_COMP_CNT: 0
	.section	.text._Z39paged_attention_ll4mi_QKV_mfma16_kernelIDF16_hLN4vllm18Fp8KVCacheDataTypeE1EhLi32ELi128ELi256ELb0ELi13EL8MFMAType0EEvPKT_PKT0_S8_ifPKiSA_SA_iPKfiiiPfSD_PS3_PT2_iSC_SC_,"axG",@progbits,_Z39paged_attention_ll4mi_QKV_mfma16_kernelIDF16_hLN4vllm18Fp8KVCacheDataTypeE1EhLi32ELi128ELi256ELb0ELi13EL8MFMAType0EEvPKT_PKT0_S8_ifPKiSA_SA_iPKfiiiPfSD_PS3_PT2_iSC_SC_,comdat
	.protected	_Z39paged_attention_ll4mi_QKV_mfma16_kernelIDF16_hLN4vllm18Fp8KVCacheDataTypeE1EhLi32ELi128ELi256ELb0ELi13EL8MFMAType0EEvPKT_PKT0_S8_ifPKiSA_SA_iPKfiiiPfSD_PS3_PT2_iSC_SC_ ; -- Begin function _Z39paged_attention_ll4mi_QKV_mfma16_kernelIDF16_hLN4vllm18Fp8KVCacheDataTypeE1EhLi32ELi128ELi256ELb0ELi13EL8MFMAType0EEvPKT_PKT0_S8_ifPKiSA_SA_iPKfiiiPfSD_PS3_PT2_iSC_SC_
	.globl	_Z39paged_attention_ll4mi_QKV_mfma16_kernelIDF16_hLN4vllm18Fp8KVCacheDataTypeE1EhLi32ELi128ELi256ELb0ELi13EL8MFMAType0EEvPKT_PKT0_S8_ifPKiSA_SA_iPKfiiiPfSD_PS3_PT2_iSC_SC_
	.p2align	8
	.type	_Z39paged_attention_ll4mi_QKV_mfma16_kernelIDF16_hLN4vllm18Fp8KVCacheDataTypeE1EhLi32ELi128ELi256ELb0ELi13EL8MFMAType0EEvPKT_PKT0_S8_ifPKiSA_SA_iPKfiiiPfSD_PS3_PT2_iSC_SC_,@function
_Z39paged_attention_ll4mi_QKV_mfma16_kernelIDF16_hLN4vllm18Fp8KVCacheDataTypeE1EhLi32ELi128ELi256ELb0ELi13EL8MFMAType0EEvPKT_PKT0_S8_ifPKiSA_SA_iPKfiiiPfSD_PS3_PT2_iSC_SC_: ; @_Z39paged_attention_ll4mi_QKV_mfma16_kernelIDF16_hLN4vllm18Fp8KVCacheDataTypeE1EhLi32ELi128ELi256ELb0ELi13EL8MFMAType0EEvPKT_PKT0_S8_ifPKiSA_SA_iPKfiiiPfSD_PS3_PT2_iSC_SC_
; %bb.0:
	s_load_b64 s[4:5], s[0:1], 0x30
	s_mov_b32 s34, s13
	s_waitcnt lgkmcnt(0)
	s_cmp_lg_u64 s[4:5], 0
	s_cselect_b32 s8, -1, 0
	s_ashr_i32 s35, s13, 31
	s_cmp_eq_u64 s[4:5], 0
	s_cbranch_scc1 .LBB1306_3
; %bb.1:
	s_lshl_b64 s[2:3], s[34:35], 2
	s_delay_alu instid0(SALU_CYCLE_1) | instskip(SKIP_4) | instid1(SALU_CYCLE_1)
	s_add_u32 s2, s4, s2
	s_addc_u32 s3, s5, s3
	s_load_b64 s[2:3], s[2:3], 0x0
	s_waitcnt lgkmcnt(0)
	s_sub_i32 s2, s3, s2
	s_cmp_eq_u32 s2, 1
	s_cselect_b32 s2, -1, 0
	s_delay_alu instid0(SALU_CYCLE_1)
	s_and_not1_b32 vcc_lo, exec_lo, s2
	s_cbranch_vccz .LBB1306_4
.LBB1306_2:
	s_nop 0
	s_sendmsg sendmsg(MSG_DEALLOC_VGPRS)
	s_endpgm
.LBB1306_3:
.LBB1306_4:
	s_load_b64 s[2:3], s[0:1], 0x28
	s_lshl_b64 s[6:7], s[34:35], 2
	s_waitcnt lgkmcnt(0)
	s_add_u32 s2, s2, s6
	s_addc_u32 s3, s3, s7
	s_lshl_b32 s12, s14, 8
	s_load_b32 s24, s[2:3], 0x0
	s_waitcnt lgkmcnt(0)
	s_cmp_ge_i32 s12, s24
	s_cbranch_scc1 .LBB1306_2
; %bb.5:
	s_clause 0x1
	s_load_b128 s[20:23], s[0:1], 0x8
	s_load_b64 s[2:3], s[0:1], 0x20
	s_and_not1_b32 vcc_lo, exec_lo, s8
	s_cbranch_vccnz .LBB1306_7
; %bb.6:
	s_add_u32 s4, s4, s6
	s_addc_u32 s5, s5, s7
	s_load_b32 s5, s[4:5], 0x0
	s_branch .LBB1306_8
.LBB1306_7:
	s_mov_b32 s5, s34
.LBB1306_8:
	s_load_b128 s[16:19], s[0:1], 0x48
	v_and_b32_e32 v68, 15, v0
	v_lshrrev_b32_e32 v69, 5, v0
	v_bfe_u32 v66, v0, 4, 1
	v_and_b32_e32 v70, 31, v0
	v_and_b32_e32 v67, 1, v0
	v_lshlrev_b32_e32 v2, 3, v68
	s_mul_i32 s31, s15, 13
	v_lshl_or_b32 v1, v69, 1, v66
	s_mov_b32 s4, exec_lo
	s_delay_alu instid0(VALU_DEP_2) | instskip(NEXT) | instid1(VALU_DEP_2)
	v_lshlrev_b32_e32 v65, 1, v2
	v_cmpx_gt_u32_e32 13, v1
	s_cbranch_execz .LBB1306_10
; %bb.9:
	s_load_b64 s[6:7], s[0:1], 0x0
	v_add_lshl_u32 v2, v1, s31, 7
	s_waitcnt lgkmcnt(0)
	s_mul_hi_i32 s9, s5, s16
	s_mul_i32 s8, s5, s16
	v_lshlrev_b32_e32 v6, 10, v68
	s_lshl_b64 s[8:9], s[8:9], 1
	v_ashrrev_i32_e32 v3, 31, v2
	v_lshlrev_b32_e32 v1, 6, v1
	v_lshlrev_b32_e32 v7, 10, v67
	v_and_b32_e32 v6, 0x3800, v6
	s_delay_alu instid0(VALU_DEP_4) | instskip(NEXT) | instid1(VALU_DEP_2)
	v_lshlrev_b64 v[2:3], 1, v[2:3]
	v_or3_b32 v1, v6, v7, v1
	s_add_u32 s5, s6, s8
	s_addc_u32 s6, s7, s9
	s_delay_alu instid0(VALU_DEP_2) | instskip(NEXT) | instid1(VALU_DEP_3)
	v_add_co_u32 v2, vcc_lo, s5, v2
	v_add_co_ci_u32_e32 v3, vcc_lo, s6, v3, vcc_lo
	s_delay_alu instid0(VALU_DEP_2) | instskip(NEXT) | instid1(VALU_DEP_2)
	v_add_co_u32 v2, vcc_lo, v2, v65
	v_add_co_ci_u32_e32 v3, vcc_lo, 0, v3, vcc_lo
	global_load_b128 v[2:5], v[2:3], off
	s_waitcnt vmcnt(0)
	ds_store_b128 v1, v[2:5]
.LBB1306_10:
	s_or_b32 exec_lo, exec_lo, s4
	v_and_b32_e32 v1, 0xef, v0
	s_waitcnt lgkmcnt(0)
	s_add_i32 s5, s24, 31
	s_clause 0x1
	s_load_b32 s4, s[0:1], 0x38
	s_load_b32 s33, s[0:1], 0x98
	s_ashr_i32 s6, s5, 31
	v_add_nc_u32_e32 v1, s12, v1
	s_lshr_b32 s6, s6, 27
	s_load_b32 s19, s[0:1], 0x1c
	s_add_i32 s5, s5, s6
	s_waitcnt lgkmcnt(0)
	v_ashrrev_i32_e32 v2, 31, v1
	v_or_b32_e32 v3, 16, v1
	s_ashr_i32 s13, s5, 5
	v_cmp_gt_i32_e32 vcc_lo, s24, v1
	s_add_i32 s13, s13, -1
	v_lshrrev_b32_e32 v2, 27, v2
	s_barrier
	buffer_gl0_inv
	s_mul_i32 s15, s15, s18
	v_add_nc_u32_e32 v4, v1, v2
	s_mul_i32 s4, s34, s4
	s_delay_alu instid0(SALU_CYCLE_1) | instskip(NEXT) | instid1(VALU_DEP_1)
	s_ashr_i32 s5, s4, 31
	v_ashrrev_i32_e32 v4, 5, v4
	v_add_nc_u32_e32 v2, v3, v2
	s_lshl_b64 s[4:5], s[4:5], 2
	s_delay_alu instid0(SALU_CYCLE_1) | instskip(NEXT) | instid1(VALU_DEP_2)
	s_add_u32 s16, s2, s4
	v_cndmask_b32_e32 v1, s13, v4, vcc_lo
	s_delay_alu instid0(VALU_DEP_2)
	v_ashrrev_i32_e32 v2, 5, v2
	v_cmp_gt_i32_e32 vcc_lo, s24, v3
	s_addc_u32 s25, s3, s5
	s_ashr_i32 s18, s15, 31
	s_add_u32 s2, s20, s15
	s_addc_u32 s3, s21, s18
	v_cndmask_b32_e32 v3, s13, v2, vcc_lo
	v_ashrrev_i32_e32 v2, 31, v1
	s_lshl_b32 s4, s14, 3
	s_delay_alu instid0(SALU_CYCLE_1) | instskip(NEXT) | instid1(VALU_DEP_2)
	s_ashr_i32 s5, s4, 31
	v_ashrrev_i32_e32 v4, 31, v3
	s_delay_alu instid0(VALU_DEP_2) | instskip(SKIP_1) | instid1(SALU_CYCLE_1)
	v_lshlrev_b64 v[1:2], 2, v[1:2]
	s_lshl_b64 s[4:5], s[4:5], 2
	s_add_u32 s4, s16, s4
	s_delay_alu instid0(VALU_DEP_2) | instskip(SKIP_1) | instid1(VALU_DEP_2)
	v_lshlrev_b64 v[3:4], 2, v[3:4]
	s_addc_u32 s5, s25, s5
	v_add_co_u32 v1, vcc_lo, s16, v1
	v_add_co_ci_u32_e32 v2, vcc_lo, s25, v2, vcc_lo
	s_delay_alu instid0(VALU_DEP_3) | instskip(NEXT) | instid1(VALU_DEP_4)
	v_add_co_u32 v3, vcc_lo, s16, v3
	v_add_co_ci_u32_e32 v4, vcc_lo, s25, v4, vcc_lo
	s_clause 0x1
	global_load_b32 v5, v[1:2], off
	global_load_b32 v6, v[3:4], off
	s_or_b32 s6, s12, 32
	s_delay_alu instid0(SALU_CYCLE_1) | instskip(SKIP_2) | instid1(SALU_CYCLE_1)
	s_ashr_i32 s7, s6, 5
	s_cmp_lt_i32 s6, s24
	s_cselect_b32 s6, s7, s13
	s_ashr_i32 s7, s6, 31
	s_delay_alu instid0(SALU_CYCLE_1) | instskip(NEXT) | instid1(SALU_CYCLE_1)
	s_lshl_b64 s[6:7], s[6:7], 2
	s_add_u32 s6, s16, s6
	s_addc_u32 s7, s25, s7
	s_or_b32 s8, s12, 64
	s_delay_alu instid0(SALU_CYCLE_1) | instskip(SKIP_2) | instid1(SALU_CYCLE_1)
	s_ashr_i32 s9, s8, 5
	s_cmp_lt_i32 s8, s24
	s_cselect_b32 s8, s9, s13
	s_ashr_i32 s9, s8, 31
	s_delay_alu instid0(SALU_CYCLE_1) | instskip(NEXT) | instid1(SALU_CYCLE_1)
	s_lshl_b64 s[8:9], s[8:9], 2
	s_add_u32 s8, s16, s8
	s_addc_u32 s9, s25, s9
	;; [unrolled: 10-line block ×5, first 2 shown]
	s_clause 0x5
	s_load_b32 s28, s[4:5], 0x0
	s_load_b32 s29, s[6:7], 0x0
	;; [unrolled: 1-line block ×6, first 2 shown]
	s_mov_b32 s4, 0
	s_delay_alu instid0(SALU_CYCLE_1)
	s_mov_b32 s5, s4
	s_mov_b32 s6, s4
	;; [unrolled: 1-line block ×7, first 2 shown]
	s_delay_alu instid0(SALU_CYCLE_1)
	v_dual_mov_b32 v118, s11 :: v_dual_mov_b32 v117, s10
	v_dual_mov_b32 v116, s9 :: v_dual_mov_b32 v115, s8
	v_mov_b32_e32 v113, s6
	v_dual_mov_b32 v111, s4 :: v_dual_mov_b32 v114, s7
	v_mov_b32_e32 v112, s5
	s_waitcnt vmcnt(1)
	v_mad_i64_i32 v[1:2], null, v5, s17, s[2:3]
	v_lshlrev_b32_e32 v5, 4, v68
	s_waitcnt vmcnt(0)
	v_mad_i64_i32 v[3:4], null, v6, s17, s[2:3]
	s_or_b32 s2, s12, 0xc0
	s_delay_alu instid0(SALU_CYCLE_1) | instskip(NEXT) | instid1(VALU_DEP_3)
	s_ashr_i32 s3, s2, 5
	v_add_co_u32 v1, vcc_lo, v1, v5
	s_delay_alu instid0(VALU_DEP_4) | instskip(NEXT) | instid1(VALU_DEP_3)
	v_add_co_ci_u32_e32 v2, vcc_lo, 0, v2, vcc_lo
	v_add_co_u32 v3, vcc_lo, v3, v5
	s_delay_alu instid0(VALU_DEP_4)
	v_add_co_ci_u32_e32 v4, vcc_lo, 0, v4, vcc_lo
	s_clause 0xf
	global_load_b128 v[17:20], v[1:2], off
	global_load_b128 v[21:24], v[1:2], off offset:512
	global_load_b128 v[25:28], v[3:4], off offset:256
	;; [unrolled: 1-line block ×15, first 2 shown]
	s_cmp_lt_i32 s2, s24
	v_add_nc_u32_e32 v1, -13, v68
	s_cselect_b32 s2, s3, s13
	v_cmp_gt_u32_e32 vcc_lo, 13, v68
	s_ashr_i32 s3, s2, 31
	v_lshlrev_b32_e32 v2, 5, v68
	s_lshl_b64 s[2:3], s[2:3], 2
	s_delay_alu instid0(SALU_CYCLE_1)
	s_add_u32 s2, s16, s2
	s_addc_u32 s3, s25, s3
	s_or_b32 s20, s12, 0xe0
	v_cndmask_b32_e32 v1, v1, v68, vcc_lo
	s_ashr_i32 s21, s20, 5
	s_cmp_lt_i32 s20, s24
	s_cselect_b32 s20, s21, s13
	s_delay_alu instid0(VALU_DEP_1)
	v_lshlrev_b32_e32 v149, 6, v1
	s_ashr_i32 s21, s20, 31
	v_lshl_or_b32 v1, v69, 9, v2
	s_lshl_b64 s[4:5], s[20:21], 2
	ds_load_b128 v[119:122], v149
	ds_load_b128 v[123:126], v149 offset:1024
	s_add_u32 s4, s16, s4
	s_addc_u32 s5, s25, s5
	ds_load_b128 v[127:130], v149 offset:2048
	ds_load_b128 v[131:134], v149 offset:3072
	s_clause 0x1
	s_load_b32 s2, s[2:3], 0x0
	s_load_b32 s3, s[4:5], 0x0
	s_add_u32 s6, s22, s15
	s_addc_u32 s7, s23, s18
	v_add_co_u32 v135, s6, s6, v1
	s_delay_alu instid0(VALU_DEP_1) | instskip(SKIP_1) | instid1(VALU_DEP_1)
	v_add_co_ci_u32_e64 v136, null, s7, 0, s6
	s_waitcnt lgkmcnt(0)
	v_mad_i64_i32 v[1:2], null, s28, s17, v[135:136]
	v_mad_i64_i32 v[3:4], null, s29, s17, v[135:136]
	;; [unrolled: 1-line block ×6, first 2 shown]
	s_clause 0x9
	global_load_b128 v[49:52], v[1:2], off
	global_load_b128 v[53:56], v[1:2], off offset:16
	global_load_b128 v[41:44], v[3:4], off
	global_load_b128 v[45:48], v[3:4], off offset:16
	;; [unrolled: 2-line block ×5, first 2 shown]
	v_mad_i64_i32 v[145:146], null, s2, s17, v[135:136]
	v_mad_i64_i32 v[147:148], null, s3, s17, v[135:136]
	s_waitcnt vmcnt(24)
	v_wmma_f32_16x16x16_f16 v[135:142], v[17:24], v[119:126], v[111:118]
	s_waitcnt vmcnt(22)
	v_wmma_f32_16x16x16_f16 v[111:118], v[25:32], v[119:126], v[111:118]
	s_clause 0x3
	global_load_b128 v[17:20], v[143:144], off
	global_load_b128 v[21:24], v[143:144], off offset:16
	global_load_b128 v[25:28], v[145:146], off
	global_load_b128 v[29:32], v[145:146], off offset:16
	v_and_b32_e32 v119, 0xe0, v0
	s_waitcnt vmcnt(24)
	v_wmma_f32_16x16x16_f16 v[135:142], v[57:64], v[127:134], v[135:142]
	s_clause 0x1
	global_load_b128 v[57:60], v[147:148], off
	global_load_b128 v[61:64], v[147:148], off offset:16
	s_waitcnt vmcnt(24)
	v_wmma_f32_16x16x16_f16 v[111:118], v[71:78], v[127:134], v[111:118]
	ds_load_b128 v[71:74], v149 offset:4096
	ds_load_b128 v[75:78], v149 offset:5120
	v_add_nc_u32_e32 v128, s12, v119
	ds_load_b128 v[119:122], v149 offset:6144
	ds_load_b128 v[123:126], v149 offset:7168
	v_mbcnt_lo_u32_b32 v127, -1, 0
	s_waitcnt vmcnt(0) lgkmcnt(0)
	s_barrier
	v_or_b32_e32 v128, v128, v66
	buffer_gl0_inv
	v_xor_b32_e32 v129, 16, v127
	v_or_b32_e32 v130, 4, v128
	v_or_b32_e32 v131, 6, v128
	s_delay_alu instid0(VALU_DEP_3) | instskip(SKIP_4) | instid1(VALU_DEP_4)
	v_cmp_gt_i32_e32 vcc_lo, 32, v129
	v_or_b32_e32 v132, 8, v128
	v_or_b32_e32 v133, 10, v128
	v_cmp_gt_i32_e64 s3, s24, v130
	v_cmp_gt_i32_e64 s4, s24, v131
	;; [unrolled: 1-line block ×3, first 2 shown]
	v_wmma_f32_16x16x16_f16 v[135:142], v[79:86], v[71:78], v[135:142]
	v_wmma_f32_16x16x16_f16 v[111:118], v[87:94], v[71:78], v[111:118]
	v_or_b32_e32 v79, 12, v128
	v_or_b32_e32 v80, 14, v128
	v_cmp_gt_i32_e64 s6, s24, v133
	v_wmma_f32_16x16x16_f16 v[135:142], v[95:102], v[119:126], v[135:142]
	v_wmma_f32_16x16x16_f16 v[111:118], v[103:110], v[119:126], v[111:118]
	v_cndmask_b32_e32 v127, v127, v129, vcc_lo
	v_or_b32_e32 v129, 2, v128
	v_cmp_gt_i32_e32 vcc_lo, s24, v128
	s_delay_alu instid0(VALU_DEP_4) | instskip(SKIP_1) | instid1(VALU_DEP_4)
	v_dual_mul_f32 v87, s19, v136 :: v_dual_mul_f32 v94, s19, v113
	v_mul_f32_e32 v88, s19, v135
	v_cmp_gt_i32_e64 s2, s24, v129
	v_mul_f32_e32 v78, s19, v138
	v_mul_f32_e32 v86, s19, v137
	v_mul_f32_e32 v76, s19, v140
	v_cndmask_b32_e32 v88, 0xff7fffff, v88, vcc_lo
	v_cndmask_b32_e64 v87, 0xff7fffff, v87, s2
	v_dual_mul_f32 v77, s19, v139 :: v_dual_mul_f32 v90, s19, v117
	v_cndmask_b32_e64 v86, 0xff7fffff, v86, s3
	v_cndmask_b32_e64 v78, 0xff7fffff, v78, s4
	s_delay_alu instid0(VALU_DEP_4)
	v_max3_f32 v87, v88, 0xff7fffff, v87
	v_or_b32_e32 v81, 16, v128
	v_or_b32_e32 v82, 18, v128
	v_dual_mul_f32 v74, s19, v142 :: v_dual_mul_f32 v75, s19, v141
	v_mul_f32_e32 v96, s19, v111
	v_cndmask_b32_e64 v77, 0xff7fffff, v77, s5
	v_cndmask_b32_e64 v76, 0xff7fffff, v76, s6
	v_max3_f32 v78, v87, v86, v78
	v_cmp_gt_i32_e64 s7, s24, v79
	v_cmp_gt_i32_e64 s8, s24, v80
	v_or_b32_e32 v83, 20, v128
	v_or_b32_e32 v84, 22, v128
	v_mul_f32_e32 v95, s19, v112
	v_cndmask_b32_e64 v75, 0xff7fffff, v75, s7
	v_cndmask_b32_e64 v74, 0xff7fffff, v74, s8
	v_max3_f32 v76, v78, v77, v76
	v_cmp_gt_i32_e64 s9, s24, v81
	v_cmp_gt_i32_e64 s10, s24, v82
	v_or_b32_e32 v85, 24, v128
	v_or_b32_e32 v71, 26, v128
	;; [unrolled: 8-line block ×3, first 2 shown]
	v_dual_mul_f32 v91, s19, v116 :: v_dual_mul_f32 v92, s19, v115
	v_cndmask_b32_e64 v75, 0xff7fffff, v94, s11
	v_cndmask_b32_e64 v76, 0xff7fffff, v93, s12
	v_max3_f32 v74, v74, v77, v78
	v_cmp_gt_i32_e64 s13, s24, v85
	v_cmp_gt_i32_e64 s15, s24, v71
	v_mul_f32_e32 v89, s19, v118
	v_cmp_gt_i32_e64 s16, s24, v72
	v_max3_f32 v74, v74, v75, v76
	v_cndmask_b32_e64 v77, 0xff7fffff, v92, s13
	v_cndmask_b32_e64 v71, 0xff7fffff, v91, s15
	v_cmp_gt_i32_e64 s17, s24, v73
	v_cndmask_b32_e64 v72, 0xff7fffff, v90, s16
	s_delay_alu instid0(VALU_DEP_3) | instskip(SKIP_1) | instid1(VALU_DEP_4)
	v_max3_f32 v71, v74, v77, v71
	v_lshlrev_b32_e32 v74, 2, v127
	v_cndmask_b32_e64 v73, 0xff7fffff, v89, s17
	s_delay_alu instid0(VALU_DEP_1) | instskip(SKIP_3) | instid1(VALU_DEP_1)
	v_max3_f32 v71, v71, v72, v73
	ds_bpermute_b32 v72, v74, v71
	s_waitcnt lgkmcnt(0)
	v_max_f32_e32 v72, v72, v72
	v_max_f32_e32 v71, v71, v72
	s_delay_alu instid0(VALU_DEP_1) | instskip(SKIP_4) | instid1(VALU_DEP_4)
	v_fma_f32 v72, s19, v135, -v71
	v_fma_f32 v73, s19, v136, -v71
	;; [unrolled: 1-line block ×5, first 2 shown]
	v_dual_mul_f32 v72, 0x3fb8aa3b, v72 :: v_dual_mul_f32 v73, 0x3fb8aa3b, v73
	s_delay_alu instid0(VALU_DEP_3) | instskip(SKIP_1) | instid1(VALU_DEP_3)
	v_dual_mul_f32 v75, 0x3fb8aa3b, v75 :: v_dual_mul_f32 v76, 0x3fb8aa3b, v76
	v_fma_f32 v80, s19, v141, -v71
	v_exp_f32_e32 v72, v72
	s_delay_alu instid0(VALU_DEP_3) | instskip(NEXT) | instid1(VALU_DEP_2)
	v_exp_f32_e32 v73, v73
	v_exp_f32_e32 v75, v75
	;; [unrolled: 1-line block ×3, first 2 shown]
	v_mul_f32_e32 v82, 0x3fb8aa3b, v80
	s_delay_alu instid0(VALU_DEP_1) | instskip(SKIP_4) | instid1(TRANS32_DEP_3)
	v_exp_f32_e32 v84, v82
	v_cndmask_b32_e32 v79, 0, v72, vcc_lo
	v_fma_f32 v72, s19, v140, -v71
	v_mul_f32_e32 v77, 0x3fb8aa3b, v77
	v_cndmask_b32_e64 v78, 0, v73, s2
	v_cndmask_b32_e64 v81, 0, v75, s3
	s_delay_alu instid0(VALU_DEP_4) | instskip(NEXT) | instid1(VALU_DEP_4)
	v_dual_add_f32 v73, 0, v79 :: v_dual_mul_f32 v72, 0x3fb8aa3b, v72
	v_exp_f32_e32 v77, v77
	v_cndmask_b32_e64 v80, 0, v76, s4
	s_delay_alu instid0(TRANS32_DEP_2) | instskip(NEXT) | instid1(VALU_DEP_3)
	v_cndmask_b32_e64 v85, 0, v84, s7
	v_add_f32_e32 v73, v73, v78
	v_exp_f32_e32 v72, v72
	v_cmp_gt_u32_e64 s2, 16, v70
	s_delay_alu instid0(VALU_DEP_2) | instskip(NEXT) | instid1(TRANS32_DEP_2)
	v_add_f32_e32 v73, v73, v81
	v_cndmask_b32_e64 v83, 0, v77, s5
	s_delay_alu instid0(VALU_DEP_2) | instskip(SKIP_3) | instid1(VALU_DEP_1)
	v_add_f32_e32 v73, v73, v80
	s_waitcnt_depctr 0xfff
	v_cndmask_b32_e64 v82, 0, v72, s6
	v_add_f32_e32 v72, v73, v83
	v_add_f32_e32 v72, v72, v82
	s_delay_alu instid0(VALU_DEP_1)
	v_add_f32_e32 v72, v72, v85
	v_fma_f32 v76, s19, v111, -v71
	v_fma_f32 v75, s19, v142, -v71
	;; [unrolled: 1-line block ×5, first 2 shown]
	s_delay_alu instid0(VALU_DEP_4) | instskip(NEXT) | instid1(VALU_DEP_3)
	v_dual_mul_f32 v76, 0x3fb8aa3b, v76 :: v_dual_mul_f32 v75, 0x3fb8aa3b, v75
	v_mul_f32_e32 v86, 0x3fb8aa3b, v86
	s_delay_alu instid0(VALU_DEP_2) | instskip(NEXT) | instid1(VALU_DEP_2)
	v_exp_f32_e32 v76, v76
	v_exp_f32_e32 v75, v75
	s_delay_alu instid0(VALU_DEP_1) | instskip(NEXT) | instid1(TRANS32_DEP_3)
	v_exp_f32_e32 v88, v86
	v_cndmask_b32_e64 v87, 0, v76, s9
	v_fma_f32 v76, s19, v116, -v71
	v_mul_f32_e32 v77, 0x3fb8aa3b, v77
	s_waitcnt_depctr 0xfff
	v_cndmask_b32_e64 v84, 0, v75, s8
	v_fma_f32 v75, s19, v115, -v71
	v_cndmask_b32_e64 v88, 0, v88, s12
	v_mul_f32_e32 v76, 0x3fb8aa3b, v76
	v_exp_f32_e32 v77, v77
	v_add_f32_e32 v72, v72, v84
	s_delay_alu instid0(VALU_DEP_2) | instskip(NEXT) | instid1(VALU_DEP_1)
	v_exp_f32_e32 v76, v76
	v_add_f32_e32 v72, v72, v87
	s_waitcnt_depctr 0xfff
	v_cndmask_b32_e64 v86, 0, v77, s10
	v_mul_f32_e32 v73, 0x3fb8aa3b, v73
	v_fma_f32 v77, s19, v117, -v71
	v_cndmask_b32_e64 v90, 0, v76, s15
	s_delay_alu instid0(VALU_DEP_4) | instskip(NEXT) | instid1(VALU_DEP_4)
	v_add_f32_e32 v72, v72, v86
	v_exp_f32_e32 v73, v73
	s_waitcnt_depctr 0xfff
	v_cndmask_b32_e64 v89, 0, v73, s11
	s_delay_alu instid0(VALU_DEP_1) | instskip(NEXT) | instid1(VALU_DEP_1)
	v_dual_mul_f32 v75, 0x3fb8aa3b, v75 :: v_dual_add_f32 v72, v72, v89
	v_exp_f32_e32 v75, v75
	v_mul_f32_e32 v73, 0x3fb8aa3b, v77
	v_fma_f32 v77, s19, v118, -v71
	s_delay_alu instid0(VALU_DEP_3) | instskip(NEXT) | instid1(VALU_DEP_3)
	v_add_f32_e32 v72, v72, v88
	v_exp_f32_e32 v73, v73
	s_waitcnt_depctr 0xfff
	v_cndmask_b32_e64 v91, 0, v75, s13
	s_delay_alu instid0(VALU_DEP_1) | instskip(NEXT) | instid1(VALU_DEP_1)
	v_dual_mul_f32 v75, 0x3fb8aa3b, v77 :: v_dual_add_f32 v72, v72, v91
	v_exp_f32_e32 v75, v75
	v_cndmask_b32_e64 v93, 0, v73, s16
	s_delay_alu instid0(VALU_DEP_2) | instskip(NEXT) | instid1(VALU_DEP_1)
	v_add_f32_e32 v72, v72, v90
	v_add_f32_e32 v72, v72, v93
	s_waitcnt_depctr 0xfff
	v_cndmask_b32_e64 v92, 0, v75, s17
	s_delay_alu instid0(VALU_DEP_1)
	v_add_f32_e32 v72, v72, v92
	ds_bpermute_b32 v73, v74, v72
	s_and_saveexec_b32 s3, s2
	s_cbranch_execz .LBB1306_12
; %bb.11:
	v_mul_u32_u24_e32 v70, 0x44, v69
	s_waitcnt lgkmcnt(0)
	v_add_f32_e32 v72, v72, v73
	s_delay_alu instid0(VALU_DEP_2) | instskip(NEXT) | instid1(VALU_DEP_1)
	v_lshl_add_u32 v70, v68, 2, v70
	v_add_nc_u32_e32 v70, 0x4000, v70
	ds_store_2addr_b32 v70, v71, v72 offset1:136
.LBB1306_12:
	s_or_b32 exec_lo, exec_lo, s3
	v_lshlrev_b32_e32 v70, 2, v68
	s_load_b32 s35, s[0:1], 0x94
	s_waitcnt lgkmcnt(0)
	s_barrier
	buffer_gl0_inv
	v_add_nc_u32_e32 v98, 0x4000, v70
	v_cmp_eq_u32_e32 vcc_lo, 1, v69
	v_cmp_eq_u32_e64 s3, 2, v69
	v_cmp_eq_u32_e64 s4, 3, v69
	;; [unrolled: 1-line block ×3, first 2 shown]
	ds_load_2addr_b32 v[70:71], v98 offset1:17
	ds_load_2addr_b32 v[72:73], v98 offset0:34 offset1:51
	ds_load_2addr_b32 v[74:75], v98 offset0:68 offset1:85
	ds_load_2addr_b32 v[94:95], v98 offset0:102 offset1:119
	v_cmp_eq_u32_e64 s6, 5, v69
	v_cmp_eq_u32_e64 s7, 7, v69
	s_waitcnt lgkmcnt(3)
	v_max3_f32 v76, v70, 0xff7fffff, v71
	s_waitcnt lgkmcnt(2)
	s_delay_alu instid0(VALU_DEP_1) | instskip(SKIP_1) | instid1(VALU_DEP_1)
	v_max3_f32 v76, v76, v72, v73
	s_waitcnt lgkmcnt(1)
	v_max3_f32 v76, v76, v74, v75
	s_waitcnt lgkmcnt(0)
	s_delay_alu instid0(VALU_DEP_1) | instskip(NEXT) | instid1(VALU_DEP_1)
	v_max3_f32 v76, v76, v94, v95
	v_sub_f32_e32 v77, v71, v76
	ds_load_2addr_b32 v[96:97], v98 offset0:136 offset1:153
	v_sub_f32_e32 v74, v74, v76
	v_sub_f32_e32 v70, v70, v76
	;; [unrolled: 1-line block ×3, first 2 shown]
	v_dual_sub_f32 v72, v72, v76 :: v_dual_mul_f32 v77, 0x3fb8aa3b, v77
	s_delay_alu instid0(VALU_DEP_4) | instskip(NEXT) | instid1(VALU_DEP_4)
	v_mul_f32_e32 v103, 0x3fb8aa3b, v74
	v_mul_f32_e32 v99, 0x3fb8aa3b, v70
	ds_load_2addr_b32 v[70:71], v98 offset0:170 offset1:187
	v_dual_mul_f32 v101, 0x3fb8aa3b, v72 :: v_dual_mul_f32 v94, 0x3fb8aa3b, v94
	v_exp_f32_e32 v102, v77
	v_exp_f32_e32 v99, v99
	s_delay_alu instid0(VALU_DEP_1) | instskip(NEXT) | instid1(VALU_DEP_1)
	v_exp_f32_e32 v101, v101
	v_exp_f32_e32 v94, v94
	s_waitcnt lgkmcnt(1)
	s_delay_alu instid0(TRANS32_DEP_3)
	v_fma_f32 v77, v99, v96, 0
	v_sub_f32_e32 v100, v73, v76
	ds_load_2addr_b32 v[72:73], v98 offset0:204 offset1:221
	v_fmac_f32_e32 v77, v102, v97
	v_exp_f32_e32 v97, v103
	s_waitcnt lgkmcnt(1)
	s_delay_alu instid0(VALU_DEP_1)
	v_dual_fmac_f32 v77, v101, v70 :: v_dual_sub_f32 v96, v75, v76
	ds_load_2addr_b32 v[74:75], v98 offset0:238 offset1:255
	v_sub_f32_e32 v70, v95, v76
	s_waitcnt lgkmcnt(0)
	s_barrier
	v_mul_f32_e32 v96, 0x3fb8aa3b, v96
	buffer_gl0_inv
	v_exp_f32_e32 v95, v96
	v_mul_f32_e32 v100, 0x3fb8aa3b, v100
	s_delay_alu instid0(VALU_DEP_1) | instskip(SKIP_3) | instid1(VALU_DEP_2)
	v_exp_f32_e32 v100, v100
	s_waitcnt_depctr 0xfff
	v_dual_fmac_f32 v77, v100, v71 :: v_dual_mul_f32 v70, 0x3fb8aa3b, v70
	v_cndmask_b32_e32 v71, v99, v102, vcc_lo
	v_fmac_f32_e32 v77, v97, v72
	s_delay_alu instid0(VALU_DEP_3) | instskip(NEXT) | instid1(VALU_DEP_1)
	v_exp_f32_e32 v96, v70
	v_fmac_f32_e32 v77, v95, v73
	s_delay_alu instid0(VALU_DEP_1) | instskip(SKIP_2) | instid1(VALU_DEP_1)
	v_fmac_f32_e32 v77, v94, v74
	s_waitcnt_depctr 0xfff
	v_fmac_f32_e32 v77, v96, v75
	v_add_f32_e32 v74, 0x358637bd, v77
	s_delay_alu instid0(VALU_DEP_1) | instskip(SKIP_1) | instid1(VALU_DEP_2)
	v_div_scale_f32 v98, null, v74, v74, 1.0
	v_div_scale_f32 v99, vcc_lo, 1.0, v74, 1.0
	v_rcp_f32_e32 v103, v98
	s_waitcnt_depctr 0xfff
	v_fma_f32 v70, -v98, v103, 1.0
	s_delay_alu instid0(VALU_DEP_1) | instskip(SKIP_2) | instid1(VALU_DEP_2)
	v_fmac_f32_e32 v103, v70, v103
	v_cndmask_b32_e64 v70, v71, v101, s3
	v_cmp_eq_u32_e64 s3, 6, v69
	v_cndmask_b32_e64 v71, v70, v100, s4
	s_delay_alu instid0(VALU_DEP_4) | instskip(NEXT) | instid1(VALU_DEP_2)
	v_dual_mul_f32 v101, v99, v103 :: v_dual_lshlrev_b32 v70, 2, v66
	v_cndmask_b32_e64 v71, v71, v97, s5
	s_delay_alu instid0(VALU_DEP_2) | instskip(NEXT) | instid1(VALU_DEP_3)
	v_or_b32_e32 v72, 1, v70
	v_fma_f32 v100, -v98, v101, v99
	v_cmp_eq_u32_e64 s4, 1, v70
	v_cmp_eq_u32_e64 s5, 2, v70
	v_cndmask_b32_e64 v95, v71, v95, s6
	v_or_b32_e32 v71, 3, v70
	v_fmac_f32_e32 v101, v100, v103
	v_cmp_eq_u32_e64 s9, 1, v72
	v_cmp_eq_u32_e64 s12, 2, v72
	v_cndmask_b32_e64 v94, v95, v94, s3
	v_cmp_eq_u32_e64 s11, 1, v71
	v_fma_f32 v97, -v98, v101, v99
	v_cmp_eq_u32_e64 s16, 2, v71
	v_cmp_eq_u32_e64 s13, 3, v72
	v_cndmask_b32_e64 v94, v94, v96, s7
	v_cmp_eq_u32_e64 s18, 3, v71
	v_div_fmas_f32 v95, v97, v103, v101
	v_cmp_eq_u32_e32 vcc_lo, 3, v70
	v_cmp_eq_u32_e64 s3, 4, v70
	v_cmp_eq_u32_e64 s19, 4, v72
	;; [unrolled: 1-line block ×3, first 2 shown]
	v_div_fixup_f32 v95, v95, v74, 1.0
	v_lshlrev_b32_e32 v73, 6, v68
	v_cmp_eq_u32_e64 s6, 5, v70
	v_cmp_eq_u32_e64 s20, 5, v72
	;; [unrolled: 1-line block ×3, first 2 shown]
	v_mul_f32_e32 v102, v94, v95
	v_lshl_or_b32 v75, v69, 11, v73
	v_or_b32_e32 v69, 2, v70
	v_cmp_eq_u32_e64 s25, 6, v72
	v_cmp_eq_u32_e64 s27, 6, v71
	v_fma_mixlo_f16 v94, v102, v79, 0
	v_fma_mixlo_f16 v95, v102, v81, 0
	;; [unrolled: 1-line block ×8, first 2 shown]
	v_lshl_or_b32 v74, v66, 4, v75
	v_fma_mixhi_f16 v94, v102, v78, 0
	v_fma_mixhi_f16 v95, v102, v80, 0
	;; [unrolled: 1-line block ×8, first 2 shown]
	ds_store_b128 v74, v[94:97]
	ds_store_b128 v74, v[98:101] offset:1024
	s_waitcnt lgkmcnt(0)
	s_barrier
	buffer_gl0_inv
	ds_load_b128 v[78:81], v75
	ds_load_b128 v[82:85], v75 offset:16
	ds_load_b128 v[86:89], v75 offset:1024
	;; [unrolled: 1-line block ×3, first 2 shown]
	v_cmp_eq_u32_e64 s10, 1, v69
	v_cmp_eq_u32_e64 s15, 2, v69
	;; [unrolled: 1-line block ×11, first 2 shown]
	s_waitcnt lgkmcnt(3)
	v_lshrrev_b32_e32 v94, 16, v78
	s_waitcnt lgkmcnt(2)
	v_lshrrev_b32_e32 v98, 16, v82
	;; [unrolled: 2-line block ×4, first 2 shown]
	v_lshrrev_b32_e32 v95, 16, v79
	v_cndmask_b32_e64 v110, v78, v94, s4
	v_cndmask_b32_e64 v111, v82, v98, s4
	;; [unrolled: 1-line block ×8, first 2 shown]
	v_lshrrev_b32_e32 v99, 16, v83
	v_cndmask_b32_e64 v94, v86, v102, s4
	v_cndmask_b32_e64 v98, v90, v106, s4
	;; [unrolled: 1-line block ×15, first 2 shown]
	v_lshrrev_b32_e32 v103, 16, v87
	v_lshrrev_b32_e32 v107, 16, v91
	v_cndmask_b32_e64 v113, v115, v83, s15
	v_cndmask_b32_e64 v82, v94, v87, s5
	;; [unrolled: 1-line block ×7, first 2 shown]
	v_cndmask_b32_e32 v90, v102, v95, vcc_lo
	v_cndmask_b32_e32 v102, v106, v99, vcc_lo
	v_cndmask_b32_e64 v106, v110, v95, s13
	v_cndmask_b32_e64 v110, v111, v99, s13
	v_cndmask_b32_e64 v78, v78, v95, s18
	v_cndmask_b32_e64 v79, v79, v99, s18
	v_lshrrev_b32_e32 v96, 16, v80
	v_lshrrev_b32_e32 v100, 16, v84
	v_cndmask_b32_e64 v111, v112, v95, s17
	v_cndmask_b32_e64 v112, v113, v99, s17
	v_cndmask_b32_e32 v82, v82, v103, vcc_lo
	v_cndmask_b32_e32 v83, v83, v107, vcc_lo
	v_cndmask_b32_e64 v94, v94, v103, s13
	v_cndmask_b32_e64 v90, v90, v80, s3
	;; [unrolled: 1-line block ×7, first 2 shown]
	v_lshrrev_b32_e32 v104, 16, v88
	v_cndmask_b32_e64 v106, v111, v80, s21
	v_cndmask_b32_e64 v110, v112, v84, s21
	;; [unrolled: 1-line block ×11, first 2 shown]
	v_lshrrev_b32_e32 v97, 16, v81
	v_lshrrev_b32_e32 v101, 16, v85
	v_cndmask_b32_e64 v99, v106, v96, s23
	v_cndmask_b32_e64 v102, v110, v100, s23
	;; [unrolled: 1-line block ×7, first 2 shown]
	v_lshrrev_b32_e32 v105, 16, v89
	v_cndmask_b32_e64 v80, v80, v104, s6
	v_cndmask_b32_e64 v84, v84, v81, s7
	;; [unrolled: 1-line block ×16, first 2 shown]
	v_perm_b32 v81, v79, v78, 0x5040100
	v_perm_b32 v79, v95, v85, 0x5040100
	v_cndmask_b32_e64 v78, v119, v91, s15
	v_cndmask_b32_e64 v85, v117, v91, s12
	;; [unrolled: 1-line block ×3, first 2 shown]
	v_perm_b32 v80, v94, v90, 0x5040100
	v_cndmask_b32_e64 v90, v98, v103, s17
	v_cndmask_b32_e64 v86, v86, v103, s18
	v_cndmask_b32_e64 v87, v87, v107, s18
	v_cndmask_b32_e64 v78, v78, v107, s17
	v_cndmask_b32_e64 v85, v85, v107, s13
	v_lshrrev_b32_e32 v108, 16, v92
	v_cndmask_b32_e64 v90, v90, v88, s21
	v_cndmask_b32_e64 v86, v86, v88, s22
	;; [unrolled: 1-line block ×11, first 2 shown]
	v_lshrrev_b32_e32 v109, 16, v93
	v_cndmask_b32_e64 v82, v82, v93, s7
	v_cndmask_b32_e64 v88, v88, v89, s26
	;; [unrolled: 1-line block ×12, first 2 shown]
	v_perm_b32 v78, v84, v83, 0x5040100
	v_perm_b32 v85, v87, v86, 0x5040100
	;; [unrolled: 1-line block ×5, first 2 shown]
	s_mul_i32 s8, s33, 13
	s_mov_b32 s3, exec_lo
	ds_store_b128 v74, v[78:81]
	ds_store_b128 v74, v[82:85] offset:1024
	v_cmpx_gt_u32_e32 13, v0
	s_cbranch_execz .LBB1306_14
; %bb.13:
	s_mul_i32 s4, s8, s34
	s_delay_alu instid0(SALU_CYCLE_1) | instskip(SKIP_1) | instid1(VALU_DEP_1)
	v_add3_u32 v68, s4, s31, v68
	s_load_b128 s[4:7], s[0:1], 0x58
	v_mad_u64_u32 v[78:79], null, v68, s35, s[14:15]
	s_delay_alu instid0(VALU_DEP_1) | instskip(NEXT) | instid1(VALU_DEP_1)
	v_ashrrev_i32_e32 v79, 31, v78
	v_lshlrev_b64 v[78:79], 2, v[78:79]
	s_waitcnt lgkmcnt(0)
	s_delay_alu instid0(VALU_DEP_1) | instskip(NEXT) | instid1(VALU_DEP_2)
	v_add_co_u32 v80, vcc_lo, s6, v78
	v_add_co_ci_u32_e32 v81, vcc_lo, s7, v79, vcc_lo
	v_add_co_u32 v78, vcc_lo, s4, v78
	v_add_co_ci_u32_e32 v79, vcc_lo, s5, v79, vcc_lo
	global_store_b32 v[80:81], v76, off
	global_store_b32 v[78:79], v77, off
.LBB1306_14:
	s_or_b32 exec_lo, exec_lo, s3
	s_waitcnt lgkmcnt(0)
	s_waitcnt_vscnt null, 0x0
	s_barrier
	buffer_gl0_inv
	ds_load_b128 v[84:87], v73
	ds_load_b128 v[88:91], v73 offset:16
	ds_load_b128 v[96:99], v73 offset:2064
	;; [unrolled: 1-line block ×5, first 2 shown]
	v_cmp_eq_u32_e32 vcc_lo, 1, v70
	v_mov_b32_e32 v76, 0
	ds_load_b128 v[112:115], v73 offset:6160
	ds_load_b128 v[108:111], v73 offset:6144
	;; [unrolled: 1-line block ×4, first 2 shown]
	v_cmp_eq_u32_e64 s4, 1, v69
	v_cmp_eq_u32_e64 s3, 1, v72
	;; [unrolled: 1-line block ×3, first 2 shown]
	v_mov_b32_e32 v77, v76
	v_mov_b32_e32 v78, v76
	;; [unrolled: 1-line block ×7, first 2 shown]
	v_cmp_eq_u32_e64 s6, 3, v72
	v_cmp_eq_u32_e64 s7, 7, v72
	s_waitcnt lgkmcnt(8)
	s_delay_alu instid0(VALU_DEP_3)
	v_wmma_f32_16x16x16_f16 v[76:83], v[49:56], v[84:91], v[76:83]
	ds_load_b128 v[53:56], v73 offset:10256
	ds_load_b128 v[49:52], v73 offset:10240
	s_waitcnt lgkmcnt(8)
	v_wmma_f32_16x16x16_f16 v[76:83], v[41:48], v[92:99], v[76:83]
	ds_load_b128 v[45:48], v73 offset:12304
	ds_load_b128 v[41:44], v73 offset:12288
	s_waitcnt lgkmcnt(8)
	;; [unrolled: 4-line block ×3, first 2 shown]
	s_barrier
	buffer_gl0_inv
	v_wmma_f32_16x16x16_f16 v[76:83], v[1:8], v[108:115], v[76:83]
	s_delay_alu instid0(VALU_DEP_1) | instskip(NEXT) | instid1(VALU_DEP_1)
	v_wmma_f32_16x16x16_f16 v[76:83], v[9:16], v[116:123], v[76:83]
	v_wmma_f32_16x16x16_f16 v[76:83], v[17:24], v[49:56], v[76:83]
	s_delay_alu instid0(VALU_DEP_1) | instskip(NEXT) | instid1(VALU_DEP_1)
	v_wmma_f32_16x16x16_f16 v[76:83], v[25:32], v[41:48], v[76:83]
	v_wmma_f32_16x16x16_f16 v[76:83], v[57:64], v[33:40], v[76:83]
	s_delay_alu instid0(VALU_DEP_1) | instskip(NEXT) | instid1(VALU_DEP_2)
	v_cvt_f16_f32_e32 v1, v76
	v_cvt_f16_f32_e32 v2, v77
	s_delay_alu instid0(VALU_DEP_3) | instskip(NEXT) | instid1(VALU_DEP_4)
	v_cvt_f16_f32_e32 v3, v78
	v_cvt_f16_f32_e32 v4, v79
	;; [unrolled: 1-line block ×6, first 2 shown]
	v_pack_b32_f16 v1, v1, v2
	v_pack_b32_f16 v2, v3, v4
	;; [unrolled: 1-line block ×3, first 2 shown]
	s_delay_alu instid0(VALU_DEP_4)
	v_pack_b32_f16 v4, v7, v8
	ds_store_b128 v74, v[1:4]
	s_waitcnt lgkmcnt(0)
	s_barrier
	buffer_gl0_inv
	ds_load_b128 v[1:4], v75
	ds_load_b128 v[5:8], v75 offset:16
	s_waitcnt lgkmcnt(1)
	v_lshrrev_b32_e32 v9, 16, v1
	s_waitcnt lgkmcnt(0)
	v_lshrrev_b32_e32 v13, 16, v5
	v_lshrrev_b32_e32 v10, 16, v2
	;; [unrolled: 1-line block ×4, first 2 shown]
	v_cndmask_b32_e32 v17, v1, v9, vcc_lo
	v_cndmask_b32_e32 v18, v5, v13, vcc_lo
	v_cndmask_b32_e64 v21, v1, v9, s4
	v_cmp_eq_u32_e32 vcc_lo, 1, v71
	v_cndmask_b32_e64 v22, v5, v13, s4
	v_cmp_eq_u32_e64 s4, 2, v70
	v_cndmask_b32_e64 v19, v1, v9, s3
	v_cndmask_b32_e64 v20, v5, v13, s3
	v_cndmask_b32_e32 v1, v1, v9, vcc_lo
	v_cmp_eq_u32_e64 s3, 2, v71
	v_cndmask_b32_e32 v5, v5, v13, vcc_lo
	v_cndmask_b32_e64 v9, v17, v2, s4
	v_cmp_eq_u32_e32 vcc_lo, 3, v70
	v_cndmask_b32_e64 v13, v18, v6, s4
	v_cmp_eq_u32_e64 s4, 2, v69
	v_cndmask_b32_e64 v17, v19, v2, s5
	v_cndmask_b32_e64 v18, v20, v6, s5
	v_cmp_eq_u32_e64 s5, 3, v69
	v_cndmask_b32_e64 v1, v1, v2, s3
	v_cndmask_b32_e64 v19, v21, v2, s4
	;; [unrolled: 1-line block ×4, first 2 shown]
	v_cndmask_b32_e32 v5, v9, v10, vcc_lo
	v_cndmask_b32_e32 v6, v13, v14, vcc_lo
	v_cmp_eq_u32_e32 vcc_lo, 3, v71
	v_cndmask_b32_e64 v9, v17, v10, s6
	v_cndmask_b32_e64 v13, v18, v14, s6
	;; [unrolled: 1-line block ×3, first 2 shown]
	v_cmp_eq_u32_e64 s4, 4, v70
	v_cndmask_b32_e32 v1, v1, v10, vcc_lo
	v_cndmask_b32_e32 v2, v2, v14, vcc_lo
	v_cmp_eq_u32_e32 vcc_lo, 4, v72
	v_lshrrev_b32_e32 v15, 16, v7
	v_lshrrev_b32_e32 v16, 16, v8
	v_cndmask_b32_e64 v17, v19, v10, s5
	v_cmp_eq_u32_e64 s3, 4, v71
	v_cndmask_b32_e64 v5, v5, v3, s4
	v_cndmask_b32_e64 v6, v6, v7, s4
	v_cndmask_b32_e32 v9, v9, v3, vcc_lo
	v_cmp_eq_u32_e64 s4, 5, v72
	v_cndmask_b32_e32 v10, v13, v7, vcc_lo
	v_cmp_eq_u32_e32 vcc_lo, 4, v69
	v_cmp_eq_u32_e64 s5, 5, v70
	v_cndmask_b32_e64 v2, v2, v7, s3
	v_cndmask_b32_e64 v9, v9, v11, s4
	;; [unrolled: 1-line block ×3, first 2 shown]
	v_cndmask_b32_e32 v13, v17, v3, vcc_lo
	v_cmp_eq_u32_e64 s4, 5, v69
	v_cndmask_b32_e32 v14, v18, v7, vcc_lo
	v_cndmask_b32_e64 v1, v1, v3, s3
	v_cmp_eq_u32_e32 vcc_lo, 5, v71
	v_lshrrev_b32_e32 v12, 16, v4
	v_cndmask_b32_e64 v13, v13, v11, s4
	v_cndmask_b32_e64 v3, v14, v15, s4
	v_cmp_eq_u32_e64 s4, 6, v71
	v_cndmask_b32_e32 v1, v1, v11, vcc_lo
	v_cndmask_b32_e64 v5, v5, v11, s5
	v_cmp_eq_u32_e64 s6, 6, v70
	v_cndmask_b32_e64 v6, v6, v15, s5
	v_cmp_eq_u32_e64 s5, 6, v72
	v_cmp_eq_u32_e64 s3, 6, v69
	v_cndmask_b32_e64 v1, v1, v4, s4
	v_cndmask_b32_e32 v2, v2, v15, vcc_lo
	v_cmp_eq_u32_e32 vcc_lo, 7, v71
	v_cndmask_b32_e64 v5, v5, v4, s6
	v_cndmask_b32_e64 v9, v9, v4, s5
	;; [unrolled: 1-line block ×3, first 2 shown]
	v_cmp_eq_u32_e64 s6, 7, v70
	v_cndmask_b32_e32 v1, v1, v12, vcc_lo
	v_cndmask_b32_e64 v7, v13, v4, s3
	v_cndmask_b32_e64 v3, v3, v8, s3
	;; [unrolled: 1-line block ×3, first 2 shown]
	v_cmp_eq_u32_e64 s3, 7, v69
	v_cndmask_b32_e64 v4, v10, v8, s5
	v_cndmask_b32_e64 v5, v5, v12, s6
	;; [unrolled: 1-line block ×3, first 2 shown]
	v_cndmask_b32_e32 v2, v2, v16, vcc_lo
	v_cndmask_b32_e64 v7, v7, v12, s3
	v_cndmask_b32_e64 v3, v3, v16, s3
	;; [unrolled: 1-line block ×4, first 2 shown]
	v_perm_b32 v4, v2, v1, 0x5040100
	s_mov_b32 s3, exec_lo
	v_perm_b32 v3, v3, v7, 0x5040100
	v_perm_b32 v2, v8, v9, 0x5040100
	;; [unrolled: 1-line block ×3, first 2 shown]
	ds_store_b128 v74, v[1:4]
	s_waitcnt lgkmcnt(0)
	s_barrier
	buffer_gl0_inv
	v_cmpx_gt_u32_e32 32, v0
	s_cbranch_execz .LBB1306_2
; %bb.15:
	s_load_b64 s[4:5], s[0:1], 0x68
	v_lshlrev_b32_e32 v0, 10, v0
	v_lshlrev_b32_e32 v1, 4, v67
	s_lshl_b32 s0, s35, 7
	v_add_nc_u32_e32 v18, s31, v66
	s_mul_i32 s1, s0, s34
	s_delay_alu instid0(VALU_DEP_2) | instskip(SKIP_1) | instid1(VALU_DEP_2)
	v_and_or_b32 v0, 0x3800, v0, v1
	s_mul_i32 s6, s1, s8
	v_mul_lo_u32 v1, v18, s0
	s_ashr_i32 s7, s6, 31
	v_add_nc_u32_e32 v2, 2, v18
	v_lshl_or_b32 v19, v66, 6, v0
	s_lshl_b64 s[6:7], s[6:7], 1
	v_add_nc_u32_e32 v8, 4, v18
	v_add_nc_u32_e32 v15, 6, v18
	v_mul_lo_u32 v7, v2, s0
	ds_load_b128 v[3:6], v19
	v_ashrrev_i32_e32 v2, 31, v1
	v_mul_lo_u32 v11, v8, s0
	s_waitcnt lgkmcnt(0)
	s_add_u32 s1, s4, s6
	s_addc_u32 s3, s5, s7
	s_lshl_b32 s4, s14, 7
	v_lshlrev_b64 v[9:10], 1, v[1:2]
	s_ashr_i32 s5, s4, 31
	v_ashrrev_i32_e32 v8, 31, v7
	s_lshl_b64 s[4:5], s[4:5], 1
	v_ashrrev_i32_e32 v12, 31, v11
	s_add_u32 s1, s1, s4
	s_addc_u32 s3, s3, s5
	v_add_co_u32 v1, s1, s1, v65
	s_delay_alu instid0(VALU_DEP_1) | instskip(SKIP_1) | instid1(VALU_DEP_3)
	v_add_co_ci_u32_e64 v2, null, s3, 0, s1
	v_mul_lo_u32 v15, v15, s0
	v_add_co_u32 v13, vcc_lo, v1, v9
	s_delay_alu instid0(VALU_DEP_3)
	v_add_co_ci_u32_e32 v14, vcc_lo, v2, v10, vcc_lo
	v_lshlrev_b64 v[16:17], 1, v[7:8]
	ds_load_b128 v[7:10], v19 offset:128
	global_store_b128 v[13:14], v[3:6], off
	v_add_nc_u32_e32 v5, 8, v18
	v_lshlrev_b64 v[3:4], 1, v[11:12]
	v_add_co_u32 v23, vcc_lo, v1, v16
	v_ashrrev_i32_e32 v16, 31, v15
	s_delay_alu instid0(VALU_DEP_4) | instskip(SKIP_3) | instid1(VALU_DEP_3)
	v_mul_lo_u32 v25, v5, s0
	v_add_nc_u32_e32 v5, 10, v18
	v_add_co_ci_u32_e32 v24, vcc_lo, v2, v17, vcc_lo
	v_add_co_u32 v27, vcc_lo, v1, v3
	v_mul_lo_u32 v29, v5, s0
	v_add_co_ci_u32_e32 v28, vcc_lo, v2, v4, vcc_lo
	v_lshlrev_b64 v[31:32], 1, v[15:16]
	ds_load_b128 v[3:6], v19 offset:256
	ds_load_b128 v[11:14], v19 offset:384
	;; [unrolled: 1-line block ×4, first 2 shown]
	v_ashrrev_i32_e32 v26, 31, v25
	v_ashrrev_i32_e32 v30, 31, v29
	v_add_co_u32 v31, vcc_lo, v1, v31
	s_delay_alu instid0(VALU_DEP_3) | instskip(SKIP_1) | instid1(VALU_DEP_4)
	v_lshlrev_b64 v[25:26], 1, v[25:26]
	v_add_co_ci_u32_e32 v32, vcc_lo, v2, v32, vcc_lo
	v_lshlrev_b64 v[29:30], 1, v[29:30]
	s_delay_alu instid0(VALU_DEP_3) | instskip(NEXT) | instid1(VALU_DEP_4)
	v_add_co_u32 v25, vcc_lo, v1, v25
	v_add_co_ci_u32_e32 v26, vcc_lo, v2, v26, vcc_lo
	s_delay_alu instid0(VALU_DEP_3) | instskip(NEXT) | instid1(VALU_DEP_4)
	v_add_co_u32 v29, vcc_lo, v1, v29
	v_add_co_ci_u32_e32 v30, vcc_lo, v2, v30, vcc_lo
	s_waitcnt lgkmcnt(4)
	global_store_b128 v[23:24], v[7:10], off
	s_waitcnt lgkmcnt(3)
	global_store_b128 v[27:28], v[3:6], off
	;; [unrolled: 2-line block ×5, first 2 shown]
	s_and_b32 exec_lo, exec_lo, s2
	s_cbranch_execz .LBB1306_2
; %bb.16:
	ds_load_b128 v[3:6], v0 offset:768
	s_add_i32 s1, s31, 12
	s_delay_alu instid0(SALU_CYCLE_1) | instskip(NEXT) | instid1(SALU_CYCLE_1)
	s_mul_i32 s0, s1, s0
	s_ashr_i32 s1, s0, 31
	s_delay_alu instid0(SALU_CYCLE_1) | instskip(NEXT) | instid1(SALU_CYCLE_1)
	s_lshl_b64 s[0:1], s[0:1], 1
	v_add_co_u32 v0, vcc_lo, v1, s0
	v_add_co_ci_u32_e32 v1, vcc_lo, s1, v2, vcc_lo
	s_waitcnt lgkmcnt(0)
	global_store_b128 v[0:1], v[3:6], off
	s_nop 0
	s_sendmsg sendmsg(MSG_DEALLOC_VGPRS)
	s_endpgm
	.section	.rodata,"a",@progbits
	.p2align	6, 0x0
	.amdhsa_kernel _Z39paged_attention_ll4mi_QKV_mfma16_kernelIDF16_hLN4vllm18Fp8KVCacheDataTypeE1EhLi32ELi128ELi256ELb0ELi13EL8MFMAType0EEvPKT_PKT0_S8_ifPKiSA_SA_iPKfiiiPfSD_PS3_PT2_iSC_SC_
		.amdhsa_group_segment_fixed_size 17472
		.amdhsa_private_segment_fixed_size 0
		.amdhsa_kernarg_size 400
		.amdhsa_user_sgpr_count 13
		.amdhsa_user_sgpr_dispatch_ptr 0
		.amdhsa_user_sgpr_queue_ptr 0
		.amdhsa_user_sgpr_kernarg_segment_ptr 1
		.amdhsa_user_sgpr_dispatch_id 0
		.amdhsa_user_sgpr_private_segment_size 0
		.amdhsa_wavefront_size32 1
		.amdhsa_uses_dynamic_stack 0
		.amdhsa_enable_private_segment 0
		.amdhsa_system_sgpr_workgroup_id_x 1
		.amdhsa_system_sgpr_workgroup_id_y 1
		.amdhsa_system_sgpr_workgroup_id_z 1
		.amdhsa_system_sgpr_workgroup_info 0
		.amdhsa_system_vgpr_workitem_id 0
		.amdhsa_next_free_vgpr 150
		.amdhsa_next_free_sgpr 37
		.amdhsa_reserve_vcc 1
		.amdhsa_float_round_mode_32 0
		.amdhsa_float_round_mode_16_64 0
		.amdhsa_float_denorm_mode_32 3
		.amdhsa_float_denorm_mode_16_64 3
		.amdhsa_dx10_clamp 1
		.amdhsa_ieee_mode 1
		.amdhsa_fp16_overflow 0
		.amdhsa_workgroup_processor_mode 1
		.amdhsa_memory_ordered 1
		.amdhsa_forward_progress 0
		.amdhsa_shared_vgpr_count 0
		.amdhsa_exception_fp_ieee_invalid_op 0
		.amdhsa_exception_fp_denorm_src 0
		.amdhsa_exception_fp_ieee_div_zero 0
		.amdhsa_exception_fp_ieee_overflow 0
		.amdhsa_exception_fp_ieee_underflow 0
		.amdhsa_exception_fp_ieee_inexact 0
		.amdhsa_exception_int_div_zero 0
	.end_amdhsa_kernel
	.section	.text._Z39paged_attention_ll4mi_QKV_mfma16_kernelIDF16_hLN4vllm18Fp8KVCacheDataTypeE1EhLi32ELi128ELi256ELb0ELi13EL8MFMAType0EEvPKT_PKT0_S8_ifPKiSA_SA_iPKfiiiPfSD_PS3_PT2_iSC_SC_,"axG",@progbits,_Z39paged_attention_ll4mi_QKV_mfma16_kernelIDF16_hLN4vllm18Fp8KVCacheDataTypeE1EhLi32ELi128ELi256ELb0ELi13EL8MFMAType0EEvPKT_PKT0_S8_ifPKiSA_SA_iPKfiiiPfSD_PS3_PT2_iSC_SC_,comdat
.Lfunc_end1306:
	.size	_Z39paged_attention_ll4mi_QKV_mfma16_kernelIDF16_hLN4vllm18Fp8KVCacheDataTypeE1EhLi32ELi128ELi256ELb0ELi13EL8MFMAType0EEvPKT_PKT0_S8_ifPKiSA_SA_iPKfiiiPfSD_PS3_PT2_iSC_SC_, .Lfunc_end1306-_Z39paged_attention_ll4mi_QKV_mfma16_kernelIDF16_hLN4vllm18Fp8KVCacheDataTypeE1EhLi32ELi128ELi256ELb0ELi13EL8MFMAType0EEvPKT_PKT0_S8_ifPKiSA_SA_iPKfiiiPfSD_PS3_PT2_iSC_SC_
                                        ; -- End function
	.section	.AMDGPU.csdata,"",@progbits
; Kernel info:
; codeLenInByte = 6860
; NumSgprs: 39
; NumVgprs: 150
; ScratchSize: 0
; MemoryBound: 0
; FloatMode: 240
; IeeeMode: 1
; LDSByteSize: 17472 bytes/workgroup (compile time only)
; SGPRBlocks: 4
; VGPRBlocks: 18
; NumSGPRsForWavesPerEU: 39
; NumVGPRsForWavesPerEU: 150
; Occupancy: 9
; WaveLimiterHint : 1
; COMPUTE_PGM_RSRC2:SCRATCH_EN: 0
; COMPUTE_PGM_RSRC2:USER_SGPR: 13
; COMPUTE_PGM_RSRC2:TRAP_HANDLER: 0
; COMPUTE_PGM_RSRC2:TGID_X_EN: 1
; COMPUTE_PGM_RSRC2:TGID_Y_EN: 1
; COMPUTE_PGM_RSRC2:TGID_Z_EN: 1
; COMPUTE_PGM_RSRC2:TIDIG_COMP_CNT: 0
	.section	.text._Z39paged_attention_ll4mi_QKV_mfma16_kernelIDF16_hLN4vllm18Fp8KVCacheDataTypeE1EhLi32ELi128ELi256ELb0ELi14EL8MFMAType0EEvPKT_PKT0_S8_ifPKiSA_SA_iPKfiiiPfSD_PS3_PT2_iSC_SC_,"axG",@progbits,_Z39paged_attention_ll4mi_QKV_mfma16_kernelIDF16_hLN4vllm18Fp8KVCacheDataTypeE1EhLi32ELi128ELi256ELb0ELi14EL8MFMAType0EEvPKT_PKT0_S8_ifPKiSA_SA_iPKfiiiPfSD_PS3_PT2_iSC_SC_,comdat
	.protected	_Z39paged_attention_ll4mi_QKV_mfma16_kernelIDF16_hLN4vllm18Fp8KVCacheDataTypeE1EhLi32ELi128ELi256ELb0ELi14EL8MFMAType0EEvPKT_PKT0_S8_ifPKiSA_SA_iPKfiiiPfSD_PS3_PT2_iSC_SC_ ; -- Begin function _Z39paged_attention_ll4mi_QKV_mfma16_kernelIDF16_hLN4vllm18Fp8KVCacheDataTypeE1EhLi32ELi128ELi256ELb0ELi14EL8MFMAType0EEvPKT_PKT0_S8_ifPKiSA_SA_iPKfiiiPfSD_PS3_PT2_iSC_SC_
	.globl	_Z39paged_attention_ll4mi_QKV_mfma16_kernelIDF16_hLN4vllm18Fp8KVCacheDataTypeE1EhLi32ELi128ELi256ELb0ELi14EL8MFMAType0EEvPKT_PKT0_S8_ifPKiSA_SA_iPKfiiiPfSD_PS3_PT2_iSC_SC_
	.p2align	8
	.type	_Z39paged_attention_ll4mi_QKV_mfma16_kernelIDF16_hLN4vllm18Fp8KVCacheDataTypeE1EhLi32ELi128ELi256ELb0ELi14EL8MFMAType0EEvPKT_PKT0_S8_ifPKiSA_SA_iPKfiiiPfSD_PS3_PT2_iSC_SC_,@function
_Z39paged_attention_ll4mi_QKV_mfma16_kernelIDF16_hLN4vllm18Fp8KVCacheDataTypeE1EhLi32ELi128ELi256ELb0ELi14EL8MFMAType0EEvPKT_PKT0_S8_ifPKiSA_SA_iPKfiiiPfSD_PS3_PT2_iSC_SC_: ; @_Z39paged_attention_ll4mi_QKV_mfma16_kernelIDF16_hLN4vllm18Fp8KVCacheDataTypeE1EhLi32ELi128ELi256ELb0ELi14EL8MFMAType0EEvPKT_PKT0_S8_ifPKiSA_SA_iPKfiiiPfSD_PS3_PT2_iSC_SC_
; %bb.0:
	s_load_b64 s[4:5], s[0:1], 0x30
	s_mov_b32 s30, s13
	s_waitcnt lgkmcnt(0)
	s_cmp_lg_u64 s[4:5], 0
	s_cselect_b32 s8, -1, 0
	s_ashr_i32 s31, s13, 31
	s_cmp_eq_u64 s[4:5], 0
	s_cbranch_scc1 .LBB1307_3
; %bb.1:
	s_lshl_b64 s[2:3], s[30:31], 2
	s_delay_alu instid0(SALU_CYCLE_1) | instskip(SKIP_4) | instid1(SALU_CYCLE_1)
	s_add_u32 s2, s4, s2
	s_addc_u32 s3, s5, s3
	s_load_b64 s[2:3], s[2:3], 0x0
	s_waitcnt lgkmcnt(0)
	s_sub_i32 s2, s3, s2
	s_cmp_eq_u32 s2, 1
	s_cselect_b32 s2, -1, 0
	s_delay_alu instid0(SALU_CYCLE_1)
	s_and_not1_b32 vcc_lo, exec_lo, s2
	s_cbranch_vccz .LBB1307_4
.LBB1307_2:
	s_endpgm
.LBB1307_3:
.LBB1307_4:
	s_load_b64 s[2:3], s[0:1], 0x28
	s_lshl_b64 s[6:7], s[30:31], 2
	s_waitcnt lgkmcnt(0)
	s_add_u32 s2, s2, s6
	s_addc_u32 s3, s3, s7
	s_lshl_b32 s12, s14, 8
	s_load_b32 s24, s[2:3], 0x0
	s_waitcnt lgkmcnt(0)
	s_cmp_ge_i32 s12, s24
	s_cbranch_scc1 .LBB1307_2
; %bb.5:
	s_clause 0x1
	s_load_b128 s[20:23], s[0:1], 0x8
	s_load_b64 s[2:3], s[0:1], 0x20
	s_and_not1_b32 vcc_lo, exec_lo, s8
	s_cbranch_vccnz .LBB1307_7
; %bb.6:
	s_add_u32 s4, s4, s6
	s_addc_u32 s5, s5, s7
	s_load_b32 s5, s[4:5], 0x0
	s_branch .LBB1307_8
.LBB1307_7:
	s_mov_b32 s5, s30
.LBB1307_8:
	s_load_b128 s[16:19], s[0:1], 0x48
	v_and_b32_e32 v68, 15, v0
	v_lshrrev_b32_e32 v69, 5, v0
	v_and_b32_e32 v70, 31, v0
	v_and_b32_e32 v67, 1, v0
	v_bfe_u32 v66, v0, 4, 1
	v_lshlrev_b32_e32 v1, 3, v68
	s_mul_i32 s31, s15, 14
	s_mov_b32 s4, exec_lo
	s_delay_alu instid0(VALU_DEP_1)
	v_lshlrev_b32_e32 v65, 1, v1
	v_cmpx_gt_u32_e32 0xe0, v0
	s_cbranch_execz .LBB1307_10
; %bb.9:
	s_load_b64 s[6:7], s[0:1], 0x0
	v_lshl_or_b32 v5, v69, 1, v66
	s_waitcnt lgkmcnt(0)
	s_mul_hi_i32 s9, s5, s16
	s_mul_i32 s8, s5, s16
	v_lshlrev_b32_e32 v6, 10, v68
	s_lshl_b64 s[8:9], s[8:9], 1
	v_add_lshl_u32 v1, v5, s31, 7
	v_lshlrev_b32_e32 v5, 6, v5
	v_lshlrev_b32_e32 v7, 10, v67
	v_and_b32_e32 v6, 0x3800, v6
	s_delay_alu instid0(VALU_DEP_4) | instskip(NEXT) | instid1(VALU_DEP_2)
	v_ashrrev_i32_e32 v2, 31, v1
	v_or3_b32 v5, v6, v7, v5
	s_delay_alu instid0(VALU_DEP_2) | instskip(SKIP_2) | instid1(VALU_DEP_1)
	v_lshlrev_b64 v[1:2], 1, v[1:2]
	s_add_u32 s5, s6, s8
	s_addc_u32 s6, s7, s9
	v_add_co_u32 v1, vcc_lo, s5, v1
	s_delay_alu instid0(VALU_DEP_2) | instskip(NEXT) | instid1(VALU_DEP_2)
	v_add_co_ci_u32_e32 v2, vcc_lo, s6, v2, vcc_lo
	v_add_co_u32 v1, vcc_lo, v1, v65
	s_delay_alu instid0(VALU_DEP_2)
	v_add_co_ci_u32_e32 v2, vcc_lo, 0, v2, vcc_lo
	global_load_b128 v[1:4], v[1:2], off
	s_waitcnt vmcnt(0)
	ds_store_b128 v5, v[1:4]
.LBB1307_10:
	s_or_b32 exec_lo, exec_lo, s4
	v_and_b32_e32 v1, 0xef, v0
	s_waitcnt lgkmcnt(0)
	s_add_i32 s5, s24, 31
	s_clause 0x1
	s_load_b32 s4, s[0:1], 0x38
	s_load_b32 s33, s[0:1], 0x98
	s_ashr_i32 s6, s5, 31
	v_add_nc_u32_e32 v1, s12, v1
	s_lshr_b32 s6, s6, 27
	s_load_b32 s19, s[0:1], 0x1c
	s_add_i32 s5, s5, s6
	s_waitcnt lgkmcnt(0)
	v_ashrrev_i32_e32 v2, 31, v1
	v_or_b32_e32 v3, 16, v1
	s_ashr_i32 s13, s5, 5
	v_cmp_gt_i32_e32 vcc_lo, s24, v1
	s_add_i32 s13, s13, -1
	v_lshrrev_b32_e32 v2, 27, v2
	s_barrier
	buffer_gl0_inv
	s_mul_i32 s15, s15, s18
	v_add_nc_u32_e32 v4, v1, v2
	s_mul_i32 s4, s30, s4
	s_delay_alu instid0(SALU_CYCLE_1) | instskip(NEXT) | instid1(VALU_DEP_1)
	s_ashr_i32 s5, s4, 31
	v_ashrrev_i32_e32 v4, 5, v4
	v_add_nc_u32_e32 v2, v3, v2
	s_lshl_b64 s[4:5], s[4:5], 2
	s_delay_alu instid0(SALU_CYCLE_1) | instskip(NEXT) | instid1(VALU_DEP_2)
	s_add_u32 s16, s2, s4
	v_cndmask_b32_e32 v1, s13, v4, vcc_lo
	s_delay_alu instid0(VALU_DEP_2)
	v_ashrrev_i32_e32 v2, 5, v2
	v_cmp_gt_i32_e32 vcc_lo, s24, v3
	s_addc_u32 s25, s3, s5
	s_ashr_i32 s18, s15, 31
	s_add_u32 s2, s20, s15
	s_addc_u32 s3, s21, s18
	v_cndmask_b32_e32 v3, s13, v2, vcc_lo
	v_ashrrev_i32_e32 v2, 31, v1
	s_lshl_b32 s4, s14, 3
	s_delay_alu instid0(SALU_CYCLE_1) | instskip(NEXT) | instid1(VALU_DEP_2)
	s_ashr_i32 s5, s4, 31
	v_ashrrev_i32_e32 v4, 31, v3
	s_delay_alu instid0(VALU_DEP_2) | instskip(SKIP_1) | instid1(SALU_CYCLE_1)
	v_lshlrev_b64 v[1:2], 2, v[1:2]
	s_lshl_b64 s[4:5], s[4:5], 2
	s_add_u32 s4, s16, s4
	s_delay_alu instid0(VALU_DEP_2) | instskip(SKIP_1) | instid1(VALU_DEP_2)
	v_lshlrev_b64 v[3:4], 2, v[3:4]
	s_addc_u32 s5, s25, s5
	v_add_co_u32 v1, vcc_lo, s16, v1
	v_add_co_ci_u32_e32 v2, vcc_lo, s25, v2, vcc_lo
	s_delay_alu instid0(VALU_DEP_3) | instskip(NEXT) | instid1(VALU_DEP_4)
	v_add_co_u32 v3, vcc_lo, s16, v3
	v_add_co_ci_u32_e32 v4, vcc_lo, s25, v4, vcc_lo
	s_clause 0x1
	global_load_b32 v5, v[1:2], off
	global_load_b32 v6, v[3:4], off
	s_or_b32 s6, s12, 32
	s_delay_alu instid0(SALU_CYCLE_1) | instskip(SKIP_2) | instid1(SALU_CYCLE_1)
	s_ashr_i32 s7, s6, 5
	s_cmp_lt_i32 s6, s24
	s_cselect_b32 s6, s7, s13
	s_ashr_i32 s7, s6, 31
	s_delay_alu instid0(SALU_CYCLE_1) | instskip(NEXT) | instid1(SALU_CYCLE_1)
	s_lshl_b64 s[6:7], s[6:7], 2
	s_add_u32 s6, s16, s6
	s_addc_u32 s7, s25, s7
	s_or_b32 s8, s12, 64
	s_delay_alu instid0(SALU_CYCLE_1) | instskip(SKIP_2) | instid1(SALU_CYCLE_1)
	s_ashr_i32 s9, s8, 5
	s_cmp_lt_i32 s8, s24
	s_cselect_b32 s8, s9, s13
	s_ashr_i32 s9, s8, 31
	s_delay_alu instid0(SALU_CYCLE_1) | instskip(NEXT) | instid1(SALU_CYCLE_1)
	s_lshl_b64 s[8:9], s[8:9], 2
	s_add_u32 s8, s16, s8
	s_addc_u32 s9, s25, s9
	;; [unrolled: 10-line block ×5, first 2 shown]
	s_clause 0x5
	s_load_b32 s28, s[4:5], 0x0
	s_load_b32 s29, s[6:7], 0x0
	;; [unrolled: 1-line block ×6, first 2 shown]
	s_mov_b32 s4, 0
	s_delay_alu instid0(SALU_CYCLE_1)
	s_mov_b32 s5, s4
	s_mov_b32 s6, s4
	;; [unrolled: 1-line block ×7, first 2 shown]
	s_delay_alu instid0(SALU_CYCLE_1)
	v_dual_mov_b32 v118, s11 :: v_dual_mov_b32 v117, s10
	v_dual_mov_b32 v116, s9 :: v_dual_mov_b32 v115, s8
	v_mov_b32_e32 v113, s6
	v_dual_mov_b32 v111, s4 :: v_dual_mov_b32 v114, s7
	v_mov_b32_e32 v112, s5
	s_waitcnt vmcnt(1)
	v_mad_i64_i32 v[1:2], null, v5, s17, s[2:3]
	v_lshlrev_b32_e32 v5, 4, v68
	s_waitcnt vmcnt(0)
	v_mad_i64_i32 v[3:4], null, v6, s17, s[2:3]
	s_or_b32 s2, s12, 0xc0
	s_delay_alu instid0(SALU_CYCLE_1) | instskip(NEXT) | instid1(VALU_DEP_3)
	s_ashr_i32 s3, s2, 5
	v_add_co_u32 v1, vcc_lo, v1, v5
	s_delay_alu instid0(VALU_DEP_4) | instskip(NEXT) | instid1(VALU_DEP_3)
	v_add_co_ci_u32_e32 v2, vcc_lo, 0, v2, vcc_lo
	v_add_co_u32 v3, vcc_lo, v3, v5
	s_delay_alu instid0(VALU_DEP_4)
	v_add_co_ci_u32_e32 v4, vcc_lo, 0, v4, vcc_lo
	s_clause 0xf
	global_load_b128 v[17:20], v[1:2], off
	global_load_b128 v[21:24], v[1:2], off offset:512
	global_load_b128 v[25:28], v[3:4], off offset:256
	;; [unrolled: 1-line block ×15, first 2 shown]
	s_cmp_lt_i32 s2, s24
	v_add_nc_u32_e32 v1, -14, v68
	s_cselect_b32 s2, s3, s13
	v_cmp_gt_u32_e32 vcc_lo, 14, v68
	s_ashr_i32 s3, s2, 31
	v_lshlrev_b32_e32 v2, 5, v68
	s_lshl_b64 s[2:3], s[2:3], 2
	s_delay_alu instid0(SALU_CYCLE_1)
	s_add_u32 s2, s16, s2
	s_addc_u32 s3, s25, s3
	s_or_b32 s20, s12, 0xe0
	v_cndmask_b32_e32 v1, v1, v68, vcc_lo
	s_ashr_i32 s21, s20, 5
	s_cmp_lt_i32 s20, s24
	s_cselect_b32 s20, s21, s13
	s_delay_alu instid0(VALU_DEP_1)
	v_lshlrev_b32_e32 v149, 6, v1
	s_ashr_i32 s21, s20, 31
	v_lshl_or_b32 v1, v69, 9, v2
	s_lshl_b64 s[4:5], s[20:21], 2
	ds_load_b128 v[119:122], v149
	ds_load_b128 v[123:126], v149 offset:1024
	s_add_u32 s4, s16, s4
	s_addc_u32 s5, s25, s5
	ds_load_b128 v[127:130], v149 offset:2048
	ds_load_b128 v[131:134], v149 offset:3072
	s_clause 0x1
	s_load_b32 s2, s[2:3], 0x0
	s_load_b32 s3, s[4:5], 0x0
	s_add_u32 s6, s22, s15
	s_addc_u32 s7, s23, s18
	v_add_co_u32 v135, s6, s6, v1
	s_delay_alu instid0(VALU_DEP_1) | instskip(SKIP_1) | instid1(VALU_DEP_1)
	v_add_co_ci_u32_e64 v136, null, s7, 0, s6
	s_waitcnt lgkmcnt(0)
	v_mad_i64_i32 v[1:2], null, s28, s17, v[135:136]
	v_mad_i64_i32 v[3:4], null, s29, s17, v[135:136]
	v_mad_i64_i32 v[5:6], null, s34, s17, v[135:136]
	v_mad_i64_i32 v[7:8], null, s35, s17, v[135:136]
	v_mad_i64_i32 v[143:144], null, s26, s17, v[135:136]
	v_mad_i64_i32 v[13:14], null, s36, s17, v[135:136]
	s_clause 0x9
	global_load_b128 v[49:52], v[1:2], off
	global_load_b128 v[53:56], v[1:2], off offset:16
	global_load_b128 v[41:44], v[3:4], off
	global_load_b128 v[45:48], v[3:4], off offset:16
	;; [unrolled: 2-line block ×5, first 2 shown]
	v_mad_i64_i32 v[145:146], null, s2, s17, v[135:136]
	v_mad_i64_i32 v[147:148], null, s3, s17, v[135:136]
	s_waitcnt vmcnt(24)
	v_wmma_f32_16x16x16_f16 v[135:142], v[17:24], v[119:126], v[111:118]
	s_waitcnt vmcnt(22)
	v_wmma_f32_16x16x16_f16 v[111:118], v[25:32], v[119:126], v[111:118]
	s_clause 0x3
	global_load_b128 v[17:20], v[143:144], off
	global_load_b128 v[21:24], v[143:144], off offset:16
	global_load_b128 v[25:28], v[145:146], off
	global_load_b128 v[29:32], v[145:146], off offset:16
	v_and_b32_e32 v119, 0xe0, v0
	s_waitcnt vmcnt(24)
	v_wmma_f32_16x16x16_f16 v[135:142], v[57:64], v[127:134], v[135:142]
	s_clause 0x1
	global_load_b128 v[57:60], v[147:148], off
	global_load_b128 v[61:64], v[147:148], off offset:16
	s_waitcnt vmcnt(24)
	v_wmma_f32_16x16x16_f16 v[111:118], v[71:78], v[127:134], v[111:118]
	ds_load_b128 v[71:74], v149 offset:4096
	ds_load_b128 v[75:78], v149 offset:5120
	v_add_nc_u32_e32 v128, s12, v119
	ds_load_b128 v[119:122], v149 offset:6144
	ds_load_b128 v[123:126], v149 offset:7168
	v_mbcnt_lo_u32_b32 v127, -1, 0
	s_waitcnt vmcnt(0) lgkmcnt(0)
	s_barrier
	v_or_b32_e32 v128, v128, v66
	buffer_gl0_inv
	v_xor_b32_e32 v129, 16, v127
	v_or_b32_e32 v130, 4, v128
	v_or_b32_e32 v131, 6, v128
	s_delay_alu instid0(VALU_DEP_3) | instskip(SKIP_4) | instid1(VALU_DEP_4)
	v_cmp_gt_i32_e32 vcc_lo, 32, v129
	v_or_b32_e32 v132, 8, v128
	v_or_b32_e32 v133, 10, v128
	v_cmp_gt_i32_e64 s3, s24, v130
	v_cmp_gt_i32_e64 s4, s24, v131
	;; [unrolled: 1-line block ×3, first 2 shown]
	v_wmma_f32_16x16x16_f16 v[135:142], v[79:86], v[71:78], v[135:142]
	v_wmma_f32_16x16x16_f16 v[111:118], v[87:94], v[71:78], v[111:118]
	v_or_b32_e32 v79, 12, v128
	v_or_b32_e32 v80, 14, v128
	v_cmp_gt_i32_e64 s6, s24, v133
	v_wmma_f32_16x16x16_f16 v[135:142], v[95:102], v[119:126], v[135:142]
	v_wmma_f32_16x16x16_f16 v[111:118], v[103:110], v[119:126], v[111:118]
	v_cndmask_b32_e32 v127, v127, v129, vcc_lo
	v_or_b32_e32 v129, 2, v128
	v_cmp_gt_i32_e32 vcc_lo, s24, v128
	s_delay_alu instid0(VALU_DEP_4) | instskip(SKIP_1) | instid1(VALU_DEP_4)
	v_dual_mul_f32 v87, s19, v136 :: v_dual_mul_f32 v94, s19, v113
	v_mul_f32_e32 v88, s19, v135
	v_cmp_gt_i32_e64 s2, s24, v129
	v_mul_f32_e32 v78, s19, v138
	v_mul_f32_e32 v86, s19, v137
	;; [unrolled: 1-line block ×3, first 2 shown]
	v_cndmask_b32_e32 v88, 0xff7fffff, v88, vcc_lo
	v_cndmask_b32_e64 v87, 0xff7fffff, v87, s2
	v_dual_mul_f32 v77, s19, v139 :: v_dual_mul_f32 v90, s19, v117
	v_cndmask_b32_e64 v86, 0xff7fffff, v86, s3
	v_cndmask_b32_e64 v78, 0xff7fffff, v78, s4
	s_delay_alu instid0(VALU_DEP_4)
	v_max3_f32 v87, v88, 0xff7fffff, v87
	v_or_b32_e32 v81, 16, v128
	v_or_b32_e32 v82, 18, v128
	v_dual_mul_f32 v74, s19, v142 :: v_dual_mul_f32 v75, s19, v141
	v_mul_f32_e32 v96, s19, v111
	v_cndmask_b32_e64 v77, 0xff7fffff, v77, s5
	v_cndmask_b32_e64 v76, 0xff7fffff, v76, s6
	v_max3_f32 v78, v87, v86, v78
	v_cmp_gt_i32_e64 s7, s24, v79
	v_cmp_gt_i32_e64 s8, s24, v80
	v_or_b32_e32 v83, 20, v128
	v_or_b32_e32 v84, 22, v128
	v_mul_f32_e32 v95, s19, v112
	v_cndmask_b32_e64 v75, 0xff7fffff, v75, s7
	v_cndmask_b32_e64 v74, 0xff7fffff, v74, s8
	v_max3_f32 v76, v78, v77, v76
	v_cmp_gt_i32_e64 s9, s24, v81
	v_cmp_gt_i32_e64 s10, s24, v82
	v_or_b32_e32 v85, 24, v128
	v_or_b32_e32 v71, 26, v128
	;; [unrolled: 8-line block ×3, first 2 shown]
	v_dual_mul_f32 v91, s19, v116 :: v_dual_mul_f32 v92, s19, v115
	v_cndmask_b32_e64 v75, 0xff7fffff, v94, s11
	v_cndmask_b32_e64 v76, 0xff7fffff, v93, s12
	v_max3_f32 v74, v74, v77, v78
	v_cmp_gt_i32_e64 s13, s24, v85
	v_cmp_gt_i32_e64 s15, s24, v71
	v_mul_f32_e32 v89, s19, v118
	v_cmp_gt_i32_e64 s16, s24, v72
	v_max3_f32 v74, v74, v75, v76
	v_cndmask_b32_e64 v77, 0xff7fffff, v92, s13
	v_cndmask_b32_e64 v71, 0xff7fffff, v91, s15
	v_cmp_gt_i32_e64 s17, s24, v73
	v_cndmask_b32_e64 v72, 0xff7fffff, v90, s16
	s_delay_alu instid0(VALU_DEP_3) | instskip(SKIP_1) | instid1(VALU_DEP_4)
	v_max3_f32 v71, v74, v77, v71
	v_lshlrev_b32_e32 v74, 2, v127
	v_cndmask_b32_e64 v73, 0xff7fffff, v89, s17
	s_delay_alu instid0(VALU_DEP_1) | instskip(SKIP_3) | instid1(VALU_DEP_1)
	v_max3_f32 v71, v71, v72, v73
	ds_bpermute_b32 v72, v74, v71
	s_waitcnt lgkmcnt(0)
	v_max_f32_e32 v72, v72, v72
	v_max_f32_e32 v71, v71, v72
	s_delay_alu instid0(VALU_DEP_1) | instskip(SKIP_4) | instid1(VALU_DEP_4)
	v_fma_f32 v72, s19, v135, -v71
	v_fma_f32 v73, s19, v136, -v71
	;; [unrolled: 1-line block ×5, first 2 shown]
	v_dual_mul_f32 v72, 0x3fb8aa3b, v72 :: v_dual_mul_f32 v73, 0x3fb8aa3b, v73
	s_delay_alu instid0(VALU_DEP_3) | instskip(SKIP_1) | instid1(VALU_DEP_3)
	v_dual_mul_f32 v75, 0x3fb8aa3b, v75 :: v_dual_mul_f32 v76, 0x3fb8aa3b, v76
	v_fma_f32 v80, s19, v141, -v71
	v_exp_f32_e32 v72, v72
	s_delay_alu instid0(VALU_DEP_3) | instskip(NEXT) | instid1(VALU_DEP_2)
	v_exp_f32_e32 v73, v73
	v_exp_f32_e32 v75, v75
	;; [unrolled: 1-line block ×3, first 2 shown]
	v_mul_f32_e32 v82, 0x3fb8aa3b, v80
	s_delay_alu instid0(VALU_DEP_1) | instskip(SKIP_4) | instid1(TRANS32_DEP_3)
	v_exp_f32_e32 v84, v82
	v_cndmask_b32_e32 v79, 0, v72, vcc_lo
	v_fma_f32 v72, s19, v140, -v71
	v_mul_f32_e32 v77, 0x3fb8aa3b, v77
	v_cndmask_b32_e64 v78, 0, v73, s2
	v_cndmask_b32_e64 v81, 0, v75, s3
	s_delay_alu instid0(VALU_DEP_4) | instskip(NEXT) | instid1(VALU_DEP_4)
	v_dual_add_f32 v73, 0, v79 :: v_dual_mul_f32 v72, 0x3fb8aa3b, v72
	v_exp_f32_e32 v77, v77
	v_cndmask_b32_e64 v80, 0, v76, s4
	s_delay_alu instid0(TRANS32_DEP_2) | instskip(NEXT) | instid1(VALU_DEP_3)
	v_cndmask_b32_e64 v85, 0, v84, s7
	v_add_f32_e32 v73, v73, v78
	v_exp_f32_e32 v72, v72
	s_mov_b32 s2, exec_lo
	s_delay_alu instid0(VALU_DEP_1) | instskip(SKIP_4) | instid1(VALU_DEP_2)
	v_add_f32_e32 v73, v73, v81
	s_waitcnt_depctr 0xfff
	v_cndmask_b32_e64 v83, 0, v77, s5
	v_add_f32_e32 v73, v73, v80
	v_cndmask_b32_e64 v82, 0, v72, s6
	v_add_f32_e32 v72, v73, v83
	s_delay_alu instid0(VALU_DEP_1) | instskip(NEXT) | instid1(VALU_DEP_1)
	v_add_f32_e32 v72, v72, v82
	v_add_f32_e32 v72, v72, v85
	v_fma_f32 v76, s19, v111, -v71
	v_fma_f32 v75, s19, v142, -v71
	;; [unrolled: 1-line block ×5, first 2 shown]
	s_delay_alu instid0(VALU_DEP_4) | instskip(NEXT) | instid1(VALU_DEP_3)
	v_dual_mul_f32 v76, 0x3fb8aa3b, v76 :: v_dual_mul_f32 v75, 0x3fb8aa3b, v75
	v_mul_f32_e32 v86, 0x3fb8aa3b, v86
	s_delay_alu instid0(VALU_DEP_2) | instskip(NEXT) | instid1(VALU_DEP_2)
	v_exp_f32_e32 v76, v76
	v_exp_f32_e32 v75, v75
	s_delay_alu instid0(VALU_DEP_1) | instskip(NEXT) | instid1(TRANS32_DEP_3)
	v_exp_f32_e32 v88, v86
	v_cndmask_b32_e64 v87, 0, v76, s9
	v_fma_f32 v76, s19, v116, -v71
	v_mul_f32_e32 v77, 0x3fb8aa3b, v77
	s_waitcnt_depctr 0xfff
	v_cndmask_b32_e64 v84, 0, v75, s8
	v_fma_f32 v75, s19, v115, -v71
	v_cndmask_b32_e64 v88, 0, v88, s12
	v_mul_f32_e32 v76, 0x3fb8aa3b, v76
	v_exp_f32_e32 v77, v77
	v_add_f32_e32 v72, v72, v84
	s_delay_alu instid0(VALU_DEP_2) | instskip(NEXT) | instid1(VALU_DEP_1)
	v_exp_f32_e32 v76, v76
	v_add_f32_e32 v72, v72, v87
	s_waitcnt_depctr 0xfff
	v_cndmask_b32_e64 v86, 0, v77, s10
	v_mul_f32_e32 v73, 0x3fb8aa3b, v73
	v_fma_f32 v77, s19, v117, -v71
	v_cndmask_b32_e64 v90, 0, v76, s15
	s_delay_alu instid0(VALU_DEP_4) | instskip(NEXT) | instid1(VALU_DEP_4)
	v_add_f32_e32 v72, v72, v86
	v_exp_f32_e32 v73, v73
	s_waitcnt_depctr 0xfff
	v_cndmask_b32_e64 v89, 0, v73, s11
	s_delay_alu instid0(VALU_DEP_1) | instskip(NEXT) | instid1(VALU_DEP_1)
	v_dual_mul_f32 v75, 0x3fb8aa3b, v75 :: v_dual_add_f32 v72, v72, v89
	v_exp_f32_e32 v75, v75
	v_mul_f32_e32 v73, 0x3fb8aa3b, v77
	v_fma_f32 v77, s19, v118, -v71
	s_delay_alu instid0(VALU_DEP_3) | instskip(NEXT) | instid1(VALU_DEP_3)
	v_add_f32_e32 v72, v72, v88
	v_exp_f32_e32 v73, v73
	s_waitcnt_depctr 0xfff
	v_cndmask_b32_e64 v91, 0, v75, s13
	s_delay_alu instid0(VALU_DEP_1) | instskip(NEXT) | instid1(VALU_DEP_1)
	v_dual_mul_f32 v75, 0x3fb8aa3b, v77 :: v_dual_add_f32 v72, v72, v91
	v_exp_f32_e32 v75, v75
	v_cndmask_b32_e64 v93, 0, v73, s16
	s_delay_alu instid0(VALU_DEP_2) | instskip(NEXT) | instid1(VALU_DEP_1)
	v_add_f32_e32 v72, v72, v90
	v_add_f32_e32 v72, v72, v93
	s_waitcnt_depctr 0xfff
	v_cndmask_b32_e64 v92, 0, v75, s17
	s_delay_alu instid0(VALU_DEP_1)
	v_add_f32_e32 v72, v72, v92
	ds_bpermute_b32 v73, v74, v72
	v_cmpx_gt_u32_e32 16, v70
	s_cbranch_execz .LBB1307_12
; %bb.11:
	v_mul_u32_u24_e32 v70, 0x44, v69
	s_waitcnt lgkmcnt(0)
	v_add_f32_e32 v72, v72, v73
	s_delay_alu instid0(VALU_DEP_2) | instskip(NEXT) | instid1(VALU_DEP_1)
	v_lshl_add_u32 v70, v68, 2, v70
	v_add_nc_u32_e32 v70, 0x4000, v70
	ds_store_2addr_b32 v70, v71, v72 offset1:136
.LBB1307_12:
	s_or_b32 exec_lo, exec_lo, s2
	v_lshlrev_b32_e32 v70, 2, v68
	s_load_b32 s34, s[0:1], 0x94
	s_waitcnt lgkmcnt(0)
	s_barrier
	buffer_gl0_inv
	v_add_nc_u32_e32 v98, 0x4000, v70
	v_cmp_eq_u32_e32 vcc_lo, 1, v69
	v_cmp_eq_u32_e64 s2, 2, v69
	v_cmp_eq_u32_e64 s3, 3, v69
	;; [unrolled: 1-line block ×3, first 2 shown]
	ds_load_2addr_b32 v[70:71], v98 offset1:17
	ds_load_2addr_b32 v[72:73], v98 offset0:34 offset1:51
	ds_load_2addr_b32 v[74:75], v98 offset0:68 offset1:85
	;; [unrolled: 1-line block ×3, first 2 shown]
	v_cmp_eq_u32_e64 s5, 5, v69
	v_cmp_eq_u32_e64 s6, 7, v69
	s_waitcnt lgkmcnt(3)
	v_max3_f32 v76, v70, 0xff7fffff, v71
	s_waitcnt lgkmcnt(2)
	s_delay_alu instid0(VALU_DEP_1) | instskip(SKIP_1) | instid1(VALU_DEP_1)
	v_max3_f32 v76, v76, v72, v73
	s_waitcnt lgkmcnt(1)
	v_max3_f32 v76, v76, v74, v75
	s_waitcnt lgkmcnt(0)
	s_delay_alu instid0(VALU_DEP_1) | instskip(NEXT) | instid1(VALU_DEP_1)
	v_max3_f32 v76, v76, v94, v95
	v_sub_f32_e32 v77, v71, v76
	ds_load_2addr_b32 v[96:97], v98 offset0:136 offset1:153
	v_sub_f32_e32 v74, v74, v76
	v_sub_f32_e32 v70, v70, v76
	;; [unrolled: 1-line block ×3, first 2 shown]
	v_dual_sub_f32 v72, v72, v76 :: v_dual_mul_f32 v77, 0x3fb8aa3b, v77
	s_delay_alu instid0(VALU_DEP_4) | instskip(NEXT) | instid1(VALU_DEP_4)
	v_mul_f32_e32 v103, 0x3fb8aa3b, v74
	v_mul_f32_e32 v99, 0x3fb8aa3b, v70
	ds_load_2addr_b32 v[70:71], v98 offset0:170 offset1:187
	v_dual_mul_f32 v101, 0x3fb8aa3b, v72 :: v_dual_mul_f32 v94, 0x3fb8aa3b, v94
	v_exp_f32_e32 v102, v77
	v_exp_f32_e32 v99, v99
	s_delay_alu instid0(VALU_DEP_1) | instskip(NEXT) | instid1(VALU_DEP_1)
	v_exp_f32_e32 v101, v101
	v_exp_f32_e32 v94, v94
	s_waitcnt lgkmcnt(1)
	s_delay_alu instid0(TRANS32_DEP_3)
	v_fma_f32 v77, v99, v96, 0
	v_sub_f32_e32 v100, v73, v76
	ds_load_2addr_b32 v[72:73], v98 offset0:204 offset1:221
	v_fmac_f32_e32 v77, v102, v97
	v_exp_f32_e32 v97, v103
	s_waitcnt lgkmcnt(1)
	s_delay_alu instid0(VALU_DEP_1)
	v_dual_fmac_f32 v77, v101, v70 :: v_dual_sub_f32 v96, v75, v76
	ds_load_2addr_b32 v[74:75], v98 offset0:238 offset1:255
	v_sub_f32_e32 v70, v95, v76
	s_waitcnt lgkmcnt(0)
	s_barrier
	v_mul_f32_e32 v96, 0x3fb8aa3b, v96
	buffer_gl0_inv
	v_exp_f32_e32 v95, v96
	v_mul_f32_e32 v100, 0x3fb8aa3b, v100
	s_delay_alu instid0(VALU_DEP_1) | instskip(SKIP_3) | instid1(VALU_DEP_2)
	v_exp_f32_e32 v100, v100
	s_waitcnt_depctr 0xfff
	v_dual_fmac_f32 v77, v100, v71 :: v_dual_mul_f32 v70, 0x3fb8aa3b, v70
	v_cndmask_b32_e32 v71, v99, v102, vcc_lo
	v_fmac_f32_e32 v77, v97, v72
	s_delay_alu instid0(VALU_DEP_3) | instskip(NEXT) | instid1(VALU_DEP_1)
	v_exp_f32_e32 v96, v70
	v_fmac_f32_e32 v77, v95, v73
	s_delay_alu instid0(VALU_DEP_1) | instskip(SKIP_2) | instid1(VALU_DEP_1)
	v_fmac_f32_e32 v77, v94, v74
	s_waitcnt_depctr 0xfff
	v_fmac_f32_e32 v77, v96, v75
	v_add_f32_e32 v74, 0x358637bd, v77
	s_delay_alu instid0(VALU_DEP_1) | instskip(SKIP_1) | instid1(VALU_DEP_2)
	v_div_scale_f32 v98, null, v74, v74, 1.0
	v_div_scale_f32 v99, vcc_lo, 1.0, v74, 1.0
	v_rcp_f32_e32 v103, v98
	s_waitcnt_depctr 0xfff
	v_fma_f32 v70, -v98, v103, 1.0
	s_delay_alu instid0(VALU_DEP_1) | instskip(SKIP_2) | instid1(VALU_DEP_2)
	v_fmac_f32_e32 v103, v70, v103
	v_cndmask_b32_e64 v70, v71, v101, s2
	v_cmp_eq_u32_e64 s2, 6, v69
	v_cndmask_b32_e64 v71, v70, v100, s3
	s_delay_alu instid0(VALU_DEP_4) | instskip(NEXT) | instid1(VALU_DEP_2)
	v_dual_mul_f32 v101, v99, v103 :: v_dual_lshlrev_b32 v70, 2, v66
	v_cndmask_b32_e64 v71, v71, v97, s4
	s_delay_alu instid0(VALU_DEP_2) | instskip(NEXT) | instid1(VALU_DEP_3)
	v_or_b32_e32 v72, 1, v70
	v_fma_f32 v100, -v98, v101, v99
	v_cmp_eq_u32_e64 s3, 1, v70
	v_cmp_eq_u32_e64 s4, 2, v70
	v_cndmask_b32_e64 v95, v71, v95, s5
	v_or_b32_e32 v71, 3, v70
	v_fmac_f32_e32 v101, v100, v103
	v_cmp_eq_u32_e64 s8, 1, v72
	v_cmp_eq_u32_e64 s11, 2, v72
	v_cndmask_b32_e64 v94, v95, v94, s2
	v_cmp_eq_u32_e64 s10, 1, v71
	v_fma_f32 v97, -v98, v101, v99
	v_cmp_eq_u32_e64 s15, 2, v71
	v_cmp_eq_u32_e64 s12, 3, v72
	v_cndmask_b32_e64 v94, v94, v96, s6
	v_cmp_eq_u32_e64 s17, 3, v71
	v_div_fmas_f32 v95, v97, v103, v101
	v_cmp_eq_u32_e32 vcc_lo, 3, v70
	v_cmp_eq_u32_e64 s2, 4, v70
	v_cmp_eq_u32_e64 s18, 4, v72
	;; [unrolled: 1-line block ×3, first 2 shown]
	v_div_fixup_f32 v95, v95, v74, 1.0
	v_lshlrev_b32_e32 v73, 6, v68
	v_cmp_eq_u32_e64 s5, 5, v70
	v_cmp_eq_u32_e64 s19, 5, v72
	;; [unrolled: 1-line block ×3, first 2 shown]
	v_mul_f32_e32 v102, v94, v95
	v_lshl_or_b32 v75, v69, 11, v73
	v_or_b32_e32 v69, 2, v70
	v_cmp_eq_u32_e64 s24, 6, v72
	v_cmp_eq_u32_e64 s26, 6, v71
	v_fma_mixlo_f16 v94, v102, v79, 0
	v_fma_mixlo_f16 v95, v102, v81, 0
	;; [unrolled: 1-line block ×8, first 2 shown]
	v_lshl_or_b32 v74, v66, 4, v75
	v_fma_mixhi_f16 v94, v102, v78, 0
	v_fma_mixhi_f16 v95, v102, v80, 0
	;; [unrolled: 1-line block ×8, first 2 shown]
	ds_store_b128 v74, v[94:97]
	ds_store_b128 v74, v[98:101] offset:1024
	s_waitcnt lgkmcnt(0)
	s_barrier
	buffer_gl0_inv
	ds_load_b128 v[78:81], v75
	ds_load_b128 v[82:85], v75 offset:16
	ds_load_b128 v[86:89], v75 offset:1024
	;; [unrolled: 1-line block ×3, first 2 shown]
	v_cmp_eq_u32_e64 s9, 1, v69
	v_cmp_eq_u32_e64 s13, 2, v69
	;; [unrolled: 1-line block ×11, first 2 shown]
	s_waitcnt lgkmcnt(3)
	v_lshrrev_b32_e32 v94, 16, v78
	s_waitcnt lgkmcnt(2)
	v_lshrrev_b32_e32 v98, 16, v82
	;; [unrolled: 2-line block ×4, first 2 shown]
	v_lshrrev_b32_e32 v95, 16, v79
	v_cndmask_b32_e64 v110, v78, v94, s3
	v_cndmask_b32_e64 v111, v82, v98, s3
	;; [unrolled: 1-line block ×8, first 2 shown]
	v_lshrrev_b32_e32 v99, 16, v83
	v_cndmask_b32_e64 v94, v86, v102, s3
	v_cndmask_b32_e64 v98, v90, v106, s3
	;; [unrolled: 1-line block ×15, first 2 shown]
	v_lshrrev_b32_e32 v103, 16, v87
	v_lshrrev_b32_e32 v107, 16, v91
	v_cndmask_b32_e64 v113, v115, v83, s13
	v_cndmask_b32_e64 v82, v94, v87, s4
	;; [unrolled: 1-line block ×7, first 2 shown]
	v_cndmask_b32_e32 v90, v102, v95, vcc_lo
	v_cndmask_b32_e32 v102, v106, v99, vcc_lo
	v_cndmask_b32_e64 v106, v110, v95, s12
	v_cndmask_b32_e64 v110, v111, v99, s12
	;; [unrolled: 1-line block ×4, first 2 shown]
	v_lshrrev_b32_e32 v96, 16, v80
	v_lshrrev_b32_e32 v100, 16, v84
	v_cndmask_b32_e64 v111, v112, v95, s16
	v_cndmask_b32_e64 v112, v113, v99, s16
	v_cndmask_b32_e32 v82, v82, v103, vcc_lo
	v_cndmask_b32_e32 v83, v83, v107, vcc_lo
	v_cndmask_b32_e64 v94, v94, v103, s12
	v_cndmask_b32_e64 v90, v90, v80, s2
	;; [unrolled: 1-line block ×7, first 2 shown]
	v_lshrrev_b32_e32 v104, 16, v88
	v_cndmask_b32_e64 v106, v111, v80, s20
	v_cndmask_b32_e64 v110, v112, v84, s20
	;; [unrolled: 1-line block ×11, first 2 shown]
	v_lshrrev_b32_e32 v97, 16, v81
	v_lshrrev_b32_e32 v101, 16, v85
	v_cndmask_b32_e64 v99, v106, v96, s22
	v_cndmask_b32_e64 v102, v110, v100, s22
	;; [unrolled: 1-line block ×7, first 2 shown]
	v_lshrrev_b32_e32 v105, 16, v89
	v_cndmask_b32_e64 v80, v80, v104, s5
	v_cndmask_b32_e64 v84, v84, v81, s6
	;; [unrolled: 1-line block ×16, first 2 shown]
	v_perm_b32 v81, v79, v78, 0x5040100
	v_perm_b32 v79, v95, v85, 0x5040100
	v_cndmask_b32_e64 v78, v119, v91, s13
	v_cndmask_b32_e64 v85, v117, v91, s11
	;; [unrolled: 1-line block ×3, first 2 shown]
	v_perm_b32 v80, v94, v90, 0x5040100
	v_cndmask_b32_e64 v90, v98, v103, s16
	v_cndmask_b32_e64 v86, v86, v103, s17
	;; [unrolled: 1-line block ×5, first 2 shown]
	v_lshrrev_b32_e32 v108, 16, v92
	v_cndmask_b32_e64 v90, v90, v88, s20
	v_cndmask_b32_e64 v86, v86, v88, s21
	v_cndmask_b32_e64 v87, v87, v92, s21
	v_cndmask_b32_e64 v78, v78, v92, s20
	v_cndmask_b32_e64 v85, v85, v92, s18
	v_cndmask_b32_e64 v82, v82, v108, s5
	v_cndmask_b32_e64 v88, v90, v104, s22
	v_cndmask_b32_e64 v86, v86, v104, s23
	v_cndmask_b32_e64 v87, v87, v108, s23
	v_cndmask_b32_e64 v78, v78, v108, s22
	v_cndmask_b32_e64 v85, v85, v108, s19
	v_lshrrev_b32_e32 v109, 16, v93
	v_cndmask_b32_e64 v82, v82, v93, s6
	v_cndmask_b32_e64 v88, v88, v89, s25
	;; [unrolled: 1-line block ×12, first 2 shown]
	v_perm_b32 v78, v84, v83, 0x5040100
	v_perm_b32 v85, v87, v86, 0x5040100
	;; [unrolled: 1-line block ×5, first 2 shown]
	s_mul_i32 s7, s33, 14
	s_mov_b32 s2, exec_lo
	ds_store_b128 v74, v[78:81]
	ds_store_b128 v74, v[82:85] offset:1024
	v_cmpx_gt_u32_e32 14, v0
	s_cbranch_execz .LBB1307_14
; %bb.13:
	s_mul_i32 s3, s7, s30
	s_load_b128 s[8:11], s[0:1], 0x58
	v_add3_u32 v68, s3, s31, v68
	s_delay_alu instid0(VALU_DEP_1) | instskip(NEXT) | instid1(VALU_DEP_1)
	v_mad_u64_u32 v[78:79], null, v68, s34, s[14:15]
	v_ashrrev_i32_e32 v79, 31, v78
	s_delay_alu instid0(VALU_DEP_1) | instskip(SKIP_1) | instid1(VALU_DEP_1)
	v_lshlrev_b64 v[78:79], 2, v[78:79]
	s_waitcnt lgkmcnt(0)
	v_add_co_u32 v80, vcc_lo, s10, v78
	s_delay_alu instid0(VALU_DEP_2)
	v_add_co_ci_u32_e32 v81, vcc_lo, s11, v79, vcc_lo
	v_add_co_u32 v78, vcc_lo, s8, v78
	v_add_co_ci_u32_e32 v79, vcc_lo, s9, v79, vcc_lo
	global_store_b32 v[80:81], v76, off
	global_store_b32 v[78:79], v77, off
.LBB1307_14:
	s_or_b32 exec_lo, exec_lo, s2
	s_waitcnt lgkmcnt(0)
	s_waitcnt_vscnt null, 0x0
	s_barrier
	buffer_gl0_inv
	ds_load_b128 v[84:87], v73
	ds_load_b128 v[88:91], v73 offset:16
	ds_load_b128 v[96:99], v73 offset:2064
	ds_load_b128 v[92:95], v73 offset:2048
	ds_load_b128 v[104:107], v73 offset:4112
	ds_load_b128 v[100:103], v73 offset:4096
	v_cmp_eq_u32_e32 vcc_lo, 1, v70
	v_mov_b32_e32 v76, 0
	ds_load_b128 v[112:115], v73 offset:6160
	ds_load_b128 v[108:111], v73 offset:6144
	;; [unrolled: 1-line block ×4, first 2 shown]
	v_cmp_eq_u32_e64 s3, 1, v69
	v_cmp_eq_u32_e64 s2, 1, v72
	;; [unrolled: 1-line block ×3, first 2 shown]
	v_mov_b32_e32 v77, v76
	v_mov_b32_e32 v78, v76
	;; [unrolled: 1-line block ×7, first 2 shown]
	v_cmp_eq_u32_e64 s5, 3, v72
	v_cmp_eq_u32_e64 s6, 7, v72
	s_waitcnt lgkmcnt(8)
	s_delay_alu instid0(VALU_DEP_3)
	v_wmma_f32_16x16x16_f16 v[76:83], v[49:56], v[84:91], v[76:83]
	ds_load_b128 v[53:56], v73 offset:10256
	ds_load_b128 v[49:52], v73 offset:10240
	s_waitcnt lgkmcnt(8)
	v_wmma_f32_16x16x16_f16 v[76:83], v[41:48], v[92:99], v[76:83]
	ds_load_b128 v[45:48], v73 offset:12304
	ds_load_b128 v[41:44], v73 offset:12288
	s_waitcnt lgkmcnt(8)
	v_wmma_f32_16x16x16_f16 v[76:83], v[33:40], v[100:107], v[76:83]
	ds_load_b128 v[37:40], v73 offset:14352
	ds_load_b128 v[33:36], v73 offset:14336
	s_waitcnt lgkmcnt(0)
	s_barrier
	buffer_gl0_inv
	v_wmma_f32_16x16x16_f16 v[76:83], v[1:8], v[108:115], v[76:83]
	s_delay_alu instid0(VALU_DEP_1) | instskip(NEXT) | instid1(VALU_DEP_1)
	v_wmma_f32_16x16x16_f16 v[76:83], v[9:16], v[116:123], v[76:83]
	v_wmma_f32_16x16x16_f16 v[76:83], v[17:24], v[49:56], v[76:83]
	s_delay_alu instid0(VALU_DEP_1) | instskip(NEXT) | instid1(VALU_DEP_1)
	v_wmma_f32_16x16x16_f16 v[76:83], v[25:32], v[41:48], v[76:83]
	v_wmma_f32_16x16x16_f16 v[76:83], v[57:64], v[33:40], v[76:83]
	s_delay_alu instid0(VALU_DEP_1) | instskip(NEXT) | instid1(VALU_DEP_2)
	v_cvt_f16_f32_e32 v1, v76
	v_cvt_f16_f32_e32 v2, v77
	s_delay_alu instid0(VALU_DEP_3) | instskip(NEXT) | instid1(VALU_DEP_4)
	v_cvt_f16_f32_e32 v3, v78
	v_cvt_f16_f32_e32 v4, v79
	;; [unrolled: 1-line block ×6, first 2 shown]
	v_pack_b32_f16 v1, v1, v2
	v_pack_b32_f16 v2, v3, v4
	;; [unrolled: 1-line block ×3, first 2 shown]
	s_delay_alu instid0(VALU_DEP_4)
	v_pack_b32_f16 v4, v7, v8
	ds_store_b128 v74, v[1:4]
	s_waitcnt lgkmcnt(0)
	s_barrier
	buffer_gl0_inv
	ds_load_b128 v[1:4], v75
	ds_load_b128 v[5:8], v75 offset:16
	s_waitcnt lgkmcnt(1)
	v_lshrrev_b32_e32 v9, 16, v1
	s_waitcnt lgkmcnt(0)
	v_lshrrev_b32_e32 v13, 16, v5
	v_lshrrev_b32_e32 v10, 16, v2
	;; [unrolled: 1-line block ×4, first 2 shown]
	v_cndmask_b32_e32 v17, v1, v9, vcc_lo
	v_cndmask_b32_e32 v18, v5, v13, vcc_lo
	v_cndmask_b32_e64 v21, v1, v9, s3
	v_cmp_eq_u32_e32 vcc_lo, 1, v71
	v_cndmask_b32_e64 v22, v5, v13, s3
	v_cmp_eq_u32_e64 s3, 2, v70
	v_cndmask_b32_e64 v19, v1, v9, s2
	v_cndmask_b32_e64 v20, v5, v13, s2
	v_cndmask_b32_e32 v1, v1, v9, vcc_lo
	v_cmp_eq_u32_e64 s2, 2, v71
	v_cndmask_b32_e32 v5, v5, v13, vcc_lo
	v_cndmask_b32_e64 v9, v17, v2, s3
	v_cmp_eq_u32_e32 vcc_lo, 3, v70
	v_cndmask_b32_e64 v13, v18, v6, s3
	v_cmp_eq_u32_e64 s3, 2, v69
	v_cndmask_b32_e64 v17, v19, v2, s4
	v_cndmask_b32_e64 v18, v20, v6, s4
	v_cmp_eq_u32_e64 s4, 3, v69
	v_cndmask_b32_e64 v1, v1, v2, s2
	v_cndmask_b32_e64 v19, v21, v2, s3
	;; [unrolled: 1-line block ×4, first 2 shown]
	v_cndmask_b32_e32 v5, v9, v10, vcc_lo
	v_cndmask_b32_e32 v6, v13, v14, vcc_lo
	v_cmp_eq_u32_e32 vcc_lo, 3, v71
	v_cndmask_b32_e64 v9, v17, v10, s5
	v_cndmask_b32_e64 v13, v18, v14, s5
	v_cndmask_b32_e64 v18, v20, v14, s4
	v_cmp_eq_u32_e64 s3, 4, v70
	v_cndmask_b32_e32 v1, v1, v10, vcc_lo
	v_cndmask_b32_e32 v2, v2, v14, vcc_lo
	v_cmp_eq_u32_e32 vcc_lo, 4, v72
	v_lshrrev_b32_e32 v15, 16, v7
	v_lshrrev_b32_e32 v16, 16, v8
	v_cndmask_b32_e64 v17, v19, v10, s4
	v_cmp_eq_u32_e64 s2, 4, v71
	v_cndmask_b32_e64 v5, v5, v3, s3
	v_cndmask_b32_e64 v6, v6, v7, s3
	v_cndmask_b32_e32 v9, v9, v3, vcc_lo
	v_cmp_eq_u32_e64 s3, 5, v72
	v_cndmask_b32_e32 v10, v13, v7, vcc_lo
	v_cmp_eq_u32_e32 vcc_lo, 4, v69
	v_cmp_eq_u32_e64 s4, 5, v70
	v_cndmask_b32_e64 v2, v2, v7, s2
	v_cndmask_b32_e64 v9, v9, v11, s3
	;; [unrolled: 1-line block ×3, first 2 shown]
	v_cndmask_b32_e32 v13, v17, v3, vcc_lo
	v_cmp_eq_u32_e64 s3, 5, v69
	v_cndmask_b32_e32 v14, v18, v7, vcc_lo
	v_cndmask_b32_e64 v1, v1, v3, s2
	v_cmp_eq_u32_e32 vcc_lo, 5, v71
	v_lshrrev_b32_e32 v12, 16, v4
	v_cndmask_b32_e64 v13, v13, v11, s3
	v_cndmask_b32_e64 v3, v14, v15, s3
	v_cmp_eq_u32_e64 s3, 6, v71
	v_cndmask_b32_e32 v1, v1, v11, vcc_lo
	v_cndmask_b32_e64 v5, v5, v11, s4
	v_cmp_eq_u32_e64 s5, 6, v70
	v_cndmask_b32_e64 v6, v6, v15, s4
	v_cmp_eq_u32_e64 s4, 6, v72
	v_cmp_eq_u32_e64 s2, 6, v69
	v_cndmask_b32_e64 v1, v1, v4, s3
	v_cndmask_b32_e32 v2, v2, v15, vcc_lo
	v_cmp_eq_u32_e32 vcc_lo, 7, v71
	v_cndmask_b32_e64 v5, v5, v4, s5
	v_cndmask_b32_e64 v9, v9, v4, s4
	;; [unrolled: 1-line block ×3, first 2 shown]
	v_cmp_eq_u32_e64 s5, 7, v70
	v_cndmask_b32_e32 v1, v1, v12, vcc_lo
	v_cndmask_b32_e64 v7, v13, v4, s2
	v_cndmask_b32_e64 v3, v3, v8, s2
	;; [unrolled: 1-line block ×3, first 2 shown]
	v_cmp_eq_u32_e64 s2, 7, v69
	v_cndmask_b32_e64 v4, v10, v8, s4
	v_cndmask_b32_e64 v5, v5, v12, s5
	;; [unrolled: 1-line block ×3, first 2 shown]
	v_cndmask_b32_e32 v2, v2, v16, vcc_lo
	v_cndmask_b32_e64 v7, v7, v12, s2
	v_cndmask_b32_e64 v3, v3, v16, s2
	;; [unrolled: 1-line block ×4, first 2 shown]
	v_perm_b32 v4, v2, v1, 0x5040100
	s_mov_b32 s2, exec_lo
	v_perm_b32 v3, v3, v7, 0x5040100
	v_perm_b32 v2, v8, v9, 0x5040100
	;; [unrolled: 1-line block ×3, first 2 shown]
	ds_store_b128 v74, v[1:4]
	s_waitcnt lgkmcnt(0)
	s_barrier
	buffer_gl0_inv
	v_cmpx_gt_u32_e32 32, v0
	s_cbranch_execz .LBB1307_2
; %bb.15:
	s_load_b64 s[0:1], s[0:1], 0x68
	v_lshlrev_b32_e32 v0, 10, v0
	s_lshl_b32 s4, s34, 7
	v_or_b32_e32 v3, s31, v66
	s_mul_i32 s2, s4, s30
	v_lshlrev_b32_e32 v1, 4, v67
	v_lshlrev_b32_e32 v2, 6, v66
	v_and_b32_e32 v0, 0x3800, v0
	s_mul_i32 s2, s2, s7
	v_mul_lo_u32 v8, v3, s4
	s_ashr_i32 s3, s2, 31
	s_delay_alu instid0(SALU_CYCLE_1)
	s_lshl_b64 s[2:3], s[2:3], 1
	v_or3_b32 v16, v0, v1, v2
	ds_load_b128 v[0:3], v16
	ds_load_b128 v[4:7], v16 offset:128
	v_ashrrev_i32_e32 v9, 31, v8
	s_waitcnt lgkmcnt(0)
	s_add_u32 s2, s0, s2
	s_addc_u32 s3, s1, s3
	s_lshl_b32 s0, s14, 7
	s_delay_alu instid0(SALU_CYCLE_1) | instskip(SKIP_2) | instid1(SALU_CYCLE_1)
	s_ashr_i32 s1, s0, 31
	v_lshlrev_b64 v[9:10], 1, v[8:9]
	s_lshl_b64 s[0:1], s[0:1], 1
	s_add_u32 s0, s2, s0
	s_addc_u32 s1, s3, s1
	s_lshl_b32 s2, s34, 8
	v_add_co_u32 v30, s0, s0, v65
	v_add_nc_u32_e32 v11, s2, v8
	v_add_co_ci_u32_e64 v31, null, s1, 0, s0
	s_delay_alu instid0(VALU_DEP_3) | instskip(NEXT) | instid1(VALU_DEP_3)
	v_add_co_u32 v9, vcc_lo, v30, v9
	v_add_nc_u32_e32 v8, s2, v11
	s_delay_alu instid0(VALU_DEP_3) | instskip(SKIP_1) | instid1(VALU_DEP_3)
	v_add_co_ci_u32_e32 v10, vcc_lo, v31, v10, vcc_lo
	v_ashrrev_i32_e32 v12, 31, v11
	v_add_nc_u32_e32 v13, s2, v8
	global_store_b128 v[9:10], v[0:3], off
	v_ashrrev_i32_e32 v9, 31, v8
	v_lshlrev_b64 v[11:12], 1, v[11:12]
	v_ashrrev_i32_e32 v14, 31, v13
	v_add_nc_u32_e32 v10, s2, v13
	s_delay_alu instid0(VALU_DEP_4) | instskip(NEXT) | instid1(VALU_DEP_4)
	v_lshlrev_b64 v[2:3], 1, v[8:9]
	v_add_co_u32 v0, vcc_lo, v30, v11
	s_delay_alu instid0(VALU_DEP_4)
	v_lshlrev_b64 v[8:9], 1, v[13:14]
	v_add_co_ci_u32_e32 v1, vcc_lo, v31, v12, vcc_lo
	v_ashrrev_i32_e32 v11, 31, v10
	v_add_co_u32 v22, vcc_lo, v30, v2
	v_add_nc_u32_e32 v20, s2, v10
	v_add_co_ci_u32_e32 v23, vcc_lo, v31, v3, vcc_lo
	v_add_co_u32 v24, vcc_lo, v30, v8
	global_store_b128 v[0:1], v[4:7], off
	v_add_co_ci_u32_e32 v25, vcc_lo, v31, v9, vcc_lo
	ds_load_b128 v[0:3], v16 offset:256
	ds_load_b128 v[4:7], v16 offset:384
	v_lshlrev_b64 v[26:27], 1, v[10:11]
	ds_load_b128 v[8:11], v16 offset:512
	ds_load_b128 v[12:15], v16 offset:640
	;; [unrolled: 1-line block ×3, first 2 shown]
	v_add_nc_u32_e32 v28, s2, v20
	v_ashrrev_i32_e32 v21, 31, v20
	v_add_co_u32 v26, vcc_lo, v30, v26
	s_delay_alu instid0(VALU_DEP_3) | instskip(NEXT) | instid1(VALU_DEP_3)
	v_ashrrev_i32_e32 v29, 31, v28
	v_lshlrev_b64 v[20:21], 1, v[20:21]
	v_add_co_ci_u32_e32 v27, vcc_lo, v31, v27, vcc_lo
	s_delay_alu instid0(VALU_DEP_3) | instskip(NEXT) | instid1(VALU_DEP_3)
	v_lshlrev_b64 v[28:29], 1, v[28:29]
	v_add_co_u32 v20, vcc_lo, v30, v20
	s_delay_alu instid0(VALU_DEP_4) | instskip(NEXT) | instid1(VALU_DEP_3)
	v_add_co_ci_u32_e32 v21, vcc_lo, v31, v21, vcc_lo
	v_add_co_u32 v28, vcc_lo, v30, v28
	s_delay_alu instid0(VALU_DEP_4)
	v_add_co_ci_u32_e32 v29, vcc_lo, v31, v29, vcc_lo
	s_waitcnt lgkmcnt(4)
	global_store_b128 v[22:23], v[0:3], off
	s_waitcnt lgkmcnt(3)
	global_store_b128 v[24:25], v[4:7], off
	;; [unrolled: 2-line block ×5, first 2 shown]
	s_nop 0
	s_sendmsg sendmsg(MSG_DEALLOC_VGPRS)
	s_endpgm
	.section	.rodata,"a",@progbits
	.p2align	6, 0x0
	.amdhsa_kernel _Z39paged_attention_ll4mi_QKV_mfma16_kernelIDF16_hLN4vllm18Fp8KVCacheDataTypeE1EhLi32ELi128ELi256ELb0ELi14EL8MFMAType0EEvPKT_PKT0_S8_ifPKiSA_SA_iPKfiiiPfSD_PS3_PT2_iSC_SC_
		.amdhsa_group_segment_fixed_size 17472
		.amdhsa_private_segment_fixed_size 0
		.amdhsa_kernarg_size 400
		.amdhsa_user_sgpr_count 13
		.amdhsa_user_sgpr_dispatch_ptr 0
		.amdhsa_user_sgpr_queue_ptr 0
		.amdhsa_user_sgpr_kernarg_segment_ptr 1
		.amdhsa_user_sgpr_dispatch_id 0
		.amdhsa_user_sgpr_private_segment_size 0
		.amdhsa_wavefront_size32 1
		.amdhsa_uses_dynamic_stack 0
		.amdhsa_enable_private_segment 0
		.amdhsa_system_sgpr_workgroup_id_x 1
		.amdhsa_system_sgpr_workgroup_id_y 1
		.amdhsa_system_sgpr_workgroup_id_z 1
		.amdhsa_system_sgpr_workgroup_info 0
		.amdhsa_system_vgpr_workitem_id 0
		.amdhsa_next_free_vgpr 150
		.amdhsa_next_free_sgpr 37
		.amdhsa_reserve_vcc 1
		.amdhsa_float_round_mode_32 0
		.amdhsa_float_round_mode_16_64 0
		.amdhsa_float_denorm_mode_32 3
		.amdhsa_float_denorm_mode_16_64 3
		.amdhsa_dx10_clamp 1
		.amdhsa_ieee_mode 1
		.amdhsa_fp16_overflow 0
		.amdhsa_workgroup_processor_mode 1
		.amdhsa_memory_ordered 1
		.amdhsa_forward_progress 0
		.amdhsa_shared_vgpr_count 0
		.amdhsa_exception_fp_ieee_invalid_op 0
		.amdhsa_exception_fp_denorm_src 0
		.amdhsa_exception_fp_ieee_div_zero 0
		.amdhsa_exception_fp_ieee_overflow 0
		.amdhsa_exception_fp_ieee_underflow 0
		.amdhsa_exception_fp_ieee_inexact 0
		.amdhsa_exception_int_div_zero 0
	.end_amdhsa_kernel
	.section	.text._Z39paged_attention_ll4mi_QKV_mfma16_kernelIDF16_hLN4vllm18Fp8KVCacheDataTypeE1EhLi32ELi128ELi256ELb0ELi14EL8MFMAType0EEvPKT_PKT0_S8_ifPKiSA_SA_iPKfiiiPfSD_PS3_PT2_iSC_SC_,"axG",@progbits,_Z39paged_attention_ll4mi_QKV_mfma16_kernelIDF16_hLN4vllm18Fp8KVCacheDataTypeE1EhLi32ELi128ELi256ELb0ELi14EL8MFMAType0EEvPKT_PKT0_S8_ifPKiSA_SA_iPKfiiiPfSD_PS3_PT2_iSC_SC_,comdat
.Lfunc_end1307:
	.size	_Z39paged_attention_ll4mi_QKV_mfma16_kernelIDF16_hLN4vllm18Fp8KVCacheDataTypeE1EhLi32ELi128ELi256ELb0ELi14EL8MFMAType0EEvPKT_PKT0_S8_ifPKiSA_SA_iPKfiiiPfSD_PS3_PT2_iSC_SC_, .Lfunc_end1307-_Z39paged_attention_ll4mi_QKV_mfma16_kernelIDF16_hLN4vllm18Fp8KVCacheDataTypeE1EhLi32ELi128ELi256ELb0ELi14EL8MFMAType0EEvPKT_PKT0_S8_ifPKiSA_SA_iPKfiiiPfSD_PS3_PT2_iSC_SC_
                                        ; -- End function
	.section	.AMDGPU.csdata,"",@progbits
; Kernel info:
; codeLenInByte = 6808
; NumSgprs: 39
; NumVgprs: 150
; ScratchSize: 0
; MemoryBound: 0
; FloatMode: 240
; IeeeMode: 1
; LDSByteSize: 17472 bytes/workgroup (compile time only)
; SGPRBlocks: 4
; VGPRBlocks: 18
; NumSGPRsForWavesPerEU: 39
; NumVGPRsForWavesPerEU: 150
; Occupancy: 9
; WaveLimiterHint : 1
; COMPUTE_PGM_RSRC2:SCRATCH_EN: 0
; COMPUTE_PGM_RSRC2:USER_SGPR: 13
; COMPUTE_PGM_RSRC2:TRAP_HANDLER: 0
; COMPUTE_PGM_RSRC2:TGID_X_EN: 1
; COMPUTE_PGM_RSRC2:TGID_Y_EN: 1
; COMPUTE_PGM_RSRC2:TGID_Z_EN: 1
; COMPUTE_PGM_RSRC2:TIDIG_COMP_CNT: 0
	.section	.text._Z39paged_attention_ll4mi_QKV_mfma16_kernelIDF16_hLN4vllm18Fp8KVCacheDataTypeE1EhLi32ELi128ELi256ELb0ELi15EL8MFMAType0EEvPKT_PKT0_S8_ifPKiSA_SA_iPKfiiiPfSD_PS3_PT2_iSC_SC_,"axG",@progbits,_Z39paged_attention_ll4mi_QKV_mfma16_kernelIDF16_hLN4vllm18Fp8KVCacheDataTypeE1EhLi32ELi128ELi256ELb0ELi15EL8MFMAType0EEvPKT_PKT0_S8_ifPKiSA_SA_iPKfiiiPfSD_PS3_PT2_iSC_SC_,comdat
	.protected	_Z39paged_attention_ll4mi_QKV_mfma16_kernelIDF16_hLN4vllm18Fp8KVCacheDataTypeE1EhLi32ELi128ELi256ELb0ELi15EL8MFMAType0EEvPKT_PKT0_S8_ifPKiSA_SA_iPKfiiiPfSD_PS3_PT2_iSC_SC_ ; -- Begin function _Z39paged_attention_ll4mi_QKV_mfma16_kernelIDF16_hLN4vllm18Fp8KVCacheDataTypeE1EhLi32ELi128ELi256ELb0ELi15EL8MFMAType0EEvPKT_PKT0_S8_ifPKiSA_SA_iPKfiiiPfSD_PS3_PT2_iSC_SC_
	.globl	_Z39paged_attention_ll4mi_QKV_mfma16_kernelIDF16_hLN4vllm18Fp8KVCacheDataTypeE1EhLi32ELi128ELi256ELb0ELi15EL8MFMAType0EEvPKT_PKT0_S8_ifPKiSA_SA_iPKfiiiPfSD_PS3_PT2_iSC_SC_
	.p2align	8
	.type	_Z39paged_attention_ll4mi_QKV_mfma16_kernelIDF16_hLN4vllm18Fp8KVCacheDataTypeE1EhLi32ELi128ELi256ELb0ELi15EL8MFMAType0EEvPKT_PKT0_S8_ifPKiSA_SA_iPKfiiiPfSD_PS3_PT2_iSC_SC_,@function
_Z39paged_attention_ll4mi_QKV_mfma16_kernelIDF16_hLN4vllm18Fp8KVCacheDataTypeE1EhLi32ELi128ELi256ELb0ELi15EL8MFMAType0EEvPKT_PKT0_S8_ifPKiSA_SA_iPKfiiiPfSD_PS3_PT2_iSC_SC_: ; @_Z39paged_attention_ll4mi_QKV_mfma16_kernelIDF16_hLN4vllm18Fp8KVCacheDataTypeE1EhLi32ELi128ELi256ELb0ELi15EL8MFMAType0EEvPKT_PKT0_S8_ifPKiSA_SA_iPKfiiiPfSD_PS3_PT2_iSC_SC_
; %bb.0:
	s_load_b64 s[4:5], s[0:1], 0x30
	s_mov_b32 s34, s13
	s_waitcnt lgkmcnt(0)
	s_cmp_lg_u64 s[4:5], 0
	s_cselect_b32 s8, -1, 0
	s_ashr_i32 s35, s13, 31
	s_cmp_eq_u64 s[4:5], 0
	s_cbranch_scc1 .LBB1308_3
; %bb.1:
	s_lshl_b64 s[2:3], s[34:35], 2
	s_delay_alu instid0(SALU_CYCLE_1) | instskip(SKIP_4) | instid1(SALU_CYCLE_1)
	s_add_u32 s2, s4, s2
	s_addc_u32 s3, s5, s3
	s_load_b64 s[2:3], s[2:3], 0x0
	s_waitcnt lgkmcnt(0)
	s_sub_i32 s2, s3, s2
	s_cmp_eq_u32 s2, 1
	s_cselect_b32 s2, -1, 0
	s_delay_alu instid0(SALU_CYCLE_1)
	s_and_not1_b32 vcc_lo, exec_lo, s2
	s_cbranch_vccz .LBB1308_4
.LBB1308_2:
	s_nop 0
	s_sendmsg sendmsg(MSG_DEALLOC_VGPRS)
	s_endpgm
.LBB1308_3:
.LBB1308_4:
	s_load_b64 s[2:3], s[0:1], 0x28
	s_lshl_b64 s[6:7], s[34:35], 2
	s_waitcnt lgkmcnt(0)
	s_add_u32 s2, s2, s6
	s_addc_u32 s3, s3, s7
	s_lshl_b32 s12, s14, 8
	s_load_b32 s24, s[2:3], 0x0
	s_waitcnt lgkmcnt(0)
	s_cmp_ge_i32 s12, s24
	s_cbranch_scc1 .LBB1308_2
; %bb.5:
	s_clause 0x1
	s_load_b128 s[20:23], s[0:1], 0x8
	s_load_b64 s[2:3], s[0:1], 0x20
	s_and_not1_b32 vcc_lo, exec_lo, s8
	s_cbranch_vccnz .LBB1308_7
; %bb.6:
	s_add_u32 s4, s4, s6
	s_addc_u32 s5, s5, s7
	s_load_b32 s5, s[4:5], 0x0
	s_branch .LBB1308_8
.LBB1308_7:
	s_mov_b32 s5, s34
.LBB1308_8:
	s_load_b128 s[16:19], s[0:1], 0x48
	v_and_b32_e32 v68, 15, v0
	v_lshrrev_b32_e32 v69, 5, v0
	v_bfe_u32 v66, v0, 4, 1
	v_and_b32_e32 v70, 31, v0
	v_and_b32_e32 v67, 1, v0
	v_lshlrev_b32_e32 v2, 3, v68
	s_mul_i32 s31, s15, 15
	v_lshl_or_b32 v1, v69, 1, v66
	s_mov_b32 s4, exec_lo
	s_delay_alu instid0(VALU_DEP_2) | instskip(NEXT) | instid1(VALU_DEP_2)
	v_lshlrev_b32_e32 v65, 1, v2
	v_cmpx_gt_u32_e32 15, v1
	s_cbranch_execz .LBB1308_10
; %bb.9:
	s_load_b64 s[6:7], s[0:1], 0x0
	v_add_lshl_u32 v2, v1, s31, 7
	s_waitcnt lgkmcnt(0)
	s_mul_hi_i32 s9, s5, s16
	s_mul_i32 s8, s5, s16
	v_lshlrev_b32_e32 v6, 10, v68
	s_lshl_b64 s[8:9], s[8:9], 1
	v_ashrrev_i32_e32 v3, 31, v2
	v_lshlrev_b32_e32 v1, 6, v1
	v_lshlrev_b32_e32 v7, 10, v67
	v_and_b32_e32 v6, 0x3800, v6
	s_delay_alu instid0(VALU_DEP_4) | instskip(NEXT) | instid1(VALU_DEP_2)
	v_lshlrev_b64 v[2:3], 1, v[2:3]
	v_or3_b32 v1, v6, v7, v1
	s_add_u32 s5, s6, s8
	s_addc_u32 s6, s7, s9
	s_delay_alu instid0(VALU_DEP_2) | instskip(NEXT) | instid1(VALU_DEP_3)
	v_add_co_u32 v2, vcc_lo, s5, v2
	v_add_co_ci_u32_e32 v3, vcc_lo, s6, v3, vcc_lo
	s_delay_alu instid0(VALU_DEP_2) | instskip(NEXT) | instid1(VALU_DEP_2)
	v_add_co_u32 v2, vcc_lo, v2, v65
	v_add_co_ci_u32_e32 v3, vcc_lo, 0, v3, vcc_lo
	global_load_b128 v[2:5], v[2:3], off
	s_waitcnt vmcnt(0)
	ds_store_b128 v1, v[2:5]
.LBB1308_10:
	s_or_b32 exec_lo, exec_lo, s4
	v_and_b32_e32 v1, 0xef, v0
	s_waitcnt lgkmcnt(0)
	s_add_i32 s5, s24, 31
	s_clause 0x1
	s_load_b32 s4, s[0:1], 0x38
	s_load_b32 s33, s[0:1], 0x98
	s_ashr_i32 s6, s5, 31
	v_add_nc_u32_e32 v1, s12, v1
	s_lshr_b32 s6, s6, 27
	s_load_b32 s19, s[0:1], 0x1c
	s_add_i32 s5, s5, s6
	s_waitcnt lgkmcnt(0)
	v_ashrrev_i32_e32 v2, 31, v1
	v_or_b32_e32 v3, 16, v1
	s_ashr_i32 s13, s5, 5
	v_cmp_gt_i32_e32 vcc_lo, s24, v1
	s_add_i32 s13, s13, -1
	v_lshrrev_b32_e32 v2, 27, v2
	s_barrier
	buffer_gl0_inv
	s_mul_i32 s15, s15, s18
	v_add_nc_u32_e32 v4, v1, v2
	s_mul_i32 s4, s34, s4
	s_delay_alu instid0(SALU_CYCLE_1) | instskip(NEXT) | instid1(VALU_DEP_1)
	s_ashr_i32 s5, s4, 31
	v_ashrrev_i32_e32 v4, 5, v4
	v_add_nc_u32_e32 v2, v3, v2
	s_lshl_b64 s[4:5], s[4:5], 2
	s_delay_alu instid0(SALU_CYCLE_1) | instskip(NEXT) | instid1(VALU_DEP_2)
	s_add_u32 s16, s2, s4
	v_cndmask_b32_e32 v1, s13, v4, vcc_lo
	s_delay_alu instid0(VALU_DEP_2)
	v_ashrrev_i32_e32 v2, 5, v2
	v_cmp_gt_i32_e32 vcc_lo, s24, v3
	s_addc_u32 s25, s3, s5
	s_ashr_i32 s18, s15, 31
	s_add_u32 s2, s20, s15
	s_addc_u32 s3, s21, s18
	v_cndmask_b32_e32 v3, s13, v2, vcc_lo
	v_ashrrev_i32_e32 v2, 31, v1
	s_lshl_b32 s4, s14, 3
	s_delay_alu instid0(SALU_CYCLE_1) | instskip(NEXT) | instid1(VALU_DEP_2)
	s_ashr_i32 s5, s4, 31
	v_ashrrev_i32_e32 v4, 31, v3
	s_delay_alu instid0(VALU_DEP_2) | instskip(SKIP_1) | instid1(SALU_CYCLE_1)
	v_lshlrev_b64 v[1:2], 2, v[1:2]
	s_lshl_b64 s[4:5], s[4:5], 2
	s_add_u32 s4, s16, s4
	s_delay_alu instid0(VALU_DEP_2) | instskip(SKIP_1) | instid1(VALU_DEP_2)
	v_lshlrev_b64 v[3:4], 2, v[3:4]
	s_addc_u32 s5, s25, s5
	v_add_co_u32 v1, vcc_lo, s16, v1
	v_add_co_ci_u32_e32 v2, vcc_lo, s25, v2, vcc_lo
	s_delay_alu instid0(VALU_DEP_3) | instskip(NEXT) | instid1(VALU_DEP_4)
	v_add_co_u32 v3, vcc_lo, s16, v3
	v_add_co_ci_u32_e32 v4, vcc_lo, s25, v4, vcc_lo
	s_clause 0x1
	global_load_b32 v5, v[1:2], off
	global_load_b32 v6, v[3:4], off
	s_or_b32 s6, s12, 32
	s_delay_alu instid0(SALU_CYCLE_1) | instskip(SKIP_2) | instid1(SALU_CYCLE_1)
	s_ashr_i32 s7, s6, 5
	s_cmp_lt_i32 s6, s24
	s_cselect_b32 s6, s7, s13
	s_ashr_i32 s7, s6, 31
	s_delay_alu instid0(SALU_CYCLE_1) | instskip(NEXT) | instid1(SALU_CYCLE_1)
	s_lshl_b64 s[6:7], s[6:7], 2
	s_add_u32 s6, s16, s6
	s_addc_u32 s7, s25, s7
	s_or_b32 s8, s12, 64
	s_delay_alu instid0(SALU_CYCLE_1) | instskip(SKIP_2) | instid1(SALU_CYCLE_1)
	s_ashr_i32 s9, s8, 5
	s_cmp_lt_i32 s8, s24
	s_cselect_b32 s8, s9, s13
	s_ashr_i32 s9, s8, 31
	s_delay_alu instid0(SALU_CYCLE_1) | instskip(NEXT) | instid1(SALU_CYCLE_1)
	s_lshl_b64 s[8:9], s[8:9], 2
	s_add_u32 s8, s16, s8
	s_addc_u32 s9, s25, s9
	;; [unrolled: 10-line block ×5, first 2 shown]
	s_clause 0x5
	s_load_b32 s28, s[4:5], 0x0
	s_load_b32 s29, s[6:7], 0x0
	;; [unrolled: 1-line block ×6, first 2 shown]
	s_mov_b32 s4, 0
	s_delay_alu instid0(SALU_CYCLE_1)
	s_mov_b32 s5, s4
	s_mov_b32 s6, s4
	;; [unrolled: 1-line block ×7, first 2 shown]
	s_delay_alu instid0(SALU_CYCLE_1)
	v_dual_mov_b32 v118, s11 :: v_dual_mov_b32 v117, s10
	v_dual_mov_b32 v116, s9 :: v_dual_mov_b32 v115, s8
	v_mov_b32_e32 v113, s6
	v_dual_mov_b32 v111, s4 :: v_dual_mov_b32 v114, s7
	v_mov_b32_e32 v112, s5
	s_waitcnt vmcnt(1)
	v_mad_i64_i32 v[1:2], null, v5, s17, s[2:3]
	v_lshlrev_b32_e32 v5, 4, v68
	s_waitcnt vmcnt(0)
	v_mad_i64_i32 v[3:4], null, v6, s17, s[2:3]
	s_or_b32 s2, s12, 0xc0
	s_delay_alu instid0(SALU_CYCLE_1) | instskip(NEXT) | instid1(VALU_DEP_3)
	s_ashr_i32 s3, s2, 5
	v_add_co_u32 v1, vcc_lo, v1, v5
	s_delay_alu instid0(VALU_DEP_4) | instskip(NEXT) | instid1(VALU_DEP_3)
	v_add_co_ci_u32_e32 v2, vcc_lo, 0, v2, vcc_lo
	v_add_co_u32 v3, vcc_lo, v3, v5
	s_delay_alu instid0(VALU_DEP_4)
	v_add_co_ci_u32_e32 v4, vcc_lo, 0, v4, vcc_lo
	s_clause 0xf
	global_load_b128 v[17:20], v[1:2], off
	global_load_b128 v[21:24], v[1:2], off offset:512
	global_load_b128 v[25:28], v[3:4], off offset:256
	;; [unrolled: 1-line block ×15, first 2 shown]
	s_cmp_lt_i32 s2, s24
	v_cmp_ne_u32_e32 vcc_lo, 15, v68
	s_cselect_b32 s2, s3, s13
	v_lshlrev_b32_e32 v2, 5, v68
	s_ashr_i32 s3, s2, 31
	s_delay_alu instid0(SALU_CYCLE_1) | instskip(SKIP_4) | instid1(SALU_CYCLE_1)
	s_lshl_b64 s[2:3], s[2:3], 2
	v_cndmask_b32_e32 v1, 0, v68, vcc_lo
	s_add_u32 s2, s16, s2
	s_addc_u32 s3, s25, s3
	s_or_b32 s20, s12, 0xe0
	s_ashr_i32 s21, s20, 5
	s_cmp_lt_i32 s20, s24
	v_lshlrev_b32_e32 v149, 6, v1
	s_cselect_b32 s20, s21, s13
	v_lshl_or_b32 v1, v69, 9, v2
	s_ashr_i32 s21, s20, 31
	ds_load_b128 v[119:122], v149
	ds_load_b128 v[123:126], v149 offset:1024
	s_lshl_b64 s[4:5], s[20:21], 2
	ds_load_b128 v[127:130], v149 offset:2048
	ds_load_b128 v[131:134], v149 offset:3072
	s_add_u32 s4, s16, s4
	s_addc_u32 s5, s25, s5
	s_clause 0x1
	s_load_b32 s2, s[2:3], 0x0
	s_load_b32 s3, s[4:5], 0x0
	s_add_u32 s6, s22, s15
	s_addc_u32 s7, s23, s18
	v_add_co_u32 v135, s6, s6, v1
	s_delay_alu instid0(VALU_DEP_1) | instskip(SKIP_1) | instid1(VALU_DEP_1)
	v_add_co_ci_u32_e64 v136, null, s7, 0, s6
	s_waitcnt lgkmcnt(0)
	v_mad_i64_i32 v[1:2], null, s28, s17, v[135:136]
	v_mad_i64_i32 v[3:4], null, s29, s17, v[135:136]
	;; [unrolled: 1-line block ×6, first 2 shown]
	s_clause 0x9
	global_load_b128 v[49:52], v[1:2], off
	global_load_b128 v[53:56], v[1:2], off offset:16
	global_load_b128 v[41:44], v[3:4], off
	global_load_b128 v[45:48], v[3:4], off offset:16
	;; [unrolled: 2-line block ×5, first 2 shown]
	v_mad_i64_i32 v[145:146], null, s2, s17, v[135:136]
	v_mad_i64_i32 v[147:148], null, s3, s17, v[135:136]
	s_waitcnt vmcnt(24)
	v_wmma_f32_16x16x16_f16 v[135:142], v[17:24], v[119:126], v[111:118]
	s_waitcnt vmcnt(22)
	v_wmma_f32_16x16x16_f16 v[111:118], v[25:32], v[119:126], v[111:118]
	s_clause 0x3
	global_load_b128 v[17:20], v[143:144], off
	global_load_b128 v[21:24], v[143:144], off offset:16
	global_load_b128 v[25:28], v[145:146], off
	global_load_b128 v[29:32], v[145:146], off offset:16
	v_and_b32_e32 v119, 0xe0, v0
	s_waitcnt vmcnt(24)
	v_wmma_f32_16x16x16_f16 v[135:142], v[57:64], v[127:134], v[135:142]
	s_clause 0x1
	global_load_b128 v[57:60], v[147:148], off
	global_load_b128 v[61:64], v[147:148], off offset:16
	s_waitcnt vmcnt(24)
	v_wmma_f32_16x16x16_f16 v[111:118], v[71:78], v[127:134], v[111:118]
	ds_load_b128 v[71:74], v149 offset:4096
	ds_load_b128 v[75:78], v149 offset:5120
	v_add_nc_u32_e32 v128, s12, v119
	ds_load_b128 v[119:122], v149 offset:6144
	ds_load_b128 v[123:126], v149 offset:7168
	v_mbcnt_lo_u32_b32 v127, -1, 0
	s_waitcnt vmcnt(0) lgkmcnt(0)
	s_barrier
	v_or_b32_e32 v128, v128, v66
	buffer_gl0_inv
	v_xor_b32_e32 v129, 16, v127
	v_or_b32_e32 v130, 4, v128
	v_or_b32_e32 v131, 6, v128
	s_delay_alu instid0(VALU_DEP_3) | instskip(SKIP_4) | instid1(VALU_DEP_4)
	v_cmp_gt_i32_e32 vcc_lo, 32, v129
	v_or_b32_e32 v132, 8, v128
	v_or_b32_e32 v133, 10, v128
	v_cmp_gt_i32_e64 s3, s24, v130
	v_cmp_gt_i32_e64 s4, s24, v131
	;; [unrolled: 1-line block ×3, first 2 shown]
	v_wmma_f32_16x16x16_f16 v[135:142], v[79:86], v[71:78], v[135:142]
	v_wmma_f32_16x16x16_f16 v[111:118], v[87:94], v[71:78], v[111:118]
	v_or_b32_e32 v79, 12, v128
	v_or_b32_e32 v80, 14, v128
	v_cmp_gt_i32_e64 s6, s24, v133
	v_wmma_f32_16x16x16_f16 v[135:142], v[95:102], v[119:126], v[135:142]
	v_cndmask_b32_e32 v127, v127, v129, vcc_lo
	v_or_b32_e32 v129, 2, v128
	v_wmma_f32_16x16x16_f16 v[111:118], v[103:110], v[119:126], v[111:118]
	v_cmp_gt_i32_e32 vcc_lo, s24, v128
	v_dual_mul_f32 v88, s19, v135 :: v_dual_mul_f32 v87, s19, v136
	s_delay_alu instid0(VALU_DEP_4) | instskip(NEXT) | instid1(VALU_DEP_4)
	v_cmp_gt_i32_e64 s2, s24, v129
	v_mul_f32_e32 v94, s19, v113
	v_mul_f32_e32 v78, s19, v138
	;; [unrolled: 1-line block ×3, first 2 shown]
	v_cndmask_b32_e32 v88, 0xff7fffff, v88, vcc_lo
	v_cndmask_b32_e64 v87, 0xff7fffff, v87, s2
	v_dual_mul_f32 v76, s19, v140 :: v_dual_mul_f32 v77, s19, v139
	v_mul_f32_e32 v90, s19, v117
	v_cndmask_b32_e64 v86, 0xff7fffff, v86, s3
	v_cndmask_b32_e64 v78, 0xff7fffff, v78, s4
	v_max3_f32 v87, v88, 0xff7fffff, v87
	v_or_b32_e32 v81, 16, v128
	v_or_b32_e32 v82, 18, v128
	v_dual_mul_f32 v74, s19, v142 :: v_dual_mul_f32 v75, s19, v141
	v_mul_f32_e32 v92, s19, v115
	v_cndmask_b32_e64 v77, 0xff7fffff, v77, s5
	v_cndmask_b32_e64 v76, 0xff7fffff, v76, s6
	v_max3_f32 v78, v87, v86, v78
	v_cmp_gt_i32_e64 s7, s24, v79
	v_cmp_gt_i32_e64 s8, s24, v80
	v_or_b32_e32 v83, 20, v128
	v_or_b32_e32 v84, 22, v128
	v_dual_mul_f32 v89, s19, v118 :: v_dual_mul_f32 v96, s19, v111
	v_mul_f32_e32 v95, s19, v112
	v_cndmask_b32_e64 v75, 0xff7fffff, v75, s7
	v_cndmask_b32_e64 v74, 0xff7fffff, v74, s8
	v_max3_f32 v76, v78, v77, v76
	v_cmp_gt_i32_e64 s9, s24, v81
	v_cmp_gt_i32_e64 s10, s24, v82
	v_or_b32_e32 v85, 24, v128
	v_or_b32_e32 v71, 26, v128
	v_mul_f32_e32 v93, s19, v114
	v_cndmask_b32_e64 v77, 0xff7fffff, v96, s9
	v_cndmask_b32_e64 v78, 0xff7fffff, v95, s10
	v_max3_f32 v74, v76, v75, v74
	v_cmp_gt_i32_e64 s11, s24, v83
	v_cmp_gt_i32_e64 s12, s24, v84
	v_or_b32_e32 v72, 28, v128
	v_or_b32_e32 v73, 30, v128
	v_mul_f32_e32 v91, s19, v116
	v_cndmask_b32_e64 v75, 0xff7fffff, v94, s11
	v_cndmask_b32_e64 v76, 0xff7fffff, v93, s12
	v_max3_f32 v74, v74, v77, v78
	v_cmp_gt_i32_e64 s13, s24, v85
	v_cmp_gt_i32_e64 s15, s24, v71
	;; [unrolled: 1-line block ×4, first 2 shown]
	v_max3_f32 v74, v74, v75, v76
	v_cndmask_b32_e64 v77, 0xff7fffff, v92, s13
	v_cndmask_b32_e64 v71, 0xff7fffff, v91, s15
	;; [unrolled: 1-line block ×4, first 2 shown]
	s_delay_alu instid0(VALU_DEP_3) | instskip(SKIP_1) | instid1(VALU_DEP_2)
	v_max3_f32 v71, v74, v77, v71
	v_lshlrev_b32_e32 v74, 2, v127
	v_max3_f32 v71, v71, v72, v73
	ds_bpermute_b32 v72, v74, v71
	s_waitcnt lgkmcnt(0)
	v_max_f32_e32 v72, v72, v72
	s_delay_alu instid0(VALU_DEP_1) | instskip(NEXT) | instid1(VALU_DEP_1)
	v_max_f32_e32 v71, v71, v72
	v_fma_f32 v75, s19, v137, -v71
	v_fma_f32 v76, s19, v138, -v71
	;; [unrolled: 1-line block ×5, first 2 shown]
	s_delay_alu instid0(VALU_DEP_4) | instskip(NEXT) | instid1(VALU_DEP_4)
	v_dual_mul_f32 v75, 0x3fb8aa3b, v75 :: v_dual_mul_f32 v76, 0x3fb8aa3b, v76
	v_mul_f32_e32 v72, 0x3fb8aa3b, v72
	v_fma_f32 v77, s19, v139, -v71
	s_delay_alu instid0(VALU_DEP_4) | instskip(NEXT) | instid1(VALU_DEP_4)
	v_mul_f32_e32 v73, 0x3fb8aa3b, v73
	v_exp_f32_e32 v75, v75
	v_exp_f32_e32 v76, v76
	;; [unrolled: 1-line block ×3, first 2 shown]
	s_delay_alu instid0(VALU_DEP_1) | instskip(SKIP_2) | instid1(TRANS32_DEP_3)
	v_exp_f32_e32 v73, v73
	v_cndmask_b32_e64 v81, 0, v75, s3
	v_mul_f32_e32 v82, 0x3fb8aa3b, v80
	v_cndmask_b32_e64 v80, 0, v76, s4
	s_waitcnt_depctr 0xfff
	v_cndmask_b32_e64 v78, 0, v73, s2
	v_cmp_gt_u32_e64 s2, 16, v70
	v_exp_f32_e32 v84, v82
	s_waitcnt_depctr 0xfff
	v_cndmask_b32_e64 v85, 0, v84, s7
	v_cndmask_b32_e32 v79, 0, v72, vcc_lo
	v_fma_f32 v72, s19, v140, -v71
	v_mul_f32_e32 v77, 0x3fb8aa3b, v77
	s_delay_alu instid0(VALU_DEP_2) | instskip(NEXT) | instid1(VALU_DEP_2)
	v_dual_add_f32 v73, 0, v79 :: v_dual_mul_f32 v72, 0x3fb8aa3b, v72
	v_exp_f32_e32 v77, v77
	s_delay_alu instid0(VALU_DEP_1) | instskip(NEXT) | instid1(VALU_DEP_2)
	v_add_f32_e32 v73, v73, v78
	v_exp_f32_e32 v72, v72
	s_delay_alu instid0(VALU_DEP_1) | instskip(SKIP_4) | instid1(VALU_DEP_2)
	v_add_f32_e32 v73, v73, v81
	s_waitcnt_depctr 0xfff
	v_cndmask_b32_e64 v83, 0, v77, s5
	v_add_f32_e32 v73, v73, v80
	v_cndmask_b32_e64 v82, 0, v72, s6
	v_add_f32_e32 v72, v73, v83
	s_delay_alu instid0(VALU_DEP_1)
	v_add_f32_e32 v72, v72, v82
	v_fma_f32 v75, s19, v142, -v71
	v_fma_f32 v76, s19, v111, -v71
	;; [unrolled: 1-line block ×5, first 2 shown]
	s_delay_alu instid0(VALU_DEP_4) | instskip(NEXT) | instid1(VALU_DEP_4)
	v_dual_mul_f32 v75, 0x3fb8aa3b, v75 :: v_dual_mul_f32 v76, 0x3fb8aa3b, v76
	v_mul_f32_e32 v86, 0x3fb8aa3b, v86
	v_add_f32_e32 v72, v72, v85
	s_delay_alu instid0(VALU_DEP_3) | instskip(NEXT) | instid1(VALU_DEP_3)
	v_exp_f32_e32 v75, v75
	v_exp_f32_e32 v76, v76
	s_delay_alu instid0(VALU_DEP_2) | instskip(NEXT) | instid1(TRANS32_DEP_3)
	v_exp_f32_e32 v88, v86
	v_cndmask_b32_e64 v84, 0, v75, s8
	v_mul_f32_e32 v77, 0x3fb8aa3b, v77
	s_waitcnt_depctr 0xfff
	v_cndmask_b32_e64 v87, 0, v76, s9
	v_fma_f32 v76, s19, v116, -v71
	v_dual_mul_f32 v73, 0x3fb8aa3b, v73 :: v_dual_add_f32 v72, v72, v84
	v_exp_f32_e32 v77, v77
	v_fma_f32 v75, s19, v115, -v71
	s_delay_alu instid0(VALU_DEP_3) | instskip(NEXT) | instid1(VALU_DEP_3)
	v_mul_f32_e32 v76, 0x3fb8aa3b, v76
	v_exp_f32_e32 v73, v73
	v_add_f32_e32 v72, v72, v87
	v_cndmask_b32_e64 v88, 0, v88, s12
	s_delay_alu instid0(VALU_DEP_3) | instskip(NEXT) | instid1(TRANS32_DEP_3)
	v_exp_f32_e32 v76, v76
	v_cndmask_b32_e64 v86, 0, v77, s10
	v_mul_f32_e32 v75, 0x3fb8aa3b, v75
	v_fma_f32 v77, s19, v117, -v71
	s_delay_alu instid0(TRANS32_DEP_2) | instskip(NEXT) | instid1(VALU_DEP_4)
	v_cndmask_b32_e64 v89, 0, v73, s11
	v_add_f32_e32 v72, v72, v86
	s_delay_alu instid0(VALU_DEP_4) | instskip(NEXT) | instid1(TRANS32_DEP_2)
	v_exp_f32_e32 v75, v75
	v_cndmask_b32_e64 v90, 0, v76, s15
	s_delay_alu instid0(VALU_DEP_2) | instskip(SKIP_2) | instid1(VALU_DEP_3)
	v_add_f32_e32 v72, v72, v89
	v_mul_f32_e32 v73, 0x3fb8aa3b, v77
	v_fma_f32 v77, s19, v118, -v71
	v_add_f32_e32 v72, v72, v88
	s_delay_alu instid0(VALU_DEP_3) | instskip(NEXT) | instid1(TRANS32_DEP_2)
	v_exp_f32_e32 v73, v73
	v_cndmask_b32_e64 v91, 0, v75, s13
	s_delay_alu instid0(VALU_DEP_1) | instskip(NEXT) | instid1(VALU_DEP_1)
	v_dual_mul_f32 v75, 0x3fb8aa3b, v77 :: v_dual_add_f32 v72, v72, v91
	v_exp_f32_e32 v75, v75
	s_waitcnt_depctr 0xfff
	v_cndmask_b32_e64 v93, 0, v73, s16
	v_add_f32_e32 v72, v72, v90
	s_delay_alu instid0(VALU_DEP_1) | instskip(SKIP_1) | instid1(VALU_DEP_1)
	v_add_f32_e32 v72, v72, v93
	v_cndmask_b32_e64 v92, 0, v75, s17
	v_add_f32_e32 v72, v72, v92
	ds_bpermute_b32 v73, v74, v72
	s_and_saveexec_b32 s3, s2
	s_cbranch_execz .LBB1308_12
; %bb.11:
	v_mul_u32_u24_e32 v70, 0x44, v69
	s_waitcnt lgkmcnt(0)
	v_add_f32_e32 v72, v72, v73
	s_delay_alu instid0(VALU_DEP_2) | instskip(NEXT) | instid1(VALU_DEP_1)
	v_lshl_add_u32 v70, v68, 2, v70
	v_add_nc_u32_e32 v70, 0x4000, v70
	ds_store_2addr_b32 v70, v71, v72 offset1:136
.LBB1308_12:
	s_or_b32 exec_lo, exec_lo, s3
	v_lshlrev_b32_e32 v70, 2, v68
	s_load_b32 s35, s[0:1], 0x94
	s_waitcnt lgkmcnt(0)
	s_barrier
	buffer_gl0_inv
	v_add_nc_u32_e32 v98, 0x4000, v70
	v_cmp_eq_u32_e32 vcc_lo, 1, v69
	v_cmp_eq_u32_e64 s3, 2, v69
	v_cmp_eq_u32_e64 s4, 3, v69
	;; [unrolled: 1-line block ×3, first 2 shown]
	ds_load_2addr_b32 v[70:71], v98 offset1:17
	ds_load_2addr_b32 v[72:73], v98 offset0:34 offset1:51
	ds_load_2addr_b32 v[74:75], v98 offset0:68 offset1:85
	ds_load_2addr_b32 v[94:95], v98 offset0:102 offset1:119
	v_cmp_eq_u32_e64 s6, 5, v69
	v_cmp_eq_u32_e64 s7, 7, v69
	s_waitcnt lgkmcnt(3)
	v_max3_f32 v76, v70, 0xff7fffff, v71
	s_waitcnt lgkmcnt(2)
	s_delay_alu instid0(VALU_DEP_1) | instskip(SKIP_1) | instid1(VALU_DEP_1)
	v_max3_f32 v76, v76, v72, v73
	s_waitcnt lgkmcnt(1)
	v_max3_f32 v76, v76, v74, v75
	s_waitcnt lgkmcnt(0)
	s_delay_alu instid0(VALU_DEP_1) | instskip(NEXT) | instid1(VALU_DEP_1)
	v_max3_f32 v76, v76, v94, v95
	v_sub_f32_e32 v77, v71, v76
	ds_load_2addr_b32 v[96:97], v98 offset0:136 offset1:153
	v_sub_f32_e32 v74, v74, v76
	v_sub_f32_e32 v70, v70, v76
	;; [unrolled: 1-line block ×3, first 2 shown]
	v_dual_sub_f32 v72, v72, v76 :: v_dual_mul_f32 v77, 0x3fb8aa3b, v77
	s_delay_alu instid0(VALU_DEP_4) | instskip(NEXT) | instid1(VALU_DEP_4)
	v_mul_f32_e32 v103, 0x3fb8aa3b, v74
	v_mul_f32_e32 v99, 0x3fb8aa3b, v70
	ds_load_2addr_b32 v[70:71], v98 offset0:170 offset1:187
	v_dual_mul_f32 v101, 0x3fb8aa3b, v72 :: v_dual_mul_f32 v94, 0x3fb8aa3b, v94
	v_exp_f32_e32 v102, v77
	v_exp_f32_e32 v99, v99
	s_delay_alu instid0(VALU_DEP_1) | instskip(NEXT) | instid1(VALU_DEP_1)
	v_exp_f32_e32 v101, v101
	v_exp_f32_e32 v94, v94
	s_waitcnt lgkmcnt(1)
	s_delay_alu instid0(TRANS32_DEP_3)
	v_fma_f32 v77, v99, v96, 0
	v_sub_f32_e32 v100, v73, v76
	ds_load_2addr_b32 v[72:73], v98 offset0:204 offset1:221
	v_fmac_f32_e32 v77, v102, v97
	v_exp_f32_e32 v97, v103
	s_waitcnt lgkmcnt(1)
	s_delay_alu instid0(VALU_DEP_1)
	v_dual_fmac_f32 v77, v101, v70 :: v_dual_sub_f32 v96, v75, v76
	ds_load_2addr_b32 v[74:75], v98 offset0:238 offset1:255
	v_sub_f32_e32 v70, v95, v76
	s_waitcnt lgkmcnt(0)
	s_barrier
	v_mul_f32_e32 v96, 0x3fb8aa3b, v96
	buffer_gl0_inv
	v_exp_f32_e32 v95, v96
	v_mul_f32_e32 v100, 0x3fb8aa3b, v100
	s_delay_alu instid0(VALU_DEP_1) | instskip(SKIP_3) | instid1(VALU_DEP_2)
	v_exp_f32_e32 v100, v100
	s_waitcnt_depctr 0xfff
	v_dual_fmac_f32 v77, v100, v71 :: v_dual_mul_f32 v70, 0x3fb8aa3b, v70
	v_cndmask_b32_e32 v71, v99, v102, vcc_lo
	v_fmac_f32_e32 v77, v97, v72
	s_delay_alu instid0(VALU_DEP_3) | instskip(NEXT) | instid1(VALU_DEP_1)
	v_exp_f32_e32 v96, v70
	v_fmac_f32_e32 v77, v95, v73
	s_delay_alu instid0(VALU_DEP_1) | instskip(SKIP_2) | instid1(VALU_DEP_1)
	v_fmac_f32_e32 v77, v94, v74
	s_waitcnt_depctr 0xfff
	v_fmac_f32_e32 v77, v96, v75
	v_add_f32_e32 v74, 0x358637bd, v77
	s_delay_alu instid0(VALU_DEP_1) | instskip(SKIP_1) | instid1(VALU_DEP_2)
	v_div_scale_f32 v98, null, v74, v74, 1.0
	v_div_scale_f32 v99, vcc_lo, 1.0, v74, 1.0
	v_rcp_f32_e32 v103, v98
	s_waitcnt_depctr 0xfff
	v_fma_f32 v70, -v98, v103, 1.0
	s_delay_alu instid0(VALU_DEP_1) | instskip(SKIP_2) | instid1(VALU_DEP_2)
	v_fmac_f32_e32 v103, v70, v103
	v_cndmask_b32_e64 v70, v71, v101, s3
	v_cmp_eq_u32_e64 s3, 6, v69
	v_cndmask_b32_e64 v71, v70, v100, s4
	s_delay_alu instid0(VALU_DEP_4) | instskip(NEXT) | instid1(VALU_DEP_2)
	v_dual_mul_f32 v101, v99, v103 :: v_dual_lshlrev_b32 v70, 2, v66
	v_cndmask_b32_e64 v71, v71, v97, s5
	s_delay_alu instid0(VALU_DEP_2) | instskip(NEXT) | instid1(VALU_DEP_3)
	v_or_b32_e32 v72, 1, v70
	v_fma_f32 v100, -v98, v101, v99
	v_cmp_eq_u32_e64 s4, 1, v70
	v_cmp_eq_u32_e64 s5, 2, v70
	v_cndmask_b32_e64 v95, v71, v95, s6
	v_or_b32_e32 v71, 3, v70
	v_fmac_f32_e32 v101, v100, v103
	v_cmp_eq_u32_e64 s9, 1, v72
	v_cmp_eq_u32_e64 s12, 2, v72
	v_cndmask_b32_e64 v94, v95, v94, s3
	v_cmp_eq_u32_e64 s11, 1, v71
	v_fma_f32 v97, -v98, v101, v99
	v_cmp_eq_u32_e64 s16, 2, v71
	v_cmp_eq_u32_e64 s13, 3, v72
	v_cndmask_b32_e64 v94, v94, v96, s7
	v_cmp_eq_u32_e64 s18, 3, v71
	v_div_fmas_f32 v95, v97, v103, v101
	v_cmp_eq_u32_e32 vcc_lo, 3, v70
	v_cmp_eq_u32_e64 s3, 4, v70
	v_cmp_eq_u32_e64 s19, 4, v72
	;; [unrolled: 1-line block ×3, first 2 shown]
	v_div_fixup_f32 v95, v95, v74, 1.0
	v_lshlrev_b32_e32 v73, 6, v68
	v_cmp_eq_u32_e64 s6, 5, v70
	v_cmp_eq_u32_e64 s20, 5, v72
	;; [unrolled: 1-line block ×3, first 2 shown]
	v_mul_f32_e32 v102, v94, v95
	v_lshl_or_b32 v75, v69, 11, v73
	v_or_b32_e32 v69, 2, v70
	v_cmp_eq_u32_e64 s25, 6, v72
	v_cmp_eq_u32_e64 s27, 6, v71
	v_fma_mixlo_f16 v94, v102, v79, 0
	v_fma_mixlo_f16 v95, v102, v81, 0
	v_fma_mixlo_f16 v96, v102, v83, 0
	v_fma_mixlo_f16 v97, v102, v85, 0
	v_fma_mixlo_f16 v98, v102, v87, 0
	v_fma_mixlo_f16 v99, v102, v89, 0
	v_fma_mixlo_f16 v100, v102, v91, 0
	v_fma_mixlo_f16 v101, v102, v93, 0
	v_lshl_or_b32 v74, v66, 4, v75
	v_fma_mixhi_f16 v94, v102, v78, 0
	v_fma_mixhi_f16 v95, v102, v80, 0
	;; [unrolled: 1-line block ×8, first 2 shown]
	ds_store_b128 v74, v[94:97]
	ds_store_b128 v74, v[98:101] offset:1024
	s_waitcnt lgkmcnt(0)
	s_barrier
	buffer_gl0_inv
	ds_load_b128 v[78:81], v75
	ds_load_b128 v[82:85], v75 offset:16
	ds_load_b128 v[86:89], v75 offset:1024
	;; [unrolled: 1-line block ×3, first 2 shown]
	v_cmp_eq_u32_e64 s10, 1, v69
	v_cmp_eq_u32_e64 s15, 2, v69
	;; [unrolled: 1-line block ×11, first 2 shown]
	s_waitcnt lgkmcnt(3)
	v_lshrrev_b32_e32 v94, 16, v78
	s_waitcnt lgkmcnt(2)
	v_lshrrev_b32_e32 v98, 16, v82
	;; [unrolled: 2-line block ×4, first 2 shown]
	v_lshrrev_b32_e32 v95, 16, v79
	v_cndmask_b32_e64 v110, v78, v94, s4
	v_cndmask_b32_e64 v111, v82, v98, s4
	;; [unrolled: 1-line block ×8, first 2 shown]
	v_lshrrev_b32_e32 v99, 16, v83
	v_cndmask_b32_e64 v94, v86, v102, s4
	v_cndmask_b32_e64 v98, v90, v106, s4
	;; [unrolled: 1-line block ×15, first 2 shown]
	v_lshrrev_b32_e32 v103, 16, v87
	v_lshrrev_b32_e32 v107, 16, v91
	v_cndmask_b32_e64 v113, v115, v83, s15
	v_cndmask_b32_e64 v82, v94, v87, s5
	;; [unrolled: 1-line block ×7, first 2 shown]
	v_cndmask_b32_e32 v90, v102, v95, vcc_lo
	v_cndmask_b32_e32 v102, v106, v99, vcc_lo
	v_cndmask_b32_e64 v106, v110, v95, s13
	v_cndmask_b32_e64 v110, v111, v99, s13
	v_cndmask_b32_e64 v78, v78, v95, s18
	v_cndmask_b32_e64 v79, v79, v99, s18
	v_lshrrev_b32_e32 v96, 16, v80
	v_lshrrev_b32_e32 v100, 16, v84
	v_cndmask_b32_e64 v111, v112, v95, s17
	v_cndmask_b32_e64 v112, v113, v99, s17
	v_cndmask_b32_e32 v82, v82, v103, vcc_lo
	v_cndmask_b32_e32 v83, v83, v107, vcc_lo
	v_cndmask_b32_e64 v94, v94, v103, s13
	v_cndmask_b32_e64 v90, v90, v80, s3
	;; [unrolled: 1-line block ×7, first 2 shown]
	v_lshrrev_b32_e32 v104, 16, v88
	v_cndmask_b32_e64 v106, v111, v80, s21
	v_cndmask_b32_e64 v110, v112, v84, s21
	;; [unrolled: 1-line block ×11, first 2 shown]
	v_lshrrev_b32_e32 v97, 16, v81
	v_lshrrev_b32_e32 v101, 16, v85
	v_cndmask_b32_e64 v99, v106, v96, s23
	v_cndmask_b32_e64 v102, v110, v100, s23
	;; [unrolled: 1-line block ×7, first 2 shown]
	v_lshrrev_b32_e32 v105, 16, v89
	v_cndmask_b32_e64 v80, v80, v104, s6
	v_cndmask_b32_e64 v84, v84, v81, s7
	;; [unrolled: 1-line block ×16, first 2 shown]
	v_perm_b32 v81, v79, v78, 0x5040100
	v_perm_b32 v79, v95, v85, 0x5040100
	v_cndmask_b32_e64 v78, v119, v91, s15
	v_cndmask_b32_e64 v85, v117, v91, s12
	;; [unrolled: 1-line block ×3, first 2 shown]
	v_perm_b32 v80, v94, v90, 0x5040100
	v_cndmask_b32_e64 v90, v98, v103, s17
	v_cndmask_b32_e64 v86, v86, v103, s18
	;; [unrolled: 1-line block ×5, first 2 shown]
	v_lshrrev_b32_e32 v108, 16, v92
	v_cndmask_b32_e64 v90, v90, v88, s21
	v_cndmask_b32_e64 v86, v86, v88, s22
	;; [unrolled: 1-line block ×11, first 2 shown]
	v_lshrrev_b32_e32 v109, 16, v93
	v_cndmask_b32_e64 v82, v82, v93, s7
	v_cndmask_b32_e64 v88, v88, v89, s26
	;; [unrolled: 1-line block ×12, first 2 shown]
	v_perm_b32 v78, v84, v83, 0x5040100
	v_perm_b32 v85, v87, v86, 0x5040100
	;; [unrolled: 1-line block ×5, first 2 shown]
	s_mul_i32 s8, s33, 15
	s_mov_b32 s3, exec_lo
	ds_store_b128 v74, v[78:81]
	ds_store_b128 v74, v[82:85] offset:1024
	v_cmpx_gt_u32_e32 15, v0
	s_cbranch_execz .LBB1308_14
; %bb.13:
	s_mul_i32 s4, s8, s34
	s_delay_alu instid0(SALU_CYCLE_1) | instskip(SKIP_1) | instid1(VALU_DEP_1)
	v_add3_u32 v68, s4, s31, v68
	s_load_b128 s[4:7], s[0:1], 0x58
	v_mad_u64_u32 v[78:79], null, v68, s35, s[14:15]
	s_delay_alu instid0(VALU_DEP_1) | instskip(NEXT) | instid1(VALU_DEP_1)
	v_ashrrev_i32_e32 v79, 31, v78
	v_lshlrev_b64 v[78:79], 2, v[78:79]
	s_waitcnt lgkmcnt(0)
	s_delay_alu instid0(VALU_DEP_1) | instskip(NEXT) | instid1(VALU_DEP_2)
	v_add_co_u32 v80, vcc_lo, s6, v78
	v_add_co_ci_u32_e32 v81, vcc_lo, s7, v79, vcc_lo
	v_add_co_u32 v78, vcc_lo, s4, v78
	v_add_co_ci_u32_e32 v79, vcc_lo, s5, v79, vcc_lo
	global_store_b32 v[80:81], v76, off
	global_store_b32 v[78:79], v77, off
.LBB1308_14:
	s_or_b32 exec_lo, exec_lo, s3
	s_waitcnt lgkmcnt(0)
	s_waitcnt_vscnt null, 0x0
	s_barrier
	buffer_gl0_inv
	ds_load_b128 v[84:87], v73
	ds_load_b128 v[88:91], v73 offset:16
	ds_load_b128 v[96:99], v73 offset:2064
	ds_load_b128 v[92:95], v73 offset:2048
	ds_load_b128 v[104:107], v73 offset:4112
	ds_load_b128 v[100:103], v73 offset:4096
	v_cmp_eq_u32_e32 vcc_lo, 1, v70
	v_mov_b32_e32 v76, 0
	ds_load_b128 v[112:115], v73 offset:6160
	ds_load_b128 v[108:111], v73 offset:6144
	;; [unrolled: 1-line block ×4, first 2 shown]
	v_cmp_eq_u32_e64 s4, 1, v69
	v_cmp_eq_u32_e64 s3, 1, v72
	;; [unrolled: 1-line block ×3, first 2 shown]
	v_mov_b32_e32 v77, v76
	v_mov_b32_e32 v78, v76
	;; [unrolled: 1-line block ×7, first 2 shown]
	v_cmp_eq_u32_e64 s6, 3, v72
	v_cmp_eq_u32_e64 s7, 7, v72
	s_waitcnt lgkmcnt(8)
	s_delay_alu instid0(VALU_DEP_3)
	v_wmma_f32_16x16x16_f16 v[76:83], v[49:56], v[84:91], v[76:83]
	ds_load_b128 v[53:56], v73 offset:10256
	ds_load_b128 v[49:52], v73 offset:10240
	s_waitcnt lgkmcnt(8)
	v_wmma_f32_16x16x16_f16 v[76:83], v[41:48], v[92:99], v[76:83]
	ds_load_b128 v[45:48], v73 offset:12304
	ds_load_b128 v[41:44], v73 offset:12288
	s_waitcnt lgkmcnt(8)
	;; [unrolled: 4-line block ×3, first 2 shown]
	s_barrier
	buffer_gl0_inv
	v_wmma_f32_16x16x16_f16 v[76:83], v[1:8], v[108:115], v[76:83]
	s_delay_alu instid0(VALU_DEP_1) | instskip(NEXT) | instid1(VALU_DEP_1)
	v_wmma_f32_16x16x16_f16 v[76:83], v[9:16], v[116:123], v[76:83]
	v_wmma_f32_16x16x16_f16 v[76:83], v[17:24], v[49:56], v[76:83]
	s_delay_alu instid0(VALU_DEP_1) | instskip(NEXT) | instid1(VALU_DEP_1)
	v_wmma_f32_16x16x16_f16 v[76:83], v[25:32], v[41:48], v[76:83]
	v_wmma_f32_16x16x16_f16 v[76:83], v[57:64], v[33:40], v[76:83]
	s_delay_alu instid0(VALU_DEP_1) | instskip(NEXT) | instid1(VALU_DEP_2)
	v_cvt_f16_f32_e32 v1, v76
	v_cvt_f16_f32_e32 v2, v77
	s_delay_alu instid0(VALU_DEP_3) | instskip(NEXT) | instid1(VALU_DEP_4)
	v_cvt_f16_f32_e32 v3, v78
	v_cvt_f16_f32_e32 v4, v79
	;; [unrolled: 1-line block ×6, first 2 shown]
	v_pack_b32_f16 v1, v1, v2
	v_pack_b32_f16 v2, v3, v4
	v_pack_b32_f16 v3, v5, v6
	s_delay_alu instid0(VALU_DEP_4)
	v_pack_b32_f16 v4, v7, v8
	ds_store_b128 v74, v[1:4]
	s_waitcnt lgkmcnt(0)
	s_barrier
	buffer_gl0_inv
	ds_load_b128 v[1:4], v75
	ds_load_b128 v[5:8], v75 offset:16
	s_waitcnt lgkmcnt(1)
	v_lshrrev_b32_e32 v9, 16, v1
	s_waitcnt lgkmcnt(0)
	v_lshrrev_b32_e32 v13, 16, v5
	v_lshrrev_b32_e32 v10, 16, v2
	;; [unrolled: 1-line block ×4, first 2 shown]
	v_cndmask_b32_e32 v17, v1, v9, vcc_lo
	v_cndmask_b32_e32 v18, v5, v13, vcc_lo
	v_cndmask_b32_e64 v21, v1, v9, s4
	v_cmp_eq_u32_e32 vcc_lo, 1, v71
	v_cndmask_b32_e64 v22, v5, v13, s4
	v_cmp_eq_u32_e64 s4, 2, v70
	v_cndmask_b32_e64 v19, v1, v9, s3
	v_cndmask_b32_e64 v20, v5, v13, s3
	v_cndmask_b32_e32 v1, v1, v9, vcc_lo
	v_cmp_eq_u32_e64 s3, 2, v71
	v_cndmask_b32_e32 v5, v5, v13, vcc_lo
	v_cndmask_b32_e64 v9, v17, v2, s4
	v_cmp_eq_u32_e32 vcc_lo, 3, v70
	v_cndmask_b32_e64 v13, v18, v6, s4
	v_cmp_eq_u32_e64 s4, 2, v69
	v_cndmask_b32_e64 v17, v19, v2, s5
	v_cndmask_b32_e64 v18, v20, v6, s5
	v_cmp_eq_u32_e64 s5, 3, v69
	v_cndmask_b32_e64 v1, v1, v2, s3
	v_cndmask_b32_e64 v19, v21, v2, s4
	;; [unrolled: 1-line block ×4, first 2 shown]
	v_cndmask_b32_e32 v5, v9, v10, vcc_lo
	v_cndmask_b32_e32 v6, v13, v14, vcc_lo
	v_cmp_eq_u32_e32 vcc_lo, 3, v71
	v_cndmask_b32_e64 v9, v17, v10, s6
	v_cndmask_b32_e64 v13, v18, v14, s6
	;; [unrolled: 1-line block ×3, first 2 shown]
	v_cmp_eq_u32_e64 s4, 4, v70
	v_cndmask_b32_e32 v1, v1, v10, vcc_lo
	v_cndmask_b32_e32 v2, v2, v14, vcc_lo
	v_cmp_eq_u32_e32 vcc_lo, 4, v72
	v_lshrrev_b32_e32 v15, 16, v7
	v_lshrrev_b32_e32 v16, 16, v8
	v_cndmask_b32_e64 v17, v19, v10, s5
	v_cmp_eq_u32_e64 s3, 4, v71
	v_cndmask_b32_e64 v5, v5, v3, s4
	v_cndmask_b32_e64 v6, v6, v7, s4
	v_cndmask_b32_e32 v9, v9, v3, vcc_lo
	v_cmp_eq_u32_e64 s4, 5, v72
	v_cndmask_b32_e32 v10, v13, v7, vcc_lo
	v_cmp_eq_u32_e32 vcc_lo, 4, v69
	v_cmp_eq_u32_e64 s5, 5, v70
	v_cndmask_b32_e64 v2, v2, v7, s3
	v_cndmask_b32_e64 v9, v9, v11, s4
	v_cndmask_b32_e64 v10, v10, v15, s4
	v_cndmask_b32_e32 v13, v17, v3, vcc_lo
	v_cmp_eq_u32_e64 s4, 5, v69
	v_cndmask_b32_e32 v14, v18, v7, vcc_lo
	v_cndmask_b32_e64 v1, v1, v3, s3
	v_cmp_eq_u32_e32 vcc_lo, 5, v71
	v_lshrrev_b32_e32 v12, 16, v4
	v_cndmask_b32_e64 v13, v13, v11, s4
	v_cndmask_b32_e64 v3, v14, v15, s4
	v_cmp_eq_u32_e64 s4, 6, v71
	v_cndmask_b32_e32 v1, v1, v11, vcc_lo
	v_cndmask_b32_e64 v5, v5, v11, s5
	v_cmp_eq_u32_e64 s6, 6, v70
	v_cndmask_b32_e64 v6, v6, v15, s5
	v_cmp_eq_u32_e64 s5, 6, v72
	v_cmp_eq_u32_e64 s3, 6, v69
	v_cndmask_b32_e64 v1, v1, v4, s4
	v_cndmask_b32_e32 v2, v2, v15, vcc_lo
	v_cmp_eq_u32_e32 vcc_lo, 7, v71
	v_cndmask_b32_e64 v5, v5, v4, s6
	v_cndmask_b32_e64 v9, v9, v4, s5
	;; [unrolled: 1-line block ×3, first 2 shown]
	v_cmp_eq_u32_e64 s6, 7, v70
	v_cndmask_b32_e32 v1, v1, v12, vcc_lo
	v_cndmask_b32_e64 v7, v13, v4, s3
	v_cndmask_b32_e64 v3, v3, v8, s3
	;; [unrolled: 1-line block ×3, first 2 shown]
	v_cmp_eq_u32_e64 s3, 7, v69
	v_cndmask_b32_e64 v4, v10, v8, s5
	v_cndmask_b32_e64 v5, v5, v12, s6
	;; [unrolled: 1-line block ×3, first 2 shown]
	v_cndmask_b32_e32 v2, v2, v16, vcc_lo
	v_cndmask_b32_e64 v7, v7, v12, s3
	v_cndmask_b32_e64 v3, v3, v16, s3
	;; [unrolled: 1-line block ×4, first 2 shown]
	v_perm_b32 v4, v2, v1, 0x5040100
	s_mov_b32 s3, exec_lo
	v_perm_b32 v3, v3, v7, 0x5040100
	v_perm_b32 v2, v8, v9, 0x5040100
	;; [unrolled: 1-line block ×3, first 2 shown]
	ds_store_b128 v74, v[1:4]
	s_waitcnt lgkmcnt(0)
	s_barrier
	buffer_gl0_inv
	v_cmpx_gt_u32_e32 32, v0
	s_cbranch_execz .LBB1308_2
; %bb.15:
	s_load_b64 s[4:5], s[0:1], 0x68
	v_add_nc_u32_e32 v20, s31, v66
	v_lshlrev_b32_e32 v0, 10, v0
	v_lshlrev_b32_e32 v1, 4, v67
	s_lshl_b32 s0, s35, 7
	s_delay_alu instid0(SALU_CYCLE_1)
	s_mul_i32 s1, s0, s34
	v_add_nc_u32_e32 v2, 2, v20
	s_mul_i32 s6, s1, s8
	v_and_or_b32 v0, 0x3800, v0, v1
	v_mul_lo_u32 v1, v20, s0
	s_ashr_i32 s7, s6, 31
	v_mul_lo_u32 v11, v2, s0
	s_lshl_b64 s[6:7], s[6:7], 1
	v_add_nc_u32_e32 v3, 4, v20
	v_lshl_or_b32 v21, v66, 6, v0
	v_add_nc_u32_e32 v16, 6, v20
	v_ashrrev_i32_e32 v2, 31, v1
	s_delay_alu instid0(VALU_DEP_4)
	v_mul_lo_u32 v13, v3, s0
	s_waitcnt lgkmcnt(0)
	s_add_u32 s1, s4, s6
	s_addc_u32 s3, s5, s7
	s_lshl_b32 s4, s14, 7
	ds_load_b128 v[3:6], v21
	ds_load_b128 v[7:10], v21 offset:128
	s_ashr_i32 s5, s4, 31
	v_ashrrev_i32_e32 v12, 31, v11
	s_lshl_b64 s[4:5], s[4:5], 1
	v_lshlrev_b64 v[14:15], 1, v[1:2]
	s_add_u32 s1, s1, s4
	s_addc_u32 s3, s3, s5
	v_add_co_u32 v1, s1, s1, v65
	s_delay_alu instid0(VALU_DEP_1) | instskip(SKIP_1) | instid1(VALU_DEP_3)
	v_add_co_ci_u32_e64 v2, null, s3, 0, s1
	v_lshlrev_b64 v[11:12], 1, v[11:12]
	v_add_co_u32 v18, vcc_lo, v1, v14
	v_mul_lo_u32 v16, v16, s0
	s_delay_alu instid0(VALU_DEP_4) | instskip(NEXT) | instid1(VALU_DEP_4)
	v_add_co_ci_u32_e32 v19, vcc_lo, v2, v15, vcc_lo
	v_add_co_u32 v11, vcc_lo, v1, v11
	v_ashrrev_i32_e32 v14, 31, v13
	v_add_co_ci_u32_e32 v12, vcc_lo, v2, v12, vcc_lo
	v_add_nc_u32_e32 v15, 8, v20
	v_ashrrev_i32_e32 v17, 31, v16
	s_waitcnt lgkmcnt(1)
	global_store_b128 v[18:19], v[3:6], off
	v_lshlrev_b64 v[3:4], 1, v[13:14]
	s_waitcnt lgkmcnt(0)
	global_store_b128 v[11:12], v[7:10], off
	v_mul_lo_u32 v11, v15, s0
	v_add_nc_u32_e32 v7, 10, v20
	v_lshlrev_b64 v[5:6], 1, v[16:17]
	v_add_co_u32 v23, vcc_lo, v1, v3
	v_add_nc_u32_e32 v3, 12, v20
	s_delay_alu instid0(VALU_DEP_4)
	v_mul_lo_u32 v25, v7, s0
	v_ashrrev_i32_e32 v12, 31, v11
	v_add_co_ci_u32_e32 v24, vcc_lo, v2, v4, vcc_lo
	v_add_co_u32 v27, vcc_lo, v1, v5
	v_mul_lo_u32 v29, v3, s0
	v_add_co_ci_u32_e32 v28, vcc_lo, v2, v6, vcc_lo
	ds_load_b128 v[3:6], v21 offset:256
	ds_load_b128 v[7:10], v21 offset:384
	v_lshlrev_b64 v[31:32], 1, v[11:12]
	ds_load_b128 v[11:14], v21 offset:512
	ds_load_b128 v[15:18], v21 offset:640
	;; [unrolled: 1-line block ×3, first 2 shown]
	v_ashrrev_i32_e32 v26, 31, v25
	v_ashrrev_i32_e32 v30, 31, v29
	v_add_co_u32 v31, vcc_lo, v1, v31
	s_delay_alu instid0(VALU_DEP_3) | instskip(NEXT) | instid1(VALU_DEP_3)
	v_lshlrev_b64 v[25:26], 1, v[25:26]
	v_lshlrev_b64 v[29:30], 1, v[29:30]
	v_add_co_ci_u32_e32 v32, vcc_lo, v2, v32, vcc_lo
	s_delay_alu instid0(VALU_DEP_3) | instskip(NEXT) | instid1(VALU_DEP_4)
	v_add_co_u32 v25, vcc_lo, v1, v25
	v_add_co_ci_u32_e32 v26, vcc_lo, v2, v26, vcc_lo
	s_delay_alu instid0(VALU_DEP_4)
	v_add_co_u32 v29, vcc_lo, v1, v29
	v_add_co_ci_u32_e32 v30, vcc_lo, v2, v30, vcc_lo
	s_waitcnt lgkmcnt(4)
	global_store_b128 v[23:24], v[3:6], off
	s_waitcnt lgkmcnt(3)
	global_store_b128 v[27:28], v[7:10], off
	;; [unrolled: 2-line block ×5, first 2 shown]
	s_and_b32 exec_lo, exec_lo, s2
	s_cbranch_execz .LBB1308_2
; %bb.16:
	ds_load_b128 v[3:6], v0 offset:896
	s_add_i32 s1, s31, 14
	s_delay_alu instid0(SALU_CYCLE_1) | instskip(NEXT) | instid1(SALU_CYCLE_1)
	s_mul_i32 s0, s1, s0
	s_ashr_i32 s1, s0, 31
	s_delay_alu instid0(SALU_CYCLE_1) | instskip(NEXT) | instid1(SALU_CYCLE_1)
	s_lshl_b64 s[0:1], s[0:1], 1
	v_add_co_u32 v0, vcc_lo, v1, s0
	v_add_co_ci_u32_e32 v1, vcc_lo, s1, v2, vcc_lo
	s_waitcnt lgkmcnt(0)
	global_store_b128 v[0:1], v[3:6], off
	s_nop 0
	s_sendmsg sendmsg(MSG_DEALLOC_VGPRS)
	s_endpgm
	.section	.rodata,"a",@progbits
	.p2align	6, 0x0
	.amdhsa_kernel _Z39paged_attention_ll4mi_QKV_mfma16_kernelIDF16_hLN4vllm18Fp8KVCacheDataTypeE1EhLi32ELi128ELi256ELb0ELi15EL8MFMAType0EEvPKT_PKT0_S8_ifPKiSA_SA_iPKfiiiPfSD_PS3_PT2_iSC_SC_
		.amdhsa_group_segment_fixed_size 17472
		.amdhsa_private_segment_fixed_size 0
		.amdhsa_kernarg_size 400
		.amdhsa_user_sgpr_count 13
		.amdhsa_user_sgpr_dispatch_ptr 0
		.amdhsa_user_sgpr_queue_ptr 0
		.amdhsa_user_sgpr_kernarg_segment_ptr 1
		.amdhsa_user_sgpr_dispatch_id 0
		.amdhsa_user_sgpr_private_segment_size 0
		.amdhsa_wavefront_size32 1
		.amdhsa_uses_dynamic_stack 0
		.amdhsa_enable_private_segment 0
		.amdhsa_system_sgpr_workgroup_id_x 1
		.amdhsa_system_sgpr_workgroup_id_y 1
		.amdhsa_system_sgpr_workgroup_id_z 1
		.amdhsa_system_sgpr_workgroup_info 0
		.amdhsa_system_vgpr_workitem_id 0
		.amdhsa_next_free_vgpr 150
		.amdhsa_next_free_sgpr 37
		.amdhsa_reserve_vcc 1
		.amdhsa_float_round_mode_32 0
		.amdhsa_float_round_mode_16_64 0
		.amdhsa_float_denorm_mode_32 3
		.amdhsa_float_denorm_mode_16_64 3
		.amdhsa_dx10_clamp 1
		.amdhsa_ieee_mode 1
		.amdhsa_fp16_overflow 0
		.amdhsa_workgroup_processor_mode 1
		.amdhsa_memory_ordered 1
		.amdhsa_forward_progress 0
		.amdhsa_shared_vgpr_count 0
		.amdhsa_exception_fp_ieee_invalid_op 0
		.amdhsa_exception_fp_denorm_src 0
		.amdhsa_exception_fp_ieee_div_zero 0
		.amdhsa_exception_fp_ieee_overflow 0
		.amdhsa_exception_fp_ieee_underflow 0
		.amdhsa_exception_fp_ieee_inexact 0
		.amdhsa_exception_int_div_zero 0
	.end_amdhsa_kernel
	.section	.text._Z39paged_attention_ll4mi_QKV_mfma16_kernelIDF16_hLN4vllm18Fp8KVCacheDataTypeE1EhLi32ELi128ELi256ELb0ELi15EL8MFMAType0EEvPKT_PKT0_S8_ifPKiSA_SA_iPKfiiiPfSD_PS3_PT2_iSC_SC_,"axG",@progbits,_Z39paged_attention_ll4mi_QKV_mfma16_kernelIDF16_hLN4vllm18Fp8KVCacheDataTypeE1EhLi32ELi128ELi256ELb0ELi15EL8MFMAType0EEvPKT_PKT0_S8_ifPKiSA_SA_iPKfiiiPfSD_PS3_PT2_iSC_SC_,comdat
.Lfunc_end1308:
	.size	_Z39paged_attention_ll4mi_QKV_mfma16_kernelIDF16_hLN4vllm18Fp8KVCacheDataTypeE1EhLi32ELi128ELi256ELb0ELi15EL8MFMAType0EEvPKT_PKT0_S8_ifPKiSA_SA_iPKfiiiPfSD_PS3_PT2_iSC_SC_, .Lfunc_end1308-_Z39paged_attention_ll4mi_QKV_mfma16_kernelIDF16_hLN4vllm18Fp8KVCacheDataTypeE1EhLi32ELi128ELi256ELb0ELi15EL8MFMAType0EEvPKT_PKT0_S8_ifPKiSA_SA_iPKfiiiPfSD_PS3_PT2_iSC_SC_
                                        ; -- End function
	.section	.AMDGPU.csdata,"",@progbits
; Kernel info:
; codeLenInByte = 6908
; NumSgprs: 39
; NumVgprs: 150
; ScratchSize: 0
; MemoryBound: 0
; FloatMode: 240
; IeeeMode: 1
; LDSByteSize: 17472 bytes/workgroup (compile time only)
; SGPRBlocks: 4
; VGPRBlocks: 18
; NumSGPRsForWavesPerEU: 39
; NumVGPRsForWavesPerEU: 150
; Occupancy: 9
; WaveLimiterHint : 1
; COMPUTE_PGM_RSRC2:SCRATCH_EN: 0
; COMPUTE_PGM_RSRC2:USER_SGPR: 13
; COMPUTE_PGM_RSRC2:TRAP_HANDLER: 0
; COMPUTE_PGM_RSRC2:TGID_X_EN: 1
; COMPUTE_PGM_RSRC2:TGID_Y_EN: 1
; COMPUTE_PGM_RSRC2:TGID_Z_EN: 1
; COMPUTE_PGM_RSRC2:TIDIG_COMP_CNT: 0
	.section	.text._Z39paged_attention_ll4mi_QKV_mfma16_kernelIDF16_hLN4vllm18Fp8KVCacheDataTypeE1EhLi32ELi128ELi256ELb0ELi16EL8MFMAType0EEvPKT_PKT0_S8_ifPKiSA_SA_iPKfiiiPfSD_PS3_PT2_iSC_SC_,"axG",@progbits,_Z39paged_attention_ll4mi_QKV_mfma16_kernelIDF16_hLN4vllm18Fp8KVCacheDataTypeE1EhLi32ELi128ELi256ELb0ELi16EL8MFMAType0EEvPKT_PKT0_S8_ifPKiSA_SA_iPKfiiiPfSD_PS3_PT2_iSC_SC_,comdat
	.protected	_Z39paged_attention_ll4mi_QKV_mfma16_kernelIDF16_hLN4vllm18Fp8KVCacheDataTypeE1EhLi32ELi128ELi256ELb0ELi16EL8MFMAType0EEvPKT_PKT0_S8_ifPKiSA_SA_iPKfiiiPfSD_PS3_PT2_iSC_SC_ ; -- Begin function _Z39paged_attention_ll4mi_QKV_mfma16_kernelIDF16_hLN4vllm18Fp8KVCacheDataTypeE1EhLi32ELi128ELi256ELb0ELi16EL8MFMAType0EEvPKT_PKT0_S8_ifPKiSA_SA_iPKfiiiPfSD_PS3_PT2_iSC_SC_
	.globl	_Z39paged_attention_ll4mi_QKV_mfma16_kernelIDF16_hLN4vllm18Fp8KVCacheDataTypeE1EhLi32ELi128ELi256ELb0ELi16EL8MFMAType0EEvPKT_PKT0_S8_ifPKiSA_SA_iPKfiiiPfSD_PS3_PT2_iSC_SC_
	.p2align	8
	.type	_Z39paged_attention_ll4mi_QKV_mfma16_kernelIDF16_hLN4vllm18Fp8KVCacheDataTypeE1EhLi32ELi128ELi256ELb0ELi16EL8MFMAType0EEvPKT_PKT0_S8_ifPKiSA_SA_iPKfiiiPfSD_PS3_PT2_iSC_SC_,@function
_Z39paged_attention_ll4mi_QKV_mfma16_kernelIDF16_hLN4vllm18Fp8KVCacheDataTypeE1EhLi32ELi128ELi256ELb0ELi16EL8MFMAType0EEvPKT_PKT0_S8_ifPKiSA_SA_iPKfiiiPfSD_PS3_PT2_iSC_SC_: ; @_Z39paged_attention_ll4mi_QKV_mfma16_kernelIDF16_hLN4vllm18Fp8KVCacheDataTypeE1EhLi32ELi128ELi256ELb0ELi16EL8MFMAType0EEvPKT_PKT0_S8_ifPKiSA_SA_iPKfiiiPfSD_PS3_PT2_iSC_SC_
; %bb.0:
	s_load_b64 s[4:5], s[0:1], 0x30
	s_mov_b32 s30, s13
	s_waitcnt lgkmcnt(0)
	s_cmp_lg_u64 s[4:5], 0
	s_cselect_b32 s8, -1, 0
	s_ashr_i32 s31, s13, 31
	s_cmp_eq_u64 s[4:5], 0
	s_cbranch_scc1 .LBB1309_3
; %bb.1:
	s_lshl_b64 s[2:3], s[30:31], 2
	s_delay_alu instid0(SALU_CYCLE_1) | instskip(SKIP_4) | instid1(SALU_CYCLE_1)
	s_add_u32 s2, s4, s2
	s_addc_u32 s3, s5, s3
	s_load_b64 s[2:3], s[2:3], 0x0
	s_waitcnt lgkmcnt(0)
	s_sub_i32 s2, s3, s2
	s_cmp_eq_u32 s2, 1
	s_cselect_b32 s2, -1, 0
	s_delay_alu instid0(SALU_CYCLE_1)
	s_and_not1_b32 vcc_lo, exec_lo, s2
	s_cbranch_vccz .LBB1309_4
.LBB1309_2:
	s_endpgm
.LBB1309_3:
.LBB1309_4:
	s_load_b64 s[2:3], s[0:1], 0x28
	s_lshl_b64 s[6:7], s[30:31], 2
	s_waitcnt lgkmcnt(0)
	s_add_u32 s2, s2, s6
	s_addc_u32 s3, s3, s7
	s_lshl_b32 s12, s14, 8
	s_load_b32 s24, s[2:3], 0x0
	s_waitcnt lgkmcnt(0)
	s_cmp_ge_i32 s12, s24
	s_cbranch_scc1 .LBB1309_2
; %bb.5:
	s_clause 0x1
	s_load_b128 s[20:23], s[0:1], 0x8
	s_load_b64 s[2:3], s[0:1], 0x20
	s_and_not1_b32 vcc_lo, exec_lo, s8
	s_cbranch_vccnz .LBB1309_7
; %bb.6:
	s_add_u32 s4, s4, s6
	s_addc_u32 s5, s5, s7
	s_load_b32 s5, s[4:5], 0x0
	s_branch .LBB1309_8
.LBB1309_7:
	s_mov_b32 s5, s30
.LBB1309_8:
	s_load_b128 s[16:19], s[0:1], 0x48
	v_and_b32_e32 v70, 15, v0
	v_lshrrev_b32_e32 v69, 5, v0
	v_and_b32_e32 v71, 31, v0
	v_and_b32_e32 v67, 1, v0
	v_bfe_u32 v66, v0, 4, 1
	v_lshlrev_b32_e32 v1, 3, v70
	s_lshl_b32 s31, s15, 4
	s_mov_b32 s4, exec_lo
	s_delay_alu instid0(VALU_DEP_1)
	v_lshlrev_b32_e32 v65, 1, v1
	v_cmpx_gt_u32_e32 0x100, v0
	s_cbranch_execz .LBB1309_10
; %bb.9:
	v_lshl_or_b32 v5, v69, 1, v66
	s_load_b64 s[6:7], s[0:1], 0x0
	s_waitcnt lgkmcnt(0)
	s_mul_hi_i32 s9, s5, s16
	s_mul_i32 s8, s5, s16
	v_lshlrev_b32_e32 v6, 10, v70
	v_or_b32_e32 v1, s31, v5
	s_lshl_b64 s[8:9], s[8:9], 1
	v_lshlrev_b32_e32 v5, 6, v5
	v_lshlrev_b32_e32 v7, 10, v67
	v_and_b32_e32 v6, 0x3800, v6
	v_lshlrev_b32_e32 v1, 7, v1
	s_delay_alu instid0(VALU_DEP_2) | instskip(NEXT) | instid1(VALU_DEP_2)
	v_or3_b32 v5, v6, v7, v5
	v_ashrrev_i32_e32 v2, 31, v1
	s_delay_alu instid0(VALU_DEP_1) | instskip(SKIP_2) | instid1(VALU_DEP_1)
	v_lshlrev_b64 v[1:2], 1, v[1:2]
	s_add_u32 s5, s6, s8
	s_addc_u32 s6, s7, s9
	v_add_co_u32 v1, vcc_lo, s5, v1
	s_delay_alu instid0(VALU_DEP_2) | instskip(NEXT) | instid1(VALU_DEP_2)
	v_add_co_ci_u32_e32 v2, vcc_lo, s6, v2, vcc_lo
	v_add_co_u32 v1, vcc_lo, v1, v65
	s_delay_alu instid0(VALU_DEP_2)
	v_add_co_ci_u32_e32 v2, vcc_lo, 0, v2, vcc_lo
	global_load_b128 v[1:4], v[1:2], off
	s_waitcnt vmcnt(0)
	ds_store_b128 v5, v[1:4]
.LBB1309_10:
	s_or_b32 exec_lo, exec_lo, s4
	v_and_b32_e32 v1, 0xef, v0
	s_waitcnt lgkmcnt(0)
	s_add_i32 s5, s24, 31
	s_clause 0x1
	s_load_b32 s4, s[0:1], 0x38
	s_load_b32 s33, s[0:1], 0x98
	s_ashr_i32 s6, s5, 31
	v_add_nc_u32_e32 v1, s12, v1
	s_lshr_b32 s6, s6, 27
	s_load_b32 s19, s[0:1], 0x1c
	s_add_i32 s5, s5, s6
	s_waitcnt lgkmcnt(0)
	v_ashrrev_i32_e32 v2, 31, v1
	v_or_b32_e32 v3, 16, v1
	s_ashr_i32 s13, s5, 5
	v_cmp_gt_i32_e32 vcc_lo, s24, v1
	s_add_i32 s13, s13, -1
	v_lshrrev_b32_e32 v2, 27, v2
	s_barrier
	buffer_gl0_inv
	s_mul_i32 s35, s15, s18
	v_add_nc_u32_e32 v4, v1, v2
	s_mul_i32 s4, s30, s4
	s_delay_alu instid0(SALU_CYCLE_1) | instskip(NEXT) | instid1(VALU_DEP_1)
	s_ashr_i32 s5, s4, 31
	v_ashrrev_i32_e32 v4, 5, v4
	v_add_nc_u32_e32 v2, v3, v2
	s_lshl_b64 s[4:5], s[4:5], 2
	s_delay_alu instid0(SALU_CYCLE_1) | instskip(NEXT) | instid1(VALU_DEP_2)
	s_add_u32 s25, s2, s4
	v_cndmask_b32_e32 v1, s13, v4, vcc_lo
	s_delay_alu instid0(VALU_DEP_2)
	v_ashrrev_i32_e32 v2, 5, v2
	v_cmp_gt_i32_e32 vcc_lo, s24, v3
	s_addc_u32 s34, s3, s5
	s_ashr_i32 s36, s35, 31
	s_add_u32 s4, s20, s35
	s_addc_u32 s5, s21, s36
	v_cndmask_b32_e32 v3, s13, v2, vcc_lo
	v_ashrrev_i32_e32 v2, 31, v1
	s_lshl_b32 s2, s14, 3
	s_delay_alu instid0(SALU_CYCLE_1) | instskip(NEXT) | instid1(VALU_DEP_2)
	s_ashr_i32 s3, s2, 31
	v_ashrrev_i32_e32 v4, 31, v3
	s_delay_alu instid0(VALU_DEP_2) | instskip(SKIP_1) | instid1(SALU_CYCLE_1)
	v_lshlrev_b64 v[1:2], 2, v[1:2]
	s_lshl_b64 s[2:3], s[2:3], 2
	s_add_u32 s2, s25, s2
	s_delay_alu instid0(VALU_DEP_2) | instskip(SKIP_1) | instid1(VALU_DEP_2)
	v_lshlrev_b64 v[3:4], 2, v[3:4]
	s_addc_u32 s3, s34, s3
	v_add_co_u32 v1, vcc_lo, s25, v1
	v_add_co_ci_u32_e32 v2, vcc_lo, s34, v2, vcc_lo
	s_delay_alu instid0(VALU_DEP_3) | instskip(NEXT) | instid1(VALU_DEP_4)
	v_add_co_u32 v3, vcc_lo, s25, v3
	v_add_co_ci_u32_e32 v4, vcc_lo, s34, v4, vcc_lo
	s_clause 0x1
	global_load_b32 v5, v[1:2], off
	global_load_b32 v6, v[3:4], off
	s_or_b32 s6, s12, 32
	s_delay_alu instid0(SALU_CYCLE_1) | instskip(SKIP_2) | instid1(SALU_CYCLE_1)
	s_ashr_i32 s7, s6, 5
	s_cmp_lt_i32 s6, s24
	s_cselect_b32 s6, s7, s13
	s_ashr_i32 s7, s6, 31
	s_delay_alu instid0(SALU_CYCLE_1) | instskip(NEXT) | instid1(SALU_CYCLE_1)
	s_lshl_b64 s[6:7], s[6:7], 2
	s_add_u32 s6, s25, s6
	s_addc_u32 s7, s34, s7
	s_or_b32 s8, s12, 64
	s_delay_alu instid0(SALU_CYCLE_1) | instskip(SKIP_2) | instid1(SALU_CYCLE_1)
	s_ashr_i32 s9, s8, 5
	s_cmp_lt_i32 s8, s24
	s_cselect_b32 s8, s9, s13
	s_ashr_i32 s9, s8, 31
	s_delay_alu instid0(SALU_CYCLE_1) | instskip(NEXT) | instid1(SALU_CYCLE_1)
	s_lshl_b64 s[8:9], s[8:9], 2
	s_add_u32 s8, s25, s8
	s_addc_u32 s9, s34, s9
	;; [unrolled: 10-line block ×5, first 2 shown]
	s_clause 0x5
	s_load_b32 s20, s[2:3], 0x0
	s_load_b32 s2, s[6:7], 0x0
	;; [unrolled: 1-line block ×6, first 2 shown]
	s_or_b32 s8, s12, 0xc0
	s_delay_alu instid0(SALU_CYCLE_1) | instskip(SKIP_2) | instid1(SALU_CYCLE_1)
	s_ashr_i32 s9, s8, 5
	s_cmp_lt_i32 s8, s24
	s_cselect_b32 s26, s9, s13
	s_ashr_i32 s27, s26, 31
	s_delay_alu instid0(SALU_CYCLE_1) | instskip(NEXT) | instid1(SALU_CYCLE_1)
	s_lshl_b64 s[26:27], s[26:27], 2
	s_add_u32 s26, s25, s26
	s_addc_u32 s27, s34, s27
	s_or_b32 s21, s12, 0xe0
	s_waitcnt vmcnt(1)
	v_mad_i64_i32 v[1:2], null, v5, s17, s[4:5]
	s_waitcnt vmcnt(0)
	v_mad_i64_i32 v[3:4], null, v6, s17, s[4:5]
	s_mov_b32 s4, 0
	s_delay_alu instid0(SALU_CYCLE_1)
	s_mov_b32 s5, s4
	s_mov_b32 s6, s4
	;; [unrolled: 1-line block ×7, first 2 shown]
	v_lshlrev_b32_e32 v5, 4, v70
	v_dual_mov_b32 v103, s11 :: v_dual_mov_b32 v98, s6
	v_dual_mov_b32 v101, s9 :: v_dual_lshlrev_b32 v68, 6, v70
	s_delay_alu instid0(VALU_DEP_3)
	v_add_co_u32 v33, vcc_lo, v1, v5
	v_add_co_ci_u32_e32 v34, vcc_lo, 0, v2, vcc_lo
	v_add_co_u32 v35, vcc_lo, v3, v5
	v_add_co_ci_u32_e32 v36, vcc_lo, 0, v4, vcc_lo
	s_clause 0xf
	global_load_b128 v[1:4], v[33:34], off
	global_load_b128 v[5:8], v[33:34], off offset:512
	global_load_b128 v[9:12], v[35:36], off offset:256
	;; [unrolled: 1-line block ×15, first 2 shown]
	v_dual_mov_b32 v96, s4 :: v_dual_lshlrev_b32 v41, 5, v70
	v_mov_b32_e32 v102, s10
	v_dual_mov_b32 v100, s8 :: v_dual_mov_b32 v99, s7
	v_mov_b32_e32 v97, s5
	s_ashr_i32 s4, s21, 5
	s_cmp_lt_i32 s21, s24
	ds_load_b128 v[33:36], v68
	ds_load_b128 v[37:40], v68 offset:1024
	s_cselect_b32 s4, s4, s13
	ds_load_b128 v[104:107], v68 offset:2048
	ds_load_b128 v[108:111], v68 offset:3072
	s_ashr_i32 s5, s4, 31
	s_load_b32 s6, s[26:27], 0x0
	s_lshl_b64 s[4:5], s[4:5], 2
	ds_load_b128 v[112:115], v68 offset:4096
	ds_load_b128 v[116:119], v68 offset:5120
	s_add_u32 s4, s25, s4
	s_addc_u32 s5, s34, s5
	v_lshl_or_b32 v41, v69, 9, v41
	s_load_b32 s4, s[4:5], 0x0
	s_add_u32 s7, s22, s35
	s_addc_u32 s8, s23, s36
	s_delay_alu instid0(VALU_DEP_1) | instskip(NEXT) | instid1(VALU_DEP_1)
	v_add_co_u32 v128, s7, s7, v41
	v_add_co_ci_u32_e64 v129, null, s8, 0, s7
	s_waitcnt lgkmcnt(0)
	s_delay_alu instid0(VALU_DEP_1)
	v_mad_i64_i32 v[41:42], null, s20, s17, v[128:129]
	v_mad_i64_i32 v[130:131], null, s3, s17, v[128:129]
	;; [unrolled: 1-line block ×7, first 2 shown]
	s_clause 0x3
	global_load_b128 v[49:52], v[41:42], off
	global_load_b128 v[53:56], v[41:42], off offset:16
	global_load_b128 v[41:44], v[45:46], off
	global_load_b128 v[45:48], v[45:46], off offset:16
	s_waitcnt vmcnt(18)
	v_wmma_f32_16x16x16_f16 v[120:127], v[1:8], v[33:40], v[96:103]
	s_waitcnt vmcnt(16)
	v_wmma_f32_16x16x16_f16 v[96:103], v[9:16], v[33:40], v[96:103]
	s_clause 0x3
	global_load_b128 v[33:36], v[130:131], off
	global_load_b128 v[37:40], v[130:131], off offset:16
	global_load_b128 v[1:4], v[132:133], off
	global_load_b128 v[5:8], v[132:133], off offset:16
	s_waitcnt vmcnt(18)
	v_wmma_f32_16x16x16_f16 v[120:127], v[17:24], v[104:111], v[120:127]
	s_clause 0x3
	global_load_b128 v[9:12], v[134:135], off
	global_load_b128 v[13:16], v[134:135], off offset:16
	global_load_b128 v[17:20], v[136:137], off
	global_load_b128 v[21:24], v[136:137], off offset:16
	s_waitcnt vmcnt(20)
	v_wmma_f32_16x16x16_f16 v[96:103], v[25:32], v[104:111], v[96:103]
	v_mad_i64_i32 v[104:105], null, s4, s17, v[128:129]
	s_waitcnt vmcnt(18)
	v_wmma_f32_16x16x16_f16 v[120:127], v[57:64], v[112:119], v[120:127]
	s_clause 0x3
	global_load_b128 v[25:28], v[138:139], off
	global_load_b128 v[29:32], v[138:139], off offset:16
	global_load_b128 v[57:60], v[104:105], off
	global_load_b128 v[61:64], v[104:105], off offset:16
	s_waitcnt vmcnt(20)
	v_wmma_f32_16x16x16_f16 v[96:103], v[72:79], v[112:119], v[96:103]
	ds_load_b128 v[72:75], v68 offset:6144
	ds_load_b128 v[76:79], v68 offset:7168
	v_and_b32_e32 v104, 0xe0, v0
	v_mbcnt_lo_u32_b32 v105, -1, 0
	s_waitcnt vmcnt(0) lgkmcnt(0)
	s_barrier
	buffer_gl0_inv
	v_add_nc_u32_e32 v104, s12, v104
	v_xor_b32_e32 v106, 16, v105
	s_delay_alu instid0(VALU_DEP_2) | instskip(NEXT) | instid1(VALU_DEP_2)
	v_or_b32_e32 v104, v104, v66
	v_cmp_gt_i32_e32 vcc_lo, 32, v106
	s_delay_alu instid0(VALU_DEP_2)
	v_or_b32_e32 v107, 4, v104
	v_or_b32_e32 v108, 6, v104
	v_cmp_gt_i32_e64 s2, s24, v104
	v_or_b32_e32 v109, 8, v104
	v_wmma_f32_16x16x16_f16 v[120:127], v[80:87], v[72:79], v[120:127]
	v_cndmask_b32_e32 v105, v105, v106, vcc_lo
	v_or_b32_e32 v106, 2, v104
	v_wmma_f32_16x16x16_f16 v[96:103], v[88:95], v[72:79], v[96:103]
	v_or_b32_e32 v80, 10, v104
	v_dual_mul_f32 v78, s19, v124 :: v_dual_mul_f32 v79, s19, v123
	v_dual_mul_f32 v90, s19, v120 :: v_dual_mul_f32 v89, s19, v121
	s_delay_alu instid0(VALU_DEP_4) | instskip(SKIP_2) | instid1(VALU_DEP_4)
	v_mul_f32_e32 v92, s19, v102
	v_cmp_gt_i32_e32 vcc_lo, s24, v106
	v_dual_mul_f32 v77, s19, v125 :: v_dual_mul_f32 v88, s19, v122
	v_cndmask_b32_e64 v90, 0xff7fffff, v90, s2
	v_cmp_gt_i32_e64 s3, s24, v107
	v_cndmask_b32_e32 v89, 0xff7fffff, v89, vcc_lo
	v_cmp_gt_i32_e64 s4, s24, v108
	v_or_b32_e32 v81, 12, v104
	v_or_b32_e32 v82, 14, v104
	v_cndmask_b32_e64 v88, 0xff7fffff, v88, s3
	v_max3_f32 v89, v90, 0xff7fffff, v89
	v_cndmask_b32_e64 v79, 0xff7fffff, v79, s4
	v_cmp_gt_i32_e64 s5, s24, v109
	v_cmp_gt_i32_e64 s6, s24, v80
	v_or_b32_e32 v83, 16, v104
	v_or_b32_e32 v84, 18, v104
	v_dual_mul_f32 v75, s19, v127 :: v_dual_mul_f32 v76, s19, v126
	v_cndmask_b32_e64 v78, 0xff7fffff, v78, s5
	v_cndmask_b32_e64 v77, 0xff7fffff, v77, s6
	v_max3_f32 v79, v89, v88, v79
	v_cmp_gt_i32_e64 s7, s24, v81
	v_cmp_gt_i32_e64 s8, s24, v82
	v_or_b32_e32 v85, 20, v104
	v_or_b32_e32 v86, 22, v104
	v_or_b32_e32 v87, 24, v104
	v_or_b32_e32 v72, 26, v104
	v_or_b32_e32 v73, 28, v104
	v_or_b32_e32 v74, 30, v104
	v_dual_mul_f32 v95, s19, v99 :: v_dual_mul_f32 v104, s19, v97
	v_mul_f32_e32 v107, s19, v96
	v_cndmask_b32_e64 v76, 0xff7fffff, v76, s7
	v_cndmask_b32_e64 v75, 0xff7fffff, v75, s8
	v_max3_f32 v77, v79, v78, v77
	v_cmp_gt_i32_e64 s9, s24, v83
	v_cmp_gt_i32_e64 s10, s24, v84
	v_dual_mul_f32 v93, s19, v101 :: v_dual_mul_f32 v106, s19, v98
	s_delay_alu instid0(VALU_DEP_4) | instskip(NEXT) | instid1(VALU_DEP_4)
	v_max3_f32 v75, v77, v76, v75
	v_cndmask_b32_e64 v78, 0xff7fffff, v107, s9
	s_delay_alu instid0(VALU_DEP_4) | instskip(SKIP_3) | instid1(VALU_DEP_4)
	v_cndmask_b32_e64 v79, 0xff7fffff, v104, s10
	v_cmp_gt_i32_e64 s11, s24, v85
	v_cmp_gt_i32_e64 s12, s24, v86
	v_dual_mul_f32 v91, s19, v103 :: v_dual_mul_f32 v94, s19, v100
	v_max3_f32 v75, v75, v78, v79
	s_delay_alu instid0(VALU_DEP_4) | instskip(NEXT) | instid1(VALU_DEP_4)
	v_cndmask_b32_e64 v76, 0xff7fffff, v106, s11
	v_cndmask_b32_e64 v77, 0xff7fffff, v95, s12
	v_cmp_gt_i32_e64 s13, s24, v87
	v_cmp_gt_i32_e64 s15, s24, v72
	;; [unrolled: 1-line block ×4, first 2 shown]
	v_max3_f32 v75, v75, v76, v77
	v_cndmask_b32_e64 v78, 0xff7fffff, v94, s13
	v_cndmask_b32_e64 v72, 0xff7fffff, v93, s15
	;; [unrolled: 1-line block ×4, first 2 shown]
	s_delay_alu instid0(VALU_DEP_3) | instskip(SKIP_1) | instid1(VALU_DEP_2)
	v_max3_f32 v72, v75, v78, v72
	v_lshlrev_b32_e32 v75, 2, v105
	v_max3_f32 v72, v72, v73, v74
	ds_bpermute_b32 v73, v75, v72
	s_waitcnt lgkmcnt(0)
	v_max_f32_e32 v73, v73, v73
	s_delay_alu instid0(VALU_DEP_1) | instskip(NEXT) | instid1(VALU_DEP_1)
	v_max_f32_e32 v72, v72, v73
	v_fma_f32 v76, s19, v122, -v72
	v_fma_f32 v73, s19, v120, -v72
	v_fma_f32 v74, s19, v121, -v72
	v_fma_f32 v77, s19, v123, -v72
	v_fma_f32 v79, s19, v124, -v72
	v_mul_f32_e32 v76, 0x3fb8aa3b, v76
	v_fma_f32 v82, s19, v126, -v72
	v_mul_f32_e32 v74, 0x3fb8aa3b, v74
	v_fma_f32 v86, s19, v99, -v72
	v_fma_f32 v91, s19, v103, -v72
	v_exp_f32_e32 v76, v76
	v_mul_f32_e32 v82, 0x3fb8aa3b, v82
	v_exp_f32_e32 v74, v74
	v_mul_f32_e32 v88, 0x3fb8aa3b, v86
	v_fma_f32 v89, s19, v101, -v72
	s_delay_alu instid0(VALU_DEP_3) | instskip(NEXT) | instid1(VALU_DEP_2)
	v_exp_f32_e32 v84, v82
	v_exp_f32_e32 v90, v88
	s_delay_alu instid0(VALU_DEP_1)
	v_mul_f32_e32 v89, 0x3fb8aa3b, v89
	v_cndmask_b32_e64 v80, 0, v76, s3
	v_mul_f32_e32 v73, 0x3fb8aa3b, v73
	v_fma_f32 v76, s19, v127, -v72
	v_mul_f32_e32 v77, 0x3fb8aa3b, v77
	v_exp_f32_e32 v89, v89
	s_delay_alu instid0(VALU_DEP_3) | instskip(NEXT) | instid1(VALU_DEP_2)
	v_exp_f32_e32 v73, v73
	v_mul_f32_e32 v76, 0x3fb8aa3b, v76
	s_delay_alu instid0(VALU_DEP_2) | instskip(SKIP_2) | instid1(VALU_DEP_3)
	v_exp_f32_e32 v81, v77
	v_cndmask_b32_e32 v77, 0, v74, vcc_lo
	v_cndmask_b32_e64 v84, 0, v84, s7
	v_exp_f32_e32 v76, v76
	v_cndmask_b32_e64 v89, 0, v89, s15
	s_delay_alu instid0(TRANS32_DEP_3) | instskip(SKIP_2) | instid1(VALU_DEP_2)
	v_cndmask_b32_e64 v78, 0, v73, s2
	v_fma_f32 v73, s19, v125, -v72
	s_mov_b32 s2, exec_lo
	v_dual_add_f32 v74, 0, v78 :: v_dual_mul_f32 v79, 0x3fb8aa3b, v79
	s_delay_alu instid0(VALU_DEP_2) | instskip(NEXT) | instid1(VALU_DEP_2)
	v_mul_f32_e32 v73, 0x3fb8aa3b, v73
	v_add_f32_e32 v74, v74, v77
	s_delay_alu instid0(VALU_DEP_3) | instskip(NEXT) | instid1(VALU_DEP_2)
	v_exp_f32_e32 v83, v79
	v_exp_f32_e32 v73, v73
	v_cndmask_b32_e64 v79, 0, v81, s4
	v_fma_f32 v81, s19, v96, -v72
	s_delay_alu instid0(VALU_DEP_1) | instskip(NEXT) | instid1(VALU_DEP_1)
	v_dual_add_f32 v74, v74, v80 :: v_dual_mul_f32 v85, 0x3fb8aa3b, v81
	v_add_f32_e32 v74, v74, v79
	s_waitcnt_depctr 0xfff
	v_cndmask_b32_e64 v82, 0, v83, s5
	v_fma_f32 v83, s19, v97, -v72
	v_cndmask_b32_e64 v81, 0, v73, s6
	v_exp_f32_e32 v85, v85
	s_delay_alu instid0(VALU_DEP_2) | instskip(NEXT) | instid1(VALU_DEP_1)
	v_mul_f32_e32 v83, 0x3fb8aa3b, v83
	v_exp_f32_e32 v87, v83
	v_cndmask_b32_e64 v83, 0, v76, s8
	v_fma_f32 v76, s19, v100, -v72
	v_add_f32_e32 v73, v74, v82
	v_fma_f32 v74, s19, v98, -v72
	s_delay_alu instid0(TRANS32_DEP_2) | instskip(NEXT) | instid1(VALU_DEP_4)
	v_cndmask_b32_e64 v86, 0, v85, s9
	v_mul_f32_e32 v76, 0x3fb8aa3b, v76
	s_delay_alu instid0(VALU_DEP_3) | instskip(NEXT) | instid1(TRANS32_DEP_1)
	v_mul_f32_e32 v74, 0x3fb8aa3b, v74
	v_cndmask_b32_e64 v85, 0, v87, s10
	v_fma_f32 v87, s19, v102, -v72
	v_add_f32_e32 v73, v73, v81
	v_exp_f32_e32 v76, v76
	v_exp_f32_e32 v74, v74
	s_waitcnt_depctr 0xfff
	v_cndmask_b32_e64 v88, 0, v74, s11
	v_dual_mul_f32 v74, 0x3fb8aa3b, v87 :: v_dual_add_f32 v73, v73, v84
	v_cndmask_b32_e64 v87, 0, v90, s12
	v_cndmask_b32_e64 v90, 0, v76, s13
	v_mul_f32_e32 v76, 0x3fb8aa3b, v91
	s_delay_alu instid0(VALU_DEP_4) | instskip(SKIP_1) | instid1(VALU_DEP_2)
	v_exp_f32_e32 v74, v74
	v_add_f32_e32 v73, v73, v83
	v_exp_f32_e32 v76, v76
	s_delay_alu instid0(VALU_DEP_1) | instskip(SKIP_4) | instid1(VALU_DEP_2)
	v_add_f32_e32 v73, v73, v86
	s_waitcnt_depctr 0xfff
	v_cndmask_b32_e64 v92, 0, v74, s16
	v_add_f32_e32 v73, v73, v85
	v_cndmask_b32_e64 v91, 0, v76, s17
	v_add_f32_e32 v73, v73, v88
	s_delay_alu instid0(VALU_DEP_1) | instskip(NEXT) | instid1(VALU_DEP_1)
	v_add_f32_e32 v73, v73, v87
	v_add_f32_e32 v73, v73, v90
	s_delay_alu instid0(VALU_DEP_1) | instskip(NEXT) | instid1(VALU_DEP_1)
	v_add_f32_e32 v73, v73, v89
	v_add_f32_e32 v73, v73, v92
	s_delay_alu instid0(VALU_DEP_1)
	v_add_f32_e32 v73, v73, v91
	ds_bpermute_b32 v74, v75, v73
	v_cmpx_gt_u32_e32 16, v71
	s_cbranch_execz .LBB1309_12
; %bb.11:
	v_mul_u32_u24_e32 v71, 0x44, v69
	s_waitcnt lgkmcnt(0)
	v_add_f32_e32 v73, v73, v74
	s_delay_alu instid0(VALU_DEP_2) | instskip(NEXT) | instid1(VALU_DEP_1)
	v_lshl_add_u32 v71, v70, 2, v71
	v_add_nc_u32_e32 v71, 0x4000, v71
	ds_store_2addr_b32 v71, v72, v73 offset1:136
.LBB1309_12:
	s_or_b32 exec_lo, exec_lo, s2
	v_lshlrev_b32_e32 v70, 2, v70
	s_load_b32 s34, s[0:1], 0x94
	s_waitcnt lgkmcnt(0)
	s_barrier
	buffer_gl0_inv
	v_add_nc_u32_e32 v74, 0x4000, v70
	v_cmp_eq_u32_e32 vcc_lo, 1, v69
	v_cmp_eq_u32_e64 s2, 2, v69
	v_cmp_eq_u32_e64 s3, 3, v69
	;; [unrolled: 1-line block ×3, first 2 shown]
	ds_load_2addr_b32 v[70:71], v74 offset1:17
	ds_load_2addr_b32 v[72:73], v74 offset0:34 offset1:51
	ds_load_2addr_b32 v[93:94], v74 offset0:68 offset1:85
	;; [unrolled: 1-line block ×3, first 2 shown]
	v_cmp_eq_u32_e64 s5, 7, v69
	s_waitcnt lgkmcnt(3)
	v_max3_f32 v75, v70, 0xff7fffff, v71
	s_waitcnt lgkmcnt(2)
	s_delay_alu instid0(VALU_DEP_1) | instskip(SKIP_1) | instid1(VALU_DEP_1)
	v_max3_f32 v75, v75, v72, v73
	s_waitcnt lgkmcnt(1)
	v_max3_f32 v75, v75, v93, v94
	s_waitcnt lgkmcnt(0)
	s_delay_alu instid0(VALU_DEP_1) | instskip(NEXT) | instid1(VALU_DEP_1)
	v_max3_f32 v75, v75, v95, v96
	v_sub_f32_e32 v93, v93, v75
	ds_load_2addr_b32 v[97:98], v74 offset0:136 offset1:153
	v_sub_f32_e32 v70, v70, v75
	v_dual_sub_f32 v100, v73, v75 :: v_dual_mul_f32 v103, 0x3fb8aa3b, v93
	s_delay_alu instid0(VALU_DEP_2) | instskip(SKIP_3) | instid1(VALU_DEP_1)
	v_dual_sub_f32 v76, v71, v75 :: v_dual_mul_f32 v99, 0x3fb8aa3b, v70
	ds_load_2addr_b32 v[70:71], v74 offset0:170 offset1:187
	v_mul_f32_e32 v76, 0x3fb8aa3b, v76
	v_exp_f32_e32 v99, v99
	v_exp_f32_e32 v102, v76
	v_mul_f32_e32 v100, 0x3fb8aa3b, v100
	s_waitcnt lgkmcnt(1)
	s_waitcnt_depctr 0xfff
	v_fma_f32 v76, v99, v97, 0
	v_sub_f32_e32 v97, v94, v75
	v_sub_f32_e32 v72, v72, v75
	v_exp_f32_e32 v100, v100
	ds_load_2addr_b32 v[93:94], v74 offset0:238 offset1:255
	v_dual_fmac_f32 v76, v102, v98 :: v_dual_mul_f32 v101, 0x3fb8aa3b, v72
	ds_load_2addr_b32 v[72:73], v74 offset0:204 offset1:221
	v_dual_sub_f32 v74, v95, v75 :: v_dual_mul_f32 v95, 0x3fb8aa3b, v97
	v_exp_f32_e32 v97, v103
	v_exp_f32_e32 v101, v101
	s_waitcnt lgkmcnt(0)
	s_delay_alu instid0(VALU_DEP_1)
	v_mul_f32_e32 v74, 0x3fb8aa3b, v74
	v_exp_f32_e32 v95, v95
	s_barrier
	buffer_gl0_inv
	v_fmac_f32_e32 v76, v101, v70
	v_sub_f32_e32 v70, v96, v75
	v_exp_f32_e32 v96, v74
	s_delay_alu instid0(VALU_DEP_2) | instskip(NEXT) | instid1(VALU_DEP_2)
	v_fmac_f32_e32 v76, v100, v71
	v_mul_f32_e32 v70, 0x3fb8aa3b, v70
	s_delay_alu instid0(VALU_DEP_2) | instskip(NEXT) | instid1(VALU_DEP_2)
	v_dual_cndmask_b32 v71, v99, v102 :: v_dual_fmac_f32 v76, v97, v72
	v_exp_f32_e32 v98, v70
	s_delay_alu instid0(VALU_DEP_1) | instskip(SKIP_2) | instid1(VALU_DEP_1)
	v_fmac_f32_e32 v76, v95, v73
	s_waitcnt_depctr 0xfff
	v_fmac_f32_e32 v76, v96, v93
	v_fmac_f32_e32 v76, v98, v94
	s_delay_alu instid0(VALU_DEP_1) | instskip(NEXT) | instid1(VALU_DEP_1)
	v_add_f32_e32 v93, 0x358637bd, v76
	v_div_scale_f32 v94, null, v93, v93, 1.0
	v_div_scale_f32 v99, vcc_lo, 1.0, v93, 1.0
	s_delay_alu instid0(VALU_DEP_2) | instskip(SKIP_2) | instid1(VALU_DEP_1)
	v_rcp_f32_e32 v103, v94
	s_waitcnt_depctr 0xfff
	v_fma_f32 v70, -v94, v103, 1.0
	v_fmac_f32_e32 v103, v70, v103
	v_cndmask_b32_e64 v70, v71, v101, s2
	v_cmp_eq_u32_e64 s2, 4, v69
	v_lshlrev_b32_e32 v71, 2, v66
	s_delay_alu instid0(VALU_DEP_4) | instskip(NEXT) | instid1(VALU_DEP_4)
	v_mul_f32_e32 v101, v99, v103
	v_cndmask_b32_e64 v72, v70, v100, s3
	v_cmp_eq_u32_e64 s3, 6, v69
	v_lshl_or_b32 v70, v69, 11, v68
	v_or_b32_e32 v74, 1, v71
	v_fma_f32 v73, -v94, v101, v99
	v_cndmask_b32_e64 v72, v72, v97, s2
	v_cmp_eq_u32_e64 s2, 1, v71
	v_lshl_or_b32 v69, v66, 4, v70
	v_cmp_eq_u32_e64 s8, 1, v74
	v_fmac_f32_e32 v101, v73, v103
	v_cndmask_b32_e64 v95, v72, v95, s4
	v_or_b32_e32 v72, 2, v71
	v_or_b32_e32 v73, 3, v71
	v_cmp_eq_u32_e64 s11, 2, v74
	v_fma_f32 v94, -v94, v101, v99
	v_cndmask_b32_e64 v95, v95, v96, s3
	v_cmp_eq_u32_e64 s9, 1, v72
	v_cmp_eq_u32_e64 s10, 1, v73
	;; [unrolled: 1-line block ×3, first 2 shown]
	v_div_fmas_f32 v94, v94, v103, v101
	v_cndmask_b32_e64 v95, v95, v98, s5
	v_cmp_eq_u32_e32 vcc_lo, 2, v71
	v_cmp_eq_u32_e64 s15, 2, v73
	v_cmp_eq_u32_e64 s17, 3, v73
	v_div_fixup_f32 v93, v94, v93, 1.0
	v_cmp_eq_u32_e64 s3, 3, v71
	v_cmp_eq_u32_e64 s12, 3, v74
	;; [unrolled: 1-line block ×4, first 2 shown]
	v_mul_f32_e32 v101, v95, v93
	v_cmp_eq_u32_e64 s4, 4, v71
	v_cmp_eq_u32_e64 s18, 4, v74
	;; [unrolled: 1-line block ×4, first 2 shown]
	v_fma_mixlo_f16 v93, v101, v78, 0
	v_fma_mixlo_f16 v94, v101, v80, 0
	v_fma_mixlo_f16 v95, v101, v82, 0
	v_fma_mixlo_f16 v96, v101, v84, 0
	v_fma_mixlo_f16 v97, v101, v86, 0
	v_fma_mixlo_f16 v98, v101, v88, 0
	v_fma_mixlo_f16 v99, v101, v90, 0
	v_fma_mixlo_f16 v100, v101, v92, 0
	v_fma_mixhi_f16 v93, v101, v77, 0
	v_fma_mixhi_f16 v94, v101, v79, 0
	;; [unrolled: 1-line block ×8, first 2 shown]
	ds_store_b128 v69, v[93:96]
	ds_store_b128 v69, v[97:100] offset:1024
	s_waitcnt lgkmcnt(0)
	s_barrier
	buffer_gl0_inv
	ds_load_b128 v[77:80], v70
	ds_load_b128 v[81:84], v70 offset:16
	ds_load_b128 v[85:88], v70 offset:1024
	;; [unrolled: 1-line block ×3, first 2 shown]
	v_cmp_eq_u32_e64 s5, 5, v71
	v_cmp_eq_u32_e64 s19, 5, v74
	;; [unrolled: 1-line block ×11, first 2 shown]
	s_waitcnt lgkmcnt(3)
	v_lshrrev_b32_e32 v93, 16, v77
	s_waitcnt lgkmcnt(2)
	v_lshrrev_b32_e32 v97, 16, v81
	;; [unrolled: 2-line block ×4, first 2 shown]
	v_lshrrev_b32_e32 v94, 16, v78
	v_cndmask_b32_e64 v109, v77, v93, s2
	v_cndmask_b32_e64 v110, v81, v97, s2
	;; [unrolled: 1-line block ×8, first 2 shown]
	v_lshrrev_b32_e32 v98, 16, v82
	v_cndmask_b32_e64 v93, v85, v101, s2
	v_cndmask_b32_e64 v97, v89, v105, s2
	;; [unrolled: 1-line block ×5, first 2 shown]
	v_cndmask_b32_e32 v101, v109, v78, vcc_lo
	v_cndmask_b32_e64 v109, v111, v78, s11
	v_cndmask_b32_e64 v111, v113, v78, s13
	;; [unrolled: 1-line block ×4, first 2 shown]
	v_lshrrev_b32_e32 v102, 16, v86
	v_lshrrev_b32_e32 v106, 16, v90
	v_cndmask_b32_e64 v116, v89, v105, s8
	v_cndmask_b32_e64 v118, v89, v105, s9
	;; [unrolled: 1-line block ×3, first 2 shown]
	v_cndmask_b32_e32 v105, v110, v82, vcc_lo
	v_cndmask_b32_e64 v110, v112, v82, s11
	v_cndmask_b32_e64 v112, v114, v82, s13
	v_cndmask_b32_e32 v81, v93, v86, vcc_lo
	v_cndmask_b32_e32 v82, v97, v90, vcc_lo
	v_cndmask_b32_e64 v93, v115, v86, s11
	v_cndmask_b32_e64 v77, v77, v94, s17
	;; [unrolled: 1-line block ×3, first 2 shown]
	v_lshrrev_b32_e32 v95, 16, v79
	v_lshrrev_b32_e32 v99, 16, v83
	v_cndmask_b32_e64 v97, v117, v86, s13
	v_cndmask_b32_e64 v85, v85, v86, s15
	;; [unrolled: 1-line block ×14, first 2 shown]
	v_lshrrev_b32_e32 v103, 16, v87
	v_cndmask_b32_e64 v89, v89, v79, s4
	v_cndmask_b32_e64 v94, v101, v83, s4
	;; [unrolled: 1-line block ×11, first 2 shown]
	v_lshrrev_b32_e32 v96, 16, v80
	v_lshrrev_b32_e32 v100, 16, v84
	v_cndmask_b32_e64 v83, v89, v95, s5
	v_cndmask_b32_e64 v89, v94, v99, s5
	;; [unrolled: 1-line block ×9, first 2 shown]
	v_lshrrev_b32_e32 v104, 16, v88
	v_cndmask_b32_e64 v79, v79, v103, s5
	v_cndmask_b32_e64 v83, v83, v80, s6
	;; [unrolled: 1-line block ×19, first 2 shown]
	v_perm_b32 v80, v78, v77, 0x5040100
	v_cndmask_b32_e64 v77, v116, v90, s11
	v_cndmask_b32_e64 v95, v79, v104, s7
	v_perm_b32 v79, v93, v89, 0x5040100
	v_perm_b32 v78, v94, v84, 0x5040100
	v_cndmask_b32_e64 v84, v97, v102, s16
	v_cndmask_b32_e64 v85, v85, v102, s17
	;; [unrolled: 1-line block ×5, first 2 shown]
	v_lshrrev_b32_e32 v107, 16, v91
	v_cndmask_b32_e64 v84, v84, v87, s20
	v_cndmask_b32_e64 v85, v85, v87, s21
	;; [unrolled: 1-line block ×11, first 2 shown]
	v_lshrrev_b32_e32 v108, 16, v92
	v_cndmask_b32_e64 v81, v81, v92, s6
	v_cndmask_b32_e64 v84, v84, v88, s25
	;; [unrolled: 1-line block ×12, first 2 shown]
	v_perm_b32 v77, v83, v82, 0x5040100
	v_perm_b32 v84, v85, v84, 0x5040100
	;; [unrolled: 1-line block ×5, first 2 shown]
	s_lshl_b32 s7, s33, 4
	s_mov_b32 s2, exec_lo
	ds_store_b128 v69, v[77:80]
	ds_store_b128 v69, v[81:84] offset:1024
	v_cmpx_gt_u32_e32 16, v0
	s_cbranch_execz .LBB1309_14
; %bb.13:
	v_or_b32_e32 v77, s31, v0
	s_load_b128 s[8:11], s[0:1], 0x58
	s_delay_alu instid0(VALU_DEP_1) | instskip(NEXT) | instid1(VALU_DEP_1)
	v_mad_u64_u32 v[78:79], null, s7, s30, v[77:78]
	v_mad_u64_u32 v[79:80], null, v78, s34, s[14:15]
	s_delay_alu instid0(VALU_DEP_1) | instskip(NEXT) | instid1(VALU_DEP_1)
	v_ashrrev_i32_e32 v80, 31, v79
	v_lshlrev_b64 v[77:78], 2, v[79:80]
	s_waitcnt lgkmcnt(0)
	s_delay_alu instid0(VALU_DEP_1) | instskip(NEXT) | instid1(VALU_DEP_2)
	v_add_co_u32 v79, vcc_lo, s10, v77
	v_add_co_ci_u32_e32 v80, vcc_lo, s11, v78, vcc_lo
	v_add_co_u32 v77, vcc_lo, s8, v77
	v_add_co_ci_u32_e32 v78, vcc_lo, s9, v78, vcc_lo
	global_store_b32 v[79:80], v75, off
	global_store_b32 v[77:78], v76, off
.LBB1309_14:
	s_or_b32 exec_lo, exec_lo, s2
	s_waitcnt lgkmcnt(0)
	s_waitcnt_vscnt null, 0x0
	s_barrier
	buffer_gl0_inv
	ds_load_b128 v[83:86], v68
	ds_load_b128 v[87:90], v68 offset:16
	ds_load_b128 v[95:98], v68 offset:2064
	ds_load_b128 v[91:94], v68 offset:2048
	ds_load_b128 v[103:106], v68 offset:4112
	ds_load_b128 v[99:102], v68 offset:4096
	v_cmp_eq_u32_e32 vcc_lo, 1, v71
	v_mov_b32_e32 v75, 0
	ds_load_b128 v[111:114], v68 offset:6160
	ds_load_b128 v[107:110], v68 offset:6144
	;; [unrolled: 1-line block ×4, first 2 shown]
	v_cmp_eq_u32_e64 s3, 1, v72
	v_cmp_eq_u32_e64 s2, 1, v74
	;; [unrolled: 1-line block ×3, first 2 shown]
	v_mov_b32_e32 v76, v75
	v_mov_b32_e32 v77, v75
	;; [unrolled: 1-line block ×7, first 2 shown]
	v_cmp_eq_u32_e64 s5, 3, v74
	v_cmp_eq_u32_e64 s6, 7, v74
	s_waitcnt lgkmcnt(8)
	s_delay_alu instid0(VALU_DEP_3)
	v_wmma_f32_16x16x16_f16 v[75:82], v[49:56], v[83:90], v[75:82]
	ds_load_b128 v[53:56], v68 offset:10256
	ds_load_b128 v[49:52], v68 offset:10240
	s_waitcnt lgkmcnt(8)
	v_wmma_f32_16x16x16_f16 v[75:82], v[41:48], v[91:98], v[75:82]
	ds_load_b128 v[45:48], v68 offset:12304
	ds_load_b128 v[41:44], v68 offset:12288
	s_waitcnt lgkmcnt(8)
	;; [unrolled: 4-line block ×3, first 2 shown]
	s_barrier
	buffer_gl0_inv
	v_wmma_f32_16x16x16_f16 v[75:82], v[1:8], v[107:114], v[75:82]
	s_delay_alu instid0(VALU_DEP_1) | instskip(NEXT) | instid1(VALU_DEP_1)
	v_wmma_f32_16x16x16_f16 v[75:82], v[9:16], v[115:122], v[75:82]
	v_wmma_f32_16x16x16_f16 v[75:82], v[17:24], v[49:56], v[75:82]
	s_delay_alu instid0(VALU_DEP_1) | instskip(NEXT) | instid1(VALU_DEP_1)
	v_wmma_f32_16x16x16_f16 v[75:82], v[25:32], v[41:48], v[75:82]
	v_wmma_f32_16x16x16_f16 v[75:82], v[57:64], v[33:40], v[75:82]
	s_delay_alu instid0(VALU_DEP_1) | instskip(NEXT) | instid1(VALU_DEP_2)
	v_cvt_f16_f32_e32 v1, v75
	v_cvt_f16_f32_e32 v2, v76
	s_delay_alu instid0(VALU_DEP_3) | instskip(NEXT) | instid1(VALU_DEP_4)
	v_cvt_f16_f32_e32 v3, v77
	v_cvt_f16_f32_e32 v4, v78
	;; [unrolled: 1-line block ×6, first 2 shown]
	v_pack_b32_f16 v1, v1, v2
	v_pack_b32_f16 v2, v3, v4
	;; [unrolled: 1-line block ×3, first 2 shown]
	s_delay_alu instid0(VALU_DEP_4)
	v_pack_b32_f16 v4, v7, v8
	ds_store_b128 v69, v[1:4]
	s_waitcnt lgkmcnt(0)
	s_barrier
	buffer_gl0_inv
	ds_load_b128 v[1:4], v70
	ds_load_b128 v[5:8], v70 offset:16
	s_waitcnt lgkmcnt(1)
	v_lshrrev_b32_e32 v9, 16, v1
	s_waitcnt lgkmcnt(0)
	v_lshrrev_b32_e32 v13, 16, v5
	v_lshrrev_b32_e32 v10, 16, v2
	;; [unrolled: 1-line block ×4, first 2 shown]
	v_cndmask_b32_e32 v17, v1, v9, vcc_lo
	v_cndmask_b32_e32 v18, v5, v13, vcc_lo
	v_cndmask_b32_e64 v21, v1, v9, s3
	v_cmp_eq_u32_e32 vcc_lo, 1, v73
	v_cndmask_b32_e64 v22, v5, v13, s3
	v_cmp_eq_u32_e64 s3, 2, v71
	v_cndmask_b32_e64 v19, v1, v9, s2
	v_cndmask_b32_e64 v20, v5, v13, s2
	v_cndmask_b32_e32 v1, v1, v9, vcc_lo
	v_cmp_eq_u32_e64 s2, 2, v73
	v_cndmask_b32_e32 v5, v5, v13, vcc_lo
	v_cndmask_b32_e64 v9, v17, v2, s3
	v_cmp_eq_u32_e32 vcc_lo, 3, v71
	v_cndmask_b32_e64 v13, v18, v6, s3
	v_cmp_eq_u32_e64 s3, 2, v72
	v_cndmask_b32_e64 v17, v19, v2, s4
	v_cndmask_b32_e64 v18, v20, v6, s4
	v_cmp_eq_u32_e64 s4, 3, v72
	v_cndmask_b32_e64 v1, v1, v2, s2
	v_cndmask_b32_e64 v19, v21, v2, s3
	;; [unrolled: 1-line block ×4, first 2 shown]
	v_cndmask_b32_e32 v5, v9, v10, vcc_lo
	v_cndmask_b32_e32 v6, v13, v14, vcc_lo
	v_cmp_eq_u32_e32 vcc_lo, 3, v73
	v_cndmask_b32_e64 v9, v17, v10, s5
	v_cndmask_b32_e64 v13, v18, v14, s5
	;; [unrolled: 1-line block ×3, first 2 shown]
	v_cmp_eq_u32_e64 s3, 4, v71
	v_cndmask_b32_e32 v1, v1, v10, vcc_lo
	v_cndmask_b32_e32 v2, v2, v14, vcc_lo
	v_cmp_eq_u32_e32 vcc_lo, 4, v74
	v_lshrrev_b32_e32 v15, 16, v7
	v_lshrrev_b32_e32 v16, 16, v8
	v_cndmask_b32_e64 v17, v19, v10, s4
	v_cmp_eq_u32_e64 s2, 4, v73
	v_cndmask_b32_e64 v5, v5, v3, s3
	v_cndmask_b32_e64 v6, v6, v7, s3
	v_cndmask_b32_e32 v9, v9, v3, vcc_lo
	v_cmp_eq_u32_e64 s3, 5, v74
	v_cndmask_b32_e32 v10, v13, v7, vcc_lo
	v_cmp_eq_u32_e32 vcc_lo, 4, v72
	v_cmp_eq_u32_e64 s4, 5, v71
	v_cndmask_b32_e64 v2, v2, v7, s2
	v_cndmask_b32_e64 v9, v9, v11, s3
	;; [unrolled: 1-line block ×3, first 2 shown]
	v_cndmask_b32_e32 v13, v17, v3, vcc_lo
	v_cmp_eq_u32_e64 s3, 5, v72
	v_cndmask_b32_e32 v14, v18, v7, vcc_lo
	v_cndmask_b32_e64 v1, v1, v3, s2
	v_cmp_eq_u32_e32 vcc_lo, 5, v73
	v_lshrrev_b32_e32 v12, 16, v4
	v_cndmask_b32_e64 v13, v13, v11, s3
	v_cndmask_b32_e64 v3, v14, v15, s3
	v_cmp_eq_u32_e64 s3, 6, v73
	v_cndmask_b32_e32 v1, v1, v11, vcc_lo
	v_cndmask_b32_e64 v5, v5, v11, s4
	v_cmp_eq_u32_e64 s5, 6, v71
	v_cndmask_b32_e64 v6, v6, v15, s4
	v_cmp_eq_u32_e64 s4, 6, v74
	v_cmp_eq_u32_e64 s2, 6, v72
	v_cndmask_b32_e64 v1, v1, v4, s3
	v_cndmask_b32_e32 v2, v2, v15, vcc_lo
	v_cmp_eq_u32_e32 vcc_lo, 7, v73
	v_cndmask_b32_e64 v5, v5, v4, s5
	v_cndmask_b32_e64 v9, v9, v4, s4
	;; [unrolled: 1-line block ×3, first 2 shown]
	v_cmp_eq_u32_e64 s5, 7, v71
	v_cndmask_b32_e32 v1, v1, v12, vcc_lo
	v_cndmask_b32_e64 v7, v13, v4, s2
	v_cndmask_b32_e64 v3, v3, v8, s2
	;; [unrolled: 1-line block ×3, first 2 shown]
	v_cmp_eq_u32_e64 s2, 7, v72
	v_cndmask_b32_e64 v4, v10, v8, s4
	v_cndmask_b32_e64 v5, v5, v12, s5
	;; [unrolled: 1-line block ×3, first 2 shown]
	v_cndmask_b32_e32 v2, v2, v16, vcc_lo
	v_cndmask_b32_e64 v7, v7, v12, s2
	v_cndmask_b32_e64 v3, v3, v16, s2
	;; [unrolled: 1-line block ×4, first 2 shown]
	v_perm_b32 v4, v2, v1, 0x5040100
	s_mov_b32 s2, exec_lo
	v_perm_b32 v3, v3, v7, 0x5040100
	v_perm_b32 v2, v8, v9, 0x5040100
	;; [unrolled: 1-line block ×3, first 2 shown]
	ds_store_b128 v69, v[1:4]
	s_waitcnt lgkmcnt(0)
	s_barrier
	buffer_gl0_inv
	v_cmpx_gt_u32_e32 32, v0
	s_cbranch_execz .LBB1309_2
; %bb.15:
	s_load_b64 s[0:1], s[0:1], 0x68
	v_lshlrev_b32_e32 v0, 10, v0
	s_lshl_b32 s4, s34, 7
	v_or_b32_e32 v23, s31, v66
	s_mul_i32 s2, s4, s30
	v_lshlrev_b32_e32 v1, 4, v67
	v_lshlrev_b32_e32 v2, 6, v66
	s_mul_i32 s2, s2, s7
	v_and_b32_e32 v0, 0x3800, v0
	v_mul_lo_u32 v8, v23, s4
	s_ashr_i32 s3, s2, 31
	v_or_b32_e32 v3, 2, v23
	s_lshl_b64 s[2:3], s[2:3], 1
	v_or3_b32 v27, v0, v1, v2
	v_or_b32_e32 v11, 4, v23
	v_or_b32_e32 v18, 6, v23
	v_mul_lo_u32 v10, v3, s4
	v_ashrrev_i32_e32 v9, 31, v8
	ds_load_b128 v[0:3], v27
	ds_load_b128 v[4:7], v27 offset:128
	v_mul_lo_u32 v12, v11, s4
	s_waitcnt lgkmcnt(0)
	s_add_u32 s2, s0, s2
	s_addc_u32 s3, s1, s3
	s_lshl_b32 s0, s14, 7
	v_lshlrev_b64 v[8:9], 1, v[8:9]
	s_ashr_i32 s1, s0, 31
	v_ashrrev_i32_e32 v11, 31, v10
	s_lshl_b64 s[0:1], s[0:1], 1
	v_ashrrev_i32_e32 v13, 31, v12
	s_add_u32 s0, s2, s0
	s_addc_u32 s1, s3, s1
	v_add_co_u32 v30, s0, s0, v65
	s_delay_alu instid0(VALU_DEP_1) | instskip(SKIP_1) | instid1(VALU_DEP_3)
	v_add_co_ci_u32_e64 v31, null, s1, 0, s0
	v_lshlrev_b64 v[16:17], 1, v[10:11]
	v_add_co_u32 v14, vcc_lo, v30, v8
	s_delay_alu instid0(VALU_DEP_3)
	v_add_co_ci_u32_e32 v15, vcc_lo, v31, v9, vcc_lo
	ds_load_b128 v[8:11], v27 offset:256
	v_mul_lo_u32 v18, v18, s4
	v_or_b32_e32 v19, 8, v23
	v_add_co_u32 v16, vcc_lo, v30, v16
	global_store_b128 v[14:15], v[0:3], off
	v_lshlrev_b64 v[0:1], 1, v[12:13]
	v_add_co_ci_u32_e32 v17, vcc_lo, v31, v17, vcc_lo
	v_mul_lo_u32 v12, v19, s4
	v_ashrrev_i32_e32 v19, 31, v18
	v_or_b32_e32 v14, 10, v23
	global_store_b128 v[16:17], v[4:7], off
	v_add_co_u32 v4, vcc_lo, v30, v0
	v_add_co_ci_u32_e32 v5, vcc_lo, v31, v1, vcc_lo
	ds_load_b128 v[0:3], v27 offset:384
	v_ashrrev_i32_e32 v13, 31, v12
	v_lshlrev_b64 v[6:7], 1, v[18:19]
	v_mul_lo_u32 v14, v14, s4
	s_waitcnt lgkmcnt(1)
	global_store_b128 v[4:5], v[8:11], off
	v_or_b32_e32 v8, 12, v23
	v_lshlrev_b64 v[4:5], 1, v[12:13]
	v_add_co_u32 v20, vcc_lo, v30, v6
	v_or_b32_e32 v6, 14, v23
	v_ashrrev_i32_e32 v15, 31, v14
	v_mul_lo_u32 v22, v8, s4
	v_add_co_ci_u32_e32 v21, vcc_lo, v31, v7, vcc_lo
	v_add_co_u32 v24, vcc_lo, v30, v4
	v_mul_lo_u32 v26, v6, s4
	v_add_co_ci_u32_e32 v25, vcc_lo, v31, v5, vcc_lo
	v_lshlrev_b64 v[28:29], 1, v[14:15]
	ds_load_b128 v[4:7], v27 offset:512
	ds_load_b128 v[8:11], v27 offset:640
	ds_load_b128 v[12:15], v27 offset:768
	ds_load_b128 v[16:19], v27 offset:896
	v_ashrrev_i32_e32 v23, 31, v22
	v_ashrrev_i32_e32 v27, 31, v26
	v_add_co_u32 v28, vcc_lo, v30, v28
	s_delay_alu instid0(VALU_DEP_3) | instskip(SKIP_1) | instid1(VALU_DEP_4)
	v_lshlrev_b64 v[22:23], 1, v[22:23]
	v_add_co_ci_u32_e32 v29, vcc_lo, v31, v29, vcc_lo
	v_lshlrev_b64 v[26:27], 1, v[26:27]
	s_delay_alu instid0(VALU_DEP_3) | instskip(NEXT) | instid1(VALU_DEP_4)
	v_add_co_u32 v22, vcc_lo, v30, v22
	v_add_co_ci_u32_e32 v23, vcc_lo, v31, v23, vcc_lo
	s_delay_alu instid0(VALU_DEP_3) | instskip(NEXT) | instid1(VALU_DEP_4)
	v_add_co_u32 v26, vcc_lo, v30, v26
	v_add_co_ci_u32_e32 v27, vcc_lo, v31, v27, vcc_lo
	s_waitcnt lgkmcnt(4)
	global_store_b128 v[20:21], v[0:3], off
	s_waitcnt lgkmcnt(3)
	global_store_b128 v[24:25], v[4:7], off
	;; [unrolled: 2-line block ×5, first 2 shown]
	s_nop 0
	s_sendmsg sendmsg(MSG_DEALLOC_VGPRS)
	s_endpgm
	.section	.rodata,"a",@progbits
	.p2align	6, 0x0
	.amdhsa_kernel _Z39paged_attention_ll4mi_QKV_mfma16_kernelIDF16_hLN4vllm18Fp8KVCacheDataTypeE1EhLi32ELi128ELi256ELb0ELi16EL8MFMAType0EEvPKT_PKT0_S8_ifPKiSA_SA_iPKfiiiPfSD_PS3_PT2_iSC_SC_
		.amdhsa_group_segment_fixed_size 17472
		.amdhsa_private_segment_fixed_size 0
		.amdhsa_kernarg_size 400
		.amdhsa_user_sgpr_count 13
		.amdhsa_user_sgpr_dispatch_ptr 0
		.amdhsa_user_sgpr_queue_ptr 0
		.amdhsa_user_sgpr_kernarg_segment_ptr 1
		.amdhsa_user_sgpr_dispatch_id 0
		.amdhsa_user_sgpr_private_segment_size 0
		.amdhsa_wavefront_size32 1
		.amdhsa_uses_dynamic_stack 0
		.amdhsa_enable_private_segment 0
		.amdhsa_system_sgpr_workgroup_id_x 1
		.amdhsa_system_sgpr_workgroup_id_y 1
		.amdhsa_system_sgpr_workgroup_id_z 1
		.amdhsa_system_sgpr_workgroup_info 0
		.amdhsa_system_vgpr_workitem_id 0
		.amdhsa_next_free_vgpr 140
		.amdhsa_next_free_sgpr 37
		.amdhsa_reserve_vcc 1
		.amdhsa_float_round_mode_32 0
		.amdhsa_float_round_mode_16_64 0
		.amdhsa_float_denorm_mode_32 3
		.amdhsa_float_denorm_mode_16_64 3
		.amdhsa_dx10_clamp 1
		.amdhsa_ieee_mode 1
		.amdhsa_fp16_overflow 0
		.amdhsa_workgroup_processor_mode 1
		.amdhsa_memory_ordered 1
		.amdhsa_forward_progress 0
		.amdhsa_shared_vgpr_count 0
		.amdhsa_exception_fp_ieee_invalid_op 0
		.amdhsa_exception_fp_denorm_src 0
		.amdhsa_exception_fp_ieee_div_zero 0
		.amdhsa_exception_fp_ieee_overflow 0
		.amdhsa_exception_fp_ieee_underflow 0
		.amdhsa_exception_fp_ieee_inexact 0
		.amdhsa_exception_int_div_zero 0
	.end_amdhsa_kernel
	.section	.text._Z39paged_attention_ll4mi_QKV_mfma16_kernelIDF16_hLN4vllm18Fp8KVCacheDataTypeE1EhLi32ELi128ELi256ELb0ELi16EL8MFMAType0EEvPKT_PKT0_S8_ifPKiSA_SA_iPKfiiiPfSD_PS3_PT2_iSC_SC_,"axG",@progbits,_Z39paged_attention_ll4mi_QKV_mfma16_kernelIDF16_hLN4vllm18Fp8KVCacheDataTypeE1EhLi32ELi128ELi256ELb0ELi16EL8MFMAType0EEvPKT_PKT0_S8_ifPKiSA_SA_iPKfiiiPfSD_PS3_PT2_iSC_SC_,comdat
.Lfunc_end1309:
	.size	_Z39paged_attention_ll4mi_QKV_mfma16_kernelIDF16_hLN4vllm18Fp8KVCacheDataTypeE1EhLi32ELi128ELi256ELb0ELi16EL8MFMAType0EEvPKT_PKT0_S8_ifPKiSA_SA_iPKfiiiPfSD_PS3_PT2_iSC_SC_, .Lfunc_end1309-_Z39paged_attention_ll4mi_QKV_mfma16_kernelIDF16_hLN4vllm18Fp8KVCacheDataTypeE1EhLi32ELi128ELi256ELb0ELi16EL8MFMAType0EEvPKT_PKT0_S8_ifPKiSA_SA_iPKfiiiPfSD_PS3_PT2_iSC_SC_
                                        ; -- End function
	.section	.AMDGPU.csdata,"",@progbits
; Kernel info:
; codeLenInByte = 6864
; NumSgprs: 39
; NumVgprs: 140
; ScratchSize: 0
; MemoryBound: 0
; FloatMode: 240
; IeeeMode: 1
; LDSByteSize: 17472 bytes/workgroup (compile time only)
; SGPRBlocks: 4
; VGPRBlocks: 17
; NumSGPRsForWavesPerEU: 39
; NumVGPRsForWavesPerEU: 140
; Occupancy: 10
; WaveLimiterHint : 1
; COMPUTE_PGM_RSRC2:SCRATCH_EN: 0
; COMPUTE_PGM_RSRC2:USER_SGPR: 13
; COMPUTE_PGM_RSRC2:TRAP_HANDLER: 0
; COMPUTE_PGM_RSRC2:TGID_X_EN: 1
; COMPUTE_PGM_RSRC2:TGID_Y_EN: 1
; COMPUTE_PGM_RSRC2:TGID_Z_EN: 1
; COMPUTE_PGM_RSRC2:TIDIG_COMP_CNT: 0
	.section	.text._Z39paged_attention_ll4mi_QKV_mfma16_kernelIDF16_hLN4vllm18Fp8KVCacheDataTypeE1EhLi32ELi128ELi256ELb0ELi1EL8MFMAType0EEvPKT_PKT0_S8_ifPKiSA_SA_iPKfiiiPfSD_PS3_PT2_iSC_SC_,"axG",@progbits,_Z39paged_attention_ll4mi_QKV_mfma16_kernelIDF16_hLN4vllm18Fp8KVCacheDataTypeE1EhLi32ELi128ELi256ELb0ELi1EL8MFMAType0EEvPKT_PKT0_S8_ifPKiSA_SA_iPKfiiiPfSD_PS3_PT2_iSC_SC_,comdat
	.protected	_Z39paged_attention_ll4mi_QKV_mfma16_kernelIDF16_hLN4vllm18Fp8KVCacheDataTypeE1EhLi32ELi128ELi256ELb0ELi1EL8MFMAType0EEvPKT_PKT0_S8_ifPKiSA_SA_iPKfiiiPfSD_PS3_PT2_iSC_SC_ ; -- Begin function _Z39paged_attention_ll4mi_QKV_mfma16_kernelIDF16_hLN4vllm18Fp8KVCacheDataTypeE1EhLi32ELi128ELi256ELb0ELi1EL8MFMAType0EEvPKT_PKT0_S8_ifPKiSA_SA_iPKfiiiPfSD_PS3_PT2_iSC_SC_
	.globl	_Z39paged_attention_ll4mi_QKV_mfma16_kernelIDF16_hLN4vllm18Fp8KVCacheDataTypeE1EhLi32ELi128ELi256ELb0ELi1EL8MFMAType0EEvPKT_PKT0_S8_ifPKiSA_SA_iPKfiiiPfSD_PS3_PT2_iSC_SC_
	.p2align	8
	.type	_Z39paged_attention_ll4mi_QKV_mfma16_kernelIDF16_hLN4vllm18Fp8KVCacheDataTypeE1EhLi32ELi128ELi256ELb0ELi1EL8MFMAType0EEvPKT_PKT0_S8_ifPKiSA_SA_iPKfiiiPfSD_PS3_PT2_iSC_SC_,@function
_Z39paged_attention_ll4mi_QKV_mfma16_kernelIDF16_hLN4vllm18Fp8KVCacheDataTypeE1EhLi32ELi128ELi256ELb0ELi1EL8MFMAType0EEvPKT_PKT0_S8_ifPKiSA_SA_iPKfiiiPfSD_PS3_PT2_iSC_SC_: ; @_Z39paged_attention_ll4mi_QKV_mfma16_kernelIDF16_hLN4vllm18Fp8KVCacheDataTypeE1EhLi32ELi128ELi256ELb0ELi1EL8MFMAType0EEvPKT_PKT0_S8_ifPKiSA_SA_iPKfiiiPfSD_PS3_PT2_iSC_SC_
; %bb.0:
	s_load_b64 s[4:5], s[0:1], 0x30
	s_mov_b32 s34, s13
	s_waitcnt lgkmcnt(0)
	s_cmp_lg_u64 s[4:5], 0
	s_cselect_b32 s6, -1, 0
	s_ashr_i32 s35, s13, 31
	s_cmp_eq_u64 s[4:5], 0
	s_cbranch_scc1 .LBB1310_3
; %bb.1:
	s_lshl_b64 s[2:3], s[34:35], 2
	s_delay_alu instid0(SALU_CYCLE_1) | instskip(SKIP_4) | instid1(SALU_CYCLE_1)
	s_add_u32 s2, s4, s2
	s_addc_u32 s3, s5, s3
	s_load_b64 s[2:3], s[2:3], 0x0
	s_waitcnt lgkmcnt(0)
	s_sub_i32 s2, s3, s2
	s_cmp_eq_u32 s2, 1
	s_cselect_b32 s2, -1, 0
	s_delay_alu instid0(SALU_CYCLE_1)
	s_and_not1_b32 vcc_lo, exec_lo, s2
	s_cbranch_vccz .LBB1310_4
.LBB1310_2:
	s_endpgm
.LBB1310_3:
.LBB1310_4:
	s_load_b64 s[2:3], s[0:1], 0x28
	s_lshl_b64 s[8:9], s[34:35], 2
	s_waitcnt lgkmcnt(0)
	s_add_u32 s2, s2, s8
	s_addc_u32 s3, s3, s9
	s_lshl_b32 s12, s14, 8
	s_load_b32 s33, s[2:3], 0x0
	s_waitcnt lgkmcnt(0)
	s_cmp_ge_i32 s12, s33
	s_cbranch_scc1 .LBB1310_2
; %bb.5:
	s_clause 0x1
	s_load_b128 s[56:59], s[0:1], 0x8
	s_load_b64 s[2:3], s[0:1], 0x20
	s_and_not1_b32 vcc_lo, exec_lo, s6
	s_mov_b64 s[6:7], s[34:35]
	s_cbranch_vccnz .LBB1310_7
; %bb.6:
	s_add_u32 s4, s4, s8
	s_addc_u32 s5, s5, s9
	s_load_b32 s6, s[4:5], 0x0
.LBB1310_7:
	s_load_b128 s[52:55], s[0:1], 0x48
	v_and_b32_e32 v65, 15, v0
	s_mov_b32 s13, exec_lo
                                        ; implicit-def: $sgpr36
                                        ; implicit-def: $sgpr24
                                        ; implicit-def: $sgpr16
                                        ; implicit-def: $sgpr4
	s_delay_alu instid0(VALU_DEP_1)
	v_cmpx_eq_u32_e32 0, v65
	s_cbranch_execz .LBB1310_9
; %bb.8:
	s_load_b64 s[4:5], s[0:1], 0x0
	s_waitcnt lgkmcnt(0)
	s_mul_hi_i32 s7, s6, s52
	s_mul_i32 s6, s6, s52
	s_delay_alu instid0(SALU_CYCLE_1) | instskip(NEXT) | instid1(SALU_CYCLE_1)
	s_lshl_b64 s[6:7], s[6:7], 1
	s_add_u32 s6, s4, s6
	s_addc_u32 s7, s5, s7
	s_lshl_b32 s4, s15, 7
	s_delay_alu instid0(SALU_CYCLE_1) | instskip(NEXT) | instid1(SALU_CYCLE_1)
	s_ashr_i32 s5, s4, 31
	s_lshl_b64 s[4:5], s[4:5], 1
	s_delay_alu instid0(SALU_CYCLE_1)
	s_add_u32 s4, s6, s4
	s_addc_u32 s5, s7, s5
	s_clause 0x3
	s_load_b256 s[36:43], s[4:5], 0x0
	s_load_b256 s[24:31], s[4:5], 0x40
	;; [unrolled: 1-line block ×4, first 2 shown]
.LBB1310_9:
	s_or_b32 exec_lo, exec_lo, s13
	v_and_b32_e32 v1, 0xef, v0
	s_add_i32 s13, s33, 31
	s_load_b32 s44, s[0:1], 0x38
	s_ashr_i32 s35, s13, 31
	s_waitcnt lgkmcnt(0)
	s_mul_i32 s62, s15, s54
	v_add_nc_u32_e32 v1, s12, v1
	s_lshr_b32 s35, s35, 27
	v_lshlrev_b32_e32 v73, 4, v65
	s_add_i32 s13, s13, s35
	s_load_b32 s35, s[0:1], 0x1c
	v_ashrrev_i32_e32 v2, 31, v1
	v_or_b32_e32 v3, 16, v1
	s_ashr_i32 s13, s13, 5
	v_cmp_gt_i32_e32 vcc_lo, s33, v1
	s_add_i32 s13, s13, -1
	v_lshrrev_b32_e32 v2, 27, v2
	v_dual_mov_b32 v105, s31 :: v_dual_mov_b32 v100, s26
	v_dual_mov_b32 v103, s29 :: v_dual_mov_b32 v98, s24
	s_delay_alu instid0(VALU_DEP_3) | instskip(SKIP_3) | instid1(VALU_DEP_2)
	v_dual_mov_b32 v101, s27 :: v_dual_add_nc_u32 v4, v1, v2
	s_mul_i32 s44, s34, s44
	v_mov_b32_e32 v99, s25
	s_ashr_i32 s45, s44, 31
	v_ashrrev_i32_e32 v4, 5, v4
	v_add_nc_u32_e32 v2, v3, v2
	s_lshl_b64 s[44:45], s[44:45], 2
	v_dual_mov_b32 v113, s23 :: v_dual_mov_b32 v106, s16
	s_delay_alu instid0(VALU_DEP_3) | instskip(NEXT) | instid1(VALU_DEP_3)
	v_cndmask_b32_e32 v1, s13, v4, vcc_lo
	v_ashrrev_i32_e32 v2, 5, v2
	v_cmp_gt_i32_e32 vcc_lo, s33, v3
	s_add_u32 s61, s2, s44
	s_addc_u32 s60, s3, s45
	s_ashr_i32 s63, s62, 31
	s_add_u32 s44, s56, s62
	v_cndmask_b32_e32 v3, s13, v2, vcc_lo
	v_ashrrev_i32_e32 v2, 31, v1
	s_addc_u32 s45, s57, s63
	s_lshl_b32 s2, s14, 3
	v_dual_mov_b32 v108, s18 :: v_dual_lshlrev_b32 v41, 5, v65
	v_ashrrev_i32_e32 v4, 31, v3
	v_lshlrev_b64 v[1:2], 2, v[1:2]
	s_ashr_i32 s3, s2, 31
	v_mov_b32_e32 v112, s22
	s_lshl_b64 s[2:3], s[2:3], 2
	v_lshlrev_b64 v[3:4], 2, v[3:4]
	s_add_u32 s2, s61, s2
	v_add_co_u32 v1, vcc_lo, s61, v1
	v_add_co_ci_u32_e32 v2, vcc_lo, s60, v2, vcc_lo
	s_delay_alu instid0(VALU_DEP_3) | instskip(NEXT) | instid1(VALU_DEP_4)
	v_add_co_u32 v3, vcc_lo, s61, v3
	v_add_co_ci_u32_e32 v4, vcc_lo, s60, v4, vcc_lo
	s_clause 0x1
	global_load_b32 v5, v[1:2], off
	global_load_b32 v6, v[3:4], off
	s_addc_u32 s3, s60, s3
	s_or_b32 s46, s12, 32
	v_mov_b32_e32 v110, s20
	s_ashr_i32 s47, s46, 5
	s_cmp_lt_i32 s46, s33
	v_lshrrev_b32_e32 v66, 5, v0
	s_cselect_b32 s46, s47, s13
	v_mov_b32_e32 v104, s30
	s_ashr_i32 s47, s46, 31
	v_mov_b32_e32 v102, s28
	s_lshl_b64 s[46:47], s[46:47], 2
	v_lshl_or_b32 v41, v66, 9, v41
	s_add_u32 s46, s61, s46
	s_addc_u32 s47, s60, s47
	s_or_b32 s48, s12, 64
	s_delay_alu instid0(SALU_CYCLE_1) | instskip(SKIP_2) | instid1(SALU_CYCLE_1)
	s_ashr_i32 s49, s48, 5
	s_cmp_lt_i32 s48, s33
	s_cselect_b32 s48, s49, s13
	s_ashr_i32 s49, s48, 31
	s_delay_alu instid0(SALU_CYCLE_1) | instskip(NEXT) | instid1(SALU_CYCLE_1)
	s_lshl_b64 s[48:49], s[48:49], 2
	s_add_u32 s48, s61, s48
	s_addc_u32 s49, s60, s49
	s_or_b32 s50, s12, 0x60
	s_delay_alu instid0(SALU_CYCLE_1) | instskip(SKIP_2) | instid1(SALU_CYCLE_1)
	s_ashr_i32 s51, s50, 5
	s_cmp_lt_i32 s50, s33
	s_cselect_b32 s50, s51, s13
	s_ashr_i32 s51, s50, 31
	s_delay_alu instid0(SALU_CYCLE_1) | instskip(NEXT) | instid1(SALU_CYCLE_1)
	s_lshl_b64 s[50:51], s[50:51], 2
	;; [unrolled: 10-line block ×4, first 2 shown]
	s_add_u32 s66, s61, s54
	s_addc_u32 s67, s60, s55
	s_clause 0x5
	s_load_b32 s56, s[2:3], 0x0
	s_load_b32 s3, s[46:47], 0x0
	;; [unrolled: 1-line block ×6, first 2 shown]
	s_or_b32 s24, s12, 0xc0
	s_delay_alu instid0(SALU_CYCLE_1)
	s_ashr_i32 s25, s24, 5
	s_cmp_lt_i32 s24, s33
	s_waitcnt vmcnt(1)
	v_mad_i64_i32 v[1:2], null, v5, s53, s[44:45]
	s_waitcnt vmcnt(0)
	v_mad_i64_i32 v[3:4], null, v6, s53, s[44:45]
	s_mov_b32 s44, 0
	s_delay_alu instid0(SALU_CYCLE_1) | instskip(SKIP_1) | instid1(VALU_DEP_2)
	s_mov_b32 s45, s44
	s_mov_b32 s46, s44
	v_add_co_u32 v33, vcc_lo, v1, v73
	s_delay_alu instid0(VALU_DEP_3) | instskip(NEXT) | instid1(VALU_DEP_3)
	v_add_co_ci_u32_e32 v34, vcc_lo, 0, v2, vcc_lo
	v_add_co_u32 v35, vcc_lo, v3, v73
	s_delay_alu instid0(VALU_DEP_4)
	v_add_co_ci_u32_e32 v36, vcc_lo, 0, v4, vcc_lo
	s_clause 0xf
	global_load_b128 v[1:4], v[33:34], off
	global_load_b128 v[5:8], v[33:34], off offset:512
	global_load_b128 v[9:12], v[35:36], off offset:256
	;; [unrolled: 1-line block ×15, first 2 shown]
	v_mov_b32_e32 v33, s36
	v_mov_b32_e32 v37, s40
	;; [unrolled: 1-line block ×3, first 2 shown]
	s_mov_b32 s47, s44
	s_mov_b32 s48, s44
	s_mov_b32 s49, s44
	s_mov_b32 s50, s44
	s_mov_b32 s51, s44
	v_mov_b32_e32 v111, s21
	v_mov_b32_e32 v109, s19
	;; [unrolled: 1-line block ×3, first 2 shown]
	s_cselect_b32 s16, s25, s13
	v_dual_mov_b32 v121, s51 :: v_dual_mov_b32 v114, s44
	s_ashr_i32 s17, s16, 31
	v_mov_b32_e32 v34, s37
	s_lshl_b64 s[16:17], s[16:17], 2
	v_dual_mov_b32 v35, s38 :: v_dual_mov_b32 v40, s43
	s_add_u32 s16, s61, s16
	s_addc_u32 s17, s60, s17
	s_or_b32 s18, s12, 0xe0
	v_mov_b32_e32 v36, s39
	s_ashr_i32 s19, s18, 5
	s_cmp_lt_i32 s18, s33
	v_mov_b32_e32 v38, s41
	s_cselect_b32 s18, s19, s13
	v_mov_b32_e32 v120, s50
	s_ashr_i32 s19, s18, 31
	v_mov_b32_e32 v119, s49
	s_lshl_b64 s[18:19], s[18:19], 2
	v_mov_b32_e32 v118, s48
	s_add_u32 s18, s61, s18
	s_addc_u32 s19, s60, s19
	s_add_u32 s13, s58, s62
	s_addc_u32 s20, s59, s63
	v_add_co_u32 v67, s13, s13, v41
	s_delay_alu instid0(VALU_DEP_1)
	v_add_co_ci_u32_e64 v68, null, s20, 0, s13
	s_clause 0x1
	s_load_b32 s13, s[16:17], 0x0
	s_load_b32 s16, s[18:19], 0x0
	v_dual_mov_b32 v117, s47 :: v_dual_mov_b32 v116, s46
	s_waitcnt lgkmcnt(0)
	v_mad_i64_i32 v[41:42], null, s56, s53, v[67:68]
	v_mad_i64_i32 v[71:72], null, s54, s53, v[67:68]
	v_mov_b32_e32 v115, s45
	v_mad_i64_i32 v[45:46], null, s3, s53, v[67:68]
	v_mad_i64_i32 v[69:70], null, s52, s53, v[67:68]
	;; [unrolled: 1-line block ×4, first 2 shown]
	s_waitcnt vmcnt(14)
	v_wmma_f32_16x16x16_f16 v[122:129], v[1:8], v[33:40], v[114:121]
	s_waitcnt vmcnt(12)
	v_wmma_f32_16x16x16_f16 v[114:121], v[9:16], v[33:40], v[114:121]
	s_clause 0x7
	global_load_b128 v[49:52], v[41:42], off
	global_load_b128 v[53:56], v[41:42], off offset:16
	global_load_b128 v[41:44], v[45:46], off
	global_load_b128 v[45:48], v[45:46], off offset:16
	;; [unrolled: 2-line block ×4, first 2 shown]
	v_mad_i64_i32 v[71:72], null, s13, s53, v[67:68]
	v_mad_i64_i32 v[69:70], null, s2, s53, v[67:68]
	s_waitcnt vmcnt(18)
	v_wmma_f32_16x16x16_f16 v[122:129], v[17:24], v[98:105], v[122:129]
	s_waitcnt vmcnt(16)
	v_wmma_f32_16x16x16_f16 v[114:121], v[25:32], v[98:105], v[114:121]
	s_clause 0x3
	global_load_b128 v[9:12], v[130:131], off
	global_load_b128 v[13:16], v[130:131], off offset:16
	global_load_b128 v[17:20], v[69:70], off
	global_load_b128 v[21:24], v[69:70], off offset:16
	s_waitcnt vmcnt(18)
	v_wmma_f32_16x16x16_f16 v[122:129], v[57:64], v[106:113], v[122:129]
	s_clause 0x3
	global_load_b128 v[25:28], v[71:72], off
	global_load_b128 v[29:32], v[71:72], off offset:16
	global_load_b128 v[57:60], v[132:133], off
	global_load_b128 v[61:64], v[132:133], off offset:16
	v_mbcnt_lo_u32_b32 v68, -1, 0
	v_and_b32_e32 v67, 0xe0, v0
	v_mov_b32_e32 v105, s11
	s_waitcnt vmcnt(20)
	v_wmma_f32_16x16x16_f16 v[114:121], v[74:81], v[106:113], v[114:121]
	v_bfe_u32 v74, v0, 4, 1
	v_xor_b32_e32 v69, 16, v68
	v_mov_b32_e32 v98, s4
	v_dual_mov_b32 v104, s10 :: v_dual_mov_b32 v103, s9
	v_mov_b32_e32 v102, s8
	s_delay_alu instid0(VALU_DEP_4) | instskip(SKIP_3) | instid1(VALU_DEP_3)
	v_cmp_gt_i32_e32 vcc_lo, 32, v69
	v_add_nc_u32_e32 v67, s12, v67
	v_dual_mov_b32 v101, s7 :: v_dual_mov_b32 v100, s6
	v_dual_mov_b32 v99, s5 :: v_dual_cndmask_b32 v68, v68, v69
	v_or_b32_e32 v67, v67, v74
	s_waitcnt vmcnt(0)
	s_barrier
	s_delay_alu instid0(VALU_DEP_2)
	v_wmma_f32_16x16x16_f16 v[122:129], v[82:89], v[98:105], v[122:129]
	buffer_gl0_inv
	v_or_b32_e32 v69, 2, v67
	v_or_b32_e32 v70, 4, v67
	v_or_b32_e32 v71, 6, v67
	v_mul_f32_e32 v86, s35, v129
	v_mul_f32_e32 v88, s35, v127
	v_wmma_f32_16x16x16_f16 v[114:121], v[90:97], v[98:105], v[114:121]
	v_dual_mul_f32 v92, s35, v123 :: v_dual_mul_f32 v93, s35, v122
	v_cmp_gt_i32_e32 vcc_lo, s33, v69
	v_cmp_gt_i32_e64 s2, s33, v67
	v_or_b32_e32 v72, 8, v67
	v_or_b32_e32 v75, 10, v67
	v_dual_mul_f32 v90, s35, v125 :: v_dual_mul_f32 v91, s35, v124
	v_mul_f32_e32 v98, s35, v117
	v_cndmask_b32_e64 v93, 0xff7fffff, v93, s2
	v_cndmask_b32_e32 v92, 0xff7fffff, v92, vcc_lo
	v_cmp_gt_i32_e64 s3, s33, v70
	v_cmp_gt_i32_e64 s4, s33, v71
	v_or_b32_e32 v76, 12, v67
	v_or_b32_e32 v77, 14, v67
	v_dual_mul_f32 v89, s35, v126 :: v_dual_mul_f32 v96, s35, v119
	v_cndmask_b32_e64 v70, 0xff7fffff, v91, s3
	v_cndmask_b32_e64 v71, 0xff7fffff, v90, s4
	v_max3_f32 v90, v93, 0xff7fffff, v92
	v_cmp_gt_i32_e64 s5, s33, v72
	v_cmp_gt_i32_e64 s6, s33, v75
	v_or_b32_e32 v78, 16, v67
	v_or_b32_e32 v79, 18, v67
	v_dual_mul_f32 v87, s35, v128 :: v_dual_mul_f32 v94, s35, v121
	v_cndmask_b32_e64 v72, 0xff7fffff, v89, s5
	v_cndmask_b32_e64 v75, 0xff7fffff, v88, s6
	v_max3_f32 v70, v90, v70, v71
	v_cmp_gt_i32_e64 s7, s33, v76
	v_cmp_gt_i32_e64 s8, s33, v77
	v_or_b32_e32 v80, 20, v67
	v_or_b32_e32 v81, 22, v67
	;; [unrolled: 1-line block ×6, first 2 shown]
	v_mul_f32_e32 v69, s35, v115
	v_mul_f32_e32 v67, s35, v114
	v_cndmask_b32_e64 v71, 0xff7fffff, v87, s7
	v_cndmask_b32_e64 v76, 0xff7fffff, v86, s8
	v_max3_f32 v70, v70, v72, v75
	v_cmp_gt_i32_e64 s9, s33, v78
	v_cmp_gt_i32_e64 s10, s33, v79
	v_mul_f32_e32 v99, s35, v116
	v_cmp_gt_i32_e64 s11, s33, v80
	v_max3_f32 v70, v70, v71, v76
	v_cndmask_b32_e64 v67, 0xff7fffff, v67, s9
	v_cndmask_b32_e64 v69, 0xff7fffff, v69, s10
	v_cmp_gt_i32_e64 s12, s33, v81
	v_mul_f32_e32 v97, s35, v118
	v_cndmask_b32_e64 v71, 0xff7fffff, v99, s11
	v_cmp_gt_i32_e64 s13, s33, v82
	v_max3_f32 v67, v70, v67, v69
	v_cndmask_b32_e64 v72, 0xff7fffff, v98, s12
	v_cmp_gt_i32_e64 s16, s33, v83
	v_mul_f32_e32 v95, s35, v120
	v_cndmask_b32_e64 v69, 0xff7fffff, v97, s13
	v_cmp_gt_i32_e64 s17, s33, v84
	v_max3_f32 v67, v67, v71, v72
	v_cndmask_b32_e64 v70, 0xff7fffff, v96, s16
	v_cmp_gt_i32_e64 s18, s33, v85
	v_lshlrev_b32_e32 v75, 2, v68
	v_cndmask_b32_e64 v71, 0xff7fffff, v95, s17
	s_delay_alu instid0(VALU_DEP_4) | instskip(NEXT) | instid1(VALU_DEP_4)
	v_max3_f32 v67, v67, v69, v70
	v_cndmask_b32_e64 v72, 0xff7fffff, v94, s18
	s_delay_alu instid0(VALU_DEP_1) | instskip(SKIP_3) | instid1(VALU_DEP_1)
	v_max3_f32 v67, v67, v71, v72
	ds_bpermute_b32 v68, v75, v67
	s_waitcnt lgkmcnt(0)
	v_max_f32_e32 v68, v68, v68
	v_max_f32_e32 v67, v67, v68
	s_delay_alu instid0(VALU_DEP_1) | instskip(SKIP_4) | instid1(VALU_DEP_4)
	v_fma_f32 v68, s35, v122, -v67
	v_fma_f32 v69, s35, v123, -v67
	;; [unrolled: 1-line block ×5, first 2 shown]
	v_dual_mul_f32 v68, 0x3fb8aa3b, v68 :: v_dual_mul_f32 v69, 0x3fb8aa3b, v69
	s_delay_alu instid0(VALU_DEP_4) | instskip(NEXT) | instid1(VALU_DEP_3)
	v_mul_f32_e32 v72, 0x3fb8aa3b, v72
	v_dual_mul_f32 v70, 0x3fb8aa3b, v70 :: v_dual_mul_f32 v71, 0x3fb8aa3b, v71
	s_delay_alu instid0(VALU_DEP_3) | instskip(NEXT) | instid1(VALU_DEP_3)
	v_exp_f32_e32 v68, v68
	v_exp_f32_e32 v69, v69
	s_delay_alu instid0(VALU_DEP_2) | instskip(NEXT) | instid1(VALU_DEP_1)
	v_exp_f32_e32 v79, v72
	v_exp_f32_e32 v76, v70
	;; [unrolled: 1-line block ×3, first 2 shown]
	v_cndmask_b32_e64 v70, 0, v68, s2
	s_delay_alu instid0(TRANS32_DEP_3)
	v_cndmask_b32_e64 v83, 0, v79, s5
	v_cndmask_b32_e32 v69, 0, v69, vcc_lo
	s_waitcnt_depctr 0xfff
	v_cndmask_b32_e64 v72, 0, v76, s3
	v_add_f32_e32 v77, 0, v70
	v_cndmask_b32_e64 v71, 0, v71, s4
	s_mov_b32 s3, exec_lo
	s_delay_alu instid0(VALU_DEP_2) | instskip(NEXT) | instid1(VALU_DEP_1)
	v_add_f32_e32 v76, v77, v69
	v_add_f32_e32 v76, v76, v72
	s_delay_alu instid0(VALU_DEP_1)
	v_add_f32_e32 v76, v76, v71
	v_fma_f32 v68, s35, v127, -v67
	v_fma_f32 v78, s35, v128, -v67
	v_fma_f32 v77, s35, v129, -v67
	v_fma_f32 v80, s35, v114, -v67
	v_fma_f32 v79, s35, v115, -v67
	v_mul_f32_e32 v68, 0x3fb8aa3b, v68
	v_mul_f32_e32 v78, 0x3fb8aa3b, v78
	s_delay_alu instid0(VALU_DEP_4) | instskip(NEXT) | instid1(VALU_DEP_3)
	v_mul_f32_e32 v80, 0x3fb8aa3b, v80
	v_exp_f32_e32 v68, v68
	s_delay_alu instid0(VALU_DEP_2) | instskip(NEXT) | instid1(VALU_DEP_1)
	v_exp_f32_e32 v78, v78
	v_exp_f32_e32 v80, v80
	s_delay_alu instid0(TRANS32_DEP_3)
	v_cndmask_b32_e64 v82, 0, v68, s6
	v_add_f32_e32 v68, v76, v83
	v_fma_f32 v76, s35, v116, -v67
	v_mul_f32_e32 v77, 0x3fb8aa3b, v77
	s_waitcnt_depctr 0xfff
	v_cndmask_b32_e64 v85, 0, v78, s7
	v_fma_f32 v78, s35, v117, -v67
	v_add_f32_e32 v68, v68, v82
	v_mul_f32_e32 v76, 0x3fb8aa3b, v76
	v_exp_f32_e32 v77, v77
	v_mul_f32_e32 v79, 0x3fb8aa3b, v79
	v_cndmask_b32_e64 v87, 0, v80, s9
	v_add_f32_e32 v68, v68, v85
	v_exp_f32_e32 v76, v76
	v_fma_f32 v80, s35, v119, -v67
	v_exp_f32_e32 v79, v79
	s_delay_alu instid0(TRANS32_DEP_3) | instskip(SKIP_3) | instid1(TRANS32_DEP_2)
	v_cndmask_b32_e64 v84, 0, v77, s8
	v_fma_f32 v77, s35, v118, -v67
	v_mul_f32_e32 v78, 0x3fb8aa3b, v78
	v_mul_f32_e32 v80, 0x3fb8aa3b, v80
	v_cndmask_b32_e64 v89, 0, v76, s11
	s_delay_alu instid0(VALU_DEP_4) | instskip(NEXT) | instid1(VALU_DEP_4)
	v_mul_f32_e32 v77, 0x3fb8aa3b, v77
	v_exp_f32_e32 v78, v78
	s_delay_alu instid0(TRANS32_DEP_2) | instskip(SKIP_1) | instid1(VALU_DEP_3)
	v_cndmask_b32_e64 v86, 0, v79, s10
	v_fma_f32 v79, s35, v120, -v67
	v_exp_f32_e32 v77, v77
	s_delay_alu instid0(VALU_DEP_1) | instskip(SKIP_1) | instid1(TRANS32_DEP_3)
	v_mul_f32_e32 v76, 0x3fb8aa3b, v79
	v_exp_f32_e32 v79, v80
	v_cndmask_b32_e64 v88, 0, v78, s12
	v_fma_f32 v78, s35, v121, -v67
	v_add_f32_e32 v68, v68, v84
	v_exp_f32_e32 v76, v76
	s_delay_alu instid0(TRANS32_DEP_3) | instskip(NEXT) | instid1(VALU_DEP_2)
	v_cndmask_b32_e64 v91, 0, v77, s13
	v_dual_mul_f32 v77, 0x3fb8aa3b, v78 :: v_dual_add_f32 v68, v68, v87
	s_delay_alu instid0(TRANS32_DEP_2) | instskip(NEXT) | instid1(VALU_DEP_2)
	v_cndmask_b32_e64 v90, 0, v79, s16
	v_exp_f32_e32 v77, v77
	s_delay_alu instid0(VALU_DEP_2) | instskip(SKIP_4) | instid1(VALU_DEP_2)
	v_add_f32_e32 v68, v68, v86
	s_waitcnt_depctr 0xfff
	v_cndmask_b32_e64 v93, 0, v76, s17
	v_and_b32_e32 v76, 31, v0
	v_add_f32_e32 v68, v68, v89
	v_cmp_lt_u32_e64 s2, 15, v76
	v_cndmask_b32_e64 v92, 0, v77, s18
	s_delay_alu instid0(VALU_DEP_3) | instskip(NEXT) | instid1(VALU_DEP_1)
	v_add_f32_e32 v68, v68, v88
	v_add_f32_e32 v68, v68, v91
	s_delay_alu instid0(VALU_DEP_1) | instskip(NEXT) | instid1(VALU_DEP_1)
	v_add_f32_e32 v68, v68, v90
	v_add_f32_e32 v68, v68, v93
	s_delay_alu instid0(VALU_DEP_1)
	v_add_f32_e32 v68, v68, v92
	ds_bpermute_b32 v75, v75, v68
	v_cmpx_gt_u32_e32 16, v76
	s_cbranch_execz .LBB1310_11
; %bb.10:
	v_mul_u32_u24_e32 v76, 0x44, v66
	s_delay_alu instid0(VALU_DEP_1) | instskip(SKIP_1) | instid1(VALU_DEP_1)
	v_lshl_add_u32 v76, v65, 2, v76
	s_waitcnt lgkmcnt(0)
	v_dual_add_f32 v68, v68, v75 :: v_dual_add_nc_u32 v75, 0x4000, v76
	ds_store_2addr_b32 v75, v67, v68 offset1:136
.LBB1310_11:
	s_or_b32 exec_lo, exec_lo, s3
	v_lshlrev_b32_e32 v67, 2, v65
	s_load_b64 s[36:37], s[0:1], 0x94
	s_waitcnt lgkmcnt(0)
	s_barrier
	buffer_gl0_inv
	v_add_nc_u32_e32 v81, 0x4000, v67
	v_cmp_eq_u32_e32 vcc_lo, 1, v66
	v_cmp_eq_u32_e64 s3, 2, v66
	v_cmp_eq_u32_e64 s5, 3, v66
	;; [unrolled: 1-line block ×3, first 2 shown]
	ds_load_2addr_b32 v[75:76], v81 offset1:17
	ds_load_2addr_b32 v[77:78], v81 offset0:34 offset1:51
	ds_load_2addr_b32 v[79:80], v81 offset0:68 offset1:85
	;; [unrolled: 1-line block ×4, first 2 shown]
	v_cmp_eq_u32_e64 s7, 5, v66
	v_cmp_eq_u32_e64 s4, 6, v66
	s_waitcnt lgkmcnt(4)
	v_max3_f32 v67, v75, 0xff7fffff, v76
	s_waitcnt lgkmcnt(3)
	s_delay_alu instid0(VALU_DEP_1) | instskip(SKIP_1) | instid1(VALU_DEP_1)
	v_max3_f32 v67, v67, v77, v78
	s_waitcnt lgkmcnt(2)
	v_max3_f32 v67, v67, v79, v80
	s_waitcnt lgkmcnt(1)
	s_delay_alu instid0(VALU_DEP_1) | instskip(NEXT) | instid1(VALU_DEP_1)
	v_max3_f32 v67, v67, v94, v95
	v_sub_f32_e32 v68, v75, v67
	s_delay_alu instid0(VALU_DEP_1) | instskip(NEXT) | instid1(VALU_DEP_1)
	v_dual_sub_f32 v79, v79, v67 :: v_dual_mul_f32 v68, 0x3fb8aa3b, v68
	v_mul_f32_e32 v102, 0x3fb8aa3b, v79
	s_delay_alu instid0(VALU_DEP_2) | instskip(SKIP_1) | instid1(VALU_DEP_1)
	v_exp_f32_e32 v99, v68
	v_sub_f32_e32 v68, v78, v67
	v_dual_sub_f32 v98, v76, v67 :: v_dual_mul_f32 v101, 0x3fb8aa3b, v68
	s_delay_alu instid0(VALU_DEP_1)
	v_dual_sub_f32 v77, v77, v67 :: v_dual_mul_f32 v98, 0x3fb8aa3b, v98
	s_waitcnt lgkmcnt(0)
	s_waitcnt_depctr 0xfff
	v_fma_f32 v68, v99, v96, 0
	v_sub_f32_e32 v96, v80, v67
	v_mul_f32_e32 v100, 0x3fb8aa3b, v77
	v_exp_f32_e32 v98, v98
	v_exp_f32_e32 v101, v101
	s_delay_alu instid0(VALU_DEP_1) | instskip(NEXT) | instid1(TRANS32_DEP_3)
	v_exp_f32_e32 v100, v100
	v_fmac_f32_e32 v68, v98, v97
	ds_load_2addr_b32 v[75:76], v81 offset0:170 offset1:187
	ds_load_2addr_b32 v[77:78], v81 offset0:204 offset1:221
	ds_load_2addr_b32 v[79:80], v81 offset0:238 offset1:255
	v_dual_sub_f32 v81, v94, v67 :: v_dual_mul_f32 v94, 0x3fb8aa3b, v96
	v_exp_f32_e32 v96, v102
	s_waitcnt lgkmcnt(0)
	s_barrier
	s_delay_alu instid0(VALU_DEP_1)
	v_mul_f32_e32 v81, 0x3fb8aa3b, v81
	v_exp_f32_e32 v94, v94
	buffer_gl0_inv
	v_fmac_f32_e32 v68, v100, v75
	v_sub_f32_e32 v75, v95, v67
	v_exp_f32_e32 v95, v81
	s_delay_alu instid0(VALU_DEP_1) | instskip(SKIP_1) | instid1(VALU_DEP_2)
	v_dual_fmac_f32 v68, v101, v76 :: v_dual_mul_f32 v75, 0x3fb8aa3b, v75
	v_cndmask_b32_e32 v76, v99, v98, vcc_lo
	v_fmac_f32_e32 v68, v96, v77
	s_delay_alu instid0(VALU_DEP_3) | instskip(NEXT) | instid1(VALU_DEP_1)
	v_exp_f32_e32 v97, v75
	v_fmac_f32_e32 v68, v94, v78
	s_waitcnt_depctr 0xfff
	v_dual_fmac_f32 v68, v95, v79 :: v_dual_lshlrev_b32 v79, 6, v65
	s_delay_alu instid0(VALU_DEP_1) | instskip(NEXT) | instid1(VALU_DEP_2)
	v_dual_mov_b32 v65, 0 :: v_dual_fmac_f32 v68, v97, v80
	v_lshl_or_b32 v81, v66, 11, v79
	s_delay_alu instid0(VALU_DEP_2) | instskip(NEXT) | instid1(VALU_DEP_1)
	v_add_f32_e32 v80, 0x358637bd, v68
	v_div_scale_f32 v102, null, v80, v80, 1.0
	v_div_scale_f32 v98, vcc_lo, 1.0, v80, 1.0
	s_delay_alu instid0(VALU_DEP_2) | instskip(SKIP_2) | instid1(VALU_DEP_1)
	v_rcp_f32_e32 v103, v102
	s_waitcnt_depctr 0xfff
	v_fma_f32 v75, -v102, v103, 1.0
	v_fmac_f32_e32 v103, v75, v103
	v_cndmask_b32_e64 v75, v76, v100, s3
	v_cmp_eq_u32_e64 s3, 7, v66
	s_delay_alu instid0(VALU_DEP_3) | instskip(NEXT) | instid1(VALU_DEP_3)
	v_mul_f32_e32 v99, v98, v103
	v_cndmask_b32_e64 v76, v75, v101, s5
	v_lshlrev_b32_e32 v75, 2, v74
	s_delay_alu instid0(VALU_DEP_3) | instskip(NEXT) | instid1(VALU_DEP_3)
	v_fma_f32 v77, -v102, v99, v98
	v_cndmask_b32_e64 v96, v76, v96, s6
	s_delay_alu instid0(VALU_DEP_3)
	v_or_b32_e32 v78, 1, v75
	v_or_b32_e32 v76, 2, v75
	v_cmp_eq_u32_e64 s5, 1, v75
	v_fmac_f32_e32 v99, v77, v103
	v_cndmask_b32_e64 v66, v96, v94, s7
	v_or_b32_e32 v77, 3, v75
	v_cmp_eq_u32_e64 s9, 1, v78
	v_cmp_eq_u32_e64 s10, 1, v76
	v_fma_f32 v94, -v102, v99, v98
	v_cndmask_b32_e64 v66, v66, v95, s4
	v_cmp_eq_u32_e64 s11, 1, v77
	v_cmp_eq_u32_e64 s6, 2, v75
	;; [unrolled: 1-line block ×3, first 2 shown]
	v_div_fmas_f32 v94, v94, v103, v99
	v_cndmask_b32_e64 v66, v66, v97, s3
	v_cmp_eq_u32_e64 s17, 2, v77
	v_cmp_eq_u32_e32 vcc_lo, 3, v75
	v_cmp_eq_u32_e64 s13, 3, v78
	v_div_fixup_f32 v94, v94, v80, 1.0
	v_lshl_or_b32 v80, v74, 4, v81
	v_cmp_eq_u32_e64 s16, 2, v76
	v_cmp_eq_u32_e64 s19, 3, v77
	;; [unrolled: 1-line block ×3, first 2 shown]
	v_mul_f32_e32 v66, v66, v94
	v_cmp_eq_u32_e64 s18, 3, v76
	v_cmp_eq_u32_e64 s20, 4, v78
	;; [unrolled: 1-line block ×4, first 2 shown]
	v_fma_mixlo_f16 v94, v66, v70, 0
	v_fma_mixlo_f16 v95, v66, v72, 0
	;; [unrolled: 1-line block ×8, first 2 shown]
	v_fma_mixhi_f16 v94, v66, v69, 0
	v_fma_mixhi_f16 v95, v66, v71, 0
	;; [unrolled: 1-line block ×8, first 2 shown]
	ds_store_b128 v80, v[94:97]
	ds_store_b128 v80, v[98:101] offset:1024
	s_waitcnt lgkmcnt(0)
	s_barrier
	buffer_gl0_inv
	ds_load_b128 v[69:72], v81
	ds_load_b128 v[82:85], v81 offset:16
	ds_load_b128 v[86:89], v81 offset:1024
	;; [unrolled: 1-line block ×3, first 2 shown]
	v_cmp_eq_u32_e64 s21, 5, v78
	v_cmp_eq_u32_e64 s22, 4, v76
	;; [unrolled: 1-line block ×12, first 2 shown]
	s_waitcnt lgkmcnt(3)
	v_lshrrev_b32_e32 v66, 16, v69
	s_waitcnt lgkmcnt(2)
	v_lshrrev_b32_e32 v97, 16, v82
	;; [unrolled: 2-line block ×4, first 2 shown]
	v_lshrrev_b32_e32 v94, 16, v70
	v_cndmask_b32_e64 v109, v69, v66, s5
	v_cndmask_b32_e64 v110, v82, v97, s5
	;; [unrolled: 1-line block ×7, first 2 shown]
	v_lshrrev_b32_e32 v98, 16, v83
	v_cndmask_b32_e64 v114, v82, v97, s10
	v_cndmask_b32_e64 v82, v86, v101, s5
	;; [unrolled: 1-line block ×15, first 2 shown]
	v_lshrrev_b32_e32 v102, 16, v87
	v_lshrrev_b32_e32 v106, 16, v91
	v_cndmask_b32_e64 v111, v113, v70, s16
	v_cndmask_b32_e64 v112, v114, v83, s16
	;; [unrolled: 1-line block ×7, first 2 shown]
	v_cndmask_b32_e32 v87, v101, v94, vcc_lo
	v_cndmask_b32_e32 v101, v105, v98, vcc_lo
	v_cndmask_b32_e64 v105, v109, v94, s13
	v_cndmask_b32_e64 v109, v110, v98, s13
	;; [unrolled: 1-line block ×4, first 2 shown]
	v_lshrrev_b32_e32 v95, 16, v71
	v_lshrrev_b32_e32 v99, 16, v84
	v_cndmask_b32_e64 v110, v111, v94, s18
	v_cndmask_b32_e64 v111, v112, v98, s18
	v_cndmask_b32_e32 v70, v70, v102, vcc_lo
	v_cndmask_b32_e32 v82, v82, v106, vcc_lo
	v_cndmask_b32_e64 v83, v83, v102, s13
	v_cndmask_b32_e64 v87, v87, v71, s4
	;; [unrolled: 1-line block ×7, first 2 shown]
	v_lshrrev_b32_e32 v103, 16, v88
	v_lshrrev_b32_e32 v107, 16, v92
	v_cndmask_b32_e64 v105, v110, v71, s22
	v_cndmask_b32_e64 v109, v111, v84, s22
	v_cndmask_b32_e64 v70, v70, v88, s4
	v_cndmask_b32_e64 v71, v82, v92, s4
	v_cndmask_b32_e64 v82, v83, v88, s20
	v_cndmask_b32_e64 v83, v87, v95, s7
	v_cndmask_b32_e64 v84, v94, v99, s7
	v_cndmask_b32_e64 v87, v98, v95, s21
	v_cndmask_b32_e64 v94, v101, v99, s21
	v_cndmask_b32_e64 v66, v66, v95, s25
	v_cndmask_b32_e64 v69, v69, v99, s25
	v_lshrrev_b32_e32 v96, 16, v72
	v_lshrrev_b32_e32 v100, 16, v85
	v_cndmask_b32_e64 v98, v105, v95, s24
	v_cndmask_b32_e64 v101, v109, v99, s24
	;; [unrolled: 1-line block ×11, first 2 shown]
	v_lshrrev_b32_e32 v104, 16, v89
	v_cndmask_b32_e64 v95, v98, v72, s27
	v_cndmask_b32_e64 v98, v101, v85, s27
	;; [unrolled: 1-line block ×14, first 2 shown]
	v_perm_b32 v72, v69, v66, 0x5040100
	v_perm_b32 v70, v94, v84, 0x5040100
	v_cndmask_b32_e64 v66, v90, v91, s17
	v_cndmask_b32_e64 v69, v118, v91, s16
	;; [unrolled: 1-line block ×4, first 2 shown]
	v_perm_b32 v71, v95, v87, 0x5040100
	v_cndmask_b32_e64 v87, v97, v102, s18
	v_cndmask_b32_e64 v86, v86, v102, s19
	;; [unrolled: 1-line block ×15, first 2 shown]
	v_lshrrev_b32_e32 v108, 16, v93
	v_cndmask_b32_e64 v87, v87, v89, s27
	v_cndmask_b32_e64 v86, v86, v89, s28
	;; [unrolled: 1-line block ×11, first 2 shown]
	v_perm_b32 v69, v83, v82, 0x5040100
	v_perm_b32 v85, v66, v86, 0x5040100
	;; [unrolled: 1-line block ×5, first 2 shown]
	s_mov_b32 s3, exec_lo
	ds_store_b128 v80, v[69:72]
	ds_store_b128 v80, v[82:85] offset:1024
	v_cmpx_eq_u32_e32 0, v0
	s_cbranch_execz .LBB1310_13
; %bb.12:
	s_load_b128 s[4:7], s[0:1], 0x58
	s_mul_i32 s8, s37, s34
	s_delay_alu instid0(SALU_CYCLE_1) | instskip(NEXT) | instid1(SALU_CYCLE_1)
	s_add_i32 s8, s8, s15
	s_mul_i32 s8, s8, s36
	s_delay_alu instid0(SALU_CYCLE_1) | instskip(NEXT) | instid1(SALU_CYCLE_1)
	s_add_i32 s8, s8, s14
	s_ashr_i32 s9, s8, 31
	s_delay_alu instid0(SALU_CYCLE_1)
	s_lshl_b64 s[8:9], s[8:9], 2
	s_waitcnt lgkmcnt(0)
	s_add_u32 s6, s6, s8
	s_addc_u32 s7, s7, s9
	s_add_u32 s4, s4, s8
	s_addc_u32 s5, s5, s9
	s_clause 0x1
	global_store_b32 v65, v67, s[6:7]
	global_store_b32 v65, v68, s[4:5]
.LBB1310_13:
	s_or_b32 exec_lo, exec_lo, s3
	s_waitcnt lgkmcnt(0)
	s_waitcnt_vscnt null, 0x0
	s_barrier
	buffer_gl0_inv
	ds_load_b128 v[82:85], v79
	ds_load_b128 v[86:89], v79 offset:16
	ds_load_b128 v[94:97], v79 offset:2064
	;; [unrolled: 1-line block ×5, first 2 shown]
	v_mov_b32_e32 v66, v65
	v_mov_b32_e32 v67, v65
	;; [unrolled: 1-line block ×7, first 2 shown]
	ds_load_b128 v[110:113], v79 offset:6160
	ds_load_b128 v[106:109], v79 offset:6144
	v_cmp_eq_u32_e32 vcc_lo, 1, v75
	v_cmp_eq_u32_e64 s3, 1, v78
	v_cmp_eq_u32_e64 s4, 1, v77
	;; [unrolled: 1-line block ×5, first 2 shown]
	s_xor_b32 s2, s2, -1
	s_waitcnt lgkmcnt(6)
	v_wmma_f32_16x16x16_f16 v[65:72], v[49:56], v[82:89], v[65:72]
	ds_load_b128 v[53:56], v79 offset:8208
	ds_load_b128 v[49:52], v79 offset:8192
	;; [unrolled: 1-line block ×4, first 2 shown]
	s_waitcnt lgkmcnt(8)
	v_wmma_f32_16x16x16_f16 v[65:72], v[41:48], v[90:97], v[65:72]
	ds_load_b128 v[45:48], v79 offset:12304
	ds_load_b128 v[41:44], v79 offset:12288
	s_waitcnt lgkmcnt(8)
	v_wmma_f32_16x16x16_f16 v[65:72], v[33:40], v[98:105], v[65:72]
	ds_load_b128 v[37:40], v79 offset:14352
	ds_load_b128 v[33:36], v79 offset:14336
	s_waitcnt lgkmcnt(0)
	s_barrier
	buffer_gl0_inv
	v_wmma_f32_16x16x16_f16 v[65:72], v[1:8], v[106:113], v[65:72]
	s_delay_alu instid0(VALU_DEP_1) | instskip(NEXT) | instid1(VALU_DEP_1)
	v_wmma_f32_16x16x16_f16 v[65:72], v[9:16], v[49:56], v[65:72]
	v_wmma_f32_16x16x16_f16 v[65:72], v[17:24], v[82:89], v[65:72]
	s_delay_alu instid0(VALU_DEP_1) | instskip(NEXT) | instid1(VALU_DEP_1)
	v_wmma_f32_16x16x16_f16 v[65:72], v[25:32], v[41:48], v[65:72]
	v_wmma_f32_16x16x16_f16 v[65:72], v[57:64], v[33:40], v[65:72]
	s_delay_alu instid0(VALU_DEP_1) | instskip(NEXT) | instid1(VALU_DEP_2)
	v_cvt_f16_f32_e32 v1, v65
	v_cvt_f16_f32_e32 v2, v66
	s_delay_alu instid0(VALU_DEP_3) | instskip(NEXT) | instid1(VALU_DEP_4)
	v_cvt_f16_f32_e32 v3, v67
	v_cvt_f16_f32_e32 v4, v68
	;; [unrolled: 1-line block ×6, first 2 shown]
	v_pack_b32_f16 v1, v1, v2
	v_pack_b32_f16 v2, v3, v4
	;; [unrolled: 1-line block ×3, first 2 shown]
	s_delay_alu instid0(VALU_DEP_4)
	v_pack_b32_f16 v4, v7, v8
	ds_store_b128 v80, v[1:4]
	s_waitcnt lgkmcnt(0)
	s_barrier
	buffer_gl0_inv
	ds_load_b128 v[1:4], v81
	ds_load_b128 v[5:8], v81 offset:16
	s_waitcnt lgkmcnt(1)
	v_lshrrev_b32_e32 v9, 16, v1
	s_waitcnt lgkmcnt(0)
	v_lshrrev_b32_e32 v13, 16, v5
	v_lshrrev_b32_e32 v16, 16, v8
	;; [unrolled: 1-line block ×4, first 2 shown]
	v_cndmask_b32_e32 v17, v1, v9, vcc_lo
	v_cndmask_b32_e32 v18, v5, v13, vcc_lo
	v_cmp_eq_u32_e32 vcc_lo, 1, v76
	v_cndmask_b32_e64 v19, v1, v9, s3
	v_cndmask_b32_e64 v20, v5, v13, s3
	v_cmp_eq_u32_e64 s3, 2, v76
	v_lshrrev_b32_e32 v11, 16, v3
	v_cndmask_b32_e32 v21, v1, v9, vcc_lo
	v_cndmask_b32_e32 v22, v5, v13, vcc_lo
	v_cndmask_b32_e64 v1, v1, v9, s4
	v_cmp_eq_u32_e32 vcc_lo, 2, v77
	v_cndmask_b32_e64 v5, v5, v13, s4
	v_cmp_eq_u32_e64 s4, 2, v78
	v_cndmask_b32_e64 v9, v17, v2, s5
	v_cndmask_b32_e64 v13, v18, v6, s5
	v_cmp_eq_u32_e64 s5, 3, v78
	v_cndmask_b32_e32 v1, v1, v2, vcc_lo
	v_cndmask_b32_e64 v17, v19, v2, s4
	v_cndmask_b32_e64 v18, v20, v6, s4
	;; [unrolled: 1-line block ×4, first 2 shown]
	v_cndmask_b32_e32 v2, v5, v6, vcc_lo
	v_cmp_eq_u32_e32 vcc_lo, 3, v76
	v_cmp_eq_u32_e64 s4, 3, v77
	v_cndmask_b32_e64 v5, v9, v10, s6
	v_cndmask_b32_e64 v6, v13, v14, s6
	v_cndmask_b32_e64 v9, v17, v10, s5
	v_cndmask_b32_e64 v13, v18, v14, s5
	v_cndmask_b32_e32 v17, v19, v10, vcc_lo
	v_cmp_eq_u32_e64 s3, 4, v76
	v_cndmask_b32_e32 v18, v20, v14, vcc_lo
	v_cndmask_b32_e64 v1, v1, v10, s4
	v_cmp_eq_u32_e32 vcc_lo, 4, v77
	v_cmp_eq_u32_e64 s5, 4, v75
	v_cndmask_b32_e64 v2, v2, v14, s4
	v_cmp_eq_u32_e64 s4, 4, v78
	v_lshrrev_b32_e32 v15, 16, v7
	v_cmp_eq_u32_e64 s6, 5, v75
	v_cndmask_b32_e64 v5, v5, v3, s5
	v_cndmask_b32_e64 v6, v6, v7, s5
	v_cndmask_b32_e64 v9, v9, v3, s4
	v_cmp_eq_u32_e64 s5, 5, v78
	v_cndmask_b32_e64 v10, v13, v7, s4
	v_cndmask_b32_e64 v13, v17, v3, s3
	;; [unrolled: 1-line block ×3, first 2 shown]
	v_cmp_eq_u32_e64 s4, 5, v76
	v_cndmask_b32_e32 v1, v1, v3, vcc_lo
	v_cndmask_b32_e32 v2, v2, v7, vcc_lo
	v_cmp_eq_u32_e32 vcc_lo, 5, v77
	v_cndmask_b32_e64 v5, v5, v11, s6
	v_cmp_eq_u32_e64 s3, 6, v75
	v_cndmask_b32_e64 v6, v6, v15, s6
	v_cndmask_b32_e64 v9, v9, v11, s5
	;; [unrolled: 1-line block ×4, first 2 shown]
	v_cmp_eq_u32_e64 s5, 6, v78
	v_cndmask_b32_e64 v3, v14, v15, s4
	v_cndmask_b32_e32 v1, v1, v11, vcc_lo
	v_cmp_eq_u32_e64 s4, 6, v77
	v_cndmask_b32_e32 v2, v2, v15, vcc_lo
	v_lshrrev_b32_e32 v12, 16, v4
	v_cndmask_b32_e64 v5, v5, v4, s3
	v_cndmask_b32_e64 v9, v9, v4, s5
	;; [unrolled: 1-line block ×3, first 2 shown]
	v_cmp_eq_u32_e64 s3, 7, v75
	v_cmp_eq_u32_e64 s6, 7, v78
	v_cndmask_b32_e64 v7, v13, v4, s7
	v_cndmask_b32_e64 v3, v3, v8, s7
	v_cndmask_b32_e64 v1, v1, v4, s4
	v_cmp_eq_u32_e32 vcc_lo, 7, v77
	v_cndmask_b32_e64 v2, v2, v8, s4
	v_cmp_eq_u32_e64 s4, 7, v76
	v_cndmask_b32_e64 v4, v10, v8, s5
	v_cndmask_b32_e64 v5, v5, v12, s3
	;; [unrolled: 1-line block ×3, first 2 shown]
	v_cndmask_b32_e32 v2, v2, v16, vcc_lo
	v_cndmask_b32_e64 v7, v7, v12, s4
	v_cndmask_b32_e32 v1, v1, v12, vcc_lo
	v_cndmask_b32_e64 v3, v3, v16, s4
	v_cndmask_b32_e64 v8, v4, v16, s6
	;; [unrolled: 1-line block ×3, first 2 shown]
	v_cmp_gt_u32_e32 vcc_lo, 32, v0
	v_perm_b32 v4, v2, v1, 0x5040100
	v_perm_b32 v3, v3, v7, 0x5040100
	;; [unrolled: 1-line block ×4, first 2 shown]
	s_and_b32 s2, vcc_lo, s2
	ds_store_b128 v80, v[1:4]
	s_waitcnt lgkmcnt(0)
	s_barrier
	buffer_gl0_inv
	s_and_saveexec_b32 s3, s2
	s_cbranch_execz .LBB1310_2
; %bb.14:
	s_load_b64 s[0:1], s[0:1], 0x68
	v_lshlrev_b32_e32 v1, 10, v0
	v_and_b32_e32 v0, 1, v0
	v_lshlrev_b32_e32 v2, 6, v74
	s_lshl_b32 s4, s36, 7
	s_delay_alu instid0(VALU_DEP_3) | instskip(NEXT) | instid1(VALU_DEP_3)
	v_and_b32_e32 v1, 0x3800, v1
	v_lshlrev_b32_e32 v0, 4, v0
	s_mul_i32 s2, s4, s34
	s_delay_alu instid0(SALU_CYCLE_1) | instskip(NEXT) | instid1(VALU_DEP_1)
	s_mul_i32 s2, s2, s37
	v_or3_b32 v0, v1, v2, v0
	s_ashr_i32 s3, s2, 31
	s_delay_alu instid0(SALU_CYCLE_1)
	s_lshl_b64 s[2:3], s[2:3], 1
	ds_load_b128 v[0:3], v0
	s_waitcnt lgkmcnt(0)
	s_add_u32 s5, s0, s2
	s_addc_u32 s3, s1, s3
	s_lshl_b32 s0, s14, 7
	s_mul_i32 s2, s4, s15
	s_ashr_i32 s1, s0, 31
	s_delay_alu instid0(SALU_CYCLE_1) | instskip(NEXT) | instid1(SALU_CYCLE_1)
	s_lshl_b64 s[0:1], s[0:1], 1
	s_add_u32 s4, s5, s0
	s_addc_u32 s5, s3, s1
	s_ashr_i32 s3, s2, 31
	s_delay_alu instid0(SALU_CYCLE_1) | instskip(NEXT) | instid1(SALU_CYCLE_1)
	s_lshl_b64 s[0:1], s[2:3], 1
	s_add_u32 s0, s4, s0
	s_addc_u32 s1, s5, s1
	global_store_b128 v73, v[0:3], s[0:1]
	s_nop 0
	s_sendmsg sendmsg(MSG_DEALLOC_VGPRS)
	s_endpgm
	.section	.rodata,"a",@progbits
	.p2align	6, 0x0
	.amdhsa_kernel _Z39paged_attention_ll4mi_QKV_mfma16_kernelIDF16_hLN4vllm18Fp8KVCacheDataTypeE1EhLi32ELi128ELi256ELb0ELi1EL8MFMAType0EEvPKT_PKT0_S8_ifPKiSA_SA_iPKfiiiPfSD_PS3_PT2_iSC_SC_
		.amdhsa_group_segment_fixed_size 17472
		.amdhsa_private_segment_fixed_size 0
		.amdhsa_kernarg_size 400
		.amdhsa_user_sgpr_count 13
		.amdhsa_user_sgpr_dispatch_ptr 0
		.amdhsa_user_sgpr_queue_ptr 0
		.amdhsa_user_sgpr_kernarg_segment_ptr 1
		.amdhsa_user_sgpr_dispatch_id 0
		.amdhsa_user_sgpr_private_segment_size 0
		.amdhsa_wavefront_size32 1
		.amdhsa_uses_dynamic_stack 0
		.amdhsa_enable_private_segment 0
		.amdhsa_system_sgpr_workgroup_id_x 1
		.amdhsa_system_sgpr_workgroup_id_y 1
		.amdhsa_system_sgpr_workgroup_id_z 1
		.amdhsa_system_sgpr_workgroup_info 0
		.amdhsa_system_vgpr_workitem_id 0
		.amdhsa_next_free_vgpr 134
		.amdhsa_next_free_sgpr 68
		.amdhsa_reserve_vcc 1
		.amdhsa_float_round_mode_32 0
		.amdhsa_float_round_mode_16_64 0
		.amdhsa_float_denorm_mode_32 3
		.amdhsa_float_denorm_mode_16_64 3
		.amdhsa_dx10_clamp 1
		.amdhsa_ieee_mode 1
		.amdhsa_fp16_overflow 0
		.amdhsa_workgroup_processor_mode 1
		.amdhsa_memory_ordered 1
		.amdhsa_forward_progress 0
		.amdhsa_shared_vgpr_count 0
		.amdhsa_exception_fp_ieee_invalid_op 0
		.amdhsa_exception_fp_denorm_src 0
		.amdhsa_exception_fp_ieee_div_zero 0
		.amdhsa_exception_fp_ieee_overflow 0
		.amdhsa_exception_fp_ieee_underflow 0
		.amdhsa_exception_fp_ieee_inexact 0
		.amdhsa_exception_int_div_zero 0
	.end_amdhsa_kernel
	.section	.text._Z39paged_attention_ll4mi_QKV_mfma16_kernelIDF16_hLN4vllm18Fp8KVCacheDataTypeE1EhLi32ELi128ELi256ELb0ELi1EL8MFMAType0EEvPKT_PKT0_S8_ifPKiSA_SA_iPKfiiiPfSD_PS3_PT2_iSC_SC_,"axG",@progbits,_Z39paged_attention_ll4mi_QKV_mfma16_kernelIDF16_hLN4vllm18Fp8KVCacheDataTypeE1EhLi32ELi128ELi256ELb0ELi1EL8MFMAType0EEvPKT_PKT0_S8_ifPKiSA_SA_iPKfiiiPfSD_PS3_PT2_iSC_SC_,comdat
.Lfunc_end1310:
	.size	_Z39paged_attention_ll4mi_QKV_mfma16_kernelIDF16_hLN4vllm18Fp8KVCacheDataTypeE1EhLi32ELi128ELi256ELb0ELi1EL8MFMAType0EEvPKT_PKT0_S8_ifPKiSA_SA_iPKfiiiPfSD_PS3_PT2_iSC_SC_, .Lfunc_end1310-_Z39paged_attention_ll4mi_QKV_mfma16_kernelIDF16_hLN4vllm18Fp8KVCacheDataTypeE1EhLi32ELi128ELi256ELb0ELi1EL8MFMAType0EEvPKT_PKT0_S8_ifPKiSA_SA_iPKfiiiPfSD_PS3_PT2_iSC_SC_
                                        ; -- End function
	.section	.AMDGPU.csdata,"",@progbits
; Kernel info:
; codeLenInByte = 6404
; NumSgprs: 70
; NumVgprs: 134
; ScratchSize: 0
; MemoryBound: 1
; FloatMode: 240
; IeeeMode: 1
; LDSByteSize: 17472 bytes/workgroup (compile time only)
; SGPRBlocks: 8
; VGPRBlocks: 16
; NumSGPRsForWavesPerEU: 70
; NumVGPRsForWavesPerEU: 134
; Occupancy: 10
; WaveLimiterHint : 1
; COMPUTE_PGM_RSRC2:SCRATCH_EN: 0
; COMPUTE_PGM_RSRC2:USER_SGPR: 13
; COMPUTE_PGM_RSRC2:TRAP_HANDLER: 0
; COMPUTE_PGM_RSRC2:TGID_X_EN: 1
; COMPUTE_PGM_RSRC2:TGID_Y_EN: 1
; COMPUTE_PGM_RSRC2:TGID_Z_EN: 1
; COMPUTE_PGM_RSRC2:TIDIG_COMP_CNT: 0
	.section	.text._Z39paged_attention_ll4mi_QKV_mfma16_kernelIDF16_hLN4vllm18Fp8KVCacheDataTypeE1EhLi32ELi128ELi256ELb0ELi2EL8MFMAType0EEvPKT_PKT0_S8_ifPKiSA_SA_iPKfiiiPfSD_PS3_PT2_iSC_SC_,"axG",@progbits,_Z39paged_attention_ll4mi_QKV_mfma16_kernelIDF16_hLN4vllm18Fp8KVCacheDataTypeE1EhLi32ELi128ELi256ELb0ELi2EL8MFMAType0EEvPKT_PKT0_S8_ifPKiSA_SA_iPKfiiiPfSD_PS3_PT2_iSC_SC_,comdat
	.protected	_Z39paged_attention_ll4mi_QKV_mfma16_kernelIDF16_hLN4vllm18Fp8KVCacheDataTypeE1EhLi32ELi128ELi256ELb0ELi2EL8MFMAType0EEvPKT_PKT0_S8_ifPKiSA_SA_iPKfiiiPfSD_PS3_PT2_iSC_SC_ ; -- Begin function _Z39paged_attention_ll4mi_QKV_mfma16_kernelIDF16_hLN4vllm18Fp8KVCacheDataTypeE1EhLi32ELi128ELi256ELb0ELi2EL8MFMAType0EEvPKT_PKT0_S8_ifPKiSA_SA_iPKfiiiPfSD_PS3_PT2_iSC_SC_
	.globl	_Z39paged_attention_ll4mi_QKV_mfma16_kernelIDF16_hLN4vllm18Fp8KVCacheDataTypeE1EhLi32ELi128ELi256ELb0ELi2EL8MFMAType0EEvPKT_PKT0_S8_ifPKiSA_SA_iPKfiiiPfSD_PS3_PT2_iSC_SC_
	.p2align	8
	.type	_Z39paged_attention_ll4mi_QKV_mfma16_kernelIDF16_hLN4vllm18Fp8KVCacheDataTypeE1EhLi32ELi128ELi256ELb0ELi2EL8MFMAType0EEvPKT_PKT0_S8_ifPKiSA_SA_iPKfiiiPfSD_PS3_PT2_iSC_SC_,@function
_Z39paged_attention_ll4mi_QKV_mfma16_kernelIDF16_hLN4vllm18Fp8KVCacheDataTypeE1EhLi32ELi128ELi256ELb0ELi2EL8MFMAType0EEvPKT_PKT0_S8_ifPKiSA_SA_iPKfiiiPfSD_PS3_PT2_iSC_SC_: ; @_Z39paged_attention_ll4mi_QKV_mfma16_kernelIDF16_hLN4vllm18Fp8KVCacheDataTypeE1EhLi32ELi128ELi256ELb0ELi2EL8MFMAType0EEvPKT_PKT0_S8_ifPKiSA_SA_iPKfiiiPfSD_PS3_PT2_iSC_SC_
; %bb.0:
	s_load_b64 s[2:3], s[0:1], 0x30
	s_mov_b32 s34, s13
	s_waitcnt lgkmcnt(0)
	s_cmp_lg_u64 s[2:3], 0
	s_cselect_b32 s8, -1, 0
	s_ashr_i32 s35, s13, 31
	s_cmp_eq_u64 s[2:3], 0
	s_cbranch_scc1 .LBB1311_3
; %bb.1:
	s_lshl_b64 s[4:5], s[34:35], 2
	s_delay_alu instid0(SALU_CYCLE_1) | instskip(SKIP_4) | instid1(SALU_CYCLE_1)
	s_add_u32 s4, s2, s4
	s_addc_u32 s5, s3, s5
	s_load_b64 s[4:5], s[4:5], 0x0
	s_waitcnt lgkmcnt(0)
	s_sub_i32 s4, s5, s4
	s_cmp_eq_u32 s4, 1
	s_cselect_b32 s4, -1, 0
	s_delay_alu instid0(SALU_CYCLE_1)
	s_and_not1_b32 vcc_lo, exec_lo, s4
	s_cbranch_vccz .LBB1311_4
.LBB1311_2:
	s_endpgm
.LBB1311_3:
.LBB1311_4:
	s_load_b64 s[4:5], s[0:1], 0x28
	s_lshl_b64 s[6:7], s[34:35], 2
	s_waitcnt lgkmcnt(0)
	s_add_u32 s4, s4, s6
	s_addc_u32 s5, s5, s7
	s_lshl_b32 s12, s14, 8
	s_load_b32 s24, s[4:5], 0x0
	s_waitcnt lgkmcnt(0)
	s_cmp_ge_i32 s12, s24
	s_cbranch_scc1 .LBB1311_2
; %bb.5:
	s_clause 0x1
	s_load_b128 s[20:23], s[0:1], 0x8
	s_load_b64 s[4:5], s[0:1], 0x20
	s_and_not1_b32 vcc_lo, exec_lo, s8
	s_cbranch_vccnz .LBB1311_7
; %bb.6:
	s_add_u32 s2, s2, s6
	s_addc_u32 s3, s3, s7
	s_load_b32 s3, s[2:3], 0x0
	s_branch .LBB1311_8
.LBB1311_7:
	s_mov_b32 s3, s34
.LBB1311_8:
	s_load_b128 s[16:19], s[0:1], 0x48
	v_and_b32_e32 v70, 15, v0
	v_bfe_u32 v69, v0, 4, 1
	s_lshl_b32 s31, s15, 1
	v_and_b32_e32 v71, 31, v0
	v_and_b32_e32 v68, 1, v0
	v_lshlrev_b32_e32 v1, 3, v70
	v_cmp_gt_u32_e64 s2, 32, v0
	v_or_b32_e32 v67, s31, v69
	v_lshlrev_b32_e32 v66, 6, v69
	s_delay_alu instid0(VALU_DEP_4) | instskip(NEXT) | instid1(VALU_DEP_4)
	v_lshlrev_b32_e32 v65, 1, v1
	s_and_saveexec_b32 s6, s2
	s_cbranch_execz .LBB1311_10
; %bb.9:
	s_load_b64 s[8:9], s[0:1], 0x0
	v_lshlrev_b32_e32 v1, 7, v67
	s_waitcnt lgkmcnt(0)
	s_mul_hi_i32 s11, s3, s16
	s_mul_i32 s10, s3, s16
	v_lshlrev_b32_e32 v5, 10, v70
	s_lshl_b64 s[10:11], s[10:11], 1
	v_ashrrev_i32_e32 v2, 31, v1
	v_lshlrev_b32_e32 v6, 10, v68
	s_delay_alu instid0(VALU_DEP_3) | instskip(NEXT) | instid1(VALU_DEP_3)
	v_and_b32_e32 v5, 0x3800, v5
	v_lshlrev_b64 v[1:2], 1, v[1:2]
	s_delay_alu instid0(VALU_DEP_2) | instskip(SKIP_2) | instid1(VALU_DEP_2)
	v_or3_b32 v5, v5, v6, v66
	s_add_u32 s3, s8, s10
	s_addc_u32 s7, s9, s11
	v_add_co_u32 v1, vcc_lo, s3, v1
	s_delay_alu instid0(VALU_DEP_3) | instskip(NEXT) | instid1(VALU_DEP_2)
	v_add_co_ci_u32_e32 v2, vcc_lo, s7, v2, vcc_lo
	v_add_co_u32 v1, vcc_lo, v1, v65
	s_delay_alu instid0(VALU_DEP_2)
	v_add_co_ci_u32_e32 v2, vcc_lo, 0, v2, vcc_lo
	global_load_b128 v[1:4], v[1:2], off
	s_waitcnt vmcnt(0)
	ds_store_b128 v5, v[1:4]
.LBB1311_10:
	s_or_b32 exec_lo, exec_lo, s6
	v_and_b32_e32 v1, 0xef, v0
	s_waitcnt lgkmcnt(0)
	s_add_i32 s3, s24, 31
	s_clause 0x1
	s_load_b32 s6, s[0:1], 0x38
	s_load_b32 s33, s[0:1], 0x98
	s_ashr_i32 s7, s3, 31
	v_add_nc_u32_e32 v1, s12, v1
	s_lshr_b32 s7, s7, 27
	s_load_b32 s19, s[0:1], 0x1c
	s_add_i32 s3, s3, s7
	s_waitcnt lgkmcnt(0)
	v_ashrrev_i32_e32 v2, 31, v1
	v_or_b32_e32 v3, 16, v1
	s_ashr_i32 s3, s3, 5
	v_cmp_gt_i32_e32 vcc_lo, s24, v1
	s_add_i32 s3, s3, -1
	v_lshrrev_b32_e32 v2, 27, v2
	s_barrier
	buffer_gl0_inv
	s_mul_i32 s35, s15, s18
	v_lshrrev_b32_e32 v72, 5, v0
	v_add_nc_u32_e32 v4, v1, v2
	s_mul_i32 s6, s34, s6
	s_delay_alu instid0(SALU_CYCLE_1) | instskip(NEXT) | instid1(VALU_DEP_1)
	s_ashr_i32 s7, s6, 31
	v_ashrrev_i32_e32 v4, 5, v4
	v_add_nc_u32_e32 v2, v3, v2
	s_lshl_b64 s[6:7], s[6:7], 2
	s_delay_alu instid0(SALU_CYCLE_1) | instskip(NEXT) | instid1(VALU_DEP_2)
	s_add_u32 s25, s4, s6
	v_cndmask_b32_e32 v1, s3, v4, vcc_lo
	s_delay_alu instid0(VALU_DEP_2)
	v_ashrrev_i32_e32 v2, 5, v2
	v_cmp_gt_i32_e32 vcc_lo, s24, v3
	s_addc_u32 s30, s5, s7
	s_ashr_i32 s38, s35, 31
	s_add_u32 s4, s20, s35
	s_addc_u32 s5, s21, s38
	v_cndmask_b32_e32 v3, s3, v2, vcc_lo
	v_ashrrev_i32_e32 v2, 31, v1
	s_lshl_b32 s6, s14, 3
	s_delay_alu instid0(SALU_CYCLE_1) | instskip(NEXT) | instid1(VALU_DEP_2)
	s_ashr_i32 s7, s6, 31
	v_ashrrev_i32_e32 v4, 31, v3
	s_delay_alu instid0(VALU_DEP_2) | instskip(SKIP_1) | instid1(SALU_CYCLE_1)
	v_lshlrev_b64 v[1:2], 2, v[1:2]
	s_lshl_b64 s[6:7], s[6:7], 2
	s_add_u32 s6, s25, s6
	s_delay_alu instid0(VALU_DEP_2) | instskip(SKIP_1) | instid1(VALU_DEP_2)
	v_lshlrev_b64 v[3:4], 2, v[3:4]
	s_addc_u32 s7, s30, s7
	v_add_co_u32 v1, vcc_lo, s25, v1
	v_add_co_ci_u32_e32 v2, vcc_lo, s30, v2, vcc_lo
	s_delay_alu instid0(VALU_DEP_3) | instskip(NEXT) | instid1(VALU_DEP_4)
	v_add_co_u32 v3, vcc_lo, s25, v3
	v_add_co_ci_u32_e32 v4, vcc_lo, s30, v4, vcc_lo
	s_clause 0x1
	global_load_b32 v5, v[1:2], off
	global_load_b32 v6, v[3:4], off
	s_or_b32 s8, s12, 32
	s_delay_alu instid0(SALU_CYCLE_1) | instskip(SKIP_2) | instid1(SALU_CYCLE_1)
	s_ashr_i32 s9, s8, 5
	s_cmp_lt_i32 s8, s24
	s_cselect_b32 s8, s9, s3
	s_ashr_i32 s9, s8, 31
	s_delay_alu instid0(SALU_CYCLE_1) | instskip(NEXT) | instid1(SALU_CYCLE_1)
	s_lshl_b64 s[8:9], s[8:9], 2
	s_add_u32 s8, s25, s8
	s_addc_u32 s9, s30, s9
	s_or_b32 s10, s12, 64
	s_delay_alu instid0(SALU_CYCLE_1) | instskip(SKIP_2) | instid1(SALU_CYCLE_1)
	s_ashr_i32 s11, s10, 5
	s_cmp_lt_i32 s10, s24
	s_cselect_b32 s10, s11, s3
	s_ashr_i32 s11, s10, 31
	s_delay_alu instid0(SALU_CYCLE_1) | instskip(NEXT) | instid1(SALU_CYCLE_1)
	s_lshl_b64 s[10:11], s[10:11], 2
	s_add_u32 s10, s25, s10
	s_addc_u32 s11, s30, s11
	;; [unrolled: 10-line block ×5, first 2 shown]
	s_clause 0x5
	s_load_b32 s21, s[6:7], 0x0
	s_load_b32 s13, s[8:9], 0x0
	;; [unrolled: 1-line block ×6, first 2 shown]
	s_or_b32 s7, s12, 0xc0
	s_delay_alu instid0(SALU_CYCLE_1) | instskip(SKIP_2) | instid1(SALU_CYCLE_1)
	s_ashr_i32 s8, s7, 5
	s_cmp_lt_i32 s7, s24
	s_cselect_b32 s10, s8, s3
	s_ashr_i32 s11, s10, 31
	s_delay_alu instid0(SALU_CYCLE_1) | instskip(NEXT) | instid1(SALU_CYCLE_1)
	s_lshl_b64 s[26:27], s[10:11], 2
	s_add_u32 s26, s25, s26
	s_addc_u32 s27, s30, s27
	s_or_b32 s28, s12, 0xe0
	s_delay_alu instid0(SALU_CYCLE_1)
	s_ashr_i32 s29, s28, 5
	s_cmp_lt_i32 s28, s24
	s_waitcnt vmcnt(1)
	v_mad_i64_i32 v[1:2], null, v5, s17, s[4:5]
	s_waitcnt vmcnt(0)
	v_mad_i64_i32 v[3:4], null, v6, s17, s[4:5]
	s_mov_b32 s4, 0
	s_delay_alu instid0(SALU_CYCLE_1)
	s_mov_b32 s5, s4
	s_mov_b32 s6, s4
	;; [unrolled: 1-line block ×7, first 2 shown]
	s_delay_alu instid0(SALU_CYCLE_1) | instskip(SKIP_2) | instid1(VALU_DEP_3)
	v_dual_mov_b32 v120, s11 :: v_dual_lshlrev_b32 v5, 4, v70
	v_dual_mov_b32 v116, s7 :: v_dual_lshlrev_b32 v145, 6, v68
	v_mov_b32_e32 v114, s5
	v_add_co_u32 v1, vcc_lo, v1, v5
	v_add_co_ci_u32_e32 v2, vcc_lo, 0, v2, vcc_lo
	v_add_co_u32 v3, vcc_lo, v3, v5
	v_add_co_ci_u32_e32 v4, vcc_lo, 0, v4, vcc_lo
	s_clause 0xf
	global_load_b128 v[9:12], v[1:2], off
	global_load_b128 v[13:16], v[1:2], off offset:512
	global_load_b128 v[17:20], v[3:4], off offset:256
	;; [unrolled: 1-line block ×15, first 2 shown]
	v_dual_mov_b32 v119, s10 :: v_dual_mov_b32 v118, s9
	v_mov_b32_e32 v117, s8
	v_mov_b32_e32 v115, s6
	;; [unrolled: 1-line block ×3, first 2 shown]
	s_cselect_b32 s4, s29, s3
	v_lshlrev_b32_e32 v1, 5, v70
	s_ashr_i32 s5, s4, 31
	ds_load_b128 v[25:28], v145
	ds_load_b128 v[29:32], v145 offset:1024
	s_lshl_b64 s[4:5], s[4:5], 2
	s_load_b32 s3, s[26:27], 0x0
	s_add_u32 s4, s25, s4
	s_addc_u32 s5, s30, s5
	ds_load_b128 v[121:124], v145 offset:2048
	ds_load_b128 v[125:128], v145 offset:3072
	s_load_b32 s4, s[4:5], 0x0
	v_lshl_or_b32 v1, v72, 9, v1
	s_add_u32 s6, s22, s35
	s_addc_u32 s7, s23, s38
	s_delay_alu instid0(VALU_DEP_1) | instskip(NEXT) | instid1(VALU_DEP_1)
	v_add_co_u32 v129, s6, s6, v1
	v_add_co_ci_u32_e64 v130, null, s7, 0, s6
	s_waitcnt lgkmcnt(0)
	s_delay_alu instid0(VALU_DEP_1)
	v_mad_i64_i32 v[1:2], null, s21, s17, v[129:130]
	v_mad_i64_i32 v[3:4], null, s13, s17, v[129:130]
	;; [unrolled: 1-line block ×8, first 2 shown]
	s_clause 0x7
	global_load_b128 v[49:52], v[1:2], off
	global_load_b128 v[53:56], v[1:2], off offset:16
	global_load_b128 v[41:44], v[3:4], off
	global_load_b128 v[45:48], v[3:4], off offset:16
	;; [unrolled: 2-line block ×4, first 2 shown]
	s_waitcnt vmcnt(22)
	v_wmma_f32_16x16x16_f16 v[129:136], v[9:16], v[25:32], v[113:120]
	s_waitcnt vmcnt(20)
	v_wmma_f32_16x16x16_f16 v[113:120], v[17:24], v[25:32], v[113:120]
	s_clause 0x5
	global_load_b128 v[9:12], v[137:138], off
	global_load_b128 v[13:16], v[137:138], off offset:16
	global_load_b128 v[17:20], v[139:140], off
	global_load_b128 v[21:24], v[139:140], off offset:16
	;; [unrolled: 2-line block ×3, first 2 shown]
	v_mbcnt_lo_u32_b32 v137, -1, 0
	s_waitcnt vmcnt(24)
	v_wmma_f32_16x16x16_f16 v[129:136], v[57:64], v[121:128], v[129:136]
	s_clause 0x1
	global_load_b128 v[57:60], v[143:144], off
	global_load_b128 v[61:64], v[143:144], off offset:16
	s_waitcnt vmcnt(24)
	v_wmma_f32_16x16x16_f16 v[113:120], v[73:80], v[121:128], v[113:120]
	ds_load_b128 v[73:76], v145 offset:4096
	ds_load_b128 v[77:80], v145 offset:5120
	v_and_b32_e32 v121, 0xe0, v0
	v_xor_b32_e32 v139, 16, v137
	s_delay_alu instid0(VALU_DEP_2)
	v_add_nc_u32_e32 v138, s12, v121
	ds_load_b128 v[121:124], v145 offset:6144
	ds_load_b128 v[125:128], v145 offset:7168
	v_cmp_gt_i32_e32 vcc_lo, 32, v139
	s_waitcnt vmcnt(0) lgkmcnt(0)
	s_barrier
	v_or_b32_e32 v138, v138, v69
	buffer_gl0_inv
	v_or_b32_e32 v140, 4, v138
	v_or_b32_e32 v141, 6, v138
	;; [unrolled: 1-line block ×3, first 2 shown]
	v_wmma_f32_16x16x16_f16 v[129:136], v[81:88], v[73:80], v[129:136]
	v_wmma_f32_16x16x16_f16 v[113:120], v[89:96], v[73:80], v[113:120]
	v_or_b32_e32 v81, 10, v138
	v_cmp_gt_i32_e64 s4, s24, v140
	v_cmp_gt_i32_e64 s5, s24, v141
	v_or_b32_e32 v82, 12, v138
	v_or_b32_e32 v83, 14, v138
	v_wmma_f32_16x16x16_f16 v[129:136], v[97:104], v[121:128], v[129:136]
	v_wmma_f32_16x16x16_f16 v[113:120], v[105:112], v[121:128], v[113:120]
	v_cndmask_b32_e32 v137, v137, v139, vcc_lo
	v_or_b32_e32 v139, 2, v138
	v_cmp_gt_i32_e32 vcc_lo, s24, v138
	v_mul_f32_e32 v90, s19, v130
	v_dual_mul_f32 v92, s19, v120 :: v_dual_mul_f32 v91, s19, v129
	s_delay_alu instid0(VALU_DEP_4) | instskip(SKIP_2) | instid1(VALU_DEP_4)
	v_cmp_gt_i32_e64 s3, s24, v139
	v_dual_mul_f32 v80, s19, v132 :: v_dual_mul_f32 v89, s19, v131
	v_mul_f32_e32 v98, s19, v114
	v_cndmask_b32_e32 v91, 0xff7fffff, v91, vcc_lo
	s_delay_alu instid0(VALU_DEP_4)
	v_cndmask_b32_e64 v90, 0xff7fffff, v90, s3
	v_dual_mul_f32 v78, s19, v134 :: v_dual_mul_f32 v79, s19, v133
	v_mul_f32_e32 v96, s19, v116
	v_cndmask_b32_e64 v89, 0xff7fffff, v89, s4
	v_cndmask_b32_e64 v80, 0xff7fffff, v80, s5
	v_max3_f32 v90, v91, 0xff7fffff, v90
	v_cmp_gt_i32_e64 s6, s24, v142
	v_cmp_gt_i32_e64 s7, s24, v81
	v_or_b32_e32 v84, 16, v138
	v_or_b32_e32 v85, 18, v138
	v_dual_mul_f32 v76, s19, v136 :: v_dual_mul_f32 v77, s19, v135
	v_mul_f32_e32 v94, s19, v118
	v_cndmask_b32_e64 v79, 0xff7fffff, v79, s6
	v_cndmask_b32_e64 v78, 0xff7fffff, v78, s7
	v_max3_f32 v80, v90, v89, v80
	v_cmp_gt_i32_e64 s8, s24, v82
	v_cmp_gt_i32_e64 s9, s24, v83
	v_or_b32_e32 v86, 20, v138
	v_or_b32_e32 v87, 22, v138
	v_mul_f32_e32 v99, s19, v113
	v_cndmask_b32_e64 v77, 0xff7fffff, v77, s8
	v_cndmask_b32_e64 v76, 0xff7fffff, v76, s9
	v_max3_f32 v78, v80, v79, v78
	v_cmp_gt_i32_e64 s10, s24, v84
	v_cmp_gt_i32_e64 s11, s24, v85
	v_or_b32_e32 v88, 24, v138
	v_or_b32_e32 v73, 26, v138
	;; [unrolled: 8-line block ×3, first 2 shown]
	v_mul_f32_e32 v95, s19, v117
	v_cndmask_b32_e64 v77, 0xff7fffff, v97, s12
	v_cndmask_b32_e64 v78, 0xff7fffff, v96, s13
	v_max3_f32 v76, v76, v79, v80
	v_cmp_gt_i32_e64 s15, s24, v88
	v_cmp_gt_i32_e64 s16, s24, v73
	v_mul_f32_e32 v93, s19, v119
	v_cmp_gt_i32_e64 s17, s24, v74
	v_max3_f32 v76, v76, v77, v78
	v_cndmask_b32_e64 v79, 0xff7fffff, v95, s15
	v_cndmask_b32_e64 v73, 0xff7fffff, v94, s16
	v_cmp_gt_i32_e64 s18, s24, v75
	v_cndmask_b32_e64 v74, 0xff7fffff, v93, s17
	s_delay_alu instid0(VALU_DEP_3) | instskip(NEXT) | instid1(VALU_DEP_3)
	v_max3_f32 v73, v76, v79, v73
	v_cndmask_b32_e64 v75, 0xff7fffff, v92, s18
	v_lshlrev_b32_e32 v76, 2, v137
	s_delay_alu instid0(VALU_DEP_2) | instskip(SKIP_3) | instid1(VALU_DEP_1)
	v_max3_f32 v73, v73, v74, v75
	ds_bpermute_b32 v74, v76, v73
	s_waitcnt lgkmcnt(0)
	v_max_f32_e32 v74, v74, v74
	v_max_f32_e32 v73, v73, v74
	s_delay_alu instid0(VALU_DEP_1)
	v_fma_f32 v78, s19, v132, -v73
	v_fma_f32 v74, s19, v129, -v73
	;; [unrolled: 1-line block ×5, first 2 shown]
	v_mul_f32_e32 v78, 0x3fb8aa3b, v78
	v_mul_f32_e32 v74, 0x3fb8aa3b, v74
	s_delay_alu instid0(VALU_DEP_4) | instskip(SKIP_1) | instid1(VALU_DEP_4)
	v_dual_mul_f32 v80, 0x3fb8aa3b, v80 :: v_dual_mul_f32 v83, 0x3fb8aa3b, v83
	v_fma_f32 v77, s19, v131, -v73
	v_exp_f32_e32 v82, v78
	s_delay_alu instid0(VALU_DEP_3) | instskip(NEXT) | instid1(VALU_DEP_2)
	v_exp_f32_e32 v74, v74
	v_exp_f32_e32 v84, v80
	;; [unrolled: 1-line block ×3, first 2 shown]
	v_mul_f32_e32 v77, 0x3fb8aa3b, v77
	s_delay_alu instid0(VALU_DEP_1)
	v_exp_f32_e32 v77, v77
	v_cndmask_b32_e64 v80, 0, v82, s5
	v_fma_f32 v82, s19, v113, -v73
	v_mul_f32_e32 v75, 0x3fb8aa3b, v75
	s_waitcnt_depctr 0xfff
	v_cndmask_b32_e64 v85, 0, v85, s8
	v_cndmask_b32_e32 v79, 0, v74, vcc_lo
	v_fma_f32 v74, s19, v134, -v73
	v_mul_f32_e32 v86, 0x3fb8aa3b, v82
	v_exp_f32_e32 v75, v75
	v_cndmask_b32_e64 v83, 0, v84, s6
	v_cndmask_b32_e64 v81, 0, v77, s4
	v_mul_f32_e32 v74, 0x3fb8aa3b, v74
	v_exp_f32_e32 v86, v86
	s_delay_alu instid0(VALU_DEP_1) | instskip(NEXT) | instid1(TRANS32_DEP_3)
	v_exp_f32_e32 v74, v74
	v_cndmask_b32_e64 v78, 0, v75, s3
	v_add_f32_e32 v75, 0, v79
	s_mov_b32 s3, exec_lo
	s_delay_alu instid0(VALU_DEP_1) | instskip(SKIP_3) | instid1(VALU_DEP_1)
	v_add_f32_e32 v75, v75, v78
	s_waitcnt_depctr 0xfff
	v_cndmask_b32_e64 v82, 0, v74, s7
	v_add_f32_e32 v75, v75, v81
	v_add_f32_e32 v75, v75, v80
	s_delay_alu instid0(VALU_DEP_1)
	v_add_f32_e32 v74, v75, v83
	v_fma_f32 v90, s19, v118, -v73
	v_fma_f32 v84, s19, v114, -v73
	;; [unrolled: 1-line block ×5, first 2 shown]
	v_mul_f32_e32 v90, 0x3fb8aa3b, v90
	v_mul_f32_e32 v84, 0x3fb8aa3b, v84
	s_delay_alu instid0(VALU_DEP_4) | instskip(SKIP_1) | instid1(VALU_DEP_4)
	v_dual_add_f32 v74, v74, v82 :: v_dual_mul_f32 v89, 0x3fb8aa3b, v87
	v_cndmask_b32_e64 v87, 0, v86, s10
	v_exp_f32_e32 v90, v90
	s_delay_alu instid0(VALU_DEP_3) | instskip(NEXT) | instid1(VALU_DEP_2)
	v_exp_f32_e32 v88, v84
	v_add_f32_e32 v74, v74, v85
	v_exp_f32_e32 v91, v89
	v_fma_f32 v92, s19, v120, -v73
	s_delay_alu instid0(TRANS32_DEP_3)
	v_cndmask_b32_e64 v90, 0, v90, s16
	v_mul_f32_e32 v75, 0x3fb8aa3b, v75
	s_waitcnt_depctr 0xfff
	v_cndmask_b32_e64 v86, 0, v88, s11
	v_fma_f32 v88, s19, v119, -v73
	v_exp_f32_e32 v75, v75
	s_waitcnt_depctr 0xfff
	v_cndmask_b32_e64 v89, 0, v75, s12
	v_mul_f32_e32 v75, 0x3fb8aa3b, v88
	v_cndmask_b32_e64 v88, 0, v91, s13
	v_mul_f32_e32 v77, 0x3fb8aa3b, v77
	s_delay_alu instid0(VALU_DEP_3) | instskip(NEXT) | instid1(VALU_DEP_1)
	v_exp_f32_e32 v75, v75
	v_exp_f32_e32 v77, v77
	s_waitcnt_depctr 0xfff
	v_cndmask_b32_e64 v93, 0, v75, s17
	v_cndmask_b32_e64 v84, 0, v77, s9
	v_fma_f32 v77, s19, v117, -v73
	s_delay_alu instid0(VALU_DEP_2) | instskip(NEXT) | instid1(VALU_DEP_1)
	v_add_f32_e32 v74, v74, v84
	v_add_f32_e32 v74, v74, v87
	s_delay_alu instid0(VALU_DEP_1) | instskip(NEXT) | instid1(VALU_DEP_1)
	v_add_f32_e32 v74, v74, v86
	v_add_f32_e32 v74, v74, v89
	s_delay_alu instid0(VALU_DEP_1) | instskip(NEXT) | instid1(VALU_DEP_1)
	v_dual_add_f32 v74, v74, v88 :: v_dual_mul_f32 v77, 0x3fb8aa3b, v77
	v_exp_f32_e32 v77, v77
	s_waitcnt_depctr 0xfff
	v_cndmask_b32_e64 v91, 0, v77, s15
	s_delay_alu instid0(VALU_DEP_1) | instskip(NEXT) | instid1(VALU_DEP_1)
	v_dual_mul_f32 v77, 0x3fb8aa3b, v92 :: v_dual_add_f32 v74, v74, v91
	v_exp_f32_e32 v77, v77
	s_delay_alu instid0(VALU_DEP_1) | instskip(NEXT) | instid1(VALU_DEP_1)
	v_add_f32_e32 v74, v74, v90
	v_add_f32_e32 v74, v74, v93
	s_waitcnt_depctr 0xfff
	v_cndmask_b32_e64 v92, 0, v77, s18
	s_delay_alu instid0(VALU_DEP_1)
	v_add_f32_e32 v74, v74, v92
	ds_bpermute_b32 v75, v76, v74
	v_cmpx_gt_u32_e32 16, v71
	s_cbranch_execz .LBB1311_12
; %bb.11:
	v_mul_u32_u24_e32 v71, 0x44, v72
	s_waitcnt lgkmcnt(0)
	v_add_f32_e32 v74, v74, v75
	s_delay_alu instid0(VALU_DEP_2) | instskip(NEXT) | instid1(VALU_DEP_1)
	v_lshl_add_u32 v71, v70, 2, v71
	v_add_nc_u32_e32 v71, 0x4000, v71
	ds_store_2addr_b32 v71, v73, v74 offset1:136
.LBB1311_12:
	s_or_b32 exec_lo, exec_lo, s3
	v_lshlrev_b32_e32 v71, 2, v70
	s_load_b32 s35, s[0:1], 0x94
	s_waitcnt lgkmcnt(0)
	s_barrier
	buffer_gl0_inv
	v_add_nc_u32_e32 v71, 0x4000, v71
	v_cmp_eq_u32_e32 vcc_lo, 1, v72
	v_cmp_eq_u32_e64 s3, 2, v72
	v_cmp_eq_u32_e64 s4, 3, v72
	;; [unrolled: 1-line block ×3, first 2 shown]
	ds_load_2addr_b32 v[73:74], v71 offset1:17
	ds_load_2addr_b32 v[94:95], v71 offset0:34 offset1:51
	ds_load_2addr_b32 v[96:97], v71 offset0:68 offset1:85
	;; [unrolled: 1-line block ×3, first 2 shown]
	v_cmp_eq_u32_e64 s6, 5, v72
	v_cmp_eq_u32_e64 s7, 7, v72
	s_waitcnt lgkmcnt(3)
	v_max3_f32 v75, v73, 0xff7fffff, v74
	s_waitcnt lgkmcnt(2)
	s_delay_alu instid0(VALU_DEP_1) | instskip(SKIP_1) | instid1(VALU_DEP_1)
	v_max3_f32 v75, v75, v94, v95
	s_waitcnt lgkmcnt(1)
	v_max3_f32 v75, v75, v96, v97
	s_waitcnt lgkmcnt(0)
	s_delay_alu instid0(VALU_DEP_1) | instskip(NEXT) | instid1(VALU_DEP_1)
	v_max3_f32 v76, v75, v98, v99
	v_sub_f32_e32 v96, v96, v76
	ds_load_2addr_b32 v[100:101], v71 offset0:136 offset1:153
	v_sub_f32_e32 v73, v73, v76
	v_sub_f32_e32 v75, v74, v76
	;; [unrolled: 1-line block ×3, first 2 shown]
	v_mul_f32_e32 v105, 0x3fb8aa3b, v96
	s_delay_alu instid0(VALU_DEP_4)
	v_mul_f32_e32 v77, 0x3fb8aa3b, v73
	ds_load_2addr_b32 v[73:74], v71 offset0:170 offset1:187
	v_mul_f32_e32 v103, 0x3fb8aa3b, v94
	v_exp_f32_e32 v102, v77
	v_sub_f32_e32 v77, v95, v76
	ds_load_2addr_b32 v[94:95], v71 offset0:204 offset1:221
	v_exp_f32_e32 v103, v103
	v_mul_f32_e32 v104, 0x3fb8aa3b, v77
	s_waitcnt lgkmcnt(2)
	v_fma_f32 v77, v102, v100, 0
	v_dual_sub_f32 v100, v97, v76 :: v_dual_mul_f32 v75, 0x3fb8aa3b, v75
	ds_load_2addr_b32 v[96:97], v71 offset0:238 offset1:255
	v_sub_f32_e32 v71, v98, v76
	v_exp_f32_e32 v104, v104
	v_mul_f32_e32 v98, 0x3fb8aa3b, v100
	v_exp_f32_e32 v75, v75
	v_exp_f32_e32 v100, v105
	v_mul_f32_e32 v71, 0x3fb8aa3b, v71
	s_waitcnt lgkmcnt(0)
	v_exp_f32_e32 v98, v98
	s_barrier
	buffer_gl0_inv
	v_fmac_f32_e32 v77, v75, v101
	s_delay_alu instid0(VALU_DEP_1) | instskip(SKIP_2) | instid1(VALU_DEP_2)
	v_fmac_f32_e32 v77, v103, v73
	v_sub_f32_e32 v73, v99, v76
	v_exp_f32_e32 v99, v71
	v_fmac_f32_e32 v77, v104, v74
	s_delay_alu instid0(VALU_DEP_2) | instskip(NEXT) | instid1(VALU_DEP_2)
	v_dual_mul_f32 v73, 0x3fb8aa3b, v73 :: v_dual_lshlrev_b32 v74, 6, v70
	v_dual_fmac_f32 v77, v100, v94 :: v_dual_lshlrev_b32 v70, 2, v69
	s_delay_alu instid0(VALU_DEP_2) | instskip(SKIP_1) | instid1(VALU_DEP_3)
	v_exp_f32_e32 v94, v73
	v_cndmask_b32_e32 v73, v102, v75, vcc_lo
	v_lshl_or_b32 v75, v72, 11, v74
	s_delay_alu instid0(VALU_DEP_3) | instskip(SKIP_1) | instid1(VALU_DEP_3)
	v_cmp_eq_u32_e64 s8, 7, v70
	v_fmac_f32_e32 v77, v98, v95
	v_lshl_or_b32 v69, v69, 4, v75
	s_delay_alu instid0(VALU_DEP_2)
	v_fmac_f32_e32 v77, v99, v96
	s_delay_alu instid0(TRANS32_DEP_1) | instid1(VALU_DEP_1)
	v_fmac_f32_e32 v77, v94, v97
	s_delay_alu instid0(VALU_DEP_1) | instskip(NEXT) | instid1(VALU_DEP_1)
	v_add_f32_e32 v95, 0x358637bd, v77
	v_div_scale_f32 v96, null, v95, v95, 1.0
	v_div_scale_f32 v101, vcc_lo, 1.0, v95, 1.0
	s_delay_alu instid0(VALU_DEP_2) | instskip(SKIP_2) | instid1(VALU_DEP_1)
	v_rcp_f32_e32 v97, v96
	s_waitcnt_depctr 0xfff
	v_fma_f32 v71, -v96, v97, 1.0
	v_fmac_f32_e32 v97, v71, v97
	v_cndmask_b32_e64 v71, v73, v103, s3
	v_cmp_eq_u32_e64 s3, 6, v72
	v_or_b32_e32 v73, 1, v70
	v_or_b32_e32 v72, 3, v70
	v_mul_f32_e32 v102, v101, v97
	v_cndmask_b32_e64 v71, v71, v104, s4
	v_cmp_eq_u32_e64 s4, 1, v70
	v_cmp_eq_u32_e64 s9, 1, v73
	;; [unrolled: 1-line block ×3, first 2 shown]
	v_fma_f32 v103, -v96, v102, v101
	v_cndmask_b32_e64 v100, v71, v100, s5
	v_or_b32_e32 v71, 2, v70
	v_cmp_eq_u32_e64 s5, 2, v70
	v_cmp_eq_u32_e64 s12, 2, v73
	v_fmac_f32_e32 v102, v103, v97
	v_cndmask_b32_e64 v98, v100, v98, s6
	v_cmp_eq_u32_e64 s10, 1, v71
	v_cmp_eq_u32_e64 s15, 2, v71
	;; [unrolled: 1-line block ×3, first 2 shown]
	v_fma_f32 v96, -v96, v102, v101
	v_cndmask_b32_e64 v98, v98, v99, s3
	v_cmp_eq_u32_e64 s13, 3, v73
	v_cmp_eq_u32_e64 s18, 3, v72
	;; [unrolled: 1-line block ×3, first 2 shown]
	v_div_fmas_f32 v96, v96, v97, v102
	v_cndmask_b32_e64 v94, v98, v94, s7
	v_cmp_eq_u32_e32 vcc_lo, 3, v70
	v_cmp_eq_u32_e64 s17, 3, v71
	v_cmp_eq_u32_e64 s19, 4, v73
	v_div_fixup_f32 v95, v96, v95, 1.0
	v_cmp_eq_u32_e64 s22, 4, v72
	v_cmp_eq_u32_e64 s6, 5, v70
	;; [unrolled: 1-line block ×4, first 2 shown]
	v_mul_f32_e32 v102, v94, v95
	v_cmp_eq_u32_e64 s24, 5, v72
	v_cmp_eq_u32_e64 s23, 5, v71
	;; [unrolled: 1-line block ×4, first 2 shown]
	v_fma_mixlo_f16 v94, v102, v79, 0
	v_fma_mixlo_f16 v95, v102, v81, 0
	;; [unrolled: 1-line block ×8, first 2 shown]
	v_fma_mixhi_f16 v94, v102, v78, 0
	v_fma_mixhi_f16 v95, v102, v80, 0
	;; [unrolled: 1-line block ×8, first 2 shown]
	ds_store_b128 v69, v[94:97]
	ds_store_b128 v69, v[98:101] offset:1024
	s_waitcnt lgkmcnt(0)
	s_barrier
	buffer_gl0_inv
	ds_load_b128 v[78:81], v75
	ds_load_b128 v[82:85], v75 offset:16
	ds_load_b128 v[86:89], v75 offset:1024
	;; [unrolled: 1-line block ×3, first 2 shown]
	v_cmp_eq_u32_e64 s7, 6, v70
	v_cmp_eq_u32_e64 s26, 6, v71
	;; [unrolled: 1-line block ×5, first 2 shown]
	s_waitcnt lgkmcnt(3)
	v_lshrrev_b32_e32 v94, 16, v78
	s_waitcnt lgkmcnt(2)
	v_lshrrev_b32_e32 v98, 16, v82
	;; [unrolled: 2-line block ×4, first 2 shown]
	v_lshrrev_b32_e32 v95, 16, v79
	v_cndmask_b32_e64 v110, v78, v94, s4
	v_cndmask_b32_e64 v111, v82, v98, s4
	;; [unrolled: 1-line block ×8, first 2 shown]
	v_lshrrev_b32_e32 v99, 16, v83
	v_cndmask_b32_e64 v94, v86, v102, s4
	v_cndmask_b32_e64 v98, v90, v106, s4
	;; [unrolled: 1-line block ×15, first 2 shown]
	v_lshrrev_b32_e32 v103, 16, v87
	v_lshrrev_b32_e32 v107, 16, v91
	v_cndmask_b32_e64 v113, v115, v83, s15
	v_cndmask_b32_e64 v82, v94, v87, s5
	;; [unrolled: 1-line block ×7, first 2 shown]
	v_cndmask_b32_e32 v90, v102, v95, vcc_lo
	v_cndmask_b32_e32 v102, v106, v99, vcc_lo
	v_cndmask_b32_e64 v106, v110, v95, s13
	v_cndmask_b32_e64 v110, v111, v99, s13
	;; [unrolled: 1-line block ×4, first 2 shown]
	v_lshrrev_b32_e32 v96, 16, v80
	v_lshrrev_b32_e32 v100, 16, v84
	v_cndmask_b32_e64 v111, v112, v95, s17
	v_cndmask_b32_e64 v112, v113, v99, s17
	v_cndmask_b32_e32 v82, v82, v103, vcc_lo
	v_cndmask_b32_e32 v83, v83, v107, vcc_lo
	v_cndmask_b32_e64 v94, v94, v103, s13
	v_cndmask_b32_e64 v90, v90, v80, s3
	;; [unrolled: 1-line block ×7, first 2 shown]
	v_lshrrev_b32_e32 v104, 16, v88
	v_cndmask_b32_e64 v106, v111, v80, s21
	v_cndmask_b32_e64 v110, v112, v84, s21
	;; [unrolled: 1-line block ×11, first 2 shown]
	v_lshrrev_b32_e32 v97, 16, v81
	v_lshrrev_b32_e32 v101, 16, v85
	v_cndmask_b32_e64 v99, v106, v96, s23
	v_cndmask_b32_e64 v102, v110, v100, s23
	;; [unrolled: 1-line block ×7, first 2 shown]
	v_lshrrev_b32_e32 v105, 16, v89
	v_cndmask_b32_e64 v80, v80, v104, s6
	v_cndmask_b32_e64 v84, v84, v81, s7
	;; [unrolled: 1-line block ×16, first 2 shown]
	v_perm_b32 v81, v79, v78, 0x5040100
	v_perm_b32 v79, v95, v85, 0x5040100
	v_cndmask_b32_e64 v78, v119, v91, s15
	v_cndmask_b32_e64 v85, v117, v91, s12
	;; [unrolled: 1-line block ×3, first 2 shown]
	v_perm_b32 v80, v94, v90, 0x5040100
	v_cndmask_b32_e64 v90, v98, v103, s17
	v_cndmask_b32_e64 v86, v86, v103, s18
	v_cndmask_b32_e64 v87, v87, v107, s18
	v_cndmask_b32_e64 v78, v78, v107, s17
	v_cndmask_b32_e64 v85, v85, v107, s13
	v_lshrrev_b32_e32 v108, 16, v92
	v_cndmask_b32_e64 v90, v90, v88, s21
	v_cndmask_b32_e64 v86, v86, v88, s22
	;; [unrolled: 1-line block ×11, first 2 shown]
	v_lshrrev_b32_e32 v109, 16, v93
	v_cndmask_b32_e64 v82, v82, v93, s7
	v_cndmask_b32_e64 v88, v88, v89, s26
	;; [unrolled: 1-line block ×12, first 2 shown]
	v_perm_b32 v78, v84, v83, 0x5040100
	v_perm_b32 v85, v87, v86, 0x5040100
	;; [unrolled: 1-line block ×5, first 2 shown]
	s_lshl_b32 s8, s33, 1
	s_mov_b32 s3, exec_lo
	ds_store_b128 v69, v[78:81]
	ds_store_b128 v69, v[82:85] offset:1024
	v_cmpx_gt_u32_e32 2, v0
	s_cbranch_execz .LBB1311_14
; %bb.13:
	v_or_b32_e32 v78, s31, v0
	s_load_b128 s[4:7], s[0:1], 0x58
	s_delay_alu instid0(VALU_DEP_1) | instskip(NEXT) | instid1(VALU_DEP_1)
	v_mad_u64_u32 v[79:80], null, s8, s34, v[78:79]
	v_mad_u64_u32 v[80:81], null, v79, s35, s[14:15]
	s_delay_alu instid0(VALU_DEP_1) | instskip(NEXT) | instid1(VALU_DEP_1)
	v_ashrrev_i32_e32 v81, 31, v80
	v_lshlrev_b64 v[78:79], 2, v[80:81]
	s_waitcnt lgkmcnt(0)
	s_delay_alu instid0(VALU_DEP_1) | instskip(NEXT) | instid1(VALU_DEP_2)
	v_add_co_u32 v80, vcc_lo, s6, v78
	v_add_co_ci_u32_e32 v81, vcc_lo, s7, v79, vcc_lo
	v_add_co_u32 v78, vcc_lo, s4, v78
	v_add_co_ci_u32_e32 v79, vcc_lo, s5, v79, vcc_lo
	global_store_b32 v[80:81], v76, off
	global_store_b32 v[78:79], v77, off
.LBB1311_14:
	s_or_b32 exec_lo, exec_lo, s3
	s_waitcnt lgkmcnt(0)
	s_waitcnt_vscnt null, 0x0
	s_barrier
	buffer_gl0_inv
	ds_load_b128 v[84:87], v74
	ds_load_b128 v[88:91], v74 offset:16
	ds_load_b128 v[96:99], v74 offset:2064
	;; [unrolled: 1-line block ×5, first 2 shown]
	v_cmp_eq_u32_e32 vcc_lo, 1, v70
	v_mov_b32_e32 v76, 0
	ds_load_b128 v[112:115], v74 offset:6160
	ds_load_b128 v[108:111], v74 offset:6144
	;; [unrolled: 1-line block ×4, first 2 shown]
	v_cmp_eq_u32_e64 s4, 1, v71
	v_cmp_eq_u32_e64 s3, 1, v73
	;; [unrolled: 1-line block ×3, first 2 shown]
	v_mov_b32_e32 v77, v76
	v_mov_b32_e32 v78, v76
	;; [unrolled: 1-line block ×7, first 2 shown]
	v_cmp_eq_u32_e64 s6, 3, v73
	v_cmp_eq_u32_e64 s7, 7, v73
	s_waitcnt lgkmcnt(8)
	s_delay_alu instid0(VALU_DEP_3)
	v_wmma_f32_16x16x16_f16 v[76:83], v[49:56], v[84:91], v[76:83]
	ds_load_b128 v[53:56], v74 offset:10256
	ds_load_b128 v[49:52], v74 offset:10240
	s_waitcnt lgkmcnt(8)
	v_wmma_f32_16x16x16_f16 v[76:83], v[41:48], v[92:99], v[76:83]
	ds_load_b128 v[45:48], v74 offset:12304
	ds_load_b128 v[41:44], v74 offset:12288
	s_waitcnt lgkmcnt(8)
	v_wmma_f32_16x16x16_f16 v[76:83], v[33:40], v[100:107], v[76:83]
	ds_load_b128 v[37:40], v74 offset:14352
	ds_load_b128 v[33:36], v74 offset:14336
	s_waitcnt lgkmcnt(0)
	s_barrier
	buffer_gl0_inv
	v_wmma_f32_16x16x16_f16 v[76:83], v[1:8], v[108:115], v[76:83]
	s_delay_alu instid0(VALU_DEP_1) | instskip(NEXT) | instid1(VALU_DEP_1)
	v_wmma_f32_16x16x16_f16 v[76:83], v[9:16], v[116:123], v[76:83]
	v_wmma_f32_16x16x16_f16 v[76:83], v[17:24], v[49:56], v[76:83]
	s_delay_alu instid0(VALU_DEP_1) | instskip(NEXT) | instid1(VALU_DEP_1)
	v_wmma_f32_16x16x16_f16 v[76:83], v[25:32], v[41:48], v[76:83]
	v_wmma_f32_16x16x16_f16 v[76:83], v[57:64], v[33:40], v[76:83]
	s_delay_alu instid0(VALU_DEP_1) | instskip(NEXT) | instid1(VALU_DEP_2)
	v_cvt_f16_f32_e32 v1, v76
	v_cvt_f16_f32_e32 v2, v77
	s_delay_alu instid0(VALU_DEP_3) | instskip(NEXT) | instid1(VALU_DEP_4)
	v_cvt_f16_f32_e32 v3, v78
	v_cvt_f16_f32_e32 v4, v79
	;; [unrolled: 1-line block ×6, first 2 shown]
	v_pack_b32_f16 v1, v1, v2
	v_pack_b32_f16 v2, v3, v4
	;; [unrolled: 1-line block ×3, first 2 shown]
	s_delay_alu instid0(VALU_DEP_4)
	v_pack_b32_f16 v4, v7, v8
	ds_store_b128 v69, v[1:4]
	s_waitcnt lgkmcnt(0)
	s_barrier
	buffer_gl0_inv
	ds_load_b128 v[1:4], v75
	ds_load_b128 v[5:8], v75 offset:16
	s_waitcnt lgkmcnt(1)
	v_lshrrev_b32_e32 v9, 16, v1
	s_waitcnt lgkmcnt(0)
	v_lshrrev_b32_e32 v13, 16, v5
	v_lshrrev_b32_e32 v10, 16, v2
	;; [unrolled: 1-line block ×4, first 2 shown]
	v_cndmask_b32_e32 v17, v1, v9, vcc_lo
	v_cndmask_b32_e32 v18, v5, v13, vcc_lo
	v_cndmask_b32_e64 v21, v1, v9, s4
	v_cmp_eq_u32_e32 vcc_lo, 1, v72
	v_cndmask_b32_e64 v22, v5, v13, s4
	v_cmp_eq_u32_e64 s4, 2, v70
	v_cndmask_b32_e64 v19, v1, v9, s3
	v_cndmask_b32_e64 v20, v5, v13, s3
	v_cndmask_b32_e32 v1, v1, v9, vcc_lo
	v_cmp_eq_u32_e64 s3, 2, v72
	v_cndmask_b32_e32 v5, v5, v13, vcc_lo
	v_cndmask_b32_e64 v9, v17, v2, s4
	v_cmp_eq_u32_e32 vcc_lo, 3, v70
	v_cndmask_b32_e64 v13, v18, v6, s4
	v_cmp_eq_u32_e64 s4, 2, v71
	v_cndmask_b32_e64 v17, v19, v2, s5
	v_cndmask_b32_e64 v18, v20, v6, s5
	v_cmp_eq_u32_e64 s5, 3, v71
	v_cndmask_b32_e64 v1, v1, v2, s3
	v_cndmask_b32_e64 v19, v21, v2, s4
	;; [unrolled: 1-line block ×4, first 2 shown]
	v_cndmask_b32_e32 v5, v9, v10, vcc_lo
	v_cndmask_b32_e32 v6, v13, v14, vcc_lo
	v_cmp_eq_u32_e32 vcc_lo, 3, v72
	v_cndmask_b32_e64 v9, v17, v10, s6
	v_cndmask_b32_e64 v13, v18, v14, s6
	;; [unrolled: 1-line block ×3, first 2 shown]
	v_cmp_eq_u32_e64 s4, 4, v70
	v_cndmask_b32_e32 v1, v1, v10, vcc_lo
	v_cndmask_b32_e32 v2, v2, v14, vcc_lo
	v_cmp_eq_u32_e32 vcc_lo, 4, v73
	v_lshrrev_b32_e32 v15, 16, v7
	v_lshrrev_b32_e32 v16, 16, v8
	v_cndmask_b32_e64 v17, v19, v10, s5
	v_cmp_eq_u32_e64 s3, 4, v72
	v_cndmask_b32_e64 v5, v5, v3, s4
	v_cndmask_b32_e64 v6, v6, v7, s4
	v_cndmask_b32_e32 v9, v9, v3, vcc_lo
	v_cmp_eq_u32_e64 s4, 5, v73
	v_cndmask_b32_e32 v10, v13, v7, vcc_lo
	v_cmp_eq_u32_e32 vcc_lo, 4, v71
	v_cmp_eq_u32_e64 s5, 5, v70
	v_cndmask_b32_e64 v2, v2, v7, s3
	v_cndmask_b32_e64 v9, v9, v11, s4
	;; [unrolled: 1-line block ×3, first 2 shown]
	v_cndmask_b32_e32 v13, v17, v3, vcc_lo
	v_cmp_eq_u32_e64 s4, 5, v71
	v_cndmask_b32_e32 v14, v18, v7, vcc_lo
	v_cndmask_b32_e64 v1, v1, v3, s3
	v_cmp_eq_u32_e32 vcc_lo, 5, v72
	v_lshrrev_b32_e32 v12, 16, v4
	v_cndmask_b32_e64 v13, v13, v11, s4
	v_cndmask_b32_e64 v3, v14, v15, s4
	v_cmp_eq_u32_e64 s4, 6, v72
	v_cndmask_b32_e32 v1, v1, v11, vcc_lo
	v_cndmask_b32_e64 v5, v5, v11, s5
	v_cmp_eq_u32_e64 s6, 6, v70
	v_cndmask_b32_e64 v6, v6, v15, s5
	v_cmp_eq_u32_e64 s5, 6, v73
	v_cmp_eq_u32_e64 s3, 6, v71
	v_cndmask_b32_e64 v1, v1, v4, s4
	v_cndmask_b32_e32 v2, v2, v15, vcc_lo
	v_cmp_eq_u32_e32 vcc_lo, 7, v72
	v_cndmask_b32_e64 v5, v5, v4, s6
	v_cndmask_b32_e64 v9, v9, v4, s5
	;; [unrolled: 1-line block ×3, first 2 shown]
	v_cmp_eq_u32_e64 s6, 7, v70
	v_cndmask_b32_e32 v1, v1, v12, vcc_lo
	v_cndmask_b32_e64 v7, v13, v4, s3
	v_cndmask_b32_e64 v3, v3, v8, s3
	;; [unrolled: 1-line block ×3, first 2 shown]
	v_cmp_eq_u32_e64 s3, 7, v71
	v_cndmask_b32_e64 v4, v10, v8, s5
	v_cndmask_b32_e64 v5, v5, v12, s6
	;; [unrolled: 1-line block ×3, first 2 shown]
	v_cndmask_b32_e32 v2, v2, v16, vcc_lo
	v_cndmask_b32_e64 v7, v7, v12, s3
	v_cndmask_b32_e64 v3, v3, v16, s3
	;; [unrolled: 1-line block ×4, first 2 shown]
	v_perm_b32 v4, v2, v1, 0x5040100
	s_delay_alu instid0(VALU_DEP_4) | instskip(NEXT) | instid1(VALU_DEP_4)
	v_perm_b32 v3, v3, v7, 0x5040100
	v_perm_b32 v2, v8, v9, 0x5040100
	s_delay_alu instid0(VALU_DEP_4)
	v_perm_b32 v1, v6, v5, 0x5040100
	ds_store_b128 v69, v[1:4]
	s_waitcnt lgkmcnt(0)
	s_barrier
	buffer_gl0_inv
	s_and_saveexec_b32 s3, s2
	s_cbranch_execz .LBB1311_2
; %bb.15:
	s_load_b64 s[0:1], s[0:1], 0x68
	v_lshlrev_b32_e32 v0, 10, v0
	s_lshl_b32 s2, s35, 7
	v_lshlrev_b32_e32 v1, 4, v68
	v_mul_lo_u32 v4, s2, v67
	s_mul_i32 s3, s2, s34
	v_and_b32_e32 v0, 0x3800, v0
	s_mul_i32 s2, s3, s8
	s_delay_alu instid0(SALU_CYCLE_1) | instskip(NEXT) | instid1(VALU_DEP_1)
	s_ashr_i32 s3, s2, 31
	v_or3_b32 v0, v0, v66, v1
	s_lshl_b64 s[2:3], s[2:3], 1
	s_delay_alu instid0(VALU_DEP_3)
	v_ashrrev_i32_e32 v5, 31, v4
	ds_load_b128 v[0:3], v0
	v_lshlrev_b64 v[4:5], 1, v[4:5]
	s_waitcnt lgkmcnt(0)
	s_add_u32 s2, s0, s2
	s_addc_u32 s3, s1, s3
	s_lshl_b32 s0, s14, 7
	s_delay_alu instid0(SALU_CYCLE_1) | instskip(NEXT) | instid1(SALU_CYCLE_1)
	s_ashr_i32 s1, s0, 31
	s_lshl_b64 s[0:1], s[0:1], 1
	s_delay_alu instid0(SALU_CYCLE_1) | instskip(SKIP_3) | instid1(VALU_DEP_2)
	s_add_u32 s0, s2, s0
	s_addc_u32 s1, s3, s1
	v_add_co_u32 v4, vcc_lo, s0, v4
	v_add_co_ci_u32_e32 v5, vcc_lo, s1, v5, vcc_lo
	v_add_co_u32 v4, vcc_lo, v4, v65
	s_delay_alu instid0(VALU_DEP_2)
	v_add_co_ci_u32_e32 v5, vcc_lo, 0, v5, vcc_lo
	global_store_b128 v[4:5], v[0:3], off
	s_nop 0
	s_sendmsg sendmsg(MSG_DEALLOC_VGPRS)
	s_endpgm
	.section	.rodata,"a",@progbits
	.p2align	6, 0x0
	.amdhsa_kernel _Z39paged_attention_ll4mi_QKV_mfma16_kernelIDF16_hLN4vllm18Fp8KVCacheDataTypeE1EhLi32ELi128ELi256ELb0ELi2EL8MFMAType0EEvPKT_PKT0_S8_ifPKiSA_SA_iPKfiiiPfSD_PS3_PT2_iSC_SC_
		.amdhsa_group_segment_fixed_size 17472
		.amdhsa_private_segment_fixed_size 0
		.amdhsa_kernarg_size 400
		.amdhsa_user_sgpr_count 13
		.amdhsa_user_sgpr_dispatch_ptr 0
		.amdhsa_user_sgpr_queue_ptr 0
		.amdhsa_user_sgpr_kernarg_segment_ptr 1
		.amdhsa_user_sgpr_dispatch_id 0
		.amdhsa_user_sgpr_private_segment_size 0
		.amdhsa_wavefront_size32 1
		.amdhsa_uses_dynamic_stack 0
		.amdhsa_enable_private_segment 0
		.amdhsa_system_sgpr_workgroup_id_x 1
		.amdhsa_system_sgpr_workgroup_id_y 1
		.amdhsa_system_sgpr_workgroup_id_z 1
		.amdhsa_system_sgpr_workgroup_info 0
		.amdhsa_system_vgpr_workitem_id 0
		.amdhsa_next_free_vgpr 146
		.amdhsa_next_free_sgpr 39
		.amdhsa_reserve_vcc 1
		.amdhsa_float_round_mode_32 0
		.amdhsa_float_round_mode_16_64 0
		.amdhsa_float_denorm_mode_32 3
		.amdhsa_float_denorm_mode_16_64 3
		.amdhsa_dx10_clamp 1
		.amdhsa_ieee_mode 1
		.amdhsa_fp16_overflow 0
		.amdhsa_workgroup_processor_mode 1
		.amdhsa_memory_ordered 1
		.amdhsa_forward_progress 0
		.amdhsa_shared_vgpr_count 0
		.amdhsa_exception_fp_ieee_invalid_op 0
		.amdhsa_exception_fp_denorm_src 0
		.amdhsa_exception_fp_ieee_div_zero 0
		.amdhsa_exception_fp_ieee_overflow 0
		.amdhsa_exception_fp_ieee_underflow 0
		.amdhsa_exception_fp_ieee_inexact 0
		.amdhsa_exception_int_div_zero 0
	.end_amdhsa_kernel
	.section	.text._Z39paged_attention_ll4mi_QKV_mfma16_kernelIDF16_hLN4vllm18Fp8KVCacheDataTypeE1EhLi32ELi128ELi256ELb0ELi2EL8MFMAType0EEvPKT_PKT0_S8_ifPKiSA_SA_iPKfiiiPfSD_PS3_PT2_iSC_SC_,"axG",@progbits,_Z39paged_attention_ll4mi_QKV_mfma16_kernelIDF16_hLN4vllm18Fp8KVCacheDataTypeE1EhLi32ELi128ELi256ELb0ELi2EL8MFMAType0EEvPKT_PKT0_S8_ifPKiSA_SA_iPKfiiiPfSD_PS3_PT2_iSC_SC_,comdat
.Lfunc_end1311:
	.size	_Z39paged_attention_ll4mi_QKV_mfma16_kernelIDF16_hLN4vllm18Fp8KVCacheDataTypeE1EhLi32ELi128ELi256ELb0ELi2EL8MFMAType0EEvPKT_PKT0_S8_ifPKiSA_SA_iPKfiiiPfSD_PS3_PT2_iSC_SC_, .Lfunc_end1311-_Z39paged_attention_ll4mi_QKV_mfma16_kernelIDF16_hLN4vllm18Fp8KVCacheDataTypeE1EhLi32ELi128ELi256ELb0ELi2EL8MFMAType0EEvPKT_PKT0_S8_ifPKiSA_SA_iPKfiiiPfSD_PS3_PT2_iSC_SC_
                                        ; -- End function
	.section	.AMDGPU.csdata,"",@progbits
; Kernel info:
; codeLenInByte = 6456
; NumSgprs: 41
; NumVgprs: 146
; ScratchSize: 0
; MemoryBound: 0
; FloatMode: 240
; IeeeMode: 1
; LDSByteSize: 17472 bytes/workgroup (compile time only)
; SGPRBlocks: 5
; VGPRBlocks: 18
; NumSGPRsForWavesPerEU: 41
; NumVGPRsForWavesPerEU: 146
; Occupancy: 9
; WaveLimiterHint : 1
; COMPUTE_PGM_RSRC2:SCRATCH_EN: 0
; COMPUTE_PGM_RSRC2:USER_SGPR: 13
; COMPUTE_PGM_RSRC2:TRAP_HANDLER: 0
; COMPUTE_PGM_RSRC2:TGID_X_EN: 1
; COMPUTE_PGM_RSRC2:TGID_Y_EN: 1
; COMPUTE_PGM_RSRC2:TGID_Z_EN: 1
; COMPUTE_PGM_RSRC2:TIDIG_COMP_CNT: 0
	.section	.text._Z39paged_attention_ll4mi_QKV_mfma16_kernelIDF16_hLN4vllm18Fp8KVCacheDataTypeE1EhLi32ELi128ELi256ELb0ELi3EL8MFMAType0EEvPKT_PKT0_S8_ifPKiSA_SA_iPKfiiiPfSD_PS3_PT2_iSC_SC_,"axG",@progbits,_Z39paged_attention_ll4mi_QKV_mfma16_kernelIDF16_hLN4vllm18Fp8KVCacheDataTypeE1EhLi32ELi128ELi256ELb0ELi3EL8MFMAType0EEvPKT_PKT0_S8_ifPKiSA_SA_iPKfiiiPfSD_PS3_PT2_iSC_SC_,comdat
	.protected	_Z39paged_attention_ll4mi_QKV_mfma16_kernelIDF16_hLN4vllm18Fp8KVCacheDataTypeE1EhLi32ELi128ELi256ELb0ELi3EL8MFMAType0EEvPKT_PKT0_S8_ifPKiSA_SA_iPKfiiiPfSD_PS3_PT2_iSC_SC_ ; -- Begin function _Z39paged_attention_ll4mi_QKV_mfma16_kernelIDF16_hLN4vllm18Fp8KVCacheDataTypeE1EhLi32ELi128ELi256ELb0ELi3EL8MFMAType0EEvPKT_PKT0_S8_ifPKiSA_SA_iPKfiiiPfSD_PS3_PT2_iSC_SC_
	.globl	_Z39paged_attention_ll4mi_QKV_mfma16_kernelIDF16_hLN4vllm18Fp8KVCacheDataTypeE1EhLi32ELi128ELi256ELb0ELi3EL8MFMAType0EEvPKT_PKT0_S8_ifPKiSA_SA_iPKfiiiPfSD_PS3_PT2_iSC_SC_
	.p2align	8
	.type	_Z39paged_attention_ll4mi_QKV_mfma16_kernelIDF16_hLN4vllm18Fp8KVCacheDataTypeE1EhLi32ELi128ELi256ELb0ELi3EL8MFMAType0EEvPKT_PKT0_S8_ifPKiSA_SA_iPKfiiiPfSD_PS3_PT2_iSC_SC_,@function
_Z39paged_attention_ll4mi_QKV_mfma16_kernelIDF16_hLN4vllm18Fp8KVCacheDataTypeE1EhLi32ELi128ELi256ELb0ELi3EL8MFMAType0EEvPKT_PKT0_S8_ifPKiSA_SA_iPKfiiiPfSD_PS3_PT2_iSC_SC_: ; @_Z39paged_attention_ll4mi_QKV_mfma16_kernelIDF16_hLN4vllm18Fp8KVCacheDataTypeE1EhLi32ELi128ELi256ELb0ELi3EL8MFMAType0EEvPKT_PKT0_S8_ifPKiSA_SA_iPKfiiiPfSD_PS3_PT2_iSC_SC_
; %bb.0:
	s_load_b64 s[4:5], s[0:1], 0x30
	s_mov_b32 s34, s13
	s_waitcnt lgkmcnt(0)
	s_cmp_lg_u64 s[4:5], 0
	s_cselect_b32 s8, -1, 0
	s_ashr_i32 s35, s13, 31
	s_cmp_eq_u64 s[4:5], 0
	s_cbranch_scc1 .LBB1312_3
; %bb.1:
	s_lshl_b64 s[2:3], s[34:35], 2
	s_delay_alu instid0(SALU_CYCLE_1) | instskip(SKIP_4) | instid1(SALU_CYCLE_1)
	s_add_u32 s2, s4, s2
	s_addc_u32 s3, s5, s3
	s_load_b64 s[2:3], s[2:3], 0x0
	s_waitcnt lgkmcnt(0)
	s_sub_i32 s2, s3, s2
	s_cmp_eq_u32 s2, 1
	s_cselect_b32 s2, -1, 0
	s_delay_alu instid0(SALU_CYCLE_1)
	s_and_not1_b32 vcc_lo, exec_lo, s2
	s_cbranch_vccz .LBB1312_4
.LBB1312_2:
	s_nop 0
	s_sendmsg sendmsg(MSG_DEALLOC_VGPRS)
	s_endpgm
.LBB1312_3:
.LBB1312_4:
	s_load_b64 s[2:3], s[0:1], 0x28
	s_lshl_b64 s[6:7], s[34:35], 2
	s_waitcnt lgkmcnt(0)
	s_add_u32 s2, s2, s6
	s_addc_u32 s3, s3, s7
	s_lshl_b32 s12, s14, 8
	s_load_b32 s24, s[2:3], 0x0
	s_waitcnt lgkmcnt(0)
	s_cmp_ge_i32 s12, s24
	s_cbranch_scc1 .LBB1312_2
; %bb.5:
	s_clause 0x1
	s_load_b128 s[20:23], s[0:1], 0x8
	s_load_b64 s[2:3], s[0:1], 0x20
	s_and_not1_b32 vcc_lo, exec_lo, s8
	s_cbranch_vccnz .LBB1312_7
; %bb.6:
	s_add_u32 s4, s4, s6
	s_addc_u32 s5, s5, s7
	s_load_b32 s5, s[4:5], 0x0
	s_branch .LBB1312_8
.LBB1312_7:
	s_mov_b32 s5, s34
.LBB1312_8:
	s_load_b128 s[16:19], s[0:1], 0x48
	v_and_b32_e32 v68, 15, v0
	v_lshrrev_b32_e32 v69, 5, v0
	v_bfe_u32 v66, v0, 4, 1
	v_and_b32_e32 v70, 31, v0
	v_and_b32_e32 v67, 1, v0
	v_lshlrev_b32_e32 v2, 3, v68
	s_mul_i32 s31, s15, 3
	v_lshl_or_b32 v1, v69, 1, v66
	s_mov_b32 s4, exec_lo
	s_delay_alu instid0(VALU_DEP_2) | instskip(NEXT) | instid1(VALU_DEP_2)
	v_lshlrev_b32_e32 v65, 1, v2
	v_cmpx_gt_u32_e32 3, v1
	s_cbranch_execz .LBB1312_10
; %bb.9:
	s_load_b64 s[6:7], s[0:1], 0x0
	v_add_lshl_u32 v2, v1, s31, 7
	s_waitcnt lgkmcnt(0)
	s_mul_hi_i32 s9, s5, s16
	s_mul_i32 s8, s5, s16
	v_lshlrev_b32_e32 v6, 10, v68
	s_lshl_b64 s[8:9], s[8:9], 1
	v_ashrrev_i32_e32 v3, 31, v2
	v_lshlrev_b32_e32 v1, 6, v1
	v_lshlrev_b32_e32 v7, 10, v67
	v_and_b32_e32 v6, 0x3800, v6
	s_delay_alu instid0(VALU_DEP_4) | instskip(NEXT) | instid1(VALU_DEP_2)
	v_lshlrev_b64 v[2:3], 1, v[2:3]
	v_or3_b32 v1, v6, v7, v1
	s_add_u32 s5, s6, s8
	s_addc_u32 s6, s7, s9
	s_delay_alu instid0(VALU_DEP_2) | instskip(NEXT) | instid1(VALU_DEP_3)
	v_add_co_u32 v2, vcc_lo, s5, v2
	v_add_co_ci_u32_e32 v3, vcc_lo, s6, v3, vcc_lo
	s_delay_alu instid0(VALU_DEP_2) | instskip(NEXT) | instid1(VALU_DEP_2)
	v_add_co_u32 v2, vcc_lo, v2, v65
	v_add_co_ci_u32_e32 v3, vcc_lo, 0, v3, vcc_lo
	global_load_b128 v[2:5], v[2:3], off
	s_waitcnt vmcnt(0)
	ds_store_b128 v1, v[2:5]
.LBB1312_10:
	s_or_b32 exec_lo, exec_lo, s4
	v_and_b32_e32 v1, 0xef, v0
	s_waitcnt lgkmcnt(0)
	s_add_i32 s5, s24, 31
	s_clause 0x1
	s_load_b32 s4, s[0:1], 0x38
	s_load_b32 s33, s[0:1], 0x98
	s_ashr_i32 s6, s5, 31
	v_add_nc_u32_e32 v1, s12, v1
	s_lshr_b32 s6, s6, 27
	s_load_b32 s19, s[0:1], 0x1c
	s_add_i32 s5, s5, s6
	s_waitcnt lgkmcnt(0)
	v_ashrrev_i32_e32 v2, 31, v1
	v_or_b32_e32 v3, 16, v1
	s_ashr_i32 s13, s5, 5
	v_cmp_gt_i32_e32 vcc_lo, s24, v1
	s_add_i32 s13, s13, -1
	v_lshrrev_b32_e32 v2, 27, v2
	s_barrier
	buffer_gl0_inv
	s_mul_i32 s15, s15, s18
	v_add_nc_u32_e32 v4, v1, v2
	s_mul_i32 s4, s34, s4
	s_delay_alu instid0(SALU_CYCLE_1) | instskip(NEXT) | instid1(VALU_DEP_1)
	s_ashr_i32 s5, s4, 31
	v_ashrrev_i32_e32 v4, 5, v4
	v_add_nc_u32_e32 v2, v3, v2
	s_lshl_b64 s[4:5], s[4:5], 2
	s_delay_alu instid0(SALU_CYCLE_1) | instskip(NEXT) | instid1(VALU_DEP_2)
	s_add_u32 s16, s2, s4
	v_cndmask_b32_e32 v1, s13, v4, vcc_lo
	s_delay_alu instid0(VALU_DEP_2)
	v_ashrrev_i32_e32 v2, 5, v2
	v_cmp_gt_i32_e32 vcc_lo, s24, v3
	s_addc_u32 s25, s3, s5
	s_ashr_i32 s18, s15, 31
	s_add_u32 s2, s20, s15
	s_addc_u32 s3, s21, s18
	v_cndmask_b32_e32 v3, s13, v2, vcc_lo
	v_ashrrev_i32_e32 v2, 31, v1
	s_lshl_b32 s4, s14, 3
	s_delay_alu instid0(SALU_CYCLE_1) | instskip(NEXT) | instid1(VALU_DEP_2)
	s_ashr_i32 s5, s4, 31
	v_ashrrev_i32_e32 v4, 31, v3
	s_delay_alu instid0(VALU_DEP_2) | instskip(SKIP_1) | instid1(SALU_CYCLE_1)
	v_lshlrev_b64 v[1:2], 2, v[1:2]
	s_lshl_b64 s[4:5], s[4:5], 2
	s_add_u32 s4, s16, s4
	s_delay_alu instid0(VALU_DEP_2) | instskip(SKIP_1) | instid1(VALU_DEP_2)
	v_lshlrev_b64 v[3:4], 2, v[3:4]
	s_addc_u32 s5, s25, s5
	v_add_co_u32 v1, vcc_lo, s16, v1
	v_add_co_ci_u32_e32 v2, vcc_lo, s25, v2, vcc_lo
	s_delay_alu instid0(VALU_DEP_3) | instskip(NEXT) | instid1(VALU_DEP_4)
	v_add_co_u32 v3, vcc_lo, s16, v3
	v_add_co_ci_u32_e32 v4, vcc_lo, s25, v4, vcc_lo
	s_clause 0x1
	global_load_b32 v5, v[1:2], off
	global_load_b32 v6, v[3:4], off
	s_or_b32 s6, s12, 32
	s_delay_alu instid0(SALU_CYCLE_1) | instskip(SKIP_2) | instid1(SALU_CYCLE_1)
	s_ashr_i32 s7, s6, 5
	s_cmp_lt_i32 s6, s24
	s_cselect_b32 s6, s7, s13
	s_ashr_i32 s7, s6, 31
	s_delay_alu instid0(SALU_CYCLE_1) | instskip(NEXT) | instid1(SALU_CYCLE_1)
	s_lshl_b64 s[6:7], s[6:7], 2
	s_add_u32 s6, s16, s6
	s_addc_u32 s7, s25, s7
	s_or_b32 s8, s12, 64
	s_delay_alu instid0(SALU_CYCLE_1) | instskip(SKIP_2) | instid1(SALU_CYCLE_1)
	s_ashr_i32 s9, s8, 5
	s_cmp_lt_i32 s8, s24
	s_cselect_b32 s8, s9, s13
	s_ashr_i32 s9, s8, 31
	s_delay_alu instid0(SALU_CYCLE_1) | instskip(NEXT) | instid1(SALU_CYCLE_1)
	s_lshl_b64 s[8:9], s[8:9], 2
	s_add_u32 s8, s16, s8
	s_addc_u32 s9, s25, s9
	;; [unrolled: 10-line block ×5, first 2 shown]
	s_clause 0x5
	s_load_b32 s28, s[4:5], 0x0
	s_load_b32 s29, s[6:7], 0x0
	;; [unrolled: 1-line block ×6, first 2 shown]
	s_mov_b32 s4, 0
	s_delay_alu instid0(SALU_CYCLE_1)
	s_mov_b32 s5, s4
	s_mov_b32 s6, s4
	;; [unrolled: 1-line block ×7, first 2 shown]
	s_delay_alu instid0(SALU_CYCLE_1)
	v_dual_mov_b32 v118, s11 :: v_dual_mov_b32 v117, s10
	v_dual_mov_b32 v116, s9 :: v_dual_mov_b32 v115, s8
	v_mov_b32_e32 v113, s6
	v_dual_mov_b32 v111, s4 :: v_dual_mov_b32 v114, s7
	v_mov_b32_e32 v112, s5
	s_waitcnt vmcnt(1)
	v_mad_i64_i32 v[1:2], null, v5, s17, s[2:3]
	v_lshlrev_b32_e32 v5, 4, v68
	s_waitcnt vmcnt(0)
	v_mad_i64_i32 v[3:4], null, v6, s17, s[2:3]
	s_or_b32 s2, s12, 0xc0
	s_delay_alu instid0(SALU_CYCLE_1) | instskip(NEXT) | instid1(VALU_DEP_3)
	s_ashr_i32 s3, s2, 5
	v_add_co_u32 v1, vcc_lo, v1, v5
	s_delay_alu instid0(VALU_DEP_4) | instskip(NEXT) | instid1(VALU_DEP_3)
	v_add_co_ci_u32_e32 v2, vcc_lo, 0, v2, vcc_lo
	v_add_co_u32 v3, vcc_lo, v3, v5
	s_delay_alu instid0(VALU_DEP_4)
	v_add_co_ci_u32_e32 v4, vcc_lo, 0, v4, vcc_lo
	s_clause 0xf
	global_load_b128 v[17:20], v[1:2], off
	global_load_b128 v[21:24], v[1:2], off offset:512
	global_load_b128 v[25:28], v[3:4], off offset:256
	;; [unrolled: 1-line block ×15, first 2 shown]
	v_mul_lo_u16 v1, 0x56, v68
	s_cmp_lt_i32 s2, s24
	v_lshlrev_b32_e32 v2, 5, v68
	s_cselect_b32 s2, s3, s13
	s_delay_alu instid0(VALU_DEP_2) | instskip(SKIP_1) | instid1(SALU_CYCLE_1)
	v_lshrrev_b16 v1, 8, v1
	s_ashr_i32 s3, s2, 31
	s_lshl_b64 s[2:3], s[2:3], 2
	s_delay_alu instid0(VALU_DEP_1) | instskip(SKIP_3) | instid1(VALU_DEP_1)
	v_mul_lo_u16 v1, v1, 3
	s_add_u32 s2, s16, s2
	s_addc_u32 s3, s25, s3
	s_or_b32 s20, s12, 0xe0
	v_sub_nc_u16 v1, v68, v1
	s_ashr_i32 s21, s20, 5
	s_cmp_lt_i32 s20, s24
	s_cselect_b32 s20, s21, s13
	s_delay_alu instid0(VALU_DEP_1) | instskip(SKIP_1) | instid1(SALU_CYCLE_1)
	v_and_b32_e32 v1, 0xff, v1
	s_ashr_i32 s21, s20, 31
	s_lshl_b64 s[4:5], s[20:21], 2
	s_delay_alu instid0(VALU_DEP_1)
	v_lshlrev_b32_e32 v149, 6, v1
	s_add_u32 s4, s16, s4
	s_addc_u32 s5, s25, s5
	v_lshl_or_b32 v1, v69, 9, v2
	ds_load_b128 v[119:122], v149
	ds_load_b128 v[123:126], v149 offset:1024
	ds_load_b128 v[127:130], v149 offset:2048
	ds_load_b128 v[131:134], v149 offset:3072
	s_clause 0x1
	s_load_b32 s2, s[2:3], 0x0
	s_load_b32 s3, s[4:5], 0x0
	s_add_u32 s6, s22, s15
	s_addc_u32 s7, s23, s18
	v_add_co_u32 v135, s6, s6, v1
	s_delay_alu instid0(VALU_DEP_1) | instskip(SKIP_1) | instid1(VALU_DEP_1)
	v_add_co_ci_u32_e64 v136, null, s7, 0, s6
	s_waitcnt lgkmcnt(0)
	v_mad_i64_i32 v[1:2], null, s28, s17, v[135:136]
	v_mad_i64_i32 v[3:4], null, s29, s17, v[135:136]
	;; [unrolled: 1-line block ×6, first 2 shown]
	s_clause 0x9
	global_load_b128 v[49:52], v[1:2], off
	global_load_b128 v[53:56], v[1:2], off offset:16
	global_load_b128 v[41:44], v[3:4], off
	global_load_b128 v[45:48], v[3:4], off offset:16
	;; [unrolled: 2-line block ×5, first 2 shown]
	v_mad_i64_i32 v[145:146], null, s2, s17, v[135:136]
	v_mad_i64_i32 v[147:148], null, s3, s17, v[135:136]
	s_waitcnt vmcnt(24)
	v_wmma_f32_16x16x16_f16 v[135:142], v[17:24], v[119:126], v[111:118]
	s_waitcnt vmcnt(22)
	v_wmma_f32_16x16x16_f16 v[111:118], v[25:32], v[119:126], v[111:118]
	s_clause 0x3
	global_load_b128 v[17:20], v[143:144], off
	global_load_b128 v[21:24], v[143:144], off offset:16
	global_load_b128 v[25:28], v[145:146], off
	global_load_b128 v[29:32], v[145:146], off offset:16
	v_and_b32_e32 v119, 0xe0, v0
	s_waitcnt vmcnt(24)
	v_wmma_f32_16x16x16_f16 v[135:142], v[57:64], v[127:134], v[135:142]
	s_clause 0x1
	global_load_b128 v[57:60], v[147:148], off
	global_load_b128 v[61:64], v[147:148], off offset:16
	s_waitcnt vmcnt(24)
	v_wmma_f32_16x16x16_f16 v[111:118], v[71:78], v[127:134], v[111:118]
	ds_load_b128 v[71:74], v149 offset:4096
	ds_load_b128 v[75:78], v149 offset:5120
	v_add_nc_u32_e32 v128, s12, v119
	ds_load_b128 v[119:122], v149 offset:6144
	ds_load_b128 v[123:126], v149 offset:7168
	v_mbcnt_lo_u32_b32 v127, -1, 0
	s_waitcnt vmcnt(0) lgkmcnt(0)
	s_barrier
	v_or_b32_e32 v128, v128, v66
	buffer_gl0_inv
	v_xor_b32_e32 v129, 16, v127
	v_or_b32_e32 v130, 4, v128
	v_or_b32_e32 v131, 6, v128
	s_delay_alu instid0(VALU_DEP_3) | instskip(SKIP_4) | instid1(VALU_DEP_4)
	v_cmp_gt_i32_e32 vcc_lo, 32, v129
	v_or_b32_e32 v132, 8, v128
	v_or_b32_e32 v133, 10, v128
	v_cmp_gt_i32_e64 s3, s24, v130
	v_cmp_gt_i32_e64 s4, s24, v131
	;; [unrolled: 1-line block ×3, first 2 shown]
	v_wmma_f32_16x16x16_f16 v[135:142], v[79:86], v[71:78], v[135:142]
	v_wmma_f32_16x16x16_f16 v[111:118], v[87:94], v[71:78], v[111:118]
	v_or_b32_e32 v79, 12, v128
	v_or_b32_e32 v80, 14, v128
	v_cmp_gt_i32_e64 s6, s24, v133
	v_wmma_f32_16x16x16_f16 v[135:142], v[95:102], v[119:126], v[135:142]
	v_cndmask_b32_e32 v127, v127, v129, vcc_lo
	v_or_b32_e32 v129, 2, v128
	v_wmma_f32_16x16x16_f16 v[111:118], v[103:110], v[119:126], v[111:118]
	v_cmp_gt_i32_e32 vcc_lo, s24, v128
	v_dual_mul_f32 v88, s19, v135 :: v_dual_mul_f32 v87, s19, v136
	s_delay_alu instid0(VALU_DEP_4) | instskip(NEXT) | instid1(VALU_DEP_4)
	v_cmp_gt_i32_e64 s2, s24, v129
	v_mul_f32_e32 v94, s19, v113
	v_mul_f32_e32 v78, s19, v138
	;; [unrolled: 1-line block ×3, first 2 shown]
	v_cndmask_b32_e32 v88, 0xff7fffff, v88, vcc_lo
	v_cndmask_b32_e64 v87, 0xff7fffff, v87, s2
	v_dual_mul_f32 v76, s19, v140 :: v_dual_mul_f32 v77, s19, v139
	v_mul_f32_e32 v90, s19, v117
	v_cndmask_b32_e64 v86, 0xff7fffff, v86, s3
	v_cndmask_b32_e64 v78, 0xff7fffff, v78, s4
	v_max3_f32 v87, v88, 0xff7fffff, v87
	v_or_b32_e32 v81, 16, v128
	v_or_b32_e32 v82, 18, v128
	v_dual_mul_f32 v74, s19, v142 :: v_dual_mul_f32 v75, s19, v141
	v_mul_f32_e32 v92, s19, v115
	v_cndmask_b32_e64 v77, 0xff7fffff, v77, s5
	v_cndmask_b32_e64 v76, 0xff7fffff, v76, s6
	v_max3_f32 v78, v87, v86, v78
	v_cmp_gt_i32_e64 s7, s24, v79
	v_cmp_gt_i32_e64 s8, s24, v80
	v_or_b32_e32 v83, 20, v128
	v_or_b32_e32 v84, 22, v128
	v_dual_mul_f32 v89, s19, v118 :: v_dual_mul_f32 v96, s19, v111
	v_mul_f32_e32 v95, s19, v112
	v_cndmask_b32_e64 v75, 0xff7fffff, v75, s7
	v_cndmask_b32_e64 v74, 0xff7fffff, v74, s8
	v_max3_f32 v76, v78, v77, v76
	v_cmp_gt_i32_e64 s9, s24, v81
	v_cmp_gt_i32_e64 s10, s24, v82
	v_or_b32_e32 v85, 24, v128
	v_or_b32_e32 v71, 26, v128
	v_mul_f32_e32 v93, s19, v114
	v_cndmask_b32_e64 v77, 0xff7fffff, v96, s9
	v_cndmask_b32_e64 v78, 0xff7fffff, v95, s10
	v_max3_f32 v74, v76, v75, v74
	v_cmp_gt_i32_e64 s11, s24, v83
	v_cmp_gt_i32_e64 s12, s24, v84
	v_or_b32_e32 v72, 28, v128
	v_or_b32_e32 v73, 30, v128
	v_mul_f32_e32 v91, s19, v116
	v_cndmask_b32_e64 v75, 0xff7fffff, v94, s11
	v_cndmask_b32_e64 v76, 0xff7fffff, v93, s12
	v_max3_f32 v74, v74, v77, v78
	v_cmp_gt_i32_e64 s13, s24, v85
	v_cmp_gt_i32_e64 s15, s24, v71
	;; [unrolled: 1-line block ×4, first 2 shown]
	v_max3_f32 v74, v74, v75, v76
	v_cndmask_b32_e64 v77, 0xff7fffff, v92, s13
	v_cndmask_b32_e64 v71, 0xff7fffff, v91, s15
	;; [unrolled: 1-line block ×4, first 2 shown]
	s_delay_alu instid0(VALU_DEP_3) | instskip(SKIP_1) | instid1(VALU_DEP_2)
	v_max3_f32 v71, v74, v77, v71
	v_lshlrev_b32_e32 v74, 2, v127
	v_max3_f32 v71, v71, v72, v73
	ds_bpermute_b32 v72, v74, v71
	s_waitcnt lgkmcnt(0)
	v_max_f32_e32 v72, v72, v72
	s_delay_alu instid0(VALU_DEP_1) | instskip(NEXT) | instid1(VALU_DEP_1)
	v_max_f32_e32 v71, v71, v72
	v_fma_f32 v75, s19, v137, -v71
	v_fma_f32 v76, s19, v138, -v71
	;; [unrolled: 1-line block ×5, first 2 shown]
	s_delay_alu instid0(VALU_DEP_4) | instskip(NEXT) | instid1(VALU_DEP_4)
	v_dual_mul_f32 v75, 0x3fb8aa3b, v75 :: v_dual_mul_f32 v76, 0x3fb8aa3b, v76
	v_mul_f32_e32 v72, 0x3fb8aa3b, v72
	v_fma_f32 v77, s19, v139, -v71
	s_delay_alu instid0(VALU_DEP_4) | instskip(NEXT) | instid1(VALU_DEP_4)
	v_mul_f32_e32 v73, 0x3fb8aa3b, v73
	v_exp_f32_e32 v75, v75
	v_exp_f32_e32 v76, v76
	;; [unrolled: 1-line block ×3, first 2 shown]
	s_delay_alu instid0(VALU_DEP_1) | instskip(SKIP_2) | instid1(TRANS32_DEP_3)
	v_exp_f32_e32 v73, v73
	v_cndmask_b32_e64 v81, 0, v75, s3
	v_mul_f32_e32 v82, 0x3fb8aa3b, v80
	v_cndmask_b32_e64 v80, 0, v76, s4
	s_waitcnt_depctr 0xfff
	v_cndmask_b32_e64 v78, 0, v73, s2
	v_cmp_gt_u32_e64 s2, 16, v70
	v_exp_f32_e32 v84, v82
	s_waitcnt_depctr 0xfff
	v_cndmask_b32_e64 v85, 0, v84, s7
	v_cndmask_b32_e32 v79, 0, v72, vcc_lo
	v_fma_f32 v72, s19, v140, -v71
	v_mul_f32_e32 v77, 0x3fb8aa3b, v77
	s_delay_alu instid0(VALU_DEP_2) | instskip(NEXT) | instid1(VALU_DEP_2)
	v_dual_add_f32 v73, 0, v79 :: v_dual_mul_f32 v72, 0x3fb8aa3b, v72
	v_exp_f32_e32 v77, v77
	s_delay_alu instid0(VALU_DEP_1) | instskip(NEXT) | instid1(VALU_DEP_2)
	v_add_f32_e32 v73, v73, v78
	v_exp_f32_e32 v72, v72
	s_delay_alu instid0(VALU_DEP_1) | instskip(SKIP_4) | instid1(VALU_DEP_2)
	v_add_f32_e32 v73, v73, v81
	s_waitcnt_depctr 0xfff
	v_cndmask_b32_e64 v83, 0, v77, s5
	v_add_f32_e32 v73, v73, v80
	v_cndmask_b32_e64 v82, 0, v72, s6
	v_add_f32_e32 v72, v73, v83
	s_delay_alu instid0(VALU_DEP_1)
	v_add_f32_e32 v72, v72, v82
	v_fma_f32 v75, s19, v142, -v71
	v_fma_f32 v76, s19, v111, -v71
	;; [unrolled: 1-line block ×5, first 2 shown]
	s_delay_alu instid0(VALU_DEP_4) | instskip(NEXT) | instid1(VALU_DEP_4)
	v_dual_mul_f32 v75, 0x3fb8aa3b, v75 :: v_dual_mul_f32 v76, 0x3fb8aa3b, v76
	v_mul_f32_e32 v86, 0x3fb8aa3b, v86
	v_add_f32_e32 v72, v72, v85
	s_delay_alu instid0(VALU_DEP_3) | instskip(NEXT) | instid1(VALU_DEP_3)
	v_exp_f32_e32 v75, v75
	v_exp_f32_e32 v76, v76
	s_delay_alu instid0(VALU_DEP_2) | instskip(NEXT) | instid1(TRANS32_DEP_3)
	v_exp_f32_e32 v88, v86
	v_cndmask_b32_e64 v84, 0, v75, s8
	v_mul_f32_e32 v77, 0x3fb8aa3b, v77
	s_waitcnt_depctr 0xfff
	v_cndmask_b32_e64 v87, 0, v76, s9
	v_fma_f32 v76, s19, v116, -v71
	v_dual_mul_f32 v73, 0x3fb8aa3b, v73 :: v_dual_add_f32 v72, v72, v84
	v_exp_f32_e32 v77, v77
	v_fma_f32 v75, s19, v115, -v71
	s_delay_alu instid0(VALU_DEP_3) | instskip(NEXT) | instid1(VALU_DEP_3)
	v_mul_f32_e32 v76, 0x3fb8aa3b, v76
	v_exp_f32_e32 v73, v73
	v_add_f32_e32 v72, v72, v87
	v_cndmask_b32_e64 v88, 0, v88, s12
	s_delay_alu instid0(VALU_DEP_3) | instskip(NEXT) | instid1(TRANS32_DEP_3)
	v_exp_f32_e32 v76, v76
	v_cndmask_b32_e64 v86, 0, v77, s10
	v_mul_f32_e32 v75, 0x3fb8aa3b, v75
	v_fma_f32 v77, s19, v117, -v71
	s_delay_alu instid0(TRANS32_DEP_2) | instskip(NEXT) | instid1(VALU_DEP_4)
	v_cndmask_b32_e64 v89, 0, v73, s11
	v_add_f32_e32 v72, v72, v86
	s_delay_alu instid0(VALU_DEP_4) | instskip(NEXT) | instid1(TRANS32_DEP_2)
	v_exp_f32_e32 v75, v75
	v_cndmask_b32_e64 v90, 0, v76, s15
	s_delay_alu instid0(VALU_DEP_2) | instskip(SKIP_2) | instid1(VALU_DEP_3)
	v_add_f32_e32 v72, v72, v89
	v_mul_f32_e32 v73, 0x3fb8aa3b, v77
	v_fma_f32 v77, s19, v118, -v71
	v_add_f32_e32 v72, v72, v88
	s_delay_alu instid0(VALU_DEP_3) | instskip(NEXT) | instid1(TRANS32_DEP_2)
	v_exp_f32_e32 v73, v73
	v_cndmask_b32_e64 v91, 0, v75, s13
	s_delay_alu instid0(VALU_DEP_1) | instskip(NEXT) | instid1(VALU_DEP_1)
	v_dual_mul_f32 v75, 0x3fb8aa3b, v77 :: v_dual_add_f32 v72, v72, v91
	v_exp_f32_e32 v75, v75
	s_waitcnt_depctr 0xfff
	v_cndmask_b32_e64 v93, 0, v73, s16
	v_add_f32_e32 v72, v72, v90
	s_delay_alu instid0(VALU_DEP_1) | instskip(SKIP_1) | instid1(VALU_DEP_1)
	v_add_f32_e32 v72, v72, v93
	v_cndmask_b32_e64 v92, 0, v75, s17
	v_add_f32_e32 v72, v72, v92
	ds_bpermute_b32 v73, v74, v72
	s_and_saveexec_b32 s3, s2
	s_cbranch_execz .LBB1312_12
; %bb.11:
	v_mul_u32_u24_e32 v70, 0x44, v69
	s_waitcnt lgkmcnt(0)
	v_add_f32_e32 v72, v72, v73
	s_delay_alu instid0(VALU_DEP_2) | instskip(NEXT) | instid1(VALU_DEP_1)
	v_lshl_add_u32 v70, v68, 2, v70
	v_add_nc_u32_e32 v70, 0x4000, v70
	ds_store_2addr_b32 v70, v71, v72 offset1:136
.LBB1312_12:
	s_or_b32 exec_lo, exec_lo, s3
	v_lshlrev_b32_e32 v70, 2, v68
	s_load_b32 s35, s[0:1], 0x94
	s_waitcnt lgkmcnt(0)
	s_barrier
	buffer_gl0_inv
	v_add_nc_u32_e32 v98, 0x4000, v70
	v_cmp_eq_u32_e32 vcc_lo, 1, v69
	v_cmp_eq_u32_e64 s3, 2, v69
	v_cmp_eq_u32_e64 s4, 3, v69
	v_cmp_eq_u32_e64 s5, 4, v69
	ds_load_2addr_b32 v[70:71], v98 offset1:17
	ds_load_2addr_b32 v[72:73], v98 offset0:34 offset1:51
	ds_load_2addr_b32 v[74:75], v98 offset0:68 offset1:85
	;; [unrolled: 1-line block ×3, first 2 shown]
	v_cmp_eq_u32_e64 s6, 5, v69
	v_cmp_eq_u32_e64 s7, 7, v69
	s_waitcnt lgkmcnt(3)
	v_max3_f32 v76, v70, 0xff7fffff, v71
	s_waitcnt lgkmcnt(2)
	s_delay_alu instid0(VALU_DEP_1) | instskip(SKIP_1) | instid1(VALU_DEP_1)
	v_max3_f32 v76, v76, v72, v73
	s_waitcnt lgkmcnt(1)
	v_max3_f32 v76, v76, v74, v75
	s_waitcnt lgkmcnt(0)
	s_delay_alu instid0(VALU_DEP_1) | instskip(NEXT) | instid1(VALU_DEP_1)
	v_max3_f32 v76, v76, v94, v95
	v_sub_f32_e32 v77, v71, v76
	ds_load_2addr_b32 v[96:97], v98 offset0:136 offset1:153
	v_sub_f32_e32 v74, v74, v76
	v_sub_f32_e32 v70, v70, v76
	;; [unrolled: 1-line block ×3, first 2 shown]
	v_dual_sub_f32 v72, v72, v76 :: v_dual_mul_f32 v77, 0x3fb8aa3b, v77
	s_delay_alu instid0(VALU_DEP_4) | instskip(NEXT) | instid1(VALU_DEP_4)
	v_mul_f32_e32 v103, 0x3fb8aa3b, v74
	v_mul_f32_e32 v99, 0x3fb8aa3b, v70
	ds_load_2addr_b32 v[70:71], v98 offset0:170 offset1:187
	v_dual_mul_f32 v101, 0x3fb8aa3b, v72 :: v_dual_mul_f32 v94, 0x3fb8aa3b, v94
	v_exp_f32_e32 v102, v77
	v_exp_f32_e32 v99, v99
	s_delay_alu instid0(VALU_DEP_1) | instskip(NEXT) | instid1(VALU_DEP_1)
	v_exp_f32_e32 v101, v101
	v_exp_f32_e32 v94, v94
	s_waitcnt lgkmcnt(1)
	s_delay_alu instid0(TRANS32_DEP_3)
	v_fma_f32 v77, v99, v96, 0
	v_sub_f32_e32 v100, v73, v76
	ds_load_2addr_b32 v[72:73], v98 offset0:204 offset1:221
	v_fmac_f32_e32 v77, v102, v97
	v_exp_f32_e32 v97, v103
	s_waitcnt lgkmcnt(1)
	s_delay_alu instid0(VALU_DEP_1)
	v_dual_fmac_f32 v77, v101, v70 :: v_dual_sub_f32 v96, v75, v76
	ds_load_2addr_b32 v[74:75], v98 offset0:238 offset1:255
	v_sub_f32_e32 v70, v95, v76
	s_waitcnt lgkmcnt(0)
	s_barrier
	v_mul_f32_e32 v96, 0x3fb8aa3b, v96
	buffer_gl0_inv
	v_exp_f32_e32 v95, v96
	v_mul_f32_e32 v100, 0x3fb8aa3b, v100
	s_delay_alu instid0(VALU_DEP_1) | instskip(SKIP_3) | instid1(VALU_DEP_2)
	v_exp_f32_e32 v100, v100
	s_waitcnt_depctr 0xfff
	v_dual_fmac_f32 v77, v100, v71 :: v_dual_mul_f32 v70, 0x3fb8aa3b, v70
	v_cndmask_b32_e32 v71, v99, v102, vcc_lo
	v_fmac_f32_e32 v77, v97, v72
	s_delay_alu instid0(VALU_DEP_3) | instskip(NEXT) | instid1(VALU_DEP_1)
	v_exp_f32_e32 v96, v70
	v_fmac_f32_e32 v77, v95, v73
	s_delay_alu instid0(VALU_DEP_1) | instskip(SKIP_2) | instid1(VALU_DEP_1)
	v_fmac_f32_e32 v77, v94, v74
	s_waitcnt_depctr 0xfff
	v_fmac_f32_e32 v77, v96, v75
	v_add_f32_e32 v74, 0x358637bd, v77
	s_delay_alu instid0(VALU_DEP_1) | instskip(SKIP_1) | instid1(VALU_DEP_2)
	v_div_scale_f32 v98, null, v74, v74, 1.0
	v_div_scale_f32 v99, vcc_lo, 1.0, v74, 1.0
	v_rcp_f32_e32 v103, v98
	s_waitcnt_depctr 0xfff
	v_fma_f32 v70, -v98, v103, 1.0
	s_delay_alu instid0(VALU_DEP_1) | instskip(SKIP_2) | instid1(VALU_DEP_2)
	v_fmac_f32_e32 v103, v70, v103
	v_cndmask_b32_e64 v70, v71, v101, s3
	v_cmp_eq_u32_e64 s3, 6, v69
	v_cndmask_b32_e64 v71, v70, v100, s4
	s_delay_alu instid0(VALU_DEP_4) | instskip(NEXT) | instid1(VALU_DEP_2)
	v_dual_mul_f32 v101, v99, v103 :: v_dual_lshlrev_b32 v70, 2, v66
	v_cndmask_b32_e64 v71, v71, v97, s5
	s_delay_alu instid0(VALU_DEP_2) | instskip(NEXT) | instid1(VALU_DEP_3)
	v_or_b32_e32 v72, 1, v70
	v_fma_f32 v100, -v98, v101, v99
	v_cmp_eq_u32_e64 s4, 1, v70
	v_cmp_eq_u32_e64 s5, 2, v70
	v_cndmask_b32_e64 v95, v71, v95, s6
	v_or_b32_e32 v71, 3, v70
	v_fmac_f32_e32 v101, v100, v103
	v_cmp_eq_u32_e64 s9, 1, v72
	v_cmp_eq_u32_e64 s12, 2, v72
	v_cndmask_b32_e64 v94, v95, v94, s3
	v_cmp_eq_u32_e64 s11, 1, v71
	v_fma_f32 v97, -v98, v101, v99
	v_cmp_eq_u32_e64 s16, 2, v71
	v_cmp_eq_u32_e64 s13, 3, v72
	v_cndmask_b32_e64 v94, v94, v96, s7
	v_cmp_eq_u32_e64 s18, 3, v71
	v_div_fmas_f32 v95, v97, v103, v101
	v_cmp_eq_u32_e32 vcc_lo, 3, v70
	v_cmp_eq_u32_e64 s3, 4, v70
	v_cmp_eq_u32_e64 s19, 4, v72
	;; [unrolled: 1-line block ×3, first 2 shown]
	v_div_fixup_f32 v95, v95, v74, 1.0
	v_lshlrev_b32_e32 v73, 6, v68
	v_cmp_eq_u32_e64 s6, 5, v70
	v_cmp_eq_u32_e64 s20, 5, v72
	v_cmp_eq_u32_e64 s24, 5, v71
	v_mul_f32_e32 v102, v94, v95
	v_lshl_or_b32 v75, v69, 11, v73
	v_or_b32_e32 v69, 2, v70
	v_cmp_eq_u32_e64 s25, 6, v72
	v_cmp_eq_u32_e64 s27, 6, v71
	v_fma_mixlo_f16 v94, v102, v79, 0
	v_fma_mixlo_f16 v95, v102, v81, 0
	;; [unrolled: 1-line block ×8, first 2 shown]
	v_lshl_or_b32 v74, v66, 4, v75
	v_fma_mixhi_f16 v94, v102, v78, 0
	v_fma_mixhi_f16 v95, v102, v80, 0
	;; [unrolled: 1-line block ×8, first 2 shown]
	ds_store_b128 v74, v[94:97]
	ds_store_b128 v74, v[98:101] offset:1024
	s_waitcnt lgkmcnt(0)
	s_barrier
	buffer_gl0_inv
	ds_load_b128 v[78:81], v75
	ds_load_b128 v[82:85], v75 offset:16
	ds_load_b128 v[86:89], v75 offset:1024
	;; [unrolled: 1-line block ×3, first 2 shown]
	v_cmp_eq_u32_e64 s10, 1, v69
	v_cmp_eq_u32_e64 s15, 2, v69
	v_cmp_eq_u32_e64 s17, 3, v69
	v_cmp_eq_u32_e64 s21, 4, v69
	v_cmp_eq_u32_e64 s23, 5, v69
	v_cmp_eq_u32_e64 s7, 6, v70
	v_cmp_eq_u32_e64 s26, 6, v69
	v_cmp_eq_u32_e64 s29, 7, v71
	v_cmp_eq_u32_e64 s30, 7, v72
	v_cmp_eq_u32_e64 s8, 7, v70
	v_cmp_eq_u32_e64 s28, 7, v69
	s_waitcnt lgkmcnt(3)
	v_lshrrev_b32_e32 v94, 16, v78
	s_waitcnt lgkmcnt(2)
	v_lshrrev_b32_e32 v98, 16, v82
	;; [unrolled: 2-line block ×4, first 2 shown]
	v_lshrrev_b32_e32 v95, 16, v79
	v_cndmask_b32_e64 v110, v78, v94, s4
	v_cndmask_b32_e64 v111, v82, v98, s4
	;; [unrolled: 1-line block ×8, first 2 shown]
	v_lshrrev_b32_e32 v99, 16, v83
	v_cndmask_b32_e64 v94, v86, v102, s4
	v_cndmask_b32_e64 v98, v90, v106, s4
	;; [unrolled: 1-line block ×15, first 2 shown]
	v_lshrrev_b32_e32 v103, 16, v87
	v_lshrrev_b32_e32 v107, 16, v91
	v_cndmask_b32_e64 v113, v115, v83, s15
	v_cndmask_b32_e64 v82, v94, v87, s5
	;; [unrolled: 1-line block ×7, first 2 shown]
	v_cndmask_b32_e32 v90, v102, v95, vcc_lo
	v_cndmask_b32_e32 v102, v106, v99, vcc_lo
	v_cndmask_b32_e64 v106, v110, v95, s13
	v_cndmask_b32_e64 v110, v111, v99, s13
	v_cndmask_b32_e64 v78, v78, v95, s18
	v_cndmask_b32_e64 v79, v79, v99, s18
	v_lshrrev_b32_e32 v96, 16, v80
	v_lshrrev_b32_e32 v100, 16, v84
	v_cndmask_b32_e64 v111, v112, v95, s17
	v_cndmask_b32_e64 v112, v113, v99, s17
	v_cndmask_b32_e32 v82, v82, v103, vcc_lo
	v_cndmask_b32_e32 v83, v83, v107, vcc_lo
	v_cndmask_b32_e64 v94, v94, v103, s13
	v_cndmask_b32_e64 v90, v90, v80, s3
	;; [unrolled: 1-line block ×7, first 2 shown]
	v_lshrrev_b32_e32 v104, 16, v88
	v_cndmask_b32_e64 v106, v111, v80, s21
	v_cndmask_b32_e64 v110, v112, v84, s21
	;; [unrolled: 1-line block ×11, first 2 shown]
	v_lshrrev_b32_e32 v97, 16, v81
	v_lshrrev_b32_e32 v101, 16, v85
	v_cndmask_b32_e64 v99, v106, v96, s23
	v_cndmask_b32_e64 v102, v110, v100, s23
	;; [unrolled: 1-line block ×7, first 2 shown]
	v_lshrrev_b32_e32 v105, 16, v89
	v_cndmask_b32_e64 v80, v80, v104, s6
	v_cndmask_b32_e64 v84, v84, v81, s7
	;; [unrolled: 1-line block ×16, first 2 shown]
	v_perm_b32 v81, v79, v78, 0x5040100
	v_perm_b32 v79, v95, v85, 0x5040100
	v_cndmask_b32_e64 v78, v119, v91, s15
	v_cndmask_b32_e64 v85, v117, v91, s12
	;; [unrolled: 1-line block ×3, first 2 shown]
	v_perm_b32 v80, v94, v90, 0x5040100
	v_cndmask_b32_e64 v90, v98, v103, s17
	v_cndmask_b32_e64 v86, v86, v103, s18
	;; [unrolled: 1-line block ×5, first 2 shown]
	v_lshrrev_b32_e32 v108, 16, v92
	v_cndmask_b32_e64 v90, v90, v88, s21
	v_cndmask_b32_e64 v86, v86, v88, s22
	;; [unrolled: 1-line block ×11, first 2 shown]
	v_lshrrev_b32_e32 v109, 16, v93
	v_cndmask_b32_e64 v82, v82, v93, s7
	v_cndmask_b32_e64 v88, v88, v89, s26
	v_cndmask_b32_e64 v86, v86, v89, s27
	v_cndmask_b32_e64 v87, v87, v93, s27
	v_cndmask_b32_e64 v78, v78, v93, s26
	v_cndmask_b32_e64 v85, v85, v93, s25
	v_cndmask_b32_e64 v88, v88, v105, s28
	v_cndmask_b32_e64 v86, v86, v105, s29
	v_cndmask_b32_e64 v87, v87, v109, s29
	v_cndmask_b32_e64 v89, v78, v109, s28
	v_cndmask_b32_e64 v90, v85, v109, s30
	v_cndmask_b32_e64 v82, v82, v109, s8
	v_perm_b32 v78, v84, v83, 0x5040100
	v_perm_b32 v85, v87, v86, 0x5040100
	;; [unrolled: 1-line block ×5, first 2 shown]
	s_mul_i32 s8, s33, 3
	s_mov_b32 s3, exec_lo
	ds_store_b128 v74, v[78:81]
	ds_store_b128 v74, v[82:85] offset:1024
	v_cmpx_gt_u32_e32 3, v0
	s_cbranch_execz .LBB1312_14
; %bb.13:
	s_mul_i32 s4, s8, s34
	s_delay_alu instid0(SALU_CYCLE_1) | instskip(SKIP_1) | instid1(VALU_DEP_1)
	v_add3_u32 v68, s4, s31, v68
	s_load_b128 s[4:7], s[0:1], 0x58
	v_mad_u64_u32 v[78:79], null, v68, s35, s[14:15]
	s_delay_alu instid0(VALU_DEP_1) | instskip(NEXT) | instid1(VALU_DEP_1)
	v_ashrrev_i32_e32 v79, 31, v78
	v_lshlrev_b64 v[78:79], 2, v[78:79]
	s_waitcnt lgkmcnt(0)
	s_delay_alu instid0(VALU_DEP_1) | instskip(NEXT) | instid1(VALU_DEP_2)
	v_add_co_u32 v80, vcc_lo, s6, v78
	v_add_co_ci_u32_e32 v81, vcc_lo, s7, v79, vcc_lo
	v_add_co_u32 v78, vcc_lo, s4, v78
	v_add_co_ci_u32_e32 v79, vcc_lo, s5, v79, vcc_lo
	global_store_b32 v[80:81], v76, off
	global_store_b32 v[78:79], v77, off
.LBB1312_14:
	s_or_b32 exec_lo, exec_lo, s3
	s_waitcnt lgkmcnt(0)
	s_waitcnt_vscnt null, 0x0
	s_barrier
	buffer_gl0_inv
	ds_load_b128 v[84:87], v73
	ds_load_b128 v[88:91], v73 offset:16
	ds_load_b128 v[96:99], v73 offset:2064
	ds_load_b128 v[92:95], v73 offset:2048
	ds_load_b128 v[104:107], v73 offset:4112
	ds_load_b128 v[100:103], v73 offset:4096
	v_cmp_eq_u32_e32 vcc_lo, 1, v70
	v_mov_b32_e32 v76, 0
	ds_load_b128 v[112:115], v73 offset:6160
	ds_load_b128 v[108:111], v73 offset:6144
	;; [unrolled: 1-line block ×4, first 2 shown]
	v_cmp_eq_u32_e64 s4, 1, v69
	v_cmp_eq_u32_e64 s3, 1, v72
	;; [unrolled: 1-line block ×3, first 2 shown]
	v_mov_b32_e32 v77, v76
	v_mov_b32_e32 v78, v76
	;; [unrolled: 1-line block ×7, first 2 shown]
	v_cmp_eq_u32_e64 s6, 3, v72
	v_cmp_eq_u32_e64 s7, 7, v72
	s_waitcnt lgkmcnt(8)
	s_delay_alu instid0(VALU_DEP_3)
	v_wmma_f32_16x16x16_f16 v[76:83], v[49:56], v[84:91], v[76:83]
	ds_load_b128 v[53:56], v73 offset:10256
	ds_load_b128 v[49:52], v73 offset:10240
	s_waitcnt lgkmcnt(8)
	v_wmma_f32_16x16x16_f16 v[76:83], v[41:48], v[92:99], v[76:83]
	ds_load_b128 v[45:48], v73 offset:12304
	ds_load_b128 v[41:44], v73 offset:12288
	s_waitcnt lgkmcnt(8)
	;; [unrolled: 4-line block ×3, first 2 shown]
	s_barrier
	buffer_gl0_inv
	v_wmma_f32_16x16x16_f16 v[76:83], v[1:8], v[108:115], v[76:83]
	s_delay_alu instid0(VALU_DEP_1) | instskip(NEXT) | instid1(VALU_DEP_1)
	v_wmma_f32_16x16x16_f16 v[76:83], v[9:16], v[116:123], v[76:83]
	v_wmma_f32_16x16x16_f16 v[76:83], v[17:24], v[49:56], v[76:83]
	s_delay_alu instid0(VALU_DEP_1) | instskip(NEXT) | instid1(VALU_DEP_1)
	v_wmma_f32_16x16x16_f16 v[76:83], v[25:32], v[41:48], v[76:83]
	v_wmma_f32_16x16x16_f16 v[76:83], v[57:64], v[33:40], v[76:83]
	s_delay_alu instid0(VALU_DEP_1) | instskip(NEXT) | instid1(VALU_DEP_2)
	v_cvt_f16_f32_e32 v1, v76
	v_cvt_f16_f32_e32 v2, v77
	s_delay_alu instid0(VALU_DEP_3) | instskip(NEXT) | instid1(VALU_DEP_4)
	v_cvt_f16_f32_e32 v3, v78
	v_cvt_f16_f32_e32 v4, v79
	v_cvt_f16_f32_e32 v5, v80
	v_cvt_f16_f32_e32 v6, v81
	v_cvt_f16_f32_e32 v7, v82
	v_cvt_f16_f32_e32 v8, v83
	v_pack_b32_f16 v1, v1, v2
	v_pack_b32_f16 v2, v3, v4
	;; [unrolled: 1-line block ×3, first 2 shown]
	s_delay_alu instid0(VALU_DEP_4)
	v_pack_b32_f16 v4, v7, v8
	ds_store_b128 v74, v[1:4]
	s_waitcnt lgkmcnt(0)
	s_barrier
	buffer_gl0_inv
	ds_load_b128 v[1:4], v75
	ds_load_b128 v[5:8], v75 offset:16
	s_waitcnt lgkmcnt(1)
	v_lshrrev_b32_e32 v9, 16, v1
	s_waitcnt lgkmcnt(0)
	v_lshrrev_b32_e32 v13, 16, v5
	v_lshrrev_b32_e32 v10, 16, v2
	;; [unrolled: 1-line block ×4, first 2 shown]
	v_cndmask_b32_e32 v17, v1, v9, vcc_lo
	v_cndmask_b32_e32 v18, v5, v13, vcc_lo
	v_cndmask_b32_e64 v21, v1, v9, s4
	v_cmp_eq_u32_e32 vcc_lo, 1, v71
	v_cndmask_b32_e64 v22, v5, v13, s4
	v_cmp_eq_u32_e64 s4, 2, v70
	v_cndmask_b32_e64 v19, v1, v9, s3
	v_cndmask_b32_e64 v20, v5, v13, s3
	v_cndmask_b32_e32 v1, v1, v9, vcc_lo
	v_cmp_eq_u32_e64 s3, 2, v71
	v_cndmask_b32_e32 v5, v5, v13, vcc_lo
	v_cndmask_b32_e64 v9, v17, v2, s4
	v_cmp_eq_u32_e32 vcc_lo, 3, v70
	v_cndmask_b32_e64 v13, v18, v6, s4
	v_cmp_eq_u32_e64 s4, 2, v69
	v_cndmask_b32_e64 v17, v19, v2, s5
	v_cndmask_b32_e64 v18, v20, v6, s5
	v_cmp_eq_u32_e64 s5, 3, v69
	v_cndmask_b32_e64 v1, v1, v2, s3
	v_cndmask_b32_e64 v19, v21, v2, s4
	;; [unrolled: 1-line block ×4, first 2 shown]
	v_cndmask_b32_e32 v5, v9, v10, vcc_lo
	v_cndmask_b32_e32 v6, v13, v14, vcc_lo
	v_cmp_eq_u32_e32 vcc_lo, 3, v71
	v_cndmask_b32_e64 v9, v17, v10, s6
	v_cndmask_b32_e64 v13, v18, v14, s6
	;; [unrolled: 1-line block ×3, first 2 shown]
	v_cmp_eq_u32_e64 s4, 4, v70
	v_cndmask_b32_e32 v1, v1, v10, vcc_lo
	v_cndmask_b32_e32 v2, v2, v14, vcc_lo
	v_cmp_eq_u32_e32 vcc_lo, 4, v72
	v_lshrrev_b32_e32 v15, 16, v7
	v_lshrrev_b32_e32 v16, 16, v8
	v_cndmask_b32_e64 v17, v19, v10, s5
	v_cmp_eq_u32_e64 s3, 4, v71
	v_cndmask_b32_e64 v5, v5, v3, s4
	v_cndmask_b32_e64 v6, v6, v7, s4
	v_cndmask_b32_e32 v9, v9, v3, vcc_lo
	v_cmp_eq_u32_e64 s4, 5, v72
	v_cndmask_b32_e32 v10, v13, v7, vcc_lo
	v_cmp_eq_u32_e32 vcc_lo, 4, v69
	v_cmp_eq_u32_e64 s5, 5, v70
	v_cndmask_b32_e64 v2, v2, v7, s3
	v_cndmask_b32_e64 v9, v9, v11, s4
	;; [unrolled: 1-line block ×3, first 2 shown]
	v_cndmask_b32_e32 v13, v17, v3, vcc_lo
	v_cmp_eq_u32_e64 s4, 5, v69
	v_cndmask_b32_e32 v14, v18, v7, vcc_lo
	v_cndmask_b32_e64 v1, v1, v3, s3
	v_cmp_eq_u32_e32 vcc_lo, 5, v71
	v_lshrrev_b32_e32 v12, 16, v4
	v_cndmask_b32_e64 v13, v13, v11, s4
	v_cndmask_b32_e64 v3, v14, v15, s4
	v_cmp_eq_u32_e64 s4, 6, v71
	v_cndmask_b32_e32 v1, v1, v11, vcc_lo
	v_cndmask_b32_e64 v5, v5, v11, s5
	v_cmp_eq_u32_e64 s6, 6, v70
	v_cndmask_b32_e64 v6, v6, v15, s5
	v_cmp_eq_u32_e64 s5, 6, v72
	v_cmp_eq_u32_e64 s3, 6, v69
	v_cndmask_b32_e64 v1, v1, v4, s4
	v_cndmask_b32_e32 v2, v2, v15, vcc_lo
	v_cmp_eq_u32_e32 vcc_lo, 7, v71
	v_cndmask_b32_e64 v5, v5, v4, s6
	v_cndmask_b32_e64 v9, v9, v4, s5
	;; [unrolled: 1-line block ×3, first 2 shown]
	v_cmp_eq_u32_e64 s6, 7, v70
	v_cndmask_b32_e32 v1, v1, v12, vcc_lo
	v_cndmask_b32_e64 v7, v13, v4, s3
	v_cndmask_b32_e64 v3, v3, v8, s3
	;; [unrolled: 1-line block ×3, first 2 shown]
	v_cmp_eq_u32_e64 s3, 7, v69
	v_cndmask_b32_e64 v4, v10, v8, s5
	v_cndmask_b32_e64 v5, v5, v12, s6
	;; [unrolled: 1-line block ×3, first 2 shown]
	v_cndmask_b32_e32 v2, v2, v16, vcc_lo
	v_cndmask_b32_e64 v7, v7, v12, s3
	v_cndmask_b32_e64 v3, v3, v16, s3
	;; [unrolled: 1-line block ×4, first 2 shown]
	v_perm_b32 v4, v2, v1, 0x5040100
	s_mov_b32 s3, exec_lo
	v_perm_b32 v3, v3, v7, 0x5040100
	v_perm_b32 v2, v8, v9, 0x5040100
	;; [unrolled: 1-line block ×3, first 2 shown]
	ds_store_b128 v74, v[1:4]
	s_waitcnt lgkmcnt(0)
	s_barrier
	buffer_gl0_inv
	v_cmpx_gt_u32_e32 32, v0
	s_cbranch_execz .LBB1312_2
; %bb.15:
	s_load_b64 s[4:5], s[0:1], 0x68
	v_lshlrev_b32_e32 v0, 10, v0
	v_lshlrev_b32_e32 v2, 4, v67
	v_add_nc_u32_e32 v1, s31, v66
	s_lshl_b32 s0, s35, 7
	s_delay_alu instid0(SALU_CYCLE_1) | instskip(NEXT) | instid1(VALU_DEP_2)
	s_mul_i32 s1, s0, s34
	v_and_or_b32 v0, 0x3800, v0, v2
	s_mul_i32 s6, s1, s8
	v_mul_lo_u32 v1, v1, s0
	s_ashr_i32 s7, s6, 31
	s_delay_alu instid0(VALU_DEP_2) | instskip(SKIP_1) | instid1(VALU_DEP_2)
	v_lshl_or_b32 v3, v66, 6, v0
	s_lshl_b64 s[6:7], s[6:7], 1
	v_ashrrev_i32_e32 v2, 31, v1
	ds_load_b128 v[3:6], v3
	s_waitcnt lgkmcnt(0)
	s_add_u32 s1, s4, s6
	s_addc_u32 s3, s5, s7
	s_lshl_b32 s4, s14, 7
	v_lshlrev_b64 v[7:8], 1, v[1:2]
	s_ashr_i32 s5, s4, 31
	s_delay_alu instid0(SALU_CYCLE_1) | instskip(NEXT) | instid1(SALU_CYCLE_1)
	s_lshl_b64 s[4:5], s[4:5], 1
	s_add_u32 s1, s1, s4
	s_addc_u32 s3, s3, s5
	v_add_co_u32 v1, s1, s1, v65
	s_delay_alu instid0(VALU_DEP_1) | instskip(NEXT) | instid1(VALU_DEP_2)
	v_add_co_ci_u32_e64 v2, null, s3, 0, s1
	v_add_co_u32 v7, vcc_lo, v1, v7
	s_delay_alu instid0(VALU_DEP_2)
	v_add_co_ci_u32_e32 v8, vcc_lo, v2, v8, vcc_lo
	global_store_b128 v[7:8], v[3:6], off
	s_and_b32 exec_lo, exec_lo, s2
	s_cbranch_execz .LBB1312_2
; %bb.16:
	ds_load_b128 v[3:6], v0 offset:128
	s_add_i32 s1, s31, 2
	s_delay_alu instid0(SALU_CYCLE_1) | instskip(NEXT) | instid1(SALU_CYCLE_1)
	s_mul_i32 s0, s1, s0
	s_ashr_i32 s1, s0, 31
	s_delay_alu instid0(SALU_CYCLE_1) | instskip(NEXT) | instid1(SALU_CYCLE_1)
	s_lshl_b64 s[0:1], s[0:1], 1
	v_add_co_u32 v0, vcc_lo, v1, s0
	v_add_co_ci_u32_e32 v1, vcc_lo, s1, v2, vcc_lo
	s_waitcnt lgkmcnt(0)
	global_store_b128 v[0:1], v[3:6], off
	s_nop 0
	s_sendmsg sendmsg(MSG_DEALLOC_VGPRS)
	s_endpgm
	.section	.rodata,"a",@progbits
	.p2align	6, 0x0
	.amdhsa_kernel _Z39paged_attention_ll4mi_QKV_mfma16_kernelIDF16_hLN4vllm18Fp8KVCacheDataTypeE1EhLi32ELi128ELi256ELb0ELi3EL8MFMAType0EEvPKT_PKT0_S8_ifPKiSA_SA_iPKfiiiPfSD_PS3_PT2_iSC_SC_
		.amdhsa_group_segment_fixed_size 17472
		.amdhsa_private_segment_fixed_size 0
		.amdhsa_kernarg_size 400
		.amdhsa_user_sgpr_count 13
		.amdhsa_user_sgpr_dispatch_ptr 0
		.amdhsa_user_sgpr_queue_ptr 0
		.amdhsa_user_sgpr_kernarg_segment_ptr 1
		.amdhsa_user_sgpr_dispatch_id 0
		.amdhsa_user_sgpr_private_segment_size 0
		.amdhsa_wavefront_size32 1
		.amdhsa_uses_dynamic_stack 0
		.amdhsa_enable_private_segment 0
		.amdhsa_system_sgpr_workgroup_id_x 1
		.amdhsa_system_sgpr_workgroup_id_y 1
		.amdhsa_system_sgpr_workgroup_id_z 1
		.amdhsa_system_sgpr_workgroup_info 0
		.amdhsa_system_vgpr_workitem_id 0
		.amdhsa_next_free_vgpr 150
		.amdhsa_next_free_sgpr 37
		.amdhsa_reserve_vcc 1
		.amdhsa_float_round_mode_32 0
		.amdhsa_float_round_mode_16_64 0
		.amdhsa_float_denorm_mode_32 3
		.amdhsa_float_denorm_mode_16_64 3
		.amdhsa_dx10_clamp 1
		.amdhsa_ieee_mode 1
		.amdhsa_fp16_overflow 0
		.amdhsa_workgroup_processor_mode 1
		.amdhsa_memory_ordered 1
		.amdhsa_forward_progress 0
		.amdhsa_shared_vgpr_count 0
		.amdhsa_exception_fp_ieee_invalid_op 0
		.amdhsa_exception_fp_denorm_src 0
		.amdhsa_exception_fp_ieee_div_zero 0
		.amdhsa_exception_fp_ieee_overflow 0
		.amdhsa_exception_fp_ieee_underflow 0
		.amdhsa_exception_fp_ieee_inexact 0
		.amdhsa_exception_int_div_zero 0
	.end_amdhsa_kernel
	.section	.text._Z39paged_attention_ll4mi_QKV_mfma16_kernelIDF16_hLN4vllm18Fp8KVCacheDataTypeE1EhLi32ELi128ELi256ELb0ELi3EL8MFMAType0EEvPKT_PKT0_S8_ifPKiSA_SA_iPKfiiiPfSD_PS3_PT2_iSC_SC_,"axG",@progbits,_Z39paged_attention_ll4mi_QKV_mfma16_kernelIDF16_hLN4vllm18Fp8KVCacheDataTypeE1EhLi32ELi128ELi256ELb0ELi3EL8MFMAType0EEvPKT_PKT0_S8_ifPKiSA_SA_iPKfiiiPfSD_PS3_PT2_iSC_SC_,comdat
.Lfunc_end1312:
	.size	_Z39paged_attention_ll4mi_QKV_mfma16_kernelIDF16_hLN4vllm18Fp8KVCacheDataTypeE1EhLi32ELi128ELi256ELb0ELi3EL8MFMAType0EEvPKT_PKT0_S8_ifPKiSA_SA_iPKfiiiPfSD_PS3_PT2_iSC_SC_, .Lfunc_end1312-_Z39paged_attention_ll4mi_QKV_mfma16_kernelIDF16_hLN4vllm18Fp8KVCacheDataTypeE1EhLi32ELi128ELi256ELb0ELi3EL8MFMAType0EEvPKT_PKT0_S8_ifPKiSA_SA_iPKfiiiPfSD_PS3_PT2_iSC_SC_
                                        ; -- End function
	.section	.AMDGPU.csdata,"",@progbits
; Kernel info:
; codeLenInByte = 6604
; NumSgprs: 39
; NumVgprs: 150
; ScratchSize: 0
; MemoryBound: 0
; FloatMode: 240
; IeeeMode: 1
; LDSByteSize: 17472 bytes/workgroup (compile time only)
; SGPRBlocks: 4
; VGPRBlocks: 18
; NumSGPRsForWavesPerEU: 39
; NumVGPRsForWavesPerEU: 150
; Occupancy: 9
; WaveLimiterHint : 1
; COMPUTE_PGM_RSRC2:SCRATCH_EN: 0
; COMPUTE_PGM_RSRC2:USER_SGPR: 13
; COMPUTE_PGM_RSRC2:TRAP_HANDLER: 0
; COMPUTE_PGM_RSRC2:TGID_X_EN: 1
; COMPUTE_PGM_RSRC2:TGID_Y_EN: 1
; COMPUTE_PGM_RSRC2:TGID_Z_EN: 1
; COMPUTE_PGM_RSRC2:TIDIG_COMP_CNT: 0
	.section	.text._Z39paged_attention_ll4mi_QKV_mfma16_kernelIDF16_hLN4vllm18Fp8KVCacheDataTypeE1EhLi32ELi128ELi256ELb0ELi4EL8MFMAType0EEvPKT_PKT0_S8_ifPKiSA_SA_iPKfiiiPfSD_PS3_PT2_iSC_SC_,"axG",@progbits,_Z39paged_attention_ll4mi_QKV_mfma16_kernelIDF16_hLN4vllm18Fp8KVCacheDataTypeE1EhLi32ELi128ELi256ELb0ELi4EL8MFMAType0EEvPKT_PKT0_S8_ifPKiSA_SA_iPKfiiiPfSD_PS3_PT2_iSC_SC_,comdat
	.protected	_Z39paged_attention_ll4mi_QKV_mfma16_kernelIDF16_hLN4vllm18Fp8KVCacheDataTypeE1EhLi32ELi128ELi256ELb0ELi4EL8MFMAType0EEvPKT_PKT0_S8_ifPKiSA_SA_iPKfiiiPfSD_PS3_PT2_iSC_SC_ ; -- Begin function _Z39paged_attention_ll4mi_QKV_mfma16_kernelIDF16_hLN4vllm18Fp8KVCacheDataTypeE1EhLi32ELi128ELi256ELb0ELi4EL8MFMAType0EEvPKT_PKT0_S8_ifPKiSA_SA_iPKfiiiPfSD_PS3_PT2_iSC_SC_
	.globl	_Z39paged_attention_ll4mi_QKV_mfma16_kernelIDF16_hLN4vllm18Fp8KVCacheDataTypeE1EhLi32ELi128ELi256ELb0ELi4EL8MFMAType0EEvPKT_PKT0_S8_ifPKiSA_SA_iPKfiiiPfSD_PS3_PT2_iSC_SC_
	.p2align	8
	.type	_Z39paged_attention_ll4mi_QKV_mfma16_kernelIDF16_hLN4vllm18Fp8KVCacheDataTypeE1EhLi32ELi128ELi256ELb0ELi4EL8MFMAType0EEvPKT_PKT0_S8_ifPKiSA_SA_iPKfiiiPfSD_PS3_PT2_iSC_SC_,@function
_Z39paged_attention_ll4mi_QKV_mfma16_kernelIDF16_hLN4vllm18Fp8KVCacheDataTypeE1EhLi32ELi128ELi256ELb0ELi4EL8MFMAType0EEvPKT_PKT0_S8_ifPKiSA_SA_iPKfiiiPfSD_PS3_PT2_iSC_SC_: ; @_Z39paged_attention_ll4mi_QKV_mfma16_kernelIDF16_hLN4vllm18Fp8KVCacheDataTypeE1EhLi32ELi128ELi256ELb0ELi4EL8MFMAType0EEvPKT_PKT0_S8_ifPKiSA_SA_iPKfiiiPfSD_PS3_PT2_iSC_SC_
; %bb.0:
	s_load_b64 s[4:5], s[0:1], 0x30
	s_mov_b32 s30, s13
	s_waitcnt lgkmcnt(0)
	s_cmp_lg_u64 s[4:5], 0
	s_cselect_b32 s13, -1, 0
	s_ashr_i32 s31, s30, 31
	s_cmp_eq_u64 s[4:5], 0
	s_cbranch_scc1 .LBB1313_3
; %bb.1:
	s_lshl_b64 s[2:3], s[30:31], 2
	s_delay_alu instid0(SALU_CYCLE_1) | instskip(SKIP_4) | instid1(SALU_CYCLE_1)
	s_add_u32 s2, s4, s2
	s_addc_u32 s3, s5, s3
	s_load_b64 s[2:3], s[2:3], 0x0
	s_waitcnt lgkmcnt(0)
	s_sub_i32 s2, s3, s2
	s_cmp_eq_u32 s2, 1
	s_cselect_b32 s2, -1, 0
	s_delay_alu instid0(SALU_CYCLE_1)
	s_and_not1_b32 vcc_lo, exec_lo, s2
	s_cbranch_vccz .LBB1313_4
.LBB1313_2:
	s_endpgm
.LBB1313_3:
.LBB1313_4:
	s_load_b64 s[2:3], s[0:1], 0x28
	s_lshl_b64 s[6:7], s[30:31], 2
	s_waitcnt lgkmcnt(0)
	s_add_u32 s2, s2, s6
	s_addc_u32 s3, s3, s7
	s_lshl_b32 s12, s14, 8
	s_load_b32 s17, s[2:3], 0x0
	s_waitcnt lgkmcnt(0)
	s_cmp_ge_i32 s12, s17
	s_cbranch_scc1 .LBB1313_2
; %bb.5:
	s_clause 0x1
	s_load_b128 s[8:11], s[0:1], 0x8
	s_load_b64 s[2:3], s[0:1], 0x20
	s_and_not1_b32 vcc_lo, exec_lo, s13
	s_cbranch_vccnz .LBB1313_7
; %bb.6:
	s_add_u32 s4, s4, s6
	s_addc_u32 s5, s5, s7
	s_load_b32 s13, s[4:5], 0x0
	s_branch .LBB1313_8
.LBB1313_7:
	s_mov_b32 s13, s30
.LBB1313_8:
	s_load_b128 s[4:7], s[0:1], 0x48
	v_and_b32_e32 v69, 15, v0
	v_lshrrev_b32_e32 v68, 5, v0
	v_and_b32_e32 v70, 31, v0
	v_and_b32_e32 v67, 1, v0
	v_bfe_u32 v66, v0, 4, 1
	v_lshlrev_b32_e32 v1, 3, v69
	s_lshl_b32 s31, s15, 2
	s_waitcnt lgkmcnt(0)
	s_mov_b32 s7, exec_lo
	s_delay_alu instid0(VALU_DEP_1)
	v_lshlrev_b32_e32 v65, 1, v1
	v_cmpx_gt_u32_e32 64, v0
	s_cbranch_execz .LBB1313_10
; %bb.9:
	v_lshl_or_b32 v5, v68, 1, v66
	s_load_b64 s[18:19], s[0:1], 0x0
	s_mul_hi_i32 s21, s13, s4
	s_mul_i32 s20, s13, s4
	v_lshlrev_b32_e32 v6, 10, v69
	v_or_b32_e32 v1, s31, v5
	s_lshl_b64 s[20:21], s[20:21], 1
	v_lshlrev_b32_e32 v5, 6, v5
	v_lshlrev_b32_e32 v7, 10, v67
	v_and_b32_e32 v6, 0x3800, v6
	v_lshlrev_b32_e32 v1, 7, v1
	s_delay_alu instid0(VALU_DEP_2) | instskip(NEXT) | instid1(VALU_DEP_2)
	v_or3_b32 v5, v6, v7, v5
	v_ashrrev_i32_e32 v2, 31, v1
	s_delay_alu instid0(VALU_DEP_1) | instskip(SKIP_3) | instid1(VALU_DEP_1)
	v_lshlrev_b64 v[1:2], 1, v[1:2]
	s_waitcnt lgkmcnt(0)
	s_add_u32 s4, s18, s20
	s_addc_u32 s13, s19, s21
	v_add_co_u32 v1, vcc_lo, s4, v1
	s_delay_alu instid0(VALU_DEP_2) | instskip(NEXT) | instid1(VALU_DEP_2)
	v_add_co_ci_u32_e32 v2, vcc_lo, s13, v2, vcc_lo
	v_add_co_u32 v1, vcc_lo, v1, v65
	s_delay_alu instid0(VALU_DEP_2)
	v_add_co_ci_u32_e32 v2, vcc_lo, 0, v2, vcc_lo
	global_load_b128 v[1:4], v[1:2], off
	s_waitcnt vmcnt(0)
	ds_store_b128 v5, v[1:4]
.LBB1313_10:
	s_or_b32 exec_lo, exec_lo, s7
	v_and_b32_e32 v1, 0xef, v0
	s_add_i32 s4, s17, 31
	s_clause 0x1
	s_load_b32 s7, s[0:1], 0x38
	s_load_b32 s33, s[0:1], 0x98
	s_ashr_i32 s13, s4, 31
	v_add_nc_u32_e32 v1, s12, v1
	s_lshr_b32 s13, s13, 27
	s_load_b32 s18, s[0:1], 0x1c
	s_add_i32 s4, s4, s13
	s_waitcnt lgkmcnt(0)
	v_ashrrev_i32_e32 v2, 31, v1
	v_or_b32_e32 v3, 16, v1
	s_ashr_i32 s4, s4, 5
	v_cmp_gt_i32_e32 vcc_lo, s17, v1
	s_add_i32 s4, s4, -1
	v_lshrrev_b32_e32 v2, 27, v2
	s_barrier
	buffer_gl0_inv
	s_mul_i32 s15, s15, s6
	v_add_nc_u32_e32 v4, v1, v2
	s_mul_i32 s20, s30, s7
	s_delay_alu instid0(SALU_CYCLE_1) | instskip(NEXT) | instid1(VALU_DEP_1)
	s_ashr_i32 s21, s20, 31
	v_ashrrev_i32_e32 v4, 5, v4
	v_add_nc_u32_e32 v2, v3, v2
	s_lshl_b64 s[20:21], s[20:21], 2
	s_delay_alu instid0(SALU_CYCLE_1) | instskip(NEXT) | instid1(VALU_DEP_2)
	s_add_u32 s13, s2, s20
	v_cndmask_b32_e32 v1, s4, v4, vcc_lo
	s_delay_alu instid0(VALU_DEP_2)
	v_ashrrev_i32_e32 v2, 5, v2
	v_cmp_gt_i32_e32 vcc_lo, s17, v3
	s_addc_u32 s16, s3, s21
	s_ashr_i32 s19, s15, 31
	s_add_u32 s2, s8, s15
	s_addc_u32 s3, s9, s19
	v_cndmask_b32_e32 v3, s4, v2, vcc_lo
	v_ashrrev_i32_e32 v2, 31, v1
	s_lshl_b32 s6, s14, 3
	s_delay_alu instid0(SALU_CYCLE_1) | instskip(NEXT) | instid1(VALU_DEP_2)
	s_ashr_i32 s7, s6, 31
	v_ashrrev_i32_e32 v4, 31, v3
	s_delay_alu instid0(VALU_DEP_2) | instskip(SKIP_1) | instid1(SALU_CYCLE_1)
	v_lshlrev_b64 v[1:2], 2, v[1:2]
	s_lshl_b64 s[6:7], s[6:7], 2
	s_add_u32 s6, s13, s6
	s_delay_alu instid0(VALU_DEP_2) | instskip(SKIP_1) | instid1(VALU_DEP_2)
	v_lshlrev_b64 v[3:4], 2, v[3:4]
	s_addc_u32 s7, s16, s7
	v_add_co_u32 v1, vcc_lo, s13, v1
	v_add_co_ci_u32_e32 v2, vcc_lo, s16, v2, vcc_lo
	s_delay_alu instid0(VALU_DEP_3) | instskip(NEXT) | instid1(VALU_DEP_4)
	v_add_co_u32 v3, vcc_lo, s13, v3
	v_add_co_ci_u32_e32 v4, vcc_lo, s16, v4, vcc_lo
	s_clause 0x1
	global_load_b32 v5, v[1:2], off
	global_load_b32 v6, v[3:4], off
	s_or_b32 s8, s12, 32
	s_delay_alu instid0(SALU_CYCLE_1) | instskip(SKIP_2) | instid1(SALU_CYCLE_1)
	s_ashr_i32 s9, s8, 5
	s_cmp_lt_i32 s8, s17
	s_cselect_b32 s8, s9, s4
	s_ashr_i32 s9, s8, 31
	s_delay_alu instid0(SALU_CYCLE_1) | instskip(NEXT) | instid1(SALU_CYCLE_1)
	s_lshl_b64 s[8:9], s[8:9], 2
	s_add_u32 s8, s13, s8
	s_addc_u32 s9, s16, s9
	s_or_b32 s20, s12, 64
	s_delay_alu instid0(SALU_CYCLE_1) | instskip(SKIP_2) | instid1(SALU_CYCLE_1)
	s_ashr_i32 s21, s20, 5
	s_cmp_lt_i32 s20, s17
	s_cselect_b32 s20, s21, s4
	s_ashr_i32 s21, s20, 31
	s_delay_alu instid0(SALU_CYCLE_1) | instskip(NEXT) | instid1(SALU_CYCLE_1)
	s_lshl_b64 s[20:21], s[20:21], 2
	s_add_u32 s20, s13, s20
	s_addc_u32 s21, s16, s21
	;; [unrolled: 10-line block ×5, first 2 shown]
	s_clause 0x5
	s_load_b32 s28, s[6:7], 0x0
	s_load_b32 s8, s[8:9], 0x0
	;; [unrolled: 1-line block ×6, first 2 shown]
	s_mov_b32 s20, 0
	s_delay_alu instid0(SALU_CYCLE_1)
	s_mov_b32 s21, s20
	s_mov_b32 s22, s20
	;; [unrolled: 1-line block ×7, first 2 shown]
	s_delay_alu instid0(SALU_CYCLE_1)
	v_dual_mov_b32 v102, s27 :: v_dual_mov_b32 v101, s26
	v_dual_mov_b32 v100, s25 :: v_dual_mov_b32 v99, s24
	v_mov_b32_e32 v97, s22
	v_dual_mov_b32 v95, s20 :: v_dual_mov_b32 v98, s23
	v_mov_b32_e32 v96, s21
	s_waitcnt vmcnt(1)
	v_mad_i64_i32 v[1:2], null, v5, s5, s[2:3]
	v_lshlrev_b32_e32 v5, 4, v69
	s_waitcnt vmcnt(0)
	v_mad_i64_i32 v[3:4], null, v6, s5, s[2:3]
	s_or_b32 s2, s12, 0xc0
	s_delay_alu instid0(SALU_CYCLE_1) | instskip(NEXT) | instid1(VALU_DEP_3)
	s_ashr_i32 s3, s2, 5
	v_add_co_u32 v33, vcc_lo, v1, v5
	s_delay_alu instid0(VALU_DEP_4) | instskip(NEXT) | instid1(VALU_DEP_3)
	v_add_co_ci_u32_e32 v34, vcc_lo, 0, v2, vcc_lo
	v_add_co_u32 v35, vcc_lo, v3, v5
	s_delay_alu instid0(VALU_DEP_4)
	v_add_co_ci_u32_e32 v36, vcc_lo, 0, v4, vcc_lo
	s_clause 0xf
	global_load_b128 v[1:4], v[33:34], off
	global_load_b128 v[5:8], v[33:34], off offset:512
	global_load_b128 v[9:12], v[35:36], off offset:256
	;; [unrolled: 1-line block ×15, first 2 shown]
	s_cmp_lt_i32 s2, s17
	v_and_b32_e32 v33, 3, v0
	s_cselect_b32 s2, s3, s4
	v_lshlrev_b32_e32 v34, 5, v69
	s_ashr_i32 s3, s2, 31
	s_delay_alu instid0(SALU_CYCLE_1)
	s_lshl_b64 s[2:3], s[2:3], 2
	v_lshlrev_b32_e32 v139, 6, v33
	s_add_u32 s2, s13, s2
	s_addc_u32 s3, s16, s3
	s_or_b32 s6, s12, 0xe0
	v_lshl_or_b32 v41, v68, 9, v34
	s_ashr_i32 s7, s6, 5
	s_cmp_lt_i32 s6, s17
	ds_load_b128 v[33:36], v139
	ds_load_b128 v[37:40], v139 offset:1024
	s_cselect_b32 s6, s7, s4
	ds_load_b128 v[103:106], v139 offset:2048
	ds_load_b128 v[107:110], v139 offset:3072
	s_ashr_i32 s7, s6, 31
	s_load_b32 s4, s[2:3], 0x0
	s_lshl_b64 s[6:7], s[6:7], 2
	ds_load_b128 v[111:114], v139 offset:4096
	ds_load_b128 v[115:118], v139 offset:5120
	s_add_u32 s2, s13, s6
	s_addc_u32 s3, s16, s7
	s_add_u32 s6, s10, s15
	s_load_b32 s2, s[2:3], 0x0
	s_addc_u32 s7, s11, s19
	v_add_co_u32 v127, s6, s6, v41
	s_delay_alu instid0(VALU_DEP_1) | instskip(SKIP_1) | instid1(VALU_DEP_1)
	v_add_co_ci_u32_e64 v128, null, s7, 0, s6
	s_waitcnt lgkmcnt(0)
	v_mad_i64_i32 v[41:42], null, s28, s5, v[127:128]
	v_mad_i64_i32 v[129:130], null, s9, s5, v[127:128]
	;; [unrolled: 1-line block ×7, first 2 shown]
	s_clause 0x3
	global_load_b128 v[49:52], v[41:42], off
	global_load_b128 v[53:56], v[41:42], off offset:16
	global_load_b128 v[41:44], v[45:46], off
	global_load_b128 v[45:48], v[45:46], off offset:16
	s_waitcnt vmcnt(18)
	v_wmma_f32_16x16x16_f16 v[119:126], v[1:8], v[33:40], v[95:102]
	s_waitcnt vmcnt(16)
	v_wmma_f32_16x16x16_f16 v[95:102], v[9:16], v[33:40], v[95:102]
	s_clause 0x3
	global_load_b128 v[33:36], v[129:130], off
	global_load_b128 v[37:40], v[129:130], off offset:16
	global_load_b128 v[1:4], v[131:132], off
	global_load_b128 v[5:8], v[131:132], off offset:16
	s_waitcnt vmcnt(18)
	v_wmma_f32_16x16x16_f16 v[119:126], v[17:24], v[103:110], v[119:126]
	s_clause 0x3
	global_load_b128 v[9:12], v[133:134], off
	global_load_b128 v[13:16], v[133:134], off offset:16
	global_load_b128 v[17:20], v[135:136], off
	global_load_b128 v[21:24], v[135:136], off offset:16
	s_waitcnt vmcnt(20)
	v_wmma_f32_16x16x16_f16 v[95:102], v[25:32], v[103:110], v[95:102]
	v_mad_i64_i32 v[103:104], null, s2, s5, v[127:128]
	s_waitcnt vmcnt(18)
	v_wmma_f32_16x16x16_f16 v[119:126], v[57:64], v[111:118], v[119:126]
	s_clause 0x3
	global_load_b128 v[25:28], v[137:138], off
	global_load_b128 v[29:32], v[137:138], off offset:16
	global_load_b128 v[57:60], v[103:104], off
	global_load_b128 v[61:64], v[103:104], off offset:16
	s_waitcnt vmcnt(20)
	v_wmma_f32_16x16x16_f16 v[95:102], v[71:78], v[111:118], v[95:102]
	ds_load_b128 v[71:74], v139 offset:6144
	ds_load_b128 v[75:78], v139 offset:7168
	v_mbcnt_lo_u32_b32 v104, -1, 0
	s_waitcnt vmcnt(0) lgkmcnt(0)
	s_barrier
	buffer_gl0_inv
	v_xor_b32_e32 v105, 16, v104
	s_delay_alu instid0(VALU_DEP_1) | instskip(SKIP_4) | instid1(VALU_DEP_2)
	v_cmp_gt_i32_e32 vcc_lo, 32, v105
	v_cndmask_b32_e32 v104, v104, v105, vcc_lo
	v_wmma_f32_16x16x16_f16 v[119:126], v[79:86], v[71:78], v[119:126]
	v_and_b32_e32 v103, 0xe0, v0
	v_wmma_f32_16x16x16_f16 v[95:102], v[87:94], v[71:78], v[95:102]
	v_dual_mul_f32 v78, s18, v121 :: v_dual_add_nc_u32 v103, s12, v103
	s_delay_alu instid0(VALU_DEP_2) | instskip(SKIP_1) | instid1(VALU_DEP_3)
	v_dual_mul_f32 v90, s18, v101 :: v_dual_mul_f32 v87, s18, v120
	v_dual_mul_f32 v88, s18, v119 :: v_dual_mul_f32 v77, s18, v122
	v_or_b32_e32 v103, v103, v66
	v_dual_mul_f32 v75, s18, v124 :: v_dual_mul_f32 v94, s18, v97
	v_dual_mul_f32 v76, s18, v123 :: v_dual_mul_f32 v73, s18, v126
	v_mul_f32_e32 v92, s18, v99
	s_delay_alu instid0(VALU_DEP_4)
	v_or_b32_e32 v105, 2, v103
	v_or_b32_e32 v106, 4, v103
	;; [unrolled: 1-line block ×3, first 2 shown]
	v_cmp_gt_i32_e64 s2, s17, v103
	v_or_b32_e32 v108, 8, v103
	v_cmp_gt_i32_e32 vcc_lo, s17, v105
	v_or_b32_e32 v109, 10, v103
	v_cmp_gt_i32_e64 s3, s17, v106
	v_cndmask_b32_e64 v88, 0xff7fffff, v88, s2
	v_cmp_gt_i32_e64 s4, s17, v107
	v_cndmask_b32_e32 v87, 0xff7fffff, v87, vcc_lo
	v_or_b32_e32 v79, 12, v103
	v_or_b32_e32 v80, 14, v103
	v_cndmask_b32_e64 v78, 0xff7fffff, v78, s3
	v_cndmask_b32_e64 v77, 0xff7fffff, v77, s4
	v_max3_f32 v87, v88, 0xff7fffff, v87
	v_cmp_gt_i32_e64 s5, s17, v108
	v_cmp_gt_i32_e64 s6, s17, v109
	v_or_b32_e32 v81, 16, v103
	v_or_b32_e32 v82, 18, v103
	v_mul_f32_e32 v74, s18, v125
	v_cndmask_b32_e64 v76, 0xff7fffff, v76, s5
	v_cndmask_b32_e64 v75, 0xff7fffff, v75, s6
	v_max3_f32 v77, v87, v78, v77
	v_cmp_gt_i32_e64 s7, s17, v79
	v_cmp_gt_i32_e64 s8, s17, v80
	v_or_b32_e32 v83, 20, v103
	v_or_b32_e32 v84, 22, v103
	;; [unrolled: 1-line block ×6, first 2 shown]
	v_mul_f32_e32 v105, s18, v96
	v_mul_f32_e32 v103, s18, v95
	v_cndmask_b32_e64 v74, 0xff7fffff, v74, s7
	v_cndmask_b32_e64 v73, 0xff7fffff, v73, s8
	v_max3_f32 v75, v77, v76, v75
	v_cmp_gt_i32_e64 s9, s17, v81
	v_cmp_gt_i32_e64 s10, s17, v82
	v_mul_f32_e32 v93, s18, v98
	v_cmp_gt_i32_e64 s11, s17, v83
	v_max3_f32 v73, v75, v74, v73
	v_cndmask_b32_e64 v76, 0xff7fffff, v103, s9
	v_cndmask_b32_e64 v77, 0xff7fffff, v105, s10
	v_cmp_gt_i32_e64 s12, s17, v84
	v_mul_f32_e32 v91, s18, v100
	v_cndmask_b32_e64 v74, 0xff7fffff, v94, s11
	v_cmp_gt_i32_e64 s13, s17, v85
	v_max3_f32 v73, v73, v76, v77
	v_cndmask_b32_e64 v75, 0xff7fffff, v93, s12
	v_cmp_gt_i32_e64 s15, s17, v86
	v_mul_f32_e32 v89, s18, v102
	v_cndmask_b32_e64 v76, 0xff7fffff, v92, s13
	v_cmp_gt_i32_e64 s16, s17, v71
	v_max3_f32 v73, v73, v74, v75
	v_cndmask_b32_e64 v77, 0xff7fffff, v91, s15
	v_cmp_gt_i32_e64 s17, s17, v72
	v_lshlrev_b32_e32 v74, 2, v104
	v_cndmask_b32_e64 v71, 0xff7fffff, v90, s16
	s_delay_alu instid0(VALU_DEP_4) | instskip(NEXT) | instid1(VALU_DEP_4)
	v_max3_f32 v73, v73, v76, v77
	v_cndmask_b32_e64 v72, 0xff7fffff, v89, s17
	s_delay_alu instid0(VALU_DEP_1) | instskip(SKIP_3) | instid1(VALU_DEP_1)
	v_max3_f32 v71, v73, v71, v72
	ds_bpermute_b32 v72, v74, v71
	s_waitcnt lgkmcnt(0)
	v_max_f32_e32 v72, v72, v72
	v_max_f32_e32 v71, v71, v72
	s_delay_alu instid0(VALU_DEP_1)
	v_fma_f32 v72, s18, v119, -v71
	v_fma_f32 v76, s18, v122, -v71
	;; [unrolled: 1-line block ×5, first 2 shown]
	v_mul_f32_e32 v72, 0x3fb8aa3b, v72
	v_mul_f32_e32 v76, 0x3fb8aa3b, v76
	v_fma_f32 v75, s18, v121, -v71
	v_mul_f32_e32 v79, 0x3fb8aa3b, v77
	v_mul_f32_e32 v85, 0x3fb8aa3b, v84
	v_exp_f32_e32 v72, v72
	v_exp_f32_e32 v76, v76
	v_fma_f32 v86, s18, v98, -v71
	v_exp_f32_e32 v82, v79
	v_exp_f32_e32 v85, v85
	v_fma_f32 v81, s18, v125, -v71
	s_delay_alu instid0(VALU_DEP_2) | instskip(SKIP_3) | instid1(TRANS32_DEP_3)
	v_mul_f32_e32 v87, 0x3fb8aa3b, v86
	v_cndmask_b32_e64 v78, 0, v72, s2
	v_fma_f32 v72, s18, v124, -v71
	v_mul_f32_e32 v73, 0x3fb8aa3b, v73
	v_cndmask_b32_e64 v79, 0, v76, s4
	v_fma_f32 v76, s18, v95, -v71
	s_delay_alu instid0(VALU_DEP_4) | instskip(NEXT) | instid1(VALU_DEP_4)
	v_dual_mul_f32 v75, 0x3fb8aa3b, v75 :: v_dual_mul_f32 v72, 0x3fb8aa3b, v72
	v_exp_f32_e32 v73, v73
	v_exp_f32_e32 v87, v87
	s_delay_alu instid0(VALU_DEP_2) | instskip(NEXT) | instid1(VALU_DEP_2)
	v_mul_f32_e32 v76, 0x3fb8aa3b, v76
	v_exp_f32_e32 v75, v75
	v_cndmask_b32_e64 v85, 0, v85, s10
	v_mul_f32_e32 v81, 0x3fb8aa3b, v81
	v_exp_f32_e32 v72, v72
	v_cndmask_b32_e64 v82, 0, v82, s5
	v_exp_f32_e32 v76, v76
	s_mov_b32 s2, exec_lo
	v_cndmask_b32_e32 v77, 0, v73, vcc_lo
	v_add_f32_e32 v73, 0, v78
	v_cndmask_b32_e64 v87, 0, v87, s12
	v_cndmask_b32_e64 v80, 0, v75, s3
	v_fma_f32 v75, s18, v126, -v71
	v_exp_f32_e32 v83, v81
	v_add_f32_e32 v73, v73, v77
	v_cndmask_b32_e64 v81, 0, v72, s6
	v_cndmask_b32_e64 v86, 0, v76, s9
	v_mul_f32_e32 v75, 0x3fb8aa3b, v75
	s_delay_alu instid0(VALU_DEP_4) | instskip(NEXT) | instid1(VALU_DEP_2)
	v_add_f32_e32 v73, v73, v80
	v_exp_f32_e32 v75, v75
	s_delay_alu instid0(TRANS32_DEP_2) | instskip(NEXT) | instid1(VALU_DEP_2)
	v_cndmask_b32_e64 v84, 0, v83, s7
	v_add_f32_e32 v73, v73, v79
	s_delay_alu instid0(VALU_DEP_1) | instskip(SKIP_3) | instid1(VALU_DEP_1)
	v_add_f32_e32 v72, v73, v82
	s_waitcnt_depctr 0xfff
	v_cndmask_b32_e64 v83, 0, v75, s8
	v_add_f32_e32 v72, v72, v81
	v_add_f32_e32 v72, v72, v84
	s_delay_alu instid0(VALU_DEP_1) | instskip(NEXT) | instid1(VALU_DEP_1)
	v_add_f32_e32 v72, v72, v83
	v_add_f32_e32 v72, v72, v86
	v_fma_f32 v73, s18, v97, -v71
	v_fma_f32 v75, s18, v99, -v71
	;; [unrolled: 1-line block ×4, first 2 shown]
	v_add_f32_e32 v72, v72, v85
	v_mul_f32_e32 v73, 0x3fb8aa3b, v73
	s_delay_alu instid0(VALU_DEP_4) | instskip(NEXT) | instid1(VALU_DEP_2)
	v_dual_mul_f32 v75, 0x3fb8aa3b, v75 :: v_dual_mul_f32 v76, 0x3fb8aa3b, v76
	v_exp_f32_e32 v73, v73
	s_delay_alu instid0(VALU_DEP_1) | instskip(NEXT) | instid1(VALU_DEP_1)
	v_exp_f32_e32 v75, v75
	v_exp_f32_e32 v76, v76
	s_delay_alu instid0(TRANS32_DEP_3)
	v_cndmask_b32_e64 v88, 0, v73, s11
	v_mul_f32_e32 v73, 0x3fb8aa3b, v89
	v_fma_f32 v89, s18, v102, -v71
	s_waitcnt_depctr 0xfff
	v_cndmask_b32_e64 v90, 0, v75, s13
	v_add_f32_e32 v72, v72, v88
	v_exp_f32_e32 v73, v73
	v_mul_f32_e32 v75, 0x3fb8aa3b, v89
	v_cndmask_b32_e64 v89, 0, v76, s15
	s_delay_alu instid0(VALU_DEP_3) | instskip(NEXT) | instid1(VALU_DEP_3)
	v_add_f32_e32 v72, v72, v87
	v_exp_f32_e32 v75, v75
	s_delay_alu instid0(VALU_DEP_1) | instskip(SKIP_4) | instid1(VALU_DEP_2)
	v_add_f32_e32 v72, v72, v90
	s_waitcnt_depctr 0xfff
	v_cndmask_b32_e64 v92, 0, v73, s16
	v_add_f32_e32 v72, v72, v89
	v_cndmask_b32_e64 v91, 0, v75, s17
	v_add_f32_e32 v72, v72, v92
	s_delay_alu instid0(VALU_DEP_1)
	v_add_f32_e32 v72, v72, v91
	ds_bpermute_b32 v73, v74, v72
	v_cmpx_gt_u32_e32 16, v70
	s_cbranch_execz .LBB1313_12
; %bb.11:
	v_mul_u32_u24_e32 v70, 0x44, v68
	s_waitcnt lgkmcnt(0)
	v_add_f32_e32 v72, v72, v73
	s_delay_alu instid0(VALU_DEP_2) | instskip(NEXT) | instid1(VALU_DEP_1)
	v_lshl_add_u32 v70, v69, 2, v70
	v_add_nc_u32_e32 v70, 0x4000, v70
	ds_store_2addr_b32 v70, v71, v72 offset1:136
.LBB1313_12:
	s_or_b32 exec_lo, exec_lo, s2
	v_lshlrev_b32_e32 v70, 2, v69
	s_load_b32 s34, s[0:1], 0x94
	s_waitcnt lgkmcnt(0)
	s_barrier
	buffer_gl0_inv
	v_add_nc_u32_e32 v74, 0x4000, v70
	v_cmp_eq_u32_e32 vcc_lo, 1, v68
	v_cmp_eq_u32_e64 s2, 2, v68
	v_cmp_eq_u32_e64 s3, 3, v68
	;; [unrolled: 1-line block ×3, first 2 shown]
	ds_load_2addr_b32 v[70:71], v74 offset1:17
	ds_load_2addr_b32 v[72:73], v74 offset0:34 offset1:51
	ds_load_2addr_b32 v[93:94], v74 offset0:68 offset1:85
	;; [unrolled: 1-line block ×3, first 2 shown]
	v_cmp_eq_u32_e64 s5, 5, v68
	v_cmp_eq_u32_e64 s6, 7, v68
	s_waitcnt lgkmcnt(3)
	v_max3_f32 v75, v70, 0xff7fffff, v71
	s_waitcnt lgkmcnt(2)
	s_delay_alu instid0(VALU_DEP_1) | instskip(SKIP_1) | instid1(VALU_DEP_1)
	v_max3_f32 v75, v75, v72, v73
	s_waitcnt lgkmcnt(1)
	v_max3_f32 v75, v75, v93, v94
	s_waitcnt lgkmcnt(0)
	s_delay_alu instid0(VALU_DEP_1) | instskip(NEXT) | instid1(VALU_DEP_1)
	v_max3_f32 v75, v75, v95, v96
	v_sub_f32_e32 v93, v93, v75
	ds_load_2addr_b32 v[97:98], v74 offset0:136 offset1:153
	v_sub_f32_e32 v70, v70, v75
	v_dual_sub_f32 v100, v73, v75 :: v_dual_mul_f32 v103, 0x3fb8aa3b, v93
	s_delay_alu instid0(VALU_DEP_2) | instskip(SKIP_3) | instid1(VALU_DEP_1)
	v_dual_sub_f32 v76, v71, v75 :: v_dual_mul_f32 v99, 0x3fb8aa3b, v70
	ds_load_2addr_b32 v[70:71], v74 offset0:170 offset1:187
	v_mul_f32_e32 v76, 0x3fb8aa3b, v76
	v_exp_f32_e32 v99, v99
	v_exp_f32_e32 v102, v76
	v_mul_f32_e32 v100, 0x3fb8aa3b, v100
	s_waitcnt lgkmcnt(1)
	s_waitcnt_depctr 0xfff
	v_fma_f32 v76, v99, v97, 0
	v_sub_f32_e32 v97, v94, v75
	v_sub_f32_e32 v72, v72, v75
	v_exp_f32_e32 v100, v100
	ds_load_2addr_b32 v[93:94], v74 offset0:238 offset1:255
	v_dual_fmac_f32 v76, v102, v98 :: v_dual_mul_f32 v101, 0x3fb8aa3b, v72
	ds_load_2addr_b32 v[72:73], v74 offset0:204 offset1:221
	v_dual_sub_f32 v74, v95, v75 :: v_dual_mul_f32 v95, 0x3fb8aa3b, v97
	v_exp_f32_e32 v97, v103
	v_exp_f32_e32 v101, v101
	s_waitcnt lgkmcnt(0)
	s_barrier
	v_exp_f32_e32 v95, v95
	buffer_gl0_inv
	v_fmac_f32_e32 v76, v101, v70
	v_sub_f32_e32 v70, v96, v75
	s_delay_alu instid0(VALU_DEP_2) | instskip(NEXT) | instid1(VALU_DEP_2)
	v_fmac_f32_e32 v76, v100, v71
	v_mul_f32_e32 v70, 0x3fb8aa3b, v70
	s_delay_alu instid0(VALU_DEP_2)
	v_dual_cndmask_b32 v71, v99, v102 :: v_dual_fmac_f32 v76, v97, v72
	v_lshlrev_b32_e32 v72, 6, v69
	v_lshlrev_b32_e32 v69, 2, v66
	v_mul_f32_e32 v74, 0x3fb8aa3b, v74
	v_exp_f32_e32 v98, v70
	v_fmac_f32_e32 v76, v95, v73
	s_delay_alu instid0(VALU_DEP_3) | instskip(NEXT) | instid1(VALU_DEP_3)
	v_cmp_eq_u32_e64 s7, 7, v69
	v_exp_f32_e32 v96, v74
	v_lshl_or_b32 v74, v68, 11, v72
	s_waitcnt_depctr 0xfff
	v_fmac_f32_e32 v76, v96, v93
	s_delay_alu instid0(VALU_DEP_1) | instskip(NEXT) | instid1(VALU_DEP_1)
	v_fmac_f32_e32 v76, v98, v94
	v_add_f32_e32 v73, 0x358637bd, v76
	s_delay_alu instid0(VALU_DEP_1) | instskip(SKIP_1) | instid1(VALU_DEP_2)
	v_div_scale_f32 v93, null, v73, v73, 1.0
	v_div_scale_f32 v99, vcc_lo, 1.0, v73, 1.0
	v_rcp_f32_e32 v94, v93
	s_waitcnt_depctr 0xfff
	v_fma_f32 v70, -v93, v94, 1.0
	s_delay_alu instid0(VALU_DEP_1)
	v_fmac_f32_e32 v94, v70, v94
	v_cndmask_b32_e64 v70, v71, v101, s2
	v_cmp_eq_u32_e64 s2, 6, v68
	v_or_b32_e32 v71, 1, v69
	v_or_b32_e32 v68, 2, v69
	v_mul_f32_e32 v101, v99, v94
	v_cndmask_b32_e64 v70, v70, v100, s3
	v_cmp_eq_u32_e64 s3, 1, v69
	v_cmp_eq_u32_e64 s8, 1, v71
	;; [unrolled: 1-line block ×3, first 2 shown]
	v_fma_f32 v100, -v93, v101, v99
	v_cndmask_b32_e64 v70, v70, v97, s4
	v_cmp_eq_u32_e64 s4, 2, v69
	v_cmp_eq_u32_e64 s11, 2, v71
	;; [unrolled: 1-line block ×3, first 2 shown]
	v_fmac_f32_e32 v101, v100, v94
	v_cndmask_b32_e64 v95, v70, v95, s5
	v_or_b32_e32 v70, 3, v69
	v_cmp_eq_u32_e64 s12, 3, v71
	v_cmp_eq_u32_e64 s16, 3, v68
	v_fma_f32 v93, -v93, v101, v99
	v_cndmask_b32_e64 v95, v95, v96, s2
	v_cmp_eq_u32_e64 s10, 1, v70
	v_cmp_eq_u32_e64 s15, 2, v70
	;; [unrolled: 1-line block ×3, first 2 shown]
	v_div_fmas_f32 v93, v93, v94, v101
	v_cndmask_b32_e64 v94, v95, v98, s6
	v_cmp_eq_u32_e32 vcc_lo, 3, v69
	v_cmp_eq_u32_e64 s2, 4, v69
	v_cmp_eq_u32_e64 s18, 4, v71
	v_div_fixup_f32 v93, v93, v73, 1.0
	v_lshl_or_b32 v73, v66, 4, v74
	v_cmp_eq_u32_e64 s21, 4, v70
	v_cmp_eq_u32_e64 s5, 5, v69
	;; [unrolled: 1-line block ×3, first 2 shown]
	v_mul_f32_e32 v101, v94, v93
	v_cmp_eq_u32_e64 s20, 4, v68
	v_cmp_eq_u32_e64 s23, 5, v70
	;; [unrolled: 1-line block ×4, first 2 shown]
	v_fma_mixlo_f16 v93, v101, v78, 0
	v_fma_mixlo_f16 v94, v101, v80, 0
	;; [unrolled: 1-line block ×8, first 2 shown]
	v_fma_mixhi_f16 v93, v101, v77, 0
	v_fma_mixhi_f16 v94, v101, v79, 0
	;; [unrolled: 1-line block ×8, first 2 shown]
	ds_store_b128 v73, v[93:96]
	ds_store_b128 v73, v[97:100] offset:1024
	s_waitcnt lgkmcnt(0)
	s_barrier
	buffer_gl0_inv
	ds_load_b128 v[77:80], v74
	ds_load_b128 v[81:84], v74 offset:16
	ds_load_b128 v[85:88], v74 offset:1024
	;; [unrolled: 1-line block ×3, first 2 shown]
	v_cmp_eq_u32_e64 s26, 6, v70
	v_cmp_eq_u32_e64 s6, 6, v69
	;; [unrolled: 1-line block ×6, first 2 shown]
	s_waitcnt lgkmcnt(3)
	v_lshrrev_b32_e32 v93, 16, v77
	s_waitcnt lgkmcnt(2)
	v_lshrrev_b32_e32 v97, 16, v81
	s_waitcnt lgkmcnt(1)
	v_lshrrev_b32_e32 v101, 16, v85
	s_waitcnt lgkmcnt(0)
	v_lshrrev_b32_e32 v105, 16, v89
	v_lshrrev_b32_e32 v94, 16, v78
	v_cndmask_b32_e64 v109, v77, v93, s3
	v_cndmask_b32_e64 v110, v81, v97, s3
	v_cndmask_b32_e64 v111, v77, v93, s8
	v_cndmask_b32_e64 v112, v81, v97, s8
	v_cndmask_b32_e64 v113, v77, v93, s9
	v_cndmask_b32_e64 v114, v81, v97, s9
	v_cndmask_b32_e64 v77, v77, v93, s10
	v_cndmask_b32_e64 v81, v81, v97, s10
	v_lshrrev_b32_e32 v98, 16, v82
	v_cndmask_b32_e64 v93, v85, v101, s3
	v_cndmask_b32_e64 v97, v89, v105, s3
	v_cndmask_b32_e64 v115, v85, v101, s8
	v_cndmask_b32_e64 v116, v89, v105, s8
	v_cndmask_b32_e64 v117, v85, v101, s9
	v_cndmask_b32_e64 v118, v89, v105, s9
	v_cndmask_b32_e64 v85, v85, v101, s10
	v_cndmask_b32_e64 v89, v89, v105, s10
	v_cndmask_b32_e64 v101, v109, v78, s4
	v_cndmask_b32_e64 v105, v110, v82, s4
	v_cndmask_b32_e64 v109, v111, v78, s11
	v_cndmask_b32_e64 v110, v112, v82, s11
	v_cndmask_b32_e64 v111, v113, v78, s13
	v_cndmask_b32_e64 v77, v77, v78, s15
	v_cndmask_b32_e64 v78, v81, v82, s15
	v_lshrrev_b32_e32 v102, 16, v86
	v_lshrrev_b32_e32 v106, 16, v90
	v_cndmask_b32_e64 v112, v114, v82, s13
	v_cndmask_b32_e64 v81, v93, v86, s4
	;; [unrolled: 1-line block ×7, first 2 shown]
	v_cndmask_b32_e32 v89, v101, v94, vcc_lo
	v_cndmask_b32_e32 v101, v105, v98, vcc_lo
	v_cndmask_b32_e64 v105, v109, v94, s12
	v_cndmask_b32_e64 v109, v110, v98, s12
	;; [unrolled: 1-line block ×4, first 2 shown]
	v_lshrrev_b32_e32 v95, 16, v79
	v_lshrrev_b32_e32 v99, 16, v83
	v_cndmask_b32_e64 v110, v111, v94, s16
	v_cndmask_b32_e64 v111, v112, v98, s16
	v_cndmask_b32_e32 v81, v81, v102, vcc_lo
	v_cndmask_b32_e32 v82, v82, v106, vcc_lo
	v_cndmask_b32_e64 v93, v93, v102, s12
	v_cndmask_b32_e64 v89, v89, v79, s2
	;; [unrolled: 1-line block ×7, first 2 shown]
	v_lshrrev_b32_e32 v103, 16, v87
	v_cndmask_b32_e64 v105, v110, v79, s20
	v_cndmask_b32_e64 v109, v111, v83, s20
	;; [unrolled: 1-line block ×11, first 2 shown]
	v_lshrrev_b32_e32 v96, 16, v80
	v_lshrrev_b32_e32 v100, 16, v84
	v_cndmask_b32_e64 v98, v105, v95, s22
	v_cndmask_b32_e64 v101, v109, v99, s22
	;; [unrolled: 1-line block ×7, first 2 shown]
	v_lshrrev_b32_e32 v104, 16, v88
	v_cndmask_b32_e64 v79, v79, v103, s5
	v_cndmask_b32_e64 v83, v83, v80, s6
	;; [unrolled: 1-line block ×16, first 2 shown]
	v_perm_b32 v80, v78, v77, 0x5040100
	v_perm_b32 v78, v94, v84, 0x5040100
	v_cndmask_b32_e64 v77, v118, v90, s13
	v_cndmask_b32_e64 v84, v116, v90, s11
	;; [unrolled: 1-line block ×3, first 2 shown]
	v_perm_b32 v79, v93, v89, 0x5040100
	v_cndmask_b32_e64 v89, v97, v102, s16
	v_cndmask_b32_e64 v85, v85, v102, s17
	;; [unrolled: 1-line block ×5, first 2 shown]
	v_lshrrev_b32_e32 v107, 16, v91
	v_cndmask_b32_e64 v89, v89, v87, s20
	v_cndmask_b32_e64 v85, v85, v87, s21
	;; [unrolled: 1-line block ×11, first 2 shown]
	v_lshrrev_b32_e32 v108, 16, v92
	v_cndmask_b32_e64 v81, v81, v92, s6
	v_cndmask_b32_e64 v87, v87, v88, s25
	;; [unrolled: 1-line block ×12, first 2 shown]
	v_perm_b32 v77, v83, v82, 0x5040100
	v_perm_b32 v84, v86, v85, 0x5040100
	;; [unrolled: 1-line block ×5, first 2 shown]
	s_lshl_b32 s7, s33, 2
	s_mov_b32 s2, exec_lo
	ds_store_b128 v73, v[77:80]
	ds_store_b128 v73, v[81:84] offset:1024
	v_cmpx_gt_u32_e32 4, v0
	s_cbranch_execz .LBB1313_14
; %bb.13:
	v_or_b32_e32 v77, s31, v0
	s_load_b128 s[8:11], s[0:1], 0x58
	s_delay_alu instid0(VALU_DEP_1) | instskip(NEXT) | instid1(VALU_DEP_1)
	v_mad_u64_u32 v[78:79], null, s7, s30, v[77:78]
	v_mad_u64_u32 v[79:80], null, v78, s34, s[14:15]
	s_delay_alu instid0(VALU_DEP_1) | instskip(NEXT) | instid1(VALU_DEP_1)
	v_ashrrev_i32_e32 v80, 31, v79
	v_lshlrev_b64 v[77:78], 2, v[79:80]
	s_waitcnt lgkmcnt(0)
	s_delay_alu instid0(VALU_DEP_1) | instskip(NEXT) | instid1(VALU_DEP_2)
	v_add_co_u32 v79, vcc_lo, s10, v77
	v_add_co_ci_u32_e32 v80, vcc_lo, s11, v78, vcc_lo
	v_add_co_u32 v77, vcc_lo, s8, v77
	v_add_co_ci_u32_e32 v78, vcc_lo, s9, v78, vcc_lo
	global_store_b32 v[79:80], v75, off
	global_store_b32 v[77:78], v76, off
.LBB1313_14:
	s_or_b32 exec_lo, exec_lo, s2
	s_waitcnt lgkmcnt(0)
	s_waitcnt_vscnt null, 0x0
	s_barrier
	buffer_gl0_inv
	ds_load_b128 v[83:86], v72
	ds_load_b128 v[87:90], v72 offset:16
	ds_load_b128 v[95:98], v72 offset:2064
	;; [unrolled: 1-line block ×5, first 2 shown]
	v_cmp_eq_u32_e32 vcc_lo, 1, v69
	v_mov_b32_e32 v75, 0
	ds_load_b128 v[111:114], v72 offset:6160
	ds_load_b128 v[107:110], v72 offset:6144
	;; [unrolled: 1-line block ×4, first 2 shown]
	v_cmp_eq_u32_e64 s3, 1, v68
	v_cmp_eq_u32_e64 s2, 1, v71
	;; [unrolled: 1-line block ×3, first 2 shown]
	v_mov_b32_e32 v76, v75
	v_mov_b32_e32 v77, v75
	;; [unrolled: 1-line block ×7, first 2 shown]
	v_cmp_eq_u32_e64 s5, 3, v71
	v_cmp_eq_u32_e64 s6, 7, v71
	s_waitcnt lgkmcnt(8)
	s_delay_alu instid0(VALU_DEP_3)
	v_wmma_f32_16x16x16_f16 v[75:82], v[49:56], v[83:90], v[75:82]
	ds_load_b128 v[53:56], v72 offset:10256
	ds_load_b128 v[49:52], v72 offset:10240
	s_waitcnt lgkmcnt(8)
	v_wmma_f32_16x16x16_f16 v[75:82], v[41:48], v[91:98], v[75:82]
	ds_load_b128 v[45:48], v72 offset:12304
	ds_load_b128 v[41:44], v72 offset:12288
	s_waitcnt lgkmcnt(8)
	;; [unrolled: 4-line block ×3, first 2 shown]
	s_barrier
	buffer_gl0_inv
	v_wmma_f32_16x16x16_f16 v[75:82], v[1:8], v[107:114], v[75:82]
	s_delay_alu instid0(VALU_DEP_1) | instskip(NEXT) | instid1(VALU_DEP_1)
	v_wmma_f32_16x16x16_f16 v[75:82], v[9:16], v[115:122], v[75:82]
	v_wmma_f32_16x16x16_f16 v[75:82], v[17:24], v[49:56], v[75:82]
	s_delay_alu instid0(VALU_DEP_1) | instskip(NEXT) | instid1(VALU_DEP_1)
	v_wmma_f32_16x16x16_f16 v[75:82], v[25:32], v[41:48], v[75:82]
	v_wmma_f32_16x16x16_f16 v[75:82], v[57:64], v[33:40], v[75:82]
	s_delay_alu instid0(VALU_DEP_1) | instskip(NEXT) | instid1(VALU_DEP_2)
	v_cvt_f16_f32_e32 v1, v75
	v_cvt_f16_f32_e32 v2, v76
	s_delay_alu instid0(VALU_DEP_3) | instskip(NEXT) | instid1(VALU_DEP_4)
	v_cvt_f16_f32_e32 v3, v77
	v_cvt_f16_f32_e32 v4, v78
	;; [unrolled: 1-line block ×6, first 2 shown]
	v_pack_b32_f16 v1, v1, v2
	v_pack_b32_f16 v2, v3, v4
	v_pack_b32_f16 v3, v5, v6
	s_delay_alu instid0(VALU_DEP_4)
	v_pack_b32_f16 v4, v7, v8
	ds_store_b128 v73, v[1:4]
	s_waitcnt lgkmcnt(0)
	s_barrier
	buffer_gl0_inv
	ds_load_b128 v[1:4], v74
	ds_load_b128 v[5:8], v74 offset:16
	s_waitcnt lgkmcnt(1)
	v_lshrrev_b32_e32 v9, 16, v1
	s_waitcnt lgkmcnt(0)
	v_lshrrev_b32_e32 v13, 16, v5
	v_lshrrev_b32_e32 v10, 16, v2
	;; [unrolled: 1-line block ×4, first 2 shown]
	v_cndmask_b32_e32 v17, v1, v9, vcc_lo
	v_cndmask_b32_e32 v18, v5, v13, vcc_lo
	v_cndmask_b32_e64 v21, v1, v9, s3
	v_cmp_eq_u32_e32 vcc_lo, 1, v70
	v_cndmask_b32_e64 v22, v5, v13, s3
	v_cmp_eq_u32_e64 s3, 2, v69
	v_cndmask_b32_e64 v19, v1, v9, s2
	v_cndmask_b32_e64 v20, v5, v13, s2
	v_cndmask_b32_e32 v1, v1, v9, vcc_lo
	v_cmp_eq_u32_e64 s2, 2, v70
	v_cndmask_b32_e32 v5, v5, v13, vcc_lo
	v_cndmask_b32_e64 v9, v17, v2, s3
	v_cmp_eq_u32_e32 vcc_lo, 3, v69
	v_cndmask_b32_e64 v13, v18, v6, s3
	v_cmp_eq_u32_e64 s3, 2, v68
	v_cndmask_b32_e64 v17, v19, v2, s4
	v_cndmask_b32_e64 v18, v20, v6, s4
	v_cmp_eq_u32_e64 s4, 3, v68
	v_cndmask_b32_e64 v1, v1, v2, s2
	v_cndmask_b32_e64 v19, v21, v2, s3
	;; [unrolled: 1-line block ×4, first 2 shown]
	v_cndmask_b32_e32 v5, v9, v10, vcc_lo
	v_cndmask_b32_e32 v6, v13, v14, vcc_lo
	v_cmp_eq_u32_e32 vcc_lo, 3, v70
	v_cndmask_b32_e64 v9, v17, v10, s5
	v_cndmask_b32_e64 v13, v18, v14, s5
	;; [unrolled: 1-line block ×3, first 2 shown]
	v_cmp_eq_u32_e64 s3, 4, v69
	v_cndmask_b32_e32 v1, v1, v10, vcc_lo
	v_cndmask_b32_e32 v2, v2, v14, vcc_lo
	v_cmp_eq_u32_e32 vcc_lo, 4, v71
	v_lshrrev_b32_e32 v15, 16, v7
	v_lshrrev_b32_e32 v16, 16, v8
	v_cndmask_b32_e64 v17, v19, v10, s4
	v_cmp_eq_u32_e64 s2, 4, v70
	v_cndmask_b32_e64 v5, v5, v3, s3
	v_cndmask_b32_e64 v6, v6, v7, s3
	v_cndmask_b32_e32 v9, v9, v3, vcc_lo
	v_cmp_eq_u32_e64 s3, 5, v71
	v_cndmask_b32_e32 v10, v13, v7, vcc_lo
	v_cmp_eq_u32_e32 vcc_lo, 4, v68
	v_cmp_eq_u32_e64 s4, 5, v69
	v_cndmask_b32_e64 v2, v2, v7, s2
	v_cndmask_b32_e64 v9, v9, v11, s3
	;; [unrolled: 1-line block ×3, first 2 shown]
	v_cndmask_b32_e32 v13, v17, v3, vcc_lo
	v_cmp_eq_u32_e64 s3, 5, v68
	v_cndmask_b32_e32 v14, v18, v7, vcc_lo
	v_cndmask_b32_e64 v1, v1, v3, s2
	v_cmp_eq_u32_e32 vcc_lo, 5, v70
	v_lshrrev_b32_e32 v12, 16, v4
	v_cndmask_b32_e64 v13, v13, v11, s3
	v_cndmask_b32_e64 v3, v14, v15, s3
	v_cmp_eq_u32_e64 s3, 6, v70
	v_cndmask_b32_e32 v1, v1, v11, vcc_lo
	v_cndmask_b32_e64 v5, v5, v11, s4
	v_cmp_eq_u32_e64 s5, 6, v69
	v_cndmask_b32_e64 v6, v6, v15, s4
	v_cmp_eq_u32_e64 s4, 6, v71
	v_cmp_eq_u32_e64 s2, 6, v68
	v_cndmask_b32_e64 v1, v1, v4, s3
	v_cndmask_b32_e32 v2, v2, v15, vcc_lo
	v_cmp_eq_u32_e32 vcc_lo, 7, v70
	v_cndmask_b32_e64 v5, v5, v4, s5
	v_cndmask_b32_e64 v9, v9, v4, s4
	;; [unrolled: 1-line block ×3, first 2 shown]
	v_cmp_eq_u32_e64 s5, 7, v69
	v_cndmask_b32_e32 v1, v1, v12, vcc_lo
	v_cndmask_b32_e64 v7, v13, v4, s2
	v_cndmask_b32_e64 v3, v3, v8, s2
	;; [unrolled: 1-line block ×3, first 2 shown]
	v_cmp_eq_u32_e64 s2, 7, v68
	v_cndmask_b32_e64 v4, v10, v8, s4
	v_cndmask_b32_e64 v5, v5, v12, s5
	;; [unrolled: 1-line block ×3, first 2 shown]
	v_cndmask_b32_e32 v2, v2, v16, vcc_lo
	v_cndmask_b32_e64 v7, v7, v12, s2
	v_cndmask_b32_e64 v3, v3, v16, s2
	;; [unrolled: 1-line block ×4, first 2 shown]
	v_perm_b32 v4, v2, v1, 0x5040100
	s_mov_b32 s2, exec_lo
	v_perm_b32 v3, v3, v7, 0x5040100
	v_perm_b32 v2, v8, v9, 0x5040100
	v_perm_b32 v1, v6, v5, 0x5040100
	ds_store_b128 v73, v[1:4]
	s_waitcnt lgkmcnt(0)
	s_barrier
	buffer_gl0_inv
	v_cmpx_gt_u32_e32 32, v0
	s_cbranch_execz .LBB1313_2
; %bb.15:
	s_load_b64 s[0:1], s[0:1], 0x68
	v_lshlrev_b32_e32 v0, 10, v0
	v_or_b32_e32 v1, s31, v66
	s_lshl_b32 s4, s34, 7
	v_lshlrev_b32_e32 v2, 4, v67
	s_mul_i32 s2, s4, s30
	v_lshlrev_b32_e32 v3, 6, v66
	v_mul_lo_u32 v8, v1, s4
	v_and_b32_e32 v0, 0x3800, v0
	v_or_b32_e32 v1, 2, v1
	s_mul_i32 s2, s2, s7
	s_delay_alu instid0(SALU_CYCLE_1) | instskip(NEXT) | instid1(VALU_DEP_2)
	s_ashr_i32 s3, s2, 31
	v_or3_b32 v4, v0, v2, v3
	s_lshl_b64 s[2:3], s[2:3], 1
	v_mul_lo_u32 v10, v1, s4
	v_ashrrev_i32_e32 v9, 31, v8
	ds_load_b128 v[0:3], v4
	ds_load_b128 v[4:7], v4 offset:128
	s_waitcnt lgkmcnt(0)
	s_add_u32 s2, s0, s2
	s_addc_u32 s3, s1, s3
	s_lshl_b32 s0, s14, 7
	v_ashrrev_i32_e32 v11, 31, v10
	s_ashr_i32 s1, s0, 31
	v_lshlrev_b64 v[8:9], 1, v[8:9]
	s_lshl_b64 s[0:1], s[0:1], 1
	s_delay_alu instid0(SALU_CYCLE_1) | instskip(SKIP_2) | instid1(VALU_DEP_1)
	s_add_u32 s0, s2, s0
	s_addc_u32 s1, s3, s1
	v_add_co_u32 v12, s0, s0, v65
	v_add_co_ci_u32_e64 v13, null, s1, 0, s0
	v_lshlrev_b64 v[10:11], 1, v[10:11]
	s_delay_alu instid0(VALU_DEP_3) | instskip(NEXT) | instid1(VALU_DEP_3)
	v_add_co_u32 v8, vcc_lo, v12, v8
	v_add_co_ci_u32_e32 v9, vcc_lo, v13, v9, vcc_lo
	s_delay_alu instid0(VALU_DEP_3) | instskip(NEXT) | instid1(VALU_DEP_4)
	v_add_co_u32 v10, vcc_lo, v12, v10
	v_add_co_ci_u32_e32 v11, vcc_lo, v13, v11, vcc_lo
	s_clause 0x1
	global_store_b128 v[8:9], v[0:3], off
	global_store_b128 v[10:11], v[4:7], off
	s_nop 0
	s_sendmsg sendmsg(MSG_DEALLOC_VGPRS)
	s_endpgm
	.section	.rodata,"a",@progbits
	.p2align	6, 0x0
	.amdhsa_kernel _Z39paged_attention_ll4mi_QKV_mfma16_kernelIDF16_hLN4vllm18Fp8KVCacheDataTypeE1EhLi32ELi128ELi256ELb0ELi4EL8MFMAType0EEvPKT_PKT0_S8_ifPKiSA_SA_iPKfiiiPfSD_PS3_PT2_iSC_SC_
		.amdhsa_group_segment_fixed_size 17472
		.amdhsa_private_segment_fixed_size 0
		.amdhsa_kernarg_size 400
		.amdhsa_user_sgpr_count 13
		.amdhsa_user_sgpr_dispatch_ptr 0
		.amdhsa_user_sgpr_queue_ptr 0
		.amdhsa_user_sgpr_kernarg_segment_ptr 1
		.amdhsa_user_sgpr_dispatch_id 0
		.amdhsa_user_sgpr_private_segment_size 0
		.amdhsa_wavefront_size32 1
		.amdhsa_uses_dynamic_stack 0
		.amdhsa_enable_private_segment 0
		.amdhsa_system_sgpr_workgroup_id_x 1
		.amdhsa_system_sgpr_workgroup_id_y 1
		.amdhsa_system_sgpr_workgroup_id_z 1
		.amdhsa_system_sgpr_workgroup_info 0
		.amdhsa_system_vgpr_workitem_id 0
		.amdhsa_next_free_vgpr 140
		.amdhsa_next_free_sgpr 36
		.amdhsa_reserve_vcc 1
		.amdhsa_float_round_mode_32 0
		.amdhsa_float_round_mode_16_64 0
		.amdhsa_float_denorm_mode_32 3
		.amdhsa_float_denorm_mode_16_64 3
		.amdhsa_dx10_clamp 1
		.amdhsa_ieee_mode 1
		.amdhsa_fp16_overflow 0
		.amdhsa_workgroup_processor_mode 1
		.amdhsa_memory_ordered 1
		.amdhsa_forward_progress 0
		.amdhsa_shared_vgpr_count 0
		.amdhsa_exception_fp_ieee_invalid_op 0
		.amdhsa_exception_fp_denorm_src 0
		.amdhsa_exception_fp_ieee_div_zero 0
		.amdhsa_exception_fp_ieee_overflow 0
		.amdhsa_exception_fp_ieee_underflow 0
		.amdhsa_exception_fp_ieee_inexact 0
		.amdhsa_exception_int_div_zero 0
	.end_amdhsa_kernel
	.section	.text._Z39paged_attention_ll4mi_QKV_mfma16_kernelIDF16_hLN4vllm18Fp8KVCacheDataTypeE1EhLi32ELi128ELi256ELb0ELi4EL8MFMAType0EEvPKT_PKT0_S8_ifPKiSA_SA_iPKfiiiPfSD_PS3_PT2_iSC_SC_,"axG",@progbits,_Z39paged_attention_ll4mi_QKV_mfma16_kernelIDF16_hLN4vllm18Fp8KVCacheDataTypeE1EhLi32ELi128ELi256ELb0ELi4EL8MFMAType0EEvPKT_PKT0_S8_ifPKiSA_SA_iPKfiiiPfSD_PS3_PT2_iSC_SC_,comdat
.Lfunc_end1313:
	.size	_Z39paged_attention_ll4mi_QKV_mfma16_kernelIDF16_hLN4vllm18Fp8KVCacheDataTypeE1EhLi32ELi128ELi256ELb0ELi4EL8MFMAType0EEvPKT_PKT0_S8_ifPKiSA_SA_iPKfiiiPfSD_PS3_PT2_iSC_SC_, .Lfunc_end1313-_Z39paged_attention_ll4mi_QKV_mfma16_kernelIDF16_hLN4vllm18Fp8KVCacheDataTypeE1EhLi32ELi128ELi256ELb0ELi4EL8MFMAType0EEvPKT_PKT0_S8_ifPKiSA_SA_iPKfiiiPfSD_PS3_PT2_iSC_SC_
                                        ; -- End function
	.section	.AMDGPU.csdata,"",@progbits
; Kernel info:
; codeLenInByte = 6504
; NumSgprs: 38
; NumVgprs: 140
; ScratchSize: 0
; MemoryBound: 0
; FloatMode: 240
; IeeeMode: 1
; LDSByteSize: 17472 bytes/workgroup (compile time only)
; SGPRBlocks: 4
; VGPRBlocks: 17
; NumSGPRsForWavesPerEU: 38
; NumVGPRsForWavesPerEU: 140
; Occupancy: 10
; WaveLimiterHint : 1
; COMPUTE_PGM_RSRC2:SCRATCH_EN: 0
; COMPUTE_PGM_RSRC2:USER_SGPR: 13
; COMPUTE_PGM_RSRC2:TRAP_HANDLER: 0
; COMPUTE_PGM_RSRC2:TGID_X_EN: 1
; COMPUTE_PGM_RSRC2:TGID_Y_EN: 1
; COMPUTE_PGM_RSRC2:TGID_Z_EN: 1
; COMPUTE_PGM_RSRC2:TIDIG_COMP_CNT: 0
	.section	.text._Z39paged_attention_ll4mi_QKV_mfma16_kernelIDF16_hLN4vllm18Fp8KVCacheDataTypeE1EDF16_Li32ELi128ELi256ELb1ELi5EL8MFMAType0EEvPKT_PKT0_S8_ifPKiSA_SA_iPKfiiiPfSD_PS3_PT2_iSC_SC_,"axG",@progbits,_Z39paged_attention_ll4mi_QKV_mfma16_kernelIDF16_hLN4vllm18Fp8KVCacheDataTypeE1EDF16_Li32ELi128ELi256ELb1ELi5EL8MFMAType0EEvPKT_PKT0_S8_ifPKiSA_SA_iPKfiiiPfSD_PS3_PT2_iSC_SC_,comdat
	.protected	_Z39paged_attention_ll4mi_QKV_mfma16_kernelIDF16_hLN4vllm18Fp8KVCacheDataTypeE1EDF16_Li32ELi128ELi256ELb1ELi5EL8MFMAType0EEvPKT_PKT0_S8_ifPKiSA_SA_iPKfiiiPfSD_PS3_PT2_iSC_SC_ ; -- Begin function _Z39paged_attention_ll4mi_QKV_mfma16_kernelIDF16_hLN4vllm18Fp8KVCacheDataTypeE1EDF16_Li32ELi128ELi256ELb1ELi5EL8MFMAType0EEvPKT_PKT0_S8_ifPKiSA_SA_iPKfiiiPfSD_PS3_PT2_iSC_SC_
	.globl	_Z39paged_attention_ll4mi_QKV_mfma16_kernelIDF16_hLN4vllm18Fp8KVCacheDataTypeE1EDF16_Li32ELi128ELi256ELb1ELi5EL8MFMAType0EEvPKT_PKT0_S8_ifPKiSA_SA_iPKfiiiPfSD_PS3_PT2_iSC_SC_
	.p2align	8
	.type	_Z39paged_attention_ll4mi_QKV_mfma16_kernelIDF16_hLN4vllm18Fp8KVCacheDataTypeE1EDF16_Li32ELi128ELi256ELb1ELi5EL8MFMAType0EEvPKT_PKT0_S8_ifPKiSA_SA_iPKfiiiPfSD_PS3_PT2_iSC_SC_,@function
_Z39paged_attention_ll4mi_QKV_mfma16_kernelIDF16_hLN4vllm18Fp8KVCacheDataTypeE1EDF16_Li32ELi128ELi256ELb1ELi5EL8MFMAType0EEvPKT_PKT0_S8_ifPKiSA_SA_iPKfiiiPfSD_PS3_PT2_iSC_SC_: ; @_Z39paged_attention_ll4mi_QKV_mfma16_kernelIDF16_hLN4vllm18Fp8KVCacheDataTypeE1EDF16_Li32ELi128ELi256ELb1ELi5EL8MFMAType0EEvPKT_PKT0_S8_ifPKiSA_SA_iPKfiiiPfSD_PS3_PT2_iSC_SC_
; %bb.0:
	s_load_b64 s[4:5], s[0:1], 0x30
	s_mov_b32 s34, s13
	s_waitcnt lgkmcnt(0)
	s_cmp_lg_u64 s[4:5], 0
	s_cselect_b32 s8, -1, 0
	s_ashr_i32 s35, s13, 31
	s_cmp_eq_u64 s[4:5], 0
	s_cbranch_scc1 .LBB1314_3
; %bb.1:
	s_lshl_b64 s[2:3], s[34:35], 2
	s_delay_alu instid0(SALU_CYCLE_1) | instskip(SKIP_4) | instid1(SALU_CYCLE_1)
	s_add_u32 s2, s4, s2
	s_addc_u32 s3, s5, s3
	s_load_b64 s[2:3], s[2:3], 0x0
	s_waitcnt lgkmcnt(0)
	s_sub_i32 s2, s3, s2
	s_cmp_eq_u32 s2, 1
	s_cselect_b32 s2, -1, 0
	s_delay_alu instid0(SALU_CYCLE_1)
	s_and_not1_b32 vcc_lo, exec_lo, s2
	s_cbranch_vccz .LBB1314_4
.LBB1314_2:
	s_nop 0
	s_sendmsg sendmsg(MSG_DEALLOC_VGPRS)
	s_endpgm
.LBB1314_3:
.LBB1314_4:
	s_load_b64 s[2:3], s[0:1], 0x28
	s_lshl_b64 s[6:7], s[34:35], 2
	s_waitcnt lgkmcnt(0)
	s_add_u32 s2, s2, s6
	s_addc_u32 s3, s3, s7
	s_lshl_b32 s12, s14, 8
	s_load_b32 s24, s[2:3], 0x0
	s_waitcnt lgkmcnt(0)
	s_cmp_ge_i32 s12, s24
	s_cbranch_scc1 .LBB1314_2
; %bb.5:
	s_clause 0x1
	s_load_b128 s[20:23], s[0:1], 0x8
	s_load_b64 s[2:3], s[0:1], 0x20
	s_and_not1_b32 vcc_lo, exec_lo, s8
	s_cbranch_vccnz .LBB1314_7
; %bb.6:
	s_add_u32 s4, s4, s6
	s_addc_u32 s5, s5, s7
	s_load_b32 s5, s[4:5], 0x0
	s_branch .LBB1314_8
.LBB1314_7:
	s_mov_b32 s5, s34
.LBB1314_8:
	s_load_b128 s[16:19], s[0:1], 0x48
	v_and_b32_e32 v68, 15, v0
	v_lshrrev_b32_e32 v69, 5, v0
	v_bfe_u32 v66, v0, 4, 1
	v_and_b32_e32 v70, 31, v0
	v_and_b32_e32 v67, 1, v0
	v_lshlrev_b32_e32 v2, 3, v68
	s_mul_i32 s31, s15, 5
	v_lshl_or_b32 v1, v69, 1, v66
	s_mov_b32 s4, exec_lo
	s_delay_alu instid0(VALU_DEP_2) | instskip(NEXT) | instid1(VALU_DEP_2)
	v_lshlrev_b32_e32 v65, 1, v2
	v_cmpx_gt_u32_e32 5, v1
	s_cbranch_execz .LBB1314_10
; %bb.9:
	s_load_b64 s[6:7], s[0:1], 0x0
	v_add_lshl_u32 v2, v1, s31, 7
	s_waitcnt lgkmcnt(0)
	s_mul_hi_i32 s9, s5, s16
	s_mul_i32 s8, s5, s16
	v_lshlrev_b32_e32 v6, 10, v68
	s_lshl_b64 s[8:9], s[8:9], 1
	v_ashrrev_i32_e32 v3, 31, v2
	v_lshlrev_b32_e32 v1, 6, v1
	v_lshlrev_b32_e32 v7, 10, v67
	v_and_b32_e32 v6, 0x3800, v6
	s_delay_alu instid0(VALU_DEP_4) | instskip(NEXT) | instid1(VALU_DEP_2)
	v_lshlrev_b64 v[2:3], 1, v[2:3]
	v_or3_b32 v1, v6, v7, v1
	s_add_u32 s5, s6, s8
	s_addc_u32 s6, s7, s9
	s_delay_alu instid0(VALU_DEP_2) | instskip(NEXT) | instid1(VALU_DEP_3)
	v_add_co_u32 v2, vcc_lo, s5, v2
	v_add_co_ci_u32_e32 v3, vcc_lo, s6, v3, vcc_lo
	s_delay_alu instid0(VALU_DEP_2) | instskip(NEXT) | instid1(VALU_DEP_2)
	v_add_co_u32 v2, vcc_lo, v2, v65
	v_add_co_ci_u32_e32 v3, vcc_lo, 0, v3, vcc_lo
	global_load_b128 v[2:5], v[2:3], off
	s_waitcnt vmcnt(0)
	ds_store_b128 v1, v[2:5]
.LBB1314_10:
	s_or_b32 exec_lo, exec_lo, s4
	v_and_b32_e32 v1, 0xef, v0
	s_waitcnt lgkmcnt(0)
	s_add_i32 s5, s24, 31
	s_clause 0x1
	s_load_b32 s4, s[0:1], 0x38
	s_load_b32 s33, s[0:1], 0x98
	s_ashr_i32 s6, s5, 31
	v_add_nc_u32_e32 v1, s12, v1
	s_lshr_b32 s6, s6, 27
	s_load_b32 s19, s[0:1], 0x1c
	s_add_i32 s5, s5, s6
	s_waitcnt lgkmcnt(0)
	v_ashrrev_i32_e32 v2, 31, v1
	v_or_b32_e32 v3, 16, v1
	s_ashr_i32 s13, s5, 5
	v_cmp_gt_i32_e32 vcc_lo, s24, v1
	s_add_i32 s13, s13, -1
	v_lshrrev_b32_e32 v2, 27, v2
	s_barrier
	buffer_gl0_inv
	s_mul_i32 s15, s15, s18
	v_add_nc_u32_e32 v4, v1, v2
	s_mul_i32 s4, s34, s4
	s_delay_alu instid0(SALU_CYCLE_1) | instskip(NEXT) | instid1(VALU_DEP_1)
	s_ashr_i32 s5, s4, 31
	v_ashrrev_i32_e32 v4, 5, v4
	v_add_nc_u32_e32 v2, v3, v2
	s_lshl_b64 s[4:5], s[4:5], 2
	s_delay_alu instid0(SALU_CYCLE_1) | instskip(NEXT) | instid1(VALU_DEP_2)
	s_add_u32 s16, s2, s4
	v_cndmask_b32_e32 v1, s13, v4, vcc_lo
	s_delay_alu instid0(VALU_DEP_2)
	v_ashrrev_i32_e32 v2, 5, v2
	v_cmp_gt_i32_e32 vcc_lo, s24, v3
	s_addc_u32 s25, s3, s5
	s_ashr_i32 s18, s15, 31
	s_add_u32 s2, s20, s15
	s_addc_u32 s3, s21, s18
	v_cndmask_b32_e32 v3, s13, v2, vcc_lo
	v_ashrrev_i32_e32 v2, 31, v1
	s_lshl_b32 s4, s14, 3
	s_delay_alu instid0(SALU_CYCLE_1) | instskip(NEXT) | instid1(VALU_DEP_2)
	s_ashr_i32 s5, s4, 31
	v_ashrrev_i32_e32 v4, 31, v3
	s_delay_alu instid0(VALU_DEP_2) | instskip(SKIP_1) | instid1(SALU_CYCLE_1)
	v_lshlrev_b64 v[1:2], 2, v[1:2]
	s_lshl_b64 s[4:5], s[4:5], 2
	s_add_u32 s4, s16, s4
	s_delay_alu instid0(VALU_DEP_2) | instskip(SKIP_1) | instid1(VALU_DEP_2)
	v_lshlrev_b64 v[3:4], 2, v[3:4]
	s_addc_u32 s5, s25, s5
	v_add_co_u32 v1, vcc_lo, s16, v1
	v_add_co_ci_u32_e32 v2, vcc_lo, s25, v2, vcc_lo
	s_delay_alu instid0(VALU_DEP_3) | instskip(NEXT) | instid1(VALU_DEP_4)
	v_add_co_u32 v3, vcc_lo, s16, v3
	v_add_co_ci_u32_e32 v4, vcc_lo, s25, v4, vcc_lo
	s_clause 0x1
	global_load_b32 v5, v[1:2], off
	global_load_b32 v6, v[3:4], off
	s_or_b32 s6, s12, 32
	s_delay_alu instid0(SALU_CYCLE_1) | instskip(SKIP_2) | instid1(SALU_CYCLE_1)
	s_ashr_i32 s7, s6, 5
	s_cmp_lt_i32 s6, s24
	s_cselect_b32 s6, s7, s13
	s_ashr_i32 s7, s6, 31
	s_delay_alu instid0(SALU_CYCLE_1) | instskip(NEXT) | instid1(SALU_CYCLE_1)
	s_lshl_b64 s[6:7], s[6:7], 2
	s_add_u32 s6, s16, s6
	s_addc_u32 s7, s25, s7
	s_or_b32 s8, s12, 64
	s_delay_alu instid0(SALU_CYCLE_1) | instskip(SKIP_2) | instid1(SALU_CYCLE_1)
	s_ashr_i32 s9, s8, 5
	s_cmp_lt_i32 s8, s24
	s_cselect_b32 s8, s9, s13
	s_ashr_i32 s9, s8, 31
	s_delay_alu instid0(SALU_CYCLE_1) | instskip(NEXT) | instid1(SALU_CYCLE_1)
	s_lshl_b64 s[8:9], s[8:9], 2
	s_add_u32 s8, s16, s8
	s_addc_u32 s9, s25, s9
	;; [unrolled: 10-line block ×5, first 2 shown]
	s_clause 0x5
	s_load_b32 s28, s[4:5], 0x0
	s_load_b32 s29, s[6:7], 0x0
	;; [unrolled: 1-line block ×6, first 2 shown]
	s_mov_b32 s4, 0
	s_delay_alu instid0(SALU_CYCLE_1)
	s_mov_b32 s5, s4
	s_mov_b32 s6, s4
	;; [unrolled: 1-line block ×7, first 2 shown]
	s_delay_alu instid0(SALU_CYCLE_1)
	v_dual_mov_b32 v118, s11 :: v_dual_mov_b32 v117, s10
	v_dual_mov_b32 v116, s9 :: v_dual_mov_b32 v115, s8
	v_mov_b32_e32 v113, s6
	v_dual_mov_b32 v111, s4 :: v_dual_mov_b32 v114, s7
	v_mov_b32_e32 v112, s5
	s_waitcnt vmcnt(1)
	v_mad_i64_i32 v[1:2], null, v5, s17, s[2:3]
	v_lshlrev_b32_e32 v5, 4, v68
	s_waitcnt vmcnt(0)
	v_mad_i64_i32 v[3:4], null, v6, s17, s[2:3]
	s_or_b32 s2, s12, 0xc0
	s_delay_alu instid0(SALU_CYCLE_1) | instskip(NEXT) | instid1(VALU_DEP_3)
	s_ashr_i32 s3, s2, 5
	v_add_co_u32 v1, vcc_lo, v1, v5
	s_delay_alu instid0(VALU_DEP_4) | instskip(NEXT) | instid1(VALU_DEP_3)
	v_add_co_ci_u32_e32 v2, vcc_lo, 0, v2, vcc_lo
	v_add_co_u32 v3, vcc_lo, v3, v5
	s_delay_alu instid0(VALU_DEP_4)
	v_add_co_ci_u32_e32 v4, vcc_lo, 0, v4, vcc_lo
	s_clause 0xf
	global_load_b128 v[17:20], v[1:2], off
	global_load_b128 v[21:24], v[1:2], off offset:512
	global_load_b128 v[25:28], v[3:4], off offset:256
	;; [unrolled: 1-line block ×15, first 2 shown]
	v_mul_lo_u16 v1, v68, 52
	s_cmp_lt_i32 s2, s24
	v_lshlrev_b32_e32 v2, 5, v68
	s_cselect_b32 s2, s3, s13
	s_delay_alu instid0(VALU_DEP_2) | instskip(SKIP_1) | instid1(SALU_CYCLE_1)
	v_lshrrev_b16 v1, 8, v1
	s_ashr_i32 s3, s2, 31
	s_lshl_b64 s[2:3], s[2:3], 2
	s_delay_alu instid0(VALU_DEP_1) | instskip(SKIP_3) | instid1(VALU_DEP_1)
	v_mul_lo_u16 v1, v1, 5
	s_add_u32 s2, s16, s2
	s_addc_u32 s3, s25, s3
	s_or_b32 s20, s12, 0xe0
	v_sub_nc_u16 v1, v68, v1
	s_ashr_i32 s21, s20, 5
	s_cmp_lt_i32 s20, s24
	s_cselect_b32 s20, s21, s13
	s_delay_alu instid0(VALU_DEP_1) | instskip(SKIP_1) | instid1(SALU_CYCLE_1)
	v_and_b32_e32 v1, 0xff, v1
	s_ashr_i32 s21, s20, 31
	s_lshl_b64 s[4:5], s[20:21], 2
	s_delay_alu instid0(VALU_DEP_1)
	v_lshlrev_b32_e32 v149, 6, v1
	s_add_u32 s4, s16, s4
	s_addc_u32 s5, s25, s5
	v_lshl_or_b32 v1, v69, 9, v2
	ds_load_b128 v[119:122], v149
	ds_load_b128 v[123:126], v149 offset:1024
	ds_load_b128 v[127:130], v149 offset:2048
	;; [unrolled: 1-line block ×3, first 2 shown]
	s_clause 0x1
	s_load_b32 s2, s[2:3], 0x0
	s_load_b32 s3, s[4:5], 0x0
	s_add_u32 s6, s22, s15
	s_addc_u32 s7, s23, s18
	v_add_co_u32 v135, s6, s6, v1
	s_delay_alu instid0(VALU_DEP_1) | instskip(SKIP_1) | instid1(VALU_DEP_1)
	v_add_co_ci_u32_e64 v136, null, s7, 0, s6
	s_waitcnt lgkmcnt(0)
	v_mad_i64_i32 v[1:2], null, s28, s17, v[135:136]
	v_mad_i64_i32 v[3:4], null, s29, s17, v[135:136]
	;; [unrolled: 1-line block ×6, first 2 shown]
	s_clause 0x9
	global_load_b128 v[49:52], v[1:2], off
	global_load_b128 v[53:56], v[1:2], off offset:16
	global_load_b128 v[41:44], v[3:4], off
	global_load_b128 v[45:48], v[3:4], off offset:16
	global_load_b128 v[33:36], v[5:6], off
	global_load_b128 v[37:40], v[5:6], off offset:16
	global_load_b128 v[1:4], v[7:8], off
	global_load_b128 v[5:8], v[7:8], off offset:16
	global_load_b128 v[9:12], v[13:14], off
	global_load_b128 v[13:16], v[13:14], off offset:16
	v_mad_i64_i32 v[145:146], null, s2, s17, v[135:136]
	v_mad_i64_i32 v[147:148], null, s3, s17, v[135:136]
	s_waitcnt vmcnt(24)
	v_wmma_f32_16x16x16_f16 v[135:142], v[17:24], v[119:126], v[111:118]
	s_waitcnt vmcnt(22)
	v_wmma_f32_16x16x16_f16 v[111:118], v[25:32], v[119:126], v[111:118]
	s_clause 0x3
	global_load_b128 v[17:20], v[143:144], off
	global_load_b128 v[21:24], v[143:144], off offset:16
	global_load_b128 v[25:28], v[145:146], off
	global_load_b128 v[29:32], v[145:146], off offset:16
	v_and_b32_e32 v119, 0xe0, v0
	s_waitcnt vmcnt(24)
	v_wmma_f32_16x16x16_f16 v[135:142], v[57:64], v[127:134], v[135:142]
	s_clause 0x1
	global_load_b128 v[57:60], v[147:148], off
	global_load_b128 v[61:64], v[147:148], off offset:16
	s_waitcnt vmcnt(24)
	v_wmma_f32_16x16x16_f16 v[111:118], v[71:78], v[127:134], v[111:118]
	ds_load_b128 v[71:74], v149 offset:4096
	ds_load_b128 v[75:78], v149 offset:5120
	v_add_nc_u32_e32 v128, s12, v119
	ds_load_b128 v[119:122], v149 offset:6144
	ds_load_b128 v[123:126], v149 offset:7168
	v_mbcnt_lo_u32_b32 v127, -1, 0
	s_waitcnt vmcnt(0) lgkmcnt(0)
	s_barrier
	v_or_b32_e32 v128, v128, v66
	buffer_gl0_inv
	v_xor_b32_e32 v129, 16, v127
	v_or_b32_e32 v130, 4, v128
	v_or_b32_e32 v131, 6, v128
	s_delay_alu instid0(VALU_DEP_3) | instskip(SKIP_4) | instid1(VALU_DEP_4)
	v_cmp_gt_i32_e32 vcc_lo, 32, v129
	v_or_b32_e32 v132, 8, v128
	v_or_b32_e32 v133, 10, v128
	v_cmp_gt_i32_e64 s3, s24, v130
	v_cmp_gt_i32_e64 s4, s24, v131
	;; [unrolled: 1-line block ×3, first 2 shown]
	v_wmma_f32_16x16x16_f16 v[135:142], v[79:86], v[71:78], v[135:142]
	v_wmma_f32_16x16x16_f16 v[111:118], v[87:94], v[71:78], v[111:118]
	v_or_b32_e32 v79, 12, v128
	v_or_b32_e32 v80, 14, v128
	v_cmp_gt_i32_e64 s6, s24, v133
	v_wmma_f32_16x16x16_f16 v[135:142], v[95:102], v[119:126], v[135:142]
	v_cndmask_b32_e32 v127, v127, v129, vcc_lo
	v_or_b32_e32 v129, 2, v128
	v_wmma_f32_16x16x16_f16 v[111:118], v[103:110], v[119:126], v[111:118]
	v_cmp_gt_i32_e32 vcc_lo, s24, v128
	v_dual_mul_f32 v88, s19, v135 :: v_dual_mul_f32 v87, s19, v136
	s_delay_alu instid0(VALU_DEP_4) | instskip(NEXT) | instid1(VALU_DEP_4)
	v_cmp_gt_i32_e64 s2, s24, v129
	v_mul_f32_e32 v94, s19, v113
	v_mul_f32_e32 v78, s19, v138
	;; [unrolled: 1-line block ×3, first 2 shown]
	v_cndmask_b32_e32 v88, 0xff7fffff, v88, vcc_lo
	v_cndmask_b32_e64 v87, 0xff7fffff, v87, s2
	v_dual_mul_f32 v76, s19, v140 :: v_dual_mul_f32 v77, s19, v139
	v_mul_f32_e32 v90, s19, v117
	v_cndmask_b32_e64 v86, 0xff7fffff, v86, s3
	v_cndmask_b32_e64 v78, 0xff7fffff, v78, s4
	v_max3_f32 v87, v88, 0xff7fffff, v87
	v_or_b32_e32 v81, 16, v128
	v_or_b32_e32 v82, 18, v128
	v_dual_mul_f32 v74, s19, v142 :: v_dual_mul_f32 v75, s19, v141
	v_mul_f32_e32 v92, s19, v115
	v_cndmask_b32_e64 v77, 0xff7fffff, v77, s5
	v_cndmask_b32_e64 v76, 0xff7fffff, v76, s6
	v_max3_f32 v78, v87, v86, v78
	v_cmp_gt_i32_e64 s7, s24, v79
	v_cmp_gt_i32_e64 s8, s24, v80
	v_or_b32_e32 v83, 20, v128
	v_or_b32_e32 v84, 22, v128
	v_dual_mul_f32 v89, s19, v118 :: v_dual_mul_f32 v96, s19, v111
	v_mul_f32_e32 v95, s19, v112
	v_cndmask_b32_e64 v75, 0xff7fffff, v75, s7
	v_cndmask_b32_e64 v74, 0xff7fffff, v74, s8
	v_max3_f32 v76, v78, v77, v76
	v_cmp_gt_i32_e64 s9, s24, v81
	v_cmp_gt_i32_e64 s10, s24, v82
	v_or_b32_e32 v85, 24, v128
	v_or_b32_e32 v71, 26, v128
	v_mul_f32_e32 v93, s19, v114
	v_cndmask_b32_e64 v77, 0xff7fffff, v96, s9
	v_cndmask_b32_e64 v78, 0xff7fffff, v95, s10
	v_max3_f32 v74, v76, v75, v74
	v_cmp_gt_i32_e64 s11, s24, v83
	v_cmp_gt_i32_e64 s12, s24, v84
	v_or_b32_e32 v72, 28, v128
	v_or_b32_e32 v73, 30, v128
	v_mul_f32_e32 v91, s19, v116
	v_cndmask_b32_e64 v75, 0xff7fffff, v94, s11
	v_cndmask_b32_e64 v76, 0xff7fffff, v93, s12
	v_max3_f32 v74, v74, v77, v78
	v_cmp_gt_i32_e64 s13, s24, v85
	v_cmp_gt_i32_e64 s15, s24, v71
	;; [unrolled: 1-line block ×4, first 2 shown]
	v_max3_f32 v74, v74, v75, v76
	v_cndmask_b32_e64 v77, 0xff7fffff, v92, s13
	v_cndmask_b32_e64 v71, 0xff7fffff, v91, s15
	;; [unrolled: 1-line block ×4, first 2 shown]
	s_delay_alu instid0(VALU_DEP_3) | instskip(SKIP_1) | instid1(VALU_DEP_2)
	v_max3_f32 v71, v74, v77, v71
	v_lshlrev_b32_e32 v74, 2, v127
	v_max3_f32 v71, v71, v72, v73
	ds_bpermute_b32 v72, v74, v71
	s_waitcnt lgkmcnt(0)
	v_max_f32_e32 v72, v72, v72
	s_delay_alu instid0(VALU_DEP_1) | instskip(NEXT) | instid1(VALU_DEP_1)
	v_max_f32_e32 v71, v71, v72
	v_fma_f32 v75, s19, v137, -v71
	v_fma_f32 v76, s19, v138, -v71
	;; [unrolled: 1-line block ×5, first 2 shown]
	s_delay_alu instid0(VALU_DEP_4) | instskip(NEXT) | instid1(VALU_DEP_4)
	v_dual_mul_f32 v75, 0x3fb8aa3b, v75 :: v_dual_mul_f32 v76, 0x3fb8aa3b, v76
	v_mul_f32_e32 v72, 0x3fb8aa3b, v72
	v_fma_f32 v77, s19, v139, -v71
	s_delay_alu instid0(VALU_DEP_4) | instskip(NEXT) | instid1(VALU_DEP_4)
	v_mul_f32_e32 v73, 0x3fb8aa3b, v73
	v_exp_f32_e32 v75, v75
	v_exp_f32_e32 v76, v76
	;; [unrolled: 1-line block ×3, first 2 shown]
	s_delay_alu instid0(VALU_DEP_1) | instskip(SKIP_2) | instid1(TRANS32_DEP_3)
	v_exp_f32_e32 v73, v73
	v_cndmask_b32_e64 v81, 0, v75, s3
	v_mul_f32_e32 v82, 0x3fb8aa3b, v80
	v_cndmask_b32_e64 v80, 0, v76, s4
	s_waitcnt_depctr 0xfff
	v_cndmask_b32_e64 v78, 0, v73, s2
	v_cmp_gt_u32_e64 s2, 16, v70
	v_exp_f32_e32 v84, v82
	s_waitcnt_depctr 0xfff
	v_cndmask_b32_e64 v85, 0, v84, s7
	v_cndmask_b32_e32 v79, 0, v72, vcc_lo
	v_fma_f32 v72, s19, v140, -v71
	v_mul_f32_e32 v77, 0x3fb8aa3b, v77
	s_delay_alu instid0(VALU_DEP_2) | instskip(NEXT) | instid1(VALU_DEP_2)
	v_dual_add_f32 v73, 0, v79 :: v_dual_mul_f32 v72, 0x3fb8aa3b, v72
	v_exp_f32_e32 v77, v77
	s_delay_alu instid0(VALU_DEP_1) | instskip(NEXT) | instid1(VALU_DEP_2)
	v_add_f32_e32 v73, v73, v78
	v_exp_f32_e32 v72, v72
	s_delay_alu instid0(VALU_DEP_1) | instskip(SKIP_4) | instid1(VALU_DEP_2)
	v_add_f32_e32 v73, v73, v81
	s_waitcnt_depctr 0xfff
	v_cndmask_b32_e64 v83, 0, v77, s5
	v_add_f32_e32 v73, v73, v80
	v_cndmask_b32_e64 v82, 0, v72, s6
	v_add_f32_e32 v72, v73, v83
	s_delay_alu instid0(VALU_DEP_1)
	v_add_f32_e32 v72, v72, v82
	v_fma_f32 v75, s19, v142, -v71
	v_fma_f32 v76, s19, v111, -v71
	;; [unrolled: 1-line block ×5, first 2 shown]
	s_delay_alu instid0(VALU_DEP_4) | instskip(NEXT) | instid1(VALU_DEP_4)
	v_dual_mul_f32 v75, 0x3fb8aa3b, v75 :: v_dual_mul_f32 v76, 0x3fb8aa3b, v76
	v_mul_f32_e32 v86, 0x3fb8aa3b, v86
	v_add_f32_e32 v72, v72, v85
	s_delay_alu instid0(VALU_DEP_3) | instskip(NEXT) | instid1(VALU_DEP_3)
	v_exp_f32_e32 v75, v75
	v_exp_f32_e32 v76, v76
	s_delay_alu instid0(VALU_DEP_2) | instskip(NEXT) | instid1(TRANS32_DEP_3)
	v_exp_f32_e32 v88, v86
	v_cndmask_b32_e64 v84, 0, v75, s8
	v_mul_f32_e32 v77, 0x3fb8aa3b, v77
	s_waitcnt_depctr 0xfff
	v_cndmask_b32_e64 v87, 0, v76, s9
	v_fma_f32 v76, s19, v116, -v71
	v_dual_mul_f32 v73, 0x3fb8aa3b, v73 :: v_dual_add_f32 v72, v72, v84
	v_exp_f32_e32 v77, v77
	v_fma_f32 v75, s19, v115, -v71
	s_delay_alu instid0(VALU_DEP_3) | instskip(NEXT) | instid1(VALU_DEP_3)
	v_mul_f32_e32 v76, 0x3fb8aa3b, v76
	v_exp_f32_e32 v73, v73
	v_add_f32_e32 v72, v72, v87
	v_cndmask_b32_e64 v88, 0, v88, s12
	s_delay_alu instid0(VALU_DEP_3) | instskip(NEXT) | instid1(TRANS32_DEP_3)
	v_exp_f32_e32 v76, v76
	v_cndmask_b32_e64 v86, 0, v77, s10
	v_mul_f32_e32 v75, 0x3fb8aa3b, v75
	v_fma_f32 v77, s19, v117, -v71
	s_delay_alu instid0(TRANS32_DEP_2) | instskip(NEXT) | instid1(VALU_DEP_4)
	v_cndmask_b32_e64 v89, 0, v73, s11
	v_add_f32_e32 v72, v72, v86
	s_delay_alu instid0(VALU_DEP_4) | instskip(NEXT) | instid1(TRANS32_DEP_2)
	v_exp_f32_e32 v75, v75
	v_cndmask_b32_e64 v90, 0, v76, s15
	s_delay_alu instid0(VALU_DEP_2) | instskip(SKIP_2) | instid1(VALU_DEP_3)
	v_add_f32_e32 v72, v72, v89
	v_mul_f32_e32 v73, 0x3fb8aa3b, v77
	v_fma_f32 v77, s19, v118, -v71
	v_add_f32_e32 v72, v72, v88
	s_delay_alu instid0(VALU_DEP_3) | instskip(NEXT) | instid1(TRANS32_DEP_2)
	v_exp_f32_e32 v73, v73
	v_cndmask_b32_e64 v91, 0, v75, s13
	s_delay_alu instid0(VALU_DEP_1) | instskip(NEXT) | instid1(VALU_DEP_1)
	v_dual_mul_f32 v75, 0x3fb8aa3b, v77 :: v_dual_add_f32 v72, v72, v91
	v_exp_f32_e32 v75, v75
	s_waitcnt_depctr 0xfff
	v_cndmask_b32_e64 v93, 0, v73, s16
	v_add_f32_e32 v72, v72, v90
	s_delay_alu instid0(VALU_DEP_1) | instskip(SKIP_1) | instid1(VALU_DEP_1)
	v_add_f32_e32 v72, v72, v93
	v_cndmask_b32_e64 v92, 0, v75, s17
	v_add_f32_e32 v72, v72, v92
	ds_bpermute_b32 v73, v74, v72
	s_and_saveexec_b32 s3, s2
	s_cbranch_execz .LBB1314_12
; %bb.11:
	v_mul_u32_u24_e32 v70, 0x44, v69
	s_waitcnt lgkmcnt(0)
	v_add_f32_e32 v72, v72, v73
	s_delay_alu instid0(VALU_DEP_2) | instskip(NEXT) | instid1(VALU_DEP_1)
	v_lshl_add_u32 v70, v68, 2, v70
	v_add_nc_u32_e32 v70, 0x4000, v70
	ds_store_2addr_b32 v70, v71, v72 offset1:136
.LBB1314_12:
	s_or_b32 exec_lo, exec_lo, s3
	v_lshlrev_b32_e32 v70, 2, v68
	s_load_b32 s35, s[0:1], 0x94
	s_waitcnt lgkmcnt(0)
	s_barrier
	buffer_gl0_inv
	v_add_nc_u32_e32 v98, 0x4000, v70
	v_cmp_eq_u32_e32 vcc_lo, 1, v69
	v_cmp_eq_u32_e64 s3, 2, v69
	v_cmp_eq_u32_e64 s4, 3, v69
	;; [unrolled: 1-line block ×3, first 2 shown]
	ds_load_2addr_b32 v[70:71], v98 offset1:17
	ds_load_2addr_b32 v[72:73], v98 offset0:34 offset1:51
	ds_load_2addr_b32 v[74:75], v98 offset0:68 offset1:85
	ds_load_2addr_b32 v[94:95], v98 offset0:102 offset1:119
	v_cmp_eq_u32_e64 s6, 5, v69
	v_cmp_eq_u32_e64 s7, 7, v69
	s_waitcnt lgkmcnt(3)
	v_max3_f32 v76, v70, 0xff7fffff, v71
	s_waitcnt lgkmcnt(2)
	s_delay_alu instid0(VALU_DEP_1) | instskip(SKIP_1) | instid1(VALU_DEP_1)
	v_max3_f32 v76, v76, v72, v73
	s_waitcnt lgkmcnt(1)
	v_max3_f32 v76, v76, v74, v75
	s_waitcnt lgkmcnt(0)
	s_delay_alu instid0(VALU_DEP_1) | instskip(NEXT) | instid1(VALU_DEP_1)
	v_max3_f32 v76, v76, v94, v95
	v_sub_f32_e32 v77, v71, v76
	ds_load_2addr_b32 v[96:97], v98 offset0:136 offset1:153
	v_sub_f32_e32 v74, v74, v76
	v_sub_f32_e32 v70, v70, v76
	;; [unrolled: 1-line block ×3, first 2 shown]
	v_dual_sub_f32 v72, v72, v76 :: v_dual_mul_f32 v77, 0x3fb8aa3b, v77
	s_delay_alu instid0(VALU_DEP_4) | instskip(NEXT) | instid1(VALU_DEP_4)
	v_mul_f32_e32 v103, 0x3fb8aa3b, v74
	v_mul_f32_e32 v99, 0x3fb8aa3b, v70
	ds_load_2addr_b32 v[70:71], v98 offset0:170 offset1:187
	v_dual_mul_f32 v101, 0x3fb8aa3b, v72 :: v_dual_mul_f32 v94, 0x3fb8aa3b, v94
	v_exp_f32_e32 v102, v77
	v_exp_f32_e32 v99, v99
	s_delay_alu instid0(VALU_DEP_1) | instskip(NEXT) | instid1(VALU_DEP_1)
	v_exp_f32_e32 v101, v101
	v_exp_f32_e32 v94, v94
	s_waitcnt lgkmcnt(1)
	s_delay_alu instid0(TRANS32_DEP_3)
	v_fma_f32 v77, v99, v96, 0
	v_sub_f32_e32 v100, v73, v76
	ds_load_2addr_b32 v[72:73], v98 offset0:204 offset1:221
	v_fmac_f32_e32 v77, v102, v97
	v_exp_f32_e32 v97, v103
	s_waitcnt lgkmcnt(1)
	s_delay_alu instid0(VALU_DEP_1)
	v_dual_fmac_f32 v77, v101, v70 :: v_dual_sub_f32 v96, v75, v76
	ds_load_2addr_b32 v[74:75], v98 offset0:238 offset1:255
	v_sub_f32_e32 v70, v95, v76
	s_waitcnt lgkmcnt(0)
	s_barrier
	v_mul_f32_e32 v96, 0x3fb8aa3b, v96
	buffer_gl0_inv
	v_exp_f32_e32 v95, v96
	v_mul_f32_e32 v100, 0x3fb8aa3b, v100
	s_delay_alu instid0(VALU_DEP_1) | instskip(SKIP_3) | instid1(VALU_DEP_2)
	v_exp_f32_e32 v100, v100
	s_waitcnt_depctr 0xfff
	v_dual_fmac_f32 v77, v100, v71 :: v_dual_mul_f32 v70, 0x3fb8aa3b, v70
	v_cndmask_b32_e32 v71, v99, v102, vcc_lo
	v_fmac_f32_e32 v77, v97, v72
	s_delay_alu instid0(VALU_DEP_3) | instskip(NEXT) | instid1(VALU_DEP_1)
	v_exp_f32_e32 v96, v70
	v_fmac_f32_e32 v77, v95, v73
	s_delay_alu instid0(VALU_DEP_1) | instskip(SKIP_2) | instid1(VALU_DEP_1)
	v_fmac_f32_e32 v77, v94, v74
	s_waitcnt_depctr 0xfff
	v_fmac_f32_e32 v77, v96, v75
	v_add_f32_e32 v74, 0x358637bd, v77
	s_delay_alu instid0(VALU_DEP_1) | instskip(SKIP_1) | instid1(VALU_DEP_2)
	v_div_scale_f32 v98, null, v74, v74, 1.0
	v_div_scale_f32 v99, vcc_lo, 1.0, v74, 1.0
	v_rcp_f32_e32 v103, v98
	s_waitcnt_depctr 0xfff
	v_fma_f32 v70, -v98, v103, 1.0
	s_delay_alu instid0(VALU_DEP_1) | instskip(SKIP_2) | instid1(VALU_DEP_2)
	v_fmac_f32_e32 v103, v70, v103
	v_cndmask_b32_e64 v70, v71, v101, s3
	v_cmp_eq_u32_e64 s3, 6, v69
	v_cndmask_b32_e64 v71, v70, v100, s4
	s_delay_alu instid0(VALU_DEP_4) | instskip(NEXT) | instid1(VALU_DEP_2)
	v_dual_mul_f32 v101, v99, v103 :: v_dual_lshlrev_b32 v70, 2, v66
	v_cndmask_b32_e64 v71, v71, v97, s5
	s_delay_alu instid0(VALU_DEP_2) | instskip(NEXT) | instid1(VALU_DEP_3)
	v_or_b32_e32 v72, 1, v70
	v_fma_f32 v100, -v98, v101, v99
	v_cmp_eq_u32_e64 s4, 1, v70
	v_cmp_eq_u32_e64 s5, 2, v70
	v_cndmask_b32_e64 v95, v71, v95, s6
	v_or_b32_e32 v71, 3, v70
	v_fmac_f32_e32 v101, v100, v103
	v_cmp_eq_u32_e64 s9, 1, v72
	v_cmp_eq_u32_e64 s12, 2, v72
	v_cndmask_b32_e64 v94, v95, v94, s3
	v_cmp_eq_u32_e64 s11, 1, v71
	v_fma_f32 v97, -v98, v101, v99
	v_cmp_eq_u32_e64 s16, 2, v71
	v_cmp_eq_u32_e64 s13, 3, v72
	v_cndmask_b32_e64 v94, v94, v96, s7
	v_cmp_eq_u32_e64 s18, 3, v71
	v_div_fmas_f32 v95, v97, v103, v101
	v_cmp_eq_u32_e32 vcc_lo, 3, v70
	v_cmp_eq_u32_e64 s3, 4, v70
	v_cmp_eq_u32_e64 s19, 4, v72
	v_cmp_eq_u32_e64 s22, 4, v71
	v_div_fixup_f32 v95, v95, v74, 1.0
	v_lshlrev_b32_e32 v73, 6, v68
	v_cmp_eq_u32_e64 s6, 5, v70
	v_cmp_eq_u32_e64 s20, 5, v72
	;; [unrolled: 1-line block ×3, first 2 shown]
	v_mul_f32_e32 v102, v94, v95
	v_lshl_or_b32 v75, v69, 11, v73
	v_or_b32_e32 v69, 2, v70
	v_cmp_eq_u32_e64 s25, 6, v72
	v_cmp_eq_u32_e64 s27, 6, v71
	v_fma_mixlo_f16 v94, v102, v79, 0
	v_fma_mixlo_f16 v95, v102, v81, 0
	;; [unrolled: 1-line block ×8, first 2 shown]
	v_lshl_or_b32 v74, v66, 4, v75
	v_fma_mixhi_f16 v94, v102, v78, 0
	v_fma_mixhi_f16 v95, v102, v80, 0
	;; [unrolled: 1-line block ×8, first 2 shown]
	ds_store_b128 v74, v[94:97]
	ds_store_b128 v74, v[98:101] offset:1024
	s_waitcnt lgkmcnt(0)
	s_barrier
	buffer_gl0_inv
	ds_load_b128 v[78:81], v75
	ds_load_b128 v[82:85], v75 offset:16
	ds_load_b128 v[86:89], v75 offset:1024
	;; [unrolled: 1-line block ×3, first 2 shown]
	v_cmp_eq_u32_e64 s10, 1, v69
	v_cmp_eq_u32_e64 s15, 2, v69
	;; [unrolled: 1-line block ×11, first 2 shown]
	s_waitcnt lgkmcnt(3)
	v_lshrrev_b32_e32 v94, 16, v78
	s_waitcnt lgkmcnt(2)
	v_lshrrev_b32_e32 v98, 16, v82
	;; [unrolled: 2-line block ×4, first 2 shown]
	v_lshrrev_b32_e32 v95, 16, v79
	v_cndmask_b32_e64 v110, v78, v94, s4
	v_cndmask_b32_e64 v111, v82, v98, s4
	;; [unrolled: 1-line block ×8, first 2 shown]
	v_lshrrev_b32_e32 v99, 16, v83
	v_cndmask_b32_e64 v94, v86, v102, s4
	v_cndmask_b32_e64 v98, v90, v106, s4
	;; [unrolled: 1-line block ×15, first 2 shown]
	v_lshrrev_b32_e32 v103, 16, v87
	v_lshrrev_b32_e32 v107, 16, v91
	v_cndmask_b32_e64 v113, v115, v83, s15
	v_cndmask_b32_e64 v82, v94, v87, s5
	;; [unrolled: 1-line block ×7, first 2 shown]
	v_cndmask_b32_e32 v90, v102, v95, vcc_lo
	v_cndmask_b32_e32 v102, v106, v99, vcc_lo
	v_cndmask_b32_e64 v106, v110, v95, s13
	v_cndmask_b32_e64 v110, v111, v99, s13
	;; [unrolled: 1-line block ×4, first 2 shown]
	v_lshrrev_b32_e32 v96, 16, v80
	v_lshrrev_b32_e32 v100, 16, v84
	v_cndmask_b32_e64 v111, v112, v95, s17
	v_cndmask_b32_e64 v112, v113, v99, s17
	v_cndmask_b32_e32 v82, v82, v103, vcc_lo
	v_cndmask_b32_e32 v83, v83, v107, vcc_lo
	v_cndmask_b32_e64 v94, v94, v103, s13
	v_cndmask_b32_e64 v90, v90, v80, s3
	v_cndmask_b32_e64 v95, v102, v84, s3
	v_cndmask_b32_e64 v99, v106, v80, s19
	v_cndmask_b32_e64 v102, v110, v84, s19
	v_cndmask_b32_e64 v78, v78, v80, s22
	v_cndmask_b32_e64 v79, v79, v84, s22
	v_lshrrev_b32_e32 v104, 16, v88
	v_cndmask_b32_e64 v106, v111, v80, s21
	v_cndmask_b32_e64 v110, v112, v84, s21
	;; [unrolled: 1-line block ×11, first 2 shown]
	v_lshrrev_b32_e32 v97, 16, v81
	v_lshrrev_b32_e32 v101, 16, v85
	v_cndmask_b32_e64 v99, v106, v96, s23
	v_cndmask_b32_e64 v102, v110, v100, s23
	;; [unrolled: 1-line block ×7, first 2 shown]
	v_lshrrev_b32_e32 v105, 16, v89
	v_cndmask_b32_e64 v80, v80, v104, s6
	v_cndmask_b32_e64 v84, v84, v81, s7
	;; [unrolled: 1-line block ×16, first 2 shown]
	v_perm_b32 v81, v79, v78, 0x5040100
	v_perm_b32 v79, v95, v85, 0x5040100
	v_cndmask_b32_e64 v78, v119, v91, s15
	v_cndmask_b32_e64 v85, v117, v91, s12
	;; [unrolled: 1-line block ×3, first 2 shown]
	v_perm_b32 v80, v94, v90, 0x5040100
	v_cndmask_b32_e64 v90, v98, v103, s17
	v_cndmask_b32_e64 v86, v86, v103, s18
	;; [unrolled: 1-line block ×5, first 2 shown]
	v_lshrrev_b32_e32 v108, 16, v92
	v_cndmask_b32_e64 v90, v90, v88, s21
	v_cndmask_b32_e64 v86, v86, v88, s22
	v_cndmask_b32_e64 v87, v87, v92, s22
	v_cndmask_b32_e64 v78, v78, v92, s21
	v_cndmask_b32_e64 v85, v85, v92, s19
	v_cndmask_b32_e64 v82, v82, v108, s6
	v_cndmask_b32_e64 v88, v90, v104, s23
	v_cndmask_b32_e64 v86, v86, v104, s24
	v_cndmask_b32_e64 v87, v87, v108, s24
	v_cndmask_b32_e64 v78, v78, v108, s23
	v_cndmask_b32_e64 v85, v85, v108, s20
	v_lshrrev_b32_e32 v109, 16, v93
	v_cndmask_b32_e64 v82, v82, v93, s7
	v_cndmask_b32_e64 v88, v88, v89, s26
	;; [unrolled: 1-line block ×12, first 2 shown]
	v_perm_b32 v78, v84, v83, 0x5040100
	v_perm_b32 v85, v87, v86, 0x5040100
	;; [unrolled: 1-line block ×5, first 2 shown]
	s_mul_i32 s8, s33, 5
	s_mov_b32 s3, exec_lo
	ds_store_b128 v74, v[78:81]
	ds_store_b128 v74, v[82:85] offset:1024
	v_cmpx_gt_u32_e32 5, v0
	s_cbranch_execz .LBB1314_14
; %bb.13:
	s_mul_i32 s4, s8, s34
	s_delay_alu instid0(SALU_CYCLE_1) | instskip(SKIP_1) | instid1(VALU_DEP_1)
	v_add3_u32 v68, s4, s31, v68
	s_load_b128 s[4:7], s[0:1], 0x58
	v_mad_u64_u32 v[78:79], null, v68, s35, s[14:15]
	s_delay_alu instid0(VALU_DEP_1) | instskip(NEXT) | instid1(VALU_DEP_1)
	v_ashrrev_i32_e32 v79, 31, v78
	v_lshlrev_b64 v[78:79], 2, v[78:79]
	s_waitcnt lgkmcnt(0)
	s_delay_alu instid0(VALU_DEP_1) | instskip(NEXT) | instid1(VALU_DEP_2)
	v_add_co_u32 v80, vcc_lo, s6, v78
	v_add_co_ci_u32_e32 v81, vcc_lo, s7, v79, vcc_lo
	v_add_co_u32 v78, vcc_lo, s4, v78
	v_add_co_ci_u32_e32 v79, vcc_lo, s5, v79, vcc_lo
	global_store_b32 v[80:81], v76, off
	global_store_b32 v[78:79], v77, off
.LBB1314_14:
	s_or_b32 exec_lo, exec_lo, s3
	s_waitcnt lgkmcnt(0)
	s_waitcnt_vscnt null, 0x0
	s_barrier
	buffer_gl0_inv
	ds_load_b128 v[84:87], v73
	ds_load_b128 v[88:91], v73 offset:16
	ds_load_b128 v[96:99], v73 offset:2064
	;; [unrolled: 1-line block ×5, first 2 shown]
	v_cmp_eq_u32_e32 vcc_lo, 1, v70
	v_mov_b32_e32 v76, 0
	ds_load_b128 v[112:115], v73 offset:6160
	ds_load_b128 v[108:111], v73 offset:6144
	;; [unrolled: 1-line block ×4, first 2 shown]
	v_cmp_eq_u32_e64 s4, 1, v69
	v_cmp_eq_u32_e64 s3, 1, v72
	;; [unrolled: 1-line block ×3, first 2 shown]
	v_mov_b32_e32 v77, v76
	v_mov_b32_e32 v78, v76
	;; [unrolled: 1-line block ×7, first 2 shown]
	v_cmp_eq_u32_e64 s6, 3, v72
	v_cmp_eq_u32_e64 s7, 7, v72
	s_waitcnt lgkmcnt(8)
	s_delay_alu instid0(VALU_DEP_3)
	v_wmma_f32_16x16x16_f16 v[76:83], v[49:56], v[84:91], v[76:83]
	ds_load_b128 v[53:56], v73 offset:10256
	ds_load_b128 v[49:52], v73 offset:10240
	s_waitcnt lgkmcnt(8)
	v_wmma_f32_16x16x16_f16 v[76:83], v[41:48], v[92:99], v[76:83]
	ds_load_b128 v[45:48], v73 offset:12304
	ds_load_b128 v[41:44], v73 offset:12288
	s_waitcnt lgkmcnt(8)
	;; [unrolled: 4-line block ×3, first 2 shown]
	s_barrier
	buffer_gl0_inv
	v_wmma_f32_16x16x16_f16 v[76:83], v[1:8], v[108:115], v[76:83]
	s_delay_alu instid0(VALU_DEP_1) | instskip(NEXT) | instid1(VALU_DEP_1)
	v_wmma_f32_16x16x16_f16 v[76:83], v[9:16], v[116:123], v[76:83]
	v_wmma_f32_16x16x16_f16 v[76:83], v[17:24], v[49:56], v[76:83]
	s_delay_alu instid0(VALU_DEP_1) | instskip(NEXT) | instid1(VALU_DEP_1)
	v_wmma_f32_16x16x16_f16 v[76:83], v[25:32], v[41:48], v[76:83]
	v_wmma_f32_16x16x16_f16 v[76:83], v[57:64], v[33:40], v[76:83]
	s_delay_alu instid0(VALU_DEP_1) | instskip(NEXT) | instid1(VALU_DEP_2)
	v_cvt_f16_f32_e32 v1, v76
	v_cvt_f16_f32_e32 v2, v77
	s_delay_alu instid0(VALU_DEP_3) | instskip(NEXT) | instid1(VALU_DEP_4)
	v_cvt_f16_f32_e32 v3, v78
	v_cvt_f16_f32_e32 v4, v79
	;; [unrolled: 1-line block ×6, first 2 shown]
	v_pack_b32_f16 v1, v1, v2
	v_pack_b32_f16 v2, v3, v4
	;; [unrolled: 1-line block ×3, first 2 shown]
	s_delay_alu instid0(VALU_DEP_4)
	v_pack_b32_f16 v4, v7, v8
	ds_store_b128 v74, v[1:4]
	s_waitcnt lgkmcnt(0)
	s_barrier
	buffer_gl0_inv
	ds_load_b128 v[1:4], v75
	ds_load_b128 v[5:8], v75 offset:16
	s_waitcnt lgkmcnt(1)
	v_lshrrev_b32_e32 v9, 16, v1
	s_waitcnt lgkmcnt(0)
	v_lshrrev_b32_e32 v13, 16, v5
	v_lshrrev_b32_e32 v10, 16, v2
	;; [unrolled: 1-line block ×4, first 2 shown]
	v_cndmask_b32_e32 v17, v1, v9, vcc_lo
	v_cndmask_b32_e32 v18, v5, v13, vcc_lo
	v_cndmask_b32_e64 v21, v1, v9, s4
	v_cmp_eq_u32_e32 vcc_lo, 1, v71
	v_cndmask_b32_e64 v22, v5, v13, s4
	v_cmp_eq_u32_e64 s4, 2, v70
	v_cndmask_b32_e64 v19, v1, v9, s3
	v_cndmask_b32_e64 v20, v5, v13, s3
	v_cndmask_b32_e32 v1, v1, v9, vcc_lo
	v_cmp_eq_u32_e64 s3, 2, v71
	v_cndmask_b32_e32 v5, v5, v13, vcc_lo
	v_cndmask_b32_e64 v9, v17, v2, s4
	v_cmp_eq_u32_e32 vcc_lo, 3, v70
	v_cndmask_b32_e64 v13, v18, v6, s4
	v_cmp_eq_u32_e64 s4, 2, v69
	v_cndmask_b32_e64 v17, v19, v2, s5
	v_cndmask_b32_e64 v18, v20, v6, s5
	v_cmp_eq_u32_e64 s5, 3, v69
	v_cndmask_b32_e64 v1, v1, v2, s3
	v_cndmask_b32_e64 v19, v21, v2, s4
	v_cndmask_b32_e64 v20, v22, v6, s4
	v_cndmask_b32_e64 v2, v5, v6, s3
	v_cndmask_b32_e32 v5, v9, v10, vcc_lo
	v_cndmask_b32_e32 v6, v13, v14, vcc_lo
	v_cmp_eq_u32_e32 vcc_lo, 3, v71
	v_cndmask_b32_e64 v9, v17, v10, s6
	v_cndmask_b32_e64 v13, v18, v14, s6
	;; [unrolled: 1-line block ×3, first 2 shown]
	v_cmp_eq_u32_e64 s4, 4, v70
	v_cndmask_b32_e32 v1, v1, v10, vcc_lo
	v_cndmask_b32_e32 v2, v2, v14, vcc_lo
	v_cmp_eq_u32_e32 vcc_lo, 4, v72
	v_lshrrev_b32_e32 v15, 16, v7
	v_lshrrev_b32_e32 v16, 16, v8
	v_cndmask_b32_e64 v17, v19, v10, s5
	v_cmp_eq_u32_e64 s3, 4, v71
	v_cndmask_b32_e64 v5, v5, v3, s4
	v_cndmask_b32_e64 v6, v6, v7, s4
	v_cndmask_b32_e32 v9, v9, v3, vcc_lo
	v_cmp_eq_u32_e64 s4, 5, v72
	v_cndmask_b32_e32 v10, v13, v7, vcc_lo
	v_cmp_eq_u32_e32 vcc_lo, 4, v69
	v_cmp_eq_u32_e64 s5, 5, v70
	v_cndmask_b32_e64 v2, v2, v7, s3
	v_cndmask_b32_e64 v9, v9, v11, s4
	;; [unrolled: 1-line block ×3, first 2 shown]
	v_cndmask_b32_e32 v13, v17, v3, vcc_lo
	v_cmp_eq_u32_e64 s4, 5, v69
	v_cndmask_b32_e32 v14, v18, v7, vcc_lo
	v_cndmask_b32_e64 v1, v1, v3, s3
	v_cmp_eq_u32_e32 vcc_lo, 5, v71
	v_lshrrev_b32_e32 v12, 16, v4
	v_cndmask_b32_e64 v13, v13, v11, s4
	v_cndmask_b32_e64 v3, v14, v15, s4
	v_cmp_eq_u32_e64 s4, 6, v71
	v_cndmask_b32_e32 v1, v1, v11, vcc_lo
	v_cndmask_b32_e64 v5, v5, v11, s5
	v_cmp_eq_u32_e64 s6, 6, v70
	v_cndmask_b32_e64 v6, v6, v15, s5
	v_cmp_eq_u32_e64 s5, 6, v72
	v_cmp_eq_u32_e64 s3, 6, v69
	v_cndmask_b32_e64 v1, v1, v4, s4
	v_cndmask_b32_e32 v2, v2, v15, vcc_lo
	v_cmp_eq_u32_e32 vcc_lo, 7, v71
	v_cndmask_b32_e64 v5, v5, v4, s6
	v_cndmask_b32_e64 v9, v9, v4, s5
	;; [unrolled: 1-line block ×3, first 2 shown]
	v_cmp_eq_u32_e64 s6, 7, v70
	v_cndmask_b32_e32 v1, v1, v12, vcc_lo
	v_cndmask_b32_e64 v7, v13, v4, s3
	v_cndmask_b32_e64 v3, v3, v8, s3
	v_cndmask_b32_e64 v2, v2, v8, s4
	v_cmp_eq_u32_e64 s3, 7, v69
	v_cndmask_b32_e64 v4, v10, v8, s5
	v_cndmask_b32_e64 v5, v5, v12, s6
	;; [unrolled: 1-line block ×3, first 2 shown]
	v_cndmask_b32_e32 v2, v2, v16, vcc_lo
	v_cndmask_b32_e64 v7, v7, v12, s3
	v_cndmask_b32_e64 v3, v3, v16, s3
	;; [unrolled: 1-line block ×4, first 2 shown]
	v_perm_b32 v4, v2, v1, 0x5040100
	s_mov_b32 s3, exec_lo
	v_perm_b32 v3, v3, v7, 0x5040100
	v_perm_b32 v2, v8, v9, 0x5040100
	;; [unrolled: 1-line block ×3, first 2 shown]
	ds_store_b128 v74, v[1:4]
	s_waitcnt lgkmcnt(0)
	s_barrier
	buffer_gl0_inv
	v_cmpx_gt_u32_e32 32, v0
	s_cbranch_execz .LBB1314_2
; %bb.15:
	s_load_b64 s[4:5], s[0:1], 0x68
	v_lshlrev_b32_e32 v0, 10, v0
	v_add_nc_u32_e32 v2, s31, v66
	v_lshlrev_b32_e32 v3, 4, v67
	s_lshl_b32 s0, s35, 7
	s_delay_alu instid0(SALU_CYCLE_1) | instskip(NEXT) | instid1(VALU_DEP_2)
	s_mul_i32 s1, s0, s34
	v_mul_lo_u32 v1, v2, s0
	s_delay_alu instid0(VALU_DEP_2) | instskip(SKIP_2) | instid1(SALU_CYCLE_1)
	v_and_or_b32 v0, 0x3800, v0, v3
	v_add_nc_u32_e32 v2, 2, v2
	s_mul_i32 s6, s1, s8
	s_ashr_i32 s7, s6, 31
	s_delay_alu instid0(VALU_DEP_2)
	v_lshl_or_b32 v7, v66, 6, v0
	s_lshl_b64 s[6:7], s[6:7], 1
	v_mul_lo_u32 v11, v2, s0
	v_ashrrev_i32_e32 v2, 31, v1
	ds_load_b128 v[3:6], v7
	ds_load_b128 v[7:10], v7 offset:128
	s_waitcnt lgkmcnt(0)
	s_add_u32 s1, s4, s6
	s_addc_u32 s3, s5, s7
	s_lshl_b32 s4, s14, 7
	v_ashrrev_i32_e32 v12, 31, v11
	s_ashr_i32 s5, s4, 31
	v_lshlrev_b64 v[13:14], 1, v[1:2]
	s_lshl_b64 s[4:5], s[4:5], 1
	s_delay_alu instid0(SALU_CYCLE_1) | instskip(SKIP_2) | instid1(VALU_DEP_1)
	s_add_u32 s1, s1, s4
	s_addc_u32 s3, s3, s5
	v_add_co_u32 v1, s1, s1, v65
	v_add_co_ci_u32_e64 v2, null, s3, 0, s1
	v_lshlrev_b64 v[11:12], 1, v[11:12]
	s_delay_alu instid0(VALU_DEP_3) | instskip(NEXT) | instid1(VALU_DEP_3)
	v_add_co_u32 v13, vcc_lo, v1, v13
	v_add_co_ci_u32_e32 v14, vcc_lo, v2, v14, vcc_lo
	s_delay_alu instid0(VALU_DEP_3) | instskip(NEXT) | instid1(VALU_DEP_4)
	v_add_co_u32 v11, vcc_lo, v1, v11
	v_add_co_ci_u32_e32 v12, vcc_lo, v2, v12, vcc_lo
	s_clause 0x1
	global_store_b128 v[13:14], v[3:6], off
	global_store_b128 v[11:12], v[7:10], off
	s_and_b32 exec_lo, exec_lo, s2
	s_cbranch_execz .LBB1314_2
; %bb.16:
	ds_load_b128 v[3:6], v0 offset:256
	s_add_i32 s1, s31, 4
	s_delay_alu instid0(SALU_CYCLE_1) | instskip(NEXT) | instid1(SALU_CYCLE_1)
	s_mul_i32 s0, s1, s0
	s_ashr_i32 s1, s0, 31
	s_delay_alu instid0(SALU_CYCLE_1) | instskip(NEXT) | instid1(SALU_CYCLE_1)
	s_lshl_b64 s[0:1], s[0:1], 1
	v_add_co_u32 v0, vcc_lo, v1, s0
	v_add_co_ci_u32_e32 v1, vcc_lo, s1, v2, vcc_lo
	s_waitcnt lgkmcnt(0)
	global_store_b128 v[0:1], v[3:6], off
	s_nop 0
	s_sendmsg sendmsg(MSG_DEALLOC_VGPRS)
	s_endpgm
	.section	.rodata,"a",@progbits
	.p2align	6, 0x0
	.amdhsa_kernel _Z39paged_attention_ll4mi_QKV_mfma16_kernelIDF16_hLN4vllm18Fp8KVCacheDataTypeE1EDF16_Li32ELi128ELi256ELb1ELi5EL8MFMAType0EEvPKT_PKT0_S8_ifPKiSA_SA_iPKfiiiPfSD_PS3_PT2_iSC_SC_
		.amdhsa_group_segment_fixed_size 17472
		.amdhsa_private_segment_fixed_size 0
		.amdhsa_kernarg_size 400
		.amdhsa_user_sgpr_count 13
		.amdhsa_user_sgpr_dispatch_ptr 0
		.amdhsa_user_sgpr_queue_ptr 0
		.amdhsa_user_sgpr_kernarg_segment_ptr 1
		.amdhsa_user_sgpr_dispatch_id 0
		.amdhsa_user_sgpr_private_segment_size 0
		.amdhsa_wavefront_size32 1
		.amdhsa_uses_dynamic_stack 0
		.amdhsa_enable_private_segment 0
		.amdhsa_system_sgpr_workgroup_id_x 1
		.amdhsa_system_sgpr_workgroup_id_y 1
		.amdhsa_system_sgpr_workgroup_id_z 1
		.amdhsa_system_sgpr_workgroup_info 0
		.amdhsa_system_vgpr_workitem_id 0
		.amdhsa_next_free_vgpr 150
		.amdhsa_next_free_sgpr 37
		.amdhsa_reserve_vcc 1
		.amdhsa_float_round_mode_32 0
		.amdhsa_float_round_mode_16_64 0
		.amdhsa_float_denorm_mode_32 3
		.amdhsa_float_denorm_mode_16_64 3
		.amdhsa_dx10_clamp 1
		.amdhsa_ieee_mode 1
		.amdhsa_fp16_overflow 0
		.amdhsa_workgroup_processor_mode 1
		.amdhsa_memory_ordered 1
		.amdhsa_forward_progress 0
		.amdhsa_shared_vgpr_count 0
		.amdhsa_exception_fp_ieee_invalid_op 0
		.amdhsa_exception_fp_denorm_src 0
		.amdhsa_exception_fp_ieee_div_zero 0
		.amdhsa_exception_fp_ieee_overflow 0
		.amdhsa_exception_fp_ieee_underflow 0
		.amdhsa_exception_fp_ieee_inexact 0
		.amdhsa_exception_int_div_zero 0
	.end_amdhsa_kernel
	.section	.text._Z39paged_attention_ll4mi_QKV_mfma16_kernelIDF16_hLN4vllm18Fp8KVCacheDataTypeE1EDF16_Li32ELi128ELi256ELb1ELi5EL8MFMAType0EEvPKT_PKT0_S8_ifPKiSA_SA_iPKfiiiPfSD_PS3_PT2_iSC_SC_,"axG",@progbits,_Z39paged_attention_ll4mi_QKV_mfma16_kernelIDF16_hLN4vllm18Fp8KVCacheDataTypeE1EDF16_Li32ELi128ELi256ELb1ELi5EL8MFMAType0EEvPKT_PKT0_S8_ifPKiSA_SA_iPKfiiiPfSD_PS3_PT2_iSC_SC_,comdat
.Lfunc_end1314:
	.size	_Z39paged_attention_ll4mi_QKV_mfma16_kernelIDF16_hLN4vllm18Fp8KVCacheDataTypeE1EDF16_Li32ELi128ELi256ELb1ELi5EL8MFMAType0EEvPKT_PKT0_S8_ifPKiSA_SA_iPKfiiiPfSD_PS3_PT2_iSC_SC_, .Lfunc_end1314-_Z39paged_attention_ll4mi_QKV_mfma16_kernelIDF16_hLN4vllm18Fp8KVCacheDataTypeE1EDF16_Li32ELi128ELi256ELb1ELi5EL8MFMAType0EEvPKT_PKT0_S8_ifPKiSA_SA_iPKfiiiPfSD_PS3_PT2_iSC_SC_
                                        ; -- End function
	.section	.AMDGPU.csdata,"",@progbits
; Kernel info:
; codeLenInByte = 6660
; NumSgprs: 39
; NumVgprs: 150
; ScratchSize: 0
; MemoryBound: 0
; FloatMode: 240
; IeeeMode: 1
; LDSByteSize: 17472 bytes/workgroup (compile time only)
; SGPRBlocks: 4
; VGPRBlocks: 18
; NumSGPRsForWavesPerEU: 39
; NumVGPRsForWavesPerEU: 150
; Occupancy: 9
; WaveLimiterHint : 1
; COMPUTE_PGM_RSRC2:SCRATCH_EN: 0
; COMPUTE_PGM_RSRC2:USER_SGPR: 13
; COMPUTE_PGM_RSRC2:TRAP_HANDLER: 0
; COMPUTE_PGM_RSRC2:TGID_X_EN: 1
; COMPUTE_PGM_RSRC2:TGID_Y_EN: 1
; COMPUTE_PGM_RSRC2:TGID_Z_EN: 1
; COMPUTE_PGM_RSRC2:TIDIG_COMP_CNT: 0
	.section	.text._Z39paged_attention_ll4mi_QKV_mfma16_kernelIDF16_hLN4vllm18Fp8KVCacheDataTypeE1EDF16_Li32ELi128ELi256ELb1ELi6EL8MFMAType0EEvPKT_PKT0_S8_ifPKiSA_SA_iPKfiiiPfSD_PS3_PT2_iSC_SC_,"axG",@progbits,_Z39paged_attention_ll4mi_QKV_mfma16_kernelIDF16_hLN4vllm18Fp8KVCacheDataTypeE1EDF16_Li32ELi128ELi256ELb1ELi6EL8MFMAType0EEvPKT_PKT0_S8_ifPKiSA_SA_iPKfiiiPfSD_PS3_PT2_iSC_SC_,comdat
	.protected	_Z39paged_attention_ll4mi_QKV_mfma16_kernelIDF16_hLN4vllm18Fp8KVCacheDataTypeE1EDF16_Li32ELi128ELi256ELb1ELi6EL8MFMAType0EEvPKT_PKT0_S8_ifPKiSA_SA_iPKfiiiPfSD_PS3_PT2_iSC_SC_ ; -- Begin function _Z39paged_attention_ll4mi_QKV_mfma16_kernelIDF16_hLN4vllm18Fp8KVCacheDataTypeE1EDF16_Li32ELi128ELi256ELb1ELi6EL8MFMAType0EEvPKT_PKT0_S8_ifPKiSA_SA_iPKfiiiPfSD_PS3_PT2_iSC_SC_
	.globl	_Z39paged_attention_ll4mi_QKV_mfma16_kernelIDF16_hLN4vllm18Fp8KVCacheDataTypeE1EDF16_Li32ELi128ELi256ELb1ELi6EL8MFMAType0EEvPKT_PKT0_S8_ifPKiSA_SA_iPKfiiiPfSD_PS3_PT2_iSC_SC_
	.p2align	8
	.type	_Z39paged_attention_ll4mi_QKV_mfma16_kernelIDF16_hLN4vllm18Fp8KVCacheDataTypeE1EDF16_Li32ELi128ELi256ELb1ELi6EL8MFMAType0EEvPKT_PKT0_S8_ifPKiSA_SA_iPKfiiiPfSD_PS3_PT2_iSC_SC_,@function
_Z39paged_attention_ll4mi_QKV_mfma16_kernelIDF16_hLN4vllm18Fp8KVCacheDataTypeE1EDF16_Li32ELi128ELi256ELb1ELi6EL8MFMAType0EEvPKT_PKT0_S8_ifPKiSA_SA_iPKfiiiPfSD_PS3_PT2_iSC_SC_: ; @_Z39paged_attention_ll4mi_QKV_mfma16_kernelIDF16_hLN4vllm18Fp8KVCacheDataTypeE1EDF16_Li32ELi128ELi256ELb1ELi6EL8MFMAType0EEvPKT_PKT0_S8_ifPKiSA_SA_iPKfiiiPfSD_PS3_PT2_iSC_SC_
; %bb.0:
	s_load_b64 s[4:5], s[0:1], 0x30
	s_mov_b32 s30, s13
	s_waitcnt lgkmcnt(0)
	s_cmp_lg_u64 s[4:5], 0
	s_cselect_b32 s8, -1, 0
	s_ashr_i32 s31, s13, 31
	s_cmp_eq_u64 s[4:5], 0
	s_cbranch_scc1 .LBB1315_3
; %bb.1:
	s_lshl_b64 s[2:3], s[30:31], 2
	s_delay_alu instid0(SALU_CYCLE_1) | instskip(SKIP_4) | instid1(SALU_CYCLE_1)
	s_add_u32 s2, s4, s2
	s_addc_u32 s3, s5, s3
	s_load_b64 s[2:3], s[2:3], 0x0
	s_waitcnt lgkmcnt(0)
	s_sub_i32 s2, s3, s2
	s_cmp_eq_u32 s2, 1
	s_cselect_b32 s2, -1, 0
	s_delay_alu instid0(SALU_CYCLE_1)
	s_and_not1_b32 vcc_lo, exec_lo, s2
	s_cbranch_vccz .LBB1315_4
.LBB1315_2:
	s_endpgm
.LBB1315_3:
.LBB1315_4:
	s_load_b64 s[2:3], s[0:1], 0x28
	s_lshl_b64 s[6:7], s[30:31], 2
	s_waitcnt lgkmcnt(0)
	s_add_u32 s2, s2, s6
	s_addc_u32 s3, s3, s7
	s_lshl_b32 s12, s14, 8
	s_load_b32 s24, s[2:3], 0x0
	s_waitcnt lgkmcnt(0)
	s_cmp_ge_i32 s12, s24
	s_cbranch_scc1 .LBB1315_2
; %bb.5:
	s_clause 0x1
	s_load_b128 s[20:23], s[0:1], 0x8
	s_load_b64 s[2:3], s[0:1], 0x20
	s_and_not1_b32 vcc_lo, exec_lo, s8
	s_cbranch_vccnz .LBB1315_7
; %bb.6:
	s_add_u32 s4, s4, s6
	s_addc_u32 s5, s5, s7
	s_load_b32 s5, s[4:5], 0x0
	s_branch .LBB1315_8
.LBB1315_7:
	s_mov_b32 s5, s30
.LBB1315_8:
	s_load_b128 s[16:19], s[0:1], 0x48
	v_and_b32_e32 v68, 15, v0
	v_lshrrev_b32_e32 v69, 5, v0
	v_and_b32_e32 v70, 31, v0
	v_and_b32_e32 v67, 1, v0
	v_bfe_u32 v66, v0, 4, 1
	v_lshlrev_b32_e32 v1, 3, v68
	s_mul_i32 s31, s15, 6
	s_mov_b32 s4, exec_lo
	s_delay_alu instid0(VALU_DEP_1)
	v_lshlrev_b32_e32 v65, 1, v1
	v_cmpx_gt_u32_e32 0x60, v0
	s_cbranch_execz .LBB1315_10
; %bb.9:
	s_load_b64 s[6:7], s[0:1], 0x0
	v_lshl_or_b32 v5, v69, 1, v66
	s_waitcnt lgkmcnt(0)
	s_mul_hi_i32 s9, s5, s16
	s_mul_i32 s8, s5, s16
	v_lshlrev_b32_e32 v6, 10, v68
	s_lshl_b64 s[8:9], s[8:9], 1
	v_add_lshl_u32 v1, v5, s31, 7
	v_lshlrev_b32_e32 v5, 6, v5
	v_lshlrev_b32_e32 v7, 10, v67
	v_and_b32_e32 v6, 0x3800, v6
	s_delay_alu instid0(VALU_DEP_4) | instskip(NEXT) | instid1(VALU_DEP_2)
	v_ashrrev_i32_e32 v2, 31, v1
	v_or3_b32 v5, v6, v7, v5
	s_delay_alu instid0(VALU_DEP_2) | instskip(SKIP_2) | instid1(VALU_DEP_1)
	v_lshlrev_b64 v[1:2], 1, v[1:2]
	s_add_u32 s5, s6, s8
	s_addc_u32 s6, s7, s9
	v_add_co_u32 v1, vcc_lo, s5, v1
	s_delay_alu instid0(VALU_DEP_2) | instskip(NEXT) | instid1(VALU_DEP_2)
	v_add_co_ci_u32_e32 v2, vcc_lo, s6, v2, vcc_lo
	v_add_co_u32 v1, vcc_lo, v1, v65
	s_delay_alu instid0(VALU_DEP_2)
	v_add_co_ci_u32_e32 v2, vcc_lo, 0, v2, vcc_lo
	global_load_b128 v[1:4], v[1:2], off
	s_waitcnt vmcnt(0)
	ds_store_b128 v5, v[1:4]
.LBB1315_10:
	s_or_b32 exec_lo, exec_lo, s4
	v_and_b32_e32 v1, 0xef, v0
	s_waitcnt lgkmcnt(0)
	s_add_i32 s5, s24, 31
	s_clause 0x1
	s_load_b32 s4, s[0:1], 0x38
	s_load_b32 s33, s[0:1], 0x98
	s_ashr_i32 s6, s5, 31
	v_add_nc_u32_e32 v1, s12, v1
	s_lshr_b32 s6, s6, 27
	s_load_b32 s19, s[0:1], 0x1c
	s_add_i32 s5, s5, s6
	s_waitcnt lgkmcnt(0)
	v_ashrrev_i32_e32 v2, 31, v1
	v_or_b32_e32 v3, 16, v1
	s_ashr_i32 s13, s5, 5
	v_cmp_gt_i32_e32 vcc_lo, s24, v1
	s_add_i32 s13, s13, -1
	v_lshrrev_b32_e32 v2, 27, v2
	s_barrier
	buffer_gl0_inv
	s_mul_i32 s15, s15, s18
	v_add_nc_u32_e32 v4, v1, v2
	s_mul_i32 s4, s30, s4
	s_delay_alu instid0(SALU_CYCLE_1) | instskip(NEXT) | instid1(VALU_DEP_1)
	s_ashr_i32 s5, s4, 31
	v_ashrrev_i32_e32 v4, 5, v4
	v_add_nc_u32_e32 v2, v3, v2
	s_lshl_b64 s[4:5], s[4:5], 2
	s_delay_alu instid0(SALU_CYCLE_1) | instskip(NEXT) | instid1(VALU_DEP_2)
	s_add_u32 s16, s2, s4
	v_cndmask_b32_e32 v1, s13, v4, vcc_lo
	s_delay_alu instid0(VALU_DEP_2)
	v_ashrrev_i32_e32 v2, 5, v2
	v_cmp_gt_i32_e32 vcc_lo, s24, v3
	s_addc_u32 s25, s3, s5
	s_ashr_i32 s18, s15, 31
	s_add_u32 s2, s20, s15
	s_addc_u32 s3, s21, s18
	v_cndmask_b32_e32 v3, s13, v2, vcc_lo
	v_ashrrev_i32_e32 v2, 31, v1
	s_lshl_b32 s4, s14, 3
	s_delay_alu instid0(SALU_CYCLE_1) | instskip(NEXT) | instid1(VALU_DEP_2)
	s_ashr_i32 s5, s4, 31
	v_ashrrev_i32_e32 v4, 31, v3
	s_delay_alu instid0(VALU_DEP_2) | instskip(SKIP_1) | instid1(SALU_CYCLE_1)
	v_lshlrev_b64 v[1:2], 2, v[1:2]
	s_lshl_b64 s[4:5], s[4:5], 2
	s_add_u32 s4, s16, s4
	s_delay_alu instid0(VALU_DEP_2) | instskip(SKIP_1) | instid1(VALU_DEP_2)
	v_lshlrev_b64 v[3:4], 2, v[3:4]
	s_addc_u32 s5, s25, s5
	v_add_co_u32 v1, vcc_lo, s16, v1
	v_add_co_ci_u32_e32 v2, vcc_lo, s25, v2, vcc_lo
	s_delay_alu instid0(VALU_DEP_3) | instskip(NEXT) | instid1(VALU_DEP_4)
	v_add_co_u32 v3, vcc_lo, s16, v3
	v_add_co_ci_u32_e32 v4, vcc_lo, s25, v4, vcc_lo
	s_clause 0x1
	global_load_b32 v5, v[1:2], off
	global_load_b32 v6, v[3:4], off
	s_or_b32 s6, s12, 32
	s_delay_alu instid0(SALU_CYCLE_1) | instskip(SKIP_2) | instid1(SALU_CYCLE_1)
	s_ashr_i32 s7, s6, 5
	s_cmp_lt_i32 s6, s24
	s_cselect_b32 s6, s7, s13
	s_ashr_i32 s7, s6, 31
	s_delay_alu instid0(SALU_CYCLE_1) | instskip(NEXT) | instid1(SALU_CYCLE_1)
	s_lshl_b64 s[6:7], s[6:7], 2
	s_add_u32 s6, s16, s6
	s_addc_u32 s7, s25, s7
	s_or_b32 s8, s12, 64
	s_delay_alu instid0(SALU_CYCLE_1) | instskip(SKIP_2) | instid1(SALU_CYCLE_1)
	s_ashr_i32 s9, s8, 5
	s_cmp_lt_i32 s8, s24
	s_cselect_b32 s8, s9, s13
	s_ashr_i32 s9, s8, 31
	s_delay_alu instid0(SALU_CYCLE_1) | instskip(NEXT) | instid1(SALU_CYCLE_1)
	s_lshl_b64 s[8:9], s[8:9], 2
	s_add_u32 s8, s16, s8
	s_addc_u32 s9, s25, s9
	;; [unrolled: 10-line block ×5, first 2 shown]
	s_clause 0x5
	s_load_b32 s28, s[4:5], 0x0
	s_load_b32 s29, s[6:7], 0x0
	;; [unrolled: 1-line block ×6, first 2 shown]
	s_mov_b32 s4, 0
	s_delay_alu instid0(SALU_CYCLE_1)
	s_mov_b32 s5, s4
	s_mov_b32 s6, s4
	;; [unrolled: 1-line block ×7, first 2 shown]
	s_delay_alu instid0(SALU_CYCLE_1)
	v_dual_mov_b32 v118, s11 :: v_dual_mov_b32 v117, s10
	v_dual_mov_b32 v116, s9 :: v_dual_mov_b32 v115, s8
	v_mov_b32_e32 v113, s6
	v_dual_mov_b32 v111, s4 :: v_dual_mov_b32 v114, s7
	v_mov_b32_e32 v112, s5
	s_waitcnt vmcnt(1)
	v_mad_i64_i32 v[1:2], null, v5, s17, s[2:3]
	v_lshlrev_b32_e32 v5, 4, v68
	s_waitcnt vmcnt(0)
	v_mad_i64_i32 v[3:4], null, v6, s17, s[2:3]
	s_or_b32 s2, s12, 0xc0
	s_delay_alu instid0(SALU_CYCLE_1) | instskip(NEXT) | instid1(VALU_DEP_3)
	s_ashr_i32 s3, s2, 5
	v_add_co_u32 v1, vcc_lo, v1, v5
	s_delay_alu instid0(VALU_DEP_4) | instskip(NEXT) | instid1(VALU_DEP_3)
	v_add_co_ci_u32_e32 v2, vcc_lo, 0, v2, vcc_lo
	v_add_co_u32 v3, vcc_lo, v3, v5
	s_delay_alu instid0(VALU_DEP_4)
	v_add_co_ci_u32_e32 v4, vcc_lo, 0, v4, vcc_lo
	s_clause 0xf
	global_load_b128 v[17:20], v[1:2], off
	global_load_b128 v[21:24], v[1:2], off offset:512
	global_load_b128 v[25:28], v[3:4], off offset:256
	;; [unrolled: 1-line block ×15, first 2 shown]
	v_mul_lo_u16 v1, v68, 43
	s_cmp_lt_i32 s2, s24
	v_lshlrev_b32_e32 v2, 5, v68
	s_cselect_b32 s2, s3, s13
	s_delay_alu instid0(VALU_DEP_2) | instskip(SKIP_1) | instid1(SALU_CYCLE_1)
	v_lshrrev_b16 v1, 8, v1
	s_ashr_i32 s3, s2, 31
	s_lshl_b64 s[2:3], s[2:3], 2
	s_delay_alu instid0(VALU_DEP_1) | instskip(SKIP_3) | instid1(VALU_DEP_1)
	v_mul_lo_u16 v1, v1, 6
	s_add_u32 s2, s16, s2
	s_addc_u32 s3, s25, s3
	s_or_b32 s20, s12, 0xe0
	v_sub_nc_u16 v1, v68, v1
	s_ashr_i32 s21, s20, 5
	s_cmp_lt_i32 s20, s24
	s_cselect_b32 s20, s21, s13
	s_delay_alu instid0(VALU_DEP_1) | instskip(SKIP_1) | instid1(SALU_CYCLE_1)
	v_and_b32_e32 v1, 0xff, v1
	s_ashr_i32 s21, s20, 31
	s_lshl_b64 s[4:5], s[20:21], 2
	s_delay_alu instid0(VALU_DEP_1)
	v_lshlrev_b32_e32 v149, 6, v1
	s_add_u32 s4, s16, s4
	s_addc_u32 s5, s25, s5
	v_lshl_or_b32 v1, v69, 9, v2
	ds_load_b128 v[119:122], v149
	ds_load_b128 v[123:126], v149 offset:1024
	ds_load_b128 v[127:130], v149 offset:2048
	;; [unrolled: 1-line block ×3, first 2 shown]
	s_clause 0x1
	s_load_b32 s2, s[2:3], 0x0
	s_load_b32 s3, s[4:5], 0x0
	s_add_u32 s6, s22, s15
	s_addc_u32 s7, s23, s18
	v_add_co_u32 v135, s6, s6, v1
	s_delay_alu instid0(VALU_DEP_1) | instskip(SKIP_1) | instid1(VALU_DEP_1)
	v_add_co_ci_u32_e64 v136, null, s7, 0, s6
	s_waitcnt lgkmcnt(0)
	v_mad_i64_i32 v[1:2], null, s28, s17, v[135:136]
	v_mad_i64_i32 v[3:4], null, s29, s17, v[135:136]
	;; [unrolled: 1-line block ×6, first 2 shown]
	s_clause 0x9
	global_load_b128 v[49:52], v[1:2], off
	global_load_b128 v[53:56], v[1:2], off offset:16
	global_load_b128 v[41:44], v[3:4], off
	global_load_b128 v[45:48], v[3:4], off offset:16
	;; [unrolled: 2-line block ×5, first 2 shown]
	v_mad_i64_i32 v[145:146], null, s2, s17, v[135:136]
	v_mad_i64_i32 v[147:148], null, s3, s17, v[135:136]
	s_waitcnt vmcnt(24)
	v_wmma_f32_16x16x16_f16 v[135:142], v[17:24], v[119:126], v[111:118]
	s_waitcnt vmcnt(22)
	v_wmma_f32_16x16x16_f16 v[111:118], v[25:32], v[119:126], v[111:118]
	s_clause 0x3
	global_load_b128 v[17:20], v[143:144], off
	global_load_b128 v[21:24], v[143:144], off offset:16
	global_load_b128 v[25:28], v[145:146], off
	global_load_b128 v[29:32], v[145:146], off offset:16
	v_and_b32_e32 v119, 0xe0, v0
	s_waitcnt vmcnt(24)
	v_wmma_f32_16x16x16_f16 v[135:142], v[57:64], v[127:134], v[135:142]
	s_clause 0x1
	global_load_b128 v[57:60], v[147:148], off
	global_load_b128 v[61:64], v[147:148], off offset:16
	s_waitcnt vmcnt(24)
	v_wmma_f32_16x16x16_f16 v[111:118], v[71:78], v[127:134], v[111:118]
	ds_load_b128 v[71:74], v149 offset:4096
	ds_load_b128 v[75:78], v149 offset:5120
	v_add_nc_u32_e32 v128, s12, v119
	ds_load_b128 v[119:122], v149 offset:6144
	ds_load_b128 v[123:126], v149 offset:7168
	v_mbcnt_lo_u32_b32 v127, -1, 0
	s_waitcnt vmcnt(0) lgkmcnt(0)
	s_barrier
	v_or_b32_e32 v128, v128, v66
	buffer_gl0_inv
	v_xor_b32_e32 v129, 16, v127
	v_or_b32_e32 v130, 4, v128
	v_or_b32_e32 v131, 6, v128
	s_delay_alu instid0(VALU_DEP_3) | instskip(SKIP_4) | instid1(VALU_DEP_4)
	v_cmp_gt_i32_e32 vcc_lo, 32, v129
	v_or_b32_e32 v132, 8, v128
	v_or_b32_e32 v133, 10, v128
	v_cmp_gt_i32_e64 s3, s24, v130
	v_cmp_gt_i32_e64 s4, s24, v131
	;; [unrolled: 1-line block ×3, first 2 shown]
	v_wmma_f32_16x16x16_f16 v[135:142], v[79:86], v[71:78], v[135:142]
	v_wmma_f32_16x16x16_f16 v[111:118], v[87:94], v[71:78], v[111:118]
	v_or_b32_e32 v79, 12, v128
	v_or_b32_e32 v80, 14, v128
	v_cmp_gt_i32_e64 s6, s24, v133
	v_wmma_f32_16x16x16_f16 v[135:142], v[95:102], v[119:126], v[135:142]
	v_cndmask_b32_e32 v127, v127, v129, vcc_lo
	v_or_b32_e32 v129, 2, v128
	v_wmma_f32_16x16x16_f16 v[111:118], v[103:110], v[119:126], v[111:118]
	v_cmp_gt_i32_e32 vcc_lo, s24, v128
	v_dual_mul_f32 v88, s19, v135 :: v_dual_mul_f32 v87, s19, v136
	s_delay_alu instid0(VALU_DEP_4) | instskip(NEXT) | instid1(VALU_DEP_4)
	v_cmp_gt_i32_e64 s2, s24, v129
	v_mul_f32_e32 v94, s19, v113
	v_mul_f32_e32 v78, s19, v138
	;; [unrolled: 1-line block ×3, first 2 shown]
	v_cndmask_b32_e32 v88, 0xff7fffff, v88, vcc_lo
	v_cndmask_b32_e64 v87, 0xff7fffff, v87, s2
	v_dual_mul_f32 v76, s19, v140 :: v_dual_mul_f32 v77, s19, v139
	v_mul_f32_e32 v90, s19, v117
	v_cndmask_b32_e64 v86, 0xff7fffff, v86, s3
	v_cndmask_b32_e64 v78, 0xff7fffff, v78, s4
	v_max3_f32 v87, v88, 0xff7fffff, v87
	v_or_b32_e32 v81, 16, v128
	v_or_b32_e32 v82, 18, v128
	v_dual_mul_f32 v74, s19, v142 :: v_dual_mul_f32 v75, s19, v141
	v_mul_f32_e32 v92, s19, v115
	v_cndmask_b32_e64 v77, 0xff7fffff, v77, s5
	v_cndmask_b32_e64 v76, 0xff7fffff, v76, s6
	v_max3_f32 v78, v87, v86, v78
	v_cmp_gt_i32_e64 s7, s24, v79
	v_cmp_gt_i32_e64 s8, s24, v80
	v_or_b32_e32 v83, 20, v128
	v_or_b32_e32 v84, 22, v128
	v_dual_mul_f32 v89, s19, v118 :: v_dual_mul_f32 v96, s19, v111
	v_mul_f32_e32 v95, s19, v112
	v_cndmask_b32_e64 v75, 0xff7fffff, v75, s7
	v_cndmask_b32_e64 v74, 0xff7fffff, v74, s8
	v_max3_f32 v76, v78, v77, v76
	v_cmp_gt_i32_e64 s9, s24, v81
	v_cmp_gt_i32_e64 s10, s24, v82
	v_or_b32_e32 v85, 24, v128
	v_or_b32_e32 v71, 26, v128
	v_mul_f32_e32 v93, s19, v114
	v_cndmask_b32_e64 v77, 0xff7fffff, v96, s9
	v_cndmask_b32_e64 v78, 0xff7fffff, v95, s10
	v_max3_f32 v74, v76, v75, v74
	v_cmp_gt_i32_e64 s11, s24, v83
	v_cmp_gt_i32_e64 s12, s24, v84
	v_or_b32_e32 v72, 28, v128
	v_or_b32_e32 v73, 30, v128
	v_mul_f32_e32 v91, s19, v116
	v_cndmask_b32_e64 v75, 0xff7fffff, v94, s11
	v_cndmask_b32_e64 v76, 0xff7fffff, v93, s12
	v_max3_f32 v74, v74, v77, v78
	v_cmp_gt_i32_e64 s13, s24, v85
	v_cmp_gt_i32_e64 s15, s24, v71
	;; [unrolled: 1-line block ×4, first 2 shown]
	v_max3_f32 v74, v74, v75, v76
	v_cndmask_b32_e64 v77, 0xff7fffff, v92, s13
	v_cndmask_b32_e64 v71, 0xff7fffff, v91, s15
	v_cndmask_b32_e64 v72, 0xff7fffff, v90, s16
	v_cndmask_b32_e64 v73, 0xff7fffff, v89, s17
	s_delay_alu instid0(VALU_DEP_3) | instskip(SKIP_1) | instid1(VALU_DEP_2)
	v_max3_f32 v71, v74, v77, v71
	v_lshlrev_b32_e32 v74, 2, v127
	v_max3_f32 v71, v71, v72, v73
	ds_bpermute_b32 v72, v74, v71
	s_waitcnt lgkmcnt(0)
	v_max_f32_e32 v72, v72, v72
	s_delay_alu instid0(VALU_DEP_1) | instskip(NEXT) | instid1(VALU_DEP_1)
	v_max_f32_e32 v71, v71, v72
	v_fma_f32 v75, s19, v137, -v71
	v_fma_f32 v76, s19, v138, -v71
	;; [unrolled: 1-line block ×5, first 2 shown]
	s_delay_alu instid0(VALU_DEP_4) | instskip(NEXT) | instid1(VALU_DEP_4)
	v_dual_mul_f32 v75, 0x3fb8aa3b, v75 :: v_dual_mul_f32 v76, 0x3fb8aa3b, v76
	v_mul_f32_e32 v72, 0x3fb8aa3b, v72
	v_fma_f32 v77, s19, v139, -v71
	s_delay_alu instid0(VALU_DEP_4) | instskip(NEXT) | instid1(VALU_DEP_4)
	v_mul_f32_e32 v73, 0x3fb8aa3b, v73
	v_exp_f32_e32 v75, v75
	v_exp_f32_e32 v76, v76
	;; [unrolled: 1-line block ×3, first 2 shown]
	s_delay_alu instid0(VALU_DEP_1) | instskip(SKIP_2) | instid1(TRANS32_DEP_3)
	v_exp_f32_e32 v73, v73
	v_cndmask_b32_e64 v81, 0, v75, s3
	v_mul_f32_e32 v82, 0x3fb8aa3b, v80
	v_cndmask_b32_e64 v80, 0, v76, s4
	s_waitcnt_depctr 0xfff
	v_cndmask_b32_e64 v78, 0, v73, s2
	s_mov_b32 s2, exec_lo
	v_exp_f32_e32 v84, v82
	s_waitcnt_depctr 0xfff
	v_cndmask_b32_e64 v85, 0, v84, s7
	v_cndmask_b32_e32 v79, 0, v72, vcc_lo
	v_fma_f32 v72, s19, v140, -v71
	v_mul_f32_e32 v77, 0x3fb8aa3b, v77
	s_delay_alu instid0(VALU_DEP_2) | instskip(NEXT) | instid1(VALU_DEP_2)
	v_dual_add_f32 v73, 0, v79 :: v_dual_mul_f32 v72, 0x3fb8aa3b, v72
	v_exp_f32_e32 v77, v77
	s_delay_alu instid0(VALU_DEP_1) | instskip(NEXT) | instid1(VALU_DEP_2)
	v_add_f32_e32 v73, v73, v78
	v_exp_f32_e32 v72, v72
	s_delay_alu instid0(VALU_DEP_1) | instskip(SKIP_4) | instid1(VALU_DEP_2)
	v_add_f32_e32 v73, v73, v81
	s_waitcnt_depctr 0xfff
	v_cndmask_b32_e64 v83, 0, v77, s5
	v_add_f32_e32 v73, v73, v80
	v_cndmask_b32_e64 v82, 0, v72, s6
	v_add_f32_e32 v72, v73, v83
	s_delay_alu instid0(VALU_DEP_1)
	v_add_f32_e32 v72, v72, v82
	v_fma_f32 v75, s19, v142, -v71
	v_fma_f32 v76, s19, v111, -v71
	;; [unrolled: 1-line block ×5, first 2 shown]
	s_delay_alu instid0(VALU_DEP_4) | instskip(NEXT) | instid1(VALU_DEP_4)
	v_dual_mul_f32 v75, 0x3fb8aa3b, v75 :: v_dual_mul_f32 v76, 0x3fb8aa3b, v76
	v_mul_f32_e32 v86, 0x3fb8aa3b, v86
	v_add_f32_e32 v72, v72, v85
	s_delay_alu instid0(VALU_DEP_3) | instskip(NEXT) | instid1(VALU_DEP_3)
	v_exp_f32_e32 v75, v75
	v_exp_f32_e32 v76, v76
	s_delay_alu instid0(VALU_DEP_2) | instskip(NEXT) | instid1(TRANS32_DEP_3)
	v_exp_f32_e32 v88, v86
	v_cndmask_b32_e64 v84, 0, v75, s8
	v_mul_f32_e32 v77, 0x3fb8aa3b, v77
	s_waitcnt_depctr 0xfff
	v_cndmask_b32_e64 v87, 0, v76, s9
	v_fma_f32 v76, s19, v116, -v71
	v_dual_mul_f32 v73, 0x3fb8aa3b, v73 :: v_dual_add_f32 v72, v72, v84
	v_exp_f32_e32 v77, v77
	v_fma_f32 v75, s19, v115, -v71
	s_delay_alu instid0(VALU_DEP_3) | instskip(NEXT) | instid1(VALU_DEP_3)
	v_mul_f32_e32 v76, 0x3fb8aa3b, v76
	v_exp_f32_e32 v73, v73
	v_add_f32_e32 v72, v72, v87
	v_cndmask_b32_e64 v88, 0, v88, s12
	s_delay_alu instid0(VALU_DEP_3) | instskip(NEXT) | instid1(TRANS32_DEP_3)
	v_exp_f32_e32 v76, v76
	v_cndmask_b32_e64 v86, 0, v77, s10
	v_mul_f32_e32 v75, 0x3fb8aa3b, v75
	v_fma_f32 v77, s19, v117, -v71
	s_delay_alu instid0(TRANS32_DEP_2) | instskip(NEXT) | instid1(VALU_DEP_4)
	v_cndmask_b32_e64 v89, 0, v73, s11
	v_add_f32_e32 v72, v72, v86
	s_delay_alu instid0(VALU_DEP_4) | instskip(NEXT) | instid1(TRANS32_DEP_2)
	v_exp_f32_e32 v75, v75
	v_cndmask_b32_e64 v90, 0, v76, s15
	s_delay_alu instid0(VALU_DEP_2) | instskip(SKIP_2) | instid1(VALU_DEP_3)
	v_add_f32_e32 v72, v72, v89
	v_mul_f32_e32 v73, 0x3fb8aa3b, v77
	v_fma_f32 v77, s19, v118, -v71
	v_add_f32_e32 v72, v72, v88
	s_delay_alu instid0(VALU_DEP_3) | instskip(NEXT) | instid1(TRANS32_DEP_2)
	v_exp_f32_e32 v73, v73
	v_cndmask_b32_e64 v91, 0, v75, s13
	s_delay_alu instid0(VALU_DEP_1) | instskip(NEXT) | instid1(VALU_DEP_1)
	v_dual_mul_f32 v75, 0x3fb8aa3b, v77 :: v_dual_add_f32 v72, v72, v91
	v_exp_f32_e32 v75, v75
	s_waitcnt_depctr 0xfff
	v_cndmask_b32_e64 v93, 0, v73, s16
	v_add_f32_e32 v72, v72, v90
	s_delay_alu instid0(VALU_DEP_1) | instskip(SKIP_1) | instid1(VALU_DEP_1)
	v_add_f32_e32 v72, v72, v93
	v_cndmask_b32_e64 v92, 0, v75, s17
	v_add_f32_e32 v72, v72, v92
	ds_bpermute_b32 v73, v74, v72
	v_cmpx_gt_u32_e32 16, v70
	s_cbranch_execz .LBB1315_12
; %bb.11:
	v_mul_u32_u24_e32 v70, 0x44, v69
	s_waitcnt lgkmcnt(0)
	v_add_f32_e32 v72, v72, v73
	s_delay_alu instid0(VALU_DEP_2) | instskip(NEXT) | instid1(VALU_DEP_1)
	v_lshl_add_u32 v70, v68, 2, v70
	v_add_nc_u32_e32 v70, 0x4000, v70
	ds_store_2addr_b32 v70, v71, v72 offset1:136
.LBB1315_12:
	s_or_b32 exec_lo, exec_lo, s2
	v_lshlrev_b32_e32 v70, 2, v68
	s_load_b32 s34, s[0:1], 0x94
	s_waitcnt lgkmcnt(0)
	s_barrier
	buffer_gl0_inv
	v_add_nc_u32_e32 v98, 0x4000, v70
	v_cmp_eq_u32_e32 vcc_lo, 1, v69
	v_cmp_eq_u32_e64 s2, 2, v69
	v_cmp_eq_u32_e64 s3, 3, v69
	;; [unrolled: 1-line block ×3, first 2 shown]
	ds_load_2addr_b32 v[70:71], v98 offset1:17
	ds_load_2addr_b32 v[72:73], v98 offset0:34 offset1:51
	ds_load_2addr_b32 v[74:75], v98 offset0:68 offset1:85
	;; [unrolled: 1-line block ×3, first 2 shown]
	v_cmp_eq_u32_e64 s5, 5, v69
	v_cmp_eq_u32_e64 s6, 7, v69
	s_waitcnt lgkmcnt(3)
	v_max3_f32 v76, v70, 0xff7fffff, v71
	s_waitcnt lgkmcnt(2)
	s_delay_alu instid0(VALU_DEP_1) | instskip(SKIP_1) | instid1(VALU_DEP_1)
	v_max3_f32 v76, v76, v72, v73
	s_waitcnt lgkmcnt(1)
	v_max3_f32 v76, v76, v74, v75
	s_waitcnt lgkmcnt(0)
	s_delay_alu instid0(VALU_DEP_1) | instskip(NEXT) | instid1(VALU_DEP_1)
	v_max3_f32 v76, v76, v94, v95
	v_sub_f32_e32 v77, v71, v76
	ds_load_2addr_b32 v[96:97], v98 offset0:136 offset1:153
	v_sub_f32_e32 v74, v74, v76
	v_sub_f32_e32 v70, v70, v76
	;; [unrolled: 1-line block ×3, first 2 shown]
	v_dual_sub_f32 v72, v72, v76 :: v_dual_mul_f32 v77, 0x3fb8aa3b, v77
	s_delay_alu instid0(VALU_DEP_4) | instskip(NEXT) | instid1(VALU_DEP_4)
	v_mul_f32_e32 v103, 0x3fb8aa3b, v74
	v_mul_f32_e32 v99, 0x3fb8aa3b, v70
	ds_load_2addr_b32 v[70:71], v98 offset0:170 offset1:187
	v_dual_mul_f32 v101, 0x3fb8aa3b, v72 :: v_dual_mul_f32 v94, 0x3fb8aa3b, v94
	v_exp_f32_e32 v102, v77
	v_exp_f32_e32 v99, v99
	s_delay_alu instid0(VALU_DEP_1) | instskip(NEXT) | instid1(VALU_DEP_1)
	v_exp_f32_e32 v101, v101
	v_exp_f32_e32 v94, v94
	s_waitcnt lgkmcnt(1)
	s_delay_alu instid0(TRANS32_DEP_3)
	v_fma_f32 v77, v99, v96, 0
	v_sub_f32_e32 v100, v73, v76
	ds_load_2addr_b32 v[72:73], v98 offset0:204 offset1:221
	v_fmac_f32_e32 v77, v102, v97
	v_exp_f32_e32 v97, v103
	s_waitcnt lgkmcnt(1)
	s_delay_alu instid0(VALU_DEP_1)
	v_dual_fmac_f32 v77, v101, v70 :: v_dual_sub_f32 v96, v75, v76
	ds_load_2addr_b32 v[74:75], v98 offset0:238 offset1:255
	v_sub_f32_e32 v70, v95, v76
	s_waitcnt lgkmcnt(0)
	s_barrier
	v_mul_f32_e32 v96, 0x3fb8aa3b, v96
	buffer_gl0_inv
	v_exp_f32_e32 v95, v96
	v_mul_f32_e32 v100, 0x3fb8aa3b, v100
	s_delay_alu instid0(VALU_DEP_1) | instskip(SKIP_3) | instid1(VALU_DEP_2)
	v_exp_f32_e32 v100, v100
	s_waitcnt_depctr 0xfff
	v_dual_fmac_f32 v77, v100, v71 :: v_dual_mul_f32 v70, 0x3fb8aa3b, v70
	v_cndmask_b32_e32 v71, v99, v102, vcc_lo
	v_fmac_f32_e32 v77, v97, v72
	s_delay_alu instid0(VALU_DEP_3) | instskip(NEXT) | instid1(VALU_DEP_1)
	v_exp_f32_e32 v96, v70
	v_fmac_f32_e32 v77, v95, v73
	s_delay_alu instid0(VALU_DEP_1) | instskip(SKIP_2) | instid1(VALU_DEP_1)
	v_fmac_f32_e32 v77, v94, v74
	s_waitcnt_depctr 0xfff
	v_fmac_f32_e32 v77, v96, v75
	v_add_f32_e32 v74, 0x358637bd, v77
	s_delay_alu instid0(VALU_DEP_1) | instskip(SKIP_1) | instid1(VALU_DEP_2)
	v_div_scale_f32 v98, null, v74, v74, 1.0
	v_div_scale_f32 v99, vcc_lo, 1.0, v74, 1.0
	v_rcp_f32_e32 v103, v98
	s_waitcnt_depctr 0xfff
	v_fma_f32 v70, -v98, v103, 1.0
	s_delay_alu instid0(VALU_DEP_1) | instskip(SKIP_2) | instid1(VALU_DEP_2)
	v_fmac_f32_e32 v103, v70, v103
	v_cndmask_b32_e64 v70, v71, v101, s2
	v_cmp_eq_u32_e64 s2, 6, v69
	v_cndmask_b32_e64 v71, v70, v100, s3
	s_delay_alu instid0(VALU_DEP_4) | instskip(NEXT) | instid1(VALU_DEP_2)
	v_dual_mul_f32 v101, v99, v103 :: v_dual_lshlrev_b32 v70, 2, v66
	v_cndmask_b32_e64 v71, v71, v97, s4
	s_delay_alu instid0(VALU_DEP_2) | instskip(NEXT) | instid1(VALU_DEP_3)
	v_or_b32_e32 v72, 1, v70
	v_fma_f32 v100, -v98, v101, v99
	v_cmp_eq_u32_e64 s3, 1, v70
	v_cmp_eq_u32_e64 s4, 2, v70
	v_cndmask_b32_e64 v95, v71, v95, s5
	v_or_b32_e32 v71, 3, v70
	v_fmac_f32_e32 v101, v100, v103
	v_cmp_eq_u32_e64 s8, 1, v72
	v_cmp_eq_u32_e64 s11, 2, v72
	v_cndmask_b32_e64 v94, v95, v94, s2
	v_cmp_eq_u32_e64 s10, 1, v71
	v_fma_f32 v97, -v98, v101, v99
	v_cmp_eq_u32_e64 s15, 2, v71
	v_cmp_eq_u32_e64 s12, 3, v72
	v_cndmask_b32_e64 v94, v94, v96, s6
	v_cmp_eq_u32_e64 s17, 3, v71
	v_div_fmas_f32 v95, v97, v103, v101
	v_cmp_eq_u32_e32 vcc_lo, 3, v70
	v_cmp_eq_u32_e64 s2, 4, v70
	v_cmp_eq_u32_e64 s18, 4, v72
	;; [unrolled: 1-line block ×3, first 2 shown]
	v_div_fixup_f32 v95, v95, v74, 1.0
	v_lshlrev_b32_e32 v73, 6, v68
	v_cmp_eq_u32_e64 s5, 5, v70
	v_cmp_eq_u32_e64 s19, 5, v72
	;; [unrolled: 1-line block ×3, first 2 shown]
	v_mul_f32_e32 v102, v94, v95
	v_lshl_or_b32 v75, v69, 11, v73
	v_or_b32_e32 v69, 2, v70
	v_cmp_eq_u32_e64 s24, 6, v72
	v_cmp_eq_u32_e64 s26, 6, v71
	v_fma_mixlo_f16 v94, v102, v79, 0
	v_fma_mixlo_f16 v95, v102, v81, 0
	;; [unrolled: 1-line block ×8, first 2 shown]
	v_lshl_or_b32 v74, v66, 4, v75
	v_fma_mixhi_f16 v94, v102, v78, 0
	v_fma_mixhi_f16 v95, v102, v80, 0
	;; [unrolled: 1-line block ×8, first 2 shown]
	ds_store_b128 v74, v[94:97]
	ds_store_b128 v74, v[98:101] offset:1024
	s_waitcnt lgkmcnt(0)
	s_barrier
	buffer_gl0_inv
	ds_load_b128 v[78:81], v75
	ds_load_b128 v[82:85], v75 offset:16
	ds_load_b128 v[86:89], v75 offset:1024
	;; [unrolled: 1-line block ×3, first 2 shown]
	v_cmp_eq_u32_e64 s9, 1, v69
	v_cmp_eq_u32_e64 s13, 2, v69
	v_cmp_eq_u32_e64 s16, 3, v69
	v_cmp_eq_u32_e64 s20, 4, v69
	v_cmp_eq_u32_e64 s22, 5, v69
	v_cmp_eq_u32_e64 s6, 6, v70
	v_cmp_eq_u32_e64 s25, 6, v69
	v_cmp_eq_u32_e64 s28, 7, v71
	v_cmp_eq_u32_e64 s29, 7, v72
	v_cmp_eq_u32_e64 s7, 7, v70
	v_cmp_eq_u32_e64 s27, 7, v69
	s_waitcnt lgkmcnt(3)
	v_lshrrev_b32_e32 v94, 16, v78
	s_waitcnt lgkmcnt(2)
	v_lshrrev_b32_e32 v98, 16, v82
	;; [unrolled: 2-line block ×4, first 2 shown]
	v_lshrrev_b32_e32 v95, 16, v79
	v_cndmask_b32_e64 v110, v78, v94, s3
	v_cndmask_b32_e64 v111, v82, v98, s3
	;; [unrolled: 1-line block ×8, first 2 shown]
	v_lshrrev_b32_e32 v99, 16, v83
	v_cndmask_b32_e64 v94, v86, v102, s3
	v_cndmask_b32_e64 v98, v90, v106, s3
	;; [unrolled: 1-line block ×15, first 2 shown]
	v_lshrrev_b32_e32 v103, 16, v87
	v_lshrrev_b32_e32 v107, 16, v91
	v_cndmask_b32_e64 v113, v115, v83, s13
	v_cndmask_b32_e64 v82, v94, v87, s4
	;; [unrolled: 1-line block ×7, first 2 shown]
	v_cndmask_b32_e32 v90, v102, v95, vcc_lo
	v_cndmask_b32_e32 v102, v106, v99, vcc_lo
	v_cndmask_b32_e64 v106, v110, v95, s12
	v_cndmask_b32_e64 v110, v111, v99, s12
	;; [unrolled: 1-line block ×4, first 2 shown]
	v_lshrrev_b32_e32 v96, 16, v80
	v_lshrrev_b32_e32 v100, 16, v84
	v_cndmask_b32_e64 v111, v112, v95, s16
	v_cndmask_b32_e64 v112, v113, v99, s16
	v_cndmask_b32_e32 v82, v82, v103, vcc_lo
	v_cndmask_b32_e32 v83, v83, v107, vcc_lo
	v_cndmask_b32_e64 v94, v94, v103, s12
	v_cndmask_b32_e64 v90, v90, v80, s2
	;; [unrolled: 1-line block ×7, first 2 shown]
	v_lshrrev_b32_e32 v104, 16, v88
	v_cndmask_b32_e64 v106, v111, v80, s20
	v_cndmask_b32_e64 v110, v112, v84, s20
	;; [unrolled: 1-line block ×11, first 2 shown]
	v_lshrrev_b32_e32 v97, 16, v81
	v_lshrrev_b32_e32 v101, 16, v85
	v_cndmask_b32_e64 v99, v106, v96, s22
	v_cndmask_b32_e64 v102, v110, v100, s22
	;; [unrolled: 1-line block ×7, first 2 shown]
	v_lshrrev_b32_e32 v105, 16, v89
	v_cndmask_b32_e64 v80, v80, v104, s5
	v_cndmask_b32_e64 v84, v84, v81, s6
	;; [unrolled: 1-line block ×16, first 2 shown]
	v_perm_b32 v81, v79, v78, 0x5040100
	v_perm_b32 v79, v95, v85, 0x5040100
	v_cndmask_b32_e64 v78, v119, v91, s13
	v_cndmask_b32_e64 v85, v117, v91, s11
	;; [unrolled: 1-line block ×3, first 2 shown]
	v_perm_b32 v80, v94, v90, 0x5040100
	v_cndmask_b32_e64 v90, v98, v103, s16
	v_cndmask_b32_e64 v86, v86, v103, s17
	;; [unrolled: 1-line block ×5, first 2 shown]
	v_lshrrev_b32_e32 v108, 16, v92
	v_cndmask_b32_e64 v90, v90, v88, s20
	v_cndmask_b32_e64 v86, v86, v88, s21
	;; [unrolled: 1-line block ×11, first 2 shown]
	v_lshrrev_b32_e32 v109, 16, v93
	v_cndmask_b32_e64 v82, v82, v93, s6
	v_cndmask_b32_e64 v88, v88, v89, s25
	;; [unrolled: 1-line block ×12, first 2 shown]
	v_perm_b32 v78, v84, v83, 0x5040100
	v_perm_b32 v85, v87, v86, 0x5040100
	;; [unrolled: 1-line block ×5, first 2 shown]
	s_mul_i32 s7, s33, 6
	s_mov_b32 s2, exec_lo
	ds_store_b128 v74, v[78:81]
	ds_store_b128 v74, v[82:85] offset:1024
	v_cmpx_gt_u32_e32 6, v0
	s_cbranch_execz .LBB1315_14
; %bb.13:
	s_mul_i32 s3, s7, s30
	s_load_b128 s[8:11], s[0:1], 0x58
	v_add3_u32 v68, s3, s31, v68
	s_delay_alu instid0(VALU_DEP_1) | instskip(NEXT) | instid1(VALU_DEP_1)
	v_mad_u64_u32 v[78:79], null, v68, s34, s[14:15]
	v_ashrrev_i32_e32 v79, 31, v78
	s_delay_alu instid0(VALU_DEP_1) | instskip(SKIP_1) | instid1(VALU_DEP_1)
	v_lshlrev_b64 v[78:79], 2, v[78:79]
	s_waitcnt lgkmcnt(0)
	v_add_co_u32 v80, vcc_lo, s10, v78
	s_delay_alu instid0(VALU_DEP_2)
	v_add_co_ci_u32_e32 v81, vcc_lo, s11, v79, vcc_lo
	v_add_co_u32 v78, vcc_lo, s8, v78
	v_add_co_ci_u32_e32 v79, vcc_lo, s9, v79, vcc_lo
	global_store_b32 v[80:81], v76, off
	global_store_b32 v[78:79], v77, off
.LBB1315_14:
	s_or_b32 exec_lo, exec_lo, s2
	s_waitcnt lgkmcnt(0)
	s_waitcnt_vscnt null, 0x0
	s_barrier
	buffer_gl0_inv
	ds_load_b128 v[84:87], v73
	ds_load_b128 v[88:91], v73 offset:16
	ds_load_b128 v[96:99], v73 offset:2064
	ds_load_b128 v[92:95], v73 offset:2048
	ds_load_b128 v[104:107], v73 offset:4112
	ds_load_b128 v[100:103], v73 offset:4096
	v_cmp_eq_u32_e32 vcc_lo, 1, v70
	v_mov_b32_e32 v76, 0
	ds_load_b128 v[112:115], v73 offset:6160
	ds_load_b128 v[108:111], v73 offset:6144
	;; [unrolled: 1-line block ×4, first 2 shown]
	v_cmp_eq_u32_e64 s3, 1, v69
	v_cmp_eq_u32_e64 s2, 1, v72
	v_cmp_eq_u32_e64 s4, 2, v72
	v_mov_b32_e32 v77, v76
	v_mov_b32_e32 v78, v76
	;; [unrolled: 1-line block ×7, first 2 shown]
	v_cmp_eq_u32_e64 s5, 3, v72
	v_cmp_eq_u32_e64 s6, 7, v72
	s_waitcnt lgkmcnt(8)
	s_delay_alu instid0(VALU_DEP_3)
	v_wmma_f32_16x16x16_f16 v[76:83], v[49:56], v[84:91], v[76:83]
	ds_load_b128 v[53:56], v73 offset:10256
	ds_load_b128 v[49:52], v73 offset:10240
	s_waitcnt lgkmcnt(8)
	v_wmma_f32_16x16x16_f16 v[76:83], v[41:48], v[92:99], v[76:83]
	ds_load_b128 v[45:48], v73 offset:12304
	ds_load_b128 v[41:44], v73 offset:12288
	s_waitcnt lgkmcnt(8)
	;; [unrolled: 4-line block ×3, first 2 shown]
	s_barrier
	buffer_gl0_inv
	v_wmma_f32_16x16x16_f16 v[76:83], v[1:8], v[108:115], v[76:83]
	s_delay_alu instid0(VALU_DEP_1) | instskip(NEXT) | instid1(VALU_DEP_1)
	v_wmma_f32_16x16x16_f16 v[76:83], v[9:16], v[116:123], v[76:83]
	v_wmma_f32_16x16x16_f16 v[76:83], v[17:24], v[49:56], v[76:83]
	s_delay_alu instid0(VALU_DEP_1) | instskip(NEXT) | instid1(VALU_DEP_1)
	v_wmma_f32_16x16x16_f16 v[76:83], v[25:32], v[41:48], v[76:83]
	v_wmma_f32_16x16x16_f16 v[76:83], v[57:64], v[33:40], v[76:83]
	s_delay_alu instid0(VALU_DEP_1) | instskip(NEXT) | instid1(VALU_DEP_2)
	v_cvt_f16_f32_e32 v1, v76
	v_cvt_f16_f32_e32 v2, v77
	s_delay_alu instid0(VALU_DEP_3) | instskip(NEXT) | instid1(VALU_DEP_4)
	v_cvt_f16_f32_e32 v3, v78
	v_cvt_f16_f32_e32 v4, v79
	;; [unrolled: 1-line block ×6, first 2 shown]
	v_pack_b32_f16 v1, v1, v2
	v_pack_b32_f16 v2, v3, v4
	;; [unrolled: 1-line block ×3, first 2 shown]
	s_delay_alu instid0(VALU_DEP_4)
	v_pack_b32_f16 v4, v7, v8
	ds_store_b128 v74, v[1:4]
	s_waitcnt lgkmcnt(0)
	s_barrier
	buffer_gl0_inv
	ds_load_b128 v[1:4], v75
	ds_load_b128 v[5:8], v75 offset:16
	s_waitcnt lgkmcnt(1)
	v_lshrrev_b32_e32 v9, 16, v1
	s_waitcnt lgkmcnt(0)
	v_lshrrev_b32_e32 v13, 16, v5
	v_lshrrev_b32_e32 v10, 16, v2
	;; [unrolled: 1-line block ×4, first 2 shown]
	v_cndmask_b32_e32 v17, v1, v9, vcc_lo
	v_cndmask_b32_e32 v18, v5, v13, vcc_lo
	v_cndmask_b32_e64 v21, v1, v9, s3
	v_cmp_eq_u32_e32 vcc_lo, 1, v71
	v_cndmask_b32_e64 v22, v5, v13, s3
	v_cmp_eq_u32_e64 s3, 2, v70
	v_cndmask_b32_e64 v19, v1, v9, s2
	v_cndmask_b32_e64 v20, v5, v13, s2
	v_cndmask_b32_e32 v1, v1, v9, vcc_lo
	v_cmp_eq_u32_e64 s2, 2, v71
	v_cndmask_b32_e32 v5, v5, v13, vcc_lo
	v_cndmask_b32_e64 v9, v17, v2, s3
	v_cmp_eq_u32_e32 vcc_lo, 3, v70
	v_cndmask_b32_e64 v13, v18, v6, s3
	v_cmp_eq_u32_e64 s3, 2, v69
	v_cndmask_b32_e64 v17, v19, v2, s4
	v_cndmask_b32_e64 v18, v20, v6, s4
	v_cmp_eq_u32_e64 s4, 3, v69
	v_cndmask_b32_e64 v1, v1, v2, s2
	v_cndmask_b32_e64 v19, v21, v2, s3
	;; [unrolled: 1-line block ×4, first 2 shown]
	v_cndmask_b32_e32 v5, v9, v10, vcc_lo
	v_cndmask_b32_e32 v6, v13, v14, vcc_lo
	v_cmp_eq_u32_e32 vcc_lo, 3, v71
	v_cndmask_b32_e64 v9, v17, v10, s5
	v_cndmask_b32_e64 v13, v18, v14, s5
	;; [unrolled: 1-line block ×3, first 2 shown]
	v_cmp_eq_u32_e64 s3, 4, v70
	v_cndmask_b32_e32 v1, v1, v10, vcc_lo
	v_cndmask_b32_e32 v2, v2, v14, vcc_lo
	v_cmp_eq_u32_e32 vcc_lo, 4, v72
	v_lshrrev_b32_e32 v15, 16, v7
	v_lshrrev_b32_e32 v16, 16, v8
	v_cndmask_b32_e64 v17, v19, v10, s4
	v_cmp_eq_u32_e64 s2, 4, v71
	v_cndmask_b32_e64 v5, v5, v3, s3
	v_cndmask_b32_e64 v6, v6, v7, s3
	v_cndmask_b32_e32 v9, v9, v3, vcc_lo
	v_cmp_eq_u32_e64 s3, 5, v72
	v_cndmask_b32_e32 v10, v13, v7, vcc_lo
	v_cmp_eq_u32_e32 vcc_lo, 4, v69
	v_cmp_eq_u32_e64 s4, 5, v70
	v_cndmask_b32_e64 v2, v2, v7, s2
	v_cndmask_b32_e64 v9, v9, v11, s3
	;; [unrolled: 1-line block ×3, first 2 shown]
	v_cndmask_b32_e32 v13, v17, v3, vcc_lo
	v_cmp_eq_u32_e64 s3, 5, v69
	v_cndmask_b32_e32 v14, v18, v7, vcc_lo
	v_cndmask_b32_e64 v1, v1, v3, s2
	v_cmp_eq_u32_e32 vcc_lo, 5, v71
	v_lshrrev_b32_e32 v12, 16, v4
	v_cndmask_b32_e64 v13, v13, v11, s3
	v_cndmask_b32_e64 v3, v14, v15, s3
	v_cmp_eq_u32_e64 s3, 6, v71
	v_cndmask_b32_e32 v1, v1, v11, vcc_lo
	v_cndmask_b32_e64 v5, v5, v11, s4
	v_cmp_eq_u32_e64 s5, 6, v70
	v_cndmask_b32_e64 v6, v6, v15, s4
	v_cmp_eq_u32_e64 s4, 6, v72
	v_cmp_eq_u32_e64 s2, 6, v69
	v_cndmask_b32_e64 v1, v1, v4, s3
	v_cndmask_b32_e32 v2, v2, v15, vcc_lo
	v_cmp_eq_u32_e32 vcc_lo, 7, v71
	v_cndmask_b32_e64 v5, v5, v4, s5
	v_cndmask_b32_e64 v9, v9, v4, s4
	;; [unrolled: 1-line block ×3, first 2 shown]
	v_cmp_eq_u32_e64 s5, 7, v70
	v_cndmask_b32_e32 v1, v1, v12, vcc_lo
	v_cndmask_b32_e64 v7, v13, v4, s2
	v_cndmask_b32_e64 v3, v3, v8, s2
	;; [unrolled: 1-line block ×3, first 2 shown]
	v_cmp_eq_u32_e64 s2, 7, v69
	v_cndmask_b32_e64 v4, v10, v8, s4
	v_cndmask_b32_e64 v5, v5, v12, s5
	;; [unrolled: 1-line block ×3, first 2 shown]
	v_cndmask_b32_e32 v2, v2, v16, vcc_lo
	v_cndmask_b32_e64 v7, v7, v12, s2
	v_cndmask_b32_e64 v3, v3, v16, s2
	;; [unrolled: 1-line block ×4, first 2 shown]
	v_perm_b32 v4, v2, v1, 0x5040100
	s_mov_b32 s2, exec_lo
	v_perm_b32 v3, v3, v7, 0x5040100
	v_perm_b32 v2, v8, v9, 0x5040100
	v_perm_b32 v1, v6, v5, 0x5040100
	ds_store_b128 v74, v[1:4]
	s_waitcnt lgkmcnt(0)
	s_barrier
	buffer_gl0_inv
	v_cmpx_gt_u32_e32 32, v0
	s_cbranch_execz .LBB1315_2
; %bb.15:
	s_load_b64 s[0:1], s[0:1], 0x68
	s_lshl_b32 s4, s34, 7
	v_or_b32_e32 v3, s31, v66
	s_mul_i32 s2, s4, s30
	v_lshlrev_b32_e32 v0, 10, v0
	s_mul_i32 s2, s2, s7
	v_lshlrev_b32_e32 v1, 4, v67
	s_ashr_i32 s3, s2, 31
	v_mul_lo_u32 v12, v3, s4
	s_lshl_b64 s[2:3], s[2:3], 1
	v_lshlrev_b32_e32 v2, 6, v66
	v_and_b32_e32 v0, 0x3800, v0
	s_delay_alu instid0(VALU_DEP_1) | instskip(NEXT) | instid1(VALU_DEP_4)
	v_or3_b32 v8, v0, v1, v2
	v_ashrrev_i32_e32 v13, 31, v12
	ds_load_b128 v[0:3], v8
	ds_load_b128 v[4:7], v8 offset:128
	ds_load_b128 v[8:11], v8 offset:256
	s_waitcnt lgkmcnt(0)
	s_add_u32 s2, s0, s2
	s_addc_u32 s3, s1, s3
	s_lshl_b32 s0, s14, 7
	s_delay_alu instid0(SALU_CYCLE_1) | instskip(NEXT) | instid1(SALU_CYCLE_1)
	s_ashr_i32 s1, s0, 31
	s_lshl_b64 s[0:1], s[0:1], 1
	s_delay_alu instid0(SALU_CYCLE_1)
	s_add_u32 s0, s2, s0
	s_addc_u32 s1, s3, s1
	s_lshl_b32 s2, s34, 8
	v_add_co_u32 v18, s0, s0, v65
	v_add_nc_u32_e32 v14, s2, v12
	v_lshlrev_b64 v[12:13], 1, v[12:13]
	v_add_co_ci_u32_e64 v19, null, s1, 0, s0
	s_delay_alu instid0(VALU_DEP_3) | instskip(SKIP_1) | instid1(VALU_DEP_4)
	v_add_nc_u32_e32 v16, s2, v14
	v_ashrrev_i32_e32 v15, 31, v14
	v_add_co_u32 v12, vcc_lo, v18, v12
	s_delay_alu instid0(VALU_DEP_4) | instskip(NEXT) | instid1(VALU_DEP_4)
	v_add_co_ci_u32_e32 v13, vcc_lo, v19, v13, vcc_lo
	v_ashrrev_i32_e32 v17, 31, v16
	s_delay_alu instid0(VALU_DEP_4) | instskip(NEXT) | instid1(VALU_DEP_2)
	v_lshlrev_b64 v[14:15], 1, v[14:15]
	v_lshlrev_b64 v[16:17], 1, v[16:17]
	s_delay_alu instid0(VALU_DEP_2) | instskip(NEXT) | instid1(VALU_DEP_3)
	v_add_co_u32 v14, vcc_lo, v18, v14
	v_add_co_ci_u32_e32 v15, vcc_lo, v19, v15, vcc_lo
	s_delay_alu instid0(VALU_DEP_3) | instskip(NEXT) | instid1(VALU_DEP_4)
	v_add_co_u32 v16, vcc_lo, v18, v16
	v_add_co_ci_u32_e32 v17, vcc_lo, v19, v17, vcc_lo
	s_clause 0x2
	global_store_b128 v[12:13], v[0:3], off
	global_store_b128 v[14:15], v[4:7], off
	;; [unrolled: 1-line block ×3, first 2 shown]
	s_nop 0
	s_sendmsg sendmsg(MSG_DEALLOC_VGPRS)
	s_endpgm
	.section	.rodata,"a",@progbits
	.p2align	6, 0x0
	.amdhsa_kernel _Z39paged_attention_ll4mi_QKV_mfma16_kernelIDF16_hLN4vllm18Fp8KVCacheDataTypeE1EDF16_Li32ELi128ELi256ELb1ELi6EL8MFMAType0EEvPKT_PKT0_S8_ifPKiSA_SA_iPKfiiiPfSD_PS3_PT2_iSC_SC_
		.amdhsa_group_segment_fixed_size 17472
		.amdhsa_private_segment_fixed_size 0
		.amdhsa_kernarg_size 400
		.amdhsa_user_sgpr_count 13
		.amdhsa_user_sgpr_dispatch_ptr 0
		.amdhsa_user_sgpr_queue_ptr 0
		.amdhsa_user_sgpr_kernarg_segment_ptr 1
		.amdhsa_user_sgpr_dispatch_id 0
		.amdhsa_user_sgpr_private_segment_size 0
		.amdhsa_wavefront_size32 1
		.amdhsa_uses_dynamic_stack 0
		.amdhsa_enable_private_segment 0
		.amdhsa_system_sgpr_workgroup_id_x 1
		.amdhsa_system_sgpr_workgroup_id_y 1
		.amdhsa_system_sgpr_workgroup_id_z 1
		.amdhsa_system_sgpr_workgroup_info 0
		.amdhsa_system_vgpr_workitem_id 0
		.amdhsa_next_free_vgpr 150
		.amdhsa_next_free_sgpr 37
		.amdhsa_reserve_vcc 1
		.amdhsa_float_round_mode_32 0
		.amdhsa_float_round_mode_16_64 0
		.amdhsa_float_denorm_mode_32 3
		.amdhsa_float_denorm_mode_16_64 3
		.amdhsa_dx10_clamp 1
		.amdhsa_ieee_mode 1
		.amdhsa_fp16_overflow 0
		.amdhsa_workgroup_processor_mode 1
		.amdhsa_memory_ordered 1
		.amdhsa_forward_progress 0
		.amdhsa_shared_vgpr_count 0
		.amdhsa_exception_fp_ieee_invalid_op 0
		.amdhsa_exception_fp_denorm_src 0
		.amdhsa_exception_fp_ieee_div_zero 0
		.amdhsa_exception_fp_ieee_overflow 0
		.amdhsa_exception_fp_ieee_underflow 0
		.amdhsa_exception_fp_ieee_inexact 0
		.amdhsa_exception_int_div_zero 0
	.end_amdhsa_kernel
	.section	.text._Z39paged_attention_ll4mi_QKV_mfma16_kernelIDF16_hLN4vllm18Fp8KVCacheDataTypeE1EDF16_Li32ELi128ELi256ELb1ELi6EL8MFMAType0EEvPKT_PKT0_S8_ifPKiSA_SA_iPKfiiiPfSD_PS3_PT2_iSC_SC_,"axG",@progbits,_Z39paged_attention_ll4mi_QKV_mfma16_kernelIDF16_hLN4vllm18Fp8KVCacheDataTypeE1EDF16_Li32ELi128ELi256ELb1ELi6EL8MFMAType0EEvPKT_PKT0_S8_ifPKiSA_SA_iPKfiiiPfSD_PS3_PT2_iSC_SC_,comdat
.Lfunc_end1315:
	.size	_Z39paged_attention_ll4mi_QKV_mfma16_kernelIDF16_hLN4vllm18Fp8KVCacheDataTypeE1EDF16_Li32ELi128ELi256ELb1ELi6EL8MFMAType0EEvPKT_PKT0_S8_ifPKiSA_SA_iPKfiiiPfSD_PS3_PT2_iSC_SC_, .Lfunc_end1315-_Z39paged_attention_ll4mi_QKV_mfma16_kernelIDF16_hLN4vllm18Fp8KVCacheDataTypeE1EDF16_Li32ELi128ELi256ELb1ELi6EL8MFMAType0EEvPKT_PKT0_S8_ifPKiSA_SA_iPKfiiiPfSD_PS3_PT2_iSC_SC_
                                        ; -- End function
	.section	.AMDGPU.csdata,"",@progbits
; Kernel info:
; codeLenInByte = 6640
; NumSgprs: 39
; NumVgprs: 150
; ScratchSize: 0
; MemoryBound: 0
; FloatMode: 240
; IeeeMode: 1
; LDSByteSize: 17472 bytes/workgroup (compile time only)
; SGPRBlocks: 4
; VGPRBlocks: 18
; NumSGPRsForWavesPerEU: 39
; NumVGPRsForWavesPerEU: 150
; Occupancy: 9
; WaveLimiterHint : 1
; COMPUTE_PGM_RSRC2:SCRATCH_EN: 0
; COMPUTE_PGM_RSRC2:USER_SGPR: 13
; COMPUTE_PGM_RSRC2:TRAP_HANDLER: 0
; COMPUTE_PGM_RSRC2:TGID_X_EN: 1
; COMPUTE_PGM_RSRC2:TGID_Y_EN: 1
; COMPUTE_PGM_RSRC2:TGID_Z_EN: 1
; COMPUTE_PGM_RSRC2:TIDIG_COMP_CNT: 0
	.section	.text._Z39paged_attention_ll4mi_QKV_mfma16_kernelIDF16_hLN4vllm18Fp8KVCacheDataTypeE1EDF16_Li32ELi128ELi256ELb1ELi7EL8MFMAType0EEvPKT_PKT0_S8_ifPKiSA_SA_iPKfiiiPfSD_PS3_PT2_iSC_SC_,"axG",@progbits,_Z39paged_attention_ll4mi_QKV_mfma16_kernelIDF16_hLN4vllm18Fp8KVCacheDataTypeE1EDF16_Li32ELi128ELi256ELb1ELi7EL8MFMAType0EEvPKT_PKT0_S8_ifPKiSA_SA_iPKfiiiPfSD_PS3_PT2_iSC_SC_,comdat
	.protected	_Z39paged_attention_ll4mi_QKV_mfma16_kernelIDF16_hLN4vllm18Fp8KVCacheDataTypeE1EDF16_Li32ELi128ELi256ELb1ELi7EL8MFMAType0EEvPKT_PKT0_S8_ifPKiSA_SA_iPKfiiiPfSD_PS3_PT2_iSC_SC_ ; -- Begin function _Z39paged_attention_ll4mi_QKV_mfma16_kernelIDF16_hLN4vllm18Fp8KVCacheDataTypeE1EDF16_Li32ELi128ELi256ELb1ELi7EL8MFMAType0EEvPKT_PKT0_S8_ifPKiSA_SA_iPKfiiiPfSD_PS3_PT2_iSC_SC_
	.globl	_Z39paged_attention_ll4mi_QKV_mfma16_kernelIDF16_hLN4vllm18Fp8KVCacheDataTypeE1EDF16_Li32ELi128ELi256ELb1ELi7EL8MFMAType0EEvPKT_PKT0_S8_ifPKiSA_SA_iPKfiiiPfSD_PS3_PT2_iSC_SC_
	.p2align	8
	.type	_Z39paged_attention_ll4mi_QKV_mfma16_kernelIDF16_hLN4vllm18Fp8KVCacheDataTypeE1EDF16_Li32ELi128ELi256ELb1ELi7EL8MFMAType0EEvPKT_PKT0_S8_ifPKiSA_SA_iPKfiiiPfSD_PS3_PT2_iSC_SC_,@function
_Z39paged_attention_ll4mi_QKV_mfma16_kernelIDF16_hLN4vllm18Fp8KVCacheDataTypeE1EDF16_Li32ELi128ELi256ELb1ELi7EL8MFMAType0EEvPKT_PKT0_S8_ifPKiSA_SA_iPKfiiiPfSD_PS3_PT2_iSC_SC_: ; @_Z39paged_attention_ll4mi_QKV_mfma16_kernelIDF16_hLN4vllm18Fp8KVCacheDataTypeE1EDF16_Li32ELi128ELi256ELb1ELi7EL8MFMAType0EEvPKT_PKT0_S8_ifPKiSA_SA_iPKfiiiPfSD_PS3_PT2_iSC_SC_
; %bb.0:
	s_load_b64 s[4:5], s[0:1], 0x30
	s_mov_b32 s34, s13
	s_waitcnt lgkmcnt(0)
	s_cmp_lg_u64 s[4:5], 0
	s_cselect_b32 s8, -1, 0
	s_ashr_i32 s35, s13, 31
	s_cmp_eq_u64 s[4:5], 0
	s_cbranch_scc1 .LBB1316_3
; %bb.1:
	s_lshl_b64 s[2:3], s[34:35], 2
	s_delay_alu instid0(SALU_CYCLE_1) | instskip(SKIP_4) | instid1(SALU_CYCLE_1)
	s_add_u32 s2, s4, s2
	s_addc_u32 s3, s5, s3
	s_load_b64 s[2:3], s[2:3], 0x0
	s_waitcnt lgkmcnt(0)
	s_sub_i32 s2, s3, s2
	s_cmp_eq_u32 s2, 1
	s_cselect_b32 s2, -1, 0
	s_delay_alu instid0(SALU_CYCLE_1)
	s_and_not1_b32 vcc_lo, exec_lo, s2
	s_cbranch_vccz .LBB1316_4
.LBB1316_2:
	s_nop 0
	s_sendmsg sendmsg(MSG_DEALLOC_VGPRS)
	s_endpgm
.LBB1316_3:
.LBB1316_4:
	s_load_b64 s[2:3], s[0:1], 0x28
	s_lshl_b64 s[6:7], s[34:35], 2
	s_waitcnt lgkmcnt(0)
	s_add_u32 s2, s2, s6
	s_addc_u32 s3, s3, s7
	s_lshl_b32 s12, s14, 8
	s_load_b32 s24, s[2:3], 0x0
	s_waitcnt lgkmcnt(0)
	s_cmp_ge_i32 s12, s24
	s_cbranch_scc1 .LBB1316_2
; %bb.5:
	s_clause 0x1
	s_load_b128 s[20:23], s[0:1], 0x8
	s_load_b64 s[2:3], s[0:1], 0x20
	s_and_not1_b32 vcc_lo, exec_lo, s8
	s_cbranch_vccnz .LBB1316_7
; %bb.6:
	s_add_u32 s4, s4, s6
	s_addc_u32 s5, s5, s7
	s_load_b32 s5, s[4:5], 0x0
	s_branch .LBB1316_8
.LBB1316_7:
	s_mov_b32 s5, s34
.LBB1316_8:
	s_load_b128 s[16:19], s[0:1], 0x48
	v_and_b32_e32 v68, 15, v0
	v_lshrrev_b32_e32 v69, 5, v0
	v_bfe_u32 v66, v0, 4, 1
	v_and_b32_e32 v70, 31, v0
	v_and_b32_e32 v67, 1, v0
	v_lshlrev_b32_e32 v2, 3, v68
	s_mul_i32 s31, s15, 7
	v_lshl_or_b32 v1, v69, 1, v66
	s_mov_b32 s4, exec_lo
	s_delay_alu instid0(VALU_DEP_2) | instskip(NEXT) | instid1(VALU_DEP_2)
	v_lshlrev_b32_e32 v65, 1, v2
	v_cmpx_gt_u32_e32 7, v1
	s_cbranch_execz .LBB1316_10
; %bb.9:
	s_load_b64 s[6:7], s[0:1], 0x0
	v_add_lshl_u32 v2, v1, s31, 7
	s_waitcnt lgkmcnt(0)
	s_mul_hi_i32 s9, s5, s16
	s_mul_i32 s8, s5, s16
	v_lshlrev_b32_e32 v6, 10, v68
	s_lshl_b64 s[8:9], s[8:9], 1
	v_ashrrev_i32_e32 v3, 31, v2
	v_lshlrev_b32_e32 v1, 6, v1
	v_lshlrev_b32_e32 v7, 10, v67
	v_and_b32_e32 v6, 0x3800, v6
	s_delay_alu instid0(VALU_DEP_4) | instskip(NEXT) | instid1(VALU_DEP_2)
	v_lshlrev_b64 v[2:3], 1, v[2:3]
	v_or3_b32 v1, v6, v7, v1
	s_add_u32 s5, s6, s8
	s_addc_u32 s6, s7, s9
	s_delay_alu instid0(VALU_DEP_2) | instskip(NEXT) | instid1(VALU_DEP_3)
	v_add_co_u32 v2, vcc_lo, s5, v2
	v_add_co_ci_u32_e32 v3, vcc_lo, s6, v3, vcc_lo
	s_delay_alu instid0(VALU_DEP_2) | instskip(NEXT) | instid1(VALU_DEP_2)
	v_add_co_u32 v2, vcc_lo, v2, v65
	v_add_co_ci_u32_e32 v3, vcc_lo, 0, v3, vcc_lo
	global_load_b128 v[2:5], v[2:3], off
	s_waitcnt vmcnt(0)
	ds_store_b128 v1, v[2:5]
.LBB1316_10:
	s_or_b32 exec_lo, exec_lo, s4
	v_and_b32_e32 v1, 0xef, v0
	s_waitcnt lgkmcnt(0)
	s_add_i32 s5, s24, 31
	s_clause 0x1
	s_load_b32 s4, s[0:1], 0x38
	s_load_b32 s33, s[0:1], 0x98
	s_ashr_i32 s6, s5, 31
	v_add_nc_u32_e32 v1, s12, v1
	s_lshr_b32 s6, s6, 27
	s_load_b32 s19, s[0:1], 0x1c
	s_add_i32 s5, s5, s6
	s_waitcnt lgkmcnt(0)
	v_ashrrev_i32_e32 v2, 31, v1
	v_or_b32_e32 v3, 16, v1
	s_ashr_i32 s13, s5, 5
	v_cmp_gt_i32_e32 vcc_lo, s24, v1
	s_add_i32 s13, s13, -1
	v_lshrrev_b32_e32 v2, 27, v2
	s_barrier
	buffer_gl0_inv
	s_mul_i32 s15, s15, s18
	v_add_nc_u32_e32 v4, v1, v2
	s_mul_i32 s4, s34, s4
	s_delay_alu instid0(SALU_CYCLE_1) | instskip(NEXT) | instid1(VALU_DEP_1)
	s_ashr_i32 s5, s4, 31
	v_ashrrev_i32_e32 v4, 5, v4
	v_add_nc_u32_e32 v2, v3, v2
	s_lshl_b64 s[4:5], s[4:5], 2
	s_delay_alu instid0(SALU_CYCLE_1) | instskip(NEXT) | instid1(VALU_DEP_2)
	s_add_u32 s16, s2, s4
	v_cndmask_b32_e32 v1, s13, v4, vcc_lo
	s_delay_alu instid0(VALU_DEP_2)
	v_ashrrev_i32_e32 v2, 5, v2
	v_cmp_gt_i32_e32 vcc_lo, s24, v3
	s_addc_u32 s25, s3, s5
	s_ashr_i32 s18, s15, 31
	s_add_u32 s2, s20, s15
	s_addc_u32 s3, s21, s18
	v_cndmask_b32_e32 v3, s13, v2, vcc_lo
	v_ashrrev_i32_e32 v2, 31, v1
	s_lshl_b32 s4, s14, 3
	s_delay_alu instid0(SALU_CYCLE_1) | instskip(NEXT) | instid1(VALU_DEP_2)
	s_ashr_i32 s5, s4, 31
	v_ashrrev_i32_e32 v4, 31, v3
	s_delay_alu instid0(VALU_DEP_2) | instskip(SKIP_1) | instid1(SALU_CYCLE_1)
	v_lshlrev_b64 v[1:2], 2, v[1:2]
	s_lshl_b64 s[4:5], s[4:5], 2
	s_add_u32 s4, s16, s4
	s_delay_alu instid0(VALU_DEP_2) | instskip(SKIP_1) | instid1(VALU_DEP_2)
	v_lshlrev_b64 v[3:4], 2, v[3:4]
	s_addc_u32 s5, s25, s5
	v_add_co_u32 v1, vcc_lo, s16, v1
	v_add_co_ci_u32_e32 v2, vcc_lo, s25, v2, vcc_lo
	s_delay_alu instid0(VALU_DEP_3) | instskip(NEXT) | instid1(VALU_DEP_4)
	v_add_co_u32 v3, vcc_lo, s16, v3
	v_add_co_ci_u32_e32 v4, vcc_lo, s25, v4, vcc_lo
	s_clause 0x1
	global_load_b32 v5, v[1:2], off
	global_load_b32 v6, v[3:4], off
	s_or_b32 s6, s12, 32
	s_delay_alu instid0(SALU_CYCLE_1) | instskip(SKIP_2) | instid1(SALU_CYCLE_1)
	s_ashr_i32 s7, s6, 5
	s_cmp_lt_i32 s6, s24
	s_cselect_b32 s6, s7, s13
	s_ashr_i32 s7, s6, 31
	s_delay_alu instid0(SALU_CYCLE_1) | instskip(NEXT) | instid1(SALU_CYCLE_1)
	s_lshl_b64 s[6:7], s[6:7], 2
	s_add_u32 s6, s16, s6
	s_addc_u32 s7, s25, s7
	s_or_b32 s8, s12, 64
	s_delay_alu instid0(SALU_CYCLE_1) | instskip(SKIP_2) | instid1(SALU_CYCLE_1)
	s_ashr_i32 s9, s8, 5
	s_cmp_lt_i32 s8, s24
	s_cselect_b32 s8, s9, s13
	s_ashr_i32 s9, s8, 31
	s_delay_alu instid0(SALU_CYCLE_1) | instskip(NEXT) | instid1(SALU_CYCLE_1)
	s_lshl_b64 s[8:9], s[8:9], 2
	s_add_u32 s8, s16, s8
	s_addc_u32 s9, s25, s9
	s_or_b32 s10, s12, 0x60
	s_delay_alu instid0(SALU_CYCLE_1) | instskip(SKIP_2) | instid1(SALU_CYCLE_1)
	s_ashr_i32 s11, s10, 5
	s_cmp_lt_i32 s10, s24
	s_cselect_b32 s10, s11, s13
	s_ashr_i32 s11, s10, 31
	s_delay_alu instid0(SALU_CYCLE_1) | instskip(NEXT) | instid1(SALU_CYCLE_1)
	s_lshl_b64 s[10:11], s[10:11], 2
	s_add_u32 s10, s16, s10
	s_addc_u32 s11, s25, s11
	s_or_b32 s20, s12, 0x80
	s_delay_alu instid0(SALU_CYCLE_1) | instskip(SKIP_2) | instid1(SALU_CYCLE_1)
	s_ashr_i32 s21, s20, 5
	s_cmp_lt_i32 s20, s24
	s_cselect_b32 s20, s21, s13
	s_ashr_i32 s21, s20, 31
	s_delay_alu instid0(SALU_CYCLE_1) | instskip(NEXT) | instid1(SALU_CYCLE_1)
	s_lshl_b64 s[20:21], s[20:21], 2
	s_add_u32 s20, s16, s20
	s_addc_u32 s21, s25, s21
	s_or_b32 s26, s12, 0xa0
	s_delay_alu instid0(SALU_CYCLE_1) | instskip(SKIP_2) | instid1(SALU_CYCLE_1)
	s_ashr_i32 s27, s26, 5
	s_cmp_lt_i32 s26, s24
	s_cselect_b32 s26, s27, s13
	s_ashr_i32 s27, s26, 31
	s_delay_alu instid0(SALU_CYCLE_1) | instskip(NEXT) | instid1(SALU_CYCLE_1)
	s_lshl_b64 s[26:27], s[26:27], 2
	s_add_u32 s26, s16, s26
	s_addc_u32 s27, s25, s27
	s_clause 0x5
	s_load_b32 s28, s[4:5], 0x0
	s_load_b32 s29, s[6:7], 0x0
	;; [unrolled: 1-line block ×6, first 2 shown]
	s_mov_b32 s4, 0
	s_delay_alu instid0(SALU_CYCLE_1)
	s_mov_b32 s5, s4
	s_mov_b32 s6, s4
	;; [unrolled: 1-line block ×7, first 2 shown]
	s_delay_alu instid0(SALU_CYCLE_1)
	v_dual_mov_b32 v118, s11 :: v_dual_mov_b32 v117, s10
	v_dual_mov_b32 v116, s9 :: v_dual_mov_b32 v115, s8
	v_mov_b32_e32 v113, s6
	v_dual_mov_b32 v111, s4 :: v_dual_mov_b32 v114, s7
	v_mov_b32_e32 v112, s5
	s_waitcnt vmcnt(1)
	v_mad_i64_i32 v[1:2], null, v5, s17, s[2:3]
	v_lshlrev_b32_e32 v5, 4, v68
	s_waitcnt vmcnt(0)
	v_mad_i64_i32 v[3:4], null, v6, s17, s[2:3]
	s_or_b32 s2, s12, 0xc0
	s_delay_alu instid0(SALU_CYCLE_1) | instskip(NEXT) | instid1(VALU_DEP_3)
	s_ashr_i32 s3, s2, 5
	v_add_co_u32 v1, vcc_lo, v1, v5
	s_delay_alu instid0(VALU_DEP_4) | instskip(NEXT) | instid1(VALU_DEP_3)
	v_add_co_ci_u32_e32 v2, vcc_lo, 0, v2, vcc_lo
	v_add_co_u32 v3, vcc_lo, v3, v5
	s_delay_alu instid0(VALU_DEP_4)
	v_add_co_ci_u32_e32 v4, vcc_lo, 0, v4, vcc_lo
	s_clause 0xf
	global_load_b128 v[17:20], v[1:2], off
	global_load_b128 v[21:24], v[1:2], off offset:512
	global_load_b128 v[25:28], v[3:4], off offset:256
	;; [unrolled: 1-line block ×15, first 2 shown]
	v_mul_lo_u16 v1, v68, 37
	s_cmp_lt_i32 s2, s24
	v_lshlrev_b32_e32 v2, 5, v68
	s_cselect_b32 s2, s3, s13
	s_delay_alu instid0(VALU_DEP_2) | instskip(SKIP_1) | instid1(SALU_CYCLE_1)
	v_lshrrev_b16 v1, 8, v1
	s_ashr_i32 s3, s2, 31
	s_lshl_b64 s[2:3], s[2:3], 2
	s_delay_alu instid0(VALU_DEP_1) | instskip(SKIP_3) | instid1(VALU_DEP_1)
	v_mul_lo_u16 v1, v1, 7
	s_add_u32 s2, s16, s2
	s_addc_u32 s3, s25, s3
	s_or_b32 s20, s12, 0xe0
	v_sub_nc_u16 v1, v68, v1
	s_ashr_i32 s21, s20, 5
	s_cmp_lt_i32 s20, s24
	s_cselect_b32 s20, s21, s13
	s_delay_alu instid0(VALU_DEP_1) | instskip(SKIP_1) | instid1(SALU_CYCLE_1)
	v_and_b32_e32 v1, 0xff, v1
	s_ashr_i32 s21, s20, 31
	s_lshl_b64 s[4:5], s[20:21], 2
	s_delay_alu instid0(VALU_DEP_1)
	v_lshlrev_b32_e32 v149, 6, v1
	s_add_u32 s4, s16, s4
	s_addc_u32 s5, s25, s5
	v_lshl_or_b32 v1, v69, 9, v2
	ds_load_b128 v[119:122], v149
	ds_load_b128 v[123:126], v149 offset:1024
	ds_load_b128 v[127:130], v149 offset:2048
	;; [unrolled: 1-line block ×3, first 2 shown]
	s_clause 0x1
	s_load_b32 s2, s[2:3], 0x0
	s_load_b32 s3, s[4:5], 0x0
	s_add_u32 s6, s22, s15
	s_addc_u32 s7, s23, s18
	v_add_co_u32 v135, s6, s6, v1
	s_delay_alu instid0(VALU_DEP_1) | instskip(SKIP_1) | instid1(VALU_DEP_1)
	v_add_co_ci_u32_e64 v136, null, s7, 0, s6
	s_waitcnt lgkmcnt(0)
	v_mad_i64_i32 v[1:2], null, s28, s17, v[135:136]
	v_mad_i64_i32 v[3:4], null, s29, s17, v[135:136]
	;; [unrolled: 1-line block ×6, first 2 shown]
	s_clause 0x9
	global_load_b128 v[49:52], v[1:2], off
	global_load_b128 v[53:56], v[1:2], off offset:16
	global_load_b128 v[41:44], v[3:4], off
	global_load_b128 v[45:48], v[3:4], off offset:16
	;; [unrolled: 2-line block ×5, first 2 shown]
	v_mad_i64_i32 v[145:146], null, s2, s17, v[135:136]
	v_mad_i64_i32 v[147:148], null, s3, s17, v[135:136]
	s_waitcnt vmcnt(24)
	v_wmma_f32_16x16x16_f16 v[135:142], v[17:24], v[119:126], v[111:118]
	s_waitcnt vmcnt(22)
	v_wmma_f32_16x16x16_f16 v[111:118], v[25:32], v[119:126], v[111:118]
	s_clause 0x3
	global_load_b128 v[17:20], v[143:144], off
	global_load_b128 v[21:24], v[143:144], off offset:16
	global_load_b128 v[25:28], v[145:146], off
	global_load_b128 v[29:32], v[145:146], off offset:16
	v_and_b32_e32 v119, 0xe0, v0
	s_waitcnt vmcnt(24)
	v_wmma_f32_16x16x16_f16 v[135:142], v[57:64], v[127:134], v[135:142]
	s_clause 0x1
	global_load_b128 v[57:60], v[147:148], off
	global_load_b128 v[61:64], v[147:148], off offset:16
	s_waitcnt vmcnt(24)
	v_wmma_f32_16x16x16_f16 v[111:118], v[71:78], v[127:134], v[111:118]
	ds_load_b128 v[71:74], v149 offset:4096
	ds_load_b128 v[75:78], v149 offset:5120
	v_add_nc_u32_e32 v128, s12, v119
	ds_load_b128 v[119:122], v149 offset:6144
	ds_load_b128 v[123:126], v149 offset:7168
	v_mbcnt_lo_u32_b32 v127, -1, 0
	s_waitcnt vmcnt(0) lgkmcnt(0)
	s_barrier
	v_or_b32_e32 v128, v128, v66
	buffer_gl0_inv
	v_xor_b32_e32 v129, 16, v127
	v_or_b32_e32 v130, 4, v128
	v_or_b32_e32 v131, 6, v128
	s_delay_alu instid0(VALU_DEP_3) | instskip(SKIP_4) | instid1(VALU_DEP_4)
	v_cmp_gt_i32_e32 vcc_lo, 32, v129
	v_or_b32_e32 v132, 8, v128
	v_or_b32_e32 v133, 10, v128
	v_cmp_gt_i32_e64 s3, s24, v130
	v_cmp_gt_i32_e64 s4, s24, v131
	;; [unrolled: 1-line block ×3, first 2 shown]
	v_wmma_f32_16x16x16_f16 v[135:142], v[79:86], v[71:78], v[135:142]
	v_wmma_f32_16x16x16_f16 v[111:118], v[87:94], v[71:78], v[111:118]
	v_or_b32_e32 v79, 12, v128
	v_or_b32_e32 v80, 14, v128
	v_cmp_gt_i32_e64 s6, s24, v133
	v_wmma_f32_16x16x16_f16 v[135:142], v[95:102], v[119:126], v[135:142]
	v_cndmask_b32_e32 v127, v127, v129, vcc_lo
	v_or_b32_e32 v129, 2, v128
	v_wmma_f32_16x16x16_f16 v[111:118], v[103:110], v[119:126], v[111:118]
	v_cmp_gt_i32_e32 vcc_lo, s24, v128
	v_dual_mul_f32 v88, s19, v135 :: v_dual_mul_f32 v87, s19, v136
	s_delay_alu instid0(VALU_DEP_4) | instskip(NEXT) | instid1(VALU_DEP_4)
	v_cmp_gt_i32_e64 s2, s24, v129
	v_mul_f32_e32 v94, s19, v113
	v_mul_f32_e32 v78, s19, v138
	;; [unrolled: 1-line block ×3, first 2 shown]
	v_cndmask_b32_e32 v88, 0xff7fffff, v88, vcc_lo
	v_cndmask_b32_e64 v87, 0xff7fffff, v87, s2
	v_dual_mul_f32 v76, s19, v140 :: v_dual_mul_f32 v77, s19, v139
	v_mul_f32_e32 v90, s19, v117
	v_cndmask_b32_e64 v86, 0xff7fffff, v86, s3
	v_cndmask_b32_e64 v78, 0xff7fffff, v78, s4
	v_max3_f32 v87, v88, 0xff7fffff, v87
	v_or_b32_e32 v81, 16, v128
	v_or_b32_e32 v82, 18, v128
	v_dual_mul_f32 v74, s19, v142 :: v_dual_mul_f32 v75, s19, v141
	v_mul_f32_e32 v92, s19, v115
	v_cndmask_b32_e64 v77, 0xff7fffff, v77, s5
	v_cndmask_b32_e64 v76, 0xff7fffff, v76, s6
	v_max3_f32 v78, v87, v86, v78
	v_cmp_gt_i32_e64 s7, s24, v79
	v_cmp_gt_i32_e64 s8, s24, v80
	v_or_b32_e32 v83, 20, v128
	v_or_b32_e32 v84, 22, v128
	v_dual_mul_f32 v89, s19, v118 :: v_dual_mul_f32 v96, s19, v111
	v_mul_f32_e32 v95, s19, v112
	v_cndmask_b32_e64 v75, 0xff7fffff, v75, s7
	v_cndmask_b32_e64 v74, 0xff7fffff, v74, s8
	v_max3_f32 v76, v78, v77, v76
	v_cmp_gt_i32_e64 s9, s24, v81
	v_cmp_gt_i32_e64 s10, s24, v82
	v_or_b32_e32 v85, 24, v128
	v_or_b32_e32 v71, 26, v128
	v_mul_f32_e32 v93, s19, v114
	v_cndmask_b32_e64 v77, 0xff7fffff, v96, s9
	v_cndmask_b32_e64 v78, 0xff7fffff, v95, s10
	v_max3_f32 v74, v76, v75, v74
	v_cmp_gt_i32_e64 s11, s24, v83
	v_cmp_gt_i32_e64 s12, s24, v84
	v_or_b32_e32 v72, 28, v128
	v_or_b32_e32 v73, 30, v128
	v_mul_f32_e32 v91, s19, v116
	v_cndmask_b32_e64 v75, 0xff7fffff, v94, s11
	v_cndmask_b32_e64 v76, 0xff7fffff, v93, s12
	v_max3_f32 v74, v74, v77, v78
	v_cmp_gt_i32_e64 s13, s24, v85
	v_cmp_gt_i32_e64 s15, s24, v71
	;; [unrolled: 1-line block ×4, first 2 shown]
	v_max3_f32 v74, v74, v75, v76
	v_cndmask_b32_e64 v77, 0xff7fffff, v92, s13
	v_cndmask_b32_e64 v71, 0xff7fffff, v91, s15
	;; [unrolled: 1-line block ×4, first 2 shown]
	s_delay_alu instid0(VALU_DEP_3) | instskip(SKIP_1) | instid1(VALU_DEP_2)
	v_max3_f32 v71, v74, v77, v71
	v_lshlrev_b32_e32 v74, 2, v127
	v_max3_f32 v71, v71, v72, v73
	ds_bpermute_b32 v72, v74, v71
	s_waitcnt lgkmcnt(0)
	v_max_f32_e32 v72, v72, v72
	s_delay_alu instid0(VALU_DEP_1) | instskip(NEXT) | instid1(VALU_DEP_1)
	v_max_f32_e32 v71, v71, v72
	v_fma_f32 v75, s19, v137, -v71
	v_fma_f32 v76, s19, v138, -v71
	;; [unrolled: 1-line block ×5, first 2 shown]
	s_delay_alu instid0(VALU_DEP_4) | instskip(NEXT) | instid1(VALU_DEP_4)
	v_dual_mul_f32 v75, 0x3fb8aa3b, v75 :: v_dual_mul_f32 v76, 0x3fb8aa3b, v76
	v_mul_f32_e32 v72, 0x3fb8aa3b, v72
	v_fma_f32 v77, s19, v139, -v71
	s_delay_alu instid0(VALU_DEP_4) | instskip(NEXT) | instid1(VALU_DEP_4)
	v_mul_f32_e32 v73, 0x3fb8aa3b, v73
	v_exp_f32_e32 v75, v75
	v_exp_f32_e32 v76, v76
	v_exp_f32_e32 v72, v72
	s_delay_alu instid0(VALU_DEP_1) | instskip(SKIP_2) | instid1(TRANS32_DEP_3)
	v_exp_f32_e32 v73, v73
	v_cndmask_b32_e64 v81, 0, v75, s3
	v_mul_f32_e32 v82, 0x3fb8aa3b, v80
	v_cndmask_b32_e64 v80, 0, v76, s4
	s_waitcnt_depctr 0xfff
	v_cndmask_b32_e64 v78, 0, v73, s2
	v_cmp_gt_u32_e64 s2, 16, v70
	v_exp_f32_e32 v84, v82
	s_waitcnt_depctr 0xfff
	v_cndmask_b32_e64 v85, 0, v84, s7
	v_cndmask_b32_e32 v79, 0, v72, vcc_lo
	v_fma_f32 v72, s19, v140, -v71
	v_mul_f32_e32 v77, 0x3fb8aa3b, v77
	s_delay_alu instid0(VALU_DEP_2) | instskip(NEXT) | instid1(VALU_DEP_2)
	v_dual_add_f32 v73, 0, v79 :: v_dual_mul_f32 v72, 0x3fb8aa3b, v72
	v_exp_f32_e32 v77, v77
	s_delay_alu instid0(VALU_DEP_1) | instskip(NEXT) | instid1(VALU_DEP_2)
	v_add_f32_e32 v73, v73, v78
	v_exp_f32_e32 v72, v72
	s_delay_alu instid0(VALU_DEP_1) | instskip(SKIP_4) | instid1(VALU_DEP_2)
	v_add_f32_e32 v73, v73, v81
	s_waitcnt_depctr 0xfff
	v_cndmask_b32_e64 v83, 0, v77, s5
	v_add_f32_e32 v73, v73, v80
	v_cndmask_b32_e64 v82, 0, v72, s6
	v_add_f32_e32 v72, v73, v83
	s_delay_alu instid0(VALU_DEP_1)
	v_add_f32_e32 v72, v72, v82
	v_fma_f32 v75, s19, v142, -v71
	v_fma_f32 v76, s19, v111, -v71
	;; [unrolled: 1-line block ×5, first 2 shown]
	s_delay_alu instid0(VALU_DEP_4) | instskip(NEXT) | instid1(VALU_DEP_4)
	v_dual_mul_f32 v75, 0x3fb8aa3b, v75 :: v_dual_mul_f32 v76, 0x3fb8aa3b, v76
	v_mul_f32_e32 v86, 0x3fb8aa3b, v86
	v_add_f32_e32 v72, v72, v85
	s_delay_alu instid0(VALU_DEP_3) | instskip(NEXT) | instid1(VALU_DEP_3)
	v_exp_f32_e32 v75, v75
	v_exp_f32_e32 v76, v76
	s_delay_alu instid0(VALU_DEP_2) | instskip(NEXT) | instid1(TRANS32_DEP_3)
	v_exp_f32_e32 v88, v86
	v_cndmask_b32_e64 v84, 0, v75, s8
	v_mul_f32_e32 v77, 0x3fb8aa3b, v77
	s_waitcnt_depctr 0xfff
	v_cndmask_b32_e64 v87, 0, v76, s9
	v_fma_f32 v76, s19, v116, -v71
	v_dual_mul_f32 v73, 0x3fb8aa3b, v73 :: v_dual_add_f32 v72, v72, v84
	v_exp_f32_e32 v77, v77
	v_fma_f32 v75, s19, v115, -v71
	s_delay_alu instid0(VALU_DEP_3) | instskip(NEXT) | instid1(VALU_DEP_3)
	v_mul_f32_e32 v76, 0x3fb8aa3b, v76
	v_exp_f32_e32 v73, v73
	v_add_f32_e32 v72, v72, v87
	v_cndmask_b32_e64 v88, 0, v88, s12
	s_delay_alu instid0(VALU_DEP_3) | instskip(NEXT) | instid1(TRANS32_DEP_3)
	v_exp_f32_e32 v76, v76
	v_cndmask_b32_e64 v86, 0, v77, s10
	v_mul_f32_e32 v75, 0x3fb8aa3b, v75
	v_fma_f32 v77, s19, v117, -v71
	s_delay_alu instid0(TRANS32_DEP_2) | instskip(NEXT) | instid1(VALU_DEP_4)
	v_cndmask_b32_e64 v89, 0, v73, s11
	v_add_f32_e32 v72, v72, v86
	s_delay_alu instid0(VALU_DEP_4) | instskip(NEXT) | instid1(TRANS32_DEP_2)
	v_exp_f32_e32 v75, v75
	v_cndmask_b32_e64 v90, 0, v76, s15
	s_delay_alu instid0(VALU_DEP_2) | instskip(SKIP_2) | instid1(VALU_DEP_3)
	v_add_f32_e32 v72, v72, v89
	v_mul_f32_e32 v73, 0x3fb8aa3b, v77
	v_fma_f32 v77, s19, v118, -v71
	v_add_f32_e32 v72, v72, v88
	s_delay_alu instid0(VALU_DEP_3) | instskip(NEXT) | instid1(TRANS32_DEP_2)
	v_exp_f32_e32 v73, v73
	v_cndmask_b32_e64 v91, 0, v75, s13
	s_delay_alu instid0(VALU_DEP_1) | instskip(NEXT) | instid1(VALU_DEP_1)
	v_dual_mul_f32 v75, 0x3fb8aa3b, v77 :: v_dual_add_f32 v72, v72, v91
	v_exp_f32_e32 v75, v75
	s_waitcnt_depctr 0xfff
	v_cndmask_b32_e64 v93, 0, v73, s16
	v_add_f32_e32 v72, v72, v90
	s_delay_alu instid0(VALU_DEP_1) | instskip(SKIP_1) | instid1(VALU_DEP_1)
	v_add_f32_e32 v72, v72, v93
	v_cndmask_b32_e64 v92, 0, v75, s17
	v_add_f32_e32 v72, v72, v92
	ds_bpermute_b32 v73, v74, v72
	s_and_saveexec_b32 s3, s2
	s_cbranch_execz .LBB1316_12
; %bb.11:
	v_mul_u32_u24_e32 v70, 0x44, v69
	s_waitcnt lgkmcnt(0)
	v_add_f32_e32 v72, v72, v73
	s_delay_alu instid0(VALU_DEP_2) | instskip(NEXT) | instid1(VALU_DEP_1)
	v_lshl_add_u32 v70, v68, 2, v70
	v_add_nc_u32_e32 v70, 0x4000, v70
	ds_store_2addr_b32 v70, v71, v72 offset1:136
.LBB1316_12:
	s_or_b32 exec_lo, exec_lo, s3
	v_lshlrev_b32_e32 v70, 2, v68
	s_load_b32 s35, s[0:1], 0x94
	s_waitcnt lgkmcnt(0)
	s_barrier
	buffer_gl0_inv
	v_add_nc_u32_e32 v98, 0x4000, v70
	v_cmp_eq_u32_e32 vcc_lo, 1, v69
	v_cmp_eq_u32_e64 s3, 2, v69
	v_cmp_eq_u32_e64 s4, 3, v69
	;; [unrolled: 1-line block ×3, first 2 shown]
	ds_load_2addr_b32 v[70:71], v98 offset1:17
	ds_load_2addr_b32 v[72:73], v98 offset0:34 offset1:51
	ds_load_2addr_b32 v[74:75], v98 offset0:68 offset1:85
	;; [unrolled: 1-line block ×3, first 2 shown]
	v_cmp_eq_u32_e64 s6, 5, v69
	v_cmp_eq_u32_e64 s7, 7, v69
	s_waitcnt lgkmcnt(3)
	v_max3_f32 v76, v70, 0xff7fffff, v71
	s_waitcnt lgkmcnt(2)
	s_delay_alu instid0(VALU_DEP_1) | instskip(SKIP_1) | instid1(VALU_DEP_1)
	v_max3_f32 v76, v76, v72, v73
	s_waitcnt lgkmcnt(1)
	v_max3_f32 v76, v76, v74, v75
	s_waitcnt lgkmcnt(0)
	s_delay_alu instid0(VALU_DEP_1) | instskip(NEXT) | instid1(VALU_DEP_1)
	v_max3_f32 v76, v76, v94, v95
	v_sub_f32_e32 v77, v71, v76
	ds_load_2addr_b32 v[96:97], v98 offset0:136 offset1:153
	v_sub_f32_e32 v74, v74, v76
	v_sub_f32_e32 v70, v70, v76
	v_sub_f32_e32 v94, v94, v76
	v_dual_sub_f32 v72, v72, v76 :: v_dual_mul_f32 v77, 0x3fb8aa3b, v77
	s_delay_alu instid0(VALU_DEP_4) | instskip(NEXT) | instid1(VALU_DEP_4)
	v_mul_f32_e32 v103, 0x3fb8aa3b, v74
	v_mul_f32_e32 v99, 0x3fb8aa3b, v70
	ds_load_2addr_b32 v[70:71], v98 offset0:170 offset1:187
	v_dual_mul_f32 v101, 0x3fb8aa3b, v72 :: v_dual_mul_f32 v94, 0x3fb8aa3b, v94
	v_exp_f32_e32 v102, v77
	v_exp_f32_e32 v99, v99
	s_delay_alu instid0(VALU_DEP_1) | instskip(NEXT) | instid1(VALU_DEP_1)
	v_exp_f32_e32 v101, v101
	v_exp_f32_e32 v94, v94
	s_waitcnt lgkmcnt(1)
	s_delay_alu instid0(TRANS32_DEP_3)
	v_fma_f32 v77, v99, v96, 0
	v_sub_f32_e32 v100, v73, v76
	ds_load_2addr_b32 v[72:73], v98 offset0:204 offset1:221
	v_fmac_f32_e32 v77, v102, v97
	v_exp_f32_e32 v97, v103
	s_waitcnt lgkmcnt(1)
	s_delay_alu instid0(VALU_DEP_1)
	v_dual_fmac_f32 v77, v101, v70 :: v_dual_sub_f32 v96, v75, v76
	ds_load_2addr_b32 v[74:75], v98 offset0:238 offset1:255
	v_sub_f32_e32 v70, v95, v76
	s_waitcnt lgkmcnt(0)
	s_barrier
	v_mul_f32_e32 v96, 0x3fb8aa3b, v96
	buffer_gl0_inv
	v_exp_f32_e32 v95, v96
	v_mul_f32_e32 v100, 0x3fb8aa3b, v100
	s_delay_alu instid0(VALU_DEP_1) | instskip(SKIP_3) | instid1(VALU_DEP_2)
	v_exp_f32_e32 v100, v100
	s_waitcnt_depctr 0xfff
	v_dual_fmac_f32 v77, v100, v71 :: v_dual_mul_f32 v70, 0x3fb8aa3b, v70
	v_cndmask_b32_e32 v71, v99, v102, vcc_lo
	v_fmac_f32_e32 v77, v97, v72
	s_delay_alu instid0(VALU_DEP_3) | instskip(NEXT) | instid1(VALU_DEP_1)
	v_exp_f32_e32 v96, v70
	v_fmac_f32_e32 v77, v95, v73
	s_delay_alu instid0(VALU_DEP_1) | instskip(SKIP_2) | instid1(VALU_DEP_1)
	v_fmac_f32_e32 v77, v94, v74
	s_waitcnt_depctr 0xfff
	v_fmac_f32_e32 v77, v96, v75
	v_add_f32_e32 v74, 0x358637bd, v77
	s_delay_alu instid0(VALU_DEP_1) | instskip(SKIP_1) | instid1(VALU_DEP_2)
	v_div_scale_f32 v98, null, v74, v74, 1.0
	v_div_scale_f32 v99, vcc_lo, 1.0, v74, 1.0
	v_rcp_f32_e32 v103, v98
	s_waitcnt_depctr 0xfff
	v_fma_f32 v70, -v98, v103, 1.0
	s_delay_alu instid0(VALU_DEP_1) | instskip(SKIP_2) | instid1(VALU_DEP_2)
	v_fmac_f32_e32 v103, v70, v103
	v_cndmask_b32_e64 v70, v71, v101, s3
	v_cmp_eq_u32_e64 s3, 6, v69
	v_cndmask_b32_e64 v71, v70, v100, s4
	s_delay_alu instid0(VALU_DEP_4) | instskip(NEXT) | instid1(VALU_DEP_2)
	v_dual_mul_f32 v101, v99, v103 :: v_dual_lshlrev_b32 v70, 2, v66
	v_cndmask_b32_e64 v71, v71, v97, s5
	s_delay_alu instid0(VALU_DEP_2) | instskip(NEXT) | instid1(VALU_DEP_3)
	v_or_b32_e32 v72, 1, v70
	v_fma_f32 v100, -v98, v101, v99
	v_cmp_eq_u32_e64 s4, 1, v70
	v_cmp_eq_u32_e64 s5, 2, v70
	v_cndmask_b32_e64 v95, v71, v95, s6
	v_or_b32_e32 v71, 3, v70
	v_fmac_f32_e32 v101, v100, v103
	v_cmp_eq_u32_e64 s9, 1, v72
	v_cmp_eq_u32_e64 s12, 2, v72
	v_cndmask_b32_e64 v94, v95, v94, s3
	v_cmp_eq_u32_e64 s11, 1, v71
	v_fma_f32 v97, -v98, v101, v99
	v_cmp_eq_u32_e64 s16, 2, v71
	v_cmp_eq_u32_e64 s13, 3, v72
	v_cndmask_b32_e64 v94, v94, v96, s7
	v_cmp_eq_u32_e64 s18, 3, v71
	v_div_fmas_f32 v95, v97, v103, v101
	v_cmp_eq_u32_e32 vcc_lo, 3, v70
	v_cmp_eq_u32_e64 s3, 4, v70
	v_cmp_eq_u32_e64 s19, 4, v72
	;; [unrolled: 1-line block ×3, first 2 shown]
	v_div_fixup_f32 v95, v95, v74, 1.0
	v_lshlrev_b32_e32 v73, 6, v68
	v_cmp_eq_u32_e64 s6, 5, v70
	v_cmp_eq_u32_e64 s20, 5, v72
	;; [unrolled: 1-line block ×3, first 2 shown]
	v_mul_f32_e32 v102, v94, v95
	v_lshl_or_b32 v75, v69, 11, v73
	v_or_b32_e32 v69, 2, v70
	v_cmp_eq_u32_e64 s25, 6, v72
	v_cmp_eq_u32_e64 s27, 6, v71
	v_fma_mixlo_f16 v94, v102, v79, 0
	v_fma_mixlo_f16 v95, v102, v81, 0
	;; [unrolled: 1-line block ×8, first 2 shown]
	v_lshl_or_b32 v74, v66, 4, v75
	v_fma_mixhi_f16 v94, v102, v78, 0
	v_fma_mixhi_f16 v95, v102, v80, 0
	;; [unrolled: 1-line block ×8, first 2 shown]
	ds_store_b128 v74, v[94:97]
	ds_store_b128 v74, v[98:101] offset:1024
	s_waitcnt lgkmcnt(0)
	s_barrier
	buffer_gl0_inv
	ds_load_b128 v[78:81], v75
	ds_load_b128 v[82:85], v75 offset:16
	ds_load_b128 v[86:89], v75 offset:1024
	;; [unrolled: 1-line block ×3, first 2 shown]
	v_cmp_eq_u32_e64 s10, 1, v69
	v_cmp_eq_u32_e64 s15, 2, v69
	;; [unrolled: 1-line block ×11, first 2 shown]
	s_waitcnt lgkmcnt(3)
	v_lshrrev_b32_e32 v94, 16, v78
	s_waitcnt lgkmcnt(2)
	v_lshrrev_b32_e32 v98, 16, v82
	;; [unrolled: 2-line block ×4, first 2 shown]
	v_lshrrev_b32_e32 v95, 16, v79
	v_cndmask_b32_e64 v110, v78, v94, s4
	v_cndmask_b32_e64 v111, v82, v98, s4
	;; [unrolled: 1-line block ×8, first 2 shown]
	v_lshrrev_b32_e32 v99, 16, v83
	v_cndmask_b32_e64 v94, v86, v102, s4
	v_cndmask_b32_e64 v98, v90, v106, s4
	;; [unrolled: 1-line block ×15, first 2 shown]
	v_lshrrev_b32_e32 v103, 16, v87
	v_lshrrev_b32_e32 v107, 16, v91
	v_cndmask_b32_e64 v113, v115, v83, s15
	v_cndmask_b32_e64 v82, v94, v87, s5
	;; [unrolled: 1-line block ×7, first 2 shown]
	v_cndmask_b32_e32 v90, v102, v95, vcc_lo
	v_cndmask_b32_e32 v102, v106, v99, vcc_lo
	v_cndmask_b32_e64 v106, v110, v95, s13
	v_cndmask_b32_e64 v110, v111, v99, s13
	;; [unrolled: 1-line block ×4, first 2 shown]
	v_lshrrev_b32_e32 v96, 16, v80
	v_lshrrev_b32_e32 v100, 16, v84
	v_cndmask_b32_e64 v111, v112, v95, s17
	v_cndmask_b32_e64 v112, v113, v99, s17
	v_cndmask_b32_e32 v82, v82, v103, vcc_lo
	v_cndmask_b32_e32 v83, v83, v107, vcc_lo
	v_cndmask_b32_e64 v94, v94, v103, s13
	v_cndmask_b32_e64 v90, v90, v80, s3
	;; [unrolled: 1-line block ×7, first 2 shown]
	v_lshrrev_b32_e32 v104, 16, v88
	v_cndmask_b32_e64 v106, v111, v80, s21
	v_cndmask_b32_e64 v110, v112, v84, s21
	;; [unrolled: 1-line block ×11, first 2 shown]
	v_lshrrev_b32_e32 v97, 16, v81
	v_lshrrev_b32_e32 v101, 16, v85
	v_cndmask_b32_e64 v99, v106, v96, s23
	v_cndmask_b32_e64 v102, v110, v100, s23
	;; [unrolled: 1-line block ×7, first 2 shown]
	v_lshrrev_b32_e32 v105, 16, v89
	v_cndmask_b32_e64 v80, v80, v104, s6
	v_cndmask_b32_e64 v84, v84, v81, s7
	;; [unrolled: 1-line block ×16, first 2 shown]
	v_perm_b32 v81, v79, v78, 0x5040100
	v_perm_b32 v79, v95, v85, 0x5040100
	v_cndmask_b32_e64 v78, v119, v91, s15
	v_cndmask_b32_e64 v85, v117, v91, s12
	;; [unrolled: 1-line block ×3, first 2 shown]
	v_perm_b32 v80, v94, v90, 0x5040100
	v_cndmask_b32_e64 v90, v98, v103, s17
	v_cndmask_b32_e64 v86, v86, v103, s18
	;; [unrolled: 1-line block ×5, first 2 shown]
	v_lshrrev_b32_e32 v108, 16, v92
	v_cndmask_b32_e64 v90, v90, v88, s21
	v_cndmask_b32_e64 v86, v86, v88, s22
	v_cndmask_b32_e64 v87, v87, v92, s22
	v_cndmask_b32_e64 v78, v78, v92, s21
	v_cndmask_b32_e64 v85, v85, v92, s19
	v_cndmask_b32_e64 v82, v82, v108, s6
	v_cndmask_b32_e64 v88, v90, v104, s23
	v_cndmask_b32_e64 v86, v86, v104, s24
	v_cndmask_b32_e64 v87, v87, v108, s24
	v_cndmask_b32_e64 v78, v78, v108, s23
	v_cndmask_b32_e64 v85, v85, v108, s20
	v_lshrrev_b32_e32 v109, 16, v93
	v_cndmask_b32_e64 v82, v82, v93, s7
	v_cndmask_b32_e64 v88, v88, v89, s26
	;; [unrolled: 1-line block ×12, first 2 shown]
	v_perm_b32 v78, v84, v83, 0x5040100
	v_perm_b32 v85, v87, v86, 0x5040100
	v_perm_b32 v84, v89, v88, 0x5040100
	v_perm_b32 v83, v90, v97, 0x5040100
	v_perm_b32 v82, v82, v96, 0x5040100
	s_mul_i32 s8, s33, 7
	s_mov_b32 s3, exec_lo
	ds_store_b128 v74, v[78:81]
	ds_store_b128 v74, v[82:85] offset:1024
	v_cmpx_gt_u32_e32 7, v0
	s_cbranch_execz .LBB1316_14
; %bb.13:
	s_mul_i32 s4, s8, s34
	s_delay_alu instid0(SALU_CYCLE_1) | instskip(SKIP_1) | instid1(VALU_DEP_1)
	v_add3_u32 v68, s4, s31, v68
	s_load_b128 s[4:7], s[0:1], 0x58
	v_mad_u64_u32 v[78:79], null, v68, s35, s[14:15]
	s_delay_alu instid0(VALU_DEP_1) | instskip(NEXT) | instid1(VALU_DEP_1)
	v_ashrrev_i32_e32 v79, 31, v78
	v_lshlrev_b64 v[78:79], 2, v[78:79]
	s_waitcnt lgkmcnt(0)
	s_delay_alu instid0(VALU_DEP_1) | instskip(NEXT) | instid1(VALU_DEP_2)
	v_add_co_u32 v80, vcc_lo, s6, v78
	v_add_co_ci_u32_e32 v81, vcc_lo, s7, v79, vcc_lo
	v_add_co_u32 v78, vcc_lo, s4, v78
	v_add_co_ci_u32_e32 v79, vcc_lo, s5, v79, vcc_lo
	global_store_b32 v[80:81], v76, off
	global_store_b32 v[78:79], v77, off
.LBB1316_14:
	s_or_b32 exec_lo, exec_lo, s3
	s_waitcnt lgkmcnt(0)
	s_waitcnt_vscnt null, 0x0
	s_barrier
	buffer_gl0_inv
	ds_load_b128 v[84:87], v73
	ds_load_b128 v[88:91], v73 offset:16
	ds_load_b128 v[96:99], v73 offset:2064
	;; [unrolled: 1-line block ×5, first 2 shown]
	v_cmp_eq_u32_e32 vcc_lo, 1, v70
	v_mov_b32_e32 v76, 0
	ds_load_b128 v[112:115], v73 offset:6160
	ds_load_b128 v[108:111], v73 offset:6144
	;; [unrolled: 1-line block ×4, first 2 shown]
	v_cmp_eq_u32_e64 s4, 1, v69
	v_cmp_eq_u32_e64 s3, 1, v72
	;; [unrolled: 1-line block ×3, first 2 shown]
	v_mov_b32_e32 v77, v76
	v_mov_b32_e32 v78, v76
	;; [unrolled: 1-line block ×7, first 2 shown]
	v_cmp_eq_u32_e64 s6, 3, v72
	v_cmp_eq_u32_e64 s7, 7, v72
	s_waitcnt lgkmcnt(8)
	s_delay_alu instid0(VALU_DEP_3)
	v_wmma_f32_16x16x16_f16 v[76:83], v[49:56], v[84:91], v[76:83]
	ds_load_b128 v[53:56], v73 offset:10256
	ds_load_b128 v[49:52], v73 offset:10240
	s_waitcnt lgkmcnt(8)
	v_wmma_f32_16x16x16_f16 v[76:83], v[41:48], v[92:99], v[76:83]
	ds_load_b128 v[45:48], v73 offset:12304
	ds_load_b128 v[41:44], v73 offset:12288
	s_waitcnt lgkmcnt(8)
	;; [unrolled: 4-line block ×3, first 2 shown]
	s_barrier
	buffer_gl0_inv
	v_wmma_f32_16x16x16_f16 v[76:83], v[1:8], v[108:115], v[76:83]
	s_delay_alu instid0(VALU_DEP_1) | instskip(NEXT) | instid1(VALU_DEP_1)
	v_wmma_f32_16x16x16_f16 v[76:83], v[9:16], v[116:123], v[76:83]
	v_wmma_f32_16x16x16_f16 v[76:83], v[17:24], v[49:56], v[76:83]
	s_delay_alu instid0(VALU_DEP_1) | instskip(NEXT) | instid1(VALU_DEP_1)
	v_wmma_f32_16x16x16_f16 v[76:83], v[25:32], v[41:48], v[76:83]
	v_wmma_f32_16x16x16_f16 v[76:83], v[57:64], v[33:40], v[76:83]
	s_delay_alu instid0(VALU_DEP_1) | instskip(NEXT) | instid1(VALU_DEP_2)
	v_cvt_f16_f32_e32 v1, v76
	v_cvt_f16_f32_e32 v2, v77
	s_delay_alu instid0(VALU_DEP_3) | instskip(NEXT) | instid1(VALU_DEP_4)
	v_cvt_f16_f32_e32 v3, v78
	v_cvt_f16_f32_e32 v4, v79
	;; [unrolled: 1-line block ×6, first 2 shown]
	v_pack_b32_f16 v1, v1, v2
	v_pack_b32_f16 v2, v3, v4
	;; [unrolled: 1-line block ×3, first 2 shown]
	s_delay_alu instid0(VALU_DEP_4)
	v_pack_b32_f16 v4, v7, v8
	ds_store_b128 v74, v[1:4]
	s_waitcnt lgkmcnt(0)
	s_barrier
	buffer_gl0_inv
	ds_load_b128 v[1:4], v75
	ds_load_b128 v[5:8], v75 offset:16
	s_waitcnt lgkmcnt(1)
	v_lshrrev_b32_e32 v9, 16, v1
	s_waitcnt lgkmcnt(0)
	v_lshrrev_b32_e32 v13, 16, v5
	v_lshrrev_b32_e32 v10, 16, v2
	v_lshrrev_b32_e32 v14, 16, v6
	v_lshrrev_b32_e32 v11, 16, v3
	v_cndmask_b32_e32 v17, v1, v9, vcc_lo
	v_cndmask_b32_e32 v18, v5, v13, vcc_lo
	v_cndmask_b32_e64 v21, v1, v9, s4
	v_cmp_eq_u32_e32 vcc_lo, 1, v71
	v_cndmask_b32_e64 v22, v5, v13, s4
	v_cmp_eq_u32_e64 s4, 2, v70
	v_cndmask_b32_e64 v19, v1, v9, s3
	v_cndmask_b32_e64 v20, v5, v13, s3
	v_cndmask_b32_e32 v1, v1, v9, vcc_lo
	v_cmp_eq_u32_e64 s3, 2, v71
	v_cndmask_b32_e32 v5, v5, v13, vcc_lo
	v_cndmask_b32_e64 v9, v17, v2, s4
	v_cmp_eq_u32_e32 vcc_lo, 3, v70
	v_cndmask_b32_e64 v13, v18, v6, s4
	v_cmp_eq_u32_e64 s4, 2, v69
	v_cndmask_b32_e64 v17, v19, v2, s5
	v_cndmask_b32_e64 v18, v20, v6, s5
	v_cmp_eq_u32_e64 s5, 3, v69
	v_cndmask_b32_e64 v1, v1, v2, s3
	v_cndmask_b32_e64 v19, v21, v2, s4
	;; [unrolled: 1-line block ×4, first 2 shown]
	v_cndmask_b32_e32 v5, v9, v10, vcc_lo
	v_cndmask_b32_e32 v6, v13, v14, vcc_lo
	v_cmp_eq_u32_e32 vcc_lo, 3, v71
	v_cndmask_b32_e64 v9, v17, v10, s6
	v_cndmask_b32_e64 v13, v18, v14, s6
	;; [unrolled: 1-line block ×3, first 2 shown]
	v_cmp_eq_u32_e64 s4, 4, v70
	v_cndmask_b32_e32 v1, v1, v10, vcc_lo
	v_cndmask_b32_e32 v2, v2, v14, vcc_lo
	v_cmp_eq_u32_e32 vcc_lo, 4, v72
	v_lshrrev_b32_e32 v15, 16, v7
	v_lshrrev_b32_e32 v16, 16, v8
	v_cndmask_b32_e64 v17, v19, v10, s5
	v_cmp_eq_u32_e64 s3, 4, v71
	v_cndmask_b32_e64 v5, v5, v3, s4
	v_cndmask_b32_e64 v6, v6, v7, s4
	v_cndmask_b32_e32 v9, v9, v3, vcc_lo
	v_cmp_eq_u32_e64 s4, 5, v72
	v_cndmask_b32_e32 v10, v13, v7, vcc_lo
	v_cmp_eq_u32_e32 vcc_lo, 4, v69
	v_cmp_eq_u32_e64 s5, 5, v70
	v_cndmask_b32_e64 v2, v2, v7, s3
	v_cndmask_b32_e64 v9, v9, v11, s4
	;; [unrolled: 1-line block ×3, first 2 shown]
	v_cndmask_b32_e32 v13, v17, v3, vcc_lo
	v_cmp_eq_u32_e64 s4, 5, v69
	v_cndmask_b32_e32 v14, v18, v7, vcc_lo
	v_cndmask_b32_e64 v1, v1, v3, s3
	v_cmp_eq_u32_e32 vcc_lo, 5, v71
	v_lshrrev_b32_e32 v12, 16, v4
	v_cndmask_b32_e64 v13, v13, v11, s4
	v_cndmask_b32_e64 v3, v14, v15, s4
	v_cmp_eq_u32_e64 s4, 6, v71
	v_cndmask_b32_e32 v1, v1, v11, vcc_lo
	v_cndmask_b32_e64 v5, v5, v11, s5
	v_cmp_eq_u32_e64 s6, 6, v70
	v_cndmask_b32_e64 v6, v6, v15, s5
	v_cmp_eq_u32_e64 s5, 6, v72
	v_cmp_eq_u32_e64 s3, 6, v69
	v_cndmask_b32_e64 v1, v1, v4, s4
	v_cndmask_b32_e32 v2, v2, v15, vcc_lo
	v_cmp_eq_u32_e32 vcc_lo, 7, v71
	v_cndmask_b32_e64 v5, v5, v4, s6
	v_cndmask_b32_e64 v9, v9, v4, s5
	;; [unrolled: 1-line block ×3, first 2 shown]
	v_cmp_eq_u32_e64 s6, 7, v70
	v_cndmask_b32_e32 v1, v1, v12, vcc_lo
	v_cndmask_b32_e64 v7, v13, v4, s3
	v_cndmask_b32_e64 v3, v3, v8, s3
	;; [unrolled: 1-line block ×3, first 2 shown]
	v_cmp_eq_u32_e64 s3, 7, v69
	v_cndmask_b32_e64 v4, v10, v8, s5
	v_cndmask_b32_e64 v5, v5, v12, s6
	;; [unrolled: 1-line block ×3, first 2 shown]
	v_cndmask_b32_e32 v2, v2, v16, vcc_lo
	v_cndmask_b32_e64 v7, v7, v12, s3
	v_cndmask_b32_e64 v3, v3, v16, s3
	;; [unrolled: 1-line block ×4, first 2 shown]
	v_perm_b32 v4, v2, v1, 0x5040100
	s_mov_b32 s3, exec_lo
	v_perm_b32 v3, v3, v7, 0x5040100
	v_perm_b32 v2, v8, v9, 0x5040100
	;; [unrolled: 1-line block ×3, first 2 shown]
	ds_store_b128 v74, v[1:4]
	s_waitcnt lgkmcnt(0)
	s_barrier
	buffer_gl0_inv
	v_cmpx_gt_u32_e32 32, v0
	s_cbranch_execz .LBB1316_2
; %bb.15:
	s_load_b64 s[4:5], s[0:1], 0x68
	v_lshlrev_b32_e32 v0, 10, v0
	v_add_nc_u32_e32 v2, s31, v66
	v_lshlrev_b32_e32 v3, 4, v67
	s_lshl_b32 s0, s35, 7
	s_delay_alu instid0(SALU_CYCLE_1) | instskip(NEXT) | instid1(VALU_DEP_2)
	s_mul_i32 s1, s0, s34
	v_mul_lo_u32 v1, v2, s0
	s_delay_alu instid0(VALU_DEP_2)
	v_and_or_b32 v0, 0x3800, v0, v3
	v_add_nc_u32_e32 v3, 2, v2
	s_mul_i32 s6, s1, s8
	v_add_nc_u32_e32 v4, 4, v2
	s_ashr_i32 s7, s6, 31
	v_lshl_or_b32 v11, v66, 6, v0
	s_lshl_b64 s[6:7], s[6:7], 1
	v_mul_lo_u32 v15, v3, s0
	v_mul_lo_u32 v17, v4, s0
	v_ashrrev_i32_e32 v2, 31, v1
	ds_load_b128 v[3:6], v11
	ds_load_b128 v[7:10], v11 offset:128
	ds_load_b128 v[11:14], v11 offset:256
	s_waitcnt lgkmcnt(0)
	s_add_u32 s1, s4, s6
	s_addc_u32 s3, s5, s7
	s_lshl_b32 s4, s14, 7
	v_ashrrev_i32_e32 v16, 31, v15
	s_ashr_i32 s5, s4, 31
	v_lshlrev_b64 v[19:20], 1, v[1:2]
	s_lshl_b64 s[4:5], s[4:5], 1
	v_ashrrev_i32_e32 v18, 31, v17
	s_add_u32 s1, s1, s4
	s_addc_u32 s3, s3, s5
	v_add_co_u32 v1, s1, s1, v65
	s_delay_alu instid0(VALU_DEP_1) | instskip(SKIP_1) | instid1(VALU_DEP_3)
	v_add_co_ci_u32_e64 v2, null, s3, 0, s1
	v_lshlrev_b64 v[15:16], 1, v[15:16]
	v_add_co_u32 v19, vcc_lo, v1, v19
	v_lshlrev_b64 v[17:18], 1, v[17:18]
	s_delay_alu instid0(VALU_DEP_4) | instskip(NEXT) | instid1(VALU_DEP_4)
	v_add_co_ci_u32_e32 v20, vcc_lo, v2, v20, vcc_lo
	v_add_co_u32 v15, vcc_lo, v1, v15
	v_add_co_ci_u32_e32 v16, vcc_lo, v2, v16, vcc_lo
	s_delay_alu instid0(VALU_DEP_4)
	v_add_co_u32 v17, vcc_lo, v1, v17
	v_add_co_ci_u32_e32 v18, vcc_lo, v2, v18, vcc_lo
	s_clause 0x2
	global_store_b128 v[19:20], v[3:6], off
	global_store_b128 v[15:16], v[7:10], off
	;; [unrolled: 1-line block ×3, first 2 shown]
	s_and_b32 exec_lo, exec_lo, s2
	s_cbranch_execz .LBB1316_2
; %bb.16:
	ds_load_b128 v[3:6], v0 offset:384
	s_add_i32 s1, s31, 6
	s_delay_alu instid0(SALU_CYCLE_1) | instskip(NEXT) | instid1(SALU_CYCLE_1)
	s_mul_i32 s0, s1, s0
	s_ashr_i32 s1, s0, 31
	s_delay_alu instid0(SALU_CYCLE_1) | instskip(NEXT) | instid1(SALU_CYCLE_1)
	s_lshl_b64 s[0:1], s[0:1], 1
	v_add_co_u32 v0, vcc_lo, v1, s0
	v_add_co_ci_u32_e32 v1, vcc_lo, s1, v2, vcc_lo
	s_waitcnt lgkmcnt(0)
	global_store_b128 v[0:1], v[3:6], off
	s_nop 0
	s_sendmsg sendmsg(MSG_DEALLOC_VGPRS)
	s_endpgm
	.section	.rodata,"a",@progbits
	.p2align	6, 0x0
	.amdhsa_kernel _Z39paged_attention_ll4mi_QKV_mfma16_kernelIDF16_hLN4vllm18Fp8KVCacheDataTypeE1EDF16_Li32ELi128ELi256ELb1ELi7EL8MFMAType0EEvPKT_PKT0_S8_ifPKiSA_SA_iPKfiiiPfSD_PS3_PT2_iSC_SC_
		.amdhsa_group_segment_fixed_size 17472
		.amdhsa_private_segment_fixed_size 0
		.amdhsa_kernarg_size 400
		.amdhsa_user_sgpr_count 13
		.amdhsa_user_sgpr_dispatch_ptr 0
		.amdhsa_user_sgpr_queue_ptr 0
		.amdhsa_user_sgpr_kernarg_segment_ptr 1
		.amdhsa_user_sgpr_dispatch_id 0
		.amdhsa_user_sgpr_private_segment_size 0
		.amdhsa_wavefront_size32 1
		.amdhsa_uses_dynamic_stack 0
		.amdhsa_enable_private_segment 0
		.amdhsa_system_sgpr_workgroup_id_x 1
		.amdhsa_system_sgpr_workgroup_id_y 1
		.amdhsa_system_sgpr_workgroup_id_z 1
		.amdhsa_system_sgpr_workgroup_info 0
		.amdhsa_system_vgpr_workitem_id 0
		.amdhsa_next_free_vgpr 150
		.amdhsa_next_free_sgpr 37
		.amdhsa_reserve_vcc 1
		.amdhsa_float_round_mode_32 0
		.amdhsa_float_round_mode_16_64 0
		.amdhsa_float_denorm_mode_32 3
		.amdhsa_float_denorm_mode_16_64 3
		.amdhsa_dx10_clamp 1
		.amdhsa_ieee_mode 1
		.amdhsa_fp16_overflow 0
		.amdhsa_workgroup_processor_mode 1
		.amdhsa_memory_ordered 1
		.amdhsa_forward_progress 0
		.amdhsa_shared_vgpr_count 0
		.amdhsa_exception_fp_ieee_invalid_op 0
		.amdhsa_exception_fp_denorm_src 0
		.amdhsa_exception_fp_ieee_div_zero 0
		.amdhsa_exception_fp_ieee_overflow 0
		.amdhsa_exception_fp_ieee_underflow 0
		.amdhsa_exception_fp_ieee_inexact 0
		.amdhsa_exception_int_div_zero 0
	.end_amdhsa_kernel
	.section	.text._Z39paged_attention_ll4mi_QKV_mfma16_kernelIDF16_hLN4vllm18Fp8KVCacheDataTypeE1EDF16_Li32ELi128ELi256ELb1ELi7EL8MFMAType0EEvPKT_PKT0_S8_ifPKiSA_SA_iPKfiiiPfSD_PS3_PT2_iSC_SC_,"axG",@progbits,_Z39paged_attention_ll4mi_QKV_mfma16_kernelIDF16_hLN4vllm18Fp8KVCacheDataTypeE1EDF16_Li32ELi128ELi256ELb1ELi7EL8MFMAType0EEvPKT_PKT0_S8_ifPKiSA_SA_iPKfiiiPfSD_PS3_PT2_iSC_SC_,comdat
.Lfunc_end1316:
	.size	_Z39paged_attention_ll4mi_QKV_mfma16_kernelIDF16_hLN4vllm18Fp8KVCacheDataTypeE1EDF16_Li32ELi128ELi256ELb1ELi7EL8MFMAType0EEvPKT_PKT0_S8_ifPKiSA_SA_iPKfiiiPfSD_PS3_PT2_iSC_SC_, .Lfunc_end1316-_Z39paged_attention_ll4mi_QKV_mfma16_kernelIDF16_hLN4vllm18Fp8KVCacheDataTypeE1EDF16_Li32ELi128ELi256ELb1ELi7EL8MFMAType0EEvPKT_PKT0_S8_ifPKiSA_SA_iPKfiiiPfSD_PS3_PT2_iSC_SC_
                                        ; -- End function
	.section	.AMDGPU.csdata,"",@progbits
; Kernel info:
; codeLenInByte = 6708
; NumSgprs: 39
; NumVgprs: 150
; ScratchSize: 0
; MemoryBound: 0
; FloatMode: 240
; IeeeMode: 1
; LDSByteSize: 17472 bytes/workgroup (compile time only)
; SGPRBlocks: 4
; VGPRBlocks: 18
; NumSGPRsForWavesPerEU: 39
; NumVGPRsForWavesPerEU: 150
; Occupancy: 9
; WaveLimiterHint : 1
; COMPUTE_PGM_RSRC2:SCRATCH_EN: 0
; COMPUTE_PGM_RSRC2:USER_SGPR: 13
; COMPUTE_PGM_RSRC2:TRAP_HANDLER: 0
; COMPUTE_PGM_RSRC2:TGID_X_EN: 1
; COMPUTE_PGM_RSRC2:TGID_Y_EN: 1
; COMPUTE_PGM_RSRC2:TGID_Z_EN: 1
; COMPUTE_PGM_RSRC2:TIDIG_COMP_CNT: 0
	.section	.text._Z39paged_attention_ll4mi_QKV_mfma16_kernelIDF16_hLN4vllm18Fp8KVCacheDataTypeE1EDF16_Li32ELi128ELi256ELb1ELi8EL8MFMAType0EEvPKT_PKT0_S8_ifPKiSA_SA_iPKfiiiPfSD_PS3_PT2_iSC_SC_,"axG",@progbits,_Z39paged_attention_ll4mi_QKV_mfma16_kernelIDF16_hLN4vllm18Fp8KVCacheDataTypeE1EDF16_Li32ELi128ELi256ELb1ELi8EL8MFMAType0EEvPKT_PKT0_S8_ifPKiSA_SA_iPKfiiiPfSD_PS3_PT2_iSC_SC_,comdat
	.protected	_Z39paged_attention_ll4mi_QKV_mfma16_kernelIDF16_hLN4vllm18Fp8KVCacheDataTypeE1EDF16_Li32ELi128ELi256ELb1ELi8EL8MFMAType0EEvPKT_PKT0_S8_ifPKiSA_SA_iPKfiiiPfSD_PS3_PT2_iSC_SC_ ; -- Begin function _Z39paged_attention_ll4mi_QKV_mfma16_kernelIDF16_hLN4vllm18Fp8KVCacheDataTypeE1EDF16_Li32ELi128ELi256ELb1ELi8EL8MFMAType0EEvPKT_PKT0_S8_ifPKiSA_SA_iPKfiiiPfSD_PS3_PT2_iSC_SC_
	.globl	_Z39paged_attention_ll4mi_QKV_mfma16_kernelIDF16_hLN4vllm18Fp8KVCacheDataTypeE1EDF16_Li32ELi128ELi256ELb1ELi8EL8MFMAType0EEvPKT_PKT0_S8_ifPKiSA_SA_iPKfiiiPfSD_PS3_PT2_iSC_SC_
	.p2align	8
	.type	_Z39paged_attention_ll4mi_QKV_mfma16_kernelIDF16_hLN4vllm18Fp8KVCacheDataTypeE1EDF16_Li32ELi128ELi256ELb1ELi8EL8MFMAType0EEvPKT_PKT0_S8_ifPKiSA_SA_iPKfiiiPfSD_PS3_PT2_iSC_SC_,@function
_Z39paged_attention_ll4mi_QKV_mfma16_kernelIDF16_hLN4vllm18Fp8KVCacheDataTypeE1EDF16_Li32ELi128ELi256ELb1ELi8EL8MFMAType0EEvPKT_PKT0_S8_ifPKiSA_SA_iPKfiiiPfSD_PS3_PT2_iSC_SC_: ; @_Z39paged_attention_ll4mi_QKV_mfma16_kernelIDF16_hLN4vllm18Fp8KVCacheDataTypeE1EDF16_Li32ELi128ELi256ELb1ELi8EL8MFMAType0EEvPKT_PKT0_S8_ifPKiSA_SA_iPKfiiiPfSD_PS3_PT2_iSC_SC_
; %bb.0:
	s_load_b64 s[4:5], s[0:1], 0x30
	s_mov_b32 s30, s13
	s_waitcnt lgkmcnt(0)
	s_cmp_lg_u64 s[4:5], 0
	s_cselect_b32 s13, -1, 0
	s_ashr_i32 s31, s30, 31
	s_cmp_eq_u64 s[4:5], 0
	s_cbranch_scc1 .LBB1317_3
; %bb.1:
	s_lshl_b64 s[2:3], s[30:31], 2
	s_delay_alu instid0(SALU_CYCLE_1) | instskip(SKIP_4) | instid1(SALU_CYCLE_1)
	s_add_u32 s2, s4, s2
	s_addc_u32 s3, s5, s3
	s_load_b64 s[2:3], s[2:3], 0x0
	s_waitcnt lgkmcnt(0)
	s_sub_i32 s2, s3, s2
	s_cmp_eq_u32 s2, 1
	s_cselect_b32 s2, -1, 0
	s_delay_alu instid0(SALU_CYCLE_1)
	s_and_not1_b32 vcc_lo, exec_lo, s2
	s_cbranch_vccz .LBB1317_4
.LBB1317_2:
	s_endpgm
.LBB1317_3:
.LBB1317_4:
	s_load_b64 s[2:3], s[0:1], 0x28
	s_lshl_b64 s[6:7], s[30:31], 2
	s_waitcnt lgkmcnt(0)
	s_add_u32 s2, s2, s6
	s_addc_u32 s3, s3, s7
	s_lshl_b32 s12, s14, 8
	s_load_b32 s17, s[2:3], 0x0
	s_waitcnt lgkmcnt(0)
	s_cmp_ge_i32 s12, s17
	s_cbranch_scc1 .LBB1317_2
; %bb.5:
	s_clause 0x1
	s_load_b128 s[8:11], s[0:1], 0x8
	s_load_b64 s[2:3], s[0:1], 0x20
	s_and_not1_b32 vcc_lo, exec_lo, s13
	s_cbranch_vccnz .LBB1317_7
; %bb.6:
	s_add_u32 s4, s4, s6
	s_addc_u32 s5, s5, s7
	s_load_b32 s13, s[4:5], 0x0
	s_branch .LBB1317_8
.LBB1317_7:
	s_mov_b32 s13, s30
.LBB1317_8:
	s_load_b128 s[4:7], s[0:1], 0x48
	v_and_b32_e32 v69, 15, v0
	v_lshrrev_b32_e32 v68, 5, v0
	v_and_b32_e32 v70, 31, v0
	v_and_b32_e32 v67, 1, v0
	v_bfe_u32 v66, v0, 4, 1
	v_lshlrev_b32_e32 v1, 3, v69
	s_lshl_b32 s31, s15, 3
	s_waitcnt lgkmcnt(0)
	s_mov_b32 s7, exec_lo
	s_delay_alu instid0(VALU_DEP_1)
	v_lshlrev_b32_e32 v65, 1, v1
	v_cmpx_gt_u32_e32 0x80, v0
	s_cbranch_execz .LBB1317_10
; %bb.9:
	v_lshl_or_b32 v5, v68, 1, v66
	s_load_b64 s[18:19], s[0:1], 0x0
	s_mul_hi_i32 s21, s13, s4
	s_mul_i32 s20, s13, s4
	v_lshlrev_b32_e32 v6, 10, v69
	v_or_b32_e32 v1, s31, v5
	s_lshl_b64 s[20:21], s[20:21], 1
	v_lshlrev_b32_e32 v5, 6, v5
	v_lshlrev_b32_e32 v7, 10, v67
	v_and_b32_e32 v6, 0x3800, v6
	v_lshlrev_b32_e32 v1, 7, v1
	s_delay_alu instid0(VALU_DEP_2) | instskip(NEXT) | instid1(VALU_DEP_2)
	v_or3_b32 v5, v6, v7, v5
	v_ashrrev_i32_e32 v2, 31, v1
	s_delay_alu instid0(VALU_DEP_1) | instskip(SKIP_3) | instid1(VALU_DEP_1)
	v_lshlrev_b64 v[1:2], 1, v[1:2]
	s_waitcnt lgkmcnt(0)
	s_add_u32 s4, s18, s20
	s_addc_u32 s13, s19, s21
	v_add_co_u32 v1, vcc_lo, s4, v1
	s_delay_alu instid0(VALU_DEP_2) | instskip(NEXT) | instid1(VALU_DEP_2)
	v_add_co_ci_u32_e32 v2, vcc_lo, s13, v2, vcc_lo
	v_add_co_u32 v1, vcc_lo, v1, v65
	s_delay_alu instid0(VALU_DEP_2)
	v_add_co_ci_u32_e32 v2, vcc_lo, 0, v2, vcc_lo
	global_load_b128 v[1:4], v[1:2], off
	s_waitcnt vmcnt(0)
	ds_store_b128 v5, v[1:4]
.LBB1317_10:
	s_or_b32 exec_lo, exec_lo, s7
	v_and_b32_e32 v1, 0xef, v0
	s_add_i32 s4, s17, 31
	s_clause 0x1
	s_load_b32 s7, s[0:1], 0x38
	s_load_b32 s33, s[0:1], 0x98
	s_ashr_i32 s13, s4, 31
	v_add_nc_u32_e32 v1, s12, v1
	s_lshr_b32 s13, s13, 27
	s_load_b32 s18, s[0:1], 0x1c
	s_add_i32 s4, s4, s13
	s_waitcnt lgkmcnt(0)
	v_ashrrev_i32_e32 v2, 31, v1
	v_or_b32_e32 v3, 16, v1
	s_ashr_i32 s4, s4, 5
	v_cmp_gt_i32_e32 vcc_lo, s17, v1
	s_add_i32 s4, s4, -1
	v_lshrrev_b32_e32 v2, 27, v2
	s_barrier
	buffer_gl0_inv
	s_mul_i32 s15, s15, s6
	v_add_nc_u32_e32 v4, v1, v2
	s_mul_i32 s20, s30, s7
	s_delay_alu instid0(SALU_CYCLE_1) | instskip(NEXT) | instid1(VALU_DEP_1)
	s_ashr_i32 s21, s20, 31
	v_ashrrev_i32_e32 v4, 5, v4
	v_add_nc_u32_e32 v2, v3, v2
	s_lshl_b64 s[20:21], s[20:21], 2
	s_delay_alu instid0(SALU_CYCLE_1) | instskip(NEXT) | instid1(VALU_DEP_2)
	s_add_u32 s13, s2, s20
	v_cndmask_b32_e32 v1, s4, v4, vcc_lo
	s_delay_alu instid0(VALU_DEP_2)
	v_ashrrev_i32_e32 v2, 5, v2
	v_cmp_gt_i32_e32 vcc_lo, s17, v3
	s_addc_u32 s16, s3, s21
	s_ashr_i32 s19, s15, 31
	s_add_u32 s2, s8, s15
	s_addc_u32 s3, s9, s19
	v_cndmask_b32_e32 v3, s4, v2, vcc_lo
	v_ashrrev_i32_e32 v2, 31, v1
	s_lshl_b32 s6, s14, 3
	s_delay_alu instid0(SALU_CYCLE_1) | instskip(NEXT) | instid1(VALU_DEP_2)
	s_ashr_i32 s7, s6, 31
	v_ashrrev_i32_e32 v4, 31, v3
	s_delay_alu instid0(VALU_DEP_2) | instskip(SKIP_1) | instid1(SALU_CYCLE_1)
	v_lshlrev_b64 v[1:2], 2, v[1:2]
	s_lshl_b64 s[6:7], s[6:7], 2
	s_add_u32 s6, s13, s6
	s_delay_alu instid0(VALU_DEP_2) | instskip(SKIP_1) | instid1(VALU_DEP_2)
	v_lshlrev_b64 v[3:4], 2, v[3:4]
	s_addc_u32 s7, s16, s7
	v_add_co_u32 v1, vcc_lo, s13, v1
	v_add_co_ci_u32_e32 v2, vcc_lo, s16, v2, vcc_lo
	s_delay_alu instid0(VALU_DEP_3) | instskip(NEXT) | instid1(VALU_DEP_4)
	v_add_co_u32 v3, vcc_lo, s13, v3
	v_add_co_ci_u32_e32 v4, vcc_lo, s16, v4, vcc_lo
	s_clause 0x1
	global_load_b32 v5, v[1:2], off
	global_load_b32 v6, v[3:4], off
	s_or_b32 s8, s12, 32
	s_delay_alu instid0(SALU_CYCLE_1) | instskip(SKIP_2) | instid1(SALU_CYCLE_1)
	s_ashr_i32 s9, s8, 5
	s_cmp_lt_i32 s8, s17
	s_cselect_b32 s8, s9, s4
	s_ashr_i32 s9, s8, 31
	s_delay_alu instid0(SALU_CYCLE_1) | instskip(NEXT) | instid1(SALU_CYCLE_1)
	s_lshl_b64 s[8:9], s[8:9], 2
	s_add_u32 s8, s13, s8
	s_addc_u32 s9, s16, s9
	s_or_b32 s20, s12, 64
	s_delay_alu instid0(SALU_CYCLE_1) | instskip(SKIP_2) | instid1(SALU_CYCLE_1)
	s_ashr_i32 s21, s20, 5
	s_cmp_lt_i32 s20, s17
	s_cselect_b32 s20, s21, s4
	s_ashr_i32 s21, s20, 31
	s_delay_alu instid0(SALU_CYCLE_1) | instskip(NEXT) | instid1(SALU_CYCLE_1)
	s_lshl_b64 s[20:21], s[20:21], 2
	s_add_u32 s20, s13, s20
	s_addc_u32 s21, s16, s21
	;; [unrolled: 10-line block ×5, first 2 shown]
	s_clause 0x5
	s_load_b32 s28, s[6:7], 0x0
	s_load_b32 s8, s[8:9], 0x0
	;; [unrolled: 1-line block ×6, first 2 shown]
	s_mov_b32 s20, 0
	s_delay_alu instid0(SALU_CYCLE_1)
	s_mov_b32 s21, s20
	s_mov_b32 s22, s20
	;; [unrolled: 1-line block ×7, first 2 shown]
	s_delay_alu instid0(SALU_CYCLE_1)
	v_dual_mov_b32 v102, s27 :: v_dual_mov_b32 v101, s26
	v_dual_mov_b32 v100, s25 :: v_dual_mov_b32 v99, s24
	v_mov_b32_e32 v97, s22
	v_dual_mov_b32 v95, s20 :: v_dual_mov_b32 v98, s23
	v_mov_b32_e32 v96, s21
	s_waitcnt vmcnt(1)
	v_mad_i64_i32 v[1:2], null, v5, s5, s[2:3]
	v_lshlrev_b32_e32 v5, 4, v69
	s_waitcnt vmcnt(0)
	v_mad_i64_i32 v[3:4], null, v6, s5, s[2:3]
	s_or_b32 s2, s12, 0xc0
	s_delay_alu instid0(SALU_CYCLE_1) | instskip(NEXT) | instid1(VALU_DEP_3)
	s_ashr_i32 s3, s2, 5
	v_add_co_u32 v33, vcc_lo, v1, v5
	s_delay_alu instid0(VALU_DEP_4) | instskip(NEXT) | instid1(VALU_DEP_3)
	v_add_co_ci_u32_e32 v34, vcc_lo, 0, v2, vcc_lo
	v_add_co_u32 v35, vcc_lo, v3, v5
	s_delay_alu instid0(VALU_DEP_4)
	v_add_co_ci_u32_e32 v36, vcc_lo, 0, v4, vcc_lo
	s_clause 0xf
	global_load_b128 v[1:4], v[33:34], off
	global_load_b128 v[5:8], v[33:34], off offset:512
	global_load_b128 v[9:12], v[35:36], off offset:256
	;; [unrolled: 1-line block ×15, first 2 shown]
	s_cmp_lt_i32 s2, s17
	v_and_b32_e32 v33, 7, v0
	s_cselect_b32 s2, s3, s4
	v_lshlrev_b32_e32 v34, 5, v69
	s_ashr_i32 s3, s2, 31
	s_delay_alu instid0(SALU_CYCLE_1)
	s_lshl_b64 s[2:3], s[2:3], 2
	v_lshlrev_b32_e32 v139, 6, v33
	s_add_u32 s2, s13, s2
	s_addc_u32 s3, s16, s3
	s_or_b32 s6, s12, 0xe0
	v_lshl_or_b32 v41, v68, 9, v34
	s_ashr_i32 s7, s6, 5
	s_cmp_lt_i32 s6, s17
	ds_load_b128 v[33:36], v139
	ds_load_b128 v[37:40], v139 offset:1024
	s_cselect_b32 s6, s7, s4
	ds_load_b128 v[103:106], v139 offset:2048
	ds_load_b128 v[107:110], v139 offset:3072
	s_ashr_i32 s7, s6, 31
	s_load_b32 s4, s[2:3], 0x0
	s_lshl_b64 s[6:7], s[6:7], 2
	ds_load_b128 v[111:114], v139 offset:4096
	ds_load_b128 v[115:118], v139 offset:5120
	s_add_u32 s2, s13, s6
	s_addc_u32 s3, s16, s7
	s_add_u32 s6, s10, s15
	s_load_b32 s2, s[2:3], 0x0
	s_addc_u32 s7, s11, s19
	v_add_co_u32 v127, s6, s6, v41
	s_delay_alu instid0(VALU_DEP_1) | instskip(SKIP_1) | instid1(VALU_DEP_1)
	v_add_co_ci_u32_e64 v128, null, s7, 0, s6
	s_waitcnt lgkmcnt(0)
	v_mad_i64_i32 v[41:42], null, s28, s5, v[127:128]
	v_mad_i64_i32 v[129:130], null, s9, s5, v[127:128]
	;; [unrolled: 1-line block ×7, first 2 shown]
	s_clause 0x3
	global_load_b128 v[49:52], v[41:42], off
	global_load_b128 v[53:56], v[41:42], off offset:16
	global_load_b128 v[41:44], v[45:46], off
	global_load_b128 v[45:48], v[45:46], off offset:16
	s_waitcnt vmcnt(18)
	v_wmma_f32_16x16x16_f16 v[119:126], v[1:8], v[33:40], v[95:102]
	s_waitcnt vmcnt(16)
	v_wmma_f32_16x16x16_f16 v[95:102], v[9:16], v[33:40], v[95:102]
	s_clause 0x3
	global_load_b128 v[33:36], v[129:130], off
	global_load_b128 v[37:40], v[129:130], off offset:16
	global_load_b128 v[1:4], v[131:132], off
	global_load_b128 v[5:8], v[131:132], off offset:16
	s_waitcnt vmcnt(18)
	v_wmma_f32_16x16x16_f16 v[119:126], v[17:24], v[103:110], v[119:126]
	s_clause 0x3
	global_load_b128 v[9:12], v[133:134], off
	global_load_b128 v[13:16], v[133:134], off offset:16
	global_load_b128 v[17:20], v[135:136], off
	global_load_b128 v[21:24], v[135:136], off offset:16
	s_waitcnt vmcnt(20)
	v_wmma_f32_16x16x16_f16 v[95:102], v[25:32], v[103:110], v[95:102]
	v_mad_i64_i32 v[103:104], null, s2, s5, v[127:128]
	s_waitcnt vmcnt(18)
	v_wmma_f32_16x16x16_f16 v[119:126], v[57:64], v[111:118], v[119:126]
	s_clause 0x3
	global_load_b128 v[25:28], v[137:138], off
	global_load_b128 v[29:32], v[137:138], off offset:16
	global_load_b128 v[57:60], v[103:104], off
	global_load_b128 v[61:64], v[103:104], off offset:16
	s_waitcnt vmcnt(20)
	v_wmma_f32_16x16x16_f16 v[95:102], v[71:78], v[111:118], v[95:102]
	ds_load_b128 v[71:74], v139 offset:6144
	ds_load_b128 v[75:78], v139 offset:7168
	v_mbcnt_lo_u32_b32 v104, -1, 0
	s_waitcnt vmcnt(0) lgkmcnt(0)
	s_barrier
	buffer_gl0_inv
	v_xor_b32_e32 v105, 16, v104
	s_delay_alu instid0(VALU_DEP_1) | instskip(SKIP_4) | instid1(VALU_DEP_2)
	v_cmp_gt_i32_e32 vcc_lo, 32, v105
	v_cndmask_b32_e32 v104, v104, v105, vcc_lo
	v_wmma_f32_16x16x16_f16 v[119:126], v[79:86], v[71:78], v[119:126]
	v_and_b32_e32 v103, 0xe0, v0
	v_wmma_f32_16x16x16_f16 v[95:102], v[87:94], v[71:78], v[95:102]
	v_dual_mul_f32 v78, s18, v121 :: v_dual_add_nc_u32 v103, s12, v103
	s_delay_alu instid0(VALU_DEP_2) | instskip(SKIP_1) | instid1(VALU_DEP_3)
	v_dual_mul_f32 v90, s18, v101 :: v_dual_mul_f32 v87, s18, v120
	v_dual_mul_f32 v88, s18, v119 :: v_dual_mul_f32 v77, s18, v122
	v_or_b32_e32 v103, v103, v66
	v_dual_mul_f32 v75, s18, v124 :: v_dual_mul_f32 v94, s18, v97
	v_dual_mul_f32 v76, s18, v123 :: v_dual_mul_f32 v73, s18, v126
	v_mul_f32_e32 v92, s18, v99
	s_delay_alu instid0(VALU_DEP_4)
	v_or_b32_e32 v105, 2, v103
	v_or_b32_e32 v106, 4, v103
	;; [unrolled: 1-line block ×3, first 2 shown]
	v_cmp_gt_i32_e64 s2, s17, v103
	v_or_b32_e32 v108, 8, v103
	v_cmp_gt_i32_e32 vcc_lo, s17, v105
	v_or_b32_e32 v109, 10, v103
	v_cmp_gt_i32_e64 s3, s17, v106
	v_cndmask_b32_e64 v88, 0xff7fffff, v88, s2
	v_cmp_gt_i32_e64 s4, s17, v107
	v_cndmask_b32_e32 v87, 0xff7fffff, v87, vcc_lo
	v_or_b32_e32 v79, 12, v103
	v_or_b32_e32 v80, 14, v103
	v_cndmask_b32_e64 v78, 0xff7fffff, v78, s3
	v_cndmask_b32_e64 v77, 0xff7fffff, v77, s4
	v_max3_f32 v87, v88, 0xff7fffff, v87
	v_cmp_gt_i32_e64 s5, s17, v108
	v_cmp_gt_i32_e64 s6, s17, v109
	v_or_b32_e32 v81, 16, v103
	v_or_b32_e32 v82, 18, v103
	v_mul_f32_e32 v74, s18, v125
	v_cndmask_b32_e64 v76, 0xff7fffff, v76, s5
	v_cndmask_b32_e64 v75, 0xff7fffff, v75, s6
	v_max3_f32 v77, v87, v78, v77
	v_cmp_gt_i32_e64 s7, s17, v79
	v_cmp_gt_i32_e64 s8, s17, v80
	v_or_b32_e32 v83, 20, v103
	v_or_b32_e32 v84, 22, v103
	;; [unrolled: 1-line block ×6, first 2 shown]
	v_mul_f32_e32 v105, s18, v96
	v_mul_f32_e32 v103, s18, v95
	v_cndmask_b32_e64 v74, 0xff7fffff, v74, s7
	v_cndmask_b32_e64 v73, 0xff7fffff, v73, s8
	v_max3_f32 v75, v77, v76, v75
	v_cmp_gt_i32_e64 s9, s17, v81
	v_cmp_gt_i32_e64 s10, s17, v82
	v_mul_f32_e32 v93, s18, v98
	v_cmp_gt_i32_e64 s11, s17, v83
	v_max3_f32 v73, v75, v74, v73
	v_cndmask_b32_e64 v76, 0xff7fffff, v103, s9
	v_cndmask_b32_e64 v77, 0xff7fffff, v105, s10
	v_cmp_gt_i32_e64 s12, s17, v84
	v_mul_f32_e32 v91, s18, v100
	v_cndmask_b32_e64 v74, 0xff7fffff, v94, s11
	v_cmp_gt_i32_e64 s13, s17, v85
	v_max3_f32 v73, v73, v76, v77
	v_cndmask_b32_e64 v75, 0xff7fffff, v93, s12
	v_cmp_gt_i32_e64 s15, s17, v86
	v_mul_f32_e32 v89, s18, v102
	v_cndmask_b32_e64 v76, 0xff7fffff, v92, s13
	v_cmp_gt_i32_e64 s16, s17, v71
	v_max3_f32 v73, v73, v74, v75
	v_cndmask_b32_e64 v77, 0xff7fffff, v91, s15
	v_cmp_gt_i32_e64 s17, s17, v72
	v_lshlrev_b32_e32 v74, 2, v104
	v_cndmask_b32_e64 v71, 0xff7fffff, v90, s16
	s_delay_alu instid0(VALU_DEP_4) | instskip(NEXT) | instid1(VALU_DEP_4)
	v_max3_f32 v73, v73, v76, v77
	v_cndmask_b32_e64 v72, 0xff7fffff, v89, s17
	s_delay_alu instid0(VALU_DEP_1) | instskip(SKIP_3) | instid1(VALU_DEP_1)
	v_max3_f32 v71, v73, v71, v72
	ds_bpermute_b32 v72, v74, v71
	s_waitcnt lgkmcnt(0)
	v_max_f32_e32 v72, v72, v72
	v_max_f32_e32 v71, v71, v72
	s_delay_alu instid0(VALU_DEP_1)
	v_fma_f32 v72, s18, v119, -v71
	v_fma_f32 v76, s18, v122, -v71
	;; [unrolled: 1-line block ×5, first 2 shown]
	v_mul_f32_e32 v72, 0x3fb8aa3b, v72
	v_mul_f32_e32 v76, 0x3fb8aa3b, v76
	v_fma_f32 v75, s18, v121, -v71
	v_mul_f32_e32 v79, 0x3fb8aa3b, v77
	v_mul_f32_e32 v85, 0x3fb8aa3b, v84
	v_exp_f32_e32 v72, v72
	v_exp_f32_e32 v76, v76
	v_fma_f32 v86, s18, v98, -v71
	v_exp_f32_e32 v82, v79
	v_exp_f32_e32 v85, v85
	v_fma_f32 v81, s18, v125, -v71
	s_delay_alu instid0(VALU_DEP_2) | instskip(SKIP_3) | instid1(TRANS32_DEP_3)
	v_mul_f32_e32 v87, 0x3fb8aa3b, v86
	v_cndmask_b32_e64 v78, 0, v72, s2
	v_fma_f32 v72, s18, v124, -v71
	v_mul_f32_e32 v73, 0x3fb8aa3b, v73
	v_cndmask_b32_e64 v79, 0, v76, s4
	v_fma_f32 v76, s18, v95, -v71
	s_delay_alu instid0(VALU_DEP_4) | instskip(NEXT) | instid1(VALU_DEP_4)
	v_dual_mul_f32 v75, 0x3fb8aa3b, v75 :: v_dual_mul_f32 v72, 0x3fb8aa3b, v72
	v_exp_f32_e32 v73, v73
	v_exp_f32_e32 v87, v87
	s_delay_alu instid0(VALU_DEP_2) | instskip(NEXT) | instid1(VALU_DEP_2)
	v_mul_f32_e32 v76, 0x3fb8aa3b, v76
	v_exp_f32_e32 v75, v75
	v_cndmask_b32_e64 v85, 0, v85, s10
	v_mul_f32_e32 v81, 0x3fb8aa3b, v81
	v_exp_f32_e32 v72, v72
	v_cndmask_b32_e64 v82, 0, v82, s5
	v_exp_f32_e32 v76, v76
	s_mov_b32 s2, exec_lo
	v_cndmask_b32_e32 v77, 0, v73, vcc_lo
	v_add_f32_e32 v73, 0, v78
	v_cndmask_b32_e64 v87, 0, v87, s12
	v_cndmask_b32_e64 v80, 0, v75, s3
	v_fma_f32 v75, s18, v126, -v71
	v_exp_f32_e32 v83, v81
	v_add_f32_e32 v73, v73, v77
	v_cndmask_b32_e64 v81, 0, v72, s6
	v_cndmask_b32_e64 v86, 0, v76, s9
	v_mul_f32_e32 v75, 0x3fb8aa3b, v75
	s_delay_alu instid0(VALU_DEP_4) | instskip(NEXT) | instid1(VALU_DEP_2)
	v_add_f32_e32 v73, v73, v80
	v_exp_f32_e32 v75, v75
	s_delay_alu instid0(TRANS32_DEP_2) | instskip(NEXT) | instid1(VALU_DEP_2)
	v_cndmask_b32_e64 v84, 0, v83, s7
	v_add_f32_e32 v73, v73, v79
	s_delay_alu instid0(VALU_DEP_1) | instskip(SKIP_3) | instid1(VALU_DEP_1)
	v_add_f32_e32 v72, v73, v82
	s_waitcnt_depctr 0xfff
	v_cndmask_b32_e64 v83, 0, v75, s8
	v_add_f32_e32 v72, v72, v81
	v_add_f32_e32 v72, v72, v84
	s_delay_alu instid0(VALU_DEP_1) | instskip(NEXT) | instid1(VALU_DEP_1)
	v_add_f32_e32 v72, v72, v83
	v_add_f32_e32 v72, v72, v86
	v_fma_f32 v73, s18, v97, -v71
	v_fma_f32 v75, s18, v99, -v71
	;; [unrolled: 1-line block ×4, first 2 shown]
	v_add_f32_e32 v72, v72, v85
	v_mul_f32_e32 v73, 0x3fb8aa3b, v73
	s_delay_alu instid0(VALU_DEP_4) | instskip(NEXT) | instid1(VALU_DEP_2)
	v_dual_mul_f32 v75, 0x3fb8aa3b, v75 :: v_dual_mul_f32 v76, 0x3fb8aa3b, v76
	v_exp_f32_e32 v73, v73
	s_delay_alu instid0(VALU_DEP_1) | instskip(NEXT) | instid1(VALU_DEP_1)
	v_exp_f32_e32 v75, v75
	v_exp_f32_e32 v76, v76
	s_delay_alu instid0(TRANS32_DEP_3)
	v_cndmask_b32_e64 v88, 0, v73, s11
	v_mul_f32_e32 v73, 0x3fb8aa3b, v89
	v_fma_f32 v89, s18, v102, -v71
	s_waitcnt_depctr 0xfff
	v_cndmask_b32_e64 v90, 0, v75, s13
	v_add_f32_e32 v72, v72, v88
	v_exp_f32_e32 v73, v73
	v_mul_f32_e32 v75, 0x3fb8aa3b, v89
	v_cndmask_b32_e64 v89, 0, v76, s15
	s_delay_alu instid0(VALU_DEP_3) | instskip(NEXT) | instid1(VALU_DEP_3)
	v_add_f32_e32 v72, v72, v87
	v_exp_f32_e32 v75, v75
	s_delay_alu instid0(VALU_DEP_1) | instskip(SKIP_4) | instid1(VALU_DEP_2)
	v_add_f32_e32 v72, v72, v90
	s_waitcnt_depctr 0xfff
	v_cndmask_b32_e64 v92, 0, v73, s16
	v_add_f32_e32 v72, v72, v89
	v_cndmask_b32_e64 v91, 0, v75, s17
	v_add_f32_e32 v72, v72, v92
	s_delay_alu instid0(VALU_DEP_1)
	v_add_f32_e32 v72, v72, v91
	ds_bpermute_b32 v73, v74, v72
	v_cmpx_gt_u32_e32 16, v70
	s_cbranch_execz .LBB1317_12
; %bb.11:
	v_mul_u32_u24_e32 v70, 0x44, v68
	s_waitcnt lgkmcnt(0)
	v_add_f32_e32 v72, v72, v73
	s_delay_alu instid0(VALU_DEP_2) | instskip(NEXT) | instid1(VALU_DEP_1)
	v_lshl_add_u32 v70, v69, 2, v70
	v_add_nc_u32_e32 v70, 0x4000, v70
	ds_store_2addr_b32 v70, v71, v72 offset1:136
.LBB1317_12:
	s_or_b32 exec_lo, exec_lo, s2
	v_lshlrev_b32_e32 v70, 2, v69
	s_load_b32 s34, s[0:1], 0x94
	s_waitcnt lgkmcnt(0)
	s_barrier
	buffer_gl0_inv
	v_add_nc_u32_e32 v74, 0x4000, v70
	v_cmp_eq_u32_e32 vcc_lo, 1, v68
	v_cmp_eq_u32_e64 s2, 2, v68
	v_cmp_eq_u32_e64 s3, 3, v68
	;; [unrolled: 1-line block ×3, first 2 shown]
	ds_load_2addr_b32 v[70:71], v74 offset1:17
	ds_load_2addr_b32 v[72:73], v74 offset0:34 offset1:51
	ds_load_2addr_b32 v[93:94], v74 offset0:68 offset1:85
	;; [unrolled: 1-line block ×3, first 2 shown]
	v_cmp_eq_u32_e64 s5, 5, v68
	v_cmp_eq_u32_e64 s6, 7, v68
	s_waitcnt lgkmcnt(3)
	v_max3_f32 v75, v70, 0xff7fffff, v71
	s_waitcnt lgkmcnt(2)
	s_delay_alu instid0(VALU_DEP_1) | instskip(SKIP_1) | instid1(VALU_DEP_1)
	v_max3_f32 v75, v75, v72, v73
	s_waitcnt lgkmcnt(1)
	v_max3_f32 v75, v75, v93, v94
	s_waitcnt lgkmcnt(0)
	s_delay_alu instid0(VALU_DEP_1) | instskip(NEXT) | instid1(VALU_DEP_1)
	v_max3_f32 v75, v75, v95, v96
	v_sub_f32_e32 v93, v93, v75
	ds_load_2addr_b32 v[97:98], v74 offset0:136 offset1:153
	v_sub_f32_e32 v70, v70, v75
	v_dual_sub_f32 v100, v73, v75 :: v_dual_mul_f32 v103, 0x3fb8aa3b, v93
	s_delay_alu instid0(VALU_DEP_2) | instskip(SKIP_3) | instid1(VALU_DEP_1)
	v_dual_sub_f32 v76, v71, v75 :: v_dual_mul_f32 v99, 0x3fb8aa3b, v70
	ds_load_2addr_b32 v[70:71], v74 offset0:170 offset1:187
	v_mul_f32_e32 v76, 0x3fb8aa3b, v76
	v_exp_f32_e32 v99, v99
	v_exp_f32_e32 v102, v76
	v_mul_f32_e32 v100, 0x3fb8aa3b, v100
	s_waitcnt lgkmcnt(1)
	s_waitcnt_depctr 0xfff
	v_fma_f32 v76, v99, v97, 0
	v_sub_f32_e32 v97, v94, v75
	v_sub_f32_e32 v72, v72, v75
	v_exp_f32_e32 v100, v100
	ds_load_2addr_b32 v[93:94], v74 offset0:238 offset1:255
	v_dual_fmac_f32 v76, v102, v98 :: v_dual_mul_f32 v101, 0x3fb8aa3b, v72
	ds_load_2addr_b32 v[72:73], v74 offset0:204 offset1:221
	v_dual_sub_f32 v74, v95, v75 :: v_dual_mul_f32 v95, 0x3fb8aa3b, v97
	v_exp_f32_e32 v97, v103
	v_exp_f32_e32 v101, v101
	s_waitcnt lgkmcnt(0)
	s_barrier
	v_exp_f32_e32 v95, v95
	buffer_gl0_inv
	v_fmac_f32_e32 v76, v101, v70
	v_sub_f32_e32 v70, v96, v75
	s_delay_alu instid0(VALU_DEP_2) | instskip(NEXT) | instid1(VALU_DEP_2)
	v_fmac_f32_e32 v76, v100, v71
	v_mul_f32_e32 v70, 0x3fb8aa3b, v70
	s_delay_alu instid0(VALU_DEP_2)
	v_dual_cndmask_b32 v71, v99, v102 :: v_dual_fmac_f32 v76, v97, v72
	v_lshlrev_b32_e32 v72, 6, v69
	v_lshlrev_b32_e32 v69, 2, v66
	v_mul_f32_e32 v74, 0x3fb8aa3b, v74
	v_exp_f32_e32 v98, v70
	v_fmac_f32_e32 v76, v95, v73
	s_delay_alu instid0(VALU_DEP_3) | instskip(NEXT) | instid1(VALU_DEP_3)
	v_cmp_eq_u32_e64 s7, 7, v69
	v_exp_f32_e32 v96, v74
	v_lshl_or_b32 v74, v68, 11, v72
	s_waitcnt_depctr 0xfff
	v_fmac_f32_e32 v76, v96, v93
	s_delay_alu instid0(VALU_DEP_1) | instskip(NEXT) | instid1(VALU_DEP_1)
	v_fmac_f32_e32 v76, v98, v94
	v_add_f32_e32 v73, 0x358637bd, v76
	s_delay_alu instid0(VALU_DEP_1) | instskip(SKIP_1) | instid1(VALU_DEP_2)
	v_div_scale_f32 v93, null, v73, v73, 1.0
	v_div_scale_f32 v99, vcc_lo, 1.0, v73, 1.0
	v_rcp_f32_e32 v94, v93
	s_waitcnt_depctr 0xfff
	v_fma_f32 v70, -v93, v94, 1.0
	s_delay_alu instid0(VALU_DEP_1)
	v_fmac_f32_e32 v94, v70, v94
	v_cndmask_b32_e64 v70, v71, v101, s2
	v_cmp_eq_u32_e64 s2, 6, v68
	v_or_b32_e32 v71, 1, v69
	v_or_b32_e32 v68, 2, v69
	v_mul_f32_e32 v101, v99, v94
	v_cndmask_b32_e64 v70, v70, v100, s3
	v_cmp_eq_u32_e64 s3, 1, v69
	v_cmp_eq_u32_e64 s8, 1, v71
	;; [unrolled: 1-line block ×3, first 2 shown]
	v_fma_f32 v100, -v93, v101, v99
	v_cndmask_b32_e64 v70, v70, v97, s4
	v_cmp_eq_u32_e64 s4, 2, v69
	v_cmp_eq_u32_e64 s11, 2, v71
	;; [unrolled: 1-line block ×3, first 2 shown]
	v_fmac_f32_e32 v101, v100, v94
	v_cndmask_b32_e64 v95, v70, v95, s5
	v_or_b32_e32 v70, 3, v69
	v_cmp_eq_u32_e64 s12, 3, v71
	v_cmp_eq_u32_e64 s16, 3, v68
	v_fma_f32 v93, -v93, v101, v99
	v_cndmask_b32_e64 v95, v95, v96, s2
	v_cmp_eq_u32_e64 s10, 1, v70
	v_cmp_eq_u32_e64 s15, 2, v70
	v_cmp_eq_u32_e64 s17, 3, v70
	v_div_fmas_f32 v93, v93, v94, v101
	v_cndmask_b32_e64 v94, v95, v98, s6
	v_cmp_eq_u32_e32 vcc_lo, 3, v69
	v_cmp_eq_u32_e64 s2, 4, v69
	v_cmp_eq_u32_e64 s18, 4, v71
	v_div_fixup_f32 v93, v93, v73, 1.0
	v_lshl_or_b32 v73, v66, 4, v74
	v_cmp_eq_u32_e64 s21, 4, v70
	v_cmp_eq_u32_e64 s5, 5, v69
	;; [unrolled: 1-line block ×3, first 2 shown]
	v_mul_f32_e32 v101, v94, v93
	v_cmp_eq_u32_e64 s20, 4, v68
	v_cmp_eq_u32_e64 s23, 5, v70
	;; [unrolled: 1-line block ×4, first 2 shown]
	v_fma_mixlo_f16 v93, v101, v78, 0
	v_fma_mixlo_f16 v94, v101, v80, 0
	;; [unrolled: 1-line block ×8, first 2 shown]
	v_fma_mixhi_f16 v93, v101, v77, 0
	v_fma_mixhi_f16 v94, v101, v79, 0
	v_fma_mixhi_f16 v95, v101, v81, 0
	v_fma_mixhi_f16 v96, v101, v83, 0
	v_fma_mixhi_f16 v97, v101, v85, 0
	v_fma_mixhi_f16 v98, v101, v87, 0
	v_fma_mixhi_f16 v99, v101, v89, 0
	v_fma_mixhi_f16 v100, v101, v91, 0
	ds_store_b128 v73, v[93:96]
	ds_store_b128 v73, v[97:100] offset:1024
	s_waitcnt lgkmcnt(0)
	s_barrier
	buffer_gl0_inv
	ds_load_b128 v[77:80], v74
	ds_load_b128 v[81:84], v74 offset:16
	ds_load_b128 v[85:88], v74 offset:1024
	;; [unrolled: 1-line block ×3, first 2 shown]
	v_cmp_eq_u32_e64 s26, 6, v70
	v_cmp_eq_u32_e64 s6, 6, v69
	;; [unrolled: 1-line block ×6, first 2 shown]
	s_waitcnt lgkmcnt(3)
	v_lshrrev_b32_e32 v93, 16, v77
	s_waitcnt lgkmcnt(2)
	v_lshrrev_b32_e32 v97, 16, v81
	;; [unrolled: 2-line block ×4, first 2 shown]
	v_lshrrev_b32_e32 v94, 16, v78
	v_cndmask_b32_e64 v109, v77, v93, s3
	v_cndmask_b32_e64 v110, v81, v97, s3
	;; [unrolled: 1-line block ×8, first 2 shown]
	v_lshrrev_b32_e32 v98, 16, v82
	v_cndmask_b32_e64 v93, v85, v101, s3
	v_cndmask_b32_e64 v97, v89, v105, s3
	;; [unrolled: 1-line block ×15, first 2 shown]
	v_lshrrev_b32_e32 v102, 16, v86
	v_lshrrev_b32_e32 v106, 16, v90
	v_cndmask_b32_e64 v112, v114, v82, s13
	v_cndmask_b32_e64 v81, v93, v86, s4
	;; [unrolled: 1-line block ×7, first 2 shown]
	v_cndmask_b32_e32 v89, v101, v94, vcc_lo
	v_cndmask_b32_e32 v101, v105, v98, vcc_lo
	v_cndmask_b32_e64 v105, v109, v94, s12
	v_cndmask_b32_e64 v109, v110, v98, s12
	;; [unrolled: 1-line block ×4, first 2 shown]
	v_lshrrev_b32_e32 v95, 16, v79
	v_lshrrev_b32_e32 v99, 16, v83
	v_cndmask_b32_e64 v110, v111, v94, s16
	v_cndmask_b32_e64 v111, v112, v98, s16
	v_cndmask_b32_e32 v81, v81, v102, vcc_lo
	v_cndmask_b32_e32 v82, v82, v106, vcc_lo
	v_cndmask_b32_e64 v93, v93, v102, s12
	v_cndmask_b32_e64 v89, v89, v79, s2
	;; [unrolled: 1-line block ×7, first 2 shown]
	v_lshrrev_b32_e32 v103, 16, v87
	v_cndmask_b32_e64 v105, v110, v79, s20
	v_cndmask_b32_e64 v109, v111, v83, s20
	;; [unrolled: 1-line block ×11, first 2 shown]
	v_lshrrev_b32_e32 v96, 16, v80
	v_lshrrev_b32_e32 v100, 16, v84
	v_cndmask_b32_e64 v98, v105, v95, s22
	v_cndmask_b32_e64 v101, v109, v99, s22
	;; [unrolled: 1-line block ×7, first 2 shown]
	v_lshrrev_b32_e32 v104, 16, v88
	v_cndmask_b32_e64 v79, v79, v103, s5
	v_cndmask_b32_e64 v83, v83, v80, s6
	;; [unrolled: 1-line block ×16, first 2 shown]
	v_perm_b32 v80, v78, v77, 0x5040100
	v_perm_b32 v78, v94, v84, 0x5040100
	v_cndmask_b32_e64 v77, v118, v90, s13
	v_cndmask_b32_e64 v84, v116, v90, s11
	v_cndmask_b32_e64 v95, v79, v104, s7
	v_perm_b32 v79, v93, v89, 0x5040100
	v_cndmask_b32_e64 v89, v97, v102, s16
	v_cndmask_b32_e64 v85, v85, v102, s17
	;; [unrolled: 1-line block ×5, first 2 shown]
	v_lshrrev_b32_e32 v107, 16, v91
	v_cndmask_b32_e64 v89, v89, v87, s20
	v_cndmask_b32_e64 v85, v85, v87, s21
	;; [unrolled: 1-line block ×11, first 2 shown]
	v_lshrrev_b32_e32 v108, 16, v92
	v_cndmask_b32_e64 v81, v81, v92, s6
	v_cndmask_b32_e64 v87, v87, v88, s25
	;; [unrolled: 1-line block ×12, first 2 shown]
	v_perm_b32 v77, v83, v82, 0x5040100
	v_perm_b32 v84, v86, v85, 0x5040100
	;; [unrolled: 1-line block ×5, first 2 shown]
	s_lshl_b32 s7, s33, 3
	s_mov_b32 s2, exec_lo
	ds_store_b128 v73, v[77:80]
	ds_store_b128 v73, v[81:84] offset:1024
	v_cmpx_gt_u32_e32 8, v0
	s_cbranch_execz .LBB1317_14
; %bb.13:
	v_or_b32_e32 v77, s31, v0
	s_load_b128 s[8:11], s[0:1], 0x58
	s_delay_alu instid0(VALU_DEP_1) | instskip(NEXT) | instid1(VALU_DEP_1)
	v_mad_u64_u32 v[78:79], null, s7, s30, v[77:78]
	v_mad_u64_u32 v[79:80], null, v78, s34, s[14:15]
	s_delay_alu instid0(VALU_DEP_1) | instskip(NEXT) | instid1(VALU_DEP_1)
	v_ashrrev_i32_e32 v80, 31, v79
	v_lshlrev_b64 v[77:78], 2, v[79:80]
	s_waitcnt lgkmcnt(0)
	s_delay_alu instid0(VALU_DEP_1) | instskip(NEXT) | instid1(VALU_DEP_2)
	v_add_co_u32 v79, vcc_lo, s10, v77
	v_add_co_ci_u32_e32 v80, vcc_lo, s11, v78, vcc_lo
	v_add_co_u32 v77, vcc_lo, s8, v77
	v_add_co_ci_u32_e32 v78, vcc_lo, s9, v78, vcc_lo
	global_store_b32 v[79:80], v75, off
	global_store_b32 v[77:78], v76, off
.LBB1317_14:
	s_or_b32 exec_lo, exec_lo, s2
	s_waitcnt lgkmcnt(0)
	s_waitcnt_vscnt null, 0x0
	s_barrier
	buffer_gl0_inv
	ds_load_b128 v[83:86], v72
	ds_load_b128 v[87:90], v72 offset:16
	ds_load_b128 v[95:98], v72 offset:2064
	;; [unrolled: 1-line block ×5, first 2 shown]
	v_cmp_eq_u32_e32 vcc_lo, 1, v69
	v_mov_b32_e32 v75, 0
	ds_load_b128 v[111:114], v72 offset:6160
	ds_load_b128 v[107:110], v72 offset:6144
	;; [unrolled: 1-line block ×4, first 2 shown]
	v_cmp_eq_u32_e64 s3, 1, v68
	v_cmp_eq_u32_e64 s2, 1, v71
	v_cmp_eq_u32_e64 s4, 2, v71
	v_mov_b32_e32 v76, v75
	v_mov_b32_e32 v77, v75
	;; [unrolled: 1-line block ×7, first 2 shown]
	v_cmp_eq_u32_e64 s5, 3, v71
	v_cmp_eq_u32_e64 s6, 7, v71
	s_waitcnt lgkmcnt(8)
	s_delay_alu instid0(VALU_DEP_3)
	v_wmma_f32_16x16x16_f16 v[75:82], v[49:56], v[83:90], v[75:82]
	ds_load_b128 v[53:56], v72 offset:10256
	ds_load_b128 v[49:52], v72 offset:10240
	s_waitcnt lgkmcnt(8)
	v_wmma_f32_16x16x16_f16 v[75:82], v[41:48], v[91:98], v[75:82]
	ds_load_b128 v[45:48], v72 offset:12304
	ds_load_b128 v[41:44], v72 offset:12288
	s_waitcnt lgkmcnt(8)
	;; [unrolled: 4-line block ×3, first 2 shown]
	s_barrier
	buffer_gl0_inv
	v_wmma_f32_16x16x16_f16 v[75:82], v[1:8], v[107:114], v[75:82]
	s_delay_alu instid0(VALU_DEP_1) | instskip(NEXT) | instid1(VALU_DEP_1)
	v_wmma_f32_16x16x16_f16 v[75:82], v[9:16], v[115:122], v[75:82]
	v_wmma_f32_16x16x16_f16 v[75:82], v[17:24], v[49:56], v[75:82]
	s_delay_alu instid0(VALU_DEP_1) | instskip(NEXT) | instid1(VALU_DEP_1)
	v_wmma_f32_16x16x16_f16 v[75:82], v[25:32], v[41:48], v[75:82]
	v_wmma_f32_16x16x16_f16 v[75:82], v[57:64], v[33:40], v[75:82]
	s_delay_alu instid0(VALU_DEP_1) | instskip(NEXT) | instid1(VALU_DEP_2)
	v_cvt_f16_f32_e32 v1, v75
	v_cvt_f16_f32_e32 v2, v76
	s_delay_alu instid0(VALU_DEP_3) | instskip(NEXT) | instid1(VALU_DEP_4)
	v_cvt_f16_f32_e32 v3, v77
	v_cvt_f16_f32_e32 v4, v78
	;; [unrolled: 1-line block ×6, first 2 shown]
	v_pack_b32_f16 v1, v1, v2
	v_pack_b32_f16 v2, v3, v4
	;; [unrolled: 1-line block ×3, first 2 shown]
	s_delay_alu instid0(VALU_DEP_4)
	v_pack_b32_f16 v4, v7, v8
	ds_store_b128 v73, v[1:4]
	s_waitcnt lgkmcnt(0)
	s_barrier
	buffer_gl0_inv
	ds_load_b128 v[1:4], v74
	ds_load_b128 v[5:8], v74 offset:16
	s_waitcnt lgkmcnt(1)
	v_lshrrev_b32_e32 v9, 16, v1
	s_waitcnt lgkmcnt(0)
	v_lshrrev_b32_e32 v13, 16, v5
	v_lshrrev_b32_e32 v10, 16, v2
	;; [unrolled: 1-line block ×4, first 2 shown]
	v_cndmask_b32_e32 v17, v1, v9, vcc_lo
	v_cndmask_b32_e32 v18, v5, v13, vcc_lo
	v_cndmask_b32_e64 v21, v1, v9, s3
	v_cmp_eq_u32_e32 vcc_lo, 1, v70
	v_cndmask_b32_e64 v22, v5, v13, s3
	v_cmp_eq_u32_e64 s3, 2, v69
	v_cndmask_b32_e64 v19, v1, v9, s2
	v_cndmask_b32_e64 v20, v5, v13, s2
	v_cndmask_b32_e32 v1, v1, v9, vcc_lo
	v_cmp_eq_u32_e64 s2, 2, v70
	v_cndmask_b32_e32 v5, v5, v13, vcc_lo
	v_cndmask_b32_e64 v9, v17, v2, s3
	v_cmp_eq_u32_e32 vcc_lo, 3, v69
	v_cndmask_b32_e64 v13, v18, v6, s3
	v_cmp_eq_u32_e64 s3, 2, v68
	v_cndmask_b32_e64 v17, v19, v2, s4
	v_cndmask_b32_e64 v18, v20, v6, s4
	v_cmp_eq_u32_e64 s4, 3, v68
	v_cndmask_b32_e64 v1, v1, v2, s2
	v_cndmask_b32_e64 v19, v21, v2, s3
	;; [unrolled: 1-line block ×4, first 2 shown]
	v_cndmask_b32_e32 v5, v9, v10, vcc_lo
	v_cndmask_b32_e32 v6, v13, v14, vcc_lo
	v_cmp_eq_u32_e32 vcc_lo, 3, v70
	v_cndmask_b32_e64 v9, v17, v10, s5
	v_cndmask_b32_e64 v13, v18, v14, s5
	;; [unrolled: 1-line block ×3, first 2 shown]
	v_cmp_eq_u32_e64 s3, 4, v69
	v_cndmask_b32_e32 v1, v1, v10, vcc_lo
	v_cndmask_b32_e32 v2, v2, v14, vcc_lo
	v_cmp_eq_u32_e32 vcc_lo, 4, v71
	v_lshrrev_b32_e32 v15, 16, v7
	v_lshrrev_b32_e32 v16, 16, v8
	v_cndmask_b32_e64 v17, v19, v10, s4
	v_cmp_eq_u32_e64 s2, 4, v70
	v_cndmask_b32_e64 v5, v5, v3, s3
	v_cndmask_b32_e64 v6, v6, v7, s3
	v_cndmask_b32_e32 v9, v9, v3, vcc_lo
	v_cmp_eq_u32_e64 s3, 5, v71
	v_cndmask_b32_e32 v10, v13, v7, vcc_lo
	v_cmp_eq_u32_e32 vcc_lo, 4, v68
	v_cmp_eq_u32_e64 s4, 5, v69
	v_cndmask_b32_e64 v2, v2, v7, s2
	v_cndmask_b32_e64 v9, v9, v11, s3
	;; [unrolled: 1-line block ×3, first 2 shown]
	v_cndmask_b32_e32 v13, v17, v3, vcc_lo
	v_cmp_eq_u32_e64 s3, 5, v68
	v_cndmask_b32_e32 v14, v18, v7, vcc_lo
	v_cndmask_b32_e64 v1, v1, v3, s2
	v_cmp_eq_u32_e32 vcc_lo, 5, v70
	v_lshrrev_b32_e32 v12, 16, v4
	v_cndmask_b32_e64 v13, v13, v11, s3
	v_cndmask_b32_e64 v3, v14, v15, s3
	v_cmp_eq_u32_e64 s3, 6, v70
	v_cndmask_b32_e32 v1, v1, v11, vcc_lo
	v_cndmask_b32_e64 v5, v5, v11, s4
	v_cmp_eq_u32_e64 s5, 6, v69
	v_cndmask_b32_e64 v6, v6, v15, s4
	v_cmp_eq_u32_e64 s4, 6, v71
	v_cmp_eq_u32_e64 s2, 6, v68
	v_cndmask_b32_e64 v1, v1, v4, s3
	v_cndmask_b32_e32 v2, v2, v15, vcc_lo
	v_cmp_eq_u32_e32 vcc_lo, 7, v70
	v_cndmask_b32_e64 v5, v5, v4, s5
	v_cndmask_b32_e64 v9, v9, v4, s4
	v_cndmask_b32_e64 v6, v6, v8, s5
	v_cmp_eq_u32_e64 s5, 7, v69
	v_cndmask_b32_e32 v1, v1, v12, vcc_lo
	v_cndmask_b32_e64 v7, v13, v4, s2
	v_cndmask_b32_e64 v3, v3, v8, s2
	v_cndmask_b32_e64 v2, v2, v8, s3
	v_cmp_eq_u32_e64 s2, 7, v68
	v_cndmask_b32_e64 v4, v10, v8, s4
	v_cndmask_b32_e64 v5, v5, v12, s5
	;; [unrolled: 1-line block ×3, first 2 shown]
	v_cndmask_b32_e32 v2, v2, v16, vcc_lo
	v_cndmask_b32_e64 v7, v7, v12, s2
	v_cndmask_b32_e64 v3, v3, v16, s2
	;; [unrolled: 1-line block ×4, first 2 shown]
	v_perm_b32 v4, v2, v1, 0x5040100
	s_mov_b32 s2, exec_lo
	v_perm_b32 v3, v3, v7, 0x5040100
	v_perm_b32 v2, v8, v9, 0x5040100
	;; [unrolled: 1-line block ×3, first 2 shown]
	ds_store_b128 v73, v[1:4]
	s_waitcnt lgkmcnt(0)
	s_barrier
	buffer_gl0_inv
	v_cmpx_gt_u32_e32 32, v0
	s_cbranch_execz .LBB1317_2
; %bb.15:
	s_load_b64 s[0:1], s[0:1], 0x68
	s_lshl_b32 s4, s34, 7
	v_or_b32_e32 v2, s31, v66
	s_mul_i32 s2, s4, s30
	v_lshlrev_b32_e32 v1, 10, v0
	s_mul_i32 s2, s2, s7
	v_lshlrev_b32_e32 v3, 4, v67
	v_mul_lo_u32 v0, v2, s4
	s_ashr_i32 s3, s2, 31
	v_lshlrev_b32_e32 v4, 6, v66
	v_and_b32_e32 v1, 0x3800, v1
	v_or_b32_e32 v5, 2, v2
	s_lshl_b64 s[2:3], s[2:3], 1
	v_or_b32_e32 v6, 4, v2
	v_or_b32_e32 v7, 6, v2
	v_or3_b32 v12, v1, v3, v4
	v_ashrrev_i32_e32 v1, 31, v0
	v_mul_lo_u32 v2, v5, s4
	v_mul_lo_u32 v16, v6, s4
	;; [unrolled: 1-line block ×3, first 2 shown]
	s_waitcnt lgkmcnt(0)
	s_add_u32 s2, s0, s2
	s_addc_u32 s3, s1, s3
	s_lshl_b32 s0, s14, 7
	v_lshlrev_b64 v[0:1], 1, v[0:1]
	s_ashr_i32 s1, s0, 31
	v_ashrrev_i32_e32 v3, 31, v2
	s_lshl_b64 s[0:1], s[0:1], 1
	v_ashrrev_i32_e32 v17, 31, v16
	s_add_u32 s0, s2, s0
	s_addc_u32 s1, s3, s1
	v_add_co_u32 v24, s0, s0, v65
	s_delay_alu instid0(VALU_DEP_1) | instskip(SKIP_1) | instid1(VALU_DEP_3)
	v_add_co_ci_u32_e64 v25, null, s1, 0, s0
	v_lshlrev_b64 v[22:23], 1, v[2:3]
	v_add_co_u32 v18, vcc_lo, v24, v0
	s_delay_alu instid0(VALU_DEP_3)
	v_add_co_ci_u32_e32 v19, vcc_lo, v25, v1, vcc_lo
	ds_load_b128 v[0:3], v12
	ds_load_b128 v[4:7], v12 offset:128
	ds_load_b128 v[8:11], v12 offset:256
	;; [unrolled: 1-line block ×3, first 2 shown]
	v_ashrrev_i32_e32 v21, 31, v20
	v_lshlrev_b64 v[16:17], 1, v[16:17]
	v_add_co_u32 v22, vcc_lo, v24, v22
	v_add_co_ci_u32_e32 v23, vcc_lo, v25, v23, vcc_lo
	s_delay_alu instid0(VALU_DEP_4) | instskip(NEXT) | instid1(VALU_DEP_4)
	v_lshlrev_b64 v[20:21], 1, v[20:21]
	v_add_co_u32 v16, vcc_lo, v24, v16
	v_add_co_ci_u32_e32 v17, vcc_lo, v25, v17, vcc_lo
	s_delay_alu instid0(VALU_DEP_3) | instskip(NEXT) | instid1(VALU_DEP_4)
	v_add_co_u32 v20, vcc_lo, v24, v20
	v_add_co_ci_u32_e32 v21, vcc_lo, v25, v21, vcc_lo
	s_waitcnt lgkmcnt(3)
	global_store_b128 v[18:19], v[0:3], off
	s_waitcnt lgkmcnt(2)
	global_store_b128 v[22:23], v[4:7], off
	;; [unrolled: 2-line block ×4, first 2 shown]
	s_nop 0
	s_sendmsg sendmsg(MSG_DEALLOC_VGPRS)
	s_endpgm
	.section	.rodata,"a",@progbits
	.p2align	6, 0x0
	.amdhsa_kernel _Z39paged_attention_ll4mi_QKV_mfma16_kernelIDF16_hLN4vllm18Fp8KVCacheDataTypeE1EDF16_Li32ELi128ELi256ELb1ELi8EL8MFMAType0EEvPKT_PKT0_S8_ifPKiSA_SA_iPKfiiiPfSD_PS3_PT2_iSC_SC_
		.amdhsa_group_segment_fixed_size 17472
		.amdhsa_private_segment_fixed_size 0
		.amdhsa_kernarg_size 400
		.amdhsa_user_sgpr_count 13
		.amdhsa_user_sgpr_dispatch_ptr 0
		.amdhsa_user_sgpr_queue_ptr 0
		.amdhsa_user_sgpr_kernarg_segment_ptr 1
		.amdhsa_user_sgpr_dispatch_id 0
		.amdhsa_user_sgpr_private_segment_size 0
		.amdhsa_wavefront_size32 1
		.amdhsa_uses_dynamic_stack 0
		.amdhsa_enable_private_segment 0
		.amdhsa_system_sgpr_workgroup_id_x 1
		.amdhsa_system_sgpr_workgroup_id_y 1
		.amdhsa_system_sgpr_workgroup_id_z 1
		.amdhsa_system_sgpr_workgroup_info 0
		.amdhsa_system_vgpr_workitem_id 0
		.amdhsa_next_free_vgpr 140
		.amdhsa_next_free_sgpr 36
		.amdhsa_reserve_vcc 1
		.amdhsa_float_round_mode_32 0
		.amdhsa_float_round_mode_16_64 0
		.amdhsa_float_denorm_mode_32 3
		.amdhsa_float_denorm_mode_16_64 3
		.amdhsa_dx10_clamp 1
		.amdhsa_ieee_mode 1
		.amdhsa_fp16_overflow 0
		.amdhsa_workgroup_processor_mode 1
		.amdhsa_memory_ordered 1
		.amdhsa_forward_progress 0
		.amdhsa_shared_vgpr_count 0
		.amdhsa_exception_fp_ieee_invalid_op 0
		.amdhsa_exception_fp_denorm_src 0
		.amdhsa_exception_fp_ieee_div_zero 0
		.amdhsa_exception_fp_ieee_overflow 0
		.amdhsa_exception_fp_ieee_underflow 0
		.amdhsa_exception_fp_ieee_inexact 0
		.amdhsa_exception_int_div_zero 0
	.end_amdhsa_kernel
	.section	.text._Z39paged_attention_ll4mi_QKV_mfma16_kernelIDF16_hLN4vllm18Fp8KVCacheDataTypeE1EDF16_Li32ELi128ELi256ELb1ELi8EL8MFMAType0EEvPKT_PKT0_S8_ifPKiSA_SA_iPKfiiiPfSD_PS3_PT2_iSC_SC_,"axG",@progbits,_Z39paged_attention_ll4mi_QKV_mfma16_kernelIDF16_hLN4vllm18Fp8KVCacheDataTypeE1EDF16_Li32ELi128ELi256ELb1ELi8EL8MFMAType0EEvPKT_PKT0_S8_ifPKiSA_SA_iPKfiiiPfSD_PS3_PT2_iSC_SC_,comdat
.Lfunc_end1317:
	.size	_Z39paged_attention_ll4mi_QKV_mfma16_kernelIDF16_hLN4vllm18Fp8KVCacheDataTypeE1EDF16_Li32ELi128ELi256ELb1ELi8EL8MFMAType0EEvPKT_PKT0_S8_ifPKiSA_SA_iPKfiiiPfSD_PS3_PT2_iSC_SC_, .Lfunc_end1317-_Z39paged_attention_ll4mi_QKV_mfma16_kernelIDF16_hLN4vllm18Fp8KVCacheDataTypeE1EDF16_Li32ELi128ELi256ELb1ELi8EL8MFMAType0EEvPKT_PKT0_S8_ifPKiSA_SA_iPKfiiiPfSD_PS3_PT2_iSC_SC_
                                        ; -- End function
	.section	.AMDGPU.csdata,"",@progbits
; Kernel info:
; codeLenInByte = 6624
; NumSgprs: 38
; NumVgprs: 140
; ScratchSize: 0
; MemoryBound: 0
; FloatMode: 240
; IeeeMode: 1
; LDSByteSize: 17472 bytes/workgroup (compile time only)
; SGPRBlocks: 4
; VGPRBlocks: 17
; NumSGPRsForWavesPerEU: 38
; NumVGPRsForWavesPerEU: 140
; Occupancy: 10
; WaveLimiterHint : 1
; COMPUTE_PGM_RSRC2:SCRATCH_EN: 0
; COMPUTE_PGM_RSRC2:USER_SGPR: 13
; COMPUTE_PGM_RSRC2:TRAP_HANDLER: 0
; COMPUTE_PGM_RSRC2:TGID_X_EN: 1
; COMPUTE_PGM_RSRC2:TGID_Y_EN: 1
; COMPUTE_PGM_RSRC2:TGID_Z_EN: 1
; COMPUTE_PGM_RSRC2:TIDIG_COMP_CNT: 0
	.section	.text._Z39paged_attention_ll4mi_QKV_mfma16_kernelIDF16_hLN4vllm18Fp8KVCacheDataTypeE1EDF16_Li32ELi128ELi256ELb1ELi9EL8MFMAType0EEvPKT_PKT0_S8_ifPKiSA_SA_iPKfiiiPfSD_PS3_PT2_iSC_SC_,"axG",@progbits,_Z39paged_attention_ll4mi_QKV_mfma16_kernelIDF16_hLN4vllm18Fp8KVCacheDataTypeE1EDF16_Li32ELi128ELi256ELb1ELi9EL8MFMAType0EEvPKT_PKT0_S8_ifPKiSA_SA_iPKfiiiPfSD_PS3_PT2_iSC_SC_,comdat
	.protected	_Z39paged_attention_ll4mi_QKV_mfma16_kernelIDF16_hLN4vllm18Fp8KVCacheDataTypeE1EDF16_Li32ELi128ELi256ELb1ELi9EL8MFMAType0EEvPKT_PKT0_S8_ifPKiSA_SA_iPKfiiiPfSD_PS3_PT2_iSC_SC_ ; -- Begin function _Z39paged_attention_ll4mi_QKV_mfma16_kernelIDF16_hLN4vllm18Fp8KVCacheDataTypeE1EDF16_Li32ELi128ELi256ELb1ELi9EL8MFMAType0EEvPKT_PKT0_S8_ifPKiSA_SA_iPKfiiiPfSD_PS3_PT2_iSC_SC_
	.globl	_Z39paged_attention_ll4mi_QKV_mfma16_kernelIDF16_hLN4vllm18Fp8KVCacheDataTypeE1EDF16_Li32ELi128ELi256ELb1ELi9EL8MFMAType0EEvPKT_PKT0_S8_ifPKiSA_SA_iPKfiiiPfSD_PS3_PT2_iSC_SC_
	.p2align	8
	.type	_Z39paged_attention_ll4mi_QKV_mfma16_kernelIDF16_hLN4vllm18Fp8KVCacheDataTypeE1EDF16_Li32ELi128ELi256ELb1ELi9EL8MFMAType0EEvPKT_PKT0_S8_ifPKiSA_SA_iPKfiiiPfSD_PS3_PT2_iSC_SC_,@function
_Z39paged_attention_ll4mi_QKV_mfma16_kernelIDF16_hLN4vllm18Fp8KVCacheDataTypeE1EDF16_Li32ELi128ELi256ELb1ELi9EL8MFMAType0EEvPKT_PKT0_S8_ifPKiSA_SA_iPKfiiiPfSD_PS3_PT2_iSC_SC_: ; @_Z39paged_attention_ll4mi_QKV_mfma16_kernelIDF16_hLN4vllm18Fp8KVCacheDataTypeE1EDF16_Li32ELi128ELi256ELb1ELi9EL8MFMAType0EEvPKT_PKT0_S8_ifPKiSA_SA_iPKfiiiPfSD_PS3_PT2_iSC_SC_
; %bb.0:
	s_load_b64 s[4:5], s[0:1], 0x30
	s_mov_b32 s34, s13
	s_waitcnt lgkmcnt(0)
	s_cmp_lg_u64 s[4:5], 0
	s_cselect_b32 s8, -1, 0
	s_ashr_i32 s35, s13, 31
	s_cmp_eq_u64 s[4:5], 0
	s_cbranch_scc1 .LBB1318_3
; %bb.1:
	s_lshl_b64 s[2:3], s[34:35], 2
	s_delay_alu instid0(SALU_CYCLE_1) | instskip(SKIP_4) | instid1(SALU_CYCLE_1)
	s_add_u32 s2, s4, s2
	s_addc_u32 s3, s5, s3
	s_load_b64 s[2:3], s[2:3], 0x0
	s_waitcnt lgkmcnt(0)
	s_sub_i32 s2, s3, s2
	s_cmp_eq_u32 s2, 1
	s_cselect_b32 s2, -1, 0
	s_delay_alu instid0(SALU_CYCLE_1)
	s_and_not1_b32 vcc_lo, exec_lo, s2
	s_cbranch_vccz .LBB1318_4
.LBB1318_2:
	s_nop 0
	s_sendmsg sendmsg(MSG_DEALLOC_VGPRS)
	s_endpgm
.LBB1318_3:
.LBB1318_4:
	s_load_b64 s[2:3], s[0:1], 0x28
	s_lshl_b64 s[6:7], s[34:35], 2
	s_waitcnt lgkmcnt(0)
	s_add_u32 s2, s2, s6
	s_addc_u32 s3, s3, s7
	s_lshl_b32 s12, s14, 8
	s_load_b32 s24, s[2:3], 0x0
	s_waitcnt lgkmcnt(0)
	s_cmp_ge_i32 s12, s24
	s_cbranch_scc1 .LBB1318_2
; %bb.5:
	s_clause 0x1
	s_load_b128 s[20:23], s[0:1], 0x8
	s_load_b64 s[2:3], s[0:1], 0x20
	s_and_not1_b32 vcc_lo, exec_lo, s8
	s_cbranch_vccnz .LBB1318_7
; %bb.6:
	s_add_u32 s4, s4, s6
	s_addc_u32 s5, s5, s7
	s_load_b32 s5, s[4:5], 0x0
	s_branch .LBB1318_8
.LBB1318_7:
	s_mov_b32 s5, s34
.LBB1318_8:
	s_load_b128 s[16:19], s[0:1], 0x48
	v_and_b32_e32 v68, 15, v0
	v_lshrrev_b32_e32 v69, 5, v0
	v_bfe_u32 v66, v0, 4, 1
	v_and_b32_e32 v70, 31, v0
	v_and_b32_e32 v67, 1, v0
	v_lshlrev_b32_e32 v2, 3, v68
	s_mul_i32 s31, s15, 9
	v_lshl_or_b32 v1, v69, 1, v66
	s_mov_b32 s4, exec_lo
	s_delay_alu instid0(VALU_DEP_2) | instskip(NEXT) | instid1(VALU_DEP_2)
	v_lshlrev_b32_e32 v65, 1, v2
	v_cmpx_gt_u32_e32 9, v1
	s_cbranch_execz .LBB1318_10
; %bb.9:
	s_load_b64 s[6:7], s[0:1], 0x0
	v_add_lshl_u32 v2, v1, s31, 7
	s_waitcnt lgkmcnt(0)
	s_mul_hi_i32 s9, s5, s16
	s_mul_i32 s8, s5, s16
	v_lshlrev_b32_e32 v6, 10, v68
	s_lshl_b64 s[8:9], s[8:9], 1
	v_ashrrev_i32_e32 v3, 31, v2
	v_lshlrev_b32_e32 v1, 6, v1
	v_lshlrev_b32_e32 v7, 10, v67
	v_and_b32_e32 v6, 0x3800, v6
	s_delay_alu instid0(VALU_DEP_4) | instskip(NEXT) | instid1(VALU_DEP_2)
	v_lshlrev_b64 v[2:3], 1, v[2:3]
	v_or3_b32 v1, v6, v7, v1
	s_add_u32 s5, s6, s8
	s_addc_u32 s6, s7, s9
	s_delay_alu instid0(VALU_DEP_2) | instskip(NEXT) | instid1(VALU_DEP_3)
	v_add_co_u32 v2, vcc_lo, s5, v2
	v_add_co_ci_u32_e32 v3, vcc_lo, s6, v3, vcc_lo
	s_delay_alu instid0(VALU_DEP_2) | instskip(NEXT) | instid1(VALU_DEP_2)
	v_add_co_u32 v2, vcc_lo, v2, v65
	v_add_co_ci_u32_e32 v3, vcc_lo, 0, v3, vcc_lo
	global_load_b128 v[2:5], v[2:3], off
	s_waitcnt vmcnt(0)
	ds_store_b128 v1, v[2:5]
.LBB1318_10:
	s_or_b32 exec_lo, exec_lo, s4
	v_and_b32_e32 v1, 0xef, v0
	s_waitcnt lgkmcnt(0)
	s_add_i32 s5, s24, 31
	s_clause 0x1
	s_load_b32 s4, s[0:1], 0x38
	s_load_b32 s33, s[0:1], 0x98
	s_ashr_i32 s6, s5, 31
	v_add_nc_u32_e32 v1, s12, v1
	s_lshr_b32 s6, s6, 27
	s_load_b32 s19, s[0:1], 0x1c
	s_add_i32 s5, s5, s6
	s_waitcnt lgkmcnt(0)
	v_ashrrev_i32_e32 v2, 31, v1
	v_or_b32_e32 v3, 16, v1
	s_ashr_i32 s13, s5, 5
	v_cmp_gt_i32_e32 vcc_lo, s24, v1
	s_add_i32 s13, s13, -1
	v_lshrrev_b32_e32 v2, 27, v2
	s_barrier
	buffer_gl0_inv
	s_mul_i32 s15, s15, s18
	v_add_nc_u32_e32 v4, v1, v2
	s_mul_i32 s4, s34, s4
	s_delay_alu instid0(SALU_CYCLE_1) | instskip(NEXT) | instid1(VALU_DEP_1)
	s_ashr_i32 s5, s4, 31
	v_ashrrev_i32_e32 v4, 5, v4
	v_add_nc_u32_e32 v2, v3, v2
	s_lshl_b64 s[4:5], s[4:5], 2
	s_delay_alu instid0(SALU_CYCLE_1) | instskip(NEXT) | instid1(VALU_DEP_2)
	s_add_u32 s16, s2, s4
	v_cndmask_b32_e32 v1, s13, v4, vcc_lo
	s_delay_alu instid0(VALU_DEP_2)
	v_ashrrev_i32_e32 v2, 5, v2
	v_cmp_gt_i32_e32 vcc_lo, s24, v3
	s_addc_u32 s25, s3, s5
	s_ashr_i32 s18, s15, 31
	s_add_u32 s2, s20, s15
	s_addc_u32 s3, s21, s18
	v_cndmask_b32_e32 v3, s13, v2, vcc_lo
	v_ashrrev_i32_e32 v2, 31, v1
	s_lshl_b32 s4, s14, 3
	s_delay_alu instid0(SALU_CYCLE_1) | instskip(NEXT) | instid1(VALU_DEP_2)
	s_ashr_i32 s5, s4, 31
	v_ashrrev_i32_e32 v4, 31, v3
	s_delay_alu instid0(VALU_DEP_2) | instskip(SKIP_1) | instid1(SALU_CYCLE_1)
	v_lshlrev_b64 v[1:2], 2, v[1:2]
	s_lshl_b64 s[4:5], s[4:5], 2
	s_add_u32 s4, s16, s4
	s_delay_alu instid0(VALU_DEP_2) | instskip(SKIP_1) | instid1(VALU_DEP_2)
	v_lshlrev_b64 v[3:4], 2, v[3:4]
	s_addc_u32 s5, s25, s5
	v_add_co_u32 v1, vcc_lo, s16, v1
	v_add_co_ci_u32_e32 v2, vcc_lo, s25, v2, vcc_lo
	s_delay_alu instid0(VALU_DEP_3) | instskip(NEXT) | instid1(VALU_DEP_4)
	v_add_co_u32 v3, vcc_lo, s16, v3
	v_add_co_ci_u32_e32 v4, vcc_lo, s25, v4, vcc_lo
	s_clause 0x1
	global_load_b32 v5, v[1:2], off
	global_load_b32 v6, v[3:4], off
	s_or_b32 s6, s12, 32
	s_delay_alu instid0(SALU_CYCLE_1) | instskip(SKIP_2) | instid1(SALU_CYCLE_1)
	s_ashr_i32 s7, s6, 5
	s_cmp_lt_i32 s6, s24
	s_cselect_b32 s6, s7, s13
	s_ashr_i32 s7, s6, 31
	s_delay_alu instid0(SALU_CYCLE_1) | instskip(NEXT) | instid1(SALU_CYCLE_1)
	s_lshl_b64 s[6:7], s[6:7], 2
	s_add_u32 s6, s16, s6
	s_addc_u32 s7, s25, s7
	s_or_b32 s8, s12, 64
	s_delay_alu instid0(SALU_CYCLE_1) | instskip(SKIP_2) | instid1(SALU_CYCLE_1)
	s_ashr_i32 s9, s8, 5
	s_cmp_lt_i32 s8, s24
	s_cselect_b32 s8, s9, s13
	s_ashr_i32 s9, s8, 31
	s_delay_alu instid0(SALU_CYCLE_1) | instskip(NEXT) | instid1(SALU_CYCLE_1)
	s_lshl_b64 s[8:9], s[8:9], 2
	s_add_u32 s8, s16, s8
	s_addc_u32 s9, s25, s9
	s_or_b32 s10, s12, 0x60
	s_delay_alu instid0(SALU_CYCLE_1) | instskip(SKIP_2) | instid1(SALU_CYCLE_1)
	s_ashr_i32 s11, s10, 5
	s_cmp_lt_i32 s10, s24
	s_cselect_b32 s10, s11, s13
	s_ashr_i32 s11, s10, 31
	s_delay_alu instid0(SALU_CYCLE_1) | instskip(NEXT) | instid1(SALU_CYCLE_1)
	s_lshl_b64 s[10:11], s[10:11], 2
	s_add_u32 s10, s16, s10
	s_addc_u32 s11, s25, s11
	s_or_b32 s20, s12, 0x80
	s_delay_alu instid0(SALU_CYCLE_1) | instskip(SKIP_2) | instid1(SALU_CYCLE_1)
	s_ashr_i32 s21, s20, 5
	s_cmp_lt_i32 s20, s24
	s_cselect_b32 s20, s21, s13
	s_ashr_i32 s21, s20, 31
	s_delay_alu instid0(SALU_CYCLE_1) | instskip(NEXT) | instid1(SALU_CYCLE_1)
	s_lshl_b64 s[20:21], s[20:21], 2
	s_add_u32 s20, s16, s20
	s_addc_u32 s21, s25, s21
	s_or_b32 s26, s12, 0xa0
	s_delay_alu instid0(SALU_CYCLE_1) | instskip(SKIP_2) | instid1(SALU_CYCLE_1)
	s_ashr_i32 s27, s26, 5
	s_cmp_lt_i32 s26, s24
	s_cselect_b32 s26, s27, s13
	s_ashr_i32 s27, s26, 31
	s_delay_alu instid0(SALU_CYCLE_1) | instskip(NEXT) | instid1(SALU_CYCLE_1)
	s_lshl_b64 s[26:27], s[26:27], 2
	s_add_u32 s26, s16, s26
	s_addc_u32 s27, s25, s27
	s_clause 0x5
	s_load_b32 s28, s[4:5], 0x0
	s_load_b32 s29, s[6:7], 0x0
	s_load_b32 s30, s[8:9], 0x0
	s_load_b32 s35, s[10:11], 0x0
	s_load_b32 s36, s[20:21], 0x0
	s_load_b32 s26, s[26:27], 0x0
	s_mov_b32 s4, 0
	s_delay_alu instid0(SALU_CYCLE_1)
	s_mov_b32 s5, s4
	s_mov_b32 s6, s4
	s_mov_b32 s7, s4
	s_mov_b32 s8, s4
	s_mov_b32 s9, s4
	s_mov_b32 s10, s4
	s_mov_b32 s11, s4
	s_delay_alu instid0(SALU_CYCLE_1)
	v_dual_mov_b32 v118, s11 :: v_dual_mov_b32 v117, s10
	v_dual_mov_b32 v116, s9 :: v_dual_mov_b32 v115, s8
	v_mov_b32_e32 v113, s6
	v_dual_mov_b32 v111, s4 :: v_dual_mov_b32 v114, s7
	v_mov_b32_e32 v112, s5
	s_waitcnt vmcnt(1)
	v_mad_i64_i32 v[1:2], null, v5, s17, s[2:3]
	v_lshlrev_b32_e32 v5, 4, v68
	s_waitcnt vmcnt(0)
	v_mad_i64_i32 v[3:4], null, v6, s17, s[2:3]
	s_or_b32 s2, s12, 0xc0
	s_delay_alu instid0(SALU_CYCLE_1) | instskip(NEXT) | instid1(VALU_DEP_3)
	s_ashr_i32 s3, s2, 5
	v_add_co_u32 v1, vcc_lo, v1, v5
	s_delay_alu instid0(VALU_DEP_4) | instskip(NEXT) | instid1(VALU_DEP_3)
	v_add_co_ci_u32_e32 v2, vcc_lo, 0, v2, vcc_lo
	v_add_co_u32 v3, vcc_lo, v3, v5
	s_delay_alu instid0(VALU_DEP_4)
	v_add_co_ci_u32_e32 v4, vcc_lo, 0, v4, vcc_lo
	s_clause 0xf
	global_load_b128 v[17:20], v[1:2], off
	global_load_b128 v[21:24], v[1:2], off offset:512
	global_load_b128 v[25:28], v[3:4], off offset:256
	;; [unrolled: 1-line block ×15, first 2 shown]
	s_cmp_lt_i32 s2, s24
	v_add_nc_u32_e32 v1, -9, v68
	s_cselect_b32 s2, s3, s13
	v_cmp_gt_u32_e32 vcc_lo, 9, v68
	s_ashr_i32 s3, s2, 31
	v_lshlrev_b32_e32 v2, 5, v68
	s_lshl_b64 s[2:3], s[2:3], 2
	s_delay_alu instid0(SALU_CYCLE_1)
	s_add_u32 s2, s16, s2
	s_addc_u32 s3, s25, s3
	s_or_b32 s20, s12, 0xe0
	v_cndmask_b32_e32 v1, v1, v68, vcc_lo
	s_ashr_i32 s21, s20, 5
	s_cmp_lt_i32 s20, s24
	s_cselect_b32 s20, s21, s13
	s_delay_alu instid0(VALU_DEP_1)
	v_lshlrev_b32_e32 v149, 6, v1
	s_ashr_i32 s21, s20, 31
	v_lshl_or_b32 v1, v69, 9, v2
	s_lshl_b64 s[4:5], s[20:21], 2
	ds_load_b128 v[119:122], v149
	ds_load_b128 v[123:126], v149 offset:1024
	s_add_u32 s4, s16, s4
	s_addc_u32 s5, s25, s5
	ds_load_b128 v[127:130], v149 offset:2048
	ds_load_b128 v[131:134], v149 offset:3072
	s_clause 0x1
	s_load_b32 s2, s[2:3], 0x0
	s_load_b32 s3, s[4:5], 0x0
	s_add_u32 s6, s22, s15
	s_addc_u32 s7, s23, s18
	v_add_co_u32 v135, s6, s6, v1
	s_delay_alu instid0(VALU_DEP_1) | instskip(SKIP_1) | instid1(VALU_DEP_1)
	v_add_co_ci_u32_e64 v136, null, s7, 0, s6
	s_waitcnt lgkmcnt(0)
	v_mad_i64_i32 v[1:2], null, s28, s17, v[135:136]
	v_mad_i64_i32 v[3:4], null, s29, s17, v[135:136]
	;; [unrolled: 1-line block ×6, first 2 shown]
	s_clause 0x9
	global_load_b128 v[49:52], v[1:2], off
	global_load_b128 v[53:56], v[1:2], off offset:16
	global_load_b128 v[41:44], v[3:4], off
	global_load_b128 v[45:48], v[3:4], off offset:16
	;; [unrolled: 2-line block ×5, first 2 shown]
	v_mad_i64_i32 v[145:146], null, s2, s17, v[135:136]
	v_mad_i64_i32 v[147:148], null, s3, s17, v[135:136]
	s_waitcnt vmcnt(24)
	v_wmma_f32_16x16x16_f16 v[135:142], v[17:24], v[119:126], v[111:118]
	s_waitcnt vmcnt(22)
	v_wmma_f32_16x16x16_f16 v[111:118], v[25:32], v[119:126], v[111:118]
	s_clause 0x3
	global_load_b128 v[17:20], v[143:144], off
	global_load_b128 v[21:24], v[143:144], off offset:16
	global_load_b128 v[25:28], v[145:146], off
	global_load_b128 v[29:32], v[145:146], off offset:16
	v_and_b32_e32 v119, 0xe0, v0
	s_waitcnt vmcnt(24)
	v_wmma_f32_16x16x16_f16 v[135:142], v[57:64], v[127:134], v[135:142]
	s_clause 0x1
	global_load_b128 v[57:60], v[147:148], off
	global_load_b128 v[61:64], v[147:148], off offset:16
	s_waitcnt vmcnt(24)
	v_wmma_f32_16x16x16_f16 v[111:118], v[71:78], v[127:134], v[111:118]
	ds_load_b128 v[71:74], v149 offset:4096
	ds_load_b128 v[75:78], v149 offset:5120
	v_add_nc_u32_e32 v128, s12, v119
	ds_load_b128 v[119:122], v149 offset:6144
	ds_load_b128 v[123:126], v149 offset:7168
	v_mbcnt_lo_u32_b32 v127, -1, 0
	s_waitcnt vmcnt(0) lgkmcnt(0)
	s_barrier
	v_or_b32_e32 v128, v128, v66
	buffer_gl0_inv
	v_xor_b32_e32 v129, 16, v127
	v_or_b32_e32 v130, 4, v128
	v_or_b32_e32 v131, 6, v128
	s_delay_alu instid0(VALU_DEP_3) | instskip(SKIP_4) | instid1(VALU_DEP_4)
	v_cmp_gt_i32_e32 vcc_lo, 32, v129
	v_or_b32_e32 v132, 8, v128
	v_or_b32_e32 v133, 10, v128
	v_cmp_gt_i32_e64 s3, s24, v130
	v_cmp_gt_i32_e64 s4, s24, v131
	v_cmp_gt_i32_e64 s5, s24, v132
	v_wmma_f32_16x16x16_f16 v[135:142], v[79:86], v[71:78], v[135:142]
	v_wmma_f32_16x16x16_f16 v[111:118], v[87:94], v[71:78], v[111:118]
	v_or_b32_e32 v79, 12, v128
	v_or_b32_e32 v80, 14, v128
	v_cmp_gt_i32_e64 s6, s24, v133
	v_wmma_f32_16x16x16_f16 v[135:142], v[95:102], v[119:126], v[135:142]
	v_wmma_f32_16x16x16_f16 v[111:118], v[103:110], v[119:126], v[111:118]
	v_cndmask_b32_e32 v127, v127, v129, vcc_lo
	v_or_b32_e32 v129, 2, v128
	v_cmp_gt_i32_e32 vcc_lo, s24, v128
	s_delay_alu instid0(VALU_DEP_4) | instskip(SKIP_1) | instid1(VALU_DEP_4)
	v_dual_mul_f32 v87, s19, v136 :: v_dual_mul_f32 v94, s19, v113
	v_mul_f32_e32 v88, s19, v135
	v_cmp_gt_i32_e64 s2, s24, v129
	v_mul_f32_e32 v78, s19, v138
	v_mul_f32_e32 v86, s19, v137
	;; [unrolled: 1-line block ×3, first 2 shown]
	v_cndmask_b32_e32 v88, 0xff7fffff, v88, vcc_lo
	v_cndmask_b32_e64 v87, 0xff7fffff, v87, s2
	v_dual_mul_f32 v77, s19, v139 :: v_dual_mul_f32 v90, s19, v117
	v_cndmask_b32_e64 v86, 0xff7fffff, v86, s3
	v_cndmask_b32_e64 v78, 0xff7fffff, v78, s4
	s_delay_alu instid0(VALU_DEP_4)
	v_max3_f32 v87, v88, 0xff7fffff, v87
	v_or_b32_e32 v81, 16, v128
	v_or_b32_e32 v82, 18, v128
	v_dual_mul_f32 v74, s19, v142 :: v_dual_mul_f32 v75, s19, v141
	v_mul_f32_e32 v96, s19, v111
	v_cndmask_b32_e64 v77, 0xff7fffff, v77, s5
	v_cndmask_b32_e64 v76, 0xff7fffff, v76, s6
	v_max3_f32 v78, v87, v86, v78
	v_cmp_gt_i32_e64 s7, s24, v79
	v_cmp_gt_i32_e64 s8, s24, v80
	v_or_b32_e32 v83, 20, v128
	v_or_b32_e32 v84, 22, v128
	v_mul_f32_e32 v95, s19, v112
	v_cndmask_b32_e64 v75, 0xff7fffff, v75, s7
	v_cndmask_b32_e64 v74, 0xff7fffff, v74, s8
	v_max3_f32 v76, v78, v77, v76
	v_cmp_gt_i32_e64 s9, s24, v81
	v_cmp_gt_i32_e64 s10, s24, v82
	v_or_b32_e32 v85, 24, v128
	v_or_b32_e32 v71, 26, v128
	;; [unrolled: 8-line block ×3, first 2 shown]
	v_dual_mul_f32 v91, s19, v116 :: v_dual_mul_f32 v92, s19, v115
	v_cndmask_b32_e64 v75, 0xff7fffff, v94, s11
	v_cndmask_b32_e64 v76, 0xff7fffff, v93, s12
	v_max3_f32 v74, v74, v77, v78
	v_cmp_gt_i32_e64 s13, s24, v85
	v_cmp_gt_i32_e64 s15, s24, v71
	v_mul_f32_e32 v89, s19, v118
	v_cmp_gt_i32_e64 s16, s24, v72
	v_max3_f32 v74, v74, v75, v76
	v_cndmask_b32_e64 v77, 0xff7fffff, v92, s13
	v_cndmask_b32_e64 v71, 0xff7fffff, v91, s15
	v_cmp_gt_i32_e64 s17, s24, v73
	v_cndmask_b32_e64 v72, 0xff7fffff, v90, s16
	s_delay_alu instid0(VALU_DEP_3) | instskip(SKIP_1) | instid1(VALU_DEP_4)
	v_max3_f32 v71, v74, v77, v71
	v_lshlrev_b32_e32 v74, 2, v127
	v_cndmask_b32_e64 v73, 0xff7fffff, v89, s17
	s_delay_alu instid0(VALU_DEP_1) | instskip(SKIP_3) | instid1(VALU_DEP_1)
	v_max3_f32 v71, v71, v72, v73
	ds_bpermute_b32 v72, v74, v71
	s_waitcnt lgkmcnt(0)
	v_max_f32_e32 v72, v72, v72
	v_max_f32_e32 v71, v71, v72
	s_delay_alu instid0(VALU_DEP_1) | instskip(SKIP_4) | instid1(VALU_DEP_4)
	v_fma_f32 v72, s19, v135, -v71
	v_fma_f32 v73, s19, v136, -v71
	;; [unrolled: 1-line block ×5, first 2 shown]
	v_dual_mul_f32 v72, 0x3fb8aa3b, v72 :: v_dual_mul_f32 v73, 0x3fb8aa3b, v73
	s_delay_alu instid0(VALU_DEP_3) | instskip(SKIP_1) | instid1(VALU_DEP_3)
	v_dual_mul_f32 v75, 0x3fb8aa3b, v75 :: v_dual_mul_f32 v76, 0x3fb8aa3b, v76
	v_fma_f32 v80, s19, v141, -v71
	v_exp_f32_e32 v72, v72
	s_delay_alu instid0(VALU_DEP_3) | instskip(NEXT) | instid1(VALU_DEP_2)
	v_exp_f32_e32 v73, v73
	v_exp_f32_e32 v75, v75
	;; [unrolled: 1-line block ×3, first 2 shown]
	v_mul_f32_e32 v82, 0x3fb8aa3b, v80
	s_delay_alu instid0(VALU_DEP_1) | instskip(SKIP_4) | instid1(TRANS32_DEP_3)
	v_exp_f32_e32 v84, v82
	v_cndmask_b32_e32 v79, 0, v72, vcc_lo
	v_fma_f32 v72, s19, v140, -v71
	v_mul_f32_e32 v77, 0x3fb8aa3b, v77
	v_cndmask_b32_e64 v78, 0, v73, s2
	v_cndmask_b32_e64 v81, 0, v75, s3
	s_delay_alu instid0(VALU_DEP_4) | instskip(NEXT) | instid1(VALU_DEP_4)
	v_dual_add_f32 v73, 0, v79 :: v_dual_mul_f32 v72, 0x3fb8aa3b, v72
	v_exp_f32_e32 v77, v77
	v_cndmask_b32_e64 v80, 0, v76, s4
	s_delay_alu instid0(TRANS32_DEP_2) | instskip(NEXT) | instid1(VALU_DEP_3)
	v_cndmask_b32_e64 v85, 0, v84, s7
	v_add_f32_e32 v73, v73, v78
	v_exp_f32_e32 v72, v72
	v_cmp_gt_u32_e64 s2, 16, v70
	s_delay_alu instid0(VALU_DEP_2) | instskip(NEXT) | instid1(TRANS32_DEP_2)
	v_add_f32_e32 v73, v73, v81
	v_cndmask_b32_e64 v83, 0, v77, s5
	s_delay_alu instid0(VALU_DEP_2) | instskip(SKIP_3) | instid1(VALU_DEP_1)
	v_add_f32_e32 v73, v73, v80
	s_waitcnt_depctr 0xfff
	v_cndmask_b32_e64 v82, 0, v72, s6
	v_add_f32_e32 v72, v73, v83
	v_add_f32_e32 v72, v72, v82
	s_delay_alu instid0(VALU_DEP_1)
	v_add_f32_e32 v72, v72, v85
	v_fma_f32 v76, s19, v111, -v71
	v_fma_f32 v75, s19, v142, -v71
	;; [unrolled: 1-line block ×5, first 2 shown]
	s_delay_alu instid0(VALU_DEP_4) | instskip(NEXT) | instid1(VALU_DEP_3)
	v_dual_mul_f32 v76, 0x3fb8aa3b, v76 :: v_dual_mul_f32 v75, 0x3fb8aa3b, v75
	v_mul_f32_e32 v86, 0x3fb8aa3b, v86
	s_delay_alu instid0(VALU_DEP_2) | instskip(NEXT) | instid1(VALU_DEP_2)
	v_exp_f32_e32 v76, v76
	v_exp_f32_e32 v75, v75
	s_delay_alu instid0(VALU_DEP_1) | instskip(NEXT) | instid1(TRANS32_DEP_3)
	v_exp_f32_e32 v88, v86
	v_cndmask_b32_e64 v87, 0, v76, s9
	v_fma_f32 v76, s19, v116, -v71
	v_mul_f32_e32 v77, 0x3fb8aa3b, v77
	s_waitcnt_depctr 0xfff
	v_cndmask_b32_e64 v84, 0, v75, s8
	v_fma_f32 v75, s19, v115, -v71
	v_cndmask_b32_e64 v88, 0, v88, s12
	v_mul_f32_e32 v76, 0x3fb8aa3b, v76
	v_exp_f32_e32 v77, v77
	v_add_f32_e32 v72, v72, v84
	s_delay_alu instid0(VALU_DEP_2) | instskip(NEXT) | instid1(VALU_DEP_1)
	v_exp_f32_e32 v76, v76
	v_add_f32_e32 v72, v72, v87
	s_waitcnt_depctr 0xfff
	v_cndmask_b32_e64 v86, 0, v77, s10
	v_mul_f32_e32 v73, 0x3fb8aa3b, v73
	v_fma_f32 v77, s19, v117, -v71
	v_cndmask_b32_e64 v90, 0, v76, s15
	s_delay_alu instid0(VALU_DEP_4) | instskip(NEXT) | instid1(VALU_DEP_4)
	v_add_f32_e32 v72, v72, v86
	v_exp_f32_e32 v73, v73
	s_waitcnt_depctr 0xfff
	v_cndmask_b32_e64 v89, 0, v73, s11
	s_delay_alu instid0(VALU_DEP_1) | instskip(NEXT) | instid1(VALU_DEP_1)
	v_dual_mul_f32 v75, 0x3fb8aa3b, v75 :: v_dual_add_f32 v72, v72, v89
	v_exp_f32_e32 v75, v75
	v_mul_f32_e32 v73, 0x3fb8aa3b, v77
	v_fma_f32 v77, s19, v118, -v71
	s_delay_alu instid0(VALU_DEP_3) | instskip(NEXT) | instid1(VALU_DEP_3)
	v_add_f32_e32 v72, v72, v88
	v_exp_f32_e32 v73, v73
	s_waitcnt_depctr 0xfff
	v_cndmask_b32_e64 v91, 0, v75, s13
	s_delay_alu instid0(VALU_DEP_1) | instskip(NEXT) | instid1(VALU_DEP_1)
	v_dual_mul_f32 v75, 0x3fb8aa3b, v77 :: v_dual_add_f32 v72, v72, v91
	v_exp_f32_e32 v75, v75
	v_cndmask_b32_e64 v93, 0, v73, s16
	s_delay_alu instid0(VALU_DEP_2) | instskip(NEXT) | instid1(VALU_DEP_1)
	v_add_f32_e32 v72, v72, v90
	v_add_f32_e32 v72, v72, v93
	s_waitcnt_depctr 0xfff
	v_cndmask_b32_e64 v92, 0, v75, s17
	s_delay_alu instid0(VALU_DEP_1)
	v_add_f32_e32 v72, v72, v92
	ds_bpermute_b32 v73, v74, v72
	s_and_saveexec_b32 s3, s2
	s_cbranch_execz .LBB1318_12
; %bb.11:
	v_mul_u32_u24_e32 v70, 0x44, v69
	s_waitcnt lgkmcnt(0)
	v_add_f32_e32 v72, v72, v73
	s_delay_alu instid0(VALU_DEP_2) | instskip(NEXT) | instid1(VALU_DEP_1)
	v_lshl_add_u32 v70, v68, 2, v70
	v_add_nc_u32_e32 v70, 0x4000, v70
	ds_store_2addr_b32 v70, v71, v72 offset1:136
.LBB1318_12:
	s_or_b32 exec_lo, exec_lo, s3
	v_lshlrev_b32_e32 v70, 2, v68
	s_load_b32 s35, s[0:1], 0x94
	s_waitcnt lgkmcnt(0)
	s_barrier
	buffer_gl0_inv
	v_add_nc_u32_e32 v98, 0x4000, v70
	v_cmp_eq_u32_e32 vcc_lo, 1, v69
	v_cmp_eq_u32_e64 s3, 2, v69
	v_cmp_eq_u32_e64 s4, 3, v69
	;; [unrolled: 1-line block ×3, first 2 shown]
	ds_load_2addr_b32 v[70:71], v98 offset1:17
	ds_load_2addr_b32 v[72:73], v98 offset0:34 offset1:51
	ds_load_2addr_b32 v[74:75], v98 offset0:68 offset1:85
	;; [unrolled: 1-line block ×3, first 2 shown]
	v_cmp_eq_u32_e64 s6, 5, v69
	v_cmp_eq_u32_e64 s7, 7, v69
	s_waitcnt lgkmcnt(3)
	v_max3_f32 v76, v70, 0xff7fffff, v71
	s_waitcnt lgkmcnt(2)
	s_delay_alu instid0(VALU_DEP_1) | instskip(SKIP_1) | instid1(VALU_DEP_1)
	v_max3_f32 v76, v76, v72, v73
	s_waitcnt lgkmcnt(1)
	v_max3_f32 v76, v76, v74, v75
	s_waitcnt lgkmcnt(0)
	s_delay_alu instid0(VALU_DEP_1) | instskip(NEXT) | instid1(VALU_DEP_1)
	v_max3_f32 v76, v76, v94, v95
	v_sub_f32_e32 v77, v71, v76
	ds_load_2addr_b32 v[96:97], v98 offset0:136 offset1:153
	v_sub_f32_e32 v74, v74, v76
	v_sub_f32_e32 v70, v70, v76
	v_sub_f32_e32 v94, v94, v76
	v_dual_sub_f32 v72, v72, v76 :: v_dual_mul_f32 v77, 0x3fb8aa3b, v77
	s_delay_alu instid0(VALU_DEP_4) | instskip(NEXT) | instid1(VALU_DEP_4)
	v_mul_f32_e32 v103, 0x3fb8aa3b, v74
	v_mul_f32_e32 v99, 0x3fb8aa3b, v70
	ds_load_2addr_b32 v[70:71], v98 offset0:170 offset1:187
	v_dual_mul_f32 v101, 0x3fb8aa3b, v72 :: v_dual_mul_f32 v94, 0x3fb8aa3b, v94
	v_exp_f32_e32 v102, v77
	v_exp_f32_e32 v99, v99
	s_delay_alu instid0(VALU_DEP_1) | instskip(NEXT) | instid1(VALU_DEP_1)
	v_exp_f32_e32 v101, v101
	v_exp_f32_e32 v94, v94
	s_waitcnt lgkmcnt(1)
	s_delay_alu instid0(TRANS32_DEP_3)
	v_fma_f32 v77, v99, v96, 0
	v_sub_f32_e32 v100, v73, v76
	ds_load_2addr_b32 v[72:73], v98 offset0:204 offset1:221
	v_fmac_f32_e32 v77, v102, v97
	v_exp_f32_e32 v97, v103
	s_waitcnt lgkmcnt(1)
	s_delay_alu instid0(VALU_DEP_1)
	v_dual_fmac_f32 v77, v101, v70 :: v_dual_sub_f32 v96, v75, v76
	ds_load_2addr_b32 v[74:75], v98 offset0:238 offset1:255
	v_sub_f32_e32 v70, v95, v76
	s_waitcnt lgkmcnt(0)
	s_barrier
	v_mul_f32_e32 v96, 0x3fb8aa3b, v96
	buffer_gl0_inv
	v_exp_f32_e32 v95, v96
	v_mul_f32_e32 v100, 0x3fb8aa3b, v100
	s_delay_alu instid0(VALU_DEP_1) | instskip(SKIP_3) | instid1(VALU_DEP_2)
	v_exp_f32_e32 v100, v100
	s_waitcnt_depctr 0xfff
	v_dual_fmac_f32 v77, v100, v71 :: v_dual_mul_f32 v70, 0x3fb8aa3b, v70
	v_cndmask_b32_e32 v71, v99, v102, vcc_lo
	v_fmac_f32_e32 v77, v97, v72
	s_delay_alu instid0(VALU_DEP_3) | instskip(NEXT) | instid1(VALU_DEP_1)
	v_exp_f32_e32 v96, v70
	v_fmac_f32_e32 v77, v95, v73
	s_delay_alu instid0(VALU_DEP_1) | instskip(SKIP_2) | instid1(VALU_DEP_1)
	v_fmac_f32_e32 v77, v94, v74
	s_waitcnt_depctr 0xfff
	v_fmac_f32_e32 v77, v96, v75
	v_add_f32_e32 v74, 0x358637bd, v77
	s_delay_alu instid0(VALU_DEP_1) | instskip(SKIP_1) | instid1(VALU_DEP_2)
	v_div_scale_f32 v98, null, v74, v74, 1.0
	v_div_scale_f32 v99, vcc_lo, 1.0, v74, 1.0
	v_rcp_f32_e32 v103, v98
	s_waitcnt_depctr 0xfff
	v_fma_f32 v70, -v98, v103, 1.0
	s_delay_alu instid0(VALU_DEP_1) | instskip(SKIP_2) | instid1(VALU_DEP_2)
	v_fmac_f32_e32 v103, v70, v103
	v_cndmask_b32_e64 v70, v71, v101, s3
	v_cmp_eq_u32_e64 s3, 6, v69
	v_cndmask_b32_e64 v71, v70, v100, s4
	s_delay_alu instid0(VALU_DEP_4) | instskip(NEXT) | instid1(VALU_DEP_2)
	v_dual_mul_f32 v101, v99, v103 :: v_dual_lshlrev_b32 v70, 2, v66
	v_cndmask_b32_e64 v71, v71, v97, s5
	s_delay_alu instid0(VALU_DEP_2) | instskip(NEXT) | instid1(VALU_DEP_3)
	v_or_b32_e32 v72, 1, v70
	v_fma_f32 v100, -v98, v101, v99
	v_cmp_eq_u32_e64 s4, 1, v70
	v_cmp_eq_u32_e64 s5, 2, v70
	v_cndmask_b32_e64 v95, v71, v95, s6
	v_or_b32_e32 v71, 3, v70
	v_fmac_f32_e32 v101, v100, v103
	v_cmp_eq_u32_e64 s9, 1, v72
	v_cmp_eq_u32_e64 s12, 2, v72
	v_cndmask_b32_e64 v94, v95, v94, s3
	v_cmp_eq_u32_e64 s11, 1, v71
	v_fma_f32 v97, -v98, v101, v99
	v_cmp_eq_u32_e64 s16, 2, v71
	v_cmp_eq_u32_e64 s13, 3, v72
	v_cndmask_b32_e64 v94, v94, v96, s7
	v_cmp_eq_u32_e64 s18, 3, v71
	v_div_fmas_f32 v95, v97, v103, v101
	v_cmp_eq_u32_e32 vcc_lo, 3, v70
	v_cmp_eq_u32_e64 s3, 4, v70
	v_cmp_eq_u32_e64 s19, 4, v72
	;; [unrolled: 1-line block ×3, first 2 shown]
	v_div_fixup_f32 v95, v95, v74, 1.0
	v_lshlrev_b32_e32 v73, 6, v68
	v_cmp_eq_u32_e64 s6, 5, v70
	v_cmp_eq_u32_e64 s20, 5, v72
	;; [unrolled: 1-line block ×3, first 2 shown]
	v_mul_f32_e32 v102, v94, v95
	v_lshl_or_b32 v75, v69, 11, v73
	v_or_b32_e32 v69, 2, v70
	v_cmp_eq_u32_e64 s25, 6, v72
	v_cmp_eq_u32_e64 s27, 6, v71
	v_fma_mixlo_f16 v94, v102, v79, 0
	v_fma_mixlo_f16 v95, v102, v81, 0
	;; [unrolled: 1-line block ×8, first 2 shown]
	v_lshl_or_b32 v74, v66, 4, v75
	v_fma_mixhi_f16 v94, v102, v78, 0
	v_fma_mixhi_f16 v95, v102, v80, 0
	;; [unrolled: 1-line block ×8, first 2 shown]
	ds_store_b128 v74, v[94:97]
	ds_store_b128 v74, v[98:101] offset:1024
	s_waitcnt lgkmcnt(0)
	s_barrier
	buffer_gl0_inv
	ds_load_b128 v[78:81], v75
	ds_load_b128 v[82:85], v75 offset:16
	ds_load_b128 v[86:89], v75 offset:1024
	;; [unrolled: 1-line block ×3, first 2 shown]
	v_cmp_eq_u32_e64 s10, 1, v69
	v_cmp_eq_u32_e64 s15, 2, v69
	;; [unrolled: 1-line block ×11, first 2 shown]
	s_waitcnt lgkmcnt(3)
	v_lshrrev_b32_e32 v94, 16, v78
	s_waitcnt lgkmcnt(2)
	v_lshrrev_b32_e32 v98, 16, v82
	s_waitcnt lgkmcnt(1)
	v_lshrrev_b32_e32 v102, 16, v86
	s_waitcnt lgkmcnt(0)
	v_lshrrev_b32_e32 v106, 16, v90
	v_lshrrev_b32_e32 v95, 16, v79
	v_cndmask_b32_e64 v110, v78, v94, s4
	v_cndmask_b32_e64 v111, v82, v98, s4
	;; [unrolled: 1-line block ×8, first 2 shown]
	v_lshrrev_b32_e32 v99, 16, v83
	v_cndmask_b32_e64 v94, v86, v102, s4
	v_cndmask_b32_e64 v98, v90, v106, s4
	;; [unrolled: 1-line block ×15, first 2 shown]
	v_lshrrev_b32_e32 v103, 16, v87
	v_lshrrev_b32_e32 v107, 16, v91
	v_cndmask_b32_e64 v113, v115, v83, s15
	v_cndmask_b32_e64 v82, v94, v87, s5
	;; [unrolled: 1-line block ×7, first 2 shown]
	v_cndmask_b32_e32 v90, v102, v95, vcc_lo
	v_cndmask_b32_e32 v102, v106, v99, vcc_lo
	v_cndmask_b32_e64 v106, v110, v95, s13
	v_cndmask_b32_e64 v110, v111, v99, s13
	;; [unrolled: 1-line block ×4, first 2 shown]
	v_lshrrev_b32_e32 v96, 16, v80
	v_lshrrev_b32_e32 v100, 16, v84
	v_cndmask_b32_e64 v111, v112, v95, s17
	v_cndmask_b32_e64 v112, v113, v99, s17
	v_cndmask_b32_e32 v82, v82, v103, vcc_lo
	v_cndmask_b32_e32 v83, v83, v107, vcc_lo
	v_cndmask_b32_e64 v94, v94, v103, s13
	v_cndmask_b32_e64 v90, v90, v80, s3
	;; [unrolled: 1-line block ×7, first 2 shown]
	v_lshrrev_b32_e32 v104, 16, v88
	v_cndmask_b32_e64 v106, v111, v80, s21
	v_cndmask_b32_e64 v110, v112, v84, s21
	;; [unrolled: 1-line block ×11, first 2 shown]
	v_lshrrev_b32_e32 v97, 16, v81
	v_lshrrev_b32_e32 v101, 16, v85
	v_cndmask_b32_e64 v99, v106, v96, s23
	v_cndmask_b32_e64 v102, v110, v100, s23
	;; [unrolled: 1-line block ×7, first 2 shown]
	v_lshrrev_b32_e32 v105, 16, v89
	v_cndmask_b32_e64 v80, v80, v104, s6
	v_cndmask_b32_e64 v84, v84, v81, s7
	;; [unrolled: 1-line block ×16, first 2 shown]
	v_perm_b32 v81, v79, v78, 0x5040100
	v_perm_b32 v79, v95, v85, 0x5040100
	v_cndmask_b32_e64 v78, v119, v91, s15
	v_cndmask_b32_e64 v85, v117, v91, s12
	;; [unrolled: 1-line block ×3, first 2 shown]
	v_perm_b32 v80, v94, v90, 0x5040100
	v_cndmask_b32_e64 v90, v98, v103, s17
	v_cndmask_b32_e64 v86, v86, v103, s18
	;; [unrolled: 1-line block ×5, first 2 shown]
	v_lshrrev_b32_e32 v108, 16, v92
	v_cndmask_b32_e64 v90, v90, v88, s21
	v_cndmask_b32_e64 v86, v86, v88, s22
	;; [unrolled: 1-line block ×11, first 2 shown]
	v_lshrrev_b32_e32 v109, 16, v93
	v_cndmask_b32_e64 v82, v82, v93, s7
	v_cndmask_b32_e64 v88, v88, v89, s26
	;; [unrolled: 1-line block ×12, first 2 shown]
	v_perm_b32 v78, v84, v83, 0x5040100
	v_perm_b32 v85, v87, v86, 0x5040100
	v_perm_b32 v84, v89, v88, 0x5040100
	v_perm_b32 v83, v90, v97, 0x5040100
	v_perm_b32 v82, v82, v96, 0x5040100
	s_mul_i32 s8, s33, 9
	s_mov_b32 s3, exec_lo
	ds_store_b128 v74, v[78:81]
	ds_store_b128 v74, v[82:85] offset:1024
	v_cmpx_gt_u32_e32 9, v0
	s_cbranch_execz .LBB1318_14
; %bb.13:
	s_mul_i32 s4, s8, s34
	s_delay_alu instid0(SALU_CYCLE_1) | instskip(SKIP_1) | instid1(VALU_DEP_1)
	v_add3_u32 v68, s4, s31, v68
	s_load_b128 s[4:7], s[0:1], 0x58
	v_mad_u64_u32 v[78:79], null, v68, s35, s[14:15]
	s_delay_alu instid0(VALU_DEP_1) | instskip(NEXT) | instid1(VALU_DEP_1)
	v_ashrrev_i32_e32 v79, 31, v78
	v_lshlrev_b64 v[78:79], 2, v[78:79]
	s_waitcnt lgkmcnt(0)
	s_delay_alu instid0(VALU_DEP_1) | instskip(NEXT) | instid1(VALU_DEP_2)
	v_add_co_u32 v80, vcc_lo, s6, v78
	v_add_co_ci_u32_e32 v81, vcc_lo, s7, v79, vcc_lo
	v_add_co_u32 v78, vcc_lo, s4, v78
	v_add_co_ci_u32_e32 v79, vcc_lo, s5, v79, vcc_lo
	global_store_b32 v[80:81], v76, off
	global_store_b32 v[78:79], v77, off
.LBB1318_14:
	s_or_b32 exec_lo, exec_lo, s3
	s_waitcnt lgkmcnt(0)
	s_waitcnt_vscnt null, 0x0
	s_barrier
	buffer_gl0_inv
	ds_load_b128 v[84:87], v73
	ds_load_b128 v[88:91], v73 offset:16
	ds_load_b128 v[96:99], v73 offset:2064
	;; [unrolled: 1-line block ×5, first 2 shown]
	v_cmp_eq_u32_e32 vcc_lo, 1, v70
	v_mov_b32_e32 v76, 0
	ds_load_b128 v[112:115], v73 offset:6160
	ds_load_b128 v[108:111], v73 offset:6144
	;; [unrolled: 1-line block ×4, first 2 shown]
	v_cmp_eq_u32_e64 s4, 1, v69
	v_cmp_eq_u32_e64 s3, 1, v72
	;; [unrolled: 1-line block ×3, first 2 shown]
	v_mov_b32_e32 v77, v76
	v_mov_b32_e32 v78, v76
	v_mov_b32_e32 v79, v76
	v_mov_b32_e32 v80, v76
	v_mov_b32_e32 v81, v76
	v_mov_b32_e32 v82, v76
	v_mov_b32_e32 v83, v76
	v_cmp_eq_u32_e64 s6, 3, v72
	v_cmp_eq_u32_e64 s7, 7, v72
	s_waitcnt lgkmcnt(8)
	s_delay_alu instid0(VALU_DEP_3)
	v_wmma_f32_16x16x16_f16 v[76:83], v[49:56], v[84:91], v[76:83]
	ds_load_b128 v[53:56], v73 offset:10256
	ds_load_b128 v[49:52], v73 offset:10240
	s_waitcnt lgkmcnt(8)
	v_wmma_f32_16x16x16_f16 v[76:83], v[41:48], v[92:99], v[76:83]
	ds_load_b128 v[45:48], v73 offset:12304
	ds_load_b128 v[41:44], v73 offset:12288
	s_waitcnt lgkmcnt(8)
	;; [unrolled: 4-line block ×3, first 2 shown]
	s_barrier
	buffer_gl0_inv
	v_wmma_f32_16x16x16_f16 v[76:83], v[1:8], v[108:115], v[76:83]
	s_delay_alu instid0(VALU_DEP_1) | instskip(NEXT) | instid1(VALU_DEP_1)
	v_wmma_f32_16x16x16_f16 v[76:83], v[9:16], v[116:123], v[76:83]
	v_wmma_f32_16x16x16_f16 v[76:83], v[17:24], v[49:56], v[76:83]
	s_delay_alu instid0(VALU_DEP_1) | instskip(NEXT) | instid1(VALU_DEP_1)
	v_wmma_f32_16x16x16_f16 v[76:83], v[25:32], v[41:48], v[76:83]
	v_wmma_f32_16x16x16_f16 v[76:83], v[57:64], v[33:40], v[76:83]
	s_delay_alu instid0(VALU_DEP_1) | instskip(NEXT) | instid1(VALU_DEP_2)
	v_cvt_f16_f32_e32 v1, v76
	v_cvt_f16_f32_e32 v2, v77
	s_delay_alu instid0(VALU_DEP_3) | instskip(NEXT) | instid1(VALU_DEP_4)
	v_cvt_f16_f32_e32 v3, v78
	v_cvt_f16_f32_e32 v4, v79
	;; [unrolled: 1-line block ×6, first 2 shown]
	v_pack_b32_f16 v1, v1, v2
	v_pack_b32_f16 v2, v3, v4
	v_pack_b32_f16 v3, v5, v6
	s_delay_alu instid0(VALU_DEP_4)
	v_pack_b32_f16 v4, v7, v8
	ds_store_b128 v74, v[1:4]
	s_waitcnt lgkmcnt(0)
	s_barrier
	buffer_gl0_inv
	ds_load_b128 v[1:4], v75
	ds_load_b128 v[5:8], v75 offset:16
	s_waitcnt lgkmcnt(1)
	v_lshrrev_b32_e32 v9, 16, v1
	s_waitcnt lgkmcnt(0)
	v_lshrrev_b32_e32 v13, 16, v5
	v_lshrrev_b32_e32 v10, 16, v2
	;; [unrolled: 1-line block ×4, first 2 shown]
	v_cndmask_b32_e32 v17, v1, v9, vcc_lo
	v_cndmask_b32_e32 v18, v5, v13, vcc_lo
	v_cndmask_b32_e64 v21, v1, v9, s4
	v_cmp_eq_u32_e32 vcc_lo, 1, v71
	v_cndmask_b32_e64 v22, v5, v13, s4
	v_cmp_eq_u32_e64 s4, 2, v70
	v_cndmask_b32_e64 v19, v1, v9, s3
	v_cndmask_b32_e64 v20, v5, v13, s3
	v_cndmask_b32_e32 v1, v1, v9, vcc_lo
	v_cmp_eq_u32_e64 s3, 2, v71
	v_cndmask_b32_e32 v5, v5, v13, vcc_lo
	v_cndmask_b32_e64 v9, v17, v2, s4
	v_cmp_eq_u32_e32 vcc_lo, 3, v70
	v_cndmask_b32_e64 v13, v18, v6, s4
	v_cmp_eq_u32_e64 s4, 2, v69
	v_cndmask_b32_e64 v17, v19, v2, s5
	v_cndmask_b32_e64 v18, v20, v6, s5
	v_cmp_eq_u32_e64 s5, 3, v69
	v_cndmask_b32_e64 v1, v1, v2, s3
	v_cndmask_b32_e64 v19, v21, v2, s4
	;; [unrolled: 1-line block ×4, first 2 shown]
	v_cndmask_b32_e32 v5, v9, v10, vcc_lo
	v_cndmask_b32_e32 v6, v13, v14, vcc_lo
	v_cmp_eq_u32_e32 vcc_lo, 3, v71
	v_cndmask_b32_e64 v9, v17, v10, s6
	v_cndmask_b32_e64 v13, v18, v14, s6
	;; [unrolled: 1-line block ×3, first 2 shown]
	v_cmp_eq_u32_e64 s4, 4, v70
	v_cndmask_b32_e32 v1, v1, v10, vcc_lo
	v_cndmask_b32_e32 v2, v2, v14, vcc_lo
	v_cmp_eq_u32_e32 vcc_lo, 4, v72
	v_lshrrev_b32_e32 v15, 16, v7
	v_lshrrev_b32_e32 v16, 16, v8
	v_cndmask_b32_e64 v17, v19, v10, s5
	v_cmp_eq_u32_e64 s3, 4, v71
	v_cndmask_b32_e64 v5, v5, v3, s4
	v_cndmask_b32_e64 v6, v6, v7, s4
	v_cndmask_b32_e32 v9, v9, v3, vcc_lo
	v_cmp_eq_u32_e64 s4, 5, v72
	v_cndmask_b32_e32 v10, v13, v7, vcc_lo
	v_cmp_eq_u32_e32 vcc_lo, 4, v69
	v_cmp_eq_u32_e64 s5, 5, v70
	v_cndmask_b32_e64 v2, v2, v7, s3
	v_cndmask_b32_e64 v9, v9, v11, s4
	;; [unrolled: 1-line block ×3, first 2 shown]
	v_cndmask_b32_e32 v13, v17, v3, vcc_lo
	v_cmp_eq_u32_e64 s4, 5, v69
	v_cndmask_b32_e32 v14, v18, v7, vcc_lo
	v_cndmask_b32_e64 v1, v1, v3, s3
	v_cmp_eq_u32_e32 vcc_lo, 5, v71
	v_lshrrev_b32_e32 v12, 16, v4
	v_cndmask_b32_e64 v13, v13, v11, s4
	v_cndmask_b32_e64 v3, v14, v15, s4
	v_cmp_eq_u32_e64 s4, 6, v71
	v_cndmask_b32_e32 v1, v1, v11, vcc_lo
	v_cndmask_b32_e64 v5, v5, v11, s5
	v_cmp_eq_u32_e64 s6, 6, v70
	v_cndmask_b32_e64 v6, v6, v15, s5
	v_cmp_eq_u32_e64 s5, 6, v72
	v_cmp_eq_u32_e64 s3, 6, v69
	v_cndmask_b32_e64 v1, v1, v4, s4
	v_cndmask_b32_e32 v2, v2, v15, vcc_lo
	v_cmp_eq_u32_e32 vcc_lo, 7, v71
	v_cndmask_b32_e64 v5, v5, v4, s6
	v_cndmask_b32_e64 v9, v9, v4, s5
	;; [unrolled: 1-line block ×3, first 2 shown]
	v_cmp_eq_u32_e64 s6, 7, v70
	v_cndmask_b32_e32 v1, v1, v12, vcc_lo
	v_cndmask_b32_e64 v7, v13, v4, s3
	v_cndmask_b32_e64 v3, v3, v8, s3
	;; [unrolled: 1-line block ×3, first 2 shown]
	v_cmp_eq_u32_e64 s3, 7, v69
	v_cndmask_b32_e64 v4, v10, v8, s5
	v_cndmask_b32_e64 v5, v5, v12, s6
	;; [unrolled: 1-line block ×3, first 2 shown]
	v_cndmask_b32_e32 v2, v2, v16, vcc_lo
	v_cndmask_b32_e64 v7, v7, v12, s3
	v_cndmask_b32_e64 v3, v3, v16, s3
	;; [unrolled: 1-line block ×4, first 2 shown]
	v_perm_b32 v4, v2, v1, 0x5040100
	s_mov_b32 s3, exec_lo
	v_perm_b32 v3, v3, v7, 0x5040100
	v_perm_b32 v2, v8, v9, 0x5040100
	v_perm_b32 v1, v6, v5, 0x5040100
	ds_store_b128 v74, v[1:4]
	s_waitcnt lgkmcnt(0)
	s_barrier
	buffer_gl0_inv
	v_cmpx_gt_u32_e32 32, v0
	s_cbranch_execz .LBB1318_2
; %bb.15:
	s_load_b64 s[4:5], s[0:1], 0x68
	v_lshlrev_b32_e32 v0, 10, v0
	v_lshlrev_b32_e32 v1, 4, v67
	s_lshl_b32 s0, s35, 7
	v_add_nc_u32_e32 v2, s31, v66
	s_mul_i32 s1, s0, s34
	s_delay_alu instid0(SALU_CYCLE_1) | instskip(SKIP_1) | instid1(VALU_DEP_2)
	s_mul_i32 s6, s1, s8
	v_and_or_b32 v0, 0x3800, v0, v1
	v_mul_lo_u32 v1, v2, s0
	s_ashr_i32 s7, s6, 31
	v_add_nc_u32_e32 v3, 2, v2
	s_lshl_b64 s[6:7], s[6:7], 1
	v_add_nc_u32_e32 v4, 4, v2
	v_add_nc_u32_e32 v5, 6, v2
	v_lshl_or_b32 v15, v66, 6, v0
	v_mul_lo_u32 v3, v3, s0
	v_ashrrev_i32_e32 v2, 31, v1
	v_mul_lo_u32 v19, v4, s0
	v_mul_lo_u32 v21, v5, s0
	s_waitcnt lgkmcnt(0)
	s_add_u32 s1, s4, s6
	s_addc_u32 s3, s5, s7
	s_lshl_b32 s4, s14, 7
	v_lshlrev_b64 v[5:6], 1, v[1:2]
	s_ashr_i32 s5, s4, 31
	v_ashrrev_i32_e32 v4, 31, v3
	s_lshl_b64 s[4:5], s[4:5], 1
	v_ashrrev_i32_e32 v20, 31, v19
	s_add_u32 s1, s1, s4
	s_addc_u32 s3, s3, s5
	v_add_co_u32 v1, s1, s1, v65
	s_delay_alu instid0(VALU_DEP_1) | instskip(SKIP_1) | instid1(VALU_DEP_3)
	v_add_co_ci_u32_e64 v2, null, s3, 0, s1
	v_lshlrev_b64 v[25:26], 1, v[3:4]
	v_add_co_u32 v23, vcc_lo, v1, v5
	s_delay_alu instid0(VALU_DEP_3)
	v_add_co_ci_u32_e32 v24, vcc_lo, v2, v6, vcc_lo
	ds_load_b128 v[3:6], v15
	ds_load_b128 v[7:10], v15 offset:128
	ds_load_b128 v[11:14], v15 offset:256
	;; [unrolled: 1-line block ×3, first 2 shown]
	v_ashrrev_i32_e32 v22, 31, v21
	v_lshlrev_b64 v[19:20], 1, v[19:20]
	v_add_co_u32 v25, vcc_lo, v1, v25
	v_add_co_ci_u32_e32 v26, vcc_lo, v2, v26, vcc_lo
	s_delay_alu instid0(VALU_DEP_4) | instskip(NEXT) | instid1(VALU_DEP_4)
	v_lshlrev_b64 v[21:22], 1, v[21:22]
	v_add_co_u32 v19, vcc_lo, v1, v19
	v_add_co_ci_u32_e32 v20, vcc_lo, v2, v20, vcc_lo
	s_delay_alu instid0(VALU_DEP_3) | instskip(NEXT) | instid1(VALU_DEP_4)
	v_add_co_u32 v21, vcc_lo, v1, v21
	v_add_co_ci_u32_e32 v22, vcc_lo, v2, v22, vcc_lo
	s_waitcnt lgkmcnt(3)
	global_store_b128 v[23:24], v[3:6], off
	s_waitcnt lgkmcnt(2)
	global_store_b128 v[25:26], v[7:10], off
	;; [unrolled: 2-line block ×4, first 2 shown]
	s_and_b32 exec_lo, exec_lo, s2
	s_cbranch_execz .LBB1318_2
; %bb.16:
	ds_load_b128 v[3:6], v0 offset:512
	s_add_i32 s1, s31, 8
	s_delay_alu instid0(SALU_CYCLE_1) | instskip(NEXT) | instid1(SALU_CYCLE_1)
	s_mul_i32 s0, s1, s0
	s_ashr_i32 s1, s0, 31
	s_delay_alu instid0(SALU_CYCLE_1) | instskip(NEXT) | instid1(SALU_CYCLE_1)
	s_lshl_b64 s[0:1], s[0:1], 1
	v_add_co_u32 v0, vcc_lo, v1, s0
	v_add_co_ci_u32_e32 v1, vcc_lo, s1, v2, vcc_lo
	s_waitcnt lgkmcnt(0)
	global_store_b128 v[0:1], v[3:6], off
	s_nop 0
	s_sendmsg sendmsg(MSG_DEALLOC_VGPRS)
	s_endpgm
	.section	.rodata,"a",@progbits
	.p2align	6, 0x0
	.amdhsa_kernel _Z39paged_attention_ll4mi_QKV_mfma16_kernelIDF16_hLN4vllm18Fp8KVCacheDataTypeE1EDF16_Li32ELi128ELi256ELb1ELi9EL8MFMAType0EEvPKT_PKT0_S8_ifPKiSA_SA_iPKfiiiPfSD_PS3_PT2_iSC_SC_
		.amdhsa_group_segment_fixed_size 17472
		.amdhsa_private_segment_fixed_size 0
		.amdhsa_kernarg_size 400
		.amdhsa_user_sgpr_count 13
		.amdhsa_user_sgpr_dispatch_ptr 0
		.amdhsa_user_sgpr_queue_ptr 0
		.amdhsa_user_sgpr_kernarg_segment_ptr 1
		.amdhsa_user_sgpr_dispatch_id 0
		.amdhsa_user_sgpr_private_segment_size 0
		.amdhsa_wavefront_size32 1
		.amdhsa_uses_dynamic_stack 0
		.amdhsa_enable_private_segment 0
		.amdhsa_system_sgpr_workgroup_id_x 1
		.amdhsa_system_sgpr_workgroup_id_y 1
		.amdhsa_system_sgpr_workgroup_id_z 1
		.amdhsa_system_sgpr_workgroup_info 0
		.amdhsa_system_vgpr_workitem_id 0
		.amdhsa_next_free_vgpr 150
		.amdhsa_next_free_sgpr 37
		.amdhsa_reserve_vcc 1
		.amdhsa_float_round_mode_32 0
		.amdhsa_float_round_mode_16_64 0
		.amdhsa_float_denorm_mode_32 3
		.amdhsa_float_denorm_mode_16_64 3
		.amdhsa_dx10_clamp 1
		.amdhsa_ieee_mode 1
		.amdhsa_fp16_overflow 0
		.amdhsa_workgroup_processor_mode 1
		.amdhsa_memory_ordered 1
		.amdhsa_forward_progress 0
		.amdhsa_shared_vgpr_count 0
		.amdhsa_exception_fp_ieee_invalid_op 0
		.amdhsa_exception_fp_denorm_src 0
		.amdhsa_exception_fp_ieee_div_zero 0
		.amdhsa_exception_fp_ieee_overflow 0
		.amdhsa_exception_fp_ieee_underflow 0
		.amdhsa_exception_fp_ieee_inexact 0
		.amdhsa_exception_int_div_zero 0
	.end_amdhsa_kernel
	.section	.text._Z39paged_attention_ll4mi_QKV_mfma16_kernelIDF16_hLN4vllm18Fp8KVCacheDataTypeE1EDF16_Li32ELi128ELi256ELb1ELi9EL8MFMAType0EEvPKT_PKT0_S8_ifPKiSA_SA_iPKfiiiPfSD_PS3_PT2_iSC_SC_,"axG",@progbits,_Z39paged_attention_ll4mi_QKV_mfma16_kernelIDF16_hLN4vllm18Fp8KVCacheDataTypeE1EDF16_Li32ELi128ELi256ELb1ELi9EL8MFMAType0EEvPKT_PKT0_S8_ifPKiSA_SA_iPKfiiiPfSD_PS3_PT2_iSC_SC_,comdat
.Lfunc_end1318:
	.size	_Z39paged_attention_ll4mi_QKV_mfma16_kernelIDF16_hLN4vllm18Fp8KVCacheDataTypeE1EDF16_Li32ELi128ELi256ELb1ELi9EL8MFMAType0EEvPKT_PKT0_S8_ifPKiSA_SA_iPKfiiiPfSD_PS3_PT2_iSC_SC_, .Lfunc_end1318-_Z39paged_attention_ll4mi_QKV_mfma16_kernelIDF16_hLN4vllm18Fp8KVCacheDataTypeE1EDF16_Li32ELi128ELi256ELb1ELi9EL8MFMAType0EEvPKT_PKT0_S8_ifPKiSA_SA_iPKfiiiPfSD_PS3_PT2_iSC_SC_
                                        ; -- End function
	.section	.AMDGPU.csdata,"",@progbits
; Kernel info:
; codeLenInByte = 6744
; NumSgprs: 39
; NumVgprs: 150
; ScratchSize: 0
; MemoryBound: 0
; FloatMode: 240
; IeeeMode: 1
; LDSByteSize: 17472 bytes/workgroup (compile time only)
; SGPRBlocks: 4
; VGPRBlocks: 18
; NumSGPRsForWavesPerEU: 39
; NumVGPRsForWavesPerEU: 150
; Occupancy: 9
; WaveLimiterHint : 1
; COMPUTE_PGM_RSRC2:SCRATCH_EN: 0
; COMPUTE_PGM_RSRC2:USER_SGPR: 13
; COMPUTE_PGM_RSRC2:TRAP_HANDLER: 0
; COMPUTE_PGM_RSRC2:TGID_X_EN: 1
; COMPUTE_PGM_RSRC2:TGID_Y_EN: 1
; COMPUTE_PGM_RSRC2:TGID_Z_EN: 1
; COMPUTE_PGM_RSRC2:TIDIG_COMP_CNT: 0
	.section	.text._Z39paged_attention_ll4mi_QKV_mfma16_kernelIDF16_hLN4vllm18Fp8KVCacheDataTypeE1EDF16_Li32ELi128ELi256ELb1ELi10EL8MFMAType0EEvPKT_PKT0_S8_ifPKiSA_SA_iPKfiiiPfSD_PS3_PT2_iSC_SC_,"axG",@progbits,_Z39paged_attention_ll4mi_QKV_mfma16_kernelIDF16_hLN4vllm18Fp8KVCacheDataTypeE1EDF16_Li32ELi128ELi256ELb1ELi10EL8MFMAType0EEvPKT_PKT0_S8_ifPKiSA_SA_iPKfiiiPfSD_PS3_PT2_iSC_SC_,comdat
	.protected	_Z39paged_attention_ll4mi_QKV_mfma16_kernelIDF16_hLN4vllm18Fp8KVCacheDataTypeE1EDF16_Li32ELi128ELi256ELb1ELi10EL8MFMAType0EEvPKT_PKT0_S8_ifPKiSA_SA_iPKfiiiPfSD_PS3_PT2_iSC_SC_ ; -- Begin function _Z39paged_attention_ll4mi_QKV_mfma16_kernelIDF16_hLN4vllm18Fp8KVCacheDataTypeE1EDF16_Li32ELi128ELi256ELb1ELi10EL8MFMAType0EEvPKT_PKT0_S8_ifPKiSA_SA_iPKfiiiPfSD_PS3_PT2_iSC_SC_
	.globl	_Z39paged_attention_ll4mi_QKV_mfma16_kernelIDF16_hLN4vllm18Fp8KVCacheDataTypeE1EDF16_Li32ELi128ELi256ELb1ELi10EL8MFMAType0EEvPKT_PKT0_S8_ifPKiSA_SA_iPKfiiiPfSD_PS3_PT2_iSC_SC_
	.p2align	8
	.type	_Z39paged_attention_ll4mi_QKV_mfma16_kernelIDF16_hLN4vllm18Fp8KVCacheDataTypeE1EDF16_Li32ELi128ELi256ELb1ELi10EL8MFMAType0EEvPKT_PKT0_S8_ifPKiSA_SA_iPKfiiiPfSD_PS3_PT2_iSC_SC_,@function
_Z39paged_attention_ll4mi_QKV_mfma16_kernelIDF16_hLN4vllm18Fp8KVCacheDataTypeE1EDF16_Li32ELi128ELi256ELb1ELi10EL8MFMAType0EEvPKT_PKT0_S8_ifPKiSA_SA_iPKfiiiPfSD_PS3_PT2_iSC_SC_: ; @_Z39paged_attention_ll4mi_QKV_mfma16_kernelIDF16_hLN4vllm18Fp8KVCacheDataTypeE1EDF16_Li32ELi128ELi256ELb1ELi10EL8MFMAType0EEvPKT_PKT0_S8_ifPKiSA_SA_iPKfiiiPfSD_PS3_PT2_iSC_SC_
; %bb.0:
	s_load_b64 s[4:5], s[0:1], 0x30
	s_mov_b32 s30, s13
	s_waitcnt lgkmcnt(0)
	s_cmp_lg_u64 s[4:5], 0
	s_cselect_b32 s8, -1, 0
	s_ashr_i32 s31, s13, 31
	s_cmp_eq_u64 s[4:5], 0
	s_cbranch_scc1 .LBB1319_3
; %bb.1:
	s_lshl_b64 s[2:3], s[30:31], 2
	s_delay_alu instid0(SALU_CYCLE_1) | instskip(SKIP_4) | instid1(SALU_CYCLE_1)
	s_add_u32 s2, s4, s2
	s_addc_u32 s3, s5, s3
	s_load_b64 s[2:3], s[2:3], 0x0
	s_waitcnt lgkmcnt(0)
	s_sub_i32 s2, s3, s2
	s_cmp_eq_u32 s2, 1
	s_cselect_b32 s2, -1, 0
	s_delay_alu instid0(SALU_CYCLE_1)
	s_and_not1_b32 vcc_lo, exec_lo, s2
	s_cbranch_vccz .LBB1319_4
.LBB1319_2:
	s_endpgm
.LBB1319_3:
.LBB1319_4:
	s_load_b64 s[2:3], s[0:1], 0x28
	s_lshl_b64 s[6:7], s[30:31], 2
	s_waitcnt lgkmcnt(0)
	s_add_u32 s2, s2, s6
	s_addc_u32 s3, s3, s7
	s_lshl_b32 s12, s14, 8
	s_load_b32 s24, s[2:3], 0x0
	s_waitcnt lgkmcnt(0)
	s_cmp_ge_i32 s12, s24
	s_cbranch_scc1 .LBB1319_2
; %bb.5:
	s_clause 0x1
	s_load_b128 s[20:23], s[0:1], 0x8
	s_load_b64 s[2:3], s[0:1], 0x20
	s_and_not1_b32 vcc_lo, exec_lo, s8
	s_cbranch_vccnz .LBB1319_7
; %bb.6:
	s_add_u32 s4, s4, s6
	s_addc_u32 s5, s5, s7
	s_load_b32 s5, s[4:5], 0x0
	s_branch .LBB1319_8
.LBB1319_7:
	s_mov_b32 s5, s30
.LBB1319_8:
	s_load_b128 s[16:19], s[0:1], 0x48
	v_and_b32_e32 v68, 15, v0
	v_lshrrev_b32_e32 v69, 5, v0
	v_and_b32_e32 v70, 31, v0
	v_and_b32_e32 v67, 1, v0
	v_bfe_u32 v66, v0, 4, 1
	v_lshlrev_b32_e32 v1, 3, v68
	s_mul_i32 s31, s15, 10
	s_mov_b32 s4, exec_lo
	s_delay_alu instid0(VALU_DEP_1)
	v_lshlrev_b32_e32 v65, 1, v1
	v_cmpx_gt_u32_e32 0xa0, v0
	s_cbranch_execz .LBB1319_10
; %bb.9:
	s_load_b64 s[6:7], s[0:1], 0x0
	v_lshl_or_b32 v5, v69, 1, v66
	s_waitcnt lgkmcnt(0)
	s_mul_hi_i32 s9, s5, s16
	s_mul_i32 s8, s5, s16
	v_lshlrev_b32_e32 v6, 10, v68
	s_lshl_b64 s[8:9], s[8:9], 1
	v_add_lshl_u32 v1, v5, s31, 7
	v_lshlrev_b32_e32 v5, 6, v5
	v_lshlrev_b32_e32 v7, 10, v67
	v_and_b32_e32 v6, 0x3800, v6
	s_delay_alu instid0(VALU_DEP_4) | instskip(NEXT) | instid1(VALU_DEP_2)
	v_ashrrev_i32_e32 v2, 31, v1
	v_or3_b32 v5, v6, v7, v5
	s_delay_alu instid0(VALU_DEP_2) | instskip(SKIP_2) | instid1(VALU_DEP_1)
	v_lshlrev_b64 v[1:2], 1, v[1:2]
	s_add_u32 s5, s6, s8
	s_addc_u32 s6, s7, s9
	v_add_co_u32 v1, vcc_lo, s5, v1
	s_delay_alu instid0(VALU_DEP_2) | instskip(NEXT) | instid1(VALU_DEP_2)
	v_add_co_ci_u32_e32 v2, vcc_lo, s6, v2, vcc_lo
	v_add_co_u32 v1, vcc_lo, v1, v65
	s_delay_alu instid0(VALU_DEP_2)
	v_add_co_ci_u32_e32 v2, vcc_lo, 0, v2, vcc_lo
	global_load_b128 v[1:4], v[1:2], off
	s_waitcnt vmcnt(0)
	ds_store_b128 v5, v[1:4]
.LBB1319_10:
	s_or_b32 exec_lo, exec_lo, s4
	v_and_b32_e32 v1, 0xef, v0
	s_waitcnt lgkmcnt(0)
	s_add_i32 s5, s24, 31
	s_clause 0x1
	s_load_b32 s4, s[0:1], 0x38
	s_load_b32 s33, s[0:1], 0x98
	s_ashr_i32 s6, s5, 31
	v_add_nc_u32_e32 v1, s12, v1
	s_lshr_b32 s6, s6, 27
	s_load_b32 s19, s[0:1], 0x1c
	s_add_i32 s5, s5, s6
	s_waitcnt lgkmcnt(0)
	v_ashrrev_i32_e32 v2, 31, v1
	v_or_b32_e32 v3, 16, v1
	s_ashr_i32 s13, s5, 5
	v_cmp_gt_i32_e32 vcc_lo, s24, v1
	s_add_i32 s13, s13, -1
	v_lshrrev_b32_e32 v2, 27, v2
	s_barrier
	buffer_gl0_inv
	s_mul_i32 s15, s15, s18
	v_add_nc_u32_e32 v4, v1, v2
	s_mul_i32 s4, s30, s4
	s_delay_alu instid0(SALU_CYCLE_1) | instskip(NEXT) | instid1(VALU_DEP_1)
	s_ashr_i32 s5, s4, 31
	v_ashrrev_i32_e32 v4, 5, v4
	v_add_nc_u32_e32 v2, v3, v2
	s_lshl_b64 s[4:5], s[4:5], 2
	s_delay_alu instid0(SALU_CYCLE_1) | instskip(NEXT) | instid1(VALU_DEP_2)
	s_add_u32 s16, s2, s4
	v_cndmask_b32_e32 v1, s13, v4, vcc_lo
	s_delay_alu instid0(VALU_DEP_2)
	v_ashrrev_i32_e32 v2, 5, v2
	v_cmp_gt_i32_e32 vcc_lo, s24, v3
	s_addc_u32 s25, s3, s5
	s_ashr_i32 s18, s15, 31
	s_add_u32 s2, s20, s15
	s_addc_u32 s3, s21, s18
	v_cndmask_b32_e32 v3, s13, v2, vcc_lo
	v_ashrrev_i32_e32 v2, 31, v1
	s_lshl_b32 s4, s14, 3
	s_delay_alu instid0(SALU_CYCLE_1) | instskip(NEXT) | instid1(VALU_DEP_2)
	s_ashr_i32 s5, s4, 31
	v_ashrrev_i32_e32 v4, 31, v3
	s_delay_alu instid0(VALU_DEP_2) | instskip(SKIP_1) | instid1(SALU_CYCLE_1)
	v_lshlrev_b64 v[1:2], 2, v[1:2]
	s_lshl_b64 s[4:5], s[4:5], 2
	s_add_u32 s4, s16, s4
	s_delay_alu instid0(VALU_DEP_2) | instskip(SKIP_1) | instid1(VALU_DEP_2)
	v_lshlrev_b64 v[3:4], 2, v[3:4]
	s_addc_u32 s5, s25, s5
	v_add_co_u32 v1, vcc_lo, s16, v1
	v_add_co_ci_u32_e32 v2, vcc_lo, s25, v2, vcc_lo
	s_delay_alu instid0(VALU_DEP_3) | instskip(NEXT) | instid1(VALU_DEP_4)
	v_add_co_u32 v3, vcc_lo, s16, v3
	v_add_co_ci_u32_e32 v4, vcc_lo, s25, v4, vcc_lo
	s_clause 0x1
	global_load_b32 v5, v[1:2], off
	global_load_b32 v6, v[3:4], off
	s_or_b32 s6, s12, 32
	s_delay_alu instid0(SALU_CYCLE_1) | instskip(SKIP_2) | instid1(SALU_CYCLE_1)
	s_ashr_i32 s7, s6, 5
	s_cmp_lt_i32 s6, s24
	s_cselect_b32 s6, s7, s13
	s_ashr_i32 s7, s6, 31
	s_delay_alu instid0(SALU_CYCLE_1) | instskip(NEXT) | instid1(SALU_CYCLE_1)
	s_lshl_b64 s[6:7], s[6:7], 2
	s_add_u32 s6, s16, s6
	s_addc_u32 s7, s25, s7
	s_or_b32 s8, s12, 64
	s_delay_alu instid0(SALU_CYCLE_1) | instskip(SKIP_2) | instid1(SALU_CYCLE_1)
	s_ashr_i32 s9, s8, 5
	s_cmp_lt_i32 s8, s24
	s_cselect_b32 s8, s9, s13
	s_ashr_i32 s9, s8, 31
	s_delay_alu instid0(SALU_CYCLE_1) | instskip(NEXT) | instid1(SALU_CYCLE_1)
	s_lshl_b64 s[8:9], s[8:9], 2
	s_add_u32 s8, s16, s8
	s_addc_u32 s9, s25, s9
	;; [unrolled: 10-line block ×5, first 2 shown]
	s_clause 0x5
	s_load_b32 s28, s[4:5], 0x0
	s_load_b32 s29, s[6:7], 0x0
	;; [unrolled: 1-line block ×6, first 2 shown]
	s_mov_b32 s4, 0
	s_delay_alu instid0(SALU_CYCLE_1)
	s_mov_b32 s5, s4
	s_mov_b32 s6, s4
	;; [unrolled: 1-line block ×7, first 2 shown]
	s_delay_alu instid0(SALU_CYCLE_1)
	v_dual_mov_b32 v118, s11 :: v_dual_mov_b32 v117, s10
	v_dual_mov_b32 v116, s9 :: v_dual_mov_b32 v115, s8
	v_mov_b32_e32 v113, s6
	v_dual_mov_b32 v111, s4 :: v_dual_mov_b32 v114, s7
	v_mov_b32_e32 v112, s5
	s_waitcnt vmcnt(1)
	v_mad_i64_i32 v[1:2], null, v5, s17, s[2:3]
	v_lshlrev_b32_e32 v5, 4, v68
	s_waitcnt vmcnt(0)
	v_mad_i64_i32 v[3:4], null, v6, s17, s[2:3]
	s_or_b32 s2, s12, 0xc0
	s_delay_alu instid0(SALU_CYCLE_1) | instskip(NEXT) | instid1(VALU_DEP_3)
	s_ashr_i32 s3, s2, 5
	v_add_co_u32 v1, vcc_lo, v1, v5
	s_delay_alu instid0(VALU_DEP_4) | instskip(NEXT) | instid1(VALU_DEP_3)
	v_add_co_ci_u32_e32 v2, vcc_lo, 0, v2, vcc_lo
	v_add_co_u32 v3, vcc_lo, v3, v5
	s_delay_alu instid0(VALU_DEP_4)
	v_add_co_ci_u32_e32 v4, vcc_lo, 0, v4, vcc_lo
	s_clause 0xf
	global_load_b128 v[17:20], v[1:2], off
	global_load_b128 v[21:24], v[1:2], off offset:512
	global_load_b128 v[25:28], v[3:4], off offset:256
	;; [unrolled: 1-line block ×15, first 2 shown]
	s_cmp_lt_i32 s2, s24
	v_add_nc_u32_e32 v1, -10, v68
	s_cselect_b32 s2, s3, s13
	v_cmp_gt_u32_e32 vcc_lo, 10, v68
	s_ashr_i32 s3, s2, 31
	v_lshlrev_b32_e32 v2, 5, v68
	s_lshl_b64 s[2:3], s[2:3], 2
	s_delay_alu instid0(SALU_CYCLE_1)
	s_add_u32 s2, s16, s2
	s_addc_u32 s3, s25, s3
	s_or_b32 s20, s12, 0xe0
	v_cndmask_b32_e32 v1, v1, v68, vcc_lo
	s_ashr_i32 s21, s20, 5
	s_cmp_lt_i32 s20, s24
	s_cselect_b32 s20, s21, s13
	s_delay_alu instid0(VALU_DEP_1)
	v_lshlrev_b32_e32 v149, 6, v1
	s_ashr_i32 s21, s20, 31
	v_lshl_or_b32 v1, v69, 9, v2
	s_lshl_b64 s[4:5], s[20:21], 2
	ds_load_b128 v[119:122], v149
	ds_load_b128 v[123:126], v149 offset:1024
	s_add_u32 s4, s16, s4
	s_addc_u32 s5, s25, s5
	ds_load_b128 v[127:130], v149 offset:2048
	ds_load_b128 v[131:134], v149 offset:3072
	s_clause 0x1
	s_load_b32 s2, s[2:3], 0x0
	s_load_b32 s3, s[4:5], 0x0
	s_add_u32 s6, s22, s15
	s_addc_u32 s7, s23, s18
	v_add_co_u32 v135, s6, s6, v1
	s_delay_alu instid0(VALU_DEP_1) | instskip(SKIP_1) | instid1(VALU_DEP_1)
	v_add_co_ci_u32_e64 v136, null, s7, 0, s6
	s_waitcnt lgkmcnt(0)
	v_mad_i64_i32 v[1:2], null, s28, s17, v[135:136]
	v_mad_i64_i32 v[3:4], null, s29, s17, v[135:136]
	;; [unrolled: 1-line block ×6, first 2 shown]
	s_clause 0x9
	global_load_b128 v[49:52], v[1:2], off
	global_load_b128 v[53:56], v[1:2], off offset:16
	global_load_b128 v[41:44], v[3:4], off
	global_load_b128 v[45:48], v[3:4], off offset:16
	;; [unrolled: 2-line block ×5, first 2 shown]
	v_mad_i64_i32 v[145:146], null, s2, s17, v[135:136]
	v_mad_i64_i32 v[147:148], null, s3, s17, v[135:136]
	s_waitcnt vmcnt(24)
	v_wmma_f32_16x16x16_f16 v[135:142], v[17:24], v[119:126], v[111:118]
	s_waitcnt vmcnt(22)
	v_wmma_f32_16x16x16_f16 v[111:118], v[25:32], v[119:126], v[111:118]
	s_clause 0x3
	global_load_b128 v[17:20], v[143:144], off
	global_load_b128 v[21:24], v[143:144], off offset:16
	global_load_b128 v[25:28], v[145:146], off
	global_load_b128 v[29:32], v[145:146], off offset:16
	v_and_b32_e32 v119, 0xe0, v0
	s_waitcnt vmcnt(24)
	v_wmma_f32_16x16x16_f16 v[135:142], v[57:64], v[127:134], v[135:142]
	s_clause 0x1
	global_load_b128 v[57:60], v[147:148], off
	global_load_b128 v[61:64], v[147:148], off offset:16
	s_waitcnt vmcnt(24)
	v_wmma_f32_16x16x16_f16 v[111:118], v[71:78], v[127:134], v[111:118]
	ds_load_b128 v[71:74], v149 offset:4096
	ds_load_b128 v[75:78], v149 offset:5120
	v_add_nc_u32_e32 v128, s12, v119
	ds_load_b128 v[119:122], v149 offset:6144
	ds_load_b128 v[123:126], v149 offset:7168
	v_mbcnt_lo_u32_b32 v127, -1, 0
	s_waitcnt vmcnt(0) lgkmcnt(0)
	s_barrier
	v_or_b32_e32 v128, v128, v66
	buffer_gl0_inv
	v_xor_b32_e32 v129, 16, v127
	v_or_b32_e32 v130, 4, v128
	v_or_b32_e32 v131, 6, v128
	s_delay_alu instid0(VALU_DEP_3) | instskip(SKIP_4) | instid1(VALU_DEP_4)
	v_cmp_gt_i32_e32 vcc_lo, 32, v129
	v_or_b32_e32 v132, 8, v128
	v_or_b32_e32 v133, 10, v128
	v_cmp_gt_i32_e64 s3, s24, v130
	v_cmp_gt_i32_e64 s4, s24, v131
	;; [unrolled: 1-line block ×3, first 2 shown]
	v_wmma_f32_16x16x16_f16 v[135:142], v[79:86], v[71:78], v[135:142]
	v_wmma_f32_16x16x16_f16 v[111:118], v[87:94], v[71:78], v[111:118]
	v_or_b32_e32 v79, 12, v128
	v_or_b32_e32 v80, 14, v128
	v_cmp_gt_i32_e64 s6, s24, v133
	v_wmma_f32_16x16x16_f16 v[135:142], v[95:102], v[119:126], v[135:142]
	v_wmma_f32_16x16x16_f16 v[111:118], v[103:110], v[119:126], v[111:118]
	v_cndmask_b32_e32 v127, v127, v129, vcc_lo
	v_or_b32_e32 v129, 2, v128
	v_cmp_gt_i32_e32 vcc_lo, s24, v128
	s_delay_alu instid0(VALU_DEP_4) | instskip(SKIP_1) | instid1(VALU_DEP_4)
	v_dual_mul_f32 v87, s19, v136 :: v_dual_mul_f32 v94, s19, v113
	v_mul_f32_e32 v88, s19, v135
	v_cmp_gt_i32_e64 s2, s24, v129
	v_mul_f32_e32 v78, s19, v138
	v_mul_f32_e32 v86, s19, v137
	;; [unrolled: 1-line block ×3, first 2 shown]
	v_cndmask_b32_e32 v88, 0xff7fffff, v88, vcc_lo
	v_cndmask_b32_e64 v87, 0xff7fffff, v87, s2
	v_dual_mul_f32 v77, s19, v139 :: v_dual_mul_f32 v90, s19, v117
	v_cndmask_b32_e64 v86, 0xff7fffff, v86, s3
	v_cndmask_b32_e64 v78, 0xff7fffff, v78, s4
	s_delay_alu instid0(VALU_DEP_4)
	v_max3_f32 v87, v88, 0xff7fffff, v87
	v_or_b32_e32 v81, 16, v128
	v_or_b32_e32 v82, 18, v128
	v_dual_mul_f32 v74, s19, v142 :: v_dual_mul_f32 v75, s19, v141
	v_mul_f32_e32 v96, s19, v111
	v_cndmask_b32_e64 v77, 0xff7fffff, v77, s5
	v_cndmask_b32_e64 v76, 0xff7fffff, v76, s6
	v_max3_f32 v78, v87, v86, v78
	v_cmp_gt_i32_e64 s7, s24, v79
	v_cmp_gt_i32_e64 s8, s24, v80
	v_or_b32_e32 v83, 20, v128
	v_or_b32_e32 v84, 22, v128
	v_mul_f32_e32 v95, s19, v112
	v_cndmask_b32_e64 v75, 0xff7fffff, v75, s7
	v_cndmask_b32_e64 v74, 0xff7fffff, v74, s8
	v_max3_f32 v76, v78, v77, v76
	v_cmp_gt_i32_e64 s9, s24, v81
	v_cmp_gt_i32_e64 s10, s24, v82
	v_or_b32_e32 v85, 24, v128
	v_or_b32_e32 v71, 26, v128
	;; [unrolled: 8-line block ×3, first 2 shown]
	v_dual_mul_f32 v91, s19, v116 :: v_dual_mul_f32 v92, s19, v115
	v_cndmask_b32_e64 v75, 0xff7fffff, v94, s11
	v_cndmask_b32_e64 v76, 0xff7fffff, v93, s12
	v_max3_f32 v74, v74, v77, v78
	v_cmp_gt_i32_e64 s13, s24, v85
	v_cmp_gt_i32_e64 s15, s24, v71
	v_mul_f32_e32 v89, s19, v118
	v_cmp_gt_i32_e64 s16, s24, v72
	v_max3_f32 v74, v74, v75, v76
	v_cndmask_b32_e64 v77, 0xff7fffff, v92, s13
	v_cndmask_b32_e64 v71, 0xff7fffff, v91, s15
	v_cmp_gt_i32_e64 s17, s24, v73
	v_cndmask_b32_e64 v72, 0xff7fffff, v90, s16
	s_delay_alu instid0(VALU_DEP_3) | instskip(SKIP_1) | instid1(VALU_DEP_4)
	v_max3_f32 v71, v74, v77, v71
	v_lshlrev_b32_e32 v74, 2, v127
	v_cndmask_b32_e64 v73, 0xff7fffff, v89, s17
	s_delay_alu instid0(VALU_DEP_1) | instskip(SKIP_3) | instid1(VALU_DEP_1)
	v_max3_f32 v71, v71, v72, v73
	ds_bpermute_b32 v72, v74, v71
	s_waitcnt lgkmcnt(0)
	v_max_f32_e32 v72, v72, v72
	v_max_f32_e32 v71, v71, v72
	s_delay_alu instid0(VALU_DEP_1) | instskip(SKIP_4) | instid1(VALU_DEP_4)
	v_fma_f32 v72, s19, v135, -v71
	v_fma_f32 v73, s19, v136, -v71
	;; [unrolled: 1-line block ×5, first 2 shown]
	v_dual_mul_f32 v72, 0x3fb8aa3b, v72 :: v_dual_mul_f32 v73, 0x3fb8aa3b, v73
	s_delay_alu instid0(VALU_DEP_3) | instskip(SKIP_1) | instid1(VALU_DEP_3)
	v_dual_mul_f32 v75, 0x3fb8aa3b, v75 :: v_dual_mul_f32 v76, 0x3fb8aa3b, v76
	v_fma_f32 v80, s19, v141, -v71
	v_exp_f32_e32 v72, v72
	s_delay_alu instid0(VALU_DEP_3) | instskip(NEXT) | instid1(VALU_DEP_2)
	v_exp_f32_e32 v73, v73
	v_exp_f32_e32 v75, v75
	;; [unrolled: 1-line block ×3, first 2 shown]
	v_mul_f32_e32 v82, 0x3fb8aa3b, v80
	s_delay_alu instid0(VALU_DEP_1) | instskip(SKIP_4) | instid1(TRANS32_DEP_3)
	v_exp_f32_e32 v84, v82
	v_cndmask_b32_e32 v79, 0, v72, vcc_lo
	v_fma_f32 v72, s19, v140, -v71
	v_mul_f32_e32 v77, 0x3fb8aa3b, v77
	v_cndmask_b32_e64 v78, 0, v73, s2
	v_cndmask_b32_e64 v81, 0, v75, s3
	s_delay_alu instid0(VALU_DEP_4) | instskip(NEXT) | instid1(VALU_DEP_4)
	v_dual_add_f32 v73, 0, v79 :: v_dual_mul_f32 v72, 0x3fb8aa3b, v72
	v_exp_f32_e32 v77, v77
	v_cndmask_b32_e64 v80, 0, v76, s4
	s_delay_alu instid0(TRANS32_DEP_2) | instskip(NEXT) | instid1(VALU_DEP_3)
	v_cndmask_b32_e64 v85, 0, v84, s7
	v_add_f32_e32 v73, v73, v78
	v_exp_f32_e32 v72, v72
	s_mov_b32 s2, exec_lo
	s_delay_alu instid0(VALU_DEP_1) | instskip(SKIP_4) | instid1(VALU_DEP_2)
	v_add_f32_e32 v73, v73, v81
	s_waitcnt_depctr 0xfff
	v_cndmask_b32_e64 v83, 0, v77, s5
	v_add_f32_e32 v73, v73, v80
	v_cndmask_b32_e64 v82, 0, v72, s6
	v_add_f32_e32 v72, v73, v83
	s_delay_alu instid0(VALU_DEP_1) | instskip(NEXT) | instid1(VALU_DEP_1)
	v_add_f32_e32 v72, v72, v82
	v_add_f32_e32 v72, v72, v85
	v_fma_f32 v76, s19, v111, -v71
	v_fma_f32 v75, s19, v142, -v71
	;; [unrolled: 1-line block ×5, first 2 shown]
	s_delay_alu instid0(VALU_DEP_4) | instskip(NEXT) | instid1(VALU_DEP_3)
	v_dual_mul_f32 v76, 0x3fb8aa3b, v76 :: v_dual_mul_f32 v75, 0x3fb8aa3b, v75
	v_mul_f32_e32 v86, 0x3fb8aa3b, v86
	s_delay_alu instid0(VALU_DEP_2) | instskip(NEXT) | instid1(VALU_DEP_2)
	v_exp_f32_e32 v76, v76
	v_exp_f32_e32 v75, v75
	s_delay_alu instid0(VALU_DEP_1) | instskip(NEXT) | instid1(TRANS32_DEP_3)
	v_exp_f32_e32 v88, v86
	v_cndmask_b32_e64 v87, 0, v76, s9
	v_fma_f32 v76, s19, v116, -v71
	v_mul_f32_e32 v77, 0x3fb8aa3b, v77
	s_waitcnt_depctr 0xfff
	v_cndmask_b32_e64 v84, 0, v75, s8
	v_fma_f32 v75, s19, v115, -v71
	v_cndmask_b32_e64 v88, 0, v88, s12
	v_mul_f32_e32 v76, 0x3fb8aa3b, v76
	v_exp_f32_e32 v77, v77
	v_add_f32_e32 v72, v72, v84
	s_delay_alu instid0(VALU_DEP_2) | instskip(NEXT) | instid1(VALU_DEP_1)
	v_exp_f32_e32 v76, v76
	v_add_f32_e32 v72, v72, v87
	s_waitcnt_depctr 0xfff
	v_cndmask_b32_e64 v86, 0, v77, s10
	v_mul_f32_e32 v73, 0x3fb8aa3b, v73
	v_fma_f32 v77, s19, v117, -v71
	v_cndmask_b32_e64 v90, 0, v76, s15
	s_delay_alu instid0(VALU_DEP_4) | instskip(NEXT) | instid1(VALU_DEP_4)
	v_add_f32_e32 v72, v72, v86
	v_exp_f32_e32 v73, v73
	s_waitcnt_depctr 0xfff
	v_cndmask_b32_e64 v89, 0, v73, s11
	s_delay_alu instid0(VALU_DEP_1) | instskip(NEXT) | instid1(VALU_DEP_1)
	v_dual_mul_f32 v75, 0x3fb8aa3b, v75 :: v_dual_add_f32 v72, v72, v89
	v_exp_f32_e32 v75, v75
	v_mul_f32_e32 v73, 0x3fb8aa3b, v77
	v_fma_f32 v77, s19, v118, -v71
	s_delay_alu instid0(VALU_DEP_3) | instskip(NEXT) | instid1(VALU_DEP_3)
	v_add_f32_e32 v72, v72, v88
	v_exp_f32_e32 v73, v73
	s_waitcnt_depctr 0xfff
	v_cndmask_b32_e64 v91, 0, v75, s13
	s_delay_alu instid0(VALU_DEP_1) | instskip(NEXT) | instid1(VALU_DEP_1)
	v_dual_mul_f32 v75, 0x3fb8aa3b, v77 :: v_dual_add_f32 v72, v72, v91
	v_exp_f32_e32 v75, v75
	v_cndmask_b32_e64 v93, 0, v73, s16
	s_delay_alu instid0(VALU_DEP_2) | instskip(NEXT) | instid1(VALU_DEP_1)
	v_add_f32_e32 v72, v72, v90
	v_add_f32_e32 v72, v72, v93
	s_waitcnt_depctr 0xfff
	v_cndmask_b32_e64 v92, 0, v75, s17
	s_delay_alu instid0(VALU_DEP_1)
	v_add_f32_e32 v72, v72, v92
	ds_bpermute_b32 v73, v74, v72
	v_cmpx_gt_u32_e32 16, v70
	s_cbranch_execz .LBB1319_12
; %bb.11:
	v_mul_u32_u24_e32 v70, 0x44, v69
	s_waitcnt lgkmcnt(0)
	v_add_f32_e32 v72, v72, v73
	s_delay_alu instid0(VALU_DEP_2) | instskip(NEXT) | instid1(VALU_DEP_1)
	v_lshl_add_u32 v70, v68, 2, v70
	v_add_nc_u32_e32 v70, 0x4000, v70
	ds_store_2addr_b32 v70, v71, v72 offset1:136
.LBB1319_12:
	s_or_b32 exec_lo, exec_lo, s2
	v_lshlrev_b32_e32 v70, 2, v68
	s_load_b32 s34, s[0:1], 0x94
	s_waitcnt lgkmcnt(0)
	s_barrier
	buffer_gl0_inv
	v_add_nc_u32_e32 v98, 0x4000, v70
	v_cmp_eq_u32_e32 vcc_lo, 1, v69
	v_cmp_eq_u32_e64 s2, 2, v69
	v_cmp_eq_u32_e64 s3, 3, v69
	;; [unrolled: 1-line block ×3, first 2 shown]
	ds_load_2addr_b32 v[70:71], v98 offset1:17
	ds_load_2addr_b32 v[72:73], v98 offset0:34 offset1:51
	ds_load_2addr_b32 v[74:75], v98 offset0:68 offset1:85
	;; [unrolled: 1-line block ×3, first 2 shown]
	v_cmp_eq_u32_e64 s5, 5, v69
	v_cmp_eq_u32_e64 s6, 7, v69
	s_waitcnt lgkmcnt(3)
	v_max3_f32 v76, v70, 0xff7fffff, v71
	s_waitcnt lgkmcnt(2)
	s_delay_alu instid0(VALU_DEP_1) | instskip(SKIP_1) | instid1(VALU_DEP_1)
	v_max3_f32 v76, v76, v72, v73
	s_waitcnt lgkmcnt(1)
	v_max3_f32 v76, v76, v74, v75
	s_waitcnt lgkmcnt(0)
	s_delay_alu instid0(VALU_DEP_1) | instskip(NEXT) | instid1(VALU_DEP_1)
	v_max3_f32 v76, v76, v94, v95
	v_sub_f32_e32 v77, v71, v76
	ds_load_2addr_b32 v[96:97], v98 offset0:136 offset1:153
	v_sub_f32_e32 v74, v74, v76
	v_sub_f32_e32 v70, v70, v76
	;; [unrolled: 1-line block ×3, first 2 shown]
	v_dual_sub_f32 v72, v72, v76 :: v_dual_mul_f32 v77, 0x3fb8aa3b, v77
	s_delay_alu instid0(VALU_DEP_4) | instskip(NEXT) | instid1(VALU_DEP_4)
	v_mul_f32_e32 v103, 0x3fb8aa3b, v74
	v_mul_f32_e32 v99, 0x3fb8aa3b, v70
	ds_load_2addr_b32 v[70:71], v98 offset0:170 offset1:187
	v_dual_mul_f32 v101, 0x3fb8aa3b, v72 :: v_dual_mul_f32 v94, 0x3fb8aa3b, v94
	v_exp_f32_e32 v102, v77
	v_exp_f32_e32 v99, v99
	s_delay_alu instid0(VALU_DEP_1) | instskip(NEXT) | instid1(VALU_DEP_1)
	v_exp_f32_e32 v101, v101
	v_exp_f32_e32 v94, v94
	s_waitcnt lgkmcnt(1)
	s_delay_alu instid0(TRANS32_DEP_3)
	v_fma_f32 v77, v99, v96, 0
	v_sub_f32_e32 v100, v73, v76
	ds_load_2addr_b32 v[72:73], v98 offset0:204 offset1:221
	v_fmac_f32_e32 v77, v102, v97
	v_exp_f32_e32 v97, v103
	s_waitcnt lgkmcnt(1)
	s_delay_alu instid0(VALU_DEP_1)
	v_dual_fmac_f32 v77, v101, v70 :: v_dual_sub_f32 v96, v75, v76
	ds_load_2addr_b32 v[74:75], v98 offset0:238 offset1:255
	v_sub_f32_e32 v70, v95, v76
	s_waitcnt lgkmcnt(0)
	s_barrier
	v_mul_f32_e32 v96, 0x3fb8aa3b, v96
	buffer_gl0_inv
	v_exp_f32_e32 v95, v96
	v_mul_f32_e32 v100, 0x3fb8aa3b, v100
	s_delay_alu instid0(VALU_DEP_1) | instskip(SKIP_3) | instid1(VALU_DEP_2)
	v_exp_f32_e32 v100, v100
	s_waitcnt_depctr 0xfff
	v_dual_fmac_f32 v77, v100, v71 :: v_dual_mul_f32 v70, 0x3fb8aa3b, v70
	v_cndmask_b32_e32 v71, v99, v102, vcc_lo
	v_fmac_f32_e32 v77, v97, v72
	s_delay_alu instid0(VALU_DEP_3) | instskip(NEXT) | instid1(VALU_DEP_1)
	v_exp_f32_e32 v96, v70
	v_fmac_f32_e32 v77, v95, v73
	s_delay_alu instid0(VALU_DEP_1) | instskip(SKIP_2) | instid1(VALU_DEP_1)
	v_fmac_f32_e32 v77, v94, v74
	s_waitcnt_depctr 0xfff
	v_fmac_f32_e32 v77, v96, v75
	v_add_f32_e32 v74, 0x358637bd, v77
	s_delay_alu instid0(VALU_DEP_1) | instskip(SKIP_1) | instid1(VALU_DEP_2)
	v_div_scale_f32 v98, null, v74, v74, 1.0
	v_div_scale_f32 v99, vcc_lo, 1.0, v74, 1.0
	v_rcp_f32_e32 v103, v98
	s_waitcnt_depctr 0xfff
	v_fma_f32 v70, -v98, v103, 1.0
	s_delay_alu instid0(VALU_DEP_1) | instskip(SKIP_2) | instid1(VALU_DEP_2)
	v_fmac_f32_e32 v103, v70, v103
	v_cndmask_b32_e64 v70, v71, v101, s2
	v_cmp_eq_u32_e64 s2, 6, v69
	v_cndmask_b32_e64 v71, v70, v100, s3
	s_delay_alu instid0(VALU_DEP_4) | instskip(NEXT) | instid1(VALU_DEP_2)
	v_dual_mul_f32 v101, v99, v103 :: v_dual_lshlrev_b32 v70, 2, v66
	v_cndmask_b32_e64 v71, v71, v97, s4
	s_delay_alu instid0(VALU_DEP_2) | instskip(NEXT) | instid1(VALU_DEP_3)
	v_or_b32_e32 v72, 1, v70
	v_fma_f32 v100, -v98, v101, v99
	v_cmp_eq_u32_e64 s3, 1, v70
	v_cmp_eq_u32_e64 s4, 2, v70
	v_cndmask_b32_e64 v95, v71, v95, s5
	v_or_b32_e32 v71, 3, v70
	v_fmac_f32_e32 v101, v100, v103
	v_cmp_eq_u32_e64 s8, 1, v72
	v_cmp_eq_u32_e64 s11, 2, v72
	v_cndmask_b32_e64 v94, v95, v94, s2
	v_cmp_eq_u32_e64 s10, 1, v71
	v_fma_f32 v97, -v98, v101, v99
	v_cmp_eq_u32_e64 s15, 2, v71
	v_cmp_eq_u32_e64 s12, 3, v72
	v_cndmask_b32_e64 v94, v94, v96, s6
	v_cmp_eq_u32_e64 s17, 3, v71
	v_div_fmas_f32 v95, v97, v103, v101
	v_cmp_eq_u32_e32 vcc_lo, 3, v70
	v_cmp_eq_u32_e64 s2, 4, v70
	v_cmp_eq_u32_e64 s18, 4, v72
	;; [unrolled: 1-line block ×3, first 2 shown]
	v_div_fixup_f32 v95, v95, v74, 1.0
	v_lshlrev_b32_e32 v73, 6, v68
	v_cmp_eq_u32_e64 s5, 5, v70
	v_cmp_eq_u32_e64 s19, 5, v72
	;; [unrolled: 1-line block ×3, first 2 shown]
	v_mul_f32_e32 v102, v94, v95
	v_lshl_or_b32 v75, v69, 11, v73
	v_or_b32_e32 v69, 2, v70
	v_cmp_eq_u32_e64 s24, 6, v72
	v_cmp_eq_u32_e64 s26, 6, v71
	v_fma_mixlo_f16 v94, v102, v79, 0
	v_fma_mixlo_f16 v95, v102, v81, 0
	;; [unrolled: 1-line block ×8, first 2 shown]
	v_lshl_or_b32 v74, v66, 4, v75
	v_fma_mixhi_f16 v94, v102, v78, 0
	v_fma_mixhi_f16 v95, v102, v80, 0
	;; [unrolled: 1-line block ×8, first 2 shown]
	ds_store_b128 v74, v[94:97]
	ds_store_b128 v74, v[98:101] offset:1024
	s_waitcnt lgkmcnt(0)
	s_barrier
	buffer_gl0_inv
	ds_load_b128 v[78:81], v75
	ds_load_b128 v[82:85], v75 offset:16
	ds_load_b128 v[86:89], v75 offset:1024
	;; [unrolled: 1-line block ×3, first 2 shown]
	v_cmp_eq_u32_e64 s9, 1, v69
	v_cmp_eq_u32_e64 s13, 2, v69
	;; [unrolled: 1-line block ×11, first 2 shown]
	s_waitcnt lgkmcnt(3)
	v_lshrrev_b32_e32 v94, 16, v78
	s_waitcnt lgkmcnt(2)
	v_lshrrev_b32_e32 v98, 16, v82
	;; [unrolled: 2-line block ×4, first 2 shown]
	v_lshrrev_b32_e32 v95, 16, v79
	v_cndmask_b32_e64 v110, v78, v94, s3
	v_cndmask_b32_e64 v111, v82, v98, s3
	;; [unrolled: 1-line block ×8, first 2 shown]
	v_lshrrev_b32_e32 v99, 16, v83
	v_cndmask_b32_e64 v94, v86, v102, s3
	v_cndmask_b32_e64 v98, v90, v106, s3
	;; [unrolled: 1-line block ×15, first 2 shown]
	v_lshrrev_b32_e32 v103, 16, v87
	v_lshrrev_b32_e32 v107, 16, v91
	v_cndmask_b32_e64 v113, v115, v83, s13
	v_cndmask_b32_e64 v82, v94, v87, s4
	;; [unrolled: 1-line block ×7, first 2 shown]
	v_cndmask_b32_e32 v90, v102, v95, vcc_lo
	v_cndmask_b32_e32 v102, v106, v99, vcc_lo
	v_cndmask_b32_e64 v106, v110, v95, s12
	v_cndmask_b32_e64 v110, v111, v99, s12
	;; [unrolled: 1-line block ×4, first 2 shown]
	v_lshrrev_b32_e32 v96, 16, v80
	v_lshrrev_b32_e32 v100, 16, v84
	v_cndmask_b32_e64 v111, v112, v95, s16
	v_cndmask_b32_e64 v112, v113, v99, s16
	v_cndmask_b32_e32 v82, v82, v103, vcc_lo
	v_cndmask_b32_e32 v83, v83, v107, vcc_lo
	v_cndmask_b32_e64 v94, v94, v103, s12
	v_cndmask_b32_e64 v90, v90, v80, s2
	;; [unrolled: 1-line block ×7, first 2 shown]
	v_lshrrev_b32_e32 v104, 16, v88
	v_cndmask_b32_e64 v106, v111, v80, s20
	v_cndmask_b32_e64 v110, v112, v84, s20
	;; [unrolled: 1-line block ×11, first 2 shown]
	v_lshrrev_b32_e32 v97, 16, v81
	v_lshrrev_b32_e32 v101, 16, v85
	v_cndmask_b32_e64 v99, v106, v96, s22
	v_cndmask_b32_e64 v102, v110, v100, s22
	;; [unrolled: 1-line block ×7, first 2 shown]
	v_lshrrev_b32_e32 v105, 16, v89
	v_cndmask_b32_e64 v80, v80, v104, s5
	v_cndmask_b32_e64 v84, v84, v81, s6
	v_cndmask_b32_e64 v90, v90, v85, s6
	v_cndmask_b32_e64 v96, v99, v81, s25
	v_cndmask_b32_e64 v99, v102, v85, s25
	v_cndmask_b32_e64 v81, v83, v89, s24
	v_cndmask_b32_e64 v85, v94, v97, s29
	v_cndmask_b32_e64 v78, v78, v97, s28
	v_cndmask_b32_e64 v79, v79, v101, s28
	v_cndmask_b32_e64 v95, v95, v101, s29
	v_cndmask_b32_e64 v80, v80, v89, s6
	v_cndmask_b32_e64 v83, v84, v97, s7
	v_cndmask_b32_e64 v84, v90, v101, s7
	v_cndmask_b32_e64 v90, v96, v97, s27
	v_cndmask_b32_e64 v94, v99, v101, s27
	v_cndmask_b32_e64 v97, v81, v105, s29
	v_perm_b32 v81, v79, v78, 0x5040100
	v_perm_b32 v79, v95, v85, 0x5040100
	v_cndmask_b32_e64 v78, v119, v91, s13
	v_cndmask_b32_e64 v85, v117, v91, s11
	;; [unrolled: 1-line block ×3, first 2 shown]
	v_perm_b32 v80, v94, v90, 0x5040100
	v_cndmask_b32_e64 v90, v98, v103, s16
	v_cndmask_b32_e64 v86, v86, v103, s17
	;; [unrolled: 1-line block ×5, first 2 shown]
	v_lshrrev_b32_e32 v108, 16, v92
	v_cndmask_b32_e64 v90, v90, v88, s20
	v_cndmask_b32_e64 v86, v86, v88, s21
	;; [unrolled: 1-line block ×11, first 2 shown]
	v_lshrrev_b32_e32 v109, 16, v93
	v_cndmask_b32_e64 v82, v82, v93, s6
	v_cndmask_b32_e64 v88, v88, v89, s25
	;; [unrolled: 1-line block ×12, first 2 shown]
	v_perm_b32 v78, v84, v83, 0x5040100
	v_perm_b32 v85, v87, v86, 0x5040100
	;; [unrolled: 1-line block ×5, first 2 shown]
	s_mul_i32 s7, s33, 10
	s_mov_b32 s2, exec_lo
	ds_store_b128 v74, v[78:81]
	ds_store_b128 v74, v[82:85] offset:1024
	v_cmpx_gt_u32_e32 10, v0
	s_cbranch_execz .LBB1319_14
; %bb.13:
	s_mul_i32 s3, s7, s30
	s_load_b128 s[8:11], s[0:1], 0x58
	v_add3_u32 v68, s3, s31, v68
	s_delay_alu instid0(VALU_DEP_1) | instskip(NEXT) | instid1(VALU_DEP_1)
	v_mad_u64_u32 v[78:79], null, v68, s34, s[14:15]
	v_ashrrev_i32_e32 v79, 31, v78
	s_delay_alu instid0(VALU_DEP_1) | instskip(SKIP_1) | instid1(VALU_DEP_1)
	v_lshlrev_b64 v[78:79], 2, v[78:79]
	s_waitcnt lgkmcnt(0)
	v_add_co_u32 v80, vcc_lo, s10, v78
	s_delay_alu instid0(VALU_DEP_2)
	v_add_co_ci_u32_e32 v81, vcc_lo, s11, v79, vcc_lo
	v_add_co_u32 v78, vcc_lo, s8, v78
	v_add_co_ci_u32_e32 v79, vcc_lo, s9, v79, vcc_lo
	global_store_b32 v[80:81], v76, off
	global_store_b32 v[78:79], v77, off
.LBB1319_14:
	s_or_b32 exec_lo, exec_lo, s2
	s_waitcnt lgkmcnt(0)
	s_waitcnt_vscnt null, 0x0
	s_barrier
	buffer_gl0_inv
	ds_load_b128 v[84:87], v73
	ds_load_b128 v[88:91], v73 offset:16
	ds_load_b128 v[96:99], v73 offset:2064
	;; [unrolled: 1-line block ×5, first 2 shown]
	v_cmp_eq_u32_e32 vcc_lo, 1, v70
	v_mov_b32_e32 v76, 0
	ds_load_b128 v[112:115], v73 offset:6160
	ds_load_b128 v[108:111], v73 offset:6144
	;; [unrolled: 1-line block ×4, first 2 shown]
	v_cmp_eq_u32_e64 s3, 1, v69
	v_cmp_eq_u32_e64 s2, 1, v72
	v_cmp_eq_u32_e64 s4, 2, v72
	v_mov_b32_e32 v77, v76
	v_mov_b32_e32 v78, v76
	;; [unrolled: 1-line block ×7, first 2 shown]
	v_cmp_eq_u32_e64 s5, 3, v72
	v_cmp_eq_u32_e64 s6, 7, v72
	s_waitcnt lgkmcnt(8)
	s_delay_alu instid0(VALU_DEP_3)
	v_wmma_f32_16x16x16_f16 v[76:83], v[49:56], v[84:91], v[76:83]
	ds_load_b128 v[53:56], v73 offset:10256
	ds_load_b128 v[49:52], v73 offset:10240
	s_waitcnt lgkmcnt(8)
	v_wmma_f32_16x16x16_f16 v[76:83], v[41:48], v[92:99], v[76:83]
	ds_load_b128 v[45:48], v73 offset:12304
	ds_load_b128 v[41:44], v73 offset:12288
	s_waitcnt lgkmcnt(8)
	;; [unrolled: 4-line block ×3, first 2 shown]
	s_barrier
	buffer_gl0_inv
	v_wmma_f32_16x16x16_f16 v[76:83], v[1:8], v[108:115], v[76:83]
	s_delay_alu instid0(VALU_DEP_1) | instskip(NEXT) | instid1(VALU_DEP_1)
	v_wmma_f32_16x16x16_f16 v[76:83], v[9:16], v[116:123], v[76:83]
	v_wmma_f32_16x16x16_f16 v[76:83], v[17:24], v[49:56], v[76:83]
	s_delay_alu instid0(VALU_DEP_1) | instskip(NEXT) | instid1(VALU_DEP_1)
	v_wmma_f32_16x16x16_f16 v[76:83], v[25:32], v[41:48], v[76:83]
	v_wmma_f32_16x16x16_f16 v[76:83], v[57:64], v[33:40], v[76:83]
	s_delay_alu instid0(VALU_DEP_1) | instskip(NEXT) | instid1(VALU_DEP_2)
	v_cvt_f16_f32_e32 v1, v76
	v_cvt_f16_f32_e32 v2, v77
	s_delay_alu instid0(VALU_DEP_3) | instskip(NEXT) | instid1(VALU_DEP_4)
	v_cvt_f16_f32_e32 v3, v78
	v_cvt_f16_f32_e32 v4, v79
	;; [unrolled: 1-line block ×6, first 2 shown]
	v_pack_b32_f16 v1, v1, v2
	v_pack_b32_f16 v2, v3, v4
	;; [unrolled: 1-line block ×3, first 2 shown]
	s_delay_alu instid0(VALU_DEP_4)
	v_pack_b32_f16 v4, v7, v8
	ds_store_b128 v74, v[1:4]
	s_waitcnt lgkmcnt(0)
	s_barrier
	buffer_gl0_inv
	ds_load_b128 v[1:4], v75
	ds_load_b128 v[5:8], v75 offset:16
	s_waitcnt lgkmcnt(1)
	v_lshrrev_b32_e32 v9, 16, v1
	s_waitcnt lgkmcnt(0)
	v_lshrrev_b32_e32 v13, 16, v5
	v_lshrrev_b32_e32 v10, 16, v2
	;; [unrolled: 1-line block ×4, first 2 shown]
	v_cndmask_b32_e32 v17, v1, v9, vcc_lo
	v_cndmask_b32_e32 v18, v5, v13, vcc_lo
	v_cndmask_b32_e64 v21, v1, v9, s3
	v_cmp_eq_u32_e32 vcc_lo, 1, v71
	v_cndmask_b32_e64 v22, v5, v13, s3
	v_cmp_eq_u32_e64 s3, 2, v70
	v_cndmask_b32_e64 v19, v1, v9, s2
	v_cndmask_b32_e64 v20, v5, v13, s2
	v_cndmask_b32_e32 v1, v1, v9, vcc_lo
	v_cmp_eq_u32_e64 s2, 2, v71
	v_cndmask_b32_e32 v5, v5, v13, vcc_lo
	v_cndmask_b32_e64 v9, v17, v2, s3
	v_cmp_eq_u32_e32 vcc_lo, 3, v70
	v_cndmask_b32_e64 v13, v18, v6, s3
	v_cmp_eq_u32_e64 s3, 2, v69
	v_cndmask_b32_e64 v17, v19, v2, s4
	v_cndmask_b32_e64 v18, v20, v6, s4
	v_cmp_eq_u32_e64 s4, 3, v69
	v_cndmask_b32_e64 v1, v1, v2, s2
	v_cndmask_b32_e64 v19, v21, v2, s3
	;; [unrolled: 1-line block ×4, first 2 shown]
	v_cndmask_b32_e32 v5, v9, v10, vcc_lo
	v_cndmask_b32_e32 v6, v13, v14, vcc_lo
	v_cmp_eq_u32_e32 vcc_lo, 3, v71
	v_cndmask_b32_e64 v9, v17, v10, s5
	v_cndmask_b32_e64 v13, v18, v14, s5
	;; [unrolled: 1-line block ×3, first 2 shown]
	v_cmp_eq_u32_e64 s3, 4, v70
	v_cndmask_b32_e32 v1, v1, v10, vcc_lo
	v_cndmask_b32_e32 v2, v2, v14, vcc_lo
	v_cmp_eq_u32_e32 vcc_lo, 4, v72
	v_lshrrev_b32_e32 v15, 16, v7
	v_lshrrev_b32_e32 v16, 16, v8
	v_cndmask_b32_e64 v17, v19, v10, s4
	v_cmp_eq_u32_e64 s2, 4, v71
	v_cndmask_b32_e64 v5, v5, v3, s3
	v_cndmask_b32_e64 v6, v6, v7, s3
	v_cndmask_b32_e32 v9, v9, v3, vcc_lo
	v_cmp_eq_u32_e64 s3, 5, v72
	v_cndmask_b32_e32 v10, v13, v7, vcc_lo
	v_cmp_eq_u32_e32 vcc_lo, 4, v69
	v_cmp_eq_u32_e64 s4, 5, v70
	v_cndmask_b32_e64 v2, v2, v7, s2
	v_cndmask_b32_e64 v9, v9, v11, s3
	;; [unrolled: 1-line block ×3, first 2 shown]
	v_cndmask_b32_e32 v13, v17, v3, vcc_lo
	v_cmp_eq_u32_e64 s3, 5, v69
	v_cndmask_b32_e32 v14, v18, v7, vcc_lo
	v_cndmask_b32_e64 v1, v1, v3, s2
	v_cmp_eq_u32_e32 vcc_lo, 5, v71
	v_lshrrev_b32_e32 v12, 16, v4
	v_cndmask_b32_e64 v13, v13, v11, s3
	v_cndmask_b32_e64 v3, v14, v15, s3
	v_cmp_eq_u32_e64 s3, 6, v71
	v_cndmask_b32_e32 v1, v1, v11, vcc_lo
	v_cndmask_b32_e64 v5, v5, v11, s4
	v_cmp_eq_u32_e64 s5, 6, v70
	v_cndmask_b32_e64 v6, v6, v15, s4
	v_cmp_eq_u32_e64 s4, 6, v72
	v_cmp_eq_u32_e64 s2, 6, v69
	v_cndmask_b32_e64 v1, v1, v4, s3
	v_cndmask_b32_e32 v2, v2, v15, vcc_lo
	v_cmp_eq_u32_e32 vcc_lo, 7, v71
	v_cndmask_b32_e64 v5, v5, v4, s5
	v_cndmask_b32_e64 v9, v9, v4, s4
	v_cndmask_b32_e64 v6, v6, v8, s5
	v_cmp_eq_u32_e64 s5, 7, v70
	v_cndmask_b32_e32 v1, v1, v12, vcc_lo
	v_cndmask_b32_e64 v7, v13, v4, s2
	v_cndmask_b32_e64 v3, v3, v8, s2
	;; [unrolled: 1-line block ×3, first 2 shown]
	v_cmp_eq_u32_e64 s2, 7, v69
	v_cndmask_b32_e64 v4, v10, v8, s4
	v_cndmask_b32_e64 v5, v5, v12, s5
	;; [unrolled: 1-line block ×3, first 2 shown]
	v_cndmask_b32_e32 v2, v2, v16, vcc_lo
	v_cndmask_b32_e64 v7, v7, v12, s2
	v_cndmask_b32_e64 v3, v3, v16, s2
	;; [unrolled: 1-line block ×4, first 2 shown]
	v_perm_b32 v4, v2, v1, 0x5040100
	s_mov_b32 s2, exec_lo
	v_perm_b32 v3, v3, v7, 0x5040100
	v_perm_b32 v2, v8, v9, 0x5040100
	v_perm_b32 v1, v6, v5, 0x5040100
	ds_store_b128 v74, v[1:4]
	s_waitcnt lgkmcnt(0)
	s_barrier
	buffer_gl0_inv
	v_cmpx_gt_u32_e32 32, v0
	s_cbranch_execz .LBB1319_2
; %bb.15:
	s_load_b64 s[0:1], s[0:1], 0x68
	s_lshl_b32 s4, s34, 7
	v_or_b32_e32 v2, s31, v66
	s_mul_i32 s2, s4, s30
	v_lshlrev_b32_e32 v0, 10, v0
	s_mul_i32 s2, s2, s7
	v_lshlrev_b32_e32 v1, 4, v67
	s_ashr_i32 s3, s2, 31
	v_mul_lo_u32 v20, v2, s4
	s_lshl_b64 s[2:3], s[2:3], 1
	v_lshlrev_b32_e32 v3, 6, v66
	v_and_b32_e32 v0, 0x3800, v0
	s_delay_alu instid0(VALU_DEP_1) | instskip(NEXT) | instid1(VALU_DEP_4)
	v_or3_b32 v16, v0, v1, v3
	v_ashrrev_i32_e32 v21, 31, v20
	ds_load_b128 v[0:3], v16
	ds_load_b128 v[4:7], v16 offset:128
	s_waitcnt lgkmcnt(0)
	s_add_u32 s2, s0, s2
	s_addc_u32 s3, s1, s3
	s_lshl_b32 s0, s14, 7
	ds_load_b128 v[8:11], v16 offset:256
	ds_load_b128 v[12:15], v16 offset:384
	;; [unrolled: 1-line block ×3, first 2 shown]
	s_ashr_i32 s1, s0, 31
	s_delay_alu instid0(SALU_CYCLE_1) | instskip(NEXT) | instid1(SALU_CYCLE_1)
	s_lshl_b64 s[0:1], s[0:1], 1
	s_add_u32 s0, s2, s0
	s_addc_u32 s1, s3, s1
	s_lshl_b32 s2, s34, 8
	v_add_co_u32 v30, s0, s0, v65
	v_add_nc_u32_e32 v22, s2, v20
	v_lshlrev_b64 v[20:21], 1, v[20:21]
	v_add_co_ci_u32_e64 v31, null, s1, 0, s0
	s_delay_alu instid0(VALU_DEP_3) | instskip(SKIP_1) | instid1(VALU_DEP_4)
	v_add_nc_u32_e32 v24, s2, v22
	v_ashrrev_i32_e32 v23, 31, v22
	v_add_co_u32 v20, vcc_lo, v30, v20
	s_delay_alu instid0(VALU_DEP_4) | instskip(NEXT) | instid1(VALU_DEP_4)
	v_add_co_ci_u32_e32 v21, vcc_lo, v31, v21, vcc_lo
	v_add_nc_u32_e32 v26, s2, v24
	v_ashrrev_i32_e32 v25, 31, v24
	v_lshlrev_b64 v[22:23], 1, v[22:23]
	s_delay_alu instid0(VALU_DEP_3) | instskip(SKIP_1) | instid1(VALU_DEP_4)
	v_add_nc_u32_e32 v28, s2, v26
	v_ashrrev_i32_e32 v27, 31, v26
	v_lshlrev_b64 v[24:25], 1, v[24:25]
	s_delay_alu instid0(VALU_DEP_4) | instskip(NEXT) | instid1(VALU_DEP_4)
	v_add_co_u32 v22, vcc_lo, v30, v22
	v_ashrrev_i32_e32 v29, 31, v28
	s_delay_alu instid0(VALU_DEP_4) | instskip(SKIP_2) | instid1(VALU_DEP_4)
	v_lshlrev_b64 v[26:27], 1, v[26:27]
	v_add_co_ci_u32_e32 v23, vcc_lo, v31, v23, vcc_lo
	v_add_co_u32 v24, vcc_lo, v30, v24
	v_lshlrev_b64 v[28:29], 1, v[28:29]
	v_add_co_ci_u32_e32 v25, vcc_lo, v31, v25, vcc_lo
	v_add_co_u32 v26, vcc_lo, v30, v26
	v_add_co_ci_u32_e32 v27, vcc_lo, v31, v27, vcc_lo
	s_delay_alu instid0(VALU_DEP_4)
	v_add_co_u32 v28, vcc_lo, v30, v28
	v_add_co_ci_u32_e32 v29, vcc_lo, v31, v29, vcc_lo
	s_clause 0x1
	global_store_b128 v[20:21], v[0:3], off
	global_store_b128 v[22:23], v[4:7], off
	s_waitcnt lgkmcnt(2)
	global_store_b128 v[24:25], v[8:11], off
	s_waitcnt lgkmcnt(1)
	;; [unrolled: 2-line block ×3, first 2 shown]
	global_store_b128 v[28:29], v[16:19], off
	s_nop 0
	s_sendmsg sendmsg(MSG_DEALLOC_VGPRS)
	s_endpgm
	.section	.rodata,"a",@progbits
	.p2align	6, 0x0
	.amdhsa_kernel _Z39paged_attention_ll4mi_QKV_mfma16_kernelIDF16_hLN4vllm18Fp8KVCacheDataTypeE1EDF16_Li32ELi128ELi256ELb1ELi10EL8MFMAType0EEvPKT_PKT0_S8_ifPKiSA_SA_iPKfiiiPfSD_PS3_PT2_iSC_SC_
		.amdhsa_group_segment_fixed_size 17472
		.amdhsa_private_segment_fixed_size 0
		.amdhsa_kernarg_size 400
		.amdhsa_user_sgpr_count 13
		.amdhsa_user_sgpr_dispatch_ptr 0
		.amdhsa_user_sgpr_queue_ptr 0
		.amdhsa_user_sgpr_kernarg_segment_ptr 1
		.amdhsa_user_sgpr_dispatch_id 0
		.amdhsa_user_sgpr_private_segment_size 0
		.amdhsa_wavefront_size32 1
		.amdhsa_uses_dynamic_stack 0
		.amdhsa_enable_private_segment 0
		.amdhsa_system_sgpr_workgroup_id_x 1
		.amdhsa_system_sgpr_workgroup_id_y 1
		.amdhsa_system_sgpr_workgroup_id_z 1
		.amdhsa_system_sgpr_workgroup_info 0
		.amdhsa_system_vgpr_workitem_id 0
		.amdhsa_next_free_vgpr 150
		.amdhsa_next_free_sgpr 37
		.amdhsa_reserve_vcc 1
		.amdhsa_float_round_mode_32 0
		.amdhsa_float_round_mode_16_64 0
		.amdhsa_float_denorm_mode_32 3
		.amdhsa_float_denorm_mode_16_64 3
		.amdhsa_dx10_clamp 1
		.amdhsa_ieee_mode 1
		.amdhsa_fp16_overflow 0
		.amdhsa_workgroup_processor_mode 1
		.amdhsa_memory_ordered 1
		.amdhsa_forward_progress 0
		.amdhsa_shared_vgpr_count 0
		.amdhsa_exception_fp_ieee_invalid_op 0
		.amdhsa_exception_fp_denorm_src 0
		.amdhsa_exception_fp_ieee_div_zero 0
		.amdhsa_exception_fp_ieee_overflow 0
		.amdhsa_exception_fp_ieee_underflow 0
		.amdhsa_exception_fp_ieee_inexact 0
		.amdhsa_exception_int_div_zero 0
	.end_amdhsa_kernel
	.section	.text._Z39paged_attention_ll4mi_QKV_mfma16_kernelIDF16_hLN4vllm18Fp8KVCacheDataTypeE1EDF16_Li32ELi128ELi256ELb1ELi10EL8MFMAType0EEvPKT_PKT0_S8_ifPKiSA_SA_iPKfiiiPfSD_PS3_PT2_iSC_SC_,"axG",@progbits,_Z39paged_attention_ll4mi_QKV_mfma16_kernelIDF16_hLN4vllm18Fp8KVCacheDataTypeE1EDF16_Li32ELi128ELi256ELb1ELi10EL8MFMAType0EEvPKT_PKT0_S8_ifPKiSA_SA_iPKfiiiPfSD_PS3_PT2_iSC_SC_,comdat
.Lfunc_end1319:
	.size	_Z39paged_attention_ll4mi_QKV_mfma16_kernelIDF16_hLN4vllm18Fp8KVCacheDataTypeE1EDF16_Li32ELi128ELi256ELb1ELi10EL8MFMAType0EEvPKT_PKT0_S8_ifPKiSA_SA_iPKfiiiPfSD_PS3_PT2_iSC_SC_, .Lfunc_end1319-_Z39paged_attention_ll4mi_QKV_mfma16_kernelIDF16_hLN4vllm18Fp8KVCacheDataTypeE1EDF16_Li32ELi128ELi256ELb1ELi10EL8MFMAType0EEvPKT_PKT0_S8_ifPKiSA_SA_iPKfiiiPfSD_PS3_PT2_iSC_SC_
                                        ; -- End function
	.section	.AMDGPU.csdata,"",@progbits
; Kernel info:
; codeLenInByte = 6708
; NumSgprs: 39
; NumVgprs: 150
; ScratchSize: 0
; MemoryBound: 0
; FloatMode: 240
; IeeeMode: 1
; LDSByteSize: 17472 bytes/workgroup (compile time only)
; SGPRBlocks: 4
; VGPRBlocks: 18
; NumSGPRsForWavesPerEU: 39
; NumVGPRsForWavesPerEU: 150
; Occupancy: 9
; WaveLimiterHint : 1
; COMPUTE_PGM_RSRC2:SCRATCH_EN: 0
; COMPUTE_PGM_RSRC2:USER_SGPR: 13
; COMPUTE_PGM_RSRC2:TRAP_HANDLER: 0
; COMPUTE_PGM_RSRC2:TGID_X_EN: 1
; COMPUTE_PGM_RSRC2:TGID_Y_EN: 1
; COMPUTE_PGM_RSRC2:TGID_Z_EN: 1
; COMPUTE_PGM_RSRC2:TIDIG_COMP_CNT: 0
	.section	.text._Z39paged_attention_ll4mi_QKV_mfma16_kernelIDF16_hLN4vllm18Fp8KVCacheDataTypeE1EDF16_Li32ELi128ELi256ELb1ELi11EL8MFMAType0EEvPKT_PKT0_S8_ifPKiSA_SA_iPKfiiiPfSD_PS3_PT2_iSC_SC_,"axG",@progbits,_Z39paged_attention_ll4mi_QKV_mfma16_kernelIDF16_hLN4vllm18Fp8KVCacheDataTypeE1EDF16_Li32ELi128ELi256ELb1ELi11EL8MFMAType0EEvPKT_PKT0_S8_ifPKiSA_SA_iPKfiiiPfSD_PS3_PT2_iSC_SC_,comdat
	.protected	_Z39paged_attention_ll4mi_QKV_mfma16_kernelIDF16_hLN4vllm18Fp8KVCacheDataTypeE1EDF16_Li32ELi128ELi256ELb1ELi11EL8MFMAType0EEvPKT_PKT0_S8_ifPKiSA_SA_iPKfiiiPfSD_PS3_PT2_iSC_SC_ ; -- Begin function _Z39paged_attention_ll4mi_QKV_mfma16_kernelIDF16_hLN4vllm18Fp8KVCacheDataTypeE1EDF16_Li32ELi128ELi256ELb1ELi11EL8MFMAType0EEvPKT_PKT0_S8_ifPKiSA_SA_iPKfiiiPfSD_PS3_PT2_iSC_SC_
	.globl	_Z39paged_attention_ll4mi_QKV_mfma16_kernelIDF16_hLN4vllm18Fp8KVCacheDataTypeE1EDF16_Li32ELi128ELi256ELb1ELi11EL8MFMAType0EEvPKT_PKT0_S8_ifPKiSA_SA_iPKfiiiPfSD_PS3_PT2_iSC_SC_
	.p2align	8
	.type	_Z39paged_attention_ll4mi_QKV_mfma16_kernelIDF16_hLN4vllm18Fp8KVCacheDataTypeE1EDF16_Li32ELi128ELi256ELb1ELi11EL8MFMAType0EEvPKT_PKT0_S8_ifPKiSA_SA_iPKfiiiPfSD_PS3_PT2_iSC_SC_,@function
_Z39paged_attention_ll4mi_QKV_mfma16_kernelIDF16_hLN4vllm18Fp8KVCacheDataTypeE1EDF16_Li32ELi128ELi256ELb1ELi11EL8MFMAType0EEvPKT_PKT0_S8_ifPKiSA_SA_iPKfiiiPfSD_PS3_PT2_iSC_SC_: ; @_Z39paged_attention_ll4mi_QKV_mfma16_kernelIDF16_hLN4vllm18Fp8KVCacheDataTypeE1EDF16_Li32ELi128ELi256ELb1ELi11EL8MFMAType0EEvPKT_PKT0_S8_ifPKiSA_SA_iPKfiiiPfSD_PS3_PT2_iSC_SC_
; %bb.0:
	s_load_b64 s[4:5], s[0:1], 0x30
	s_mov_b32 s34, s13
	s_waitcnt lgkmcnt(0)
	s_cmp_lg_u64 s[4:5], 0
	s_cselect_b32 s8, -1, 0
	s_ashr_i32 s35, s13, 31
	s_cmp_eq_u64 s[4:5], 0
	s_cbranch_scc1 .LBB1320_3
; %bb.1:
	s_lshl_b64 s[2:3], s[34:35], 2
	s_delay_alu instid0(SALU_CYCLE_1) | instskip(SKIP_4) | instid1(SALU_CYCLE_1)
	s_add_u32 s2, s4, s2
	s_addc_u32 s3, s5, s3
	s_load_b64 s[2:3], s[2:3], 0x0
	s_waitcnt lgkmcnt(0)
	s_sub_i32 s2, s3, s2
	s_cmp_eq_u32 s2, 1
	s_cselect_b32 s2, -1, 0
	s_delay_alu instid0(SALU_CYCLE_1)
	s_and_not1_b32 vcc_lo, exec_lo, s2
	s_cbranch_vccz .LBB1320_4
.LBB1320_2:
	s_nop 0
	s_sendmsg sendmsg(MSG_DEALLOC_VGPRS)
	s_endpgm
.LBB1320_3:
.LBB1320_4:
	s_load_b64 s[2:3], s[0:1], 0x28
	s_lshl_b64 s[6:7], s[34:35], 2
	s_waitcnt lgkmcnt(0)
	s_add_u32 s2, s2, s6
	s_addc_u32 s3, s3, s7
	s_lshl_b32 s12, s14, 8
	s_load_b32 s24, s[2:3], 0x0
	s_waitcnt lgkmcnt(0)
	s_cmp_ge_i32 s12, s24
	s_cbranch_scc1 .LBB1320_2
; %bb.5:
	s_clause 0x1
	s_load_b128 s[20:23], s[0:1], 0x8
	s_load_b64 s[2:3], s[0:1], 0x20
	s_and_not1_b32 vcc_lo, exec_lo, s8
	s_cbranch_vccnz .LBB1320_7
; %bb.6:
	s_add_u32 s4, s4, s6
	s_addc_u32 s5, s5, s7
	s_load_b32 s5, s[4:5], 0x0
	s_branch .LBB1320_8
.LBB1320_7:
	s_mov_b32 s5, s34
.LBB1320_8:
	s_load_b128 s[16:19], s[0:1], 0x48
	v_and_b32_e32 v68, 15, v0
	v_lshrrev_b32_e32 v69, 5, v0
	v_bfe_u32 v66, v0, 4, 1
	v_and_b32_e32 v70, 31, v0
	v_and_b32_e32 v67, 1, v0
	v_lshlrev_b32_e32 v2, 3, v68
	s_mul_i32 s31, s15, 11
	v_lshl_or_b32 v1, v69, 1, v66
	s_mov_b32 s4, exec_lo
	s_delay_alu instid0(VALU_DEP_2) | instskip(NEXT) | instid1(VALU_DEP_2)
	v_lshlrev_b32_e32 v65, 1, v2
	v_cmpx_gt_u32_e32 11, v1
	s_cbranch_execz .LBB1320_10
; %bb.9:
	s_load_b64 s[6:7], s[0:1], 0x0
	v_add_lshl_u32 v2, v1, s31, 7
	s_waitcnt lgkmcnt(0)
	s_mul_hi_i32 s9, s5, s16
	s_mul_i32 s8, s5, s16
	v_lshlrev_b32_e32 v6, 10, v68
	s_lshl_b64 s[8:9], s[8:9], 1
	v_ashrrev_i32_e32 v3, 31, v2
	v_lshlrev_b32_e32 v1, 6, v1
	v_lshlrev_b32_e32 v7, 10, v67
	v_and_b32_e32 v6, 0x3800, v6
	s_delay_alu instid0(VALU_DEP_4) | instskip(NEXT) | instid1(VALU_DEP_2)
	v_lshlrev_b64 v[2:3], 1, v[2:3]
	v_or3_b32 v1, v6, v7, v1
	s_add_u32 s5, s6, s8
	s_addc_u32 s6, s7, s9
	s_delay_alu instid0(VALU_DEP_2) | instskip(NEXT) | instid1(VALU_DEP_3)
	v_add_co_u32 v2, vcc_lo, s5, v2
	v_add_co_ci_u32_e32 v3, vcc_lo, s6, v3, vcc_lo
	s_delay_alu instid0(VALU_DEP_2) | instskip(NEXT) | instid1(VALU_DEP_2)
	v_add_co_u32 v2, vcc_lo, v2, v65
	v_add_co_ci_u32_e32 v3, vcc_lo, 0, v3, vcc_lo
	global_load_b128 v[2:5], v[2:3], off
	s_waitcnt vmcnt(0)
	ds_store_b128 v1, v[2:5]
.LBB1320_10:
	s_or_b32 exec_lo, exec_lo, s4
	v_and_b32_e32 v1, 0xef, v0
	s_waitcnt lgkmcnt(0)
	s_add_i32 s5, s24, 31
	s_clause 0x1
	s_load_b32 s4, s[0:1], 0x38
	s_load_b32 s33, s[0:1], 0x98
	s_ashr_i32 s6, s5, 31
	v_add_nc_u32_e32 v1, s12, v1
	s_lshr_b32 s6, s6, 27
	s_load_b32 s19, s[0:1], 0x1c
	s_add_i32 s5, s5, s6
	s_waitcnt lgkmcnt(0)
	v_ashrrev_i32_e32 v2, 31, v1
	v_or_b32_e32 v3, 16, v1
	s_ashr_i32 s13, s5, 5
	v_cmp_gt_i32_e32 vcc_lo, s24, v1
	s_add_i32 s13, s13, -1
	v_lshrrev_b32_e32 v2, 27, v2
	s_barrier
	buffer_gl0_inv
	s_mul_i32 s15, s15, s18
	v_add_nc_u32_e32 v4, v1, v2
	s_mul_i32 s4, s34, s4
	s_delay_alu instid0(SALU_CYCLE_1) | instskip(NEXT) | instid1(VALU_DEP_1)
	s_ashr_i32 s5, s4, 31
	v_ashrrev_i32_e32 v4, 5, v4
	v_add_nc_u32_e32 v2, v3, v2
	s_lshl_b64 s[4:5], s[4:5], 2
	s_delay_alu instid0(SALU_CYCLE_1) | instskip(NEXT) | instid1(VALU_DEP_2)
	s_add_u32 s16, s2, s4
	v_cndmask_b32_e32 v1, s13, v4, vcc_lo
	s_delay_alu instid0(VALU_DEP_2)
	v_ashrrev_i32_e32 v2, 5, v2
	v_cmp_gt_i32_e32 vcc_lo, s24, v3
	s_addc_u32 s25, s3, s5
	s_ashr_i32 s18, s15, 31
	s_add_u32 s2, s20, s15
	s_addc_u32 s3, s21, s18
	v_cndmask_b32_e32 v3, s13, v2, vcc_lo
	v_ashrrev_i32_e32 v2, 31, v1
	s_lshl_b32 s4, s14, 3
	s_delay_alu instid0(SALU_CYCLE_1) | instskip(NEXT) | instid1(VALU_DEP_2)
	s_ashr_i32 s5, s4, 31
	v_ashrrev_i32_e32 v4, 31, v3
	s_delay_alu instid0(VALU_DEP_2) | instskip(SKIP_1) | instid1(SALU_CYCLE_1)
	v_lshlrev_b64 v[1:2], 2, v[1:2]
	s_lshl_b64 s[4:5], s[4:5], 2
	s_add_u32 s4, s16, s4
	s_delay_alu instid0(VALU_DEP_2) | instskip(SKIP_1) | instid1(VALU_DEP_2)
	v_lshlrev_b64 v[3:4], 2, v[3:4]
	s_addc_u32 s5, s25, s5
	v_add_co_u32 v1, vcc_lo, s16, v1
	v_add_co_ci_u32_e32 v2, vcc_lo, s25, v2, vcc_lo
	s_delay_alu instid0(VALU_DEP_3) | instskip(NEXT) | instid1(VALU_DEP_4)
	v_add_co_u32 v3, vcc_lo, s16, v3
	v_add_co_ci_u32_e32 v4, vcc_lo, s25, v4, vcc_lo
	s_clause 0x1
	global_load_b32 v5, v[1:2], off
	global_load_b32 v6, v[3:4], off
	s_or_b32 s6, s12, 32
	s_delay_alu instid0(SALU_CYCLE_1) | instskip(SKIP_2) | instid1(SALU_CYCLE_1)
	s_ashr_i32 s7, s6, 5
	s_cmp_lt_i32 s6, s24
	s_cselect_b32 s6, s7, s13
	s_ashr_i32 s7, s6, 31
	s_delay_alu instid0(SALU_CYCLE_1) | instskip(NEXT) | instid1(SALU_CYCLE_1)
	s_lshl_b64 s[6:7], s[6:7], 2
	s_add_u32 s6, s16, s6
	s_addc_u32 s7, s25, s7
	s_or_b32 s8, s12, 64
	s_delay_alu instid0(SALU_CYCLE_1) | instskip(SKIP_2) | instid1(SALU_CYCLE_1)
	s_ashr_i32 s9, s8, 5
	s_cmp_lt_i32 s8, s24
	s_cselect_b32 s8, s9, s13
	s_ashr_i32 s9, s8, 31
	s_delay_alu instid0(SALU_CYCLE_1) | instskip(NEXT) | instid1(SALU_CYCLE_1)
	s_lshl_b64 s[8:9], s[8:9], 2
	s_add_u32 s8, s16, s8
	s_addc_u32 s9, s25, s9
	;; [unrolled: 10-line block ×5, first 2 shown]
	s_clause 0x5
	s_load_b32 s28, s[4:5], 0x0
	s_load_b32 s29, s[6:7], 0x0
	;; [unrolled: 1-line block ×6, first 2 shown]
	s_mov_b32 s4, 0
	s_delay_alu instid0(SALU_CYCLE_1)
	s_mov_b32 s5, s4
	s_mov_b32 s6, s4
	;; [unrolled: 1-line block ×7, first 2 shown]
	s_delay_alu instid0(SALU_CYCLE_1)
	v_dual_mov_b32 v118, s11 :: v_dual_mov_b32 v117, s10
	v_dual_mov_b32 v116, s9 :: v_dual_mov_b32 v115, s8
	v_mov_b32_e32 v113, s6
	v_dual_mov_b32 v111, s4 :: v_dual_mov_b32 v114, s7
	v_mov_b32_e32 v112, s5
	s_waitcnt vmcnt(1)
	v_mad_i64_i32 v[1:2], null, v5, s17, s[2:3]
	v_lshlrev_b32_e32 v5, 4, v68
	s_waitcnt vmcnt(0)
	v_mad_i64_i32 v[3:4], null, v6, s17, s[2:3]
	s_or_b32 s2, s12, 0xc0
	s_delay_alu instid0(SALU_CYCLE_1) | instskip(NEXT) | instid1(VALU_DEP_3)
	s_ashr_i32 s3, s2, 5
	v_add_co_u32 v1, vcc_lo, v1, v5
	s_delay_alu instid0(VALU_DEP_4) | instskip(NEXT) | instid1(VALU_DEP_3)
	v_add_co_ci_u32_e32 v2, vcc_lo, 0, v2, vcc_lo
	v_add_co_u32 v3, vcc_lo, v3, v5
	s_delay_alu instid0(VALU_DEP_4)
	v_add_co_ci_u32_e32 v4, vcc_lo, 0, v4, vcc_lo
	s_clause 0xf
	global_load_b128 v[17:20], v[1:2], off
	global_load_b128 v[21:24], v[1:2], off offset:512
	global_load_b128 v[25:28], v[3:4], off offset:256
	;; [unrolled: 1-line block ×15, first 2 shown]
	s_cmp_lt_i32 s2, s24
	v_add_nc_u32_e32 v1, -11, v68
	s_cselect_b32 s2, s3, s13
	v_cmp_gt_u32_e32 vcc_lo, 11, v68
	s_ashr_i32 s3, s2, 31
	v_lshlrev_b32_e32 v2, 5, v68
	s_lshl_b64 s[2:3], s[2:3], 2
	s_delay_alu instid0(SALU_CYCLE_1)
	s_add_u32 s2, s16, s2
	s_addc_u32 s3, s25, s3
	s_or_b32 s20, s12, 0xe0
	v_cndmask_b32_e32 v1, v1, v68, vcc_lo
	s_ashr_i32 s21, s20, 5
	s_cmp_lt_i32 s20, s24
	s_cselect_b32 s20, s21, s13
	s_delay_alu instid0(VALU_DEP_1)
	v_lshlrev_b32_e32 v149, 6, v1
	s_ashr_i32 s21, s20, 31
	v_lshl_or_b32 v1, v69, 9, v2
	s_lshl_b64 s[4:5], s[20:21], 2
	ds_load_b128 v[119:122], v149
	ds_load_b128 v[123:126], v149 offset:1024
	s_add_u32 s4, s16, s4
	s_addc_u32 s5, s25, s5
	ds_load_b128 v[127:130], v149 offset:2048
	ds_load_b128 v[131:134], v149 offset:3072
	s_clause 0x1
	s_load_b32 s2, s[2:3], 0x0
	s_load_b32 s3, s[4:5], 0x0
	s_add_u32 s6, s22, s15
	s_addc_u32 s7, s23, s18
	v_add_co_u32 v135, s6, s6, v1
	s_delay_alu instid0(VALU_DEP_1) | instskip(SKIP_1) | instid1(VALU_DEP_1)
	v_add_co_ci_u32_e64 v136, null, s7, 0, s6
	s_waitcnt lgkmcnt(0)
	v_mad_i64_i32 v[1:2], null, s28, s17, v[135:136]
	v_mad_i64_i32 v[3:4], null, s29, s17, v[135:136]
	;; [unrolled: 1-line block ×6, first 2 shown]
	s_clause 0x9
	global_load_b128 v[49:52], v[1:2], off
	global_load_b128 v[53:56], v[1:2], off offset:16
	global_load_b128 v[41:44], v[3:4], off
	global_load_b128 v[45:48], v[3:4], off offset:16
	;; [unrolled: 2-line block ×5, first 2 shown]
	v_mad_i64_i32 v[145:146], null, s2, s17, v[135:136]
	v_mad_i64_i32 v[147:148], null, s3, s17, v[135:136]
	s_waitcnt vmcnt(24)
	v_wmma_f32_16x16x16_f16 v[135:142], v[17:24], v[119:126], v[111:118]
	s_waitcnt vmcnt(22)
	v_wmma_f32_16x16x16_f16 v[111:118], v[25:32], v[119:126], v[111:118]
	s_clause 0x3
	global_load_b128 v[17:20], v[143:144], off
	global_load_b128 v[21:24], v[143:144], off offset:16
	global_load_b128 v[25:28], v[145:146], off
	global_load_b128 v[29:32], v[145:146], off offset:16
	v_and_b32_e32 v119, 0xe0, v0
	s_waitcnt vmcnt(24)
	v_wmma_f32_16x16x16_f16 v[135:142], v[57:64], v[127:134], v[135:142]
	s_clause 0x1
	global_load_b128 v[57:60], v[147:148], off
	global_load_b128 v[61:64], v[147:148], off offset:16
	s_waitcnt vmcnt(24)
	v_wmma_f32_16x16x16_f16 v[111:118], v[71:78], v[127:134], v[111:118]
	ds_load_b128 v[71:74], v149 offset:4096
	ds_load_b128 v[75:78], v149 offset:5120
	v_add_nc_u32_e32 v128, s12, v119
	ds_load_b128 v[119:122], v149 offset:6144
	ds_load_b128 v[123:126], v149 offset:7168
	v_mbcnt_lo_u32_b32 v127, -1, 0
	s_waitcnt vmcnt(0) lgkmcnt(0)
	s_barrier
	v_or_b32_e32 v128, v128, v66
	buffer_gl0_inv
	v_xor_b32_e32 v129, 16, v127
	v_or_b32_e32 v130, 4, v128
	v_or_b32_e32 v131, 6, v128
	s_delay_alu instid0(VALU_DEP_3) | instskip(SKIP_4) | instid1(VALU_DEP_4)
	v_cmp_gt_i32_e32 vcc_lo, 32, v129
	v_or_b32_e32 v132, 8, v128
	v_or_b32_e32 v133, 10, v128
	v_cmp_gt_i32_e64 s3, s24, v130
	v_cmp_gt_i32_e64 s4, s24, v131
	;; [unrolled: 1-line block ×3, first 2 shown]
	v_wmma_f32_16x16x16_f16 v[135:142], v[79:86], v[71:78], v[135:142]
	v_wmma_f32_16x16x16_f16 v[111:118], v[87:94], v[71:78], v[111:118]
	v_or_b32_e32 v79, 12, v128
	v_or_b32_e32 v80, 14, v128
	v_cmp_gt_i32_e64 s6, s24, v133
	v_wmma_f32_16x16x16_f16 v[135:142], v[95:102], v[119:126], v[135:142]
	v_wmma_f32_16x16x16_f16 v[111:118], v[103:110], v[119:126], v[111:118]
	v_cndmask_b32_e32 v127, v127, v129, vcc_lo
	v_or_b32_e32 v129, 2, v128
	v_cmp_gt_i32_e32 vcc_lo, s24, v128
	s_delay_alu instid0(VALU_DEP_4) | instskip(SKIP_1) | instid1(VALU_DEP_4)
	v_dual_mul_f32 v87, s19, v136 :: v_dual_mul_f32 v94, s19, v113
	v_mul_f32_e32 v88, s19, v135
	v_cmp_gt_i32_e64 s2, s24, v129
	v_mul_f32_e32 v78, s19, v138
	v_mul_f32_e32 v86, s19, v137
	;; [unrolled: 1-line block ×3, first 2 shown]
	v_cndmask_b32_e32 v88, 0xff7fffff, v88, vcc_lo
	v_cndmask_b32_e64 v87, 0xff7fffff, v87, s2
	v_dual_mul_f32 v77, s19, v139 :: v_dual_mul_f32 v90, s19, v117
	v_cndmask_b32_e64 v86, 0xff7fffff, v86, s3
	v_cndmask_b32_e64 v78, 0xff7fffff, v78, s4
	s_delay_alu instid0(VALU_DEP_4)
	v_max3_f32 v87, v88, 0xff7fffff, v87
	v_or_b32_e32 v81, 16, v128
	v_or_b32_e32 v82, 18, v128
	v_dual_mul_f32 v74, s19, v142 :: v_dual_mul_f32 v75, s19, v141
	v_mul_f32_e32 v96, s19, v111
	v_cndmask_b32_e64 v77, 0xff7fffff, v77, s5
	v_cndmask_b32_e64 v76, 0xff7fffff, v76, s6
	v_max3_f32 v78, v87, v86, v78
	v_cmp_gt_i32_e64 s7, s24, v79
	v_cmp_gt_i32_e64 s8, s24, v80
	v_or_b32_e32 v83, 20, v128
	v_or_b32_e32 v84, 22, v128
	v_mul_f32_e32 v95, s19, v112
	v_cndmask_b32_e64 v75, 0xff7fffff, v75, s7
	v_cndmask_b32_e64 v74, 0xff7fffff, v74, s8
	v_max3_f32 v76, v78, v77, v76
	v_cmp_gt_i32_e64 s9, s24, v81
	v_cmp_gt_i32_e64 s10, s24, v82
	v_or_b32_e32 v85, 24, v128
	v_or_b32_e32 v71, 26, v128
	;; [unrolled: 8-line block ×3, first 2 shown]
	v_dual_mul_f32 v91, s19, v116 :: v_dual_mul_f32 v92, s19, v115
	v_cndmask_b32_e64 v75, 0xff7fffff, v94, s11
	v_cndmask_b32_e64 v76, 0xff7fffff, v93, s12
	v_max3_f32 v74, v74, v77, v78
	v_cmp_gt_i32_e64 s13, s24, v85
	v_cmp_gt_i32_e64 s15, s24, v71
	v_mul_f32_e32 v89, s19, v118
	v_cmp_gt_i32_e64 s16, s24, v72
	v_max3_f32 v74, v74, v75, v76
	v_cndmask_b32_e64 v77, 0xff7fffff, v92, s13
	v_cndmask_b32_e64 v71, 0xff7fffff, v91, s15
	v_cmp_gt_i32_e64 s17, s24, v73
	v_cndmask_b32_e64 v72, 0xff7fffff, v90, s16
	s_delay_alu instid0(VALU_DEP_3) | instskip(SKIP_1) | instid1(VALU_DEP_4)
	v_max3_f32 v71, v74, v77, v71
	v_lshlrev_b32_e32 v74, 2, v127
	v_cndmask_b32_e64 v73, 0xff7fffff, v89, s17
	s_delay_alu instid0(VALU_DEP_1) | instskip(SKIP_3) | instid1(VALU_DEP_1)
	v_max3_f32 v71, v71, v72, v73
	ds_bpermute_b32 v72, v74, v71
	s_waitcnt lgkmcnt(0)
	v_max_f32_e32 v72, v72, v72
	v_max_f32_e32 v71, v71, v72
	s_delay_alu instid0(VALU_DEP_1) | instskip(SKIP_4) | instid1(VALU_DEP_4)
	v_fma_f32 v72, s19, v135, -v71
	v_fma_f32 v73, s19, v136, -v71
	;; [unrolled: 1-line block ×5, first 2 shown]
	v_dual_mul_f32 v72, 0x3fb8aa3b, v72 :: v_dual_mul_f32 v73, 0x3fb8aa3b, v73
	s_delay_alu instid0(VALU_DEP_3) | instskip(SKIP_1) | instid1(VALU_DEP_3)
	v_dual_mul_f32 v75, 0x3fb8aa3b, v75 :: v_dual_mul_f32 v76, 0x3fb8aa3b, v76
	v_fma_f32 v80, s19, v141, -v71
	v_exp_f32_e32 v72, v72
	s_delay_alu instid0(VALU_DEP_3) | instskip(NEXT) | instid1(VALU_DEP_2)
	v_exp_f32_e32 v73, v73
	v_exp_f32_e32 v75, v75
	;; [unrolled: 1-line block ×3, first 2 shown]
	v_mul_f32_e32 v82, 0x3fb8aa3b, v80
	s_delay_alu instid0(VALU_DEP_1) | instskip(SKIP_4) | instid1(TRANS32_DEP_3)
	v_exp_f32_e32 v84, v82
	v_cndmask_b32_e32 v79, 0, v72, vcc_lo
	v_fma_f32 v72, s19, v140, -v71
	v_mul_f32_e32 v77, 0x3fb8aa3b, v77
	v_cndmask_b32_e64 v78, 0, v73, s2
	v_cndmask_b32_e64 v81, 0, v75, s3
	s_delay_alu instid0(VALU_DEP_4) | instskip(NEXT) | instid1(VALU_DEP_4)
	v_dual_add_f32 v73, 0, v79 :: v_dual_mul_f32 v72, 0x3fb8aa3b, v72
	v_exp_f32_e32 v77, v77
	v_cndmask_b32_e64 v80, 0, v76, s4
	s_delay_alu instid0(TRANS32_DEP_2) | instskip(NEXT) | instid1(VALU_DEP_3)
	v_cndmask_b32_e64 v85, 0, v84, s7
	v_add_f32_e32 v73, v73, v78
	v_exp_f32_e32 v72, v72
	v_cmp_gt_u32_e64 s2, 16, v70
	s_delay_alu instid0(VALU_DEP_2) | instskip(NEXT) | instid1(TRANS32_DEP_2)
	v_add_f32_e32 v73, v73, v81
	v_cndmask_b32_e64 v83, 0, v77, s5
	s_delay_alu instid0(VALU_DEP_2) | instskip(SKIP_3) | instid1(VALU_DEP_1)
	v_add_f32_e32 v73, v73, v80
	s_waitcnt_depctr 0xfff
	v_cndmask_b32_e64 v82, 0, v72, s6
	v_add_f32_e32 v72, v73, v83
	v_add_f32_e32 v72, v72, v82
	s_delay_alu instid0(VALU_DEP_1)
	v_add_f32_e32 v72, v72, v85
	v_fma_f32 v76, s19, v111, -v71
	v_fma_f32 v75, s19, v142, -v71
	;; [unrolled: 1-line block ×5, first 2 shown]
	s_delay_alu instid0(VALU_DEP_4) | instskip(NEXT) | instid1(VALU_DEP_3)
	v_dual_mul_f32 v76, 0x3fb8aa3b, v76 :: v_dual_mul_f32 v75, 0x3fb8aa3b, v75
	v_mul_f32_e32 v86, 0x3fb8aa3b, v86
	s_delay_alu instid0(VALU_DEP_2) | instskip(NEXT) | instid1(VALU_DEP_2)
	v_exp_f32_e32 v76, v76
	v_exp_f32_e32 v75, v75
	s_delay_alu instid0(VALU_DEP_1) | instskip(NEXT) | instid1(TRANS32_DEP_3)
	v_exp_f32_e32 v88, v86
	v_cndmask_b32_e64 v87, 0, v76, s9
	v_fma_f32 v76, s19, v116, -v71
	v_mul_f32_e32 v77, 0x3fb8aa3b, v77
	s_waitcnt_depctr 0xfff
	v_cndmask_b32_e64 v84, 0, v75, s8
	v_fma_f32 v75, s19, v115, -v71
	v_cndmask_b32_e64 v88, 0, v88, s12
	v_mul_f32_e32 v76, 0x3fb8aa3b, v76
	v_exp_f32_e32 v77, v77
	v_add_f32_e32 v72, v72, v84
	s_delay_alu instid0(VALU_DEP_2) | instskip(NEXT) | instid1(VALU_DEP_1)
	v_exp_f32_e32 v76, v76
	v_add_f32_e32 v72, v72, v87
	s_waitcnt_depctr 0xfff
	v_cndmask_b32_e64 v86, 0, v77, s10
	v_mul_f32_e32 v73, 0x3fb8aa3b, v73
	v_fma_f32 v77, s19, v117, -v71
	v_cndmask_b32_e64 v90, 0, v76, s15
	s_delay_alu instid0(VALU_DEP_4) | instskip(NEXT) | instid1(VALU_DEP_4)
	v_add_f32_e32 v72, v72, v86
	v_exp_f32_e32 v73, v73
	s_waitcnt_depctr 0xfff
	v_cndmask_b32_e64 v89, 0, v73, s11
	s_delay_alu instid0(VALU_DEP_1) | instskip(NEXT) | instid1(VALU_DEP_1)
	v_dual_mul_f32 v75, 0x3fb8aa3b, v75 :: v_dual_add_f32 v72, v72, v89
	v_exp_f32_e32 v75, v75
	v_mul_f32_e32 v73, 0x3fb8aa3b, v77
	v_fma_f32 v77, s19, v118, -v71
	s_delay_alu instid0(VALU_DEP_3) | instskip(NEXT) | instid1(VALU_DEP_3)
	v_add_f32_e32 v72, v72, v88
	v_exp_f32_e32 v73, v73
	s_waitcnt_depctr 0xfff
	v_cndmask_b32_e64 v91, 0, v75, s13
	s_delay_alu instid0(VALU_DEP_1) | instskip(NEXT) | instid1(VALU_DEP_1)
	v_dual_mul_f32 v75, 0x3fb8aa3b, v77 :: v_dual_add_f32 v72, v72, v91
	v_exp_f32_e32 v75, v75
	v_cndmask_b32_e64 v93, 0, v73, s16
	s_delay_alu instid0(VALU_DEP_2) | instskip(NEXT) | instid1(VALU_DEP_1)
	v_add_f32_e32 v72, v72, v90
	v_add_f32_e32 v72, v72, v93
	s_waitcnt_depctr 0xfff
	v_cndmask_b32_e64 v92, 0, v75, s17
	s_delay_alu instid0(VALU_DEP_1)
	v_add_f32_e32 v72, v72, v92
	ds_bpermute_b32 v73, v74, v72
	s_and_saveexec_b32 s3, s2
	s_cbranch_execz .LBB1320_12
; %bb.11:
	v_mul_u32_u24_e32 v70, 0x44, v69
	s_waitcnt lgkmcnt(0)
	v_add_f32_e32 v72, v72, v73
	s_delay_alu instid0(VALU_DEP_2) | instskip(NEXT) | instid1(VALU_DEP_1)
	v_lshl_add_u32 v70, v68, 2, v70
	v_add_nc_u32_e32 v70, 0x4000, v70
	ds_store_2addr_b32 v70, v71, v72 offset1:136
.LBB1320_12:
	s_or_b32 exec_lo, exec_lo, s3
	v_lshlrev_b32_e32 v70, 2, v68
	s_load_b32 s35, s[0:1], 0x94
	s_waitcnt lgkmcnt(0)
	s_barrier
	buffer_gl0_inv
	v_add_nc_u32_e32 v98, 0x4000, v70
	v_cmp_eq_u32_e32 vcc_lo, 1, v69
	v_cmp_eq_u32_e64 s3, 2, v69
	v_cmp_eq_u32_e64 s4, 3, v69
	;; [unrolled: 1-line block ×3, first 2 shown]
	ds_load_2addr_b32 v[70:71], v98 offset1:17
	ds_load_2addr_b32 v[72:73], v98 offset0:34 offset1:51
	ds_load_2addr_b32 v[74:75], v98 offset0:68 offset1:85
	;; [unrolled: 1-line block ×3, first 2 shown]
	v_cmp_eq_u32_e64 s6, 5, v69
	v_cmp_eq_u32_e64 s7, 7, v69
	s_waitcnt lgkmcnt(3)
	v_max3_f32 v76, v70, 0xff7fffff, v71
	s_waitcnt lgkmcnt(2)
	s_delay_alu instid0(VALU_DEP_1) | instskip(SKIP_1) | instid1(VALU_DEP_1)
	v_max3_f32 v76, v76, v72, v73
	s_waitcnt lgkmcnt(1)
	v_max3_f32 v76, v76, v74, v75
	s_waitcnt lgkmcnt(0)
	s_delay_alu instid0(VALU_DEP_1) | instskip(NEXT) | instid1(VALU_DEP_1)
	v_max3_f32 v76, v76, v94, v95
	v_sub_f32_e32 v77, v71, v76
	ds_load_2addr_b32 v[96:97], v98 offset0:136 offset1:153
	v_sub_f32_e32 v74, v74, v76
	v_sub_f32_e32 v70, v70, v76
	;; [unrolled: 1-line block ×3, first 2 shown]
	v_dual_sub_f32 v72, v72, v76 :: v_dual_mul_f32 v77, 0x3fb8aa3b, v77
	s_delay_alu instid0(VALU_DEP_4) | instskip(NEXT) | instid1(VALU_DEP_4)
	v_mul_f32_e32 v103, 0x3fb8aa3b, v74
	v_mul_f32_e32 v99, 0x3fb8aa3b, v70
	ds_load_2addr_b32 v[70:71], v98 offset0:170 offset1:187
	v_dual_mul_f32 v101, 0x3fb8aa3b, v72 :: v_dual_mul_f32 v94, 0x3fb8aa3b, v94
	v_exp_f32_e32 v102, v77
	v_exp_f32_e32 v99, v99
	s_delay_alu instid0(VALU_DEP_1) | instskip(NEXT) | instid1(VALU_DEP_1)
	v_exp_f32_e32 v101, v101
	v_exp_f32_e32 v94, v94
	s_waitcnt lgkmcnt(1)
	s_delay_alu instid0(TRANS32_DEP_3)
	v_fma_f32 v77, v99, v96, 0
	v_sub_f32_e32 v100, v73, v76
	ds_load_2addr_b32 v[72:73], v98 offset0:204 offset1:221
	v_fmac_f32_e32 v77, v102, v97
	v_exp_f32_e32 v97, v103
	s_waitcnt lgkmcnt(1)
	s_delay_alu instid0(VALU_DEP_1)
	v_dual_fmac_f32 v77, v101, v70 :: v_dual_sub_f32 v96, v75, v76
	ds_load_2addr_b32 v[74:75], v98 offset0:238 offset1:255
	v_sub_f32_e32 v70, v95, v76
	s_waitcnt lgkmcnt(0)
	s_barrier
	v_mul_f32_e32 v96, 0x3fb8aa3b, v96
	buffer_gl0_inv
	v_exp_f32_e32 v95, v96
	v_mul_f32_e32 v100, 0x3fb8aa3b, v100
	s_delay_alu instid0(VALU_DEP_1) | instskip(SKIP_3) | instid1(VALU_DEP_2)
	v_exp_f32_e32 v100, v100
	s_waitcnt_depctr 0xfff
	v_dual_fmac_f32 v77, v100, v71 :: v_dual_mul_f32 v70, 0x3fb8aa3b, v70
	v_cndmask_b32_e32 v71, v99, v102, vcc_lo
	v_fmac_f32_e32 v77, v97, v72
	s_delay_alu instid0(VALU_DEP_3) | instskip(NEXT) | instid1(VALU_DEP_1)
	v_exp_f32_e32 v96, v70
	v_fmac_f32_e32 v77, v95, v73
	s_delay_alu instid0(VALU_DEP_1) | instskip(SKIP_2) | instid1(VALU_DEP_1)
	v_fmac_f32_e32 v77, v94, v74
	s_waitcnt_depctr 0xfff
	v_fmac_f32_e32 v77, v96, v75
	v_add_f32_e32 v74, 0x358637bd, v77
	s_delay_alu instid0(VALU_DEP_1) | instskip(SKIP_1) | instid1(VALU_DEP_2)
	v_div_scale_f32 v98, null, v74, v74, 1.0
	v_div_scale_f32 v99, vcc_lo, 1.0, v74, 1.0
	v_rcp_f32_e32 v103, v98
	s_waitcnt_depctr 0xfff
	v_fma_f32 v70, -v98, v103, 1.0
	s_delay_alu instid0(VALU_DEP_1) | instskip(SKIP_2) | instid1(VALU_DEP_2)
	v_fmac_f32_e32 v103, v70, v103
	v_cndmask_b32_e64 v70, v71, v101, s3
	v_cmp_eq_u32_e64 s3, 6, v69
	v_cndmask_b32_e64 v71, v70, v100, s4
	s_delay_alu instid0(VALU_DEP_4) | instskip(NEXT) | instid1(VALU_DEP_2)
	v_dual_mul_f32 v101, v99, v103 :: v_dual_lshlrev_b32 v70, 2, v66
	v_cndmask_b32_e64 v71, v71, v97, s5
	s_delay_alu instid0(VALU_DEP_2) | instskip(NEXT) | instid1(VALU_DEP_3)
	v_or_b32_e32 v72, 1, v70
	v_fma_f32 v100, -v98, v101, v99
	v_cmp_eq_u32_e64 s4, 1, v70
	v_cmp_eq_u32_e64 s5, 2, v70
	v_cndmask_b32_e64 v95, v71, v95, s6
	v_or_b32_e32 v71, 3, v70
	v_fmac_f32_e32 v101, v100, v103
	v_cmp_eq_u32_e64 s9, 1, v72
	v_cmp_eq_u32_e64 s12, 2, v72
	v_cndmask_b32_e64 v94, v95, v94, s3
	v_cmp_eq_u32_e64 s11, 1, v71
	v_fma_f32 v97, -v98, v101, v99
	v_cmp_eq_u32_e64 s16, 2, v71
	v_cmp_eq_u32_e64 s13, 3, v72
	v_cndmask_b32_e64 v94, v94, v96, s7
	v_cmp_eq_u32_e64 s18, 3, v71
	v_div_fmas_f32 v95, v97, v103, v101
	v_cmp_eq_u32_e32 vcc_lo, 3, v70
	v_cmp_eq_u32_e64 s3, 4, v70
	v_cmp_eq_u32_e64 s19, 4, v72
	;; [unrolled: 1-line block ×3, first 2 shown]
	v_div_fixup_f32 v95, v95, v74, 1.0
	v_lshlrev_b32_e32 v73, 6, v68
	v_cmp_eq_u32_e64 s6, 5, v70
	v_cmp_eq_u32_e64 s20, 5, v72
	;; [unrolled: 1-line block ×3, first 2 shown]
	v_mul_f32_e32 v102, v94, v95
	v_lshl_or_b32 v75, v69, 11, v73
	v_or_b32_e32 v69, 2, v70
	v_cmp_eq_u32_e64 s25, 6, v72
	v_cmp_eq_u32_e64 s27, 6, v71
	v_fma_mixlo_f16 v94, v102, v79, 0
	v_fma_mixlo_f16 v95, v102, v81, 0
	;; [unrolled: 1-line block ×8, first 2 shown]
	v_lshl_or_b32 v74, v66, 4, v75
	v_fma_mixhi_f16 v94, v102, v78, 0
	v_fma_mixhi_f16 v95, v102, v80, 0
	;; [unrolled: 1-line block ×8, first 2 shown]
	ds_store_b128 v74, v[94:97]
	ds_store_b128 v74, v[98:101] offset:1024
	s_waitcnt lgkmcnt(0)
	s_barrier
	buffer_gl0_inv
	ds_load_b128 v[78:81], v75
	ds_load_b128 v[82:85], v75 offset:16
	ds_load_b128 v[86:89], v75 offset:1024
	ds_load_b128 v[90:93], v75 offset:1040
	v_cmp_eq_u32_e64 s10, 1, v69
	v_cmp_eq_u32_e64 s15, 2, v69
	;; [unrolled: 1-line block ×11, first 2 shown]
	s_waitcnt lgkmcnt(3)
	v_lshrrev_b32_e32 v94, 16, v78
	s_waitcnt lgkmcnt(2)
	v_lshrrev_b32_e32 v98, 16, v82
	;; [unrolled: 2-line block ×4, first 2 shown]
	v_lshrrev_b32_e32 v95, 16, v79
	v_cndmask_b32_e64 v110, v78, v94, s4
	v_cndmask_b32_e64 v111, v82, v98, s4
	v_cndmask_b32_e64 v112, v78, v94, s9
	v_cndmask_b32_e64 v113, v82, v98, s9
	v_cndmask_b32_e64 v114, v78, v94, s10
	v_cndmask_b32_e64 v115, v82, v98, s10
	v_cndmask_b32_e64 v78, v78, v94, s11
	v_cndmask_b32_e64 v82, v82, v98, s11
	v_lshrrev_b32_e32 v99, 16, v83
	v_cndmask_b32_e64 v94, v86, v102, s4
	v_cndmask_b32_e64 v98, v90, v106, s4
	;; [unrolled: 1-line block ×15, first 2 shown]
	v_lshrrev_b32_e32 v103, 16, v87
	v_lshrrev_b32_e32 v107, 16, v91
	v_cndmask_b32_e64 v113, v115, v83, s15
	v_cndmask_b32_e64 v82, v94, v87, s5
	;; [unrolled: 1-line block ×7, first 2 shown]
	v_cndmask_b32_e32 v90, v102, v95, vcc_lo
	v_cndmask_b32_e32 v102, v106, v99, vcc_lo
	v_cndmask_b32_e64 v106, v110, v95, s13
	v_cndmask_b32_e64 v110, v111, v99, s13
	;; [unrolled: 1-line block ×4, first 2 shown]
	v_lshrrev_b32_e32 v96, 16, v80
	v_lshrrev_b32_e32 v100, 16, v84
	v_cndmask_b32_e64 v111, v112, v95, s17
	v_cndmask_b32_e64 v112, v113, v99, s17
	v_cndmask_b32_e32 v82, v82, v103, vcc_lo
	v_cndmask_b32_e32 v83, v83, v107, vcc_lo
	v_cndmask_b32_e64 v94, v94, v103, s13
	v_cndmask_b32_e64 v90, v90, v80, s3
	;; [unrolled: 1-line block ×7, first 2 shown]
	v_lshrrev_b32_e32 v104, 16, v88
	v_cndmask_b32_e64 v106, v111, v80, s21
	v_cndmask_b32_e64 v110, v112, v84, s21
	;; [unrolled: 1-line block ×11, first 2 shown]
	v_lshrrev_b32_e32 v97, 16, v81
	v_lshrrev_b32_e32 v101, 16, v85
	v_cndmask_b32_e64 v99, v106, v96, s23
	v_cndmask_b32_e64 v102, v110, v100, s23
	;; [unrolled: 1-line block ×7, first 2 shown]
	v_lshrrev_b32_e32 v105, 16, v89
	v_cndmask_b32_e64 v80, v80, v104, s6
	v_cndmask_b32_e64 v84, v84, v81, s7
	;; [unrolled: 1-line block ×16, first 2 shown]
	v_perm_b32 v81, v79, v78, 0x5040100
	v_perm_b32 v79, v95, v85, 0x5040100
	v_cndmask_b32_e64 v78, v119, v91, s15
	v_cndmask_b32_e64 v85, v117, v91, s12
	;; [unrolled: 1-line block ×3, first 2 shown]
	v_perm_b32 v80, v94, v90, 0x5040100
	v_cndmask_b32_e64 v90, v98, v103, s17
	v_cndmask_b32_e64 v86, v86, v103, s18
	;; [unrolled: 1-line block ×5, first 2 shown]
	v_lshrrev_b32_e32 v108, 16, v92
	v_cndmask_b32_e64 v90, v90, v88, s21
	v_cndmask_b32_e64 v86, v86, v88, s22
	;; [unrolled: 1-line block ×11, first 2 shown]
	v_lshrrev_b32_e32 v109, 16, v93
	v_cndmask_b32_e64 v82, v82, v93, s7
	v_cndmask_b32_e64 v88, v88, v89, s26
	;; [unrolled: 1-line block ×12, first 2 shown]
	v_perm_b32 v78, v84, v83, 0x5040100
	v_perm_b32 v85, v87, v86, 0x5040100
	;; [unrolled: 1-line block ×5, first 2 shown]
	s_mul_i32 s8, s33, 11
	s_mov_b32 s3, exec_lo
	ds_store_b128 v74, v[78:81]
	ds_store_b128 v74, v[82:85] offset:1024
	v_cmpx_gt_u32_e32 11, v0
	s_cbranch_execz .LBB1320_14
; %bb.13:
	s_mul_i32 s4, s8, s34
	s_delay_alu instid0(SALU_CYCLE_1) | instskip(SKIP_1) | instid1(VALU_DEP_1)
	v_add3_u32 v68, s4, s31, v68
	s_load_b128 s[4:7], s[0:1], 0x58
	v_mad_u64_u32 v[78:79], null, v68, s35, s[14:15]
	s_delay_alu instid0(VALU_DEP_1) | instskip(NEXT) | instid1(VALU_DEP_1)
	v_ashrrev_i32_e32 v79, 31, v78
	v_lshlrev_b64 v[78:79], 2, v[78:79]
	s_waitcnt lgkmcnt(0)
	s_delay_alu instid0(VALU_DEP_1) | instskip(NEXT) | instid1(VALU_DEP_2)
	v_add_co_u32 v80, vcc_lo, s6, v78
	v_add_co_ci_u32_e32 v81, vcc_lo, s7, v79, vcc_lo
	v_add_co_u32 v78, vcc_lo, s4, v78
	v_add_co_ci_u32_e32 v79, vcc_lo, s5, v79, vcc_lo
	global_store_b32 v[80:81], v76, off
	global_store_b32 v[78:79], v77, off
.LBB1320_14:
	s_or_b32 exec_lo, exec_lo, s3
	s_waitcnt lgkmcnt(0)
	s_waitcnt_vscnt null, 0x0
	s_barrier
	buffer_gl0_inv
	ds_load_b128 v[84:87], v73
	ds_load_b128 v[88:91], v73 offset:16
	ds_load_b128 v[96:99], v73 offset:2064
	;; [unrolled: 1-line block ×5, first 2 shown]
	v_cmp_eq_u32_e32 vcc_lo, 1, v70
	v_mov_b32_e32 v76, 0
	ds_load_b128 v[112:115], v73 offset:6160
	ds_load_b128 v[108:111], v73 offset:6144
	;; [unrolled: 1-line block ×4, first 2 shown]
	v_cmp_eq_u32_e64 s4, 1, v69
	v_cmp_eq_u32_e64 s3, 1, v72
	;; [unrolled: 1-line block ×3, first 2 shown]
	v_mov_b32_e32 v77, v76
	v_mov_b32_e32 v78, v76
	;; [unrolled: 1-line block ×7, first 2 shown]
	v_cmp_eq_u32_e64 s6, 3, v72
	v_cmp_eq_u32_e64 s7, 7, v72
	s_waitcnt lgkmcnt(8)
	s_delay_alu instid0(VALU_DEP_3)
	v_wmma_f32_16x16x16_f16 v[76:83], v[49:56], v[84:91], v[76:83]
	ds_load_b128 v[53:56], v73 offset:10256
	ds_load_b128 v[49:52], v73 offset:10240
	s_waitcnt lgkmcnt(8)
	v_wmma_f32_16x16x16_f16 v[76:83], v[41:48], v[92:99], v[76:83]
	ds_load_b128 v[45:48], v73 offset:12304
	ds_load_b128 v[41:44], v73 offset:12288
	s_waitcnt lgkmcnt(8)
	;; [unrolled: 4-line block ×3, first 2 shown]
	s_barrier
	buffer_gl0_inv
	v_wmma_f32_16x16x16_f16 v[76:83], v[1:8], v[108:115], v[76:83]
	s_delay_alu instid0(VALU_DEP_1) | instskip(NEXT) | instid1(VALU_DEP_1)
	v_wmma_f32_16x16x16_f16 v[76:83], v[9:16], v[116:123], v[76:83]
	v_wmma_f32_16x16x16_f16 v[76:83], v[17:24], v[49:56], v[76:83]
	s_delay_alu instid0(VALU_DEP_1) | instskip(NEXT) | instid1(VALU_DEP_1)
	v_wmma_f32_16x16x16_f16 v[76:83], v[25:32], v[41:48], v[76:83]
	v_wmma_f32_16x16x16_f16 v[76:83], v[57:64], v[33:40], v[76:83]
	s_delay_alu instid0(VALU_DEP_1) | instskip(NEXT) | instid1(VALU_DEP_2)
	v_cvt_f16_f32_e32 v1, v76
	v_cvt_f16_f32_e32 v2, v77
	s_delay_alu instid0(VALU_DEP_3) | instskip(NEXT) | instid1(VALU_DEP_4)
	v_cvt_f16_f32_e32 v3, v78
	v_cvt_f16_f32_e32 v4, v79
	;; [unrolled: 1-line block ×6, first 2 shown]
	v_pack_b32_f16 v1, v1, v2
	v_pack_b32_f16 v2, v3, v4
	;; [unrolled: 1-line block ×3, first 2 shown]
	s_delay_alu instid0(VALU_DEP_4)
	v_pack_b32_f16 v4, v7, v8
	ds_store_b128 v74, v[1:4]
	s_waitcnt lgkmcnt(0)
	s_barrier
	buffer_gl0_inv
	ds_load_b128 v[1:4], v75
	ds_load_b128 v[5:8], v75 offset:16
	s_waitcnt lgkmcnt(1)
	v_lshrrev_b32_e32 v9, 16, v1
	s_waitcnt lgkmcnt(0)
	v_lshrrev_b32_e32 v13, 16, v5
	v_lshrrev_b32_e32 v10, 16, v2
	;; [unrolled: 1-line block ×4, first 2 shown]
	v_cndmask_b32_e32 v17, v1, v9, vcc_lo
	v_cndmask_b32_e32 v18, v5, v13, vcc_lo
	v_cndmask_b32_e64 v21, v1, v9, s4
	v_cmp_eq_u32_e32 vcc_lo, 1, v71
	v_cndmask_b32_e64 v22, v5, v13, s4
	v_cmp_eq_u32_e64 s4, 2, v70
	v_cndmask_b32_e64 v19, v1, v9, s3
	v_cndmask_b32_e64 v20, v5, v13, s3
	v_cndmask_b32_e32 v1, v1, v9, vcc_lo
	v_cmp_eq_u32_e64 s3, 2, v71
	v_cndmask_b32_e32 v5, v5, v13, vcc_lo
	v_cndmask_b32_e64 v9, v17, v2, s4
	v_cmp_eq_u32_e32 vcc_lo, 3, v70
	v_cndmask_b32_e64 v13, v18, v6, s4
	v_cmp_eq_u32_e64 s4, 2, v69
	v_cndmask_b32_e64 v17, v19, v2, s5
	v_cndmask_b32_e64 v18, v20, v6, s5
	v_cmp_eq_u32_e64 s5, 3, v69
	v_cndmask_b32_e64 v1, v1, v2, s3
	v_cndmask_b32_e64 v19, v21, v2, s4
	;; [unrolled: 1-line block ×4, first 2 shown]
	v_cndmask_b32_e32 v5, v9, v10, vcc_lo
	v_cndmask_b32_e32 v6, v13, v14, vcc_lo
	v_cmp_eq_u32_e32 vcc_lo, 3, v71
	v_cndmask_b32_e64 v9, v17, v10, s6
	v_cndmask_b32_e64 v13, v18, v14, s6
	;; [unrolled: 1-line block ×3, first 2 shown]
	v_cmp_eq_u32_e64 s4, 4, v70
	v_cndmask_b32_e32 v1, v1, v10, vcc_lo
	v_cndmask_b32_e32 v2, v2, v14, vcc_lo
	v_cmp_eq_u32_e32 vcc_lo, 4, v72
	v_lshrrev_b32_e32 v15, 16, v7
	v_lshrrev_b32_e32 v16, 16, v8
	v_cndmask_b32_e64 v17, v19, v10, s5
	v_cmp_eq_u32_e64 s3, 4, v71
	v_cndmask_b32_e64 v5, v5, v3, s4
	v_cndmask_b32_e64 v6, v6, v7, s4
	v_cndmask_b32_e32 v9, v9, v3, vcc_lo
	v_cmp_eq_u32_e64 s4, 5, v72
	v_cndmask_b32_e32 v10, v13, v7, vcc_lo
	v_cmp_eq_u32_e32 vcc_lo, 4, v69
	v_cmp_eq_u32_e64 s5, 5, v70
	v_cndmask_b32_e64 v2, v2, v7, s3
	v_cndmask_b32_e64 v9, v9, v11, s4
	;; [unrolled: 1-line block ×3, first 2 shown]
	v_cndmask_b32_e32 v13, v17, v3, vcc_lo
	v_cmp_eq_u32_e64 s4, 5, v69
	v_cndmask_b32_e32 v14, v18, v7, vcc_lo
	v_cndmask_b32_e64 v1, v1, v3, s3
	v_cmp_eq_u32_e32 vcc_lo, 5, v71
	v_lshrrev_b32_e32 v12, 16, v4
	v_cndmask_b32_e64 v13, v13, v11, s4
	v_cndmask_b32_e64 v3, v14, v15, s4
	v_cmp_eq_u32_e64 s4, 6, v71
	v_cndmask_b32_e32 v1, v1, v11, vcc_lo
	v_cndmask_b32_e64 v5, v5, v11, s5
	v_cmp_eq_u32_e64 s6, 6, v70
	v_cndmask_b32_e64 v6, v6, v15, s5
	v_cmp_eq_u32_e64 s5, 6, v72
	v_cmp_eq_u32_e64 s3, 6, v69
	v_cndmask_b32_e64 v1, v1, v4, s4
	v_cndmask_b32_e32 v2, v2, v15, vcc_lo
	v_cmp_eq_u32_e32 vcc_lo, 7, v71
	v_cndmask_b32_e64 v5, v5, v4, s6
	v_cndmask_b32_e64 v9, v9, v4, s5
	;; [unrolled: 1-line block ×3, first 2 shown]
	v_cmp_eq_u32_e64 s6, 7, v70
	v_cndmask_b32_e32 v1, v1, v12, vcc_lo
	v_cndmask_b32_e64 v7, v13, v4, s3
	v_cndmask_b32_e64 v3, v3, v8, s3
	;; [unrolled: 1-line block ×3, first 2 shown]
	v_cmp_eq_u32_e64 s3, 7, v69
	v_cndmask_b32_e64 v4, v10, v8, s5
	v_cndmask_b32_e64 v5, v5, v12, s6
	;; [unrolled: 1-line block ×3, first 2 shown]
	v_cndmask_b32_e32 v2, v2, v16, vcc_lo
	v_cndmask_b32_e64 v7, v7, v12, s3
	v_cndmask_b32_e64 v3, v3, v16, s3
	;; [unrolled: 1-line block ×4, first 2 shown]
	v_perm_b32 v4, v2, v1, 0x5040100
	s_mov_b32 s3, exec_lo
	v_perm_b32 v3, v3, v7, 0x5040100
	v_perm_b32 v2, v8, v9, 0x5040100
	;; [unrolled: 1-line block ×3, first 2 shown]
	ds_store_b128 v74, v[1:4]
	s_waitcnt lgkmcnt(0)
	s_barrier
	buffer_gl0_inv
	v_cmpx_gt_u32_e32 32, v0
	s_cbranch_execz .LBB1320_2
; %bb.15:
	s_load_b64 s[4:5], s[0:1], 0x68
	v_lshlrev_b32_e32 v0, 10, v0
	v_lshlrev_b32_e32 v1, 4, v67
	s_lshl_b32 s0, s35, 7
	v_add_nc_u32_e32 v7, s31, v66
	s_mul_i32 s1, s0, s34
	s_delay_alu instid0(SALU_CYCLE_1) | instskip(SKIP_1) | instid1(VALU_DEP_2)
	s_mul_i32 s6, s1, s8
	v_and_or_b32 v0, 0x3800, v0, v1
	v_mul_lo_u32 v1, v7, s0
	v_add_nc_u32_e32 v2, 2, v7
	s_ashr_i32 s7, s6, 31
	v_add_nc_u32_e32 v4, 4, v7
	s_lshl_b64 s[6:7], s[6:7], 1
	v_add_nc_u32_e32 v8, 6, v7
	v_mul_lo_u32 v3, v2, s0
	v_lshl_or_b32 v19, v66, 6, v0
	v_ashrrev_i32_e32 v2, 31, v1
	v_mul_lo_u32 v11, v4, s0
	v_mul_lo_u32 v25, v8, s0
	s_waitcnt lgkmcnt(0)
	s_add_u32 s1, s4, s6
	s_addc_u32 s3, s5, s7
	s_lshl_b32 s4, s14, 7
	v_lshlrev_b64 v[5:6], 1, v[1:2]
	s_ashr_i32 s5, s4, 31
	v_ashrrev_i32_e32 v4, 31, v3
	s_lshl_b64 s[4:5], s[4:5], 1
	v_ashrrev_i32_e32 v12, 31, v11
	s_add_u32 s1, s1, s4
	s_addc_u32 s3, s3, s5
	v_add_co_u32 v1, s1, s1, v65
	s_delay_alu instid0(VALU_DEP_1) | instskip(SKIP_1) | instid1(VALU_DEP_3)
	v_add_co_ci_u32_e64 v2, null, s3, 0, s1
	v_lshlrev_b64 v[3:4], 1, v[3:4]
	v_add_co_u32 v23, vcc_lo, v1, v5
	v_add_nc_u32_e32 v5, 8, v7
	s_delay_alu instid0(VALU_DEP_4) | instskip(NEXT) | instid1(VALU_DEP_4)
	v_add_co_ci_u32_e32 v24, vcc_lo, v2, v6, vcc_lo
	v_add_co_u32 v27, vcc_lo, v1, v3
	s_delay_alu instid0(VALU_DEP_3)
	v_mul_lo_u32 v29, v5, s0
	v_add_co_ci_u32_e32 v28, vcc_lo, v2, v4, vcc_lo
	ds_load_b128 v[3:6], v19
	ds_load_b128 v[7:10], v19 offset:128
	v_lshlrev_b64 v[31:32], 1, v[11:12]
	ds_load_b128 v[11:14], v19 offset:256
	ds_load_b128 v[15:18], v19 offset:384
	;; [unrolled: 1-line block ×3, first 2 shown]
	v_ashrrev_i32_e32 v26, 31, v25
	v_ashrrev_i32_e32 v30, 31, v29
	v_add_co_u32 v31, vcc_lo, v1, v31
	s_delay_alu instid0(VALU_DEP_3) | instskip(NEXT) | instid1(VALU_DEP_3)
	v_lshlrev_b64 v[25:26], 1, v[25:26]
	v_lshlrev_b64 v[29:30], 1, v[29:30]
	v_add_co_ci_u32_e32 v32, vcc_lo, v2, v32, vcc_lo
	s_delay_alu instid0(VALU_DEP_3) | instskip(NEXT) | instid1(VALU_DEP_4)
	v_add_co_u32 v25, vcc_lo, v1, v25
	v_add_co_ci_u32_e32 v26, vcc_lo, v2, v26, vcc_lo
	s_delay_alu instid0(VALU_DEP_4)
	v_add_co_u32 v29, vcc_lo, v1, v29
	v_add_co_ci_u32_e32 v30, vcc_lo, v2, v30, vcc_lo
	s_waitcnt lgkmcnt(4)
	global_store_b128 v[23:24], v[3:6], off
	s_waitcnt lgkmcnt(3)
	global_store_b128 v[27:28], v[7:10], off
	;; [unrolled: 2-line block ×5, first 2 shown]
	s_and_b32 exec_lo, exec_lo, s2
	s_cbranch_execz .LBB1320_2
; %bb.16:
	ds_load_b128 v[3:6], v0 offset:640
	s_add_i32 s1, s31, 10
	s_delay_alu instid0(SALU_CYCLE_1) | instskip(NEXT) | instid1(SALU_CYCLE_1)
	s_mul_i32 s0, s1, s0
	s_ashr_i32 s1, s0, 31
	s_delay_alu instid0(SALU_CYCLE_1) | instskip(NEXT) | instid1(SALU_CYCLE_1)
	s_lshl_b64 s[0:1], s[0:1], 1
	v_add_co_u32 v0, vcc_lo, v1, s0
	v_add_co_ci_u32_e32 v1, vcc_lo, s1, v2, vcc_lo
	s_waitcnt lgkmcnt(0)
	global_store_b128 v[0:1], v[3:6], off
	s_nop 0
	s_sendmsg sendmsg(MSG_DEALLOC_VGPRS)
	s_endpgm
	.section	.rodata,"a",@progbits
	.p2align	6, 0x0
	.amdhsa_kernel _Z39paged_attention_ll4mi_QKV_mfma16_kernelIDF16_hLN4vllm18Fp8KVCacheDataTypeE1EDF16_Li32ELi128ELi256ELb1ELi11EL8MFMAType0EEvPKT_PKT0_S8_ifPKiSA_SA_iPKfiiiPfSD_PS3_PT2_iSC_SC_
		.amdhsa_group_segment_fixed_size 17472
		.amdhsa_private_segment_fixed_size 0
		.amdhsa_kernarg_size 400
		.amdhsa_user_sgpr_count 13
		.amdhsa_user_sgpr_dispatch_ptr 0
		.amdhsa_user_sgpr_queue_ptr 0
		.amdhsa_user_sgpr_kernarg_segment_ptr 1
		.amdhsa_user_sgpr_dispatch_id 0
		.amdhsa_user_sgpr_private_segment_size 0
		.amdhsa_wavefront_size32 1
		.amdhsa_uses_dynamic_stack 0
		.amdhsa_enable_private_segment 0
		.amdhsa_system_sgpr_workgroup_id_x 1
		.amdhsa_system_sgpr_workgroup_id_y 1
		.amdhsa_system_sgpr_workgroup_id_z 1
		.amdhsa_system_sgpr_workgroup_info 0
		.amdhsa_system_vgpr_workitem_id 0
		.amdhsa_next_free_vgpr 150
		.amdhsa_next_free_sgpr 37
		.amdhsa_reserve_vcc 1
		.amdhsa_float_round_mode_32 0
		.amdhsa_float_round_mode_16_64 0
		.amdhsa_float_denorm_mode_32 3
		.amdhsa_float_denorm_mode_16_64 3
		.amdhsa_dx10_clamp 1
		.amdhsa_ieee_mode 1
		.amdhsa_fp16_overflow 0
		.amdhsa_workgroup_processor_mode 1
		.amdhsa_memory_ordered 1
		.amdhsa_forward_progress 0
		.amdhsa_shared_vgpr_count 0
		.amdhsa_exception_fp_ieee_invalid_op 0
		.amdhsa_exception_fp_denorm_src 0
		.amdhsa_exception_fp_ieee_div_zero 0
		.amdhsa_exception_fp_ieee_overflow 0
		.amdhsa_exception_fp_ieee_underflow 0
		.amdhsa_exception_fp_ieee_inexact 0
		.amdhsa_exception_int_div_zero 0
	.end_amdhsa_kernel
	.section	.text._Z39paged_attention_ll4mi_QKV_mfma16_kernelIDF16_hLN4vllm18Fp8KVCacheDataTypeE1EDF16_Li32ELi128ELi256ELb1ELi11EL8MFMAType0EEvPKT_PKT0_S8_ifPKiSA_SA_iPKfiiiPfSD_PS3_PT2_iSC_SC_,"axG",@progbits,_Z39paged_attention_ll4mi_QKV_mfma16_kernelIDF16_hLN4vllm18Fp8KVCacheDataTypeE1EDF16_Li32ELi128ELi256ELb1ELi11EL8MFMAType0EEvPKT_PKT0_S8_ifPKiSA_SA_iPKfiiiPfSD_PS3_PT2_iSC_SC_,comdat
.Lfunc_end1320:
	.size	_Z39paged_attention_ll4mi_QKV_mfma16_kernelIDF16_hLN4vllm18Fp8KVCacheDataTypeE1EDF16_Li32ELi128ELi256ELb1ELi11EL8MFMAType0EEvPKT_PKT0_S8_ifPKiSA_SA_iPKfiiiPfSD_PS3_PT2_iSC_SC_, .Lfunc_end1320-_Z39paged_attention_ll4mi_QKV_mfma16_kernelIDF16_hLN4vllm18Fp8KVCacheDataTypeE1EDF16_Li32ELi128ELi256ELb1ELi11EL8MFMAType0EEvPKT_PKT0_S8_ifPKiSA_SA_iPKfiiiPfSD_PS3_PT2_iSC_SC_
                                        ; -- End function
	.section	.AMDGPU.csdata,"",@progbits
; Kernel info:
; codeLenInByte = 6808
; NumSgprs: 39
; NumVgprs: 150
; ScratchSize: 0
; MemoryBound: 0
; FloatMode: 240
; IeeeMode: 1
; LDSByteSize: 17472 bytes/workgroup (compile time only)
; SGPRBlocks: 4
; VGPRBlocks: 18
; NumSGPRsForWavesPerEU: 39
; NumVGPRsForWavesPerEU: 150
; Occupancy: 9
; WaveLimiterHint : 1
; COMPUTE_PGM_RSRC2:SCRATCH_EN: 0
; COMPUTE_PGM_RSRC2:USER_SGPR: 13
; COMPUTE_PGM_RSRC2:TRAP_HANDLER: 0
; COMPUTE_PGM_RSRC2:TGID_X_EN: 1
; COMPUTE_PGM_RSRC2:TGID_Y_EN: 1
; COMPUTE_PGM_RSRC2:TGID_Z_EN: 1
; COMPUTE_PGM_RSRC2:TIDIG_COMP_CNT: 0
	.section	.text._Z39paged_attention_ll4mi_QKV_mfma16_kernelIDF16_hLN4vllm18Fp8KVCacheDataTypeE1EDF16_Li32ELi128ELi256ELb1ELi12EL8MFMAType0EEvPKT_PKT0_S8_ifPKiSA_SA_iPKfiiiPfSD_PS3_PT2_iSC_SC_,"axG",@progbits,_Z39paged_attention_ll4mi_QKV_mfma16_kernelIDF16_hLN4vllm18Fp8KVCacheDataTypeE1EDF16_Li32ELi128ELi256ELb1ELi12EL8MFMAType0EEvPKT_PKT0_S8_ifPKiSA_SA_iPKfiiiPfSD_PS3_PT2_iSC_SC_,comdat
	.protected	_Z39paged_attention_ll4mi_QKV_mfma16_kernelIDF16_hLN4vllm18Fp8KVCacheDataTypeE1EDF16_Li32ELi128ELi256ELb1ELi12EL8MFMAType0EEvPKT_PKT0_S8_ifPKiSA_SA_iPKfiiiPfSD_PS3_PT2_iSC_SC_ ; -- Begin function _Z39paged_attention_ll4mi_QKV_mfma16_kernelIDF16_hLN4vllm18Fp8KVCacheDataTypeE1EDF16_Li32ELi128ELi256ELb1ELi12EL8MFMAType0EEvPKT_PKT0_S8_ifPKiSA_SA_iPKfiiiPfSD_PS3_PT2_iSC_SC_
	.globl	_Z39paged_attention_ll4mi_QKV_mfma16_kernelIDF16_hLN4vllm18Fp8KVCacheDataTypeE1EDF16_Li32ELi128ELi256ELb1ELi12EL8MFMAType0EEvPKT_PKT0_S8_ifPKiSA_SA_iPKfiiiPfSD_PS3_PT2_iSC_SC_
	.p2align	8
	.type	_Z39paged_attention_ll4mi_QKV_mfma16_kernelIDF16_hLN4vllm18Fp8KVCacheDataTypeE1EDF16_Li32ELi128ELi256ELb1ELi12EL8MFMAType0EEvPKT_PKT0_S8_ifPKiSA_SA_iPKfiiiPfSD_PS3_PT2_iSC_SC_,@function
_Z39paged_attention_ll4mi_QKV_mfma16_kernelIDF16_hLN4vllm18Fp8KVCacheDataTypeE1EDF16_Li32ELi128ELi256ELb1ELi12EL8MFMAType0EEvPKT_PKT0_S8_ifPKiSA_SA_iPKfiiiPfSD_PS3_PT2_iSC_SC_: ; @_Z39paged_attention_ll4mi_QKV_mfma16_kernelIDF16_hLN4vllm18Fp8KVCacheDataTypeE1EDF16_Li32ELi128ELi256ELb1ELi12EL8MFMAType0EEvPKT_PKT0_S8_ifPKiSA_SA_iPKfiiiPfSD_PS3_PT2_iSC_SC_
; %bb.0:
	s_load_b64 s[4:5], s[0:1], 0x30
	s_mov_b32 s30, s13
	s_waitcnt lgkmcnt(0)
	s_cmp_lg_u64 s[4:5], 0
	s_cselect_b32 s8, -1, 0
	s_ashr_i32 s31, s13, 31
	s_cmp_eq_u64 s[4:5], 0
	s_cbranch_scc1 .LBB1321_3
; %bb.1:
	s_lshl_b64 s[2:3], s[30:31], 2
	s_delay_alu instid0(SALU_CYCLE_1) | instskip(SKIP_4) | instid1(SALU_CYCLE_1)
	s_add_u32 s2, s4, s2
	s_addc_u32 s3, s5, s3
	s_load_b64 s[2:3], s[2:3], 0x0
	s_waitcnt lgkmcnt(0)
	s_sub_i32 s2, s3, s2
	s_cmp_eq_u32 s2, 1
	s_cselect_b32 s2, -1, 0
	s_delay_alu instid0(SALU_CYCLE_1)
	s_and_not1_b32 vcc_lo, exec_lo, s2
	s_cbranch_vccz .LBB1321_4
.LBB1321_2:
	s_endpgm
.LBB1321_3:
.LBB1321_4:
	s_load_b64 s[2:3], s[0:1], 0x28
	s_lshl_b64 s[6:7], s[30:31], 2
	s_waitcnt lgkmcnt(0)
	s_add_u32 s2, s2, s6
	s_addc_u32 s3, s3, s7
	s_lshl_b32 s12, s14, 8
	s_load_b32 s24, s[2:3], 0x0
	s_waitcnt lgkmcnt(0)
	s_cmp_ge_i32 s12, s24
	s_cbranch_scc1 .LBB1321_2
; %bb.5:
	s_clause 0x1
	s_load_b128 s[20:23], s[0:1], 0x8
	s_load_b64 s[2:3], s[0:1], 0x20
	s_and_not1_b32 vcc_lo, exec_lo, s8
	s_cbranch_vccnz .LBB1321_7
; %bb.6:
	s_add_u32 s4, s4, s6
	s_addc_u32 s5, s5, s7
	s_load_b32 s5, s[4:5], 0x0
	s_branch .LBB1321_8
.LBB1321_7:
	s_mov_b32 s5, s30
.LBB1321_8:
	s_load_b128 s[16:19], s[0:1], 0x48
	v_and_b32_e32 v68, 15, v0
	v_lshrrev_b32_e32 v69, 5, v0
	v_and_b32_e32 v70, 31, v0
	v_and_b32_e32 v67, 1, v0
	v_bfe_u32 v66, v0, 4, 1
	v_lshlrev_b32_e32 v1, 3, v68
	s_mul_i32 s31, s15, 12
	s_mov_b32 s4, exec_lo
	s_delay_alu instid0(VALU_DEP_1)
	v_lshlrev_b32_e32 v65, 1, v1
	v_cmpx_gt_u32_e32 0xc0, v0
	s_cbranch_execz .LBB1321_10
; %bb.9:
	s_load_b64 s[6:7], s[0:1], 0x0
	v_lshl_or_b32 v5, v69, 1, v66
	s_waitcnt lgkmcnt(0)
	s_mul_hi_i32 s9, s5, s16
	s_mul_i32 s8, s5, s16
	v_lshlrev_b32_e32 v6, 10, v68
	s_lshl_b64 s[8:9], s[8:9], 1
	v_add_lshl_u32 v1, v5, s31, 7
	v_lshlrev_b32_e32 v5, 6, v5
	v_lshlrev_b32_e32 v7, 10, v67
	v_and_b32_e32 v6, 0x3800, v6
	s_delay_alu instid0(VALU_DEP_4) | instskip(NEXT) | instid1(VALU_DEP_2)
	v_ashrrev_i32_e32 v2, 31, v1
	v_or3_b32 v5, v6, v7, v5
	s_delay_alu instid0(VALU_DEP_2) | instskip(SKIP_2) | instid1(VALU_DEP_1)
	v_lshlrev_b64 v[1:2], 1, v[1:2]
	s_add_u32 s5, s6, s8
	s_addc_u32 s6, s7, s9
	v_add_co_u32 v1, vcc_lo, s5, v1
	s_delay_alu instid0(VALU_DEP_2) | instskip(NEXT) | instid1(VALU_DEP_2)
	v_add_co_ci_u32_e32 v2, vcc_lo, s6, v2, vcc_lo
	v_add_co_u32 v1, vcc_lo, v1, v65
	s_delay_alu instid0(VALU_DEP_2)
	v_add_co_ci_u32_e32 v2, vcc_lo, 0, v2, vcc_lo
	global_load_b128 v[1:4], v[1:2], off
	s_waitcnt vmcnt(0)
	ds_store_b128 v5, v[1:4]
.LBB1321_10:
	s_or_b32 exec_lo, exec_lo, s4
	v_and_b32_e32 v1, 0xef, v0
	s_waitcnt lgkmcnt(0)
	s_add_i32 s5, s24, 31
	s_clause 0x1
	s_load_b32 s4, s[0:1], 0x38
	s_load_b32 s33, s[0:1], 0x98
	s_ashr_i32 s6, s5, 31
	v_add_nc_u32_e32 v1, s12, v1
	s_lshr_b32 s6, s6, 27
	s_load_b32 s19, s[0:1], 0x1c
	s_add_i32 s5, s5, s6
	s_waitcnt lgkmcnt(0)
	v_ashrrev_i32_e32 v2, 31, v1
	v_or_b32_e32 v3, 16, v1
	s_ashr_i32 s13, s5, 5
	v_cmp_gt_i32_e32 vcc_lo, s24, v1
	s_add_i32 s13, s13, -1
	v_lshrrev_b32_e32 v2, 27, v2
	s_barrier
	buffer_gl0_inv
	s_mul_i32 s15, s15, s18
	v_add_nc_u32_e32 v4, v1, v2
	s_mul_i32 s4, s30, s4
	s_delay_alu instid0(SALU_CYCLE_1) | instskip(NEXT) | instid1(VALU_DEP_1)
	s_ashr_i32 s5, s4, 31
	v_ashrrev_i32_e32 v4, 5, v4
	v_add_nc_u32_e32 v2, v3, v2
	s_lshl_b64 s[4:5], s[4:5], 2
	s_delay_alu instid0(SALU_CYCLE_1) | instskip(NEXT) | instid1(VALU_DEP_2)
	s_add_u32 s16, s2, s4
	v_cndmask_b32_e32 v1, s13, v4, vcc_lo
	s_delay_alu instid0(VALU_DEP_2)
	v_ashrrev_i32_e32 v2, 5, v2
	v_cmp_gt_i32_e32 vcc_lo, s24, v3
	s_addc_u32 s25, s3, s5
	s_ashr_i32 s18, s15, 31
	s_add_u32 s2, s20, s15
	s_addc_u32 s3, s21, s18
	v_cndmask_b32_e32 v3, s13, v2, vcc_lo
	v_ashrrev_i32_e32 v2, 31, v1
	s_lshl_b32 s4, s14, 3
	s_delay_alu instid0(SALU_CYCLE_1) | instskip(NEXT) | instid1(VALU_DEP_2)
	s_ashr_i32 s5, s4, 31
	v_ashrrev_i32_e32 v4, 31, v3
	s_delay_alu instid0(VALU_DEP_2) | instskip(SKIP_1) | instid1(SALU_CYCLE_1)
	v_lshlrev_b64 v[1:2], 2, v[1:2]
	s_lshl_b64 s[4:5], s[4:5], 2
	s_add_u32 s4, s16, s4
	s_delay_alu instid0(VALU_DEP_2) | instskip(SKIP_1) | instid1(VALU_DEP_2)
	v_lshlrev_b64 v[3:4], 2, v[3:4]
	s_addc_u32 s5, s25, s5
	v_add_co_u32 v1, vcc_lo, s16, v1
	v_add_co_ci_u32_e32 v2, vcc_lo, s25, v2, vcc_lo
	s_delay_alu instid0(VALU_DEP_3) | instskip(NEXT) | instid1(VALU_DEP_4)
	v_add_co_u32 v3, vcc_lo, s16, v3
	v_add_co_ci_u32_e32 v4, vcc_lo, s25, v4, vcc_lo
	s_clause 0x1
	global_load_b32 v5, v[1:2], off
	global_load_b32 v6, v[3:4], off
	s_or_b32 s6, s12, 32
	s_delay_alu instid0(SALU_CYCLE_1) | instskip(SKIP_2) | instid1(SALU_CYCLE_1)
	s_ashr_i32 s7, s6, 5
	s_cmp_lt_i32 s6, s24
	s_cselect_b32 s6, s7, s13
	s_ashr_i32 s7, s6, 31
	s_delay_alu instid0(SALU_CYCLE_1) | instskip(NEXT) | instid1(SALU_CYCLE_1)
	s_lshl_b64 s[6:7], s[6:7], 2
	s_add_u32 s6, s16, s6
	s_addc_u32 s7, s25, s7
	s_or_b32 s8, s12, 64
	s_delay_alu instid0(SALU_CYCLE_1) | instskip(SKIP_2) | instid1(SALU_CYCLE_1)
	s_ashr_i32 s9, s8, 5
	s_cmp_lt_i32 s8, s24
	s_cselect_b32 s8, s9, s13
	s_ashr_i32 s9, s8, 31
	s_delay_alu instid0(SALU_CYCLE_1) | instskip(NEXT) | instid1(SALU_CYCLE_1)
	s_lshl_b64 s[8:9], s[8:9], 2
	s_add_u32 s8, s16, s8
	s_addc_u32 s9, s25, s9
	s_or_b32 s10, s12, 0x60
	s_delay_alu instid0(SALU_CYCLE_1) | instskip(SKIP_2) | instid1(SALU_CYCLE_1)
	s_ashr_i32 s11, s10, 5
	s_cmp_lt_i32 s10, s24
	s_cselect_b32 s10, s11, s13
	s_ashr_i32 s11, s10, 31
	s_delay_alu instid0(SALU_CYCLE_1) | instskip(NEXT) | instid1(SALU_CYCLE_1)
	s_lshl_b64 s[10:11], s[10:11], 2
	s_add_u32 s10, s16, s10
	s_addc_u32 s11, s25, s11
	s_or_b32 s20, s12, 0x80
	s_delay_alu instid0(SALU_CYCLE_1) | instskip(SKIP_2) | instid1(SALU_CYCLE_1)
	s_ashr_i32 s21, s20, 5
	s_cmp_lt_i32 s20, s24
	s_cselect_b32 s20, s21, s13
	s_ashr_i32 s21, s20, 31
	s_delay_alu instid0(SALU_CYCLE_1) | instskip(NEXT) | instid1(SALU_CYCLE_1)
	s_lshl_b64 s[20:21], s[20:21], 2
	s_add_u32 s20, s16, s20
	s_addc_u32 s21, s25, s21
	s_or_b32 s26, s12, 0xa0
	s_delay_alu instid0(SALU_CYCLE_1) | instskip(SKIP_2) | instid1(SALU_CYCLE_1)
	s_ashr_i32 s27, s26, 5
	s_cmp_lt_i32 s26, s24
	s_cselect_b32 s26, s27, s13
	s_ashr_i32 s27, s26, 31
	s_delay_alu instid0(SALU_CYCLE_1) | instskip(NEXT) | instid1(SALU_CYCLE_1)
	s_lshl_b64 s[26:27], s[26:27], 2
	s_add_u32 s26, s16, s26
	s_addc_u32 s27, s25, s27
	s_clause 0x5
	s_load_b32 s28, s[4:5], 0x0
	s_load_b32 s29, s[6:7], 0x0
	;; [unrolled: 1-line block ×6, first 2 shown]
	s_mov_b32 s4, 0
	s_delay_alu instid0(SALU_CYCLE_1)
	s_mov_b32 s5, s4
	s_mov_b32 s6, s4
	;; [unrolled: 1-line block ×7, first 2 shown]
	s_delay_alu instid0(SALU_CYCLE_1)
	v_dual_mov_b32 v118, s11 :: v_dual_mov_b32 v117, s10
	v_dual_mov_b32 v116, s9 :: v_dual_mov_b32 v115, s8
	v_mov_b32_e32 v113, s6
	v_dual_mov_b32 v111, s4 :: v_dual_mov_b32 v114, s7
	v_mov_b32_e32 v112, s5
	s_waitcnt vmcnt(1)
	v_mad_i64_i32 v[1:2], null, v5, s17, s[2:3]
	v_lshlrev_b32_e32 v5, 4, v68
	s_waitcnt vmcnt(0)
	v_mad_i64_i32 v[3:4], null, v6, s17, s[2:3]
	s_or_b32 s2, s12, 0xc0
	s_delay_alu instid0(SALU_CYCLE_1) | instskip(NEXT) | instid1(VALU_DEP_3)
	s_ashr_i32 s3, s2, 5
	v_add_co_u32 v1, vcc_lo, v1, v5
	s_delay_alu instid0(VALU_DEP_4) | instskip(NEXT) | instid1(VALU_DEP_3)
	v_add_co_ci_u32_e32 v2, vcc_lo, 0, v2, vcc_lo
	v_add_co_u32 v3, vcc_lo, v3, v5
	s_delay_alu instid0(VALU_DEP_4)
	v_add_co_ci_u32_e32 v4, vcc_lo, 0, v4, vcc_lo
	s_clause 0xf
	global_load_b128 v[17:20], v[1:2], off
	global_load_b128 v[21:24], v[1:2], off offset:512
	global_load_b128 v[25:28], v[3:4], off offset:256
	;; [unrolled: 1-line block ×15, first 2 shown]
	s_cmp_lt_i32 s2, s24
	v_add_nc_u32_e32 v1, -12, v68
	s_cselect_b32 s2, s3, s13
	v_cmp_gt_u32_e32 vcc_lo, 12, v68
	s_ashr_i32 s3, s2, 31
	v_lshlrev_b32_e32 v2, 5, v68
	s_lshl_b64 s[2:3], s[2:3], 2
	s_delay_alu instid0(SALU_CYCLE_1)
	s_add_u32 s2, s16, s2
	s_addc_u32 s3, s25, s3
	s_or_b32 s20, s12, 0xe0
	v_cndmask_b32_e32 v1, v1, v68, vcc_lo
	s_ashr_i32 s21, s20, 5
	s_cmp_lt_i32 s20, s24
	s_cselect_b32 s20, s21, s13
	s_delay_alu instid0(VALU_DEP_1)
	v_lshlrev_b32_e32 v149, 6, v1
	s_ashr_i32 s21, s20, 31
	v_lshl_or_b32 v1, v69, 9, v2
	s_lshl_b64 s[4:5], s[20:21], 2
	ds_load_b128 v[119:122], v149
	ds_load_b128 v[123:126], v149 offset:1024
	s_add_u32 s4, s16, s4
	s_addc_u32 s5, s25, s5
	ds_load_b128 v[127:130], v149 offset:2048
	ds_load_b128 v[131:134], v149 offset:3072
	s_clause 0x1
	s_load_b32 s2, s[2:3], 0x0
	s_load_b32 s3, s[4:5], 0x0
	s_add_u32 s6, s22, s15
	s_addc_u32 s7, s23, s18
	v_add_co_u32 v135, s6, s6, v1
	s_delay_alu instid0(VALU_DEP_1) | instskip(SKIP_1) | instid1(VALU_DEP_1)
	v_add_co_ci_u32_e64 v136, null, s7, 0, s6
	s_waitcnt lgkmcnt(0)
	v_mad_i64_i32 v[1:2], null, s28, s17, v[135:136]
	v_mad_i64_i32 v[3:4], null, s29, s17, v[135:136]
	;; [unrolled: 1-line block ×6, first 2 shown]
	s_clause 0x9
	global_load_b128 v[49:52], v[1:2], off
	global_load_b128 v[53:56], v[1:2], off offset:16
	global_load_b128 v[41:44], v[3:4], off
	global_load_b128 v[45:48], v[3:4], off offset:16
	;; [unrolled: 2-line block ×5, first 2 shown]
	v_mad_i64_i32 v[145:146], null, s2, s17, v[135:136]
	v_mad_i64_i32 v[147:148], null, s3, s17, v[135:136]
	s_waitcnt vmcnt(24)
	v_wmma_f32_16x16x16_f16 v[135:142], v[17:24], v[119:126], v[111:118]
	s_waitcnt vmcnt(22)
	v_wmma_f32_16x16x16_f16 v[111:118], v[25:32], v[119:126], v[111:118]
	s_clause 0x3
	global_load_b128 v[17:20], v[143:144], off
	global_load_b128 v[21:24], v[143:144], off offset:16
	global_load_b128 v[25:28], v[145:146], off
	global_load_b128 v[29:32], v[145:146], off offset:16
	v_and_b32_e32 v119, 0xe0, v0
	s_waitcnt vmcnt(24)
	v_wmma_f32_16x16x16_f16 v[135:142], v[57:64], v[127:134], v[135:142]
	s_clause 0x1
	global_load_b128 v[57:60], v[147:148], off
	global_load_b128 v[61:64], v[147:148], off offset:16
	s_waitcnt vmcnt(24)
	v_wmma_f32_16x16x16_f16 v[111:118], v[71:78], v[127:134], v[111:118]
	ds_load_b128 v[71:74], v149 offset:4096
	ds_load_b128 v[75:78], v149 offset:5120
	v_add_nc_u32_e32 v128, s12, v119
	ds_load_b128 v[119:122], v149 offset:6144
	ds_load_b128 v[123:126], v149 offset:7168
	v_mbcnt_lo_u32_b32 v127, -1, 0
	s_waitcnt vmcnt(0) lgkmcnt(0)
	s_barrier
	v_or_b32_e32 v128, v128, v66
	buffer_gl0_inv
	v_xor_b32_e32 v129, 16, v127
	v_or_b32_e32 v130, 4, v128
	v_or_b32_e32 v131, 6, v128
	s_delay_alu instid0(VALU_DEP_3) | instskip(SKIP_4) | instid1(VALU_DEP_4)
	v_cmp_gt_i32_e32 vcc_lo, 32, v129
	v_or_b32_e32 v132, 8, v128
	v_or_b32_e32 v133, 10, v128
	v_cmp_gt_i32_e64 s3, s24, v130
	v_cmp_gt_i32_e64 s4, s24, v131
	;; [unrolled: 1-line block ×3, first 2 shown]
	v_wmma_f32_16x16x16_f16 v[135:142], v[79:86], v[71:78], v[135:142]
	v_wmma_f32_16x16x16_f16 v[111:118], v[87:94], v[71:78], v[111:118]
	v_or_b32_e32 v79, 12, v128
	v_or_b32_e32 v80, 14, v128
	v_cmp_gt_i32_e64 s6, s24, v133
	v_wmma_f32_16x16x16_f16 v[135:142], v[95:102], v[119:126], v[135:142]
	v_wmma_f32_16x16x16_f16 v[111:118], v[103:110], v[119:126], v[111:118]
	v_cndmask_b32_e32 v127, v127, v129, vcc_lo
	v_or_b32_e32 v129, 2, v128
	v_cmp_gt_i32_e32 vcc_lo, s24, v128
	s_delay_alu instid0(VALU_DEP_4) | instskip(SKIP_1) | instid1(VALU_DEP_4)
	v_dual_mul_f32 v87, s19, v136 :: v_dual_mul_f32 v94, s19, v113
	v_mul_f32_e32 v88, s19, v135
	v_cmp_gt_i32_e64 s2, s24, v129
	v_mul_f32_e32 v78, s19, v138
	v_mul_f32_e32 v86, s19, v137
	;; [unrolled: 1-line block ×3, first 2 shown]
	v_cndmask_b32_e32 v88, 0xff7fffff, v88, vcc_lo
	v_cndmask_b32_e64 v87, 0xff7fffff, v87, s2
	v_dual_mul_f32 v77, s19, v139 :: v_dual_mul_f32 v90, s19, v117
	v_cndmask_b32_e64 v86, 0xff7fffff, v86, s3
	v_cndmask_b32_e64 v78, 0xff7fffff, v78, s4
	s_delay_alu instid0(VALU_DEP_4)
	v_max3_f32 v87, v88, 0xff7fffff, v87
	v_or_b32_e32 v81, 16, v128
	v_or_b32_e32 v82, 18, v128
	v_dual_mul_f32 v74, s19, v142 :: v_dual_mul_f32 v75, s19, v141
	v_mul_f32_e32 v96, s19, v111
	v_cndmask_b32_e64 v77, 0xff7fffff, v77, s5
	v_cndmask_b32_e64 v76, 0xff7fffff, v76, s6
	v_max3_f32 v78, v87, v86, v78
	v_cmp_gt_i32_e64 s7, s24, v79
	v_cmp_gt_i32_e64 s8, s24, v80
	v_or_b32_e32 v83, 20, v128
	v_or_b32_e32 v84, 22, v128
	v_mul_f32_e32 v95, s19, v112
	v_cndmask_b32_e64 v75, 0xff7fffff, v75, s7
	v_cndmask_b32_e64 v74, 0xff7fffff, v74, s8
	v_max3_f32 v76, v78, v77, v76
	v_cmp_gt_i32_e64 s9, s24, v81
	v_cmp_gt_i32_e64 s10, s24, v82
	v_or_b32_e32 v85, 24, v128
	v_or_b32_e32 v71, 26, v128
	;; [unrolled: 8-line block ×3, first 2 shown]
	v_dual_mul_f32 v91, s19, v116 :: v_dual_mul_f32 v92, s19, v115
	v_cndmask_b32_e64 v75, 0xff7fffff, v94, s11
	v_cndmask_b32_e64 v76, 0xff7fffff, v93, s12
	v_max3_f32 v74, v74, v77, v78
	v_cmp_gt_i32_e64 s13, s24, v85
	v_cmp_gt_i32_e64 s15, s24, v71
	v_mul_f32_e32 v89, s19, v118
	v_cmp_gt_i32_e64 s16, s24, v72
	v_max3_f32 v74, v74, v75, v76
	v_cndmask_b32_e64 v77, 0xff7fffff, v92, s13
	v_cndmask_b32_e64 v71, 0xff7fffff, v91, s15
	v_cmp_gt_i32_e64 s17, s24, v73
	v_cndmask_b32_e64 v72, 0xff7fffff, v90, s16
	s_delay_alu instid0(VALU_DEP_3) | instskip(SKIP_1) | instid1(VALU_DEP_4)
	v_max3_f32 v71, v74, v77, v71
	v_lshlrev_b32_e32 v74, 2, v127
	v_cndmask_b32_e64 v73, 0xff7fffff, v89, s17
	s_delay_alu instid0(VALU_DEP_1) | instskip(SKIP_3) | instid1(VALU_DEP_1)
	v_max3_f32 v71, v71, v72, v73
	ds_bpermute_b32 v72, v74, v71
	s_waitcnt lgkmcnt(0)
	v_max_f32_e32 v72, v72, v72
	v_max_f32_e32 v71, v71, v72
	s_delay_alu instid0(VALU_DEP_1) | instskip(SKIP_4) | instid1(VALU_DEP_4)
	v_fma_f32 v72, s19, v135, -v71
	v_fma_f32 v73, s19, v136, -v71
	;; [unrolled: 1-line block ×5, first 2 shown]
	v_dual_mul_f32 v72, 0x3fb8aa3b, v72 :: v_dual_mul_f32 v73, 0x3fb8aa3b, v73
	s_delay_alu instid0(VALU_DEP_3) | instskip(SKIP_1) | instid1(VALU_DEP_3)
	v_dual_mul_f32 v75, 0x3fb8aa3b, v75 :: v_dual_mul_f32 v76, 0x3fb8aa3b, v76
	v_fma_f32 v80, s19, v141, -v71
	v_exp_f32_e32 v72, v72
	s_delay_alu instid0(VALU_DEP_3) | instskip(NEXT) | instid1(VALU_DEP_2)
	v_exp_f32_e32 v73, v73
	v_exp_f32_e32 v75, v75
	;; [unrolled: 1-line block ×3, first 2 shown]
	v_mul_f32_e32 v82, 0x3fb8aa3b, v80
	s_delay_alu instid0(VALU_DEP_1) | instskip(SKIP_4) | instid1(TRANS32_DEP_3)
	v_exp_f32_e32 v84, v82
	v_cndmask_b32_e32 v79, 0, v72, vcc_lo
	v_fma_f32 v72, s19, v140, -v71
	v_mul_f32_e32 v77, 0x3fb8aa3b, v77
	v_cndmask_b32_e64 v78, 0, v73, s2
	v_cndmask_b32_e64 v81, 0, v75, s3
	s_delay_alu instid0(VALU_DEP_4) | instskip(NEXT) | instid1(VALU_DEP_4)
	v_dual_add_f32 v73, 0, v79 :: v_dual_mul_f32 v72, 0x3fb8aa3b, v72
	v_exp_f32_e32 v77, v77
	v_cndmask_b32_e64 v80, 0, v76, s4
	s_delay_alu instid0(TRANS32_DEP_2) | instskip(NEXT) | instid1(VALU_DEP_3)
	v_cndmask_b32_e64 v85, 0, v84, s7
	v_add_f32_e32 v73, v73, v78
	v_exp_f32_e32 v72, v72
	s_mov_b32 s2, exec_lo
	s_delay_alu instid0(VALU_DEP_1) | instskip(SKIP_4) | instid1(VALU_DEP_2)
	v_add_f32_e32 v73, v73, v81
	s_waitcnt_depctr 0xfff
	v_cndmask_b32_e64 v83, 0, v77, s5
	v_add_f32_e32 v73, v73, v80
	v_cndmask_b32_e64 v82, 0, v72, s6
	v_add_f32_e32 v72, v73, v83
	s_delay_alu instid0(VALU_DEP_1) | instskip(NEXT) | instid1(VALU_DEP_1)
	v_add_f32_e32 v72, v72, v82
	v_add_f32_e32 v72, v72, v85
	v_fma_f32 v76, s19, v111, -v71
	v_fma_f32 v75, s19, v142, -v71
	;; [unrolled: 1-line block ×5, first 2 shown]
	s_delay_alu instid0(VALU_DEP_4) | instskip(NEXT) | instid1(VALU_DEP_3)
	v_dual_mul_f32 v76, 0x3fb8aa3b, v76 :: v_dual_mul_f32 v75, 0x3fb8aa3b, v75
	v_mul_f32_e32 v86, 0x3fb8aa3b, v86
	s_delay_alu instid0(VALU_DEP_2) | instskip(NEXT) | instid1(VALU_DEP_2)
	v_exp_f32_e32 v76, v76
	v_exp_f32_e32 v75, v75
	s_delay_alu instid0(VALU_DEP_1) | instskip(NEXT) | instid1(TRANS32_DEP_3)
	v_exp_f32_e32 v88, v86
	v_cndmask_b32_e64 v87, 0, v76, s9
	v_fma_f32 v76, s19, v116, -v71
	v_mul_f32_e32 v77, 0x3fb8aa3b, v77
	s_waitcnt_depctr 0xfff
	v_cndmask_b32_e64 v84, 0, v75, s8
	v_fma_f32 v75, s19, v115, -v71
	v_cndmask_b32_e64 v88, 0, v88, s12
	v_mul_f32_e32 v76, 0x3fb8aa3b, v76
	v_exp_f32_e32 v77, v77
	v_add_f32_e32 v72, v72, v84
	s_delay_alu instid0(VALU_DEP_2) | instskip(NEXT) | instid1(VALU_DEP_1)
	v_exp_f32_e32 v76, v76
	v_add_f32_e32 v72, v72, v87
	s_waitcnt_depctr 0xfff
	v_cndmask_b32_e64 v86, 0, v77, s10
	v_mul_f32_e32 v73, 0x3fb8aa3b, v73
	v_fma_f32 v77, s19, v117, -v71
	v_cndmask_b32_e64 v90, 0, v76, s15
	s_delay_alu instid0(VALU_DEP_4) | instskip(NEXT) | instid1(VALU_DEP_4)
	v_add_f32_e32 v72, v72, v86
	v_exp_f32_e32 v73, v73
	s_waitcnt_depctr 0xfff
	v_cndmask_b32_e64 v89, 0, v73, s11
	s_delay_alu instid0(VALU_DEP_1) | instskip(NEXT) | instid1(VALU_DEP_1)
	v_dual_mul_f32 v75, 0x3fb8aa3b, v75 :: v_dual_add_f32 v72, v72, v89
	v_exp_f32_e32 v75, v75
	v_mul_f32_e32 v73, 0x3fb8aa3b, v77
	v_fma_f32 v77, s19, v118, -v71
	s_delay_alu instid0(VALU_DEP_3) | instskip(NEXT) | instid1(VALU_DEP_3)
	v_add_f32_e32 v72, v72, v88
	v_exp_f32_e32 v73, v73
	s_waitcnt_depctr 0xfff
	v_cndmask_b32_e64 v91, 0, v75, s13
	s_delay_alu instid0(VALU_DEP_1) | instskip(NEXT) | instid1(VALU_DEP_1)
	v_dual_mul_f32 v75, 0x3fb8aa3b, v77 :: v_dual_add_f32 v72, v72, v91
	v_exp_f32_e32 v75, v75
	v_cndmask_b32_e64 v93, 0, v73, s16
	s_delay_alu instid0(VALU_DEP_2) | instskip(NEXT) | instid1(VALU_DEP_1)
	v_add_f32_e32 v72, v72, v90
	v_add_f32_e32 v72, v72, v93
	s_waitcnt_depctr 0xfff
	v_cndmask_b32_e64 v92, 0, v75, s17
	s_delay_alu instid0(VALU_DEP_1)
	v_add_f32_e32 v72, v72, v92
	ds_bpermute_b32 v73, v74, v72
	v_cmpx_gt_u32_e32 16, v70
	s_cbranch_execz .LBB1321_12
; %bb.11:
	v_mul_u32_u24_e32 v70, 0x44, v69
	s_waitcnt lgkmcnt(0)
	v_add_f32_e32 v72, v72, v73
	s_delay_alu instid0(VALU_DEP_2) | instskip(NEXT) | instid1(VALU_DEP_1)
	v_lshl_add_u32 v70, v68, 2, v70
	v_add_nc_u32_e32 v70, 0x4000, v70
	ds_store_2addr_b32 v70, v71, v72 offset1:136
.LBB1321_12:
	s_or_b32 exec_lo, exec_lo, s2
	v_lshlrev_b32_e32 v70, 2, v68
	s_load_b32 s34, s[0:1], 0x94
	s_waitcnt lgkmcnt(0)
	s_barrier
	buffer_gl0_inv
	v_add_nc_u32_e32 v98, 0x4000, v70
	v_cmp_eq_u32_e32 vcc_lo, 1, v69
	v_cmp_eq_u32_e64 s2, 2, v69
	v_cmp_eq_u32_e64 s3, 3, v69
	;; [unrolled: 1-line block ×3, first 2 shown]
	ds_load_2addr_b32 v[70:71], v98 offset1:17
	ds_load_2addr_b32 v[72:73], v98 offset0:34 offset1:51
	ds_load_2addr_b32 v[74:75], v98 offset0:68 offset1:85
	ds_load_2addr_b32 v[94:95], v98 offset0:102 offset1:119
	v_cmp_eq_u32_e64 s5, 5, v69
	v_cmp_eq_u32_e64 s6, 7, v69
	s_waitcnt lgkmcnt(3)
	v_max3_f32 v76, v70, 0xff7fffff, v71
	s_waitcnt lgkmcnt(2)
	s_delay_alu instid0(VALU_DEP_1) | instskip(SKIP_1) | instid1(VALU_DEP_1)
	v_max3_f32 v76, v76, v72, v73
	s_waitcnt lgkmcnt(1)
	v_max3_f32 v76, v76, v74, v75
	s_waitcnt lgkmcnt(0)
	s_delay_alu instid0(VALU_DEP_1) | instskip(NEXT) | instid1(VALU_DEP_1)
	v_max3_f32 v76, v76, v94, v95
	v_sub_f32_e32 v77, v71, v76
	ds_load_2addr_b32 v[96:97], v98 offset0:136 offset1:153
	v_sub_f32_e32 v74, v74, v76
	v_sub_f32_e32 v70, v70, v76
	;; [unrolled: 1-line block ×3, first 2 shown]
	v_dual_sub_f32 v72, v72, v76 :: v_dual_mul_f32 v77, 0x3fb8aa3b, v77
	s_delay_alu instid0(VALU_DEP_4) | instskip(NEXT) | instid1(VALU_DEP_4)
	v_mul_f32_e32 v103, 0x3fb8aa3b, v74
	v_mul_f32_e32 v99, 0x3fb8aa3b, v70
	ds_load_2addr_b32 v[70:71], v98 offset0:170 offset1:187
	v_dual_mul_f32 v101, 0x3fb8aa3b, v72 :: v_dual_mul_f32 v94, 0x3fb8aa3b, v94
	v_exp_f32_e32 v102, v77
	v_exp_f32_e32 v99, v99
	s_delay_alu instid0(VALU_DEP_1) | instskip(NEXT) | instid1(VALU_DEP_1)
	v_exp_f32_e32 v101, v101
	v_exp_f32_e32 v94, v94
	s_waitcnt lgkmcnt(1)
	s_delay_alu instid0(TRANS32_DEP_3)
	v_fma_f32 v77, v99, v96, 0
	v_sub_f32_e32 v100, v73, v76
	ds_load_2addr_b32 v[72:73], v98 offset0:204 offset1:221
	v_fmac_f32_e32 v77, v102, v97
	v_exp_f32_e32 v97, v103
	s_waitcnt lgkmcnt(1)
	s_delay_alu instid0(VALU_DEP_1)
	v_dual_fmac_f32 v77, v101, v70 :: v_dual_sub_f32 v96, v75, v76
	ds_load_2addr_b32 v[74:75], v98 offset0:238 offset1:255
	v_sub_f32_e32 v70, v95, v76
	s_waitcnt lgkmcnt(0)
	s_barrier
	v_mul_f32_e32 v96, 0x3fb8aa3b, v96
	buffer_gl0_inv
	v_exp_f32_e32 v95, v96
	v_mul_f32_e32 v100, 0x3fb8aa3b, v100
	s_delay_alu instid0(VALU_DEP_1) | instskip(SKIP_3) | instid1(VALU_DEP_2)
	v_exp_f32_e32 v100, v100
	s_waitcnt_depctr 0xfff
	v_dual_fmac_f32 v77, v100, v71 :: v_dual_mul_f32 v70, 0x3fb8aa3b, v70
	v_cndmask_b32_e32 v71, v99, v102, vcc_lo
	v_fmac_f32_e32 v77, v97, v72
	s_delay_alu instid0(VALU_DEP_3) | instskip(NEXT) | instid1(VALU_DEP_1)
	v_exp_f32_e32 v96, v70
	v_fmac_f32_e32 v77, v95, v73
	s_delay_alu instid0(VALU_DEP_1) | instskip(SKIP_2) | instid1(VALU_DEP_1)
	v_fmac_f32_e32 v77, v94, v74
	s_waitcnt_depctr 0xfff
	v_fmac_f32_e32 v77, v96, v75
	v_add_f32_e32 v74, 0x358637bd, v77
	s_delay_alu instid0(VALU_DEP_1) | instskip(SKIP_1) | instid1(VALU_DEP_2)
	v_div_scale_f32 v98, null, v74, v74, 1.0
	v_div_scale_f32 v99, vcc_lo, 1.0, v74, 1.0
	v_rcp_f32_e32 v103, v98
	s_waitcnt_depctr 0xfff
	v_fma_f32 v70, -v98, v103, 1.0
	s_delay_alu instid0(VALU_DEP_1) | instskip(SKIP_2) | instid1(VALU_DEP_2)
	v_fmac_f32_e32 v103, v70, v103
	v_cndmask_b32_e64 v70, v71, v101, s2
	v_cmp_eq_u32_e64 s2, 6, v69
	v_cndmask_b32_e64 v71, v70, v100, s3
	s_delay_alu instid0(VALU_DEP_4) | instskip(NEXT) | instid1(VALU_DEP_2)
	v_dual_mul_f32 v101, v99, v103 :: v_dual_lshlrev_b32 v70, 2, v66
	v_cndmask_b32_e64 v71, v71, v97, s4
	s_delay_alu instid0(VALU_DEP_2) | instskip(NEXT) | instid1(VALU_DEP_3)
	v_or_b32_e32 v72, 1, v70
	v_fma_f32 v100, -v98, v101, v99
	v_cmp_eq_u32_e64 s3, 1, v70
	v_cmp_eq_u32_e64 s4, 2, v70
	v_cndmask_b32_e64 v95, v71, v95, s5
	v_or_b32_e32 v71, 3, v70
	v_fmac_f32_e32 v101, v100, v103
	v_cmp_eq_u32_e64 s8, 1, v72
	v_cmp_eq_u32_e64 s11, 2, v72
	v_cndmask_b32_e64 v94, v95, v94, s2
	v_cmp_eq_u32_e64 s10, 1, v71
	v_fma_f32 v97, -v98, v101, v99
	v_cmp_eq_u32_e64 s15, 2, v71
	v_cmp_eq_u32_e64 s12, 3, v72
	v_cndmask_b32_e64 v94, v94, v96, s6
	v_cmp_eq_u32_e64 s17, 3, v71
	v_div_fmas_f32 v95, v97, v103, v101
	v_cmp_eq_u32_e32 vcc_lo, 3, v70
	v_cmp_eq_u32_e64 s2, 4, v70
	v_cmp_eq_u32_e64 s18, 4, v72
	;; [unrolled: 1-line block ×3, first 2 shown]
	v_div_fixup_f32 v95, v95, v74, 1.0
	v_lshlrev_b32_e32 v73, 6, v68
	v_cmp_eq_u32_e64 s5, 5, v70
	v_cmp_eq_u32_e64 s19, 5, v72
	v_cmp_eq_u32_e64 s23, 5, v71
	v_mul_f32_e32 v102, v94, v95
	v_lshl_or_b32 v75, v69, 11, v73
	v_or_b32_e32 v69, 2, v70
	v_cmp_eq_u32_e64 s24, 6, v72
	v_cmp_eq_u32_e64 s26, 6, v71
	v_fma_mixlo_f16 v94, v102, v79, 0
	v_fma_mixlo_f16 v95, v102, v81, 0
	;; [unrolled: 1-line block ×8, first 2 shown]
	v_lshl_or_b32 v74, v66, 4, v75
	v_fma_mixhi_f16 v94, v102, v78, 0
	v_fma_mixhi_f16 v95, v102, v80, 0
	;; [unrolled: 1-line block ×8, first 2 shown]
	ds_store_b128 v74, v[94:97]
	ds_store_b128 v74, v[98:101] offset:1024
	s_waitcnt lgkmcnt(0)
	s_barrier
	buffer_gl0_inv
	ds_load_b128 v[78:81], v75
	ds_load_b128 v[82:85], v75 offset:16
	ds_load_b128 v[86:89], v75 offset:1024
	;; [unrolled: 1-line block ×3, first 2 shown]
	v_cmp_eq_u32_e64 s9, 1, v69
	v_cmp_eq_u32_e64 s13, 2, v69
	;; [unrolled: 1-line block ×11, first 2 shown]
	s_waitcnt lgkmcnt(3)
	v_lshrrev_b32_e32 v94, 16, v78
	s_waitcnt lgkmcnt(2)
	v_lshrrev_b32_e32 v98, 16, v82
	;; [unrolled: 2-line block ×4, first 2 shown]
	v_lshrrev_b32_e32 v95, 16, v79
	v_cndmask_b32_e64 v110, v78, v94, s3
	v_cndmask_b32_e64 v111, v82, v98, s3
	;; [unrolled: 1-line block ×8, first 2 shown]
	v_lshrrev_b32_e32 v99, 16, v83
	v_cndmask_b32_e64 v94, v86, v102, s3
	v_cndmask_b32_e64 v98, v90, v106, s3
	;; [unrolled: 1-line block ×15, first 2 shown]
	v_lshrrev_b32_e32 v103, 16, v87
	v_lshrrev_b32_e32 v107, 16, v91
	v_cndmask_b32_e64 v113, v115, v83, s13
	v_cndmask_b32_e64 v82, v94, v87, s4
	;; [unrolled: 1-line block ×7, first 2 shown]
	v_cndmask_b32_e32 v90, v102, v95, vcc_lo
	v_cndmask_b32_e32 v102, v106, v99, vcc_lo
	v_cndmask_b32_e64 v106, v110, v95, s12
	v_cndmask_b32_e64 v110, v111, v99, s12
	;; [unrolled: 1-line block ×4, first 2 shown]
	v_lshrrev_b32_e32 v96, 16, v80
	v_lshrrev_b32_e32 v100, 16, v84
	v_cndmask_b32_e64 v111, v112, v95, s16
	v_cndmask_b32_e64 v112, v113, v99, s16
	v_cndmask_b32_e32 v82, v82, v103, vcc_lo
	v_cndmask_b32_e32 v83, v83, v107, vcc_lo
	v_cndmask_b32_e64 v94, v94, v103, s12
	v_cndmask_b32_e64 v90, v90, v80, s2
	;; [unrolled: 1-line block ×7, first 2 shown]
	v_lshrrev_b32_e32 v104, 16, v88
	v_cndmask_b32_e64 v106, v111, v80, s20
	v_cndmask_b32_e64 v110, v112, v84, s20
	;; [unrolled: 1-line block ×11, first 2 shown]
	v_lshrrev_b32_e32 v97, 16, v81
	v_lshrrev_b32_e32 v101, 16, v85
	v_cndmask_b32_e64 v99, v106, v96, s22
	v_cndmask_b32_e64 v102, v110, v100, s22
	;; [unrolled: 1-line block ×7, first 2 shown]
	v_lshrrev_b32_e32 v105, 16, v89
	v_cndmask_b32_e64 v80, v80, v104, s5
	v_cndmask_b32_e64 v84, v84, v81, s6
	;; [unrolled: 1-line block ×16, first 2 shown]
	v_perm_b32 v81, v79, v78, 0x5040100
	v_perm_b32 v79, v95, v85, 0x5040100
	v_cndmask_b32_e64 v78, v119, v91, s13
	v_cndmask_b32_e64 v85, v117, v91, s11
	;; [unrolled: 1-line block ×3, first 2 shown]
	v_perm_b32 v80, v94, v90, 0x5040100
	v_cndmask_b32_e64 v90, v98, v103, s16
	v_cndmask_b32_e64 v86, v86, v103, s17
	;; [unrolled: 1-line block ×5, first 2 shown]
	v_lshrrev_b32_e32 v108, 16, v92
	v_cndmask_b32_e64 v90, v90, v88, s20
	v_cndmask_b32_e64 v86, v86, v88, s21
	;; [unrolled: 1-line block ×11, first 2 shown]
	v_lshrrev_b32_e32 v109, 16, v93
	v_cndmask_b32_e64 v82, v82, v93, s6
	v_cndmask_b32_e64 v88, v88, v89, s25
	;; [unrolled: 1-line block ×12, first 2 shown]
	v_perm_b32 v78, v84, v83, 0x5040100
	v_perm_b32 v85, v87, v86, 0x5040100
	v_perm_b32 v84, v89, v88, 0x5040100
	v_perm_b32 v83, v90, v97, 0x5040100
	v_perm_b32 v82, v82, v96, 0x5040100
	s_mul_i32 s7, s33, 12
	s_mov_b32 s2, exec_lo
	ds_store_b128 v74, v[78:81]
	ds_store_b128 v74, v[82:85] offset:1024
	v_cmpx_gt_u32_e32 12, v0
	s_cbranch_execz .LBB1321_14
; %bb.13:
	s_mul_i32 s3, s7, s30
	s_load_b128 s[8:11], s[0:1], 0x58
	v_add3_u32 v68, s3, s31, v68
	s_delay_alu instid0(VALU_DEP_1) | instskip(NEXT) | instid1(VALU_DEP_1)
	v_mad_u64_u32 v[78:79], null, v68, s34, s[14:15]
	v_ashrrev_i32_e32 v79, 31, v78
	s_delay_alu instid0(VALU_DEP_1) | instskip(SKIP_1) | instid1(VALU_DEP_1)
	v_lshlrev_b64 v[78:79], 2, v[78:79]
	s_waitcnt lgkmcnt(0)
	v_add_co_u32 v80, vcc_lo, s10, v78
	s_delay_alu instid0(VALU_DEP_2)
	v_add_co_ci_u32_e32 v81, vcc_lo, s11, v79, vcc_lo
	v_add_co_u32 v78, vcc_lo, s8, v78
	v_add_co_ci_u32_e32 v79, vcc_lo, s9, v79, vcc_lo
	global_store_b32 v[80:81], v76, off
	global_store_b32 v[78:79], v77, off
.LBB1321_14:
	s_or_b32 exec_lo, exec_lo, s2
	s_waitcnt lgkmcnt(0)
	s_waitcnt_vscnt null, 0x0
	s_barrier
	buffer_gl0_inv
	ds_load_b128 v[84:87], v73
	ds_load_b128 v[88:91], v73 offset:16
	ds_load_b128 v[96:99], v73 offset:2064
	;; [unrolled: 1-line block ×5, first 2 shown]
	v_cmp_eq_u32_e32 vcc_lo, 1, v70
	v_mov_b32_e32 v76, 0
	ds_load_b128 v[112:115], v73 offset:6160
	ds_load_b128 v[108:111], v73 offset:6144
	;; [unrolled: 1-line block ×4, first 2 shown]
	v_cmp_eq_u32_e64 s3, 1, v69
	v_cmp_eq_u32_e64 s2, 1, v72
	v_cmp_eq_u32_e64 s4, 2, v72
	v_mov_b32_e32 v77, v76
	v_mov_b32_e32 v78, v76
	;; [unrolled: 1-line block ×7, first 2 shown]
	v_cmp_eq_u32_e64 s5, 3, v72
	v_cmp_eq_u32_e64 s6, 7, v72
	s_waitcnt lgkmcnt(8)
	s_delay_alu instid0(VALU_DEP_3)
	v_wmma_f32_16x16x16_f16 v[76:83], v[49:56], v[84:91], v[76:83]
	ds_load_b128 v[53:56], v73 offset:10256
	ds_load_b128 v[49:52], v73 offset:10240
	s_waitcnt lgkmcnt(8)
	v_wmma_f32_16x16x16_f16 v[76:83], v[41:48], v[92:99], v[76:83]
	ds_load_b128 v[45:48], v73 offset:12304
	ds_load_b128 v[41:44], v73 offset:12288
	s_waitcnt lgkmcnt(8)
	;; [unrolled: 4-line block ×3, first 2 shown]
	s_barrier
	buffer_gl0_inv
	v_wmma_f32_16x16x16_f16 v[76:83], v[1:8], v[108:115], v[76:83]
	s_delay_alu instid0(VALU_DEP_1) | instskip(NEXT) | instid1(VALU_DEP_1)
	v_wmma_f32_16x16x16_f16 v[76:83], v[9:16], v[116:123], v[76:83]
	v_wmma_f32_16x16x16_f16 v[76:83], v[17:24], v[49:56], v[76:83]
	s_delay_alu instid0(VALU_DEP_1) | instskip(NEXT) | instid1(VALU_DEP_1)
	v_wmma_f32_16x16x16_f16 v[76:83], v[25:32], v[41:48], v[76:83]
	v_wmma_f32_16x16x16_f16 v[76:83], v[57:64], v[33:40], v[76:83]
	s_delay_alu instid0(VALU_DEP_1) | instskip(NEXT) | instid1(VALU_DEP_2)
	v_cvt_f16_f32_e32 v1, v76
	v_cvt_f16_f32_e32 v2, v77
	s_delay_alu instid0(VALU_DEP_3) | instskip(NEXT) | instid1(VALU_DEP_4)
	v_cvt_f16_f32_e32 v3, v78
	v_cvt_f16_f32_e32 v4, v79
	;; [unrolled: 1-line block ×6, first 2 shown]
	v_pack_b32_f16 v1, v1, v2
	v_pack_b32_f16 v2, v3, v4
	;; [unrolled: 1-line block ×3, first 2 shown]
	s_delay_alu instid0(VALU_DEP_4)
	v_pack_b32_f16 v4, v7, v8
	ds_store_b128 v74, v[1:4]
	s_waitcnt lgkmcnt(0)
	s_barrier
	buffer_gl0_inv
	ds_load_b128 v[1:4], v75
	ds_load_b128 v[5:8], v75 offset:16
	s_waitcnt lgkmcnt(1)
	v_lshrrev_b32_e32 v9, 16, v1
	s_waitcnt lgkmcnt(0)
	v_lshrrev_b32_e32 v13, 16, v5
	v_lshrrev_b32_e32 v10, 16, v2
	;; [unrolled: 1-line block ×4, first 2 shown]
	v_cndmask_b32_e32 v17, v1, v9, vcc_lo
	v_cndmask_b32_e32 v18, v5, v13, vcc_lo
	v_cndmask_b32_e64 v21, v1, v9, s3
	v_cmp_eq_u32_e32 vcc_lo, 1, v71
	v_cndmask_b32_e64 v22, v5, v13, s3
	v_cmp_eq_u32_e64 s3, 2, v70
	v_cndmask_b32_e64 v19, v1, v9, s2
	v_cndmask_b32_e64 v20, v5, v13, s2
	v_cndmask_b32_e32 v1, v1, v9, vcc_lo
	v_cmp_eq_u32_e64 s2, 2, v71
	v_cndmask_b32_e32 v5, v5, v13, vcc_lo
	v_cndmask_b32_e64 v9, v17, v2, s3
	v_cmp_eq_u32_e32 vcc_lo, 3, v70
	v_cndmask_b32_e64 v13, v18, v6, s3
	v_cmp_eq_u32_e64 s3, 2, v69
	v_cndmask_b32_e64 v17, v19, v2, s4
	v_cndmask_b32_e64 v18, v20, v6, s4
	v_cmp_eq_u32_e64 s4, 3, v69
	v_cndmask_b32_e64 v1, v1, v2, s2
	v_cndmask_b32_e64 v19, v21, v2, s3
	;; [unrolled: 1-line block ×4, first 2 shown]
	v_cndmask_b32_e32 v5, v9, v10, vcc_lo
	v_cndmask_b32_e32 v6, v13, v14, vcc_lo
	v_cmp_eq_u32_e32 vcc_lo, 3, v71
	v_cndmask_b32_e64 v9, v17, v10, s5
	v_cndmask_b32_e64 v13, v18, v14, s5
	;; [unrolled: 1-line block ×3, first 2 shown]
	v_cmp_eq_u32_e64 s3, 4, v70
	v_cndmask_b32_e32 v1, v1, v10, vcc_lo
	v_cndmask_b32_e32 v2, v2, v14, vcc_lo
	v_cmp_eq_u32_e32 vcc_lo, 4, v72
	v_lshrrev_b32_e32 v15, 16, v7
	v_lshrrev_b32_e32 v16, 16, v8
	v_cndmask_b32_e64 v17, v19, v10, s4
	v_cmp_eq_u32_e64 s2, 4, v71
	v_cndmask_b32_e64 v5, v5, v3, s3
	v_cndmask_b32_e64 v6, v6, v7, s3
	v_cndmask_b32_e32 v9, v9, v3, vcc_lo
	v_cmp_eq_u32_e64 s3, 5, v72
	v_cndmask_b32_e32 v10, v13, v7, vcc_lo
	v_cmp_eq_u32_e32 vcc_lo, 4, v69
	v_cmp_eq_u32_e64 s4, 5, v70
	v_cndmask_b32_e64 v2, v2, v7, s2
	v_cndmask_b32_e64 v9, v9, v11, s3
	;; [unrolled: 1-line block ×3, first 2 shown]
	v_cndmask_b32_e32 v13, v17, v3, vcc_lo
	v_cmp_eq_u32_e64 s3, 5, v69
	v_cndmask_b32_e32 v14, v18, v7, vcc_lo
	v_cndmask_b32_e64 v1, v1, v3, s2
	v_cmp_eq_u32_e32 vcc_lo, 5, v71
	v_lshrrev_b32_e32 v12, 16, v4
	v_cndmask_b32_e64 v13, v13, v11, s3
	v_cndmask_b32_e64 v3, v14, v15, s3
	v_cmp_eq_u32_e64 s3, 6, v71
	v_cndmask_b32_e32 v1, v1, v11, vcc_lo
	v_cndmask_b32_e64 v5, v5, v11, s4
	v_cmp_eq_u32_e64 s5, 6, v70
	v_cndmask_b32_e64 v6, v6, v15, s4
	v_cmp_eq_u32_e64 s4, 6, v72
	v_cmp_eq_u32_e64 s2, 6, v69
	v_cndmask_b32_e64 v1, v1, v4, s3
	v_cndmask_b32_e32 v2, v2, v15, vcc_lo
	v_cmp_eq_u32_e32 vcc_lo, 7, v71
	v_cndmask_b32_e64 v5, v5, v4, s5
	v_cndmask_b32_e64 v9, v9, v4, s4
	;; [unrolled: 1-line block ×3, first 2 shown]
	v_cmp_eq_u32_e64 s5, 7, v70
	v_cndmask_b32_e32 v1, v1, v12, vcc_lo
	v_cndmask_b32_e64 v7, v13, v4, s2
	v_cndmask_b32_e64 v3, v3, v8, s2
	;; [unrolled: 1-line block ×3, first 2 shown]
	v_cmp_eq_u32_e64 s2, 7, v69
	v_cndmask_b32_e64 v4, v10, v8, s4
	v_cndmask_b32_e64 v5, v5, v12, s5
	;; [unrolled: 1-line block ×3, first 2 shown]
	v_cndmask_b32_e32 v2, v2, v16, vcc_lo
	v_cndmask_b32_e64 v7, v7, v12, s2
	v_cndmask_b32_e64 v3, v3, v16, s2
	;; [unrolled: 1-line block ×4, first 2 shown]
	v_perm_b32 v4, v2, v1, 0x5040100
	s_mov_b32 s2, exec_lo
	v_perm_b32 v3, v3, v7, 0x5040100
	v_perm_b32 v2, v8, v9, 0x5040100
	;; [unrolled: 1-line block ×3, first 2 shown]
	ds_store_b128 v74, v[1:4]
	s_waitcnt lgkmcnt(0)
	s_barrier
	buffer_gl0_inv
	v_cmpx_gt_u32_e32 32, v0
	s_cbranch_execz .LBB1321_2
; %bb.15:
	s_load_b64 s[0:1], s[0:1], 0x68
	v_lshlrev_b32_e32 v0, 10, v0
	s_lshl_b32 s4, s34, 7
	v_or_b32_e32 v3, s31, v66
	s_mul_i32 s2, s4, s30
	v_lshlrev_b32_e32 v1, 4, v67
	s_mul_i32 s2, s2, s7
	v_lshlrev_b32_e32 v2, 6, v66
	v_and_b32_e32 v0, 0x3800, v0
	s_ashr_i32 s3, s2, 31
	v_mul_lo_u32 v4, v3, s4
	s_lshl_b64 s[2:3], s[2:3], 1
	s_delay_alu instid0(VALU_DEP_2) | instskip(NEXT) | instid1(VALU_DEP_2)
	v_or3_b32 v16, v0, v1, v2
	v_ashrrev_i32_e32 v5, 31, v4
	ds_load_b128 v[0:3], v16
	s_waitcnt lgkmcnt(0)
	s_add_u32 s2, s0, s2
	s_addc_u32 s3, s1, s3
	s_lshl_b32 s0, s14, 7
	v_lshlrev_b64 v[5:6], 1, v[4:5]
	s_ashr_i32 s1, s0, 31
	s_delay_alu instid0(SALU_CYCLE_1) | instskip(NEXT) | instid1(SALU_CYCLE_1)
	s_lshl_b64 s[0:1], s[0:1], 1
	s_add_u32 s0, s2, s0
	s_addc_u32 s1, s3, s1
	s_lshl_b32 s2, s34, 8
	v_add_co_u32 v30, s0, s0, v65
	v_add_nc_u32_e32 v8, s2, v4
	v_add_co_ci_u32_e64 v31, null, s1, 0, s0
	s_delay_alu instid0(VALU_DEP_3) | instskip(NEXT) | instid1(VALU_DEP_3)
	v_add_co_u32 v12, vcc_lo, v30, v5
	v_add_nc_u32_e32 v10, s2, v8
	v_ashrrev_i32_e32 v9, 31, v8
	s_delay_alu instid0(VALU_DEP_4)
	v_add_co_ci_u32_e32 v13, vcc_lo, v31, v6, vcc_lo
	ds_load_b128 v[4:7], v16 offset:128
	v_ashrrev_i32_e32 v11, 31, v10
	v_lshlrev_b64 v[8:9], 1, v[8:9]
	v_add_nc_u32_e32 v14, s2, v10
	global_store_b128 v[12:13], v[0:3], off
	v_lshlrev_b64 v[0:1], 1, v[10:11]
	v_ashrrev_i32_e32 v15, 31, v14
	v_add_co_u32 v22, vcc_lo, v30, v8
	v_add_nc_u32_e32 v20, s2, v14
	v_add_co_ci_u32_e32 v23, vcc_lo, v31, v9, vcc_lo
	v_add_co_u32 v26, vcc_lo, v30, v0
	v_lshlrev_b64 v[24:25], 1, v[14:15]
	v_add_co_ci_u32_e32 v27, vcc_lo, v31, v1, vcc_lo
	ds_load_b128 v[0:3], v16 offset:256
	ds_load_b128 v[8:11], v16 offset:384
	;; [unrolled: 1-line block ×4, first 2 shown]
	v_add_nc_u32_e32 v28, s2, v20
	v_ashrrev_i32_e32 v21, 31, v20
	v_add_co_u32 v24, vcc_lo, v30, v24
	v_add_co_ci_u32_e32 v25, vcc_lo, v31, v25, vcc_lo
	s_delay_alu instid0(VALU_DEP_4) | instskip(NEXT) | instid1(VALU_DEP_4)
	v_ashrrev_i32_e32 v29, 31, v28
	v_lshlrev_b64 v[20:21], 1, v[20:21]
	s_delay_alu instid0(VALU_DEP_2) | instskip(NEXT) | instid1(VALU_DEP_2)
	v_lshlrev_b64 v[28:29], 1, v[28:29]
	v_add_co_u32 v20, vcc_lo, v30, v20
	s_delay_alu instid0(VALU_DEP_3) | instskip(NEXT) | instid1(VALU_DEP_3)
	v_add_co_ci_u32_e32 v21, vcc_lo, v31, v21, vcc_lo
	v_add_co_u32 v28, vcc_lo, v30, v28
	s_delay_alu instid0(VALU_DEP_4)
	v_add_co_ci_u32_e32 v29, vcc_lo, v31, v29, vcc_lo
	s_waitcnt lgkmcnt(4)
	global_store_b128 v[22:23], v[4:7], off
	s_waitcnt lgkmcnt(3)
	global_store_b128 v[26:27], v[0:3], off
	;; [unrolled: 2-line block ×5, first 2 shown]
	s_nop 0
	s_sendmsg sendmsg(MSG_DEALLOC_VGPRS)
	s_endpgm
	.section	.rodata,"a",@progbits
	.p2align	6, 0x0
	.amdhsa_kernel _Z39paged_attention_ll4mi_QKV_mfma16_kernelIDF16_hLN4vllm18Fp8KVCacheDataTypeE1EDF16_Li32ELi128ELi256ELb1ELi12EL8MFMAType0EEvPKT_PKT0_S8_ifPKiSA_SA_iPKfiiiPfSD_PS3_PT2_iSC_SC_
		.amdhsa_group_segment_fixed_size 17472
		.amdhsa_private_segment_fixed_size 0
		.amdhsa_kernarg_size 400
		.amdhsa_user_sgpr_count 13
		.amdhsa_user_sgpr_dispatch_ptr 0
		.amdhsa_user_sgpr_queue_ptr 0
		.amdhsa_user_sgpr_kernarg_segment_ptr 1
		.amdhsa_user_sgpr_dispatch_id 0
		.amdhsa_user_sgpr_private_segment_size 0
		.amdhsa_wavefront_size32 1
		.amdhsa_uses_dynamic_stack 0
		.amdhsa_enable_private_segment 0
		.amdhsa_system_sgpr_workgroup_id_x 1
		.amdhsa_system_sgpr_workgroup_id_y 1
		.amdhsa_system_sgpr_workgroup_id_z 1
		.amdhsa_system_sgpr_workgroup_info 0
		.amdhsa_system_vgpr_workitem_id 0
		.amdhsa_next_free_vgpr 150
		.amdhsa_next_free_sgpr 37
		.amdhsa_reserve_vcc 1
		.amdhsa_float_round_mode_32 0
		.amdhsa_float_round_mode_16_64 0
		.amdhsa_float_denorm_mode_32 3
		.amdhsa_float_denorm_mode_16_64 3
		.amdhsa_dx10_clamp 1
		.amdhsa_ieee_mode 1
		.amdhsa_fp16_overflow 0
		.amdhsa_workgroup_processor_mode 1
		.amdhsa_memory_ordered 1
		.amdhsa_forward_progress 0
		.amdhsa_shared_vgpr_count 0
		.amdhsa_exception_fp_ieee_invalid_op 0
		.amdhsa_exception_fp_denorm_src 0
		.amdhsa_exception_fp_ieee_div_zero 0
		.amdhsa_exception_fp_ieee_overflow 0
		.amdhsa_exception_fp_ieee_underflow 0
		.amdhsa_exception_fp_ieee_inexact 0
		.amdhsa_exception_int_div_zero 0
	.end_amdhsa_kernel
	.section	.text._Z39paged_attention_ll4mi_QKV_mfma16_kernelIDF16_hLN4vllm18Fp8KVCacheDataTypeE1EDF16_Li32ELi128ELi256ELb1ELi12EL8MFMAType0EEvPKT_PKT0_S8_ifPKiSA_SA_iPKfiiiPfSD_PS3_PT2_iSC_SC_,"axG",@progbits,_Z39paged_attention_ll4mi_QKV_mfma16_kernelIDF16_hLN4vllm18Fp8KVCacheDataTypeE1EDF16_Li32ELi128ELi256ELb1ELi12EL8MFMAType0EEvPKT_PKT0_S8_ifPKiSA_SA_iPKfiiiPfSD_PS3_PT2_iSC_SC_,comdat
.Lfunc_end1321:
	.size	_Z39paged_attention_ll4mi_QKV_mfma16_kernelIDF16_hLN4vllm18Fp8KVCacheDataTypeE1EDF16_Li32ELi128ELi256ELb1ELi12EL8MFMAType0EEvPKT_PKT0_S8_ifPKiSA_SA_iPKfiiiPfSD_PS3_PT2_iSC_SC_, .Lfunc_end1321-_Z39paged_attention_ll4mi_QKV_mfma16_kernelIDF16_hLN4vllm18Fp8KVCacheDataTypeE1EDF16_Li32ELi128ELi256ELb1ELi12EL8MFMAType0EEvPKT_PKT0_S8_ifPKiSA_SA_iPKfiiiPfSD_PS3_PT2_iSC_SC_
                                        ; -- End function
	.section	.AMDGPU.csdata,"",@progbits
; Kernel info:
; codeLenInByte = 6756
; NumSgprs: 39
; NumVgprs: 150
; ScratchSize: 0
; MemoryBound: 0
; FloatMode: 240
; IeeeMode: 1
; LDSByteSize: 17472 bytes/workgroup (compile time only)
; SGPRBlocks: 4
; VGPRBlocks: 18
; NumSGPRsForWavesPerEU: 39
; NumVGPRsForWavesPerEU: 150
; Occupancy: 9
; WaveLimiterHint : 1
; COMPUTE_PGM_RSRC2:SCRATCH_EN: 0
; COMPUTE_PGM_RSRC2:USER_SGPR: 13
; COMPUTE_PGM_RSRC2:TRAP_HANDLER: 0
; COMPUTE_PGM_RSRC2:TGID_X_EN: 1
; COMPUTE_PGM_RSRC2:TGID_Y_EN: 1
; COMPUTE_PGM_RSRC2:TGID_Z_EN: 1
; COMPUTE_PGM_RSRC2:TIDIG_COMP_CNT: 0
	.section	.text._Z39paged_attention_ll4mi_QKV_mfma16_kernelIDF16_hLN4vllm18Fp8KVCacheDataTypeE1EDF16_Li32ELi128ELi256ELb1ELi13EL8MFMAType0EEvPKT_PKT0_S8_ifPKiSA_SA_iPKfiiiPfSD_PS3_PT2_iSC_SC_,"axG",@progbits,_Z39paged_attention_ll4mi_QKV_mfma16_kernelIDF16_hLN4vllm18Fp8KVCacheDataTypeE1EDF16_Li32ELi128ELi256ELb1ELi13EL8MFMAType0EEvPKT_PKT0_S8_ifPKiSA_SA_iPKfiiiPfSD_PS3_PT2_iSC_SC_,comdat
	.protected	_Z39paged_attention_ll4mi_QKV_mfma16_kernelIDF16_hLN4vllm18Fp8KVCacheDataTypeE1EDF16_Li32ELi128ELi256ELb1ELi13EL8MFMAType0EEvPKT_PKT0_S8_ifPKiSA_SA_iPKfiiiPfSD_PS3_PT2_iSC_SC_ ; -- Begin function _Z39paged_attention_ll4mi_QKV_mfma16_kernelIDF16_hLN4vllm18Fp8KVCacheDataTypeE1EDF16_Li32ELi128ELi256ELb1ELi13EL8MFMAType0EEvPKT_PKT0_S8_ifPKiSA_SA_iPKfiiiPfSD_PS3_PT2_iSC_SC_
	.globl	_Z39paged_attention_ll4mi_QKV_mfma16_kernelIDF16_hLN4vllm18Fp8KVCacheDataTypeE1EDF16_Li32ELi128ELi256ELb1ELi13EL8MFMAType0EEvPKT_PKT0_S8_ifPKiSA_SA_iPKfiiiPfSD_PS3_PT2_iSC_SC_
	.p2align	8
	.type	_Z39paged_attention_ll4mi_QKV_mfma16_kernelIDF16_hLN4vllm18Fp8KVCacheDataTypeE1EDF16_Li32ELi128ELi256ELb1ELi13EL8MFMAType0EEvPKT_PKT0_S8_ifPKiSA_SA_iPKfiiiPfSD_PS3_PT2_iSC_SC_,@function
_Z39paged_attention_ll4mi_QKV_mfma16_kernelIDF16_hLN4vllm18Fp8KVCacheDataTypeE1EDF16_Li32ELi128ELi256ELb1ELi13EL8MFMAType0EEvPKT_PKT0_S8_ifPKiSA_SA_iPKfiiiPfSD_PS3_PT2_iSC_SC_: ; @_Z39paged_attention_ll4mi_QKV_mfma16_kernelIDF16_hLN4vllm18Fp8KVCacheDataTypeE1EDF16_Li32ELi128ELi256ELb1ELi13EL8MFMAType0EEvPKT_PKT0_S8_ifPKiSA_SA_iPKfiiiPfSD_PS3_PT2_iSC_SC_
; %bb.0:
	s_load_b64 s[4:5], s[0:1], 0x30
	s_mov_b32 s34, s13
	s_waitcnt lgkmcnt(0)
	s_cmp_lg_u64 s[4:5], 0
	s_cselect_b32 s8, -1, 0
	s_ashr_i32 s35, s13, 31
	s_cmp_eq_u64 s[4:5], 0
	s_cbranch_scc1 .LBB1322_3
; %bb.1:
	s_lshl_b64 s[2:3], s[34:35], 2
	s_delay_alu instid0(SALU_CYCLE_1) | instskip(SKIP_4) | instid1(SALU_CYCLE_1)
	s_add_u32 s2, s4, s2
	s_addc_u32 s3, s5, s3
	s_load_b64 s[2:3], s[2:3], 0x0
	s_waitcnt lgkmcnt(0)
	s_sub_i32 s2, s3, s2
	s_cmp_eq_u32 s2, 1
	s_cselect_b32 s2, -1, 0
	s_delay_alu instid0(SALU_CYCLE_1)
	s_and_not1_b32 vcc_lo, exec_lo, s2
	s_cbranch_vccz .LBB1322_4
.LBB1322_2:
	s_nop 0
	s_sendmsg sendmsg(MSG_DEALLOC_VGPRS)
	s_endpgm
.LBB1322_3:
.LBB1322_4:
	s_load_b64 s[2:3], s[0:1], 0x28
	s_lshl_b64 s[6:7], s[34:35], 2
	s_waitcnt lgkmcnt(0)
	s_add_u32 s2, s2, s6
	s_addc_u32 s3, s3, s7
	s_lshl_b32 s12, s14, 8
	s_load_b32 s24, s[2:3], 0x0
	s_waitcnt lgkmcnt(0)
	s_cmp_ge_i32 s12, s24
	s_cbranch_scc1 .LBB1322_2
; %bb.5:
	s_clause 0x1
	s_load_b128 s[20:23], s[0:1], 0x8
	s_load_b64 s[2:3], s[0:1], 0x20
	s_and_not1_b32 vcc_lo, exec_lo, s8
	s_cbranch_vccnz .LBB1322_7
; %bb.6:
	s_add_u32 s4, s4, s6
	s_addc_u32 s5, s5, s7
	s_load_b32 s5, s[4:5], 0x0
	s_branch .LBB1322_8
.LBB1322_7:
	s_mov_b32 s5, s34
.LBB1322_8:
	s_load_b128 s[16:19], s[0:1], 0x48
	v_and_b32_e32 v68, 15, v0
	v_lshrrev_b32_e32 v69, 5, v0
	v_bfe_u32 v66, v0, 4, 1
	v_and_b32_e32 v70, 31, v0
	v_and_b32_e32 v67, 1, v0
	v_lshlrev_b32_e32 v2, 3, v68
	s_mul_i32 s31, s15, 13
	v_lshl_or_b32 v1, v69, 1, v66
	s_mov_b32 s4, exec_lo
	s_delay_alu instid0(VALU_DEP_2) | instskip(NEXT) | instid1(VALU_DEP_2)
	v_lshlrev_b32_e32 v65, 1, v2
	v_cmpx_gt_u32_e32 13, v1
	s_cbranch_execz .LBB1322_10
; %bb.9:
	s_load_b64 s[6:7], s[0:1], 0x0
	v_add_lshl_u32 v2, v1, s31, 7
	s_waitcnt lgkmcnt(0)
	s_mul_hi_i32 s9, s5, s16
	s_mul_i32 s8, s5, s16
	v_lshlrev_b32_e32 v6, 10, v68
	s_lshl_b64 s[8:9], s[8:9], 1
	v_ashrrev_i32_e32 v3, 31, v2
	v_lshlrev_b32_e32 v1, 6, v1
	v_lshlrev_b32_e32 v7, 10, v67
	v_and_b32_e32 v6, 0x3800, v6
	s_delay_alu instid0(VALU_DEP_4) | instskip(NEXT) | instid1(VALU_DEP_2)
	v_lshlrev_b64 v[2:3], 1, v[2:3]
	v_or3_b32 v1, v6, v7, v1
	s_add_u32 s5, s6, s8
	s_addc_u32 s6, s7, s9
	s_delay_alu instid0(VALU_DEP_2) | instskip(NEXT) | instid1(VALU_DEP_3)
	v_add_co_u32 v2, vcc_lo, s5, v2
	v_add_co_ci_u32_e32 v3, vcc_lo, s6, v3, vcc_lo
	s_delay_alu instid0(VALU_DEP_2) | instskip(NEXT) | instid1(VALU_DEP_2)
	v_add_co_u32 v2, vcc_lo, v2, v65
	v_add_co_ci_u32_e32 v3, vcc_lo, 0, v3, vcc_lo
	global_load_b128 v[2:5], v[2:3], off
	s_waitcnt vmcnt(0)
	ds_store_b128 v1, v[2:5]
.LBB1322_10:
	s_or_b32 exec_lo, exec_lo, s4
	v_and_b32_e32 v1, 0xef, v0
	s_waitcnt lgkmcnt(0)
	s_add_i32 s5, s24, 31
	s_clause 0x1
	s_load_b32 s4, s[0:1], 0x38
	s_load_b32 s33, s[0:1], 0x98
	s_ashr_i32 s6, s5, 31
	v_add_nc_u32_e32 v1, s12, v1
	s_lshr_b32 s6, s6, 27
	s_load_b32 s19, s[0:1], 0x1c
	s_add_i32 s5, s5, s6
	s_waitcnt lgkmcnt(0)
	v_ashrrev_i32_e32 v2, 31, v1
	v_or_b32_e32 v3, 16, v1
	s_ashr_i32 s13, s5, 5
	v_cmp_gt_i32_e32 vcc_lo, s24, v1
	s_add_i32 s13, s13, -1
	v_lshrrev_b32_e32 v2, 27, v2
	s_barrier
	buffer_gl0_inv
	s_mul_i32 s15, s15, s18
	v_add_nc_u32_e32 v4, v1, v2
	s_mul_i32 s4, s34, s4
	s_delay_alu instid0(SALU_CYCLE_1) | instskip(NEXT) | instid1(VALU_DEP_1)
	s_ashr_i32 s5, s4, 31
	v_ashrrev_i32_e32 v4, 5, v4
	v_add_nc_u32_e32 v2, v3, v2
	s_lshl_b64 s[4:5], s[4:5], 2
	s_delay_alu instid0(SALU_CYCLE_1) | instskip(NEXT) | instid1(VALU_DEP_2)
	s_add_u32 s16, s2, s4
	v_cndmask_b32_e32 v1, s13, v4, vcc_lo
	s_delay_alu instid0(VALU_DEP_2)
	v_ashrrev_i32_e32 v2, 5, v2
	v_cmp_gt_i32_e32 vcc_lo, s24, v3
	s_addc_u32 s25, s3, s5
	s_ashr_i32 s18, s15, 31
	s_add_u32 s2, s20, s15
	s_addc_u32 s3, s21, s18
	v_cndmask_b32_e32 v3, s13, v2, vcc_lo
	v_ashrrev_i32_e32 v2, 31, v1
	s_lshl_b32 s4, s14, 3
	s_delay_alu instid0(SALU_CYCLE_1) | instskip(NEXT) | instid1(VALU_DEP_2)
	s_ashr_i32 s5, s4, 31
	v_ashrrev_i32_e32 v4, 31, v3
	s_delay_alu instid0(VALU_DEP_2) | instskip(SKIP_1) | instid1(SALU_CYCLE_1)
	v_lshlrev_b64 v[1:2], 2, v[1:2]
	s_lshl_b64 s[4:5], s[4:5], 2
	s_add_u32 s4, s16, s4
	s_delay_alu instid0(VALU_DEP_2) | instskip(SKIP_1) | instid1(VALU_DEP_2)
	v_lshlrev_b64 v[3:4], 2, v[3:4]
	s_addc_u32 s5, s25, s5
	v_add_co_u32 v1, vcc_lo, s16, v1
	v_add_co_ci_u32_e32 v2, vcc_lo, s25, v2, vcc_lo
	s_delay_alu instid0(VALU_DEP_3) | instskip(NEXT) | instid1(VALU_DEP_4)
	v_add_co_u32 v3, vcc_lo, s16, v3
	v_add_co_ci_u32_e32 v4, vcc_lo, s25, v4, vcc_lo
	s_clause 0x1
	global_load_b32 v5, v[1:2], off
	global_load_b32 v6, v[3:4], off
	s_or_b32 s6, s12, 32
	s_delay_alu instid0(SALU_CYCLE_1) | instskip(SKIP_2) | instid1(SALU_CYCLE_1)
	s_ashr_i32 s7, s6, 5
	s_cmp_lt_i32 s6, s24
	s_cselect_b32 s6, s7, s13
	s_ashr_i32 s7, s6, 31
	s_delay_alu instid0(SALU_CYCLE_1) | instskip(NEXT) | instid1(SALU_CYCLE_1)
	s_lshl_b64 s[6:7], s[6:7], 2
	s_add_u32 s6, s16, s6
	s_addc_u32 s7, s25, s7
	s_or_b32 s8, s12, 64
	s_delay_alu instid0(SALU_CYCLE_1) | instskip(SKIP_2) | instid1(SALU_CYCLE_1)
	s_ashr_i32 s9, s8, 5
	s_cmp_lt_i32 s8, s24
	s_cselect_b32 s8, s9, s13
	s_ashr_i32 s9, s8, 31
	s_delay_alu instid0(SALU_CYCLE_1) | instskip(NEXT) | instid1(SALU_CYCLE_1)
	s_lshl_b64 s[8:9], s[8:9], 2
	s_add_u32 s8, s16, s8
	s_addc_u32 s9, s25, s9
	;; [unrolled: 10-line block ×5, first 2 shown]
	s_clause 0x5
	s_load_b32 s28, s[4:5], 0x0
	s_load_b32 s29, s[6:7], 0x0
	;; [unrolled: 1-line block ×6, first 2 shown]
	s_mov_b32 s4, 0
	s_delay_alu instid0(SALU_CYCLE_1)
	s_mov_b32 s5, s4
	s_mov_b32 s6, s4
	;; [unrolled: 1-line block ×7, first 2 shown]
	s_delay_alu instid0(SALU_CYCLE_1)
	v_dual_mov_b32 v118, s11 :: v_dual_mov_b32 v117, s10
	v_dual_mov_b32 v116, s9 :: v_dual_mov_b32 v115, s8
	v_mov_b32_e32 v113, s6
	v_dual_mov_b32 v111, s4 :: v_dual_mov_b32 v114, s7
	v_mov_b32_e32 v112, s5
	s_waitcnt vmcnt(1)
	v_mad_i64_i32 v[1:2], null, v5, s17, s[2:3]
	v_lshlrev_b32_e32 v5, 4, v68
	s_waitcnt vmcnt(0)
	v_mad_i64_i32 v[3:4], null, v6, s17, s[2:3]
	s_or_b32 s2, s12, 0xc0
	s_delay_alu instid0(SALU_CYCLE_1) | instskip(NEXT) | instid1(VALU_DEP_3)
	s_ashr_i32 s3, s2, 5
	v_add_co_u32 v1, vcc_lo, v1, v5
	s_delay_alu instid0(VALU_DEP_4) | instskip(NEXT) | instid1(VALU_DEP_3)
	v_add_co_ci_u32_e32 v2, vcc_lo, 0, v2, vcc_lo
	v_add_co_u32 v3, vcc_lo, v3, v5
	s_delay_alu instid0(VALU_DEP_4)
	v_add_co_ci_u32_e32 v4, vcc_lo, 0, v4, vcc_lo
	s_clause 0xf
	global_load_b128 v[17:20], v[1:2], off
	global_load_b128 v[21:24], v[1:2], off offset:512
	global_load_b128 v[25:28], v[3:4], off offset:256
	global_load_b128 v[29:32], v[3:4], off offset:768
	global_load_b128 v[57:60], v[1:2], off offset:1024
	global_load_b128 v[61:64], v[1:2], off offset:1536
	global_load_b128 v[71:74], v[3:4], off offset:1280
	global_load_b128 v[75:78], v[3:4], off offset:1792
	global_load_b128 v[79:82], v[1:2], off offset:2048
	global_load_b128 v[83:86], v[1:2], off offset:2560
	global_load_b128 v[87:90], v[3:4], off offset:2304
	global_load_b128 v[91:94], v[3:4], off offset:2816
	global_load_b128 v[95:98], v[1:2], off offset:3072
	global_load_b128 v[99:102], v[1:2], off offset:3584
	global_load_b128 v[103:106], v[3:4], off offset:3328
	global_load_b128 v[107:110], v[3:4], off offset:3840
	s_cmp_lt_i32 s2, s24
	v_add_nc_u32_e32 v1, -13, v68
	s_cselect_b32 s2, s3, s13
	v_cmp_gt_u32_e32 vcc_lo, 13, v68
	s_ashr_i32 s3, s2, 31
	v_lshlrev_b32_e32 v2, 5, v68
	s_lshl_b64 s[2:3], s[2:3], 2
	s_delay_alu instid0(SALU_CYCLE_1)
	s_add_u32 s2, s16, s2
	s_addc_u32 s3, s25, s3
	s_or_b32 s20, s12, 0xe0
	v_cndmask_b32_e32 v1, v1, v68, vcc_lo
	s_ashr_i32 s21, s20, 5
	s_cmp_lt_i32 s20, s24
	s_cselect_b32 s20, s21, s13
	s_delay_alu instid0(VALU_DEP_1)
	v_lshlrev_b32_e32 v149, 6, v1
	s_ashr_i32 s21, s20, 31
	v_lshl_or_b32 v1, v69, 9, v2
	s_lshl_b64 s[4:5], s[20:21], 2
	ds_load_b128 v[119:122], v149
	ds_load_b128 v[123:126], v149 offset:1024
	s_add_u32 s4, s16, s4
	s_addc_u32 s5, s25, s5
	ds_load_b128 v[127:130], v149 offset:2048
	ds_load_b128 v[131:134], v149 offset:3072
	s_clause 0x1
	s_load_b32 s2, s[2:3], 0x0
	s_load_b32 s3, s[4:5], 0x0
	s_add_u32 s6, s22, s15
	s_addc_u32 s7, s23, s18
	v_add_co_u32 v135, s6, s6, v1
	s_delay_alu instid0(VALU_DEP_1) | instskip(SKIP_1) | instid1(VALU_DEP_1)
	v_add_co_ci_u32_e64 v136, null, s7, 0, s6
	s_waitcnt lgkmcnt(0)
	v_mad_i64_i32 v[1:2], null, s28, s17, v[135:136]
	v_mad_i64_i32 v[3:4], null, s29, s17, v[135:136]
	;; [unrolled: 1-line block ×6, first 2 shown]
	s_clause 0x9
	global_load_b128 v[49:52], v[1:2], off
	global_load_b128 v[53:56], v[1:2], off offset:16
	global_load_b128 v[41:44], v[3:4], off
	global_load_b128 v[45:48], v[3:4], off offset:16
	;; [unrolled: 2-line block ×5, first 2 shown]
	v_mad_i64_i32 v[145:146], null, s2, s17, v[135:136]
	v_mad_i64_i32 v[147:148], null, s3, s17, v[135:136]
	s_waitcnt vmcnt(24)
	v_wmma_f32_16x16x16_f16 v[135:142], v[17:24], v[119:126], v[111:118]
	s_waitcnt vmcnt(22)
	v_wmma_f32_16x16x16_f16 v[111:118], v[25:32], v[119:126], v[111:118]
	s_clause 0x3
	global_load_b128 v[17:20], v[143:144], off
	global_load_b128 v[21:24], v[143:144], off offset:16
	global_load_b128 v[25:28], v[145:146], off
	global_load_b128 v[29:32], v[145:146], off offset:16
	v_and_b32_e32 v119, 0xe0, v0
	s_waitcnt vmcnt(24)
	v_wmma_f32_16x16x16_f16 v[135:142], v[57:64], v[127:134], v[135:142]
	s_clause 0x1
	global_load_b128 v[57:60], v[147:148], off
	global_load_b128 v[61:64], v[147:148], off offset:16
	s_waitcnt vmcnt(24)
	v_wmma_f32_16x16x16_f16 v[111:118], v[71:78], v[127:134], v[111:118]
	ds_load_b128 v[71:74], v149 offset:4096
	ds_load_b128 v[75:78], v149 offset:5120
	v_add_nc_u32_e32 v128, s12, v119
	ds_load_b128 v[119:122], v149 offset:6144
	ds_load_b128 v[123:126], v149 offset:7168
	v_mbcnt_lo_u32_b32 v127, -1, 0
	s_waitcnt vmcnt(0) lgkmcnt(0)
	s_barrier
	v_or_b32_e32 v128, v128, v66
	buffer_gl0_inv
	v_xor_b32_e32 v129, 16, v127
	v_or_b32_e32 v130, 4, v128
	v_or_b32_e32 v131, 6, v128
	s_delay_alu instid0(VALU_DEP_3) | instskip(SKIP_4) | instid1(VALU_DEP_4)
	v_cmp_gt_i32_e32 vcc_lo, 32, v129
	v_or_b32_e32 v132, 8, v128
	v_or_b32_e32 v133, 10, v128
	v_cmp_gt_i32_e64 s3, s24, v130
	v_cmp_gt_i32_e64 s4, s24, v131
	;; [unrolled: 1-line block ×3, first 2 shown]
	v_wmma_f32_16x16x16_f16 v[135:142], v[79:86], v[71:78], v[135:142]
	v_wmma_f32_16x16x16_f16 v[111:118], v[87:94], v[71:78], v[111:118]
	v_or_b32_e32 v79, 12, v128
	v_or_b32_e32 v80, 14, v128
	v_cmp_gt_i32_e64 s6, s24, v133
	v_wmma_f32_16x16x16_f16 v[135:142], v[95:102], v[119:126], v[135:142]
	v_wmma_f32_16x16x16_f16 v[111:118], v[103:110], v[119:126], v[111:118]
	v_cndmask_b32_e32 v127, v127, v129, vcc_lo
	v_or_b32_e32 v129, 2, v128
	v_cmp_gt_i32_e32 vcc_lo, s24, v128
	s_delay_alu instid0(VALU_DEP_4) | instskip(SKIP_1) | instid1(VALU_DEP_4)
	v_dual_mul_f32 v87, s19, v136 :: v_dual_mul_f32 v94, s19, v113
	v_mul_f32_e32 v88, s19, v135
	v_cmp_gt_i32_e64 s2, s24, v129
	v_mul_f32_e32 v78, s19, v138
	v_mul_f32_e32 v86, s19, v137
	;; [unrolled: 1-line block ×3, first 2 shown]
	v_cndmask_b32_e32 v88, 0xff7fffff, v88, vcc_lo
	v_cndmask_b32_e64 v87, 0xff7fffff, v87, s2
	v_dual_mul_f32 v77, s19, v139 :: v_dual_mul_f32 v90, s19, v117
	v_cndmask_b32_e64 v86, 0xff7fffff, v86, s3
	v_cndmask_b32_e64 v78, 0xff7fffff, v78, s4
	s_delay_alu instid0(VALU_DEP_4)
	v_max3_f32 v87, v88, 0xff7fffff, v87
	v_or_b32_e32 v81, 16, v128
	v_or_b32_e32 v82, 18, v128
	v_dual_mul_f32 v74, s19, v142 :: v_dual_mul_f32 v75, s19, v141
	v_mul_f32_e32 v96, s19, v111
	v_cndmask_b32_e64 v77, 0xff7fffff, v77, s5
	v_cndmask_b32_e64 v76, 0xff7fffff, v76, s6
	v_max3_f32 v78, v87, v86, v78
	v_cmp_gt_i32_e64 s7, s24, v79
	v_cmp_gt_i32_e64 s8, s24, v80
	v_or_b32_e32 v83, 20, v128
	v_or_b32_e32 v84, 22, v128
	v_mul_f32_e32 v95, s19, v112
	v_cndmask_b32_e64 v75, 0xff7fffff, v75, s7
	v_cndmask_b32_e64 v74, 0xff7fffff, v74, s8
	v_max3_f32 v76, v78, v77, v76
	v_cmp_gt_i32_e64 s9, s24, v81
	v_cmp_gt_i32_e64 s10, s24, v82
	v_or_b32_e32 v85, 24, v128
	v_or_b32_e32 v71, 26, v128
	;; [unrolled: 8-line block ×3, first 2 shown]
	v_dual_mul_f32 v91, s19, v116 :: v_dual_mul_f32 v92, s19, v115
	v_cndmask_b32_e64 v75, 0xff7fffff, v94, s11
	v_cndmask_b32_e64 v76, 0xff7fffff, v93, s12
	v_max3_f32 v74, v74, v77, v78
	v_cmp_gt_i32_e64 s13, s24, v85
	v_cmp_gt_i32_e64 s15, s24, v71
	v_mul_f32_e32 v89, s19, v118
	v_cmp_gt_i32_e64 s16, s24, v72
	v_max3_f32 v74, v74, v75, v76
	v_cndmask_b32_e64 v77, 0xff7fffff, v92, s13
	v_cndmask_b32_e64 v71, 0xff7fffff, v91, s15
	v_cmp_gt_i32_e64 s17, s24, v73
	v_cndmask_b32_e64 v72, 0xff7fffff, v90, s16
	s_delay_alu instid0(VALU_DEP_3) | instskip(SKIP_1) | instid1(VALU_DEP_4)
	v_max3_f32 v71, v74, v77, v71
	v_lshlrev_b32_e32 v74, 2, v127
	v_cndmask_b32_e64 v73, 0xff7fffff, v89, s17
	s_delay_alu instid0(VALU_DEP_1) | instskip(SKIP_3) | instid1(VALU_DEP_1)
	v_max3_f32 v71, v71, v72, v73
	ds_bpermute_b32 v72, v74, v71
	s_waitcnt lgkmcnt(0)
	v_max_f32_e32 v72, v72, v72
	v_max_f32_e32 v71, v71, v72
	s_delay_alu instid0(VALU_DEP_1) | instskip(SKIP_4) | instid1(VALU_DEP_4)
	v_fma_f32 v72, s19, v135, -v71
	v_fma_f32 v73, s19, v136, -v71
	;; [unrolled: 1-line block ×5, first 2 shown]
	v_dual_mul_f32 v72, 0x3fb8aa3b, v72 :: v_dual_mul_f32 v73, 0x3fb8aa3b, v73
	s_delay_alu instid0(VALU_DEP_3) | instskip(SKIP_1) | instid1(VALU_DEP_3)
	v_dual_mul_f32 v75, 0x3fb8aa3b, v75 :: v_dual_mul_f32 v76, 0x3fb8aa3b, v76
	v_fma_f32 v80, s19, v141, -v71
	v_exp_f32_e32 v72, v72
	s_delay_alu instid0(VALU_DEP_3) | instskip(NEXT) | instid1(VALU_DEP_2)
	v_exp_f32_e32 v73, v73
	v_exp_f32_e32 v75, v75
	;; [unrolled: 1-line block ×3, first 2 shown]
	v_mul_f32_e32 v82, 0x3fb8aa3b, v80
	s_delay_alu instid0(VALU_DEP_1) | instskip(SKIP_4) | instid1(TRANS32_DEP_3)
	v_exp_f32_e32 v84, v82
	v_cndmask_b32_e32 v79, 0, v72, vcc_lo
	v_fma_f32 v72, s19, v140, -v71
	v_mul_f32_e32 v77, 0x3fb8aa3b, v77
	v_cndmask_b32_e64 v78, 0, v73, s2
	v_cndmask_b32_e64 v81, 0, v75, s3
	s_delay_alu instid0(VALU_DEP_4) | instskip(NEXT) | instid1(VALU_DEP_4)
	v_dual_add_f32 v73, 0, v79 :: v_dual_mul_f32 v72, 0x3fb8aa3b, v72
	v_exp_f32_e32 v77, v77
	v_cndmask_b32_e64 v80, 0, v76, s4
	s_delay_alu instid0(TRANS32_DEP_2) | instskip(NEXT) | instid1(VALU_DEP_3)
	v_cndmask_b32_e64 v85, 0, v84, s7
	v_add_f32_e32 v73, v73, v78
	v_exp_f32_e32 v72, v72
	v_cmp_gt_u32_e64 s2, 16, v70
	s_delay_alu instid0(VALU_DEP_2) | instskip(NEXT) | instid1(TRANS32_DEP_2)
	v_add_f32_e32 v73, v73, v81
	v_cndmask_b32_e64 v83, 0, v77, s5
	s_delay_alu instid0(VALU_DEP_2) | instskip(SKIP_3) | instid1(VALU_DEP_1)
	v_add_f32_e32 v73, v73, v80
	s_waitcnt_depctr 0xfff
	v_cndmask_b32_e64 v82, 0, v72, s6
	v_add_f32_e32 v72, v73, v83
	v_add_f32_e32 v72, v72, v82
	s_delay_alu instid0(VALU_DEP_1)
	v_add_f32_e32 v72, v72, v85
	v_fma_f32 v76, s19, v111, -v71
	v_fma_f32 v75, s19, v142, -v71
	;; [unrolled: 1-line block ×5, first 2 shown]
	s_delay_alu instid0(VALU_DEP_4) | instskip(NEXT) | instid1(VALU_DEP_3)
	v_dual_mul_f32 v76, 0x3fb8aa3b, v76 :: v_dual_mul_f32 v75, 0x3fb8aa3b, v75
	v_mul_f32_e32 v86, 0x3fb8aa3b, v86
	s_delay_alu instid0(VALU_DEP_2) | instskip(NEXT) | instid1(VALU_DEP_2)
	v_exp_f32_e32 v76, v76
	v_exp_f32_e32 v75, v75
	s_delay_alu instid0(VALU_DEP_1) | instskip(NEXT) | instid1(TRANS32_DEP_3)
	v_exp_f32_e32 v88, v86
	v_cndmask_b32_e64 v87, 0, v76, s9
	v_fma_f32 v76, s19, v116, -v71
	v_mul_f32_e32 v77, 0x3fb8aa3b, v77
	s_waitcnt_depctr 0xfff
	v_cndmask_b32_e64 v84, 0, v75, s8
	v_fma_f32 v75, s19, v115, -v71
	v_cndmask_b32_e64 v88, 0, v88, s12
	v_mul_f32_e32 v76, 0x3fb8aa3b, v76
	v_exp_f32_e32 v77, v77
	v_add_f32_e32 v72, v72, v84
	s_delay_alu instid0(VALU_DEP_2) | instskip(NEXT) | instid1(VALU_DEP_1)
	v_exp_f32_e32 v76, v76
	v_add_f32_e32 v72, v72, v87
	s_waitcnt_depctr 0xfff
	v_cndmask_b32_e64 v86, 0, v77, s10
	v_mul_f32_e32 v73, 0x3fb8aa3b, v73
	v_fma_f32 v77, s19, v117, -v71
	v_cndmask_b32_e64 v90, 0, v76, s15
	s_delay_alu instid0(VALU_DEP_4) | instskip(NEXT) | instid1(VALU_DEP_4)
	v_add_f32_e32 v72, v72, v86
	v_exp_f32_e32 v73, v73
	s_waitcnt_depctr 0xfff
	v_cndmask_b32_e64 v89, 0, v73, s11
	s_delay_alu instid0(VALU_DEP_1) | instskip(NEXT) | instid1(VALU_DEP_1)
	v_dual_mul_f32 v75, 0x3fb8aa3b, v75 :: v_dual_add_f32 v72, v72, v89
	v_exp_f32_e32 v75, v75
	v_mul_f32_e32 v73, 0x3fb8aa3b, v77
	v_fma_f32 v77, s19, v118, -v71
	s_delay_alu instid0(VALU_DEP_3) | instskip(NEXT) | instid1(VALU_DEP_3)
	v_add_f32_e32 v72, v72, v88
	v_exp_f32_e32 v73, v73
	s_waitcnt_depctr 0xfff
	v_cndmask_b32_e64 v91, 0, v75, s13
	s_delay_alu instid0(VALU_DEP_1) | instskip(NEXT) | instid1(VALU_DEP_1)
	v_dual_mul_f32 v75, 0x3fb8aa3b, v77 :: v_dual_add_f32 v72, v72, v91
	v_exp_f32_e32 v75, v75
	v_cndmask_b32_e64 v93, 0, v73, s16
	s_delay_alu instid0(VALU_DEP_2) | instskip(NEXT) | instid1(VALU_DEP_1)
	v_add_f32_e32 v72, v72, v90
	v_add_f32_e32 v72, v72, v93
	s_waitcnt_depctr 0xfff
	v_cndmask_b32_e64 v92, 0, v75, s17
	s_delay_alu instid0(VALU_DEP_1)
	v_add_f32_e32 v72, v72, v92
	ds_bpermute_b32 v73, v74, v72
	s_and_saveexec_b32 s3, s2
	s_cbranch_execz .LBB1322_12
; %bb.11:
	v_mul_u32_u24_e32 v70, 0x44, v69
	s_waitcnt lgkmcnt(0)
	v_add_f32_e32 v72, v72, v73
	s_delay_alu instid0(VALU_DEP_2) | instskip(NEXT) | instid1(VALU_DEP_1)
	v_lshl_add_u32 v70, v68, 2, v70
	v_add_nc_u32_e32 v70, 0x4000, v70
	ds_store_2addr_b32 v70, v71, v72 offset1:136
.LBB1322_12:
	s_or_b32 exec_lo, exec_lo, s3
	v_lshlrev_b32_e32 v70, 2, v68
	s_load_b32 s35, s[0:1], 0x94
	s_waitcnt lgkmcnt(0)
	s_barrier
	buffer_gl0_inv
	v_add_nc_u32_e32 v98, 0x4000, v70
	v_cmp_eq_u32_e32 vcc_lo, 1, v69
	v_cmp_eq_u32_e64 s3, 2, v69
	v_cmp_eq_u32_e64 s4, 3, v69
	;; [unrolled: 1-line block ×3, first 2 shown]
	ds_load_2addr_b32 v[70:71], v98 offset1:17
	ds_load_2addr_b32 v[72:73], v98 offset0:34 offset1:51
	ds_load_2addr_b32 v[74:75], v98 offset0:68 offset1:85
	;; [unrolled: 1-line block ×3, first 2 shown]
	v_cmp_eq_u32_e64 s6, 5, v69
	v_cmp_eq_u32_e64 s7, 7, v69
	s_waitcnt lgkmcnt(3)
	v_max3_f32 v76, v70, 0xff7fffff, v71
	s_waitcnt lgkmcnt(2)
	s_delay_alu instid0(VALU_DEP_1) | instskip(SKIP_1) | instid1(VALU_DEP_1)
	v_max3_f32 v76, v76, v72, v73
	s_waitcnt lgkmcnt(1)
	v_max3_f32 v76, v76, v74, v75
	s_waitcnt lgkmcnt(0)
	s_delay_alu instid0(VALU_DEP_1) | instskip(NEXT) | instid1(VALU_DEP_1)
	v_max3_f32 v76, v76, v94, v95
	v_sub_f32_e32 v77, v71, v76
	ds_load_2addr_b32 v[96:97], v98 offset0:136 offset1:153
	v_sub_f32_e32 v74, v74, v76
	v_sub_f32_e32 v70, v70, v76
	;; [unrolled: 1-line block ×3, first 2 shown]
	v_dual_sub_f32 v72, v72, v76 :: v_dual_mul_f32 v77, 0x3fb8aa3b, v77
	s_delay_alu instid0(VALU_DEP_4) | instskip(NEXT) | instid1(VALU_DEP_4)
	v_mul_f32_e32 v103, 0x3fb8aa3b, v74
	v_mul_f32_e32 v99, 0x3fb8aa3b, v70
	ds_load_2addr_b32 v[70:71], v98 offset0:170 offset1:187
	v_dual_mul_f32 v101, 0x3fb8aa3b, v72 :: v_dual_mul_f32 v94, 0x3fb8aa3b, v94
	v_exp_f32_e32 v102, v77
	v_exp_f32_e32 v99, v99
	s_delay_alu instid0(VALU_DEP_1) | instskip(NEXT) | instid1(VALU_DEP_1)
	v_exp_f32_e32 v101, v101
	v_exp_f32_e32 v94, v94
	s_waitcnt lgkmcnt(1)
	s_delay_alu instid0(TRANS32_DEP_3)
	v_fma_f32 v77, v99, v96, 0
	v_sub_f32_e32 v100, v73, v76
	ds_load_2addr_b32 v[72:73], v98 offset0:204 offset1:221
	v_fmac_f32_e32 v77, v102, v97
	v_exp_f32_e32 v97, v103
	s_waitcnt lgkmcnt(1)
	s_delay_alu instid0(VALU_DEP_1)
	v_dual_fmac_f32 v77, v101, v70 :: v_dual_sub_f32 v96, v75, v76
	ds_load_2addr_b32 v[74:75], v98 offset0:238 offset1:255
	v_sub_f32_e32 v70, v95, v76
	s_waitcnt lgkmcnt(0)
	s_barrier
	v_mul_f32_e32 v96, 0x3fb8aa3b, v96
	buffer_gl0_inv
	v_exp_f32_e32 v95, v96
	v_mul_f32_e32 v100, 0x3fb8aa3b, v100
	s_delay_alu instid0(VALU_DEP_1) | instskip(SKIP_3) | instid1(VALU_DEP_2)
	v_exp_f32_e32 v100, v100
	s_waitcnt_depctr 0xfff
	v_dual_fmac_f32 v77, v100, v71 :: v_dual_mul_f32 v70, 0x3fb8aa3b, v70
	v_cndmask_b32_e32 v71, v99, v102, vcc_lo
	v_fmac_f32_e32 v77, v97, v72
	s_delay_alu instid0(VALU_DEP_3) | instskip(NEXT) | instid1(VALU_DEP_1)
	v_exp_f32_e32 v96, v70
	v_fmac_f32_e32 v77, v95, v73
	s_delay_alu instid0(VALU_DEP_1) | instskip(SKIP_2) | instid1(VALU_DEP_1)
	v_fmac_f32_e32 v77, v94, v74
	s_waitcnt_depctr 0xfff
	v_fmac_f32_e32 v77, v96, v75
	v_add_f32_e32 v74, 0x358637bd, v77
	s_delay_alu instid0(VALU_DEP_1) | instskip(SKIP_1) | instid1(VALU_DEP_2)
	v_div_scale_f32 v98, null, v74, v74, 1.0
	v_div_scale_f32 v99, vcc_lo, 1.0, v74, 1.0
	v_rcp_f32_e32 v103, v98
	s_waitcnt_depctr 0xfff
	v_fma_f32 v70, -v98, v103, 1.0
	s_delay_alu instid0(VALU_DEP_1) | instskip(SKIP_2) | instid1(VALU_DEP_2)
	v_fmac_f32_e32 v103, v70, v103
	v_cndmask_b32_e64 v70, v71, v101, s3
	v_cmp_eq_u32_e64 s3, 6, v69
	v_cndmask_b32_e64 v71, v70, v100, s4
	s_delay_alu instid0(VALU_DEP_4) | instskip(NEXT) | instid1(VALU_DEP_2)
	v_dual_mul_f32 v101, v99, v103 :: v_dual_lshlrev_b32 v70, 2, v66
	v_cndmask_b32_e64 v71, v71, v97, s5
	s_delay_alu instid0(VALU_DEP_2) | instskip(NEXT) | instid1(VALU_DEP_3)
	v_or_b32_e32 v72, 1, v70
	v_fma_f32 v100, -v98, v101, v99
	v_cmp_eq_u32_e64 s4, 1, v70
	v_cmp_eq_u32_e64 s5, 2, v70
	v_cndmask_b32_e64 v95, v71, v95, s6
	v_or_b32_e32 v71, 3, v70
	v_fmac_f32_e32 v101, v100, v103
	v_cmp_eq_u32_e64 s9, 1, v72
	v_cmp_eq_u32_e64 s12, 2, v72
	v_cndmask_b32_e64 v94, v95, v94, s3
	v_cmp_eq_u32_e64 s11, 1, v71
	v_fma_f32 v97, -v98, v101, v99
	v_cmp_eq_u32_e64 s16, 2, v71
	v_cmp_eq_u32_e64 s13, 3, v72
	v_cndmask_b32_e64 v94, v94, v96, s7
	v_cmp_eq_u32_e64 s18, 3, v71
	v_div_fmas_f32 v95, v97, v103, v101
	v_cmp_eq_u32_e32 vcc_lo, 3, v70
	v_cmp_eq_u32_e64 s3, 4, v70
	v_cmp_eq_u32_e64 s19, 4, v72
	;; [unrolled: 1-line block ×3, first 2 shown]
	v_div_fixup_f32 v95, v95, v74, 1.0
	v_lshlrev_b32_e32 v73, 6, v68
	v_cmp_eq_u32_e64 s6, 5, v70
	v_cmp_eq_u32_e64 s20, 5, v72
	;; [unrolled: 1-line block ×3, first 2 shown]
	v_mul_f32_e32 v102, v94, v95
	v_lshl_or_b32 v75, v69, 11, v73
	v_or_b32_e32 v69, 2, v70
	v_cmp_eq_u32_e64 s25, 6, v72
	v_cmp_eq_u32_e64 s27, 6, v71
	v_fma_mixlo_f16 v94, v102, v79, 0
	v_fma_mixlo_f16 v95, v102, v81, 0
	v_fma_mixlo_f16 v96, v102, v83, 0
	v_fma_mixlo_f16 v97, v102, v85, 0
	v_fma_mixlo_f16 v98, v102, v87, 0
	v_fma_mixlo_f16 v99, v102, v89, 0
	v_fma_mixlo_f16 v100, v102, v91, 0
	v_fma_mixlo_f16 v101, v102, v93, 0
	v_lshl_or_b32 v74, v66, 4, v75
	v_fma_mixhi_f16 v94, v102, v78, 0
	v_fma_mixhi_f16 v95, v102, v80, 0
	v_fma_mixhi_f16 v96, v102, v82, 0
	v_fma_mixhi_f16 v97, v102, v84, 0
	v_fma_mixhi_f16 v98, v102, v86, 0
	v_fma_mixhi_f16 v99, v102, v88, 0
	v_fma_mixhi_f16 v100, v102, v90, 0
	v_fma_mixhi_f16 v101, v102, v92, 0
	ds_store_b128 v74, v[94:97]
	ds_store_b128 v74, v[98:101] offset:1024
	s_waitcnt lgkmcnt(0)
	s_barrier
	buffer_gl0_inv
	ds_load_b128 v[78:81], v75
	ds_load_b128 v[82:85], v75 offset:16
	ds_load_b128 v[86:89], v75 offset:1024
	;; [unrolled: 1-line block ×3, first 2 shown]
	v_cmp_eq_u32_e64 s10, 1, v69
	v_cmp_eq_u32_e64 s15, 2, v69
	;; [unrolled: 1-line block ×11, first 2 shown]
	s_waitcnt lgkmcnt(3)
	v_lshrrev_b32_e32 v94, 16, v78
	s_waitcnt lgkmcnt(2)
	v_lshrrev_b32_e32 v98, 16, v82
	;; [unrolled: 2-line block ×4, first 2 shown]
	v_lshrrev_b32_e32 v95, 16, v79
	v_cndmask_b32_e64 v110, v78, v94, s4
	v_cndmask_b32_e64 v111, v82, v98, s4
	;; [unrolled: 1-line block ×8, first 2 shown]
	v_lshrrev_b32_e32 v99, 16, v83
	v_cndmask_b32_e64 v94, v86, v102, s4
	v_cndmask_b32_e64 v98, v90, v106, s4
	;; [unrolled: 1-line block ×15, first 2 shown]
	v_lshrrev_b32_e32 v103, 16, v87
	v_lshrrev_b32_e32 v107, 16, v91
	v_cndmask_b32_e64 v113, v115, v83, s15
	v_cndmask_b32_e64 v82, v94, v87, s5
	;; [unrolled: 1-line block ×7, first 2 shown]
	v_cndmask_b32_e32 v90, v102, v95, vcc_lo
	v_cndmask_b32_e32 v102, v106, v99, vcc_lo
	v_cndmask_b32_e64 v106, v110, v95, s13
	v_cndmask_b32_e64 v110, v111, v99, s13
	;; [unrolled: 1-line block ×4, first 2 shown]
	v_lshrrev_b32_e32 v96, 16, v80
	v_lshrrev_b32_e32 v100, 16, v84
	v_cndmask_b32_e64 v111, v112, v95, s17
	v_cndmask_b32_e64 v112, v113, v99, s17
	v_cndmask_b32_e32 v82, v82, v103, vcc_lo
	v_cndmask_b32_e32 v83, v83, v107, vcc_lo
	v_cndmask_b32_e64 v94, v94, v103, s13
	v_cndmask_b32_e64 v90, v90, v80, s3
	;; [unrolled: 1-line block ×7, first 2 shown]
	v_lshrrev_b32_e32 v104, 16, v88
	v_cndmask_b32_e64 v106, v111, v80, s21
	v_cndmask_b32_e64 v110, v112, v84, s21
	;; [unrolled: 1-line block ×11, first 2 shown]
	v_lshrrev_b32_e32 v97, 16, v81
	v_lshrrev_b32_e32 v101, 16, v85
	v_cndmask_b32_e64 v99, v106, v96, s23
	v_cndmask_b32_e64 v102, v110, v100, s23
	;; [unrolled: 1-line block ×7, first 2 shown]
	v_lshrrev_b32_e32 v105, 16, v89
	v_cndmask_b32_e64 v80, v80, v104, s6
	v_cndmask_b32_e64 v84, v84, v81, s7
	;; [unrolled: 1-line block ×16, first 2 shown]
	v_perm_b32 v81, v79, v78, 0x5040100
	v_perm_b32 v79, v95, v85, 0x5040100
	v_cndmask_b32_e64 v78, v119, v91, s15
	v_cndmask_b32_e64 v85, v117, v91, s12
	;; [unrolled: 1-line block ×3, first 2 shown]
	v_perm_b32 v80, v94, v90, 0x5040100
	v_cndmask_b32_e64 v90, v98, v103, s17
	v_cndmask_b32_e64 v86, v86, v103, s18
	;; [unrolled: 1-line block ×5, first 2 shown]
	v_lshrrev_b32_e32 v108, 16, v92
	v_cndmask_b32_e64 v90, v90, v88, s21
	v_cndmask_b32_e64 v86, v86, v88, s22
	;; [unrolled: 1-line block ×11, first 2 shown]
	v_lshrrev_b32_e32 v109, 16, v93
	v_cndmask_b32_e64 v82, v82, v93, s7
	v_cndmask_b32_e64 v88, v88, v89, s26
	;; [unrolled: 1-line block ×12, first 2 shown]
	v_perm_b32 v78, v84, v83, 0x5040100
	v_perm_b32 v85, v87, v86, 0x5040100
	;; [unrolled: 1-line block ×5, first 2 shown]
	s_mul_i32 s8, s33, 13
	s_mov_b32 s3, exec_lo
	ds_store_b128 v74, v[78:81]
	ds_store_b128 v74, v[82:85] offset:1024
	v_cmpx_gt_u32_e32 13, v0
	s_cbranch_execz .LBB1322_14
; %bb.13:
	s_mul_i32 s4, s8, s34
	s_delay_alu instid0(SALU_CYCLE_1) | instskip(SKIP_1) | instid1(VALU_DEP_1)
	v_add3_u32 v68, s4, s31, v68
	s_load_b128 s[4:7], s[0:1], 0x58
	v_mad_u64_u32 v[78:79], null, v68, s35, s[14:15]
	s_delay_alu instid0(VALU_DEP_1) | instskip(NEXT) | instid1(VALU_DEP_1)
	v_ashrrev_i32_e32 v79, 31, v78
	v_lshlrev_b64 v[78:79], 2, v[78:79]
	s_waitcnt lgkmcnt(0)
	s_delay_alu instid0(VALU_DEP_1) | instskip(NEXT) | instid1(VALU_DEP_2)
	v_add_co_u32 v80, vcc_lo, s6, v78
	v_add_co_ci_u32_e32 v81, vcc_lo, s7, v79, vcc_lo
	v_add_co_u32 v78, vcc_lo, s4, v78
	v_add_co_ci_u32_e32 v79, vcc_lo, s5, v79, vcc_lo
	global_store_b32 v[80:81], v76, off
	global_store_b32 v[78:79], v77, off
.LBB1322_14:
	s_or_b32 exec_lo, exec_lo, s3
	s_waitcnt lgkmcnt(0)
	s_waitcnt_vscnt null, 0x0
	s_barrier
	buffer_gl0_inv
	ds_load_b128 v[84:87], v73
	ds_load_b128 v[88:91], v73 offset:16
	ds_load_b128 v[96:99], v73 offset:2064
	;; [unrolled: 1-line block ×5, first 2 shown]
	v_cmp_eq_u32_e32 vcc_lo, 1, v70
	v_mov_b32_e32 v76, 0
	ds_load_b128 v[112:115], v73 offset:6160
	ds_load_b128 v[108:111], v73 offset:6144
	ds_load_b128 v[120:123], v73 offset:8208
	ds_load_b128 v[116:119], v73 offset:8192
	v_cmp_eq_u32_e64 s4, 1, v69
	v_cmp_eq_u32_e64 s3, 1, v72
	;; [unrolled: 1-line block ×3, first 2 shown]
	v_mov_b32_e32 v77, v76
	v_mov_b32_e32 v78, v76
	;; [unrolled: 1-line block ×7, first 2 shown]
	v_cmp_eq_u32_e64 s6, 3, v72
	v_cmp_eq_u32_e64 s7, 7, v72
	s_waitcnt lgkmcnt(8)
	s_delay_alu instid0(VALU_DEP_3)
	v_wmma_f32_16x16x16_f16 v[76:83], v[49:56], v[84:91], v[76:83]
	ds_load_b128 v[53:56], v73 offset:10256
	ds_load_b128 v[49:52], v73 offset:10240
	s_waitcnt lgkmcnt(8)
	v_wmma_f32_16x16x16_f16 v[76:83], v[41:48], v[92:99], v[76:83]
	ds_load_b128 v[45:48], v73 offset:12304
	ds_load_b128 v[41:44], v73 offset:12288
	s_waitcnt lgkmcnt(8)
	v_wmma_f32_16x16x16_f16 v[76:83], v[33:40], v[100:107], v[76:83]
	ds_load_b128 v[37:40], v73 offset:14352
	ds_load_b128 v[33:36], v73 offset:14336
	s_waitcnt lgkmcnt(0)
	s_barrier
	buffer_gl0_inv
	v_wmma_f32_16x16x16_f16 v[76:83], v[1:8], v[108:115], v[76:83]
	s_delay_alu instid0(VALU_DEP_1) | instskip(NEXT) | instid1(VALU_DEP_1)
	v_wmma_f32_16x16x16_f16 v[76:83], v[9:16], v[116:123], v[76:83]
	v_wmma_f32_16x16x16_f16 v[76:83], v[17:24], v[49:56], v[76:83]
	s_delay_alu instid0(VALU_DEP_1) | instskip(NEXT) | instid1(VALU_DEP_1)
	v_wmma_f32_16x16x16_f16 v[76:83], v[25:32], v[41:48], v[76:83]
	v_wmma_f32_16x16x16_f16 v[76:83], v[57:64], v[33:40], v[76:83]
	s_delay_alu instid0(VALU_DEP_1) | instskip(NEXT) | instid1(VALU_DEP_2)
	v_cvt_f16_f32_e32 v1, v76
	v_cvt_f16_f32_e32 v2, v77
	s_delay_alu instid0(VALU_DEP_3) | instskip(NEXT) | instid1(VALU_DEP_4)
	v_cvt_f16_f32_e32 v3, v78
	v_cvt_f16_f32_e32 v4, v79
	;; [unrolled: 1-line block ×6, first 2 shown]
	v_pack_b32_f16 v1, v1, v2
	v_pack_b32_f16 v2, v3, v4
	;; [unrolled: 1-line block ×3, first 2 shown]
	s_delay_alu instid0(VALU_DEP_4)
	v_pack_b32_f16 v4, v7, v8
	ds_store_b128 v74, v[1:4]
	s_waitcnt lgkmcnt(0)
	s_barrier
	buffer_gl0_inv
	ds_load_b128 v[1:4], v75
	ds_load_b128 v[5:8], v75 offset:16
	s_waitcnt lgkmcnt(1)
	v_lshrrev_b32_e32 v9, 16, v1
	s_waitcnt lgkmcnt(0)
	v_lshrrev_b32_e32 v13, 16, v5
	v_lshrrev_b32_e32 v10, 16, v2
	v_lshrrev_b32_e32 v14, 16, v6
	v_lshrrev_b32_e32 v11, 16, v3
	v_cndmask_b32_e32 v17, v1, v9, vcc_lo
	v_cndmask_b32_e32 v18, v5, v13, vcc_lo
	v_cndmask_b32_e64 v21, v1, v9, s4
	v_cmp_eq_u32_e32 vcc_lo, 1, v71
	v_cndmask_b32_e64 v22, v5, v13, s4
	v_cmp_eq_u32_e64 s4, 2, v70
	v_cndmask_b32_e64 v19, v1, v9, s3
	v_cndmask_b32_e64 v20, v5, v13, s3
	v_cndmask_b32_e32 v1, v1, v9, vcc_lo
	v_cmp_eq_u32_e64 s3, 2, v71
	v_cndmask_b32_e32 v5, v5, v13, vcc_lo
	v_cndmask_b32_e64 v9, v17, v2, s4
	v_cmp_eq_u32_e32 vcc_lo, 3, v70
	v_cndmask_b32_e64 v13, v18, v6, s4
	v_cmp_eq_u32_e64 s4, 2, v69
	v_cndmask_b32_e64 v17, v19, v2, s5
	v_cndmask_b32_e64 v18, v20, v6, s5
	v_cmp_eq_u32_e64 s5, 3, v69
	v_cndmask_b32_e64 v1, v1, v2, s3
	v_cndmask_b32_e64 v19, v21, v2, s4
	;; [unrolled: 1-line block ×4, first 2 shown]
	v_cndmask_b32_e32 v5, v9, v10, vcc_lo
	v_cndmask_b32_e32 v6, v13, v14, vcc_lo
	v_cmp_eq_u32_e32 vcc_lo, 3, v71
	v_cndmask_b32_e64 v9, v17, v10, s6
	v_cndmask_b32_e64 v13, v18, v14, s6
	;; [unrolled: 1-line block ×3, first 2 shown]
	v_cmp_eq_u32_e64 s4, 4, v70
	v_cndmask_b32_e32 v1, v1, v10, vcc_lo
	v_cndmask_b32_e32 v2, v2, v14, vcc_lo
	v_cmp_eq_u32_e32 vcc_lo, 4, v72
	v_lshrrev_b32_e32 v15, 16, v7
	v_lshrrev_b32_e32 v16, 16, v8
	v_cndmask_b32_e64 v17, v19, v10, s5
	v_cmp_eq_u32_e64 s3, 4, v71
	v_cndmask_b32_e64 v5, v5, v3, s4
	v_cndmask_b32_e64 v6, v6, v7, s4
	v_cndmask_b32_e32 v9, v9, v3, vcc_lo
	v_cmp_eq_u32_e64 s4, 5, v72
	v_cndmask_b32_e32 v10, v13, v7, vcc_lo
	v_cmp_eq_u32_e32 vcc_lo, 4, v69
	v_cmp_eq_u32_e64 s5, 5, v70
	v_cndmask_b32_e64 v2, v2, v7, s3
	v_cndmask_b32_e64 v9, v9, v11, s4
	;; [unrolled: 1-line block ×3, first 2 shown]
	v_cndmask_b32_e32 v13, v17, v3, vcc_lo
	v_cmp_eq_u32_e64 s4, 5, v69
	v_cndmask_b32_e32 v14, v18, v7, vcc_lo
	v_cndmask_b32_e64 v1, v1, v3, s3
	v_cmp_eq_u32_e32 vcc_lo, 5, v71
	v_lshrrev_b32_e32 v12, 16, v4
	v_cndmask_b32_e64 v13, v13, v11, s4
	v_cndmask_b32_e64 v3, v14, v15, s4
	v_cmp_eq_u32_e64 s4, 6, v71
	v_cndmask_b32_e32 v1, v1, v11, vcc_lo
	v_cndmask_b32_e64 v5, v5, v11, s5
	v_cmp_eq_u32_e64 s6, 6, v70
	v_cndmask_b32_e64 v6, v6, v15, s5
	v_cmp_eq_u32_e64 s5, 6, v72
	v_cmp_eq_u32_e64 s3, 6, v69
	v_cndmask_b32_e64 v1, v1, v4, s4
	v_cndmask_b32_e32 v2, v2, v15, vcc_lo
	v_cmp_eq_u32_e32 vcc_lo, 7, v71
	v_cndmask_b32_e64 v5, v5, v4, s6
	v_cndmask_b32_e64 v9, v9, v4, s5
	;; [unrolled: 1-line block ×3, first 2 shown]
	v_cmp_eq_u32_e64 s6, 7, v70
	v_cndmask_b32_e32 v1, v1, v12, vcc_lo
	v_cndmask_b32_e64 v7, v13, v4, s3
	v_cndmask_b32_e64 v3, v3, v8, s3
	;; [unrolled: 1-line block ×3, first 2 shown]
	v_cmp_eq_u32_e64 s3, 7, v69
	v_cndmask_b32_e64 v4, v10, v8, s5
	v_cndmask_b32_e64 v5, v5, v12, s6
	;; [unrolled: 1-line block ×3, first 2 shown]
	v_cndmask_b32_e32 v2, v2, v16, vcc_lo
	v_cndmask_b32_e64 v7, v7, v12, s3
	v_cndmask_b32_e64 v3, v3, v16, s3
	v_cndmask_b32_e64 v8, v4, v16, s7
	v_cndmask_b32_e64 v6, v6, v16, s6
	v_perm_b32 v4, v2, v1, 0x5040100
	s_mov_b32 s3, exec_lo
	v_perm_b32 v3, v3, v7, 0x5040100
	v_perm_b32 v2, v8, v9, 0x5040100
	;; [unrolled: 1-line block ×3, first 2 shown]
	ds_store_b128 v74, v[1:4]
	s_waitcnt lgkmcnt(0)
	s_barrier
	buffer_gl0_inv
	v_cmpx_gt_u32_e32 32, v0
	s_cbranch_execz .LBB1322_2
; %bb.15:
	s_load_b64 s[4:5], s[0:1], 0x68
	v_lshlrev_b32_e32 v0, 10, v0
	v_lshlrev_b32_e32 v1, 4, v67
	s_lshl_b32 s0, s35, 7
	v_add_nc_u32_e32 v18, s31, v66
	s_mul_i32 s1, s0, s34
	s_delay_alu instid0(VALU_DEP_2) | instskip(SKIP_1) | instid1(VALU_DEP_2)
	v_and_or_b32 v0, 0x3800, v0, v1
	s_mul_i32 s6, s1, s8
	v_mul_lo_u32 v1, v18, s0
	s_ashr_i32 s7, s6, 31
	v_add_nc_u32_e32 v2, 2, v18
	v_lshl_or_b32 v19, v66, 6, v0
	s_lshl_b64 s[6:7], s[6:7], 1
	v_add_nc_u32_e32 v8, 4, v18
	v_add_nc_u32_e32 v15, 6, v18
	v_mul_lo_u32 v7, v2, s0
	ds_load_b128 v[3:6], v19
	v_ashrrev_i32_e32 v2, 31, v1
	v_mul_lo_u32 v11, v8, s0
	s_waitcnt lgkmcnt(0)
	s_add_u32 s1, s4, s6
	s_addc_u32 s3, s5, s7
	s_lshl_b32 s4, s14, 7
	v_lshlrev_b64 v[9:10], 1, v[1:2]
	s_ashr_i32 s5, s4, 31
	v_ashrrev_i32_e32 v8, 31, v7
	s_lshl_b64 s[4:5], s[4:5], 1
	v_ashrrev_i32_e32 v12, 31, v11
	s_add_u32 s1, s1, s4
	s_addc_u32 s3, s3, s5
	v_add_co_u32 v1, s1, s1, v65
	s_delay_alu instid0(VALU_DEP_1) | instskip(SKIP_1) | instid1(VALU_DEP_3)
	v_add_co_ci_u32_e64 v2, null, s3, 0, s1
	v_mul_lo_u32 v15, v15, s0
	v_add_co_u32 v13, vcc_lo, v1, v9
	s_delay_alu instid0(VALU_DEP_3)
	v_add_co_ci_u32_e32 v14, vcc_lo, v2, v10, vcc_lo
	v_lshlrev_b64 v[16:17], 1, v[7:8]
	ds_load_b128 v[7:10], v19 offset:128
	global_store_b128 v[13:14], v[3:6], off
	v_add_nc_u32_e32 v5, 8, v18
	v_lshlrev_b64 v[3:4], 1, v[11:12]
	v_add_co_u32 v23, vcc_lo, v1, v16
	v_ashrrev_i32_e32 v16, 31, v15
	s_delay_alu instid0(VALU_DEP_4) | instskip(SKIP_3) | instid1(VALU_DEP_3)
	v_mul_lo_u32 v25, v5, s0
	v_add_nc_u32_e32 v5, 10, v18
	v_add_co_ci_u32_e32 v24, vcc_lo, v2, v17, vcc_lo
	v_add_co_u32 v27, vcc_lo, v1, v3
	v_mul_lo_u32 v29, v5, s0
	v_add_co_ci_u32_e32 v28, vcc_lo, v2, v4, vcc_lo
	v_lshlrev_b64 v[31:32], 1, v[15:16]
	ds_load_b128 v[3:6], v19 offset:256
	ds_load_b128 v[11:14], v19 offset:384
	;; [unrolled: 1-line block ×4, first 2 shown]
	v_ashrrev_i32_e32 v26, 31, v25
	v_ashrrev_i32_e32 v30, 31, v29
	v_add_co_u32 v31, vcc_lo, v1, v31
	s_delay_alu instid0(VALU_DEP_3) | instskip(SKIP_1) | instid1(VALU_DEP_4)
	v_lshlrev_b64 v[25:26], 1, v[25:26]
	v_add_co_ci_u32_e32 v32, vcc_lo, v2, v32, vcc_lo
	v_lshlrev_b64 v[29:30], 1, v[29:30]
	s_delay_alu instid0(VALU_DEP_3) | instskip(NEXT) | instid1(VALU_DEP_4)
	v_add_co_u32 v25, vcc_lo, v1, v25
	v_add_co_ci_u32_e32 v26, vcc_lo, v2, v26, vcc_lo
	s_delay_alu instid0(VALU_DEP_3) | instskip(NEXT) | instid1(VALU_DEP_4)
	v_add_co_u32 v29, vcc_lo, v1, v29
	v_add_co_ci_u32_e32 v30, vcc_lo, v2, v30, vcc_lo
	s_waitcnt lgkmcnt(4)
	global_store_b128 v[23:24], v[7:10], off
	s_waitcnt lgkmcnt(3)
	global_store_b128 v[27:28], v[3:6], off
	;; [unrolled: 2-line block ×5, first 2 shown]
	s_and_b32 exec_lo, exec_lo, s2
	s_cbranch_execz .LBB1322_2
; %bb.16:
	ds_load_b128 v[3:6], v0 offset:768
	s_add_i32 s1, s31, 12
	s_delay_alu instid0(SALU_CYCLE_1) | instskip(NEXT) | instid1(SALU_CYCLE_1)
	s_mul_i32 s0, s1, s0
	s_ashr_i32 s1, s0, 31
	s_delay_alu instid0(SALU_CYCLE_1) | instskip(NEXT) | instid1(SALU_CYCLE_1)
	s_lshl_b64 s[0:1], s[0:1], 1
	v_add_co_u32 v0, vcc_lo, v1, s0
	v_add_co_ci_u32_e32 v1, vcc_lo, s1, v2, vcc_lo
	s_waitcnt lgkmcnt(0)
	global_store_b128 v[0:1], v[3:6], off
	s_nop 0
	s_sendmsg sendmsg(MSG_DEALLOC_VGPRS)
	s_endpgm
	.section	.rodata,"a",@progbits
	.p2align	6, 0x0
	.amdhsa_kernel _Z39paged_attention_ll4mi_QKV_mfma16_kernelIDF16_hLN4vllm18Fp8KVCacheDataTypeE1EDF16_Li32ELi128ELi256ELb1ELi13EL8MFMAType0EEvPKT_PKT0_S8_ifPKiSA_SA_iPKfiiiPfSD_PS3_PT2_iSC_SC_
		.amdhsa_group_segment_fixed_size 17472
		.amdhsa_private_segment_fixed_size 0
		.amdhsa_kernarg_size 400
		.amdhsa_user_sgpr_count 13
		.amdhsa_user_sgpr_dispatch_ptr 0
		.amdhsa_user_sgpr_queue_ptr 0
		.amdhsa_user_sgpr_kernarg_segment_ptr 1
		.amdhsa_user_sgpr_dispatch_id 0
		.amdhsa_user_sgpr_private_segment_size 0
		.amdhsa_wavefront_size32 1
		.amdhsa_uses_dynamic_stack 0
		.amdhsa_enable_private_segment 0
		.amdhsa_system_sgpr_workgroup_id_x 1
		.amdhsa_system_sgpr_workgroup_id_y 1
		.amdhsa_system_sgpr_workgroup_id_z 1
		.amdhsa_system_sgpr_workgroup_info 0
		.amdhsa_system_vgpr_workitem_id 0
		.amdhsa_next_free_vgpr 150
		.amdhsa_next_free_sgpr 37
		.amdhsa_reserve_vcc 1
		.amdhsa_float_round_mode_32 0
		.amdhsa_float_round_mode_16_64 0
		.amdhsa_float_denorm_mode_32 3
		.amdhsa_float_denorm_mode_16_64 3
		.amdhsa_dx10_clamp 1
		.amdhsa_ieee_mode 1
		.amdhsa_fp16_overflow 0
		.amdhsa_workgroup_processor_mode 1
		.amdhsa_memory_ordered 1
		.amdhsa_forward_progress 0
		.amdhsa_shared_vgpr_count 0
		.amdhsa_exception_fp_ieee_invalid_op 0
		.amdhsa_exception_fp_denorm_src 0
		.amdhsa_exception_fp_ieee_div_zero 0
		.amdhsa_exception_fp_ieee_overflow 0
		.amdhsa_exception_fp_ieee_underflow 0
		.amdhsa_exception_fp_ieee_inexact 0
		.amdhsa_exception_int_div_zero 0
	.end_amdhsa_kernel
	.section	.text._Z39paged_attention_ll4mi_QKV_mfma16_kernelIDF16_hLN4vllm18Fp8KVCacheDataTypeE1EDF16_Li32ELi128ELi256ELb1ELi13EL8MFMAType0EEvPKT_PKT0_S8_ifPKiSA_SA_iPKfiiiPfSD_PS3_PT2_iSC_SC_,"axG",@progbits,_Z39paged_attention_ll4mi_QKV_mfma16_kernelIDF16_hLN4vllm18Fp8KVCacheDataTypeE1EDF16_Li32ELi128ELi256ELb1ELi13EL8MFMAType0EEvPKT_PKT0_S8_ifPKiSA_SA_iPKfiiiPfSD_PS3_PT2_iSC_SC_,comdat
.Lfunc_end1322:
	.size	_Z39paged_attention_ll4mi_QKV_mfma16_kernelIDF16_hLN4vllm18Fp8KVCacheDataTypeE1EDF16_Li32ELi128ELi256ELb1ELi13EL8MFMAType0EEvPKT_PKT0_S8_ifPKiSA_SA_iPKfiiiPfSD_PS3_PT2_iSC_SC_, .Lfunc_end1322-_Z39paged_attention_ll4mi_QKV_mfma16_kernelIDF16_hLN4vllm18Fp8KVCacheDataTypeE1EDF16_Li32ELi128ELi256ELb1ELi13EL8MFMAType0EEvPKT_PKT0_S8_ifPKiSA_SA_iPKfiiiPfSD_PS3_PT2_iSC_SC_
                                        ; -- End function
	.section	.AMDGPU.csdata,"",@progbits
; Kernel info:
; codeLenInByte = 6860
; NumSgprs: 39
; NumVgprs: 150
; ScratchSize: 0
; MemoryBound: 0
; FloatMode: 240
; IeeeMode: 1
; LDSByteSize: 17472 bytes/workgroup (compile time only)
; SGPRBlocks: 4
; VGPRBlocks: 18
; NumSGPRsForWavesPerEU: 39
; NumVGPRsForWavesPerEU: 150
; Occupancy: 9
; WaveLimiterHint : 1
; COMPUTE_PGM_RSRC2:SCRATCH_EN: 0
; COMPUTE_PGM_RSRC2:USER_SGPR: 13
; COMPUTE_PGM_RSRC2:TRAP_HANDLER: 0
; COMPUTE_PGM_RSRC2:TGID_X_EN: 1
; COMPUTE_PGM_RSRC2:TGID_Y_EN: 1
; COMPUTE_PGM_RSRC2:TGID_Z_EN: 1
; COMPUTE_PGM_RSRC2:TIDIG_COMP_CNT: 0
	.section	.text._Z39paged_attention_ll4mi_QKV_mfma16_kernelIDF16_hLN4vllm18Fp8KVCacheDataTypeE1EDF16_Li32ELi128ELi256ELb1ELi14EL8MFMAType0EEvPKT_PKT0_S8_ifPKiSA_SA_iPKfiiiPfSD_PS3_PT2_iSC_SC_,"axG",@progbits,_Z39paged_attention_ll4mi_QKV_mfma16_kernelIDF16_hLN4vllm18Fp8KVCacheDataTypeE1EDF16_Li32ELi128ELi256ELb1ELi14EL8MFMAType0EEvPKT_PKT0_S8_ifPKiSA_SA_iPKfiiiPfSD_PS3_PT2_iSC_SC_,comdat
	.protected	_Z39paged_attention_ll4mi_QKV_mfma16_kernelIDF16_hLN4vllm18Fp8KVCacheDataTypeE1EDF16_Li32ELi128ELi256ELb1ELi14EL8MFMAType0EEvPKT_PKT0_S8_ifPKiSA_SA_iPKfiiiPfSD_PS3_PT2_iSC_SC_ ; -- Begin function _Z39paged_attention_ll4mi_QKV_mfma16_kernelIDF16_hLN4vllm18Fp8KVCacheDataTypeE1EDF16_Li32ELi128ELi256ELb1ELi14EL8MFMAType0EEvPKT_PKT0_S8_ifPKiSA_SA_iPKfiiiPfSD_PS3_PT2_iSC_SC_
	.globl	_Z39paged_attention_ll4mi_QKV_mfma16_kernelIDF16_hLN4vllm18Fp8KVCacheDataTypeE1EDF16_Li32ELi128ELi256ELb1ELi14EL8MFMAType0EEvPKT_PKT0_S8_ifPKiSA_SA_iPKfiiiPfSD_PS3_PT2_iSC_SC_
	.p2align	8
	.type	_Z39paged_attention_ll4mi_QKV_mfma16_kernelIDF16_hLN4vllm18Fp8KVCacheDataTypeE1EDF16_Li32ELi128ELi256ELb1ELi14EL8MFMAType0EEvPKT_PKT0_S8_ifPKiSA_SA_iPKfiiiPfSD_PS3_PT2_iSC_SC_,@function
_Z39paged_attention_ll4mi_QKV_mfma16_kernelIDF16_hLN4vllm18Fp8KVCacheDataTypeE1EDF16_Li32ELi128ELi256ELb1ELi14EL8MFMAType0EEvPKT_PKT0_S8_ifPKiSA_SA_iPKfiiiPfSD_PS3_PT2_iSC_SC_: ; @_Z39paged_attention_ll4mi_QKV_mfma16_kernelIDF16_hLN4vllm18Fp8KVCacheDataTypeE1EDF16_Li32ELi128ELi256ELb1ELi14EL8MFMAType0EEvPKT_PKT0_S8_ifPKiSA_SA_iPKfiiiPfSD_PS3_PT2_iSC_SC_
; %bb.0:
	s_load_b64 s[4:5], s[0:1], 0x30
	s_mov_b32 s30, s13
	s_waitcnt lgkmcnt(0)
	s_cmp_lg_u64 s[4:5], 0
	s_cselect_b32 s8, -1, 0
	s_ashr_i32 s31, s13, 31
	s_cmp_eq_u64 s[4:5], 0
	s_cbranch_scc1 .LBB1323_3
; %bb.1:
	s_lshl_b64 s[2:3], s[30:31], 2
	s_delay_alu instid0(SALU_CYCLE_1) | instskip(SKIP_4) | instid1(SALU_CYCLE_1)
	s_add_u32 s2, s4, s2
	s_addc_u32 s3, s5, s3
	s_load_b64 s[2:3], s[2:3], 0x0
	s_waitcnt lgkmcnt(0)
	s_sub_i32 s2, s3, s2
	s_cmp_eq_u32 s2, 1
	s_cselect_b32 s2, -1, 0
	s_delay_alu instid0(SALU_CYCLE_1)
	s_and_not1_b32 vcc_lo, exec_lo, s2
	s_cbranch_vccz .LBB1323_4
.LBB1323_2:
	s_endpgm
.LBB1323_3:
.LBB1323_4:
	s_load_b64 s[2:3], s[0:1], 0x28
	s_lshl_b64 s[6:7], s[30:31], 2
	s_waitcnt lgkmcnt(0)
	s_add_u32 s2, s2, s6
	s_addc_u32 s3, s3, s7
	s_lshl_b32 s12, s14, 8
	s_load_b32 s24, s[2:3], 0x0
	s_waitcnt lgkmcnt(0)
	s_cmp_ge_i32 s12, s24
	s_cbranch_scc1 .LBB1323_2
; %bb.5:
	s_clause 0x1
	s_load_b128 s[20:23], s[0:1], 0x8
	s_load_b64 s[2:3], s[0:1], 0x20
	s_and_not1_b32 vcc_lo, exec_lo, s8
	s_cbranch_vccnz .LBB1323_7
; %bb.6:
	s_add_u32 s4, s4, s6
	s_addc_u32 s5, s5, s7
	s_load_b32 s5, s[4:5], 0x0
	s_branch .LBB1323_8
.LBB1323_7:
	s_mov_b32 s5, s30
.LBB1323_8:
	s_load_b128 s[16:19], s[0:1], 0x48
	v_and_b32_e32 v68, 15, v0
	v_lshrrev_b32_e32 v69, 5, v0
	v_and_b32_e32 v70, 31, v0
	v_and_b32_e32 v67, 1, v0
	v_bfe_u32 v66, v0, 4, 1
	v_lshlrev_b32_e32 v1, 3, v68
	s_mul_i32 s31, s15, 14
	s_mov_b32 s4, exec_lo
	s_delay_alu instid0(VALU_DEP_1)
	v_lshlrev_b32_e32 v65, 1, v1
	v_cmpx_gt_u32_e32 0xe0, v0
	s_cbranch_execz .LBB1323_10
; %bb.9:
	s_load_b64 s[6:7], s[0:1], 0x0
	v_lshl_or_b32 v5, v69, 1, v66
	s_waitcnt lgkmcnt(0)
	s_mul_hi_i32 s9, s5, s16
	s_mul_i32 s8, s5, s16
	v_lshlrev_b32_e32 v6, 10, v68
	s_lshl_b64 s[8:9], s[8:9], 1
	v_add_lshl_u32 v1, v5, s31, 7
	v_lshlrev_b32_e32 v5, 6, v5
	v_lshlrev_b32_e32 v7, 10, v67
	v_and_b32_e32 v6, 0x3800, v6
	s_delay_alu instid0(VALU_DEP_4) | instskip(NEXT) | instid1(VALU_DEP_2)
	v_ashrrev_i32_e32 v2, 31, v1
	v_or3_b32 v5, v6, v7, v5
	s_delay_alu instid0(VALU_DEP_2) | instskip(SKIP_2) | instid1(VALU_DEP_1)
	v_lshlrev_b64 v[1:2], 1, v[1:2]
	s_add_u32 s5, s6, s8
	s_addc_u32 s6, s7, s9
	v_add_co_u32 v1, vcc_lo, s5, v1
	s_delay_alu instid0(VALU_DEP_2) | instskip(NEXT) | instid1(VALU_DEP_2)
	v_add_co_ci_u32_e32 v2, vcc_lo, s6, v2, vcc_lo
	v_add_co_u32 v1, vcc_lo, v1, v65
	s_delay_alu instid0(VALU_DEP_2)
	v_add_co_ci_u32_e32 v2, vcc_lo, 0, v2, vcc_lo
	global_load_b128 v[1:4], v[1:2], off
	s_waitcnt vmcnt(0)
	ds_store_b128 v5, v[1:4]
.LBB1323_10:
	s_or_b32 exec_lo, exec_lo, s4
	v_and_b32_e32 v1, 0xef, v0
	s_waitcnt lgkmcnt(0)
	s_add_i32 s5, s24, 31
	s_clause 0x1
	s_load_b32 s4, s[0:1], 0x38
	s_load_b32 s33, s[0:1], 0x98
	s_ashr_i32 s6, s5, 31
	v_add_nc_u32_e32 v1, s12, v1
	s_lshr_b32 s6, s6, 27
	s_load_b32 s19, s[0:1], 0x1c
	s_add_i32 s5, s5, s6
	s_waitcnt lgkmcnt(0)
	v_ashrrev_i32_e32 v2, 31, v1
	v_or_b32_e32 v3, 16, v1
	s_ashr_i32 s13, s5, 5
	v_cmp_gt_i32_e32 vcc_lo, s24, v1
	s_add_i32 s13, s13, -1
	v_lshrrev_b32_e32 v2, 27, v2
	s_barrier
	buffer_gl0_inv
	s_mul_i32 s15, s15, s18
	v_add_nc_u32_e32 v4, v1, v2
	s_mul_i32 s4, s30, s4
	s_delay_alu instid0(SALU_CYCLE_1) | instskip(NEXT) | instid1(VALU_DEP_1)
	s_ashr_i32 s5, s4, 31
	v_ashrrev_i32_e32 v4, 5, v4
	v_add_nc_u32_e32 v2, v3, v2
	s_lshl_b64 s[4:5], s[4:5], 2
	s_delay_alu instid0(SALU_CYCLE_1) | instskip(NEXT) | instid1(VALU_DEP_2)
	s_add_u32 s16, s2, s4
	v_cndmask_b32_e32 v1, s13, v4, vcc_lo
	s_delay_alu instid0(VALU_DEP_2)
	v_ashrrev_i32_e32 v2, 5, v2
	v_cmp_gt_i32_e32 vcc_lo, s24, v3
	s_addc_u32 s25, s3, s5
	s_ashr_i32 s18, s15, 31
	s_add_u32 s2, s20, s15
	s_addc_u32 s3, s21, s18
	v_cndmask_b32_e32 v3, s13, v2, vcc_lo
	v_ashrrev_i32_e32 v2, 31, v1
	s_lshl_b32 s4, s14, 3
	s_delay_alu instid0(SALU_CYCLE_1) | instskip(NEXT) | instid1(VALU_DEP_2)
	s_ashr_i32 s5, s4, 31
	v_ashrrev_i32_e32 v4, 31, v3
	s_delay_alu instid0(VALU_DEP_2) | instskip(SKIP_1) | instid1(SALU_CYCLE_1)
	v_lshlrev_b64 v[1:2], 2, v[1:2]
	s_lshl_b64 s[4:5], s[4:5], 2
	s_add_u32 s4, s16, s4
	s_delay_alu instid0(VALU_DEP_2) | instskip(SKIP_1) | instid1(VALU_DEP_2)
	v_lshlrev_b64 v[3:4], 2, v[3:4]
	s_addc_u32 s5, s25, s5
	v_add_co_u32 v1, vcc_lo, s16, v1
	v_add_co_ci_u32_e32 v2, vcc_lo, s25, v2, vcc_lo
	s_delay_alu instid0(VALU_DEP_3) | instskip(NEXT) | instid1(VALU_DEP_4)
	v_add_co_u32 v3, vcc_lo, s16, v3
	v_add_co_ci_u32_e32 v4, vcc_lo, s25, v4, vcc_lo
	s_clause 0x1
	global_load_b32 v5, v[1:2], off
	global_load_b32 v6, v[3:4], off
	s_or_b32 s6, s12, 32
	s_delay_alu instid0(SALU_CYCLE_1) | instskip(SKIP_2) | instid1(SALU_CYCLE_1)
	s_ashr_i32 s7, s6, 5
	s_cmp_lt_i32 s6, s24
	s_cselect_b32 s6, s7, s13
	s_ashr_i32 s7, s6, 31
	s_delay_alu instid0(SALU_CYCLE_1) | instskip(NEXT) | instid1(SALU_CYCLE_1)
	s_lshl_b64 s[6:7], s[6:7], 2
	s_add_u32 s6, s16, s6
	s_addc_u32 s7, s25, s7
	s_or_b32 s8, s12, 64
	s_delay_alu instid0(SALU_CYCLE_1) | instskip(SKIP_2) | instid1(SALU_CYCLE_1)
	s_ashr_i32 s9, s8, 5
	s_cmp_lt_i32 s8, s24
	s_cselect_b32 s8, s9, s13
	s_ashr_i32 s9, s8, 31
	s_delay_alu instid0(SALU_CYCLE_1) | instskip(NEXT) | instid1(SALU_CYCLE_1)
	s_lshl_b64 s[8:9], s[8:9], 2
	s_add_u32 s8, s16, s8
	s_addc_u32 s9, s25, s9
	;; [unrolled: 10-line block ×5, first 2 shown]
	s_clause 0x5
	s_load_b32 s28, s[4:5], 0x0
	s_load_b32 s29, s[6:7], 0x0
	;; [unrolled: 1-line block ×6, first 2 shown]
	s_mov_b32 s4, 0
	s_delay_alu instid0(SALU_CYCLE_1)
	s_mov_b32 s5, s4
	s_mov_b32 s6, s4
	s_mov_b32 s7, s4
	s_mov_b32 s8, s4
	s_mov_b32 s9, s4
	s_mov_b32 s10, s4
	s_mov_b32 s11, s4
	s_delay_alu instid0(SALU_CYCLE_1)
	v_dual_mov_b32 v118, s11 :: v_dual_mov_b32 v117, s10
	v_dual_mov_b32 v116, s9 :: v_dual_mov_b32 v115, s8
	v_mov_b32_e32 v113, s6
	v_dual_mov_b32 v111, s4 :: v_dual_mov_b32 v114, s7
	v_mov_b32_e32 v112, s5
	s_waitcnt vmcnt(1)
	v_mad_i64_i32 v[1:2], null, v5, s17, s[2:3]
	v_lshlrev_b32_e32 v5, 4, v68
	s_waitcnt vmcnt(0)
	v_mad_i64_i32 v[3:4], null, v6, s17, s[2:3]
	s_or_b32 s2, s12, 0xc0
	s_delay_alu instid0(SALU_CYCLE_1) | instskip(NEXT) | instid1(VALU_DEP_3)
	s_ashr_i32 s3, s2, 5
	v_add_co_u32 v1, vcc_lo, v1, v5
	s_delay_alu instid0(VALU_DEP_4) | instskip(NEXT) | instid1(VALU_DEP_3)
	v_add_co_ci_u32_e32 v2, vcc_lo, 0, v2, vcc_lo
	v_add_co_u32 v3, vcc_lo, v3, v5
	s_delay_alu instid0(VALU_DEP_4)
	v_add_co_ci_u32_e32 v4, vcc_lo, 0, v4, vcc_lo
	s_clause 0xf
	global_load_b128 v[17:20], v[1:2], off
	global_load_b128 v[21:24], v[1:2], off offset:512
	global_load_b128 v[25:28], v[3:4], off offset:256
	;; [unrolled: 1-line block ×15, first 2 shown]
	s_cmp_lt_i32 s2, s24
	v_add_nc_u32_e32 v1, -14, v68
	s_cselect_b32 s2, s3, s13
	v_cmp_gt_u32_e32 vcc_lo, 14, v68
	s_ashr_i32 s3, s2, 31
	v_lshlrev_b32_e32 v2, 5, v68
	s_lshl_b64 s[2:3], s[2:3], 2
	s_delay_alu instid0(SALU_CYCLE_1)
	s_add_u32 s2, s16, s2
	s_addc_u32 s3, s25, s3
	s_or_b32 s20, s12, 0xe0
	v_cndmask_b32_e32 v1, v1, v68, vcc_lo
	s_ashr_i32 s21, s20, 5
	s_cmp_lt_i32 s20, s24
	s_cselect_b32 s20, s21, s13
	s_delay_alu instid0(VALU_DEP_1)
	v_lshlrev_b32_e32 v149, 6, v1
	s_ashr_i32 s21, s20, 31
	v_lshl_or_b32 v1, v69, 9, v2
	s_lshl_b64 s[4:5], s[20:21], 2
	ds_load_b128 v[119:122], v149
	ds_load_b128 v[123:126], v149 offset:1024
	s_add_u32 s4, s16, s4
	s_addc_u32 s5, s25, s5
	ds_load_b128 v[127:130], v149 offset:2048
	ds_load_b128 v[131:134], v149 offset:3072
	s_clause 0x1
	s_load_b32 s2, s[2:3], 0x0
	s_load_b32 s3, s[4:5], 0x0
	s_add_u32 s6, s22, s15
	s_addc_u32 s7, s23, s18
	v_add_co_u32 v135, s6, s6, v1
	s_delay_alu instid0(VALU_DEP_1) | instskip(SKIP_1) | instid1(VALU_DEP_1)
	v_add_co_ci_u32_e64 v136, null, s7, 0, s6
	s_waitcnt lgkmcnt(0)
	v_mad_i64_i32 v[1:2], null, s28, s17, v[135:136]
	v_mad_i64_i32 v[3:4], null, s29, s17, v[135:136]
	;; [unrolled: 1-line block ×6, first 2 shown]
	s_clause 0x9
	global_load_b128 v[49:52], v[1:2], off
	global_load_b128 v[53:56], v[1:2], off offset:16
	global_load_b128 v[41:44], v[3:4], off
	global_load_b128 v[45:48], v[3:4], off offset:16
	global_load_b128 v[33:36], v[5:6], off
	global_load_b128 v[37:40], v[5:6], off offset:16
	global_load_b128 v[1:4], v[7:8], off
	global_load_b128 v[5:8], v[7:8], off offset:16
	global_load_b128 v[9:12], v[13:14], off
	global_load_b128 v[13:16], v[13:14], off offset:16
	v_mad_i64_i32 v[145:146], null, s2, s17, v[135:136]
	v_mad_i64_i32 v[147:148], null, s3, s17, v[135:136]
	s_waitcnt vmcnt(24)
	v_wmma_f32_16x16x16_f16 v[135:142], v[17:24], v[119:126], v[111:118]
	s_waitcnt vmcnt(22)
	v_wmma_f32_16x16x16_f16 v[111:118], v[25:32], v[119:126], v[111:118]
	s_clause 0x3
	global_load_b128 v[17:20], v[143:144], off
	global_load_b128 v[21:24], v[143:144], off offset:16
	global_load_b128 v[25:28], v[145:146], off
	global_load_b128 v[29:32], v[145:146], off offset:16
	v_and_b32_e32 v119, 0xe0, v0
	s_waitcnt vmcnt(24)
	v_wmma_f32_16x16x16_f16 v[135:142], v[57:64], v[127:134], v[135:142]
	s_clause 0x1
	global_load_b128 v[57:60], v[147:148], off
	global_load_b128 v[61:64], v[147:148], off offset:16
	s_waitcnt vmcnt(24)
	v_wmma_f32_16x16x16_f16 v[111:118], v[71:78], v[127:134], v[111:118]
	ds_load_b128 v[71:74], v149 offset:4096
	ds_load_b128 v[75:78], v149 offset:5120
	v_add_nc_u32_e32 v128, s12, v119
	ds_load_b128 v[119:122], v149 offset:6144
	ds_load_b128 v[123:126], v149 offset:7168
	v_mbcnt_lo_u32_b32 v127, -1, 0
	s_waitcnt vmcnt(0) lgkmcnt(0)
	s_barrier
	v_or_b32_e32 v128, v128, v66
	buffer_gl0_inv
	v_xor_b32_e32 v129, 16, v127
	v_or_b32_e32 v130, 4, v128
	v_or_b32_e32 v131, 6, v128
	s_delay_alu instid0(VALU_DEP_3) | instskip(SKIP_4) | instid1(VALU_DEP_4)
	v_cmp_gt_i32_e32 vcc_lo, 32, v129
	v_or_b32_e32 v132, 8, v128
	v_or_b32_e32 v133, 10, v128
	v_cmp_gt_i32_e64 s3, s24, v130
	v_cmp_gt_i32_e64 s4, s24, v131
	;; [unrolled: 1-line block ×3, first 2 shown]
	v_wmma_f32_16x16x16_f16 v[135:142], v[79:86], v[71:78], v[135:142]
	v_wmma_f32_16x16x16_f16 v[111:118], v[87:94], v[71:78], v[111:118]
	v_or_b32_e32 v79, 12, v128
	v_or_b32_e32 v80, 14, v128
	v_cmp_gt_i32_e64 s6, s24, v133
	v_wmma_f32_16x16x16_f16 v[135:142], v[95:102], v[119:126], v[135:142]
	v_wmma_f32_16x16x16_f16 v[111:118], v[103:110], v[119:126], v[111:118]
	v_cndmask_b32_e32 v127, v127, v129, vcc_lo
	v_or_b32_e32 v129, 2, v128
	v_cmp_gt_i32_e32 vcc_lo, s24, v128
	s_delay_alu instid0(VALU_DEP_4) | instskip(SKIP_1) | instid1(VALU_DEP_4)
	v_dual_mul_f32 v87, s19, v136 :: v_dual_mul_f32 v94, s19, v113
	v_mul_f32_e32 v88, s19, v135
	v_cmp_gt_i32_e64 s2, s24, v129
	v_mul_f32_e32 v78, s19, v138
	v_mul_f32_e32 v86, s19, v137
	;; [unrolled: 1-line block ×3, first 2 shown]
	v_cndmask_b32_e32 v88, 0xff7fffff, v88, vcc_lo
	v_cndmask_b32_e64 v87, 0xff7fffff, v87, s2
	v_dual_mul_f32 v77, s19, v139 :: v_dual_mul_f32 v90, s19, v117
	v_cndmask_b32_e64 v86, 0xff7fffff, v86, s3
	v_cndmask_b32_e64 v78, 0xff7fffff, v78, s4
	s_delay_alu instid0(VALU_DEP_4)
	v_max3_f32 v87, v88, 0xff7fffff, v87
	v_or_b32_e32 v81, 16, v128
	v_or_b32_e32 v82, 18, v128
	v_dual_mul_f32 v74, s19, v142 :: v_dual_mul_f32 v75, s19, v141
	v_mul_f32_e32 v96, s19, v111
	v_cndmask_b32_e64 v77, 0xff7fffff, v77, s5
	v_cndmask_b32_e64 v76, 0xff7fffff, v76, s6
	v_max3_f32 v78, v87, v86, v78
	v_cmp_gt_i32_e64 s7, s24, v79
	v_cmp_gt_i32_e64 s8, s24, v80
	v_or_b32_e32 v83, 20, v128
	v_or_b32_e32 v84, 22, v128
	v_mul_f32_e32 v95, s19, v112
	v_cndmask_b32_e64 v75, 0xff7fffff, v75, s7
	v_cndmask_b32_e64 v74, 0xff7fffff, v74, s8
	v_max3_f32 v76, v78, v77, v76
	v_cmp_gt_i32_e64 s9, s24, v81
	v_cmp_gt_i32_e64 s10, s24, v82
	v_or_b32_e32 v85, 24, v128
	v_or_b32_e32 v71, 26, v128
	;; [unrolled: 8-line block ×3, first 2 shown]
	v_dual_mul_f32 v91, s19, v116 :: v_dual_mul_f32 v92, s19, v115
	v_cndmask_b32_e64 v75, 0xff7fffff, v94, s11
	v_cndmask_b32_e64 v76, 0xff7fffff, v93, s12
	v_max3_f32 v74, v74, v77, v78
	v_cmp_gt_i32_e64 s13, s24, v85
	v_cmp_gt_i32_e64 s15, s24, v71
	v_mul_f32_e32 v89, s19, v118
	v_cmp_gt_i32_e64 s16, s24, v72
	v_max3_f32 v74, v74, v75, v76
	v_cndmask_b32_e64 v77, 0xff7fffff, v92, s13
	v_cndmask_b32_e64 v71, 0xff7fffff, v91, s15
	v_cmp_gt_i32_e64 s17, s24, v73
	v_cndmask_b32_e64 v72, 0xff7fffff, v90, s16
	s_delay_alu instid0(VALU_DEP_3) | instskip(SKIP_1) | instid1(VALU_DEP_4)
	v_max3_f32 v71, v74, v77, v71
	v_lshlrev_b32_e32 v74, 2, v127
	v_cndmask_b32_e64 v73, 0xff7fffff, v89, s17
	s_delay_alu instid0(VALU_DEP_1) | instskip(SKIP_3) | instid1(VALU_DEP_1)
	v_max3_f32 v71, v71, v72, v73
	ds_bpermute_b32 v72, v74, v71
	s_waitcnt lgkmcnt(0)
	v_max_f32_e32 v72, v72, v72
	v_max_f32_e32 v71, v71, v72
	s_delay_alu instid0(VALU_DEP_1) | instskip(SKIP_4) | instid1(VALU_DEP_4)
	v_fma_f32 v72, s19, v135, -v71
	v_fma_f32 v73, s19, v136, -v71
	;; [unrolled: 1-line block ×5, first 2 shown]
	v_dual_mul_f32 v72, 0x3fb8aa3b, v72 :: v_dual_mul_f32 v73, 0x3fb8aa3b, v73
	s_delay_alu instid0(VALU_DEP_3) | instskip(SKIP_1) | instid1(VALU_DEP_3)
	v_dual_mul_f32 v75, 0x3fb8aa3b, v75 :: v_dual_mul_f32 v76, 0x3fb8aa3b, v76
	v_fma_f32 v80, s19, v141, -v71
	v_exp_f32_e32 v72, v72
	s_delay_alu instid0(VALU_DEP_3) | instskip(NEXT) | instid1(VALU_DEP_2)
	v_exp_f32_e32 v73, v73
	v_exp_f32_e32 v75, v75
	;; [unrolled: 1-line block ×3, first 2 shown]
	v_mul_f32_e32 v82, 0x3fb8aa3b, v80
	s_delay_alu instid0(VALU_DEP_1) | instskip(SKIP_4) | instid1(TRANS32_DEP_3)
	v_exp_f32_e32 v84, v82
	v_cndmask_b32_e32 v79, 0, v72, vcc_lo
	v_fma_f32 v72, s19, v140, -v71
	v_mul_f32_e32 v77, 0x3fb8aa3b, v77
	v_cndmask_b32_e64 v78, 0, v73, s2
	v_cndmask_b32_e64 v81, 0, v75, s3
	s_delay_alu instid0(VALU_DEP_4) | instskip(NEXT) | instid1(VALU_DEP_4)
	v_dual_add_f32 v73, 0, v79 :: v_dual_mul_f32 v72, 0x3fb8aa3b, v72
	v_exp_f32_e32 v77, v77
	v_cndmask_b32_e64 v80, 0, v76, s4
	s_delay_alu instid0(TRANS32_DEP_2) | instskip(NEXT) | instid1(VALU_DEP_3)
	v_cndmask_b32_e64 v85, 0, v84, s7
	v_add_f32_e32 v73, v73, v78
	v_exp_f32_e32 v72, v72
	s_mov_b32 s2, exec_lo
	s_delay_alu instid0(VALU_DEP_1) | instskip(SKIP_4) | instid1(VALU_DEP_2)
	v_add_f32_e32 v73, v73, v81
	s_waitcnt_depctr 0xfff
	v_cndmask_b32_e64 v83, 0, v77, s5
	v_add_f32_e32 v73, v73, v80
	v_cndmask_b32_e64 v82, 0, v72, s6
	v_add_f32_e32 v72, v73, v83
	s_delay_alu instid0(VALU_DEP_1) | instskip(NEXT) | instid1(VALU_DEP_1)
	v_add_f32_e32 v72, v72, v82
	v_add_f32_e32 v72, v72, v85
	v_fma_f32 v76, s19, v111, -v71
	v_fma_f32 v75, s19, v142, -v71
	;; [unrolled: 1-line block ×5, first 2 shown]
	s_delay_alu instid0(VALU_DEP_4) | instskip(NEXT) | instid1(VALU_DEP_3)
	v_dual_mul_f32 v76, 0x3fb8aa3b, v76 :: v_dual_mul_f32 v75, 0x3fb8aa3b, v75
	v_mul_f32_e32 v86, 0x3fb8aa3b, v86
	s_delay_alu instid0(VALU_DEP_2) | instskip(NEXT) | instid1(VALU_DEP_2)
	v_exp_f32_e32 v76, v76
	v_exp_f32_e32 v75, v75
	s_delay_alu instid0(VALU_DEP_1) | instskip(NEXT) | instid1(TRANS32_DEP_3)
	v_exp_f32_e32 v88, v86
	v_cndmask_b32_e64 v87, 0, v76, s9
	v_fma_f32 v76, s19, v116, -v71
	v_mul_f32_e32 v77, 0x3fb8aa3b, v77
	s_waitcnt_depctr 0xfff
	v_cndmask_b32_e64 v84, 0, v75, s8
	v_fma_f32 v75, s19, v115, -v71
	v_cndmask_b32_e64 v88, 0, v88, s12
	v_mul_f32_e32 v76, 0x3fb8aa3b, v76
	v_exp_f32_e32 v77, v77
	v_add_f32_e32 v72, v72, v84
	s_delay_alu instid0(VALU_DEP_2) | instskip(NEXT) | instid1(VALU_DEP_1)
	v_exp_f32_e32 v76, v76
	v_add_f32_e32 v72, v72, v87
	s_waitcnt_depctr 0xfff
	v_cndmask_b32_e64 v86, 0, v77, s10
	v_mul_f32_e32 v73, 0x3fb8aa3b, v73
	v_fma_f32 v77, s19, v117, -v71
	v_cndmask_b32_e64 v90, 0, v76, s15
	s_delay_alu instid0(VALU_DEP_4) | instskip(NEXT) | instid1(VALU_DEP_4)
	v_add_f32_e32 v72, v72, v86
	v_exp_f32_e32 v73, v73
	s_waitcnt_depctr 0xfff
	v_cndmask_b32_e64 v89, 0, v73, s11
	s_delay_alu instid0(VALU_DEP_1) | instskip(NEXT) | instid1(VALU_DEP_1)
	v_dual_mul_f32 v75, 0x3fb8aa3b, v75 :: v_dual_add_f32 v72, v72, v89
	v_exp_f32_e32 v75, v75
	v_mul_f32_e32 v73, 0x3fb8aa3b, v77
	v_fma_f32 v77, s19, v118, -v71
	s_delay_alu instid0(VALU_DEP_3) | instskip(NEXT) | instid1(VALU_DEP_3)
	v_add_f32_e32 v72, v72, v88
	v_exp_f32_e32 v73, v73
	s_waitcnt_depctr 0xfff
	v_cndmask_b32_e64 v91, 0, v75, s13
	s_delay_alu instid0(VALU_DEP_1) | instskip(NEXT) | instid1(VALU_DEP_1)
	v_dual_mul_f32 v75, 0x3fb8aa3b, v77 :: v_dual_add_f32 v72, v72, v91
	v_exp_f32_e32 v75, v75
	v_cndmask_b32_e64 v93, 0, v73, s16
	s_delay_alu instid0(VALU_DEP_2) | instskip(NEXT) | instid1(VALU_DEP_1)
	v_add_f32_e32 v72, v72, v90
	v_add_f32_e32 v72, v72, v93
	s_waitcnt_depctr 0xfff
	v_cndmask_b32_e64 v92, 0, v75, s17
	s_delay_alu instid0(VALU_DEP_1)
	v_add_f32_e32 v72, v72, v92
	ds_bpermute_b32 v73, v74, v72
	v_cmpx_gt_u32_e32 16, v70
	s_cbranch_execz .LBB1323_12
; %bb.11:
	v_mul_u32_u24_e32 v70, 0x44, v69
	s_waitcnt lgkmcnt(0)
	v_add_f32_e32 v72, v72, v73
	s_delay_alu instid0(VALU_DEP_2) | instskip(NEXT) | instid1(VALU_DEP_1)
	v_lshl_add_u32 v70, v68, 2, v70
	v_add_nc_u32_e32 v70, 0x4000, v70
	ds_store_2addr_b32 v70, v71, v72 offset1:136
.LBB1323_12:
	s_or_b32 exec_lo, exec_lo, s2
	v_lshlrev_b32_e32 v70, 2, v68
	s_load_b32 s34, s[0:1], 0x94
	s_waitcnt lgkmcnt(0)
	s_barrier
	buffer_gl0_inv
	v_add_nc_u32_e32 v98, 0x4000, v70
	v_cmp_eq_u32_e32 vcc_lo, 1, v69
	v_cmp_eq_u32_e64 s2, 2, v69
	v_cmp_eq_u32_e64 s3, 3, v69
	;; [unrolled: 1-line block ×3, first 2 shown]
	ds_load_2addr_b32 v[70:71], v98 offset1:17
	ds_load_2addr_b32 v[72:73], v98 offset0:34 offset1:51
	ds_load_2addr_b32 v[74:75], v98 offset0:68 offset1:85
	;; [unrolled: 1-line block ×3, first 2 shown]
	v_cmp_eq_u32_e64 s5, 5, v69
	v_cmp_eq_u32_e64 s6, 7, v69
	s_waitcnt lgkmcnt(3)
	v_max3_f32 v76, v70, 0xff7fffff, v71
	s_waitcnt lgkmcnt(2)
	s_delay_alu instid0(VALU_DEP_1) | instskip(SKIP_1) | instid1(VALU_DEP_1)
	v_max3_f32 v76, v76, v72, v73
	s_waitcnt lgkmcnt(1)
	v_max3_f32 v76, v76, v74, v75
	s_waitcnt lgkmcnt(0)
	s_delay_alu instid0(VALU_DEP_1) | instskip(NEXT) | instid1(VALU_DEP_1)
	v_max3_f32 v76, v76, v94, v95
	v_sub_f32_e32 v77, v71, v76
	ds_load_2addr_b32 v[96:97], v98 offset0:136 offset1:153
	v_sub_f32_e32 v74, v74, v76
	v_sub_f32_e32 v70, v70, v76
	;; [unrolled: 1-line block ×3, first 2 shown]
	v_dual_sub_f32 v72, v72, v76 :: v_dual_mul_f32 v77, 0x3fb8aa3b, v77
	s_delay_alu instid0(VALU_DEP_4) | instskip(NEXT) | instid1(VALU_DEP_4)
	v_mul_f32_e32 v103, 0x3fb8aa3b, v74
	v_mul_f32_e32 v99, 0x3fb8aa3b, v70
	ds_load_2addr_b32 v[70:71], v98 offset0:170 offset1:187
	v_dual_mul_f32 v101, 0x3fb8aa3b, v72 :: v_dual_mul_f32 v94, 0x3fb8aa3b, v94
	v_exp_f32_e32 v102, v77
	v_exp_f32_e32 v99, v99
	s_delay_alu instid0(VALU_DEP_1) | instskip(NEXT) | instid1(VALU_DEP_1)
	v_exp_f32_e32 v101, v101
	v_exp_f32_e32 v94, v94
	s_waitcnt lgkmcnt(1)
	s_delay_alu instid0(TRANS32_DEP_3)
	v_fma_f32 v77, v99, v96, 0
	v_sub_f32_e32 v100, v73, v76
	ds_load_2addr_b32 v[72:73], v98 offset0:204 offset1:221
	v_fmac_f32_e32 v77, v102, v97
	v_exp_f32_e32 v97, v103
	s_waitcnt lgkmcnt(1)
	s_delay_alu instid0(VALU_DEP_1)
	v_dual_fmac_f32 v77, v101, v70 :: v_dual_sub_f32 v96, v75, v76
	ds_load_2addr_b32 v[74:75], v98 offset0:238 offset1:255
	v_sub_f32_e32 v70, v95, v76
	s_waitcnt lgkmcnt(0)
	s_barrier
	v_mul_f32_e32 v96, 0x3fb8aa3b, v96
	buffer_gl0_inv
	v_exp_f32_e32 v95, v96
	v_mul_f32_e32 v100, 0x3fb8aa3b, v100
	s_delay_alu instid0(VALU_DEP_1) | instskip(SKIP_3) | instid1(VALU_DEP_2)
	v_exp_f32_e32 v100, v100
	s_waitcnt_depctr 0xfff
	v_dual_fmac_f32 v77, v100, v71 :: v_dual_mul_f32 v70, 0x3fb8aa3b, v70
	v_cndmask_b32_e32 v71, v99, v102, vcc_lo
	v_fmac_f32_e32 v77, v97, v72
	s_delay_alu instid0(VALU_DEP_3) | instskip(NEXT) | instid1(VALU_DEP_1)
	v_exp_f32_e32 v96, v70
	v_fmac_f32_e32 v77, v95, v73
	s_delay_alu instid0(VALU_DEP_1) | instskip(SKIP_2) | instid1(VALU_DEP_1)
	v_fmac_f32_e32 v77, v94, v74
	s_waitcnt_depctr 0xfff
	v_fmac_f32_e32 v77, v96, v75
	v_add_f32_e32 v74, 0x358637bd, v77
	s_delay_alu instid0(VALU_DEP_1) | instskip(SKIP_1) | instid1(VALU_DEP_2)
	v_div_scale_f32 v98, null, v74, v74, 1.0
	v_div_scale_f32 v99, vcc_lo, 1.0, v74, 1.0
	v_rcp_f32_e32 v103, v98
	s_waitcnt_depctr 0xfff
	v_fma_f32 v70, -v98, v103, 1.0
	s_delay_alu instid0(VALU_DEP_1) | instskip(SKIP_2) | instid1(VALU_DEP_2)
	v_fmac_f32_e32 v103, v70, v103
	v_cndmask_b32_e64 v70, v71, v101, s2
	v_cmp_eq_u32_e64 s2, 6, v69
	v_cndmask_b32_e64 v71, v70, v100, s3
	s_delay_alu instid0(VALU_DEP_4) | instskip(NEXT) | instid1(VALU_DEP_2)
	v_dual_mul_f32 v101, v99, v103 :: v_dual_lshlrev_b32 v70, 2, v66
	v_cndmask_b32_e64 v71, v71, v97, s4
	s_delay_alu instid0(VALU_DEP_2) | instskip(NEXT) | instid1(VALU_DEP_3)
	v_or_b32_e32 v72, 1, v70
	v_fma_f32 v100, -v98, v101, v99
	v_cmp_eq_u32_e64 s3, 1, v70
	v_cmp_eq_u32_e64 s4, 2, v70
	v_cndmask_b32_e64 v95, v71, v95, s5
	v_or_b32_e32 v71, 3, v70
	v_fmac_f32_e32 v101, v100, v103
	v_cmp_eq_u32_e64 s8, 1, v72
	v_cmp_eq_u32_e64 s11, 2, v72
	v_cndmask_b32_e64 v94, v95, v94, s2
	v_cmp_eq_u32_e64 s10, 1, v71
	v_fma_f32 v97, -v98, v101, v99
	v_cmp_eq_u32_e64 s15, 2, v71
	v_cmp_eq_u32_e64 s12, 3, v72
	v_cndmask_b32_e64 v94, v94, v96, s6
	v_cmp_eq_u32_e64 s17, 3, v71
	v_div_fmas_f32 v95, v97, v103, v101
	v_cmp_eq_u32_e32 vcc_lo, 3, v70
	v_cmp_eq_u32_e64 s2, 4, v70
	v_cmp_eq_u32_e64 s18, 4, v72
	;; [unrolled: 1-line block ×3, first 2 shown]
	v_div_fixup_f32 v95, v95, v74, 1.0
	v_lshlrev_b32_e32 v73, 6, v68
	v_cmp_eq_u32_e64 s5, 5, v70
	v_cmp_eq_u32_e64 s19, 5, v72
	;; [unrolled: 1-line block ×3, first 2 shown]
	v_mul_f32_e32 v102, v94, v95
	v_lshl_or_b32 v75, v69, 11, v73
	v_or_b32_e32 v69, 2, v70
	v_cmp_eq_u32_e64 s24, 6, v72
	v_cmp_eq_u32_e64 s26, 6, v71
	v_fma_mixlo_f16 v94, v102, v79, 0
	v_fma_mixlo_f16 v95, v102, v81, 0
	;; [unrolled: 1-line block ×8, first 2 shown]
	v_lshl_or_b32 v74, v66, 4, v75
	v_fma_mixhi_f16 v94, v102, v78, 0
	v_fma_mixhi_f16 v95, v102, v80, 0
	;; [unrolled: 1-line block ×8, first 2 shown]
	ds_store_b128 v74, v[94:97]
	ds_store_b128 v74, v[98:101] offset:1024
	s_waitcnt lgkmcnt(0)
	s_barrier
	buffer_gl0_inv
	ds_load_b128 v[78:81], v75
	ds_load_b128 v[82:85], v75 offset:16
	ds_load_b128 v[86:89], v75 offset:1024
	;; [unrolled: 1-line block ×3, first 2 shown]
	v_cmp_eq_u32_e64 s9, 1, v69
	v_cmp_eq_u32_e64 s13, 2, v69
	v_cmp_eq_u32_e64 s16, 3, v69
	v_cmp_eq_u32_e64 s20, 4, v69
	v_cmp_eq_u32_e64 s22, 5, v69
	v_cmp_eq_u32_e64 s6, 6, v70
	v_cmp_eq_u32_e64 s25, 6, v69
	v_cmp_eq_u32_e64 s28, 7, v71
	v_cmp_eq_u32_e64 s29, 7, v72
	v_cmp_eq_u32_e64 s7, 7, v70
	v_cmp_eq_u32_e64 s27, 7, v69
	s_waitcnt lgkmcnt(3)
	v_lshrrev_b32_e32 v94, 16, v78
	s_waitcnt lgkmcnt(2)
	v_lshrrev_b32_e32 v98, 16, v82
	;; [unrolled: 2-line block ×4, first 2 shown]
	v_lshrrev_b32_e32 v95, 16, v79
	v_cndmask_b32_e64 v110, v78, v94, s3
	v_cndmask_b32_e64 v111, v82, v98, s3
	;; [unrolled: 1-line block ×8, first 2 shown]
	v_lshrrev_b32_e32 v99, 16, v83
	v_cndmask_b32_e64 v94, v86, v102, s3
	v_cndmask_b32_e64 v98, v90, v106, s3
	;; [unrolled: 1-line block ×15, first 2 shown]
	v_lshrrev_b32_e32 v103, 16, v87
	v_lshrrev_b32_e32 v107, 16, v91
	v_cndmask_b32_e64 v113, v115, v83, s13
	v_cndmask_b32_e64 v82, v94, v87, s4
	;; [unrolled: 1-line block ×7, first 2 shown]
	v_cndmask_b32_e32 v90, v102, v95, vcc_lo
	v_cndmask_b32_e32 v102, v106, v99, vcc_lo
	v_cndmask_b32_e64 v106, v110, v95, s12
	v_cndmask_b32_e64 v110, v111, v99, s12
	;; [unrolled: 1-line block ×4, first 2 shown]
	v_lshrrev_b32_e32 v96, 16, v80
	v_lshrrev_b32_e32 v100, 16, v84
	v_cndmask_b32_e64 v111, v112, v95, s16
	v_cndmask_b32_e64 v112, v113, v99, s16
	v_cndmask_b32_e32 v82, v82, v103, vcc_lo
	v_cndmask_b32_e32 v83, v83, v107, vcc_lo
	v_cndmask_b32_e64 v94, v94, v103, s12
	v_cndmask_b32_e64 v90, v90, v80, s2
	;; [unrolled: 1-line block ×7, first 2 shown]
	v_lshrrev_b32_e32 v104, 16, v88
	v_cndmask_b32_e64 v106, v111, v80, s20
	v_cndmask_b32_e64 v110, v112, v84, s20
	;; [unrolled: 1-line block ×11, first 2 shown]
	v_lshrrev_b32_e32 v97, 16, v81
	v_lshrrev_b32_e32 v101, 16, v85
	v_cndmask_b32_e64 v99, v106, v96, s22
	v_cndmask_b32_e64 v102, v110, v100, s22
	;; [unrolled: 1-line block ×7, first 2 shown]
	v_lshrrev_b32_e32 v105, 16, v89
	v_cndmask_b32_e64 v80, v80, v104, s5
	v_cndmask_b32_e64 v84, v84, v81, s6
	;; [unrolled: 1-line block ×16, first 2 shown]
	v_perm_b32 v81, v79, v78, 0x5040100
	v_perm_b32 v79, v95, v85, 0x5040100
	v_cndmask_b32_e64 v78, v119, v91, s13
	v_cndmask_b32_e64 v85, v117, v91, s11
	;; [unrolled: 1-line block ×3, first 2 shown]
	v_perm_b32 v80, v94, v90, 0x5040100
	v_cndmask_b32_e64 v90, v98, v103, s16
	v_cndmask_b32_e64 v86, v86, v103, s17
	;; [unrolled: 1-line block ×5, first 2 shown]
	v_lshrrev_b32_e32 v108, 16, v92
	v_cndmask_b32_e64 v90, v90, v88, s20
	v_cndmask_b32_e64 v86, v86, v88, s21
	;; [unrolled: 1-line block ×11, first 2 shown]
	v_lshrrev_b32_e32 v109, 16, v93
	v_cndmask_b32_e64 v82, v82, v93, s6
	v_cndmask_b32_e64 v88, v88, v89, s25
	;; [unrolled: 1-line block ×12, first 2 shown]
	v_perm_b32 v78, v84, v83, 0x5040100
	v_perm_b32 v85, v87, v86, 0x5040100
	;; [unrolled: 1-line block ×5, first 2 shown]
	s_mul_i32 s7, s33, 14
	s_mov_b32 s2, exec_lo
	ds_store_b128 v74, v[78:81]
	ds_store_b128 v74, v[82:85] offset:1024
	v_cmpx_gt_u32_e32 14, v0
	s_cbranch_execz .LBB1323_14
; %bb.13:
	s_mul_i32 s3, s7, s30
	s_load_b128 s[8:11], s[0:1], 0x58
	v_add3_u32 v68, s3, s31, v68
	s_delay_alu instid0(VALU_DEP_1) | instskip(NEXT) | instid1(VALU_DEP_1)
	v_mad_u64_u32 v[78:79], null, v68, s34, s[14:15]
	v_ashrrev_i32_e32 v79, 31, v78
	s_delay_alu instid0(VALU_DEP_1) | instskip(SKIP_1) | instid1(VALU_DEP_1)
	v_lshlrev_b64 v[78:79], 2, v[78:79]
	s_waitcnt lgkmcnt(0)
	v_add_co_u32 v80, vcc_lo, s10, v78
	s_delay_alu instid0(VALU_DEP_2)
	v_add_co_ci_u32_e32 v81, vcc_lo, s11, v79, vcc_lo
	v_add_co_u32 v78, vcc_lo, s8, v78
	v_add_co_ci_u32_e32 v79, vcc_lo, s9, v79, vcc_lo
	global_store_b32 v[80:81], v76, off
	global_store_b32 v[78:79], v77, off
.LBB1323_14:
	s_or_b32 exec_lo, exec_lo, s2
	s_waitcnt lgkmcnt(0)
	s_waitcnt_vscnt null, 0x0
	s_barrier
	buffer_gl0_inv
	ds_load_b128 v[84:87], v73
	ds_load_b128 v[88:91], v73 offset:16
	ds_load_b128 v[96:99], v73 offset:2064
	;; [unrolled: 1-line block ×5, first 2 shown]
	v_cmp_eq_u32_e32 vcc_lo, 1, v70
	v_mov_b32_e32 v76, 0
	ds_load_b128 v[112:115], v73 offset:6160
	ds_load_b128 v[108:111], v73 offset:6144
	;; [unrolled: 1-line block ×4, first 2 shown]
	v_cmp_eq_u32_e64 s3, 1, v69
	v_cmp_eq_u32_e64 s2, 1, v72
	;; [unrolled: 1-line block ×3, first 2 shown]
	v_mov_b32_e32 v77, v76
	v_mov_b32_e32 v78, v76
	;; [unrolled: 1-line block ×7, first 2 shown]
	v_cmp_eq_u32_e64 s5, 3, v72
	v_cmp_eq_u32_e64 s6, 7, v72
	s_waitcnt lgkmcnt(8)
	s_delay_alu instid0(VALU_DEP_3)
	v_wmma_f32_16x16x16_f16 v[76:83], v[49:56], v[84:91], v[76:83]
	ds_load_b128 v[53:56], v73 offset:10256
	ds_load_b128 v[49:52], v73 offset:10240
	s_waitcnt lgkmcnt(8)
	v_wmma_f32_16x16x16_f16 v[76:83], v[41:48], v[92:99], v[76:83]
	ds_load_b128 v[45:48], v73 offset:12304
	ds_load_b128 v[41:44], v73 offset:12288
	s_waitcnt lgkmcnt(8)
	;; [unrolled: 4-line block ×3, first 2 shown]
	s_barrier
	buffer_gl0_inv
	v_wmma_f32_16x16x16_f16 v[76:83], v[1:8], v[108:115], v[76:83]
	s_delay_alu instid0(VALU_DEP_1) | instskip(NEXT) | instid1(VALU_DEP_1)
	v_wmma_f32_16x16x16_f16 v[76:83], v[9:16], v[116:123], v[76:83]
	v_wmma_f32_16x16x16_f16 v[76:83], v[17:24], v[49:56], v[76:83]
	s_delay_alu instid0(VALU_DEP_1) | instskip(NEXT) | instid1(VALU_DEP_1)
	v_wmma_f32_16x16x16_f16 v[76:83], v[25:32], v[41:48], v[76:83]
	v_wmma_f32_16x16x16_f16 v[76:83], v[57:64], v[33:40], v[76:83]
	s_delay_alu instid0(VALU_DEP_1) | instskip(NEXT) | instid1(VALU_DEP_2)
	v_cvt_f16_f32_e32 v1, v76
	v_cvt_f16_f32_e32 v2, v77
	s_delay_alu instid0(VALU_DEP_3) | instskip(NEXT) | instid1(VALU_DEP_4)
	v_cvt_f16_f32_e32 v3, v78
	v_cvt_f16_f32_e32 v4, v79
	;; [unrolled: 1-line block ×6, first 2 shown]
	v_pack_b32_f16 v1, v1, v2
	v_pack_b32_f16 v2, v3, v4
	;; [unrolled: 1-line block ×3, first 2 shown]
	s_delay_alu instid0(VALU_DEP_4)
	v_pack_b32_f16 v4, v7, v8
	ds_store_b128 v74, v[1:4]
	s_waitcnt lgkmcnt(0)
	s_barrier
	buffer_gl0_inv
	ds_load_b128 v[1:4], v75
	ds_load_b128 v[5:8], v75 offset:16
	s_waitcnt lgkmcnt(1)
	v_lshrrev_b32_e32 v9, 16, v1
	s_waitcnt lgkmcnt(0)
	v_lshrrev_b32_e32 v13, 16, v5
	v_lshrrev_b32_e32 v10, 16, v2
	v_lshrrev_b32_e32 v14, 16, v6
	v_lshrrev_b32_e32 v11, 16, v3
	v_cndmask_b32_e32 v17, v1, v9, vcc_lo
	v_cndmask_b32_e32 v18, v5, v13, vcc_lo
	v_cndmask_b32_e64 v21, v1, v9, s3
	v_cmp_eq_u32_e32 vcc_lo, 1, v71
	v_cndmask_b32_e64 v22, v5, v13, s3
	v_cmp_eq_u32_e64 s3, 2, v70
	v_cndmask_b32_e64 v19, v1, v9, s2
	v_cndmask_b32_e64 v20, v5, v13, s2
	v_cndmask_b32_e32 v1, v1, v9, vcc_lo
	v_cmp_eq_u32_e64 s2, 2, v71
	v_cndmask_b32_e32 v5, v5, v13, vcc_lo
	v_cndmask_b32_e64 v9, v17, v2, s3
	v_cmp_eq_u32_e32 vcc_lo, 3, v70
	v_cndmask_b32_e64 v13, v18, v6, s3
	v_cmp_eq_u32_e64 s3, 2, v69
	v_cndmask_b32_e64 v17, v19, v2, s4
	v_cndmask_b32_e64 v18, v20, v6, s4
	v_cmp_eq_u32_e64 s4, 3, v69
	v_cndmask_b32_e64 v1, v1, v2, s2
	v_cndmask_b32_e64 v19, v21, v2, s3
	;; [unrolled: 1-line block ×4, first 2 shown]
	v_cndmask_b32_e32 v5, v9, v10, vcc_lo
	v_cndmask_b32_e32 v6, v13, v14, vcc_lo
	v_cmp_eq_u32_e32 vcc_lo, 3, v71
	v_cndmask_b32_e64 v9, v17, v10, s5
	v_cndmask_b32_e64 v13, v18, v14, s5
	;; [unrolled: 1-line block ×3, first 2 shown]
	v_cmp_eq_u32_e64 s3, 4, v70
	v_cndmask_b32_e32 v1, v1, v10, vcc_lo
	v_cndmask_b32_e32 v2, v2, v14, vcc_lo
	v_cmp_eq_u32_e32 vcc_lo, 4, v72
	v_lshrrev_b32_e32 v15, 16, v7
	v_lshrrev_b32_e32 v16, 16, v8
	v_cndmask_b32_e64 v17, v19, v10, s4
	v_cmp_eq_u32_e64 s2, 4, v71
	v_cndmask_b32_e64 v5, v5, v3, s3
	v_cndmask_b32_e64 v6, v6, v7, s3
	v_cndmask_b32_e32 v9, v9, v3, vcc_lo
	v_cmp_eq_u32_e64 s3, 5, v72
	v_cndmask_b32_e32 v10, v13, v7, vcc_lo
	v_cmp_eq_u32_e32 vcc_lo, 4, v69
	v_cmp_eq_u32_e64 s4, 5, v70
	v_cndmask_b32_e64 v2, v2, v7, s2
	v_cndmask_b32_e64 v9, v9, v11, s3
	;; [unrolled: 1-line block ×3, first 2 shown]
	v_cndmask_b32_e32 v13, v17, v3, vcc_lo
	v_cmp_eq_u32_e64 s3, 5, v69
	v_cndmask_b32_e32 v14, v18, v7, vcc_lo
	v_cndmask_b32_e64 v1, v1, v3, s2
	v_cmp_eq_u32_e32 vcc_lo, 5, v71
	v_lshrrev_b32_e32 v12, 16, v4
	v_cndmask_b32_e64 v13, v13, v11, s3
	v_cndmask_b32_e64 v3, v14, v15, s3
	v_cmp_eq_u32_e64 s3, 6, v71
	v_cndmask_b32_e32 v1, v1, v11, vcc_lo
	v_cndmask_b32_e64 v5, v5, v11, s4
	v_cmp_eq_u32_e64 s5, 6, v70
	v_cndmask_b32_e64 v6, v6, v15, s4
	v_cmp_eq_u32_e64 s4, 6, v72
	v_cmp_eq_u32_e64 s2, 6, v69
	v_cndmask_b32_e64 v1, v1, v4, s3
	v_cndmask_b32_e32 v2, v2, v15, vcc_lo
	v_cmp_eq_u32_e32 vcc_lo, 7, v71
	v_cndmask_b32_e64 v5, v5, v4, s5
	v_cndmask_b32_e64 v9, v9, v4, s4
	v_cndmask_b32_e64 v6, v6, v8, s5
	v_cmp_eq_u32_e64 s5, 7, v70
	v_cndmask_b32_e32 v1, v1, v12, vcc_lo
	v_cndmask_b32_e64 v7, v13, v4, s2
	v_cndmask_b32_e64 v3, v3, v8, s2
	;; [unrolled: 1-line block ×3, first 2 shown]
	v_cmp_eq_u32_e64 s2, 7, v69
	v_cndmask_b32_e64 v4, v10, v8, s4
	v_cndmask_b32_e64 v5, v5, v12, s5
	;; [unrolled: 1-line block ×3, first 2 shown]
	v_cndmask_b32_e32 v2, v2, v16, vcc_lo
	v_cndmask_b32_e64 v7, v7, v12, s2
	v_cndmask_b32_e64 v3, v3, v16, s2
	;; [unrolled: 1-line block ×4, first 2 shown]
	v_perm_b32 v4, v2, v1, 0x5040100
	s_mov_b32 s2, exec_lo
	v_perm_b32 v3, v3, v7, 0x5040100
	v_perm_b32 v2, v8, v9, 0x5040100
	v_perm_b32 v1, v6, v5, 0x5040100
	ds_store_b128 v74, v[1:4]
	s_waitcnt lgkmcnt(0)
	s_barrier
	buffer_gl0_inv
	v_cmpx_gt_u32_e32 32, v0
	s_cbranch_execz .LBB1323_2
; %bb.15:
	s_load_b64 s[0:1], s[0:1], 0x68
	v_lshlrev_b32_e32 v0, 10, v0
	s_lshl_b32 s4, s34, 7
	v_or_b32_e32 v3, s31, v66
	s_mul_i32 s2, s4, s30
	v_lshlrev_b32_e32 v1, 4, v67
	v_lshlrev_b32_e32 v2, 6, v66
	v_and_b32_e32 v0, 0x3800, v0
	s_mul_i32 s2, s2, s7
	v_mul_lo_u32 v8, v3, s4
	s_ashr_i32 s3, s2, 31
	s_delay_alu instid0(SALU_CYCLE_1)
	s_lshl_b64 s[2:3], s[2:3], 1
	v_or3_b32 v16, v0, v1, v2
	ds_load_b128 v[0:3], v16
	ds_load_b128 v[4:7], v16 offset:128
	v_ashrrev_i32_e32 v9, 31, v8
	s_waitcnt lgkmcnt(0)
	s_add_u32 s2, s0, s2
	s_addc_u32 s3, s1, s3
	s_lshl_b32 s0, s14, 7
	s_delay_alu instid0(SALU_CYCLE_1) | instskip(SKIP_2) | instid1(SALU_CYCLE_1)
	s_ashr_i32 s1, s0, 31
	v_lshlrev_b64 v[9:10], 1, v[8:9]
	s_lshl_b64 s[0:1], s[0:1], 1
	s_add_u32 s0, s2, s0
	s_addc_u32 s1, s3, s1
	s_lshl_b32 s2, s34, 8
	v_add_co_u32 v30, s0, s0, v65
	v_add_nc_u32_e32 v11, s2, v8
	v_add_co_ci_u32_e64 v31, null, s1, 0, s0
	s_delay_alu instid0(VALU_DEP_3) | instskip(NEXT) | instid1(VALU_DEP_3)
	v_add_co_u32 v9, vcc_lo, v30, v9
	v_add_nc_u32_e32 v8, s2, v11
	s_delay_alu instid0(VALU_DEP_3) | instskip(SKIP_1) | instid1(VALU_DEP_3)
	v_add_co_ci_u32_e32 v10, vcc_lo, v31, v10, vcc_lo
	v_ashrrev_i32_e32 v12, 31, v11
	v_add_nc_u32_e32 v13, s2, v8
	global_store_b128 v[9:10], v[0:3], off
	v_ashrrev_i32_e32 v9, 31, v8
	v_lshlrev_b64 v[11:12], 1, v[11:12]
	v_ashrrev_i32_e32 v14, 31, v13
	v_add_nc_u32_e32 v10, s2, v13
	s_delay_alu instid0(VALU_DEP_4) | instskip(NEXT) | instid1(VALU_DEP_4)
	v_lshlrev_b64 v[2:3], 1, v[8:9]
	v_add_co_u32 v0, vcc_lo, v30, v11
	s_delay_alu instid0(VALU_DEP_4)
	v_lshlrev_b64 v[8:9], 1, v[13:14]
	v_add_co_ci_u32_e32 v1, vcc_lo, v31, v12, vcc_lo
	v_ashrrev_i32_e32 v11, 31, v10
	v_add_co_u32 v22, vcc_lo, v30, v2
	v_add_nc_u32_e32 v20, s2, v10
	v_add_co_ci_u32_e32 v23, vcc_lo, v31, v3, vcc_lo
	v_add_co_u32 v24, vcc_lo, v30, v8
	global_store_b128 v[0:1], v[4:7], off
	v_add_co_ci_u32_e32 v25, vcc_lo, v31, v9, vcc_lo
	ds_load_b128 v[0:3], v16 offset:256
	ds_load_b128 v[4:7], v16 offset:384
	v_lshlrev_b64 v[26:27], 1, v[10:11]
	ds_load_b128 v[8:11], v16 offset:512
	ds_load_b128 v[12:15], v16 offset:640
	;; [unrolled: 1-line block ×3, first 2 shown]
	v_add_nc_u32_e32 v28, s2, v20
	v_ashrrev_i32_e32 v21, 31, v20
	v_add_co_u32 v26, vcc_lo, v30, v26
	s_delay_alu instid0(VALU_DEP_3) | instskip(NEXT) | instid1(VALU_DEP_3)
	v_ashrrev_i32_e32 v29, 31, v28
	v_lshlrev_b64 v[20:21], 1, v[20:21]
	v_add_co_ci_u32_e32 v27, vcc_lo, v31, v27, vcc_lo
	s_delay_alu instid0(VALU_DEP_3) | instskip(NEXT) | instid1(VALU_DEP_3)
	v_lshlrev_b64 v[28:29], 1, v[28:29]
	v_add_co_u32 v20, vcc_lo, v30, v20
	s_delay_alu instid0(VALU_DEP_4) | instskip(NEXT) | instid1(VALU_DEP_3)
	v_add_co_ci_u32_e32 v21, vcc_lo, v31, v21, vcc_lo
	v_add_co_u32 v28, vcc_lo, v30, v28
	s_delay_alu instid0(VALU_DEP_4)
	v_add_co_ci_u32_e32 v29, vcc_lo, v31, v29, vcc_lo
	s_waitcnt lgkmcnt(4)
	global_store_b128 v[22:23], v[0:3], off
	s_waitcnt lgkmcnt(3)
	global_store_b128 v[24:25], v[4:7], off
	;; [unrolled: 2-line block ×5, first 2 shown]
	s_nop 0
	s_sendmsg sendmsg(MSG_DEALLOC_VGPRS)
	s_endpgm
	.section	.rodata,"a",@progbits
	.p2align	6, 0x0
	.amdhsa_kernel _Z39paged_attention_ll4mi_QKV_mfma16_kernelIDF16_hLN4vllm18Fp8KVCacheDataTypeE1EDF16_Li32ELi128ELi256ELb1ELi14EL8MFMAType0EEvPKT_PKT0_S8_ifPKiSA_SA_iPKfiiiPfSD_PS3_PT2_iSC_SC_
		.amdhsa_group_segment_fixed_size 17472
		.amdhsa_private_segment_fixed_size 0
		.amdhsa_kernarg_size 400
		.amdhsa_user_sgpr_count 13
		.amdhsa_user_sgpr_dispatch_ptr 0
		.amdhsa_user_sgpr_queue_ptr 0
		.amdhsa_user_sgpr_kernarg_segment_ptr 1
		.amdhsa_user_sgpr_dispatch_id 0
		.amdhsa_user_sgpr_private_segment_size 0
		.amdhsa_wavefront_size32 1
		.amdhsa_uses_dynamic_stack 0
		.amdhsa_enable_private_segment 0
		.amdhsa_system_sgpr_workgroup_id_x 1
		.amdhsa_system_sgpr_workgroup_id_y 1
		.amdhsa_system_sgpr_workgroup_id_z 1
		.amdhsa_system_sgpr_workgroup_info 0
		.amdhsa_system_vgpr_workitem_id 0
		.amdhsa_next_free_vgpr 150
		.amdhsa_next_free_sgpr 37
		.amdhsa_reserve_vcc 1
		.amdhsa_float_round_mode_32 0
		.amdhsa_float_round_mode_16_64 0
		.amdhsa_float_denorm_mode_32 3
		.amdhsa_float_denorm_mode_16_64 3
		.amdhsa_dx10_clamp 1
		.amdhsa_ieee_mode 1
		.amdhsa_fp16_overflow 0
		.amdhsa_workgroup_processor_mode 1
		.amdhsa_memory_ordered 1
		.amdhsa_forward_progress 0
		.amdhsa_shared_vgpr_count 0
		.amdhsa_exception_fp_ieee_invalid_op 0
		.amdhsa_exception_fp_denorm_src 0
		.amdhsa_exception_fp_ieee_div_zero 0
		.amdhsa_exception_fp_ieee_overflow 0
		.amdhsa_exception_fp_ieee_underflow 0
		.amdhsa_exception_fp_ieee_inexact 0
		.amdhsa_exception_int_div_zero 0
	.end_amdhsa_kernel
	.section	.text._Z39paged_attention_ll4mi_QKV_mfma16_kernelIDF16_hLN4vllm18Fp8KVCacheDataTypeE1EDF16_Li32ELi128ELi256ELb1ELi14EL8MFMAType0EEvPKT_PKT0_S8_ifPKiSA_SA_iPKfiiiPfSD_PS3_PT2_iSC_SC_,"axG",@progbits,_Z39paged_attention_ll4mi_QKV_mfma16_kernelIDF16_hLN4vllm18Fp8KVCacheDataTypeE1EDF16_Li32ELi128ELi256ELb1ELi14EL8MFMAType0EEvPKT_PKT0_S8_ifPKiSA_SA_iPKfiiiPfSD_PS3_PT2_iSC_SC_,comdat
.Lfunc_end1323:
	.size	_Z39paged_attention_ll4mi_QKV_mfma16_kernelIDF16_hLN4vllm18Fp8KVCacheDataTypeE1EDF16_Li32ELi128ELi256ELb1ELi14EL8MFMAType0EEvPKT_PKT0_S8_ifPKiSA_SA_iPKfiiiPfSD_PS3_PT2_iSC_SC_, .Lfunc_end1323-_Z39paged_attention_ll4mi_QKV_mfma16_kernelIDF16_hLN4vllm18Fp8KVCacheDataTypeE1EDF16_Li32ELi128ELi256ELb1ELi14EL8MFMAType0EEvPKT_PKT0_S8_ifPKiSA_SA_iPKfiiiPfSD_PS3_PT2_iSC_SC_
                                        ; -- End function
	.section	.AMDGPU.csdata,"",@progbits
; Kernel info:
; codeLenInByte = 6808
; NumSgprs: 39
; NumVgprs: 150
; ScratchSize: 0
; MemoryBound: 0
; FloatMode: 240
; IeeeMode: 1
; LDSByteSize: 17472 bytes/workgroup (compile time only)
; SGPRBlocks: 4
; VGPRBlocks: 18
; NumSGPRsForWavesPerEU: 39
; NumVGPRsForWavesPerEU: 150
; Occupancy: 9
; WaveLimiterHint : 1
; COMPUTE_PGM_RSRC2:SCRATCH_EN: 0
; COMPUTE_PGM_RSRC2:USER_SGPR: 13
; COMPUTE_PGM_RSRC2:TRAP_HANDLER: 0
; COMPUTE_PGM_RSRC2:TGID_X_EN: 1
; COMPUTE_PGM_RSRC2:TGID_Y_EN: 1
; COMPUTE_PGM_RSRC2:TGID_Z_EN: 1
; COMPUTE_PGM_RSRC2:TIDIG_COMP_CNT: 0
	.section	.text._Z39paged_attention_ll4mi_QKV_mfma16_kernelIDF16_hLN4vllm18Fp8KVCacheDataTypeE1EDF16_Li32ELi128ELi256ELb1ELi15EL8MFMAType0EEvPKT_PKT0_S8_ifPKiSA_SA_iPKfiiiPfSD_PS3_PT2_iSC_SC_,"axG",@progbits,_Z39paged_attention_ll4mi_QKV_mfma16_kernelIDF16_hLN4vllm18Fp8KVCacheDataTypeE1EDF16_Li32ELi128ELi256ELb1ELi15EL8MFMAType0EEvPKT_PKT0_S8_ifPKiSA_SA_iPKfiiiPfSD_PS3_PT2_iSC_SC_,comdat
	.protected	_Z39paged_attention_ll4mi_QKV_mfma16_kernelIDF16_hLN4vllm18Fp8KVCacheDataTypeE1EDF16_Li32ELi128ELi256ELb1ELi15EL8MFMAType0EEvPKT_PKT0_S8_ifPKiSA_SA_iPKfiiiPfSD_PS3_PT2_iSC_SC_ ; -- Begin function _Z39paged_attention_ll4mi_QKV_mfma16_kernelIDF16_hLN4vllm18Fp8KVCacheDataTypeE1EDF16_Li32ELi128ELi256ELb1ELi15EL8MFMAType0EEvPKT_PKT0_S8_ifPKiSA_SA_iPKfiiiPfSD_PS3_PT2_iSC_SC_
	.globl	_Z39paged_attention_ll4mi_QKV_mfma16_kernelIDF16_hLN4vllm18Fp8KVCacheDataTypeE1EDF16_Li32ELi128ELi256ELb1ELi15EL8MFMAType0EEvPKT_PKT0_S8_ifPKiSA_SA_iPKfiiiPfSD_PS3_PT2_iSC_SC_
	.p2align	8
	.type	_Z39paged_attention_ll4mi_QKV_mfma16_kernelIDF16_hLN4vllm18Fp8KVCacheDataTypeE1EDF16_Li32ELi128ELi256ELb1ELi15EL8MFMAType0EEvPKT_PKT0_S8_ifPKiSA_SA_iPKfiiiPfSD_PS3_PT2_iSC_SC_,@function
_Z39paged_attention_ll4mi_QKV_mfma16_kernelIDF16_hLN4vllm18Fp8KVCacheDataTypeE1EDF16_Li32ELi128ELi256ELb1ELi15EL8MFMAType0EEvPKT_PKT0_S8_ifPKiSA_SA_iPKfiiiPfSD_PS3_PT2_iSC_SC_: ; @_Z39paged_attention_ll4mi_QKV_mfma16_kernelIDF16_hLN4vllm18Fp8KVCacheDataTypeE1EDF16_Li32ELi128ELi256ELb1ELi15EL8MFMAType0EEvPKT_PKT0_S8_ifPKiSA_SA_iPKfiiiPfSD_PS3_PT2_iSC_SC_
; %bb.0:
	s_load_b64 s[4:5], s[0:1], 0x30
	s_mov_b32 s34, s13
	s_waitcnt lgkmcnt(0)
	s_cmp_lg_u64 s[4:5], 0
	s_cselect_b32 s8, -1, 0
	s_ashr_i32 s35, s13, 31
	s_cmp_eq_u64 s[4:5], 0
	s_cbranch_scc1 .LBB1324_3
; %bb.1:
	s_lshl_b64 s[2:3], s[34:35], 2
	s_delay_alu instid0(SALU_CYCLE_1) | instskip(SKIP_4) | instid1(SALU_CYCLE_1)
	s_add_u32 s2, s4, s2
	s_addc_u32 s3, s5, s3
	s_load_b64 s[2:3], s[2:3], 0x0
	s_waitcnt lgkmcnt(0)
	s_sub_i32 s2, s3, s2
	s_cmp_eq_u32 s2, 1
	s_cselect_b32 s2, -1, 0
	s_delay_alu instid0(SALU_CYCLE_1)
	s_and_not1_b32 vcc_lo, exec_lo, s2
	s_cbranch_vccz .LBB1324_4
.LBB1324_2:
	s_nop 0
	s_sendmsg sendmsg(MSG_DEALLOC_VGPRS)
	s_endpgm
.LBB1324_3:
.LBB1324_4:
	s_load_b64 s[2:3], s[0:1], 0x28
	s_lshl_b64 s[6:7], s[34:35], 2
	s_waitcnt lgkmcnt(0)
	s_add_u32 s2, s2, s6
	s_addc_u32 s3, s3, s7
	s_lshl_b32 s12, s14, 8
	s_load_b32 s24, s[2:3], 0x0
	s_waitcnt lgkmcnt(0)
	s_cmp_ge_i32 s12, s24
	s_cbranch_scc1 .LBB1324_2
; %bb.5:
	s_clause 0x1
	s_load_b128 s[20:23], s[0:1], 0x8
	s_load_b64 s[2:3], s[0:1], 0x20
	s_and_not1_b32 vcc_lo, exec_lo, s8
	s_cbranch_vccnz .LBB1324_7
; %bb.6:
	s_add_u32 s4, s4, s6
	s_addc_u32 s5, s5, s7
	s_load_b32 s5, s[4:5], 0x0
	s_branch .LBB1324_8
.LBB1324_7:
	s_mov_b32 s5, s34
.LBB1324_8:
	s_load_b128 s[16:19], s[0:1], 0x48
	v_and_b32_e32 v68, 15, v0
	v_lshrrev_b32_e32 v69, 5, v0
	v_bfe_u32 v66, v0, 4, 1
	v_and_b32_e32 v70, 31, v0
	v_and_b32_e32 v67, 1, v0
	v_lshlrev_b32_e32 v2, 3, v68
	s_mul_i32 s31, s15, 15
	v_lshl_or_b32 v1, v69, 1, v66
	s_mov_b32 s4, exec_lo
	s_delay_alu instid0(VALU_DEP_2) | instskip(NEXT) | instid1(VALU_DEP_2)
	v_lshlrev_b32_e32 v65, 1, v2
	v_cmpx_gt_u32_e32 15, v1
	s_cbranch_execz .LBB1324_10
; %bb.9:
	s_load_b64 s[6:7], s[0:1], 0x0
	v_add_lshl_u32 v2, v1, s31, 7
	s_waitcnt lgkmcnt(0)
	s_mul_hi_i32 s9, s5, s16
	s_mul_i32 s8, s5, s16
	v_lshlrev_b32_e32 v6, 10, v68
	s_lshl_b64 s[8:9], s[8:9], 1
	v_ashrrev_i32_e32 v3, 31, v2
	v_lshlrev_b32_e32 v1, 6, v1
	v_lshlrev_b32_e32 v7, 10, v67
	v_and_b32_e32 v6, 0x3800, v6
	s_delay_alu instid0(VALU_DEP_4) | instskip(NEXT) | instid1(VALU_DEP_2)
	v_lshlrev_b64 v[2:3], 1, v[2:3]
	v_or3_b32 v1, v6, v7, v1
	s_add_u32 s5, s6, s8
	s_addc_u32 s6, s7, s9
	s_delay_alu instid0(VALU_DEP_2) | instskip(NEXT) | instid1(VALU_DEP_3)
	v_add_co_u32 v2, vcc_lo, s5, v2
	v_add_co_ci_u32_e32 v3, vcc_lo, s6, v3, vcc_lo
	s_delay_alu instid0(VALU_DEP_2) | instskip(NEXT) | instid1(VALU_DEP_2)
	v_add_co_u32 v2, vcc_lo, v2, v65
	v_add_co_ci_u32_e32 v3, vcc_lo, 0, v3, vcc_lo
	global_load_b128 v[2:5], v[2:3], off
	s_waitcnt vmcnt(0)
	ds_store_b128 v1, v[2:5]
.LBB1324_10:
	s_or_b32 exec_lo, exec_lo, s4
	v_and_b32_e32 v1, 0xef, v0
	s_waitcnt lgkmcnt(0)
	s_add_i32 s5, s24, 31
	s_clause 0x1
	s_load_b32 s4, s[0:1], 0x38
	s_load_b32 s33, s[0:1], 0x98
	s_ashr_i32 s6, s5, 31
	v_add_nc_u32_e32 v1, s12, v1
	s_lshr_b32 s6, s6, 27
	s_load_b32 s19, s[0:1], 0x1c
	s_add_i32 s5, s5, s6
	s_waitcnt lgkmcnt(0)
	v_ashrrev_i32_e32 v2, 31, v1
	v_or_b32_e32 v3, 16, v1
	s_ashr_i32 s13, s5, 5
	v_cmp_gt_i32_e32 vcc_lo, s24, v1
	s_add_i32 s13, s13, -1
	v_lshrrev_b32_e32 v2, 27, v2
	s_barrier
	buffer_gl0_inv
	s_mul_i32 s15, s15, s18
	v_add_nc_u32_e32 v4, v1, v2
	s_mul_i32 s4, s34, s4
	s_delay_alu instid0(SALU_CYCLE_1) | instskip(NEXT) | instid1(VALU_DEP_1)
	s_ashr_i32 s5, s4, 31
	v_ashrrev_i32_e32 v4, 5, v4
	v_add_nc_u32_e32 v2, v3, v2
	s_lshl_b64 s[4:5], s[4:5], 2
	s_delay_alu instid0(SALU_CYCLE_1) | instskip(NEXT) | instid1(VALU_DEP_2)
	s_add_u32 s16, s2, s4
	v_cndmask_b32_e32 v1, s13, v4, vcc_lo
	s_delay_alu instid0(VALU_DEP_2)
	v_ashrrev_i32_e32 v2, 5, v2
	v_cmp_gt_i32_e32 vcc_lo, s24, v3
	s_addc_u32 s25, s3, s5
	s_ashr_i32 s18, s15, 31
	s_add_u32 s2, s20, s15
	s_addc_u32 s3, s21, s18
	v_cndmask_b32_e32 v3, s13, v2, vcc_lo
	v_ashrrev_i32_e32 v2, 31, v1
	s_lshl_b32 s4, s14, 3
	s_delay_alu instid0(SALU_CYCLE_1) | instskip(NEXT) | instid1(VALU_DEP_2)
	s_ashr_i32 s5, s4, 31
	v_ashrrev_i32_e32 v4, 31, v3
	s_delay_alu instid0(VALU_DEP_2) | instskip(SKIP_1) | instid1(SALU_CYCLE_1)
	v_lshlrev_b64 v[1:2], 2, v[1:2]
	s_lshl_b64 s[4:5], s[4:5], 2
	s_add_u32 s4, s16, s4
	s_delay_alu instid0(VALU_DEP_2) | instskip(SKIP_1) | instid1(VALU_DEP_2)
	v_lshlrev_b64 v[3:4], 2, v[3:4]
	s_addc_u32 s5, s25, s5
	v_add_co_u32 v1, vcc_lo, s16, v1
	v_add_co_ci_u32_e32 v2, vcc_lo, s25, v2, vcc_lo
	s_delay_alu instid0(VALU_DEP_3) | instskip(NEXT) | instid1(VALU_DEP_4)
	v_add_co_u32 v3, vcc_lo, s16, v3
	v_add_co_ci_u32_e32 v4, vcc_lo, s25, v4, vcc_lo
	s_clause 0x1
	global_load_b32 v5, v[1:2], off
	global_load_b32 v6, v[3:4], off
	s_or_b32 s6, s12, 32
	s_delay_alu instid0(SALU_CYCLE_1) | instskip(SKIP_2) | instid1(SALU_CYCLE_1)
	s_ashr_i32 s7, s6, 5
	s_cmp_lt_i32 s6, s24
	s_cselect_b32 s6, s7, s13
	s_ashr_i32 s7, s6, 31
	s_delay_alu instid0(SALU_CYCLE_1) | instskip(NEXT) | instid1(SALU_CYCLE_1)
	s_lshl_b64 s[6:7], s[6:7], 2
	s_add_u32 s6, s16, s6
	s_addc_u32 s7, s25, s7
	s_or_b32 s8, s12, 64
	s_delay_alu instid0(SALU_CYCLE_1) | instskip(SKIP_2) | instid1(SALU_CYCLE_1)
	s_ashr_i32 s9, s8, 5
	s_cmp_lt_i32 s8, s24
	s_cselect_b32 s8, s9, s13
	s_ashr_i32 s9, s8, 31
	s_delay_alu instid0(SALU_CYCLE_1) | instskip(NEXT) | instid1(SALU_CYCLE_1)
	s_lshl_b64 s[8:9], s[8:9], 2
	s_add_u32 s8, s16, s8
	s_addc_u32 s9, s25, s9
	;; [unrolled: 10-line block ×5, first 2 shown]
	s_clause 0x5
	s_load_b32 s28, s[4:5], 0x0
	s_load_b32 s29, s[6:7], 0x0
	;; [unrolled: 1-line block ×6, first 2 shown]
	s_mov_b32 s4, 0
	s_delay_alu instid0(SALU_CYCLE_1)
	s_mov_b32 s5, s4
	s_mov_b32 s6, s4
	;; [unrolled: 1-line block ×7, first 2 shown]
	s_delay_alu instid0(SALU_CYCLE_1)
	v_dual_mov_b32 v118, s11 :: v_dual_mov_b32 v117, s10
	v_dual_mov_b32 v116, s9 :: v_dual_mov_b32 v115, s8
	v_mov_b32_e32 v113, s6
	v_dual_mov_b32 v111, s4 :: v_dual_mov_b32 v114, s7
	v_mov_b32_e32 v112, s5
	s_waitcnt vmcnt(1)
	v_mad_i64_i32 v[1:2], null, v5, s17, s[2:3]
	v_lshlrev_b32_e32 v5, 4, v68
	s_waitcnt vmcnt(0)
	v_mad_i64_i32 v[3:4], null, v6, s17, s[2:3]
	s_or_b32 s2, s12, 0xc0
	s_delay_alu instid0(SALU_CYCLE_1) | instskip(NEXT) | instid1(VALU_DEP_3)
	s_ashr_i32 s3, s2, 5
	v_add_co_u32 v1, vcc_lo, v1, v5
	s_delay_alu instid0(VALU_DEP_4) | instskip(NEXT) | instid1(VALU_DEP_3)
	v_add_co_ci_u32_e32 v2, vcc_lo, 0, v2, vcc_lo
	v_add_co_u32 v3, vcc_lo, v3, v5
	s_delay_alu instid0(VALU_DEP_4)
	v_add_co_ci_u32_e32 v4, vcc_lo, 0, v4, vcc_lo
	s_clause 0xf
	global_load_b128 v[17:20], v[1:2], off
	global_load_b128 v[21:24], v[1:2], off offset:512
	global_load_b128 v[25:28], v[3:4], off offset:256
	;; [unrolled: 1-line block ×15, first 2 shown]
	s_cmp_lt_i32 s2, s24
	v_cmp_ne_u32_e32 vcc_lo, 15, v68
	s_cselect_b32 s2, s3, s13
	v_lshlrev_b32_e32 v2, 5, v68
	s_ashr_i32 s3, s2, 31
	s_delay_alu instid0(SALU_CYCLE_1) | instskip(SKIP_4) | instid1(SALU_CYCLE_1)
	s_lshl_b64 s[2:3], s[2:3], 2
	v_cndmask_b32_e32 v1, 0, v68, vcc_lo
	s_add_u32 s2, s16, s2
	s_addc_u32 s3, s25, s3
	s_or_b32 s20, s12, 0xe0
	s_ashr_i32 s21, s20, 5
	s_cmp_lt_i32 s20, s24
	v_lshlrev_b32_e32 v149, 6, v1
	s_cselect_b32 s20, s21, s13
	v_lshl_or_b32 v1, v69, 9, v2
	s_ashr_i32 s21, s20, 31
	ds_load_b128 v[119:122], v149
	ds_load_b128 v[123:126], v149 offset:1024
	s_lshl_b64 s[4:5], s[20:21], 2
	ds_load_b128 v[127:130], v149 offset:2048
	ds_load_b128 v[131:134], v149 offset:3072
	s_add_u32 s4, s16, s4
	s_addc_u32 s5, s25, s5
	s_clause 0x1
	s_load_b32 s2, s[2:3], 0x0
	s_load_b32 s3, s[4:5], 0x0
	s_add_u32 s6, s22, s15
	s_addc_u32 s7, s23, s18
	v_add_co_u32 v135, s6, s6, v1
	s_delay_alu instid0(VALU_DEP_1) | instskip(SKIP_1) | instid1(VALU_DEP_1)
	v_add_co_ci_u32_e64 v136, null, s7, 0, s6
	s_waitcnt lgkmcnt(0)
	v_mad_i64_i32 v[1:2], null, s28, s17, v[135:136]
	v_mad_i64_i32 v[3:4], null, s29, s17, v[135:136]
	;; [unrolled: 1-line block ×6, first 2 shown]
	s_clause 0x9
	global_load_b128 v[49:52], v[1:2], off
	global_load_b128 v[53:56], v[1:2], off offset:16
	global_load_b128 v[41:44], v[3:4], off
	global_load_b128 v[45:48], v[3:4], off offset:16
	;; [unrolled: 2-line block ×5, first 2 shown]
	v_mad_i64_i32 v[145:146], null, s2, s17, v[135:136]
	v_mad_i64_i32 v[147:148], null, s3, s17, v[135:136]
	s_waitcnt vmcnt(24)
	v_wmma_f32_16x16x16_f16 v[135:142], v[17:24], v[119:126], v[111:118]
	s_waitcnt vmcnt(22)
	v_wmma_f32_16x16x16_f16 v[111:118], v[25:32], v[119:126], v[111:118]
	s_clause 0x3
	global_load_b128 v[17:20], v[143:144], off
	global_load_b128 v[21:24], v[143:144], off offset:16
	global_load_b128 v[25:28], v[145:146], off
	global_load_b128 v[29:32], v[145:146], off offset:16
	v_and_b32_e32 v119, 0xe0, v0
	s_waitcnt vmcnt(24)
	v_wmma_f32_16x16x16_f16 v[135:142], v[57:64], v[127:134], v[135:142]
	s_clause 0x1
	global_load_b128 v[57:60], v[147:148], off
	global_load_b128 v[61:64], v[147:148], off offset:16
	s_waitcnt vmcnt(24)
	v_wmma_f32_16x16x16_f16 v[111:118], v[71:78], v[127:134], v[111:118]
	ds_load_b128 v[71:74], v149 offset:4096
	ds_load_b128 v[75:78], v149 offset:5120
	v_add_nc_u32_e32 v128, s12, v119
	ds_load_b128 v[119:122], v149 offset:6144
	ds_load_b128 v[123:126], v149 offset:7168
	v_mbcnt_lo_u32_b32 v127, -1, 0
	s_waitcnt vmcnt(0) lgkmcnt(0)
	s_barrier
	v_or_b32_e32 v128, v128, v66
	buffer_gl0_inv
	v_xor_b32_e32 v129, 16, v127
	v_or_b32_e32 v130, 4, v128
	v_or_b32_e32 v131, 6, v128
	s_delay_alu instid0(VALU_DEP_3) | instskip(SKIP_4) | instid1(VALU_DEP_4)
	v_cmp_gt_i32_e32 vcc_lo, 32, v129
	v_or_b32_e32 v132, 8, v128
	v_or_b32_e32 v133, 10, v128
	v_cmp_gt_i32_e64 s3, s24, v130
	v_cmp_gt_i32_e64 s4, s24, v131
	;; [unrolled: 1-line block ×3, first 2 shown]
	v_wmma_f32_16x16x16_f16 v[135:142], v[79:86], v[71:78], v[135:142]
	v_wmma_f32_16x16x16_f16 v[111:118], v[87:94], v[71:78], v[111:118]
	v_or_b32_e32 v79, 12, v128
	v_or_b32_e32 v80, 14, v128
	v_cmp_gt_i32_e64 s6, s24, v133
	v_wmma_f32_16x16x16_f16 v[135:142], v[95:102], v[119:126], v[135:142]
	v_cndmask_b32_e32 v127, v127, v129, vcc_lo
	v_or_b32_e32 v129, 2, v128
	v_wmma_f32_16x16x16_f16 v[111:118], v[103:110], v[119:126], v[111:118]
	v_cmp_gt_i32_e32 vcc_lo, s24, v128
	v_dual_mul_f32 v88, s19, v135 :: v_dual_mul_f32 v87, s19, v136
	s_delay_alu instid0(VALU_DEP_4) | instskip(NEXT) | instid1(VALU_DEP_4)
	v_cmp_gt_i32_e64 s2, s24, v129
	v_mul_f32_e32 v94, s19, v113
	v_mul_f32_e32 v78, s19, v138
	;; [unrolled: 1-line block ×3, first 2 shown]
	v_cndmask_b32_e32 v88, 0xff7fffff, v88, vcc_lo
	v_cndmask_b32_e64 v87, 0xff7fffff, v87, s2
	v_dual_mul_f32 v76, s19, v140 :: v_dual_mul_f32 v77, s19, v139
	v_mul_f32_e32 v90, s19, v117
	v_cndmask_b32_e64 v86, 0xff7fffff, v86, s3
	v_cndmask_b32_e64 v78, 0xff7fffff, v78, s4
	v_max3_f32 v87, v88, 0xff7fffff, v87
	v_or_b32_e32 v81, 16, v128
	v_or_b32_e32 v82, 18, v128
	v_dual_mul_f32 v74, s19, v142 :: v_dual_mul_f32 v75, s19, v141
	v_mul_f32_e32 v92, s19, v115
	v_cndmask_b32_e64 v77, 0xff7fffff, v77, s5
	v_cndmask_b32_e64 v76, 0xff7fffff, v76, s6
	v_max3_f32 v78, v87, v86, v78
	v_cmp_gt_i32_e64 s7, s24, v79
	v_cmp_gt_i32_e64 s8, s24, v80
	v_or_b32_e32 v83, 20, v128
	v_or_b32_e32 v84, 22, v128
	v_dual_mul_f32 v89, s19, v118 :: v_dual_mul_f32 v96, s19, v111
	v_mul_f32_e32 v95, s19, v112
	v_cndmask_b32_e64 v75, 0xff7fffff, v75, s7
	v_cndmask_b32_e64 v74, 0xff7fffff, v74, s8
	v_max3_f32 v76, v78, v77, v76
	v_cmp_gt_i32_e64 s9, s24, v81
	v_cmp_gt_i32_e64 s10, s24, v82
	v_or_b32_e32 v85, 24, v128
	v_or_b32_e32 v71, 26, v128
	v_mul_f32_e32 v93, s19, v114
	v_cndmask_b32_e64 v77, 0xff7fffff, v96, s9
	v_cndmask_b32_e64 v78, 0xff7fffff, v95, s10
	v_max3_f32 v74, v76, v75, v74
	v_cmp_gt_i32_e64 s11, s24, v83
	v_cmp_gt_i32_e64 s12, s24, v84
	v_or_b32_e32 v72, 28, v128
	v_or_b32_e32 v73, 30, v128
	v_mul_f32_e32 v91, s19, v116
	v_cndmask_b32_e64 v75, 0xff7fffff, v94, s11
	v_cndmask_b32_e64 v76, 0xff7fffff, v93, s12
	v_max3_f32 v74, v74, v77, v78
	v_cmp_gt_i32_e64 s13, s24, v85
	v_cmp_gt_i32_e64 s15, s24, v71
	;; [unrolled: 1-line block ×4, first 2 shown]
	v_max3_f32 v74, v74, v75, v76
	v_cndmask_b32_e64 v77, 0xff7fffff, v92, s13
	v_cndmask_b32_e64 v71, 0xff7fffff, v91, s15
	;; [unrolled: 1-line block ×4, first 2 shown]
	s_delay_alu instid0(VALU_DEP_3) | instskip(SKIP_1) | instid1(VALU_DEP_2)
	v_max3_f32 v71, v74, v77, v71
	v_lshlrev_b32_e32 v74, 2, v127
	v_max3_f32 v71, v71, v72, v73
	ds_bpermute_b32 v72, v74, v71
	s_waitcnt lgkmcnt(0)
	v_max_f32_e32 v72, v72, v72
	s_delay_alu instid0(VALU_DEP_1) | instskip(NEXT) | instid1(VALU_DEP_1)
	v_max_f32_e32 v71, v71, v72
	v_fma_f32 v75, s19, v137, -v71
	v_fma_f32 v76, s19, v138, -v71
	;; [unrolled: 1-line block ×5, first 2 shown]
	s_delay_alu instid0(VALU_DEP_4) | instskip(NEXT) | instid1(VALU_DEP_4)
	v_dual_mul_f32 v75, 0x3fb8aa3b, v75 :: v_dual_mul_f32 v76, 0x3fb8aa3b, v76
	v_mul_f32_e32 v72, 0x3fb8aa3b, v72
	v_fma_f32 v77, s19, v139, -v71
	s_delay_alu instid0(VALU_DEP_4) | instskip(NEXT) | instid1(VALU_DEP_4)
	v_mul_f32_e32 v73, 0x3fb8aa3b, v73
	v_exp_f32_e32 v75, v75
	v_exp_f32_e32 v76, v76
	;; [unrolled: 1-line block ×3, first 2 shown]
	s_delay_alu instid0(VALU_DEP_1) | instskip(SKIP_2) | instid1(TRANS32_DEP_3)
	v_exp_f32_e32 v73, v73
	v_cndmask_b32_e64 v81, 0, v75, s3
	v_mul_f32_e32 v82, 0x3fb8aa3b, v80
	v_cndmask_b32_e64 v80, 0, v76, s4
	s_waitcnt_depctr 0xfff
	v_cndmask_b32_e64 v78, 0, v73, s2
	v_cmp_gt_u32_e64 s2, 16, v70
	v_exp_f32_e32 v84, v82
	s_waitcnt_depctr 0xfff
	v_cndmask_b32_e64 v85, 0, v84, s7
	v_cndmask_b32_e32 v79, 0, v72, vcc_lo
	v_fma_f32 v72, s19, v140, -v71
	v_mul_f32_e32 v77, 0x3fb8aa3b, v77
	s_delay_alu instid0(VALU_DEP_2) | instskip(NEXT) | instid1(VALU_DEP_2)
	v_dual_add_f32 v73, 0, v79 :: v_dual_mul_f32 v72, 0x3fb8aa3b, v72
	v_exp_f32_e32 v77, v77
	s_delay_alu instid0(VALU_DEP_1) | instskip(NEXT) | instid1(VALU_DEP_2)
	v_add_f32_e32 v73, v73, v78
	v_exp_f32_e32 v72, v72
	s_delay_alu instid0(VALU_DEP_1) | instskip(SKIP_4) | instid1(VALU_DEP_2)
	v_add_f32_e32 v73, v73, v81
	s_waitcnt_depctr 0xfff
	v_cndmask_b32_e64 v83, 0, v77, s5
	v_add_f32_e32 v73, v73, v80
	v_cndmask_b32_e64 v82, 0, v72, s6
	v_add_f32_e32 v72, v73, v83
	s_delay_alu instid0(VALU_DEP_1)
	v_add_f32_e32 v72, v72, v82
	v_fma_f32 v75, s19, v142, -v71
	v_fma_f32 v76, s19, v111, -v71
	;; [unrolled: 1-line block ×5, first 2 shown]
	s_delay_alu instid0(VALU_DEP_4) | instskip(NEXT) | instid1(VALU_DEP_4)
	v_dual_mul_f32 v75, 0x3fb8aa3b, v75 :: v_dual_mul_f32 v76, 0x3fb8aa3b, v76
	v_mul_f32_e32 v86, 0x3fb8aa3b, v86
	v_add_f32_e32 v72, v72, v85
	s_delay_alu instid0(VALU_DEP_3) | instskip(NEXT) | instid1(VALU_DEP_3)
	v_exp_f32_e32 v75, v75
	v_exp_f32_e32 v76, v76
	s_delay_alu instid0(VALU_DEP_2) | instskip(NEXT) | instid1(TRANS32_DEP_3)
	v_exp_f32_e32 v88, v86
	v_cndmask_b32_e64 v84, 0, v75, s8
	v_mul_f32_e32 v77, 0x3fb8aa3b, v77
	s_waitcnt_depctr 0xfff
	v_cndmask_b32_e64 v87, 0, v76, s9
	v_fma_f32 v76, s19, v116, -v71
	v_dual_mul_f32 v73, 0x3fb8aa3b, v73 :: v_dual_add_f32 v72, v72, v84
	v_exp_f32_e32 v77, v77
	v_fma_f32 v75, s19, v115, -v71
	s_delay_alu instid0(VALU_DEP_3) | instskip(NEXT) | instid1(VALU_DEP_3)
	v_mul_f32_e32 v76, 0x3fb8aa3b, v76
	v_exp_f32_e32 v73, v73
	v_add_f32_e32 v72, v72, v87
	v_cndmask_b32_e64 v88, 0, v88, s12
	s_delay_alu instid0(VALU_DEP_3) | instskip(NEXT) | instid1(TRANS32_DEP_3)
	v_exp_f32_e32 v76, v76
	v_cndmask_b32_e64 v86, 0, v77, s10
	v_mul_f32_e32 v75, 0x3fb8aa3b, v75
	v_fma_f32 v77, s19, v117, -v71
	s_delay_alu instid0(TRANS32_DEP_2) | instskip(NEXT) | instid1(VALU_DEP_4)
	v_cndmask_b32_e64 v89, 0, v73, s11
	v_add_f32_e32 v72, v72, v86
	s_delay_alu instid0(VALU_DEP_4) | instskip(NEXT) | instid1(TRANS32_DEP_2)
	v_exp_f32_e32 v75, v75
	v_cndmask_b32_e64 v90, 0, v76, s15
	s_delay_alu instid0(VALU_DEP_2) | instskip(SKIP_2) | instid1(VALU_DEP_3)
	v_add_f32_e32 v72, v72, v89
	v_mul_f32_e32 v73, 0x3fb8aa3b, v77
	v_fma_f32 v77, s19, v118, -v71
	v_add_f32_e32 v72, v72, v88
	s_delay_alu instid0(VALU_DEP_3) | instskip(NEXT) | instid1(TRANS32_DEP_2)
	v_exp_f32_e32 v73, v73
	v_cndmask_b32_e64 v91, 0, v75, s13
	s_delay_alu instid0(VALU_DEP_1) | instskip(NEXT) | instid1(VALU_DEP_1)
	v_dual_mul_f32 v75, 0x3fb8aa3b, v77 :: v_dual_add_f32 v72, v72, v91
	v_exp_f32_e32 v75, v75
	s_waitcnt_depctr 0xfff
	v_cndmask_b32_e64 v93, 0, v73, s16
	v_add_f32_e32 v72, v72, v90
	s_delay_alu instid0(VALU_DEP_1) | instskip(SKIP_1) | instid1(VALU_DEP_1)
	v_add_f32_e32 v72, v72, v93
	v_cndmask_b32_e64 v92, 0, v75, s17
	v_add_f32_e32 v72, v72, v92
	ds_bpermute_b32 v73, v74, v72
	s_and_saveexec_b32 s3, s2
	s_cbranch_execz .LBB1324_12
; %bb.11:
	v_mul_u32_u24_e32 v70, 0x44, v69
	s_waitcnt lgkmcnt(0)
	v_add_f32_e32 v72, v72, v73
	s_delay_alu instid0(VALU_DEP_2) | instskip(NEXT) | instid1(VALU_DEP_1)
	v_lshl_add_u32 v70, v68, 2, v70
	v_add_nc_u32_e32 v70, 0x4000, v70
	ds_store_2addr_b32 v70, v71, v72 offset1:136
.LBB1324_12:
	s_or_b32 exec_lo, exec_lo, s3
	v_lshlrev_b32_e32 v70, 2, v68
	s_load_b32 s35, s[0:1], 0x94
	s_waitcnt lgkmcnt(0)
	s_barrier
	buffer_gl0_inv
	v_add_nc_u32_e32 v98, 0x4000, v70
	v_cmp_eq_u32_e32 vcc_lo, 1, v69
	v_cmp_eq_u32_e64 s3, 2, v69
	v_cmp_eq_u32_e64 s4, 3, v69
	;; [unrolled: 1-line block ×3, first 2 shown]
	ds_load_2addr_b32 v[70:71], v98 offset1:17
	ds_load_2addr_b32 v[72:73], v98 offset0:34 offset1:51
	ds_load_2addr_b32 v[74:75], v98 offset0:68 offset1:85
	;; [unrolled: 1-line block ×3, first 2 shown]
	v_cmp_eq_u32_e64 s6, 5, v69
	v_cmp_eq_u32_e64 s7, 7, v69
	s_waitcnt lgkmcnt(3)
	v_max3_f32 v76, v70, 0xff7fffff, v71
	s_waitcnt lgkmcnt(2)
	s_delay_alu instid0(VALU_DEP_1) | instskip(SKIP_1) | instid1(VALU_DEP_1)
	v_max3_f32 v76, v76, v72, v73
	s_waitcnt lgkmcnt(1)
	v_max3_f32 v76, v76, v74, v75
	s_waitcnt lgkmcnt(0)
	s_delay_alu instid0(VALU_DEP_1) | instskip(NEXT) | instid1(VALU_DEP_1)
	v_max3_f32 v76, v76, v94, v95
	v_sub_f32_e32 v77, v71, v76
	ds_load_2addr_b32 v[96:97], v98 offset0:136 offset1:153
	v_sub_f32_e32 v74, v74, v76
	v_sub_f32_e32 v70, v70, v76
	;; [unrolled: 1-line block ×3, first 2 shown]
	v_dual_sub_f32 v72, v72, v76 :: v_dual_mul_f32 v77, 0x3fb8aa3b, v77
	s_delay_alu instid0(VALU_DEP_4) | instskip(NEXT) | instid1(VALU_DEP_4)
	v_mul_f32_e32 v103, 0x3fb8aa3b, v74
	v_mul_f32_e32 v99, 0x3fb8aa3b, v70
	ds_load_2addr_b32 v[70:71], v98 offset0:170 offset1:187
	v_dual_mul_f32 v101, 0x3fb8aa3b, v72 :: v_dual_mul_f32 v94, 0x3fb8aa3b, v94
	v_exp_f32_e32 v102, v77
	v_exp_f32_e32 v99, v99
	s_delay_alu instid0(VALU_DEP_1) | instskip(NEXT) | instid1(VALU_DEP_1)
	v_exp_f32_e32 v101, v101
	v_exp_f32_e32 v94, v94
	s_waitcnt lgkmcnt(1)
	s_delay_alu instid0(TRANS32_DEP_3)
	v_fma_f32 v77, v99, v96, 0
	v_sub_f32_e32 v100, v73, v76
	ds_load_2addr_b32 v[72:73], v98 offset0:204 offset1:221
	v_fmac_f32_e32 v77, v102, v97
	v_exp_f32_e32 v97, v103
	s_waitcnt lgkmcnt(1)
	s_delay_alu instid0(VALU_DEP_1)
	v_dual_fmac_f32 v77, v101, v70 :: v_dual_sub_f32 v96, v75, v76
	ds_load_2addr_b32 v[74:75], v98 offset0:238 offset1:255
	v_sub_f32_e32 v70, v95, v76
	s_waitcnt lgkmcnt(0)
	s_barrier
	v_mul_f32_e32 v96, 0x3fb8aa3b, v96
	buffer_gl0_inv
	v_exp_f32_e32 v95, v96
	v_mul_f32_e32 v100, 0x3fb8aa3b, v100
	s_delay_alu instid0(VALU_DEP_1) | instskip(SKIP_3) | instid1(VALU_DEP_2)
	v_exp_f32_e32 v100, v100
	s_waitcnt_depctr 0xfff
	v_dual_fmac_f32 v77, v100, v71 :: v_dual_mul_f32 v70, 0x3fb8aa3b, v70
	v_cndmask_b32_e32 v71, v99, v102, vcc_lo
	v_fmac_f32_e32 v77, v97, v72
	s_delay_alu instid0(VALU_DEP_3) | instskip(NEXT) | instid1(VALU_DEP_1)
	v_exp_f32_e32 v96, v70
	v_fmac_f32_e32 v77, v95, v73
	s_delay_alu instid0(VALU_DEP_1) | instskip(SKIP_2) | instid1(VALU_DEP_1)
	v_fmac_f32_e32 v77, v94, v74
	s_waitcnt_depctr 0xfff
	v_fmac_f32_e32 v77, v96, v75
	v_add_f32_e32 v74, 0x358637bd, v77
	s_delay_alu instid0(VALU_DEP_1) | instskip(SKIP_1) | instid1(VALU_DEP_2)
	v_div_scale_f32 v98, null, v74, v74, 1.0
	v_div_scale_f32 v99, vcc_lo, 1.0, v74, 1.0
	v_rcp_f32_e32 v103, v98
	s_waitcnt_depctr 0xfff
	v_fma_f32 v70, -v98, v103, 1.0
	s_delay_alu instid0(VALU_DEP_1) | instskip(SKIP_2) | instid1(VALU_DEP_2)
	v_fmac_f32_e32 v103, v70, v103
	v_cndmask_b32_e64 v70, v71, v101, s3
	v_cmp_eq_u32_e64 s3, 6, v69
	v_cndmask_b32_e64 v71, v70, v100, s4
	s_delay_alu instid0(VALU_DEP_4) | instskip(NEXT) | instid1(VALU_DEP_2)
	v_dual_mul_f32 v101, v99, v103 :: v_dual_lshlrev_b32 v70, 2, v66
	v_cndmask_b32_e64 v71, v71, v97, s5
	s_delay_alu instid0(VALU_DEP_2) | instskip(NEXT) | instid1(VALU_DEP_3)
	v_or_b32_e32 v72, 1, v70
	v_fma_f32 v100, -v98, v101, v99
	v_cmp_eq_u32_e64 s4, 1, v70
	v_cmp_eq_u32_e64 s5, 2, v70
	v_cndmask_b32_e64 v95, v71, v95, s6
	v_or_b32_e32 v71, 3, v70
	v_fmac_f32_e32 v101, v100, v103
	v_cmp_eq_u32_e64 s9, 1, v72
	v_cmp_eq_u32_e64 s12, 2, v72
	v_cndmask_b32_e64 v94, v95, v94, s3
	v_cmp_eq_u32_e64 s11, 1, v71
	v_fma_f32 v97, -v98, v101, v99
	v_cmp_eq_u32_e64 s16, 2, v71
	v_cmp_eq_u32_e64 s13, 3, v72
	v_cndmask_b32_e64 v94, v94, v96, s7
	v_cmp_eq_u32_e64 s18, 3, v71
	v_div_fmas_f32 v95, v97, v103, v101
	v_cmp_eq_u32_e32 vcc_lo, 3, v70
	v_cmp_eq_u32_e64 s3, 4, v70
	v_cmp_eq_u32_e64 s19, 4, v72
	;; [unrolled: 1-line block ×3, first 2 shown]
	v_div_fixup_f32 v95, v95, v74, 1.0
	v_lshlrev_b32_e32 v73, 6, v68
	v_cmp_eq_u32_e64 s6, 5, v70
	v_cmp_eq_u32_e64 s20, 5, v72
	;; [unrolled: 1-line block ×3, first 2 shown]
	v_mul_f32_e32 v102, v94, v95
	v_lshl_or_b32 v75, v69, 11, v73
	v_or_b32_e32 v69, 2, v70
	v_cmp_eq_u32_e64 s25, 6, v72
	v_cmp_eq_u32_e64 s27, 6, v71
	v_fma_mixlo_f16 v94, v102, v79, 0
	v_fma_mixlo_f16 v95, v102, v81, 0
	;; [unrolled: 1-line block ×8, first 2 shown]
	v_lshl_or_b32 v74, v66, 4, v75
	v_fma_mixhi_f16 v94, v102, v78, 0
	v_fma_mixhi_f16 v95, v102, v80, 0
	v_fma_mixhi_f16 v96, v102, v82, 0
	v_fma_mixhi_f16 v97, v102, v84, 0
	v_fma_mixhi_f16 v98, v102, v86, 0
	v_fma_mixhi_f16 v99, v102, v88, 0
	v_fma_mixhi_f16 v100, v102, v90, 0
	v_fma_mixhi_f16 v101, v102, v92, 0
	ds_store_b128 v74, v[94:97]
	ds_store_b128 v74, v[98:101] offset:1024
	s_waitcnt lgkmcnt(0)
	s_barrier
	buffer_gl0_inv
	ds_load_b128 v[78:81], v75
	ds_load_b128 v[82:85], v75 offset:16
	ds_load_b128 v[86:89], v75 offset:1024
	;; [unrolled: 1-line block ×3, first 2 shown]
	v_cmp_eq_u32_e64 s10, 1, v69
	v_cmp_eq_u32_e64 s15, 2, v69
	;; [unrolled: 1-line block ×11, first 2 shown]
	s_waitcnt lgkmcnt(3)
	v_lshrrev_b32_e32 v94, 16, v78
	s_waitcnt lgkmcnt(2)
	v_lshrrev_b32_e32 v98, 16, v82
	;; [unrolled: 2-line block ×4, first 2 shown]
	v_lshrrev_b32_e32 v95, 16, v79
	v_cndmask_b32_e64 v110, v78, v94, s4
	v_cndmask_b32_e64 v111, v82, v98, s4
	;; [unrolled: 1-line block ×8, first 2 shown]
	v_lshrrev_b32_e32 v99, 16, v83
	v_cndmask_b32_e64 v94, v86, v102, s4
	v_cndmask_b32_e64 v98, v90, v106, s4
	;; [unrolled: 1-line block ×15, first 2 shown]
	v_lshrrev_b32_e32 v103, 16, v87
	v_lshrrev_b32_e32 v107, 16, v91
	v_cndmask_b32_e64 v113, v115, v83, s15
	v_cndmask_b32_e64 v82, v94, v87, s5
	;; [unrolled: 1-line block ×7, first 2 shown]
	v_cndmask_b32_e32 v90, v102, v95, vcc_lo
	v_cndmask_b32_e32 v102, v106, v99, vcc_lo
	v_cndmask_b32_e64 v106, v110, v95, s13
	v_cndmask_b32_e64 v110, v111, v99, s13
	;; [unrolled: 1-line block ×4, first 2 shown]
	v_lshrrev_b32_e32 v96, 16, v80
	v_lshrrev_b32_e32 v100, 16, v84
	v_cndmask_b32_e64 v111, v112, v95, s17
	v_cndmask_b32_e64 v112, v113, v99, s17
	v_cndmask_b32_e32 v82, v82, v103, vcc_lo
	v_cndmask_b32_e32 v83, v83, v107, vcc_lo
	v_cndmask_b32_e64 v94, v94, v103, s13
	v_cndmask_b32_e64 v90, v90, v80, s3
	;; [unrolled: 1-line block ×7, first 2 shown]
	v_lshrrev_b32_e32 v104, 16, v88
	v_cndmask_b32_e64 v106, v111, v80, s21
	v_cndmask_b32_e64 v110, v112, v84, s21
	;; [unrolled: 1-line block ×11, first 2 shown]
	v_lshrrev_b32_e32 v97, 16, v81
	v_lshrrev_b32_e32 v101, 16, v85
	v_cndmask_b32_e64 v99, v106, v96, s23
	v_cndmask_b32_e64 v102, v110, v100, s23
	;; [unrolled: 1-line block ×7, first 2 shown]
	v_lshrrev_b32_e32 v105, 16, v89
	v_cndmask_b32_e64 v80, v80, v104, s6
	v_cndmask_b32_e64 v84, v84, v81, s7
	;; [unrolled: 1-line block ×16, first 2 shown]
	v_perm_b32 v81, v79, v78, 0x5040100
	v_perm_b32 v79, v95, v85, 0x5040100
	v_cndmask_b32_e64 v78, v119, v91, s15
	v_cndmask_b32_e64 v85, v117, v91, s12
	;; [unrolled: 1-line block ×3, first 2 shown]
	v_perm_b32 v80, v94, v90, 0x5040100
	v_cndmask_b32_e64 v90, v98, v103, s17
	v_cndmask_b32_e64 v86, v86, v103, s18
	;; [unrolled: 1-line block ×5, first 2 shown]
	v_lshrrev_b32_e32 v108, 16, v92
	v_cndmask_b32_e64 v90, v90, v88, s21
	v_cndmask_b32_e64 v86, v86, v88, s22
	;; [unrolled: 1-line block ×11, first 2 shown]
	v_lshrrev_b32_e32 v109, 16, v93
	v_cndmask_b32_e64 v82, v82, v93, s7
	v_cndmask_b32_e64 v88, v88, v89, s26
	;; [unrolled: 1-line block ×12, first 2 shown]
	v_perm_b32 v78, v84, v83, 0x5040100
	v_perm_b32 v85, v87, v86, 0x5040100
	;; [unrolled: 1-line block ×5, first 2 shown]
	s_mul_i32 s8, s33, 15
	s_mov_b32 s3, exec_lo
	ds_store_b128 v74, v[78:81]
	ds_store_b128 v74, v[82:85] offset:1024
	v_cmpx_gt_u32_e32 15, v0
	s_cbranch_execz .LBB1324_14
; %bb.13:
	s_mul_i32 s4, s8, s34
	s_delay_alu instid0(SALU_CYCLE_1) | instskip(SKIP_1) | instid1(VALU_DEP_1)
	v_add3_u32 v68, s4, s31, v68
	s_load_b128 s[4:7], s[0:1], 0x58
	v_mad_u64_u32 v[78:79], null, v68, s35, s[14:15]
	s_delay_alu instid0(VALU_DEP_1) | instskip(NEXT) | instid1(VALU_DEP_1)
	v_ashrrev_i32_e32 v79, 31, v78
	v_lshlrev_b64 v[78:79], 2, v[78:79]
	s_waitcnt lgkmcnt(0)
	s_delay_alu instid0(VALU_DEP_1) | instskip(NEXT) | instid1(VALU_DEP_2)
	v_add_co_u32 v80, vcc_lo, s6, v78
	v_add_co_ci_u32_e32 v81, vcc_lo, s7, v79, vcc_lo
	v_add_co_u32 v78, vcc_lo, s4, v78
	v_add_co_ci_u32_e32 v79, vcc_lo, s5, v79, vcc_lo
	global_store_b32 v[80:81], v76, off
	global_store_b32 v[78:79], v77, off
.LBB1324_14:
	s_or_b32 exec_lo, exec_lo, s3
	s_waitcnt lgkmcnt(0)
	s_waitcnt_vscnt null, 0x0
	s_barrier
	buffer_gl0_inv
	ds_load_b128 v[84:87], v73
	ds_load_b128 v[88:91], v73 offset:16
	ds_load_b128 v[96:99], v73 offset:2064
	;; [unrolled: 1-line block ×5, first 2 shown]
	v_cmp_eq_u32_e32 vcc_lo, 1, v70
	v_mov_b32_e32 v76, 0
	ds_load_b128 v[112:115], v73 offset:6160
	ds_load_b128 v[108:111], v73 offset:6144
	;; [unrolled: 1-line block ×4, first 2 shown]
	v_cmp_eq_u32_e64 s4, 1, v69
	v_cmp_eq_u32_e64 s3, 1, v72
	;; [unrolled: 1-line block ×3, first 2 shown]
	v_mov_b32_e32 v77, v76
	v_mov_b32_e32 v78, v76
	;; [unrolled: 1-line block ×7, first 2 shown]
	v_cmp_eq_u32_e64 s6, 3, v72
	v_cmp_eq_u32_e64 s7, 7, v72
	s_waitcnt lgkmcnt(8)
	s_delay_alu instid0(VALU_DEP_3)
	v_wmma_f32_16x16x16_f16 v[76:83], v[49:56], v[84:91], v[76:83]
	ds_load_b128 v[53:56], v73 offset:10256
	ds_load_b128 v[49:52], v73 offset:10240
	s_waitcnt lgkmcnt(8)
	v_wmma_f32_16x16x16_f16 v[76:83], v[41:48], v[92:99], v[76:83]
	ds_load_b128 v[45:48], v73 offset:12304
	ds_load_b128 v[41:44], v73 offset:12288
	s_waitcnt lgkmcnt(8)
	;; [unrolled: 4-line block ×3, first 2 shown]
	s_barrier
	buffer_gl0_inv
	v_wmma_f32_16x16x16_f16 v[76:83], v[1:8], v[108:115], v[76:83]
	s_delay_alu instid0(VALU_DEP_1) | instskip(NEXT) | instid1(VALU_DEP_1)
	v_wmma_f32_16x16x16_f16 v[76:83], v[9:16], v[116:123], v[76:83]
	v_wmma_f32_16x16x16_f16 v[76:83], v[17:24], v[49:56], v[76:83]
	s_delay_alu instid0(VALU_DEP_1) | instskip(NEXT) | instid1(VALU_DEP_1)
	v_wmma_f32_16x16x16_f16 v[76:83], v[25:32], v[41:48], v[76:83]
	v_wmma_f32_16x16x16_f16 v[76:83], v[57:64], v[33:40], v[76:83]
	s_delay_alu instid0(VALU_DEP_1) | instskip(NEXT) | instid1(VALU_DEP_2)
	v_cvt_f16_f32_e32 v1, v76
	v_cvt_f16_f32_e32 v2, v77
	s_delay_alu instid0(VALU_DEP_3) | instskip(NEXT) | instid1(VALU_DEP_4)
	v_cvt_f16_f32_e32 v3, v78
	v_cvt_f16_f32_e32 v4, v79
	;; [unrolled: 1-line block ×6, first 2 shown]
	v_pack_b32_f16 v1, v1, v2
	v_pack_b32_f16 v2, v3, v4
	;; [unrolled: 1-line block ×3, first 2 shown]
	s_delay_alu instid0(VALU_DEP_4)
	v_pack_b32_f16 v4, v7, v8
	ds_store_b128 v74, v[1:4]
	s_waitcnt lgkmcnt(0)
	s_barrier
	buffer_gl0_inv
	ds_load_b128 v[1:4], v75
	ds_load_b128 v[5:8], v75 offset:16
	s_waitcnt lgkmcnt(1)
	v_lshrrev_b32_e32 v9, 16, v1
	s_waitcnt lgkmcnt(0)
	v_lshrrev_b32_e32 v13, 16, v5
	v_lshrrev_b32_e32 v10, 16, v2
	;; [unrolled: 1-line block ×4, first 2 shown]
	v_cndmask_b32_e32 v17, v1, v9, vcc_lo
	v_cndmask_b32_e32 v18, v5, v13, vcc_lo
	v_cndmask_b32_e64 v21, v1, v9, s4
	v_cmp_eq_u32_e32 vcc_lo, 1, v71
	v_cndmask_b32_e64 v22, v5, v13, s4
	v_cmp_eq_u32_e64 s4, 2, v70
	v_cndmask_b32_e64 v19, v1, v9, s3
	v_cndmask_b32_e64 v20, v5, v13, s3
	v_cndmask_b32_e32 v1, v1, v9, vcc_lo
	v_cmp_eq_u32_e64 s3, 2, v71
	v_cndmask_b32_e32 v5, v5, v13, vcc_lo
	v_cndmask_b32_e64 v9, v17, v2, s4
	v_cmp_eq_u32_e32 vcc_lo, 3, v70
	v_cndmask_b32_e64 v13, v18, v6, s4
	v_cmp_eq_u32_e64 s4, 2, v69
	v_cndmask_b32_e64 v17, v19, v2, s5
	v_cndmask_b32_e64 v18, v20, v6, s5
	v_cmp_eq_u32_e64 s5, 3, v69
	v_cndmask_b32_e64 v1, v1, v2, s3
	v_cndmask_b32_e64 v19, v21, v2, s4
	;; [unrolled: 1-line block ×4, first 2 shown]
	v_cndmask_b32_e32 v5, v9, v10, vcc_lo
	v_cndmask_b32_e32 v6, v13, v14, vcc_lo
	v_cmp_eq_u32_e32 vcc_lo, 3, v71
	v_cndmask_b32_e64 v9, v17, v10, s6
	v_cndmask_b32_e64 v13, v18, v14, s6
	v_cndmask_b32_e64 v18, v20, v14, s5
	v_cmp_eq_u32_e64 s4, 4, v70
	v_cndmask_b32_e32 v1, v1, v10, vcc_lo
	v_cndmask_b32_e32 v2, v2, v14, vcc_lo
	v_cmp_eq_u32_e32 vcc_lo, 4, v72
	v_lshrrev_b32_e32 v15, 16, v7
	v_lshrrev_b32_e32 v16, 16, v8
	v_cndmask_b32_e64 v17, v19, v10, s5
	v_cmp_eq_u32_e64 s3, 4, v71
	v_cndmask_b32_e64 v5, v5, v3, s4
	v_cndmask_b32_e64 v6, v6, v7, s4
	v_cndmask_b32_e32 v9, v9, v3, vcc_lo
	v_cmp_eq_u32_e64 s4, 5, v72
	v_cndmask_b32_e32 v10, v13, v7, vcc_lo
	v_cmp_eq_u32_e32 vcc_lo, 4, v69
	v_cmp_eq_u32_e64 s5, 5, v70
	v_cndmask_b32_e64 v2, v2, v7, s3
	v_cndmask_b32_e64 v9, v9, v11, s4
	;; [unrolled: 1-line block ×3, first 2 shown]
	v_cndmask_b32_e32 v13, v17, v3, vcc_lo
	v_cmp_eq_u32_e64 s4, 5, v69
	v_cndmask_b32_e32 v14, v18, v7, vcc_lo
	v_cndmask_b32_e64 v1, v1, v3, s3
	v_cmp_eq_u32_e32 vcc_lo, 5, v71
	v_lshrrev_b32_e32 v12, 16, v4
	v_cndmask_b32_e64 v13, v13, v11, s4
	v_cndmask_b32_e64 v3, v14, v15, s4
	v_cmp_eq_u32_e64 s4, 6, v71
	v_cndmask_b32_e32 v1, v1, v11, vcc_lo
	v_cndmask_b32_e64 v5, v5, v11, s5
	v_cmp_eq_u32_e64 s6, 6, v70
	v_cndmask_b32_e64 v6, v6, v15, s5
	v_cmp_eq_u32_e64 s5, 6, v72
	v_cmp_eq_u32_e64 s3, 6, v69
	v_cndmask_b32_e64 v1, v1, v4, s4
	v_cndmask_b32_e32 v2, v2, v15, vcc_lo
	v_cmp_eq_u32_e32 vcc_lo, 7, v71
	v_cndmask_b32_e64 v5, v5, v4, s6
	v_cndmask_b32_e64 v9, v9, v4, s5
	;; [unrolled: 1-line block ×3, first 2 shown]
	v_cmp_eq_u32_e64 s6, 7, v70
	v_cndmask_b32_e32 v1, v1, v12, vcc_lo
	v_cndmask_b32_e64 v7, v13, v4, s3
	v_cndmask_b32_e64 v3, v3, v8, s3
	;; [unrolled: 1-line block ×3, first 2 shown]
	v_cmp_eq_u32_e64 s3, 7, v69
	v_cndmask_b32_e64 v4, v10, v8, s5
	v_cndmask_b32_e64 v5, v5, v12, s6
	;; [unrolled: 1-line block ×3, first 2 shown]
	v_cndmask_b32_e32 v2, v2, v16, vcc_lo
	v_cndmask_b32_e64 v7, v7, v12, s3
	v_cndmask_b32_e64 v3, v3, v16, s3
	;; [unrolled: 1-line block ×4, first 2 shown]
	v_perm_b32 v4, v2, v1, 0x5040100
	s_mov_b32 s3, exec_lo
	v_perm_b32 v3, v3, v7, 0x5040100
	v_perm_b32 v2, v8, v9, 0x5040100
	;; [unrolled: 1-line block ×3, first 2 shown]
	ds_store_b128 v74, v[1:4]
	s_waitcnt lgkmcnt(0)
	s_barrier
	buffer_gl0_inv
	v_cmpx_gt_u32_e32 32, v0
	s_cbranch_execz .LBB1324_2
; %bb.15:
	s_load_b64 s[4:5], s[0:1], 0x68
	v_add_nc_u32_e32 v20, s31, v66
	v_lshlrev_b32_e32 v0, 10, v0
	v_lshlrev_b32_e32 v1, 4, v67
	s_lshl_b32 s0, s35, 7
	s_delay_alu instid0(SALU_CYCLE_1)
	s_mul_i32 s1, s0, s34
	v_add_nc_u32_e32 v2, 2, v20
	s_mul_i32 s6, s1, s8
	v_and_or_b32 v0, 0x3800, v0, v1
	v_mul_lo_u32 v1, v20, s0
	s_ashr_i32 s7, s6, 31
	v_mul_lo_u32 v11, v2, s0
	s_lshl_b64 s[6:7], s[6:7], 1
	v_add_nc_u32_e32 v3, 4, v20
	v_lshl_or_b32 v21, v66, 6, v0
	v_add_nc_u32_e32 v16, 6, v20
	v_ashrrev_i32_e32 v2, 31, v1
	s_delay_alu instid0(VALU_DEP_4)
	v_mul_lo_u32 v13, v3, s0
	s_waitcnt lgkmcnt(0)
	s_add_u32 s1, s4, s6
	s_addc_u32 s3, s5, s7
	s_lshl_b32 s4, s14, 7
	ds_load_b128 v[3:6], v21
	ds_load_b128 v[7:10], v21 offset:128
	s_ashr_i32 s5, s4, 31
	v_ashrrev_i32_e32 v12, 31, v11
	s_lshl_b64 s[4:5], s[4:5], 1
	v_lshlrev_b64 v[14:15], 1, v[1:2]
	s_add_u32 s1, s1, s4
	s_addc_u32 s3, s3, s5
	v_add_co_u32 v1, s1, s1, v65
	s_delay_alu instid0(VALU_DEP_1) | instskip(SKIP_1) | instid1(VALU_DEP_3)
	v_add_co_ci_u32_e64 v2, null, s3, 0, s1
	v_lshlrev_b64 v[11:12], 1, v[11:12]
	v_add_co_u32 v18, vcc_lo, v1, v14
	v_mul_lo_u32 v16, v16, s0
	s_delay_alu instid0(VALU_DEP_4) | instskip(NEXT) | instid1(VALU_DEP_4)
	v_add_co_ci_u32_e32 v19, vcc_lo, v2, v15, vcc_lo
	v_add_co_u32 v11, vcc_lo, v1, v11
	v_ashrrev_i32_e32 v14, 31, v13
	v_add_co_ci_u32_e32 v12, vcc_lo, v2, v12, vcc_lo
	v_add_nc_u32_e32 v15, 8, v20
	v_ashrrev_i32_e32 v17, 31, v16
	s_waitcnt lgkmcnt(1)
	global_store_b128 v[18:19], v[3:6], off
	v_lshlrev_b64 v[3:4], 1, v[13:14]
	s_waitcnt lgkmcnt(0)
	global_store_b128 v[11:12], v[7:10], off
	v_mul_lo_u32 v11, v15, s0
	v_add_nc_u32_e32 v7, 10, v20
	v_lshlrev_b64 v[5:6], 1, v[16:17]
	v_add_co_u32 v23, vcc_lo, v1, v3
	v_add_nc_u32_e32 v3, 12, v20
	s_delay_alu instid0(VALU_DEP_4)
	v_mul_lo_u32 v25, v7, s0
	v_ashrrev_i32_e32 v12, 31, v11
	v_add_co_ci_u32_e32 v24, vcc_lo, v2, v4, vcc_lo
	v_add_co_u32 v27, vcc_lo, v1, v5
	v_mul_lo_u32 v29, v3, s0
	v_add_co_ci_u32_e32 v28, vcc_lo, v2, v6, vcc_lo
	ds_load_b128 v[3:6], v21 offset:256
	ds_load_b128 v[7:10], v21 offset:384
	v_lshlrev_b64 v[31:32], 1, v[11:12]
	ds_load_b128 v[11:14], v21 offset:512
	ds_load_b128 v[15:18], v21 offset:640
	;; [unrolled: 1-line block ×3, first 2 shown]
	v_ashrrev_i32_e32 v26, 31, v25
	v_ashrrev_i32_e32 v30, 31, v29
	v_add_co_u32 v31, vcc_lo, v1, v31
	s_delay_alu instid0(VALU_DEP_3) | instskip(NEXT) | instid1(VALU_DEP_3)
	v_lshlrev_b64 v[25:26], 1, v[25:26]
	v_lshlrev_b64 v[29:30], 1, v[29:30]
	v_add_co_ci_u32_e32 v32, vcc_lo, v2, v32, vcc_lo
	s_delay_alu instid0(VALU_DEP_3) | instskip(NEXT) | instid1(VALU_DEP_4)
	v_add_co_u32 v25, vcc_lo, v1, v25
	v_add_co_ci_u32_e32 v26, vcc_lo, v2, v26, vcc_lo
	s_delay_alu instid0(VALU_DEP_4)
	v_add_co_u32 v29, vcc_lo, v1, v29
	v_add_co_ci_u32_e32 v30, vcc_lo, v2, v30, vcc_lo
	s_waitcnt lgkmcnt(4)
	global_store_b128 v[23:24], v[3:6], off
	s_waitcnt lgkmcnt(3)
	global_store_b128 v[27:28], v[7:10], off
	;; [unrolled: 2-line block ×5, first 2 shown]
	s_and_b32 exec_lo, exec_lo, s2
	s_cbranch_execz .LBB1324_2
; %bb.16:
	ds_load_b128 v[3:6], v0 offset:896
	s_add_i32 s1, s31, 14
	s_delay_alu instid0(SALU_CYCLE_1) | instskip(NEXT) | instid1(SALU_CYCLE_1)
	s_mul_i32 s0, s1, s0
	s_ashr_i32 s1, s0, 31
	s_delay_alu instid0(SALU_CYCLE_1) | instskip(NEXT) | instid1(SALU_CYCLE_1)
	s_lshl_b64 s[0:1], s[0:1], 1
	v_add_co_u32 v0, vcc_lo, v1, s0
	v_add_co_ci_u32_e32 v1, vcc_lo, s1, v2, vcc_lo
	s_waitcnt lgkmcnt(0)
	global_store_b128 v[0:1], v[3:6], off
	s_nop 0
	s_sendmsg sendmsg(MSG_DEALLOC_VGPRS)
	s_endpgm
	.section	.rodata,"a",@progbits
	.p2align	6, 0x0
	.amdhsa_kernel _Z39paged_attention_ll4mi_QKV_mfma16_kernelIDF16_hLN4vllm18Fp8KVCacheDataTypeE1EDF16_Li32ELi128ELi256ELb1ELi15EL8MFMAType0EEvPKT_PKT0_S8_ifPKiSA_SA_iPKfiiiPfSD_PS3_PT2_iSC_SC_
		.amdhsa_group_segment_fixed_size 17472
		.amdhsa_private_segment_fixed_size 0
		.amdhsa_kernarg_size 400
		.amdhsa_user_sgpr_count 13
		.amdhsa_user_sgpr_dispatch_ptr 0
		.amdhsa_user_sgpr_queue_ptr 0
		.amdhsa_user_sgpr_kernarg_segment_ptr 1
		.amdhsa_user_sgpr_dispatch_id 0
		.amdhsa_user_sgpr_private_segment_size 0
		.amdhsa_wavefront_size32 1
		.amdhsa_uses_dynamic_stack 0
		.amdhsa_enable_private_segment 0
		.amdhsa_system_sgpr_workgroup_id_x 1
		.amdhsa_system_sgpr_workgroup_id_y 1
		.amdhsa_system_sgpr_workgroup_id_z 1
		.amdhsa_system_sgpr_workgroup_info 0
		.amdhsa_system_vgpr_workitem_id 0
		.amdhsa_next_free_vgpr 150
		.amdhsa_next_free_sgpr 37
		.amdhsa_reserve_vcc 1
		.amdhsa_float_round_mode_32 0
		.amdhsa_float_round_mode_16_64 0
		.amdhsa_float_denorm_mode_32 3
		.amdhsa_float_denorm_mode_16_64 3
		.amdhsa_dx10_clamp 1
		.amdhsa_ieee_mode 1
		.amdhsa_fp16_overflow 0
		.amdhsa_workgroup_processor_mode 1
		.amdhsa_memory_ordered 1
		.amdhsa_forward_progress 0
		.amdhsa_shared_vgpr_count 0
		.amdhsa_exception_fp_ieee_invalid_op 0
		.amdhsa_exception_fp_denorm_src 0
		.amdhsa_exception_fp_ieee_div_zero 0
		.amdhsa_exception_fp_ieee_overflow 0
		.amdhsa_exception_fp_ieee_underflow 0
		.amdhsa_exception_fp_ieee_inexact 0
		.amdhsa_exception_int_div_zero 0
	.end_amdhsa_kernel
	.section	.text._Z39paged_attention_ll4mi_QKV_mfma16_kernelIDF16_hLN4vllm18Fp8KVCacheDataTypeE1EDF16_Li32ELi128ELi256ELb1ELi15EL8MFMAType0EEvPKT_PKT0_S8_ifPKiSA_SA_iPKfiiiPfSD_PS3_PT2_iSC_SC_,"axG",@progbits,_Z39paged_attention_ll4mi_QKV_mfma16_kernelIDF16_hLN4vllm18Fp8KVCacheDataTypeE1EDF16_Li32ELi128ELi256ELb1ELi15EL8MFMAType0EEvPKT_PKT0_S8_ifPKiSA_SA_iPKfiiiPfSD_PS3_PT2_iSC_SC_,comdat
.Lfunc_end1324:
	.size	_Z39paged_attention_ll4mi_QKV_mfma16_kernelIDF16_hLN4vllm18Fp8KVCacheDataTypeE1EDF16_Li32ELi128ELi256ELb1ELi15EL8MFMAType0EEvPKT_PKT0_S8_ifPKiSA_SA_iPKfiiiPfSD_PS3_PT2_iSC_SC_, .Lfunc_end1324-_Z39paged_attention_ll4mi_QKV_mfma16_kernelIDF16_hLN4vllm18Fp8KVCacheDataTypeE1EDF16_Li32ELi128ELi256ELb1ELi15EL8MFMAType0EEvPKT_PKT0_S8_ifPKiSA_SA_iPKfiiiPfSD_PS3_PT2_iSC_SC_
                                        ; -- End function
	.section	.AMDGPU.csdata,"",@progbits
; Kernel info:
; codeLenInByte = 6908
; NumSgprs: 39
; NumVgprs: 150
; ScratchSize: 0
; MemoryBound: 0
; FloatMode: 240
; IeeeMode: 1
; LDSByteSize: 17472 bytes/workgroup (compile time only)
; SGPRBlocks: 4
; VGPRBlocks: 18
; NumSGPRsForWavesPerEU: 39
; NumVGPRsForWavesPerEU: 150
; Occupancy: 9
; WaveLimiterHint : 1
; COMPUTE_PGM_RSRC2:SCRATCH_EN: 0
; COMPUTE_PGM_RSRC2:USER_SGPR: 13
; COMPUTE_PGM_RSRC2:TRAP_HANDLER: 0
; COMPUTE_PGM_RSRC2:TGID_X_EN: 1
; COMPUTE_PGM_RSRC2:TGID_Y_EN: 1
; COMPUTE_PGM_RSRC2:TGID_Z_EN: 1
; COMPUTE_PGM_RSRC2:TIDIG_COMP_CNT: 0
	.section	.text._Z39paged_attention_ll4mi_QKV_mfma16_kernelIDF16_hLN4vllm18Fp8KVCacheDataTypeE1EDF16_Li32ELi128ELi256ELb1ELi16EL8MFMAType0EEvPKT_PKT0_S8_ifPKiSA_SA_iPKfiiiPfSD_PS3_PT2_iSC_SC_,"axG",@progbits,_Z39paged_attention_ll4mi_QKV_mfma16_kernelIDF16_hLN4vllm18Fp8KVCacheDataTypeE1EDF16_Li32ELi128ELi256ELb1ELi16EL8MFMAType0EEvPKT_PKT0_S8_ifPKiSA_SA_iPKfiiiPfSD_PS3_PT2_iSC_SC_,comdat
	.protected	_Z39paged_attention_ll4mi_QKV_mfma16_kernelIDF16_hLN4vllm18Fp8KVCacheDataTypeE1EDF16_Li32ELi128ELi256ELb1ELi16EL8MFMAType0EEvPKT_PKT0_S8_ifPKiSA_SA_iPKfiiiPfSD_PS3_PT2_iSC_SC_ ; -- Begin function _Z39paged_attention_ll4mi_QKV_mfma16_kernelIDF16_hLN4vllm18Fp8KVCacheDataTypeE1EDF16_Li32ELi128ELi256ELb1ELi16EL8MFMAType0EEvPKT_PKT0_S8_ifPKiSA_SA_iPKfiiiPfSD_PS3_PT2_iSC_SC_
	.globl	_Z39paged_attention_ll4mi_QKV_mfma16_kernelIDF16_hLN4vllm18Fp8KVCacheDataTypeE1EDF16_Li32ELi128ELi256ELb1ELi16EL8MFMAType0EEvPKT_PKT0_S8_ifPKiSA_SA_iPKfiiiPfSD_PS3_PT2_iSC_SC_
	.p2align	8
	.type	_Z39paged_attention_ll4mi_QKV_mfma16_kernelIDF16_hLN4vllm18Fp8KVCacheDataTypeE1EDF16_Li32ELi128ELi256ELb1ELi16EL8MFMAType0EEvPKT_PKT0_S8_ifPKiSA_SA_iPKfiiiPfSD_PS3_PT2_iSC_SC_,@function
_Z39paged_attention_ll4mi_QKV_mfma16_kernelIDF16_hLN4vllm18Fp8KVCacheDataTypeE1EDF16_Li32ELi128ELi256ELb1ELi16EL8MFMAType0EEvPKT_PKT0_S8_ifPKiSA_SA_iPKfiiiPfSD_PS3_PT2_iSC_SC_: ; @_Z39paged_attention_ll4mi_QKV_mfma16_kernelIDF16_hLN4vllm18Fp8KVCacheDataTypeE1EDF16_Li32ELi128ELi256ELb1ELi16EL8MFMAType0EEvPKT_PKT0_S8_ifPKiSA_SA_iPKfiiiPfSD_PS3_PT2_iSC_SC_
; %bb.0:
	s_load_b64 s[4:5], s[0:1], 0x30
	s_mov_b32 s30, s13
	s_waitcnt lgkmcnt(0)
	s_cmp_lg_u64 s[4:5], 0
	s_cselect_b32 s8, -1, 0
	s_ashr_i32 s31, s13, 31
	s_cmp_eq_u64 s[4:5], 0
	s_cbranch_scc1 .LBB1325_3
; %bb.1:
	s_lshl_b64 s[2:3], s[30:31], 2
	s_delay_alu instid0(SALU_CYCLE_1) | instskip(SKIP_4) | instid1(SALU_CYCLE_1)
	s_add_u32 s2, s4, s2
	s_addc_u32 s3, s5, s3
	s_load_b64 s[2:3], s[2:3], 0x0
	s_waitcnt lgkmcnt(0)
	s_sub_i32 s2, s3, s2
	s_cmp_eq_u32 s2, 1
	s_cselect_b32 s2, -1, 0
	s_delay_alu instid0(SALU_CYCLE_1)
	s_and_not1_b32 vcc_lo, exec_lo, s2
	s_cbranch_vccz .LBB1325_4
.LBB1325_2:
	s_endpgm
.LBB1325_3:
.LBB1325_4:
	s_load_b64 s[2:3], s[0:1], 0x28
	s_lshl_b64 s[6:7], s[30:31], 2
	s_waitcnt lgkmcnt(0)
	s_add_u32 s2, s2, s6
	s_addc_u32 s3, s3, s7
	s_lshl_b32 s12, s14, 8
	s_load_b32 s24, s[2:3], 0x0
	s_waitcnt lgkmcnt(0)
	s_cmp_ge_i32 s12, s24
	s_cbranch_scc1 .LBB1325_2
; %bb.5:
	s_clause 0x1
	s_load_b128 s[20:23], s[0:1], 0x8
	s_load_b64 s[2:3], s[0:1], 0x20
	s_and_not1_b32 vcc_lo, exec_lo, s8
	s_cbranch_vccnz .LBB1325_7
; %bb.6:
	s_add_u32 s4, s4, s6
	s_addc_u32 s5, s5, s7
	s_load_b32 s5, s[4:5], 0x0
	s_branch .LBB1325_8
.LBB1325_7:
	s_mov_b32 s5, s30
.LBB1325_8:
	s_load_b128 s[16:19], s[0:1], 0x48
	v_and_b32_e32 v70, 15, v0
	v_lshrrev_b32_e32 v69, 5, v0
	v_and_b32_e32 v71, 31, v0
	v_and_b32_e32 v67, 1, v0
	v_bfe_u32 v66, v0, 4, 1
	v_lshlrev_b32_e32 v1, 3, v70
	s_lshl_b32 s31, s15, 4
	s_mov_b32 s4, exec_lo
	s_delay_alu instid0(VALU_DEP_1)
	v_lshlrev_b32_e32 v65, 1, v1
	v_cmpx_gt_u32_e32 0x100, v0
	s_cbranch_execz .LBB1325_10
; %bb.9:
	v_lshl_or_b32 v5, v69, 1, v66
	s_load_b64 s[6:7], s[0:1], 0x0
	s_waitcnt lgkmcnt(0)
	s_mul_hi_i32 s9, s5, s16
	s_mul_i32 s8, s5, s16
	v_lshlrev_b32_e32 v6, 10, v70
	v_or_b32_e32 v1, s31, v5
	s_lshl_b64 s[8:9], s[8:9], 1
	v_lshlrev_b32_e32 v5, 6, v5
	v_lshlrev_b32_e32 v7, 10, v67
	v_and_b32_e32 v6, 0x3800, v6
	v_lshlrev_b32_e32 v1, 7, v1
	s_delay_alu instid0(VALU_DEP_2) | instskip(NEXT) | instid1(VALU_DEP_2)
	v_or3_b32 v5, v6, v7, v5
	v_ashrrev_i32_e32 v2, 31, v1
	s_delay_alu instid0(VALU_DEP_1) | instskip(SKIP_2) | instid1(VALU_DEP_1)
	v_lshlrev_b64 v[1:2], 1, v[1:2]
	s_add_u32 s5, s6, s8
	s_addc_u32 s6, s7, s9
	v_add_co_u32 v1, vcc_lo, s5, v1
	s_delay_alu instid0(VALU_DEP_2) | instskip(NEXT) | instid1(VALU_DEP_2)
	v_add_co_ci_u32_e32 v2, vcc_lo, s6, v2, vcc_lo
	v_add_co_u32 v1, vcc_lo, v1, v65
	s_delay_alu instid0(VALU_DEP_2)
	v_add_co_ci_u32_e32 v2, vcc_lo, 0, v2, vcc_lo
	global_load_b128 v[1:4], v[1:2], off
	s_waitcnt vmcnt(0)
	ds_store_b128 v5, v[1:4]
.LBB1325_10:
	s_or_b32 exec_lo, exec_lo, s4
	v_and_b32_e32 v1, 0xef, v0
	s_waitcnt lgkmcnt(0)
	s_add_i32 s5, s24, 31
	s_clause 0x1
	s_load_b32 s4, s[0:1], 0x38
	s_load_b32 s33, s[0:1], 0x98
	s_ashr_i32 s6, s5, 31
	v_add_nc_u32_e32 v1, s12, v1
	s_lshr_b32 s6, s6, 27
	s_load_b32 s19, s[0:1], 0x1c
	s_add_i32 s5, s5, s6
	s_waitcnt lgkmcnt(0)
	v_ashrrev_i32_e32 v2, 31, v1
	v_or_b32_e32 v3, 16, v1
	s_ashr_i32 s13, s5, 5
	v_cmp_gt_i32_e32 vcc_lo, s24, v1
	s_add_i32 s13, s13, -1
	v_lshrrev_b32_e32 v2, 27, v2
	s_barrier
	buffer_gl0_inv
	s_mul_i32 s35, s15, s18
	v_add_nc_u32_e32 v4, v1, v2
	s_mul_i32 s4, s30, s4
	s_delay_alu instid0(SALU_CYCLE_1) | instskip(NEXT) | instid1(VALU_DEP_1)
	s_ashr_i32 s5, s4, 31
	v_ashrrev_i32_e32 v4, 5, v4
	v_add_nc_u32_e32 v2, v3, v2
	s_lshl_b64 s[4:5], s[4:5], 2
	s_delay_alu instid0(SALU_CYCLE_1) | instskip(NEXT) | instid1(VALU_DEP_2)
	s_add_u32 s25, s2, s4
	v_cndmask_b32_e32 v1, s13, v4, vcc_lo
	s_delay_alu instid0(VALU_DEP_2)
	v_ashrrev_i32_e32 v2, 5, v2
	v_cmp_gt_i32_e32 vcc_lo, s24, v3
	s_addc_u32 s34, s3, s5
	s_ashr_i32 s36, s35, 31
	s_add_u32 s4, s20, s35
	s_addc_u32 s5, s21, s36
	v_cndmask_b32_e32 v3, s13, v2, vcc_lo
	v_ashrrev_i32_e32 v2, 31, v1
	s_lshl_b32 s2, s14, 3
	s_delay_alu instid0(SALU_CYCLE_1) | instskip(NEXT) | instid1(VALU_DEP_2)
	s_ashr_i32 s3, s2, 31
	v_ashrrev_i32_e32 v4, 31, v3
	s_delay_alu instid0(VALU_DEP_2) | instskip(SKIP_1) | instid1(SALU_CYCLE_1)
	v_lshlrev_b64 v[1:2], 2, v[1:2]
	s_lshl_b64 s[2:3], s[2:3], 2
	s_add_u32 s2, s25, s2
	s_delay_alu instid0(VALU_DEP_2) | instskip(SKIP_1) | instid1(VALU_DEP_2)
	v_lshlrev_b64 v[3:4], 2, v[3:4]
	s_addc_u32 s3, s34, s3
	v_add_co_u32 v1, vcc_lo, s25, v1
	v_add_co_ci_u32_e32 v2, vcc_lo, s34, v2, vcc_lo
	s_delay_alu instid0(VALU_DEP_3) | instskip(NEXT) | instid1(VALU_DEP_4)
	v_add_co_u32 v3, vcc_lo, s25, v3
	v_add_co_ci_u32_e32 v4, vcc_lo, s34, v4, vcc_lo
	s_clause 0x1
	global_load_b32 v5, v[1:2], off
	global_load_b32 v6, v[3:4], off
	s_or_b32 s6, s12, 32
	s_delay_alu instid0(SALU_CYCLE_1) | instskip(SKIP_2) | instid1(SALU_CYCLE_1)
	s_ashr_i32 s7, s6, 5
	s_cmp_lt_i32 s6, s24
	s_cselect_b32 s6, s7, s13
	s_ashr_i32 s7, s6, 31
	s_delay_alu instid0(SALU_CYCLE_1) | instskip(NEXT) | instid1(SALU_CYCLE_1)
	s_lshl_b64 s[6:7], s[6:7], 2
	s_add_u32 s6, s25, s6
	s_addc_u32 s7, s34, s7
	s_or_b32 s8, s12, 64
	s_delay_alu instid0(SALU_CYCLE_1) | instskip(SKIP_2) | instid1(SALU_CYCLE_1)
	s_ashr_i32 s9, s8, 5
	s_cmp_lt_i32 s8, s24
	s_cselect_b32 s8, s9, s13
	s_ashr_i32 s9, s8, 31
	s_delay_alu instid0(SALU_CYCLE_1) | instskip(NEXT) | instid1(SALU_CYCLE_1)
	s_lshl_b64 s[8:9], s[8:9], 2
	s_add_u32 s8, s25, s8
	s_addc_u32 s9, s34, s9
	;; [unrolled: 10-line block ×5, first 2 shown]
	s_clause 0x5
	s_load_b32 s20, s[2:3], 0x0
	s_load_b32 s2, s[6:7], 0x0
	s_load_b32 s3, s[8:9], 0x0
	s_load_b32 s15, s[10:11], 0x0
	s_load_b32 s16, s[26:27], 0x0
	s_load_b32 s18, s[28:29], 0x0
	s_or_b32 s8, s12, 0xc0
	s_delay_alu instid0(SALU_CYCLE_1) | instskip(SKIP_2) | instid1(SALU_CYCLE_1)
	s_ashr_i32 s9, s8, 5
	s_cmp_lt_i32 s8, s24
	s_cselect_b32 s26, s9, s13
	s_ashr_i32 s27, s26, 31
	s_delay_alu instid0(SALU_CYCLE_1) | instskip(NEXT) | instid1(SALU_CYCLE_1)
	s_lshl_b64 s[26:27], s[26:27], 2
	s_add_u32 s26, s25, s26
	s_addc_u32 s27, s34, s27
	s_or_b32 s21, s12, 0xe0
	s_waitcnt vmcnt(1)
	v_mad_i64_i32 v[1:2], null, v5, s17, s[4:5]
	s_waitcnt vmcnt(0)
	v_mad_i64_i32 v[3:4], null, v6, s17, s[4:5]
	s_mov_b32 s4, 0
	s_delay_alu instid0(SALU_CYCLE_1)
	s_mov_b32 s5, s4
	s_mov_b32 s6, s4
	;; [unrolled: 1-line block ×7, first 2 shown]
	v_lshlrev_b32_e32 v5, 4, v70
	v_dual_mov_b32 v103, s11 :: v_dual_mov_b32 v98, s6
	v_dual_mov_b32 v101, s9 :: v_dual_lshlrev_b32 v68, 6, v70
	s_delay_alu instid0(VALU_DEP_3)
	v_add_co_u32 v33, vcc_lo, v1, v5
	v_add_co_ci_u32_e32 v34, vcc_lo, 0, v2, vcc_lo
	v_add_co_u32 v35, vcc_lo, v3, v5
	v_add_co_ci_u32_e32 v36, vcc_lo, 0, v4, vcc_lo
	s_clause 0xf
	global_load_b128 v[1:4], v[33:34], off
	global_load_b128 v[5:8], v[33:34], off offset:512
	global_load_b128 v[9:12], v[35:36], off offset:256
	;; [unrolled: 1-line block ×15, first 2 shown]
	v_dual_mov_b32 v96, s4 :: v_dual_lshlrev_b32 v41, 5, v70
	v_mov_b32_e32 v102, s10
	v_dual_mov_b32 v100, s8 :: v_dual_mov_b32 v99, s7
	v_mov_b32_e32 v97, s5
	s_ashr_i32 s4, s21, 5
	s_cmp_lt_i32 s21, s24
	ds_load_b128 v[33:36], v68
	ds_load_b128 v[37:40], v68 offset:1024
	s_cselect_b32 s4, s4, s13
	ds_load_b128 v[104:107], v68 offset:2048
	ds_load_b128 v[108:111], v68 offset:3072
	s_ashr_i32 s5, s4, 31
	s_load_b32 s6, s[26:27], 0x0
	s_lshl_b64 s[4:5], s[4:5], 2
	ds_load_b128 v[112:115], v68 offset:4096
	ds_load_b128 v[116:119], v68 offset:5120
	s_add_u32 s4, s25, s4
	s_addc_u32 s5, s34, s5
	v_lshl_or_b32 v41, v69, 9, v41
	s_load_b32 s4, s[4:5], 0x0
	s_add_u32 s7, s22, s35
	s_addc_u32 s8, s23, s36
	s_delay_alu instid0(VALU_DEP_1) | instskip(NEXT) | instid1(VALU_DEP_1)
	v_add_co_u32 v128, s7, s7, v41
	v_add_co_ci_u32_e64 v129, null, s8, 0, s7
	s_waitcnt lgkmcnt(0)
	s_delay_alu instid0(VALU_DEP_1)
	v_mad_i64_i32 v[41:42], null, s20, s17, v[128:129]
	v_mad_i64_i32 v[130:131], null, s3, s17, v[128:129]
	v_mad_i64_i32 v[132:133], null, s15, s17, v[128:129]
	v_mad_i64_i32 v[134:135], null, s16, s17, v[128:129]
	v_mad_i64_i32 v[45:46], null, s2, s17, v[128:129]
	v_mad_i64_i32 v[136:137], null, s18, s17, v[128:129]
	v_mad_i64_i32 v[138:139], null, s6, s17, v[128:129]
	s_clause 0x3
	global_load_b128 v[49:52], v[41:42], off
	global_load_b128 v[53:56], v[41:42], off offset:16
	global_load_b128 v[41:44], v[45:46], off
	global_load_b128 v[45:48], v[45:46], off offset:16
	s_waitcnt vmcnt(18)
	v_wmma_f32_16x16x16_f16 v[120:127], v[1:8], v[33:40], v[96:103]
	s_waitcnt vmcnt(16)
	v_wmma_f32_16x16x16_f16 v[96:103], v[9:16], v[33:40], v[96:103]
	s_clause 0x3
	global_load_b128 v[33:36], v[130:131], off
	global_load_b128 v[37:40], v[130:131], off offset:16
	global_load_b128 v[1:4], v[132:133], off
	global_load_b128 v[5:8], v[132:133], off offset:16
	s_waitcnt vmcnt(18)
	v_wmma_f32_16x16x16_f16 v[120:127], v[17:24], v[104:111], v[120:127]
	s_clause 0x3
	global_load_b128 v[9:12], v[134:135], off
	global_load_b128 v[13:16], v[134:135], off offset:16
	global_load_b128 v[17:20], v[136:137], off
	global_load_b128 v[21:24], v[136:137], off offset:16
	s_waitcnt vmcnt(20)
	v_wmma_f32_16x16x16_f16 v[96:103], v[25:32], v[104:111], v[96:103]
	v_mad_i64_i32 v[104:105], null, s4, s17, v[128:129]
	s_waitcnt vmcnt(18)
	v_wmma_f32_16x16x16_f16 v[120:127], v[57:64], v[112:119], v[120:127]
	s_clause 0x3
	global_load_b128 v[25:28], v[138:139], off
	global_load_b128 v[29:32], v[138:139], off offset:16
	global_load_b128 v[57:60], v[104:105], off
	global_load_b128 v[61:64], v[104:105], off offset:16
	s_waitcnt vmcnt(20)
	v_wmma_f32_16x16x16_f16 v[96:103], v[72:79], v[112:119], v[96:103]
	ds_load_b128 v[72:75], v68 offset:6144
	ds_load_b128 v[76:79], v68 offset:7168
	v_and_b32_e32 v104, 0xe0, v0
	v_mbcnt_lo_u32_b32 v105, -1, 0
	s_waitcnt vmcnt(0) lgkmcnt(0)
	s_barrier
	buffer_gl0_inv
	v_add_nc_u32_e32 v104, s12, v104
	v_xor_b32_e32 v106, 16, v105
	s_delay_alu instid0(VALU_DEP_2) | instskip(NEXT) | instid1(VALU_DEP_2)
	v_or_b32_e32 v104, v104, v66
	v_cmp_gt_i32_e32 vcc_lo, 32, v106
	s_delay_alu instid0(VALU_DEP_2)
	v_or_b32_e32 v107, 4, v104
	v_or_b32_e32 v108, 6, v104
	v_cmp_gt_i32_e64 s2, s24, v104
	v_or_b32_e32 v109, 8, v104
	v_wmma_f32_16x16x16_f16 v[120:127], v[80:87], v[72:79], v[120:127]
	v_cndmask_b32_e32 v105, v105, v106, vcc_lo
	v_or_b32_e32 v106, 2, v104
	v_wmma_f32_16x16x16_f16 v[96:103], v[88:95], v[72:79], v[96:103]
	v_or_b32_e32 v80, 10, v104
	v_dual_mul_f32 v78, s19, v124 :: v_dual_mul_f32 v79, s19, v123
	v_dual_mul_f32 v90, s19, v120 :: v_dual_mul_f32 v89, s19, v121
	s_delay_alu instid0(VALU_DEP_4) | instskip(SKIP_2) | instid1(VALU_DEP_4)
	v_mul_f32_e32 v92, s19, v102
	v_cmp_gt_i32_e32 vcc_lo, s24, v106
	v_dual_mul_f32 v77, s19, v125 :: v_dual_mul_f32 v88, s19, v122
	v_cndmask_b32_e64 v90, 0xff7fffff, v90, s2
	v_cmp_gt_i32_e64 s3, s24, v107
	v_cndmask_b32_e32 v89, 0xff7fffff, v89, vcc_lo
	v_cmp_gt_i32_e64 s4, s24, v108
	v_or_b32_e32 v81, 12, v104
	v_or_b32_e32 v82, 14, v104
	v_cndmask_b32_e64 v88, 0xff7fffff, v88, s3
	v_max3_f32 v89, v90, 0xff7fffff, v89
	v_cndmask_b32_e64 v79, 0xff7fffff, v79, s4
	v_cmp_gt_i32_e64 s5, s24, v109
	v_cmp_gt_i32_e64 s6, s24, v80
	v_or_b32_e32 v83, 16, v104
	v_or_b32_e32 v84, 18, v104
	v_dual_mul_f32 v75, s19, v127 :: v_dual_mul_f32 v76, s19, v126
	v_cndmask_b32_e64 v78, 0xff7fffff, v78, s5
	v_cndmask_b32_e64 v77, 0xff7fffff, v77, s6
	v_max3_f32 v79, v89, v88, v79
	v_cmp_gt_i32_e64 s7, s24, v81
	v_cmp_gt_i32_e64 s8, s24, v82
	v_or_b32_e32 v85, 20, v104
	v_or_b32_e32 v86, 22, v104
	;; [unrolled: 1-line block ×6, first 2 shown]
	v_dual_mul_f32 v95, s19, v99 :: v_dual_mul_f32 v104, s19, v97
	v_mul_f32_e32 v107, s19, v96
	v_cndmask_b32_e64 v76, 0xff7fffff, v76, s7
	v_cndmask_b32_e64 v75, 0xff7fffff, v75, s8
	v_max3_f32 v77, v79, v78, v77
	v_cmp_gt_i32_e64 s9, s24, v83
	v_cmp_gt_i32_e64 s10, s24, v84
	v_dual_mul_f32 v93, s19, v101 :: v_dual_mul_f32 v106, s19, v98
	s_delay_alu instid0(VALU_DEP_4) | instskip(NEXT) | instid1(VALU_DEP_4)
	v_max3_f32 v75, v77, v76, v75
	v_cndmask_b32_e64 v78, 0xff7fffff, v107, s9
	s_delay_alu instid0(VALU_DEP_4) | instskip(SKIP_3) | instid1(VALU_DEP_4)
	v_cndmask_b32_e64 v79, 0xff7fffff, v104, s10
	v_cmp_gt_i32_e64 s11, s24, v85
	v_cmp_gt_i32_e64 s12, s24, v86
	v_dual_mul_f32 v91, s19, v103 :: v_dual_mul_f32 v94, s19, v100
	v_max3_f32 v75, v75, v78, v79
	s_delay_alu instid0(VALU_DEP_4) | instskip(NEXT) | instid1(VALU_DEP_4)
	v_cndmask_b32_e64 v76, 0xff7fffff, v106, s11
	v_cndmask_b32_e64 v77, 0xff7fffff, v95, s12
	v_cmp_gt_i32_e64 s13, s24, v87
	v_cmp_gt_i32_e64 s15, s24, v72
	;; [unrolled: 1-line block ×4, first 2 shown]
	v_max3_f32 v75, v75, v76, v77
	v_cndmask_b32_e64 v78, 0xff7fffff, v94, s13
	v_cndmask_b32_e64 v72, 0xff7fffff, v93, s15
	;; [unrolled: 1-line block ×4, first 2 shown]
	s_delay_alu instid0(VALU_DEP_3) | instskip(SKIP_1) | instid1(VALU_DEP_2)
	v_max3_f32 v72, v75, v78, v72
	v_lshlrev_b32_e32 v75, 2, v105
	v_max3_f32 v72, v72, v73, v74
	ds_bpermute_b32 v73, v75, v72
	s_waitcnt lgkmcnt(0)
	v_max_f32_e32 v73, v73, v73
	s_delay_alu instid0(VALU_DEP_1) | instskip(NEXT) | instid1(VALU_DEP_1)
	v_max_f32_e32 v72, v72, v73
	v_fma_f32 v76, s19, v122, -v72
	v_fma_f32 v73, s19, v120, -v72
	;; [unrolled: 1-line block ×5, first 2 shown]
	v_mul_f32_e32 v76, 0x3fb8aa3b, v76
	v_fma_f32 v82, s19, v126, -v72
	v_mul_f32_e32 v74, 0x3fb8aa3b, v74
	v_fma_f32 v86, s19, v99, -v72
	v_fma_f32 v91, s19, v103, -v72
	v_exp_f32_e32 v76, v76
	v_mul_f32_e32 v82, 0x3fb8aa3b, v82
	v_exp_f32_e32 v74, v74
	v_mul_f32_e32 v88, 0x3fb8aa3b, v86
	v_fma_f32 v89, s19, v101, -v72
	s_delay_alu instid0(VALU_DEP_3) | instskip(NEXT) | instid1(VALU_DEP_2)
	v_exp_f32_e32 v84, v82
	v_exp_f32_e32 v90, v88
	s_delay_alu instid0(VALU_DEP_1)
	v_mul_f32_e32 v89, 0x3fb8aa3b, v89
	v_cndmask_b32_e64 v80, 0, v76, s3
	v_mul_f32_e32 v73, 0x3fb8aa3b, v73
	v_fma_f32 v76, s19, v127, -v72
	v_mul_f32_e32 v77, 0x3fb8aa3b, v77
	v_exp_f32_e32 v89, v89
	s_delay_alu instid0(VALU_DEP_3) | instskip(NEXT) | instid1(VALU_DEP_2)
	v_exp_f32_e32 v73, v73
	v_mul_f32_e32 v76, 0x3fb8aa3b, v76
	s_delay_alu instid0(VALU_DEP_2) | instskip(SKIP_2) | instid1(VALU_DEP_3)
	v_exp_f32_e32 v81, v77
	v_cndmask_b32_e32 v77, 0, v74, vcc_lo
	v_cndmask_b32_e64 v84, 0, v84, s7
	v_exp_f32_e32 v76, v76
	v_cndmask_b32_e64 v89, 0, v89, s15
	s_delay_alu instid0(TRANS32_DEP_3) | instskip(SKIP_2) | instid1(VALU_DEP_2)
	v_cndmask_b32_e64 v78, 0, v73, s2
	v_fma_f32 v73, s19, v125, -v72
	s_mov_b32 s2, exec_lo
	v_dual_add_f32 v74, 0, v78 :: v_dual_mul_f32 v79, 0x3fb8aa3b, v79
	s_delay_alu instid0(VALU_DEP_2) | instskip(NEXT) | instid1(VALU_DEP_2)
	v_mul_f32_e32 v73, 0x3fb8aa3b, v73
	v_add_f32_e32 v74, v74, v77
	s_delay_alu instid0(VALU_DEP_3) | instskip(NEXT) | instid1(VALU_DEP_2)
	v_exp_f32_e32 v83, v79
	v_exp_f32_e32 v73, v73
	v_cndmask_b32_e64 v79, 0, v81, s4
	v_fma_f32 v81, s19, v96, -v72
	s_delay_alu instid0(VALU_DEP_1) | instskip(NEXT) | instid1(VALU_DEP_1)
	v_dual_add_f32 v74, v74, v80 :: v_dual_mul_f32 v85, 0x3fb8aa3b, v81
	v_add_f32_e32 v74, v74, v79
	s_waitcnt_depctr 0xfff
	v_cndmask_b32_e64 v82, 0, v83, s5
	v_fma_f32 v83, s19, v97, -v72
	v_cndmask_b32_e64 v81, 0, v73, s6
	v_exp_f32_e32 v85, v85
	s_delay_alu instid0(VALU_DEP_2) | instskip(NEXT) | instid1(VALU_DEP_1)
	v_mul_f32_e32 v83, 0x3fb8aa3b, v83
	v_exp_f32_e32 v87, v83
	v_cndmask_b32_e64 v83, 0, v76, s8
	v_fma_f32 v76, s19, v100, -v72
	v_add_f32_e32 v73, v74, v82
	v_fma_f32 v74, s19, v98, -v72
	s_delay_alu instid0(TRANS32_DEP_2) | instskip(NEXT) | instid1(VALU_DEP_4)
	v_cndmask_b32_e64 v86, 0, v85, s9
	v_mul_f32_e32 v76, 0x3fb8aa3b, v76
	s_delay_alu instid0(VALU_DEP_3) | instskip(NEXT) | instid1(TRANS32_DEP_1)
	v_mul_f32_e32 v74, 0x3fb8aa3b, v74
	v_cndmask_b32_e64 v85, 0, v87, s10
	v_fma_f32 v87, s19, v102, -v72
	v_add_f32_e32 v73, v73, v81
	v_exp_f32_e32 v76, v76
	v_exp_f32_e32 v74, v74
	s_waitcnt_depctr 0xfff
	v_cndmask_b32_e64 v88, 0, v74, s11
	v_dual_mul_f32 v74, 0x3fb8aa3b, v87 :: v_dual_add_f32 v73, v73, v84
	v_cndmask_b32_e64 v87, 0, v90, s12
	v_cndmask_b32_e64 v90, 0, v76, s13
	v_mul_f32_e32 v76, 0x3fb8aa3b, v91
	s_delay_alu instid0(VALU_DEP_4) | instskip(SKIP_1) | instid1(VALU_DEP_2)
	v_exp_f32_e32 v74, v74
	v_add_f32_e32 v73, v73, v83
	v_exp_f32_e32 v76, v76
	s_delay_alu instid0(VALU_DEP_1) | instskip(SKIP_4) | instid1(VALU_DEP_2)
	v_add_f32_e32 v73, v73, v86
	s_waitcnt_depctr 0xfff
	v_cndmask_b32_e64 v92, 0, v74, s16
	v_add_f32_e32 v73, v73, v85
	v_cndmask_b32_e64 v91, 0, v76, s17
	v_add_f32_e32 v73, v73, v88
	s_delay_alu instid0(VALU_DEP_1) | instskip(NEXT) | instid1(VALU_DEP_1)
	v_add_f32_e32 v73, v73, v87
	v_add_f32_e32 v73, v73, v90
	s_delay_alu instid0(VALU_DEP_1) | instskip(NEXT) | instid1(VALU_DEP_1)
	v_add_f32_e32 v73, v73, v89
	v_add_f32_e32 v73, v73, v92
	s_delay_alu instid0(VALU_DEP_1)
	v_add_f32_e32 v73, v73, v91
	ds_bpermute_b32 v74, v75, v73
	v_cmpx_gt_u32_e32 16, v71
	s_cbranch_execz .LBB1325_12
; %bb.11:
	v_mul_u32_u24_e32 v71, 0x44, v69
	s_waitcnt lgkmcnt(0)
	v_add_f32_e32 v73, v73, v74
	s_delay_alu instid0(VALU_DEP_2) | instskip(NEXT) | instid1(VALU_DEP_1)
	v_lshl_add_u32 v71, v70, 2, v71
	v_add_nc_u32_e32 v71, 0x4000, v71
	ds_store_2addr_b32 v71, v72, v73 offset1:136
.LBB1325_12:
	s_or_b32 exec_lo, exec_lo, s2
	v_lshlrev_b32_e32 v70, 2, v70
	s_load_b32 s34, s[0:1], 0x94
	s_waitcnt lgkmcnt(0)
	s_barrier
	buffer_gl0_inv
	v_add_nc_u32_e32 v74, 0x4000, v70
	v_cmp_eq_u32_e32 vcc_lo, 1, v69
	v_cmp_eq_u32_e64 s2, 2, v69
	v_cmp_eq_u32_e64 s3, 3, v69
	;; [unrolled: 1-line block ×3, first 2 shown]
	ds_load_2addr_b32 v[70:71], v74 offset1:17
	ds_load_2addr_b32 v[72:73], v74 offset0:34 offset1:51
	ds_load_2addr_b32 v[93:94], v74 offset0:68 offset1:85
	;; [unrolled: 1-line block ×3, first 2 shown]
	v_cmp_eq_u32_e64 s5, 7, v69
	s_waitcnt lgkmcnt(3)
	v_max3_f32 v75, v70, 0xff7fffff, v71
	s_waitcnt lgkmcnt(2)
	s_delay_alu instid0(VALU_DEP_1) | instskip(SKIP_1) | instid1(VALU_DEP_1)
	v_max3_f32 v75, v75, v72, v73
	s_waitcnt lgkmcnt(1)
	v_max3_f32 v75, v75, v93, v94
	s_waitcnt lgkmcnt(0)
	s_delay_alu instid0(VALU_DEP_1) | instskip(NEXT) | instid1(VALU_DEP_1)
	v_max3_f32 v75, v75, v95, v96
	v_sub_f32_e32 v93, v93, v75
	ds_load_2addr_b32 v[97:98], v74 offset0:136 offset1:153
	v_sub_f32_e32 v70, v70, v75
	v_dual_sub_f32 v100, v73, v75 :: v_dual_mul_f32 v103, 0x3fb8aa3b, v93
	s_delay_alu instid0(VALU_DEP_2) | instskip(SKIP_3) | instid1(VALU_DEP_1)
	v_dual_sub_f32 v76, v71, v75 :: v_dual_mul_f32 v99, 0x3fb8aa3b, v70
	ds_load_2addr_b32 v[70:71], v74 offset0:170 offset1:187
	v_mul_f32_e32 v76, 0x3fb8aa3b, v76
	v_exp_f32_e32 v99, v99
	v_exp_f32_e32 v102, v76
	v_mul_f32_e32 v100, 0x3fb8aa3b, v100
	s_waitcnt lgkmcnt(1)
	s_waitcnt_depctr 0xfff
	v_fma_f32 v76, v99, v97, 0
	v_sub_f32_e32 v97, v94, v75
	v_sub_f32_e32 v72, v72, v75
	v_exp_f32_e32 v100, v100
	ds_load_2addr_b32 v[93:94], v74 offset0:238 offset1:255
	v_dual_fmac_f32 v76, v102, v98 :: v_dual_mul_f32 v101, 0x3fb8aa3b, v72
	ds_load_2addr_b32 v[72:73], v74 offset0:204 offset1:221
	v_dual_sub_f32 v74, v95, v75 :: v_dual_mul_f32 v95, 0x3fb8aa3b, v97
	v_exp_f32_e32 v97, v103
	v_exp_f32_e32 v101, v101
	s_waitcnt lgkmcnt(0)
	s_delay_alu instid0(VALU_DEP_1)
	v_mul_f32_e32 v74, 0x3fb8aa3b, v74
	v_exp_f32_e32 v95, v95
	s_barrier
	buffer_gl0_inv
	v_fmac_f32_e32 v76, v101, v70
	v_sub_f32_e32 v70, v96, v75
	v_exp_f32_e32 v96, v74
	s_delay_alu instid0(VALU_DEP_2) | instskip(NEXT) | instid1(VALU_DEP_2)
	v_fmac_f32_e32 v76, v100, v71
	v_mul_f32_e32 v70, 0x3fb8aa3b, v70
	s_delay_alu instid0(VALU_DEP_2) | instskip(NEXT) | instid1(VALU_DEP_2)
	v_dual_cndmask_b32 v71, v99, v102 :: v_dual_fmac_f32 v76, v97, v72
	v_exp_f32_e32 v98, v70
	s_delay_alu instid0(VALU_DEP_1) | instskip(SKIP_2) | instid1(VALU_DEP_1)
	v_fmac_f32_e32 v76, v95, v73
	s_waitcnt_depctr 0xfff
	v_fmac_f32_e32 v76, v96, v93
	v_fmac_f32_e32 v76, v98, v94
	s_delay_alu instid0(VALU_DEP_1) | instskip(NEXT) | instid1(VALU_DEP_1)
	v_add_f32_e32 v93, 0x358637bd, v76
	v_div_scale_f32 v94, null, v93, v93, 1.0
	v_div_scale_f32 v99, vcc_lo, 1.0, v93, 1.0
	s_delay_alu instid0(VALU_DEP_2) | instskip(SKIP_2) | instid1(VALU_DEP_1)
	v_rcp_f32_e32 v103, v94
	s_waitcnt_depctr 0xfff
	v_fma_f32 v70, -v94, v103, 1.0
	v_fmac_f32_e32 v103, v70, v103
	v_cndmask_b32_e64 v70, v71, v101, s2
	v_cmp_eq_u32_e64 s2, 4, v69
	v_lshlrev_b32_e32 v71, 2, v66
	s_delay_alu instid0(VALU_DEP_4) | instskip(NEXT) | instid1(VALU_DEP_4)
	v_mul_f32_e32 v101, v99, v103
	v_cndmask_b32_e64 v72, v70, v100, s3
	v_cmp_eq_u32_e64 s3, 6, v69
	v_lshl_or_b32 v70, v69, 11, v68
	v_or_b32_e32 v74, 1, v71
	v_fma_f32 v73, -v94, v101, v99
	v_cndmask_b32_e64 v72, v72, v97, s2
	v_cmp_eq_u32_e64 s2, 1, v71
	v_lshl_or_b32 v69, v66, 4, v70
	v_cmp_eq_u32_e64 s8, 1, v74
	v_fmac_f32_e32 v101, v73, v103
	v_cndmask_b32_e64 v95, v72, v95, s4
	v_or_b32_e32 v72, 2, v71
	v_or_b32_e32 v73, 3, v71
	v_cmp_eq_u32_e64 s11, 2, v74
	v_fma_f32 v94, -v94, v101, v99
	v_cndmask_b32_e64 v95, v95, v96, s3
	v_cmp_eq_u32_e64 s9, 1, v72
	v_cmp_eq_u32_e64 s10, 1, v73
	;; [unrolled: 1-line block ×3, first 2 shown]
	v_div_fmas_f32 v94, v94, v103, v101
	v_cndmask_b32_e64 v95, v95, v98, s5
	v_cmp_eq_u32_e32 vcc_lo, 2, v71
	v_cmp_eq_u32_e64 s15, 2, v73
	v_cmp_eq_u32_e64 s17, 3, v73
	v_div_fixup_f32 v93, v94, v93, 1.0
	v_cmp_eq_u32_e64 s3, 3, v71
	v_cmp_eq_u32_e64 s12, 3, v74
	v_cmp_eq_u32_e64 s16, 3, v72
	v_cmp_eq_u32_e64 s21, 4, v73
	v_mul_f32_e32 v101, v95, v93
	v_cmp_eq_u32_e64 s4, 4, v71
	v_cmp_eq_u32_e64 s18, 4, v74
	;; [unrolled: 1-line block ×4, first 2 shown]
	v_fma_mixlo_f16 v93, v101, v78, 0
	v_fma_mixlo_f16 v94, v101, v80, 0
	;; [unrolled: 1-line block ×8, first 2 shown]
	v_fma_mixhi_f16 v93, v101, v77, 0
	v_fma_mixhi_f16 v94, v101, v79, 0
	;; [unrolled: 1-line block ×8, first 2 shown]
	ds_store_b128 v69, v[93:96]
	ds_store_b128 v69, v[97:100] offset:1024
	s_waitcnt lgkmcnt(0)
	s_barrier
	buffer_gl0_inv
	ds_load_b128 v[77:80], v70
	ds_load_b128 v[81:84], v70 offset:16
	ds_load_b128 v[85:88], v70 offset:1024
	;; [unrolled: 1-line block ×3, first 2 shown]
	v_cmp_eq_u32_e64 s5, 5, v71
	v_cmp_eq_u32_e64 s19, 5, v74
	;; [unrolled: 1-line block ×11, first 2 shown]
	s_waitcnt lgkmcnt(3)
	v_lshrrev_b32_e32 v93, 16, v77
	s_waitcnt lgkmcnt(2)
	v_lshrrev_b32_e32 v97, 16, v81
	;; [unrolled: 2-line block ×4, first 2 shown]
	v_lshrrev_b32_e32 v94, 16, v78
	v_cndmask_b32_e64 v109, v77, v93, s2
	v_cndmask_b32_e64 v110, v81, v97, s2
	;; [unrolled: 1-line block ×8, first 2 shown]
	v_lshrrev_b32_e32 v98, 16, v82
	v_cndmask_b32_e64 v93, v85, v101, s2
	v_cndmask_b32_e64 v97, v89, v105, s2
	;; [unrolled: 1-line block ×5, first 2 shown]
	v_cndmask_b32_e32 v101, v109, v78, vcc_lo
	v_cndmask_b32_e64 v109, v111, v78, s11
	v_cndmask_b32_e64 v111, v113, v78, s13
	;; [unrolled: 1-line block ×4, first 2 shown]
	v_lshrrev_b32_e32 v102, 16, v86
	v_lshrrev_b32_e32 v106, 16, v90
	v_cndmask_b32_e64 v116, v89, v105, s8
	v_cndmask_b32_e64 v118, v89, v105, s9
	;; [unrolled: 1-line block ×3, first 2 shown]
	v_cndmask_b32_e32 v105, v110, v82, vcc_lo
	v_cndmask_b32_e64 v110, v112, v82, s11
	v_cndmask_b32_e64 v112, v114, v82, s13
	v_cndmask_b32_e32 v81, v93, v86, vcc_lo
	v_cndmask_b32_e32 v82, v97, v90, vcc_lo
	v_cndmask_b32_e64 v93, v115, v86, s11
	v_cndmask_b32_e64 v77, v77, v94, s17
	;; [unrolled: 1-line block ×3, first 2 shown]
	v_lshrrev_b32_e32 v95, 16, v79
	v_lshrrev_b32_e32 v99, 16, v83
	v_cndmask_b32_e64 v97, v117, v86, s13
	v_cndmask_b32_e64 v85, v85, v86, s15
	;; [unrolled: 1-line block ×14, first 2 shown]
	v_lshrrev_b32_e32 v103, 16, v87
	v_cndmask_b32_e64 v89, v89, v79, s4
	v_cndmask_b32_e64 v94, v101, v83, s4
	;; [unrolled: 1-line block ×11, first 2 shown]
	v_lshrrev_b32_e32 v96, 16, v80
	v_lshrrev_b32_e32 v100, 16, v84
	v_cndmask_b32_e64 v83, v89, v95, s5
	v_cndmask_b32_e64 v89, v94, v99, s5
	;; [unrolled: 1-line block ×9, first 2 shown]
	v_lshrrev_b32_e32 v104, 16, v88
	v_cndmask_b32_e64 v79, v79, v103, s5
	v_cndmask_b32_e64 v83, v83, v80, s6
	;; [unrolled: 1-line block ×19, first 2 shown]
	v_perm_b32 v80, v78, v77, 0x5040100
	v_cndmask_b32_e64 v77, v116, v90, s11
	v_cndmask_b32_e64 v95, v79, v104, s7
	v_perm_b32 v79, v93, v89, 0x5040100
	v_perm_b32 v78, v94, v84, 0x5040100
	v_cndmask_b32_e64 v84, v97, v102, s16
	v_cndmask_b32_e64 v85, v85, v102, s17
	;; [unrolled: 1-line block ×5, first 2 shown]
	v_lshrrev_b32_e32 v107, 16, v91
	v_cndmask_b32_e64 v84, v84, v87, s20
	v_cndmask_b32_e64 v85, v85, v87, s21
	;; [unrolled: 1-line block ×11, first 2 shown]
	v_lshrrev_b32_e32 v108, 16, v92
	v_cndmask_b32_e64 v81, v81, v92, s6
	v_cndmask_b32_e64 v84, v84, v88, s25
	;; [unrolled: 1-line block ×12, first 2 shown]
	v_perm_b32 v77, v83, v82, 0x5040100
	v_perm_b32 v84, v85, v84, 0x5040100
	;; [unrolled: 1-line block ×5, first 2 shown]
	s_lshl_b32 s7, s33, 4
	s_mov_b32 s2, exec_lo
	ds_store_b128 v69, v[77:80]
	ds_store_b128 v69, v[81:84] offset:1024
	v_cmpx_gt_u32_e32 16, v0
	s_cbranch_execz .LBB1325_14
; %bb.13:
	v_or_b32_e32 v77, s31, v0
	s_load_b128 s[8:11], s[0:1], 0x58
	s_delay_alu instid0(VALU_DEP_1) | instskip(NEXT) | instid1(VALU_DEP_1)
	v_mad_u64_u32 v[78:79], null, s7, s30, v[77:78]
	v_mad_u64_u32 v[79:80], null, v78, s34, s[14:15]
	s_delay_alu instid0(VALU_DEP_1) | instskip(NEXT) | instid1(VALU_DEP_1)
	v_ashrrev_i32_e32 v80, 31, v79
	v_lshlrev_b64 v[77:78], 2, v[79:80]
	s_waitcnt lgkmcnt(0)
	s_delay_alu instid0(VALU_DEP_1) | instskip(NEXT) | instid1(VALU_DEP_2)
	v_add_co_u32 v79, vcc_lo, s10, v77
	v_add_co_ci_u32_e32 v80, vcc_lo, s11, v78, vcc_lo
	v_add_co_u32 v77, vcc_lo, s8, v77
	v_add_co_ci_u32_e32 v78, vcc_lo, s9, v78, vcc_lo
	global_store_b32 v[79:80], v75, off
	global_store_b32 v[77:78], v76, off
.LBB1325_14:
	s_or_b32 exec_lo, exec_lo, s2
	s_waitcnt lgkmcnt(0)
	s_waitcnt_vscnt null, 0x0
	s_barrier
	buffer_gl0_inv
	ds_load_b128 v[83:86], v68
	ds_load_b128 v[87:90], v68 offset:16
	ds_load_b128 v[95:98], v68 offset:2064
	;; [unrolled: 1-line block ×5, first 2 shown]
	v_cmp_eq_u32_e32 vcc_lo, 1, v71
	v_mov_b32_e32 v75, 0
	ds_load_b128 v[111:114], v68 offset:6160
	ds_load_b128 v[107:110], v68 offset:6144
	;; [unrolled: 1-line block ×4, first 2 shown]
	v_cmp_eq_u32_e64 s3, 1, v72
	v_cmp_eq_u32_e64 s2, 1, v74
	;; [unrolled: 1-line block ×3, first 2 shown]
	v_mov_b32_e32 v76, v75
	v_mov_b32_e32 v77, v75
	;; [unrolled: 1-line block ×7, first 2 shown]
	v_cmp_eq_u32_e64 s5, 3, v74
	v_cmp_eq_u32_e64 s6, 7, v74
	s_waitcnt lgkmcnt(8)
	s_delay_alu instid0(VALU_DEP_3)
	v_wmma_f32_16x16x16_f16 v[75:82], v[49:56], v[83:90], v[75:82]
	ds_load_b128 v[53:56], v68 offset:10256
	ds_load_b128 v[49:52], v68 offset:10240
	s_waitcnt lgkmcnt(8)
	v_wmma_f32_16x16x16_f16 v[75:82], v[41:48], v[91:98], v[75:82]
	ds_load_b128 v[45:48], v68 offset:12304
	ds_load_b128 v[41:44], v68 offset:12288
	s_waitcnt lgkmcnt(8)
	;; [unrolled: 4-line block ×3, first 2 shown]
	s_barrier
	buffer_gl0_inv
	v_wmma_f32_16x16x16_f16 v[75:82], v[1:8], v[107:114], v[75:82]
	s_delay_alu instid0(VALU_DEP_1) | instskip(NEXT) | instid1(VALU_DEP_1)
	v_wmma_f32_16x16x16_f16 v[75:82], v[9:16], v[115:122], v[75:82]
	v_wmma_f32_16x16x16_f16 v[75:82], v[17:24], v[49:56], v[75:82]
	s_delay_alu instid0(VALU_DEP_1) | instskip(NEXT) | instid1(VALU_DEP_1)
	v_wmma_f32_16x16x16_f16 v[75:82], v[25:32], v[41:48], v[75:82]
	v_wmma_f32_16x16x16_f16 v[75:82], v[57:64], v[33:40], v[75:82]
	s_delay_alu instid0(VALU_DEP_1) | instskip(NEXT) | instid1(VALU_DEP_2)
	v_cvt_f16_f32_e32 v1, v75
	v_cvt_f16_f32_e32 v2, v76
	s_delay_alu instid0(VALU_DEP_3) | instskip(NEXT) | instid1(VALU_DEP_4)
	v_cvt_f16_f32_e32 v3, v77
	v_cvt_f16_f32_e32 v4, v78
	;; [unrolled: 1-line block ×6, first 2 shown]
	v_pack_b32_f16 v1, v1, v2
	v_pack_b32_f16 v2, v3, v4
	;; [unrolled: 1-line block ×3, first 2 shown]
	s_delay_alu instid0(VALU_DEP_4)
	v_pack_b32_f16 v4, v7, v8
	ds_store_b128 v69, v[1:4]
	s_waitcnt lgkmcnt(0)
	s_barrier
	buffer_gl0_inv
	ds_load_b128 v[1:4], v70
	ds_load_b128 v[5:8], v70 offset:16
	s_waitcnt lgkmcnt(1)
	v_lshrrev_b32_e32 v9, 16, v1
	s_waitcnt lgkmcnt(0)
	v_lshrrev_b32_e32 v13, 16, v5
	v_lshrrev_b32_e32 v10, 16, v2
	;; [unrolled: 1-line block ×4, first 2 shown]
	v_cndmask_b32_e32 v17, v1, v9, vcc_lo
	v_cndmask_b32_e32 v18, v5, v13, vcc_lo
	v_cndmask_b32_e64 v21, v1, v9, s3
	v_cmp_eq_u32_e32 vcc_lo, 1, v73
	v_cndmask_b32_e64 v22, v5, v13, s3
	v_cmp_eq_u32_e64 s3, 2, v71
	v_cndmask_b32_e64 v19, v1, v9, s2
	v_cndmask_b32_e64 v20, v5, v13, s2
	v_cndmask_b32_e32 v1, v1, v9, vcc_lo
	v_cmp_eq_u32_e64 s2, 2, v73
	v_cndmask_b32_e32 v5, v5, v13, vcc_lo
	v_cndmask_b32_e64 v9, v17, v2, s3
	v_cmp_eq_u32_e32 vcc_lo, 3, v71
	v_cndmask_b32_e64 v13, v18, v6, s3
	v_cmp_eq_u32_e64 s3, 2, v72
	v_cndmask_b32_e64 v17, v19, v2, s4
	v_cndmask_b32_e64 v18, v20, v6, s4
	v_cmp_eq_u32_e64 s4, 3, v72
	v_cndmask_b32_e64 v1, v1, v2, s2
	v_cndmask_b32_e64 v19, v21, v2, s3
	v_cndmask_b32_e64 v20, v22, v6, s3
	v_cndmask_b32_e64 v2, v5, v6, s2
	v_cndmask_b32_e32 v5, v9, v10, vcc_lo
	v_cndmask_b32_e32 v6, v13, v14, vcc_lo
	v_cmp_eq_u32_e32 vcc_lo, 3, v73
	v_cndmask_b32_e64 v9, v17, v10, s5
	v_cndmask_b32_e64 v13, v18, v14, s5
	;; [unrolled: 1-line block ×3, first 2 shown]
	v_cmp_eq_u32_e64 s3, 4, v71
	v_cndmask_b32_e32 v1, v1, v10, vcc_lo
	v_cndmask_b32_e32 v2, v2, v14, vcc_lo
	v_cmp_eq_u32_e32 vcc_lo, 4, v74
	v_lshrrev_b32_e32 v15, 16, v7
	v_lshrrev_b32_e32 v16, 16, v8
	v_cndmask_b32_e64 v17, v19, v10, s4
	v_cmp_eq_u32_e64 s2, 4, v73
	v_cndmask_b32_e64 v5, v5, v3, s3
	v_cndmask_b32_e64 v6, v6, v7, s3
	v_cndmask_b32_e32 v9, v9, v3, vcc_lo
	v_cmp_eq_u32_e64 s3, 5, v74
	v_cndmask_b32_e32 v10, v13, v7, vcc_lo
	v_cmp_eq_u32_e32 vcc_lo, 4, v72
	v_cmp_eq_u32_e64 s4, 5, v71
	v_cndmask_b32_e64 v2, v2, v7, s2
	v_cndmask_b32_e64 v9, v9, v11, s3
	;; [unrolled: 1-line block ×3, first 2 shown]
	v_cndmask_b32_e32 v13, v17, v3, vcc_lo
	v_cmp_eq_u32_e64 s3, 5, v72
	v_cndmask_b32_e32 v14, v18, v7, vcc_lo
	v_cndmask_b32_e64 v1, v1, v3, s2
	v_cmp_eq_u32_e32 vcc_lo, 5, v73
	v_lshrrev_b32_e32 v12, 16, v4
	v_cndmask_b32_e64 v13, v13, v11, s3
	v_cndmask_b32_e64 v3, v14, v15, s3
	v_cmp_eq_u32_e64 s3, 6, v73
	v_cndmask_b32_e32 v1, v1, v11, vcc_lo
	v_cndmask_b32_e64 v5, v5, v11, s4
	v_cmp_eq_u32_e64 s5, 6, v71
	v_cndmask_b32_e64 v6, v6, v15, s4
	v_cmp_eq_u32_e64 s4, 6, v74
	v_cmp_eq_u32_e64 s2, 6, v72
	v_cndmask_b32_e64 v1, v1, v4, s3
	v_cndmask_b32_e32 v2, v2, v15, vcc_lo
	v_cmp_eq_u32_e32 vcc_lo, 7, v73
	v_cndmask_b32_e64 v5, v5, v4, s5
	v_cndmask_b32_e64 v9, v9, v4, s4
	v_cndmask_b32_e64 v6, v6, v8, s5
	v_cmp_eq_u32_e64 s5, 7, v71
	v_cndmask_b32_e32 v1, v1, v12, vcc_lo
	v_cndmask_b32_e64 v7, v13, v4, s2
	v_cndmask_b32_e64 v3, v3, v8, s2
	;; [unrolled: 1-line block ×3, first 2 shown]
	v_cmp_eq_u32_e64 s2, 7, v72
	v_cndmask_b32_e64 v4, v10, v8, s4
	v_cndmask_b32_e64 v5, v5, v12, s5
	;; [unrolled: 1-line block ×3, first 2 shown]
	v_cndmask_b32_e32 v2, v2, v16, vcc_lo
	v_cndmask_b32_e64 v7, v7, v12, s2
	v_cndmask_b32_e64 v3, v3, v16, s2
	v_cndmask_b32_e64 v8, v4, v16, s6
	v_cndmask_b32_e64 v6, v6, v16, s5
	v_perm_b32 v4, v2, v1, 0x5040100
	s_mov_b32 s2, exec_lo
	v_perm_b32 v3, v3, v7, 0x5040100
	v_perm_b32 v2, v8, v9, 0x5040100
	;; [unrolled: 1-line block ×3, first 2 shown]
	ds_store_b128 v69, v[1:4]
	s_waitcnt lgkmcnt(0)
	s_barrier
	buffer_gl0_inv
	v_cmpx_gt_u32_e32 32, v0
	s_cbranch_execz .LBB1325_2
; %bb.15:
	s_load_b64 s[0:1], s[0:1], 0x68
	v_lshlrev_b32_e32 v0, 10, v0
	s_lshl_b32 s4, s34, 7
	v_or_b32_e32 v23, s31, v66
	s_mul_i32 s2, s4, s30
	v_lshlrev_b32_e32 v1, 4, v67
	v_lshlrev_b32_e32 v2, 6, v66
	s_mul_i32 s2, s2, s7
	v_and_b32_e32 v0, 0x3800, v0
	v_mul_lo_u32 v8, v23, s4
	s_ashr_i32 s3, s2, 31
	v_or_b32_e32 v3, 2, v23
	s_lshl_b64 s[2:3], s[2:3], 1
	v_or3_b32 v27, v0, v1, v2
	v_or_b32_e32 v11, 4, v23
	v_or_b32_e32 v18, 6, v23
	v_mul_lo_u32 v10, v3, s4
	v_ashrrev_i32_e32 v9, 31, v8
	ds_load_b128 v[0:3], v27
	ds_load_b128 v[4:7], v27 offset:128
	v_mul_lo_u32 v12, v11, s4
	s_waitcnt lgkmcnt(0)
	s_add_u32 s2, s0, s2
	s_addc_u32 s3, s1, s3
	s_lshl_b32 s0, s14, 7
	v_lshlrev_b64 v[8:9], 1, v[8:9]
	s_ashr_i32 s1, s0, 31
	v_ashrrev_i32_e32 v11, 31, v10
	s_lshl_b64 s[0:1], s[0:1], 1
	v_ashrrev_i32_e32 v13, 31, v12
	s_add_u32 s0, s2, s0
	s_addc_u32 s1, s3, s1
	v_add_co_u32 v30, s0, s0, v65
	s_delay_alu instid0(VALU_DEP_1) | instskip(SKIP_1) | instid1(VALU_DEP_3)
	v_add_co_ci_u32_e64 v31, null, s1, 0, s0
	v_lshlrev_b64 v[16:17], 1, v[10:11]
	v_add_co_u32 v14, vcc_lo, v30, v8
	s_delay_alu instid0(VALU_DEP_3)
	v_add_co_ci_u32_e32 v15, vcc_lo, v31, v9, vcc_lo
	ds_load_b128 v[8:11], v27 offset:256
	v_mul_lo_u32 v18, v18, s4
	v_or_b32_e32 v19, 8, v23
	v_add_co_u32 v16, vcc_lo, v30, v16
	global_store_b128 v[14:15], v[0:3], off
	v_lshlrev_b64 v[0:1], 1, v[12:13]
	v_add_co_ci_u32_e32 v17, vcc_lo, v31, v17, vcc_lo
	v_mul_lo_u32 v12, v19, s4
	v_ashrrev_i32_e32 v19, 31, v18
	v_or_b32_e32 v14, 10, v23
	global_store_b128 v[16:17], v[4:7], off
	v_add_co_u32 v4, vcc_lo, v30, v0
	v_add_co_ci_u32_e32 v5, vcc_lo, v31, v1, vcc_lo
	ds_load_b128 v[0:3], v27 offset:384
	v_ashrrev_i32_e32 v13, 31, v12
	v_lshlrev_b64 v[6:7], 1, v[18:19]
	v_mul_lo_u32 v14, v14, s4
	s_waitcnt lgkmcnt(1)
	global_store_b128 v[4:5], v[8:11], off
	v_or_b32_e32 v8, 12, v23
	v_lshlrev_b64 v[4:5], 1, v[12:13]
	v_add_co_u32 v20, vcc_lo, v30, v6
	v_or_b32_e32 v6, 14, v23
	v_ashrrev_i32_e32 v15, 31, v14
	v_mul_lo_u32 v22, v8, s4
	v_add_co_ci_u32_e32 v21, vcc_lo, v31, v7, vcc_lo
	v_add_co_u32 v24, vcc_lo, v30, v4
	v_mul_lo_u32 v26, v6, s4
	v_add_co_ci_u32_e32 v25, vcc_lo, v31, v5, vcc_lo
	v_lshlrev_b64 v[28:29], 1, v[14:15]
	ds_load_b128 v[4:7], v27 offset:512
	ds_load_b128 v[8:11], v27 offset:640
	ds_load_b128 v[12:15], v27 offset:768
	ds_load_b128 v[16:19], v27 offset:896
	v_ashrrev_i32_e32 v23, 31, v22
	v_ashrrev_i32_e32 v27, 31, v26
	v_add_co_u32 v28, vcc_lo, v30, v28
	s_delay_alu instid0(VALU_DEP_3) | instskip(SKIP_1) | instid1(VALU_DEP_4)
	v_lshlrev_b64 v[22:23], 1, v[22:23]
	v_add_co_ci_u32_e32 v29, vcc_lo, v31, v29, vcc_lo
	v_lshlrev_b64 v[26:27], 1, v[26:27]
	s_delay_alu instid0(VALU_DEP_3) | instskip(NEXT) | instid1(VALU_DEP_4)
	v_add_co_u32 v22, vcc_lo, v30, v22
	v_add_co_ci_u32_e32 v23, vcc_lo, v31, v23, vcc_lo
	s_delay_alu instid0(VALU_DEP_3) | instskip(NEXT) | instid1(VALU_DEP_4)
	v_add_co_u32 v26, vcc_lo, v30, v26
	v_add_co_ci_u32_e32 v27, vcc_lo, v31, v27, vcc_lo
	s_waitcnt lgkmcnt(4)
	global_store_b128 v[20:21], v[0:3], off
	s_waitcnt lgkmcnt(3)
	global_store_b128 v[24:25], v[4:7], off
	s_waitcnt lgkmcnt(2)
	global_store_b128 v[28:29], v[8:11], off
	s_waitcnt lgkmcnt(1)
	global_store_b128 v[22:23], v[12:15], off
	s_waitcnt lgkmcnt(0)
	global_store_b128 v[26:27], v[16:19], off
	s_nop 0
	s_sendmsg sendmsg(MSG_DEALLOC_VGPRS)
	s_endpgm
	.section	.rodata,"a",@progbits
	.p2align	6, 0x0
	.amdhsa_kernel _Z39paged_attention_ll4mi_QKV_mfma16_kernelIDF16_hLN4vllm18Fp8KVCacheDataTypeE1EDF16_Li32ELi128ELi256ELb1ELi16EL8MFMAType0EEvPKT_PKT0_S8_ifPKiSA_SA_iPKfiiiPfSD_PS3_PT2_iSC_SC_
		.amdhsa_group_segment_fixed_size 17472
		.amdhsa_private_segment_fixed_size 0
		.amdhsa_kernarg_size 400
		.amdhsa_user_sgpr_count 13
		.amdhsa_user_sgpr_dispatch_ptr 0
		.amdhsa_user_sgpr_queue_ptr 0
		.amdhsa_user_sgpr_kernarg_segment_ptr 1
		.amdhsa_user_sgpr_dispatch_id 0
		.amdhsa_user_sgpr_private_segment_size 0
		.amdhsa_wavefront_size32 1
		.amdhsa_uses_dynamic_stack 0
		.amdhsa_enable_private_segment 0
		.amdhsa_system_sgpr_workgroup_id_x 1
		.amdhsa_system_sgpr_workgroup_id_y 1
		.amdhsa_system_sgpr_workgroup_id_z 1
		.amdhsa_system_sgpr_workgroup_info 0
		.amdhsa_system_vgpr_workitem_id 0
		.amdhsa_next_free_vgpr 140
		.amdhsa_next_free_sgpr 37
		.amdhsa_reserve_vcc 1
		.amdhsa_float_round_mode_32 0
		.amdhsa_float_round_mode_16_64 0
		.amdhsa_float_denorm_mode_32 3
		.amdhsa_float_denorm_mode_16_64 3
		.amdhsa_dx10_clamp 1
		.amdhsa_ieee_mode 1
		.amdhsa_fp16_overflow 0
		.amdhsa_workgroup_processor_mode 1
		.amdhsa_memory_ordered 1
		.amdhsa_forward_progress 0
		.amdhsa_shared_vgpr_count 0
		.amdhsa_exception_fp_ieee_invalid_op 0
		.amdhsa_exception_fp_denorm_src 0
		.amdhsa_exception_fp_ieee_div_zero 0
		.amdhsa_exception_fp_ieee_overflow 0
		.amdhsa_exception_fp_ieee_underflow 0
		.amdhsa_exception_fp_ieee_inexact 0
		.amdhsa_exception_int_div_zero 0
	.end_amdhsa_kernel
	.section	.text._Z39paged_attention_ll4mi_QKV_mfma16_kernelIDF16_hLN4vllm18Fp8KVCacheDataTypeE1EDF16_Li32ELi128ELi256ELb1ELi16EL8MFMAType0EEvPKT_PKT0_S8_ifPKiSA_SA_iPKfiiiPfSD_PS3_PT2_iSC_SC_,"axG",@progbits,_Z39paged_attention_ll4mi_QKV_mfma16_kernelIDF16_hLN4vllm18Fp8KVCacheDataTypeE1EDF16_Li32ELi128ELi256ELb1ELi16EL8MFMAType0EEvPKT_PKT0_S8_ifPKiSA_SA_iPKfiiiPfSD_PS3_PT2_iSC_SC_,comdat
.Lfunc_end1325:
	.size	_Z39paged_attention_ll4mi_QKV_mfma16_kernelIDF16_hLN4vllm18Fp8KVCacheDataTypeE1EDF16_Li32ELi128ELi256ELb1ELi16EL8MFMAType0EEvPKT_PKT0_S8_ifPKiSA_SA_iPKfiiiPfSD_PS3_PT2_iSC_SC_, .Lfunc_end1325-_Z39paged_attention_ll4mi_QKV_mfma16_kernelIDF16_hLN4vllm18Fp8KVCacheDataTypeE1EDF16_Li32ELi128ELi256ELb1ELi16EL8MFMAType0EEvPKT_PKT0_S8_ifPKiSA_SA_iPKfiiiPfSD_PS3_PT2_iSC_SC_
                                        ; -- End function
	.section	.AMDGPU.csdata,"",@progbits
; Kernel info:
; codeLenInByte = 6864
; NumSgprs: 39
; NumVgprs: 140
; ScratchSize: 0
; MemoryBound: 0
; FloatMode: 240
; IeeeMode: 1
; LDSByteSize: 17472 bytes/workgroup (compile time only)
; SGPRBlocks: 4
; VGPRBlocks: 17
; NumSGPRsForWavesPerEU: 39
; NumVGPRsForWavesPerEU: 140
; Occupancy: 10
; WaveLimiterHint : 1
; COMPUTE_PGM_RSRC2:SCRATCH_EN: 0
; COMPUTE_PGM_RSRC2:USER_SGPR: 13
; COMPUTE_PGM_RSRC2:TRAP_HANDLER: 0
; COMPUTE_PGM_RSRC2:TGID_X_EN: 1
; COMPUTE_PGM_RSRC2:TGID_Y_EN: 1
; COMPUTE_PGM_RSRC2:TGID_Z_EN: 1
; COMPUTE_PGM_RSRC2:TIDIG_COMP_CNT: 0
	.section	.text._Z39paged_attention_ll4mi_QKV_mfma16_kernelIDF16_hLN4vllm18Fp8KVCacheDataTypeE1EDF16_Li32ELi128ELi256ELb1ELi1EL8MFMAType0EEvPKT_PKT0_S8_ifPKiSA_SA_iPKfiiiPfSD_PS3_PT2_iSC_SC_,"axG",@progbits,_Z39paged_attention_ll4mi_QKV_mfma16_kernelIDF16_hLN4vllm18Fp8KVCacheDataTypeE1EDF16_Li32ELi128ELi256ELb1ELi1EL8MFMAType0EEvPKT_PKT0_S8_ifPKiSA_SA_iPKfiiiPfSD_PS3_PT2_iSC_SC_,comdat
	.protected	_Z39paged_attention_ll4mi_QKV_mfma16_kernelIDF16_hLN4vllm18Fp8KVCacheDataTypeE1EDF16_Li32ELi128ELi256ELb1ELi1EL8MFMAType0EEvPKT_PKT0_S8_ifPKiSA_SA_iPKfiiiPfSD_PS3_PT2_iSC_SC_ ; -- Begin function _Z39paged_attention_ll4mi_QKV_mfma16_kernelIDF16_hLN4vllm18Fp8KVCacheDataTypeE1EDF16_Li32ELi128ELi256ELb1ELi1EL8MFMAType0EEvPKT_PKT0_S8_ifPKiSA_SA_iPKfiiiPfSD_PS3_PT2_iSC_SC_
	.globl	_Z39paged_attention_ll4mi_QKV_mfma16_kernelIDF16_hLN4vllm18Fp8KVCacheDataTypeE1EDF16_Li32ELi128ELi256ELb1ELi1EL8MFMAType0EEvPKT_PKT0_S8_ifPKiSA_SA_iPKfiiiPfSD_PS3_PT2_iSC_SC_
	.p2align	8
	.type	_Z39paged_attention_ll4mi_QKV_mfma16_kernelIDF16_hLN4vllm18Fp8KVCacheDataTypeE1EDF16_Li32ELi128ELi256ELb1ELi1EL8MFMAType0EEvPKT_PKT0_S8_ifPKiSA_SA_iPKfiiiPfSD_PS3_PT2_iSC_SC_,@function
_Z39paged_attention_ll4mi_QKV_mfma16_kernelIDF16_hLN4vllm18Fp8KVCacheDataTypeE1EDF16_Li32ELi128ELi256ELb1ELi1EL8MFMAType0EEvPKT_PKT0_S8_ifPKiSA_SA_iPKfiiiPfSD_PS3_PT2_iSC_SC_: ; @_Z39paged_attention_ll4mi_QKV_mfma16_kernelIDF16_hLN4vllm18Fp8KVCacheDataTypeE1EDF16_Li32ELi128ELi256ELb1ELi1EL8MFMAType0EEvPKT_PKT0_S8_ifPKiSA_SA_iPKfiiiPfSD_PS3_PT2_iSC_SC_
; %bb.0:
	s_load_b64 s[4:5], s[0:1], 0x30
	s_mov_b32 s34, s13
	s_waitcnt lgkmcnt(0)
	s_cmp_lg_u64 s[4:5], 0
	s_cselect_b32 s6, -1, 0
	s_ashr_i32 s35, s13, 31
	s_cmp_eq_u64 s[4:5], 0
	s_cbranch_scc1 .LBB1326_3
; %bb.1:
	s_lshl_b64 s[2:3], s[34:35], 2
	s_delay_alu instid0(SALU_CYCLE_1) | instskip(SKIP_4) | instid1(SALU_CYCLE_1)
	s_add_u32 s2, s4, s2
	s_addc_u32 s3, s5, s3
	s_load_b64 s[2:3], s[2:3], 0x0
	s_waitcnt lgkmcnt(0)
	s_sub_i32 s2, s3, s2
	s_cmp_eq_u32 s2, 1
	s_cselect_b32 s2, -1, 0
	s_delay_alu instid0(SALU_CYCLE_1)
	s_and_not1_b32 vcc_lo, exec_lo, s2
	s_cbranch_vccz .LBB1326_4
.LBB1326_2:
	s_endpgm
.LBB1326_3:
.LBB1326_4:
	s_load_b64 s[2:3], s[0:1], 0x28
	s_lshl_b64 s[8:9], s[34:35], 2
	s_waitcnt lgkmcnt(0)
	s_add_u32 s2, s2, s8
	s_addc_u32 s3, s3, s9
	s_lshl_b32 s12, s14, 8
	s_load_b32 s33, s[2:3], 0x0
	s_waitcnt lgkmcnt(0)
	s_cmp_ge_i32 s12, s33
	s_cbranch_scc1 .LBB1326_2
; %bb.5:
	s_clause 0x1
	s_load_b128 s[56:59], s[0:1], 0x8
	s_load_b64 s[2:3], s[0:1], 0x20
	s_and_not1_b32 vcc_lo, exec_lo, s6
	s_mov_b64 s[6:7], s[34:35]
	s_cbranch_vccnz .LBB1326_7
; %bb.6:
	s_add_u32 s4, s4, s8
	s_addc_u32 s5, s5, s9
	s_load_b32 s6, s[4:5], 0x0
.LBB1326_7:
	s_load_b128 s[52:55], s[0:1], 0x48
	v_and_b32_e32 v65, 15, v0
	s_mov_b32 s13, exec_lo
                                        ; implicit-def: $sgpr36
                                        ; implicit-def: $sgpr24
                                        ; implicit-def: $sgpr16
                                        ; implicit-def: $sgpr4
	s_delay_alu instid0(VALU_DEP_1)
	v_cmpx_eq_u32_e32 0, v65
	s_cbranch_execz .LBB1326_9
; %bb.8:
	s_load_b64 s[4:5], s[0:1], 0x0
	s_waitcnt lgkmcnt(0)
	s_mul_hi_i32 s7, s6, s52
	s_mul_i32 s6, s6, s52
	s_delay_alu instid0(SALU_CYCLE_1) | instskip(NEXT) | instid1(SALU_CYCLE_1)
	s_lshl_b64 s[6:7], s[6:7], 1
	s_add_u32 s6, s4, s6
	s_addc_u32 s7, s5, s7
	s_lshl_b32 s4, s15, 7
	s_delay_alu instid0(SALU_CYCLE_1) | instskip(NEXT) | instid1(SALU_CYCLE_1)
	s_ashr_i32 s5, s4, 31
	s_lshl_b64 s[4:5], s[4:5], 1
	s_delay_alu instid0(SALU_CYCLE_1)
	s_add_u32 s4, s6, s4
	s_addc_u32 s5, s7, s5
	s_clause 0x3
	s_load_b256 s[36:43], s[4:5], 0x0
	s_load_b256 s[24:31], s[4:5], 0x40
	;; [unrolled: 1-line block ×4, first 2 shown]
.LBB1326_9:
	s_or_b32 exec_lo, exec_lo, s13
	v_and_b32_e32 v1, 0xef, v0
	s_add_i32 s13, s33, 31
	s_load_b32 s44, s[0:1], 0x38
	s_ashr_i32 s35, s13, 31
	s_waitcnt lgkmcnt(0)
	s_mul_i32 s62, s15, s54
	v_add_nc_u32_e32 v1, s12, v1
	s_lshr_b32 s35, s35, 27
	v_lshlrev_b32_e32 v73, 4, v65
	s_add_i32 s13, s13, s35
	s_load_b32 s35, s[0:1], 0x1c
	v_ashrrev_i32_e32 v2, 31, v1
	v_or_b32_e32 v3, 16, v1
	s_ashr_i32 s13, s13, 5
	v_cmp_gt_i32_e32 vcc_lo, s33, v1
	s_add_i32 s13, s13, -1
	v_lshrrev_b32_e32 v2, 27, v2
	v_dual_mov_b32 v105, s31 :: v_dual_mov_b32 v100, s26
	v_dual_mov_b32 v103, s29 :: v_dual_mov_b32 v98, s24
	s_delay_alu instid0(VALU_DEP_3) | instskip(SKIP_3) | instid1(VALU_DEP_2)
	v_dual_mov_b32 v101, s27 :: v_dual_add_nc_u32 v4, v1, v2
	s_mul_i32 s44, s34, s44
	v_mov_b32_e32 v99, s25
	s_ashr_i32 s45, s44, 31
	v_ashrrev_i32_e32 v4, 5, v4
	v_add_nc_u32_e32 v2, v3, v2
	s_lshl_b64 s[44:45], s[44:45], 2
	v_dual_mov_b32 v113, s23 :: v_dual_mov_b32 v106, s16
	s_delay_alu instid0(VALU_DEP_3) | instskip(NEXT) | instid1(VALU_DEP_3)
	v_cndmask_b32_e32 v1, s13, v4, vcc_lo
	v_ashrrev_i32_e32 v2, 5, v2
	v_cmp_gt_i32_e32 vcc_lo, s33, v3
	s_add_u32 s61, s2, s44
	s_addc_u32 s60, s3, s45
	s_ashr_i32 s63, s62, 31
	s_add_u32 s44, s56, s62
	v_cndmask_b32_e32 v3, s13, v2, vcc_lo
	v_ashrrev_i32_e32 v2, 31, v1
	s_addc_u32 s45, s57, s63
	s_lshl_b32 s2, s14, 3
	v_dual_mov_b32 v108, s18 :: v_dual_lshlrev_b32 v41, 5, v65
	v_ashrrev_i32_e32 v4, 31, v3
	v_lshlrev_b64 v[1:2], 2, v[1:2]
	s_ashr_i32 s3, s2, 31
	v_mov_b32_e32 v112, s22
	s_lshl_b64 s[2:3], s[2:3], 2
	v_lshlrev_b64 v[3:4], 2, v[3:4]
	s_add_u32 s2, s61, s2
	v_add_co_u32 v1, vcc_lo, s61, v1
	v_add_co_ci_u32_e32 v2, vcc_lo, s60, v2, vcc_lo
	s_delay_alu instid0(VALU_DEP_3) | instskip(NEXT) | instid1(VALU_DEP_4)
	v_add_co_u32 v3, vcc_lo, s61, v3
	v_add_co_ci_u32_e32 v4, vcc_lo, s60, v4, vcc_lo
	s_clause 0x1
	global_load_b32 v5, v[1:2], off
	global_load_b32 v6, v[3:4], off
	s_addc_u32 s3, s60, s3
	s_or_b32 s46, s12, 32
	v_mov_b32_e32 v110, s20
	s_ashr_i32 s47, s46, 5
	s_cmp_lt_i32 s46, s33
	v_lshrrev_b32_e32 v66, 5, v0
	s_cselect_b32 s46, s47, s13
	v_mov_b32_e32 v104, s30
	s_ashr_i32 s47, s46, 31
	v_mov_b32_e32 v102, s28
	s_lshl_b64 s[46:47], s[46:47], 2
	v_lshl_or_b32 v41, v66, 9, v41
	s_add_u32 s46, s61, s46
	s_addc_u32 s47, s60, s47
	s_or_b32 s48, s12, 64
	s_delay_alu instid0(SALU_CYCLE_1) | instskip(SKIP_2) | instid1(SALU_CYCLE_1)
	s_ashr_i32 s49, s48, 5
	s_cmp_lt_i32 s48, s33
	s_cselect_b32 s48, s49, s13
	s_ashr_i32 s49, s48, 31
	s_delay_alu instid0(SALU_CYCLE_1) | instskip(NEXT) | instid1(SALU_CYCLE_1)
	s_lshl_b64 s[48:49], s[48:49], 2
	s_add_u32 s48, s61, s48
	s_addc_u32 s49, s60, s49
	s_or_b32 s50, s12, 0x60
	s_delay_alu instid0(SALU_CYCLE_1) | instskip(SKIP_2) | instid1(SALU_CYCLE_1)
	s_ashr_i32 s51, s50, 5
	s_cmp_lt_i32 s50, s33
	s_cselect_b32 s50, s51, s13
	s_ashr_i32 s51, s50, 31
	s_delay_alu instid0(SALU_CYCLE_1) | instskip(NEXT) | instid1(SALU_CYCLE_1)
	s_lshl_b64 s[50:51], s[50:51], 2
	;; [unrolled: 10-line block ×4, first 2 shown]
	s_add_u32 s66, s61, s54
	s_addc_u32 s67, s60, s55
	s_clause 0x5
	s_load_b32 s56, s[2:3], 0x0
	s_load_b32 s3, s[46:47], 0x0
	s_load_b32 s52, s[48:49], 0x0
	s_load_b32 s54, s[50:51], 0x0
	s_load_b32 s55, s[64:65], 0x0
	s_load_b32 s2, s[66:67], 0x0
	s_or_b32 s24, s12, 0xc0
	s_delay_alu instid0(SALU_CYCLE_1)
	s_ashr_i32 s25, s24, 5
	s_cmp_lt_i32 s24, s33
	s_waitcnt vmcnt(1)
	v_mad_i64_i32 v[1:2], null, v5, s53, s[44:45]
	s_waitcnt vmcnt(0)
	v_mad_i64_i32 v[3:4], null, v6, s53, s[44:45]
	s_mov_b32 s44, 0
	s_delay_alu instid0(SALU_CYCLE_1) | instskip(SKIP_1) | instid1(VALU_DEP_2)
	s_mov_b32 s45, s44
	s_mov_b32 s46, s44
	v_add_co_u32 v33, vcc_lo, v1, v73
	s_delay_alu instid0(VALU_DEP_3) | instskip(NEXT) | instid1(VALU_DEP_3)
	v_add_co_ci_u32_e32 v34, vcc_lo, 0, v2, vcc_lo
	v_add_co_u32 v35, vcc_lo, v3, v73
	s_delay_alu instid0(VALU_DEP_4)
	v_add_co_ci_u32_e32 v36, vcc_lo, 0, v4, vcc_lo
	s_clause 0xf
	global_load_b128 v[1:4], v[33:34], off
	global_load_b128 v[5:8], v[33:34], off offset:512
	global_load_b128 v[9:12], v[35:36], off offset:256
	;; [unrolled: 1-line block ×15, first 2 shown]
	v_mov_b32_e32 v33, s36
	v_mov_b32_e32 v37, s40
	;; [unrolled: 1-line block ×3, first 2 shown]
	s_mov_b32 s47, s44
	s_mov_b32 s48, s44
	s_mov_b32 s49, s44
	s_mov_b32 s50, s44
	s_mov_b32 s51, s44
	v_mov_b32_e32 v111, s21
	v_mov_b32_e32 v109, s19
	;; [unrolled: 1-line block ×3, first 2 shown]
	s_cselect_b32 s16, s25, s13
	v_dual_mov_b32 v121, s51 :: v_dual_mov_b32 v114, s44
	s_ashr_i32 s17, s16, 31
	v_mov_b32_e32 v34, s37
	s_lshl_b64 s[16:17], s[16:17], 2
	v_dual_mov_b32 v35, s38 :: v_dual_mov_b32 v40, s43
	s_add_u32 s16, s61, s16
	s_addc_u32 s17, s60, s17
	s_or_b32 s18, s12, 0xe0
	v_mov_b32_e32 v36, s39
	s_ashr_i32 s19, s18, 5
	s_cmp_lt_i32 s18, s33
	v_mov_b32_e32 v38, s41
	s_cselect_b32 s18, s19, s13
	v_mov_b32_e32 v120, s50
	s_ashr_i32 s19, s18, 31
	v_mov_b32_e32 v119, s49
	s_lshl_b64 s[18:19], s[18:19], 2
	v_mov_b32_e32 v118, s48
	s_add_u32 s18, s61, s18
	s_addc_u32 s19, s60, s19
	s_add_u32 s13, s58, s62
	s_addc_u32 s20, s59, s63
	v_add_co_u32 v67, s13, s13, v41
	s_delay_alu instid0(VALU_DEP_1)
	v_add_co_ci_u32_e64 v68, null, s20, 0, s13
	s_clause 0x1
	s_load_b32 s13, s[16:17], 0x0
	s_load_b32 s16, s[18:19], 0x0
	v_dual_mov_b32 v117, s47 :: v_dual_mov_b32 v116, s46
	s_waitcnt lgkmcnt(0)
	v_mad_i64_i32 v[41:42], null, s56, s53, v[67:68]
	v_mad_i64_i32 v[71:72], null, s54, s53, v[67:68]
	v_mov_b32_e32 v115, s45
	v_mad_i64_i32 v[45:46], null, s3, s53, v[67:68]
	v_mad_i64_i32 v[69:70], null, s52, s53, v[67:68]
	;; [unrolled: 1-line block ×4, first 2 shown]
	s_waitcnt vmcnt(14)
	v_wmma_f32_16x16x16_f16 v[122:129], v[1:8], v[33:40], v[114:121]
	s_waitcnt vmcnt(12)
	v_wmma_f32_16x16x16_f16 v[114:121], v[9:16], v[33:40], v[114:121]
	s_clause 0x7
	global_load_b128 v[49:52], v[41:42], off
	global_load_b128 v[53:56], v[41:42], off offset:16
	global_load_b128 v[41:44], v[45:46], off
	global_load_b128 v[45:48], v[45:46], off offset:16
	;; [unrolled: 2-line block ×4, first 2 shown]
	v_mad_i64_i32 v[71:72], null, s13, s53, v[67:68]
	v_mad_i64_i32 v[69:70], null, s2, s53, v[67:68]
	s_waitcnt vmcnt(18)
	v_wmma_f32_16x16x16_f16 v[122:129], v[17:24], v[98:105], v[122:129]
	s_waitcnt vmcnt(16)
	v_wmma_f32_16x16x16_f16 v[114:121], v[25:32], v[98:105], v[114:121]
	s_clause 0x3
	global_load_b128 v[9:12], v[130:131], off
	global_load_b128 v[13:16], v[130:131], off offset:16
	global_load_b128 v[17:20], v[69:70], off
	global_load_b128 v[21:24], v[69:70], off offset:16
	s_waitcnt vmcnt(18)
	v_wmma_f32_16x16x16_f16 v[122:129], v[57:64], v[106:113], v[122:129]
	s_clause 0x3
	global_load_b128 v[25:28], v[71:72], off
	global_load_b128 v[29:32], v[71:72], off offset:16
	global_load_b128 v[57:60], v[132:133], off
	global_load_b128 v[61:64], v[132:133], off offset:16
	v_mbcnt_lo_u32_b32 v68, -1, 0
	v_and_b32_e32 v67, 0xe0, v0
	v_mov_b32_e32 v105, s11
	s_waitcnt vmcnt(20)
	v_wmma_f32_16x16x16_f16 v[114:121], v[74:81], v[106:113], v[114:121]
	v_bfe_u32 v74, v0, 4, 1
	v_xor_b32_e32 v69, 16, v68
	v_mov_b32_e32 v98, s4
	v_dual_mov_b32 v104, s10 :: v_dual_mov_b32 v103, s9
	v_mov_b32_e32 v102, s8
	s_delay_alu instid0(VALU_DEP_4) | instskip(SKIP_3) | instid1(VALU_DEP_3)
	v_cmp_gt_i32_e32 vcc_lo, 32, v69
	v_add_nc_u32_e32 v67, s12, v67
	v_dual_mov_b32 v101, s7 :: v_dual_mov_b32 v100, s6
	v_dual_mov_b32 v99, s5 :: v_dual_cndmask_b32 v68, v68, v69
	v_or_b32_e32 v67, v67, v74
	s_waitcnt vmcnt(0)
	s_barrier
	s_delay_alu instid0(VALU_DEP_2)
	v_wmma_f32_16x16x16_f16 v[122:129], v[82:89], v[98:105], v[122:129]
	buffer_gl0_inv
	v_or_b32_e32 v69, 2, v67
	v_or_b32_e32 v70, 4, v67
	;; [unrolled: 1-line block ×3, first 2 shown]
	v_mul_f32_e32 v86, s35, v129
	v_mul_f32_e32 v88, s35, v127
	v_wmma_f32_16x16x16_f16 v[114:121], v[90:97], v[98:105], v[114:121]
	v_dual_mul_f32 v92, s35, v123 :: v_dual_mul_f32 v93, s35, v122
	v_cmp_gt_i32_e32 vcc_lo, s33, v69
	v_cmp_gt_i32_e64 s2, s33, v67
	v_or_b32_e32 v72, 8, v67
	v_or_b32_e32 v75, 10, v67
	v_dual_mul_f32 v90, s35, v125 :: v_dual_mul_f32 v91, s35, v124
	v_mul_f32_e32 v98, s35, v117
	v_cndmask_b32_e64 v93, 0xff7fffff, v93, s2
	v_cndmask_b32_e32 v92, 0xff7fffff, v92, vcc_lo
	v_cmp_gt_i32_e64 s3, s33, v70
	v_cmp_gt_i32_e64 s4, s33, v71
	v_or_b32_e32 v76, 12, v67
	v_or_b32_e32 v77, 14, v67
	v_dual_mul_f32 v89, s35, v126 :: v_dual_mul_f32 v96, s35, v119
	v_cndmask_b32_e64 v70, 0xff7fffff, v91, s3
	v_cndmask_b32_e64 v71, 0xff7fffff, v90, s4
	v_max3_f32 v90, v93, 0xff7fffff, v92
	v_cmp_gt_i32_e64 s5, s33, v72
	v_cmp_gt_i32_e64 s6, s33, v75
	v_or_b32_e32 v78, 16, v67
	v_or_b32_e32 v79, 18, v67
	v_dual_mul_f32 v87, s35, v128 :: v_dual_mul_f32 v94, s35, v121
	v_cndmask_b32_e64 v72, 0xff7fffff, v89, s5
	v_cndmask_b32_e64 v75, 0xff7fffff, v88, s6
	v_max3_f32 v70, v90, v70, v71
	v_cmp_gt_i32_e64 s7, s33, v76
	v_cmp_gt_i32_e64 s8, s33, v77
	v_or_b32_e32 v80, 20, v67
	v_or_b32_e32 v81, 22, v67
	;; [unrolled: 1-line block ×6, first 2 shown]
	v_mul_f32_e32 v69, s35, v115
	v_mul_f32_e32 v67, s35, v114
	v_cndmask_b32_e64 v71, 0xff7fffff, v87, s7
	v_cndmask_b32_e64 v76, 0xff7fffff, v86, s8
	v_max3_f32 v70, v70, v72, v75
	v_cmp_gt_i32_e64 s9, s33, v78
	v_cmp_gt_i32_e64 s10, s33, v79
	v_mul_f32_e32 v99, s35, v116
	v_cmp_gt_i32_e64 s11, s33, v80
	v_max3_f32 v70, v70, v71, v76
	v_cndmask_b32_e64 v67, 0xff7fffff, v67, s9
	v_cndmask_b32_e64 v69, 0xff7fffff, v69, s10
	v_cmp_gt_i32_e64 s12, s33, v81
	v_mul_f32_e32 v97, s35, v118
	v_cndmask_b32_e64 v71, 0xff7fffff, v99, s11
	v_cmp_gt_i32_e64 s13, s33, v82
	v_max3_f32 v67, v70, v67, v69
	v_cndmask_b32_e64 v72, 0xff7fffff, v98, s12
	v_cmp_gt_i32_e64 s16, s33, v83
	v_mul_f32_e32 v95, s35, v120
	v_cndmask_b32_e64 v69, 0xff7fffff, v97, s13
	v_cmp_gt_i32_e64 s17, s33, v84
	v_max3_f32 v67, v67, v71, v72
	v_cndmask_b32_e64 v70, 0xff7fffff, v96, s16
	v_cmp_gt_i32_e64 s18, s33, v85
	v_lshlrev_b32_e32 v75, 2, v68
	v_cndmask_b32_e64 v71, 0xff7fffff, v95, s17
	s_delay_alu instid0(VALU_DEP_4) | instskip(NEXT) | instid1(VALU_DEP_4)
	v_max3_f32 v67, v67, v69, v70
	v_cndmask_b32_e64 v72, 0xff7fffff, v94, s18
	s_delay_alu instid0(VALU_DEP_1) | instskip(SKIP_3) | instid1(VALU_DEP_1)
	v_max3_f32 v67, v67, v71, v72
	ds_bpermute_b32 v68, v75, v67
	s_waitcnt lgkmcnt(0)
	v_max_f32_e32 v68, v68, v68
	v_max_f32_e32 v67, v67, v68
	s_delay_alu instid0(VALU_DEP_1) | instskip(SKIP_4) | instid1(VALU_DEP_4)
	v_fma_f32 v68, s35, v122, -v67
	v_fma_f32 v69, s35, v123, -v67
	;; [unrolled: 1-line block ×5, first 2 shown]
	v_dual_mul_f32 v68, 0x3fb8aa3b, v68 :: v_dual_mul_f32 v69, 0x3fb8aa3b, v69
	s_delay_alu instid0(VALU_DEP_4) | instskip(NEXT) | instid1(VALU_DEP_3)
	v_mul_f32_e32 v72, 0x3fb8aa3b, v72
	v_dual_mul_f32 v70, 0x3fb8aa3b, v70 :: v_dual_mul_f32 v71, 0x3fb8aa3b, v71
	s_delay_alu instid0(VALU_DEP_3) | instskip(NEXT) | instid1(VALU_DEP_3)
	v_exp_f32_e32 v68, v68
	v_exp_f32_e32 v69, v69
	s_delay_alu instid0(VALU_DEP_2) | instskip(NEXT) | instid1(VALU_DEP_1)
	v_exp_f32_e32 v79, v72
	v_exp_f32_e32 v76, v70
	;; [unrolled: 1-line block ×3, first 2 shown]
	v_cndmask_b32_e64 v70, 0, v68, s2
	s_delay_alu instid0(TRANS32_DEP_3)
	v_cndmask_b32_e64 v83, 0, v79, s5
	v_cndmask_b32_e32 v69, 0, v69, vcc_lo
	s_waitcnt_depctr 0xfff
	v_cndmask_b32_e64 v72, 0, v76, s3
	v_add_f32_e32 v77, 0, v70
	v_cndmask_b32_e64 v71, 0, v71, s4
	s_mov_b32 s3, exec_lo
	s_delay_alu instid0(VALU_DEP_2) | instskip(NEXT) | instid1(VALU_DEP_1)
	v_add_f32_e32 v76, v77, v69
	v_add_f32_e32 v76, v76, v72
	s_delay_alu instid0(VALU_DEP_1)
	v_add_f32_e32 v76, v76, v71
	v_fma_f32 v68, s35, v127, -v67
	v_fma_f32 v78, s35, v128, -v67
	;; [unrolled: 1-line block ×5, first 2 shown]
	v_mul_f32_e32 v68, 0x3fb8aa3b, v68
	v_mul_f32_e32 v78, 0x3fb8aa3b, v78
	s_delay_alu instid0(VALU_DEP_4) | instskip(NEXT) | instid1(VALU_DEP_3)
	v_mul_f32_e32 v80, 0x3fb8aa3b, v80
	v_exp_f32_e32 v68, v68
	s_delay_alu instid0(VALU_DEP_2) | instskip(NEXT) | instid1(VALU_DEP_1)
	v_exp_f32_e32 v78, v78
	v_exp_f32_e32 v80, v80
	s_delay_alu instid0(TRANS32_DEP_3)
	v_cndmask_b32_e64 v82, 0, v68, s6
	v_add_f32_e32 v68, v76, v83
	v_fma_f32 v76, s35, v116, -v67
	v_mul_f32_e32 v77, 0x3fb8aa3b, v77
	s_waitcnt_depctr 0xfff
	v_cndmask_b32_e64 v85, 0, v78, s7
	v_fma_f32 v78, s35, v117, -v67
	v_add_f32_e32 v68, v68, v82
	v_mul_f32_e32 v76, 0x3fb8aa3b, v76
	v_exp_f32_e32 v77, v77
	v_mul_f32_e32 v79, 0x3fb8aa3b, v79
	v_cndmask_b32_e64 v87, 0, v80, s9
	v_add_f32_e32 v68, v68, v85
	v_exp_f32_e32 v76, v76
	v_fma_f32 v80, s35, v119, -v67
	v_exp_f32_e32 v79, v79
	s_delay_alu instid0(TRANS32_DEP_3) | instskip(SKIP_3) | instid1(TRANS32_DEP_2)
	v_cndmask_b32_e64 v84, 0, v77, s8
	v_fma_f32 v77, s35, v118, -v67
	v_mul_f32_e32 v78, 0x3fb8aa3b, v78
	v_mul_f32_e32 v80, 0x3fb8aa3b, v80
	v_cndmask_b32_e64 v89, 0, v76, s11
	s_delay_alu instid0(VALU_DEP_4) | instskip(NEXT) | instid1(VALU_DEP_4)
	v_mul_f32_e32 v77, 0x3fb8aa3b, v77
	v_exp_f32_e32 v78, v78
	s_delay_alu instid0(TRANS32_DEP_2) | instskip(SKIP_1) | instid1(VALU_DEP_3)
	v_cndmask_b32_e64 v86, 0, v79, s10
	v_fma_f32 v79, s35, v120, -v67
	v_exp_f32_e32 v77, v77
	s_delay_alu instid0(VALU_DEP_1) | instskip(SKIP_1) | instid1(TRANS32_DEP_3)
	v_mul_f32_e32 v76, 0x3fb8aa3b, v79
	v_exp_f32_e32 v79, v80
	v_cndmask_b32_e64 v88, 0, v78, s12
	v_fma_f32 v78, s35, v121, -v67
	v_add_f32_e32 v68, v68, v84
	v_exp_f32_e32 v76, v76
	s_delay_alu instid0(TRANS32_DEP_3) | instskip(NEXT) | instid1(VALU_DEP_2)
	v_cndmask_b32_e64 v91, 0, v77, s13
	v_dual_mul_f32 v77, 0x3fb8aa3b, v78 :: v_dual_add_f32 v68, v68, v87
	s_delay_alu instid0(TRANS32_DEP_2) | instskip(NEXT) | instid1(VALU_DEP_2)
	v_cndmask_b32_e64 v90, 0, v79, s16
	v_exp_f32_e32 v77, v77
	s_delay_alu instid0(VALU_DEP_2) | instskip(SKIP_4) | instid1(VALU_DEP_2)
	v_add_f32_e32 v68, v68, v86
	s_waitcnt_depctr 0xfff
	v_cndmask_b32_e64 v93, 0, v76, s17
	v_and_b32_e32 v76, 31, v0
	v_add_f32_e32 v68, v68, v89
	v_cmp_lt_u32_e64 s2, 15, v76
	v_cndmask_b32_e64 v92, 0, v77, s18
	s_delay_alu instid0(VALU_DEP_3) | instskip(NEXT) | instid1(VALU_DEP_1)
	v_add_f32_e32 v68, v68, v88
	v_add_f32_e32 v68, v68, v91
	s_delay_alu instid0(VALU_DEP_1) | instskip(NEXT) | instid1(VALU_DEP_1)
	v_add_f32_e32 v68, v68, v90
	v_add_f32_e32 v68, v68, v93
	s_delay_alu instid0(VALU_DEP_1)
	v_add_f32_e32 v68, v68, v92
	ds_bpermute_b32 v75, v75, v68
	v_cmpx_gt_u32_e32 16, v76
	s_cbranch_execz .LBB1326_11
; %bb.10:
	v_mul_u32_u24_e32 v76, 0x44, v66
	s_delay_alu instid0(VALU_DEP_1) | instskip(SKIP_1) | instid1(VALU_DEP_1)
	v_lshl_add_u32 v76, v65, 2, v76
	s_waitcnt lgkmcnt(0)
	v_dual_add_f32 v68, v68, v75 :: v_dual_add_nc_u32 v75, 0x4000, v76
	ds_store_2addr_b32 v75, v67, v68 offset1:136
.LBB1326_11:
	s_or_b32 exec_lo, exec_lo, s3
	v_lshlrev_b32_e32 v67, 2, v65
	s_load_b64 s[36:37], s[0:1], 0x94
	s_waitcnt lgkmcnt(0)
	s_barrier
	buffer_gl0_inv
	v_add_nc_u32_e32 v81, 0x4000, v67
	v_cmp_eq_u32_e32 vcc_lo, 1, v66
	v_cmp_eq_u32_e64 s3, 2, v66
	v_cmp_eq_u32_e64 s5, 3, v66
	;; [unrolled: 1-line block ×3, first 2 shown]
	ds_load_2addr_b32 v[75:76], v81 offset1:17
	ds_load_2addr_b32 v[77:78], v81 offset0:34 offset1:51
	ds_load_2addr_b32 v[79:80], v81 offset0:68 offset1:85
	ds_load_2addr_b32 v[94:95], v81 offset0:102 offset1:119
	ds_load_2addr_b32 v[96:97], v81 offset0:136 offset1:153
	v_cmp_eq_u32_e64 s7, 5, v66
	v_cmp_eq_u32_e64 s4, 6, v66
	s_waitcnt lgkmcnt(4)
	v_max3_f32 v67, v75, 0xff7fffff, v76
	s_waitcnt lgkmcnt(3)
	s_delay_alu instid0(VALU_DEP_1) | instskip(SKIP_1) | instid1(VALU_DEP_1)
	v_max3_f32 v67, v67, v77, v78
	s_waitcnt lgkmcnt(2)
	v_max3_f32 v67, v67, v79, v80
	s_waitcnt lgkmcnt(1)
	s_delay_alu instid0(VALU_DEP_1) | instskip(NEXT) | instid1(VALU_DEP_1)
	v_max3_f32 v67, v67, v94, v95
	v_sub_f32_e32 v68, v75, v67
	s_delay_alu instid0(VALU_DEP_1) | instskip(NEXT) | instid1(VALU_DEP_1)
	v_dual_sub_f32 v79, v79, v67 :: v_dual_mul_f32 v68, 0x3fb8aa3b, v68
	v_mul_f32_e32 v102, 0x3fb8aa3b, v79
	s_delay_alu instid0(VALU_DEP_2) | instskip(SKIP_1) | instid1(VALU_DEP_1)
	v_exp_f32_e32 v99, v68
	v_sub_f32_e32 v68, v78, v67
	v_dual_sub_f32 v98, v76, v67 :: v_dual_mul_f32 v101, 0x3fb8aa3b, v68
	s_delay_alu instid0(VALU_DEP_1)
	v_dual_sub_f32 v77, v77, v67 :: v_dual_mul_f32 v98, 0x3fb8aa3b, v98
	s_waitcnt lgkmcnt(0)
	s_waitcnt_depctr 0xfff
	v_fma_f32 v68, v99, v96, 0
	v_sub_f32_e32 v96, v80, v67
	v_mul_f32_e32 v100, 0x3fb8aa3b, v77
	v_exp_f32_e32 v98, v98
	v_exp_f32_e32 v101, v101
	s_delay_alu instid0(VALU_DEP_1) | instskip(NEXT) | instid1(TRANS32_DEP_3)
	v_exp_f32_e32 v100, v100
	v_fmac_f32_e32 v68, v98, v97
	ds_load_2addr_b32 v[75:76], v81 offset0:170 offset1:187
	ds_load_2addr_b32 v[77:78], v81 offset0:204 offset1:221
	;; [unrolled: 1-line block ×3, first 2 shown]
	v_dual_sub_f32 v81, v94, v67 :: v_dual_mul_f32 v94, 0x3fb8aa3b, v96
	v_exp_f32_e32 v96, v102
	s_waitcnt lgkmcnt(0)
	s_barrier
	s_delay_alu instid0(VALU_DEP_1)
	v_mul_f32_e32 v81, 0x3fb8aa3b, v81
	v_exp_f32_e32 v94, v94
	buffer_gl0_inv
	v_fmac_f32_e32 v68, v100, v75
	v_sub_f32_e32 v75, v95, v67
	v_exp_f32_e32 v95, v81
	s_delay_alu instid0(VALU_DEP_1) | instskip(SKIP_1) | instid1(VALU_DEP_2)
	v_dual_fmac_f32 v68, v101, v76 :: v_dual_mul_f32 v75, 0x3fb8aa3b, v75
	v_cndmask_b32_e32 v76, v99, v98, vcc_lo
	v_fmac_f32_e32 v68, v96, v77
	s_delay_alu instid0(VALU_DEP_3) | instskip(NEXT) | instid1(VALU_DEP_1)
	v_exp_f32_e32 v97, v75
	v_fmac_f32_e32 v68, v94, v78
	s_waitcnt_depctr 0xfff
	v_dual_fmac_f32 v68, v95, v79 :: v_dual_lshlrev_b32 v79, 6, v65
	s_delay_alu instid0(VALU_DEP_1) | instskip(NEXT) | instid1(VALU_DEP_2)
	v_dual_mov_b32 v65, 0 :: v_dual_fmac_f32 v68, v97, v80
	v_lshl_or_b32 v81, v66, 11, v79
	s_delay_alu instid0(VALU_DEP_2) | instskip(NEXT) | instid1(VALU_DEP_1)
	v_add_f32_e32 v80, 0x358637bd, v68
	v_div_scale_f32 v102, null, v80, v80, 1.0
	v_div_scale_f32 v98, vcc_lo, 1.0, v80, 1.0
	s_delay_alu instid0(VALU_DEP_2) | instskip(SKIP_2) | instid1(VALU_DEP_1)
	v_rcp_f32_e32 v103, v102
	s_waitcnt_depctr 0xfff
	v_fma_f32 v75, -v102, v103, 1.0
	v_fmac_f32_e32 v103, v75, v103
	v_cndmask_b32_e64 v75, v76, v100, s3
	v_cmp_eq_u32_e64 s3, 7, v66
	s_delay_alu instid0(VALU_DEP_3) | instskip(NEXT) | instid1(VALU_DEP_3)
	v_mul_f32_e32 v99, v98, v103
	v_cndmask_b32_e64 v76, v75, v101, s5
	v_lshlrev_b32_e32 v75, 2, v74
	s_delay_alu instid0(VALU_DEP_3) | instskip(NEXT) | instid1(VALU_DEP_3)
	v_fma_f32 v77, -v102, v99, v98
	v_cndmask_b32_e64 v96, v76, v96, s6
	s_delay_alu instid0(VALU_DEP_3)
	v_or_b32_e32 v78, 1, v75
	v_or_b32_e32 v76, 2, v75
	v_cmp_eq_u32_e64 s5, 1, v75
	v_fmac_f32_e32 v99, v77, v103
	v_cndmask_b32_e64 v66, v96, v94, s7
	v_or_b32_e32 v77, 3, v75
	v_cmp_eq_u32_e64 s9, 1, v78
	v_cmp_eq_u32_e64 s10, 1, v76
	v_fma_f32 v94, -v102, v99, v98
	v_cndmask_b32_e64 v66, v66, v95, s4
	v_cmp_eq_u32_e64 s11, 1, v77
	v_cmp_eq_u32_e64 s6, 2, v75
	;; [unrolled: 1-line block ×3, first 2 shown]
	v_div_fmas_f32 v94, v94, v103, v99
	v_cndmask_b32_e64 v66, v66, v97, s3
	v_cmp_eq_u32_e64 s17, 2, v77
	v_cmp_eq_u32_e32 vcc_lo, 3, v75
	v_cmp_eq_u32_e64 s13, 3, v78
	v_div_fixup_f32 v94, v94, v80, 1.0
	v_lshl_or_b32 v80, v74, 4, v81
	v_cmp_eq_u32_e64 s16, 2, v76
	v_cmp_eq_u32_e64 s19, 3, v77
	;; [unrolled: 1-line block ×3, first 2 shown]
	v_mul_f32_e32 v66, v66, v94
	v_cmp_eq_u32_e64 s18, 3, v76
	v_cmp_eq_u32_e64 s20, 4, v78
	;; [unrolled: 1-line block ×4, first 2 shown]
	v_fma_mixlo_f16 v94, v66, v70, 0
	v_fma_mixlo_f16 v95, v66, v72, 0
	;; [unrolled: 1-line block ×8, first 2 shown]
	v_fma_mixhi_f16 v94, v66, v69, 0
	v_fma_mixhi_f16 v95, v66, v71, 0
	;; [unrolled: 1-line block ×8, first 2 shown]
	ds_store_b128 v80, v[94:97]
	ds_store_b128 v80, v[98:101] offset:1024
	s_waitcnt lgkmcnt(0)
	s_barrier
	buffer_gl0_inv
	ds_load_b128 v[69:72], v81
	ds_load_b128 v[82:85], v81 offset:16
	ds_load_b128 v[86:89], v81 offset:1024
	;; [unrolled: 1-line block ×3, first 2 shown]
	v_cmp_eq_u32_e64 s21, 5, v78
	v_cmp_eq_u32_e64 s22, 4, v76
	;; [unrolled: 1-line block ×12, first 2 shown]
	s_waitcnt lgkmcnt(3)
	v_lshrrev_b32_e32 v66, 16, v69
	s_waitcnt lgkmcnt(2)
	v_lshrrev_b32_e32 v97, 16, v82
	;; [unrolled: 2-line block ×4, first 2 shown]
	v_lshrrev_b32_e32 v94, 16, v70
	v_cndmask_b32_e64 v109, v69, v66, s5
	v_cndmask_b32_e64 v110, v82, v97, s5
	;; [unrolled: 1-line block ×7, first 2 shown]
	v_lshrrev_b32_e32 v98, 16, v83
	v_cndmask_b32_e64 v114, v82, v97, s10
	v_cndmask_b32_e64 v82, v86, v101, s5
	;; [unrolled: 1-line block ×15, first 2 shown]
	v_lshrrev_b32_e32 v102, 16, v87
	v_lshrrev_b32_e32 v106, 16, v91
	v_cndmask_b32_e64 v111, v113, v70, s16
	v_cndmask_b32_e64 v112, v114, v83, s16
	;; [unrolled: 1-line block ×7, first 2 shown]
	v_cndmask_b32_e32 v87, v101, v94, vcc_lo
	v_cndmask_b32_e32 v101, v105, v98, vcc_lo
	v_cndmask_b32_e64 v105, v109, v94, s13
	v_cndmask_b32_e64 v109, v110, v98, s13
	;; [unrolled: 1-line block ×4, first 2 shown]
	v_lshrrev_b32_e32 v95, 16, v71
	v_lshrrev_b32_e32 v99, 16, v84
	v_cndmask_b32_e64 v110, v111, v94, s18
	v_cndmask_b32_e64 v111, v112, v98, s18
	v_cndmask_b32_e32 v70, v70, v102, vcc_lo
	v_cndmask_b32_e32 v82, v82, v106, vcc_lo
	v_cndmask_b32_e64 v83, v83, v102, s13
	v_cndmask_b32_e64 v87, v87, v71, s4
	;; [unrolled: 1-line block ×7, first 2 shown]
	v_lshrrev_b32_e32 v103, 16, v88
	v_lshrrev_b32_e32 v107, 16, v92
	v_cndmask_b32_e64 v105, v110, v71, s22
	v_cndmask_b32_e64 v109, v111, v84, s22
	;; [unrolled: 1-line block ×11, first 2 shown]
	v_lshrrev_b32_e32 v96, 16, v72
	v_lshrrev_b32_e32 v100, 16, v85
	v_cndmask_b32_e64 v98, v105, v95, s24
	v_cndmask_b32_e64 v101, v109, v99, s24
	;; [unrolled: 1-line block ×11, first 2 shown]
	v_lshrrev_b32_e32 v104, 16, v89
	v_cndmask_b32_e64 v95, v98, v72, s27
	v_cndmask_b32_e64 v98, v101, v85, s27
	;; [unrolled: 1-line block ×14, first 2 shown]
	v_perm_b32 v72, v69, v66, 0x5040100
	v_perm_b32 v70, v94, v84, 0x5040100
	v_cndmask_b32_e64 v66, v90, v91, s17
	v_cndmask_b32_e64 v69, v118, v91, s16
	v_cndmask_b32_e64 v84, v116, v91, s12
	v_cndmask_b32_e64 v98, v71, v104, s31
	v_perm_b32 v71, v95, v87, 0x5040100
	v_cndmask_b32_e64 v87, v97, v102, s18
	v_cndmask_b32_e64 v86, v86, v102, s19
	;; [unrolled: 1-line block ×15, first 2 shown]
	v_lshrrev_b32_e32 v108, 16, v93
	v_cndmask_b32_e64 v87, v87, v89, s27
	v_cndmask_b32_e64 v86, v86, v89, s28
	;; [unrolled: 1-line block ×11, first 2 shown]
	v_perm_b32 v69, v83, v82, 0x5040100
	v_perm_b32 v85, v66, v86, 0x5040100
	;; [unrolled: 1-line block ×5, first 2 shown]
	s_mov_b32 s3, exec_lo
	ds_store_b128 v80, v[69:72]
	ds_store_b128 v80, v[82:85] offset:1024
	v_cmpx_eq_u32_e32 0, v0
	s_cbranch_execz .LBB1326_13
; %bb.12:
	s_load_b128 s[4:7], s[0:1], 0x58
	s_mul_i32 s8, s37, s34
	s_delay_alu instid0(SALU_CYCLE_1) | instskip(NEXT) | instid1(SALU_CYCLE_1)
	s_add_i32 s8, s8, s15
	s_mul_i32 s8, s8, s36
	s_delay_alu instid0(SALU_CYCLE_1) | instskip(NEXT) | instid1(SALU_CYCLE_1)
	s_add_i32 s8, s8, s14
	s_ashr_i32 s9, s8, 31
	s_delay_alu instid0(SALU_CYCLE_1)
	s_lshl_b64 s[8:9], s[8:9], 2
	s_waitcnt lgkmcnt(0)
	s_add_u32 s6, s6, s8
	s_addc_u32 s7, s7, s9
	s_add_u32 s4, s4, s8
	s_addc_u32 s5, s5, s9
	s_clause 0x1
	global_store_b32 v65, v67, s[6:7]
	global_store_b32 v65, v68, s[4:5]
.LBB1326_13:
	s_or_b32 exec_lo, exec_lo, s3
	s_waitcnt lgkmcnt(0)
	s_waitcnt_vscnt null, 0x0
	s_barrier
	buffer_gl0_inv
	ds_load_b128 v[82:85], v79
	ds_load_b128 v[86:89], v79 offset:16
	ds_load_b128 v[94:97], v79 offset:2064
	;; [unrolled: 1-line block ×5, first 2 shown]
	v_mov_b32_e32 v66, v65
	v_mov_b32_e32 v67, v65
	;; [unrolled: 1-line block ×7, first 2 shown]
	ds_load_b128 v[110:113], v79 offset:6160
	ds_load_b128 v[106:109], v79 offset:6144
	v_cmp_eq_u32_e32 vcc_lo, 1, v75
	v_cmp_eq_u32_e64 s3, 1, v78
	v_cmp_eq_u32_e64 s4, 1, v77
	;; [unrolled: 1-line block ×5, first 2 shown]
	s_xor_b32 s2, s2, -1
	s_waitcnt lgkmcnt(6)
	v_wmma_f32_16x16x16_f16 v[65:72], v[49:56], v[82:89], v[65:72]
	ds_load_b128 v[53:56], v79 offset:8208
	ds_load_b128 v[49:52], v79 offset:8192
	;; [unrolled: 1-line block ×4, first 2 shown]
	s_waitcnt lgkmcnt(8)
	v_wmma_f32_16x16x16_f16 v[65:72], v[41:48], v[90:97], v[65:72]
	ds_load_b128 v[45:48], v79 offset:12304
	ds_load_b128 v[41:44], v79 offset:12288
	s_waitcnt lgkmcnt(8)
	v_wmma_f32_16x16x16_f16 v[65:72], v[33:40], v[98:105], v[65:72]
	ds_load_b128 v[37:40], v79 offset:14352
	ds_load_b128 v[33:36], v79 offset:14336
	s_waitcnt lgkmcnt(0)
	s_barrier
	buffer_gl0_inv
	v_wmma_f32_16x16x16_f16 v[65:72], v[1:8], v[106:113], v[65:72]
	s_delay_alu instid0(VALU_DEP_1) | instskip(NEXT) | instid1(VALU_DEP_1)
	v_wmma_f32_16x16x16_f16 v[65:72], v[9:16], v[49:56], v[65:72]
	v_wmma_f32_16x16x16_f16 v[65:72], v[17:24], v[82:89], v[65:72]
	s_delay_alu instid0(VALU_DEP_1) | instskip(NEXT) | instid1(VALU_DEP_1)
	v_wmma_f32_16x16x16_f16 v[65:72], v[25:32], v[41:48], v[65:72]
	v_wmma_f32_16x16x16_f16 v[65:72], v[57:64], v[33:40], v[65:72]
	s_delay_alu instid0(VALU_DEP_1) | instskip(NEXT) | instid1(VALU_DEP_2)
	v_cvt_f16_f32_e32 v1, v65
	v_cvt_f16_f32_e32 v2, v66
	s_delay_alu instid0(VALU_DEP_3) | instskip(NEXT) | instid1(VALU_DEP_4)
	v_cvt_f16_f32_e32 v3, v67
	v_cvt_f16_f32_e32 v4, v68
	;; [unrolled: 1-line block ×6, first 2 shown]
	v_pack_b32_f16 v1, v1, v2
	v_pack_b32_f16 v2, v3, v4
	;; [unrolled: 1-line block ×3, first 2 shown]
	s_delay_alu instid0(VALU_DEP_4)
	v_pack_b32_f16 v4, v7, v8
	ds_store_b128 v80, v[1:4]
	s_waitcnt lgkmcnt(0)
	s_barrier
	buffer_gl0_inv
	ds_load_b128 v[1:4], v81
	ds_load_b128 v[5:8], v81 offset:16
	s_waitcnt lgkmcnt(1)
	v_lshrrev_b32_e32 v9, 16, v1
	s_waitcnt lgkmcnt(0)
	v_lshrrev_b32_e32 v13, 16, v5
	v_lshrrev_b32_e32 v16, 16, v8
	;; [unrolled: 1-line block ×4, first 2 shown]
	v_cndmask_b32_e32 v17, v1, v9, vcc_lo
	v_cndmask_b32_e32 v18, v5, v13, vcc_lo
	v_cmp_eq_u32_e32 vcc_lo, 1, v76
	v_cndmask_b32_e64 v19, v1, v9, s3
	v_cndmask_b32_e64 v20, v5, v13, s3
	v_cmp_eq_u32_e64 s3, 2, v76
	v_lshrrev_b32_e32 v11, 16, v3
	v_cndmask_b32_e32 v21, v1, v9, vcc_lo
	v_cndmask_b32_e32 v22, v5, v13, vcc_lo
	v_cndmask_b32_e64 v1, v1, v9, s4
	v_cmp_eq_u32_e32 vcc_lo, 2, v77
	v_cndmask_b32_e64 v5, v5, v13, s4
	v_cmp_eq_u32_e64 s4, 2, v78
	v_cndmask_b32_e64 v9, v17, v2, s5
	v_cndmask_b32_e64 v13, v18, v6, s5
	v_cmp_eq_u32_e64 s5, 3, v78
	v_cndmask_b32_e32 v1, v1, v2, vcc_lo
	v_cndmask_b32_e64 v17, v19, v2, s4
	v_cndmask_b32_e64 v18, v20, v6, s4
	;; [unrolled: 1-line block ×4, first 2 shown]
	v_cndmask_b32_e32 v2, v5, v6, vcc_lo
	v_cmp_eq_u32_e32 vcc_lo, 3, v76
	v_cmp_eq_u32_e64 s4, 3, v77
	v_cndmask_b32_e64 v5, v9, v10, s6
	v_cndmask_b32_e64 v6, v13, v14, s6
	v_cndmask_b32_e64 v9, v17, v10, s5
	v_cndmask_b32_e64 v13, v18, v14, s5
	v_cndmask_b32_e32 v17, v19, v10, vcc_lo
	v_cmp_eq_u32_e64 s3, 4, v76
	v_cndmask_b32_e32 v18, v20, v14, vcc_lo
	v_cndmask_b32_e64 v1, v1, v10, s4
	v_cmp_eq_u32_e32 vcc_lo, 4, v77
	v_cmp_eq_u32_e64 s5, 4, v75
	v_cndmask_b32_e64 v2, v2, v14, s4
	v_cmp_eq_u32_e64 s4, 4, v78
	v_lshrrev_b32_e32 v15, 16, v7
	v_cmp_eq_u32_e64 s6, 5, v75
	v_cndmask_b32_e64 v5, v5, v3, s5
	v_cndmask_b32_e64 v6, v6, v7, s5
	v_cndmask_b32_e64 v9, v9, v3, s4
	v_cmp_eq_u32_e64 s5, 5, v78
	v_cndmask_b32_e64 v10, v13, v7, s4
	v_cndmask_b32_e64 v13, v17, v3, s3
	;; [unrolled: 1-line block ×3, first 2 shown]
	v_cmp_eq_u32_e64 s4, 5, v76
	v_cndmask_b32_e32 v1, v1, v3, vcc_lo
	v_cndmask_b32_e32 v2, v2, v7, vcc_lo
	v_cmp_eq_u32_e32 vcc_lo, 5, v77
	v_cndmask_b32_e64 v5, v5, v11, s6
	v_cmp_eq_u32_e64 s3, 6, v75
	v_cndmask_b32_e64 v6, v6, v15, s6
	v_cndmask_b32_e64 v9, v9, v11, s5
	;; [unrolled: 1-line block ×4, first 2 shown]
	v_cmp_eq_u32_e64 s5, 6, v78
	v_cndmask_b32_e64 v3, v14, v15, s4
	v_cndmask_b32_e32 v1, v1, v11, vcc_lo
	v_cmp_eq_u32_e64 s4, 6, v77
	v_cndmask_b32_e32 v2, v2, v15, vcc_lo
	v_lshrrev_b32_e32 v12, 16, v4
	v_cndmask_b32_e64 v5, v5, v4, s3
	v_cndmask_b32_e64 v9, v9, v4, s5
	;; [unrolled: 1-line block ×3, first 2 shown]
	v_cmp_eq_u32_e64 s3, 7, v75
	v_cmp_eq_u32_e64 s6, 7, v78
	v_cndmask_b32_e64 v7, v13, v4, s7
	v_cndmask_b32_e64 v3, v3, v8, s7
	;; [unrolled: 1-line block ×3, first 2 shown]
	v_cmp_eq_u32_e32 vcc_lo, 7, v77
	v_cndmask_b32_e64 v2, v2, v8, s4
	v_cmp_eq_u32_e64 s4, 7, v76
	v_cndmask_b32_e64 v4, v10, v8, s5
	v_cndmask_b32_e64 v5, v5, v12, s3
	;; [unrolled: 1-line block ×3, first 2 shown]
	v_cndmask_b32_e32 v2, v2, v16, vcc_lo
	v_cndmask_b32_e64 v7, v7, v12, s4
	v_cndmask_b32_e32 v1, v1, v12, vcc_lo
	v_cndmask_b32_e64 v3, v3, v16, s4
	v_cndmask_b32_e64 v8, v4, v16, s6
	;; [unrolled: 1-line block ×3, first 2 shown]
	v_cmp_gt_u32_e32 vcc_lo, 32, v0
	v_perm_b32 v4, v2, v1, 0x5040100
	v_perm_b32 v3, v3, v7, 0x5040100
	;; [unrolled: 1-line block ×4, first 2 shown]
	s_and_b32 s2, vcc_lo, s2
	ds_store_b128 v80, v[1:4]
	s_waitcnt lgkmcnt(0)
	s_barrier
	buffer_gl0_inv
	s_and_saveexec_b32 s3, s2
	s_cbranch_execz .LBB1326_2
; %bb.14:
	s_load_b64 s[0:1], s[0:1], 0x68
	v_lshlrev_b32_e32 v1, 10, v0
	v_and_b32_e32 v0, 1, v0
	v_lshlrev_b32_e32 v2, 6, v74
	s_lshl_b32 s4, s36, 7
	s_delay_alu instid0(VALU_DEP_3) | instskip(NEXT) | instid1(VALU_DEP_3)
	v_and_b32_e32 v1, 0x3800, v1
	v_lshlrev_b32_e32 v0, 4, v0
	s_mul_i32 s2, s4, s34
	s_delay_alu instid0(SALU_CYCLE_1) | instskip(NEXT) | instid1(VALU_DEP_1)
	s_mul_i32 s2, s2, s37
	v_or3_b32 v0, v1, v2, v0
	s_ashr_i32 s3, s2, 31
	s_delay_alu instid0(SALU_CYCLE_1)
	s_lshl_b64 s[2:3], s[2:3], 1
	ds_load_b128 v[0:3], v0
	s_waitcnt lgkmcnt(0)
	s_add_u32 s5, s0, s2
	s_addc_u32 s3, s1, s3
	s_lshl_b32 s0, s14, 7
	s_mul_i32 s2, s4, s15
	s_ashr_i32 s1, s0, 31
	s_delay_alu instid0(SALU_CYCLE_1) | instskip(NEXT) | instid1(SALU_CYCLE_1)
	s_lshl_b64 s[0:1], s[0:1], 1
	s_add_u32 s4, s5, s0
	s_addc_u32 s5, s3, s1
	s_ashr_i32 s3, s2, 31
	s_delay_alu instid0(SALU_CYCLE_1) | instskip(NEXT) | instid1(SALU_CYCLE_1)
	s_lshl_b64 s[0:1], s[2:3], 1
	s_add_u32 s0, s4, s0
	s_addc_u32 s1, s5, s1
	global_store_b128 v73, v[0:3], s[0:1]
	s_nop 0
	s_sendmsg sendmsg(MSG_DEALLOC_VGPRS)
	s_endpgm
	.section	.rodata,"a",@progbits
	.p2align	6, 0x0
	.amdhsa_kernel _Z39paged_attention_ll4mi_QKV_mfma16_kernelIDF16_hLN4vllm18Fp8KVCacheDataTypeE1EDF16_Li32ELi128ELi256ELb1ELi1EL8MFMAType0EEvPKT_PKT0_S8_ifPKiSA_SA_iPKfiiiPfSD_PS3_PT2_iSC_SC_
		.amdhsa_group_segment_fixed_size 17472
		.amdhsa_private_segment_fixed_size 0
		.amdhsa_kernarg_size 400
		.amdhsa_user_sgpr_count 13
		.amdhsa_user_sgpr_dispatch_ptr 0
		.amdhsa_user_sgpr_queue_ptr 0
		.amdhsa_user_sgpr_kernarg_segment_ptr 1
		.amdhsa_user_sgpr_dispatch_id 0
		.amdhsa_user_sgpr_private_segment_size 0
		.amdhsa_wavefront_size32 1
		.amdhsa_uses_dynamic_stack 0
		.amdhsa_enable_private_segment 0
		.amdhsa_system_sgpr_workgroup_id_x 1
		.amdhsa_system_sgpr_workgroup_id_y 1
		.amdhsa_system_sgpr_workgroup_id_z 1
		.amdhsa_system_sgpr_workgroup_info 0
		.amdhsa_system_vgpr_workitem_id 0
		.amdhsa_next_free_vgpr 134
		.amdhsa_next_free_sgpr 68
		.amdhsa_reserve_vcc 1
		.amdhsa_float_round_mode_32 0
		.amdhsa_float_round_mode_16_64 0
		.amdhsa_float_denorm_mode_32 3
		.amdhsa_float_denorm_mode_16_64 3
		.amdhsa_dx10_clamp 1
		.amdhsa_ieee_mode 1
		.amdhsa_fp16_overflow 0
		.amdhsa_workgroup_processor_mode 1
		.amdhsa_memory_ordered 1
		.amdhsa_forward_progress 0
		.amdhsa_shared_vgpr_count 0
		.amdhsa_exception_fp_ieee_invalid_op 0
		.amdhsa_exception_fp_denorm_src 0
		.amdhsa_exception_fp_ieee_div_zero 0
		.amdhsa_exception_fp_ieee_overflow 0
		.amdhsa_exception_fp_ieee_underflow 0
		.amdhsa_exception_fp_ieee_inexact 0
		.amdhsa_exception_int_div_zero 0
	.end_amdhsa_kernel
	.section	.text._Z39paged_attention_ll4mi_QKV_mfma16_kernelIDF16_hLN4vllm18Fp8KVCacheDataTypeE1EDF16_Li32ELi128ELi256ELb1ELi1EL8MFMAType0EEvPKT_PKT0_S8_ifPKiSA_SA_iPKfiiiPfSD_PS3_PT2_iSC_SC_,"axG",@progbits,_Z39paged_attention_ll4mi_QKV_mfma16_kernelIDF16_hLN4vllm18Fp8KVCacheDataTypeE1EDF16_Li32ELi128ELi256ELb1ELi1EL8MFMAType0EEvPKT_PKT0_S8_ifPKiSA_SA_iPKfiiiPfSD_PS3_PT2_iSC_SC_,comdat
.Lfunc_end1326:
	.size	_Z39paged_attention_ll4mi_QKV_mfma16_kernelIDF16_hLN4vllm18Fp8KVCacheDataTypeE1EDF16_Li32ELi128ELi256ELb1ELi1EL8MFMAType0EEvPKT_PKT0_S8_ifPKiSA_SA_iPKfiiiPfSD_PS3_PT2_iSC_SC_, .Lfunc_end1326-_Z39paged_attention_ll4mi_QKV_mfma16_kernelIDF16_hLN4vllm18Fp8KVCacheDataTypeE1EDF16_Li32ELi128ELi256ELb1ELi1EL8MFMAType0EEvPKT_PKT0_S8_ifPKiSA_SA_iPKfiiiPfSD_PS3_PT2_iSC_SC_
                                        ; -- End function
	.section	.AMDGPU.csdata,"",@progbits
; Kernel info:
; codeLenInByte = 6404
; NumSgprs: 70
; NumVgprs: 134
; ScratchSize: 0
; MemoryBound: 1
; FloatMode: 240
; IeeeMode: 1
; LDSByteSize: 17472 bytes/workgroup (compile time only)
; SGPRBlocks: 8
; VGPRBlocks: 16
; NumSGPRsForWavesPerEU: 70
; NumVGPRsForWavesPerEU: 134
; Occupancy: 10
; WaveLimiterHint : 1
; COMPUTE_PGM_RSRC2:SCRATCH_EN: 0
; COMPUTE_PGM_RSRC2:USER_SGPR: 13
; COMPUTE_PGM_RSRC2:TRAP_HANDLER: 0
; COMPUTE_PGM_RSRC2:TGID_X_EN: 1
; COMPUTE_PGM_RSRC2:TGID_Y_EN: 1
; COMPUTE_PGM_RSRC2:TGID_Z_EN: 1
; COMPUTE_PGM_RSRC2:TIDIG_COMP_CNT: 0
	.section	.text._Z39paged_attention_ll4mi_QKV_mfma16_kernelIDF16_hLN4vllm18Fp8KVCacheDataTypeE1EDF16_Li32ELi128ELi256ELb1ELi2EL8MFMAType0EEvPKT_PKT0_S8_ifPKiSA_SA_iPKfiiiPfSD_PS3_PT2_iSC_SC_,"axG",@progbits,_Z39paged_attention_ll4mi_QKV_mfma16_kernelIDF16_hLN4vllm18Fp8KVCacheDataTypeE1EDF16_Li32ELi128ELi256ELb1ELi2EL8MFMAType0EEvPKT_PKT0_S8_ifPKiSA_SA_iPKfiiiPfSD_PS3_PT2_iSC_SC_,comdat
	.protected	_Z39paged_attention_ll4mi_QKV_mfma16_kernelIDF16_hLN4vllm18Fp8KVCacheDataTypeE1EDF16_Li32ELi128ELi256ELb1ELi2EL8MFMAType0EEvPKT_PKT0_S8_ifPKiSA_SA_iPKfiiiPfSD_PS3_PT2_iSC_SC_ ; -- Begin function _Z39paged_attention_ll4mi_QKV_mfma16_kernelIDF16_hLN4vllm18Fp8KVCacheDataTypeE1EDF16_Li32ELi128ELi256ELb1ELi2EL8MFMAType0EEvPKT_PKT0_S8_ifPKiSA_SA_iPKfiiiPfSD_PS3_PT2_iSC_SC_
	.globl	_Z39paged_attention_ll4mi_QKV_mfma16_kernelIDF16_hLN4vllm18Fp8KVCacheDataTypeE1EDF16_Li32ELi128ELi256ELb1ELi2EL8MFMAType0EEvPKT_PKT0_S8_ifPKiSA_SA_iPKfiiiPfSD_PS3_PT2_iSC_SC_
	.p2align	8
	.type	_Z39paged_attention_ll4mi_QKV_mfma16_kernelIDF16_hLN4vllm18Fp8KVCacheDataTypeE1EDF16_Li32ELi128ELi256ELb1ELi2EL8MFMAType0EEvPKT_PKT0_S8_ifPKiSA_SA_iPKfiiiPfSD_PS3_PT2_iSC_SC_,@function
_Z39paged_attention_ll4mi_QKV_mfma16_kernelIDF16_hLN4vllm18Fp8KVCacheDataTypeE1EDF16_Li32ELi128ELi256ELb1ELi2EL8MFMAType0EEvPKT_PKT0_S8_ifPKiSA_SA_iPKfiiiPfSD_PS3_PT2_iSC_SC_: ; @_Z39paged_attention_ll4mi_QKV_mfma16_kernelIDF16_hLN4vllm18Fp8KVCacheDataTypeE1EDF16_Li32ELi128ELi256ELb1ELi2EL8MFMAType0EEvPKT_PKT0_S8_ifPKiSA_SA_iPKfiiiPfSD_PS3_PT2_iSC_SC_
; %bb.0:
	s_load_b64 s[2:3], s[0:1], 0x30
	s_mov_b32 s34, s13
	s_waitcnt lgkmcnt(0)
	s_cmp_lg_u64 s[2:3], 0
	s_cselect_b32 s8, -1, 0
	s_ashr_i32 s35, s13, 31
	s_cmp_eq_u64 s[2:3], 0
	s_cbranch_scc1 .LBB1327_3
; %bb.1:
	s_lshl_b64 s[4:5], s[34:35], 2
	s_delay_alu instid0(SALU_CYCLE_1) | instskip(SKIP_4) | instid1(SALU_CYCLE_1)
	s_add_u32 s4, s2, s4
	s_addc_u32 s5, s3, s5
	s_load_b64 s[4:5], s[4:5], 0x0
	s_waitcnt lgkmcnt(0)
	s_sub_i32 s4, s5, s4
	s_cmp_eq_u32 s4, 1
	s_cselect_b32 s4, -1, 0
	s_delay_alu instid0(SALU_CYCLE_1)
	s_and_not1_b32 vcc_lo, exec_lo, s4
	s_cbranch_vccz .LBB1327_4
.LBB1327_2:
	s_endpgm
.LBB1327_3:
.LBB1327_4:
	s_load_b64 s[4:5], s[0:1], 0x28
	s_lshl_b64 s[6:7], s[34:35], 2
	s_waitcnt lgkmcnt(0)
	s_add_u32 s4, s4, s6
	s_addc_u32 s5, s5, s7
	s_lshl_b32 s12, s14, 8
	s_load_b32 s24, s[4:5], 0x0
	s_waitcnt lgkmcnt(0)
	s_cmp_ge_i32 s12, s24
	s_cbranch_scc1 .LBB1327_2
; %bb.5:
	s_clause 0x1
	s_load_b128 s[20:23], s[0:1], 0x8
	s_load_b64 s[4:5], s[0:1], 0x20
	s_and_not1_b32 vcc_lo, exec_lo, s8
	s_cbranch_vccnz .LBB1327_7
; %bb.6:
	s_add_u32 s2, s2, s6
	s_addc_u32 s3, s3, s7
	s_load_b32 s3, s[2:3], 0x0
	s_branch .LBB1327_8
.LBB1327_7:
	s_mov_b32 s3, s34
.LBB1327_8:
	s_load_b128 s[16:19], s[0:1], 0x48
	v_and_b32_e32 v70, 15, v0
	v_bfe_u32 v69, v0, 4, 1
	s_lshl_b32 s31, s15, 1
	v_and_b32_e32 v71, 31, v0
	v_and_b32_e32 v68, 1, v0
	v_lshlrev_b32_e32 v1, 3, v70
	v_cmp_gt_u32_e64 s2, 32, v0
	v_or_b32_e32 v67, s31, v69
	v_lshlrev_b32_e32 v66, 6, v69
	s_delay_alu instid0(VALU_DEP_4) | instskip(NEXT) | instid1(VALU_DEP_4)
	v_lshlrev_b32_e32 v65, 1, v1
	s_and_saveexec_b32 s6, s2
	s_cbranch_execz .LBB1327_10
; %bb.9:
	s_load_b64 s[8:9], s[0:1], 0x0
	v_lshlrev_b32_e32 v1, 7, v67
	s_waitcnt lgkmcnt(0)
	s_mul_hi_i32 s11, s3, s16
	s_mul_i32 s10, s3, s16
	v_lshlrev_b32_e32 v5, 10, v70
	s_lshl_b64 s[10:11], s[10:11], 1
	v_ashrrev_i32_e32 v2, 31, v1
	v_lshlrev_b32_e32 v6, 10, v68
	s_delay_alu instid0(VALU_DEP_3) | instskip(NEXT) | instid1(VALU_DEP_3)
	v_and_b32_e32 v5, 0x3800, v5
	v_lshlrev_b64 v[1:2], 1, v[1:2]
	s_delay_alu instid0(VALU_DEP_2) | instskip(SKIP_2) | instid1(VALU_DEP_2)
	v_or3_b32 v5, v5, v6, v66
	s_add_u32 s3, s8, s10
	s_addc_u32 s7, s9, s11
	v_add_co_u32 v1, vcc_lo, s3, v1
	s_delay_alu instid0(VALU_DEP_3) | instskip(NEXT) | instid1(VALU_DEP_2)
	v_add_co_ci_u32_e32 v2, vcc_lo, s7, v2, vcc_lo
	v_add_co_u32 v1, vcc_lo, v1, v65
	s_delay_alu instid0(VALU_DEP_2)
	v_add_co_ci_u32_e32 v2, vcc_lo, 0, v2, vcc_lo
	global_load_b128 v[1:4], v[1:2], off
	s_waitcnt vmcnt(0)
	ds_store_b128 v5, v[1:4]
.LBB1327_10:
	s_or_b32 exec_lo, exec_lo, s6
	v_and_b32_e32 v1, 0xef, v0
	s_waitcnt lgkmcnt(0)
	s_add_i32 s3, s24, 31
	s_clause 0x1
	s_load_b32 s6, s[0:1], 0x38
	s_load_b32 s33, s[0:1], 0x98
	s_ashr_i32 s7, s3, 31
	v_add_nc_u32_e32 v1, s12, v1
	s_lshr_b32 s7, s7, 27
	s_load_b32 s19, s[0:1], 0x1c
	s_add_i32 s3, s3, s7
	s_waitcnt lgkmcnt(0)
	v_ashrrev_i32_e32 v2, 31, v1
	v_or_b32_e32 v3, 16, v1
	s_ashr_i32 s3, s3, 5
	v_cmp_gt_i32_e32 vcc_lo, s24, v1
	s_add_i32 s3, s3, -1
	v_lshrrev_b32_e32 v2, 27, v2
	s_barrier
	buffer_gl0_inv
	s_mul_i32 s35, s15, s18
	v_lshrrev_b32_e32 v72, 5, v0
	v_add_nc_u32_e32 v4, v1, v2
	s_mul_i32 s6, s34, s6
	s_delay_alu instid0(SALU_CYCLE_1) | instskip(NEXT) | instid1(VALU_DEP_1)
	s_ashr_i32 s7, s6, 31
	v_ashrrev_i32_e32 v4, 5, v4
	v_add_nc_u32_e32 v2, v3, v2
	s_lshl_b64 s[6:7], s[6:7], 2
	s_delay_alu instid0(SALU_CYCLE_1) | instskip(NEXT) | instid1(VALU_DEP_2)
	s_add_u32 s25, s4, s6
	v_cndmask_b32_e32 v1, s3, v4, vcc_lo
	s_delay_alu instid0(VALU_DEP_2)
	v_ashrrev_i32_e32 v2, 5, v2
	v_cmp_gt_i32_e32 vcc_lo, s24, v3
	s_addc_u32 s30, s5, s7
	s_ashr_i32 s38, s35, 31
	s_add_u32 s4, s20, s35
	s_addc_u32 s5, s21, s38
	v_cndmask_b32_e32 v3, s3, v2, vcc_lo
	v_ashrrev_i32_e32 v2, 31, v1
	s_lshl_b32 s6, s14, 3
	s_delay_alu instid0(SALU_CYCLE_1) | instskip(NEXT) | instid1(VALU_DEP_2)
	s_ashr_i32 s7, s6, 31
	v_ashrrev_i32_e32 v4, 31, v3
	s_delay_alu instid0(VALU_DEP_2) | instskip(SKIP_1) | instid1(SALU_CYCLE_1)
	v_lshlrev_b64 v[1:2], 2, v[1:2]
	s_lshl_b64 s[6:7], s[6:7], 2
	s_add_u32 s6, s25, s6
	s_delay_alu instid0(VALU_DEP_2) | instskip(SKIP_1) | instid1(VALU_DEP_2)
	v_lshlrev_b64 v[3:4], 2, v[3:4]
	s_addc_u32 s7, s30, s7
	v_add_co_u32 v1, vcc_lo, s25, v1
	v_add_co_ci_u32_e32 v2, vcc_lo, s30, v2, vcc_lo
	s_delay_alu instid0(VALU_DEP_3) | instskip(NEXT) | instid1(VALU_DEP_4)
	v_add_co_u32 v3, vcc_lo, s25, v3
	v_add_co_ci_u32_e32 v4, vcc_lo, s30, v4, vcc_lo
	s_clause 0x1
	global_load_b32 v5, v[1:2], off
	global_load_b32 v6, v[3:4], off
	s_or_b32 s8, s12, 32
	s_delay_alu instid0(SALU_CYCLE_1) | instskip(SKIP_2) | instid1(SALU_CYCLE_1)
	s_ashr_i32 s9, s8, 5
	s_cmp_lt_i32 s8, s24
	s_cselect_b32 s8, s9, s3
	s_ashr_i32 s9, s8, 31
	s_delay_alu instid0(SALU_CYCLE_1) | instskip(NEXT) | instid1(SALU_CYCLE_1)
	s_lshl_b64 s[8:9], s[8:9], 2
	s_add_u32 s8, s25, s8
	s_addc_u32 s9, s30, s9
	s_or_b32 s10, s12, 64
	s_delay_alu instid0(SALU_CYCLE_1) | instskip(SKIP_2) | instid1(SALU_CYCLE_1)
	s_ashr_i32 s11, s10, 5
	s_cmp_lt_i32 s10, s24
	s_cselect_b32 s10, s11, s3
	s_ashr_i32 s11, s10, 31
	s_delay_alu instid0(SALU_CYCLE_1) | instskip(NEXT) | instid1(SALU_CYCLE_1)
	s_lshl_b64 s[10:11], s[10:11], 2
	s_add_u32 s10, s25, s10
	s_addc_u32 s11, s30, s11
	;; [unrolled: 10-line block ×5, first 2 shown]
	s_clause 0x5
	s_load_b32 s21, s[6:7], 0x0
	s_load_b32 s13, s[8:9], 0x0
	;; [unrolled: 1-line block ×6, first 2 shown]
	s_or_b32 s7, s12, 0xc0
	s_delay_alu instid0(SALU_CYCLE_1) | instskip(SKIP_2) | instid1(SALU_CYCLE_1)
	s_ashr_i32 s8, s7, 5
	s_cmp_lt_i32 s7, s24
	s_cselect_b32 s10, s8, s3
	s_ashr_i32 s11, s10, 31
	s_delay_alu instid0(SALU_CYCLE_1) | instskip(NEXT) | instid1(SALU_CYCLE_1)
	s_lshl_b64 s[26:27], s[10:11], 2
	s_add_u32 s26, s25, s26
	s_addc_u32 s27, s30, s27
	s_or_b32 s28, s12, 0xe0
	s_delay_alu instid0(SALU_CYCLE_1)
	s_ashr_i32 s29, s28, 5
	s_cmp_lt_i32 s28, s24
	s_waitcnt vmcnt(1)
	v_mad_i64_i32 v[1:2], null, v5, s17, s[4:5]
	s_waitcnt vmcnt(0)
	v_mad_i64_i32 v[3:4], null, v6, s17, s[4:5]
	s_mov_b32 s4, 0
	s_delay_alu instid0(SALU_CYCLE_1)
	s_mov_b32 s5, s4
	s_mov_b32 s6, s4
	;; [unrolled: 1-line block ×7, first 2 shown]
	s_delay_alu instid0(SALU_CYCLE_1) | instskip(SKIP_2) | instid1(VALU_DEP_3)
	v_dual_mov_b32 v120, s11 :: v_dual_lshlrev_b32 v5, 4, v70
	v_dual_mov_b32 v116, s7 :: v_dual_lshlrev_b32 v145, 6, v68
	v_mov_b32_e32 v114, s5
	v_add_co_u32 v1, vcc_lo, v1, v5
	v_add_co_ci_u32_e32 v2, vcc_lo, 0, v2, vcc_lo
	v_add_co_u32 v3, vcc_lo, v3, v5
	v_add_co_ci_u32_e32 v4, vcc_lo, 0, v4, vcc_lo
	s_clause 0xf
	global_load_b128 v[9:12], v[1:2], off
	global_load_b128 v[13:16], v[1:2], off offset:512
	global_load_b128 v[17:20], v[3:4], off offset:256
	;; [unrolled: 1-line block ×15, first 2 shown]
	v_dual_mov_b32 v119, s10 :: v_dual_mov_b32 v118, s9
	v_mov_b32_e32 v117, s8
	v_mov_b32_e32 v115, s6
	;; [unrolled: 1-line block ×3, first 2 shown]
	s_cselect_b32 s4, s29, s3
	v_lshlrev_b32_e32 v1, 5, v70
	s_ashr_i32 s5, s4, 31
	ds_load_b128 v[25:28], v145
	ds_load_b128 v[29:32], v145 offset:1024
	s_lshl_b64 s[4:5], s[4:5], 2
	s_load_b32 s3, s[26:27], 0x0
	s_add_u32 s4, s25, s4
	s_addc_u32 s5, s30, s5
	ds_load_b128 v[121:124], v145 offset:2048
	ds_load_b128 v[125:128], v145 offset:3072
	s_load_b32 s4, s[4:5], 0x0
	v_lshl_or_b32 v1, v72, 9, v1
	s_add_u32 s6, s22, s35
	s_addc_u32 s7, s23, s38
	s_delay_alu instid0(VALU_DEP_1) | instskip(NEXT) | instid1(VALU_DEP_1)
	v_add_co_u32 v129, s6, s6, v1
	v_add_co_ci_u32_e64 v130, null, s7, 0, s6
	s_waitcnt lgkmcnt(0)
	s_delay_alu instid0(VALU_DEP_1)
	v_mad_i64_i32 v[1:2], null, s21, s17, v[129:130]
	v_mad_i64_i32 v[3:4], null, s13, s17, v[129:130]
	;; [unrolled: 1-line block ×8, first 2 shown]
	s_clause 0x7
	global_load_b128 v[49:52], v[1:2], off
	global_load_b128 v[53:56], v[1:2], off offset:16
	global_load_b128 v[41:44], v[3:4], off
	global_load_b128 v[45:48], v[3:4], off offset:16
	;; [unrolled: 2-line block ×4, first 2 shown]
	s_waitcnt vmcnt(22)
	v_wmma_f32_16x16x16_f16 v[129:136], v[9:16], v[25:32], v[113:120]
	s_waitcnt vmcnt(20)
	v_wmma_f32_16x16x16_f16 v[113:120], v[17:24], v[25:32], v[113:120]
	s_clause 0x5
	global_load_b128 v[9:12], v[137:138], off
	global_load_b128 v[13:16], v[137:138], off offset:16
	global_load_b128 v[17:20], v[139:140], off
	global_load_b128 v[21:24], v[139:140], off offset:16
	;; [unrolled: 2-line block ×3, first 2 shown]
	v_mbcnt_lo_u32_b32 v137, -1, 0
	s_waitcnt vmcnt(24)
	v_wmma_f32_16x16x16_f16 v[129:136], v[57:64], v[121:128], v[129:136]
	s_clause 0x1
	global_load_b128 v[57:60], v[143:144], off
	global_load_b128 v[61:64], v[143:144], off offset:16
	s_waitcnt vmcnt(24)
	v_wmma_f32_16x16x16_f16 v[113:120], v[73:80], v[121:128], v[113:120]
	ds_load_b128 v[73:76], v145 offset:4096
	ds_load_b128 v[77:80], v145 offset:5120
	v_and_b32_e32 v121, 0xe0, v0
	v_xor_b32_e32 v139, 16, v137
	s_delay_alu instid0(VALU_DEP_2)
	v_add_nc_u32_e32 v138, s12, v121
	ds_load_b128 v[121:124], v145 offset:6144
	ds_load_b128 v[125:128], v145 offset:7168
	v_cmp_gt_i32_e32 vcc_lo, 32, v139
	s_waitcnt vmcnt(0) lgkmcnt(0)
	s_barrier
	v_or_b32_e32 v138, v138, v69
	buffer_gl0_inv
	v_or_b32_e32 v140, 4, v138
	v_or_b32_e32 v141, 6, v138
	;; [unrolled: 1-line block ×3, first 2 shown]
	v_wmma_f32_16x16x16_f16 v[129:136], v[81:88], v[73:80], v[129:136]
	v_wmma_f32_16x16x16_f16 v[113:120], v[89:96], v[73:80], v[113:120]
	v_or_b32_e32 v81, 10, v138
	v_cmp_gt_i32_e64 s4, s24, v140
	v_cmp_gt_i32_e64 s5, s24, v141
	v_or_b32_e32 v82, 12, v138
	v_or_b32_e32 v83, 14, v138
	v_wmma_f32_16x16x16_f16 v[129:136], v[97:104], v[121:128], v[129:136]
	v_wmma_f32_16x16x16_f16 v[113:120], v[105:112], v[121:128], v[113:120]
	v_cndmask_b32_e32 v137, v137, v139, vcc_lo
	v_or_b32_e32 v139, 2, v138
	v_cmp_gt_i32_e32 vcc_lo, s24, v138
	v_mul_f32_e32 v90, s19, v130
	v_dual_mul_f32 v92, s19, v120 :: v_dual_mul_f32 v91, s19, v129
	s_delay_alu instid0(VALU_DEP_4) | instskip(SKIP_2) | instid1(VALU_DEP_4)
	v_cmp_gt_i32_e64 s3, s24, v139
	v_dual_mul_f32 v80, s19, v132 :: v_dual_mul_f32 v89, s19, v131
	v_mul_f32_e32 v98, s19, v114
	v_cndmask_b32_e32 v91, 0xff7fffff, v91, vcc_lo
	s_delay_alu instid0(VALU_DEP_4)
	v_cndmask_b32_e64 v90, 0xff7fffff, v90, s3
	v_dual_mul_f32 v78, s19, v134 :: v_dual_mul_f32 v79, s19, v133
	v_mul_f32_e32 v96, s19, v116
	v_cndmask_b32_e64 v89, 0xff7fffff, v89, s4
	v_cndmask_b32_e64 v80, 0xff7fffff, v80, s5
	v_max3_f32 v90, v91, 0xff7fffff, v90
	v_cmp_gt_i32_e64 s6, s24, v142
	v_cmp_gt_i32_e64 s7, s24, v81
	v_or_b32_e32 v84, 16, v138
	v_or_b32_e32 v85, 18, v138
	v_dual_mul_f32 v76, s19, v136 :: v_dual_mul_f32 v77, s19, v135
	v_mul_f32_e32 v94, s19, v118
	v_cndmask_b32_e64 v79, 0xff7fffff, v79, s6
	v_cndmask_b32_e64 v78, 0xff7fffff, v78, s7
	v_max3_f32 v80, v90, v89, v80
	v_cmp_gt_i32_e64 s8, s24, v82
	v_cmp_gt_i32_e64 s9, s24, v83
	v_or_b32_e32 v86, 20, v138
	v_or_b32_e32 v87, 22, v138
	v_mul_f32_e32 v99, s19, v113
	v_cndmask_b32_e64 v77, 0xff7fffff, v77, s8
	v_cndmask_b32_e64 v76, 0xff7fffff, v76, s9
	v_max3_f32 v78, v80, v79, v78
	v_cmp_gt_i32_e64 s10, s24, v84
	v_cmp_gt_i32_e64 s11, s24, v85
	v_or_b32_e32 v88, 24, v138
	v_or_b32_e32 v73, 26, v138
	;; [unrolled: 8-line block ×3, first 2 shown]
	v_mul_f32_e32 v95, s19, v117
	v_cndmask_b32_e64 v77, 0xff7fffff, v97, s12
	v_cndmask_b32_e64 v78, 0xff7fffff, v96, s13
	v_max3_f32 v76, v76, v79, v80
	v_cmp_gt_i32_e64 s15, s24, v88
	v_cmp_gt_i32_e64 s16, s24, v73
	v_mul_f32_e32 v93, s19, v119
	v_cmp_gt_i32_e64 s17, s24, v74
	v_max3_f32 v76, v76, v77, v78
	v_cndmask_b32_e64 v79, 0xff7fffff, v95, s15
	v_cndmask_b32_e64 v73, 0xff7fffff, v94, s16
	v_cmp_gt_i32_e64 s18, s24, v75
	v_cndmask_b32_e64 v74, 0xff7fffff, v93, s17
	s_delay_alu instid0(VALU_DEP_3) | instskip(NEXT) | instid1(VALU_DEP_3)
	v_max3_f32 v73, v76, v79, v73
	v_cndmask_b32_e64 v75, 0xff7fffff, v92, s18
	v_lshlrev_b32_e32 v76, 2, v137
	s_delay_alu instid0(VALU_DEP_2) | instskip(SKIP_3) | instid1(VALU_DEP_1)
	v_max3_f32 v73, v73, v74, v75
	ds_bpermute_b32 v74, v76, v73
	s_waitcnt lgkmcnt(0)
	v_max_f32_e32 v74, v74, v74
	v_max_f32_e32 v73, v73, v74
	s_delay_alu instid0(VALU_DEP_1)
	v_fma_f32 v78, s19, v132, -v73
	v_fma_f32 v74, s19, v129, -v73
	;; [unrolled: 1-line block ×5, first 2 shown]
	v_mul_f32_e32 v78, 0x3fb8aa3b, v78
	v_mul_f32_e32 v74, 0x3fb8aa3b, v74
	s_delay_alu instid0(VALU_DEP_4) | instskip(SKIP_1) | instid1(VALU_DEP_4)
	v_dual_mul_f32 v80, 0x3fb8aa3b, v80 :: v_dual_mul_f32 v83, 0x3fb8aa3b, v83
	v_fma_f32 v77, s19, v131, -v73
	v_exp_f32_e32 v82, v78
	s_delay_alu instid0(VALU_DEP_3) | instskip(NEXT) | instid1(VALU_DEP_2)
	v_exp_f32_e32 v74, v74
	v_exp_f32_e32 v84, v80
	;; [unrolled: 1-line block ×3, first 2 shown]
	v_mul_f32_e32 v77, 0x3fb8aa3b, v77
	s_delay_alu instid0(VALU_DEP_1)
	v_exp_f32_e32 v77, v77
	v_cndmask_b32_e64 v80, 0, v82, s5
	v_fma_f32 v82, s19, v113, -v73
	v_mul_f32_e32 v75, 0x3fb8aa3b, v75
	s_waitcnt_depctr 0xfff
	v_cndmask_b32_e64 v85, 0, v85, s8
	v_cndmask_b32_e32 v79, 0, v74, vcc_lo
	v_fma_f32 v74, s19, v134, -v73
	v_mul_f32_e32 v86, 0x3fb8aa3b, v82
	v_exp_f32_e32 v75, v75
	v_cndmask_b32_e64 v83, 0, v84, s6
	v_cndmask_b32_e64 v81, 0, v77, s4
	v_mul_f32_e32 v74, 0x3fb8aa3b, v74
	v_exp_f32_e32 v86, v86
	s_delay_alu instid0(VALU_DEP_1) | instskip(NEXT) | instid1(TRANS32_DEP_3)
	v_exp_f32_e32 v74, v74
	v_cndmask_b32_e64 v78, 0, v75, s3
	v_add_f32_e32 v75, 0, v79
	s_mov_b32 s3, exec_lo
	s_delay_alu instid0(VALU_DEP_1) | instskip(SKIP_3) | instid1(VALU_DEP_1)
	v_add_f32_e32 v75, v75, v78
	s_waitcnt_depctr 0xfff
	v_cndmask_b32_e64 v82, 0, v74, s7
	v_add_f32_e32 v75, v75, v81
	v_add_f32_e32 v75, v75, v80
	s_delay_alu instid0(VALU_DEP_1)
	v_add_f32_e32 v74, v75, v83
	v_fma_f32 v90, s19, v118, -v73
	v_fma_f32 v84, s19, v114, -v73
	;; [unrolled: 1-line block ×5, first 2 shown]
	v_mul_f32_e32 v90, 0x3fb8aa3b, v90
	v_mul_f32_e32 v84, 0x3fb8aa3b, v84
	s_delay_alu instid0(VALU_DEP_4) | instskip(SKIP_1) | instid1(VALU_DEP_4)
	v_dual_add_f32 v74, v74, v82 :: v_dual_mul_f32 v89, 0x3fb8aa3b, v87
	v_cndmask_b32_e64 v87, 0, v86, s10
	v_exp_f32_e32 v90, v90
	s_delay_alu instid0(VALU_DEP_3) | instskip(NEXT) | instid1(VALU_DEP_2)
	v_exp_f32_e32 v88, v84
	v_add_f32_e32 v74, v74, v85
	v_exp_f32_e32 v91, v89
	v_fma_f32 v92, s19, v120, -v73
	s_delay_alu instid0(TRANS32_DEP_3)
	v_cndmask_b32_e64 v90, 0, v90, s16
	v_mul_f32_e32 v75, 0x3fb8aa3b, v75
	s_waitcnt_depctr 0xfff
	v_cndmask_b32_e64 v86, 0, v88, s11
	v_fma_f32 v88, s19, v119, -v73
	v_exp_f32_e32 v75, v75
	s_waitcnt_depctr 0xfff
	v_cndmask_b32_e64 v89, 0, v75, s12
	v_mul_f32_e32 v75, 0x3fb8aa3b, v88
	v_cndmask_b32_e64 v88, 0, v91, s13
	v_mul_f32_e32 v77, 0x3fb8aa3b, v77
	s_delay_alu instid0(VALU_DEP_3) | instskip(NEXT) | instid1(VALU_DEP_1)
	v_exp_f32_e32 v75, v75
	v_exp_f32_e32 v77, v77
	s_waitcnt_depctr 0xfff
	v_cndmask_b32_e64 v93, 0, v75, s17
	v_cndmask_b32_e64 v84, 0, v77, s9
	v_fma_f32 v77, s19, v117, -v73
	s_delay_alu instid0(VALU_DEP_2) | instskip(NEXT) | instid1(VALU_DEP_1)
	v_add_f32_e32 v74, v74, v84
	v_add_f32_e32 v74, v74, v87
	s_delay_alu instid0(VALU_DEP_1) | instskip(NEXT) | instid1(VALU_DEP_1)
	v_add_f32_e32 v74, v74, v86
	v_add_f32_e32 v74, v74, v89
	s_delay_alu instid0(VALU_DEP_1) | instskip(NEXT) | instid1(VALU_DEP_1)
	v_dual_add_f32 v74, v74, v88 :: v_dual_mul_f32 v77, 0x3fb8aa3b, v77
	v_exp_f32_e32 v77, v77
	s_waitcnt_depctr 0xfff
	v_cndmask_b32_e64 v91, 0, v77, s15
	s_delay_alu instid0(VALU_DEP_1) | instskip(NEXT) | instid1(VALU_DEP_1)
	v_dual_mul_f32 v77, 0x3fb8aa3b, v92 :: v_dual_add_f32 v74, v74, v91
	v_exp_f32_e32 v77, v77
	s_delay_alu instid0(VALU_DEP_1) | instskip(NEXT) | instid1(VALU_DEP_1)
	v_add_f32_e32 v74, v74, v90
	v_add_f32_e32 v74, v74, v93
	s_waitcnt_depctr 0xfff
	v_cndmask_b32_e64 v92, 0, v77, s18
	s_delay_alu instid0(VALU_DEP_1)
	v_add_f32_e32 v74, v74, v92
	ds_bpermute_b32 v75, v76, v74
	v_cmpx_gt_u32_e32 16, v71
	s_cbranch_execz .LBB1327_12
; %bb.11:
	v_mul_u32_u24_e32 v71, 0x44, v72
	s_waitcnt lgkmcnt(0)
	v_add_f32_e32 v74, v74, v75
	s_delay_alu instid0(VALU_DEP_2) | instskip(NEXT) | instid1(VALU_DEP_1)
	v_lshl_add_u32 v71, v70, 2, v71
	v_add_nc_u32_e32 v71, 0x4000, v71
	ds_store_2addr_b32 v71, v73, v74 offset1:136
.LBB1327_12:
	s_or_b32 exec_lo, exec_lo, s3
	v_lshlrev_b32_e32 v71, 2, v70
	s_load_b32 s35, s[0:1], 0x94
	s_waitcnt lgkmcnt(0)
	s_barrier
	buffer_gl0_inv
	v_add_nc_u32_e32 v71, 0x4000, v71
	v_cmp_eq_u32_e32 vcc_lo, 1, v72
	v_cmp_eq_u32_e64 s3, 2, v72
	v_cmp_eq_u32_e64 s4, 3, v72
	;; [unrolled: 1-line block ×3, first 2 shown]
	ds_load_2addr_b32 v[73:74], v71 offset1:17
	ds_load_2addr_b32 v[94:95], v71 offset0:34 offset1:51
	ds_load_2addr_b32 v[96:97], v71 offset0:68 offset1:85
	;; [unrolled: 1-line block ×3, first 2 shown]
	v_cmp_eq_u32_e64 s6, 5, v72
	v_cmp_eq_u32_e64 s7, 7, v72
	s_waitcnt lgkmcnt(3)
	v_max3_f32 v75, v73, 0xff7fffff, v74
	s_waitcnt lgkmcnt(2)
	s_delay_alu instid0(VALU_DEP_1) | instskip(SKIP_1) | instid1(VALU_DEP_1)
	v_max3_f32 v75, v75, v94, v95
	s_waitcnt lgkmcnt(1)
	v_max3_f32 v75, v75, v96, v97
	s_waitcnt lgkmcnt(0)
	s_delay_alu instid0(VALU_DEP_1) | instskip(NEXT) | instid1(VALU_DEP_1)
	v_max3_f32 v76, v75, v98, v99
	v_sub_f32_e32 v96, v96, v76
	ds_load_2addr_b32 v[100:101], v71 offset0:136 offset1:153
	v_sub_f32_e32 v73, v73, v76
	v_sub_f32_e32 v75, v74, v76
	;; [unrolled: 1-line block ×3, first 2 shown]
	v_mul_f32_e32 v105, 0x3fb8aa3b, v96
	s_delay_alu instid0(VALU_DEP_4)
	v_mul_f32_e32 v77, 0x3fb8aa3b, v73
	ds_load_2addr_b32 v[73:74], v71 offset0:170 offset1:187
	v_mul_f32_e32 v103, 0x3fb8aa3b, v94
	v_exp_f32_e32 v102, v77
	v_sub_f32_e32 v77, v95, v76
	ds_load_2addr_b32 v[94:95], v71 offset0:204 offset1:221
	v_exp_f32_e32 v103, v103
	v_mul_f32_e32 v104, 0x3fb8aa3b, v77
	s_waitcnt lgkmcnt(2)
	v_fma_f32 v77, v102, v100, 0
	v_dual_sub_f32 v100, v97, v76 :: v_dual_mul_f32 v75, 0x3fb8aa3b, v75
	ds_load_2addr_b32 v[96:97], v71 offset0:238 offset1:255
	v_sub_f32_e32 v71, v98, v76
	v_exp_f32_e32 v104, v104
	v_mul_f32_e32 v98, 0x3fb8aa3b, v100
	v_exp_f32_e32 v75, v75
	v_exp_f32_e32 v100, v105
	v_mul_f32_e32 v71, 0x3fb8aa3b, v71
	s_waitcnt lgkmcnt(0)
	v_exp_f32_e32 v98, v98
	s_barrier
	buffer_gl0_inv
	v_fmac_f32_e32 v77, v75, v101
	s_delay_alu instid0(VALU_DEP_1) | instskip(SKIP_2) | instid1(VALU_DEP_2)
	v_fmac_f32_e32 v77, v103, v73
	v_sub_f32_e32 v73, v99, v76
	v_exp_f32_e32 v99, v71
	v_fmac_f32_e32 v77, v104, v74
	s_delay_alu instid0(VALU_DEP_2) | instskip(NEXT) | instid1(VALU_DEP_2)
	v_dual_mul_f32 v73, 0x3fb8aa3b, v73 :: v_dual_lshlrev_b32 v74, 6, v70
	v_dual_fmac_f32 v77, v100, v94 :: v_dual_lshlrev_b32 v70, 2, v69
	s_delay_alu instid0(VALU_DEP_2) | instskip(SKIP_1) | instid1(VALU_DEP_3)
	v_exp_f32_e32 v94, v73
	v_cndmask_b32_e32 v73, v102, v75, vcc_lo
	v_lshl_or_b32 v75, v72, 11, v74
	s_delay_alu instid0(VALU_DEP_3) | instskip(SKIP_1) | instid1(VALU_DEP_3)
	v_cmp_eq_u32_e64 s8, 7, v70
	v_fmac_f32_e32 v77, v98, v95
	v_lshl_or_b32 v69, v69, 4, v75
	s_delay_alu instid0(VALU_DEP_2)
	v_fmac_f32_e32 v77, v99, v96
	s_delay_alu instid0(TRANS32_DEP_1) | instid1(VALU_DEP_1)
	v_fmac_f32_e32 v77, v94, v97
	s_delay_alu instid0(VALU_DEP_1) | instskip(NEXT) | instid1(VALU_DEP_1)
	v_add_f32_e32 v95, 0x358637bd, v77
	v_div_scale_f32 v96, null, v95, v95, 1.0
	v_div_scale_f32 v101, vcc_lo, 1.0, v95, 1.0
	s_delay_alu instid0(VALU_DEP_2) | instskip(SKIP_2) | instid1(VALU_DEP_1)
	v_rcp_f32_e32 v97, v96
	s_waitcnt_depctr 0xfff
	v_fma_f32 v71, -v96, v97, 1.0
	v_fmac_f32_e32 v97, v71, v97
	v_cndmask_b32_e64 v71, v73, v103, s3
	v_cmp_eq_u32_e64 s3, 6, v72
	v_or_b32_e32 v73, 1, v70
	v_or_b32_e32 v72, 3, v70
	v_mul_f32_e32 v102, v101, v97
	v_cndmask_b32_e64 v71, v71, v104, s4
	v_cmp_eq_u32_e64 s4, 1, v70
	v_cmp_eq_u32_e64 s9, 1, v73
	;; [unrolled: 1-line block ×3, first 2 shown]
	v_fma_f32 v103, -v96, v102, v101
	v_cndmask_b32_e64 v100, v71, v100, s5
	v_or_b32_e32 v71, 2, v70
	v_cmp_eq_u32_e64 s5, 2, v70
	v_cmp_eq_u32_e64 s12, 2, v73
	v_fmac_f32_e32 v102, v103, v97
	v_cndmask_b32_e64 v98, v100, v98, s6
	v_cmp_eq_u32_e64 s10, 1, v71
	v_cmp_eq_u32_e64 s15, 2, v71
	;; [unrolled: 1-line block ×3, first 2 shown]
	v_fma_f32 v96, -v96, v102, v101
	v_cndmask_b32_e64 v98, v98, v99, s3
	v_cmp_eq_u32_e64 s13, 3, v73
	v_cmp_eq_u32_e64 s18, 3, v72
	;; [unrolled: 1-line block ×3, first 2 shown]
	v_div_fmas_f32 v96, v96, v97, v102
	v_cndmask_b32_e64 v94, v98, v94, s7
	v_cmp_eq_u32_e32 vcc_lo, 3, v70
	v_cmp_eq_u32_e64 s17, 3, v71
	v_cmp_eq_u32_e64 s19, 4, v73
	v_div_fixup_f32 v95, v96, v95, 1.0
	v_cmp_eq_u32_e64 s22, 4, v72
	v_cmp_eq_u32_e64 s6, 5, v70
	;; [unrolled: 1-line block ×4, first 2 shown]
	v_mul_f32_e32 v102, v94, v95
	v_cmp_eq_u32_e64 s24, 5, v72
	v_cmp_eq_u32_e64 s23, 5, v71
	v_cmp_eq_u32_e64 s25, 6, v73
	v_cmp_eq_u32_e64 s27, 6, v72
	v_fma_mixlo_f16 v94, v102, v79, 0
	v_fma_mixlo_f16 v95, v102, v81, 0
	v_fma_mixlo_f16 v96, v102, v83, 0
	v_fma_mixlo_f16 v97, v102, v85, 0
	v_fma_mixlo_f16 v98, v102, v87, 0
	v_fma_mixlo_f16 v99, v102, v89, 0
	v_fma_mixlo_f16 v100, v102, v91, 0
	v_fma_mixlo_f16 v101, v102, v93, 0
	v_fma_mixhi_f16 v94, v102, v78, 0
	v_fma_mixhi_f16 v95, v102, v80, 0
	;; [unrolled: 1-line block ×8, first 2 shown]
	ds_store_b128 v69, v[94:97]
	ds_store_b128 v69, v[98:101] offset:1024
	s_waitcnt lgkmcnt(0)
	s_barrier
	buffer_gl0_inv
	ds_load_b128 v[78:81], v75
	ds_load_b128 v[82:85], v75 offset:16
	ds_load_b128 v[86:89], v75 offset:1024
	;; [unrolled: 1-line block ×3, first 2 shown]
	v_cmp_eq_u32_e64 s7, 6, v70
	v_cmp_eq_u32_e64 s26, 6, v71
	v_cmp_eq_u32_e64 s29, 7, v72
	v_cmp_eq_u32_e64 s30, 7, v73
	v_cmp_eq_u32_e64 s28, 7, v71
	s_waitcnt lgkmcnt(3)
	v_lshrrev_b32_e32 v94, 16, v78
	s_waitcnt lgkmcnt(2)
	v_lshrrev_b32_e32 v98, 16, v82
	;; [unrolled: 2-line block ×4, first 2 shown]
	v_lshrrev_b32_e32 v95, 16, v79
	v_cndmask_b32_e64 v110, v78, v94, s4
	v_cndmask_b32_e64 v111, v82, v98, s4
	v_cndmask_b32_e64 v112, v78, v94, s9
	v_cndmask_b32_e64 v113, v82, v98, s9
	v_cndmask_b32_e64 v114, v78, v94, s10
	v_cndmask_b32_e64 v115, v82, v98, s10
	v_cndmask_b32_e64 v78, v78, v94, s11
	v_cndmask_b32_e64 v82, v82, v98, s11
	v_lshrrev_b32_e32 v99, 16, v83
	v_cndmask_b32_e64 v94, v86, v102, s4
	v_cndmask_b32_e64 v98, v90, v106, s4
	;; [unrolled: 1-line block ×15, first 2 shown]
	v_lshrrev_b32_e32 v103, 16, v87
	v_lshrrev_b32_e32 v107, 16, v91
	v_cndmask_b32_e64 v113, v115, v83, s15
	v_cndmask_b32_e64 v82, v94, v87, s5
	v_cndmask_b32_e64 v83, v98, v91, s5
	v_cndmask_b32_e64 v94, v116, v87, s12
	v_cndmask_b32_e64 v98, v118, v87, s15
	v_cndmask_b32_e64 v86, v86, v87, s16
	v_cndmask_b32_e64 v87, v90, v91, s16
	v_cndmask_b32_e32 v90, v102, v95, vcc_lo
	v_cndmask_b32_e32 v102, v106, v99, vcc_lo
	v_cndmask_b32_e64 v106, v110, v95, s13
	v_cndmask_b32_e64 v110, v111, v99, s13
	;; [unrolled: 1-line block ×4, first 2 shown]
	v_lshrrev_b32_e32 v96, 16, v80
	v_lshrrev_b32_e32 v100, 16, v84
	v_cndmask_b32_e64 v111, v112, v95, s17
	v_cndmask_b32_e64 v112, v113, v99, s17
	v_cndmask_b32_e32 v82, v82, v103, vcc_lo
	v_cndmask_b32_e32 v83, v83, v107, vcc_lo
	v_cndmask_b32_e64 v94, v94, v103, s13
	v_cndmask_b32_e64 v90, v90, v80, s3
	;; [unrolled: 1-line block ×7, first 2 shown]
	v_lshrrev_b32_e32 v104, 16, v88
	v_cndmask_b32_e64 v106, v111, v80, s21
	v_cndmask_b32_e64 v110, v112, v84, s21
	v_cndmask_b32_e64 v80, v82, v88, s3
	v_cndmask_b32_e64 v82, v83, v92, s3
	v_cndmask_b32_e64 v83, v94, v88, s19
	v_cndmask_b32_e64 v84, v90, v96, s6
	v_cndmask_b32_e64 v90, v95, v100, s6
	v_cndmask_b32_e64 v94, v99, v96, s20
	v_cndmask_b32_e64 v95, v102, v100, s20
	v_cndmask_b32_e64 v78, v78, v96, s24
	v_cndmask_b32_e64 v79, v79, v100, s24
	v_lshrrev_b32_e32 v97, 16, v81
	v_lshrrev_b32_e32 v101, 16, v85
	v_cndmask_b32_e64 v99, v106, v96, s23
	v_cndmask_b32_e64 v102, v110, v100, s23
	;; [unrolled: 1-line block ×7, first 2 shown]
	v_lshrrev_b32_e32 v105, 16, v89
	v_cndmask_b32_e64 v80, v80, v104, s6
	v_cndmask_b32_e64 v84, v84, v81, s7
	;; [unrolled: 1-line block ×16, first 2 shown]
	v_perm_b32 v81, v79, v78, 0x5040100
	v_perm_b32 v79, v95, v85, 0x5040100
	v_cndmask_b32_e64 v78, v119, v91, s15
	v_cndmask_b32_e64 v85, v117, v91, s12
	;; [unrolled: 1-line block ×3, first 2 shown]
	v_perm_b32 v80, v94, v90, 0x5040100
	v_cndmask_b32_e64 v90, v98, v103, s17
	v_cndmask_b32_e64 v86, v86, v103, s18
	;; [unrolled: 1-line block ×5, first 2 shown]
	v_lshrrev_b32_e32 v108, 16, v92
	v_cndmask_b32_e64 v90, v90, v88, s21
	v_cndmask_b32_e64 v86, v86, v88, s22
	v_cndmask_b32_e64 v87, v87, v92, s22
	v_cndmask_b32_e64 v78, v78, v92, s21
	v_cndmask_b32_e64 v85, v85, v92, s19
	v_cndmask_b32_e64 v82, v82, v108, s6
	v_cndmask_b32_e64 v88, v90, v104, s23
	v_cndmask_b32_e64 v86, v86, v104, s24
	v_cndmask_b32_e64 v87, v87, v108, s24
	v_cndmask_b32_e64 v78, v78, v108, s23
	v_cndmask_b32_e64 v85, v85, v108, s20
	v_lshrrev_b32_e32 v109, 16, v93
	v_cndmask_b32_e64 v82, v82, v93, s7
	v_cndmask_b32_e64 v88, v88, v89, s26
	;; [unrolled: 1-line block ×12, first 2 shown]
	v_perm_b32 v78, v84, v83, 0x5040100
	v_perm_b32 v85, v87, v86, 0x5040100
	;; [unrolled: 1-line block ×5, first 2 shown]
	s_lshl_b32 s8, s33, 1
	s_mov_b32 s3, exec_lo
	ds_store_b128 v69, v[78:81]
	ds_store_b128 v69, v[82:85] offset:1024
	v_cmpx_gt_u32_e32 2, v0
	s_cbranch_execz .LBB1327_14
; %bb.13:
	v_or_b32_e32 v78, s31, v0
	s_load_b128 s[4:7], s[0:1], 0x58
	s_delay_alu instid0(VALU_DEP_1) | instskip(NEXT) | instid1(VALU_DEP_1)
	v_mad_u64_u32 v[79:80], null, s8, s34, v[78:79]
	v_mad_u64_u32 v[80:81], null, v79, s35, s[14:15]
	s_delay_alu instid0(VALU_DEP_1) | instskip(NEXT) | instid1(VALU_DEP_1)
	v_ashrrev_i32_e32 v81, 31, v80
	v_lshlrev_b64 v[78:79], 2, v[80:81]
	s_waitcnt lgkmcnt(0)
	s_delay_alu instid0(VALU_DEP_1) | instskip(NEXT) | instid1(VALU_DEP_2)
	v_add_co_u32 v80, vcc_lo, s6, v78
	v_add_co_ci_u32_e32 v81, vcc_lo, s7, v79, vcc_lo
	v_add_co_u32 v78, vcc_lo, s4, v78
	v_add_co_ci_u32_e32 v79, vcc_lo, s5, v79, vcc_lo
	global_store_b32 v[80:81], v76, off
	global_store_b32 v[78:79], v77, off
.LBB1327_14:
	s_or_b32 exec_lo, exec_lo, s3
	s_waitcnt lgkmcnt(0)
	s_waitcnt_vscnt null, 0x0
	s_barrier
	buffer_gl0_inv
	ds_load_b128 v[84:87], v74
	ds_load_b128 v[88:91], v74 offset:16
	ds_load_b128 v[96:99], v74 offset:2064
	;; [unrolled: 1-line block ×5, first 2 shown]
	v_cmp_eq_u32_e32 vcc_lo, 1, v70
	v_mov_b32_e32 v76, 0
	ds_load_b128 v[112:115], v74 offset:6160
	ds_load_b128 v[108:111], v74 offset:6144
	;; [unrolled: 1-line block ×4, first 2 shown]
	v_cmp_eq_u32_e64 s4, 1, v71
	v_cmp_eq_u32_e64 s3, 1, v73
	;; [unrolled: 1-line block ×3, first 2 shown]
	v_mov_b32_e32 v77, v76
	v_mov_b32_e32 v78, v76
	;; [unrolled: 1-line block ×7, first 2 shown]
	v_cmp_eq_u32_e64 s6, 3, v73
	v_cmp_eq_u32_e64 s7, 7, v73
	s_waitcnt lgkmcnt(8)
	s_delay_alu instid0(VALU_DEP_3)
	v_wmma_f32_16x16x16_f16 v[76:83], v[49:56], v[84:91], v[76:83]
	ds_load_b128 v[53:56], v74 offset:10256
	ds_load_b128 v[49:52], v74 offset:10240
	s_waitcnt lgkmcnt(8)
	v_wmma_f32_16x16x16_f16 v[76:83], v[41:48], v[92:99], v[76:83]
	ds_load_b128 v[45:48], v74 offset:12304
	ds_load_b128 v[41:44], v74 offset:12288
	s_waitcnt lgkmcnt(8)
	;; [unrolled: 4-line block ×3, first 2 shown]
	s_barrier
	buffer_gl0_inv
	v_wmma_f32_16x16x16_f16 v[76:83], v[1:8], v[108:115], v[76:83]
	s_delay_alu instid0(VALU_DEP_1) | instskip(NEXT) | instid1(VALU_DEP_1)
	v_wmma_f32_16x16x16_f16 v[76:83], v[9:16], v[116:123], v[76:83]
	v_wmma_f32_16x16x16_f16 v[76:83], v[17:24], v[49:56], v[76:83]
	s_delay_alu instid0(VALU_DEP_1) | instskip(NEXT) | instid1(VALU_DEP_1)
	v_wmma_f32_16x16x16_f16 v[76:83], v[25:32], v[41:48], v[76:83]
	v_wmma_f32_16x16x16_f16 v[76:83], v[57:64], v[33:40], v[76:83]
	s_delay_alu instid0(VALU_DEP_1) | instskip(NEXT) | instid1(VALU_DEP_2)
	v_cvt_f16_f32_e32 v1, v76
	v_cvt_f16_f32_e32 v2, v77
	s_delay_alu instid0(VALU_DEP_3) | instskip(NEXT) | instid1(VALU_DEP_4)
	v_cvt_f16_f32_e32 v3, v78
	v_cvt_f16_f32_e32 v4, v79
	;; [unrolled: 1-line block ×6, first 2 shown]
	v_pack_b32_f16 v1, v1, v2
	v_pack_b32_f16 v2, v3, v4
	;; [unrolled: 1-line block ×3, first 2 shown]
	s_delay_alu instid0(VALU_DEP_4)
	v_pack_b32_f16 v4, v7, v8
	ds_store_b128 v69, v[1:4]
	s_waitcnt lgkmcnt(0)
	s_barrier
	buffer_gl0_inv
	ds_load_b128 v[1:4], v75
	ds_load_b128 v[5:8], v75 offset:16
	s_waitcnt lgkmcnt(1)
	v_lshrrev_b32_e32 v9, 16, v1
	s_waitcnt lgkmcnt(0)
	v_lshrrev_b32_e32 v13, 16, v5
	v_lshrrev_b32_e32 v10, 16, v2
	v_lshrrev_b32_e32 v14, 16, v6
	v_lshrrev_b32_e32 v11, 16, v3
	v_cndmask_b32_e32 v17, v1, v9, vcc_lo
	v_cndmask_b32_e32 v18, v5, v13, vcc_lo
	v_cndmask_b32_e64 v21, v1, v9, s4
	v_cmp_eq_u32_e32 vcc_lo, 1, v72
	v_cndmask_b32_e64 v22, v5, v13, s4
	v_cmp_eq_u32_e64 s4, 2, v70
	v_cndmask_b32_e64 v19, v1, v9, s3
	v_cndmask_b32_e64 v20, v5, v13, s3
	v_cndmask_b32_e32 v1, v1, v9, vcc_lo
	v_cmp_eq_u32_e64 s3, 2, v72
	v_cndmask_b32_e32 v5, v5, v13, vcc_lo
	v_cndmask_b32_e64 v9, v17, v2, s4
	v_cmp_eq_u32_e32 vcc_lo, 3, v70
	v_cndmask_b32_e64 v13, v18, v6, s4
	v_cmp_eq_u32_e64 s4, 2, v71
	v_cndmask_b32_e64 v17, v19, v2, s5
	v_cndmask_b32_e64 v18, v20, v6, s5
	v_cmp_eq_u32_e64 s5, 3, v71
	v_cndmask_b32_e64 v1, v1, v2, s3
	v_cndmask_b32_e64 v19, v21, v2, s4
	;; [unrolled: 1-line block ×4, first 2 shown]
	v_cndmask_b32_e32 v5, v9, v10, vcc_lo
	v_cndmask_b32_e32 v6, v13, v14, vcc_lo
	v_cmp_eq_u32_e32 vcc_lo, 3, v72
	v_cndmask_b32_e64 v9, v17, v10, s6
	v_cndmask_b32_e64 v13, v18, v14, s6
	;; [unrolled: 1-line block ×3, first 2 shown]
	v_cmp_eq_u32_e64 s4, 4, v70
	v_cndmask_b32_e32 v1, v1, v10, vcc_lo
	v_cndmask_b32_e32 v2, v2, v14, vcc_lo
	v_cmp_eq_u32_e32 vcc_lo, 4, v73
	v_lshrrev_b32_e32 v15, 16, v7
	v_lshrrev_b32_e32 v16, 16, v8
	v_cndmask_b32_e64 v17, v19, v10, s5
	v_cmp_eq_u32_e64 s3, 4, v72
	v_cndmask_b32_e64 v5, v5, v3, s4
	v_cndmask_b32_e64 v6, v6, v7, s4
	v_cndmask_b32_e32 v9, v9, v3, vcc_lo
	v_cmp_eq_u32_e64 s4, 5, v73
	v_cndmask_b32_e32 v10, v13, v7, vcc_lo
	v_cmp_eq_u32_e32 vcc_lo, 4, v71
	v_cmp_eq_u32_e64 s5, 5, v70
	v_cndmask_b32_e64 v2, v2, v7, s3
	v_cndmask_b32_e64 v9, v9, v11, s4
	v_cndmask_b32_e64 v10, v10, v15, s4
	v_cndmask_b32_e32 v13, v17, v3, vcc_lo
	v_cmp_eq_u32_e64 s4, 5, v71
	v_cndmask_b32_e32 v14, v18, v7, vcc_lo
	v_cndmask_b32_e64 v1, v1, v3, s3
	v_cmp_eq_u32_e32 vcc_lo, 5, v72
	v_lshrrev_b32_e32 v12, 16, v4
	v_cndmask_b32_e64 v13, v13, v11, s4
	v_cndmask_b32_e64 v3, v14, v15, s4
	v_cmp_eq_u32_e64 s4, 6, v72
	v_cndmask_b32_e32 v1, v1, v11, vcc_lo
	v_cndmask_b32_e64 v5, v5, v11, s5
	v_cmp_eq_u32_e64 s6, 6, v70
	v_cndmask_b32_e64 v6, v6, v15, s5
	v_cmp_eq_u32_e64 s5, 6, v73
	v_cmp_eq_u32_e64 s3, 6, v71
	v_cndmask_b32_e64 v1, v1, v4, s4
	v_cndmask_b32_e32 v2, v2, v15, vcc_lo
	v_cmp_eq_u32_e32 vcc_lo, 7, v72
	v_cndmask_b32_e64 v5, v5, v4, s6
	v_cndmask_b32_e64 v9, v9, v4, s5
	;; [unrolled: 1-line block ×3, first 2 shown]
	v_cmp_eq_u32_e64 s6, 7, v70
	v_cndmask_b32_e32 v1, v1, v12, vcc_lo
	v_cndmask_b32_e64 v7, v13, v4, s3
	v_cndmask_b32_e64 v3, v3, v8, s3
	;; [unrolled: 1-line block ×3, first 2 shown]
	v_cmp_eq_u32_e64 s3, 7, v71
	v_cndmask_b32_e64 v4, v10, v8, s5
	v_cndmask_b32_e64 v5, v5, v12, s6
	;; [unrolled: 1-line block ×3, first 2 shown]
	v_cndmask_b32_e32 v2, v2, v16, vcc_lo
	v_cndmask_b32_e64 v7, v7, v12, s3
	v_cndmask_b32_e64 v3, v3, v16, s3
	;; [unrolled: 1-line block ×4, first 2 shown]
	v_perm_b32 v4, v2, v1, 0x5040100
	s_delay_alu instid0(VALU_DEP_4) | instskip(NEXT) | instid1(VALU_DEP_4)
	v_perm_b32 v3, v3, v7, 0x5040100
	v_perm_b32 v2, v8, v9, 0x5040100
	s_delay_alu instid0(VALU_DEP_4)
	v_perm_b32 v1, v6, v5, 0x5040100
	ds_store_b128 v69, v[1:4]
	s_waitcnt lgkmcnt(0)
	s_barrier
	buffer_gl0_inv
	s_and_saveexec_b32 s3, s2
	s_cbranch_execz .LBB1327_2
; %bb.15:
	s_load_b64 s[0:1], s[0:1], 0x68
	v_lshlrev_b32_e32 v0, 10, v0
	s_lshl_b32 s2, s35, 7
	v_lshlrev_b32_e32 v1, 4, v68
	v_mul_lo_u32 v4, s2, v67
	s_mul_i32 s3, s2, s34
	v_and_b32_e32 v0, 0x3800, v0
	s_mul_i32 s2, s3, s8
	s_delay_alu instid0(SALU_CYCLE_1) | instskip(NEXT) | instid1(VALU_DEP_1)
	s_ashr_i32 s3, s2, 31
	v_or3_b32 v0, v0, v66, v1
	s_lshl_b64 s[2:3], s[2:3], 1
	s_delay_alu instid0(VALU_DEP_3)
	v_ashrrev_i32_e32 v5, 31, v4
	ds_load_b128 v[0:3], v0
	v_lshlrev_b64 v[4:5], 1, v[4:5]
	s_waitcnt lgkmcnt(0)
	s_add_u32 s2, s0, s2
	s_addc_u32 s3, s1, s3
	s_lshl_b32 s0, s14, 7
	s_delay_alu instid0(SALU_CYCLE_1) | instskip(NEXT) | instid1(SALU_CYCLE_1)
	s_ashr_i32 s1, s0, 31
	s_lshl_b64 s[0:1], s[0:1], 1
	s_delay_alu instid0(SALU_CYCLE_1) | instskip(SKIP_3) | instid1(VALU_DEP_2)
	s_add_u32 s0, s2, s0
	s_addc_u32 s1, s3, s1
	v_add_co_u32 v4, vcc_lo, s0, v4
	v_add_co_ci_u32_e32 v5, vcc_lo, s1, v5, vcc_lo
	v_add_co_u32 v4, vcc_lo, v4, v65
	s_delay_alu instid0(VALU_DEP_2)
	v_add_co_ci_u32_e32 v5, vcc_lo, 0, v5, vcc_lo
	global_store_b128 v[4:5], v[0:3], off
	s_nop 0
	s_sendmsg sendmsg(MSG_DEALLOC_VGPRS)
	s_endpgm
	.section	.rodata,"a",@progbits
	.p2align	6, 0x0
	.amdhsa_kernel _Z39paged_attention_ll4mi_QKV_mfma16_kernelIDF16_hLN4vllm18Fp8KVCacheDataTypeE1EDF16_Li32ELi128ELi256ELb1ELi2EL8MFMAType0EEvPKT_PKT0_S8_ifPKiSA_SA_iPKfiiiPfSD_PS3_PT2_iSC_SC_
		.amdhsa_group_segment_fixed_size 17472
		.amdhsa_private_segment_fixed_size 0
		.amdhsa_kernarg_size 400
		.amdhsa_user_sgpr_count 13
		.amdhsa_user_sgpr_dispatch_ptr 0
		.amdhsa_user_sgpr_queue_ptr 0
		.amdhsa_user_sgpr_kernarg_segment_ptr 1
		.amdhsa_user_sgpr_dispatch_id 0
		.amdhsa_user_sgpr_private_segment_size 0
		.amdhsa_wavefront_size32 1
		.amdhsa_uses_dynamic_stack 0
		.amdhsa_enable_private_segment 0
		.amdhsa_system_sgpr_workgroup_id_x 1
		.amdhsa_system_sgpr_workgroup_id_y 1
		.amdhsa_system_sgpr_workgroup_id_z 1
		.amdhsa_system_sgpr_workgroup_info 0
		.amdhsa_system_vgpr_workitem_id 0
		.amdhsa_next_free_vgpr 146
		.amdhsa_next_free_sgpr 39
		.amdhsa_reserve_vcc 1
		.amdhsa_float_round_mode_32 0
		.amdhsa_float_round_mode_16_64 0
		.amdhsa_float_denorm_mode_32 3
		.amdhsa_float_denorm_mode_16_64 3
		.amdhsa_dx10_clamp 1
		.amdhsa_ieee_mode 1
		.amdhsa_fp16_overflow 0
		.amdhsa_workgroup_processor_mode 1
		.amdhsa_memory_ordered 1
		.amdhsa_forward_progress 0
		.amdhsa_shared_vgpr_count 0
		.amdhsa_exception_fp_ieee_invalid_op 0
		.amdhsa_exception_fp_denorm_src 0
		.amdhsa_exception_fp_ieee_div_zero 0
		.amdhsa_exception_fp_ieee_overflow 0
		.amdhsa_exception_fp_ieee_underflow 0
		.amdhsa_exception_fp_ieee_inexact 0
		.amdhsa_exception_int_div_zero 0
	.end_amdhsa_kernel
	.section	.text._Z39paged_attention_ll4mi_QKV_mfma16_kernelIDF16_hLN4vllm18Fp8KVCacheDataTypeE1EDF16_Li32ELi128ELi256ELb1ELi2EL8MFMAType0EEvPKT_PKT0_S8_ifPKiSA_SA_iPKfiiiPfSD_PS3_PT2_iSC_SC_,"axG",@progbits,_Z39paged_attention_ll4mi_QKV_mfma16_kernelIDF16_hLN4vllm18Fp8KVCacheDataTypeE1EDF16_Li32ELi128ELi256ELb1ELi2EL8MFMAType0EEvPKT_PKT0_S8_ifPKiSA_SA_iPKfiiiPfSD_PS3_PT2_iSC_SC_,comdat
.Lfunc_end1327:
	.size	_Z39paged_attention_ll4mi_QKV_mfma16_kernelIDF16_hLN4vllm18Fp8KVCacheDataTypeE1EDF16_Li32ELi128ELi256ELb1ELi2EL8MFMAType0EEvPKT_PKT0_S8_ifPKiSA_SA_iPKfiiiPfSD_PS3_PT2_iSC_SC_, .Lfunc_end1327-_Z39paged_attention_ll4mi_QKV_mfma16_kernelIDF16_hLN4vllm18Fp8KVCacheDataTypeE1EDF16_Li32ELi128ELi256ELb1ELi2EL8MFMAType0EEvPKT_PKT0_S8_ifPKiSA_SA_iPKfiiiPfSD_PS3_PT2_iSC_SC_
                                        ; -- End function
	.section	.AMDGPU.csdata,"",@progbits
; Kernel info:
; codeLenInByte = 6456
; NumSgprs: 41
; NumVgprs: 146
; ScratchSize: 0
; MemoryBound: 0
; FloatMode: 240
; IeeeMode: 1
; LDSByteSize: 17472 bytes/workgroup (compile time only)
; SGPRBlocks: 5
; VGPRBlocks: 18
; NumSGPRsForWavesPerEU: 41
; NumVGPRsForWavesPerEU: 146
; Occupancy: 9
; WaveLimiterHint : 1
; COMPUTE_PGM_RSRC2:SCRATCH_EN: 0
; COMPUTE_PGM_RSRC2:USER_SGPR: 13
; COMPUTE_PGM_RSRC2:TRAP_HANDLER: 0
; COMPUTE_PGM_RSRC2:TGID_X_EN: 1
; COMPUTE_PGM_RSRC2:TGID_Y_EN: 1
; COMPUTE_PGM_RSRC2:TGID_Z_EN: 1
; COMPUTE_PGM_RSRC2:TIDIG_COMP_CNT: 0
	.section	.text._Z39paged_attention_ll4mi_QKV_mfma16_kernelIDF16_hLN4vllm18Fp8KVCacheDataTypeE1EDF16_Li32ELi128ELi256ELb1ELi3EL8MFMAType0EEvPKT_PKT0_S8_ifPKiSA_SA_iPKfiiiPfSD_PS3_PT2_iSC_SC_,"axG",@progbits,_Z39paged_attention_ll4mi_QKV_mfma16_kernelIDF16_hLN4vllm18Fp8KVCacheDataTypeE1EDF16_Li32ELi128ELi256ELb1ELi3EL8MFMAType0EEvPKT_PKT0_S8_ifPKiSA_SA_iPKfiiiPfSD_PS3_PT2_iSC_SC_,comdat
	.protected	_Z39paged_attention_ll4mi_QKV_mfma16_kernelIDF16_hLN4vllm18Fp8KVCacheDataTypeE1EDF16_Li32ELi128ELi256ELb1ELi3EL8MFMAType0EEvPKT_PKT0_S8_ifPKiSA_SA_iPKfiiiPfSD_PS3_PT2_iSC_SC_ ; -- Begin function _Z39paged_attention_ll4mi_QKV_mfma16_kernelIDF16_hLN4vllm18Fp8KVCacheDataTypeE1EDF16_Li32ELi128ELi256ELb1ELi3EL8MFMAType0EEvPKT_PKT0_S8_ifPKiSA_SA_iPKfiiiPfSD_PS3_PT2_iSC_SC_
	.globl	_Z39paged_attention_ll4mi_QKV_mfma16_kernelIDF16_hLN4vllm18Fp8KVCacheDataTypeE1EDF16_Li32ELi128ELi256ELb1ELi3EL8MFMAType0EEvPKT_PKT0_S8_ifPKiSA_SA_iPKfiiiPfSD_PS3_PT2_iSC_SC_
	.p2align	8
	.type	_Z39paged_attention_ll4mi_QKV_mfma16_kernelIDF16_hLN4vllm18Fp8KVCacheDataTypeE1EDF16_Li32ELi128ELi256ELb1ELi3EL8MFMAType0EEvPKT_PKT0_S8_ifPKiSA_SA_iPKfiiiPfSD_PS3_PT2_iSC_SC_,@function
_Z39paged_attention_ll4mi_QKV_mfma16_kernelIDF16_hLN4vllm18Fp8KVCacheDataTypeE1EDF16_Li32ELi128ELi256ELb1ELi3EL8MFMAType0EEvPKT_PKT0_S8_ifPKiSA_SA_iPKfiiiPfSD_PS3_PT2_iSC_SC_: ; @_Z39paged_attention_ll4mi_QKV_mfma16_kernelIDF16_hLN4vllm18Fp8KVCacheDataTypeE1EDF16_Li32ELi128ELi256ELb1ELi3EL8MFMAType0EEvPKT_PKT0_S8_ifPKiSA_SA_iPKfiiiPfSD_PS3_PT2_iSC_SC_
; %bb.0:
	s_load_b64 s[4:5], s[0:1], 0x30
	s_mov_b32 s34, s13
	s_waitcnt lgkmcnt(0)
	s_cmp_lg_u64 s[4:5], 0
	s_cselect_b32 s8, -1, 0
	s_ashr_i32 s35, s13, 31
	s_cmp_eq_u64 s[4:5], 0
	s_cbranch_scc1 .LBB1328_3
; %bb.1:
	s_lshl_b64 s[2:3], s[34:35], 2
	s_delay_alu instid0(SALU_CYCLE_1) | instskip(SKIP_4) | instid1(SALU_CYCLE_1)
	s_add_u32 s2, s4, s2
	s_addc_u32 s3, s5, s3
	s_load_b64 s[2:3], s[2:3], 0x0
	s_waitcnt lgkmcnt(0)
	s_sub_i32 s2, s3, s2
	s_cmp_eq_u32 s2, 1
	s_cselect_b32 s2, -1, 0
	s_delay_alu instid0(SALU_CYCLE_1)
	s_and_not1_b32 vcc_lo, exec_lo, s2
	s_cbranch_vccz .LBB1328_4
.LBB1328_2:
	s_nop 0
	s_sendmsg sendmsg(MSG_DEALLOC_VGPRS)
	s_endpgm
.LBB1328_3:
.LBB1328_4:
	s_load_b64 s[2:3], s[0:1], 0x28
	s_lshl_b64 s[6:7], s[34:35], 2
	s_waitcnt lgkmcnt(0)
	s_add_u32 s2, s2, s6
	s_addc_u32 s3, s3, s7
	s_lshl_b32 s12, s14, 8
	s_load_b32 s24, s[2:3], 0x0
	s_waitcnt lgkmcnt(0)
	s_cmp_ge_i32 s12, s24
	s_cbranch_scc1 .LBB1328_2
; %bb.5:
	s_clause 0x1
	s_load_b128 s[20:23], s[0:1], 0x8
	s_load_b64 s[2:3], s[0:1], 0x20
	s_and_not1_b32 vcc_lo, exec_lo, s8
	s_cbranch_vccnz .LBB1328_7
; %bb.6:
	s_add_u32 s4, s4, s6
	s_addc_u32 s5, s5, s7
	s_load_b32 s5, s[4:5], 0x0
	s_branch .LBB1328_8
.LBB1328_7:
	s_mov_b32 s5, s34
.LBB1328_8:
	s_load_b128 s[16:19], s[0:1], 0x48
	v_and_b32_e32 v68, 15, v0
	v_lshrrev_b32_e32 v69, 5, v0
	v_bfe_u32 v66, v0, 4, 1
	v_and_b32_e32 v70, 31, v0
	v_and_b32_e32 v67, 1, v0
	v_lshlrev_b32_e32 v2, 3, v68
	s_mul_i32 s31, s15, 3
	v_lshl_or_b32 v1, v69, 1, v66
	s_mov_b32 s4, exec_lo
	s_delay_alu instid0(VALU_DEP_2) | instskip(NEXT) | instid1(VALU_DEP_2)
	v_lshlrev_b32_e32 v65, 1, v2
	v_cmpx_gt_u32_e32 3, v1
	s_cbranch_execz .LBB1328_10
; %bb.9:
	s_load_b64 s[6:7], s[0:1], 0x0
	v_add_lshl_u32 v2, v1, s31, 7
	s_waitcnt lgkmcnt(0)
	s_mul_hi_i32 s9, s5, s16
	s_mul_i32 s8, s5, s16
	v_lshlrev_b32_e32 v6, 10, v68
	s_lshl_b64 s[8:9], s[8:9], 1
	v_ashrrev_i32_e32 v3, 31, v2
	v_lshlrev_b32_e32 v1, 6, v1
	v_lshlrev_b32_e32 v7, 10, v67
	v_and_b32_e32 v6, 0x3800, v6
	s_delay_alu instid0(VALU_DEP_4) | instskip(NEXT) | instid1(VALU_DEP_2)
	v_lshlrev_b64 v[2:3], 1, v[2:3]
	v_or3_b32 v1, v6, v7, v1
	s_add_u32 s5, s6, s8
	s_addc_u32 s6, s7, s9
	s_delay_alu instid0(VALU_DEP_2) | instskip(NEXT) | instid1(VALU_DEP_3)
	v_add_co_u32 v2, vcc_lo, s5, v2
	v_add_co_ci_u32_e32 v3, vcc_lo, s6, v3, vcc_lo
	s_delay_alu instid0(VALU_DEP_2) | instskip(NEXT) | instid1(VALU_DEP_2)
	v_add_co_u32 v2, vcc_lo, v2, v65
	v_add_co_ci_u32_e32 v3, vcc_lo, 0, v3, vcc_lo
	global_load_b128 v[2:5], v[2:3], off
	s_waitcnt vmcnt(0)
	ds_store_b128 v1, v[2:5]
.LBB1328_10:
	s_or_b32 exec_lo, exec_lo, s4
	v_and_b32_e32 v1, 0xef, v0
	s_waitcnt lgkmcnt(0)
	s_add_i32 s5, s24, 31
	s_clause 0x1
	s_load_b32 s4, s[0:1], 0x38
	s_load_b32 s33, s[0:1], 0x98
	s_ashr_i32 s6, s5, 31
	v_add_nc_u32_e32 v1, s12, v1
	s_lshr_b32 s6, s6, 27
	s_load_b32 s19, s[0:1], 0x1c
	s_add_i32 s5, s5, s6
	s_waitcnt lgkmcnt(0)
	v_ashrrev_i32_e32 v2, 31, v1
	v_or_b32_e32 v3, 16, v1
	s_ashr_i32 s13, s5, 5
	v_cmp_gt_i32_e32 vcc_lo, s24, v1
	s_add_i32 s13, s13, -1
	v_lshrrev_b32_e32 v2, 27, v2
	s_barrier
	buffer_gl0_inv
	s_mul_i32 s15, s15, s18
	v_add_nc_u32_e32 v4, v1, v2
	s_mul_i32 s4, s34, s4
	s_delay_alu instid0(SALU_CYCLE_1) | instskip(NEXT) | instid1(VALU_DEP_1)
	s_ashr_i32 s5, s4, 31
	v_ashrrev_i32_e32 v4, 5, v4
	v_add_nc_u32_e32 v2, v3, v2
	s_lshl_b64 s[4:5], s[4:5], 2
	s_delay_alu instid0(SALU_CYCLE_1) | instskip(NEXT) | instid1(VALU_DEP_2)
	s_add_u32 s16, s2, s4
	v_cndmask_b32_e32 v1, s13, v4, vcc_lo
	s_delay_alu instid0(VALU_DEP_2)
	v_ashrrev_i32_e32 v2, 5, v2
	v_cmp_gt_i32_e32 vcc_lo, s24, v3
	s_addc_u32 s25, s3, s5
	s_ashr_i32 s18, s15, 31
	s_add_u32 s2, s20, s15
	s_addc_u32 s3, s21, s18
	v_cndmask_b32_e32 v3, s13, v2, vcc_lo
	v_ashrrev_i32_e32 v2, 31, v1
	s_lshl_b32 s4, s14, 3
	s_delay_alu instid0(SALU_CYCLE_1) | instskip(NEXT) | instid1(VALU_DEP_2)
	s_ashr_i32 s5, s4, 31
	v_ashrrev_i32_e32 v4, 31, v3
	s_delay_alu instid0(VALU_DEP_2) | instskip(SKIP_1) | instid1(SALU_CYCLE_1)
	v_lshlrev_b64 v[1:2], 2, v[1:2]
	s_lshl_b64 s[4:5], s[4:5], 2
	s_add_u32 s4, s16, s4
	s_delay_alu instid0(VALU_DEP_2) | instskip(SKIP_1) | instid1(VALU_DEP_2)
	v_lshlrev_b64 v[3:4], 2, v[3:4]
	s_addc_u32 s5, s25, s5
	v_add_co_u32 v1, vcc_lo, s16, v1
	v_add_co_ci_u32_e32 v2, vcc_lo, s25, v2, vcc_lo
	s_delay_alu instid0(VALU_DEP_3) | instskip(NEXT) | instid1(VALU_DEP_4)
	v_add_co_u32 v3, vcc_lo, s16, v3
	v_add_co_ci_u32_e32 v4, vcc_lo, s25, v4, vcc_lo
	s_clause 0x1
	global_load_b32 v5, v[1:2], off
	global_load_b32 v6, v[3:4], off
	s_or_b32 s6, s12, 32
	s_delay_alu instid0(SALU_CYCLE_1) | instskip(SKIP_2) | instid1(SALU_CYCLE_1)
	s_ashr_i32 s7, s6, 5
	s_cmp_lt_i32 s6, s24
	s_cselect_b32 s6, s7, s13
	s_ashr_i32 s7, s6, 31
	s_delay_alu instid0(SALU_CYCLE_1) | instskip(NEXT) | instid1(SALU_CYCLE_1)
	s_lshl_b64 s[6:7], s[6:7], 2
	s_add_u32 s6, s16, s6
	s_addc_u32 s7, s25, s7
	s_or_b32 s8, s12, 64
	s_delay_alu instid0(SALU_CYCLE_1) | instskip(SKIP_2) | instid1(SALU_CYCLE_1)
	s_ashr_i32 s9, s8, 5
	s_cmp_lt_i32 s8, s24
	s_cselect_b32 s8, s9, s13
	s_ashr_i32 s9, s8, 31
	s_delay_alu instid0(SALU_CYCLE_1) | instskip(NEXT) | instid1(SALU_CYCLE_1)
	s_lshl_b64 s[8:9], s[8:9], 2
	s_add_u32 s8, s16, s8
	s_addc_u32 s9, s25, s9
	;; [unrolled: 10-line block ×5, first 2 shown]
	s_clause 0x5
	s_load_b32 s28, s[4:5], 0x0
	s_load_b32 s29, s[6:7], 0x0
	;; [unrolled: 1-line block ×6, first 2 shown]
	s_mov_b32 s4, 0
	s_delay_alu instid0(SALU_CYCLE_1)
	s_mov_b32 s5, s4
	s_mov_b32 s6, s4
	;; [unrolled: 1-line block ×7, first 2 shown]
	s_delay_alu instid0(SALU_CYCLE_1)
	v_dual_mov_b32 v118, s11 :: v_dual_mov_b32 v117, s10
	v_dual_mov_b32 v116, s9 :: v_dual_mov_b32 v115, s8
	v_mov_b32_e32 v113, s6
	v_dual_mov_b32 v111, s4 :: v_dual_mov_b32 v114, s7
	v_mov_b32_e32 v112, s5
	s_waitcnt vmcnt(1)
	v_mad_i64_i32 v[1:2], null, v5, s17, s[2:3]
	v_lshlrev_b32_e32 v5, 4, v68
	s_waitcnt vmcnt(0)
	v_mad_i64_i32 v[3:4], null, v6, s17, s[2:3]
	s_or_b32 s2, s12, 0xc0
	s_delay_alu instid0(SALU_CYCLE_1) | instskip(NEXT) | instid1(VALU_DEP_3)
	s_ashr_i32 s3, s2, 5
	v_add_co_u32 v1, vcc_lo, v1, v5
	s_delay_alu instid0(VALU_DEP_4) | instskip(NEXT) | instid1(VALU_DEP_3)
	v_add_co_ci_u32_e32 v2, vcc_lo, 0, v2, vcc_lo
	v_add_co_u32 v3, vcc_lo, v3, v5
	s_delay_alu instid0(VALU_DEP_4)
	v_add_co_ci_u32_e32 v4, vcc_lo, 0, v4, vcc_lo
	s_clause 0xf
	global_load_b128 v[17:20], v[1:2], off
	global_load_b128 v[21:24], v[1:2], off offset:512
	global_load_b128 v[25:28], v[3:4], off offset:256
	;; [unrolled: 1-line block ×15, first 2 shown]
	v_mul_lo_u16 v1, 0x56, v68
	s_cmp_lt_i32 s2, s24
	v_lshlrev_b32_e32 v2, 5, v68
	s_cselect_b32 s2, s3, s13
	s_delay_alu instid0(VALU_DEP_2) | instskip(SKIP_1) | instid1(SALU_CYCLE_1)
	v_lshrrev_b16 v1, 8, v1
	s_ashr_i32 s3, s2, 31
	s_lshl_b64 s[2:3], s[2:3], 2
	s_delay_alu instid0(VALU_DEP_1) | instskip(SKIP_3) | instid1(VALU_DEP_1)
	v_mul_lo_u16 v1, v1, 3
	s_add_u32 s2, s16, s2
	s_addc_u32 s3, s25, s3
	s_or_b32 s20, s12, 0xe0
	v_sub_nc_u16 v1, v68, v1
	s_ashr_i32 s21, s20, 5
	s_cmp_lt_i32 s20, s24
	s_cselect_b32 s20, s21, s13
	s_delay_alu instid0(VALU_DEP_1) | instskip(SKIP_1) | instid1(SALU_CYCLE_1)
	v_and_b32_e32 v1, 0xff, v1
	s_ashr_i32 s21, s20, 31
	s_lshl_b64 s[4:5], s[20:21], 2
	s_delay_alu instid0(VALU_DEP_1)
	v_lshlrev_b32_e32 v149, 6, v1
	s_add_u32 s4, s16, s4
	s_addc_u32 s5, s25, s5
	v_lshl_or_b32 v1, v69, 9, v2
	ds_load_b128 v[119:122], v149
	ds_load_b128 v[123:126], v149 offset:1024
	ds_load_b128 v[127:130], v149 offset:2048
	;; [unrolled: 1-line block ×3, first 2 shown]
	s_clause 0x1
	s_load_b32 s2, s[2:3], 0x0
	s_load_b32 s3, s[4:5], 0x0
	s_add_u32 s6, s22, s15
	s_addc_u32 s7, s23, s18
	v_add_co_u32 v135, s6, s6, v1
	s_delay_alu instid0(VALU_DEP_1) | instskip(SKIP_1) | instid1(VALU_DEP_1)
	v_add_co_ci_u32_e64 v136, null, s7, 0, s6
	s_waitcnt lgkmcnt(0)
	v_mad_i64_i32 v[1:2], null, s28, s17, v[135:136]
	v_mad_i64_i32 v[3:4], null, s29, s17, v[135:136]
	;; [unrolled: 1-line block ×6, first 2 shown]
	s_clause 0x9
	global_load_b128 v[49:52], v[1:2], off
	global_load_b128 v[53:56], v[1:2], off offset:16
	global_load_b128 v[41:44], v[3:4], off
	global_load_b128 v[45:48], v[3:4], off offset:16
	;; [unrolled: 2-line block ×5, first 2 shown]
	v_mad_i64_i32 v[145:146], null, s2, s17, v[135:136]
	v_mad_i64_i32 v[147:148], null, s3, s17, v[135:136]
	s_waitcnt vmcnt(24)
	v_wmma_f32_16x16x16_f16 v[135:142], v[17:24], v[119:126], v[111:118]
	s_waitcnt vmcnt(22)
	v_wmma_f32_16x16x16_f16 v[111:118], v[25:32], v[119:126], v[111:118]
	s_clause 0x3
	global_load_b128 v[17:20], v[143:144], off
	global_load_b128 v[21:24], v[143:144], off offset:16
	global_load_b128 v[25:28], v[145:146], off
	global_load_b128 v[29:32], v[145:146], off offset:16
	v_and_b32_e32 v119, 0xe0, v0
	s_waitcnt vmcnt(24)
	v_wmma_f32_16x16x16_f16 v[135:142], v[57:64], v[127:134], v[135:142]
	s_clause 0x1
	global_load_b128 v[57:60], v[147:148], off
	global_load_b128 v[61:64], v[147:148], off offset:16
	s_waitcnt vmcnt(24)
	v_wmma_f32_16x16x16_f16 v[111:118], v[71:78], v[127:134], v[111:118]
	ds_load_b128 v[71:74], v149 offset:4096
	ds_load_b128 v[75:78], v149 offset:5120
	v_add_nc_u32_e32 v128, s12, v119
	ds_load_b128 v[119:122], v149 offset:6144
	ds_load_b128 v[123:126], v149 offset:7168
	v_mbcnt_lo_u32_b32 v127, -1, 0
	s_waitcnt vmcnt(0) lgkmcnt(0)
	s_barrier
	v_or_b32_e32 v128, v128, v66
	buffer_gl0_inv
	v_xor_b32_e32 v129, 16, v127
	v_or_b32_e32 v130, 4, v128
	v_or_b32_e32 v131, 6, v128
	s_delay_alu instid0(VALU_DEP_3) | instskip(SKIP_4) | instid1(VALU_DEP_4)
	v_cmp_gt_i32_e32 vcc_lo, 32, v129
	v_or_b32_e32 v132, 8, v128
	v_or_b32_e32 v133, 10, v128
	v_cmp_gt_i32_e64 s3, s24, v130
	v_cmp_gt_i32_e64 s4, s24, v131
	v_cmp_gt_i32_e64 s5, s24, v132
	v_wmma_f32_16x16x16_f16 v[135:142], v[79:86], v[71:78], v[135:142]
	v_wmma_f32_16x16x16_f16 v[111:118], v[87:94], v[71:78], v[111:118]
	v_or_b32_e32 v79, 12, v128
	v_or_b32_e32 v80, 14, v128
	v_cmp_gt_i32_e64 s6, s24, v133
	v_wmma_f32_16x16x16_f16 v[135:142], v[95:102], v[119:126], v[135:142]
	v_cndmask_b32_e32 v127, v127, v129, vcc_lo
	v_or_b32_e32 v129, 2, v128
	v_wmma_f32_16x16x16_f16 v[111:118], v[103:110], v[119:126], v[111:118]
	v_cmp_gt_i32_e32 vcc_lo, s24, v128
	v_dual_mul_f32 v88, s19, v135 :: v_dual_mul_f32 v87, s19, v136
	s_delay_alu instid0(VALU_DEP_4) | instskip(NEXT) | instid1(VALU_DEP_4)
	v_cmp_gt_i32_e64 s2, s24, v129
	v_mul_f32_e32 v94, s19, v113
	v_mul_f32_e32 v78, s19, v138
	;; [unrolled: 1-line block ×3, first 2 shown]
	v_cndmask_b32_e32 v88, 0xff7fffff, v88, vcc_lo
	v_cndmask_b32_e64 v87, 0xff7fffff, v87, s2
	v_dual_mul_f32 v76, s19, v140 :: v_dual_mul_f32 v77, s19, v139
	v_mul_f32_e32 v90, s19, v117
	v_cndmask_b32_e64 v86, 0xff7fffff, v86, s3
	v_cndmask_b32_e64 v78, 0xff7fffff, v78, s4
	v_max3_f32 v87, v88, 0xff7fffff, v87
	v_or_b32_e32 v81, 16, v128
	v_or_b32_e32 v82, 18, v128
	v_dual_mul_f32 v74, s19, v142 :: v_dual_mul_f32 v75, s19, v141
	v_mul_f32_e32 v92, s19, v115
	v_cndmask_b32_e64 v77, 0xff7fffff, v77, s5
	v_cndmask_b32_e64 v76, 0xff7fffff, v76, s6
	v_max3_f32 v78, v87, v86, v78
	v_cmp_gt_i32_e64 s7, s24, v79
	v_cmp_gt_i32_e64 s8, s24, v80
	v_or_b32_e32 v83, 20, v128
	v_or_b32_e32 v84, 22, v128
	v_dual_mul_f32 v89, s19, v118 :: v_dual_mul_f32 v96, s19, v111
	v_mul_f32_e32 v95, s19, v112
	v_cndmask_b32_e64 v75, 0xff7fffff, v75, s7
	v_cndmask_b32_e64 v74, 0xff7fffff, v74, s8
	v_max3_f32 v76, v78, v77, v76
	v_cmp_gt_i32_e64 s9, s24, v81
	v_cmp_gt_i32_e64 s10, s24, v82
	v_or_b32_e32 v85, 24, v128
	v_or_b32_e32 v71, 26, v128
	v_mul_f32_e32 v93, s19, v114
	v_cndmask_b32_e64 v77, 0xff7fffff, v96, s9
	v_cndmask_b32_e64 v78, 0xff7fffff, v95, s10
	v_max3_f32 v74, v76, v75, v74
	v_cmp_gt_i32_e64 s11, s24, v83
	v_cmp_gt_i32_e64 s12, s24, v84
	v_or_b32_e32 v72, 28, v128
	v_or_b32_e32 v73, 30, v128
	v_mul_f32_e32 v91, s19, v116
	v_cndmask_b32_e64 v75, 0xff7fffff, v94, s11
	v_cndmask_b32_e64 v76, 0xff7fffff, v93, s12
	v_max3_f32 v74, v74, v77, v78
	v_cmp_gt_i32_e64 s13, s24, v85
	v_cmp_gt_i32_e64 s15, s24, v71
	;; [unrolled: 1-line block ×4, first 2 shown]
	v_max3_f32 v74, v74, v75, v76
	v_cndmask_b32_e64 v77, 0xff7fffff, v92, s13
	v_cndmask_b32_e64 v71, 0xff7fffff, v91, s15
	;; [unrolled: 1-line block ×4, first 2 shown]
	s_delay_alu instid0(VALU_DEP_3) | instskip(SKIP_1) | instid1(VALU_DEP_2)
	v_max3_f32 v71, v74, v77, v71
	v_lshlrev_b32_e32 v74, 2, v127
	v_max3_f32 v71, v71, v72, v73
	ds_bpermute_b32 v72, v74, v71
	s_waitcnt lgkmcnt(0)
	v_max_f32_e32 v72, v72, v72
	s_delay_alu instid0(VALU_DEP_1) | instskip(NEXT) | instid1(VALU_DEP_1)
	v_max_f32_e32 v71, v71, v72
	v_fma_f32 v75, s19, v137, -v71
	v_fma_f32 v76, s19, v138, -v71
	;; [unrolled: 1-line block ×5, first 2 shown]
	s_delay_alu instid0(VALU_DEP_4) | instskip(NEXT) | instid1(VALU_DEP_4)
	v_dual_mul_f32 v75, 0x3fb8aa3b, v75 :: v_dual_mul_f32 v76, 0x3fb8aa3b, v76
	v_mul_f32_e32 v72, 0x3fb8aa3b, v72
	v_fma_f32 v77, s19, v139, -v71
	s_delay_alu instid0(VALU_DEP_4) | instskip(NEXT) | instid1(VALU_DEP_4)
	v_mul_f32_e32 v73, 0x3fb8aa3b, v73
	v_exp_f32_e32 v75, v75
	v_exp_f32_e32 v76, v76
	;; [unrolled: 1-line block ×3, first 2 shown]
	s_delay_alu instid0(VALU_DEP_1) | instskip(SKIP_2) | instid1(TRANS32_DEP_3)
	v_exp_f32_e32 v73, v73
	v_cndmask_b32_e64 v81, 0, v75, s3
	v_mul_f32_e32 v82, 0x3fb8aa3b, v80
	v_cndmask_b32_e64 v80, 0, v76, s4
	s_waitcnt_depctr 0xfff
	v_cndmask_b32_e64 v78, 0, v73, s2
	v_cmp_gt_u32_e64 s2, 16, v70
	v_exp_f32_e32 v84, v82
	s_waitcnt_depctr 0xfff
	v_cndmask_b32_e64 v85, 0, v84, s7
	v_cndmask_b32_e32 v79, 0, v72, vcc_lo
	v_fma_f32 v72, s19, v140, -v71
	v_mul_f32_e32 v77, 0x3fb8aa3b, v77
	s_delay_alu instid0(VALU_DEP_2) | instskip(NEXT) | instid1(VALU_DEP_2)
	v_dual_add_f32 v73, 0, v79 :: v_dual_mul_f32 v72, 0x3fb8aa3b, v72
	v_exp_f32_e32 v77, v77
	s_delay_alu instid0(VALU_DEP_1) | instskip(NEXT) | instid1(VALU_DEP_2)
	v_add_f32_e32 v73, v73, v78
	v_exp_f32_e32 v72, v72
	s_delay_alu instid0(VALU_DEP_1) | instskip(SKIP_4) | instid1(VALU_DEP_2)
	v_add_f32_e32 v73, v73, v81
	s_waitcnt_depctr 0xfff
	v_cndmask_b32_e64 v83, 0, v77, s5
	v_add_f32_e32 v73, v73, v80
	v_cndmask_b32_e64 v82, 0, v72, s6
	v_add_f32_e32 v72, v73, v83
	s_delay_alu instid0(VALU_DEP_1)
	v_add_f32_e32 v72, v72, v82
	v_fma_f32 v75, s19, v142, -v71
	v_fma_f32 v76, s19, v111, -v71
	;; [unrolled: 1-line block ×5, first 2 shown]
	s_delay_alu instid0(VALU_DEP_4) | instskip(NEXT) | instid1(VALU_DEP_4)
	v_dual_mul_f32 v75, 0x3fb8aa3b, v75 :: v_dual_mul_f32 v76, 0x3fb8aa3b, v76
	v_mul_f32_e32 v86, 0x3fb8aa3b, v86
	v_add_f32_e32 v72, v72, v85
	s_delay_alu instid0(VALU_DEP_3) | instskip(NEXT) | instid1(VALU_DEP_3)
	v_exp_f32_e32 v75, v75
	v_exp_f32_e32 v76, v76
	s_delay_alu instid0(VALU_DEP_2) | instskip(NEXT) | instid1(TRANS32_DEP_3)
	v_exp_f32_e32 v88, v86
	v_cndmask_b32_e64 v84, 0, v75, s8
	v_mul_f32_e32 v77, 0x3fb8aa3b, v77
	s_waitcnt_depctr 0xfff
	v_cndmask_b32_e64 v87, 0, v76, s9
	v_fma_f32 v76, s19, v116, -v71
	v_dual_mul_f32 v73, 0x3fb8aa3b, v73 :: v_dual_add_f32 v72, v72, v84
	v_exp_f32_e32 v77, v77
	v_fma_f32 v75, s19, v115, -v71
	s_delay_alu instid0(VALU_DEP_3) | instskip(NEXT) | instid1(VALU_DEP_3)
	v_mul_f32_e32 v76, 0x3fb8aa3b, v76
	v_exp_f32_e32 v73, v73
	v_add_f32_e32 v72, v72, v87
	v_cndmask_b32_e64 v88, 0, v88, s12
	s_delay_alu instid0(VALU_DEP_3) | instskip(NEXT) | instid1(TRANS32_DEP_3)
	v_exp_f32_e32 v76, v76
	v_cndmask_b32_e64 v86, 0, v77, s10
	v_mul_f32_e32 v75, 0x3fb8aa3b, v75
	v_fma_f32 v77, s19, v117, -v71
	s_delay_alu instid0(TRANS32_DEP_2) | instskip(NEXT) | instid1(VALU_DEP_4)
	v_cndmask_b32_e64 v89, 0, v73, s11
	v_add_f32_e32 v72, v72, v86
	s_delay_alu instid0(VALU_DEP_4) | instskip(NEXT) | instid1(TRANS32_DEP_2)
	v_exp_f32_e32 v75, v75
	v_cndmask_b32_e64 v90, 0, v76, s15
	s_delay_alu instid0(VALU_DEP_2) | instskip(SKIP_2) | instid1(VALU_DEP_3)
	v_add_f32_e32 v72, v72, v89
	v_mul_f32_e32 v73, 0x3fb8aa3b, v77
	v_fma_f32 v77, s19, v118, -v71
	v_add_f32_e32 v72, v72, v88
	s_delay_alu instid0(VALU_DEP_3) | instskip(NEXT) | instid1(TRANS32_DEP_2)
	v_exp_f32_e32 v73, v73
	v_cndmask_b32_e64 v91, 0, v75, s13
	s_delay_alu instid0(VALU_DEP_1) | instskip(NEXT) | instid1(VALU_DEP_1)
	v_dual_mul_f32 v75, 0x3fb8aa3b, v77 :: v_dual_add_f32 v72, v72, v91
	v_exp_f32_e32 v75, v75
	s_waitcnt_depctr 0xfff
	v_cndmask_b32_e64 v93, 0, v73, s16
	v_add_f32_e32 v72, v72, v90
	s_delay_alu instid0(VALU_DEP_1) | instskip(SKIP_1) | instid1(VALU_DEP_1)
	v_add_f32_e32 v72, v72, v93
	v_cndmask_b32_e64 v92, 0, v75, s17
	v_add_f32_e32 v72, v72, v92
	ds_bpermute_b32 v73, v74, v72
	s_and_saveexec_b32 s3, s2
	s_cbranch_execz .LBB1328_12
; %bb.11:
	v_mul_u32_u24_e32 v70, 0x44, v69
	s_waitcnt lgkmcnt(0)
	v_add_f32_e32 v72, v72, v73
	s_delay_alu instid0(VALU_DEP_2) | instskip(NEXT) | instid1(VALU_DEP_1)
	v_lshl_add_u32 v70, v68, 2, v70
	v_add_nc_u32_e32 v70, 0x4000, v70
	ds_store_2addr_b32 v70, v71, v72 offset1:136
.LBB1328_12:
	s_or_b32 exec_lo, exec_lo, s3
	v_lshlrev_b32_e32 v70, 2, v68
	s_load_b32 s35, s[0:1], 0x94
	s_waitcnt lgkmcnt(0)
	s_barrier
	buffer_gl0_inv
	v_add_nc_u32_e32 v98, 0x4000, v70
	v_cmp_eq_u32_e32 vcc_lo, 1, v69
	v_cmp_eq_u32_e64 s3, 2, v69
	v_cmp_eq_u32_e64 s4, 3, v69
	;; [unrolled: 1-line block ×3, first 2 shown]
	ds_load_2addr_b32 v[70:71], v98 offset1:17
	ds_load_2addr_b32 v[72:73], v98 offset0:34 offset1:51
	ds_load_2addr_b32 v[74:75], v98 offset0:68 offset1:85
	;; [unrolled: 1-line block ×3, first 2 shown]
	v_cmp_eq_u32_e64 s6, 5, v69
	v_cmp_eq_u32_e64 s7, 7, v69
	s_waitcnt lgkmcnt(3)
	v_max3_f32 v76, v70, 0xff7fffff, v71
	s_waitcnt lgkmcnt(2)
	s_delay_alu instid0(VALU_DEP_1) | instskip(SKIP_1) | instid1(VALU_DEP_1)
	v_max3_f32 v76, v76, v72, v73
	s_waitcnt lgkmcnt(1)
	v_max3_f32 v76, v76, v74, v75
	s_waitcnt lgkmcnt(0)
	s_delay_alu instid0(VALU_DEP_1) | instskip(NEXT) | instid1(VALU_DEP_1)
	v_max3_f32 v76, v76, v94, v95
	v_sub_f32_e32 v77, v71, v76
	ds_load_2addr_b32 v[96:97], v98 offset0:136 offset1:153
	v_sub_f32_e32 v74, v74, v76
	v_sub_f32_e32 v70, v70, v76
	;; [unrolled: 1-line block ×3, first 2 shown]
	v_dual_sub_f32 v72, v72, v76 :: v_dual_mul_f32 v77, 0x3fb8aa3b, v77
	s_delay_alu instid0(VALU_DEP_4) | instskip(NEXT) | instid1(VALU_DEP_4)
	v_mul_f32_e32 v103, 0x3fb8aa3b, v74
	v_mul_f32_e32 v99, 0x3fb8aa3b, v70
	ds_load_2addr_b32 v[70:71], v98 offset0:170 offset1:187
	v_dual_mul_f32 v101, 0x3fb8aa3b, v72 :: v_dual_mul_f32 v94, 0x3fb8aa3b, v94
	v_exp_f32_e32 v102, v77
	v_exp_f32_e32 v99, v99
	s_delay_alu instid0(VALU_DEP_1) | instskip(NEXT) | instid1(VALU_DEP_1)
	v_exp_f32_e32 v101, v101
	v_exp_f32_e32 v94, v94
	s_waitcnt lgkmcnt(1)
	s_delay_alu instid0(TRANS32_DEP_3)
	v_fma_f32 v77, v99, v96, 0
	v_sub_f32_e32 v100, v73, v76
	ds_load_2addr_b32 v[72:73], v98 offset0:204 offset1:221
	v_fmac_f32_e32 v77, v102, v97
	v_exp_f32_e32 v97, v103
	s_waitcnt lgkmcnt(1)
	s_delay_alu instid0(VALU_DEP_1)
	v_dual_fmac_f32 v77, v101, v70 :: v_dual_sub_f32 v96, v75, v76
	ds_load_2addr_b32 v[74:75], v98 offset0:238 offset1:255
	v_sub_f32_e32 v70, v95, v76
	s_waitcnt lgkmcnt(0)
	s_barrier
	v_mul_f32_e32 v96, 0x3fb8aa3b, v96
	buffer_gl0_inv
	v_exp_f32_e32 v95, v96
	v_mul_f32_e32 v100, 0x3fb8aa3b, v100
	s_delay_alu instid0(VALU_DEP_1) | instskip(SKIP_3) | instid1(VALU_DEP_2)
	v_exp_f32_e32 v100, v100
	s_waitcnt_depctr 0xfff
	v_dual_fmac_f32 v77, v100, v71 :: v_dual_mul_f32 v70, 0x3fb8aa3b, v70
	v_cndmask_b32_e32 v71, v99, v102, vcc_lo
	v_fmac_f32_e32 v77, v97, v72
	s_delay_alu instid0(VALU_DEP_3) | instskip(NEXT) | instid1(VALU_DEP_1)
	v_exp_f32_e32 v96, v70
	v_fmac_f32_e32 v77, v95, v73
	s_delay_alu instid0(VALU_DEP_1) | instskip(SKIP_2) | instid1(VALU_DEP_1)
	v_fmac_f32_e32 v77, v94, v74
	s_waitcnt_depctr 0xfff
	v_fmac_f32_e32 v77, v96, v75
	v_add_f32_e32 v74, 0x358637bd, v77
	s_delay_alu instid0(VALU_DEP_1) | instskip(SKIP_1) | instid1(VALU_DEP_2)
	v_div_scale_f32 v98, null, v74, v74, 1.0
	v_div_scale_f32 v99, vcc_lo, 1.0, v74, 1.0
	v_rcp_f32_e32 v103, v98
	s_waitcnt_depctr 0xfff
	v_fma_f32 v70, -v98, v103, 1.0
	s_delay_alu instid0(VALU_DEP_1) | instskip(SKIP_2) | instid1(VALU_DEP_2)
	v_fmac_f32_e32 v103, v70, v103
	v_cndmask_b32_e64 v70, v71, v101, s3
	v_cmp_eq_u32_e64 s3, 6, v69
	v_cndmask_b32_e64 v71, v70, v100, s4
	s_delay_alu instid0(VALU_DEP_4) | instskip(NEXT) | instid1(VALU_DEP_2)
	v_dual_mul_f32 v101, v99, v103 :: v_dual_lshlrev_b32 v70, 2, v66
	v_cndmask_b32_e64 v71, v71, v97, s5
	s_delay_alu instid0(VALU_DEP_2) | instskip(NEXT) | instid1(VALU_DEP_3)
	v_or_b32_e32 v72, 1, v70
	v_fma_f32 v100, -v98, v101, v99
	v_cmp_eq_u32_e64 s4, 1, v70
	v_cmp_eq_u32_e64 s5, 2, v70
	v_cndmask_b32_e64 v95, v71, v95, s6
	v_or_b32_e32 v71, 3, v70
	v_fmac_f32_e32 v101, v100, v103
	v_cmp_eq_u32_e64 s9, 1, v72
	v_cmp_eq_u32_e64 s12, 2, v72
	v_cndmask_b32_e64 v94, v95, v94, s3
	v_cmp_eq_u32_e64 s11, 1, v71
	v_fma_f32 v97, -v98, v101, v99
	v_cmp_eq_u32_e64 s16, 2, v71
	v_cmp_eq_u32_e64 s13, 3, v72
	v_cndmask_b32_e64 v94, v94, v96, s7
	v_cmp_eq_u32_e64 s18, 3, v71
	v_div_fmas_f32 v95, v97, v103, v101
	v_cmp_eq_u32_e32 vcc_lo, 3, v70
	v_cmp_eq_u32_e64 s3, 4, v70
	v_cmp_eq_u32_e64 s19, 4, v72
	;; [unrolled: 1-line block ×3, first 2 shown]
	v_div_fixup_f32 v95, v95, v74, 1.0
	v_lshlrev_b32_e32 v73, 6, v68
	v_cmp_eq_u32_e64 s6, 5, v70
	v_cmp_eq_u32_e64 s20, 5, v72
	;; [unrolled: 1-line block ×3, first 2 shown]
	v_mul_f32_e32 v102, v94, v95
	v_lshl_or_b32 v75, v69, 11, v73
	v_or_b32_e32 v69, 2, v70
	v_cmp_eq_u32_e64 s25, 6, v72
	v_cmp_eq_u32_e64 s27, 6, v71
	v_fma_mixlo_f16 v94, v102, v79, 0
	v_fma_mixlo_f16 v95, v102, v81, 0
	;; [unrolled: 1-line block ×8, first 2 shown]
	v_lshl_or_b32 v74, v66, 4, v75
	v_fma_mixhi_f16 v94, v102, v78, 0
	v_fma_mixhi_f16 v95, v102, v80, 0
	;; [unrolled: 1-line block ×8, first 2 shown]
	ds_store_b128 v74, v[94:97]
	ds_store_b128 v74, v[98:101] offset:1024
	s_waitcnt lgkmcnt(0)
	s_barrier
	buffer_gl0_inv
	ds_load_b128 v[78:81], v75
	ds_load_b128 v[82:85], v75 offset:16
	ds_load_b128 v[86:89], v75 offset:1024
	;; [unrolled: 1-line block ×3, first 2 shown]
	v_cmp_eq_u32_e64 s10, 1, v69
	v_cmp_eq_u32_e64 s15, 2, v69
	;; [unrolled: 1-line block ×11, first 2 shown]
	s_waitcnt lgkmcnt(3)
	v_lshrrev_b32_e32 v94, 16, v78
	s_waitcnt lgkmcnt(2)
	v_lshrrev_b32_e32 v98, 16, v82
	;; [unrolled: 2-line block ×4, first 2 shown]
	v_lshrrev_b32_e32 v95, 16, v79
	v_cndmask_b32_e64 v110, v78, v94, s4
	v_cndmask_b32_e64 v111, v82, v98, s4
	;; [unrolled: 1-line block ×8, first 2 shown]
	v_lshrrev_b32_e32 v99, 16, v83
	v_cndmask_b32_e64 v94, v86, v102, s4
	v_cndmask_b32_e64 v98, v90, v106, s4
	;; [unrolled: 1-line block ×15, first 2 shown]
	v_lshrrev_b32_e32 v103, 16, v87
	v_lshrrev_b32_e32 v107, 16, v91
	v_cndmask_b32_e64 v113, v115, v83, s15
	v_cndmask_b32_e64 v82, v94, v87, s5
	;; [unrolled: 1-line block ×7, first 2 shown]
	v_cndmask_b32_e32 v90, v102, v95, vcc_lo
	v_cndmask_b32_e32 v102, v106, v99, vcc_lo
	v_cndmask_b32_e64 v106, v110, v95, s13
	v_cndmask_b32_e64 v110, v111, v99, s13
	;; [unrolled: 1-line block ×4, first 2 shown]
	v_lshrrev_b32_e32 v96, 16, v80
	v_lshrrev_b32_e32 v100, 16, v84
	v_cndmask_b32_e64 v111, v112, v95, s17
	v_cndmask_b32_e64 v112, v113, v99, s17
	v_cndmask_b32_e32 v82, v82, v103, vcc_lo
	v_cndmask_b32_e32 v83, v83, v107, vcc_lo
	v_cndmask_b32_e64 v94, v94, v103, s13
	v_cndmask_b32_e64 v90, v90, v80, s3
	;; [unrolled: 1-line block ×7, first 2 shown]
	v_lshrrev_b32_e32 v104, 16, v88
	v_cndmask_b32_e64 v106, v111, v80, s21
	v_cndmask_b32_e64 v110, v112, v84, s21
	;; [unrolled: 1-line block ×11, first 2 shown]
	v_lshrrev_b32_e32 v97, 16, v81
	v_lshrrev_b32_e32 v101, 16, v85
	v_cndmask_b32_e64 v99, v106, v96, s23
	v_cndmask_b32_e64 v102, v110, v100, s23
	;; [unrolled: 1-line block ×7, first 2 shown]
	v_lshrrev_b32_e32 v105, 16, v89
	v_cndmask_b32_e64 v80, v80, v104, s6
	v_cndmask_b32_e64 v84, v84, v81, s7
	;; [unrolled: 1-line block ×16, first 2 shown]
	v_perm_b32 v81, v79, v78, 0x5040100
	v_perm_b32 v79, v95, v85, 0x5040100
	v_cndmask_b32_e64 v78, v119, v91, s15
	v_cndmask_b32_e64 v85, v117, v91, s12
	;; [unrolled: 1-line block ×3, first 2 shown]
	v_perm_b32 v80, v94, v90, 0x5040100
	v_cndmask_b32_e64 v90, v98, v103, s17
	v_cndmask_b32_e64 v86, v86, v103, s18
	;; [unrolled: 1-line block ×5, first 2 shown]
	v_lshrrev_b32_e32 v108, 16, v92
	v_cndmask_b32_e64 v90, v90, v88, s21
	v_cndmask_b32_e64 v86, v86, v88, s22
	;; [unrolled: 1-line block ×11, first 2 shown]
	v_lshrrev_b32_e32 v109, 16, v93
	v_cndmask_b32_e64 v82, v82, v93, s7
	v_cndmask_b32_e64 v88, v88, v89, s26
	;; [unrolled: 1-line block ×12, first 2 shown]
	v_perm_b32 v78, v84, v83, 0x5040100
	v_perm_b32 v85, v87, v86, 0x5040100
	;; [unrolled: 1-line block ×5, first 2 shown]
	s_mul_i32 s8, s33, 3
	s_mov_b32 s3, exec_lo
	ds_store_b128 v74, v[78:81]
	ds_store_b128 v74, v[82:85] offset:1024
	v_cmpx_gt_u32_e32 3, v0
	s_cbranch_execz .LBB1328_14
; %bb.13:
	s_mul_i32 s4, s8, s34
	s_delay_alu instid0(SALU_CYCLE_1) | instskip(SKIP_1) | instid1(VALU_DEP_1)
	v_add3_u32 v68, s4, s31, v68
	s_load_b128 s[4:7], s[0:1], 0x58
	v_mad_u64_u32 v[78:79], null, v68, s35, s[14:15]
	s_delay_alu instid0(VALU_DEP_1) | instskip(NEXT) | instid1(VALU_DEP_1)
	v_ashrrev_i32_e32 v79, 31, v78
	v_lshlrev_b64 v[78:79], 2, v[78:79]
	s_waitcnt lgkmcnt(0)
	s_delay_alu instid0(VALU_DEP_1) | instskip(NEXT) | instid1(VALU_DEP_2)
	v_add_co_u32 v80, vcc_lo, s6, v78
	v_add_co_ci_u32_e32 v81, vcc_lo, s7, v79, vcc_lo
	v_add_co_u32 v78, vcc_lo, s4, v78
	v_add_co_ci_u32_e32 v79, vcc_lo, s5, v79, vcc_lo
	global_store_b32 v[80:81], v76, off
	global_store_b32 v[78:79], v77, off
.LBB1328_14:
	s_or_b32 exec_lo, exec_lo, s3
	s_waitcnt lgkmcnt(0)
	s_waitcnt_vscnt null, 0x0
	s_barrier
	buffer_gl0_inv
	ds_load_b128 v[84:87], v73
	ds_load_b128 v[88:91], v73 offset:16
	ds_load_b128 v[96:99], v73 offset:2064
	;; [unrolled: 1-line block ×5, first 2 shown]
	v_cmp_eq_u32_e32 vcc_lo, 1, v70
	v_mov_b32_e32 v76, 0
	ds_load_b128 v[112:115], v73 offset:6160
	ds_load_b128 v[108:111], v73 offset:6144
	;; [unrolled: 1-line block ×4, first 2 shown]
	v_cmp_eq_u32_e64 s4, 1, v69
	v_cmp_eq_u32_e64 s3, 1, v72
	;; [unrolled: 1-line block ×3, first 2 shown]
	v_mov_b32_e32 v77, v76
	v_mov_b32_e32 v78, v76
	;; [unrolled: 1-line block ×7, first 2 shown]
	v_cmp_eq_u32_e64 s6, 3, v72
	v_cmp_eq_u32_e64 s7, 7, v72
	s_waitcnt lgkmcnt(8)
	s_delay_alu instid0(VALU_DEP_3)
	v_wmma_f32_16x16x16_f16 v[76:83], v[49:56], v[84:91], v[76:83]
	ds_load_b128 v[53:56], v73 offset:10256
	ds_load_b128 v[49:52], v73 offset:10240
	s_waitcnt lgkmcnt(8)
	v_wmma_f32_16x16x16_f16 v[76:83], v[41:48], v[92:99], v[76:83]
	ds_load_b128 v[45:48], v73 offset:12304
	ds_load_b128 v[41:44], v73 offset:12288
	s_waitcnt lgkmcnt(8)
	;; [unrolled: 4-line block ×3, first 2 shown]
	s_barrier
	buffer_gl0_inv
	v_wmma_f32_16x16x16_f16 v[76:83], v[1:8], v[108:115], v[76:83]
	s_delay_alu instid0(VALU_DEP_1) | instskip(NEXT) | instid1(VALU_DEP_1)
	v_wmma_f32_16x16x16_f16 v[76:83], v[9:16], v[116:123], v[76:83]
	v_wmma_f32_16x16x16_f16 v[76:83], v[17:24], v[49:56], v[76:83]
	s_delay_alu instid0(VALU_DEP_1) | instskip(NEXT) | instid1(VALU_DEP_1)
	v_wmma_f32_16x16x16_f16 v[76:83], v[25:32], v[41:48], v[76:83]
	v_wmma_f32_16x16x16_f16 v[76:83], v[57:64], v[33:40], v[76:83]
	s_delay_alu instid0(VALU_DEP_1) | instskip(NEXT) | instid1(VALU_DEP_2)
	v_cvt_f16_f32_e32 v1, v76
	v_cvt_f16_f32_e32 v2, v77
	s_delay_alu instid0(VALU_DEP_3) | instskip(NEXT) | instid1(VALU_DEP_4)
	v_cvt_f16_f32_e32 v3, v78
	v_cvt_f16_f32_e32 v4, v79
	;; [unrolled: 1-line block ×6, first 2 shown]
	v_pack_b32_f16 v1, v1, v2
	v_pack_b32_f16 v2, v3, v4
	;; [unrolled: 1-line block ×3, first 2 shown]
	s_delay_alu instid0(VALU_DEP_4)
	v_pack_b32_f16 v4, v7, v8
	ds_store_b128 v74, v[1:4]
	s_waitcnt lgkmcnt(0)
	s_barrier
	buffer_gl0_inv
	ds_load_b128 v[1:4], v75
	ds_load_b128 v[5:8], v75 offset:16
	s_waitcnt lgkmcnt(1)
	v_lshrrev_b32_e32 v9, 16, v1
	s_waitcnt lgkmcnt(0)
	v_lshrrev_b32_e32 v13, 16, v5
	v_lshrrev_b32_e32 v10, 16, v2
	v_lshrrev_b32_e32 v14, 16, v6
	v_lshrrev_b32_e32 v11, 16, v3
	v_cndmask_b32_e32 v17, v1, v9, vcc_lo
	v_cndmask_b32_e32 v18, v5, v13, vcc_lo
	v_cndmask_b32_e64 v21, v1, v9, s4
	v_cmp_eq_u32_e32 vcc_lo, 1, v71
	v_cndmask_b32_e64 v22, v5, v13, s4
	v_cmp_eq_u32_e64 s4, 2, v70
	v_cndmask_b32_e64 v19, v1, v9, s3
	v_cndmask_b32_e64 v20, v5, v13, s3
	v_cndmask_b32_e32 v1, v1, v9, vcc_lo
	v_cmp_eq_u32_e64 s3, 2, v71
	v_cndmask_b32_e32 v5, v5, v13, vcc_lo
	v_cndmask_b32_e64 v9, v17, v2, s4
	v_cmp_eq_u32_e32 vcc_lo, 3, v70
	v_cndmask_b32_e64 v13, v18, v6, s4
	v_cmp_eq_u32_e64 s4, 2, v69
	v_cndmask_b32_e64 v17, v19, v2, s5
	v_cndmask_b32_e64 v18, v20, v6, s5
	v_cmp_eq_u32_e64 s5, 3, v69
	v_cndmask_b32_e64 v1, v1, v2, s3
	v_cndmask_b32_e64 v19, v21, v2, s4
	;; [unrolled: 1-line block ×4, first 2 shown]
	v_cndmask_b32_e32 v5, v9, v10, vcc_lo
	v_cndmask_b32_e32 v6, v13, v14, vcc_lo
	v_cmp_eq_u32_e32 vcc_lo, 3, v71
	v_cndmask_b32_e64 v9, v17, v10, s6
	v_cndmask_b32_e64 v13, v18, v14, s6
	;; [unrolled: 1-line block ×3, first 2 shown]
	v_cmp_eq_u32_e64 s4, 4, v70
	v_cndmask_b32_e32 v1, v1, v10, vcc_lo
	v_cndmask_b32_e32 v2, v2, v14, vcc_lo
	v_cmp_eq_u32_e32 vcc_lo, 4, v72
	v_lshrrev_b32_e32 v15, 16, v7
	v_lshrrev_b32_e32 v16, 16, v8
	v_cndmask_b32_e64 v17, v19, v10, s5
	v_cmp_eq_u32_e64 s3, 4, v71
	v_cndmask_b32_e64 v5, v5, v3, s4
	v_cndmask_b32_e64 v6, v6, v7, s4
	v_cndmask_b32_e32 v9, v9, v3, vcc_lo
	v_cmp_eq_u32_e64 s4, 5, v72
	v_cndmask_b32_e32 v10, v13, v7, vcc_lo
	v_cmp_eq_u32_e32 vcc_lo, 4, v69
	v_cmp_eq_u32_e64 s5, 5, v70
	v_cndmask_b32_e64 v2, v2, v7, s3
	v_cndmask_b32_e64 v9, v9, v11, s4
	;; [unrolled: 1-line block ×3, first 2 shown]
	v_cndmask_b32_e32 v13, v17, v3, vcc_lo
	v_cmp_eq_u32_e64 s4, 5, v69
	v_cndmask_b32_e32 v14, v18, v7, vcc_lo
	v_cndmask_b32_e64 v1, v1, v3, s3
	v_cmp_eq_u32_e32 vcc_lo, 5, v71
	v_lshrrev_b32_e32 v12, 16, v4
	v_cndmask_b32_e64 v13, v13, v11, s4
	v_cndmask_b32_e64 v3, v14, v15, s4
	v_cmp_eq_u32_e64 s4, 6, v71
	v_cndmask_b32_e32 v1, v1, v11, vcc_lo
	v_cndmask_b32_e64 v5, v5, v11, s5
	v_cmp_eq_u32_e64 s6, 6, v70
	v_cndmask_b32_e64 v6, v6, v15, s5
	v_cmp_eq_u32_e64 s5, 6, v72
	v_cmp_eq_u32_e64 s3, 6, v69
	v_cndmask_b32_e64 v1, v1, v4, s4
	v_cndmask_b32_e32 v2, v2, v15, vcc_lo
	v_cmp_eq_u32_e32 vcc_lo, 7, v71
	v_cndmask_b32_e64 v5, v5, v4, s6
	v_cndmask_b32_e64 v9, v9, v4, s5
	;; [unrolled: 1-line block ×3, first 2 shown]
	v_cmp_eq_u32_e64 s6, 7, v70
	v_cndmask_b32_e32 v1, v1, v12, vcc_lo
	v_cndmask_b32_e64 v7, v13, v4, s3
	v_cndmask_b32_e64 v3, v3, v8, s3
	;; [unrolled: 1-line block ×3, first 2 shown]
	v_cmp_eq_u32_e64 s3, 7, v69
	v_cndmask_b32_e64 v4, v10, v8, s5
	v_cndmask_b32_e64 v5, v5, v12, s6
	;; [unrolled: 1-line block ×3, first 2 shown]
	v_cndmask_b32_e32 v2, v2, v16, vcc_lo
	v_cndmask_b32_e64 v7, v7, v12, s3
	v_cndmask_b32_e64 v3, v3, v16, s3
	;; [unrolled: 1-line block ×4, first 2 shown]
	v_perm_b32 v4, v2, v1, 0x5040100
	s_mov_b32 s3, exec_lo
	v_perm_b32 v3, v3, v7, 0x5040100
	v_perm_b32 v2, v8, v9, 0x5040100
	;; [unrolled: 1-line block ×3, first 2 shown]
	ds_store_b128 v74, v[1:4]
	s_waitcnt lgkmcnt(0)
	s_barrier
	buffer_gl0_inv
	v_cmpx_gt_u32_e32 32, v0
	s_cbranch_execz .LBB1328_2
; %bb.15:
	s_load_b64 s[4:5], s[0:1], 0x68
	v_lshlrev_b32_e32 v0, 10, v0
	v_lshlrev_b32_e32 v2, 4, v67
	v_add_nc_u32_e32 v1, s31, v66
	s_lshl_b32 s0, s35, 7
	s_delay_alu instid0(SALU_CYCLE_1) | instskip(NEXT) | instid1(VALU_DEP_2)
	s_mul_i32 s1, s0, s34
	v_and_or_b32 v0, 0x3800, v0, v2
	s_mul_i32 s6, s1, s8
	v_mul_lo_u32 v1, v1, s0
	s_ashr_i32 s7, s6, 31
	s_delay_alu instid0(VALU_DEP_2) | instskip(SKIP_1) | instid1(VALU_DEP_2)
	v_lshl_or_b32 v3, v66, 6, v0
	s_lshl_b64 s[6:7], s[6:7], 1
	v_ashrrev_i32_e32 v2, 31, v1
	ds_load_b128 v[3:6], v3
	s_waitcnt lgkmcnt(0)
	s_add_u32 s1, s4, s6
	s_addc_u32 s3, s5, s7
	s_lshl_b32 s4, s14, 7
	v_lshlrev_b64 v[7:8], 1, v[1:2]
	s_ashr_i32 s5, s4, 31
	s_delay_alu instid0(SALU_CYCLE_1) | instskip(NEXT) | instid1(SALU_CYCLE_1)
	s_lshl_b64 s[4:5], s[4:5], 1
	s_add_u32 s1, s1, s4
	s_addc_u32 s3, s3, s5
	v_add_co_u32 v1, s1, s1, v65
	s_delay_alu instid0(VALU_DEP_1) | instskip(NEXT) | instid1(VALU_DEP_2)
	v_add_co_ci_u32_e64 v2, null, s3, 0, s1
	v_add_co_u32 v7, vcc_lo, v1, v7
	s_delay_alu instid0(VALU_DEP_2)
	v_add_co_ci_u32_e32 v8, vcc_lo, v2, v8, vcc_lo
	global_store_b128 v[7:8], v[3:6], off
	s_and_b32 exec_lo, exec_lo, s2
	s_cbranch_execz .LBB1328_2
; %bb.16:
	ds_load_b128 v[3:6], v0 offset:128
	s_add_i32 s1, s31, 2
	s_delay_alu instid0(SALU_CYCLE_1) | instskip(NEXT) | instid1(SALU_CYCLE_1)
	s_mul_i32 s0, s1, s0
	s_ashr_i32 s1, s0, 31
	s_delay_alu instid0(SALU_CYCLE_1) | instskip(NEXT) | instid1(SALU_CYCLE_1)
	s_lshl_b64 s[0:1], s[0:1], 1
	v_add_co_u32 v0, vcc_lo, v1, s0
	v_add_co_ci_u32_e32 v1, vcc_lo, s1, v2, vcc_lo
	s_waitcnt lgkmcnt(0)
	global_store_b128 v[0:1], v[3:6], off
	s_nop 0
	s_sendmsg sendmsg(MSG_DEALLOC_VGPRS)
	s_endpgm
	.section	.rodata,"a",@progbits
	.p2align	6, 0x0
	.amdhsa_kernel _Z39paged_attention_ll4mi_QKV_mfma16_kernelIDF16_hLN4vllm18Fp8KVCacheDataTypeE1EDF16_Li32ELi128ELi256ELb1ELi3EL8MFMAType0EEvPKT_PKT0_S8_ifPKiSA_SA_iPKfiiiPfSD_PS3_PT2_iSC_SC_
		.amdhsa_group_segment_fixed_size 17472
		.amdhsa_private_segment_fixed_size 0
		.amdhsa_kernarg_size 400
		.amdhsa_user_sgpr_count 13
		.amdhsa_user_sgpr_dispatch_ptr 0
		.amdhsa_user_sgpr_queue_ptr 0
		.amdhsa_user_sgpr_kernarg_segment_ptr 1
		.amdhsa_user_sgpr_dispatch_id 0
		.amdhsa_user_sgpr_private_segment_size 0
		.amdhsa_wavefront_size32 1
		.amdhsa_uses_dynamic_stack 0
		.amdhsa_enable_private_segment 0
		.amdhsa_system_sgpr_workgroup_id_x 1
		.amdhsa_system_sgpr_workgroup_id_y 1
		.amdhsa_system_sgpr_workgroup_id_z 1
		.amdhsa_system_sgpr_workgroup_info 0
		.amdhsa_system_vgpr_workitem_id 0
		.amdhsa_next_free_vgpr 150
		.amdhsa_next_free_sgpr 37
		.amdhsa_reserve_vcc 1
		.amdhsa_float_round_mode_32 0
		.amdhsa_float_round_mode_16_64 0
		.amdhsa_float_denorm_mode_32 3
		.amdhsa_float_denorm_mode_16_64 3
		.amdhsa_dx10_clamp 1
		.amdhsa_ieee_mode 1
		.amdhsa_fp16_overflow 0
		.amdhsa_workgroup_processor_mode 1
		.amdhsa_memory_ordered 1
		.amdhsa_forward_progress 0
		.amdhsa_shared_vgpr_count 0
		.amdhsa_exception_fp_ieee_invalid_op 0
		.amdhsa_exception_fp_denorm_src 0
		.amdhsa_exception_fp_ieee_div_zero 0
		.amdhsa_exception_fp_ieee_overflow 0
		.amdhsa_exception_fp_ieee_underflow 0
		.amdhsa_exception_fp_ieee_inexact 0
		.amdhsa_exception_int_div_zero 0
	.end_amdhsa_kernel
	.section	.text._Z39paged_attention_ll4mi_QKV_mfma16_kernelIDF16_hLN4vllm18Fp8KVCacheDataTypeE1EDF16_Li32ELi128ELi256ELb1ELi3EL8MFMAType0EEvPKT_PKT0_S8_ifPKiSA_SA_iPKfiiiPfSD_PS3_PT2_iSC_SC_,"axG",@progbits,_Z39paged_attention_ll4mi_QKV_mfma16_kernelIDF16_hLN4vllm18Fp8KVCacheDataTypeE1EDF16_Li32ELi128ELi256ELb1ELi3EL8MFMAType0EEvPKT_PKT0_S8_ifPKiSA_SA_iPKfiiiPfSD_PS3_PT2_iSC_SC_,comdat
.Lfunc_end1328:
	.size	_Z39paged_attention_ll4mi_QKV_mfma16_kernelIDF16_hLN4vllm18Fp8KVCacheDataTypeE1EDF16_Li32ELi128ELi256ELb1ELi3EL8MFMAType0EEvPKT_PKT0_S8_ifPKiSA_SA_iPKfiiiPfSD_PS3_PT2_iSC_SC_, .Lfunc_end1328-_Z39paged_attention_ll4mi_QKV_mfma16_kernelIDF16_hLN4vllm18Fp8KVCacheDataTypeE1EDF16_Li32ELi128ELi256ELb1ELi3EL8MFMAType0EEvPKT_PKT0_S8_ifPKiSA_SA_iPKfiiiPfSD_PS3_PT2_iSC_SC_
                                        ; -- End function
	.section	.AMDGPU.csdata,"",@progbits
; Kernel info:
; codeLenInByte = 6604
; NumSgprs: 39
; NumVgprs: 150
; ScratchSize: 0
; MemoryBound: 0
; FloatMode: 240
; IeeeMode: 1
; LDSByteSize: 17472 bytes/workgroup (compile time only)
; SGPRBlocks: 4
; VGPRBlocks: 18
; NumSGPRsForWavesPerEU: 39
; NumVGPRsForWavesPerEU: 150
; Occupancy: 9
; WaveLimiterHint : 1
; COMPUTE_PGM_RSRC2:SCRATCH_EN: 0
; COMPUTE_PGM_RSRC2:USER_SGPR: 13
; COMPUTE_PGM_RSRC2:TRAP_HANDLER: 0
; COMPUTE_PGM_RSRC2:TGID_X_EN: 1
; COMPUTE_PGM_RSRC2:TGID_Y_EN: 1
; COMPUTE_PGM_RSRC2:TGID_Z_EN: 1
; COMPUTE_PGM_RSRC2:TIDIG_COMP_CNT: 0
	.section	.text._Z39paged_attention_ll4mi_QKV_mfma16_kernelIDF16_hLN4vllm18Fp8KVCacheDataTypeE1EDF16_Li32ELi128ELi256ELb1ELi4EL8MFMAType0EEvPKT_PKT0_S8_ifPKiSA_SA_iPKfiiiPfSD_PS3_PT2_iSC_SC_,"axG",@progbits,_Z39paged_attention_ll4mi_QKV_mfma16_kernelIDF16_hLN4vllm18Fp8KVCacheDataTypeE1EDF16_Li32ELi128ELi256ELb1ELi4EL8MFMAType0EEvPKT_PKT0_S8_ifPKiSA_SA_iPKfiiiPfSD_PS3_PT2_iSC_SC_,comdat
	.protected	_Z39paged_attention_ll4mi_QKV_mfma16_kernelIDF16_hLN4vllm18Fp8KVCacheDataTypeE1EDF16_Li32ELi128ELi256ELb1ELi4EL8MFMAType0EEvPKT_PKT0_S8_ifPKiSA_SA_iPKfiiiPfSD_PS3_PT2_iSC_SC_ ; -- Begin function _Z39paged_attention_ll4mi_QKV_mfma16_kernelIDF16_hLN4vllm18Fp8KVCacheDataTypeE1EDF16_Li32ELi128ELi256ELb1ELi4EL8MFMAType0EEvPKT_PKT0_S8_ifPKiSA_SA_iPKfiiiPfSD_PS3_PT2_iSC_SC_
	.globl	_Z39paged_attention_ll4mi_QKV_mfma16_kernelIDF16_hLN4vllm18Fp8KVCacheDataTypeE1EDF16_Li32ELi128ELi256ELb1ELi4EL8MFMAType0EEvPKT_PKT0_S8_ifPKiSA_SA_iPKfiiiPfSD_PS3_PT2_iSC_SC_
	.p2align	8
	.type	_Z39paged_attention_ll4mi_QKV_mfma16_kernelIDF16_hLN4vllm18Fp8KVCacheDataTypeE1EDF16_Li32ELi128ELi256ELb1ELi4EL8MFMAType0EEvPKT_PKT0_S8_ifPKiSA_SA_iPKfiiiPfSD_PS3_PT2_iSC_SC_,@function
_Z39paged_attention_ll4mi_QKV_mfma16_kernelIDF16_hLN4vllm18Fp8KVCacheDataTypeE1EDF16_Li32ELi128ELi256ELb1ELi4EL8MFMAType0EEvPKT_PKT0_S8_ifPKiSA_SA_iPKfiiiPfSD_PS3_PT2_iSC_SC_: ; @_Z39paged_attention_ll4mi_QKV_mfma16_kernelIDF16_hLN4vllm18Fp8KVCacheDataTypeE1EDF16_Li32ELi128ELi256ELb1ELi4EL8MFMAType0EEvPKT_PKT0_S8_ifPKiSA_SA_iPKfiiiPfSD_PS3_PT2_iSC_SC_
; %bb.0:
	s_load_b64 s[4:5], s[0:1], 0x30
	s_mov_b32 s30, s13
	s_waitcnt lgkmcnt(0)
	s_cmp_lg_u64 s[4:5], 0
	s_cselect_b32 s13, -1, 0
	s_ashr_i32 s31, s30, 31
	s_cmp_eq_u64 s[4:5], 0
	s_cbranch_scc1 .LBB1329_3
; %bb.1:
	s_lshl_b64 s[2:3], s[30:31], 2
	s_delay_alu instid0(SALU_CYCLE_1) | instskip(SKIP_4) | instid1(SALU_CYCLE_1)
	s_add_u32 s2, s4, s2
	s_addc_u32 s3, s5, s3
	s_load_b64 s[2:3], s[2:3], 0x0
	s_waitcnt lgkmcnt(0)
	s_sub_i32 s2, s3, s2
	s_cmp_eq_u32 s2, 1
	s_cselect_b32 s2, -1, 0
	s_delay_alu instid0(SALU_CYCLE_1)
	s_and_not1_b32 vcc_lo, exec_lo, s2
	s_cbranch_vccz .LBB1329_4
.LBB1329_2:
	s_endpgm
.LBB1329_3:
.LBB1329_4:
	s_load_b64 s[2:3], s[0:1], 0x28
	s_lshl_b64 s[6:7], s[30:31], 2
	s_waitcnt lgkmcnt(0)
	s_add_u32 s2, s2, s6
	s_addc_u32 s3, s3, s7
	s_lshl_b32 s12, s14, 8
	s_load_b32 s17, s[2:3], 0x0
	s_waitcnt lgkmcnt(0)
	s_cmp_ge_i32 s12, s17
	s_cbranch_scc1 .LBB1329_2
; %bb.5:
	s_clause 0x1
	s_load_b128 s[8:11], s[0:1], 0x8
	s_load_b64 s[2:3], s[0:1], 0x20
	s_and_not1_b32 vcc_lo, exec_lo, s13
	s_cbranch_vccnz .LBB1329_7
; %bb.6:
	s_add_u32 s4, s4, s6
	s_addc_u32 s5, s5, s7
	s_load_b32 s13, s[4:5], 0x0
	s_branch .LBB1329_8
.LBB1329_7:
	s_mov_b32 s13, s30
.LBB1329_8:
	s_load_b128 s[4:7], s[0:1], 0x48
	v_and_b32_e32 v69, 15, v0
	v_lshrrev_b32_e32 v68, 5, v0
	v_and_b32_e32 v70, 31, v0
	v_and_b32_e32 v67, 1, v0
	v_bfe_u32 v66, v0, 4, 1
	v_lshlrev_b32_e32 v1, 3, v69
	s_lshl_b32 s31, s15, 2
	s_waitcnt lgkmcnt(0)
	s_mov_b32 s7, exec_lo
	s_delay_alu instid0(VALU_DEP_1)
	v_lshlrev_b32_e32 v65, 1, v1
	v_cmpx_gt_u32_e32 64, v0
	s_cbranch_execz .LBB1329_10
; %bb.9:
	v_lshl_or_b32 v5, v68, 1, v66
	s_load_b64 s[18:19], s[0:1], 0x0
	s_mul_hi_i32 s21, s13, s4
	s_mul_i32 s20, s13, s4
	v_lshlrev_b32_e32 v6, 10, v69
	v_or_b32_e32 v1, s31, v5
	s_lshl_b64 s[20:21], s[20:21], 1
	v_lshlrev_b32_e32 v5, 6, v5
	v_lshlrev_b32_e32 v7, 10, v67
	v_and_b32_e32 v6, 0x3800, v6
	v_lshlrev_b32_e32 v1, 7, v1
	s_delay_alu instid0(VALU_DEP_2) | instskip(NEXT) | instid1(VALU_DEP_2)
	v_or3_b32 v5, v6, v7, v5
	v_ashrrev_i32_e32 v2, 31, v1
	s_delay_alu instid0(VALU_DEP_1) | instskip(SKIP_3) | instid1(VALU_DEP_1)
	v_lshlrev_b64 v[1:2], 1, v[1:2]
	s_waitcnt lgkmcnt(0)
	s_add_u32 s4, s18, s20
	s_addc_u32 s13, s19, s21
	v_add_co_u32 v1, vcc_lo, s4, v1
	s_delay_alu instid0(VALU_DEP_2) | instskip(NEXT) | instid1(VALU_DEP_2)
	v_add_co_ci_u32_e32 v2, vcc_lo, s13, v2, vcc_lo
	v_add_co_u32 v1, vcc_lo, v1, v65
	s_delay_alu instid0(VALU_DEP_2)
	v_add_co_ci_u32_e32 v2, vcc_lo, 0, v2, vcc_lo
	global_load_b128 v[1:4], v[1:2], off
	s_waitcnt vmcnt(0)
	ds_store_b128 v5, v[1:4]
.LBB1329_10:
	s_or_b32 exec_lo, exec_lo, s7
	v_and_b32_e32 v1, 0xef, v0
	s_add_i32 s4, s17, 31
	s_clause 0x1
	s_load_b32 s7, s[0:1], 0x38
	s_load_b32 s33, s[0:1], 0x98
	s_ashr_i32 s13, s4, 31
	v_add_nc_u32_e32 v1, s12, v1
	s_lshr_b32 s13, s13, 27
	s_load_b32 s18, s[0:1], 0x1c
	s_add_i32 s4, s4, s13
	s_waitcnt lgkmcnt(0)
	v_ashrrev_i32_e32 v2, 31, v1
	v_or_b32_e32 v3, 16, v1
	s_ashr_i32 s4, s4, 5
	v_cmp_gt_i32_e32 vcc_lo, s17, v1
	s_add_i32 s4, s4, -1
	v_lshrrev_b32_e32 v2, 27, v2
	s_barrier
	buffer_gl0_inv
	s_mul_i32 s15, s15, s6
	v_add_nc_u32_e32 v4, v1, v2
	s_mul_i32 s20, s30, s7
	s_delay_alu instid0(SALU_CYCLE_1) | instskip(NEXT) | instid1(VALU_DEP_1)
	s_ashr_i32 s21, s20, 31
	v_ashrrev_i32_e32 v4, 5, v4
	v_add_nc_u32_e32 v2, v3, v2
	s_lshl_b64 s[20:21], s[20:21], 2
	s_delay_alu instid0(SALU_CYCLE_1) | instskip(NEXT) | instid1(VALU_DEP_2)
	s_add_u32 s13, s2, s20
	v_cndmask_b32_e32 v1, s4, v4, vcc_lo
	s_delay_alu instid0(VALU_DEP_2)
	v_ashrrev_i32_e32 v2, 5, v2
	v_cmp_gt_i32_e32 vcc_lo, s17, v3
	s_addc_u32 s16, s3, s21
	s_ashr_i32 s19, s15, 31
	s_add_u32 s2, s8, s15
	s_addc_u32 s3, s9, s19
	v_cndmask_b32_e32 v3, s4, v2, vcc_lo
	v_ashrrev_i32_e32 v2, 31, v1
	s_lshl_b32 s6, s14, 3
	s_delay_alu instid0(SALU_CYCLE_1) | instskip(NEXT) | instid1(VALU_DEP_2)
	s_ashr_i32 s7, s6, 31
	v_ashrrev_i32_e32 v4, 31, v3
	s_delay_alu instid0(VALU_DEP_2) | instskip(SKIP_1) | instid1(SALU_CYCLE_1)
	v_lshlrev_b64 v[1:2], 2, v[1:2]
	s_lshl_b64 s[6:7], s[6:7], 2
	s_add_u32 s6, s13, s6
	s_delay_alu instid0(VALU_DEP_2) | instskip(SKIP_1) | instid1(VALU_DEP_2)
	v_lshlrev_b64 v[3:4], 2, v[3:4]
	s_addc_u32 s7, s16, s7
	v_add_co_u32 v1, vcc_lo, s13, v1
	v_add_co_ci_u32_e32 v2, vcc_lo, s16, v2, vcc_lo
	s_delay_alu instid0(VALU_DEP_3) | instskip(NEXT) | instid1(VALU_DEP_4)
	v_add_co_u32 v3, vcc_lo, s13, v3
	v_add_co_ci_u32_e32 v4, vcc_lo, s16, v4, vcc_lo
	s_clause 0x1
	global_load_b32 v5, v[1:2], off
	global_load_b32 v6, v[3:4], off
	s_or_b32 s8, s12, 32
	s_delay_alu instid0(SALU_CYCLE_1) | instskip(SKIP_2) | instid1(SALU_CYCLE_1)
	s_ashr_i32 s9, s8, 5
	s_cmp_lt_i32 s8, s17
	s_cselect_b32 s8, s9, s4
	s_ashr_i32 s9, s8, 31
	s_delay_alu instid0(SALU_CYCLE_1) | instskip(NEXT) | instid1(SALU_CYCLE_1)
	s_lshl_b64 s[8:9], s[8:9], 2
	s_add_u32 s8, s13, s8
	s_addc_u32 s9, s16, s9
	s_or_b32 s20, s12, 64
	s_delay_alu instid0(SALU_CYCLE_1) | instskip(SKIP_2) | instid1(SALU_CYCLE_1)
	s_ashr_i32 s21, s20, 5
	s_cmp_lt_i32 s20, s17
	s_cselect_b32 s20, s21, s4
	s_ashr_i32 s21, s20, 31
	s_delay_alu instid0(SALU_CYCLE_1) | instskip(NEXT) | instid1(SALU_CYCLE_1)
	s_lshl_b64 s[20:21], s[20:21], 2
	s_add_u32 s20, s13, s20
	s_addc_u32 s21, s16, s21
	;; [unrolled: 10-line block ×5, first 2 shown]
	s_clause 0x5
	s_load_b32 s28, s[6:7], 0x0
	s_load_b32 s8, s[8:9], 0x0
	;; [unrolled: 1-line block ×6, first 2 shown]
	s_mov_b32 s20, 0
	s_delay_alu instid0(SALU_CYCLE_1)
	s_mov_b32 s21, s20
	s_mov_b32 s22, s20
	;; [unrolled: 1-line block ×7, first 2 shown]
	s_delay_alu instid0(SALU_CYCLE_1)
	v_dual_mov_b32 v102, s27 :: v_dual_mov_b32 v101, s26
	v_dual_mov_b32 v100, s25 :: v_dual_mov_b32 v99, s24
	v_mov_b32_e32 v97, s22
	v_dual_mov_b32 v95, s20 :: v_dual_mov_b32 v98, s23
	v_mov_b32_e32 v96, s21
	s_waitcnt vmcnt(1)
	v_mad_i64_i32 v[1:2], null, v5, s5, s[2:3]
	v_lshlrev_b32_e32 v5, 4, v69
	s_waitcnt vmcnt(0)
	v_mad_i64_i32 v[3:4], null, v6, s5, s[2:3]
	s_or_b32 s2, s12, 0xc0
	s_delay_alu instid0(SALU_CYCLE_1) | instskip(NEXT) | instid1(VALU_DEP_3)
	s_ashr_i32 s3, s2, 5
	v_add_co_u32 v33, vcc_lo, v1, v5
	s_delay_alu instid0(VALU_DEP_4) | instskip(NEXT) | instid1(VALU_DEP_3)
	v_add_co_ci_u32_e32 v34, vcc_lo, 0, v2, vcc_lo
	v_add_co_u32 v35, vcc_lo, v3, v5
	s_delay_alu instid0(VALU_DEP_4)
	v_add_co_ci_u32_e32 v36, vcc_lo, 0, v4, vcc_lo
	s_clause 0xf
	global_load_b128 v[1:4], v[33:34], off
	global_load_b128 v[5:8], v[33:34], off offset:512
	global_load_b128 v[9:12], v[35:36], off offset:256
	global_load_b128 v[13:16], v[35:36], off offset:768
	global_load_b128 v[17:20], v[33:34], off offset:1024
	global_load_b128 v[21:24], v[33:34], off offset:1536
	global_load_b128 v[25:28], v[35:36], off offset:1280
	global_load_b128 v[29:32], v[35:36], off offset:1792
	global_load_b128 v[57:60], v[33:34], off offset:2048
	global_load_b128 v[61:64], v[33:34], off offset:2560
	global_load_b128 v[71:74], v[35:36], off offset:2304
	global_load_b128 v[75:78], v[35:36], off offset:2816
	global_load_b128 v[79:82], v[33:34], off offset:3072
	global_load_b128 v[83:86], v[33:34], off offset:3584
	global_load_b128 v[87:90], v[35:36], off offset:3328
	global_load_b128 v[91:94], v[35:36], off offset:3840
	s_cmp_lt_i32 s2, s17
	v_and_b32_e32 v33, 3, v0
	s_cselect_b32 s2, s3, s4
	v_lshlrev_b32_e32 v34, 5, v69
	s_ashr_i32 s3, s2, 31
	s_delay_alu instid0(SALU_CYCLE_1)
	s_lshl_b64 s[2:3], s[2:3], 2
	v_lshlrev_b32_e32 v139, 6, v33
	s_add_u32 s2, s13, s2
	s_addc_u32 s3, s16, s3
	s_or_b32 s6, s12, 0xe0
	v_lshl_or_b32 v41, v68, 9, v34
	s_ashr_i32 s7, s6, 5
	s_cmp_lt_i32 s6, s17
	ds_load_b128 v[33:36], v139
	ds_load_b128 v[37:40], v139 offset:1024
	s_cselect_b32 s6, s7, s4
	ds_load_b128 v[103:106], v139 offset:2048
	ds_load_b128 v[107:110], v139 offset:3072
	s_ashr_i32 s7, s6, 31
	s_load_b32 s4, s[2:3], 0x0
	s_lshl_b64 s[6:7], s[6:7], 2
	ds_load_b128 v[111:114], v139 offset:4096
	ds_load_b128 v[115:118], v139 offset:5120
	s_add_u32 s2, s13, s6
	s_addc_u32 s3, s16, s7
	s_add_u32 s6, s10, s15
	s_load_b32 s2, s[2:3], 0x0
	s_addc_u32 s7, s11, s19
	v_add_co_u32 v127, s6, s6, v41
	s_delay_alu instid0(VALU_DEP_1) | instskip(SKIP_1) | instid1(VALU_DEP_1)
	v_add_co_ci_u32_e64 v128, null, s7, 0, s6
	s_waitcnt lgkmcnt(0)
	v_mad_i64_i32 v[41:42], null, s28, s5, v[127:128]
	v_mad_i64_i32 v[129:130], null, s9, s5, v[127:128]
	;; [unrolled: 1-line block ×7, first 2 shown]
	s_clause 0x3
	global_load_b128 v[49:52], v[41:42], off
	global_load_b128 v[53:56], v[41:42], off offset:16
	global_load_b128 v[41:44], v[45:46], off
	global_load_b128 v[45:48], v[45:46], off offset:16
	s_waitcnt vmcnt(18)
	v_wmma_f32_16x16x16_f16 v[119:126], v[1:8], v[33:40], v[95:102]
	s_waitcnt vmcnt(16)
	v_wmma_f32_16x16x16_f16 v[95:102], v[9:16], v[33:40], v[95:102]
	s_clause 0x3
	global_load_b128 v[33:36], v[129:130], off
	global_load_b128 v[37:40], v[129:130], off offset:16
	global_load_b128 v[1:4], v[131:132], off
	global_load_b128 v[5:8], v[131:132], off offset:16
	s_waitcnt vmcnt(18)
	v_wmma_f32_16x16x16_f16 v[119:126], v[17:24], v[103:110], v[119:126]
	s_clause 0x3
	global_load_b128 v[9:12], v[133:134], off
	global_load_b128 v[13:16], v[133:134], off offset:16
	global_load_b128 v[17:20], v[135:136], off
	global_load_b128 v[21:24], v[135:136], off offset:16
	s_waitcnt vmcnt(20)
	v_wmma_f32_16x16x16_f16 v[95:102], v[25:32], v[103:110], v[95:102]
	v_mad_i64_i32 v[103:104], null, s2, s5, v[127:128]
	s_waitcnt vmcnt(18)
	v_wmma_f32_16x16x16_f16 v[119:126], v[57:64], v[111:118], v[119:126]
	s_clause 0x3
	global_load_b128 v[25:28], v[137:138], off
	global_load_b128 v[29:32], v[137:138], off offset:16
	global_load_b128 v[57:60], v[103:104], off
	global_load_b128 v[61:64], v[103:104], off offset:16
	s_waitcnt vmcnt(20)
	v_wmma_f32_16x16x16_f16 v[95:102], v[71:78], v[111:118], v[95:102]
	ds_load_b128 v[71:74], v139 offset:6144
	ds_load_b128 v[75:78], v139 offset:7168
	v_mbcnt_lo_u32_b32 v104, -1, 0
	s_waitcnt vmcnt(0) lgkmcnt(0)
	s_barrier
	buffer_gl0_inv
	v_xor_b32_e32 v105, 16, v104
	s_delay_alu instid0(VALU_DEP_1) | instskip(SKIP_4) | instid1(VALU_DEP_2)
	v_cmp_gt_i32_e32 vcc_lo, 32, v105
	v_cndmask_b32_e32 v104, v104, v105, vcc_lo
	v_wmma_f32_16x16x16_f16 v[119:126], v[79:86], v[71:78], v[119:126]
	v_and_b32_e32 v103, 0xe0, v0
	v_wmma_f32_16x16x16_f16 v[95:102], v[87:94], v[71:78], v[95:102]
	v_dual_mul_f32 v78, s18, v121 :: v_dual_add_nc_u32 v103, s12, v103
	s_delay_alu instid0(VALU_DEP_2) | instskip(SKIP_1) | instid1(VALU_DEP_3)
	v_dual_mul_f32 v90, s18, v101 :: v_dual_mul_f32 v87, s18, v120
	v_dual_mul_f32 v88, s18, v119 :: v_dual_mul_f32 v77, s18, v122
	v_or_b32_e32 v103, v103, v66
	v_dual_mul_f32 v75, s18, v124 :: v_dual_mul_f32 v94, s18, v97
	v_dual_mul_f32 v76, s18, v123 :: v_dual_mul_f32 v73, s18, v126
	v_mul_f32_e32 v92, s18, v99
	s_delay_alu instid0(VALU_DEP_4)
	v_or_b32_e32 v105, 2, v103
	v_or_b32_e32 v106, 4, v103
	;; [unrolled: 1-line block ×3, first 2 shown]
	v_cmp_gt_i32_e64 s2, s17, v103
	v_or_b32_e32 v108, 8, v103
	v_cmp_gt_i32_e32 vcc_lo, s17, v105
	v_or_b32_e32 v109, 10, v103
	v_cmp_gt_i32_e64 s3, s17, v106
	v_cndmask_b32_e64 v88, 0xff7fffff, v88, s2
	v_cmp_gt_i32_e64 s4, s17, v107
	v_cndmask_b32_e32 v87, 0xff7fffff, v87, vcc_lo
	v_or_b32_e32 v79, 12, v103
	v_or_b32_e32 v80, 14, v103
	v_cndmask_b32_e64 v78, 0xff7fffff, v78, s3
	v_cndmask_b32_e64 v77, 0xff7fffff, v77, s4
	v_max3_f32 v87, v88, 0xff7fffff, v87
	v_cmp_gt_i32_e64 s5, s17, v108
	v_cmp_gt_i32_e64 s6, s17, v109
	v_or_b32_e32 v81, 16, v103
	v_or_b32_e32 v82, 18, v103
	v_mul_f32_e32 v74, s18, v125
	v_cndmask_b32_e64 v76, 0xff7fffff, v76, s5
	v_cndmask_b32_e64 v75, 0xff7fffff, v75, s6
	v_max3_f32 v77, v87, v78, v77
	v_cmp_gt_i32_e64 s7, s17, v79
	v_cmp_gt_i32_e64 s8, s17, v80
	v_or_b32_e32 v83, 20, v103
	v_or_b32_e32 v84, 22, v103
	;; [unrolled: 1-line block ×6, first 2 shown]
	v_mul_f32_e32 v105, s18, v96
	v_mul_f32_e32 v103, s18, v95
	v_cndmask_b32_e64 v74, 0xff7fffff, v74, s7
	v_cndmask_b32_e64 v73, 0xff7fffff, v73, s8
	v_max3_f32 v75, v77, v76, v75
	v_cmp_gt_i32_e64 s9, s17, v81
	v_cmp_gt_i32_e64 s10, s17, v82
	v_mul_f32_e32 v93, s18, v98
	v_cmp_gt_i32_e64 s11, s17, v83
	v_max3_f32 v73, v75, v74, v73
	v_cndmask_b32_e64 v76, 0xff7fffff, v103, s9
	v_cndmask_b32_e64 v77, 0xff7fffff, v105, s10
	v_cmp_gt_i32_e64 s12, s17, v84
	v_mul_f32_e32 v91, s18, v100
	v_cndmask_b32_e64 v74, 0xff7fffff, v94, s11
	v_cmp_gt_i32_e64 s13, s17, v85
	v_max3_f32 v73, v73, v76, v77
	v_cndmask_b32_e64 v75, 0xff7fffff, v93, s12
	v_cmp_gt_i32_e64 s15, s17, v86
	v_mul_f32_e32 v89, s18, v102
	v_cndmask_b32_e64 v76, 0xff7fffff, v92, s13
	v_cmp_gt_i32_e64 s16, s17, v71
	v_max3_f32 v73, v73, v74, v75
	v_cndmask_b32_e64 v77, 0xff7fffff, v91, s15
	v_cmp_gt_i32_e64 s17, s17, v72
	v_lshlrev_b32_e32 v74, 2, v104
	v_cndmask_b32_e64 v71, 0xff7fffff, v90, s16
	s_delay_alu instid0(VALU_DEP_4) | instskip(NEXT) | instid1(VALU_DEP_4)
	v_max3_f32 v73, v73, v76, v77
	v_cndmask_b32_e64 v72, 0xff7fffff, v89, s17
	s_delay_alu instid0(VALU_DEP_1) | instskip(SKIP_3) | instid1(VALU_DEP_1)
	v_max3_f32 v71, v73, v71, v72
	ds_bpermute_b32 v72, v74, v71
	s_waitcnt lgkmcnt(0)
	v_max_f32_e32 v72, v72, v72
	v_max_f32_e32 v71, v71, v72
	s_delay_alu instid0(VALU_DEP_1)
	v_fma_f32 v72, s18, v119, -v71
	v_fma_f32 v76, s18, v122, -v71
	;; [unrolled: 1-line block ×5, first 2 shown]
	v_mul_f32_e32 v72, 0x3fb8aa3b, v72
	v_mul_f32_e32 v76, 0x3fb8aa3b, v76
	v_fma_f32 v75, s18, v121, -v71
	v_mul_f32_e32 v79, 0x3fb8aa3b, v77
	v_mul_f32_e32 v85, 0x3fb8aa3b, v84
	v_exp_f32_e32 v72, v72
	v_exp_f32_e32 v76, v76
	v_fma_f32 v86, s18, v98, -v71
	v_exp_f32_e32 v82, v79
	v_exp_f32_e32 v85, v85
	v_fma_f32 v81, s18, v125, -v71
	s_delay_alu instid0(VALU_DEP_2) | instskip(SKIP_3) | instid1(TRANS32_DEP_3)
	v_mul_f32_e32 v87, 0x3fb8aa3b, v86
	v_cndmask_b32_e64 v78, 0, v72, s2
	v_fma_f32 v72, s18, v124, -v71
	v_mul_f32_e32 v73, 0x3fb8aa3b, v73
	v_cndmask_b32_e64 v79, 0, v76, s4
	v_fma_f32 v76, s18, v95, -v71
	s_delay_alu instid0(VALU_DEP_4) | instskip(NEXT) | instid1(VALU_DEP_4)
	v_dual_mul_f32 v75, 0x3fb8aa3b, v75 :: v_dual_mul_f32 v72, 0x3fb8aa3b, v72
	v_exp_f32_e32 v73, v73
	v_exp_f32_e32 v87, v87
	s_delay_alu instid0(VALU_DEP_2) | instskip(NEXT) | instid1(VALU_DEP_2)
	v_mul_f32_e32 v76, 0x3fb8aa3b, v76
	v_exp_f32_e32 v75, v75
	v_cndmask_b32_e64 v85, 0, v85, s10
	v_mul_f32_e32 v81, 0x3fb8aa3b, v81
	v_exp_f32_e32 v72, v72
	v_cndmask_b32_e64 v82, 0, v82, s5
	v_exp_f32_e32 v76, v76
	s_mov_b32 s2, exec_lo
	v_cndmask_b32_e32 v77, 0, v73, vcc_lo
	v_add_f32_e32 v73, 0, v78
	v_cndmask_b32_e64 v87, 0, v87, s12
	v_cndmask_b32_e64 v80, 0, v75, s3
	v_fma_f32 v75, s18, v126, -v71
	v_exp_f32_e32 v83, v81
	v_add_f32_e32 v73, v73, v77
	v_cndmask_b32_e64 v81, 0, v72, s6
	v_cndmask_b32_e64 v86, 0, v76, s9
	v_mul_f32_e32 v75, 0x3fb8aa3b, v75
	s_delay_alu instid0(VALU_DEP_4) | instskip(NEXT) | instid1(VALU_DEP_2)
	v_add_f32_e32 v73, v73, v80
	v_exp_f32_e32 v75, v75
	s_delay_alu instid0(TRANS32_DEP_2) | instskip(NEXT) | instid1(VALU_DEP_2)
	v_cndmask_b32_e64 v84, 0, v83, s7
	v_add_f32_e32 v73, v73, v79
	s_delay_alu instid0(VALU_DEP_1) | instskip(SKIP_3) | instid1(VALU_DEP_1)
	v_add_f32_e32 v72, v73, v82
	s_waitcnt_depctr 0xfff
	v_cndmask_b32_e64 v83, 0, v75, s8
	v_add_f32_e32 v72, v72, v81
	v_add_f32_e32 v72, v72, v84
	s_delay_alu instid0(VALU_DEP_1) | instskip(NEXT) | instid1(VALU_DEP_1)
	v_add_f32_e32 v72, v72, v83
	v_add_f32_e32 v72, v72, v86
	v_fma_f32 v73, s18, v97, -v71
	v_fma_f32 v75, s18, v99, -v71
	;; [unrolled: 1-line block ×4, first 2 shown]
	v_add_f32_e32 v72, v72, v85
	v_mul_f32_e32 v73, 0x3fb8aa3b, v73
	s_delay_alu instid0(VALU_DEP_4) | instskip(NEXT) | instid1(VALU_DEP_2)
	v_dual_mul_f32 v75, 0x3fb8aa3b, v75 :: v_dual_mul_f32 v76, 0x3fb8aa3b, v76
	v_exp_f32_e32 v73, v73
	s_delay_alu instid0(VALU_DEP_1) | instskip(NEXT) | instid1(VALU_DEP_1)
	v_exp_f32_e32 v75, v75
	v_exp_f32_e32 v76, v76
	s_delay_alu instid0(TRANS32_DEP_3)
	v_cndmask_b32_e64 v88, 0, v73, s11
	v_mul_f32_e32 v73, 0x3fb8aa3b, v89
	v_fma_f32 v89, s18, v102, -v71
	s_waitcnt_depctr 0xfff
	v_cndmask_b32_e64 v90, 0, v75, s13
	v_add_f32_e32 v72, v72, v88
	v_exp_f32_e32 v73, v73
	v_mul_f32_e32 v75, 0x3fb8aa3b, v89
	v_cndmask_b32_e64 v89, 0, v76, s15
	s_delay_alu instid0(VALU_DEP_3) | instskip(NEXT) | instid1(VALU_DEP_3)
	v_add_f32_e32 v72, v72, v87
	v_exp_f32_e32 v75, v75
	s_delay_alu instid0(VALU_DEP_1) | instskip(SKIP_4) | instid1(VALU_DEP_2)
	v_add_f32_e32 v72, v72, v90
	s_waitcnt_depctr 0xfff
	v_cndmask_b32_e64 v92, 0, v73, s16
	v_add_f32_e32 v72, v72, v89
	v_cndmask_b32_e64 v91, 0, v75, s17
	v_add_f32_e32 v72, v72, v92
	s_delay_alu instid0(VALU_DEP_1)
	v_add_f32_e32 v72, v72, v91
	ds_bpermute_b32 v73, v74, v72
	v_cmpx_gt_u32_e32 16, v70
	s_cbranch_execz .LBB1329_12
; %bb.11:
	v_mul_u32_u24_e32 v70, 0x44, v68
	s_waitcnt lgkmcnt(0)
	v_add_f32_e32 v72, v72, v73
	s_delay_alu instid0(VALU_DEP_2) | instskip(NEXT) | instid1(VALU_DEP_1)
	v_lshl_add_u32 v70, v69, 2, v70
	v_add_nc_u32_e32 v70, 0x4000, v70
	ds_store_2addr_b32 v70, v71, v72 offset1:136
.LBB1329_12:
	s_or_b32 exec_lo, exec_lo, s2
	v_lshlrev_b32_e32 v70, 2, v69
	s_load_b32 s34, s[0:1], 0x94
	s_waitcnt lgkmcnt(0)
	s_barrier
	buffer_gl0_inv
	v_add_nc_u32_e32 v74, 0x4000, v70
	v_cmp_eq_u32_e32 vcc_lo, 1, v68
	v_cmp_eq_u32_e64 s2, 2, v68
	v_cmp_eq_u32_e64 s3, 3, v68
	;; [unrolled: 1-line block ×3, first 2 shown]
	ds_load_2addr_b32 v[70:71], v74 offset1:17
	ds_load_2addr_b32 v[72:73], v74 offset0:34 offset1:51
	ds_load_2addr_b32 v[93:94], v74 offset0:68 offset1:85
	;; [unrolled: 1-line block ×3, first 2 shown]
	v_cmp_eq_u32_e64 s5, 5, v68
	v_cmp_eq_u32_e64 s6, 7, v68
	s_waitcnt lgkmcnt(3)
	v_max3_f32 v75, v70, 0xff7fffff, v71
	s_waitcnt lgkmcnt(2)
	s_delay_alu instid0(VALU_DEP_1) | instskip(SKIP_1) | instid1(VALU_DEP_1)
	v_max3_f32 v75, v75, v72, v73
	s_waitcnt lgkmcnt(1)
	v_max3_f32 v75, v75, v93, v94
	s_waitcnt lgkmcnt(0)
	s_delay_alu instid0(VALU_DEP_1) | instskip(NEXT) | instid1(VALU_DEP_1)
	v_max3_f32 v75, v75, v95, v96
	v_sub_f32_e32 v93, v93, v75
	ds_load_2addr_b32 v[97:98], v74 offset0:136 offset1:153
	v_sub_f32_e32 v70, v70, v75
	v_dual_sub_f32 v100, v73, v75 :: v_dual_mul_f32 v103, 0x3fb8aa3b, v93
	s_delay_alu instid0(VALU_DEP_2) | instskip(SKIP_3) | instid1(VALU_DEP_1)
	v_dual_sub_f32 v76, v71, v75 :: v_dual_mul_f32 v99, 0x3fb8aa3b, v70
	ds_load_2addr_b32 v[70:71], v74 offset0:170 offset1:187
	v_mul_f32_e32 v76, 0x3fb8aa3b, v76
	v_exp_f32_e32 v99, v99
	v_exp_f32_e32 v102, v76
	v_mul_f32_e32 v100, 0x3fb8aa3b, v100
	s_waitcnt lgkmcnt(1)
	s_waitcnt_depctr 0xfff
	v_fma_f32 v76, v99, v97, 0
	v_sub_f32_e32 v97, v94, v75
	v_sub_f32_e32 v72, v72, v75
	v_exp_f32_e32 v100, v100
	ds_load_2addr_b32 v[93:94], v74 offset0:238 offset1:255
	v_dual_fmac_f32 v76, v102, v98 :: v_dual_mul_f32 v101, 0x3fb8aa3b, v72
	ds_load_2addr_b32 v[72:73], v74 offset0:204 offset1:221
	v_dual_sub_f32 v74, v95, v75 :: v_dual_mul_f32 v95, 0x3fb8aa3b, v97
	v_exp_f32_e32 v97, v103
	v_exp_f32_e32 v101, v101
	s_waitcnt lgkmcnt(0)
	s_barrier
	v_exp_f32_e32 v95, v95
	buffer_gl0_inv
	v_fmac_f32_e32 v76, v101, v70
	v_sub_f32_e32 v70, v96, v75
	s_delay_alu instid0(VALU_DEP_2) | instskip(NEXT) | instid1(VALU_DEP_2)
	v_fmac_f32_e32 v76, v100, v71
	v_mul_f32_e32 v70, 0x3fb8aa3b, v70
	s_delay_alu instid0(VALU_DEP_2)
	v_dual_cndmask_b32 v71, v99, v102 :: v_dual_fmac_f32 v76, v97, v72
	v_lshlrev_b32_e32 v72, 6, v69
	v_lshlrev_b32_e32 v69, 2, v66
	v_mul_f32_e32 v74, 0x3fb8aa3b, v74
	v_exp_f32_e32 v98, v70
	v_fmac_f32_e32 v76, v95, v73
	s_delay_alu instid0(VALU_DEP_3) | instskip(NEXT) | instid1(VALU_DEP_3)
	v_cmp_eq_u32_e64 s7, 7, v69
	v_exp_f32_e32 v96, v74
	v_lshl_or_b32 v74, v68, 11, v72
	s_waitcnt_depctr 0xfff
	v_fmac_f32_e32 v76, v96, v93
	s_delay_alu instid0(VALU_DEP_1) | instskip(NEXT) | instid1(VALU_DEP_1)
	v_fmac_f32_e32 v76, v98, v94
	v_add_f32_e32 v73, 0x358637bd, v76
	s_delay_alu instid0(VALU_DEP_1) | instskip(SKIP_1) | instid1(VALU_DEP_2)
	v_div_scale_f32 v93, null, v73, v73, 1.0
	v_div_scale_f32 v99, vcc_lo, 1.0, v73, 1.0
	v_rcp_f32_e32 v94, v93
	s_waitcnt_depctr 0xfff
	v_fma_f32 v70, -v93, v94, 1.0
	s_delay_alu instid0(VALU_DEP_1)
	v_fmac_f32_e32 v94, v70, v94
	v_cndmask_b32_e64 v70, v71, v101, s2
	v_cmp_eq_u32_e64 s2, 6, v68
	v_or_b32_e32 v71, 1, v69
	v_or_b32_e32 v68, 2, v69
	v_mul_f32_e32 v101, v99, v94
	v_cndmask_b32_e64 v70, v70, v100, s3
	v_cmp_eq_u32_e64 s3, 1, v69
	v_cmp_eq_u32_e64 s8, 1, v71
	;; [unrolled: 1-line block ×3, first 2 shown]
	v_fma_f32 v100, -v93, v101, v99
	v_cndmask_b32_e64 v70, v70, v97, s4
	v_cmp_eq_u32_e64 s4, 2, v69
	v_cmp_eq_u32_e64 s11, 2, v71
	;; [unrolled: 1-line block ×3, first 2 shown]
	v_fmac_f32_e32 v101, v100, v94
	v_cndmask_b32_e64 v95, v70, v95, s5
	v_or_b32_e32 v70, 3, v69
	v_cmp_eq_u32_e64 s12, 3, v71
	v_cmp_eq_u32_e64 s16, 3, v68
	v_fma_f32 v93, -v93, v101, v99
	v_cndmask_b32_e64 v95, v95, v96, s2
	v_cmp_eq_u32_e64 s10, 1, v70
	v_cmp_eq_u32_e64 s15, 2, v70
	;; [unrolled: 1-line block ×3, first 2 shown]
	v_div_fmas_f32 v93, v93, v94, v101
	v_cndmask_b32_e64 v94, v95, v98, s6
	v_cmp_eq_u32_e32 vcc_lo, 3, v69
	v_cmp_eq_u32_e64 s2, 4, v69
	v_cmp_eq_u32_e64 s18, 4, v71
	v_div_fixup_f32 v93, v93, v73, 1.0
	v_lshl_or_b32 v73, v66, 4, v74
	v_cmp_eq_u32_e64 s21, 4, v70
	v_cmp_eq_u32_e64 s5, 5, v69
	;; [unrolled: 1-line block ×3, first 2 shown]
	v_mul_f32_e32 v101, v94, v93
	v_cmp_eq_u32_e64 s20, 4, v68
	v_cmp_eq_u32_e64 s23, 5, v70
	;; [unrolled: 1-line block ×4, first 2 shown]
	v_fma_mixlo_f16 v93, v101, v78, 0
	v_fma_mixlo_f16 v94, v101, v80, 0
	v_fma_mixlo_f16 v95, v101, v82, 0
	v_fma_mixlo_f16 v96, v101, v84, 0
	v_fma_mixlo_f16 v97, v101, v86, 0
	v_fma_mixlo_f16 v98, v101, v88, 0
	v_fma_mixlo_f16 v99, v101, v90, 0
	v_fma_mixlo_f16 v100, v101, v92, 0
	v_fma_mixhi_f16 v93, v101, v77, 0
	v_fma_mixhi_f16 v94, v101, v79, 0
	;; [unrolled: 1-line block ×8, first 2 shown]
	ds_store_b128 v73, v[93:96]
	ds_store_b128 v73, v[97:100] offset:1024
	s_waitcnt lgkmcnt(0)
	s_barrier
	buffer_gl0_inv
	ds_load_b128 v[77:80], v74
	ds_load_b128 v[81:84], v74 offset:16
	ds_load_b128 v[85:88], v74 offset:1024
	;; [unrolled: 1-line block ×3, first 2 shown]
	v_cmp_eq_u32_e64 s26, 6, v70
	v_cmp_eq_u32_e64 s6, 6, v69
	;; [unrolled: 1-line block ×6, first 2 shown]
	s_waitcnt lgkmcnt(3)
	v_lshrrev_b32_e32 v93, 16, v77
	s_waitcnt lgkmcnt(2)
	v_lshrrev_b32_e32 v97, 16, v81
	;; [unrolled: 2-line block ×4, first 2 shown]
	v_lshrrev_b32_e32 v94, 16, v78
	v_cndmask_b32_e64 v109, v77, v93, s3
	v_cndmask_b32_e64 v110, v81, v97, s3
	;; [unrolled: 1-line block ×8, first 2 shown]
	v_lshrrev_b32_e32 v98, 16, v82
	v_cndmask_b32_e64 v93, v85, v101, s3
	v_cndmask_b32_e64 v97, v89, v105, s3
	;; [unrolled: 1-line block ×15, first 2 shown]
	v_lshrrev_b32_e32 v102, 16, v86
	v_lshrrev_b32_e32 v106, 16, v90
	v_cndmask_b32_e64 v112, v114, v82, s13
	v_cndmask_b32_e64 v81, v93, v86, s4
	;; [unrolled: 1-line block ×7, first 2 shown]
	v_cndmask_b32_e32 v89, v101, v94, vcc_lo
	v_cndmask_b32_e32 v101, v105, v98, vcc_lo
	v_cndmask_b32_e64 v105, v109, v94, s12
	v_cndmask_b32_e64 v109, v110, v98, s12
	;; [unrolled: 1-line block ×4, first 2 shown]
	v_lshrrev_b32_e32 v95, 16, v79
	v_lshrrev_b32_e32 v99, 16, v83
	v_cndmask_b32_e64 v110, v111, v94, s16
	v_cndmask_b32_e64 v111, v112, v98, s16
	v_cndmask_b32_e32 v81, v81, v102, vcc_lo
	v_cndmask_b32_e32 v82, v82, v106, vcc_lo
	v_cndmask_b32_e64 v93, v93, v102, s12
	v_cndmask_b32_e64 v89, v89, v79, s2
	;; [unrolled: 1-line block ×7, first 2 shown]
	v_lshrrev_b32_e32 v103, 16, v87
	v_cndmask_b32_e64 v105, v110, v79, s20
	v_cndmask_b32_e64 v109, v111, v83, s20
	;; [unrolled: 1-line block ×11, first 2 shown]
	v_lshrrev_b32_e32 v96, 16, v80
	v_lshrrev_b32_e32 v100, 16, v84
	v_cndmask_b32_e64 v98, v105, v95, s22
	v_cndmask_b32_e64 v101, v109, v99, s22
	;; [unrolled: 1-line block ×7, first 2 shown]
	v_lshrrev_b32_e32 v104, 16, v88
	v_cndmask_b32_e64 v79, v79, v103, s5
	v_cndmask_b32_e64 v83, v83, v80, s6
	;; [unrolled: 1-line block ×16, first 2 shown]
	v_perm_b32 v80, v78, v77, 0x5040100
	v_perm_b32 v78, v94, v84, 0x5040100
	v_cndmask_b32_e64 v77, v118, v90, s13
	v_cndmask_b32_e64 v84, v116, v90, s11
	v_cndmask_b32_e64 v95, v79, v104, s7
	v_perm_b32 v79, v93, v89, 0x5040100
	v_cndmask_b32_e64 v89, v97, v102, s16
	v_cndmask_b32_e64 v85, v85, v102, s17
	v_cndmask_b32_e64 v86, v86, v106, s17
	v_cndmask_b32_e64 v77, v77, v106, s16
	v_cndmask_b32_e64 v84, v84, v106, s12
	v_lshrrev_b32_e32 v107, 16, v91
	v_cndmask_b32_e64 v89, v89, v87, s20
	v_cndmask_b32_e64 v85, v85, v87, s21
	;; [unrolled: 1-line block ×11, first 2 shown]
	v_lshrrev_b32_e32 v108, 16, v92
	v_cndmask_b32_e64 v81, v81, v92, s6
	v_cndmask_b32_e64 v87, v87, v88, s25
	;; [unrolled: 1-line block ×12, first 2 shown]
	v_perm_b32 v77, v83, v82, 0x5040100
	v_perm_b32 v84, v86, v85, 0x5040100
	;; [unrolled: 1-line block ×5, first 2 shown]
	s_lshl_b32 s7, s33, 2
	s_mov_b32 s2, exec_lo
	ds_store_b128 v73, v[77:80]
	ds_store_b128 v73, v[81:84] offset:1024
	v_cmpx_gt_u32_e32 4, v0
	s_cbranch_execz .LBB1329_14
; %bb.13:
	v_or_b32_e32 v77, s31, v0
	s_load_b128 s[8:11], s[0:1], 0x58
	s_delay_alu instid0(VALU_DEP_1) | instskip(NEXT) | instid1(VALU_DEP_1)
	v_mad_u64_u32 v[78:79], null, s7, s30, v[77:78]
	v_mad_u64_u32 v[79:80], null, v78, s34, s[14:15]
	s_delay_alu instid0(VALU_DEP_1) | instskip(NEXT) | instid1(VALU_DEP_1)
	v_ashrrev_i32_e32 v80, 31, v79
	v_lshlrev_b64 v[77:78], 2, v[79:80]
	s_waitcnt lgkmcnt(0)
	s_delay_alu instid0(VALU_DEP_1) | instskip(NEXT) | instid1(VALU_DEP_2)
	v_add_co_u32 v79, vcc_lo, s10, v77
	v_add_co_ci_u32_e32 v80, vcc_lo, s11, v78, vcc_lo
	v_add_co_u32 v77, vcc_lo, s8, v77
	v_add_co_ci_u32_e32 v78, vcc_lo, s9, v78, vcc_lo
	global_store_b32 v[79:80], v75, off
	global_store_b32 v[77:78], v76, off
.LBB1329_14:
	s_or_b32 exec_lo, exec_lo, s2
	s_waitcnt lgkmcnt(0)
	s_waitcnt_vscnt null, 0x0
	s_barrier
	buffer_gl0_inv
	ds_load_b128 v[83:86], v72
	ds_load_b128 v[87:90], v72 offset:16
	ds_load_b128 v[95:98], v72 offset:2064
	;; [unrolled: 1-line block ×5, first 2 shown]
	v_cmp_eq_u32_e32 vcc_lo, 1, v69
	v_mov_b32_e32 v75, 0
	ds_load_b128 v[111:114], v72 offset:6160
	ds_load_b128 v[107:110], v72 offset:6144
	ds_load_b128 v[119:122], v72 offset:8208
	ds_load_b128 v[115:118], v72 offset:8192
	v_cmp_eq_u32_e64 s3, 1, v68
	v_cmp_eq_u32_e64 s2, 1, v71
	;; [unrolled: 1-line block ×3, first 2 shown]
	v_mov_b32_e32 v76, v75
	v_mov_b32_e32 v77, v75
	;; [unrolled: 1-line block ×7, first 2 shown]
	v_cmp_eq_u32_e64 s5, 3, v71
	v_cmp_eq_u32_e64 s6, 7, v71
	s_waitcnt lgkmcnt(8)
	s_delay_alu instid0(VALU_DEP_3)
	v_wmma_f32_16x16x16_f16 v[75:82], v[49:56], v[83:90], v[75:82]
	ds_load_b128 v[53:56], v72 offset:10256
	ds_load_b128 v[49:52], v72 offset:10240
	s_waitcnt lgkmcnt(8)
	v_wmma_f32_16x16x16_f16 v[75:82], v[41:48], v[91:98], v[75:82]
	ds_load_b128 v[45:48], v72 offset:12304
	ds_load_b128 v[41:44], v72 offset:12288
	s_waitcnt lgkmcnt(8)
	;; [unrolled: 4-line block ×3, first 2 shown]
	s_barrier
	buffer_gl0_inv
	v_wmma_f32_16x16x16_f16 v[75:82], v[1:8], v[107:114], v[75:82]
	s_delay_alu instid0(VALU_DEP_1) | instskip(NEXT) | instid1(VALU_DEP_1)
	v_wmma_f32_16x16x16_f16 v[75:82], v[9:16], v[115:122], v[75:82]
	v_wmma_f32_16x16x16_f16 v[75:82], v[17:24], v[49:56], v[75:82]
	s_delay_alu instid0(VALU_DEP_1) | instskip(NEXT) | instid1(VALU_DEP_1)
	v_wmma_f32_16x16x16_f16 v[75:82], v[25:32], v[41:48], v[75:82]
	v_wmma_f32_16x16x16_f16 v[75:82], v[57:64], v[33:40], v[75:82]
	s_delay_alu instid0(VALU_DEP_1) | instskip(NEXT) | instid1(VALU_DEP_2)
	v_cvt_f16_f32_e32 v1, v75
	v_cvt_f16_f32_e32 v2, v76
	s_delay_alu instid0(VALU_DEP_3) | instskip(NEXT) | instid1(VALU_DEP_4)
	v_cvt_f16_f32_e32 v3, v77
	v_cvt_f16_f32_e32 v4, v78
	;; [unrolled: 1-line block ×6, first 2 shown]
	v_pack_b32_f16 v1, v1, v2
	v_pack_b32_f16 v2, v3, v4
	;; [unrolled: 1-line block ×3, first 2 shown]
	s_delay_alu instid0(VALU_DEP_4)
	v_pack_b32_f16 v4, v7, v8
	ds_store_b128 v73, v[1:4]
	s_waitcnt lgkmcnt(0)
	s_barrier
	buffer_gl0_inv
	ds_load_b128 v[1:4], v74
	ds_load_b128 v[5:8], v74 offset:16
	s_waitcnt lgkmcnt(1)
	v_lshrrev_b32_e32 v9, 16, v1
	s_waitcnt lgkmcnt(0)
	v_lshrrev_b32_e32 v13, 16, v5
	v_lshrrev_b32_e32 v10, 16, v2
	;; [unrolled: 1-line block ×4, first 2 shown]
	v_cndmask_b32_e32 v17, v1, v9, vcc_lo
	v_cndmask_b32_e32 v18, v5, v13, vcc_lo
	v_cndmask_b32_e64 v21, v1, v9, s3
	v_cmp_eq_u32_e32 vcc_lo, 1, v70
	v_cndmask_b32_e64 v22, v5, v13, s3
	v_cmp_eq_u32_e64 s3, 2, v69
	v_cndmask_b32_e64 v19, v1, v9, s2
	v_cndmask_b32_e64 v20, v5, v13, s2
	v_cndmask_b32_e32 v1, v1, v9, vcc_lo
	v_cmp_eq_u32_e64 s2, 2, v70
	v_cndmask_b32_e32 v5, v5, v13, vcc_lo
	v_cndmask_b32_e64 v9, v17, v2, s3
	v_cmp_eq_u32_e32 vcc_lo, 3, v69
	v_cndmask_b32_e64 v13, v18, v6, s3
	v_cmp_eq_u32_e64 s3, 2, v68
	v_cndmask_b32_e64 v17, v19, v2, s4
	v_cndmask_b32_e64 v18, v20, v6, s4
	v_cmp_eq_u32_e64 s4, 3, v68
	v_cndmask_b32_e64 v1, v1, v2, s2
	v_cndmask_b32_e64 v19, v21, v2, s3
	;; [unrolled: 1-line block ×4, first 2 shown]
	v_cndmask_b32_e32 v5, v9, v10, vcc_lo
	v_cndmask_b32_e32 v6, v13, v14, vcc_lo
	v_cmp_eq_u32_e32 vcc_lo, 3, v70
	v_cndmask_b32_e64 v9, v17, v10, s5
	v_cndmask_b32_e64 v13, v18, v14, s5
	;; [unrolled: 1-line block ×3, first 2 shown]
	v_cmp_eq_u32_e64 s3, 4, v69
	v_cndmask_b32_e32 v1, v1, v10, vcc_lo
	v_cndmask_b32_e32 v2, v2, v14, vcc_lo
	v_cmp_eq_u32_e32 vcc_lo, 4, v71
	v_lshrrev_b32_e32 v15, 16, v7
	v_lshrrev_b32_e32 v16, 16, v8
	v_cndmask_b32_e64 v17, v19, v10, s4
	v_cmp_eq_u32_e64 s2, 4, v70
	v_cndmask_b32_e64 v5, v5, v3, s3
	v_cndmask_b32_e64 v6, v6, v7, s3
	v_cndmask_b32_e32 v9, v9, v3, vcc_lo
	v_cmp_eq_u32_e64 s3, 5, v71
	v_cndmask_b32_e32 v10, v13, v7, vcc_lo
	v_cmp_eq_u32_e32 vcc_lo, 4, v68
	v_cmp_eq_u32_e64 s4, 5, v69
	v_cndmask_b32_e64 v2, v2, v7, s2
	v_cndmask_b32_e64 v9, v9, v11, s3
	;; [unrolled: 1-line block ×3, first 2 shown]
	v_cndmask_b32_e32 v13, v17, v3, vcc_lo
	v_cmp_eq_u32_e64 s3, 5, v68
	v_cndmask_b32_e32 v14, v18, v7, vcc_lo
	v_cndmask_b32_e64 v1, v1, v3, s2
	v_cmp_eq_u32_e32 vcc_lo, 5, v70
	v_lshrrev_b32_e32 v12, 16, v4
	v_cndmask_b32_e64 v13, v13, v11, s3
	v_cndmask_b32_e64 v3, v14, v15, s3
	v_cmp_eq_u32_e64 s3, 6, v70
	v_cndmask_b32_e32 v1, v1, v11, vcc_lo
	v_cndmask_b32_e64 v5, v5, v11, s4
	v_cmp_eq_u32_e64 s5, 6, v69
	v_cndmask_b32_e64 v6, v6, v15, s4
	v_cmp_eq_u32_e64 s4, 6, v71
	v_cmp_eq_u32_e64 s2, 6, v68
	v_cndmask_b32_e64 v1, v1, v4, s3
	v_cndmask_b32_e32 v2, v2, v15, vcc_lo
	v_cmp_eq_u32_e32 vcc_lo, 7, v70
	v_cndmask_b32_e64 v5, v5, v4, s5
	v_cndmask_b32_e64 v9, v9, v4, s4
	;; [unrolled: 1-line block ×3, first 2 shown]
	v_cmp_eq_u32_e64 s5, 7, v69
	v_cndmask_b32_e32 v1, v1, v12, vcc_lo
	v_cndmask_b32_e64 v7, v13, v4, s2
	v_cndmask_b32_e64 v3, v3, v8, s2
	;; [unrolled: 1-line block ×3, first 2 shown]
	v_cmp_eq_u32_e64 s2, 7, v68
	v_cndmask_b32_e64 v4, v10, v8, s4
	v_cndmask_b32_e64 v5, v5, v12, s5
	;; [unrolled: 1-line block ×3, first 2 shown]
	v_cndmask_b32_e32 v2, v2, v16, vcc_lo
	v_cndmask_b32_e64 v7, v7, v12, s2
	v_cndmask_b32_e64 v3, v3, v16, s2
	;; [unrolled: 1-line block ×4, first 2 shown]
	v_perm_b32 v4, v2, v1, 0x5040100
	s_mov_b32 s2, exec_lo
	v_perm_b32 v3, v3, v7, 0x5040100
	v_perm_b32 v2, v8, v9, 0x5040100
	;; [unrolled: 1-line block ×3, first 2 shown]
	ds_store_b128 v73, v[1:4]
	s_waitcnt lgkmcnt(0)
	s_barrier
	buffer_gl0_inv
	v_cmpx_gt_u32_e32 32, v0
	s_cbranch_execz .LBB1329_2
; %bb.15:
	s_load_b64 s[0:1], s[0:1], 0x68
	v_lshlrev_b32_e32 v0, 10, v0
	v_or_b32_e32 v1, s31, v66
	s_lshl_b32 s4, s34, 7
	v_lshlrev_b32_e32 v2, 4, v67
	s_mul_i32 s2, s4, s30
	v_lshlrev_b32_e32 v3, 6, v66
	v_mul_lo_u32 v8, v1, s4
	v_and_b32_e32 v0, 0x3800, v0
	v_or_b32_e32 v1, 2, v1
	s_mul_i32 s2, s2, s7
	s_delay_alu instid0(SALU_CYCLE_1) | instskip(NEXT) | instid1(VALU_DEP_2)
	s_ashr_i32 s3, s2, 31
	v_or3_b32 v4, v0, v2, v3
	s_lshl_b64 s[2:3], s[2:3], 1
	v_mul_lo_u32 v10, v1, s4
	v_ashrrev_i32_e32 v9, 31, v8
	ds_load_b128 v[0:3], v4
	ds_load_b128 v[4:7], v4 offset:128
	s_waitcnt lgkmcnt(0)
	s_add_u32 s2, s0, s2
	s_addc_u32 s3, s1, s3
	s_lshl_b32 s0, s14, 7
	v_ashrrev_i32_e32 v11, 31, v10
	s_ashr_i32 s1, s0, 31
	v_lshlrev_b64 v[8:9], 1, v[8:9]
	s_lshl_b64 s[0:1], s[0:1], 1
	s_delay_alu instid0(SALU_CYCLE_1) | instskip(SKIP_2) | instid1(VALU_DEP_1)
	s_add_u32 s0, s2, s0
	s_addc_u32 s1, s3, s1
	v_add_co_u32 v12, s0, s0, v65
	v_add_co_ci_u32_e64 v13, null, s1, 0, s0
	v_lshlrev_b64 v[10:11], 1, v[10:11]
	s_delay_alu instid0(VALU_DEP_3) | instskip(NEXT) | instid1(VALU_DEP_3)
	v_add_co_u32 v8, vcc_lo, v12, v8
	v_add_co_ci_u32_e32 v9, vcc_lo, v13, v9, vcc_lo
	s_delay_alu instid0(VALU_DEP_3) | instskip(NEXT) | instid1(VALU_DEP_4)
	v_add_co_u32 v10, vcc_lo, v12, v10
	v_add_co_ci_u32_e32 v11, vcc_lo, v13, v11, vcc_lo
	s_clause 0x1
	global_store_b128 v[8:9], v[0:3], off
	global_store_b128 v[10:11], v[4:7], off
	s_nop 0
	s_sendmsg sendmsg(MSG_DEALLOC_VGPRS)
	s_endpgm
	.section	.rodata,"a",@progbits
	.p2align	6, 0x0
	.amdhsa_kernel _Z39paged_attention_ll4mi_QKV_mfma16_kernelIDF16_hLN4vllm18Fp8KVCacheDataTypeE1EDF16_Li32ELi128ELi256ELb1ELi4EL8MFMAType0EEvPKT_PKT0_S8_ifPKiSA_SA_iPKfiiiPfSD_PS3_PT2_iSC_SC_
		.amdhsa_group_segment_fixed_size 17472
		.amdhsa_private_segment_fixed_size 0
		.amdhsa_kernarg_size 400
		.amdhsa_user_sgpr_count 13
		.amdhsa_user_sgpr_dispatch_ptr 0
		.amdhsa_user_sgpr_queue_ptr 0
		.amdhsa_user_sgpr_kernarg_segment_ptr 1
		.amdhsa_user_sgpr_dispatch_id 0
		.amdhsa_user_sgpr_private_segment_size 0
		.amdhsa_wavefront_size32 1
		.amdhsa_uses_dynamic_stack 0
		.amdhsa_enable_private_segment 0
		.amdhsa_system_sgpr_workgroup_id_x 1
		.amdhsa_system_sgpr_workgroup_id_y 1
		.amdhsa_system_sgpr_workgroup_id_z 1
		.amdhsa_system_sgpr_workgroup_info 0
		.amdhsa_system_vgpr_workitem_id 0
		.amdhsa_next_free_vgpr 140
		.amdhsa_next_free_sgpr 36
		.amdhsa_reserve_vcc 1
		.amdhsa_float_round_mode_32 0
		.amdhsa_float_round_mode_16_64 0
		.amdhsa_float_denorm_mode_32 3
		.amdhsa_float_denorm_mode_16_64 3
		.amdhsa_dx10_clamp 1
		.amdhsa_ieee_mode 1
		.amdhsa_fp16_overflow 0
		.amdhsa_workgroup_processor_mode 1
		.amdhsa_memory_ordered 1
		.amdhsa_forward_progress 0
		.amdhsa_shared_vgpr_count 0
		.amdhsa_exception_fp_ieee_invalid_op 0
		.amdhsa_exception_fp_denorm_src 0
		.amdhsa_exception_fp_ieee_div_zero 0
		.amdhsa_exception_fp_ieee_overflow 0
		.amdhsa_exception_fp_ieee_underflow 0
		.amdhsa_exception_fp_ieee_inexact 0
		.amdhsa_exception_int_div_zero 0
	.end_amdhsa_kernel
	.section	.text._Z39paged_attention_ll4mi_QKV_mfma16_kernelIDF16_hLN4vllm18Fp8KVCacheDataTypeE1EDF16_Li32ELi128ELi256ELb1ELi4EL8MFMAType0EEvPKT_PKT0_S8_ifPKiSA_SA_iPKfiiiPfSD_PS3_PT2_iSC_SC_,"axG",@progbits,_Z39paged_attention_ll4mi_QKV_mfma16_kernelIDF16_hLN4vllm18Fp8KVCacheDataTypeE1EDF16_Li32ELi128ELi256ELb1ELi4EL8MFMAType0EEvPKT_PKT0_S8_ifPKiSA_SA_iPKfiiiPfSD_PS3_PT2_iSC_SC_,comdat
.Lfunc_end1329:
	.size	_Z39paged_attention_ll4mi_QKV_mfma16_kernelIDF16_hLN4vllm18Fp8KVCacheDataTypeE1EDF16_Li32ELi128ELi256ELb1ELi4EL8MFMAType0EEvPKT_PKT0_S8_ifPKiSA_SA_iPKfiiiPfSD_PS3_PT2_iSC_SC_, .Lfunc_end1329-_Z39paged_attention_ll4mi_QKV_mfma16_kernelIDF16_hLN4vllm18Fp8KVCacheDataTypeE1EDF16_Li32ELi128ELi256ELb1ELi4EL8MFMAType0EEvPKT_PKT0_S8_ifPKiSA_SA_iPKfiiiPfSD_PS3_PT2_iSC_SC_
                                        ; -- End function
	.section	.AMDGPU.csdata,"",@progbits
; Kernel info:
; codeLenInByte = 6504
; NumSgprs: 38
; NumVgprs: 140
; ScratchSize: 0
; MemoryBound: 0
; FloatMode: 240
; IeeeMode: 1
; LDSByteSize: 17472 bytes/workgroup (compile time only)
; SGPRBlocks: 4
; VGPRBlocks: 17
; NumSGPRsForWavesPerEU: 38
; NumVGPRsForWavesPerEU: 140
; Occupancy: 10
; WaveLimiterHint : 1
; COMPUTE_PGM_RSRC2:SCRATCH_EN: 0
; COMPUTE_PGM_RSRC2:USER_SGPR: 13
; COMPUTE_PGM_RSRC2:TRAP_HANDLER: 0
; COMPUTE_PGM_RSRC2:TGID_X_EN: 1
; COMPUTE_PGM_RSRC2:TGID_Y_EN: 1
; COMPUTE_PGM_RSRC2:TGID_Z_EN: 1
; COMPUTE_PGM_RSRC2:TIDIG_COMP_CNT: 0
	.section	.text._Z39paged_attention_ll4mi_QKV_mfma16_kernelIDF16_hLN4vllm18Fp8KVCacheDataTypeE1EDF16_Li32ELi128ELi256ELb0ELi5EL8MFMAType0EEvPKT_PKT0_S8_ifPKiSA_SA_iPKfiiiPfSD_PS3_PT2_iSC_SC_,"axG",@progbits,_Z39paged_attention_ll4mi_QKV_mfma16_kernelIDF16_hLN4vllm18Fp8KVCacheDataTypeE1EDF16_Li32ELi128ELi256ELb0ELi5EL8MFMAType0EEvPKT_PKT0_S8_ifPKiSA_SA_iPKfiiiPfSD_PS3_PT2_iSC_SC_,comdat
	.protected	_Z39paged_attention_ll4mi_QKV_mfma16_kernelIDF16_hLN4vllm18Fp8KVCacheDataTypeE1EDF16_Li32ELi128ELi256ELb0ELi5EL8MFMAType0EEvPKT_PKT0_S8_ifPKiSA_SA_iPKfiiiPfSD_PS3_PT2_iSC_SC_ ; -- Begin function _Z39paged_attention_ll4mi_QKV_mfma16_kernelIDF16_hLN4vllm18Fp8KVCacheDataTypeE1EDF16_Li32ELi128ELi256ELb0ELi5EL8MFMAType0EEvPKT_PKT0_S8_ifPKiSA_SA_iPKfiiiPfSD_PS3_PT2_iSC_SC_
	.globl	_Z39paged_attention_ll4mi_QKV_mfma16_kernelIDF16_hLN4vllm18Fp8KVCacheDataTypeE1EDF16_Li32ELi128ELi256ELb0ELi5EL8MFMAType0EEvPKT_PKT0_S8_ifPKiSA_SA_iPKfiiiPfSD_PS3_PT2_iSC_SC_
	.p2align	8
	.type	_Z39paged_attention_ll4mi_QKV_mfma16_kernelIDF16_hLN4vllm18Fp8KVCacheDataTypeE1EDF16_Li32ELi128ELi256ELb0ELi5EL8MFMAType0EEvPKT_PKT0_S8_ifPKiSA_SA_iPKfiiiPfSD_PS3_PT2_iSC_SC_,@function
_Z39paged_attention_ll4mi_QKV_mfma16_kernelIDF16_hLN4vllm18Fp8KVCacheDataTypeE1EDF16_Li32ELi128ELi256ELb0ELi5EL8MFMAType0EEvPKT_PKT0_S8_ifPKiSA_SA_iPKfiiiPfSD_PS3_PT2_iSC_SC_: ; @_Z39paged_attention_ll4mi_QKV_mfma16_kernelIDF16_hLN4vllm18Fp8KVCacheDataTypeE1EDF16_Li32ELi128ELi256ELb0ELi5EL8MFMAType0EEvPKT_PKT0_S8_ifPKiSA_SA_iPKfiiiPfSD_PS3_PT2_iSC_SC_
; %bb.0:
	s_load_b64 s[4:5], s[0:1], 0x30
	s_mov_b32 s34, s13
	s_waitcnt lgkmcnt(0)
	s_cmp_lg_u64 s[4:5], 0
	s_cselect_b32 s8, -1, 0
	s_ashr_i32 s35, s13, 31
	s_cmp_eq_u64 s[4:5], 0
	s_cbranch_scc1 .LBB1330_3
; %bb.1:
	s_lshl_b64 s[2:3], s[34:35], 2
	s_delay_alu instid0(SALU_CYCLE_1) | instskip(SKIP_4) | instid1(SALU_CYCLE_1)
	s_add_u32 s2, s4, s2
	s_addc_u32 s3, s5, s3
	s_load_b64 s[2:3], s[2:3], 0x0
	s_waitcnt lgkmcnt(0)
	s_sub_i32 s2, s3, s2
	s_cmp_eq_u32 s2, 1
	s_cselect_b32 s2, -1, 0
	s_delay_alu instid0(SALU_CYCLE_1)
	s_and_not1_b32 vcc_lo, exec_lo, s2
	s_cbranch_vccz .LBB1330_4
.LBB1330_2:
	s_nop 0
	s_sendmsg sendmsg(MSG_DEALLOC_VGPRS)
	s_endpgm
.LBB1330_3:
.LBB1330_4:
	s_load_b64 s[2:3], s[0:1], 0x28
	s_lshl_b64 s[6:7], s[34:35], 2
	s_waitcnt lgkmcnt(0)
	s_add_u32 s2, s2, s6
	s_addc_u32 s3, s3, s7
	s_lshl_b32 s12, s14, 8
	s_load_b32 s24, s[2:3], 0x0
	s_waitcnt lgkmcnt(0)
	s_cmp_ge_i32 s12, s24
	s_cbranch_scc1 .LBB1330_2
; %bb.5:
	s_clause 0x1
	s_load_b128 s[20:23], s[0:1], 0x8
	s_load_b64 s[2:3], s[0:1], 0x20
	s_and_not1_b32 vcc_lo, exec_lo, s8
	s_cbranch_vccnz .LBB1330_7
; %bb.6:
	s_add_u32 s4, s4, s6
	s_addc_u32 s5, s5, s7
	s_load_b32 s5, s[4:5], 0x0
	s_branch .LBB1330_8
.LBB1330_7:
	s_mov_b32 s5, s34
.LBB1330_8:
	s_load_b128 s[16:19], s[0:1], 0x48
	v_and_b32_e32 v68, 15, v0
	v_lshrrev_b32_e32 v69, 5, v0
	v_bfe_u32 v66, v0, 4, 1
	v_and_b32_e32 v70, 31, v0
	v_and_b32_e32 v67, 1, v0
	v_lshlrev_b32_e32 v2, 3, v68
	s_mul_i32 s31, s15, 5
	v_lshl_or_b32 v1, v69, 1, v66
	s_mov_b32 s4, exec_lo
	s_delay_alu instid0(VALU_DEP_2) | instskip(NEXT) | instid1(VALU_DEP_2)
	v_lshlrev_b32_e32 v65, 1, v2
	v_cmpx_gt_u32_e32 5, v1
	s_cbranch_execz .LBB1330_10
; %bb.9:
	s_load_b64 s[6:7], s[0:1], 0x0
	v_add_lshl_u32 v2, v1, s31, 7
	s_waitcnt lgkmcnt(0)
	s_mul_hi_i32 s9, s5, s16
	s_mul_i32 s8, s5, s16
	v_lshlrev_b32_e32 v6, 10, v68
	s_lshl_b64 s[8:9], s[8:9], 1
	v_ashrrev_i32_e32 v3, 31, v2
	v_lshlrev_b32_e32 v1, 6, v1
	v_lshlrev_b32_e32 v7, 10, v67
	v_and_b32_e32 v6, 0x3800, v6
	s_delay_alu instid0(VALU_DEP_4) | instskip(NEXT) | instid1(VALU_DEP_2)
	v_lshlrev_b64 v[2:3], 1, v[2:3]
	v_or3_b32 v1, v6, v7, v1
	s_add_u32 s5, s6, s8
	s_addc_u32 s6, s7, s9
	s_delay_alu instid0(VALU_DEP_2) | instskip(NEXT) | instid1(VALU_DEP_3)
	v_add_co_u32 v2, vcc_lo, s5, v2
	v_add_co_ci_u32_e32 v3, vcc_lo, s6, v3, vcc_lo
	s_delay_alu instid0(VALU_DEP_2) | instskip(NEXT) | instid1(VALU_DEP_2)
	v_add_co_u32 v2, vcc_lo, v2, v65
	v_add_co_ci_u32_e32 v3, vcc_lo, 0, v3, vcc_lo
	global_load_b128 v[2:5], v[2:3], off
	s_waitcnt vmcnt(0)
	ds_store_b128 v1, v[2:5]
.LBB1330_10:
	s_or_b32 exec_lo, exec_lo, s4
	v_and_b32_e32 v1, 0xef, v0
	s_waitcnt lgkmcnt(0)
	s_add_i32 s5, s24, 31
	s_clause 0x1
	s_load_b32 s4, s[0:1], 0x38
	s_load_b32 s33, s[0:1], 0x98
	s_ashr_i32 s6, s5, 31
	v_add_nc_u32_e32 v1, s12, v1
	s_lshr_b32 s6, s6, 27
	s_load_b32 s19, s[0:1], 0x1c
	s_add_i32 s5, s5, s6
	s_waitcnt lgkmcnt(0)
	v_ashrrev_i32_e32 v2, 31, v1
	v_or_b32_e32 v3, 16, v1
	s_ashr_i32 s13, s5, 5
	v_cmp_gt_i32_e32 vcc_lo, s24, v1
	s_add_i32 s13, s13, -1
	v_lshrrev_b32_e32 v2, 27, v2
	s_barrier
	buffer_gl0_inv
	s_mul_i32 s15, s15, s18
	v_add_nc_u32_e32 v4, v1, v2
	s_mul_i32 s4, s34, s4
	s_delay_alu instid0(SALU_CYCLE_1) | instskip(NEXT) | instid1(VALU_DEP_1)
	s_ashr_i32 s5, s4, 31
	v_ashrrev_i32_e32 v4, 5, v4
	v_add_nc_u32_e32 v2, v3, v2
	s_lshl_b64 s[4:5], s[4:5], 2
	s_delay_alu instid0(SALU_CYCLE_1) | instskip(NEXT) | instid1(VALU_DEP_2)
	s_add_u32 s16, s2, s4
	v_cndmask_b32_e32 v1, s13, v4, vcc_lo
	s_delay_alu instid0(VALU_DEP_2)
	v_ashrrev_i32_e32 v2, 5, v2
	v_cmp_gt_i32_e32 vcc_lo, s24, v3
	s_addc_u32 s25, s3, s5
	s_ashr_i32 s18, s15, 31
	s_add_u32 s2, s20, s15
	s_addc_u32 s3, s21, s18
	v_cndmask_b32_e32 v3, s13, v2, vcc_lo
	v_ashrrev_i32_e32 v2, 31, v1
	s_lshl_b32 s4, s14, 3
	s_delay_alu instid0(SALU_CYCLE_1) | instskip(NEXT) | instid1(VALU_DEP_2)
	s_ashr_i32 s5, s4, 31
	v_ashrrev_i32_e32 v4, 31, v3
	s_delay_alu instid0(VALU_DEP_2) | instskip(SKIP_1) | instid1(SALU_CYCLE_1)
	v_lshlrev_b64 v[1:2], 2, v[1:2]
	s_lshl_b64 s[4:5], s[4:5], 2
	s_add_u32 s4, s16, s4
	s_delay_alu instid0(VALU_DEP_2) | instskip(SKIP_1) | instid1(VALU_DEP_2)
	v_lshlrev_b64 v[3:4], 2, v[3:4]
	s_addc_u32 s5, s25, s5
	v_add_co_u32 v1, vcc_lo, s16, v1
	v_add_co_ci_u32_e32 v2, vcc_lo, s25, v2, vcc_lo
	s_delay_alu instid0(VALU_DEP_3) | instskip(NEXT) | instid1(VALU_DEP_4)
	v_add_co_u32 v3, vcc_lo, s16, v3
	v_add_co_ci_u32_e32 v4, vcc_lo, s25, v4, vcc_lo
	s_clause 0x1
	global_load_b32 v5, v[1:2], off
	global_load_b32 v6, v[3:4], off
	s_or_b32 s6, s12, 32
	s_delay_alu instid0(SALU_CYCLE_1) | instskip(SKIP_2) | instid1(SALU_CYCLE_1)
	s_ashr_i32 s7, s6, 5
	s_cmp_lt_i32 s6, s24
	s_cselect_b32 s6, s7, s13
	s_ashr_i32 s7, s6, 31
	s_delay_alu instid0(SALU_CYCLE_1) | instskip(NEXT) | instid1(SALU_CYCLE_1)
	s_lshl_b64 s[6:7], s[6:7], 2
	s_add_u32 s6, s16, s6
	s_addc_u32 s7, s25, s7
	s_or_b32 s8, s12, 64
	s_delay_alu instid0(SALU_CYCLE_1) | instskip(SKIP_2) | instid1(SALU_CYCLE_1)
	s_ashr_i32 s9, s8, 5
	s_cmp_lt_i32 s8, s24
	s_cselect_b32 s8, s9, s13
	s_ashr_i32 s9, s8, 31
	s_delay_alu instid0(SALU_CYCLE_1) | instskip(NEXT) | instid1(SALU_CYCLE_1)
	s_lshl_b64 s[8:9], s[8:9], 2
	s_add_u32 s8, s16, s8
	s_addc_u32 s9, s25, s9
	;; [unrolled: 10-line block ×5, first 2 shown]
	s_clause 0x5
	s_load_b32 s28, s[4:5], 0x0
	s_load_b32 s29, s[6:7], 0x0
	;; [unrolled: 1-line block ×6, first 2 shown]
	s_mov_b32 s4, 0
	s_delay_alu instid0(SALU_CYCLE_1)
	s_mov_b32 s5, s4
	s_mov_b32 s6, s4
	;; [unrolled: 1-line block ×7, first 2 shown]
	s_delay_alu instid0(SALU_CYCLE_1)
	v_dual_mov_b32 v118, s11 :: v_dual_mov_b32 v117, s10
	v_dual_mov_b32 v116, s9 :: v_dual_mov_b32 v115, s8
	v_mov_b32_e32 v113, s6
	v_dual_mov_b32 v111, s4 :: v_dual_mov_b32 v114, s7
	v_mov_b32_e32 v112, s5
	s_waitcnt vmcnt(1)
	v_mad_i64_i32 v[1:2], null, v5, s17, s[2:3]
	v_lshlrev_b32_e32 v5, 4, v68
	s_waitcnt vmcnt(0)
	v_mad_i64_i32 v[3:4], null, v6, s17, s[2:3]
	s_or_b32 s2, s12, 0xc0
	s_delay_alu instid0(SALU_CYCLE_1) | instskip(NEXT) | instid1(VALU_DEP_3)
	s_ashr_i32 s3, s2, 5
	v_add_co_u32 v1, vcc_lo, v1, v5
	s_delay_alu instid0(VALU_DEP_4) | instskip(NEXT) | instid1(VALU_DEP_3)
	v_add_co_ci_u32_e32 v2, vcc_lo, 0, v2, vcc_lo
	v_add_co_u32 v3, vcc_lo, v3, v5
	s_delay_alu instid0(VALU_DEP_4)
	v_add_co_ci_u32_e32 v4, vcc_lo, 0, v4, vcc_lo
	s_clause 0xf
	global_load_b128 v[17:20], v[1:2], off
	global_load_b128 v[21:24], v[1:2], off offset:512
	global_load_b128 v[25:28], v[3:4], off offset:256
	;; [unrolled: 1-line block ×15, first 2 shown]
	v_mul_lo_u16 v1, v68, 52
	s_cmp_lt_i32 s2, s24
	v_lshlrev_b32_e32 v2, 5, v68
	s_cselect_b32 s2, s3, s13
	s_delay_alu instid0(VALU_DEP_2) | instskip(SKIP_1) | instid1(SALU_CYCLE_1)
	v_lshrrev_b16 v1, 8, v1
	s_ashr_i32 s3, s2, 31
	s_lshl_b64 s[2:3], s[2:3], 2
	s_delay_alu instid0(VALU_DEP_1) | instskip(SKIP_3) | instid1(VALU_DEP_1)
	v_mul_lo_u16 v1, v1, 5
	s_add_u32 s2, s16, s2
	s_addc_u32 s3, s25, s3
	s_or_b32 s20, s12, 0xe0
	v_sub_nc_u16 v1, v68, v1
	s_ashr_i32 s21, s20, 5
	s_cmp_lt_i32 s20, s24
	s_cselect_b32 s20, s21, s13
	s_delay_alu instid0(VALU_DEP_1) | instskip(SKIP_1) | instid1(SALU_CYCLE_1)
	v_and_b32_e32 v1, 0xff, v1
	s_ashr_i32 s21, s20, 31
	s_lshl_b64 s[4:5], s[20:21], 2
	s_delay_alu instid0(VALU_DEP_1)
	v_lshlrev_b32_e32 v149, 6, v1
	s_add_u32 s4, s16, s4
	s_addc_u32 s5, s25, s5
	v_lshl_or_b32 v1, v69, 9, v2
	ds_load_b128 v[119:122], v149
	ds_load_b128 v[123:126], v149 offset:1024
	ds_load_b128 v[127:130], v149 offset:2048
	;; [unrolled: 1-line block ×3, first 2 shown]
	s_clause 0x1
	s_load_b32 s2, s[2:3], 0x0
	s_load_b32 s3, s[4:5], 0x0
	s_add_u32 s6, s22, s15
	s_addc_u32 s7, s23, s18
	v_add_co_u32 v135, s6, s6, v1
	s_delay_alu instid0(VALU_DEP_1) | instskip(SKIP_1) | instid1(VALU_DEP_1)
	v_add_co_ci_u32_e64 v136, null, s7, 0, s6
	s_waitcnt lgkmcnt(0)
	v_mad_i64_i32 v[1:2], null, s28, s17, v[135:136]
	v_mad_i64_i32 v[3:4], null, s29, s17, v[135:136]
	;; [unrolled: 1-line block ×6, first 2 shown]
	s_clause 0x9
	global_load_b128 v[49:52], v[1:2], off
	global_load_b128 v[53:56], v[1:2], off offset:16
	global_load_b128 v[41:44], v[3:4], off
	global_load_b128 v[45:48], v[3:4], off offset:16
	;; [unrolled: 2-line block ×5, first 2 shown]
	v_mad_i64_i32 v[145:146], null, s2, s17, v[135:136]
	v_mad_i64_i32 v[147:148], null, s3, s17, v[135:136]
	s_waitcnt vmcnt(24)
	v_wmma_f32_16x16x16_f16 v[135:142], v[17:24], v[119:126], v[111:118]
	s_waitcnt vmcnt(22)
	v_wmma_f32_16x16x16_f16 v[111:118], v[25:32], v[119:126], v[111:118]
	s_clause 0x3
	global_load_b128 v[17:20], v[143:144], off
	global_load_b128 v[21:24], v[143:144], off offset:16
	global_load_b128 v[25:28], v[145:146], off
	global_load_b128 v[29:32], v[145:146], off offset:16
	v_and_b32_e32 v119, 0xe0, v0
	s_waitcnt vmcnt(24)
	v_wmma_f32_16x16x16_f16 v[135:142], v[57:64], v[127:134], v[135:142]
	s_clause 0x1
	global_load_b128 v[57:60], v[147:148], off
	global_load_b128 v[61:64], v[147:148], off offset:16
	s_waitcnt vmcnt(24)
	v_wmma_f32_16x16x16_f16 v[111:118], v[71:78], v[127:134], v[111:118]
	ds_load_b128 v[71:74], v149 offset:4096
	ds_load_b128 v[75:78], v149 offset:5120
	v_add_nc_u32_e32 v128, s12, v119
	ds_load_b128 v[119:122], v149 offset:6144
	ds_load_b128 v[123:126], v149 offset:7168
	v_mbcnt_lo_u32_b32 v127, -1, 0
	s_waitcnt vmcnt(0) lgkmcnt(0)
	s_barrier
	v_or_b32_e32 v128, v128, v66
	buffer_gl0_inv
	v_xor_b32_e32 v129, 16, v127
	v_or_b32_e32 v130, 4, v128
	v_or_b32_e32 v131, 6, v128
	s_delay_alu instid0(VALU_DEP_3) | instskip(SKIP_4) | instid1(VALU_DEP_4)
	v_cmp_gt_i32_e32 vcc_lo, 32, v129
	v_or_b32_e32 v132, 8, v128
	v_or_b32_e32 v133, 10, v128
	v_cmp_gt_i32_e64 s3, s24, v130
	v_cmp_gt_i32_e64 s4, s24, v131
	;; [unrolled: 1-line block ×3, first 2 shown]
	v_wmma_f32_16x16x16_f16 v[135:142], v[79:86], v[71:78], v[135:142]
	v_wmma_f32_16x16x16_f16 v[111:118], v[87:94], v[71:78], v[111:118]
	v_or_b32_e32 v79, 12, v128
	v_or_b32_e32 v80, 14, v128
	v_cmp_gt_i32_e64 s6, s24, v133
	v_wmma_f32_16x16x16_f16 v[135:142], v[95:102], v[119:126], v[135:142]
	v_cndmask_b32_e32 v127, v127, v129, vcc_lo
	v_or_b32_e32 v129, 2, v128
	v_wmma_f32_16x16x16_f16 v[111:118], v[103:110], v[119:126], v[111:118]
	v_cmp_gt_i32_e32 vcc_lo, s24, v128
	v_dual_mul_f32 v88, s19, v135 :: v_dual_mul_f32 v87, s19, v136
	s_delay_alu instid0(VALU_DEP_4) | instskip(NEXT) | instid1(VALU_DEP_4)
	v_cmp_gt_i32_e64 s2, s24, v129
	v_mul_f32_e32 v94, s19, v113
	v_mul_f32_e32 v78, s19, v138
	;; [unrolled: 1-line block ×3, first 2 shown]
	v_cndmask_b32_e32 v88, 0xff7fffff, v88, vcc_lo
	v_cndmask_b32_e64 v87, 0xff7fffff, v87, s2
	v_dual_mul_f32 v76, s19, v140 :: v_dual_mul_f32 v77, s19, v139
	v_mul_f32_e32 v90, s19, v117
	v_cndmask_b32_e64 v86, 0xff7fffff, v86, s3
	v_cndmask_b32_e64 v78, 0xff7fffff, v78, s4
	v_max3_f32 v87, v88, 0xff7fffff, v87
	v_or_b32_e32 v81, 16, v128
	v_or_b32_e32 v82, 18, v128
	v_dual_mul_f32 v74, s19, v142 :: v_dual_mul_f32 v75, s19, v141
	v_mul_f32_e32 v92, s19, v115
	v_cndmask_b32_e64 v77, 0xff7fffff, v77, s5
	v_cndmask_b32_e64 v76, 0xff7fffff, v76, s6
	v_max3_f32 v78, v87, v86, v78
	v_cmp_gt_i32_e64 s7, s24, v79
	v_cmp_gt_i32_e64 s8, s24, v80
	v_or_b32_e32 v83, 20, v128
	v_or_b32_e32 v84, 22, v128
	v_dual_mul_f32 v89, s19, v118 :: v_dual_mul_f32 v96, s19, v111
	v_mul_f32_e32 v95, s19, v112
	v_cndmask_b32_e64 v75, 0xff7fffff, v75, s7
	v_cndmask_b32_e64 v74, 0xff7fffff, v74, s8
	v_max3_f32 v76, v78, v77, v76
	v_cmp_gt_i32_e64 s9, s24, v81
	v_cmp_gt_i32_e64 s10, s24, v82
	v_or_b32_e32 v85, 24, v128
	v_or_b32_e32 v71, 26, v128
	v_mul_f32_e32 v93, s19, v114
	v_cndmask_b32_e64 v77, 0xff7fffff, v96, s9
	v_cndmask_b32_e64 v78, 0xff7fffff, v95, s10
	v_max3_f32 v74, v76, v75, v74
	v_cmp_gt_i32_e64 s11, s24, v83
	v_cmp_gt_i32_e64 s12, s24, v84
	v_or_b32_e32 v72, 28, v128
	v_or_b32_e32 v73, 30, v128
	v_mul_f32_e32 v91, s19, v116
	v_cndmask_b32_e64 v75, 0xff7fffff, v94, s11
	v_cndmask_b32_e64 v76, 0xff7fffff, v93, s12
	v_max3_f32 v74, v74, v77, v78
	v_cmp_gt_i32_e64 s13, s24, v85
	v_cmp_gt_i32_e64 s15, s24, v71
	;; [unrolled: 1-line block ×4, first 2 shown]
	v_max3_f32 v74, v74, v75, v76
	v_cndmask_b32_e64 v77, 0xff7fffff, v92, s13
	v_cndmask_b32_e64 v71, 0xff7fffff, v91, s15
	;; [unrolled: 1-line block ×4, first 2 shown]
	s_delay_alu instid0(VALU_DEP_3) | instskip(SKIP_1) | instid1(VALU_DEP_2)
	v_max3_f32 v71, v74, v77, v71
	v_lshlrev_b32_e32 v74, 2, v127
	v_max3_f32 v71, v71, v72, v73
	ds_bpermute_b32 v72, v74, v71
	s_waitcnt lgkmcnt(0)
	v_max_f32_e32 v72, v72, v72
	s_delay_alu instid0(VALU_DEP_1) | instskip(NEXT) | instid1(VALU_DEP_1)
	v_max_f32_e32 v71, v71, v72
	v_fma_f32 v75, s19, v137, -v71
	v_fma_f32 v76, s19, v138, -v71
	v_fma_f32 v72, s19, v135, -v71
	v_fma_f32 v80, s19, v141, -v71
	v_fma_f32 v73, s19, v136, -v71
	s_delay_alu instid0(VALU_DEP_4) | instskip(NEXT) | instid1(VALU_DEP_4)
	v_dual_mul_f32 v75, 0x3fb8aa3b, v75 :: v_dual_mul_f32 v76, 0x3fb8aa3b, v76
	v_mul_f32_e32 v72, 0x3fb8aa3b, v72
	v_fma_f32 v77, s19, v139, -v71
	s_delay_alu instid0(VALU_DEP_4) | instskip(NEXT) | instid1(VALU_DEP_4)
	v_mul_f32_e32 v73, 0x3fb8aa3b, v73
	v_exp_f32_e32 v75, v75
	v_exp_f32_e32 v76, v76
	;; [unrolled: 1-line block ×3, first 2 shown]
	s_delay_alu instid0(VALU_DEP_1) | instskip(SKIP_2) | instid1(TRANS32_DEP_3)
	v_exp_f32_e32 v73, v73
	v_cndmask_b32_e64 v81, 0, v75, s3
	v_mul_f32_e32 v82, 0x3fb8aa3b, v80
	v_cndmask_b32_e64 v80, 0, v76, s4
	s_waitcnt_depctr 0xfff
	v_cndmask_b32_e64 v78, 0, v73, s2
	v_cmp_gt_u32_e64 s2, 16, v70
	v_exp_f32_e32 v84, v82
	s_waitcnt_depctr 0xfff
	v_cndmask_b32_e64 v85, 0, v84, s7
	v_cndmask_b32_e32 v79, 0, v72, vcc_lo
	v_fma_f32 v72, s19, v140, -v71
	v_mul_f32_e32 v77, 0x3fb8aa3b, v77
	s_delay_alu instid0(VALU_DEP_2) | instskip(NEXT) | instid1(VALU_DEP_2)
	v_dual_add_f32 v73, 0, v79 :: v_dual_mul_f32 v72, 0x3fb8aa3b, v72
	v_exp_f32_e32 v77, v77
	s_delay_alu instid0(VALU_DEP_1) | instskip(NEXT) | instid1(VALU_DEP_2)
	v_add_f32_e32 v73, v73, v78
	v_exp_f32_e32 v72, v72
	s_delay_alu instid0(VALU_DEP_1) | instskip(SKIP_4) | instid1(VALU_DEP_2)
	v_add_f32_e32 v73, v73, v81
	s_waitcnt_depctr 0xfff
	v_cndmask_b32_e64 v83, 0, v77, s5
	v_add_f32_e32 v73, v73, v80
	v_cndmask_b32_e64 v82, 0, v72, s6
	v_add_f32_e32 v72, v73, v83
	s_delay_alu instid0(VALU_DEP_1)
	v_add_f32_e32 v72, v72, v82
	v_fma_f32 v75, s19, v142, -v71
	v_fma_f32 v76, s19, v111, -v71
	;; [unrolled: 1-line block ×5, first 2 shown]
	s_delay_alu instid0(VALU_DEP_4) | instskip(NEXT) | instid1(VALU_DEP_4)
	v_dual_mul_f32 v75, 0x3fb8aa3b, v75 :: v_dual_mul_f32 v76, 0x3fb8aa3b, v76
	v_mul_f32_e32 v86, 0x3fb8aa3b, v86
	v_add_f32_e32 v72, v72, v85
	s_delay_alu instid0(VALU_DEP_3) | instskip(NEXT) | instid1(VALU_DEP_3)
	v_exp_f32_e32 v75, v75
	v_exp_f32_e32 v76, v76
	s_delay_alu instid0(VALU_DEP_2) | instskip(NEXT) | instid1(TRANS32_DEP_3)
	v_exp_f32_e32 v88, v86
	v_cndmask_b32_e64 v84, 0, v75, s8
	v_mul_f32_e32 v77, 0x3fb8aa3b, v77
	s_waitcnt_depctr 0xfff
	v_cndmask_b32_e64 v87, 0, v76, s9
	v_fma_f32 v76, s19, v116, -v71
	v_dual_mul_f32 v73, 0x3fb8aa3b, v73 :: v_dual_add_f32 v72, v72, v84
	v_exp_f32_e32 v77, v77
	v_fma_f32 v75, s19, v115, -v71
	s_delay_alu instid0(VALU_DEP_3) | instskip(NEXT) | instid1(VALU_DEP_3)
	v_mul_f32_e32 v76, 0x3fb8aa3b, v76
	v_exp_f32_e32 v73, v73
	v_add_f32_e32 v72, v72, v87
	v_cndmask_b32_e64 v88, 0, v88, s12
	s_delay_alu instid0(VALU_DEP_3) | instskip(NEXT) | instid1(TRANS32_DEP_3)
	v_exp_f32_e32 v76, v76
	v_cndmask_b32_e64 v86, 0, v77, s10
	v_mul_f32_e32 v75, 0x3fb8aa3b, v75
	v_fma_f32 v77, s19, v117, -v71
	s_delay_alu instid0(TRANS32_DEP_2) | instskip(NEXT) | instid1(VALU_DEP_4)
	v_cndmask_b32_e64 v89, 0, v73, s11
	v_add_f32_e32 v72, v72, v86
	s_delay_alu instid0(VALU_DEP_4) | instskip(NEXT) | instid1(TRANS32_DEP_2)
	v_exp_f32_e32 v75, v75
	v_cndmask_b32_e64 v90, 0, v76, s15
	s_delay_alu instid0(VALU_DEP_2) | instskip(SKIP_2) | instid1(VALU_DEP_3)
	v_add_f32_e32 v72, v72, v89
	v_mul_f32_e32 v73, 0x3fb8aa3b, v77
	v_fma_f32 v77, s19, v118, -v71
	v_add_f32_e32 v72, v72, v88
	s_delay_alu instid0(VALU_DEP_3) | instskip(NEXT) | instid1(TRANS32_DEP_2)
	v_exp_f32_e32 v73, v73
	v_cndmask_b32_e64 v91, 0, v75, s13
	s_delay_alu instid0(VALU_DEP_1) | instskip(NEXT) | instid1(VALU_DEP_1)
	v_dual_mul_f32 v75, 0x3fb8aa3b, v77 :: v_dual_add_f32 v72, v72, v91
	v_exp_f32_e32 v75, v75
	s_waitcnt_depctr 0xfff
	v_cndmask_b32_e64 v93, 0, v73, s16
	v_add_f32_e32 v72, v72, v90
	s_delay_alu instid0(VALU_DEP_1) | instskip(SKIP_1) | instid1(VALU_DEP_1)
	v_add_f32_e32 v72, v72, v93
	v_cndmask_b32_e64 v92, 0, v75, s17
	v_add_f32_e32 v72, v72, v92
	ds_bpermute_b32 v73, v74, v72
	s_and_saveexec_b32 s3, s2
	s_cbranch_execz .LBB1330_12
; %bb.11:
	v_mul_u32_u24_e32 v70, 0x44, v69
	s_waitcnt lgkmcnt(0)
	v_add_f32_e32 v72, v72, v73
	s_delay_alu instid0(VALU_DEP_2) | instskip(NEXT) | instid1(VALU_DEP_1)
	v_lshl_add_u32 v70, v68, 2, v70
	v_add_nc_u32_e32 v70, 0x4000, v70
	ds_store_2addr_b32 v70, v71, v72 offset1:136
.LBB1330_12:
	s_or_b32 exec_lo, exec_lo, s3
	v_lshlrev_b32_e32 v70, 2, v68
	s_load_b32 s35, s[0:1], 0x94
	s_waitcnt lgkmcnt(0)
	s_barrier
	buffer_gl0_inv
	v_add_nc_u32_e32 v98, 0x4000, v70
	v_cmp_eq_u32_e32 vcc_lo, 1, v69
	v_cmp_eq_u32_e64 s3, 2, v69
	v_cmp_eq_u32_e64 s4, 3, v69
	;; [unrolled: 1-line block ×3, first 2 shown]
	ds_load_2addr_b32 v[70:71], v98 offset1:17
	ds_load_2addr_b32 v[72:73], v98 offset0:34 offset1:51
	ds_load_2addr_b32 v[74:75], v98 offset0:68 offset1:85
	;; [unrolled: 1-line block ×3, first 2 shown]
	v_cmp_eq_u32_e64 s6, 5, v69
	v_cmp_eq_u32_e64 s7, 7, v69
	s_waitcnt lgkmcnt(3)
	v_max3_f32 v76, v70, 0xff7fffff, v71
	s_waitcnt lgkmcnt(2)
	s_delay_alu instid0(VALU_DEP_1) | instskip(SKIP_1) | instid1(VALU_DEP_1)
	v_max3_f32 v76, v76, v72, v73
	s_waitcnt lgkmcnt(1)
	v_max3_f32 v76, v76, v74, v75
	s_waitcnt lgkmcnt(0)
	s_delay_alu instid0(VALU_DEP_1) | instskip(NEXT) | instid1(VALU_DEP_1)
	v_max3_f32 v76, v76, v94, v95
	v_sub_f32_e32 v77, v71, v76
	ds_load_2addr_b32 v[96:97], v98 offset0:136 offset1:153
	v_sub_f32_e32 v74, v74, v76
	v_sub_f32_e32 v70, v70, v76
	;; [unrolled: 1-line block ×3, first 2 shown]
	v_dual_sub_f32 v72, v72, v76 :: v_dual_mul_f32 v77, 0x3fb8aa3b, v77
	s_delay_alu instid0(VALU_DEP_4) | instskip(NEXT) | instid1(VALU_DEP_4)
	v_mul_f32_e32 v103, 0x3fb8aa3b, v74
	v_mul_f32_e32 v99, 0x3fb8aa3b, v70
	ds_load_2addr_b32 v[70:71], v98 offset0:170 offset1:187
	v_dual_mul_f32 v101, 0x3fb8aa3b, v72 :: v_dual_mul_f32 v94, 0x3fb8aa3b, v94
	v_exp_f32_e32 v102, v77
	v_exp_f32_e32 v99, v99
	s_delay_alu instid0(VALU_DEP_1) | instskip(NEXT) | instid1(VALU_DEP_1)
	v_exp_f32_e32 v101, v101
	v_exp_f32_e32 v94, v94
	s_waitcnt lgkmcnt(1)
	s_delay_alu instid0(TRANS32_DEP_3)
	v_fma_f32 v77, v99, v96, 0
	v_sub_f32_e32 v100, v73, v76
	ds_load_2addr_b32 v[72:73], v98 offset0:204 offset1:221
	v_fmac_f32_e32 v77, v102, v97
	v_exp_f32_e32 v97, v103
	s_waitcnt lgkmcnt(1)
	s_delay_alu instid0(VALU_DEP_1)
	v_dual_fmac_f32 v77, v101, v70 :: v_dual_sub_f32 v96, v75, v76
	ds_load_2addr_b32 v[74:75], v98 offset0:238 offset1:255
	v_sub_f32_e32 v70, v95, v76
	s_waitcnt lgkmcnt(0)
	s_barrier
	v_mul_f32_e32 v96, 0x3fb8aa3b, v96
	buffer_gl0_inv
	v_exp_f32_e32 v95, v96
	v_mul_f32_e32 v100, 0x3fb8aa3b, v100
	s_delay_alu instid0(VALU_DEP_1) | instskip(SKIP_3) | instid1(VALU_DEP_2)
	v_exp_f32_e32 v100, v100
	s_waitcnt_depctr 0xfff
	v_dual_fmac_f32 v77, v100, v71 :: v_dual_mul_f32 v70, 0x3fb8aa3b, v70
	v_cndmask_b32_e32 v71, v99, v102, vcc_lo
	v_fmac_f32_e32 v77, v97, v72
	s_delay_alu instid0(VALU_DEP_3) | instskip(NEXT) | instid1(VALU_DEP_1)
	v_exp_f32_e32 v96, v70
	v_fmac_f32_e32 v77, v95, v73
	s_delay_alu instid0(VALU_DEP_1) | instskip(SKIP_2) | instid1(VALU_DEP_1)
	v_fmac_f32_e32 v77, v94, v74
	s_waitcnt_depctr 0xfff
	v_fmac_f32_e32 v77, v96, v75
	v_add_f32_e32 v74, 0x358637bd, v77
	s_delay_alu instid0(VALU_DEP_1) | instskip(SKIP_1) | instid1(VALU_DEP_2)
	v_div_scale_f32 v98, null, v74, v74, 1.0
	v_div_scale_f32 v99, vcc_lo, 1.0, v74, 1.0
	v_rcp_f32_e32 v103, v98
	s_waitcnt_depctr 0xfff
	v_fma_f32 v70, -v98, v103, 1.0
	s_delay_alu instid0(VALU_DEP_1) | instskip(SKIP_2) | instid1(VALU_DEP_2)
	v_fmac_f32_e32 v103, v70, v103
	v_cndmask_b32_e64 v70, v71, v101, s3
	v_cmp_eq_u32_e64 s3, 6, v69
	v_cndmask_b32_e64 v71, v70, v100, s4
	s_delay_alu instid0(VALU_DEP_4) | instskip(NEXT) | instid1(VALU_DEP_2)
	v_dual_mul_f32 v101, v99, v103 :: v_dual_lshlrev_b32 v70, 2, v66
	v_cndmask_b32_e64 v71, v71, v97, s5
	s_delay_alu instid0(VALU_DEP_2) | instskip(NEXT) | instid1(VALU_DEP_3)
	v_or_b32_e32 v72, 1, v70
	v_fma_f32 v100, -v98, v101, v99
	v_cmp_eq_u32_e64 s4, 1, v70
	v_cmp_eq_u32_e64 s5, 2, v70
	v_cndmask_b32_e64 v95, v71, v95, s6
	v_or_b32_e32 v71, 3, v70
	v_fmac_f32_e32 v101, v100, v103
	v_cmp_eq_u32_e64 s9, 1, v72
	v_cmp_eq_u32_e64 s12, 2, v72
	v_cndmask_b32_e64 v94, v95, v94, s3
	v_cmp_eq_u32_e64 s11, 1, v71
	v_fma_f32 v97, -v98, v101, v99
	v_cmp_eq_u32_e64 s16, 2, v71
	v_cmp_eq_u32_e64 s13, 3, v72
	v_cndmask_b32_e64 v94, v94, v96, s7
	v_cmp_eq_u32_e64 s18, 3, v71
	v_div_fmas_f32 v95, v97, v103, v101
	v_cmp_eq_u32_e32 vcc_lo, 3, v70
	v_cmp_eq_u32_e64 s3, 4, v70
	v_cmp_eq_u32_e64 s19, 4, v72
	;; [unrolled: 1-line block ×3, first 2 shown]
	v_div_fixup_f32 v95, v95, v74, 1.0
	v_lshlrev_b32_e32 v73, 6, v68
	v_cmp_eq_u32_e64 s6, 5, v70
	v_cmp_eq_u32_e64 s20, 5, v72
	;; [unrolled: 1-line block ×3, first 2 shown]
	v_mul_f32_e32 v102, v94, v95
	v_lshl_or_b32 v75, v69, 11, v73
	v_or_b32_e32 v69, 2, v70
	v_cmp_eq_u32_e64 s25, 6, v72
	v_cmp_eq_u32_e64 s27, 6, v71
	v_fma_mixlo_f16 v94, v102, v79, 0
	v_fma_mixlo_f16 v95, v102, v81, 0
	;; [unrolled: 1-line block ×8, first 2 shown]
	v_lshl_or_b32 v74, v66, 4, v75
	v_fma_mixhi_f16 v94, v102, v78, 0
	v_fma_mixhi_f16 v95, v102, v80, 0
	;; [unrolled: 1-line block ×8, first 2 shown]
	ds_store_b128 v74, v[94:97]
	ds_store_b128 v74, v[98:101] offset:1024
	s_waitcnt lgkmcnt(0)
	s_barrier
	buffer_gl0_inv
	ds_load_b128 v[78:81], v75
	ds_load_b128 v[82:85], v75 offset:16
	ds_load_b128 v[86:89], v75 offset:1024
	;; [unrolled: 1-line block ×3, first 2 shown]
	v_cmp_eq_u32_e64 s10, 1, v69
	v_cmp_eq_u32_e64 s15, 2, v69
	;; [unrolled: 1-line block ×11, first 2 shown]
	s_waitcnt lgkmcnt(3)
	v_lshrrev_b32_e32 v94, 16, v78
	s_waitcnt lgkmcnt(2)
	v_lshrrev_b32_e32 v98, 16, v82
	;; [unrolled: 2-line block ×4, first 2 shown]
	v_lshrrev_b32_e32 v95, 16, v79
	v_cndmask_b32_e64 v110, v78, v94, s4
	v_cndmask_b32_e64 v111, v82, v98, s4
	;; [unrolled: 1-line block ×8, first 2 shown]
	v_lshrrev_b32_e32 v99, 16, v83
	v_cndmask_b32_e64 v94, v86, v102, s4
	v_cndmask_b32_e64 v98, v90, v106, s4
	;; [unrolled: 1-line block ×15, first 2 shown]
	v_lshrrev_b32_e32 v103, 16, v87
	v_lshrrev_b32_e32 v107, 16, v91
	v_cndmask_b32_e64 v113, v115, v83, s15
	v_cndmask_b32_e64 v82, v94, v87, s5
	;; [unrolled: 1-line block ×7, first 2 shown]
	v_cndmask_b32_e32 v90, v102, v95, vcc_lo
	v_cndmask_b32_e32 v102, v106, v99, vcc_lo
	v_cndmask_b32_e64 v106, v110, v95, s13
	v_cndmask_b32_e64 v110, v111, v99, s13
	v_cndmask_b32_e64 v78, v78, v95, s18
	v_cndmask_b32_e64 v79, v79, v99, s18
	v_lshrrev_b32_e32 v96, 16, v80
	v_lshrrev_b32_e32 v100, 16, v84
	v_cndmask_b32_e64 v111, v112, v95, s17
	v_cndmask_b32_e64 v112, v113, v99, s17
	v_cndmask_b32_e32 v82, v82, v103, vcc_lo
	v_cndmask_b32_e32 v83, v83, v107, vcc_lo
	v_cndmask_b32_e64 v94, v94, v103, s13
	v_cndmask_b32_e64 v90, v90, v80, s3
	;; [unrolled: 1-line block ×7, first 2 shown]
	v_lshrrev_b32_e32 v104, 16, v88
	v_cndmask_b32_e64 v106, v111, v80, s21
	v_cndmask_b32_e64 v110, v112, v84, s21
	;; [unrolled: 1-line block ×11, first 2 shown]
	v_lshrrev_b32_e32 v97, 16, v81
	v_lshrrev_b32_e32 v101, 16, v85
	v_cndmask_b32_e64 v99, v106, v96, s23
	v_cndmask_b32_e64 v102, v110, v100, s23
	;; [unrolled: 1-line block ×7, first 2 shown]
	v_lshrrev_b32_e32 v105, 16, v89
	v_cndmask_b32_e64 v80, v80, v104, s6
	v_cndmask_b32_e64 v84, v84, v81, s7
	;; [unrolled: 1-line block ×16, first 2 shown]
	v_perm_b32 v81, v79, v78, 0x5040100
	v_perm_b32 v79, v95, v85, 0x5040100
	v_cndmask_b32_e64 v78, v119, v91, s15
	v_cndmask_b32_e64 v85, v117, v91, s12
	v_cndmask_b32_e64 v96, v80, v105, s8
	v_perm_b32 v80, v94, v90, 0x5040100
	v_cndmask_b32_e64 v90, v98, v103, s17
	v_cndmask_b32_e64 v86, v86, v103, s18
	;; [unrolled: 1-line block ×5, first 2 shown]
	v_lshrrev_b32_e32 v108, 16, v92
	v_cndmask_b32_e64 v90, v90, v88, s21
	v_cndmask_b32_e64 v86, v86, v88, s22
	v_cndmask_b32_e64 v87, v87, v92, s22
	v_cndmask_b32_e64 v78, v78, v92, s21
	v_cndmask_b32_e64 v85, v85, v92, s19
	v_cndmask_b32_e64 v82, v82, v108, s6
	v_cndmask_b32_e64 v88, v90, v104, s23
	v_cndmask_b32_e64 v86, v86, v104, s24
	v_cndmask_b32_e64 v87, v87, v108, s24
	v_cndmask_b32_e64 v78, v78, v108, s23
	v_cndmask_b32_e64 v85, v85, v108, s20
	v_lshrrev_b32_e32 v109, 16, v93
	v_cndmask_b32_e64 v82, v82, v93, s7
	v_cndmask_b32_e64 v88, v88, v89, s26
	v_cndmask_b32_e64 v86, v86, v89, s27
	v_cndmask_b32_e64 v87, v87, v93, s27
	v_cndmask_b32_e64 v78, v78, v93, s26
	v_cndmask_b32_e64 v85, v85, v93, s25
	v_cndmask_b32_e64 v88, v88, v105, s28
	v_cndmask_b32_e64 v86, v86, v105, s29
	v_cndmask_b32_e64 v87, v87, v109, s29
	v_cndmask_b32_e64 v89, v78, v109, s28
	v_cndmask_b32_e64 v90, v85, v109, s30
	v_cndmask_b32_e64 v82, v82, v109, s8
	v_perm_b32 v78, v84, v83, 0x5040100
	v_perm_b32 v85, v87, v86, 0x5040100
	;; [unrolled: 1-line block ×5, first 2 shown]
	s_mul_i32 s8, s33, 5
	s_mov_b32 s3, exec_lo
	ds_store_b128 v74, v[78:81]
	ds_store_b128 v74, v[82:85] offset:1024
	v_cmpx_gt_u32_e32 5, v0
	s_cbranch_execz .LBB1330_14
; %bb.13:
	s_mul_i32 s4, s8, s34
	s_delay_alu instid0(SALU_CYCLE_1) | instskip(SKIP_1) | instid1(VALU_DEP_1)
	v_add3_u32 v68, s4, s31, v68
	s_load_b128 s[4:7], s[0:1], 0x58
	v_mad_u64_u32 v[78:79], null, v68, s35, s[14:15]
	s_delay_alu instid0(VALU_DEP_1) | instskip(NEXT) | instid1(VALU_DEP_1)
	v_ashrrev_i32_e32 v79, 31, v78
	v_lshlrev_b64 v[78:79], 2, v[78:79]
	s_waitcnt lgkmcnt(0)
	s_delay_alu instid0(VALU_DEP_1) | instskip(NEXT) | instid1(VALU_DEP_2)
	v_add_co_u32 v80, vcc_lo, s6, v78
	v_add_co_ci_u32_e32 v81, vcc_lo, s7, v79, vcc_lo
	v_add_co_u32 v78, vcc_lo, s4, v78
	v_add_co_ci_u32_e32 v79, vcc_lo, s5, v79, vcc_lo
	global_store_b32 v[80:81], v76, off
	global_store_b32 v[78:79], v77, off
.LBB1330_14:
	s_or_b32 exec_lo, exec_lo, s3
	s_waitcnt lgkmcnt(0)
	s_waitcnt_vscnt null, 0x0
	s_barrier
	buffer_gl0_inv
	ds_load_b128 v[84:87], v73
	ds_load_b128 v[88:91], v73 offset:16
	ds_load_b128 v[96:99], v73 offset:2064
	;; [unrolled: 1-line block ×5, first 2 shown]
	v_cmp_eq_u32_e32 vcc_lo, 1, v70
	v_mov_b32_e32 v76, 0
	ds_load_b128 v[112:115], v73 offset:6160
	ds_load_b128 v[108:111], v73 offset:6144
	;; [unrolled: 1-line block ×4, first 2 shown]
	v_cmp_eq_u32_e64 s4, 1, v69
	v_cmp_eq_u32_e64 s3, 1, v72
	;; [unrolled: 1-line block ×3, first 2 shown]
	v_mov_b32_e32 v77, v76
	v_mov_b32_e32 v78, v76
	;; [unrolled: 1-line block ×7, first 2 shown]
	v_cmp_eq_u32_e64 s6, 3, v72
	v_cmp_eq_u32_e64 s7, 7, v72
	s_waitcnt lgkmcnt(8)
	s_delay_alu instid0(VALU_DEP_3)
	v_wmma_f32_16x16x16_f16 v[76:83], v[49:56], v[84:91], v[76:83]
	ds_load_b128 v[53:56], v73 offset:10256
	ds_load_b128 v[49:52], v73 offset:10240
	s_waitcnt lgkmcnt(8)
	v_wmma_f32_16x16x16_f16 v[76:83], v[41:48], v[92:99], v[76:83]
	ds_load_b128 v[45:48], v73 offset:12304
	ds_load_b128 v[41:44], v73 offset:12288
	s_waitcnt lgkmcnt(8)
	;; [unrolled: 4-line block ×3, first 2 shown]
	s_barrier
	buffer_gl0_inv
	v_wmma_f32_16x16x16_f16 v[76:83], v[1:8], v[108:115], v[76:83]
	s_delay_alu instid0(VALU_DEP_1) | instskip(NEXT) | instid1(VALU_DEP_1)
	v_wmma_f32_16x16x16_f16 v[76:83], v[9:16], v[116:123], v[76:83]
	v_wmma_f32_16x16x16_f16 v[76:83], v[17:24], v[49:56], v[76:83]
	s_delay_alu instid0(VALU_DEP_1) | instskip(NEXT) | instid1(VALU_DEP_1)
	v_wmma_f32_16x16x16_f16 v[76:83], v[25:32], v[41:48], v[76:83]
	v_wmma_f32_16x16x16_f16 v[76:83], v[57:64], v[33:40], v[76:83]
	s_delay_alu instid0(VALU_DEP_1) | instskip(NEXT) | instid1(VALU_DEP_2)
	v_cvt_f16_f32_e32 v1, v76
	v_cvt_f16_f32_e32 v2, v77
	s_delay_alu instid0(VALU_DEP_3) | instskip(NEXT) | instid1(VALU_DEP_4)
	v_cvt_f16_f32_e32 v3, v78
	v_cvt_f16_f32_e32 v4, v79
	;; [unrolled: 1-line block ×6, first 2 shown]
	v_pack_b32_f16 v1, v1, v2
	v_pack_b32_f16 v2, v3, v4
	;; [unrolled: 1-line block ×3, first 2 shown]
	s_delay_alu instid0(VALU_DEP_4)
	v_pack_b32_f16 v4, v7, v8
	ds_store_b128 v74, v[1:4]
	s_waitcnt lgkmcnt(0)
	s_barrier
	buffer_gl0_inv
	ds_load_b128 v[1:4], v75
	ds_load_b128 v[5:8], v75 offset:16
	s_waitcnt lgkmcnt(1)
	v_lshrrev_b32_e32 v9, 16, v1
	s_waitcnt lgkmcnt(0)
	v_lshrrev_b32_e32 v13, 16, v5
	v_lshrrev_b32_e32 v10, 16, v2
	;; [unrolled: 1-line block ×4, first 2 shown]
	v_cndmask_b32_e32 v17, v1, v9, vcc_lo
	v_cndmask_b32_e32 v18, v5, v13, vcc_lo
	v_cndmask_b32_e64 v21, v1, v9, s4
	v_cmp_eq_u32_e32 vcc_lo, 1, v71
	v_cndmask_b32_e64 v22, v5, v13, s4
	v_cmp_eq_u32_e64 s4, 2, v70
	v_cndmask_b32_e64 v19, v1, v9, s3
	v_cndmask_b32_e64 v20, v5, v13, s3
	v_cndmask_b32_e32 v1, v1, v9, vcc_lo
	v_cmp_eq_u32_e64 s3, 2, v71
	v_cndmask_b32_e32 v5, v5, v13, vcc_lo
	v_cndmask_b32_e64 v9, v17, v2, s4
	v_cmp_eq_u32_e32 vcc_lo, 3, v70
	v_cndmask_b32_e64 v13, v18, v6, s4
	v_cmp_eq_u32_e64 s4, 2, v69
	v_cndmask_b32_e64 v17, v19, v2, s5
	v_cndmask_b32_e64 v18, v20, v6, s5
	v_cmp_eq_u32_e64 s5, 3, v69
	v_cndmask_b32_e64 v1, v1, v2, s3
	v_cndmask_b32_e64 v19, v21, v2, s4
	;; [unrolled: 1-line block ×4, first 2 shown]
	v_cndmask_b32_e32 v5, v9, v10, vcc_lo
	v_cndmask_b32_e32 v6, v13, v14, vcc_lo
	v_cmp_eq_u32_e32 vcc_lo, 3, v71
	v_cndmask_b32_e64 v9, v17, v10, s6
	v_cndmask_b32_e64 v13, v18, v14, s6
	;; [unrolled: 1-line block ×3, first 2 shown]
	v_cmp_eq_u32_e64 s4, 4, v70
	v_cndmask_b32_e32 v1, v1, v10, vcc_lo
	v_cndmask_b32_e32 v2, v2, v14, vcc_lo
	v_cmp_eq_u32_e32 vcc_lo, 4, v72
	v_lshrrev_b32_e32 v15, 16, v7
	v_lshrrev_b32_e32 v16, 16, v8
	v_cndmask_b32_e64 v17, v19, v10, s5
	v_cmp_eq_u32_e64 s3, 4, v71
	v_cndmask_b32_e64 v5, v5, v3, s4
	v_cndmask_b32_e64 v6, v6, v7, s4
	v_cndmask_b32_e32 v9, v9, v3, vcc_lo
	v_cmp_eq_u32_e64 s4, 5, v72
	v_cndmask_b32_e32 v10, v13, v7, vcc_lo
	v_cmp_eq_u32_e32 vcc_lo, 4, v69
	v_cmp_eq_u32_e64 s5, 5, v70
	v_cndmask_b32_e64 v2, v2, v7, s3
	v_cndmask_b32_e64 v9, v9, v11, s4
	v_cndmask_b32_e64 v10, v10, v15, s4
	v_cndmask_b32_e32 v13, v17, v3, vcc_lo
	v_cmp_eq_u32_e64 s4, 5, v69
	v_cndmask_b32_e32 v14, v18, v7, vcc_lo
	v_cndmask_b32_e64 v1, v1, v3, s3
	v_cmp_eq_u32_e32 vcc_lo, 5, v71
	v_lshrrev_b32_e32 v12, 16, v4
	v_cndmask_b32_e64 v13, v13, v11, s4
	v_cndmask_b32_e64 v3, v14, v15, s4
	v_cmp_eq_u32_e64 s4, 6, v71
	v_cndmask_b32_e32 v1, v1, v11, vcc_lo
	v_cndmask_b32_e64 v5, v5, v11, s5
	v_cmp_eq_u32_e64 s6, 6, v70
	v_cndmask_b32_e64 v6, v6, v15, s5
	v_cmp_eq_u32_e64 s5, 6, v72
	v_cmp_eq_u32_e64 s3, 6, v69
	v_cndmask_b32_e64 v1, v1, v4, s4
	v_cndmask_b32_e32 v2, v2, v15, vcc_lo
	v_cmp_eq_u32_e32 vcc_lo, 7, v71
	v_cndmask_b32_e64 v5, v5, v4, s6
	v_cndmask_b32_e64 v9, v9, v4, s5
	;; [unrolled: 1-line block ×3, first 2 shown]
	v_cmp_eq_u32_e64 s6, 7, v70
	v_cndmask_b32_e32 v1, v1, v12, vcc_lo
	v_cndmask_b32_e64 v7, v13, v4, s3
	v_cndmask_b32_e64 v3, v3, v8, s3
	;; [unrolled: 1-line block ×3, first 2 shown]
	v_cmp_eq_u32_e64 s3, 7, v69
	v_cndmask_b32_e64 v4, v10, v8, s5
	v_cndmask_b32_e64 v5, v5, v12, s6
	;; [unrolled: 1-line block ×3, first 2 shown]
	v_cndmask_b32_e32 v2, v2, v16, vcc_lo
	v_cndmask_b32_e64 v7, v7, v12, s3
	v_cndmask_b32_e64 v3, v3, v16, s3
	;; [unrolled: 1-line block ×4, first 2 shown]
	v_perm_b32 v4, v2, v1, 0x5040100
	s_mov_b32 s3, exec_lo
	v_perm_b32 v3, v3, v7, 0x5040100
	v_perm_b32 v2, v8, v9, 0x5040100
	;; [unrolled: 1-line block ×3, first 2 shown]
	ds_store_b128 v74, v[1:4]
	s_waitcnt lgkmcnt(0)
	s_barrier
	buffer_gl0_inv
	v_cmpx_gt_u32_e32 32, v0
	s_cbranch_execz .LBB1330_2
; %bb.15:
	s_load_b64 s[4:5], s[0:1], 0x68
	v_lshlrev_b32_e32 v0, 10, v0
	v_add_nc_u32_e32 v2, s31, v66
	v_lshlrev_b32_e32 v3, 4, v67
	s_lshl_b32 s0, s35, 7
	s_delay_alu instid0(SALU_CYCLE_1) | instskip(NEXT) | instid1(VALU_DEP_2)
	s_mul_i32 s1, s0, s34
	v_mul_lo_u32 v1, v2, s0
	s_delay_alu instid0(VALU_DEP_2) | instskip(SKIP_2) | instid1(SALU_CYCLE_1)
	v_and_or_b32 v0, 0x3800, v0, v3
	v_add_nc_u32_e32 v2, 2, v2
	s_mul_i32 s6, s1, s8
	s_ashr_i32 s7, s6, 31
	s_delay_alu instid0(VALU_DEP_2)
	v_lshl_or_b32 v7, v66, 6, v0
	s_lshl_b64 s[6:7], s[6:7], 1
	v_mul_lo_u32 v11, v2, s0
	v_ashrrev_i32_e32 v2, 31, v1
	ds_load_b128 v[3:6], v7
	ds_load_b128 v[7:10], v7 offset:128
	s_waitcnt lgkmcnt(0)
	s_add_u32 s1, s4, s6
	s_addc_u32 s3, s5, s7
	s_lshl_b32 s4, s14, 7
	v_ashrrev_i32_e32 v12, 31, v11
	s_ashr_i32 s5, s4, 31
	v_lshlrev_b64 v[13:14], 1, v[1:2]
	s_lshl_b64 s[4:5], s[4:5], 1
	s_delay_alu instid0(SALU_CYCLE_1) | instskip(SKIP_2) | instid1(VALU_DEP_1)
	s_add_u32 s1, s1, s4
	s_addc_u32 s3, s3, s5
	v_add_co_u32 v1, s1, s1, v65
	v_add_co_ci_u32_e64 v2, null, s3, 0, s1
	v_lshlrev_b64 v[11:12], 1, v[11:12]
	s_delay_alu instid0(VALU_DEP_3) | instskip(NEXT) | instid1(VALU_DEP_3)
	v_add_co_u32 v13, vcc_lo, v1, v13
	v_add_co_ci_u32_e32 v14, vcc_lo, v2, v14, vcc_lo
	s_delay_alu instid0(VALU_DEP_3) | instskip(NEXT) | instid1(VALU_DEP_4)
	v_add_co_u32 v11, vcc_lo, v1, v11
	v_add_co_ci_u32_e32 v12, vcc_lo, v2, v12, vcc_lo
	s_clause 0x1
	global_store_b128 v[13:14], v[3:6], off
	global_store_b128 v[11:12], v[7:10], off
	s_and_b32 exec_lo, exec_lo, s2
	s_cbranch_execz .LBB1330_2
; %bb.16:
	ds_load_b128 v[3:6], v0 offset:256
	s_add_i32 s1, s31, 4
	s_delay_alu instid0(SALU_CYCLE_1) | instskip(NEXT) | instid1(SALU_CYCLE_1)
	s_mul_i32 s0, s1, s0
	s_ashr_i32 s1, s0, 31
	s_delay_alu instid0(SALU_CYCLE_1) | instskip(NEXT) | instid1(SALU_CYCLE_1)
	s_lshl_b64 s[0:1], s[0:1], 1
	v_add_co_u32 v0, vcc_lo, v1, s0
	v_add_co_ci_u32_e32 v1, vcc_lo, s1, v2, vcc_lo
	s_waitcnt lgkmcnt(0)
	global_store_b128 v[0:1], v[3:6], off
	s_nop 0
	s_sendmsg sendmsg(MSG_DEALLOC_VGPRS)
	s_endpgm
	.section	.rodata,"a",@progbits
	.p2align	6, 0x0
	.amdhsa_kernel _Z39paged_attention_ll4mi_QKV_mfma16_kernelIDF16_hLN4vllm18Fp8KVCacheDataTypeE1EDF16_Li32ELi128ELi256ELb0ELi5EL8MFMAType0EEvPKT_PKT0_S8_ifPKiSA_SA_iPKfiiiPfSD_PS3_PT2_iSC_SC_
		.amdhsa_group_segment_fixed_size 17472
		.amdhsa_private_segment_fixed_size 0
		.amdhsa_kernarg_size 400
		.amdhsa_user_sgpr_count 13
		.amdhsa_user_sgpr_dispatch_ptr 0
		.amdhsa_user_sgpr_queue_ptr 0
		.amdhsa_user_sgpr_kernarg_segment_ptr 1
		.amdhsa_user_sgpr_dispatch_id 0
		.amdhsa_user_sgpr_private_segment_size 0
		.amdhsa_wavefront_size32 1
		.amdhsa_uses_dynamic_stack 0
		.amdhsa_enable_private_segment 0
		.amdhsa_system_sgpr_workgroup_id_x 1
		.amdhsa_system_sgpr_workgroup_id_y 1
		.amdhsa_system_sgpr_workgroup_id_z 1
		.amdhsa_system_sgpr_workgroup_info 0
		.amdhsa_system_vgpr_workitem_id 0
		.amdhsa_next_free_vgpr 150
		.amdhsa_next_free_sgpr 37
		.amdhsa_reserve_vcc 1
		.amdhsa_float_round_mode_32 0
		.amdhsa_float_round_mode_16_64 0
		.amdhsa_float_denorm_mode_32 3
		.amdhsa_float_denorm_mode_16_64 3
		.amdhsa_dx10_clamp 1
		.amdhsa_ieee_mode 1
		.amdhsa_fp16_overflow 0
		.amdhsa_workgroup_processor_mode 1
		.amdhsa_memory_ordered 1
		.amdhsa_forward_progress 0
		.amdhsa_shared_vgpr_count 0
		.amdhsa_exception_fp_ieee_invalid_op 0
		.amdhsa_exception_fp_denorm_src 0
		.amdhsa_exception_fp_ieee_div_zero 0
		.amdhsa_exception_fp_ieee_overflow 0
		.amdhsa_exception_fp_ieee_underflow 0
		.amdhsa_exception_fp_ieee_inexact 0
		.amdhsa_exception_int_div_zero 0
	.end_amdhsa_kernel
	.section	.text._Z39paged_attention_ll4mi_QKV_mfma16_kernelIDF16_hLN4vllm18Fp8KVCacheDataTypeE1EDF16_Li32ELi128ELi256ELb0ELi5EL8MFMAType0EEvPKT_PKT0_S8_ifPKiSA_SA_iPKfiiiPfSD_PS3_PT2_iSC_SC_,"axG",@progbits,_Z39paged_attention_ll4mi_QKV_mfma16_kernelIDF16_hLN4vllm18Fp8KVCacheDataTypeE1EDF16_Li32ELi128ELi256ELb0ELi5EL8MFMAType0EEvPKT_PKT0_S8_ifPKiSA_SA_iPKfiiiPfSD_PS3_PT2_iSC_SC_,comdat
.Lfunc_end1330:
	.size	_Z39paged_attention_ll4mi_QKV_mfma16_kernelIDF16_hLN4vllm18Fp8KVCacheDataTypeE1EDF16_Li32ELi128ELi256ELb0ELi5EL8MFMAType0EEvPKT_PKT0_S8_ifPKiSA_SA_iPKfiiiPfSD_PS3_PT2_iSC_SC_, .Lfunc_end1330-_Z39paged_attention_ll4mi_QKV_mfma16_kernelIDF16_hLN4vllm18Fp8KVCacheDataTypeE1EDF16_Li32ELi128ELi256ELb0ELi5EL8MFMAType0EEvPKT_PKT0_S8_ifPKiSA_SA_iPKfiiiPfSD_PS3_PT2_iSC_SC_
                                        ; -- End function
	.section	.AMDGPU.csdata,"",@progbits
; Kernel info:
; codeLenInByte = 6660
; NumSgprs: 39
; NumVgprs: 150
; ScratchSize: 0
; MemoryBound: 0
; FloatMode: 240
; IeeeMode: 1
; LDSByteSize: 17472 bytes/workgroup (compile time only)
; SGPRBlocks: 4
; VGPRBlocks: 18
; NumSGPRsForWavesPerEU: 39
; NumVGPRsForWavesPerEU: 150
; Occupancy: 9
; WaveLimiterHint : 1
; COMPUTE_PGM_RSRC2:SCRATCH_EN: 0
; COMPUTE_PGM_RSRC2:USER_SGPR: 13
; COMPUTE_PGM_RSRC2:TRAP_HANDLER: 0
; COMPUTE_PGM_RSRC2:TGID_X_EN: 1
; COMPUTE_PGM_RSRC2:TGID_Y_EN: 1
; COMPUTE_PGM_RSRC2:TGID_Z_EN: 1
; COMPUTE_PGM_RSRC2:TIDIG_COMP_CNT: 0
	.section	.text._Z39paged_attention_ll4mi_QKV_mfma16_kernelIDF16_hLN4vllm18Fp8KVCacheDataTypeE1EDF16_Li32ELi128ELi256ELb0ELi6EL8MFMAType0EEvPKT_PKT0_S8_ifPKiSA_SA_iPKfiiiPfSD_PS3_PT2_iSC_SC_,"axG",@progbits,_Z39paged_attention_ll4mi_QKV_mfma16_kernelIDF16_hLN4vllm18Fp8KVCacheDataTypeE1EDF16_Li32ELi128ELi256ELb0ELi6EL8MFMAType0EEvPKT_PKT0_S8_ifPKiSA_SA_iPKfiiiPfSD_PS3_PT2_iSC_SC_,comdat
	.protected	_Z39paged_attention_ll4mi_QKV_mfma16_kernelIDF16_hLN4vllm18Fp8KVCacheDataTypeE1EDF16_Li32ELi128ELi256ELb0ELi6EL8MFMAType0EEvPKT_PKT0_S8_ifPKiSA_SA_iPKfiiiPfSD_PS3_PT2_iSC_SC_ ; -- Begin function _Z39paged_attention_ll4mi_QKV_mfma16_kernelIDF16_hLN4vllm18Fp8KVCacheDataTypeE1EDF16_Li32ELi128ELi256ELb0ELi6EL8MFMAType0EEvPKT_PKT0_S8_ifPKiSA_SA_iPKfiiiPfSD_PS3_PT2_iSC_SC_
	.globl	_Z39paged_attention_ll4mi_QKV_mfma16_kernelIDF16_hLN4vllm18Fp8KVCacheDataTypeE1EDF16_Li32ELi128ELi256ELb0ELi6EL8MFMAType0EEvPKT_PKT0_S8_ifPKiSA_SA_iPKfiiiPfSD_PS3_PT2_iSC_SC_
	.p2align	8
	.type	_Z39paged_attention_ll4mi_QKV_mfma16_kernelIDF16_hLN4vllm18Fp8KVCacheDataTypeE1EDF16_Li32ELi128ELi256ELb0ELi6EL8MFMAType0EEvPKT_PKT0_S8_ifPKiSA_SA_iPKfiiiPfSD_PS3_PT2_iSC_SC_,@function
_Z39paged_attention_ll4mi_QKV_mfma16_kernelIDF16_hLN4vllm18Fp8KVCacheDataTypeE1EDF16_Li32ELi128ELi256ELb0ELi6EL8MFMAType0EEvPKT_PKT0_S8_ifPKiSA_SA_iPKfiiiPfSD_PS3_PT2_iSC_SC_: ; @_Z39paged_attention_ll4mi_QKV_mfma16_kernelIDF16_hLN4vllm18Fp8KVCacheDataTypeE1EDF16_Li32ELi128ELi256ELb0ELi6EL8MFMAType0EEvPKT_PKT0_S8_ifPKiSA_SA_iPKfiiiPfSD_PS3_PT2_iSC_SC_
; %bb.0:
	s_load_b64 s[4:5], s[0:1], 0x30
	s_mov_b32 s30, s13
	s_waitcnt lgkmcnt(0)
	s_cmp_lg_u64 s[4:5], 0
	s_cselect_b32 s8, -1, 0
	s_ashr_i32 s31, s13, 31
	s_cmp_eq_u64 s[4:5], 0
	s_cbranch_scc1 .LBB1331_3
; %bb.1:
	s_lshl_b64 s[2:3], s[30:31], 2
	s_delay_alu instid0(SALU_CYCLE_1) | instskip(SKIP_4) | instid1(SALU_CYCLE_1)
	s_add_u32 s2, s4, s2
	s_addc_u32 s3, s5, s3
	s_load_b64 s[2:3], s[2:3], 0x0
	s_waitcnt lgkmcnt(0)
	s_sub_i32 s2, s3, s2
	s_cmp_eq_u32 s2, 1
	s_cselect_b32 s2, -1, 0
	s_delay_alu instid0(SALU_CYCLE_1)
	s_and_not1_b32 vcc_lo, exec_lo, s2
	s_cbranch_vccz .LBB1331_4
.LBB1331_2:
	s_endpgm
.LBB1331_3:
.LBB1331_4:
	s_load_b64 s[2:3], s[0:1], 0x28
	s_lshl_b64 s[6:7], s[30:31], 2
	s_waitcnt lgkmcnt(0)
	s_add_u32 s2, s2, s6
	s_addc_u32 s3, s3, s7
	s_lshl_b32 s12, s14, 8
	s_load_b32 s24, s[2:3], 0x0
	s_waitcnt lgkmcnt(0)
	s_cmp_ge_i32 s12, s24
	s_cbranch_scc1 .LBB1331_2
; %bb.5:
	s_clause 0x1
	s_load_b128 s[20:23], s[0:1], 0x8
	s_load_b64 s[2:3], s[0:1], 0x20
	s_and_not1_b32 vcc_lo, exec_lo, s8
	s_cbranch_vccnz .LBB1331_7
; %bb.6:
	s_add_u32 s4, s4, s6
	s_addc_u32 s5, s5, s7
	s_load_b32 s5, s[4:5], 0x0
	s_branch .LBB1331_8
.LBB1331_7:
	s_mov_b32 s5, s30
.LBB1331_8:
	s_load_b128 s[16:19], s[0:1], 0x48
	v_and_b32_e32 v68, 15, v0
	v_lshrrev_b32_e32 v69, 5, v0
	v_and_b32_e32 v70, 31, v0
	v_and_b32_e32 v67, 1, v0
	v_bfe_u32 v66, v0, 4, 1
	v_lshlrev_b32_e32 v1, 3, v68
	s_mul_i32 s31, s15, 6
	s_mov_b32 s4, exec_lo
	s_delay_alu instid0(VALU_DEP_1)
	v_lshlrev_b32_e32 v65, 1, v1
	v_cmpx_gt_u32_e32 0x60, v0
	s_cbranch_execz .LBB1331_10
; %bb.9:
	s_load_b64 s[6:7], s[0:1], 0x0
	v_lshl_or_b32 v5, v69, 1, v66
	s_waitcnt lgkmcnt(0)
	s_mul_hi_i32 s9, s5, s16
	s_mul_i32 s8, s5, s16
	v_lshlrev_b32_e32 v6, 10, v68
	s_lshl_b64 s[8:9], s[8:9], 1
	v_add_lshl_u32 v1, v5, s31, 7
	v_lshlrev_b32_e32 v5, 6, v5
	v_lshlrev_b32_e32 v7, 10, v67
	v_and_b32_e32 v6, 0x3800, v6
	s_delay_alu instid0(VALU_DEP_4) | instskip(NEXT) | instid1(VALU_DEP_2)
	v_ashrrev_i32_e32 v2, 31, v1
	v_or3_b32 v5, v6, v7, v5
	s_delay_alu instid0(VALU_DEP_2) | instskip(SKIP_2) | instid1(VALU_DEP_1)
	v_lshlrev_b64 v[1:2], 1, v[1:2]
	s_add_u32 s5, s6, s8
	s_addc_u32 s6, s7, s9
	v_add_co_u32 v1, vcc_lo, s5, v1
	s_delay_alu instid0(VALU_DEP_2) | instskip(NEXT) | instid1(VALU_DEP_2)
	v_add_co_ci_u32_e32 v2, vcc_lo, s6, v2, vcc_lo
	v_add_co_u32 v1, vcc_lo, v1, v65
	s_delay_alu instid0(VALU_DEP_2)
	v_add_co_ci_u32_e32 v2, vcc_lo, 0, v2, vcc_lo
	global_load_b128 v[1:4], v[1:2], off
	s_waitcnt vmcnt(0)
	ds_store_b128 v5, v[1:4]
.LBB1331_10:
	s_or_b32 exec_lo, exec_lo, s4
	v_and_b32_e32 v1, 0xef, v0
	s_waitcnt lgkmcnt(0)
	s_add_i32 s5, s24, 31
	s_clause 0x1
	s_load_b32 s4, s[0:1], 0x38
	s_load_b32 s33, s[0:1], 0x98
	s_ashr_i32 s6, s5, 31
	v_add_nc_u32_e32 v1, s12, v1
	s_lshr_b32 s6, s6, 27
	s_load_b32 s19, s[0:1], 0x1c
	s_add_i32 s5, s5, s6
	s_waitcnt lgkmcnt(0)
	v_ashrrev_i32_e32 v2, 31, v1
	v_or_b32_e32 v3, 16, v1
	s_ashr_i32 s13, s5, 5
	v_cmp_gt_i32_e32 vcc_lo, s24, v1
	s_add_i32 s13, s13, -1
	v_lshrrev_b32_e32 v2, 27, v2
	s_barrier
	buffer_gl0_inv
	s_mul_i32 s15, s15, s18
	v_add_nc_u32_e32 v4, v1, v2
	s_mul_i32 s4, s30, s4
	s_delay_alu instid0(SALU_CYCLE_1) | instskip(NEXT) | instid1(VALU_DEP_1)
	s_ashr_i32 s5, s4, 31
	v_ashrrev_i32_e32 v4, 5, v4
	v_add_nc_u32_e32 v2, v3, v2
	s_lshl_b64 s[4:5], s[4:5], 2
	s_delay_alu instid0(SALU_CYCLE_1) | instskip(NEXT) | instid1(VALU_DEP_2)
	s_add_u32 s16, s2, s4
	v_cndmask_b32_e32 v1, s13, v4, vcc_lo
	s_delay_alu instid0(VALU_DEP_2)
	v_ashrrev_i32_e32 v2, 5, v2
	v_cmp_gt_i32_e32 vcc_lo, s24, v3
	s_addc_u32 s25, s3, s5
	s_ashr_i32 s18, s15, 31
	s_add_u32 s2, s20, s15
	s_addc_u32 s3, s21, s18
	v_cndmask_b32_e32 v3, s13, v2, vcc_lo
	v_ashrrev_i32_e32 v2, 31, v1
	s_lshl_b32 s4, s14, 3
	s_delay_alu instid0(SALU_CYCLE_1) | instskip(NEXT) | instid1(VALU_DEP_2)
	s_ashr_i32 s5, s4, 31
	v_ashrrev_i32_e32 v4, 31, v3
	s_delay_alu instid0(VALU_DEP_2) | instskip(SKIP_1) | instid1(SALU_CYCLE_1)
	v_lshlrev_b64 v[1:2], 2, v[1:2]
	s_lshl_b64 s[4:5], s[4:5], 2
	s_add_u32 s4, s16, s4
	s_delay_alu instid0(VALU_DEP_2) | instskip(SKIP_1) | instid1(VALU_DEP_2)
	v_lshlrev_b64 v[3:4], 2, v[3:4]
	s_addc_u32 s5, s25, s5
	v_add_co_u32 v1, vcc_lo, s16, v1
	v_add_co_ci_u32_e32 v2, vcc_lo, s25, v2, vcc_lo
	s_delay_alu instid0(VALU_DEP_3) | instskip(NEXT) | instid1(VALU_DEP_4)
	v_add_co_u32 v3, vcc_lo, s16, v3
	v_add_co_ci_u32_e32 v4, vcc_lo, s25, v4, vcc_lo
	s_clause 0x1
	global_load_b32 v5, v[1:2], off
	global_load_b32 v6, v[3:4], off
	s_or_b32 s6, s12, 32
	s_delay_alu instid0(SALU_CYCLE_1) | instskip(SKIP_2) | instid1(SALU_CYCLE_1)
	s_ashr_i32 s7, s6, 5
	s_cmp_lt_i32 s6, s24
	s_cselect_b32 s6, s7, s13
	s_ashr_i32 s7, s6, 31
	s_delay_alu instid0(SALU_CYCLE_1) | instskip(NEXT) | instid1(SALU_CYCLE_1)
	s_lshl_b64 s[6:7], s[6:7], 2
	s_add_u32 s6, s16, s6
	s_addc_u32 s7, s25, s7
	s_or_b32 s8, s12, 64
	s_delay_alu instid0(SALU_CYCLE_1) | instskip(SKIP_2) | instid1(SALU_CYCLE_1)
	s_ashr_i32 s9, s8, 5
	s_cmp_lt_i32 s8, s24
	s_cselect_b32 s8, s9, s13
	s_ashr_i32 s9, s8, 31
	s_delay_alu instid0(SALU_CYCLE_1) | instskip(NEXT) | instid1(SALU_CYCLE_1)
	s_lshl_b64 s[8:9], s[8:9], 2
	s_add_u32 s8, s16, s8
	s_addc_u32 s9, s25, s9
	;; [unrolled: 10-line block ×5, first 2 shown]
	s_clause 0x5
	s_load_b32 s28, s[4:5], 0x0
	s_load_b32 s29, s[6:7], 0x0
	;; [unrolled: 1-line block ×6, first 2 shown]
	s_mov_b32 s4, 0
	s_delay_alu instid0(SALU_CYCLE_1)
	s_mov_b32 s5, s4
	s_mov_b32 s6, s4
	;; [unrolled: 1-line block ×7, first 2 shown]
	s_delay_alu instid0(SALU_CYCLE_1)
	v_dual_mov_b32 v118, s11 :: v_dual_mov_b32 v117, s10
	v_dual_mov_b32 v116, s9 :: v_dual_mov_b32 v115, s8
	v_mov_b32_e32 v113, s6
	v_dual_mov_b32 v111, s4 :: v_dual_mov_b32 v114, s7
	v_mov_b32_e32 v112, s5
	s_waitcnt vmcnt(1)
	v_mad_i64_i32 v[1:2], null, v5, s17, s[2:3]
	v_lshlrev_b32_e32 v5, 4, v68
	s_waitcnt vmcnt(0)
	v_mad_i64_i32 v[3:4], null, v6, s17, s[2:3]
	s_or_b32 s2, s12, 0xc0
	s_delay_alu instid0(SALU_CYCLE_1) | instskip(NEXT) | instid1(VALU_DEP_3)
	s_ashr_i32 s3, s2, 5
	v_add_co_u32 v1, vcc_lo, v1, v5
	s_delay_alu instid0(VALU_DEP_4) | instskip(NEXT) | instid1(VALU_DEP_3)
	v_add_co_ci_u32_e32 v2, vcc_lo, 0, v2, vcc_lo
	v_add_co_u32 v3, vcc_lo, v3, v5
	s_delay_alu instid0(VALU_DEP_4)
	v_add_co_ci_u32_e32 v4, vcc_lo, 0, v4, vcc_lo
	s_clause 0xf
	global_load_b128 v[17:20], v[1:2], off
	global_load_b128 v[21:24], v[1:2], off offset:512
	global_load_b128 v[25:28], v[3:4], off offset:256
	;; [unrolled: 1-line block ×15, first 2 shown]
	v_mul_lo_u16 v1, v68, 43
	s_cmp_lt_i32 s2, s24
	v_lshlrev_b32_e32 v2, 5, v68
	s_cselect_b32 s2, s3, s13
	s_delay_alu instid0(VALU_DEP_2) | instskip(SKIP_1) | instid1(SALU_CYCLE_1)
	v_lshrrev_b16 v1, 8, v1
	s_ashr_i32 s3, s2, 31
	s_lshl_b64 s[2:3], s[2:3], 2
	s_delay_alu instid0(VALU_DEP_1) | instskip(SKIP_3) | instid1(VALU_DEP_1)
	v_mul_lo_u16 v1, v1, 6
	s_add_u32 s2, s16, s2
	s_addc_u32 s3, s25, s3
	s_or_b32 s20, s12, 0xe0
	v_sub_nc_u16 v1, v68, v1
	s_ashr_i32 s21, s20, 5
	s_cmp_lt_i32 s20, s24
	s_cselect_b32 s20, s21, s13
	s_delay_alu instid0(VALU_DEP_1) | instskip(SKIP_1) | instid1(SALU_CYCLE_1)
	v_and_b32_e32 v1, 0xff, v1
	s_ashr_i32 s21, s20, 31
	s_lshl_b64 s[4:5], s[20:21], 2
	s_delay_alu instid0(VALU_DEP_1)
	v_lshlrev_b32_e32 v149, 6, v1
	s_add_u32 s4, s16, s4
	s_addc_u32 s5, s25, s5
	v_lshl_or_b32 v1, v69, 9, v2
	ds_load_b128 v[119:122], v149
	ds_load_b128 v[123:126], v149 offset:1024
	ds_load_b128 v[127:130], v149 offset:2048
	;; [unrolled: 1-line block ×3, first 2 shown]
	s_clause 0x1
	s_load_b32 s2, s[2:3], 0x0
	s_load_b32 s3, s[4:5], 0x0
	s_add_u32 s6, s22, s15
	s_addc_u32 s7, s23, s18
	v_add_co_u32 v135, s6, s6, v1
	s_delay_alu instid0(VALU_DEP_1) | instskip(SKIP_1) | instid1(VALU_DEP_1)
	v_add_co_ci_u32_e64 v136, null, s7, 0, s6
	s_waitcnt lgkmcnt(0)
	v_mad_i64_i32 v[1:2], null, s28, s17, v[135:136]
	v_mad_i64_i32 v[3:4], null, s29, s17, v[135:136]
	;; [unrolled: 1-line block ×6, first 2 shown]
	s_clause 0x9
	global_load_b128 v[49:52], v[1:2], off
	global_load_b128 v[53:56], v[1:2], off offset:16
	global_load_b128 v[41:44], v[3:4], off
	global_load_b128 v[45:48], v[3:4], off offset:16
	;; [unrolled: 2-line block ×5, first 2 shown]
	v_mad_i64_i32 v[145:146], null, s2, s17, v[135:136]
	v_mad_i64_i32 v[147:148], null, s3, s17, v[135:136]
	s_waitcnt vmcnt(24)
	v_wmma_f32_16x16x16_f16 v[135:142], v[17:24], v[119:126], v[111:118]
	s_waitcnt vmcnt(22)
	v_wmma_f32_16x16x16_f16 v[111:118], v[25:32], v[119:126], v[111:118]
	s_clause 0x3
	global_load_b128 v[17:20], v[143:144], off
	global_load_b128 v[21:24], v[143:144], off offset:16
	global_load_b128 v[25:28], v[145:146], off
	global_load_b128 v[29:32], v[145:146], off offset:16
	v_and_b32_e32 v119, 0xe0, v0
	s_waitcnt vmcnt(24)
	v_wmma_f32_16x16x16_f16 v[135:142], v[57:64], v[127:134], v[135:142]
	s_clause 0x1
	global_load_b128 v[57:60], v[147:148], off
	global_load_b128 v[61:64], v[147:148], off offset:16
	s_waitcnt vmcnt(24)
	v_wmma_f32_16x16x16_f16 v[111:118], v[71:78], v[127:134], v[111:118]
	ds_load_b128 v[71:74], v149 offset:4096
	ds_load_b128 v[75:78], v149 offset:5120
	v_add_nc_u32_e32 v128, s12, v119
	ds_load_b128 v[119:122], v149 offset:6144
	ds_load_b128 v[123:126], v149 offset:7168
	v_mbcnt_lo_u32_b32 v127, -1, 0
	s_waitcnt vmcnt(0) lgkmcnt(0)
	s_barrier
	v_or_b32_e32 v128, v128, v66
	buffer_gl0_inv
	v_xor_b32_e32 v129, 16, v127
	v_or_b32_e32 v130, 4, v128
	v_or_b32_e32 v131, 6, v128
	s_delay_alu instid0(VALU_DEP_3) | instskip(SKIP_4) | instid1(VALU_DEP_4)
	v_cmp_gt_i32_e32 vcc_lo, 32, v129
	v_or_b32_e32 v132, 8, v128
	v_or_b32_e32 v133, 10, v128
	v_cmp_gt_i32_e64 s3, s24, v130
	v_cmp_gt_i32_e64 s4, s24, v131
	;; [unrolled: 1-line block ×3, first 2 shown]
	v_wmma_f32_16x16x16_f16 v[135:142], v[79:86], v[71:78], v[135:142]
	v_wmma_f32_16x16x16_f16 v[111:118], v[87:94], v[71:78], v[111:118]
	v_or_b32_e32 v79, 12, v128
	v_or_b32_e32 v80, 14, v128
	v_cmp_gt_i32_e64 s6, s24, v133
	v_wmma_f32_16x16x16_f16 v[135:142], v[95:102], v[119:126], v[135:142]
	v_cndmask_b32_e32 v127, v127, v129, vcc_lo
	v_or_b32_e32 v129, 2, v128
	v_wmma_f32_16x16x16_f16 v[111:118], v[103:110], v[119:126], v[111:118]
	v_cmp_gt_i32_e32 vcc_lo, s24, v128
	v_dual_mul_f32 v88, s19, v135 :: v_dual_mul_f32 v87, s19, v136
	s_delay_alu instid0(VALU_DEP_4) | instskip(NEXT) | instid1(VALU_DEP_4)
	v_cmp_gt_i32_e64 s2, s24, v129
	v_mul_f32_e32 v94, s19, v113
	v_mul_f32_e32 v78, s19, v138
	v_mul_f32_e32 v86, s19, v137
	v_cndmask_b32_e32 v88, 0xff7fffff, v88, vcc_lo
	v_cndmask_b32_e64 v87, 0xff7fffff, v87, s2
	v_dual_mul_f32 v76, s19, v140 :: v_dual_mul_f32 v77, s19, v139
	v_mul_f32_e32 v90, s19, v117
	v_cndmask_b32_e64 v86, 0xff7fffff, v86, s3
	v_cndmask_b32_e64 v78, 0xff7fffff, v78, s4
	v_max3_f32 v87, v88, 0xff7fffff, v87
	v_or_b32_e32 v81, 16, v128
	v_or_b32_e32 v82, 18, v128
	v_dual_mul_f32 v74, s19, v142 :: v_dual_mul_f32 v75, s19, v141
	v_mul_f32_e32 v92, s19, v115
	v_cndmask_b32_e64 v77, 0xff7fffff, v77, s5
	v_cndmask_b32_e64 v76, 0xff7fffff, v76, s6
	v_max3_f32 v78, v87, v86, v78
	v_cmp_gt_i32_e64 s7, s24, v79
	v_cmp_gt_i32_e64 s8, s24, v80
	v_or_b32_e32 v83, 20, v128
	v_or_b32_e32 v84, 22, v128
	v_dual_mul_f32 v89, s19, v118 :: v_dual_mul_f32 v96, s19, v111
	v_mul_f32_e32 v95, s19, v112
	v_cndmask_b32_e64 v75, 0xff7fffff, v75, s7
	v_cndmask_b32_e64 v74, 0xff7fffff, v74, s8
	v_max3_f32 v76, v78, v77, v76
	v_cmp_gt_i32_e64 s9, s24, v81
	v_cmp_gt_i32_e64 s10, s24, v82
	v_or_b32_e32 v85, 24, v128
	v_or_b32_e32 v71, 26, v128
	v_mul_f32_e32 v93, s19, v114
	v_cndmask_b32_e64 v77, 0xff7fffff, v96, s9
	v_cndmask_b32_e64 v78, 0xff7fffff, v95, s10
	v_max3_f32 v74, v76, v75, v74
	v_cmp_gt_i32_e64 s11, s24, v83
	v_cmp_gt_i32_e64 s12, s24, v84
	v_or_b32_e32 v72, 28, v128
	v_or_b32_e32 v73, 30, v128
	v_mul_f32_e32 v91, s19, v116
	v_cndmask_b32_e64 v75, 0xff7fffff, v94, s11
	v_cndmask_b32_e64 v76, 0xff7fffff, v93, s12
	v_max3_f32 v74, v74, v77, v78
	v_cmp_gt_i32_e64 s13, s24, v85
	v_cmp_gt_i32_e64 s15, s24, v71
	;; [unrolled: 1-line block ×4, first 2 shown]
	v_max3_f32 v74, v74, v75, v76
	v_cndmask_b32_e64 v77, 0xff7fffff, v92, s13
	v_cndmask_b32_e64 v71, 0xff7fffff, v91, s15
	v_cndmask_b32_e64 v72, 0xff7fffff, v90, s16
	v_cndmask_b32_e64 v73, 0xff7fffff, v89, s17
	s_delay_alu instid0(VALU_DEP_3) | instskip(SKIP_1) | instid1(VALU_DEP_2)
	v_max3_f32 v71, v74, v77, v71
	v_lshlrev_b32_e32 v74, 2, v127
	v_max3_f32 v71, v71, v72, v73
	ds_bpermute_b32 v72, v74, v71
	s_waitcnt lgkmcnt(0)
	v_max_f32_e32 v72, v72, v72
	s_delay_alu instid0(VALU_DEP_1) | instskip(NEXT) | instid1(VALU_DEP_1)
	v_max_f32_e32 v71, v71, v72
	v_fma_f32 v75, s19, v137, -v71
	v_fma_f32 v76, s19, v138, -v71
	v_fma_f32 v72, s19, v135, -v71
	v_fma_f32 v80, s19, v141, -v71
	v_fma_f32 v73, s19, v136, -v71
	s_delay_alu instid0(VALU_DEP_4) | instskip(NEXT) | instid1(VALU_DEP_4)
	v_dual_mul_f32 v75, 0x3fb8aa3b, v75 :: v_dual_mul_f32 v76, 0x3fb8aa3b, v76
	v_mul_f32_e32 v72, 0x3fb8aa3b, v72
	v_fma_f32 v77, s19, v139, -v71
	s_delay_alu instid0(VALU_DEP_4) | instskip(NEXT) | instid1(VALU_DEP_4)
	v_mul_f32_e32 v73, 0x3fb8aa3b, v73
	v_exp_f32_e32 v75, v75
	v_exp_f32_e32 v76, v76
	;; [unrolled: 1-line block ×3, first 2 shown]
	s_delay_alu instid0(VALU_DEP_1) | instskip(SKIP_2) | instid1(TRANS32_DEP_3)
	v_exp_f32_e32 v73, v73
	v_cndmask_b32_e64 v81, 0, v75, s3
	v_mul_f32_e32 v82, 0x3fb8aa3b, v80
	v_cndmask_b32_e64 v80, 0, v76, s4
	s_waitcnt_depctr 0xfff
	v_cndmask_b32_e64 v78, 0, v73, s2
	s_mov_b32 s2, exec_lo
	v_exp_f32_e32 v84, v82
	s_waitcnt_depctr 0xfff
	v_cndmask_b32_e64 v85, 0, v84, s7
	v_cndmask_b32_e32 v79, 0, v72, vcc_lo
	v_fma_f32 v72, s19, v140, -v71
	v_mul_f32_e32 v77, 0x3fb8aa3b, v77
	s_delay_alu instid0(VALU_DEP_2) | instskip(NEXT) | instid1(VALU_DEP_2)
	v_dual_add_f32 v73, 0, v79 :: v_dual_mul_f32 v72, 0x3fb8aa3b, v72
	v_exp_f32_e32 v77, v77
	s_delay_alu instid0(VALU_DEP_1) | instskip(NEXT) | instid1(VALU_DEP_2)
	v_add_f32_e32 v73, v73, v78
	v_exp_f32_e32 v72, v72
	s_delay_alu instid0(VALU_DEP_1) | instskip(SKIP_4) | instid1(VALU_DEP_2)
	v_add_f32_e32 v73, v73, v81
	s_waitcnt_depctr 0xfff
	v_cndmask_b32_e64 v83, 0, v77, s5
	v_add_f32_e32 v73, v73, v80
	v_cndmask_b32_e64 v82, 0, v72, s6
	v_add_f32_e32 v72, v73, v83
	s_delay_alu instid0(VALU_DEP_1)
	v_add_f32_e32 v72, v72, v82
	v_fma_f32 v75, s19, v142, -v71
	v_fma_f32 v76, s19, v111, -v71
	;; [unrolled: 1-line block ×5, first 2 shown]
	s_delay_alu instid0(VALU_DEP_4) | instskip(NEXT) | instid1(VALU_DEP_4)
	v_dual_mul_f32 v75, 0x3fb8aa3b, v75 :: v_dual_mul_f32 v76, 0x3fb8aa3b, v76
	v_mul_f32_e32 v86, 0x3fb8aa3b, v86
	v_add_f32_e32 v72, v72, v85
	s_delay_alu instid0(VALU_DEP_3) | instskip(NEXT) | instid1(VALU_DEP_3)
	v_exp_f32_e32 v75, v75
	v_exp_f32_e32 v76, v76
	s_delay_alu instid0(VALU_DEP_2) | instskip(NEXT) | instid1(TRANS32_DEP_3)
	v_exp_f32_e32 v88, v86
	v_cndmask_b32_e64 v84, 0, v75, s8
	v_mul_f32_e32 v77, 0x3fb8aa3b, v77
	s_waitcnt_depctr 0xfff
	v_cndmask_b32_e64 v87, 0, v76, s9
	v_fma_f32 v76, s19, v116, -v71
	v_dual_mul_f32 v73, 0x3fb8aa3b, v73 :: v_dual_add_f32 v72, v72, v84
	v_exp_f32_e32 v77, v77
	v_fma_f32 v75, s19, v115, -v71
	s_delay_alu instid0(VALU_DEP_3) | instskip(NEXT) | instid1(VALU_DEP_3)
	v_mul_f32_e32 v76, 0x3fb8aa3b, v76
	v_exp_f32_e32 v73, v73
	v_add_f32_e32 v72, v72, v87
	v_cndmask_b32_e64 v88, 0, v88, s12
	s_delay_alu instid0(VALU_DEP_3) | instskip(NEXT) | instid1(TRANS32_DEP_3)
	v_exp_f32_e32 v76, v76
	v_cndmask_b32_e64 v86, 0, v77, s10
	v_mul_f32_e32 v75, 0x3fb8aa3b, v75
	v_fma_f32 v77, s19, v117, -v71
	s_delay_alu instid0(TRANS32_DEP_2) | instskip(NEXT) | instid1(VALU_DEP_4)
	v_cndmask_b32_e64 v89, 0, v73, s11
	v_add_f32_e32 v72, v72, v86
	s_delay_alu instid0(VALU_DEP_4) | instskip(NEXT) | instid1(TRANS32_DEP_2)
	v_exp_f32_e32 v75, v75
	v_cndmask_b32_e64 v90, 0, v76, s15
	s_delay_alu instid0(VALU_DEP_2) | instskip(SKIP_2) | instid1(VALU_DEP_3)
	v_add_f32_e32 v72, v72, v89
	v_mul_f32_e32 v73, 0x3fb8aa3b, v77
	v_fma_f32 v77, s19, v118, -v71
	v_add_f32_e32 v72, v72, v88
	s_delay_alu instid0(VALU_DEP_3) | instskip(NEXT) | instid1(TRANS32_DEP_2)
	v_exp_f32_e32 v73, v73
	v_cndmask_b32_e64 v91, 0, v75, s13
	s_delay_alu instid0(VALU_DEP_1) | instskip(NEXT) | instid1(VALU_DEP_1)
	v_dual_mul_f32 v75, 0x3fb8aa3b, v77 :: v_dual_add_f32 v72, v72, v91
	v_exp_f32_e32 v75, v75
	s_waitcnt_depctr 0xfff
	v_cndmask_b32_e64 v93, 0, v73, s16
	v_add_f32_e32 v72, v72, v90
	s_delay_alu instid0(VALU_DEP_1) | instskip(SKIP_1) | instid1(VALU_DEP_1)
	v_add_f32_e32 v72, v72, v93
	v_cndmask_b32_e64 v92, 0, v75, s17
	v_add_f32_e32 v72, v72, v92
	ds_bpermute_b32 v73, v74, v72
	v_cmpx_gt_u32_e32 16, v70
	s_cbranch_execz .LBB1331_12
; %bb.11:
	v_mul_u32_u24_e32 v70, 0x44, v69
	s_waitcnt lgkmcnt(0)
	v_add_f32_e32 v72, v72, v73
	s_delay_alu instid0(VALU_DEP_2) | instskip(NEXT) | instid1(VALU_DEP_1)
	v_lshl_add_u32 v70, v68, 2, v70
	v_add_nc_u32_e32 v70, 0x4000, v70
	ds_store_2addr_b32 v70, v71, v72 offset1:136
.LBB1331_12:
	s_or_b32 exec_lo, exec_lo, s2
	v_lshlrev_b32_e32 v70, 2, v68
	s_load_b32 s34, s[0:1], 0x94
	s_waitcnt lgkmcnt(0)
	s_barrier
	buffer_gl0_inv
	v_add_nc_u32_e32 v98, 0x4000, v70
	v_cmp_eq_u32_e32 vcc_lo, 1, v69
	v_cmp_eq_u32_e64 s2, 2, v69
	v_cmp_eq_u32_e64 s3, 3, v69
	;; [unrolled: 1-line block ×3, first 2 shown]
	ds_load_2addr_b32 v[70:71], v98 offset1:17
	ds_load_2addr_b32 v[72:73], v98 offset0:34 offset1:51
	ds_load_2addr_b32 v[74:75], v98 offset0:68 offset1:85
	;; [unrolled: 1-line block ×3, first 2 shown]
	v_cmp_eq_u32_e64 s5, 5, v69
	v_cmp_eq_u32_e64 s6, 7, v69
	s_waitcnt lgkmcnt(3)
	v_max3_f32 v76, v70, 0xff7fffff, v71
	s_waitcnt lgkmcnt(2)
	s_delay_alu instid0(VALU_DEP_1) | instskip(SKIP_1) | instid1(VALU_DEP_1)
	v_max3_f32 v76, v76, v72, v73
	s_waitcnt lgkmcnt(1)
	v_max3_f32 v76, v76, v74, v75
	s_waitcnt lgkmcnt(0)
	s_delay_alu instid0(VALU_DEP_1) | instskip(NEXT) | instid1(VALU_DEP_1)
	v_max3_f32 v76, v76, v94, v95
	v_sub_f32_e32 v77, v71, v76
	ds_load_2addr_b32 v[96:97], v98 offset0:136 offset1:153
	v_sub_f32_e32 v74, v74, v76
	v_sub_f32_e32 v70, v70, v76
	v_sub_f32_e32 v94, v94, v76
	v_dual_sub_f32 v72, v72, v76 :: v_dual_mul_f32 v77, 0x3fb8aa3b, v77
	s_delay_alu instid0(VALU_DEP_4) | instskip(NEXT) | instid1(VALU_DEP_4)
	v_mul_f32_e32 v103, 0x3fb8aa3b, v74
	v_mul_f32_e32 v99, 0x3fb8aa3b, v70
	ds_load_2addr_b32 v[70:71], v98 offset0:170 offset1:187
	v_dual_mul_f32 v101, 0x3fb8aa3b, v72 :: v_dual_mul_f32 v94, 0x3fb8aa3b, v94
	v_exp_f32_e32 v102, v77
	v_exp_f32_e32 v99, v99
	s_delay_alu instid0(VALU_DEP_1) | instskip(NEXT) | instid1(VALU_DEP_1)
	v_exp_f32_e32 v101, v101
	v_exp_f32_e32 v94, v94
	s_waitcnt lgkmcnt(1)
	s_delay_alu instid0(TRANS32_DEP_3)
	v_fma_f32 v77, v99, v96, 0
	v_sub_f32_e32 v100, v73, v76
	ds_load_2addr_b32 v[72:73], v98 offset0:204 offset1:221
	v_fmac_f32_e32 v77, v102, v97
	v_exp_f32_e32 v97, v103
	s_waitcnt lgkmcnt(1)
	s_delay_alu instid0(VALU_DEP_1)
	v_dual_fmac_f32 v77, v101, v70 :: v_dual_sub_f32 v96, v75, v76
	ds_load_2addr_b32 v[74:75], v98 offset0:238 offset1:255
	v_sub_f32_e32 v70, v95, v76
	s_waitcnt lgkmcnt(0)
	s_barrier
	v_mul_f32_e32 v96, 0x3fb8aa3b, v96
	buffer_gl0_inv
	v_exp_f32_e32 v95, v96
	v_mul_f32_e32 v100, 0x3fb8aa3b, v100
	s_delay_alu instid0(VALU_DEP_1) | instskip(SKIP_3) | instid1(VALU_DEP_2)
	v_exp_f32_e32 v100, v100
	s_waitcnt_depctr 0xfff
	v_dual_fmac_f32 v77, v100, v71 :: v_dual_mul_f32 v70, 0x3fb8aa3b, v70
	v_cndmask_b32_e32 v71, v99, v102, vcc_lo
	v_fmac_f32_e32 v77, v97, v72
	s_delay_alu instid0(VALU_DEP_3) | instskip(NEXT) | instid1(VALU_DEP_1)
	v_exp_f32_e32 v96, v70
	v_fmac_f32_e32 v77, v95, v73
	s_delay_alu instid0(VALU_DEP_1) | instskip(SKIP_2) | instid1(VALU_DEP_1)
	v_fmac_f32_e32 v77, v94, v74
	s_waitcnt_depctr 0xfff
	v_fmac_f32_e32 v77, v96, v75
	v_add_f32_e32 v74, 0x358637bd, v77
	s_delay_alu instid0(VALU_DEP_1) | instskip(SKIP_1) | instid1(VALU_DEP_2)
	v_div_scale_f32 v98, null, v74, v74, 1.0
	v_div_scale_f32 v99, vcc_lo, 1.0, v74, 1.0
	v_rcp_f32_e32 v103, v98
	s_waitcnt_depctr 0xfff
	v_fma_f32 v70, -v98, v103, 1.0
	s_delay_alu instid0(VALU_DEP_1) | instskip(SKIP_2) | instid1(VALU_DEP_2)
	v_fmac_f32_e32 v103, v70, v103
	v_cndmask_b32_e64 v70, v71, v101, s2
	v_cmp_eq_u32_e64 s2, 6, v69
	v_cndmask_b32_e64 v71, v70, v100, s3
	s_delay_alu instid0(VALU_DEP_4) | instskip(NEXT) | instid1(VALU_DEP_2)
	v_dual_mul_f32 v101, v99, v103 :: v_dual_lshlrev_b32 v70, 2, v66
	v_cndmask_b32_e64 v71, v71, v97, s4
	s_delay_alu instid0(VALU_DEP_2) | instskip(NEXT) | instid1(VALU_DEP_3)
	v_or_b32_e32 v72, 1, v70
	v_fma_f32 v100, -v98, v101, v99
	v_cmp_eq_u32_e64 s3, 1, v70
	v_cmp_eq_u32_e64 s4, 2, v70
	v_cndmask_b32_e64 v95, v71, v95, s5
	v_or_b32_e32 v71, 3, v70
	v_fmac_f32_e32 v101, v100, v103
	v_cmp_eq_u32_e64 s8, 1, v72
	v_cmp_eq_u32_e64 s11, 2, v72
	v_cndmask_b32_e64 v94, v95, v94, s2
	v_cmp_eq_u32_e64 s10, 1, v71
	v_fma_f32 v97, -v98, v101, v99
	v_cmp_eq_u32_e64 s15, 2, v71
	v_cmp_eq_u32_e64 s12, 3, v72
	v_cndmask_b32_e64 v94, v94, v96, s6
	v_cmp_eq_u32_e64 s17, 3, v71
	v_div_fmas_f32 v95, v97, v103, v101
	v_cmp_eq_u32_e32 vcc_lo, 3, v70
	v_cmp_eq_u32_e64 s2, 4, v70
	v_cmp_eq_u32_e64 s18, 4, v72
	;; [unrolled: 1-line block ×3, first 2 shown]
	v_div_fixup_f32 v95, v95, v74, 1.0
	v_lshlrev_b32_e32 v73, 6, v68
	v_cmp_eq_u32_e64 s5, 5, v70
	v_cmp_eq_u32_e64 s19, 5, v72
	v_cmp_eq_u32_e64 s23, 5, v71
	v_mul_f32_e32 v102, v94, v95
	v_lshl_or_b32 v75, v69, 11, v73
	v_or_b32_e32 v69, 2, v70
	v_cmp_eq_u32_e64 s24, 6, v72
	v_cmp_eq_u32_e64 s26, 6, v71
	v_fma_mixlo_f16 v94, v102, v79, 0
	v_fma_mixlo_f16 v95, v102, v81, 0
	;; [unrolled: 1-line block ×8, first 2 shown]
	v_lshl_or_b32 v74, v66, 4, v75
	v_fma_mixhi_f16 v94, v102, v78, 0
	v_fma_mixhi_f16 v95, v102, v80, 0
	;; [unrolled: 1-line block ×8, first 2 shown]
	ds_store_b128 v74, v[94:97]
	ds_store_b128 v74, v[98:101] offset:1024
	s_waitcnt lgkmcnt(0)
	s_barrier
	buffer_gl0_inv
	ds_load_b128 v[78:81], v75
	ds_load_b128 v[82:85], v75 offset:16
	ds_load_b128 v[86:89], v75 offset:1024
	;; [unrolled: 1-line block ×3, first 2 shown]
	v_cmp_eq_u32_e64 s9, 1, v69
	v_cmp_eq_u32_e64 s13, 2, v69
	;; [unrolled: 1-line block ×11, first 2 shown]
	s_waitcnt lgkmcnt(3)
	v_lshrrev_b32_e32 v94, 16, v78
	s_waitcnt lgkmcnt(2)
	v_lshrrev_b32_e32 v98, 16, v82
	s_waitcnt lgkmcnt(1)
	v_lshrrev_b32_e32 v102, 16, v86
	s_waitcnt lgkmcnt(0)
	v_lshrrev_b32_e32 v106, 16, v90
	v_lshrrev_b32_e32 v95, 16, v79
	v_cndmask_b32_e64 v110, v78, v94, s3
	v_cndmask_b32_e64 v111, v82, v98, s3
	;; [unrolled: 1-line block ×8, first 2 shown]
	v_lshrrev_b32_e32 v99, 16, v83
	v_cndmask_b32_e64 v94, v86, v102, s3
	v_cndmask_b32_e64 v98, v90, v106, s3
	;; [unrolled: 1-line block ×15, first 2 shown]
	v_lshrrev_b32_e32 v103, 16, v87
	v_lshrrev_b32_e32 v107, 16, v91
	v_cndmask_b32_e64 v113, v115, v83, s13
	v_cndmask_b32_e64 v82, v94, v87, s4
	;; [unrolled: 1-line block ×7, first 2 shown]
	v_cndmask_b32_e32 v90, v102, v95, vcc_lo
	v_cndmask_b32_e32 v102, v106, v99, vcc_lo
	v_cndmask_b32_e64 v106, v110, v95, s12
	v_cndmask_b32_e64 v110, v111, v99, s12
	;; [unrolled: 1-line block ×4, first 2 shown]
	v_lshrrev_b32_e32 v96, 16, v80
	v_lshrrev_b32_e32 v100, 16, v84
	v_cndmask_b32_e64 v111, v112, v95, s16
	v_cndmask_b32_e64 v112, v113, v99, s16
	v_cndmask_b32_e32 v82, v82, v103, vcc_lo
	v_cndmask_b32_e32 v83, v83, v107, vcc_lo
	v_cndmask_b32_e64 v94, v94, v103, s12
	v_cndmask_b32_e64 v90, v90, v80, s2
	;; [unrolled: 1-line block ×7, first 2 shown]
	v_lshrrev_b32_e32 v104, 16, v88
	v_cndmask_b32_e64 v106, v111, v80, s20
	v_cndmask_b32_e64 v110, v112, v84, s20
	;; [unrolled: 1-line block ×11, first 2 shown]
	v_lshrrev_b32_e32 v97, 16, v81
	v_lshrrev_b32_e32 v101, 16, v85
	v_cndmask_b32_e64 v99, v106, v96, s22
	v_cndmask_b32_e64 v102, v110, v100, s22
	;; [unrolled: 1-line block ×7, first 2 shown]
	v_lshrrev_b32_e32 v105, 16, v89
	v_cndmask_b32_e64 v80, v80, v104, s5
	v_cndmask_b32_e64 v84, v84, v81, s6
	;; [unrolled: 1-line block ×16, first 2 shown]
	v_perm_b32 v81, v79, v78, 0x5040100
	v_perm_b32 v79, v95, v85, 0x5040100
	v_cndmask_b32_e64 v78, v119, v91, s13
	v_cndmask_b32_e64 v85, v117, v91, s11
	;; [unrolled: 1-line block ×3, first 2 shown]
	v_perm_b32 v80, v94, v90, 0x5040100
	v_cndmask_b32_e64 v90, v98, v103, s16
	v_cndmask_b32_e64 v86, v86, v103, s17
	;; [unrolled: 1-line block ×5, first 2 shown]
	v_lshrrev_b32_e32 v108, 16, v92
	v_cndmask_b32_e64 v90, v90, v88, s20
	v_cndmask_b32_e64 v86, v86, v88, s21
	;; [unrolled: 1-line block ×11, first 2 shown]
	v_lshrrev_b32_e32 v109, 16, v93
	v_cndmask_b32_e64 v82, v82, v93, s6
	v_cndmask_b32_e64 v88, v88, v89, s25
	;; [unrolled: 1-line block ×12, first 2 shown]
	v_perm_b32 v78, v84, v83, 0x5040100
	v_perm_b32 v85, v87, v86, 0x5040100
	v_perm_b32 v84, v89, v88, 0x5040100
	v_perm_b32 v83, v90, v97, 0x5040100
	v_perm_b32 v82, v82, v96, 0x5040100
	s_mul_i32 s7, s33, 6
	s_mov_b32 s2, exec_lo
	ds_store_b128 v74, v[78:81]
	ds_store_b128 v74, v[82:85] offset:1024
	v_cmpx_gt_u32_e32 6, v0
	s_cbranch_execz .LBB1331_14
; %bb.13:
	s_mul_i32 s3, s7, s30
	s_load_b128 s[8:11], s[0:1], 0x58
	v_add3_u32 v68, s3, s31, v68
	s_delay_alu instid0(VALU_DEP_1) | instskip(NEXT) | instid1(VALU_DEP_1)
	v_mad_u64_u32 v[78:79], null, v68, s34, s[14:15]
	v_ashrrev_i32_e32 v79, 31, v78
	s_delay_alu instid0(VALU_DEP_1) | instskip(SKIP_1) | instid1(VALU_DEP_1)
	v_lshlrev_b64 v[78:79], 2, v[78:79]
	s_waitcnt lgkmcnt(0)
	v_add_co_u32 v80, vcc_lo, s10, v78
	s_delay_alu instid0(VALU_DEP_2)
	v_add_co_ci_u32_e32 v81, vcc_lo, s11, v79, vcc_lo
	v_add_co_u32 v78, vcc_lo, s8, v78
	v_add_co_ci_u32_e32 v79, vcc_lo, s9, v79, vcc_lo
	global_store_b32 v[80:81], v76, off
	global_store_b32 v[78:79], v77, off
.LBB1331_14:
	s_or_b32 exec_lo, exec_lo, s2
	s_waitcnt lgkmcnt(0)
	s_waitcnt_vscnt null, 0x0
	s_barrier
	buffer_gl0_inv
	ds_load_b128 v[84:87], v73
	ds_load_b128 v[88:91], v73 offset:16
	ds_load_b128 v[96:99], v73 offset:2064
	;; [unrolled: 1-line block ×5, first 2 shown]
	v_cmp_eq_u32_e32 vcc_lo, 1, v70
	v_mov_b32_e32 v76, 0
	ds_load_b128 v[112:115], v73 offset:6160
	ds_load_b128 v[108:111], v73 offset:6144
	;; [unrolled: 1-line block ×4, first 2 shown]
	v_cmp_eq_u32_e64 s3, 1, v69
	v_cmp_eq_u32_e64 s2, 1, v72
	;; [unrolled: 1-line block ×3, first 2 shown]
	v_mov_b32_e32 v77, v76
	v_mov_b32_e32 v78, v76
	;; [unrolled: 1-line block ×7, first 2 shown]
	v_cmp_eq_u32_e64 s5, 3, v72
	v_cmp_eq_u32_e64 s6, 7, v72
	s_waitcnt lgkmcnt(8)
	s_delay_alu instid0(VALU_DEP_3)
	v_wmma_f32_16x16x16_f16 v[76:83], v[49:56], v[84:91], v[76:83]
	ds_load_b128 v[53:56], v73 offset:10256
	ds_load_b128 v[49:52], v73 offset:10240
	s_waitcnt lgkmcnt(8)
	v_wmma_f32_16x16x16_f16 v[76:83], v[41:48], v[92:99], v[76:83]
	ds_load_b128 v[45:48], v73 offset:12304
	ds_load_b128 v[41:44], v73 offset:12288
	s_waitcnt lgkmcnt(8)
	;; [unrolled: 4-line block ×3, first 2 shown]
	s_barrier
	buffer_gl0_inv
	v_wmma_f32_16x16x16_f16 v[76:83], v[1:8], v[108:115], v[76:83]
	s_delay_alu instid0(VALU_DEP_1) | instskip(NEXT) | instid1(VALU_DEP_1)
	v_wmma_f32_16x16x16_f16 v[76:83], v[9:16], v[116:123], v[76:83]
	v_wmma_f32_16x16x16_f16 v[76:83], v[17:24], v[49:56], v[76:83]
	s_delay_alu instid0(VALU_DEP_1) | instskip(NEXT) | instid1(VALU_DEP_1)
	v_wmma_f32_16x16x16_f16 v[76:83], v[25:32], v[41:48], v[76:83]
	v_wmma_f32_16x16x16_f16 v[76:83], v[57:64], v[33:40], v[76:83]
	s_delay_alu instid0(VALU_DEP_1) | instskip(NEXT) | instid1(VALU_DEP_2)
	v_cvt_f16_f32_e32 v1, v76
	v_cvt_f16_f32_e32 v2, v77
	s_delay_alu instid0(VALU_DEP_3) | instskip(NEXT) | instid1(VALU_DEP_4)
	v_cvt_f16_f32_e32 v3, v78
	v_cvt_f16_f32_e32 v4, v79
	;; [unrolled: 1-line block ×6, first 2 shown]
	v_pack_b32_f16 v1, v1, v2
	v_pack_b32_f16 v2, v3, v4
	;; [unrolled: 1-line block ×3, first 2 shown]
	s_delay_alu instid0(VALU_DEP_4)
	v_pack_b32_f16 v4, v7, v8
	ds_store_b128 v74, v[1:4]
	s_waitcnt lgkmcnt(0)
	s_barrier
	buffer_gl0_inv
	ds_load_b128 v[1:4], v75
	ds_load_b128 v[5:8], v75 offset:16
	s_waitcnt lgkmcnt(1)
	v_lshrrev_b32_e32 v9, 16, v1
	s_waitcnt lgkmcnt(0)
	v_lshrrev_b32_e32 v13, 16, v5
	v_lshrrev_b32_e32 v10, 16, v2
	;; [unrolled: 1-line block ×4, first 2 shown]
	v_cndmask_b32_e32 v17, v1, v9, vcc_lo
	v_cndmask_b32_e32 v18, v5, v13, vcc_lo
	v_cndmask_b32_e64 v21, v1, v9, s3
	v_cmp_eq_u32_e32 vcc_lo, 1, v71
	v_cndmask_b32_e64 v22, v5, v13, s3
	v_cmp_eq_u32_e64 s3, 2, v70
	v_cndmask_b32_e64 v19, v1, v9, s2
	v_cndmask_b32_e64 v20, v5, v13, s2
	v_cndmask_b32_e32 v1, v1, v9, vcc_lo
	v_cmp_eq_u32_e64 s2, 2, v71
	v_cndmask_b32_e32 v5, v5, v13, vcc_lo
	v_cndmask_b32_e64 v9, v17, v2, s3
	v_cmp_eq_u32_e32 vcc_lo, 3, v70
	v_cndmask_b32_e64 v13, v18, v6, s3
	v_cmp_eq_u32_e64 s3, 2, v69
	v_cndmask_b32_e64 v17, v19, v2, s4
	v_cndmask_b32_e64 v18, v20, v6, s4
	v_cmp_eq_u32_e64 s4, 3, v69
	v_cndmask_b32_e64 v1, v1, v2, s2
	v_cndmask_b32_e64 v19, v21, v2, s3
	;; [unrolled: 1-line block ×4, first 2 shown]
	v_cndmask_b32_e32 v5, v9, v10, vcc_lo
	v_cndmask_b32_e32 v6, v13, v14, vcc_lo
	v_cmp_eq_u32_e32 vcc_lo, 3, v71
	v_cndmask_b32_e64 v9, v17, v10, s5
	v_cndmask_b32_e64 v13, v18, v14, s5
	;; [unrolled: 1-line block ×3, first 2 shown]
	v_cmp_eq_u32_e64 s3, 4, v70
	v_cndmask_b32_e32 v1, v1, v10, vcc_lo
	v_cndmask_b32_e32 v2, v2, v14, vcc_lo
	v_cmp_eq_u32_e32 vcc_lo, 4, v72
	v_lshrrev_b32_e32 v15, 16, v7
	v_lshrrev_b32_e32 v16, 16, v8
	v_cndmask_b32_e64 v17, v19, v10, s4
	v_cmp_eq_u32_e64 s2, 4, v71
	v_cndmask_b32_e64 v5, v5, v3, s3
	v_cndmask_b32_e64 v6, v6, v7, s3
	v_cndmask_b32_e32 v9, v9, v3, vcc_lo
	v_cmp_eq_u32_e64 s3, 5, v72
	v_cndmask_b32_e32 v10, v13, v7, vcc_lo
	v_cmp_eq_u32_e32 vcc_lo, 4, v69
	v_cmp_eq_u32_e64 s4, 5, v70
	v_cndmask_b32_e64 v2, v2, v7, s2
	v_cndmask_b32_e64 v9, v9, v11, s3
	;; [unrolled: 1-line block ×3, first 2 shown]
	v_cndmask_b32_e32 v13, v17, v3, vcc_lo
	v_cmp_eq_u32_e64 s3, 5, v69
	v_cndmask_b32_e32 v14, v18, v7, vcc_lo
	v_cndmask_b32_e64 v1, v1, v3, s2
	v_cmp_eq_u32_e32 vcc_lo, 5, v71
	v_lshrrev_b32_e32 v12, 16, v4
	v_cndmask_b32_e64 v13, v13, v11, s3
	v_cndmask_b32_e64 v3, v14, v15, s3
	v_cmp_eq_u32_e64 s3, 6, v71
	v_cndmask_b32_e32 v1, v1, v11, vcc_lo
	v_cndmask_b32_e64 v5, v5, v11, s4
	v_cmp_eq_u32_e64 s5, 6, v70
	v_cndmask_b32_e64 v6, v6, v15, s4
	v_cmp_eq_u32_e64 s4, 6, v72
	v_cmp_eq_u32_e64 s2, 6, v69
	v_cndmask_b32_e64 v1, v1, v4, s3
	v_cndmask_b32_e32 v2, v2, v15, vcc_lo
	v_cmp_eq_u32_e32 vcc_lo, 7, v71
	v_cndmask_b32_e64 v5, v5, v4, s5
	v_cndmask_b32_e64 v9, v9, v4, s4
	;; [unrolled: 1-line block ×3, first 2 shown]
	v_cmp_eq_u32_e64 s5, 7, v70
	v_cndmask_b32_e32 v1, v1, v12, vcc_lo
	v_cndmask_b32_e64 v7, v13, v4, s2
	v_cndmask_b32_e64 v3, v3, v8, s2
	;; [unrolled: 1-line block ×3, first 2 shown]
	v_cmp_eq_u32_e64 s2, 7, v69
	v_cndmask_b32_e64 v4, v10, v8, s4
	v_cndmask_b32_e64 v5, v5, v12, s5
	;; [unrolled: 1-line block ×3, first 2 shown]
	v_cndmask_b32_e32 v2, v2, v16, vcc_lo
	v_cndmask_b32_e64 v7, v7, v12, s2
	v_cndmask_b32_e64 v3, v3, v16, s2
	;; [unrolled: 1-line block ×4, first 2 shown]
	v_perm_b32 v4, v2, v1, 0x5040100
	s_mov_b32 s2, exec_lo
	v_perm_b32 v3, v3, v7, 0x5040100
	v_perm_b32 v2, v8, v9, 0x5040100
	;; [unrolled: 1-line block ×3, first 2 shown]
	ds_store_b128 v74, v[1:4]
	s_waitcnt lgkmcnt(0)
	s_barrier
	buffer_gl0_inv
	v_cmpx_gt_u32_e32 32, v0
	s_cbranch_execz .LBB1331_2
; %bb.15:
	s_load_b64 s[0:1], s[0:1], 0x68
	s_lshl_b32 s4, s34, 7
	v_or_b32_e32 v3, s31, v66
	s_mul_i32 s2, s4, s30
	v_lshlrev_b32_e32 v0, 10, v0
	s_mul_i32 s2, s2, s7
	v_lshlrev_b32_e32 v1, 4, v67
	s_ashr_i32 s3, s2, 31
	v_mul_lo_u32 v12, v3, s4
	s_lshl_b64 s[2:3], s[2:3], 1
	v_lshlrev_b32_e32 v2, 6, v66
	v_and_b32_e32 v0, 0x3800, v0
	s_delay_alu instid0(VALU_DEP_1) | instskip(NEXT) | instid1(VALU_DEP_4)
	v_or3_b32 v8, v0, v1, v2
	v_ashrrev_i32_e32 v13, 31, v12
	ds_load_b128 v[0:3], v8
	ds_load_b128 v[4:7], v8 offset:128
	ds_load_b128 v[8:11], v8 offset:256
	s_waitcnt lgkmcnt(0)
	s_add_u32 s2, s0, s2
	s_addc_u32 s3, s1, s3
	s_lshl_b32 s0, s14, 7
	s_delay_alu instid0(SALU_CYCLE_1) | instskip(NEXT) | instid1(SALU_CYCLE_1)
	s_ashr_i32 s1, s0, 31
	s_lshl_b64 s[0:1], s[0:1], 1
	s_delay_alu instid0(SALU_CYCLE_1)
	s_add_u32 s0, s2, s0
	s_addc_u32 s1, s3, s1
	s_lshl_b32 s2, s34, 8
	v_add_co_u32 v18, s0, s0, v65
	v_add_nc_u32_e32 v14, s2, v12
	v_lshlrev_b64 v[12:13], 1, v[12:13]
	v_add_co_ci_u32_e64 v19, null, s1, 0, s0
	s_delay_alu instid0(VALU_DEP_3) | instskip(SKIP_1) | instid1(VALU_DEP_4)
	v_add_nc_u32_e32 v16, s2, v14
	v_ashrrev_i32_e32 v15, 31, v14
	v_add_co_u32 v12, vcc_lo, v18, v12
	s_delay_alu instid0(VALU_DEP_4) | instskip(NEXT) | instid1(VALU_DEP_4)
	v_add_co_ci_u32_e32 v13, vcc_lo, v19, v13, vcc_lo
	v_ashrrev_i32_e32 v17, 31, v16
	s_delay_alu instid0(VALU_DEP_4) | instskip(NEXT) | instid1(VALU_DEP_2)
	v_lshlrev_b64 v[14:15], 1, v[14:15]
	v_lshlrev_b64 v[16:17], 1, v[16:17]
	s_delay_alu instid0(VALU_DEP_2) | instskip(NEXT) | instid1(VALU_DEP_3)
	v_add_co_u32 v14, vcc_lo, v18, v14
	v_add_co_ci_u32_e32 v15, vcc_lo, v19, v15, vcc_lo
	s_delay_alu instid0(VALU_DEP_3) | instskip(NEXT) | instid1(VALU_DEP_4)
	v_add_co_u32 v16, vcc_lo, v18, v16
	v_add_co_ci_u32_e32 v17, vcc_lo, v19, v17, vcc_lo
	s_clause 0x2
	global_store_b128 v[12:13], v[0:3], off
	global_store_b128 v[14:15], v[4:7], off
	;; [unrolled: 1-line block ×3, first 2 shown]
	s_nop 0
	s_sendmsg sendmsg(MSG_DEALLOC_VGPRS)
	s_endpgm
	.section	.rodata,"a",@progbits
	.p2align	6, 0x0
	.amdhsa_kernel _Z39paged_attention_ll4mi_QKV_mfma16_kernelIDF16_hLN4vllm18Fp8KVCacheDataTypeE1EDF16_Li32ELi128ELi256ELb0ELi6EL8MFMAType0EEvPKT_PKT0_S8_ifPKiSA_SA_iPKfiiiPfSD_PS3_PT2_iSC_SC_
		.amdhsa_group_segment_fixed_size 17472
		.amdhsa_private_segment_fixed_size 0
		.amdhsa_kernarg_size 400
		.amdhsa_user_sgpr_count 13
		.amdhsa_user_sgpr_dispatch_ptr 0
		.amdhsa_user_sgpr_queue_ptr 0
		.amdhsa_user_sgpr_kernarg_segment_ptr 1
		.amdhsa_user_sgpr_dispatch_id 0
		.amdhsa_user_sgpr_private_segment_size 0
		.amdhsa_wavefront_size32 1
		.amdhsa_uses_dynamic_stack 0
		.amdhsa_enable_private_segment 0
		.amdhsa_system_sgpr_workgroup_id_x 1
		.amdhsa_system_sgpr_workgroup_id_y 1
		.amdhsa_system_sgpr_workgroup_id_z 1
		.amdhsa_system_sgpr_workgroup_info 0
		.amdhsa_system_vgpr_workitem_id 0
		.amdhsa_next_free_vgpr 150
		.amdhsa_next_free_sgpr 37
		.amdhsa_reserve_vcc 1
		.amdhsa_float_round_mode_32 0
		.amdhsa_float_round_mode_16_64 0
		.amdhsa_float_denorm_mode_32 3
		.amdhsa_float_denorm_mode_16_64 3
		.amdhsa_dx10_clamp 1
		.amdhsa_ieee_mode 1
		.amdhsa_fp16_overflow 0
		.amdhsa_workgroup_processor_mode 1
		.amdhsa_memory_ordered 1
		.amdhsa_forward_progress 0
		.amdhsa_shared_vgpr_count 0
		.amdhsa_exception_fp_ieee_invalid_op 0
		.amdhsa_exception_fp_denorm_src 0
		.amdhsa_exception_fp_ieee_div_zero 0
		.amdhsa_exception_fp_ieee_overflow 0
		.amdhsa_exception_fp_ieee_underflow 0
		.amdhsa_exception_fp_ieee_inexact 0
		.amdhsa_exception_int_div_zero 0
	.end_amdhsa_kernel
	.section	.text._Z39paged_attention_ll4mi_QKV_mfma16_kernelIDF16_hLN4vllm18Fp8KVCacheDataTypeE1EDF16_Li32ELi128ELi256ELb0ELi6EL8MFMAType0EEvPKT_PKT0_S8_ifPKiSA_SA_iPKfiiiPfSD_PS3_PT2_iSC_SC_,"axG",@progbits,_Z39paged_attention_ll4mi_QKV_mfma16_kernelIDF16_hLN4vllm18Fp8KVCacheDataTypeE1EDF16_Li32ELi128ELi256ELb0ELi6EL8MFMAType0EEvPKT_PKT0_S8_ifPKiSA_SA_iPKfiiiPfSD_PS3_PT2_iSC_SC_,comdat
.Lfunc_end1331:
	.size	_Z39paged_attention_ll4mi_QKV_mfma16_kernelIDF16_hLN4vllm18Fp8KVCacheDataTypeE1EDF16_Li32ELi128ELi256ELb0ELi6EL8MFMAType0EEvPKT_PKT0_S8_ifPKiSA_SA_iPKfiiiPfSD_PS3_PT2_iSC_SC_, .Lfunc_end1331-_Z39paged_attention_ll4mi_QKV_mfma16_kernelIDF16_hLN4vllm18Fp8KVCacheDataTypeE1EDF16_Li32ELi128ELi256ELb0ELi6EL8MFMAType0EEvPKT_PKT0_S8_ifPKiSA_SA_iPKfiiiPfSD_PS3_PT2_iSC_SC_
                                        ; -- End function
	.section	.AMDGPU.csdata,"",@progbits
; Kernel info:
; codeLenInByte = 6640
; NumSgprs: 39
; NumVgprs: 150
; ScratchSize: 0
; MemoryBound: 0
; FloatMode: 240
; IeeeMode: 1
; LDSByteSize: 17472 bytes/workgroup (compile time only)
; SGPRBlocks: 4
; VGPRBlocks: 18
; NumSGPRsForWavesPerEU: 39
; NumVGPRsForWavesPerEU: 150
; Occupancy: 9
; WaveLimiterHint : 1
; COMPUTE_PGM_RSRC2:SCRATCH_EN: 0
; COMPUTE_PGM_RSRC2:USER_SGPR: 13
; COMPUTE_PGM_RSRC2:TRAP_HANDLER: 0
; COMPUTE_PGM_RSRC2:TGID_X_EN: 1
; COMPUTE_PGM_RSRC2:TGID_Y_EN: 1
; COMPUTE_PGM_RSRC2:TGID_Z_EN: 1
; COMPUTE_PGM_RSRC2:TIDIG_COMP_CNT: 0
	.section	.text._Z39paged_attention_ll4mi_QKV_mfma16_kernelIDF16_hLN4vllm18Fp8KVCacheDataTypeE1EDF16_Li32ELi128ELi256ELb0ELi7EL8MFMAType0EEvPKT_PKT0_S8_ifPKiSA_SA_iPKfiiiPfSD_PS3_PT2_iSC_SC_,"axG",@progbits,_Z39paged_attention_ll4mi_QKV_mfma16_kernelIDF16_hLN4vllm18Fp8KVCacheDataTypeE1EDF16_Li32ELi128ELi256ELb0ELi7EL8MFMAType0EEvPKT_PKT0_S8_ifPKiSA_SA_iPKfiiiPfSD_PS3_PT2_iSC_SC_,comdat
	.protected	_Z39paged_attention_ll4mi_QKV_mfma16_kernelIDF16_hLN4vllm18Fp8KVCacheDataTypeE1EDF16_Li32ELi128ELi256ELb0ELi7EL8MFMAType0EEvPKT_PKT0_S8_ifPKiSA_SA_iPKfiiiPfSD_PS3_PT2_iSC_SC_ ; -- Begin function _Z39paged_attention_ll4mi_QKV_mfma16_kernelIDF16_hLN4vllm18Fp8KVCacheDataTypeE1EDF16_Li32ELi128ELi256ELb0ELi7EL8MFMAType0EEvPKT_PKT0_S8_ifPKiSA_SA_iPKfiiiPfSD_PS3_PT2_iSC_SC_
	.globl	_Z39paged_attention_ll4mi_QKV_mfma16_kernelIDF16_hLN4vllm18Fp8KVCacheDataTypeE1EDF16_Li32ELi128ELi256ELb0ELi7EL8MFMAType0EEvPKT_PKT0_S8_ifPKiSA_SA_iPKfiiiPfSD_PS3_PT2_iSC_SC_
	.p2align	8
	.type	_Z39paged_attention_ll4mi_QKV_mfma16_kernelIDF16_hLN4vllm18Fp8KVCacheDataTypeE1EDF16_Li32ELi128ELi256ELb0ELi7EL8MFMAType0EEvPKT_PKT0_S8_ifPKiSA_SA_iPKfiiiPfSD_PS3_PT2_iSC_SC_,@function
_Z39paged_attention_ll4mi_QKV_mfma16_kernelIDF16_hLN4vllm18Fp8KVCacheDataTypeE1EDF16_Li32ELi128ELi256ELb0ELi7EL8MFMAType0EEvPKT_PKT0_S8_ifPKiSA_SA_iPKfiiiPfSD_PS3_PT2_iSC_SC_: ; @_Z39paged_attention_ll4mi_QKV_mfma16_kernelIDF16_hLN4vllm18Fp8KVCacheDataTypeE1EDF16_Li32ELi128ELi256ELb0ELi7EL8MFMAType0EEvPKT_PKT0_S8_ifPKiSA_SA_iPKfiiiPfSD_PS3_PT2_iSC_SC_
; %bb.0:
	s_load_b64 s[4:5], s[0:1], 0x30
	s_mov_b32 s34, s13
	s_waitcnt lgkmcnt(0)
	s_cmp_lg_u64 s[4:5], 0
	s_cselect_b32 s8, -1, 0
	s_ashr_i32 s35, s13, 31
	s_cmp_eq_u64 s[4:5], 0
	s_cbranch_scc1 .LBB1332_3
; %bb.1:
	s_lshl_b64 s[2:3], s[34:35], 2
	s_delay_alu instid0(SALU_CYCLE_1) | instskip(SKIP_4) | instid1(SALU_CYCLE_1)
	s_add_u32 s2, s4, s2
	s_addc_u32 s3, s5, s3
	s_load_b64 s[2:3], s[2:3], 0x0
	s_waitcnt lgkmcnt(0)
	s_sub_i32 s2, s3, s2
	s_cmp_eq_u32 s2, 1
	s_cselect_b32 s2, -1, 0
	s_delay_alu instid0(SALU_CYCLE_1)
	s_and_not1_b32 vcc_lo, exec_lo, s2
	s_cbranch_vccz .LBB1332_4
.LBB1332_2:
	s_nop 0
	s_sendmsg sendmsg(MSG_DEALLOC_VGPRS)
	s_endpgm
.LBB1332_3:
.LBB1332_4:
	s_load_b64 s[2:3], s[0:1], 0x28
	s_lshl_b64 s[6:7], s[34:35], 2
	s_waitcnt lgkmcnt(0)
	s_add_u32 s2, s2, s6
	s_addc_u32 s3, s3, s7
	s_lshl_b32 s12, s14, 8
	s_load_b32 s24, s[2:3], 0x0
	s_waitcnt lgkmcnt(0)
	s_cmp_ge_i32 s12, s24
	s_cbranch_scc1 .LBB1332_2
; %bb.5:
	s_clause 0x1
	s_load_b128 s[20:23], s[0:1], 0x8
	s_load_b64 s[2:3], s[0:1], 0x20
	s_and_not1_b32 vcc_lo, exec_lo, s8
	s_cbranch_vccnz .LBB1332_7
; %bb.6:
	s_add_u32 s4, s4, s6
	s_addc_u32 s5, s5, s7
	s_load_b32 s5, s[4:5], 0x0
	s_branch .LBB1332_8
.LBB1332_7:
	s_mov_b32 s5, s34
.LBB1332_8:
	s_load_b128 s[16:19], s[0:1], 0x48
	v_and_b32_e32 v68, 15, v0
	v_lshrrev_b32_e32 v69, 5, v0
	v_bfe_u32 v66, v0, 4, 1
	v_and_b32_e32 v70, 31, v0
	v_and_b32_e32 v67, 1, v0
	v_lshlrev_b32_e32 v2, 3, v68
	s_mul_i32 s31, s15, 7
	v_lshl_or_b32 v1, v69, 1, v66
	s_mov_b32 s4, exec_lo
	s_delay_alu instid0(VALU_DEP_2) | instskip(NEXT) | instid1(VALU_DEP_2)
	v_lshlrev_b32_e32 v65, 1, v2
	v_cmpx_gt_u32_e32 7, v1
	s_cbranch_execz .LBB1332_10
; %bb.9:
	s_load_b64 s[6:7], s[0:1], 0x0
	v_add_lshl_u32 v2, v1, s31, 7
	s_waitcnt lgkmcnt(0)
	s_mul_hi_i32 s9, s5, s16
	s_mul_i32 s8, s5, s16
	v_lshlrev_b32_e32 v6, 10, v68
	s_lshl_b64 s[8:9], s[8:9], 1
	v_ashrrev_i32_e32 v3, 31, v2
	v_lshlrev_b32_e32 v1, 6, v1
	v_lshlrev_b32_e32 v7, 10, v67
	v_and_b32_e32 v6, 0x3800, v6
	s_delay_alu instid0(VALU_DEP_4) | instskip(NEXT) | instid1(VALU_DEP_2)
	v_lshlrev_b64 v[2:3], 1, v[2:3]
	v_or3_b32 v1, v6, v7, v1
	s_add_u32 s5, s6, s8
	s_addc_u32 s6, s7, s9
	s_delay_alu instid0(VALU_DEP_2) | instskip(NEXT) | instid1(VALU_DEP_3)
	v_add_co_u32 v2, vcc_lo, s5, v2
	v_add_co_ci_u32_e32 v3, vcc_lo, s6, v3, vcc_lo
	s_delay_alu instid0(VALU_DEP_2) | instskip(NEXT) | instid1(VALU_DEP_2)
	v_add_co_u32 v2, vcc_lo, v2, v65
	v_add_co_ci_u32_e32 v3, vcc_lo, 0, v3, vcc_lo
	global_load_b128 v[2:5], v[2:3], off
	s_waitcnt vmcnt(0)
	ds_store_b128 v1, v[2:5]
.LBB1332_10:
	s_or_b32 exec_lo, exec_lo, s4
	v_and_b32_e32 v1, 0xef, v0
	s_waitcnt lgkmcnt(0)
	s_add_i32 s5, s24, 31
	s_clause 0x1
	s_load_b32 s4, s[0:1], 0x38
	s_load_b32 s33, s[0:1], 0x98
	s_ashr_i32 s6, s5, 31
	v_add_nc_u32_e32 v1, s12, v1
	s_lshr_b32 s6, s6, 27
	s_load_b32 s19, s[0:1], 0x1c
	s_add_i32 s5, s5, s6
	s_waitcnt lgkmcnt(0)
	v_ashrrev_i32_e32 v2, 31, v1
	v_or_b32_e32 v3, 16, v1
	s_ashr_i32 s13, s5, 5
	v_cmp_gt_i32_e32 vcc_lo, s24, v1
	s_add_i32 s13, s13, -1
	v_lshrrev_b32_e32 v2, 27, v2
	s_barrier
	buffer_gl0_inv
	s_mul_i32 s15, s15, s18
	v_add_nc_u32_e32 v4, v1, v2
	s_mul_i32 s4, s34, s4
	s_delay_alu instid0(SALU_CYCLE_1) | instskip(NEXT) | instid1(VALU_DEP_1)
	s_ashr_i32 s5, s4, 31
	v_ashrrev_i32_e32 v4, 5, v4
	v_add_nc_u32_e32 v2, v3, v2
	s_lshl_b64 s[4:5], s[4:5], 2
	s_delay_alu instid0(SALU_CYCLE_1) | instskip(NEXT) | instid1(VALU_DEP_2)
	s_add_u32 s16, s2, s4
	v_cndmask_b32_e32 v1, s13, v4, vcc_lo
	s_delay_alu instid0(VALU_DEP_2)
	v_ashrrev_i32_e32 v2, 5, v2
	v_cmp_gt_i32_e32 vcc_lo, s24, v3
	s_addc_u32 s25, s3, s5
	s_ashr_i32 s18, s15, 31
	s_add_u32 s2, s20, s15
	s_addc_u32 s3, s21, s18
	v_cndmask_b32_e32 v3, s13, v2, vcc_lo
	v_ashrrev_i32_e32 v2, 31, v1
	s_lshl_b32 s4, s14, 3
	s_delay_alu instid0(SALU_CYCLE_1) | instskip(NEXT) | instid1(VALU_DEP_2)
	s_ashr_i32 s5, s4, 31
	v_ashrrev_i32_e32 v4, 31, v3
	s_delay_alu instid0(VALU_DEP_2) | instskip(SKIP_1) | instid1(SALU_CYCLE_1)
	v_lshlrev_b64 v[1:2], 2, v[1:2]
	s_lshl_b64 s[4:5], s[4:5], 2
	s_add_u32 s4, s16, s4
	s_delay_alu instid0(VALU_DEP_2) | instskip(SKIP_1) | instid1(VALU_DEP_2)
	v_lshlrev_b64 v[3:4], 2, v[3:4]
	s_addc_u32 s5, s25, s5
	v_add_co_u32 v1, vcc_lo, s16, v1
	v_add_co_ci_u32_e32 v2, vcc_lo, s25, v2, vcc_lo
	s_delay_alu instid0(VALU_DEP_3) | instskip(NEXT) | instid1(VALU_DEP_4)
	v_add_co_u32 v3, vcc_lo, s16, v3
	v_add_co_ci_u32_e32 v4, vcc_lo, s25, v4, vcc_lo
	s_clause 0x1
	global_load_b32 v5, v[1:2], off
	global_load_b32 v6, v[3:4], off
	s_or_b32 s6, s12, 32
	s_delay_alu instid0(SALU_CYCLE_1) | instskip(SKIP_2) | instid1(SALU_CYCLE_1)
	s_ashr_i32 s7, s6, 5
	s_cmp_lt_i32 s6, s24
	s_cselect_b32 s6, s7, s13
	s_ashr_i32 s7, s6, 31
	s_delay_alu instid0(SALU_CYCLE_1) | instskip(NEXT) | instid1(SALU_CYCLE_1)
	s_lshl_b64 s[6:7], s[6:7], 2
	s_add_u32 s6, s16, s6
	s_addc_u32 s7, s25, s7
	s_or_b32 s8, s12, 64
	s_delay_alu instid0(SALU_CYCLE_1) | instskip(SKIP_2) | instid1(SALU_CYCLE_1)
	s_ashr_i32 s9, s8, 5
	s_cmp_lt_i32 s8, s24
	s_cselect_b32 s8, s9, s13
	s_ashr_i32 s9, s8, 31
	s_delay_alu instid0(SALU_CYCLE_1) | instskip(NEXT) | instid1(SALU_CYCLE_1)
	s_lshl_b64 s[8:9], s[8:9], 2
	s_add_u32 s8, s16, s8
	s_addc_u32 s9, s25, s9
	;; [unrolled: 10-line block ×5, first 2 shown]
	s_clause 0x5
	s_load_b32 s28, s[4:5], 0x0
	s_load_b32 s29, s[6:7], 0x0
	;; [unrolled: 1-line block ×6, first 2 shown]
	s_mov_b32 s4, 0
	s_delay_alu instid0(SALU_CYCLE_1)
	s_mov_b32 s5, s4
	s_mov_b32 s6, s4
	;; [unrolled: 1-line block ×7, first 2 shown]
	s_delay_alu instid0(SALU_CYCLE_1)
	v_dual_mov_b32 v118, s11 :: v_dual_mov_b32 v117, s10
	v_dual_mov_b32 v116, s9 :: v_dual_mov_b32 v115, s8
	v_mov_b32_e32 v113, s6
	v_dual_mov_b32 v111, s4 :: v_dual_mov_b32 v114, s7
	v_mov_b32_e32 v112, s5
	s_waitcnt vmcnt(1)
	v_mad_i64_i32 v[1:2], null, v5, s17, s[2:3]
	v_lshlrev_b32_e32 v5, 4, v68
	s_waitcnt vmcnt(0)
	v_mad_i64_i32 v[3:4], null, v6, s17, s[2:3]
	s_or_b32 s2, s12, 0xc0
	s_delay_alu instid0(SALU_CYCLE_1) | instskip(NEXT) | instid1(VALU_DEP_3)
	s_ashr_i32 s3, s2, 5
	v_add_co_u32 v1, vcc_lo, v1, v5
	s_delay_alu instid0(VALU_DEP_4) | instskip(NEXT) | instid1(VALU_DEP_3)
	v_add_co_ci_u32_e32 v2, vcc_lo, 0, v2, vcc_lo
	v_add_co_u32 v3, vcc_lo, v3, v5
	s_delay_alu instid0(VALU_DEP_4)
	v_add_co_ci_u32_e32 v4, vcc_lo, 0, v4, vcc_lo
	s_clause 0xf
	global_load_b128 v[17:20], v[1:2], off
	global_load_b128 v[21:24], v[1:2], off offset:512
	global_load_b128 v[25:28], v[3:4], off offset:256
	;; [unrolled: 1-line block ×15, first 2 shown]
	v_mul_lo_u16 v1, v68, 37
	s_cmp_lt_i32 s2, s24
	v_lshlrev_b32_e32 v2, 5, v68
	s_cselect_b32 s2, s3, s13
	s_delay_alu instid0(VALU_DEP_2) | instskip(SKIP_1) | instid1(SALU_CYCLE_1)
	v_lshrrev_b16 v1, 8, v1
	s_ashr_i32 s3, s2, 31
	s_lshl_b64 s[2:3], s[2:3], 2
	s_delay_alu instid0(VALU_DEP_1) | instskip(SKIP_3) | instid1(VALU_DEP_1)
	v_mul_lo_u16 v1, v1, 7
	s_add_u32 s2, s16, s2
	s_addc_u32 s3, s25, s3
	s_or_b32 s20, s12, 0xe0
	v_sub_nc_u16 v1, v68, v1
	s_ashr_i32 s21, s20, 5
	s_cmp_lt_i32 s20, s24
	s_cselect_b32 s20, s21, s13
	s_delay_alu instid0(VALU_DEP_1) | instskip(SKIP_1) | instid1(SALU_CYCLE_1)
	v_and_b32_e32 v1, 0xff, v1
	s_ashr_i32 s21, s20, 31
	s_lshl_b64 s[4:5], s[20:21], 2
	s_delay_alu instid0(VALU_DEP_1)
	v_lshlrev_b32_e32 v149, 6, v1
	s_add_u32 s4, s16, s4
	s_addc_u32 s5, s25, s5
	v_lshl_or_b32 v1, v69, 9, v2
	ds_load_b128 v[119:122], v149
	ds_load_b128 v[123:126], v149 offset:1024
	ds_load_b128 v[127:130], v149 offset:2048
	ds_load_b128 v[131:134], v149 offset:3072
	s_clause 0x1
	s_load_b32 s2, s[2:3], 0x0
	s_load_b32 s3, s[4:5], 0x0
	s_add_u32 s6, s22, s15
	s_addc_u32 s7, s23, s18
	v_add_co_u32 v135, s6, s6, v1
	s_delay_alu instid0(VALU_DEP_1) | instskip(SKIP_1) | instid1(VALU_DEP_1)
	v_add_co_ci_u32_e64 v136, null, s7, 0, s6
	s_waitcnt lgkmcnt(0)
	v_mad_i64_i32 v[1:2], null, s28, s17, v[135:136]
	v_mad_i64_i32 v[3:4], null, s29, s17, v[135:136]
	;; [unrolled: 1-line block ×6, first 2 shown]
	s_clause 0x9
	global_load_b128 v[49:52], v[1:2], off
	global_load_b128 v[53:56], v[1:2], off offset:16
	global_load_b128 v[41:44], v[3:4], off
	global_load_b128 v[45:48], v[3:4], off offset:16
	;; [unrolled: 2-line block ×5, first 2 shown]
	v_mad_i64_i32 v[145:146], null, s2, s17, v[135:136]
	v_mad_i64_i32 v[147:148], null, s3, s17, v[135:136]
	s_waitcnt vmcnt(24)
	v_wmma_f32_16x16x16_f16 v[135:142], v[17:24], v[119:126], v[111:118]
	s_waitcnt vmcnt(22)
	v_wmma_f32_16x16x16_f16 v[111:118], v[25:32], v[119:126], v[111:118]
	s_clause 0x3
	global_load_b128 v[17:20], v[143:144], off
	global_load_b128 v[21:24], v[143:144], off offset:16
	global_load_b128 v[25:28], v[145:146], off
	global_load_b128 v[29:32], v[145:146], off offset:16
	v_and_b32_e32 v119, 0xe0, v0
	s_waitcnt vmcnt(24)
	v_wmma_f32_16x16x16_f16 v[135:142], v[57:64], v[127:134], v[135:142]
	s_clause 0x1
	global_load_b128 v[57:60], v[147:148], off
	global_load_b128 v[61:64], v[147:148], off offset:16
	s_waitcnt vmcnt(24)
	v_wmma_f32_16x16x16_f16 v[111:118], v[71:78], v[127:134], v[111:118]
	ds_load_b128 v[71:74], v149 offset:4096
	ds_load_b128 v[75:78], v149 offset:5120
	v_add_nc_u32_e32 v128, s12, v119
	ds_load_b128 v[119:122], v149 offset:6144
	ds_load_b128 v[123:126], v149 offset:7168
	v_mbcnt_lo_u32_b32 v127, -1, 0
	s_waitcnt vmcnt(0) lgkmcnt(0)
	s_barrier
	v_or_b32_e32 v128, v128, v66
	buffer_gl0_inv
	v_xor_b32_e32 v129, 16, v127
	v_or_b32_e32 v130, 4, v128
	v_or_b32_e32 v131, 6, v128
	s_delay_alu instid0(VALU_DEP_3) | instskip(SKIP_4) | instid1(VALU_DEP_4)
	v_cmp_gt_i32_e32 vcc_lo, 32, v129
	v_or_b32_e32 v132, 8, v128
	v_or_b32_e32 v133, 10, v128
	v_cmp_gt_i32_e64 s3, s24, v130
	v_cmp_gt_i32_e64 s4, s24, v131
	;; [unrolled: 1-line block ×3, first 2 shown]
	v_wmma_f32_16x16x16_f16 v[135:142], v[79:86], v[71:78], v[135:142]
	v_wmma_f32_16x16x16_f16 v[111:118], v[87:94], v[71:78], v[111:118]
	v_or_b32_e32 v79, 12, v128
	v_or_b32_e32 v80, 14, v128
	v_cmp_gt_i32_e64 s6, s24, v133
	v_wmma_f32_16x16x16_f16 v[135:142], v[95:102], v[119:126], v[135:142]
	v_cndmask_b32_e32 v127, v127, v129, vcc_lo
	v_or_b32_e32 v129, 2, v128
	v_wmma_f32_16x16x16_f16 v[111:118], v[103:110], v[119:126], v[111:118]
	v_cmp_gt_i32_e32 vcc_lo, s24, v128
	v_dual_mul_f32 v88, s19, v135 :: v_dual_mul_f32 v87, s19, v136
	s_delay_alu instid0(VALU_DEP_4) | instskip(NEXT) | instid1(VALU_DEP_4)
	v_cmp_gt_i32_e64 s2, s24, v129
	v_mul_f32_e32 v94, s19, v113
	v_mul_f32_e32 v78, s19, v138
	;; [unrolled: 1-line block ×3, first 2 shown]
	v_cndmask_b32_e32 v88, 0xff7fffff, v88, vcc_lo
	v_cndmask_b32_e64 v87, 0xff7fffff, v87, s2
	v_dual_mul_f32 v76, s19, v140 :: v_dual_mul_f32 v77, s19, v139
	v_mul_f32_e32 v90, s19, v117
	v_cndmask_b32_e64 v86, 0xff7fffff, v86, s3
	v_cndmask_b32_e64 v78, 0xff7fffff, v78, s4
	v_max3_f32 v87, v88, 0xff7fffff, v87
	v_or_b32_e32 v81, 16, v128
	v_or_b32_e32 v82, 18, v128
	v_dual_mul_f32 v74, s19, v142 :: v_dual_mul_f32 v75, s19, v141
	v_mul_f32_e32 v92, s19, v115
	v_cndmask_b32_e64 v77, 0xff7fffff, v77, s5
	v_cndmask_b32_e64 v76, 0xff7fffff, v76, s6
	v_max3_f32 v78, v87, v86, v78
	v_cmp_gt_i32_e64 s7, s24, v79
	v_cmp_gt_i32_e64 s8, s24, v80
	v_or_b32_e32 v83, 20, v128
	v_or_b32_e32 v84, 22, v128
	v_dual_mul_f32 v89, s19, v118 :: v_dual_mul_f32 v96, s19, v111
	v_mul_f32_e32 v95, s19, v112
	v_cndmask_b32_e64 v75, 0xff7fffff, v75, s7
	v_cndmask_b32_e64 v74, 0xff7fffff, v74, s8
	v_max3_f32 v76, v78, v77, v76
	v_cmp_gt_i32_e64 s9, s24, v81
	v_cmp_gt_i32_e64 s10, s24, v82
	v_or_b32_e32 v85, 24, v128
	v_or_b32_e32 v71, 26, v128
	v_mul_f32_e32 v93, s19, v114
	v_cndmask_b32_e64 v77, 0xff7fffff, v96, s9
	v_cndmask_b32_e64 v78, 0xff7fffff, v95, s10
	v_max3_f32 v74, v76, v75, v74
	v_cmp_gt_i32_e64 s11, s24, v83
	v_cmp_gt_i32_e64 s12, s24, v84
	v_or_b32_e32 v72, 28, v128
	v_or_b32_e32 v73, 30, v128
	v_mul_f32_e32 v91, s19, v116
	v_cndmask_b32_e64 v75, 0xff7fffff, v94, s11
	v_cndmask_b32_e64 v76, 0xff7fffff, v93, s12
	v_max3_f32 v74, v74, v77, v78
	v_cmp_gt_i32_e64 s13, s24, v85
	v_cmp_gt_i32_e64 s15, s24, v71
	;; [unrolled: 1-line block ×4, first 2 shown]
	v_max3_f32 v74, v74, v75, v76
	v_cndmask_b32_e64 v77, 0xff7fffff, v92, s13
	v_cndmask_b32_e64 v71, 0xff7fffff, v91, s15
	;; [unrolled: 1-line block ×4, first 2 shown]
	s_delay_alu instid0(VALU_DEP_3) | instskip(SKIP_1) | instid1(VALU_DEP_2)
	v_max3_f32 v71, v74, v77, v71
	v_lshlrev_b32_e32 v74, 2, v127
	v_max3_f32 v71, v71, v72, v73
	ds_bpermute_b32 v72, v74, v71
	s_waitcnt lgkmcnt(0)
	v_max_f32_e32 v72, v72, v72
	s_delay_alu instid0(VALU_DEP_1) | instskip(NEXT) | instid1(VALU_DEP_1)
	v_max_f32_e32 v71, v71, v72
	v_fma_f32 v75, s19, v137, -v71
	v_fma_f32 v76, s19, v138, -v71
	;; [unrolled: 1-line block ×5, first 2 shown]
	s_delay_alu instid0(VALU_DEP_4) | instskip(NEXT) | instid1(VALU_DEP_4)
	v_dual_mul_f32 v75, 0x3fb8aa3b, v75 :: v_dual_mul_f32 v76, 0x3fb8aa3b, v76
	v_mul_f32_e32 v72, 0x3fb8aa3b, v72
	v_fma_f32 v77, s19, v139, -v71
	s_delay_alu instid0(VALU_DEP_4) | instskip(NEXT) | instid1(VALU_DEP_4)
	v_mul_f32_e32 v73, 0x3fb8aa3b, v73
	v_exp_f32_e32 v75, v75
	v_exp_f32_e32 v76, v76
	;; [unrolled: 1-line block ×3, first 2 shown]
	s_delay_alu instid0(VALU_DEP_1) | instskip(SKIP_2) | instid1(TRANS32_DEP_3)
	v_exp_f32_e32 v73, v73
	v_cndmask_b32_e64 v81, 0, v75, s3
	v_mul_f32_e32 v82, 0x3fb8aa3b, v80
	v_cndmask_b32_e64 v80, 0, v76, s4
	s_waitcnt_depctr 0xfff
	v_cndmask_b32_e64 v78, 0, v73, s2
	v_cmp_gt_u32_e64 s2, 16, v70
	v_exp_f32_e32 v84, v82
	s_waitcnt_depctr 0xfff
	v_cndmask_b32_e64 v85, 0, v84, s7
	v_cndmask_b32_e32 v79, 0, v72, vcc_lo
	v_fma_f32 v72, s19, v140, -v71
	v_mul_f32_e32 v77, 0x3fb8aa3b, v77
	s_delay_alu instid0(VALU_DEP_2) | instskip(NEXT) | instid1(VALU_DEP_2)
	v_dual_add_f32 v73, 0, v79 :: v_dual_mul_f32 v72, 0x3fb8aa3b, v72
	v_exp_f32_e32 v77, v77
	s_delay_alu instid0(VALU_DEP_1) | instskip(NEXT) | instid1(VALU_DEP_2)
	v_add_f32_e32 v73, v73, v78
	v_exp_f32_e32 v72, v72
	s_delay_alu instid0(VALU_DEP_1) | instskip(SKIP_4) | instid1(VALU_DEP_2)
	v_add_f32_e32 v73, v73, v81
	s_waitcnt_depctr 0xfff
	v_cndmask_b32_e64 v83, 0, v77, s5
	v_add_f32_e32 v73, v73, v80
	v_cndmask_b32_e64 v82, 0, v72, s6
	v_add_f32_e32 v72, v73, v83
	s_delay_alu instid0(VALU_DEP_1)
	v_add_f32_e32 v72, v72, v82
	v_fma_f32 v75, s19, v142, -v71
	v_fma_f32 v76, s19, v111, -v71
	;; [unrolled: 1-line block ×5, first 2 shown]
	s_delay_alu instid0(VALU_DEP_4) | instskip(NEXT) | instid1(VALU_DEP_4)
	v_dual_mul_f32 v75, 0x3fb8aa3b, v75 :: v_dual_mul_f32 v76, 0x3fb8aa3b, v76
	v_mul_f32_e32 v86, 0x3fb8aa3b, v86
	v_add_f32_e32 v72, v72, v85
	s_delay_alu instid0(VALU_DEP_3) | instskip(NEXT) | instid1(VALU_DEP_3)
	v_exp_f32_e32 v75, v75
	v_exp_f32_e32 v76, v76
	s_delay_alu instid0(VALU_DEP_2) | instskip(NEXT) | instid1(TRANS32_DEP_3)
	v_exp_f32_e32 v88, v86
	v_cndmask_b32_e64 v84, 0, v75, s8
	v_mul_f32_e32 v77, 0x3fb8aa3b, v77
	s_waitcnt_depctr 0xfff
	v_cndmask_b32_e64 v87, 0, v76, s9
	v_fma_f32 v76, s19, v116, -v71
	v_dual_mul_f32 v73, 0x3fb8aa3b, v73 :: v_dual_add_f32 v72, v72, v84
	v_exp_f32_e32 v77, v77
	v_fma_f32 v75, s19, v115, -v71
	s_delay_alu instid0(VALU_DEP_3) | instskip(NEXT) | instid1(VALU_DEP_3)
	v_mul_f32_e32 v76, 0x3fb8aa3b, v76
	v_exp_f32_e32 v73, v73
	v_add_f32_e32 v72, v72, v87
	v_cndmask_b32_e64 v88, 0, v88, s12
	s_delay_alu instid0(VALU_DEP_3) | instskip(NEXT) | instid1(TRANS32_DEP_3)
	v_exp_f32_e32 v76, v76
	v_cndmask_b32_e64 v86, 0, v77, s10
	v_mul_f32_e32 v75, 0x3fb8aa3b, v75
	v_fma_f32 v77, s19, v117, -v71
	s_delay_alu instid0(TRANS32_DEP_2) | instskip(NEXT) | instid1(VALU_DEP_4)
	v_cndmask_b32_e64 v89, 0, v73, s11
	v_add_f32_e32 v72, v72, v86
	s_delay_alu instid0(VALU_DEP_4) | instskip(NEXT) | instid1(TRANS32_DEP_2)
	v_exp_f32_e32 v75, v75
	v_cndmask_b32_e64 v90, 0, v76, s15
	s_delay_alu instid0(VALU_DEP_2) | instskip(SKIP_2) | instid1(VALU_DEP_3)
	v_add_f32_e32 v72, v72, v89
	v_mul_f32_e32 v73, 0x3fb8aa3b, v77
	v_fma_f32 v77, s19, v118, -v71
	v_add_f32_e32 v72, v72, v88
	s_delay_alu instid0(VALU_DEP_3) | instskip(NEXT) | instid1(TRANS32_DEP_2)
	v_exp_f32_e32 v73, v73
	v_cndmask_b32_e64 v91, 0, v75, s13
	s_delay_alu instid0(VALU_DEP_1) | instskip(NEXT) | instid1(VALU_DEP_1)
	v_dual_mul_f32 v75, 0x3fb8aa3b, v77 :: v_dual_add_f32 v72, v72, v91
	v_exp_f32_e32 v75, v75
	s_waitcnt_depctr 0xfff
	v_cndmask_b32_e64 v93, 0, v73, s16
	v_add_f32_e32 v72, v72, v90
	s_delay_alu instid0(VALU_DEP_1) | instskip(SKIP_1) | instid1(VALU_DEP_1)
	v_add_f32_e32 v72, v72, v93
	v_cndmask_b32_e64 v92, 0, v75, s17
	v_add_f32_e32 v72, v72, v92
	ds_bpermute_b32 v73, v74, v72
	s_and_saveexec_b32 s3, s2
	s_cbranch_execz .LBB1332_12
; %bb.11:
	v_mul_u32_u24_e32 v70, 0x44, v69
	s_waitcnt lgkmcnt(0)
	v_add_f32_e32 v72, v72, v73
	s_delay_alu instid0(VALU_DEP_2) | instskip(NEXT) | instid1(VALU_DEP_1)
	v_lshl_add_u32 v70, v68, 2, v70
	v_add_nc_u32_e32 v70, 0x4000, v70
	ds_store_2addr_b32 v70, v71, v72 offset1:136
.LBB1332_12:
	s_or_b32 exec_lo, exec_lo, s3
	v_lshlrev_b32_e32 v70, 2, v68
	s_load_b32 s35, s[0:1], 0x94
	s_waitcnt lgkmcnt(0)
	s_barrier
	buffer_gl0_inv
	v_add_nc_u32_e32 v98, 0x4000, v70
	v_cmp_eq_u32_e32 vcc_lo, 1, v69
	v_cmp_eq_u32_e64 s3, 2, v69
	v_cmp_eq_u32_e64 s4, 3, v69
	;; [unrolled: 1-line block ×3, first 2 shown]
	ds_load_2addr_b32 v[70:71], v98 offset1:17
	ds_load_2addr_b32 v[72:73], v98 offset0:34 offset1:51
	ds_load_2addr_b32 v[74:75], v98 offset0:68 offset1:85
	;; [unrolled: 1-line block ×3, first 2 shown]
	v_cmp_eq_u32_e64 s6, 5, v69
	v_cmp_eq_u32_e64 s7, 7, v69
	s_waitcnt lgkmcnt(3)
	v_max3_f32 v76, v70, 0xff7fffff, v71
	s_waitcnt lgkmcnt(2)
	s_delay_alu instid0(VALU_DEP_1) | instskip(SKIP_1) | instid1(VALU_DEP_1)
	v_max3_f32 v76, v76, v72, v73
	s_waitcnt lgkmcnt(1)
	v_max3_f32 v76, v76, v74, v75
	s_waitcnt lgkmcnt(0)
	s_delay_alu instid0(VALU_DEP_1) | instskip(NEXT) | instid1(VALU_DEP_1)
	v_max3_f32 v76, v76, v94, v95
	v_sub_f32_e32 v77, v71, v76
	ds_load_2addr_b32 v[96:97], v98 offset0:136 offset1:153
	v_sub_f32_e32 v74, v74, v76
	v_sub_f32_e32 v70, v70, v76
	;; [unrolled: 1-line block ×3, first 2 shown]
	v_dual_sub_f32 v72, v72, v76 :: v_dual_mul_f32 v77, 0x3fb8aa3b, v77
	s_delay_alu instid0(VALU_DEP_4) | instskip(NEXT) | instid1(VALU_DEP_4)
	v_mul_f32_e32 v103, 0x3fb8aa3b, v74
	v_mul_f32_e32 v99, 0x3fb8aa3b, v70
	ds_load_2addr_b32 v[70:71], v98 offset0:170 offset1:187
	v_dual_mul_f32 v101, 0x3fb8aa3b, v72 :: v_dual_mul_f32 v94, 0x3fb8aa3b, v94
	v_exp_f32_e32 v102, v77
	v_exp_f32_e32 v99, v99
	s_delay_alu instid0(VALU_DEP_1) | instskip(NEXT) | instid1(VALU_DEP_1)
	v_exp_f32_e32 v101, v101
	v_exp_f32_e32 v94, v94
	s_waitcnt lgkmcnt(1)
	s_delay_alu instid0(TRANS32_DEP_3)
	v_fma_f32 v77, v99, v96, 0
	v_sub_f32_e32 v100, v73, v76
	ds_load_2addr_b32 v[72:73], v98 offset0:204 offset1:221
	v_fmac_f32_e32 v77, v102, v97
	v_exp_f32_e32 v97, v103
	s_waitcnt lgkmcnt(1)
	s_delay_alu instid0(VALU_DEP_1)
	v_dual_fmac_f32 v77, v101, v70 :: v_dual_sub_f32 v96, v75, v76
	ds_load_2addr_b32 v[74:75], v98 offset0:238 offset1:255
	v_sub_f32_e32 v70, v95, v76
	s_waitcnt lgkmcnt(0)
	s_barrier
	v_mul_f32_e32 v96, 0x3fb8aa3b, v96
	buffer_gl0_inv
	v_exp_f32_e32 v95, v96
	v_mul_f32_e32 v100, 0x3fb8aa3b, v100
	s_delay_alu instid0(VALU_DEP_1) | instskip(SKIP_3) | instid1(VALU_DEP_2)
	v_exp_f32_e32 v100, v100
	s_waitcnt_depctr 0xfff
	v_dual_fmac_f32 v77, v100, v71 :: v_dual_mul_f32 v70, 0x3fb8aa3b, v70
	v_cndmask_b32_e32 v71, v99, v102, vcc_lo
	v_fmac_f32_e32 v77, v97, v72
	s_delay_alu instid0(VALU_DEP_3) | instskip(NEXT) | instid1(VALU_DEP_1)
	v_exp_f32_e32 v96, v70
	v_fmac_f32_e32 v77, v95, v73
	s_delay_alu instid0(VALU_DEP_1) | instskip(SKIP_2) | instid1(VALU_DEP_1)
	v_fmac_f32_e32 v77, v94, v74
	s_waitcnt_depctr 0xfff
	v_fmac_f32_e32 v77, v96, v75
	v_add_f32_e32 v74, 0x358637bd, v77
	s_delay_alu instid0(VALU_DEP_1) | instskip(SKIP_1) | instid1(VALU_DEP_2)
	v_div_scale_f32 v98, null, v74, v74, 1.0
	v_div_scale_f32 v99, vcc_lo, 1.0, v74, 1.0
	v_rcp_f32_e32 v103, v98
	s_waitcnt_depctr 0xfff
	v_fma_f32 v70, -v98, v103, 1.0
	s_delay_alu instid0(VALU_DEP_1) | instskip(SKIP_2) | instid1(VALU_DEP_2)
	v_fmac_f32_e32 v103, v70, v103
	v_cndmask_b32_e64 v70, v71, v101, s3
	v_cmp_eq_u32_e64 s3, 6, v69
	v_cndmask_b32_e64 v71, v70, v100, s4
	s_delay_alu instid0(VALU_DEP_4) | instskip(NEXT) | instid1(VALU_DEP_2)
	v_dual_mul_f32 v101, v99, v103 :: v_dual_lshlrev_b32 v70, 2, v66
	v_cndmask_b32_e64 v71, v71, v97, s5
	s_delay_alu instid0(VALU_DEP_2) | instskip(NEXT) | instid1(VALU_DEP_3)
	v_or_b32_e32 v72, 1, v70
	v_fma_f32 v100, -v98, v101, v99
	v_cmp_eq_u32_e64 s4, 1, v70
	v_cmp_eq_u32_e64 s5, 2, v70
	v_cndmask_b32_e64 v95, v71, v95, s6
	v_or_b32_e32 v71, 3, v70
	v_fmac_f32_e32 v101, v100, v103
	v_cmp_eq_u32_e64 s9, 1, v72
	v_cmp_eq_u32_e64 s12, 2, v72
	v_cndmask_b32_e64 v94, v95, v94, s3
	v_cmp_eq_u32_e64 s11, 1, v71
	v_fma_f32 v97, -v98, v101, v99
	v_cmp_eq_u32_e64 s16, 2, v71
	v_cmp_eq_u32_e64 s13, 3, v72
	v_cndmask_b32_e64 v94, v94, v96, s7
	v_cmp_eq_u32_e64 s18, 3, v71
	v_div_fmas_f32 v95, v97, v103, v101
	v_cmp_eq_u32_e32 vcc_lo, 3, v70
	v_cmp_eq_u32_e64 s3, 4, v70
	v_cmp_eq_u32_e64 s19, 4, v72
	;; [unrolled: 1-line block ×3, first 2 shown]
	v_div_fixup_f32 v95, v95, v74, 1.0
	v_lshlrev_b32_e32 v73, 6, v68
	v_cmp_eq_u32_e64 s6, 5, v70
	v_cmp_eq_u32_e64 s20, 5, v72
	;; [unrolled: 1-line block ×3, first 2 shown]
	v_mul_f32_e32 v102, v94, v95
	v_lshl_or_b32 v75, v69, 11, v73
	v_or_b32_e32 v69, 2, v70
	v_cmp_eq_u32_e64 s25, 6, v72
	v_cmp_eq_u32_e64 s27, 6, v71
	v_fma_mixlo_f16 v94, v102, v79, 0
	v_fma_mixlo_f16 v95, v102, v81, 0
	;; [unrolled: 1-line block ×8, first 2 shown]
	v_lshl_or_b32 v74, v66, 4, v75
	v_fma_mixhi_f16 v94, v102, v78, 0
	v_fma_mixhi_f16 v95, v102, v80, 0
	;; [unrolled: 1-line block ×8, first 2 shown]
	ds_store_b128 v74, v[94:97]
	ds_store_b128 v74, v[98:101] offset:1024
	s_waitcnt lgkmcnt(0)
	s_barrier
	buffer_gl0_inv
	ds_load_b128 v[78:81], v75
	ds_load_b128 v[82:85], v75 offset:16
	ds_load_b128 v[86:89], v75 offset:1024
	;; [unrolled: 1-line block ×3, first 2 shown]
	v_cmp_eq_u32_e64 s10, 1, v69
	v_cmp_eq_u32_e64 s15, 2, v69
	;; [unrolled: 1-line block ×11, first 2 shown]
	s_waitcnt lgkmcnt(3)
	v_lshrrev_b32_e32 v94, 16, v78
	s_waitcnt lgkmcnt(2)
	v_lshrrev_b32_e32 v98, 16, v82
	;; [unrolled: 2-line block ×4, first 2 shown]
	v_lshrrev_b32_e32 v95, 16, v79
	v_cndmask_b32_e64 v110, v78, v94, s4
	v_cndmask_b32_e64 v111, v82, v98, s4
	;; [unrolled: 1-line block ×8, first 2 shown]
	v_lshrrev_b32_e32 v99, 16, v83
	v_cndmask_b32_e64 v94, v86, v102, s4
	v_cndmask_b32_e64 v98, v90, v106, s4
	;; [unrolled: 1-line block ×15, first 2 shown]
	v_lshrrev_b32_e32 v103, 16, v87
	v_lshrrev_b32_e32 v107, 16, v91
	v_cndmask_b32_e64 v113, v115, v83, s15
	v_cndmask_b32_e64 v82, v94, v87, s5
	;; [unrolled: 1-line block ×7, first 2 shown]
	v_cndmask_b32_e32 v90, v102, v95, vcc_lo
	v_cndmask_b32_e32 v102, v106, v99, vcc_lo
	v_cndmask_b32_e64 v106, v110, v95, s13
	v_cndmask_b32_e64 v110, v111, v99, s13
	;; [unrolled: 1-line block ×4, first 2 shown]
	v_lshrrev_b32_e32 v96, 16, v80
	v_lshrrev_b32_e32 v100, 16, v84
	v_cndmask_b32_e64 v111, v112, v95, s17
	v_cndmask_b32_e64 v112, v113, v99, s17
	v_cndmask_b32_e32 v82, v82, v103, vcc_lo
	v_cndmask_b32_e32 v83, v83, v107, vcc_lo
	v_cndmask_b32_e64 v94, v94, v103, s13
	v_cndmask_b32_e64 v90, v90, v80, s3
	;; [unrolled: 1-line block ×7, first 2 shown]
	v_lshrrev_b32_e32 v104, 16, v88
	v_cndmask_b32_e64 v106, v111, v80, s21
	v_cndmask_b32_e64 v110, v112, v84, s21
	;; [unrolled: 1-line block ×11, first 2 shown]
	v_lshrrev_b32_e32 v97, 16, v81
	v_lshrrev_b32_e32 v101, 16, v85
	v_cndmask_b32_e64 v99, v106, v96, s23
	v_cndmask_b32_e64 v102, v110, v100, s23
	;; [unrolled: 1-line block ×7, first 2 shown]
	v_lshrrev_b32_e32 v105, 16, v89
	v_cndmask_b32_e64 v80, v80, v104, s6
	v_cndmask_b32_e64 v84, v84, v81, s7
	;; [unrolled: 1-line block ×16, first 2 shown]
	v_perm_b32 v81, v79, v78, 0x5040100
	v_perm_b32 v79, v95, v85, 0x5040100
	v_cndmask_b32_e64 v78, v119, v91, s15
	v_cndmask_b32_e64 v85, v117, v91, s12
	;; [unrolled: 1-line block ×3, first 2 shown]
	v_perm_b32 v80, v94, v90, 0x5040100
	v_cndmask_b32_e64 v90, v98, v103, s17
	v_cndmask_b32_e64 v86, v86, v103, s18
	;; [unrolled: 1-line block ×5, first 2 shown]
	v_lshrrev_b32_e32 v108, 16, v92
	v_cndmask_b32_e64 v90, v90, v88, s21
	v_cndmask_b32_e64 v86, v86, v88, s22
	;; [unrolled: 1-line block ×11, first 2 shown]
	v_lshrrev_b32_e32 v109, 16, v93
	v_cndmask_b32_e64 v82, v82, v93, s7
	v_cndmask_b32_e64 v88, v88, v89, s26
	;; [unrolled: 1-line block ×12, first 2 shown]
	v_perm_b32 v78, v84, v83, 0x5040100
	v_perm_b32 v85, v87, v86, 0x5040100
	;; [unrolled: 1-line block ×5, first 2 shown]
	s_mul_i32 s8, s33, 7
	s_mov_b32 s3, exec_lo
	ds_store_b128 v74, v[78:81]
	ds_store_b128 v74, v[82:85] offset:1024
	v_cmpx_gt_u32_e32 7, v0
	s_cbranch_execz .LBB1332_14
; %bb.13:
	s_mul_i32 s4, s8, s34
	s_delay_alu instid0(SALU_CYCLE_1) | instskip(SKIP_1) | instid1(VALU_DEP_1)
	v_add3_u32 v68, s4, s31, v68
	s_load_b128 s[4:7], s[0:1], 0x58
	v_mad_u64_u32 v[78:79], null, v68, s35, s[14:15]
	s_delay_alu instid0(VALU_DEP_1) | instskip(NEXT) | instid1(VALU_DEP_1)
	v_ashrrev_i32_e32 v79, 31, v78
	v_lshlrev_b64 v[78:79], 2, v[78:79]
	s_waitcnt lgkmcnt(0)
	s_delay_alu instid0(VALU_DEP_1) | instskip(NEXT) | instid1(VALU_DEP_2)
	v_add_co_u32 v80, vcc_lo, s6, v78
	v_add_co_ci_u32_e32 v81, vcc_lo, s7, v79, vcc_lo
	v_add_co_u32 v78, vcc_lo, s4, v78
	v_add_co_ci_u32_e32 v79, vcc_lo, s5, v79, vcc_lo
	global_store_b32 v[80:81], v76, off
	global_store_b32 v[78:79], v77, off
.LBB1332_14:
	s_or_b32 exec_lo, exec_lo, s3
	s_waitcnt lgkmcnt(0)
	s_waitcnt_vscnt null, 0x0
	s_barrier
	buffer_gl0_inv
	ds_load_b128 v[84:87], v73
	ds_load_b128 v[88:91], v73 offset:16
	ds_load_b128 v[96:99], v73 offset:2064
	;; [unrolled: 1-line block ×5, first 2 shown]
	v_cmp_eq_u32_e32 vcc_lo, 1, v70
	v_mov_b32_e32 v76, 0
	ds_load_b128 v[112:115], v73 offset:6160
	ds_load_b128 v[108:111], v73 offset:6144
	;; [unrolled: 1-line block ×4, first 2 shown]
	v_cmp_eq_u32_e64 s4, 1, v69
	v_cmp_eq_u32_e64 s3, 1, v72
	v_cmp_eq_u32_e64 s5, 2, v72
	v_mov_b32_e32 v77, v76
	v_mov_b32_e32 v78, v76
	;; [unrolled: 1-line block ×7, first 2 shown]
	v_cmp_eq_u32_e64 s6, 3, v72
	v_cmp_eq_u32_e64 s7, 7, v72
	s_waitcnt lgkmcnt(8)
	s_delay_alu instid0(VALU_DEP_3)
	v_wmma_f32_16x16x16_f16 v[76:83], v[49:56], v[84:91], v[76:83]
	ds_load_b128 v[53:56], v73 offset:10256
	ds_load_b128 v[49:52], v73 offset:10240
	s_waitcnt lgkmcnt(8)
	v_wmma_f32_16x16x16_f16 v[76:83], v[41:48], v[92:99], v[76:83]
	ds_load_b128 v[45:48], v73 offset:12304
	ds_load_b128 v[41:44], v73 offset:12288
	s_waitcnt lgkmcnt(8)
	;; [unrolled: 4-line block ×3, first 2 shown]
	s_barrier
	buffer_gl0_inv
	v_wmma_f32_16x16x16_f16 v[76:83], v[1:8], v[108:115], v[76:83]
	s_delay_alu instid0(VALU_DEP_1) | instskip(NEXT) | instid1(VALU_DEP_1)
	v_wmma_f32_16x16x16_f16 v[76:83], v[9:16], v[116:123], v[76:83]
	v_wmma_f32_16x16x16_f16 v[76:83], v[17:24], v[49:56], v[76:83]
	s_delay_alu instid0(VALU_DEP_1) | instskip(NEXT) | instid1(VALU_DEP_1)
	v_wmma_f32_16x16x16_f16 v[76:83], v[25:32], v[41:48], v[76:83]
	v_wmma_f32_16x16x16_f16 v[76:83], v[57:64], v[33:40], v[76:83]
	s_delay_alu instid0(VALU_DEP_1) | instskip(NEXT) | instid1(VALU_DEP_2)
	v_cvt_f16_f32_e32 v1, v76
	v_cvt_f16_f32_e32 v2, v77
	s_delay_alu instid0(VALU_DEP_3) | instskip(NEXT) | instid1(VALU_DEP_4)
	v_cvt_f16_f32_e32 v3, v78
	v_cvt_f16_f32_e32 v4, v79
	;; [unrolled: 1-line block ×6, first 2 shown]
	v_pack_b32_f16 v1, v1, v2
	v_pack_b32_f16 v2, v3, v4
	v_pack_b32_f16 v3, v5, v6
	s_delay_alu instid0(VALU_DEP_4)
	v_pack_b32_f16 v4, v7, v8
	ds_store_b128 v74, v[1:4]
	s_waitcnt lgkmcnt(0)
	s_barrier
	buffer_gl0_inv
	ds_load_b128 v[1:4], v75
	ds_load_b128 v[5:8], v75 offset:16
	s_waitcnt lgkmcnt(1)
	v_lshrrev_b32_e32 v9, 16, v1
	s_waitcnt lgkmcnt(0)
	v_lshrrev_b32_e32 v13, 16, v5
	v_lshrrev_b32_e32 v10, 16, v2
	;; [unrolled: 1-line block ×4, first 2 shown]
	v_cndmask_b32_e32 v17, v1, v9, vcc_lo
	v_cndmask_b32_e32 v18, v5, v13, vcc_lo
	v_cndmask_b32_e64 v21, v1, v9, s4
	v_cmp_eq_u32_e32 vcc_lo, 1, v71
	v_cndmask_b32_e64 v22, v5, v13, s4
	v_cmp_eq_u32_e64 s4, 2, v70
	v_cndmask_b32_e64 v19, v1, v9, s3
	v_cndmask_b32_e64 v20, v5, v13, s3
	v_cndmask_b32_e32 v1, v1, v9, vcc_lo
	v_cmp_eq_u32_e64 s3, 2, v71
	v_cndmask_b32_e32 v5, v5, v13, vcc_lo
	v_cndmask_b32_e64 v9, v17, v2, s4
	v_cmp_eq_u32_e32 vcc_lo, 3, v70
	v_cndmask_b32_e64 v13, v18, v6, s4
	v_cmp_eq_u32_e64 s4, 2, v69
	v_cndmask_b32_e64 v17, v19, v2, s5
	v_cndmask_b32_e64 v18, v20, v6, s5
	v_cmp_eq_u32_e64 s5, 3, v69
	v_cndmask_b32_e64 v1, v1, v2, s3
	v_cndmask_b32_e64 v19, v21, v2, s4
	;; [unrolled: 1-line block ×4, first 2 shown]
	v_cndmask_b32_e32 v5, v9, v10, vcc_lo
	v_cndmask_b32_e32 v6, v13, v14, vcc_lo
	v_cmp_eq_u32_e32 vcc_lo, 3, v71
	v_cndmask_b32_e64 v9, v17, v10, s6
	v_cndmask_b32_e64 v13, v18, v14, s6
	;; [unrolled: 1-line block ×3, first 2 shown]
	v_cmp_eq_u32_e64 s4, 4, v70
	v_cndmask_b32_e32 v1, v1, v10, vcc_lo
	v_cndmask_b32_e32 v2, v2, v14, vcc_lo
	v_cmp_eq_u32_e32 vcc_lo, 4, v72
	v_lshrrev_b32_e32 v15, 16, v7
	v_lshrrev_b32_e32 v16, 16, v8
	v_cndmask_b32_e64 v17, v19, v10, s5
	v_cmp_eq_u32_e64 s3, 4, v71
	v_cndmask_b32_e64 v5, v5, v3, s4
	v_cndmask_b32_e64 v6, v6, v7, s4
	v_cndmask_b32_e32 v9, v9, v3, vcc_lo
	v_cmp_eq_u32_e64 s4, 5, v72
	v_cndmask_b32_e32 v10, v13, v7, vcc_lo
	v_cmp_eq_u32_e32 vcc_lo, 4, v69
	v_cmp_eq_u32_e64 s5, 5, v70
	v_cndmask_b32_e64 v2, v2, v7, s3
	v_cndmask_b32_e64 v9, v9, v11, s4
	v_cndmask_b32_e64 v10, v10, v15, s4
	v_cndmask_b32_e32 v13, v17, v3, vcc_lo
	v_cmp_eq_u32_e64 s4, 5, v69
	v_cndmask_b32_e32 v14, v18, v7, vcc_lo
	v_cndmask_b32_e64 v1, v1, v3, s3
	v_cmp_eq_u32_e32 vcc_lo, 5, v71
	v_lshrrev_b32_e32 v12, 16, v4
	v_cndmask_b32_e64 v13, v13, v11, s4
	v_cndmask_b32_e64 v3, v14, v15, s4
	v_cmp_eq_u32_e64 s4, 6, v71
	v_cndmask_b32_e32 v1, v1, v11, vcc_lo
	v_cndmask_b32_e64 v5, v5, v11, s5
	v_cmp_eq_u32_e64 s6, 6, v70
	v_cndmask_b32_e64 v6, v6, v15, s5
	v_cmp_eq_u32_e64 s5, 6, v72
	v_cmp_eq_u32_e64 s3, 6, v69
	v_cndmask_b32_e64 v1, v1, v4, s4
	v_cndmask_b32_e32 v2, v2, v15, vcc_lo
	v_cmp_eq_u32_e32 vcc_lo, 7, v71
	v_cndmask_b32_e64 v5, v5, v4, s6
	v_cndmask_b32_e64 v9, v9, v4, s5
	;; [unrolled: 1-line block ×3, first 2 shown]
	v_cmp_eq_u32_e64 s6, 7, v70
	v_cndmask_b32_e32 v1, v1, v12, vcc_lo
	v_cndmask_b32_e64 v7, v13, v4, s3
	v_cndmask_b32_e64 v3, v3, v8, s3
	;; [unrolled: 1-line block ×3, first 2 shown]
	v_cmp_eq_u32_e64 s3, 7, v69
	v_cndmask_b32_e64 v4, v10, v8, s5
	v_cndmask_b32_e64 v5, v5, v12, s6
	;; [unrolled: 1-line block ×3, first 2 shown]
	v_cndmask_b32_e32 v2, v2, v16, vcc_lo
	v_cndmask_b32_e64 v7, v7, v12, s3
	v_cndmask_b32_e64 v3, v3, v16, s3
	;; [unrolled: 1-line block ×4, first 2 shown]
	v_perm_b32 v4, v2, v1, 0x5040100
	s_mov_b32 s3, exec_lo
	v_perm_b32 v3, v3, v7, 0x5040100
	v_perm_b32 v2, v8, v9, 0x5040100
	;; [unrolled: 1-line block ×3, first 2 shown]
	ds_store_b128 v74, v[1:4]
	s_waitcnt lgkmcnt(0)
	s_barrier
	buffer_gl0_inv
	v_cmpx_gt_u32_e32 32, v0
	s_cbranch_execz .LBB1332_2
; %bb.15:
	s_load_b64 s[4:5], s[0:1], 0x68
	v_lshlrev_b32_e32 v0, 10, v0
	v_add_nc_u32_e32 v2, s31, v66
	v_lshlrev_b32_e32 v3, 4, v67
	s_lshl_b32 s0, s35, 7
	s_delay_alu instid0(SALU_CYCLE_1) | instskip(NEXT) | instid1(VALU_DEP_2)
	s_mul_i32 s1, s0, s34
	v_mul_lo_u32 v1, v2, s0
	s_delay_alu instid0(VALU_DEP_2)
	v_and_or_b32 v0, 0x3800, v0, v3
	v_add_nc_u32_e32 v3, 2, v2
	s_mul_i32 s6, s1, s8
	v_add_nc_u32_e32 v4, 4, v2
	s_ashr_i32 s7, s6, 31
	v_lshl_or_b32 v11, v66, 6, v0
	s_lshl_b64 s[6:7], s[6:7], 1
	v_mul_lo_u32 v15, v3, s0
	v_mul_lo_u32 v17, v4, s0
	v_ashrrev_i32_e32 v2, 31, v1
	ds_load_b128 v[3:6], v11
	ds_load_b128 v[7:10], v11 offset:128
	ds_load_b128 v[11:14], v11 offset:256
	s_waitcnt lgkmcnt(0)
	s_add_u32 s1, s4, s6
	s_addc_u32 s3, s5, s7
	s_lshl_b32 s4, s14, 7
	v_ashrrev_i32_e32 v16, 31, v15
	s_ashr_i32 s5, s4, 31
	v_lshlrev_b64 v[19:20], 1, v[1:2]
	s_lshl_b64 s[4:5], s[4:5], 1
	v_ashrrev_i32_e32 v18, 31, v17
	s_add_u32 s1, s1, s4
	s_addc_u32 s3, s3, s5
	v_add_co_u32 v1, s1, s1, v65
	s_delay_alu instid0(VALU_DEP_1) | instskip(SKIP_1) | instid1(VALU_DEP_3)
	v_add_co_ci_u32_e64 v2, null, s3, 0, s1
	v_lshlrev_b64 v[15:16], 1, v[15:16]
	v_add_co_u32 v19, vcc_lo, v1, v19
	v_lshlrev_b64 v[17:18], 1, v[17:18]
	s_delay_alu instid0(VALU_DEP_4) | instskip(NEXT) | instid1(VALU_DEP_4)
	v_add_co_ci_u32_e32 v20, vcc_lo, v2, v20, vcc_lo
	v_add_co_u32 v15, vcc_lo, v1, v15
	v_add_co_ci_u32_e32 v16, vcc_lo, v2, v16, vcc_lo
	s_delay_alu instid0(VALU_DEP_4)
	v_add_co_u32 v17, vcc_lo, v1, v17
	v_add_co_ci_u32_e32 v18, vcc_lo, v2, v18, vcc_lo
	s_clause 0x2
	global_store_b128 v[19:20], v[3:6], off
	global_store_b128 v[15:16], v[7:10], off
	;; [unrolled: 1-line block ×3, first 2 shown]
	s_and_b32 exec_lo, exec_lo, s2
	s_cbranch_execz .LBB1332_2
; %bb.16:
	ds_load_b128 v[3:6], v0 offset:384
	s_add_i32 s1, s31, 6
	s_delay_alu instid0(SALU_CYCLE_1) | instskip(NEXT) | instid1(SALU_CYCLE_1)
	s_mul_i32 s0, s1, s0
	s_ashr_i32 s1, s0, 31
	s_delay_alu instid0(SALU_CYCLE_1) | instskip(NEXT) | instid1(SALU_CYCLE_1)
	s_lshl_b64 s[0:1], s[0:1], 1
	v_add_co_u32 v0, vcc_lo, v1, s0
	v_add_co_ci_u32_e32 v1, vcc_lo, s1, v2, vcc_lo
	s_waitcnt lgkmcnt(0)
	global_store_b128 v[0:1], v[3:6], off
	s_nop 0
	s_sendmsg sendmsg(MSG_DEALLOC_VGPRS)
	s_endpgm
	.section	.rodata,"a",@progbits
	.p2align	6, 0x0
	.amdhsa_kernel _Z39paged_attention_ll4mi_QKV_mfma16_kernelIDF16_hLN4vllm18Fp8KVCacheDataTypeE1EDF16_Li32ELi128ELi256ELb0ELi7EL8MFMAType0EEvPKT_PKT0_S8_ifPKiSA_SA_iPKfiiiPfSD_PS3_PT2_iSC_SC_
		.amdhsa_group_segment_fixed_size 17472
		.amdhsa_private_segment_fixed_size 0
		.amdhsa_kernarg_size 400
		.amdhsa_user_sgpr_count 13
		.amdhsa_user_sgpr_dispatch_ptr 0
		.amdhsa_user_sgpr_queue_ptr 0
		.amdhsa_user_sgpr_kernarg_segment_ptr 1
		.amdhsa_user_sgpr_dispatch_id 0
		.amdhsa_user_sgpr_private_segment_size 0
		.amdhsa_wavefront_size32 1
		.amdhsa_uses_dynamic_stack 0
		.amdhsa_enable_private_segment 0
		.amdhsa_system_sgpr_workgroup_id_x 1
		.amdhsa_system_sgpr_workgroup_id_y 1
		.amdhsa_system_sgpr_workgroup_id_z 1
		.amdhsa_system_sgpr_workgroup_info 0
		.amdhsa_system_vgpr_workitem_id 0
		.amdhsa_next_free_vgpr 150
		.amdhsa_next_free_sgpr 37
		.amdhsa_reserve_vcc 1
		.amdhsa_float_round_mode_32 0
		.amdhsa_float_round_mode_16_64 0
		.amdhsa_float_denorm_mode_32 3
		.amdhsa_float_denorm_mode_16_64 3
		.amdhsa_dx10_clamp 1
		.amdhsa_ieee_mode 1
		.amdhsa_fp16_overflow 0
		.amdhsa_workgroup_processor_mode 1
		.amdhsa_memory_ordered 1
		.amdhsa_forward_progress 0
		.amdhsa_shared_vgpr_count 0
		.amdhsa_exception_fp_ieee_invalid_op 0
		.amdhsa_exception_fp_denorm_src 0
		.amdhsa_exception_fp_ieee_div_zero 0
		.amdhsa_exception_fp_ieee_overflow 0
		.amdhsa_exception_fp_ieee_underflow 0
		.amdhsa_exception_fp_ieee_inexact 0
		.amdhsa_exception_int_div_zero 0
	.end_amdhsa_kernel
	.section	.text._Z39paged_attention_ll4mi_QKV_mfma16_kernelIDF16_hLN4vllm18Fp8KVCacheDataTypeE1EDF16_Li32ELi128ELi256ELb0ELi7EL8MFMAType0EEvPKT_PKT0_S8_ifPKiSA_SA_iPKfiiiPfSD_PS3_PT2_iSC_SC_,"axG",@progbits,_Z39paged_attention_ll4mi_QKV_mfma16_kernelIDF16_hLN4vllm18Fp8KVCacheDataTypeE1EDF16_Li32ELi128ELi256ELb0ELi7EL8MFMAType0EEvPKT_PKT0_S8_ifPKiSA_SA_iPKfiiiPfSD_PS3_PT2_iSC_SC_,comdat
.Lfunc_end1332:
	.size	_Z39paged_attention_ll4mi_QKV_mfma16_kernelIDF16_hLN4vllm18Fp8KVCacheDataTypeE1EDF16_Li32ELi128ELi256ELb0ELi7EL8MFMAType0EEvPKT_PKT0_S8_ifPKiSA_SA_iPKfiiiPfSD_PS3_PT2_iSC_SC_, .Lfunc_end1332-_Z39paged_attention_ll4mi_QKV_mfma16_kernelIDF16_hLN4vllm18Fp8KVCacheDataTypeE1EDF16_Li32ELi128ELi256ELb0ELi7EL8MFMAType0EEvPKT_PKT0_S8_ifPKiSA_SA_iPKfiiiPfSD_PS3_PT2_iSC_SC_
                                        ; -- End function
	.section	.AMDGPU.csdata,"",@progbits
; Kernel info:
; codeLenInByte = 6708
; NumSgprs: 39
; NumVgprs: 150
; ScratchSize: 0
; MemoryBound: 0
; FloatMode: 240
; IeeeMode: 1
; LDSByteSize: 17472 bytes/workgroup (compile time only)
; SGPRBlocks: 4
; VGPRBlocks: 18
; NumSGPRsForWavesPerEU: 39
; NumVGPRsForWavesPerEU: 150
; Occupancy: 9
; WaveLimiterHint : 1
; COMPUTE_PGM_RSRC2:SCRATCH_EN: 0
; COMPUTE_PGM_RSRC2:USER_SGPR: 13
; COMPUTE_PGM_RSRC2:TRAP_HANDLER: 0
; COMPUTE_PGM_RSRC2:TGID_X_EN: 1
; COMPUTE_PGM_RSRC2:TGID_Y_EN: 1
; COMPUTE_PGM_RSRC2:TGID_Z_EN: 1
; COMPUTE_PGM_RSRC2:TIDIG_COMP_CNT: 0
	.section	.text._Z39paged_attention_ll4mi_QKV_mfma16_kernelIDF16_hLN4vllm18Fp8KVCacheDataTypeE1EDF16_Li32ELi128ELi256ELb0ELi8EL8MFMAType0EEvPKT_PKT0_S8_ifPKiSA_SA_iPKfiiiPfSD_PS3_PT2_iSC_SC_,"axG",@progbits,_Z39paged_attention_ll4mi_QKV_mfma16_kernelIDF16_hLN4vllm18Fp8KVCacheDataTypeE1EDF16_Li32ELi128ELi256ELb0ELi8EL8MFMAType0EEvPKT_PKT0_S8_ifPKiSA_SA_iPKfiiiPfSD_PS3_PT2_iSC_SC_,comdat
	.protected	_Z39paged_attention_ll4mi_QKV_mfma16_kernelIDF16_hLN4vllm18Fp8KVCacheDataTypeE1EDF16_Li32ELi128ELi256ELb0ELi8EL8MFMAType0EEvPKT_PKT0_S8_ifPKiSA_SA_iPKfiiiPfSD_PS3_PT2_iSC_SC_ ; -- Begin function _Z39paged_attention_ll4mi_QKV_mfma16_kernelIDF16_hLN4vllm18Fp8KVCacheDataTypeE1EDF16_Li32ELi128ELi256ELb0ELi8EL8MFMAType0EEvPKT_PKT0_S8_ifPKiSA_SA_iPKfiiiPfSD_PS3_PT2_iSC_SC_
	.globl	_Z39paged_attention_ll4mi_QKV_mfma16_kernelIDF16_hLN4vllm18Fp8KVCacheDataTypeE1EDF16_Li32ELi128ELi256ELb0ELi8EL8MFMAType0EEvPKT_PKT0_S8_ifPKiSA_SA_iPKfiiiPfSD_PS3_PT2_iSC_SC_
	.p2align	8
	.type	_Z39paged_attention_ll4mi_QKV_mfma16_kernelIDF16_hLN4vllm18Fp8KVCacheDataTypeE1EDF16_Li32ELi128ELi256ELb0ELi8EL8MFMAType0EEvPKT_PKT0_S8_ifPKiSA_SA_iPKfiiiPfSD_PS3_PT2_iSC_SC_,@function
_Z39paged_attention_ll4mi_QKV_mfma16_kernelIDF16_hLN4vllm18Fp8KVCacheDataTypeE1EDF16_Li32ELi128ELi256ELb0ELi8EL8MFMAType0EEvPKT_PKT0_S8_ifPKiSA_SA_iPKfiiiPfSD_PS3_PT2_iSC_SC_: ; @_Z39paged_attention_ll4mi_QKV_mfma16_kernelIDF16_hLN4vllm18Fp8KVCacheDataTypeE1EDF16_Li32ELi128ELi256ELb0ELi8EL8MFMAType0EEvPKT_PKT0_S8_ifPKiSA_SA_iPKfiiiPfSD_PS3_PT2_iSC_SC_
; %bb.0:
	s_load_b64 s[4:5], s[0:1], 0x30
	s_mov_b32 s30, s13
	s_waitcnt lgkmcnt(0)
	s_cmp_lg_u64 s[4:5], 0
	s_cselect_b32 s13, -1, 0
	s_ashr_i32 s31, s30, 31
	s_cmp_eq_u64 s[4:5], 0
	s_cbranch_scc1 .LBB1333_3
; %bb.1:
	s_lshl_b64 s[2:3], s[30:31], 2
	s_delay_alu instid0(SALU_CYCLE_1) | instskip(SKIP_4) | instid1(SALU_CYCLE_1)
	s_add_u32 s2, s4, s2
	s_addc_u32 s3, s5, s3
	s_load_b64 s[2:3], s[2:3], 0x0
	s_waitcnt lgkmcnt(0)
	s_sub_i32 s2, s3, s2
	s_cmp_eq_u32 s2, 1
	s_cselect_b32 s2, -1, 0
	s_delay_alu instid0(SALU_CYCLE_1)
	s_and_not1_b32 vcc_lo, exec_lo, s2
	s_cbranch_vccz .LBB1333_4
.LBB1333_2:
	s_endpgm
.LBB1333_3:
.LBB1333_4:
	s_load_b64 s[2:3], s[0:1], 0x28
	s_lshl_b64 s[6:7], s[30:31], 2
	s_waitcnt lgkmcnt(0)
	s_add_u32 s2, s2, s6
	s_addc_u32 s3, s3, s7
	s_lshl_b32 s12, s14, 8
	s_load_b32 s17, s[2:3], 0x0
	s_waitcnt lgkmcnt(0)
	s_cmp_ge_i32 s12, s17
	s_cbranch_scc1 .LBB1333_2
; %bb.5:
	s_clause 0x1
	s_load_b128 s[8:11], s[0:1], 0x8
	s_load_b64 s[2:3], s[0:1], 0x20
	s_and_not1_b32 vcc_lo, exec_lo, s13
	s_cbranch_vccnz .LBB1333_7
; %bb.6:
	s_add_u32 s4, s4, s6
	s_addc_u32 s5, s5, s7
	s_load_b32 s13, s[4:5], 0x0
	s_branch .LBB1333_8
.LBB1333_7:
	s_mov_b32 s13, s30
.LBB1333_8:
	s_load_b128 s[4:7], s[0:1], 0x48
	v_and_b32_e32 v69, 15, v0
	v_lshrrev_b32_e32 v68, 5, v0
	v_and_b32_e32 v70, 31, v0
	v_and_b32_e32 v67, 1, v0
	v_bfe_u32 v66, v0, 4, 1
	v_lshlrev_b32_e32 v1, 3, v69
	s_lshl_b32 s31, s15, 3
	s_waitcnt lgkmcnt(0)
	s_mov_b32 s7, exec_lo
	s_delay_alu instid0(VALU_DEP_1)
	v_lshlrev_b32_e32 v65, 1, v1
	v_cmpx_gt_u32_e32 0x80, v0
	s_cbranch_execz .LBB1333_10
; %bb.9:
	v_lshl_or_b32 v5, v68, 1, v66
	s_load_b64 s[18:19], s[0:1], 0x0
	s_mul_hi_i32 s21, s13, s4
	s_mul_i32 s20, s13, s4
	v_lshlrev_b32_e32 v6, 10, v69
	v_or_b32_e32 v1, s31, v5
	s_lshl_b64 s[20:21], s[20:21], 1
	v_lshlrev_b32_e32 v5, 6, v5
	v_lshlrev_b32_e32 v7, 10, v67
	v_and_b32_e32 v6, 0x3800, v6
	v_lshlrev_b32_e32 v1, 7, v1
	s_delay_alu instid0(VALU_DEP_2) | instskip(NEXT) | instid1(VALU_DEP_2)
	v_or3_b32 v5, v6, v7, v5
	v_ashrrev_i32_e32 v2, 31, v1
	s_delay_alu instid0(VALU_DEP_1) | instskip(SKIP_3) | instid1(VALU_DEP_1)
	v_lshlrev_b64 v[1:2], 1, v[1:2]
	s_waitcnt lgkmcnt(0)
	s_add_u32 s4, s18, s20
	s_addc_u32 s13, s19, s21
	v_add_co_u32 v1, vcc_lo, s4, v1
	s_delay_alu instid0(VALU_DEP_2) | instskip(NEXT) | instid1(VALU_DEP_2)
	v_add_co_ci_u32_e32 v2, vcc_lo, s13, v2, vcc_lo
	v_add_co_u32 v1, vcc_lo, v1, v65
	s_delay_alu instid0(VALU_DEP_2)
	v_add_co_ci_u32_e32 v2, vcc_lo, 0, v2, vcc_lo
	global_load_b128 v[1:4], v[1:2], off
	s_waitcnt vmcnt(0)
	ds_store_b128 v5, v[1:4]
.LBB1333_10:
	s_or_b32 exec_lo, exec_lo, s7
	v_and_b32_e32 v1, 0xef, v0
	s_add_i32 s4, s17, 31
	s_clause 0x1
	s_load_b32 s7, s[0:1], 0x38
	s_load_b32 s33, s[0:1], 0x98
	s_ashr_i32 s13, s4, 31
	v_add_nc_u32_e32 v1, s12, v1
	s_lshr_b32 s13, s13, 27
	s_load_b32 s18, s[0:1], 0x1c
	s_add_i32 s4, s4, s13
	s_waitcnt lgkmcnt(0)
	v_ashrrev_i32_e32 v2, 31, v1
	v_or_b32_e32 v3, 16, v1
	s_ashr_i32 s4, s4, 5
	v_cmp_gt_i32_e32 vcc_lo, s17, v1
	s_add_i32 s4, s4, -1
	v_lshrrev_b32_e32 v2, 27, v2
	s_barrier
	buffer_gl0_inv
	s_mul_i32 s15, s15, s6
	v_add_nc_u32_e32 v4, v1, v2
	s_mul_i32 s20, s30, s7
	s_delay_alu instid0(SALU_CYCLE_1) | instskip(NEXT) | instid1(VALU_DEP_1)
	s_ashr_i32 s21, s20, 31
	v_ashrrev_i32_e32 v4, 5, v4
	v_add_nc_u32_e32 v2, v3, v2
	s_lshl_b64 s[20:21], s[20:21], 2
	s_delay_alu instid0(SALU_CYCLE_1) | instskip(NEXT) | instid1(VALU_DEP_2)
	s_add_u32 s13, s2, s20
	v_cndmask_b32_e32 v1, s4, v4, vcc_lo
	s_delay_alu instid0(VALU_DEP_2)
	v_ashrrev_i32_e32 v2, 5, v2
	v_cmp_gt_i32_e32 vcc_lo, s17, v3
	s_addc_u32 s16, s3, s21
	s_ashr_i32 s19, s15, 31
	s_add_u32 s2, s8, s15
	s_addc_u32 s3, s9, s19
	v_cndmask_b32_e32 v3, s4, v2, vcc_lo
	v_ashrrev_i32_e32 v2, 31, v1
	s_lshl_b32 s6, s14, 3
	s_delay_alu instid0(SALU_CYCLE_1) | instskip(NEXT) | instid1(VALU_DEP_2)
	s_ashr_i32 s7, s6, 31
	v_ashrrev_i32_e32 v4, 31, v3
	s_delay_alu instid0(VALU_DEP_2) | instskip(SKIP_1) | instid1(SALU_CYCLE_1)
	v_lshlrev_b64 v[1:2], 2, v[1:2]
	s_lshl_b64 s[6:7], s[6:7], 2
	s_add_u32 s6, s13, s6
	s_delay_alu instid0(VALU_DEP_2) | instskip(SKIP_1) | instid1(VALU_DEP_2)
	v_lshlrev_b64 v[3:4], 2, v[3:4]
	s_addc_u32 s7, s16, s7
	v_add_co_u32 v1, vcc_lo, s13, v1
	v_add_co_ci_u32_e32 v2, vcc_lo, s16, v2, vcc_lo
	s_delay_alu instid0(VALU_DEP_3) | instskip(NEXT) | instid1(VALU_DEP_4)
	v_add_co_u32 v3, vcc_lo, s13, v3
	v_add_co_ci_u32_e32 v4, vcc_lo, s16, v4, vcc_lo
	s_clause 0x1
	global_load_b32 v5, v[1:2], off
	global_load_b32 v6, v[3:4], off
	s_or_b32 s8, s12, 32
	s_delay_alu instid0(SALU_CYCLE_1) | instskip(SKIP_2) | instid1(SALU_CYCLE_1)
	s_ashr_i32 s9, s8, 5
	s_cmp_lt_i32 s8, s17
	s_cselect_b32 s8, s9, s4
	s_ashr_i32 s9, s8, 31
	s_delay_alu instid0(SALU_CYCLE_1) | instskip(NEXT) | instid1(SALU_CYCLE_1)
	s_lshl_b64 s[8:9], s[8:9], 2
	s_add_u32 s8, s13, s8
	s_addc_u32 s9, s16, s9
	s_or_b32 s20, s12, 64
	s_delay_alu instid0(SALU_CYCLE_1) | instskip(SKIP_2) | instid1(SALU_CYCLE_1)
	s_ashr_i32 s21, s20, 5
	s_cmp_lt_i32 s20, s17
	s_cselect_b32 s20, s21, s4
	s_ashr_i32 s21, s20, 31
	s_delay_alu instid0(SALU_CYCLE_1) | instskip(NEXT) | instid1(SALU_CYCLE_1)
	s_lshl_b64 s[20:21], s[20:21], 2
	s_add_u32 s20, s13, s20
	s_addc_u32 s21, s16, s21
	;; [unrolled: 10-line block ×5, first 2 shown]
	s_clause 0x5
	s_load_b32 s28, s[6:7], 0x0
	s_load_b32 s8, s[8:9], 0x0
	;; [unrolled: 1-line block ×6, first 2 shown]
	s_mov_b32 s20, 0
	s_delay_alu instid0(SALU_CYCLE_1)
	s_mov_b32 s21, s20
	s_mov_b32 s22, s20
	s_mov_b32 s23, s20
	s_mov_b32 s24, s20
	s_mov_b32 s25, s20
	s_mov_b32 s26, s20
	s_mov_b32 s27, s20
	s_delay_alu instid0(SALU_CYCLE_1)
	v_dual_mov_b32 v102, s27 :: v_dual_mov_b32 v101, s26
	v_dual_mov_b32 v100, s25 :: v_dual_mov_b32 v99, s24
	v_mov_b32_e32 v97, s22
	v_dual_mov_b32 v95, s20 :: v_dual_mov_b32 v98, s23
	v_mov_b32_e32 v96, s21
	s_waitcnt vmcnt(1)
	v_mad_i64_i32 v[1:2], null, v5, s5, s[2:3]
	v_lshlrev_b32_e32 v5, 4, v69
	s_waitcnt vmcnt(0)
	v_mad_i64_i32 v[3:4], null, v6, s5, s[2:3]
	s_or_b32 s2, s12, 0xc0
	s_delay_alu instid0(SALU_CYCLE_1) | instskip(NEXT) | instid1(VALU_DEP_3)
	s_ashr_i32 s3, s2, 5
	v_add_co_u32 v33, vcc_lo, v1, v5
	s_delay_alu instid0(VALU_DEP_4) | instskip(NEXT) | instid1(VALU_DEP_3)
	v_add_co_ci_u32_e32 v34, vcc_lo, 0, v2, vcc_lo
	v_add_co_u32 v35, vcc_lo, v3, v5
	s_delay_alu instid0(VALU_DEP_4)
	v_add_co_ci_u32_e32 v36, vcc_lo, 0, v4, vcc_lo
	s_clause 0xf
	global_load_b128 v[1:4], v[33:34], off
	global_load_b128 v[5:8], v[33:34], off offset:512
	global_load_b128 v[9:12], v[35:36], off offset:256
	;; [unrolled: 1-line block ×15, first 2 shown]
	s_cmp_lt_i32 s2, s17
	v_and_b32_e32 v33, 7, v0
	s_cselect_b32 s2, s3, s4
	v_lshlrev_b32_e32 v34, 5, v69
	s_ashr_i32 s3, s2, 31
	s_delay_alu instid0(SALU_CYCLE_1)
	s_lshl_b64 s[2:3], s[2:3], 2
	v_lshlrev_b32_e32 v139, 6, v33
	s_add_u32 s2, s13, s2
	s_addc_u32 s3, s16, s3
	s_or_b32 s6, s12, 0xe0
	v_lshl_or_b32 v41, v68, 9, v34
	s_ashr_i32 s7, s6, 5
	s_cmp_lt_i32 s6, s17
	ds_load_b128 v[33:36], v139
	ds_load_b128 v[37:40], v139 offset:1024
	s_cselect_b32 s6, s7, s4
	ds_load_b128 v[103:106], v139 offset:2048
	ds_load_b128 v[107:110], v139 offset:3072
	s_ashr_i32 s7, s6, 31
	s_load_b32 s4, s[2:3], 0x0
	s_lshl_b64 s[6:7], s[6:7], 2
	ds_load_b128 v[111:114], v139 offset:4096
	ds_load_b128 v[115:118], v139 offset:5120
	s_add_u32 s2, s13, s6
	s_addc_u32 s3, s16, s7
	s_add_u32 s6, s10, s15
	s_load_b32 s2, s[2:3], 0x0
	s_addc_u32 s7, s11, s19
	v_add_co_u32 v127, s6, s6, v41
	s_delay_alu instid0(VALU_DEP_1) | instskip(SKIP_1) | instid1(VALU_DEP_1)
	v_add_co_ci_u32_e64 v128, null, s7, 0, s6
	s_waitcnt lgkmcnt(0)
	v_mad_i64_i32 v[41:42], null, s28, s5, v[127:128]
	v_mad_i64_i32 v[129:130], null, s9, s5, v[127:128]
	;; [unrolled: 1-line block ×7, first 2 shown]
	s_clause 0x3
	global_load_b128 v[49:52], v[41:42], off
	global_load_b128 v[53:56], v[41:42], off offset:16
	global_load_b128 v[41:44], v[45:46], off
	global_load_b128 v[45:48], v[45:46], off offset:16
	s_waitcnt vmcnt(18)
	v_wmma_f32_16x16x16_f16 v[119:126], v[1:8], v[33:40], v[95:102]
	s_waitcnt vmcnt(16)
	v_wmma_f32_16x16x16_f16 v[95:102], v[9:16], v[33:40], v[95:102]
	s_clause 0x3
	global_load_b128 v[33:36], v[129:130], off
	global_load_b128 v[37:40], v[129:130], off offset:16
	global_load_b128 v[1:4], v[131:132], off
	global_load_b128 v[5:8], v[131:132], off offset:16
	s_waitcnt vmcnt(18)
	v_wmma_f32_16x16x16_f16 v[119:126], v[17:24], v[103:110], v[119:126]
	s_clause 0x3
	global_load_b128 v[9:12], v[133:134], off
	global_load_b128 v[13:16], v[133:134], off offset:16
	global_load_b128 v[17:20], v[135:136], off
	global_load_b128 v[21:24], v[135:136], off offset:16
	s_waitcnt vmcnt(20)
	v_wmma_f32_16x16x16_f16 v[95:102], v[25:32], v[103:110], v[95:102]
	v_mad_i64_i32 v[103:104], null, s2, s5, v[127:128]
	s_waitcnt vmcnt(18)
	v_wmma_f32_16x16x16_f16 v[119:126], v[57:64], v[111:118], v[119:126]
	s_clause 0x3
	global_load_b128 v[25:28], v[137:138], off
	global_load_b128 v[29:32], v[137:138], off offset:16
	global_load_b128 v[57:60], v[103:104], off
	global_load_b128 v[61:64], v[103:104], off offset:16
	s_waitcnt vmcnt(20)
	v_wmma_f32_16x16x16_f16 v[95:102], v[71:78], v[111:118], v[95:102]
	ds_load_b128 v[71:74], v139 offset:6144
	ds_load_b128 v[75:78], v139 offset:7168
	v_mbcnt_lo_u32_b32 v104, -1, 0
	s_waitcnt vmcnt(0) lgkmcnt(0)
	s_barrier
	buffer_gl0_inv
	v_xor_b32_e32 v105, 16, v104
	s_delay_alu instid0(VALU_DEP_1) | instskip(SKIP_4) | instid1(VALU_DEP_2)
	v_cmp_gt_i32_e32 vcc_lo, 32, v105
	v_cndmask_b32_e32 v104, v104, v105, vcc_lo
	v_wmma_f32_16x16x16_f16 v[119:126], v[79:86], v[71:78], v[119:126]
	v_and_b32_e32 v103, 0xe0, v0
	v_wmma_f32_16x16x16_f16 v[95:102], v[87:94], v[71:78], v[95:102]
	v_dual_mul_f32 v78, s18, v121 :: v_dual_add_nc_u32 v103, s12, v103
	s_delay_alu instid0(VALU_DEP_2) | instskip(SKIP_1) | instid1(VALU_DEP_3)
	v_dual_mul_f32 v90, s18, v101 :: v_dual_mul_f32 v87, s18, v120
	v_dual_mul_f32 v88, s18, v119 :: v_dual_mul_f32 v77, s18, v122
	v_or_b32_e32 v103, v103, v66
	v_dual_mul_f32 v75, s18, v124 :: v_dual_mul_f32 v94, s18, v97
	v_dual_mul_f32 v76, s18, v123 :: v_dual_mul_f32 v73, s18, v126
	v_mul_f32_e32 v92, s18, v99
	s_delay_alu instid0(VALU_DEP_4)
	v_or_b32_e32 v105, 2, v103
	v_or_b32_e32 v106, 4, v103
	;; [unrolled: 1-line block ×3, first 2 shown]
	v_cmp_gt_i32_e64 s2, s17, v103
	v_or_b32_e32 v108, 8, v103
	v_cmp_gt_i32_e32 vcc_lo, s17, v105
	v_or_b32_e32 v109, 10, v103
	v_cmp_gt_i32_e64 s3, s17, v106
	v_cndmask_b32_e64 v88, 0xff7fffff, v88, s2
	v_cmp_gt_i32_e64 s4, s17, v107
	v_cndmask_b32_e32 v87, 0xff7fffff, v87, vcc_lo
	v_or_b32_e32 v79, 12, v103
	v_or_b32_e32 v80, 14, v103
	v_cndmask_b32_e64 v78, 0xff7fffff, v78, s3
	v_cndmask_b32_e64 v77, 0xff7fffff, v77, s4
	v_max3_f32 v87, v88, 0xff7fffff, v87
	v_cmp_gt_i32_e64 s5, s17, v108
	v_cmp_gt_i32_e64 s6, s17, v109
	v_or_b32_e32 v81, 16, v103
	v_or_b32_e32 v82, 18, v103
	v_mul_f32_e32 v74, s18, v125
	v_cndmask_b32_e64 v76, 0xff7fffff, v76, s5
	v_cndmask_b32_e64 v75, 0xff7fffff, v75, s6
	v_max3_f32 v77, v87, v78, v77
	v_cmp_gt_i32_e64 s7, s17, v79
	v_cmp_gt_i32_e64 s8, s17, v80
	v_or_b32_e32 v83, 20, v103
	v_or_b32_e32 v84, 22, v103
	;; [unrolled: 1-line block ×6, first 2 shown]
	v_mul_f32_e32 v105, s18, v96
	v_mul_f32_e32 v103, s18, v95
	v_cndmask_b32_e64 v74, 0xff7fffff, v74, s7
	v_cndmask_b32_e64 v73, 0xff7fffff, v73, s8
	v_max3_f32 v75, v77, v76, v75
	v_cmp_gt_i32_e64 s9, s17, v81
	v_cmp_gt_i32_e64 s10, s17, v82
	v_mul_f32_e32 v93, s18, v98
	v_cmp_gt_i32_e64 s11, s17, v83
	v_max3_f32 v73, v75, v74, v73
	v_cndmask_b32_e64 v76, 0xff7fffff, v103, s9
	v_cndmask_b32_e64 v77, 0xff7fffff, v105, s10
	v_cmp_gt_i32_e64 s12, s17, v84
	v_mul_f32_e32 v91, s18, v100
	v_cndmask_b32_e64 v74, 0xff7fffff, v94, s11
	v_cmp_gt_i32_e64 s13, s17, v85
	v_max3_f32 v73, v73, v76, v77
	v_cndmask_b32_e64 v75, 0xff7fffff, v93, s12
	v_cmp_gt_i32_e64 s15, s17, v86
	v_mul_f32_e32 v89, s18, v102
	v_cndmask_b32_e64 v76, 0xff7fffff, v92, s13
	v_cmp_gt_i32_e64 s16, s17, v71
	v_max3_f32 v73, v73, v74, v75
	v_cndmask_b32_e64 v77, 0xff7fffff, v91, s15
	v_cmp_gt_i32_e64 s17, s17, v72
	v_lshlrev_b32_e32 v74, 2, v104
	v_cndmask_b32_e64 v71, 0xff7fffff, v90, s16
	s_delay_alu instid0(VALU_DEP_4) | instskip(NEXT) | instid1(VALU_DEP_4)
	v_max3_f32 v73, v73, v76, v77
	v_cndmask_b32_e64 v72, 0xff7fffff, v89, s17
	s_delay_alu instid0(VALU_DEP_1) | instskip(SKIP_3) | instid1(VALU_DEP_1)
	v_max3_f32 v71, v73, v71, v72
	ds_bpermute_b32 v72, v74, v71
	s_waitcnt lgkmcnt(0)
	v_max_f32_e32 v72, v72, v72
	v_max_f32_e32 v71, v71, v72
	s_delay_alu instid0(VALU_DEP_1)
	v_fma_f32 v72, s18, v119, -v71
	v_fma_f32 v76, s18, v122, -v71
	;; [unrolled: 1-line block ×5, first 2 shown]
	v_mul_f32_e32 v72, 0x3fb8aa3b, v72
	v_mul_f32_e32 v76, 0x3fb8aa3b, v76
	v_fma_f32 v75, s18, v121, -v71
	v_mul_f32_e32 v79, 0x3fb8aa3b, v77
	v_mul_f32_e32 v85, 0x3fb8aa3b, v84
	v_exp_f32_e32 v72, v72
	v_exp_f32_e32 v76, v76
	v_fma_f32 v86, s18, v98, -v71
	v_exp_f32_e32 v82, v79
	v_exp_f32_e32 v85, v85
	v_fma_f32 v81, s18, v125, -v71
	s_delay_alu instid0(VALU_DEP_2) | instskip(SKIP_3) | instid1(TRANS32_DEP_3)
	v_mul_f32_e32 v87, 0x3fb8aa3b, v86
	v_cndmask_b32_e64 v78, 0, v72, s2
	v_fma_f32 v72, s18, v124, -v71
	v_mul_f32_e32 v73, 0x3fb8aa3b, v73
	v_cndmask_b32_e64 v79, 0, v76, s4
	v_fma_f32 v76, s18, v95, -v71
	s_delay_alu instid0(VALU_DEP_4) | instskip(NEXT) | instid1(VALU_DEP_4)
	v_dual_mul_f32 v75, 0x3fb8aa3b, v75 :: v_dual_mul_f32 v72, 0x3fb8aa3b, v72
	v_exp_f32_e32 v73, v73
	v_exp_f32_e32 v87, v87
	s_delay_alu instid0(VALU_DEP_2) | instskip(NEXT) | instid1(VALU_DEP_2)
	v_mul_f32_e32 v76, 0x3fb8aa3b, v76
	v_exp_f32_e32 v75, v75
	v_cndmask_b32_e64 v85, 0, v85, s10
	v_mul_f32_e32 v81, 0x3fb8aa3b, v81
	v_exp_f32_e32 v72, v72
	v_cndmask_b32_e64 v82, 0, v82, s5
	v_exp_f32_e32 v76, v76
	s_mov_b32 s2, exec_lo
	v_cndmask_b32_e32 v77, 0, v73, vcc_lo
	v_add_f32_e32 v73, 0, v78
	v_cndmask_b32_e64 v87, 0, v87, s12
	v_cndmask_b32_e64 v80, 0, v75, s3
	v_fma_f32 v75, s18, v126, -v71
	v_exp_f32_e32 v83, v81
	v_add_f32_e32 v73, v73, v77
	v_cndmask_b32_e64 v81, 0, v72, s6
	v_cndmask_b32_e64 v86, 0, v76, s9
	v_mul_f32_e32 v75, 0x3fb8aa3b, v75
	s_delay_alu instid0(VALU_DEP_4) | instskip(NEXT) | instid1(VALU_DEP_2)
	v_add_f32_e32 v73, v73, v80
	v_exp_f32_e32 v75, v75
	s_delay_alu instid0(TRANS32_DEP_2) | instskip(NEXT) | instid1(VALU_DEP_2)
	v_cndmask_b32_e64 v84, 0, v83, s7
	v_add_f32_e32 v73, v73, v79
	s_delay_alu instid0(VALU_DEP_1) | instskip(SKIP_3) | instid1(VALU_DEP_1)
	v_add_f32_e32 v72, v73, v82
	s_waitcnt_depctr 0xfff
	v_cndmask_b32_e64 v83, 0, v75, s8
	v_add_f32_e32 v72, v72, v81
	v_add_f32_e32 v72, v72, v84
	s_delay_alu instid0(VALU_DEP_1) | instskip(NEXT) | instid1(VALU_DEP_1)
	v_add_f32_e32 v72, v72, v83
	v_add_f32_e32 v72, v72, v86
	v_fma_f32 v73, s18, v97, -v71
	v_fma_f32 v75, s18, v99, -v71
	;; [unrolled: 1-line block ×4, first 2 shown]
	v_add_f32_e32 v72, v72, v85
	v_mul_f32_e32 v73, 0x3fb8aa3b, v73
	s_delay_alu instid0(VALU_DEP_4) | instskip(NEXT) | instid1(VALU_DEP_2)
	v_dual_mul_f32 v75, 0x3fb8aa3b, v75 :: v_dual_mul_f32 v76, 0x3fb8aa3b, v76
	v_exp_f32_e32 v73, v73
	s_delay_alu instid0(VALU_DEP_1) | instskip(NEXT) | instid1(VALU_DEP_1)
	v_exp_f32_e32 v75, v75
	v_exp_f32_e32 v76, v76
	s_delay_alu instid0(TRANS32_DEP_3)
	v_cndmask_b32_e64 v88, 0, v73, s11
	v_mul_f32_e32 v73, 0x3fb8aa3b, v89
	v_fma_f32 v89, s18, v102, -v71
	s_waitcnt_depctr 0xfff
	v_cndmask_b32_e64 v90, 0, v75, s13
	v_add_f32_e32 v72, v72, v88
	v_exp_f32_e32 v73, v73
	v_mul_f32_e32 v75, 0x3fb8aa3b, v89
	v_cndmask_b32_e64 v89, 0, v76, s15
	s_delay_alu instid0(VALU_DEP_3) | instskip(NEXT) | instid1(VALU_DEP_3)
	v_add_f32_e32 v72, v72, v87
	v_exp_f32_e32 v75, v75
	s_delay_alu instid0(VALU_DEP_1) | instskip(SKIP_4) | instid1(VALU_DEP_2)
	v_add_f32_e32 v72, v72, v90
	s_waitcnt_depctr 0xfff
	v_cndmask_b32_e64 v92, 0, v73, s16
	v_add_f32_e32 v72, v72, v89
	v_cndmask_b32_e64 v91, 0, v75, s17
	v_add_f32_e32 v72, v72, v92
	s_delay_alu instid0(VALU_DEP_1)
	v_add_f32_e32 v72, v72, v91
	ds_bpermute_b32 v73, v74, v72
	v_cmpx_gt_u32_e32 16, v70
	s_cbranch_execz .LBB1333_12
; %bb.11:
	v_mul_u32_u24_e32 v70, 0x44, v68
	s_waitcnt lgkmcnt(0)
	v_add_f32_e32 v72, v72, v73
	s_delay_alu instid0(VALU_DEP_2) | instskip(NEXT) | instid1(VALU_DEP_1)
	v_lshl_add_u32 v70, v69, 2, v70
	v_add_nc_u32_e32 v70, 0x4000, v70
	ds_store_2addr_b32 v70, v71, v72 offset1:136
.LBB1333_12:
	s_or_b32 exec_lo, exec_lo, s2
	v_lshlrev_b32_e32 v70, 2, v69
	s_load_b32 s34, s[0:1], 0x94
	s_waitcnt lgkmcnt(0)
	s_barrier
	buffer_gl0_inv
	v_add_nc_u32_e32 v74, 0x4000, v70
	v_cmp_eq_u32_e32 vcc_lo, 1, v68
	v_cmp_eq_u32_e64 s2, 2, v68
	v_cmp_eq_u32_e64 s3, 3, v68
	;; [unrolled: 1-line block ×3, first 2 shown]
	ds_load_2addr_b32 v[70:71], v74 offset1:17
	ds_load_2addr_b32 v[72:73], v74 offset0:34 offset1:51
	ds_load_2addr_b32 v[93:94], v74 offset0:68 offset1:85
	;; [unrolled: 1-line block ×3, first 2 shown]
	v_cmp_eq_u32_e64 s5, 5, v68
	v_cmp_eq_u32_e64 s6, 7, v68
	s_waitcnt lgkmcnt(3)
	v_max3_f32 v75, v70, 0xff7fffff, v71
	s_waitcnt lgkmcnt(2)
	s_delay_alu instid0(VALU_DEP_1) | instskip(SKIP_1) | instid1(VALU_DEP_1)
	v_max3_f32 v75, v75, v72, v73
	s_waitcnt lgkmcnt(1)
	v_max3_f32 v75, v75, v93, v94
	s_waitcnt lgkmcnt(0)
	s_delay_alu instid0(VALU_DEP_1) | instskip(NEXT) | instid1(VALU_DEP_1)
	v_max3_f32 v75, v75, v95, v96
	v_sub_f32_e32 v93, v93, v75
	ds_load_2addr_b32 v[97:98], v74 offset0:136 offset1:153
	v_sub_f32_e32 v70, v70, v75
	v_dual_sub_f32 v100, v73, v75 :: v_dual_mul_f32 v103, 0x3fb8aa3b, v93
	s_delay_alu instid0(VALU_DEP_2) | instskip(SKIP_3) | instid1(VALU_DEP_1)
	v_dual_sub_f32 v76, v71, v75 :: v_dual_mul_f32 v99, 0x3fb8aa3b, v70
	ds_load_2addr_b32 v[70:71], v74 offset0:170 offset1:187
	v_mul_f32_e32 v76, 0x3fb8aa3b, v76
	v_exp_f32_e32 v99, v99
	v_exp_f32_e32 v102, v76
	v_mul_f32_e32 v100, 0x3fb8aa3b, v100
	s_waitcnt lgkmcnt(1)
	s_waitcnt_depctr 0xfff
	v_fma_f32 v76, v99, v97, 0
	v_sub_f32_e32 v97, v94, v75
	v_sub_f32_e32 v72, v72, v75
	v_exp_f32_e32 v100, v100
	ds_load_2addr_b32 v[93:94], v74 offset0:238 offset1:255
	v_dual_fmac_f32 v76, v102, v98 :: v_dual_mul_f32 v101, 0x3fb8aa3b, v72
	ds_load_2addr_b32 v[72:73], v74 offset0:204 offset1:221
	v_dual_sub_f32 v74, v95, v75 :: v_dual_mul_f32 v95, 0x3fb8aa3b, v97
	v_exp_f32_e32 v97, v103
	v_exp_f32_e32 v101, v101
	s_waitcnt lgkmcnt(0)
	s_barrier
	v_exp_f32_e32 v95, v95
	buffer_gl0_inv
	v_fmac_f32_e32 v76, v101, v70
	v_sub_f32_e32 v70, v96, v75
	s_delay_alu instid0(VALU_DEP_2) | instskip(NEXT) | instid1(VALU_DEP_2)
	v_fmac_f32_e32 v76, v100, v71
	v_mul_f32_e32 v70, 0x3fb8aa3b, v70
	s_delay_alu instid0(VALU_DEP_2)
	v_dual_cndmask_b32 v71, v99, v102 :: v_dual_fmac_f32 v76, v97, v72
	v_lshlrev_b32_e32 v72, 6, v69
	v_lshlrev_b32_e32 v69, 2, v66
	v_mul_f32_e32 v74, 0x3fb8aa3b, v74
	v_exp_f32_e32 v98, v70
	v_fmac_f32_e32 v76, v95, v73
	s_delay_alu instid0(VALU_DEP_3) | instskip(NEXT) | instid1(VALU_DEP_3)
	v_cmp_eq_u32_e64 s7, 7, v69
	v_exp_f32_e32 v96, v74
	v_lshl_or_b32 v74, v68, 11, v72
	s_waitcnt_depctr 0xfff
	v_fmac_f32_e32 v76, v96, v93
	s_delay_alu instid0(VALU_DEP_1) | instskip(NEXT) | instid1(VALU_DEP_1)
	v_fmac_f32_e32 v76, v98, v94
	v_add_f32_e32 v73, 0x358637bd, v76
	s_delay_alu instid0(VALU_DEP_1) | instskip(SKIP_1) | instid1(VALU_DEP_2)
	v_div_scale_f32 v93, null, v73, v73, 1.0
	v_div_scale_f32 v99, vcc_lo, 1.0, v73, 1.0
	v_rcp_f32_e32 v94, v93
	s_waitcnt_depctr 0xfff
	v_fma_f32 v70, -v93, v94, 1.0
	s_delay_alu instid0(VALU_DEP_1)
	v_fmac_f32_e32 v94, v70, v94
	v_cndmask_b32_e64 v70, v71, v101, s2
	v_cmp_eq_u32_e64 s2, 6, v68
	v_or_b32_e32 v71, 1, v69
	v_or_b32_e32 v68, 2, v69
	v_mul_f32_e32 v101, v99, v94
	v_cndmask_b32_e64 v70, v70, v100, s3
	v_cmp_eq_u32_e64 s3, 1, v69
	v_cmp_eq_u32_e64 s8, 1, v71
	;; [unrolled: 1-line block ×3, first 2 shown]
	v_fma_f32 v100, -v93, v101, v99
	v_cndmask_b32_e64 v70, v70, v97, s4
	v_cmp_eq_u32_e64 s4, 2, v69
	v_cmp_eq_u32_e64 s11, 2, v71
	;; [unrolled: 1-line block ×3, first 2 shown]
	v_fmac_f32_e32 v101, v100, v94
	v_cndmask_b32_e64 v95, v70, v95, s5
	v_or_b32_e32 v70, 3, v69
	v_cmp_eq_u32_e64 s12, 3, v71
	v_cmp_eq_u32_e64 s16, 3, v68
	v_fma_f32 v93, -v93, v101, v99
	v_cndmask_b32_e64 v95, v95, v96, s2
	v_cmp_eq_u32_e64 s10, 1, v70
	v_cmp_eq_u32_e64 s15, 2, v70
	;; [unrolled: 1-line block ×3, first 2 shown]
	v_div_fmas_f32 v93, v93, v94, v101
	v_cndmask_b32_e64 v94, v95, v98, s6
	v_cmp_eq_u32_e32 vcc_lo, 3, v69
	v_cmp_eq_u32_e64 s2, 4, v69
	v_cmp_eq_u32_e64 s18, 4, v71
	v_div_fixup_f32 v93, v93, v73, 1.0
	v_lshl_or_b32 v73, v66, 4, v74
	v_cmp_eq_u32_e64 s21, 4, v70
	v_cmp_eq_u32_e64 s5, 5, v69
	;; [unrolled: 1-line block ×3, first 2 shown]
	v_mul_f32_e32 v101, v94, v93
	v_cmp_eq_u32_e64 s20, 4, v68
	v_cmp_eq_u32_e64 s23, 5, v70
	;; [unrolled: 1-line block ×4, first 2 shown]
	v_fma_mixlo_f16 v93, v101, v78, 0
	v_fma_mixlo_f16 v94, v101, v80, 0
	;; [unrolled: 1-line block ×8, first 2 shown]
	v_fma_mixhi_f16 v93, v101, v77, 0
	v_fma_mixhi_f16 v94, v101, v79, 0
	;; [unrolled: 1-line block ×8, first 2 shown]
	ds_store_b128 v73, v[93:96]
	ds_store_b128 v73, v[97:100] offset:1024
	s_waitcnt lgkmcnt(0)
	s_barrier
	buffer_gl0_inv
	ds_load_b128 v[77:80], v74
	ds_load_b128 v[81:84], v74 offset:16
	ds_load_b128 v[85:88], v74 offset:1024
	;; [unrolled: 1-line block ×3, first 2 shown]
	v_cmp_eq_u32_e64 s26, 6, v70
	v_cmp_eq_u32_e64 s6, 6, v69
	;; [unrolled: 1-line block ×6, first 2 shown]
	s_waitcnt lgkmcnt(3)
	v_lshrrev_b32_e32 v93, 16, v77
	s_waitcnt lgkmcnt(2)
	v_lshrrev_b32_e32 v97, 16, v81
	s_waitcnt lgkmcnt(1)
	v_lshrrev_b32_e32 v101, 16, v85
	s_waitcnt lgkmcnt(0)
	v_lshrrev_b32_e32 v105, 16, v89
	v_lshrrev_b32_e32 v94, 16, v78
	v_cndmask_b32_e64 v109, v77, v93, s3
	v_cndmask_b32_e64 v110, v81, v97, s3
	;; [unrolled: 1-line block ×8, first 2 shown]
	v_lshrrev_b32_e32 v98, 16, v82
	v_cndmask_b32_e64 v93, v85, v101, s3
	v_cndmask_b32_e64 v97, v89, v105, s3
	;; [unrolled: 1-line block ×15, first 2 shown]
	v_lshrrev_b32_e32 v102, 16, v86
	v_lshrrev_b32_e32 v106, 16, v90
	v_cndmask_b32_e64 v112, v114, v82, s13
	v_cndmask_b32_e64 v81, v93, v86, s4
	;; [unrolled: 1-line block ×7, first 2 shown]
	v_cndmask_b32_e32 v89, v101, v94, vcc_lo
	v_cndmask_b32_e32 v101, v105, v98, vcc_lo
	v_cndmask_b32_e64 v105, v109, v94, s12
	v_cndmask_b32_e64 v109, v110, v98, s12
	;; [unrolled: 1-line block ×4, first 2 shown]
	v_lshrrev_b32_e32 v95, 16, v79
	v_lshrrev_b32_e32 v99, 16, v83
	v_cndmask_b32_e64 v110, v111, v94, s16
	v_cndmask_b32_e64 v111, v112, v98, s16
	v_cndmask_b32_e32 v81, v81, v102, vcc_lo
	v_cndmask_b32_e32 v82, v82, v106, vcc_lo
	v_cndmask_b32_e64 v93, v93, v102, s12
	v_cndmask_b32_e64 v89, v89, v79, s2
	;; [unrolled: 1-line block ×7, first 2 shown]
	v_lshrrev_b32_e32 v103, 16, v87
	v_cndmask_b32_e64 v105, v110, v79, s20
	v_cndmask_b32_e64 v109, v111, v83, s20
	;; [unrolled: 1-line block ×11, first 2 shown]
	v_lshrrev_b32_e32 v96, 16, v80
	v_lshrrev_b32_e32 v100, 16, v84
	v_cndmask_b32_e64 v98, v105, v95, s22
	v_cndmask_b32_e64 v101, v109, v99, s22
	;; [unrolled: 1-line block ×7, first 2 shown]
	v_lshrrev_b32_e32 v104, 16, v88
	v_cndmask_b32_e64 v79, v79, v103, s5
	v_cndmask_b32_e64 v83, v83, v80, s6
	;; [unrolled: 1-line block ×16, first 2 shown]
	v_perm_b32 v80, v78, v77, 0x5040100
	v_perm_b32 v78, v94, v84, 0x5040100
	v_cndmask_b32_e64 v77, v118, v90, s13
	v_cndmask_b32_e64 v84, v116, v90, s11
	;; [unrolled: 1-line block ×3, first 2 shown]
	v_perm_b32 v79, v93, v89, 0x5040100
	v_cndmask_b32_e64 v89, v97, v102, s16
	v_cndmask_b32_e64 v85, v85, v102, s17
	;; [unrolled: 1-line block ×5, first 2 shown]
	v_lshrrev_b32_e32 v107, 16, v91
	v_cndmask_b32_e64 v89, v89, v87, s20
	v_cndmask_b32_e64 v85, v85, v87, s21
	;; [unrolled: 1-line block ×11, first 2 shown]
	v_lshrrev_b32_e32 v108, 16, v92
	v_cndmask_b32_e64 v81, v81, v92, s6
	v_cndmask_b32_e64 v87, v87, v88, s25
	;; [unrolled: 1-line block ×12, first 2 shown]
	v_perm_b32 v77, v83, v82, 0x5040100
	v_perm_b32 v84, v86, v85, 0x5040100
	;; [unrolled: 1-line block ×5, first 2 shown]
	s_lshl_b32 s7, s33, 3
	s_mov_b32 s2, exec_lo
	ds_store_b128 v73, v[77:80]
	ds_store_b128 v73, v[81:84] offset:1024
	v_cmpx_gt_u32_e32 8, v0
	s_cbranch_execz .LBB1333_14
; %bb.13:
	v_or_b32_e32 v77, s31, v0
	s_load_b128 s[8:11], s[0:1], 0x58
	s_delay_alu instid0(VALU_DEP_1) | instskip(NEXT) | instid1(VALU_DEP_1)
	v_mad_u64_u32 v[78:79], null, s7, s30, v[77:78]
	v_mad_u64_u32 v[79:80], null, v78, s34, s[14:15]
	s_delay_alu instid0(VALU_DEP_1) | instskip(NEXT) | instid1(VALU_DEP_1)
	v_ashrrev_i32_e32 v80, 31, v79
	v_lshlrev_b64 v[77:78], 2, v[79:80]
	s_waitcnt lgkmcnt(0)
	s_delay_alu instid0(VALU_DEP_1) | instskip(NEXT) | instid1(VALU_DEP_2)
	v_add_co_u32 v79, vcc_lo, s10, v77
	v_add_co_ci_u32_e32 v80, vcc_lo, s11, v78, vcc_lo
	v_add_co_u32 v77, vcc_lo, s8, v77
	v_add_co_ci_u32_e32 v78, vcc_lo, s9, v78, vcc_lo
	global_store_b32 v[79:80], v75, off
	global_store_b32 v[77:78], v76, off
.LBB1333_14:
	s_or_b32 exec_lo, exec_lo, s2
	s_waitcnt lgkmcnt(0)
	s_waitcnt_vscnt null, 0x0
	s_barrier
	buffer_gl0_inv
	ds_load_b128 v[83:86], v72
	ds_load_b128 v[87:90], v72 offset:16
	ds_load_b128 v[95:98], v72 offset:2064
	;; [unrolled: 1-line block ×5, first 2 shown]
	v_cmp_eq_u32_e32 vcc_lo, 1, v69
	v_mov_b32_e32 v75, 0
	ds_load_b128 v[111:114], v72 offset:6160
	ds_load_b128 v[107:110], v72 offset:6144
	;; [unrolled: 1-line block ×4, first 2 shown]
	v_cmp_eq_u32_e64 s3, 1, v68
	v_cmp_eq_u32_e64 s2, 1, v71
	;; [unrolled: 1-line block ×3, first 2 shown]
	v_mov_b32_e32 v76, v75
	v_mov_b32_e32 v77, v75
	;; [unrolled: 1-line block ×7, first 2 shown]
	v_cmp_eq_u32_e64 s5, 3, v71
	v_cmp_eq_u32_e64 s6, 7, v71
	s_waitcnt lgkmcnt(8)
	s_delay_alu instid0(VALU_DEP_3)
	v_wmma_f32_16x16x16_f16 v[75:82], v[49:56], v[83:90], v[75:82]
	ds_load_b128 v[53:56], v72 offset:10256
	ds_load_b128 v[49:52], v72 offset:10240
	s_waitcnt lgkmcnt(8)
	v_wmma_f32_16x16x16_f16 v[75:82], v[41:48], v[91:98], v[75:82]
	ds_load_b128 v[45:48], v72 offset:12304
	ds_load_b128 v[41:44], v72 offset:12288
	s_waitcnt lgkmcnt(8)
	;; [unrolled: 4-line block ×3, first 2 shown]
	s_barrier
	buffer_gl0_inv
	v_wmma_f32_16x16x16_f16 v[75:82], v[1:8], v[107:114], v[75:82]
	s_delay_alu instid0(VALU_DEP_1) | instskip(NEXT) | instid1(VALU_DEP_1)
	v_wmma_f32_16x16x16_f16 v[75:82], v[9:16], v[115:122], v[75:82]
	v_wmma_f32_16x16x16_f16 v[75:82], v[17:24], v[49:56], v[75:82]
	s_delay_alu instid0(VALU_DEP_1) | instskip(NEXT) | instid1(VALU_DEP_1)
	v_wmma_f32_16x16x16_f16 v[75:82], v[25:32], v[41:48], v[75:82]
	v_wmma_f32_16x16x16_f16 v[75:82], v[57:64], v[33:40], v[75:82]
	s_delay_alu instid0(VALU_DEP_1) | instskip(NEXT) | instid1(VALU_DEP_2)
	v_cvt_f16_f32_e32 v1, v75
	v_cvt_f16_f32_e32 v2, v76
	s_delay_alu instid0(VALU_DEP_3) | instskip(NEXT) | instid1(VALU_DEP_4)
	v_cvt_f16_f32_e32 v3, v77
	v_cvt_f16_f32_e32 v4, v78
	;; [unrolled: 1-line block ×6, first 2 shown]
	v_pack_b32_f16 v1, v1, v2
	v_pack_b32_f16 v2, v3, v4
	;; [unrolled: 1-line block ×3, first 2 shown]
	s_delay_alu instid0(VALU_DEP_4)
	v_pack_b32_f16 v4, v7, v8
	ds_store_b128 v73, v[1:4]
	s_waitcnt lgkmcnt(0)
	s_barrier
	buffer_gl0_inv
	ds_load_b128 v[1:4], v74
	ds_load_b128 v[5:8], v74 offset:16
	s_waitcnt lgkmcnt(1)
	v_lshrrev_b32_e32 v9, 16, v1
	s_waitcnt lgkmcnt(0)
	v_lshrrev_b32_e32 v13, 16, v5
	v_lshrrev_b32_e32 v10, 16, v2
	;; [unrolled: 1-line block ×4, first 2 shown]
	v_cndmask_b32_e32 v17, v1, v9, vcc_lo
	v_cndmask_b32_e32 v18, v5, v13, vcc_lo
	v_cndmask_b32_e64 v21, v1, v9, s3
	v_cmp_eq_u32_e32 vcc_lo, 1, v70
	v_cndmask_b32_e64 v22, v5, v13, s3
	v_cmp_eq_u32_e64 s3, 2, v69
	v_cndmask_b32_e64 v19, v1, v9, s2
	v_cndmask_b32_e64 v20, v5, v13, s2
	v_cndmask_b32_e32 v1, v1, v9, vcc_lo
	v_cmp_eq_u32_e64 s2, 2, v70
	v_cndmask_b32_e32 v5, v5, v13, vcc_lo
	v_cndmask_b32_e64 v9, v17, v2, s3
	v_cmp_eq_u32_e32 vcc_lo, 3, v69
	v_cndmask_b32_e64 v13, v18, v6, s3
	v_cmp_eq_u32_e64 s3, 2, v68
	v_cndmask_b32_e64 v17, v19, v2, s4
	v_cndmask_b32_e64 v18, v20, v6, s4
	v_cmp_eq_u32_e64 s4, 3, v68
	v_cndmask_b32_e64 v1, v1, v2, s2
	v_cndmask_b32_e64 v19, v21, v2, s3
	;; [unrolled: 1-line block ×4, first 2 shown]
	v_cndmask_b32_e32 v5, v9, v10, vcc_lo
	v_cndmask_b32_e32 v6, v13, v14, vcc_lo
	v_cmp_eq_u32_e32 vcc_lo, 3, v70
	v_cndmask_b32_e64 v9, v17, v10, s5
	v_cndmask_b32_e64 v13, v18, v14, s5
	;; [unrolled: 1-line block ×3, first 2 shown]
	v_cmp_eq_u32_e64 s3, 4, v69
	v_cndmask_b32_e32 v1, v1, v10, vcc_lo
	v_cndmask_b32_e32 v2, v2, v14, vcc_lo
	v_cmp_eq_u32_e32 vcc_lo, 4, v71
	v_lshrrev_b32_e32 v15, 16, v7
	v_lshrrev_b32_e32 v16, 16, v8
	v_cndmask_b32_e64 v17, v19, v10, s4
	v_cmp_eq_u32_e64 s2, 4, v70
	v_cndmask_b32_e64 v5, v5, v3, s3
	v_cndmask_b32_e64 v6, v6, v7, s3
	v_cndmask_b32_e32 v9, v9, v3, vcc_lo
	v_cmp_eq_u32_e64 s3, 5, v71
	v_cndmask_b32_e32 v10, v13, v7, vcc_lo
	v_cmp_eq_u32_e32 vcc_lo, 4, v68
	v_cmp_eq_u32_e64 s4, 5, v69
	v_cndmask_b32_e64 v2, v2, v7, s2
	v_cndmask_b32_e64 v9, v9, v11, s3
	;; [unrolled: 1-line block ×3, first 2 shown]
	v_cndmask_b32_e32 v13, v17, v3, vcc_lo
	v_cmp_eq_u32_e64 s3, 5, v68
	v_cndmask_b32_e32 v14, v18, v7, vcc_lo
	v_cndmask_b32_e64 v1, v1, v3, s2
	v_cmp_eq_u32_e32 vcc_lo, 5, v70
	v_lshrrev_b32_e32 v12, 16, v4
	v_cndmask_b32_e64 v13, v13, v11, s3
	v_cndmask_b32_e64 v3, v14, v15, s3
	v_cmp_eq_u32_e64 s3, 6, v70
	v_cndmask_b32_e32 v1, v1, v11, vcc_lo
	v_cndmask_b32_e64 v5, v5, v11, s4
	v_cmp_eq_u32_e64 s5, 6, v69
	v_cndmask_b32_e64 v6, v6, v15, s4
	v_cmp_eq_u32_e64 s4, 6, v71
	v_cmp_eq_u32_e64 s2, 6, v68
	v_cndmask_b32_e64 v1, v1, v4, s3
	v_cndmask_b32_e32 v2, v2, v15, vcc_lo
	v_cmp_eq_u32_e32 vcc_lo, 7, v70
	v_cndmask_b32_e64 v5, v5, v4, s5
	v_cndmask_b32_e64 v9, v9, v4, s4
	;; [unrolled: 1-line block ×3, first 2 shown]
	v_cmp_eq_u32_e64 s5, 7, v69
	v_cndmask_b32_e32 v1, v1, v12, vcc_lo
	v_cndmask_b32_e64 v7, v13, v4, s2
	v_cndmask_b32_e64 v3, v3, v8, s2
	;; [unrolled: 1-line block ×3, first 2 shown]
	v_cmp_eq_u32_e64 s2, 7, v68
	v_cndmask_b32_e64 v4, v10, v8, s4
	v_cndmask_b32_e64 v5, v5, v12, s5
	;; [unrolled: 1-line block ×3, first 2 shown]
	v_cndmask_b32_e32 v2, v2, v16, vcc_lo
	v_cndmask_b32_e64 v7, v7, v12, s2
	v_cndmask_b32_e64 v3, v3, v16, s2
	;; [unrolled: 1-line block ×4, first 2 shown]
	v_perm_b32 v4, v2, v1, 0x5040100
	s_mov_b32 s2, exec_lo
	v_perm_b32 v3, v3, v7, 0x5040100
	v_perm_b32 v2, v8, v9, 0x5040100
	;; [unrolled: 1-line block ×3, first 2 shown]
	ds_store_b128 v73, v[1:4]
	s_waitcnt lgkmcnt(0)
	s_barrier
	buffer_gl0_inv
	v_cmpx_gt_u32_e32 32, v0
	s_cbranch_execz .LBB1333_2
; %bb.15:
	s_load_b64 s[0:1], s[0:1], 0x68
	s_lshl_b32 s4, s34, 7
	v_or_b32_e32 v2, s31, v66
	s_mul_i32 s2, s4, s30
	v_lshlrev_b32_e32 v1, 10, v0
	s_mul_i32 s2, s2, s7
	v_lshlrev_b32_e32 v3, 4, v67
	v_mul_lo_u32 v0, v2, s4
	s_ashr_i32 s3, s2, 31
	v_lshlrev_b32_e32 v4, 6, v66
	v_and_b32_e32 v1, 0x3800, v1
	v_or_b32_e32 v5, 2, v2
	s_lshl_b64 s[2:3], s[2:3], 1
	v_or_b32_e32 v6, 4, v2
	v_or_b32_e32 v7, 6, v2
	v_or3_b32 v12, v1, v3, v4
	v_ashrrev_i32_e32 v1, 31, v0
	v_mul_lo_u32 v2, v5, s4
	v_mul_lo_u32 v16, v6, s4
	;; [unrolled: 1-line block ×3, first 2 shown]
	s_waitcnt lgkmcnt(0)
	s_add_u32 s2, s0, s2
	s_addc_u32 s3, s1, s3
	s_lshl_b32 s0, s14, 7
	v_lshlrev_b64 v[0:1], 1, v[0:1]
	s_ashr_i32 s1, s0, 31
	v_ashrrev_i32_e32 v3, 31, v2
	s_lshl_b64 s[0:1], s[0:1], 1
	v_ashrrev_i32_e32 v17, 31, v16
	s_add_u32 s0, s2, s0
	s_addc_u32 s1, s3, s1
	v_add_co_u32 v24, s0, s0, v65
	s_delay_alu instid0(VALU_DEP_1) | instskip(SKIP_1) | instid1(VALU_DEP_3)
	v_add_co_ci_u32_e64 v25, null, s1, 0, s0
	v_lshlrev_b64 v[22:23], 1, v[2:3]
	v_add_co_u32 v18, vcc_lo, v24, v0
	s_delay_alu instid0(VALU_DEP_3)
	v_add_co_ci_u32_e32 v19, vcc_lo, v25, v1, vcc_lo
	ds_load_b128 v[0:3], v12
	ds_load_b128 v[4:7], v12 offset:128
	ds_load_b128 v[8:11], v12 offset:256
	;; [unrolled: 1-line block ×3, first 2 shown]
	v_ashrrev_i32_e32 v21, 31, v20
	v_lshlrev_b64 v[16:17], 1, v[16:17]
	v_add_co_u32 v22, vcc_lo, v24, v22
	v_add_co_ci_u32_e32 v23, vcc_lo, v25, v23, vcc_lo
	s_delay_alu instid0(VALU_DEP_4) | instskip(NEXT) | instid1(VALU_DEP_4)
	v_lshlrev_b64 v[20:21], 1, v[20:21]
	v_add_co_u32 v16, vcc_lo, v24, v16
	v_add_co_ci_u32_e32 v17, vcc_lo, v25, v17, vcc_lo
	s_delay_alu instid0(VALU_DEP_3) | instskip(NEXT) | instid1(VALU_DEP_4)
	v_add_co_u32 v20, vcc_lo, v24, v20
	v_add_co_ci_u32_e32 v21, vcc_lo, v25, v21, vcc_lo
	s_waitcnt lgkmcnt(3)
	global_store_b128 v[18:19], v[0:3], off
	s_waitcnt lgkmcnt(2)
	global_store_b128 v[22:23], v[4:7], off
	;; [unrolled: 2-line block ×4, first 2 shown]
	s_nop 0
	s_sendmsg sendmsg(MSG_DEALLOC_VGPRS)
	s_endpgm
	.section	.rodata,"a",@progbits
	.p2align	6, 0x0
	.amdhsa_kernel _Z39paged_attention_ll4mi_QKV_mfma16_kernelIDF16_hLN4vllm18Fp8KVCacheDataTypeE1EDF16_Li32ELi128ELi256ELb0ELi8EL8MFMAType0EEvPKT_PKT0_S8_ifPKiSA_SA_iPKfiiiPfSD_PS3_PT2_iSC_SC_
		.amdhsa_group_segment_fixed_size 17472
		.amdhsa_private_segment_fixed_size 0
		.amdhsa_kernarg_size 400
		.amdhsa_user_sgpr_count 13
		.amdhsa_user_sgpr_dispatch_ptr 0
		.amdhsa_user_sgpr_queue_ptr 0
		.amdhsa_user_sgpr_kernarg_segment_ptr 1
		.amdhsa_user_sgpr_dispatch_id 0
		.amdhsa_user_sgpr_private_segment_size 0
		.amdhsa_wavefront_size32 1
		.amdhsa_uses_dynamic_stack 0
		.amdhsa_enable_private_segment 0
		.amdhsa_system_sgpr_workgroup_id_x 1
		.amdhsa_system_sgpr_workgroup_id_y 1
		.amdhsa_system_sgpr_workgroup_id_z 1
		.amdhsa_system_sgpr_workgroup_info 0
		.amdhsa_system_vgpr_workitem_id 0
		.amdhsa_next_free_vgpr 140
		.amdhsa_next_free_sgpr 36
		.amdhsa_reserve_vcc 1
		.amdhsa_float_round_mode_32 0
		.amdhsa_float_round_mode_16_64 0
		.amdhsa_float_denorm_mode_32 3
		.amdhsa_float_denorm_mode_16_64 3
		.amdhsa_dx10_clamp 1
		.amdhsa_ieee_mode 1
		.amdhsa_fp16_overflow 0
		.amdhsa_workgroup_processor_mode 1
		.amdhsa_memory_ordered 1
		.amdhsa_forward_progress 0
		.amdhsa_shared_vgpr_count 0
		.amdhsa_exception_fp_ieee_invalid_op 0
		.amdhsa_exception_fp_denorm_src 0
		.amdhsa_exception_fp_ieee_div_zero 0
		.amdhsa_exception_fp_ieee_overflow 0
		.amdhsa_exception_fp_ieee_underflow 0
		.amdhsa_exception_fp_ieee_inexact 0
		.amdhsa_exception_int_div_zero 0
	.end_amdhsa_kernel
	.section	.text._Z39paged_attention_ll4mi_QKV_mfma16_kernelIDF16_hLN4vllm18Fp8KVCacheDataTypeE1EDF16_Li32ELi128ELi256ELb0ELi8EL8MFMAType0EEvPKT_PKT0_S8_ifPKiSA_SA_iPKfiiiPfSD_PS3_PT2_iSC_SC_,"axG",@progbits,_Z39paged_attention_ll4mi_QKV_mfma16_kernelIDF16_hLN4vllm18Fp8KVCacheDataTypeE1EDF16_Li32ELi128ELi256ELb0ELi8EL8MFMAType0EEvPKT_PKT0_S8_ifPKiSA_SA_iPKfiiiPfSD_PS3_PT2_iSC_SC_,comdat
.Lfunc_end1333:
	.size	_Z39paged_attention_ll4mi_QKV_mfma16_kernelIDF16_hLN4vllm18Fp8KVCacheDataTypeE1EDF16_Li32ELi128ELi256ELb0ELi8EL8MFMAType0EEvPKT_PKT0_S8_ifPKiSA_SA_iPKfiiiPfSD_PS3_PT2_iSC_SC_, .Lfunc_end1333-_Z39paged_attention_ll4mi_QKV_mfma16_kernelIDF16_hLN4vllm18Fp8KVCacheDataTypeE1EDF16_Li32ELi128ELi256ELb0ELi8EL8MFMAType0EEvPKT_PKT0_S8_ifPKiSA_SA_iPKfiiiPfSD_PS3_PT2_iSC_SC_
                                        ; -- End function
	.section	.AMDGPU.csdata,"",@progbits
; Kernel info:
; codeLenInByte = 6624
; NumSgprs: 38
; NumVgprs: 140
; ScratchSize: 0
; MemoryBound: 0
; FloatMode: 240
; IeeeMode: 1
; LDSByteSize: 17472 bytes/workgroup (compile time only)
; SGPRBlocks: 4
; VGPRBlocks: 17
; NumSGPRsForWavesPerEU: 38
; NumVGPRsForWavesPerEU: 140
; Occupancy: 10
; WaveLimiterHint : 1
; COMPUTE_PGM_RSRC2:SCRATCH_EN: 0
; COMPUTE_PGM_RSRC2:USER_SGPR: 13
; COMPUTE_PGM_RSRC2:TRAP_HANDLER: 0
; COMPUTE_PGM_RSRC2:TGID_X_EN: 1
; COMPUTE_PGM_RSRC2:TGID_Y_EN: 1
; COMPUTE_PGM_RSRC2:TGID_Z_EN: 1
; COMPUTE_PGM_RSRC2:TIDIG_COMP_CNT: 0
	.section	.text._Z39paged_attention_ll4mi_QKV_mfma16_kernelIDF16_hLN4vllm18Fp8KVCacheDataTypeE1EDF16_Li32ELi128ELi256ELb0ELi9EL8MFMAType0EEvPKT_PKT0_S8_ifPKiSA_SA_iPKfiiiPfSD_PS3_PT2_iSC_SC_,"axG",@progbits,_Z39paged_attention_ll4mi_QKV_mfma16_kernelIDF16_hLN4vllm18Fp8KVCacheDataTypeE1EDF16_Li32ELi128ELi256ELb0ELi9EL8MFMAType0EEvPKT_PKT0_S8_ifPKiSA_SA_iPKfiiiPfSD_PS3_PT2_iSC_SC_,comdat
	.protected	_Z39paged_attention_ll4mi_QKV_mfma16_kernelIDF16_hLN4vllm18Fp8KVCacheDataTypeE1EDF16_Li32ELi128ELi256ELb0ELi9EL8MFMAType0EEvPKT_PKT0_S8_ifPKiSA_SA_iPKfiiiPfSD_PS3_PT2_iSC_SC_ ; -- Begin function _Z39paged_attention_ll4mi_QKV_mfma16_kernelIDF16_hLN4vllm18Fp8KVCacheDataTypeE1EDF16_Li32ELi128ELi256ELb0ELi9EL8MFMAType0EEvPKT_PKT0_S8_ifPKiSA_SA_iPKfiiiPfSD_PS3_PT2_iSC_SC_
	.globl	_Z39paged_attention_ll4mi_QKV_mfma16_kernelIDF16_hLN4vllm18Fp8KVCacheDataTypeE1EDF16_Li32ELi128ELi256ELb0ELi9EL8MFMAType0EEvPKT_PKT0_S8_ifPKiSA_SA_iPKfiiiPfSD_PS3_PT2_iSC_SC_
	.p2align	8
	.type	_Z39paged_attention_ll4mi_QKV_mfma16_kernelIDF16_hLN4vllm18Fp8KVCacheDataTypeE1EDF16_Li32ELi128ELi256ELb0ELi9EL8MFMAType0EEvPKT_PKT0_S8_ifPKiSA_SA_iPKfiiiPfSD_PS3_PT2_iSC_SC_,@function
_Z39paged_attention_ll4mi_QKV_mfma16_kernelIDF16_hLN4vllm18Fp8KVCacheDataTypeE1EDF16_Li32ELi128ELi256ELb0ELi9EL8MFMAType0EEvPKT_PKT0_S8_ifPKiSA_SA_iPKfiiiPfSD_PS3_PT2_iSC_SC_: ; @_Z39paged_attention_ll4mi_QKV_mfma16_kernelIDF16_hLN4vllm18Fp8KVCacheDataTypeE1EDF16_Li32ELi128ELi256ELb0ELi9EL8MFMAType0EEvPKT_PKT0_S8_ifPKiSA_SA_iPKfiiiPfSD_PS3_PT2_iSC_SC_
; %bb.0:
	s_load_b64 s[4:5], s[0:1], 0x30
	s_mov_b32 s34, s13
	s_waitcnt lgkmcnt(0)
	s_cmp_lg_u64 s[4:5], 0
	s_cselect_b32 s8, -1, 0
	s_ashr_i32 s35, s13, 31
	s_cmp_eq_u64 s[4:5], 0
	s_cbranch_scc1 .LBB1334_3
; %bb.1:
	s_lshl_b64 s[2:3], s[34:35], 2
	s_delay_alu instid0(SALU_CYCLE_1) | instskip(SKIP_4) | instid1(SALU_CYCLE_1)
	s_add_u32 s2, s4, s2
	s_addc_u32 s3, s5, s3
	s_load_b64 s[2:3], s[2:3], 0x0
	s_waitcnt lgkmcnt(0)
	s_sub_i32 s2, s3, s2
	s_cmp_eq_u32 s2, 1
	s_cselect_b32 s2, -1, 0
	s_delay_alu instid0(SALU_CYCLE_1)
	s_and_not1_b32 vcc_lo, exec_lo, s2
	s_cbranch_vccz .LBB1334_4
.LBB1334_2:
	s_nop 0
	s_sendmsg sendmsg(MSG_DEALLOC_VGPRS)
	s_endpgm
.LBB1334_3:
.LBB1334_4:
	s_load_b64 s[2:3], s[0:1], 0x28
	s_lshl_b64 s[6:7], s[34:35], 2
	s_waitcnt lgkmcnt(0)
	s_add_u32 s2, s2, s6
	s_addc_u32 s3, s3, s7
	s_lshl_b32 s12, s14, 8
	s_load_b32 s24, s[2:3], 0x0
	s_waitcnt lgkmcnt(0)
	s_cmp_ge_i32 s12, s24
	s_cbranch_scc1 .LBB1334_2
; %bb.5:
	s_clause 0x1
	s_load_b128 s[20:23], s[0:1], 0x8
	s_load_b64 s[2:3], s[0:1], 0x20
	s_and_not1_b32 vcc_lo, exec_lo, s8
	s_cbranch_vccnz .LBB1334_7
; %bb.6:
	s_add_u32 s4, s4, s6
	s_addc_u32 s5, s5, s7
	s_load_b32 s5, s[4:5], 0x0
	s_branch .LBB1334_8
.LBB1334_7:
	s_mov_b32 s5, s34
.LBB1334_8:
	s_load_b128 s[16:19], s[0:1], 0x48
	v_and_b32_e32 v68, 15, v0
	v_lshrrev_b32_e32 v69, 5, v0
	v_bfe_u32 v66, v0, 4, 1
	v_and_b32_e32 v70, 31, v0
	v_and_b32_e32 v67, 1, v0
	v_lshlrev_b32_e32 v2, 3, v68
	s_mul_i32 s31, s15, 9
	v_lshl_or_b32 v1, v69, 1, v66
	s_mov_b32 s4, exec_lo
	s_delay_alu instid0(VALU_DEP_2) | instskip(NEXT) | instid1(VALU_DEP_2)
	v_lshlrev_b32_e32 v65, 1, v2
	v_cmpx_gt_u32_e32 9, v1
	s_cbranch_execz .LBB1334_10
; %bb.9:
	s_load_b64 s[6:7], s[0:1], 0x0
	v_add_lshl_u32 v2, v1, s31, 7
	s_waitcnt lgkmcnt(0)
	s_mul_hi_i32 s9, s5, s16
	s_mul_i32 s8, s5, s16
	v_lshlrev_b32_e32 v6, 10, v68
	s_lshl_b64 s[8:9], s[8:9], 1
	v_ashrrev_i32_e32 v3, 31, v2
	v_lshlrev_b32_e32 v1, 6, v1
	v_lshlrev_b32_e32 v7, 10, v67
	v_and_b32_e32 v6, 0x3800, v6
	s_delay_alu instid0(VALU_DEP_4) | instskip(NEXT) | instid1(VALU_DEP_2)
	v_lshlrev_b64 v[2:3], 1, v[2:3]
	v_or3_b32 v1, v6, v7, v1
	s_add_u32 s5, s6, s8
	s_addc_u32 s6, s7, s9
	s_delay_alu instid0(VALU_DEP_2) | instskip(NEXT) | instid1(VALU_DEP_3)
	v_add_co_u32 v2, vcc_lo, s5, v2
	v_add_co_ci_u32_e32 v3, vcc_lo, s6, v3, vcc_lo
	s_delay_alu instid0(VALU_DEP_2) | instskip(NEXT) | instid1(VALU_DEP_2)
	v_add_co_u32 v2, vcc_lo, v2, v65
	v_add_co_ci_u32_e32 v3, vcc_lo, 0, v3, vcc_lo
	global_load_b128 v[2:5], v[2:3], off
	s_waitcnt vmcnt(0)
	ds_store_b128 v1, v[2:5]
.LBB1334_10:
	s_or_b32 exec_lo, exec_lo, s4
	v_and_b32_e32 v1, 0xef, v0
	s_waitcnt lgkmcnt(0)
	s_add_i32 s5, s24, 31
	s_clause 0x1
	s_load_b32 s4, s[0:1], 0x38
	s_load_b32 s33, s[0:1], 0x98
	s_ashr_i32 s6, s5, 31
	v_add_nc_u32_e32 v1, s12, v1
	s_lshr_b32 s6, s6, 27
	s_load_b32 s19, s[0:1], 0x1c
	s_add_i32 s5, s5, s6
	s_waitcnt lgkmcnt(0)
	v_ashrrev_i32_e32 v2, 31, v1
	v_or_b32_e32 v3, 16, v1
	s_ashr_i32 s13, s5, 5
	v_cmp_gt_i32_e32 vcc_lo, s24, v1
	s_add_i32 s13, s13, -1
	v_lshrrev_b32_e32 v2, 27, v2
	s_barrier
	buffer_gl0_inv
	s_mul_i32 s15, s15, s18
	v_add_nc_u32_e32 v4, v1, v2
	s_mul_i32 s4, s34, s4
	s_delay_alu instid0(SALU_CYCLE_1) | instskip(NEXT) | instid1(VALU_DEP_1)
	s_ashr_i32 s5, s4, 31
	v_ashrrev_i32_e32 v4, 5, v4
	v_add_nc_u32_e32 v2, v3, v2
	s_lshl_b64 s[4:5], s[4:5], 2
	s_delay_alu instid0(SALU_CYCLE_1) | instskip(NEXT) | instid1(VALU_DEP_2)
	s_add_u32 s16, s2, s4
	v_cndmask_b32_e32 v1, s13, v4, vcc_lo
	s_delay_alu instid0(VALU_DEP_2)
	v_ashrrev_i32_e32 v2, 5, v2
	v_cmp_gt_i32_e32 vcc_lo, s24, v3
	s_addc_u32 s25, s3, s5
	s_ashr_i32 s18, s15, 31
	s_add_u32 s2, s20, s15
	s_addc_u32 s3, s21, s18
	v_cndmask_b32_e32 v3, s13, v2, vcc_lo
	v_ashrrev_i32_e32 v2, 31, v1
	s_lshl_b32 s4, s14, 3
	s_delay_alu instid0(SALU_CYCLE_1) | instskip(NEXT) | instid1(VALU_DEP_2)
	s_ashr_i32 s5, s4, 31
	v_ashrrev_i32_e32 v4, 31, v3
	s_delay_alu instid0(VALU_DEP_2) | instskip(SKIP_1) | instid1(SALU_CYCLE_1)
	v_lshlrev_b64 v[1:2], 2, v[1:2]
	s_lshl_b64 s[4:5], s[4:5], 2
	s_add_u32 s4, s16, s4
	s_delay_alu instid0(VALU_DEP_2) | instskip(SKIP_1) | instid1(VALU_DEP_2)
	v_lshlrev_b64 v[3:4], 2, v[3:4]
	s_addc_u32 s5, s25, s5
	v_add_co_u32 v1, vcc_lo, s16, v1
	v_add_co_ci_u32_e32 v2, vcc_lo, s25, v2, vcc_lo
	s_delay_alu instid0(VALU_DEP_3) | instskip(NEXT) | instid1(VALU_DEP_4)
	v_add_co_u32 v3, vcc_lo, s16, v3
	v_add_co_ci_u32_e32 v4, vcc_lo, s25, v4, vcc_lo
	s_clause 0x1
	global_load_b32 v5, v[1:2], off
	global_load_b32 v6, v[3:4], off
	s_or_b32 s6, s12, 32
	s_delay_alu instid0(SALU_CYCLE_1) | instskip(SKIP_2) | instid1(SALU_CYCLE_1)
	s_ashr_i32 s7, s6, 5
	s_cmp_lt_i32 s6, s24
	s_cselect_b32 s6, s7, s13
	s_ashr_i32 s7, s6, 31
	s_delay_alu instid0(SALU_CYCLE_1) | instskip(NEXT) | instid1(SALU_CYCLE_1)
	s_lshl_b64 s[6:7], s[6:7], 2
	s_add_u32 s6, s16, s6
	s_addc_u32 s7, s25, s7
	s_or_b32 s8, s12, 64
	s_delay_alu instid0(SALU_CYCLE_1) | instskip(SKIP_2) | instid1(SALU_CYCLE_1)
	s_ashr_i32 s9, s8, 5
	s_cmp_lt_i32 s8, s24
	s_cselect_b32 s8, s9, s13
	s_ashr_i32 s9, s8, 31
	s_delay_alu instid0(SALU_CYCLE_1) | instskip(NEXT) | instid1(SALU_CYCLE_1)
	s_lshl_b64 s[8:9], s[8:9], 2
	s_add_u32 s8, s16, s8
	s_addc_u32 s9, s25, s9
	;; [unrolled: 10-line block ×5, first 2 shown]
	s_clause 0x5
	s_load_b32 s28, s[4:5], 0x0
	s_load_b32 s29, s[6:7], 0x0
	;; [unrolled: 1-line block ×6, first 2 shown]
	s_mov_b32 s4, 0
	s_delay_alu instid0(SALU_CYCLE_1)
	s_mov_b32 s5, s4
	s_mov_b32 s6, s4
	;; [unrolled: 1-line block ×7, first 2 shown]
	s_delay_alu instid0(SALU_CYCLE_1)
	v_dual_mov_b32 v118, s11 :: v_dual_mov_b32 v117, s10
	v_dual_mov_b32 v116, s9 :: v_dual_mov_b32 v115, s8
	v_mov_b32_e32 v113, s6
	v_dual_mov_b32 v111, s4 :: v_dual_mov_b32 v114, s7
	v_mov_b32_e32 v112, s5
	s_waitcnt vmcnt(1)
	v_mad_i64_i32 v[1:2], null, v5, s17, s[2:3]
	v_lshlrev_b32_e32 v5, 4, v68
	s_waitcnt vmcnt(0)
	v_mad_i64_i32 v[3:4], null, v6, s17, s[2:3]
	s_or_b32 s2, s12, 0xc0
	s_delay_alu instid0(SALU_CYCLE_1) | instskip(NEXT) | instid1(VALU_DEP_3)
	s_ashr_i32 s3, s2, 5
	v_add_co_u32 v1, vcc_lo, v1, v5
	s_delay_alu instid0(VALU_DEP_4) | instskip(NEXT) | instid1(VALU_DEP_3)
	v_add_co_ci_u32_e32 v2, vcc_lo, 0, v2, vcc_lo
	v_add_co_u32 v3, vcc_lo, v3, v5
	s_delay_alu instid0(VALU_DEP_4)
	v_add_co_ci_u32_e32 v4, vcc_lo, 0, v4, vcc_lo
	s_clause 0xf
	global_load_b128 v[17:20], v[1:2], off
	global_load_b128 v[21:24], v[1:2], off offset:512
	global_load_b128 v[25:28], v[3:4], off offset:256
	;; [unrolled: 1-line block ×15, first 2 shown]
	s_cmp_lt_i32 s2, s24
	v_add_nc_u32_e32 v1, -9, v68
	s_cselect_b32 s2, s3, s13
	v_cmp_gt_u32_e32 vcc_lo, 9, v68
	s_ashr_i32 s3, s2, 31
	v_lshlrev_b32_e32 v2, 5, v68
	s_lshl_b64 s[2:3], s[2:3], 2
	s_delay_alu instid0(SALU_CYCLE_1)
	s_add_u32 s2, s16, s2
	s_addc_u32 s3, s25, s3
	s_or_b32 s20, s12, 0xe0
	v_cndmask_b32_e32 v1, v1, v68, vcc_lo
	s_ashr_i32 s21, s20, 5
	s_cmp_lt_i32 s20, s24
	s_cselect_b32 s20, s21, s13
	s_delay_alu instid0(VALU_DEP_1)
	v_lshlrev_b32_e32 v149, 6, v1
	s_ashr_i32 s21, s20, 31
	v_lshl_or_b32 v1, v69, 9, v2
	s_lshl_b64 s[4:5], s[20:21], 2
	ds_load_b128 v[119:122], v149
	ds_load_b128 v[123:126], v149 offset:1024
	s_add_u32 s4, s16, s4
	s_addc_u32 s5, s25, s5
	ds_load_b128 v[127:130], v149 offset:2048
	ds_load_b128 v[131:134], v149 offset:3072
	s_clause 0x1
	s_load_b32 s2, s[2:3], 0x0
	s_load_b32 s3, s[4:5], 0x0
	s_add_u32 s6, s22, s15
	s_addc_u32 s7, s23, s18
	v_add_co_u32 v135, s6, s6, v1
	s_delay_alu instid0(VALU_DEP_1) | instskip(SKIP_1) | instid1(VALU_DEP_1)
	v_add_co_ci_u32_e64 v136, null, s7, 0, s6
	s_waitcnt lgkmcnt(0)
	v_mad_i64_i32 v[1:2], null, s28, s17, v[135:136]
	v_mad_i64_i32 v[3:4], null, s29, s17, v[135:136]
	;; [unrolled: 1-line block ×6, first 2 shown]
	s_clause 0x9
	global_load_b128 v[49:52], v[1:2], off
	global_load_b128 v[53:56], v[1:2], off offset:16
	global_load_b128 v[41:44], v[3:4], off
	global_load_b128 v[45:48], v[3:4], off offset:16
	;; [unrolled: 2-line block ×5, first 2 shown]
	v_mad_i64_i32 v[145:146], null, s2, s17, v[135:136]
	v_mad_i64_i32 v[147:148], null, s3, s17, v[135:136]
	s_waitcnt vmcnt(24)
	v_wmma_f32_16x16x16_f16 v[135:142], v[17:24], v[119:126], v[111:118]
	s_waitcnt vmcnt(22)
	v_wmma_f32_16x16x16_f16 v[111:118], v[25:32], v[119:126], v[111:118]
	s_clause 0x3
	global_load_b128 v[17:20], v[143:144], off
	global_load_b128 v[21:24], v[143:144], off offset:16
	global_load_b128 v[25:28], v[145:146], off
	global_load_b128 v[29:32], v[145:146], off offset:16
	v_and_b32_e32 v119, 0xe0, v0
	s_waitcnt vmcnt(24)
	v_wmma_f32_16x16x16_f16 v[135:142], v[57:64], v[127:134], v[135:142]
	s_clause 0x1
	global_load_b128 v[57:60], v[147:148], off
	global_load_b128 v[61:64], v[147:148], off offset:16
	s_waitcnt vmcnt(24)
	v_wmma_f32_16x16x16_f16 v[111:118], v[71:78], v[127:134], v[111:118]
	ds_load_b128 v[71:74], v149 offset:4096
	ds_load_b128 v[75:78], v149 offset:5120
	v_add_nc_u32_e32 v128, s12, v119
	ds_load_b128 v[119:122], v149 offset:6144
	ds_load_b128 v[123:126], v149 offset:7168
	v_mbcnt_lo_u32_b32 v127, -1, 0
	s_waitcnt vmcnt(0) lgkmcnt(0)
	s_barrier
	v_or_b32_e32 v128, v128, v66
	buffer_gl0_inv
	v_xor_b32_e32 v129, 16, v127
	v_or_b32_e32 v130, 4, v128
	v_or_b32_e32 v131, 6, v128
	s_delay_alu instid0(VALU_DEP_3) | instskip(SKIP_4) | instid1(VALU_DEP_4)
	v_cmp_gt_i32_e32 vcc_lo, 32, v129
	v_or_b32_e32 v132, 8, v128
	v_or_b32_e32 v133, 10, v128
	v_cmp_gt_i32_e64 s3, s24, v130
	v_cmp_gt_i32_e64 s4, s24, v131
	;; [unrolled: 1-line block ×3, first 2 shown]
	v_wmma_f32_16x16x16_f16 v[135:142], v[79:86], v[71:78], v[135:142]
	v_wmma_f32_16x16x16_f16 v[111:118], v[87:94], v[71:78], v[111:118]
	v_or_b32_e32 v79, 12, v128
	v_or_b32_e32 v80, 14, v128
	v_cmp_gt_i32_e64 s6, s24, v133
	v_wmma_f32_16x16x16_f16 v[135:142], v[95:102], v[119:126], v[135:142]
	v_wmma_f32_16x16x16_f16 v[111:118], v[103:110], v[119:126], v[111:118]
	v_cndmask_b32_e32 v127, v127, v129, vcc_lo
	v_or_b32_e32 v129, 2, v128
	v_cmp_gt_i32_e32 vcc_lo, s24, v128
	s_delay_alu instid0(VALU_DEP_4) | instskip(SKIP_1) | instid1(VALU_DEP_4)
	v_dual_mul_f32 v87, s19, v136 :: v_dual_mul_f32 v94, s19, v113
	v_mul_f32_e32 v88, s19, v135
	v_cmp_gt_i32_e64 s2, s24, v129
	v_mul_f32_e32 v78, s19, v138
	v_mul_f32_e32 v86, s19, v137
	v_mul_f32_e32 v76, s19, v140
	v_cndmask_b32_e32 v88, 0xff7fffff, v88, vcc_lo
	v_cndmask_b32_e64 v87, 0xff7fffff, v87, s2
	v_dual_mul_f32 v77, s19, v139 :: v_dual_mul_f32 v90, s19, v117
	v_cndmask_b32_e64 v86, 0xff7fffff, v86, s3
	v_cndmask_b32_e64 v78, 0xff7fffff, v78, s4
	s_delay_alu instid0(VALU_DEP_4)
	v_max3_f32 v87, v88, 0xff7fffff, v87
	v_or_b32_e32 v81, 16, v128
	v_or_b32_e32 v82, 18, v128
	v_dual_mul_f32 v74, s19, v142 :: v_dual_mul_f32 v75, s19, v141
	v_mul_f32_e32 v96, s19, v111
	v_cndmask_b32_e64 v77, 0xff7fffff, v77, s5
	v_cndmask_b32_e64 v76, 0xff7fffff, v76, s6
	v_max3_f32 v78, v87, v86, v78
	v_cmp_gt_i32_e64 s7, s24, v79
	v_cmp_gt_i32_e64 s8, s24, v80
	v_or_b32_e32 v83, 20, v128
	v_or_b32_e32 v84, 22, v128
	v_mul_f32_e32 v95, s19, v112
	v_cndmask_b32_e64 v75, 0xff7fffff, v75, s7
	v_cndmask_b32_e64 v74, 0xff7fffff, v74, s8
	v_max3_f32 v76, v78, v77, v76
	v_cmp_gt_i32_e64 s9, s24, v81
	v_cmp_gt_i32_e64 s10, s24, v82
	v_or_b32_e32 v85, 24, v128
	v_or_b32_e32 v71, 26, v128
	v_mul_f32_e32 v93, s19, v114
	v_cndmask_b32_e64 v77, 0xff7fffff, v96, s9
	v_cndmask_b32_e64 v78, 0xff7fffff, v95, s10
	v_max3_f32 v74, v76, v75, v74
	v_cmp_gt_i32_e64 s11, s24, v83
	v_cmp_gt_i32_e64 s12, s24, v84
	v_or_b32_e32 v72, 28, v128
	v_or_b32_e32 v73, 30, v128
	v_dual_mul_f32 v91, s19, v116 :: v_dual_mul_f32 v92, s19, v115
	v_cndmask_b32_e64 v75, 0xff7fffff, v94, s11
	v_cndmask_b32_e64 v76, 0xff7fffff, v93, s12
	v_max3_f32 v74, v74, v77, v78
	v_cmp_gt_i32_e64 s13, s24, v85
	v_cmp_gt_i32_e64 s15, s24, v71
	v_mul_f32_e32 v89, s19, v118
	v_cmp_gt_i32_e64 s16, s24, v72
	v_max3_f32 v74, v74, v75, v76
	v_cndmask_b32_e64 v77, 0xff7fffff, v92, s13
	v_cndmask_b32_e64 v71, 0xff7fffff, v91, s15
	v_cmp_gt_i32_e64 s17, s24, v73
	v_cndmask_b32_e64 v72, 0xff7fffff, v90, s16
	s_delay_alu instid0(VALU_DEP_3) | instskip(SKIP_1) | instid1(VALU_DEP_4)
	v_max3_f32 v71, v74, v77, v71
	v_lshlrev_b32_e32 v74, 2, v127
	v_cndmask_b32_e64 v73, 0xff7fffff, v89, s17
	s_delay_alu instid0(VALU_DEP_1) | instskip(SKIP_3) | instid1(VALU_DEP_1)
	v_max3_f32 v71, v71, v72, v73
	ds_bpermute_b32 v72, v74, v71
	s_waitcnt lgkmcnt(0)
	v_max_f32_e32 v72, v72, v72
	v_max_f32_e32 v71, v71, v72
	s_delay_alu instid0(VALU_DEP_1) | instskip(SKIP_4) | instid1(VALU_DEP_4)
	v_fma_f32 v72, s19, v135, -v71
	v_fma_f32 v73, s19, v136, -v71
	;; [unrolled: 1-line block ×5, first 2 shown]
	v_dual_mul_f32 v72, 0x3fb8aa3b, v72 :: v_dual_mul_f32 v73, 0x3fb8aa3b, v73
	s_delay_alu instid0(VALU_DEP_3) | instskip(SKIP_1) | instid1(VALU_DEP_3)
	v_dual_mul_f32 v75, 0x3fb8aa3b, v75 :: v_dual_mul_f32 v76, 0x3fb8aa3b, v76
	v_fma_f32 v80, s19, v141, -v71
	v_exp_f32_e32 v72, v72
	s_delay_alu instid0(VALU_DEP_3) | instskip(NEXT) | instid1(VALU_DEP_2)
	v_exp_f32_e32 v73, v73
	v_exp_f32_e32 v75, v75
	;; [unrolled: 1-line block ×3, first 2 shown]
	v_mul_f32_e32 v82, 0x3fb8aa3b, v80
	s_delay_alu instid0(VALU_DEP_1) | instskip(SKIP_4) | instid1(TRANS32_DEP_3)
	v_exp_f32_e32 v84, v82
	v_cndmask_b32_e32 v79, 0, v72, vcc_lo
	v_fma_f32 v72, s19, v140, -v71
	v_mul_f32_e32 v77, 0x3fb8aa3b, v77
	v_cndmask_b32_e64 v78, 0, v73, s2
	v_cndmask_b32_e64 v81, 0, v75, s3
	s_delay_alu instid0(VALU_DEP_4) | instskip(NEXT) | instid1(VALU_DEP_4)
	v_dual_add_f32 v73, 0, v79 :: v_dual_mul_f32 v72, 0x3fb8aa3b, v72
	v_exp_f32_e32 v77, v77
	v_cndmask_b32_e64 v80, 0, v76, s4
	s_delay_alu instid0(TRANS32_DEP_2) | instskip(NEXT) | instid1(VALU_DEP_3)
	v_cndmask_b32_e64 v85, 0, v84, s7
	v_add_f32_e32 v73, v73, v78
	v_exp_f32_e32 v72, v72
	v_cmp_gt_u32_e64 s2, 16, v70
	s_delay_alu instid0(VALU_DEP_2) | instskip(NEXT) | instid1(TRANS32_DEP_2)
	v_add_f32_e32 v73, v73, v81
	v_cndmask_b32_e64 v83, 0, v77, s5
	s_delay_alu instid0(VALU_DEP_2) | instskip(SKIP_3) | instid1(VALU_DEP_1)
	v_add_f32_e32 v73, v73, v80
	s_waitcnt_depctr 0xfff
	v_cndmask_b32_e64 v82, 0, v72, s6
	v_add_f32_e32 v72, v73, v83
	v_add_f32_e32 v72, v72, v82
	s_delay_alu instid0(VALU_DEP_1)
	v_add_f32_e32 v72, v72, v85
	v_fma_f32 v76, s19, v111, -v71
	v_fma_f32 v75, s19, v142, -v71
	;; [unrolled: 1-line block ×5, first 2 shown]
	s_delay_alu instid0(VALU_DEP_4) | instskip(NEXT) | instid1(VALU_DEP_3)
	v_dual_mul_f32 v76, 0x3fb8aa3b, v76 :: v_dual_mul_f32 v75, 0x3fb8aa3b, v75
	v_mul_f32_e32 v86, 0x3fb8aa3b, v86
	s_delay_alu instid0(VALU_DEP_2) | instskip(NEXT) | instid1(VALU_DEP_2)
	v_exp_f32_e32 v76, v76
	v_exp_f32_e32 v75, v75
	s_delay_alu instid0(VALU_DEP_1) | instskip(NEXT) | instid1(TRANS32_DEP_3)
	v_exp_f32_e32 v88, v86
	v_cndmask_b32_e64 v87, 0, v76, s9
	v_fma_f32 v76, s19, v116, -v71
	v_mul_f32_e32 v77, 0x3fb8aa3b, v77
	s_waitcnt_depctr 0xfff
	v_cndmask_b32_e64 v84, 0, v75, s8
	v_fma_f32 v75, s19, v115, -v71
	v_cndmask_b32_e64 v88, 0, v88, s12
	v_mul_f32_e32 v76, 0x3fb8aa3b, v76
	v_exp_f32_e32 v77, v77
	v_add_f32_e32 v72, v72, v84
	s_delay_alu instid0(VALU_DEP_2) | instskip(NEXT) | instid1(VALU_DEP_1)
	v_exp_f32_e32 v76, v76
	v_add_f32_e32 v72, v72, v87
	s_waitcnt_depctr 0xfff
	v_cndmask_b32_e64 v86, 0, v77, s10
	v_mul_f32_e32 v73, 0x3fb8aa3b, v73
	v_fma_f32 v77, s19, v117, -v71
	v_cndmask_b32_e64 v90, 0, v76, s15
	s_delay_alu instid0(VALU_DEP_4) | instskip(NEXT) | instid1(VALU_DEP_4)
	v_add_f32_e32 v72, v72, v86
	v_exp_f32_e32 v73, v73
	s_waitcnt_depctr 0xfff
	v_cndmask_b32_e64 v89, 0, v73, s11
	s_delay_alu instid0(VALU_DEP_1) | instskip(NEXT) | instid1(VALU_DEP_1)
	v_dual_mul_f32 v75, 0x3fb8aa3b, v75 :: v_dual_add_f32 v72, v72, v89
	v_exp_f32_e32 v75, v75
	v_mul_f32_e32 v73, 0x3fb8aa3b, v77
	v_fma_f32 v77, s19, v118, -v71
	s_delay_alu instid0(VALU_DEP_3) | instskip(NEXT) | instid1(VALU_DEP_3)
	v_add_f32_e32 v72, v72, v88
	v_exp_f32_e32 v73, v73
	s_waitcnt_depctr 0xfff
	v_cndmask_b32_e64 v91, 0, v75, s13
	s_delay_alu instid0(VALU_DEP_1) | instskip(NEXT) | instid1(VALU_DEP_1)
	v_dual_mul_f32 v75, 0x3fb8aa3b, v77 :: v_dual_add_f32 v72, v72, v91
	v_exp_f32_e32 v75, v75
	v_cndmask_b32_e64 v93, 0, v73, s16
	s_delay_alu instid0(VALU_DEP_2) | instskip(NEXT) | instid1(VALU_DEP_1)
	v_add_f32_e32 v72, v72, v90
	v_add_f32_e32 v72, v72, v93
	s_waitcnt_depctr 0xfff
	v_cndmask_b32_e64 v92, 0, v75, s17
	s_delay_alu instid0(VALU_DEP_1)
	v_add_f32_e32 v72, v72, v92
	ds_bpermute_b32 v73, v74, v72
	s_and_saveexec_b32 s3, s2
	s_cbranch_execz .LBB1334_12
; %bb.11:
	v_mul_u32_u24_e32 v70, 0x44, v69
	s_waitcnt lgkmcnt(0)
	v_add_f32_e32 v72, v72, v73
	s_delay_alu instid0(VALU_DEP_2) | instskip(NEXT) | instid1(VALU_DEP_1)
	v_lshl_add_u32 v70, v68, 2, v70
	v_add_nc_u32_e32 v70, 0x4000, v70
	ds_store_2addr_b32 v70, v71, v72 offset1:136
.LBB1334_12:
	s_or_b32 exec_lo, exec_lo, s3
	v_lshlrev_b32_e32 v70, 2, v68
	s_load_b32 s35, s[0:1], 0x94
	s_waitcnt lgkmcnt(0)
	s_barrier
	buffer_gl0_inv
	v_add_nc_u32_e32 v98, 0x4000, v70
	v_cmp_eq_u32_e32 vcc_lo, 1, v69
	v_cmp_eq_u32_e64 s3, 2, v69
	v_cmp_eq_u32_e64 s4, 3, v69
	;; [unrolled: 1-line block ×3, first 2 shown]
	ds_load_2addr_b32 v[70:71], v98 offset1:17
	ds_load_2addr_b32 v[72:73], v98 offset0:34 offset1:51
	ds_load_2addr_b32 v[74:75], v98 offset0:68 offset1:85
	;; [unrolled: 1-line block ×3, first 2 shown]
	v_cmp_eq_u32_e64 s6, 5, v69
	v_cmp_eq_u32_e64 s7, 7, v69
	s_waitcnt lgkmcnt(3)
	v_max3_f32 v76, v70, 0xff7fffff, v71
	s_waitcnt lgkmcnt(2)
	s_delay_alu instid0(VALU_DEP_1) | instskip(SKIP_1) | instid1(VALU_DEP_1)
	v_max3_f32 v76, v76, v72, v73
	s_waitcnt lgkmcnt(1)
	v_max3_f32 v76, v76, v74, v75
	s_waitcnt lgkmcnt(0)
	s_delay_alu instid0(VALU_DEP_1) | instskip(NEXT) | instid1(VALU_DEP_1)
	v_max3_f32 v76, v76, v94, v95
	v_sub_f32_e32 v77, v71, v76
	ds_load_2addr_b32 v[96:97], v98 offset0:136 offset1:153
	v_sub_f32_e32 v74, v74, v76
	v_sub_f32_e32 v70, v70, v76
	;; [unrolled: 1-line block ×3, first 2 shown]
	v_dual_sub_f32 v72, v72, v76 :: v_dual_mul_f32 v77, 0x3fb8aa3b, v77
	s_delay_alu instid0(VALU_DEP_4) | instskip(NEXT) | instid1(VALU_DEP_4)
	v_mul_f32_e32 v103, 0x3fb8aa3b, v74
	v_mul_f32_e32 v99, 0x3fb8aa3b, v70
	ds_load_2addr_b32 v[70:71], v98 offset0:170 offset1:187
	v_dual_mul_f32 v101, 0x3fb8aa3b, v72 :: v_dual_mul_f32 v94, 0x3fb8aa3b, v94
	v_exp_f32_e32 v102, v77
	v_exp_f32_e32 v99, v99
	s_delay_alu instid0(VALU_DEP_1) | instskip(NEXT) | instid1(VALU_DEP_1)
	v_exp_f32_e32 v101, v101
	v_exp_f32_e32 v94, v94
	s_waitcnt lgkmcnt(1)
	s_delay_alu instid0(TRANS32_DEP_3)
	v_fma_f32 v77, v99, v96, 0
	v_sub_f32_e32 v100, v73, v76
	ds_load_2addr_b32 v[72:73], v98 offset0:204 offset1:221
	v_fmac_f32_e32 v77, v102, v97
	v_exp_f32_e32 v97, v103
	s_waitcnt lgkmcnt(1)
	s_delay_alu instid0(VALU_DEP_1)
	v_dual_fmac_f32 v77, v101, v70 :: v_dual_sub_f32 v96, v75, v76
	ds_load_2addr_b32 v[74:75], v98 offset0:238 offset1:255
	v_sub_f32_e32 v70, v95, v76
	s_waitcnt lgkmcnt(0)
	s_barrier
	v_mul_f32_e32 v96, 0x3fb8aa3b, v96
	buffer_gl0_inv
	v_exp_f32_e32 v95, v96
	v_mul_f32_e32 v100, 0x3fb8aa3b, v100
	s_delay_alu instid0(VALU_DEP_1) | instskip(SKIP_3) | instid1(VALU_DEP_2)
	v_exp_f32_e32 v100, v100
	s_waitcnt_depctr 0xfff
	v_dual_fmac_f32 v77, v100, v71 :: v_dual_mul_f32 v70, 0x3fb8aa3b, v70
	v_cndmask_b32_e32 v71, v99, v102, vcc_lo
	v_fmac_f32_e32 v77, v97, v72
	s_delay_alu instid0(VALU_DEP_3) | instskip(NEXT) | instid1(VALU_DEP_1)
	v_exp_f32_e32 v96, v70
	v_fmac_f32_e32 v77, v95, v73
	s_delay_alu instid0(VALU_DEP_1) | instskip(SKIP_2) | instid1(VALU_DEP_1)
	v_fmac_f32_e32 v77, v94, v74
	s_waitcnt_depctr 0xfff
	v_fmac_f32_e32 v77, v96, v75
	v_add_f32_e32 v74, 0x358637bd, v77
	s_delay_alu instid0(VALU_DEP_1) | instskip(SKIP_1) | instid1(VALU_DEP_2)
	v_div_scale_f32 v98, null, v74, v74, 1.0
	v_div_scale_f32 v99, vcc_lo, 1.0, v74, 1.0
	v_rcp_f32_e32 v103, v98
	s_waitcnt_depctr 0xfff
	v_fma_f32 v70, -v98, v103, 1.0
	s_delay_alu instid0(VALU_DEP_1) | instskip(SKIP_2) | instid1(VALU_DEP_2)
	v_fmac_f32_e32 v103, v70, v103
	v_cndmask_b32_e64 v70, v71, v101, s3
	v_cmp_eq_u32_e64 s3, 6, v69
	v_cndmask_b32_e64 v71, v70, v100, s4
	s_delay_alu instid0(VALU_DEP_4) | instskip(NEXT) | instid1(VALU_DEP_2)
	v_dual_mul_f32 v101, v99, v103 :: v_dual_lshlrev_b32 v70, 2, v66
	v_cndmask_b32_e64 v71, v71, v97, s5
	s_delay_alu instid0(VALU_DEP_2) | instskip(NEXT) | instid1(VALU_DEP_3)
	v_or_b32_e32 v72, 1, v70
	v_fma_f32 v100, -v98, v101, v99
	v_cmp_eq_u32_e64 s4, 1, v70
	v_cmp_eq_u32_e64 s5, 2, v70
	v_cndmask_b32_e64 v95, v71, v95, s6
	v_or_b32_e32 v71, 3, v70
	v_fmac_f32_e32 v101, v100, v103
	v_cmp_eq_u32_e64 s9, 1, v72
	v_cmp_eq_u32_e64 s12, 2, v72
	v_cndmask_b32_e64 v94, v95, v94, s3
	v_cmp_eq_u32_e64 s11, 1, v71
	v_fma_f32 v97, -v98, v101, v99
	v_cmp_eq_u32_e64 s16, 2, v71
	v_cmp_eq_u32_e64 s13, 3, v72
	v_cndmask_b32_e64 v94, v94, v96, s7
	v_cmp_eq_u32_e64 s18, 3, v71
	v_div_fmas_f32 v95, v97, v103, v101
	v_cmp_eq_u32_e32 vcc_lo, 3, v70
	v_cmp_eq_u32_e64 s3, 4, v70
	v_cmp_eq_u32_e64 s19, 4, v72
	;; [unrolled: 1-line block ×3, first 2 shown]
	v_div_fixup_f32 v95, v95, v74, 1.0
	v_lshlrev_b32_e32 v73, 6, v68
	v_cmp_eq_u32_e64 s6, 5, v70
	v_cmp_eq_u32_e64 s20, 5, v72
	;; [unrolled: 1-line block ×3, first 2 shown]
	v_mul_f32_e32 v102, v94, v95
	v_lshl_or_b32 v75, v69, 11, v73
	v_or_b32_e32 v69, 2, v70
	v_cmp_eq_u32_e64 s25, 6, v72
	v_cmp_eq_u32_e64 s27, 6, v71
	v_fma_mixlo_f16 v94, v102, v79, 0
	v_fma_mixlo_f16 v95, v102, v81, 0
	;; [unrolled: 1-line block ×8, first 2 shown]
	v_lshl_or_b32 v74, v66, 4, v75
	v_fma_mixhi_f16 v94, v102, v78, 0
	v_fma_mixhi_f16 v95, v102, v80, 0
	;; [unrolled: 1-line block ×8, first 2 shown]
	ds_store_b128 v74, v[94:97]
	ds_store_b128 v74, v[98:101] offset:1024
	s_waitcnt lgkmcnt(0)
	s_barrier
	buffer_gl0_inv
	ds_load_b128 v[78:81], v75
	ds_load_b128 v[82:85], v75 offset:16
	ds_load_b128 v[86:89], v75 offset:1024
	;; [unrolled: 1-line block ×3, first 2 shown]
	v_cmp_eq_u32_e64 s10, 1, v69
	v_cmp_eq_u32_e64 s15, 2, v69
	;; [unrolled: 1-line block ×11, first 2 shown]
	s_waitcnt lgkmcnt(3)
	v_lshrrev_b32_e32 v94, 16, v78
	s_waitcnt lgkmcnt(2)
	v_lshrrev_b32_e32 v98, 16, v82
	;; [unrolled: 2-line block ×4, first 2 shown]
	v_lshrrev_b32_e32 v95, 16, v79
	v_cndmask_b32_e64 v110, v78, v94, s4
	v_cndmask_b32_e64 v111, v82, v98, s4
	;; [unrolled: 1-line block ×8, first 2 shown]
	v_lshrrev_b32_e32 v99, 16, v83
	v_cndmask_b32_e64 v94, v86, v102, s4
	v_cndmask_b32_e64 v98, v90, v106, s4
	;; [unrolled: 1-line block ×15, first 2 shown]
	v_lshrrev_b32_e32 v103, 16, v87
	v_lshrrev_b32_e32 v107, 16, v91
	v_cndmask_b32_e64 v113, v115, v83, s15
	v_cndmask_b32_e64 v82, v94, v87, s5
	;; [unrolled: 1-line block ×7, first 2 shown]
	v_cndmask_b32_e32 v90, v102, v95, vcc_lo
	v_cndmask_b32_e32 v102, v106, v99, vcc_lo
	v_cndmask_b32_e64 v106, v110, v95, s13
	v_cndmask_b32_e64 v110, v111, v99, s13
	;; [unrolled: 1-line block ×4, first 2 shown]
	v_lshrrev_b32_e32 v96, 16, v80
	v_lshrrev_b32_e32 v100, 16, v84
	v_cndmask_b32_e64 v111, v112, v95, s17
	v_cndmask_b32_e64 v112, v113, v99, s17
	v_cndmask_b32_e32 v82, v82, v103, vcc_lo
	v_cndmask_b32_e32 v83, v83, v107, vcc_lo
	v_cndmask_b32_e64 v94, v94, v103, s13
	v_cndmask_b32_e64 v90, v90, v80, s3
	;; [unrolled: 1-line block ×7, first 2 shown]
	v_lshrrev_b32_e32 v104, 16, v88
	v_cndmask_b32_e64 v106, v111, v80, s21
	v_cndmask_b32_e64 v110, v112, v84, s21
	;; [unrolled: 1-line block ×11, first 2 shown]
	v_lshrrev_b32_e32 v97, 16, v81
	v_lshrrev_b32_e32 v101, 16, v85
	v_cndmask_b32_e64 v99, v106, v96, s23
	v_cndmask_b32_e64 v102, v110, v100, s23
	v_cndmask_b32_e64 v83, v83, v104, s20
	v_cndmask_b32_e64 v94, v94, v81, s25
	v_cndmask_b32_e64 v95, v95, v85, s25
	v_cndmask_b32_e64 v78, v78, v81, s27
	v_cndmask_b32_e64 v79, v79, v85, s27
	v_lshrrev_b32_e32 v105, 16, v89
	v_cndmask_b32_e64 v80, v80, v104, s6
	v_cndmask_b32_e64 v84, v84, v81, s7
	;; [unrolled: 1-line block ×16, first 2 shown]
	v_perm_b32 v81, v79, v78, 0x5040100
	v_perm_b32 v79, v95, v85, 0x5040100
	v_cndmask_b32_e64 v78, v119, v91, s15
	v_cndmask_b32_e64 v85, v117, v91, s12
	;; [unrolled: 1-line block ×3, first 2 shown]
	v_perm_b32 v80, v94, v90, 0x5040100
	v_cndmask_b32_e64 v90, v98, v103, s17
	v_cndmask_b32_e64 v86, v86, v103, s18
	;; [unrolled: 1-line block ×5, first 2 shown]
	v_lshrrev_b32_e32 v108, 16, v92
	v_cndmask_b32_e64 v90, v90, v88, s21
	v_cndmask_b32_e64 v86, v86, v88, s22
	;; [unrolled: 1-line block ×11, first 2 shown]
	v_lshrrev_b32_e32 v109, 16, v93
	v_cndmask_b32_e64 v82, v82, v93, s7
	v_cndmask_b32_e64 v88, v88, v89, s26
	;; [unrolled: 1-line block ×12, first 2 shown]
	v_perm_b32 v78, v84, v83, 0x5040100
	v_perm_b32 v85, v87, v86, 0x5040100
	;; [unrolled: 1-line block ×5, first 2 shown]
	s_mul_i32 s8, s33, 9
	s_mov_b32 s3, exec_lo
	ds_store_b128 v74, v[78:81]
	ds_store_b128 v74, v[82:85] offset:1024
	v_cmpx_gt_u32_e32 9, v0
	s_cbranch_execz .LBB1334_14
; %bb.13:
	s_mul_i32 s4, s8, s34
	s_delay_alu instid0(SALU_CYCLE_1) | instskip(SKIP_1) | instid1(VALU_DEP_1)
	v_add3_u32 v68, s4, s31, v68
	s_load_b128 s[4:7], s[0:1], 0x58
	v_mad_u64_u32 v[78:79], null, v68, s35, s[14:15]
	s_delay_alu instid0(VALU_DEP_1) | instskip(NEXT) | instid1(VALU_DEP_1)
	v_ashrrev_i32_e32 v79, 31, v78
	v_lshlrev_b64 v[78:79], 2, v[78:79]
	s_waitcnt lgkmcnt(0)
	s_delay_alu instid0(VALU_DEP_1) | instskip(NEXT) | instid1(VALU_DEP_2)
	v_add_co_u32 v80, vcc_lo, s6, v78
	v_add_co_ci_u32_e32 v81, vcc_lo, s7, v79, vcc_lo
	v_add_co_u32 v78, vcc_lo, s4, v78
	v_add_co_ci_u32_e32 v79, vcc_lo, s5, v79, vcc_lo
	global_store_b32 v[80:81], v76, off
	global_store_b32 v[78:79], v77, off
.LBB1334_14:
	s_or_b32 exec_lo, exec_lo, s3
	s_waitcnt lgkmcnt(0)
	s_waitcnt_vscnt null, 0x0
	s_barrier
	buffer_gl0_inv
	ds_load_b128 v[84:87], v73
	ds_load_b128 v[88:91], v73 offset:16
	ds_load_b128 v[96:99], v73 offset:2064
	;; [unrolled: 1-line block ×5, first 2 shown]
	v_cmp_eq_u32_e32 vcc_lo, 1, v70
	v_mov_b32_e32 v76, 0
	ds_load_b128 v[112:115], v73 offset:6160
	ds_load_b128 v[108:111], v73 offset:6144
	;; [unrolled: 1-line block ×4, first 2 shown]
	v_cmp_eq_u32_e64 s4, 1, v69
	v_cmp_eq_u32_e64 s3, 1, v72
	;; [unrolled: 1-line block ×3, first 2 shown]
	v_mov_b32_e32 v77, v76
	v_mov_b32_e32 v78, v76
	;; [unrolled: 1-line block ×7, first 2 shown]
	v_cmp_eq_u32_e64 s6, 3, v72
	v_cmp_eq_u32_e64 s7, 7, v72
	s_waitcnt lgkmcnt(8)
	s_delay_alu instid0(VALU_DEP_3)
	v_wmma_f32_16x16x16_f16 v[76:83], v[49:56], v[84:91], v[76:83]
	ds_load_b128 v[53:56], v73 offset:10256
	ds_load_b128 v[49:52], v73 offset:10240
	s_waitcnt lgkmcnt(8)
	v_wmma_f32_16x16x16_f16 v[76:83], v[41:48], v[92:99], v[76:83]
	ds_load_b128 v[45:48], v73 offset:12304
	ds_load_b128 v[41:44], v73 offset:12288
	s_waitcnt lgkmcnt(8)
	;; [unrolled: 4-line block ×3, first 2 shown]
	s_barrier
	buffer_gl0_inv
	v_wmma_f32_16x16x16_f16 v[76:83], v[1:8], v[108:115], v[76:83]
	s_delay_alu instid0(VALU_DEP_1) | instskip(NEXT) | instid1(VALU_DEP_1)
	v_wmma_f32_16x16x16_f16 v[76:83], v[9:16], v[116:123], v[76:83]
	v_wmma_f32_16x16x16_f16 v[76:83], v[17:24], v[49:56], v[76:83]
	s_delay_alu instid0(VALU_DEP_1) | instskip(NEXT) | instid1(VALU_DEP_1)
	v_wmma_f32_16x16x16_f16 v[76:83], v[25:32], v[41:48], v[76:83]
	v_wmma_f32_16x16x16_f16 v[76:83], v[57:64], v[33:40], v[76:83]
	s_delay_alu instid0(VALU_DEP_1) | instskip(NEXT) | instid1(VALU_DEP_2)
	v_cvt_f16_f32_e32 v1, v76
	v_cvt_f16_f32_e32 v2, v77
	s_delay_alu instid0(VALU_DEP_3) | instskip(NEXT) | instid1(VALU_DEP_4)
	v_cvt_f16_f32_e32 v3, v78
	v_cvt_f16_f32_e32 v4, v79
	;; [unrolled: 1-line block ×6, first 2 shown]
	v_pack_b32_f16 v1, v1, v2
	v_pack_b32_f16 v2, v3, v4
	;; [unrolled: 1-line block ×3, first 2 shown]
	s_delay_alu instid0(VALU_DEP_4)
	v_pack_b32_f16 v4, v7, v8
	ds_store_b128 v74, v[1:4]
	s_waitcnt lgkmcnt(0)
	s_barrier
	buffer_gl0_inv
	ds_load_b128 v[1:4], v75
	ds_load_b128 v[5:8], v75 offset:16
	s_waitcnt lgkmcnt(1)
	v_lshrrev_b32_e32 v9, 16, v1
	s_waitcnt lgkmcnt(0)
	v_lshrrev_b32_e32 v13, 16, v5
	v_lshrrev_b32_e32 v10, 16, v2
	;; [unrolled: 1-line block ×4, first 2 shown]
	v_cndmask_b32_e32 v17, v1, v9, vcc_lo
	v_cndmask_b32_e32 v18, v5, v13, vcc_lo
	v_cndmask_b32_e64 v21, v1, v9, s4
	v_cmp_eq_u32_e32 vcc_lo, 1, v71
	v_cndmask_b32_e64 v22, v5, v13, s4
	v_cmp_eq_u32_e64 s4, 2, v70
	v_cndmask_b32_e64 v19, v1, v9, s3
	v_cndmask_b32_e64 v20, v5, v13, s3
	v_cndmask_b32_e32 v1, v1, v9, vcc_lo
	v_cmp_eq_u32_e64 s3, 2, v71
	v_cndmask_b32_e32 v5, v5, v13, vcc_lo
	v_cndmask_b32_e64 v9, v17, v2, s4
	v_cmp_eq_u32_e32 vcc_lo, 3, v70
	v_cndmask_b32_e64 v13, v18, v6, s4
	v_cmp_eq_u32_e64 s4, 2, v69
	v_cndmask_b32_e64 v17, v19, v2, s5
	v_cndmask_b32_e64 v18, v20, v6, s5
	v_cmp_eq_u32_e64 s5, 3, v69
	v_cndmask_b32_e64 v1, v1, v2, s3
	v_cndmask_b32_e64 v19, v21, v2, s4
	;; [unrolled: 1-line block ×4, first 2 shown]
	v_cndmask_b32_e32 v5, v9, v10, vcc_lo
	v_cndmask_b32_e32 v6, v13, v14, vcc_lo
	v_cmp_eq_u32_e32 vcc_lo, 3, v71
	v_cndmask_b32_e64 v9, v17, v10, s6
	v_cndmask_b32_e64 v13, v18, v14, s6
	;; [unrolled: 1-line block ×3, first 2 shown]
	v_cmp_eq_u32_e64 s4, 4, v70
	v_cndmask_b32_e32 v1, v1, v10, vcc_lo
	v_cndmask_b32_e32 v2, v2, v14, vcc_lo
	v_cmp_eq_u32_e32 vcc_lo, 4, v72
	v_lshrrev_b32_e32 v15, 16, v7
	v_lshrrev_b32_e32 v16, 16, v8
	v_cndmask_b32_e64 v17, v19, v10, s5
	v_cmp_eq_u32_e64 s3, 4, v71
	v_cndmask_b32_e64 v5, v5, v3, s4
	v_cndmask_b32_e64 v6, v6, v7, s4
	v_cndmask_b32_e32 v9, v9, v3, vcc_lo
	v_cmp_eq_u32_e64 s4, 5, v72
	v_cndmask_b32_e32 v10, v13, v7, vcc_lo
	v_cmp_eq_u32_e32 vcc_lo, 4, v69
	v_cmp_eq_u32_e64 s5, 5, v70
	v_cndmask_b32_e64 v2, v2, v7, s3
	v_cndmask_b32_e64 v9, v9, v11, s4
	;; [unrolled: 1-line block ×3, first 2 shown]
	v_cndmask_b32_e32 v13, v17, v3, vcc_lo
	v_cmp_eq_u32_e64 s4, 5, v69
	v_cndmask_b32_e32 v14, v18, v7, vcc_lo
	v_cndmask_b32_e64 v1, v1, v3, s3
	v_cmp_eq_u32_e32 vcc_lo, 5, v71
	v_lshrrev_b32_e32 v12, 16, v4
	v_cndmask_b32_e64 v13, v13, v11, s4
	v_cndmask_b32_e64 v3, v14, v15, s4
	v_cmp_eq_u32_e64 s4, 6, v71
	v_cndmask_b32_e32 v1, v1, v11, vcc_lo
	v_cndmask_b32_e64 v5, v5, v11, s5
	v_cmp_eq_u32_e64 s6, 6, v70
	v_cndmask_b32_e64 v6, v6, v15, s5
	v_cmp_eq_u32_e64 s5, 6, v72
	v_cmp_eq_u32_e64 s3, 6, v69
	v_cndmask_b32_e64 v1, v1, v4, s4
	v_cndmask_b32_e32 v2, v2, v15, vcc_lo
	v_cmp_eq_u32_e32 vcc_lo, 7, v71
	v_cndmask_b32_e64 v5, v5, v4, s6
	v_cndmask_b32_e64 v9, v9, v4, s5
	;; [unrolled: 1-line block ×3, first 2 shown]
	v_cmp_eq_u32_e64 s6, 7, v70
	v_cndmask_b32_e32 v1, v1, v12, vcc_lo
	v_cndmask_b32_e64 v7, v13, v4, s3
	v_cndmask_b32_e64 v3, v3, v8, s3
	;; [unrolled: 1-line block ×3, first 2 shown]
	v_cmp_eq_u32_e64 s3, 7, v69
	v_cndmask_b32_e64 v4, v10, v8, s5
	v_cndmask_b32_e64 v5, v5, v12, s6
	;; [unrolled: 1-line block ×3, first 2 shown]
	v_cndmask_b32_e32 v2, v2, v16, vcc_lo
	v_cndmask_b32_e64 v7, v7, v12, s3
	v_cndmask_b32_e64 v3, v3, v16, s3
	;; [unrolled: 1-line block ×4, first 2 shown]
	v_perm_b32 v4, v2, v1, 0x5040100
	s_mov_b32 s3, exec_lo
	v_perm_b32 v3, v3, v7, 0x5040100
	v_perm_b32 v2, v8, v9, 0x5040100
	;; [unrolled: 1-line block ×3, first 2 shown]
	ds_store_b128 v74, v[1:4]
	s_waitcnt lgkmcnt(0)
	s_barrier
	buffer_gl0_inv
	v_cmpx_gt_u32_e32 32, v0
	s_cbranch_execz .LBB1334_2
; %bb.15:
	s_load_b64 s[4:5], s[0:1], 0x68
	v_lshlrev_b32_e32 v0, 10, v0
	v_lshlrev_b32_e32 v1, 4, v67
	s_lshl_b32 s0, s35, 7
	v_add_nc_u32_e32 v2, s31, v66
	s_mul_i32 s1, s0, s34
	s_delay_alu instid0(SALU_CYCLE_1) | instskip(SKIP_1) | instid1(VALU_DEP_2)
	s_mul_i32 s6, s1, s8
	v_and_or_b32 v0, 0x3800, v0, v1
	v_mul_lo_u32 v1, v2, s0
	s_ashr_i32 s7, s6, 31
	v_add_nc_u32_e32 v3, 2, v2
	s_lshl_b64 s[6:7], s[6:7], 1
	v_add_nc_u32_e32 v4, 4, v2
	v_add_nc_u32_e32 v5, 6, v2
	v_lshl_or_b32 v15, v66, 6, v0
	v_mul_lo_u32 v3, v3, s0
	v_ashrrev_i32_e32 v2, 31, v1
	v_mul_lo_u32 v19, v4, s0
	v_mul_lo_u32 v21, v5, s0
	s_waitcnt lgkmcnt(0)
	s_add_u32 s1, s4, s6
	s_addc_u32 s3, s5, s7
	s_lshl_b32 s4, s14, 7
	v_lshlrev_b64 v[5:6], 1, v[1:2]
	s_ashr_i32 s5, s4, 31
	v_ashrrev_i32_e32 v4, 31, v3
	s_lshl_b64 s[4:5], s[4:5], 1
	v_ashrrev_i32_e32 v20, 31, v19
	s_add_u32 s1, s1, s4
	s_addc_u32 s3, s3, s5
	v_add_co_u32 v1, s1, s1, v65
	s_delay_alu instid0(VALU_DEP_1) | instskip(SKIP_1) | instid1(VALU_DEP_3)
	v_add_co_ci_u32_e64 v2, null, s3, 0, s1
	v_lshlrev_b64 v[25:26], 1, v[3:4]
	v_add_co_u32 v23, vcc_lo, v1, v5
	s_delay_alu instid0(VALU_DEP_3)
	v_add_co_ci_u32_e32 v24, vcc_lo, v2, v6, vcc_lo
	ds_load_b128 v[3:6], v15
	ds_load_b128 v[7:10], v15 offset:128
	ds_load_b128 v[11:14], v15 offset:256
	;; [unrolled: 1-line block ×3, first 2 shown]
	v_ashrrev_i32_e32 v22, 31, v21
	v_lshlrev_b64 v[19:20], 1, v[19:20]
	v_add_co_u32 v25, vcc_lo, v1, v25
	v_add_co_ci_u32_e32 v26, vcc_lo, v2, v26, vcc_lo
	s_delay_alu instid0(VALU_DEP_4) | instskip(NEXT) | instid1(VALU_DEP_4)
	v_lshlrev_b64 v[21:22], 1, v[21:22]
	v_add_co_u32 v19, vcc_lo, v1, v19
	v_add_co_ci_u32_e32 v20, vcc_lo, v2, v20, vcc_lo
	s_delay_alu instid0(VALU_DEP_3) | instskip(NEXT) | instid1(VALU_DEP_4)
	v_add_co_u32 v21, vcc_lo, v1, v21
	v_add_co_ci_u32_e32 v22, vcc_lo, v2, v22, vcc_lo
	s_waitcnt lgkmcnt(3)
	global_store_b128 v[23:24], v[3:6], off
	s_waitcnt lgkmcnt(2)
	global_store_b128 v[25:26], v[7:10], off
	;; [unrolled: 2-line block ×4, first 2 shown]
	s_and_b32 exec_lo, exec_lo, s2
	s_cbranch_execz .LBB1334_2
; %bb.16:
	ds_load_b128 v[3:6], v0 offset:512
	s_add_i32 s1, s31, 8
	s_delay_alu instid0(SALU_CYCLE_1) | instskip(NEXT) | instid1(SALU_CYCLE_1)
	s_mul_i32 s0, s1, s0
	s_ashr_i32 s1, s0, 31
	s_delay_alu instid0(SALU_CYCLE_1) | instskip(NEXT) | instid1(SALU_CYCLE_1)
	s_lshl_b64 s[0:1], s[0:1], 1
	v_add_co_u32 v0, vcc_lo, v1, s0
	v_add_co_ci_u32_e32 v1, vcc_lo, s1, v2, vcc_lo
	s_waitcnt lgkmcnt(0)
	global_store_b128 v[0:1], v[3:6], off
	s_nop 0
	s_sendmsg sendmsg(MSG_DEALLOC_VGPRS)
	s_endpgm
	.section	.rodata,"a",@progbits
	.p2align	6, 0x0
	.amdhsa_kernel _Z39paged_attention_ll4mi_QKV_mfma16_kernelIDF16_hLN4vllm18Fp8KVCacheDataTypeE1EDF16_Li32ELi128ELi256ELb0ELi9EL8MFMAType0EEvPKT_PKT0_S8_ifPKiSA_SA_iPKfiiiPfSD_PS3_PT2_iSC_SC_
		.amdhsa_group_segment_fixed_size 17472
		.amdhsa_private_segment_fixed_size 0
		.amdhsa_kernarg_size 400
		.amdhsa_user_sgpr_count 13
		.amdhsa_user_sgpr_dispatch_ptr 0
		.amdhsa_user_sgpr_queue_ptr 0
		.amdhsa_user_sgpr_kernarg_segment_ptr 1
		.amdhsa_user_sgpr_dispatch_id 0
		.amdhsa_user_sgpr_private_segment_size 0
		.amdhsa_wavefront_size32 1
		.amdhsa_uses_dynamic_stack 0
		.amdhsa_enable_private_segment 0
		.amdhsa_system_sgpr_workgroup_id_x 1
		.amdhsa_system_sgpr_workgroup_id_y 1
		.amdhsa_system_sgpr_workgroup_id_z 1
		.amdhsa_system_sgpr_workgroup_info 0
		.amdhsa_system_vgpr_workitem_id 0
		.amdhsa_next_free_vgpr 150
		.amdhsa_next_free_sgpr 37
		.amdhsa_reserve_vcc 1
		.amdhsa_float_round_mode_32 0
		.amdhsa_float_round_mode_16_64 0
		.amdhsa_float_denorm_mode_32 3
		.amdhsa_float_denorm_mode_16_64 3
		.amdhsa_dx10_clamp 1
		.amdhsa_ieee_mode 1
		.amdhsa_fp16_overflow 0
		.amdhsa_workgroup_processor_mode 1
		.amdhsa_memory_ordered 1
		.amdhsa_forward_progress 0
		.amdhsa_shared_vgpr_count 0
		.amdhsa_exception_fp_ieee_invalid_op 0
		.amdhsa_exception_fp_denorm_src 0
		.amdhsa_exception_fp_ieee_div_zero 0
		.amdhsa_exception_fp_ieee_overflow 0
		.amdhsa_exception_fp_ieee_underflow 0
		.amdhsa_exception_fp_ieee_inexact 0
		.amdhsa_exception_int_div_zero 0
	.end_amdhsa_kernel
	.section	.text._Z39paged_attention_ll4mi_QKV_mfma16_kernelIDF16_hLN4vllm18Fp8KVCacheDataTypeE1EDF16_Li32ELi128ELi256ELb0ELi9EL8MFMAType0EEvPKT_PKT0_S8_ifPKiSA_SA_iPKfiiiPfSD_PS3_PT2_iSC_SC_,"axG",@progbits,_Z39paged_attention_ll4mi_QKV_mfma16_kernelIDF16_hLN4vllm18Fp8KVCacheDataTypeE1EDF16_Li32ELi128ELi256ELb0ELi9EL8MFMAType0EEvPKT_PKT0_S8_ifPKiSA_SA_iPKfiiiPfSD_PS3_PT2_iSC_SC_,comdat
.Lfunc_end1334:
	.size	_Z39paged_attention_ll4mi_QKV_mfma16_kernelIDF16_hLN4vllm18Fp8KVCacheDataTypeE1EDF16_Li32ELi128ELi256ELb0ELi9EL8MFMAType0EEvPKT_PKT0_S8_ifPKiSA_SA_iPKfiiiPfSD_PS3_PT2_iSC_SC_, .Lfunc_end1334-_Z39paged_attention_ll4mi_QKV_mfma16_kernelIDF16_hLN4vllm18Fp8KVCacheDataTypeE1EDF16_Li32ELi128ELi256ELb0ELi9EL8MFMAType0EEvPKT_PKT0_S8_ifPKiSA_SA_iPKfiiiPfSD_PS3_PT2_iSC_SC_
                                        ; -- End function
	.section	.AMDGPU.csdata,"",@progbits
; Kernel info:
; codeLenInByte = 6744
; NumSgprs: 39
; NumVgprs: 150
; ScratchSize: 0
; MemoryBound: 0
; FloatMode: 240
; IeeeMode: 1
; LDSByteSize: 17472 bytes/workgroup (compile time only)
; SGPRBlocks: 4
; VGPRBlocks: 18
; NumSGPRsForWavesPerEU: 39
; NumVGPRsForWavesPerEU: 150
; Occupancy: 9
; WaveLimiterHint : 1
; COMPUTE_PGM_RSRC2:SCRATCH_EN: 0
; COMPUTE_PGM_RSRC2:USER_SGPR: 13
; COMPUTE_PGM_RSRC2:TRAP_HANDLER: 0
; COMPUTE_PGM_RSRC2:TGID_X_EN: 1
; COMPUTE_PGM_RSRC2:TGID_Y_EN: 1
; COMPUTE_PGM_RSRC2:TGID_Z_EN: 1
; COMPUTE_PGM_RSRC2:TIDIG_COMP_CNT: 0
	.section	.text._Z39paged_attention_ll4mi_QKV_mfma16_kernelIDF16_hLN4vllm18Fp8KVCacheDataTypeE1EDF16_Li32ELi128ELi256ELb0ELi10EL8MFMAType0EEvPKT_PKT0_S8_ifPKiSA_SA_iPKfiiiPfSD_PS3_PT2_iSC_SC_,"axG",@progbits,_Z39paged_attention_ll4mi_QKV_mfma16_kernelIDF16_hLN4vllm18Fp8KVCacheDataTypeE1EDF16_Li32ELi128ELi256ELb0ELi10EL8MFMAType0EEvPKT_PKT0_S8_ifPKiSA_SA_iPKfiiiPfSD_PS3_PT2_iSC_SC_,comdat
	.protected	_Z39paged_attention_ll4mi_QKV_mfma16_kernelIDF16_hLN4vllm18Fp8KVCacheDataTypeE1EDF16_Li32ELi128ELi256ELb0ELi10EL8MFMAType0EEvPKT_PKT0_S8_ifPKiSA_SA_iPKfiiiPfSD_PS3_PT2_iSC_SC_ ; -- Begin function _Z39paged_attention_ll4mi_QKV_mfma16_kernelIDF16_hLN4vllm18Fp8KVCacheDataTypeE1EDF16_Li32ELi128ELi256ELb0ELi10EL8MFMAType0EEvPKT_PKT0_S8_ifPKiSA_SA_iPKfiiiPfSD_PS3_PT2_iSC_SC_
	.globl	_Z39paged_attention_ll4mi_QKV_mfma16_kernelIDF16_hLN4vllm18Fp8KVCacheDataTypeE1EDF16_Li32ELi128ELi256ELb0ELi10EL8MFMAType0EEvPKT_PKT0_S8_ifPKiSA_SA_iPKfiiiPfSD_PS3_PT2_iSC_SC_
	.p2align	8
	.type	_Z39paged_attention_ll4mi_QKV_mfma16_kernelIDF16_hLN4vllm18Fp8KVCacheDataTypeE1EDF16_Li32ELi128ELi256ELb0ELi10EL8MFMAType0EEvPKT_PKT0_S8_ifPKiSA_SA_iPKfiiiPfSD_PS3_PT2_iSC_SC_,@function
_Z39paged_attention_ll4mi_QKV_mfma16_kernelIDF16_hLN4vllm18Fp8KVCacheDataTypeE1EDF16_Li32ELi128ELi256ELb0ELi10EL8MFMAType0EEvPKT_PKT0_S8_ifPKiSA_SA_iPKfiiiPfSD_PS3_PT2_iSC_SC_: ; @_Z39paged_attention_ll4mi_QKV_mfma16_kernelIDF16_hLN4vllm18Fp8KVCacheDataTypeE1EDF16_Li32ELi128ELi256ELb0ELi10EL8MFMAType0EEvPKT_PKT0_S8_ifPKiSA_SA_iPKfiiiPfSD_PS3_PT2_iSC_SC_
; %bb.0:
	s_load_b64 s[4:5], s[0:1], 0x30
	s_mov_b32 s30, s13
	s_waitcnt lgkmcnt(0)
	s_cmp_lg_u64 s[4:5], 0
	s_cselect_b32 s8, -1, 0
	s_ashr_i32 s31, s13, 31
	s_cmp_eq_u64 s[4:5], 0
	s_cbranch_scc1 .LBB1335_3
; %bb.1:
	s_lshl_b64 s[2:3], s[30:31], 2
	s_delay_alu instid0(SALU_CYCLE_1) | instskip(SKIP_4) | instid1(SALU_CYCLE_1)
	s_add_u32 s2, s4, s2
	s_addc_u32 s3, s5, s3
	s_load_b64 s[2:3], s[2:3], 0x0
	s_waitcnt lgkmcnt(0)
	s_sub_i32 s2, s3, s2
	s_cmp_eq_u32 s2, 1
	s_cselect_b32 s2, -1, 0
	s_delay_alu instid0(SALU_CYCLE_1)
	s_and_not1_b32 vcc_lo, exec_lo, s2
	s_cbranch_vccz .LBB1335_4
.LBB1335_2:
	s_endpgm
.LBB1335_3:
.LBB1335_4:
	s_load_b64 s[2:3], s[0:1], 0x28
	s_lshl_b64 s[6:7], s[30:31], 2
	s_waitcnt lgkmcnt(0)
	s_add_u32 s2, s2, s6
	s_addc_u32 s3, s3, s7
	s_lshl_b32 s12, s14, 8
	s_load_b32 s24, s[2:3], 0x0
	s_waitcnt lgkmcnt(0)
	s_cmp_ge_i32 s12, s24
	s_cbranch_scc1 .LBB1335_2
; %bb.5:
	s_clause 0x1
	s_load_b128 s[20:23], s[0:1], 0x8
	s_load_b64 s[2:3], s[0:1], 0x20
	s_and_not1_b32 vcc_lo, exec_lo, s8
	s_cbranch_vccnz .LBB1335_7
; %bb.6:
	s_add_u32 s4, s4, s6
	s_addc_u32 s5, s5, s7
	s_load_b32 s5, s[4:5], 0x0
	s_branch .LBB1335_8
.LBB1335_7:
	s_mov_b32 s5, s30
.LBB1335_8:
	s_load_b128 s[16:19], s[0:1], 0x48
	v_and_b32_e32 v68, 15, v0
	v_lshrrev_b32_e32 v69, 5, v0
	v_and_b32_e32 v70, 31, v0
	v_and_b32_e32 v67, 1, v0
	v_bfe_u32 v66, v0, 4, 1
	v_lshlrev_b32_e32 v1, 3, v68
	s_mul_i32 s31, s15, 10
	s_mov_b32 s4, exec_lo
	s_delay_alu instid0(VALU_DEP_1)
	v_lshlrev_b32_e32 v65, 1, v1
	v_cmpx_gt_u32_e32 0xa0, v0
	s_cbranch_execz .LBB1335_10
; %bb.9:
	s_load_b64 s[6:7], s[0:1], 0x0
	v_lshl_or_b32 v5, v69, 1, v66
	s_waitcnt lgkmcnt(0)
	s_mul_hi_i32 s9, s5, s16
	s_mul_i32 s8, s5, s16
	v_lshlrev_b32_e32 v6, 10, v68
	s_lshl_b64 s[8:9], s[8:9], 1
	v_add_lshl_u32 v1, v5, s31, 7
	v_lshlrev_b32_e32 v5, 6, v5
	v_lshlrev_b32_e32 v7, 10, v67
	v_and_b32_e32 v6, 0x3800, v6
	s_delay_alu instid0(VALU_DEP_4) | instskip(NEXT) | instid1(VALU_DEP_2)
	v_ashrrev_i32_e32 v2, 31, v1
	v_or3_b32 v5, v6, v7, v5
	s_delay_alu instid0(VALU_DEP_2) | instskip(SKIP_2) | instid1(VALU_DEP_1)
	v_lshlrev_b64 v[1:2], 1, v[1:2]
	s_add_u32 s5, s6, s8
	s_addc_u32 s6, s7, s9
	v_add_co_u32 v1, vcc_lo, s5, v1
	s_delay_alu instid0(VALU_DEP_2) | instskip(NEXT) | instid1(VALU_DEP_2)
	v_add_co_ci_u32_e32 v2, vcc_lo, s6, v2, vcc_lo
	v_add_co_u32 v1, vcc_lo, v1, v65
	s_delay_alu instid0(VALU_DEP_2)
	v_add_co_ci_u32_e32 v2, vcc_lo, 0, v2, vcc_lo
	global_load_b128 v[1:4], v[1:2], off
	s_waitcnt vmcnt(0)
	ds_store_b128 v5, v[1:4]
.LBB1335_10:
	s_or_b32 exec_lo, exec_lo, s4
	v_and_b32_e32 v1, 0xef, v0
	s_waitcnt lgkmcnt(0)
	s_add_i32 s5, s24, 31
	s_clause 0x1
	s_load_b32 s4, s[0:1], 0x38
	s_load_b32 s33, s[0:1], 0x98
	s_ashr_i32 s6, s5, 31
	v_add_nc_u32_e32 v1, s12, v1
	s_lshr_b32 s6, s6, 27
	s_load_b32 s19, s[0:1], 0x1c
	s_add_i32 s5, s5, s6
	s_waitcnt lgkmcnt(0)
	v_ashrrev_i32_e32 v2, 31, v1
	v_or_b32_e32 v3, 16, v1
	s_ashr_i32 s13, s5, 5
	v_cmp_gt_i32_e32 vcc_lo, s24, v1
	s_add_i32 s13, s13, -1
	v_lshrrev_b32_e32 v2, 27, v2
	s_barrier
	buffer_gl0_inv
	s_mul_i32 s15, s15, s18
	v_add_nc_u32_e32 v4, v1, v2
	s_mul_i32 s4, s30, s4
	s_delay_alu instid0(SALU_CYCLE_1) | instskip(NEXT) | instid1(VALU_DEP_1)
	s_ashr_i32 s5, s4, 31
	v_ashrrev_i32_e32 v4, 5, v4
	v_add_nc_u32_e32 v2, v3, v2
	s_lshl_b64 s[4:5], s[4:5], 2
	s_delay_alu instid0(SALU_CYCLE_1) | instskip(NEXT) | instid1(VALU_DEP_2)
	s_add_u32 s16, s2, s4
	v_cndmask_b32_e32 v1, s13, v4, vcc_lo
	s_delay_alu instid0(VALU_DEP_2)
	v_ashrrev_i32_e32 v2, 5, v2
	v_cmp_gt_i32_e32 vcc_lo, s24, v3
	s_addc_u32 s25, s3, s5
	s_ashr_i32 s18, s15, 31
	s_add_u32 s2, s20, s15
	s_addc_u32 s3, s21, s18
	v_cndmask_b32_e32 v3, s13, v2, vcc_lo
	v_ashrrev_i32_e32 v2, 31, v1
	s_lshl_b32 s4, s14, 3
	s_delay_alu instid0(SALU_CYCLE_1) | instskip(NEXT) | instid1(VALU_DEP_2)
	s_ashr_i32 s5, s4, 31
	v_ashrrev_i32_e32 v4, 31, v3
	s_delay_alu instid0(VALU_DEP_2) | instskip(SKIP_1) | instid1(SALU_CYCLE_1)
	v_lshlrev_b64 v[1:2], 2, v[1:2]
	s_lshl_b64 s[4:5], s[4:5], 2
	s_add_u32 s4, s16, s4
	s_delay_alu instid0(VALU_DEP_2) | instskip(SKIP_1) | instid1(VALU_DEP_2)
	v_lshlrev_b64 v[3:4], 2, v[3:4]
	s_addc_u32 s5, s25, s5
	v_add_co_u32 v1, vcc_lo, s16, v1
	v_add_co_ci_u32_e32 v2, vcc_lo, s25, v2, vcc_lo
	s_delay_alu instid0(VALU_DEP_3) | instskip(NEXT) | instid1(VALU_DEP_4)
	v_add_co_u32 v3, vcc_lo, s16, v3
	v_add_co_ci_u32_e32 v4, vcc_lo, s25, v4, vcc_lo
	s_clause 0x1
	global_load_b32 v5, v[1:2], off
	global_load_b32 v6, v[3:4], off
	s_or_b32 s6, s12, 32
	s_delay_alu instid0(SALU_CYCLE_1) | instskip(SKIP_2) | instid1(SALU_CYCLE_1)
	s_ashr_i32 s7, s6, 5
	s_cmp_lt_i32 s6, s24
	s_cselect_b32 s6, s7, s13
	s_ashr_i32 s7, s6, 31
	s_delay_alu instid0(SALU_CYCLE_1) | instskip(NEXT) | instid1(SALU_CYCLE_1)
	s_lshl_b64 s[6:7], s[6:7], 2
	s_add_u32 s6, s16, s6
	s_addc_u32 s7, s25, s7
	s_or_b32 s8, s12, 64
	s_delay_alu instid0(SALU_CYCLE_1) | instskip(SKIP_2) | instid1(SALU_CYCLE_1)
	s_ashr_i32 s9, s8, 5
	s_cmp_lt_i32 s8, s24
	s_cselect_b32 s8, s9, s13
	s_ashr_i32 s9, s8, 31
	s_delay_alu instid0(SALU_CYCLE_1) | instskip(NEXT) | instid1(SALU_CYCLE_1)
	s_lshl_b64 s[8:9], s[8:9], 2
	s_add_u32 s8, s16, s8
	s_addc_u32 s9, s25, s9
	;; [unrolled: 10-line block ×5, first 2 shown]
	s_clause 0x5
	s_load_b32 s28, s[4:5], 0x0
	s_load_b32 s29, s[6:7], 0x0
	;; [unrolled: 1-line block ×6, first 2 shown]
	s_mov_b32 s4, 0
	s_delay_alu instid0(SALU_CYCLE_1)
	s_mov_b32 s5, s4
	s_mov_b32 s6, s4
	;; [unrolled: 1-line block ×7, first 2 shown]
	s_delay_alu instid0(SALU_CYCLE_1)
	v_dual_mov_b32 v118, s11 :: v_dual_mov_b32 v117, s10
	v_dual_mov_b32 v116, s9 :: v_dual_mov_b32 v115, s8
	v_mov_b32_e32 v113, s6
	v_dual_mov_b32 v111, s4 :: v_dual_mov_b32 v114, s7
	v_mov_b32_e32 v112, s5
	s_waitcnt vmcnt(1)
	v_mad_i64_i32 v[1:2], null, v5, s17, s[2:3]
	v_lshlrev_b32_e32 v5, 4, v68
	s_waitcnt vmcnt(0)
	v_mad_i64_i32 v[3:4], null, v6, s17, s[2:3]
	s_or_b32 s2, s12, 0xc0
	s_delay_alu instid0(SALU_CYCLE_1) | instskip(NEXT) | instid1(VALU_DEP_3)
	s_ashr_i32 s3, s2, 5
	v_add_co_u32 v1, vcc_lo, v1, v5
	s_delay_alu instid0(VALU_DEP_4) | instskip(NEXT) | instid1(VALU_DEP_3)
	v_add_co_ci_u32_e32 v2, vcc_lo, 0, v2, vcc_lo
	v_add_co_u32 v3, vcc_lo, v3, v5
	s_delay_alu instid0(VALU_DEP_4)
	v_add_co_ci_u32_e32 v4, vcc_lo, 0, v4, vcc_lo
	s_clause 0xf
	global_load_b128 v[17:20], v[1:2], off
	global_load_b128 v[21:24], v[1:2], off offset:512
	global_load_b128 v[25:28], v[3:4], off offset:256
	;; [unrolled: 1-line block ×15, first 2 shown]
	s_cmp_lt_i32 s2, s24
	v_add_nc_u32_e32 v1, -10, v68
	s_cselect_b32 s2, s3, s13
	v_cmp_gt_u32_e32 vcc_lo, 10, v68
	s_ashr_i32 s3, s2, 31
	v_lshlrev_b32_e32 v2, 5, v68
	s_lshl_b64 s[2:3], s[2:3], 2
	s_delay_alu instid0(SALU_CYCLE_1)
	s_add_u32 s2, s16, s2
	s_addc_u32 s3, s25, s3
	s_or_b32 s20, s12, 0xe0
	v_cndmask_b32_e32 v1, v1, v68, vcc_lo
	s_ashr_i32 s21, s20, 5
	s_cmp_lt_i32 s20, s24
	s_cselect_b32 s20, s21, s13
	s_delay_alu instid0(VALU_DEP_1)
	v_lshlrev_b32_e32 v149, 6, v1
	s_ashr_i32 s21, s20, 31
	v_lshl_or_b32 v1, v69, 9, v2
	s_lshl_b64 s[4:5], s[20:21], 2
	ds_load_b128 v[119:122], v149
	ds_load_b128 v[123:126], v149 offset:1024
	s_add_u32 s4, s16, s4
	s_addc_u32 s5, s25, s5
	ds_load_b128 v[127:130], v149 offset:2048
	ds_load_b128 v[131:134], v149 offset:3072
	s_clause 0x1
	s_load_b32 s2, s[2:3], 0x0
	s_load_b32 s3, s[4:5], 0x0
	s_add_u32 s6, s22, s15
	s_addc_u32 s7, s23, s18
	v_add_co_u32 v135, s6, s6, v1
	s_delay_alu instid0(VALU_DEP_1) | instskip(SKIP_1) | instid1(VALU_DEP_1)
	v_add_co_ci_u32_e64 v136, null, s7, 0, s6
	s_waitcnt lgkmcnt(0)
	v_mad_i64_i32 v[1:2], null, s28, s17, v[135:136]
	v_mad_i64_i32 v[3:4], null, s29, s17, v[135:136]
	;; [unrolled: 1-line block ×6, first 2 shown]
	s_clause 0x9
	global_load_b128 v[49:52], v[1:2], off
	global_load_b128 v[53:56], v[1:2], off offset:16
	global_load_b128 v[41:44], v[3:4], off
	global_load_b128 v[45:48], v[3:4], off offset:16
	;; [unrolled: 2-line block ×5, first 2 shown]
	v_mad_i64_i32 v[145:146], null, s2, s17, v[135:136]
	v_mad_i64_i32 v[147:148], null, s3, s17, v[135:136]
	s_waitcnt vmcnt(24)
	v_wmma_f32_16x16x16_f16 v[135:142], v[17:24], v[119:126], v[111:118]
	s_waitcnt vmcnt(22)
	v_wmma_f32_16x16x16_f16 v[111:118], v[25:32], v[119:126], v[111:118]
	s_clause 0x3
	global_load_b128 v[17:20], v[143:144], off
	global_load_b128 v[21:24], v[143:144], off offset:16
	global_load_b128 v[25:28], v[145:146], off
	global_load_b128 v[29:32], v[145:146], off offset:16
	v_and_b32_e32 v119, 0xe0, v0
	s_waitcnt vmcnt(24)
	v_wmma_f32_16x16x16_f16 v[135:142], v[57:64], v[127:134], v[135:142]
	s_clause 0x1
	global_load_b128 v[57:60], v[147:148], off
	global_load_b128 v[61:64], v[147:148], off offset:16
	s_waitcnt vmcnt(24)
	v_wmma_f32_16x16x16_f16 v[111:118], v[71:78], v[127:134], v[111:118]
	ds_load_b128 v[71:74], v149 offset:4096
	ds_load_b128 v[75:78], v149 offset:5120
	v_add_nc_u32_e32 v128, s12, v119
	ds_load_b128 v[119:122], v149 offset:6144
	ds_load_b128 v[123:126], v149 offset:7168
	v_mbcnt_lo_u32_b32 v127, -1, 0
	s_waitcnt vmcnt(0) lgkmcnt(0)
	s_barrier
	v_or_b32_e32 v128, v128, v66
	buffer_gl0_inv
	v_xor_b32_e32 v129, 16, v127
	v_or_b32_e32 v130, 4, v128
	v_or_b32_e32 v131, 6, v128
	s_delay_alu instid0(VALU_DEP_3) | instskip(SKIP_4) | instid1(VALU_DEP_4)
	v_cmp_gt_i32_e32 vcc_lo, 32, v129
	v_or_b32_e32 v132, 8, v128
	v_or_b32_e32 v133, 10, v128
	v_cmp_gt_i32_e64 s3, s24, v130
	v_cmp_gt_i32_e64 s4, s24, v131
	;; [unrolled: 1-line block ×3, first 2 shown]
	v_wmma_f32_16x16x16_f16 v[135:142], v[79:86], v[71:78], v[135:142]
	v_wmma_f32_16x16x16_f16 v[111:118], v[87:94], v[71:78], v[111:118]
	v_or_b32_e32 v79, 12, v128
	v_or_b32_e32 v80, 14, v128
	v_cmp_gt_i32_e64 s6, s24, v133
	v_wmma_f32_16x16x16_f16 v[135:142], v[95:102], v[119:126], v[135:142]
	v_wmma_f32_16x16x16_f16 v[111:118], v[103:110], v[119:126], v[111:118]
	v_cndmask_b32_e32 v127, v127, v129, vcc_lo
	v_or_b32_e32 v129, 2, v128
	v_cmp_gt_i32_e32 vcc_lo, s24, v128
	s_delay_alu instid0(VALU_DEP_4) | instskip(SKIP_1) | instid1(VALU_DEP_4)
	v_dual_mul_f32 v87, s19, v136 :: v_dual_mul_f32 v94, s19, v113
	v_mul_f32_e32 v88, s19, v135
	v_cmp_gt_i32_e64 s2, s24, v129
	v_mul_f32_e32 v78, s19, v138
	v_mul_f32_e32 v86, s19, v137
	v_mul_f32_e32 v76, s19, v140
	v_cndmask_b32_e32 v88, 0xff7fffff, v88, vcc_lo
	v_cndmask_b32_e64 v87, 0xff7fffff, v87, s2
	v_dual_mul_f32 v77, s19, v139 :: v_dual_mul_f32 v90, s19, v117
	v_cndmask_b32_e64 v86, 0xff7fffff, v86, s3
	v_cndmask_b32_e64 v78, 0xff7fffff, v78, s4
	s_delay_alu instid0(VALU_DEP_4)
	v_max3_f32 v87, v88, 0xff7fffff, v87
	v_or_b32_e32 v81, 16, v128
	v_or_b32_e32 v82, 18, v128
	v_dual_mul_f32 v74, s19, v142 :: v_dual_mul_f32 v75, s19, v141
	v_mul_f32_e32 v96, s19, v111
	v_cndmask_b32_e64 v77, 0xff7fffff, v77, s5
	v_cndmask_b32_e64 v76, 0xff7fffff, v76, s6
	v_max3_f32 v78, v87, v86, v78
	v_cmp_gt_i32_e64 s7, s24, v79
	v_cmp_gt_i32_e64 s8, s24, v80
	v_or_b32_e32 v83, 20, v128
	v_or_b32_e32 v84, 22, v128
	v_mul_f32_e32 v95, s19, v112
	v_cndmask_b32_e64 v75, 0xff7fffff, v75, s7
	v_cndmask_b32_e64 v74, 0xff7fffff, v74, s8
	v_max3_f32 v76, v78, v77, v76
	v_cmp_gt_i32_e64 s9, s24, v81
	v_cmp_gt_i32_e64 s10, s24, v82
	v_or_b32_e32 v85, 24, v128
	v_or_b32_e32 v71, 26, v128
	;; [unrolled: 8-line block ×3, first 2 shown]
	v_dual_mul_f32 v91, s19, v116 :: v_dual_mul_f32 v92, s19, v115
	v_cndmask_b32_e64 v75, 0xff7fffff, v94, s11
	v_cndmask_b32_e64 v76, 0xff7fffff, v93, s12
	v_max3_f32 v74, v74, v77, v78
	v_cmp_gt_i32_e64 s13, s24, v85
	v_cmp_gt_i32_e64 s15, s24, v71
	v_mul_f32_e32 v89, s19, v118
	v_cmp_gt_i32_e64 s16, s24, v72
	v_max3_f32 v74, v74, v75, v76
	v_cndmask_b32_e64 v77, 0xff7fffff, v92, s13
	v_cndmask_b32_e64 v71, 0xff7fffff, v91, s15
	v_cmp_gt_i32_e64 s17, s24, v73
	v_cndmask_b32_e64 v72, 0xff7fffff, v90, s16
	s_delay_alu instid0(VALU_DEP_3) | instskip(SKIP_1) | instid1(VALU_DEP_4)
	v_max3_f32 v71, v74, v77, v71
	v_lshlrev_b32_e32 v74, 2, v127
	v_cndmask_b32_e64 v73, 0xff7fffff, v89, s17
	s_delay_alu instid0(VALU_DEP_1) | instskip(SKIP_3) | instid1(VALU_DEP_1)
	v_max3_f32 v71, v71, v72, v73
	ds_bpermute_b32 v72, v74, v71
	s_waitcnt lgkmcnt(0)
	v_max_f32_e32 v72, v72, v72
	v_max_f32_e32 v71, v71, v72
	s_delay_alu instid0(VALU_DEP_1) | instskip(SKIP_4) | instid1(VALU_DEP_4)
	v_fma_f32 v72, s19, v135, -v71
	v_fma_f32 v73, s19, v136, -v71
	;; [unrolled: 1-line block ×5, first 2 shown]
	v_dual_mul_f32 v72, 0x3fb8aa3b, v72 :: v_dual_mul_f32 v73, 0x3fb8aa3b, v73
	s_delay_alu instid0(VALU_DEP_3) | instskip(SKIP_1) | instid1(VALU_DEP_3)
	v_dual_mul_f32 v75, 0x3fb8aa3b, v75 :: v_dual_mul_f32 v76, 0x3fb8aa3b, v76
	v_fma_f32 v80, s19, v141, -v71
	v_exp_f32_e32 v72, v72
	s_delay_alu instid0(VALU_DEP_3) | instskip(NEXT) | instid1(VALU_DEP_2)
	v_exp_f32_e32 v73, v73
	v_exp_f32_e32 v75, v75
	;; [unrolled: 1-line block ×3, first 2 shown]
	v_mul_f32_e32 v82, 0x3fb8aa3b, v80
	s_delay_alu instid0(VALU_DEP_1) | instskip(SKIP_4) | instid1(TRANS32_DEP_3)
	v_exp_f32_e32 v84, v82
	v_cndmask_b32_e32 v79, 0, v72, vcc_lo
	v_fma_f32 v72, s19, v140, -v71
	v_mul_f32_e32 v77, 0x3fb8aa3b, v77
	v_cndmask_b32_e64 v78, 0, v73, s2
	v_cndmask_b32_e64 v81, 0, v75, s3
	s_delay_alu instid0(VALU_DEP_4) | instskip(NEXT) | instid1(VALU_DEP_4)
	v_dual_add_f32 v73, 0, v79 :: v_dual_mul_f32 v72, 0x3fb8aa3b, v72
	v_exp_f32_e32 v77, v77
	v_cndmask_b32_e64 v80, 0, v76, s4
	s_delay_alu instid0(TRANS32_DEP_2) | instskip(NEXT) | instid1(VALU_DEP_3)
	v_cndmask_b32_e64 v85, 0, v84, s7
	v_add_f32_e32 v73, v73, v78
	v_exp_f32_e32 v72, v72
	s_mov_b32 s2, exec_lo
	s_delay_alu instid0(VALU_DEP_1) | instskip(SKIP_4) | instid1(VALU_DEP_2)
	v_add_f32_e32 v73, v73, v81
	s_waitcnt_depctr 0xfff
	v_cndmask_b32_e64 v83, 0, v77, s5
	v_add_f32_e32 v73, v73, v80
	v_cndmask_b32_e64 v82, 0, v72, s6
	v_add_f32_e32 v72, v73, v83
	s_delay_alu instid0(VALU_DEP_1) | instskip(NEXT) | instid1(VALU_DEP_1)
	v_add_f32_e32 v72, v72, v82
	v_add_f32_e32 v72, v72, v85
	v_fma_f32 v76, s19, v111, -v71
	v_fma_f32 v75, s19, v142, -v71
	;; [unrolled: 1-line block ×5, first 2 shown]
	s_delay_alu instid0(VALU_DEP_4) | instskip(NEXT) | instid1(VALU_DEP_3)
	v_dual_mul_f32 v76, 0x3fb8aa3b, v76 :: v_dual_mul_f32 v75, 0x3fb8aa3b, v75
	v_mul_f32_e32 v86, 0x3fb8aa3b, v86
	s_delay_alu instid0(VALU_DEP_2) | instskip(NEXT) | instid1(VALU_DEP_2)
	v_exp_f32_e32 v76, v76
	v_exp_f32_e32 v75, v75
	s_delay_alu instid0(VALU_DEP_1) | instskip(NEXT) | instid1(TRANS32_DEP_3)
	v_exp_f32_e32 v88, v86
	v_cndmask_b32_e64 v87, 0, v76, s9
	v_fma_f32 v76, s19, v116, -v71
	v_mul_f32_e32 v77, 0x3fb8aa3b, v77
	s_waitcnt_depctr 0xfff
	v_cndmask_b32_e64 v84, 0, v75, s8
	v_fma_f32 v75, s19, v115, -v71
	v_cndmask_b32_e64 v88, 0, v88, s12
	v_mul_f32_e32 v76, 0x3fb8aa3b, v76
	v_exp_f32_e32 v77, v77
	v_add_f32_e32 v72, v72, v84
	s_delay_alu instid0(VALU_DEP_2) | instskip(NEXT) | instid1(VALU_DEP_1)
	v_exp_f32_e32 v76, v76
	v_add_f32_e32 v72, v72, v87
	s_waitcnt_depctr 0xfff
	v_cndmask_b32_e64 v86, 0, v77, s10
	v_mul_f32_e32 v73, 0x3fb8aa3b, v73
	v_fma_f32 v77, s19, v117, -v71
	v_cndmask_b32_e64 v90, 0, v76, s15
	s_delay_alu instid0(VALU_DEP_4) | instskip(NEXT) | instid1(VALU_DEP_4)
	v_add_f32_e32 v72, v72, v86
	v_exp_f32_e32 v73, v73
	s_waitcnt_depctr 0xfff
	v_cndmask_b32_e64 v89, 0, v73, s11
	s_delay_alu instid0(VALU_DEP_1) | instskip(NEXT) | instid1(VALU_DEP_1)
	v_dual_mul_f32 v75, 0x3fb8aa3b, v75 :: v_dual_add_f32 v72, v72, v89
	v_exp_f32_e32 v75, v75
	v_mul_f32_e32 v73, 0x3fb8aa3b, v77
	v_fma_f32 v77, s19, v118, -v71
	s_delay_alu instid0(VALU_DEP_3) | instskip(NEXT) | instid1(VALU_DEP_3)
	v_add_f32_e32 v72, v72, v88
	v_exp_f32_e32 v73, v73
	s_waitcnt_depctr 0xfff
	v_cndmask_b32_e64 v91, 0, v75, s13
	s_delay_alu instid0(VALU_DEP_1) | instskip(NEXT) | instid1(VALU_DEP_1)
	v_dual_mul_f32 v75, 0x3fb8aa3b, v77 :: v_dual_add_f32 v72, v72, v91
	v_exp_f32_e32 v75, v75
	v_cndmask_b32_e64 v93, 0, v73, s16
	s_delay_alu instid0(VALU_DEP_2) | instskip(NEXT) | instid1(VALU_DEP_1)
	v_add_f32_e32 v72, v72, v90
	v_add_f32_e32 v72, v72, v93
	s_waitcnt_depctr 0xfff
	v_cndmask_b32_e64 v92, 0, v75, s17
	s_delay_alu instid0(VALU_DEP_1)
	v_add_f32_e32 v72, v72, v92
	ds_bpermute_b32 v73, v74, v72
	v_cmpx_gt_u32_e32 16, v70
	s_cbranch_execz .LBB1335_12
; %bb.11:
	v_mul_u32_u24_e32 v70, 0x44, v69
	s_waitcnt lgkmcnt(0)
	v_add_f32_e32 v72, v72, v73
	s_delay_alu instid0(VALU_DEP_2) | instskip(NEXT) | instid1(VALU_DEP_1)
	v_lshl_add_u32 v70, v68, 2, v70
	v_add_nc_u32_e32 v70, 0x4000, v70
	ds_store_2addr_b32 v70, v71, v72 offset1:136
.LBB1335_12:
	s_or_b32 exec_lo, exec_lo, s2
	v_lshlrev_b32_e32 v70, 2, v68
	s_load_b32 s34, s[0:1], 0x94
	s_waitcnt lgkmcnt(0)
	s_barrier
	buffer_gl0_inv
	v_add_nc_u32_e32 v98, 0x4000, v70
	v_cmp_eq_u32_e32 vcc_lo, 1, v69
	v_cmp_eq_u32_e64 s2, 2, v69
	v_cmp_eq_u32_e64 s3, 3, v69
	;; [unrolled: 1-line block ×3, first 2 shown]
	ds_load_2addr_b32 v[70:71], v98 offset1:17
	ds_load_2addr_b32 v[72:73], v98 offset0:34 offset1:51
	ds_load_2addr_b32 v[74:75], v98 offset0:68 offset1:85
	;; [unrolled: 1-line block ×3, first 2 shown]
	v_cmp_eq_u32_e64 s5, 5, v69
	v_cmp_eq_u32_e64 s6, 7, v69
	s_waitcnt lgkmcnt(3)
	v_max3_f32 v76, v70, 0xff7fffff, v71
	s_waitcnt lgkmcnt(2)
	s_delay_alu instid0(VALU_DEP_1) | instskip(SKIP_1) | instid1(VALU_DEP_1)
	v_max3_f32 v76, v76, v72, v73
	s_waitcnt lgkmcnt(1)
	v_max3_f32 v76, v76, v74, v75
	s_waitcnt lgkmcnt(0)
	s_delay_alu instid0(VALU_DEP_1) | instskip(NEXT) | instid1(VALU_DEP_1)
	v_max3_f32 v76, v76, v94, v95
	v_sub_f32_e32 v77, v71, v76
	ds_load_2addr_b32 v[96:97], v98 offset0:136 offset1:153
	v_sub_f32_e32 v74, v74, v76
	v_sub_f32_e32 v70, v70, v76
	;; [unrolled: 1-line block ×3, first 2 shown]
	v_dual_sub_f32 v72, v72, v76 :: v_dual_mul_f32 v77, 0x3fb8aa3b, v77
	s_delay_alu instid0(VALU_DEP_4) | instskip(NEXT) | instid1(VALU_DEP_4)
	v_mul_f32_e32 v103, 0x3fb8aa3b, v74
	v_mul_f32_e32 v99, 0x3fb8aa3b, v70
	ds_load_2addr_b32 v[70:71], v98 offset0:170 offset1:187
	v_dual_mul_f32 v101, 0x3fb8aa3b, v72 :: v_dual_mul_f32 v94, 0x3fb8aa3b, v94
	v_exp_f32_e32 v102, v77
	v_exp_f32_e32 v99, v99
	s_delay_alu instid0(VALU_DEP_1) | instskip(NEXT) | instid1(VALU_DEP_1)
	v_exp_f32_e32 v101, v101
	v_exp_f32_e32 v94, v94
	s_waitcnt lgkmcnt(1)
	s_delay_alu instid0(TRANS32_DEP_3)
	v_fma_f32 v77, v99, v96, 0
	v_sub_f32_e32 v100, v73, v76
	ds_load_2addr_b32 v[72:73], v98 offset0:204 offset1:221
	v_fmac_f32_e32 v77, v102, v97
	v_exp_f32_e32 v97, v103
	s_waitcnt lgkmcnt(1)
	s_delay_alu instid0(VALU_DEP_1)
	v_dual_fmac_f32 v77, v101, v70 :: v_dual_sub_f32 v96, v75, v76
	ds_load_2addr_b32 v[74:75], v98 offset0:238 offset1:255
	v_sub_f32_e32 v70, v95, v76
	s_waitcnt lgkmcnt(0)
	s_barrier
	v_mul_f32_e32 v96, 0x3fb8aa3b, v96
	buffer_gl0_inv
	v_exp_f32_e32 v95, v96
	v_mul_f32_e32 v100, 0x3fb8aa3b, v100
	s_delay_alu instid0(VALU_DEP_1) | instskip(SKIP_3) | instid1(VALU_DEP_2)
	v_exp_f32_e32 v100, v100
	s_waitcnt_depctr 0xfff
	v_dual_fmac_f32 v77, v100, v71 :: v_dual_mul_f32 v70, 0x3fb8aa3b, v70
	v_cndmask_b32_e32 v71, v99, v102, vcc_lo
	v_fmac_f32_e32 v77, v97, v72
	s_delay_alu instid0(VALU_DEP_3) | instskip(NEXT) | instid1(VALU_DEP_1)
	v_exp_f32_e32 v96, v70
	v_fmac_f32_e32 v77, v95, v73
	s_delay_alu instid0(VALU_DEP_1) | instskip(SKIP_2) | instid1(VALU_DEP_1)
	v_fmac_f32_e32 v77, v94, v74
	s_waitcnt_depctr 0xfff
	v_fmac_f32_e32 v77, v96, v75
	v_add_f32_e32 v74, 0x358637bd, v77
	s_delay_alu instid0(VALU_DEP_1) | instskip(SKIP_1) | instid1(VALU_DEP_2)
	v_div_scale_f32 v98, null, v74, v74, 1.0
	v_div_scale_f32 v99, vcc_lo, 1.0, v74, 1.0
	v_rcp_f32_e32 v103, v98
	s_waitcnt_depctr 0xfff
	v_fma_f32 v70, -v98, v103, 1.0
	s_delay_alu instid0(VALU_DEP_1) | instskip(SKIP_2) | instid1(VALU_DEP_2)
	v_fmac_f32_e32 v103, v70, v103
	v_cndmask_b32_e64 v70, v71, v101, s2
	v_cmp_eq_u32_e64 s2, 6, v69
	v_cndmask_b32_e64 v71, v70, v100, s3
	s_delay_alu instid0(VALU_DEP_4) | instskip(NEXT) | instid1(VALU_DEP_2)
	v_dual_mul_f32 v101, v99, v103 :: v_dual_lshlrev_b32 v70, 2, v66
	v_cndmask_b32_e64 v71, v71, v97, s4
	s_delay_alu instid0(VALU_DEP_2) | instskip(NEXT) | instid1(VALU_DEP_3)
	v_or_b32_e32 v72, 1, v70
	v_fma_f32 v100, -v98, v101, v99
	v_cmp_eq_u32_e64 s3, 1, v70
	v_cmp_eq_u32_e64 s4, 2, v70
	v_cndmask_b32_e64 v95, v71, v95, s5
	v_or_b32_e32 v71, 3, v70
	v_fmac_f32_e32 v101, v100, v103
	v_cmp_eq_u32_e64 s8, 1, v72
	v_cmp_eq_u32_e64 s11, 2, v72
	v_cndmask_b32_e64 v94, v95, v94, s2
	v_cmp_eq_u32_e64 s10, 1, v71
	v_fma_f32 v97, -v98, v101, v99
	v_cmp_eq_u32_e64 s15, 2, v71
	v_cmp_eq_u32_e64 s12, 3, v72
	v_cndmask_b32_e64 v94, v94, v96, s6
	v_cmp_eq_u32_e64 s17, 3, v71
	v_div_fmas_f32 v95, v97, v103, v101
	v_cmp_eq_u32_e32 vcc_lo, 3, v70
	v_cmp_eq_u32_e64 s2, 4, v70
	v_cmp_eq_u32_e64 s18, 4, v72
	;; [unrolled: 1-line block ×3, first 2 shown]
	v_div_fixup_f32 v95, v95, v74, 1.0
	v_lshlrev_b32_e32 v73, 6, v68
	v_cmp_eq_u32_e64 s5, 5, v70
	v_cmp_eq_u32_e64 s19, 5, v72
	;; [unrolled: 1-line block ×3, first 2 shown]
	v_mul_f32_e32 v102, v94, v95
	v_lshl_or_b32 v75, v69, 11, v73
	v_or_b32_e32 v69, 2, v70
	v_cmp_eq_u32_e64 s24, 6, v72
	v_cmp_eq_u32_e64 s26, 6, v71
	v_fma_mixlo_f16 v94, v102, v79, 0
	v_fma_mixlo_f16 v95, v102, v81, 0
	;; [unrolled: 1-line block ×8, first 2 shown]
	v_lshl_or_b32 v74, v66, 4, v75
	v_fma_mixhi_f16 v94, v102, v78, 0
	v_fma_mixhi_f16 v95, v102, v80, 0
	;; [unrolled: 1-line block ×8, first 2 shown]
	ds_store_b128 v74, v[94:97]
	ds_store_b128 v74, v[98:101] offset:1024
	s_waitcnt lgkmcnt(0)
	s_barrier
	buffer_gl0_inv
	ds_load_b128 v[78:81], v75
	ds_load_b128 v[82:85], v75 offset:16
	ds_load_b128 v[86:89], v75 offset:1024
	ds_load_b128 v[90:93], v75 offset:1040
	v_cmp_eq_u32_e64 s9, 1, v69
	v_cmp_eq_u32_e64 s13, 2, v69
	;; [unrolled: 1-line block ×11, first 2 shown]
	s_waitcnt lgkmcnt(3)
	v_lshrrev_b32_e32 v94, 16, v78
	s_waitcnt lgkmcnt(2)
	v_lshrrev_b32_e32 v98, 16, v82
	;; [unrolled: 2-line block ×4, first 2 shown]
	v_lshrrev_b32_e32 v95, 16, v79
	v_cndmask_b32_e64 v110, v78, v94, s3
	v_cndmask_b32_e64 v111, v82, v98, s3
	;; [unrolled: 1-line block ×8, first 2 shown]
	v_lshrrev_b32_e32 v99, 16, v83
	v_cndmask_b32_e64 v94, v86, v102, s3
	v_cndmask_b32_e64 v98, v90, v106, s3
	;; [unrolled: 1-line block ×15, first 2 shown]
	v_lshrrev_b32_e32 v103, 16, v87
	v_lshrrev_b32_e32 v107, 16, v91
	v_cndmask_b32_e64 v113, v115, v83, s13
	v_cndmask_b32_e64 v82, v94, v87, s4
	;; [unrolled: 1-line block ×7, first 2 shown]
	v_cndmask_b32_e32 v90, v102, v95, vcc_lo
	v_cndmask_b32_e32 v102, v106, v99, vcc_lo
	v_cndmask_b32_e64 v106, v110, v95, s12
	v_cndmask_b32_e64 v110, v111, v99, s12
	;; [unrolled: 1-line block ×4, first 2 shown]
	v_lshrrev_b32_e32 v96, 16, v80
	v_lshrrev_b32_e32 v100, 16, v84
	v_cndmask_b32_e64 v111, v112, v95, s16
	v_cndmask_b32_e64 v112, v113, v99, s16
	v_cndmask_b32_e32 v82, v82, v103, vcc_lo
	v_cndmask_b32_e32 v83, v83, v107, vcc_lo
	v_cndmask_b32_e64 v94, v94, v103, s12
	v_cndmask_b32_e64 v90, v90, v80, s2
	v_cndmask_b32_e64 v95, v102, v84, s2
	v_cndmask_b32_e64 v99, v106, v80, s18
	v_cndmask_b32_e64 v102, v110, v84, s18
	v_cndmask_b32_e64 v78, v78, v80, s21
	v_cndmask_b32_e64 v79, v79, v84, s21
	v_lshrrev_b32_e32 v104, 16, v88
	v_cndmask_b32_e64 v106, v111, v80, s20
	v_cndmask_b32_e64 v110, v112, v84, s20
	v_cndmask_b32_e64 v80, v82, v88, s2
	v_cndmask_b32_e64 v82, v83, v92, s2
	v_cndmask_b32_e64 v83, v94, v88, s18
	v_cndmask_b32_e64 v84, v90, v96, s5
	v_cndmask_b32_e64 v90, v95, v100, s5
	v_cndmask_b32_e64 v94, v99, v96, s19
	v_cndmask_b32_e64 v95, v102, v100, s19
	v_cndmask_b32_e64 v78, v78, v96, s23
	v_cndmask_b32_e64 v79, v79, v100, s23
	v_lshrrev_b32_e32 v97, 16, v81
	v_lshrrev_b32_e32 v101, 16, v85
	v_cndmask_b32_e64 v99, v106, v96, s22
	v_cndmask_b32_e64 v102, v110, v100, s22
	;; [unrolled: 1-line block ×7, first 2 shown]
	v_lshrrev_b32_e32 v105, 16, v89
	v_cndmask_b32_e64 v80, v80, v104, s5
	v_cndmask_b32_e64 v84, v84, v81, s6
	;; [unrolled: 1-line block ×16, first 2 shown]
	v_perm_b32 v81, v79, v78, 0x5040100
	v_perm_b32 v79, v95, v85, 0x5040100
	v_cndmask_b32_e64 v78, v119, v91, s13
	v_cndmask_b32_e64 v85, v117, v91, s11
	;; [unrolled: 1-line block ×3, first 2 shown]
	v_perm_b32 v80, v94, v90, 0x5040100
	v_cndmask_b32_e64 v90, v98, v103, s16
	v_cndmask_b32_e64 v86, v86, v103, s17
	;; [unrolled: 1-line block ×5, first 2 shown]
	v_lshrrev_b32_e32 v108, 16, v92
	v_cndmask_b32_e64 v90, v90, v88, s20
	v_cndmask_b32_e64 v86, v86, v88, s21
	;; [unrolled: 1-line block ×11, first 2 shown]
	v_lshrrev_b32_e32 v109, 16, v93
	v_cndmask_b32_e64 v82, v82, v93, s6
	v_cndmask_b32_e64 v88, v88, v89, s25
	;; [unrolled: 1-line block ×12, first 2 shown]
	v_perm_b32 v78, v84, v83, 0x5040100
	v_perm_b32 v85, v87, v86, 0x5040100
	;; [unrolled: 1-line block ×5, first 2 shown]
	s_mul_i32 s7, s33, 10
	s_mov_b32 s2, exec_lo
	ds_store_b128 v74, v[78:81]
	ds_store_b128 v74, v[82:85] offset:1024
	v_cmpx_gt_u32_e32 10, v0
	s_cbranch_execz .LBB1335_14
; %bb.13:
	s_mul_i32 s3, s7, s30
	s_load_b128 s[8:11], s[0:1], 0x58
	v_add3_u32 v68, s3, s31, v68
	s_delay_alu instid0(VALU_DEP_1) | instskip(NEXT) | instid1(VALU_DEP_1)
	v_mad_u64_u32 v[78:79], null, v68, s34, s[14:15]
	v_ashrrev_i32_e32 v79, 31, v78
	s_delay_alu instid0(VALU_DEP_1) | instskip(SKIP_1) | instid1(VALU_DEP_1)
	v_lshlrev_b64 v[78:79], 2, v[78:79]
	s_waitcnt lgkmcnt(0)
	v_add_co_u32 v80, vcc_lo, s10, v78
	s_delay_alu instid0(VALU_DEP_2)
	v_add_co_ci_u32_e32 v81, vcc_lo, s11, v79, vcc_lo
	v_add_co_u32 v78, vcc_lo, s8, v78
	v_add_co_ci_u32_e32 v79, vcc_lo, s9, v79, vcc_lo
	global_store_b32 v[80:81], v76, off
	global_store_b32 v[78:79], v77, off
.LBB1335_14:
	s_or_b32 exec_lo, exec_lo, s2
	s_waitcnt lgkmcnt(0)
	s_waitcnt_vscnt null, 0x0
	s_barrier
	buffer_gl0_inv
	ds_load_b128 v[84:87], v73
	ds_load_b128 v[88:91], v73 offset:16
	ds_load_b128 v[96:99], v73 offset:2064
	;; [unrolled: 1-line block ×5, first 2 shown]
	v_cmp_eq_u32_e32 vcc_lo, 1, v70
	v_mov_b32_e32 v76, 0
	ds_load_b128 v[112:115], v73 offset:6160
	ds_load_b128 v[108:111], v73 offset:6144
	;; [unrolled: 1-line block ×4, first 2 shown]
	v_cmp_eq_u32_e64 s3, 1, v69
	v_cmp_eq_u32_e64 s2, 1, v72
	;; [unrolled: 1-line block ×3, first 2 shown]
	v_mov_b32_e32 v77, v76
	v_mov_b32_e32 v78, v76
	v_mov_b32_e32 v79, v76
	v_mov_b32_e32 v80, v76
	v_mov_b32_e32 v81, v76
	v_mov_b32_e32 v82, v76
	v_mov_b32_e32 v83, v76
	v_cmp_eq_u32_e64 s5, 3, v72
	v_cmp_eq_u32_e64 s6, 7, v72
	s_waitcnt lgkmcnt(8)
	s_delay_alu instid0(VALU_DEP_3)
	v_wmma_f32_16x16x16_f16 v[76:83], v[49:56], v[84:91], v[76:83]
	ds_load_b128 v[53:56], v73 offset:10256
	ds_load_b128 v[49:52], v73 offset:10240
	s_waitcnt lgkmcnt(8)
	v_wmma_f32_16x16x16_f16 v[76:83], v[41:48], v[92:99], v[76:83]
	ds_load_b128 v[45:48], v73 offset:12304
	ds_load_b128 v[41:44], v73 offset:12288
	s_waitcnt lgkmcnt(8)
	v_wmma_f32_16x16x16_f16 v[76:83], v[33:40], v[100:107], v[76:83]
	ds_load_b128 v[37:40], v73 offset:14352
	ds_load_b128 v[33:36], v73 offset:14336
	s_waitcnt lgkmcnt(0)
	s_barrier
	buffer_gl0_inv
	v_wmma_f32_16x16x16_f16 v[76:83], v[1:8], v[108:115], v[76:83]
	s_delay_alu instid0(VALU_DEP_1) | instskip(NEXT) | instid1(VALU_DEP_1)
	v_wmma_f32_16x16x16_f16 v[76:83], v[9:16], v[116:123], v[76:83]
	v_wmma_f32_16x16x16_f16 v[76:83], v[17:24], v[49:56], v[76:83]
	s_delay_alu instid0(VALU_DEP_1) | instskip(NEXT) | instid1(VALU_DEP_1)
	v_wmma_f32_16x16x16_f16 v[76:83], v[25:32], v[41:48], v[76:83]
	v_wmma_f32_16x16x16_f16 v[76:83], v[57:64], v[33:40], v[76:83]
	s_delay_alu instid0(VALU_DEP_1) | instskip(NEXT) | instid1(VALU_DEP_2)
	v_cvt_f16_f32_e32 v1, v76
	v_cvt_f16_f32_e32 v2, v77
	s_delay_alu instid0(VALU_DEP_3) | instskip(NEXT) | instid1(VALU_DEP_4)
	v_cvt_f16_f32_e32 v3, v78
	v_cvt_f16_f32_e32 v4, v79
	;; [unrolled: 1-line block ×6, first 2 shown]
	v_pack_b32_f16 v1, v1, v2
	v_pack_b32_f16 v2, v3, v4
	;; [unrolled: 1-line block ×3, first 2 shown]
	s_delay_alu instid0(VALU_DEP_4)
	v_pack_b32_f16 v4, v7, v8
	ds_store_b128 v74, v[1:4]
	s_waitcnt lgkmcnt(0)
	s_barrier
	buffer_gl0_inv
	ds_load_b128 v[1:4], v75
	ds_load_b128 v[5:8], v75 offset:16
	s_waitcnt lgkmcnt(1)
	v_lshrrev_b32_e32 v9, 16, v1
	s_waitcnt lgkmcnt(0)
	v_lshrrev_b32_e32 v13, 16, v5
	v_lshrrev_b32_e32 v10, 16, v2
	;; [unrolled: 1-line block ×4, first 2 shown]
	v_cndmask_b32_e32 v17, v1, v9, vcc_lo
	v_cndmask_b32_e32 v18, v5, v13, vcc_lo
	v_cndmask_b32_e64 v21, v1, v9, s3
	v_cmp_eq_u32_e32 vcc_lo, 1, v71
	v_cndmask_b32_e64 v22, v5, v13, s3
	v_cmp_eq_u32_e64 s3, 2, v70
	v_cndmask_b32_e64 v19, v1, v9, s2
	v_cndmask_b32_e64 v20, v5, v13, s2
	v_cndmask_b32_e32 v1, v1, v9, vcc_lo
	v_cmp_eq_u32_e64 s2, 2, v71
	v_cndmask_b32_e32 v5, v5, v13, vcc_lo
	v_cndmask_b32_e64 v9, v17, v2, s3
	v_cmp_eq_u32_e32 vcc_lo, 3, v70
	v_cndmask_b32_e64 v13, v18, v6, s3
	v_cmp_eq_u32_e64 s3, 2, v69
	v_cndmask_b32_e64 v17, v19, v2, s4
	v_cndmask_b32_e64 v18, v20, v6, s4
	v_cmp_eq_u32_e64 s4, 3, v69
	v_cndmask_b32_e64 v1, v1, v2, s2
	v_cndmask_b32_e64 v19, v21, v2, s3
	;; [unrolled: 1-line block ×4, first 2 shown]
	v_cndmask_b32_e32 v5, v9, v10, vcc_lo
	v_cndmask_b32_e32 v6, v13, v14, vcc_lo
	v_cmp_eq_u32_e32 vcc_lo, 3, v71
	v_cndmask_b32_e64 v9, v17, v10, s5
	v_cndmask_b32_e64 v13, v18, v14, s5
	;; [unrolled: 1-line block ×3, first 2 shown]
	v_cmp_eq_u32_e64 s3, 4, v70
	v_cndmask_b32_e32 v1, v1, v10, vcc_lo
	v_cndmask_b32_e32 v2, v2, v14, vcc_lo
	v_cmp_eq_u32_e32 vcc_lo, 4, v72
	v_lshrrev_b32_e32 v15, 16, v7
	v_lshrrev_b32_e32 v16, 16, v8
	v_cndmask_b32_e64 v17, v19, v10, s4
	v_cmp_eq_u32_e64 s2, 4, v71
	v_cndmask_b32_e64 v5, v5, v3, s3
	v_cndmask_b32_e64 v6, v6, v7, s3
	v_cndmask_b32_e32 v9, v9, v3, vcc_lo
	v_cmp_eq_u32_e64 s3, 5, v72
	v_cndmask_b32_e32 v10, v13, v7, vcc_lo
	v_cmp_eq_u32_e32 vcc_lo, 4, v69
	v_cmp_eq_u32_e64 s4, 5, v70
	v_cndmask_b32_e64 v2, v2, v7, s2
	v_cndmask_b32_e64 v9, v9, v11, s3
	;; [unrolled: 1-line block ×3, first 2 shown]
	v_cndmask_b32_e32 v13, v17, v3, vcc_lo
	v_cmp_eq_u32_e64 s3, 5, v69
	v_cndmask_b32_e32 v14, v18, v7, vcc_lo
	v_cndmask_b32_e64 v1, v1, v3, s2
	v_cmp_eq_u32_e32 vcc_lo, 5, v71
	v_lshrrev_b32_e32 v12, 16, v4
	v_cndmask_b32_e64 v13, v13, v11, s3
	v_cndmask_b32_e64 v3, v14, v15, s3
	v_cmp_eq_u32_e64 s3, 6, v71
	v_cndmask_b32_e32 v1, v1, v11, vcc_lo
	v_cndmask_b32_e64 v5, v5, v11, s4
	v_cmp_eq_u32_e64 s5, 6, v70
	v_cndmask_b32_e64 v6, v6, v15, s4
	v_cmp_eq_u32_e64 s4, 6, v72
	v_cmp_eq_u32_e64 s2, 6, v69
	v_cndmask_b32_e64 v1, v1, v4, s3
	v_cndmask_b32_e32 v2, v2, v15, vcc_lo
	v_cmp_eq_u32_e32 vcc_lo, 7, v71
	v_cndmask_b32_e64 v5, v5, v4, s5
	v_cndmask_b32_e64 v9, v9, v4, s4
	;; [unrolled: 1-line block ×3, first 2 shown]
	v_cmp_eq_u32_e64 s5, 7, v70
	v_cndmask_b32_e32 v1, v1, v12, vcc_lo
	v_cndmask_b32_e64 v7, v13, v4, s2
	v_cndmask_b32_e64 v3, v3, v8, s2
	;; [unrolled: 1-line block ×3, first 2 shown]
	v_cmp_eq_u32_e64 s2, 7, v69
	v_cndmask_b32_e64 v4, v10, v8, s4
	v_cndmask_b32_e64 v5, v5, v12, s5
	;; [unrolled: 1-line block ×3, first 2 shown]
	v_cndmask_b32_e32 v2, v2, v16, vcc_lo
	v_cndmask_b32_e64 v7, v7, v12, s2
	v_cndmask_b32_e64 v3, v3, v16, s2
	;; [unrolled: 1-line block ×4, first 2 shown]
	v_perm_b32 v4, v2, v1, 0x5040100
	s_mov_b32 s2, exec_lo
	v_perm_b32 v3, v3, v7, 0x5040100
	v_perm_b32 v2, v8, v9, 0x5040100
	v_perm_b32 v1, v6, v5, 0x5040100
	ds_store_b128 v74, v[1:4]
	s_waitcnt lgkmcnt(0)
	s_barrier
	buffer_gl0_inv
	v_cmpx_gt_u32_e32 32, v0
	s_cbranch_execz .LBB1335_2
; %bb.15:
	s_load_b64 s[0:1], s[0:1], 0x68
	s_lshl_b32 s4, s34, 7
	v_or_b32_e32 v2, s31, v66
	s_mul_i32 s2, s4, s30
	v_lshlrev_b32_e32 v0, 10, v0
	s_mul_i32 s2, s2, s7
	v_lshlrev_b32_e32 v1, 4, v67
	s_ashr_i32 s3, s2, 31
	v_mul_lo_u32 v20, v2, s4
	s_lshl_b64 s[2:3], s[2:3], 1
	v_lshlrev_b32_e32 v3, 6, v66
	v_and_b32_e32 v0, 0x3800, v0
	s_delay_alu instid0(VALU_DEP_1) | instskip(NEXT) | instid1(VALU_DEP_4)
	v_or3_b32 v16, v0, v1, v3
	v_ashrrev_i32_e32 v21, 31, v20
	ds_load_b128 v[0:3], v16
	ds_load_b128 v[4:7], v16 offset:128
	s_waitcnt lgkmcnt(0)
	s_add_u32 s2, s0, s2
	s_addc_u32 s3, s1, s3
	s_lshl_b32 s0, s14, 7
	ds_load_b128 v[8:11], v16 offset:256
	ds_load_b128 v[12:15], v16 offset:384
	;; [unrolled: 1-line block ×3, first 2 shown]
	s_ashr_i32 s1, s0, 31
	s_delay_alu instid0(SALU_CYCLE_1) | instskip(NEXT) | instid1(SALU_CYCLE_1)
	s_lshl_b64 s[0:1], s[0:1], 1
	s_add_u32 s0, s2, s0
	s_addc_u32 s1, s3, s1
	s_lshl_b32 s2, s34, 8
	v_add_co_u32 v30, s0, s0, v65
	v_add_nc_u32_e32 v22, s2, v20
	v_lshlrev_b64 v[20:21], 1, v[20:21]
	v_add_co_ci_u32_e64 v31, null, s1, 0, s0
	s_delay_alu instid0(VALU_DEP_3) | instskip(SKIP_1) | instid1(VALU_DEP_4)
	v_add_nc_u32_e32 v24, s2, v22
	v_ashrrev_i32_e32 v23, 31, v22
	v_add_co_u32 v20, vcc_lo, v30, v20
	s_delay_alu instid0(VALU_DEP_4) | instskip(NEXT) | instid1(VALU_DEP_4)
	v_add_co_ci_u32_e32 v21, vcc_lo, v31, v21, vcc_lo
	v_add_nc_u32_e32 v26, s2, v24
	v_ashrrev_i32_e32 v25, 31, v24
	v_lshlrev_b64 v[22:23], 1, v[22:23]
	s_delay_alu instid0(VALU_DEP_3) | instskip(SKIP_1) | instid1(VALU_DEP_4)
	v_add_nc_u32_e32 v28, s2, v26
	v_ashrrev_i32_e32 v27, 31, v26
	v_lshlrev_b64 v[24:25], 1, v[24:25]
	s_delay_alu instid0(VALU_DEP_4) | instskip(NEXT) | instid1(VALU_DEP_4)
	v_add_co_u32 v22, vcc_lo, v30, v22
	v_ashrrev_i32_e32 v29, 31, v28
	s_delay_alu instid0(VALU_DEP_4) | instskip(SKIP_2) | instid1(VALU_DEP_4)
	v_lshlrev_b64 v[26:27], 1, v[26:27]
	v_add_co_ci_u32_e32 v23, vcc_lo, v31, v23, vcc_lo
	v_add_co_u32 v24, vcc_lo, v30, v24
	v_lshlrev_b64 v[28:29], 1, v[28:29]
	v_add_co_ci_u32_e32 v25, vcc_lo, v31, v25, vcc_lo
	v_add_co_u32 v26, vcc_lo, v30, v26
	v_add_co_ci_u32_e32 v27, vcc_lo, v31, v27, vcc_lo
	s_delay_alu instid0(VALU_DEP_4)
	v_add_co_u32 v28, vcc_lo, v30, v28
	v_add_co_ci_u32_e32 v29, vcc_lo, v31, v29, vcc_lo
	s_clause 0x1
	global_store_b128 v[20:21], v[0:3], off
	global_store_b128 v[22:23], v[4:7], off
	s_waitcnt lgkmcnt(2)
	global_store_b128 v[24:25], v[8:11], off
	s_waitcnt lgkmcnt(1)
	;; [unrolled: 2-line block ×3, first 2 shown]
	global_store_b128 v[28:29], v[16:19], off
	s_nop 0
	s_sendmsg sendmsg(MSG_DEALLOC_VGPRS)
	s_endpgm
	.section	.rodata,"a",@progbits
	.p2align	6, 0x0
	.amdhsa_kernel _Z39paged_attention_ll4mi_QKV_mfma16_kernelIDF16_hLN4vllm18Fp8KVCacheDataTypeE1EDF16_Li32ELi128ELi256ELb0ELi10EL8MFMAType0EEvPKT_PKT0_S8_ifPKiSA_SA_iPKfiiiPfSD_PS3_PT2_iSC_SC_
		.amdhsa_group_segment_fixed_size 17472
		.amdhsa_private_segment_fixed_size 0
		.amdhsa_kernarg_size 400
		.amdhsa_user_sgpr_count 13
		.amdhsa_user_sgpr_dispatch_ptr 0
		.amdhsa_user_sgpr_queue_ptr 0
		.amdhsa_user_sgpr_kernarg_segment_ptr 1
		.amdhsa_user_sgpr_dispatch_id 0
		.amdhsa_user_sgpr_private_segment_size 0
		.amdhsa_wavefront_size32 1
		.amdhsa_uses_dynamic_stack 0
		.amdhsa_enable_private_segment 0
		.amdhsa_system_sgpr_workgroup_id_x 1
		.amdhsa_system_sgpr_workgroup_id_y 1
		.amdhsa_system_sgpr_workgroup_id_z 1
		.amdhsa_system_sgpr_workgroup_info 0
		.amdhsa_system_vgpr_workitem_id 0
		.amdhsa_next_free_vgpr 150
		.amdhsa_next_free_sgpr 37
		.amdhsa_reserve_vcc 1
		.amdhsa_float_round_mode_32 0
		.amdhsa_float_round_mode_16_64 0
		.amdhsa_float_denorm_mode_32 3
		.amdhsa_float_denorm_mode_16_64 3
		.amdhsa_dx10_clamp 1
		.amdhsa_ieee_mode 1
		.amdhsa_fp16_overflow 0
		.amdhsa_workgroup_processor_mode 1
		.amdhsa_memory_ordered 1
		.amdhsa_forward_progress 0
		.amdhsa_shared_vgpr_count 0
		.amdhsa_exception_fp_ieee_invalid_op 0
		.amdhsa_exception_fp_denorm_src 0
		.amdhsa_exception_fp_ieee_div_zero 0
		.amdhsa_exception_fp_ieee_overflow 0
		.amdhsa_exception_fp_ieee_underflow 0
		.amdhsa_exception_fp_ieee_inexact 0
		.amdhsa_exception_int_div_zero 0
	.end_amdhsa_kernel
	.section	.text._Z39paged_attention_ll4mi_QKV_mfma16_kernelIDF16_hLN4vllm18Fp8KVCacheDataTypeE1EDF16_Li32ELi128ELi256ELb0ELi10EL8MFMAType0EEvPKT_PKT0_S8_ifPKiSA_SA_iPKfiiiPfSD_PS3_PT2_iSC_SC_,"axG",@progbits,_Z39paged_attention_ll4mi_QKV_mfma16_kernelIDF16_hLN4vllm18Fp8KVCacheDataTypeE1EDF16_Li32ELi128ELi256ELb0ELi10EL8MFMAType0EEvPKT_PKT0_S8_ifPKiSA_SA_iPKfiiiPfSD_PS3_PT2_iSC_SC_,comdat
.Lfunc_end1335:
	.size	_Z39paged_attention_ll4mi_QKV_mfma16_kernelIDF16_hLN4vllm18Fp8KVCacheDataTypeE1EDF16_Li32ELi128ELi256ELb0ELi10EL8MFMAType0EEvPKT_PKT0_S8_ifPKiSA_SA_iPKfiiiPfSD_PS3_PT2_iSC_SC_, .Lfunc_end1335-_Z39paged_attention_ll4mi_QKV_mfma16_kernelIDF16_hLN4vllm18Fp8KVCacheDataTypeE1EDF16_Li32ELi128ELi256ELb0ELi10EL8MFMAType0EEvPKT_PKT0_S8_ifPKiSA_SA_iPKfiiiPfSD_PS3_PT2_iSC_SC_
                                        ; -- End function
	.section	.AMDGPU.csdata,"",@progbits
; Kernel info:
; codeLenInByte = 6708
; NumSgprs: 39
; NumVgprs: 150
; ScratchSize: 0
; MemoryBound: 0
; FloatMode: 240
; IeeeMode: 1
; LDSByteSize: 17472 bytes/workgroup (compile time only)
; SGPRBlocks: 4
; VGPRBlocks: 18
; NumSGPRsForWavesPerEU: 39
; NumVGPRsForWavesPerEU: 150
; Occupancy: 9
; WaveLimiterHint : 1
; COMPUTE_PGM_RSRC2:SCRATCH_EN: 0
; COMPUTE_PGM_RSRC2:USER_SGPR: 13
; COMPUTE_PGM_RSRC2:TRAP_HANDLER: 0
; COMPUTE_PGM_RSRC2:TGID_X_EN: 1
; COMPUTE_PGM_RSRC2:TGID_Y_EN: 1
; COMPUTE_PGM_RSRC2:TGID_Z_EN: 1
; COMPUTE_PGM_RSRC2:TIDIG_COMP_CNT: 0
	.section	.text._Z39paged_attention_ll4mi_QKV_mfma16_kernelIDF16_hLN4vllm18Fp8KVCacheDataTypeE1EDF16_Li32ELi128ELi256ELb0ELi11EL8MFMAType0EEvPKT_PKT0_S8_ifPKiSA_SA_iPKfiiiPfSD_PS3_PT2_iSC_SC_,"axG",@progbits,_Z39paged_attention_ll4mi_QKV_mfma16_kernelIDF16_hLN4vllm18Fp8KVCacheDataTypeE1EDF16_Li32ELi128ELi256ELb0ELi11EL8MFMAType0EEvPKT_PKT0_S8_ifPKiSA_SA_iPKfiiiPfSD_PS3_PT2_iSC_SC_,comdat
	.protected	_Z39paged_attention_ll4mi_QKV_mfma16_kernelIDF16_hLN4vllm18Fp8KVCacheDataTypeE1EDF16_Li32ELi128ELi256ELb0ELi11EL8MFMAType0EEvPKT_PKT0_S8_ifPKiSA_SA_iPKfiiiPfSD_PS3_PT2_iSC_SC_ ; -- Begin function _Z39paged_attention_ll4mi_QKV_mfma16_kernelIDF16_hLN4vllm18Fp8KVCacheDataTypeE1EDF16_Li32ELi128ELi256ELb0ELi11EL8MFMAType0EEvPKT_PKT0_S8_ifPKiSA_SA_iPKfiiiPfSD_PS3_PT2_iSC_SC_
	.globl	_Z39paged_attention_ll4mi_QKV_mfma16_kernelIDF16_hLN4vllm18Fp8KVCacheDataTypeE1EDF16_Li32ELi128ELi256ELb0ELi11EL8MFMAType0EEvPKT_PKT0_S8_ifPKiSA_SA_iPKfiiiPfSD_PS3_PT2_iSC_SC_
	.p2align	8
	.type	_Z39paged_attention_ll4mi_QKV_mfma16_kernelIDF16_hLN4vllm18Fp8KVCacheDataTypeE1EDF16_Li32ELi128ELi256ELb0ELi11EL8MFMAType0EEvPKT_PKT0_S8_ifPKiSA_SA_iPKfiiiPfSD_PS3_PT2_iSC_SC_,@function
_Z39paged_attention_ll4mi_QKV_mfma16_kernelIDF16_hLN4vllm18Fp8KVCacheDataTypeE1EDF16_Li32ELi128ELi256ELb0ELi11EL8MFMAType0EEvPKT_PKT0_S8_ifPKiSA_SA_iPKfiiiPfSD_PS3_PT2_iSC_SC_: ; @_Z39paged_attention_ll4mi_QKV_mfma16_kernelIDF16_hLN4vllm18Fp8KVCacheDataTypeE1EDF16_Li32ELi128ELi256ELb0ELi11EL8MFMAType0EEvPKT_PKT0_S8_ifPKiSA_SA_iPKfiiiPfSD_PS3_PT2_iSC_SC_
; %bb.0:
	s_load_b64 s[4:5], s[0:1], 0x30
	s_mov_b32 s34, s13
	s_waitcnt lgkmcnt(0)
	s_cmp_lg_u64 s[4:5], 0
	s_cselect_b32 s8, -1, 0
	s_ashr_i32 s35, s13, 31
	s_cmp_eq_u64 s[4:5], 0
	s_cbranch_scc1 .LBB1336_3
; %bb.1:
	s_lshl_b64 s[2:3], s[34:35], 2
	s_delay_alu instid0(SALU_CYCLE_1) | instskip(SKIP_4) | instid1(SALU_CYCLE_1)
	s_add_u32 s2, s4, s2
	s_addc_u32 s3, s5, s3
	s_load_b64 s[2:3], s[2:3], 0x0
	s_waitcnt lgkmcnt(0)
	s_sub_i32 s2, s3, s2
	s_cmp_eq_u32 s2, 1
	s_cselect_b32 s2, -1, 0
	s_delay_alu instid0(SALU_CYCLE_1)
	s_and_not1_b32 vcc_lo, exec_lo, s2
	s_cbranch_vccz .LBB1336_4
.LBB1336_2:
	s_nop 0
	s_sendmsg sendmsg(MSG_DEALLOC_VGPRS)
	s_endpgm
.LBB1336_3:
.LBB1336_4:
	s_load_b64 s[2:3], s[0:1], 0x28
	s_lshl_b64 s[6:7], s[34:35], 2
	s_waitcnt lgkmcnt(0)
	s_add_u32 s2, s2, s6
	s_addc_u32 s3, s3, s7
	s_lshl_b32 s12, s14, 8
	s_load_b32 s24, s[2:3], 0x0
	s_waitcnt lgkmcnt(0)
	s_cmp_ge_i32 s12, s24
	s_cbranch_scc1 .LBB1336_2
; %bb.5:
	s_clause 0x1
	s_load_b128 s[20:23], s[0:1], 0x8
	s_load_b64 s[2:3], s[0:1], 0x20
	s_and_not1_b32 vcc_lo, exec_lo, s8
	s_cbranch_vccnz .LBB1336_7
; %bb.6:
	s_add_u32 s4, s4, s6
	s_addc_u32 s5, s5, s7
	s_load_b32 s5, s[4:5], 0x0
	s_branch .LBB1336_8
.LBB1336_7:
	s_mov_b32 s5, s34
.LBB1336_8:
	s_load_b128 s[16:19], s[0:1], 0x48
	v_and_b32_e32 v68, 15, v0
	v_lshrrev_b32_e32 v69, 5, v0
	v_bfe_u32 v66, v0, 4, 1
	v_and_b32_e32 v70, 31, v0
	v_and_b32_e32 v67, 1, v0
	v_lshlrev_b32_e32 v2, 3, v68
	s_mul_i32 s31, s15, 11
	v_lshl_or_b32 v1, v69, 1, v66
	s_mov_b32 s4, exec_lo
	s_delay_alu instid0(VALU_DEP_2) | instskip(NEXT) | instid1(VALU_DEP_2)
	v_lshlrev_b32_e32 v65, 1, v2
	v_cmpx_gt_u32_e32 11, v1
	s_cbranch_execz .LBB1336_10
; %bb.9:
	s_load_b64 s[6:7], s[0:1], 0x0
	v_add_lshl_u32 v2, v1, s31, 7
	s_waitcnt lgkmcnt(0)
	s_mul_hi_i32 s9, s5, s16
	s_mul_i32 s8, s5, s16
	v_lshlrev_b32_e32 v6, 10, v68
	s_lshl_b64 s[8:9], s[8:9], 1
	v_ashrrev_i32_e32 v3, 31, v2
	v_lshlrev_b32_e32 v1, 6, v1
	v_lshlrev_b32_e32 v7, 10, v67
	v_and_b32_e32 v6, 0x3800, v6
	s_delay_alu instid0(VALU_DEP_4) | instskip(NEXT) | instid1(VALU_DEP_2)
	v_lshlrev_b64 v[2:3], 1, v[2:3]
	v_or3_b32 v1, v6, v7, v1
	s_add_u32 s5, s6, s8
	s_addc_u32 s6, s7, s9
	s_delay_alu instid0(VALU_DEP_2) | instskip(NEXT) | instid1(VALU_DEP_3)
	v_add_co_u32 v2, vcc_lo, s5, v2
	v_add_co_ci_u32_e32 v3, vcc_lo, s6, v3, vcc_lo
	s_delay_alu instid0(VALU_DEP_2) | instskip(NEXT) | instid1(VALU_DEP_2)
	v_add_co_u32 v2, vcc_lo, v2, v65
	v_add_co_ci_u32_e32 v3, vcc_lo, 0, v3, vcc_lo
	global_load_b128 v[2:5], v[2:3], off
	s_waitcnt vmcnt(0)
	ds_store_b128 v1, v[2:5]
.LBB1336_10:
	s_or_b32 exec_lo, exec_lo, s4
	v_and_b32_e32 v1, 0xef, v0
	s_waitcnt lgkmcnt(0)
	s_add_i32 s5, s24, 31
	s_clause 0x1
	s_load_b32 s4, s[0:1], 0x38
	s_load_b32 s33, s[0:1], 0x98
	s_ashr_i32 s6, s5, 31
	v_add_nc_u32_e32 v1, s12, v1
	s_lshr_b32 s6, s6, 27
	s_load_b32 s19, s[0:1], 0x1c
	s_add_i32 s5, s5, s6
	s_waitcnt lgkmcnt(0)
	v_ashrrev_i32_e32 v2, 31, v1
	v_or_b32_e32 v3, 16, v1
	s_ashr_i32 s13, s5, 5
	v_cmp_gt_i32_e32 vcc_lo, s24, v1
	s_add_i32 s13, s13, -1
	v_lshrrev_b32_e32 v2, 27, v2
	s_barrier
	buffer_gl0_inv
	s_mul_i32 s15, s15, s18
	v_add_nc_u32_e32 v4, v1, v2
	s_mul_i32 s4, s34, s4
	s_delay_alu instid0(SALU_CYCLE_1) | instskip(NEXT) | instid1(VALU_DEP_1)
	s_ashr_i32 s5, s4, 31
	v_ashrrev_i32_e32 v4, 5, v4
	v_add_nc_u32_e32 v2, v3, v2
	s_lshl_b64 s[4:5], s[4:5], 2
	s_delay_alu instid0(SALU_CYCLE_1) | instskip(NEXT) | instid1(VALU_DEP_2)
	s_add_u32 s16, s2, s4
	v_cndmask_b32_e32 v1, s13, v4, vcc_lo
	s_delay_alu instid0(VALU_DEP_2)
	v_ashrrev_i32_e32 v2, 5, v2
	v_cmp_gt_i32_e32 vcc_lo, s24, v3
	s_addc_u32 s25, s3, s5
	s_ashr_i32 s18, s15, 31
	s_add_u32 s2, s20, s15
	s_addc_u32 s3, s21, s18
	v_cndmask_b32_e32 v3, s13, v2, vcc_lo
	v_ashrrev_i32_e32 v2, 31, v1
	s_lshl_b32 s4, s14, 3
	s_delay_alu instid0(SALU_CYCLE_1) | instskip(NEXT) | instid1(VALU_DEP_2)
	s_ashr_i32 s5, s4, 31
	v_ashrrev_i32_e32 v4, 31, v3
	s_delay_alu instid0(VALU_DEP_2) | instskip(SKIP_1) | instid1(SALU_CYCLE_1)
	v_lshlrev_b64 v[1:2], 2, v[1:2]
	s_lshl_b64 s[4:5], s[4:5], 2
	s_add_u32 s4, s16, s4
	s_delay_alu instid0(VALU_DEP_2) | instskip(SKIP_1) | instid1(VALU_DEP_2)
	v_lshlrev_b64 v[3:4], 2, v[3:4]
	s_addc_u32 s5, s25, s5
	v_add_co_u32 v1, vcc_lo, s16, v1
	v_add_co_ci_u32_e32 v2, vcc_lo, s25, v2, vcc_lo
	s_delay_alu instid0(VALU_DEP_3) | instskip(NEXT) | instid1(VALU_DEP_4)
	v_add_co_u32 v3, vcc_lo, s16, v3
	v_add_co_ci_u32_e32 v4, vcc_lo, s25, v4, vcc_lo
	s_clause 0x1
	global_load_b32 v5, v[1:2], off
	global_load_b32 v6, v[3:4], off
	s_or_b32 s6, s12, 32
	s_delay_alu instid0(SALU_CYCLE_1) | instskip(SKIP_2) | instid1(SALU_CYCLE_1)
	s_ashr_i32 s7, s6, 5
	s_cmp_lt_i32 s6, s24
	s_cselect_b32 s6, s7, s13
	s_ashr_i32 s7, s6, 31
	s_delay_alu instid0(SALU_CYCLE_1) | instskip(NEXT) | instid1(SALU_CYCLE_1)
	s_lshl_b64 s[6:7], s[6:7], 2
	s_add_u32 s6, s16, s6
	s_addc_u32 s7, s25, s7
	s_or_b32 s8, s12, 64
	s_delay_alu instid0(SALU_CYCLE_1) | instskip(SKIP_2) | instid1(SALU_CYCLE_1)
	s_ashr_i32 s9, s8, 5
	s_cmp_lt_i32 s8, s24
	s_cselect_b32 s8, s9, s13
	s_ashr_i32 s9, s8, 31
	s_delay_alu instid0(SALU_CYCLE_1) | instskip(NEXT) | instid1(SALU_CYCLE_1)
	s_lshl_b64 s[8:9], s[8:9], 2
	s_add_u32 s8, s16, s8
	s_addc_u32 s9, s25, s9
	;; [unrolled: 10-line block ×5, first 2 shown]
	s_clause 0x5
	s_load_b32 s28, s[4:5], 0x0
	s_load_b32 s29, s[6:7], 0x0
	;; [unrolled: 1-line block ×6, first 2 shown]
	s_mov_b32 s4, 0
	s_delay_alu instid0(SALU_CYCLE_1)
	s_mov_b32 s5, s4
	s_mov_b32 s6, s4
	;; [unrolled: 1-line block ×7, first 2 shown]
	s_delay_alu instid0(SALU_CYCLE_1)
	v_dual_mov_b32 v118, s11 :: v_dual_mov_b32 v117, s10
	v_dual_mov_b32 v116, s9 :: v_dual_mov_b32 v115, s8
	v_mov_b32_e32 v113, s6
	v_dual_mov_b32 v111, s4 :: v_dual_mov_b32 v114, s7
	v_mov_b32_e32 v112, s5
	s_waitcnt vmcnt(1)
	v_mad_i64_i32 v[1:2], null, v5, s17, s[2:3]
	v_lshlrev_b32_e32 v5, 4, v68
	s_waitcnt vmcnt(0)
	v_mad_i64_i32 v[3:4], null, v6, s17, s[2:3]
	s_or_b32 s2, s12, 0xc0
	s_delay_alu instid0(SALU_CYCLE_1) | instskip(NEXT) | instid1(VALU_DEP_3)
	s_ashr_i32 s3, s2, 5
	v_add_co_u32 v1, vcc_lo, v1, v5
	s_delay_alu instid0(VALU_DEP_4) | instskip(NEXT) | instid1(VALU_DEP_3)
	v_add_co_ci_u32_e32 v2, vcc_lo, 0, v2, vcc_lo
	v_add_co_u32 v3, vcc_lo, v3, v5
	s_delay_alu instid0(VALU_DEP_4)
	v_add_co_ci_u32_e32 v4, vcc_lo, 0, v4, vcc_lo
	s_clause 0xf
	global_load_b128 v[17:20], v[1:2], off
	global_load_b128 v[21:24], v[1:2], off offset:512
	global_load_b128 v[25:28], v[3:4], off offset:256
	;; [unrolled: 1-line block ×15, first 2 shown]
	s_cmp_lt_i32 s2, s24
	v_add_nc_u32_e32 v1, -11, v68
	s_cselect_b32 s2, s3, s13
	v_cmp_gt_u32_e32 vcc_lo, 11, v68
	s_ashr_i32 s3, s2, 31
	v_lshlrev_b32_e32 v2, 5, v68
	s_lshl_b64 s[2:3], s[2:3], 2
	s_delay_alu instid0(SALU_CYCLE_1)
	s_add_u32 s2, s16, s2
	s_addc_u32 s3, s25, s3
	s_or_b32 s20, s12, 0xe0
	v_cndmask_b32_e32 v1, v1, v68, vcc_lo
	s_ashr_i32 s21, s20, 5
	s_cmp_lt_i32 s20, s24
	s_cselect_b32 s20, s21, s13
	s_delay_alu instid0(VALU_DEP_1)
	v_lshlrev_b32_e32 v149, 6, v1
	s_ashr_i32 s21, s20, 31
	v_lshl_or_b32 v1, v69, 9, v2
	s_lshl_b64 s[4:5], s[20:21], 2
	ds_load_b128 v[119:122], v149
	ds_load_b128 v[123:126], v149 offset:1024
	s_add_u32 s4, s16, s4
	s_addc_u32 s5, s25, s5
	ds_load_b128 v[127:130], v149 offset:2048
	ds_load_b128 v[131:134], v149 offset:3072
	s_clause 0x1
	s_load_b32 s2, s[2:3], 0x0
	s_load_b32 s3, s[4:5], 0x0
	s_add_u32 s6, s22, s15
	s_addc_u32 s7, s23, s18
	v_add_co_u32 v135, s6, s6, v1
	s_delay_alu instid0(VALU_DEP_1) | instskip(SKIP_1) | instid1(VALU_DEP_1)
	v_add_co_ci_u32_e64 v136, null, s7, 0, s6
	s_waitcnt lgkmcnt(0)
	v_mad_i64_i32 v[1:2], null, s28, s17, v[135:136]
	v_mad_i64_i32 v[3:4], null, s29, s17, v[135:136]
	;; [unrolled: 1-line block ×6, first 2 shown]
	s_clause 0x9
	global_load_b128 v[49:52], v[1:2], off
	global_load_b128 v[53:56], v[1:2], off offset:16
	global_load_b128 v[41:44], v[3:4], off
	global_load_b128 v[45:48], v[3:4], off offset:16
	;; [unrolled: 2-line block ×5, first 2 shown]
	v_mad_i64_i32 v[145:146], null, s2, s17, v[135:136]
	v_mad_i64_i32 v[147:148], null, s3, s17, v[135:136]
	s_waitcnt vmcnt(24)
	v_wmma_f32_16x16x16_f16 v[135:142], v[17:24], v[119:126], v[111:118]
	s_waitcnt vmcnt(22)
	v_wmma_f32_16x16x16_f16 v[111:118], v[25:32], v[119:126], v[111:118]
	s_clause 0x3
	global_load_b128 v[17:20], v[143:144], off
	global_load_b128 v[21:24], v[143:144], off offset:16
	global_load_b128 v[25:28], v[145:146], off
	global_load_b128 v[29:32], v[145:146], off offset:16
	v_and_b32_e32 v119, 0xe0, v0
	s_waitcnt vmcnt(24)
	v_wmma_f32_16x16x16_f16 v[135:142], v[57:64], v[127:134], v[135:142]
	s_clause 0x1
	global_load_b128 v[57:60], v[147:148], off
	global_load_b128 v[61:64], v[147:148], off offset:16
	s_waitcnt vmcnt(24)
	v_wmma_f32_16x16x16_f16 v[111:118], v[71:78], v[127:134], v[111:118]
	ds_load_b128 v[71:74], v149 offset:4096
	ds_load_b128 v[75:78], v149 offset:5120
	v_add_nc_u32_e32 v128, s12, v119
	ds_load_b128 v[119:122], v149 offset:6144
	ds_load_b128 v[123:126], v149 offset:7168
	v_mbcnt_lo_u32_b32 v127, -1, 0
	s_waitcnt vmcnt(0) lgkmcnt(0)
	s_barrier
	v_or_b32_e32 v128, v128, v66
	buffer_gl0_inv
	v_xor_b32_e32 v129, 16, v127
	v_or_b32_e32 v130, 4, v128
	v_or_b32_e32 v131, 6, v128
	s_delay_alu instid0(VALU_DEP_3) | instskip(SKIP_4) | instid1(VALU_DEP_4)
	v_cmp_gt_i32_e32 vcc_lo, 32, v129
	v_or_b32_e32 v132, 8, v128
	v_or_b32_e32 v133, 10, v128
	v_cmp_gt_i32_e64 s3, s24, v130
	v_cmp_gt_i32_e64 s4, s24, v131
	;; [unrolled: 1-line block ×3, first 2 shown]
	v_wmma_f32_16x16x16_f16 v[135:142], v[79:86], v[71:78], v[135:142]
	v_wmma_f32_16x16x16_f16 v[111:118], v[87:94], v[71:78], v[111:118]
	v_or_b32_e32 v79, 12, v128
	v_or_b32_e32 v80, 14, v128
	v_cmp_gt_i32_e64 s6, s24, v133
	v_wmma_f32_16x16x16_f16 v[135:142], v[95:102], v[119:126], v[135:142]
	v_wmma_f32_16x16x16_f16 v[111:118], v[103:110], v[119:126], v[111:118]
	v_cndmask_b32_e32 v127, v127, v129, vcc_lo
	v_or_b32_e32 v129, 2, v128
	v_cmp_gt_i32_e32 vcc_lo, s24, v128
	s_delay_alu instid0(VALU_DEP_4) | instskip(SKIP_1) | instid1(VALU_DEP_4)
	v_dual_mul_f32 v87, s19, v136 :: v_dual_mul_f32 v94, s19, v113
	v_mul_f32_e32 v88, s19, v135
	v_cmp_gt_i32_e64 s2, s24, v129
	v_mul_f32_e32 v78, s19, v138
	v_mul_f32_e32 v86, s19, v137
	;; [unrolled: 1-line block ×3, first 2 shown]
	v_cndmask_b32_e32 v88, 0xff7fffff, v88, vcc_lo
	v_cndmask_b32_e64 v87, 0xff7fffff, v87, s2
	v_dual_mul_f32 v77, s19, v139 :: v_dual_mul_f32 v90, s19, v117
	v_cndmask_b32_e64 v86, 0xff7fffff, v86, s3
	v_cndmask_b32_e64 v78, 0xff7fffff, v78, s4
	s_delay_alu instid0(VALU_DEP_4)
	v_max3_f32 v87, v88, 0xff7fffff, v87
	v_or_b32_e32 v81, 16, v128
	v_or_b32_e32 v82, 18, v128
	v_dual_mul_f32 v74, s19, v142 :: v_dual_mul_f32 v75, s19, v141
	v_mul_f32_e32 v96, s19, v111
	v_cndmask_b32_e64 v77, 0xff7fffff, v77, s5
	v_cndmask_b32_e64 v76, 0xff7fffff, v76, s6
	v_max3_f32 v78, v87, v86, v78
	v_cmp_gt_i32_e64 s7, s24, v79
	v_cmp_gt_i32_e64 s8, s24, v80
	v_or_b32_e32 v83, 20, v128
	v_or_b32_e32 v84, 22, v128
	v_mul_f32_e32 v95, s19, v112
	v_cndmask_b32_e64 v75, 0xff7fffff, v75, s7
	v_cndmask_b32_e64 v74, 0xff7fffff, v74, s8
	v_max3_f32 v76, v78, v77, v76
	v_cmp_gt_i32_e64 s9, s24, v81
	v_cmp_gt_i32_e64 s10, s24, v82
	v_or_b32_e32 v85, 24, v128
	v_or_b32_e32 v71, 26, v128
	;; [unrolled: 8-line block ×3, first 2 shown]
	v_dual_mul_f32 v91, s19, v116 :: v_dual_mul_f32 v92, s19, v115
	v_cndmask_b32_e64 v75, 0xff7fffff, v94, s11
	v_cndmask_b32_e64 v76, 0xff7fffff, v93, s12
	v_max3_f32 v74, v74, v77, v78
	v_cmp_gt_i32_e64 s13, s24, v85
	v_cmp_gt_i32_e64 s15, s24, v71
	v_mul_f32_e32 v89, s19, v118
	v_cmp_gt_i32_e64 s16, s24, v72
	v_max3_f32 v74, v74, v75, v76
	v_cndmask_b32_e64 v77, 0xff7fffff, v92, s13
	v_cndmask_b32_e64 v71, 0xff7fffff, v91, s15
	v_cmp_gt_i32_e64 s17, s24, v73
	v_cndmask_b32_e64 v72, 0xff7fffff, v90, s16
	s_delay_alu instid0(VALU_DEP_3) | instskip(SKIP_1) | instid1(VALU_DEP_4)
	v_max3_f32 v71, v74, v77, v71
	v_lshlrev_b32_e32 v74, 2, v127
	v_cndmask_b32_e64 v73, 0xff7fffff, v89, s17
	s_delay_alu instid0(VALU_DEP_1) | instskip(SKIP_3) | instid1(VALU_DEP_1)
	v_max3_f32 v71, v71, v72, v73
	ds_bpermute_b32 v72, v74, v71
	s_waitcnt lgkmcnt(0)
	v_max_f32_e32 v72, v72, v72
	v_max_f32_e32 v71, v71, v72
	s_delay_alu instid0(VALU_DEP_1) | instskip(SKIP_4) | instid1(VALU_DEP_4)
	v_fma_f32 v72, s19, v135, -v71
	v_fma_f32 v73, s19, v136, -v71
	;; [unrolled: 1-line block ×5, first 2 shown]
	v_dual_mul_f32 v72, 0x3fb8aa3b, v72 :: v_dual_mul_f32 v73, 0x3fb8aa3b, v73
	s_delay_alu instid0(VALU_DEP_3) | instskip(SKIP_1) | instid1(VALU_DEP_3)
	v_dual_mul_f32 v75, 0x3fb8aa3b, v75 :: v_dual_mul_f32 v76, 0x3fb8aa3b, v76
	v_fma_f32 v80, s19, v141, -v71
	v_exp_f32_e32 v72, v72
	s_delay_alu instid0(VALU_DEP_3) | instskip(NEXT) | instid1(VALU_DEP_2)
	v_exp_f32_e32 v73, v73
	v_exp_f32_e32 v75, v75
	;; [unrolled: 1-line block ×3, first 2 shown]
	v_mul_f32_e32 v82, 0x3fb8aa3b, v80
	s_delay_alu instid0(VALU_DEP_1) | instskip(SKIP_4) | instid1(TRANS32_DEP_3)
	v_exp_f32_e32 v84, v82
	v_cndmask_b32_e32 v79, 0, v72, vcc_lo
	v_fma_f32 v72, s19, v140, -v71
	v_mul_f32_e32 v77, 0x3fb8aa3b, v77
	v_cndmask_b32_e64 v78, 0, v73, s2
	v_cndmask_b32_e64 v81, 0, v75, s3
	s_delay_alu instid0(VALU_DEP_4) | instskip(NEXT) | instid1(VALU_DEP_4)
	v_dual_add_f32 v73, 0, v79 :: v_dual_mul_f32 v72, 0x3fb8aa3b, v72
	v_exp_f32_e32 v77, v77
	v_cndmask_b32_e64 v80, 0, v76, s4
	s_delay_alu instid0(TRANS32_DEP_2) | instskip(NEXT) | instid1(VALU_DEP_3)
	v_cndmask_b32_e64 v85, 0, v84, s7
	v_add_f32_e32 v73, v73, v78
	v_exp_f32_e32 v72, v72
	v_cmp_gt_u32_e64 s2, 16, v70
	s_delay_alu instid0(VALU_DEP_2) | instskip(NEXT) | instid1(TRANS32_DEP_2)
	v_add_f32_e32 v73, v73, v81
	v_cndmask_b32_e64 v83, 0, v77, s5
	s_delay_alu instid0(VALU_DEP_2) | instskip(SKIP_3) | instid1(VALU_DEP_1)
	v_add_f32_e32 v73, v73, v80
	s_waitcnt_depctr 0xfff
	v_cndmask_b32_e64 v82, 0, v72, s6
	v_add_f32_e32 v72, v73, v83
	v_add_f32_e32 v72, v72, v82
	s_delay_alu instid0(VALU_DEP_1)
	v_add_f32_e32 v72, v72, v85
	v_fma_f32 v76, s19, v111, -v71
	v_fma_f32 v75, s19, v142, -v71
	;; [unrolled: 1-line block ×5, first 2 shown]
	s_delay_alu instid0(VALU_DEP_4) | instskip(NEXT) | instid1(VALU_DEP_3)
	v_dual_mul_f32 v76, 0x3fb8aa3b, v76 :: v_dual_mul_f32 v75, 0x3fb8aa3b, v75
	v_mul_f32_e32 v86, 0x3fb8aa3b, v86
	s_delay_alu instid0(VALU_DEP_2) | instskip(NEXT) | instid1(VALU_DEP_2)
	v_exp_f32_e32 v76, v76
	v_exp_f32_e32 v75, v75
	s_delay_alu instid0(VALU_DEP_1) | instskip(NEXT) | instid1(TRANS32_DEP_3)
	v_exp_f32_e32 v88, v86
	v_cndmask_b32_e64 v87, 0, v76, s9
	v_fma_f32 v76, s19, v116, -v71
	v_mul_f32_e32 v77, 0x3fb8aa3b, v77
	s_waitcnt_depctr 0xfff
	v_cndmask_b32_e64 v84, 0, v75, s8
	v_fma_f32 v75, s19, v115, -v71
	v_cndmask_b32_e64 v88, 0, v88, s12
	v_mul_f32_e32 v76, 0x3fb8aa3b, v76
	v_exp_f32_e32 v77, v77
	v_add_f32_e32 v72, v72, v84
	s_delay_alu instid0(VALU_DEP_2) | instskip(NEXT) | instid1(VALU_DEP_1)
	v_exp_f32_e32 v76, v76
	v_add_f32_e32 v72, v72, v87
	s_waitcnt_depctr 0xfff
	v_cndmask_b32_e64 v86, 0, v77, s10
	v_mul_f32_e32 v73, 0x3fb8aa3b, v73
	v_fma_f32 v77, s19, v117, -v71
	v_cndmask_b32_e64 v90, 0, v76, s15
	s_delay_alu instid0(VALU_DEP_4) | instskip(NEXT) | instid1(VALU_DEP_4)
	v_add_f32_e32 v72, v72, v86
	v_exp_f32_e32 v73, v73
	s_waitcnt_depctr 0xfff
	v_cndmask_b32_e64 v89, 0, v73, s11
	s_delay_alu instid0(VALU_DEP_1) | instskip(NEXT) | instid1(VALU_DEP_1)
	v_dual_mul_f32 v75, 0x3fb8aa3b, v75 :: v_dual_add_f32 v72, v72, v89
	v_exp_f32_e32 v75, v75
	v_mul_f32_e32 v73, 0x3fb8aa3b, v77
	v_fma_f32 v77, s19, v118, -v71
	s_delay_alu instid0(VALU_DEP_3) | instskip(NEXT) | instid1(VALU_DEP_3)
	v_add_f32_e32 v72, v72, v88
	v_exp_f32_e32 v73, v73
	s_waitcnt_depctr 0xfff
	v_cndmask_b32_e64 v91, 0, v75, s13
	s_delay_alu instid0(VALU_DEP_1) | instskip(NEXT) | instid1(VALU_DEP_1)
	v_dual_mul_f32 v75, 0x3fb8aa3b, v77 :: v_dual_add_f32 v72, v72, v91
	v_exp_f32_e32 v75, v75
	v_cndmask_b32_e64 v93, 0, v73, s16
	s_delay_alu instid0(VALU_DEP_2) | instskip(NEXT) | instid1(VALU_DEP_1)
	v_add_f32_e32 v72, v72, v90
	v_add_f32_e32 v72, v72, v93
	s_waitcnt_depctr 0xfff
	v_cndmask_b32_e64 v92, 0, v75, s17
	s_delay_alu instid0(VALU_DEP_1)
	v_add_f32_e32 v72, v72, v92
	ds_bpermute_b32 v73, v74, v72
	s_and_saveexec_b32 s3, s2
	s_cbranch_execz .LBB1336_12
; %bb.11:
	v_mul_u32_u24_e32 v70, 0x44, v69
	s_waitcnt lgkmcnt(0)
	v_add_f32_e32 v72, v72, v73
	s_delay_alu instid0(VALU_DEP_2) | instskip(NEXT) | instid1(VALU_DEP_1)
	v_lshl_add_u32 v70, v68, 2, v70
	v_add_nc_u32_e32 v70, 0x4000, v70
	ds_store_2addr_b32 v70, v71, v72 offset1:136
.LBB1336_12:
	s_or_b32 exec_lo, exec_lo, s3
	v_lshlrev_b32_e32 v70, 2, v68
	s_load_b32 s35, s[0:1], 0x94
	s_waitcnt lgkmcnt(0)
	s_barrier
	buffer_gl0_inv
	v_add_nc_u32_e32 v98, 0x4000, v70
	v_cmp_eq_u32_e32 vcc_lo, 1, v69
	v_cmp_eq_u32_e64 s3, 2, v69
	v_cmp_eq_u32_e64 s4, 3, v69
	;; [unrolled: 1-line block ×3, first 2 shown]
	ds_load_2addr_b32 v[70:71], v98 offset1:17
	ds_load_2addr_b32 v[72:73], v98 offset0:34 offset1:51
	ds_load_2addr_b32 v[74:75], v98 offset0:68 offset1:85
	;; [unrolled: 1-line block ×3, first 2 shown]
	v_cmp_eq_u32_e64 s6, 5, v69
	v_cmp_eq_u32_e64 s7, 7, v69
	s_waitcnt lgkmcnt(3)
	v_max3_f32 v76, v70, 0xff7fffff, v71
	s_waitcnt lgkmcnt(2)
	s_delay_alu instid0(VALU_DEP_1) | instskip(SKIP_1) | instid1(VALU_DEP_1)
	v_max3_f32 v76, v76, v72, v73
	s_waitcnt lgkmcnt(1)
	v_max3_f32 v76, v76, v74, v75
	s_waitcnt lgkmcnt(0)
	s_delay_alu instid0(VALU_DEP_1) | instskip(NEXT) | instid1(VALU_DEP_1)
	v_max3_f32 v76, v76, v94, v95
	v_sub_f32_e32 v77, v71, v76
	ds_load_2addr_b32 v[96:97], v98 offset0:136 offset1:153
	v_sub_f32_e32 v74, v74, v76
	v_sub_f32_e32 v70, v70, v76
	v_sub_f32_e32 v94, v94, v76
	v_dual_sub_f32 v72, v72, v76 :: v_dual_mul_f32 v77, 0x3fb8aa3b, v77
	s_delay_alu instid0(VALU_DEP_4) | instskip(NEXT) | instid1(VALU_DEP_4)
	v_mul_f32_e32 v103, 0x3fb8aa3b, v74
	v_mul_f32_e32 v99, 0x3fb8aa3b, v70
	ds_load_2addr_b32 v[70:71], v98 offset0:170 offset1:187
	v_dual_mul_f32 v101, 0x3fb8aa3b, v72 :: v_dual_mul_f32 v94, 0x3fb8aa3b, v94
	v_exp_f32_e32 v102, v77
	v_exp_f32_e32 v99, v99
	s_delay_alu instid0(VALU_DEP_1) | instskip(NEXT) | instid1(VALU_DEP_1)
	v_exp_f32_e32 v101, v101
	v_exp_f32_e32 v94, v94
	s_waitcnt lgkmcnt(1)
	s_delay_alu instid0(TRANS32_DEP_3)
	v_fma_f32 v77, v99, v96, 0
	v_sub_f32_e32 v100, v73, v76
	ds_load_2addr_b32 v[72:73], v98 offset0:204 offset1:221
	v_fmac_f32_e32 v77, v102, v97
	v_exp_f32_e32 v97, v103
	s_waitcnt lgkmcnt(1)
	s_delay_alu instid0(VALU_DEP_1)
	v_dual_fmac_f32 v77, v101, v70 :: v_dual_sub_f32 v96, v75, v76
	ds_load_2addr_b32 v[74:75], v98 offset0:238 offset1:255
	v_sub_f32_e32 v70, v95, v76
	s_waitcnt lgkmcnt(0)
	s_barrier
	v_mul_f32_e32 v96, 0x3fb8aa3b, v96
	buffer_gl0_inv
	v_exp_f32_e32 v95, v96
	v_mul_f32_e32 v100, 0x3fb8aa3b, v100
	s_delay_alu instid0(VALU_DEP_1) | instskip(SKIP_3) | instid1(VALU_DEP_2)
	v_exp_f32_e32 v100, v100
	s_waitcnt_depctr 0xfff
	v_dual_fmac_f32 v77, v100, v71 :: v_dual_mul_f32 v70, 0x3fb8aa3b, v70
	v_cndmask_b32_e32 v71, v99, v102, vcc_lo
	v_fmac_f32_e32 v77, v97, v72
	s_delay_alu instid0(VALU_DEP_3) | instskip(NEXT) | instid1(VALU_DEP_1)
	v_exp_f32_e32 v96, v70
	v_fmac_f32_e32 v77, v95, v73
	s_delay_alu instid0(VALU_DEP_1) | instskip(SKIP_2) | instid1(VALU_DEP_1)
	v_fmac_f32_e32 v77, v94, v74
	s_waitcnt_depctr 0xfff
	v_fmac_f32_e32 v77, v96, v75
	v_add_f32_e32 v74, 0x358637bd, v77
	s_delay_alu instid0(VALU_DEP_1) | instskip(SKIP_1) | instid1(VALU_DEP_2)
	v_div_scale_f32 v98, null, v74, v74, 1.0
	v_div_scale_f32 v99, vcc_lo, 1.0, v74, 1.0
	v_rcp_f32_e32 v103, v98
	s_waitcnt_depctr 0xfff
	v_fma_f32 v70, -v98, v103, 1.0
	s_delay_alu instid0(VALU_DEP_1) | instskip(SKIP_2) | instid1(VALU_DEP_2)
	v_fmac_f32_e32 v103, v70, v103
	v_cndmask_b32_e64 v70, v71, v101, s3
	v_cmp_eq_u32_e64 s3, 6, v69
	v_cndmask_b32_e64 v71, v70, v100, s4
	s_delay_alu instid0(VALU_DEP_4) | instskip(NEXT) | instid1(VALU_DEP_2)
	v_dual_mul_f32 v101, v99, v103 :: v_dual_lshlrev_b32 v70, 2, v66
	v_cndmask_b32_e64 v71, v71, v97, s5
	s_delay_alu instid0(VALU_DEP_2) | instskip(NEXT) | instid1(VALU_DEP_3)
	v_or_b32_e32 v72, 1, v70
	v_fma_f32 v100, -v98, v101, v99
	v_cmp_eq_u32_e64 s4, 1, v70
	v_cmp_eq_u32_e64 s5, 2, v70
	v_cndmask_b32_e64 v95, v71, v95, s6
	v_or_b32_e32 v71, 3, v70
	v_fmac_f32_e32 v101, v100, v103
	v_cmp_eq_u32_e64 s9, 1, v72
	v_cmp_eq_u32_e64 s12, 2, v72
	v_cndmask_b32_e64 v94, v95, v94, s3
	v_cmp_eq_u32_e64 s11, 1, v71
	v_fma_f32 v97, -v98, v101, v99
	v_cmp_eq_u32_e64 s16, 2, v71
	v_cmp_eq_u32_e64 s13, 3, v72
	v_cndmask_b32_e64 v94, v94, v96, s7
	v_cmp_eq_u32_e64 s18, 3, v71
	v_div_fmas_f32 v95, v97, v103, v101
	v_cmp_eq_u32_e32 vcc_lo, 3, v70
	v_cmp_eq_u32_e64 s3, 4, v70
	v_cmp_eq_u32_e64 s19, 4, v72
	;; [unrolled: 1-line block ×3, first 2 shown]
	v_div_fixup_f32 v95, v95, v74, 1.0
	v_lshlrev_b32_e32 v73, 6, v68
	v_cmp_eq_u32_e64 s6, 5, v70
	v_cmp_eq_u32_e64 s20, 5, v72
	;; [unrolled: 1-line block ×3, first 2 shown]
	v_mul_f32_e32 v102, v94, v95
	v_lshl_or_b32 v75, v69, 11, v73
	v_or_b32_e32 v69, 2, v70
	v_cmp_eq_u32_e64 s25, 6, v72
	v_cmp_eq_u32_e64 s27, 6, v71
	v_fma_mixlo_f16 v94, v102, v79, 0
	v_fma_mixlo_f16 v95, v102, v81, 0
	v_fma_mixlo_f16 v96, v102, v83, 0
	v_fma_mixlo_f16 v97, v102, v85, 0
	v_fma_mixlo_f16 v98, v102, v87, 0
	v_fma_mixlo_f16 v99, v102, v89, 0
	v_fma_mixlo_f16 v100, v102, v91, 0
	v_fma_mixlo_f16 v101, v102, v93, 0
	v_lshl_or_b32 v74, v66, 4, v75
	v_fma_mixhi_f16 v94, v102, v78, 0
	v_fma_mixhi_f16 v95, v102, v80, 0
	;; [unrolled: 1-line block ×8, first 2 shown]
	ds_store_b128 v74, v[94:97]
	ds_store_b128 v74, v[98:101] offset:1024
	s_waitcnt lgkmcnt(0)
	s_barrier
	buffer_gl0_inv
	ds_load_b128 v[78:81], v75
	ds_load_b128 v[82:85], v75 offset:16
	ds_load_b128 v[86:89], v75 offset:1024
	;; [unrolled: 1-line block ×3, first 2 shown]
	v_cmp_eq_u32_e64 s10, 1, v69
	v_cmp_eq_u32_e64 s15, 2, v69
	;; [unrolled: 1-line block ×11, first 2 shown]
	s_waitcnt lgkmcnt(3)
	v_lshrrev_b32_e32 v94, 16, v78
	s_waitcnt lgkmcnt(2)
	v_lshrrev_b32_e32 v98, 16, v82
	;; [unrolled: 2-line block ×4, first 2 shown]
	v_lshrrev_b32_e32 v95, 16, v79
	v_cndmask_b32_e64 v110, v78, v94, s4
	v_cndmask_b32_e64 v111, v82, v98, s4
	;; [unrolled: 1-line block ×8, first 2 shown]
	v_lshrrev_b32_e32 v99, 16, v83
	v_cndmask_b32_e64 v94, v86, v102, s4
	v_cndmask_b32_e64 v98, v90, v106, s4
	v_cndmask_b32_e64 v116, v86, v102, s9
	v_cndmask_b32_e64 v117, v90, v106, s9
	v_cndmask_b32_e64 v118, v86, v102, s10
	v_cndmask_b32_e64 v119, v90, v106, s10
	v_cndmask_b32_e64 v86, v86, v102, s11
	v_cndmask_b32_e64 v90, v90, v106, s11
	v_cndmask_b32_e64 v102, v110, v79, s5
	v_cndmask_b32_e64 v106, v111, v83, s5
	v_cndmask_b32_e64 v110, v112, v79, s12
	v_cndmask_b32_e64 v111, v113, v83, s12
	v_cndmask_b32_e64 v112, v114, v79, s15
	v_cndmask_b32_e64 v78, v78, v79, s16
	v_cndmask_b32_e64 v79, v82, v83, s16
	v_lshrrev_b32_e32 v103, 16, v87
	v_lshrrev_b32_e32 v107, 16, v91
	v_cndmask_b32_e64 v113, v115, v83, s15
	v_cndmask_b32_e64 v82, v94, v87, s5
	v_cndmask_b32_e64 v83, v98, v91, s5
	v_cndmask_b32_e64 v94, v116, v87, s12
	v_cndmask_b32_e64 v98, v118, v87, s15
	v_cndmask_b32_e64 v86, v86, v87, s16
	v_cndmask_b32_e64 v87, v90, v91, s16
	v_cndmask_b32_e32 v90, v102, v95, vcc_lo
	v_cndmask_b32_e32 v102, v106, v99, vcc_lo
	v_cndmask_b32_e64 v106, v110, v95, s13
	v_cndmask_b32_e64 v110, v111, v99, s13
	;; [unrolled: 1-line block ×4, first 2 shown]
	v_lshrrev_b32_e32 v96, 16, v80
	v_lshrrev_b32_e32 v100, 16, v84
	v_cndmask_b32_e64 v111, v112, v95, s17
	v_cndmask_b32_e64 v112, v113, v99, s17
	v_cndmask_b32_e32 v82, v82, v103, vcc_lo
	v_cndmask_b32_e32 v83, v83, v107, vcc_lo
	v_cndmask_b32_e64 v94, v94, v103, s13
	v_cndmask_b32_e64 v90, v90, v80, s3
	;; [unrolled: 1-line block ×7, first 2 shown]
	v_lshrrev_b32_e32 v104, 16, v88
	v_cndmask_b32_e64 v106, v111, v80, s21
	v_cndmask_b32_e64 v110, v112, v84, s21
	;; [unrolled: 1-line block ×11, first 2 shown]
	v_lshrrev_b32_e32 v97, 16, v81
	v_lshrrev_b32_e32 v101, 16, v85
	v_cndmask_b32_e64 v99, v106, v96, s23
	v_cndmask_b32_e64 v102, v110, v100, s23
	;; [unrolled: 1-line block ×7, first 2 shown]
	v_lshrrev_b32_e32 v105, 16, v89
	v_cndmask_b32_e64 v80, v80, v104, s6
	v_cndmask_b32_e64 v84, v84, v81, s7
	;; [unrolled: 1-line block ×16, first 2 shown]
	v_perm_b32 v81, v79, v78, 0x5040100
	v_perm_b32 v79, v95, v85, 0x5040100
	v_cndmask_b32_e64 v78, v119, v91, s15
	v_cndmask_b32_e64 v85, v117, v91, s12
	;; [unrolled: 1-line block ×3, first 2 shown]
	v_perm_b32 v80, v94, v90, 0x5040100
	v_cndmask_b32_e64 v90, v98, v103, s17
	v_cndmask_b32_e64 v86, v86, v103, s18
	;; [unrolled: 1-line block ×5, first 2 shown]
	v_lshrrev_b32_e32 v108, 16, v92
	v_cndmask_b32_e64 v90, v90, v88, s21
	v_cndmask_b32_e64 v86, v86, v88, s22
	;; [unrolled: 1-line block ×11, first 2 shown]
	v_lshrrev_b32_e32 v109, 16, v93
	v_cndmask_b32_e64 v82, v82, v93, s7
	v_cndmask_b32_e64 v88, v88, v89, s26
	;; [unrolled: 1-line block ×12, first 2 shown]
	v_perm_b32 v78, v84, v83, 0x5040100
	v_perm_b32 v85, v87, v86, 0x5040100
	;; [unrolled: 1-line block ×5, first 2 shown]
	s_mul_i32 s8, s33, 11
	s_mov_b32 s3, exec_lo
	ds_store_b128 v74, v[78:81]
	ds_store_b128 v74, v[82:85] offset:1024
	v_cmpx_gt_u32_e32 11, v0
	s_cbranch_execz .LBB1336_14
; %bb.13:
	s_mul_i32 s4, s8, s34
	s_delay_alu instid0(SALU_CYCLE_1) | instskip(SKIP_1) | instid1(VALU_DEP_1)
	v_add3_u32 v68, s4, s31, v68
	s_load_b128 s[4:7], s[0:1], 0x58
	v_mad_u64_u32 v[78:79], null, v68, s35, s[14:15]
	s_delay_alu instid0(VALU_DEP_1) | instskip(NEXT) | instid1(VALU_DEP_1)
	v_ashrrev_i32_e32 v79, 31, v78
	v_lshlrev_b64 v[78:79], 2, v[78:79]
	s_waitcnt lgkmcnt(0)
	s_delay_alu instid0(VALU_DEP_1) | instskip(NEXT) | instid1(VALU_DEP_2)
	v_add_co_u32 v80, vcc_lo, s6, v78
	v_add_co_ci_u32_e32 v81, vcc_lo, s7, v79, vcc_lo
	v_add_co_u32 v78, vcc_lo, s4, v78
	v_add_co_ci_u32_e32 v79, vcc_lo, s5, v79, vcc_lo
	global_store_b32 v[80:81], v76, off
	global_store_b32 v[78:79], v77, off
.LBB1336_14:
	s_or_b32 exec_lo, exec_lo, s3
	s_waitcnt lgkmcnt(0)
	s_waitcnt_vscnt null, 0x0
	s_barrier
	buffer_gl0_inv
	ds_load_b128 v[84:87], v73
	ds_load_b128 v[88:91], v73 offset:16
	ds_load_b128 v[96:99], v73 offset:2064
	;; [unrolled: 1-line block ×5, first 2 shown]
	v_cmp_eq_u32_e32 vcc_lo, 1, v70
	v_mov_b32_e32 v76, 0
	ds_load_b128 v[112:115], v73 offset:6160
	ds_load_b128 v[108:111], v73 offset:6144
	;; [unrolled: 1-line block ×4, first 2 shown]
	v_cmp_eq_u32_e64 s4, 1, v69
	v_cmp_eq_u32_e64 s3, 1, v72
	;; [unrolled: 1-line block ×3, first 2 shown]
	v_mov_b32_e32 v77, v76
	v_mov_b32_e32 v78, v76
	;; [unrolled: 1-line block ×7, first 2 shown]
	v_cmp_eq_u32_e64 s6, 3, v72
	v_cmp_eq_u32_e64 s7, 7, v72
	s_waitcnt lgkmcnt(8)
	s_delay_alu instid0(VALU_DEP_3)
	v_wmma_f32_16x16x16_f16 v[76:83], v[49:56], v[84:91], v[76:83]
	ds_load_b128 v[53:56], v73 offset:10256
	ds_load_b128 v[49:52], v73 offset:10240
	s_waitcnt lgkmcnt(8)
	v_wmma_f32_16x16x16_f16 v[76:83], v[41:48], v[92:99], v[76:83]
	ds_load_b128 v[45:48], v73 offset:12304
	ds_load_b128 v[41:44], v73 offset:12288
	s_waitcnt lgkmcnt(8)
	;; [unrolled: 4-line block ×3, first 2 shown]
	s_barrier
	buffer_gl0_inv
	v_wmma_f32_16x16x16_f16 v[76:83], v[1:8], v[108:115], v[76:83]
	s_delay_alu instid0(VALU_DEP_1) | instskip(NEXT) | instid1(VALU_DEP_1)
	v_wmma_f32_16x16x16_f16 v[76:83], v[9:16], v[116:123], v[76:83]
	v_wmma_f32_16x16x16_f16 v[76:83], v[17:24], v[49:56], v[76:83]
	s_delay_alu instid0(VALU_DEP_1) | instskip(NEXT) | instid1(VALU_DEP_1)
	v_wmma_f32_16x16x16_f16 v[76:83], v[25:32], v[41:48], v[76:83]
	v_wmma_f32_16x16x16_f16 v[76:83], v[57:64], v[33:40], v[76:83]
	s_delay_alu instid0(VALU_DEP_1) | instskip(NEXT) | instid1(VALU_DEP_2)
	v_cvt_f16_f32_e32 v1, v76
	v_cvt_f16_f32_e32 v2, v77
	s_delay_alu instid0(VALU_DEP_3) | instskip(NEXT) | instid1(VALU_DEP_4)
	v_cvt_f16_f32_e32 v3, v78
	v_cvt_f16_f32_e32 v4, v79
	;; [unrolled: 1-line block ×6, first 2 shown]
	v_pack_b32_f16 v1, v1, v2
	v_pack_b32_f16 v2, v3, v4
	;; [unrolled: 1-line block ×3, first 2 shown]
	s_delay_alu instid0(VALU_DEP_4)
	v_pack_b32_f16 v4, v7, v8
	ds_store_b128 v74, v[1:4]
	s_waitcnt lgkmcnt(0)
	s_barrier
	buffer_gl0_inv
	ds_load_b128 v[1:4], v75
	ds_load_b128 v[5:8], v75 offset:16
	s_waitcnt lgkmcnt(1)
	v_lshrrev_b32_e32 v9, 16, v1
	s_waitcnt lgkmcnt(0)
	v_lshrrev_b32_e32 v13, 16, v5
	v_lshrrev_b32_e32 v10, 16, v2
	;; [unrolled: 1-line block ×4, first 2 shown]
	v_cndmask_b32_e32 v17, v1, v9, vcc_lo
	v_cndmask_b32_e32 v18, v5, v13, vcc_lo
	v_cndmask_b32_e64 v21, v1, v9, s4
	v_cmp_eq_u32_e32 vcc_lo, 1, v71
	v_cndmask_b32_e64 v22, v5, v13, s4
	v_cmp_eq_u32_e64 s4, 2, v70
	v_cndmask_b32_e64 v19, v1, v9, s3
	v_cndmask_b32_e64 v20, v5, v13, s3
	v_cndmask_b32_e32 v1, v1, v9, vcc_lo
	v_cmp_eq_u32_e64 s3, 2, v71
	v_cndmask_b32_e32 v5, v5, v13, vcc_lo
	v_cndmask_b32_e64 v9, v17, v2, s4
	v_cmp_eq_u32_e32 vcc_lo, 3, v70
	v_cndmask_b32_e64 v13, v18, v6, s4
	v_cmp_eq_u32_e64 s4, 2, v69
	v_cndmask_b32_e64 v17, v19, v2, s5
	v_cndmask_b32_e64 v18, v20, v6, s5
	v_cmp_eq_u32_e64 s5, 3, v69
	v_cndmask_b32_e64 v1, v1, v2, s3
	v_cndmask_b32_e64 v19, v21, v2, s4
	;; [unrolled: 1-line block ×4, first 2 shown]
	v_cndmask_b32_e32 v5, v9, v10, vcc_lo
	v_cndmask_b32_e32 v6, v13, v14, vcc_lo
	v_cmp_eq_u32_e32 vcc_lo, 3, v71
	v_cndmask_b32_e64 v9, v17, v10, s6
	v_cndmask_b32_e64 v13, v18, v14, s6
	;; [unrolled: 1-line block ×3, first 2 shown]
	v_cmp_eq_u32_e64 s4, 4, v70
	v_cndmask_b32_e32 v1, v1, v10, vcc_lo
	v_cndmask_b32_e32 v2, v2, v14, vcc_lo
	v_cmp_eq_u32_e32 vcc_lo, 4, v72
	v_lshrrev_b32_e32 v15, 16, v7
	v_lshrrev_b32_e32 v16, 16, v8
	v_cndmask_b32_e64 v17, v19, v10, s5
	v_cmp_eq_u32_e64 s3, 4, v71
	v_cndmask_b32_e64 v5, v5, v3, s4
	v_cndmask_b32_e64 v6, v6, v7, s4
	v_cndmask_b32_e32 v9, v9, v3, vcc_lo
	v_cmp_eq_u32_e64 s4, 5, v72
	v_cndmask_b32_e32 v10, v13, v7, vcc_lo
	v_cmp_eq_u32_e32 vcc_lo, 4, v69
	v_cmp_eq_u32_e64 s5, 5, v70
	v_cndmask_b32_e64 v2, v2, v7, s3
	v_cndmask_b32_e64 v9, v9, v11, s4
	;; [unrolled: 1-line block ×3, first 2 shown]
	v_cndmask_b32_e32 v13, v17, v3, vcc_lo
	v_cmp_eq_u32_e64 s4, 5, v69
	v_cndmask_b32_e32 v14, v18, v7, vcc_lo
	v_cndmask_b32_e64 v1, v1, v3, s3
	v_cmp_eq_u32_e32 vcc_lo, 5, v71
	v_lshrrev_b32_e32 v12, 16, v4
	v_cndmask_b32_e64 v13, v13, v11, s4
	v_cndmask_b32_e64 v3, v14, v15, s4
	v_cmp_eq_u32_e64 s4, 6, v71
	v_cndmask_b32_e32 v1, v1, v11, vcc_lo
	v_cndmask_b32_e64 v5, v5, v11, s5
	v_cmp_eq_u32_e64 s6, 6, v70
	v_cndmask_b32_e64 v6, v6, v15, s5
	v_cmp_eq_u32_e64 s5, 6, v72
	v_cmp_eq_u32_e64 s3, 6, v69
	v_cndmask_b32_e64 v1, v1, v4, s4
	v_cndmask_b32_e32 v2, v2, v15, vcc_lo
	v_cmp_eq_u32_e32 vcc_lo, 7, v71
	v_cndmask_b32_e64 v5, v5, v4, s6
	v_cndmask_b32_e64 v9, v9, v4, s5
	;; [unrolled: 1-line block ×3, first 2 shown]
	v_cmp_eq_u32_e64 s6, 7, v70
	v_cndmask_b32_e32 v1, v1, v12, vcc_lo
	v_cndmask_b32_e64 v7, v13, v4, s3
	v_cndmask_b32_e64 v3, v3, v8, s3
	;; [unrolled: 1-line block ×3, first 2 shown]
	v_cmp_eq_u32_e64 s3, 7, v69
	v_cndmask_b32_e64 v4, v10, v8, s5
	v_cndmask_b32_e64 v5, v5, v12, s6
	;; [unrolled: 1-line block ×3, first 2 shown]
	v_cndmask_b32_e32 v2, v2, v16, vcc_lo
	v_cndmask_b32_e64 v7, v7, v12, s3
	v_cndmask_b32_e64 v3, v3, v16, s3
	;; [unrolled: 1-line block ×4, first 2 shown]
	v_perm_b32 v4, v2, v1, 0x5040100
	s_mov_b32 s3, exec_lo
	v_perm_b32 v3, v3, v7, 0x5040100
	v_perm_b32 v2, v8, v9, 0x5040100
	v_perm_b32 v1, v6, v5, 0x5040100
	ds_store_b128 v74, v[1:4]
	s_waitcnt lgkmcnt(0)
	s_barrier
	buffer_gl0_inv
	v_cmpx_gt_u32_e32 32, v0
	s_cbranch_execz .LBB1336_2
; %bb.15:
	s_load_b64 s[4:5], s[0:1], 0x68
	v_lshlrev_b32_e32 v0, 10, v0
	v_lshlrev_b32_e32 v1, 4, v67
	s_lshl_b32 s0, s35, 7
	v_add_nc_u32_e32 v7, s31, v66
	s_mul_i32 s1, s0, s34
	s_delay_alu instid0(SALU_CYCLE_1) | instskip(SKIP_1) | instid1(VALU_DEP_2)
	s_mul_i32 s6, s1, s8
	v_and_or_b32 v0, 0x3800, v0, v1
	v_mul_lo_u32 v1, v7, s0
	v_add_nc_u32_e32 v2, 2, v7
	s_ashr_i32 s7, s6, 31
	v_add_nc_u32_e32 v4, 4, v7
	s_lshl_b64 s[6:7], s[6:7], 1
	v_add_nc_u32_e32 v8, 6, v7
	v_mul_lo_u32 v3, v2, s0
	v_lshl_or_b32 v19, v66, 6, v0
	v_ashrrev_i32_e32 v2, 31, v1
	v_mul_lo_u32 v11, v4, s0
	v_mul_lo_u32 v25, v8, s0
	s_waitcnt lgkmcnt(0)
	s_add_u32 s1, s4, s6
	s_addc_u32 s3, s5, s7
	s_lshl_b32 s4, s14, 7
	v_lshlrev_b64 v[5:6], 1, v[1:2]
	s_ashr_i32 s5, s4, 31
	v_ashrrev_i32_e32 v4, 31, v3
	s_lshl_b64 s[4:5], s[4:5], 1
	v_ashrrev_i32_e32 v12, 31, v11
	s_add_u32 s1, s1, s4
	s_addc_u32 s3, s3, s5
	v_add_co_u32 v1, s1, s1, v65
	s_delay_alu instid0(VALU_DEP_1) | instskip(SKIP_1) | instid1(VALU_DEP_3)
	v_add_co_ci_u32_e64 v2, null, s3, 0, s1
	v_lshlrev_b64 v[3:4], 1, v[3:4]
	v_add_co_u32 v23, vcc_lo, v1, v5
	v_add_nc_u32_e32 v5, 8, v7
	s_delay_alu instid0(VALU_DEP_4) | instskip(NEXT) | instid1(VALU_DEP_4)
	v_add_co_ci_u32_e32 v24, vcc_lo, v2, v6, vcc_lo
	v_add_co_u32 v27, vcc_lo, v1, v3
	s_delay_alu instid0(VALU_DEP_3)
	v_mul_lo_u32 v29, v5, s0
	v_add_co_ci_u32_e32 v28, vcc_lo, v2, v4, vcc_lo
	ds_load_b128 v[3:6], v19
	ds_load_b128 v[7:10], v19 offset:128
	v_lshlrev_b64 v[31:32], 1, v[11:12]
	ds_load_b128 v[11:14], v19 offset:256
	ds_load_b128 v[15:18], v19 offset:384
	;; [unrolled: 1-line block ×3, first 2 shown]
	v_ashrrev_i32_e32 v26, 31, v25
	v_ashrrev_i32_e32 v30, 31, v29
	v_add_co_u32 v31, vcc_lo, v1, v31
	s_delay_alu instid0(VALU_DEP_3) | instskip(NEXT) | instid1(VALU_DEP_3)
	v_lshlrev_b64 v[25:26], 1, v[25:26]
	v_lshlrev_b64 v[29:30], 1, v[29:30]
	v_add_co_ci_u32_e32 v32, vcc_lo, v2, v32, vcc_lo
	s_delay_alu instid0(VALU_DEP_3) | instskip(NEXT) | instid1(VALU_DEP_4)
	v_add_co_u32 v25, vcc_lo, v1, v25
	v_add_co_ci_u32_e32 v26, vcc_lo, v2, v26, vcc_lo
	s_delay_alu instid0(VALU_DEP_4)
	v_add_co_u32 v29, vcc_lo, v1, v29
	v_add_co_ci_u32_e32 v30, vcc_lo, v2, v30, vcc_lo
	s_waitcnt lgkmcnt(4)
	global_store_b128 v[23:24], v[3:6], off
	s_waitcnt lgkmcnt(3)
	global_store_b128 v[27:28], v[7:10], off
	;; [unrolled: 2-line block ×5, first 2 shown]
	s_and_b32 exec_lo, exec_lo, s2
	s_cbranch_execz .LBB1336_2
; %bb.16:
	ds_load_b128 v[3:6], v0 offset:640
	s_add_i32 s1, s31, 10
	s_delay_alu instid0(SALU_CYCLE_1) | instskip(NEXT) | instid1(SALU_CYCLE_1)
	s_mul_i32 s0, s1, s0
	s_ashr_i32 s1, s0, 31
	s_delay_alu instid0(SALU_CYCLE_1) | instskip(NEXT) | instid1(SALU_CYCLE_1)
	s_lshl_b64 s[0:1], s[0:1], 1
	v_add_co_u32 v0, vcc_lo, v1, s0
	v_add_co_ci_u32_e32 v1, vcc_lo, s1, v2, vcc_lo
	s_waitcnt lgkmcnt(0)
	global_store_b128 v[0:1], v[3:6], off
	s_nop 0
	s_sendmsg sendmsg(MSG_DEALLOC_VGPRS)
	s_endpgm
	.section	.rodata,"a",@progbits
	.p2align	6, 0x0
	.amdhsa_kernel _Z39paged_attention_ll4mi_QKV_mfma16_kernelIDF16_hLN4vllm18Fp8KVCacheDataTypeE1EDF16_Li32ELi128ELi256ELb0ELi11EL8MFMAType0EEvPKT_PKT0_S8_ifPKiSA_SA_iPKfiiiPfSD_PS3_PT2_iSC_SC_
		.amdhsa_group_segment_fixed_size 17472
		.amdhsa_private_segment_fixed_size 0
		.amdhsa_kernarg_size 400
		.amdhsa_user_sgpr_count 13
		.amdhsa_user_sgpr_dispatch_ptr 0
		.amdhsa_user_sgpr_queue_ptr 0
		.amdhsa_user_sgpr_kernarg_segment_ptr 1
		.amdhsa_user_sgpr_dispatch_id 0
		.amdhsa_user_sgpr_private_segment_size 0
		.amdhsa_wavefront_size32 1
		.amdhsa_uses_dynamic_stack 0
		.amdhsa_enable_private_segment 0
		.amdhsa_system_sgpr_workgroup_id_x 1
		.amdhsa_system_sgpr_workgroup_id_y 1
		.amdhsa_system_sgpr_workgroup_id_z 1
		.amdhsa_system_sgpr_workgroup_info 0
		.amdhsa_system_vgpr_workitem_id 0
		.amdhsa_next_free_vgpr 150
		.amdhsa_next_free_sgpr 37
		.amdhsa_reserve_vcc 1
		.amdhsa_float_round_mode_32 0
		.amdhsa_float_round_mode_16_64 0
		.amdhsa_float_denorm_mode_32 3
		.amdhsa_float_denorm_mode_16_64 3
		.amdhsa_dx10_clamp 1
		.amdhsa_ieee_mode 1
		.amdhsa_fp16_overflow 0
		.amdhsa_workgroup_processor_mode 1
		.amdhsa_memory_ordered 1
		.amdhsa_forward_progress 0
		.amdhsa_shared_vgpr_count 0
		.amdhsa_exception_fp_ieee_invalid_op 0
		.amdhsa_exception_fp_denorm_src 0
		.amdhsa_exception_fp_ieee_div_zero 0
		.amdhsa_exception_fp_ieee_overflow 0
		.amdhsa_exception_fp_ieee_underflow 0
		.amdhsa_exception_fp_ieee_inexact 0
		.amdhsa_exception_int_div_zero 0
	.end_amdhsa_kernel
	.section	.text._Z39paged_attention_ll4mi_QKV_mfma16_kernelIDF16_hLN4vllm18Fp8KVCacheDataTypeE1EDF16_Li32ELi128ELi256ELb0ELi11EL8MFMAType0EEvPKT_PKT0_S8_ifPKiSA_SA_iPKfiiiPfSD_PS3_PT2_iSC_SC_,"axG",@progbits,_Z39paged_attention_ll4mi_QKV_mfma16_kernelIDF16_hLN4vllm18Fp8KVCacheDataTypeE1EDF16_Li32ELi128ELi256ELb0ELi11EL8MFMAType0EEvPKT_PKT0_S8_ifPKiSA_SA_iPKfiiiPfSD_PS3_PT2_iSC_SC_,comdat
.Lfunc_end1336:
	.size	_Z39paged_attention_ll4mi_QKV_mfma16_kernelIDF16_hLN4vllm18Fp8KVCacheDataTypeE1EDF16_Li32ELi128ELi256ELb0ELi11EL8MFMAType0EEvPKT_PKT0_S8_ifPKiSA_SA_iPKfiiiPfSD_PS3_PT2_iSC_SC_, .Lfunc_end1336-_Z39paged_attention_ll4mi_QKV_mfma16_kernelIDF16_hLN4vllm18Fp8KVCacheDataTypeE1EDF16_Li32ELi128ELi256ELb0ELi11EL8MFMAType0EEvPKT_PKT0_S8_ifPKiSA_SA_iPKfiiiPfSD_PS3_PT2_iSC_SC_
                                        ; -- End function
	.section	.AMDGPU.csdata,"",@progbits
; Kernel info:
; codeLenInByte = 6808
; NumSgprs: 39
; NumVgprs: 150
; ScratchSize: 0
; MemoryBound: 0
; FloatMode: 240
; IeeeMode: 1
; LDSByteSize: 17472 bytes/workgroup (compile time only)
; SGPRBlocks: 4
; VGPRBlocks: 18
; NumSGPRsForWavesPerEU: 39
; NumVGPRsForWavesPerEU: 150
; Occupancy: 9
; WaveLimiterHint : 1
; COMPUTE_PGM_RSRC2:SCRATCH_EN: 0
; COMPUTE_PGM_RSRC2:USER_SGPR: 13
; COMPUTE_PGM_RSRC2:TRAP_HANDLER: 0
; COMPUTE_PGM_RSRC2:TGID_X_EN: 1
; COMPUTE_PGM_RSRC2:TGID_Y_EN: 1
; COMPUTE_PGM_RSRC2:TGID_Z_EN: 1
; COMPUTE_PGM_RSRC2:TIDIG_COMP_CNT: 0
	.section	.text._Z39paged_attention_ll4mi_QKV_mfma16_kernelIDF16_hLN4vllm18Fp8KVCacheDataTypeE1EDF16_Li32ELi128ELi256ELb0ELi12EL8MFMAType0EEvPKT_PKT0_S8_ifPKiSA_SA_iPKfiiiPfSD_PS3_PT2_iSC_SC_,"axG",@progbits,_Z39paged_attention_ll4mi_QKV_mfma16_kernelIDF16_hLN4vllm18Fp8KVCacheDataTypeE1EDF16_Li32ELi128ELi256ELb0ELi12EL8MFMAType0EEvPKT_PKT0_S8_ifPKiSA_SA_iPKfiiiPfSD_PS3_PT2_iSC_SC_,comdat
	.protected	_Z39paged_attention_ll4mi_QKV_mfma16_kernelIDF16_hLN4vllm18Fp8KVCacheDataTypeE1EDF16_Li32ELi128ELi256ELb0ELi12EL8MFMAType0EEvPKT_PKT0_S8_ifPKiSA_SA_iPKfiiiPfSD_PS3_PT2_iSC_SC_ ; -- Begin function _Z39paged_attention_ll4mi_QKV_mfma16_kernelIDF16_hLN4vllm18Fp8KVCacheDataTypeE1EDF16_Li32ELi128ELi256ELb0ELi12EL8MFMAType0EEvPKT_PKT0_S8_ifPKiSA_SA_iPKfiiiPfSD_PS3_PT2_iSC_SC_
	.globl	_Z39paged_attention_ll4mi_QKV_mfma16_kernelIDF16_hLN4vllm18Fp8KVCacheDataTypeE1EDF16_Li32ELi128ELi256ELb0ELi12EL8MFMAType0EEvPKT_PKT0_S8_ifPKiSA_SA_iPKfiiiPfSD_PS3_PT2_iSC_SC_
	.p2align	8
	.type	_Z39paged_attention_ll4mi_QKV_mfma16_kernelIDF16_hLN4vllm18Fp8KVCacheDataTypeE1EDF16_Li32ELi128ELi256ELb0ELi12EL8MFMAType0EEvPKT_PKT0_S8_ifPKiSA_SA_iPKfiiiPfSD_PS3_PT2_iSC_SC_,@function
_Z39paged_attention_ll4mi_QKV_mfma16_kernelIDF16_hLN4vllm18Fp8KVCacheDataTypeE1EDF16_Li32ELi128ELi256ELb0ELi12EL8MFMAType0EEvPKT_PKT0_S8_ifPKiSA_SA_iPKfiiiPfSD_PS3_PT2_iSC_SC_: ; @_Z39paged_attention_ll4mi_QKV_mfma16_kernelIDF16_hLN4vllm18Fp8KVCacheDataTypeE1EDF16_Li32ELi128ELi256ELb0ELi12EL8MFMAType0EEvPKT_PKT0_S8_ifPKiSA_SA_iPKfiiiPfSD_PS3_PT2_iSC_SC_
; %bb.0:
	s_load_b64 s[4:5], s[0:1], 0x30
	s_mov_b32 s30, s13
	s_waitcnt lgkmcnt(0)
	s_cmp_lg_u64 s[4:5], 0
	s_cselect_b32 s8, -1, 0
	s_ashr_i32 s31, s13, 31
	s_cmp_eq_u64 s[4:5], 0
	s_cbranch_scc1 .LBB1337_3
; %bb.1:
	s_lshl_b64 s[2:3], s[30:31], 2
	s_delay_alu instid0(SALU_CYCLE_1) | instskip(SKIP_4) | instid1(SALU_CYCLE_1)
	s_add_u32 s2, s4, s2
	s_addc_u32 s3, s5, s3
	s_load_b64 s[2:3], s[2:3], 0x0
	s_waitcnt lgkmcnt(0)
	s_sub_i32 s2, s3, s2
	s_cmp_eq_u32 s2, 1
	s_cselect_b32 s2, -1, 0
	s_delay_alu instid0(SALU_CYCLE_1)
	s_and_not1_b32 vcc_lo, exec_lo, s2
	s_cbranch_vccz .LBB1337_4
.LBB1337_2:
	s_endpgm
.LBB1337_3:
.LBB1337_4:
	s_load_b64 s[2:3], s[0:1], 0x28
	s_lshl_b64 s[6:7], s[30:31], 2
	s_waitcnt lgkmcnt(0)
	s_add_u32 s2, s2, s6
	s_addc_u32 s3, s3, s7
	s_lshl_b32 s12, s14, 8
	s_load_b32 s24, s[2:3], 0x0
	s_waitcnt lgkmcnt(0)
	s_cmp_ge_i32 s12, s24
	s_cbranch_scc1 .LBB1337_2
; %bb.5:
	s_clause 0x1
	s_load_b128 s[20:23], s[0:1], 0x8
	s_load_b64 s[2:3], s[0:1], 0x20
	s_and_not1_b32 vcc_lo, exec_lo, s8
	s_cbranch_vccnz .LBB1337_7
; %bb.6:
	s_add_u32 s4, s4, s6
	s_addc_u32 s5, s5, s7
	s_load_b32 s5, s[4:5], 0x0
	s_branch .LBB1337_8
.LBB1337_7:
	s_mov_b32 s5, s30
.LBB1337_8:
	s_load_b128 s[16:19], s[0:1], 0x48
	v_and_b32_e32 v68, 15, v0
	v_lshrrev_b32_e32 v69, 5, v0
	v_and_b32_e32 v70, 31, v0
	v_and_b32_e32 v67, 1, v0
	v_bfe_u32 v66, v0, 4, 1
	v_lshlrev_b32_e32 v1, 3, v68
	s_mul_i32 s31, s15, 12
	s_mov_b32 s4, exec_lo
	s_delay_alu instid0(VALU_DEP_1)
	v_lshlrev_b32_e32 v65, 1, v1
	v_cmpx_gt_u32_e32 0xc0, v0
	s_cbranch_execz .LBB1337_10
; %bb.9:
	s_load_b64 s[6:7], s[0:1], 0x0
	v_lshl_or_b32 v5, v69, 1, v66
	s_waitcnt lgkmcnt(0)
	s_mul_hi_i32 s9, s5, s16
	s_mul_i32 s8, s5, s16
	v_lshlrev_b32_e32 v6, 10, v68
	s_lshl_b64 s[8:9], s[8:9], 1
	v_add_lshl_u32 v1, v5, s31, 7
	v_lshlrev_b32_e32 v5, 6, v5
	v_lshlrev_b32_e32 v7, 10, v67
	v_and_b32_e32 v6, 0x3800, v6
	s_delay_alu instid0(VALU_DEP_4) | instskip(NEXT) | instid1(VALU_DEP_2)
	v_ashrrev_i32_e32 v2, 31, v1
	v_or3_b32 v5, v6, v7, v5
	s_delay_alu instid0(VALU_DEP_2) | instskip(SKIP_2) | instid1(VALU_DEP_1)
	v_lshlrev_b64 v[1:2], 1, v[1:2]
	s_add_u32 s5, s6, s8
	s_addc_u32 s6, s7, s9
	v_add_co_u32 v1, vcc_lo, s5, v1
	s_delay_alu instid0(VALU_DEP_2) | instskip(NEXT) | instid1(VALU_DEP_2)
	v_add_co_ci_u32_e32 v2, vcc_lo, s6, v2, vcc_lo
	v_add_co_u32 v1, vcc_lo, v1, v65
	s_delay_alu instid0(VALU_DEP_2)
	v_add_co_ci_u32_e32 v2, vcc_lo, 0, v2, vcc_lo
	global_load_b128 v[1:4], v[1:2], off
	s_waitcnt vmcnt(0)
	ds_store_b128 v5, v[1:4]
.LBB1337_10:
	s_or_b32 exec_lo, exec_lo, s4
	v_and_b32_e32 v1, 0xef, v0
	s_waitcnt lgkmcnt(0)
	s_add_i32 s5, s24, 31
	s_clause 0x1
	s_load_b32 s4, s[0:1], 0x38
	s_load_b32 s33, s[0:1], 0x98
	s_ashr_i32 s6, s5, 31
	v_add_nc_u32_e32 v1, s12, v1
	s_lshr_b32 s6, s6, 27
	s_load_b32 s19, s[0:1], 0x1c
	s_add_i32 s5, s5, s6
	s_waitcnt lgkmcnt(0)
	v_ashrrev_i32_e32 v2, 31, v1
	v_or_b32_e32 v3, 16, v1
	s_ashr_i32 s13, s5, 5
	v_cmp_gt_i32_e32 vcc_lo, s24, v1
	s_add_i32 s13, s13, -1
	v_lshrrev_b32_e32 v2, 27, v2
	s_barrier
	buffer_gl0_inv
	s_mul_i32 s15, s15, s18
	v_add_nc_u32_e32 v4, v1, v2
	s_mul_i32 s4, s30, s4
	s_delay_alu instid0(SALU_CYCLE_1) | instskip(NEXT) | instid1(VALU_DEP_1)
	s_ashr_i32 s5, s4, 31
	v_ashrrev_i32_e32 v4, 5, v4
	v_add_nc_u32_e32 v2, v3, v2
	s_lshl_b64 s[4:5], s[4:5], 2
	s_delay_alu instid0(SALU_CYCLE_1) | instskip(NEXT) | instid1(VALU_DEP_2)
	s_add_u32 s16, s2, s4
	v_cndmask_b32_e32 v1, s13, v4, vcc_lo
	s_delay_alu instid0(VALU_DEP_2)
	v_ashrrev_i32_e32 v2, 5, v2
	v_cmp_gt_i32_e32 vcc_lo, s24, v3
	s_addc_u32 s25, s3, s5
	s_ashr_i32 s18, s15, 31
	s_add_u32 s2, s20, s15
	s_addc_u32 s3, s21, s18
	v_cndmask_b32_e32 v3, s13, v2, vcc_lo
	v_ashrrev_i32_e32 v2, 31, v1
	s_lshl_b32 s4, s14, 3
	s_delay_alu instid0(SALU_CYCLE_1) | instskip(NEXT) | instid1(VALU_DEP_2)
	s_ashr_i32 s5, s4, 31
	v_ashrrev_i32_e32 v4, 31, v3
	s_delay_alu instid0(VALU_DEP_2) | instskip(SKIP_1) | instid1(SALU_CYCLE_1)
	v_lshlrev_b64 v[1:2], 2, v[1:2]
	s_lshl_b64 s[4:5], s[4:5], 2
	s_add_u32 s4, s16, s4
	s_delay_alu instid0(VALU_DEP_2) | instskip(SKIP_1) | instid1(VALU_DEP_2)
	v_lshlrev_b64 v[3:4], 2, v[3:4]
	s_addc_u32 s5, s25, s5
	v_add_co_u32 v1, vcc_lo, s16, v1
	v_add_co_ci_u32_e32 v2, vcc_lo, s25, v2, vcc_lo
	s_delay_alu instid0(VALU_DEP_3) | instskip(NEXT) | instid1(VALU_DEP_4)
	v_add_co_u32 v3, vcc_lo, s16, v3
	v_add_co_ci_u32_e32 v4, vcc_lo, s25, v4, vcc_lo
	s_clause 0x1
	global_load_b32 v5, v[1:2], off
	global_load_b32 v6, v[3:4], off
	s_or_b32 s6, s12, 32
	s_delay_alu instid0(SALU_CYCLE_1) | instskip(SKIP_2) | instid1(SALU_CYCLE_1)
	s_ashr_i32 s7, s6, 5
	s_cmp_lt_i32 s6, s24
	s_cselect_b32 s6, s7, s13
	s_ashr_i32 s7, s6, 31
	s_delay_alu instid0(SALU_CYCLE_1) | instskip(NEXT) | instid1(SALU_CYCLE_1)
	s_lshl_b64 s[6:7], s[6:7], 2
	s_add_u32 s6, s16, s6
	s_addc_u32 s7, s25, s7
	s_or_b32 s8, s12, 64
	s_delay_alu instid0(SALU_CYCLE_1) | instskip(SKIP_2) | instid1(SALU_CYCLE_1)
	s_ashr_i32 s9, s8, 5
	s_cmp_lt_i32 s8, s24
	s_cselect_b32 s8, s9, s13
	s_ashr_i32 s9, s8, 31
	s_delay_alu instid0(SALU_CYCLE_1) | instskip(NEXT) | instid1(SALU_CYCLE_1)
	s_lshl_b64 s[8:9], s[8:9], 2
	s_add_u32 s8, s16, s8
	s_addc_u32 s9, s25, s9
	s_or_b32 s10, s12, 0x60
	s_delay_alu instid0(SALU_CYCLE_1) | instskip(SKIP_2) | instid1(SALU_CYCLE_1)
	s_ashr_i32 s11, s10, 5
	s_cmp_lt_i32 s10, s24
	s_cselect_b32 s10, s11, s13
	s_ashr_i32 s11, s10, 31
	s_delay_alu instid0(SALU_CYCLE_1) | instskip(NEXT) | instid1(SALU_CYCLE_1)
	s_lshl_b64 s[10:11], s[10:11], 2
	s_add_u32 s10, s16, s10
	s_addc_u32 s11, s25, s11
	s_or_b32 s20, s12, 0x80
	s_delay_alu instid0(SALU_CYCLE_1) | instskip(SKIP_2) | instid1(SALU_CYCLE_1)
	s_ashr_i32 s21, s20, 5
	s_cmp_lt_i32 s20, s24
	s_cselect_b32 s20, s21, s13
	s_ashr_i32 s21, s20, 31
	s_delay_alu instid0(SALU_CYCLE_1) | instskip(NEXT) | instid1(SALU_CYCLE_1)
	s_lshl_b64 s[20:21], s[20:21], 2
	s_add_u32 s20, s16, s20
	s_addc_u32 s21, s25, s21
	s_or_b32 s26, s12, 0xa0
	s_delay_alu instid0(SALU_CYCLE_1) | instskip(SKIP_2) | instid1(SALU_CYCLE_1)
	s_ashr_i32 s27, s26, 5
	s_cmp_lt_i32 s26, s24
	s_cselect_b32 s26, s27, s13
	s_ashr_i32 s27, s26, 31
	s_delay_alu instid0(SALU_CYCLE_1) | instskip(NEXT) | instid1(SALU_CYCLE_1)
	s_lshl_b64 s[26:27], s[26:27], 2
	s_add_u32 s26, s16, s26
	s_addc_u32 s27, s25, s27
	s_clause 0x5
	s_load_b32 s28, s[4:5], 0x0
	s_load_b32 s29, s[6:7], 0x0
	;; [unrolled: 1-line block ×6, first 2 shown]
	s_mov_b32 s4, 0
	s_delay_alu instid0(SALU_CYCLE_1)
	s_mov_b32 s5, s4
	s_mov_b32 s6, s4
	;; [unrolled: 1-line block ×7, first 2 shown]
	s_delay_alu instid0(SALU_CYCLE_1)
	v_dual_mov_b32 v118, s11 :: v_dual_mov_b32 v117, s10
	v_dual_mov_b32 v116, s9 :: v_dual_mov_b32 v115, s8
	v_mov_b32_e32 v113, s6
	v_dual_mov_b32 v111, s4 :: v_dual_mov_b32 v114, s7
	v_mov_b32_e32 v112, s5
	s_waitcnt vmcnt(1)
	v_mad_i64_i32 v[1:2], null, v5, s17, s[2:3]
	v_lshlrev_b32_e32 v5, 4, v68
	s_waitcnt vmcnt(0)
	v_mad_i64_i32 v[3:4], null, v6, s17, s[2:3]
	s_or_b32 s2, s12, 0xc0
	s_delay_alu instid0(SALU_CYCLE_1) | instskip(NEXT) | instid1(VALU_DEP_3)
	s_ashr_i32 s3, s2, 5
	v_add_co_u32 v1, vcc_lo, v1, v5
	s_delay_alu instid0(VALU_DEP_4) | instskip(NEXT) | instid1(VALU_DEP_3)
	v_add_co_ci_u32_e32 v2, vcc_lo, 0, v2, vcc_lo
	v_add_co_u32 v3, vcc_lo, v3, v5
	s_delay_alu instid0(VALU_DEP_4)
	v_add_co_ci_u32_e32 v4, vcc_lo, 0, v4, vcc_lo
	s_clause 0xf
	global_load_b128 v[17:20], v[1:2], off
	global_load_b128 v[21:24], v[1:2], off offset:512
	global_load_b128 v[25:28], v[3:4], off offset:256
	;; [unrolled: 1-line block ×15, first 2 shown]
	s_cmp_lt_i32 s2, s24
	v_add_nc_u32_e32 v1, -12, v68
	s_cselect_b32 s2, s3, s13
	v_cmp_gt_u32_e32 vcc_lo, 12, v68
	s_ashr_i32 s3, s2, 31
	v_lshlrev_b32_e32 v2, 5, v68
	s_lshl_b64 s[2:3], s[2:3], 2
	s_delay_alu instid0(SALU_CYCLE_1)
	s_add_u32 s2, s16, s2
	s_addc_u32 s3, s25, s3
	s_or_b32 s20, s12, 0xe0
	v_cndmask_b32_e32 v1, v1, v68, vcc_lo
	s_ashr_i32 s21, s20, 5
	s_cmp_lt_i32 s20, s24
	s_cselect_b32 s20, s21, s13
	s_delay_alu instid0(VALU_DEP_1)
	v_lshlrev_b32_e32 v149, 6, v1
	s_ashr_i32 s21, s20, 31
	v_lshl_or_b32 v1, v69, 9, v2
	s_lshl_b64 s[4:5], s[20:21], 2
	ds_load_b128 v[119:122], v149
	ds_load_b128 v[123:126], v149 offset:1024
	s_add_u32 s4, s16, s4
	s_addc_u32 s5, s25, s5
	ds_load_b128 v[127:130], v149 offset:2048
	ds_load_b128 v[131:134], v149 offset:3072
	s_clause 0x1
	s_load_b32 s2, s[2:3], 0x0
	s_load_b32 s3, s[4:5], 0x0
	s_add_u32 s6, s22, s15
	s_addc_u32 s7, s23, s18
	v_add_co_u32 v135, s6, s6, v1
	s_delay_alu instid0(VALU_DEP_1) | instskip(SKIP_1) | instid1(VALU_DEP_1)
	v_add_co_ci_u32_e64 v136, null, s7, 0, s6
	s_waitcnt lgkmcnt(0)
	v_mad_i64_i32 v[1:2], null, s28, s17, v[135:136]
	v_mad_i64_i32 v[3:4], null, s29, s17, v[135:136]
	;; [unrolled: 1-line block ×6, first 2 shown]
	s_clause 0x9
	global_load_b128 v[49:52], v[1:2], off
	global_load_b128 v[53:56], v[1:2], off offset:16
	global_load_b128 v[41:44], v[3:4], off
	global_load_b128 v[45:48], v[3:4], off offset:16
	;; [unrolled: 2-line block ×5, first 2 shown]
	v_mad_i64_i32 v[145:146], null, s2, s17, v[135:136]
	v_mad_i64_i32 v[147:148], null, s3, s17, v[135:136]
	s_waitcnt vmcnt(24)
	v_wmma_f32_16x16x16_f16 v[135:142], v[17:24], v[119:126], v[111:118]
	s_waitcnt vmcnt(22)
	v_wmma_f32_16x16x16_f16 v[111:118], v[25:32], v[119:126], v[111:118]
	s_clause 0x3
	global_load_b128 v[17:20], v[143:144], off
	global_load_b128 v[21:24], v[143:144], off offset:16
	global_load_b128 v[25:28], v[145:146], off
	global_load_b128 v[29:32], v[145:146], off offset:16
	v_and_b32_e32 v119, 0xe0, v0
	s_waitcnt vmcnt(24)
	v_wmma_f32_16x16x16_f16 v[135:142], v[57:64], v[127:134], v[135:142]
	s_clause 0x1
	global_load_b128 v[57:60], v[147:148], off
	global_load_b128 v[61:64], v[147:148], off offset:16
	s_waitcnt vmcnt(24)
	v_wmma_f32_16x16x16_f16 v[111:118], v[71:78], v[127:134], v[111:118]
	ds_load_b128 v[71:74], v149 offset:4096
	ds_load_b128 v[75:78], v149 offset:5120
	v_add_nc_u32_e32 v128, s12, v119
	ds_load_b128 v[119:122], v149 offset:6144
	ds_load_b128 v[123:126], v149 offset:7168
	v_mbcnt_lo_u32_b32 v127, -1, 0
	s_waitcnt vmcnt(0) lgkmcnt(0)
	s_barrier
	v_or_b32_e32 v128, v128, v66
	buffer_gl0_inv
	v_xor_b32_e32 v129, 16, v127
	v_or_b32_e32 v130, 4, v128
	v_or_b32_e32 v131, 6, v128
	s_delay_alu instid0(VALU_DEP_3) | instskip(SKIP_4) | instid1(VALU_DEP_4)
	v_cmp_gt_i32_e32 vcc_lo, 32, v129
	v_or_b32_e32 v132, 8, v128
	v_or_b32_e32 v133, 10, v128
	v_cmp_gt_i32_e64 s3, s24, v130
	v_cmp_gt_i32_e64 s4, s24, v131
	;; [unrolled: 1-line block ×3, first 2 shown]
	v_wmma_f32_16x16x16_f16 v[135:142], v[79:86], v[71:78], v[135:142]
	v_wmma_f32_16x16x16_f16 v[111:118], v[87:94], v[71:78], v[111:118]
	v_or_b32_e32 v79, 12, v128
	v_or_b32_e32 v80, 14, v128
	v_cmp_gt_i32_e64 s6, s24, v133
	v_wmma_f32_16x16x16_f16 v[135:142], v[95:102], v[119:126], v[135:142]
	v_wmma_f32_16x16x16_f16 v[111:118], v[103:110], v[119:126], v[111:118]
	v_cndmask_b32_e32 v127, v127, v129, vcc_lo
	v_or_b32_e32 v129, 2, v128
	v_cmp_gt_i32_e32 vcc_lo, s24, v128
	s_delay_alu instid0(VALU_DEP_4) | instskip(SKIP_1) | instid1(VALU_DEP_4)
	v_dual_mul_f32 v87, s19, v136 :: v_dual_mul_f32 v94, s19, v113
	v_mul_f32_e32 v88, s19, v135
	v_cmp_gt_i32_e64 s2, s24, v129
	v_mul_f32_e32 v78, s19, v138
	v_mul_f32_e32 v86, s19, v137
	;; [unrolled: 1-line block ×3, first 2 shown]
	v_cndmask_b32_e32 v88, 0xff7fffff, v88, vcc_lo
	v_cndmask_b32_e64 v87, 0xff7fffff, v87, s2
	v_dual_mul_f32 v77, s19, v139 :: v_dual_mul_f32 v90, s19, v117
	v_cndmask_b32_e64 v86, 0xff7fffff, v86, s3
	v_cndmask_b32_e64 v78, 0xff7fffff, v78, s4
	s_delay_alu instid0(VALU_DEP_4)
	v_max3_f32 v87, v88, 0xff7fffff, v87
	v_or_b32_e32 v81, 16, v128
	v_or_b32_e32 v82, 18, v128
	v_dual_mul_f32 v74, s19, v142 :: v_dual_mul_f32 v75, s19, v141
	v_mul_f32_e32 v96, s19, v111
	v_cndmask_b32_e64 v77, 0xff7fffff, v77, s5
	v_cndmask_b32_e64 v76, 0xff7fffff, v76, s6
	v_max3_f32 v78, v87, v86, v78
	v_cmp_gt_i32_e64 s7, s24, v79
	v_cmp_gt_i32_e64 s8, s24, v80
	v_or_b32_e32 v83, 20, v128
	v_or_b32_e32 v84, 22, v128
	v_mul_f32_e32 v95, s19, v112
	v_cndmask_b32_e64 v75, 0xff7fffff, v75, s7
	v_cndmask_b32_e64 v74, 0xff7fffff, v74, s8
	v_max3_f32 v76, v78, v77, v76
	v_cmp_gt_i32_e64 s9, s24, v81
	v_cmp_gt_i32_e64 s10, s24, v82
	v_or_b32_e32 v85, 24, v128
	v_or_b32_e32 v71, 26, v128
	;; [unrolled: 8-line block ×3, first 2 shown]
	v_dual_mul_f32 v91, s19, v116 :: v_dual_mul_f32 v92, s19, v115
	v_cndmask_b32_e64 v75, 0xff7fffff, v94, s11
	v_cndmask_b32_e64 v76, 0xff7fffff, v93, s12
	v_max3_f32 v74, v74, v77, v78
	v_cmp_gt_i32_e64 s13, s24, v85
	v_cmp_gt_i32_e64 s15, s24, v71
	v_mul_f32_e32 v89, s19, v118
	v_cmp_gt_i32_e64 s16, s24, v72
	v_max3_f32 v74, v74, v75, v76
	v_cndmask_b32_e64 v77, 0xff7fffff, v92, s13
	v_cndmask_b32_e64 v71, 0xff7fffff, v91, s15
	v_cmp_gt_i32_e64 s17, s24, v73
	v_cndmask_b32_e64 v72, 0xff7fffff, v90, s16
	s_delay_alu instid0(VALU_DEP_3) | instskip(SKIP_1) | instid1(VALU_DEP_4)
	v_max3_f32 v71, v74, v77, v71
	v_lshlrev_b32_e32 v74, 2, v127
	v_cndmask_b32_e64 v73, 0xff7fffff, v89, s17
	s_delay_alu instid0(VALU_DEP_1) | instskip(SKIP_3) | instid1(VALU_DEP_1)
	v_max3_f32 v71, v71, v72, v73
	ds_bpermute_b32 v72, v74, v71
	s_waitcnt lgkmcnt(0)
	v_max_f32_e32 v72, v72, v72
	v_max_f32_e32 v71, v71, v72
	s_delay_alu instid0(VALU_DEP_1) | instskip(SKIP_4) | instid1(VALU_DEP_4)
	v_fma_f32 v72, s19, v135, -v71
	v_fma_f32 v73, s19, v136, -v71
	;; [unrolled: 1-line block ×5, first 2 shown]
	v_dual_mul_f32 v72, 0x3fb8aa3b, v72 :: v_dual_mul_f32 v73, 0x3fb8aa3b, v73
	s_delay_alu instid0(VALU_DEP_3) | instskip(SKIP_1) | instid1(VALU_DEP_3)
	v_dual_mul_f32 v75, 0x3fb8aa3b, v75 :: v_dual_mul_f32 v76, 0x3fb8aa3b, v76
	v_fma_f32 v80, s19, v141, -v71
	v_exp_f32_e32 v72, v72
	s_delay_alu instid0(VALU_DEP_3) | instskip(NEXT) | instid1(VALU_DEP_2)
	v_exp_f32_e32 v73, v73
	v_exp_f32_e32 v75, v75
	;; [unrolled: 1-line block ×3, first 2 shown]
	v_mul_f32_e32 v82, 0x3fb8aa3b, v80
	s_delay_alu instid0(VALU_DEP_1) | instskip(SKIP_4) | instid1(TRANS32_DEP_3)
	v_exp_f32_e32 v84, v82
	v_cndmask_b32_e32 v79, 0, v72, vcc_lo
	v_fma_f32 v72, s19, v140, -v71
	v_mul_f32_e32 v77, 0x3fb8aa3b, v77
	v_cndmask_b32_e64 v78, 0, v73, s2
	v_cndmask_b32_e64 v81, 0, v75, s3
	s_delay_alu instid0(VALU_DEP_4) | instskip(NEXT) | instid1(VALU_DEP_4)
	v_dual_add_f32 v73, 0, v79 :: v_dual_mul_f32 v72, 0x3fb8aa3b, v72
	v_exp_f32_e32 v77, v77
	v_cndmask_b32_e64 v80, 0, v76, s4
	s_delay_alu instid0(TRANS32_DEP_2) | instskip(NEXT) | instid1(VALU_DEP_3)
	v_cndmask_b32_e64 v85, 0, v84, s7
	v_add_f32_e32 v73, v73, v78
	v_exp_f32_e32 v72, v72
	s_mov_b32 s2, exec_lo
	s_delay_alu instid0(VALU_DEP_1) | instskip(SKIP_4) | instid1(VALU_DEP_2)
	v_add_f32_e32 v73, v73, v81
	s_waitcnt_depctr 0xfff
	v_cndmask_b32_e64 v83, 0, v77, s5
	v_add_f32_e32 v73, v73, v80
	v_cndmask_b32_e64 v82, 0, v72, s6
	v_add_f32_e32 v72, v73, v83
	s_delay_alu instid0(VALU_DEP_1) | instskip(NEXT) | instid1(VALU_DEP_1)
	v_add_f32_e32 v72, v72, v82
	v_add_f32_e32 v72, v72, v85
	v_fma_f32 v76, s19, v111, -v71
	v_fma_f32 v75, s19, v142, -v71
	;; [unrolled: 1-line block ×5, first 2 shown]
	s_delay_alu instid0(VALU_DEP_4) | instskip(NEXT) | instid1(VALU_DEP_3)
	v_dual_mul_f32 v76, 0x3fb8aa3b, v76 :: v_dual_mul_f32 v75, 0x3fb8aa3b, v75
	v_mul_f32_e32 v86, 0x3fb8aa3b, v86
	s_delay_alu instid0(VALU_DEP_2) | instskip(NEXT) | instid1(VALU_DEP_2)
	v_exp_f32_e32 v76, v76
	v_exp_f32_e32 v75, v75
	s_delay_alu instid0(VALU_DEP_1) | instskip(NEXT) | instid1(TRANS32_DEP_3)
	v_exp_f32_e32 v88, v86
	v_cndmask_b32_e64 v87, 0, v76, s9
	v_fma_f32 v76, s19, v116, -v71
	v_mul_f32_e32 v77, 0x3fb8aa3b, v77
	s_waitcnt_depctr 0xfff
	v_cndmask_b32_e64 v84, 0, v75, s8
	v_fma_f32 v75, s19, v115, -v71
	v_cndmask_b32_e64 v88, 0, v88, s12
	v_mul_f32_e32 v76, 0x3fb8aa3b, v76
	v_exp_f32_e32 v77, v77
	v_add_f32_e32 v72, v72, v84
	s_delay_alu instid0(VALU_DEP_2) | instskip(NEXT) | instid1(VALU_DEP_1)
	v_exp_f32_e32 v76, v76
	v_add_f32_e32 v72, v72, v87
	s_waitcnt_depctr 0xfff
	v_cndmask_b32_e64 v86, 0, v77, s10
	v_mul_f32_e32 v73, 0x3fb8aa3b, v73
	v_fma_f32 v77, s19, v117, -v71
	v_cndmask_b32_e64 v90, 0, v76, s15
	s_delay_alu instid0(VALU_DEP_4) | instskip(NEXT) | instid1(VALU_DEP_4)
	v_add_f32_e32 v72, v72, v86
	v_exp_f32_e32 v73, v73
	s_waitcnt_depctr 0xfff
	v_cndmask_b32_e64 v89, 0, v73, s11
	s_delay_alu instid0(VALU_DEP_1) | instskip(NEXT) | instid1(VALU_DEP_1)
	v_dual_mul_f32 v75, 0x3fb8aa3b, v75 :: v_dual_add_f32 v72, v72, v89
	v_exp_f32_e32 v75, v75
	v_mul_f32_e32 v73, 0x3fb8aa3b, v77
	v_fma_f32 v77, s19, v118, -v71
	s_delay_alu instid0(VALU_DEP_3) | instskip(NEXT) | instid1(VALU_DEP_3)
	v_add_f32_e32 v72, v72, v88
	v_exp_f32_e32 v73, v73
	s_waitcnt_depctr 0xfff
	v_cndmask_b32_e64 v91, 0, v75, s13
	s_delay_alu instid0(VALU_DEP_1) | instskip(NEXT) | instid1(VALU_DEP_1)
	v_dual_mul_f32 v75, 0x3fb8aa3b, v77 :: v_dual_add_f32 v72, v72, v91
	v_exp_f32_e32 v75, v75
	v_cndmask_b32_e64 v93, 0, v73, s16
	s_delay_alu instid0(VALU_DEP_2) | instskip(NEXT) | instid1(VALU_DEP_1)
	v_add_f32_e32 v72, v72, v90
	v_add_f32_e32 v72, v72, v93
	s_waitcnt_depctr 0xfff
	v_cndmask_b32_e64 v92, 0, v75, s17
	s_delay_alu instid0(VALU_DEP_1)
	v_add_f32_e32 v72, v72, v92
	ds_bpermute_b32 v73, v74, v72
	v_cmpx_gt_u32_e32 16, v70
	s_cbranch_execz .LBB1337_12
; %bb.11:
	v_mul_u32_u24_e32 v70, 0x44, v69
	s_waitcnt lgkmcnt(0)
	v_add_f32_e32 v72, v72, v73
	s_delay_alu instid0(VALU_DEP_2) | instskip(NEXT) | instid1(VALU_DEP_1)
	v_lshl_add_u32 v70, v68, 2, v70
	v_add_nc_u32_e32 v70, 0x4000, v70
	ds_store_2addr_b32 v70, v71, v72 offset1:136
.LBB1337_12:
	s_or_b32 exec_lo, exec_lo, s2
	v_lshlrev_b32_e32 v70, 2, v68
	s_load_b32 s34, s[0:1], 0x94
	s_waitcnt lgkmcnt(0)
	s_barrier
	buffer_gl0_inv
	v_add_nc_u32_e32 v98, 0x4000, v70
	v_cmp_eq_u32_e32 vcc_lo, 1, v69
	v_cmp_eq_u32_e64 s2, 2, v69
	v_cmp_eq_u32_e64 s3, 3, v69
	;; [unrolled: 1-line block ×3, first 2 shown]
	ds_load_2addr_b32 v[70:71], v98 offset1:17
	ds_load_2addr_b32 v[72:73], v98 offset0:34 offset1:51
	ds_load_2addr_b32 v[74:75], v98 offset0:68 offset1:85
	;; [unrolled: 1-line block ×3, first 2 shown]
	v_cmp_eq_u32_e64 s5, 5, v69
	v_cmp_eq_u32_e64 s6, 7, v69
	s_waitcnt lgkmcnt(3)
	v_max3_f32 v76, v70, 0xff7fffff, v71
	s_waitcnt lgkmcnt(2)
	s_delay_alu instid0(VALU_DEP_1) | instskip(SKIP_1) | instid1(VALU_DEP_1)
	v_max3_f32 v76, v76, v72, v73
	s_waitcnt lgkmcnt(1)
	v_max3_f32 v76, v76, v74, v75
	s_waitcnt lgkmcnt(0)
	s_delay_alu instid0(VALU_DEP_1) | instskip(NEXT) | instid1(VALU_DEP_1)
	v_max3_f32 v76, v76, v94, v95
	v_sub_f32_e32 v77, v71, v76
	ds_load_2addr_b32 v[96:97], v98 offset0:136 offset1:153
	v_sub_f32_e32 v74, v74, v76
	v_sub_f32_e32 v70, v70, v76
	;; [unrolled: 1-line block ×3, first 2 shown]
	v_dual_sub_f32 v72, v72, v76 :: v_dual_mul_f32 v77, 0x3fb8aa3b, v77
	s_delay_alu instid0(VALU_DEP_4) | instskip(NEXT) | instid1(VALU_DEP_4)
	v_mul_f32_e32 v103, 0x3fb8aa3b, v74
	v_mul_f32_e32 v99, 0x3fb8aa3b, v70
	ds_load_2addr_b32 v[70:71], v98 offset0:170 offset1:187
	v_dual_mul_f32 v101, 0x3fb8aa3b, v72 :: v_dual_mul_f32 v94, 0x3fb8aa3b, v94
	v_exp_f32_e32 v102, v77
	v_exp_f32_e32 v99, v99
	s_delay_alu instid0(VALU_DEP_1) | instskip(NEXT) | instid1(VALU_DEP_1)
	v_exp_f32_e32 v101, v101
	v_exp_f32_e32 v94, v94
	s_waitcnt lgkmcnt(1)
	s_delay_alu instid0(TRANS32_DEP_3)
	v_fma_f32 v77, v99, v96, 0
	v_sub_f32_e32 v100, v73, v76
	ds_load_2addr_b32 v[72:73], v98 offset0:204 offset1:221
	v_fmac_f32_e32 v77, v102, v97
	v_exp_f32_e32 v97, v103
	s_waitcnt lgkmcnt(1)
	s_delay_alu instid0(VALU_DEP_1)
	v_dual_fmac_f32 v77, v101, v70 :: v_dual_sub_f32 v96, v75, v76
	ds_load_2addr_b32 v[74:75], v98 offset0:238 offset1:255
	v_sub_f32_e32 v70, v95, v76
	s_waitcnt lgkmcnt(0)
	s_barrier
	v_mul_f32_e32 v96, 0x3fb8aa3b, v96
	buffer_gl0_inv
	v_exp_f32_e32 v95, v96
	v_mul_f32_e32 v100, 0x3fb8aa3b, v100
	s_delay_alu instid0(VALU_DEP_1) | instskip(SKIP_3) | instid1(VALU_DEP_2)
	v_exp_f32_e32 v100, v100
	s_waitcnt_depctr 0xfff
	v_dual_fmac_f32 v77, v100, v71 :: v_dual_mul_f32 v70, 0x3fb8aa3b, v70
	v_cndmask_b32_e32 v71, v99, v102, vcc_lo
	v_fmac_f32_e32 v77, v97, v72
	s_delay_alu instid0(VALU_DEP_3) | instskip(NEXT) | instid1(VALU_DEP_1)
	v_exp_f32_e32 v96, v70
	v_fmac_f32_e32 v77, v95, v73
	s_delay_alu instid0(VALU_DEP_1) | instskip(SKIP_2) | instid1(VALU_DEP_1)
	v_fmac_f32_e32 v77, v94, v74
	s_waitcnt_depctr 0xfff
	v_fmac_f32_e32 v77, v96, v75
	v_add_f32_e32 v74, 0x358637bd, v77
	s_delay_alu instid0(VALU_DEP_1) | instskip(SKIP_1) | instid1(VALU_DEP_2)
	v_div_scale_f32 v98, null, v74, v74, 1.0
	v_div_scale_f32 v99, vcc_lo, 1.0, v74, 1.0
	v_rcp_f32_e32 v103, v98
	s_waitcnt_depctr 0xfff
	v_fma_f32 v70, -v98, v103, 1.0
	s_delay_alu instid0(VALU_DEP_1) | instskip(SKIP_2) | instid1(VALU_DEP_2)
	v_fmac_f32_e32 v103, v70, v103
	v_cndmask_b32_e64 v70, v71, v101, s2
	v_cmp_eq_u32_e64 s2, 6, v69
	v_cndmask_b32_e64 v71, v70, v100, s3
	s_delay_alu instid0(VALU_DEP_4) | instskip(NEXT) | instid1(VALU_DEP_2)
	v_dual_mul_f32 v101, v99, v103 :: v_dual_lshlrev_b32 v70, 2, v66
	v_cndmask_b32_e64 v71, v71, v97, s4
	s_delay_alu instid0(VALU_DEP_2) | instskip(NEXT) | instid1(VALU_DEP_3)
	v_or_b32_e32 v72, 1, v70
	v_fma_f32 v100, -v98, v101, v99
	v_cmp_eq_u32_e64 s3, 1, v70
	v_cmp_eq_u32_e64 s4, 2, v70
	v_cndmask_b32_e64 v95, v71, v95, s5
	v_or_b32_e32 v71, 3, v70
	v_fmac_f32_e32 v101, v100, v103
	v_cmp_eq_u32_e64 s8, 1, v72
	v_cmp_eq_u32_e64 s11, 2, v72
	v_cndmask_b32_e64 v94, v95, v94, s2
	v_cmp_eq_u32_e64 s10, 1, v71
	v_fma_f32 v97, -v98, v101, v99
	v_cmp_eq_u32_e64 s15, 2, v71
	v_cmp_eq_u32_e64 s12, 3, v72
	v_cndmask_b32_e64 v94, v94, v96, s6
	v_cmp_eq_u32_e64 s17, 3, v71
	v_div_fmas_f32 v95, v97, v103, v101
	v_cmp_eq_u32_e32 vcc_lo, 3, v70
	v_cmp_eq_u32_e64 s2, 4, v70
	v_cmp_eq_u32_e64 s18, 4, v72
	;; [unrolled: 1-line block ×3, first 2 shown]
	v_div_fixup_f32 v95, v95, v74, 1.0
	v_lshlrev_b32_e32 v73, 6, v68
	v_cmp_eq_u32_e64 s5, 5, v70
	v_cmp_eq_u32_e64 s19, 5, v72
	;; [unrolled: 1-line block ×3, first 2 shown]
	v_mul_f32_e32 v102, v94, v95
	v_lshl_or_b32 v75, v69, 11, v73
	v_or_b32_e32 v69, 2, v70
	v_cmp_eq_u32_e64 s24, 6, v72
	v_cmp_eq_u32_e64 s26, 6, v71
	v_fma_mixlo_f16 v94, v102, v79, 0
	v_fma_mixlo_f16 v95, v102, v81, 0
	;; [unrolled: 1-line block ×8, first 2 shown]
	v_lshl_or_b32 v74, v66, 4, v75
	v_fma_mixhi_f16 v94, v102, v78, 0
	v_fma_mixhi_f16 v95, v102, v80, 0
	;; [unrolled: 1-line block ×8, first 2 shown]
	ds_store_b128 v74, v[94:97]
	ds_store_b128 v74, v[98:101] offset:1024
	s_waitcnt lgkmcnt(0)
	s_barrier
	buffer_gl0_inv
	ds_load_b128 v[78:81], v75
	ds_load_b128 v[82:85], v75 offset:16
	ds_load_b128 v[86:89], v75 offset:1024
	;; [unrolled: 1-line block ×3, first 2 shown]
	v_cmp_eq_u32_e64 s9, 1, v69
	v_cmp_eq_u32_e64 s13, 2, v69
	;; [unrolled: 1-line block ×11, first 2 shown]
	s_waitcnt lgkmcnt(3)
	v_lshrrev_b32_e32 v94, 16, v78
	s_waitcnt lgkmcnt(2)
	v_lshrrev_b32_e32 v98, 16, v82
	;; [unrolled: 2-line block ×4, first 2 shown]
	v_lshrrev_b32_e32 v95, 16, v79
	v_cndmask_b32_e64 v110, v78, v94, s3
	v_cndmask_b32_e64 v111, v82, v98, s3
	;; [unrolled: 1-line block ×8, first 2 shown]
	v_lshrrev_b32_e32 v99, 16, v83
	v_cndmask_b32_e64 v94, v86, v102, s3
	v_cndmask_b32_e64 v98, v90, v106, s3
	;; [unrolled: 1-line block ×15, first 2 shown]
	v_lshrrev_b32_e32 v103, 16, v87
	v_lshrrev_b32_e32 v107, 16, v91
	v_cndmask_b32_e64 v113, v115, v83, s13
	v_cndmask_b32_e64 v82, v94, v87, s4
	v_cndmask_b32_e64 v83, v98, v91, s4
	v_cndmask_b32_e64 v94, v116, v87, s11
	v_cndmask_b32_e64 v98, v118, v87, s13
	v_cndmask_b32_e64 v86, v86, v87, s15
	v_cndmask_b32_e64 v87, v90, v91, s15
	v_cndmask_b32_e32 v90, v102, v95, vcc_lo
	v_cndmask_b32_e32 v102, v106, v99, vcc_lo
	v_cndmask_b32_e64 v106, v110, v95, s12
	v_cndmask_b32_e64 v110, v111, v99, s12
	;; [unrolled: 1-line block ×4, first 2 shown]
	v_lshrrev_b32_e32 v96, 16, v80
	v_lshrrev_b32_e32 v100, 16, v84
	v_cndmask_b32_e64 v111, v112, v95, s16
	v_cndmask_b32_e64 v112, v113, v99, s16
	v_cndmask_b32_e32 v82, v82, v103, vcc_lo
	v_cndmask_b32_e32 v83, v83, v107, vcc_lo
	v_cndmask_b32_e64 v94, v94, v103, s12
	v_cndmask_b32_e64 v90, v90, v80, s2
	v_cndmask_b32_e64 v95, v102, v84, s2
	v_cndmask_b32_e64 v99, v106, v80, s18
	v_cndmask_b32_e64 v102, v110, v84, s18
	v_cndmask_b32_e64 v78, v78, v80, s21
	v_cndmask_b32_e64 v79, v79, v84, s21
	v_lshrrev_b32_e32 v104, 16, v88
	v_cndmask_b32_e64 v106, v111, v80, s20
	v_cndmask_b32_e64 v110, v112, v84, s20
	;; [unrolled: 1-line block ×11, first 2 shown]
	v_lshrrev_b32_e32 v97, 16, v81
	v_lshrrev_b32_e32 v101, 16, v85
	v_cndmask_b32_e64 v99, v106, v96, s22
	v_cndmask_b32_e64 v102, v110, v100, s22
	v_cndmask_b32_e64 v83, v83, v104, s19
	v_cndmask_b32_e64 v94, v94, v81, s24
	v_cndmask_b32_e64 v95, v95, v85, s24
	v_cndmask_b32_e64 v78, v78, v81, s26
	v_cndmask_b32_e64 v79, v79, v85, s26
	v_lshrrev_b32_e32 v105, 16, v89
	v_cndmask_b32_e64 v80, v80, v104, s5
	v_cndmask_b32_e64 v84, v84, v81, s6
	;; [unrolled: 1-line block ×16, first 2 shown]
	v_perm_b32 v81, v79, v78, 0x5040100
	v_perm_b32 v79, v95, v85, 0x5040100
	v_cndmask_b32_e64 v78, v119, v91, s13
	v_cndmask_b32_e64 v85, v117, v91, s11
	;; [unrolled: 1-line block ×3, first 2 shown]
	v_perm_b32 v80, v94, v90, 0x5040100
	v_cndmask_b32_e64 v90, v98, v103, s16
	v_cndmask_b32_e64 v86, v86, v103, s17
	v_cndmask_b32_e64 v87, v87, v107, s17
	v_cndmask_b32_e64 v78, v78, v107, s16
	v_cndmask_b32_e64 v85, v85, v107, s12
	v_lshrrev_b32_e32 v108, 16, v92
	v_cndmask_b32_e64 v90, v90, v88, s20
	v_cndmask_b32_e64 v86, v86, v88, s21
	v_cndmask_b32_e64 v87, v87, v92, s21
	v_cndmask_b32_e64 v78, v78, v92, s20
	v_cndmask_b32_e64 v85, v85, v92, s18
	v_cndmask_b32_e64 v82, v82, v108, s5
	v_cndmask_b32_e64 v88, v90, v104, s22
	v_cndmask_b32_e64 v86, v86, v104, s23
	v_cndmask_b32_e64 v87, v87, v108, s23
	v_cndmask_b32_e64 v78, v78, v108, s22
	v_cndmask_b32_e64 v85, v85, v108, s19
	v_lshrrev_b32_e32 v109, 16, v93
	v_cndmask_b32_e64 v82, v82, v93, s6
	v_cndmask_b32_e64 v88, v88, v89, s25
	;; [unrolled: 1-line block ×12, first 2 shown]
	v_perm_b32 v78, v84, v83, 0x5040100
	v_perm_b32 v85, v87, v86, 0x5040100
	;; [unrolled: 1-line block ×5, first 2 shown]
	s_mul_i32 s7, s33, 12
	s_mov_b32 s2, exec_lo
	ds_store_b128 v74, v[78:81]
	ds_store_b128 v74, v[82:85] offset:1024
	v_cmpx_gt_u32_e32 12, v0
	s_cbranch_execz .LBB1337_14
; %bb.13:
	s_mul_i32 s3, s7, s30
	s_load_b128 s[8:11], s[0:1], 0x58
	v_add3_u32 v68, s3, s31, v68
	s_delay_alu instid0(VALU_DEP_1) | instskip(NEXT) | instid1(VALU_DEP_1)
	v_mad_u64_u32 v[78:79], null, v68, s34, s[14:15]
	v_ashrrev_i32_e32 v79, 31, v78
	s_delay_alu instid0(VALU_DEP_1) | instskip(SKIP_1) | instid1(VALU_DEP_1)
	v_lshlrev_b64 v[78:79], 2, v[78:79]
	s_waitcnt lgkmcnt(0)
	v_add_co_u32 v80, vcc_lo, s10, v78
	s_delay_alu instid0(VALU_DEP_2)
	v_add_co_ci_u32_e32 v81, vcc_lo, s11, v79, vcc_lo
	v_add_co_u32 v78, vcc_lo, s8, v78
	v_add_co_ci_u32_e32 v79, vcc_lo, s9, v79, vcc_lo
	global_store_b32 v[80:81], v76, off
	global_store_b32 v[78:79], v77, off
.LBB1337_14:
	s_or_b32 exec_lo, exec_lo, s2
	s_waitcnt lgkmcnt(0)
	s_waitcnt_vscnt null, 0x0
	s_barrier
	buffer_gl0_inv
	ds_load_b128 v[84:87], v73
	ds_load_b128 v[88:91], v73 offset:16
	ds_load_b128 v[96:99], v73 offset:2064
	;; [unrolled: 1-line block ×5, first 2 shown]
	v_cmp_eq_u32_e32 vcc_lo, 1, v70
	v_mov_b32_e32 v76, 0
	ds_load_b128 v[112:115], v73 offset:6160
	ds_load_b128 v[108:111], v73 offset:6144
	;; [unrolled: 1-line block ×4, first 2 shown]
	v_cmp_eq_u32_e64 s3, 1, v69
	v_cmp_eq_u32_e64 s2, 1, v72
	;; [unrolled: 1-line block ×3, first 2 shown]
	v_mov_b32_e32 v77, v76
	v_mov_b32_e32 v78, v76
	;; [unrolled: 1-line block ×7, first 2 shown]
	v_cmp_eq_u32_e64 s5, 3, v72
	v_cmp_eq_u32_e64 s6, 7, v72
	s_waitcnt lgkmcnt(8)
	s_delay_alu instid0(VALU_DEP_3)
	v_wmma_f32_16x16x16_f16 v[76:83], v[49:56], v[84:91], v[76:83]
	ds_load_b128 v[53:56], v73 offset:10256
	ds_load_b128 v[49:52], v73 offset:10240
	s_waitcnt lgkmcnt(8)
	v_wmma_f32_16x16x16_f16 v[76:83], v[41:48], v[92:99], v[76:83]
	ds_load_b128 v[45:48], v73 offset:12304
	ds_load_b128 v[41:44], v73 offset:12288
	s_waitcnt lgkmcnt(8)
	;; [unrolled: 4-line block ×3, first 2 shown]
	s_barrier
	buffer_gl0_inv
	v_wmma_f32_16x16x16_f16 v[76:83], v[1:8], v[108:115], v[76:83]
	s_delay_alu instid0(VALU_DEP_1) | instskip(NEXT) | instid1(VALU_DEP_1)
	v_wmma_f32_16x16x16_f16 v[76:83], v[9:16], v[116:123], v[76:83]
	v_wmma_f32_16x16x16_f16 v[76:83], v[17:24], v[49:56], v[76:83]
	s_delay_alu instid0(VALU_DEP_1) | instskip(NEXT) | instid1(VALU_DEP_1)
	v_wmma_f32_16x16x16_f16 v[76:83], v[25:32], v[41:48], v[76:83]
	v_wmma_f32_16x16x16_f16 v[76:83], v[57:64], v[33:40], v[76:83]
	s_delay_alu instid0(VALU_DEP_1) | instskip(NEXT) | instid1(VALU_DEP_2)
	v_cvt_f16_f32_e32 v1, v76
	v_cvt_f16_f32_e32 v2, v77
	s_delay_alu instid0(VALU_DEP_3) | instskip(NEXT) | instid1(VALU_DEP_4)
	v_cvt_f16_f32_e32 v3, v78
	v_cvt_f16_f32_e32 v4, v79
	;; [unrolled: 1-line block ×6, first 2 shown]
	v_pack_b32_f16 v1, v1, v2
	v_pack_b32_f16 v2, v3, v4
	;; [unrolled: 1-line block ×3, first 2 shown]
	s_delay_alu instid0(VALU_DEP_4)
	v_pack_b32_f16 v4, v7, v8
	ds_store_b128 v74, v[1:4]
	s_waitcnt lgkmcnt(0)
	s_barrier
	buffer_gl0_inv
	ds_load_b128 v[1:4], v75
	ds_load_b128 v[5:8], v75 offset:16
	s_waitcnt lgkmcnt(1)
	v_lshrrev_b32_e32 v9, 16, v1
	s_waitcnt lgkmcnt(0)
	v_lshrrev_b32_e32 v13, 16, v5
	v_lshrrev_b32_e32 v10, 16, v2
	;; [unrolled: 1-line block ×4, first 2 shown]
	v_cndmask_b32_e32 v17, v1, v9, vcc_lo
	v_cndmask_b32_e32 v18, v5, v13, vcc_lo
	v_cndmask_b32_e64 v21, v1, v9, s3
	v_cmp_eq_u32_e32 vcc_lo, 1, v71
	v_cndmask_b32_e64 v22, v5, v13, s3
	v_cmp_eq_u32_e64 s3, 2, v70
	v_cndmask_b32_e64 v19, v1, v9, s2
	v_cndmask_b32_e64 v20, v5, v13, s2
	v_cndmask_b32_e32 v1, v1, v9, vcc_lo
	v_cmp_eq_u32_e64 s2, 2, v71
	v_cndmask_b32_e32 v5, v5, v13, vcc_lo
	v_cndmask_b32_e64 v9, v17, v2, s3
	v_cmp_eq_u32_e32 vcc_lo, 3, v70
	v_cndmask_b32_e64 v13, v18, v6, s3
	v_cmp_eq_u32_e64 s3, 2, v69
	v_cndmask_b32_e64 v17, v19, v2, s4
	v_cndmask_b32_e64 v18, v20, v6, s4
	v_cmp_eq_u32_e64 s4, 3, v69
	v_cndmask_b32_e64 v1, v1, v2, s2
	v_cndmask_b32_e64 v19, v21, v2, s3
	;; [unrolled: 1-line block ×4, first 2 shown]
	v_cndmask_b32_e32 v5, v9, v10, vcc_lo
	v_cndmask_b32_e32 v6, v13, v14, vcc_lo
	v_cmp_eq_u32_e32 vcc_lo, 3, v71
	v_cndmask_b32_e64 v9, v17, v10, s5
	v_cndmask_b32_e64 v13, v18, v14, s5
	;; [unrolled: 1-line block ×3, first 2 shown]
	v_cmp_eq_u32_e64 s3, 4, v70
	v_cndmask_b32_e32 v1, v1, v10, vcc_lo
	v_cndmask_b32_e32 v2, v2, v14, vcc_lo
	v_cmp_eq_u32_e32 vcc_lo, 4, v72
	v_lshrrev_b32_e32 v15, 16, v7
	v_lshrrev_b32_e32 v16, 16, v8
	v_cndmask_b32_e64 v17, v19, v10, s4
	v_cmp_eq_u32_e64 s2, 4, v71
	v_cndmask_b32_e64 v5, v5, v3, s3
	v_cndmask_b32_e64 v6, v6, v7, s3
	v_cndmask_b32_e32 v9, v9, v3, vcc_lo
	v_cmp_eq_u32_e64 s3, 5, v72
	v_cndmask_b32_e32 v10, v13, v7, vcc_lo
	v_cmp_eq_u32_e32 vcc_lo, 4, v69
	v_cmp_eq_u32_e64 s4, 5, v70
	v_cndmask_b32_e64 v2, v2, v7, s2
	v_cndmask_b32_e64 v9, v9, v11, s3
	;; [unrolled: 1-line block ×3, first 2 shown]
	v_cndmask_b32_e32 v13, v17, v3, vcc_lo
	v_cmp_eq_u32_e64 s3, 5, v69
	v_cndmask_b32_e32 v14, v18, v7, vcc_lo
	v_cndmask_b32_e64 v1, v1, v3, s2
	v_cmp_eq_u32_e32 vcc_lo, 5, v71
	v_lshrrev_b32_e32 v12, 16, v4
	v_cndmask_b32_e64 v13, v13, v11, s3
	v_cndmask_b32_e64 v3, v14, v15, s3
	v_cmp_eq_u32_e64 s3, 6, v71
	v_cndmask_b32_e32 v1, v1, v11, vcc_lo
	v_cndmask_b32_e64 v5, v5, v11, s4
	v_cmp_eq_u32_e64 s5, 6, v70
	v_cndmask_b32_e64 v6, v6, v15, s4
	v_cmp_eq_u32_e64 s4, 6, v72
	v_cmp_eq_u32_e64 s2, 6, v69
	v_cndmask_b32_e64 v1, v1, v4, s3
	v_cndmask_b32_e32 v2, v2, v15, vcc_lo
	v_cmp_eq_u32_e32 vcc_lo, 7, v71
	v_cndmask_b32_e64 v5, v5, v4, s5
	v_cndmask_b32_e64 v9, v9, v4, s4
	;; [unrolled: 1-line block ×3, first 2 shown]
	v_cmp_eq_u32_e64 s5, 7, v70
	v_cndmask_b32_e32 v1, v1, v12, vcc_lo
	v_cndmask_b32_e64 v7, v13, v4, s2
	v_cndmask_b32_e64 v3, v3, v8, s2
	;; [unrolled: 1-line block ×3, first 2 shown]
	v_cmp_eq_u32_e64 s2, 7, v69
	v_cndmask_b32_e64 v4, v10, v8, s4
	v_cndmask_b32_e64 v5, v5, v12, s5
	;; [unrolled: 1-line block ×3, first 2 shown]
	v_cndmask_b32_e32 v2, v2, v16, vcc_lo
	v_cndmask_b32_e64 v7, v7, v12, s2
	v_cndmask_b32_e64 v3, v3, v16, s2
	v_cndmask_b32_e64 v8, v4, v16, s6
	v_cndmask_b32_e64 v6, v6, v16, s5
	v_perm_b32 v4, v2, v1, 0x5040100
	s_mov_b32 s2, exec_lo
	v_perm_b32 v3, v3, v7, 0x5040100
	v_perm_b32 v2, v8, v9, 0x5040100
	v_perm_b32 v1, v6, v5, 0x5040100
	ds_store_b128 v74, v[1:4]
	s_waitcnt lgkmcnt(0)
	s_barrier
	buffer_gl0_inv
	v_cmpx_gt_u32_e32 32, v0
	s_cbranch_execz .LBB1337_2
; %bb.15:
	s_load_b64 s[0:1], s[0:1], 0x68
	v_lshlrev_b32_e32 v0, 10, v0
	s_lshl_b32 s4, s34, 7
	v_or_b32_e32 v3, s31, v66
	s_mul_i32 s2, s4, s30
	v_lshlrev_b32_e32 v1, 4, v67
	s_mul_i32 s2, s2, s7
	v_lshlrev_b32_e32 v2, 6, v66
	v_and_b32_e32 v0, 0x3800, v0
	s_ashr_i32 s3, s2, 31
	v_mul_lo_u32 v4, v3, s4
	s_lshl_b64 s[2:3], s[2:3], 1
	s_delay_alu instid0(VALU_DEP_2) | instskip(NEXT) | instid1(VALU_DEP_2)
	v_or3_b32 v16, v0, v1, v2
	v_ashrrev_i32_e32 v5, 31, v4
	ds_load_b128 v[0:3], v16
	s_waitcnt lgkmcnt(0)
	s_add_u32 s2, s0, s2
	s_addc_u32 s3, s1, s3
	s_lshl_b32 s0, s14, 7
	v_lshlrev_b64 v[5:6], 1, v[4:5]
	s_ashr_i32 s1, s0, 31
	s_delay_alu instid0(SALU_CYCLE_1) | instskip(NEXT) | instid1(SALU_CYCLE_1)
	s_lshl_b64 s[0:1], s[0:1], 1
	s_add_u32 s0, s2, s0
	s_addc_u32 s1, s3, s1
	s_lshl_b32 s2, s34, 8
	v_add_co_u32 v30, s0, s0, v65
	v_add_nc_u32_e32 v8, s2, v4
	v_add_co_ci_u32_e64 v31, null, s1, 0, s0
	s_delay_alu instid0(VALU_DEP_3) | instskip(NEXT) | instid1(VALU_DEP_3)
	v_add_co_u32 v12, vcc_lo, v30, v5
	v_add_nc_u32_e32 v10, s2, v8
	v_ashrrev_i32_e32 v9, 31, v8
	s_delay_alu instid0(VALU_DEP_4)
	v_add_co_ci_u32_e32 v13, vcc_lo, v31, v6, vcc_lo
	ds_load_b128 v[4:7], v16 offset:128
	v_ashrrev_i32_e32 v11, 31, v10
	v_lshlrev_b64 v[8:9], 1, v[8:9]
	v_add_nc_u32_e32 v14, s2, v10
	global_store_b128 v[12:13], v[0:3], off
	v_lshlrev_b64 v[0:1], 1, v[10:11]
	v_ashrrev_i32_e32 v15, 31, v14
	v_add_co_u32 v22, vcc_lo, v30, v8
	v_add_nc_u32_e32 v20, s2, v14
	v_add_co_ci_u32_e32 v23, vcc_lo, v31, v9, vcc_lo
	v_add_co_u32 v26, vcc_lo, v30, v0
	v_lshlrev_b64 v[24:25], 1, v[14:15]
	v_add_co_ci_u32_e32 v27, vcc_lo, v31, v1, vcc_lo
	ds_load_b128 v[0:3], v16 offset:256
	ds_load_b128 v[8:11], v16 offset:384
	;; [unrolled: 1-line block ×4, first 2 shown]
	v_add_nc_u32_e32 v28, s2, v20
	v_ashrrev_i32_e32 v21, 31, v20
	v_add_co_u32 v24, vcc_lo, v30, v24
	v_add_co_ci_u32_e32 v25, vcc_lo, v31, v25, vcc_lo
	s_delay_alu instid0(VALU_DEP_4) | instskip(NEXT) | instid1(VALU_DEP_4)
	v_ashrrev_i32_e32 v29, 31, v28
	v_lshlrev_b64 v[20:21], 1, v[20:21]
	s_delay_alu instid0(VALU_DEP_2) | instskip(NEXT) | instid1(VALU_DEP_2)
	v_lshlrev_b64 v[28:29], 1, v[28:29]
	v_add_co_u32 v20, vcc_lo, v30, v20
	s_delay_alu instid0(VALU_DEP_3) | instskip(NEXT) | instid1(VALU_DEP_3)
	v_add_co_ci_u32_e32 v21, vcc_lo, v31, v21, vcc_lo
	v_add_co_u32 v28, vcc_lo, v30, v28
	s_delay_alu instid0(VALU_DEP_4)
	v_add_co_ci_u32_e32 v29, vcc_lo, v31, v29, vcc_lo
	s_waitcnt lgkmcnt(4)
	global_store_b128 v[22:23], v[4:7], off
	s_waitcnt lgkmcnt(3)
	global_store_b128 v[26:27], v[0:3], off
	;; [unrolled: 2-line block ×5, first 2 shown]
	s_nop 0
	s_sendmsg sendmsg(MSG_DEALLOC_VGPRS)
	s_endpgm
	.section	.rodata,"a",@progbits
	.p2align	6, 0x0
	.amdhsa_kernel _Z39paged_attention_ll4mi_QKV_mfma16_kernelIDF16_hLN4vllm18Fp8KVCacheDataTypeE1EDF16_Li32ELi128ELi256ELb0ELi12EL8MFMAType0EEvPKT_PKT0_S8_ifPKiSA_SA_iPKfiiiPfSD_PS3_PT2_iSC_SC_
		.amdhsa_group_segment_fixed_size 17472
		.amdhsa_private_segment_fixed_size 0
		.amdhsa_kernarg_size 400
		.amdhsa_user_sgpr_count 13
		.amdhsa_user_sgpr_dispatch_ptr 0
		.amdhsa_user_sgpr_queue_ptr 0
		.amdhsa_user_sgpr_kernarg_segment_ptr 1
		.amdhsa_user_sgpr_dispatch_id 0
		.amdhsa_user_sgpr_private_segment_size 0
		.amdhsa_wavefront_size32 1
		.amdhsa_uses_dynamic_stack 0
		.amdhsa_enable_private_segment 0
		.amdhsa_system_sgpr_workgroup_id_x 1
		.amdhsa_system_sgpr_workgroup_id_y 1
		.amdhsa_system_sgpr_workgroup_id_z 1
		.amdhsa_system_sgpr_workgroup_info 0
		.amdhsa_system_vgpr_workitem_id 0
		.amdhsa_next_free_vgpr 150
		.amdhsa_next_free_sgpr 37
		.amdhsa_reserve_vcc 1
		.amdhsa_float_round_mode_32 0
		.amdhsa_float_round_mode_16_64 0
		.amdhsa_float_denorm_mode_32 3
		.amdhsa_float_denorm_mode_16_64 3
		.amdhsa_dx10_clamp 1
		.amdhsa_ieee_mode 1
		.amdhsa_fp16_overflow 0
		.amdhsa_workgroup_processor_mode 1
		.amdhsa_memory_ordered 1
		.amdhsa_forward_progress 0
		.amdhsa_shared_vgpr_count 0
		.amdhsa_exception_fp_ieee_invalid_op 0
		.amdhsa_exception_fp_denorm_src 0
		.amdhsa_exception_fp_ieee_div_zero 0
		.amdhsa_exception_fp_ieee_overflow 0
		.amdhsa_exception_fp_ieee_underflow 0
		.amdhsa_exception_fp_ieee_inexact 0
		.amdhsa_exception_int_div_zero 0
	.end_amdhsa_kernel
	.section	.text._Z39paged_attention_ll4mi_QKV_mfma16_kernelIDF16_hLN4vllm18Fp8KVCacheDataTypeE1EDF16_Li32ELi128ELi256ELb0ELi12EL8MFMAType0EEvPKT_PKT0_S8_ifPKiSA_SA_iPKfiiiPfSD_PS3_PT2_iSC_SC_,"axG",@progbits,_Z39paged_attention_ll4mi_QKV_mfma16_kernelIDF16_hLN4vllm18Fp8KVCacheDataTypeE1EDF16_Li32ELi128ELi256ELb0ELi12EL8MFMAType0EEvPKT_PKT0_S8_ifPKiSA_SA_iPKfiiiPfSD_PS3_PT2_iSC_SC_,comdat
.Lfunc_end1337:
	.size	_Z39paged_attention_ll4mi_QKV_mfma16_kernelIDF16_hLN4vllm18Fp8KVCacheDataTypeE1EDF16_Li32ELi128ELi256ELb0ELi12EL8MFMAType0EEvPKT_PKT0_S8_ifPKiSA_SA_iPKfiiiPfSD_PS3_PT2_iSC_SC_, .Lfunc_end1337-_Z39paged_attention_ll4mi_QKV_mfma16_kernelIDF16_hLN4vllm18Fp8KVCacheDataTypeE1EDF16_Li32ELi128ELi256ELb0ELi12EL8MFMAType0EEvPKT_PKT0_S8_ifPKiSA_SA_iPKfiiiPfSD_PS3_PT2_iSC_SC_
                                        ; -- End function
	.section	.AMDGPU.csdata,"",@progbits
; Kernel info:
; codeLenInByte = 6756
; NumSgprs: 39
; NumVgprs: 150
; ScratchSize: 0
; MemoryBound: 0
; FloatMode: 240
; IeeeMode: 1
; LDSByteSize: 17472 bytes/workgroup (compile time only)
; SGPRBlocks: 4
; VGPRBlocks: 18
; NumSGPRsForWavesPerEU: 39
; NumVGPRsForWavesPerEU: 150
; Occupancy: 9
; WaveLimiterHint : 1
; COMPUTE_PGM_RSRC2:SCRATCH_EN: 0
; COMPUTE_PGM_RSRC2:USER_SGPR: 13
; COMPUTE_PGM_RSRC2:TRAP_HANDLER: 0
; COMPUTE_PGM_RSRC2:TGID_X_EN: 1
; COMPUTE_PGM_RSRC2:TGID_Y_EN: 1
; COMPUTE_PGM_RSRC2:TGID_Z_EN: 1
; COMPUTE_PGM_RSRC2:TIDIG_COMP_CNT: 0
	.section	.text._Z39paged_attention_ll4mi_QKV_mfma16_kernelIDF16_hLN4vllm18Fp8KVCacheDataTypeE1EDF16_Li32ELi128ELi256ELb0ELi13EL8MFMAType0EEvPKT_PKT0_S8_ifPKiSA_SA_iPKfiiiPfSD_PS3_PT2_iSC_SC_,"axG",@progbits,_Z39paged_attention_ll4mi_QKV_mfma16_kernelIDF16_hLN4vllm18Fp8KVCacheDataTypeE1EDF16_Li32ELi128ELi256ELb0ELi13EL8MFMAType0EEvPKT_PKT0_S8_ifPKiSA_SA_iPKfiiiPfSD_PS3_PT2_iSC_SC_,comdat
	.protected	_Z39paged_attention_ll4mi_QKV_mfma16_kernelIDF16_hLN4vllm18Fp8KVCacheDataTypeE1EDF16_Li32ELi128ELi256ELb0ELi13EL8MFMAType0EEvPKT_PKT0_S8_ifPKiSA_SA_iPKfiiiPfSD_PS3_PT2_iSC_SC_ ; -- Begin function _Z39paged_attention_ll4mi_QKV_mfma16_kernelIDF16_hLN4vllm18Fp8KVCacheDataTypeE1EDF16_Li32ELi128ELi256ELb0ELi13EL8MFMAType0EEvPKT_PKT0_S8_ifPKiSA_SA_iPKfiiiPfSD_PS3_PT2_iSC_SC_
	.globl	_Z39paged_attention_ll4mi_QKV_mfma16_kernelIDF16_hLN4vllm18Fp8KVCacheDataTypeE1EDF16_Li32ELi128ELi256ELb0ELi13EL8MFMAType0EEvPKT_PKT0_S8_ifPKiSA_SA_iPKfiiiPfSD_PS3_PT2_iSC_SC_
	.p2align	8
	.type	_Z39paged_attention_ll4mi_QKV_mfma16_kernelIDF16_hLN4vllm18Fp8KVCacheDataTypeE1EDF16_Li32ELi128ELi256ELb0ELi13EL8MFMAType0EEvPKT_PKT0_S8_ifPKiSA_SA_iPKfiiiPfSD_PS3_PT2_iSC_SC_,@function
_Z39paged_attention_ll4mi_QKV_mfma16_kernelIDF16_hLN4vllm18Fp8KVCacheDataTypeE1EDF16_Li32ELi128ELi256ELb0ELi13EL8MFMAType0EEvPKT_PKT0_S8_ifPKiSA_SA_iPKfiiiPfSD_PS3_PT2_iSC_SC_: ; @_Z39paged_attention_ll4mi_QKV_mfma16_kernelIDF16_hLN4vllm18Fp8KVCacheDataTypeE1EDF16_Li32ELi128ELi256ELb0ELi13EL8MFMAType0EEvPKT_PKT0_S8_ifPKiSA_SA_iPKfiiiPfSD_PS3_PT2_iSC_SC_
; %bb.0:
	s_load_b64 s[4:5], s[0:1], 0x30
	s_mov_b32 s34, s13
	s_waitcnt lgkmcnt(0)
	s_cmp_lg_u64 s[4:5], 0
	s_cselect_b32 s8, -1, 0
	s_ashr_i32 s35, s13, 31
	s_cmp_eq_u64 s[4:5], 0
	s_cbranch_scc1 .LBB1338_3
; %bb.1:
	s_lshl_b64 s[2:3], s[34:35], 2
	s_delay_alu instid0(SALU_CYCLE_1) | instskip(SKIP_4) | instid1(SALU_CYCLE_1)
	s_add_u32 s2, s4, s2
	s_addc_u32 s3, s5, s3
	s_load_b64 s[2:3], s[2:3], 0x0
	s_waitcnt lgkmcnt(0)
	s_sub_i32 s2, s3, s2
	s_cmp_eq_u32 s2, 1
	s_cselect_b32 s2, -1, 0
	s_delay_alu instid0(SALU_CYCLE_1)
	s_and_not1_b32 vcc_lo, exec_lo, s2
	s_cbranch_vccz .LBB1338_4
.LBB1338_2:
	s_nop 0
	s_sendmsg sendmsg(MSG_DEALLOC_VGPRS)
	s_endpgm
.LBB1338_3:
.LBB1338_4:
	s_load_b64 s[2:3], s[0:1], 0x28
	s_lshl_b64 s[6:7], s[34:35], 2
	s_waitcnt lgkmcnt(0)
	s_add_u32 s2, s2, s6
	s_addc_u32 s3, s3, s7
	s_lshl_b32 s12, s14, 8
	s_load_b32 s24, s[2:3], 0x0
	s_waitcnt lgkmcnt(0)
	s_cmp_ge_i32 s12, s24
	s_cbranch_scc1 .LBB1338_2
; %bb.5:
	s_clause 0x1
	s_load_b128 s[20:23], s[0:1], 0x8
	s_load_b64 s[2:3], s[0:1], 0x20
	s_and_not1_b32 vcc_lo, exec_lo, s8
	s_cbranch_vccnz .LBB1338_7
; %bb.6:
	s_add_u32 s4, s4, s6
	s_addc_u32 s5, s5, s7
	s_load_b32 s5, s[4:5], 0x0
	s_branch .LBB1338_8
.LBB1338_7:
	s_mov_b32 s5, s34
.LBB1338_8:
	s_load_b128 s[16:19], s[0:1], 0x48
	v_and_b32_e32 v68, 15, v0
	v_lshrrev_b32_e32 v69, 5, v0
	v_bfe_u32 v66, v0, 4, 1
	v_and_b32_e32 v70, 31, v0
	v_and_b32_e32 v67, 1, v0
	v_lshlrev_b32_e32 v2, 3, v68
	s_mul_i32 s31, s15, 13
	v_lshl_or_b32 v1, v69, 1, v66
	s_mov_b32 s4, exec_lo
	s_delay_alu instid0(VALU_DEP_2) | instskip(NEXT) | instid1(VALU_DEP_2)
	v_lshlrev_b32_e32 v65, 1, v2
	v_cmpx_gt_u32_e32 13, v1
	s_cbranch_execz .LBB1338_10
; %bb.9:
	s_load_b64 s[6:7], s[0:1], 0x0
	v_add_lshl_u32 v2, v1, s31, 7
	s_waitcnt lgkmcnt(0)
	s_mul_hi_i32 s9, s5, s16
	s_mul_i32 s8, s5, s16
	v_lshlrev_b32_e32 v6, 10, v68
	s_lshl_b64 s[8:9], s[8:9], 1
	v_ashrrev_i32_e32 v3, 31, v2
	v_lshlrev_b32_e32 v1, 6, v1
	v_lshlrev_b32_e32 v7, 10, v67
	v_and_b32_e32 v6, 0x3800, v6
	s_delay_alu instid0(VALU_DEP_4) | instskip(NEXT) | instid1(VALU_DEP_2)
	v_lshlrev_b64 v[2:3], 1, v[2:3]
	v_or3_b32 v1, v6, v7, v1
	s_add_u32 s5, s6, s8
	s_addc_u32 s6, s7, s9
	s_delay_alu instid0(VALU_DEP_2) | instskip(NEXT) | instid1(VALU_DEP_3)
	v_add_co_u32 v2, vcc_lo, s5, v2
	v_add_co_ci_u32_e32 v3, vcc_lo, s6, v3, vcc_lo
	s_delay_alu instid0(VALU_DEP_2) | instskip(NEXT) | instid1(VALU_DEP_2)
	v_add_co_u32 v2, vcc_lo, v2, v65
	v_add_co_ci_u32_e32 v3, vcc_lo, 0, v3, vcc_lo
	global_load_b128 v[2:5], v[2:3], off
	s_waitcnt vmcnt(0)
	ds_store_b128 v1, v[2:5]
.LBB1338_10:
	s_or_b32 exec_lo, exec_lo, s4
	v_and_b32_e32 v1, 0xef, v0
	s_waitcnt lgkmcnt(0)
	s_add_i32 s5, s24, 31
	s_clause 0x1
	s_load_b32 s4, s[0:1], 0x38
	s_load_b32 s33, s[0:1], 0x98
	s_ashr_i32 s6, s5, 31
	v_add_nc_u32_e32 v1, s12, v1
	s_lshr_b32 s6, s6, 27
	s_load_b32 s19, s[0:1], 0x1c
	s_add_i32 s5, s5, s6
	s_waitcnt lgkmcnt(0)
	v_ashrrev_i32_e32 v2, 31, v1
	v_or_b32_e32 v3, 16, v1
	s_ashr_i32 s13, s5, 5
	v_cmp_gt_i32_e32 vcc_lo, s24, v1
	s_add_i32 s13, s13, -1
	v_lshrrev_b32_e32 v2, 27, v2
	s_barrier
	buffer_gl0_inv
	s_mul_i32 s15, s15, s18
	v_add_nc_u32_e32 v4, v1, v2
	s_mul_i32 s4, s34, s4
	s_delay_alu instid0(SALU_CYCLE_1) | instskip(NEXT) | instid1(VALU_DEP_1)
	s_ashr_i32 s5, s4, 31
	v_ashrrev_i32_e32 v4, 5, v4
	v_add_nc_u32_e32 v2, v3, v2
	s_lshl_b64 s[4:5], s[4:5], 2
	s_delay_alu instid0(SALU_CYCLE_1) | instskip(NEXT) | instid1(VALU_DEP_2)
	s_add_u32 s16, s2, s4
	v_cndmask_b32_e32 v1, s13, v4, vcc_lo
	s_delay_alu instid0(VALU_DEP_2)
	v_ashrrev_i32_e32 v2, 5, v2
	v_cmp_gt_i32_e32 vcc_lo, s24, v3
	s_addc_u32 s25, s3, s5
	s_ashr_i32 s18, s15, 31
	s_add_u32 s2, s20, s15
	s_addc_u32 s3, s21, s18
	v_cndmask_b32_e32 v3, s13, v2, vcc_lo
	v_ashrrev_i32_e32 v2, 31, v1
	s_lshl_b32 s4, s14, 3
	s_delay_alu instid0(SALU_CYCLE_1) | instskip(NEXT) | instid1(VALU_DEP_2)
	s_ashr_i32 s5, s4, 31
	v_ashrrev_i32_e32 v4, 31, v3
	s_delay_alu instid0(VALU_DEP_2) | instskip(SKIP_1) | instid1(SALU_CYCLE_1)
	v_lshlrev_b64 v[1:2], 2, v[1:2]
	s_lshl_b64 s[4:5], s[4:5], 2
	s_add_u32 s4, s16, s4
	s_delay_alu instid0(VALU_DEP_2) | instskip(SKIP_1) | instid1(VALU_DEP_2)
	v_lshlrev_b64 v[3:4], 2, v[3:4]
	s_addc_u32 s5, s25, s5
	v_add_co_u32 v1, vcc_lo, s16, v1
	v_add_co_ci_u32_e32 v2, vcc_lo, s25, v2, vcc_lo
	s_delay_alu instid0(VALU_DEP_3) | instskip(NEXT) | instid1(VALU_DEP_4)
	v_add_co_u32 v3, vcc_lo, s16, v3
	v_add_co_ci_u32_e32 v4, vcc_lo, s25, v4, vcc_lo
	s_clause 0x1
	global_load_b32 v5, v[1:2], off
	global_load_b32 v6, v[3:4], off
	s_or_b32 s6, s12, 32
	s_delay_alu instid0(SALU_CYCLE_1) | instskip(SKIP_2) | instid1(SALU_CYCLE_1)
	s_ashr_i32 s7, s6, 5
	s_cmp_lt_i32 s6, s24
	s_cselect_b32 s6, s7, s13
	s_ashr_i32 s7, s6, 31
	s_delay_alu instid0(SALU_CYCLE_1) | instskip(NEXT) | instid1(SALU_CYCLE_1)
	s_lshl_b64 s[6:7], s[6:7], 2
	s_add_u32 s6, s16, s6
	s_addc_u32 s7, s25, s7
	s_or_b32 s8, s12, 64
	s_delay_alu instid0(SALU_CYCLE_1) | instskip(SKIP_2) | instid1(SALU_CYCLE_1)
	s_ashr_i32 s9, s8, 5
	s_cmp_lt_i32 s8, s24
	s_cselect_b32 s8, s9, s13
	s_ashr_i32 s9, s8, 31
	s_delay_alu instid0(SALU_CYCLE_1) | instskip(NEXT) | instid1(SALU_CYCLE_1)
	s_lshl_b64 s[8:9], s[8:9], 2
	s_add_u32 s8, s16, s8
	s_addc_u32 s9, s25, s9
	s_or_b32 s10, s12, 0x60
	s_delay_alu instid0(SALU_CYCLE_1) | instskip(SKIP_2) | instid1(SALU_CYCLE_1)
	s_ashr_i32 s11, s10, 5
	s_cmp_lt_i32 s10, s24
	s_cselect_b32 s10, s11, s13
	s_ashr_i32 s11, s10, 31
	s_delay_alu instid0(SALU_CYCLE_1) | instskip(NEXT) | instid1(SALU_CYCLE_1)
	s_lshl_b64 s[10:11], s[10:11], 2
	s_add_u32 s10, s16, s10
	s_addc_u32 s11, s25, s11
	s_or_b32 s20, s12, 0x80
	s_delay_alu instid0(SALU_CYCLE_1) | instskip(SKIP_2) | instid1(SALU_CYCLE_1)
	s_ashr_i32 s21, s20, 5
	s_cmp_lt_i32 s20, s24
	s_cselect_b32 s20, s21, s13
	s_ashr_i32 s21, s20, 31
	s_delay_alu instid0(SALU_CYCLE_1) | instskip(NEXT) | instid1(SALU_CYCLE_1)
	s_lshl_b64 s[20:21], s[20:21], 2
	s_add_u32 s20, s16, s20
	s_addc_u32 s21, s25, s21
	s_or_b32 s26, s12, 0xa0
	s_delay_alu instid0(SALU_CYCLE_1) | instskip(SKIP_2) | instid1(SALU_CYCLE_1)
	s_ashr_i32 s27, s26, 5
	s_cmp_lt_i32 s26, s24
	s_cselect_b32 s26, s27, s13
	s_ashr_i32 s27, s26, 31
	s_delay_alu instid0(SALU_CYCLE_1) | instskip(NEXT) | instid1(SALU_CYCLE_1)
	s_lshl_b64 s[26:27], s[26:27], 2
	s_add_u32 s26, s16, s26
	s_addc_u32 s27, s25, s27
	s_clause 0x5
	s_load_b32 s28, s[4:5], 0x0
	s_load_b32 s29, s[6:7], 0x0
	;; [unrolled: 1-line block ×6, first 2 shown]
	s_mov_b32 s4, 0
	s_delay_alu instid0(SALU_CYCLE_1)
	s_mov_b32 s5, s4
	s_mov_b32 s6, s4
	;; [unrolled: 1-line block ×7, first 2 shown]
	s_delay_alu instid0(SALU_CYCLE_1)
	v_dual_mov_b32 v118, s11 :: v_dual_mov_b32 v117, s10
	v_dual_mov_b32 v116, s9 :: v_dual_mov_b32 v115, s8
	v_mov_b32_e32 v113, s6
	v_dual_mov_b32 v111, s4 :: v_dual_mov_b32 v114, s7
	v_mov_b32_e32 v112, s5
	s_waitcnt vmcnt(1)
	v_mad_i64_i32 v[1:2], null, v5, s17, s[2:3]
	v_lshlrev_b32_e32 v5, 4, v68
	s_waitcnt vmcnt(0)
	v_mad_i64_i32 v[3:4], null, v6, s17, s[2:3]
	s_or_b32 s2, s12, 0xc0
	s_delay_alu instid0(SALU_CYCLE_1) | instskip(NEXT) | instid1(VALU_DEP_3)
	s_ashr_i32 s3, s2, 5
	v_add_co_u32 v1, vcc_lo, v1, v5
	s_delay_alu instid0(VALU_DEP_4) | instskip(NEXT) | instid1(VALU_DEP_3)
	v_add_co_ci_u32_e32 v2, vcc_lo, 0, v2, vcc_lo
	v_add_co_u32 v3, vcc_lo, v3, v5
	s_delay_alu instid0(VALU_DEP_4)
	v_add_co_ci_u32_e32 v4, vcc_lo, 0, v4, vcc_lo
	s_clause 0xf
	global_load_b128 v[17:20], v[1:2], off
	global_load_b128 v[21:24], v[1:2], off offset:512
	global_load_b128 v[25:28], v[3:4], off offset:256
	;; [unrolled: 1-line block ×15, first 2 shown]
	s_cmp_lt_i32 s2, s24
	v_add_nc_u32_e32 v1, -13, v68
	s_cselect_b32 s2, s3, s13
	v_cmp_gt_u32_e32 vcc_lo, 13, v68
	s_ashr_i32 s3, s2, 31
	v_lshlrev_b32_e32 v2, 5, v68
	s_lshl_b64 s[2:3], s[2:3], 2
	s_delay_alu instid0(SALU_CYCLE_1)
	s_add_u32 s2, s16, s2
	s_addc_u32 s3, s25, s3
	s_or_b32 s20, s12, 0xe0
	v_cndmask_b32_e32 v1, v1, v68, vcc_lo
	s_ashr_i32 s21, s20, 5
	s_cmp_lt_i32 s20, s24
	s_cselect_b32 s20, s21, s13
	s_delay_alu instid0(VALU_DEP_1)
	v_lshlrev_b32_e32 v149, 6, v1
	s_ashr_i32 s21, s20, 31
	v_lshl_or_b32 v1, v69, 9, v2
	s_lshl_b64 s[4:5], s[20:21], 2
	ds_load_b128 v[119:122], v149
	ds_load_b128 v[123:126], v149 offset:1024
	s_add_u32 s4, s16, s4
	s_addc_u32 s5, s25, s5
	ds_load_b128 v[127:130], v149 offset:2048
	ds_load_b128 v[131:134], v149 offset:3072
	s_clause 0x1
	s_load_b32 s2, s[2:3], 0x0
	s_load_b32 s3, s[4:5], 0x0
	s_add_u32 s6, s22, s15
	s_addc_u32 s7, s23, s18
	v_add_co_u32 v135, s6, s6, v1
	s_delay_alu instid0(VALU_DEP_1) | instskip(SKIP_1) | instid1(VALU_DEP_1)
	v_add_co_ci_u32_e64 v136, null, s7, 0, s6
	s_waitcnt lgkmcnt(0)
	v_mad_i64_i32 v[1:2], null, s28, s17, v[135:136]
	v_mad_i64_i32 v[3:4], null, s29, s17, v[135:136]
	;; [unrolled: 1-line block ×6, first 2 shown]
	s_clause 0x9
	global_load_b128 v[49:52], v[1:2], off
	global_load_b128 v[53:56], v[1:2], off offset:16
	global_load_b128 v[41:44], v[3:4], off
	global_load_b128 v[45:48], v[3:4], off offset:16
	;; [unrolled: 2-line block ×5, first 2 shown]
	v_mad_i64_i32 v[145:146], null, s2, s17, v[135:136]
	v_mad_i64_i32 v[147:148], null, s3, s17, v[135:136]
	s_waitcnt vmcnt(24)
	v_wmma_f32_16x16x16_f16 v[135:142], v[17:24], v[119:126], v[111:118]
	s_waitcnt vmcnt(22)
	v_wmma_f32_16x16x16_f16 v[111:118], v[25:32], v[119:126], v[111:118]
	s_clause 0x3
	global_load_b128 v[17:20], v[143:144], off
	global_load_b128 v[21:24], v[143:144], off offset:16
	global_load_b128 v[25:28], v[145:146], off
	global_load_b128 v[29:32], v[145:146], off offset:16
	v_and_b32_e32 v119, 0xe0, v0
	s_waitcnt vmcnt(24)
	v_wmma_f32_16x16x16_f16 v[135:142], v[57:64], v[127:134], v[135:142]
	s_clause 0x1
	global_load_b128 v[57:60], v[147:148], off
	global_load_b128 v[61:64], v[147:148], off offset:16
	s_waitcnt vmcnt(24)
	v_wmma_f32_16x16x16_f16 v[111:118], v[71:78], v[127:134], v[111:118]
	ds_load_b128 v[71:74], v149 offset:4096
	ds_load_b128 v[75:78], v149 offset:5120
	v_add_nc_u32_e32 v128, s12, v119
	ds_load_b128 v[119:122], v149 offset:6144
	ds_load_b128 v[123:126], v149 offset:7168
	v_mbcnt_lo_u32_b32 v127, -1, 0
	s_waitcnt vmcnt(0) lgkmcnt(0)
	s_barrier
	v_or_b32_e32 v128, v128, v66
	buffer_gl0_inv
	v_xor_b32_e32 v129, 16, v127
	v_or_b32_e32 v130, 4, v128
	v_or_b32_e32 v131, 6, v128
	s_delay_alu instid0(VALU_DEP_3) | instskip(SKIP_4) | instid1(VALU_DEP_4)
	v_cmp_gt_i32_e32 vcc_lo, 32, v129
	v_or_b32_e32 v132, 8, v128
	v_or_b32_e32 v133, 10, v128
	v_cmp_gt_i32_e64 s3, s24, v130
	v_cmp_gt_i32_e64 s4, s24, v131
	;; [unrolled: 1-line block ×3, first 2 shown]
	v_wmma_f32_16x16x16_f16 v[135:142], v[79:86], v[71:78], v[135:142]
	v_wmma_f32_16x16x16_f16 v[111:118], v[87:94], v[71:78], v[111:118]
	v_or_b32_e32 v79, 12, v128
	v_or_b32_e32 v80, 14, v128
	v_cmp_gt_i32_e64 s6, s24, v133
	v_wmma_f32_16x16x16_f16 v[135:142], v[95:102], v[119:126], v[135:142]
	v_wmma_f32_16x16x16_f16 v[111:118], v[103:110], v[119:126], v[111:118]
	v_cndmask_b32_e32 v127, v127, v129, vcc_lo
	v_or_b32_e32 v129, 2, v128
	v_cmp_gt_i32_e32 vcc_lo, s24, v128
	s_delay_alu instid0(VALU_DEP_4) | instskip(SKIP_1) | instid1(VALU_DEP_4)
	v_dual_mul_f32 v87, s19, v136 :: v_dual_mul_f32 v94, s19, v113
	v_mul_f32_e32 v88, s19, v135
	v_cmp_gt_i32_e64 s2, s24, v129
	v_mul_f32_e32 v78, s19, v138
	v_mul_f32_e32 v86, s19, v137
	;; [unrolled: 1-line block ×3, first 2 shown]
	v_cndmask_b32_e32 v88, 0xff7fffff, v88, vcc_lo
	v_cndmask_b32_e64 v87, 0xff7fffff, v87, s2
	v_dual_mul_f32 v77, s19, v139 :: v_dual_mul_f32 v90, s19, v117
	v_cndmask_b32_e64 v86, 0xff7fffff, v86, s3
	v_cndmask_b32_e64 v78, 0xff7fffff, v78, s4
	s_delay_alu instid0(VALU_DEP_4)
	v_max3_f32 v87, v88, 0xff7fffff, v87
	v_or_b32_e32 v81, 16, v128
	v_or_b32_e32 v82, 18, v128
	v_dual_mul_f32 v74, s19, v142 :: v_dual_mul_f32 v75, s19, v141
	v_mul_f32_e32 v96, s19, v111
	v_cndmask_b32_e64 v77, 0xff7fffff, v77, s5
	v_cndmask_b32_e64 v76, 0xff7fffff, v76, s6
	v_max3_f32 v78, v87, v86, v78
	v_cmp_gt_i32_e64 s7, s24, v79
	v_cmp_gt_i32_e64 s8, s24, v80
	v_or_b32_e32 v83, 20, v128
	v_or_b32_e32 v84, 22, v128
	v_mul_f32_e32 v95, s19, v112
	v_cndmask_b32_e64 v75, 0xff7fffff, v75, s7
	v_cndmask_b32_e64 v74, 0xff7fffff, v74, s8
	v_max3_f32 v76, v78, v77, v76
	v_cmp_gt_i32_e64 s9, s24, v81
	v_cmp_gt_i32_e64 s10, s24, v82
	v_or_b32_e32 v85, 24, v128
	v_or_b32_e32 v71, 26, v128
	;; [unrolled: 8-line block ×3, first 2 shown]
	v_dual_mul_f32 v91, s19, v116 :: v_dual_mul_f32 v92, s19, v115
	v_cndmask_b32_e64 v75, 0xff7fffff, v94, s11
	v_cndmask_b32_e64 v76, 0xff7fffff, v93, s12
	v_max3_f32 v74, v74, v77, v78
	v_cmp_gt_i32_e64 s13, s24, v85
	v_cmp_gt_i32_e64 s15, s24, v71
	v_mul_f32_e32 v89, s19, v118
	v_cmp_gt_i32_e64 s16, s24, v72
	v_max3_f32 v74, v74, v75, v76
	v_cndmask_b32_e64 v77, 0xff7fffff, v92, s13
	v_cndmask_b32_e64 v71, 0xff7fffff, v91, s15
	v_cmp_gt_i32_e64 s17, s24, v73
	v_cndmask_b32_e64 v72, 0xff7fffff, v90, s16
	s_delay_alu instid0(VALU_DEP_3) | instskip(SKIP_1) | instid1(VALU_DEP_4)
	v_max3_f32 v71, v74, v77, v71
	v_lshlrev_b32_e32 v74, 2, v127
	v_cndmask_b32_e64 v73, 0xff7fffff, v89, s17
	s_delay_alu instid0(VALU_DEP_1) | instskip(SKIP_3) | instid1(VALU_DEP_1)
	v_max3_f32 v71, v71, v72, v73
	ds_bpermute_b32 v72, v74, v71
	s_waitcnt lgkmcnt(0)
	v_max_f32_e32 v72, v72, v72
	v_max_f32_e32 v71, v71, v72
	s_delay_alu instid0(VALU_DEP_1) | instskip(SKIP_4) | instid1(VALU_DEP_4)
	v_fma_f32 v72, s19, v135, -v71
	v_fma_f32 v73, s19, v136, -v71
	;; [unrolled: 1-line block ×5, first 2 shown]
	v_dual_mul_f32 v72, 0x3fb8aa3b, v72 :: v_dual_mul_f32 v73, 0x3fb8aa3b, v73
	s_delay_alu instid0(VALU_DEP_3) | instskip(SKIP_1) | instid1(VALU_DEP_3)
	v_dual_mul_f32 v75, 0x3fb8aa3b, v75 :: v_dual_mul_f32 v76, 0x3fb8aa3b, v76
	v_fma_f32 v80, s19, v141, -v71
	v_exp_f32_e32 v72, v72
	s_delay_alu instid0(VALU_DEP_3) | instskip(NEXT) | instid1(VALU_DEP_2)
	v_exp_f32_e32 v73, v73
	v_exp_f32_e32 v75, v75
	v_exp_f32_e32 v76, v76
	v_mul_f32_e32 v82, 0x3fb8aa3b, v80
	s_delay_alu instid0(VALU_DEP_1) | instskip(SKIP_4) | instid1(TRANS32_DEP_3)
	v_exp_f32_e32 v84, v82
	v_cndmask_b32_e32 v79, 0, v72, vcc_lo
	v_fma_f32 v72, s19, v140, -v71
	v_mul_f32_e32 v77, 0x3fb8aa3b, v77
	v_cndmask_b32_e64 v78, 0, v73, s2
	v_cndmask_b32_e64 v81, 0, v75, s3
	s_delay_alu instid0(VALU_DEP_4) | instskip(NEXT) | instid1(VALU_DEP_4)
	v_dual_add_f32 v73, 0, v79 :: v_dual_mul_f32 v72, 0x3fb8aa3b, v72
	v_exp_f32_e32 v77, v77
	v_cndmask_b32_e64 v80, 0, v76, s4
	s_delay_alu instid0(TRANS32_DEP_2) | instskip(NEXT) | instid1(VALU_DEP_3)
	v_cndmask_b32_e64 v85, 0, v84, s7
	v_add_f32_e32 v73, v73, v78
	v_exp_f32_e32 v72, v72
	v_cmp_gt_u32_e64 s2, 16, v70
	s_delay_alu instid0(VALU_DEP_2) | instskip(NEXT) | instid1(TRANS32_DEP_2)
	v_add_f32_e32 v73, v73, v81
	v_cndmask_b32_e64 v83, 0, v77, s5
	s_delay_alu instid0(VALU_DEP_2) | instskip(SKIP_3) | instid1(VALU_DEP_1)
	v_add_f32_e32 v73, v73, v80
	s_waitcnt_depctr 0xfff
	v_cndmask_b32_e64 v82, 0, v72, s6
	v_add_f32_e32 v72, v73, v83
	v_add_f32_e32 v72, v72, v82
	s_delay_alu instid0(VALU_DEP_1)
	v_add_f32_e32 v72, v72, v85
	v_fma_f32 v76, s19, v111, -v71
	v_fma_f32 v75, s19, v142, -v71
	;; [unrolled: 1-line block ×5, first 2 shown]
	s_delay_alu instid0(VALU_DEP_4) | instskip(NEXT) | instid1(VALU_DEP_3)
	v_dual_mul_f32 v76, 0x3fb8aa3b, v76 :: v_dual_mul_f32 v75, 0x3fb8aa3b, v75
	v_mul_f32_e32 v86, 0x3fb8aa3b, v86
	s_delay_alu instid0(VALU_DEP_2) | instskip(NEXT) | instid1(VALU_DEP_2)
	v_exp_f32_e32 v76, v76
	v_exp_f32_e32 v75, v75
	s_delay_alu instid0(VALU_DEP_1) | instskip(NEXT) | instid1(TRANS32_DEP_3)
	v_exp_f32_e32 v88, v86
	v_cndmask_b32_e64 v87, 0, v76, s9
	v_fma_f32 v76, s19, v116, -v71
	v_mul_f32_e32 v77, 0x3fb8aa3b, v77
	s_waitcnt_depctr 0xfff
	v_cndmask_b32_e64 v84, 0, v75, s8
	v_fma_f32 v75, s19, v115, -v71
	v_cndmask_b32_e64 v88, 0, v88, s12
	v_mul_f32_e32 v76, 0x3fb8aa3b, v76
	v_exp_f32_e32 v77, v77
	v_add_f32_e32 v72, v72, v84
	s_delay_alu instid0(VALU_DEP_2) | instskip(NEXT) | instid1(VALU_DEP_1)
	v_exp_f32_e32 v76, v76
	v_add_f32_e32 v72, v72, v87
	s_waitcnt_depctr 0xfff
	v_cndmask_b32_e64 v86, 0, v77, s10
	v_mul_f32_e32 v73, 0x3fb8aa3b, v73
	v_fma_f32 v77, s19, v117, -v71
	v_cndmask_b32_e64 v90, 0, v76, s15
	s_delay_alu instid0(VALU_DEP_4) | instskip(NEXT) | instid1(VALU_DEP_4)
	v_add_f32_e32 v72, v72, v86
	v_exp_f32_e32 v73, v73
	s_waitcnt_depctr 0xfff
	v_cndmask_b32_e64 v89, 0, v73, s11
	s_delay_alu instid0(VALU_DEP_1) | instskip(NEXT) | instid1(VALU_DEP_1)
	v_dual_mul_f32 v75, 0x3fb8aa3b, v75 :: v_dual_add_f32 v72, v72, v89
	v_exp_f32_e32 v75, v75
	v_mul_f32_e32 v73, 0x3fb8aa3b, v77
	v_fma_f32 v77, s19, v118, -v71
	s_delay_alu instid0(VALU_DEP_3) | instskip(NEXT) | instid1(VALU_DEP_3)
	v_add_f32_e32 v72, v72, v88
	v_exp_f32_e32 v73, v73
	s_waitcnt_depctr 0xfff
	v_cndmask_b32_e64 v91, 0, v75, s13
	s_delay_alu instid0(VALU_DEP_1) | instskip(NEXT) | instid1(VALU_DEP_1)
	v_dual_mul_f32 v75, 0x3fb8aa3b, v77 :: v_dual_add_f32 v72, v72, v91
	v_exp_f32_e32 v75, v75
	v_cndmask_b32_e64 v93, 0, v73, s16
	s_delay_alu instid0(VALU_DEP_2) | instskip(NEXT) | instid1(VALU_DEP_1)
	v_add_f32_e32 v72, v72, v90
	v_add_f32_e32 v72, v72, v93
	s_waitcnt_depctr 0xfff
	v_cndmask_b32_e64 v92, 0, v75, s17
	s_delay_alu instid0(VALU_DEP_1)
	v_add_f32_e32 v72, v72, v92
	ds_bpermute_b32 v73, v74, v72
	s_and_saveexec_b32 s3, s2
	s_cbranch_execz .LBB1338_12
; %bb.11:
	v_mul_u32_u24_e32 v70, 0x44, v69
	s_waitcnt lgkmcnt(0)
	v_add_f32_e32 v72, v72, v73
	s_delay_alu instid0(VALU_DEP_2) | instskip(NEXT) | instid1(VALU_DEP_1)
	v_lshl_add_u32 v70, v68, 2, v70
	v_add_nc_u32_e32 v70, 0x4000, v70
	ds_store_2addr_b32 v70, v71, v72 offset1:136
.LBB1338_12:
	s_or_b32 exec_lo, exec_lo, s3
	v_lshlrev_b32_e32 v70, 2, v68
	s_load_b32 s35, s[0:1], 0x94
	s_waitcnt lgkmcnt(0)
	s_barrier
	buffer_gl0_inv
	v_add_nc_u32_e32 v98, 0x4000, v70
	v_cmp_eq_u32_e32 vcc_lo, 1, v69
	v_cmp_eq_u32_e64 s3, 2, v69
	v_cmp_eq_u32_e64 s4, 3, v69
	;; [unrolled: 1-line block ×3, first 2 shown]
	ds_load_2addr_b32 v[70:71], v98 offset1:17
	ds_load_2addr_b32 v[72:73], v98 offset0:34 offset1:51
	ds_load_2addr_b32 v[74:75], v98 offset0:68 offset1:85
	;; [unrolled: 1-line block ×3, first 2 shown]
	v_cmp_eq_u32_e64 s6, 5, v69
	v_cmp_eq_u32_e64 s7, 7, v69
	s_waitcnt lgkmcnt(3)
	v_max3_f32 v76, v70, 0xff7fffff, v71
	s_waitcnt lgkmcnt(2)
	s_delay_alu instid0(VALU_DEP_1) | instskip(SKIP_1) | instid1(VALU_DEP_1)
	v_max3_f32 v76, v76, v72, v73
	s_waitcnt lgkmcnt(1)
	v_max3_f32 v76, v76, v74, v75
	s_waitcnt lgkmcnt(0)
	s_delay_alu instid0(VALU_DEP_1) | instskip(NEXT) | instid1(VALU_DEP_1)
	v_max3_f32 v76, v76, v94, v95
	v_sub_f32_e32 v77, v71, v76
	ds_load_2addr_b32 v[96:97], v98 offset0:136 offset1:153
	v_sub_f32_e32 v74, v74, v76
	v_sub_f32_e32 v70, v70, v76
	;; [unrolled: 1-line block ×3, first 2 shown]
	v_dual_sub_f32 v72, v72, v76 :: v_dual_mul_f32 v77, 0x3fb8aa3b, v77
	s_delay_alu instid0(VALU_DEP_4) | instskip(NEXT) | instid1(VALU_DEP_4)
	v_mul_f32_e32 v103, 0x3fb8aa3b, v74
	v_mul_f32_e32 v99, 0x3fb8aa3b, v70
	ds_load_2addr_b32 v[70:71], v98 offset0:170 offset1:187
	v_dual_mul_f32 v101, 0x3fb8aa3b, v72 :: v_dual_mul_f32 v94, 0x3fb8aa3b, v94
	v_exp_f32_e32 v102, v77
	v_exp_f32_e32 v99, v99
	s_delay_alu instid0(VALU_DEP_1) | instskip(NEXT) | instid1(VALU_DEP_1)
	v_exp_f32_e32 v101, v101
	v_exp_f32_e32 v94, v94
	s_waitcnt lgkmcnt(1)
	s_delay_alu instid0(TRANS32_DEP_3)
	v_fma_f32 v77, v99, v96, 0
	v_sub_f32_e32 v100, v73, v76
	ds_load_2addr_b32 v[72:73], v98 offset0:204 offset1:221
	v_fmac_f32_e32 v77, v102, v97
	v_exp_f32_e32 v97, v103
	s_waitcnt lgkmcnt(1)
	s_delay_alu instid0(VALU_DEP_1)
	v_dual_fmac_f32 v77, v101, v70 :: v_dual_sub_f32 v96, v75, v76
	ds_load_2addr_b32 v[74:75], v98 offset0:238 offset1:255
	v_sub_f32_e32 v70, v95, v76
	s_waitcnt lgkmcnt(0)
	s_barrier
	v_mul_f32_e32 v96, 0x3fb8aa3b, v96
	buffer_gl0_inv
	v_exp_f32_e32 v95, v96
	v_mul_f32_e32 v100, 0x3fb8aa3b, v100
	s_delay_alu instid0(VALU_DEP_1) | instskip(SKIP_3) | instid1(VALU_DEP_2)
	v_exp_f32_e32 v100, v100
	s_waitcnt_depctr 0xfff
	v_dual_fmac_f32 v77, v100, v71 :: v_dual_mul_f32 v70, 0x3fb8aa3b, v70
	v_cndmask_b32_e32 v71, v99, v102, vcc_lo
	v_fmac_f32_e32 v77, v97, v72
	s_delay_alu instid0(VALU_DEP_3) | instskip(NEXT) | instid1(VALU_DEP_1)
	v_exp_f32_e32 v96, v70
	v_fmac_f32_e32 v77, v95, v73
	s_delay_alu instid0(VALU_DEP_1) | instskip(SKIP_2) | instid1(VALU_DEP_1)
	v_fmac_f32_e32 v77, v94, v74
	s_waitcnt_depctr 0xfff
	v_fmac_f32_e32 v77, v96, v75
	v_add_f32_e32 v74, 0x358637bd, v77
	s_delay_alu instid0(VALU_DEP_1) | instskip(SKIP_1) | instid1(VALU_DEP_2)
	v_div_scale_f32 v98, null, v74, v74, 1.0
	v_div_scale_f32 v99, vcc_lo, 1.0, v74, 1.0
	v_rcp_f32_e32 v103, v98
	s_waitcnt_depctr 0xfff
	v_fma_f32 v70, -v98, v103, 1.0
	s_delay_alu instid0(VALU_DEP_1) | instskip(SKIP_2) | instid1(VALU_DEP_2)
	v_fmac_f32_e32 v103, v70, v103
	v_cndmask_b32_e64 v70, v71, v101, s3
	v_cmp_eq_u32_e64 s3, 6, v69
	v_cndmask_b32_e64 v71, v70, v100, s4
	s_delay_alu instid0(VALU_DEP_4) | instskip(NEXT) | instid1(VALU_DEP_2)
	v_dual_mul_f32 v101, v99, v103 :: v_dual_lshlrev_b32 v70, 2, v66
	v_cndmask_b32_e64 v71, v71, v97, s5
	s_delay_alu instid0(VALU_DEP_2) | instskip(NEXT) | instid1(VALU_DEP_3)
	v_or_b32_e32 v72, 1, v70
	v_fma_f32 v100, -v98, v101, v99
	v_cmp_eq_u32_e64 s4, 1, v70
	v_cmp_eq_u32_e64 s5, 2, v70
	v_cndmask_b32_e64 v95, v71, v95, s6
	v_or_b32_e32 v71, 3, v70
	v_fmac_f32_e32 v101, v100, v103
	v_cmp_eq_u32_e64 s9, 1, v72
	v_cmp_eq_u32_e64 s12, 2, v72
	v_cndmask_b32_e64 v94, v95, v94, s3
	v_cmp_eq_u32_e64 s11, 1, v71
	v_fma_f32 v97, -v98, v101, v99
	v_cmp_eq_u32_e64 s16, 2, v71
	v_cmp_eq_u32_e64 s13, 3, v72
	v_cndmask_b32_e64 v94, v94, v96, s7
	v_cmp_eq_u32_e64 s18, 3, v71
	v_div_fmas_f32 v95, v97, v103, v101
	v_cmp_eq_u32_e32 vcc_lo, 3, v70
	v_cmp_eq_u32_e64 s3, 4, v70
	v_cmp_eq_u32_e64 s19, 4, v72
	v_cmp_eq_u32_e64 s22, 4, v71
	v_div_fixup_f32 v95, v95, v74, 1.0
	v_lshlrev_b32_e32 v73, 6, v68
	v_cmp_eq_u32_e64 s6, 5, v70
	v_cmp_eq_u32_e64 s20, 5, v72
	;; [unrolled: 1-line block ×3, first 2 shown]
	v_mul_f32_e32 v102, v94, v95
	v_lshl_or_b32 v75, v69, 11, v73
	v_or_b32_e32 v69, 2, v70
	v_cmp_eq_u32_e64 s25, 6, v72
	v_cmp_eq_u32_e64 s27, 6, v71
	v_fma_mixlo_f16 v94, v102, v79, 0
	v_fma_mixlo_f16 v95, v102, v81, 0
	;; [unrolled: 1-line block ×8, first 2 shown]
	v_lshl_or_b32 v74, v66, 4, v75
	v_fma_mixhi_f16 v94, v102, v78, 0
	v_fma_mixhi_f16 v95, v102, v80, 0
	;; [unrolled: 1-line block ×8, first 2 shown]
	ds_store_b128 v74, v[94:97]
	ds_store_b128 v74, v[98:101] offset:1024
	s_waitcnt lgkmcnt(0)
	s_barrier
	buffer_gl0_inv
	ds_load_b128 v[78:81], v75
	ds_load_b128 v[82:85], v75 offset:16
	ds_load_b128 v[86:89], v75 offset:1024
	;; [unrolled: 1-line block ×3, first 2 shown]
	v_cmp_eq_u32_e64 s10, 1, v69
	v_cmp_eq_u32_e64 s15, 2, v69
	;; [unrolled: 1-line block ×11, first 2 shown]
	s_waitcnt lgkmcnt(3)
	v_lshrrev_b32_e32 v94, 16, v78
	s_waitcnt lgkmcnt(2)
	v_lshrrev_b32_e32 v98, 16, v82
	s_waitcnt lgkmcnt(1)
	v_lshrrev_b32_e32 v102, 16, v86
	s_waitcnt lgkmcnt(0)
	v_lshrrev_b32_e32 v106, 16, v90
	v_lshrrev_b32_e32 v95, 16, v79
	v_cndmask_b32_e64 v110, v78, v94, s4
	v_cndmask_b32_e64 v111, v82, v98, s4
	;; [unrolled: 1-line block ×8, first 2 shown]
	v_lshrrev_b32_e32 v99, 16, v83
	v_cndmask_b32_e64 v94, v86, v102, s4
	v_cndmask_b32_e64 v98, v90, v106, s4
	;; [unrolled: 1-line block ×15, first 2 shown]
	v_lshrrev_b32_e32 v103, 16, v87
	v_lshrrev_b32_e32 v107, 16, v91
	v_cndmask_b32_e64 v113, v115, v83, s15
	v_cndmask_b32_e64 v82, v94, v87, s5
	;; [unrolled: 1-line block ×7, first 2 shown]
	v_cndmask_b32_e32 v90, v102, v95, vcc_lo
	v_cndmask_b32_e32 v102, v106, v99, vcc_lo
	v_cndmask_b32_e64 v106, v110, v95, s13
	v_cndmask_b32_e64 v110, v111, v99, s13
	;; [unrolled: 1-line block ×4, first 2 shown]
	v_lshrrev_b32_e32 v96, 16, v80
	v_lshrrev_b32_e32 v100, 16, v84
	v_cndmask_b32_e64 v111, v112, v95, s17
	v_cndmask_b32_e64 v112, v113, v99, s17
	v_cndmask_b32_e32 v82, v82, v103, vcc_lo
	v_cndmask_b32_e32 v83, v83, v107, vcc_lo
	v_cndmask_b32_e64 v94, v94, v103, s13
	v_cndmask_b32_e64 v90, v90, v80, s3
	;; [unrolled: 1-line block ×7, first 2 shown]
	v_lshrrev_b32_e32 v104, 16, v88
	v_cndmask_b32_e64 v106, v111, v80, s21
	v_cndmask_b32_e64 v110, v112, v84, s21
	;; [unrolled: 1-line block ×11, first 2 shown]
	v_lshrrev_b32_e32 v97, 16, v81
	v_lshrrev_b32_e32 v101, 16, v85
	v_cndmask_b32_e64 v99, v106, v96, s23
	v_cndmask_b32_e64 v102, v110, v100, s23
	;; [unrolled: 1-line block ×7, first 2 shown]
	v_lshrrev_b32_e32 v105, 16, v89
	v_cndmask_b32_e64 v80, v80, v104, s6
	v_cndmask_b32_e64 v84, v84, v81, s7
	;; [unrolled: 1-line block ×16, first 2 shown]
	v_perm_b32 v81, v79, v78, 0x5040100
	v_perm_b32 v79, v95, v85, 0x5040100
	v_cndmask_b32_e64 v78, v119, v91, s15
	v_cndmask_b32_e64 v85, v117, v91, s12
	;; [unrolled: 1-line block ×3, first 2 shown]
	v_perm_b32 v80, v94, v90, 0x5040100
	v_cndmask_b32_e64 v90, v98, v103, s17
	v_cndmask_b32_e64 v86, v86, v103, s18
	;; [unrolled: 1-line block ×5, first 2 shown]
	v_lshrrev_b32_e32 v108, 16, v92
	v_cndmask_b32_e64 v90, v90, v88, s21
	v_cndmask_b32_e64 v86, v86, v88, s22
	;; [unrolled: 1-line block ×11, first 2 shown]
	v_lshrrev_b32_e32 v109, 16, v93
	v_cndmask_b32_e64 v82, v82, v93, s7
	v_cndmask_b32_e64 v88, v88, v89, s26
	;; [unrolled: 1-line block ×12, first 2 shown]
	v_perm_b32 v78, v84, v83, 0x5040100
	v_perm_b32 v85, v87, v86, 0x5040100
	;; [unrolled: 1-line block ×5, first 2 shown]
	s_mul_i32 s8, s33, 13
	s_mov_b32 s3, exec_lo
	ds_store_b128 v74, v[78:81]
	ds_store_b128 v74, v[82:85] offset:1024
	v_cmpx_gt_u32_e32 13, v0
	s_cbranch_execz .LBB1338_14
; %bb.13:
	s_mul_i32 s4, s8, s34
	s_delay_alu instid0(SALU_CYCLE_1) | instskip(SKIP_1) | instid1(VALU_DEP_1)
	v_add3_u32 v68, s4, s31, v68
	s_load_b128 s[4:7], s[0:1], 0x58
	v_mad_u64_u32 v[78:79], null, v68, s35, s[14:15]
	s_delay_alu instid0(VALU_DEP_1) | instskip(NEXT) | instid1(VALU_DEP_1)
	v_ashrrev_i32_e32 v79, 31, v78
	v_lshlrev_b64 v[78:79], 2, v[78:79]
	s_waitcnt lgkmcnt(0)
	s_delay_alu instid0(VALU_DEP_1) | instskip(NEXT) | instid1(VALU_DEP_2)
	v_add_co_u32 v80, vcc_lo, s6, v78
	v_add_co_ci_u32_e32 v81, vcc_lo, s7, v79, vcc_lo
	v_add_co_u32 v78, vcc_lo, s4, v78
	v_add_co_ci_u32_e32 v79, vcc_lo, s5, v79, vcc_lo
	global_store_b32 v[80:81], v76, off
	global_store_b32 v[78:79], v77, off
.LBB1338_14:
	s_or_b32 exec_lo, exec_lo, s3
	s_waitcnt lgkmcnt(0)
	s_waitcnt_vscnt null, 0x0
	s_barrier
	buffer_gl0_inv
	ds_load_b128 v[84:87], v73
	ds_load_b128 v[88:91], v73 offset:16
	ds_load_b128 v[96:99], v73 offset:2064
	;; [unrolled: 1-line block ×5, first 2 shown]
	v_cmp_eq_u32_e32 vcc_lo, 1, v70
	v_mov_b32_e32 v76, 0
	ds_load_b128 v[112:115], v73 offset:6160
	ds_load_b128 v[108:111], v73 offset:6144
	;; [unrolled: 1-line block ×4, first 2 shown]
	v_cmp_eq_u32_e64 s4, 1, v69
	v_cmp_eq_u32_e64 s3, 1, v72
	;; [unrolled: 1-line block ×3, first 2 shown]
	v_mov_b32_e32 v77, v76
	v_mov_b32_e32 v78, v76
	;; [unrolled: 1-line block ×7, first 2 shown]
	v_cmp_eq_u32_e64 s6, 3, v72
	v_cmp_eq_u32_e64 s7, 7, v72
	s_waitcnt lgkmcnt(8)
	s_delay_alu instid0(VALU_DEP_3)
	v_wmma_f32_16x16x16_f16 v[76:83], v[49:56], v[84:91], v[76:83]
	ds_load_b128 v[53:56], v73 offset:10256
	ds_load_b128 v[49:52], v73 offset:10240
	s_waitcnt lgkmcnt(8)
	v_wmma_f32_16x16x16_f16 v[76:83], v[41:48], v[92:99], v[76:83]
	ds_load_b128 v[45:48], v73 offset:12304
	ds_load_b128 v[41:44], v73 offset:12288
	s_waitcnt lgkmcnt(8)
	v_wmma_f32_16x16x16_f16 v[76:83], v[33:40], v[100:107], v[76:83]
	ds_load_b128 v[37:40], v73 offset:14352
	ds_load_b128 v[33:36], v73 offset:14336
	s_waitcnt lgkmcnt(0)
	s_barrier
	buffer_gl0_inv
	v_wmma_f32_16x16x16_f16 v[76:83], v[1:8], v[108:115], v[76:83]
	s_delay_alu instid0(VALU_DEP_1) | instskip(NEXT) | instid1(VALU_DEP_1)
	v_wmma_f32_16x16x16_f16 v[76:83], v[9:16], v[116:123], v[76:83]
	v_wmma_f32_16x16x16_f16 v[76:83], v[17:24], v[49:56], v[76:83]
	s_delay_alu instid0(VALU_DEP_1) | instskip(NEXT) | instid1(VALU_DEP_1)
	v_wmma_f32_16x16x16_f16 v[76:83], v[25:32], v[41:48], v[76:83]
	v_wmma_f32_16x16x16_f16 v[76:83], v[57:64], v[33:40], v[76:83]
	s_delay_alu instid0(VALU_DEP_1) | instskip(NEXT) | instid1(VALU_DEP_2)
	v_cvt_f16_f32_e32 v1, v76
	v_cvt_f16_f32_e32 v2, v77
	s_delay_alu instid0(VALU_DEP_3) | instskip(NEXT) | instid1(VALU_DEP_4)
	v_cvt_f16_f32_e32 v3, v78
	v_cvt_f16_f32_e32 v4, v79
	;; [unrolled: 1-line block ×6, first 2 shown]
	v_pack_b32_f16 v1, v1, v2
	v_pack_b32_f16 v2, v3, v4
	;; [unrolled: 1-line block ×3, first 2 shown]
	s_delay_alu instid0(VALU_DEP_4)
	v_pack_b32_f16 v4, v7, v8
	ds_store_b128 v74, v[1:4]
	s_waitcnt lgkmcnt(0)
	s_barrier
	buffer_gl0_inv
	ds_load_b128 v[1:4], v75
	ds_load_b128 v[5:8], v75 offset:16
	s_waitcnt lgkmcnt(1)
	v_lshrrev_b32_e32 v9, 16, v1
	s_waitcnt lgkmcnt(0)
	v_lshrrev_b32_e32 v13, 16, v5
	v_lshrrev_b32_e32 v10, 16, v2
	;; [unrolled: 1-line block ×4, first 2 shown]
	v_cndmask_b32_e32 v17, v1, v9, vcc_lo
	v_cndmask_b32_e32 v18, v5, v13, vcc_lo
	v_cndmask_b32_e64 v21, v1, v9, s4
	v_cmp_eq_u32_e32 vcc_lo, 1, v71
	v_cndmask_b32_e64 v22, v5, v13, s4
	v_cmp_eq_u32_e64 s4, 2, v70
	v_cndmask_b32_e64 v19, v1, v9, s3
	v_cndmask_b32_e64 v20, v5, v13, s3
	v_cndmask_b32_e32 v1, v1, v9, vcc_lo
	v_cmp_eq_u32_e64 s3, 2, v71
	v_cndmask_b32_e32 v5, v5, v13, vcc_lo
	v_cndmask_b32_e64 v9, v17, v2, s4
	v_cmp_eq_u32_e32 vcc_lo, 3, v70
	v_cndmask_b32_e64 v13, v18, v6, s4
	v_cmp_eq_u32_e64 s4, 2, v69
	v_cndmask_b32_e64 v17, v19, v2, s5
	v_cndmask_b32_e64 v18, v20, v6, s5
	v_cmp_eq_u32_e64 s5, 3, v69
	v_cndmask_b32_e64 v1, v1, v2, s3
	v_cndmask_b32_e64 v19, v21, v2, s4
	;; [unrolled: 1-line block ×4, first 2 shown]
	v_cndmask_b32_e32 v5, v9, v10, vcc_lo
	v_cndmask_b32_e32 v6, v13, v14, vcc_lo
	v_cmp_eq_u32_e32 vcc_lo, 3, v71
	v_cndmask_b32_e64 v9, v17, v10, s6
	v_cndmask_b32_e64 v13, v18, v14, s6
	;; [unrolled: 1-line block ×3, first 2 shown]
	v_cmp_eq_u32_e64 s4, 4, v70
	v_cndmask_b32_e32 v1, v1, v10, vcc_lo
	v_cndmask_b32_e32 v2, v2, v14, vcc_lo
	v_cmp_eq_u32_e32 vcc_lo, 4, v72
	v_lshrrev_b32_e32 v15, 16, v7
	v_lshrrev_b32_e32 v16, 16, v8
	v_cndmask_b32_e64 v17, v19, v10, s5
	v_cmp_eq_u32_e64 s3, 4, v71
	v_cndmask_b32_e64 v5, v5, v3, s4
	v_cndmask_b32_e64 v6, v6, v7, s4
	v_cndmask_b32_e32 v9, v9, v3, vcc_lo
	v_cmp_eq_u32_e64 s4, 5, v72
	v_cndmask_b32_e32 v10, v13, v7, vcc_lo
	v_cmp_eq_u32_e32 vcc_lo, 4, v69
	v_cmp_eq_u32_e64 s5, 5, v70
	v_cndmask_b32_e64 v2, v2, v7, s3
	v_cndmask_b32_e64 v9, v9, v11, s4
	;; [unrolled: 1-line block ×3, first 2 shown]
	v_cndmask_b32_e32 v13, v17, v3, vcc_lo
	v_cmp_eq_u32_e64 s4, 5, v69
	v_cndmask_b32_e32 v14, v18, v7, vcc_lo
	v_cndmask_b32_e64 v1, v1, v3, s3
	v_cmp_eq_u32_e32 vcc_lo, 5, v71
	v_lshrrev_b32_e32 v12, 16, v4
	v_cndmask_b32_e64 v13, v13, v11, s4
	v_cndmask_b32_e64 v3, v14, v15, s4
	v_cmp_eq_u32_e64 s4, 6, v71
	v_cndmask_b32_e32 v1, v1, v11, vcc_lo
	v_cndmask_b32_e64 v5, v5, v11, s5
	v_cmp_eq_u32_e64 s6, 6, v70
	v_cndmask_b32_e64 v6, v6, v15, s5
	v_cmp_eq_u32_e64 s5, 6, v72
	v_cmp_eq_u32_e64 s3, 6, v69
	v_cndmask_b32_e64 v1, v1, v4, s4
	v_cndmask_b32_e32 v2, v2, v15, vcc_lo
	v_cmp_eq_u32_e32 vcc_lo, 7, v71
	v_cndmask_b32_e64 v5, v5, v4, s6
	v_cndmask_b32_e64 v9, v9, v4, s5
	;; [unrolled: 1-line block ×3, first 2 shown]
	v_cmp_eq_u32_e64 s6, 7, v70
	v_cndmask_b32_e32 v1, v1, v12, vcc_lo
	v_cndmask_b32_e64 v7, v13, v4, s3
	v_cndmask_b32_e64 v3, v3, v8, s3
	;; [unrolled: 1-line block ×3, first 2 shown]
	v_cmp_eq_u32_e64 s3, 7, v69
	v_cndmask_b32_e64 v4, v10, v8, s5
	v_cndmask_b32_e64 v5, v5, v12, s6
	;; [unrolled: 1-line block ×3, first 2 shown]
	v_cndmask_b32_e32 v2, v2, v16, vcc_lo
	v_cndmask_b32_e64 v7, v7, v12, s3
	v_cndmask_b32_e64 v3, v3, v16, s3
	;; [unrolled: 1-line block ×4, first 2 shown]
	v_perm_b32 v4, v2, v1, 0x5040100
	s_mov_b32 s3, exec_lo
	v_perm_b32 v3, v3, v7, 0x5040100
	v_perm_b32 v2, v8, v9, 0x5040100
	;; [unrolled: 1-line block ×3, first 2 shown]
	ds_store_b128 v74, v[1:4]
	s_waitcnt lgkmcnt(0)
	s_barrier
	buffer_gl0_inv
	v_cmpx_gt_u32_e32 32, v0
	s_cbranch_execz .LBB1338_2
; %bb.15:
	s_load_b64 s[4:5], s[0:1], 0x68
	v_lshlrev_b32_e32 v0, 10, v0
	v_lshlrev_b32_e32 v1, 4, v67
	s_lshl_b32 s0, s35, 7
	v_add_nc_u32_e32 v18, s31, v66
	s_mul_i32 s1, s0, s34
	s_delay_alu instid0(VALU_DEP_2) | instskip(SKIP_1) | instid1(VALU_DEP_2)
	v_and_or_b32 v0, 0x3800, v0, v1
	s_mul_i32 s6, s1, s8
	v_mul_lo_u32 v1, v18, s0
	s_ashr_i32 s7, s6, 31
	v_add_nc_u32_e32 v2, 2, v18
	v_lshl_or_b32 v19, v66, 6, v0
	s_lshl_b64 s[6:7], s[6:7], 1
	v_add_nc_u32_e32 v8, 4, v18
	v_add_nc_u32_e32 v15, 6, v18
	v_mul_lo_u32 v7, v2, s0
	ds_load_b128 v[3:6], v19
	v_ashrrev_i32_e32 v2, 31, v1
	v_mul_lo_u32 v11, v8, s0
	s_waitcnt lgkmcnt(0)
	s_add_u32 s1, s4, s6
	s_addc_u32 s3, s5, s7
	s_lshl_b32 s4, s14, 7
	v_lshlrev_b64 v[9:10], 1, v[1:2]
	s_ashr_i32 s5, s4, 31
	v_ashrrev_i32_e32 v8, 31, v7
	s_lshl_b64 s[4:5], s[4:5], 1
	v_ashrrev_i32_e32 v12, 31, v11
	s_add_u32 s1, s1, s4
	s_addc_u32 s3, s3, s5
	v_add_co_u32 v1, s1, s1, v65
	s_delay_alu instid0(VALU_DEP_1) | instskip(SKIP_1) | instid1(VALU_DEP_3)
	v_add_co_ci_u32_e64 v2, null, s3, 0, s1
	v_mul_lo_u32 v15, v15, s0
	v_add_co_u32 v13, vcc_lo, v1, v9
	s_delay_alu instid0(VALU_DEP_3)
	v_add_co_ci_u32_e32 v14, vcc_lo, v2, v10, vcc_lo
	v_lshlrev_b64 v[16:17], 1, v[7:8]
	ds_load_b128 v[7:10], v19 offset:128
	global_store_b128 v[13:14], v[3:6], off
	v_add_nc_u32_e32 v5, 8, v18
	v_lshlrev_b64 v[3:4], 1, v[11:12]
	v_add_co_u32 v23, vcc_lo, v1, v16
	v_ashrrev_i32_e32 v16, 31, v15
	s_delay_alu instid0(VALU_DEP_4) | instskip(SKIP_3) | instid1(VALU_DEP_3)
	v_mul_lo_u32 v25, v5, s0
	v_add_nc_u32_e32 v5, 10, v18
	v_add_co_ci_u32_e32 v24, vcc_lo, v2, v17, vcc_lo
	v_add_co_u32 v27, vcc_lo, v1, v3
	v_mul_lo_u32 v29, v5, s0
	v_add_co_ci_u32_e32 v28, vcc_lo, v2, v4, vcc_lo
	v_lshlrev_b64 v[31:32], 1, v[15:16]
	ds_load_b128 v[3:6], v19 offset:256
	ds_load_b128 v[11:14], v19 offset:384
	;; [unrolled: 1-line block ×4, first 2 shown]
	v_ashrrev_i32_e32 v26, 31, v25
	v_ashrrev_i32_e32 v30, 31, v29
	v_add_co_u32 v31, vcc_lo, v1, v31
	s_delay_alu instid0(VALU_DEP_3) | instskip(SKIP_1) | instid1(VALU_DEP_4)
	v_lshlrev_b64 v[25:26], 1, v[25:26]
	v_add_co_ci_u32_e32 v32, vcc_lo, v2, v32, vcc_lo
	v_lshlrev_b64 v[29:30], 1, v[29:30]
	s_delay_alu instid0(VALU_DEP_3) | instskip(NEXT) | instid1(VALU_DEP_4)
	v_add_co_u32 v25, vcc_lo, v1, v25
	v_add_co_ci_u32_e32 v26, vcc_lo, v2, v26, vcc_lo
	s_delay_alu instid0(VALU_DEP_3) | instskip(NEXT) | instid1(VALU_DEP_4)
	v_add_co_u32 v29, vcc_lo, v1, v29
	v_add_co_ci_u32_e32 v30, vcc_lo, v2, v30, vcc_lo
	s_waitcnt lgkmcnt(4)
	global_store_b128 v[23:24], v[7:10], off
	s_waitcnt lgkmcnt(3)
	global_store_b128 v[27:28], v[3:6], off
	;; [unrolled: 2-line block ×5, first 2 shown]
	s_and_b32 exec_lo, exec_lo, s2
	s_cbranch_execz .LBB1338_2
; %bb.16:
	ds_load_b128 v[3:6], v0 offset:768
	s_add_i32 s1, s31, 12
	s_delay_alu instid0(SALU_CYCLE_1) | instskip(NEXT) | instid1(SALU_CYCLE_1)
	s_mul_i32 s0, s1, s0
	s_ashr_i32 s1, s0, 31
	s_delay_alu instid0(SALU_CYCLE_1) | instskip(NEXT) | instid1(SALU_CYCLE_1)
	s_lshl_b64 s[0:1], s[0:1], 1
	v_add_co_u32 v0, vcc_lo, v1, s0
	v_add_co_ci_u32_e32 v1, vcc_lo, s1, v2, vcc_lo
	s_waitcnt lgkmcnt(0)
	global_store_b128 v[0:1], v[3:6], off
	s_nop 0
	s_sendmsg sendmsg(MSG_DEALLOC_VGPRS)
	s_endpgm
	.section	.rodata,"a",@progbits
	.p2align	6, 0x0
	.amdhsa_kernel _Z39paged_attention_ll4mi_QKV_mfma16_kernelIDF16_hLN4vllm18Fp8KVCacheDataTypeE1EDF16_Li32ELi128ELi256ELb0ELi13EL8MFMAType0EEvPKT_PKT0_S8_ifPKiSA_SA_iPKfiiiPfSD_PS3_PT2_iSC_SC_
		.amdhsa_group_segment_fixed_size 17472
		.amdhsa_private_segment_fixed_size 0
		.amdhsa_kernarg_size 400
		.amdhsa_user_sgpr_count 13
		.amdhsa_user_sgpr_dispatch_ptr 0
		.amdhsa_user_sgpr_queue_ptr 0
		.amdhsa_user_sgpr_kernarg_segment_ptr 1
		.amdhsa_user_sgpr_dispatch_id 0
		.amdhsa_user_sgpr_private_segment_size 0
		.amdhsa_wavefront_size32 1
		.amdhsa_uses_dynamic_stack 0
		.amdhsa_enable_private_segment 0
		.amdhsa_system_sgpr_workgroup_id_x 1
		.amdhsa_system_sgpr_workgroup_id_y 1
		.amdhsa_system_sgpr_workgroup_id_z 1
		.amdhsa_system_sgpr_workgroup_info 0
		.amdhsa_system_vgpr_workitem_id 0
		.amdhsa_next_free_vgpr 150
		.amdhsa_next_free_sgpr 37
		.amdhsa_reserve_vcc 1
		.amdhsa_float_round_mode_32 0
		.amdhsa_float_round_mode_16_64 0
		.amdhsa_float_denorm_mode_32 3
		.amdhsa_float_denorm_mode_16_64 3
		.amdhsa_dx10_clamp 1
		.amdhsa_ieee_mode 1
		.amdhsa_fp16_overflow 0
		.amdhsa_workgroup_processor_mode 1
		.amdhsa_memory_ordered 1
		.amdhsa_forward_progress 0
		.amdhsa_shared_vgpr_count 0
		.amdhsa_exception_fp_ieee_invalid_op 0
		.amdhsa_exception_fp_denorm_src 0
		.amdhsa_exception_fp_ieee_div_zero 0
		.amdhsa_exception_fp_ieee_overflow 0
		.amdhsa_exception_fp_ieee_underflow 0
		.amdhsa_exception_fp_ieee_inexact 0
		.amdhsa_exception_int_div_zero 0
	.end_amdhsa_kernel
	.section	.text._Z39paged_attention_ll4mi_QKV_mfma16_kernelIDF16_hLN4vllm18Fp8KVCacheDataTypeE1EDF16_Li32ELi128ELi256ELb0ELi13EL8MFMAType0EEvPKT_PKT0_S8_ifPKiSA_SA_iPKfiiiPfSD_PS3_PT2_iSC_SC_,"axG",@progbits,_Z39paged_attention_ll4mi_QKV_mfma16_kernelIDF16_hLN4vllm18Fp8KVCacheDataTypeE1EDF16_Li32ELi128ELi256ELb0ELi13EL8MFMAType0EEvPKT_PKT0_S8_ifPKiSA_SA_iPKfiiiPfSD_PS3_PT2_iSC_SC_,comdat
.Lfunc_end1338:
	.size	_Z39paged_attention_ll4mi_QKV_mfma16_kernelIDF16_hLN4vllm18Fp8KVCacheDataTypeE1EDF16_Li32ELi128ELi256ELb0ELi13EL8MFMAType0EEvPKT_PKT0_S8_ifPKiSA_SA_iPKfiiiPfSD_PS3_PT2_iSC_SC_, .Lfunc_end1338-_Z39paged_attention_ll4mi_QKV_mfma16_kernelIDF16_hLN4vllm18Fp8KVCacheDataTypeE1EDF16_Li32ELi128ELi256ELb0ELi13EL8MFMAType0EEvPKT_PKT0_S8_ifPKiSA_SA_iPKfiiiPfSD_PS3_PT2_iSC_SC_
                                        ; -- End function
	.section	.AMDGPU.csdata,"",@progbits
; Kernel info:
; codeLenInByte = 6860
; NumSgprs: 39
; NumVgprs: 150
; ScratchSize: 0
; MemoryBound: 0
; FloatMode: 240
; IeeeMode: 1
; LDSByteSize: 17472 bytes/workgroup (compile time only)
; SGPRBlocks: 4
; VGPRBlocks: 18
; NumSGPRsForWavesPerEU: 39
; NumVGPRsForWavesPerEU: 150
; Occupancy: 9
; WaveLimiterHint : 1
; COMPUTE_PGM_RSRC2:SCRATCH_EN: 0
; COMPUTE_PGM_RSRC2:USER_SGPR: 13
; COMPUTE_PGM_RSRC2:TRAP_HANDLER: 0
; COMPUTE_PGM_RSRC2:TGID_X_EN: 1
; COMPUTE_PGM_RSRC2:TGID_Y_EN: 1
; COMPUTE_PGM_RSRC2:TGID_Z_EN: 1
; COMPUTE_PGM_RSRC2:TIDIG_COMP_CNT: 0
	.section	.text._Z39paged_attention_ll4mi_QKV_mfma16_kernelIDF16_hLN4vllm18Fp8KVCacheDataTypeE1EDF16_Li32ELi128ELi256ELb0ELi14EL8MFMAType0EEvPKT_PKT0_S8_ifPKiSA_SA_iPKfiiiPfSD_PS3_PT2_iSC_SC_,"axG",@progbits,_Z39paged_attention_ll4mi_QKV_mfma16_kernelIDF16_hLN4vllm18Fp8KVCacheDataTypeE1EDF16_Li32ELi128ELi256ELb0ELi14EL8MFMAType0EEvPKT_PKT0_S8_ifPKiSA_SA_iPKfiiiPfSD_PS3_PT2_iSC_SC_,comdat
	.protected	_Z39paged_attention_ll4mi_QKV_mfma16_kernelIDF16_hLN4vllm18Fp8KVCacheDataTypeE1EDF16_Li32ELi128ELi256ELb0ELi14EL8MFMAType0EEvPKT_PKT0_S8_ifPKiSA_SA_iPKfiiiPfSD_PS3_PT2_iSC_SC_ ; -- Begin function _Z39paged_attention_ll4mi_QKV_mfma16_kernelIDF16_hLN4vllm18Fp8KVCacheDataTypeE1EDF16_Li32ELi128ELi256ELb0ELi14EL8MFMAType0EEvPKT_PKT0_S8_ifPKiSA_SA_iPKfiiiPfSD_PS3_PT2_iSC_SC_
	.globl	_Z39paged_attention_ll4mi_QKV_mfma16_kernelIDF16_hLN4vllm18Fp8KVCacheDataTypeE1EDF16_Li32ELi128ELi256ELb0ELi14EL8MFMAType0EEvPKT_PKT0_S8_ifPKiSA_SA_iPKfiiiPfSD_PS3_PT2_iSC_SC_
	.p2align	8
	.type	_Z39paged_attention_ll4mi_QKV_mfma16_kernelIDF16_hLN4vllm18Fp8KVCacheDataTypeE1EDF16_Li32ELi128ELi256ELb0ELi14EL8MFMAType0EEvPKT_PKT0_S8_ifPKiSA_SA_iPKfiiiPfSD_PS3_PT2_iSC_SC_,@function
_Z39paged_attention_ll4mi_QKV_mfma16_kernelIDF16_hLN4vllm18Fp8KVCacheDataTypeE1EDF16_Li32ELi128ELi256ELb0ELi14EL8MFMAType0EEvPKT_PKT0_S8_ifPKiSA_SA_iPKfiiiPfSD_PS3_PT2_iSC_SC_: ; @_Z39paged_attention_ll4mi_QKV_mfma16_kernelIDF16_hLN4vllm18Fp8KVCacheDataTypeE1EDF16_Li32ELi128ELi256ELb0ELi14EL8MFMAType0EEvPKT_PKT0_S8_ifPKiSA_SA_iPKfiiiPfSD_PS3_PT2_iSC_SC_
; %bb.0:
	s_load_b64 s[4:5], s[0:1], 0x30
	s_mov_b32 s30, s13
	s_waitcnt lgkmcnt(0)
	s_cmp_lg_u64 s[4:5], 0
	s_cselect_b32 s8, -1, 0
	s_ashr_i32 s31, s13, 31
	s_cmp_eq_u64 s[4:5], 0
	s_cbranch_scc1 .LBB1339_3
; %bb.1:
	s_lshl_b64 s[2:3], s[30:31], 2
	s_delay_alu instid0(SALU_CYCLE_1) | instskip(SKIP_4) | instid1(SALU_CYCLE_1)
	s_add_u32 s2, s4, s2
	s_addc_u32 s3, s5, s3
	s_load_b64 s[2:3], s[2:3], 0x0
	s_waitcnt lgkmcnt(0)
	s_sub_i32 s2, s3, s2
	s_cmp_eq_u32 s2, 1
	s_cselect_b32 s2, -1, 0
	s_delay_alu instid0(SALU_CYCLE_1)
	s_and_not1_b32 vcc_lo, exec_lo, s2
	s_cbranch_vccz .LBB1339_4
.LBB1339_2:
	s_endpgm
.LBB1339_3:
.LBB1339_4:
	s_load_b64 s[2:3], s[0:1], 0x28
	s_lshl_b64 s[6:7], s[30:31], 2
	s_waitcnt lgkmcnt(0)
	s_add_u32 s2, s2, s6
	s_addc_u32 s3, s3, s7
	s_lshl_b32 s12, s14, 8
	s_load_b32 s24, s[2:3], 0x0
	s_waitcnt lgkmcnt(0)
	s_cmp_ge_i32 s12, s24
	s_cbranch_scc1 .LBB1339_2
; %bb.5:
	s_clause 0x1
	s_load_b128 s[20:23], s[0:1], 0x8
	s_load_b64 s[2:3], s[0:1], 0x20
	s_and_not1_b32 vcc_lo, exec_lo, s8
	s_cbranch_vccnz .LBB1339_7
; %bb.6:
	s_add_u32 s4, s4, s6
	s_addc_u32 s5, s5, s7
	s_load_b32 s5, s[4:5], 0x0
	s_branch .LBB1339_8
.LBB1339_7:
	s_mov_b32 s5, s30
.LBB1339_8:
	s_load_b128 s[16:19], s[0:1], 0x48
	v_and_b32_e32 v68, 15, v0
	v_lshrrev_b32_e32 v69, 5, v0
	v_and_b32_e32 v70, 31, v0
	v_and_b32_e32 v67, 1, v0
	v_bfe_u32 v66, v0, 4, 1
	v_lshlrev_b32_e32 v1, 3, v68
	s_mul_i32 s31, s15, 14
	s_mov_b32 s4, exec_lo
	s_delay_alu instid0(VALU_DEP_1)
	v_lshlrev_b32_e32 v65, 1, v1
	v_cmpx_gt_u32_e32 0xe0, v0
	s_cbranch_execz .LBB1339_10
; %bb.9:
	s_load_b64 s[6:7], s[0:1], 0x0
	v_lshl_or_b32 v5, v69, 1, v66
	s_waitcnt lgkmcnt(0)
	s_mul_hi_i32 s9, s5, s16
	s_mul_i32 s8, s5, s16
	v_lshlrev_b32_e32 v6, 10, v68
	s_lshl_b64 s[8:9], s[8:9], 1
	v_add_lshl_u32 v1, v5, s31, 7
	v_lshlrev_b32_e32 v5, 6, v5
	v_lshlrev_b32_e32 v7, 10, v67
	v_and_b32_e32 v6, 0x3800, v6
	s_delay_alu instid0(VALU_DEP_4) | instskip(NEXT) | instid1(VALU_DEP_2)
	v_ashrrev_i32_e32 v2, 31, v1
	v_or3_b32 v5, v6, v7, v5
	s_delay_alu instid0(VALU_DEP_2) | instskip(SKIP_2) | instid1(VALU_DEP_1)
	v_lshlrev_b64 v[1:2], 1, v[1:2]
	s_add_u32 s5, s6, s8
	s_addc_u32 s6, s7, s9
	v_add_co_u32 v1, vcc_lo, s5, v1
	s_delay_alu instid0(VALU_DEP_2) | instskip(NEXT) | instid1(VALU_DEP_2)
	v_add_co_ci_u32_e32 v2, vcc_lo, s6, v2, vcc_lo
	v_add_co_u32 v1, vcc_lo, v1, v65
	s_delay_alu instid0(VALU_DEP_2)
	v_add_co_ci_u32_e32 v2, vcc_lo, 0, v2, vcc_lo
	global_load_b128 v[1:4], v[1:2], off
	s_waitcnt vmcnt(0)
	ds_store_b128 v5, v[1:4]
.LBB1339_10:
	s_or_b32 exec_lo, exec_lo, s4
	v_and_b32_e32 v1, 0xef, v0
	s_waitcnt lgkmcnt(0)
	s_add_i32 s5, s24, 31
	s_clause 0x1
	s_load_b32 s4, s[0:1], 0x38
	s_load_b32 s33, s[0:1], 0x98
	s_ashr_i32 s6, s5, 31
	v_add_nc_u32_e32 v1, s12, v1
	s_lshr_b32 s6, s6, 27
	s_load_b32 s19, s[0:1], 0x1c
	s_add_i32 s5, s5, s6
	s_waitcnt lgkmcnt(0)
	v_ashrrev_i32_e32 v2, 31, v1
	v_or_b32_e32 v3, 16, v1
	s_ashr_i32 s13, s5, 5
	v_cmp_gt_i32_e32 vcc_lo, s24, v1
	s_add_i32 s13, s13, -1
	v_lshrrev_b32_e32 v2, 27, v2
	s_barrier
	buffer_gl0_inv
	s_mul_i32 s15, s15, s18
	v_add_nc_u32_e32 v4, v1, v2
	s_mul_i32 s4, s30, s4
	s_delay_alu instid0(SALU_CYCLE_1) | instskip(NEXT) | instid1(VALU_DEP_1)
	s_ashr_i32 s5, s4, 31
	v_ashrrev_i32_e32 v4, 5, v4
	v_add_nc_u32_e32 v2, v3, v2
	s_lshl_b64 s[4:5], s[4:5], 2
	s_delay_alu instid0(SALU_CYCLE_1) | instskip(NEXT) | instid1(VALU_DEP_2)
	s_add_u32 s16, s2, s4
	v_cndmask_b32_e32 v1, s13, v4, vcc_lo
	s_delay_alu instid0(VALU_DEP_2)
	v_ashrrev_i32_e32 v2, 5, v2
	v_cmp_gt_i32_e32 vcc_lo, s24, v3
	s_addc_u32 s25, s3, s5
	s_ashr_i32 s18, s15, 31
	s_add_u32 s2, s20, s15
	s_addc_u32 s3, s21, s18
	v_cndmask_b32_e32 v3, s13, v2, vcc_lo
	v_ashrrev_i32_e32 v2, 31, v1
	s_lshl_b32 s4, s14, 3
	s_delay_alu instid0(SALU_CYCLE_1) | instskip(NEXT) | instid1(VALU_DEP_2)
	s_ashr_i32 s5, s4, 31
	v_ashrrev_i32_e32 v4, 31, v3
	s_delay_alu instid0(VALU_DEP_2) | instskip(SKIP_1) | instid1(SALU_CYCLE_1)
	v_lshlrev_b64 v[1:2], 2, v[1:2]
	s_lshl_b64 s[4:5], s[4:5], 2
	s_add_u32 s4, s16, s4
	s_delay_alu instid0(VALU_DEP_2) | instskip(SKIP_1) | instid1(VALU_DEP_2)
	v_lshlrev_b64 v[3:4], 2, v[3:4]
	s_addc_u32 s5, s25, s5
	v_add_co_u32 v1, vcc_lo, s16, v1
	v_add_co_ci_u32_e32 v2, vcc_lo, s25, v2, vcc_lo
	s_delay_alu instid0(VALU_DEP_3) | instskip(NEXT) | instid1(VALU_DEP_4)
	v_add_co_u32 v3, vcc_lo, s16, v3
	v_add_co_ci_u32_e32 v4, vcc_lo, s25, v4, vcc_lo
	s_clause 0x1
	global_load_b32 v5, v[1:2], off
	global_load_b32 v6, v[3:4], off
	s_or_b32 s6, s12, 32
	s_delay_alu instid0(SALU_CYCLE_1) | instskip(SKIP_2) | instid1(SALU_CYCLE_1)
	s_ashr_i32 s7, s6, 5
	s_cmp_lt_i32 s6, s24
	s_cselect_b32 s6, s7, s13
	s_ashr_i32 s7, s6, 31
	s_delay_alu instid0(SALU_CYCLE_1) | instskip(NEXT) | instid1(SALU_CYCLE_1)
	s_lshl_b64 s[6:7], s[6:7], 2
	s_add_u32 s6, s16, s6
	s_addc_u32 s7, s25, s7
	s_or_b32 s8, s12, 64
	s_delay_alu instid0(SALU_CYCLE_1) | instskip(SKIP_2) | instid1(SALU_CYCLE_1)
	s_ashr_i32 s9, s8, 5
	s_cmp_lt_i32 s8, s24
	s_cselect_b32 s8, s9, s13
	s_ashr_i32 s9, s8, 31
	s_delay_alu instid0(SALU_CYCLE_1) | instskip(NEXT) | instid1(SALU_CYCLE_1)
	s_lshl_b64 s[8:9], s[8:9], 2
	s_add_u32 s8, s16, s8
	s_addc_u32 s9, s25, s9
	;; [unrolled: 10-line block ×5, first 2 shown]
	s_clause 0x5
	s_load_b32 s28, s[4:5], 0x0
	s_load_b32 s29, s[6:7], 0x0
	;; [unrolled: 1-line block ×6, first 2 shown]
	s_mov_b32 s4, 0
	s_delay_alu instid0(SALU_CYCLE_1)
	s_mov_b32 s5, s4
	s_mov_b32 s6, s4
	;; [unrolled: 1-line block ×7, first 2 shown]
	s_delay_alu instid0(SALU_CYCLE_1)
	v_dual_mov_b32 v118, s11 :: v_dual_mov_b32 v117, s10
	v_dual_mov_b32 v116, s9 :: v_dual_mov_b32 v115, s8
	v_mov_b32_e32 v113, s6
	v_dual_mov_b32 v111, s4 :: v_dual_mov_b32 v114, s7
	v_mov_b32_e32 v112, s5
	s_waitcnt vmcnt(1)
	v_mad_i64_i32 v[1:2], null, v5, s17, s[2:3]
	v_lshlrev_b32_e32 v5, 4, v68
	s_waitcnt vmcnt(0)
	v_mad_i64_i32 v[3:4], null, v6, s17, s[2:3]
	s_or_b32 s2, s12, 0xc0
	s_delay_alu instid0(SALU_CYCLE_1) | instskip(NEXT) | instid1(VALU_DEP_3)
	s_ashr_i32 s3, s2, 5
	v_add_co_u32 v1, vcc_lo, v1, v5
	s_delay_alu instid0(VALU_DEP_4) | instskip(NEXT) | instid1(VALU_DEP_3)
	v_add_co_ci_u32_e32 v2, vcc_lo, 0, v2, vcc_lo
	v_add_co_u32 v3, vcc_lo, v3, v5
	s_delay_alu instid0(VALU_DEP_4)
	v_add_co_ci_u32_e32 v4, vcc_lo, 0, v4, vcc_lo
	s_clause 0xf
	global_load_b128 v[17:20], v[1:2], off
	global_load_b128 v[21:24], v[1:2], off offset:512
	global_load_b128 v[25:28], v[3:4], off offset:256
	;; [unrolled: 1-line block ×15, first 2 shown]
	s_cmp_lt_i32 s2, s24
	v_add_nc_u32_e32 v1, -14, v68
	s_cselect_b32 s2, s3, s13
	v_cmp_gt_u32_e32 vcc_lo, 14, v68
	s_ashr_i32 s3, s2, 31
	v_lshlrev_b32_e32 v2, 5, v68
	s_lshl_b64 s[2:3], s[2:3], 2
	s_delay_alu instid0(SALU_CYCLE_1)
	s_add_u32 s2, s16, s2
	s_addc_u32 s3, s25, s3
	s_or_b32 s20, s12, 0xe0
	v_cndmask_b32_e32 v1, v1, v68, vcc_lo
	s_ashr_i32 s21, s20, 5
	s_cmp_lt_i32 s20, s24
	s_cselect_b32 s20, s21, s13
	s_delay_alu instid0(VALU_DEP_1)
	v_lshlrev_b32_e32 v149, 6, v1
	s_ashr_i32 s21, s20, 31
	v_lshl_or_b32 v1, v69, 9, v2
	s_lshl_b64 s[4:5], s[20:21], 2
	ds_load_b128 v[119:122], v149
	ds_load_b128 v[123:126], v149 offset:1024
	s_add_u32 s4, s16, s4
	s_addc_u32 s5, s25, s5
	ds_load_b128 v[127:130], v149 offset:2048
	ds_load_b128 v[131:134], v149 offset:3072
	s_clause 0x1
	s_load_b32 s2, s[2:3], 0x0
	s_load_b32 s3, s[4:5], 0x0
	s_add_u32 s6, s22, s15
	s_addc_u32 s7, s23, s18
	v_add_co_u32 v135, s6, s6, v1
	s_delay_alu instid0(VALU_DEP_1) | instskip(SKIP_1) | instid1(VALU_DEP_1)
	v_add_co_ci_u32_e64 v136, null, s7, 0, s6
	s_waitcnt lgkmcnt(0)
	v_mad_i64_i32 v[1:2], null, s28, s17, v[135:136]
	v_mad_i64_i32 v[3:4], null, s29, s17, v[135:136]
	;; [unrolled: 1-line block ×6, first 2 shown]
	s_clause 0x9
	global_load_b128 v[49:52], v[1:2], off
	global_load_b128 v[53:56], v[1:2], off offset:16
	global_load_b128 v[41:44], v[3:4], off
	global_load_b128 v[45:48], v[3:4], off offset:16
	;; [unrolled: 2-line block ×5, first 2 shown]
	v_mad_i64_i32 v[145:146], null, s2, s17, v[135:136]
	v_mad_i64_i32 v[147:148], null, s3, s17, v[135:136]
	s_waitcnt vmcnt(24)
	v_wmma_f32_16x16x16_f16 v[135:142], v[17:24], v[119:126], v[111:118]
	s_waitcnt vmcnt(22)
	v_wmma_f32_16x16x16_f16 v[111:118], v[25:32], v[119:126], v[111:118]
	s_clause 0x3
	global_load_b128 v[17:20], v[143:144], off
	global_load_b128 v[21:24], v[143:144], off offset:16
	global_load_b128 v[25:28], v[145:146], off
	global_load_b128 v[29:32], v[145:146], off offset:16
	v_and_b32_e32 v119, 0xe0, v0
	s_waitcnt vmcnt(24)
	v_wmma_f32_16x16x16_f16 v[135:142], v[57:64], v[127:134], v[135:142]
	s_clause 0x1
	global_load_b128 v[57:60], v[147:148], off
	global_load_b128 v[61:64], v[147:148], off offset:16
	s_waitcnt vmcnt(24)
	v_wmma_f32_16x16x16_f16 v[111:118], v[71:78], v[127:134], v[111:118]
	ds_load_b128 v[71:74], v149 offset:4096
	ds_load_b128 v[75:78], v149 offset:5120
	v_add_nc_u32_e32 v128, s12, v119
	ds_load_b128 v[119:122], v149 offset:6144
	ds_load_b128 v[123:126], v149 offset:7168
	v_mbcnt_lo_u32_b32 v127, -1, 0
	s_waitcnt vmcnt(0) lgkmcnt(0)
	s_barrier
	v_or_b32_e32 v128, v128, v66
	buffer_gl0_inv
	v_xor_b32_e32 v129, 16, v127
	v_or_b32_e32 v130, 4, v128
	v_or_b32_e32 v131, 6, v128
	s_delay_alu instid0(VALU_DEP_3) | instskip(SKIP_4) | instid1(VALU_DEP_4)
	v_cmp_gt_i32_e32 vcc_lo, 32, v129
	v_or_b32_e32 v132, 8, v128
	v_or_b32_e32 v133, 10, v128
	v_cmp_gt_i32_e64 s3, s24, v130
	v_cmp_gt_i32_e64 s4, s24, v131
	;; [unrolled: 1-line block ×3, first 2 shown]
	v_wmma_f32_16x16x16_f16 v[135:142], v[79:86], v[71:78], v[135:142]
	v_wmma_f32_16x16x16_f16 v[111:118], v[87:94], v[71:78], v[111:118]
	v_or_b32_e32 v79, 12, v128
	v_or_b32_e32 v80, 14, v128
	v_cmp_gt_i32_e64 s6, s24, v133
	v_wmma_f32_16x16x16_f16 v[135:142], v[95:102], v[119:126], v[135:142]
	v_wmma_f32_16x16x16_f16 v[111:118], v[103:110], v[119:126], v[111:118]
	v_cndmask_b32_e32 v127, v127, v129, vcc_lo
	v_or_b32_e32 v129, 2, v128
	v_cmp_gt_i32_e32 vcc_lo, s24, v128
	s_delay_alu instid0(VALU_DEP_4) | instskip(SKIP_1) | instid1(VALU_DEP_4)
	v_dual_mul_f32 v87, s19, v136 :: v_dual_mul_f32 v94, s19, v113
	v_mul_f32_e32 v88, s19, v135
	v_cmp_gt_i32_e64 s2, s24, v129
	v_mul_f32_e32 v78, s19, v138
	v_mul_f32_e32 v86, s19, v137
	v_mul_f32_e32 v76, s19, v140
	v_cndmask_b32_e32 v88, 0xff7fffff, v88, vcc_lo
	v_cndmask_b32_e64 v87, 0xff7fffff, v87, s2
	v_dual_mul_f32 v77, s19, v139 :: v_dual_mul_f32 v90, s19, v117
	v_cndmask_b32_e64 v86, 0xff7fffff, v86, s3
	v_cndmask_b32_e64 v78, 0xff7fffff, v78, s4
	s_delay_alu instid0(VALU_DEP_4)
	v_max3_f32 v87, v88, 0xff7fffff, v87
	v_or_b32_e32 v81, 16, v128
	v_or_b32_e32 v82, 18, v128
	v_dual_mul_f32 v74, s19, v142 :: v_dual_mul_f32 v75, s19, v141
	v_mul_f32_e32 v96, s19, v111
	v_cndmask_b32_e64 v77, 0xff7fffff, v77, s5
	v_cndmask_b32_e64 v76, 0xff7fffff, v76, s6
	v_max3_f32 v78, v87, v86, v78
	v_cmp_gt_i32_e64 s7, s24, v79
	v_cmp_gt_i32_e64 s8, s24, v80
	v_or_b32_e32 v83, 20, v128
	v_or_b32_e32 v84, 22, v128
	v_mul_f32_e32 v95, s19, v112
	v_cndmask_b32_e64 v75, 0xff7fffff, v75, s7
	v_cndmask_b32_e64 v74, 0xff7fffff, v74, s8
	v_max3_f32 v76, v78, v77, v76
	v_cmp_gt_i32_e64 s9, s24, v81
	v_cmp_gt_i32_e64 s10, s24, v82
	v_or_b32_e32 v85, 24, v128
	v_or_b32_e32 v71, 26, v128
	v_mul_f32_e32 v93, s19, v114
	v_cndmask_b32_e64 v77, 0xff7fffff, v96, s9
	v_cndmask_b32_e64 v78, 0xff7fffff, v95, s10
	v_max3_f32 v74, v76, v75, v74
	v_cmp_gt_i32_e64 s11, s24, v83
	v_cmp_gt_i32_e64 s12, s24, v84
	v_or_b32_e32 v72, 28, v128
	v_or_b32_e32 v73, 30, v128
	v_dual_mul_f32 v91, s19, v116 :: v_dual_mul_f32 v92, s19, v115
	v_cndmask_b32_e64 v75, 0xff7fffff, v94, s11
	v_cndmask_b32_e64 v76, 0xff7fffff, v93, s12
	v_max3_f32 v74, v74, v77, v78
	v_cmp_gt_i32_e64 s13, s24, v85
	v_cmp_gt_i32_e64 s15, s24, v71
	v_mul_f32_e32 v89, s19, v118
	v_cmp_gt_i32_e64 s16, s24, v72
	v_max3_f32 v74, v74, v75, v76
	v_cndmask_b32_e64 v77, 0xff7fffff, v92, s13
	v_cndmask_b32_e64 v71, 0xff7fffff, v91, s15
	v_cmp_gt_i32_e64 s17, s24, v73
	v_cndmask_b32_e64 v72, 0xff7fffff, v90, s16
	s_delay_alu instid0(VALU_DEP_3) | instskip(SKIP_1) | instid1(VALU_DEP_4)
	v_max3_f32 v71, v74, v77, v71
	v_lshlrev_b32_e32 v74, 2, v127
	v_cndmask_b32_e64 v73, 0xff7fffff, v89, s17
	s_delay_alu instid0(VALU_DEP_1) | instskip(SKIP_3) | instid1(VALU_DEP_1)
	v_max3_f32 v71, v71, v72, v73
	ds_bpermute_b32 v72, v74, v71
	s_waitcnt lgkmcnt(0)
	v_max_f32_e32 v72, v72, v72
	v_max_f32_e32 v71, v71, v72
	s_delay_alu instid0(VALU_DEP_1) | instskip(SKIP_4) | instid1(VALU_DEP_4)
	v_fma_f32 v72, s19, v135, -v71
	v_fma_f32 v73, s19, v136, -v71
	v_fma_f32 v75, s19, v137, -v71
	v_fma_f32 v76, s19, v138, -v71
	v_fma_f32 v77, s19, v139, -v71
	v_dual_mul_f32 v72, 0x3fb8aa3b, v72 :: v_dual_mul_f32 v73, 0x3fb8aa3b, v73
	s_delay_alu instid0(VALU_DEP_3) | instskip(SKIP_1) | instid1(VALU_DEP_3)
	v_dual_mul_f32 v75, 0x3fb8aa3b, v75 :: v_dual_mul_f32 v76, 0x3fb8aa3b, v76
	v_fma_f32 v80, s19, v141, -v71
	v_exp_f32_e32 v72, v72
	s_delay_alu instid0(VALU_DEP_3) | instskip(NEXT) | instid1(VALU_DEP_2)
	v_exp_f32_e32 v73, v73
	v_exp_f32_e32 v75, v75
	;; [unrolled: 1-line block ×3, first 2 shown]
	v_mul_f32_e32 v82, 0x3fb8aa3b, v80
	s_delay_alu instid0(VALU_DEP_1) | instskip(SKIP_4) | instid1(TRANS32_DEP_3)
	v_exp_f32_e32 v84, v82
	v_cndmask_b32_e32 v79, 0, v72, vcc_lo
	v_fma_f32 v72, s19, v140, -v71
	v_mul_f32_e32 v77, 0x3fb8aa3b, v77
	v_cndmask_b32_e64 v78, 0, v73, s2
	v_cndmask_b32_e64 v81, 0, v75, s3
	s_delay_alu instid0(VALU_DEP_4) | instskip(NEXT) | instid1(VALU_DEP_4)
	v_dual_add_f32 v73, 0, v79 :: v_dual_mul_f32 v72, 0x3fb8aa3b, v72
	v_exp_f32_e32 v77, v77
	v_cndmask_b32_e64 v80, 0, v76, s4
	s_delay_alu instid0(TRANS32_DEP_2) | instskip(NEXT) | instid1(VALU_DEP_3)
	v_cndmask_b32_e64 v85, 0, v84, s7
	v_add_f32_e32 v73, v73, v78
	v_exp_f32_e32 v72, v72
	s_mov_b32 s2, exec_lo
	s_delay_alu instid0(VALU_DEP_1) | instskip(SKIP_4) | instid1(VALU_DEP_2)
	v_add_f32_e32 v73, v73, v81
	s_waitcnt_depctr 0xfff
	v_cndmask_b32_e64 v83, 0, v77, s5
	v_add_f32_e32 v73, v73, v80
	v_cndmask_b32_e64 v82, 0, v72, s6
	v_add_f32_e32 v72, v73, v83
	s_delay_alu instid0(VALU_DEP_1) | instskip(NEXT) | instid1(VALU_DEP_1)
	v_add_f32_e32 v72, v72, v82
	v_add_f32_e32 v72, v72, v85
	v_fma_f32 v76, s19, v111, -v71
	v_fma_f32 v75, s19, v142, -v71
	;; [unrolled: 1-line block ×5, first 2 shown]
	s_delay_alu instid0(VALU_DEP_4) | instskip(NEXT) | instid1(VALU_DEP_3)
	v_dual_mul_f32 v76, 0x3fb8aa3b, v76 :: v_dual_mul_f32 v75, 0x3fb8aa3b, v75
	v_mul_f32_e32 v86, 0x3fb8aa3b, v86
	s_delay_alu instid0(VALU_DEP_2) | instskip(NEXT) | instid1(VALU_DEP_2)
	v_exp_f32_e32 v76, v76
	v_exp_f32_e32 v75, v75
	s_delay_alu instid0(VALU_DEP_1) | instskip(NEXT) | instid1(TRANS32_DEP_3)
	v_exp_f32_e32 v88, v86
	v_cndmask_b32_e64 v87, 0, v76, s9
	v_fma_f32 v76, s19, v116, -v71
	v_mul_f32_e32 v77, 0x3fb8aa3b, v77
	s_waitcnt_depctr 0xfff
	v_cndmask_b32_e64 v84, 0, v75, s8
	v_fma_f32 v75, s19, v115, -v71
	v_cndmask_b32_e64 v88, 0, v88, s12
	v_mul_f32_e32 v76, 0x3fb8aa3b, v76
	v_exp_f32_e32 v77, v77
	v_add_f32_e32 v72, v72, v84
	s_delay_alu instid0(VALU_DEP_2) | instskip(NEXT) | instid1(VALU_DEP_1)
	v_exp_f32_e32 v76, v76
	v_add_f32_e32 v72, v72, v87
	s_waitcnt_depctr 0xfff
	v_cndmask_b32_e64 v86, 0, v77, s10
	v_mul_f32_e32 v73, 0x3fb8aa3b, v73
	v_fma_f32 v77, s19, v117, -v71
	v_cndmask_b32_e64 v90, 0, v76, s15
	s_delay_alu instid0(VALU_DEP_4) | instskip(NEXT) | instid1(VALU_DEP_4)
	v_add_f32_e32 v72, v72, v86
	v_exp_f32_e32 v73, v73
	s_waitcnt_depctr 0xfff
	v_cndmask_b32_e64 v89, 0, v73, s11
	s_delay_alu instid0(VALU_DEP_1) | instskip(NEXT) | instid1(VALU_DEP_1)
	v_dual_mul_f32 v75, 0x3fb8aa3b, v75 :: v_dual_add_f32 v72, v72, v89
	v_exp_f32_e32 v75, v75
	v_mul_f32_e32 v73, 0x3fb8aa3b, v77
	v_fma_f32 v77, s19, v118, -v71
	s_delay_alu instid0(VALU_DEP_3) | instskip(NEXT) | instid1(VALU_DEP_3)
	v_add_f32_e32 v72, v72, v88
	v_exp_f32_e32 v73, v73
	s_waitcnt_depctr 0xfff
	v_cndmask_b32_e64 v91, 0, v75, s13
	s_delay_alu instid0(VALU_DEP_1) | instskip(NEXT) | instid1(VALU_DEP_1)
	v_dual_mul_f32 v75, 0x3fb8aa3b, v77 :: v_dual_add_f32 v72, v72, v91
	v_exp_f32_e32 v75, v75
	v_cndmask_b32_e64 v93, 0, v73, s16
	s_delay_alu instid0(VALU_DEP_2) | instskip(NEXT) | instid1(VALU_DEP_1)
	v_add_f32_e32 v72, v72, v90
	v_add_f32_e32 v72, v72, v93
	s_waitcnt_depctr 0xfff
	v_cndmask_b32_e64 v92, 0, v75, s17
	s_delay_alu instid0(VALU_DEP_1)
	v_add_f32_e32 v72, v72, v92
	ds_bpermute_b32 v73, v74, v72
	v_cmpx_gt_u32_e32 16, v70
	s_cbranch_execz .LBB1339_12
; %bb.11:
	v_mul_u32_u24_e32 v70, 0x44, v69
	s_waitcnt lgkmcnt(0)
	v_add_f32_e32 v72, v72, v73
	s_delay_alu instid0(VALU_DEP_2) | instskip(NEXT) | instid1(VALU_DEP_1)
	v_lshl_add_u32 v70, v68, 2, v70
	v_add_nc_u32_e32 v70, 0x4000, v70
	ds_store_2addr_b32 v70, v71, v72 offset1:136
.LBB1339_12:
	s_or_b32 exec_lo, exec_lo, s2
	v_lshlrev_b32_e32 v70, 2, v68
	s_load_b32 s34, s[0:1], 0x94
	s_waitcnt lgkmcnt(0)
	s_barrier
	buffer_gl0_inv
	v_add_nc_u32_e32 v98, 0x4000, v70
	v_cmp_eq_u32_e32 vcc_lo, 1, v69
	v_cmp_eq_u32_e64 s2, 2, v69
	v_cmp_eq_u32_e64 s3, 3, v69
	;; [unrolled: 1-line block ×3, first 2 shown]
	ds_load_2addr_b32 v[70:71], v98 offset1:17
	ds_load_2addr_b32 v[72:73], v98 offset0:34 offset1:51
	ds_load_2addr_b32 v[74:75], v98 offset0:68 offset1:85
	;; [unrolled: 1-line block ×3, first 2 shown]
	v_cmp_eq_u32_e64 s5, 5, v69
	v_cmp_eq_u32_e64 s6, 7, v69
	s_waitcnt lgkmcnt(3)
	v_max3_f32 v76, v70, 0xff7fffff, v71
	s_waitcnt lgkmcnt(2)
	s_delay_alu instid0(VALU_DEP_1) | instskip(SKIP_1) | instid1(VALU_DEP_1)
	v_max3_f32 v76, v76, v72, v73
	s_waitcnt lgkmcnt(1)
	v_max3_f32 v76, v76, v74, v75
	s_waitcnt lgkmcnt(0)
	s_delay_alu instid0(VALU_DEP_1) | instskip(NEXT) | instid1(VALU_DEP_1)
	v_max3_f32 v76, v76, v94, v95
	v_sub_f32_e32 v77, v71, v76
	ds_load_2addr_b32 v[96:97], v98 offset0:136 offset1:153
	v_sub_f32_e32 v74, v74, v76
	v_sub_f32_e32 v70, v70, v76
	;; [unrolled: 1-line block ×3, first 2 shown]
	v_dual_sub_f32 v72, v72, v76 :: v_dual_mul_f32 v77, 0x3fb8aa3b, v77
	s_delay_alu instid0(VALU_DEP_4) | instskip(NEXT) | instid1(VALU_DEP_4)
	v_mul_f32_e32 v103, 0x3fb8aa3b, v74
	v_mul_f32_e32 v99, 0x3fb8aa3b, v70
	ds_load_2addr_b32 v[70:71], v98 offset0:170 offset1:187
	v_dual_mul_f32 v101, 0x3fb8aa3b, v72 :: v_dual_mul_f32 v94, 0x3fb8aa3b, v94
	v_exp_f32_e32 v102, v77
	v_exp_f32_e32 v99, v99
	s_delay_alu instid0(VALU_DEP_1) | instskip(NEXT) | instid1(VALU_DEP_1)
	v_exp_f32_e32 v101, v101
	v_exp_f32_e32 v94, v94
	s_waitcnt lgkmcnt(1)
	s_delay_alu instid0(TRANS32_DEP_3)
	v_fma_f32 v77, v99, v96, 0
	v_sub_f32_e32 v100, v73, v76
	ds_load_2addr_b32 v[72:73], v98 offset0:204 offset1:221
	v_fmac_f32_e32 v77, v102, v97
	v_exp_f32_e32 v97, v103
	s_waitcnt lgkmcnt(1)
	s_delay_alu instid0(VALU_DEP_1)
	v_dual_fmac_f32 v77, v101, v70 :: v_dual_sub_f32 v96, v75, v76
	ds_load_2addr_b32 v[74:75], v98 offset0:238 offset1:255
	v_sub_f32_e32 v70, v95, v76
	s_waitcnt lgkmcnt(0)
	s_barrier
	v_mul_f32_e32 v96, 0x3fb8aa3b, v96
	buffer_gl0_inv
	v_exp_f32_e32 v95, v96
	v_mul_f32_e32 v100, 0x3fb8aa3b, v100
	s_delay_alu instid0(VALU_DEP_1) | instskip(SKIP_3) | instid1(VALU_DEP_2)
	v_exp_f32_e32 v100, v100
	s_waitcnt_depctr 0xfff
	v_dual_fmac_f32 v77, v100, v71 :: v_dual_mul_f32 v70, 0x3fb8aa3b, v70
	v_cndmask_b32_e32 v71, v99, v102, vcc_lo
	v_fmac_f32_e32 v77, v97, v72
	s_delay_alu instid0(VALU_DEP_3) | instskip(NEXT) | instid1(VALU_DEP_1)
	v_exp_f32_e32 v96, v70
	v_fmac_f32_e32 v77, v95, v73
	s_delay_alu instid0(VALU_DEP_1) | instskip(SKIP_2) | instid1(VALU_DEP_1)
	v_fmac_f32_e32 v77, v94, v74
	s_waitcnt_depctr 0xfff
	v_fmac_f32_e32 v77, v96, v75
	v_add_f32_e32 v74, 0x358637bd, v77
	s_delay_alu instid0(VALU_DEP_1) | instskip(SKIP_1) | instid1(VALU_DEP_2)
	v_div_scale_f32 v98, null, v74, v74, 1.0
	v_div_scale_f32 v99, vcc_lo, 1.0, v74, 1.0
	v_rcp_f32_e32 v103, v98
	s_waitcnt_depctr 0xfff
	v_fma_f32 v70, -v98, v103, 1.0
	s_delay_alu instid0(VALU_DEP_1) | instskip(SKIP_2) | instid1(VALU_DEP_2)
	v_fmac_f32_e32 v103, v70, v103
	v_cndmask_b32_e64 v70, v71, v101, s2
	v_cmp_eq_u32_e64 s2, 6, v69
	v_cndmask_b32_e64 v71, v70, v100, s3
	s_delay_alu instid0(VALU_DEP_4) | instskip(NEXT) | instid1(VALU_DEP_2)
	v_dual_mul_f32 v101, v99, v103 :: v_dual_lshlrev_b32 v70, 2, v66
	v_cndmask_b32_e64 v71, v71, v97, s4
	s_delay_alu instid0(VALU_DEP_2) | instskip(NEXT) | instid1(VALU_DEP_3)
	v_or_b32_e32 v72, 1, v70
	v_fma_f32 v100, -v98, v101, v99
	v_cmp_eq_u32_e64 s3, 1, v70
	v_cmp_eq_u32_e64 s4, 2, v70
	v_cndmask_b32_e64 v95, v71, v95, s5
	v_or_b32_e32 v71, 3, v70
	v_fmac_f32_e32 v101, v100, v103
	v_cmp_eq_u32_e64 s8, 1, v72
	v_cmp_eq_u32_e64 s11, 2, v72
	v_cndmask_b32_e64 v94, v95, v94, s2
	v_cmp_eq_u32_e64 s10, 1, v71
	v_fma_f32 v97, -v98, v101, v99
	v_cmp_eq_u32_e64 s15, 2, v71
	v_cmp_eq_u32_e64 s12, 3, v72
	v_cndmask_b32_e64 v94, v94, v96, s6
	v_cmp_eq_u32_e64 s17, 3, v71
	v_div_fmas_f32 v95, v97, v103, v101
	v_cmp_eq_u32_e32 vcc_lo, 3, v70
	v_cmp_eq_u32_e64 s2, 4, v70
	v_cmp_eq_u32_e64 s18, 4, v72
	;; [unrolled: 1-line block ×3, first 2 shown]
	v_div_fixup_f32 v95, v95, v74, 1.0
	v_lshlrev_b32_e32 v73, 6, v68
	v_cmp_eq_u32_e64 s5, 5, v70
	v_cmp_eq_u32_e64 s19, 5, v72
	v_cmp_eq_u32_e64 s23, 5, v71
	v_mul_f32_e32 v102, v94, v95
	v_lshl_or_b32 v75, v69, 11, v73
	v_or_b32_e32 v69, 2, v70
	v_cmp_eq_u32_e64 s24, 6, v72
	v_cmp_eq_u32_e64 s26, 6, v71
	v_fma_mixlo_f16 v94, v102, v79, 0
	v_fma_mixlo_f16 v95, v102, v81, 0
	;; [unrolled: 1-line block ×8, first 2 shown]
	v_lshl_or_b32 v74, v66, 4, v75
	v_fma_mixhi_f16 v94, v102, v78, 0
	v_fma_mixhi_f16 v95, v102, v80, 0
	;; [unrolled: 1-line block ×8, first 2 shown]
	ds_store_b128 v74, v[94:97]
	ds_store_b128 v74, v[98:101] offset:1024
	s_waitcnt lgkmcnt(0)
	s_barrier
	buffer_gl0_inv
	ds_load_b128 v[78:81], v75
	ds_load_b128 v[82:85], v75 offset:16
	ds_load_b128 v[86:89], v75 offset:1024
	;; [unrolled: 1-line block ×3, first 2 shown]
	v_cmp_eq_u32_e64 s9, 1, v69
	v_cmp_eq_u32_e64 s13, 2, v69
	;; [unrolled: 1-line block ×11, first 2 shown]
	s_waitcnt lgkmcnt(3)
	v_lshrrev_b32_e32 v94, 16, v78
	s_waitcnt lgkmcnt(2)
	v_lshrrev_b32_e32 v98, 16, v82
	;; [unrolled: 2-line block ×4, first 2 shown]
	v_lshrrev_b32_e32 v95, 16, v79
	v_cndmask_b32_e64 v110, v78, v94, s3
	v_cndmask_b32_e64 v111, v82, v98, s3
	;; [unrolled: 1-line block ×8, first 2 shown]
	v_lshrrev_b32_e32 v99, 16, v83
	v_cndmask_b32_e64 v94, v86, v102, s3
	v_cndmask_b32_e64 v98, v90, v106, s3
	;; [unrolled: 1-line block ×15, first 2 shown]
	v_lshrrev_b32_e32 v103, 16, v87
	v_lshrrev_b32_e32 v107, 16, v91
	v_cndmask_b32_e64 v113, v115, v83, s13
	v_cndmask_b32_e64 v82, v94, v87, s4
	;; [unrolled: 1-line block ×7, first 2 shown]
	v_cndmask_b32_e32 v90, v102, v95, vcc_lo
	v_cndmask_b32_e32 v102, v106, v99, vcc_lo
	v_cndmask_b32_e64 v106, v110, v95, s12
	v_cndmask_b32_e64 v110, v111, v99, s12
	;; [unrolled: 1-line block ×4, first 2 shown]
	v_lshrrev_b32_e32 v96, 16, v80
	v_lshrrev_b32_e32 v100, 16, v84
	v_cndmask_b32_e64 v111, v112, v95, s16
	v_cndmask_b32_e64 v112, v113, v99, s16
	v_cndmask_b32_e32 v82, v82, v103, vcc_lo
	v_cndmask_b32_e32 v83, v83, v107, vcc_lo
	v_cndmask_b32_e64 v94, v94, v103, s12
	v_cndmask_b32_e64 v90, v90, v80, s2
	;; [unrolled: 1-line block ×7, first 2 shown]
	v_lshrrev_b32_e32 v104, 16, v88
	v_cndmask_b32_e64 v106, v111, v80, s20
	v_cndmask_b32_e64 v110, v112, v84, s20
	;; [unrolled: 1-line block ×11, first 2 shown]
	v_lshrrev_b32_e32 v97, 16, v81
	v_lshrrev_b32_e32 v101, 16, v85
	v_cndmask_b32_e64 v99, v106, v96, s22
	v_cndmask_b32_e64 v102, v110, v100, s22
	;; [unrolled: 1-line block ×7, first 2 shown]
	v_lshrrev_b32_e32 v105, 16, v89
	v_cndmask_b32_e64 v80, v80, v104, s5
	v_cndmask_b32_e64 v84, v84, v81, s6
	;; [unrolled: 1-line block ×16, first 2 shown]
	v_perm_b32 v81, v79, v78, 0x5040100
	v_perm_b32 v79, v95, v85, 0x5040100
	v_cndmask_b32_e64 v78, v119, v91, s13
	v_cndmask_b32_e64 v85, v117, v91, s11
	;; [unrolled: 1-line block ×3, first 2 shown]
	v_perm_b32 v80, v94, v90, 0x5040100
	v_cndmask_b32_e64 v90, v98, v103, s16
	v_cndmask_b32_e64 v86, v86, v103, s17
	;; [unrolled: 1-line block ×5, first 2 shown]
	v_lshrrev_b32_e32 v108, 16, v92
	v_cndmask_b32_e64 v90, v90, v88, s20
	v_cndmask_b32_e64 v86, v86, v88, s21
	;; [unrolled: 1-line block ×11, first 2 shown]
	v_lshrrev_b32_e32 v109, 16, v93
	v_cndmask_b32_e64 v82, v82, v93, s6
	v_cndmask_b32_e64 v88, v88, v89, s25
	;; [unrolled: 1-line block ×12, first 2 shown]
	v_perm_b32 v78, v84, v83, 0x5040100
	v_perm_b32 v85, v87, v86, 0x5040100
	;; [unrolled: 1-line block ×5, first 2 shown]
	s_mul_i32 s7, s33, 14
	s_mov_b32 s2, exec_lo
	ds_store_b128 v74, v[78:81]
	ds_store_b128 v74, v[82:85] offset:1024
	v_cmpx_gt_u32_e32 14, v0
	s_cbranch_execz .LBB1339_14
; %bb.13:
	s_mul_i32 s3, s7, s30
	s_load_b128 s[8:11], s[0:1], 0x58
	v_add3_u32 v68, s3, s31, v68
	s_delay_alu instid0(VALU_DEP_1) | instskip(NEXT) | instid1(VALU_DEP_1)
	v_mad_u64_u32 v[78:79], null, v68, s34, s[14:15]
	v_ashrrev_i32_e32 v79, 31, v78
	s_delay_alu instid0(VALU_DEP_1) | instskip(SKIP_1) | instid1(VALU_DEP_1)
	v_lshlrev_b64 v[78:79], 2, v[78:79]
	s_waitcnt lgkmcnt(0)
	v_add_co_u32 v80, vcc_lo, s10, v78
	s_delay_alu instid0(VALU_DEP_2)
	v_add_co_ci_u32_e32 v81, vcc_lo, s11, v79, vcc_lo
	v_add_co_u32 v78, vcc_lo, s8, v78
	v_add_co_ci_u32_e32 v79, vcc_lo, s9, v79, vcc_lo
	global_store_b32 v[80:81], v76, off
	global_store_b32 v[78:79], v77, off
.LBB1339_14:
	s_or_b32 exec_lo, exec_lo, s2
	s_waitcnt lgkmcnt(0)
	s_waitcnt_vscnt null, 0x0
	s_barrier
	buffer_gl0_inv
	ds_load_b128 v[84:87], v73
	ds_load_b128 v[88:91], v73 offset:16
	ds_load_b128 v[96:99], v73 offset:2064
	;; [unrolled: 1-line block ×5, first 2 shown]
	v_cmp_eq_u32_e32 vcc_lo, 1, v70
	v_mov_b32_e32 v76, 0
	ds_load_b128 v[112:115], v73 offset:6160
	ds_load_b128 v[108:111], v73 offset:6144
	;; [unrolled: 1-line block ×4, first 2 shown]
	v_cmp_eq_u32_e64 s3, 1, v69
	v_cmp_eq_u32_e64 s2, 1, v72
	;; [unrolled: 1-line block ×3, first 2 shown]
	v_mov_b32_e32 v77, v76
	v_mov_b32_e32 v78, v76
	;; [unrolled: 1-line block ×7, first 2 shown]
	v_cmp_eq_u32_e64 s5, 3, v72
	v_cmp_eq_u32_e64 s6, 7, v72
	s_waitcnt lgkmcnt(8)
	s_delay_alu instid0(VALU_DEP_3)
	v_wmma_f32_16x16x16_f16 v[76:83], v[49:56], v[84:91], v[76:83]
	ds_load_b128 v[53:56], v73 offset:10256
	ds_load_b128 v[49:52], v73 offset:10240
	s_waitcnt lgkmcnt(8)
	v_wmma_f32_16x16x16_f16 v[76:83], v[41:48], v[92:99], v[76:83]
	ds_load_b128 v[45:48], v73 offset:12304
	ds_load_b128 v[41:44], v73 offset:12288
	s_waitcnt lgkmcnt(8)
	;; [unrolled: 4-line block ×3, first 2 shown]
	s_barrier
	buffer_gl0_inv
	v_wmma_f32_16x16x16_f16 v[76:83], v[1:8], v[108:115], v[76:83]
	s_delay_alu instid0(VALU_DEP_1) | instskip(NEXT) | instid1(VALU_DEP_1)
	v_wmma_f32_16x16x16_f16 v[76:83], v[9:16], v[116:123], v[76:83]
	v_wmma_f32_16x16x16_f16 v[76:83], v[17:24], v[49:56], v[76:83]
	s_delay_alu instid0(VALU_DEP_1) | instskip(NEXT) | instid1(VALU_DEP_1)
	v_wmma_f32_16x16x16_f16 v[76:83], v[25:32], v[41:48], v[76:83]
	v_wmma_f32_16x16x16_f16 v[76:83], v[57:64], v[33:40], v[76:83]
	s_delay_alu instid0(VALU_DEP_1) | instskip(NEXT) | instid1(VALU_DEP_2)
	v_cvt_f16_f32_e32 v1, v76
	v_cvt_f16_f32_e32 v2, v77
	s_delay_alu instid0(VALU_DEP_3) | instskip(NEXT) | instid1(VALU_DEP_4)
	v_cvt_f16_f32_e32 v3, v78
	v_cvt_f16_f32_e32 v4, v79
	v_cvt_f16_f32_e32 v5, v80
	v_cvt_f16_f32_e32 v6, v81
	v_cvt_f16_f32_e32 v7, v82
	v_cvt_f16_f32_e32 v8, v83
	v_pack_b32_f16 v1, v1, v2
	v_pack_b32_f16 v2, v3, v4
	;; [unrolled: 1-line block ×3, first 2 shown]
	s_delay_alu instid0(VALU_DEP_4)
	v_pack_b32_f16 v4, v7, v8
	ds_store_b128 v74, v[1:4]
	s_waitcnt lgkmcnt(0)
	s_barrier
	buffer_gl0_inv
	ds_load_b128 v[1:4], v75
	ds_load_b128 v[5:8], v75 offset:16
	s_waitcnt lgkmcnt(1)
	v_lshrrev_b32_e32 v9, 16, v1
	s_waitcnt lgkmcnt(0)
	v_lshrrev_b32_e32 v13, 16, v5
	v_lshrrev_b32_e32 v10, 16, v2
	;; [unrolled: 1-line block ×4, first 2 shown]
	v_cndmask_b32_e32 v17, v1, v9, vcc_lo
	v_cndmask_b32_e32 v18, v5, v13, vcc_lo
	v_cndmask_b32_e64 v21, v1, v9, s3
	v_cmp_eq_u32_e32 vcc_lo, 1, v71
	v_cndmask_b32_e64 v22, v5, v13, s3
	v_cmp_eq_u32_e64 s3, 2, v70
	v_cndmask_b32_e64 v19, v1, v9, s2
	v_cndmask_b32_e64 v20, v5, v13, s2
	v_cndmask_b32_e32 v1, v1, v9, vcc_lo
	v_cmp_eq_u32_e64 s2, 2, v71
	v_cndmask_b32_e32 v5, v5, v13, vcc_lo
	v_cndmask_b32_e64 v9, v17, v2, s3
	v_cmp_eq_u32_e32 vcc_lo, 3, v70
	v_cndmask_b32_e64 v13, v18, v6, s3
	v_cmp_eq_u32_e64 s3, 2, v69
	v_cndmask_b32_e64 v17, v19, v2, s4
	v_cndmask_b32_e64 v18, v20, v6, s4
	v_cmp_eq_u32_e64 s4, 3, v69
	v_cndmask_b32_e64 v1, v1, v2, s2
	v_cndmask_b32_e64 v19, v21, v2, s3
	;; [unrolled: 1-line block ×4, first 2 shown]
	v_cndmask_b32_e32 v5, v9, v10, vcc_lo
	v_cndmask_b32_e32 v6, v13, v14, vcc_lo
	v_cmp_eq_u32_e32 vcc_lo, 3, v71
	v_cndmask_b32_e64 v9, v17, v10, s5
	v_cndmask_b32_e64 v13, v18, v14, s5
	;; [unrolled: 1-line block ×3, first 2 shown]
	v_cmp_eq_u32_e64 s3, 4, v70
	v_cndmask_b32_e32 v1, v1, v10, vcc_lo
	v_cndmask_b32_e32 v2, v2, v14, vcc_lo
	v_cmp_eq_u32_e32 vcc_lo, 4, v72
	v_lshrrev_b32_e32 v15, 16, v7
	v_lshrrev_b32_e32 v16, 16, v8
	v_cndmask_b32_e64 v17, v19, v10, s4
	v_cmp_eq_u32_e64 s2, 4, v71
	v_cndmask_b32_e64 v5, v5, v3, s3
	v_cndmask_b32_e64 v6, v6, v7, s3
	v_cndmask_b32_e32 v9, v9, v3, vcc_lo
	v_cmp_eq_u32_e64 s3, 5, v72
	v_cndmask_b32_e32 v10, v13, v7, vcc_lo
	v_cmp_eq_u32_e32 vcc_lo, 4, v69
	v_cmp_eq_u32_e64 s4, 5, v70
	v_cndmask_b32_e64 v2, v2, v7, s2
	v_cndmask_b32_e64 v9, v9, v11, s3
	;; [unrolled: 1-line block ×3, first 2 shown]
	v_cndmask_b32_e32 v13, v17, v3, vcc_lo
	v_cmp_eq_u32_e64 s3, 5, v69
	v_cndmask_b32_e32 v14, v18, v7, vcc_lo
	v_cndmask_b32_e64 v1, v1, v3, s2
	v_cmp_eq_u32_e32 vcc_lo, 5, v71
	v_lshrrev_b32_e32 v12, 16, v4
	v_cndmask_b32_e64 v13, v13, v11, s3
	v_cndmask_b32_e64 v3, v14, v15, s3
	v_cmp_eq_u32_e64 s3, 6, v71
	v_cndmask_b32_e32 v1, v1, v11, vcc_lo
	v_cndmask_b32_e64 v5, v5, v11, s4
	v_cmp_eq_u32_e64 s5, 6, v70
	v_cndmask_b32_e64 v6, v6, v15, s4
	v_cmp_eq_u32_e64 s4, 6, v72
	v_cmp_eq_u32_e64 s2, 6, v69
	v_cndmask_b32_e64 v1, v1, v4, s3
	v_cndmask_b32_e32 v2, v2, v15, vcc_lo
	v_cmp_eq_u32_e32 vcc_lo, 7, v71
	v_cndmask_b32_e64 v5, v5, v4, s5
	v_cndmask_b32_e64 v9, v9, v4, s4
	;; [unrolled: 1-line block ×3, first 2 shown]
	v_cmp_eq_u32_e64 s5, 7, v70
	v_cndmask_b32_e32 v1, v1, v12, vcc_lo
	v_cndmask_b32_e64 v7, v13, v4, s2
	v_cndmask_b32_e64 v3, v3, v8, s2
	;; [unrolled: 1-line block ×3, first 2 shown]
	v_cmp_eq_u32_e64 s2, 7, v69
	v_cndmask_b32_e64 v4, v10, v8, s4
	v_cndmask_b32_e64 v5, v5, v12, s5
	;; [unrolled: 1-line block ×3, first 2 shown]
	v_cndmask_b32_e32 v2, v2, v16, vcc_lo
	v_cndmask_b32_e64 v7, v7, v12, s2
	v_cndmask_b32_e64 v3, v3, v16, s2
	;; [unrolled: 1-line block ×4, first 2 shown]
	v_perm_b32 v4, v2, v1, 0x5040100
	s_mov_b32 s2, exec_lo
	v_perm_b32 v3, v3, v7, 0x5040100
	v_perm_b32 v2, v8, v9, 0x5040100
	;; [unrolled: 1-line block ×3, first 2 shown]
	ds_store_b128 v74, v[1:4]
	s_waitcnt lgkmcnt(0)
	s_barrier
	buffer_gl0_inv
	v_cmpx_gt_u32_e32 32, v0
	s_cbranch_execz .LBB1339_2
; %bb.15:
	s_load_b64 s[0:1], s[0:1], 0x68
	v_lshlrev_b32_e32 v0, 10, v0
	s_lshl_b32 s4, s34, 7
	v_or_b32_e32 v3, s31, v66
	s_mul_i32 s2, s4, s30
	v_lshlrev_b32_e32 v1, 4, v67
	v_lshlrev_b32_e32 v2, 6, v66
	v_and_b32_e32 v0, 0x3800, v0
	s_mul_i32 s2, s2, s7
	v_mul_lo_u32 v8, v3, s4
	s_ashr_i32 s3, s2, 31
	s_delay_alu instid0(SALU_CYCLE_1)
	s_lshl_b64 s[2:3], s[2:3], 1
	v_or3_b32 v16, v0, v1, v2
	ds_load_b128 v[0:3], v16
	ds_load_b128 v[4:7], v16 offset:128
	v_ashrrev_i32_e32 v9, 31, v8
	s_waitcnt lgkmcnt(0)
	s_add_u32 s2, s0, s2
	s_addc_u32 s3, s1, s3
	s_lshl_b32 s0, s14, 7
	s_delay_alu instid0(SALU_CYCLE_1) | instskip(SKIP_2) | instid1(SALU_CYCLE_1)
	s_ashr_i32 s1, s0, 31
	v_lshlrev_b64 v[9:10], 1, v[8:9]
	s_lshl_b64 s[0:1], s[0:1], 1
	s_add_u32 s0, s2, s0
	s_addc_u32 s1, s3, s1
	s_lshl_b32 s2, s34, 8
	v_add_co_u32 v30, s0, s0, v65
	v_add_nc_u32_e32 v11, s2, v8
	v_add_co_ci_u32_e64 v31, null, s1, 0, s0
	s_delay_alu instid0(VALU_DEP_3) | instskip(NEXT) | instid1(VALU_DEP_3)
	v_add_co_u32 v9, vcc_lo, v30, v9
	v_add_nc_u32_e32 v8, s2, v11
	s_delay_alu instid0(VALU_DEP_3) | instskip(SKIP_1) | instid1(VALU_DEP_3)
	v_add_co_ci_u32_e32 v10, vcc_lo, v31, v10, vcc_lo
	v_ashrrev_i32_e32 v12, 31, v11
	v_add_nc_u32_e32 v13, s2, v8
	global_store_b128 v[9:10], v[0:3], off
	v_ashrrev_i32_e32 v9, 31, v8
	v_lshlrev_b64 v[11:12], 1, v[11:12]
	v_ashrrev_i32_e32 v14, 31, v13
	v_add_nc_u32_e32 v10, s2, v13
	s_delay_alu instid0(VALU_DEP_4) | instskip(NEXT) | instid1(VALU_DEP_4)
	v_lshlrev_b64 v[2:3], 1, v[8:9]
	v_add_co_u32 v0, vcc_lo, v30, v11
	s_delay_alu instid0(VALU_DEP_4)
	v_lshlrev_b64 v[8:9], 1, v[13:14]
	v_add_co_ci_u32_e32 v1, vcc_lo, v31, v12, vcc_lo
	v_ashrrev_i32_e32 v11, 31, v10
	v_add_co_u32 v22, vcc_lo, v30, v2
	v_add_nc_u32_e32 v20, s2, v10
	v_add_co_ci_u32_e32 v23, vcc_lo, v31, v3, vcc_lo
	v_add_co_u32 v24, vcc_lo, v30, v8
	global_store_b128 v[0:1], v[4:7], off
	v_add_co_ci_u32_e32 v25, vcc_lo, v31, v9, vcc_lo
	ds_load_b128 v[0:3], v16 offset:256
	ds_load_b128 v[4:7], v16 offset:384
	v_lshlrev_b64 v[26:27], 1, v[10:11]
	ds_load_b128 v[8:11], v16 offset:512
	ds_load_b128 v[12:15], v16 offset:640
	;; [unrolled: 1-line block ×3, first 2 shown]
	v_add_nc_u32_e32 v28, s2, v20
	v_ashrrev_i32_e32 v21, 31, v20
	v_add_co_u32 v26, vcc_lo, v30, v26
	s_delay_alu instid0(VALU_DEP_3) | instskip(NEXT) | instid1(VALU_DEP_3)
	v_ashrrev_i32_e32 v29, 31, v28
	v_lshlrev_b64 v[20:21], 1, v[20:21]
	v_add_co_ci_u32_e32 v27, vcc_lo, v31, v27, vcc_lo
	s_delay_alu instid0(VALU_DEP_3) | instskip(NEXT) | instid1(VALU_DEP_3)
	v_lshlrev_b64 v[28:29], 1, v[28:29]
	v_add_co_u32 v20, vcc_lo, v30, v20
	s_delay_alu instid0(VALU_DEP_4) | instskip(NEXT) | instid1(VALU_DEP_3)
	v_add_co_ci_u32_e32 v21, vcc_lo, v31, v21, vcc_lo
	v_add_co_u32 v28, vcc_lo, v30, v28
	s_delay_alu instid0(VALU_DEP_4)
	v_add_co_ci_u32_e32 v29, vcc_lo, v31, v29, vcc_lo
	s_waitcnt lgkmcnt(4)
	global_store_b128 v[22:23], v[0:3], off
	s_waitcnt lgkmcnt(3)
	global_store_b128 v[24:25], v[4:7], off
	;; [unrolled: 2-line block ×5, first 2 shown]
	s_nop 0
	s_sendmsg sendmsg(MSG_DEALLOC_VGPRS)
	s_endpgm
	.section	.rodata,"a",@progbits
	.p2align	6, 0x0
	.amdhsa_kernel _Z39paged_attention_ll4mi_QKV_mfma16_kernelIDF16_hLN4vllm18Fp8KVCacheDataTypeE1EDF16_Li32ELi128ELi256ELb0ELi14EL8MFMAType0EEvPKT_PKT0_S8_ifPKiSA_SA_iPKfiiiPfSD_PS3_PT2_iSC_SC_
		.amdhsa_group_segment_fixed_size 17472
		.amdhsa_private_segment_fixed_size 0
		.amdhsa_kernarg_size 400
		.amdhsa_user_sgpr_count 13
		.amdhsa_user_sgpr_dispatch_ptr 0
		.amdhsa_user_sgpr_queue_ptr 0
		.amdhsa_user_sgpr_kernarg_segment_ptr 1
		.amdhsa_user_sgpr_dispatch_id 0
		.amdhsa_user_sgpr_private_segment_size 0
		.amdhsa_wavefront_size32 1
		.amdhsa_uses_dynamic_stack 0
		.amdhsa_enable_private_segment 0
		.amdhsa_system_sgpr_workgroup_id_x 1
		.amdhsa_system_sgpr_workgroup_id_y 1
		.amdhsa_system_sgpr_workgroup_id_z 1
		.amdhsa_system_sgpr_workgroup_info 0
		.amdhsa_system_vgpr_workitem_id 0
		.amdhsa_next_free_vgpr 150
		.amdhsa_next_free_sgpr 37
		.amdhsa_reserve_vcc 1
		.amdhsa_float_round_mode_32 0
		.amdhsa_float_round_mode_16_64 0
		.amdhsa_float_denorm_mode_32 3
		.amdhsa_float_denorm_mode_16_64 3
		.amdhsa_dx10_clamp 1
		.amdhsa_ieee_mode 1
		.amdhsa_fp16_overflow 0
		.amdhsa_workgroup_processor_mode 1
		.amdhsa_memory_ordered 1
		.amdhsa_forward_progress 0
		.amdhsa_shared_vgpr_count 0
		.amdhsa_exception_fp_ieee_invalid_op 0
		.amdhsa_exception_fp_denorm_src 0
		.amdhsa_exception_fp_ieee_div_zero 0
		.amdhsa_exception_fp_ieee_overflow 0
		.amdhsa_exception_fp_ieee_underflow 0
		.amdhsa_exception_fp_ieee_inexact 0
		.amdhsa_exception_int_div_zero 0
	.end_amdhsa_kernel
	.section	.text._Z39paged_attention_ll4mi_QKV_mfma16_kernelIDF16_hLN4vllm18Fp8KVCacheDataTypeE1EDF16_Li32ELi128ELi256ELb0ELi14EL8MFMAType0EEvPKT_PKT0_S8_ifPKiSA_SA_iPKfiiiPfSD_PS3_PT2_iSC_SC_,"axG",@progbits,_Z39paged_attention_ll4mi_QKV_mfma16_kernelIDF16_hLN4vllm18Fp8KVCacheDataTypeE1EDF16_Li32ELi128ELi256ELb0ELi14EL8MFMAType0EEvPKT_PKT0_S8_ifPKiSA_SA_iPKfiiiPfSD_PS3_PT2_iSC_SC_,comdat
.Lfunc_end1339:
	.size	_Z39paged_attention_ll4mi_QKV_mfma16_kernelIDF16_hLN4vllm18Fp8KVCacheDataTypeE1EDF16_Li32ELi128ELi256ELb0ELi14EL8MFMAType0EEvPKT_PKT0_S8_ifPKiSA_SA_iPKfiiiPfSD_PS3_PT2_iSC_SC_, .Lfunc_end1339-_Z39paged_attention_ll4mi_QKV_mfma16_kernelIDF16_hLN4vllm18Fp8KVCacheDataTypeE1EDF16_Li32ELi128ELi256ELb0ELi14EL8MFMAType0EEvPKT_PKT0_S8_ifPKiSA_SA_iPKfiiiPfSD_PS3_PT2_iSC_SC_
                                        ; -- End function
	.section	.AMDGPU.csdata,"",@progbits
; Kernel info:
; codeLenInByte = 6808
; NumSgprs: 39
; NumVgprs: 150
; ScratchSize: 0
; MemoryBound: 0
; FloatMode: 240
; IeeeMode: 1
; LDSByteSize: 17472 bytes/workgroup (compile time only)
; SGPRBlocks: 4
; VGPRBlocks: 18
; NumSGPRsForWavesPerEU: 39
; NumVGPRsForWavesPerEU: 150
; Occupancy: 9
; WaveLimiterHint : 1
; COMPUTE_PGM_RSRC2:SCRATCH_EN: 0
; COMPUTE_PGM_RSRC2:USER_SGPR: 13
; COMPUTE_PGM_RSRC2:TRAP_HANDLER: 0
; COMPUTE_PGM_RSRC2:TGID_X_EN: 1
; COMPUTE_PGM_RSRC2:TGID_Y_EN: 1
; COMPUTE_PGM_RSRC2:TGID_Z_EN: 1
; COMPUTE_PGM_RSRC2:TIDIG_COMP_CNT: 0
	.section	.text._Z39paged_attention_ll4mi_QKV_mfma16_kernelIDF16_hLN4vllm18Fp8KVCacheDataTypeE1EDF16_Li32ELi128ELi256ELb0ELi15EL8MFMAType0EEvPKT_PKT0_S8_ifPKiSA_SA_iPKfiiiPfSD_PS3_PT2_iSC_SC_,"axG",@progbits,_Z39paged_attention_ll4mi_QKV_mfma16_kernelIDF16_hLN4vllm18Fp8KVCacheDataTypeE1EDF16_Li32ELi128ELi256ELb0ELi15EL8MFMAType0EEvPKT_PKT0_S8_ifPKiSA_SA_iPKfiiiPfSD_PS3_PT2_iSC_SC_,comdat
	.protected	_Z39paged_attention_ll4mi_QKV_mfma16_kernelIDF16_hLN4vllm18Fp8KVCacheDataTypeE1EDF16_Li32ELi128ELi256ELb0ELi15EL8MFMAType0EEvPKT_PKT0_S8_ifPKiSA_SA_iPKfiiiPfSD_PS3_PT2_iSC_SC_ ; -- Begin function _Z39paged_attention_ll4mi_QKV_mfma16_kernelIDF16_hLN4vllm18Fp8KVCacheDataTypeE1EDF16_Li32ELi128ELi256ELb0ELi15EL8MFMAType0EEvPKT_PKT0_S8_ifPKiSA_SA_iPKfiiiPfSD_PS3_PT2_iSC_SC_
	.globl	_Z39paged_attention_ll4mi_QKV_mfma16_kernelIDF16_hLN4vllm18Fp8KVCacheDataTypeE1EDF16_Li32ELi128ELi256ELb0ELi15EL8MFMAType0EEvPKT_PKT0_S8_ifPKiSA_SA_iPKfiiiPfSD_PS3_PT2_iSC_SC_
	.p2align	8
	.type	_Z39paged_attention_ll4mi_QKV_mfma16_kernelIDF16_hLN4vllm18Fp8KVCacheDataTypeE1EDF16_Li32ELi128ELi256ELb0ELi15EL8MFMAType0EEvPKT_PKT0_S8_ifPKiSA_SA_iPKfiiiPfSD_PS3_PT2_iSC_SC_,@function
_Z39paged_attention_ll4mi_QKV_mfma16_kernelIDF16_hLN4vllm18Fp8KVCacheDataTypeE1EDF16_Li32ELi128ELi256ELb0ELi15EL8MFMAType0EEvPKT_PKT0_S8_ifPKiSA_SA_iPKfiiiPfSD_PS3_PT2_iSC_SC_: ; @_Z39paged_attention_ll4mi_QKV_mfma16_kernelIDF16_hLN4vllm18Fp8KVCacheDataTypeE1EDF16_Li32ELi128ELi256ELb0ELi15EL8MFMAType0EEvPKT_PKT0_S8_ifPKiSA_SA_iPKfiiiPfSD_PS3_PT2_iSC_SC_
; %bb.0:
	s_load_b64 s[4:5], s[0:1], 0x30
	s_mov_b32 s34, s13
	s_waitcnt lgkmcnt(0)
	s_cmp_lg_u64 s[4:5], 0
	s_cselect_b32 s8, -1, 0
	s_ashr_i32 s35, s13, 31
	s_cmp_eq_u64 s[4:5], 0
	s_cbranch_scc1 .LBB1340_3
; %bb.1:
	s_lshl_b64 s[2:3], s[34:35], 2
	s_delay_alu instid0(SALU_CYCLE_1) | instskip(SKIP_4) | instid1(SALU_CYCLE_1)
	s_add_u32 s2, s4, s2
	s_addc_u32 s3, s5, s3
	s_load_b64 s[2:3], s[2:3], 0x0
	s_waitcnt lgkmcnt(0)
	s_sub_i32 s2, s3, s2
	s_cmp_eq_u32 s2, 1
	s_cselect_b32 s2, -1, 0
	s_delay_alu instid0(SALU_CYCLE_1)
	s_and_not1_b32 vcc_lo, exec_lo, s2
	s_cbranch_vccz .LBB1340_4
.LBB1340_2:
	s_nop 0
	s_sendmsg sendmsg(MSG_DEALLOC_VGPRS)
	s_endpgm
.LBB1340_3:
.LBB1340_4:
	s_load_b64 s[2:3], s[0:1], 0x28
	s_lshl_b64 s[6:7], s[34:35], 2
	s_waitcnt lgkmcnt(0)
	s_add_u32 s2, s2, s6
	s_addc_u32 s3, s3, s7
	s_lshl_b32 s12, s14, 8
	s_load_b32 s24, s[2:3], 0x0
	s_waitcnt lgkmcnt(0)
	s_cmp_ge_i32 s12, s24
	s_cbranch_scc1 .LBB1340_2
; %bb.5:
	s_clause 0x1
	s_load_b128 s[20:23], s[0:1], 0x8
	s_load_b64 s[2:3], s[0:1], 0x20
	s_and_not1_b32 vcc_lo, exec_lo, s8
	s_cbranch_vccnz .LBB1340_7
; %bb.6:
	s_add_u32 s4, s4, s6
	s_addc_u32 s5, s5, s7
	s_load_b32 s5, s[4:5], 0x0
	s_branch .LBB1340_8
.LBB1340_7:
	s_mov_b32 s5, s34
.LBB1340_8:
	s_load_b128 s[16:19], s[0:1], 0x48
	v_and_b32_e32 v68, 15, v0
	v_lshrrev_b32_e32 v69, 5, v0
	v_bfe_u32 v66, v0, 4, 1
	v_and_b32_e32 v70, 31, v0
	v_and_b32_e32 v67, 1, v0
	v_lshlrev_b32_e32 v2, 3, v68
	s_mul_i32 s31, s15, 15
	v_lshl_or_b32 v1, v69, 1, v66
	s_mov_b32 s4, exec_lo
	s_delay_alu instid0(VALU_DEP_2) | instskip(NEXT) | instid1(VALU_DEP_2)
	v_lshlrev_b32_e32 v65, 1, v2
	v_cmpx_gt_u32_e32 15, v1
	s_cbranch_execz .LBB1340_10
; %bb.9:
	s_load_b64 s[6:7], s[0:1], 0x0
	v_add_lshl_u32 v2, v1, s31, 7
	s_waitcnt lgkmcnt(0)
	s_mul_hi_i32 s9, s5, s16
	s_mul_i32 s8, s5, s16
	v_lshlrev_b32_e32 v6, 10, v68
	s_lshl_b64 s[8:9], s[8:9], 1
	v_ashrrev_i32_e32 v3, 31, v2
	v_lshlrev_b32_e32 v1, 6, v1
	v_lshlrev_b32_e32 v7, 10, v67
	v_and_b32_e32 v6, 0x3800, v6
	s_delay_alu instid0(VALU_DEP_4) | instskip(NEXT) | instid1(VALU_DEP_2)
	v_lshlrev_b64 v[2:3], 1, v[2:3]
	v_or3_b32 v1, v6, v7, v1
	s_add_u32 s5, s6, s8
	s_addc_u32 s6, s7, s9
	s_delay_alu instid0(VALU_DEP_2) | instskip(NEXT) | instid1(VALU_DEP_3)
	v_add_co_u32 v2, vcc_lo, s5, v2
	v_add_co_ci_u32_e32 v3, vcc_lo, s6, v3, vcc_lo
	s_delay_alu instid0(VALU_DEP_2) | instskip(NEXT) | instid1(VALU_DEP_2)
	v_add_co_u32 v2, vcc_lo, v2, v65
	v_add_co_ci_u32_e32 v3, vcc_lo, 0, v3, vcc_lo
	global_load_b128 v[2:5], v[2:3], off
	s_waitcnt vmcnt(0)
	ds_store_b128 v1, v[2:5]
.LBB1340_10:
	s_or_b32 exec_lo, exec_lo, s4
	v_and_b32_e32 v1, 0xef, v0
	s_waitcnt lgkmcnt(0)
	s_add_i32 s5, s24, 31
	s_clause 0x1
	s_load_b32 s4, s[0:1], 0x38
	s_load_b32 s33, s[0:1], 0x98
	s_ashr_i32 s6, s5, 31
	v_add_nc_u32_e32 v1, s12, v1
	s_lshr_b32 s6, s6, 27
	s_load_b32 s19, s[0:1], 0x1c
	s_add_i32 s5, s5, s6
	s_waitcnt lgkmcnt(0)
	v_ashrrev_i32_e32 v2, 31, v1
	v_or_b32_e32 v3, 16, v1
	s_ashr_i32 s13, s5, 5
	v_cmp_gt_i32_e32 vcc_lo, s24, v1
	s_add_i32 s13, s13, -1
	v_lshrrev_b32_e32 v2, 27, v2
	s_barrier
	buffer_gl0_inv
	s_mul_i32 s15, s15, s18
	v_add_nc_u32_e32 v4, v1, v2
	s_mul_i32 s4, s34, s4
	s_delay_alu instid0(SALU_CYCLE_1) | instskip(NEXT) | instid1(VALU_DEP_1)
	s_ashr_i32 s5, s4, 31
	v_ashrrev_i32_e32 v4, 5, v4
	v_add_nc_u32_e32 v2, v3, v2
	s_lshl_b64 s[4:5], s[4:5], 2
	s_delay_alu instid0(SALU_CYCLE_1) | instskip(NEXT) | instid1(VALU_DEP_2)
	s_add_u32 s16, s2, s4
	v_cndmask_b32_e32 v1, s13, v4, vcc_lo
	s_delay_alu instid0(VALU_DEP_2)
	v_ashrrev_i32_e32 v2, 5, v2
	v_cmp_gt_i32_e32 vcc_lo, s24, v3
	s_addc_u32 s25, s3, s5
	s_ashr_i32 s18, s15, 31
	s_add_u32 s2, s20, s15
	s_addc_u32 s3, s21, s18
	v_cndmask_b32_e32 v3, s13, v2, vcc_lo
	v_ashrrev_i32_e32 v2, 31, v1
	s_lshl_b32 s4, s14, 3
	s_delay_alu instid0(SALU_CYCLE_1) | instskip(NEXT) | instid1(VALU_DEP_2)
	s_ashr_i32 s5, s4, 31
	v_ashrrev_i32_e32 v4, 31, v3
	s_delay_alu instid0(VALU_DEP_2) | instskip(SKIP_1) | instid1(SALU_CYCLE_1)
	v_lshlrev_b64 v[1:2], 2, v[1:2]
	s_lshl_b64 s[4:5], s[4:5], 2
	s_add_u32 s4, s16, s4
	s_delay_alu instid0(VALU_DEP_2) | instskip(SKIP_1) | instid1(VALU_DEP_2)
	v_lshlrev_b64 v[3:4], 2, v[3:4]
	s_addc_u32 s5, s25, s5
	v_add_co_u32 v1, vcc_lo, s16, v1
	v_add_co_ci_u32_e32 v2, vcc_lo, s25, v2, vcc_lo
	s_delay_alu instid0(VALU_DEP_3) | instskip(NEXT) | instid1(VALU_DEP_4)
	v_add_co_u32 v3, vcc_lo, s16, v3
	v_add_co_ci_u32_e32 v4, vcc_lo, s25, v4, vcc_lo
	s_clause 0x1
	global_load_b32 v5, v[1:2], off
	global_load_b32 v6, v[3:4], off
	s_or_b32 s6, s12, 32
	s_delay_alu instid0(SALU_CYCLE_1) | instskip(SKIP_2) | instid1(SALU_CYCLE_1)
	s_ashr_i32 s7, s6, 5
	s_cmp_lt_i32 s6, s24
	s_cselect_b32 s6, s7, s13
	s_ashr_i32 s7, s6, 31
	s_delay_alu instid0(SALU_CYCLE_1) | instskip(NEXT) | instid1(SALU_CYCLE_1)
	s_lshl_b64 s[6:7], s[6:7], 2
	s_add_u32 s6, s16, s6
	s_addc_u32 s7, s25, s7
	s_or_b32 s8, s12, 64
	s_delay_alu instid0(SALU_CYCLE_1) | instskip(SKIP_2) | instid1(SALU_CYCLE_1)
	s_ashr_i32 s9, s8, 5
	s_cmp_lt_i32 s8, s24
	s_cselect_b32 s8, s9, s13
	s_ashr_i32 s9, s8, 31
	s_delay_alu instid0(SALU_CYCLE_1) | instskip(NEXT) | instid1(SALU_CYCLE_1)
	s_lshl_b64 s[8:9], s[8:9], 2
	s_add_u32 s8, s16, s8
	s_addc_u32 s9, s25, s9
	;; [unrolled: 10-line block ×5, first 2 shown]
	s_clause 0x5
	s_load_b32 s28, s[4:5], 0x0
	s_load_b32 s29, s[6:7], 0x0
	s_load_b32 s30, s[8:9], 0x0
	s_load_b32 s35, s[10:11], 0x0
	s_load_b32 s36, s[20:21], 0x0
	s_load_b32 s26, s[26:27], 0x0
	s_mov_b32 s4, 0
	s_delay_alu instid0(SALU_CYCLE_1)
	s_mov_b32 s5, s4
	s_mov_b32 s6, s4
	;; [unrolled: 1-line block ×7, first 2 shown]
	s_delay_alu instid0(SALU_CYCLE_1)
	v_dual_mov_b32 v118, s11 :: v_dual_mov_b32 v117, s10
	v_dual_mov_b32 v116, s9 :: v_dual_mov_b32 v115, s8
	v_mov_b32_e32 v113, s6
	v_dual_mov_b32 v111, s4 :: v_dual_mov_b32 v114, s7
	v_mov_b32_e32 v112, s5
	s_waitcnt vmcnt(1)
	v_mad_i64_i32 v[1:2], null, v5, s17, s[2:3]
	v_lshlrev_b32_e32 v5, 4, v68
	s_waitcnt vmcnt(0)
	v_mad_i64_i32 v[3:4], null, v6, s17, s[2:3]
	s_or_b32 s2, s12, 0xc0
	s_delay_alu instid0(SALU_CYCLE_1) | instskip(NEXT) | instid1(VALU_DEP_3)
	s_ashr_i32 s3, s2, 5
	v_add_co_u32 v1, vcc_lo, v1, v5
	s_delay_alu instid0(VALU_DEP_4) | instskip(NEXT) | instid1(VALU_DEP_3)
	v_add_co_ci_u32_e32 v2, vcc_lo, 0, v2, vcc_lo
	v_add_co_u32 v3, vcc_lo, v3, v5
	s_delay_alu instid0(VALU_DEP_4)
	v_add_co_ci_u32_e32 v4, vcc_lo, 0, v4, vcc_lo
	s_clause 0xf
	global_load_b128 v[17:20], v[1:2], off
	global_load_b128 v[21:24], v[1:2], off offset:512
	global_load_b128 v[25:28], v[3:4], off offset:256
	;; [unrolled: 1-line block ×15, first 2 shown]
	s_cmp_lt_i32 s2, s24
	v_cmp_ne_u32_e32 vcc_lo, 15, v68
	s_cselect_b32 s2, s3, s13
	v_lshlrev_b32_e32 v2, 5, v68
	s_ashr_i32 s3, s2, 31
	s_delay_alu instid0(SALU_CYCLE_1) | instskip(SKIP_4) | instid1(SALU_CYCLE_1)
	s_lshl_b64 s[2:3], s[2:3], 2
	v_cndmask_b32_e32 v1, 0, v68, vcc_lo
	s_add_u32 s2, s16, s2
	s_addc_u32 s3, s25, s3
	s_or_b32 s20, s12, 0xe0
	s_ashr_i32 s21, s20, 5
	s_cmp_lt_i32 s20, s24
	v_lshlrev_b32_e32 v149, 6, v1
	s_cselect_b32 s20, s21, s13
	v_lshl_or_b32 v1, v69, 9, v2
	s_ashr_i32 s21, s20, 31
	ds_load_b128 v[119:122], v149
	ds_load_b128 v[123:126], v149 offset:1024
	s_lshl_b64 s[4:5], s[20:21], 2
	ds_load_b128 v[127:130], v149 offset:2048
	ds_load_b128 v[131:134], v149 offset:3072
	s_add_u32 s4, s16, s4
	s_addc_u32 s5, s25, s5
	s_clause 0x1
	s_load_b32 s2, s[2:3], 0x0
	s_load_b32 s3, s[4:5], 0x0
	s_add_u32 s6, s22, s15
	s_addc_u32 s7, s23, s18
	v_add_co_u32 v135, s6, s6, v1
	s_delay_alu instid0(VALU_DEP_1) | instskip(SKIP_1) | instid1(VALU_DEP_1)
	v_add_co_ci_u32_e64 v136, null, s7, 0, s6
	s_waitcnt lgkmcnt(0)
	v_mad_i64_i32 v[1:2], null, s28, s17, v[135:136]
	v_mad_i64_i32 v[3:4], null, s29, s17, v[135:136]
	;; [unrolled: 1-line block ×6, first 2 shown]
	s_clause 0x9
	global_load_b128 v[49:52], v[1:2], off
	global_load_b128 v[53:56], v[1:2], off offset:16
	global_load_b128 v[41:44], v[3:4], off
	global_load_b128 v[45:48], v[3:4], off offset:16
	;; [unrolled: 2-line block ×5, first 2 shown]
	v_mad_i64_i32 v[145:146], null, s2, s17, v[135:136]
	v_mad_i64_i32 v[147:148], null, s3, s17, v[135:136]
	s_waitcnt vmcnt(24)
	v_wmma_f32_16x16x16_f16 v[135:142], v[17:24], v[119:126], v[111:118]
	s_waitcnt vmcnt(22)
	v_wmma_f32_16x16x16_f16 v[111:118], v[25:32], v[119:126], v[111:118]
	s_clause 0x3
	global_load_b128 v[17:20], v[143:144], off
	global_load_b128 v[21:24], v[143:144], off offset:16
	global_load_b128 v[25:28], v[145:146], off
	global_load_b128 v[29:32], v[145:146], off offset:16
	v_and_b32_e32 v119, 0xe0, v0
	s_waitcnt vmcnt(24)
	v_wmma_f32_16x16x16_f16 v[135:142], v[57:64], v[127:134], v[135:142]
	s_clause 0x1
	global_load_b128 v[57:60], v[147:148], off
	global_load_b128 v[61:64], v[147:148], off offset:16
	s_waitcnt vmcnt(24)
	v_wmma_f32_16x16x16_f16 v[111:118], v[71:78], v[127:134], v[111:118]
	ds_load_b128 v[71:74], v149 offset:4096
	ds_load_b128 v[75:78], v149 offset:5120
	v_add_nc_u32_e32 v128, s12, v119
	ds_load_b128 v[119:122], v149 offset:6144
	ds_load_b128 v[123:126], v149 offset:7168
	v_mbcnt_lo_u32_b32 v127, -1, 0
	s_waitcnt vmcnt(0) lgkmcnt(0)
	s_barrier
	v_or_b32_e32 v128, v128, v66
	buffer_gl0_inv
	v_xor_b32_e32 v129, 16, v127
	v_or_b32_e32 v130, 4, v128
	v_or_b32_e32 v131, 6, v128
	s_delay_alu instid0(VALU_DEP_3) | instskip(SKIP_4) | instid1(VALU_DEP_4)
	v_cmp_gt_i32_e32 vcc_lo, 32, v129
	v_or_b32_e32 v132, 8, v128
	v_or_b32_e32 v133, 10, v128
	v_cmp_gt_i32_e64 s3, s24, v130
	v_cmp_gt_i32_e64 s4, s24, v131
	;; [unrolled: 1-line block ×3, first 2 shown]
	v_wmma_f32_16x16x16_f16 v[135:142], v[79:86], v[71:78], v[135:142]
	v_wmma_f32_16x16x16_f16 v[111:118], v[87:94], v[71:78], v[111:118]
	v_or_b32_e32 v79, 12, v128
	v_or_b32_e32 v80, 14, v128
	v_cmp_gt_i32_e64 s6, s24, v133
	v_wmma_f32_16x16x16_f16 v[135:142], v[95:102], v[119:126], v[135:142]
	v_cndmask_b32_e32 v127, v127, v129, vcc_lo
	v_or_b32_e32 v129, 2, v128
	v_wmma_f32_16x16x16_f16 v[111:118], v[103:110], v[119:126], v[111:118]
	v_cmp_gt_i32_e32 vcc_lo, s24, v128
	v_dual_mul_f32 v88, s19, v135 :: v_dual_mul_f32 v87, s19, v136
	s_delay_alu instid0(VALU_DEP_4) | instskip(NEXT) | instid1(VALU_DEP_4)
	v_cmp_gt_i32_e64 s2, s24, v129
	v_mul_f32_e32 v94, s19, v113
	v_mul_f32_e32 v78, s19, v138
	;; [unrolled: 1-line block ×3, first 2 shown]
	v_cndmask_b32_e32 v88, 0xff7fffff, v88, vcc_lo
	v_cndmask_b32_e64 v87, 0xff7fffff, v87, s2
	v_dual_mul_f32 v76, s19, v140 :: v_dual_mul_f32 v77, s19, v139
	v_mul_f32_e32 v90, s19, v117
	v_cndmask_b32_e64 v86, 0xff7fffff, v86, s3
	v_cndmask_b32_e64 v78, 0xff7fffff, v78, s4
	v_max3_f32 v87, v88, 0xff7fffff, v87
	v_or_b32_e32 v81, 16, v128
	v_or_b32_e32 v82, 18, v128
	v_dual_mul_f32 v74, s19, v142 :: v_dual_mul_f32 v75, s19, v141
	v_mul_f32_e32 v92, s19, v115
	v_cndmask_b32_e64 v77, 0xff7fffff, v77, s5
	v_cndmask_b32_e64 v76, 0xff7fffff, v76, s6
	v_max3_f32 v78, v87, v86, v78
	v_cmp_gt_i32_e64 s7, s24, v79
	v_cmp_gt_i32_e64 s8, s24, v80
	v_or_b32_e32 v83, 20, v128
	v_or_b32_e32 v84, 22, v128
	v_dual_mul_f32 v89, s19, v118 :: v_dual_mul_f32 v96, s19, v111
	v_mul_f32_e32 v95, s19, v112
	v_cndmask_b32_e64 v75, 0xff7fffff, v75, s7
	v_cndmask_b32_e64 v74, 0xff7fffff, v74, s8
	v_max3_f32 v76, v78, v77, v76
	v_cmp_gt_i32_e64 s9, s24, v81
	v_cmp_gt_i32_e64 s10, s24, v82
	v_or_b32_e32 v85, 24, v128
	v_or_b32_e32 v71, 26, v128
	v_mul_f32_e32 v93, s19, v114
	v_cndmask_b32_e64 v77, 0xff7fffff, v96, s9
	v_cndmask_b32_e64 v78, 0xff7fffff, v95, s10
	v_max3_f32 v74, v76, v75, v74
	v_cmp_gt_i32_e64 s11, s24, v83
	v_cmp_gt_i32_e64 s12, s24, v84
	v_or_b32_e32 v72, 28, v128
	v_or_b32_e32 v73, 30, v128
	v_mul_f32_e32 v91, s19, v116
	v_cndmask_b32_e64 v75, 0xff7fffff, v94, s11
	v_cndmask_b32_e64 v76, 0xff7fffff, v93, s12
	v_max3_f32 v74, v74, v77, v78
	v_cmp_gt_i32_e64 s13, s24, v85
	v_cmp_gt_i32_e64 s15, s24, v71
	;; [unrolled: 1-line block ×4, first 2 shown]
	v_max3_f32 v74, v74, v75, v76
	v_cndmask_b32_e64 v77, 0xff7fffff, v92, s13
	v_cndmask_b32_e64 v71, 0xff7fffff, v91, s15
	;; [unrolled: 1-line block ×4, first 2 shown]
	s_delay_alu instid0(VALU_DEP_3) | instskip(SKIP_1) | instid1(VALU_DEP_2)
	v_max3_f32 v71, v74, v77, v71
	v_lshlrev_b32_e32 v74, 2, v127
	v_max3_f32 v71, v71, v72, v73
	ds_bpermute_b32 v72, v74, v71
	s_waitcnt lgkmcnt(0)
	v_max_f32_e32 v72, v72, v72
	s_delay_alu instid0(VALU_DEP_1) | instskip(NEXT) | instid1(VALU_DEP_1)
	v_max_f32_e32 v71, v71, v72
	v_fma_f32 v75, s19, v137, -v71
	v_fma_f32 v76, s19, v138, -v71
	;; [unrolled: 1-line block ×5, first 2 shown]
	s_delay_alu instid0(VALU_DEP_4) | instskip(NEXT) | instid1(VALU_DEP_4)
	v_dual_mul_f32 v75, 0x3fb8aa3b, v75 :: v_dual_mul_f32 v76, 0x3fb8aa3b, v76
	v_mul_f32_e32 v72, 0x3fb8aa3b, v72
	v_fma_f32 v77, s19, v139, -v71
	s_delay_alu instid0(VALU_DEP_4) | instskip(NEXT) | instid1(VALU_DEP_4)
	v_mul_f32_e32 v73, 0x3fb8aa3b, v73
	v_exp_f32_e32 v75, v75
	v_exp_f32_e32 v76, v76
	;; [unrolled: 1-line block ×3, first 2 shown]
	s_delay_alu instid0(VALU_DEP_1) | instskip(SKIP_2) | instid1(TRANS32_DEP_3)
	v_exp_f32_e32 v73, v73
	v_cndmask_b32_e64 v81, 0, v75, s3
	v_mul_f32_e32 v82, 0x3fb8aa3b, v80
	v_cndmask_b32_e64 v80, 0, v76, s4
	s_waitcnt_depctr 0xfff
	v_cndmask_b32_e64 v78, 0, v73, s2
	v_cmp_gt_u32_e64 s2, 16, v70
	v_exp_f32_e32 v84, v82
	s_waitcnt_depctr 0xfff
	v_cndmask_b32_e64 v85, 0, v84, s7
	v_cndmask_b32_e32 v79, 0, v72, vcc_lo
	v_fma_f32 v72, s19, v140, -v71
	v_mul_f32_e32 v77, 0x3fb8aa3b, v77
	s_delay_alu instid0(VALU_DEP_2) | instskip(NEXT) | instid1(VALU_DEP_2)
	v_dual_add_f32 v73, 0, v79 :: v_dual_mul_f32 v72, 0x3fb8aa3b, v72
	v_exp_f32_e32 v77, v77
	s_delay_alu instid0(VALU_DEP_1) | instskip(NEXT) | instid1(VALU_DEP_2)
	v_add_f32_e32 v73, v73, v78
	v_exp_f32_e32 v72, v72
	s_delay_alu instid0(VALU_DEP_1) | instskip(SKIP_4) | instid1(VALU_DEP_2)
	v_add_f32_e32 v73, v73, v81
	s_waitcnt_depctr 0xfff
	v_cndmask_b32_e64 v83, 0, v77, s5
	v_add_f32_e32 v73, v73, v80
	v_cndmask_b32_e64 v82, 0, v72, s6
	v_add_f32_e32 v72, v73, v83
	s_delay_alu instid0(VALU_DEP_1)
	v_add_f32_e32 v72, v72, v82
	v_fma_f32 v75, s19, v142, -v71
	v_fma_f32 v76, s19, v111, -v71
	;; [unrolled: 1-line block ×5, first 2 shown]
	s_delay_alu instid0(VALU_DEP_4) | instskip(NEXT) | instid1(VALU_DEP_4)
	v_dual_mul_f32 v75, 0x3fb8aa3b, v75 :: v_dual_mul_f32 v76, 0x3fb8aa3b, v76
	v_mul_f32_e32 v86, 0x3fb8aa3b, v86
	v_add_f32_e32 v72, v72, v85
	s_delay_alu instid0(VALU_DEP_3) | instskip(NEXT) | instid1(VALU_DEP_3)
	v_exp_f32_e32 v75, v75
	v_exp_f32_e32 v76, v76
	s_delay_alu instid0(VALU_DEP_2) | instskip(NEXT) | instid1(TRANS32_DEP_3)
	v_exp_f32_e32 v88, v86
	v_cndmask_b32_e64 v84, 0, v75, s8
	v_mul_f32_e32 v77, 0x3fb8aa3b, v77
	s_waitcnt_depctr 0xfff
	v_cndmask_b32_e64 v87, 0, v76, s9
	v_fma_f32 v76, s19, v116, -v71
	v_dual_mul_f32 v73, 0x3fb8aa3b, v73 :: v_dual_add_f32 v72, v72, v84
	v_exp_f32_e32 v77, v77
	v_fma_f32 v75, s19, v115, -v71
	s_delay_alu instid0(VALU_DEP_3) | instskip(NEXT) | instid1(VALU_DEP_3)
	v_mul_f32_e32 v76, 0x3fb8aa3b, v76
	v_exp_f32_e32 v73, v73
	v_add_f32_e32 v72, v72, v87
	v_cndmask_b32_e64 v88, 0, v88, s12
	s_delay_alu instid0(VALU_DEP_3) | instskip(NEXT) | instid1(TRANS32_DEP_3)
	v_exp_f32_e32 v76, v76
	v_cndmask_b32_e64 v86, 0, v77, s10
	v_mul_f32_e32 v75, 0x3fb8aa3b, v75
	v_fma_f32 v77, s19, v117, -v71
	s_delay_alu instid0(TRANS32_DEP_2) | instskip(NEXT) | instid1(VALU_DEP_4)
	v_cndmask_b32_e64 v89, 0, v73, s11
	v_add_f32_e32 v72, v72, v86
	s_delay_alu instid0(VALU_DEP_4) | instskip(NEXT) | instid1(TRANS32_DEP_2)
	v_exp_f32_e32 v75, v75
	v_cndmask_b32_e64 v90, 0, v76, s15
	s_delay_alu instid0(VALU_DEP_2) | instskip(SKIP_2) | instid1(VALU_DEP_3)
	v_add_f32_e32 v72, v72, v89
	v_mul_f32_e32 v73, 0x3fb8aa3b, v77
	v_fma_f32 v77, s19, v118, -v71
	v_add_f32_e32 v72, v72, v88
	s_delay_alu instid0(VALU_DEP_3) | instskip(NEXT) | instid1(TRANS32_DEP_2)
	v_exp_f32_e32 v73, v73
	v_cndmask_b32_e64 v91, 0, v75, s13
	s_delay_alu instid0(VALU_DEP_1) | instskip(NEXT) | instid1(VALU_DEP_1)
	v_dual_mul_f32 v75, 0x3fb8aa3b, v77 :: v_dual_add_f32 v72, v72, v91
	v_exp_f32_e32 v75, v75
	s_waitcnt_depctr 0xfff
	v_cndmask_b32_e64 v93, 0, v73, s16
	v_add_f32_e32 v72, v72, v90
	s_delay_alu instid0(VALU_DEP_1) | instskip(SKIP_1) | instid1(VALU_DEP_1)
	v_add_f32_e32 v72, v72, v93
	v_cndmask_b32_e64 v92, 0, v75, s17
	v_add_f32_e32 v72, v72, v92
	ds_bpermute_b32 v73, v74, v72
	s_and_saveexec_b32 s3, s2
	s_cbranch_execz .LBB1340_12
; %bb.11:
	v_mul_u32_u24_e32 v70, 0x44, v69
	s_waitcnt lgkmcnt(0)
	v_add_f32_e32 v72, v72, v73
	s_delay_alu instid0(VALU_DEP_2) | instskip(NEXT) | instid1(VALU_DEP_1)
	v_lshl_add_u32 v70, v68, 2, v70
	v_add_nc_u32_e32 v70, 0x4000, v70
	ds_store_2addr_b32 v70, v71, v72 offset1:136
.LBB1340_12:
	s_or_b32 exec_lo, exec_lo, s3
	v_lshlrev_b32_e32 v70, 2, v68
	s_load_b32 s35, s[0:1], 0x94
	s_waitcnt lgkmcnt(0)
	s_barrier
	buffer_gl0_inv
	v_add_nc_u32_e32 v98, 0x4000, v70
	v_cmp_eq_u32_e32 vcc_lo, 1, v69
	v_cmp_eq_u32_e64 s3, 2, v69
	v_cmp_eq_u32_e64 s4, 3, v69
	v_cmp_eq_u32_e64 s5, 4, v69
	ds_load_2addr_b32 v[70:71], v98 offset1:17
	ds_load_2addr_b32 v[72:73], v98 offset0:34 offset1:51
	ds_load_2addr_b32 v[74:75], v98 offset0:68 offset1:85
	;; [unrolled: 1-line block ×3, first 2 shown]
	v_cmp_eq_u32_e64 s6, 5, v69
	v_cmp_eq_u32_e64 s7, 7, v69
	s_waitcnt lgkmcnt(3)
	v_max3_f32 v76, v70, 0xff7fffff, v71
	s_waitcnt lgkmcnt(2)
	s_delay_alu instid0(VALU_DEP_1) | instskip(SKIP_1) | instid1(VALU_DEP_1)
	v_max3_f32 v76, v76, v72, v73
	s_waitcnt lgkmcnt(1)
	v_max3_f32 v76, v76, v74, v75
	s_waitcnt lgkmcnt(0)
	s_delay_alu instid0(VALU_DEP_1) | instskip(NEXT) | instid1(VALU_DEP_1)
	v_max3_f32 v76, v76, v94, v95
	v_sub_f32_e32 v77, v71, v76
	ds_load_2addr_b32 v[96:97], v98 offset0:136 offset1:153
	v_sub_f32_e32 v74, v74, v76
	v_sub_f32_e32 v70, v70, v76
	;; [unrolled: 1-line block ×3, first 2 shown]
	v_dual_sub_f32 v72, v72, v76 :: v_dual_mul_f32 v77, 0x3fb8aa3b, v77
	s_delay_alu instid0(VALU_DEP_4) | instskip(NEXT) | instid1(VALU_DEP_4)
	v_mul_f32_e32 v103, 0x3fb8aa3b, v74
	v_mul_f32_e32 v99, 0x3fb8aa3b, v70
	ds_load_2addr_b32 v[70:71], v98 offset0:170 offset1:187
	v_dual_mul_f32 v101, 0x3fb8aa3b, v72 :: v_dual_mul_f32 v94, 0x3fb8aa3b, v94
	v_exp_f32_e32 v102, v77
	v_exp_f32_e32 v99, v99
	s_delay_alu instid0(VALU_DEP_1) | instskip(NEXT) | instid1(VALU_DEP_1)
	v_exp_f32_e32 v101, v101
	v_exp_f32_e32 v94, v94
	s_waitcnt lgkmcnt(1)
	s_delay_alu instid0(TRANS32_DEP_3)
	v_fma_f32 v77, v99, v96, 0
	v_sub_f32_e32 v100, v73, v76
	ds_load_2addr_b32 v[72:73], v98 offset0:204 offset1:221
	v_fmac_f32_e32 v77, v102, v97
	v_exp_f32_e32 v97, v103
	s_waitcnt lgkmcnt(1)
	s_delay_alu instid0(VALU_DEP_1)
	v_dual_fmac_f32 v77, v101, v70 :: v_dual_sub_f32 v96, v75, v76
	ds_load_2addr_b32 v[74:75], v98 offset0:238 offset1:255
	v_sub_f32_e32 v70, v95, v76
	s_waitcnt lgkmcnt(0)
	s_barrier
	v_mul_f32_e32 v96, 0x3fb8aa3b, v96
	buffer_gl0_inv
	v_exp_f32_e32 v95, v96
	v_mul_f32_e32 v100, 0x3fb8aa3b, v100
	s_delay_alu instid0(VALU_DEP_1) | instskip(SKIP_3) | instid1(VALU_DEP_2)
	v_exp_f32_e32 v100, v100
	s_waitcnt_depctr 0xfff
	v_dual_fmac_f32 v77, v100, v71 :: v_dual_mul_f32 v70, 0x3fb8aa3b, v70
	v_cndmask_b32_e32 v71, v99, v102, vcc_lo
	v_fmac_f32_e32 v77, v97, v72
	s_delay_alu instid0(VALU_DEP_3) | instskip(NEXT) | instid1(VALU_DEP_1)
	v_exp_f32_e32 v96, v70
	v_fmac_f32_e32 v77, v95, v73
	s_delay_alu instid0(VALU_DEP_1) | instskip(SKIP_2) | instid1(VALU_DEP_1)
	v_fmac_f32_e32 v77, v94, v74
	s_waitcnt_depctr 0xfff
	v_fmac_f32_e32 v77, v96, v75
	v_add_f32_e32 v74, 0x358637bd, v77
	s_delay_alu instid0(VALU_DEP_1) | instskip(SKIP_1) | instid1(VALU_DEP_2)
	v_div_scale_f32 v98, null, v74, v74, 1.0
	v_div_scale_f32 v99, vcc_lo, 1.0, v74, 1.0
	v_rcp_f32_e32 v103, v98
	s_waitcnt_depctr 0xfff
	v_fma_f32 v70, -v98, v103, 1.0
	s_delay_alu instid0(VALU_DEP_1) | instskip(SKIP_2) | instid1(VALU_DEP_2)
	v_fmac_f32_e32 v103, v70, v103
	v_cndmask_b32_e64 v70, v71, v101, s3
	v_cmp_eq_u32_e64 s3, 6, v69
	v_cndmask_b32_e64 v71, v70, v100, s4
	s_delay_alu instid0(VALU_DEP_4) | instskip(NEXT) | instid1(VALU_DEP_2)
	v_dual_mul_f32 v101, v99, v103 :: v_dual_lshlrev_b32 v70, 2, v66
	v_cndmask_b32_e64 v71, v71, v97, s5
	s_delay_alu instid0(VALU_DEP_2) | instskip(NEXT) | instid1(VALU_DEP_3)
	v_or_b32_e32 v72, 1, v70
	v_fma_f32 v100, -v98, v101, v99
	v_cmp_eq_u32_e64 s4, 1, v70
	v_cmp_eq_u32_e64 s5, 2, v70
	v_cndmask_b32_e64 v95, v71, v95, s6
	v_or_b32_e32 v71, 3, v70
	v_fmac_f32_e32 v101, v100, v103
	v_cmp_eq_u32_e64 s9, 1, v72
	v_cmp_eq_u32_e64 s12, 2, v72
	v_cndmask_b32_e64 v94, v95, v94, s3
	v_cmp_eq_u32_e64 s11, 1, v71
	v_fma_f32 v97, -v98, v101, v99
	v_cmp_eq_u32_e64 s16, 2, v71
	v_cmp_eq_u32_e64 s13, 3, v72
	v_cndmask_b32_e64 v94, v94, v96, s7
	v_cmp_eq_u32_e64 s18, 3, v71
	v_div_fmas_f32 v95, v97, v103, v101
	v_cmp_eq_u32_e32 vcc_lo, 3, v70
	v_cmp_eq_u32_e64 s3, 4, v70
	v_cmp_eq_u32_e64 s19, 4, v72
	;; [unrolled: 1-line block ×3, first 2 shown]
	v_div_fixup_f32 v95, v95, v74, 1.0
	v_lshlrev_b32_e32 v73, 6, v68
	v_cmp_eq_u32_e64 s6, 5, v70
	v_cmp_eq_u32_e64 s20, 5, v72
	;; [unrolled: 1-line block ×3, first 2 shown]
	v_mul_f32_e32 v102, v94, v95
	v_lshl_or_b32 v75, v69, 11, v73
	v_or_b32_e32 v69, 2, v70
	v_cmp_eq_u32_e64 s25, 6, v72
	v_cmp_eq_u32_e64 s27, 6, v71
	v_fma_mixlo_f16 v94, v102, v79, 0
	v_fma_mixlo_f16 v95, v102, v81, 0
	;; [unrolled: 1-line block ×8, first 2 shown]
	v_lshl_or_b32 v74, v66, 4, v75
	v_fma_mixhi_f16 v94, v102, v78, 0
	v_fma_mixhi_f16 v95, v102, v80, 0
	;; [unrolled: 1-line block ×8, first 2 shown]
	ds_store_b128 v74, v[94:97]
	ds_store_b128 v74, v[98:101] offset:1024
	s_waitcnt lgkmcnt(0)
	s_barrier
	buffer_gl0_inv
	ds_load_b128 v[78:81], v75
	ds_load_b128 v[82:85], v75 offset:16
	ds_load_b128 v[86:89], v75 offset:1024
	;; [unrolled: 1-line block ×3, first 2 shown]
	v_cmp_eq_u32_e64 s10, 1, v69
	v_cmp_eq_u32_e64 s15, 2, v69
	;; [unrolled: 1-line block ×11, first 2 shown]
	s_waitcnt lgkmcnt(3)
	v_lshrrev_b32_e32 v94, 16, v78
	s_waitcnt lgkmcnt(2)
	v_lshrrev_b32_e32 v98, 16, v82
	;; [unrolled: 2-line block ×4, first 2 shown]
	v_lshrrev_b32_e32 v95, 16, v79
	v_cndmask_b32_e64 v110, v78, v94, s4
	v_cndmask_b32_e64 v111, v82, v98, s4
	;; [unrolled: 1-line block ×8, first 2 shown]
	v_lshrrev_b32_e32 v99, 16, v83
	v_cndmask_b32_e64 v94, v86, v102, s4
	v_cndmask_b32_e64 v98, v90, v106, s4
	;; [unrolled: 1-line block ×15, first 2 shown]
	v_lshrrev_b32_e32 v103, 16, v87
	v_lshrrev_b32_e32 v107, 16, v91
	v_cndmask_b32_e64 v113, v115, v83, s15
	v_cndmask_b32_e64 v82, v94, v87, s5
	;; [unrolled: 1-line block ×7, first 2 shown]
	v_cndmask_b32_e32 v90, v102, v95, vcc_lo
	v_cndmask_b32_e32 v102, v106, v99, vcc_lo
	v_cndmask_b32_e64 v106, v110, v95, s13
	v_cndmask_b32_e64 v110, v111, v99, s13
	;; [unrolled: 1-line block ×4, first 2 shown]
	v_lshrrev_b32_e32 v96, 16, v80
	v_lshrrev_b32_e32 v100, 16, v84
	v_cndmask_b32_e64 v111, v112, v95, s17
	v_cndmask_b32_e64 v112, v113, v99, s17
	v_cndmask_b32_e32 v82, v82, v103, vcc_lo
	v_cndmask_b32_e32 v83, v83, v107, vcc_lo
	v_cndmask_b32_e64 v94, v94, v103, s13
	v_cndmask_b32_e64 v90, v90, v80, s3
	;; [unrolled: 1-line block ×7, first 2 shown]
	v_lshrrev_b32_e32 v104, 16, v88
	v_cndmask_b32_e64 v106, v111, v80, s21
	v_cndmask_b32_e64 v110, v112, v84, s21
	;; [unrolled: 1-line block ×11, first 2 shown]
	v_lshrrev_b32_e32 v97, 16, v81
	v_lshrrev_b32_e32 v101, 16, v85
	v_cndmask_b32_e64 v99, v106, v96, s23
	v_cndmask_b32_e64 v102, v110, v100, s23
	;; [unrolled: 1-line block ×7, first 2 shown]
	v_lshrrev_b32_e32 v105, 16, v89
	v_cndmask_b32_e64 v80, v80, v104, s6
	v_cndmask_b32_e64 v84, v84, v81, s7
	;; [unrolled: 1-line block ×16, first 2 shown]
	v_perm_b32 v81, v79, v78, 0x5040100
	v_perm_b32 v79, v95, v85, 0x5040100
	v_cndmask_b32_e64 v78, v119, v91, s15
	v_cndmask_b32_e64 v85, v117, v91, s12
	;; [unrolled: 1-line block ×3, first 2 shown]
	v_perm_b32 v80, v94, v90, 0x5040100
	v_cndmask_b32_e64 v90, v98, v103, s17
	v_cndmask_b32_e64 v86, v86, v103, s18
	;; [unrolled: 1-line block ×5, first 2 shown]
	v_lshrrev_b32_e32 v108, 16, v92
	v_cndmask_b32_e64 v90, v90, v88, s21
	v_cndmask_b32_e64 v86, v86, v88, s22
	;; [unrolled: 1-line block ×11, first 2 shown]
	v_lshrrev_b32_e32 v109, 16, v93
	v_cndmask_b32_e64 v82, v82, v93, s7
	v_cndmask_b32_e64 v88, v88, v89, s26
	;; [unrolled: 1-line block ×12, first 2 shown]
	v_perm_b32 v78, v84, v83, 0x5040100
	v_perm_b32 v85, v87, v86, 0x5040100
	;; [unrolled: 1-line block ×5, first 2 shown]
	s_mul_i32 s8, s33, 15
	s_mov_b32 s3, exec_lo
	ds_store_b128 v74, v[78:81]
	ds_store_b128 v74, v[82:85] offset:1024
	v_cmpx_gt_u32_e32 15, v0
	s_cbranch_execz .LBB1340_14
; %bb.13:
	s_mul_i32 s4, s8, s34
	s_delay_alu instid0(SALU_CYCLE_1) | instskip(SKIP_1) | instid1(VALU_DEP_1)
	v_add3_u32 v68, s4, s31, v68
	s_load_b128 s[4:7], s[0:1], 0x58
	v_mad_u64_u32 v[78:79], null, v68, s35, s[14:15]
	s_delay_alu instid0(VALU_DEP_1) | instskip(NEXT) | instid1(VALU_DEP_1)
	v_ashrrev_i32_e32 v79, 31, v78
	v_lshlrev_b64 v[78:79], 2, v[78:79]
	s_waitcnt lgkmcnt(0)
	s_delay_alu instid0(VALU_DEP_1) | instskip(NEXT) | instid1(VALU_DEP_2)
	v_add_co_u32 v80, vcc_lo, s6, v78
	v_add_co_ci_u32_e32 v81, vcc_lo, s7, v79, vcc_lo
	v_add_co_u32 v78, vcc_lo, s4, v78
	v_add_co_ci_u32_e32 v79, vcc_lo, s5, v79, vcc_lo
	global_store_b32 v[80:81], v76, off
	global_store_b32 v[78:79], v77, off
.LBB1340_14:
	s_or_b32 exec_lo, exec_lo, s3
	s_waitcnt lgkmcnt(0)
	s_waitcnt_vscnt null, 0x0
	s_barrier
	buffer_gl0_inv
	ds_load_b128 v[84:87], v73
	ds_load_b128 v[88:91], v73 offset:16
	ds_load_b128 v[96:99], v73 offset:2064
	;; [unrolled: 1-line block ×5, first 2 shown]
	v_cmp_eq_u32_e32 vcc_lo, 1, v70
	v_mov_b32_e32 v76, 0
	ds_load_b128 v[112:115], v73 offset:6160
	ds_load_b128 v[108:111], v73 offset:6144
	;; [unrolled: 1-line block ×4, first 2 shown]
	v_cmp_eq_u32_e64 s4, 1, v69
	v_cmp_eq_u32_e64 s3, 1, v72
	;; [unrolled: 1-line block ×3, first 2 shown]
	v_mov_b32_e32 v77, v76
	v_mov_b32_e32 v78, v76
	v_mov_b32_e32 v79, v76
	v_mov_b32_e32 v80, v76
	v_mov_b32_e32 v81, v76
	v_mov_b32_e32 v82, v76
	v_mov_b32_e32 v83, v76
	v_cmp_eq_u32_e64 s6, 3, v72
	v_cmp_eq_u32_e64 s7, 7, v72
	s_waitcnt lgkmcnt(8)
	s_delay_alu instid0(VALU_DEP_3)
	v_wmma_f32_16x16x16_f16 v[76:83], v[49:56], v[84:91], v[76:83]
	ds_load_b128 v[53:56], v73 offset:10256
	ds_load_b128 v[49:52], v73 offset:10240
	s_waitcnt lgkmcnt(8)
	v_wmma_f32_16x16x16_f16 v[76:83], v[41:48], v[92:99], v[76:83]
	ds_load_b128 v[45:48], v73 offset:12304
	ds_load_b128 v[41:44], v73 offset:12288
	s_waitcnt lgkmcnt(8)
	;; [unrolled: 4-line block ×3, first 2 shown]
	s_barrier
	buffer_gl0_inv
	v_wmma_f32_16x16x16_f16 v[76:83], v[1:8], v[108:115], v[76:83]
	s_delay_alu instid0(VALU_DEP_1) | instskip(NEXT) | instid1(VALU_DEP_1)
	v_wmma_f32_16x16x16_f16 v[76:83], v[9:16], v[116:123], v[76:83]
	v_wmma_f32_16x16x16_f16 v[76:83], v[17:24], v[49:56], v[76:83]
	s_delay_alu instid0(VALU_DEP_1) | instskip(NEXT) | instid1(VALU_DEP_1)
	v_wmma_f32_16x16x16_f16 v[76:83], v[25:32], v[41:48], v[76:83]
	v_wmma_f32_16x16x16_f16 v[76:83], v[57:64], v[33:40], v[76:83]
	s_delay_alu instid0(VALU_DEP_1) | instskip(NEXT) | instid1(VALU_DEP_2)
	v_cvt_f16_f32_e32 v1, v76
	v_cvt_f16_f32_e32 v2, v77
	s_delay_alu instid0(VALU_DEP_3) | instskip(NEXT) | instid1(VALU_DEP_4)
	v_cvt_f16_f32_e32 v3, v78
	v_cvt_f16_f32_e32 v4, v79
	;; [unrolled: 1-line block ×6, first 2 shown]
	v_pack_b32_f16 v1, v1, v2
	v_pack_b32_f16 v2, v3, v4
	;; [unrolled: 1-line block ×3, first 2 shown]
	s_delay_alu instid0(VALU_DEP_4)
	v_pack_b32_f16 v4, v7, v8
	ds_store_b128 v74, v[1:4]
	s_waitcnt lgkmcnt(0)
	s_barrier
	buffer_gl0_inv
	ds_load_b128 v[1:4], v75
	ds_load_b128 v[5:8], v75 offset:16
	s_waitcnt lgkmcnt(1)
	v_lshrrev_b32_e32 v9, 16, v1
	s_waitcnt lgkmcnt(0)
	v_lshrrev_b32_e32 v13, 16, v5
	v_lshrrev_b32_e32 v10, 16, v2
	;; [unrolled: 1-line block ×4, first 2 shown]
	v_cndmask_b32_e32 v17, v1, v9, vcc_lo
	v_cndmask_b32_e32 v18, v5, v13, vcc_lo
	v_cndmask_b32_e64 v21, v1, v9, s4
	v_cmp_eq_u32_e32 vcc_lo, 1, v71
	v_cndmask_b32_e64 v22, v5, v13, s4
	v_cmp_eq_u32_e64 s4, 2, v70
	v_cndmask_b32_e64 v19, v1, v9, s3
	v_cndmask_b32_e64 v20, v5, v13, s3
	v_cndmask_b32_e32 v1, v1, v9, vcc_lo
	v_cmp_eq_u32_e64 s3, 2, v71
	v_cndmask_b32_e32 v5, v5, v13, vcc_lo
	v_cndmask_b32_e64 v9, v17, v2, s4
	v_cmp_eq_u32_e32 vcc_lo, 3, v70
	v_cndmask_b32_e64 v13, v18, v6, s4
	v_cmp_eq_u32_e64 s4, 2, v69
	v_cndmask_b32_e64 v17, v19, v2, s5
	v_cndmask_b32_e64 v18, v20, v6, s5
	v_cmp_eq_u32_e64 s5, 3, v69
	v_cndmask_b32_e64 v1, v1, v2, s3
	v_cndmask_b32_e64 v19, v21, v2, s4
	;; [unrolled: 1-line block ×4, first 2 shown]
	v_cndmask_b32_e32 v5, v9, v10, vcc_lo
	v_cndmask_b32_e32 v6, v13, v14, vcc_lo
	v_cmp_eq_u32_e32 vcc_lo, 3, v71
	v_cndmask_b32_e64 v9, v17, v10, s6
	v_cndmask_b32_e64 v13, v18, v14, s6
	;; [unrolled: 1-line block ×3, first 2 shown]
	v_cmp_eq_u32_e64 s4, 4, v70
	v_cndmask_b32_e32 v1, v1, v10, vcc_lo
	v_cndmask_b32_e32 v2, v2, v14, vcc_lo
	v_cmp_eq_u32_e32 vcc_lo, 4, v72
	v_lshrrev_b32_e32 v15, 16, v7
	v_lshrrev_b32_e32 v16, 16, v8
	v_cndmask_b32_e64 v17, v19, v10, s5
	v_cmp_eq_u32_e64 s3, 4, v71
	v_cndmask_b32_e64 v5, v5, v3, s4
	v_cndmask_b32_e64 v6, v6, v7, s4
	v_cndmask_b32_e32 v9, v9, v3, vcc_lo
	v_cmp_eq_u32_e64 s4, 5, v72
	v_cndmask_b32_e32 v10, v13, v7, vcc_lo
	v_cmp_eq_u32_e32 vcc_lo, 4, v69
	v_cmp_eq_u32_e64 s5, 5, v70
	v_cndmask_b32_e64 v2, v2, v7, s3
	v_cndmask_b32_e64 v9, v9, v11, s4
	;; [unrolled: 1-line block ×3, first 2 shown]
	v_cndmask_b32_e32 v13, v17, v3, vcc_lo
	v_cmp_eq_u32_e64 s4, 5, v69
	v_cndmask_b32_e32 v14, v18, v7, vcc_lo
	v_cndmask_b32_e64 v1, v1, v3, s3
	v_cmp_eq_u32_e32 vcc_lo, 5, v71
	v_lshrrev_b32_e32 v12, 16, v4
	v_cndmask_b32_e64 v13, v13, v11, s4
	v_cndmask_b32_e64 v3, v14, v15, s4
	v_cmp_eq_u32_e64 s4, 6, v71
	v_cndmask_b32_e32 v1, v1, v11, vcc_lo
	v_cndmask_b32_e64 v5, v5, v11, s5
	v_cmp_eq_u32_e64 s6, 6, v70
	v_cndmask_b32_e64 v6, v6, v15, s5
	v_cmp_eq_u32_e64 s5, 6, v72
	v_cmp_eq_u32_e64 s3, 6, v69
	v_cndmask_b32_e64 v1, v1, v4, s4
	v_cndmask_b32_e32 v2, v2, v15, vcc_lo
	v_cmp_eq_u32_e32 vcc_lo, 7, v71
	v_cndmask_b32_e64 v5, v5, v4, s6
	v_cndmask_b32_e64 v9, v9, v4, s5
	;; [unrolled: 1-line block ×3, first 2 shown]
	v_cmp_eq_u32_e64 s6, 7, v70
	v_cndmask_b32_e32 v1, v1, v12, vcc_lo
	v_cndmask_b32_e64 v7, v13, v4, s3
	v_cndmask_b32_e64 v3, v3, v8, s3
	;; [unrolled: 1-line block ×3, first 2 shown]
	v_cmp_eq_u32_e64 s3, 7, v69
	v_cndmask_b32_e64 v4, v10, v8, s5
	v_cndmask_b32_e64 v5, v5, v12, s6
	v_cndmask_b32_e64 v9, v9, v12, s7
	v_cndmask_b32_e32 v2, v2, v16, vcc_lo
	v_cndmask_b32_e64 v7, v7, v12, s3
	v_cndmask_b32_e64 v3, v3, v16, s3
	;; [unrolled: 1-line block ×4, first 2 shown]
	v_perm_b32 v4, v2, v1, 0x5040100
	s_mov_b32 s3, exec_lo
	v_perm_b32 v3, v3, v7, 0x5040100
	v_perm_b32 v2, v8, v9, 0x5040100
	;; [unrolled: 1-line block ×3, first 2 shown]
	ds_store_b128 v74, v[1:4]
	s_waitcnt lgkmcnt(0)
	s_barrier
	buffer_gl0_inv
	v_cmpx_gt_u32_e32 32, v0
	s_cbranch_execz .LBB1340_2
; %bb.15:
	s_load_b64 s[4:5], s[0:1], 0x68
	v_add_nc_u32_e32 v20, s31, v66
	v_lshlrev_b32_e32 v0, 10, v0
	v_lshlrev_b32_e32 v1, 4, v67
	s_lshl_b32 s0, s35, 7
	s_delay_alu instid0(SALU_CYCLE_1)
	s_mul_i32 s1, s0, s34
	v_add_nc_u32_e32 v2, 2, v20
	s_mul_i32 s6, s1, s8
	v_and_or_b32 v0, 0x3800, v0, v1
	v_mul_lo_u32 v1, v20, s0
	s_ashr_i32 s7, s6, 31
	v_mul_lo_u32 v11, v2, s0
	s_lshl_b64 s[6:7], s[6:7], 1
	v_add_nc_u32_e32 v3, 4, v20
	v_lshl_or_b32 v21, v66, 6, v0
	v_add_nc_u32_e32 v16, 6, v20
	v_ashrrev_i32_e32 v2, 31, v1
	s_delay_alu instid0(VALU_DEP_4)
	v_mul_lo_u32 v13, v3, s0
	s_waitcnt lgkmcnt(0)
	s_add_u32 s1, s4, s6
	s_addc_u32 s3, s5, s7
	s_lshl_b32 s4, s14, 7
	ds_load_b128 v[3:6], v21
	ds_load_b128 v[7:10], v21 offset:128
	s_ashr_i32 s5, s4, 31
	v_ashrrev_i32_e32 v12, 31, v11
	s_lshl_b64 s[4:5], s[4:5], 1
	v_lshlrev_b64 v[14:15], 1, v[1:2]
	s_add_u32 s1, s1, s4
	s_addc_u32 s3, s3, s5
	v_add_co_u32 v1, s1, s1, v65
	s_delay_alu instid0(VALU_DEP_1) | instskip(SKIP_1) | instid1(VALU_DEP_3)
	v_add_co_ci_u32_e64 v2, null, s3, 0, s1
	v_lshlrev_b64 v[11:12], 1, v[11:12]
	v_add_co_u32 v18, vcc_lo, v1, v14
	v_mul_lo_u32 v16, v16, s0
	s_delay_alu instid0(VALU_DEP_4) | instskip(NEXT) | instid1(VALU_DEP_4)
	v_add_co_ci_u32_e32 v19, vcc_lo, v2, v15, vcc_lo
	v_add_co_u32 v11, vcc_lo, v1, v11
	v_ashrrev_i32_e32 v14, 31, v13
	v_add_co_ci_u32_e32 v12, vcc_lo, v2, v12, vcc_lo
	v_add_nc_u32_e32 v15, 8, v20
	v_ashrrev_i32_e32 v17, 31, v16
	s_waitcnt lgkmcnt(1)
	global_store_b128 v[18:19], v[3:6], off
	v_lshlrev_b64 v[3:4], 1, v[13:14]
	s_waitcnt lgkmcnt(0)
	global_store_b128 v[11:12], v[7:10], off
	v_mul_lo_u32 v11, v15, s0
	v_add_nc_u32_e32 v7, 10, v20
	v_lshlrev_b64 v[5:6], 1, v[16:17]
	v_add_co_u32 v23, vcc_lo, v1, v3
	v_add_nc_u32_e32 v3, 12, v20
	s_delay_alu instid0(VALU_DEP_4)
	v_mul_lo_u32 v25, v7, s0
	v_ashrrev_i32_e32 v12, 31, v11
	v_add_co_ci_u32_e32 v24, vcc_lo, v2, v4, vcc_lo
	v_add_co_u32 v27, vcc_lo, v1, v5
	v_mul_lo_u32 v29, v3, s0
	v_add_co_ci_u32_e32 v28, vcc_lo, v2, v6, vcc_lo
	ds_load_b128 v[3:6], v21 offset:256
	ds_load_b128 v[7:10], v21 offset:384
	v_lshlrev_b64 v[31:32], 1, v[11:12]
	ds_load_b128 v[11:14], v21 offset:512
	ds_load_b128 v[15:18], v21 offset:640
	;; [unrolled: 1-line block ×3, first 2 shown]
	v_ashrrev_i32_e32 v26, 31, v25
	v_ashrrev_i32_e32 v30, 31, v29
	v_add_co_u32 v31, vcc_lo, v1, v31
	s_delay_alu instid0(VALU_DEP_3) | instskip(NEXT) | instid1(VALU_DEP_3)
	v_lshlrev_b64 v[25:26], 1, v[25:26]
	v_lshlrev_b64 v[29:30], 1, v[29:30]
	v_add_co_ci_u32_e32 v32, vcc_lo, v2, v32, vcc_lo
	s_delay_alu instid0(VALU_DEP_3) | instskip(NEXT) | instid1(VALU_DEP_4)
	v_add_co_u32 v25, vcc_lo, v1, v25
	v_add_co_ci_u32_e32 v26, vcc_lo, v2, v26, vcc_lo
	s_delay_alu instid0(VALU_DEP_4)
	v_add_co_u32 v29, vcc_lo, v1, v29
	v_add_co_ci_u32_e32 v30, vcc_lo, v2, v30, vcc_lo
	s_waitcnt lgkmcnt(4)
	global_store_b128 v[23:24], v[3:6], off
	s_waitcnt lgkmcnt(3)
	global_store_b128 v[27:28], v[7:10], off
	;; [unrolled: 2-line block ×5, first 2 shown]
	s_and_b32 exec_lo, exec_lo, s2
	s_cbranch_execz .LBB1340_2
; %bb.16:
	ds_load_b128 v[3:6], v0 offset:896
	s_add_i32 s1, s31, 14
	s_delay_alu instid0(SALU_CYCLE_1) | instskip(NEXT) | instid1(SALU_CYCLE_1)
	s_mul_i32 s0, s1, s0
	s_ashr_i32 s1, s0, 31
	s_delay_alu instid0(SALU_CYCLE_1) | instskip(NEXT) | instid1(SALU_CYCLE_1)
	s_lshl_b64 s[0:1], s[0:1], 1
	v_add_co_u32 v0, vcc_lo, v1, s0
	v_add_co_ci_u32_e32 v1, vcc_lo, s1, v2, vcc_lo
	s_waitcnt lgkmcnt(0)
	global_store_b128 v[0:1], v[3:6], off
	s_nop 0
	s_sendmsg sendmsg(MSG_DEALLOC_VGPRS)
	s_endpgm
	.section	.rodata,"a",@progbits
	.p2align	6, 0x0
	.amdhsa_kernel _Z39paged_attention_ll4mi_QKV_mfma16_kernelIDF16_hLN4vllm18Fp8KVCacheDataTypeE1EDF16_Li32ELi128ELi256ELb0ELi15EL8MFMAType0EEvPKT_PKT0_S8_ifPKiSA_SA_iPKfiiiPfSD_PS3_PT2_iSC_SC_
		.amdhsa_group_segment_fixed_size 17472
		.amdhsa_private_segment_fixed_size 0
		.amdhsa_kernarg_size 400
		.amdhsa_user_sgpr_count 13
		.amdhsa_user_sgpr_dispatch_ptr 0
		.amdhsa_user_sgpr_queue_ptr 0
		.amdhsa_user_sgpr_kernarg_segment_ptr 1
		.amdhsa_user_sgpr_dispatch_id 0
		.amdhsa_user_sgpr_private_segment_size 0
		.amdhsa_wavefront_size32 1
		.amdhsa_uses_dynamic_stack 0
		.amdhsa_enable_private_segment 0
		.amdhsa_system_sgpr_workgroup_id_x 1
		.amdhsa_system_sgpr_workgroup_id_y 1
		.amdhsa_system_sgpr_workgroup_id_z 1
		.amdhsa_system_sgpr_workgroup_info 0
		.amdhsa_system_vgpr_workitem_id 0
		.amdhsa_next_free_vgpr 150
		.amdhsa_next_free_sgpr 37
		.amdhsa_reserve_vcc 1
		.amdhsa_float_round_mode_32 0
		.amdhsa_float_round_mode_16_64 0
		.amdhsa_float_denorm_mode_32 3
		.amdhsa_float_denorm_mode_16_64 3
		.amdhsa_dx10_clamp 1
		.amdhsa_ieee_mode 1
		.amdhsa_fp16_overflow 0
		.amdhsa_workgroup_processor_mode 1
		.amdhsa_memory_ordered 1
		.amdhsa_forward_progress 0
		.amdhsa_shared_vgpr_count 0
		.amdhsa_exception_fp_ieee_invalid_op 0
		.amdhsa_exception_fp_denorm_src 0
		.amdhsa_exception_fp_ieee_div_zero 0
		.amdhsa_exception_fp_ieee_overflow 0
		.amdhsa_exception_fp_ieee_underflow 0
		.amdhsa_exception_fp_ieee_inexact 0
		.amdhsa_exception_int_div_zero 0
	.end_amdhsa_kernel
	.section	.text._Z39paged_attention_ll4mi_QKV_mfma16_kernelIDF16_hLN4vllm18Fp8KVCacheDataTypeE1EDF16_Li32ELi128ELi256ELb0ELi15EL8MFMAType0EEvPKT_PKT0_S8_ifPKiSA_SA_iPKfiiiPfSD_PS3_PT2_iSC_SC_,"axG",@progbits,_Z39paged_attention_ll4mi_QKV_mfma16_kernelIDF16_hLN4vllm18Fp8KVCacheDataTypeE1EDF16_Li32ELi128ELi256ELb0ELi15EL8MFMAType0EEvPKT_PKT0_S8_ifPKiSA_SA_iPKfiiiPfSD_PS3_PT2_iSC_SC_,comdat
.Lfunc_end1340:
	.size	_Z39paged_attention_ll4mi_QKV_mfma16_kernelIDF16_hLN4vllm18Fp8KVCacheDataTypeE1EDF16_Li32ELi128ELi256ELb0ELi15EL8MFMAType0EEvPKT_PKT0_S8_ifPKiSA_SA_iPKfiiiPfSD_PS3_PT2_iSC_SC_, .Lfunc_end1340-_Z39paged_attention_ll4mi_QKV_mfma16_kernelIDF16_hLN4vllm18Fp8KVCacheDataTypeE1EDF16_Li32ELi128ELi256ELb0ELi15EL8MFMAType0EEvPKT_PKT0_S8_ifPKiSA_SA_iPKfiiiPfSD_PS3_PT2_iSC_SC_
                                        ; -- End function
	.section	.AMDGPU.csdata,"",@progbits
; Kernel info:
; codeLenInByte = 6908
; NumSgprs: 39
; NumVgprs: 150
; ScratchSize: 0
; MemoryBound: 0
; FloatMode: 240
; IeeeMode: 1
; LDSByteSize: 17472 bytes/workgroup (compile time only)
; SGPRBlocks: 4
; VGPRBlocks: 18
; NumSGPRsForWavesPerEU: 39
; NumVGPRsForWavesPerEU: 150
; Occupancy: 9
; WaveLimiterHint : 1
; COMPUTE_PGM_RSRC2:SCRATCH_EN: 0
; COMPUTE_PGM_RSRC2:USER_SGPR: 13
; COMPUTE_PGM_RSRC2:TRAP_HANDLER: 0
; COMPUTE_PGM_RSRC2:TGID_X_EN: 1
; COMPUTE_PGM_RSRC2:TGID_Y_EN: 1
; COMPUTE_PGM_RSRC2:TGID_Z_EN: 1
; COMPUTE_PGM_RSRC2:TIDIG_COMP_CNT: 0
	.section	.text._Z39paged_attention_ll4mi_QKV_mfma16_kernelIDF16_hLN4vllm18Fp8KVCacheDataTypeE1EDF16_Li32ELi128ELi256ELb0ELi16EL8MFMAType0EEvPKT_PKT0_S8_ifPKiSA_SA_iPKfiiiPfSD_PS3_PT2_iSC_SC_,"axG",@progbits,_Z39paged_attention_ll4mi_QKV_mfma16_kernelIDF16_hLN4vllm18Fp8KVCacheDataTypeE1EDF16_Li32ELi128ELi256ELb0ELi16EL8MFMAType0EEvPKT_PKT0_S8_ifPKiSA_SA_iPKfiiiPfSD_PS3_PT2_iSC_SC_,comdat
	.protected	_Z39paged_attention_ll4mi_QKV_mfma16_kernelIDF16_hLN4vllm18Fp8KVCacheDataTypeE1EDF16_Li32ELi128ELi256ELb0ELi16EL8MFMAType0EEvPKT_PKT0_S8_ifPKiSA_SA_iPKfiiiPfSD_PS3_PT2_iSC_SC_ ; -- Begin function _Z39paged_attention_ll4mi_QKV_mfma16_kernelIDF16_hLN4vllm18Fp8KVCacheDataTypeE1EDF16_Li32ELi128ELi256ELb0ELi16EL8MFMAType0EEvPKT_PKT0_S8_ifPKiSA_SA_iPKfiiiPfSD_PS3_PT2_iSC_SC_
	.globl	_Z39paged_attention_ll4mi_QKV_mfma16_kernelIDF16_hLN4vllm18Fp8KVCacheDataTypeE1EDF16_Li32ELi128ELi256ELb0ELi16EL8MFMAType0EEvPKT_PKT0_S8_ifPKiSA_SA_iPKfiiiPfSD_PS3_PT2_iSC_SC_
	.p2align	8
	.type	_Z39paged_attention_ll4mi_QKV_mfma16_kernelIDF16_hLN4vllm18Fp8KVCacheDataTypeE1EDF16_Li32ELi128ELi256ELb0ELi16EL8MFMAType0EEvPKT_PKT0_S8_ifPKiSA_SA_iPKfiiiPfSD_PS3_PT2_iSC_SC_,@function
_Z39paged_attention_ll4mi_QKV_mfma16_kernelIDF16_hLN4vllm18Fp8KVCacheDataTypeE1EDF16_Li32ELi128ELi256ELb0ELi16EL8MFMAType0EEvPKT_PKT0_S8_ifPKiSA_SA_iPKfiiiPfSD_PS3_PT2_iSC_SC_: ; @_Z39paged_attention_ll4mi_QKV_mfma16_kernelIDF16_hLN4vllm18Fp8KVCacheDataTypeE1EDF16_Li32ELi128ELi256ELb0ELi16EL8MFMAType0EEvPKT_PKT0_S8_ifPKiSA_SA_iPKfiiiPfSD_PS3_PT2_iSC_SC_
; %bb.0:
	s_load_b64 s[4:5], s[0:1], 0x30
	s_mov_b32 s30, s13
	s_waitcnt lgkmcnt(0)
	s_cmp_lg_u64 s[4:5], 0
	s_cselect_b32 s8, -1, 0
	s_ashr_i32 s31, s13, 31
	s_cmp_eq_u64 s[4:5], 0
	s_cbranch_scc1 .LBB1341_3
; %bb.1:
	s_lshl_b64 s[2:3], s[30:31], 2
	s_delay_alu instid0(SALU_CYCLE_1) | instskip(SKIP_4) | instid1(SALU_CYCLE_1)
	s_add_u32 s2, s4, s2
	s_addc_u32 s3, s5, s3
	s_load_b64 s[2:3], s[2:3], 0x0
	s_waitcnt lgkmcnt(0)
	s_sub_i32 s2, s3, s2
	s_cmp_eq_u32 s2, 1
	s_cselect_b32 s2, -1, 0
	s_delay_alu instid0(SALU_CYCLE_1)
	s_and_not1_b32 vcc_lo, exec_lo, s2
	s_cbranch_vccz .LBB1341_4
.LBB1341_2:
	s_endpgm
.LBB1341_3:
.LBB1341_4:
	s_load_b64 s[2:3], s[0:1], 0x28
	s_lshl_b64 s[6:7], s[30:31], 2
	s_waitcnt lgkmcnt(0)
	s_add_u32 s2, s2, s6
	s_addc_u32 s3, s3, s7
	s_lshl_b32 s12, s14, 8
	s_load_b32 s24, s[2:3], 0x0
	s_waitcnt lgkmcnt(0)
	s_cmp_ge_i32 s12, s24
	s_cbranch_scc1 .LBB1341_2
; %bb.5:
	s_clause 0x1
	s_load_b128 s[20:23], s[0:1], 0x8
	s_load_b64 s[2:3], s[0:1], 0x20
	s_and_not1_b32 vcc_lo, exec_lo, s8
	s_cbranch_vccnz .LBB1341_7
; %bb.6:
	s_add_u32 s4, s4, s6
	s_addc_u32 s5, s5, s7
	s_load_b32 s5, s[4:5], 0x0
	s_branch .LBB1341_8
.LBB1341_7:
	s_mov_b32 s5, s30
.LBB1341_8:
	s_load_b128 s[16:19], s[0:1], 0x48
	v_and_b32_e32 v70, 15, v0
	v_lshrrev_b32_e32 v69, 5, v0
	v_and_b32_e32 v71, 31, v0
	v_and_b32_e32 v67, 1, v0
	v_bfe_u32 v66, v0, 4, 1
	v_lshlrev_b32_e32 v1, 3, v70
	s_lshl_b32 s31, s15, 4
	s_mov_b32 s4, exec_lo
	s_delay_alu instid0(VALU_DEP_1)
	v_lshlrev_b32_e32 v65, 1, v1
	v_cmpx_gt_u32_e32 0x100, v0
	s_cbranch_execz .LBB1341_10
; %bb.9:
	v_lshl_or_b32 v5, v69, 1, v66
	s_load_b64 s[6:7], s[0:1], 0x0
	s_waitcnt lgkmcnt(0)
	s_mul_hi_i32 s9, s5, s16
	s_mul_i32 s8, s5, s16
	v_lshlrev_b32_e32 v6, 10, v70
	v_or_b32_e32 v1, s31, v5
	s_lshl_b64 s[8:9], s[8:9], 1
	v_lshlrev_b32_e32 v5, 6, v5
	v_lshlrev_b32_e32 v7, 10, v67
	v_and_b32_e32 v6, 0x3800, v6
	v_lshlrev_b32_e32 v1, 7, v1
	s_delay_alu instid0(VALU_DEP_2) | instskip(NEXT) | instid1(VALU_DEP_2)
	v_or3_b32 v5, v6, v7, v5
	v_ashrrev_i32_e32 v2, 31, v1
	s_delay_alu instid0(VALU_DEP_1) | instskip(SKIP_2) | instid1(VALU_DEP_1)
	v_lshlrev_b64 v[1:2], 1, v[1:2]
	s_add_u32 s5, s6, s8
	s_addc_u32 s6, s7, s9
	v_add_co_u32 v1, vcc_lo, s5, v1
	s_delay_alu instid0(VALU_DEP_2) | instskip(NEXT) | instid1(VALU_DEP_2)
	v_add_co_ci_u32_e32 v2, vcc_lo, s6, v2, vcc_lo
	v_add_co_u32 v1, vcc_lo, v1, v65
	s_delay_alu instid0(VALU_DEP_2)
	v_add_co_ci_u32_e32 v2, vcc_lo, 0, v2, vcc_lo
	global_load_b128 v[1:4], v[1:2], off
	s_waitcnt vmcnt(0)
	ds_store_b128 v5, v[1:4]
.LBB1341_10:
	s_or_b32 exec_lo, exec_lo, s4
	v_and_b32_e32 v1, 0xef, v0
	s_waitcnt lgkmcnt(0)
	s_add_i32 s5, s24, 31
	s_clause 0x1
	s_load_b32 s4, s[0:1], 0x38
	s_load_b32 s33, s[0:1], 0x98
	s_ashr_i32 s6, s5, 31
	v_add_nc_u32_e32 v1, s12, v1
	s_lshr_b32 s6, s6, 27
	s_load_b32 s19, s[0:1], 0x1c
	s_add_i32 s5, s5, s6
	s_waitcnt lgkmcnt(0)
	v_ashrrev_i32_e32 v2, 31, v1
	v_or_b32_e32 v3, 16, v1
	s_ashr_i32 s13, s5, 5
	v_cmp_gt_i32_e32 vcc_lo, s24, v1
	s_add_i32 s13, s13, -1
	v_lshrrev_b32_e32 v2, 27, v2
	s_barrier
	buffer_gl0_inv
	s_mul_i32 s35, s15, s18
	v_add_nc_u32_e32 v4, v1, v2
	s_mul_i32 s4, s30, s4
	s_delay_alu instid0(SALU_CYCLE_1) | instskip(NEXT) | instid1(VALU_DEP_1)
	s_ashr_i32 s5, s4, 31
	v_ashrrev_i32_e32 v4, 5, v4
	v_add_nc_u32_e32 v2, v3, v2
	s_lshl_b64 s[4:5], s[4:5], 2
	s_delay_alu instid0(SALU_CYCLE_1) | instskip(NEXT) | instid1(VALU_DEP_2)
	s_add_u32 s25, s2, s4
	v_cndmask_b32_e32 v1, s13, v4, vcc_lo
	s_delay_alu instid0(VALU_DEP_2)
	v_ashrrev_i32_e32 v2, 5, v2
	v_cmp_gt_i32_e32 vcc_lo, s24, v3
	s_addc_u32 s34, s3, s5
	s_ashr_i32 s36, s35, 31
	s_add_u32 s4, s20, s35
	s_addc_u32 s5, s21, s36
	v_cndmask_b32_e32 v3, s13, v2, vcc_lo
	v_ashrrev_i32_e32 v2, 31, v1
	s_lshl_b32 s2, s14, 3
	s_delay_alu instid0(SALU_CYCLE_1) | instskip(NEXT) | instid1(VALU_DEP_2)
	s_ashr_i32 s3, s2, 31
	v_ashrrev_i32_e32 v4, 31, v3
	s_delay_alu instid0(VALU_DEP_2) | instskip(SKIP_1) | instid1(SALU_CYCLE_1)
	v_lshlrev_b64 v[1:2], 2, v[1:2]
	s_lshl_b64 s[2:3], s[2:3], 2
	s_add_u32 s2, s25, s2
	s_delay_alu instid0(VALU_DEP_2) | instskip(SKIP_1) | instid1(VALU_DEP_2)
	v_lshlrev_b64 v[3:4], 2, v[3:4]
	s_addc_u32 s3, s34, s3
	v_add_co_u32 v1, vcc_lo, s25, v1
	v_add_co_ci_u32_e32 v2, vcc_lo, s34, v2, vcc_lo
	s_delay_alu instid0(VALU_DEP_3) | instskip(NEXT) | instid1(VALU_DEP_4)
	v_add_co_u32 v3, vcc_lo, s25, v3
	v_add_co_ci_u32_e32 v4, vcc_lo, s34, v4, vcc_lo
	s_clause 0x1
	global_load_b32 v5, v[1:2], off
	global_load_b32 v6, v[3:4], off
	s_or_b32 s6, s12, 32
	s_delay_alu instid0(SALU_CYCLE_1) | instskip(SKIP_2) | instid1(SALU_CYCLE_1)
	s_ashr_i32 s7, s6, 5
	s_cmp_lt_i32 s6, s24
	s_cselect_b32 s6, s7, s13
	s_ashr_i32 s7, s6, 31
	s_delay_alu instid0(SALU_CYCLE_1) | instskip(NEXT) | instid1(SALU_CYCLE_1)
	s_lshl_b64 s[6:7], s[6:7], 2
	s_add_u32 s6, s25, s6
	s_addc_u32 s7, s34, s7
	s_or_b32 s8, s12, 64
	s_delay_alu instid0(SALU_CYCLE_1) | instskip(SKIP_2) | instid1(SALU_CYCLE_1)
	s_ashr_i32 s9, s8, 5
	s_cmp_lt_i32 s8, s24
	s_cselect_b32 s8, s9, s13
	s_ashr_i32 s9, s8, 31
	s_delay_alu instid0(SALU_CYCLE_1) | instskip(NEXT) | instid1(SALU_CYCLE_1)
	s_lshl_b64 s[8:9], s[8:9], 2
	s_add_u32 s8, s25, s8
	s_addc_u32 s9, s34, s9
	;; [unrolled: 10-line block ×5, first 2 shown]
	s_clause 0x5
	s_load_b32 s20, s[2:3], 0x0
	s_load_b32 s2, s[6:7], 0x0
	;; [unrolled: 1-line block ×6, first 2 shown]
	s_or_b32 s8, s12, 0xc0
	s_delay_alu instid0(SALU_CYCLE_1) | instskip(SKIP_2) | instid1(SALU_CYCLE_1)
	s_ashr_i32 s9, s8, 5
	s_cmp_lt_i32 s8, s24
	s_cselect_b32 s26, s9, s13
	s_ashr_i32 s27, s26, 31
	s_delay_alu instid0(SALU_CYCLE_1) | instskip(NEXT) | instid1(SALU_CYCLE_1)
	s_lshl_b64 s[26:27], s[26:27], 2
	s_add_u32 s26, s25, s26
	s_addc_u32 s27, s34, s27
	s_or_b32 s21, s12, 0xe0
	s_waitcnt vmcnt(1)
	v_mad_i64_i32 v[1:2], null, v5, s17, s[4:5]
	s_waitcnt vmcnt(0)
	v_mad_i64_i32 v[3:4], null, v6, s17, s[4:5]
	s_mov_b32 s4, 0
	s_delay_alu instid0(SALU_CYCLE_1)
	s_mov_b32 s5, s4
	s_mov_b32 s6, s4
	;; [unrolled: 1-line block ×7, first 2 shown]
	v_lshlrev_b32_e32 v5, 4, v70
	v_dual_mov_b32 v103, s11 :: v_dual_mov_b32 v98, s6
	v_dual_mov_b32 v101, s9 :: v_dual_lshlrev_b32 v68, 6, v70
	s_delay_alu instid0(VALU_DEP_3)
	v_add_co_u32 v33, vcc_lo, v1, v5
	v_add_co_ci_u32_e32 v34, vcc_lo, 0, v2, vcc_lo
	v_add_co_u32 v35, vcc_lo, v3, v5
	v_add_co_ci_u32_e32 v36, vcc_lo, 0, v4, vcc_lo
	s_clause 0xf
	global_load_b128 v[1:4], v[33:34], off
	global_load_b128 v[5:8], v[33:34], off offset:512
	global_load_b128 v[9:12], v[35:36], off offset:256
	;; [unrolled: 1-line block ×15, first 2 shown]
	v_dual_mov_b32 v96, s4 :: v_dual_lshlrev_b32 v41, 5, v70
	v_mov_b32_e32 v102, s10
	v_dual_mov_b32 v100, s8 :: v_dual_mov_b32 v99, s7
	v_mov_b32_e32 v97, s5
	s_ashr_i32 s4, s21, 5
	s_cmp_lt_i32 s21, s24
	ds_load_b128 v[33:36], v68
	ds_load_b128 v[37:40], v68 offset:1024
	s_cselect_b32 s4, s4, s13
	ds_load_b128 v[104:107], v68 offset:2048
	ds_load_b128 v[108:111], v68 offset:3072
	s_ashr_i32 s5, s4, 31
	s_load_b32 s6, s[26:27], 0x0
	s_lshl_b64 s[4:5], s[4:5], 2
	ds_load_b128 v[112:115], v68 offset:4096
	ds_load_b128 v[116:119], v68 offset:5120
	s_add_u32 s4, s25, s4
	s_addc_u32 s5, s34, s5
	v_lshl_or_b32 v41, v69, 9, v41
	s_load_b32 s4, s[4:5], 0x0
	s_add_u32 s7, s22, s35
	s_addc_u32 s8, s23, s36
	s_delay_alu instid0(VALU_DEP_1) | instskip(NEXT) | instid1(VALU_DEP_1)
	v_add_co_u32 v128, s7, s7, v41
	v_add_co_ci_u32_e64 v129, null, s8, 0, s7
	s_waitcnt lgkmcnt(0)
	s_delay_alu instid0(VALU_DEP_1)
	v_mad_i64_i32 v[41:42], null, s20, s17, v[128:129]
	v_mad_i64_i32 v[130:131], null, s3, s17, v[128:129]
	;; [unrolled: 1-line block ×7, first 2 shown]
	s_clause 0x3
	global_load_b128 v[49:52], v[41:42], off
	global_load_b128 v[53:56], v[41:42], off offset:16
	global_load_b128 v[41:44], v[45:46], off
	global_load_b128 v[45:48], v[45:46], off offset:16
	s_waitcnt vmcnt(18)
	v_wmma_f32_16x16x16_f16 v[120:127], v[1:8], v[33:40], v[96:103]
	s_waitcnt vmcnt(16)
	v_wmma_f32_16x16x16_f16 v[96:103], v[9:16], v[33:40], v[96:103]
	s_clause 0x3
	global_load_b128 v[33:36], v[130:131], off
	global_load_b128 v[37:40], v[130:131], off offset:16
	global_load_b128 v[1:4], v[132:133], off
	global_load_b128 v[5:8], v[132:133], off offset:16
	s_waitcnt vmcnt(18)
	v_wmma_f32_16x16x16_f16 v[120:127], v[17:24], v[104:111], v[120:127]
	s_clause 0x3
	global_load_b128 v[9:12], v[134:135], off
	global_load_b128 v[13:16], v[134:135], off offset:16
	global_load_b128 v[17:20], v[136:137], off
	global_load_b128 v[21:24], v[136:137], off offset:16
	s_waitcnt vmcnt(20)
	v_wmma_f32_16x16x16_f16 v[96:103], v[25:32], v[104:111], v[96:103]
	v_mad_i64_i32 v[104:105], null, s4, s17, v[128:129]
	s_waitcnt vmcnt(18)
	v_wmma_f32_16x16x16_f16 v[120:127], v[57:64], v[112:119], v[120:127]
	s_clause 0x3
	global_load_b128 v[25:28], v[138:139], off
	global_load_b128 v[29:32], v[138:139], off offset:16
	global_load_b128 v[57:60], v[104:105], off
	global_load_b128 v[61:64], v[104:105], off offset:16
	s_waitcnt vmcnt(20)
	v_wmma_f32_16x16x16_f16 v[96:103], v[72:79], v[112:119], v[96:103]
	ds_load_b128 v[72:75], v68 offset:6144
	ds_load_b128 v[76:79], v68 offset:7168
	v_and_b32_e32 v104, 0xe0, v0
	v_mbcnt_lo_u32_b32 v105, -1, 0
	s_waitcnt vmcnt(0) lgkmcnt(0)
	s_barrier
	buffer_gl0_inv
	v_add_nc_u32_e32 v104, s12, v104
	v_xor_b32_e32 v106, 16, v105
	s_delay_alu instid0(VALU_DEP_2) | instskip(NEXT) | instid1(VALU_DEP_2)
	v_or_b32_e32 v104, v104, v66
	v_cmp_gt_i32_e32 vcc_lo, 32, v106
	s_delay_alu instid0(VALU_DEP_2)
	v_or_b32_e32 v107, 4, v104
	v_or_b32_e32 v108, 6, v104
	v_cmp_gt_i32_e64 s2, s24, v104
	v_or_b32_e32 v109, 8, v104
	v_wmma_f32_16x16x16_f16 v[120:127], v[80:87], v[72:79], v[120:127]
	v_cndmask_b32_e32 v105, v105, v106, vcc_lo
	v_or_b32_e32 v106, 2, v104
	v_wmma_f32_16x16x16_f16 v[96:103], v[88:95], v[72:79], v[96:103]
	v_or_b32_e32 v80, 10, v104
	v_dual_mul_f32 v78, s19, v124 :: v_dual_mul_f32 v79, s19, v123
	v_dual_mul_f32 v90, s19, v120 :: v_dual_mul_f32 v89, s19, v121
	s_delay_alu instid0(VALU_DEP_4) | instskip(SKIP_2) | instid1(VALU_DEP_4)
	v_mul_f32_e32 v92, s19, v102
	v_cmp_gt_i32_e32 vcc_lo, s24, v106
	v_dual_mul_f32 v77, s19, v125 :: v_dual_mul_f32 v88, s19, v122
	v_cndmask_b32_e64 v90, 0xff7fffff, v90, s2
	v_cmp_gt_i32_e64 s3, s24, v107
	v_cndmask_b32_e32 v89, 0xff7fffff, v89, vcc_lo
	v_cmp_gt_i32_e64 s4, s24, v108
	v_or_b32_e32 v81, 12, v104
	v_or_b32_e32 v82, 14, v104
	v_cndmask_b32_e64 v88, 0xff7fffff, v88, s3
	v_max3_f32 v89, v90, 0xff7fffff, v89
	v_cndmask_b32_e64 v79, 0xff7fffff, v79, s4
	v_cmp_gt_i32_e64 s5, s24, v109
	v_cmp_gt_i32_e64 s6, s24, v80
	v_or_b32_e32 v83, 16, v104
	v_or_b32_e32 v84, 18, v104
	v_dual_mul_f32 v75, s19, v127 :: v_dual_mul_f32 v76, s19, v126
	v_cndmask_b32_e64 v78, 0xff7fffff, v78, s5
	v_cndmask_b32_e64 v77, 0xff7fffff, v77, s6
	v_max3_f32 v79, v89, v88, v79
	v_cmp_gt_i32_e64 s7, s24, v81
	v_cmp_gt_i32_e64 s8, s24, v82
	v_or_b32_e32 v85, 20, v104
	v_or_b32_e32 v86, 22, v104
	;; [unrolled: 1-line block ×6, first 2 shown]
	v_dual_mul_f32 v95, s19, v99 :: v_dual_mul_f32 v104, s19, v97
	v_mul_f32_e32 v107, s19, v96
	v_cndmask_b32_e64 v76, 0xff7fffff, v76, s7
	v_cndmask_b32_e64 v75, 0xff7fffff, v75, s8
	v_max3_f32 v77, v79, v78, v77
	v_cmp_gt_i32_e64 s9, s24, v83
	v_cmp_gt_i32_e64 s10, s24, v84
	v_dual_mul_f32 v93, s19, v101 :: v_dual_mul_f32 v106, s19, v98
	s_delay_alu instid0(VALU_DEP_4) | instskip(NEXT) | instid1(VALU_DEP_4)
	v_max3_f32 v75, v77, v76, v75
	v_cndmask_b32_e64 v78, 0xff7fffff, v107, s9
	s_delay_alu instid0(VALU_DEP_4) | instskip(SKIP_3) | instid1(VALU_DEP_4)
	v_cndmask_b32_e64 v79, 0xff7fffff, v104, s10
	v_cmp_gt_i32_e64 s11, s24, v85
	v_cmp_gt_i32_e64 s12, s24, v86
	v_dual_mul_f32 v91, s19, v103 :: v_dual_mul_f32 v94, s19, v100
	v_max3_f32 v75, v75, v78, v79
	s_delay_alu instid0(VALU_DEP_4) | instskip(NEXT) | instid1(VALU_DEP_4)
	v_cndmask_b32_e64 v76, 0xff7fffff, v106, s11
	v_cndmask_b32_e64 v77, 0xff7fffff, v95, s12
	v_cmp_gt_i32_e64 s13, s24, v87
	v_cmp_gt_i32_e64 s15, s24, v72
	;; [unrolled: 1-line block ×4, first 2 shown]
	v_max3_f32 v75, v75, v76, v77
	v_cndmask_b32_e64 v78, 0xff7fffff, v94, s13
	v_cndmask_b32_e64 v72, 0xff7fffff, v93, s15
	;; [unrolled: 1-line block ×4, first 2 shown]
	s_delay_alu instid0(VALU_DEP_3) | instskip(SKIP_1) | instid1(VALU_DEP_2)
	v_max3_f32 v72, v75, v78, v72
	v_lshlrev_b32_e32 v75, 2, v105
	v_max3_f32 v72, v72, v73, v74
	ds_bpermute_b32 v73, v75, v72
	s_waitcnt lgkmcnt(0)
	v_max_f32_e32 v73, v73, v73
	s_delay_alu instid0(VALU_DEP_1) | instskip(NEXT) | instid1(VALU_DEP_1)
	v_max_f32_e32 v72, v72, v73
	v_fma_f32 v76, s19, v122, -v72
	v_fma_f32 v73, s19, v120, -v72
	;; [unrolled: 1-line block ×5, first 2 shown]
	v_mul_f32_e32 v76, 0x3fb8aa3b, v76
	v_fma_f32 v82, s19, v126, -v72
	v_mul_f32_e32 v74, 0x3fb8aa3b, v74
	v_fma_f32 v86, s19, v99, -v72
	v_fma_f32 v91, s19, v103, -v72
	v_exp_f32_e32 v76, v76
	v_mul_f32_e32 v82, 0x3fb8aa3b, v82
	v_exp_f32_e32 v74, v74
	v_mul_f32_e32 v88, 0x3fb8aa3b, v86
	v_fma_f32 v89, s19, v101, -v72
	s_delay_alu instid0(VALU_DEP_3) | instskip(NEXT) | instid1(VALU_DEP_2)
	v_exp_f32_e32 v84, v82
	v_exp_f32_e32 v90, v88
	s_delay_alu instid0(VALU_DEP_1)
	v_mul_f32_e32 v89, 0x3fb8aa3b, v89
	v_cndmask_b32_e64 v80, 0, v76, s3
	v_mul_f32_e32 v73, 0x3fb8aa3b, v73
	v_fma_f32 v76, s19, v127, -v72
	v_mul_f32_e32 v77, 0x3fb8aa3b, v77
	v_exp_f32_e32 v89, v89
	s_delay_alu instid0(VALU_DEP_3) | instskip(NEXT) | instid1(VALU_DEP_2)
	v_exp_f32_e32 v73, v73
	v_mul_f32_e32 v76, 0x3fb8aa3b, v76
	s_delay_alu instid0(VALU_DEP_2) | instskip(SKIP_2) | instid1(VALU_DEP_3)
	v_exp_f32_e32 v81, v77
	v_cndmask_b32_e32 v77, 0, v74, vcc_lo
	v_cndmask_b32_e64 v84, 0, v84, s7
	v_exp_f32_e32 v76, v76
	v_cndmask_b32_e64 v89, 0, v89, s15
	s_delay_alu instid0(TRANS32_DEP_3) | instskip(SKIP_2) | instid1(VALU_DEP_2)
	v_cndmask_b32_e64 v78, 0, v73, s2
	v_fma_f32 v73, s19, v125, -v72
	s_mov_b32 s2, exec_lo
	v_dual_add_f32 v74, 0, v78 :: v_dual_mul_f32 v79, 0x3fb8aa3b, v79
	s_delay_alu instid0(VALU_DEP_2) | instskip(NEXT) | instid1(VALU_DEP_2)
	v_mul_f32_e32 v73, 0x3fb8aa3b, v73
	v_add_f32_e32 v74, v74, v77
	s_delay_alu instid0(VALU_DEP_3) | instskip(NEXT) | instid1(VALU_DEP_2)
	v_exp_f32_e32 v83, v79
	v_exp_f32_e32 v73, v73
	v_cndmask_b32_e64 v79, 0, v81, s4
	v_fma_f32 v81, s19, v96, -v72
	s_delay_alu instid0(VALU_DEP_1) | instskip(NEXT) | instid1(VALU_DEP_1)
	v_dual_add_f32 v74, v74, v80 :: v_dual_mul_f32 v85, 0x3fb8aa3b, v81
	v_add_f32_e32 v74, v74, v79
	s_waitcnt_depctr 0xfff
	v_cndmask_b32_e64 v82, 0, v83, s5
	v_fma_f32 v83, s19, v97, -v72
	v_cndmask_b32_e64 v81, 0, v73, s6
	v_exp_f32_e32 v85, v85
	s_delay_alu instid0(VALU_DEP_2) | instskip(NEXT) | instid1(VALU_DEP_1)
	v_mul_f32_e32 v83, 0x3fb8aa3b, v83
	v_exp_f32_e32 v87, v83
	v_cndmask_b32_e64 v83, 0, v76, s8
	v_fma_f32 v76, s19, v100, -v72
	v_add_f32_e32 v73, v74, v82
	v_fma_f32 v74, s19, v98, -v72
	s_delay_alu instid0(TRANS32_DEP_2) | instskip(NEXT) | instid1(VALU_DEP_4)
	v_cndmask_b32_e64 v86, 0, v85, s9
	v_mul_f32_e32 v76, 0x3fb8aa3b, v76
	s_delay_alu instid0(VALU_DEP_3) | instskip(NEXT) | instid1(TRANS32_DEP_1)
	v_mul_f32_e32 v74, 0x3fb8aa3b, v74
	v_cndmask_b32_e64 v85, 0, v87, s10
	v_fma_f32 v87, s19, v102, -v72
	v_add_f32_e32 v73, v73, v81
	v_exp_f32_e32 v76, v76
	v_exp_f32_e32 v74, v74
	s_waitcnt_depctr 0xfff
	v_cndmask_b32_e64 v88, 0, v74, s11
	v_dual_mul_f32 v74, 0x3fb8aa3b, v87 :: v_dual_add_f32 v73, v73, v84
	v_cndmask_b32_e64 v87, 0, v90, s12
	v_cndmask_b32_e64 v90, 0, v76, s13
	v_mul_f32_e32 v76, 0x3fb8aa3b, v91
	s_delay_alu instid0(VALU_DEP_4) | instskip(SKIP_1) | instid1(VALU_DEP_2)
	v_exp_f32_e32 v74, v74
	v_add_f32_e32 v73, v73, v83
	v_exp_f32_e32 v76, v76
	s_delay_alu instid0(VALU_DEP_1) | instskip(SKIP_4) | instid1(VALU_DEP_2)
	v_add_f32_e32 v73, v73, v86
	s_waitcnt_depctr 0xfff
	v_cndmask_b32_e64 v92, 0, v74, s16
	v_add_f32_e32 v73, v73, v85
	v_cndmask_b32_e64 v91, 0, v76, s17
	v_add_f32_e32 v73, v73, v88
	s_delay_alu instid0(VALU_DEP_1) | instskip(NEXT) | instid1(VALU_DEP_1)
	v_add_f32_e32 v73, v73, v87
	v_add_f32_e32 v73, v73, v90
	s_delay_alu instid0(VALU_DEP_1) | instskip(NEXT) | instid1(VALU_DEP_1)
	v_add_f32_e32 v73, v73, v89
	v_add_f32_e32 v73, v73, v92
	s_delay_alu instid0(VALU_DEP_1)
	v_add_f32_e32 v73, v73, v91
	ds_bpermute_b32 v74, v75, v73
	v_cmpx_gt_u32_e32 16, v71
	s_cbranch_execz .LBB1341_12
; %bb.11:
	v_mul_u32_u24_e32 v71, 0x44, v69
	s_waitcnt lgkmcnt(0)
	v_add_f32_e32 v73, v73, v74
	s_delay_alu instid0(VALU_DEP_2) | instskip(NEXT) | instid1(VALU_DEP_1)
	v_lshl_add_u32 v71, v70, 2, v71
	v_add_nc_u32_e32 v71, 0x4000, v71
	ds_store_2addr_b32 v71, v72, v73 offset1:136
.LBB1341_12:
	s_or_b32 exec_lo, exec_lo, s2
	v_lshlrev_b32_e32 v70, 2, v70
	s_load_b32 s34, s[0:1], 0x94
	s_waitcnt lgkmcnt(0)
	s_barrier
	buffer_gl0_inv
	v_add_nc_u32_e32 v74, 0x4000, v70
	v_cmp_eq_u32_e32 vcc_lo, 1, v69
	v_cmp_eq_u32_e64 s2, 2, v69
	v_cmp_eq_u32_e64 s3, 3, v69
	;; [unrolled: 1-line block ×3, first 2 shown]
	ds_load_2addr_b32 v[70:71], v74 offset1:17
	ds_load_2addr_b32 v[72:73], v74 offset0:34 offset1:51
	ds_load_2addr_b32 v[93:94], v74 offset0:68 offset1:85
	;; [unrolled: 1-line block ×3, first 2 shown]
	v_cmp_eq_u32_e64 s5, 7, v69
	s_waitcnt lgkmcnt(3)
	v_max3_f32 v75, v70, 0xff7fffff, v71
	s_waitcnt lgkmcnt(2)
	s_delay_alu instid0(VALU_DEP_1) | instskip(SKIP_1) | instid1(VALU_DEP_1)
	v_max3_f32 v75, v75, v72, v73
	s_waitcnt lgkmcnt(1)
	v_max3_f32 v75, v75, v93, v94
	s_waitcnt lgkmcnt(0)
	s_delay_alu instid0(VALU_DEP_1) | instskip(NEXT) | instid1(VALU_DEP_1)
	v_max3_f32 v75, v75, v95, v96
	v_sub_f32_e32 v93, v93, v75
	ds_load_2addr_b32 v[97:98], v74 offset0:136 offset1:153
	v_sub_f32_e32 v70, v70, v75
	v_dual_sub_f32 v100, v73, v75 :: v_dual_mul_f32 v103, 0x3fb8aa3b, v93
	s_delay_alu instid0(VALU_DEP_2) | instskip(SKIP_3) | instid1(VALU_DEP_1)
	v_dual_sub_f32 v76, v71, v75 :: v_dual_mul_f32 v99, 0x3fb8aa3b, v70
	ds_load_2addr_b32 v[70:71], v74 offset0:170 offset1:187
	v_mul_f32_e32 v76, 0x3fb8aa3b, v76
	v_exp_f32_e32 v99, v99
	v_exp_f32_e32 v102, v76
	v_mul_f32_e32 v100, 0x3fb8aa3b, v100
	s_waitcnt lgkmcnt(1)
	s_waitcnt_depctr 0xfff
	v_fma_f32 v76, v99, v97, 0
	v_sub_f32_e32 v97, v94, v75
	v_sub_f32_e32 v72, v72, v75
	v_exp_f32_e32 v100, v100
	ds_load_2addr_b32 v[93:94], v74 offset0:238 offset1:255
	v_dual_fmac_f32 v76, v102, v98 :: v_dual_mul_f32 v101, 0x3fb8aa3b, v72
	ds_load_2addr_b32 v[72:73], v74 offset0:204 offset1:221
	v_dual_sub_f32 v74, v95, v75 :: v_dual_mul_f32 v95, 0x3fb8aa3b, v97
	v_exp_f32_e32 v97, v103
	v_exp_f32_e32 v101, v101
	s_waitcnt lgkmcnt(0)
	s_delay_alu instid0(VALU_DEP_1)
	v_mul_f32_e32 v74, 0x3fb8aa3b, v74
	v_exp_f32_e32 v95, v95
	s_barrier
	buffer_gl0_inv
	v_fmac_f32_e32 v76, v101, v70
	v_sub_f32_e32 v70, v96, v75
	v_exp_f32_e32 v96, v74
	s_delay_alu instid0(VALU_DEP_2) | instskip(NEXT) | instid1(VALU_DEP_2)
	v_fmac_f32_e32 v76, v100, v71
	v_mul_f32_e32 v70, 0x3fb8aa3b, v70
	s_delay_alu instid0(VALU_DEP_2) | instskip(NEXT) | instid1(VALU_DEP_2)
	v_dual_cndmask_b32 v71, v99, v102 :: v_dual_fmac_f32 v76, v97, v72
	v_exp_f32_e32 v98, v70
	s_delay_alu instid0(VALU_DEP_1) | instskip(SKIP_2) | instid1(VALU_DEP_1)
	v_fmac_f32_e32 v76, v95, v73
	s_waitcnt_depctr 0xfff
	v_fmac_f32_e32 v76, v96, v93
	v_fmac_f32_e32 v76, v98, v94
	s_delay_alu instid0(VALU_DEP_1) | instskip(NEXT) | instid1(VALU_DEP_1)
	v_add_f32_e32 v93, 0x358637bd, v76
	v_div_scale_f32 v94, null, v93, v93, 1.0
	v_div_scale_f32 v99, vcc_lo, 1.0, v93, 1.0
	s_delay_alu instid0(VALU_DEP_2) | instskip(SKIP_2) | instid1(VALU_DEP_1)
	v_rcp_f32_e32 v103, v94
	s_waitcnt_depctr 0xfff
	v_fma_f32 v70, -v94, v103, 1.0
	v_fmac_f32_e32 v103, v70, v103
	v_cndmask_b32_e64 v70, v71, v101, s2
	v_cmp_eq_u32_e64 s2, 4, v69
	v_lshlrev_b32_e32 v71, 2, v66
	s_delay_alu instid0(VALU_DEP_4) | instskip(NEXT) | instid1(VALU_DEP_4)
	v_mul_f32_e32 v101, v99, v103
	v_cndmask_b32_e64 v72, v70, v100, s3
	v_cmp_eq_u32_e64 s3, 6, v69
	v_lshl_or_b32 v70, v69, 11, v68
	v_or_b32_e32 v74, 1, v71
	v_fma_f32 v73, -v94, v101, v99
	v_cndmask_b32_e64 v72, v72, v97, s2
	v_cmp_eq_u32_e64 s2, 1, v71
	v_lshl_or_b32 v69, v66, 4, v70
	v_cmp_eq_u32_e64 s8, 1, v74
	v_fmac_f32_e32 v101, v73, v103
	v_cndmask_b32_e64 v95, v72, v95, s4
	v_or_b32_e32 v72, 2, v71
	v_or_b32_e32 v73, 3, v71
	v_cmp_eq_u32_e64 s11, 2, v74
	v_fma_f32 v94, -v94, v101, v99
	v_cndmask_b32_e64 v95, v95, v96, s3
	v_cmp_eq_u32_e64 s9, 1, v72
	v_cmp_eq_u32_e64 s10, 1, v73
	;; [unrolled: 1-line block ×3, first 2 shown]
	v_div_fmas_f32 v94, v94, v103, v101
	v_cndmask_b32_e64 v95, v95, v98, s5
	v_cmp_eq_u32_e32 vcc_lo, 2, v71
	v_cmp_eq_u32_e64 s15, 2, v73
	v_cmp_eq_u32_e64 s17, 3, v73
	v_div_fixup_f32 v93, v94, v93, 1.0
	v_cmp_eq_u32_e64 s3, 3, v71
	v_cmp_eq_u32_e64 s12, 3, v74
	;; [unrolled: 1-line block ×4, first 2 shown]
	v_mul_f32_e32 v101, v95, v93
	v_cmp_eq_u32_e64 s4, 4, v71
	v_cmp_eq_u32_e64 s18, 4, v74
	v_cmp_eq_u32_e64 s20, 4, v72
	v_cmp_eq_u32_e64 s23, 5, v73
	v_fma_mixlo_f16 v93, v101, v78, 0
	v_fma_mixlo_f16 v94, v101, v80, 0
	;; [unrolled: 1-line block ×8, first 2 shown]
	v_fma_mixhi_f16 v93, v101, v77, 0
	v_fma_mixhi_f16 v94, v101, v79, 0
	;; [unrolled: 1-line block ×8, first 2 shown]
	ds_store_b128 v69, v[93:96]
	ds_store_b128 v69, v[97:100] offset:1024
	s_waitcnt lgkmcnt(0)
	s_barrier
	buffer_gl0_inv
	ds_load_b128 v[77:80], v70
	ds_load_b128 v[81:84], v70 offset:16
	ds_load_b128 v[85:88], v70 offset:1024
	;; [unrolled: 1-line block ×3, first 2 shown]
	v_cmp_eq_u32_e64 s5, 5, v71
	v_cmp_eq_u32_e64 s19, 5, v74
	;; [unrolled: 1-line block ×11, first 2 shown]
	s_waitcnt lgkmcnt(3)
	v_lshrrev_b32_e32 v93, 16, v77
	s_waitcnt lgkmcnt(2)
	v_lshrrev_b32_e32 v97, 16, v81
	;; [unrolled: 2-line block ×4, first 2 shown]
	v_lshrrev_b32_e32 v94, 16, v78
	v_cndmask_b32_e64 v109, v77, v93, s2
	v_cndmask_b32_e64 v110, v81, v97, s2
	;; [unrolled: 1-line block ×8, first 2 shown]
	v_lshrrev_b32_e32 v98, 16, v82
	v_cndmask_b32_e64 v93, v85, v101, s2
	v_cndmask_b32_e64 v97, v89, v105, s2
	;; [unrolled: 1-line block ×5, first 2 shown]
	v_cndmask_b32_e32 v101, v109, v78, vcc_lo
	v_cndmask_b32_e64 v109, v111, v78, s11
	v_cndmask_b32_e64 v111, v113, v78, s13
	;; [unrolled: 1-line block ×4, first 2 shown]
	v_lshrrev_b32_e32 v102, 16, v86
	v_lshrrev_b32_e32 v106, 16, v90
	v_cndmask_b32_e64 v116, v89, v105, s8
	v_cndmask_b32_e64 v118, v89, v105, s9
	;; [unrolled: 1-line block ×3, first 2 shown]
	v_cndmask_b32_e32 v105, v110, v82, vcc_lo
	v_cndmask_b32_e64 v110, v112, v82, s11
	v_cndmask_b32_e64 v112, v114, v82, s13
	v_cndmask_b32_e32 v81, v93, v86, vcc_lo
	v_cndmask_b32_e32 v82, v97, v90, vcc_lo
	v_cndmask_b32_e64 v93, v115, v86, s11
	v_cndmask_b32_e64 v77, v77, v94, s17
	;; [unrolled: 1-line block ×3, first 2 shown]
	v_lshrrev_b32_e32 v95, 16, v79
	v_lshrrev_b32_e32 v99, 16, v83
	v_cndmask_b32_e64 v97, v117, v86, s13
	v_cndmask_b32_e64 v85, v85, v86, s15
	;; [unrolled: 1-line block ×14, first 2 shown]
	v_lshrrev_b32_e32 v103, 16, v87
	v_cndmask_b32_e64 v89, v89, v79, s4
	v_cndmask_b32_e64 v94, v101, v83, s4
	;; [unrolled: 1-line block ×11, first 2 shown]
	v_lshrrev_b32_e32 v96, 16, v80
	v_lshrrev_b32_e32 v100, 16, v84
	v_cndmask_b32_e64 v83, v89, v95, s5
	v_cndmask_b32_e64 v89, v94, v99, s5
	;; [unrolled: 1-line block ×9, first 2 shown]
	v_lshrrev_b32_e32 v104, 16, v88
	v_cndmask_b32_e64 v79, v79, v103, s5
	v_cndmask_b32_e64 v83, v83, v80, s6
	;; [unrolled: 1-line block ×19, first 2 shown]
	v_perm_b32 v80, v78, v77, 0x5040100
	v_cndmask_b32_e64 v77, v116, v90, s11
	v_cndmask_b32_e64 v95, v79, v104, s7
	v_perm_b32 v79, v93, v89, 0x5040100
	v_perm_b32 v78, v94, v84, 0x5040100
	v_cndmask_b32_e64 v84, v97, v102, s16
	v_cndmask_b32_e64 v85, v85, v102, s17
	;; [unrolled: 1-line block ×5, first 2 shown]
	v_lshrrev_b32_e32 v107, 16, v91
	v_cndmask_b32_e64 v84, v84, v87, s20
	v_cndmask_b32_e64 v85, v85, v87, s21
	;; [unrolled: 1-line block ×11, first 2 shown]
	v_lshrrev_b32_e32 v108, 16, v92
	v_cndmask_b32_e64 v81, v81, v92, s6
	v_cndmask_b32_e64 v84, v84, v88, s25
	;; [unrolled: 1-line block ×12, first 2 shown]
	v_perm_b32 v77, v83, v82, 0x5040100
	v_perm_b32 v84, v85, v84, 0x5040100
	;; [unrolled: 1-line block ×5, first 2 shown]
	s_lshl_b32 s7, s33, 4
	s_mov_b32 s2, exec_lo
	ds_store_b128 v69, v[77:80]
	ds_store_b128 v69, v[81:84] offset:1024
	v_cmpx_gt_u32_e32 16, v0
	s_cbranch_execz .LBB1341_14
; %bb.13:
	v_or_b32_e32 v77, s31, v0
	s_load_b128 s[8:11], s[0:1], 0x58
	s_delay_alu instid0(VALU_DEP_1) | instskip(NEXT) | instid1(VALU_DEP_1)
	v_mad_u64_u32 v[78:79], null, s7, s30, v[77:78]
	v_mad_u64_u32 v[79:80], null, v78, s34, s[14:15]
	s_delay_alu instid0(VALU_DEP_1) | instskip(NEXT) | instid1(VALU_DEP_1)
	v_ashrrev_i32_e32 v80, 31, v79
	v_lshlrev_b64 v[77:78], 2, v[79:80]
	s_waitcnt lgkmcnt(0)
	s_delay_alu instid0(VALU_DEP_1) | instskip(NEXT) | instid1(VALU_DEP_2)
	v_add_co_u32 v79, vcc_lo, s10, v77
	v_add_co_ci_u32_e32 v80, vcc_lo, s11, v78, vcc_lo
	v_add_co_u32 v77, vcc_lo, s8, v77
	v_add_co_ci_u32_e32 v78, vcc_lo, s9, v78, vcc_lo
	global_store_b32 v[79:80], v75, off
	global_store_b32 v[77:78], v76, off
.LBB1341_14:
	s_or_b32 exec_lo, exec_lo, s2
	s_waitcnt lgkmcnt(0)
	s_waitcnt_vscnt null, 0x0
	s_barrier
	buffer_gl0_inv
	ds_load_b128 v[83:86], v68
	ds_load_b128 v[87:90], v68 offset:16
	ds_load_b128 v[95:98], v68 offset:2064
	;; [unrolled: 1-line block ×5, first 2 shown]
	v_cmp_eq_u32_e32 vcc_lo, 1, v71
	v_mov_b32_e32 v75, 0
	ds_load_b128 v[111:114], v68 offset:6160
	ds_load_b128 v[107:110], v68 offset:6144
	;; [unrolled: 1-line block ×4, first 2 shown]
	v_cmp_eq_u32_e64 s3, 1, v72
	v_cmp_eq_u32_e64 s2, 1, v74
	;; [unrolled: 1-line block ×3, first 2 shown]
	v_mov_b32_e32 v76, v75
	v_mov_b32_e32 v77, v75
	;; [unrolled: 1-line block ×7, first 2 shown]
	v_cmp_eq_u32_e64 s5, 3, v74
	v_cmp_eq_u32_e64 s6, 7, v74
	s_waitcnt lgkmcnt(8)
	s_delay_alu instid0(VALU_DEP_3)
	v_wmma_f32_16x16x16_f16 v[75:82], v[49:56], v[83:90], v[75:82]
	ds_load_b128 v[53:56], v68 offset:10256
	ds_load_b128 v[49:52], v68 offset:10240
	s_waitcnt lgkmcnt(8)
	v_wmma_f32_16x16x16_f16 v[75:82], v[41:48], v[91:98], v[75:82]
	ds_load_b128 v[45:48], v68 offset:12304
	ds_load_b128 v[41:44], v68 offset:12288
	s_waitcnt lgkmcnt(8)
	;; [unrolled: 4-line block ×3, first 2 shown]
	s_barrier
	buffer_gl0_inv
	v_wmma_f32_16x16x16_f16 v[75:82], v[1:8], v[107:114], v[75:82]
	s_delay_alu instid0(VALU_DEP_1) | instskip(NEXT) | instid1(VALU_DEP_1)
	v_wmma_f32_16x16x16_f16 v[75:82], v[9:16], v[115:122], v[75:82]
	v_wmma_f32_16x16x16_f16 v[75:82], v[17:24], v[49:56], v[75:82]
	s_delay_alu instid0(VALU_DEP_1) | instskip(NEXT) | instid1(VALU_DEP_1)
	v_wmma_f32_16x16x16_f16 v[75:82], v[25:32], v[41:48], v[75:82]
	v_wmma_f32_16x16x16_f16 v[75:82], v[57:64], v[33:40], v[75:82]
	s_delay_alu instid0(VALU_DEP_1) | instskip(NEXT) | instid1(VALU_DEP_2)
	v_cvt_f16_f32_e32 v1, v75
	v_cvt_f16_f32_e32 v2, v76
	s_delay_alu instid0(VALU_DEP_3) | instskip(NEXT) | instid1(VALU_DEP_4)
	v_cvt_f16_f32_e32 v3, v77
	v_cvt_f16_f32_e32 v4, v78
	;; [unrolled: 1-line block ×6, first 2 shown]
	v_pack_b32_f16 v1, v1, v2
	v_pack_b32_f16 v2, v3, v4
	;; [unrolled: 1-line block ×3, first 2 shown]
	s_delay_alu instid0(VALU_DEP_4)
	v_pack_b32_f16 v4, v7, v8
	ds_store_b128 v69, v[1:4]
	s_waitcnt lgkmcnt(0)
	s_barrier
	buffer_gl0_inv
	ds_load_b128 v[1:4], v70
	ds_load_b128 v[5:8], v70 offset:16
	s_waitcnt lgkmcnt(1)
	v_lshrrev_b32_e32 v9, 16, v1
	s_waitcnt lgkmcnt(0)
	v_lshrrev_b32_e32 v13, 16, v5
	v_lshrrev_b32_e32 v10, 16, v2
	;; [unrolled: 1-line block ×4, first 2 shown]
	v_cndmask_b32_e32 v17, v1, v9, vcc_lo
	v_cndmask_b32_e32 v18, v5, v13, vcc_lo
	v_cndmask_b32_e64 v21, v1, v9, s3
	v_cmp_eq_u32_e32 vcc_lo, 1, v73
	v_cndmask_b32_e64 v22, v5, v13, s3
	v_cmp_eq_u32_e64 s3, 2, v71
	v_cndmask_b32_e64 v19, v1, v9, s2
	v_cndmask_b32_e64 v20, v5, v13, s2
	v_cndmask_b32_e32 v1, v1, v9, vcc_lo
	v_cmp_eq_u32_e64 s2, 2, v73
	v_cndmask_b32_e32 v5, v5, v13, vcc_lo
	v_cndmask_b32_e64 v9, v17, v2, s3
	v_cmp_eq_u32_e32 vcc_lo, 3, v71
	v_cndmask_b32_e64 v13, v18, v6, s3
	v_cmp_eq_u32_e64 s3, 2, v72
	v_cndmask_b32_e64 v17, v19, v2, s4
	v_cndmask_b32_e64 v18, v20, v6, s4
	v_cmp_eq_u32_e64 s4, 3, v72
	v_cndmask_b32_e64 v1, v1, v2, s2
	v_cndmask_b32_e64 v19, v21, v2, s3
	;; [unrolled: 1-line block ×4, first 2 shown]
	v_cndmask_b32_e32 v5, v9, v10, vcc_lo
	v_cndmask_b32_e32 v6, v13, v14, vcc_lo
	v_cmp_eq_u32_e32 vcc_lo, 3, v73
	v_cndmask_b32_e64 v9, v17, v10, s5
	v_cndmask_b32_e64 v13, v18, v14, s5
	;; [unrolled: 1-line block ×3, first 2 shown]
	v_cmp_eq_u32_e64 s3, 4, v71
	v_cndmask_b32_e32 v1, v1, v10, vcc_lo
	v_cndmask_b32_e32 v2, v2, v14, vcc_lo
	v_cmp_eq_u32_e32 vcc_lo, 4, v74
	v_lshrrev_b32_e32 v15, 16, v7
	v_lshrrev_b32_e32 v16, 16, v8
	v_cndmask_b32_e64 v17, v19, v10, s4
	v_cmp_eq_u32_e64 s2, 4, v73
	v_cndmask_b32_e64 v5, v5, v3, s3
	v_cndmask_b32_e64 v6, v6, v7, s3
	v_cndmask_b32_e32 v9, v9, v3, vcc_lo
	v_cmp_eq_u32_e64 s3, 5, v74
	v_cndmask_b32_e32 v10, v13, v7, vcc_lo
	v_cmp_eq_u32_e32 vcc_lo, 4, v72
	v_cmp_eq_u32_e64 s4, 5, v71
	v_cndmask_b32_e64 v2, v2, v7, s2
	v_cndmask_b32_e64 v9, v9, v11, s3
	;; [unrolled: 1-line block ×3, first 2 shown]
	v_cndmask_b32_e32 v13, v17, v3, vcc_lo
	v_cmp_eq_u32_e64 s3, 5, v72
	v_cndmask_b32_e32 v14, v18, v7, vcc_lo
	v_cndmask_b32_e64 v1, v1, v3, s2
	v_cmp_eq_u32_e32 vcc_lo, 5, v73
	v_lshrrev_b32_e32 v12, 16, v4
	v_cndmask_b32_e64 v13, v13, v11, s3
	v_cndmask_b32_e64 v3, v14, v15, s3
	v_cmp_eq_u32_e64 s3, 6, v73
	v_cndmask_b32_e32 v1, v1, v11, vcc_lo
	v_cndmask_b32_e64 v5, v5, v11, s4
	v_cmp_eq_u32_e64 s5, 6, v71
	v_cndmask_b32_e64 v6, v6, v15, s4
	v_cmp_eq_u32_e64 s4, 6, v74
	v_cmp_eq_u32_e64 s2, 6, v72
	v_cndmask_b32_e64 v1, v1, v4, s3
	v_cndmask_b32_e32 v2, v2, v15, vcc_lo
	v_cmp_eq_u32_e32 vcc_lo, 7, v73
	v_cndmask_b32_e64 v5, v5, v4, s5
	v_cndmask_b32_e64 v9, v9, v4, s4
	;; [unrolled: 1-line block ×3, first 2 shown]
	v_cmp_eq_u32_e64 s5, 7, v71
	v_cndmask_b32_e32 v1, v1, v12, vcc_lo
	v_cndmask_b32_e64 v7, v13, v4, s2
	v_cndmask_b32_e64 v3, v3, v8, s2
	;; [unrolled: 1-line block ×3, first 2 shown]
	v_cmp_eq_u32_e64 s2, 7, v72
	v_cndmask_b32_e64 v4, v10, v8, s4
	v_cndmask_b32_e64 v5, v5, v12, s5
	;; [unrolled: 1-line block ×3, first 2 shown]
	v_cndmask_b32_e32 v2, v2, v16, vcc_lo
	v_cndmask_b32_e64 v7, v7, v12, s2
	v_cndmask_b32_e64 v3, v3, v16, s2
	;; [unrolled: 1-line block ×4, first 2 shown]
	v_perm_b32 v4, v2, v1, 0x5040100
	s_mov_b32 s2, exec_lo
	v_perm_b32 v3, v3, v7, 0x5040100
	v_perm_b32 v2, v8, v9, 0x5040100
	;; [unrolled: 1-line block ×3, first 2 shown]
	ds_store_b128 v69, v[1:4]
	s_waitcnt lgkmcnt(0)
	s_barrier
	buffer_gl0_inv
	v_cmpx_gt_u32_e32 32, v0
	s_cbranch_execz .LBB1341_2
; %bb.15:
	s_load_b64 s[0:1], s[0:1], 0x68
	v_lshlrev_b32_e32 v0, 10, v0
	s_lshl_b32 s4, s34, 7
	v_or_b32_e32 v23, s31, v66
	s_mul_i32 s2, s4, s30
	v_lshlrev_b32_e32 v1, 4, v67
	v_lshlrev_b32_e32 v2, 6, v66
	s_mul_i32 s2, s2, s7
	v_and_b32_e32 v0, 0x3800, v0
	v_mul_lo_u32 v8, v23, s4
	s_ashr_i32 s3, s2, 31
	v_or_b32_e32 v3, 2, v23
	s_lshl_b64 s[2:3], s[2:3], 1
	v_or3_b32 v27, v0, v1, v2
	v_or_b32_e32 v11, 4, v23
	v_or_b32_e32 v18, 6, v23
	v_mul_lo_u32 v10, v3, s4
	v_ashrrev_i32_e32 v9, 31, v8
	ds_load_b128 v[0:3], v27
	ds_load_b128 v[4:7], v27 offset:128
	v_mul_lo_u32 v12, v11, s4
	s_waitcnt lgkmcnt(0)
	s_add_u32 s2, s0, s2
	s_addc_u32 s3, s1, s3
	s_lshl_b32 s0, s14, 7
	v_lshlrev_b64 v[8:9], 1, v[8:9]
	s_ashr_i32 s1, s0, 31
	v_ashrrev_i32_e32 v11, 31, v10
	s_lshl_b64 s[0:1], s[0:1], 1
	v_ashrrev_i32_e32 v13, 31, v12
	s_add_u32 s0, s2, s0
	s_addc_u32 s1, s3, s1
	v_add_co_u32 v30, s0, s0, v65
	s_delay_alu instid0(VALU_DEP_1) | instskip(SKIP_1) | instid1(VALU_DEP_3)
	v_add_co_ci_u32_e64 v31, null, s1, 0, s0
	v_lshlrev_b64 v[16:17], 1, v[10:11]
	v_add_co_u32 v14, vcc_lo, v30, v8
	s_delay_alu instid0(VALU_DEP_3)
	v_add_co_ci_u32_e32 v15, vcc_lo, v31, v9, vcc_lo
	ds_load_b128 v[8:11], v27 offset:256
	v_mul_lo_u32 v18, v18, s4
	v_or_b32_e32 v19, 8, v23
	v_add_co_u32 v16, vcc_lo, v30, v16
	global_store_b128 v[14:15], v[0:3], off
	v_lshlrev_b64 v[0:1], 1, v[12:13]
	v_add_co_ci_u32_e32 v17, vcc_lo, v31, v17, vcc_lo
	v_mul_lo_u32 v12, v19, s4
	v_ashrrev_i32_e32 v19, 31, v18
	v_or_b32_e32 v14, 10, v23
	global_store_b128 v[16:17], v[4:7], off
	v_add_co_u32 v4, vcc_lo, v30, v0
	v_add_co_ci_u32_e32 v5, vcc_lo, v31, v1, vcc_lo
	ds_load_b128 v[0:3], v27 offset:384
	v_ashrrev_i32_e32 v13, 31, v12
	v_lshlrev_b64 v[6:7], 1, v[18:19]
	v_mul_lo_u32 v14, v14, s4
	s_waitcnt lgkmcnt(1)
	global_store_b128 v[4:5], v[8:11], off
	v_or_b32_e32 v8, 12, v23
	v_lshlrev_b64 v[4:5], 1, v[12:13]
	v_add_co_u32 v20, vcc_lo, v30, v6
	v_or_b32_e32 v6, 14, v23
	v_ashrrev_i32_e32 v15, 31, v14
	v_mul_lo_u32 v22, v8, s4
	v_add_co_ci_u32_e32 v21, vcc_lo, v31, v7, vcc_lo
	v_add_co_u32 v24, vcc_lo, v30, v4
	v_mul_lo_u32 v26, v6, s4
	v_add_co_ci_u32_e32 v25, vcc_lo, v31, v5, vcc_lo
	v_lshlrev_b64 v[28:29], 1, v[14:15]
	ds_load_b128 v[4:7], v27 offset:512
	ds_load_b128 v[8:11], v27 offset:640
	;; [unrolled: 1-line block ×4, first 2 shown]
	v_ashrrev_i32_e32 v23, 31, v22
	v_ashrrev_i32_e32 v27, 31, v26
	v_add_co_u32 v28, vcc_lo, v30, v28
	s_delay_alu instid0(VALU_DEP_3) | instskip(SKIP_1) | instid1(VALU_DEP_4)
	v_lshlrev_b64 v[22:23], 1, v[22:23]
	v_add_co_ci_u32_e32 v29, vcc_lo, v31, v29, vcc_lo
	v_lshlrev_b64 v[26:27], 1, v[26:27]
	s_delay_alu instid0(VALU_DEP_3) | instskip(NEXT) | instid1(VALU_DEP_4)
	v_add_co_u32 v22, vcc_lo, v30, v22
	v_add_co_ci_u32_e32 v23, vcc_lo, v31, v23, vcc_lo
	s_delay_alu instid0(VALU_DEP_3) | instskip(NEXT) | instid1(VALU_DEP_4)
	v_add_co_u32 v26, vcc_lo, v30, v26
	v_add_co_ci_u32_e32 v27, vcc_lo, v31, v27, vcc_lo
	s_waitcnt lgkmcnt(4)
	global_store_b128 v[20:21], v[0:3], off
	s_waitcnt lgkmcnt(3)
	global_store_b128 v[24:25], v[4:7], off
	;; [unrolled: 2-line block ×5, first 2 shown]
	s_nop 0
	s_sendmsg sendmsg(MSG_DEALLOC_VGPRS)
	s_endpgm
	.section	.rodata,"a",@progbits
	.p2align	6, 0x0
	.amdhsa_kernel _Z39paged_attention_ll4mi_QKV_mfma16_kernelIDF16_hLN4vllm18Fp8KVCacheDataTypeE1EDF16_Li32ELi128ELi256ELb0ELi16EL8MFMAType0EEvPKT_PKT0_S8_ifPKiSA_SA_iPKfiiiPfSD_PS3_PT2_iSC_SC_
		.amdhsa_group_segment_fixed_size 17472
		.amdhsa_private_segment_fixed_size 0
		.amdhsa_kernarg_size 400
		.amdhsa_user_sgpr_count 13
		.amdhsa_user_sgpr_dispatch_ptr 0
		.amdhsa_user_sgpr_queue_ptr 0
		.amdhsa_user_sgpr_kernarg_segment_ptr 1
		.amdhsa_user_sgpr_dispatch_id 0
		.amdhsa_user_sgpr_private_segment_size 0
		.amdhsa_wavefront_size32 1
		.amdhsa_uses_dynamic_stack 0
		.amdhsa_enable_private_segment 0
		.amdhsa_system_sgpr_workgroup_id_x 1
		.amdhsa_system_sgpr_workgroup_id_y 1
		.amdhsa_system_sgpr_workgroup_id_z 1
		.amdhsa_system_sgpr_workgroup_info 0
		.amdhsa_system_vgpr_workitem_id 0
		.amdhsa_next_free_vgpr 140
		.amdhsa_next_free_sgpr 37
		.amdhsa_reserve_vcc 1
		.amdhsa_float_round_mode_32 0
		.amdhsa_float_round_mode_16_64 0
		.amdhsa_float_denorm_mode_32 3
		.amdhsa_float_denorm_mode_16_64 3
		.amdhsa_dx10_clamp 1
		.amdhsa_ieee_mode 1
		.amdhsa_fp16_overflow 0
		.amdhsa_workgroup_processor_mode 1
		.amdhsa_memory_ordered 1
		.amdhsa_forward_progress 0
		.amdhsa_shared_vgpr_count 0
		.amdhsa_exception_fp_ieee_invalid_op 0
		.amdhsa_exception_fp_denorm_src 0
		.amdhsa_exception_fp_ieee_div_zero 0
		.amdhsa_exception_fp_ieee_overflow 0
		.amdhsa_exception_fp_ieee_underflow 0
		.amdhsa_exception_fp_ieee_inexact 0
		.amdhsa_exception_int_div_zero 0
	.end_amdhsa_kernel
	.section	.text._Z39paged_attention_ll4mi_QKV_mfma16_kernelIDF16_hLN4vllm18Fp8KVCacheDataTypeE1EDF16_Li32ELi128ELi256ELb0ELi16EL8MFMAType0EEvPKT_PKT0_S8_ifPKiSA_SA_iPKfiiiPfSD_PS3_PT2_iSC_SC_,"axG",@progbits,_Z39paged_attention_ll4mi_QKV_mfma16_kernelIDF16_hLN4vllm18Fp8KVCacheDataTypeE1EDF16_Li32ELi128ELi256ELb0ELi16EL8MFMAType0EEvPKT_PKT0_S8_ifPKiSA_SA_iPKfiiiPfSD_PS3_PT2_iSC_SC_,comdat
.Lfunc_end1341:
	.size	_Z39paged_attention_ll4mi_QKV_mfma16_kernelIDF16_hLN4vllm18Fp8KVCacheDataTypeE1EDF16_Li32ELi128ELi256ELb0ELi16EL8MFMAType0EEvPKT_PKT0_S8_ifPKiSA_SA_iPKfiiiPfSD_PS3_PT2_iSC_SC_, .Lfunc_end1341-_Z39paged_attention_ll4mi_QKV_mfma16_kernelIDF16_hLN4vllm18Fp8KVCacheDataTypeE1EDF16_Li32ELi128ELi256ELb0ELi16EL8MFMAType0EEvPKT_PKT0_S8_ifPKiSA_SA_iPKfiiiPfSD_PS3_PT2_iSC_SC_
                                        ; -- End function
	.section	.AMDGPU.csdata,"",@progbits
; Kernel info:
; codeLenInByte = 6864
; NumSgprs: 39
; NumVgprs: 140
; ScratchSize: 0
; MemoryBound: 0
; FloatMode: 240
; IeeeMode: 1
; LDSByteSize: 17472 bytes/workgroup (compile time only)
; SGPRBlocks: 4
; VGPRBlocks: 17
; NumSGPRsForWavesPerEU: 39
; NumVGPRsForWavesPerEU: 140
; Occupancy: 10
; WaveLimiterHint : 1
; COMPUTE_PGM_RSRC2:SCRATCH_EN: 0
; COMPUTE_PGM_RSRC2:USER_SGPR: 13
; COMPUTE_PGM_RSRC2:TRAP_HANDLER: 0
; COMPUTE_PGM_RSRC2:TGID_X_EN: 1
; COMPUTE_PGM_RSRC2:TGID_Y_EN: 1
; COMPUTE_PGM_RSRC2:TGID_Z_EN: 1
; COMPUTE_PGM_RSRC2:TIDIG_COMP_CNT: 0
	.section	.text._Z39paged_attention_ll4mi_QKV_mfma16_kernelIDF16_hLN4vllm18Fp8KVCacheDataTypeE1EDF16_Li32ELi128ELi256ELb0ELi1EL8MFMAType0EEvPKT_PKT0_S8_ifPKiSA_SA_iPKfiiiPfSD_PS3_PT2_iSC_SC_,"axG",@progbits,_Z39paged_attention_ll4mi_QKV_mfma16_kernelIDF16_hLN4vllm18Fp8KVCacheDataTypeE1EDF16_Li32ELi128ELi256ELb0ELi1EL8MFMAType0EEvPKT_PKT0_S8_ifPKiSA_SA_iPKfiiiPfSD_PS3_PT2_iSC_SC_,comdat
	.protected	_Z39paged_attention_ll4mi_QKV_mfma16_kernelIDF16_hLN4vllm18Fp8KVCacheDataTypeE1EDF16_Li32ELi128ELi256ELb0ELi1EL8MFMAType0EEvPKT_PKT0_S8_ifPKiSA_SA_iPKfiiiPfSD_PS3_PT2_iSC_SC_ ; -- Begin function _Z39paged_attention_ll4mi_QKV_mfma16_kernelIDF16_hLN4vllm18Fp8KVCacheDataTypeE1EDF16_Li32ELi128ELi256ELb0ELi1EL8MFMAType0EEvPKT_PKT0_S8_ifPKiSA_SA_iPKfiiiPfSD_PS3_PT2_iSC_SC_
	.globl	_Z39paged_attention_ll4mi_QKV_mfma16_kernelIDF16_hLN4vllm18Fp8KVCacheDataTypeE1EDF16_Li32ELi128ELi256ELb0ELi1EL8MFMAType0EEvPKT_PKT0_S8_ifPKiSA_SA_iPKfiiiPfSD_PS3_PT2_iSC_SC_
	.p2align	8
	.type	_Z39paged_attention_ll4mi_QKV_mfma16_kernelIDF16_hLN4vllm18Fp8KVCacheDataTypeE1EDF16_Li32ELi128ELi256ELb0ELi1EL8MFMAType0EEvPKT_PKT0_S8_ifPKiSA_SA_iPKfiiiPfSD_PS3_PT2_iSC_SC_,@function
_Z39paged_attention_ll4mi_QKV_mfma16_kernelIDF16_hLN4vllm18Fp8KVCacheDataTypeE1EDF16_Li32ELi128ELi256ELb0ELi1EL8MFMAType0EEvPKT_PKT0_S8_ifPKiSA_SA_iPKfiiiPfSD_PS3_PT2_iSC_SC_: ; @_Z39paged_attention_ll4mi_QKV_mfma16_kernelIDF16_hLN4vllm18Fp8KVCacheDataTypeE1EDF16_Li32ELi128ELi256ELb0ELi1EL8MFMAType0EEvPKT_PKT0_S8_ifPKiSA_SA_iPKfiiiPfSD_PS3_PT2_iSC_SC_
; %bb.0:
	s_load_b64 s[4:5], s[0:1], 0x30
	s_mov_b32 s34, s13
	s_waitcnt lgkmcnt(0)
	s_cmp_lg_u64 s[4:5], 0
	s_cselect_b32 s6, -1, 0
	s_ashr_i32 s35, s13, 31
	s_cmp_eq_u64 s[4:5], 0
	s_cbranch_scc1 .LBB1342_3
; %bb.1:
	s_lshl_b64 s[2:3], s[34:35], 2
	s_delay_alu instid0(SALU_CYCLE_1) | instskip(SKIP_4) | instid1(SALU_CYCLE_1)
	s_add_u32 s2, s4, s2
	s_addc_u32 s3, s5, s3
	s_load_b64 s[2:3], s[2:3], 0x0
	s_waitcnt lgkmcnt(0)
	s_sub_i32 s2, s3, s2
	s_cmp_eq_u32 s2, 1
	s_cselect_b32 s2, -1, 0
	s_delay_alu instid0(SALU_CYCLE_1)
	s_and_not1_b32 vcc_lo, exec_lo, s2
	s_cbranch_vccz .LBB1342_4
.LBB1342_2:
	s_endpgm
.LBB1342_3:
.LBB1342_4:
	s_load_b64 s[2:3], s[0:1], 0x28
	s_lshl_b64 s[8:9], s[34:35], 2
	s_waitcnt lgkmcnt(0)
	s_add_u32 s2, s2, s8
	s_addc_u32 s3, s3, s9
	s_lshl_b32 s12, s14, 8
	s_load_b32 s33, s[2:3], 0x0
	s_waitcnt lgkmcnt(0)
	s_cmp_ge_i32 s12, s33
	s_cbranch_scc1 .LBB1342_2
; %bb.5:
	s_clause 0x1
	s_load_b128 s[56:59], s[0:1], 0x8
	s_load_b64 s[2:3], s[0:1], 0x20
	s_and_not1_b32 vcc_lo, exec_lo, s6
	s_mov_b64 s[6:7], s[34:35]
	s_cbranch_vccnz .LBB1342_7
; %bb.6:
	s_add_u32 s4, s4, s8
	s_addc_u32 s5, s5, s9
	s_load_b32 s6, s[4:5], 0x0
.LBB1342_7:
	s_load_b128 s[52:55], s[0:1], 0x48
	v_and_b32_e32 v65, 15, v0
	s_mov_b32 s13, exec_lo
                                        ; implicit-def: $sgpr36
                                        ; implicit-def: $sgpr24
                                        ; implicit-def: $sgpr16
                                        ; implicit-def: $sgpr4
	s_delay_alu instid0(VALU_DEP_1)
	v_cmpx_eq_u32_e32 0, v65
	s_cbranch_execz .LBB1342_9
; %bb.8:
	s_load_b64 s[4:5], s[0:1], 0x0
	s_waitcnt lgkmcnt(0)
	s_mul_hi_i32 s7, s6, s52
	s_mul_i32 s6, s6, s52
	s_delay_alu instid0(SALU_CYCLE_1) | instskip(NEXT) | instid1(SALU_CYCLE_1)
	s_lshl_b64 s[6:7], s[6:7], 1
	s_add_u32 s6, s4, s6
	s_addc_u32 s7, s5, s7
	s_lshl_b32 s4, s15, 7
	s_delay_alu instid0(SALU_CYCLE_1) | instskip(NEXT) | instid1(SALU_CYCLE_1)
	s_ashr_i32 s5, s4, 31
	s_lshl_b64 s[4:5], s[4:5], 1
	s_delay_alu instid0(SALU_CYCLE_1)
	s_add_u32 s4, s6, s4
	s_addc_u32 s5, s7, s5
	s_clause 0x3
	s_load_b256 s[36:43], s[4:5], 0x0
	s_load_b256 s[24:31], s[4:5], 0x40
	;; [unrolled: 1-line block ×4, first 2 shown]
.LBB1342_9:
	s_or_b32 exec_lo, exec_lo, s13
	v_and_b32_e32 v1, 0xef, v0
	s_add_i32 s13, s33, 31
	s_load_b32 s44, s[0:1], 0x38
	s_ashr_i32 s35, s13, 31
	s_waitcnt lgkmcnt(0)
	s_mul_i32 s62, s15, s54
	v_add_nc_u32_e32 v1, s12, v1
	s_lshr_b32 s35, s35, 27
	v_lshlrev_b32_e32 v73, 4, v65
	s_add_i32 s13, s13, s35
	s_load_b32 s35, s[0:1], 0x1c
	v_ashrrev_i32_e32 v2, 31, v1
	v_or_b32_e32 v3, 16, v1
	s_ashr_i32 s13, s13, 5
	v_cmp_gt_i32_e32 vcc_lo, s33, v1
	s_add_i32 s13, s13, -1
	v_lshrrev_b32_e32 v2, 27, v2
	v_dual_mov_b32 v105, s31 :: v_dual_mov_b32 v100, s26
	v_dual_mov_b32 v103, s29 :: v_dual_mov_b32 v98, s24
	s_delay_alu instid0(VALU_DEP_3) | instskip(SKIP_3) | instid1(VALU_DEP_2)
	v_dual_mov_b32 v101, s27 :: v_dual_add_nc_u32 v4, v1, v2
	s_mul_i32 s44, s34, s44
	v_mov_b32_e32 v99, s25
	s_ashr_i32 s45, s44, 31
	v_ashrrev_i32_e32 v4, 5, v4
	v_add_nc_u32_e32 v2, v3, v2
	s_lshl_b64 s[44:45], s[44:45], 2
	v_dual_mov_b32 v113, s23 :: v_dual_mov_b32 v106, s16
	s_delay_alu instid0(VALU_DEP_3) | instskip(NEXT) | instid1(VALU_DEP_3)
	v_cndmask_b32_e32 v1, s13, v4, vcc_lo
	v_ashrrev_i32_e32 v2, 5, v2
	v_cmp_gt_i32_e32 vcc_lo, s33, v3
	s_add_u32 s61, s2, s44
	s_addc_u32 s60, s3, s45
	s_ashr_i32 s63, s62, 31
	s_add_u32 s44, s56, s62
	v_cndmask_b32_e32 v3, s13, v2, vcc_lo
	v_ashrrev_i32_e32 v2, 31, v1
	s_addc_u32 s45, s57, s63
	s_lshl_b32 s2, s14, 3
	v_dual_mov_b32 v108, s18 :: v_dual_lshlrev_b32 v41, 5, v65
	v_ashrrev_i32_e32 v4, 31, v3
	v_lshlrev_b64 v[1:2], 2, v[1:2]
	s_ashr_i32 s3, s2, 31
	v_mov_b32_e32 v112, s22
	s_lshl_b64 s[2:3], s[2:3], 2
	v_lshlrev_b64 v[3:4], 2, v[3:4]
	s_add_u32 s2, s61, s2
	v_add_co_u32 v1, vcc_lo, s61, v1
	v_add_co_ci_u32_e32 v2, vcc_lo, s60, v2, vcc_lo
	s_delay_alu instid0(VALU_DEP_3) | instskip(NEXT) | instid1(VALU_DEP_4)
	v_add_co_u32 v3, vcc_lo, s61, v3
	v_add_co_ci_u32_e32 v4, vcc_lo, s60, v4, vcc_lo
	s_clause 0x1
	global_load_b32 v5, v[1:2], off
	global_load_b32 v6, v[3:4], off
	s_addc_u32 s3, s60, s3
	s_or_b32 s46, s12, 32
	v_mov_b32_e32 v110, s20
	s_ashr_i32 s47, s46, 5
	s_cmp_lt_i32 s46, s33
	v_lshrrev_b32_e32 v66, 5, v0
	s_cselect_b32 s46, s47, s13
	v_mov_b32_e32 v104, s30
	s_ashr_i32 s47, s46, 31
	v_mov_b32_e32 v102, s28
	s_lshl_b64 s[46:47], s[46:47], 2
	v_lshl_or_b32 v41, v66, 9, v41
	s_add_u32 s46, s61, s46
	s_addc_u32 s47, s60, s47
	s_or_b32 s48, s12, 64
	s_delay_alu instid0(SALU_CYCLE_1) | instskip(SKIP_2) | instid1(SALU_CYCLE_1)
	s_ashr_i32 s49, s48, 5
	s_cmp_lt_i32 s48, s33
	s_cselect_b32 s48, s49, s13
	s_ashr_i32 s49, s48, 31
	s_delay_alu instid0(SALU_CYCLE_1) | instskip(NEXT) | instid1(SALU_CYCLE_1)
	s_lshl_b64 s[48:49], s[48:49], 2
	s_add_u32 s48, s61, s48
	s_addc_u32 s49, s60, s49
	s_or_b32 s50, s12, 0x60
	s_delay_alu instid0(SALU_CYCLE_1) | instskip(SKIP_2) | instid1(SALU_CYCLE_1)
	s_ashr_i32 s51, s50, 5
	s_cmp_lt_i32 s50, s33
	s_cselect_b32 s50, s51, s13
	s_ashr_i32 s51, s50, 31
	s_delay_alu instid0(SALU_CYCLE_1) | instskip(NEXT) | instid1(SALU_CYCLE_1)
	s_lshl_b64 s[50:51], s[50:51], 2
	;; [unrolled: 10-line block ×4, first 2 shown]
	s_add_u32 s66, s61, s54
	s_addc_u32 s67, s60, s55
	s_clause 0x5
	s_load_b32 s56, s[2:3], 0x0
	s_load_b32 s3, s[46:47], 0x0
	;; [unrolled: 1-line block ×6, first 2 shown]
	s_or_b32 s24, s12, 0xc0
	s_delay_alu instid0(SALU_CYCLE_1)
	s_ashr_i32 s25, s24, 5
	s_cmp_lt_i32 s24, s33
	s_waitcnt vmcnt(1)
	v_mad_i64_i32 v[1:2], null, v5, s53, s[44:45]
	s_waitcnt vmcnt(0)
	v_mad_i64_i32 v[3:4], null, v6, s53, s[44:45]
	s_mov_b32 s44, 0
	s_delay_alu instid0(SALU_CYCLE_1) | instskip(SKIP_1) | instid1(VALU_DEP_2)
	s_mov_b32 s45, s44
	s_mov_b32 s46, s44
	v_add_co_u32 v33, vcc_lo, v1, v73
	s_delay_alu instid0(VALU_DEP_3) | instskip(NEXT) | instid1(VALU_DEP_3)
	v_add_co_ci_u32_e32 v34, vcc_lo, 0, v2, vcc_lo
	v_add_co_u32 v35, vcc_lo, v3, v73
	s_delay_alu instid0(VALU_DEP_4)
	v_add_co_ci_u32_e32 v36, vcc_lo, 0, v4, vcc_lo
	s_clause 0xf
	global_load_b128 v[1:4], v[33:34], off
	global_load_b128 v[5:8], v[33:34], off offset:512
	global_load_b128 v[9:12], v[35:36], off offset:256
	global_load_b128 v[13:16], v[35:36], off offset:768
	global_load_b128 v[17:20], v[33:34], off offset:1024
	global_load_b128 v[21:24], v[33:34], off offset:1536
	global_load_b128 v[25:28], v[35:36], off offset:1280
	global_load_b128 v[29:32], v[35:36], off offset:1792
	global_load_b128 v[57:60], v[33:34], off offset:2048
	global_load_b128 v[61:64], v[33:34], off offset:2560
	global_load_b128 v[74:77], v[35:36], off offset:2304
	global_load_b128 v[78:81], v[35:36], off offset:2816
	global_load_b128 v[82:85], v[33:34], off offset:3072
	global_load_b128 v[86:89], v[33:34], off offset:3584
	global_load_b128 v[90:93], v[35:36], off offset:3328
	global_load_b128 v[94:97], v[35:36], off offset:3840
	v_mov_b32_e32 v33, s36
	v_mov_b32_e32 v37, s40
	;; [unrolled: 1-line block ×3, first 2 shown]
	s_mov_b32 s47, s44
	s_mov_b32 s48, s44
	;; [unrolled: 1-line block ×5, first 2 shown]
	v_mov_b32_e32 v111, s21
	v_mov_b32_e32 v109, s19
	;; [unrolled: 1-line block ×3, first 2 shown]
	s_cselect_b32 s16, s25, s13
	v_dual_mov_b32 v121, s51 :: v_dual_mov_b32 v114, s44
	s_ashr_i32 s17, s16, 31
	v_mov_b32_e32 v34, s37
	s_lshl_b64 s[16:17], s[16:17], 2
	v_dual_mov_b32 v35, s38 :: v_dual_mov_b32 v40, s43
	s_add_u32 s16, s61, s16
	s_addc_u32 s17, s60, s17
	s_or_b32 s18, s12, 0xe0
	v_mov_b32_e32 v36, s39
	s_ashr_i32 s19, s18, 5
	s_cmp_lt_i32 s18, s33
	v_mov_b32_e32 v38, s41
	s_cselect_b32 s18, s19, s13
	v_mov_b32_e32 v120, s50
	s_ashr_i32 s19, s18, 31
	v_mov_b32_e32 v119, s49
	s_lshl_b64 s[18:19], s[18:19], 2
	v_mov_b32_e32 v118, s48
	s_add_u32 s18, s61, s18
	s_addc_u32 s19, s60, s19
	s_add_u32 s13, s58, s62
	s_addc_u32 s20, s59, s63
	v_add_co_u32 v67, s13, s13, v41
	s_delay_alu instid0(VALU_DEP_1)
	v_add_co_ci_u32_e64 v68, null, s20, 0, s13
	s_clause 0x1
	s_load_b32 s13, s[16:17], 0x0
	s_load_b32 s16, s[18:19], 0x0
	v_dual_mov_b32 v117, s47 :: v_dual_mov_b32 v116, s46
	s_waitcnt lgkmcnt(0)
	v_mad_i64_i32 v[41:42], null, s56, s53, v[67:68]
	v_mad_i64_i32 v[71:72], null, s54, s53, v[67:68]
	v_mov_b32_e32 v115, s45
	v_mad_i64_i32 v[45:46], null, s3, s53, v[67:68]
	v_mad_i64_i32 v[69:70], null, s52, s53, v[67:68]
	;; [unrolled: 1-line block ×4, first 2 shown]
	s_waitcnt vmcnt(14)
	v_wmma_f32_16x16x16_f16 v[122:129], v[1:8], v[33:40], v[114:121]
	s_waitcnt vmcnt(12)
	v_wmma_f32_16x16x16_f16 v[114:121], v[9:16], v[33:40], v[114:121]
	s_clause 0x7
	global_load_b128 v[49:52], v[41:42], off
	global_load_b128 v[53:56], v[41:42], off offset:16
	global_load_b128 v[41:44], v[45:46], off
	global_load_b128 v[45:48], v[45:46], off offset:16
	;; [unrolled: 2-line block ×4, first 2 shown]
	v_mad_i64_i32 v[71:72], null, s13, s53, v[67:68]
	v_mad_i64_i32 v[69:70], null, s2, s53, v[67:68]
	s_waitcnt vmcnt(18)
	v_wmma_f32_16x16x16_f16 v[122:129], v[17:24], v[98:105], v[122:129]
	s_waitcnt vmcnt(16)
	v_wmma_f32_16x16x16_f16 v[114:121], v[25:32], v[98:105], v[114:121]
	s_clause 0x3
	global_load_b128 v[9:12], v[130:131], off
	global_load_b128 v[13:16], v[130:131], off offset:16
	global_load_b128 v[17:20], v[69:70], off
	global_load_b128 v[21:24], v[69:70], off offset:16
	s_waitcnt vmcnt(18)
	v_wmma_f32_16x16x16_f16 v[122:129], v[57:64], v[106:113], v[122:129]
	s_clause 0x3
	global_load_b128 v[25:28], v[71:72], off
	global_load_b128 v[29:32], v[71:72], off offset:16
	global_load_b128 v[57:60], v[132:133], off
	global_load_b128 v[61:64], v[132:133], off offset:16
	v_mbcnt_lo_u32_b32 v68, -1, 0
	v_and_b32_e32 v67, 0xe0, v0
	v_mov_b32_e32 v105, s11
	s_waitcnt vmcnt(20)
	v_wmma_f32_16x16x16_f16 v[114:121], v[74:81], v[106:113], v[114:121]
	v_bfe_u32 v74, v0, 4, 1
	v_xor_b32_e32 v69, 16, v68
	v_mov_b32_e32 v98, s4
	v_dual_mov_b32 v104, s10 :: v_dual_mov_b32 v103, s9
	v_mov_b32_e32 v102, s8
	s_delay_alu instid0(VALU_DEP_4) | instskip(SKIP_3) | instid1(VALU_DEP_3)
	v_cmp_gt_i32_e32 vcc_lo, 32, v69
	v_add_nc_u32_e32 v67, s12, v67
	v_dual_mov_b32 v101, s7 :: v_dual_mov_b32 v100, s6
	v_dual_mov_b32 v99, s5 :: v_dual_cndmask_b32 v68, v68, v69
	v_or_b32_e32 v67, v67, v74
	s_waitcnt vmcnt(0)
	s_barrier
	s_delay_alu instid0(VALU_DEP_2)
	v_wmma_f32_16x16x16_f16 v[122:129], v[82:89], v[98:105], v[122:129]
	buffer_gl0_inv
	v_or_b32_e32 v69, 2, v67
	v_or_b32_e32 v70, 4, v67
	;; [unrolled: 1-line block ×3, first 2 shown]
	v_mul_f32_e32 v86, s35, v129
	v_mul_f32_e32 v88, s35, v127
	v_wmma_f32_16x16x16_f16 v[114:121], v[90:97], v[98:105], v[114:121]
	v_dual_mul_f32 v92, s35, v123 :: v_dual_mul_f32 v93, s35, v122
	v_cmp_gt_i32_e32 vcc_lo, s33, v69
	v_cmp_gt_i32_e64 s2, s33, v67
	v_or_b32_e32 v72, 8, v67
	v_or_b32_e32 v75, 10, v67
	v_dual_mul_f32 v90, s35, v125 :: v_dual_mul_f32 v91, s35, v124
	v_mul_f32_e32 v98, s35, v117
	v_cndmask_b32_e64 v93, 0xff7fffff, v93, s2
	v_cndmask_b32_e32 v92, 0xff7fffff, v92, vcc_lo
	v_cmp_gt_i32_e64 s3, s33, v70
	v_cmp_gt_i32_e64 s4, s33, v71
	v_or_b32_e32 v76, 12, v67
	v_or_b32_e32 v77, 14, v67
	v_dual_mul_f32 v89, s35, v126 :: v_dual_mul_f32 v96, s35, v119
	v_cndmask_b32_e64 v70, 0xff7fffff, v91, s3
	v_cndmask_b32_e64 v71, 0xff7fffff, v90, s4
	v_max3_f32 v90, v93, 0xff7fffff, v92
	v_cmp_gt_i32_e64 s5, s33, v72
	v_cmp_gt_i32_e64 s6, s33, v75
	v_or_b32_e32 v78, 16, v67
	v_or_b32_e32 v79, 18, v67
	v_dual_mul_f32 v87, s35, v128 :: v_dual_mul_f32 v94, s35, v121
	v_cndmask_b32_e64 v72, 0xff7fffff, v89, s5
	v_cndmask_b32_e64 v75, 0xff7fffff, v88, s6
	v_max3_f32 v70, v90, v70, v71
	v_cmp_gt_i32_e64 s7, s33, v76
	v_cmp_gt_i32_e64 s8, s33, v77
	v_or_b32_e32 v80, 20, v67
	v_or_b32_e32 v81, 22, v67
	;; [unrolled: 1-line block ×6, first 2 shown]
	v_mul_f32_e32 v69, s35, v115
	v_mul_f32_e32 v67, s35, v114
	v_cndmask_b32_e64 v71, 0xff7fffff, v87, s7
	v_cndmask_b32_e64 v76, 0xff7fffff, v86, s8
	v_max3_f32 v70, v70, v72, v75
	v_cmp_gt_i32_e64 s9, s33, v78
	v_cmp_gt_i32_e64 s10, s33, v79
	v_mul_f32_e32 v99, s35, v116
	v_cmp_gt_i32_e64 s11, s33, v80
	v_max3_f32 v70, v70, v71, v76
	v_cndmask_b32_e64 v67, 0xff7fffff, v67, s9
	v_cndmask_b32_e64 v69, 0xff7fffff, v69, s10
	v_cmp_gt_i32_e64 s12, s33, v81
	v_mul_f32_e32 v97, s35, v118
	v_cndmask_b32_e64 v71, 0xff7fffff, v99, s11
	v_cmp_gt_i32_e64 s13, s33, v82
	v_max3_f32 v67, v70, v67, v69
	v_cndmask_b32_e64 v72, 0xff7fffff, v98, s12
	v_cmp_gt_i32_e64 s16, s33, v83
	v_mul_f32_e32 v95, s35, v120
	v_cndmask_b32_e64 v69, 0xff7fffff, v97, s13
	v_cmp_gt_i32_e64 s17, s33, v84
	v_max3_f32 v67, v67, v71, v72
	v_cndmask_b32_e64 v70, 0xff7fffff, v96, s16
	v_cmp_gt_i32_e64 s18, s33, v85
	v_lshlrev_b32_e32 v75, 2, v68
	v_cndmask_b32_e64 v71, 0xff7fffff, v95, s17
	s_delay_alu instid0(VALU_DEP_4) | instskip(NEXT) | instid1(VALU_DEP_4)
	v_max3_f32 v67, v67, v69, v70
	v_cndmask_b32_e64 v72, 0xff7fffff, v94, s18
	s_delay_alu instid0(VALU_DEP_1) | instskip(SKIP_3) | instid1(VALU_DEP_1)
	v_max3_f32 v67, v67, v71, v72
	ds_bpermute_b32 v68, v75, v67
	s_waitcnt lgkmcnt(0)
	v_max_f32_e32 v68, v68, v68
	v_max_f32_e32 v67, v67, v68
	s_delay_alu instid0(VALU_DEP_1) | instskip(SKIP_4) | instid1(VALU_DEP_4)
	v_fma_f32 v68, s35, v122, -v67
	v_fma_f32 v69, s35, v123, -v67
	v_fma_f32 v72, s35, v126, -v67
	v_fma_f32 v70, s35, v124, -v67
	v_fma_f32 v71, s35, v125, -v67
	v_dual_mul_f32 v68, 0x3fb8aa3b, v68 :: v_dual_mul_f32 v69, 0x3fb8aa3b, v69
	s_delay_alu instid0(VALU_DEP_4) | instskip(NEXT) | instid1(VALU_DEP_3)
	v_mul_f32_e32 v72, 0x3fb8aa3b, v72
	v_dual_mul_f32 v70, 0x3fb8aa3b, v70 :: v_dual_mul_f32 v71, 0x3fb8aa3b, v71
	s_delay_alu instid0(VALU_DEP_3) | instskip(NEXT) | instid1(VALU_DEP_3)
	v_exp_f32_e32 v68, v68
	v_exp_f32_e32 v69, v69
	s_delay_alu instid0(VALU_DEP_2) | instskip(NEXT) | instid1(VALU_DEP_1)
	v_exp_f32_e32 v79, v72
	v_exp_f32_e32 v76, v70
	;; [unrolled: 1-line block ×3, first 2 shown]
	v_cndmask_b32_e64 v70, 0, v68, s2
	s_delay_alu instid0(TRANS32_DEP_3)
	v_cndmask_b32_e64 v83, 0, v79, s5
	v_cndmask_b32_e32 v69, 0, v69, vcc_lo
	s_waitcnt_depctr 0xfff
	v_cndmask_b32_e64 v72, 0, v76, s3
	v_add_f32_e32 v77, 0, v70
	v_cndmask_b32_e64 v71, 0, v71, s4
	s_mov_b32 s3, exec_lo
	s_delay_alu instid0(VALU_DEP_2) | instskip(NEXT) | instid1(VALU_DEP_1)
	v_add_f32_e32 v76, v77, v69
	v_add_f32_e32 v76, v76, v72
	s_delay_alu instid0(VALU_DEP_1)
	v_add_f32_e32 v76, v76, v71
	v_fma_f32 v68, s35, v127, -v67
	v_fma_f32 v78, s35, v128, -v67
	v_fma_f32 v77, s35, v129, -v67
	v_fma_f32 v80, s35, v114, -v67
	v_fma_f32 v79, s35, v115, -v67
	v_mul_f32_e32 v68, 0x3fb8aa3b, v68
	v_mul_f32_e32 v78, 0x3fb8aa3b, v78
	s_delay_alu instid0(VALU_DEP_4) | instskip(NEXT) | instid1(VALU_DEP_3)
	v_mul_f32_e32 v80, 0x3fb8aa3b, v80
	v_exp_f32_e32 v68, v68
	s_delay_alu instid0(VALU_DEP_2) | instskip(NEXT) | instid1(VALU_DEP_1)
	v_exp_f32_e32 v78, v78
	v_exp_f32_e32 v80, v80
	s_delay_alu instid0(TRANS32_DEP_3)
	v_cndmask_b32_e64 v82, 0, v68, s6
	v_add_f32_e32 v68, v76, v83
	v_fma_f32 v76, s35, v116, -v67
	v_mul_f32_e32 v77, 0x3fb8aa3b, v77
	s_waitcnt_depctr 0xfff
	v_cndmask_b32_e64 v85, 0, v78, s7
	v_fma_f32 v78, s35, v117, -v67
	v_add_f32_e32 v68, v68, v82
	v_mul_f32_e32 v76, 0x3fb8aa3b, v76
	v_exp_f32_e32 v77, v77
	v_mul_f32_e32 v79, 0x3fb8aa3b, v79
	v_cndmask_b32_e64 v87, 0, v80, s9
	v_add_f32_e32 v68, v68, v85
	v_exp_f32_e32 v76, v76
	v_fma_f32 v80, s35, v119, -v67
	v_exp_f32_e32 v79, v79
	s_delay_alu instid0(TRANS32_DEP_3) | instskip(SKIP_3) | instid1(TRANS32_DEP_2)
	v_cndmask_b32_e64 v84, 0, v77, s8
	v_fma_f32 v77, s35, v118, -v67
	v_mul_f32_e32 v78, 0x3fb8aa3b, v78
	v_mul_f32_e32 v80, 0x3fb8aa3b, v80
	v_cndmask_b32_e64 v89, 0, v76, s11
	s_delay_alu instid0(VALU_DEP_4) | instskip(NEXT) | instid1(VALU_DEP_4)
	v_mul_f32_e32 v77, 0x3fb8aa3b, v77
	v_exp_f32_e32 v78, v78
	s_delay_alu instid0(TRANS32_DEP_2) | instskip(SKIP_1) | instid1(VALU_DEP_3)
	v_cndmask_b32_e64 v86, 0, v79, s10
	v_fma_f32 v79, s35, v120, -v67
	v_exp_f32_e32 v77, v77
	s_delay_alu instid0(VALU_DEP_1) | instskip(SKIP_1) | instid1(TRANS32_DEP_3)
	v_mul_f32_e32 v76, 0x3fb8aa3b, v79
	v_exp_f32_e32 v79, v80
	v_cndmask_b32_e64 v88, 0, v78, s12
	v_fma_f32 v78, s35, v121, -v67
	v_add_f32_e32 v68, v68, v84
	v_exp_f32_e32 v76, v76
	s_delay_alu instid0(TRANS32_DEP_3) | instskip(NEXT) | instid1(VALU_DEP_2)
	v_cndmask_b32_e64 v91, 0, v77, s13
	v_dual_mul_f32 v77, 0x3fb8aa3b, v78 :: v_dual_add_f32 v68, v68, v87
	s_delay_alu instid0(TRANS32_DEP_2) | instskip(NEXT) | instid1(VALU_DEP_2)
	v_cndmask_b32_e64 v90, 0, v79, s16
	v_exp_f32_e32 v77, v77
	s_delay_alu instid0(VALU_DEP_2) | instskip(SKIP_4) | instid1(VALU_DEP_2)
	v_add_f32_e32 v68, v68, v86
	s_waitcnt_depctr 0xfff
	v_cndmask_b32_e64 v93, 0, v76, s17
	v_and_b32_e32 v76, 31, v0
	v_add_f32_e32 v68, v68, v89
	v_cmp_lt_u32_e64 s2, 15, v76
	v_cndmask_b32_e64 v92, 0, v77, s18
	s_delay_alu instid0(VALU_DEP_3) | instskip(NEXT) | instid1(VALU_DEP_1)
	v_add_f32_e32 v68, v68, v88
	v_add_f32_e32 v68, v68, v91
	s_delay_alu instid0(VALU_DEP_1) | instskip(NEXT) | instid1(VALU_DEP_1)
	v_add_f32_e32 v68, v68, v90
	v_add_f32_e32 v68, v68, v93
	s_delay_alu instid0(VALU_DEP_1)
	v_add_f32_e32 v68, v68, v92
	ds_bpermute_b32 v75, v75, v68
	v_cmpx_gt_u32_e32 16, v76
	s_cbranch_execz .LBB1342_11
; %bb.10:
	v_mul_u32_u24_e32 v76, 0x44, v66
	s_delay_alu instid0(VALU_DEP_1) | instskip(SKIP_1) | instid1(VALU_DEP_1)
	v_lshl_add_u32 v76, v65, 2, v76
	s_waitcnt lgkmcnt(0)
	v_dual_add_f32 v68, v68, v75 :: v_dual_add_nc_u32 v75, 0x4000, v76
	ds_store_2addr_b32 v75, v67, v68 offset1:136
.LBB1342_11:
	s_or_b32 exec_lo, exec_lo, s3
	v_lshlrev_b32_e32 v67, 2, v65
	s_load_b64 s[36:37], s[0:1], 0x94
	s_waitcnt lgkmcnt(0)
	s_barrier
	buffer_gl0_inv
	v_add_nc_u32_e32 v81, 0x4000, v67
	v_cmp_eq_u32_e32 vcc_lo, 1, v66
	v_cmp_eq_u32_e64 s3, 2, v66
	v_cmp_eq_u32_e64 s5, 3, v66
	;; [unrolled: 1-line block ×3, first 2 shown]
	ds_load_2addr_b32 v[75:76], v81 offset1:17
	ds_load_2addr_b32 v[77:78], v81 offset0:34 offset1:51
	ds_load_2addr_b32 v[79:80], v81 offset0:68 offset1:85
	;; [unrolled: 1-line block ×4, first 2 shown]
	v_cmp_eq_u32_e64 s7, 5, v66
	v_cmp_eq_u32_e64 s4, 6, v66
	s_waitcnt lgkmcnt(4)
	v_max3_f32 v67, v75, 0xff7fffff, v76
	s_waitcnt lgkmcnt(3)
	s_delay_alu instid0(VALU_DEP_1) | instskip(SKIP_1) | instid1(VALU_DEP_1)
	v_max3_f32 v67, v67, v77, v78
	s_waitcnt lgkmcnt(2)
	v_max3_f32 v67, v67, v79, v80
	s_waitcnt lgkmcnt(1)
	s_delay_alu instid0(VALU_DEP_1) | instskip(NEXT) | instid1(VALU_DEP_1)
	v_max3_f32 v67, v67, v94, v95
	v_sub_f32_e32 v68, v75, v67
	s_delay_alu instid0(VALU_DEP_1) | instskip(NEXT) | instid1(VALU_DEP_1)
	v_dual_sub_f32 v79, v79, v67 :: v_dual_mul_f32 v68, 0x3fb8aa3b, v68
	v_mul_f32_e32 v102, 0x3fb8aa3b, v79
	s_delay_alu instid0(VALU_DEP_2) | instskip(SKIP_1) | instid1(VALU_DEP_1)
	v_exp_f32_e32 v99, v68
	v_sub_f32_e32 v68, v78, v67
	v_dual_sub_f32 v98, v76, v67 :: v_dual_mul_f32 v101, 0x3fb8aa3b, v68
	s_delay_alu instid0(VALU_DEP_1)
	v_dual_sub_f32 v77, v77, v67 :: v_dual_mul_f32 v98, 0x3fb8aa3b, v98
	s_waitcnt lgkmcnt(0)
	s_waitcnt_depctr 0xfff
	v_fma_f32 v68, v99, v96, 0
	v_sub_f32_e32 v96, v80, v67
	v_mul_f32_e32 v100, 0x3fb8aa3b, v77
	v_exp_f32_e32 v98, v98
	v_exp_f32_e32 v101, v101
	s_delay_alu instid0(VALU_DEP_1) | instskip(NEXT) | instid1(TRANS32_DEP_3)
	v_exp_f32_e32 v100, v100
	v_fmac_f32_e32 v68, v98, v97
	ds_load_2addr_b32 v[75:76], v81 offset0:170 offset1:187
	ds_load_2addr_b32 v[77:78], v81 offset0:204 offset1:221
	;; [unrolled: 1-line block ×3, first 2 shown]
	v_dual_sub_f32 v81, v94, v67 :: v_dual_mul_f32 v94, 0x3fb8aa3b, v96
	v_exp_f32_e32 v96, v102
	s_waitcnt lgkmcnt(0)
	s_barrier
	s_delay_alu instid0(VALU_DEP_1)
	v_mul_f32_e32 v81, 0x3fb8aa3b, v81
	v_exp_f32_e32 v94, v94
	buffer_gl0_inv
	v_fmac_f32_e32 v68, v100, v75
	v_sub_f32_e32 v75, v95, v67
	v_exp_f32_e32 v95, v81
	s_delay_alu instid0(VALU_DEP_1) | instskip(SKIP_1) | instid1(VALU_DEP_2)
	v_dual_fmac_f32 v68, v101, v76 :: v_dual_mul_f32 v75, 0x3fb8aa3b, v75
	v_cndmask_b32_e32 v76, v99, v98, vcc_lo
	v_fmac_f32_e32 v68, v96, v77
	s_delay_alu instid0(VALU_DEP_3) | instskip(NEXT) | instid1(VALU_DEP_1)
	v_exp_f32_e32 v97, v75
	v_fmac_f32_e32 v68, v94, v78
	s_waitcnt_depctr 0xfff
	v_dual_fmac_f32 v68, v95, v79 :: v_dual_lshlrev_b32 v79, 6, v65
	s_delay_alu instid0(VALU_DEP_1) | instskip(NEXT) | instid1(VALU_DEP_2)
	v_dual_mov_b32 v65, 0 :: v_dual_fmac_f32 v68, v97, v80
	v_lshl_or_b32 v81, v66, 11, v79
	s_delay_alu instid0(VALU_DEP_2) | instskip(NEXT) | instid1(VALU_DEP_1)
	v_add_f32_e32 v80, 0x358637bd, v68
	v_div_scale_f32 v102, null, v80, v80, 1.0
	v_div_scale_f32 v98, vcc_lo, 1.0, v80, 1.0
	s_delay_alu instid0(VALU_DEP_2) | instskip(SKIP_2) | instid1(VALU_DEP_1)
	v_rcp_f32_e32 v103, v102
	s_waitcnt_depctr 0xfff
	v_fma_f32 v75, -v102, v103, 1.0
	v_fmac_f32_e32 v103, v75, v103
	v_cndmask_b32_e64 v75, v76, v100, s3
	v_cmp_eq_u32_e64 s3, 7, v66
	s_delay_alu instid0(VALU_DEP_3) | instskip(NEXT) | instid1(VALU_DEP_3)
	v_mul_f32_e32 v99, v98, v103
	v_cndmask_b32_e64 v76, v75, v101, s5
	v_lshlrev_b32_e32 v75, 2, v74
	s_delay_alu instid0(VALU_DEP_3) | instskip(NEXT) | instid1(VALU_DEP_3)
	v_fma_f32 v77, -v102, v99, v98
	v_cndmask_b32_e64 v96, v76, v96, s6
	s_delay_alu instid0(VALU_DEP_3)
	v_or_b32_e32 v78, 1, v75
	v_or_b32_e32 v76, 2, v75
	v_cmp_eq_u32_e64 s5, 1, v75
	v_fmac_f32_e32 v99, v77, v103
	v_cndmask_b32_e64 v66, v96, v94, s7
	v_or_b32_e32 v77, 3, v75
	v_cmp_eq_u32_e64 s9, 1, v78
	v_cmp_eq_u32_e64 s10, 1, v76
	v_fma_f32 v94, -v102, v99, v98
	v_cndmask_b32_e64 v66, v66, v95, s4
	v_cmp_eq_u32_e64 s11, 1, v77
	v_cmp_eq_u32_e64 s6, 2, v75
	;; [unrolled: 1-line block ×3, first 2 shown]
	v_div_fmas_f32 v94, v94, v103, v99
	v_cndmask_b32_e64 v66, v66, v97, s3
	v_cmp_eq_u32_e64 s17, 2, v77
	v_cmp_eq_u32_e32 vcc_lo, 3, v75
	v_cmp_eq_u32_e64 s13, 3, v78
	v_div_fixup_f32 v94, v94, v80, 1.0
	v_lshl_or_b32 v80, v74, 4, v81
	v_cmp_eq_u32_e64 s16, 2, v76
	v_cmp_eq_u32_e64 s19, 3, v77
	;; [unrolled: 1-line block ×3, first 2 shown]
	v_mul_f32_e32 v66, v66, v94
	v_cmp_eq_u32_e64 s18, 3, v76
	v_cmp_eq_u32_e64 s20, 4, v78
	;; [unrolled: 1-line block ×4, first 2 shown]
	v_fma_mixlo_f16 v94, v66, v70, 0
	v_fma_mixlo_f16 v95, v66, v72, 0
	;; [unrolled: 1-line block ×8, first 2 shown]
	v_fma_mixhi_f16 v94, v66, v69, 0
	v_fma_mixhi_f16 v95, v66, v71, 0
	;; [unrolled: 1-line block ×8, first 2 shown]
	ds_store_b128 v80, v[94:97]
	ds_store_b128 v80, v[98:101] offset:1024
	s_waitcnt lgkmcnt(0)
	s_barrier
	buffer_gl0_inv
	ds_load_b128 v[69:72], v81
	ds_load_b128 v[82:85], v81 offset:16
	ds_load_b128 v[86:89], v81 offset:1024
	;; [unrolled: 1-line block ×3, first 2 shown]
	v_cmp_eq_u32_e64 s21, 5, v78
	v_cmp_eq_u32_e64 s22, 4, v76
	;; [unrolled: 1-line block ×12, first 2 shown]
	s_waitcnt lgkmcnt(3)
	v_lshrrev_b32_e32 v66, 16, v69
	s_waitcnt lgkmcnt(2)
	v_lshrrev_b32_e32 v97, 16, v82
	;; [unrolled: 2-line block ×4, first 2 shown]
	v_lshrrev_b32_e32 v94, 16, v70
	v_cndmask_b32_e64 v109, v69, v66, s5
	v_cndmask_b32_e64 v110, v82, v97, s5
	;; [unrolled: 1-line block ×7, first 2 shown]
	v_lshrrev_b32_e32 v98, 16, v83
	v_cndmask_b32_e64 v114, v82, v97, s10
	v_cndmask_b32_e64 v82, v86, v101, s5
	;; [unrolled: 1-line block ×15, first 2 shown]
	v_lshrrev_b32_e32 v102, 16, v87
	v_lshrrev_b32_e32 v106, 16, v91
	v_cndmask_b32_e64 v111, v113, v70, s16
	v_cndmask_b32_e64 v112, v114, v83, s16
	;; [unrolled: 1-line block ×7, first 2 shown]
	v_cndmask_b32_e32 v87, v101, v94, vcc_lo
	v_cndmask_b32_e32 v101, v105, v98, vcc_lo
	v_cndmask_b32_e64 v105, v109, v94, s13
	v_cndmask_b32_e64 v109, v110, v98, s13
	;; [unrolled: 1-line block ×4, first 2 shown]
	v_lshrrev_b32_e32 v95, 16, v71
	v_lshrrev_b32_e32 v99, 16, v84
	v_cndmask_b32_e64 v110, v111, v94, s18
	v_cndmask_b32_e64 v111, v112, v98, s18
	v_cndmask_b32_e32 v70, v70, v102, vcc_lo
	v_cndmask_b32_e32 v82, v82, v106, vcc_lo
	v_cndmask_b32_e64 v83, v83, v102, s13
	v_cndmask_b32_e64 v87, v87, v71, s4
	;; [unrolled: 1-line block ×7, first 2 shown]
	v_lshrrev_b32_e32 v103, 16, v88
	v_lshrrev_b32_e32 v107, 16, v92
	v_cndmask_b32_e64 v105, v110, v71, s22
	v_cndmask_b32_e64 v109, v111, v84, s22
	v_cndmask_b32_e64 v70, v70, v88, s4
	v_cndmask_b32_e64 v71, v82, v92, s4
	v_cndmask_b32_e64 v82, v83, v88, s20
	v_cndmask_b32_e64 v83, v87, v95, s7
	v_cndmask_b32_e64 v84, v94, v99, s7
	v_cndmask_b32_e64 v87, v98, v95, s21
	v_cndmask_b32_e64 v94, v101, v99, s21
	v_cndmask_b32_e64 v66, v66, v95, s25
	v_cndmask_b32_e64 v69, v69, v99, s25
	v_lshrrev_b32_e32 v96, 16, v72
	v_lshrrev_b32_e32 v100, 16, v85
	v_cndmask_b32_e64 v98, v105, v95, s24
	v_cndmask_b32_e64 v101, v109, v99, s24
	;; [unrolled: 1-line block ×11, first 2 shown]
	v_lshrrev_b32_e32 v104, 16, v89
	v_cndmask_b32_e64 v95, v98, v72, s27
	v_cndmask_b32_e64 v98, v101, v85, s27
	;; [unrolled: 1-line block ×14, first 2 shown]
	v_perm_b32 v72, v69, v66, 0x5040100
	v_perm_b32 v70, v94, v84, 0x5040100
	v_cndmask_b32_e64 v66, v90, v91, s17
	v_cndmask_b32_e64 v69, v118, v91, s16
	;; [unrolled: 1-line block ×4, first 2 shown]
	v_perm_b32 v71, v95, v87, 0x5040100
	v_cndmask_b32_e64 v87, v97, v102, s18
	v_cndmask_b32_e64 v86, v86, v102, s19
	;; [unrolled: 1-line block ×15, first 2 shown]
	v_lshrrev_b32_e32 v108, 16, v93
	v_cndmask_b32_e64 v87, v87, v89, s27
	v_cndmask_b32_e64 v86, v86, v89, s28
	v_cndmask_b32_e64 v66, v66, v93, s28
	v_cndmask_b32_e64 v69, v69, v93, s27
	v_cndmask_b32_e64 v84, v84, v93, s26
	v_cndmask_b32_e64 v87, v87, v104, s29
	v_cndmask_b32_e64 v86, v86, v104, s30
	v_cndmask_b32_e64 v66, v66, v108, s30
	v_cndmask_b32_e64 v88, v69, v108, s29
	v_cndmask_b32_e64 v89, v84, v108, s31
	v_cndmask_b32_e64 v90, v85, v108, s8
	v_perm_b32 v69, v83, v82, 0x5040100
	v_perm_b32 v85, v66, v86, 0x5040100
	;; [unrolled: 1-line block ×5, first 2 shown]
	s_mov_b32 s3, exec_lo
	ds_store_b128 v80, v[69:72]
	ds_store_b128 v80, v[82:85] offset:1024
	v_cmpx_eq_u32_e32 0, v0
	s_cbranch_execz .LBB1342_13
; %bb.12:
	s_load_b128 s[4:7], s[0:1], 0x58
	s_mul_i32 s8, s37, s34
	s_delay_alu instid0(SALU_CYCLE_1) | instskip(NEXT) | instid1(SALU_CYCLE_1)
	s_add_i32 s8, s8, s15
	s_mul_i32 s8, s8, s36
	s_delay_alu instid0(SALU_CYCLE_1) | instskip(NEXT) | instid1(SALU_CYCLE_1)
	s_add_i32 s8, s8, s14
	s_ashr_i32 s9, s8, 31
	s_delay_alu instid0(SALU_CYCLE_1)
	s_lshl_b64 s[8:9], s[8:9], 2
	s_waitcnt lgkmcnt(0)
	s_add_u32 s6, s6, s8
	s_addc_u32 s7, s7, s9
	s_add_u32 s4, s4, s8
	s_addc_u32 s5, s5, s9
	s_clause 0x1
	global_store_b32 v65, v67, s[6:7]
	global_store_b32 v65, v68, s[4:5]
.LBB1342_13:
	s_or_b32 exec_lo, exec_lo, s3
	s_waitcnt lgkmcnt(0)
	s_waitcnt_vscnt null, 0x0
	s_barrier
	buffer_gl0_inv
	ds_load_b128 v[82:85], v79
	ds_load_b128 v[86:89], v79 offset:16
	ds_load_b128 v[94:97], v79 offset:2064
	;; [unrolled: 1-line block ×5, first 2 shown]
	v_mov_b32_e32 v66, v65
	v_mov_b32_e32 v67, v65
	;; [unrolled: 1-line block ×7, first 2 shown]
	ds_load_b128 v[110:113], v79 offset:6160
	ds_load_b128 v[106:109], v79 offset:6144
	v_cmp_eq_u32_e32 vcc_lo, 1, v75
	v_cmp_eq_u32_e64 s3, 1, v78
	v_cmp_eq_u32_e64 s4, 1, v77
	;; [unrolled: 1-line block ×5, first 2 shown]
	s_xor_b32 s2, s2, -1
	s_waitcnt lgkmcnt(6)
	v_wmma_f32_16x16x16_f16 v[65:72], v[49:56], v[82:89], v[65:72]
	ds_load_b128 v[53:56], v79 offset:8208
	ds_load_b128 v[49:52], v79 offset:8192
	;; [unrolled: 1-line block ×4, first 2 shown]
	s_waitcnt lgkmcnt(8)
	v_wmma_f32_16x16x16_f16 v[65:72], v[41:48], v[90:97], v[65:72]
	ds_load_b128 v[45:48], v79 offset:12304
	ds_load_b128 v[41:44], v79 offset:12288
	s_waitcnt lgkmcnt(8)
	v_wmma_f32_16x16x16_f16 v[65:72], v[33:40], v[98:105], v[65:72]
	ds_load_b128 v[37:40], v79 offset:14352
	ds_load_b128 v[33:36], v79 offset:14336
	s_waitcnt lgkmcnt(0)
	s_barrier
	buffer_gl0_inv
	v_wmma_f32_16x16x16_f16 v[65:72], v[1:8], v[106:113], v[65:72]
	s_delay_alu instid0(VALU_DEP_1) | instskip(NEXT) | instid1(VALU_DEP_1)
	v_wmma_f32_16x16x16_f16 v[65:72], v[9:16], v[49:56], v[65:72]
	v_wmma_f32_16x16x16_f16 v[65:72], v[17:24], v[82:89], v[65:72]
	s_delay_alu instid0(VALU_DEP_1) | instskip(NEXT) | instid1(VALU_DEP_1)
	v_wmma_f32_16x16x16_f16 v[65:72], v[25:32], v[41:48], v[65:72]
	v_wmma_f32_16x16x16_f16 v[65:72], v[57:64], v[33:40], v[65:72]
	s_delay_alu instid0(VALU_DEP_1) | instskip(NEXT) | instid1(VALU_DEP_2)
	v_cvt_f16_f32_e32 v1, v65
	v_cvt_f16_f32_e32 v2, v66
	s_delay_alu instid0(VALU_DEP_3) | instskip(NEXT) | instid1(VALU_DEP_4)
	v_cvt_f16_f32_e32 v3, v67
	v_cvt_f16_f32_e32 v4, v68
	v_cvt_f16_f32_e32 v5, v69
	v_cvt_f16_f32_e32 v6, v70
	v_cvt_f16_f32_e32 v7, v71
	v_cvt_f16_f32_e32 v8, v72
	v_pack_b32_f16 v1, v1, v2
	v_pack_b32_f16 v2, v3, v4
	;; [unrolled: 1-line block ×3, first 2 shown]
	s_delay_alu instid0(VALU_DEP_4)
	v_pack_b32_f16 v4, v7, v8
	ds_store_b128 v80, v[1:4]
	s_waitcnt lgkmcnt(0)
	s_barrier
	buffer_gl0_inv
	ds_load_b128 v[1:4], v81
	ds_load_b128 v[5:8], v81 offset:16
	s_waitcnt lgkmcnt(1)
	v_lshrrev_b32_e32 v9, 16, v1
	s_waitcnt lgkmcnt(0)
	v_lshrrev_b32_e32 v13, 16, v5
	v_lshrrev_b32_e32 v16, 16, v8
	;; [unrolled: 1-line block ×4, first 2 shown]
	v_cndmask_b32_e32 v17, v1, v9, vcc_lo
	v_cndmask_b32_e32 v18, v5, v13, vcc_lo
	v_cmp_eq_u32_e32 vcc_lo, 1, v76
	v_cndmask_b32_e64 v19, v1, v9, s3
	v_cndmask_b32_e64 v20, v5, v13, s3
	v_cmp_eq_u32_e64 s3, 2, v76
	v_lshrrev_b32_e32 v11, 16, v3
	v_cndmask_b32_e32 v21, v1, v9, vcc_lo
	v_cndmask_b32_e32 v22, v5, v13, vcc_lo
	v_cndmask_b32_e64 v1, v1, v9, s4
	v_cmp_eq_u32_e32 vcc_lo, 2, v77
	v_cndmask_b32_e64 v5, v5, v13, s4
	v_cmp_eq_u32_e64 s4, 2, v78
	v_cndmask_b32_e64 v9, v17, v2, s5
	v_cndmask_b32_e64 v13, v18, v6, s5
	v_cmp_eq_u32_e64 s5, 3, v78
	v_cndmask_b32_e32 v1, v1, v2, vcc_lo
	v_cndmask_b32_e64 v17, v19, v2, s4
	v_cndmask_b32_e64 v18, v20, v6, s4
	;; [unrolled: 1-line block ×4, first 2 shown]
	v_cndmask_b32_e32 v2, v5, v6, vcc_lo
	v_cmp_eq_u32_e32 vcc_lo, 3, v76
	v_cmp_eq_u32_e64 s4, 3, v77
	v_cndmask_b32_e64 v5, v9, v10, s6
	v_cndmask_b32_e64 v6, v13, v14, s6
	;; [unrolled: 1-line block ×4, first 2 shown]
	v_cndmask_b32_e32 v17, v19, v10, vcc_lo
	v_cmp_eq_u32_e64 s3, 4, v76
	v_cndmask_b32_e32 v18, v20, v14, vcc_lo
	v_cndmask_b32_e64 v1, v1, v10, s4
	v_cmp_eq_u32_e32 vcc_lo, 4, v77
	v_cmp_eq_u32_e64 s5, 4, v75
	v_cndmask_b32_e64 v2, v2, v14, s4
	v_cmp_eq_u32_e64 s4, 4, v78
	v_lshrrev_b32_e32 v15, 16, v7
	v_cmp_eq_u32_e64 s6, 5, v75
	v_cndmask_b32_e64 v5, v5, v3, s5
	v_cndmask_b32_e64 v6, v6, v7, s5
	;; [unrolled: 1-line block ×3, first 2 shown]
	v_cmp_eq_u32_e64 s5, 5, v78
	v_cndmask_b32_e64 v10, v13, v7, s4
	v_cndmask_b32_e64 v13, v17, v3, s3
	;; [unrolled: 1-line block ×3, first 2 shown]
	v_cmp_eq_u32_e64 s4, 5, v76
	v_cndmask_b32_e32 v1, v1, v3, vcc_lo
	v_cndmask_b32_e32 v2, v2, v7, vcc_lo
	v_cmp_eq_u32_e32 vcc_lo, 5, v77
	v_cndmask_b32_e64 v5, v5, v11, s6
	v_cmp_eq_u32_e64 s3, 6, v75
	v_cndmask_b32_e64 v6, v6, v15, s6
	v_cndmask_b32_e64 v9, v9, v11, s5
	;; [unrolled: 1-line block ×4, first 2 shown]
	v_cmp_eq_u32_e64 s5, 6, v78
	v_cndmask_b32_e64 v3, v14, v15, s4
	v_cndmask_b32_e32 v1, v1, v11, vcc_lo
	v_cmp_eq_u32_e64 s4, 6, v77
	v_cndmask_b32_e32 v2, v2, v15, vcc_lo
	v_lshrrev_b32_e32 v12, 16, v4
	v_cndmask_b32_e64 v5, v5, v4, s3
	v_cndmask_b32_e64 v9, v9, v4, s5
	;; [unrolled: 1-line block ×3, first 2 shown]
	v_cmp_eq_u32_e64 s3, 7, v75
	v_cmp_eq_u32_e64 s6, 7, v78
	v_cndmask_b32_e64 v7, v13, v4, s7
	v_cndmask_b32_e64 v3, v3, v8, s7
	;; [unrolled: 1-line block ×3, first 2 shown]
	v_cmp_eq_u32_e32 vcc_lo, 7, v77
	v_cndmask_b32_e64 v2, v2, v8, s4
	v_cmp_eq_u32_e64 s4, 7, v76
	v_cndmask_b32_e64 v4, v10, v8, s5
	v_cndmask_b32_e64 v5, v5, v12, s3
	;; [unrolled: 1-line block ×3, first 2 shown]
	v_cndmask_b32_e32 v2, v2, v16, vcc_lo
	v_cndmask_b32_e64 v7, v7, v12, s4
	v_cndmask_b32_e32 v1, v1, v12, vcc_lo
	v_cndmask_b32_e64 v3, v3, v16, s4
	v_cndmask_b32_e64 v8, v4, v16, s6
	;; [unrolled: 1-line block ×3, first 2 shown]
	v_cmp_gt_u32_e32 vcc_lo, 32, v0
	v_perm_b32 v4, v2, v1, 0x5040100
	v_perm_b32 v3, v3, v7, 0x5040100
	;; [unrolled: 1-line block ×4, first 2 shown]
	s_and_b32 s2, vcc_lo, s2
	ds_store_b128 v80, v[1:4]
	s_waitcnt lgkmcnt(0)
	s_barrier
	buffer_gl0_inv
	s_and_saveexec_b32 s3, s2
	s_cbranch_execz .LBB1342_2
; %bb.14:
	s_load_b64 s[0:1], s[0:1], 0x68
	v_lshlrev_b32_e32 v1, 10, v0
	v_and_b32_e32 v0, 1, v0
	v_lshlrev_b32_e32 v2, 6, v74
	s_lshl_b32 s4, s36, 7
	s_delay_alu instid0(VALU_DEP_3) | instskip(NEXT) | instid1(VALU_DEP_3)
	v_and_b32_e32 v1, 0x3800, v1
	v_lshlrev_b32_e32 v0, 4, v0
	s_mul_i32 s2, s4, s34
	s_delay_alu instid0(SALU_CYCLE_1) | instskip(NEXT) | instid1(VALU_DEP_1)
	s_mul_i32 s2, s2, s37
	v_or3_b32 v0, v1, v2, v0
	s_ashr_i32 s3, s2, 31
	s_delay_alu instid0(SALU_CYCLE_1)
	s_lshl_b64 s[2:3], s[2:3], 1
	ds_load_b128 v[0:3], v0
	s_waitcnt lgkmcnt(0)
	s_add_u32 s5, s0, s2
	s_addc_u32 s3, s1, s3
	s_lshl_b32 s0, s14, 7
	s_mul_i32 s2, s4, s15
	s_ashr_i32 s1, s0, 31
	s_delay_alu instid0(SALU_CYCLE_1) | instskip(NEXT) | instid1(SALU_CYCLE_1)
	s_lshl_b64 s[0:1], s[0:1], 1
	s_add_u32 s4, s5, s0
	s_addc_u32 s5, s3, s1
	s_ashr_i32 s3, s2, 31
	s_delay_alu instid0(SALU_CYCLE_1) | instskip(NEXT) | instid1(SALU_CYCLE_1)
	s_lshl_b64 s[0:1], s[2:3], 1
	s_add_u32 s0, s4, s0
	s_addc_u32 s1, s5, s1
	global_store_b128 v73, v[0:3], s[0:1]
	s_nop 0
	s_sendmsg sendmsg(MSG_DEALLOC_VGPRS)
	s_endpgm
	.section	.rodata,"a",@progbits
	.p2align	6, 0x0
	.amdhsa_kernel _Z39paged_attention_ll4mi_QKV_mfma16_kernelIDF16_hLN4vllm18Fp8KVCacheDataTypeE1EDF16_Li32ELi128ELi256ELb0ELi1EL8MFMAType0EEvPKT_PKT0_S8_ifPKiSA_SA_iPKfiiiPfSD_PS3_PT2_iSC_SC_
		.amdhsa_group_segment_fixed_size 17472
		.amdhsa_private_segment_fixed_size 0
		.amdhsa_kernarg_size 400
		.amdhsa_user_sgpr_count 13
		.amdhsa_user_sgpr_dispatch_ptr 0
		.amdhsa_user_sgpr_queue_ptr 0
		.amdhsa_user_sgpr_kernarg_segment_ptr 1
		.amdhsa_user_sgpr_dispatch_id 0
		.amdhsa_user_sgpr_private_segment_size 0
		.amdhsa_wavefront_size32 1
		.amdhsa_uses_dynamic_stack 0
		.amdhsa_enable_private_segment 0
		.amdhsa_system_sgpr_workgroup_id_x 1
		.amdhsa_system_sgpr_workgroup_id_y 1
		.amdhsa_system_sgpr_workgroup_id_z 1
		.amdhsa_system_sgpr_workgroup_info 0
		.amdhsa_system_vgpr_workitem_id 0
		.amdhsa_next_free_vgpr 134
		.amdhsa_next_free_sgpr 68
		.amdhsa_reserve_vcc 1
		.amdhsa_float_round_mode_32 0
		.amdhsa_float_round_mode_16_64 0
		.amdhsa_float_denorm_mode_32 3
		.amdhsa_float_denorm_mode_16_64 3
		.amdhsa_dx10_clamp 1
		.amdhsa_ieee_mode 1
		.amdhsa_fp16_overflow 0
		.amdhsa_workgroup_processor_mode 1
		.amdhsa_memory_ordered 1
		.amdhsa_forward_progress 0
		.amdhsa_shared_vgpr_count 0
		.amdhsa_exception_fp_ieee_invalid_op 0
		.amdhsa_exception_fp_denorm_src 0
		.amdhsa_exception_fp_ieee_div_zero 0
		.amdhsa_exception_fp_ieee_overflow 0
		.amdhsa_exception_fp_ieee_underflow 0
		.amdhsa_exception_fp_ieee_inexact 0
		.amdhsa_exception_int_div_zero 0
	.end_amdhsa_kernel
	.section	.text._Z39paged_attention_ll4mi_QKV_mfma16_kernelIDF16_hLN4vllm18Fp8KVCacheDataTypeE1EDF16_Li32ELi128ELi256ELb0ELi1EL8MFMAType0EEvPKT_PKT0_S8_ifPKiSA_SA_iPKfiiiPfSD_PS3_PT2_iSC_SC_,"axG",@progbits,_Z39paged_attention_ll4mi_QKV_mfma16_kernelIDF16_hLN4vllm18Fp8KVCacheDataTypeE1EDF16_Li32ELi128ELi256ELb0ELi1EL8MFMAType0EEvPKT_PKT0_S8_ifPKiSA_SA_iPKfiiiPfSD_PS3_PT2_iSC_SC_,comdat
.Lfunc_end1342:
	.size	_Z39paged_attention_ll4mi_QKV_mfma16_kernelIDF16_hLN4vllm18Fp8KVCacheDataTypeE1EDF16_Li32ELi128ELi256ELb0ELi1EL8MFMAType0EEvPKT_PKT0_S8_ifPKiSA_SA_iPKfiiiPfSD_PS3_PT2_iSC_SC_, .Lfunc_end1342-_Z39paged_attention_ll4mi_QKV_mfma16_kernelIDF16_hLN4vllm18Fp8KVCacheDataTypeE1EDF16_Li32ELi128ELi256ELb0ELi1EL8MFMAType0EEvPKT_PKT0_S8_ifPKiSA_SA_iPKfiiiPfSD_PS3_PT2_iSC_SC_
                                        ; -- End function
	.section	.AMDGPU.csdata,"",@progbits
; Kernel info:
; codeLenInByte = 6404
; NumSgprs: 70
; NumVgprs: 134
; ScratchSize: 0
; MemoryBound: 1
; FloatMode: 240
; IeeeMode: 1
; LDSByteSize: 17472 bytes/workgroup (compile time only)
; SGPRBlocks: 8
; VGPRBlocks: 16
; NumSGPRsForWavesPerEU: 70
; NumVGPRsForWavesPerEU: 134
; Occupancy: 10
; WaveLimiterHint : 1
; COMPUTE_PGM_RSRC2:SCRATCH_EN: 0
; COMPUTE_PGM_RSRC2:USER_SGPR: 13
; COMPUTE_PGM_RSRC2:TRAP_HANDLER: 0
; COMPUTE_PGM_RSRC2:TGID_X_EN: 1
; COMPUTE_PGM_RSRC2:TGID_Y_EN: 1
; COMPUTE_PGM_RSRC2:TGID_Z_EN: 1
; COMPUTE_PGM_RSRC2:TIDIG_COMP_CNT: 0
	.section	.text._Z39paged_attention_ll4mi_QKV_mfma16_kernelIDF16_hLN4vllm18Fp8KVCacheDataTypeE1EDF16_Li32ELi128ELi256ELb0ELi2EL8MFMAType0EEvPKT_PKT0_S8_ifPKiSA_SA_iPKfiiiPfSD_PS3_PT2_iSC_SC_,"axG",@progbits,_Z39paged_attention_ll4mi_QKV_mfma16_kernelIDF16_hLN4vllm18Fp8KVCacheDataTypeE1EDF16_Li32ELi128ELi256ELb0ELi2EL8MFMAType0EEvPKT_PKT0_S8_ifPKiSA_SA_iPKfiiiPfSD_PS3_PT2_iSC_SC_,comdat
	.protected	_Z39paged_attention_ll4mi_QKV_mfma16_kernelIDF16_hLN4vllm18Fp8KVCacheDataTypeE1EDF16_Li32ELi128ELi256ELb0ELi2EL8MFMAType0EEvPKT_PKT0_S8_ifPKiSA_SA_iPKfiiiPfSD_PS3_PT2_iSC_SC_ ; -- Begin function _Z39paged_attention_ll4mi_QKV_mfma16_kernelIDF16_hLN4vllm18Fp8KVCacheDataTypeE1EDF16_Li32ELi128ELi256ELb0ELi2EL8MFMAType0EEvPKT_PKT0_S8_ifPKiSA_SA_iPKfiiiPfSD_PS3_PT2_iSC_SC_
	.globl	_Z39paged_attention_ll4mi_QKV_mfma16_kernelIDF16_hLN4vllm18Fp8KVCacheDataTypeE1EDF16_Li32ELi128ELi256ELb0ELi2EL8MFMAType0EEvPKT_PKT0_S8_ifPKiSA_SA_iPKfiiiPfSD_PS3_PT2_iSC_SC_
	.p2align	8
	.type	_Z39paged_attention_ll4mi_QKV_mfma16_kernelIDF16_hLN4vllm18Fp8KVCacheDataTypeE1EDF16_Li32ELi128ELi256ELb0ELi2EL8MFMAType0EEvPKT_PKT0_S8_ifPKiSA_SA_iPKfiiiPfSD_PS3_PT2_iSC_SC_,@function
_Z39paged_attention_ll4mi_QKV_mfma16_kernelIDF16_hLN4vllm18Fp8KVCacheDataTypeE1EDF16_Li32ELi128ELi256ELb0ELi2EL8MFMAType0EEvPKT_PKT0_S8_ifPKiSA_SA_iPKfiiiPfSD_PS3_PT2_iSC_SC_: ; @_Z39paged_attention_ll4mi_QKV_mfma16_kernelIDF16_hLN4vllm18Fp8KVCacheDataTypeE1EDF16_Li32ELi128ELi256ELb0ELi2EL8MFMAType0EEvPKT_PKT0_S8_ifPKiSA_SA_iPKfiiiPfSD_PS3_PT2_iSC_SC_
; %bb.0:
	s_load_b64 s[2:3], s[0:1], 0x30
	s_mov_b32 s34, s13
	s_waitcnt lgkmcnt(0)
	s_cmp_lg_u64 s[2:3], 0
	s_cselect_b32 s8, -1, 0
	s_ashr_i32 s35, s13, 31
	s_cmp_eq_u64 s[2:3], 0
	s_cbranch_scc1 .LBB1343_3
; %bb.1:
	s_lshl_b64 s[4:5], s[34:35], 2
	s_delay_alu instid0(SALU_CYCLE_1) | instskip(SKIP_4) | instid1(SALU_CYCLE_1)
	s_add_u32 s4, s2, s4
	s_addc_u32 s5, s3, s5
	s_load_b64 s[4:5], s[4:5], 0x0
	s_waitcnt lgkmcnt(0)
	s_sub_i32 s4, s5, s4
	s_cmp_eq_u32 s4, 1
	s_cselect_b32 s4, -1, 0
	s_delay_alu instid0(SALU_CYCLE_1)
	s_and_not1_b32 vcc_lo, exec_lo, s4
	s_cbranch_vccz .LBB1343_4
.LBB1343_2:
	s_endpgm
.LBB1343_3:
.LBB1343_4:
	s_load_b64 s[4:5], s[0:1], 0x28
	s_lshl_b64 s[6:7], s[34:35], 2
	s_waitcnt lgkmcnt(0)
	s_add_u32 s4, s4, s6
	s_addc_u32 s5, s5, s7
	s_lshl_b32 s12, s14, 8
	s_load_b32 s24, s[4:5], 0x0
	s_waitcnt lgkmcnt(0)
	s_cmp_ge_i32 s12, s24
	s_cbranch_scc1 .LBB1343_2
; %bb.5:
	s_clause 0x1
	s_load_b128 s[20:23], s[0:1], 0x8
	s_load_b64 s[4:5], s[0:1], 0x20
	s_and_not1_b32 vcc_lo, exec_lo, s8
	s_cbranch_vccnz .LBB1343_7
; %bb.6:
	s_add_u32 s2, s2, s6
	s_addc_u32 s3, s3, s7
	s_load_b32 s3, s[2:3], 0x0
	s_branch .LBB1343_8
.LBB1343_7:
	s_mov_b32 s3, s34
.LBB1343_8:
	s_load_b128 s[16:19], s[0:1], 0x48
	v_and_b32_e32 v70, 15, v0
	v_bfe_u32 v69, v0, 4, 1
	s_lshl_b32 s31, s15, 1
	v_and_b32_e32 v71, 31, v0
	v_and_b32_e32 v68, 1, v0
	v_lshlrev_b32_e32 v1, 3, v70
	v_cmp_gt_u32_e64 s2, 32, v0
	v_or_b32_e32 v67, s31, v69
	v_lshlrev_b32_e32 v66, 6, v69
	s_delay_alu instid0(VALU_DEP_4) | instskip(NEXT) | instid1(VALU_DEP_4)
	v_lshlrev_b32_e32 v65, 1, v1
	s_and_saveexec_b32 s6, s2
	s_cbranch_execz .LBB1343_10
; %bb.9:
	s_load_b64 s[8:9], s[0:1], 0x0
	v_lshlrev_b32_e32 v1, 7, v67
	s_waitcnt lgkmcnt(0)
	s_mul_hi_i32 s11, s3, s16
	s_mul_i32 s10, s3, s16
	v_lshlrev_b32_e32 v5, 10, v70
	s_lshl_b64 s[10:11], s[10:11], 1
	v_ashrrev_i32_e32 v2, 31, v1
	v_lshlrev_b32_e32 v6, 10, v68
	s_delay_alu instid0(VALU_DEP_3) | instskip(NEXT) | instid1(VALU_DEP_3)
	v_and_b32_e32 v5, 0x3800, v5
	v_lshlrev_b64 v[1:2], 1, v[1:2]
	s_delay_alu instid0(VALU_DEP_2) | instskip(SKIP_2) | instid1(VALU_DEP_2)
	v_or3_b32 v5, v5, v6, v66
	s_add_u32 s3, s8, s10
	s_addc_u32 s7, s9, s11
	v_add_co_u32 v1, vcc_lo, s3, v1
	s_delay_alu instid0(VALU_DEP_3) | instskip(NEXT) | instid1(VALU_DEP_2)
	v_add_co_ci_u32_e32 v2, vcc_lo, s7, v2, vcc_lo
	v_add_co_u32 v1, vcc_lo, v1, v65
	s_delay_alu instid0(VALU_DEP_2)
	v_add_co_ci_u32_e32 v2, vcc_lo, 0, v2, vcc_lo
	global_load_b128 v[1:4], v[1:2], off
	s_waitcnt vmcnt(0)
	ds_store_b128 v5, v[1:4]
.LBB1343_10:
	s_or_b32 exec_lo, exec_lo, s6
	v_and_b32_e32 v1, 0xef, v0
	s_waitcnt lgkmcnt(0)
	s_add_i32 s3, s24, 31
	s_clause 0x1
	s_load_b32 s6, s[0:1], 0x38
	s_load_b32 s33, s[0:1], 0x98
	s_ashr_i32 s7, s3, 31
	v_add_nc_u32_e32 v1, s12, v1
	s_lshr_b32 s7, s7, 27
	s_load_b32 s19, s[0:1], 0x1c
	s_add_i32 s3, s3, s7
	s_waitcnt lgkmcnt(0)
	v_ashrrev_i32_e32 v2, 31, v1
	v_or_b32_e32 v3, 16, v1
	s_ashr_i32 s3, s3, 5
	v_cmp_gt_i32_e32 vcc_lo, s24, v1
	s_add_i32 s3, s3, -1
	v_lshrrev_b32_e32 v2, 27, v2
	s_barrier
	buffer_gl0_inv
	s_mul_i32 s35, s15, s18
	v_lshrrev_b32_e32 v72, 5, v0
	v_add_nc_u32_e32 v4, v1, v2
	s_mul_i32 s6, s34, s6
	s_delay_alu instid0(SALU_CYCLE_1) | instskip(NEXT) | instid1(VALU_DEP_1)
	s_ashr_i32 s7, s6, 31
	v_ashrrev_i32_e32 v4, 5, v4
	v_add_nc_u32_e32 v2, v3, v2
	s_lshl_b64 s[6:7], s[6:7], 2
	s_delay_alu instid0(SALU_CYCLE_1) | instskip(NEXT) | instid1(VALU_DEP_2)
	s_add_u32 s25, s4, s6
	v_cndmask_b32_e32 v1, s3, v4, vcc_lo
	s_delay_alu instid0(VALU_DEP_2)
	v_ashrrev_i32_e32 v2, 5, v2
	v_cmp_gt_i32_e32 vcc_lo, s24, v3
	s_addc_u32 s30, s5, s7
	s_ashr_i32 s38, s35, 31
	s_add_u32 s4, s20, s35
	s_addc_u32 s5, s21, s38
	v_cndmask_b32_e32 v3, s3, v2, vcc_lo
	v_ashrrev_i32_e32 v2, 31, v1
	s_lshl_b32 s6, s14, 3
	s_delay_alu instid0(SALU_CYCLE_1) | instskip(NEXT) | instid1(VALU_DEP_2)
	s_ashr_i32 s7, s6, 31
	v_ashrrev_i32_e32 v4, 31, v3
	s_delay_alu instid0(VALU_DEP_2) | instskip(SKIP_1) | instid1(SALU_CYCLE_1)
	v_lshlrev_b64 v[1:2], 2, v[1:2]
	s_lshl_b64 s[6:7], s[6:7], 2
	s_add_u32 s6, s25, s6
	s_delay_alu instid0(VALU_DEP_2) | instskip(SKIP_1) | instid1(VALU_DEP_2)
	v_lshlrev_b64 v[3:4], 2, v[3:4]
	s_addc_u32 s7, s30, s7
	v_add_co_u32 v1, vcc_lo, s25, v1
	v_add_co_ci_u32_e32 v2, vcc_lo, s30, v2, vcc_lo
	s_delay_alu instid0(VALU_DEP_3) | instskip(NEXT) | instid1(VALU_DEP_4)
	v_add_co_u32 v3, vcc_lo, s25, v3
	v_add_co_ci_u32_e32 v4, vcc_lo, s30, v4, vcc_lo
	s_clause 0x1
	global_load_b32 v5, v[1:2], off
	global_load_b32 v6, v[3:4], off
	s_or_b32 s8, s12, 32
	s_delay_alu instid0(SALU_CYCLE_1) | instskip(SKIP_2) | instid1(SALU_CYCLE_1)
	s_ashr_i32 s9, s8, 5
	s_cmp_lt_i32 s8, s24
	s_cselect_b32 s8, s9, s3
	s_ashr_i32 s9, s8, 31
	s_delay_alu instid0(SALU_CYCLE_1) | instskip(NEXT) | instid1(SALU_CYCLE_1)
	s_lshl_b64 s[8:9], s[8:9], 2
	s_add_u32 s8, s25, s8
	s_addc_u32 s9, s30, s9
	s_or_b32 s10, s12, 64
	s_delay_alu instid0(SALU_CYCLE_1) | instskip(SKIP_2) | instid1(SALU_CYCLE_1)
	s_ashr_i32 s11, s10, 5
	s_cmp_lt_i32 s10, s24
	s_cselect_b32 s10, s11, s3
	s_ashr_i32 s11, s10, 31
	s_delay_alu instid0(SALU_CYCLE_1) | instskip(NEXT) | instid1(SALU_CYCLE_1)
	s_lshl_b64 s[10:11], s[10:11], 2
	s_add_u32 s10, s25, s10
	s_addc_u32 s11, s30, s11
	;; [unrolled: 10-line block ×5, first 2 shown]
	s_clause 0x5
	s_load_b32 s21, s[6:7], 0x0
	s_load_b32 s13, s[8:9], 0x0
	;; [unrolled: 1-line block ×6, first 2 shown]
	s_or_b32 s7, s12, 0xc0
	s_delay_alu instid0(SALU_CYCLE_1) | instskip(SKIP_2) | instid1(SALU_CYCLE_1)
	s_ashr_i32 s8, s7, 5
	s_cmp_lt_i32 s7, s24
	s_cselect_b32 s10, s8, s3
	s_ashr_i32 s11, s10, 31
	s_delay_alu instid0(SALU_CYCLE_1) | instskip(NEXT) | instid1(SALU_CYCLE_1)
	s_lshl_b64 s[26:27], s[10:11], 2
	s_add_u32 s26, s25, s26
	s_addc_u32 s27, s30, s27
	s_or_b32 s28, s12, 0xe0
	s_delay_alu instid0(SALU_CYCLE_1)
	s_ashr_i32 s29, s28, 5
	s_cmp_lt_i32 s28, s24
	s_waitcnt vmcnt(1)
	v_mad_i64_i32 v[1:2], null, v5, s17, s[4:5]
	s_waitcnt vmcnt(0)
	v_mad_i64_i32 v[3:4], null, v6, s17, s[4:5]
	s_mov_b32 s4, 0
	s_delay_alu instid0(SALU_CYCLE_1)
	s_mov_b32 s5, s4
	s_mov_b32 s6, s4
	;; [unrolled: 1-line block ×7, first 2 shown]
	s_delay_alu instid0(SALU_CYCLE_1) | instskip(SKIP_2) | instid1(VALU_DEP_3)
	v_dual_mov_b32 v120, s11 :: v_dual_lshlrev_b32 v5, 4, v70
	v_dual_mov_b32 v116, s7 :: v_dual_lshlrev_b32 v145, 6, v68
	v_mov_b32_e32 v114, s5
	v_add_co_u32 v1, vcc_lo, v1, v5
	v_add_co_ci_u32_e32 v2, vcc_lo, 0, v2, vcc_lo
	v_add_co_u32 v3, vcc_lo, v3, v5
	v_add_co_ci_u32_e32 v4, vcc_lo, 0, v4, vcc_lo
	s_clause 0xf
	global_load_b128 v[9:12], v[1:2], off
	global_load_b128 v[13:16], v[1:2], off offset:512
	global_load_b128 v[17:20], v[3:4], off offset:256
	;; [unrolled: 1-line block ×15, first 2 shown]
	v_dual_mov_b32 v119, s10 :: v_dual_mov_b32 v118, s9
	v_mov_b32_e32 v117, s8
	v_mov_b32_e32 v115, s6
	;; [unrolled: 1-line block ×3, first 2 shown]
	s_cselect_b32 s4, s29, s3
	v_lshlrev_b32_e32 v1, 5, v70
	s_ashr_i32 s5, s4, 31
	ds_load_b128 v[25:28], v145
	ds_load_b128 v[29:32], v145 offset:1024
	s_lshl_b64 s[4:5], s[4:5], 2
	s_load_b32 s3, s[26:27], 0x0
	s_add_u32 s4, s25, s4
	s_addc_u32 s5, s30, s5
	ds_load_b128 v[121:124], v145 offset:2048
	ds_load_b128 v[125:128], v145 offset:3072
	s_load_b32 s4, s[4:5], 0x0
	v_lshl_or_b32 v1, v72, 9, v1
	s_add_u32 s6, s22, s35
	s_addc_u32 s7, s23, s38
	s_delay_alu instid0(VALU_DEP_1) | instskip(NEXT) | instid1(VALU_DEP_1)
	v_add_co_u32 v129, s6, s6, v1
	v_add_co_ci_u32_e64 v130, null, s7, 0, s6
	s_waitcnt lgkmcnt(0)
	s_delay_alu instid0(VALU_DEP_1)
	v_mad_i64_i32 v[1:2], null, s21, s17, v[129:130]
	v_mad_i64_i32 v[3:4], null, s13, s17, v[129:130]
	v_mad_i64_i32 v[137:138], null, s18, s17, v[129:130]
	v_mad_i64_i32 v[5:6], null, s15, s17, v[129:130]
	v_mad_i64_i32 v[139:140], null, s20, s17, v[129:130]
	v_mad_i64_i32 v[7:8], null, s16, s17, v[129:130]
	v_mad_i64_i32 v[141:142], null, s3, s17, v[129:130]
	v_mad_i64_i32 v[143:144], null, s4, s17, v[129:130]
	s_clause 0x7
	global_load_b128 v[49:52], v[1:2], off
	global_load_b128 v[53:56], v[1:2], off offset:16
	global_load_b128 v[41:44], v[3:4], off
	global_load_b128 v[45:48], v[3:4], off offset:16
	global_load_b128 v[33:36], v[5:6], off
	global_load_b128 v[37:40], v[5:6], off offset:16
	global_load_b128 v[1:4], v[7:8], off
	global_load_b128 v[5:8], v[7:8], off offset:16
	s_waitcnt vmcnt(22)
	v_wmma_f32_16x16x16_f16 v[129:136], v[9:16], v[25:32], v[113:120]
	s_waitcnt vmcnt(20)
	v_wmma_f32_16x16x16_f16 v[113:120], v[17:24], v[25:32], v[113:120]
	s_clause 0x5
	global_load_b128 v[9:12], v[137:138], off
	global_load_b128 v[13:16], v[137:138], off offset:16
	global_load_b128 v[17:20], v[139:140], off
	global_load_b128 v[21:24], v[139:140], off offset:16
	global_load_b128 v[25:28], v[141:142], off
	global_load_b128 v[29:32], v[141:142], off offset:16
	v_mbcnt_lo_u32_b32 v137, -1, 0
	s_waitcnt vmcnt(24)
	v_wmma_f32_16x16x16_f16 v[129:136], v[57:64], v[121:128], v[129:136]
	s_clause 0x1
	global_load_b128 v[57:60], v[143:144], off
	global_load_b128 v[61:64], v[143:144], off offset:16
	s_waitcnt vmcnt(24)
	v_wmma_f32_16x16x16_f16 v[113:120], v[73:80], v[121:128], v[113:120]
	ds_load_b128 v[73:76], v145 offset:4096
	ds_load_b128 v[77:80], v145 offset:5120
	v_and_b32_e32 v121, 0xe0, v0
	v_xor_b32_e32 v139, 16, v137
	s_delay_alu instid0(VALU_DEP_2)
	v_add_nc_u32_e32 v138, s12, v121
	ds_load_b128 v[121:124], v145 offset:6144
	ds_load_b128 v[125:128], v145 offset:7168
	v_cmp_gt_i32_e32 vcc_lo, 32, v139
	s_waitcnt vmcnt(0) lgkmcnt(0)
	s_barrier
	v_or_b32_e32 v138, v138, v69
	buffer_gl0_inv
	v_or_b32_e32 v140, 4, v138
	v_or_b32_e32 v141, 6, v138
	;; [unrolled: 1-line block ×3, first 2 shown]
	v_wmma_f32_16x16x16_f16 v[129:136], v[81:88], v[73:80], v[129:136]
	v_wmma_f32_16x16x16_f16 v[113:120], v[89:96], v[73:80], v[113:120]
	v_or_b32_e32 v81, 10, v138
	v_cmp_gt_i32_e64 s4, s24, v140
	v_cmp_gt_i32_e64 s5, s24, v141
	v_or_b32_e32 v82, 12, v138
	v_or_b32_e32 v83, 14, v138
	v_wmma_f32_16x16x16_f16 v[129:136], v[97:104], v[121:128], v[129:136]
	v_wmma_f32_16x16x16_f16 v[113:120], v[105:112], v[121:128], v[113:120]
	v_cndmask_b32_e32 v137, v137, v139, vcc_lo
	v_or_b32_e32 v139, 2, v138
	v_cmp_gt_i32_e32 vcc_lo, s24, v138
	v_mul_f32_e32 v90, s19, v130
	v_dual_mul_f32 v92, s19, v120 :: v_dual_mul_f32 v91, s19, v129
	s_delay_alu instid0(VALU_DEP_4) | instskip(SKIP_2) | instid1(VALU_DEP_4)
	v_cmp_gt_i32_e64 s3, s24, v139
	v_dual_mul_f32 v80, s19, v132 :: v_dual_mul_f32 v89, s19, v131
	v_mul_f32_e32 v98, s19, v114
	v_cndmask_b32_e32 v91, 0xff7fffff, v91, vcc_lo
	s_delay_alu instid0(VALU_DEP_4)
	v_cndmask_b32_e64 v90, 0xff7fffff, v90, s3
	v_dual_mul_f32 v78, s19, v134 :: v_dual_mul_f32 v79, s19, v133
	v_mul_f32_e32 v96, s19, v116
	v_cndmask_b32_e64 v89, 0xff7fffff, v89, s4
	v_cndmask_b32_e64 v80, 0xff7fffff, v80, s5
	v_max3_f32 v90, v91, 0xff7fffff, v90
	v_cmp_gt_i32_e64 s6, s24, v142
	v_cmp_gt_i32_e64 s7, s24, v81
	v_or_b32_e32 v84, 16, v138
	v_or_b32_e32 v85, 18, v138
	v_dual_mul_f32 v76, s19, v136 :: v_dual_mul_f32 v77, s19, v135
	v_mul_f32_e32 v94, s19, v118
	v_cndmask_b32_e64 v79, 0xff7fffff, v79, s6
	v_cndmask_b32_e64 v78, 0xff7fffff, v78, s7
	v_max3_f32 v80, v90, v89, v80
	v_cmp_gt_i32_e64 s8, s24, v82
	v_cmp_gt_i32_e64 s9, s24, v83
	v_or_b32_e32 v86, 20, v138
	v_or_b32_e32 v87, 22, v138
	v_mul_f32_e32 v99, s19, v113
	v_cndmask_b32_e64 v77, 0xff7fffff, v77, s8
	v_cndmask_b32_e64 v76, 0xff7fffff, v76, s9
	v_max3_f32 v78, v80, v79, v78
	v_cmp_gt_i32_e64 s10, s24, v84
	v_cmp_gt_i32_e64 s11, s24, v85
	v_or_b32_e32 v88, 24, v138
	v_or_b32_e32 v73, 26, v138
	;; [unrolled: 8-line block ×3, first 2 shown]
	v_mul_f32_e32 v95, s19, v117
	v_cndmask_b32_e64 v77, 0xff7fffff, v97, s12
	v_cndmask_b32_e64 v78, 0xff7fffff, v96, s13
	v_max3_f32 v76, v76, v79, v80
	v_cmp_gt_i32_e64 s15, s24, v88
	v_cmp_gt_i32_e64 s16, s24, v73
	v_mul_f32_e32 v93, s19, v119
	v_cmp_gt_i32_e64 s17, s24, v74
	v_max3_f32 v76, v76, v77, v78
	v_cndmask_b32_e64 v79, 0xff7fffff, v95, s15
	v_cndmask_b32_e64 v73, 0xff7fffff, v94, s16
	v_cmp_gt_i32_e64 s18, s24, v75
	v_cndmask_b32_e64 v74, 0xff7fffff, v93, s17
	s_delay_alu instid0(VALU_DEP_3) | instskip(NEXT) | instid1(VALU_DEP_3)
	v_max3_f32 v73, v76, v79, v73
	v_cndmask_b32_e64 v75, 0xff7fffff, v92, s18
	v_lshlrev_b32_e32 v76, 2, v137
	s_delay_alu instid0(VALU_DEP_2) | instskip(SKIP_3) | instid1(VALU_DEP_1)
	v_max3_f32 v73, v73, v74, v75
	ds_bpermute_b32 v74, v76, v73
	s_waitcnt lgkmcnt(0)
	v_max_f32_e32 v74, v74, v74
	v_max_f32_e32 v73, v73, v74
	s_delay_alu instid0(VALU_DEP_1)
	v_fma_f32 v78, s19, v132, -v73
	v_fma_f32 v74, s19, v129, -v73
	;; [unrolled: 1-line block ×5, first 2 shown]
	v_mul_f32_e32 v78, 0x3fb8aa3b, v78
	v_mul_f32_e32 v74, 0x3fb8aa3b, v74
	s_delay_alu instid0(VALU_DEP_4) | instskip(SKIP_1) | instid1(VALU_DEP_4)
	v_dual_mul_f32 v80, 0x3fb8aa3b, v80 :: v_dual_mul_f32 v83, 0x3fb8aa3b, v83
	v_fma_f32 v77, s19, v131, -v73
	v_exp_f32_e32 v82, v78
	s_delay_alu instid0(VALU_DEP_3) | instskip(NEXT) | instid1(VALU_DEP_2)
	v_exp_f32_e32 v74, v74
	v_exp_f32_e32 v84, v80
	;; [unrolled: 1-line block ×3, first 2 shown]
	v_mul_f32_e32 v77, 0x3fb8aa3b, v77
	s_delay_alu instid0(VALU_DEP_1)
	v_exp_f32_e32 v77, v77
	v_cndmask_b32_e64 v80, 0, v82, s5
	v_fma_f32 v82, s19, v113, -v73
	v_mul_f32_e32 v75, 0x3fb8aa3b, v75
	s_waitcnt_depctr 0xfff
	v_cndmask_b32_e64 v85, 0, v85, s8
	v_cndmask_b32_e32 v79, 0, v74, vcc_lo
	v_fma_f32 v74, s19, v134, -v73
	v_mul_f32_e32 v86, 0x3fb8aa3b, v82
	v_exp_f32_e32 v75, v75
	v_cndmask_b32_e64 v83, 0, v84, s6
	v_cndmask_b32_e64 v81, 0, v77, s4
	v_mul_f32_e32 v74, 0x3fb8aa3b, v74
	v_exp_f32_e32 v86, v86
	s_delay_alu instid0(VALU_DEP_1) | instskip(NEXT) | instid1(TRANS32_DEP_3)
	v_exp_f32_e32 v74, v74
	v_cndmask_b32_e64 v78, 0, v75, s3
	v_add_f32_e32 v75, 0, v79
	s_mov_b32 s3, exec_lo
	s_delay_alu instid0(VALU_DEP_1) | instskip(SKIP_3) | instid1(VALU_DEP_1)
	v_add_f32_e32 v75, v75, v78
	s_waitcnt_depctr 0xfff
	v_cndmask_b32_e64 v82, 0, v74, s7
	v_add_f32_e32 v75, v75, v81
	v_add_f32_e32 v75, v75, v80
	s_delay_alu instid0(VALU_DEP_1)
	v_add_f32_e32 v74, v75, v83
	v_fma_f32 v90, s19, v118, -v73
	v_fma_f32 v84, s19, v114, -v73
	;; [unrolled: 1-line block ×5, first 2 shown]
	v_mul_f32_e32 v90, 0x3fb8aa3b, v90
	v_mul_f32_e32 v84, 0x3fb8aa3b, v84
	s_delay_alu instid0(VALU_DEP_4) | instskip(SKIP_1) | instid1(VALU_DEP_4)
	v_dual_add_f32 v74, v74, v82 :: v_dual_mul_f32 v89, 0x3fb8aa3b, v87
	v_cndmask_b32_e64 v87, 0, v86, s10
	v_exp_f32_e32 v90, v90
	s_delay_alu instid0(VALU_DEP_3) | instskip(NEXT) | instid1(VALU_DEP_2)
	v_exp_f32_e32 v88, v84
	v_add_f32_e32 v74, v74, v85
	v_exp_f32_e32 v91, v89
	v_fma_f32 v92, s19, v120, -v73
	s_delay_alu instid0(TRANS32_DEP_3)
	v_cndmask_b32_e64 v90, 0, v90, s16
	v_mul_f32_e32 v75, 0x3fb8aa3b, v75
	s_waitcnt_depctr 0xfff
	v_cndmask_b32_e64 v86, 0, v88, s11
	v_fma_f32 v88, s19, v119, -v73
	v_exp_f32_e32 v75, v75
	s_waitcnt_depctr 0xfff
	v_cndmask_b32_e64 v89, 0, v75, s12
	v_mul_f32_e32 v75, 0x3fb8aa3b, v88
	v_cndmask_b32_e64 v88, 0, v91, s13
	v_mul_f32_e32 v77, 0x3fb8aa3b, v77
	s_delay_alu instid0(VALU_DEP_3) | instskip(NEXT) | instid1(VALU_DEP_1)
	v_exp_f32_e32 v75, v75
	v_exp_f32_e32 v77, v77
	s_waitcnt_depctr 0xfff
	v_cndmask_b32_e64 v93, 0, v75, s17
	v_cndmask_b32_e64 v84, 0, v77, s9
	v_fma_f32 v77, s19, v117, -v73
	s_delay_alu instid0(VALU_DEP_2) | instskip(NEXT) | instid1(VALU_DEP_1)
	v_add_f32_e32 v74, v74, v84
	v_add_f32_e32 v74, v74, v87
	s_delay_alu instid0(VALU_DEP_1) | instskip(NEXT) | instid1(VALU_DEP_1)
	v_add_f32_e32 v74, v74, v86
	v_add_f32_e32 v74, v74, v89
	s_delay_alu instid0(VALU_DEP_1) | instskip(NEXT) | instid1(VALU_DEP_1)
	v_dual_add_f32 v74, v74, v88 :: v_dual_mul_f32 v77, 0x3fb8aa3b, v77
	v_exp_f32_e32 v77, v77
	s_waitcnt_depctr 0xfff
	v_cndmask_b32_e64 v91, 0, v77, s15
	s_delay_alu instid0(VALU_DEP_1) | instskip(NEXT) | instid1(VALU_DEP_1)
	v_dual_mul_f32 v77, 0x3fb8aa3b, v92 :: v_dual_add_f32 v74, v74, v91
	v_exp_f32_e32 v77, v77
	s_delay_alu instid0(VALU_DEP_1) | instskip(NEXT) | instid1(VALU_DEP_1)
	v_add_f32_e32 v74, v74, v90
	v_add_f32_e32 v74, v74, v93
	s_waitcnt_depctr 0xfff
	v_cndmask_b32_e64 v92, 0, v77, s18
	s_delay_alu instid0(VALU_DEP_1)
	v_add_f32_e32 v74, v74, v92
	ds_bpermute_b32 v75, v76, v74
	v_cmpx_gt_u32_e32 16, v71
	s_cbranch_execz .LBB1343_12
; %bb.11:
	v_mul_u32_u24_e32 v71, 0x44, v72
	s_waitcnt lgkmcnt(0)
	v_add_f32_e32 v74, v74, v75
	s_delay_alu instid0(VALU_DEP_2) | instskip(NEXT) | instid1(VALU_DEP_1)
	v_lshl_add_u32 v71, v70, 2, v71
	v_add_nc_u32_e32 v71, 0x4000, v71
	ds_store_2addr_b32 v71, v73, v74 offset1:136
.LBB1343_12:
	s_or_b32 exec_lo, exec_lo, s3
	v_lshlrev_b32_e32 v71, 2, v70
	s_load_b32 s35, s[0:1], 0x94
	s_waitcnt lgkmcnt(0)
	s_barrier
	buffer_gl0_inv
	v_add_nc_u32_e32 v71, 0x4000, v71
	v_cmp_eq_u32_e32 vcc_lo, 1, v72
	v_cmp_eq_u32_e64 s3, 2, v72
	v_cmp_eq_u32_e64 s4, 3, v72
	;; [unrolled: 1-line block ×3, first 2 shown]
	ds_load_2addr_b32 v[73:74], v71 offset1:17
	ds_load_2addr_b32 v[94:95], v71 offset0:34 offset1:51
	ds_load_2addr_b32 v[96:97], v71 offset0:68 offset1:85
	;; [unrolled: 1-line block ×3, first 2 shown]
	v_cmp_eq_u32_e64 s6, 5, v72
	v_cmp_eq_u32_e64 s7, 7, v72
	s_waitcnt lgkmcnt(3)
	v_max3_f32 v75, v73, 0xff7fffff, v74
	s_waitcnt lgkmcnt(2)
	s_delay_alu instid0(VALU_DEP_1) | instskip(SKIP_1) | instid1(VALU_DEP_1)
	v_max3_f32 v75, v75, v94, v95
	s_waitcnt lgkmcnt(1)
	v_max3_f32 v75, v75, v96, v97
	s_waitcnt lgkmcnt(0)
	s_delay_alu instid0(VALU_DEP_1) | instskip(NEXT) | instid1(VALU_DEP_1)
	v_max3_f32 v76, v75, v98, v99
	v_sub_f32_e32 v96, v96, v76
	ds_load_2addr_b32 v[100:101], v71 offset0:136 offset1:153
	v_sub_f32_e32 v73, v73, v76
	v_sub_f32_e32 v75, v74, v76
	;; [unrolled: 1-line block ×3, first 2 shown]
	v_mul_f32_e32 v105, 0x3fb8aa3b, v96
	s_delay_alu instid0(VALU_DEP_4)
	v_mul_f32_e32 v77, 0x3fb8aa3b, v73
	ds_load_2addr_b32 v[73:74], v71 offset0:170 offset1:187
	v_mul_f32_e32 v103, 0x3fb8aa3b, v94
	v_exp_f32_e32 v102, v77
	v_sub_f32_e32 v77, v95, v76
	ds_load_2addr_b32 v[94:95], v71 offset0:204 offset1:221
	v_exp_f32_e32 v103, v103
	v_mul_f32_e32 v104, 0x3fb8aa3b, v77
	s_waitcnt lgkmcnt(2)
	v_fma_f32 v77, v102, v100, 0
	v_dual_sub_f32 v100, v97, v76 :: v_dual_mul_f32 v75, 0x3fb8aa3b, v75
	ds_load_2addr_b32 v[96:97], v71 offset0:238 offset1:255
	v_sub_f32_e32 v71, v98, v76
	v_exp_f32_e32 v104, v104
	v_mul_f32_e32 v98, 0x3fb8aa3b, v100
	v_exp_f32_e32 v75, v75
	v_exp_f32_e32 v100, v105
	v_mul_f32_e32 v71, 0x3fb8aa3b, v71
	s_waitcnt lgkmcnt(0)
	v_exp_f32_e32 v98, v98
	s_barrier
	buffer_gl0_inv
	v_fmac_f32_e32 v77, v75, v101
	s_delay_alu instid0(VALU_DEP_1) | instskip(SKIP_2) | instid1(VALU_DEP_2)
	v_fmac_f32_e32 v77, v103, v73
	v_sub_f32_e32 v73, v99, v76
	v_exp_f32_e32 v99, v71
	v_fmac_f32_e32 v77, v104, v74
	s_delay_alu instid0(VALU_DEP_2) | instskip(NEXT) | instid1(VALU_DEP_2)
	v_dual_mul_f32 v73, 0x3fb8aa3b, v73 :: v_dual_lshlrev_b32 v74, 6, v70
	v_dual_fmac_f32 v77, v100, v94 :: v_dual_lshlrev_b32 v70, 2, v69
	s_delay_alu instid0(VALU_DEP_2) | instskip(SKIP_1) | instid1(VALU_DEP_3)
	v_exp_f32_e32 v94, v73
	v_cndmask_b32_e32 v73, v102, v75, vcc_lo
	v_lshl_or_b32 v75, v72, 11, v74
	s_delay_alu instid0(VALU_DEP_3) | instskip(SKIP_1) | instid1(VALU_DEP_3)
	v_cmp_eq_u32_e64 s8, 7, v70
	v_fmac_f32_e32 v77, v98, v95
	v_lshl_or_b32 v69, v69, 4, v75
	s_delay_alu instid0(VALU_DEP_2)
	v_fmac_f32_e32 v77, v99, v96
	s_delay_alu instid0(TRANS32_DEP_1) | instid1(VALU_DEP_1)
	v_fmac_f32_e32 v77, v94, v97
	s_delay_alu instid0(VALU_DEP_1) | instskip(NEXT) | instid1(VALU_DEP_1)
	v_add_f32_e32 v95, 0x358637bd, v77
	v_div_scale_f32 v96, null, v95, v95, 1.0
	v_div_scale_f32 v101, vcc_lo, 1.0, v95, 1.0
	s_delay_alu instid0(VALU_DEP_2) | instskip(SKIP_2) | instid1(VALU_DEP_1)
	v_rcp_f32_e32 v97, v96
	s_waitcnt_depctr 0xfff
	v_fma_f32 v71, -v96, v97, 1.0
	v_fmac_f32_e32 v97, v71, v97
	v_cndmask_b32_e64 v71, v73, v103, s3
	v_cmp_eq_u32_e64 s3, 6, v72
	v_or_b32_e32 v73, 1, v70
	v_or_b32_e32 v72, 3, v70
	v_mul_f32_e32 v102, v101, v97
	v_cndmask_b32_e64 v71, v71, v104, s4
	v_cmp_eq_u32_e64 s4, 1, v70
	v_cmp_eq_u32_e64 s9, 1, v73
	;; [unrolled: 1-line block ×3, first 2 shown]
	v_fma_f32 v103, -v96, v102, v101
	v_cndmask_b32_e64 v100, v71, v100, s5
	v_or_b32_e32 v71, 2, v70
	v_cmp_eq_u32_e64 s5, 2, v70
	v_cmp_eq_u32_e64 s12, 2, v73
	v_fmac_f32_e32 v102, v103, v97
	v_cndmask_b32_e64 v98, v100, v98, s6
	v_cmp_eq_u32_e64 s10, 1, v71
	v_cmp_eq_u32_e64 s15, 2, v71
	;; [unrolled: 1-line block ×3, first 2 shown]
	v_fma_f32 v96, -v96, v102, v101
	v_cndmask_b32_e64 v98, v98, v99, s3
	v_cmp_eq_u32_e64 s13, 3, v73
	v_cmp_eq_u32_e64 s18, 3, v72
	v_cmp_eq_u32_e64 s3, 4, v70
	v_div_fmas_f32 v96, v96, v97, v102
	v_cndmask_b32_e64 v94, v98, v94, s7
	v_cmp_eq_u32_e32 vcc_lo, 3, v70
	v_cmp_eq_u32_e64 s17, 3, v71
	v_cmp_eq_u32_e64 s19, 4, v73
	v_div_fixup_f32 v95, v96, v95, 1.0
	v_cmp_eq_u32_e64 s22, 4, v72
	v_cmp_eq_u32_e64 s6, 5, v70
	;; [unrolled: 1-line block ×4, first 2 shown]
	v_mul_f32_e32 v102, v94, v95
	v_cmp_eq_u32_e64 s24, 5, v72
	v_cmp_eq_u32_e64 s23, 5, v71
	;; [unrolled: 1-line block ×4, first 2 shown]
	v_fma_mixlo_f16 v94, v102, v79, 0
	v_fma_mixlo_f16 v95, v102, v81, 0
	;; [unrolled: 1-line block ×8, first 2 shown]
	v_fma_mixhi_f16 v94, v102, v78, 0
	v_fma_mixhi_f16 v95, v102, v80, 0
	;; [unrolled: 1-line block ×8, first 2 shown]
	ds_store_b128 v69, v[94:97]
	ds_store_b128 v69, v[98:101] offset:1024
	s_waitcnt lgkmcnt(0)
	s_barrier
	buffer_gl0_inv
	ds_load_b128 v[78:81], v75
	ds_load_b128 v[82:85], v75 offset:16
	ds_load_b128 v[86:89], v75 offset:1024
	;; [unrolled: 1-line block ×3, first 2 shown]
	v_cmp_eq_u32_e64 s7, 6, v70
	v_cmp_eq_u32_e64 s26, 6, v71
	;; [unrolled: 1-line block ×5, first 2 shown]
	s_waitcnt lgkmcnt(3)
	v_lshrrev_b32_e32 v94, 16, v78
	s_waitcnt lgkmcnt(2)
	v_lshrrev_b32_e32 v98, 16, v82
	;; [unrolled: 2-line block ×4, first 2 shown]
	v_lshrrev_b32_e32 v95, 16, v79
	v_cndmask_b32_e64 v110, v78, v94, s4
	v_cndmask_b32_e64 v111, v82, v98, s4
	;; [unrolled: 1-line block ×8, first 2 shown]
	v_lshrrev_b32_e32 v99, 16, v83
	v_cndmask_b32_e64 v94, v86, v102, s4
	v_cndmask_b32_e64 v98, v90, v106, s4
	;; [unrolled: 1-line block ×15, first 2 shown]
	v_lshrrev_b32_e32 v103, 16, v87
	v_lshrrev_b32_e32 v107, 16, v91
	v_cndmask_b32_e64 v113, v115, v83, s15
	v_cndmask_b32_e64 v82, v94, v87, s5
	;; [unrolled: 1-line block ×7, first 2 shown]
	v_cndmask_b32_e32 v90, v102, v95, vcc_lo
	v_cndmask_b32_e32 v102, v106, v99, vcc_lo
	v_cndmask_b32_e64 v106, v110, v95, s13
	v_cndmask_b32_e64 v110, v111, v99, s13
	;; [unrolled: 1-line block ×4, first 2 shown]
	v_lshrrev_b32_e32 v96, 16, v80
	v_lshrrev_b32_e32 v100, 16, v84
	v_cndmask_b32_e64 v111, v112, v95, s17
	v_cndmask_b32_e64 v112, v113, v99, s17
	v_cndmask_b32_e32 v82, v82, v103, vcc_lo
	v_cndmask_b32_e32 v83, v83, v107, vcc_lo
	v_cndmask_b32_e64 v94, v94, v103, s13
	v_cndmask_b32_e64 v90, v90, v80, s3
	;; [unrolled: 1-line block ×7, first 2 shown]
	v_lshrrev_b32_e32 v104, 16, v88
	v_cndmask_b32_e64 v106, v111, v80, s21
	v_cndmask_b32_e64 v110, v112, v84, s21
	;; [unrolled: 1-line block ×11, first 2 shown]
	v_lshrrev_b32_e32 v97, 16, v81
	v_lshrrev_b32_e32 v101, 16, v85
	v_cndmask_b32_e64 v99, v106, v96, s23
	v_cndmask_b32_e64 v102, v110, v100, s23
	;; [unrolled: 1-line block ×7, first 2 shown]
	v_lshrrev_b32_e32 v105, 16, v89
	v_cndmask_b32_e64 v80, v80, v104, s6
	v_cndmask_b32_e64 v84, v84, v81, s7
	;; [unrolled: 1-line block ×16, first 2 shown]
	v_perm_b32 v81, v79, v78, 0x5040100
	v_perm_b32 v79, v95, v85, 0x5040100
	v_cndmask_b32_e64 v78, v119, v91, s15
	v_cndmask_b32_e64 v85, v117, v91, s12
	;; [unrolled: 1-line block ×3, first 2 shown]
	v_perm_b32 v80, v94, v90, 0x5040100
	v_cndmask_b32_e64 v90, v98, v103, s17
	v_cndmask_b32_e64 v86, v86, v103, s18
	;; [unrolled: 1-line block ×5, first 2 shown]
	v_lshrrev_b32_e32 v108, 16, v92
	v_cndmask_b32_e64 v90, v90, v88, s21
	v_cndmask_b32_e64 v86, v86, v88, s22
	;; [unrolled: 1-line block ×11, first 2 shown]
	v_lshrrev_b32_e32 v109, 16, v93
	v_cndmask_b32_e64 v82, v82, v93, s7
	v_cndmask_b32_e64 v88, v88, v89, s26
	;; [unrolled: 1-line block ×12, first 2 shown]
	v_perm_b32 v78, v84, v83, 0x5040100
	v_perm_b32 v85, v87, v86, 0x5040100
	;; [unrolled: 1-line block ×5, first 2 shown]
	s_lshl_b32 s8, s33, 1
	s_mov_b32 s3, exec_lo
	ds_store_b128 v69, v[78:81]
	ds_store_b128 v69, v[82:85] offset:1024
	v_cmpx_gt_u32_e32 2, v0
	s_cbranch_execz .LBB1343_14
; %bb.13:
	v_or_b32_e32 v78, s31, v0
	s_load_b128 s[4:7], s[0:1], 0x58
	s_delay_alu instid0(VALU_DEP_1) | instskip(NEXT) | instid1(VALU_DEP_1)
	v_mad_u64_u32 v[79:80], null, s8, s34, v[78:79]
	v_mad_u64_u32 v[80:81], null, v79, s35, s[14:15]
	s_delay_alu instid0(VALU_DEP_1) | instskip(NEXT) | instid1(VALU_DEP_1)
	v_ashrrev_i32_e32 v81, 31, v80
	v_lshlrev_b64 v[78:79], 2, v[80:81]
	s_waitcnt lgkmcnt(0)
	s_delay_alu instid0(VALU_DEP_1) | instskip(NEXT) | instid1(VALU_DEP_2)
	v_add_co_u32 v80, vcc_lo, s6, v78
	v_add_co_ci_u32_e32 v81, vcc_lo, s7, v79, vcc_lo
	v_add_co_u32 v78, vcc_lo, s4, v78
	v_add_co_ci_u32_e32 v79, vcc_lo, s5, v79, vcc_lo
	global_store_b32 v[80:81], v76, off
	global_store_b32 v[78:79], v77, off
.LBB1343_14:
	s_or_b32 exec_lo, exec_lo, s3
	s_waitcnt lgkmcnt(0)
	s_waitcnt_vscnt null, 0x0
	s_barrier
	buffer_gl0_inv
	ds_load_b128 v[84:87], v74
	ds_load_b128 v[88:91], v74 offset:16
	ds_load_b128 v[96:99], v74 offset:2064
	;; [unrolled: 1-line block ×5, first 2 shown]
	v_cmp_eq_u32_e32 vcc_lo, 1, v70
	v_mov_b32_e32 v76, 0
	ds_load_b128 v[112:115], v74 offset:6160
	ds_load_b128 v[108:111], v74 offset:6144
	;; [unrolled: 1-line block ×4, first 2 shown]
	v_cmp_eq_u32_e64 s4, 1, v71
	v_cmp_eq_u32_e64 s3, 1, v73
	;; [unrolled: 1-line block ×3, first 2 shown]
	v_mov_b32_e32 v77, v76
	v_mov_b32_e32 v78, v76
	;; [unrolled: 1-line block ×7, first 2 shown]
	v_cmp_eq_u32_e64 s6, 3, v73
	v_cmp_eq_u32_e64 s7, 7, v73
	s_waitcnt lgkmcnt(8)
	s_delay_alu instid0(VALU_DEP_3)
	v_wmma_f32_16x16x16_f16 v[76:83], v[49:56], v[84:91], v[76:83]
	ds_load_b128 v[53:56], v74 offset:10256
	ds_load_b128 v[49:52], v74 offset:10240
	s_waitcnt lgkmcnt(8)
	v_wmma_f32_16x16x16_f16 v[76:83], v[41:48], v[92:99], v[76:83]
	ds_load_b128 v[45:48], v74 offset:12304
	ds_load_b128 v[41:44], v74 offset:12288
	s_waitcnt lgkmcnt(8)
	v_wmma_f32_16x16x16_f16 v[76:83], v[33:40], v[100:107], v[76:83]
	ds_load_b128 v[37:40], v74 offset:14352
	ds_load_b128 v[33:36], v74 offset:14336
	s_waitcnt lgkmcnt(0)
	s_barrier
	buffer_gl0_inv
	v_wmma_f32_16x16x16_f16 v[76:83], v[1:8], v[108:115], v[76:83]
	s_delay_alu instid0(VALU_DEP_1) | instskip(NEXT) | instid1(VALU_DEP_1)
	v_wmma_f32_16x16x16_f16 v[76:83], v[9:16], v[116:123], v[76:83]
	v_wmma_f32_16x16x16_f16 v[76:83], v[17:24], v[49:56], v[76:83]
	s_delay_alu instid0(VALU_DEP_1) | instskip(NEXT) | instid1(VALU_DEP_1)
	v_wmma_f32_16x16x16_f16 v[76:83], v[25:32], v[41:48], v[76:83]
	v_wmma_f32_16x16x16_f16 v[76:83], v[57:64], v[33:40], v[76:83]
	s_delay_alu instid0(VALU_DEP_1) | instskip(NEXT) | instid1(VALU_DEP_2)
	v_cvt_f16_f32_e32 v1, v76
	v_cvt_f16_f32_e32 v2, v77
	s_delay_alu instid0(VALU_DEP_3) | instskip(NEXT) | instid1(VALU_DEP_4)
	v_cvt_f16_f32_e32 v3, v78
	v_cvt_f16_f32_e32 v4, v79
	;; [unrolled: 1-line block ×6, first 2 shown]
	v_pack_b32_f16 v1, v1, v2
	v_pack_b32_f16 v2, v3, v4
	;; [unrolled: 1-line block ×3, first 2 shown]
	s_delay_alu instid0(VALU_DEP_4)
	v_pack_b32_f16 v4, v7, v8
	ds_store_b128 v69, v[1:4]
	s_waitcnt lgkmcnt(0)
	s_barrier
	buffer_gl0_inv
	ds_load_b128 v[1:4], v75
	ds_load_b128 v[5:8], v75 offset:16
	s_waitcnt lgkmcnt(1)
	v_lshrrev_b32_e32 v9, 16, v1
	s_waitcnt lgkmcnt(0)
	v_lshrrev_b32_e32 v13, 16, v5
	v_lshrrev_b32_e32 v10, 16, v2
	;; [unrolled: 1-line block ×4, first 2 shown]
	v_cndmask_b32_e32 v17, v1, v9, vcc_lo
	v_cndmask_b32_e32 v18, v5, v13, vcc_lo
	v_cndmask_b32_e64 v21, v1, v9, s4
	v_cmp_eq_u32_e32 vcc_lo, 1, v72
	v_cndmask_b32_e64 v22, v5, v13, s4
	v_cmp_eq_u32_e64 s4, 2, v70
	v_cndmask_b32_e64 v19, v1, v9, s3
	v_cndmask_b32_e64 v20, v5, v13, s3
	v_cndmask_b32_e32 v1, v1, v9, vcc_lo
	v_cmp_eq_u32_e64 s3, 2, v72
	v_cndmask_b32_e32 v5, v5, v13, vcc_lo
	v_cndmask_b32_e64 v9, v17, v2, s4
	v_cmp_eq_u32_e32 vcc_lo, 3, v70
	v_cndmask_b32_e64 v13, v18, v6, s4
	v_cmp_eq_u32_e64 s4, 2, v71
	v_cndmask_b32_e64 v17, v19, v2, s5
	v_cndmask_b32_e64 v18, v20, v6, s5
	v_cmp_eq_u32_e64 s5, 3, v71
	v_cndmask_b32_e64 v1, v1, v2, s3
	v_cndmask_b32_e64 v19, v21, v2, s4
	;; [unrolled: 1-line block ×4, first 2 shown]
	v_cndmask_b32_e32 v5, v9, v10, vcc_lo
	v_cndmask_b32_e32 v6, v13, v14, vcc_lo
	v_cmp_eq_u32_e32 vcc_lo, 3, v72
	v_cndmask_b32_e64 v9, v17, v10, s6
	v_cndmask_b32_e64 v13, v18, v14, s6
	v_cndmask_b32_e64 v18, v20, v14, s5
	v_cmp_eq_u32_e64 s4, 4, v70
	v_cndmask_b32_e32 v1, v1, v10, vcc_lo
	v_cndmask_b32_e32 v2, v2, v14, vcc_lo
	v_cmp_eq_u32_e32 vcc_lo, 4, v73
	v_lshrrev_b32_e32 v15, 16, v7
	v_lshrrev_b32_e32 v16, 16, v8
	v_cndmask_b32_e64 v17, v19, v10, s5
	v_cmp_eq_u32_e64 s3, 4, v72
	v_cndmask_b32_e64 v5, v5, v3, s4
	v_cndmask_b32_e64 v6, v6, v7, s4
	v_cndmask_b32_e32 v9, v9, v3, vcc_lo
	v_cmp_eq_u32_e64 s4, 5, v73
	v_cndmask_b32_e32 v10, v13, v7, vcc_lo
	v_cmp_eq_u32_e32 vcc_lo, 4, v71
	v_cmp_eq_u32_e64 s5, 5, v70
	v_cndmask_b32_e64 v2, v2, v7, s3
	v_cndmask_b32_e64 v9, v9, v11, s4
	;; [unrolled: 1-line block ×3, first 2 shown]
	v_cndmask_b32_e32 v13, v17, v3, vcc_lo
	v_cmp_eq_u32_e64 s4, 5, v71
	v_cndmask_b32_e32 v14, v18, v7, vcc_lo
	v_cndmask_b32_e64 v1, v1, v3, s3
	v_cmp_eq_u32_e32 vcc_lo, 5, v72
	v_lshrrev_b32_e32 v12, 16, v4
	v_cndmask_b32_e64 v13, v13, v11, s4
	v_cndmask_b32_e64 v3, v14, v15, s4
	v_cmp_eq_u32_e64 s4, 6, v72
	v_cndmask_b32_e32 v1, v1, v11, vcc_lo
	v_cndmask_b32_e64 v5, v5, v11, s5
	v_cmp_eq_u32_e64 s6, 6, v70
	v_cndmask_b32_e64 v6, v6, v15, s5
	v_cmp_eq_u32_e64 s5, 6, v73
	v_cmp_eq_u32_e64 s3, 6, v71
	v_cndmask_b32_e64 v1, v1, v4, s4
	v_cndmask_b32_e32 v2, v2, v15, vcc_lo
	v_cmp_eq_u32_e32 vcc_lo, 7, v72
	v_cndmask_b32_e64 v5, v5, v4, s6
	v_cndmask_b32_e64 v9, v9, v4, s5
	;; [unrolled: 1-line block ×3, first 2 shown]
	v_cmp_eq_u32_e64 s6, 7, v70
	v_cndmask_b32_e32 v1, v1, v12, vcc_lo
	v_cndmask_b32_e64 v7, v13, v4, s3
	v_cndmask_b32_e64 v3, v3, v8, s3
	;; [unrolled: 1-line block ×3, first 2 shown]
	v_cmp_eq_u32_e64 s3, 7, v71
	v_cndmask_b32_e64 v4, v10, v8, s5
	v_cndmask_b32_e64 v5, v5, v12, s6
	v_cndmask_b32_e64 v9, v9, v12, s7
	v_cndmask_b32_e32 v2, v2, v16, vcc_lo
	v_cndmask_b32_e64 v7, v7, v12, s3
	v_cndmask_b32_e64 v3, v3, v16, s3
	;; [unrolled: 1-line block ×4, first 2 shown]
	v_perm_b32 v4, v2, v1, 0x5040100
	s_delay_alu instid0(VALU_DEP_4) | instskip(NEXT) | instid1(VALU_DEP_4)
	v_perm_b32 v3, v3, v7, 0x5040100
	v_perm_b32 v2, v8, v9, 0x5040100
	s_delay_alu instid0(VALU_DEP_4)
	v_perm_b32 v1, v6, v5, 0x5040100
	ds_store_b128 v69, v[1:4]
	s_waitcnt lgkmcnt(0)
	s_barrier
	buffer_gl0_inv
	s_and_saveexec_b32 s3, s2
	s_cbranch_execz .LBB1343_2
; %bb.15:
	s_load_b64 s[0:1], s[0:1], 0x68
	v_lshlrev_b32_e32 v0, 10, v0
	s_lshl_b32 s2, s35, 7
	v_lshlrev_b32_e32 v1, 4, v68
	v_mul_lo_u32 v4, s2, v67
	s_mul_i32 s3, s2, s34
	v_and_b32_e32 v0, 0x3800, v0
	s_mul_i32 s2, s3, s8
	s_delay_alu instid0(SALU_CYCLE_1) | instskip(NEXT) | instid1(VALU_DEP_1)
	s_ashr_i32 s3, s2, 31
	v_or3_b32 v0, v0, v66, v1
	s_lshl_b64 s[2:3], s[2:3], 1
	s_delay_alu instid0(VALU_DEP_3)
	v_ashrrev_i32_e32 v5, 31, v4
	ds_load_b128 v[0:3], v0
	v_lshlrev_b64 v[4:5], 1, v[4:5]
	s_waitcnt lgkmcnt(0)
	s_add_u32 s2, s0, s2
	s_addc_u32 s3, s1, s3
	s_lshl_b32 s0, s14, 7
	s_delay_alu instid0(SALU_CYCLE_1) | instskip(NEXT) | instid1(SALU_CYCLE_1)
	s_ashr_i32 s1, s0, 31
	s_lshl_b64 s[0:1], s[0:1], 1
	s_delay_alu instid0(SALU_CYCLE_1) | instskip(SKIP_3) | instid1(VALU_DEP_2)
	s_add_u32 s0, s2, s0
	s_addc_u32 s1, s3, s1
	v_add_co_u32 v4, vcc_lo, s0, v4
	v_add_co_ci_u32_e32 v5, vcc_lo, s1, v5, vcc_lo
	v_add_co_u32 v4, vcc_lo, v4, v65
	s_delay_alu instid0(VALU_DEP_2)
	v_add_co_ci_u32_e32 v5, vcc_lo, 0, v5, vcc_lo
	global_store_b128 v[4:5], v[0:3], off
	s_nop 0
	s_sendmsg sendmsg(MSG_DEALLOC_VGPRS)
	s_endpgm
	.section	.rodata,"a",@progbits
	.p2align	6, 0x0
	.amdhsa_kernel _Z39paged_attention_ll4mi_QKV_mfma16_kernelIDF16_hLN4vllm18Fp8KVCacheDataTypeE1EDF16_Li32ELi128ELi256ELb0ELi2EL8MFMAType0EEvPKT_PKT0_S8_ifPKiSA_SA_iPKfiiiPfSD_PS3_PT2_iSC_SC_
		.amdhsa_group_segment_fixed_size 17472
		.amdhsa_private_segment_fixed_size 0
		.amdhsa_kernarg_size 400
		.amdhsa_user_sgpr_count 13
		.amdhsa_user_sgpr_dispatch_ptr 0
		.amdhsa_user_sgpr_queue_ptr 0
		.amdhsa_user_sgpr_kernarg_segment_ptr 1
		.amdhsa_user_sgpr_dispatch_id 0
		.amdhsa_user_sgpr_private_segment_size 0
		.amdhsa_wavefront_size32 1
		.amdhsa_uses_dynamic_stack 0
		.amdhsa_enable_private_segment 0
		.amdhsa_system_sgpr_workgroup_id_x 1
		.amdhsa_system_sgpr_workgroup_id_y 1
		.amdhsa_system_sgpr_workgroup_id_z 1
		.amdhsa_system_sgpr_workgroup_info 0
		.amdhsa_system_vgpr_workitem_id 0
		.amdhsa_next_free_vgpr 146
		.amdhsa_next_free_sgpr 39
		.amdhsa_reserve_vcc 1
		.amdhsa_float_round_mode_32 0
		.amdhsa_float_round_mode_16_64 0
		.amdhsa_float_denorm_mode_32 3
		.amdhsa_float_denorm_mode_16_64 3
		.amdhsa_dx10_clamp 1
		.amdhsa_ieee_mode 1
		.amdhsa_fp16_overflow 0
		.amdhsa_workgroup_processor_mode 1
		.amdhsa_memory_ordered 1
		.amdhsa_forward_progress 0
		.amdhsa_shared_vgpr_count 0
		.amdhsa_exception_fp_ieee_invalid_op 0
		.amdhsa_exception_fp_denorm_src 0
		.amdhsa_exception_fp_ieee_div_zero 0
		.amdhsa_exception_fp_ieee_overflow 0
		.amdhsa_exception_fp_ieee_underflow 0
		.amdhsa_exception_fp_ieee_inexact 0
		.amdhsa_exception_int_div_zero 0
	.end_amdhsa_kernel
	.section	.text._Z39paged_attention_ll4mi_QKV_mfma16_kernelIDF16_hLN4vllm18Fp8KVCacheDataTypeE1EDF16_Li32ELi128ELi256ELb0ELi2EL8MFMAType0EEvPKT_PKT0_S8_ifPKiSA_SA_iPKfiiiPfSD_PS3_PT2_iSC_SC_,"axG",@progbits,_Z39paged_attention_ll4mi_QKV_mfma16_kernelIDF16_hLN4vllm18Fp8KVCacheDataTypeE1EDF16_Li32ELi128ELi256ELb0ELi2EL8MFMAType0EEvPKT_PKT0_S8_ifPKiSA_SA_iPKfiiiPfSD_PS3_PT2_iSC_SC_,comdat
.Lfunc_end1343:
	.size	_Z39paged_attention_ll4mi_QKV_mfma16_kernelIDF16_hLN4vllm18Fp8KVCacheDataTypeE1EDF16_Li32ELi128ELi256ELb0ELi2EL8MFMAType0EEvPKT_PKT0_S8_ifPKiSA_SA_iPKfiiiPfSD_PS3_PT2_iSC_SC_, .Lfunc_end1343-_Z39paged_attention_ll4mi_QKV_mfma16_kernelIDF16_hLN4vllm18Fp8KVCacheDataTypeE1EDF16_Li32ELi128ELi256ELb0ELi2EL8MFMAType0EEvPKT_PKT0_S8_ifPKiSA_SA_iPKfiiiPfSD_PS3_PT2_iSC_SC_
                                        ; -- End function
	.section	.AMDGPU.csdata,"",@progbits
; Kernel info:
; codeLenInByte = 6456
; NumSgprs: 41
; NumVgprs: 146
; ScratchSize: 0
; MemoryBound: 0
; FloatMode: 240
; IeeeMode: 1
; LDSByteSize: 17472 bytes/workgroup (compile time only)
; SGPRBlocks: 5
; VGPRBlocks: 18
; NumSGPRsForWavesPerEU: 41
; NumVGPRsForWavesPerEU: 146
; Occupancy: 9
; WaveLimiterHint : 1
; COMPUTE_PGM_RSRC2:SCRATCH_EN: 0
; COMPUTE_PGM_RSRC2:USER_SGPR: 13
; COMPUTE_PGM_RSRC2:TRAP_HANDLER: 0
; COMPUTE_PGM_RSRC2:TGID_X_EN: 1
; COMPUTE_PGM_RSRC2:TGID_Y_EN: 1
; COMPUTE_PGM_RSRC2:TGID_Z_EN: 1
; COMPUTE_PGM_RSRC2:TIDIG_COMP_CNT: 0
	.section	.text._Z39paged_attention_ll4mi_QKV_mfma16_kernelIDF16_hLN4vllm18Fp8KVCacheDataTypeE1EDF16_Li32ELi128ELi256ELb0ELi3EL8MFMAType0EEvPKT_PKT0_S8_ifPKiSA_SA_iPKfiiiPfSD_PS3_PT2_iSC_SC_,"axG",@progbits,_Z39paged_attention_ll4mi_QKV_mfma16_kernelIDF16_hLN4vllm18Fp8KVCacheDataTypeE1EDF16_Li32ELi128ELi256ELb0ELi3EL8MFMAType0EEvPKT_PKT0_S8_ifPKiSA_SA_iPKfiiiPfSD_PS3_PT2_iSC_SC_,comdat
	.protected	_Z39paged_attention_ll4mi_QKV_mfma16_kernelIDF16_hLN4vllm18Fp8KVCacheDataTypeE1EDF16_Li32ELi128ELi256ELb0ELi3EL8MFMAType0EEvPKT_PKT0_S8_ifPKiSA_SA_iPKfiiiPfSD_PS3_PT2_iSC_SC_ ; -- Begin function _Z39paged_attention_ll4mi_QKV_mfma16_kernelIDF16_hLN4vllm18Fp8KVCacheDataTypeE1EDF16_Li32ELi128ELi256ELb0ELi3EL8MFMAType0EEvPKT_PKT0_S8_ifPKiSA_SA_iPKfiiiPfSD_PS3_PT2_iSC_SC_
	.globl	_Z39paged_attention_ll4mi_QKV_mfma16_kernelIDF16_hLN4vllm18Fp8KVCacheDataTypeE1EDF16_Li32ELi128ELi256ELb0ELi3EL8MFMAType0EEvPKT_PKT0_S8_ifPKiSA_SA_iPKfiiiPfSD_PS3_PT2_iSC_SC_
	.p2align	8
	.type	_Z39paged_attention_ll4mi_QKV_mfma16_kernelIDF16_hLN4vllm18Fp8KVCacheDataTypeE1EDF16_Li32ELi128ELi256ELb0ELi3EL8MFMAType0EEvPKT_PKT0_S8_ifPKiSA_SA_iPKfiiiPfSD_PS3_PT2_iSC_SC_,@function
_Z39paged_attention_ll4mi_QKV_mfma16_kernelIDF16_hLN4vllm18Fp8KVCacheDataTypeE1EDF16_Li32ELi128ELi256ELb0ELi3EL8MFMAType0EEvPKT_PKT0_S8_ifPKiSA_SA_iPKfiiiPfSD_PS3_PT2_iSC_SC_: ; @_Z39paged_attention_ll4mi_QKV_mfma16_kernelIDF16_hLN4vllm18Fp8KVCacheDataTypeE1EDF16_Li32ELi128ELi256ELb0ELi3EL8MFMAType0EEvPKT_PKT0_S8_ifPKiSA_SA_iPKfiiiPfSD_PS3_PT2_iSC_SC_
; %bb.0:
	s_load_b64 s[4:5], s[0:1], 0x30
	s_mov_b32 s34, s13
	s_waitcnt lgkmcnt(0)
	s_cmp_lg_u64 s[4:5], 0
	s_cselect_b32 s8, -1, 0
	s_ashr_i32 s35, s13, 31
	s_cmp_eq_u64 s[4:5], 0
	s_cbranch_scc1 .LBB1344_3
; %bb.1:
	s_lshl_b64 s[2:3], s[34:35], 2
	s_delay_alu instid0(SALU_CYCLE_1) | instskip(SKIP_4) | instid1(SALU_CYCLE_1)
	s_add_u32 s2, s4, s2
	s_addc_u32 s3, s5, s3
	s_load_b64 s[2:3], s[2:3], 0x0
	s_waitcnt lgkmcnt(0)
	s_sub_i32 s2, s3, s2
	s_cmp_eq_u32 s2, 1
	s_cselect_b32 s2, -1, 0
	s_delay_alu instid0(SALU_CYCLE_1)
	s_and_not1_b32 vcc_lo, exec_lo, s2
	s_cbranch_vccz .LBB1344_4
.LBB1344_2:
	s_nop 0
	s_sendmsg sendmsg(MSG_DEALLOC_VGPRS)
	s_endpgm
.LBB1344_3:
.LBB1344_4:
	s_load_b64 s[2:3], s[0:1], 0x28
	s_lshl_b64 s[6:7], s[34:35], 2
	s_waitcnt lgkmcnt(0)
	s_add_u32 s2, s2, s6
	s_addc_u32 s3, s3, s7
	s_lshl_b32 s12, s14, 8
	s_load_b32 s24, s[2:3], 0x0
	s_waitcnt lgkmcnt(0)
	s_cmp_ge_i32 s12, s24
	s_cbranch_scc1 .LBB1344_2
; %bb.5:
	s_clause 0x1
	s_load_b128 s[20:23], s[0:1], 0x8
	s_load_b64 s[2:3], s[0:1], 0x20
	s_and_not1_b32 vcc_lo, exec_lo, s8
	s_cbranch_vccnz .LBB1344_7
; %bb.6:
	s_add_u32 s4, s4, s6
	s_addc_u32 s5, s5, s7
	s_load_b32 s5, s[4:5], 0x0
	s_branch .LBB1344_8
.LBB1344_7:
	s_mov_b32 s5, s34
.LBB1344_8:
	s_load_b128 s[16:19], s[0:1], 0x48
	v_and_b32_e32 v68, 15, v0
	v_lshrrev_b32_e32 v69, 5, v0
	v_bfe_u32 v66, v0, 4, 1
	v_and_b32_e32 v70, 31, v0
	v_and_b32_e32 v67, 1, v0
	v_lshlrev_b32_e32 v2, 3, v68
	s_mul_i32 s31, s15, 3
	v_lshl_or_b32 v1, v69, 1, v66
	s_mov_b32 s4, exec_lo
	s_delay_alu instid0(VALU_DEP_2) | instskip(NEXT) | instid1(VALU_DEP_2)
	v_lshlrev_b32_e32 v65, 1, v2
	v_cmpx_gt_u32_e32 3, v1
	s_cbranch_execz .LBB1344_10
; %bb.9:
	s_load_b64 s[6:7], s[0:1], 0x0
	v_add_lshl_u32 v2, v1, s31, 7
	s_waitcnt lgkmcnt(0)
	s_mul_hi_i32 s9, s5, s16
	s_mul_i32 s8, s5, s16
	v_lshlrev_b32_e32 v6, 10, v68
	s_lshl_b64 s[8:9], s[8:9], 1
	v_ashrrev_i32_e32 v3, 31, v2
	v_lshlrev_b32_e32 v1, 6, v1
	v_lshlrev_b32_e32 v7, 10, v67
	v_and_b32_e32 v6, 0x3800, v6
	s_delay_alu instid0(VALU_DEP_4) | instskip(NEXT) | instid1(VALU_DEP_2)
	v_lshlrev_b64 v[2:3], 1, v[2:3]
	v_or3_b32 v1, v6, v7, v1
	s_add_u32 s5, s6, s8
	s_addc_u32 s6, s7, s9
	s_delay_alu instid0(VALU_DEP_2) | instskip(NEXT) | instid1(VALU_DEP_3)
	v_add_co_u32 v2, vcc_lo, s5, v2
	v_add_co_ci_u32_e32 v3, vcc_lo, s6, v3, vcc_lo
	s_delay_alu instid0(VALU_DEP_2) | instskip(NEXT) | instid1(VALU_DEP_2)
	v_add_co_u32 v2, vcc_lo, v2, v65
	v_add_co_ci_u32_e32 v3, vcc_lo, 0, v3, vcc_lo
	global_load_b128 v[2:5], v[2:3], off
	s_waitcnt vmcnt(0)
	ds_store_b128 v1, v[2:5]
.LBB1344_10:
	s_or_b32 exec_lo, exec_lo, s4
	v_and_b32_e32 v1, 0xef, v0
	s_waitcnt lgkmcnt(0)
	s_add_i32 s5, s24, 31
	s_clause 0x1
	s_load_b32 s4, s[0:1], 0x38
	s_load_b32 s33, s[0:1], 0x98
	s_ashr_i32 s6, s5, 31
	v_add_nc_u32_e32 v1, s12, v1
	s_lshr_b32 s6, s6, 27
	s_load_b32 s19, s[0:1], 0x1c
	s_add_i32 s5, s5, s6
	s_waitcnt lgkmcnt(0)
	v_ashrrev_i32_e32 v2, 31, v1
	v_or_b32_e32 v3, 16, v1
	s_ashr_i32 s13, s5, 5
	v_cmp_gt_i32_e32 vcc_lo, s24, v1
	s_add_i32 s13, s13, -1
	v_lshrrev_b32_e32 v2, 27, v2
	s_barrier
	buffer_gl0_inv
	s_mul_i32 s15, s15, s18
	v_add_nc_u32_e32 v4, v1, v2
	s_mul_i32 s4, s34, s4
	s_delay_alu instid0(SALU_CYCLE_1) | instskip(NEXT) | instid1(VALU_DEP_1)
	s_ashr_i32 s5, s4, 31
	v_ashrrev_i32_e32 v4, 5, v4
	v_add_nc_u32_e32 v2, v3, v2
	s_lshl_b64 s[4:5], s[4:5], 2
	s_delay_alu instid0(SALU_CYCLE_1) | instskip(NEXT) | instid1(VALU_DEP_2)
	s_add_u32 s16, s2, s4
	v_cndmask_b32_e32 v1, s13, v4, vcc_lo
	s_delay_alu instid0(VALU_DEP_2)
	v_ashrrev_i32_e32 v2, 5, v2
	v_cmp_gt_i32_e32 vcc_lo, s24, v3
	s_addc_u32 s25, s3, s5
	s_ashr_i32 s18, s15, 31
	s_add_u32 s2, s20, s15
	s_addc_u32 s3, s21, s18
	v_cndmask_b32_e32 v3, s13, v2, vcc_lo
	v_ashrrev_i32_e32 v2, 31, v1
	s_lshl_b32 s4, s14, 3
	s_delay_alu instid0(SALU_CYCLE_1) | instskip(NEXT) | instid1(VALU_DEP_2)
	s_ashr_i32 s5, s4, 31
	v_ashrrev_i32_e32 v4, 31, v3
	s_delay_alu instid0(VALU_DEP_2) | instskip(SKIP_1) | instid1(SALU_CYCLE_1)
	v_lshlrev_b64 v[1:2], 2, v[1:2]
	s_lshl_b64 s[4:5], s[4:5], 2
	s_add_u32 s4, s16, s4
	s_delay_alu instid0(VALU_DEP_2) | instskip(SKIP_1) | instid1(VALU_DEP_2)
	v_lshlrev_b64 v[3:4], 2, v[3:4]
	s_addc_u32 s5, s25, s5
	v_add_co_u32 v1, vcc_lo, s16, v1
	v_add_co_ci_u32_e32 v2, vcc_lo, s25, v2, vcc_lo
	s_delay_alu instid0(VALU_DEP_3) | instskip(NEXT) | instid1(VALU_DEP_4)
	v_add_co_u32 v3, vcc_lo, s16, v3
	v_add_co_ci_u32_e32 v4, vcc_lo, s25, v4, vcc_lo
	s_clause 0x1
	global_load_b32 v5, v[1:2], off
	global_load_b32 v6, v[3:4], off
	s_or_b32 s6, s12, 32
	s_delay_alu instid0(SALU_CYCLE_1) | instskip(SKIP_2) | instid1(SALU_CYCLE_1)
	s_ashr_i32 s7, s6, 5
	s_cmp_lt_i32 s6, s24
	s_cselect_b32 s6, s7, s13
	s_ashr_i32 s7, s6, 31
	s_delay_alu instid0(SALU_CYCLE_1) | instskip(NEXT) | instid1(SALU_CYCLE_1)
	s_lshl_b64 s[6:7], s[6:7], 2
	s_add_u32 s6, s16, s6
	s_addc_u32 s7, s25, s7
	s_or_b32 s8, s12, 64
	s_delay_alu instid0(SALU_CYCLE_1) | instskip(SKIP_2) | instid1(SALU_CYCLE_1)
	s_ashr_i32 s9, s8, 5
	s_cmp_lt_i32 s8, s24
	s_cselect_b32 s8, s9, s13
	s_ashr_i32 s9, s8, 31
	s_delay_alu instid0(SALU_CYCLE_1) | instskip(NEXT) | instid1(SALU_CYCLE_1)
	s_lshl_b64 s[8:9], s[8:9], 2
	s_add_u32 s8, s16, s8
	s_addc_u32 s9, s25, s9
	;; [unrolled: 10-line block ×5, first 2 shown]
	s_clause 0x5
	s_load_b32 s28, s[4:5], 0x0
	s_load_b32 s29, s[6:7], 0x0
	;; [unrolled: 1-line block ×6, first 2 shown]
	s_mov_b32 s4, 0
	s_delay_alu instid0(SALU_CYCLE_1)
	s_mov_b32 s5, s4
	s_mov_b32 s6, s4
	;; [unrolled: 1-line block ×7, first 2 shown]
	s_delay_alu instid0(SALU_CYCLE_1)
	v_dual_mov_b32 v118, s11 :: v_dual_mov_b32 v117, s10
	v_dual_mov_b32 v116, s9 :: v_dual_mov_b32 v115, s8
	v_mov_b32_e32 v113, s6
	v_dual_mov_b32 v111, s4 :: v_dual_mov_b32 v114, s7
	v_mov_b32_e32 v112, s5
	s_waitcnt vmcnt(1)
	v_mad_i64_i32 v[1:2], null, v5, s17, s[2:3]
	v_lshlrev_b32_e32 v5, 4, v68
	s_waitcnt vmcnt(0)
	v_mad_i64_i32 v[3:4], null, v6, s17, s[2:3]
	s_or_b32 s2, s12, 0xc0
	s_delay_alu instid0(SALU_CYCLE_1) | instskip(NEXT) | instid1(VALU_DEP_3)
	s_ashr_i32 s3, s2, 5
	v_add_co_u32 v1, vcc_lo, v1, v5
	s_delay_alu instid0(VALU_DEP_4) | instskip(NEXT) | instid1(VALU_DEP_3)
	v_add_co_ci_u32_e32 v2, vcc_lo, 0, v2, vcc_lo
	v_add_co_u32 v3, vcc_lo, v3, v5
	s_delay_alu instid0(VALU_DEP_4)
	v_add_co_ci_u32_e32 v4, vcc_lo, 0, v4, vcc_lo
	s_clause 0xf
	global_load_b128 v[17:20], v[1:2], off
	global_load_b128 v[21:24], v[1:2], off offset:512
	global_load_b128 v[25:28], v[3:4], off offset:256
	;; [unrolled: 1-line block ×15, first 2 shown]
	v_mul_lo_u16 v1, 0x56, v68
	s_cmp_lt_i32 s2, s24
	v_lshlrev_b32_e32 v2, 5, v68
	s_cselect_b32 s2, s3, s13
	s_delay_alu instid0(VALU_DEP_2) | instskip(SKIP_1) | instid1(SALU_CYCLE_1)
	v_lshrrev_b16 v1, 8, v1
	s_ashr_i32 s3, s2, 31
	s_lshl_b64 s[2:3], s[2:3], 2
	s_delay_alu instid0(VALU_DEP_1) | instskip(SKIP_3) | instid1(VALU_DEP_1)
	v_mul_lo_u16 v1, v1, 3
	s_add_u32 s2, s16, s2
	s_addc_u32 s3, s25, s3
	s_or_b32 s20, s12, 0xe0
	v_sub_nc_u16 v1, v68, v1
	s_ashr_i32 s21, s20, 5
	s_cmp_lt_i32 s20, s24
	s_cselect_b32 s20, s21, s13
	s_delay_alu instid0(VALU_DEP_1) | instskip(SKIP_1) | instid1(SALU_CYCLE_1)
	v_and_b32_e32 v1, 0xff, v1
	s_ashr_i32 s21, s20, 31
	s_lshl_b64 s[4:5], s[20:21], 2
	s_delay_alu instid0(VALU_DEP_1)
	v_lshlrev_b32_e32 v149, 6, v1
	s_add_u32 s4, s16, s4
	s_addc_u32 s5, s25, s5
	v_lshl_or_b32 v1, v69, 9, v2
	ds_load_b128 v[119:122], v149
	ds_load_b128 v[123:126], v149 offset:1024
	ds_load_b128 v[127:130], v149 offset:2048
	;; [unrolled: 1-line block ×3, first 2 shown]
	s_clause 0x1
	s_load_b32 s2, s[2:3], 0x0
	s_load_b32 s3, s[4:5], 0x0
	s_add_u32 s6, s22, s15
	s_addc_u32 s7, s23, s18
	v_add_co_u32 v135, s6, s6, v1
	s_delay_alu instid0(VALU_DEP_1) | instskip(SKIP_1) | instid1(VALU_DEP_1)
	v_add_co_ci_u32_e64 v136, null, s7, 0, s6
	s_waitcnt lgkmcnt(0)
	v_mad_i64_i32 v[1:2], null, s28, s17, v[135:136]
	v_mad_i64_i32 v[3:4], null, s29, s17, v[135:136]
	;; [unrolled: 1-line block ×6, first 2 shown]
	s_clause 0x9
	global_load_b128 v[49:52], v[1:2], off
	global_load_b128 v[53:56], v[1:2], off offset:16
	global_load_b128 v[41:44], v[3:4], off
	global_load_b128 v[45:48], v[3:4], off offset:16
	;; [unrolled: 2-line block ×5, first 2 shown]
	v_mad_i64_i32 v[145:146], null, s2, s17, v[135:136]
	v_mad_i64_i32 v[147:148], null, s3, s17, v[135:136]
	s_waitcnt vmcnt(24)
	v_wmma_f32_16x16x16_f16 v[135:142], v[17:24], v[119:126], v[111:118]
	s_waitcnt vmcnt(22)
	v_wmma_f32_16x16x16_f16 v[111:118], v[25:32], v[119:126], v[111:118]
	s_clause 0x3
	global_load_b128 v[17:20], v[143:144], off
	global_load_b128 v[21:24], v[143:144], off offset:16
	global_load_b128 v[25:28], v[145:146], off
	global_load_b128 v[29:32], v[145:146], off offset:16
	v_and_b32_e32 v119, 0xe0, v0
	s_waitcnt vmcnt(24)
	v_wmma_f32_16x16x16_f16 v[135:142], v[57:64], v[127:134], v[135:142]
	s_clause 0x1
	global_load_b128 v[57:60], v[147:148], off
	global_load_b128 v[61:64], v[147:148], off offset:16
	s_waitcnt vmcnt(24)
	v_wmma_f32_16x16x16_f16 v[111:118], v[71:78], v[127:134], v[111:118]
	ds_load_b128 v[71:74], v149 offset:4096
	ds_load_b128 v[75:78], v149 offset:5120
	v_add_nc_u32_e32 v128, s12, v119
	ds_load_b128 v[119:122], v149 offset:6144
	ds_load_b128 v[123:126], v149 offset:7168
	v_mbcnt_lo_u32_b32 v127, -1, 0
	s_waitcnt vmcnt(0) lgkmcnt(0)
	s_barrier
	v_or_b32_e32 v128, v128, v66
	buffer_gl0_inv
	v_xor_b32_e32 v129, 16, v127
	v_or_b32_e32 v130, 4, v128
	v_or_b32_e32 v131, 6, v128
	s_delay_alu instid0(VALU_DEP_3) | instskip(SKIP_4) | instid1(VALU_DEP_4)
	v_cmp_gt_i32_e32 vcc_lo, 32, v129
	v_or_b32_e32 v132, 8, v128
	v_or_b32_e32 v133, 10, v128
	v_cmp_gt_i32_e64 s3, s24, v130
	v_cmp_gt_i32_e64 s4, s24, v131
	;; [unrolled: 1-line block ×3, first 2 shown]
	v_wmma_f32_16x16x16_f16 v[135:142], v[79:86], v[71:78], v[135:142]
	v_wmma_f32_16x16x16_f16 v[111:118], v[87:94], v[71:78], v[111:118]
	v_or_b32_e32 v79, 12, v128
	v_or_b32_e32 v80, 14, v128
	v_cmp_gt_i32_e64 s6, s24, v133
	v_wmma_f32_16x16x16_f16 v[135:142], v[95:102], v[119:126], v[135:142]
	v_cndmask_b32_e32 v127, v127, v129, vcc_lo
	v_or_b32_e32 v129, 2, v128
	v_wmma_f32_16x16x16_f16 v[111:118], v[103:110], v[119:126], v[111:118]
	v_cmp_gt_i32_e32 vcc_lo, s24, v128
	v_dual_mul_f32 v88, s19, v135 :: v_dual_mul_f32 v87, s19, v136
	s_delay_alu instid0(VALU_DEP_4) | instskip(NEXT) | instid1(VALU_DEP_4)
	v_cmp_gt_i32_e64 s2, s24, v129
	v_mul_f32_e32 v94, s19, v113
	v_mul_f32_e32 v78, s19, v138
	;; [unrolled: 1-line block ×3, first 2 shown]
	v_cndmask_b32_e32 v88, 0xff7fffff, v88, vcc_lo
	v_cndmask_b32_e64 v87, 0xff7fffff, v87, s2
	v_dual_mul_f32 v76, s19, v140 :: v_dual_mul_f32 v77, s19, v139
	v_mul_f32_e32 v90, s19, v117
	v_cndmask_b32_e64 v86, 0xff7fffff, v86, s3
	v_cndmask_b32_e64 v78, 0xff7fffff, v78, s4
	v_max3_f32 v87, v88, 0xff7fffff, v87
	v_or_b32_e32 v81, 16, v128
	v_or_b32_e32 v82, 18, v128
	v_dual_mul_f32 v74, s19, v142 :: v_dual_mul_f32 v75, s19, v141
	v_mul_f32_e32 v92, s19, v115
	v_cndmask_b32_e64 v77, 0xff7fffff, v77, s5
	v_cndmask_b32_e64 v76, 0xff7fffff, v76, s6
	v_max3_f32 v78, v87, v86, v78
	v_cmp_gt_i32_e64 s7, s24, v79
	v_cmp_gt_i32_e64 s8, s24, v80
	v_or_b32_e32 v83, 20, v128
	v_or_b32_e32 v84, 22, v128
	v_dual_mul_f32 v89, s19, v118 :: v_dual_mul_f32 v96, s19, v111
	v_mul_f32_e32 v95, s19, v112
	v_cndmask_b32_e64 v75, 0xff7fffff, v75, s7
	v_cndmask_b32_e64 v74, 0xff7fffff, v74, s8
	v_max3_f32 v76, v78, v77, v76
	v_cmp_gt_i32_e64 s9, s24, v81
	v_cmp_gt_i32_e64 s10, s24, v82
	v_or_b32_e32 v85, 24, v128
	v_or_b32_e32 v71, 26, v128
	v_mul_f32_e32 v93, s19, v114
	v_cndmask_b32_e64 v77, 0xff7fffff, v96, s9
	v_cndmask_b32_e64 v78, 0xff7fffff, v95, s10
	v_max3_f32 v74, v76, v75, v74
	v_cmp_gt_i32_e64 s11, s24, v83
	v_cmp_gt_i32_e64 s12, s24, v84
	v_or_b32_e32 v72, 28, v128
	v_or_b32_e32 v73, 30, v128
	v_mul_f32_e32 v91, s19, v116
	v_cndmask_b32_e64 v75, 0xff7fffff, v94, s11
	v_cndmask_b32_e64 v76, 0xff7fffff, v93, s12
	v_max3_f32 v74, v74, v77, v78
	v_cmp_gt_i32_e64 s13, s24, v85
	v_cmp_gt_i32_e64 s15, s24, v71
	;; [unrolled: 1-line block ×4, first 2 shown]
	v_max3_f32 v74, v74, v75, v76
	v_cndmask_b32_e64 v77, 0xff7fffff, v92, s13
	v_cndmask_b32_e64 v71, 0xff7fffff, v91, s15
	;; [unrolled: 1-line block ×4, first 2 shown]
	s_delay_alu instid0(VALU_DEP_3) | instskip(SKIP_1) | instid1(VALU_DEP_2)
	v_max3_f32 v71, v74, v77, v71
	v_lshlrev_b32_e32 v74, 2, v127
	v_max3_f32 v71, v71, v72, v73
	ds_bpermute_b32 v72, v74, v71
	s_waitcnt lgkmcnt(0)
	v_max_f32_e32 v72, v72, v72
	s_delay_alu instid0(VALU_DEP_1) | instskip(NEXT) | instid1(VALU_DEP_1)
	v_max_f32_e32 v71, v71, v72
	v_fma_f32 v75, s19, v137, -v71
	v_fma_f32 v76, s19, v138, -v71
	;; [unrolled: 1-line block ×5, first 2 shown]
	s_delay_alu instid0(VALU_DEP_4) | instskip(NEXT) | instid1(VALU_DEP_4)
	v_dual_mul_f32 v75, 0x3fb8aa3b, v75 :: v_dual_mul_f32 v76, 0x3fb8aa3b, v76
	v_mul_f32_e32 v72, 0x3fb8aa3b, v72
	v_fma_f32 v77, s19, v139, -v71
	s_delay_alu instid0(VALU_DEP_4) | instskip(NEXT) | instid1(VALU_DEP_4)
	v_mul_f32_e32 v73, 0x3fb8aa3b, v73
	v_exp_f32_e32 v75, v75
	v_exp_f32_e32 v76, v76
	;; [unrolled: 1-line block ×3, first 2 shown]
	s_delay_alu instid0(VALU_DEP_1) | instskip(SKIP_2) | instid1(TRANS32_DEP_3)
	v_exp_f32_e32 v73, v73
	v_cndmask_b32_e64 v81, 0, v75, s3
	v_mul_f32_e32 v82, 0x3fb8aa3b, v80
	v_cndmask_b32_e64 v80, 0, v76, s4
	s_waitcnt_depctr 0xfff
	v_cndmask_b32_e64 v78, 0, v73, s2
	v_cmp_gt_u32_e64 s2, 16, v70
	v_exp_f32_e32 v84, v82
	s_waitcnt_depctr 0xfff
	v_cndmask_b32_e64 v85, 0, v84, s7
	v_cndmask_b32_e32 v79, 0, v72, vcc_lo
	v_fma_f32 v72, s19, v140, -v71
	v_mul_f32_e32 v77, 0x3fb8aa3b, v77
	s_delay_alu instid0(VALU_DEP_2) | instskip(NEXT) | instid1(VALU_DEP_2)
	v_dual_add_f32 v73, 0, v79 :: v_dual_mul_f32 v72, 0x3fb8aa3b, v72
	v_exp_f32_e32 v77, v77
	s_delay_alu instid0(VALU_DEP_1) | instskip(NEXT) | instid1(VALU_DEP_2)
	v_add_f32_e32 v73, v73, v78
	v_exp_f32_e32 v72, v72
	s_delay_alu instid0(VALU_DEP_1) | instskip(SKIP_4) | instid1(VALU_DEP_2)
	v_add_f32_e32 v73, v73, v81
	s_waitcnt_depctr 0xfff
	v_cndmask_b32_e64 v83, 0, v77, s5
	v_add_f32_e32 v73, v73, v80
	v_cndmask_b32_e64 v82, 0, v72, s6
	v_add_f32_e32 v72, v73, v83
	s_delay_alu instid0(VALU_DEP_1)
	v_add_f32_e32 v72, v72, v82
	v_fma_f32 v75, s19, v142, -v71
	v_fma_f32 v76, s19, v111, -v71
	;; [unrolled: 1-line block ×5, first 2 shown]
	s_delay_alu instid0(VALU_DEP_4) | instskip(NEXT) | instid1(VALU_DEP_4)
	v_dual_mul_f32 v75, 0x3fb8aa3b, v75 :: v_dual_mul_f32 v76, 0x3fb8aa3b, v76
	v_mul_f32_e32 v86, 0x3fb8aa3b, v86
	v_add_f32_e32 v72, v72, v85
	s_delay_alu instid0(VALU_DEP_3) | instskip(NEXT) | instid1(VALU_DEP_3)
	v_exp_f32_e32 v75, v75
	v_exp_f32_e32 v76, v76
	s_delay_alu instid0(VALU_DEP_2) | instskip(NEXT) | instid1(TRANS32_DEP_3)
	v_exp_f32_e32 v88, v86
	v_cndmask_b32_e64 v84, 0, v75, s8
	v_mul_f32_e32 v77, 0x3fb8aa3b, v77
	s_waitcnt_depctr 0xfff
	v_cndmask_b32_e64 v87, 0, v76, s9
	v_fma_f32 v76, s19, v116, -v71
	v_dual_mul_f32 v73, 0x3fb8aa3b, v73 :: v_dual_add_f32 v72, v72, v84
	v_exp_f32_e32 v77, v77
	v_fma_f32 v75, s19, v115, -v71
	s_delay_alu instid0(VALU_DEP_3) | instskip(NEXT) | instid1(VALU_DEP_3)
	v_mul_f32_e32 v76, 0x3fb8aa3b, v76
	v_exp_f32_e32 v73, v73
	v_add_f32_e32 v72, v72, v87
	v_cndmask_b32_e64 v88, 0, v88, s12
	s_delay_alu instid0(VALU_DEP_3) | instskip(NEXT) | instid1(TRANS32_DEP_3)
	v_exp_f32_e32 v76, v76
	v_cndmask_b32_e64 v86, 0, v77, s10
	v_mul_f32_e32 v75, 0x3fb8aa3b, v75
	v_fma_f32 v77, s19, v117, -v71
	s_delay_alu instid0(TRANS32_DEP_2) | instskip(NEXT) | instid1(VALU_DEP_4)
	v_cndmask_b32_e64 v89, 0, v73, s11
	v_add_f32_e32 v72, v72, v86
	s_delay_alu instid0(VALU_DEP_4) | instskip(NEXT) | instid1(TRANS32_DEP_2)
	v_exp_f32_e32 v75, v75
	v_cndmask_b32_e64 v90, 0, v76, s15
	s_delay_alu instid0(VALU_DEP_2) | instskip(SKIP_2) | instid1(VALU_DEP_3)
	v_add_f32_e32 v72, v72, v89
	v_mul_f32_e32 v73, 0x3fb8aa3b, v77
	v_fma_f32 v77, s19, v118, -v71
	v_add_f32_e32 v72, v72, v88
	s_delay_alu instid0(VALU_DEP_3) | instskip(NEXT) | instid1(TRANS32_DEP_2)
	v_exp_f32_e32 v73, v73
	v_cndmask_b32_e64 v91, 0, v75, s13
	s_delay_alu instid0(VALU_DEP_1) | instskip(NEXT) | instid1(VALU_DEP_1)
	v_dual_mul_f32 v75, 0x3fb8aa3b, v77 :: v_dual_add_f32 v72, v72, v91
	v_exp_f32_e32 v75, v75
	s_waitcnt_depctr 0xfff
	v_cndmask_b32_e64 v93, 0, v73, s16
	v_add_f32_e32 v72, v72, v90
	s_delay_alu instid0(VALU_DEP_1) | instskip(SKIP_1) | instid1(VALU_DEP_1)
	v_add_f32_e32 v72, v72, v93
	v_cndmask_b32_e64 v92, 0, v75, s17
	v_add_f32_e32 v72, v72, v92
	ds_bpermute_b32 v73, v74, v72
	s_and_saveexec_b32 s3, s2
	s_cbranch_execz .LBB1344_12
; %bb.11:
	v_mul_u32_u24_e32 v70, 0x44, v69
	s_waitcnt lgkmcnt(0)
	v_add_f32_e32 v72, v72, v73
	s_delay_alu instid0(VALU_DEP_2) | instskip(NEXT) | instid1(VALU_DEP_1)
	v_lshl_add_u32 v70, v68, 2, v70
	v_add_nc_u32_e32 v70, 0x4000, v70
	ds_store_2addr_b32 v70, v71, v72 offset1:136
.LBB1344_12:
	s_or_b32 exec_lo, exec_lo, s3
	v_lshlrev_b32_e32 v70, 2, v68
	s_load_b32 s35, s[0:1], 0x94
	s_waitcnt lgkmcnt(0)
	s_barrier
	buffer_gl0_inv
	v_add_nc_u32_e32 v98, 0x4000, v70
	v_cmp_eq_u32_e32 vcc_lo, 1, v69
	v_cmp_eq_u32_e64 s3, 2, v69
	v_cmp_eq_u32_e64 s4, 3, v69
	;; [unrolled: 1-line block ×3, first 2 shown]
	ds_load_2addr_b32 v[70:71], v98 offset1:17
	ds_load_2addr_b32 v[72:73], v98 offset0:34 offset1:51
	ds_load_2addr_b32 v[74:75], v98 offset0:68 offset1:85
	;; [unrolled: 1-line block ×3, first 2 shown]
	v_cmp_eq_u32_e64 s6, 5, v69
	v_cmp_eq_u32_e64 s7, 7, v69
	s_waitcnt lgkmcnt(3)
	v_max3_f32 v76, v70, 0xff7fffff, v71
	s_waitcnt lgkmcnt(2)
	s_delay_alu instid0(VALU_DEP_1) | instskip(SKIP_1) | instid1(VALU_DEP_1)
	v_max3_f32 v76, v76, v72, v73
	s_waitcnt lgkmcnt(1)
	v_max3_f32 v76, v76, v74, v75
	s_waitcnt lgkmcnt(0)
	s_delay_alu instid0(VALU_DEP_1) | instskip(NEXT) | instid1(VALU_DEP_1)
	v_max3_f32 v76, v76, v94, v95
	v_sub_f32_e32 v77, v71, v76
	ds_load_2addr_b32 v[96:97], v98 offset0:136 offset1:153
	v_sub_f32_e32 v74, v74, v76
	v_sub_f32_e32 v70, v70, v76
	;; [unrolled: 1-line block ×3, first 2 shown]
	v_dual_sub_f32 v72, v72, v76 :: v_dual_mul_f32 v77, 0x3fb8aa3b, v77
	s_delay_alu instid0(VALU_DEP_4) | instskip(NEXT) | instid1(VALU_DEP_4)
	v_mul_f32_e32 v103, 0x3fb8aa3b, v74
	v_mul_f32_e32 v99, 0x3fb8aa3b, v70
	ds_load_2addr_b32 v[70:71], v98 offset0:170 offset1:187
	v_dual_mul_f32 v101, 0x3fb8aa3b, v72 :: v_dual_mul_f32 v94, 0x3fb8aa3b, v94
	v_exp_f32_e32 v102, v77
	v_exp_f32_e32 v99, v99
	s_delay_alu instid0(VALU_DEP_1) | instskip(NEXT) | instid1(VALU_DEP_1)
	v_exp_f32_e32 v101, v101
	v_exp_f32_e32 v94, v94
	s_waitcnt lgkmcnt(1)
	s_delay_alu instid0(TRANS32_DEP_3)
	v_fma_f32 v77, v99, v96, 0
	v_sub_f32_e32 v100, v73, v76
	ds_load_2addr_b32 v[72:73], v98 offset0:204 offset1:221
	v_fmac_f32_e32 v77, v102, v97
	v_exp_f32_e32 v97, v103
	s_waitcnt lgkmcnt(1)
	s_delay_alu instid0(VALU_DEP_1)
	v_dual_fmac_f32 v77, v101, v70 :: v_dual_sub_f32 v96, v75, v76
	ds_load_2addr_b32 v[74:75], v98 offset0:238 offset1:255
	v_sub_f32_e32 v70, v95, v76
	s_waitcnt lgkmcnt(0)
	s_barrier
	v_mul_f32_e32 v96, 0x3fb8aa3b, v96
	buffer_gl0_inv
	v_exp_f32_e32 v95, v96
	v_mul_f32_e32 v100, 0x3fb8aa3b, v100
	s_delay_alu instid0(VALU_DEP_1) | instskip(SKIP_3) | instid1(VALU_DEP_2)
	v_exp_f32_e32 v100, v100
	s_waitcnt_depctr 0xfff
	v_dual_fmac_f32 v77, v100, v71 :: v_dual_mul_f32 v70, 0x3fb8aa3b, v70
	v_cndmask_b32_e32 v71, v99, v102, vcc_lo
	v_fmac_f32_e32 v77, v97, v72
	s_delay_alu instid0(VALU_DEP_3) | instskip(NEXT) | instid1(VALU_DEP_1)
	v_exp_f32_e32 v96, v70
	v_fmac_f32_e32 v77, v95, v73
	s_delay_alu instid0(VALU_DEP_1) | instskip(SKIP_2) | instid1(VALU_DEP_1)
	v_fmac_f32_e32 v77, v94, v74
	s_waitcnt_depctr 0xfff
	v_fmac_f32_e32 v77, v96, v75
	v_add_f32_e32 v74, 0x358637bd, v77
	s_delay_alu instid0(VALU_DEP_1) | instskip(SKIP_1) | instid1(VALU_DEP_2)
	v_div_scale_f32 v98, null, v74, v74, 1.0
	v_div_scale_f32 v99, vcc_lo, 1.0, v74, 1.0
	v_rcp_f32_e32 v103, v98
	s_waitcnt_depctr 0xfff
	v_fma_f32 v70, -v98, v103, 1.0
	s_delay_alu instid0(VALU_DEP_1) | instskip(SKIP_2) | instid1(VALU_DEP_2)
	v_fmac_f32_e32 v103, v70, v103
	v_cndmask_b32_e64 v70, v71, v101, s3
	v_cmp_eq_u32_e64 s3, 6, v69
	v_cndmask_b32_e64 v71, v70, v100, s4
	s_delay_alu instid0(VALU_DEP_4) | instskip(NEXT) | instid1(VALU_DEP_2)
	v_dual_mul_f32 v101, v99, v103 :: v_dual_lshlrev_b32 v70, 2, v66
	v_cndmask_b32_e64 v71, v71, v97, s5
	s_delay_alu instid0(VALU_DEP_2) | instskip(NEXT) | instid1(VALU_DEP_3)
	v_or_b32_e32 v72, 1, v70
	v_fma_f32 v100, -v98, v101, v99
	v_cmp_eq_u32_e64 s4, 1, v70
	v_cmp_eq_u32_e64 s5, 2, v70
	v_cndmask_b32_e64 v95, v71, v95, s6
	v_or_b32_e32 v71, 3, v70
	v_fmac_f32_e32 v101, v100, v103
	v_cmp_eq_u32_e64 s9, 1, v72
	v_cmp_eq_u32_e64 s12, 2, v72
	v_cndmask_b32_e64 v94, v95, v94, s3
	v_cmp_eq_u32_e64 s11, 1, v71
	v_fma_f32 v97, -v98, v101, v99
	v_cmp_eq_u32_e64 s16, 2, v71
	v_cmp_eq_u32_e64 s13, 3, v72
	v_cndmask_b32_e64 v94, v94, v96, s7
	v_cmp_eq_u32_e64 s18, 3, v71
	v_div_fmas_f32 v95, v97, v103, v101
	v_cmp_eq_u32_e32 vcc_lo, 3, v70
	v_cmp_eq_u32_e64 s3, 4, v70
	v_cmp_eq_u32_e64 s19, 4, v72
	;; [unrolled: 1-line block ×3, first 2 shown]
	v_div_fixup_f32 v95, v95, v74, 1.0
	v_lshlrev_b32_e32 v73, 6, v68
	v_cmp_eq_u32_e64 s6, 5, v70
	v_cmp_eq_u32_e64 s20, 5, v72
	;; [unrolled: 1-line block ×3, first 2 shown]
	v_mul_f32_e32 v102, v94, v95
	v_lshl_or_b32 v75, v69, 11, v73
	v_or_b32_e32 v69, 2, v70
	v_cmp_eq_u32_e64 s25, 6, v72
	v_cmp_eq_u32_e64 s27, 6, v71
	v_fma_mixlo_f16 v94, v102, v79, 0
	v_fma_mixlo_f16 v95, v102, v81, 0
	;; [unrolled: 1-line block ×8, first 2 shown]
	v_lshl_or_b32 v74, v66, 4, v75
	v_fma_mixhi_f16 v94, v102, v78, 0
	v_fma_mixhi_f16 v95, v102, v80, 0
	;; [unrolled: 1-line block ×8, first 2 shown]
	ds_store_b128 v74, v[94:97]
	ds_store_b128 v74, v[98:101] offset:1024
	s_waitcnt lgkmcnt(0)
	s_barrier
	buffer_gl0_inv
	ds_load_b128 v[78:81], v75
	ds_load_b128 v[82:85], v75 offset:16
	ds_load_b128 v[86:89], v75 offset:1024
	;; [unrolled: 1-line block ×3, first 2 shown]
	v_cmp_eq_u32_e64 s10, 1, v69
	v_cmp_eq_u32_e64 s15, 2, v69
	v_cmp_eq_u32_e64 s17, 3, v69
	v_cmp_eq_u32_e64 s21, 4, v69
	v_cmp_eq_u32_e64 s23, 5, v69
	v_cmp_eq_u32_e64 s7, 6, v70
	v_cmp_eq_u32_e64 s26, 6, v69
	v_cmp_eq_u32_e64 s29, 7, v71
	v_cmp_eq_u32_e64 s30, 7, v72
	v_cmp_eq_u32_e64 s8, 7, v70
	v_cmp_eq_u32_e64 s28, 7, v69
	s_waitcnt lgkmcnt(3)
	v_lshrrev_b32_e32 v94, 16, v78
	s_waitcnt lgkmcnt(2)
	v_lshrrev_b32_e32 v98, 16, v82
	;; [unrolled: 2-line block ×4, first 2 shown]
	v_lshrrev_b32_e32 v95, 16, v79
	v_cndmask_b32_e64 v110, v78, v94, s4
	v_cndmask_b32_e64 v111, v82, v98, s4
	;; [unrolled: 1-line block ×8, first 2 shown]
	v_lshrrev_b32_e32 v99, 16, v83
	v_cndmask_b32_e64 v94, v86, v102, s4
	v_cndmask_b32_e64 v98, v90, v106, s4
	;; [unrolled: 1-line block ×15, first 2 shown]
	v_lshrrev_b32_e32 v103, 16, v87
	v_lshrrev_b32_e32 v107, 16, v91
	v_cndmask_b32_e64 v113, v115, v83, s15
	v_cndmask_b32_e64 v82, v94, v87, s5
	;; [unrolled: 1-line block ×7, first 2 shown]
	v_cndmask_b32_e32 v90, v102, v95, vcc_lo
	v_cndmask_b32_e32 v102, v106, v99, vcc_lo
	v_cndmask_b32_e64 v106, v110, v95, s13
	v_cndmask_b32_e64 v110, v111, v99, s13
	;; [unrolled: 1-line block ×4, first 2 shown]
	v_lshrrev_b32_e32 v96, 16, v80
	v_lshrrev_b32_e32 v100, 16, v84
	v_cndmask_b32_e64 v111, v112, v95, s17
	v_cndmask_b32_e64 v112, v113, v99, s17
	v_cndmask_b32_e32 v82, v82, v103, vcc_lo
	v_cndmask_b32_e32 v83, v83, v107, vcc_lo
	v_cndmask_b32_e64 v94, v94, v103, s13
	v_cndmask_b32_e64 v90, v90, v80, s3
	;; [unrolled: 1-line block ×7, first 2 shown]
	v_lshrrev_b32_e32 v104, 16, v88
	v_cndmask_b32_e64 v106, v111, v80, s21
	v_cndmask_b32_e64 v110, v112, v84, s21
	;; [unrolled: 1-line block ×11, first 2 shown]
	v_lshrrev_b32_e32 v97, 16, v81
	v_lshrrev_b32_e32 v101, 16, v85
	v_cndmask_b32_e64 v99, v106, v96, s23
	v_cndmask_b32_e64 v102, v110, v100, s23
	;; [unrolled: 1-line block ×7, first 2 shown]
	v_lshrrev_b32_e32 v105, 16, v89
	v_cndmask_b32_e64 v80, v80, v104, s6
	v_cndmask_b32_e64 v84, v84, v81, s7
	;; [unrolled: 1-line block ×16, first 2 shown]
	v_perm_b32 v81, v79, v78, 0x5040100
	v_perm_b32 v79, v95, v85, 0x5040100
	v_cndmask_b32_e64 v78, v119, v91, s15
	v_cndmask_b32_e64 v85, v117, v91, s12
	;; [unrolled: 1-line block ×3, first 2 shown]
	v_perm_b32 v80, v94, v90, 0x5040100
	v_cndmask_b32_e64 v90, v98, v103, s17
	v_cndmask_b32_e64 v86, v86, v103, s18
	;; [unrolled: 1-line block ×5, first 2 shown]
	v_lshrrev_b32_e32 v108, 16, v92
	v_cndmask_b32_e64 v90, v90, v88, s21
	v_cndmask_b32_e64 v86, v86, v88, s22
	;; [unrolled: 1-line block ×11, first 2 shown]
	v_lshrrev_b32_e32 v109, 16, v93
	v_cndmask_b32_e64 v82, v82, v93, s7
	v_cndmask_b32_e64 v88, v88, v89, s26
	v_cndmask_b32_e64 v86, v86, v89, s27
	v_cndmask_b32_e64 v87, v87, v93, s27
	v_cndmask_b32_e64 v78, v78, v93, s26
	v_cndmask_b32_e64 v85, v85, v93, s25
	v_cndmask_b32_e64 v88, v88, v105, s28
	v_cndmask_b32_e64 v86, v86, v105, s29
	v_cndmask_b32_e64 v87, v87, v109, s29
	v_cndmask_b32_e64 v89, v78, v109, s28
	v_cndmask_b32_e64 v90, v85, v109, s30
	v_cndmask_b32_e64 v82, v82, v109, s8
	v_perm_b32 v78, v84, v83, 0x5040100
	v_perm_b32 v85, v87, v86, 0x5040100
	;; [unrolled: 1-line block ×5, first 2 shown]
	s_mul_i32 s8, s33, 3
	s_mov_b32 s3, exec_lo
	ds_store_b128 v74, v[78:81]
	ds_store_b128 v74, v[82:85] offset:1024
	v_cmpx_gt_u32_e32 3, v0
	s_cbranch_execz .LBB1344_14
; %bb.13:
	s_mul_i32 s4, s8, s34
	s_delay_alu instid0(SALU_CYCLE_1) | instskip(SKIP_1) | instid1(VALU_DEP_1)
	v_add3_u32 v68, s4, s31, v68
	s_load_b128 s[4:7], s[0:1], 0x58
	v_mad_u64_u32 v[78:79], null, v68, s35, s[14:15]
	s_delay_alu instid0(VALU_DEP_1) | instskip(NEXT) | instid1(VALU_DEP_1)
	v_ashrrev_i32_e32 v79, 31, v78
	v_lshlrev_b64 v[78:79], 2, v[78:79]
	s_waitcnt lgkmcnt(0)
	s_delay_alu instid0(VALU_DEP_1) | instskip(NEXT) | instid1(VALU_DEP_2)
	v_add_co_u32 v80, vcc_lo, s6, v78
	v_add_co_ci_u32_e32 v81, vcc_lo, s7, v79, vcc_lo
	v_add_co_u32 v78, vcc_lo, s4, v78
	v_add_co_ci_u32_e32 v79, vcc_lo, s5, v79, vcc_lo
	global_store_b32 v[80:81], v76, off
	global_store_b32 v[78:79], v77, off
.LBB1344_14:
	s_or_b32 exec_lo, exec_lo, s3
	s_waitcnt lgkmcnt(0)
	s_waitcnt_vscnt null, 0x0
	s_barrier
	buffer_gl0_inv
	ds_load_b128 v[84:87], v73
	ds_load_b128 v[88:91], v73 offset:16
	ds_load_b128 v[96:99], v73 offset:2064
	;; [unrolled: 1-line block ×5, first 2 shown]
	v_cmp_eq_u32_e32 vcc_lo, 1, v70
	v_mov_b32_e32 v76, 0
	ds_load_b128 v[112:115], v73 offset:6160
	ds_load_b128 v[108:111], v73 offset:6144
	;; [unrolled: 1-line block ×4, first 2 shown]
	v_cmp_eq_u32_e64 s4, 1, v69
	v_cmp_eq_u32_e64 s3, 1, v72
	;; [unrolled: 1-line block ×3, first 2 shown]
	v_mov_b32_e32 v77, v76
	v_mov_b32_e32 v78, v76
	;; [unrolled: 1-line block ×7, first 2 shown]
	v_cmp_eq_u32_e64 s6, 3, v72
	v_cmp_eq_u32_e64 s7, 7, v72
	s_waitcnt lgkmcnt(8)
	s_delay_alu instid0(VALU_DEP_3)
	v_wmma_f32_16x16x16_f16 v[76:83], v[49:56], v[84:91], v[76:83]
	ds_load_b128 v[53:56], v73 offset:10256
	ds_load_b128 v[49:52], v73 offset:10240
	s_waitcnt lgkmcnt(8)
	v_wmma_f32_16x16x16_f16 v[76:83], v[41:48], v[92:99], v[76:83]
	ds_load_b128 v[45:48], v73 offset:12304
	ds_load_b128 v[41:44], v73 offset:12288
	s_waitcnt lgkmcnt(8)
	;; [unrolled: 4-line block ×3, first 2 shown]
	s_barrier
	buffer_gl0_inv
	v_wmma_f32_16x16x16_f16 v[76:83], v[1:8], v[108:115], v[76:83]
	s_delay_alu instid0(VALU_DEP_1) | instskip(NEXT) | instid1(VALU_DEP_1)
	v_wmma_f32_16x16x16_f16 v[76:83], v[9:16], v[116:123], v[76:83]
	v_wmma_f32_16x16x16_f16 v[76:83], v[17:24], v[49:56], v[76:83]
	s_delay_alu instid0(VALU_DEP_1) | instskip(NEXT) | instid1(VALU_DEP_1)
	v_wmma_f32_16x16x16_f16 v[76:83], v[25:32], v[41:48], v[76:83]
	v_wmma_f32_16x16x16_f16 v[76:83], v[57:64], v[33:40], v[76:83]
	s_delay_alu instid0(VALU_DEP_1) | instskip(NEXT) | instid1(VALU_DEP_2)
	v_cvt_f16_f32_e32 v1, v76
	v_cvt_f16_f32_e32 v2, v77
	s_delay_alu instid0(VALU_DEP_3) | instskip(NEXT) | instid1(VALU_DEP_4)
	v_cvt_f16_f32_e32 v3, v78
	v_cvt_f16_f32_e32 v4, v79
	;; [unrolled: 1-line block ×6, first 2 shown]
	v_pack_b32_f16 v1, v1, v2
	v_pack_b32_f16 v2, v3, v4
	;; [unrolled: 1-line block ×3, first 2 shown]
	s_delay_alu instid0(VALU_DEP_4)
	v_pack_b32_f16 v4, v7, v8
	ds_store_b128 v74, v[1:4]
	s_waitcnt lgkmcnt(0)
	s_barrier
	buffer_gl0_inv
	ds_load_b128 v[1:4], v75
	ds_load_b128 v[5:8], v75 offset:16
	s_waitcnt lgkmcnt(1)
	v_lshrrev_b32_e32 v9, 16, v1
	s_waitcnt lgkmcnt(0)
	v_lshrrev_b32_e32 v13, 16, v5
	v_lshrrev_b32_e32 v10, 16, v2
	;; [unrolled: 1-line block ×4, first 2 shown]
	v_cndmask_b32_e32 v17, v1, v9, vcc_lo
	v_cndmask_b32_e32 v18, v5, v13, vcc_lo
	v_cndmask_b32_e64 v21, v1, v9, s4
	v_cmp_eq_u32_e32 vcc_lo, 1, v71
	v_cndmask_b32_e64 v22, v5, v13, s4
	v_cmp_eq_u32_e64 s4, 2, v70
	v_cndmask_b32_e64 v19, v1, v9, s3
	v_cndmask_b32_e64 v20, v5, v13, s3
	v_cndmask_b32_e32 v1, v1, v9, vcc_lo
	v_cmp_eq_u32_e64 s3, 2, v71
	v_cndmask_b32_e32 v5, v5, v13, vcc_lo
	v_cndmask_b32_e64 v9, v17, v2, s4
	v_cmp_eq_u32_e32 vcc_lo, 3, v70
	v_cndmask_b32_e64 v13, v18, v6, s4
	v_cmp_eq_u32_e64 s4, 2, v69
	v_cndmask_b32_e64 v17, v19, v2, s5
	v_cndmask_b32_e64 v18, v20, v6, s5
	v_cmp_eq_u32_e64 s5, 3, v69
	v_cndmask_b32_e64 v1, v1, v2, s3
	v_cndmask_b32_e64 v19, v21, v2, s4
	;; [unrolled: 1-line block ×4, first 2 shown]
	v_cndmask_b32_e32 v5, v9, v10, vcc_lo
	v_cndmask_b32_e32 v6, v13, v14, vcc_lo
	v_cmp_eq_u32_e32 vcc_lo, 3, v71
	v_cndmask_b32_e64 v9, v17, v10, s6
	v_cndmask_b32_e64 v13, v18, v14, s6
	;; [unrolled: 1-line block ×3, first 2 shown]
	v_cmp_eq_u32_e64 s4, 4, v70
	v_cndmask_b32_e32 v1, v1, v10, vcc_lo
	v_cndmask_b32_e32 v2, v2, v14, vcc_lo
	v_cmp_eq_u32_e32 vcc_lo, 4, v72
	v_lshrrev_b32_e32 v15, 16, v7
	v_lshrrev_b32_e32 v16, 16, v8
	v_cndmask_b32_e64 v17, v19, v10, s5
	v_cmp_eq_u32_e64 s3, 4, v71
	v_cndmask_b32_e64 v5, v5, v3, s4
	v_cndmask_b32_e64 v6, v6, v7, s4
	v_cndmask_b32_e32 v9, v9, v3, vcc_lo
	v_cmp_eq_u32_e64 s4, 5, v72
	v_cndmask_b32_e32 v10, v13, v7, vcc_lo
	v_cmp_eq_u32_e32 vcc_lo, 4, v69
	v_cmp_eq_u32_e64 s5, 5, v70
	v_cndmask_b32_e64 v2, v2, v7, s3
	v_cndmask_b32_e64 v9, v9, v11, s4
	;; [unrolled: 1-line block ×3, first 2 shown]
	v_cndmask_b32_e32 v13, v17, v3, vcc_lo
	v_cmp_eq_u32_e64 s4, 5, v69
	v_cndmask_b32_e32 v14, v18, v7, vcc_lo
	v_cndmask_b32_e64 v1, v1, v3, s3
	v_cmp_eq_u32_e32 vcc_lo, 5, v71
	v_lshrrev_b32_e32 v12, 16, v4
	v_cndmask_b32_e64 v13, v13, v11, s4
	v_cndmask_b32_e64 v3, v14, v15, s4
	v_cmp_eq_u32_e64 s4, 6, v71
	v_cndmask_b32_e32 v1, v1, v11, vcc_lo
	v_cndmask_b32_e64 v5, v5, v11, s5
	v_cmp_eq_u32_e64 s6, 6, v70
	v_cndmask_b32_e64 v6, v6, v15, s5
	v_cmp_eq_u32_e64 s5, 6, v72
	v_cmp_eq_u32_e64 s3, 6, v69
	v_cndmask_b32_e64 v1, v1, v4, s4
	v_cndmask_b32_e32 v2, v2, v15, vcc_lo
	v_cmp_eq_u32_e32 vcc_lo, 7, v71
	v_cndmask_b32_e64 v5, v5, v4, s6
	v_cndmask_b32_e64 v9, v9, v4, s5
	;; [unrolled: 1-line block ×3, first 2 shown]
	v_cmp_eq_u32_e64 s6, 7, v70
	v_cndmask_b32_e32 v1, v1, v12, vcc_lo
	v_cndmask_b32_e64 v7, v13, v4, s3
	v_cndmask_b32_e64 v3, v3, v8, s3
	;; [unrolled: 1-line block ×3, first 2 shown]
	v_cmp_eq_u32_e64 s3, 7, v69
	v_cndmask_b32_e64 v4, v10, v8, s5
	v_cndmask_b32_e64 v5, v5, v12, s6
	;; [unrolled: 1-line block ×3, first 2 shown]
	v_cndmask_b32_e32 v2, v2, v16, vcc_lo
	v_cndmask_b32_e64 v7, v7, v12, s3
	v_cndmask_b32_e64 v3, v3, v16, s3
	;; [unrolled: 1-line block ×4, first 2 shown]
	v_perm_b32 v4, v2, v1, 0x5040100
	s_mov_b32 s3, exec_lo
	v_perm_b32 v3, v3, v7, 0x5040100
	v_perm_b32 v2, v8, v9, 0x5040100
	v_perm_b32 v1, v6, v5, 0x5040100
	ds_store_b128 v74, v[1:4]
	s_waitcnt lgkmcnt(0)
	s_barrier
	buffer_gl0_inv
	v_cmpx_gt_u32_e32 32, v0
	s_cbranch_execz .LBB1344_2
; %bb.15:
	s_load_b64 s[4:5], s[0:1], 0x68
	v_lshlrev_b32_e32 v0, 10, v0
	v_lshlrev_b32_e32 v2, 4, v67
	v_add_nc_u32_e32 v1, s31, v66
	s_lshl_b32 s0, s35, 7
	s_delay_alu instid0(SALU_CYCLE_1) | instskip(NEXT) | instid1(VALU_DEP_2)
	s_mul_i32 s1, s0, s34
	v_and_or_b32 v0, 0x3800, v0, v2
	s_mul_i32 s6, s1, s8
	v_mul_lo_u32 v1, v1, s0
	s_ashr_i32 s7, s6, 31
	s_delay_alu instid0(VALU_DEP_2) | instskip(SKIP_1) | instid1(VALU_DEP_2)
	v_lshl_or_b32 v3, v66, 6, v0
	s_lshl_b64 s[6:7], s[6:7], 1
	v_ashrrev_i32_e32 v2, 31, v1
	ds_load_b128 v[3:6], v3
	s_waitcnt lgkmcnt(0)
	s_add_u32 s1, s4, s6
	s_addc_u32 s3, s5, s7
	s_lshl_b32 s4, s14, 7
	v_lshlrev_b64 v[7:8], 1, v[1:2]
	s_ashr_i32 s5, s4, 31
	s_delay_alu instid0(SALU_CYCLE_1) | instskip(NEXT) | instid1(SALU_CYCLE_1)
	s_lshl_b64 s[4:5], s[4:5], 1
	s_add_u32 s1, s1, s4
	s_addc_u32 s3, s3, s5
	v_add_co_u32 v1, s1, s1, v65
	s_delay_alu instid0(VALU_DEP_1) | instskip(NEXT) | instid1(VALU_DEP_2)
	v_add_co_ci_u32_e64 v2, null, s3, 0, s1
	v_add_co_u32 v7, vcc_lo, v1, v7
	s_delay_alu instid0(VALU_DEP_2)
	v_add_co_ci_u32_e32 v8, vcc_lo, v2, v8, vcc_lo
	global_store_b128 v[7:8], v[3:6], off
	s_and_b32 exec_lo, exec_lo, s2
	s_cbranch_execz .LBB1344_2
; %bb.16:
	ds_load_b128 v[3:6], v0 offset:128
	s_add_i32 s1, s31, 2
	s_delay_alu instid0(SALU_CYCLE_1) | instskip(NEXT) | instid1(SALU_CYCLE_1)
	s_mul_i32 s0, s1, s0
	s_ashr_i32 s1, s0, 31
	s_delay_alu instid0(SALU_CYCLE_1) | instskip(NEXT) | instid1(SALU_CYCLE_1)
	s_lshl_b64 s[0:1], s[0:1], 1
	v_add_co_u32 v0, vcc_lo, v1, s0
	v_add_co_ci_u32_e32 v1, vcc_lo, s1, v2, vcc_lo
	s_waitcnt lgkmcnt(0)
	global_store_b128 v[0:1], v[3:6], off
	s_nop 0
	s_sendmsg sendmsg(MSG_DEALLOC_VGPRS)
	s_endpgm
	.section	.rodata,"a",@progbits
	.p2align	6, 0x0
	.amdhsa_kernel _Z39paged_attention_ll4mi_QKV_mfma16_kernelIDF16_hLN4vllm18Fp8KVCacheDataTypeE1EDF16_Li32ELi128ELi256ELb0ELi3EL8MFMAType0EEvPKT_PKT0_S8_ifPKiSA_SA_iPKfiiiPfSD_PS3_PT2_iSC_SC_
		.amdhsa_group_segment_fixed_size 17472
		.amdhsa_private_segment_fixed_size 0
		.amdhsa_kernarg_size 400
		.amdhsa_user_sgpr_count 13
		.amdhsa_user_sgpr_dispatch_ptr 0
		.amdhsa_user_sgpr_queue_ptr 0
		.amdhsa_user_sgpr_kernarg_segment_ptr 1
		.amdhsa_user_sgpr_dispatch_id 0
		.amdhsa_user_sgpr_private_segment_size 0
		.amdhsa_wavefront_size32 1
		.amdhsa_uses_dynamic_stack 0
		.amdhsa_enable_private_segment 0
		.amdhsa_system_sgpr_workgroup_id_x 1
		.amdhsa_system_sgpr_workgroup_id_y 1
		.amdhsa_system_sgpr_workgroup_id_z 1
		.amdhsa_system_sgpr_workgroup_info 0
		.amdhsa_system_vgpr_workitem_id 0
		.amdhsa_next_free_vgpr 150
		.amdhsa_next_free_sgpr 37
		.amdhsa_reserve_vcc 1
		.amdhsa_float_round_mode_32 0
		.amdhsa_float_round_mode_16_64 0
		.amdhsa_float_denorm_mode_32 3
		.amdhsa_float_denorm_mode_16_64 3
		.amdhsa_dx10_clamp 1
		.amdhsa_ieee_mode 1
		.amdhsa_fp16_overflow 0
		.amdhsa_workgroup_processor_mode 1
		.amdhsa_memory_ordered 1
		.amdhsa_forward_progress 0
		.amdhsa_shared_vgpr_count 0
		.amdhsa_exception_fp_ieee_invalid_op 0
		.amdhsa_exception_fp_denorm_src 0
		.amdhsa_exception_fp_ieee_div_zero 0
		.amdhsa_exception_fp_ieee_overflow 0
		.amdhsa_exception_fp_ieee_underflow 0
		.amdhsa_exception_fp_ieee_inexact 0
		.amdhsa_exception_int_div_zero 0
	.end_amdhsa_kernel
	.section	.text._Z39paged_attention_ll4mi_QKV_mfma16_kernelIDF16_hLN4vllm18Fp8KVCacheDataTypeE1EDF16_Li32ELi128ELi256ELb0ELi3EL8MFMAType0EEvPKT_PKT0_S8_ifPKiSA_SA_iPKfiiiPfSD_PS3_PT2_iSC_SC_,"axG",@progbits,_Z39paged_attention_ll4mi_QKV_mfma16_kernelIDF16_hLN4vllm18Fp8KVCacheDataTypeE1EDF16_Li32ELi128ELi256ELb0ELi3EL8MFMAType0EEvPKT_PKT0_S8_ifPKiSA_SA_iPKfiiiPfSD_PS3_PT2_iSC_SC_,comdat
.Lfunc_end1344:
	.size	_Z39paged_attention_ll4mi_QKV_mfma16_kernelIDF16_hLN4vllm18Fp8KVCacheDataTypeE1EDF16_Li32ELi128ELi256ELb0ELi3EL8MFMAType0EEvPKT_PKT0_S8_ifPKiSA_SA_iPKfiiiPfSD_PS3_PT2_iSC_SC_, .Lfunc_end1344-_Z39paged_attention_ll4mi_QKV_mfma16_kernelIDF16_hLN4vllm18Fp8KVCacheDataTypeE1EDF16_Li32ELi128ELi256ELb0ELi3EL8MFMAType0EEvPKT_PKT0_S8_ifPKiSA_SA_iPKfiiiPfSD_PS3_PT2_iSC_SC_
                                        ; -- End function
	.section	.AMDGPU.csdata,"",@progbits
; Kernel info:
; codeLenInByte = 6604
; NumSgprs: 39
; NumVgprs: 150
; ScratchSize: 0
; MemoryBound: 0
; FloatMode: 240
; IeeeMode: 1
; LDSByteSize: 17472 bytes/workgroup (compile time only)
; SGPRBlocks: 4
; VGPRBlocks: 18
; NumSGPRsForWavesPerEU: 39
; NumVGPRsForWavesPerEU: 150
; Occupancy: 9
; WaveLimiterHint : 1
; COMPUTE_PGM_RSRC2:SCRATCH_EN: 0
; COMPUTE_PGM_RSRC2:USER_SGPR: 13
; COMPUTE_PGM_RSRC2:TRAP_HANDLER: 0
; COMPUTE_PGM_RSRC2:TGID_X_EN: 1
; COMPUTE_PGM_RSRC2:TGID_Y_EN: 1
; COMPUTE_PGM_RSRC2:TGID_Z_EN: 1
; COMPUTE_PGM_RSRC2:TIDIG_COMP_CNT: 0
	.section	.text._Z39paged_attention_ll4mi_QKV_mfma16_kernelIDF16_hLN4vllm18Fp8KVCacheDataTypeE1EDF16_Li32ELi128ELi256ELb0ELi4EL8MFMAType0EEvPKT_PKT0_S8_ifPKiSA_SA_iPKfiiiPfSD_PS3_PT2_iSC_SC_,"axG",@progbits,_Z39paged_attention_ll4mi_QKV_mfma16_kernelIDF16_hLN4vllm18Fp8KVCacheDataTypeE1EDF16_Li32ELi128ELi256ELb0ELi4EL8MFMAType0EEvPKT_PKT0_S8_ifPKiSA_SA_iPKfiiiPfSD_PS3_PT2_iSC_SC_,comdat
	.protected	_Z39paged_attention_ll4mi_QKV_mfma16_kernelIDF16_hLN4vllm18Fp8KVCacheDataTypeE1EDF16_Li32ELi128ELi256ELb0ELi4EL8MFMAType0EEvPKT_PKT0_S8_ifPKiSA_SA_iPKfiiiPfSD_PS3_PT2_iSC_SC_ ; -- Begin function _Z39paged_attention_ll4mi_QKV_mfma16_kernelIDF16_hLN4vllm18Fp8KVCacheDataTypeE1EDF16_Li32ELi128ELi256ELb0ELi4EL8MFMAType0EEvPKT_PKT0_S8_ifPKiSA_SA_iPKfiiiPfSD_PS3_PT2_iSC_SC_
	.globl	_Z39paged_attention_ll4mi_QKV_mfma16_kernelIDF16_hLN4vllm18Fp8KVCacheDataTypeE1EDF16_Li32ELi128ELi256ELb0ELi4EL8MFMAType0EEvPKT_PKT0_S8_ifPKiSA_SA_iPKfiiiPfSD_PS3_PT2_iSC_SC_
	.p2align	8
	.type	_Z39paged_attention_ll4mi_QKV_mfma16_kernelIDF16_hLN4vllm18Fp8KVCacheDataTypeE1EDF16_Li32ELi128ELi256ELb0ELi4EL8MFMAType0EEvPKT_PKT0_S8_ifPKiSA_SA_iPKfiiiPfSD_PS3_PT2_iSC_SC_,@function
_Z39paged_attention_ll4mi_QKV_mfma16_kernelIDF16_hLN4vllm18Fp8KVCacheDataTypeE1EDF16_Li32ELi128ELi256ELb0ELi4EL8MFMAType0EEvPKT_PKT0_S8_ifPKiSA_SA_iPKfiiiPfSD_PS3_PT2_iSC_SC_: ; @_Z39paged_attention_ll4mi_QKV_mfma16_kernelIDF16_hLN4vllm18Fp8KVCacheDataTypeE1EDF16_Li32ELi128ELi256ELb0ELi4EL8MFMAType0EEvPKT_PKT0_S8_ifPKiSA_SA_iPKfiiiPfSD_PS3_PT2_iSC_SC_
; %bb.0:
	s_load_b64 s[4:5], s[0:1], 0x30
	s_mov_b32 s30, s13
	s_waitcnt lgkmcnt(0)
	s_cmp_lg_u64 s[4:5], 0
	s_cselect_b32 s13, -1, 0
	s_ashr_i32 s31, s30, 31
	s_cmp_eq_u64 s[4:5], 0
	s_cbranch_scc1 .LBB1345_3
; %bb.1:
	s_lshl_b64 s[2:3], s[30:31], 2
	s_delay_alu instid0(SALU_CYCLE_1) | instskip(SKIP_4) | instid1(SALU_CYCLE_1)
	s_add_u32 s2, s4, s2
	s_addc_u32 s3, s5, s3
	s_load_b64 s[2:3], s[2:3], 0x0
	s_waitcnt lgkmcnt(0)
	s_sub_i32 s2, s3, s2
	s_cmp_eq_u32 s2, 1
	s_cselect_b32 s2, -1, 0
	s_delay_alu instid0(SALU_CYCLE_1)
	s_and_not1_b32 vcc_lo, exec_lo, s2
	s_cbranch_vccz .LBB1345_4
.LBB1345_2:
	s_endpgm
.LBB1345_3:
.LBB1345_4:
	s_load_b64 s[2:3], s[0:1], 0x28
	s_lshl_b64 s[6:7], s[30:31], 2
	s_waitcnt lgkmcnt(0)
	s_add_u32 s2, s2, s6
	s_addc_u32 s3, s3, s7
	s_lshl_b32 s12, s14, 8
	s_load_b32 s17, s[2:3], 0x0
	s_waitcnt lgkmcnt(0)
	s_cmp_ge_i32 s12, s17
	s_cbranch_scc1 .LBB1345_2
; %bb.5:
	s_clause 0x1
	s_load_b128 s[8:11], s[0:1], 0x8
	s_load_b64 s[2:3], s[0:1], 0x20
	s_and_not1_b32 vcc_lo, exec_lo, s13
	s_cbranch_vccnz .LBB1345_7
; %bb.6:
	s_add_u32 s4, s4, s6
	s_addc_u32 s5, s5, s7
	s_load_b32 s13, s[4:5], 0x0
	s_branch .LBB1345_8
.LBB1345_7:
	s_mov_b32 s13, s30
.LBB1345_8:
	s_load_b128 s[4:7], s[0:1], 0x48
	v_and_b32_e32 v69, 15, v0
	v_lshrrev_b32_e32 v68, 5, v0
	v_and_b32_e32 v70, 31, v0
	v_and_b32_e32 v67, 1, v0
	v_bfe_u32 v66, v0, 4, 1
	v_lshlrev_b32_e32 v1, 3, v69
	s_lshl_b32 s31, s15, 2
	s_waitcnt lgkmcnt(0)
	s_mov_b32 s7, exec_lo
	s_delay_alu instid0(VALU_DEP_1)
	v_lshlrev_b32_e32 v65, 1, v1
	v_cmpx_gt_u32_e32 64, v0
	s_cbranch_execz .LBB1345_10
; %bb.9:
	v_lshl_or_b32 v5, v68, 1, v66
	s_load_b64 s[18:19], s[0:1], 0x0
	s_mul_hi_i32 s21, s13, s4
	s_mul_i32 s20, s13, s4
	v_lshlrev_b32_e32 v6, 10, v69
	v_or_b32_e32 v1, s31, v5
	s_lshl_b64 s[20:21], s[20:21], 1
	v_lshlrev_b32_e32 v5, 6, v5
	v_lshlrev_b32_e32 v7, 10, v67
	v_and_b32_e32 v6, 0x3800, v6
	v_lshlrev_b32_e32 v1, 7, v1
	s_delay_alu instid0(VALU_DEP_2) | instskip(NEXT) | instid1(VALU_DEP_2)
	v_or3_b32 v5, v6, v7, v5
	v_ashrrev_i32_e32 v2, 31, v1
	s_delay_alu instid0(VALU_DEP_1) | instskip(SKIP_3) | instid1(VALU_DEP_1)
	v_lshlrev_b64 v[1:2], 1, v[1:2]
	s_waitcnt lgkmcnt(0)
	s_add_u32 s4, s18, s20
	s_addc_u32 s13, s19, s21
	v_add_co_u32 v1, vcc_lo, s4, v1
	s_delay_alu instid0(VALU_DEP_2) | instskip(NEXT) | instid1(VALU_DEP_2)
	v_add_co_ci_u32_e32 v2, vcc_lo, s13, v2, vcc_lo
	v_add_co_u32 v1, vcc_lo, v1, v65
	s_delay_alu instid0(VALU_DEP_2)
	v_add_co_ci_u32_e32 v2, vcc_lo, 0, v2, vcc_lo
	global_load_b128 v[1:4], v[1:2], off
	s_waitcnt vmcnt(0)
	ds_store_b128 v5, v[1:4]
.LBB1345_10:
	s_or_b32 exec_lo, exec_lo, s7
	v_and_b32_e32 v1, 0xef, v0
	s_add_i32 s4, s17, 31
	s_clause 0x1
	s_load_b32 s7, s[0:1], 0x38
	s_load_b32 s33, s[0:1], 0x98
	s_ashr_i32 s13, s4, 31
	v_add_nc_u32_e32 v1, s12, v1
	s_lshr_b32 s13, s13, 27
	s_load_b32 s18, s[0:1], 0x1c
	s_add_i32 s4, s4, s13
	s_waitcnt lgkmcnt(0)
	v_ashrrev_i32_e32 v2, 31, v1
	v_or_b32_e32 v3, 16, v1
	s_ashr_i32 s4, s4, 5
	v_cmp_gt_i32_e32 vcc_lo, s17, v1
	s_add_i32 s4, s4, -1
	v_lshrrev_b32_e32 v2, 27, v2
	s_barrier
	buffer_gl0_inv
	s_mul_i32 s15, s15, s6
	v_add_nc_u32_e32 v4, v1, v2
	s_mul_i32 s20, s30, s7
	s_delay_alu instid0(SALU_CYCLE_1) | instskip(NEXT) | instid1(VALU_DEP_1)
	s_ashr_i32 s21, s20, 31
	v_ashrrev_i32_e32 v4, 5, v4
	v_add_nc_u32_e32 v2, v3, v2
	s_lshl_b64 s[20:21], s[20:21], 2
	s_delay_alu instid0(SALU_CYCLE_1) | instskip(NEXT) | instid1(VALU_DEP_2)
	s_add_u32 s13, s2, s20
	v_cndmask_b32_e32 v1, s4, v4, vcc_lo
	s_delay_alu instid0(VALU_DEP_2)
	v_ashrrev_i32_e32 v2, 5, v2
	v_cmp_gt_i32_e32 vcc_lo, s17, v3
	s_addc_u32 s16, s3, s21
	s_ashr_i32 s19, s15, 31
	s_add_u32 s2, s8, s15
	s_addc_u32 s3, s9, s19
	v_cndmask_b32_e32 v3, s4, v2, vcc_lo
	v_ashrrev_i32_e32 v2, 31, v1
	s_lshl_b32 s6, s14, 3
	s_delay_alu instid0(SALU_CYCLE_1) | instskip(NEXT) | instid1(VALU_DEP_2)
	s_ashr_i32 s7, s6, 31
	v_ashrrev_i32_e32 v4, 31, v3
	s_delay_alu instid0(VALU_DEP_2) | instskip(SKIP_1) | instid1(SALU_CYCLE_1)
	v_lshlrev_b64 v[1:2], 2, v[1:2]
	s_lshl_b64 s[6:7], s[6:7], 2
	s_add_u32 s6, s13, s6
	s_delay_alu instid0(VALU_DEP_2) | instskip(SKIP_1) | instid1(VALU_DEP_2)
	v_lshlrev_b64 v[3:4], 2, v[3:4]
	s_addc_u32 s7, s16, s7
	v_add_co_u32 v1, vcc_lo, s13, v1
	v_add_co_ci_u32_e32 v2, vcc_lo, s16, v2, vcc_lo
	s_delay_alu instid0(VALU_DEP_3) | instskip(NEXT) | instid1(VALU_DEP_4)
	v_add_co_u32 v3, vcc_lo, s13, v3
	v_add_co_ci_u32_e32 v4, vcc_lo, s16, v4, vcc_lo
	s_clause 0x1
	global_load_b32 v5, v[1:2], off
	global_load_b32 v6, v[3:4], off
	s_or_b32 s8, s12, 32
	s_delay_alu instid0(SALU_CYCLE_1) | instskip(SKIP_2) | instid1(SALU_CYCLE_1)
	s_ashr_i32 s9, s8, 5
	s_cmp_lt_i32 s8, s17
	s_cselect_b32 s8, s9, s4
	s_ashr_i32 s9, s8, 31
	s_delay_alu instid0(SALU_CYCLE_1) | instskip(NEXT) | instid1(SALU_CYCLE_1)
	s_lshl_b64 s[8:9], s[8:9], 2
	s_add_u32 s8, s13, s8
	s_addc_u32 s9, s16, s9
	s_or_b32 s20, s12, 64
	s_delay_alu instid0(SALU_CYCLE_1) | instskip(SKIP_2) | instid1(SALU_CYCLE_1)
	s_ashr_i32 s21, s20, 5
	s_cmp_lt_i32 s20, s17
	s_cselect_b32 s20, s21, s4
	s_ashr_i32 s21, s20, 31
	s_delay_alu instid0(SALU_CYCLE_1) | instskip(NEXT) | instid1(SALU_CYCLE_1)
	s_lshl_b64 s[20:21], s[20:21], 2
	s_add_u32 s20, s13, s20
	s_addc_u32 s21, s16, s21
	;; [unrolled: 10-line block ×5, first 2 shown]
	s_clause 0x5
	s_load_b32 s28, s[6:7], 0x0
	s_load_b32 s8, s[8:9], 0x0
	;; [unrolled: 1-line block ×6, first 2 shown]
	s_mov_b32 s20, 0
	s_delay_alu instid0(SALU_CYCLE_1)
	s_mov_b32 s21, s20
	s_mov_b32 s22, s20
	;; [unrolled: 1-line block ×7, first 2 shown]
	s_delay_alu instid0(SALU_CYCLE_1)
	v_dual_mov_b32 v102, s27 :: v_dual_mov_b32 v101, s26
	v_dual_mov_b32 v100, s25 :: v_dual_mov_b32 v99, s24
	v_mov_b32_e32 v97, s22
	v_dual_mov_b32 v95, s20 :: v_dual_mov_b32 v98, s23
	v_mov_b32_e32 v96, s21
	s_waitcnt vmcnt(1)
	v_mad_i64_i32 v[1:2], null, v5, s5, s[2:3]
	v_lshlrev_b32_e32 v5, 4, v69
	s_waitcnt vmcnt(0)
	v_mad_i64_i32 v[3:4], null, v6, s5, s[2:3]
	s_or_b32 s2, s12, 0xc0
	s_delay_alu instid0(SALU_CYCLE_1) | instskip(NEXT) | instid1(VALU_DEP_3)
	s_ashr_i32 s3, s2, 5
	v_add_co_u32 v33, vcc_lo, v1, v5
	s_delay_alu instid0(VALU_DEP_4) | instskip(NEXT) | instid1(VALU_DEP_3)
	v_add_co_ci_u32_e32 v34, vcc_lo, 0, v2, vcc_lo
	v_add_co_u32 v35, vcc_lo, v3, v5
	s_delay_alu instid0(VALU_DEP_4)
	v_add_co_ci_u32_e32 v36, vcc_lo, 0, v4, vcc_lo
	s_clause 0xf
	global_load_b128 v[1:4], v[33:34], off
	global_load_b128 v[5:8], v[33:34], off offset:512
	global_load_b128 v[9:12], v[35:36], off offset:256
	;; [unrolled: 1-line block ×15, first 2 shown]
	s_cmp_lt_i32 s2, s17
	v_and_b32_e32 v33, 3, v0
	s_cselect_b32 s2, s3, s4
	v_lshlrev_b32_e32 v34, 5, v69
	s_ashr_i32 s3, s2, 31
	s_delay_alu instid0(SALU_CYCLE_1)
	s_lshl_b64 s[2:3], s[2:3], 2
	v_lshlrev_b32_e32 v139, 6, v33
	s_add_u32 s2, s13, s2
	s_addc_u32 s3, s16, s3
	s_or_b32 s6, s12, 0xe0
	v_lshl_or_b32 v41, v68, 9, v34
	s_ashr_i32 s7, s6, 5
	s_cmp_lt_i32 s6, s17
	ds_load_b128 v[33:36], v139
	ds_load_b128 v[37:40], v139 offset:1024
	s_cselect_b32 s6, s7, s4
	ds_load_b128 v[103:106], v139 offset:2048
	ds_load_b128 v[107:110], v139 offset:3072
	s_ashr_i32 s7, s6, 31
	s_load_b32 s4, s[2:3], 0x0
	s_lshl_b64 s[6:7], s[6:7], 2
	ds_load_b128 v[111:114], v139 offset:4096
	ds_load_b128 v[115:118], v139 offset:5120
	s_add_u32 s2, s13, s6
	s_addc_u32 s3, s16, s7
	s_add_u32 s6, s10, s15
	s_load_b32 s2, s[2:3], 0x0
	s_addc_u32 s7, s11, s19
	v_add_co_u32 v127, s6, s6, v41
	s_delay_alu instid0(VALU_DEP_1) | instskip(SKIP_1) | instid1(VALU_DEP_1)
	v_add_co_ci_u32_e64 v128, null, s7, 0, s6
	s_waitcnt lgkmcnt(0)
	v_mad_i64_i32 v[41:42], null, s28, s5, v[127:128]
	v_mad_i64_i32 v[129:130], null, s9, s5, v[127:128]
	;; [unrolled: 1-line block ×7, first 2 shown]
	s_clause 0x3
	global_load_b128 v[49:52], v[41:42], off
	global_load_b128 v[53:56], v[41:42], off offset:16
	global_load_b128 v[41:44], v[45:46], off
	global_load_b128 v[45:48], v[45:46], off offset:16
	s_waitcnt vmcnt(18)
	v_wmma_f32_16x16x16_f16 v[119:126], v[1:8], v[33:40], v[95:102]
	s_waitcnt vmcnt(16)
	v_wmma_f32_16x16x16_f16 v[95:102], v[9:16], v[33:40], v[95:102]
	s_clause 0x3
	global_load_b128 v[33:36], v[129:130], off
	global_load_b128 v[37:40], v[129:130], off offset:16
	global_load_b128 v[1:4], v[131:132], off
	global_load_b128 v[5:8], v[131:132], off offset:16
	s_waitcnt vmcnt(18)
	v_wmma_f32_16x16x16_f16 v[119:126], v[17:24], v[103:110], v[119:126]
	s_clause 0x3
	global_load_b128 v[9:12], v[133:134], off
	global_load_b128 v[13:16], v[133:134], off offset:16
	global_load_b128 v[17:20], v[135:136], off
	global_load_b128 v[21:24], v[135:136], off offset:16
	s_waitcnt vmcnt(20)
	v_wmma_f32_16x16x16_f16 v[95:102], v[25:32], v[103:110], v[95:102]
	v_mad_i64_i32 v[103:104], null, s2, s5, v[127:128]
	s_waitcnt vmcnt(18)
	v_wmma_f32_16x16x16_f16 v[119:126], v[57:64], v[111:118], v[119:126]
	s_clause 0x3
	global_load_b128 v[25:28], v[137:138], off
	global_load_b128 v[29:32], v[137:138], off offset:16
	global_load_b128 v[57:60], v[103:104], off
	global_load_b128 v[61:64], v[103:104], off offset:16
	s_waitcnt vmcnt(20)
	v_wmma_f32_16x16x16_f16 v[95:102], v[71:78], v[111:118], v[95:102]
	ds_load_b128 v[71:74], v139 offset:6144
	ds_load_b128 v[75:78], v139 offset:7168
	v_mbcnt_lo_u32_b32 v104, -1, 0
	s_waitcnt vmcnt(0) lgkmcnt(0)
	s_barrier
	buffer_gl0_inv
	v_xor_b32_e32 v105, 16, v104
	s_delay_alu instid0(VALU_DEP_1) | instskip(SKIP_4) | instid1(VALU_DEP_2)
	v_cmp_gt_i32_e32 vcc_lo, 32, v105
	v_cndmask_b32_e32 v104, v104, v105, vcc_lo
	v_wmma_f32_16x16x16_f16 v[119:126], v[79:86], v[71:78], v[119:126]
	v_and_b32_e32 v103, 0xe0, v0
	v_wmma_f32_16x16x16_f16 v[95:102], v[87:94], v[71:78], v[95:102]
	v_dual_mul_f32 v78, s18, v121 :: v_dual_add_nc_u32 v103, s12, v103
	s_delay_alu instid0(VALU_DEP_2) | instskip(SKIP_1) | instid1(VALU_DEP_3)
	v_dual_mul_f32 v90, s18, v101 :: v_dual_mul_f32 v87, s18, v120
	v_dual_mul_f32 v88, s18, v119 :: v_dual_mul_f32 v77, s18, v122
	v_or_b32_e32 v103, v103, v66
	v_dual_mul_f32 v75, s18, v124 :: v_dual_mul_f32 v94, s18, v97
	v_dual_mul_f32 v76, s18, v123 :: v_dual_mul_f32 v73, s18, v126
	v_mul_f32_e32 v92, s18, v99
	s_delay_alu instid0(VALU_DEP_4)
	v_or_b32_e32 v105, 2, v103
	v_or_b32_e32 v106, 4, v103
	v_or_b32_e32 v107, 6, v103
	v_cmp_gt_i32_e64 s2, s17, v103
	v_or_b32_e32 v108, 8, v103
	v_cmp_gt_i32_e32 vcc_lo, s17, v105
	v_or_b32_e32 v109, 10, v103
	v_cmp_gt_i32_e64 s3, s17, v106
	v_cndmask_b32_e64 v88, 0xff7fffff, v88, s2
	v_cmp_gt_i32_e64 s4, s17, v107
	v_cndmask_b32_e32 v87, 0xff7fffff, v87, vcc_lo
	v_or_b32_e32 v79, 12, v103
	v_or_b32_e32 v80, 14, v103
	v_cndmask_b32_e64 v78, 0xff7fffff, v78, s3
	v_cndmask_b32_e64 v77, 0xff7fffff, v77, s4
	v_max3_f32 v87, v88, 0xff7fffff, v87
	v_cmp_gt_i32_e64 s5, s17, v108
	v_cmp_gt_i32_e64 s6, s17, v109
	v_or_b32_e32 v81, 16, v103
	v_or_b32_e32 v82, 18, v103
	v_mul_f32_e32 v74, s18, v125
	v_cndmask_b32_e64 v76, 0xff7fffff, v76, s5
	v_cndmask_b32_e64 v75, 0xff7fffff, v75, s6
	v_max3_f32 v77, v87, v78, v77
	v_cmp_gt_i32_e64 s7, s17, v79
	v_cmp_gt_i32_e64 s8, s17, v80
	v_or_b32_e32 v83, 20, v103
	v_or_b32_e32 v84, 22, v103
	;; [unrolled: 1-line block ×6, first 2 shown]
	v_mul_f32_e32 v105, s18, v96
	v_mul_f32_e32 v103, s18, v95
	v_cndmask_b32_e64 v74, 0xff7fffff, v74, s7
	v_cndmask_b32_e64 v73, 0xff7fffff, v73, s8
	v_max3_f32 v75, v77, v76, v75
	v_cmp_gt_i32_e64 s9, s17, v81
	v_cmp_gt_i32_e64 s10, s17, v82
	v_mul_f32_e32 v93, s18, v98
	v_cmp_gt_i32_e64 s11, s17, v83
	v_max3_f32 v73, v75, v74, v73
	v_cndmask_b32_e64 v76, 0xff7fffff, v103, s9
	v_cndmask_b32_e64 v77, 0xff7fffff, v105, s10
	v_cmp_gt_i32_e64 s12, s17, v84
	v_mul_f32_e32 v91, s18, v100
	v_cndmask_b32_e64 v74, 0xff7fffff, v94, s11
	v_cmp_gt_i32_e64 s13, s17, v85
	v_max3_f32 v73, v73, v76, v77
	v_cndmask_b32_e64 v75, 0xff7fffff, v93, s12
	v_cmp_gt_i32_e64 s15, s17, v86
	v_mul_f32_e32 v89, s18, v102
	v_cndmask_b32_e64 v76, 0xff7fffff, v92, s13
	v_cmp_gt_i32_e64 s16, s17, v71
	v_max3_f32 v73, v73, v74, v75
	v_cndmask_b32_e64 v77, 0xff7fffff, v91, s15
	v_cmp_gt_i32_e64 s17, s17, v72
	v_lshlrev_b32_e32 v74, 2, v104
	v_cndmask_b32_e64 v71, 0xff7fffff, v90, s16
	s_delay_alu instid0(VALU_DEP_4) | instskip(NEXT) | instid1(VALU_DEP_4)
	v_max3_f32 v73, v73, v76, v77
	v_cndmask_b32_e64 v72, 0xff7fffff, v89, s17
	s_delay_alu instid0(VALU_DEP_1) | instskip(SKIP_3) | instid1(VALU_DEP_1)
	v_max3_f32 v71, v73, v71, v72
	ds_bpermute_b32 v72, v74, v71
	s_waitcnt lgkmcnt(0)
	v_max_f32_e32 v72, v72, v72
	v_max_f32_e32 v71, v71, v72
	s_delay_alu instid0(VALU_DEP_1)
	v_fma_f32 v72, s18, v119, -v71
	v_fma_f32 v76, s18, v122, -v71
	;; [unrolled: 1-line block ×5, first 2 shown]
	v_mul_f32_e32 v72, 0x3fb8aa3b, v72
	v_mul_f32_e32 v76, 0x3fb8aa3b, v76
	v_fma_f32 v75, s18, v121, -v71
	v_mul_f32_e32 v79, 0x3fb8aa3b, v77
	v_mul_f32_e32 v85, 0x3fb8aa3b, v84
	v_exp_f32_e32 v72, v72
	v_exp_f32_e32 v76, v76
	v_fma_f32 v86, s18, v98, -v71
	v_exp_f32_e32 v82, v79
	v_exp_f32_e32 v85, v85
	v_fma_f32 v81, s18, v125, -v71
	s_delay_alu instid0(VALU_DEP_2) | instskip(SKIP_3) | instid1(TRANS32_DEP_3)
	v_mul_f32_e32 v87, 0x3fb8aa3b, v86
	v_cndmask_b32_e64 v78, 0, v72, s2
	v_fma_f32 v72, s18, v124, -v71
	v_mul_f32_e32 v73, 0x3fb8aa3b, v73
	v_cndmask_b32_e64 v79, 0, v76, s4
	v_fma_f32 v76, s18, v95, -v71
	s_delay_alu instid0(VALU_DEP_4) | instskip(NEXT) | instid1(VALU_DEP_4)
	v_dual_mul_f32 v75, 0x3fb8aa3b, v75 :: v_dual_mul_f32 v72, 0x3fb8aa3b, v72
	v_exp_f32_e32 v73, v73
	v_exp_f32_e32 v87, v87
	s_delay_alu instid0(VALU_DEP_2) | instskip(NEXT) | instid1(VALU_DEP_2)
	v_mul_f32_e32 v76, 0x3fb8aa3b, v76
	v_exp_f32_e32 v75, v75
	v_cndmask_b32_e64 v85, 0, v85, s10
	v_mul_f32_e32 v81, 0x3fb8aa3b, v81
	v_exp_f32_e32 v72, v72
	v_cndmask_b32_e64 v82, 0, v82, s5
	v_exp_f32_e32 v76, v76
	s_mov_b32 s2, exec_lo
	v_cndmask_b32_e32 v77, 0, v73, vcc_lo
	v_add_f32_e32 v73, 0, v78
	v_cndmask_b32_e64 v87, 0, v87, s12
	v_cndmask_b32_e64 v80, 0, v75, s3
	v_fma_f32 v75, s18, v126, -v71
	v_exp_f32_e32 v83, v81
	v_add_f32_e32 v73, v73, v77
	v_cndmask_b32_e64 v81, 0, v72, s6
	v_cndmask_b32_e64 v86, 0, v76, s9
	v_mul_f32_e32 v75, 0x3fb8aa3b, v75
	s_delay_alu instid0(VALU_DEP_4) | instskip(NEXT) | instid1(VALU_DEP_2)
	v_add_f32_e32 v73, v73, v80
	v_exp_f32_e32 v75, v75
	s_delay_alu instid0(TRANS32_DEP_2) | instskip(NEXT) | instid1(VALU_DEP_2)
	v_cndmask_b32_e64 v84, 0, v83, s7
	v_add_f32_e32 v73, v73, v79
	s_delay_alu instid0(VALU_DEP_1) | instskip(SKIP_3) | instid1(VALU_DEP_1)
	v_add_f32_e32 v72, v73, v82
	s_waitcnt_depctr 0xfff
	v_cndmask_b32_e64 v83, 0, v75, s8
	v_add_f32_e32 v72, v72, v81
	v_add_f32_e32 v72, v72, v84
	s_delay_alu instid0(VALU_DEP_1) | instskip(NEXT) | instid1(VALU_DEP_1)
	v_add_f32_e32 v72, v72, v83
	v_add_f32_e32 v72, v72, v86
	v_fma_f32 v73, s18, v97, -v71
	v_fma_f32 v75, s18, v99, -v71
	;; [unrolled: 1-line block ×4, first 2 shown]
	v_add_f32_e32 v72, v72, v85
	v_mul_f32_e32 v73, 0x3fb8aa3b, v73
	s_delay_alu instid0(VALU_DEP_4) | instskip(NEXT) | instid1(VALU_DEP_2)
	v_dual_mul_f32 v75, 0x3fb8aa3b, v75 :: v_dual_mul_f32 v76, 0x3fb8aa3b, v76
	v_exp_f32_e32 v73, v73
	s_delay_alu instid0(VALU_DEP_1) | instskip(NEXT) | instid1(VALU_DEP_1)
	v_exp_f32_e32 v75, v75
	v_exp_f32_e32 v76, v76
	s_delay_alu instid0(TRANS32_DEP_3)
	v_cndmask_b32_e64 v88, 0, v73, s11
	v_mul_f32_e32 v73, 0x3fb8aa3b, v89
	v_fma_f32 v89, s18, v102, -v71
	s_waitcnt_depctr 0xfff
	v_cndmask_b32_e64 v90, 0, v75, s13
	v_add_f32_e32 v72, v72, v88
	v_exp_f32_e32 v73, v73
	v_mul_f32_e32 v75, 0x3fb8aa3b, v89
	v_cndmask_b32_e64 v89, 0, v76, s15
	s_delay_alu instid0(VALU_DEP_3) | instskip(NEXT) | instid1(VALU_DEP_3)
	v_add_f32_e32 v72, v72, v87
	v_exp_f32_e32 v75, v75
	s_delay_alu instid0(VALU_DEP_1) | instskip(SKIP_4) | instid1(VALU_DEP_2)
	v_add_f32_e32 v72, v72, v90
	s_waitcnt_depctr 0xfff
	v_cndmask_b32_e64 v92, 0, v73, s16
	v_add_f32_e32 v72, v72, v89
	v_cndmask_b32_e64 v91, 0, v75, s17
	v_add_f32_e32 v72, v72, v92
	s_delay_alu instid0(VALU_DEP_1)
	v_add_f32_e32 v72, v72, v91
	ds_bpermute_b32 v73, v74, v72
	v_cmpx_gt_u32_e32 16, v70
	s_cbranch_execz .LBB1345_12
; %bb.11:
	v_mul_u32_u24_e32 v70, 0x44, v68
	s_waitcnt lgkmcnt(0)
	v_add_f32_e32 v72, v72, v73
	s_delay_alu instid0(VALU_DEP_2) | instskip(NEXT) | instid1(VALU_DEP_1)
	v_lshl_add_u32 v70, v69, 2, v70
	v_add_nc_u32_e32 v70, 0x4000, v70
	ds_store_2addr_b32 v70, v71, v72 offset1:136
.LBB1345_12:
	s_or_b32 exec_lo, exec_lo, s2
	v_lshlrev_b32_e32 v70, 2, v69
	s_load_b32 s34, s[0:1], 0x94
	s_waitcnt lgkmcnt(0)
	s_barrier
	buffer_gl0_inv
	v_add_nc_u32_e32 v74, 0x4000, v70
	v_cmp_eq_u32_e32 vcc_lo, 1, v68
	v_cmp_eq_u32_e64 s2, 2, v68
	v_cmp_eq_u32_e64 s3, 3, v68
	;; [unrolled: 1-line block ×3, first 2 shown]
	ds_load_2addr_b32 v[70:71], v74 offset1:17
	ds_load_2addr_b32 v[72:73], v74 offset0:34 offset1:51
	ds_load_2addr_b32 v[93:94], v74 offset0:68 offset1:85
	;; [unrolled: 1-line block ×3, first 2 shown]
	v_cmp_eq_u32_e64 s5, 5, v68
	v_cmp_eq_u32_e64 s6, 7, v68
	s_waitcnt lgkmcnt(3)
	v_max3_f32 v75, v70, 0xff7fffff, v71
	s_waitcnt lgkmcnt(2)
	s_delay_alu instid0(VALU_DEP_1) | instskip(SKIP_1) | instid1(VALU_DEP_1)
	v_max3_f32 v75, v75, v72, v73
	s_waitcnt lgkmcnt(1)
	v_max3_f32 v75, v75, v93, v94
	s_waitcnt lgkmcnt(0)
	s_delay_alu instid0(VALU_DEP_1) | instskip(NEXT) | instid1(VALU_DEP_1)
	v_max3_f32 v75, v75, v95, v96
	v_sub_f32_e32 v93, v93, v75
	ds_load_2addr_b32 v[97:98], v74 offset0:136 offset1:153
	v_sub_f32_e32 v70, v70, v75
	v_dual_sub_f32 v100, v73, v75 :: v_dual_mul_f32 v103, 0x3fb8aa3b, v93
	s_delay_alu instid0(VALU_DEP_2) | instskip(SKIP_3) | instid1(VALU_DEP_1)
	v_dual_sub_f32 v76, v71, v75 :: v_dual_mul_f32 v99, 0x3fb8aa3b, v70
	ds_load_2addr_b32 v[70:71], v74 offset0:170 offset1:187
	v_mul_f32_e32 v76, 0x3fb8aa3b, v76
	v_exp_f32_e32 v99, v99
	v_exp_f32_e32 v102, v76
	v_mul_f32_e32 v100, 0x3fb8aa3b, v100
	s_waitcnt lgkmcnt(1)
	s_waitcnt_depctr 0xfff
	v_fma_f32 v76, v99, v97, 0
	v_sub_f32_e32 v97, v94, v75
	v_sub_f32_e32 v72, v72, v75
	v_exp_f32_e32 v100, v100
	ds_load_2addr_b32 v[93:94], v74 offset0:238 offset1:255
	v_dual_fmac_f32 v76, v102, v98 :: v_dual_mul_f32 v101, 0x3fb8aa3b, v72
	ds_load_2addr_b32 v[72:73], v74 offset0:204 offset1:221
	v_dual_sub_f32 v74, v95, v75 :: v_dual_mul_f32 v95, 0x3fb8aa3b, v97
	v_exp_f32_e32 v97, v103
	v_exp_f32_e32 v101, v101
	s_waitcnt lgkmcnt(0)
	s_barrier
	v_exp_f32_e32 v95, v95
	buffer_gl0_inv
	v_fmac_f32_e32 v76, v101, v70
	v_sub_f32_e32 v70, v96, v75
	s_delay_alu instid0(VALU_DEP_2) | instskip(NEXT) | instid1(VALU_DEP_2)
	v_fmac_f32_e32 v76, v100, v71
	v_mul_f32_e32 v70, 0x3fb8aa3b, v70
	s_delay_alu instid0(VALU_DEP_2)
	v_dual_cndmask_b32 v71, v99, v102 :: v_dual_fmac_f32 v76, v97, v72
	v_lshlrev_b32_e32 v72, 6, v69
	v_lshlrev_b32_e32 v69, 2, v66
	v_mul_f32_e32 v74, 0x3fb8aa3b, v74
	v_exp_f32_e32 v98, v70
	v_fmac_f32_e32 v76, v95, v73
	s_delay_alu instid0(VALU_DEP_3) | instskip(NEXT) | instid1(VALU_DEP_3)
	v_cmp_eq_u32_e64 s7, 7, v69
	v_exp_f32_e32 v96, v74
	v_lshl_or_b32 v74, v68, 11, v72
	s_waitcnt_depctr 0xfff
	v_fmac_f32_e32 v76, v96, v93
	s_delay_alu instid0(VALU_DEP_1) | instskip(NEXT) | instid1(VALU_DEP_1)
	v_fmac_f32_e32 v76, v98, v94
	v_add_f32_e32 v73, 0x358637bd, v76
	s_delay_alu instid0(VALU_DEP_1) | instskip(SKIP_1) | instid1(VALU_DEP_2)
	v_div_scale_f32 v93, null, v73, v73, 1.0
	v_div_scale_f32 v99, vcc_lo, 1.0, v73, 1.0
	v_rcp_f32_e32 v94, v93
	s_waitcnt_depctr 0xfff
	v_fma_f32 v70, -v93, v94, 1.0
	s_delay_alu instid0(VALU_DEP_1)
	v_fmac_f32_e32 v94, v70, v94
	v_cndmask_b32_e64 v70, v71, v101, s2
	v_cmp_eq_u32_e64 s2, 6, v68
	v_or_b32_e32 v71, 1, v69
	v_or_b32_e32 v68, 2, v69
	v_mul_f32_e32 v101, v99, v94
	v_cndmask_b32_e64 v70, v70, v100, s3
	v_cmp_eq_u32_e64 s3, 1, v69
	v_cmp_eq_u32_e64 s8, 1, v71
	;; [unrolled: 1-line block ×3, first 2 shown]
	v_fma_f32 v100, -v93, v101, v99
	v_cndmask_b32_e64 v70, v70, v97, s4
	v_cmp_eq_u32_e64 s4, 2, v69
	v_cmp_eq_u32_e64 s11, 2, v71
	;; [unrolled: 1-line block ×3, first 2 shown]
	v_fmac_f32_e32 v101, v100, v94
	v_cndmask_b32_e64 v95, v70, v95, s5
	v_or_b32_e32 v70, 3, v69
	v_cmp_eq_u32_e64 s12, 3, v71
	v_cmp_eq_u32_e64 s16, 3, v68
	v_fma_f32 v93, -v93, v101, v99
	v_cndmask_b32_e64 v95, v95, v96, s2
	v_cmp_eq_u32_e64 s10, 1, v70
	v_cmp_eq_u32_e64 s15, 2, v70
	v_cmp_eq_u32_e64 s17, 3, v70
	v_div_fmas_f32 v93, v93, v94, v101
	v_cndmask_b32_e64 v94, v95, v98, s6
	v_cmp_eq_u32_e32 vcc_lo, 3, v69
	v_cmp_eq_u32_e64 s2, 4, v69
	v_cmp_eq_u32_e64 s18, 4, v71
	v_div_fixup_f32 v93, v93, v73, 1.0
	v_lshl_or_b32 v73, v66, 4, v74
	v_cmp_eq_u32_e64 s21, 4, v70
	v_cmp_eq_u32_e64 s5, 5, v69
	;; [unrolled: 1-line block ×3, first 2 shown]
	v_mul_f32_e32 v101, v94, v93
	v_cmp_eq_u32_e64 s20, 4, v68
	v_cmp_eq_u32_e64 s23, 5, v70
	;; [unrolled: 1-line block ×4, first 2 shown]
	v_fma_mixlo_f16 v93, v101, v78, 0
	v_fma_mixlo_f16 v94, v101, v80, 0
	;; [unrolled: 1-line block ×8, first 2 shown]
	v_fma_mixhi_f16 v93, v101, v77, 0
	v_fma_mixhi_f16 v94, v101, v79, 0
	;; [unrolled: 1-line block ×8, first 2 shown]
	ds_store_b128 v73, v[93:96]
	ds_store_b128 v73, v[97:100] offset:1024
	s_waitcnt lgkmcnt(0)
	s_barrier
	buffer_gl0_inv
	ds_load_b128 v[77:80], v74
	ds_load_b128 v[81:84], v74 offset:16
	ds_load_b128 v[85:88], v74 offset:1024
	;; [unrolled: 1-line block ×3, first 2 shown]
	v_cmp_eq_u32_e64 s26, 6, v70
	v_cmp_eq_u32_e64 s6, 6, v69
	;; [unrolled: 1-line block ×6, first 2 shown]
	s_waitcnt lgkmcnt(3)
	v_lshrrev_b32_e32 v93, 16, v77
	s_waitcnt lgkmcnt(2)
	v_lshrrev_b32_e32 v97, 16, v81
	;; [unrolled: 2-line block ×4, first 2 shown]
	v_lshrrev_b32_e32 v94, 16, v78
	v_cndmask_b32_e64 v109, v77, v93, s3
	v_cndmask_b32_e64 v110, v81, v97, s3
	;; [unrolled: 1-line block ×8, first 2 shown]
	v_lshrrev_b32_e32 v98, 16, v82
	v_cndmask_b32_e64 v93, v85, v101, s3
	v_cndmask_b32_e64 v97, v89, v105, s3
	;; [unrolled: 1-line block ×15, first 2 shown]
	v_lshrrev_b32_e32 v102, 16, v86
	v_lshrrev_b32_e32 v106, 16, v90
	v_cndmask_b32_e64 v112, v114, v82, s13
	v_cndmask_b32_e64 v81, v93, v86, s4
	;; [unrolled: 1-line block ×7, first 2 shown]
	v_cndmask_b32_e32 v89, v101, v94, vcc_lo
	v_cndmask_b32_e32 v101, v105, v98, vcc_lo
	v_cndmask_b32_e64 v105, v109, v94, s12
	v_cndmask_b32_e64 v109, v110, v98, s12
	;; [unrolled: 1-line block ×4, first 2 shown]
	v_lshrrev_b32_e32 v95, 16, v79
	v_lshrrev_b32_e32 v99, 16, v83
	v_cndmask_b32_e64 v110, v111, v94, s16
	v_cndmask_b32_e64 v111, v112, v98, s16
	v_cndmask_b32_e32 v81, v81, v102, vcc_lo
	v_cndmask_b32_e32 v82, v82, v106, vcc_lo
	v_cndmask_b32_e64 v93, v93, v102, s12
	v_cndmask_b32_e64 v89, v89, v79, s2
	v_cndmask_b32_e64 v94, v101, v83, s2
	v_cndmask_b32_e64 v98, v105, v79, s18
	v_cndmask_b32_e64 v101, v109, v83, s18
	v_cndmask_b32_e64 v77, v77, v79, s21
	v_cndmask_b32_e64 v78, v78, v83, s21
	v_lshrrev_b32_e32 v103, 16, v87
	v_cndmask_b32_e64 v105, v110, v79, s20
	v_cndmask_b32_e64 v109, v111, v83, s20
	;; [unrolled: 1-line block ×11, first 2 shown]
	v_lshrrev_b32_e32 v96, 16, v80
	v_lshrrev_b32_e32 v100, 16, v84
	v_cndmask_b32_e64 v98, v105, v95, s22
	v_cndmask_b32_e64 v101, v109, v99, s22
	;; [unrolled: 1-line block ×7, first 2 shown]
	v_lshrrev_b32_e32 v104, 16, v88
	v_cndmask_b32_e64 v79, v79, v103, s5
	v_cndmask_b32_e64 v83, v83, v80, s6
	v_cndmask_b32_e64 v89, v89, v84, s6
	v_cndmask_b32_e64 v95, v98, v80, s25
	v_cndmask_b32_e64 v98, v101, v84, s25
	v_cndmask_b32_e64 v80, v82, v88, s24
	v_cndmask_b32_e64 v84, v93, v96, s29
	v_cndmask_b32_e64 v77, v77, v96, s28
	v_cndmask_b32_e64 v78, v78, v100, s28
	v_cndmask_b32_e64 v94, v94, v100, s29
	v_cndmask_b32_e64 v79, v79, v88, s6
	v_cndmask_b32_e64 v82, v83, v96, s7
	v_cndmask_b32_e64 v83, v89, v100, s7
	v_cndmask_b32_e64 v89, v95, v96, s27
	v_cndmask_b32_e64 v93, v98, v100, s27
	v_cndmask_b32_e64 v96, v80, v104, s29
	v_perm_b32 v80, v78, v77, 0x5040100
	v_perm_b32 v78, v94, v84, 0x5040100
	v_cndmask_b32_e64 v77, v118, v90, s13
	v_cndmask_b32_e64 v84, v116, v90, s11
	;; [unrolled: 1-line block ×3, first 2 shown]
	v_perm_b32 v79, v93, v89, 0x5040100
	v_cndmask_b32_e64 v89, v97, v102, s16
	v_cndmask_b32_e64 v85, v85, v102, s17
	;; [unrolled: 1-line block ×5, first 2 shown]
	v_lshrrev_b32_e32 v107, 16, v91
	v_cndmask_b32_e64 v89, v89, v87, s20
	v_cndmask_b32_e64 v85, v85, v87, s21
	;; [unrolled: 1-line block ×11, first 2 shown]
	v_lshrrev_b32_e32 v108, 16, v92
	v_cndmask_b32_e64 v81, v81, v92, s6
	v_cndmask_b32_e64 v87, v87, v88, s25
	;; [unrolled: 1-line block ×12, first 2 shown]
	v_perm_b32 v77, v83, v82, 0x5040100
	v_perm_b32 v84, v86, v85, 0x5040100
	;; [unrolled: 1-line block ×5, first 2 shown]
	s_lshl_b32 s7, s33, 2
	s_mov_b32 s2, exec_lo
	ds_store_b128 v73, v[77:80]
	ds_store_b128 v73, v[81:84] offset:1024
	v_cmpx_gt_u32_e32 4, v0
	s_cbranch_execz .LBB1345_14
; %bb.13:
	v_or_b32_e32 v77, s31, v0
	s_load_b128 s[8:11], s[0:1], 0x58
	s_delay_alu instid0(VALU_DEP_1) | instskip(NEXT) | instid1(VALU_DEP_1)
	v_mad_u64_u32 v[78:79], null, s7, s30, v[77:78]
	v_mad_u64_u32 v[79:80], null, v78, s34, s[14:15]
	s_delay_alu instid0(VALU_DEP_1) | instskip(NEXT) | instid1(VALU_DEP_1)
	v_ashrrev_i32_e32 v80, 31, v79
	v_lshlrev_b64 v[77:78], 2, v[79:80]
	s_waitcnt lgkmcnt(0)
	s_delay_alu instid0(VALU_DEP_1) | instskip(NEXT) | instid1(VALU_DEP_2)
	v_add_co_u32 v79, vcc_lo, s10, v77
	v_add_co_ci_u32_e32 v80, vcc_lo, s11, v78, vcc_lo
	v_add_co_u32 v77, vcc_lo, s8, v77
	v_add_co_ci_u32_e32 v78, vcc_lo, s9, v78, vcc_lo
	global_store_b32 v[79:80], v75, off
	global_store_b32 v[77:78], v76, off
.LBB1345_14:
	s_or_b32 exec_lo, exec_lo, s2
	s_waitcnt lgkmcnt(0)
	s_waitcnt_vscnt null, 0x0
	s_barrier
	buffer_gl0_inv
	ds_load_b128 v[83:86], v72
	ds_load_b128 v[87:90], v72 offset:16
	ds_load_b128 v[95:98], v72 offset:2064
	;; [unrolled: 1-line block ×5, first 2 shown]
	v_cmp_eq_u32_e32 vcc_lo, 1, v69
	v_mov_b32_e32 v75, 0
	ds_load_b128 v[111:114], v72 offset:6160
	ds_load_b128 v[107:110], v72 offset:6144
	;; [unrolled: 1-line block ×4, first 2 shown]
	v_cmp_eq_u32_e64 s3, 1, v68
	v_cmp_eq_u32_e64 s2, 1, v71
	;; [unrolled: 1-line block ×3, first 2 shown]
	v_mov_b32_e32 v76, v75
	v_mov_b32_e32 v77, v75
	;; [unrolled: 1-line block ×7, first 2 shown]
	v_cmp_eq_u32_e64 s5, 3, v71
	v_cmp_eq_u32_e64 s6, 7, v71
	s_waitcnt lgkmcnt(8)
	s_delay_alu instid0(VALU_DEP_3)
	v_wmma_f32_16x16x16_f16 v[75:82], v[49:56], v[83:90], v[75:82]
	ds_load_b128 v[53:56], v72 offset:10256
	ds_load_b128 v[49:52], v72 offset:10240
	s_waitcnt lgkmcnt(8)
	v_wmma_f32_16x16x16_f16 v[75:82], v[41:48], v[91:98], v[75:82]
	ds_load_b128 v[45:48], v72 offset:12304
	ds_load_b128 v[41:44], v72 offset:12288
	s_waitcnt lgkmcnt(8)
	v_wmma_f32_16x16x16_f16 v[75:82], v[33:40], v[99:106], v[75:82]
	ds_load_b128 v[37:40], v72 offset:14352
	ds_load_b128 v[33:36], v72 offset:14336
	s_waitcnt lgkmcnt(0)
	s_barrier
	buffer_gl0_inv
	v_wmma_f32_16x16x16_f16 v[75:82], v[1:8], v[107:114], v[75:82]
	s_delay_alu instid0(VALU_DEP_1) | instskip(NEXT) | instid1(VALU_DEP_1)
	v_wmma_f32_16x16x16_f16 v[75:82], v[9:16], v[115:122], v[75:82]
	v_wmma_f32_16x16x16_f16 v[75:82], v[17:24], v[49:56], v[75:82]
	s_delay_alu instid0(VALU_DEP_1) | instskip(NEXT) | instid1(VALU_DEP_1)
	v_wmma_f32_16x16x16_f16 v[75:82], v[25:32], v[41:48], v[75:82]
	v_wmma_f32_16x16x16_f16 v[75:82], v[57:64], v[33:40], v[75:82]
	s_delay_alu instid0(VALU_DEP_1) | instskip(NEXT) | instid1(VALU_DEP_2)
	v_cvt_f16_f32_e32 v1, v75
	v_cvt_f16_f32_e32 v2, v76
	s_delay_alu instid0(VALU_DEP_3) | instskip(NEXT) | instid1(VALU_DEP_4)
	v_cvt_f16_f32_e32 v3, v77
	v_cvt_f16_f32_e32 v4, v78
	;; [unrolled: 1-line block ×6, first 2 shown]
	v_pack_b32_f16 v1, v1, v2
	v_pack_b32_f16 v2, v3, v4
	v_pack_b32_f16 v3, v5, v6
	s_delay_alu instid0(VALU_DEP_4)
	v_pack_b32_f16 v4, v7, v8
	ds_store_b128 v73, v[1:4]
	s_waitcnt lgkmcnt(0)
	s_barrier
	buffer_gl0_inv
	ds_load_b128 v[1:4], v74
	ds_load_b128 v[5:8], v74 offset:16
	s_waitcnt lgkmcnt(1)
	v_lshrrev_b32_e32 v9, 16, v1
	s_waitcnt lgkmcnt(0)
	v_lshrrev_b32_e32 v13, 16, v5
	v_lshrrev_b32_e32 v10, 16, v2
	;; [unrolled: 1-line block ×4, first 2 shown]
	v_cndmask_b32_e32 v17, v1, v9, vcc_lo
	v_cndmask_b32_e32 v18, v5, v13, vcc_lo
	v_cndmask_b32_e64 v21, v1, v9, s3
	v_cmp_eq_u32_e32 vcc_lo, 1, v70
	v_cndmask_b32_e64 v22, v5, v13, s3
	v_cmp_eq_u32_e64 s3, 2, v69
	v_cndmask_b32_e64 v19, v1, v9, s2
	v_cndmask_b32_e64 v20, v5, v13, s2
	v_cndmask_b32_e32 v1, v1, v9, vcc_lo
	v_cmp_eq_u32_e64 s2, 2, v70
	v_cndmask_b32_e32 v5, v5, v13, vcc_lo
	v_cndmask_b32_e64 v9, v17, v2, s3
	v_cmp_eq_u32_e32 vcc_lo, 3, v69
	v_cndmask_b32_e64 v13, v18, v6, s3
	v_cmp_eq_u32_e64 s3, 2, v68
	v_cndmask_b32_e64 v17, v19, v2, s4
	v_cndmask_b32_e64 v18, v20, v6, s4
	v_cmp_eq_u32_e64 s4, 3, v68
	v_cndmask_b32_e64 v1, v1, v2, s2
	v_cndmask_b32_e64 v19, v21, v2, s3
	;; [unrolled: 1-line block ×4, first 2 shown]
	v_cndmask_b32_e32 v5, v9, v10, vcc_lo
	v_cndmask_b32_e32 v6, v13, v14, vcc_lo
	v_cmp_eq_u32_e32 vcc_lo, 3, v70
	v_cndmask_b32_e64 v9, v17, v10, s5
	v_cndmask_b32_e64 v13, v18, v14, s5
	v_cndmask_b32_e64 v18, v20, v14, s4
	v_cmp_eq_u32_e64 s3, 4, v69
	v_cndmask_b32_e32 v1, v1, v10, vcc_lo
	v_cndmask_b32_e32 v2, v2, v14, vcc_lo
	v_cmp_eq_u32_e32 vcc_lo, 4, v71
	v_lshrrev_b32_e32 v15, 16, v7
	v_lshrrev_b32_e32 v16, 16, v8
	v_cndmask_b32_e64 v17, v19, v10, s4
	v_cmp_eq_u32_e64 s2, 4, v70
	v_cndmask_b32_e64 v5, v5, v3, s3
	v_cndmask_b32_e64 v6, v6, v7, s3
	v_cndmask_b32_e32 v9, v9, v3, vcc_lo
	v_cmp_eq_u32_e64 s3, 5, v71
	v_cndmask_b32_e32 v10, v13, v7, vcc_lo
	v_cmp_eq_u32_e32 vcc_lo, 4, v68
	v_cmp_eq_u32_e64 s4, 5, v69
	v_cndmask_b32_e64 v2, v2, v7, s2
	v_cndmask_b32_e64 v9, v9, v11, s3
	;; [unrolled: 1-line block ×3, first 2 shown]
	v_cndmask_b32_e32 v13, v17, v3, vcc_lo
	v_cmp_eq_u32_e64 s3, 5, v68
	v_cndmask_b32_e32 v14, v18, v7, vcc_lo
	v_cndmask_b32_e64 v1, v1, v3, s2
	v_cmp_eq_u32_e32 vcc_lo, 5, v70
	v_lshrrev_b32_e32 v12, 16, v4
	v_cndmask_b32_e64 v13, v13, v11, s3
	v_cndmask_b32_e64 v3, v14, v15, s3
	v_cmp_eq_u32_e64 s3, 6, v70
	v_cndmask_b32_e32 v1, v1, v11, vcc_lo
	v_cndmask_b32_e64 v5, v5, v11, s4
	v_cmp_eq_u32_e64 s5, 6, v69
	v_cndmask_b32_e64 v6, v6, v15, s4
	v_cmp_eq_u32_e64 s4, 6, v71
	v_cmp_eq_u32_e64 s2, 6, v68
	v_cndmask_b32_e64 v1, v1, v4, s3
	v_cndmask_b32_e32 v2, v2, v15, vcc_lo
	v_cmp_eq_u32_e32 vcc_lo, 7, v70
	v_cndmask_b32_e64 v5, v5, v4, s5
	v_cndmask_b32_e64 v9, v9, v4, s4
	;; [unrolled: 1-line block ×3, first 2 shown]
	v_cmp_eq_u32_e64 s5, 7, v69
	v_cndmask_b32_e32 v1, v1, v12, vcc_lo
	v_cndmask_b32_e64 v7, v13, v4, s2
	v_cndmask_b32_e64 v3, v3, v8, s2
	;; [unrolled: 1-line block ×3, first 2 shown]
	v_cmp_eq_u32_e64 s2, 7, v68
	v_cndmask_b32_e64 v4, v10, v8, s4
	v_cndmask_b32_e64 v5, v5, v12, s5
	;; [unrolled: 1-line block ×3, first 2 shown]
	v_cndmask_b32_e32 v2, v2, v16, vcc_lo
	v_cndmask_b32_e64 v7, v7, v12, s2
	v_cndmask_b32_e64 v3, v3, v16, s2
	;; [unrolled: 1-line block ×4, first 2 shown]
	v_perm_b32 v4, v2, v1, 0x5040100
	s_mov_b32 s2, exec_lo
	v_perm_b32 v3, v3, v7, 0x5040100
	v_perm_b32 v2, v8, v9, 0x5040100
	;; [unrolled: 1-line block ×3, first 2 shown]
	ds_store_b128 v73, v[1:4]
	s_waitcnt lgkmcnt(0)
	s_barrier
	buffer_gl0_inv
	v_cmpx_gt_u32_e32 32, v0
	s_cbranch_execz .LBB1345_2
; %bb.15:
	s_load_b64 s[0:1], s[0:1], 0x68
	v_lshlrev_b32_e32 v0, 10, v0
	v_or_b32_e32 v1, s31, v66
	s_lshl_b32 s4, s34, 7
	v_lshlrev_b32_e32 v2, 4, v67
	s_mul_i32 s2, s4, s30
	v_lshlrev_b32_e32 v3, 6, v66
	v_mul_lo_u32 v8, v1, s4
	v_and_b32_e32 v0, 0x3800, v0
	v_or_b32_e32 v1, 2, v1
	s_mul_i32 s2, s2, s7
	s_delay_alu instid0(SALU_CYCLE_1) | instskip(NEXT) | instid1(VALU_DEP_2)
	s_ashr_i32 s3, s2, 31
	v_or3_b32 v4, v0, v2, v3
	s_lshl_b64 s[2:3], s[2:3], 1
	v_mul_lo_u32 v10, v1, s4
	v_ashrrev_i32_e32 v9, 31, v8
	ds_load_b128 v[0:3], v4
	ds_load_b128 v[4:7], v4 offset:128
	s_waitcnt lgkmcnt(0)
	s_add_u32 s2, s0, s2
	s_addc_u32 s3, s1, s3
	s_lshl_b32 s0, s14, 7
	v_ashrrev_i32_e32 v11, 31, v10
	s_ashr_i32 s1, s0, 31
	v_lshlrev_b64 v[8:9], 1, v[8:9]
	s_lshl_b64 s[0:1], s[0:1], 1
	s_delay_alu instid0(SALU_CYCLE_1) | instskip(SKIP_2) | instid1(VALU_DEP_1)
	s_add_u32 s0, s2, s0
	s_addc_u32 s1, s3, s1
	v_add_co_u32 v12, s0, s0, v65
	v_add_co_ci_u32_e64 v13, null, s1, 0, s0
	v_lshlrev_b64 v[10:11], 1, v[10:11]
	s_delay_alu instid0(VALU_DEP_3) | instskip(NEXT) | instid1(VALU_DEP_3)
	v_add_co_u32 v8, vcc_lo, v12, v8
	v_add_co_ci_u32_e32 v9, vcc_lo, v13, v9, vcc_lo
	s_delay_alu instid0(VALU_DEP_3) | instskip(NEXT) | instid1(VALU_DEP_4)
	v_add_co_u32 v10, vcc_lo, v12, v10
	v_add_co_ci_u32_e32 v11, vcc_lo, v13, v11, vcc_lo
	s_clause 0x1
	global_store_b128 v[8:9], v[0:3], off
	global_store_b128 v[10:11], v[4:7], off
	s_nop 0
	s_sendmsg sendmsg(MSG_DEALLOC_VGPRS)
	s_endpgm
	.section	.rodata,"a",@progbits
	.p2align	6, 0x0
	.amdhsa_kernel _Z39paged_attention_ll4mi_QKV_mfma16_kernelIDF16_hLN4vllm18Fp8KVCacheDataTypeE1EDF16_Li32ELi128ELi256ELb0ELi4EL8MFMAType0EEvPKT_PKT0_S8_ifPKiSA_SA_iPKfiiiPfSD_PS3_PT2_iSC_SC_
		.amdhsa_group_segment_fixed_size 17472
		.amdhsa_private_segment_fixed_size 0
		.amdhsa_kernarg_size 400
		.amdhsa_user_sgpr_count 13
		.amdhsa_user_sgpr_dispatch_ptr 0
		.amdhsa_user_sgpr_queue_ptr 0
		.amdhsa_user_sgpr_kernarg_segment_ptr 1
		.amdhsa_user_sgpr_dispatch_id 0
		.amdhsa_user_sgpr_private_segment_size 0
		.amdhsa_wavefront_size32 1
		.amdhsa_uses_dynamic_stack 0
		.amdhsa_enable_private_segment 0
		.amdhsa_system_sgpr_workgroup_id_x 1
		.amdhsa_system_sgpr_workgroup_id_y 1
		.amdhsa_system_sgpr_workgroup_id_z 1
		.amdhsa_system_sgpr_workgroup_info 0
		.amdhsa_system_vgpr_workitem_id 0
		.amdhsa_next_free_vgpr 140
		.amdhsa_next_free_sgpr 36
		.amdhsa_reserve_vcc 1
		.amdhsa_float_round_mode_32 0
		.amdhsa_float_round_mode_16_64 0
		.amdhsa_float_denorm_mode_32 3
		.amdhsa_float_denorm_mode_16_64 3
		.amdhsa_dx10_clamp 1
		.amdhsa_ieee_mode 1
		.amdhsa_fp16_overflow 0
		.amdhsa_workgroup_processor_mode 1
		.amdhsa_memory_ordered 1
		.amdhsa_forward_progress 0
		.amdhsa_shared_vgpr_count 0
		.amdhsa_exception_fp_ieee_invalid_op 0
		.amdhsa_exception_fp_denorm_src 0
		.amdhsa_exception_fp_ieee_div_zero 0
		.amdhsa_exception_fp_ieee_overflow 0
		.amdhsa_exception_fp_ieee_underflow 0
		.amdhsa_exception_fp_ieee_inexact 0
		.amdhsa_exception_int_div_zero 0
	.end_amdhsa_kernel
	.section	.text._Z39paged_attention_ll4mi_QKV_mfma16_kernelIDF16_hLN4vllm18Fp8KVCacheDataTypeE1EDF16_Li32ELi128ELi256ELb0ELi4EL8MFMAType0EEvPKT_PKT0_S8_ifPKiSA_SA_iPKfiiiPfSD_PS3_PT2_iSC_SC_,"axG",@progbits,_Z39paged_attention_ll4mi_QKV_mfma16_kernelIDF16_hLN4vllm18Fp8KVCacheDataTypeE1EDF16_Li32ELi128ELi256ELb0ELi4EL8MFMAType0EEvPKT_PKT0_S8_ifPKiSA_SA_iPKfiiiPfSD_PS3_PT2_iSC_SC_,comdat
.Lfunc_end1345:
	.size	_Z39paged_attention_ll4mi_QKV_mfma16_kernelIDF16_hLN4vllm18Fp8KVCacheDataTypeE1EDF16_Li32ELi128ELi256ELb0ELi4EL8MFMAType0EEvPKT_PKT0_S8_ifPKiSA_SA_iPKfiiiPfSD_PS3_PT2_iSC_SC_, .Lfunc_end1345-_Z39paged_attention_ll4mi_QKV_mfma16_kernelIDF16_hLN4vllm18Fp8KVCacheDataTypeE1EDF16_Li32ELi128ELi256ELb0ELi4EL8MFMAType0EEvPKT_PKT0_S8_ifPKiSA_SA_iPKfiiiPfSD_PS3_PT2_iSC_SC_
                                        ; -- End function
	.section	.AMDGPU.csdata,"",@progbits
; Kernel info:
; codeLenInByte = 6504
; NumSgprs: 38
; NumVgprs: 140
; ScratchSize: 0
; MemoryBound: 0
; FloatMode: 240
; IeeeMode: 1
; LDSByteSize: 17472 bytes/workgroup (compile time only)
; SGPRBlocks: 4
; VGPRBlocks: 17
; NumSGPRsForWavesPerEU: 38
; NumVGPRsForWavesPerEU: 140
; Occupancy: 10
; WaveLimiterHint : 1
; COMPUTE_PGM_RSRC2:SCRATCH_EN: 0
; COMPUTE_PGM_RSRC2:USER_SGPR: 13
; COMPUTE_PGM_RSRC2:TRAP_HANDLER: 0
; COMPUTE_PGM_RSRC2:TGID_X_EN: 1
; COMPUTE_PGM_RSRC2:TGID_Y_EN: 1
; COMPUTE_PGM_RSRC2:TGID_Z_EN: 1
; COMPUTE_PGM_RSRC2:TIDIG_COMP_CNT: 0
	.section	.text._Z38paged_attention_ll4mi_QKV_mfma4_kernelI14__hip_bfloat16hLN4vllm18Fp8KVCacheDataTypeE1EhLi16ELi64ELi256ELb1ELi1EEvPKT_PKT0_S8_ifPKiSA_SA_iPKfiiiPfSD_PS3_PT2_iSC_SC_,"axG",@progbits,_Z38paged_attention_ll4mi_QKV_mfma4_kernelI14__hip_bfloat16hLN4vllm18Fp8KVCacheDataTypeE1EhLi16ELi64ELi256ELb1ELi1EEvPKT_PKT0_S8_ifPKiSA_SA_iPKfiiiPfSD_PS3_PT2_iSC_SC_,comdat
	.protected	_Z38paged_attention_ll4mi_QKV_mfma4_kernelI14__hip_bfloat16hLN4vllm18Fp8KVCacheDataTypeE1EhLi16ELi64ELi256ELb1ELi1EEvPKT_PKT0_S8_ifPKiSA_SA_iPKfiiiPfSD_PS3_PT2_iSC_SC_ ; -- Begin function _Z38paged_attention_ll4mi_QKV_mfma4_kernelI14__hip_bfloat16hLN4vllm18Fp8KVCacheDataTypeE1EhLi16ELi64ELi256ELb1ELi1EEvPKT_PKT0_S8_ifPKiSA_SA_iPKfiiiPfSD_PS3_PT2_iSC_SC_
	.globl	_Z38paged_attention_ll4mi_QKV_mfma4_kernelI14__hip_bfloat16hLN4vllm18Fp8KVCacheDataTypeE1EhLi16ELi64ELi256ELb1ELi1EEvPKT_PKT0_S8_ifPKiSA_SA_iPKfiiiPfSD_PS3_PT2_iSC_SC_
	.p2align	8
	.type	_Z38paged_attention_ll4mi_QKV_mfma4_kernelI14__hip_bfloat16hLN4vllm18Fp8KVCacheDataTypeE1EhLi16ELi64ELi256ELb1ELi1EEvPKT_PKT0_S8_ifPKiSA_SA_iPKfiiiPfSD_PS3_PT2_iSC_SC_,@function
_Z38paged_attention_ll4mi_QKV_mfma4_kernelI14__hip_bfloat16hLN4vllm18Fp8KVCacheDataTypeE1EhLi16ELi64ELi256ELb1ELi1EEvPKT_PKT0_S8_ifPKiSA_SA_iPKfiiiPfSD_PS3_PT2_iSC_SC_: ; @_Z38paged_attention_ll4mi_QKV_mfma4_kernelI14__hip_bfloat16hLN4vllm18Fp8KVCacheDataTypeE1EhLi16ELi64ELi256ELb1ELi1EEvPKT_PKT0_S8_ifPKiSA_SA_iPKfiiiPfSD_PS3_PT2_iSC_SC_
; %bb.0:
	s_add_u32 s8, s0, 0x90
	s_addc_u32 s9, s1, 0
	s_getpc_b64 s[0:1]
	s_add_u32 s0, s0, __PRETTY_FUNCTION__._Z38paged_attention_ll4mi_QKV_mfma4_kernelI14__hip_bfloat16hLN4vllm18Fp8KVCacheDataTypeE1EhLi16ELi64ELi256ELb1ELi1EEvPKT_PKT0_S8_ifPKiSA_SA_iPKfiiiPfSD_PS3_PT2_iSC_SC_@rel32@lo+4
	s_addc_u32 s1, s1, __PRETTY_FUNCTION__._Z38paged_attention_ll4mi_QKV_mfma4_kernelI14__hip_bfloat16hLN4vllm18Fp8KVCacheDataTypeE1EhLi16ELi64ELi256ELb1ELi1EEvPKT_PKT0_S8_ifPKiSA_SA_iPKfiiiPfSD_PS3_PT2_iSC_SC_@rel32@hi+12
	s_delay_alu instid0(SALU_CYCLE_1) | instskip(SKIP_4) | instid1(SALU_CYCLE_1)
	v_dual_mov_b32 v0, s0 :: v_dual_mov_b32 v1, s1
	s_mov_b32 s32, 0
	s_getpc_b64 s[2:3]
	s_add_u32 s2, s2, __assert_fail@rel32@lo+4
	s_addc_u32 s3, s3, __assert_fail@rel32@hi+12
	s_swappc_b64 s[30:31], s[2:3]
	.section	.rodata,"a",@progbits
	.p2align	6, 0x0
	.amdhsa_kernel _Z38paged_attention_ll4mi_QKV_mfma4_kernelI14__hip_bfloat16hLN4vllm18Fp8KVCacheDataTypeE1EhLi16ELi64ELi256ELb1ELi1EEvPKT_PKT0_S8_ifPKiSA_SA_iPKfiiiPfSD_PS3_PT2_iSC_SC_
		.amdhsa_group_segment_fixed_size 0
		.amdhsa_private_segment_fixed_size 64
		.amdhsa_kernarg_size 400
		.amdhsa_user_sgpr_count 15
		.amdhsa_user_sgpr_dispatch_ptr 0
		.amdhsa_user_sgpr_queue_ptr 0
		.amdhsa_user_sgpr_kernarg_segment_ptr 1
		.amdhsa_user_sgpr_dispatch_id 0
		.amdhsa_user_sgpr_private_segment_size 0
		.amdhsa_wavefront_size32 1
		.amdhsa_uses_dynamic_stack 0
		.amdhsa_enable_private_segment 1
		.amdhsa_system_sgpr_workgroup_id_x 1
		.amdhsa_system_sgpr_workgroup_id_y 0
		.amdhsa_system_sgpr_workgroup_id_z 0
		.amdhsa_system_sgpr_workgroup_info 0
		.amdhsa_system_vgpr_workitem_id 0
		.amdhsa_next_free_vgpr 41
		.amdhsa_next_free_sgpr 34
		.amdhsa_reserve_vcc 1
		.amdhsa_float_round_mode_32 0
		.amdhsa_float_round_mode_16_64 0
		.amdhsa_float_denorm_mode_32 3
		.amdhsa_float_denorm_mode_16_64 3
		.amdhsa_dx10_clamp 1
		.amdhsa_ieee_mode 1
		.amdhsa_fp16_overflow 0
		.amdhsa_workgroup_processor_mode 1
		.amdhsa_memory_ordered 1
		.amdhsa_forward_progress 0
		.amdhsa_shared_vgpr_count 0
		.amdhsa_exception_fp_ieee_invalid_op 0
		.amdhsa_exception_fp_denorm_src 0
		.amdhsa_exception_fp_ieee_div_zero 0
		.amdhsa_exception_fp_ieee_overflow 0
		.amdhsa_exception_fp_ieee_underflow 0
		.amdhsa_exception_fp_ieee_inexact 0
		.amdhsa_exception_int_div_zero 0
	.end_amdhsa_kernel
	.section	.text._Z38paged_attention_ll4mi_QKV_mfma4_kernelI14__hip_bfloat16hLN4vllm18Fp8KVCacheDataTypeE1EhLi16ELi64ELi256ELb1ELi1EEvPKT_PKT0_S8_ifPKiSA_SA_iPKfiiiPfSD_PS3_PT2_iSC_SC_,"axG",@progbits,_Z38paged_attention_ll4mi_QKV_mfma4_kernelI14__hip_bfloat16hLN4vllm18Fp8KVCacheDataTypeE1EhLi16ELi64ELi256ELb1ELi1EEvPKT_PKT0_S8_ifPKiSA_SA_iPKfiiiPfSD_PS3_PT2_iSC_SC_,comdat
.Lfunc_end1346:
	.size	_Z38paged_attention_ll4mi_QKV_mfma4_kernelI14__hip_bfloat16hLN4vllm18Fp8KVCacheDataTypeE1EhLi16ELi64ELi256ELb1ELi1EEvPKT_PKT0_S8_ifPKiSA_SA_iPKfiiiPfSD_PS3_PT2_iSC_SC_, .Lfunc_end1346-_Z38paged_attention_ll4mi_QKV_mfma4_kernelI14__hip_bfloat16hLN4vllm18Fp8KVCacheDataTypeE1EhLi16ELi64ELi256ELb1ELi1EEvPKT_PKT0_S8_ifPKiSA_SA_iPKfiiiPfSD_PS3_PT2_iSC_SC_
                                        ; -- End function
	.section	.AMDGPU.csdata,"",@progbits
; Kernel info:
; codeLenInByte = 72
; NumSgprs: 36
; NumVgprs: 41
; ScratchSize: 64
; MemoryBound: 0
; FloatMode: 240
; IeeeMode: 1
; LDSByteSize: 0 bytes/workgroup (compile time only)
; SGPRBlocks: 4
; VGPRBlocks: 5
; NumSGPRsForWavesPerEU: 36
; NumVGPRsForWavesPerEU: 41
; Occupancy: 16
; WaveLimiterHint : 1
; COMPUTE_PGM_RSRC2:SCRATCH_EN: 1
; COMPUTE_PGM_RSRC2:USER_SGPR: 15
; COMPUTE_PGM_RSRC2:TRAP_HANDLER: 0
; COMPUTE_PGM_RSRC2:TGID_X_EN: 1
; COMPUTE_PGM_RSRC2:TGID_Y_EN: 0
; COMPUTE_PGM_RSRC2:TGID_Z_EN: 0
; COMPUTE_PGM_RSRC2:TIDIG_COMP_CNT: 0
	.section	.text._Z38paged_attention_ll4mi_QKV_mfma4_kernelI14__hip_bfloat16hLN4vllm18Fp8KVCacheDataTypeE1EhLi16ELi64ELi256ELb1ELi2EEvPKT_PKT0_S8_ifPKiSA_SA_iPKfiiiPfSD_PS3_PT2_iSC_SC_,"axG",@progbits,_Z38paged_attention_ll4mi_QKV_mfma4_kernelI14__hip_bfloat16hLN4vllm18Fp8KVCacheDataTypeE1EhLi16ELi64ELi256ELb1ELi2EEvPKT_PKT0_S8_ifPKiSA_SA_iPKfiiiPfSD_PS3_PT2_iSC_SC_,comdat
	.protected	_Z38paged_attention_ll4mi_QKV_mfma4_kernelI14__hip_bfloat16hLN4vllm18Fp8KVCacheDataTypeE1EhLi16ELi64ELi256ELb1ELi2EEvPKT_PKT0_S8_ifPKiSA_SA_iPKfiiiPfSD_PS3_PT2_iSC_SC_ ; -- Begin function _Z38paged_attention_ll4mi_QKV_mfma4_kernelI14__hip_bfloat16hLN4vllm18Fp8KVCacheDataTypeE1EhLi16ELi64ELi256ELb1ELi2EEvPKT_PKT0_S8_ifPKiSA_SA_iPKfiiiPfSD_PS3_PT2_iSC_SC_
	.globl	_Z38paged_attention_ll4mi_QKV_mfma4_kernelI14__hip_bfloat16hLN4vllm18Fp8KVCacheDataTypeE1EhLi16ELi64ELi256ELb1ELi2EEvPKT_PKT0_S8_ifPKiSA_SA_iPKfiiiPfSD_PS3_PT2_iSC_SC_
	.p2align	8
	.type	_Z38paged_attention_ll4mi_QKV_mfma4_kernelI14__hip_bfloat16hLN4vllm18Fp8KVCacheDataTypeE1EhLi16ELi64ELi256ELb1ELi2EEvPKT_PKT0_S8_ifPKiSA_SA_iPKfiiiPfSD_PS3_PT2_iSC_SC_,@function
_Z38paged_attention_ll4mi_QKV_mfma4_kernelI14__hip_bfloat16hLN4vllm18Fp8KVCacheDataTypeE1EhLi16ELi64ELi256ELb1ELi2EEvPKT_PKT0_S8_ifPKiSA_SA_iPKfiiiPfSD_PS3_PT2_iSC_SC_: ; @_Z38paged_attention_ll4mi_QKV_mfma4_kernelI14__hip_bfloat16hLN4vllm18Fp8KVCacheDataTypeE1EhLi16ELi64ELi256ELb1ELi2EEvPKT_PKT0_S8_ifPKiSA_SA_iPKfiiiPfSD_PS3_PT2_iSC_SC_
; %bb.0:
	s_add_u32 s8, s0, 0x90
	s_addc_u32 s9, s1, 0
	s_getpc_b64 s[0:1]
	s_add_u32 s0, s0, __PRETTY_FUNCTION__._Z38paged_attention_ll4mi_QKV_mfma4_kernelI14__hip_bfloat16hLN4vllm18Fp8KVCacheDataTypeE1EhLi16ELi64ELi256ELb1ELi2EEvPKT_PKT0_S8_ifPKiSA_SA_iPKfiiiPfSD_PS3_PT2_iSC_SC_@rel32@lo+4
	s_addc_u32 s1, s1, __PRETTY_FUNCTION__._Z38paged_attention_ll4mi_QKV_mfma4_kernelI14__hip_bfloat16hLN4vllm18Fp8KVCacheDataTypeE1EhLi16ELi64ELi256ELb1ELi2EEvPKT_PKT0_S8_ifPKiSA_SA_iPKfiiiPfSD_PS3_PT2_iSC_SC_@rel32@hi+12
	s_delay_alu instid0(SALU_CYCLE_1) | instskip(SKIP_4) | instid1(SALU_CYCLE_1)
	v_dual_mov_b32 v0, s0 :: v_dual_mov_b32 v1, s1
	s_mov_b32 s32, 0
	s_getpc_b64 s[2:3]
	s_add_u32 s2, s2, __assert_fail@rel32@lo+4
	s_addc_u32 s3, s3, __assert_fail@rel32@hi+12
	s_swappc_b64 s[30:31], s[2:3]
	.section	.rodata,"a",@progbits
	.p2align	6, 0x0
	.amdhsa_kernel _Z38paged_attention_ll4mi_QKV_mfma4_kernelI14__hip_bfloat16hLN4vllm18Fp8KVCacheDataTypeE1EhLi16ELi64ELi256ELb1ELi2EEvPKT_PKT0_S8_ifPKiSA_SA_iPKfiiiPfSD_PS3_PT2_iSC_SC_
		.amdhsa_group_segment_fixed_size 0
		.amdhsa_private_segment_fixed_size 64
		.amdhsa_kernarg_size 400
		.amdhsa_user_sgpr_count 15
		.amdhsa_user_sgpr_dispatch_ptr 0
		.amdhsa_user_sgpr_queue_ptr 0
		.amdhsa_user_sgpr_kernarg_segment_ptr 1
		.amdhsa_user_sgpr_dispatch_id 0
		.amdhsa_user_sgpr_private_segment_size 0
		.amdhsa_wavefront_size32 1
		.amdhsa_uses_dynamic_stack 0
		.amdhsa_enable_private_segment 1
		.amdhsa_system_sgpr_workgroup_id_x 1
		.amdhsa_system_sgpr_workgroup_id_y 0
		.amdhsa_system_sgpr_workgroup_id_z 0
		.amdhsa_system_sgpr_workgroup_info 0
		.amdhsa_system_vgpr_workitem_id 0
		.amdhsa_next_free_vgpr 41
		.amdhsa_next_free_sgpr 34
		.amdhsa_reserve_vcc 1
		.amdhsa_float_round_mode_32 0
		.amdhsa_float_round_mode_16_64 0
		.amdhsa_float_denorm_mode_32 3
		.amdhsa_float_denorm_mode_16_64 3
		.amdhsa_dx10_clamp 1
		.amdhsa_ieee_mode 1
		.amdhsa_fp16_overflow 0
		.amdhsa_workgroup_processor_mode 1
		.amdhsa_memory_ordered 1
		.amdhsa_forward_progress 0
		.amdhsa_shared_vgpr_count 0
		.amdhsa_exception_fp_ieee_invalid_op 0
		.amdhsa_exception_fp_denorm_src 0
		.amdhsa_exception_fp_ieee_div_zero 0
		.amdhsa_exception_fp_ieee_overflow 0
		.amdhsa_exception_fp_ieee_underflow 0
		.amdhsa_exception_fp_ieee_inexact 0
		.amdhsa_exception_int_div_zero 0
	.end_amdhsa_kernel
	.section	.text._Z38paged_attention_ll4mi_QKV_mfma4_kernelI14__hip_bfloat16hLN4vllm18Fp8KVCacheDataTypeE1EhLi16ELi64ELi256ELb1ELi2EEvPKT_PKT0_S8_ifPKiSA_SA_iPKfiiiPfSD_PS3_PT2_iSC_SC_,"axG",@progbits,_Z38paged_attention_ll4mi_QKV_mfma4_kernelI14__hip_bfloat16hLN4vllm18Fp8KVCacheDataTypeE1EhLi16ELi64ELi256ELb1ELi2EEvPKT_PKT0_S8_ifPKiSA_SA_iPKfiiiPfSD_PS3_PT2_iSC_SC_,comdat
.Lfunc_end1347:
	.size	_Z38paged_attention_ll4mi_QKV_mfma4_kernelI14__hip_bfloat16hLN4vllm18Fp8KVCacheDataTypeE1EhLi16ELi64ELi256ELb1ELi2EEvPKT_PKT0_S8_ifPKiSA_SA_iPKfiiiPfSD_PS3_PT2_iSC_SC_, .Lfunc_end1347-_Z38paged_attention_ll4mi_QKV_mfma4_kernelI14__hip_bfloat16hLN4vllm18Fp8KVCacheDataTypeE1EhLi16ELi64ELi256ELb1ELi2EEvPKT_PKT0_S8_ifPKiSA_SA_iPKfiiiPfSD_PS3_PT2_iSC_SC_
                                        ; -- End function
	.section	.AMDGPU.csdata,"",@progbits
; Kernel info:
; codeLenInByte = 72
; NumSgprs: 36
; NumVgprs: 41
; ScratchSize: 64
; MemoryBound: 0
; FloatMode: 240
; IeeeMode: 1
; LDSByteSize: 0 bytes/workgroup (compile time only)
; SGPRBlocks: 4
; VGPRBlocks: 5
; NumSGPRsForWavesPerEU: 36
; NumVGPRsForWavesPerEU: 41
; Occupancy: 16
; WaveLimiterHint : 1
; COMPUTE_PGM_RSRC2:SCRATCH_EN: 1
; COMPUTE_PGM_RSRC2:USER_SGPR: 15
; COMPUTE_PGM_RSRC2:TRAP_HANDLER: 0
; COMPUTE_PGM_RSRC2:TGID_X_EN: 1
; COMPUTE_PGM_RSRC2:TGID_Y_EN: 0
; COMPUTE_PGM_RSRC2:TGID_Z_EN: 0
; COMPUTE_PGM_RSRC2:TIDIG_COMP_CNT: 0
	.section	.text._Z38paged_attention_ll4mi_QKV_mfma4_kernelI14__hip_bfloat16hLN4vllm18Fp8KVCacheDataTypeE1EhLi16ELi64ELi256ELb1ELi3EEvPKT_PKT0_S8_ifPKiSA_SA_iPKfiiiPfSD_PS3_PT2_iSC_SC_,"axG",@progbits,_Z38paged_attention_ll4mi_QKV_mfma4_kernelI14__hip_bfloat16hLN4vllm18Fp8KVCacheDataTypeE1EhLi16ELi64ELi256ELb1ELi3EEvPKT_PKT0_S8_ifPKiSA_SA_iPKfiiiPfSD_PS3_PT2_iSC_SC_,comdat
	.protected	_Z38paged_attention_ll4mi_QKV_mfma4_kernelI14__hip_bfloat16hLN4vllm18Fp8KVCacheDataTypeE1EhLi16ELi64ELi256ELb1ELi3EEvPKT_PKT0_S8_ifPKiSA_SA_iPKfiiiPfSD_PS3_PT2_iSC_SC_ ; -- Begin function _Z38paged_attention_ll4mi_QKV_mfma4_kernelI14__hip_bfloat16hLN4vllm18Fp8KVCacheDataTypeE1EhLi16ELi64ELi256ELb1ELi3EEvPKT_PKT0_S8_ifPKiSA_SA_iPKfiiiPfSD_PS3_PT2_iSC_SC_
	.globl	_Z38paged_attention_ll4mi_QKV_mfma4_kernelI14__hip_bfloat16hLN4vllm18Fp8KVCacheDataTypeE1EhLi16ELi64ELi256ELb1ELi3EEvPKT_PKT0_S8_ifPKiSA_SA_iPKfiiiPfSD_PS3_PT2_iSC_SC_
	.p2align	8
	.type	_Z38paged_attention_ll4mi_QKV_mfma4_kernelI14__hip_bfloat16hLN4vllm18Fp8KVCacheDataTypeE1EhLi16ELi64ELi256ELb1ELi3EEvPKT_PKT0_S8_ifPKiSA_SA_iPKfiiiPfSD_PS3_PT2_iSC_SC_,@function
_Z38paged_attention_ll4mi_QKV_mfma4_kernelI14__hip_bfloat16hLN4vllm18Fp8KVCacheDataTypeE1EhLi16ELi64ELi256ELb1ELi3EEvPKT_PKT0_S8_ifPKiSA_SA_iPKfiiiPfSD_PS3_PT2_iSC_SC_: ; @_Z38paged_attention_ll4mi_QKV_mfma4_kernelI14__hip_bfloat16hLN4vllm18Fp8KVCacheDataTypeE1EhLi16ELi64ELi256ELb1ELi3EEvPKT_PKT0_S8_ifPKiSA_SA_iPKfiiiPfSD_PS3_PT2_iSC_SC_
; %bb.0:
	s_add_u32 s8, s0, 0x90
	s_addc_u32 s9, s1, 0
	s_getpc_b64 s[0:1]
	s_add_u32 s0, s0, __PRETTY_FUNCTION__._Z38paged_attention_ll4mi_QKV_mfma4_kernelI14__hip_bfloat16hLN4vllm18Fp8KVCacheDataTypeE1EhLi16ELi64ELi256ELb1ELi3EEvPKT_PKT0_S8_ifPKiSA_SA_iPKfiiiPfSD_PS3_PT2_iSC_SC_@rel32@lo+4
	s_addc_u32 s1, s1, __PRETTY_FUNCTION__._Z38paged_attention_ll4mi_QKV_mfma4_kernelI14__hip_bfloat16hLN4vllm18Fp8KVCacheDataTypeE1EhLi16ELi64ELi256ELb1ELi3EEvPKT_PKT0_S8_ifPKiSA_SA_iPKfiiiPfSD_PS3_PT2_iSC_SC_@rel32@hi+12
	s_delay_alu instid0(SALU_CYCLE_1) | instskip(SKIP_4) | instid1(SALU_CYCLE_1)
	v_dual_mov_b32 v0, s0 :: v_dual_mov_b32 v1, s1
	s_mov_b32 s32, 0
	s_getpc_b64 s[2:3]
	s_add_u32 s2, s2, __assert_fail@rel32@lo+4
	s_addc_u32 s3, s3, __assert_fail@rel32@hi+12
	s_swappc_b64 s[30:31], s[2:3]
	.section	.rodata,"a",@progbits
	.p2align	6, 0x0
	.amdhsa_kernel _Z38paged_attention_ll4mi_QKV_mfma4_kernelI14__hip_bfloat16hLN4vllm18Fp8KVCacheDataTypeE1EhLi16ELi64ELi256ELb1ELi3EEvPKT_PKT0_S8_ifPKiSA_SA_iPKfiiiPfSD_PS3_PT2_iSC_SC_
		.amdhsa_group_segment_fixed_size 0
		.amdhsa_private_segment_fixed_size 64
		.amdhsa_kernarg_size 400
		.amdhsa_user_sgpr_count 15
		.amdhsa_user_sgpr_dispatch_ptr 0
		.amdhsa_user_sgpr_queue_ptr 0
		.amdhsa_user_sgpr_kernarg_segment_ptr 1
		.amdhsa_user_sgpr_dispatch_id 0
		.amdhsa_user_sgpr_private_segment_size 0
		.amdhsa_wavefront_size32 1
		.amdhsa_uses_dynamic_stack 0
		.amdhsa_enable_private_segment 1
		.amdhsa_system_sgpr_workgroup_id_x 1
		.amdhsa_system_sgpr_workgroup_id_y 0
		.amdhsa_system_sgpr_workgroup_id_z 0
		.amdhsa_system_sgpr_workgroup_info 0
		.amdhsa_system_vgpr_workitem_id 0
		.amdhsa_next_free_vgpr 41
		.amdhsa_next_free_sgpr 34
		.amdhsa_reserve_vcc 1
		.amdhsa_float_round_mode_32 0
		.amdhsa_float_round_mode_16_64 0
		.amdhsa_float_denorm_mode_32 3
		.amdhsa_float_denorm_mode_16_64 3
		.amdhsa_dx10_clamp 1
		.amdhsa_ieee_mode 1
		.amdhsa_fp16_overflow 0
		.amdhsa_workgroup_processor_mode 1
		.amdhsa_memory_ordered 1
		.amdhsa_forward_progress 0
		.amdhsa_shared_vgpr_count 0
		.amdhsa_exception_fp_ieee_invalid_op 0
		.amdhsa_exception_fp_denorm_src 0
		.amdhsa_exception_fp_ieee_div_zero 0
		.amdhsa_exception_fp_ieee_overflow 0
		.amdhsa_exception_fp_ieee_underflow 0
		.amdhsa_exception_fp_ieee_inexact 0
		.amdhsa_exception_int_div_zero 0
	.end_amdhsa_kernel
	.section	.text._Z38paged_attention_ll4mi_QKV_mfma4_kernelI14__hip_bfloat16hLN4vllm18Fp8KVCacheDataTypeE1EhLi16ELi64ELi256ELb1ELi3EEvPKT_PKT0_S8_ifPKiSA_SA_iPKfiiiPfSD_PS3_PT2_iSC_SC_,"axG",@progbits,_Z38paged_attention_ll4mi_QKV_mfma4_kernelI14__hip_bfloat16hLN4vllm18Fp8KVCacheDataTypeE1EhLi16ELi64ELi256ELb1ELi3EEvPKT_PKT0_S8_ifPKiSA_SA_iPKfiiiPfSD_PS3_PT2_iSC_SC_,comdat
.Lfunc_end1348:
	.size	_Z38paged_attention_ll4mi_QKV_mfma4_kernelI14__hip_bfloat16hLN4vllm18Fp8KVCacheDataTypeE1EhLi16ELi64ELi256ELb1ELi3EEvPKT_PKT0_S8_ifPKiSA_SA_iPKfiiiPfSD_PS3_PT2_iSC_SC_, .Lfunc_end1348-_Z38paged_attention_ll4mi_QKV_mfma4_kernelI14__hip_bfloat16hLN4vllm18Fp8KVCacheDataTypeE1EhLi16ELi64ELi256ELb1ELi3EEvPKT_PKT0_S8_ifPKiSA_SA_iPKfiiiPfSD_PS3_PT2_iSC_SC_
                                        ; -- End function
	.section	.AMDGPU.csdata,"",@progbits
; Kernel info:
; codeLenInByte = 72
; NumSgprs: 36
; NumVgprs: 41
; ScratchSize: 64
; MemoryBound: 0
; FloatMode: 240
; IeeeMode: 1
; LDSByteSize: 0 bytes/workgroup (compile time only)
; SGPRBlocks: 4
; VGPRBlocks: 5
; NumSGPRsForWavesPerEU: 36
; NumVGPRsForWavesPerEU: 41
; Occupancy: 16
; WaveLimiterHint : 1
; COMPUTE_PGM_RSRC2:SCRATCH_EN: 1
; COMPUTE_PGM_RSRC2:USER_SGPR: 15
; COMPUTE_PGM_RSRC2:TRAP_HANDLER: 0
; COMPUTE_PGM_RSRC2:TGID_X_EN: 1
; COMPUTE_PGM_RSRC2:TGID_Y_EN: 0
; COMPUTE_PGM_RSRC2:TGID_Z_EN: 0
; COMPUTE_PGM_RSRC2:TIDIG_COMP_CNT: 0
	.section	.text._Z38paged_attention_ll4mi_QKV_mfma4_kernelI14__hip_bfloat16hLN4vllm18Fp8KVCacheDataTypeE1EhLi16ELi64ELi256ELb1ELi4EEvPKT_PKT0_S8_ifPKiSA_SA_iPKfiiiPfSD_PS3_PT2_iSC_SC_,"axG",@progbits,_Z38paged_attention_ll4mi_QKV_mfma4_kernelI14__hip_bfloat16hLN4vllm18Fp8KVCacheDataTypeE1EhLi16ELi64ELi256ELb1ELi4EEvPKT_PKT0_S8_ifPKiSA_SA_iPKfiiiPfSD_PS3_PT2_iSC_SC_,comdat
	.protected	_Z38paged_attention_ll4mi_QKV_mfma4_kernelI14__hip_bfloat16hLN4vllm18Fp8KVCacheDataTypeE1EhLi16ELi64ELi256ELb1ELi4EEvPKT_PKT0_S8_ifPKiSA_SA_iPKfiiiPfSD_PS3_PT2_iSC_SC_ ; -- Begin function _Z38paged_attention_ll4mi_QKV_mfma4_kernelI14__hip_bfloat16hLN4vllm18Fp8KVCacheDataTypeE1EhLi16ELi64ELi256ELb1ELi4EEvPKT_PKT0_S8_ifPKiSA_SA_iPKfiiiPfSD_PS3_PT2_iSC_SC_
	.globl	_Z38paged_attention_ll4mi_QKV_mfma4_kernelI14__hip_bfloat16hLN4vllm18Fp8KVCacheDataTypeE1EhLi16ELi64ELi256ELb1ELi4EEvPKT_PKT0_S8_ifPKiSA_SA_iPKfiiiPfSD_PS3_PT2_iSC_SC_
	.p2align	8
	.type	_Z38paged_attention_ll4mi_QKV_mfma4_kernelI14__hip_bfloat16hLN4vllm18Fp8KVCacheDataTypeE1EhLi16ELi64ELi256ELb1ELi4EEvPKT_PKT0_S8_ifPKiSA_SA_iPKfiiiPfSD_PS3_PT2_iSC_SC_,@function
_Z38paged_attention_ll4mi_QKV_mfma4_kernelI14__hip_bfloat16hLN4vllm18Fp8KVCacheDataTypeE1EhLi16ELi64ELi256ELb1ELi4EEvPKT_PKT0_S8_ifPKiSA_SA_iPKfiiiPfSD_PS3_PT2_iSC_SC_: ; @_Z38paged_attention_ll4mi_QKV_mfma4_kernelI14__hip_bfloat16hLN4vllm18Fp8KVCacheDataTypeE1EhLi16ELi64ELi256ELb1ELi4EEvPKT_PKT0_S8_ifPKiSA_SA_iPKfiiiPfSD_PS3_PT2_iSC_SC_
; %bb.0:
	s_add_u32 s8, s0, 0x90
	s_addc_u32 s9, s1, 0
	s_getpc_b64 s[0:1]
	s_add_u32 s0, s0, __PRETTY_FUNCTION__._Z38paged_attention_ll4mi_QKV_mfma4_kernelI14__hip_bfloat16hLN4vllm18Fp8KVCacheDataTypeE1EhLi16ELi64ELi256ELb1ELi4EEvPKT_PKT0_S8_ifPKiSA_SA_iPKfiiiPfSD_PS3_PT2_iSC_SC_@rel32@lo+4
	s_addc_u32 s1, s1, __PRETTY_FUNCTION__._Z38paged_attention_ll4mi_QKV_mfma4_kernelI14__hip_bfloat16hLN4vllm18Fp8KVCacheDataTypeE1EhLi16ELi64ELi256ELb1ELi4EEvPKT_PKT0_S8_ifPKiSA_SA_iPKfiiiPfSD_PS3_PT2_iSC_SC_@rel32@hi+12
	s_delay_alu instid0(SALU_CYCLE_1) | instskip(SKIP_4) | instid1(SALU_CYCLE_1)
	v_dual_mov_b32 v0, s0 :: v_dual_mov_b32 v1, s1
	s_mov_b32 s32, 0
	s_getpc_b64 s[2:3]
	s_add_u32 s2, s2, __assert_fail@rel32@lo+4
	s_addc_u32 s3, s3, __assert_fail@rel32@hi+12
	s_swappc_b64 s[30:31], s[2:3]
	.section	.rodata,"a",@progbits
	.p2align	6, 0x0
	.amdhsa_kernel _Z38paged_attention_ll4mi_QKV_mfma4_kernelI14__hip_bfloat16hLN4vllm18Fp8KVCacheDataTypeE1EhLi16ELi64ELi256ELb1ELi4EEvPKT_PKT0_S8_ifPKiSA_SA_iPKfiiiPfSD_PS3_PT2_iSC_SC_
		.amdhsa_group_segment_fixed_size 0
		.amdhsa_private_segment_fixed_size 64
		.amdhsa_kernarg_size 400
		.amdhsa_user_sgpr_count 15
		.amdhsa_user_sgpr_dispatch_ptr 0
		.amdhsa_user_sgpr_queue_ptr 0
		.amdhsa_user_sgpr_kernarg_segment_ptr 1
		.amdhsa_user_sgpr_dispatch_id 0
		.amdhsa_user_sgpr_private_segment_size 0
		.amdhsa_wavefront_size32 1
		.amdhsa_uses_dynamic_stack 0
		.amdhsa_enable_private_segment 1
		.amdhsa_system_sgpr_workgroup_id_x 1
		.amdhsa_system_sgpr_workgroup_id_y 0
		.amdhsa_system_sgpr_workgroup_id_z 0
		.amdhsa_system_sgpr_workgroup_info 0
		.amdhsa_system_vgpr_workitem_id 0
		.amdhsa_next_free_vgpr 41
		.amdhsa_next_free_sgpr 34
		.amdhsa_reserve_vcc 1
		.amdhsa_float_round_mode_32 0
		.amdhsa_float_round_mode_16_64 0
		.amdhsa_float_denorm_mode_32 3
		.amdhsa_float_denorm_mode_16_64 3
		.amdhsa_dx10_clamp 1
		.amdhsa_ieee_mode 1
		.amdhsa_fp16_overflow 0
		.amdhsa_workgroup_processor_mode 1
		.amdhsa_memory_ordered 1
		.amdhsa_forward_progress 0
		.amdhsa_shared_vgpr_count 0
		.amdhsa_exception_fp_ieee_invalid_op 0
		.amdhsa_exception_fp_denorm_src 0
		.amdhsa_exception_fp_ieee_div_zero 0
		.amdhsa_exception_fp_ieee_overflow 0
		.amdhsa_exception_fp_ieee_underflow 0
		.amdhsa_exception_fp_ieee_inexact 0
		.amdhsa_exception_int_div_zero 0
	.end_amdhsa_kernel
	.section	.text._Z38paged_attention_ll4mi_QKV_mfma4_kernelI14__hip_bfloat16hLN4vllm18Fp8KVCacheDataTypeE1EhLi16ELi64ELi256ELb1ELi4EEvPKT_PKT0_S8_ifPKiSA_SA_iPKfiiiPfSD_PS3_PT2_iSC_SC_,"axG",@progbits,_Z38paged_attention_ll4mi_QKV_mfma4_kernelI14__hip_bfloat16hLN4vllm18Fp8KVCacheDataTypeE1EhLi16ELi64ELi256ELb1ELi4EEvPKT_PKT0_S8_ifPKiSA_SA_iPKfiiiPfSD_PS3_PT2_iSC_SC_,comdat
.Lfunc_end1349:
	.size	_Z38paged_attention_ll4mi_QKV_mfma4_kernelI14__hip_bfloat16hLN4vllm18Fp8KVCacheDataTypeE1EhLi16ELi64ELi256ELb1ELi4EEvPKT_PKT0_S8_ifPKiSA_SA_iPKfiiiPfSD_PS3_PT2_iSC_SC_, .Lfunc_end1349-_Z38paged_attention_ll4mi_QKV_mfma4_kernelI14__hip_bfloat16hLN4vllm18Fp8KVCacheDataTypeE1EhLi16ELi64ELi256ELb1ELi4EEvPKT_PKT0_S8_ifPKiSA_SA_iPKfiiiPfSD_PS3_PT2_iSC_SC_
                                        ; -- End function
	.section	.AMDGPU.csdata,"",@progbits
; Kernel info:
; codeLenInByte = 72
; NumSgprs: 36
; NumVgprs: 41
; ScratchSize: 64
; MemoryBound: 0
; FloatMode: 240
; IeeeMode: 1
; LDSByteSize: 0 bytes/workgroup (compile time only)
; SGPRBlocks: 4
; VGPRBlocks: 5
; NumSGPRsForWavesPerEU: 36
; NumVGPRsForWavesPerEU: 41
; Occupancy: 16
; WaveLimiterHint : 1
; COMPUTE_PGM_RSRC2:SCRATCH_EN: 1
; COMPUTE_PGM_RSRC2:USER_SGPR: 15
; COMPUTE_PGM_RSRC2:TRAP_HANDLER: 0
; COMPUTE_PGM_RSRC2:TGID_X_EN: 1
; COMPUTE_PGM_RSRC2:TGID_Y_EN: 0
; COMPUTE_PGM_RSRC2:TGID_Z_EN: 0
; COMPUTE_PGM_RSRC2:TIDIG_COMP_CNT: 0
	.section	.text._Z39paged_attention_ll4mi_QKV_mfma16_kernelI14__hip_bfloat16hLN4vllm18Fp8KVCacheDataTypeE1EhLi16ELi64ELi256ELb1ELi5EL8MFMAType1EEvPKT_PKT0_S9_ifPKiSB_SB_iPKfiiiPfSE_PS4_PT2_iSD_SD_,"axG",@progbits,_Z39paged_attention_ll4mi_QKV_mfma16_kernelI14__hip_bfloat16hLN4vllm18Fp8KVCacheDataTypeE1EhLi16ELi64ELi256ELb1ELi5EL8MFMAType1EEvPKT_PKT0_S9_ifPKiSB_SB_iPKfiiiPfSE_PS4_PT2_iSD_SD_,comdat
	.protected	_Z39paged_attention_ll4mi_QKV_mfma16_kernelI14__hip_bfloat16hLN4vllm18Fp8KVCacheDataTypeE1EhLi16ELi64ELi256ELb1ELi5EL8MFMAType1EEvPKT_PKT0_S9_ifPKiSB_SB_iPKfiiiPfSE_PS4_PT2_iSD_SD_ ; -- Begin function _Z39paged_attention_ll4mi_QKV_mfma16_kernelI14__hip_bfloat16hLN4vllm18Fp8KVCacheDataTypeE1EhLi16ELi64ELi256ELb1ELi5EL8MFMAType1EEvPKT_PKT0_S9_ifPKiSB_SB_iPKfiiiPfSE_PS4_PT2_iSD_SD_
	.globl	_Z39paged_attention_ll4mi_QKV_mfma16_kernelI14__hip_bfloat16hLN4vllm18Fp8KVCacheDataTypeE1EhLi16ELi64ELi256ELb1ELi5EL8MFMAType1EEvPKT_PKT0_S9_ifPKiSB_SB_iPKfiiiPfSE_PS4_PT2_iSD_SD_
	.p2align	8
	.type	_Z39paged_attention_ll4mi_QKV_mfma16_kernelI14__hip_bfloat16hLN4vllm18Fp8KVCacheDataTypeE1EhLi16ELi64ELi256ELb1ELi5EL8MFMAType1EEvPKT_PKT0_S9_ifPKiSB_SB_iPKfiiiPfSE_PS4_PT2_iSD_SD_,@function
_Z39paged_attention_ll4mi_QKV_mfma16_kernelI14__hip_bfloat16hLN4vllm18Fp8KVCacheDataTypeE1EhLi16ELi64ELi256ELb1ELi5EL8MFMAType1EEvPKT_PKT0_S9_ifPKiSB_SB_iPKfiiiPfSE_PS4_PT2_iSD_SD_: ; @_Z39paged_attention_ll4mi_QKV_mfma16_kernelI14__hip_bfloat16hLN4vllm18Fp8KVCacheDataTypeE1EhLi16ELi64ELi256ELb1ELi5EL8MFMAType1EEvPKT_PKT0_S9_ifPKiSB_SB_iPKfiiiPfSE_PS4_PT2_iSD_SD_
; %bb.0:
	s_load_b64 s[2:3], s[0:1], 0x30
	s_mov_b32 s34, s13
	s_waitcnt lgkmcnt(0)
	s_cmp_lg_u64 s[2:3], 0
	s_cselect_b32 s8, -1, 0
	s_ashr_i32 s35, s13, 31
	s_cmp_eq_u64 s[2:3], 0
	s_cbranch_scc1 .LBB1350_3
; %bb.1:
	s_lshl_b64 s[4:5], s[34:35], 2
	s_delay_alu instid0(SALU_CYCLE_1) | instskip(SKIP_4) | instid1(SALU_CYCLE_1)
	s_add_u32 s4, s2, s4
	s_addc_u32 s5, s3, s5
	s_load_b64 s[4:5], s[4:5], 0x0
	s_waitcnt lgkmcnt(0)
	s_sub_i32 s4, s5, s4
	s_cmp_eq_u32 s4, 1
	s_cselect_b32 s4, -1, 0
	s_delay_alu instid0(SALU_CYCLE_1)
	s_and_not1_b32 vcc_lo, exec_lo, s4
	s_cbranch_vccz .LBB1350_4
.LBB1350_2:
	s_nop 0
	s_sendmsg sendmsg(MSG_DEALLOC_VGPRS)
	s_endpgm
.LBB1350_3:
.LBB1350_4:
	s_load_b64 s[4:5], s[0:1], 0x28
	s_lshl_b64 s[6:7], s[34:35], 2
	s_waitcnt lgkmcnt(0)
	s_add_u32 s4, s4, s6
	s_addc_u32 s5, s5, s7
	s_lshl_b32 s12, s14, 8
	s_load_b32 s24, s[4:5], 0x0
	s_waitcnt lgkmcnt(0)
	s_cmp_ge_i32 s12, s24
	s_cbranch_scc1 .LBB1350_2
; %bb.5:
	s_clause 0x1
	s_load_b128 s[20:23], s[0:1], 0x8
	s_load_b64 s[4:5], s[0:1], 0x20
	s_and_not1_b32 vcc_lo, exec_lo, s8
	s_cbranch_vccnz .LBB1350_7
; %bb.6:
	s_add_u32 s2, s2, s6
	s_addc_u32 s3, s3, s7
	s_load_b32 s3, s[2:3], 0x0
	s_branch .LBB1350_8
.LBB1350_7:
	s_mov_b32 s3, s34
.LBB1350_8:
	s_load_b128 s[16:19], s[0:1], 0x48
	v_lshrrev_b32_e32 v66, 5, v0
	v_bfe_u32 v74, v0, 4, 1
	v_and_b32_e32 v65, 15, v0
	v_and_b32_e32 v67, 31, v0
	;; [unrolled: 1-line block ×3, first 2 shown]
	s_mul_i32 s31, s15, 5
	v_lshl_or_b32 v1, v66, 1, v74
	v_lshlrev_b32_e32 v2, 3, v65
	v_cmp_gt_u32_e64 s2, 8, v65
	s_delay_alu instid0(VALU_DEP_3) | instskip(NEXT) | instid1(VALU_DEP_3)
	v_cmp_gt_u32_e32 vcc_lo, 5, v1
	v_lshlrev_b32_e32 v73, 1, v2
	s_delay_alu instid0(VALU_DEP_3) | instskip(NEXT) | instid1(SALU_CYCLE_1)
	s_and_b32 s7, s2, vcc_lo
	s_and_saveexec_b32 s6, s7
	s_cbranch_execz .LBB1350_10
; %bb.9:
	s_load_b64 s[8:9], s[0:1], 0x0
	v_add_lshl_u32 v2, v1, s31, 6
	s_waitcnt lgkmcnt(0)
	s_mul_hi_i32 s11, s3, s16
	s_mul_i32 s10, s3, s16
	v_lshlrev_b32_e32 v6, 10, v65
	s_lshl_b64 s[10:11], s[10:11], 1
	v_ashrrev_i32_e32 v3, 31, v2
	v_lshlrev_b32_e32 v1, 6, v1
	v_lshlrev_b32_e32 v7, 10, v75
	v_and_b32_e32 v6, 0x3800, v6
	s_delay_alu instid0(VALU_DEP_4) | instskip(NEXT) | instid1(VALU_DEP_2)
	v_lshlrev_b64 v[2:3], 1, v[2:3]
	v_or3_b32 v1, v6, v7, v1
	s_add_u32 s3, s8, s10
	s_addc_u32 s7, s9, s11
	s_delay_alu instid0(VALU_DEP_2) | instskip(NEXT) | instid1(VALU_DEP_3)
	v_add_co_u32 v2, vcc_lo, s3, v2
	v_add_co_ci_u32_e32 v3, vcc_lo, s7, v3, vcc_lo
	s_delay_alu instid0(VALU_DEP_2) | instskip(NEXT) | instid1(VALU_DEP_2)
	v_add_co_u32 v2, vcc_lo, v2, v73
	v_add_co_ci_u32_e32 v3, vcc_lo, 0, v3, vcc_lo
	global_load_b128 v[2:5], v[2:3], off
	s_waitcnt vmcnt(0)
	ds_store_b128 v1, v[2:5]
.LBB1350_10:
	s_or_b32 exec_lo, exec_lo, s6
	v_and_b32_e32 v1, 0xef, v0
	s_waitcnt lgkmcnt(0)
	s_add_i32 s3, s24, 15
	s_clause 0x1
	s_load_b32 s6, s[0:1], 0x38
	s_load_b32 s19, s[0:1], 0x1c
	s_ashr_i32 s7, s3, 31
	v_add_nc_u32_e32 v1, s12, v1
	s_lshr_b32 s7, s7, 28
	s_waitcnt lgkmcnt(0)
	s_add_i32 s3, s3, s7
	s_barrier
	v_ashrrev_i32_e32 v2, 31, v1
	v_or_b32_e32 v3, 16, v1
	s_ashr_i32 s3, s3, 4
	v_cmp_gt_i32_e32 vcc_lo, s24, v1
	s_add_i32 s3, s3, -1
	v_lshrrev_b32_e32 v2, 28, v2
	buffer_gl0_inv
	s_mul_i32 s27, s15, s18
	v_add_nc_u32_e32 v4, v1, v2
	s_mul_i32 s6, s34, s6
	s_delay_alu instid0(SALU_CYCLE_1) | instskip(NEXT) | instid1(VALU_DEP_1)
	s_ashr_i32 s7, s6, 31
	v_ashrrev_i32_e32 v4, 4, v4
	v_add_nc_u32_e32 v2, v3, v2
	s_lshl_b64 s[6:7], s[6:7], 2
	s_delay_alu instid0(SALU_CYCLE_1) | instskip(NEXT) | instid1(VALU_DEP_2)
	s_add_u32 s26, s4, s6
	v_cndmask_b32_e32 v1, s3, v4, vcc_lo
	s_delay_alu instid0(VALU_DEP_2)
	v_ashrrev_i32_e32 v2, 4, v2
	v_cmp_gt_i32_e32 vcc_lo, s24, v3
	s_addc_u32 s25, s5, s7
	s_ashr_i32 s28, s27, 31
	s_add_u32 s13, s20, s27
	s_addc_u32 s15, s21, s28
	v_cndmask_b32_e32 v3, s3, v2, vcc_lo
	v_ashrrev_i32_e32 v2, 31, v1
	s_lshl_b32 s4, s14, 4
	s_delay_alu instid0(SALU_CYCLE_1) | instskip(NEXT) | instid1(VALU_DEP_2)
	s_ashr_i32 s5, s4, 31
	v_ashrrev_i32_e32 v4, 31, v3
	s_delay_alu instid0(VALU_DEP_2) | instskip(SKIP_1) | instid1(SALU_CYCLE_1)
	v_lshlrev_b64 v[1:2], 2, v[1:2]
	s_lshl_b64 s[4:5], s[4:5], 2
	s_add_u32 s4, s26, s4
	s_delay_alu instid0(VALU_DEP_2) | instskip(SKIP_1) | instid1(VALU_DEP_2)
	v_lshlrev_b64 v[3:4], 2, v[3:4]
	s_addc_u32 s5, s25, s5
	v_add_co_u32 v1, vcc_lo, s26, v1
	v_add_co_ci_u32_e32 v2, vcc_lo, s25, v2, vcc_lo
	s_delay_alu instid0(VALU_DEP_3) | instskip(NEXT) | instid1(VALU_DEP_4)
	v_add_co_u32 v3, vcc_lo, s26, v3
	v_add_co_ci_u32_e32 v4, vcc_lo, s25, v4, vcc_lo
	s_clause 0x1
	global_load_b32 v5, v[1:2], off
	global_load_b32 v7, v[3:4], off
	s_or_b32 s6, s12, 32
	v_lshlrev_b32_e32 v1, 4, v0
	s_ashr_i32 s7, s6, 4
	s_cmp_lt_i32 s6, s24
	s_cselect_b32 s6, s7, s3
	s_delay_alu instid0(VALU_DEP_1) | instskip(SKIP_1) | instid1(SALU_CYCLE_1)
	v_and_b32_e32 v1, 0xf0, v1
	s_ashr_i32 s7, s6, 31
	s_lshl_b64 s[6:7], s[6:7], 2
	s_delay_alu instid0(SALU_CYCLE_1)
	s_add_u32 s6, s26, s6
	s_addc_u32 s7, s25, s7
	s_or_b32 s8, s12, 64
	v_add_co_u32 v1, s13, s13, v1
	s_ashr_i32 s9, s8, 4
	s_cmp_lt_i32 s8, s24
	v_add_co_ci_u32_e64 v2, null, s15, 0, s13
	s_cselect_b32 s8, s9, s3
	s_delay_alu instid0(SALU_CYCLE_1) | instskip(NEXT) | instid1(SALU_CYCLE_1)
	s_ashr_i32 s9, s8, 31
	s_lshl_b64 s[8:9], s[8:9], 2
	s_delay_alu instid0(SALU_CYCLE_1) | instskip(SKIP_2) | instid1(SALU_CYCLE_1)
	s_add_u32 s8, s26, s8
	s_addc_u32 s9, s25, s9
	s_or_b32 s10, s12, 0x60
	s_ashr_i32 s11, s10, 4
	s_cmp_lt_i32 s10, s24
	s_cselect_b32 s10, s11, s3
	s_delay_alu instid0(SALU_CYCLE_1) | instskip(NEXT) | instid1(SALU_CYCLE_1)
	s_ashr_i32 s11, s10, 31
	s_lshl_b64 s[10:11], s[10:11], 2
	s_delay_alu instid0(SALU_CYCLE_1) | instskip(SKIP_2) | instid1(SALU_CYCLE_1)
	s_add_u32 s10, s26, s10
	s_addc_u32 s11, s25, s11
	s_or_b32 s16, s12, 0x80
	s_ashr_i32 s18, s16, 4
	s_cmp_lt_i32 s16, s24
	;; [unrolled: 10-line block ×3, first 2 shown]
	s_cselect_b32 s20, s18, s3
	s_delay_alu instid0(SALU_CYCLE_1) | instskip(NEXT) | instid1(SALU_CYCLE_1)
	s_ashr_i32 s21, s20, 31
	s_lshl_b64 s[20:21], s[20:21], 2
	s_delay_alu instid0(SALU_CYCLE_1)
	s_add_u32 s38, s26, s20
	s_addc_u32 s39, s25, s21
	s_clause 0x5
	s_load_b32 s21, s[4:5], 0x0
	s_load_b32 s13, s[6:7], 0x0
	;; [unrolled: 1-line block ×6, first 2 shown]
	s_or_b32 s9, s12, 0xc0
	s_mov_b32 s4, 0
	s_ashr_i32 s10, s9, 4
	s_cmp_lt_i32 s9, s24
	s_mov_b32 s11, s4
	s_cselect_b32 s36, s10, s3
	s_mov_b32 s5, s4
	s_ashr_i32 s37, s36, 31
	s_mov_b32 s6, s4
	s_lshl_b64 s[36:37], s[36:37], 2
	s_mov_b32 s7, s4
	s_add_u32 s36, s26, s36
	s_addc_u32 s37, s25, s37
	s_or_b32 s29, s12, 0xe0
	s_mov_b32 s8, s4
	s_ashr_i32 s30, s29, 4
	s_mov_b32 s9, s4
	s_mov_b32 s10, s4
	s_cmp_lt_i32 s29, s24
	v_dual_mov_b32 v107, s11 :: v_dual_mov_b32 v100, s4
	v_mov_b32_e32 v106, s10
	v_dual_mov_b32 v104, s8 :: v_dual_mov_b32 v103, s7
	v_dual_mov_b32 v102, s6 :: v_dual_mov_b32 v101, s5
	s_waitcnt vmcnt(1)
	v_mad_i64_i32 v[3:4], null, v5, s17, v[1:2]
	s_waitcnt vmcnt(0)
	v_mad_i64_i32 v[5:6], null, v7, s17, v[1:2]
	v_mul_lo_u16 v1, v65, 52
	v_lshlrev_b32_e32 v2, 4, v65
	s_clause 0x7
	global_load_b128 v[49:52], v[3:4], off
	global_load_b128 v[53:56], v[3:4], off offset:256
	global_load_b128 v[76:79], v[5:6], off
	global_load_b128 v[80:83], v[5:6], off offset:256
	global_load_b128 v[84:87], v[3:4], off offset:512
	;; [unrolled: 1-line block ×5, first 2 shown]
	v_lshrrev_b16 v1, 8, v1
	v_lshl_or_b32 v2, v66, 8, v2
	s_delay_alu instid0(VALU_DEP_2) | instskip(NEXT) | instid1(VALU_DEP_1)
	v_mul_lo_u16 v1, v1, 5
	v_sub_nc_u16 v1, v65, v1
	s_delay_alu instid0(VALU_DEP_1)
	v_and_b32_e32 v1, 0xff, v1
	v_mov_b32_e32 v105, s9
	s_cselect_b32 s4, s30, s3
	s_load_b32 s3, s[36:37], 0x0
	s_ashr_i32 s5, s4, 31
	v_lshlrev_b32_e32 v70, 6, v1
	s_lshl_b64 s[4:5], s[4:5], 2
	ds_load_b128 v[108:111], v70
	ds_load_b128 v[112:115], v70 offset:1024
	s_add_u32 s4, s26, s4
	s_addc_u32 s5, s25, s5
	s_add_u32 s6, s22, s27
	s_load_b32 s4, s[4:5], 0x0
	s_addc_u32 s7, s23, s28
	v_add_co_u32 v9, s6, s6, v2
	s_delay_alu instid0(VALU_DEP_1) | instskip(SKIP_1) | instid1(VALU_DEP_1)
	v_add_co_ci_u32_e64 v10, null, s7, 0, s6
	s_waitcnt lgkmcnt(0)
	v_mad_i64_i32 v[1:2], null, s21, s17, v[9:10]
	v_mad_i64_i32 v[3:4], null, s13, s17, v[9:10]
	;; [unrolled: 1-line block ×7, first 2 shown]
	s_clause 0x9
	global_load_b128 v[57:60], v[1:2], off
	global_load_b128 v[61:64], v[1:2], off offset:16
	global_load_b128 v[41:44], v[3:4], off
	global_load_b128 v[45:48], v[3:4], off offset:16
	;; [unrolled: 2-line block ×5, first 2 shown]
	v_mad_i64_i32 v[68:69], null, s4, s17, v[9:10]
	s_clause 0x3
	global_load_b128 v[9:12], v[13:14], off
	global_load_b128 v[13:16], v[13:14], off offset:16
	global_load_b128 v[17:20], v[21:22], off
	global_load_b128 v[21:24], v[21:22], off offset:16
	s_waitcnt vmcnt(20)
	v_wmma_f32_16x16x16_bf16 v[116:123], v[49:56], v[108:115], v[100:107]
	s_clause 0x1
	global_load_b128 v[49:52], v[68:69], off
	global_load_b128 v[53:56], v[68:69], off offset:16
	v_and_b32_e32 v68, 0xe0, v0
	v_mbcnt_lo_u32_b32 v69, -1, 0
	s_delay_alu instid0(VALU_DEP_2)
	v_add_nc_u32_e32 v68, s12, v68
	s_waitcnt vmcnt(20)
	v_wmma_f32_16x16x16_bf16 v[100:107], v[76:83], v[108:115], v[100:107]
	ds_load_b128 v[76:79], v70 offset:2048
	ds_load_b128 v[80:83], v70 offset:3072
	v_xor_b32_e32 v70, 16, v69
	s_waitcnt vmcnt(0) lgkmcnt(0)
	v_or_b32_e32 v68, v68, v74
	s_barrier
	buffer_gl0_inv
	v_cmp_gt_i32_e32 vcc_lo, 32, v70
	v_or_b32_e32 v71, 4, v68
	v_or_b32_e32 v72, 6, v68
	v_cmp_gt_i32_e64 s3, s24, v68
	v_or_b32_e32 v108, 8, v68
	v_or_b32_e32 v109, 10, v68
	v_cmp_gt_i32_e64 s4, s24, v71
	v_cmp_gt_i32_e64 s5, s24, v72
	s_delay_alu instid0(VALU_DEP_4) | instskip(NEXT) | instid1(VALU_DEP_4)
	v_cmp_gt_i32_e64 s6, s24, v108
	v_cmp_gt_i32_e64 s7, s24, v109
	v_wmma_f32_16x16x16_bf16 v[116:123], v[84:91], v[76:83], v[116:123]
	v_cndmask_b32_e32 v69, v69, v70, vcc_lo
	v_or_b32_e32 v70, 2, v68
	v_wmma_f32_16x16x16_bf16 v[100:107], v[92:99], v[76:83], v[100:107]
	v_or_b32_e32 v89, 22, v68
	v_dual_mul_f32 v80, s19, v121 :: v_dual_mul_f32 v81, s19, v120
	v_dual_mul_f32 v92, s19, v117 :: v_dual_mul_f32 v93, s19, v116
	s_delay_alu instid0(VALU_DEP_4)
	v_mul_f32_e32 v96, s19, v105
	v_cmp_gt_i32_e32 vcc_lo, s24, v70
	v_dual_mul_f32 v79, s19, v122 :: v_dual_mul_f32 v82, s19, v119
	v_dual_mul_f32 v83, s19, v118 :: v_dual_mul_f32 v94, s19, v107
	v_cndmask_b32_e64 v93, 0xff7fffff, v93, s3
	v_cndmask_b32_e32 v92, 0xff7fffff, v92, vcc_lo
	v_or_b32_e32 v84, 12, v68
	v_or_b32_e32 v85, 14, v68
	v_cndmask_b32_e64 v71, 0xff7fffff, v83, s4
	v_cndmask_b32_e64 v72, 0xff7fffff, v82, s5
	v_cmp_gt_i32_e64 s13, s24, v89
	v_lshlrev_b32_e32 v89, 2, v69
	v_max3_f32 v82, v93, 0xff7fffff, v92
	v_or_b32_e32 v86, 16, v68
	v_or_b32_e32 v87, 18, v68
	v_mul_f32_e32 v78, s19, v123
	v_cndmask_b32_e64 v81, 0xff7fffff, v81, s6
	v_cndmask_b32_e64 v80, 0xff7fffff, v80, s7
	v_max3_f32 v71, v82, v71, v72
	v_cmp_gt_i32_e64 s8, s24, v84
	v_cmp_gt_i32_e64 s9, s24, v85
	v_or_b32_e32 v88, 20, v68
	v_or_b32_e32 v90, 24, v68
	;; [unrolled: 1-line block ×5, first 2 shown]
	v_dual_mul_f32 v97, s19, v104 :: v_dual_mul_f32 v70, s19, v101
	v_dual_mul_f32 v99, s19, v102 :: v_dual_mul_f32 v68, s19, v100
	v_cndmask_b32_e64 v72, 0xff7fffff, v79, s8
	v_cndmask_b32_e64 v78, 0xff7fffff, v78, s9
	v_max3_f32 v71, v71, v81, v80
	v_cmp_gt_i32_e64 s10, s24, v86
	v_cmp_gt_i32_e64 s11, s24, v87
	v_dual_mul_f32 v95, s19, v106 :: v_dual_mul_f32 v98, s19, v103
	s_delay_alu instid0(VALU_DEP_4) | instskip(NEXT) | instid1(VALU_DEP_4)
	v_max3_f32 v71, v71, v72, v78
	v_cndmask_b32_e64 v68, 0xff7fffff, v68, s10
	s_delay_alu instid0(VALU_DEP_4)
	v_cndmask_b32_e64 v70, 0xff7fffff, v70, s11
	v_cmp_gt_i32_e64 s12, s24, v88
	v_cndmask_b32_e64 v78, 0xff7fffff, v98, s13
	v_cmp_gt_i32_e64 s15, s24, v90
	v_cmp_gt_i32_e64 s16, s24, v91
	v_max3_f32 v68, v71, v68, v70
	v_cndmask_b32_e64 v72, 0xff7fffff, v99, s12
	v_cmp_gt_i32_e64 s17, s24, v76
	v_cndmask_b32_e64 v70, 0xff7fffff, v97, s15
	v_cndmask_b32_e64 v71, 0xff7fffff, v96, s16
	v_cmp_gt_i32_e64 s18, s24, v77
	v_max3_f32 v68, v68, v72, v78
	v_cndmask_b32_e64 v72, 0xff7fffff, v95, s17
	s_delay_alu instid0(VALU_DEP_3) | instskip(NEXT) | instid1(VALU_DEP_3)
	v_cndmask_b32_e64 v76, 0xff7fffff, v94, s18
	v_max3_f32 v68, v68, v70, v71
	s_delay_alu instid0(VALU_DEP_1) | instskip(SKIP_3) | instid1(VALU_DEP_1)
	v_max3_f32 v68, v68, v72, v76
	ds_bpermute_b32 v69, v89, v68
	s_waitcnt lgkmcnt(0)
	v_max_f32_e32 v69, v69, v69
	v_max_f32_e32 v68, v68, v69
	s_delay_alu instid0(VALU_DEP_1) | instskip(NEXT) | instid1(VALU_DEP_1)
	v_fma_f32 v71, s19, v118, -v68
	v_mul_f32_e32 v71, 0x3fb8aa3b, v71
	v_fma_f32 v70, s19, v117, -v68
	v_fma_f32 v69, s19, v116, -v68
	;; [unrolled: 1-line block ×5, first 2 shown]
	s_delay_alu instid0(VALU_DEP_4) | instskip(SKIP_1) | instid1(VALU_DEP_3)
	v_dual_mul_f32 v70, 0x3fb8aa3b, v70 :: v_dual_mul_f32 v69, 0x3fb8aa3b, v69
	v_exp_f32_e32 v71, v71
	v_mul_f32_e32 v72, 0x3fb8aa3b, v72
	v_fma_f32 v81, s19, v105, -v68
	s_delay_alu instid0(VALU_DEP_3)
	v_exp_f32_e32 v70, v70
	v_mul_f32_e32 v77, 0x3fb8aa3b, v76
	v_exp_f32_e32 v69, v69
	v_exp_f32_e32 v72, v72
	v_mul_f32_e32 v81, 0x3fb8aa3b, v81
	v_cndmask_b32_e64 v83, 0, v71, s4
	v_fma_f32 v71, s19, v123, -v68
	s_delay_alu instid0(VALU_DEP_3) | instskip(SKIP_4) | instid1(TRANS32_DEP_3)
	v_exp_f32_e32 v81, v81
	v_cndmask_b32_e32 v76, 0, v70, vcc_lo
	v_exp_f32_e32 v77, v77
	v_cndmask_b32_e64 v80, 0, v69, s3
	v_fma_f32 v69, s19, v121, -v68
	v_cndmask_b32_e64 v85, 0, v72, s5
	v_mul_f32_e32 v71, 0x3fb8aa3b, v71
	v_fma_f32 v72, s19, v100, -v68
	s_delay_alu instid0(VALU_DEP_4) | instskip(SKIP_1) | instid1(VALU_DEP_4)
	v_dual_add_f32 v70, 0, v80 :: v_dual_mul_f32 v69, 0x3fb8aa3b, v69
	v_cmp_gt_u32_e64 s3, 16, v67
	v_exp_f32_e32 v71, v71
	s_delay_alu instid0(TRANS32_DEP_2) | instskip(SKIP_4) | instid1(VALU_DEP_3)
	v_cndmask_b32_e64 v86, 0, v77, s6
	v_fma_f32 v77, s19, v101, -v68
	v_mul_f32_e32 v78, 0x3fb8aa3b, v78
	v_add_f32_e32 v70, v70, v76
	v_exp_f32_e32 v69, v69
	v_mul_f32_e32 v77, 0x3fb8aa3b, v77
	s_delay_alu instid0(VALU_DEP_3) | instskip(NEXT) | instid1(TRANS32_DEP_3)
	v_exp_f32_e32 v78, v78
	v_cndmask_b32_e64 v88, 0, v71, s9
	v_fma_f32 v71, s19, v104, -v68
	s_delay_alu instid0(VALU_DEP_3) | instskip(NEXT) | instid1(TRANS32_DEP_3)
	v_exp_f32_e32 v77, v77
	v_cndmask_b32_e64 v87, 0, v69, s7
	s_delay_alu instid0(VALU_DEP_2)
	v_mul_f32_e32 v71, 0x3fb8aa3b, v71
	s_waitcnt_depctr 0xfff
	v_cndmask_b32_e64 v84, 0, v78, s8
	v_add_f32_e32 v70, v70, v83
	v_fma_f32 v78, s19, v103, -v68
	v_exp_f32_e32 v82, v71
	s_delay_alu instid0(VALU_DEP_2) | instskip(SKIP_1) | instid1(VALU_DEP_3)
	v_add_f32_e32 v70, v70, v85
	v_mul_f32_e32 v72, 0x3fb8aa3b, v72
	v_mul_f32_e32 v78, 0x3fb8aa3b, v78
	s_delay_alu instid0(VALU_DEP_3) | instskip(SKIP_1) | instid1(VALU_DEP_4)
	v_add_f32_e32 v69, v70, v86
	v_fma_f32 v70, s19, v102, -v68
	v_exp_f32_e32 v72, v72
	s_delay_alu instid0(VALU_DEP_3) | instskip(NEXT) | instid1(VALU_DEP_1)
	v_exp_f32_e32 v78, v78
	v_dual_add_f32 v69, v69, v87 :: v_dual_mul_f32 v70, 0x3fb8aa3b, v70
	s_delay_alu instid0(VALU_DEP_1) | instskip(NEXT) | instid1(VALU_DEP_2)
	v_add_f32_e32 v69, v69, v84
	v_exp_f32_e32 v79, v70
	s_delay_alu instid0(TRANS32_DEP_3) | instskip(NEXT) | instid1(VALU_DEP_2)
	v_cndmask_b32_e64 v70, 0, v72, s10
	v_add_f32_e32 v72, v69, v88
	v_cndmask_b32_e64 v69, 0, v77, s11
	v_fma_f32 v77, s19, v106, -v68
	s_waitcnt_depctr 0xfff
	v_cndmask_b32_e64 v71, 0, v79, s12
	v_dual_mul_f32 v77, 0x3fb8aa3b, v77 :: v_dual_add_f32 v72, v72, v70
	s_delay_alu instid0(VALU_DEP_1) | instskip(NEXT) | instid1(VALU_DEP_1)
	v_exp_f32_e32 v90, v77
	v_add_f32_e32 v79, v72, v69
	v_cndmask_b32_e64 v72, 0, v78, s13
	v_cndmask_b32_e64 v77, 0, v82, s15
	s_delay_alu instid0(VALU_DEP_3) | instskip(SKIP_1) | instid1(VALU_DEP_1)
	v_add_f32_e32 v78, v79, v71
	v_fma_f32 v79, s19, v107, -v68
	v_dual_add_f32 v82, v78, v72 :: v_dual_mul_f32 v79, 0x3fb8aa3b, v79
	v_cndmask_b32_e64 v78, 0, v81, s16
	s_delay_alu instid0(VALU_DEP_2) | instskip(NEXT) | instid1(VALU_DEP_3)
	v_add_f32_e32 v81, v82, v77
	v_exp_f32_e32 v82, v79
	v_cndmask_b32_e64 v79, 0, v90, s17
	s_delay_alu instid0(VALU_DEP_2) | instskip(NEXT) | instid1(VALU_DEP_1)
	v_add_f32_e32 v81, v81, v78
	v_add_f32_e32 v90, v81, v79
	s_waitcnt_depctr 0xfff
	v_cndmask_b32_e64 v81, 0, v82, s18
	s_delay_alu instid0(VALU_DEP_1)
	v_add_f32_e32 v82, v90, v81
	ds_bpermute_b32 v89, v89, v82
	s_and_saveexec_b32 s4, s3
	s_cbranch_execz .LBB1350_12
; %bb.11:
	v_mul_u32_u24_e32 v67, 0x44, v66
	s_delay_alu instid0(VALU_DEP_1) | instskip(SKIP_1) | instid1(VALU_DEP_1)
	v_lshl_add_u32 v67, v65, 2, v67
	s_waitcnt lgkmcnt(0)
	v_dual_add_f32 v82, v82, v89 :: v_dual_add_nc_u32 v67, 0x4000, v67
	ds_store_2addr_b32 v67, v68, v82 offset1:136
.LBB1350_12:
	s_or_b32 exec_lo, exec_lo, s4
	v_lshlrev_b32_e32 v67, 2, v65
	s_waitcnt lgkmcnt(0)
	s_barrier
	buffer_gl0_inv
	v_cmp_eq_u32_e32 vcc_lo, 1, v66
	v_add_nc_u32_e32 v82, 0x4000, v67
	v_cmp_eq_u32_e64 s4, 2, v66
	v_cmp_eq_u32_e64 s6, 7, v66
	ds_load_2addr_b32 v[89:90], v82 offset1:17
	ds_load_2addr_b32 v[91:92], v82 offset0:34 offset1:51
	ds_load_2addr_b32 v[93:94], v82 offset0:68 offset1:85
	;; [unrolled: 1-line block ×4, first 2 shown]
	s_waitcnt lgkmcnt(4)
	v_max3_f32 v67, v89, 0xff7fffff, v90
	s_waitcnt lgkmcnt(3)
	s_delay_alu instid0(VALU_DEP_1) | instskip(SKIP_1) | instid1(VALU_DEP_1)
	v_max3_f32 v67, v67, v91, v92
	s_waitcnt lgkmcnt(2)
	v_max3_f32 v67, v67, v93, v94
	s_waitcnt lgkmcnt(1)
	s_delay_alu instid0(VALU_DEP_1) | instskip(NEXT) | instid1(VALU_DEP_1)
	v_max3_f32 v67, v67, v95, v96
	v_sub_f32_e32 v93, v93, v67
	s_delay_alu instid0(VALU_DEP_1) | instskip(NEXT) | instid1(VALU_DEP_1)
	v_dual_sub_f32 v68, v89, v67 :: v_dual_mul_f32 v103, 0x3fb8aa3b, v93
	v_mul_f32_e32 v68, 0x3fb8aa3b, v68
	s_delay_alu instid0(VALU_DEP_1)
	v_exp_f32_e32 v100, v68
	v_sub_f32_e32 v68, v92, v67
	v_sub_f32_e32 v99, v90, v67
	ds_load_2addr_b32 v[89:90], v82 offset0:170 offset1:187
	v_dual_mul_f32 v102, 0x3fb8aa3b, v68 :: v_dual_mul_f32 v99, 0x3fb8aa3b, v99
	s_waitcnt lgkmcnt(1)
	v_fma_f32 v68, v100, v97, 0
	s_delay_alu instid0(VALU_DEP_2) | instskip(NEXT) | instid1(VALU_DEP_2)
	v_exp_f32_e32 v102, v102
	v_exp_f32_e32 v99, v99
	s_waitcnt_depctr 0xfff
	v_fmac_f32_e32 v68, v99, v98
	v_sub_f32_e32 v91, v91, v67
	s_delay_alu instid0(VALU_DEP_1)
	v_mul_f32_e32 v101, 0x3fb8aa3b, v91
	ds_load_2addr_b32 v[91:92], v82 offset0:204 offset1:221
	v_sub_f32_e32 v97, v94, v67
	ds_load_2addr_b32 v[93:94], v82 offset0:238 offset1:255
	s_waitcnt lgkmcnt(0)
	v_exp_f32_e32 v101, v101
	s_barrier
	buffer_gl0_inv
	v_dual_fmac_f32 v68, v101, v89 :: v_dual_sub_f32 v89, v96, v67
	v_dual_sub_f32 v82, v95, v67 :: v_dual_mul_f32 v95, 0x3fb8aa3b, v97
	v_exp_f32_e32 v97, v103
	s_delay_alu instid0(VALU_DEP_2) | instskip(NEXT) | instid1(VALU_DEP_2)
	v_dual_fmac_f32 v68, v102, v90 :: v_dual_mul_f32 v89, 0x3fb8aa3b, v89
	v_mul_f32_e32 v82, 0x3fb8aa3b, v82
	s_delay_alu instid0(VALU_DEP_3) | instskip(NEXT) | instid1(VALU_DEP_2)
	v_exp_f32_e32 v95, v95
	v_exp_f32_e32 v89, v89
	s_delay_alu instid0(VALU_DEP_1)
	v_exp_f32_e32 v82, v82
	v_fmac_f32_e32 v68, v97, v91
	s_delay_alu instid0(TRANS32_DEP_3) | instid1(VALU_DEP_1)
	v_fmac_f32_e32 v68, v95, v92
	s_waitcnt_depctr 0xfff
	v_fmac_f32_e32 v68, v82, v93
	s_delay_alu instid0(VALU_DEP_1) | instskip(NEXT) | instid1(VALU_DEP_1)
	v_fmac_f32_e32 v68, v89, v94
	v_add_f32_e32 v90, 0x358637bd, v68
	s_delay_alu instid0(VALU_DEP_1) | instskip(NEXT) | instid1(VALU_DEP_1)
	v_div_scale_f32 v91, null, v90, v90, 1.0
	v_rcp_f32_e32 v92, v91
	s_waitcnt_depctr 0xfff
	v_fma_f32 v93, -v91, v92, 1.0
	s_delay_alu instid0(VALU_DEP_1) | instskip(SKIP_1) | instid1(VALU_DEP_2)
	v_dual_fmac_f32 v92, v93, v92 :: v_dual_cndmask_b32 v93, v100, v99
	v_cmp_eq_u32_e32 vcc_lo, 3, v66
	v_cndmask_b32_e64 v93, v93, v101, s4
	v_cmp_eq_u32_e64 s4, 4, v66
	s_delay_alu instid0(VALU_DEP_2) | instskip(SKIP_1) | instid1(VALU_DEP_2)
	v_cndmask_b32_e32 v93, v93, v102, vcc_lo
	v_cmp_eq_u32_e32 vcc_lo, 5, v66
	v_cndmask_b32_e64 v93, v93, v97, s4
	v_cmp_eq_u32_e64 s4, 6, v66
	s_delay_alu instid0(VALU_DEP_2) | instskip(SKIP_1) | instid1(VALU_DEP_1)
	v_cndmask_b32_e32 v93, v93, v95, vcc_lo
	v_div_scale_f32 v94, s5, 1.0, v90, 1.0
	s_mov_b32 vcc_lo, s5
	s_delay_alu instid0(VALU_DEP_2) | instskip(NEXT) | instid1(VALU_DEP_2)
	v_cndmask_b32_e64 v82, v93, v82, s4
	v_mul_f32_e32 v96, v94, v92
	s_mov_b32 s4, exec_lo
	s_delay_alu instid0(VALU_DEP_2) | instskip(NEXT) | instid1(VALU_DEP_2)
	v_cndmask_b32_e64 v82, v82, v89, s6
	v_fma_f32 v98, -v91, v96, v94
	s_delay_alu instid0(VALU_DEP_1) | instskip(NEXT) | instid1(VALU_DEP_1)
	v_fmac_f32_e32 v96, v98, v92
	v_fma_f32 v91, -v91, v96, v94
	s_delay_alu instid0(VALU_DEP_1) | instskip(NEXT) | instid1(VALU_DEP_1)
	v_div_fmas_f32 v91, v91, v92, v96
	v_div_fixup_f32 v90, v91, v90, 1.0
	s_delay_alu instid0(VALU_DEP_1) | instskip(NEXT) | instid1(VALU_DEP_1)
	v_mul_f32_e32 v82, v82, v90
	v_mul_f32_e32 v87, v82, v87
	;; [unrolled: 1-line block ×7, first 2 shown]
	v_dual_mul_f32 v86, v82, v83 :: v_dual_and_b32 v91, 0x7f800000, v90
	v_mul_f32_e32 v85, v82, v76
                                        ; implicit-def: $vgpr76
	s_delay_alu instid0(VALU_DEP_2)
	v_cmpx_ne_u32_e32 0x7f800000, v91
	s_xor_b32 s4, exec_lo, s4
; %bb.13:
	v_bfe_u32 v76, v90, 16, 1
	s_delay_alu instid0(VALU_DEP_1)
	v_add3_u32 v76, v90, v76, 0x7fff
                                        ; implicit-def: $vgpr90
; %bb.14:
	s_and_not1_saveexec_b32 s4, s4
; %bb.15:
	v_and_b32_e32 v76, 0xffff, v90
	v_or_b32_e32 v83, 0x10000, v90
	s_delay_alu instid0(VALU_DEP_2) | instskip(NEXT) | instid1(VALU_DEP_2)
	v_cmp_eq_u32_e32 vcc_lo, 0, v76
	v_cndmask_b32_e32 v76, v83, v90, vcc_lo
; %bb.16:
	s_or_b32 exec_lo, exec_lo, s4
	v_and_b32_e32 v83, 0x7f800000, v85
	s_delay_alu instid0(VALU_DEP_1) | instskip(SKIP_1) | instid1(SALU_CYCLE_1)
	v_cmp_ne_u32_e32 vcc_lo, 0x7f800000, v83
                                        ; implicit-def: $vgpr83
	s_and_saveexec_b32 s4, vcc_lo
	s_xor_b32 s4, exec_lo, s4
; %bb.17:
	v_bfe_u32 v83, v85, 16, 1
	s_delay_alu instid0(VALU_DEP_1)
	v_add3_u32 v83, v85, v83, 0x7fff
                                        ; implicit-def: $vgpr85
; %bb.18:
	s_and_not1_saveexec_b32 s4, s4
; %bb.19:
	v_and_b32_e32 v83, 0xffff, v85
	v_or_b32_e32 v90, 0x10000, v85
	s_delay_alu instid0(VALU_DEP_2) | instskip(NEXT) | instid1(VALU_DEP_2)
	v_cmp_eq_u32_e32 vcc_lo, 0, v83
	v_cndmask_b32_e32 v83, v90, v85, vcc_lo
; %bb.20:
	s_or_b32 exec_lo, exec_lo, s4
	v_and_b32_e32 v85, 0x7f800000, v86
	s_delay_alu instid0(VALU_DEP_1) | instskip(SKIP_1) | instid1(SALU_CYCLE_1)
	v_cmp_ne_u32_e32 vcc_lo, 0x7f800000, v85
                                        ; implicit-def: $vgpr85
	s_and_saveexec_b32 s4, vcc_lo
	s_xor_b32 s4, exec_lo, s4
; %bb.21:
	v_bfe_u32 v85, v86, 16, 1
	s_delay_alu instid0(VALU_DEP_1)
	v_add3_u32 v85, v86, v85, 0x7fff
                                        ; implicit-def: $vgpr86
; %bb.22:
	s_and_not1_saveexec_b32 s4, s4
; %bb.23:
	v_and_b32_e32 v85, 0xffff, v86
	v_or_b32_e32 v90, 0x10000, v86
	s_delay_alu instid0(VALU_DEP_2) | instskip(NEXT) | instid1(VALU_DEP_2)
	v_cmp_eq_u32_e32 vcc_lo, 0, v85
	v_cndmask_b32_e32 v85, v90, v86, vcc_lo
; %bb.24:
	s_or_b32 exec_lo, exec_lo, s4
	v_and_b32_e32 v86, 0x7f800000, v89
	s_delay_alu instid0(VALU_DEP_1) | instskip(SKIP_1) | instid1(SALU_CYCLE_1)
	v_cmp_ne_u32_e32 vcc_lo, 0x7f800000, v86
                                        ; implicit-def: $vgpr86
	s_and_saveexec_b32 s4, vcc_lo
	s_xor_b32 s4, exec_lo, s4
; %bb.25:
	v_bfe_u32 v86, v89, 16, 1
	s_delay_alu instid0(VALU_DEP_1)
	v_add3_u32 v86, v89, v86, 0x7fff
                                        ; implicit-def: $vgpr89
; %bb.26:
	s_and_not1_saveexec_b32 s4, s4
; %bb.27:
	v_and_b32_e32 v86, 0xffff, v89
	v_or_b32_e32 v90, 0x10000, v89
	s_delay_alu instid0(VALU_DEP_2) | instskip(NEXT) | instid1(VALU_DEP_2)
	v_cmp_eq_u32_e32 vcc_lo, 0, v86
	v_cndmask_b32_e32 v86, v90, v89, vcc_lo
; %bb.28:
	s_or_b32 exec_lo, exec_lo, s4
	v_and_b32_e32 v89, 0x7f800000, v88
	s_delay_alu instid0(VALU_DEP_1) | instskip(SKIP_1) | instid1(SALU_CYCLE_1)
	v_cmp_ne_u32_e32 vcc_lo, 0x7f800000, v89
                                        ; implicit-def: $vgpr89
	s_and_saveexec_b32 s4, vcc_lo
	s_xor_b32 s4, exec_lo, s4
; %bb.29:
	v_bfe_u32 v89, v88, 16, 1
	s_delay_alu instid0(VALU_DEP_1)
	v_add3_u32 v89, v88, v89, 0x7fff
                                        ; implicit-def: $vgpr88
; %bb.30:
	s_and_not1_saveexec_b32 s4, s4
; %bb.31:
	v_and_b32_e32 v89, 0xffff, v88
	v_or_b32_e32 v90, 0x10000, v88
	s_delay_alu instid0(VALU_DEP_2) | instskip(NEXT) | instid1(VALU_DEP_2)
	v_cmp_eq_u32_e32 vcc_lo, 0, v89
	v_cndmask_b32_e32 v89, v90, v88, vcc_lo
; %bb.32:
	s_or_b32 exec_lo, exec_lo, s4
	v_and_b32_e32 v88, 0x7f800000, v87
	s_delay_alu instid0(VALU_DEP_1) | instskip(SKIP_1) | instid1(SALU_CYCLE_1)
	v_cmp_ne_u32_e32 vcc_lo, 0x7f800000, v88
                                        ; implicit-def: $vgpr88
	s_and_saveexec_b32 s4, vcc_lo
	s_xor_b32 s4, exec_lo, s4
; %bb.33:
	v_bfe_u32 v88, v87, 16, 1
	s_delay_alu instid0(VALU_DEP_1)
	v_add3_u32 v88, v87, v88, 0x7fff
                                        ; implicit-def: $vgpr87
; %bb.34:
	s_and_not1_saveexec_b32 s4, s4
; %bb.35:
	v_and_b32_e32 v88, 0xffff, v87
	v_or_b32_e32 v90, 0x10000, v87
	s_delay_alu instid0(VALU_DEP_2) | instskip(NEXT) | instid1(VALU_DEP_2)
	v_cmp_eq_u32_e32 vcc_lo, 0, v88
	v_cndmask_b32_e32 v88, v90, v87, vcc_lo
; %bb.36:
	s_or_b32 exec_lo, exec_lo, s4
	v_and_b32_e32 v87, 0x7f800000, v84
	s_delay_alu instid0(VALU_DEP_1) | instskip(SKIP_1) | instid1(SALU_CYCLE_1)
	v_cmp_ne_u32_e32 vcc_lo, 0x7f800000, v87
                                        ; implicit-def: $vgpr87
	s_and_saveexec_b32 s4, vcc_lo
	s_xor_b32 s4, exec_lo, s4
; %bb.37:
	v_bfe_u32 v87, v84, 16, 1
	s_delay_alu instid0(VALU_DEP_1)
	v_add3_u32 v87, v84, v87, 0x7fff
                                        ; implicit-def: $vgpr84
; %bb.38:
	s_and_not1_saveexec_b32 s4, s4
; %bb.39:
	v_and_b32_e32 v87, 0xffff, v84
	v_or_b32_e32 v90, 0x10000, v84
	s_delay_alu instid0(VALU_DEP_2) | instskip(NEXT) | instid1(VALU_DEP_2)
	v_cmp_eq_u32_e32 vcc_lo, 0, v87
	v_cndmask_b32_e32 v87, v90, v84, vcc_lo
; %bb.40:
	s_or_b32 exec_lo, exec_lo, s4
	v_and_b32_e32 v84, 0x7f800000, v80
	s_delay_alu instid0(VALU_DEP_1) | instskip(SKIP_1) | instid1(SALU_CYCLE_1)
	v_cmp_ne_u32_e32 vcc_lo, 0x7f800000, v84
                                        ; implicit-def: $vgpr84
	s_and_saveexec_b32 s4, vcc_lo
	s_xor_b32 s4, exec_lo, s4
; %bb.41:
	v_bfe_u32 v84, v80, 16, 1
	s_delay_alu instid0(VALU_DEP_1)
	v_add3_u32 v84, v80, v84, 0x7fff
                                        ; implicit-def: $vgpr80
; %bb.42:
	s_and_not1_saveexec_b32 s4, s4
; %bb.43:
	v_and_b32_e32 v84, 0xffff, v80
	v_or_b32_e32 v90, 0x10000, v80
	s_delay_alu instid0(VALU_DEP_2) | instskip(NEXT) | instid1(VALU_DEP_2)
	v_cmp_eq_u32_e32 vcc_lo, 0, v84
	v_cndmask_b32_e32 v84, v90, v80, vcc_lo
; %bb.44:
	s_or_b32 exec_lo, exec_lo, s4
	s_load_b64 s[36:37], s[0:1], 0x94
	v_lshlrev_b32_e32 v91, 4, v74
	s_delay_alu instid0(VALU_DEP_2)
	v_perm_b32 v90, v84, v87, 0x7060302
	v_dual_mul_f32 v79, v82, v79 :: v_dual_lshlrev_b32 v80, 6, v65
	v_dual_mul_f32 v77, v82, v77 :: v_dual_lshlrev_b32 v92, 11, v66
	v_mul_f32_e32 v84, v82, v70
	v_perm_b32 v89, v88, v89, 0x7060302
	v_perm_b32 v88, v86, v85, 0x7060302
	;; [unrolled: 1-line block ×3, first 2 shown]
	v_mul_f32_e32 v70, v82, v81
	v_or3_b32 v76, v91, v92, v80
	v_dual_mul_f32 v78, v82, v78 :: v_dual_and_b32 v85, 0x7f800000, v84
	v_mul_f32_e32 v83, v82, v72
	v_mul_f32_e32 v81, v82, v71
	;; [unrolled: 1-line block ×3, first 2 shown]
	s_mov_b32 s4, exec_lo
	ds_store_b128 v76, v[87:90]
                                        ; implicit-def: $vgpr69
	v_cmpx_ne_u32_e32 0x7f800000, v85
	s_xor_b32 s4, exec_lo, s4
; %bb.45:
	v_bfe_u32 v69, v84, 16, 1
	s_delay_alu instid0(VALU_DEP_1)
	v_add3_u32 v69, v84, v69, 0x7fff
                                        ; implicit-def: $vgpr84
; %bb.46:
	s_and_not1_saveexec_b32 s4, s4
; %bb.47:
	v_and_b32_e32 v69, 0xffff, v84
	v_or_b32_e32 v71, 0x10000, v84
	s_delay_alu instid0(VALU_DEP_2) | instskip(NEXT) | instid1(VALU_DEP_2)
	v_cmp_eq_u32_e32 vcc_lo, 0, v69
	v_cndmask_b32_e32 v69, v71, v84, vcc_lo
; %bb.48:
	s_or_b32 exec_lo, exec_lo, s4
	v_and_b32_e32 v71, 0x7f800000, v72
	s_delay_alu instid0(VALU_DEP_1) | instskip(SKIP_1) | instid1(SALU_CYCLE_1)
	v_cmp_ne_u32_e32 vcc_lo, 0x7f800000, v71
                                        ; implicit-def: $vgpr71
	s_and_saveexec_b32 s4, vcc_lo
	s_xor_b32 s4, exec_lo, s4
; %bb.49:
	v_bfe_u32 v71, v72, 16, 1
	s_delay_alu instid0(VALU_DEP_1)
	v_add3_u32 v71, v72, v71, 0x7fff
                                        ; implicit-def: $vgpr72
; %bb.50:
	s_and_not1_saveexec_b32 s4, s4
; %bb.51:
	v_and_b32_e32 v71, 0xffff, v72
	v_or_b32_e32 v82, 0x10000, v72
	s_delay_alu instid0(VALU_DEP_2) | instskip(NEXT) | instid1(VALU_DEP_2)
	v_cmp_eq_u32_e32 vcc_lo, 0, v71
	v_cndmask_b32_e32 v71, v82, v72, vcc_lo
; %bb.52:
	s_or_b32 exec_lo, exec_lo, s4
	v_and_b32_e32 v72, 0x7f800000, v81
	s_delay_alu instid0(VALU_DEP_1) | instskip(SKIP_1) | instid1(SALU_CYCLE_1)
	v_cmp_ne_u32_e32 vcc_lo, 0x7f800000, v72
                                        ; implicit-def: $vgpr72
	s_and_saveexec_b32 s4, vcc_lo
	s_xor_b32 s4, exec_lo, s4
; %bb.53:
	v_bfe_u32 v72, v81, 16, 1
	s_delay_alu instid0(VALU_DEP_1)
	v_add3_u32 v72, v81, v72, 0x7fff
                                        ; implicit-def: $vgpr81
; %bb.54:
	s_and_not1_saveexec_b32 s4, s4
; %bb.55:
	v_and_b32_e32 v72, 0xffff, v81
	v_or_b32_e32 v82, 0x10000, v81
	s_delay_alu instid0(VALU_DEP_2) | instskip(NEXT) | instid1(VALU_DEP_2)
	v_cmp_eq_u32_e32 vcc_lo, 0, v72
	v_cndmask_b32_e32 v72, v82, v81, vcc_lo
; %bb.56:
	s_or_b32 exec_lo, exec_lo, s4
	v_and_b32_e32 v81, 0x7f800000, v83
	s_delay_alu instid0(VALU_DEP_1) | instskip(SKIP_1) | instid1(SALU_CYCLE_1)
	v_cmp_ne_u32_e32 vcc_lo, 0x7f800000, v81
                                        ; implicit-def: $vgpr81
	s_and_saveexec_b32 s4, vcc_lo
	s_xor_b32 s4, exec_lo, s4
; %bb.57:
	v_bfe_u32 v81, v83, 16, 1
	s_delay_alu instid0(VALU_DEP_1)
	v_add3_u32 v81, v83, v81, 0x7fff
                                        ; implicit-def: $vgpr83
; %bb.58:
	s_and_not1_saveexec_b32 s4, s4
; %bb.59:
	v_and_b32_e32 v81, 0xffff, v83
	v_or_b32_e32 v82, 0x10000, v83
	s_delay_alu instid0(VALU_DEP_2) | instskip(NEXT) | instid1(VALU_DEP_2)
	v_cmp_eq_u32_e32 vcc_lo, 0, v81
	v_cndmask_b32_e32 v81, v82, v83, vcc_lo
; %bb.60:
	s_or_b32 exec_lo, exec_lo, s4
	v_and_b32_e32 v82, 0x7f800000, v77
	s_delay_alu instid0(VALU_DEP_1) | instskip(SKIP_1) | instid1(SALU_CYCLE_1)
	v_cmp_ne_u32_e32 vcc_lo, 0x7f800000, v82
                                        ; implicit-def: $vgpr82
	s_and_saveexec_b32 s4, vcc_lo
	s_xor_b32 s4, exec_lo, s4
; %bb.61:
	v_bfe_u32 v82, v77, 16, 1
	s_delay_alu instid0(VALU_DEP_1)
	v_add3_u32 v82, v77, v82, 0x7fff
                                        ; implicit-def: $vgpr77
; %bb.62:
	s_and_not1_saveexec_b32 s4, s4
; %bb.63:
	v_and_b32_e32 v82, 0xffff, v77
	v_or_b32_e32 v83, 0x10000, v77
	s_delay_alu instid0(VALU_DEP_2) | instskip(NEXT) | instid1(VALU_DEP_2)
	v_cmp_eq_u32_e32 vcc_lo, 0, v82
	v_cndmask_b32_e32 v82, v83, v77, vcc_lo
; %bb.64:
	s_or_b32 exec_lo, exec_lo, s4
	v_and_b32_e32 v77, 0x7f800000, v78
	s_delay_alu instid0(VALU_DEP_1) | instskip(SKIP_1) | instid1(SALU_CYCLE_1)
	v_cmp_ne_u32_e32 vcc_lo, 0x7f800000, v77
                                        ; implicit-def: $vgpr77
	s_and_saveexec_b32 s4, vcc_lo
	s_xor_b32 s4, exec_lo, s4
; %bb.65:
	v_bfe_u32 v77, v78, 16, 1
	s_delay_alu instid0(VALU_DEP_1)
	v_add3_u32 v77, v78, v77, 0x7fff
                                        ; implicit-def: $vgpr78
; %bb.66:
	s_and_not1_saveexec_b32 s4, s4
; %bb.67:
	v_and_b32_e32 v77, 0xffff, v78
	v_or_b32_e32 v83, 0x10000, v78
	s_delay_alu instid0(VALU_DEP_2) | instskip(NEXT) | instid1(VALU_DEP_2)
	v_cmp_eq_u32_e32 vcc_lo, 0, v77
	v_cndmask_b32_e32 v77, v83, v78, vcc_lo
; %bb.68:
	s_or_b32 exec_lo, exec_lo, s4
	v_and_b32_e32 v78, 0x7f800000, v79
	s_delay_alu instid0(VALU_DEP_1) | instskip(SKIP_1) | instid1(SALU_CYCLE_1)
	v_cmp_ne_u32_e32 vcc_lo, 0x7f800000, v78
                                        ; implicit-def: $vgpr78
	s_and_saveexec_b32 s4, vcc_lo
	s_xor_b32 s4, exec_lo, s4
; %bb.69:
	v_bfe_u32 v78, v79, 16, 1
	s_delay_alu instid0(VALU_DEP_1)
	v_add3_u32 v78, v79, v78, 0x7fff
                                        ; implicit-def: $vgpr79
; %bb.70:
	s_and_not1_saveexec_b32 s4, s4
; %bb.71:
	v_and_b32_e32 v78, 0xffff, v79
	v_or_b32_e32 v83, 0x10000, v79
	s_delay_alu instid0(VALU_DEP_2) | instskip(NEXT) | instid1(VALU_DEP_2)
	v_cmp_eq_u32_e32 vcc_lo, 0, v78
	v_cndmask_b32_e32 v78, v83, v79, vcc_lo
; %bb.72:
	s_or_b32 exec_lo, exec_lo, s4
	v_and_b32_e32 v79, 0x7f800000, v70
	s_delay_alu instid0(VALU_DEP_1) | instskip(SKIP_1) | instid1(SALU_CYCLE_1)
	v_cmp_ne_u32_e32 vcc_lo, 0x7f800000, v79
                                        ; implicit-def: $vgpr79
	s_and_saveexec_b32 s4, vcc_lo
	s_xor_b32 s4, exec_lo, s4
; %bb.73:
	v_bfe_u32 v79, v70, 16, 1
	s_delay_alu instid0(VALU_DEP_1)
	v_add3_u32 v79, v70, v79, 0x7fff
                                        ; implicit-def: $vgpr70
; %bb.74:
	s_and_not1_saveexec_b32 s4, s4
; %bb.75:
	v_and_b32_e32 v79, 0xffff, v70
	v_or_b32_e32 v83, 0x10000, v70
	s_delay_alu instid0(VALU_DEP_2) | instskip(NEXT) | instid1(VALU_DEP_2)
	v_cmp_eq_u32_e32 vcc_lo, 0, v79
	v_cndmask_b32_e32 v79, v83, v70, vcc_lo
; %bb.76:
	s_or_b32 exec_lo, exec_lo, s4
	s_delay_alu instid0(VALU_DEP_1)
	v_perm_b32 v86, v79, v78, 0x7060302
	v_perm_b32 v85, v77, v82, 0x7060302
	;; [unrolled: 1-line block ×4, first 2 shown]
	v_lshl_or_b32 v82, v66, 11, v80
	ds_store_b128 v76, v[83:86] offset:1024
	s_waitcnt lgkmcnt(0)
	s_barrier
	buffer_gl0_inv
	ds_load_b128 v[69:72], v82
	ds_load_b128 v[83:86], v82 offset:16
	s_waitcnt lgkmcnt(1)
	v_lshrrev_b32_e32 v66, 16, v69
	s_waitcnt lgkmcnt(0)
	v_lshrrev_b32_e32 v91, 16, v83
	v_lshlrev_b32_e32 v78, 2, v74
	v_lshrrev_b32_e32 v95, 16, v70
	v_lshrrev_b32_e32 v98, 16, v84
	;; [unrolled: 1-line block ×4, first 2 shown]
	v_cmp_eq_u32_e32 vcc_lo, 1, v78
	v_lshrrev_b32_e32 v97, 16, v72
	v_lshrrev_b32_e32 v100, 16, v86
	v_cndmask_b32_e32 v87, v83, v91, vcc_lo
	v_or_b32_e32 v79, 1, v78
	v_cndmask_b32_e32 v81, v69, v66, vcc_lo
	v_cmp_eq_u32_e64 s5, 2, v78
	v_cmp_eq_u32_e64 s8, 3, v78
	;; [unrolled: 1-line block ×5, first 2 shown]
	v_cndmask_b32_e64 v81, v81, v70, s5
	v_cndmask_b32_e64 v87, v87, v84, s5
	v_cmp_eq_u32_e64 s9, 3, v79
	v_cndmask_b32_e64 v88, v69, v66, s4
	v_or_b32_e32 v77, 2, v78
	v_cndmask_b32_e64 v81, v81, v95, s8
	v_cndmask_b32_e64 v87, v87, v98, s8
	;; [unrolled: 1-line block ×4, first 2 shown]
	v_cmp_eq_u32_e64 s11, 5, v78
	v_cndmask_b32_e64 v81, v81, v71, s10
	v_cndmask_b32_e64 v87, v87, v85, s10
	v_cmp_eq_u32_e64 s12, 4, v79
	v_cndmask_b32_e64 v88, v88, v95, s9
	v_cmp_eq_u32_e64 s6, 1, v77
	v_cndmask_b32_e64 v89, v89, v84, s7
	v_cndmask_b32_e64 v81, v81, v96, s11
	v_cmp_eq_u32_e64 s13, 6, v78
	v_cndmask_b32_e64 v88, v88, v71, s12
	v_cndmask_b32_e64 v87, v87, v99, s11
	v_cmp_eq_u32_e64 s15, 5, v79
	v_cndmask_b32_e64 v90, v69, v66, s6
	v_cndmask_b32_e64 v89, v89, v98, s9
	v_cndmask_b32_e64 v81, v81, v72, s13
	v_cmp_eq_u32_e64 s16, 7, v78
	v_cndmask_b32_e64 v88, v88, v96, s15
	v_cndmask_b32_e64 v87, v87, v86, s13
	v_cmp_eq_u32_e64 s17, 6, v79
	v_cmp_eq_u32_e64 s18, 2, v77
	v_cndmask_b32_e64 v89, v89, v85, s12
	v_cndmask_b32_e64 v101, v81, v97, s16
	;; [unrolled: 1-line block ×6, first 2 shown]
	v_cmp_eq_u32_e64 s19, 7, v79
	v_cmp_eq_u32_e64 s20, 3, v77
	;; [unrolled: 1-line block ×4, first 2 shown]
	v_cndmask_b32_e64 v87, v87, v84, s18
	v_cndmask_b32_e64 v103, v88, v97, s19
	v_cndmask_b32_e64 v88, v89, v99, s15
	v_cndmask_b32_e64 v89, v81, v95, s20
	v_or_b32_e32 v81, 3, v78
	v_cndmask_b32_e64 v93, v87, v98, s20
	v_cmp_eq_u32_e64 s25, 6, v77
	v_cndmask_b32_e64 v104, v88, v86, s17
	v_cndmask_b32_e64 v92, v89, v71, s21
	v_cmp_eq_u32_e64 s22, 1, v81
	ds_load_b128 v[87:90], v82 offset:1024
	v_cmp_eq_u32_e64 s24, 2, v81
	v_cmp_eq_u32_e64 s26, 3, v81
	v_cndmask_b32_e64 v105, v92, v96, s23
	v_cndmask_b32_e64 v66, v69, v66, s22
	;; [unrolled: 1-line block ×4, first 2 shown]
	ds_load_b128 v[91:94], v82 offset:1040
	v_cmp_eq_u32_e64 s27, 4, v81
	v_cndmask_b32_e64 v66, v66, v70, s24
	v_cmp_eq_u32_e64 s28, 7, v77
	v_cndmask_b32_e64 v70, v83, v84, s24
	v_cndmask_b32_e64 v84, v105, v72, s25
	v_cmp_eq_u32_e64 s29, 5, v81
	v_cndmask_b32_e64 v66, v66, v95, s26
	v_cmp_eq_u32_e64 s30, 6, v81
	v_cndmask_b32_e64 v70, v70, v98, s26
	v_cndmask_b32_e64 v69, v69, v99, s23
	;; [unrolled: 1-line block ×4, first 2 shown]
	s_waitcnt lgkmcnt(1)
	v_lshrrev_b32_e32 v95, 16, v87
	v_cndmask_b32_e64 v70, v70, v85, s27
	v_cndmask_b32_e64 v71, v84, v97, s28
	;; [unrolled: 1-line block ×4, first 2 shown]
	v_cndmask_b32_e32 v84, v87, v95, vcc_lo
	v_cndmask_b32_e64 v70, v70, v99, s29
	s_waitcnt lgkmcnt(0)
	v_lshrrev_b32_e32 v85, 16, v91
	v_lshrrev_b32_e32 v96, 16, v88
	v_cndmask_b32_e64 v98, v87, v95, s4
	v_cndmask_b32_e64 v84, v84, v88, s5
	v_cndmask_b32_e64 v70, v70, v86, s30
	v_cndmask_b32_e32 v99, v91, v85, vcc_lo
	v_cmp_eq_u32_e32 vcc_lo, 7, v81
	v_cndmask_b32_e64 v66, v66, v72, s30
	v_cndmask_b32_e64 v72, v84, v96, s8
	;; [unrolled: 1-line block ×3, first 2 shown]
	v_lshrrev_b32_e32 v98, 16, v92
	v_cndmask_b32_e32 v70, v70, v100, vcc_lo
	v_cndmask_b32_e64 v86, v99, v92, s5
	v_cndmask_b32_e64 v69, v69, v100, s28
	v_lshrrev_b32_e32 v100, 16, v93
	v_cndmask_b32_e64 v72, v72, v89, s10
	v_lshrrev_b32_e32 v99, 16, v89
	v_cndmask_b32_e64 v86, v86, v98, s8
	v_perm_b32 v71, v69, v71, 0x5040100
	v_cndmask_b32_e64 v84, v84, v96, s9
	s_delay_alu instid0(VALU_DEP_3) | instskip(NEXT) | instid1(VALU_DEP_2)
	v_cndmask_b32_e64 v86, v86, v93, s10
	v_cndmask_b32_e64 v84, v84, v89, s12
	s_delay_alu instid0(VALU_DEP_2) | instskip(NEXT) | instid1(VALU_DEP_1)
	v_cndmask_b32_e64 v86, v86, v100, s11
	v_cndmask_b32_e64 v69, v86, v94, s13
	;; [unrolled: 1-line block ×5, first 2 shown]
	s_delay_alu instid0(VALU_DEP_3) | instskip(NEXT) | instid1(VALU_DEP_3)
	v_cndmask_b32_e64 v86, v86, v88, s18
	v_cndmask_b32_e64 v87, v87, v88, s24
	s_delay_alu instid0(VALU_DEP_3) | instskip(NEXT) | instid1(VALU_DEP_3)
	v_cndmask_b32_e64 v88, v95, v92, s24
	v_cndmask_b32_e64 v86, v86, v96, s20
	;; [unrolled: 3-line block ×7, first 2 shown]
	s_delay_alu instid0(VALU_DEP_3) | instskip(SKIP_2) | instid1(VALU_DEP_2)
	v_cndmask_b32_e64 v88, v88, v94, s30
	v_cndmask_b32_e32 v66, v66, v97, vcc_lo
	v_cndmask_b32_e64 v97, v72, v99, s11
	v_perm_b32 v72, v70, v66, 0x5040100
	v_perm_b32 v70, v83, v103, 0x5040100
	v_cndmask_b32_e64 v103, v91, v85, s6
	v_cndmask_b32_e64 v85, v91, v85, s4
	;; [unrolled: 1-line block ×4, first 2 shown]
	v_lshrrev_b32_e32 v97, 16, v90
	v_cndmask_b32_e64 v91, v103, v92, s18
	v_cndmask_b32_e64 v85, v85, v92, s7
	;; [unrolled: 1-line block ×3, first 2 shown]
	s_mov_b32 s4, exec_lo
	v_cndmask_b32_e64 v83, v84, v97, s16
	v_cndmask_b32_e64 v91, v91, v98, s20
	;; [unrolled: 1-line block ×3, first 2 shown]
	v_lshrrev_b32_e32 v84, 16, v94
	v_cndmask_b32_e64 v66, v66, v97, s19
	v_cndmask_b32_e64 v90, v86, v97, s28
	v_cndmask_b32_e64 v89, v91, v93, s21
	v_cndmask_b32_e64 v85, v85, v93, s12
	v_dual_cndmask_b32 v86, v87, v97 :: v_dual_cndmask_b32 v87, v88, v84
	v_cndmask_b32_e64 v91, v69, v84, s16
	s_delay_alu instid0(VALU_DEP_4) | instskip(NEXT) | instid1(VALU_DEP_4)
	v_cndmask_b32_e64 v89, v89, v100, s23
	v_cndmask_b32_e64 v85, v85, v100, s15
	v_perm_b32 v69, v102, v101, 0x5040100
	v_perm_b32 v86, v87, v86, 0x5040100
	;; [unrolled: 1-line block ×3, first 2 shown]
	v_cndmask_b32_e64 v89, v89, v94, s25
	v_cndmask_b32_e64 v85, v85, v94, s17
	s_mul_i32 s9, s37, 5
	s_delay_alu instid0(VALU_DEP_2) | instskip(NEXT) | instid1(VALU_DEP_2)
	v_cndmask_b32_e64 v88, v89, v84, s28
	v_cndmask_b32_e64 v89, v85, v84, s19
	s_delay_alu instid0(VALU_DEP_2) | instskip(NEXT) | instid1(VALU_DEP_2)
	v_perm_b32 v85, v88, v90, 0x5040100
	v_perm_b32 v84, v89, v66, 0x5040100
	ds_store_b128 v76, v[69:72]
	ds_store_b128 v76, v[83:86] offset:1024
	v_cmpx_gt_u32_e32 5, v0
	s_cbranch_execz .LBB1350_78
; %bb.77:
	s_mul_i32 s5, s9, s34
	s_load_b128 s[16:19], s[0:1], 0x58
	v_add3_u32 v69, s5, s31, v65
	s_delay_alu instid0(VALU_DEP_1) | instskip(NEXT) | instid1(VALU_DEP_1)
	v_mad_u64_u32 v[65:66], null, v69, s36, s[14:15]
	v_ashrrev_i32_e32 v66, 31, v65
	s_delay_alu instid0(VALU_DEP_1) | instskip(SKIP_1) | instid1(VALU_DEP_1)
	v_lshlrev_b64 v[65:66], 2, v[65:66]
	s_waitcnt lgkmcnt(0)
	v_add_co_u32 v69, vcc_lo, s18, v65
	s_delay_alu instid0(VALU_DEP_2)
	v_add_co_ci_u32_e32 v70, vcc_lo, s19, v66, vcc_lo
	v_add_co_u32 v65, vcc_lo, s16, v65
	v_add_co_ci_u32_e32 v66, vcc_lo, s17, v66, vcc_lo
	global_store_b32 v[69:70], v67, off
	global_store_b32 v[65:66], v68, off
.LBB1350_78:
	s_or_b32 exec_lo, exec_lo, s4
	s_waitcnt lgkmcnt(0)
	s_waitcnt_vscnt null, 0x0
	s_barrier
	buffer_gl0_inv
	ds_load_b128 v[83:86], v80
	ds_load_b128 v[87:90], v80 offset:16
	ds_load_b128 v[95:98], v80 offset:2064
	ds_load_b128 v[91:94], v80 offset:2048
	v_mov_b32_e32 v65, 0
	ds_load_b128 v[103:106], v80 offset:4112
	ds_load_b128 v[99:102], v80 offset:4096
	;; [unrolled: 1-line block ×4, first 2 shown]
	v_mov_b32_e32 v66, v65
	v_mov_b32_e32 v67, v65
	;; [unrolled: 1-line block ×7, first 2 shown]
	s_waitcnt lgkmcnt(6)
	s_delay_alu instid0(VALU_DEP_1)
	v_wmma_f32_16x16x16_bf16 v[65:72], v[57:64], v[83:90], v[65:72]
	ds_load_b128 v[61:64], v80 offset:8208
	ds_load_b128 v[57:60], v80 offset:8192
	s_waitcnt lgkmcnt(6)
	v_wmma_f32_16x16x16_bf16 v[65:72], v[41:48], v[91:98], v[65:72]
	ds_load_b128 v[45:48], v80 offset:10256
	ds_load_b128 v[41:44], v80 offset:10240
	s_waitcnt lgkmcnt(6)
	;; [unrolled: 4-line block ×4, first 2 shown]
	v_wmma_f32_16x16x16_bf16 v[65:72], v[1:8], v[57:64], v[65:72]
	s_waitcnt lgkmcnt(4)
	s_delay_alu instid0(VALU_DEP_1) | instskip(SKIP_1) | instid1(VALU_DEP_1)
	v_wmma_f32_16x16x16_bf16 v[65:72], v[9:16], v[41:48], v[65:72]
	s_waitcnt lgkmcnt(2)
	v_wmma_f32_16x16x16_bf16 v[65:72], v[17:24], v[33:40], v[65:72]
	s_waitcnt lgkmcnt(0)
	s_delay_alu instid0(VALU_DEP_1) | instskip(NEXT) | instid1(VALU_DEP_1)
	v_wmma_f32_16x16x16_bf16 v[65:72], v[49:56], v[25:32], v[65:72]
	v_and_b32_e32 v1, 0x7f800000, v65
	s_delay_alu instid0(VALU_DEP_1) | instskip(SKIP_1) | instid1(SALU_CYCLE_1)
	v_cmp_ne_u32_e32 vcc_lo, 0x7f800000, v1
                                        ; implicit-def: $vgpr1
	s_and_saveexec_b32 s4, vcc_lo
	s_xor_b32 s4, exec_lo, s4
; %bb.79:
	v_bfe_u32 v1, v65, 16, 1
	s_delay_alu instid0(VALU_DEP_1)
	v_add3_u32 v1, v65, v1, 0x7fff
; %bb.80:
	s_and_not1_saveexec_b32 s4, s4
; %bb.81:
	v_and_b32_e32 v1, 0xffff, v65
	v_or_b32_e32 v2, 0x10000, v65
	s_delay_alu instid0(VALU_DEP_2) | instskip(NEXT) | instid1(VALU_DEP_2)
	v_cmp_eq_u32_e32 vcc_lo, 0, v1
	v_cndmask_b32_e32 v1, v2, v65, vcc_lo
; %bb.82:
	s_or_b32 exec_lo, exec_lo, s4
	v_and_b32_e32 v2, 0x7f800000, v66
	s_delay_alu instid0(VALU_DEP_1) | instskip(SKIP_1) | instid1(SALU_CYCLE_1)
	v_cmp_ne_u32_e32 vcc_lo, 0x7f800000, v2
                                        ; implicit-def: $vgpr2
	s_and_saveexec_b32 s4, vcc_lo
	s_xor_b32 s4, exec_lo, s4
; %bb.83:
	v_bfe_u32 v2, v66, 16, 1
	s_delay_alu instid0(VALU_DEP_1)
	v_add3_u32 v2, v66, v2, 0x7fff
; %bb.84:
	s_and_not1_saveexec_b32 s4, s4
; %bb.85:
	v_and_b32_e32 v2, 0xffff, v66
	v_or_b32_e32 v3, 0x10000, v66
	s_delay_alu instid0(VALU_DEP_2) | instskip(NEXT) | instid1(VALU_DEP_2)
	v_cmp_eq_u32_e32 vcc_lo, 0, v2
	v_cndmask_b32_e32 v2, v3, v66, vcc_lo
; %bb.86:
	s_or_b32 exec_lo, exec_lo, s4
	v_and_b32_e32 v3, 0x7f800000, v67
	s_delay_alu instid0(VALU_DEP_1) | instskip(SKIP_1) | instid1(SALU_CYCLE_1)
	v_cmp_ne_u32_e32 vcc_lo, 0x7f800000, v3
                                        ; implicit-def: $vgpr3
	s_and_saveexec_b32 s4, vcc_lo
	s_xor_b32 s4, exec_lo, s4
; %bb.87:
	v_bfe_u32 v3, v67, 16, 1
	s_delay_alu instid0(VALU_DEP_1)
	v_add3_u32 v3, v67, v3, 0x7fff
; %bb.88:
	s_and_not1_saveexec_b32 s4, s4
; %bb.89:
	v_and_b32_e32 v3, 0xffff, v67
	v_or_b32_e32 v4, 0x10000, v67
	s_delay_alu instid0(VALU_DEP_2) | instskip(NEXT) | instid1(VALU_DEP_2)
	v_cmp_eq_u32_e32 vcc_lo, 0, v3
	v_cndmask_b32_e32 v3, v4, v67, vcc_lo
; %bb.90:
	s_or_b32 exec_lo, exec_lo, s4
	v_and_b32_e32 v4, 0x7f800000, v68
	s_delay_alu instid0(VALU_DEP_1) | instskip(SKIP_1) | instid1(SALU_CYCLE_1)
	v_cmp_ne_u32_e32 vcc_lo, 0x7f800000, v4
                                        ; implicit-def: $vgpr4
	s_and_saveexec_b32 s4, vcc_lo
	s_xor_b32 s4, exec_lo, s4
; %bb.91:
	v_bfe_u32 v4, v68, 16, 1
	s_delay_alu instid0(VALU_DEP_1)
	v_add3_u32 v4, v68, v4, 0x7fff
; %bb.92:
	s_and_not1_saveexec_b32 s4, s4
; %bb.93:
	v_and_b32_e32 v4, 0xffff, v68
	v_or_b32_e32 v5, 0x10000, v68
	s_delay_alu instid0(VALU_DEP_2) | instskip(NEXT) | instid1(VALU_DEP_2)
	v_cmp_eq_u32_e32 vcc_lo, 0, v4
	v_cndmask_b32_e32 v4, v5, v68, vcc_lo
; %bb.94:
	s_or_b32 exec_lo, exec_lo, s4
	v_and_b32_e32 v5, 0x7f800000, v69
	s_delay_alu instid0(VALU_DEP_1) | instskip(SKIP_1) | instid1(SALU_CYCLE_1)
	v_cmp_ne_u32_e32 vcc_lo, 0x7f800000, v5
                                        ; implicit-def: $vgpr5
	s_and_saveexec_b32 s4, vcc_lo
	s_xor_b32 s4, exec_lo, s4
; %bb.95:
	v_bfe_u32 v5, v69, 16, 1
	s_delay_alu instid0(VALU_DEP_1)
	v_add3_u32 v5, v69, v5, 0x7fff
; %bb.96:
	s_and_not1_saveexec_b32 s4, s4
; %bb.97:
	v_and_b32_e32 v5, 0xffff, v69
	v_or_b32_e32 v6, 0x10000, v69
	s_delay_alu instid0(VALU_DEP_2) | instskip(NEXT) | instid1(VALU_DEP_2)
	v_cmp_eq_u32_e32 vcc_lo, 0, v5
	v_cndmask_b32_e32 v5, v6, v69, vcc_lo
; %bb.98:
	s_or_b32 exec_lo, exec_lo, s4
	v_and_b32_e32 v6, 0x7f800000, v70
	s_delay_alu instid0(VALU_DEP_1) | instskip(SKIP_1) | instid1(SALU_CYCLE_1)
	v_cmp_ne_u32_e32 vcc_lo, 0x7f800000, v6
                                        ; implicit-def: $vgpr6
	s_and_saveexec_b32 s4, vcc_lo
	s_xor_b32 s4, exec_lo, s4
; %bb.99:
	v_bfe_u32 v6, v70, 16, 1
	s_delay_alu instid0(VALU_DEP_1)
	v_add3_u32 v6, v70, v6, 0x7fff
; %bb.100:
	s_and_not1_saveexec_b32 s4, s4
; %bb.101:
	v_and_b32_e32 v6, 0xffff, v70
	v_or_b32_e32 v7, 0x10000, v70
	s_delay_alu instid0(VALU_DEP_2) | instskip(NEXT) | instid1(VALU_DEP_2)
	v_cmp_eq_u32_e32 vcc_lo, 0, v6
	v_cndmask_b32_e32 v6, v7, v70, vcc_lo
; %bb.102:
	s_or_b32 exec_lo, exec_lo, s4
	v_and_b32_e32 v7, 0x7f800000, v71
	s_delay_alu instid0(VALU_DEP_1) | instskip(SKIP_1) | instid1(SALU_CYCLE_1)
	v_cmp_ne_u32_e32 vcc_lo, 0x7f800000, v7
                                        ; implicit-def: $vgpr7
	s_and_saveexec_b32 s4, vcc_lo
	s_xor_b32 s4, exec_lo, s4
; %bb.103:
	v_bfe_u32 v7, v71, 16, 1
	s_delay_alu instid0(VALU_DEP_1)
	v_add3_u32 v7, v71, v7, 0x7fff
; %bb.104:
	s_and_not1_saveexec_b32 s4, s4
; %bb.105:
	v_and_b32_e32 v7, 0xffff, v71
	v_or_b32_e32 v8, 0x10000, v71
	s_delay_alu instid0(VALU_DEP_2) | instskip(NEXT) | instid1(VALU_DEP_2)
	v_cmp_eq_u32_e32 vcc_lo, 0, v7
	v_cndmask_b32_e32 v7, v8, v71, vcc_lo
; %bb.106:
	s_or_b32 exec_lo, exec_lo, s4
	v_and_b32_e32 v8, 0x7f800000, v72
	s_delay_alu instid0(VALU_DEP_1) | instskip(SKIP_1) | instid1(SALU_CYCLE_1)
	v_cmp_ne_u32_e32 vcc_lo, 0x7f800000, v8
                                        ; implicit-def: $vgpr8
	s_and_saveexec_b32 s4, vcc_lo
	s_xor_b32 s4, exec_lo, s4
; %bb.107:
	v_bfe_u32 v8, v72, 16, 1
	s_delay_alu instid0(VALU_DEP_1)
	v_add3_u32 v8, v72, v8, 0x7fff
                                        ; implicit-def: $vgpr65_vgpr66_vgpr67_vgpr68_vgpr69_vgpr70_vgpr71_vgpr72
; %bb.108:
	s_and_not1_saveexec_b32 s4, s4
; %bb.109:
	v_and_b32_e32 v8, 0xffff, v72
	v_or_b32_e32 v9, 0x10000, v72
	s_delay_alu instid0(VALU_DEP_2) | instskip(NEXT) | instid1(VALU_DEP_2)
	v_cmp_eq_u32_e32 vcc_lo, 0, v8
	v_cndmask_b32_e32 v8, v9, v72, vcc_lo
; %bb.110:
	s_or_b32 exec_lo, exec_lo, s4
	s_delay_alu instid0(VALU_DEP_1)
	v_perm_b32 v7, v8, v7, 0x7060302
	v_perm_b32 v6, v6, v5, 0x7060302
	;; [unrolled: 1-line block ×4, first 2 shown]
	s_barrier
	buffer_gl0_inv
	v_cmp_eq_u32_e32 vcc_lo, 1, v78
	ds_store_b128 v76, v[4:7]
	s_waitcnt lgkmcnt(0)
	s_barrier
	buffer_gl0_inv
	ds_load_b128 v[1:4], v82
	ds_load_b128 v[5:8], v82 offset:16
	v_cmp_eq_u32_e64 s4, 1, v79
	v_cmp_eq_u32_e64 s5, 2, v78
	v_cmp_eq_u32_e64 s6, 3, v78
	v_cmp_eq_u32_e64 s8, 2, v77
	v_cmp_eq_u32_e64 s7, 7, v79
	s_waitcnt lgkmcnt(1)
	v_lshrrev_b32_e32 v9, 16, v1
	s_waitcnt lgkmcnt(0)
	v_lshrrev_b32_e32 v13, 16, v5
	v_lshrrev_b32_e32 v10, 16, v2
	;; [unrolled: 1-line block ×4, first 2 shown]
	v_cndmask_b32_e64 v19, v1, v9, s4
	v_cndmask_b32_e32 v18, v5, v13, vcc_lo
	v_cndmask_b32_e64 v20, v5, v13, s4
	v_cndmask_b32_e32 v17, v1, v9, vcc_lo
	v_cmp_eq_u32_e32 vcc_lo, 2, v79
	v_lshrrev_b32_e32 v15, 16, v7
	v_cmp_eq_u32_e64 s4, 1, v77
	v_lshrrev_b32_e32 v12, 16, v4
	v_lshrrev_b32_e32 v16, 16, v8
	v_cndmask_b32_e32 v20, v20, v6, vcc_lo
	v_cndmask_b32_e64 v17, v17, v2, s5
	v_cndmask_b32_e32 v19, v19, v2, vcc_lo
	v_cndmask_b32_e64 v18, v18, v6, s5
	v_cmp_eq_u32_e32 vcc_lo, 4, v78
	v_cmp_eq_u32_e64 s5, 3, v79
	v_cndmask_b32_e64 v17, v17, v10, s6
	v_cndmask_b32_e64 v21, v1, v9, s4
	;; [unrolled: 1-line block ×5, first 2 shown]
	v_cndmask_b32_e32 v17, v17, v3, vcc_lo
	v_cndmask_b32_e64 v20, v20, v14, s5
	v_cndmask_b32_e32 v18, v18, v7, vcc_lo
	v_cmp_eq_u32_e32 vcc_lo, 4, v79
	v_cmp_eq_u32_e64 s5, 5, v79
	v_cmp_eq_u32_e64 s4, 2, v81
	v_cndmask_b32_e64 v21, v21, v2, s8
	v_cmp_eq_u32_e64 s6, 5, v78
	v_cndmask_b32_e32 v19, v19, v3, vcc_lo
	v_cndmask_b32_e32 v20, v20, v7, vcc_lo
	v_cmp_eq_u32_e32 vcc_lo, 6, v79
	s_delay_alu instid0(VALU_DEP_4) | instskip(NEXT) | instid1(VALU_DEP_4)
	v_cndmask_b32_e64 v17, v17, v11, s6
	v_cndmask_b32_e64 v19, v19, v11, s5
	s_delay_alu instid0(VALU_DEP_4) | instskip(SKIP_1) | instid1(VALU_DEP_3)
	v_cndmask_b32_e64 v20, v20, v15, s5
	v_cmp_eq_u32_e64 s5, 1, v81
	v_cndmask_b32_e32 v19, v19, v4, vcc_lo
	v_cndmask_b32_e64 v18, v18, v15, s6
	s_delay_alu instid0(VALU_DEP_3)
	v_cndmask_b32_e64 v1, v1, v9, s5
	v_cndmask_b32_e64 v5, v5, v13, s5
	v_cmp_eq_u32_e64 s5, 3, v77
	v_cndmask_b32_e64 v13, v22, v6, s8
	v_cmp_eq_u32_e64 s8, 3, v81
	v_cndmask_b32_e64 v1, v1, v2, s4
	v_cndmask_b32_e64 v2, v5, v6, s4
	;; [unrolled: 1-line block ×3, first 2 shown]
	v_cmp_eq_u32_e64 s4, 4, v77
	v_cndmask_b32_e64 v6, v13, v14, s5
	v_cndmask_b32_e64 v1, v1, v10, s8
	v_cmp_eq_u32_e64 s5, 4, v81
	v_cndmask_b32_e64 v2, v2, v14, s8
	v_cndmask_b32_e64 v5, v9, v3, s4
	;; [unrolled: 3-line block ×3, first 2 shown]
	v_cndmask_b32_e64 v2, v2, v7, s5
	v_cmp_eq_u32_e64 s4, 5, v81
	v_cmp_eq_u32_e64 s6, 6, v78
	v_cndmask_b32_e64 v5, v5, v11, s8
	v_cmp_eq_u32_e64 s5, 6, v77
	v_cndmask_b32_e64 v3, v6, v15, s8
	v_cndmask_b32_e64 v1, v1, v11, s4
	v_cmp_eq_u32_e64 s8, 6, v81
	v_cndmask_b32_e64 v2, v2, v15, s4
	v_cndmask_b32_e64 v17, v17, v4, s6
	v_cndmask_b32_e64 v18, v18, v8, s6
	v_cmp_eq_u32_e64 s6, 7, v78
	v_cndmask_b32_e64 v5, v5, v4, s5
	;; [unrolled: 4-line block ×3, first 2 shown]
	v_cmp_eq_u32_e64 s5, 7, v77
	v_cndmask_b32_e32 v4, v20, v8, vcc_lo
	v_cndmask_b32_e64 v17, v17, v12, s6
	v_cndmask_b32_e64 v19, v19, v12, s7
	;; [unrolled: 1-line block ×8, first 2 shown]
	v_cmp_gt_u32_e32 vcc_lo, 32, v0
	v_perm_b32 v4, v2, v1, 0x5040100
	v_perm_b32 v3, v3, v5, 0x5040100
	;; [unrolled: 1-line block ×4, first 2 shown]
	s_and_b32 s2, vcc_lo, s2
	ds_store_b128 v76, v[1:4]
	s_waitcnt lgkmcnt(0)
	s_barrier
	buffer_gl0_inv
	s_and_saveexec_b32 s4, s2
	s_cbranch_execz .LBB1350_2
; %bb.111:
	s_load_b64 s[4:5], s[0:1], 0x68
	v_lshlrev_b32_e32 v0, 10, v0
	v_add_nc_u32_e32 v2, s31, v74
	v_lshlrev_b32_e32 v3, 4, v75
	s_lshl_b32 s0, s36, 6
	s_delay_alu instid0(SALU_CYCLE_1) | instskip(NEXT) | instid1(VALU_DEP_2)
	s_mul_i32 s1, s0, s34
	v_mul_lo_u32 v1, v2, s0
	s_delay_alu instid0(VALU_DEP_2) | instskip(SKIP_2) | instid1(SALU_CYCLE_1)
	v_and_or_b32 v0, 0x3800, v0, v3
	v_add_nc_u32_e32 v2, 2, v2
	s_mul_i32 s6, s1, s9
	s_ashr_i32 s7, s6, 31
	s_delay_alu instid0(VALU_DEP_2)
	v_lshl_or_b32 v7, v74, 6, v0
	s_lshl_b64 s[6:7], s[6:7], 1
	v_mul_lo_u32 v11, v2, s0
	v_ashrrev_i32_e32 v2, 31, v1
	ds_load_b128 v[3:6], v7
	ds_load_b128 v[7:10], v7 offset:128
	s_waitcnt lgkmcnt(0)
	s_add_u32 s1, s4, s6
	s_addc_u32 s2, s5, s7
	s_lshl_b32 s4, s14, 6
	v_ashrrev_i32_e32 v12, 31, v11
	s_ashr_i32 s5, s4, 31
	v_lshlrev_b64 v[13:14], 1, v[1:2]
	s_lshl_b64 s[4:5], s[4:5], 1
	s_delay_alu instid0(SALU_CYCLE_1) | instskip(SKIP_2) | instid1(VALU_DEP_1)
	s_add_u32 s1, s1, s4
	s_addc_u32 s2, s2, s5
	v_add_co_u32 v1, s1, s1, v73
	v_add_co_ci_u32_e64 v2, null, s2, 0, s1
	v_lshlrev_b64 v[11:12], 1, v[11:12]
	s_delay_alu instid0(VALU_DEP_3) | instskip(NEXT) | instid1(VALU_DEP_3)
	v_add_co_u32 v13, vcc_lo, v1, v13
	v_add_co_ci_u32_e32 v14, vcc_lo, v2, v14, vcc_lo
	s_delay_alu instid0(VALU_DEP_3) | instskip(NEXT) | instid1(VALU_DEP_4)
	v_add_co_u32 v11, vcc_lo, v1, v11
	v_add_co_ci_u32_e32 v12, vcc_lo, v2, v12, vcc_lo
	s_clause 0x1
	global_store_b128 v[13:14], v[3:6], off
	global_store_b128 v[11:12], v[7:10], off
	s_and_b32 exec_lo, exec_lo, s3
	s_cbranch_execz .LBB1350_2
; %bb.112:
	ds_load_b128 v[3:6], v0 offset:256
	s_add_i32 s1, s31, 4
	s_delay_alu instid0(SALU_CYCLE_1) | instskip(NEXT) | instid1(SALU_CYCLE_1)
	s_mul_i32 s0, s1, s0
	s_ashr_i32 s1, s0, 31
	s_delay_alu instid0(SALU_CYCLE_1) | instskip(NEXT) | instid1(SALU_CYCLE_1)
	s_lshl_b64 s[0:1], s[0:1], 1
	v_add_co_u32 v0, vcc_lo, v1, s0
	v_add_co_ci_u32_e32 v1, vcc_lo, s1, v2, vcc_lo
	s_waitcnt lgkmcnt(0)
	global_store_b128 v[0:1], v[3:6], off
	s_nop 0
	s_sendmsg sendmsg(MSG_DEALLOC_VGPRS)
	s_endpgm
	.section	.rodata,"a",@progbits
	.p2align	6, 0x0
	.amdhsa_kernel _Z39paged_attention_ll4mi_QKV_mfma16_kernelI14__hip_bfloat16hLN4vllm18Fp8KVCacheDataTypeE1EhLi16ELi64ELi256ELb1ELi5EL8MFMAType1EEvPKT_PKT0_S9_ifPKiSB_SB_iPKfiiiPfSE_PS4_PT2_iSD_SD_
		.amdhsa_group_segment_fixed_size 17472
		.amdhsa_private_segment_fixed_size 0
		.amdhsa_kernarg_size 400
		.amdhsa_user_sgpr_count 13
		.amdhsa_user_sgpr_dispatch_ptr 0
		.amdhsa_user_sgpr_queue_ptr 0
		.amdhsa_user_sgpr_kernarg_segment_ptr 1
		.amdhsa_user_sgpr_dispatch_id 0
		.amdhsa_user_sgpr_private_segment_size 0
		.amdhsa_wavefront_size32 1
		.amdhsa_uses_dynamic_stack 0
		.amdhsa_enable_private_segment 0
		.amdhsa_system_sgpr_workgroup_id_x 1
		.amdhsa_system_sgpr_workgroup_id_y 1
		.amdhsa_system_sgpr_workgroup_id_z 1
		.amdhsa_system_sgpr_workgroup_info 0
		.amdhsa_system_vgpr_workitem_id 0
		.amdhsa_next_free_vgpr 124
		.amdhsa_next_free_sgpr 40
		.amdhsa_reserve_vcc 1
		.amdhsa_float_round_mode_32 0
		.amdhsa_float_round_mode_16_64 0
		.amdhsa_float_denorm_mode_32 3
		.amdhsa_float_denorm_mode_16_64 3
		.amdhsa_dx10_clamp 1
		.amdhsa_ieee_mode 1
		.amdhsa_fp16_overflow 0
		.amdhsa_workgroup_processor_mode 1
		.amdhsa_memory_ordered 1
		.amdhsa_forward_progress 0
		.amdhsa_shared_vgpr_count 0
		.amdhsa_exception_fp_ieee_invalid_op 0
		.amdhsa_exception_fp_denorm_src 0
		.amdhsa_exception_fp_ieee_div_zero 0
		.amdhsa_exception_fp_ieee_overflow 0
		.amdhsa_exception_fp_ieee_underflow 0
		.amdhsa_exception_fp_ieee_inexact 0
		.amdhsa_exception_int_div_zero 0
	.end_amdhsa_kernel
	.section	.text._Z39paged_attention_ll4mi_QKV_mfma16_kernelI14__hip_bfloat16hLN4vllm18Fp8KVCacheDataTypeE1EhLi16ELi64ELi256ELb1ELi5EL8MFMAType1EEvPKT_PKT0_S9_ifPKiSB_SB_iPKfiiiPfSE_PS4_PT2_iSD_SD_,"axG",@progbits,_Z39paged_attention_ll4mi_QKV_mfma16_kernelI14__hip_bfloat16hLN4vllm18Fp8KVCacheDataTypeE1EhLi16ELi64ELi256ELb1ELi5EL8MFMAType1EEvPKT_PKT0_S9_ifPKiSB_SB_iPKfiiiPfSE_PS4_PT2_iSD_SD_,comdat
.Lfunc_end1350:
	.size	_Z39paged_attention_ll4mi_QKV_mfma16_kernelI14__hip_bfloat16hLN4vllm18Fp8KVCacheDataTypeE1EhLi16ELi64ELi256ELb1ELi5EL8MFMAType1EEvPKT_PKT0_S9_ifPKiSB_SB_iPKfiiiPfSE_PS4_PT2_iSD_SD_, .Lfunc_end1350-_Z39paged_attention_ll4mi_QKV_mfma16_kernelI14__hip_bfloat16hLN4vllm18Fp8KVCacheDataTypeE1EhLi16ELi64ELi256ELb1ELi5EL8MFMAType1EEvPKT_PKT0_S9_ifPKiSB_SB_iPKfiiiPfSE_PS4_PT2_iSD_SD_
                                        ; -- End function
	.section	.AMDGPU.csdata,"",@progbits
; Kernel info:
; codeLenInByte = 8756
; NumSgprs: 42
; NumVgprs: 124
; ScratchSize: 0
; MemoryBound: 0
; FloatMode: 240
; IeeeMode: 1
; LDSByteSize: 17472 bytes/workgroup (compile time only)
; SGPRBlocks: 5
; VGPRBlocks: 15
; NumSGPRsForWavesPerEU: 42
; NumVGPRsForWavesPerEU: 124
; Occupancy: 10
; WaveLimiterHint : 1
; COMPUTE_PGM_RSRC2:SCRATCH_EN: 0
; COMPUTE_PGM_RSRC2:USER_SGPR: 13
; COMPUTE_PGM_RSRC2:TRAP_HANDLER: 0
; COMPUTE_PGM_RSRC2:TGID_X_EN: 1
; COMPUTE_PGM_RSRC2:TGID_Y_EN: 1
; COMPUTE_PGM_RSRC2:TGID_Z_EN: 1
; COMPUTE_PGM_RSRC2:TIDIG_COMP_CNT: 0
	.section	.text._Z39paged_attention_ll4mi_QKV_mfma16_kernelI14__hip_bfloat16hLN4vllm18Fp8KVCacheDataTypeE1EhLi16ELi64ELi256ELb1ELi6EL8MFMAType1EEvPKT_PKT0_S9_ifPKiSB_SB_iPKfiiiPfSE_PS4_PT2_iSD_SD_,"axG",@progbits,_Z39paged_attention_ll4mi_QKV_mfma16_kernelI14__hip_bfloat16hLN4vllm18Fp8KVCacheDataTypeE1EhLi16ELi64ELi256ELb1ELi6EL8MFMAType1EEvPKT_PKT0_S9_ifPKiSB_SB_iPKfiiiPfSE_PS4_PT2_iSD_SD_,comdat
	.protected	_Z39paged_attention_ll4mi_QKV_mfma16_kernelI14__hip_bfloat16hLN4vllm18Fp8KVCacheDataTypeE1EhLi16ELi64ELi256ELb1ELi6EL8MFMAType1EEvPKT_PKT0_S9_ifPKiSB_SB_iPKfiiiPfSE_PS4_PT2_iSD_SD_ ; -- Begin function _Z39paged_attention_ll4mi_QKV_mfma16_kernelI14__hip_bfloat16hLN4vllm18Fp8KVCacheDataTypeE1EhLi16ELi64ELi256ELb1ELi6EL8MFMAType1EEvPKT_PKT0_S9_ifPKiSB_SB_iPKfiiiPfSE_PS4_PT2_iSD_SD_
	.globl	_Z39paged_attention_ll4mi_QKV_mfma16_kernelI14__hip_bfloat16hLN4vllm18Fp8KVCacheDataTypeE1EhLi16ELi64ELi256ELb1ELi6EL8MFMAType1EEvPKT_PKT0_S9_ifPKiSB_SB_iPKfiiiPfSE_PS4_PT2_iSD_SD_
	.p2align	8
	.type	_Z39paged_attention_ll4mi_QKV_mfma16_kernelI14__hip_bfloat16hLN4vllm18Fp8KVCacheDataTypeE1EhLi16ELi64ELi256ELb1ELi6EL8MFMAType1EEvPKT_PKT0_S9_ifPKiSB_SB_iPKfiiiPfSE_PS4_PT2_iSD_SD_,@function
_Z39paged_attention_ll4mi_QKV_mfma16_kernelI14__hip_bfloat16hLN4vllm18Fp8KVCacheDataTypeE1EhLi16ELi64ELi256ELb1ELi6EL8MFMAType1EEvPKT_PKT0_S9_ifPKiSB_SB_iPKfiiiPfSE_PS4_PT2_iSD_SD_: ; @_Z39paged_attention_ll4mi_QKV_mfma16_kernelI14__hip_bfloat16hLN4vllm18Fp8KVCacheDataTypeE1EhLi16ELi64ELi256ELb1ELi6EL8MFMAType1EEvPKT_PKT0_S9_ifPKiSB_SB_iPKfiiiPfSE_PS4_PT2_iSD_SD_
; %bb.0:
	s_load_b64 s[2:3], s[0:1], 0x30
	s_mov_b32 s30, s13
	s_waitcnt lgkmcnt(0)
	s_cmp_lg_u64 s[2:3], 0
	s_cselect_b32 s8, -1, 0
	s_ashr_i32 s31, s13, 31
	s_cmp_eq_u64 s[2:3], 0
	s_cbranch_scc1 .LBB1351_3
; %bb.1:
	s_lshl_b64 s[4:5], s[30:31], 2
	s_delay_alu instid0(SALU_CYCLE_1) | instskip(SKIP_4) | instid1(SALU_CYCLE_1)
	s_add_u32 s4, s2, s4
	s_addc_u32 s5, s3, s5
	s_load_b64 s[4:5], s[4:5], 0x0
	s_waitcnt lgkmcnt(0)
	s_sub_i32 s4, s5, s4
	s_cmp_eq_u32 s4, 1
	s_cselect_b32 s4, -1, 0
	s_delay_alu instid0(SALU_CYCLE_1)
	s_and_not1_b32 vcc_lo, exec_lo, s4
	s_cbranch_vccz .LBB1351_4
.LBB1351_2:
	s_endpgm
.LBB1351_3:
.LBB1351_4:
	s_load_b64 s[4:5], s[0:1], 0x28
	s_lshl_b64 s[6:7], s[30:31], 2
	s_waitcnt lgkmcnt(0)
	s_add_u32 s4, s4, s6
	s_addc_u32 s5, s5, s7
	s_lshl_b32 s12, s14, 8
	s_load_b32 s24, s[4:5], 0x0
	s_waitcnt lgkmcnt(0)
	s_cmp_ge_i32 s12, s24
	s_cbranch_scc1 .LBB1351_2
; %bb.5:
	s_clause 0x1
	s_load_b128 s[20:23], s[0:1], 0x8
	s_load_b64 s[4:5], s[0:1], 0x20
	s_and_not1_b32 vcc_lo, exec_lo, s8
	s_cbranch_vccnz .LBB1351_7
; %bb.6:
	s_add_u32 s2, s2, s6
	s_addc_u32 s3, s3, s7
	s_load_b32 s3, s[2:3], 0x0
	s_branch .LBB1351_8
.LBB1351_7:
	s_mov_b32 s3, s30
.LBB1351_8:
	s_load_b128 s[16:19], s[0:1], 0x48
	v_and_b32_e32 v65, 15, v0
	v_cmp_gt_u32_e32 vcc_lo, 0x60, v0
	v_lshrrev_b32_e32 v66, 5, v0
	v_and_b32_e32 v67, 31, v0
	v_and_b32_e32 v75, 1, v0
	v_lshlrev_b32_e32 v1, 3, v65
	v_cmp_gt_u32_e64 s2, 8, v65
	v_bfe_u32 v74, v0, 4, 1
	s_mul_i32 s31, s15, 6
	s_delay_alu instid0(VALU_DEP_3) | instskip(NEXT) | instid1(VALU_DEP_3)
	v_lshlrev_b32_e32 v73, 1, v1
	s_and_b32 s7, vcc_lo, s2
	s_delay_alu instid0(SALU_CYCLE_1)
	s_and_saveexec_b32 s6, s7
	s_cbranch_execz .LBB1351_10
; %bb.9:
	s_load_b64 s[8:9], s[0:1], 0x0
	v_lshl_or_b32 v5, v66, 1, v74
	s_waitcnt lgkmcnt(0)
	s_mul_hi_i32 s11, s3, s16
	s_mul_i32 s10, s3, s16
	v_lshlrev_b32_e32 v6, 10, v65
	s_lshl_b64 s[10:11], s[10:11], 1
	v_add_lshl_u32 v1, v5, s31, 6
	v_lshlrev_b32_e32 v5, 6, v5
	v_lshlrev_b32_e32 v7, 10, v75
	v_and_b32_e32 v6, 0x3800, v6
	s_delay_alu instid0(VALU_DEP_4) | instskip(NEXT) | instid1(VALU_DEP_2)
	v_ashrrev_i32_e32 v2, 31, v1
	v_or3_b32 v5, v6, v7, v5
	s_delay_alu instid0(VALU_DEP_2) | instskip(SKIP_2) | instid1(VALU_DEP_1)
	v_lshlrev_b64 v[1:2], 1, v[1:2]
	s_add_u32 s3, s8, s10
	s_addc_u32 s7, s9, s11
	v_add_co_u32 v1, vcc_lo, s3, v1
	s_delay_alu instid0(VALU_DEP_2) | instskip(NEXT) | instid1(VALU_DEP_2)
	v_add_co_ci_u32_e32 v2, vcc_lo, s7, v2, vcc_lo
	v_add_co_u32 v1, vcc_lo, v1, v73
	s_delay_alu instid0(VALU_DEP_2)
	v_add_co_ci_u32_e32 v2, vcc_lo, 0, v2, vcc_lo
	global_load_b128 v[1:4], v[1:2], off
	s_waitcnt vmcnt(0)
	ds_store_b128 v5, v[1:4]
.LBB1351_10:
	s_or_b32 exec_lo, exec_lo, s6
	v_and_b32_e32 v1, 0xef, v0
	s_waitcnt lgkmcnt(0)
	s_add_i32 s3, s24, 15
	s_clause 0x1
	s_load_b32 s6, s[0:1], 0x38
	s_load_b32 s19, s[0:1], 0x1c
	s_ashr_i32 s7, s3, 31
	v_add_nc_u32_e32 v1, s12, v1
	s_lshr_b32 s7, s7, 28
	s_waitcnt lgkmcnt(0)
	s_add_i32 s3, s3, s7
	s_barrier
	v_ashrrev_i32_e32 v2, 31, v1
	v_or_b32_e32 v3, 16, v1
	s_ashr_i32 s3, s3, 4
	v_cmp_gt_i32_e32 vcc_lo, s24, v1
	s_add_i32 s3, s3, -1
	v_lshrrev_b32_e32 v2, 28, v2
	buffer_gl0_inv
	s_mul_i32 s27, s15, s18
	v_add_nc_u32_e32 v4, v1, v2
	s_mul_i32 s6, s30, s6
	s_delay_alu instid0(SALU_CYCLE_1) | instskip(NEXT) | instid1(VALU_DEP_1)
	s_ashr_i32 s7, s6, 31
	v_ashrrev_i32_e32 v4, 4, v4
	v_add_nc_u32_e32 v2, v3, v2
	s_lshl_b64 s[6:7], s[6:7], 2
	s_delay_alu instid0(SALU_CYCLE_1) | instskip(NEXT) | instid1(VALU_DEP_2)
	s_add_u32 s26, s4, s6
	v_cndmask_b32_e32 v1, s3, v4, vcc_lo
	s_delay_alu instid0(VALU_DEP_2)
	v_ashrrev_i32_e32 v2, 4, v2
	v_cmp_gt_i32_e32 vcc_lo, s24, v3
	s_addc_u32 s25, s5, s7
	s_ashr_i32 s28, s27, 31
	s_add_u32 s13, s20, s27
	s_addc_u32 s15, s21, s28
	v_cndmask_b32_e32 v3, s3, v2, vcc_lo
	v_ashrrev_i32_e32 v2, 31, v1
	s_lshl_b32 s4, s14, 4
	s_delay_alu instid0(SALU_CYCLE_1) | instskip(NEXT) | instid1(VALU_DEP_2)
	s_ashr_i32 s5, s4, 31
	v_ashrrev_i32_e32 v4, 31, v3
	s_delay_alu instid0(VALU_DEP_2) | instskip(SKIP_1) | instid1(SALU_CYCLE_1)
	v_lshlrev_b64 v[1:2], 2, v[1:2]
	s_lshl_b64 s[4:5], s[4:5], 2
	s_add_u32 s4, s26, s4
	s_delay_alu instid0(VALU_DEP_2) | instskip(SKIP_1) | instid1(VALU_DEP_2)
	v_lshlrev_b64 v[3:4], 2, v[3:4]
	s_addc_u32 s5, s25, s5
	v_add_co_u32 v1, vcc_lo, s26, v1
	v_add_co_ci_u32_e32 v2, vcc_lo, s25, v2, vcc_lo
	s_delay_alu instid0(VALU_DEP_3) | instskip(NEXT) | instid1(VALU_DEP_4)
	v_add_co_u32 v3, vcc_lo, s26, v3
	v_add_co_ci_u32_e32 v4, vcc_lo, s25, v4, vcc_lo
	s_clause 0x1
	global_load_b32 v5, v[1:2], off
	global_load_b32 v7, v[3:4], off
	s_or_b32 s6, s12, 32
	v_lshlrev_b32_e32 v1, 4, v0
	s_ashr_i32 s7, s6, 4
	s_cmp_lt_i32 s6, s24
	s_cselect_b32 s6, s7, s3
	s_delay_alu instid0(VALU_DEP_1) | instskip(SKIP_1) | instid1(SALU_CYCLE_1)
	v_and_b32_e32 v1, 0xf0, v1
	s_ashr_i32 s7, s6, 31
	s_lshl_b64 s[6:7], s[6:7], 2
	s_delay_alu instid0(SALU_CYCLE_1)
	s_add_u32 s6, s26, s6
	s_addc_u32 s7, s25, s7
	s_or_b32 s8, s12, 64
	v_add_co_u32 v1, s13, s13, v1
	s_ashr_i32 s9, s8, 4
	s_cmp_lt_i32 s8, s24
	v_add_co_ci_u32_e64 v2, null, s15, 0, s13
	s_cselect_b32 s8, s9, s3
	s_delay_alu instid0(SALU_CYCLE_1) | instskip(NEXT) | instid1(SALU_CYCLE_1)
	s_ashr_i32 s9, s8, 31
	s_lshl_b64 s[8:9], s[8:9], 2
	s_delay_alu instid0(SALU_CYCLE_1) | instskip(SKIP_2) | instid1(SALU_CYCLE_1)
	s_add_u32 s8, s26, s8
	s_addc_u32 s9, s25, s9
	s_or_b32 s10, s12, 0x60
	s_ashr_i32 s11, s10, 4
	s_cmp_lt_i32 s10, s24
	s_cselect_b32 s10, s11, s3
	s_delay_alu instid0(SALU_CYCLE_1) | instskip(NEXT) | instid1(SALU_CYCLE_1)
	s_ashr_i32 s11, s10, 31
	s_lshl_b64 s[10:11], s[10:11], 2
	s_delay_alu instid0(SALU_CYCLE_1) | instskip(SKIP_2) | instid1(SALU_CYCLE_1)
	s_add_u32 s10, s26, s10
	s_addc_u32 s11, s25, s11
	s_or_b32 s16, s12, 0x80
	s_ashr_i32 s18, s16, 4
	s_cmp_lt_i32 s16, s24
	;; [unrolled: 10-line block ×3, first 2 shown]
	s_cselect_b32 s20, s18, s3
	s_delay_alu instid0(SALU_CYCLE_1) | instskip(NEXT) | instid1(SALU_CYCLE_1)
	s_ashr_i32 s21, s20, 31
	s_lshl_b64 s[20:21], s[20:21], 2
	s_delay_alu instid0(SALU_CYCLE_1)
	s_add_u32 s36, s26, s20
	s_addc_u32 s37, s25, s21
	s_clause 0x5
	s_load_b32 s21, s[4:5], 0x0
	s_load_b32 s13, s[6:7], 0x0
	;; [unrolled: 1-line block ×6, first 2 shown]
	s_or_b32 s9, s12, 0xc0
	s_mov_b32 s4, 0
	s_ashr_i32 s10, s9, 4
	s_cmp_lt_i32 s9, s24
	s_mov_b32 s11, s4
	s_cselect_b32 s34, s10, s3
	s_mov_b32 s5, s4
	s_ashr_i32 s35, s34, 31
	s_mov_b32 s6, s4
	s_lshl_b64 s[34:35], s[34:35], 2
	s_mov_b32 s7, s4
	s_add_u32 s34, s26, s34
	s_addc_u32 s35, s25, s35
	s_or_b32 s29, s12, 0xe0
	s_mov_b32 s8, s4
	s_ashr_i32 s33, s29, 4
	s_mov_b32 s9, s4
	s_mov_b32 s10, s4
	s_cmp_lt_i32 s29, s24
	v_dual_mov_b32 v107, s11 :: v_dual_mov_b32 v100, s4
	v_mov_b32_e32 v106, s10
	v_dual_mov_b32 v104, s8 :: v_dual_mov_b32 v103, s7
	v_dual_mov_b32 v102, s6 :: v_dual_mov_b32 v101, s5
	s_waitcnt vmcnt(1)
	v_mad_i64_i32 v[3:4], null, v5, s17, v[1:2]
	s_waitcnt vmcnt(0)
	v_mad_i64_i32 v[5:6], null, v7, s17, v[1:2]
	v_mul_lo_u16 v1, v65, 43
	v_lshlrev_b32_e32 v2, 4, v65
	s_clause 0x7
	global_load_b128 v[49:52], v[3:4], off
	global_load_b128 v[53:56], v[3:4], off offset:256
	global_load_b128 v[76:79], v[5:6], off
	global_load_b128 v[80:83], v[5:6], off offset:256
	global_load_b128 v[84:87], v[3:4], off offset:512
	;; [unrolled: 1-line block ×5, first 2 shown]
	v_lshrrev_b16 v1, 8, v1
	v_lshl_or_b32 v2, v66, 8, v2
	s_delay_alu instid0(VALU_DEP_2) | instskip(NEXT) | instid1(VALU_DEP_1)
	v_mul_lo_u16 v1, v1, 6
	v_sub_nc_u16 v1, v65, v1
	s_delay_alu instid0(VALU_DEP_1)
	v_and_b32_e32 v1, 0xff, v1
	v_mov_b32_e32 v105, s9
	s_cselect_b32 s4, s33, s3
	s_load_b32 s3, s[34:35], 0x0
	s_ashr_i32 s5, s4, 31
	v_lshlrev_b32_e32 v70, 6, v1
	s_lshl_b64 s[4:5], s[4:5], 2
	ds_load_b128 v[108:111], v70
	ds_load_b128 v[112:115], v70 offset:1024
	s_add_u32 s4, s26, s4
	s_addc_u32 s5, s25, s5
	s_add_u32 s6, s22, s27
	s_load_b32 s4, s[4:5], 0x0
	s_addc_u32 s7, s23, s28
	v_add_co_u32 v9, s6, s6, v2
	s_delay_alu instid0(VALU_DEP_1) | instskip(SKIP_1) | instid1(VALU_DEP_1)
	v_add_co_ci_u32_e64 v10, null, s7, 0, s6
	s_waitcnt lgkmcnt(0)
	v_mad_i64_i32 v[1:2], null, s21, s17, v[9:10]
	v_mad_i64_i32 v[3:4], null, s13, s17, v[9:10]
	;; [unrolled: 1-line block ×7, first 2 shown]
	s_clause 0x9
	global_load_b128 v[57:60], v[1:2], off
	global_load_b128 v[61:64], v[1:2], off offset:16
	global_load_b128 v[41:44], v[3:4], off
	global_load_b128 v[45:48], v[3:4], off offset:16
	;; [unrolled: 2-line block ×5, first 2 shown]
	v_mad_i64_i32 v[68:69], null, s4, s17, v[9:10]
	s_clause 0x3
	global_load_b128 v[9:12], v[13:14], off
	global_load_b128 v[13:16], v[13:14], off offset:16
	global_load_b128 v[17:20], v[21:22], off
	global_load_b128 v[21:24], v[21:22], off offset:16
	s_waitcnt vmcnt(20)
	v_wmma_f32_16x16x16_bf16 v[116:123], v[49:56], v[108:115], v[100:107]
	s_clause 0x1
	global_load_b128 v[49:52], v[68:69], off
	global_load_b128 v[53:56], v[68:69], off offset:16
	v_and_b32_e32 v68, 0xe0, v0
	v_mbcnt_lo_u32_b32 v69, -1, 0
	s_delay_alu instid0(VALU_DEP_2)
	v_add_nc_u32_e32 v68, s12, v68
	s_waitcnt vmcnt(20)
	v_wmma_f32_16x16x16_bf16 v[100:107], v[76:83], v[108:115], v[100:107]
	ds_load_b128 v[76:79], v70 offset:2048
	ds_load_b128 v[80:83], v70 offset:3072
	v_xor_b32_e32 v70, 16, v69
	s_waitcnt vmcnt(0) lgkmcnt(0)
	v_or_b32_e32 v68, v68, v74
	s_barrier
	buffer_gl0_inv
	v_cmp_gt_i32_e32 vcc_lo, 32, v70
	v_or_b32_e32 v71, 4, v68
	v_or_b32_e32 v72, 6, v68
	v_cmp_gt_i32_e64 s3, s24, v68
	v_or_b32_e32 v108, 8, v68
	v_or_b32_e32 v109, 10, v68
	v_cmp_gt_i32_e64 s4, s24, v71
	v_cmp_gt_i32_e64 s5, s24, v72
	s_delay_alu instid0(VALU_DEP_4) | instskip(NEXT) | instid1(VALU_DEP_4)
	v_cmp_gt_i32_e64 s6, s24, v108
	v_cmp_gt_i32_e64 s7, s24, v109
	v_wmma_f32_16x16x16_bf16 v[116:123], v[84:91], v[76:83], v[116:123]
	v_cndmask_b32_e32 v69, v69, v70, vcc_lo
	v_or_b32_e32 v70, 2, v68
	v_wmma_f32_16x16x16_bf16 v[100:107], v[92:99], v[76:83], v[100:107]
	v_or_b32_e32 v89, 22, v68
	v_dual_mul_f32 v80, s19, v121 :: v_dual_mul_f32 v81, s19, v120
	v_dual_mul_f32 v92, s19, v117 :: v_dual_mul_f32 v93, s19, v116
	s_delay_alu instid0(VALU_DEP_4)
	v_mul_f32_e32 v96, s19, v105
	v_cmp_gt_i32_e32 vcc_lo, s24, v70
	v_dual_mul_f32 v79, s19, v122 :: v_dual_mul_f32 v82, s19, v119
	v_dual_mul_f32 v83, s19, v118 :: v_dual_mul_f32 v94, s19, v107
	v_cndmask_b32_e64 v93, 0xff7fffff, v93, s3
	v_cndmask_b32_e32 v92, 0xff7fffff, v92, vcc_lo
	v_or_b32_e32 v84, 12, v68
	v_or_b32_e32 v85, 14, v68
	v_cndmask_b32_e64 v71, 0xff7fffff, v83, s4
	v_cndmask_b32_e64 v72, 0xff7fffff, v82, s5
	v_cmp_gt_i32_e64 s13, s24, v89
	v_lshlrev_b32_e32 v89, 2, v69
	v_max3_f32 v82, v93, 0xff7fffff, v92
	v_or_b32_e32 v86, 16, v68
	v_or_b32_e32 v87, 18, v68
	v_mul_f32_e32 v78, s19, v123
	v_cndmask_b32_e64 v81, 0xff7fffff, v81, s6
	v_cndmask_b32_e64 v80, 0xff7fffff, v80, s7
	v_max3_f32 v71, v82, v71, v72
	v_cmp_gt_i32_e64 s8, s24, v84
	v_cmp_gt_i32_e64 s9, s24, v85
	v_or_b32_e32 v88, 20, v68
	v_or_b32_e32 v90, 24, v68
	;; [unrolled: 1-line block ×5, first 2 shown]
	v_dual_mul_f32 v97, s19, v104 :: v_dual_mul_f32 v70, s19, v101
	v_dual_mul_f32 v99, s19, v102 :: v_dual_mul_f32 v68, s19, v100
	v_cndmask_b32_e64 v72, 0xff7fffff, v79, s8
	v_cndmask_b32_e64 v78, 0xff7fffff, v78, s9
	v_max3_f32 v71, v71, v81, v80
	v_cmp_gt_i32_e64 s10, s24, v86
	v_cmp_gt_i32_e64 s11, s24, v87
	v_dual_mul_f32 v95, s19, v106 :: v_dual_mul_f32 v98, s19, v103
	s_delay_alu instid0(VALU_DEP_4) | instskip(NEXT) | instid1(VALU_DEP_4)
	v_max3_f32 v71, v71, v72, v78
	v_cndmask_b32_e64 v68, 0xff7fffff, v68, s10
	s_delay_alu instid0(VALU_DEP_4)
	v_cndmask_b32_e64 v70, 0xff7fffff, v70, s11
	v_cmp_gt_i32_e64 s12, s24, v88
	v_cndmask_b32_e64 v78, 0xff7fffff, v98, s13
	v_cmp_gt_i32_e64 s15, s24, v90
	v_cmp_gt_i32_e64 s16, s24, v91
	v_max3_f32 v68, v71, v68, v70
	v_cndmask_b32_e64 v72, 0xff7fffff, v99, s12
	v_cmp_gt_i32_e64 s17, s24, v76
	v_cndmask_b32_e64 v70, 0xff7fffff, v97, s15
	v_cndmask_b32_e64 v71, 0xff7fffff, v96, s16
	v_cmp_gt_i32_e64 s18, s24, v77
	v_max3_f32 v68, v68, v72, v78
	v_cndmask_b32_e64 v72, 0xff7fffff, v95, s17
	s_delay_alu instid0(VALU_DEP_3) | instskip(NEXT) | instid1(VALU_DEP_3)
	v_cndmask_b32_e64 v76, 0xff7fffff, v94, s18
	v_max3_f32 v68, v68, v70, v71
	s_delay_alu instid0(VALU_DEP_1) | instskip(SKIP_3) | instid1(VALU_DEP_1)
	v_max3_f32 v68, v68, v72, v76
	ds_bpermute_b32 v69, v89, v68
	s_waitcnt lgkmcnt(0)
	v_max_f32_e32 v69, v69, v69
	v_max_f32_e32 v68, v68, v69
	s_delay_alu instid0(VALU_DEP_1) | instskip(NEXT) | instid1(VALU_DEP_1)
	v_fma_f32 v71, s19, v118, -v68
	v_mul_f32_e32 v71, 0x3fb8aa3b, v71
	v_fma_f32 v70, s19, v117, -v68
	v_fma_f32 v69, s19, v116, -v68
	;; [unrolled: 1-line block ×5, first 2 shown]
	s_delay_alu instid0(VALU_DEP_4) | instskip(SKIP_1) | instid1(VALU_DEP_3)
	v_dual_mul_f32 v70, 0x3fb8aa3b, v70 :: v_dual_mul_f32 v69, 0x3fb8aa3b, v69
	v_exp_f32_e32 v71, v71
	v_mul_f32_e32 v72, 0x3fb8aa3b, v72
	v_fma_f32 v81, s19, v105, -v68
	s_delay_alu instid0(VALU_DEP_3)
	v_exp_f32_e32 v70, v70
	v_mul_f32_e32 v77, 0x3fb8aa3b, v76
	v_exp_f32_e32 v69, v69
	v_exp_f32_e32 v72, v72
	v_mul_f32_e32 v81, 0x3fb8aa3b, v81
	v_cndmask_b32_e64 v83, 0, v71, s4
	v_fma_f32 v71, s19, v123, -v68
	s_delay_alu instid0(VALU_DEP_3) | instskip(SKIP_4) | instid1(TRANS32_DEP_3)
	v_exp_f32_e32 v81, v81
	v_cndmask_b32_e32 v76, 0, v70, vcc_lo
	v_exp_f32_e32 v77, v77
	v_cndmask_b32_e64 v80, 0, v69, s3
	v_fma_f32 v69, s19, v121, -v68
	v_cndmask_b32_e64 v85, 0, v72, s5
	v_mul_f32_e32 v71, 0x3fb8aa3b, v71
	v_fma_f32 v72, s19, v100, -v68
	s_delay_alu instid0(VALU_DEP_4) | instskip(SKIP_1) | instid1(VALU_DEP_3)
	v_dual_add_f32 v70, 0, v80 :: v_dual_mul_f32 v69, 0x3fb8aa3b, v69
	s_mov_b32 s3, exec_lo
	v_exp_f32_e32 v71, v71
	s_delay_alu instid0(TRANS32_DEP_2) | instskip(SKIP_4) | instid1(VALU_DEP_3)
	v_cndmask_b32_e64 v86, 0, v77, s6
	v_fma_f32 v77, s19, v101, -v68
	v_mul_f32_e32 v78, 0x3fb8aa3b, v78
	v_add_f32_e32 v70, v70, v76
	v_exp_f32_e32 v69, v69
	v_mul_f32_e32 v77, 0x3fb8aa3b, v77
	s_delay_alu instid0(VALU_DEP_3) | instskip(NEXT) | instid1(TRANS32_DEP_3)
	v_exp_f32_e32 v78, v78
	v_cndmask_b32_e64 v88, 0, v71, s9
	v_fma_f32 v71, s19, v104, -v68
	s_delay_alu instid0(VALU_DEP_3) | instskip(NEXT) | instid1(TRANS32_DEP_3)
	v_exp_f32_e32 v77, v77
	v_cndmask_b32_e64 v87, 0, v69, s7
	s_delay_alu instid0(VALU_DEP_2)
	v_mul_f32_e32 v71, 0x3fb8aa3b, v71
	s_waitcnt_depctr 0xfff
	v_cndmask_b32_e64 v84, 0, v78, s8
	v_add_f32_e32 v70, v70, v83
	v_fma_f32 v78, s19, v103, -v68
	v_exp_f32_e32 v82, v71
	s_delay_alu instid0(VALU_DEP_2) | instskip(SKIP_1) | instid1(VALU_DEP_3)
	v_add_f32_e32 v70, v70, v85
	v_mul_f32_e32 v72, 0x3fb8aa3b, v72
	v_mul_f32_e32 v78, 0x3fb8aa3b, v78
	s_delay_alu instid0(VALU_DEP_3) | instskip(SKIP_1) | instid1(VALU_DEP_4)
	v_add_f32_e32 v69, v70, v86
	v_fma_f32 v70, s19, v102, -v68
	v_exp_f32_e32 v72, v72
	s_delay_alu instid0(VALU_DEP_3) | instskip(NEXT) | instid1(VALU_DEP_1)
	v_exp_f32_e32 v78, v78
	v_dual_add_f32 v69, v69, v87 :: v_dual_mul_f32 v70, 0x3fb8aa3b, v70
	s_delay_alu instid0(VALU_DEP_1) | instskip(NEXT) | instid1(VALU_DEP_2)
	v_add_f32_e32 v69, v69, v84
	v_exp_f32_e32 v79, v70
	s_delay_alu instid0(TRANS32_DEP_3) | instskip(NEXT) | instid1(VALU_DEP_2)
	v_cndmask_b32_e64 v70, 0, v72, s10
	v_add_f32_e32 v72, v69, v88
	v_cndmask_b32_e64 v69, 0, v77, s11
	v_fma_f32 v77, s19, v106, -v68
	s_waitcnt_depctr 0xfff
	v_cndmask_b32_e64 v71, 0, v79, s12
	v_dual_mul_f32 v77, 0x3fb8aa3b, v77 :: v_dual_add_f32 v72, v72, v70
	s_delay_alu instid0(VALU_DEP_1) | instskip(NEXT) | instid1(VALU_DEP_1)
	v_exp_f32_e32 v90, v77
	v_add_f32_e32 v79, v72, v69
	v_cndmask_b32_e64 v72, 0, v78, s13
	v_cndmask_b32_e64 v77, 0, v82, s15
	s_delay_alu instid0(VALU_DEP_3) | instskip(SKIP_1) | instid1(VALU_DEP_1)
	v_add_f32_e32 v78, v79, v71
	v_fma_f32 v79, s19, v107, -v68
	v_dual_add_f32 v82, v78, v72 :: v_dual_mul_f32 v79, 0x3fb8aa3b, v79
	v_cndmask_b32_e64 v78, 0, v81, s16
	s_delay_alu instid0(VALU_DEP_2) | instskip(NEXT) | instid1(VALU_DEP_3)
	v_add_f32_e32 v81, v82, v77
	v_exp_f32_e32 v82, v79
	v_cndmask_b32_e64 v79, 0, v90, s17
	s_delay_alu instid0(VALU_DEP_2) | instskip(NEXT) | instid1(VALU_DEP_1)
	v_add_f32_e32 v81, v81, v78
	v_add_f32_e32 v90, v81, v79
	s_waitcnt_depctr 0xfff
	v_cndmask_b32_e64 v81, 0, v82, s18
	s_delay_alu instid0(VALU_DEP_1)
	v_add_f32_e32 v82, v90, v81
	ds_bpermute_b32 v89, v89, v82
	v_cmpx_gt_u32_e32 16, v67
	s_cbranch_execz .LBB1351_12
; %bb.11:
	v_mul_u32_u24_e32 v67, 0x44, v66
	s_delay_alu instid0(VALU_DEP_1) | instskip(SKIP_1) | instid1(VALU_DEP_1)
	v_lshl_add_u32 v67, v65, 2, v67
	s_waitcnt lgkmcnt(0)
	v_dual_add_f32 v82, v82, v89 :: v_dual_add_nc_u32 v67, 0x4000, v67
	ds_store_2addr_b32 v67, v68, v82 offset1:136
.LBB1351_12:
	s_or_b32 exec_lo, exec_lo, s3
	v_lshlrev_b32_e32 v67, 2, v65
	s_waitcnt lgkmcnt(0)
	s_barrier
	buffer_gl0_inv
	v_cmp_eq_u32_e32 vcc_lo, 1, v66
	v_add_nc_u32_e32 v82, 0x4000, v67
	v_cmp_eq_u32_e64 s3, 2, v66
	v_cmp_eq_u32_e64 s5, 7, v66
	ds_load_2addr_b32 v[89:90], v82 offset1:17
	ds_load_2addr_b32 v[91:92], v82 offset0:34 offset1:51
	ds_load_2addr_b32 v[93:94], v82 offset0:68 offset1:85
	;; [unrolled: 1-line block ×4, first 2 shown]
	s_waitcnt lgkmcnt(4)
	v_max3_f32 v67, v89, 0xff7fffff, v90
	s_waitcnt lgkmcnt(3)
	s_delay_alu instid0(VALU_DEP_1) | instskip(SKIP_1) | instid1(VALU_DEP_1)
	v_max3_f32 v67, v67, v91, v92
	s_waitcnt lgkmcnt(2)
	v_max3_f32 v67, v67, v93, v94
	s_waitcnt lgkmcnt(1)
	s_delay_alu instid0(VALU_DEP_1) | instskip(NEXT) | instid1(VALU_DEP_1)
	v_max3_f32 v67, v67, v95, v96
	v_sub_f32_e32 v93, v93, v67
	s_delay_alu instid0(VALU_DEP_1) | instskip(NEXT) | instid1(VALU_DEP_1)
	v_dual_sub_f32 v68, v89, v67 :: v_dual_mul_f32 v103, 0x3fb8aa3b, v93
	v_mul_f32_e32 v68, 0x3fb8aa3b, v68
	s_delay_alu instid0(VALU_DEP_1)
	v_exp_f32_e32 v100, v68
	v_sub_f32_e32 v68, v92, v67
	v_sub_f32_e32 v99, v90, v67
	ds_load_2addr_b32 v[89:90], v82 offset0:170 offset1:187
	v_dual_mul_f32 v102, 0x3fb8aa3b, v68 :: v_dual_mul_f32 v99, 0x3fb8aa3b, v99
	s_waitcnt lgkmcnt(1)
	v_fma_f32 v68, v100, v97, 0
	s_delay_alu instid0(VALU_DEP_2) | instskip(NEXT) | instid1(VALU_DEP_2)
	v_exp_f32_e32 v102, v102
	v_exp_f32_e32 v99, v99
	s_waitcnt_depctr 0xfff
	v_fmac_f32_e32 v68, v99, v98
	v_sub_f32_e32 v91, v91, v67
	s_delay_alu instid0(VALU_DEP_1)
	v_mul_f32_e32 v101, 0x3fb8aa3b, v91
	ds_load_2addr_b32 v[91:92], v82 offset0:204 offset1:221
	v_sub_f32_e32 v97, v94, v67
	ds_load_2addr_b32 v[93:94], v82 offset0:238 offset1:255
	s_waitcnt lgkmcnt(0)
	v_exp_f32_e32 v101, v101
	s_barrier
	buffer_gl0_inv
	v_dual_fmac_f32 v68, v101, v89 :: v_dual_sub_f32 v89, v96, v67
	v_dual_sub_f32 v82, v95, v67 :: v_dual_mul_f32 v95, 0x3fb8aa3b, v97
	v_exp_f32_e32 v97, v103
	s_delay_alu instid0(VALU_DEP_2) | instskip(NEXT) | instid1(VALU_DEP_2)
	v_dual_fmac_f32 v68, v102, v90 :: v_dual_mul_f32 v89, 0x3fb8aa3b, v89
	v_mul_f32_e32 v82, 0x3fb8aa3b, v82
	s_delay_alu instid0(VALU_DEP_3) | instskip(NEXT) | instid1(VALU_DEP_2)
	v_exp_f32_e32 v95, v95
	v_exp_f32_e32 v89, v89
	s_delay_alu instid0(VALU_DEP_1)
	v_exp_f32_e32 v82, v82
	v_fmac_f32_e32 v68, v97, v91
	s_delay_alu instid0(TRANS32_DEP_3) | instid1(VALU_DEP_1)
	v_fmac_f32_e32 v68, v95, v92
	s_waitcnt_depctr 0xfff
	v_fmac_f32_e32 v68, v82, v93
	s_delay_alu instid0(VALU_DEP_1) | instskip(NEXT) | instid1(VALU_DEP_1)
	v_fmac_f32_e32 v68, v89, v94
	v_add_f32_e32 v90, 0x358637bd, v68
	s_delay_alu instid0(VALU_DEP_1) | instskip(NEXT) | instid1(VALU_DEP_1)
	v_div_scale_f32 v91, null, v90, v90, 1.0
	v_rcp_f32_e32 v92, v91
	s_waitcnt_depctr 0xfff
	v_fma_f32 v93, -v91, v92, 1.0
	s_delay_alu instid0(VALU_DEP_1) | instskip(SKIP_1) | instid1(VALU_DEP_2)
	v_dual_fmac_f32 v92, v93, v92 :: v_dual_cndmask_b32 v93, v100, v99
	v_cmp_eq_u32_e32 vcc_lo, 3, v66
	v_cndmask_b32_e64 v93, v93, v101, s3
	v_cmp_eq_u32_e64 s3, 4, v66
	s_delay_alu instid0(VALU_DEP_2) | instskip(SKIP_1) | instid1(VALU_DEP_2)
	v_cndmask_b32_e32 v93, v93, v102, vcc_lo
	v_cmp_eq_u32_e32 vcc_lo, 5, v66
	v_cndmask_b32_e64 v93, v93, v97, s3
	v_cmp_eq_u32_e64 s3, 6, v66
	s_delay_alu instid0(VALU_DEP_2) | instskip(SKIP_1) | instid1(VALU_DEP_1)
	v_cndmask_b32_e32 v93, v93, v95, vcc_lo
	v_div_scale_f32 v94, s4, 1.0, v90, 1.0
	s_mov_b32 vcc_lo, s4
	s_delay_alu instid0(VALU_DEP_2) | instskip(NEXT) | instid1(VALU_DEP_2)
	v_cndmask_b32_e64 v82, v93, v82, s3
	v_mul_f32_e32 v96, v94, v92
	s_mov_b32 s3, exec_lo
	s_delay_alu instid0(VALU_DEP_2) | instskip(NEXT) | instid1(VALU_DEP_2)
	v_cndmask_b32_e64 v82, v82, v89, s5
	v_fma_f32 v98, -v91, v96, v94
	s_delay_alu instid0(VALU_DEP_1) | instskip(NEXT) | instid1(VALU_DEP_1)
	v_fmac_f32_e32 v96, v98, v92
	v_fma_f32 v91, -v91, v96, v94
	s_delay_alu instid0(VALU_DEP_1) | instskip(NEXT) | instid1(VALU_DEP_1)
	v_div_fmas_f32 v91, v91, v92, v96
	v_div_fixup_f32 v90, v91, v90, 1.0
	s_delay_alu instid0(VALU_DEP_1) | instskip(NEXT) | instid1(VALU_DEP_1)
	v_mul_f32_e32 v82, v82, v90
	v_mul_f32_e32 v87, v82, v87
	;; [unrolled: 1-line block ×7, first 2 shown]
	v_dual_mul_f32 v86, v82, v83 :: v_dual_and_b32 v91, 0x7f800000, v90
	v_mul_f32_e32 v85, v82, v76
                                        ; implicit-def: $vgpr76
	s_delay_alu instid0(VALU_DEP_2)
	v_cmpx_ne_u32_e32 0x7f800000, v91
	s_xor_b32 s3, exec_lo, s3
; %bb.13:
	v_bfe_u32 v76, v90, 16, 1
	s_delay_alu instid0(VALU_DEP_1)
	v_add3_u32 v76, v90, v76, 0x7fff
                                        ; implicit-def: $vgpr90
; %bb.14:
	s_and_not1_saveexec_b32 s3, s3
; %bb.15:
	v_and_b32_e32 v76, 0xffff, v90
	v_or_b32_e32 v83, 0x10000, v90
	s_delay_alu instid0(VALU_DEP_2) | instskip(NEXT) | instid1(VALU_DEP_2)
	v_cmp_eq_u32_e32 vcc_lo, 0, v76
	v_cndmask_b32_e32 v76, v83, v90, vcc_lo
; %bb.16:
	s_or_b32 exec_lo, exec_lo, s3
	v_and_b32_e32 v83, 0x7f800000, v85
	s_delay_alu instid0(VALU_DEP_1) | instskip(SKIP_1) | instid1(SALU_CYCLE_1)
	v_cmp_ne_u32_e32 vcc_lo, 0x7f800000, v83
                                        ; implicit-def: $vgpr83
	s_and_saveexec_b32 s3, vcc_lo
	s_xor_b32 s3, exec_lo, s3
; %bb.17:
	v_bfe_u32 v83, v85, 16, 1
	s_delay_alu instid0(VALU_DEP_1)
	v_add3_u32 v83, v85, v83, 0x7fff
                                        ; implicit-def: $vgpr85
; %bb.18:
	s_and_not1_saveexec_b32 s3, s3
; %bb.19:
	v_and_b32_e32 v83, 0xffff, v85
	v_or_b32_e32 v90, 0x10000, v85
	s_delay_alu instid0(VALU_DEP_2) | instskip(NEXT) | instid1(VALU_DEP_2)
	v_cmp_eq_u32_e32 vcc_lo, 0, v83
	v_cndmask_b32_e32 v83, v90, v85, vcc_lo
; %bb.20:
	s_or_b32 exec_lo, exec_lo, s3
	v_and_b32_e32 v85, 0x7f800000, v86
	s_delay_alu instid0(VALU_DEP_1) | instskip(SKIP_1) | instid1(SALU_CYCLE_1)
	v_cmp_ne_u32_e32 vcc_lo, 0x7f800000, v85
                                        ; implicit-def: $vgpr85
	s_and_saveexec_b32 s3, vcc_lo
	s_xor_b32 s3, exec_lo, s3
; %bb.21:
	v_bfe_u32 v85, v86, 16, 1
	s_delay_alu instid0(VALU_DEP_1)
	v_add3_u32 v85, v86, v85, 0x7fff
                                        ; implicit-def: $vgpr86
; %bb.22:
	s_and_not1_saveexec_b32 s3, s3
; %bb.23:
	v_and_b32_e32 v85, 0xffff, v86
	v_or_b32_e32 v90, 0x10000, v86
	s_delay_alu instid0(VALU_DEP_2) | instskip(NEXT) | instid1(VALU_DEP_2)
	v_cmp_eq_u32_e32 vcc_lo, 0, v85
	v_cndmask_b32_e32 v85, v90, v86, vcc_lo
; %bb.24:
	s_or_b32 exec_lo, exec_lo, s3
	v_and_b32_e32 v86, 0x7f800000, v89
	s_delay_alu instid0(VALU_DEP_1) | instskip(SKIP_1) | instid1(SALU_CYCLE_1)
	v_cmp_ne_u32_e32 vcc_lo, 0x7f800000, v86
                                        ; implicit-def: $vgpr86
	s_and_saveexec_b32 s3, vcc_lo
	s_xor_b32 s3, exec_lo, s3
; %bb.25:
	v_bfe_u32 v86, v89, 16, 1
	s_delay_alu instid0(VALU_DEP_1)
	v_add3_u32 v86, v89, v86, 0x7fff
                                        ; implicit-def: $vgpr89
; %bb.26:
	s_and_not1_saveexec_b32 s3, s3
; %bb.27:
	v_and_b32_e32 v86, 0xffff, v89
	v_or_b32_e32 v90, 0x10000, v89
	s_delay_alu instid0(VALU_DEP_2) | instskip(NEXT) | instid1(VALU_DEP_2)
	v_cmp_eq_u32_e32 vcc_lo, 0, v86
	v_cndmask_b32_e32 v86, v90, v89, vcc_lo
; %bb.28:
	s_or_b32 exec_lo, exec_lo, s3
	v_and_b32_e32 v89, 0x7f800000, v88
	s_delay_alu instid0(VALU_DEP_1) | instskip(SKIP_1) | instid1(SALU_CYCLE_1)
	v_cmp_ne_u32_e32 vcc_lo, 0x7f800000, v89
                                        ; implicit-def: $vgpr89
	s_and_saveexec_b32 s3, vcc_lo
	s_xor_b32 s3, exec_lo, s3
; %bb.29:
	v_bfe_u32 v89, v88, 16, 1
	s_delay_alu instid0(VALU_DEP_1)
	v_add3_u32 v89, v88, v89, 0x7fff
                                        ; implicit-def: $vgpr88
; %bb.30:
	s_and_not1_saveexec_b32 s3, s3
; %bb.31:
	v_and_b32_e32 v89, 0xffff, v88
	v_or_b32_e32 v90, 0x10000, v88
	s_delay_alu instid0(VALU_DEP_2) | instskip(NEXT) | instid1(VALU_DEP_2)
	v_cmp_eq_u32_e32 vcc_lo, 0, v89
	v_cndmask_b32_e32 v89, v90, v88, vcc_lo
; %bb.32:
	s_or_b32 exec_lo, exec_lo, s3
	v_and_b32_e32 v88, 0x7f800000, v87
	s_delay_alu instid0(VALU_DEP_1) | instskip(SKIP_1) | instid1(SALU_CYCLE_1)
	v_cmp_ne_u32_e32 vcc_lo, 0x7f800000, v88
                                        ; implicit-def: $vgpr88
	s_and_saveexec_b32 s3, vcc_lo
	s_xor_b32 s3, exec_lo, s3
; %bb.33:
	v_bfe_u32 v88, v87, 16, 1
	s_delay_alu instid0(VALU_DEP_1)
	v_add3_u32 v88, v87, v88, 0x7fff
                                        ; implicit-def: $vgpr87
; %bb.34:
	s_and_not1_saveexec_b32 s3, s3
; %bb.35:
	v_and_b32_e32 v88, 0xffff, v87
	v_or_b32_e32 v90, 0x10000, v87
	s_delay_alu instid0(VALU_DEP_2) | instskip(NEXT) | instid1(VALU_DEP_2)
	v_cmp_eq_u32_e32 vcc_lo, 0, v88
	v_cndmask_b32_e32 v88, v90, v87, vcc_lo
; %bb.36:
	s_or_b32 exec_lo, exec_lo, s3
	v_and_b32_e32 v87, 0x7f800000, v84
	s_delay_alu instid0(VALU_DEP_1) | instskip(SKIP_1) | instid1(SALU_CYCLE_1)
	v_cmp_ne_u32_e32 vcc_lo, 0x7f800000, v87
                                        ; implicit-def: $vgpr87
	s_and_saveexec_b32 s3, vcc_lo
	s_xor_b32 s3, exec_lo, s3
; %bb.37:
	v_bfe_u32 v87, v84, 16, 1
	s_delay_alu instid0(VALU_DEP_1)
	v_add3_u32 v87, v84, v87, 0x7fff
                                        ; implicit-def: $vgpr84
; %bb.38:
	s_and_not1_saveexec_b32 s3, s3
; %bb.39:
	v_and_b32_e32 v87, 0xffff, v84
	v_or_b32_e32 v90, 0x10000, v84
	s_delay_alu instid0(VALU_DEP_2) | instskip(NEXT) | instid1(VALU_DEP_2)
	v_cmp_eq_u32_e32 vcc_lo, 0, v87
	v_cndmask_b32_e32 v87, v90, v84, vcc_lo
; %bb.40:
	s_or_b32 exec_lo, exec_lo, s3
	v_and_b32_e32 v84, 0x7f800000, v80
	s_delay_alu instid0(VALU_DEP_1) | instskip(SKIP_1) | instid1(SALU_CYCLE_1)
	v_cmp_ne_u32_e32 vcc_lo, 0x7f800000, v84
                                        ; implicit-def: $vgpr84
	s_and_saveexec_b32 s3, vcc_lo
	s_xor_b32 s3, exec_lo, s3
; %bb.41:
	v_bfe_u32 v84, v80, 16, 1
	s_delay_alu instid0(VALU_DEP_1)
	v_add3_u32 v84, v80, v84, 0x7fff
                                        ; implicit-def: $vgpr80
; %bb.42:
	s_and_not1_saveexec_b32 s3, s3
; %bb.43:
	v_and_b32_e32 v84, 0xffff, v80
	v_or_b32_e32 v90, 0x10000, v80
	s_delay_alu instid0(VALU_DEP_2) | instskip(NEXT) | instid1(VALU_DEP_2)
	v_cmp_eq_u32_e32 vcc_lo, 0, v84
	v_cndmask_b32_e32 v84, v90, v80, vcc_lo
; %bb.44:
	s_or_b32 exec_lo, exec_lo, s3
	s_load_b64 s[34:35], s[0:1], 0x94
	v_lshlrev_b32_e32 v91, 4, v74
	s_delay_alu instid0(VALU_DEP_2)
	v_perm_b32 v90, v84, v87, 0x7060302
	v_dual_mul_f32 v79, v82, v79 :: v_dual_lshlrev_b32 v80, 6, v65
	v_dual_mul_f32 v77, v82, v77 :: v_dual_lshlrev_b32 v92, 11, v66
	v_mul_f32_e32 v84, v82, v70
	v_perm_b32 v89, v88, v89, 0x7060302
	v_perm_b32 v88, v86, v85, 0x7060302
	v_perm_b32 v87, v83, v76, 0x7060302
	v_mul_f32_e32 v70, v82, v81
	v_or3_b32 v76, v91, v92, v80
	v_dual_mul_f32 v78, v82, v78 :: v_dual_and_b32 v85, 0x7f800000, v84
	v_mul_f32_e32 v83, v82, v72
	v_mul_f32_e32 v81, v82, v71
	;; [unrolled: 1-line block ×3, first 2 shown]
	s_mov_b32 s3, exec_lo
	ds_store_b128 v76, v[87:90]
                                        ; implicit-def: $vgpr69
	v_cmpx_ne_u32_e32 0x7f800000, v85
	s_xor_b32 s3, exec_lo, s3
; %bb.45:
	v_bfe_u32 v69, v84, 16, 1
	s_delay_alu instid0(VALU_DEP_1)
	v_add3_u32 v69, v84, v69, 0x7fff
                                        ; implicit-def: $vgpr84
; %bb.46:
	s_and_not1_saveexec_b32 s3, s3
; %bb.47:
	v_and_b32_e32 v69, 0xffff, v84
	v_or_b32_e32 v71, 0x10000, v84
	s_delay_alu instid0(VALU_DEP_2) | instskip(NEXT) | instid1(VALU_DEP_2)
	v_cmp_eq_u32_e32 vcc_lo, 0, v69
	v_cndmask_b32_e32 v69, v71, v84, vcc_lo
; %bb.48:
	s_or_b32 exec_lo, exec_lo, s3
	v_and_b32_e32 v71, 0x7f800000, v72
	s_delay_alu instid0(VALU_DEP_1) | instskip(SKIP_1) | instid1(SALU_CYCLE_1)
	v_cmp_ne_u32_e32 vcc_lo, 0x7f800000, v71
                                        ; implicit-def: $vgpr71
	s_and_saveexec_b32 s3, vcc_lo
	s_xor_b32 s3, exec_lo, s3
; %bb.49:
	v_bfe_u32 v71, v72, 16, 1
	s_delay_alu instid0(VALU_DEP_1)
	v_add3_u32 v71, v72, v71, 0x7fff
                                        ; implicit-def: $vgpr72
; %bb.50:
	s_and_not1_saveexec_b32 s3, s3
; %bb.51:
	v_and_b32_e32 v71, 0xffff, v72
	v_or_b32_e32 v82, 0x10000, v72
	s_delay_alu instid0(VALU_DEP_2) | instskip(NEXT) | instid1(VALU_DEP_2)
	v_cmp_eq_u32_e32 vcc_lo, 0, v71
	v_cndmask_b32_e32 v71, v82, v72, vcc_lo
; %bb.52:
	s_or_b32 exec_lo, exec_lo, s3
	v_and_b32_e32 v72, 0x7f800000, v81
	s_delay_alu instid0(VALU_DEP_1) | instskip(SKIP_1) | instid1(SALU_CYCLE_1)
	v_cmp_ne_u32_e32 vcc_lo, 0x7f800000, v72
                                        ; implicit-def: $vgpr72
	s_and_saveexec_b32 s3, vcc_lo
	s_xor_b32 s3, exec_lo, s3
; %bb.53:
	v_bfe_u32 v72, v81, 16, 1
	s_delay_alu instid0(VALU_DEP_1)
	v_add3_u32 v72, v81, v72, 0x7fff
                                        ; implicit-def: $vgpr81
; %bb.54:
	s_and_not1_saveexec_b32 s3, s3
; %bb.55:
	v_and_b32_e32 v72, 0xffff, v81
	v_or_b32_e32 v82, 0x10000, v81
	s_delay_alu instid0(VALU_DEP_2) | instskip(NEXT) | instid1(VALU_DEP_2)
	v_cmp_eq_u32_e32 vcc_lo, 0, v72
	v_cndmask_b32_e32 v72, v82, v81, vcc_lo
; %bb.56:
	s_or_b32 exec_lo, exec_lo, s3
	v_and_b32_e32 v81, 0x7f800000, v83
	s_delay_alu instid0(VALU_DEP_1) | instskip(SKIP_1) | instid1(SALU_CYCLE_1)
	v_cmp_ne_u32_e32 vcc_lo, 0x7f800000, v81
                                        ; implicit-def: $vgpr81
	s_and_saveexec_b32 s3, vcc_lo
	s_xor_b32 s3, exec_lo, s3
; %bb.57:
	v_bfe_u32 v81, v83, 16, 1
	s_delay_alu instid0(VALU_DEP_1)
	v_add3_u32 v81, v83, v81, 0x7fff
                                        ; implicit-def: $vgpr83
; %bb.58:
	s_and_not1_saveexec_b32 s3, s3
; %bb.59:
	v_and_b32_e32 v81, 0xffff, v83
	v_or_b32_e32 v82, 0x10000, v83
	s_delay_alu instid0(VALU_DEP_2) | instskip(NEXT) | instid1(VALU_DEP_2)
	v_cmp_eq_u32_e32 vcc_lo, 0, v81
	v_cndmask_b32_e32 v81, v82, v83, vcc_lo
; %bb.60:
	s_or_b32 exec_lo, exec_lo, s3
	v_and_b32_e32 v82, 0x7f800000, v77
	s_delay_alu instid0(VALU_DEP_1) | instskip(SKIP_1) | instid1(SALU_CYCLE_1)
	v_cmp_ne_u32_e32 vcc_lo, 0x7f800000, v82
                                        ; implicit-def: $vgpr82
	s_and_saveexec_b32 s3, vcc_lo
	s_xor_b32 s3, exec_lo, s3
; %bb.61:
	v_bfe_u32 v82, v77, 16, 1
	s_delay_alu instid0(VALU_DEP_1)
	v_add3_u32 v82, v77, v82, 0x7fff
                                        ; implicit-def: $vgpr77
; %bb.62:
	s_and_not1_saveexec_b32 s3, s3
; %bb.63:
	v_and_b32_e32 v82, 0xffff, v77
	v_or_b32_e32 v83, 0x10000, v77
	s_delay_alu instid0(VALU_DEP_2) | instskip(NEXT) | instid1(VALU_DEP_2)
	v_cmp_eq_u32_e32 vcc_lo, 0, v82
	v_cndmask_b32_e32 v82, v83, v77, vcc_lo
; %bb.64:
	s_or_b32 exec_lo, exec_lo, s3
	v_and_b32_e32 v77, 0x7f800000, v78
	s_delay_alu instid0(VALU_DEP_1) | instskip(SKIP_1) | instid1(SALU_CYCLE_1)
	v_cmp_ne_u32_e32 vcc_lo, 0x7f800000, v77
                                        ; implicit-def: $vgpr77
	s_and_saveexec_b32 s3, vcc_lo
	s_xor_b32 s3, exec_lo, s3
; %bb.65:
	v_bfe_u32 v77, v78, 16, 1
	s_delay_alu instid0(VALU_DEP_1)
	v_add3_u32 v77, v78, v77, 0x7fff
                                        ; implicit-def: $vgpr78
; %bb.66:
	s_and_not1_saveexec_b32 s3, s3
; %bb.67:
	v_and_b32_e32 v77, 0xffff, v78
	v_or_b32_e32 v83, 0x10000, v78
	s_delay_alu instid0(VALU_DEP_2) | instskip(NEXT) | instid1(VALU_DEP_2)
	v_cmp_eq_u32_e32 vcc_lo, 0, v77
	v_cndmask_b32_e32 v77, v83, v78, vcc_lo
; %bb.68:
	s_or_b32 exec_lo, exec_lo, s3
	v_and_b32_e32 v78, 0x7f800000, v79
	s_delay_alu instid0(VALU_DEP_1) | instskip(SKIP_1) | instid1(SALU_CYCLE_1)
	v_cmp_ne_u32_e32 vcc_lo, 0x7f800000, v78
                                        ; implicit-def: $vgpr78
	s_and_saveexec_b32 s3, vcc_lo
	s_xor_b32 s3, exec_lo, s3
; %bb.69:
	v_bfe_u32 v78, v79, 16, 1
	s_delay_alu instid0(VALU_DEP_1)
	v_add3_u32 v78, v79, v78, 0x7fff
                                        ; implicit-def: $vgpr79
; %bb.70:
	s_and_not1_saveexec_b32 s3, s3
; %bb.71:
	v_and_b32_e32 v78, 0xffff, v79
	v_or_b32_e32 v83, 0x10000, v79
	s_delay_alu instid0(VALU_DEP_2) | instskip(NEXT) | instid1(VALU_DEP_2)
	v_cmp_eq_u32_e32 vcc_lo, 0, v78
	v_cndmask_b32_e32 v78, v83, v79, vcc_lo
; %bb.72:
	s_or_b32 exec_lo, exec_lo, s3
	v_and_b32_e32 v79, 0x7f800000, v70
	s_delay_alu instid0(VALU_DEP_1) | instskip(SKIP_1) | instid1(SALU_CYCLE_1)
	v_cmp_ne_u32_e32 vcc_lo, 0x7f800000, v79
                                        ; implicit-def: $vgpr79
	s_and_saveexec_b32 s3, vcc_lo
	s_xor_b32 s3, exec_lo, s3
; %bb.73:
	v_bfe_u32 v79, v70, 16, 1
	s_delay_alu instid0(VALU_DEP_1)
	v_add3_u32 v79, v70, v79, 0x7fff
                                        ; implicit-def: $vgpr70
; %bb.74:
	s_and_not1_saveexec_b32 s3, s3
; %bb.75:
	v_and_b32_e32 v79, 0xffff, v70
	v_or_b32_e32 v83, 0x10000, v70
	s_delay_alu instid0(VALU_DEP_2) | instskip(NEXT) | instid1(VALU_DEP_2)
	v_cmp_eq_u32_e32 vcc_lo, 0, v79
	v_cndmask_b32_e32 v79, v83, v70, vcc_lo
; %bb.76:
	s_or_b32 exec_lo, exec_lo, s3
	s_delay_alu instid0(VALU_DEP_1)
	v_perm_b32 v86, v79, v78, 0x7060302
	v_perm_b32 v85, v77, v82, 0x7060302
	;; [unrolled: 1-line block ×4, first 2 shown]
	v_lshl_or_b32 v82, v66, 11, v80
	ds_store_b128 v76, v[83:86] offset:1024
	s_waitcnt lgkmcnt(0)
	s_barrier
	buffer_gl0_inv
	ds_load_b128 v[69:72], v82
	ds_load_b128 v[83:86], v82 offset:16
	s_waitcnt lgkmcnt(1)
	v_lshrrev_b32_e32 v66, 16, v69
	s_waitcnt lgkmcnt(0)
	v_lshrrev_b32_e32 v91, 16, v83
	v_lshlrev_b32_e32 v78, 2, v74
	v_lshrrev_b32_e32 v95, 16, v70
	v_lshrrev_b32_e32 v98, 16, v84
	;; [unrolled: 1-line block ×4, first 2 shown]
	v_cmp_eq_u32_e32 vcc_lo, 1, v78
	v_lshrrev_b32_e32 v97, 16, v72
	v_lshrrev_b32_e32 v100, 16, v86
	v_cndmask_b32_e32 v87, v83, v91, vcc_lo
	v_or_b32_e32 v79, 1, v78
	v_cndmask_b32_e32 v81, v69, v66, vcc_lo
	v_cmp_eq_u32_e64 s4, 2, v78
	v_cmp_eq_u32_e64 s7, 3, v78
	;; [unrolled: 1-line block ×5, first 2 shown]
	v_cndmask_b32_e64 v81, v81, v70, s4
	v_cndmask_b32_e64 v87, v87, v84, s4
	v_cmp_eq_u32_e64 s8, 3, v79
	v_cndmask_b32_e64 v88, v69, v66, s3
	v_or_b32_e32 v77, 2, v78
	v_cndmask_b32_e64 v81, v81, v95, s7
	v_cndmask_b32_e64 v87, v87, v98, s7
	;; [unrolled: 1-line block ×4, first 2 shown]
	v_cmp_eq_u32_e64 s10, 5, v78
	v_cndmask_b32_e64 v81, v81, v71, s9
	v_cndmask_b32_e64 v87, v87, v85, s9
	v_cmp_eq_u32_e64 s11, 4, v79
	v_cndmask_b32_e64 v88, v88, v95, s8
	v_cmp_eq_u32_e64 s5, 1, v77
	v_cndmask_b32_e64 v89, v89, v84, s6
	v_cndmask_b32_e64 v81, v81, v96, s10
	v_cmp_eq_u32_e64 s12, 6, v78
	v_cndmask_b32_e64 v88, v88, v71, s11
	;; [unrolled: 3-line block ×3, first 2 shown]
	v_cndmask_b32_e64 v89, v89, v98, s8
	v_cndmask_b32_e64 v81, v81, v72, s12
	v_cmp_eq_u32_e64 s15, 7, v78
	v_cndmask_b32_e64 v88, v88, v96, s13
	v_cndmask_b32_e64 v87, v87, v86, s12
	v_cmp_eq_u32_e64 s16, 6, v79
	v_cmp_eq_u32_e64 s17, 2, v77
	v_cndmask_b32_e64 v89, v89, v85, s11
	v_cndmask_b32_e64 v101, v81, v97, s15
	;; [unrolled: 1-line block ×6, first 2 shown]
	v_cmp_eq_u32_e64 s18, 7, v79
	v_cmp_eq_u32_e64 s19, 3, v77
	;; [unrolled: 1-line block ×4, first 2 shown]
	v_cndmask_b32_e64 v87, v87, v84, s17
	v_cndmask_b32_e64 v103, v88, v97, s18
	;; [unrolled: 1-line block ×4, first 2 shown]
	v_or_b32_e32 v81, 3, v78
	v_cndmask_b32_e64 v93, v87, v98, s19
	v_cmp_eq_u32_e64 s24, 6, v77
	v_cndmask_b32_e64 v104, v88, v86, s16
	v_cndmask_b32_e64 v92, v89, v71, s20
	v_cmp_eq_u32_e64 s21, 1, v81
	ds_load_b128 v[87:90], v82 offset:1024
	v_cmp_eq_u32_e64 s23, 2, v81
	v_cmp_eq_u32_e64 s25, 3, v81
	v_cndmask_b32_e64 v105, v92, v96, s22
	v_cndmask_b32_e64 v66, v69, v66, s21
	;; [unrolled: 1-line block ×4, first 2 shown]
	ds_load_b128 v[91:94], v82 offset:1040
	v_cmp_eq_u32_e64 s26, 4, v81
	v_cndmask_b32_e64 v66, v66, v70, s23
	v_cmp_eq_u32_e64 s27, 7, v77
	v_cndmask_b32_e64 v70, v83, v84, s23
	v_cndmask_b32_e64 v84, v105, v72, s24
	v_cmp_eq_u32_e64 s28, 5, v81
	v_cndmask_b32_e64 v66, v66, v95, s25
	v_cmp_eq_u32_e64 s29, 6, v81
	v_cndmask_b32_e64 v70, v70, v98, s25
	v_cndmask_b32_e64 v69, v69, v99, s22
	;; [unrolled: 1-line block ×4, first 2 shown]
	s_waitcnt lgkmcnt(1)
	v_lshrrev_b32_e32 v95, 16, v87
	v_cndmask_b32_e64 v70, v70, v85, s26
	v_cndmask_b32_e64 v71, v84, v97, s27
	;; [unrolled: 1-line block ×4, first 2 shown]
	v_cndmask_b32_e32 v84, v87, v95, vcc_lo
	v_cndmask_b32_e64 v70, v70, v99, s28
	s_waitcnt lgkmcnt(0)
	v_lshrrev_b32_e32 v85, 16, v91
	v_lshrrev_b32_e32 v96, 16, v88
	v_cndmask_b32_e64 v98, v87, v95, s3
	v_cndmask_b32_e64 v84, v84, v88, s4
	;; [unrolled: 1-line block ×3, first 2 shown]
	v_cndmask_b32_e32 v99, v91, v85, vcc_lo
	v_cmp_eq_u32_e32 vcc_lo, 7, v81
	v_cndmask_b32_e64 v66, v66, v72, s29
	v_cndmask_b32_e64 v72, v84, v96, s7
	;; [unrolled: 1-line block ×3, first 2 shown]
	v_lshrrev_b32_e32 v98, 16, v92
	v_cndmask_b32_e32 v70, v70, v100, vcc_lo
	v_cndmask_b32_e64 v86, v99, v92, s4
	v_cndmask_b32_e64 v69, v69, v100, s27
	v_lshrrev_b32_e32 v100, 16, v93
	v_cndmask_b32_e64 v72, v72, v89, s9
	v_lshrrev_b32_e32 v99, 16, v89
	v_cndmask_b32_e64 v86, v86, v98, s7
	v_perm_b32 v71, v69, v71, 0x5040100
	v_cndmask_b32_e64 v84, v84, v96, s8
	s_delay_alu instid0(VALU_DEP_3) | instskip(NEXT) | instid1(VALU_DEP_2)
	v_cndmask_b32_e64 v86, v86, v93, s9
	v_cndmask_b32_e64 v84, v84, v89, s11
	s_delay_alu instid0(VALU_DEP_2) | instskip(NEXT) | instid1(VALU_DEP_1)
	v_cndmask_b32_e64 v86, v86, v100, s10
	v_cndmask_b32_e64 v69, v86, v94, s12
	;; [unrolled: 1-line block ×5, first 2 shown]
	s_delay_alu instid0(VALU_DEP_3) | instskip(NEXT) | instid1(VALU_DEP_3)
	v_cndmask_b32_e64 v86, v86, v88, s17
	v_cndmask_b32_e64 v87, v87, v88, s23
	s_delay_alu instid0(VALU_DEP_3) | instskip(NEXT) | instid1(VALU_DEP_3)
	v_cndmask_b32_e64 v88, v95, v92, s23
	v_cndmask_b32_e64 v86, v86, v96, s19
	;; [unrolled: 3-line block ×7, first 2 shown]
	s_delay_alu instid0(VALU_DEP_3) | instskip(SKIP_2) | instid1(VALU_DEP_2)
	v_cndmask_b32_e64 v88, v88, v94, s29
	v_cndmask_b32_e32 v66, v66, v97, vcc_lo
	v_cndmask_b32_e64 v97, v72, v99, s10
	v_perm_b32 v72, v70, v66, 0x5040100
	v_perm_b32 v70, v83, v103, 0x5040100
	v_cndmask_b32_e64 v103, v91, v85, s5
	v_cndmask_b32_e64 v85, v91, v85, s3
	;; [unrolled: 1-line block ×4, first 2 shown]
	v_lshrrev_b32_e32 v97, 16, v90
	v_cndmask_b32_e64 v91, v103, v92, s17
	v_cndmask_b32_e64 v85, v85, v92, s6
	;; [unrolled: 1-line block ×3, first 2 shown]
	s_mov_b32 s3, exec_lo
	v_cndmask_b32_e64 v83, v84, v97, s15
	v_cndmask_b32_e64 v91, v91, v98, s19
	;; [unrolled: 1-line block ×3, first 2 shown]
	v_lshrrev_b32_e32 v84, 16, v94
	v_cndmask_b32_e64 v66, v66, v97, s18
	v_cndmask_b32_e64 v90, v86, v97, s27
	;; [unrolled: 1-line block ×4, first 2 shown]
	v_dual_cndmask_b32 v86, v87, v97 :: v_dual_cndmask_b32 v87, v88, v84
	v_cndmask_b32_e64 v91, v69, v84, s15
	s_delay_alu instid0(VALU_DEP_4) | instskip(NEXT) | instid1(VALU_DEP_4)
	v_cndmask_b32_e64 v89, v89, v100, s22
	v_cndmask_b32_e64 v85, v85, v100, s13
	v_perm_b32 v69, v102, v101, 0x5040100
	v_perm_b32 v86, v87, v86, 0x5040100
	;; [unrolled: 1-line block ×3, first 2 shown]
	v_cndmask_b32_e64 v89, v89, v94, s24
	v_cndmask_b32_e64 v85, v85, v94, s16
	s_mul_i32 s8, s35, 6
	s_delay_alu instid0(VALU_DEP_2) | instskip(NEXT) | instid1(VALU_DEP_2)
	v_cndmask_b32_e64 v88, v89, v84, s27
	v_cndmask_b32_e64 v89, v85, v84, s18
	s_delay_alu instid0(VALU_DEP_2) | instskip(NEXT) | instid1(VALU_DEP_2)
	v_perm_b32 v85, v88, v90, 0x5040100
	v_perm_b32 v84, v89, v66, 0x5040100
	ds_store_b128 v76, v[69:72]
	ds_store_b128 v76, v[83:86] offset:1024
	v_cmpx_gt_u32_e32 6, v0
	s_cbranch_execz .LBB1351_78
; %bb.77:
	s_mul_i32 s4, s8, s30
	s_delay_alu instid0(SALU_CYCLE_1) | instskip(SKIP_1) | instid1(VALU_DEP_1)
	v_add3_u32 v69, s4, s31, v65
	s_load_b128 s[4:7], s[0:1], 0x58
	v_mad_u64_u32 v[65:66], null, v69, s34, s[14:15]
	s_delay_alu instid0(VALU_DEP_1) | instskip(NEXT) | instid1(VALU_DEP_1)
	v_ashrrev_i32_e32 v66, 31, v65
	v_lshlrev_b64 v[65:66], 2, v[65:66]
	s_waitcnt lgkmcnt(0)
	s_delay_alu instid0(VALU_DEP_1) | instskip(NEXT) | instid1(VALU_DEP_2)
	v_add_co_u32 v69, vcc_lo, s6, v65
	v_add_co_ci_u32_e32 v70, vcc_lo, s7, v66, vcc_lo
	v_add_co_u32 v65, vcc_lo, s4, v65
	v_add_co_ci_u32_e32 v66, vcc_lo, s5, v66, vcc_lo
	global_store_b32 v[69:70], v67, off
	global_store_b32 v[65:66], v68, off
.LBB1351_78:
	s_or_b32 exec_lo, exec_lo, s3
	s_waitcnt lgkmcnt(0)
	s_waitcnt_vscnt null, 0x0
	s_barrier
	buffer_gl0_inv
	ds_load_b128 v[83:86], v80
	ds_load_b128 v[87:90], v80 offset:16
	ds_load_b128 v[95:98], v80 offset:2064
	ds_load_b128 v[91:94], v80 offset:2048
	v_mov_b32_e32 v65, 0
	ds_load_b128 v[103:106], v80 offset:4112
	ds_load_b128 v[99:102], v80 offset:4096
	;; [unrolled: 1-line block ×4, first 2 shown]
	v_mov_b32_e32 v66, v65
	v_mov_b32_e32 v67, v65
	;; [unrolled: 1-line block ×7, first 2 shown]
	s_waitcnt lgkmcnt(6)
	s_delay_alu instid0(VALU_DEP_1)
	v_wmma_f32_16x16x16_bf16 v[65:72], v[57:64], v[83:90], v[65:72]
	ds_load_b128 v[61:64], v80 offset:8208
	ds_load_b128 v[57:60], v80 offset:8192
	s_waitcnt lgkmcnt(6)
	v_wmma_f32_16x16x16_bf16 v[65:72], v[41:48], v[91:98], v[65:72]
	ds_load_b128 v[45:48], v80 offset:10256
	ds_load_b128 v[41:44], v80 offset:10240
	s_waitcnt lgkmcnt(6)
	v_wmma_f32_16x16x16_bf16 v[65:72], v[33:40], v[99:106], v[65:72]
	ds_load_b128 v[37:40], v80 offset:12304
	ds_load_b128 v[33:36], v80 offset:12288
	s_waitcnt lgkmcnt(6)
	v_wmma_f32_16x16x16_bf16 v[65:72], v[25:32], v[107:114], v[65:72]
	ds_load_b128 v[29:32], v80 offset:14352
	ds_load_b128 v[25:28], v80 offset:14336
	s_waitcnt lgkmcnt(6)
	v_wmma_f32_16x16x16_bf16 v[65:72], v[1:8], v[57:64], v[65:72]
	s_waitcnt lgkmcnt(4)
	s_delay_alu instid0(VALU_DEP_1) | instskip(SKIP_1) | instid1(VALU_DEP_1)
	v_wmma_f32_16x16x16_bf16 v[65:72], v[9:16], v[41:48], v[65:72]
	s_waitcnt lgkmcnt(2)
	v_wmma_f32_16x16x16_bf16 v[65:72], v[17:24], v[33:40], v[65:72]
	s_waitcnt lgkmcnt(0)
	s_delay_alu instid0(VALU_DEP_1) | instskip(NEXT) | instid1(VALU_DEP_1)
	v_wmma_f32_16x16x16_bf16 v[65:72], v[49:56], v[25:32], v[65:72]
	v_and_b32_e32 v1, 0x7f800000, v65
	s_delay_alu instid0(VALU_DEP_1) | instskip(SKIP_1) | instid1(SALU_CYCLE_1)
	v_cmp_ne_u32_e32 vcc_lo, 0x7f800000, v1
                                        ; implicit-def: $vgpr1
	s_and_saveexec_b32 s3, vcc_lo
	s_xor_b32 s3, exec_lo, s3
; %bb.79:
	v_bfe_u32 v1, v65, 16, 1
	s_delay_alu instid0(VALU_DEP_1)
	v_add3_u32 v1, v65, v1, 0x7fff
; %bb.80:
	s_and_not1_saveexec_b32 s3, s3
; %bb.81:
	v_and_b32_e32 v1, 0xffff, v65
	v_or_b32_e32 v2, 0x10000, v65
	s_delay_alu instid0(VALU_DEP_2) | instskip(NEXT) | instid1(VALU_DEP_2)
	v_cmp_eq_u32_e32 vcc_lo, 0, v1
	v_cndmask_b32_e32 v1, v2, v65, vcc_lo
; %bb.82:
	s_or_b32 exec_lo, exec_lo, s3
	v_and_b32_e32 v2, 0x7f800000, v66
	s_delay_alu instid0(VALU_DEP_1) | instskip(SKIP_1) | instid1(SALU_CYCLE_1)
	v_cmp_ne_u32_e32 vcc_lo, 0x7f800000, v2
                                        ; implicit-def: $vgpr2
	s_and_saveexec_b32 s3, vcc_lo
	s_xor_b32 s3, exec_lo, s3
; %bb.83:
	v_bfe_u32 v2, v66, 16, 1
	s_delay_alu instid0(VALU_DEP_1)
	v_add3_u32 v2, v66, v2, 0x7fff
; %bb.84:
	s_and_not1_saveexec_b32 s3, s3
; %bb.85:
	v_and_b32_e32 v2, 0xffff, v66
	v_or_b32_e32 v3, 0x10000, v66
	s_delay_alu instid0(VALU_DEP_2) | instskip(NEXT) | instid1(VALU_DEP_2)
	v_cmp_eq_u32_e32 vcc_lo, 0, v2
	v_cndmask_b32_e32 v2, v3, v66, vcc_lo
; %bb.86:
	s_or_b32 exec_lo, exec_lo, s3
	v_and_b32_e32 v3, 0x7f800000, v67
	s_delay_alu instid0(VALU_DEP_1) | instskip(SKIP_1) | instid1(SALU_CYCLE_1)
	v_cmp_ne_u32_e32 vcc_lo, 0x7f800000, v3
                                        ; implicit-def: $vgpr3
	s_and_saveexec_b32 s3, vcc_lo
	s_xor_b32 s3, exec_lo, s3
; %bb.87:
	v_bfe_u32 v3, v67, 16, 1
	s_delay_alu instid0(VALU_DEP_1)
	v_add3_u32 v3, v67, v3, 0x7fff
; %bb.88:
	s_and_not1_saveexec_b32 s3, s3
; %bb.89:
	v_and_b32_e32 v3, 0xffff, v67
	v_or_b32_e32 v4, 0x10000, v67
	s_delay_alu instid0(VALU_DEP_2) | instskip(NEXT) | instid1(VALU_DEP_2)
	v_cmp_eq_u32_e32 vcc_lo, 0, v3
	v_cndmask_b32_e32 v3, v4, v67, vcc_lo
; %bb.90:
	s_or_b32 exec_lo, exec_lo, s3
	v_and_b32_e32 v4, 0x7f800000, v68
	s_delay_alu instid0(VALU_DEP_1) | instskip(SKIP_1) | instid1(SALU_CYCLE_1)
	v_cmp_ne_u32_e32 vcc_lo, 0x7f800000, v4
                                        ; implicit-def: $vgpr4
	s_and_saveexec_b32 s3, vcc_lo
	s_xor_b32 s3, exec_lo, s3
; %bb.91:
	v_bfe_u32 v4, v68, 16, 1
	s_delay_alu instid0(VALU_DEP_1)
	v_add3_u32 v4, v68, v4, 0x7fff
; %bb.92:
	s_and_not1_saveexec_b32 s3, s3
; %bb.93:
	v_and_b32_e32 v4, 0xffff, v68
	v_or_b32_e32 v5, 0x10000, v68
	s_delay_alu instid0(VALU_DEP_2) | instskip(NEXT) | instid1(VALU_DEP_2)
	v_cmp_eq_u32_e32 vcc_lo, 0, v4
	v_cndmask_b32_e32 v4, v5, v68, vcc_lo
; %bb.94:
	s_or_b32 exec_lo, exec_lo, s3
	v_and_b32_e32 v5, 0x7f800000, v69
	s_delay_alu instid0(VALU_DEP_1) | instskip(SKIP_1) | instid1(SALU_CYCLE_1)
	v_cmp_ne_u32_e32 vcc_lo, 0x7f800000, v5
                                        ; implicit-def: $vgpr5
	s_and_saveexec_b32 s3, vcc_lo
	s_xor_b32 s3, exec_lo, s3
; %bb.95:
	v_bfe_u32 v5, v69, 16, 1
	s_delay_alu instid0(VALU_DEP_1)
	v_add3_u32 v5, v69, v5, 0x7fff
; %bb.96:
	s_and_not1_saveexec_b32 s3, s3
; %bb.97:
	v_and_b32_e32 v5, 0xffff, v69
	v_or_b32_e32 v6, 0x10000, v69
	s_delay_alu instid0(VALU_DEP_2) | instskip(NEXT) | instid1(VALU_DEP_2)
	v_cmp_eq_u32_e32 vcc_lo, 0, v5
	v_cndmask_b32_e32 v5, v6, v69, vcc_lo
; %bb.98:
	s_or_b32 exec_lo, exec_lo, s3
	v_and_b32_e32 v6, 0x7f800000, v70
	s_delay_alu instid0(VALU_DEP_1) | instskip(SKIP_1) | instid1(SALU_CYCLE_1)
	v_cmp_ne_u32_e32 vcc_lo, 0x7f800000, v6
                                        ; implicit-def: $vgpr6
	s_and_saveexec_b32 s3, vcc_lo
	s_xor_b32 s3, exec_lo, s3
; %bb.99:
	v_bfe_u32 v6, v70, 16, 1
	s_delay_alu instid0(VALU_DEP_1)
	v_add3_u32 v6, v70, v6, 0x7fff
; %bb.100:
	s_and_not1_saveexec_b32 s3, s3
; %bb.101:
	v_and_b32_e32 v6, 0xffff, v70
	v_or_b32_e32 v7, 0x10000, v70
	s_delay_alu instid0(VALU_DEP_2) | instskip(NEXT) | instid1(VALU_DEP_2)
	v_cmp_eq_u32_e32 vcc_lo, 0, v6
	v_cndmask_b32_e32 v6, v7, v70, vcc_lo
; %bb.102:
	s_or_b32 exec_lo, exec_lo, s3
	v_and_b32_e32 v7, 0x7f800000, v71
	s_delay_alu instid0(VALU_DEP_1) | instskip(SKIP_1) | instid1(SALU_CYCLE_1)
	v_cmp_ne_u32_e32 vcc_lo, 0x7f800000, v7
                                        ; implicit-def: $vgpr7
	s_and_saveexec_b32 s3, vcc_lo
	s_xor_b32 s3, exec_lo, s3
; %bb.103:
	v_bfe_u32 v7, v71, 16, 1
	s_delay_alu instid0(VALU_DEP_1)
	v_add3_u32 v7, v71, v7, 0x7fff
; %bb.104:
	s_and_not1_saveexec_b32 s3, s3
; %bb.105:
	v_and_b32_e32 v7, 0xffff, v71
	v_or_b32_e32 v8, 0x10000, v71
	s_delay_alu instid0(VALU_DEP_2) | instskip(NEXT) | instid1(VALU_DEP_2)
	v_cmp_eq_u32_e32 vcc_lo, 0, v7
	v_cndmask_b32_e32 v7, v8, v71, vcc_lo
; %bb.106:
	s_or_b32 exec_lo, exec_lo, s3
	v_and_b32_e32 v8, 0x7f800000, v72
	s_delay_alu instid0(VALU_DEP_1) | instskip(SKIP_1) | instid1(SALU_CYCLE_1)
	v_cmp_ne_u32_e32 vcc_lo, 0x7f800000, v8
                                        ; implicit-def: $vgpr8
	s_and_saveexec_b32 s3, vcc_lo
	s_xor_b32 s3, exec_lo, s3
; %bb.107:
	v_bfe_u32 v8, v72, 16, 1
	s_delay_alu instid0(VALU_DEP_1)
	v_add3_u32 v8, v72, v8, 0x7fff
                                        ; implicit-def: $vgpr65_vgpr66_vgpr67_vgpr68_vgpr69_vgpr70_vgpr71_vgpr72
; %bb.108:
	s_and_not1_saveexec_b32 s3, s3
; %bb.109:
	v_and_b32_e32 v8, 0xffff, v72
	v_or_b32_e32 v9, 0x10000, v72
	s_delay_alu instid0(VALU_DEP_2) | instskip(NEXT) | instid1(VALU_DEP_2)
	v_cmp_eq_u32_e32 vcc_lo, 0, v8
	v_cndmask_b32_e32 v8, v9, v72, vcc_lo
; %bb.110:
	s_or_b32 exec_lo, exec_lo, s3
	s_delay_alu instid0(VALU_DEP_1)
	v_perm_b32 v7, v8, v7, 0x7060302
	v_perm_b32 v6, v6, v5, 0x7060302
	;; [unrolled: 1-line block ×4, first 2 shown]
	s_barrier
	buffer_gl0_inv
	v_cmp_eq_u32_e32 vcc_lo, 1, v78
	ds_store_b128 v76, v[4:7]
	s_waitcnt lgkmcnt(0)
	s_barrier
	buffer_gl0_inv
	ds_load_b128 v[1:4], v82
	ds_load_b128 v[5:8], v82 offset:16
	v_cmp_eq_u32_e64 s3, 1, v79
	v_cmp_eq_u32_e64 s4, 2, v78
	;; [unrolled: 1-line block ×5, first 2 shown]
	s_waitcnt lgkmcnt(1)
	v_lshrrev_b32_e32 v9, 16, v1
	s_waitcnt lgkmcnt(0)
	v_lshrrev_b32_e32 v13, 16, v5
	v_lshrrev_b32_e32 v10, 16, v2
	;; [unrolled: 1-line block ×4, first 2 shown]
	v_cndmask_b32_e64 v19, v1, v9, s3
	v_cndmask_b32_e32 v18, v5, v13, vcc_lo
	v_cndmask_b32_e64 v20, v5, v13, s3
	v_cndmask_b32_e32 v17, v1, v9, vcc_lo
	v_cmp_eq_u32_e32 vcc_lo, 2, v79
	v_lshrrev_b32_e32 v15, 16, v7
	v_cmp_eq_u32_e64 s3, 1, v77
	v_lshrrev_b32_e32 v12, 16, v4
	v_lshrrev_b32_e32 v16, 16, v8
	v_cndmask_b32_e32 v20, v20, v6, vcc_lo
	v_cndmask_b32_e64 v17, v17, v2, s4
	v_cndmask_b32_e32 v19, v19, v2, vcc_lo
	v_cndmask_b32_e64 v18, v18, v6, s4
	v_cmp_eq_u32_e32 vcc_lo, 4, v78
	v_cmp_eq_u32_e64 s4, 3, v79
	v_cndmask_b32_e64 v17, v17, v10, s5
	v_cndmask_b32_e64 v21, v1, v9, s3
	;; [unrolled: 1-line block ×5, first 2 shown]
	v_cndmask_b32_e32 v17, v17, v3, vcc_lo
	v_cndmask_b32_e64 v20, v20, v14, s4
	v_cndmask_b32_e32 v18, v18, v7, vcc_lo
	v_cmp_eq_u32_e32 vcc_lo, 4, v79
	v_cmp_eq_u32_e64 s4, 5, v79
	v_cmp_eq_u32_e64 s3, 2, v81
	v_cndmask_b32_e64 v21, v21, v2, s7
	v_cmp_eq_u32_e64 s5, 5, v78
	v_cndmask_b32_e32 v19, v19, v3, vcc_lo
	v_cndmask_b32_e32 v20, v20, v7, vcc_lo
	v_cmp_eq_u32_e32 vcc_lo, 6, v79
	s_delay_alu instid0(VALU_DEP_4) | instskip(NEXT) | instid1(VALU_DEP_4)
	v_cndmask_b32_e64 v17, v17, v11, s5
	v_cndmask_b32_e64 v19, v19, v11, s4
	s_delay_alu instid0(VALU_DEP_4) | instskip(SKIP_1) | instid1(VALU_DEP_3)
	v_cndmask_b32_e64 v20, v20, v15, s4
	v_cmp_eq_u32_e64 s4, 1, v81
	v_cndmask_b32_e32 v19, v19, v4, vcc_lo
	v_cndmask_b32_e64 v18, v18, v15, s5
	s_delay_alu instid0(VALU_DEP_3)
	v_cndmask_b32_e64 v1, v1, v9, s4
	v_cndmask_b32_e64 v5, v5, v13, s4
	v_cmp_eq_u32_e64 s4, 3, v77
	v_cndmask_b32_e64 v13, v22, v6, s7
	v_cmp_eq_u32_e64 s7, 3, v81
	v_cndmask_b32_e64 v1, v1, v2, s3
	v_cndmask_b32_e64 v2, v5, v6, s3
	;; [unrolled: 1-line block ×3, first 2 shown]
	v_cmp_eq_u32_e64 s3, 4, v77
	v_cndmask_b32_e64 v6, v13, v14, s4
	v_cndmask_b32_e64 v1, v1, v10, s7
	v_cmp_eq_u32_e64 s4, 4, v81
	v_cndmask_b32_e64 v2, v2, v14, s7
	v_cndmask_b32_e64 v5, v9, v3, s3
	;; [unrolled: 3-line block ×3, first 2 shown]
	v_cndmask_b32_e64 v2, v2, v7, s4
	v_cmp_eq_u32_e64 s3, 5, v81
	v_cmp_eq_u32_e64 s5, 6, v78
	v_cndmask_b32_e64 v5, v5, v11, s7
	v_cmp_eq_u32_e64 s4, 6, v77
	v_cndmask_b32_e64 v3, v6, v15, s7
	v_cndmask_b32_e64 v1, v1, v11, s3
	v_cmp_eq_u32_e64 s7, 6, v81
	v_cndmask_b32_e64 v2, v2, v15, s3
	v_cndmask_b32_e64 v17, v17, v4, s5
	v_cndmask_b32_e64 v18, v18, v8, s5
	v_cmp_eq_u32_e64 s5, 7, v78
	v_cndmask_b32_e64 v5, v5, v4, s4
	;; [unrolled: 4-line block ×3, first 2 shown]
	v_cmp_eq_u32_e64 s4, 7, v77
	v_cndmask_b32_e32 v4, v20, v8, vcc_lo
	v_cndmask_b32_e64 v17, v17, v12, s5
	v_cndmask_b32_e64 v19, v19, v12, s6
	;; [unrolled: 1-line block ×8, first 2 shown]
	v_cmp_gt_u32_e32 vcc_lo, 32, v0
	v_perm_b32 v4, v2, v1, 0x5040100
	v_perm_b32 v3, v3, v5, 0x5040100
	;; [unrolled: 1-line block ×4, first 2 shown]
	s_and_b32 s2, vcc_lo, s2
	ds_store_b128 v76, v[1:4]
	s_waitcnt lgkmcnt(0)
	s_barrier
	buffer_gl0_inv
	s_and_saveexec_b32 s3, s2
	s_cbranch_execz .LBB1351_2
; %bb.111:
	s_load_b64 s[0:1], s[0:1], 0x68
	s_lshl_b32 s4, s34, 6
	v_or_b32_e32 v3, s31, v74
	s_mul_i32 s2, s4, s30
	v_lshlrev_b32_e32 v0, 10, v0
	s_mul_i32 s2, s2, s8
	v_lshlrev_b32_e32 v1, 4, v75
	s_ashr_i32 s3, s2, 31
	v_mul_lo_u32 v12, v3, s4
	s_lshl_b64 s[2:3], s[2:3], 1
	v_lshlrev_b32_e32 v2, 6, v74
	v_and_b32_e32 v0, 0x3800, v0
	s_delay_alu instid0(VALU_DEP_1) | instskip(NEXT) | instid1(VALU_DEP_4)
	v_or3_b32 v8, v0, v1, v2
	v_ashrrev_i32_e32 v13, 31, v12
	ds_load_b128 v[0:3], v8
	ds_load_b128 v[4:7], v8 offset:128
	ds_load_b128 v[8:11], v8 offset:256
	s_waitcnt lgkmcnt(0)
	s_add_u32 s2, s0, s2
	s_addc_u32 s3, s1, s3
	s_lshl_b32 s0, s14, 6
	s_delay_alu instid0(SALU_CYCLE_1) | instskip(NEXT) | instid1(SALU_CYCLE_1)
	s_ashr_i32 s1, s0, 31
	s_lshl_b64 s[0:1], s[0:1], 1
	s_delay_alu instid0(SALU_CYCLE_1)
	s_add_u32 s0, s2, s0
	s_addc_u32 s1, s3, s1
	s_lshl_b32 s2, s34, 7
	v_add_co_u32 v18, s0, s0, v73
	v_add_nc_u32_e32 v14, s2, v12
	v_lshlrev_b64 v[12:13], 1, v[12:13]
	v_add_co_ci_u32_e64 v19, null, s1, 0, s0
	s_delay_alu instid0(VALU_DEP_3) | instskip(SKIP_1) | instid1(VALU_DEP_4)
	v_add_nc_u32_e32 v16, s2, v14
	v_ashrrev_i32_e32 v15, 31, v14
	v_add_co_u32 v12, vcc_lo, v18, v12
	s_delay_alu instid0(VALU_DEP_4) | instskip(NEXT) | instid1(VALU_DEP_4)
	v_add_co_ci_u32_e32 v13, vcc_lo, v19, v13, vcc_lo
	v_ashrrev_i32_e32 v17, 31, v16
	s_delay_alu instid0(VALU_DEP_4) | instskip(NEXT) | instid1(VALU_DEP_2)
	v_lshlrev_b64 v[14:15], 1, v[14:15]
	v_lshlrev_b64 v[16:17], 1, v[16:17]
	s_delay_alu instid0(VALU_DEP_2) | instskip(NEXT) | instid1(VALU_DEP_3)
	v_add_co_u32 v14, vcc_lo, v18, v14
	v_add_co_ci_u32_e32 v15, vcc_lo, v19, v15, vcc_lo
	s_delay_alu instid0(VALU_DEP_3) | instskip(NEXT) | instid1(VALU_DEP_4)
	v_add_co_u32 v16, vcc_lo, v18, v16
	v_add_co_ci_u32_e32 v17, vcc_lo, v19, v17, vcc_lo
	s_clause 0x2
	global_store_b128 v[12:13], v[0:3], off
	global_store_b128 v[14:15], v[4:7], off
	;; [unrolled: 1-line block ×3, first 2 shown]
	s_nop 0
	s_sendmsg sendmsg(MSG_DEALLOC_VGPRS)
	s_endpgm
	.section	.rodata,"a",@progbits
	.p2align	6, 0x0
	.amdhsa_kernel _Z39paged_attention_ll4mi_QKV_mfma16_kernelI14__hip_bfloat16hLN4vllm18Fp8KVCacheDataTypeE1EhLi16ELi64ELi256ELb1ELi6EL8MFMAType1EEvPKT_PKT0_S9_ifPKiSB_SB_iPKfiiiPfSE_PS4_PT2_iSD_SD_
		.amdhsa_group_segment_fixed_size 17472
		.amdhsa_private_segment_fixed_size 0
		.amdhsa_kernarg_size 400
		.amdhsa_user_sgpr_count 13
		.amdhsa_user_sgpr_dispatch_ptr 0
		.amdhsa_user_sgpr_queue_ptr 0
		.amdhsa_user_sgpr_kernarg_segment_ptr 1
		.amdhsa_user_sgpr_dispatch_id 0
		.amdhsa_user_sgpr_private_segment_size 0
		.amdhsa_wavefront_size32 1
		.amdhsa_uses_dynamic_stack 0
		.amdhsa_enable_private_segment 0
		.amdhsa_system_sgpr_workgroup_id_x 1
		.amdhsa_system_sgpr_workgroup_id_y 1
		.amdhsa_system_sgpr_workgroup_id_z 1
		.amdhsa_system_sgpr_workgroup_info 0
		.amdhsa_system_vgpr_workitem_id 0
		.amdhsa_next_free_vgpr 124
		.amdhsa_next_free_sgpr 38
		.amdhsa_reserve_vcc 1
		.amdhsa_float_round_mode_32 0
		.amdhsa_float_round_mode_16_64 0
		.amdhsa_float_denorm_mode_32 3
		.amdhsa_float_denorm_mode_16_64 3
		.amdhsa_dx10_clamp 1
		.amdhsa_ieee_mode 1
		.amdhsa_fp16_overflow 0
		.amdhsa_workgroup_processor_mode 1
		.amdhsa_memory_ordered 1
		.amdhsa_forward_progress 0
		.amdhsa_shared_vgpr_count 0
		.amdhsa_exception_fp_ieee_invalid_op 0
		.amdhsa_exception_fp_denorm_src 0
		.amdhsa_exception_fp_ieee_div_zero 0
		.amdhsa_exception_fp_ieee_overflow 0
		.amdhsa_exception_fp_ieee_underflow 0
		.amdhsa_exception_fp_ieee_inexact 0
		.amdhsa_exception_int_div_zero 0
	.end_amdhsa_kernel
	.section	.text._Z39paged_attention_ll4mi_QKV_mfma16_kernelI14__hip_bfloat16hLN4vllm18Fp8KVCacheDataTypeE1EhLi16ELi64ELi256ELb1ELi6EL8MFMAType1EEvPKT_PKT0_S9_ifPKiSB_SB_iPKfiiiPfSE_PS4_PT2_iSD_SD_,"axG",@progbits,_Z39paged_attention_ll4mi_QKV_mfma16_kernelI14__hip_bfloat16hLN4vllm18Fp8KVCacheDataTypeE1EhLi16ELi64ELi256ELb1ELi6EL8MFMAType1EEvPKT_PKT0_S9_ifPKiSB_SB_iPKfiiiPfSE_PS4_PT2_iSD_SD_,comdat
.Lfunc_end1351:
	.size	_Z39paged_attention_ll4mi_QKV_mfma16_kernelI14__hip_bfloat16hLN4vllm18Fp8KVCacheDataTypeE1EhLi16ELi64ELi256ELb1ELi6EL8MFMAType1EEvPKT_PKT0_S9_ifPKiSB_SB_iPKfiiiPfSE_PS4_PT2_iSD_SD_, .Lfunc_end1351-_Z39paged_attention_ll4mi_QKV_mfma16_kernelI14__hip_bfloat16hLN4vllm18Fp8KVCacheDataTypeE1EhLi16ELi64ELi256ELb1ELi6EL8MFMAType1EEvPKT_PKT0_S9_ifPKiSB_SB_iPKfiiiPfSE_PS4_PT2_iSD_SD_
                                        ; -- End function
	.section	.AMDGPU.csdata,"",@progbits
; Kernel info:
; codeLenInByte = 8736
; NumSgprs: 40
; NumVgprs: 124
; ScratchSize: 0
; MemoryBound: 0
; FloatMode: 240
; IeeeMode: 1
; LDSByteSize: 17472 bytes/workgroup (compile time only)
; SGPRBlocks: 4
; VGPRBlocks: 15
; NumSGPRsForWavesPerEU: 40
; NumVGPRsForWavesPerEU: 124
; Occupancy: 10
; WaveLimiterHint : 1
; COMPUTE_PGM_RSRC2:SCRATCH_EN: 0
; COMPUTE_PGM_RSRC2:USER_SGPR: 13
; COMPUTE_PGM_RSRC2:TRAP_HANDLER: 0
; COMPUTE_PGM_RSRC2:TGID_X_EN: 1
; COMPUTE_PGM_RSRC2:TGID_Y_EN: 1
; COMPUTE_PGM_RSRC2:TGID_Z_EN: 1
; COMPUTE_PGM_RSRC2:TIDIG_COMP_CNT: 0
	.section	.text._Z39paged_attention_ll4mi_QKV_mfma16_kernelI14__hip_bfloat16hLN4vllm18Fp8KVCacheDataTypeE1EhLi16ELi64ELi256ELb1ELi7EL8MFMAType1EEvPKT_PKT0_S9_ifPKiSB_SB_iPKfiiiPfSE_PS4_PT2_iSD_SD_,"axG",@progbits,_Z39paged_attention_ll4mi_QKV_mfma16_kernelI14__hip_bfloat16hLN4vllm18Fp8KVCacheDataTypeE1EhLi16ELi64ELi256ELb1ELi7EL8MFMAType1EEvPKT_PKT0_S9_ifPKiSB_SB_iPKfiiiPfSE_PS4_PT2_iSD_SD_,comdat
	.protected	_Z39paged_attention_ll4mi_QKV_mfma16_kernelI14__hip_bfloat16hLN4vllm18Fp8KVCacheDataTypeE1EhLi16ELi64ELi256ELb1ELi7EL8MFMAType1EEvPKT_PKT0_S9_ifPKiSB_SB_iPKfiiiPfSE_PS4_PT2_iSD_SD_ ; -- Begin function _Z39paged_attention_ll4mi_QKV_mfma16_kernelI14__hip_bfloat16hLN4vllm18Fp8KVCacheDataTypeE1EhLi16ELi64ELi256ELb1ELi7EL8MFMAType1EEvPKT_PKT0_S9_ifPKiSB_SB_iPKfiiiPfSE_PS4_PT2_iSD_SD_
	.globl	_Z39paged_attention_ll4mi_QKV_mfma16_kernelI14__hip_bfloat16hLN4vllm18Fp8KVCacheDataTypeE1EhLi16ELi64ELi256ELb1ELi7EL8MFMAType1EEvPKT_PKT0_S9_ifPKiSB_SB_iPKfiiiPfSE_PS4_PT2_iSD_SD_
	.p2align	8
	.type	_Z39paged_attention_ll4mi_QKV_mfma16_kernelI14__hip_bfloat16hLN4vllm18Fp8KVCacheDataTypeE1EhLi16ELi64ELi256ELb1ELi7EL8MFMAType1EEvPKT_PKT0_S9_ifPKiSB_SB_iPKfiiiPfSE_PS4_PT2_iSD_SD_,@function
_Z39paged_attention_ll4mi_QKV_mfma16_kernelI14__hip_bfloat16hLN4vllm18Fp8KVCacheDataTypeE1EhLi16ELi64ELi256ELb1ELi7EL8MFMAType1EEvPKT_PKT0_S9_ifPKiSB_SB_iPKfiiiPfSE_PS4_PT2_iSD_SD_: ; @_Z39paged_attention_ll4mi_QKV_mfma16_kernelI14__hip_bfloat16hLN4vllm18Fp8KVCacheDataTypeE1EhLi16ELi64ELi256ELb1ELi7EL8MFMAType1EEvPKT_PKT0_S9_ifPKiSB_SB_iPKfiiiPfSE_PS4_PT2_iSD_SD_
; %bb.0:
	s_load_b64 s[2:3], s[0:1], 0x30
	s_mov_b32 s34, s13
	s_waitcnt lgkmcnt(0)
	s_cmp_lg_u64 s[2:3], 0
	s_cselect_b32 s8, -1, 0
	s_ashr_i32 s35, s13, 31
	s_cmp_eq_u64 s[2:3], 0
	s_cbranch_scc1 .LBB1352_3
; %bb.1:
	s_lshl_b64 s[4:5], s[34:35], 2
	s_delay_alu instid0(SALU_CYCLE_1) | instskip(SKIP_4) | instid1(SALU_CYCLE_1)
	s_add_u32 s4, s2, s4
	s_addc_u32 s5, s3, s5
	s_load_b64 s[4:5], s[4:5], 0x0
	s_waitcnt lgkmcnt(0)
	s_sub_i32 s4, s5, s4
	s_cmp_eq_u32 s4, 1
	s_cselect_b32 s4, -1, 0
	s_delay_alu instid0(SALU_CYCLE_1)
	s_and_not1_b32 vcc_lo, exec_lo, s4
	s_cbranch_vccz .LBB1352_4
.LBB1352_2:
	s_nop 0
	s_sendmsg sendmsg(MSG_DEALLOC_VGPRS)
	s_endpgm
.LBB1352_3:
.LBB1352_4:
	s_load_b64 s[4:5], s[0:1], 0x28
	s_lshl_b64 s[6:7], s[34:35], 2
	s_waitcnt lgkmcnt(0)
	s_add_u32 s4, s4, s6
	s_addc_u32 s5, s5, s7
	s_lshl_b32 s12, s14, 8
	s_load_b32 s24, s[4:5], 0x0
	s_waitcnt lgkmcnt(0)
	s_cmp_ge_i32 s12, s24
	s_cbranch_scc1 .LBB1352_2
; %bb.5:
	s_clause 0x1
	s_load_b128 s[20:23], s[0:1], 0x8
	s_load_b64 s[4:5], s[0:1], 0x20
	s_and_not1_b32 vcc_lo, exec_lo, s8
	s_cbranch_vccnz .LBB1352_7
; %bb.6:
	s_add_u32 s2, s2, s6
	s_addc_u32 s3, s3, s7
	s_load_b32 s3, s[2:3], 0x0
	s_branch .LBB1352_8
.LBB1352_7:
	s_mov_b32 s3, s34
.LBB1352_8:
	s_load_b128 s[16:19], s[0:1], 0x48
	v_lshrrev_b32_e32 v66, 5, v0
	v_bfe_u32 v74, v0, 4, 1
	v_and_b32_e32 v65, 15, v0
	v_and_b32_e32 v67, 31, v0
	;; [unrolled: 1-line block ×3, first 2 shown]
	s_mul_i32 s31, s15, 7
	v_lshl_or_b32 v1, v66, 1, v74
	v_lshlrev_b32_e32 v2, 3, v65
	v_cmp_gt_u32_e64 s2, 8, v65
	s_delay_alu instid0(VALU_DEP_3) | instskip(NEXT) | instid1(VALU_DEP_3)
	v_cmp_gt_u32_e32 vcc_lo, 7, v1
	v_lshlrev_b32_e32 v73, 1, v2
	s_delay_alu instid0(VALU_DEP_3) | instskip(NEXT) | instid1(SALU_CYCLE_1)
	s_and_b32 s7, s2, vcc_lo
	s_and_saveexec_b32 s6, s7
	s_cbranch_execz .LBB1352_10
; %bb.9:
	s_load_b64 s[8:9], s[0:1], 0x0
	v_add_lshl_u32 v2, v1, s31, 6
	s_waitcnt lgkmcnt(0)
	s_mul_hi_i32 s11, s3, s16
	s_mul_i32 s10, s3, s16
	v_lshlrev_b32_e32 v6, 10, v65
	s_lshl_b64 s[10:11], s[10:11], 1
	v_ashrrev_i32_e32 v3, 31, v2
	v_lshlrev_b32_e32 v1, 6, v1
	v_lshlrev_b32_e32 v7, 10, v75
	v_and_b32_e32 v6, 0x3800, v6
	s_delay_alu instid0(VALU_DEP_4) | instskip(NEXT) | instid1(VALU_DEP_2)
	v_lshlrev_b64 v[2:3], 1, v[2:3]
	v_or3_b32 v1, v6, v7, v1
	s_add_u32 s3, s8, s10
	s_addc_u32 s7, s9, s11
	s_delay_alu instid0(VALU_DEP_2) | instskip(NEXT) | instid1(VALU_DEP_3)
	v_add_co_u32 v2, vcc_lo, s3, v2
	v_add_co_ci_u32_e32 v3, vcc_lo, s7, v3, vcc_lo
	s_delay_alu instid0(VALU_DEP_2) | instskip(NEXT) | instid1(VALU_DEP_2)
	v_add_co_u32 v2, vcc_lo, v2, v73
	v_add_co_ci_u32_e32 v3, vcc_lo, 0, v3, vcc_lo
	global_load_b128 v[2:5], v[2:3], off
	s_waitcnt vmcnt(0)
	ds_store_b128 v1, v[2:5]
.LBB1352_10:
	s_or_b32 exec_lo, exec_lo, s6
	v_and_b32_e32 v1, 0xef, v0
	s_waitcnt lgkmcnt(0)
	s_add_i32 s3, s24, 15
	s_clause 0x1
	s_load_b32 s6, s[0:1], 0x38
	s_load_b32 s19, s[0:1], 0x1c
	s_ashr_i32 s7, s3, 31
	v_add_nc_u32_e32 v1, s12, v1
	s_lshr_b32 s7, s7, 28
	s_waitcnt lgkmcnt(0)
	s_add_i32 s3, s3, s7
	s_barrier
	v_ashrrev_i32_e32 v2, 31, v1
	v_or_b32_e32 v3, 16, v1
	s_ashr_i32 s3, s3, 4
	v_cmp_gt_i32_e32 vcc_lo, s24, v1
	s_add_i32 s3, s3, -1
	v_lshrrev_b32_e32 v2, 28, v2
	buffer_gl0_inv
	s_mul_i32 s27, s15, s18
	v_add_nc_u32_e32 v4, v1, v2
	s_mul_i32 s6, s34, s6
	s_delay_alu instid0(SALU_CYCLE_1) | instskip(NEXT) | instid1(VALU_DEP_1)
	s_ashr_i32 s7, s6, 31
	v_ashrrev_i32_e32 v4, 4, v4
	v_add_nc_u32_e32 v2, v3, v2
	s_lshl_b64 s[6:7], s[6:7], 2
	s_delay_alu instid0(SALU_CYCLE_1) | instskip(NEXT) | instid1(VALU_DEP_2)
	s_add_u32 s26, s4, s6
	v_cndmask_b32_e32 v1, s3, v4, vcc_lo
	s_delay_alu instid0(VALU_DEP_2)
	v_ashrrev_i32_e32 v2, 4, v2
	v_cmp_gt_i32_e32 vcc_lo, s24, v3
	s_addc_u32 s25, s5, s7
	s_ashr_i32 s28, s27, 31
	s_add_u32 s13, s20, s27
	s_addc_u32 s15, s21, s28
	v_cndmask_b32_e32 v3, s3, v2, vcc_lo
	v_ashrrev_i32_e32 v2, 31, v1
	s_lshl_b32 s4, s14, 4
	s_delay_alu instid0(SALU_CYCLE_1) | instskip(NEXT) | instid1(VALU_DEP_2)
	s_ashr_i32 s5, s4, 31
	v_ashrrev_i32_e32 v4, 31, v3
	s_delay_alu instid0(VALU_DEP_2) | instskip(SKIP_1) | instid1(SALU_CYCLE_1)
	v_lshlrev_b64 v[1:2], 2, v[1:2]
	s_lshl_b64 s[4:5], s[4:5], 2
	s_add_u32 s4, s26, s4
	s_delay_alu instid0(VALU_DEP_2) | instskip(SKIP_1) | instid1(VALU_DEP_2)
	v_lshlrev_b64 v[3:4], 2, v[3:4]
	s_addc_u32 s5, s25, s5
	v_add_co_u32 v1, vcc_lo, s26, v1
	v_add_co_ci_u32_e32 v2, vcc_lo, s25, v2, vcc_lo
	s_delay_alu instid0(VALU_DEP_3) | instskip(NEXT) | instid1(VALU_DEP_4)
	v_add_co_u32 v3, vcc_lo, s26, v3
	v_add_co_ci_u32_e32 v4, vcc_lo, s25, v4, vcc_lo
	s_clause 0x1
	global_load_b32 v5, v[1:2], off
	global_load_b32 v7, v[3:4], off
	s_or_b32 s6, s12, 32
	v_lshlrev_b32_e32 v1, 4, v0
	s_ashr_i32 s7, s6, 4
	s_cmp_lt_i32 s6, s24
	s_cselect_b32 s6, s7, s3
	s_delay_alu instid0(VALU_DEP_1) | instskip(SKIP_1) | instid1(SALU_CYCLE_1)
	v_and_b32_e32 v1, 0xf0, v1
	s_ashr_i32 s7, s6, 31
	s_lshl_b64 s[6:7], s[6:7], 2
	s_delay_alu instid0(SALU_CYCLE_1)
	s_add_u32 s6, s26, s6
	s_addc_u32 s7, s25, s7
	s_or_b32 s8, s12, 64
	v_add_co_u32 v1, s13, s13, v1
	s_ashr_i32 s9, s8, 4
	s_cmp_lt_i32 s8, s24
	v_add_co_ci_u32_e64 v2, null, s15, 0, s13
	s_cselect_b32 s8, s9, s3
	s_delay_alu instid0(SALU_CYCLE_1) | instskip(NEXT) | instid1(SALU_CYCLE_1)
	s_ashr_i32 s9, s8, 31
	s_lshl_b64 s[8:9], s[8:9], 2
	s_delay_alu instid0(SALU_CYCLE_1) | instskip(SKIP_2) | instid1(SALU_CYCLE_1)
	s_add_u32 s8, s26, s8
	s_addc_u32 s9, s25, s9
	s_or_b32 s10, s12, 0x60
	s_ashr_i32 s11, s10, 4
	s_cmp_lt_i32 s10, s24
	s_cselect_b32 s10, s11, s3
	s_delay_alu instid0(SALU_CYCLE_1) | instskip(NEXT) | instid1(SALU_CYCLE_1)
	s_ashr_i32 s11, s10, 31
	s_lshl_b64 s[10:11], s[10:11], 2
	s_delay_alu instid0(SALU_CYCLE_1) | instskip(SKIP_2) | instid1(SALU_CYCLE_1)
	s_add_u32 s10, s26, s10
	s_addc_u32 s11, s25, s11
	s_or_b32 s16, s12, 0x80
	s_ashr_i32 s18, s16, 4
	s_cmp_lt_i32 s16, s24
	;; [unrolled: 10-line block ×3, first 2 shown]
	s_cselect_b32 s20, s18, s3
	s_delay_alu instid0(SALU_CYCLE_1) | instskip(NEXT) | instid1(SALU_CYCLE_1)
	s_ashr_i32 s21, s20, 31
	s_lshl_b64 s[20:21], s[20:21], 2
	s_delay_alu instid0(SALU_CYCLE_1)
	s_add_u32 s38, s26, s20
	s_addc_u32 s39, s25, s21
	s_clause 0x5
	s_load_b32 s21, s[4:5], 0x0
	s_load_b32 s13, s[6:7], 0x0
	;; [unrolled: 1-line block ×6, first 2 shown]
	s_or_b32 s9, s12, 0xc0
	s_mov_b32 s4, 0
	s_ashr_i32 s10, s9, 4
	s_cmp_lt_i32 s9, s24
	s_mov_b32 s11, s4
	s_cselect_b32 s36, s10, s3
	s_mov_b32 s5, s4
	s_ashr_i32 s37, s36, 31
	s_mov_b32 s6, s4
	s_lshl_b64 s[36:37], s[36:37], 2
	s_mov_b32 s7, s4
	s_add_u32 s36, s26, s36
	s_addc_u32 s37, s25, s37
	s_or_b32 s29, s12, 0xe0
	s_mov_b32 s8, s4
	s_ashr_i32 s30, s29, 4
	s_mov_b32 s9, s4
	s_mov_b32 s10, s4
	s_cmp_lt_i32 s29, s24
	v_dual_mov_b32 v107, s11 :: v_dual_mov_b32 v100, s4
	v_mov_b32_e32 v106, s10
	v_dual_mov_b32 v104, s8 :: v_dual_mov_b32 v103, s7
	v_dual_mov_b32 v102, s6 :: v_dual_mov_b32 v101, s5
	s_waitcnt vmcnt(1)
	v_mad_i64_i32 v[3:4], null, v5, s17, v[1:2]
	s_waitcnt vmcnt(0)
	v_mad_i64_i32 v[5:6], null, v7, s17, v[1:2]
	v_mul_lo_u16 v1, v65, 37
	v_lshlrev_b32_e32 v2, 4, v65
	s_clause 0x7
	global_load_b128 v[49:52], v[3:4], off
	global_load_b128 v[53:56], v[3:4], off offset:256
	global_load_b128 v[76:79], v[5:6], off
	global_load_b128 v[80:83], v[5:6], off offset:256
	global_load_b128 v[84:87], v[3:4], off offset:512
	;; [unrolled: 1-line block ×5, first 2 shown]
	v_lshrrev_b16 v1, 8, v1
	v_lshl_or_b32 v2, v66, 8, v2
	s_delay_alu instid0(VALU_DEP_2) | instskip(NEXT) | instid1(VALU_DEP_1)
	v_mul_lo_u16 v1, v1, 7
	v_sub_nc_u16 v1, v65, v1
	s_delay_alu instid0(VALU_DEP_1)
	v_and_b32_e32 v1, 0xff, v1
	v_mov_b32_e32 v105, s9
	s_cselect_b32 s4, s30, s3
	s_load_b32 s3, s[36:37], 0x0
	s_ashr_i32 s5, s4, 31
	v_lshlrev_b32_e32 v70, 6, v1
	s_lshl_b64 s[4:5], s[4:5], 2
	ds_load_b128 v[108:111], v70
	ds_load_b128 v[112:115], v70 offset:1024
	s_add_u32 s4, s26, s4
	s_addc_u32 s5, s25, s5
	s_add_u32 s6, s22, s27
	s_load_b32 s4, s[4:5], 0x0
	s_addc_u32 s7, s23, s28
	v_add_co_u32 v9, s6, s6, v2
	s_delay_alu instid0(VALU_DEP_1) | instskip(SKIP_1) | instid1(VALU_DEP_1)
	v_add_co_ci_u32_e64 v10, null, s7, 0, s6
	s_waitcnt lgkmcnt(0)
	v_mad_i64_i32 v[1:2], null, s21, s17, v[9:10]
	v_mad_i64_i32 v[3:4], null, s13, s17, v[9:10]
	;; [unrolled: 1-line block ×7, first 2 shown]
	s_clause 0x9
	global_load_b128 v[57:60], v[1:2], off
	global_load_b128 v[61:64], v[1:2], off offset:16
	global_load_b128 v[41:44], v[3:4], off
	global_load_b128 v[45:48], v[3:4], off offset:16
	;; [unrolled: 2-line block ×5, first 2 shown]
	v_mad_i64_i32 v[68:69], null, s4, s17, v[9:10]
	s_clause 0x3
	global_load_b128 v[9:12], v[13:14], off
	global_load_b128 v[13:16], v[13:14], off offset:16
	global_load_b128 v[17:20], v[21:22], off
	global_load_b128 v[21:24], v[21:22], off offset:16
	s_waitcnt vmcnt(20)
	v_wmma_f32_16x16x16_bf16 v[116:123], v[49:56], v[108:115], v[100:107]
	s_clause 0x1
	global_load_b128 v[49:52], v[68:69], off
	global_load_b128 v[53:56], v[68:69], off offset:16
	v_and_b32_e32 v68, 0xe0, v0
	v_mbcnt_lo_u32_b32 v69, -1, 0
	s_delay_alu instid0(VALU_DEP_2)
	v_add_nc_u32_e32 v68, s12, v68
	s_waitcnt vmcnt(20)
	v_wmma_f32_16x16x16_bf16 v[100:107], v[76:83], v[108:115], v[100:107]
	ds_load_b128 v[76:79], v70 offset:2048
	ds_load_b128 v[80:83], v70 offset:3072
	v_xor_b32_e32 v70, 16, v69
	s_waitcnt vmcnt(0) lgkmcnt(0)
	v_or_b32_e32 v68, v68, v74
	s_barrier
	buffer_gl0_inv
	v_cmp_gt_i32_e32 vcc_lo, 32, v70
	v_or_b32_e32 v71, 4, v68
	v_or_b32_e32 v72, 6, v68
	v_cmp_gt_i32_e64 s3, s24, v68
	v_or_b32_e32 v108, 8, v68
	v_or_b32_e32 v109, 10, v68
	v_cmp_gt_i32_e64 s4, s24, v71
	v_cmp_gt_i32_e64 s5, s24, v72
	s_delay_alu instid0(VALU_DEP_4) | instskip(NEXT) | instid1(VALU_DEP_4)
	v_cmp_gt_i32_e64 s6, s24, v108
	v_cmp_gt_i32_e64 s7, s24, v109
	v_wmma_f32_16x16x16_bf16 v[116:123], v[84:91], v[76:83], v[116:123]
	v_cndmask_b32_e32 v69, v69, v70, vcc_lo
	v_or_b32_e32 v70, 2, v68
	v_wmma_f32_16x16x16_bf16 v[100:107], v[92:99], v[76:83], v[100:107]
	v_or_b32_e32 v89, 22, v68
	v_dual_mul_f32 v80, s19, v121 :: v_dual_mul_f32 v81, s19, v120
	v_dual_mul_f32 v92, s19, v117 :: v_dual_mul_f32 v93, s19, v116
	s_delay_alu instid0(VALU_DEP_4)
	v_mul_f32_e32 v96, s19, v105
	v_cmp_gt_i32_e32 vcc_lo, s24, v70
	v_dual_mul_f32 v79, s19, v122 :: v_dual_mul_f32 v82, s19, v119
	v_dual_mul_f32 v83, s19, v118 :: v_dual_mul_f32 v94, s19, v107
	v_cndmask_b32_e64 v93, 0xff7fffff, v93, s3
	v_cndmask_b32_e32 v92, 0xff7fffff, v92, vcc_lo
	v_or_b32_e32 v84, 12, v68
	v_or_b32_e32 v85, 14, v68
	v_cndmask_b32_e64 v71, 0xff7fffff, v83, s4
	v_cndmask_b32_e64 v72, 0xff7fffff, v82, s5
	v_cmp_gt_i32_e64 s13, s24, v89
	v_lshlrev_b32_e32 v89, 2, v69
	v_max3_f32 v82, v93, 0xff7fffff, v92
	v_or_b32_e32 v86, 16, v68
	v_or_b32_e32 v87, 18, v68
	v_mul_f32_e32 v78, s19, v123
	v_cndmask_b32_e64 v81, 0xff7fffff, v81, s6
	v_cndmask_b32_e64 v80, 0xff7fffff, v80, s7
	v_max3_f32 v71, v82, v71, v72
	v_cmp_gt_i32_e64 s8, s24, v84
	v_cmp_gt_i32_e64 s9, s24, v85
	v_or_b32_e32 v88, 20, v68
	v_or_b32_e32 v90, 24, v68
	;; [unrolled: 1-line block ×5, first 2 shown]
	v_dual_mul_f32 v97, s19, v104 :: v_dual_mul_f32 v70, s19, v101
	v_dual_mul_f32 v99, s19, v102 :: v_dual_mul_f32 v68, s19, v100
	v_cndmask_b32_e64 v72, 0xff7fffff, v79, s8
	v_cndmask_b32_e64 v78, 0xff7fffff, v78, s9
	v_max3_f32 v71, v71, v81, v80
	v_cmp_gt_i32_e64 s10, s24, v86
	v_cmp_gt_i32_e64 s11, s24, v87
	v_dual_mul_f32 v95, s19, v106 :: v_dual_mul_f32 v98, s19, v103
	s_delay_alu instid0(VALU_DEP_4) | instskip(NEXT) | instid1(VALU_DEP_4)
	v_max3_f32 v71, v71, v72, v78
	v_cndmask_b32_e64 v68, 0xff7fffff, v68, s10
	s_delay_alu instid0(VALU_DEP_4)
	v_cndmask_b32_e64 v70, 0xff7fffff, v70, s11
	v_cmp_gt_i32_e64 s12, s24, v88
	v_cndmask_b32_e64 v78, 0xff7fffff, v98, s13
	v_cmp_gt_i32_e64 s15, s24, v90
	v_cmp_gt_i32_e64 s16, s24, v91
	v_max3_f32 v68, v71, v68, v70
	v_cndmask_b32_e64 v72, 0xff7fffff, v99, s12
	v_cmp_gt_i32_e64 s17, s24, v76
	v_cndmask_b32_e64 v70, 0xff7fffff, v97, s15
	v_cndmask_b32_e64 v71, 0xff7fffff, v96, s16
	v_cmp_gt_i32_e64 s18, s24, v77
	v_max3_f32 v68, v68, v72, v78
	v_cndmask_b32_e64 v72, 0xff7fffff, v95, s17
	s_delay_alu instid0(VALU_DEP_3) | instskip(NEXT) | instid1(VALU_DEP_3)
	v_cndmask_b32_e64 v76, 0xff7fffff, v94, s18
	v_max3_f32 v68, v68, v70, v71
	s_delay_alu instid0(VALU_DEP_1) | instskip(SKIP_3) | instid1(VALU_DEP_1)
	v_max3_f32 v68, v68, v72, v76
	ds_bpermute_b32 v69, v89, v68
	s_waitcnt lgkmcnt(0)
	v_max_f32_e32 v69, v69, v69
	v_max_f32_e32 v68, v68, v69
	s_delay_alu instid0(VALU_DEP_1) | instskip(NEXT) | instid1(VALU_DEP_1)
	v_fma_f32 v71, s19, v118, -v68
	v_mul_f32_e32 v71, 0x3fb8aa3b, v71
	v_fma_f32 v70, s19, v117, -v68
	v_fma_f32 v69, s19, v116, -v68
	;; [unrolled: 1-line block ×5, first 2 shown]
	s_delay_alu instid0(VALU_DEP_4) | instskip(SKIP_1) | instid1(VALU_DEP_3)
	v_dual_mul_f32 v70, 0x3fb8aa3b, v70 :: v_dual_mul_f32 v69, 0x3fb8aa3b, v69
	v_exp_f32_e32 v71, v71
	v_mul_f32_e32 v72, 0x3fb8aa3b, v72
	v_fma_f32 v81, s19, v105, -v68
	s_delay_alu instid0(VALU_DEP_3)
	v_exp_f32_e32 v70, v70
	v_mul_f32_e32 v77, 0x3fb8aa3b, v76
	v_exp_f32_e32 v69, v69
	v_exp_f32_e32 v72, v72
	v_mul_f32_e32 v81, 0x3fb8aa3b, v81
	v_cndmask_b32_e64 v83, 0, v71, s4
	v_fma_f32 v71, s19, v123, -v68
	s_delay_alu instid0(VALU_DEP_3) | instskip(SKIP_4) | instid1(TRANS32_DEP_3)
	v_exp_f32_e32 v81, v81
	v_cndmask_b32_e32 v76, 0, v70, vcc_lo
	v_exp_f32_e32 v77, v77
	v_cndmask_b32_e64 v80, 0, v69, s3
	v_fma_f32 v69, s19, v121, -v68
	v_cndmask_b32_e64 v85, 0, v72, s5
	v_mul_f32_e32 v71, 0x3fb8aa3b, v71
	v_fma_f32 v72, s19, v100, -v68
	s_delay_alu instid0(VALU_DEP_4) | instskip(SKIP_1) | instid1(VALU_DEP_4)
	v_dual_add_f32 v70, 0, v80 :: v_dual_mul_f32 v69, 0x3fb8aa3b, v69
	v_cmp_gt_u32_e64 s3, 16, v67
	v_exp_f32_e32 v71, v71
	s_delay_alu instid0(TRANS32_DEP_2) | instskip(SKIP_4) | instid1(VALU_DEP_3)
	v_cndmask_b32_e64 v86, 0, v77, s6
	v_fma_f32 v77, s19, v101, -v68
	v_mul_f32_e32 v78, 0x3fb8aa3b, v78
	v_add_f32_e32 v70, v70, v76
	v_exp_f32_e32 v69, v69
	v_mul_f32_e32 v77, 0x3fb8aa3b, v77
	s_delay_alu instid0(VALU_DEP_3) | instskip(NEXT) | instid1(TRANS32_DEP_3)
	v_exp_f32_e32 v78, v78
	v_cndmask_b32_e64 v88, 0, v71, s9
	v_fma_f32 v71, s19, v104, -v68
	s_delay_alu instid0(VALU_DEP_3) | instskip(NEXT) | instid1(TRANS32_DEP_3)
	v_exp_f32_e32 v77, v77
	v_cndmask_b32_e64 v87, 0, v69, s7
	s_delay_alu instid0(VALU_DEP_2)
	v_mul_f32_e32 v71, 0x3fb8aa3b, v71
	s_waitcnt_depctr 0xfff
	v_cndmask_b32_e64 v84, 0, v78, s8
	v_add_f32_e32 v70, v70, v83
	v_fma_f32 v78, s19, v103, -v68
	v_exp_f32_e32 v82, v71
	s_delay_alu instid0(VALU_DEP_2) | instskip(SKIP_1) | instid1(VALU_DEP_3)
	v_add_f32_e32 v70, v70, v85
	v_mul_f32_e32 v72, 0x3fb8aa3b, v72
	v_mul_f32_e32 v78, 0x3fb8aa3b, v78
	s_delay_alu instid0(VALU_DEP_3) | instskip(SKIP_1) | instid1(VALU_DEP_4)
	v_add_f32_e32 v69, v70, v86
	v_fma_f32 v70, s19, v102, -v68
	v_exp_f32_e32 v72, v72
	s_delay_alu instid0(VALU_DEP_3) | instskip(NEXT) | instid1(VALU_DEP_1)
	v_exp_f32_e32 v78, v78
	v_dual_add_f32 v69, v69, v87 :: v_dual_mul_f32 v70, 0x3fb8aa3b, v70
	s_delay_alu instid0(VALU_DEP_1) | instskip(NEXT) | instid1(VALU_DEP_2)
	v_add_f32_e32 v69, v69, v84
	v_exp_f32_e32 v79, v70
	s_delay_alu instid0(TRANS32_DEP_3) | instskip(NEXT) | instid1(VALU_DEP_2)
	v_cndmask_b32_e64 v70, 0, v72, s10
	v_add_f32_e32 v72, v69, v88
	v_cndmask_b32_e64 v69, 0, v77, s11
	v_fma_f32 v77, s19, v106, -v68
	s_waitcnt_depctr 0xfff
	v_cndmask_b32_e64 v71, 0, v79, s12
	v_dual_mul_f32 v77, 0x3fb8aa3b, v77 :: v_dual_add_f32 v72, v72, v70
	s_delay_alu instid0(VALU_DEP_1) | instskip(NEXT) | instid1(VALU_DEP_1)
	v_exp_f32_e32 v90, v77
	v_add_f32_e32 v79, v72, v69
	v_cndmask_b32_e64 v72, 0, v78, s13
	v_cndmask_b32_e64 v77, 0, v82, s15
	s_delay_alu instid0(VALU_DEP_3) | instskip(SKIP_1) | instid1(VALU_DEP_1)
	v_add_f32_e32 v78, v79, v71
	v_fma_f32 v79, s19, v107, -v68
	v_dual_add_f32 v82, v78, v72 :: v_dual_mul_f32 v79, 0x3fb8aa3b, v79
	v_cndmask_b32_e64 v78, 0, v81, s16
	s_delay_alu instid0(VALU_DEP_2) | instskip(NEXT) | instid1(VALU_DEP_3)
	v_add_f32_e32 v81, v82, v77
	v_exp_f32_e32 v82, v79
	v_cndmask_b32_e64 v79, 0, v90, s17
	s_delay_alu instid0(VALU_DEP_2) | instskip(NEXT) | instid1(VALU_DEP_1)
	v_add_f32_e32 v81, v81, v78
	v_add_f32_e32 v90, v81, v79
	s_waitcnt_depctr 0xfff
	v_cndmask_b32_e64 v81, 0, v82, s18
	s_delay_alu instid0(VALU_DEP_1)
	v_add_f32_e32 v82, v90, v81
	ds_bpermute_b32 v89, v89, v82
	s_and_saveexec_b32 s4, s3
	s_cbranch_execz .LBB1352_12
; %bb.11:
	v_mul_u32_u24_e32 v67, 0x44, v66
	s_delay_alu instid0(VALU_DEP_1) | instskip(SKIP_1) | instid1(VALU_DEP_1)
	v_lshl_add_u32 v67, v65, 2, v67
	s_waitcnt lgkmcnt(0)
	v_dual_add_f32 v82, v82, v89 :: v_dual_add_nc_u32 v67, 0x4000, v67
	ds_store_2addr_b32 v67, v68, v82 offset1:136
.LBB1352_12:
	s_or_b32 exec_lo, exec_lo, s4
	v_lshlrev_b32_e32 v67, 2, v65
	s_waitcnt lgkmcnt(0)
	s_barrier
	buffer_gl0_inv
	v_cmp_eq_u32_e32 vcc_lo, 1, v66
	v_add_nc_u32_e32 v82, 0x4000, v67
	v_cmp_eq_u32_e64 s4, 2, v66
	v_cmp_eq_u32_e64 s6, 7, v66
	ds_load_2addr_b32 v[89:90], v82 offset1:17
	ds_load_2addr_b32 v[91:92], v82 offset0:34 offset1:51
	ds_load_2addr_b32 v[93:94], v82 offset0:68 offset1:85
	;; [unrolled: 1-line block ×4, first 2 shown]
	s_waitcnt lgkmcnt(4)
	v_max3_f32 v67, v89, 0xff7fffff, v90
	s_waitcnt lgkmcnt(3)
	s_delay_alu instid0(VALU_DEP_1) | instskip(SKIP_1) | instid1(VALU_DEP_1)
	v_max3_f32 v67, v67, v91, v92
	s_waitcnt lgkmcnt(2)
	v_max3_f32 v67, v67, v93, v94
	s_waitcnt lgkmcnt(1)
	s_delay_alu instid0(VALU_DEP_1) | instskip(NEXT) | instid1(VALU_DEP_1)
	v_max3_f32 v67, v67, v95, v96
	v_sub_f32_e32 v93, v93, v67
	s_delay_alu instid0(VALU_DEP_1) | instskip(NEXT) | instid1(VALU_DEP_1)
	v_dual_sub_f32 v68, v89, v67 :: v_dual_mul_f32 v103, 0x3fb8aa3b, v93
	v_mul_f32_e32 v68, 0x3fb8aa3b, v68
	s_delay_alu instid0(VALU_DEP_1)
	v_exp_f32_e32 v100, v68
	v_sub_f32_e32 v68, v92, v67
	v_sub_f32_e32 v99, v90, v67
	ds_load_2addr_b32 v[89:90], v82 offset0:170 offset1:187
	v_dual_mul_f32 v102, 0x3fb8aa3b, v68 :: v_dual_mul_f32 v99, 0x3fb8aa3b, v99
	s_waitcnt lgkmcnt(1)
	v_fma_f32 v68, v100, v97, 0
	s_delay_alu instid0(VALU_DEP_2) | instskip(NEXT) | instid1(VALU_DEP_2)
	v_exp_f32_e32 v102, v102
	v_exp_f32_e32 v99, v99
	s_waitcnt_depctr 0xfff
	v_fmac_f32_e32 v68, v99, v98
	v_sub_f32_e32 v91, v91, v67
	s_delay_alu instid0(VALU_DEP_1)
	v_mul_f32_e32 v101, 0x3fb8aa3b, v91
	ds_load_2addr_b32 v[91:92], v82 offset0:204 offset1:221
	v_sub_f32_e32 v97, v94, v67
	ds_load_2addr_b32 v[93:94], v82 offset0:238 offset1:255
	s_waitcnt lgkmcnt(0)
	v_exp_f32_e32 v101, v101
	s_barrier
	buffer_gl0_inv
	v_dual_fmac_f32 v68, v101, v89 :: v_dual_sub_f32 v89, v96, v67
	v_dual_sub_f32 v82, v95, v67 :: v_dual_mul_f32 v95, 0x3fb8aa3b, v97
	v_exp_f32_e32 v97, v103
	s_delay_alu instid0(VALU_DEP_2) | instskip(NEXT) | instid1(VALU_DEP_2)
	v_dual_fmac_f32 v68, v102, v90 :: v_dual_mul_f32 v89, 0x3fb8aa3b, v89
	v_mul_f32_e32 v82, 0x3fb8aa3b, v82
	s_delay_alu instid0(VALU_DEP_3) | instskip(NEXT) | instid1(VALU_DEP_2)
	v_exp_f32_e32 v95, v95
	v_exp_f32_e32 v89, v89
	s_delay_alu instid0(VALU_DEP_1)
	v_exp_f32_e32 v82, v82
	v_fmac_f32_e32 v68, v97, v91
	s_delay_alu instid0(TRANS32_DEP_3) | instid1(VALU_DEP_1)
	v_fmac_f32_e32 v68, v95, v92
	s_waitcnt_depctr 0xfff
	v_fmac_f32_e32 v68, v82, v93
	s_delay_alu instid0(VALU_DEP_1) | instskip(NEXT) | instid1(VALU_DEP_1)
	v_fmac_f32_e32 v68, v89, v94
	v_add_f32_e32 v90, 0x358637bd, v68
	s_delay_alu instid0(VALU_DEP_1) | instskip(NEXT) | instid1(VALU_DEP_1)
	v_div_scale_f32 v91, null, v90, v90, 1.0
	v_rcp_f32_e32 v92, v91
	s_waitcnt_depctr 0xfff
	v_fma_f32 v93, -v91, v92, 1.0
	s_delay_alu instid0(VALU_DEP_1) | instskip(SKIP_1) | instid1(VALU_DEP_2)
	v_dual_fmac_f32 v92, v93, v92 :: v_dual_cndmask_b32 v93, v100, v99
	v_cmp_eq_u32_e32 vcc_lo, 3, v66
	v_cndmask_b32_e64 v93, v93, v101, s4
	v_cmp_eq_u32_e64 s4, 4, v66
	s_delay_alu instid0(VALU_DEP_2) | instskip(SKIP_1) | instid1(VALU_DEP_2)
	v_cndmask_b32_e32 v93, v93, v102, vcc_lo
	v_cmp_eq_u32_e32 vcc_lo, 5, v66
	v_cndmask_b32_e64 v93, v93, v97, s4
	v_cmp_eq_u32_e64 s4, 6, v66
	s_delay_alu instid0(VALU_DEP_2) | instskip(SKIP_1) | instid1(VALU_DEP_1)
	v_cndmask_b32_e32 v93, v93, v95, vcc_lo
	v_div_scale_f32 v94, s5, 1.0, v90, 1.0
	s_mov_b32 vcc_lo, s5
	s_delay_alu instid0(VALU_DEP_2) | instskip(NEXT) | instid1(VALU_DEP_2)
	v_cndmask_b32_e64 v82, v93, v82, s4
	v_mul_f32_e32 v96, v94, v92
	s_mov_b32 s4, exec_lo
	s_delay_alu instid0(VALU_DEP_2) | instskip(NEXT) | instid1(VALU_DEP_2)
	v_cndmask_b32_e64 v82, v82, v89, s6
	v_fma_f32 v98, -v91, v96, v94
	s_delay_alu instid0(VALU_DEP_1) | instskip(NEXT) | instid1(VALU_DEP_1)
	v_fmac_f32_e32 v96, v98, v92
	v_fma_f32 v91, -v91, v96, v94
	s_delay_alu instid0(VALU_DEP_1) | instskip(NEXT) | instid1(VALU_DEP_1)
	v_div_fmas_f32 v91, v91, v92, v96
	v_div_fixup_f32 v90, v91, v90, 1.0
	s_delay_alu instid0(VALU_DEP_1) | instskip(NEXT) | instid1(VALU_DEP_1)
	v_mul_f32_e32 v82, v82, v90
	v_mul_f32_e32 v87, v82, v87
	;; [unrolled: 1-line block ×7, first 2 shown]
	v_dual_mul_f32 v86, v82, v83 :: v_dual_and_b32 v91, 0x7f800000, v90
	v_mul_f32_e32 v85, v82, v76
                                        ; implicit-def: $vgpr76
	s_delay_alu instid0(VALU_DEP_2)
	v_cmpx_ne_u32_e32 0x7f800000, v91
	s_xor_b32 s4, exec_lo, s4
; %bb.13:
	v_bfe_u32 v76, v90, 16, 1
	s_delay_alu instid0(VALU_DEP_1)
	v_add3_u32 v76, v90, v76, 0x7fff
                                        ; implicit-def: $vgpr90
; %bb.14:
	s_and_not1_saveexec_b32 s4, s4
; %bb.15:
	v_and_b32_e32 v76, 0xffff, v90
	v_or_b32_e32 v83, 0x10000, v90
	s_delay_alu instid0(VALU_DEP_2) | instskip(NEXT) | instid1(VALU_DEP_2)
	v_cmp_eq_u32_e32 vcc_lo, 0, v76
	v_cndmask_b32_e32 v76, v83, v90, vcc_lo
; %bb.16:
	s_or_b32 exec_lo, exec_lo, s4
	v_and_b32_e32 v83, 0x7f800000, v85
	s_delay_alu instid0(VALU_DEP_1) | instskip(SKIP_1) | instid1(SALU_CYCLE_1)
	v_cmp_ne_u32_e32 vcc_lo, 0x7f800000, v83
                                        ; implicit-def: $vgpr83
	s_and_saveexec_b32 s4, vcc_lo
	s_xor_b32 s4, exec_lo, s4
; %bb.17:
	v_bfe_u32 v83, v85, 16, 1
	s_delay_alu instid0(VALU_DEP_1)
	v_add3_u32 v83, v85, v83, 0x7fff
                                        ; implicit-def: $vgpr85
; %bb.18:
	s_and_not1_saveexec_b32 s4, s4
; %bb.19:
	v_and_b32_e32 v83, 0xffff, v85
	v_or_b32_e32 v90, 0x10000, v85
	s_delay_alu instid0(VALU_DEP_2) | instskip(NEXT) | instid1(VALU_DEP_2)
	v_cmp_eq_u32_e32 vcc_lo, 0, v83
	v_cndmask_b32_e32 v83, v90, v85, vcc_lo
; %bb.20:
	s_or_b32 exec_lo, exec_lo, s4
	v_and_b32_e32 v85, 0x7f800000, v86
	s_delay_alu instid0(VALU_DEP_1) | instskip(SKIP_1) | instid1(SALU_CYCLE_1)
	v_cmp_ne_u32_e32 vcc_lo, 0x7f800000, v85
                                        ; implicit-def: $vgpr85
	s_and_saveexec_b32 s4, vcc_lo
	s_xor_b32 s4, exec_lo, s4
; %bb.21:
	v_bfe_u32 v85, v86, 16, 1
	s_delay_alu instid0(VALU_DEP_1)
	v_add3_u32 v85, v86, v85, 0x7fff
                                        ; implicit-def: $vgpr86
; %bb.22:
	s_and_not1_saveexec_b32 s4, s4
; %bb.23:
	v_and_b32_e32 v85, 0xffff, v86
	v_or_b32_e32 v90, 0x10000, v86
	s_delay_alu instid0(VALU_DEP_2) | instskip(NEXT) | instid1(VALU_DEP_2)
	v_cmp_eq_u32_e32 vcc_lo, 0, v85
	v_cndmask_b32_e32 v85, v90, v86, vcc_lo
; %bb.24:
	s_or_b32 exec_lo, exec_lo, s4
	v_and_b32_e32 v86, 0x7f800000, v89
	s_delay_alu instid0(VALU_DEP_1) | instskip(SKIP_1) | instid1(SALU_CYCLE_1)
	v_cmp_ne_u32_e32 vcc_lo, 0x7f800000, v86
                                        ; implicit-def: $vgpr86
	s_and_saveexec_b32 s4, vcc_lo
	s_xor_b32 s4, exec_lo, s4
; %bb.25:
	v_bfe_u32 v86, v89, 16, 1
	s_delay_alu instid0(VALU_DEP_1)
	v_add3_u32 v86, v89, v86, 0x7fff
                                        ; implicit-def: $vgpr89
; %bb.26:
	s_and_not1_saveexec_b32 s4, s4
; %bb.27:
	v_and_b32_e32 v86, 0xffff, v89
	v_or_b32_e32 v90, 0x10000, v89
	s_delay_alu instid0(VALU_DEP_2) | instskip(NEXT) | instid1(VALU_DEP_2)
	v_cmp_eq_u32_e32 vcc_lo, 0, v86
	v_cndmask_b32_e32 v86, v90, v89, vcc_lo
; %bb.28:
	s_or_b32 exec_lo, exec_lo, s4
	v_and_b32_e32 v89, 0x7f800000, v88
	s_delay_alu instid0(VALU_DEP_1) | instskip(SKIP_1) | instid1(SALU_CYCLE_1)
	v_cmp_ne_u32_e32 vcc_lo, 0x7f800000, v89
                                        ; implicit-def: $vgpr89
	s_and_saveexec_b32 s4, vcc_lo
	s_xor_b32 s4, exec_lo, s4
; %bb.29:
	v_bfe_u32 v89, v88, 16, 1
	s_delay_alu instid0(VALU_DEP_1)
	v_add3_u32 v89, v88, v89, 0x7fff
                                        ; implicit-def: $vgpr88
; %bb.30:
	s_and_not1_saveexec_b32 s4, s4
; %bb.31:
	v_and_b32_e32 v89, 0xffff, v88
	v_or_b32_e32 v90, 0x10000, v88
	s_delay_alu instid0(VALU_DEP_2) | instskip(NEXT) | instid1(VALU_DEP_2)
	v_cmp_eq_u32_e32 vcc_lo, 0, v89
	v_cndmask_b32_e32 v89, v90, v88, vcc_lo
; %bb.32:
	s_or_b32 exec_lo, exec_lo, s4
	v_and_b32_e32 v88, 0x7f800000, v87
	s_delay_alu instid0(VALU_DEP_1) | instskip(SKIP_1) | instid1(SALU_CYCLE_1)
	v_cmp_ne_u32_e32 vcc_lo, 0x7f800000, v88
                                        ; implicit-def: $vgpr88
	s_and_saveexec_b32 s4, vcc_lo
	s_xor_b32 s4, exec_lo, s4
; %bb.33:
	v_bfe_u32 v88, v87, 16, 1
	s_delay_alu instid0(VALU_DEP_1)
	v_add3_u32 v88, v87, v88, 0x7fff
                                        ; implicit-def: $vgpr87
; %bb.34:
	s_and_not1_saveexec_b32 s4, s4
; %bb.35:
	v_and_b32_e32 v88, 0xffff, v87
	v_or_b32_e32 v90, 0x10000, v87
	s_delay_alu instid0(VALU_DEP_2) | instskip(NEXT) | instid1(VALU_DEP_2)
	v_cmp_eq_u32_e32 vcc_lo, 0, v88
	v_cndmask_b32_e32 v88, v90, v87, vcc_lo
; %bb.36:
	s_or_b32 exec_lo, exec_lo, s4
	v_and_b32_e32 v87, 0x7f800000, v84
	s_delay_alu instid0(VALU_DEP_1) | instskip(SKIP_1) | instid1(SALU_CYCLE_1)
	v_cmp_ne_u32_e32 vcc_lo, 0x7f800000, v87
                                        ; implicit-def: $vgpr87
	s_and_saveexec_b32 s4, vcc_lo
	s_xor_b32 s4, exec_lo, s4
; %bb.37:
	v_bfe_u32 v87, v84, 16, 1
	s_delay_alu instid0(VALU_DEP_1)
	v_add3_u32 v87, v84, v87, 0x7fff
                                        ; implicit-def: $vgpr84
; %bb.38:
	s_and_not1_saveexec_b32 s4, s4
; %bb.39:
	v_and_b32_e32 v87, 0xffff, v84
	v_or_b32_e32 v90, 0x10000, v84
	s_delay_alu instid0(VALU_DEP_2) | instskip(NEXT) | instid1(VALU_DEP_2)
	v_cmp_eq_u32_e32 vcc_lo, 0, v87
	v_cndmask_b32_e32 v87, v90, v84, vcc_lo
; %bb.40:
	s_or_b32 exec_lo, exec_lo, s4
	v_and_b32_e32 v84, 0x7f800000, v80
	s_delay_alu instid0(VALU_DEP_1) | instskip(SKIP_1) | instid1(SALU_CYCLE_1)
	v_cmp_ne_u32_e32 vcc_lo, 0x7f800000, v84
                                        ; implicit-def: $vgpr84
	s_and_saveexec_b32 s4, vcc_lo
	s_xor_b32 s4, exec_lo, s4
; %bb.41:
	v_bfe_u32 v84, v80, 16, 1
	s_delay_alu instid0(VALU_DEP_1)
	v_add3_u32 v84, v80, v84, 0x7fff
                                        ; implicit-def: $vgpr80
; %bb.42:
	s_and_not1_saveexec_b32 s4, s4
; %bb.43:
	v_and_b32_e32 v84, 0xffff, v80
	v_or_b32_e32 v90, 0x10000, v80
	s_delay_alu instid0(VALU_DEP_2) | instskip(NEXT) | instid1(VALU_DEP_2)
	v_cmp_eq_u32_e32 vcc_lo, 0, v84
	v_cndmask_b32_e32 v84, v90, v80, vcc_lo
; %bb.44:
	s_or_b32 exec_lo, exec_lo, s4
	s_load_b64 s[36:37], s[0:1], 0x94
	v_lshlrev_b32_e32 v91, 4, v74
	s_delay_alu instid0(VALU_DEP_2)
	v_perm_b32 v90, v84, v87, 0x7060302
	v_dual_mul_f32 v79, v82, v79 :: v_dual_lshlrev_b32 v80, 6, v65
	v_dual_mul_f32 v77, v82, v77 :: v_dual_lshlrev_b32 v92, 11, v66
	v_mul_f32_e32 v84, v82, v70
	v_perm_b32 v89, v88, v89, 0x7060302
	v_perm_b32 v88, v86, v85, 0x7060302
	;; [unrolled: 1-line block ×3, first 2 shown]
	v_mul_f32_e32 v70, v82, v81
	v_or3_b32 v76, v91, v92, v80
	v_dual_mul_f32 v78, v82, v78 :: v_dual_and_b32 v85, 0x7f800000, v84
	v_mul_f32_e32 v83, v82, v72
	v_mul_f32_e32 v81, v82, v71
	v_mul_f32_e32 v72, v82, v69
	s_mov_b32 s4, exec_lo
	ds_store_b128 v76, v[87:90]
                                        ; implicit-def: $vgpr69
	v_cmpx_ne_u32_e32 0x7f800000, v85
	s_xor_b32 s4, exec_lo, s4
; %bb.45:
	v_bfe_u32 v69, v84, 16, 1
	s_delay_alu instid0(VALU_DEP_1)
	v_add3_u32 v69, v84, v69, 0x7fff
                                        ; implicit-def: $vgpr84
; %bb.46:
	s_and_not1_saveexec_b32 s4, s4
; %bb.47:
	v_and_b32_e32 v69, 0xffff, v84
	v_or_b32_e32 v71, 0x10000, v84
	s_delay_alu instid0(VALU_DEP_2) | instskip(NEXT) | instid1(VALU_DEP_2)
	v_cmp_eq_u32_e32 vcc_lo, 0, v69
	v_cndmask_b32_e32 v69, v71, v84, vcc_lo
; %bb.48:
	s_or_b32 exec_lo, exec_lo, s4
	v_and_b32_e32 v71, 0x7f800000, v72
	s_delay_alu instid0(VALU_DEP_1) | instskip(SKIP_1) | instid1(SALU_CYCLE_1)
	v_cmp_ne_u32_e32 vcc_lo, 0x7f800000, v71
                                        ; implicit-def: $vgpr71
	s_and_saveexec_b32 s4, vcc_lo
	s_xor_b32 s4, exec_lo, s4
; %bb.49:
	v_bfe_u32 v71, v72, 16, 1
	s_delay_alu instid0(VALU_DEP_1)
	v_add3_u32 v71, v72, v71, 0x7fff
                                        ; implicit-def: $vgpr72
; %bb.50:
	s_and_not1_saveexec_b32 s4, s4
; %bb.51:
	v_and_b32_e32 v71, 0xffff, v72
	v_or_b32_e32 v82, 0x10000, v72
	s_delay_alu instid0(VALU_DEP_2) | instskip(NEXT) | instid1(VALU_DEP_2)
	v_cmp_eq_u32_e32 vcc_lo, 0, v71
	v_cndmask_b32_e32 v71, v82, v72, vcc_lo
; %bb.52:
	s_or_b32 exec_lo, exec_lo, s4
	v_and_b32_e32 v72, 0x7f800000, v81
	s_delay_alu instid0(VALU_DEP_1) | instskip(SKIP_1) | instid1(SALU_CYCLE_1)
	v_cmp_ne_u32_e32 vcc_lo, 0x7f800000, v72
                                        ; implicit-def: $vgpr72
	s_and_saveexec_b32 s4, vcc_lo
	s_xor_b32 s4, exec_lo, s4
; %bb.53:
	v_bfe_u32 v72, v81, 16, 1
	s_delay_alu instid0(VALU_DEP_1)
	v_add3_u32 v72, v81, v72, 0x7fff
                                        ; implicit-def: $vgpr81
; %bb.54:
	s_and_not1_saveexec_b32 s4, s4
; %bb.55:
	v_and_b32_e32 v72, 0xffff, v81
	v_or_b32_e32 v82, 0x10000, v81
	s_delay_alu instid0(VALU_DEP_2) | instskip(NEXT) | instid1(VALU_DEP_2)
	v_cmp_eq_u32_e32 vcc_lo, 0, v72
	v_cndmask_b32_e32 v72, v82, v81, vcc_lo
; %bb.56:
	s_or_b32 exec_lo, exec_lo, s4
	v_and_b32_e32 v81, 0x7f800000, v83
	s_delay_alu instid0(VALU_DEP_1) | instskip(SKIP_1) | instid1(SALU_CYCLE_1)
	v_cmp_ne_u32_e32 vcc_lo, 0x7f800000, v81
                                        ; implicit-def: $vgpr81
	s_and_saveexec_b32 s4, vcc_lo
	s_xor_b32 s4, exec_lo, s4
; %bb.57:
	v_bfe_u32 v81, v83, 16, 1
	s_delay_alu instid0(VALU_DEP_1)
	v_add3_u32 v81, v83, v81, 0x7fff
                                        ; implicit-def: $vgpr83
; %bb.58:
	s_and_not1_saveexec_b32 s4, s4
; %bb.59:
	v_and_b32_e32 v81, 0xffff, v83
	v_or_b32_e32 v82, 0x10000, v83
	s_delay_alu instid0(VALU_DEP_2) | instskip(NEXT) | instid1(VALU_DEP_2)
	v_cmp_eq_u32_e32 vcc_lo, 0, v81
	v_cndmask_b32_e32 v81, v82, v83, vcc_lo
; %bb.60:
	s_or_b32 exec_lo, exec_lo, s4
	v_and_b32_e32 v82, 0x7f800000, v77
	s_delay_alu instid0(VALU_DEP_1) | instskip(SKIP_1) | instid1(SALU_CYCLE_1)
	v_cmp_ne_u32_e32 vcc_lo, 0x7f800000, v82
                                        ; implicit-def: $vgpr82
	s_and_saveexec_b32 s4, vcc_lo
	s_xor_b32 s4, exec_lo, s4
; %bb.61:
	v_bfe_u32 v82, v77, 16, 1
	s_delay_alu instid0(VALU_DEP_1)
	v_add3_u32 v82, v77, v82, 0x7fff
                                        ; implicit-def: $vgpr77
; %bb.62:
	s_and_not1_saveexec_b32 s4, s4
; %bb.63:
	v_and_b32_e32 v82, 0xffff, v77
	v_or_b32_e32 v83, 0x10000, v77
	s_delay_alu instid0(VALU_DEP_2) | instskip(NEXT) | instid1(VALU_DEP_2)
	v_cmp_eq_u32_e32 vcc_lo, 0, v82
	v_cndmask_b32_e32 v82, v83, v77, vcc_lo
; %bb.64:
	s_or_b32 exec_lo, exec_lo, s4
	v_and_b32_e32 v77, 0x7f800000, v78
	s_delay_alu instid0(VALU_DEP_1) | instskip(SKIP_1) | instid1(SALU_CYCLE_1)
	v_cmp_ne_u32_e32 vcc_lo, 0x7f800000, v77
                                        ; implicit-def: $vgpr77
	s_and_saveexec_b32 s4, vcc_lo
	s_xor_b32 s4, exec_lo, s4
; %bb.65:
	v_bfe_u32 v77, v78, 16, 1
	s_delay_alu instid0(VALU_DEP_1)
	v_add3_u32 v77, v78, v77, 0x7fff
                                        ; implicit-def: $vgpr78
; %bb.66:
	s_and_not1_saveexec_b32 s4, s4
; %bb.67:
	v_and_b32_e32 v77, 0xffff, v78
	v_or_b32_e32 v83, 0x10000, v78
	s_delay_alu instid0(VALU_DEP_2) | instskip(NEXT) | instid1(VALU_DEP_2)
	v_cmp_eq_u32_e32 vcc_lo, 0, v77
	v_cndmask_b32_e32 v77, v83, v78, vcc_lo
; %bb.68:
	s_or_b32 exec_lo, exec_lo, s4
	v_and_b32_e32 v78, 0x7f800000, v79
	s_delay_alu instid0(VALU_DEP_1) | instskip(SKIP_1) | instid1(SALU_CYCLE_1)
	v_cmp_ne_u32_e32 vcc_lo, 0x7f800000, v78
                                        ; implicit-def: $vgpr78
	s_and_saveexec_b32 s4, vcc_lo
	s_xor_b32 s4, exec_lo, s4
; %bb.69:
	v_bfe_u32 v78, v79, 16, 1
	s_delay_alu instid0(VALU_DEP_1)
	v_add3_u32 v78, v79, v78, 0x7fff
                                        ; implicit-def: $vgpr79
; %bb.70:
	s_and_not1_saveexec_b32 s4, s4
; %bb.71:
	v_and_b32_e32 v78, 0xffff, v79
	v_or_b32_e32 v83, 0x10000, v79
	s_delay_alu instid0(VALU_DEP_2) | instskip(NEXT) | instid1(VALU_DEP_2)
	v_cmp_eq_u32_e32 vcc_lo, 0, v78
	v_cndmask_b32_e32 v78, v83, v79, vcc_lo
; %bb.72:
	s_or_b32 exec_lo, exec_lo, s4
	v_and_b32_e32 v79, 0x7f800000, v70
	s_delay_alu instid0(VALU_DEP_1) | instskip(SKIP_1) | instid1(SALU_CYCLE_1)
	v_cmp_ne_u32_e32 vcc_lo, 0x7f800000, v79
                                        ; implicit-def: $vgpr79
	s_and_saveexec_b32 s4, vcc_lo
	s_xor_b32 s4, exec_lo, s4
; %bb.73:
	v_bfe_u32 v79, v70, 16, 1
	s_delay_alu instid0(VALU_DEP_1)
	v_add3_u32 v79, v70, v79, 0x7fff
                                        ; implicit-def: $vgpr70
; %bb.74:
	s_and_not1_saveexec_b32 s4, s4
; %bb.75:
	v_and_b32_e32 v79, 0xffff, v70
	v_or_b32_e32 v83, 0x10000, v70
	s_delay_alu instid0(VALU_DEP_2) | instskip(NEXT) | instid1(VALU_DEP_2)
	v_cmp_eq_u32_e32 vcc_lo, 0, v79
	v_cndmask_b32_e32 v79, v83, v70, vcc_lo
; %bb.76:
	s_or_b32 exec_lo, exec_lo, s4
	s_delay_alu instid0(VALU_DEP_1)
	v_perm_b32 v86, v79, v78, 0x7060302
	v_perm_b32 v85, v77, v82, 0x7060302
	;; [unrolled: 1-line block ×4, first 2 shown]
	v_lshl_or_b32 v82, v66, 11, v80
	ds_store_b128 v76, v[83:86] offset:1024
	s_waitcnt lgkmcnt(0)
	s_barrier
	buffer_gl0_inv
	ds_load_b128 v[69:72], v82
	ds_load_b128 v[83:86], v82 offset:16
	s_waitcnt lgkmcnt(1)
	v_lshrrev_b32_e32 v66, 16, v69
	s_waitcnt lgkmcnt(0)
	v_lshrrev_b32_e32 v91, 16, v83
	v_lshlrev_b32_e32 v78, 2, v74
	v_lshrrev_b32_e32 v95, 16, v70
	v_lshrrev_b32_e32 v98, 16, v84
	;; [unrolled: 1-line block ×4, first 2 shown]
	v_cmp_eq_u32_e32 vcc_lo, 1, v78
	v_lshrrev_b32_e32 v97, 16, v72
	v_lshrrev_b32_e32 v100, 16, v86
	v_cndmask_b32_e32 v87, v83, v91, vcc_lo
	v_or_b32_e32 v79, 1, v78
	v_cndmask_b32_e32 v81, v69, v66, vcc_lo
	v_cmp_eq_u32_e64 s5, 2, v78
	v_cmp_eq_u32_e64 s8, 3, v78
	;; [unrolled: 1-line block ×5, first 2 shown]
	v_cndmask_b32_e64 v81, v81, v70, s5
	v_cndmask_b32_e64 v87, v87, v84, s5
	v_cmp_eq_u32_e64 s9, 3, v79
	v_cndmask_b32_e64 v88, v69, v66, s4
	v_or_b32_e32 v77, 2, v78
	v_cndmask_b32_e64 v81, v81, v95, s8
	v_cndmask_b32_e64 v87, v87, v98, s8
	;; [unrolled: 1-line block ×4, first 2 shown]
	v_cmp_eq_u32_e64 s11, 5, v78
	v_cndmask_b32_e64 v81, v81, v71, s10
	v_cndmask_b32_e64 v87, v87, v85, s10
	v_cmp_eq_u32_e64 s12, 4, v79
	v_cndmask_b32_e64 v88, v88, v95, s9
	v_cmp_eq_u32_e64 s6, 1, v77
	v_cndmask_b32_e64 v89, v89, v84, s7
	v_cndmask_b32_e64 v81, v81, v96, s11
	v_cmp_eq_u32_e64 s13, 6, v78
	v_cndmask_b32_e64 v88, v88, v71, s12
	;; [unrolled: 3-line block ×3, first 2 shown]
	v_cndmask_b32_e64 v89, v89, v98, s9
	v_cndmask_b32_e64 v81, v81, v72, s13
	v_cmp_eq_u32_e64 s16, 7, v78
	v_cndmask_b32_e64 v88, v88, v96, s15
	v_cndmask_b32_e64 v87, v87, v86, s13
	v_cmp_eq_u32_e64 s17, 6, v79
	v_cmp_eq_u32_e64 s18, 2, v77
	v_cndmask_b32_e64 v89, v89, v85, s12
	v_cndmask_b32_e64 v101, v81, v97, s16
	;; [unrolled: 1-line block ×6, first 2 shown]
	v_cmp_eq_u32_e64 s19, 7, v79
	v_cmp_eq_u32_e64 s20, 3, v77
	;; [unrolled: 1-line block ×4, first 2 shown]
	v_cndmask_b32_e64 v87, v87, v84, s18
	v_cndmask_b32_e64 v103, v88, v97, s19
	;; [unrolled: 1-line block ×4, first 2 shown]
	v_or_b32_e32 v81, 3, v78
	v_cndmask_b32_e64 v93, v87, v98, s20
	v_cmp_eq_u32_e64 s25, 6, v77
	v_cndmask_b32_e64 v104, v88, v86, s17
	v_cndmask_b32_e64 v92, v89, v71, s21
	v_cmp_eq_u32_e64 s22, 1, v81
	ds_load_b128 v[87:90], v82 offset:1024
	v_cmp_eq_u32_e64 s24, 2, v81
	v_cmp_eq_u32_e64 s26, 3, v81
	v_cndmask_b32_e64 v105, v92, v96, s23
	v_cndmask_b32_e64 v66, v69, v66, s22
	;; [unrolled: 1-line block ×4, first 2 shown]
	ds_load_b128 v[91:94], v82 offset:1040
	v_cmp_eq_u32_e64 s27, 4, v81
	v_cndmask_b32_e64 v66, v66, v70, s24
	v_cmp_eq_u32_e64 s28, 7, v77
	v_cndmask_b32_e64 v70, v83, v84, s24
	v_cndmask_b32_e64 v84, v105, v72, s25
	v_cmp_eq_u32_e64 s29, 5, v81
	v_cndmask_b32_e64 v66, v66, v95, s26
	v_cmp_eq_u32_e64 s30, 6, v81
	v_cndmask_b32_e64 v70, v70, v98, s26
	v_cndmask_b32_e64 v69, v69, v99, s23
	;; [unrolled: 1-line block ×4, first 2 shown]
	s_waitcnt lgkmcnt(1)
	v_lshrrev_b32_e32 v95, 16, v87
	v_cndmask_b32_e64 v70, v70, v85, s27
	v_cndmask_b32_e64 v71, v84, v97, s28
	;; [unrolled: 1-line block ×4, first 2 shown]
	v_cndmask_b32_e32 v84, v87, v95, vcc_lo
	v_cndmask_b32_e64 v70, v70, v99, s29
	s_waitcnt lgkmcnt(0)
	v_lshrrev_b32_e32 v85, 16, v91
	v_lshrrev_b32_e32 v96, 16, v88
	v_cndmask_b32_e64 v98, v87, v95, s4
	v_cndmask_b32_e64 v84, v84, v88, s5
	;; [unrolled: 1-line block ×3, first 2 shown]
	v_cndmask_b32_e32 v99, v91, v85, vcc_lo
	v_cmp_eq_u32_e32 vcc_lo, 7, v81
	v_cndmask_b32_e64 v66, v66, v72, s30
	v_cndmask_b32_e64 v72, v84, v96, s8
	;; [unrolled: 1-line block ×3, first 2 shown]
	v_lshrrev_b32_e32 v98, 16, v92
	v_cndmask_b32_e32 v70, v70, v100, vcc_lo
	v_cndmask_b32_e64 v86, v99, v92, s5
	v_cndmask_b32_e64 v69, v69, v100, s28
	v_lshrrev_b32_e32 v100, 16, v93
	v_cndmask_b32_e64 v72, v72, v89, s10
	v_lshrrev_b32_e32 v99, 16, v89
	v_cndmask_b32_e64 v86, v86, v98, s8
	v_perm_b32 v71, v69, v71, 0x5040100
	v_cndmask_b32_e64 v84, v84, v96, s9
	s_delay_alu instid0(VALU_DEP_3) | instskip(NEXT) | instid1(VALU_DEP_2)
	v_cndmask_b32_e64 v86, v86, v93, s10
	v_cndmask_b32_e64 v84, v84, v89, s12
	s_delay_alu instid0(VALU_DEP_2) | instskip(NEXT) | instid1(VALU_DEP_1)
	v_cndmask_b32_e64 v86, v86, v100, s11
	v_cndmask_b32_e64 v69, v86, v94, s13
	;; [unrolled: 1-line block ×5, first 2 shown]
	s_delay_alu instid0(VALU_DEP_3) | instskip(NEXT) | instid1(VALU_DEP_3)
	v_cndmask_b32_e64 v86, v86, v88, s18
	v_cndmask_b32_e64 v87, v87, v88, s24
	s_delay_alu instid0(VALU_DEP_3) | instskip(NEXT) | instid1(VALU_DEP_3)
	v_cndmask_b32_e64 v88, v95, v92, s24
	v_cndmask_b32_e64 v86, v86, v96, s20
	;; [unrolled: 3-line block ×7, first 2 shown]
	s_delay_alu instid0(VALU_DEP_3) | instskip(SKIP_2) | instid1(VALU_DEP_2)
	v_cndmask_b32_e64 v88, v88, v94, s30
	v_cndmask_b32_e32 v66, v66, v97, vcc_lo
	v_cndmask_b32_e64 v97, v72, v99, s11
	v_perm_b32 v72, v70, v66, 0x5040100
	v_perm_b32 v70, v83, v103, 0x5040100
	v_cndmask_b32_e64 v103, v91, v85, s6
	v_cndmask_b32_e64 v85, v91, v85, s4
	;; [unrolled: 1-line block ×4, first 2 shown]
	v_lshrrev_b32_e32 v97, 16, v90
	v_cndmask_b32_e64 v91, v103, v92, s18
	v_cndmask_b32_e64 v85, v85, v92, s7
	;; [unrolled: 1-line block ×3, first 2 shown]
	s_mov_b32 s4, exec_lo
	v_cndmask_b32_e64 v83, v84, v97, s16
	v_cndmask_b32_e64 v91, v91, v98, s20
	;; [unrolled: 1-line block ×3, first 2 shown]
	v_lshrrev_b32_e32 v84, 16, v94
	v_cndmask_b32_e64 v66, v66, v97, s19
	v_cndmask_b32_e64 v90, v86, v97, s28
	;; [unrolled: 1-line block ×4, first 2 shown]
	v_dual_cndmask_b32 v86, v87, v97 :: v_dual_cndmask_b32 v87, v88, v84
	v_cndmask_b32_e64 v91, v69, v84, s16
	s_delay_alu instid0(VALU_DEP_4) | instskip(NEXT) | instid1(VALU_DEP_4)
	v_cndmask_b32_e64 v89, v89, v100, s23
	v_cndmask_b32_e64 v85, v85, v100, s15
	v_perm_b32 v69, v102, v101, 0x5040100
	v_perm_b32 v86, v87, v86, 0x5040100
	;; [unrolled: 1-line block ×3, first 2 shown]
	v_cndmask_b32_e64 v89, v89, v94, s25
	v_cndmask_b32_e64 v85, v85, v94, s17
	s_mul_i32 s9, s37, 7
	s_delay_alu instid0(VALU_DEP_2) | instskip(NEXT) | instid1(VALU_DEP_2)
	v_cndmask_b32_e64 v88, v89, v84, s28
	v_cndmask_b32_e64 v89, v85, v84, s19
	s_delay_alu instid0(VALU_DEP_2) | instskip(NEXT) | instid1(VALU_DEP_2)
	v_perm_b32 v85, v88, v90, 0x5040100
	v_perm_b32 v84, v89, v66, 0x5040100
	ds_store_b128 v76, v[69:72]
	ds_store_b128 v76, v[83:86] offset:1024
	v_cmpx_gt_u32_e32 7, v0
	s_cbranch_execz .LBB1352_78
; %bb.77:
	s_mul_i32 s5, s9, s34
	s_load_b128 s[16:19], s[0:1], 0x58
	v_add3_u32 v69, s5, s31, v65
	s_delay_alu instid0(VALU_DEP_1) | instskip(NEXT) | instid1(VALU_DEP_1)
	v_mad_u64_u32 v[65:66], null, v69, s36, s[14:15]
	v_ashrrev_i32_e32 v66, 31, v65
	s_delay_alu instid0(VALU_DEP_1) | instskip(SKIP_1) | instid1(VALU_DEP_1)
	v_lshlrev_b64 v[65:66], 2, v[65:66]
	s_waitcnt lgkmcnt(0)
	v_add_co_u32 v69, vcc_lo, s18, v65
	s_delay_alu instid0(VALU_DEP_2)
	v_add_co_ci_u32_e32 v70, vcc_lo, s19, v66, vcc_lo
	v_add_co_u32 v65, vcc_lo, s16, v65
	v_add_co_ci_u32_e32 v66, vcc_lo, s17, v66, vcc_lo
	global_store_b32 v[69:70], v67, off
	global_store_b32 v[65:66], v68, off
.LBB1352_78:
	s_or_b32 exec_lo, exec_lo, s4
	s_waitcnt lgkmcnt(0)
	s_waitcnt_vscnt null, 0x0
	s_barrier
	buffer_gl0_inv
	ds_load_b128 v[83:86], v80
	ds_load_b128 v[87:90], v80 offset:16
	ds_load_b128 v[95:98], v80 offset:2064
	;; [unrolled: 1-line block ×3, first 2 shown]
	v_mov_b32_e32 v65, 0
	ds_load_b128 v[103:106], v80 offset:4112
	ds_load_b128 v[99:102], v80 offset:4096
	;; [unrolled: 1-line block ×4, first 2 shown]
	v_mov_b32_e32 v66, v65
	v_mov_b32_e32 v67, v65
	;; [unrolled: 1-line block ×7, first 2 shown]
	s_waitcnt lgkmcnt(6)
	s_delay_alu instid0(VALU_DEP_1)
	v_wmma_f32_16x16x16_bf16 v[65:72], v[57:64], v[83:90], v[65:72]
	ds_load_b128 v[61:64], v80 offset:8208
	ds_load_b128 v[57:60], v80 offset:8192
	s_waitcnt lgkmcnt(6)
	v_wmma_f32_16x16x16_bf16 v[65:72], v[41:48], v[91:98], v[65:72]
	ds_load_b128 v[45:48], v80 offset:10256
	ds_load_b128 v[41:44], v80 offset:10240
	s_waitcnt lgkmcnt(6)
	;; [unrolled: 4-line block ×4, first 2 shown]
	v_wmma_f32_16x16x16_bf16 v[65:72], v[1:8], v[57:64], v[65:72]
	s_waitcnt lgkmcnt(4)
	s_delay_alu instid0(VALU_DEP_1) | instskip(SKIP_1) | instid1(VALU_DEP_1)
	v_wmma_f32_16x16x16_bf16 v[65:72], v[9:16], v[41:48], v[65:72]
	s_waitcnt lgkmcnt(2)
	v_wmma_f32_16x16x16_bf16 v[65:72], v[17:24], v[33:40], v[65:72]
	s_waitcnt lgkmcnt(0)
	s_delay_alu instid0(VALU_DEP_1) | instskip(NEXT) | instid1(VALU_DEP_1)
	v_wmma_f32_16x16x16_bf16 v[65:72], v[49:56], v[25:32], v[65:72]
	v_and_b32_e32 v1, 0x7f800000, v65
	s_delay_alu instid0(VALU_DEP_1) | instskip(SKIP_1) | instid1(SALU_CYCLE_1)
	v_cmp_ne_u32_e32 vcc_lo, 0x7f800000, v1
                                        ; implicit-def: $vgpr1
	s_and_saveexec_b32 s4, vcc_lo
	s_xor_b32 s4, exec_lo, s4
; %bb.79:
	v_bfe_u32 v1, v65, 16, 1
	s_delay_alu instid0(VALU_DEP_1)
	v_add3_u32 v1, v65, v1, 0x7fff
; %bb.80:
	s_and_not1_saveexec_b32 s4, s4
; %bb.81:
	v_and_b32_e32 v1, 0xffff, v65
	v_or_b32_e32 v2, 0x10000, v65
	s_delay_alu instid0(VALU_DEP_2) | instskip(NEXT) | instid1(VALU_DEP_2)
	v_cmp_eq_u32_e32 vcc_lo, 0, v1
	v_cndmask_b32_e32 v1, v2, v65, vcc_lo
; %bb.82:
	s_or_b32 exec_lo, exec_lo, s4
	v_and_b32_e32 v2, 0x7f800000, v66
	s_delay_alu instid0(VALU_DEP_1) | instskip(SKIP_1) | instid1(SALU_CYCLE_1)
	v_cmp_ne_u32_e32 vcc_lo, 0x7f800000, v2
                                        ; implicit-def: $vgpr2
	s_and_saveexec_b32 s4, vcc_lo
	s_xor_b32 s4, exec_lo, s4
; %bb.83:
	v_bfe_u32 v2, v66, 16, 1
	s_delay_alu instid0(VALU_DEP_1)
	v_add3_u32 v2, v66, v2, 0x7fff
; %bb.84:
	s_and_not1_saveexec_b32 s4, s4
; %bb.85:
	v_and_b32_e32 v2, 0xffff, v66
	v_or_b32_e32 v3, 0x10000, v66
	s_delay_alu instid0(VALU_DEP_2) | instskip(NEXT) | instid1(VALU_DEP_2)
	v_cmp_eq_u32_e32 vcc_lo, 0, v2
	v_cndmask_b32_e32 v2, v3, v66, vcc_lo
; %bb.86:
	s_or_b32 exec_lo, exec_lo, s4
	v_and_b32_e32 v3, 0x7f800000, v67
	s_delay_alu instid0(VALU_DEP_1) | instskip(SKIP_1) | instid1(SALU_CYCLE_1)
	v_cmp_ne_u32_e32 vcc_lo, 0x7f800000, v3
                                        ; implicit-def: $vgpr3
	s_and_saveexec_b32 s4, vcc_lo
	s_xor_b32 s4, exec_lo, s4
; %bb.87:
	v_bfe_u32 v3, v67, 16, 1
	s_delay_alu instid0(VALU_DEP_1)
	v_add3_u32 v3, v67, v3, 0x7fff
; %bb.88:
	s_and_not1_saveexec_b32 s4, s4
; %bb.89:
	v_and_b32_e32 v3, 0xffff, v67
	v_or_b32_e32 v4, 0x10000, v67
	s_delay_alu instid0(VALU_DEP_2) | instskip(NEXT) | instid1(VALU_DEP_2)
	v_cmp_eq_u32_e32 vcc_lo, 0, v3
	v_cndmask_b32_e32 v3, v4, v67, vcc_lo
; %bb.90:
	s_or_b32 exec_lo, exec_lo, s4
	v_and_b32_e32 v4, 0x7f800000, v68
	s_delay_alu instid0(VALU_DEP_1) | instskip(SKIP_1) | instid1(SALU_CYCLE_1)
	v_cmp_ne_u32_e32 vcc_lo, 0x7f800000, v4
                                        ; implicit-def: $vgpr4
	s_and_saveexec_b32 s4, vcc_lo
	s_xor_b32 s4, exec_lo, s4
; %bb.91:
	v_bfe_u32 v4, v68, 16, 1
	s_delay_alu instid0(VALU_DEP_1)
	v_add3_u32 v4, v68, v4, 0x7fff
; %bb.92:
	s_and_not1_saveexec_b32 s4, s4
; %bb.93:
	v_and_b32_e32 v4, 0xffff, v68
	v_or_b32_e32 v5, 0x10000, v68
	s_delay_alu instid0(VALU_DEP_2) | instskip(NEXT) | instid1(VALU_DEP_2)
	v_cmp_eq_u32_e32 vcc_lo, 0, v4
	v_cndmask_b32_e32 v4, v5, v68, vcc_lo
; %bb.94:
	s_or_b32 exec_lo, exec_lo, s4
	v_and_b32_e32 v5, 0x7f800000, v69
	s_delay_alu instid0(VALU_DEP_1) | instskip(SKIP_1) | instid1(SALU_CYCLE_1)
	v_cmp_ne_u32_e32 vcc_lo, 0x7f800000, v5
                                        ; implicit-def: $vgpr5
	s_and_saveexec_b32 s4, vcc_lo
	s_xor_b32 s4, exec_lo, s4
; %bb.95:
	v_bfe_u32 v5, v69, 16, 1
	s_delay_alu instid0(VALU_DEP_1)
	v_add3_u32 v5, v69, v5, 0x7fff
; %bb.96:
	s_and_not1_saveexec_b32 s4, s4
; %bb.97:
	v_and_b32_e32 v5, 0xffff, v69
	v_or_b32_e32 v6, 0x10000, v69
	s_delay_alu instid0(VALU_DEP_2) | instskip(NEXT) | instid1(VALU_DEP_2)
	v_cmp_eq_u32_e32 vcc_lo, 0, v5
	v_cndmask_b32_e32 v5, v6, v69, vcc_lo
; %bb.98:
	s_or_b32 exec_lo, exec_lo, s4
	v_and_b32_e32 v6, 0x7f800000, v70
	s_delay_alu instid0(VALU_DEP_1) | instskip(SKIP_1) | instid1(SALU_CYCLE_1)
	v_cmp_ne_u32_e32 vcc_lo, 0x7f800000, v6
                                        ; implicit-def: $vgpr6
	s_and_saveexec_b32 s4, vcc_lo
	s_xor_b32 s4, exec_lo, s4
; %bb.99:
	v_bfe_u32 v6, v70, 16, 1
	s_delay_alu instid0(VALU_DEP_1)
	v_add3_u32 v6, v70, v6, 0x7fff
; %bb.100:
	s_and_not1_saveexec_b32 s4, s4
; %bb.101:
	v_and_b32_e32 v6, 0xffff, v70
	v_or_b32_e32 v7, 0x10000, v70
	s_delay_alu instid0(VALU_DEP_2) | instskip(NEXT) | instid1(VALU_DEP_2)
	v_cmp_eq_u32_e32 vcc_lo, 0, v6
	v_cndmask_b32_e32 v6, v7, v70, vcc_lo
; %bb.102:
	s_or_b32 exec_lo, exec_lo, s4
	v_and_b32_e32 v7, 0x7f800000, v71
	s_delay_alu instid0(VALU_DEP_1) | instskip(SKIP_1) | instid1(SALU_CYCLE_1)
	v_cmp_ne_u32_e32 vcc_lo, 0x7f800000, v7
                                        ; implicit-def: $vgpr7
	s_and_saveexec_b32 s4, vcc_lo
	s_xor_b32 s4, exec_lo, s4
; %bb.103:
	v_bfe_u32 v7, v71, 16, 1
	s_delay_alu instid0(VALU_DEP_1)
	v_add3_u32 v7, v71, v7, 0x7fff
; %bb.104:
	s_and_not1_saveexec_b32 s4, s4
; %bb.105:
	v_and_b32_e32 v7, 0xffff, v71
	v_or_b32_e32 v8, 0x10000, v71
	s_delay_alu instid0(VALU_DEP_2) | instskip(NEXT) | instid1(VALU_DEP_2)
	v_cmp_eq_u32_e32 vcc_lo, 0, v7
	v_cndmask_b32_e32 v7, v8, v71, vcc_lo
; %bb.106:
	s_or_b32 exec_lo, exec_lo, s4
	v_and_b32_e32 v8, 0x7f800000, v72
	s_delay_alu instid0(VALU_DEP_1) | instskip(SKIP_1) | instid1(SALU_CYCLE_1)
	v_cmp_ne_u32_e32 vcc_lo, 0x7f800000, v8
                                        ; implicit-def: $vgpr8
	s_and_saveexec_b32 s4, vcc_lo
	s_xor_b32 s4, exec_lo, s4
; %bb.107:
	v_bfe_u32 v8, v72, 16, 1
	s_delay_alu instid0(VALU_DEP_1)
	v_add3_u32 v8, v72, v8, 0x7fff
                                        ; implicit-def: $vgpr65_vgpr66_vgpr67_vgpr68_vgpr69_vgpr70_vgpr71_vgpr72
; %bb.108:
	s_and_not1_saveexec_b32 s4, s4
; %bb.109:
	v_and_b32_e32 v8, 0xffff, v72
	v_or_b32_e32 v9, 0x10000, v72
	s_delay_alu instid0(VALU_DEP_2) | instskip(NEXT) | instid1(VALU_DEP_2)
	v_cmp_eq_u32_e32 vcc_lo, 0, v8
	v_cndmask_b32_e32 v8, v9, v72, vcc_lo
; %bb.110:
	s_or_b32 exec_lo, exec_lo, s4
	s_delay_alu instid0(VALU_DEP_1)
	v_perm_b32 v7, v8, v7, 0x7060302
	v_perm_b32 v6, v6, v5, 0x7060302
	;; [unrolled: 1-line block ×4, first 2 shown]
	s_barrier
	buffer_gl0_inv
	v_cmp_eq_u32_e32 vcc_lo, 1, v78
	ds_store_b128 v76, v[4:7]
	s_waitcnt lgkmcnt(0)
	s_barrier
	buffer_gl0_inv
	ds_load_b128 v[1:4], v82
	ds_load_b128 v[5:8], v82 offset:16
	v_cmp_eq_u32_e64 s4, 1, v79
	v_cmp_eq_u32_e64 s5, 2, v78
	v_cmp_eq_u32_e64 s6, 3, v78
	v_cmp_eq_u32_e64 s8, 2, v77
	v_cmp_eq_u32_e64 s7, 7, v79
	s_waitcnt lgkmcnt(1)
	v_lshrrev_b32_e32 v9, 16, v1
	s_waitcnt lgkmcnt(0)
	v_lshrrev_b32_e32 v13, 16, v5
	v_lshrrev_b32_e32 v10, 16, v2
	;; [unrolled: 1-line block ×4, first 2 shown]
	v_cndmask_b32_e64 v19, v1, v9, s4
	v_cndmask_b32_e32 v18, v5, v13, vcc_lo
	v_cndmask_b32_e64 v20, v5, v13, s4
	v_cndmask_b32_e32 v17, v1, v9, vcc_lo
	v_cmp_eq_u32_e32 vcc_lo, 2, v79
	v_lshrrev_b32_e32 v15, 16, v7
	v_cmp_eq_u32_e64 s4, 1, v77
	v_lshrrev_b32_e32 v12, 16, v4
	v_lshrrev_b32_e32 v16, 16, v8
	v_cndmask_b32_e32 v20, v20, v6, vcc_lo
	v_cndmask_b32_e64 v17, v17, v2, s5
	v_cndmask_b32_e32 v19, v19, v2, vcc_lo
	v_cndmask_b32_e64 v18, v18, v6, s5
	v_cmp_eq_u32_e32 vcc_lo, 4, v78
	v_cmp_eq_u32_e64 s5, 3, v79
	v_cndmask_b32_e64 v17, v17, v10, s6
	v_cndmask_b32_e64 v21, v1, v9, s4
	;; [unrolled: 1-line block ×5, first 2 shown]
	v_cndmask_b32_e32 v17, v17, v3, vcc_lo
	v_cndmask_b32_e64 v20, v20, v14, s5
	v_cndmask_b32_e32 v18, v18, v7, vcc_lo
	v_cmp_eq_u32_e32 vcc_lo, 4, v79
	v_cmp_eq_u32_e64 s5, 5, v79
	v_cmp_eq_u32_e64 s4, 2, v81
	v_cndmask_b32_e64 v21, v21, v2, s8
	v_cmp_eq_u32_e64 s6, 5, v78
	v_cndmask_b32_e32 v19, v19, v3, vcc_lo
	v_cndmask_b32_e32 v20, v20, v7, vcc_lo
	v_cmp_eq_u32_e32 vcc_lo, 6, v79
	s_delay_alu instid0(VALU_DEP_4) | instskip(NEXT) | instid1(VALU_DEP_4)
	v_cndmask_b32_e64 v17, v17, v11, s6
	v_cndmask_b32_e64 v19, v19, v11, s5
	s_delay_alu instid0(VALU_DEP_4) | instskip(SKIP_1) | instid1(VALU_DEP_3)
	v_cndmask_b32_e64 v20, v20, v15, s5
	v_cmp_eq_u32_e64 s5, 1, v81
	v_cndmask_b32_e32 v19, v19, v4, vcc_lo
	v_cndmask_b32_e64 v18, v18, v15, s6
	s_delay_alu instid0(VALU_DEP_3)
	v_cndmask_b32_e64 v1, v1, v9, s5
	v_cndmask_b32_e64 v5, v5, v13, s5
	v_cmp_eq_u32_e64 s5, 3, v77
	v_cndmask_b32_e64 v13, v22, v6, s8
	v_cmp_eq_u32_e64 s8, 3, v81
	v_cndmask_b32_e64 v1, v1, v2, s4
	v_cndmask_b32_e64 v2, v5, v6, s4
	;; [unrolled: 1-line block ×3, first 2 shown]
	v_cmp_eq_u32_e64 s4, 4, v77
	v_cndmask_b32_e64 v6, v13, v14, s5
	v_cndmask_b32_e64 v1, v1, v10, s8
	v_cmp_eq_u32_e64 s5, 4, v81
	v_cndmask_b32_e64 v2, v2, v14, s8
	v_cndmask_b32_e64 v5, v9, v3, s4
	;; [unrolled: 3-line block ×3, first 2 shown]
	v_cndmask_b32_e64 v2, v2, v7, s5
	v_cmp_eq_u32_e64 s4, 5, v81
	v_cmp_eq_u32_e64 s6, 6, v78
	v_cndmask_b32_e64 v5, v5, v11, s8
	v_cmp_eq_u32_e64 s5, 6, v77
	v_cndmask_b32_e64 v3, v6, v15, s8
	v_cndmask_b32_e64 v1, v1, v11, s4
	v_cmp_eq_u32_e64 s8, 6, v81
	v_cndmask_b32_e64 v2, v2, v15, s4
	v_cndmask_b32_e64 v17, v17, v4, s6
	v_cndmask_b32_e64 v18, v18, v8, s6
	v_cmp_eq_u32_e64 s6, 7, v78
	v_cndmask_b32_e64 v5, v5, v4, s5
	;; [unrolled: 4-line block ×3, first 2 shown]
	v_cmp_eq_u32_e64 s5, 7, v77
	v_cndmask_b32_e32 v4, v20, v8, vcc_lo
	v_cndmask_b32_e64 v17, v17, v12, s6
	v_cndmask_b32_e64 v19, v19, v12, s7
	;; [unrolled: 1-line block ×8, first 2 shown]
	v_cmp_gt_u32_e32 vcc_lo, 32, v0
	v_perm_b32 v4, v2, v1, 0x5040100
	v_perm_b32 v3, v3, v5, 0x5040100
	;; [unrolled: 1-line block ×4, first 2 shown]
	s_and_b32 s2, vcc_lo, s2
	ds_store_b128 v76, v[1:4]
	s_waitcnt lgkmcnt(0)
	s_barrier
	buffer_gl0_inv
	s_and_saveexec_b32 s4, s2
	s_cbranch_execz .LBB1352_2
; %bb.111:
	s_load_b64 s[4:5], s[0:1], 0x68
	v_lshlrev_b32_e32 v0, 10, v0
	v_add_nc_u32_e32 v2, s31, v74
	v_lshlrev_b32_e32 v3, 4, v75
	s_lshl_b32 s0, s36, 6
	s_delay_alu instid0(SALU_CYCLE_1) | instskip(NEXT) | instid1(VALU_DEP_2)
	s_mul_i32 s1, s0, s34
	v_mul_lo_u32 v1, v2, s0
	s_delay_alu instid0(VALU_DEP_2)
	v_and_or_b32 v0, 0x3800, v0, v3
	v_add_nc_u32_e32 v3, 2, v2
	s_mul_i32 s6, s1, s9
	v_add_nc_u32_e32 v4, 4, v2
	s_ashr_i32 s7, s6, 31
	v_lshl_or_b32 v11, v74, 6, v0
	s_lshl_b64 s[6:7], s[6:7], 1
	v_mul_lo_u32 v15, v3, s0
	v_mul_lo_u32 v17, v4, s0
	v_ashrrev_i32_e32 v2, 31, v1
	ds_load_b128 v[3:6], v11
	ds_load_b128 v[7:10], v11 offset:128
	ds_load_b128 v[11:14], v11 offset:256
	s_waitcnt lgkmcnt(0)
	s_add_u32 s1, s4, s6
	s_addc_u32 s2, s5, s7
	s_lshl_b32 s4, s14, 6
	v_ashrrev_i32_e32 v16, 31, v15
	s_ashr_i32 s5, s4, 31
	v_lshlrev_b64 v[19:20], 1, v[1:2]
	s_lshl_b64 s[4:5], s[4:5], 1
	v_ashrrev_i32_e32 v18, 31, v17
	s_add_u32 s1, s1, s4
	s_addc_u32 s2, s2, s5
	v_add_co_u32 v1, s1, s1, v73
	s_delay_alu instid0(VALU_DEP_1) | instskip(SKIP_1) | instid1(VALU_DEP_3)
	v_add_co_ci_u32_e64 v2, null, s2, 0, s1
	v_lshlrev_b64 v[15:16], 1, v[15:16]
	v_add_co_u32 v19, vcc_lo, v1, v19
	v_lshlrev_b64 v[17:18], 1, v[17:18]
	s_delay_alu instid0(VALU_DEP_4) | instskip(NEXT) | instid1(VALU_DEP_4)
	v_add_co_ci_u32_e32 v20, vcc_lo, v2, v20, vcc_lo
	v_add_co_u32 v15, vcc_lo, v1, v15
	v_add_co_ci_u32_e32 v16, vcc_lo, v2, v16, vcc_lo
	s_delay_alu instid0(VALU_DEP_4)
	v_add_co_u32 v17, vcc_lo, v1, v17
	v_add_co_ci_u32_e32 v18, vcc_lo, v2, v18, vcc_lo
	s_clause 0x2
	global_store_b128 v[19:20], v[3:6], off
	global_store_b128 v[15:16], v[7:10], off
	;; [unrolled: 1-line block ×3, first 2 shown]
	s_and_b32 exec_lo, exec_lo, s3
	s_cbranch_execz .LBB1352_2
; %bb.112:
	ds_load_b128 v[3:6], v0 offset:384
	s_add_i32 s1, s31, 6
	s_delay_alu instid0(SALU_CYCLE_1) | instskip(NEXT) | instid1(SALU_CYCLE_1)
	s_mul_i32 s0, s1, s0
	s_ashr_i32 s1, s0, 31
	s_delay_alu instid0(SALU_CYCLE_1) | instskip(NEXT) | instid1(SALU_CYCLE_1)
	s_lshl_b64 s[0:1], s[0:1], 1
	v_add_co_u32 v0, vcc_lo, v1, s0
	v_add_co_ci_u32_e32 v1, vcc_lo, s1, v2, vcc_lo
	s_waitcnt lgkmcnt(0)
	global_store_b128 v[0:1], v[3:6], off
	s_nop 0
	s_sendmsg sendmsg(MSG_DEALLOC_VGPRS)
	s_endpgm
	.section	.rodata,"a",@progbits
	.p2align	6, 0x0
	.amdhsa_kernel _Z39paged_attention_ll4mi_QKV_mfma16_kernelI14__hip_bfloat16hLN4vllm18Fp8KVCacheDataTypeE1EhLi16ELi64ELi256ELb1ELi7EL8MFMAType1EEvPKT_PKT0_S9_ifPKiSB_SB_iPKfiiiPfSE_PS4_PT2_iSD_SD_
		.amdhsa_group_segment_fixed_size 17472
		.amdhsa_private_segment_fixed_size 0
		.amdhsa_kernarg_size 400
		.amdhsa_user_sgpr_count 13
		.amdhsa_user_sgpr_dispatch_ptr 0
		.amdhsa_user_sgpr_queue_ptr 0
		.amdhsa_user_sgpr_kernarg_segment_ptr 1
		.amdhsa_user_sgpr_dispatch_id 0
		.amdhsa_user_sgpr_private_segment_size 0
		.amdhsa_wavefront_size32 1
		.amdhsa_uses_dynamic_stack 0
		.amdhsa_enable_private_segment 0
		.amdhsa_system_sgpr_workgroup_id_x 1
		.amdhsa_system_sgpr_workgroup_id_y 1
		.amdhsa_system_sgpr_workgroup_id_z 1
		.amdhsa_system_sgpr_workgroup_info 0
		.amdhsa_system_vgpr_workitem_id 0
		.amdhsa_next_free_vgpr 124
		.amdhsa_next_free_sgpr 40
		.amdhsa_reserve_vcc 1
		.amdhsa_float_round_mode_32 0
		.amdhsa_float_round_mode_16_64 0
		.amdhsa_float_denorm_mode_32 3
		.amdhsa_float_denorm_mode_16_64 3
		.amdhsa_dx10_clamp 1
		.amdhsa_ieee_mode 1
		.amdhsa_fp16_overflow 0
		.amdhsa_workgroup_processor_mode 1
		.amdhsa_memory_ordered 1
		.amdhsa_forward_progress 0
		.amdhsa_shared_vgpr_count 0
		.amdhsa_exception_fp_ieee_invalid_op 0
		.amdhsa_exception_fp_denorm_src 0
		.amdhsa_exception_fp_ieee_div_zero 0
		.amdhsa_exception_fp_ieee_overflow 0
		.amdhsa_exception_fp_ieee_underflow 0
		.amdhsa_exception_fp_ieee_inexact 0
		.amdhsa_exception_int_div_zero 0
	.end_amdhsa_kernel
	.section	.text._Z39paged_attention_ll4mi_QKV_mfma16_kernelI14__hip_bfloat16hLN4vllm18Fp8KVCacheDataTypeE1EhLi16ELi64ELi256ELb1ELi7EL8MFMAType1EEvPKT_PKT0_S9_ifPKiSB_SB_iPKfiiiPfSE_PS4_PT2_iSD_SD_,"axG",@progbits,_Z39paged_attention_ll4mi_QKV_mfma16_kernelI14__hip_bfloat16hLN4vllm18Fp8KVCacheDataTypeE1EhLi16ELi64ELi256ELb1ELi7EL8MFMAType1EEvPKT_PKT0_S9_ifPKiSB_SB_iPKfiiiPfSE_PS4_PT2_iSD_SD_,comdat
.Lfunc_end1352:
	.size	_Z39paged_attention_ll4mi_QKV_mfma16_kernelI14__hip_bfloat16hLN4vllm18Fp8KVCacheDataTypeE1EhLi16ELi64ELi256ELb1ELi7EL8MFMAType1EEvPKT_PKT0_S9_ifPKiSB_SB_iPKfiiiPfSE_PS4_PT2_iSD_SD_, .Lfunc_end1352-_Z39paged_attention_ll4mi_QKV_mfma16_kernelI14__hip_bfloat16hLN4vllm18Fp8KVCacheDataTypeE1EhLi16ELi64ELi256ELb1ELi7EL8MFMAType1EEvPKT_PKT0_S9_ifPKiSB_SB_iPKfiiiPfSE_PS4_PT2_iSD_SD_
                                        ; -- End function
	.section	.AMDGPU.csdata,"",@progbits
; Kernel info:
; codeLenInByte = 8804
; NumSgprs: 42
; NumVgprs: 124
; ScratchSize: 0
; MemoryBound: 0
; FloatMode: 240
; IeeeMode: 1
; LDSByteSize: 17472 bytes/workgroup (compile time only)
; SGPRBlocks: 5
; VGPRBlocks: 15
; NumSGPRsForWavesPerEU: 42
; NumVGPRsForWavesPerEU: 124
; Occupancy: 10
; WaveLimiterHint : 1
; COMPUTE_PGM_RSRC2:SCRATCH_EN: 0
; COMPUTE_PGM_RSRC2:USER_SGPR: 13
; COMPUTE_PGM_RSRC2:TRAP_HANDLER: 0
; COMPUTE_PGM_RSRC2:TGID_X_EN: 1
; COMPUTE_PGM_RSRC2:TGID_Y_EN: 1
; COMPUTE_PGM_RSRC2:TGID_Z_EN: 1
; COMPUTE_PGM_RSRC2:TIDIG_COMP_CNT: 0
	.section	.text._Z39paged_attention_ll4mi_QKV_mfma16_kernelI14__hip_bfloat16hLN4vllm18Fp8KVCacheDataTypeE1EhLi16ELi64ELi256ELb1ELi8EL8MFMAType1EEvPKT_PKT0_S9_ifPKiSB_SB_iPKfiiiPfSE_PS4_PT2_iSD_SD_,"axG",@progbits,_Z39paged_attention_ll4mi_QKV_mfma16_kernelI14__hip_bfloat16hLN4vllm18Fp8KVCacheDataTypeE1EhLi16ELi64ELi256ELb1ELi8EL8MFMAType1EEvPKT_PKT0_S9_ifPKiSB_SB_iPKfiiiPfSE_PS4_PT2_iSD_SD_,comdat
	.protected	_Z39paged_attention_ll4mi_QKV_mfma16_kernelI14__hip_bfloat16hLN4vllm18Fp8KVCacheDataTypeE1EhLi16ELi64ELi256ELb1ELi8EL8MFMAType1EEvPKT_PKT0_S9_ifPKiSB_SB_iPKfiiiPfSE_PS4_PT2_iSD_SD_ ; -- Begin function _Z39paged_attention_ll4mi_QKV_mfma16_kernelI14__hip_bfloat16hLN4vllm18Fp8KVCacheDataTypeE1EhLi16ELi64ELi256ELb1ELi8EL8MFMAType1EEvPKT_PKT0_S9_ifPKiSB_SB_iPKfiiiPfSE_PS4_PT2_iSD_SD_
	.globl	_Z39paged_attention_ll4mi_QKV_mfma16_kernelI14__hip_bfloat16hLN4vllm18Fp8KVCacheDataTypeE1EhLi16ELi64ELi256ELb1ELi8EL8MFMAType1EEvPKT_PKT0_S9_ifPKiSB_SB_iPKfiiiPfSE_PS4_PT2_iSD_SD_
	.p2align	8
	.type	_Z39paged_attention_ll4mi_QKV_mfma16_kernelI14__hip_bfloat16hLN4vllm18Fp8KVCacheDataTypeE1EhLi16ELi64ELi256ELb1ELi8EL8MFMAType1EEvPKT_PKT0_S9_ifPKiSB_SB_iPKfiiiPfSE_PS4_PT2_iSD_SD_,@function
_Z39paged_attention_ll4mi_QKV_mfma16_kernelI14__hip_bfloat16hLN4vllm18Fp8KVCacheDataTypeE1EhLi16ELi64ELi256ELb1ELi8EL8MFMAType1EEvPKT_PKT0_S9_ifPKiSB_SB_iPKfiiiPfSE_PS4_PT2_iSD_SD_: ; @_Z39paged_attention_ll4mi_QKV_mfma16_kernelI14__hip_bfloat16hLN4vllm18Fp8KVCacheDataTypeE1EhLi16ELi64ELi256ELb1ELi8EL8MFMAType1EEvPKT_PKT0_S9_ifPKiSB_SB_iPKfiiiPfSE_PS4_PT2_iSD_SD_
; %bb.0:
	s_load_b64 s[2:3], s[0:1], 0x30
	s_mov_b32 s30, s13
	s_waitcnt lgkmcnt(0)
	s_cmp_lg_u64 s[2:3], 0
	s_cselect_b32 s8, -1, 0
	s_ashr_i32 s31, s13, 31
	s_cmp_eq_u64 s[2:3], 0
	s_cbranch_scc1 .LBB1353_3
; %bb.1:
	s_lshl_b64 s[4:5], s[30:31], 2
	s_delay_alu instid0(SALU_CYCLE_1) | instskip(SKIP_4) | instid1(SALU_CYCLE_1)
	s_add_u32 s4, s2, s4
	s_addc_u32 s5, s3, s5
	s_load_b64 s[4:5], s[4:5], 0x0
	s_waitcnt lgkmcnt(0)
	s_sub_i32 s4, s5, s4
	s_cmp_eq_u32 s4, 1
	s_cselect_b32 s4, -1, 0
	s_delay_alu instid0(SALU_CYCLE_1)
	s_and_not1_b32 vcc_lo, exec_lo, s4
	s_cbranch_vccz .LBB1353_4
.LBB1353_2:
	s_endpgm
.LBB1353_3:
.LBB1353_4:
	s_load_b64 s[4:5], s[0:1], 0x28
	s_lshl_b64 s[6:7], s[30:31], 2
	s_waitcnt lgkmcnt(0)
	s_add_u32 s4, s4, s6
	s_addc_u32 s5, s5, s7
	s_lshl_b32 s12, s14, 8
	s_load_b32 s24, s[4:5], 0x0
	s_waitcnt lgkmcnt(0)
	s_cmp_ge_i32 s12, s24
	s_cbranch_scc1 .LBB1353_2
; %bb.5:
	s_clause 0x1
	s_load_b128 s[20:23], s[0:1], 0x8
	s_load_b64 s[4:5], s[0:1], 0x20
	s_and_not1_b32 vcc_lo, exec_lo, s8
	s_cbranch_vccnz .LBB1353_7
; %bb.6:
	s_add_u32 s2, s2, s6
	s_addc_u32 s3, s3, s7
	s_load_b32 s3, s[2:3], 0x0
	s_branch .LBB1353_8
.LBB1353_7:
	s_mov_b32 s3, s30
.LBB1353_8:
	s_load_b128 s[16:19], s[0:1], 0x48
	v_and_b32_e32 v66, 15, v0
	v_cmp_gt_u32_e32 vcc_lo, 0x80, v0
	v_lshrrev_b32_e32 v65, 5, v0
	v_and_b32_e32 v67, 31, v0
	v_and_b32_e32 v74, 1, v0
	v_lshlrev_b32_e32 v1, 3, v66
	v_cmp_gt_u32_e64 s2, 8, v66
	v_bfe_u32 v75, v0, 4, 1
	s_lshl_b32 s31, s15, 3
	s_delay_alu instid0(VALU_DEP_3) | instskip(NEXT) | instid1(VALU_DEP_3)
	v_lshlrev_b32_e32 v73, 1, v1
	s_and_b32 s7, vcc_lo, s2
	s_delay_alu instid0(SALU_CYCLE_1)
	s_and_saveexec_b32 s6, s7
	s_cbranch_execz .LBB1353_10
; %bb.9:
	v_lshl_or_b32 v5, v65, 1, v75
	s_load_b64 s[8:9], s[0:1], 0x0
	s_waitcnt lgkmcnt(0)
	s_mul_hi_i32 s11, s3, s16
	s_mul_i32 s10, s3, s16
	v_lshlrev_b32_e32 v6, 10, v66
	v_or_b32_e32 v1, s31, v5
	s_lshl_b64 s[10:11], s[10:11], 1
	v_lshlrev_b32_e32 v5, 6, v5
	v_lshlrev_b32_e32 v7, 10, v74
	v_and_b32_e32 v6, 0x3800, v6
	v_lshlrev_b32_e32 v1, 6, v1
	s_delay_alu instid0(VALU_DEP_2) | instskip(NEXT) | instid1(VALU_DEP_2)
	v_or3_b32 v5, v6, v7, v5
	v_ashrrev_i32_e32 v2, 31, v1
	s_delay_alu instid0(VALU_DEP_1) | instskip(SKIP_2) | instid1(VALU_DEP_1)
	v_lshlrev_b64 v[1:2], 1, v[1:2]
	s_add_u32 s3, s8, s10
	s_addc_u32 s7, s9, s11
	v_add_co_u32 v1, vcc_lo, s3, v1
	s_delay_alu instid0(VALU_DEP_2) | instskip(NEXT) | instid1(VALU_DEP_2)
	v_add_co_ci_u32_e32 v2, vcc_lo, s7, v2, vcc_lo
	v_add_co_u32 v1, vcc_lo, v1, v73
	s_delay_alu instid0(VALU_DEP_2)
	v_add_co_ci_u32_e32 v2, vcc_lo, 0, v2, vcc_lo
	global_load_b128 v[1:4], v[1:2], off
	s_waitcnt vmcnt(0)
	ds_store_b128 v5, v[1:4]
.LBB1353_10:
	s_or_b32 exec_lo, exec_lo, s6
	v_and_b32_e32 v1, 0xef, v0
	s_waitcnt lgkmcnt(0)
	s_add_i32 s3, s24, 15
	s_clause 0x1
	s_load_b32 s6, s[0:1], 0x38
	s_load_b32 s19, s[0:1], 0x1c
	s_ashr_i32 s7, s3, 31
	v_add_nc_u32_e32 v1, s12, v1
	s_lshr_b32 s7, s7, 28
	s_waitcnt lgkmcnt(0)
	s_add_i32 s3, s3, s7
	s_barrier
	v_ashrrev_i32_e32 v2, 31, v1
	v_or_b32_e32 v3, 16, v1
	s_ashr_i32 s3, s3, 4
	v_cmp_gt_i32_e32 vcc_lo, s24, v1
	s_add_i32 s3, s3, -1
	v_lshrrev_b32_e32 v2, 28, v2
	buffer_gl0_inv
	s_mul_i32 s27, s15, s18
	v_add_nc_u32_e32 v4, v1, v2
	s_mul_i32 s6, s30, s6
	s_delay_alu instid0(SALU_CYCLE_1) | instskip(NEXT) | instid1(VALU_DEP_1)
	s_ashr_i32 s7, s6, 31
	v_ashrrev_i32_e32 v4, 4, v4
	v_add_nc_u32_e32 v2, v3, v2
	s_lshl_b64 s[6:7], s[6:7], 2
	s_delay_alu instid0(SALU_CYCLE_1) | instskip(NEXT) | instid1(VALU_DEP_2)
	s_add_u32 s26, s4, s6
	v_cndmask_b32_e32 v1, s3, v4, vcc_lo
	s_delay_alu instid0(VALU_DEP_2)
	v_ashrrev_i32_e32 v2, 4, v2
	v_cmp_gt_i32_e32 vcc_lo, s24, v3
	s_addc_u32 s25, s5, s7
	s_ashr_i32 s28, s27, 31
	s_add_u32 s13, s20, s27
	s_addc_u32 s15, s21, s28
	v_cndmask_b32_e32 v3, s3, v2, vcc_lo
	v_ashrrev_i32_e32 v2, 31, v1
	s_lshl_b32 s4, s14, 4
	s_delay_alu instid0(SALU_CYCLE_1) | instskip(NEXT) | instid1(VALU_DEP_2)
	s_ashr_i32 s5, s4, 31
	v_ashrrev_i32_e32 v4, 31, v3
	s_delay_alu instid0(VALU_DEP_2) | instskip(SKIP_1) | instid1(SALU_CYCLE_1)
	v_lshlrev_b64 v[1:2], 2, v[1:2]
	s_lshl_b64 s[4:5], s[4:5], 2
	s_add_u32 s4, s26, s4
	s_delay_alu instid0(VALU_DEP_2) | instskip(SKIP_1) | instid1(VALU_DEP_2)
	v_lshlrev_b64 v[3:4], 2, v[3:4]
	s_addc_u32 s5, s25, s5
	v_add_co_u32 v1, vcc_lo, s26, v1
	v_add_co_ci_u32_e32 v2, vcc_lo, s25, v2, vcc_lo
	s_delay_alu instid0(VALU_DEP_3) | instskip(NEXT) | instid1(VALU_DEP_4)
	v_add_co_u32 v3, vcc_lo, s26, v3
	v_add_co_ci_u32_e32 v4, vcc_lo, s25, v4, vcc_lo
	s_clause 0x1
	global_load_b32 v5, v[1:2], off
	global_load_b32 v7, v[3:4], off
	s_or_b32 s6, s12, 32
	v_lshlrev_b32_e32 v1, 4, v0
	s_ashr_i32 s7, s6, 4
	s_cmp_lt_i32 s6, s24
	s_cselect_b32 s6, s7, s3
	s_delay_alu instid0(VALU_DEP_1) | instskip(SKIP_1) | instid1(SALU_CYCLE_1)
	v_and_b32_e32 v1, 0xf0, v1
	s_ashr_i32 s7, s6, 31
	s_lshl_b64 s[6:7], s[6:7], 2
	s_delay_alu instid0(SALU_CYCLE_1)
	s_add_u32 s6, s26, s6
	s_addc_u32 s7, s25, s7
	s_or_b32 s8, s12, 64
	v_add_co_u32 v1, s13, s13, v1
	s_ashr_i32 s9, s8, 4
	s_cmp_lt_i32 s8, s24
	v_add_co_ci_u32_e64 v2, null, s15, 0, s13
	s_cselect_b32 s8, s9, s3
	s_delay_alu instid0(SALU_CYCLE_1) | instskip(NEXT) | instid1(SALU_CYCLE_1)
	s_ashr_i32 s9, s8, 31
	s_lshl_b64 s[8:9], s[8:9], 2
	s_delay_alu instid0(SALU_CYCLE_1) | instskip(SKIP_2) | instid1(SALU_CYCLE_1)
	s_add_u32 s8, s26, s8
	s_addc_u32 s9, s25, s9
	s_or_b32 s10, s12, 0x60
	s_ashr_i32 s11, s10, 4
	s_cmp_lt_i32 s10, s24
	s_cselect_b32 s10, s11, s3
	s_delay_alu instid0(SALU_CYCLE_1) | instskip(NEXT) | instid1(SALU_CYCLE_1)
	s_ashr_i32 s11, s10, 31
	s_lshl_b64 s[10:11], s[10:11], 2
	s_delay_alu instid0(SALU_CYCLE_1) | instskip(SKIP_2) | instid1(SALU_CYCLE_1)
	s_add_u32 s10, s26, s10
	s_addc_u32 s11, s25, s11
	s_or_b32 s16, s12, 0x80
	s_ashr_i32 s18, s16, 4
	s_cmp_lt_i32 s16, s24
	;; [unrolled: 10-line block ×3, first 2 shown]
	s_cselect_b32 s20, s18, s3
	s_delay_alu instid0(SALU_CYCLE_1) | instskip(NEXT) | instid1(SALU_CYCLE_1)
	s_ashr_i32 s21, s20, 31
	s_lshl_b64 s[20:21], s[20:21], 2
	s_delay_alu instid0(SALU_CYCLE_1)
	s_add_u32 s36, s26, s20
	s_addc_u32 s37, s25, s21
	s_clause 0x5
	s_load_b32 s21, s[4:5], 0x0
	s_load_b32 s13, s[6:7], 0x0
	;; [unrolled: 1-line block ×6, first 2 shown]
	s_or_b32 s7, s12, 0xc0
	s_mov_b32 s4, 0
	s_ashr_i32 s8, s7, 4
	s_cmp_lt_i32 s7, s24
	s_mov_b32 s5, s4
	s_cselect_b32 s10, s8, s3
	s_mov_b32 s6, s4
	s_ashr_i32 s11, s10, 31
	s_mov_b32 s7, s4
	s_lshl_b64 s[34:35], s[10:11], 2
	s_mov_b32 s11, s4
	s_add_u32 s34, s26, s34
	s_addc_u32 s35, s25, s35
	s_or_b32 s29, s12, 0xe0
	s_mov_b32 s8, s4
	s_ashr_i32 s33, s29, 4
	s_mov_b32 s9, s4
	s_mov_b32 s10, s4
	s_cmp_lt_i32 s29, s24
	v_dual_mov_b32 v107, s11 :: v_dual_mov_b32 v100, s4
	v_mov_b32_e32 v106, s10
	v_dual_mov_b32 v104, s8 :: v_dual_mov_b32 v103, s7
	v_dual_mov_b32 v102, s6 :: v_dual_mov_b32 v101, s5
	v_mov_b32_e32 v105, s9
	s_cselect_b32 s4, s33, s3
	s_delay_alu instid0(SALU_CYCLE_1) | instskip(NEXT) | instid1(SALU_CYCLE_1)
	s_ashr_i32 s5, s4, 31
	s_lshl_b64 s[4:5], s[4:5], 2
	s_delay_alu instid0(SALU_CYCLE_1)
	s_add_u32 s4, s26, s4
	s_addc_u32 s5, s25, s5
	s_add_u32 s6, s22, s27
	s_addc_u32 s7, s23, s28
	s_waitcnt vmcnt(1)
	v_mad_i64_i32 v[3:4], null, v5, s17, v[1:2]
	s_waitcnt vmcnt(0)
	v_mad_i64_i32 v[5:6], null, v7, s17, v[1:2]
	s_clause 0x7
	global_load_b128 v[49:52], v[3:4], off
	global_load_b128 v[53:56], v[3:4], off offset:256
	global_load_b128 v[76:79], v[5:6], off
	global_load_b128 v[80:83], v[5:6], off offset:256
	global_load_b128 v[84:87], v[3:4], off offset:512
	;; [unrolled: 1-line block ×5, first 2 shown]
	v_and_b32_e32 v1, 7, v0
	v_lshlrev_b32_e32 v2, 4, v66
	s_load_b32 s3, s[34:35], 0x0
	s_delay_alu instid0(VALU_DEP_2) | instskip(NEXT) | instid1(VALU_DEP_2)
	v_lshlrev_b32_e32 v70, 6, v1
	v_lshl_or_b32 v1, v65, 8, v2
	ds_load_b128 v[108:111], v70
	ds_load_b128 v[112:115], v70 offset:1024
	s_load_b32 s4, s[4:5], 0x0
	v_add_co_u32 v9, s6, s6, v1
	s_delay_alu instid0(VALU_DEP_1) | instskip(SKIP_1) | instid1(VALU_DEP_1)
	v_add_co_ci_u32_e64 v10, null, s7, 0, s6
	s_waitcnt lgkmcnt(0)
	v_mad_i64_i32 v[1:2], null, s21, s17, v[9:10]
	v_mad_i64_i32 v[3:4], null, s13, s17, v[9:10]
	v_mad_i64_i32 v[5:6], null, s15, s17, v[9:10]
	v_mad_i64_i32 v[7:8], null, s16, s17, v[9:10]
	v_mad_i64_i32 v[13:14], null, s20, s17, v[9:10]
	v_mad_i64_i32 v[11:12], null, s18, s17, v[9:10]
	v_mad_i64_i32 v[21:22], null, s3, s17, v[9:10]
	s_clause 0x9
	global_load_b128 v[57:60], v[1:2], off
	global_load_b128 v[61:64], v[1:2], off offset:16
	global_load_b128 v[41:44], v[3:4], off
	global_load_b128 v[45:48], v[3:4], off offset:16
	;; [unrolled: 2-line block ×5, first 2 shown]
	v_mad_i64_i32 v[68:69], null, s4, s17, v[9:10]
	s_clause 0x3
	global_load_b128 v[9:12], v[13:14], off
	global_load_b128 v[13:16], v[13:14], off offset:16
	global_load_b128 v[17:20], v[21:22], off
	global_load_b128 v[21:24], v[21:22], off offset:16
	s_waitcnt vmcnt(20)
	v_wmma_f32_16x16x16_bf16 v[116:123], v[49:56], v[108:115], v[100:107]
	s_clause 0x1
	global_load_b128 v[49:52], v[68:69], off
	global_load_b128 v[53:56], v[68:69], off offset:16
	v_and_b32_e32 v68, 0xe0, v0
	v_mbcnt_lo_u32_b32 v69, -1, 0
	s_delay_alu instid0(VALU_DEP_2)
	v_add_nc_u32_e32 v68, s12, v68
	s_waitcnt vmcnt(20)
	v_wmma_f32_16x16x16_bf16 v[100:107], v[76:83], v[108:115], v[100:107]
	ds_load_b128 v[76:79], v70 offset:2048
	ds_load_b128 v[80:83], v70 offset:3072
	v_xor_b32_e32 v70, 16, v69
	s_waitcnt vmcnt(0) lgkmcnt(0)
	v_or_b32_e32 v68, v68, v75
	s_barrier
	buffer_gl0_inv
	v_cmp_gt_i32_e32 vcc_lo, 32, v70
	v_or_b32_e32 v71, 4, v68
	v_or_b32_e32 v72, 6, v68
	v_cmp_gt_i32_e64 s3, s24, v68
	v_or_b32_e32 v108, 8, v68
	v_or_b32_e32 v109, 10, v68
	v_cmp_gt_i32_e64 s4, s24, v71
	v_cmp_gt_i32_e64 s5, s24, v72
	s_delay_alu instid0(VALU_DEP_4) | instskip(NEXT) | instid1(VALU_DEP_4)
	v_cmp_gt_i32_e64 s6, s24, v108
	v_cmp_gt_i32_e64 s7, s24, v109
	v_wmma_f32_16x16x16_bf16 v[116:123], v[84:91], v[76:83], v[116:123]
	v_cndmask_b32_e32 v69, v69, v70, vcc_lo
	v_or_b32_e32 v70, 2, v68
	v_wmma_f32_16x16x16_bf16 v[100:107], v[92:99], v[76:83], v[100:107]
	v_or_b32_e32 v89, 22, v68
	v_dual_mul_f32 v80, s19, v121 :: v_dual_mul_f32 v81, s19, v120
	v_dual_mul_f32 v92, s19, v117 :: v_dual_mul_f32 v93, s19, v116
	s_delay_alu instid0(VALU_DEP_4)
	v_mul_f32_e32 v96, s19, v105
	v_cmp_gt_i32_e32 vcc_lo, s24, v70
	v_dual_mul_f32 v79, s19, v122 :: v_dual_mul_f32 v82, s19, v119
	v_dual_mul_f32 v83, s19, v118 :: v_dual_mul_f32 v94, s19, v107
	v_cndmask_b32_e64 v93, 0xff7fffff, v93, s3
	v_cndmask_b32_e32 v92, 0xff7fffff, v92, vcc_lo
	v_or_b32_e32 v84, 12, v68
	v_or_b32_e32 v85, 14, v68
	v_cndmask_b32_e64 v71, 0xff7fffff, v83, s4
	v_cndmask_b32_e64 v72, 0xff7fffff, v82, s5
	v_cmp_gt_i32_e64 s13, s24, v89
	v_lshlrev_b32_e32 v89, 2, v69
	v_max3_f32 v82, v93, 0xff7fffff, v92
	v_or_b32_e32 v86, 16, v68
	v_or_b32_e32 v87, 18, v68
	v_mul_f32_e32 v78, s19, v123
	v_cndmask_b32_e64 v81, 0xff7fffff, v81, s6
	v_cndmask_b32_e64 v80, 0xff7fffff, v80, s7
	v_max3_f32 v71, v82, v71, v72
	v_cmp_gt_i32_e64 s8, s24, v84
	v_cmp_gt_i32_e64 s9, s24, v85
	v_or_b32_e32 v88, 20, v68
	v_or_b32_e32 v90, 24, v68
	v_or_b32_e32 v91, 26, v68
	v_or_b32_e32 v76, 28, v68
	v_or_b32_e32 v77, 30, v68
	v_dual_mul_f32 v97, s19, v104 :: v_dual_mul_f32 v70, s19, v101
	v_dual_mul_f32 v99, s19, v102 :: v_dual_mul_f32 v68, s19, v100
	v_cndmask_b32_e64 v72, 0xff7fffff, v79, s8
	v_cndmask_b32_e64 v78, 0xff7fffff, v78, s9
	v_max3_f32 v71, v71, v81, v80
	v_cmp_gt_i32_e64 s10, s24, v86
	v_cmp_gt_i32_e64 s11, s24, v87
	v_dual_mul_f32 v95, s19, v106 :: v_dual_mul_f32 v98, s19, v103
	s_delay_alu instid0(VALU_DEP_4) | instskip(NEXT) | instid1(VALU_DEP_4)
	v_max3_f32 v71, v71, v72, v78
	v_cndmask_b32_e64 v68, 0xff7fffff, v68, s10
	s_delay_alu instid0(VALU_DEP_4)
	v_cndmask_b32_e64 v70, 0xff7fffff, v70, s11
	v_cmp_gt_i32_e64 s12, s24, v88
	v_cndmask_b32_e64 v78, 0xff7fffff, v98, s13
	v_cmp_gt_i32_e64 s15, s24, v90
	v_cmp_gt_i32_e64 s16, s24, v91
	v_max3_f32 v68, v71, v68, v70
	v_cndmask_b32_e64 v72, 0xff7fffff, v99, s12
	v_cmp_gt_i32_e64 s17, s24, v76
	v_cndmask_b32_e64 v70, 0xff7fffff, v97, s15
	v_cndmask_b32_e64 v71, 0xff7fffff, v96, s16
	v_cmp_gt_i32_e64 s18, s24, v77
	v_max3_f32 v68, v68, v72, v78
	v_cndmask_b32_e64 v72, 0xff7fffff, v95, s17
	s_delay_alu instid0(VALU_DEP_3) | instskip(NEXT) | instid1(VALU_DEP_3)
	v_cndmask_b32_e64 v76, 0xff7fffff, v94, s18
	v_max3_f32 v68, v68, v70, v71
	s_delay_alu instid0(VALU_DEP_1) | instskip(SKIP_3) | instid1(VALU_DEP_1)
	v_max3_f32 v68, v68, v72, v76
	ds_bpermute_b32 v69, v89, v68
	s_waitcnt lgkmcnt(0)
	v_max_f32_e32 v69, v69, v69
	v_max_f32_e32 v68, v68, v69
	s_delay_alu instid0(VALU_DEP_1) | instskip(NEXT) | instid1(VALU_DEP_1)
	v_fma_f32 v71, s19, v118, -v68
	v_mul_f32_e32 v71, 0x3fb8aa3b, v71
	v_fma_f32 v70, s19, v117, -v68
	v_fma_f32 v69, s19, v116, -v68
	;; [unrolled: 1-line block ×5, first 2 shown]
	s_delay_alu instid0(VALU_DEP_4) | instskip(SKIP_1) | instid1(VALU_DEP_3)
	v_dual_mul_f32 v70, 0x3fb8aa3b, v70 :: v_dual_mul_f32 v69, 0x3fb8aa3b, v69
	v_exp_f32_e32 v71, v71
	v_mul_f32_e32 v72, 0x3fb8aa3b, v72
	v_fma_f32 v81, s19, v105, -v68
	s_delay_alu instid0(VALU_DEP_3)
	v_exp_f32_e32 v70, v70
	v_mul_f32_e32 v77, 0x3fb8aa3b, v76
	v_exp_f32_e32 v69, v69
	v_exp_f32_e32 v72, v72
	v_mul_f32_e32 v81, 0x3fb8aa3b, v81
	v_cndmask_b32_e64 v83, 0, v71, s4
	v_fma_f32 v71, s19, v123, -v68
	s_delay_alu instid0(VALU_DEP_3) | instskip(SKIP_4) | instid1(TRANS32_DEP_3)
	v_exp_f32_e32 v81, v81
	v_cndmask_b32_e32 v76, 0, v70, vcc_lo
	v_exp_f32_e32 v77, v77
	v_cndmask_b32_e64 v80, 0, v69, s3
	v_fma_f32 v69, s19, v121, -v68
	v_cndmask_b32_e64 v85, 0, v72, s5
	v_mul_f32_e32 v71, 0x3fb8aa3b, v71
	v_fma_f32 v72, s19, v100, -v68
	s_delay_alu instid0(VALU_DEP_4) | instskip(SKIP_1) | instid1(VALU_DEP_3)
	v_dual_add_f32 v70, 0, v80 :: v_dual_mul_f32 v69, 0x3fb8aa3b, v69
	s_mov_b32 s3, exec_lo
	v_exp_f32_e32 v71, v71
	s_delay_alu instid0(TRANS32_DEP_2) | instskip(SKIP_4) | instid1(VALU_DEP_3)
	v_cndmask_b32_e64 v86, 0, v77, s6
	v_fma_f32 v77, s19, v101, -v68
	v_mul_f32_e32 v78, 0x3fb8aa3b, v78
	v_add_f32_e32 v70, v70, v76
	v_exp_f32_e32 v69, v69
	v_mul_f32_e32 v77, 0x3fb8aa3b, v77
	s_delay_alu instid0(VALU_DEP_3) | instskip(NEXT) | instid1(TRANS32_DEP_3)
	v_exp_f32_e32 v78, v78
	v_cndmask_b32_e64 v88, 0, v71, s9
	v_fma_f32 v71, s19, v104, -v68
	s_delay_alu instid0(VALU_DEP_3) | instskip(NEXT) | instid1(TRANS32_DEP_3)
	v_exp_f32_e32 v77, v77
	v_cndmask_b32_e64 v87, 0, v69, s7
	s_delay_alu instid0(VALU_DEP_2)
	v_mul_f32_e32 v71, 0x3fb8aa3b, v71
	s_waitcnt_depctr 0xfff
	v_cndmask_b32_e64 v84, 0, v78, s8
	v_add_f32_e32 v70, v70, v83
	v_fma_f32 v78, s19, v103, -v68
	v_exp_f32_e32 v82, v71
	s_delay_alu instid0(VALU_DEP_2) | instskip(SKIP_1) | instid1(VALU_DEP_3)
	v_add_f32_e32 v70, v70, v85
	v_mul_f32_e32 v72, 0x3fb8aa3b, v72
	v_mul_f32_e32 v78, 0x3fb8aa3b, v78
	s_delay_alu instid0(VALU_DEP_3) | instskip(SKIP_1) | instid1(VALU_DEP_4)
	v_add_f32_e32 v69, v70, v86
	v_fma_f32 v70, s19, v102, -v68
	v_exp_f32_e32 v72, v72
	s_delay_alu instid0(VALU_DEP_3) | instskip(NEXT) | instid1(VALU_DEP_1)
	v_exp_f32_e32 v78, v78
	v_dual_add_f32 v69, v69, v87 :: v_dual_mul_f32 v70, 0x3fb8aa3b, v70
	s_delay_alu instid0(VALU_DEP_1) | instskip(NEXT) | instid1(VALU_DEP_2)
	v_add_f32_e32 v69, v69, v84
	v_exp_f32_e32 v79, v70
	s_delay_alu instid0(TRANS32_DEP_3) | instskip(NEXT) | instid1(VALU_DEP_2)
	v_cndmask_b32_e64 v70, 0, v72, s10
	v_add_f32_e32 v72, v69, v88
	v_cndmask_b32_e64 v69, 0, v77, s11
	v_fma_f32 v77, s19, v106, -v68
	s_waitcnt_depctr 0xfff
	v_cndmask_b32_e64 v71, 0, v79, s12
	v_dual_mul_f32 v77, 0x3fb8aa3b, v77 :: v_dual_add_f32 v72, v72, v70
	s_delay_alu instid0(VALU_DEP_1) | instskip(NEXT) | instid1(VALU_DEP_1)
	v_exp_f32_e32 v90, v77
	v_add_f32_e32 v79, v72, v69
	v_cndmask_b32_e64 v72, 0, v78, s13
	v_cndmask_b32_e64 v77, 0, v82, s15
	s_delay_alu instid0(VALU_DEP_3) | instskip(SKIP_1) | instid1(VALU_DEP_1)
	v_add_f32_e32 v78, v79, v71
	v_fma_f32 v79, s19, v107, -v68
	v_dual_add_f32 v82, v78, v72 :: v_dual_mul_f32 v79, 0x3fb8aa3b, v79
	v_cndmask_b32_e64 v78, 0, v81, s16
	s_delay_alu instid0(VALU_DEP_2) | instskip(NEXT) | instid1(VALU_DEP_3)
	v_add_f32_e32 v81, v82, v77
	v_exp_f32_e32 v82, v79
	v_cndmask_b32_e64 v79, 0, v90, s17
	s_delay_alu instid0(VALU_DEP_2) | instskip(NEXT) | instid1(VALU_DEP_1)
	v_add_f32_e32 v81, v81, v78
	v_add_f32_e32 v90, v81, v79
	s_waitcnt_depctr 0xfff
	v_cndmask_b32_e64 v81, 0, v82, s18
	s_delay_alu instid0(VALU_DEP_1)
	v_add_f32_e32 v82, v90, v81
	ds_bpermute_b32 v89, v89, v82
	v_cmpx_gt_u32_e32 16, v67
	s_cbranch_execz .LBB1353_12
; %bb.11:
	v_mul_u32_u24_e32 v67, 0x44, v65
	s_delay_alu instid0(VALU_DEP_1) | instskip(SKIP_1) | instid1(VALU_DEP_1)
	v_lshl_add_u32 v67, v66, 2, v67
	s_waitcnt lgkmcnt(0)
	v_dual_add_f32 v82, v82, v89 :: v_dual_add_nc_u32 v67, 0x4000, v67
	ds_store_2addr_b32 v67, v68, v82 offset1:136
.LBB1353_12:
	s_or_b32 exec_lo, exec_lo, s3
	v_lshlrev_b32_e32 v67, 2, v66
	s_waitcnt lgkmcnt(0)
	s_barrier
	buffer_gl0_inv
	v_cmp_eq_u32_e32 vcc_lo, 1, v65
	v_add_nc_u32_e32 v82, 0x4000, v67
	v_cmp_eq_u32_e64 s3, 2, v65
	v_cmp_eq_u32_e64 s5, 7, v65
	ds_load_2addr_b32 v[89:90], v82 offset1:17
	ds_load_2addr_b32 v[91:92], v82 offset0:34 offset1:51
	ds_load_2addr_b32 v[93:94], v82 offset0:68 offset1:85
	;; [unrolled: 1-line block ×4, first 2 shown]
	s_waitcnt lgkmcnt(4)
	v_max3_f32 v67, v89, 0xff7fffff, v90
	s_waitcnt lgkmcnt(3)
	s_delay_alu instid0(VALU_DEP_1) | instskip(SKIP_1) | instid1(VALU_DEP_1)
	v_max3_f32 v67, v67, v91, v92
	s_waitcnt lgkmcnt(2)
	v_max3_f32 v67, v67, v93, v94
	s_waitcnt lgkmcnt(1)
	s_delay_alu instid0(VALU_DEP_1) | instskip(NEXT) | instid1(VALU_DEP_1)
	v_max3_f32 v67, v67, v95, v96
	v_sub_f32_e32 v93, v93, v67
	s_delay_alu instid0(VALU_DEP_1) | instskip(NEXT) | instid1(VALU_DEP_1)
	v_dual_sub_f32 v68, v89, v67 :: v_dual_mul_f32 v103, 0x3fb8aa3b, v93
	v_mul_f32_e32 v68, 0x3fb8aa3b, v68
	s_delay_alu instid0(VALU_DEP_1)
	v_exp_f32_e32 v100, v68
	v_sub_f32_e32 v68, v92, v67
	v_sub_f32_e32 v99, v90, v67
	ds_load_2addr_b32 v[89:90], v82 offset0:170 offset1:187
	v_dual_mul_f32 v102, 0x3fb8aa3b, v68 :: v_dual_mul_f32 v99, 0x3fb8aa3b, v99
	s_waitcnt lgkmcnt(1)
	v_fma_f32 v68, v100, v97, 0
	s_delay_alu instid0(VALU_DEP_2) | instskip(NEXT) | instid1(VALU_DEP_2)
	v_exp_f32_e32 v102, v102
	v_exp_f32_e32 v99, v99
	s_waitcnt_depctr 0xfff
	v_fmac_f32_e32 v68, v99, v98
	v_sub_f32_e32 v91, v91, v67
	s_delay_alu instid0(VALU_DEP_1)
	v_mul_f32_e32 v101, 0x3fb8aa3b, v91
	ds_load_2addr_b32 v[91:92], v82 offset0:204 offset1:221
	v_sub_f32_e32 v97, v94, v67
	ds_load_2addr_b32 v[93:94], v82 offset0:238 offset1:255
	s_waitcnt lgkmcnt(0)
	v_exp_f32_e32 v101, v101
	s_barrier
	buffer_gl0_inv
	v_dual_fmac_f32 v68, v101, v89 :: v_dual_sub_f32 v89, v96, v67
	v_dual_sub_f32 v82, v95, v67 :: v_dual_mul_f32 v95, 0x3fb8aa3b, v97
	v_exp_f32_e32 v97, v103
	s_delay_alu instid0(VALU_DEP_2) | instskip(NEXT) | instid1(VALU_DEP_2)
	v_dual_fmac_f32 v68, v102, v90 :: v_dual_mul_f32 v89, 0x3fb8aa3b, v89
	v_mul_f32_e32 v82, 0x3fb8aa3b, v82
	s_delay_alu instid0(VALU_DEP_3) | instskip(NEXT) | instid1(VALU_DEP_2)
	v_exp_f32_e32 v95, v95
	v_exp_f32_e32 v89, v89
	s_delay_alu instid0(VALU_DEP_1)
	v_exp_f32_e32 v82, v82
	v_fmac_f32_e32 v68, v97, v91
	s_delay_alu instid0(TRANS32_DEP_3) | instid1(VALU_DEP_1)
	v_fmac_f32_e32 v68, v95, v92
	s_waitcnt_depctr 0xfff
	v_fmac_f32_e32 v68, v82, v93
	s_delay_alu instid0(VALU_DEP_1) | instskip(NEXT) | instid1(VALU_DEP_1)
	v_fmac_f32_e32 v68, v89, v94
	v_add_f32_e32 v90, 0x358637bd, v68
	s_delay_alu instid0(VALU_DEP_1) | instskip(NEXT) | instid1(VALU_DEP_1)
	v_div_scale_f32 v91, null, v90, v90, 1.0
	v_rcp_f32_e32 v92, v91
	s_waitcnt_depctr 0xfff
	v_fma_f32 v93, -v91, v92, 1.0
	s_delay_alu instid0(VALU_DEP_1) | instskip(SKIP_1) | instid1(VALU_DEP_2)
	v_dual_fmac_f32 v92, v93, v92 :: v_dual_cndmask_b32 v93, v100, v99
	v_cmp_eq_u32_e32 vcc_lo, 3, v65
	v_cndmask_b32_e64 v93, v93, v101, s3
	v_cmp_eq_u32_e64 s3, 4, v65
	s_delay_alu instid0(VALU_DEP_2) | instskip(SKIP_1) | instid1(VALU_DEP_2)
	v_cndmask_b32_e32 v93, v93, v102, vcc_lo
	v_cmp_eq_u32_e32 vcc_lo, 5, v65
	v_cndmask_b32_e64 v93, v93, v97, s3
	v_cmp_eq_u32_e64 s3, 6, v65
	s_delay_alu instid0(VALU_DEP_2) | instskip(SKIP_1) | instid1(VALU_DEP_1)
	v_cndmask_b32_e32 v93, v93, v95, vcc_lo
	v_div_scale_f32 v94, s4, 1.0, v90, 1.0
	s_mov_b32 vcc_lo, s4
	s_delay_alu instid0(VALU_DEP_2) | instskip(NEXT) | instid1(VALU_DEP_2)
	v_cndmask_b32_e64 v82, v93, v82, s3
	v_mul_f32_e32 v96, v94, v92
	s_mov_b32 s3, exec_lo
	s_delay_alu instid0(VALU_DEP_2) | instskip(NEXT) | instid1(VALU_DEP_2)
	v_cndmask_b32_e64 v82, v82, v89, s5
	v_fma_f32 v98, -v91, v96, v94
	s_delay_alu instid0(VALU_DEP_1) | instskip(NEXT) | instid1(VALU_DEP_1)
	v_fmac_f32_e32 v96, v98, v92
	v_fma_f32 v91, -v91, v96, v94
	s_delay_alu instid0(VALU_DEP_1) | instskip(NEXT) | instid1(VALU_DEP_1)
	v_div_fmas_f32 v91, v91, v92, v96
	v_div_fixup_f32 v90, v91, v90, 1.0
	s_delay_alu instid0(VALU_DEP_1) | instskip(NEXT) | instid1(VALU_DEP_1)
	v_mul_f32_e32 v82, v82, v90
	v_mul_f32_e32 v87, v82, v87
	;; [unrolled: 1-line block ×7, first 2 shown]
	v_dual_mul_f32 v86, v82, v83 :: v_dual_and_b32 v91, 0x7f800000, v90
	v_mul_f32_e32 v85, v82, v76
                                        ; implicit-def: $vgpr76
	s_delay_alu instid0(VALU_DEP_2)
	v_cmpx_ne_u32_e32 0x7f800000, v91
	s_xor_b32 s3, exec_lo, s3
; %bb.13:
	v_bfe_u32 v76, v90, 16, 1
	s_delay_alu instid0(VALU_DEP_1)
	v_add3_u32 v76, v90, v76, 0x7fff
                                        ; implicit-def: $vgpr90
; %bb.14:
	s_and_not1_saveexec_b32 s3, s3
; %bb.15:
	v_and_b32_e32 v76, 0xffff, v90
	v_or_b32_e32 v83, 0x10000, v90
	s_delay_alu instid0(VALU_DEP_2) | instskip(NEXT) | instid1(VALU_DEP_2)
	v_cmp_eq_u32_e32 vcc_lo, 0, v76
	v_cndmask_b32_e32 v76, v83, v90, vcc_lo
; %bb.16:
	s_or_b32 exec_lo, exec_lo, s3
	v_and_b32_e32 v83, 0x7f800000, v85
	s_delay_alu instid0(VALU_DEP_1) | instskip(SKIP_1) | instid1(SALU_CYCLE_1)
	v_cmp_ne_u32_e32 vcc_lo, 0x7f800000, v83
                                        ; implicit-def: $vgpr83
	s_and_saveexec_b32 s3, vcc_lo
	s_xor_b32 s3, exec_lo, s3
; %bb.17:
	v_bfe_u32 v83, v85, 16, 1
	s_delay_alu instid0(VALU_DEP_1)
	v_add3_u32 v83, v85, v83, 0x7fff
                                        ; implicit-def: $vgpr85
; %bb.18:
	s_and_not1_saveexec_b32 s3, s3
; %bb.19:
	v_and_b32_e32 v83, 0xffff, v85
	v_or_b32_e32 v90, 0x10000, v85
	s_delay_alu instid0(VALU_DEP_2) | instskip(NEXT) | instid1(VALU_DEP_2)
	v_cmp_eq_u32_e32 vcc_lo, 0, v83
	v_cndmask_b32_e32 v83, v90, v85, vcc_lo
; %bb.20:
	s_or_b32 exec_lo, exec_lo, s3
	v_and_b32_e32 v85, 0x7f800000, v86
	s_delay_alu instid0(VALU_DEP_1) | instskip(SKIP_1) | instid1(SALU_CYCLE_1)
	v_cmp_ne_u32_e32 vcc_lo, 0x7f800000, v85
                                        ; implicit-def: $vgpr85
	s_and_saveexec_b32 s3, vcc_lo
	s_xor_b32 s3, exec_lo, s3
; %bb.21:
	v_bfe_u32 v85, v86, 16, 1
	s_delay_alu instid0(VALU_DEP_1)
	v_add3_u32 v85, v86, v85, 0x7fff
                                        ; implicit-def: $vgpr86
; %bb.22:
	s_and_not1_saveexec_b32 s3, s3
; %bb.23:
	v_and_b32_e32 v85, 0xffff, v86
	v_or_b32_e32 v90, 0x10000, v86
	s_delay_alu instid0(VALU_DEP_2) | instskip(NEXT) | instid1(VALU_DEP_2)
	v_cmp_eq_u32_e32 vcc_lo, 0, v85
	v_cndmask_b32_e32 v85, v90, v86, vcc_lo
; %bb.24:
	s_or_b32 exec_lo, exec_lo, s3
	v_and_b32_e32 v86, 0x7f800000, v89
	s_delay_alu instid0(VALU_DEP_1) | instskip(SKIP_1) | instid1(SALU_CYCLE_1)
	v_cmp_ne_u32_e32 vcc_lo, 0x7f800000, v86
                                        ; implicit-def: $vgpr86
	s_and_saveexec_b32 s3, vcc_lo
	s_xor_b32 s3, exec_lo, s3
; %bb.25:
	v_bfe_u32 v86, v89, 16, 1
	s_delay_alu instid0(VALU_DEP_1)
	v_add3_u32 v86, v89, v86, 0x7fff
                                        ; implicit-def: $vgpr89
; %bb.26:
	s_and_not1_saveexec_b32 s3, s3
; %bb.27:
	v_and_b32_e32 v86, 0xffff, v89
	v_or_b32_e32 v90, 0x10000, v89
	s_delay_alu instid0(VALU_DEP_2) | instskip(NEXT) | instid1(VALU_DEP_2)
	v_cmp_eq_u32_e32 vcc_lo, 0, v86
	v_cndmask_b32_e32 v86, v90, v89, vcc_lo
; %bb.28:
	s_or_b32 exec_lo, exec_lo, s3
	v_and_b32_e32 v89, 0x7f800000, v88
	s_delay_alu instid0(VALU_DEP_1) | instskip(SKIP_1) | instid1(SALU_CYCLE_1)
	v_cmp_ne_u32_e32 vcc_lo, 0x7f800000, v89
                                        ; implicit-def: $vgpr89
	s_and_saveexec_b32 s3, vcc_lo
	s_xor_b32 s3, exec_lo, s3
; %bb.29:
	v_bfe_u32 v89, v88, 16, 1
	s_delay_alu instid0(VALU_DEP_1)
	v_add3_u32 v89, v88, v89, 0x7fff
                                        ; implicit-def: $vgpr88
; %bb.30:
	s_and_not1_saveexec_b32 s3, s3
; %bb.31:
	v_and_b32_e32 v89, 0xffff, v88
	v_or_b32_e32 v90, 0x10000, v88
	s_delay_alu instid0(VALU_DEP_2) | instskip(NEXT) | instid1(VALU_DEP_2)
	v_cmp_eq_u32_e32 vcc_lo, 0, v89
	v_cndmask_b32_e32 v89, v90, v88, vcc_lo
; %bb.32:
	s_or_b32 exec_lo, exec_lo, s3
	v_and_b32_e32 v88, 0x7f800000, v87
	s_delay_alu instid0(VALU_DEP_1) | instskip(SKIP_1) | instid1(SALU_CYCLE_1)
	v_cmp_ne_u32_e32 vcc_lo, 0x7f800000, v88
                                        ; implicit-def: $vgpr88
	s_and_saveexec_b32 s3, vcc_lo
	s_xor_b32 s3, exec_lo, s3
; %bb.33:
	v_bfe_u32 v88, v87, 16, 1
	s_delay_alu instid0(VALU_DEP_1)
	v_add3_u32 v88, v87, v88, 0x7fff
                                        ; implicit-def: $vgpr87
; %bb.34:
	s_and_not1_saveexec_b32 s3, s3
; %bb.35:
	v_and_b32_e32 v88, 0xffff, v87
	v_or_b32_e32 v90, 0x10000, v87
	s_delay_alu instid0(VALU_DEP_2) | instskip(NEXT) | instid1(VALU_DEP_2)
	v_cmp_eq_u32_e32 vcc_lo, 0, v88
	v_cndmask_b32_e32 v88, v90, v87, vcc_lo
; %bb.36:
	s_or_b32 exec_lo, exec_lo, s3
	v_and_b32_e32 v87, 0x7f800000, v84
	s_delay_alu instid0(VALU_DEP_1) | instskip(SKIP_1) | instid1(SALU_CYCLE_1)
	v_cmp_ne_u32_e32 vcc_lo, 0x7f800000, v87
                                        ; implicit-def: $vgpr87
	s_and_saveexec_b32 s3, vcc_lo
	s_xor_b32 s3, exec_lo, s3
; %bb.37:
	v_bfe_u32 v87, v84, 16, 1
	s_delay_alu instid0(VALU_DEP_1)
	v_add3_u32 v87, v84, v87, 0x7fff
                                        ; implicit-def: $vgpr84
; %bb.38:
	s_and_not1_saveexec_b32 s3, s3
; %bb.39:
	v_and_b32_e32 v87, 0xffff, v84
	v_or_b32_e32 v90, 0x10000, v84
	s_delay_alu instid0(VALU_DEP_2) | instskip(NEXT) | instid1(VALU_DEP_2)
	v_cmp_eq_u32_e32 vcc_lo, 0, v87
	v_cndmask_b32_e32 v87, v90, v84, vcc_lo
; %bb.40:
	s_or_b32 exec_lo, exec_lo, s3
	v_and_b32_e32 v84, 0x7f800000, v80
	s_delay_alu instid0(VALU_DEP_1) | instskip(SKIP_1) | instid1(SALU_CYCLE_1)
	v_cmp_ne_u32_e32 vcc_lo, 0x7f800000, v84
                                        ; implicit-def: $vgpr84
	s_and_saveexec_b32 s3, vcc_lo
	s_xor_b32 s3, exec_lo, s3
; %bb.41:
	v_bfe_u32 v84, v80, 16, 1
	s_delay_alu instid0(VALU_DEP_1)
	v_add3_u32 v84, v80, v84, 0x7fff
                                        ; implicit-def: $vgpr80
; %bb.42:
	s_and_not1_saveexec_b32 s3, s3
; %bb.43:
	v_and_b32_e32 v84, 0xffff, v80
	v_or_b32_e32 v90, 0x10000, v80
	s_delay_alu instid0(VALU_DEP_2) | instskip(NEXT) | instid1(VALU_DEP_2)
	v_cmp_eq_u32_e32 vcc_lo, 0, v84
	v_cndmask_b32_e32 v84, v90, v80, vcc_lo
; %bb.44:
	s_or_b32 exec_lo, exec_lo, s3
	s_load_b64 s[34:35], s[0:1], 0x94
	v_lshlrev_b32_e32 v91, 4, v75
	s_delay_alu instid0(VALU_DEP_2)
	v_perm_b32 v90, v84, v87, 0x7060302
	v_dual_mul_f32 v77, v82, v77 :: v_dual_lshlrev_b32 v80, 6, v66
	v_lshlrev_b32_e32 v66, 11, v65
	v_perm_b32 v87, v83, v76, 0x7060302
	v_mul_f32_e32 v83, v82, v70
	v_perm_b32 v89, v88, v89, 0x7060302
	v_perm_b32 v88, v86, v85, 0x7060302
	v_or3_b32 v76, v91, v66, v80
	v_mul_f32_e32 v66, v82, v81
	v_mul_f32_e32 v70, v82, v79
	;; [unrolled: 1-line block ×3, first 2 shown]
	v_dual_mul_f32 v81, v82, v72 :: v_dual_and_b32 v84, 0x7f800000, v83
	v_mul_f32_e32 v79, v82, v71
	v_mul_f32_e32 v72, v82, v69
	s_mov_b32 s3, exec_lo
	ds_store_b128 v76, v[87:90]
                                        ; implicit-def: $vgpr69
	v_cmpx_ne_u32_e32 0x7f800000, v84
	s_xor_b32 s3, exec_lo, s3
; %bb.45:
	v_bfe_u32 v69, v83, 16, 1
	s_delay_alu instid0(VALU_DEP_1)
	v_add3_u32 v69, v83, v69, 0x7fff
                                        ; implicit-def: $vgpr83
; %bb.46:
	s_and_not1_saveexec_b32 s3, s3
; %bb.47:
	v_and_b32_e32 v69, 0xffff, v83
	v_or_b32_e32 v71, 0x10000, v83
	s_delay_alu instid0(VALU_DEP_2) | instskip(NEXT) | instid1(VALU_DEP_2)
	v_cmp_eq_u32_e32 vcc_lo, 0, v69
	v_cndmask_b32_e32 v69, v71, v83, vcc_lo
; %bb.48:
	s_or_b32 exec_lo, exec_lo, s3
	v_and_b32_e32 v71, 0x7f800000, v72
	s_delay_alu instid0(VALU_DEP_1) | instskip(SKIP_1) | instid1(SALU_CYCLE_1)
	v_cmp_ne_u32_e32 vcc_lo, 0x7f800000, v71
                                        ; implicit-def: $vgpr71
	s_and_saveexec_b32 s3, vcc_lo
	s_xor_b32 s3, exec_lo, s3
; %bb.49:
	v_bfe_u32 v71, v72, 16, 1
	s_delay_alu instid0(VALU_DEP_1)
	v_add3_u32 v71, v72, v71, 0x7fff
                                        ; implicit-def: $vgpr72
; %bb.50:
	s_and_not1_saveexec_b32 s3, s3
; %bb.51:
	v_and_b32_e32 v71, 0xffff, v72
	v_or_b32_e32 v82, 0x10000, v72
	s_delay_alu instid0(VALU_DEP_2) | instskip(NEXT) | instid1(VALU_DEP_2)
	v_cmp_eq_u32_e32 vcc_lo, 0, v71
	v_cndmask_b32_e32 v71, v82, v72, vcc_lo
; %bb.52:
	s_or_b32 exec_lo, exec_lo, s3
	v_and_b32_e32 v72, 0x7f800000, v79
	s_delay_alu instid0(VALU_DEP_1) | instskip(SKIP_1) | instid1(SALU_CYCLE_1)
	v_cmp_ne_u32_e32 vcc_lo, 0x7f800000, v72
                                        ; implicit-def: $vgpr72
	s_and_saveexec_b32 s3, vcc_lo
	s_xor_b32 s3, exec_lo, s3
; %bb.53:
	v_bfe_u32 v72, v79, 16, 1
	s_delay_alu instid0(VALU_DEP_1)
	v_add3_u32 v72, v79, v72, 0x7fff
                                        ; implicit-def: $vgpr79
; %bb.54:
	s_and_not1_saveexec_b32 s3, s3
; %bb.55:
	v_and_b32_e32 v72, 0xffff, v79
	v_or_b32_e32 v82, 0x10000, v79
	s_delay_alu instid0(VALU_DEP_2) | instskip(NEXT) | instid1(VALU_DEP_2)
	v_cmp_eq_u32_e32 vcc_lo, 0, v72
	v_cndmask_b32_e32 v72, v82, v79, vcc_lo
; %bb.56:
	s_or_b32 exec_lo, exec_lo, s3
	v_and_b32_e32 v79, 0x7f800000, v81
	s_delay_alu instid0(VALU_DEP_1) | instskip(SKIP_1) | instid1(SALU_CYCLE_1)
	v_cmp_ne_u32_e32 vcc_lo, 0x7f800000, v79
                                        ; implicit-def: $vgpr79
	s_and_saveexec_b32 s3, vcc_lo
	s_xor_b32 s3, exec_lo, s3
; %bb.57:
	v_bfe_u32 v79, v81, 16, 1
	s_delay_alu instid0(VALU_DEP_1)
	v_add3_u32 v79, v81, v79, 0x7fff
                                        ; implicit-def: $vgpr81
; %bb.58:
	s_and_not1_saveexec_b32 s3, s3
; %bb.59:
	v_and_b32_e32 v79, 0xffff, v81
	v_or_b32_e32 v82, 0x10000, v81
	s_delay_alu instid0(VALU_DEP_2) | instskip(NEXT) | instid1(VALU_DEP_2)
	v_cmp_eq_u32_e32 vcc_lo, 0, v79
	v_cndmask_b32_e32 v79, v82, v81, vcc_lo
; %bb.60:
	s_or_b32 exec_lo, exec_lo, s3
	v_and_b32_e32 v81, 0x7f800000, v77
	s_delay_alu instid0(VALU_DEP_1) | instskip(SKIP_1) | instid1(SALU_CYCLE_1)
	v_cmp_ne_u32_e32 vcc_lo, 0x7f800000, v81
                                        ; implicit-def: $vgpr81
	s_and_saveexec_b32 s3, vcc_lo
	s_xor_b32 s3, exec_lo, s3
; %bb.61:
	v_bfe_u32 v81, v77, 16, 1
	s_delay_alu instid0(VALU_DEP_1)
	v_add3_u32 v81, v77, v81, 0x7fff
                                        ; implicit-def: $vgpr77
; %bb.62:
	s_and_not1_saveexec_b32 s3, s3
; %bb.63:
	v_and_b32_e32 v81, 0xffff, v77
	v_or_b32_e32 v82, 0x10000, v77
	s_delay_alu instid0(VALU_DEP_2) | instskip(NEXT) | instid1(VALU_DEP_2)
	v_cmp_eq_u32_e32 vcc_lo, 0, v81
	v_cndmask_b32_e32 v81, v82, v77, vcc_lo
; %bb.64:
	s_or_b32 exec_lo, exec_lo, s3
	v_and_b32_e32 v77, 0x7f800000, v78
	s_delay_alu instid0(VALU_DEP_1) | instskip(SKIP_1) | instid1(SALU_CYCLE_1)
	v_cmp_ne_u32_e32 vcc_lo, 0x7f800000, v77
                                        ; implicit-def: $vgpr77
	s_and_saveexec_b32 s3, vcc_lo
	s_xor_b32 s3, exec_lo, s3
; %bb.65:
	v_bfe_u32 v77, v78, 16, 1
	s_delay_alu instid0(VALU_DEP_1)
	v_add3_u32 v77, v78, v77, 0x7fff
                                        ; implicit-def: $vgpr78
; %bb.66:
	s_and_not1_saveexec_b32 s3, s3
; %bb.67:
	v_and_b32_e32 v77, 0xffff, v78
	v_or_b32_e32 v82, 0x10000, v78
	s_delay_alu instid0(VALU_DEP_2) | instskip(NEXT) | instid1(VALU_DEP_2)
	v_cmp_eq_u32_e32 vcc_lo, 0, v77
	v_cndmask_b32_e32 v77, v82, v78, vcc_lo
; %bb.68:
	s_or_b32 exec_lo, exec_lo, s3
	v_and_b32_e32 v78, 0x7f800000, v70
	s_delay_alu instid0(VALU_DEP_1) | instskip(SKIP_1) | instid1(SALU_CYCLE_1)
	v_cmp_ne_u32_e32 vcc_lo, 0x7f800000, v78
                                        ; implicit-def: $vgpr78
	s_and_saveexec_b32 s3, vcc_lo
	s_xor_b32 s3, exec_lo, s3
; %bb.69:
	v_bfe_u32 v78, v70, 16, 1
	s_delay_alu instid0(VALU_DEP_1)
	v_add3_u32 v78, v70, v78, 0x7fff
                                        ; implicit-def: $vgpr70
; %bb.70:
	s_and_not1_saveexec_b32 s3, s3
; %bb.71:
	v_and_b32_e32 v78, 0xffff, v70
	v_or_b32_e32 v82, 0x10000, v70
	s_delay_alu instid0(VALU_DEP_2) | instskip(NEXT) | instid1(VALU_DEP_2)
	v_cmp_eq_u32_e32 vcc_lo, 0, v78
	v_cndmask_b32_e32 v78, v82, v70, vcc_lo
; %bb.72:
	s_or_b32 exec_lo, exec_lo, s3
	v_and_b32_e32 v70, 0x7f800000, v66
	s_delay_alu instid0(VALU_DEP_1) | instskip(SKIP_1) | instid1(SALU_CYCLE_1)
	v_cmp_ne_u32_e32 vcc_lo, 0x7f800000, v70
                                        ; implicit-def: $vgpr70
	s_and_saveexec_b32 s3, vcc_lo
	s_xor_b32 s3, exec_lo, s3
; %bb.73:
	v_bfe_u32 v70, v66, 16, 1
	s_delay_alu instid0(VALU_DEP_1)
	v_add3_u32 v70, v66, v70, 0x7fff
                                        ; implicit-def: $vgpr66
; %bb.74:
	s_and_not1_saveexec_b32 s3, s3
; %bb.75:
	v_and_b32_e32 v70, 0xffff, v66
	v_or_b32_e32 v82, 0x10000, v66
	s_delay_alu instid0(VALU_DEP_2) | instskip(NEXT) | instid1(VALU_DEP_2)
	v_cmp_eq_u32_e32 vcc_lo, 0, v70
	v_cndmask_b32_e32 v70, v82, v66, vcc_lo
; %bb.76:
	s_or_b32 exec_lo, exec_lo, s3
	s_delay_alu instid0(VALU_DEP_1)
	v_perm_b32 v86, v70, v78, 0x7060302
	v_perm_b32 v85, v77, v81, 0x7060302
	;; [unrolled: 1-line block ×4, first 2 shown]
	v_lshl_or_b32 v82, v65, 11, v80
	ds_store_b128 v76, v[83:86] offset:1024
	s_waitcnt lgkmcnt(0)
	s_barrier
	buffer_gl0_inv
	ds_load_b128 v[69:72], v82
	ds_load_b128 v[83:86], v82 offset:16
	s_waitcnt lgkmcnt(1)
	v_lshrrev_b32_e32 v65, 16, v69
	v_lshlrev_b32_e32 v78, 2, v75
	s_waitcnt lgkmcnt(0)
	v_lshrrev_b32_e32 v91, 16, v83
	v_lshrrev_b32_e32 v66, 16, v70
	;; [unrolled: 1-line block ×4, first 2 shown]
	v_cmp_eq_u32_e32 vcc_lo, 1, v78
	v_lshrrev_b32_e32 v98, 16, v85
	v_lshrrev_b32_e32 v96, 16, v72
	;; [unrolled: 1-line block ×3, first 2 shown]
	v_cndmask_b32_e32 v81, v69, v65, vcc_lo
	v_or_b32_e32 v79, 1, v78
	v_cmp_eq_u32_e64 s4, 2, v78
	v_cndmask_b32_e32 v87, v83, v91, vcc_lo
	v_cmp_eq_u32_e64 s7, 3, v78
	v_cmp_eq_u32_e64 s9, 4, v78
	;; [unrolled: 1-line block ×3, first 2 shown]
	v_cndmask_b32_e64 v81, v81, v70, s4
	v_cmp_eq_u32_e64 s6, 2, v79
	v_cndmask_b32_e64 v87, v87, v84, s4
	v_cmp_eq_u32_e64 s8, 3, v79
	v_cndmask_b32_e64 v88, v69, v65, s3
	v_cndmask_b32_e64 v81, v81, v66, s7
	v_or_b32_e32 v77, 2, v78
	v_cndmask_b32_e64 v87, v87, v97, s7
	v_cndmask_b32_e64 v89, v83, v91, s3
	;; [unrolled: 1-line block ×4, first 2 shown]
	v_cmp_eq_u32_e64 s10, 5, v78
	v_cndmask_b32_e64 v87, v87, v85, s9
	v_cmp_eq_u32_e64 s11, 4, v79
	v_cndmask_b32_e64 v88, v88, v66, s8
	;; [unrolled: 2-line block ×3, first 2 shown]
	v_cndmask_b32_e64 v81, v81, v95, s10
	v_cmp_eq_u32_e64 s12, 6, v78
	v_cndmask_b32_e64 v88, v88, v71, s11
	v_cndmask_b32_e64 v87, v87, v98, s10
	v_cmp_eq_u32_e64 s13, 5, v79
	v_cndmask_b32_e64 v90, v69, v65, s5
	v_cndmask_b32_e64 v89, v89, v97, s8
	;; [unrolled: 1-line block ×3, first 2 shown]
	v_cmp_eq_u32_e64 s15, 7, v78
	v_cndmask_b32_e64 v88, v88, v95, s13
	v_cndmask_b32_e64 v87, v87, v86, s12
	v_cmp_eq_u32_e64 s16, 6, v79
	v_cmp_eq_u32_e64 s17, 2, v77
	v_cndmask_b32_e64 v89, v89, v85, s11
	v_cndmask_b32_e64 v100, v81, v96, s15
	;; [unrolled: 1-line block ×6, first 2 shown]
	v_cmp_eq_u32_e64 s18, 7, v79
	v_cmp_eq_u32_e64 s19, 3, v77
	;; [unrolled: 1-line block ×4, first 2 shown]
	v_cndmask_b32_e64 v87, v87, v84, s17
	v_cndmask_b32_e64 v102, v88, v96, s18
	;; [unrolled: 1-line block ×4, first 2 shown]
	v_or_b32_e32 v81, 3, v78
	v_cndmask_b32_e64 v93, v87, v97, s19
	v_cmp_eq_u32_e64 s24, 6, v77
	v_cndmask_b32_e64 v103, v88, v86, s16
	v_cndmask_b32_e64 v92, v89, v71, s20
	v_cmp_eq_u32_e64 s21, 1, v81
	ds_load_b128 v[87:90], v82 offset:1024
	v_cmp_eq_u32_e64 s23, 2, v81
	v_cmp_eq_u32_e64 s25, 3, v81
	v_cndmask_b32_e64 v104, v92, v95, s22
	v_cndmask_b32_e64 v65, v69, v65, s21
	;; [unrolled: 1-line block ×4, first 2 shown]
	ds_load_b128 v[91:94], v82 offset:1040
	v_cmp_eq_u32_e64 s26, 4, v81
	v_cndmask_b32_e64 v65, v65, v70, s23
	v_cmp_eq_u32_e64 s28, 5, v81
	v_cndmask_b32_e64 v70, v83, v84, s23
	;; [unrolled: 2-line block ×3, first 2 shown]
	v_cndmask_b32_e64 v65, v65, v66, s25
	v_cndmask_b32_e64 v66, v104, v72, s24
	;; [unrolled: 1-line block ×3, first 2 shown]
	v_cmp_eq_u32_e64 s27, 7, v77
	v_cndmask_b32_e64 v69, v69, v86, s24
	v_cndmask_b32_e64 v65, v65, v71, s26
	s_waitcnt lgkmcnt(1)
	v_lshrrev_b32_e32 v84, 16, v87
	v_cndmask_b32_e64 v70, v70, v85, s26
	v_cndmask_b32_e64 v83, v103, v99, s18
	;; [unrolled: 1-line block ×4, first 2 shown]
	v_lshrrev_b32_e32 v95, 16, v88
	v_cndmask_b32_e64 v70, v70, v98, s28
	s_waitcnt lgkmcnt(0)
	v_lshrrev_b32_e32 v85, 16, v91
	v_cndmask_b32_e64 v97, v87, v84, s3
	v_cndmask_b32_e64 v65, v65, v72, s29
	;; [unrolled: 1-line block ×4, first 2 shown]
	v_cndmask_b32_e32 v71, v87, v84, vcc_lo
	v_cndmask_b32_e32 v98, v91, v85, vcc_lo
	v_cmp_eq_u32_e32 vcc_lo, 7, v81
	v_cndmask_b32_e64 v72, v97, v88, s6
	v_lshrrev_b32_e32 v97, 16, v92
	v_lshrrev_b32_e32 v103, 16, v90
	v_dual_cndmask_b32 v65, v65, v96 :: v_dual_cndmask_b32 v70, v70, v99
	v_cndmask_b32_e64 v71, v71, v88, s4
	v_cndmask_b32_e64 v86, v98, v92, s4
	;; [unrolled: 1-line block ×3, first 2 shown]
	v_lshrrev_b32_e32 v98, 16, v89
	v_lshrrev_b32_e32 v99, 16, v93
	v_cndmask_b32_e64 v71, v71, v95, s7
	v_cndmask_b32_e64 v86, v86, v97, s7
	;; [unrolled: 1-line block ×3, first 2 shown]
	v_perm_b32 v72, v70, v65, 0x5040100
	v_perm_b32 v70, v83, v102, 0x5040100
	v_cndmask_b32_e64 v71, v71, v89, s9
	v_cndmask_b32_e64 v86, v86, v93, s9
	;; [unrolled: 1-line block ×3, first 2 shown]
	v_lshrrev_b32_e32 v83, 16, v94
	s_delay_alu instid0(VALU_DEP_4) | instskip(NEXT) | instid1(VALU_DEP_4)
	v_cndmask_b32_e64 v71, v71, v98, s10
	v_cndmask_b32_e64 v86, v86, v99, s10
	s_delay_alu instid0(VALU_DEP_4) | instskip(NEXT) | instid1(VALU_DEP_3)
	v_cndmask_b32_e64 v65, v65, v90, s16
	v_cndmask_b32_e64 v96, v71, v90, s12
	v_perm_b32 v71, v69, v66, 0x5040100
	s_delay_alu instid0(VALU_DEP_4)
	v_cndmask_b32_e64 v69, v86, v94, s12
	v_cndmask_b32_e64 v86, v87, v84, s5
	;; [unrolled: 1-line block ×34, first 2 shown]
	v_cndmask_b32_e32 v84, v84, v103, vcc_lo
	v_cndmask_b32_e32 v86, v87, v83, vcc_lo
	v_cndmask_b32_e64 v87, v88, v83, s27
	v_cndmask_b32_e64 v88, v85, v83, s18
	;; [unrolled: 1-line block ×3, first 2 shown]
	v_perm_b32 v69, v101, v100, 0x5040100
	v_perm_b32 v86, v86, v84, 0x5040100
	;; [unrolled: 1-line block ×5, first 2 shown]
	s_lshl_b32 s8, s35, 3
	s_mov_b32 s3, exec_lo
	ds_store_b128 v76, v[69:72]
	ds_store_b128 v76, v[83:86] offset:1024
	v_cmpx_gt_u32_e32 8, v0
	s_cbranch_execz .LBB1353_78
; %bb.77:
	v_or_b32_e32 v65, s31, v0
	s_load_b128 s[4:7], s[0:1], 0x58
	s_delay_alu instid0(VALU_DEP_1) | instskip(NEXT) | instid1(VALU_DEP_1)
	v_mad_u64_u32 v[69:70], null, s8, s30, v[65:66]
	v_mad_u64_u32 v[65:66], null, v69, s34, s[14:15]
	s_delay_alu instid0(VALU_DEP_1) | instskip(NEXT) | instid1(VALU_DEP_1)
	v_ashrrev_i32_e32 v66, 31, v65
	v_lshlrev_b64 v[65:66], 2, v[65:66]
	s_waitcnt lgkmcnt(0)
	s_delay_alu instid0(VALU_DEP_1) | instskip(NEXT) | instid1(VALU_DEP_2)
	v_add_co_u32 v69, vcc_lo, s6, v65
	v_add_co_ci_u32_e32 v70, vcc_lo, s7, v66, vcc_lo
	v_add_co_u32 v65, vcc_lo, s4, v65
	v_add_co_ci_u32_e32 v66, vcc_lo, s5, v66, vcc_lo
	global_store_b32 v[69:70], v67, off
	global_store_b32 v[65:66], v68, off
.LBB1353_78:
	s_or_b32 exec_lo, exec_lo, s3
	s_waitcnt lgkmcnt(0)
	s_waitcnt_vscnt null, 0x0
	s_barrier
	buffer_gl0_inv
	ds_load_b128 v[83:86], v80
	ds_load_b128 v[87:90], v80 offset:16
	ds_load_b128 v[95:98], v80 offset:2064
	;; [unrolled: 1-line block ×3, first 2 shown]
	v_mov_b32_e32 v65, 0
	ds_load_b128 v[103:106], v80 offset:4112
	ds_load_b128 v[99:102], v80 offset:4096
	;; [unrolled: 1-line block ×4, first 2 shown]
	v_mov_b32_e32 v66, v65
	v_mov_b32_e32 v67, v65
	;; [unrolled: 1-line block ×7, first 2 shown]
	s_waitcnt lgkmcnt(6)
	s_delay_alu instid0(VALU_DEP_1)
	v_wmma_f32_16x16x16_bf16 v[65:72], v[57:64], v[83:90], v[65:72]
	ds_load_b128 v[61:64], v80 offset:8208
	ds_load_b128 v[57:60], v80 offset:8192
	s_waitcnt lgkmcnt(6)
	v_wmma_f32_16x16x16_bf16 v[65:72], v[41:48], v[91:98], v[65:72]
	ds_load_b128 v[45:48], v80 offset:10256
	ds_load_b128 v[41:44], v80 offset:10240
	s_waitcnt lgkmcnt(6)
	;; [unrolled: 4-line block ×4, first 2 shown]
	v_wmma_f32_16x16x16_bf16 v[65:72], v[1:8], v[57:64], v[65:72]
	s_waitcnt lgkmcnt(4)
	s_delay_alu instid0(VALU_DEP_1) | instskip(SKIP_1) | instid1(VALU_DEP_1)
	v_wmma_f32_16x16x16_bf16 v[65:72], v[9:16], v[41:48], v[65:72]
	s_waitcnt lgkmcnt(2)
	v_wmma_f32_16x16x16_bf16 v[65:72], v[17:24], v[33:40], v[65:72]
	s_waitcnt lgkmcnt(0)
	s_delay_alu instid0(VALU_DEP_1) | instskip(NEXT) | instid1(VALU_DEP_1)
	v_wmma_f32_16x16x16_bf16 v[65:72], v[49:56], v[25:32], v[65:72]
	v_and_b32_e32 v1, 0x7f800000, v65
	s_delay_alu instid0(VALU_DEP_1) | instskip(SKIP_1) | instid1(SALU_CYCLE_1)
	v_cmp_ne_u32_e32 vcc_lo, 0x7f800000, v1
                                        ; implicit-def: $vgpr1
	s_and_saveexec_b32 s3, vcc_lo
	s_xor_b32 s3, exec_lo, s3
; %bb.79:
	v_bfe_u32 v1, v65, 16, 1
	s_delay_alu instid0(VALU_DEP_1)
	v_add3_u32 v1, v65, v1, 0x7fff
; %bb.80:
	s_and_not1_saveexec_b32 s3, s3
; %bb.81:
	v_and_b32_e32 v1, 0xffff, v65
	v_or_b32_e32 v2, 0x10000, v65
	s_delay_alu instid0(VALU_DEP_2) | instskip(NEXT) | instid1(VALU_DEP_2)
	v_cmp_eq_u32_e32 vcc_lo, 0, v1
	v_cndmask_b32_e32 v1, v2, v65, vcc_lo
; %bb.82:
	s_or_b32 exec_lo, exec_lo, s3
	v_and_b32_e32 v2, 0x7f800000, v66
	s_delay_alu instid0(VALU_DEP_1) | instskip(SKIP_1) | instid1(SALU_CYCLE_1)
	v_cmp_ne_u32_e32 vcc_lo, 0x7f800000, v2
                                        ; implicit-def: $vgpr2
	s_and_saveexec_b32 s3, vcc_lo
	s_xor_b32 s3, exec_lo, s3
; %bb.83:
	v_bfe_u32 v2, v66, 16, 1
	s_delay_alu instid0(VALU_DEP_1)
	v_add3_u32 v2, v66, v2, 0x7fff
; %bb.84:
	s_and_not1_saveexec_b32 s3, s3
; %bb.85:
	v_and_b32_e32 v2, 0xffff, v66
	v_or_b32_e32 v3, 0x10000, v66
	s_delay_alu instid0(VALU_DEP_2) | instskip(NEXT) | instid1(VALU_DEP_2)
	v_cmp_eq_u32_e32 vcc_lo, 0, v2
	v_cndmask_b32_e32 v2, v3, v66, vcc_lo
; %bb.86:
	s_or_b32 exec_lo, exec_lo, s3
	v_and_b32_e32 v3, 0x7f800000, v67
	s_delay_alu instid0(VALU_DEP_1) | instskip(SKIP_1) | instid1(SALU_CYCLE_1)
	v_cmp_ne_u32_e32 vcc_lo, 0x7f800000, v3
                                        ; implicit-def: $vgpr3
	s_and_saveexec_b32 s3, vcc_lo
	s_xor_b32 s3, exec_lo, s3
; %bb.87:
	v_bfe_u32 v3, v67, 16, 1
	s_delay_alu instid0(VALU_DEP_1)
	v_add3_u32 v3, v67, v3, 0x7fff
; %bb.88:
	s_and_not1_saveexec_b32 s3, s3
; %bb.89:
	v_and_b32_e32 v3, 0xffff, v67
	v_or_b32_e32 v4, 0x10000, v67
	s_delay_alu instid0(VALU_DEP_2) | instskip(NEXT) | instid1(VALU_DEP_2)
	v_cmp_eq_u32_e32 vcc_lo, 0, v3
	v_cndmask_b32_e32 v3, v4, v67, vcc_lo
; %bb.90:
	s_or_b32 exec_lo, exec_lo, s3
	v_and_b32_e32 v4, 0x7f800000, v68
	s_delay_alu instid0(VALU_DEP_1) | instskip(SKIP_1) | instid1(SALU_CYCLE_1)
	v_cmp_ne_u32_e32 vcc_lo, 0x7f800000, v4
                                        ; implicit-def: $vgpr4
	s_and_saveexec_b32 s3, vcc_lo
	s_xor_b32 s3, exec_lo, s3
; %bb.91:
	v_bfe_u32 v4, v68, 16, 1
	s_delay_alu instid0(VALU_DEP_1)
	v_add3_u32 v4, v68, v4, 0x7fff
; %bb.92:
	s_and_not1_saveexec_b32 s3, s3
; %bb.93:
	v_and_b32_e32 v4, 0xffff, v68
	v_or_b32_e32 v5, 0x10000, v68
	s_delay_alu instid0(VALU_DEP_2) | instskip(NEXT) | instid1(VALU_DEP_2)
	v_cmp_eq_u32_e32 vcc_lo, 0, v4
	v_cndmask_b32_e32 v4, v5, v68, vcc_lo
; %bb.94:
	s_or_b32 exec_lo, exec_lo, s3
	v_and_b32_e32 v5, 0x7f800000, v69
	s_delay_alu instid0(VALU_DEP_1) | instskip(SKIP_1) | instid1(SALU_CYCLE_1)
	v_cmp_ne_u32_e32 vcc_lo, 0x7f800000, v5
                                        ; implicit-def: $vgpr5
	s_and_saveexec_b32 s3, vcc_lo
	s_xor_b32 s3, exec_lo, s3
; %bb.95:
	v_bfe_u32 v5, v69, 16, 1
	s_delay_alu instid0(VALU_DEP_1)
	v_add3_u32 v5, v69, v5, 0x7fff
; %bb.96:
	s_and_not1_saveexec_b32 s3, s3
; %bb.97:
	v_and_b32_e32 v5, 0xffff, v69
	v_or_b32_e32 v6, 0x10000, v69
	s_delay_alu instid0(VALU_DEP_2) | instskip(NEXT) | instid1(VALU_DEP_2)
	v_cmp_eq_u32_e32 vcc_lo, 0, v5
	v_cndmask_b32_e32 v5, v6, v69, vcc_lo
; %bb.98:
	s_or_b32 exec_lo, exec_lo, s3
	v_and_b32_e32 v6, 0x7f800000, v70
	s_delay_alu instid0(VALU_DEP_1) | instskip(SKIP_1) | instid1(SALU_CYCLE_1)
	v_cmp_ne_u32_e32 vcc_lo, 0x7f800000, v6
                                        ; implicit-def: $vgpr6
	s_and_saveexec_b32 s3, vcc_lo
	s_xor_b32 s3, exec_lo, s3
; %bb.99:
	v_bfe_u32 v6, v70, 16, 1
	s_delay_alu instid0(VALU_DEP_1)
	v_add3_u32 v6, v70, v6, 0x7fff
; %bb.100:
	s_and_not1_saveexec_b32 s3, s3
; %bb.101:
	v_and_b32_e32 v6, 0xffff, v70
	v_or_b32_e32 v7, 0x10000, v70
	s_delay_alu instid0(VALU_DEP_2) | instskip(NEXT) | instid1(VALU_DEP_2)
	v_cmp_eq_u32_e32 vcc_lo, 0, v6
	v_cndmask_b32_e32 v6, v7, v70, vcc_lo
; %bb.102:
	s_or_b32 exec_lo, exec_lo, s3
	v_and_b32_e32 v7, 0x7f800000, v71
	s_delay_alu instid0(VALU_DEP_1) | instskip(SKIP_1) | instid1(SALU_CYCLE_1)
	v_cmp_ne_u32_e32 vcc_lo, 0x7f800000, v7
                                        ; implicit-def: $vgpr7
	s_and_saveexec_b32 s3, vcc_lo
	s_xor_b32 s3, exec_lo, s3
; %bb.103:
	v_bfe_u32 v7, v71, 16, 1
	s_delay_alu instid0(VALU_DEP_1)
	v_add3_u32 v7, v71, v7, 0x7fff
; %bb.104:
	s_and_not1_saveexec_b32 s3, s3
; %bb.105:
	v_and_b32_e32 v7, 0xffff, v71
	v_or_b32_e32 v8, 0x10000, v71
	s_delay_alu instid0(VALU_DEP_2) | instskip(NEXT) | instid1(VALU_DEP_2)
	v_cmp_eq_u32_e32 vcc_lo, 0, v7
	v_cndmask_b32_e32 v7, v8, v71, vcc_lo
; %bb.106:
	s_or_b32 exec_lo, exec_lo, s3
	v_and_b32_e32 v8, 0x7f800000, v72
	s_delay_alu instid0(VALU_DEP_1) | instskip(SKIP_1) | instid1(SALU_CYCLE_1)
	v_cmp_ne_u32_e32 vcc_lo, 0x7f800000, v8
                                        ; implicit-def: $vgpr8
	s_and_saveexec_b32 s3, vcc_lo
	s_xor_b32 s3, exec_lo, s3
; %bb.107:
	v_bfe_u32 v8, v72, 16, 1
	s_delay_alu instid0(VALU_DEP_1)
	v_add3_u32 v8, v72, v8, 0x7fff
                                        ; implicit-def: $vgpr65_vgpr66_vgpr67_vgpr68_vgpr69_vgpr70_vgpr71_vgpr72
; %bb.108:
	s_and_not1_saveexec_b32 s3, s3
; %bb.109:
	v_and_b32_e32 v8, 0xffff, v72
	v_or_b32_e32 v9, 0x10000, v72
	s_delay_alu instid0(VALU_DEP_2) | instskip(NEXT) | instid1(VALU_DEP_2)
	v_cmp_eq_u32_e32 vcc_lo, 0, v8
	v_cndmask_b32_e32 v8, v9, v72, vcc_lo
; %bb.110:
	s_or_b32 exec_lo, exec_lo, s3
	s_delay_alu instid0(VALU_DEP_1)
	v_perm_b32 v7, v8, v7, 0x7060302
	v_perm_b32 v6, v6, v5, 0x7060302
	;; [unrolled: 1-line block ×4, first 2 shown]
	s_barrier
	buffer_gl0_inv
	v_cmp_eq_u32_e32 vcc_lo, 1, v78
	ds_store_b128 v76, v[4:7]
	s_waitcnt lgkmcnt(0)
	s_barrier
	buffer_gl0_inv
	ds_load_b128 v[1:4], v82
	ds_load_b128 v[5:8], v82 offset:16
	v_cmp_eq_u32_e64 s3, 1, v79
	v_cmp_eq_u32_e64 s4, 2, v78
	;; [unrolled: 1-line block ×5, first 2 shown]
	s_waitcnt lgkmcnt(1)
	v_lshrrev_b32_e32 v9, 16, v1
	s_waitcnt lgkmcnt(0)
	v_lshrrev_b32_e32 v13, 16, v5
	v_lshrrev_b32_e32 v10, 16, v2
	;; [unrolled: 1-line block ×4, first 2 shown]
	v_cndmask_b32_e64 v19, v1, v9, s3
	v_cndmask_b32_e32 v18, v5, v13, vcc_lo
	v_cndmask_b32_e64 v20, v5, v13, s3
	v_cndmask_b32_e32 v17, v1, v9, vcc_lo
	v_cmp_eq_u32_e32 vcc_lo, 2, v79
	v_lshrrev_b32_e32 v15, 16, v7
	v_cmp_eq_u32_e64 s3, 1, v77
	v_lshrrev_b32_e32 v12, 16, v4
	v_lshrrev_b32_e32 v16, 16, v8
	v_cndmask_b32_e32 v20, v20, v6, vcc_lo
	v_cndmask_b32_e64 v17, v17, v2, s4
	v_cndmask_b32_e32 v19, v19, v2, vcc_lo
	v_cndmask_b32_e64 v18, v18, v6, s4
	v_cmp_eq_u32_e32 vcc_lo, 4, v78
	v_cmp_eq_u32_e64 s4, 3, v79
	v_cndmask_b32_e64 v17, v17, v10, s5
	v_cndmask_b32_e64 v21, v1, v9, s3
	;; [unrolled: 1-line block ×5, first 2 shown]
	v_cndmask_b32_e32 v17, v17, v3, vcc_lo
	v_cndmask_b32_e64 v20, v20, v14, s4
	v_cndmask_b32_e32 v18, v18, v7, vcc_lo
	v_cmp_eq_u32_e32 vcc_lo, 4, v79
	v_cmp_eq_u32_e64 s4, 5, v79
	v_cmp_eq_u32_e64 s3, 2, v81
	v_cndmask_b32_e64 v21, v21, v2, s7
	v_cmp_eq_u32_e64 s5, 5, v78
	v_cndmask_b32_e32 v19, v19, v3, vcc_lo
	v_cndmask_b32_e32 v20, v20, v7, vcc_lo
	v_cmp_eq_u32_e32 vcc_lo, 6, v79
	s_delay_alu instid0(VALU_DEP_4) | instskip(NEXT) | instid1(VALU_DEP_4)
	v_cndmask_b32_e64 v17, v17, v11, s5
	v_cndmask_b32_e64 v19, v19, v11, s4
	s_delay_alu instid0(VALU_DEP_4) | instskip(SKIP_1) | instid1(VALU_DEP_3)
	v_cndmask_b32_e64 v20, v20, v15, s4
	v_cmp_eq_u32_e64 s4, 1, v81
	v_cndmask_b32_e32 v19, v19, v4, vcc_lo
	v_cndmask_b32_e64 v18, v18, v15, s5
	s_delay_alu instid0(VALU_DEP_3)
	v_cndmask_b32_e64 v1, v1, v9, s4
	v_cndmask_b32_e64 v5, v5, v13, s4
	v_cmp_eq_u32_e64 s4, 3, v77
	v_cndmask_b32_e64 v13, v22, v6, s7
	v_cmp_eq_u32_e64 s7, 3, v81
	v_cndmask_b32_e64 v1, v1, v2, s3
	v_cndmask_b32_e64 v2, v5, v6, s3
	;; [unrolled: 1-line block ×3, first 2 shown]
	v_cmp_eq_u32_e64 s3, 4, v77
	v_cndmask_b32_e64 v6, v13, v14, s4
	v_cndmask_b32_e64 v1, v1, v10, s7
	v_cmp_eq_u32_e64 s4, 4, v81
	v_cndmask_b32_e64 v2, v2, v14, s7
	v_cndmask_b32_e64 v5, v9, v3, s3
	;; [unrolled: 3-line block ×3, first 2 shown]
	v_cndmask_b32_e64 v2, v2, v7, s4
	v_cmp_eq_u32_e64 s3, 5, v81
	v_cmp_eq_u32_e64 s5, 6, v78
	v_cndmask_b32_e64 v5, v5, v11, s7
	v_cmp_eq_u32_e64 s4, 6, v77
	v_cndmask_b32_e64 v3, v6, v15, s7
	v_cndmask_b32_e64 v1, v1, v11, s3
	v_cmp_eq_u32_e64 s7, 6, v81
	v_cndmask_b32_e64 v2, v2, v15, s3
	v_cndmask_b32_e64 v17, v17, v4, s5
	v_cndmask_b32_e64 v18, v18, v8, s5
	v_cmp_eq_u32_e64 s5, 7, v78
	v_cndmask_b32_e64 v5, v5, v4, s4
	;; [unrolled: 4-line block ×3, first 2 shown]
	v_cmp_eq_u32_e64 s4, 7, v77
	v_cndmask_b32_e32 v4, v20, v8, vcc_lo
	v_cndmask_b32_e64 v17, v17, v12, s5
	v_cndmask_b32_e64 v19, v19, v12, s6
	;; [unrolled: 1-line block ×8, first 2 shown]
	v_cmp_gt_u32_e32 vcc_lo, 32, v0
	v_perm_b32 v4, v2, v1, 0x5040100
	v_perm_b32 v3, v3, v5, 0x5040100
	;; [unrolled: 1-line block ×4, first 2 shown]
	s_and_b32 s2, vcc_lo, s2
	ds_store_b128 v76, v[1:4]
	s_waitcnt lgkmcnt(0)
	s_barrier
	buffer_gl0_inv
	s_and_saveexec_b32 s3, s2
	s_cbranch_execz .LBB1353_2
; %bb.111:
	s_load_b64 s[0:1], s[0:1], 0x68
	s_lshl_b32 s4, s34, 6
	v_or_b32_e32 v2, s31, v75
	s_mul_i32 s2, s4, s30
	v_lshlrev_b32_e32 v1, 10, v0
	s_mul_i32 s2, s2, s8
	v_lshlrev_b32_e32 v3, 4, v74
	v_mul_lo_u32 v0, v2, s4
	s_ashr_i32 s3, s2, 31
	v_lshlrev_b32_e32 v4, 6, v75
	v_and_b32_e32 v1, 0x3800, v1
	v_or_b32_e32 v5, 2, v2
	s_lshl_b64 s[2:3], s[2:3], 1
	v_or_b32_e32 v6, 4, v2
	v_or_b32_e32 v7, 6, v2
	v_or3_b32 v12, v1, v3, v4
	v_ashrrev_i32_e32 v1, 31, v0
	v_mul_lo_u32 v2, v5, s4
	v_mul_lo_u32 v16, v6, s4
	;; [unrolled: 1-line block ×3, first 2 shown]
	s_waitcnt lgkmcnt(0)
	s_add_u32 s2, s0, s2
	s_addc_u32 s3, s1, s3
	s_lshl_b32 s0, s14, 6
	v_lshlrev_b64 v[0:1], 1, v[0:1]
	s_ashr_i32 s1, s0, 31
	v_ashrrev_i32_e32 v3, 31, v2
	s_lshl_b64 s[0:1], s[0:1], 1
	v_ashrrev_i32_e32 v17, 31, v16
	s_add_u32 s0, s2, s0
	s_addc_u32 s1, s3, s1
	v_add_co_u32 v24, s0, s0, v73
	s_delay_alu instid0(VALU_DEP_1) | instskip(SKIP_1) | instid1(VALU_DEP_3)
	v_add_co_ci_u32_e64 v25, null, s1, 0, s0
	v_lshlrev_b64 v[22:23], 1, v[2:3]
	v_add_co_u32 v18, vcc_lo, v24, v0
	s_delay_alu instid0(VALU_DEP_3)
	v_add_co_ci_u32_e32 v19, vcc_lo, v25, v1, vcc_lo
	ds_load_b128 v[0:3], v12
	ds_load_b128 v[4:7], v12 offset:128
	ds_load_b128 v[8:11], v12 offset:256
	;; [unrolled: 1-line block ×3, first 2 shown]
	v_ashrrev_i32_e32 v21, 31, v20
	v_lshlrev_b64 v[16:17], 1, v[16:17]
	v_add_co_u32 v22, vcc_lo, v24, v22
	v_add_co_ci_u32_e32 v23, vcc_lo, v25, v23, vcc_lo
	s_delay_alu instid0(VALU_DEP_4) | instskip(NEXT) | instid1(VALU_DEP_4)
	v_lshlrev_b64 v[20:21], 1, v[20:21]
	v_add_co_u32 v16, vcc_lo, v24, v16
	v_add_co_ci_u32_e32 v17, vcc_lo, v25, v17, vcc_lo
	s_delay_alu instid0(VALU_DEP_3) | instskip(NEXT) | instid1(VALU_DEP_4)
	v_add_co_u32 v20, vcc_lo, v24, v20
	v_add_co_ci_u32_e32 v21, vcc_lo, v25, v21, vcc_lo
	s_waitcnt lgkmcnt(3)
	global_store_b128 v[18:19], v[0:3], off
	s_waitcnt lgkmcnt(2)
	global_store_b128 v[22:23], v[4:7], off
	;; [unrolled: 2-line block ×4, first 2 shown]
	s_nop 0
	s_sendmsg sendmsg(MSG_DEALLOC_VGPRS)
	s_endpgm
	.section	.rodata,"a",@progbits
	.p2align	6, 0x0
	.amdhsa_kernel _Z39paged_attention_ll4mi_QKV_mfma16_kernelI14__hip_bfloat16hLN4vllm18Fp8KVCacheDataTypeE1EhLi16ELi64ELi256ELb1ELi8EL8MFMAType1EEvPKT_PKT0_S9_ifPKiSB_SB_iPKfiiiPfSE_PS4_PT2_iSD_SD_
		.amdhsa_group_segment_fixed_size 17472
		.amdhsa_private_segment_fixed_size 0
		.amdhsa_kernarg_size 400
		.amdhsa_user_sgpr_count 13
		.amdhsa_user_sgpr_dispatch_ptr 0
		.amdhsa_user_sgpr_queue_ptr 0
		.amdhsa_user_sgpr_kernarg_segment_ptr 1
		.amdhsa_user_sgpr_dispatch_id 0
		.amdhsa_user_sgpr_private_segment_size 0
		.amdhsa_wavefront_size32 1
		.amdhsa_uses_dynamic_stack 0
		.amdhsa_enable_private_segment 0
		.amdhsa_system_sgpr_workgroup_id_x 1
		.amdhsa_system_sgpr_workgroup_id_y 1
		.amdhsa_system_sgpr_workgroup_id_z 1
		.amdhsa_system_sgpr_workgroup_info 0
		.amdhsa_system_vgpr_workitem_id 0
		.amdhsa_next_free_vgpr 124
		.amdhsa_next_free_sgpr 38
		.amdhsa_reserve_vcc 1
		.amdhsa_float_round_mode_32 0
		.amdhsa_float_round_mode_16_64 0
		.amdhsa_float_denorm_mode_32 3
		.amdhsa_float_denorm_mode_16_64 3
		.amdhsa_dx10_clamp 1
		.amdhsa_ieee_mode 1
		.amdhsa_fp16_overflow 0
		.amdhsa_workgroup_processor_mode 1
		.amdhsa_memory_ordered 1
		.amdhsa_forward_progress 0
		.amdhsa_shared_vgpr_count 0
		.amdhsa_exception_fp_ieee_invalid_op 0
		.amdhsa_exception_fp_denorm_src 0
		.amdhsa_exception_fp_ieee_div_zero 0
		.amdhsa_exception_fp_ieee_overflow 0
		.amdhsa_exception_fp_ieee_underflow 0
		.amdhsa_exception_fp_ieee_inexact 0
		.amdhsa_exception_int_div_zero 0
	.end_amdhsa_kernel
	.section	.text._Z39paged_attention_ll4mi_QKV_mfma16_kernelI14__hip_bfloat16hLN4vllm18Fp8KVCacheDataTypeE1EhLi16ELi64ELi256ELb1ELi8EL8MFMAType1EEvPKT_PKT0_S9_ifPKiSB_SB_iPKfiiiPfSE_PS4_PT2_iSD_SD_,"axG",@progbits,_Z39paged_attention_ll4mi_QKV_mfma16_kernelI14__hip_bfloat16hLN4vllm18Fp8KVCacheDataTypeE1EhLi16ELi64ELi256ELb1ELi8EL8MFMAType1EEvPKT_PKT0_S9_ifPKiSB_SB_iPKfiiiPfSE_PS4_PT2_iSD_SD_,comdat
.Lfunc_end1353:
	.size	_Z39paged_attention_ll4mi_QKV_mfma16_kernelI14__hip_bfloat16hLN4vllm18Fp8KVCacheDataTypeE1EhLi16ELi64ELi256ELb1ELi8EL8MFMAType1EEvPKT_PKT0_S9_ifPKiSB_SB_iPKfiiiPfSE_PS4_PT2_iSD_SD_, .Lfunc_end1353-_Z39paged_attention_ll4mi_QKV_mfma16_kernelI14__hip_bfloat16hLN4vllm18Fp8KVCacheDataTypeE1EhLi16ELi64ELi256ELb1ELi8EL8MFMAType1EEvPKT_PKT0_S9_ifPKiSB_SB_iPKfiiiPfSE_PS4_PT2_iSD_SD_
                                        ; -- End function
	.section	.AMDGPU.csdata,"",@progbits
; Kernel info:
; codeLenInByte = 8724
; NumSgprs: 40
; NumVgprs: 124
; ScratchSize: 0
; MemoryBound: 0
; FloatMode: 240
; IeeeMode: 1
; LDSByteSize: 17472 bytes/workgroup (compile time only)
; SGPRBlocks: 4
; VGPRBlocks: 15
; NumSGPRsForWavesPerEU: 40
; NumVGPRsForWavesPerEU: 124
; Occupancy: 10
; WaveLimiterHint : 1
; COMPUTE_PGM_RSRC2:SCRATCH_EN: 0
; COMPUTE_PGM_RSRC2:USER_SGPR: 13
; COMPUTE_PGM_RSRC2:TRAP_HANDLER: 0
; COMPUTE_PGM_RSRC2:TGID_X_EN: 1
; COMPUTE_PGM_RSRC2:TGID_Y_EN: 1
; COMPUTE_PGM_RSRC2:TGID_Z_EN: 1
; COMPUTE_PGM_RSRC2:TIDIG_COMP_CNT: 0
	.section	.text._Z39paged_attention_ll4mi_QKV_mfma16_kernelI14__hip_bfloat16hLN4vllm18Fp8KVCacheDataTypeE1EhLi16ELi64ELi256ELb1ELi9EL8MFMAType1EEvPKT_PKT0_S9_ifPKiSB_SB_iPKfiiiPfSE_PS4_PT2_iSD_SD_,"axG",@progbits,_Z39paged_attention_ll4mi_QKV_mfma16_kernelI14__hip_bfloat16hLN4vllm18Fp8KVCacheDataTypeE1EhLi16ELi64ELi256ELb1ELi9EL8MFMAType1EEvPKT_PKT0_S9_ifPKiSB_SB_iPKfiiiPfSE_PS4_PT2_iSD_SD_,comdat
	.protected	_Z39paged_attention_ll4mi_QKV_mfma16_kernelI14__hip_bfloat16hLN4vllm18Fp8KVCacheDataTypeE1EhLi16ELi64ELi256ELb1ELi9EL8MFMAType1EEvPKT_PKT0_S9_ifPKiSB_SB_iPKfiiiPfSE_PS4_PT2_iSD_SD_ ; -- Begin function _Z39paged_attention_ll4mi_QKV_mfma16_kernelI14__hip_bfloat16hLN4vllm18Fp8KVCacheDataTypeE1EhLi16ELi64ELi256ELb1ELi9EL8MFMAType1EEvPKT_PKT0_S9_ifPKiSB_SB_iPKfiiiPfSE_PS4_PT2_iSD_SD_
	.globl	_Z39paged_attention_ll4mi_QKV_mfma16_kernelI14__hip_bfloat16hLN4vllm18Fp8KVCacheDataTypeE1EhLi16ELi64ELi256ELb1ELi9EL8MFMAType1EEvPKT_PKT0_S9_ifPKiSB_SB_iPKfiiiPfSE_PS4_PT2_iSD_SD_
	.p2align	8
	.type	_Z39paged_attention_ll4mi_QKV_mfma16_kernelI14__hip_bfloat16hLN4vllm18Fp8KVCacheDataTypeE1EhLi16ELi64ELi256ELb1ELi9EL8MFMAType1EEvPKT_PKT0_S9_ifPKiSB_SB_iPKfiiiPfSE_PS4_PT2_iSD_SD_,@function
_Z39paged_attention_ll4mi_QKV_mfma16_kernelI14__hip_bfloat16hLN4vllm18Fp8KVCacheDataTypeE1EhLi16ELi64ELi256ELb1ELi9EL8MFMAType1EEvPKT_PKT0_S9_ifPKiSB_SB_iPKfiiiPfSE_PS4_PT2_iSD_SD_: ; @_Z39paged_attention_ll4mi_QKV_mfma16_kernelI14__hip_bfloat16hLN4vllm18Fp8KVCacheDataTypeE1EhLi16ELi64ELi256ELb1ELi9EL8MFMAType1EEvPKT_PKT0_S9_ifPKiSB_SB_iPKfiiiPfSE_PS4_PT2_iSD_SD_
; %bb.0:
	s_load_b64 s[2:3], s[0:1], 0x30
	s_mov_b32 s34, s13
	s_waitcnt lgkmcnt(0)
	s_cmp_lg_u64 s[2:3], 0
	s_cselect_b32 s8, -1, 0
	s_ashr_i32 s35, s13, 31
	s_cmp_eq_u64 s[2:3], 0
	s_cbranch_scc1 .LBB1354_3
; %bb.1:
	s_lshl_b64 s[4:5], s[34:35], 2
	s_delay_alu instid0(SALU_CYCLE_1) | instskip(SKIP_4) | instid1(SALU_CYCLE_1)
	s_add_u32 s4, s2, s4
	s_addc_u32 s5, s3, s5
	s_load_b64 s[4:5], s[4:5], 0x0
	s_waitcnt lgkmcnt(0)
	s_sub_i32 s4, s5, s4
	s_cmp_eq_u32 s4, 1
	s_cselect_b32 s4, -1, 0
	s_delay_alu instid0(SALU_CYCLE_1)
	s_and_not1_b32 vcc_lo, exec_lo, s4
	s_cbranch_vccz .LBB1354_4
.LBB1354_2:
	s_nop 0
	s_sendmsg sendmsg(MSG_DEALLOC_VGPRS)
	s_endpgm
.LBB1354_3:
.LBB1354_4:
	s_load_b64 s[4:5], s[0:1], 0x28
	s_lshl_b64 s[6:7], s[34:35], 2
	s_waitcnt lgkmcnt(0)
	s_add_u32 s4, s4, s6
	s_addc_u32 s5, s5, s7
	s_lshl_b32 s12, s14, 8
	s_load_b32 s24, s[4:5], 0x0
	s_waitcnt lgkmcnt(0)
	s_cmp_ge_i32 s12, s24
	s_cbranch_scc1 .LBB1354_2
; %bb.5:
	s_clause 0x1
	s_load_b128 s[20:23], s[0:1], 0x8
	s_load_b64 s[4:5], s[0:1], 0x20
	s_and_not1_b32 vcc_lo, exec_lo, s8
	s_cbranch_vccnz .LBB1354_7
; %bb.6:
	s_add_u32 s2, s2, s6
	s_addc_u32 s3, s3, s7
	s_load_b32 s3, s[2:3], 0x0
	s_branch .LBB1354_8
.LBB1354_7:
	s_mov_b32 s3, s34
.LBB1354_8:
	s_load_b128 s[16:19], s[0:1], 0x48
	v_lshrrev_b32_e32 v66, 5, v0
	v_bfe_u32 v74, v0, 4, 1
	v_and_b32_e32 v65, 15, v0
	v_and_b32_e32 v67, 31, v0
	;; [unrolled: 1-line block ×3, first 2 shown]
	s_mul_i32 s31, s15, 9
	v_lshl_or_b32 v1, v66, 1, v74
	v_lshlrev_b32_e32 v2, 3, v65
	v_cmp_gt_u32_e64 s2, 8, v65
	s_delay_alu instid0(VALU_DEP_3) | instskip(NEXT) | instid1(VALU_DEP_3)
	v_cmp_gt_u32_e32 vcc_lo, 9, v1
	v_lshlrev_b32_e32 v73, 1, v2
	s_delay_alu instid0(VALU_DEP_3) | instskip(NEXT) | instid1(SALU_CYCLE_1)
	s_and_b32 s7, s2, vcc_lo
	s_and_saveexec_b32 s6, s7
	s_cbranch_execz .LBB1354_10
; %bb.9:
	s_load_b64 s[8:9], s[0:1], 0x0
	v_add_lshl_u32 v2, v1, s31, 6
	s_waitcnt lgkmcnt(0)
	s_mul_hi_i32 s11, s3, s16
	s_mul_i32 s10, s3, s16
	v_lshlrev_b32_e32 v6, 10, v65
	s_lshl_b64 s[10:11], s[10:11], 1
	v_ashrrev_i32_e32 v3, 31, v2
	v_lshlrev_b32_e32 v1, 6, v1
	v_lshlrev_b32_e32 v7, 10, v75
	v_and_b32_e32 v6, 0x3800, v6
	s_delay_alu instid0(VALU_DEP_4) | instskip(NEXT) | instid1(VALU_DEP_2)
	v_lshlrev_b64 v[2:3], 1, v[2:3]
	v_or3_b32 v1, v6, v7, v1
	s_add_u32 s3, s8, s10
	s_addc_u32 s7, s9, s11
	s_delay_alu instid0(VALU_DEP_2) | instskip(NEXT) | instid1(VALU_DEP_3)
	v_add_co_u32 v2, vcc_lo, s3, v2
	v_add_co_ci_u32_e32 v3, vcc_lo, s7, v3, vcc_lo
	s_delay_alu instid0(VALU_DEP_2) | instskip(NEXT) | instid1(VALU_DEP_2)
	v_add_co_u32 v2, vcc_lo, v2, v73
	v_add_co_ci_u32_e32 v3, vcc_lo, 0, v3, vcc_lo
	global_load_b128 v[2:5], v[2:3], off
	s_waitcnt vmcnt(0)
	ds_store_b128 v1, v[2:5]
.LBB1354_10:
	s_or_b32 exec_lo, exec_lo, s6
	v_and_b32_e32 v1, 0xef, v0
	s_waitcnt lgkmcnt(0)
	s_add_i32 s3, s24, 15
	s_clause 0x1
	s_load_b32 s6, s[0:1], 0x38
	s_load_b32 s19, s[0:1], 0x1c
	s_ashr_i32 s7, s3, 31
	v_add_nc_u32_e32 v1, s12, v1
	s_lshr_b32 s7, s7, 28
	s_waitcnt lgkmcnt(0)
	s_add_i32 s3, s3, s7
	s_barrier
	v_ashrrev_i32_e32 v2, 31, v1
	v_or_b32_e32 v3, 16, v1
	s_ashr_i32 s3, s3, 4
	v_cmp_gt_i32_e32 vcc_lo, s24, v1
	s_add_i32 s3, s3, -1
	v_lshrrev_b32_e32 v2, 28, v2
	buffer_gl0_inv
	s_mul_i32 s27, s15, s18
	v_add_nc_u32_e32 v4, v1, v2
	s_mul_i32 s6, s34, s6
	s_delay_alu instid0(SALU_CYCLE_1) | instskip(NEXT) | instid1(VALU_DEP_1)
	s_ashr_i32 s7, s6, 31
	v_ashrrev_i32_e32 v4, 4, v4
	v_add_nc_u32_e32 v2, v3, v2
	s_lshl_b64 s[6:7], s[6:7], 2
	s_delay_alu instid0(SALU_CYCLE_1) | instskip(NEXT) | instid1(VALU_DEP_2)
	s_add_u32 s26, s4, s6
	v_cndmask_b32_e32 v1, s3, v4, vcc_lo
	s_delay_alu instid0(VALU_DEP_2)
	v_ashrrev_i32_e32 v2, 4, v2
	v_cmp_gt_i32_e32 vcc_lo, s24, v3
	s_addc_u32 s25, s5, s7
	s_ashr_i32 s28, s27, 31
	s_add_u32 s13, s20, s27
	s_addc_u32 s15, s21, s28
	v_cndmask_b32_e32 v3, s3, v2, vcc_lo
	v_ashrrev_i32_e32 v2, 31, v1
	s_lshl_b32 s4, s14, 4
	s_delay_alu instid0(SALU_CYCLE_1) | instskip(NEXT) | instid1(VALU_DEP_2)
	s_ashr_i32 s5, s4, 31
	v_ashrrev_i32_e32 v4, 31, v3
	s_delay_alu instid0(VALU_DEP_2) | instskip(SKIP_1) | instid1(SALU_CYCLE_1)
	v_lshlrev_b64 v[1:2], 2, v[1:2]
	s_lshl_b64 s[4:5], s[4:5], 2
	s_add_u32 s4, s26, s4
	s_delay_alu instid0(VALU_DEP_2) | instskip(SKIP_1) | instid1(VALU_DEP_2)
	v_lshlrev_b64 v[3:4], 2, v[3:4]
	s_addc_u32 s5, s25, s5
	v_add_co_u32 v1, vcc_lo, s26, v1
	v_add_co_ci_u32_e32 v2, vcc_lo, s25, v2, vcc_lo
	s_delay_alu instid0(VALU_DEP_3) | instskip(NEXT) | instid1(VALU_DEP_4)
	v_add_co_u32 v3, vcc_lo, s26, v3
	v_add_co_ci_u32_e32 v4, vcc_lo, s25, v4, vcc_lo
	s_clause 0x1
	global_load_b32 v5, v[1:2], off
	global_load_b32 v7, v[3:4], off
	s_or_b32 s6, s12, 32
	v_lshlrev_b32_e32 v1, 4, v0
	s_ashr_i32 s7, s6, 4
	s_cmp_lt_i32 s6, s24
	v_cmp_gt_u32_e32 vcc_lo, 9, v65
	s_cselect_b32 s6, s7, s3
	v_and_b32_e32 v1, 0xf0, v1
	s_ashr_i32 s7, s6, 31
	s_delay_alu instid0(SALU_CYCLE_1) | instskip(NEXT) | instid1(SALU_CYCLE_1)
	s_lshl_b64 s[6:7], s[6:7], 2
	s_add_u32 s6, s26, s6
	s_addc_u32 s7, s25, s7
	s_or_b32 s8, s12, 64
	v_add_co_u32 v1, s13, s13, v1
	s_ashr_i32 s9, s8, 4
	s_cmp_lt_i32 s8, s24
	v_add_co_ci_u32_e64 v2, null, s15, 0, s13
	s_cselect_b32 s8, s9, s3
	s_delay_alu instid0(SALU_CYCLE_1) | instskip(NEXT) | instid1(SALU_CYCLE_1)
	s_ashr_i32 s9, s8, 31
	s_lshl_b64 s[8:9], s[8:9], 2
	s_delay_alu instid0(SALU_CYCLE_1) | instskip(SKIP_2) | instid1(SALU_CYCLE_1)
	s_add_u32 s8, s26, s8
	s_addc_u32 s9, s25, s9
	s_or_b32 s10, s12, 0x60
	s_ashr_i32 s11, s10, 4
	s_cmp_lt_i32 s10, s24
	s_cselect_b32 s10, s11, s3
	s_delay_alu instid0(SALU_CYCLE_1) | instskip(NEXT) | instid1(SALU_CYCLE_1)
	s_ashr_i32 s11, s10, 31
	s_lshl_b64 s[10:11], s[10:11], 2
	s_delay_alu instid0(SALU_CYCLE_1) | instskip(SKIP_2) | instid1(SALU_CYCLE_1)
	s_add_u32 s10, s26, s10
	s_addc_u32 s11, s25, s11
	s_or_b32 s16, s12, 0x80
	s_ashr_i32 s18, s16, 4
	s_cmp_lt_i32 s16, s24
	;; [unrolled: 10-line block ×3, first 2 shown]
	s_cselect_b32 s20, s18, s3
	s_delay_alu instid0(SALU_CYCLE_1) | instskip(NEXT) | instid1(SALU_CYCLE_1)
	s_ashr_i32 s21, s20, 31
	s_lshl_b64 s[20:21], s[20:21], 2
	s_delay_alu instid0(SALU_CYCLE_1)
	s_add_u32 s38, s26, s20
	s_addc_u32 s39, s25, s21
	s_clause 0x5
	s_load_b32 s21, s[4:5], 0x0
	s_load_b32 s13, s[6:7], 0x0
	;; [unrolled: 1-line block ×6, first 2 shown]
	s_or_b32 s8, s12, 0xc0
	s_mov_b32 s4, 0
	s_ashr_i32 s9, s8, 4
	s_cmp_lt_i32 s8, s24
	s_mov_b32 s11, s4
	s_cselect_b32 s36, s9, s3
	s_mov_b32 s5, s4
	s_ashr_i32 s37, s36, 31
	s_mov_b32 s6, s4
	s_lshl_b64 s[36:37], s[36:37], 2
	s_mov_b32 s7, s4
	s_add_u32 s36, s26, s36
	s_addc_u32 s37, s25, s37
	s_or_b32 s29, s12, 0xe0
	s_mov_b32 s8, s4
	s_ashr_i32 s30, s29, 4
	s_mov_b32 s9, s4
	s_mov_b32 s10, s4
	s_cmp_lt_i32 s29, s24
	v_dual_mov_b32 v107, s11 :: v_dual_mov_b32 v100, s4
	v_mov_b32_e32 v106, s10
	v_dual_mov_b32 v104, s8 :: v_dual_mov_b32 v103, s7
	v_dual_mov_b32 v102, s6 :: v_dual_mov_b32 v101, s5
	s_waitcnt vmcnt(1)
	v_mad_i64_i32 v[3:4], null, v5, s17, v[1:2]
	s_waitcnt vmcnt(0)
	v_mad_i64_i32 v[5:6], null, v7, s17, v[1:2]
	v_add_nc_u32_e32 v1, -9, v65
	v_lshlrev_b32_e32 v2, 4, v65
	s_clause 0x7
	global_load_b128 v[49:52], v[3:4], off
	global_load_b128 v[53:56], v[3:4], off offset:256
	global_load_b128 v[76:79], v[5:6], off
	global_load_b128 v[80:83], v[5:6], off offset:256
	global_load_b128 v[84:87], v[3:4], off offset:512
	;; [unrolled: 1-line block ×5, first 2 shown]
	v_cndmask_b32_e32 v1, v1, v65, vcc_lo
	v_mov_b32_e32 v105, s9
	s_cselect_b32 s4, s30, s3
	v_lshl_or_b32 v2, v66, 8, v2
	s_ashr_i32 s5, s4, 31
	v_lshlrev_b32_e32 v70, 6, v1
	s_lshl_b64 s[4:5], s[4:5], 2
	s_load_b32 s3, s[36:37], 0x0
	s_add_u32 s4, s26, s4
	s_addc_u32 s5, s25, s5
	ds_load_b128 v[108:111], v70
	ds_load_b128 v[112:115], v70 offset:1024
	s_load_b32 s4, s[4:5], 0x0
	s_add_u32 s6, s22, s27
	s_addc_u32 s7, s23, s28
	v_add_co_u32 v9, s6, s6, v2
	s_delay_alu instid0(VALU_DEP_1) | instskip(SKIP_1) | instid1(VALU_DEP_1)
	v_add_co_ci_u32_e64 v10, null, s7, 0, s6
	s_waitcnt lgkmcnt(0)
	v_mad_i64_i32 v[1:2], null, s21, s17, v[9:10]
	v_mad_i64_i32 v[3:4], null, s13, s17, v[9:10]
	;; [unrolled: 1-line block ×7, first 2 shown]
	s_clause 0x9
	global_load_b128 v[57:60], v[1:2], off
	global_load_b128 v[61:64], v[1:2], off offset:16
	global_load_b128 v[41:44], v[3:4], off
	global_load_b128 v[45:48], v[3:4], off offset:16
	;; [unrolled: 2-line block ×5, first 2 shown]
	v_mad_i64_i32 v[68:69], null, s4, s17, v[9:10]
	s_clause 0x3
	global_load_b128 v[9:12], v[13:14], off
	global_load_b128 v[13:16], v[13:14], off offset:16
	global_load_b128 v[17:20], v[21:22], off
	global_load_b128 v[21:24], v[21:22], off offset:16
	s_waitcnt vmcnt(20)
	v_wmma_f32_16x16x16_bf16 v[116:123], v[49:56], v[108:115], v[100:107]
	s_clause 0x1
	global_load_b128 v[49:52], v[68:69], off
	global_load_b128 v[53:56], v[68:69], off offset:16
	v_and_b32_e32 v68, 0xe0, v0
	v_mbcnt_lo_u32_b32 v69, -1, 0
	s_delay_alu instid0(VALU_DEP_2)
	v_add_nc_u32_e32 v68, s12, v68
	s_waitcnt vmcnt(20)
	v_wmma_f32_16x16x16_bf16 v[100:107], v[76:83], v[108:115], v[100:107]
	ds_load_b128 v[76:79], v70 offset:2048
	ds_load_b128 v[80:83], v70 offset:3072
	v_xor_b32_e32 v70, 16, v69
	s_waitcnt vmcnt(0) lgkmcnt(0)
	v_or_b32_e32 v68, v68, v74
	s_barrier
	buffer_gl0_inv
	v_cmp_gt_i32_e32 vcc_lo, 32, v70
	v_or_b32_e32 v71, 4, v68
	v_or_b32_e32 v72, 6, v68
	v_cmp_gt_i32_e64 s3, s24, v68
	v_or_b32_e32 v108, 8, v68
	v_or_b32_e32 v109, 10, v68
	v_cmp_gt_i32_e64 s4, s24, v71
	v_cmp_gt_i32_e64 s5, s24, v72
	s_delay_alu instid0(VALU_DEP_4) | instskip(NEXT) | instid1(VALU_DEP_4)
	v_cmp_gt_i32_e64 s6, s24, v108
	v_cmp_gt_i32_e64 s7, s24, v109
	v_wmma_f32_16x16x16_bf16 v[116:123], v[84:91], v[76:83], v[116:123]
	v_cndmask_b32_e32 v69, v69, v70, vcc_lo
	v_or_b32_e32 v70, 2, v68
	v_wmma_f32_16x16x16_bf16 v[100:107], v[92:99], v[76:83], v[100:107]
	v_or_b32_e32 v89, 22, v68
	v_dual_mul_f32 v82, s19, v119 :: v_dual_mul_f32 v79, s19, v122
	v_dual_mul_f32 v92, s19, v117 :: v_dual_mul_f32 v93, s19, v116
	s_delay_alu instid0(VALU_DEP_4) | instskip(SKIP_2) | instid1(VALU_DEP_4)
	v_mul_f32_e32 v98, s19, v103
	v_cmp_gt_i32_e32 vcc_lo, s24, v70
	v_dual_mul_f32 v83, s19, v118 :: v_dual_mul_f32 v96, s19, v105
	v_cndmask_b32_e64 v93, 0xff7fffff, v93, s3
	v_or_b32_e32 v84, 12, v68
	v_cndmask_b32_e32 v92, 0xff7fffff, v92, vcc_lo
	v_or_b32_e32 v85, 14, v68
	v_dual_mul_f32 v80, s19, v121 :: v_dual_mul_f32 v81, s19, v120
	v_mul_f32_e32 v94, s19, v107
	v_cndmask_b32_e64 v71, 0xff7fffff, v83, s4
	v_cndmask_b32_e64 v72, 0xff7fffff, v82, s5
	v_cmp_gt_i32_e64 s13, s24, v89
	v_lshlrev_b32_e32 v89, 2, v69
	v_max3_f32 v82, v93, 0xff7fffff, v92
	v_or_b32_e32 v86, 16, v68
	v_or_b32_e32 v87, 18, v68
	v_mul_f32_e32 v78, s19, v123
	v_cndmask_b32_e64 v81, 0xff7fffff, v81, s6
	v_cndmask_b32_e64 v80, 0xff7fffff, v80, s7
	v_max3_f32 v71, v82, v71, v72
	v_cmp_gt_i32_e64 s8, s24, v84
	v_cmp_gt_i32_e64 s9, s24, v85
	v_or_b32_e32 v88, 20, v68
	v_or_b32_e32 v90, 24, v68
	;; [unrolled: 1-line block ×5, first 2 shown]
	v_dual_mul_f32 v95, s19, v106 :: v_dual_mul_f32 v70, s19, v101
	v_dual_mul_f32 v99, s19, v102 :: v_dual_mul_f32 v68, s19, v100
	v_cndmask_b32_e64 v72, 0xff7fffff, v79, s8
	v_cndmask_b32_e64 v78, 0xff7fffff, v78, s9
	v_max3_f32 v71, v71, v81, v80
	v_cmp_gt_i32_e64 s10, s24, v86
	v_cmp_gt_i32_e64 s11, s24, v87
	;; [unrolled: 1-line block ×3, first 2 shown]
	v_mul_f32_e32 v97, s19, v104
	v_max3_f32 v71, v71, v72, v78
	v_cndmask_b32_e64 v68, 0xff7fffff, v68, s10
	v_cndmask_b32_e64 v70, 0xff7fffff, v70, s11
	;; [unrolled: 1-line block ×4, first 2 shown]
	v_cmp_gt_i32_e64 s15, s24, v90
	v_cmp_gt_i32_e64 s16, s24, v91
	v_max3_f32 v68, v71, v68, v70
	v_cmp_gt_i32_e64 s17, s24, v76
	v_cmp_gt_i32_e64 s18, s24, v77
	v_cndmask_b32_e64 v70, 0xff7fffff, v97, s15
	v_cndmask_b32_e64 v71, 0xff7fffff, v96, s16
	v_max3_f32 v68, v68, v72, v78
	v_cndmask_b32_e64 v72, 0xff7fffff, v95, s17
	v_cndmask_b32_e64 v76, 0xff7fffff, v94, s18
	s_delay_alu instid0(VALU_DEP_3) | instskip(NEXT) | instid1(VALU_DEP_1)
	v_max3_f32 v68, v68, v70, v71
	v_max3_f32 v68, v68, v72, v76
	ds_bpermute_b32 v69, v89, v68
	s_waitcnt lgkmcnt(0)
	v_max_f32_e32 v69, v69, v69
	s_delay_alu instid0(VALU_DEP_1) | instskip(NEXT) | instid1(VALU_DEP_1)
	v_max_f32_e32 v68, v68, v69
	v_fma_f32 v69, s19, v116, -v68
	v_fma_f32 v70, s19, v117, -v68
	;; [unrolled: 1-line block ×5, first 2 shown]
	s_delay_alu instid0(VALU_DEP_4) | instskip(NEXT) | instid1(VALU_DEP_4)
	v_dual_mul_f32 v69, 0x3fb8aa3b, v69 :: v_dual_mul_f32 v70, 0x3fb8aa3b, v70
	v_mul_f32_e32 v72, 0x3fb8aa3b, v72
	v_fma_f32 v78, s19, v122, -v68
	s_delay_alu instid0(VALU_DEP_4) | instskip(NEXT) | instid1(VALU_DEP_4)
	v_mul_f32_e32 v77, 0x3fb8aa3b, v76
	v_exp_f32_e32 v69, v69
	v_exp_f32_e32 v70, v70
	v_mul_f32_e32 v71, 0x3fb8aa3b, v71
	v_exp_f32_e32 v72, v72
	v_mul_f32_e32 v78, 0x3fb8aa3b, v78
	v_exp_f32_e32 v77, v77
	v_fma_f32 v81, s19, v105, -v68
	s_delay_alu instid0(VALU_DEP_2)
	v_exp_f32_e32 v78, v78
	v_cndmask_b32_e64 v80, 0, v69, s3
	v_cndmask_b32_e32 v76, 0, v70, vcc_lo
	v_exp_f32_e32 v71, v71
	v_fma_f32 v69, s19, v121, -v68
	v_cndmask_b32_e64 v85, 0, v72, s5
	v_add_f32_e32 v70, 0, v80
	s_delay_alu instid0(TRANS32_DEP_3)
	v_cndmask_b32_e64 v86, 0, v77, s6
	v_fma_f32 v77, s19, v101, -v68
	v_mul_f32_e32 v69, 0x3fb8aa3b, v69
	v_fma_f32 v72, s19, v100, -v68
	v_cndmask_b32_e64 v84, 0, v78, s8
	v_fma_f32 v78, s19, v103, -v68
	v_cndmask_b32_e64 v83, 0, v71, s4
	v_fma_f32 v71, s19, v123, -v68
	v_add_f32_e32 v70, v70, v76
	v_exp_f32_e32 v69, v69
	v_mul_f32_e32 v77, 0x3fb8aa3b, v77
	v_mul_f32_e32 v81, 0x3fb8aa3b, v81
	;; [unrolled: 1-line block ×3, first 2 shown]
	v_add_f32_e32 v70, v70, v83
	v_cmp_gt_u32_e64 s3, 16, v67
	v_exp_f32_e32 v77, v77
	v_exp_f32_e32 v81, v81
	;; [unrolled: 1-line block ×3, first 2 shown]
	v_cndmask_b32_e64 v87, 0, v69, s7
	v_add_f32_e32 v70, v70, v85
	s_delay_alu instid0(VALU_DEP_1) | instskip(SKIP_1) | instid1(VALU_DEP_2)
	v_dual_mul_f32 v72, 0x3fb8aa3b, v72 :: v_dual_add_f32 v69, v70, v86
	v_fma_f32 v70, s19, v102, -v68
	v_exp_f32_e32 v72, v72
	s_waitcnt_depctr 0xfff
	v_cndmask_b32_e64 v88, 0, v71, s9
	v_fma_f32 v71, s19, v104, -v68
	v_dual_add_f32 v69, v69, v87 :: v_dual_mul_f32 v70, 0x3fb8aa3b, v70
	s_delay_alu instid0(VALU_DEP_2) | instskip(NEXT) | instid1(VALU_DEP_2)
	v_dual_mul_f32 v78, 0x3fb8aa3b, v78 :: v_dual_mul_f32 v71, 0x3fb8aa3b, v71
	v_add_f32_e32 v69, v69, v84
	s_delay_alu instid0(VALU_DEP_3) | instskip(SKIP_1) | instid1(VALU_DEP_3)
	v_exp_f32_e32 v79, v70
	v_cndmask_b32_e64 v70, 0, v72, s10
	v_exp_f32_e32 v78, v78
	v_exp_f32_e32 v82, v71
	v_add_f32_e32 v72, v69, v88
	v_cndmask_b32_e64 v69, 0, v77, s11
	v_fma_f32 v77, s19, v106, -v68
	s_delay_alu instid0(VALU_DEP_3) | instskip(NEXT) | instid1(TRANS32_DEP_3)
	v_add_f32_e32 v72, v72, v70
	v_cndmask_b32_e64 v71, 0, v79, s12
	s_delay_alu instid0(VALU_DEP_3) | instskip(NEXT) | instid1(VALU_DEP_3)
	v_mul_f32_e32 v77, 0x3fb8aa3b, v77
	v_add_f32_e32 v79, v72, v69
	s_delay_alu instid0(TRANS32_DEP_2) | instskip(NEXT) | instid1(VALU_DEP_3)
	v_cndmask_b32_e64 v72, 0, v78, s13
	v_exp_f32_e32 v90, v77
	v_cndmask_b32_e64 v77, 0, v82, s15
	s_delay_alu instid0(VALU_DEP_3) | instskip(SKIP_1) | instid1(VALU_DEP_1)
	v_add_f32_e32 v78, v79, v71
	v_fma_f32 v79, s19, v107, -v68
	v_dual_add_f32 v82, v78, v72 :: v_dual_mul_f32 v79, 0x3fb8aa3b, v79
	v_cndmask_b32_e64 v78, 0, v81, s16
	s_delay_alu instid0(VALU_DEP_2) | instskip(NEXT) | instid1(VALU_DEP_3)
	v_add_f32_e32 v81, v82, v77
	v_exp_f32_e32 v82, v79
	s_delay_alu instid0(TRANS32_DEP_2) | instskip(NEXT) | instid1(VALU_DEP_2)
	v_cndmask_b32_e64 v79, 0, v90, s17
	v_add_f32_e32 v81, v81, v78
	s_delay_alu instid0(VALU_DEP_1) | instskip(SKIP_2) | instid1(VALU_DEP_1)
	v_add_f32_e32 v90, v81, v79
	s_waitcnt_depctr 0xfff
	v_cndmask_b32_e64 v81, 0, v82, s18
	v_add_f32_e32 v82, v90, v81
	ds_bpermute_b32 v89, v89, v82
	s_and_saveexec_b32 s4, s3
	s_cbranch_execz .LBB1354_12
; %bb.11:
	v_mul_u32_u24_e32 v67, 0x44, v66
	s_delay_alu instid0(VALU_DEP_1) | instskip(SKIP_1) | instid1(VALU_DEP_1)
	v_lshl_add_u32 v67, v65, 2, v67
	s_waitcnt lgkmcnt(0)
	v_dual_add_f32 v82, v82, v89 :: v_dual_add_nc_u32 v67, 0x4000, v67
	ds_store_2addr_b32 v67, v68, v82 offset1:136
.LBB1354_12:
	s_or_b32 exec_lo, exec_lo, s4
	v_lshlrev_b32_e32 v67, 2, v65
	s_waitcnt lgkmcnt(0)
	s_barrier
	buffer_gl0_inv
	v_cmp_eq_u32_e32 vcc_lo, 1, v66
	v_add_nc_u32_e32 v82, 0x4000, v67
	v_cmp_eq_u32_e64 s4, 2, v66
	v_cmp_eq_u32_e64 s6, 7, v66
	ds_load_2addr_b32 v[89:90], v82 offset1:17
	ds_load_2addr_b32 v[91:92], v82 offset0:34 offset1:51
	ds_load_2addr_b32 v[93:94], v82 offset0:68 offset1:85
	;; [unrolled: 1-line block ×4, first 2 shown]
	s_waitcnt lgkmcnt(4)
	v_max3_f32 v67, v89, 0xff7fffff, v90
	s_waitcnt lgkmcnt(3)
	s_delay_alu instid0(VALU_DEP_1) | instskip(SKIP_1) | instid1(VALU_DEP_1)
	v_max3_f32 v67, v67, v91, v92
	s_waitcnt lgkmcnt(2)
	v_max3_f32 v67, v67, v93, v94
	s_waitcnt lgkmcnt(1)
	s_delay_alu instid0(VALU_DEP_1) | instskip(NEXT) | instid1(VALU_DEP_1)
	v_max3_f32 v67, v67, v95, v96
	v_sub_f32_e32 v93, v93, v67
	s_delay_alu instid0(VALU_DEP_1) | instskip(NEXT) | instid1(VALU_DEP_1)
	v_dual_sub_f32 v68, v89, v67 :: v_dual_mul_f32 v103, 0x3fb8aa3b, v93
	v_mul_f32_e32 v68, 0x3fb8aa3b, v68
	s_delay_alu instid0(VALU_DEP_1)
	v_exp_f32_e32 v100, v68
	v_sub_f32_e32 v68, v92, v67
	v_sub_f32_e32 v99, v90, v67
	ds_load_2addr_b32 v[89:90], v82 offset0:170 offset1:187
	v_dual_mul_f32 v102, 0x3fb8aa3b, v68 :: v_dual_mul_f32 v99, 0x3fb8aa3b, v99
	s_waitcnt lgkmcnt(1)
	v_fma_f32 v68, v100, v97, 0
	s_delay_alu instid0(VALU_DEP_2) | instskip(NEXT) | instid1(VALU_DEP_2)
	v_exp_f32_e32 v102, v102
	v_exp_f32_e32 v99, v99
	s_waitcnt_depctr 0xfff
	v_fmac_f32_e32 v68, v99, v98
	v_sub_f32_e32 v91, v91, v67
	s_delay_alu instid0(VALU_DEP_1)
	v_mul_f32_e32 v101, 0x3fb8aa3b, v91
	ds_load_2addr_b32 v[91:92], v82 offset0:204 offset1:221
	v_sub_f32_e32 v97, v94, v67
	ds_load_2addr_b32 v[93:94], v82 offset0:238 offset1:255
	s_waitcnt lgkmcnt(0)
	v_exp_f32_e32 v101, v101
	s_barrier
	buffer_gl0_inv
	v_dual_fmac_f32 v68, v101, v89 :: v_dual_sub_f32 v89, v96, v67
	v_dual_sub_f32 v82, v95, v67 :: v_dual_mul_f32 v95, 0x3fb8aa3b, v97
	v_exp_f32_e32 v97, v103
	s_delay_alu instid0(VALU_DEP_2) | instskip(NEXT) | instid1(VALU_DEP_2)
	v_dual_fmac_f32 v68, v102, v90 :: v_dual_mul_f32 v89, 0x3fb8aa3b, v89
	v_mul_f32_e32 v82, 0x3fb8aa3b, v82
	s_delay_alu instid0(VALU_DEP_3) | instskip(NEXT) | instid1(VALU_DEP_2)
	v_exp_f32_e32 v95, v95
	v_exp_f32_e32 v89, v89
	s_delay_alu instid0(VALU_DEP_1)
	v_exp_f32_e32 v82, v82
	v_fmac_f32_e32 v68, v97, v91
	s_delay_alu instid0(TRANS32_DEP_3) | instid1(VALU_DEP_1)
	v_fmac_f32_e32 v68, v95, v92
	s_waitcnt_depctr 0xfff
	v_fmac_f32_e32 v68, v82, v93
	s_delay_alu instid0(VALU_DEP_1) | instskip(NEXT) | instid1(VALU_DEP_1)
	v_fmac_f32_e32 v68, v89, v94
	v_add_f32_e32 v90, 0x358637bd, v68
	s_delay_alu instid0(VALU_DEP_1) | instskip(NEXT) | instid1(VALU_DEP_1)
	v_div_scale_f32 v91, null, v90, v90, 1.0
	v_rcp_f32_e32 v92, v91
	s_waitcnt_depctr 0xfff
	v_fma_f32 v93, -v91, v92, 1.0
	s_delay_alu instid0(VALU_DEP_1) | instskip(SKIP_1) | instid1(VALU_DEP_2)
	v_dual_fmac_f32 v92, v93, v92 :: v_dual_cndmask_b32 v93, v100, v99
	v_cmp_eq_u32_e32 vcc_lo, 3, v66
	v_cndmask_b32_e64 v93, v93, v101, s4
	v_cmp_eq_u32_e64 s4, 4, v66
	s_delay_alu instid0(VALU_DEP_2) | instskip(SKIP_1) | instid1(VALU_DEP_2)
	v_cndmask_b32_e32 v93, v93, v102, vcc_lo
	v_cmp_eq_u32_e32 vcc_lo, 5, v66
	v_cndmask_b32_e64 v93, v93, v97, s4
	v_cmp_eq_u32_e64 s4, 6, v66
	s_delay_alu instid0(VALU_DEP_2) | instskip(SKIP_1) | instid1(VALU_DEP_1)
	v_cndmask_b32_e32 v93, v93, v95, vcc_lo
	v_div_scale_f32 v94, s5, 1.0, v90, 1.0
	s_mov_b32 vcc_lo, s5
	s_delay_alu instid0(VALU_DEP_2) | instskip(NEXT) | instid1(VALU_DEP_2)
	v_cndmask_b32_e64 v82, v93, v82, s4
	v_mul_f32_e32 v96, v94, v92
	s_mov_b32 s4, exec_lo
	s_delay_alu instid0(VALU_DEP_2) | instskip(NEXT) | instid1(VALU_DEP_2)
	v_cndmask_b32_e64 v82, v82, v89, s6
	v_fma_f32 v98, -v91, v96, v94
	s_delay_alu instid0(VALU_DEP_1) | instskip(NEXT) | instid1(VALU_DEP_1)
	v_fmac_f32_e32 v96, v98, v92
	v_fma_f32 v91, -v91, v96, v94
	s_delay_alu instid0(VALU_DEP_1) | instskip(NEXT) | instid1(VALU_DEP_1)
	v_div_fmas_f32 v91, v91, v92, v96
	v_div_fixup_f32 v90, v91, v90, 1.0
	s_delay_alu instid0(VALU_DEP_1) | instskip(NEXT) | instid1(VALU_DEP_1)
	v_mul_f32_e32 v82, v82, v90
	v_mul_f32_e32 v87, v82, v87
	;; [unrolled: 1-line block ×7, first 2 shown]
	v_dual_mul_f32 v86, v82, v83 :: v_dual_and_b32 v91, 0x7f800000, v90
	v_mul_f32_e32 v85, v82, v76
                                        ; implicit-def: $vgpr76
	s_delay_alu instid0(VALU_DEP_2)
	v_cmpx_ne_u32_e32 0x7f800000, v91
	s_xor_b32 s4, exec_lo, s4
; %bb.13:
	v_bfe_u32 v76, v90, 16, 1
	s_delay_alu instid0(VALU_DEP_1)
	v_add3_u32 v76, v90, v76, 0x7fff
                                        ; implicit-def: $vgpr90
; %bb.14:
	s_and_not1_saveexec_b32 s4, s4
; %bb.15:
	v_and_b32_e32 v76, 0xffff, v90
	v_or_b32_e32 v83, 0x10000, v90
	s_delay_alu instid0(VALU_DEP_2) | instskip(NEXT) | instid1(VALU_DEP_2)
	v_cmp_eq_u32_e32 vcc_lo, 0, v76
	v_cndmask_b32_e32 v76, v83, v90, vcc_lo
; %bb.16:
	s_or_b32 exec_lo, exec_lo, s4
	v_and_b32_e32 v83, 0x7f800000, v85
	s_delay_alu instid0(VALU_DEP_1) | instskip(SKIP_1) | instid1(SALU_CYCLE_1)
	v_cmp_ne_u32_e32 vcc_lo, 0x7f800000, v83
                                        ; implicit-def: $vgpr83
	s_and_saveexec_b32 s4, vcc_lo
	s_xor_b32 s4, exec_lo, s4
; %bb.17:
	v_bfe_u32 v83, v85, 16, 1
	s_delay_alu instid0(VALU_DEP_1)
	v_add3_u32 v83, v85, v83, 0x7fff
                                        ; implicit-def: $vgpr85
; %bb.18:
	s_and_not1_saveexec_b32 s4, s4
; %bb.19:
	v_and_b32_e32 v83, 0xffff, v85
	v_or_b32_e32 v90, 0x10000, v85
	s_delay_alu instid0(VALU_DEP_2) | instskip(NEXT) | instid1(VALU_DEP_2)
	v_cmp_eq_u32_e32 vcc_lo, 0, v83
	v_cndmask_b32_e32 v83, v90, v85, vcc_lo
; %bb.20:
	s_or_b32 exec_lo, exec_lo, s4
	v_and_b32_e32 v85, 0x7f800000, v86
	s_delay_alu instid0(VALU_DEP_1) | instskip(SKIP_1) | instid1(SALU_CYCLE_1)
	v_cmp_ne_u32_e32 vcc_lo, 0x7f800000, v85
                                        ; implicit-def: $vgpr85
	s_and_saveexec_b32 s4, vcc_lo
	s_xor_b32 s4, exec_lo, s4
; %bb.21:
	v_bfe_u32 v85, v86, 16, 1
	s_delay_alu instid0(VALU_DEP_1)
	v_add3_u32 v85, v86, v85, 0x7fff
                                        ; implicit-def: $vgpr86
; %bb.22:
	s_and_not1_saveexec_b32 s4, s4
; %bb.23:
	v_and_b32_e32 v85, 0xffff, v86
	v_or_b32_e32 v90, 0x10000, v86
	s_delay_alu instid0(VALU_DEP_2) | instskip(NEXT) | instid1(VALU_DEP_2)
	v_cmp_eq_u32_e32 vcc_lo, 0, v85
	v_cndmask_b32_e32 v85, v90, v86, vcc_lo
; %bb.24:
	s_or_b32 exec_lo, exec_lo, s4
	v_and_b32_e32 v86, 0x7f800000, v89
	s_delay_alu instid0(VALU_DEP_1) | instskip(SKIP_1) | instid1(SALU_CYCLE_1)
	v_cmp_ne_u32_e32 vcc_lo, 0x7f800000, v86
                                        ; implicit-def: $vgpr86
	s_and_saveexec_b32 s4, vcc_lo
	s_xor_b32 s4, exec_lo, s4
; %bb.25:
	v_bfe_u32 v86, v89, 16, 1
	s_delay_alu instid0(VALU_DEP_1)
	v_add3_u32 v86, v89, v86, 0x7fff
                                        ; implicit-def: $vgpr89
; %bb.26:
	s_and_not1_saveexec_b32 s4, s4
; %bb.27:
	v_and_b32_e32 v86, 0xffff, v89
	v_or_b32_e32 v90, 0x10000, v89
	s_delay_alu instid0(VALU_DEP_2) | instskip(NEXT) | instid1(VALU_DEP_2)
	v_cmp_eq_u32_e32 vcc_lo, 0, v86
	v_cndmask_b32_e32 v86, v90, v89, vcc_lo
; %bb.28:
	s_or_b32 exec_lo, exec_lo, s4
	v_and_b32_e32 v89, 0x7f800000, v88
	s_delay_alu instid0(VALU_DEP_1) | instskip(SKIP_1) | instid1(SALU_CYCLE_1)
	v_cmp_ne_u32_e32 vcc_lo, 0x7f800000, v89
                                        ; implicit-def: $vgpr89
	s_and_saveexec_b32 s4, vcc_lo
	s_xor_b32 s4, exec_lo, s4
; %bb.29:
	v_bfe_u32 v89, v88, 16, 1
	s_delay_alu instid0(VALU_DEP_1)
	v_add3_u32 v89, v88, v89, 0x7fff
                                        ; implicit-def: $vgpr88
; %bb.30:
	s_and_not1_saveexec_b32 s4, s4
; %bb.31:
	v_and_b32_e32 v89, 0xffff, v88
	v_or_b32_e32 v90, 0x10000, v88
	s_delay_alu instid0(VALU_DEP_2) | instskip(NEXT) | instid1(VALU_DEP_2)
	v_cmp_eq_u32_e32 vcc_lo, 0, v89
	v_cndmask_b32_e32 v89, v90, v88, vcc_lo
; %bb.32:
	s_or_b32 exec_lo, exec_lo, s4
	v_and_b32_e32 v88, 0x7f800000, v87
	s_delay_alu instid0(VALU_DEP_1) | instskip(SKIP_1) | instid1(SALU_CYCLE_1)
	v_cmp_ne_u32_e32 vcc_lo, 0x7f800000, v88
                                        ; implicit-def: $vgpr88
	s_and_saveexec_b32 s4, vcc_lo
	s_xor_b32 s4, exec_lo, s4
; %bb.33:
	v_bfe_u32 v88, v87, 16, 1
	s_delay_alu instid0(VALU_DEP_1)
	v_add3_u32 v88, v87, v88, 0x7fff
                                        ; implicit-def: $vgpr87
; %bb.34:
	s_and_not1_saveexec_b32 s4, s4
; %bb.35:
	v_and_b32_e32 v88, 0xffff, v87
	v_or_b32_e32 v90, 0x10000, v87
	s_delay_alu instid0(VALU_DEP_2) | instskip(NEXT) | instid1(VALU_DEP_2)
	v_cmp_eq_u32_e32 vcc_lo, 0, v88
	v_cndmask_b32_e32 v88, v90, v87, vcc_lo
; %bb.36:
	s_or_b32 exec_lo, exec_lo, s4
	v_and_b32_e32 v87, 0x7f800000, v84
	s_delay_alu instid0(VALU_DEP_1) | instskip(SKIP_1) | instid1(SALU_CYCLE_1)
	v_cmp_ne_u32_e32 vcc_lo, 0x7f800000, v87
                                        ; implicit-def: $vgpr87
	s_and_saveexec_b32 s4, vcc_lo
	s_xor_b32 s4, exec_lo, s4
; %bb.37:
	v_bfe_u32 v87, v84, 16, 1
	s_delay_alu instid0(VALU_DEP_1)
	v_add3_u32 v87, v84, v87, 0x7fff
                                        ; implicit-def: $vgpr84
; %bb.38:
	s_and_not1_saveexec_b32 s4, s4
; %bb.39:
	v_and_b32_e32 v87, 0xffff, v84
	v_or_b32_e32 v90, 0x10000, v84
	s_delay_alu instid0(VALU_DEP_2) | instskip(NEXT) | instid1(VALU_DEP_2)
	v_cmp_eq_u32_e32 vcc_lo, 0, v87
	v_cndmask_b32_e32 v87, v90, v84, vcc_lo
; %bb.40:
	s_or_b32 exec_lo, exec_lo, s4
	v_and_b32_e32 v84, 0x7f800000, v80
	s_delay_alu instid0(VALU_DEP_1) | instskip(SKIP_1) | instid1(SALU_CYCLE_1)
	v_cmp_ne_u32_e32 vcc_lo, 0x7f800000, v84
                                        ; implicit-def: $vgpr84
	s_and_saveexec_b32 s4, vcc_lo
	s_xor_b32 s4, exec_lo, s4
; %bb.41:
	v_bfe_u32 v84, v80, 16, 1
	s_delay_alu instid0(VALU_DEP_1)
	v_add3_u32 v84, v80, v84, 0x7fff
                                        ; implicit-def: $vgpr80
; %bb.42:
	s_and_not1_saveexec_b32 s4, s4
; %bb.43:
	v_and_b32_e32 v84, 0xffff, v80
	v_or_b32_e32 v90, 0x10000, v80
	s_delay_alu instid0(VALU_DEP_2) | instskip(NEXT) | instid1(VALU_DEP_2)
	v_cmp_eq_u32_e32 vcc_lo, 0, v84
	v_cndmask_b32_e32 v84, v90, v80, vcc_lo
; %bb.44:
	s_or_b32 exec_lo, exec_lo, s4
	s_load_b64 s[36:37], s[0:1], 0x94
	v_lshlrev_b32_e32 v91, 4, v74
	s_delay_alu instid0(VALU_DEP_2)
	v_perm_b32 v90, v84, v87, 0x7060302
	v_dual_mul_f32 v79, v82, v79 :: v_dual_lshlrev_b32 v80, 6, v65
	v_dual_mul_f32 v77, v82, v77 :: v_dual_lshlrev_b32 v92, 11, v66
	v_mul_f32_e32 v84, v82, v70
	v_perm_b32 v89, v88, v89, 0x7060302
	v_perm_b32 v88, v86, v85, 0x7060302
	;; [unrolled: 1-line block ×3, first 2 shown]
	v_mul_f32_e32 v70, v82, v81
	v_or3_b32 v76, v91, v92, v80
	v_dual_mul_f32 v78, v82, v78 :: v_dual_and_b32 v85, 0x7f800000, v84
	v_mul_f32_e32 v83, v82, v72
	v_mul_f32_e32 v81, v82, v71
	;; [unrolled: 1-line block ×3, first 2 shown]
	s_mov_b32 s4, exec_lo
	ds_store_b128 v76, v[87:90]
                                        ; implicit-def: $vgpr69
	v_cmpx_ne_u32_e32 0x7f800000, v85
	s_xor_b32 s4, exec_lo, s4
; %bb.45:
	v_bfe_u32 v69, v84, 16, 1
	s_delay_alu instid0(VALU_DEP_1)
	v_add3_u32 v69, v84, v69, 0x7fff
                                        ; implicit-def: $vgpr84
; %bb.46:
	s_and_not1_saveexec_b32 s4, s4
; %bb.47:
	v_and_b32_e32 v69, 0xffff, v84
	v_or_b32_e32 v71, 0x10000, v84
	s_delay_alu instid0(VALU_DEP_2) | instskip(NEXT) | instid1(VALU_DEP_2)
	v_cmp_eq_u32_e32 vcc_lo, 0, v69
	v_cndmask_b32_e32 v69, v71, v84, vcc_lo
; %bb.48:
	s_or_b32 exec_lo, exec_lo, s4
	v_and_b32_e32 v71, 0x7f800000, v72
	s_delay_alu instid0(VALU_DEP_1) | instskip(SKIP_1) | instid1(SALU_CYCLE_1)
	v_cmp_ne_u32_e32 vcc_lo, 0x7f800000, v71
                                        ; implicit-def: $vgpr71
	s_and_saveexec_b32 s4, vcc_lo
	s_xor_b32 s4, exec_lo, s4
; %bb.49:
	v_bfe_u32 v71, v72, 16, 1
	s_delay_alu instid0(VALU_DEP_1)
	v_add3_u32 v71, v72, v71, 0x7fff
                                        ; implicit-def: $vgpr72
; %bb.50:
	s_and_not1_saveexec_b32 s4, s4
; %bb.51:
	v_and_b32_e32 v71, 0xffff, v72
	v_or_b32_e32 v82, 0x10000, v72
	s_delay_alu instid0(VALU_DEP_2) | instskip(NEXT) | instid1(VALU_DEP_2)
	v_cmp_eq_u32_e32 vcc_lo, 0, v71
	v_cndmask_b32_e32 v71, v82, v72, vcc_lo
; %bb.52:
	s_or_b32 exec_lo, exec_lo, s4
	v_and_b32_e32 v72, 0x7f800000, v81
	s_delay_alu instid0(VALU_DEP_1) | instskip(SKIP_1) | instid1(SALU_CYCLE_1)
	v_cmp_ne_u32_e32 vcc_lo, 0x7f800000, v72
                                        ; implicit-def: $vgpr72
	s_and_saveexec_b32 s4, vcc_lo
	s_xor_b32 s4, exec_lo, s4
; %bb.53:
	v_bfe_u32 v72, v81, 16, 1
	s_delay_alu instid0(VALU_DEP_1)
	v_add3_u32 v72, v81, v72, 0x7fff
                                        ; implicit-def: $vgpr81
; %bb.54:
	s_and_not1_saveexec_b32 s4, s4
; %bb.55:
	v_and_b32_e32 v72, 0xffff, v81
	v_or_b32_e32 v82, 0x10000, v81
	s_delay_alu instid0(VALU_DEP_2) | instskip(NEXT) | instid1(VALU_DEP_2)
	v_cmp_eq_u32_e32 vcc_lo, 0, v72
	v_cndmask_b32_e32 v72, v82, v81, vcc_lo
; %bb.56:
	s_or_b32 exec_lo, exec_lo, s4
	v_and_b32_e32 v81, 0x7f800000, v83
	s_delay_alu instid0(VALU_DEP_1) | instskip(SKIP_1) | instid1(SALU_CYCLE_1)
	v_cmp_ne_u32_e32 vcc_lo, 0x7f800000, v81
                                        ; implicit-def: $vgpr81
	s_and_saveexec_b32 s4, vcc_lo
	s_xor_b32 s4, exec_lo, s4
; %bb.57:
	v_bfe_u32 v81, v83, 16, 1
	s_delay_alu instid0(VALU_DEP_1)
	v_add3_u32 v81, v83, v81, 0x7fff
                                        ; implicit-def: $vgpr83
; %bb.58:
	s_and_not1_saveexec_b32 s4, s4
; %bb.59:
	v_and_b32_e32 v81, 0xffff, v83
	v_or_b32_e32 v82, 0x10000, v83
	s_delay_alu instid0(VALU_DEP_2) | instskip(NEXT) | instid1(VALU_DEP_2)
	v_cmp_eq_u32_e32 vcc_lo, 0, v81
	v_cndmask_b32_e32 v81, v82, v83, vcc_lo
; %bb.60:
	s_or_b32 exec_lo, exec_lo, s4
	v_and_b32_e32 v82, 0x7f800000, v77
	s_delay_alu instid0(VALU_DEP_1) | instskip(SKIP_1) | instid1(SALU_CYCLE_1)
	v_cmp_ne_u32_e32 vcc_lo, 0x7f800000, v82
                                        ; implicit-def: $vgpr82
	s_and_saveexec_b32 s4, vcc_lo
	s_xor_b32 s4, exec_lo, s4
; %bb.61:
	v_bfe_u32 v82, v77, 16, 1
	s_delay_alu instid0(VALU_DEP_1)
	v_add3_u32 v82, v77, v82, 0x7fff
                                        ; implicit-def: $vgpr77
; %bb.62:
	s_and_not1_saveexec_b32 s4, s4
; %bb.63:
	v_and_b32_e32 v82, 0xffff, v77
	v_or_b32_e32 v83, 0x10000, v77
	s_delay_alu instid0(VALU_DEP_2) | instskip(NEXT) | instid1(VALU_DEP_2)
	v_cmp_eq_u32_e32 vcc_lo, 0, v82
	v_cndmask_b32_e32 v82, v83, v77, vcc_lo
; %bb.64:
	s_or_b32 exec_lo, exec_lo, s4
	v_and_b32_e32 v77, 0x7f800000, v78
	s_delay_alu instid0(VALU_DEP_1) | instskip(SKIP_1) | instid1(SALU_CYCLE_1)
	v_cmp_ne_u32_e32 vcc_lo, 0x7f800000, v77
                                        ; implicit-def: $vgpr77
	s_and_saveexec_b32 s4, vcc_lo
	s_xor_b32 s4, exec_lo, s4
; %bb.65:
	v_bfe_u32 v77, v78, 16, 1
	s_delay_alu instid0(VALU_DEP_1)
	v_add3_u32 v77, v78, v77, 0x7fff
                                        ; implicit-def: $vgpr78
; %bb.66:
	s_and_not1_saveexec_b32 s4, s4
; %bb.67:
	v_and_b32_e32 v77, 0xffff, v78
	v_or_b32_e32 v83, 0x10000, v78
	s_delay_alu instid0(VALU_DEP_2) | instskip(NEXT) | instid1(VALU_DEP_2)
	v_cmp_eq_u32_e32 vcc_lo, 0, v77
	v_cndmask_b32_e32 v77, v83, v78, vcc_lo
; %bb.68:
	s_or_b32 exec_lo, exec_lo, s4
	v_and_b32_e32 v78, 0x7f800000, v79
	s_delay_alu instid0(VALU_DEP_1) | instskip(SKIP_1) | instid1(SALU_CYCLE_1)
	v_cmp_ne_u32_e32 vcc_lo, 0x7f800000, v78
                                        ; implicit-def: $vgpr78
	s_and_saveexec_b32 s4, vcc_lo
	s_xor_b32 s4, exec_lo, s4
; %bb.69:
	v_bfe_u32 v78, v79, 16, 1
	s_delay_alu instid0(VALU_DEP_1)
	v_add3_u32 v78, v79, v78, 0x7fff
                                        ; implicit-def: $vgpr79
; %bb.70:
	s_and_not1_saveexec_b32 s4, s4
; %bb.71:
	v_and_b32_e32 v78, 0xffff, v79
	v_or_b32_e32 v83, 0x10000, v79
	s_delay_alu instid0(VALU_DEP_2) | instskip(NEXT) | instid1(VALU_DEP_2)
	v_cmp_eq_u32_e32 vcc_lo, 0, v78
	v_cndmask_b32_e32 v78, v83, v79, vcc_lo
; %bb.72:
	s_or_b32 exec_lo, exec_lo, s4
	v_and_b32_e32 v79, 0x7f800000, v70
	s_delay_alu instid0(VALU_DEP_1) | instskip(SKIP_1) | instid1(SALU_CYCLE_1)
	v_cmp_ne_u32_e32 vcc_lo, 0x7f800000, v79
                                        ; implicit-def: $vgpr79
	s_and_saveexec_b32 s4, vcc_lo
	s_xor_b32 s4, exec_lo, s4
; %bb.73:
	v_bfe_u32 v79, v70, 16, 1
	s_delay_alu instid0(VALU_DEP_1)
	v_add3_u32 v79, v70, v79, 0x7fff
                                        ; implicit-def: $vgpr70
; %bb.74:
	s_and_not1_saveexec_b32 s4, s4
; %bb.75:
	v_and_b32_e32 v79, 0xffff, v70
	v_or_b32_e32 v83, 0x10000, v70
	s_delay_alu instid0(VALU_DEP_2) | instskip(NEXT) | instid1(VALU_DEP_2)
	v_cmp_eq_u32_e32 vcc_lo, 0, v79
	v_cndmask_b32_e32 v79, v83, v70, vcc_lo
; %bb.76:
	s_or_b32 exec_lo, exec_lo, s4
	s_delay_alu instid0(VALU_DEP_1)
	v_perm_b32 v86, v79, v78, 0x7060302
	v_perm_b32 v85, v77, v82, 0x7060302
	;; [unrolled: 1-line block ×4, first 2 shown]
	v_lshl_or_b32 v82, v66, 11, v80
	ds_store_b128 v76, v[83:86] offset:1024
	s_waitcnt lgkmcnt(0)
	s_barrier
	buffer_gl0_inv
	ds_load_b128 v[69:72], v82
	ds_load_b128 v[83:86], v82 offset:16
	s_waitcnt lgkmcnt(1)
	v_lshrrev_b32_e32 v66, 16, v69
	s_waitcnt lgkmcnt(0)
	v_lshrrev_b32_e32 v91, 16, v83
	v_lshlrev_b32_e32 v78, 2, v74
	v_lshrrev_b32_e32 v95, 16, v70
	v_lshrrev_b32_e32 v98, 16, v84
	;; [unrolled: 1-line block ×4, first 2 shown]
	v_cmp_eq_u32_e32 vcc_lo, 1, v78
	v_lshrrev_b32_e32 v97, 16, v72
	v_lshrrev_b32_e32 v100, 16, v86
	v_cndmask_b32_e32 v87, v83, v91, vcc_lo
	v_or_b32_e32 v79, 1, v78
	v_cndmask_b32_e32 v81, v69, v66, vcc_lo
	v_cmp_eq_u32_e64 s5, 2, v78
	v_cmp_eq_u32_e64 s8, 3, v78
	;; [unrolled: 1-line block ×5, first 2 shown]
	v_cndmask_b32_e64 v81, v81, v70, s5
	v_cndmask_b32_e64 v87, v87, v84, s5
	v_cmp_eq_u32_e64 s9, 3, v79
	v_cndmask_b32_e64 v88, v69, v66, s4
	v_or_b32_e32 v77, 2, v78
	v_cndmask_b32_e64 v81, v81, v95, s8
	v_cndmask_b32_e64 v87, v87, v98, s8
	;; [unrolled: 1-line block ×4, first 2 shown]
	v_cmp_eq_u32_e64 s11, 5, v78
	v_cndmask_b32_e64 v81, v81, v71, s10
	v_cndmask_b32_e64 v87, v87, v85, s10
	v_cmp_eq_u32_e64 s12, 4, v79
	v_cndmask_b32_e64 v88, v88, v95, s9
	v_cmp_eq_u32_e64 s6, 1, v77
	v_cndmask_b32_e64 v89, v89, v84, s7
	v_cndmask_b32_e64 v81, v81, v96, s11
	v_cmp_eq_u32_e64 s13, 6, v78
	v_cndmask_b32_e64 v88, v88, v71, s12
	v_cndmask_b32_e64 v87, v87, v99, s11
	v_cmp_eq_u32_e64 s15, 5, v79
	v_cndmask_b32_e64 v90, v69, v66, s6
	v_cndmask_b32_e64 v89, v89, v98, s9
	v_cndmask_b32_e64 v81, v81, v72, s13
	v_cmp_eq_u32_e64 s16, 7, v78
	v_cndmask_b32_e64 v88, v88, v96, s15
	v_cndmask_b32_e64 v87, v87, v86, s13
	v_cmp_eq_u32_e64 s17, 6, v79
	v_cmp_eq_u32_e64 s18, 2, v77
	v_cndmask_b32_e64 v89, v89, v85, s12
	v_cndmask_b32_e64 v101, v81, v97, s16
	;; [unrolled: 1-line block ×6, first 2 shown]
	v_cmp_eq_u32_e64 s19, 7, v79
	v_cmp_eq_u32_e64 s20, 3, v77
	;; [unrolled: 1-line block ×4, first 2 shown]
	v_cndmask_b32_e64 v87, v87, v84, s18
	v_cndmask_b32_e64 v103, v88, v97, s19
	;; [unrolled: 1-line block ×4, first 2 shown]
	v_or_b32_e32 v81, 3, v78
	v_cndmask_b32_e64 v93, v87, v98, s20
	v_cmp_eq_u32_e64 s25, 6, v77
	v_cndmask_b32_e64 v104, v88, v86, s17
	v_cndmask_b32_e64 v92, v89, v71, s21
	v_cmp_eq_u32_e64 s22, 1, v81
	ds_load_b128 v[87:90], v82 offset:1024
	v_cmp_eq_u32_e64 s24, 2, v81
	v_cmp_eq_u32_e64 s26, 3, v81
	v_cndmask_b32_e64 v105, v92, v96, s23
	v_cndmask_b32_e64 v66, v69, v66, s22
	;; [unrolled: 1-line block ×4, first 2 shown]
	ds_load_b128 v[91:94], v82 offset:1040
	v_cmp_eq_u32_e64 s27, 4, v81
	v_cndmask_b32_e64 v66, v66, v70, s24
	v_cmp_eq_u32_e64 s28, 7, v77
	v_cndmask_b32_e64 v70, v83, v84, s24
	v_cndmask_b32_e64 v84, v105, v72, s25
	v_cmp_eq_u32_e64 s29, 5, v81
	v_cndmask_b32_e64 v66, v66, v95, s26
	v_cmp_eq_u32_e64 s30, 6, v81
	v_cndmask_b32_e64 v70, v70, v98, s26
	v_cndmask_b32_e64 v69, v69, v99, s23
	;; [unrolled: 1-line block ×4, first 2 shown]
	s_waitcnt lgkmcnt(1)
	v_lshrrev_b32_e32 v95, 16, v87
	v_cndmask_b32_e64 v70, v70, v85, s27
	v_cndmask_b32_e64 v71, v84, v97, s28
	;; [unrolled: 1-line block ×4, first 2 shown]
	v_cndmask_b32_e32 v84, v87, v95, vcc_lo
	v_cndmask_b32_e64 v70, v70, v99, s29
	s_waitcnt lgkmcnt(0)
	v_lshrrev_b32_e32 v85, 16, v91
	v_lshrrev_b32_e32 v96, 16, v88
	v_cndmask_b32_e64 v98, v87, v95, s4
	v_cndmask_b32_e64 v84, v84, v88, s5
	;; [unrolled: 1-line block ×3, first 2 shown]
	v_cndmask_b32_e32 v99, v91, v85, vcc_lo
	v_cmp_eq_u32_e32 vcc_lo, 7, v81
	v_cndmask_b32_e64 v66, v66, v72, s30
	v_cndmask_b32_e64 v72, v84, v96, s8
	;; [unrolled: 1-line block ×3, first 2 shown]
	v_lshrrev_b32_e32 v98, 16, v92
	v_cndmask_b32_e32 v70, v70, v100, vcc_lo
	v_cndmask_b32_e64 v86, v99, v92, s5
	v_cndmask_b32_e64 v69, v69, v100, s28
	v_lshrrev_b32_e32 v100, 16, v93
	v_cndmask_b32_e64 v72, v72, v89, s10
	v_lshrrev_b32_e32 v99, 16, v89
	v_cndmask_b32_e64 v86, v86, v98, s8
	v_perm_b32 v71, v69, v71, 0x5040100
	v_cndmask_b32_e64 v84, v84, v96, s9
	s_delay_alu instid0(VALU_DEP_3) | instskip(NEXT) | instid1(VALU_DEP_2)
	v_cndmask_b32_e64 v86, v86, v93, s10
	v_cndmask_b32_e64 v84, v84, v89, s12
	s_delay_alu instid0(VALU_DEP_2) | instskip(NEXT) | instid1(VALU_DEP_1)
	v_cndmask_b32_e64 v86, v86, v100, s11
	v_cndmask_b32_e64 v69, v86, v94, s13
	;; [unrolled: 1-line block ×5, first 2 shown]
	s_delay_alu instid0(VALU_DEP_3) | instskip(NEXT) | instid1(VALU_DEP_3)
	v_cndmask_b32_e64 v86, v86, v88, s18
	v_cndmask_b32_e64 v87, v87, v88, s24
	s_delay_alu instid0(VALU_DEP_3) | instskip(NEXT) | instid1(VALU_DEP_3)
	v_cndmask_b32_e64 v88, v95, v92, s24
	v_cndmask_b32_e64 v86, v86, v96, s20
	;; [unrolled: 3-line block ×7, first 2 shown]
	s_delay_alu instid0(VALU_DEP_3) | instskip(SKIP_2) | instid1(VALU_DEP_2)
	v_cndmask_b32_e64 v88, v88, v94, s30
	v_cndmask_b32_e32 v66, v66, v97, vcc_lo
	v_cndmask_b32_e64 v97, v72, v99, s11
	v_perm_b32 v72, v70, v66, 0x5040100
	v_perm_b32 v70, v83, v103, 0x5040100
	v_cndmask_b32_e64 v103, v91, v85, s6
	v_cndmask_b32_e64 v85, v91, v85, s4
	;; [unrolled: 1-line block ×4, first 2 shown]
	v_lshrrev_b32_e32 v97, 16, v90
	v_cndmask_b32_e64 v91, v103, v92, s18
	v_cndmask_b32_e64 v85, v85, v92, s7
	;; [unrolled: 1-line block ×3, first 2 shown]
	s_mov_b32 s4, exec_lo
	v_cndmask_b32_e64 v83, v84, v97, s16
	v_cndmask_b32_e64 v91, v91, v98, s20
	;; [unrolled: 1-line block ×3, first 2 shown]
	v_lshrrev_b32_e32 v84, 16, v94
	v_cndmask_b32_e64 v66, v66, v97, s19
	v_cndmask_b32_e64 v90, v86, v97, s28
	;; [unrolled: 1-line block ×4, first 2 shown]
	v_dual_cndmask_b32 v86, v87, v97 :: v_dual_cndmask_b32 v87, v88, v84
	v_cndmask_b32_e64 v91, v69, v84, s16
	s_delay_alu instid0(VALU_DEP_4) | instskip(NEXT) | instid1(VALU_DEP_4)
	v_cndmask_b32_e64 v89, v89, v100, s23
	v_cndmask_b32_e64 v85, v85, v100, s15
	v_perm_b32 v69, v102, v101, 0x5040100
	v_perm_b32 v86, v87, v86, 0x5040100
	;; [unrolled: 1-line block ×3, first 2 shown]
	v_cndmask_b32_e64 v89, v89, v94, s25
	v_cndmask_b32_e64 v85, v85, v94, s17
	s_mul_i32 s9, s37, 9
	s_delay_alu instid0(VALU_DEP_2) | instskip(NEXT) | instid1(VALU_DEP_2)
	v_cndmask_b32_e64 v88, v89, v84, s28
	v_cndmask_b32_e64 v89, v85, v84, s19
	s_delay_alu instid0(VALU_DEP_2) | instskip(NEXT) | instid1(VALU_DEP_2)
	v_perm_b32 v85, v88, v90, 0x5040100
	v_perm_b32 v84, v89, v66, 0x5040100
	ds_store_b128 v76, v[69:72]
	ds_store_b128 v76, v[83:86] offset:1024
	v_cmpx_gt_u32_e32 9, v0
	s_cbranch_execz .LBB1354_78
; %bb.77:
	s_mul_i32 s5, s9, s34
	s_load_b128 s[16:19], s[0:1], 0x58
	v_add3_u32 v69, s5, s31, v65
	s_delay_alu instid0(VALU_DEP_1) | instskip(NEXT) | instid1(VALU_DEP_1)
	v_mad_u64_u32 v[65:66], null, v69, s36, s[14:15]
	v_ashrrev_i32_e32 v66, 31, v65
	s_delay_alu instid0(VALU_DEP_1) | instskip(SKIP_1) | instid1(VALU_DEP_1)
	v_lshlrev_b64 v[65:66], 2, v[65:66]
	s_waitcnt lgkmcnt(0)
	v_add_co_u32 v69, vcc_lo, s18, v65
	s_delay_alu instid0(VALU_DEP_2)
	v_add_co_ci_u32_e32 v70, vcc_lo, s19, v66, vcc_lo
	v_add_co_u32 v65, vcc_lo, s16, v65
	v_add_co_ci_u32_e32 v66, vcc_lo, s17, v66, vcc_lo
	global_store_b32 v[69:70], v67, off
	global_store_b32 v[65:66], v68, off
.LBB1354_78:
	s_or_b32 exec_lo, exec_lo, s4
	s_waitcnt lgkmcnt(0)
	s_waitcnt_vscnt null, 0x0
	s_barrier
	buffer_gl0_inv
	ds_load_b128 v[83:86], v80
	ds_load_b128 v[87:90], v80 offset:16
	ds_load_b128 v[95:98], v80 offset:2064
	;; [unrolled: 1-line block ×3, first 2 shown]
	v_mov_b32_e32 v65, 0
	ds_load_b128 v[103:106], v80 offset:4112
	ds_load_b128 v[99:102], v80 offset:4096
	;; [unrolled: 1-line block ×4, first 2 shown]
	v_mov_b32_e32 v66, v65
	v_mov_b32_e32 v67, v65
	;; [unrolled: 1-line block ×7, first 2 shown]
	s_waitcnt lgkmcnt(6)
	s_delay_alu instid0(VALU_DEP_1)
	v_wmma_f32_16x16x16_bf16 v[65:72], v[57:64], v[83:90], v[65:72]
	ds_load_b128 v[61:64], v80 offset:8208
	ds_load_b128 v[57:60], v80 offset:8192
	s_waitcnt lgkmcnt(6)
	v_wmma_f32_16x16x16_bf16 v[65:72], v[41:48], v[91:98], v[65:72]
	ds_load_b128 v[45:48], v80 offset:10256
	ds_load_b128 v[41:44], v80 offset:10240
	s_waitcnt lgkmcnt(6)
	v_wmma_f32_16x16x16_bf16 v[65:72], v[33:40], v[99:106], v[65:72]
	ds_load_b128 v[37:40], v80 offset:12304
	ds_load_b128 v[33:36], v80 offset:12288
	s_waitcnt lgkmcnt(6)
	v_wmma_f32_16x16x16_bf16 v[65:72], v[25:32], v[107:114], v[65:72]
	ds_load_b128 v[29:32], v80 offset:14352
	ds_load_b128 v[25:28], v80 offset:14336
	s_waitcnt lgkmcnt(6)
	v_wmma_f32_16x16x16_bf16 v[65:72], v[1:8], v[57:64], v[65:72]
	s_waitcnt lgkmcnt(4)
	s_delay_alu instid0(VALU_DEP_1) | instskip(SKIP_1) | instid1(VALU_DEP_1)
	v_wmma_f32_16x16x16_bf16 v[65:72], v[9:16], v[41:48], v[65:72]
	s_waitcnt lgkmcnt(2)
	v_wmma_f32_16x16x16_bf16 v[65:72], v[17:24], v[33:40], v[65:72]
	s_waitcnt lgkmcnt(0)
	s_delay_alu instid0(VALU_DEP_1) | instskip(NEXT) | instid1(VALU_DEP_1)
	v_wmma_f32_16x16x16_bf16 v[65:72], v[49:56], v[25:32], v[65:72]
	v_and_b32_e32 v1, 0x7f800000, v65
	s_delay_alu instid0(VALU_DEP_1) | instskip(SKIP_1) | instid1(SALU_CYCLE_1)
	v_cmp_ne_u32_e32 vcc_lo, 0x7f800000, v1
                                        ; implicit-def: $vgpr1
	s_and_saveexec_b32 s4, vcc_lo
	s_xor_b32 s4, exec_lo, s4
; %bb.79:
	v_bfe_u32 v1, v65, 16, 1
	s_delay_alu instid0(VALU_DEP_1)
	v_add3_u32 v1, v65, v1, 0x7fff
; %bb.80:
	s_and_not1_saveexec_b32 s4, s4
; %bb.81:
	v_and_b32_e32 v1, 0xffff, v65
	v_or_b32_e32 v2, 0x10000, v65
	s_delay_alu instid0(VALU_DEP_2) | instskip(NEXT) | instid1(VALU_DEP_2)
	v_cmp_eq_u32_e32 vcc_lo, 0, v1
	v_cndmask_b32_e32 v1, v2, v65, vcc_lo
; %bb.82:
	s_or_b32 exec_lo, exec_lo, s4
	v_and_b32_e32 v2, 0x7f800000, v66
	s_delay_alu instid0(VALU_DEP_1) | instskip(SKIP_1) | instid1(SALU_CYCLE_1)
	v_cmp_ne_u32_e32 vcc_lo, 0x7f800000, v2
                                        ; implicit-def: $vgpr2
	s_and_saveexec_b32 s4, vcc_lo
	s_xor_b32 s4, exec_lo, s4
; %bb.83:
	v_bfe_u32 v2, v66, 16, 1
	s_delay_alu instid0(VALU_DEP_1)
	v_add3_u32 v2, v66, v2, 0x7fff
; %bb.84:
	s_and_not1_saveexec_b32 s4, s4
; %bb.85:
	v_and_b32_e32 v2, 0xffff, v66
	v_or_b32_e32 v3, 0x10000, v66
	s_delay_alu instid0(VALU_DEP_2) | instskip(NEXT) | instid1(VALU_DEP_2)
	v_cmp_eq_u32_e32 vcc_lo, 0, v2
	v_cndmask_b32_e32 v2, v3, v66, vcc_lo
; %bb.86:
	s_or_b32 exec_lo, exec_lo, s4
	v_and_b32_e32 v3, 0x7f800000, v67
	s_delay_alu instid0(VALU_DEP_1) | instskip(SKIP_1) | instid1(SALU_CYCLE_1)
	v_cmp_ne_u32_e32 vcc_lo, 0x7f800000, v3
                                        ; implicit-def: $vgpr3
	s_and_saveexec_b32 s4, vcc_lo
	s_xor_b32 s4, exec_lo, s4
; %bb.87:
	v_bfe_u32 v3, v67, 16, 1
	s_delay_alu instid0(VALU_DEP_1)
	v_add3_u32 v3, v67, v3, 0x7fff
; %bb.88:
	s_and_not1_saveexec_b32 s4, s4
; %bb.89:
	v_and_b32_e32 v3, 0xffff, v67
	v_or_b32_e32 v4, 0x10000, v67
	s_delay_alu instid0(VALU_DEP_2) | instskip(NEXT) | instid1(VALU_DEP_2)
	v_cmp_eq_u32_e32 vcc_lo, 0, v3
	v_cndmask_b32_e32 v3, v4, v67, vcc_lo
; %bb.90:
	s_or_b32 exec_lo, exec_lo, s4
	v_and_b32_e32 v4, 0x7f800000, v68
	s_delay_alu instid0(VALU_DEP_1) | instskip(SKIP_1) | instid1(SALU_CYCLE_1)
	v_cmp_ne_u32_e32 vcc_lo, 0x7f800000, v4
                                        ; implicit-def: $vgpr4
	s_and_saveexec_b32 s4, vcc_lo
	s_xor_b32 s4, exec_lo, s4
; %bb.91:
	v_bfe_u32 v4, v68, 16, 1
	s_delay_alu instid0(VALU_DEP_1)
	v_add3_u32 v4, v68, v4, 0x7fff
; %bb.92:
	s_and_not1_saveexec_b32 s4, s4
; %bb.93:
	v_and_b32_e32 v4, 0xffff, v68
	v_or_b32_e32 v5, 0x10000, v68
	s_delay_alu instid0(VALU_DEP_2) | instskip(NEXT) | instid1(VALU_DEP_2)
	v_cmp_eq_u32_e32 vcc_lo, 0, v4
	v_cndmask_b32_e32 v4, v5, v68, vcc_lo
; %bb.94:
	s_or_b32 exec_lo, exec_lo, s4
	v_and_b32_e32 v5, 0x7f800000, v69
	s_delay_alu instid0(VALU_DEP_1) | instskip(SKIP_1) | instid1(SALU_CYCLE_1)
	v_cmp_ne_u32_e32 vcc_lo, 0x7f800000, v5
                                        ; implicit-def: $vgpr5
	s_and_saveexec_b32 s4, vcc_lo
	s_xor_b32 s4, exec_lo, s4
; %bb.95:
	v_bfe_u32 v5, v69, 16, 1
	s_delay_alu instid0(VALU_DEP_1)
	v_add3_u32 v5, v69, v5, 0x7fff
; %bb.96:
	s_and_not1_saveexec_b32 s4, s4
; %bb.97:
	v_and_b32_e32 v5, 0xffff, v69
	v_or_b32_e32 v6, 0x10000, v69
	s_delay_alu instid0(VALU_DEP_2) | instskip(NEXT) | instid1(VALU_DEP_2)
	v_cmp_eq_u32_e32 vcc_lo, 0, v5
	v_cndmask_b32_e32 v5, v6, v69, vcc_lo
; %bb.98:
	s_or_b32 exec_lo, exec_lo, s4
	v_and_b32_e32 v6, 0x7f800000, v70
	s_delay_alu instid0(VALU_DEP_1) | instskip(SKIP_1) | instid1(SALU_CYCLE_1)
	v_cmp_ne_u32_e32 vcc_lo, 0x7f800000, v6
                                        ; implicit-def: $vgpr6
	s_and_saveexec_b32 s4, vcc_lo
	s_xor_b32 s4, exec_lo, s4
; %bb.99:
	v_bfe_u32 v6, v70, 16, 1
	s_delay_alu instid0(VALU_DEP_1)
	v_add3_u32 v6, v70, v6, 0x7fff
; %bb.100:
	s_and_not1_saveexec_b32 s4, s4
; %bb.101:
	v_and_b32_e32 v6, 0xffff, v70
	v_or_b32_e32 v7, 0x10000, v70
	s_delay_alu instid0(VALU_DEP_2) | instskip(NEXT) | instid1(VALU_DEP_2)
	v_cmp_eq_u32_e32 vcc_lo, 0, v6
	v_cndmask_b32_e32 v6, v7, v70, vcc_lo
; %bb.102:
	s_or_b32 exec_lo, exec_lo, s4
	v_and_b32_e32 v7, 0x7f800000, v71
	s_delay_alu instid0(VALU_DEP_1) | instskip(SKIP_1) | instid1(SALU_CYCLE_1)
	v_cmp_ne_u32_e32 vcc_lo, 0x7f800000, v7
                                        ; implicit-def: $vgpr7
	s_and_saveexec_b32 s4, vcc_lo
	s_xor_b32 s4, exec_lo, s4
; %bb.103:
	v_bfe_u32 v7, v71, 16, 1
	s_delay_alu instid0(VALU_DEP_1)
	v_add3_u32 v7, v71, v7, 0x7fff
; %bb.104:
	s_and_not1_saveexec_b32 s4, s4
; %bb.105:
	v_and_b32_e32 v7, 0xffff, v71
	v_or_b32_e32 v8, 0x10000, v71
	s_delay_alu instid0(VALU_DEP_2) | instskip(NEXT) | instid1(VALU_DEP_2)
	v_cmp_eq_u32_e32 vcc_lo, 0, v7
	v_cndmask_b32_e32 v7, v8, v71, vcc_lo
; %bb.106:
	s_or_b32 exec_lo, exec_lo, s4
	v_and_b32_e32 v8, 0x7f800000, v72
	s_delay_alu instid0(VALU_DEP_1) | instskip(SKIP_1) | instid1(SALU_CYCLE_1)
	v_cmp_ne_u32_e32 vcc_lo, 0x7f800000, v8
                                        ; implicit-def: $vgpr8
	s_and_saveexec_b32 s4, vcc_lo
	s_xor_b32 s4, exec_lo, s4
; %bb.107:
	v_bfe_u32 v8, v72, 16, 1
	s_delay_alu instid0(VALU_DEP_1)
	v_add3_u32 v8, v72, v8, 0x7fff
                                        ; implicit-def: $vgpr65_vgpr66_vgpr67_vgpr68_vgpr69_vgpr70_vgpr71_vgpr72
; %bb.108:
	s_and_not1_saveexec_b32 s4, s4
; %bb.109:
	v_and_b32_e32 v8, 0xffff, v72
	v_or_b32_e32 v9, 0x10000, v72
	s_delay_alu instid0(VALU_DEP_2) | instskip(NEXT) | instid1(VALU_DEP_2)
	v_cmp_eq_u32_e32 vcc_lo, 0, v8
	v_cndmask_b32_e32 v8, v9, v72, vcc_lo
; %bb.110:
	s_or_b32 exec_lo, exec_lo, s4
	s_delay_alu instid0(VALU_DEP_1)
	v_perm_b32 v7, v8, v7, 0x7060302
	v_perm_b32 v6, v6, v5, 0x7060302
	;; [unrolled: 1-line block ×4, first 2 shown]
	s_barrier
	buffer_gl0_inv
	v_cmp_eq_u32_e32 vcc_lo, 1, v78
	ds_store_b128 v76, v[4:7]
	s_waitcnt lgkmcnt(0)
	s_barrier
	buffer_gl0_inv
	ds_load_b128 v[1:4], v82
	ds_load_b128 v[5:8], v82 offset:16
	v_cmp_eq_u32_e64 s4, 1, v79
	v_cmp_eq_u32_e64 s5, 2, v78
	;; [unrolled: 1-line block ×5, first 2 shown]
	s_waitcnt lgkmcnt(1)
	v_lshrrev_b32_e32 v9, 16, v1
	s_waitcnt lgkmcnt(0)
	v_lshrrev_b32_e32 v13, 16, v5
	v_lshrrev_b32_e32 v10, 16, v2
	;; [unrolled: 1-line block ×4, first 2 shown]
	v_cndmask_b32_e64 v19, v1, v9, s4
	v_cndmask_b32_e32 v18, v5, v13, vcc_lo
	v_cndmask_b32_e64 v20, v5, v13, s4
	v_cndmask_b32_e32 v17, v1, v9, vcc_lo
	v_cmp_eq_u32_e32 vcc_lo, 2, v79
	v_lshrrev_b32_e32 v15, 16, v7
	v_cmp_eq_u32_e64 s4, 1, v77
	v_lshrrev_b32_e32 v12, 16, v4
	v_lshrrev_b32_e32 v16, 16, v8
	v_cndmask_b32_e32 v20, v20, v6, vcc_lo
	v_cndmask_b32_e64 v17, v17, v2, s5
	v_cndmask_b32_e32 v19, v19, v2, vcc_lo
	v_cndmask_b32_e64 v18, v18, v6, s5
	v_cmp_eq_u32_e32 vcc_lo, 4, v78
	v_cmp_eq_u32_e64 s5, 3, v79
	v_cndmask_b32_e64 v17, v17, v10, s6
	v_cndmask_b32_e64 v21, v1, v9, s4
	;; [unrolled: 1-line block ×5, first 2 shown]
	v_cndmask_b32_e32 v17, v17, v3, vcc_lo
	v_cndmask_b32_e64 v20, v20, v14, s5
	v_cndmask_b32_e32 v18, v18, v7, vcc_lo
	v_cmp_eq_u32_e32 vcc_lo, 4, v79
	v_cmp_eq_u32_e64 s5, 5, v79
	v_cmp_eq_u32_e64 s4, 2, v81
	v_cndmask_b32_e64 v21, v21, v2, s8
	v_cmp_eq_u32_e64 s6, 5, v78
	v_cndmask_b32_e32 v19, v19, v3, vcc_lo
	v_cndmask_b32_e32 v20, v20, v7, vcc_lo
	v_cmp_eq_u32_e32 vcc_lo, 6, v79
	s_delay_alu instid0(VALU_DEP_4) | instskip(NEXT) | instid1(VALU_DEP_4)
	v_cndmask_b32_e64 v17, v17, v11, s6
	v_cndmask_b32_e64 v19, v19, v11, s5
	s_delay_alu instid0(VALU_DEP_4) | instskip(SKIP_1) | instid1(VALU_DEP_3)
	v_cndmask_b32_e64 v20, v20, v15, s5
	v_cmp_eq_u32_e64 s5, 1, v81
	v_cndmask_b32_e32 v19, v19, v4, vcc_lo
	v_cndmask_b32_e64 v18, v18, v15, s6
	s_delay_alu instid0(VALU_DEP_3)
	v_cndmask_b32_e64 v1, v1, v9, s5
	v_cndmask_b32_e64 v5, v5, v13, s5
	v_cmp_eq_u32_e64 s5, 3, v77
	v_cndmask_b32_e64 v13, v22, v6, s8
	v_cmp_eq_u32_e64 s8, 3, v81
	v_cndmask_b32_e64 v1, v1, v2, s4
	v_cndmask_b32_e64 v2, v5, v6, s4
	;; [unrolled: 1-line block ×3, first 2 shown]
	v_cmp_eq_u32_e64 s4, 4, v77
	v_cndmask_b32_e64 v6, v13, v14, s5
	v_cndmask_b32_e64 v1, v1, v10, s8
	v_cmp_eq_u32_e64 s5, 4, v81
	v_cndmask_b32_e64 v2, v2, v14, s8
	v_cndmask_b32_e64 v5, v9, v3, s4
	;; [unrolled: 3-line block ×3, first 2 shown]
	v_cndmask_b32_e64 v2, v2, v7, s5
	v_cmp_eq_u32_e64 s4, 5, v81
	v_cmp_eq_u32_e64 s6, 6, v78
	v_cndmask_b32_e64 v5, v5, v11, s8
	v_cmp_eq_u32_e64 s5, 6, v77
	v_cndmask_b32_e64 v3, v6, v15, s8
	v_cndmask_b32_e64 v1, v1, v11, s4
	v_cmp_eq_u32_e64 s8, 6, v81
	v_cndmask_b32_e64 v2, v2, v15, s4
	v_cndmask_b32_e64 v17, v17, v4, s6
	v_cndmask_b32_e64 v18, v18, v8, s6
	v_cmp_eq_u32_e64 s6, 7, v78
	v_cndmask_b32_e64 v5, v5, v4, s5
	v_cndmask_b32_e64 v3, v3, v8, s5
	v_cndmask_b32_e64 v1, v1, v4, s8
	v_cmp_eq_u32_e64 s4, 7, v81
	v_cndmask_b32_e64 v2, v2, v8, s8
	v_cmp_eq_u32_e64 s5, 7, v77
	v_cndmask_b32_e32 v4, v20, v8, vcc_lo
	v_cndmask_b32_e64 v17, v17, v12, s6
	v_cndmask_b32_e64 v19, v19, v12, s7
	;; [unrolled: 1-line block ×8, first 2 shown]
	v_cmp_gt_u32_e32 vcc_lo, 32, v0
	v_perm_b32 v4, v2, v1, 0x5040100
	v_perm_b32 v3, v3, v5, 0x5040100
	;; [unrolled: 1-line block ×4, first 2 shown]
	s_and_b32 s2, vcc_lo, s2
	ds_store_b128 v76, v[1:4]
	s_waitcnt lgkmcnt(0)
	s_barrier
	buffer_gl0_inv
	s_and_saveexec_b32 s4, s2
	s_cbranch_execz .LBB1354_2
; %bb.111:
	s_load_b64 s[4:5], s[0:1], 0x68
	v_lshlrev_b32_e32 v0, 10, v0
	v_lshlrev_b32_e32 v1, 4, v75
	s_lshl_b32 s0, s36, 6
	v_add_nc_u32_e32 v2, s31, v74
	s_mul_i32 s1, s0, s34
	s_delay_alu instid0(SALU_CYCLE_1) | instskip(SKIP_1) | instid1(VALU_DEP_2)
	s_mul_i32 s6, s1, s9
	v_and_or_b32 v0, 0x3800, v0, v1
	v_mul_lo_u32 v1, v2, s0
	s_ashr_i32 s7, s6, 31
	v_add_nc_u32_e32 v3, 2, v2
	s_lshl_b64 s[6:7], s[6:7], 1
	v_add_nc_u32_e32 v4, 4, v2
	v_add_nc_u32_e32 v5, 6, v2
	v_lshl_or_b32 v15, v74, 6, v0
	v_mul_lo_u32 v3, v3, s0
	v_ashrrev_i32_e32 v2, 31, v1
	v_mul_lo_u32 v19, v4, s0
	v_mul_lo_u32 v21, v5, s0
	s_waitcnt lgkmcnt(0)
	s_add_u32 s1, s4, s6
	s_addc_u32 s2, s5, s7
	s_lshl_b32 s4, s14, 6
	v_lshlrev_b64 v[5:6], 1, v[1:2]
	s_ashr_i32 s5, s4, 31
	v_ashrrev_i32_e32 v4, 31, v3
	s_lshl_b64 s[4:5], s[4:5], 1
	v_ashrrev_i32_e32 v20, 31, v19
	s_add_u32 s1, s1, s4
	s_addc_u32 s2, s2, s5
	v_add_co_u32 v1, s1, s1, v73
	s_delay_alu instid0(VALU_DEP_1) | instskip(SKIP_1) | instid1(VALU_DEP_3)
	v_add_co_ci_u32_e64 v2, null, s2, 0, s1
	v_lshlrev_b64 v[25:26], 1, v[3:4]
	v_add_co_u32 v23, vcc_lo, v1, v5
	s_delay_alu instid0(VALU_DEP_3)
	v_add_co_ci_u32_e32 v24, vcc_lo, v2, v6, vcc_lo
	ds_load_b128 v[3:6], v15
	ds_load_b128 v[7:10], v15 offset:128
	ds_load_b128 v[11:14], v15 offset:256
	;; [unrolled: 1-line block ×3, first 2 shown]
	v_ashrrev_i32_e32 v22, 31, v21
	v_lshlrev_b64 v[19:20], 1, v[19:20]
	v_add_co_u32 v25, vcc_lo, v1, v25
	v_add_co_ci_u32_e32 v26, vcc_lo, v2, v26, vcc_lo
	s_delay_alu instid0(VALU_DEP_4) | instskip(NEXT) | instid1(VALU_DEP_4)
	v_lshlrev_b64 v[21:22], 1, v[21:22]
	v_add_co_u32 v19, vcc_lo, v1, v19
	v_add_co_ci_u32_e32 v20, vcc_lo, v2, v20, vcc_lo
	s_delay_alu instid0(VALU_DEP_3) | instskip(NEXT) | instid1(VALU_DEP_4)
	v_add_co_u32 v21, vcc_lo, v1, v21
	v_add_co_ci_u32_e32 v22, vcc_lo, v2, v22, vcc_lo
	s_waitcnt lgkmcnt(3)
	global_store_b128 v[23:24], v[3:6], off
	s_waitcnt lgkmcnt(2)
	global_store_b128 v[25:26], v[7:10], off
	;; [unrolled: 2-line block ×4, first 2 shown]
	s_and_b32 exec_lo, exec_lo, s3
	s_cbranch_execz .LBB1354_2
; %bb.112:
	ds_load_b128 v[3:6], v0 offset:512
	s_add_i32 s1, s31, 8
	s_delay_alu instid0(SALU_CYCLE_1) | instskip(NEXT) | instid1(SALU_CYCLE_1)
	s_mul_i32 s0, s1, s0
	s_ashr_i32 s1, s0, 31
	s_delay_alu instid0(SALU_CYCLE_1) | instskip(NEXT) | instid1(SALU_CYCLE_1)
	s_lshl_b64 s[0:1], s[0:1], 1
	v_add_co_u32 v0, vcc_lo, v1, s0
	v_add_co_ci_u32_e32 v1, vcc_lo, s1, v2, vcc_lo
	s_waitcnt lgkmcnt(0)
	global_store_b128 v[0:1], v[3:6], off
	s_nop 0
	s_sendmsg sendmsg(MSG_DEALLOC_VGPRS)
	s_endpgm
	.section	.rodata,"a",@progbits
	.p2align	6, 0x0
	.amdhsa_kernel _Z39paged_attention_ll4mi_QKV_mfma16_kernelI14__hip_bfloat16hLN4vllm18Fp8KVCacheDataTypeE1EhLi16ELi64ELi256ELb1ELi9EL8MFMAType1EEvPKT_PKT0_S9_ifPKiSB_SB_iPKfiiiPfSE_PS4_PT2_iSD_SD_
		.amdhsa_group_segment_fixed_size 17472
		.amdhsa_private_segment_fixed_size 0
		.amdhsa_kernarg_size 400
		.amdhsa_user_sgpr_count 13
		.amdhsa_user_sgpr_dispatch_ptr 0
		.amdhsa_user_sgpr_queue_ptr 0
		.amdhsa_user_sgpr_kernarg_segment_ptr 1
		.amdhsa_user_sgpr_dispatch_id 0
		.amdhsa_user_sgpr_private_segment_size 0
		.amdhsa_wavefront_size32 1
		.amdhsa_uses_dynamic_stack 0
		.amdhsa_enable_private_segment 0
		.amdhsa_system_sgpr_workgroup_id_x 1
		.amdhsa_system_sgpr_workgroup_id_y 1
		.amdhsa_system_sgpr_workgroup_id_z 1
		.amdhsa_system_sgpr_workgroup_info 0
		.amdhsa_system_vgpr_workitem_id 0
		.amdhsa_next_free_vgpr 124
		.amdhsa_next_free_sgpr 40
		.amdhsa_reserve_vcc 1
		.amdhsa_float_round_mode_32 0
		.amdhsa_float_round_mode_16_64 0
		.amdhsa_float_denorm_mode_32 3
		.amdhsa_float_denorm_mode_16_64 3
		.amdhsa_dx10_clamp 1
		.amdhsa_ieee_mode 1
		.amdhsa_fp16_overflow 0
		.amdhsa_workgroup_processor_mode 1
		.amdhsa_memory_ordered 1
		.amdhsa_forward_progress 0
		.amdhsa_shared_vgpr_count 0
		.amdhsa_exception_fp_ieee_invalid_op 0
		.amdhsa_exception_fp_denorm_src 0
		.amdhsa_exception_fp_ieee_div_zero 0
		.amdhsa_exception_fp_ieee_overflow 0
		.amdhsa_exception_fp_ieee_underflow 0
		.amdhsa_exception_fp_ieee_inexact 0
		.amdhsa_exception_int_div_zero 0
	.end_amdhsa_kernel
	.section	.text._Z39paged_attention_ll4mi_QKV_mfma16_kernelI14__hip_bfloat16hLN4vllm18Fp8KVCacheDataTypeE1EhLi16ELi64ELi256ELb1ELi9EL8MFMAType1EEvPKT_PKT0_S9_ifPKiSB_SB_iPKfiiiPfSE_PS4_PT2_iSD_SD_,"axG",@progbits,_Z39paged_attention_ll4mi_QKV_mfma16_kernelI14__hip_bfloat16hLN4vllm18Fp8KVCacheDataTypeE1EhLi16ELi64ELi256ELb1ELi9EL8MFMAType1EEvPKT_PKT0_S9_ifPKiSB_SB_iPKfiiiPfSE_PS4_PT2_iSD_SD_,comdat
.Lfunc_end1354:
	.size	_Z39paged_attention_ll4mi_QKV_mfma16_kernelI14__hip_bfloat16hLN4vllm18Fp8KVCacheDataTypeE1EhLi16ELi64ELi256ELb1ELi9EL8MFMAType1EEvPKT_PKT0_S9_ifPKiSB_SB_iPKfiiiPfSE_PS4_PT2_iSD_SD_, .Lfunc_end1354-_Z39paged_attention_ll4mi_QKV_mfma16_kernelI14__hip_bfloat16hLN4vllm18Fp8KVCacheDataTypeE1EhLi16ELi64ELi256ELb1ELi9EL8MFMAType1EEvPKT_PKT0_S9_ifPKiSB_SB_iPKfiiiPfSE_PS4_PT2_iSD_SD_
                                        ; -- End function
	.section	.AMDGPU.csdata,"",@progbits
; Kernel info:
; codeLenInByte = 8792
; NumSgprs: 42
; NumVgprs: 124
; ScratchSize: 0
; MemoryBound: 0
; FloatMode: 240
; IeeeMode: 1
; LDSByteSize: 17472 bytes/workgroup (compile time only)
; SGPRBlocks: 5
; VGPRBlocks: 15
; NumSGPRsForWavesPerEU: 42
; NumVGPRsForWavesPerEU: 124
; Occupancy: 10
; WaveLimiterHint : 1
; COMPUTE_PGM_RSRC2:SCRATCH_EN: 0
; COMPUTE_PGM_RSRC2:USER_SGPR: 13
; COMPUTE_PGM_RSRC2:TRAP_HANDLER: 0
; COMPUTE_PGM_RSRC2:TGID_X_EN: 1
; COMPUTE_PGM_RSRC2:TGID_Y_EN: 1
; COMPUTE_PGM_RSRC2:TGID_Z_EN: 1
; COMPUTE_PGM_RSRC2:TIDIG_COMP_CNT: 0
	.section	.text._Z39paged_attention_ll4mi_QKV_mfma16_kernelI14__hip_bfloat16hLN4vllm18Fp8KVCacheDataTypeE1EhLi16ELi64ELi256ELb1ELi10EL8MFMAType1EEvPKT_PKT0_S9_ifPKiSB_SB_iPKfiiiPfSE_PS4_PT2_iSD_SD_,"axG",@progbits,_Z39paged_attention_ll4mi_QKV_mfma16_kernelI14__hip_bfloat16hLN4vllm18Fp8KVCacheDataTypeE1EhLi16ELi64ELi256ELb1ELi10EL8MFMAType1EEvPKT_PKT0_S9_ifPKiSB_SB_iPKfiiiPfSE_PS4_PT2_iSD_SD_,comdat
	.protected	_Z39paged_attention_ll4mi_QKV_mfma16_kernelI14__hip_bfloat16hLN4vllm18Fp8KVCacheDataTypeE1EhLi16ELi64ELi256ELb1ELi10EL8MFMAType1EEvPKT_PKT0_S9_ifPKiSB_SB_iPKfiiiPfSE_PS4_PT2_iSD_SD_ ; -- Begin function _Z39paged_attention_ll4mi_QKV_mfma16_kernelI14__hip_bfloat16hLN4vllm18Fp8KVCacheDataTypeE1EhLi16ELi64ELi256ELb1ELi10EL8MFMAType1EEvPKT_PKT0_S9_ifPKiSB_SB_iPKfiiiPfSE_PS4_PT2_iSD_SD_
	.globl	_Z39paged_attention_ll4mi_QKV_mfma16_kernelI14__hip_bfloat16hLN4vllm18Fp8KVCacheDataTypeE1EhLi16ELi64ELi256ELb1ELi10EL8MFMAType1EEvPKT_PKT0_S9_ifPKiSB_SB_iPKfiiiPfSE_PS4_PT2_iSD_SD_
	.p2align	8
	.type	_Z39paged_attention_ll4mi_QKV_mfma16_kernelI14__hip_bfloat16hLN4vllm18Fp8KVCacheDataTypeE1EhLi16ELi64ELi256ELb1ELi10EL8MFMAType1EEvPKT_PKT0_S9_ifPKiSB_SB_iPKfiiiPfSE_PS4_PT2_iSD_SD_,@function
_Z39paged_attention_ll4mi_QKV_mfma16_kernelI14__hip_bfloat16hLN4vllm18Fp8KVCacheDataTypeE1EhLi16ELi64ELi256ELb1ELi10EL8MFMAType1EEvPKT_PKT0_S9_ifPKiSB_SB_iPKfiiiPfSE_PS4_PT2_iSD_SD_: ; @_Z39paged_attention_ll4mi_QKV_mfma16_kernelI14__hip_bfloat16hLN4vllm18Fp8KVCacheDataTypeE1EhLi16ELi64ELi256ELb1ELi10EL8MFMAType1EEvPKT_PKT0_S9_ifPKiSB_SB_iPKfiiiPfSE_PS4_PT2_iSD_SD_
; %bb.0:
	s_load_b64 s[2:3], s[0:1], 0x30
	s_mov_b32 s30, s13
	s_waitcnt lgkmcnt(0)
	s_cmp_lg_u64 s[2:3], 0
	s_cselect_b32 s8, -1, 0
	s_ashr_i32 s31, s13, 31
	s_cmp_eq_u64 s[2:3], 0
	s_cbranch_scc1 .LBB1355_3
; %bb.1:
	s_lshl_b64 s[4:5], s[30:31], 2
	s_delay_alu instid0(SALU_CYCLE_1) | instskip(SKIP_4) | instid1(SALU_CYCLE_1)
	s_add_u32 s4, s2, s4
	s_addc_u32 s5, s3, s5
	s_load_b64 s[4:5], s[4:5], 0x0
	s_waitcnt lgkmcnt(0)
	s_sub_i32 s4, s5, s4
	s_cmp_eq_u32 s4, 1
	s_cselect_b32 s4, -1, 0
	s_delay_alu instid0(SALU_CYCLE_1)
	s_and_not1_b32 vcc_lo, exec_lo, s4
	s_cbranch_vccz .LBB1355_4
.LBB1355_2:
	s_endpgm
.LBB1355_3:
.LBB1355_4:
	s_load_b64 s[4:5], s[0:1], 0x28
	s_lshl_b64 s[6:7], s[30:31], 2
	s_waitcnt lgkmcnt(0)
	s_add_u32 s4, s4, s6
	s_addc_u32 s5, s5, s7
	s_lshl_b32 s12, s14, 8
	s_load_b32 s24, s[4:5], 0x0
	s_waitcnt lgkmcnt(0)
	s_cmp_ge_i32 s12, s24
	s_cbranch_scc1 .LBB1355_2
; %bb.5:
	s_clause 0x1
	s_load_b128 s[20:23], s[0:1], 0x8
	s_load_b64 s[4:5], s[0:1], 0x20
	s_and_not1_b32 vcc_lo, exec_lo, s8
	s_cbranch_vccnz .LBB1355_7
; %bb.6:
	s_add_u32 s2, s2, s6
	s_addc_u32 s3, s3, s7
	s_load_b32 s3, s[2:3], 0x0
	s_branch .LBB1355_8
.LBB1355_7:
	s_mov_b32 s3, s30
.LBB1355_8:
	s_load_b128 s[16:19], s[0:1], 0x48
	v_and_b32_e32 v65, 15, v0
	v_cmp_gt_u32_e32 vcc_lo, 0xa0, v0
	v_lshrrev_b32_e32 v66, 5, v0
	v_and_b32_e32 v67, 31, v0
	v_and_b32_e32 v75, 1, v0
	v_lshlrev_b32_e32 v1, 3, v65
	v_cmp_gt_u32_e64 s2, 8, v65
	v_bfe_u32 v74, v0, 4, 1
	s_mul_i32 s31, s15, 10
	s_delay_alu instid0(VALU_DEP_3) | instskip(NEXT) | instid1(VALU_DEP_3)
	v_lshlrev_b32_e32 v73, 1, v1
	s_and_b32 s7, vcc_lo, s2
	s_delay_alu instid0(SALU_CYCLE_1)
	s_and_saveexec_b32 s6, s7
	s_cbranch_execz .LBB1355_10
; %bb.9:
	s_load_b64 s[8:9], s[0:1], 0x0
	v_lshl_or_b32 v5, v66, 1, v74
	s_waitcnt lgkmcnt(0)
	s_mul_hi_i32 s11, s3, s16
	s_mul_i32 s10, s3, s16
	v_lshlrev_b32_e32 v6, 10, v65
	s_lshl_b64 s[10:11], s[10:11], 1
	v_add_lshl_u32 v1, v5, s31, 6
	v_lshlrev_b32_e32 v5, 6, v5
	v_lshlrev_b32_e32 v7, 10, v75
	v_and_b32_e32 v6, 0x3800, v6
	s_delay_alu instid0(VALU_DEP_4) | instskip(NEXT) | instid1(VALU_DEP_2)
	v_ashrrev_i32_e32 v2, 31, v1
	v_or3_b32 v5, v6, v7, v5
	s_delay_alu instid0(VALU_DEP_2) | instskip(SKIP_2) | instid1(VALU_DEP_1)
	v_lshlrev_b64 v[1:2], 1, v[1:2]
	s_add_u32 s3, s8, s10
	s_addc_u32 s7, s9, s11
	v_add_co_u32 v1, vcc_lo, s3, v1
	s_delay_alu instid0(VALU_DEP_2) | instskip(NEXT) | instid1(VALU_DEP_2)
	v_add_co_ci_u32_e32 v2, vcc_lo, s7, v2, vcc_lo
	v_add_co_u32 v1, vcc_lo, v1, v73
	s_delay_alu instid0(VALU_DEP_2)
	v_add_co_ci_u32_e32 v2, vcc_lo, 0, v2, vcc_lo
	global_load_b128 v[1:4], v[1:2], off
	s_waitcnt vmcnt(0)
	ds_store_b128 v5, v[1:4]
.LBB1355_10:
	s_or_b32 exec_lo, exec_lo, s6
	v_and_b32_e32 v1, 0xef, v0
	s_waitcnt lgkmcnt(0)
	s_add_i32 s3, s24, 15
	s_clause 0x1
	s_load_b32 s6, s[0:1], 0x38
	s_load_b32 s19, s[0:1], 0x1c
	s_ashr_i32 s7, s3, 31
	v_add_nc_u32_e32 v1, s12, v1
	s_lshr_b32 s7, s7, 28
	s_waitcnt lgkmcnt(0)
	s_add_i32 s3, s3, s7
	s_barrier
	v_ashrrev_i32_e32 v2, 31, v1
	v_or_b32_e32 v3, 16, v1
	s_ashr_i32 s3, s3, 4
	v_cmp_gt_i32_e32 vcc_lo, s24, v1
	s_add_i32 s3, s3, -1
	v_lshrrev_b32_e32 v2, 28, v2
	buffer_gl0_inv
	s_mul_i32 s27, s15, s18
	v_add_nc_u32_e32 v4, v1, v2
	s_mul_i32 s6, s30, s6
	s_delay_alu instid0(SALU_CYCLE_1) | instskip(NEXT) | instid1(VALU_DEP_1)
	s_ashr_i32 s7, s6, 31
	v_ashrrev_i32_e32 v4, 4, v4
	v_add_nc_u32_e32 v2, v3, v2
	s_lshl_b64 s[6:7], s[6:7], 2
	s_delay_alu instid0(SALU_CYCLE_1) | instskip(NEXT) | instid1(VALU_DEP_2)
	s_add_u32 s26, s4, s6
	v_cndmask_b32_e32 v1, s3, v4, vcc_lo
	s_delay_alu instid0(VALU_DEP_2)
	v_ashrrev_i32_e32 v2, 4, v2
	v_cmp_gt_i32_e32 vcc_lo, s24, v3
	s_addc_u32 s25, s5, s7
	s_ashr_i32 s28, s27, 31
	s_add_u32 s13, s20, s27
	s_addc_u32 s15, s21, s28
	v_cndmask_b32_e32 v3, s3, v2, vcc_lo
	v_ashrrev_i32_e32 v2, 31, v1
	s_lshl_b32 s4, s14, 4
	s_delay_alu instid0(SALU_CYCLE_1) | instskip(NEXT) | instid1(VALU_DEP_2)
	s_ashr_i32 s5, s4, 31
	v_ashrrev_i32_e32 v4, 31, v3
	s_delay_alu instid0(VALU_DEP_2) | instskip(SKIP_1) | instid1(SALU_CYCLE_1)
	v_lshlrev_b64 v[1:2], 2, v[1:2]
	s_lshl_b64 s[4:5], s[4:5], 2
	s_add_u32 s4, s26, s4
	s_delay_alu instid0(VALU_DEP_2) | instskip(SKIP_1) | instid1(VALU_DEP_2)
	v_lshlrev_b64 v[3:4], 2, v[3:4]
	s_addc_u32 s5, s25, s5
	v_add_co_u32 v1, vcc_lo, s26, v1
	v_add_co_ci_u32_e32 v2, vcc_lo, s25, v2, vcc_lo
	s_delay_alu instid0(VALU_DEP_3) | instskip(NEXT) | instid1(VALU_DEP_4)
	v_add_co_u32 v3, vcc_lo, s26, v3
	v_add_co_ci_u32_e32 v4, vcc_lo, s25, v4, vcc_lo
	s_clause 0x1
	global_load_b32 v5, v[1:2], off
	global_load_b32 v7, v[3:4], off
	s_or_b32 s6, s12, 32
	v_lshlrev_b32_e32 v1, 4, v0
	s_ashr_i32 s7, s6, 4
	s_cmp_lt_i32 s6, s24
	v_cmp_gt_u32_e32 vcc_lo, 10, v65
	s_cselect_b32 s6, s7, s3
	v_and_b32_e32 v1, 0xf0, v1
	s_ashr_i32 s7, s6, 31
	s_delay_alu instid0(SALU_CYCLE_1) | instskip(NEXT) | instid1(SALU_CYCLE_1)
	s_lshl_b64 s[6:7], s[6:7], 2
	s_add_u32 s6, s26, s6
	s_addc_u32 s7, s25, s7
	s_or_b32 s8, s12, 64
	v_add_co_u32 v1, s13, s13, v1
	s_ashr_i32 s9, s8, 4
	s_cmp_lt_i32 s8, s24
	v_add_co_ci_u32_e64 v2, null, s15, 0, s13
	s_cselect_b32 s8, s9, s3
	s_delay_alu instid0(SALU_CYCLE_1) | instskip(NEXT) | instid1(SALU_CYCLE_1)
	s_ashr_i32 s9, s8, 31
	s_lshl_b64 s[8:9], s[8:9], 2
	s_delay_alu instid0(SALU_CYCLE_1) | instskip(SKIP_2) | instid1(SALU_CYCLE_1)
	s_add_u32 s8, s26, s8
	s_addc_u32 s9, s25, s9
	s_or_b32 s10, s12, 0x60
	s_ashr_i32 s11, s10, 4
	s_cmp_lt_i32 s10, s24
	s_cselect_b32 s10, s11, s3
	s_delay_alu instid0(SALU_CYCLE_1) | instskip(NEXT) | instid1(SALU_CYCLE_1)
	s_ashr_i32 s11, s10, 31
	s_lshl_b64 s[10:11], s[10:11], 2
	s_delay_alu instid0(SALU_CYCLE_1) | instskip(SKIP_2) | instid1(SALU_CYCLE_1)
	s_add_u32 s10, s26, s10
	s_addc_u32 s11, s25, s11
	s_or_b32 s16, s12, 0x80
	s_ashr_i32 s18, s16, 4
	s_cmp_lt_i32 s16, s24
	;; [unrolled: 10-line block ×3, first 2 shown]
	s_cselect_b32 s20, s18, s3
	s_delay_alu instid0(SALU_CYCLE_1) | instskip(NEXT) | instid1(SALU_CYCLE_1)
	s_ashr_i32 s21, s20, 31
	s_lshl_b64 s[20:21], s[20:21], 2
	s_delay_alu instid0(SALU_CYCLE_1)
	s_add_u32 s36, s26, s20
	s_addc_u32 s37, s25, s21
	s_clause 0x5
	s_load_b32 s21, s[4:5], 0x0
	s_load_b32 s13, s[6:7], 0x0
	;; [unrolled: 1-line block ×6, first 2 shown]
	s_or_b32 s8, s12, 0xc0
	s_mov_b32 s4, 0
	s_ashr_i32 s9, s8, 4
	s_cmp_lt_i32 s8, s24
	s_mov_b32 s11, s4
	s_cselect_b32 s34, s9, s3
	s_mov_b32 s5, s4
	s_ashr_i32 s35, s34, 31
	s_mov_b32 s6, s4
	s_lshl_b64 s[34:35], s[34:35], 2
	s_mov_b32 s7, s4
	s_add_u32 s34, s26, s34
	s_addc_u32 s35, s25, s35
	s_or_b32 s29, s12, 0xe0
	s_mov_b32 s8, s4
	s_ashr_i32 s33, s29, 4
	s_mov_b32 s9, s4
	s_mov_b32 s10, s4
	s_cmp_lt_i32 s29, s24
	v_dual_mov_b32 v107, s11 :: v_dual_mov_b32 v100, s4
	v_mov_b32_e32 v106, s10
	v_dual_mov_b32 v104, s8 :: v_dual_mov_b32 v103, s7
	v_dual_mov_b32 v102, s6 :: v_dual_mov_b32 v101, s5
	s_waitcnt vmcnt(1)
	v_mad_i64_i32 v[3:4], null, v5, s17, v[1:2]
	s_waitcnt vmcnt(0)
	v_mad_i64_i32 v[5:6], null, v7, s17, v[1:2]
	v_add_nc_u32_e32 v1, -10, v65
	v_lshlrev_b32_e32 v2, 4, v65
	s_clause 0x7
	global_load_b128 v[49:52], v[3:4], off
	global_load_b128 v[53:56], v[3:4], off offset:256
	global_load_b128 v[76:79], v[5:6], off
	global_load_b128 v[80:83], v[5:6], off offset:256
	global_load_b128 v[84:87], v[3:4], off offset:512
	;; [unrolled: 1-line block ×5, first 2 shown]
	v_cndmask_b32_e32 v1, v1, v65, vcc_lo
	v_mov_b32_e32 v105, s9
	s_cselect_b32 s4, s33, s3
	v_lshl_or_b32 v2, v66, 8, v2
	s_ashr_i32 s5, s4, 31
	v_lshlrev_b32_e32 v70, 6, v1
	s_lshl_b64 s[4:5], s[4:5], 2
	s_load_b32 s3, s[34:35], 0x0
	s_add_u32 s4, s26, s4
	s_addc_u32 s5, s25, s5
	ds_load_b128 v[108:111], v70
	ds_load_b128 v[112:115], v70 offset:1024
	s_load_b32 s4, s[4:5], 0x0
	s_add_u32 s6, s22, s27
	s_addc_u32 s7, s23, s28
	v_add_co_u32 v9, s6, s6, v2
	s_delay_alu instid0(VALU_DEP_1) | instskip(SKIP_1) | instid1(VALU_DEP_1)
	v_add_co_ci_u32_e64 v10, null, s7, 0, s6
	s_waitcnt lgkmcnt(0)
	v_mad_i64_i32 v[1:2], null, s21, s17, v[9:10]
	v_mad_i64_i32 v[3:4], null, s13, s17, v[9:10]
	;; [unrolled: 1-line block ×7, first 2 shown]
	s_clause 0x9
	global_load_b128 v[57:60], v[1:2], off
	global_load_b128 v[61:64], v[1:2], off offset:16
	global_load_b128 v[41:44], v[3:4], off
	global_load_b128 v[45:48], v[3:4], off offset:16
	;; [unrolled: 2-line block ×5, first 2 shown]
	v_mad_i64_i32 v[68:69], null, s4, s17, v[9:10]
	s_clause 0x3
	global_load_b128 v[9:12], v[13:14], off
	global_load_b128 v[13:16], v[13:14], off offset:16
	global_load_b128 v[17:20], v[21:22], off
	global_load_b128 v[21:24], v[21:22], off offset:16
	s_waitcnt vmcnt(20)
	v_wmma_f32_16x16x16_bf16 v[116:123], v[49:56], v[108:115], v[100:107]
	s_clause 0x1
	global_load_b128 v[49:52], v[68:69], off
	global_load_b128 v[53:56], v[68:69], off offset:16
	v_and_b32_e32 v68, 0xe0, v0
	v_mbcnt_lo_u32_b32 v69, -1, 0
	s_delay_alu instid0(VALU_DEP_2)
	v_add_nc_u32_e32 v68, s12, v68
	s_waitcnt vmcnt(20)
	v_wmma_f32_16x16x16_bf16 v[100:107], v[76:83], v[108:115], v[100:107]
	ds_load_b128 v[76:79], v70 offset:2048
	ds_load_b128 v[80:83], v70 offset:3072
	v_xor_b32_e32 v70, 16, v69
	s_waitcnt vmcnt(0) lgkmcnt(0)
	v_or_b32_e32 v68, v68, v74
	s_barrier
	buffer_gl0_inv
	v_cmp_gt_i32_e32 vcc_lo, 32, v70
	v_or_b32_e32 v71, 4, v68
	v_or_b32_e32 v72, 6, v68
	v_cmp_gt_i32_e64 s3, s24, v68
	v_or_b32_e32 v108, 8, v68
	v_or_b32_e32 v109, 10, v68
	v_cmp_gt_i32_e64 s4, s24, v71
	v_cmp_gt_i32_e64 s5, s24, v72
	s_delay_alu instid0(VALU_DEP_4) | instskip(NEXT) | instid1(VALU_DEP_4)
	v_cmp_gt_i32_e64 s6, s24, v108
	v_cmp_gt_i32_e64 s7, s24, v109
	v_wmma_f32_16x16x16_bf16 v[116:123], v[84:91], v[76:83], v[116:123]
	v_cndmask_b32_e32 v69, v69, v70, vcc_lo
	v_or_b32_e32 v70, 2, v68
	v_wmma_f32_16x16x16_bf16 v[100:107], v[92:99], v[76:83], v[100:107]
	v_or_b32_e32 v89, 22, v68
	v_dual_mul_f32 v82, s19, v119 :: v_dual_mul_f32 v79, s19, v122
	v_dual_mul_f32 v92, s19, v117 :: v_dual_mul_f32 v93, s19, v116
	s_delay_alu instid0(VALU_DEP_4) | instskip(SKIP_2) | instid1(VALU_DEP_4)
	v_mul_f32_e32 v98, s19, v103
	v_cmp_gt_i32_e32 vcc_lo, s24, v70
	v_dual_mul_f32 v83, s19, v118 :: v_dual_mul_f32 v96, s19, v105
	v_cndmask_b32_e64 v93, 0xff7fffff, v93, s3
	v_or_b32_e32 v84, 12, v68
	v_cndmask_b32_e32 v92, 0xff7fffff, v92, vcc_lo
	v_or_b32_e32 v85, 14, v68
	v_dual_mul_f32 v80, s19, v121 :: v_dual_mul_f32 v81, s19, v120
	v_mul_f32_e32 v94, s19, v107
	v_cndmask_b32_e64 v71, 0xff7fffff, v83, s4
	v_cndmask_b32_e64 v72, 0xff7fffff, v82, s5
	v_cmp_gt_i32_e64 s13, s24, v89
	v_lshlrev_b32_e32 v89, 2, v69
	v_max3_f32 v82, v93, 0xff7fffff, v92
	v_or_b32_e32 v86, 16, v68
	v_or_b32_e32 v87, 18, v68
	v_mul_f32_e32 v78, s19, v123
	v_cndmask_b32_e64 v81, 0xff7fffff, v81, s6
	v_cndmask_b32_e64 v80, 0xff7fffff, v80, s7
	v_max3_f32 v71, v82, v71, v72
	v_cmp_gt_i32_e64 s8, s24, v84
	v_cmp_gt_i32_e64 s9, s24, v85
	v_or_b32_e32 v88, 20, v68
	v_or_b32_e32 v90, 24, v68
	;; [unrolled: 1-line block ×5, first 2 shown]
	v_dual_mul_f32 v95, s19, v106 :: v_dual_mul_f32 v70, s19, v101
	v_dual_mul_f32 v99, s19, v102 :: v_dual_mul_f32 v68, s19, v100
	v_cndmask_b32_e64 v72, 0xff7fffff, v79, s8
	v_cndmask_b32_e64 v78, 0xff7fffff, v78, s9
	v_max3_f32 v71, v71, v81, v80
	v_cmp_gt_i32_e64 s10, s24, v86
	v_cmp_gt_i32_e64 s11, s24, v87
	;; [unrolled: 1-line block ×3, first 2 shown]
	v_mul_f32_e32 v97, s19, v104
	v_max3_f32 v71, v71, v72, v78
	v_cndmask_b32_e64 v68, 0xff7fffff, v68, s10
	v_cndmask_b32_e64 v70, 0xff7fffff, v70, s11
	v_cndmask_b32_e64 v72, 0xff7fffff, v99, s12
	v_cndmask_b32_e64 v78, 0xff7fffff, v98, s13
	v_cmp_gt_i32_e64 s15, s24, v90
	v_cmp_gt_i32_e64 s16, s24, v91
	v_max3_f32 v68, v71, v68, v70
	v_cmp_gt_i32_e64 s17, s24, v76
	v_cmp_gt_i32_e64 s18, s24, v77
	v_cndmask_b32_e64 v70, 0xff7fffff, v97, s15
	v_cndmask_b32_e64 v71, 0xff7fffff, v96, s16
	v_max3_f32 v68, v68, v72, v78
	v_cndmask_b32_e64 v72, 0xff7fffff, v95, s17
	v_cndmask_b32_e64 v76, 0xff7fffff, v94, s18
	s_delay_alu instid0(VALU_DEP_3) | instskip(NEXT) | instid1(VALU_DEP_1)
	v_max3_f32 v68, v68, v70, v71
	v_max3_f32 v68, v68, v72, v76
	ds_bpermute_b32 v69, v89, v68
	s_waitcnt lgkmcnt(0)
	v_max_f32_e32 v69, v69, v69
	s_delay_alu instid0(VALU_DEP_1) | instskip(NEXT) | instid1(VALU_DEP_1)
	v_max_f32_e32 v68, v68, v69
	v_fma_f32 v69, s19, v116, -v68
	v_fma_f32 v70, s19, v117, -v68
	;; [unrolled: 1-line block ×5, first 2 shown]
	s_delay_alu instid0(VALU_DEP_4) | instskip(NEXT) | instid1(VALU_DEP_4)
	v_dual_mul_f32 v69, 0x3fb8aa3b, v69 :: v_dual_mul_f32 v70, 0x3fb8aa3b, v70
	v_mul_f32_e32 v72, 0x3fb8aa3b, v72
	v_fma_f32 v78, s19, v122, -v68
	s_delay_alu instid0(VALU_DEP_4) | instskip(NEXT) | instid1(VALU_DEP_4)
	v_mul_f32_e32 v77, 0x3fb8aa3b, v76
	v_exp_f32_e32 v69, v69
	v_exp_f32_e32 v70, v70
	v_mul_f32_e32 v71, 0x3fb8aa3b, v71
	v_exp_f32_e32 v72, v72
	v_mul_f32_e32 v78, 0x3fb8aa3b, v78
	v_exp_f32_e32 v77, v77
	v_fma_f32 v81, s19, v105, -v68
	s_delay_alu instid0(VALU_DEP_2)
	v_exp_f32_e32 v78, v78
	v_cndmask_b32_e64 v80, 0, v69, s3
	v_cndmask_b32_e32 v76, 0, v70, vcc_lo
	v_exp_f32_e32 v71, v71
	v_fma_f32 v69, s19, v121, -v68
	v_cndmask_b32_e64 v85, 0, v72, s5
	v_add_f32_e32 v70, 0, v80
	s_delay_alu instid0(TRANS32_DEP_3)
	v_cndmask_b32_e64 v86, 0, v77, s6
	v_fma_f32 v77, s19, v101, -v68
	v_mul_f32_e32 v69, 0x3fb8aa3b, v69
	v_fma_f32 v72, s19, v100, -v68
	v_cndmask_b32_e64 v84, 0, v78, s8
	v_fma_f32 v78, s19, v103, -v68
	v_cndmask_b32_e64 v83, 0, v71, s4
	v_fma_f32 v71, s19, v123, -v68
	v_add_f32_e32 v70, v70, v76
	v_exp_f32_e32 v69, v69
	v_mul_f32_e32 v77, 0x3fb8aa3b, v77
	v_mul_f32_e32 v81, 0x3fb8aa3b, v81
	;; [unrolled: 1-line block ×3, first 2 shown]
	v_add_f32_e32 v70, v70, v83
	s_mov_b32 s3, exec_lo
	v_exp_f32_e32 v77, v77
	v_exp_f32_e32 v81, v81
	;; [unrolled: 1-line block ×3, first 2 shown]
	v_cndmask_b32_e64 v87, 0, v69, s7
	v_add_f32_e32 v70, v70, v85
	s_delay_alu instid0(VALU_DEP_1) | instskip(SKIP_1) | instid1(VALU_DEP_2)
	v_dual_mul_f32 v72, 0x3fb8aa3b, v72 :: v_dual_add_f32 v69, v70, v86
	v_fma_f32 v70, s19, v102, -v68
	v_exp_f32_e32 v72, v72
	s_waitcnt_depctr 0xfff
	v_cndmask_b32_e64 v88, 0, v71, s9
	v_fma_f32 v71, s19, v104, -v68
	v_dual_add_f32 v69, v69, v87 :: v_dual_mul_f32 v70, 0x3fb8aa3b, v70
	s_delay_alu instid0(VALU_DEP_2) | instskip(NEXT) | instid1(VALU_DEP_2)
	v_dual_mul_f32 v78, 0x3fb8aa3b, v78 :: v_dual_mul_f32 v71, 0x3fb8aa3b, v71
	v_add_f32_e32 v69, v69, v84
	s_delay_alu instid0(VALU_DEP_3) | instskip(SKIP_1) | instid1(VALU_DEP_3)
	v_exp_f32_e32 v79, v70
	v_cndmask_b32_e64 v70, 0, v72, s10
	v_exp_f32_e32 v78, v78
	v_exp_f32_e32 v82, v71
	v_add_f32_e32 v72, v69, v88
	v_cndmask_b32_e64 v69, 0, v77, s11
	v_fma_f32 v77, s19, v106, -v68
	s_delay_alu instid0(VALU_DEP_3) | instskip(NEXT) | instid1(TRANS32_DEP_3)
	v_add_f32_e32 v72, v72, v70
	v_cndmask_b32_e64 v71, 0, v79, s12
	s_delay_alu instid0(VALU_DEP_3) | instskip(NEXT) | instid1(VALU_DEP_3)
	v_mul_f32_e32 v77, 0x3fb8aa3b, v77
	v_add_f32_e32 v79, v72, v69
	s_delay_alu instid0(TRANS32_DEP_2) | instskip(NEXT) | instid1(VALU_DEP_3)
	v_cndmask_b32_e64 v72, 0, v78, s13
	v_exp_f32_e32 v90, v77
	v_cndmask_b32_e64 v77, 0, v82, s15
	s_delay_alu instid0(VALU_DEP_3) | instskip(SKIP_1) | instid1(VALU_DEP_1)
	v_add_f32_e32 v78, v79, v71
	v_fma_f32 v79, s19, v107, -v68
	v_dual_add_f32 v82, v78, v72 :: v_dual_mul_f32 v79, 0x3fb8aa3b, v79
	v_cndmask_b32_e64 v78, 0, v81, s16
	s_delay_alu instid0(VALU_DEP_2) | instskip(NEXT) | instid1(VALU_DEP_3)
	v_add_f32_e32 v81, v82, v77
	v_exp_f32_e32 v82, v79
	s_delay_alu instid0(TRANS32_DEP_2) | instskip(NEXT) | instid1(VALU_DEP_2)
	v_cndmask_b32_e64 v79, 0, v90, s17
	v_add_f32_e32 v81, v81, v78
	s_delay_alu instid0(VALU_DEP_1) | instskip(SKIP_2) | instid1(VALU_DEP_1)
	v_add_f32_e32 v90, v81, v79
	s_waitcnt_depctr 0xfff
	v_cndmask_b32_e64 v81, 0, v82, s18
	v_add_f32_e32 v82, v90, v81
	ds_bpermute_b32 v89, v89, v82
	v_cmpx_gt_u32_e32 16, v67
	s_cbranch_execz .LBB1355_12
; %bb.11:
	v_mul_u32_u24_e32 v67, 0x44, v66
	s_delay_alu instid0(VALU_DEP_1) | instskip(SKIP_1) | instid1(VALU_DEP_1)
	v_lshl_add_u32 v67, v65, 2, v67
	s_waitcnt lgkmcnt(0)
	v_dual_add_f32 v82, v82, v89 :: v_dual_add_nc_u32 v67, 0x4000, v67
	ds_store_2addr_b32 v67, v68, v82 offset1:136
.LBB1355_12:
	s_or_b32 exec_lo, exec_lo, s3
	v_lshlrev_b32_e32 v67, 2, v65
	s_waitcnt lgkmcnt(0)
	s_barrier
	buffer_gl0_inv
	v_cmp_eq_u32_e32 vcc_lo, 1, v66
	v_add_nc_u32_e32 v82, 0x4000, v67
	v_cmp_eq_u32_e64 s3, 2, v66
	v_cmp_eq_u32_e64 s5, 7, v66
	ds_load_2addr_b32 v[89:90], v82 offset1:17
	ds_load_2addr_b32 v[91:92], v82 offset0:34 offset1:51
	ds_load_2addr_b32 v[93:94], v82 offset0:68 offset1:85
	;; [unrolled: 1-line block ×4, first 2 shown]
	s_waitcnt lgkmcnt(4)
	v_max3_f32 v67, v89, 0xff7fffff, v90
	s_waitcnt lgkmcnt(3)
	s_delay_alu instid0(VALU_DEP_1) | instskip(SKIP_1) | instid1(VALU_DEP_1)
	v_max3_f32 v67, v67, v91, v92
	s_waitcnt lgkmcnt(2)
	v_max3_f32 v67, v67, v93, v94
	s_waitcnt lgkmcnt(1)
	s_delay_alu instid0(VALU_DEP_1) | instskip(NEXT) | instid1(VALU_DEP_1)
	v_max3_f32 v67, v67, v95, v96
	v_sub_f32_e32 v93, v93, v67
	s_delay_alu instid0(VALU_DEP_1) | instskip(NEXT) | instid1(VALU_DEP_1)
	v_dual_sub_f32 v68, v89, v67 :: v_dual_mul_f32 v103, 0x3fb8aa3b, v93
	v_mul_f32_e32 v68, 0x3fb8aa3b, v68
	s_delay_alu instid0(VALU_DEP_1)
	v_exp_f32_e32 v100, v68
	v_sub_f32_e32 v68, v92, v67
	v_sub_f32_e32 v99, v90, v67
	ds_load_2addr_b32 v[89:90], v82 offset0:170 offset1:187
	v_dual_mul_f32 v102, 0x3fb8aa3b, v68 :: v_dual_mul_f32 v99, 0x3fb8aa3b, v99
	s_waitcnt lgkmcnt(1)
	v_fma_f32 v68, v100, v97, 0
	s_delay_alu instid0(VALU_DEP_2) | instskip(NEXT) | instid1(VALU_DEP_2)
	v_exp_f32_e32 v102, v102
	v_exp_f32_e32 v99, v99
	s_waitcnt_depctr 0xfff
	v_fmac_f32_e32 v68, v99, v98
	v_sub_f32_e32 v91, v91, v67
	s_delay_alu instid0(VALU_DEP_1)
	v_mul_f32_e32 v101, 0x3fb8aa3b, v91
	ds_load_2addr_b32 v[91:92], v82 offset0:204 offset1:221
	v_sub_f32_e32 v97, v94, v67
	ds_load_2addr_b32 v[93:94], v82 offset0:238 offset1:255
	s_waitcnt lgkmcnt(0)
	v_exp_f32_e32 v101, v101
	s_barrier
	buffer_gl0_inv
	v_dual_fmac_f32 v68, v101, v89 :: v_dual_sub_f32 v89, v96, v67
	v_dual_sub_f32 v82, v95, v67 :: v_dual_mul_f32 v95, 0x3fb8aa3b, v97
	v_exp_f32_e32 v97, v103
	s_delay_alu instid0(VALU_DEP_2) | instskip(NEXT) | instid1(VALU_DEP_2)
	v_dual_fmac_f32 v68, v102, v90 :: v_dual_mul_f32 v89, 0x3fb8aa3b, v89
	v_mul_f32_e32 v82, 0x3fb8aa3b, v82
	s_delay_alu instid0(VALU_DEP_3) | instskip(NEXT) | instid1(VALU_DEP_2)
	v_exp_f32_e32 v95, v95
	v_exp_f32_e32 v89, v89
	s_delay_alu instid0(VALU_DEP_1)
	v_exp_f32_e32 v82, v82
	v_fmac_f32_e32 v68, v97, v91
	s_delay_alu instid0(TRANS32_DEP_3) | instid1(VALU_DEP_1)
	v_fmac_f32_e32 v68, v95, v92
	s_waitcnt_depctr 0xfff
	v_fmac_f32_e32 v68, v82, v93
	s_delay_alu instid0(VALU_DEP_1) | instskip(NEXT) | instid1(VALU_DEP_1)
	v_fmac_f32_e32 v68, v89, v94
	v_add_f32_e32 v90, 0x358637bd, v68
	s_delay_alu instid0(VALU_DEP_1) | instskip(NEXT) | instid1(VALU_DEP_1)
	v_div_scale_f32 v91, null, v90, v90, 1.0
	v_rcp_f32_e32 v92, v91
	s_waitcnt_depctr 0xfff
	v_fma_f32 v93, -v91, v92, 1.0
	s_delay_alu instid0(VALU_DEP_1) | instskip(SKIP_1) | instid1(VALU_DEP_2)
	v_dual_fmac_f32 v92, v93, v92 :: v_dual_cndmask_b32 v93, v100, v99
	v_cmp_eq_u32_e32 vcc_lo, 3, v66
	v_cndmask_b32_e64 v93, v93, v101, s3
	v_cmp_eq_u32_e64 s3, 4, v66
	s_delay_alu instid0(VALU_DEP_2) | instskip(SKIP_1) | instid1(VALU_DEP_2)
	v_cndmask_b32_e32 v93, v93, v102, vcc_lo
	v_cmp_eq_u32_e32 vcc_lo, 5, v66
	v_cndmask_b32_e64 v93, v93, v97, s3
	v_cmp_eq_u32_e64 s3, 6, v66
	s_delay_alu instid0(VALU_DEP_2) | instskip(SKIP_1) | instid1(VALU_DEP_1)
	v_cndmask_b32_e32 v93, v93, v95, vcc_lo
	v_div_scale_f32 v94, s4, 1.0, v90, 1.0
	s_mov_b32 vcc_lo, s4
	s_delay_alu instid0(VALU_DEP_2) | instskip(NEXT) | instid1(VALU_DEP_2)
	v_cndmask_b32_e64 v82, v93, v82, s3
	v_mul_f32_e32 v96, v94, v92
	s_mov_b32 s3, exec_lo
	s_delay_alu instid0(VALU_DEP_2) | instskip(NEXT) | instid1(VALU_DEP_2)
	v_cndmask_b32_e64 v82, v82, v89, s5
	v_fma_f32 v98, -v91, v96, v94
	s_delay_alu instid0(VALU_DEP_1) | instskip(NEXT) | instid1(VALU_DEP_1)
	v_fmac_f32_e32 v96, v98, v92
	v_fma_f32 v91, -v91, v96, v94
	s_delay_alu instid0(VALU_DEP_1) | instskip(NEXT) | instid1(VALU_DEP_1)
	v_div_fmas_f32 v91, v91, v92, v96
	v_div_fixup_f32 v90, v91, v90, 1.0
	s_delay_alu instid0(VALU_DEP_1) | instskip(NEXT) | instid1(VALU_DEP_1)
	v_mul_f32_e32 v82, v82, v90
	v_mul_f32_e32 v87, v82, v87
	;; [unrolled: 1-line block ×7, first 2 shown]
	v_dual_mul_f32 v86, v82, v83 :: v_dual_and_b32 v91, 0x7f800000, v90
	v_mul_f32_e32 v85, v82, v76
                                        ; implicit-def: $vgpr76
	s_delay_alu instid0(VALU_DEP_2)
	v_cmpx_ne_u32_e32 0x7f800000, v91
	s_xor_b32 s3, exec_lo, s3
; %bb.13:
	v_bfe_u32 v76, v90, 16, 1
	s_delay_alu instid0(VALU_DEP_1)
	v_add3_u32 v76, v90, v76, 0x7fff
                                        ; implicit-def: $vgpr90
; %bb.14:
	s_and_not1_saveexec_b32 s3, s3
; %bb.15:
	v_and_b32_e32 v76, 0xffff, v90
	v_or_b32_e32 v83, 0x10000, v90
	s_delay_alu instid0(VALU_DEP_2) | instskip(NEXT) | instid1(VALU_DEP_2)
	v_cmp_eq_u32_e32 vcc_lo, 0, v76
	v_cndmask_b32_e32 v76, v83, v90, vcc_lo
; %bb.16:
	s_or_b32 exec_lo, exec_lo, s3
	v_and_b32_e32 v83, 0x7f800000, v85
	s_delay_alu instid0(VALU_DEP_1) | instskip(SKIP_1) | instid1(SALU_CYCLE_1)
	v_cmp_ne_u32_e32 vcc_lo, 0x7f800000, v83
                                        ; implicit-def: $vgpr83
	s_and_saveexec_b32 s3, vcc_lo
	s_xor_b32 s3, exec_lo, s3
; %bb.17:
	v_bfe_u32 v83, v85, 16, 1
	s_delay_alu instid0(VALU_DEP_1)
	v_add3_u32 v83, v85, v83, 0x7fff
                                        ; implicit-def: $vgpr85
; %bb.18:
	s_and_not1_saveexec_b32 s3, s3
; %bb.19:
	v_and_b32_e32 v83, 0xffff, v85
	v_or_b32_e32 v90, 0x10000, v85
	s_delay_alu instid0(VALU_DEP_2) | instskip(NEXT) | instid1(VALU_DEP_2)
	v_cmp_eq_u32_e32 vcc_lo, 0, v83
	v_cndmask_b32_e32 v83, v90, v85, vcc_lo
; %bb.20:
	s_or_b32 exec_lo, exec_lo, s3
	v_and_b32_e32 v85, 0x7f800000, v86
	s_delay_alu instid0(VALU_DEP_1) | instskip(SKIP_1) | instid1(SALU_CYCLE_1)
	v_cmp_ne_u32_e32 vcc_lo, 0x7f800000, v85
                                        ; implicit-def: $vgpr85
	s_and_saveexec_b32 s3, vcc_lo
	s_xor_b32 s3, exec_lo, s3
; %bb.21:
	v_bfe_u32 v85, v86, 16, 1
	s_delay_alu instid0(VALU_DEP_1)
	v_add3_u32 v85, v86, v85, 0x7fff
                                        ; implicit-def: $vgpr86
; %bb.22:
	s_and_not1_saveexec_b32 s3, s3
; %bb.23:
	v_and_b32_e32 v85, 0xffff, v86
	v_or_b32_e32 v90, 0x10000, v86
	s_delay_alu instid0(VALU_DEP_2) | instskip(NEXT) | instid1(VALU_DEP_2)
	v_cmp_eq_u32_e32 vcc_lo, 0, v85
	v_cndmask_b32_e32 v85, v90, v86, vcc_lo
; %bb.24:
	s_or_b32 exec_lo, exec_lo, s3
	v_and_b32_e32 v86, 0x7f800000, v89
	s_delay_alu instid0(VALU_DEP_1) | instskip(SKIP_1) | instid1(SALU_CYCLE_1)
	v_cmp_ne_u32_e32 vcc_lo, 0x7f800000, v86
                                        ; implicit-def: $vgpr86
	s_and_saveexec_b32 s3, vcc_lo
	s_xor_b32 s3, exec_lo, s3
; %bb.25:
	v_bfe_u32 v86, v89, 16, 1
	s_delay_alu instid0(VALU_DEP_1)
	v_add3_u32 v86, v89, v86, 0x7fff
                                        ; implicit-def: $vgpr89
; %bb.26:
	s_and_not1_saveexec_b32 s3, s3
; %bb.27:
	v_and_b32_e32 v86, 0xffff, v89
	v_or_b32_e32 v90, 0x10000, v89
	s_delay_alu instid0(VALU_DEP_2) | instskip(NEXT) | instid1(VALU_DEP_2)
	v_cmp_eq_u32_e32 vcc_lo, 0, v86
	v_cndmask_b32_e32 v86, v90, v89, vcc_lo
; %bb.28:
	s_or_b32 exec_lo, exec_lo, s3
	v_and_b32_e32 v89, 0x7f800000, v88
	s_delay_alu instid0(VALU_DEP_1) | instskip(SKIP_1) | instid1(SALU_CYCLE_1)
	v_cmp_ne_u32_e32 vcc_lo, 0x7f800000, v89
                                        ; implicit-def: $vgpr89
	s_and_saveexec_b32 s3, vcc_lo
	s_xor_b32 s3, exec_lo, s3
; %bb.29:
	v_bfe_u32 v89, v88, 16, 1
	s_delay_alu instid0(VALU_DEP_1)
	v_add3_u32 v89, v88, v89, 0x7fff
                                        ; implicit-def: $vgpr88
; %bb.30:
	s_and_not1_saveexec_b32 s3, s3
; %bb.31:
	v_and_b32_e32 v89, 0xffff, v88
	v_or_b32_e32 v90, 0x10000, v88
	s_delay_alu instid0(VALU_DEP_2) | instskip(NEXT) | instid1(VALU_DEP_2)
	v_cmp_eq_u32_e32 vcc_lo, 0, v89
	v_cndmask_b32_e32 v89, v90, v88, vcc_lo
; %bb.32:
	s_or_b32 exec_lo, exec_lo, s3
	v_and_b32_e32 v88, 0x7f800000, v87
	s_delay_alu instid0(VALU_DEP_1) | instskip(SKIP_1) | instid1(SALU_CYCLE_1)
	v_cmp_ne_u32_e32 vcc_lo, 0x7f800000, v88
                                        ; implicit-def: $vgpr88
	s_and_saveexec_b32 s3, vcc_lo
	s_xor_b32 s3, exec_lo, s3
; %bb.33:
	v_bfe_u32 v88, v87, 16, 1
	s_delay_alu instid0(VALU_DEP_1)
	v_add3_u32 v88, v87, v88, 0x7fff
                                        ; implicit-def: $vgpr87
; %bb.34:
	s_and_not1_saveexec_b32 s3, s3
; %bb.35:
	v_and_b32_e32 v88, 0xffff, v87
	v_or_b32_e32 v90, 0x10000, v87
	s_delay_alu instid0(VALU_DEP_2) | instskip(NEXT) | instid1(VALU_DEP_2)
	v_cmp_eq_u32_e32 vcc_lo, 0, v88
	v_cndmask_b32_e32 v88, v90, v87, vcc_lo
; %bb.36:
	s_or_b32 exec_lo, exec_lo, s3
	v_and_b32_e32 v87, 0x7f800000, v84
	s_delay_alu instid0(VALU_DEP_1) | instskip(SKIP_1) | instid1(SALU_CYCLE_1)
	v_cmp_ne_u32_e32 vcc_lo, 0x7f800000, v87
                                        ; implicit-def: $vgpr87
	s_and_saveexec_b32 s3, vcc_lo
	s_xor_b32 s3, exec_lo, s3
; %bb.37:
	v_bfe_u32 v87, v84, 16, 1
	s_delay_alu instid0(VALU_DEP_1)
	v_add3_u32 v87, v84, v87, 0x7fff
                                        ; implicit-def: $vgpr84
; %bb.38:
	s_and_not1_saveexec_b32 s3, s3
; %bb.39:
	v_and_b32_e32 v87, 0xffff, v84
	v_or_b32_e32 v90, 0x10000, v84
	s_delay_alu instid0(VALU_DEP_2) | instskip(NEXT) | instid1(VALU_DEP_2)
	v_cmp_eq_u32_e32 vcc_lo, 0, v87
	v_cndmask_b32_e32 v87, v90, v84, vcc_lo
; %bb.40:
	s_or_b32 exec_lo, exec_lo, s3
	v_and_b32_e32 v84, 0x7f800000, v80
	s_delay_alu instid0(VALU_DEP_1) | instskip(SKIP_1) | instid1(SALU_CYCLE_1)
	v_cmp_ne_u32_e32 vcc_lo, 0x7f800000, v84
                                        ; implicit-def: $vgpr84
	s_and_saveexec_b32 s3, vcc_lo
	s_xor_b32 s3, exec_lo, s3
; %bb.41:
	v_bfe_u32 v84, v80, 16, 1
	s_delay_alu instid0(VALU_DEP_1)
	v_add3_u32 v84, v80, v84, 0x7fff
                                        ; implicit-def: $vgpr80
; %bb.42:
	s_and_not1_saveexec_b32 s3, s3
; %bb.43:
	v_and_b32_e32 v84, 0xffff, v80
	v_or_b32_e32 v90, 0x10000, v80
	s_delay_alu instid0(VALU_DEP_2) | instskip(NEXT) | instid1(VALU_DEP_2)
	v_cmp_eq_u32_e32 vcc_lo, 0, v84
	v_cndmask_b32_e32 v84, v90, v80, vcc_lo
; %bb.44:
	s_or_b32 exec_lo, exec_lo, s3
	s_load_b64 s[34:35], s[0:1], 0x94
	v_lshlrev_b32_e32 v91, 4, v74
	s_delay_alu instid0(VALU_DEP_2)
	v_perm_b32 v90, v84, v87, 0x7060302
	v_dual_mul_f32 v79, v82, v79 :: v_dual_lshlrev_b32 v80, 6, v65
	v_dual_mul_f32 v77, v82, v77 :: v_dual_lshlrev_b32 v92, 11, v66
	v_mul_f32_e32 v84, v82, v70
	v_perm_b32 v89, v88, v89, 0x7060302
	v_perm_b32 v88, v86, v85, 0x7060302
	;; [unrolled: 1-line block ×3, first 2 shown]
	v_mul_f32_e32 v70, v82, v81
	v_or3_b32 v76, v91, v92, v80
	v_dual_mul_f32 v78, v82, v78 :: v_dual_and_b32 v85, 0x7f800000, v84
	v_mul_f32_e32 v83, v82, v72
	v_mul_f32_e32 v81, v82, v71
	;; [unrolled: 1-line block ×3, first 2 shown]
	s_mov_b32 s3, exec_lo
	ds_store_b128 v76, v[87:90]
                                        ; implicit-def: $vgpr69
	v_cmpx_ne_u32_e32 0x7f800000, v85
	s_xor_b32 s3, exec_lo, s3
; %bb.45:
	v_bfe_u32 v69, v84, 16, 1
	s_delay_alu instid0(VALU_DEP_1)
	v_add3_u32 v69, v84, v69, 0x7fff
                                        ; implicit-def: $vgpr84
; %bb.46:
	s_and_not1_saveexec_b32 s3, s3
; %bb.47:
	v_and_b32_e32 v69, 0xffff, v84
	v_or_b32_e32 v71, 0x10000, v84
	s_delay_alu instid0(VALU_DEP_2) | instskip(NEXT) | instid1(VALU_DEP_2)
	v_cmp_eq_u32_e32 vcc_lo, 0, v69
	v_cndmask_b32_e32 v69, v71, v84, vcc_lo
; %bb.48:
	s_or_b32 exec_lo, exec_lo, s3
	v_and_b32_e32 v71, 0x7f800000, v72
	s_delay_alu instid0(VALU_DEP_1) | instskip(SKIP_1) | instid1(SALU_CYCLE_1)
	v_cmp_ne_u32_e32 vcc_lo, 0x7f800000, v71
                                        ; implicit-def: $vgpr71
	s_and_saveexec_b32 s3, vcc_lo
	s_xor_b32 s3, exec_lo, s3
; %bb.49:
	v_bfe_u32 v71, v72, 16, 1
	s_delay_alu instid0(VALU_DEP_1)
	v_add3_u32 v71, v72, v71, 0x7fff
                                        ; implicit-def: $vgpr72
; %bb.50:
	s_and_not1_saveexec_b32 s3, s3
; %bb.51:
	v_and_b32_e32 v71, 0xffff, v72
	v_or_b32_e32 v82, 0x10000, v72
	s_delay_alu instid0(VALU_DEP_2) | instskip(NEXT) | instid1(VALU_DEP_2)
	v_cmp_eq_u32_e32 vcc_lo, 0, v71
	v_cndmask_b32_e32 v71, v82, v72, vcc_lo
; %bb.52:
	s_or_b32 exec_lo, exec_lo, s3
	v_and_b32_e32 v72, 0x7f800000, v81
	s_delay_alu instid0(VALU_DEP_1) | instskip(SKIP_1) | instid1(SALU_CYCLE_1)
	v_cmp_ne_u32_e32 vcc_lo, 0x7f800000, v72
                                        ; implicit-def: $vgpr72
	s_and_saveexec_b32 s3, vcc_lo
	s_xor_b32 s3, exec_lo, s3
; %bb.53:
	v_bfe_u32 v72, v81, 16, 1
	s_delay_alu instid0(VALU_DEP_1)
	v_add3_u32 v72, v81, v72, 0x7fff
                                        ; implicit-def: $vgpr81
; %bb.54:
	s_and_not1_saveexec_b32 s3, s3
; %bb.55:
	v_and_b32_e32 v72, 0xffff, v81
	v_or_b32_e32 v82, 0x10000, v81
	s_delay_alu instid0(VALU_DEP_2) | instskip(NEXT) | instid1(VALU_DEP_2)
	v_cmp_eq_u32_e32 vcc_lo, 0, v72
	v_cndmask_b32_e32 v72, v82, v81, vcc_lo
; %bb.56:
	s_or_b32 exec_lo, exec_lo, s3
	v_and_b32_e32 v81, 0x7f800000, v83
	s_delay_alu instid0(VALU_DEP_1) | instskip(SKIP_1) | instid1(SALU_CYCLE_1)
	v_cmp_ne_u32_e32 vcc_lo, 0x7f800000, v81
                                        ; implicit-def: $vgpr81
	s_and_saveexec_b32 s3, vcc_lo
	s_xor_b32 s3, exec_lo, s3
; %bb.57:
	v_bfe_u32 v81, v83, 16, 1
	s_delay_alu instid0(VALU_DEP_1)
	v_add3_u32 v81, v83, v81, 0x7fff
                                        ; implicit-def: $vgpr83
; %bb.58:
	s_and_not1_saveexec_b32 s3, s3
; %bb.59:
	v_and_b32_e32 v81, 0xffff, v83
	v_or_b32_e32 v82, 0x10000, v83
	s_delay_alu instid0(VALU_DEP_2) | instskip(NEXT) | instid1(VALU_DEP_2)
	v_cmp_eq_u32_e32 vcc_lo, 0, v81
	v_cndmask_b32_e32 v81, v82, v83, vcc_lo
; %bb.60:
	s_or_b32 exec_lo, exec_lo, s3
	v_and_b32_e32 v82, 0x7f800000, v77
	s_delay_alu instid0(VALU_DEP_1) | instskip(SKIP_1) | instid1(SALU_CYCLE_1)
	v_cmp_ne_u32_e32 vcc_lo, 0x7f800000, v82
                                        ; implicit-def: $vgpr82
	s_and_saveexec_b32 s3, vcc_lo
	s_xor_b32 s3, exec_lo, s3
; %bb.61:
	v_bfe_u32 v82, v77, 16, 1
	s_delay_alu instid0(VALU_DEP_1)
	v_add3_u32 v82, v77, v82, 0x7fff
                                        ; implicit-def: $vgpr77
; %bb.62:
	s_and_not1_saveexec_b32 s3, s3
; %bb.63:
	v_and_b32_e32 v82, 0xffff, v77
	v_or_b32_e32 v83, 0x10000, v77
	s_delay_alu instid0(VALU_DEP_2) | instskip(NEXT) | instid1(VALU_DEP_2)
	v_cmp_eq_u32_e32 vcc_lo, 0, v82
	v_cndmask_b32_e32 v82, v83, v77, vcc_lo
; %bb.64:
	s_or_b32 exec_lo, exec_lo, s3
	v_and_b32_e32 v77, 0x7f800000, v78
	s_delay_alu instid0(VALU_DEP_1) | instskip(SKIP_1) | instid1(SALU_CYCLE_1)
	v_cmp_ne_u32_e32 vcc_lo, 0x7f800000, v77
                                        ; implicit-def: $vgpr77
	s_and_saveexec_b32 s3, vcc_lo
	s_xor_b32 s3, exec_lo, s3
; %bb.65:
	v_bfe_u32 v77, v78, 16, 1
	s_delay_alu instid0(VALU_DEP_1)
	v_add3_u32 v77, v78, v77, 0x7fff
                                        ; implicit-def: $vgpr78
; %bb.66:
	s_and_not1_saveexec_b32 s3, s3
; %bb.67:
	v_and_b32_e32 v77, 0xffff, v78
	v_or_b32_e32 v83, 0x10000, v78
	s_delay_alu instid0(VALU_DEP_2) | instskip(NEXT) | instid1(VALU_DEP_2)
	v_cmp_eq_u32_e32 vcc_lo, 0, v77
	v_cndmask_b32_e32 v77, v83, v78, vcc_lo
; %bb.68:
	s_or_b32 exec_lo, exec_lo, s3
	v_and_b32_e32 v78, 0x7f800000, v79
	s_delay_alu instid0(VALU_DEP_1) | instskip(SKIP_1) | instid1(SALU_CYCLE_1)
	v_cmp_ne_u32_e32 vcc_lo, 0x7f800000, v78
                                        ; implicit-def: $vgpr78
	s_and_saveexec_b32 s3, vcc_lo
	s_xor_b32 s3, exec_lo, s3
; %bb.69:
	v_bfe_u32 v78, v79, 16, 1
	s_delay_alu instid0(VALU_DEP_1)
	v_add3_u32 v78, v79, v78, 0x7fff
                                        ; implicit-def: $vgpr79
; %bb.70:
	s_and_not1_saveexec_b32 s3, s3
; %bb.71:
	v_and_b32_e32 v78, 0xffff, v79
	v_or_b32_e32 v83, 0x10000, v79
	s_delay_alu instid0(VALU_DEP_2) | instskip(NEXT) | instid1(VALU_DEP_2)
	v_cmp_eq_u32_e32 vcc_lo, 0, v78
	v_cndmask_b32_e32 v78, v83, v79, vcc_lo
; %bb.72:
	s_or_b32 exec_lo, exec_lo, s3
	v_and_b32_e32 v79, 0x7f800000, v70
	s_delay_alu instid0(VALU_DEP_1) | instskip(SKIP_1) | instid1(SALU_CYCLE_1)
	v_cmp_ne_u32_e32 vcc_lo, 0x7f800000, v79
                                        ; implicit-def: $vgpr79
	s_and_saveexec_b32 s3, vcc_lo
	s_xor_b32 s3, exec_lo, s3
; %bb.73:
	v_bfe_u32 v79, v70, 16, 1
	s_delay_alu instid0(VALU_DEP_1)
	v_add3_u32 v79, v70, v79, 0x7fff
                                        ; implicit-def: $vgpr70
; %bb.74:
	s_and_not1_saveexec_b32 s3, s3
; %bb.75:
	v_and_b32_e32 v79, 0xffff, v70
	v_or_b32_e32 v83, 0x10000, v70
	s_delay_alu instid0(VALU_DEP_2) | instskip(NEXT) | instid1(VALU_DEP_2)
	v_cmp_eq_u32_e32 vcc_lo, 0, v79
	v_cndmask_b32_e32 v79, v83, v70, vcc_lo
; %bb.76:
	s_or_b32 exec_lo, exec_lo, s3
	s_delay_alu instid0(VALU_DEP_1)
	v_perm_b32 v86, v79, v78, 0x7060302
	v_perm_b32 v85, v77, v82, 0x7060302
	;; [unrolled: 1-line block ×4, first 2 shown]
	v_lshl_or_b32 v82, v66, 11, v80
	ds_store_b128 v76, v[83:86] offset:1024
	s_waitcnt lgkmcnt(0)
	s_barrier
	buffer_gl0_inv
	ds_load_b128 v[69:72], v82
	ds_load_b128 v[83:86], v82 offset:16
	s_waitcnt lgkmcnt(1)
	v_lshrrev_b32_e32 v66, 16, v69
	s_waitcnt lgkmcnt(0)
	v_lshrrev_b32_e32 v91, 16, v83
	v_lshlrev_b32_e32 v78, 2, v74
	v_lshrrev_b32_e32 v95, 16, v70
	v_lshrrev_b32_e32 v98, 16, v84
	;; [unrolled: 1-line block ×4, first 2 shown]
	v_cmp_eq_u32_e32 vcc_lo, 1, v78
	v_lshrrev_b32_e32 v97, 16, v72
	v_lshrrev_b32_e32 v100, 16, v86
	v_cndmask_b32_e32 v87, v83, v91, vcc_lo
	v_or_b32_e32 v79, 1, v78
	v_cndmask_b32_e32 v81, v69, v66, vcc_lo
	v_cmp_eq_u32_e64 s4, 2, v78
	v_cmp_eq_u32_e64 s7, 3, v78
	;; [unrolled: 1-line block ×5, first 2 shown]
	v_cndmask_b32_e64 v81, v81, v70, s4
	v_cndmask_b32_e64 v87, v87, v84, s4
	v_cmp_eq_u32_e64 s8, 3, v79
	v_cndmask_b32_e64 v88, v69, v66, s3
	v_or_b32_e32 v77, 2, v78
	v_cndmask_b32_e64 v81, v81, v95, s7
	v_cndmask_b32_e64 v87, v87, v98, s7
	;; [unrolled: 1-line block ×4, first 2 shown]
	v_cmp_eq_u32_e64 s10, 5, v78
	v_cndmask_b32_e64 v81, v81, v71, s9
	v_cndmask_b32_e64 v87, v87, v85, s9
	v_cmp_eq_u32_e64 s11, 4, v79
	v_cndmask_b32_e64 v88, v88, v95, s8
	v_cmp_eq_u32_e64 s5, 1, v77
	v_cndmask_b32_e64 v89, v89, v84, s6
	v_cndmask_b32_e64 v81, v81, v96, s10
	v_cmp_eq_u32_e64 s12, 6, v78
	v_cndmask_b32_e64 v88, v88, v71, s11
	;; [unrolled: 3-line block ×3, first 2 shown]
	v_cndmask_b32_e64 v89, v89, v98, s8
	v_cndmask_b32_e64 v81, v81, v72, s12
	v_cmp_eq_u32_e64 s15, 7, v78
	v_cndmask_b32_e64 v88, v88, v96, s13
	v_cndmask_b32_e64 v87, v87, v86, s12
	v_cmp_eq_u32_e64 s16, 6, v79
	v_cmp_eq_u32_e64 s17, 2, v77
	v_cndmask_b32_e64 v89, v89, v85, s11
	v_cndmask_b32_e64 v101, v81, v97, s15
	;; [unrolled: 1-line block ×6, first 2 shown]
	v_cmp_eq_u32_e64 s18, 7, v79
	v_cmp_eq_u32_e64 s19, 3, v77
	;; [unrolled: 1-line block ×4, first 2 shown]
	v_cndmask_b32_e64 v87, v87, v84, s17
	v_cndmask_b32_e64 v103, v88, v97, s18
	;; [unrolled: 1-line block ×4, first 2 shown]
	v_or_b32_e32 v81, 3, v78
	v_cndmask_b32_e64 v93, v87, v98, s19
	v_cmp_eq_u32_e64 s24, 6, v77
	v_cndmask_b32_e64 v104, v88, v86, s16
	v_cndmask_b32_e64 v92, v89, v71, s20
	v_cmp_eq_u32_e64 s21, 1, v81
	ds_load_b128 v[87:90], v82 offset:1024
	v_cmp_eq_u32_e64 s23, 2, v81
	v_cmp_eq_u32_e64 s25, 3, v81
	v_cndmask_b32_e64 v105, v92, v96, s22
	v_cndmask_b32_e64 v66, v69, v66, s21
	v_cndmask_b32_e64 v69, v93, v85, s20
	v_cndmask_b32_e64 v83, v83, v91, s21
	ds_load_b128 v[91:94], v82 offset:1040
	v_cmp_eq_u32_e64 s26, 4, v81
	v_cndmask_b32_e64 v66, v66, v70, s23
	v_cmp_eq_u32_e64 s27, 7, v77
	v_cndmask_b32_e64 v70, v83, v84, s23
	v_cndmask_b32_e64 v84, v105, v72, s24
	v_cmp_eq_u32_e64 s28, 5, v81
	v_cndmask_b32_e64 v66, v66, v95, s25
	v_cmp_eq_u32_e64 s29, 6, v81
	v_cndmask_b32_e64 v70, v70, v98, s25
	v_cndmask_b32_e64 v69, v69, v99, s22
	v_cndmask_b32_e64 v83, v104, v100, s18
	v_cndmask_b32_e64 v66, v66, v71, s26
	s_waitcnt lgkmcnt(1)
	v_lshrrev_b32_e32 v95, 16, v87
	v_cndmask_b32_e64 v70, v70, v85, s26
	v_cndmask_b32_e64 v71, v84, v97, s27
	;; [unrolled: 1-line block ×4, first 2 shown]
	v_cndmask_b32_e32 v84, v87, v95, vcc_lo
	v_cndmask_b32_e64 v70, v70, v99, s28
	s_waitcnt lgkmcnt(0)
	v_lshrrev_b32_e32 v85, 16, v91
	v_lshrrev_b32_e32 v96, 16, v88
	v_cndmask_b32_e64 v98, v87, v95, s3
	v_cndmask_b32_e64 v84, v84, v88, s4
	;; [unrolled: 1-line block ×3, first 2 shown]
	v_cndmask_b32_e32 v99, v91, v85, vcc_lo
	v_cmp_eq_u32_e32 vcc_lo, 7, v81
	v_cndmask_b32_e64 v66, v66, v72, s29
	v_cndmask_b32_e64 v72, v84, v96, s7
	;; [unrolled: 1-line block ×3, first 2 shown]
	v_lshrrev_b32_e32 v98, 16, v92
	v_cndmask_b32_e32 v70, v70, v100, vcc_lo
	v_cndmask_b32_e64 v86, v99, v92, s4
	v_cndmask_b32_e64 v69, v69, v100, s27
	v_lshrrev_b32_e32 v100, 16, v93
	v_cndmask_b32_e64 v72, v72, v89, s9
	v_lshrrev_b32_e32 v99, 16, v89
	v_cndmask_b32_e64 v86, v86, v98, s7
	v_perm_b32 v71, v69, v71, 0x5040100
	v_cndmask_b32_e64 v84, v84, v96, s8
	s_delay_alu instid0(VALU_DEP_3) | instskip(NEXT) | instid1(VALU_DEP_2)
	v_cndmask_b32_e64 v86, v86, v93, s9
	v_cndmask_b32_e64 v84, v84, v89, s11
	s_delay_alu instid0(VALU_DEP_2) | instskip(NEXT) | instid1(VALU_DEP_1)
	v_cndmask_b32_e64 v86, v86, v100, s10
	v_cndmask_b32_e64 v69, v86, v94, s12
	;; [unrolled: 1-line block ×5, first 2 shown]
	s_delay_alu instid0(VALU_DEP_3) | instskip(NEXT) | instid1(VALU_DEP_3)
	v_cndmask_b32_e64 v86, v86, v88, s17
	v_cndmask_b32_e64 v87, v87, v88, s23
	s_delay_alu instid0(VALU_DEP_3) | instskip(NEXT) | instid1(VALU_DEP_3)
	v_cndmask_b32_e64 v88, v95, v92, s23
	v_cndmask_b32_e64 v86, v86, v96, s19
	;; [unrolled: 3-line block ×7, first 2 shown]
	s_delay_alu instid0(VALU_DEP_3) | instskip(SKIP_2) | instid1(VALU_DEP_2)
	v_cndmask_b32_e64 v88, v88, v94, s29
	v_cndmask_b32_e32 v66, v66, v97, vcc_lo
	v_cndmask_b32_e64 v97, v72, v99, s10
	v_perm_b32 v72, v70, v66, 0x5040100
	v_perm_b32 v70, v83, v103, 0x5040100
	v_cndmask_b32_e64 v103, v91, v85, s5
	v_cndmask_b32_e64 v85, v91, v85, s3
	v_cndmask_b32_e64 v66, v84, v99, s13
	v_cndmask_b32_e64 v84, v97, v90, s12
	v_lshrrev_b32_e32 v97, 16, v90
	v_cndmask_b32_e64 v91, v103, v92, s17
	v_cndmask_b32_e64 v85, v85, v92, s6
	;; [unrolled: 1-line block ×3, first 2 shown]
	s_mov_b32 s3, exec_lo
	v_cndmask_b32_e64 v83, v84, v97, s15
	v_cndmask_b32_e64 v91, v91, v98, s19
	;; [unrolled: 1-line block ×3, first 2 shown]
	v_lshrrev_b32_e32 v84, 16, v94
	v_cndmask_b32_e64 v66, v66, v97, s18
	v_cndmask_b32_e64 v90, v86, v97, s27
	;; [unrolled: 1-line block ×4, first 2 shown]
	v_dual_cndmask_b32 v86, v87, v97 :: v_dual_cndmask_b32 v87, v88, v84
	v_cndmask_b32_e64 v91, v69, v84, s15
	s_delay_alu instid0(VALU_DEP_4) | instskip(NEXT) | instid1(VALU_DEP_4)
	v_cndmask_b32_e64 v89, v89, v100, s22
	v_cndmask_b32_e64 v85, v85, v100, s13
	v_perm_b32 v69, v102, v101, 0x5040100
	v_perm_b32 v86, v87, v86, 0x5040100
	;; [unrolled: 1-line block ×3, first 2 shown]
	v_cndmask_b32_e64 v89, v89, v94, s24
	v_cndmask_b32_e64 v85, v85, v94, s16
	s_mul_i32 s8, s35, 10
	s_delay_alu instid0(VALU_DEP_2) | instskip(NEXT) | instid1(VALU_DEP_2)
	v_cndmask_b32_e64 v88, v89, v84, s27
	v_cndmask_b32_e64 v89, v85, v84, s18
	s_delay_alu instid0(VALU_DEP_2) | instskip(NEXT) | instid1(VALU_DEP_2)
	v_perm_b32 v85, v88, v90, 0x5040100
	v_perm_b32 v84, v89, v66, 0x5040100
	ds_store_b128 v76, v[69:72]
	ds_store_b128 v76, v[83:86] offset:1024
	v_cmpx_gt_u32_e32 10, v0
	s_cbranch_execz .LBB1355_78
; %bb.77:
	s_mul_i32 s4, s8, s30
	s_delay_alu instid0(SALU_CYCLE_1) | instskip(SKIP_1) | instid1(VALU_DEP_1)
	v_add3_u32 v69, s4, s31, v65
	s_load_b128 s[4:7], s[0:1], 0x58
	v_mad_u64_u32 v[65:66], null, v69, s34, s[14:15]
	s_delay_alu instid0(VALU_DEP_1) | instskip(NEXT) | instid1(VALU_DEP_1)
	v_ashrrev_i32_e32 v66, 31, v65
	v_lshlrev_b64 v[65:66], 2, v[65:66]
	s_waitcnt lgkmcnt(0)
	s_delay_alu instid0(VALU_DEP_1) | instskip(NEXT) | instid1(VALU_DEP_2)
	v_add_co_u32 v69, vcc_lo, s6, v65
	v_add_co_ci_u32_e32 v70, vcc_lo, s7, v66, vcc_lo
	v_add_co_u32 v65, vcc_lo, s4, v65
	v_add_co_ci_u32_e32 v66, vcc_lo, s5, v66, vcc_lo
	global_store_b32 v[69:70], v67, off
	global_store_b32 v[65:66], v68, off
.LBB1355_78:
	s_or_b32 exec_lo, exec_lo, s3
	s_waitcnt lgkmcnt(0)
	s_waitcnt_vscnt null, 0x0
	s_barrier
	buffer_gl0_inv
	ds_load_b128 v[83:86], v80
	ds_load_b128 v[87:90], v80 offset:16
	ds_load_b128 v[95:98], v80 offset:2064
	;; [unrolled: 1-line block ×3, first 2 shown]
	v_mov_b32_e32 v65, 0
	ds_load_b128 v[103:106], v80 offset:4112
	ds_load_b128 v[99:102], v80 offset:4096
	;; [unrolled: 1-line block ×4, first 2 shown]
	v_mov_b32_e32 v66, v65
	v_mov_b32_e32 v67, v65
	;; [unrolled: 1-line block ×7, first 2 shown]
	s_waitcnt lgkmcnt(6)
	s_delay_alu instid0(VALU_DEP_1)
	v_wmma_f32_16x16x16_bf16 v[65:72], v[57:64], v[83:90], v[65:72]
	ds_load_b128 v[61:64], v80 offset:8208
	ds_load_b128 v[57:60], v80 offset:8192
	s_waitcnt lgkmcnt(6)
	v_wmma_f32_16x16x16_bf16 v[65:72], v[41:48], v[91:98], v[65:72]
	ds_load_b128 v[45:48], v80 offset:10256
	ds_load_b128 v[41:44], v80 offset:10240
	s_waitcnt lgkmcnt(6)
	;; [unrolled: 4-line block ×4, first 2 shown]
	v_wmma_f32_16x16x16_bf16 v[65:72], v[1:8], v[57:64], v[65:72]
	s_waitcnt lgkmcnt(4)
	s_delay_alu instid0(VALU_DEP_1) | instskip(SKIP_1) | instid1(VALU_DEP_1)
	v_wmma_f32_16x16x16_bf16 v[65:72], v[9:16], v[41:48], v[65:72]
	s_waitcnt lgkmcnt(2)
	v_wmma_f32_16x16x16_bf16 v[65:72], v[17:24], v[33:40], v[65:72]
	s_waitcnt lgkmcnt(0)
	s_delay_alu instid0(VALU_DEP_1) | instskip(NEXT) | instid1(VALU_DEP_1)
	v_wmma_f32_16x16x16_bf16 v[65:72], v[49:56], v[25:32], v[65:72]
	v_and_b32_e32 v1, 0x7f800000, v65
	s_delay_alu instid0(VALU_DEP_1) | instskip(SKIP_1) | instid1(SALU_CYCLE_1)
	v_cmp_ne_u32_e32 vcc_lo, 0x7f800000, v1
                                        ; implicit-def: $vgpr1
	s_and_saveexec_b32 s3, vcc_lo
	s_xor_b32 s3, exec_lo, s3
; %bb.79:
	v_bfe_u32 v1, v65, 16, 1
	s_delay_alu instid0(VALU_DEP_1)
	v_add3_u32 v1, v65, v1, 0x7fff
; %bb.80:
	s_and_not1_saveexec_b32 s3, s3
; %bb.81:
	v_and_b32_e32 v1, 0xffff, v65
	v_or_b32_e32 v2, 0x10000, v65
	s_delay_alu instid0(VALU_DEP_2) | instskip(NEXT) | instid1(VALU_DEP_2)
	v_cmp_eq_u32_e32 vcc_lo, 0, v1
	v_cndmask_b32_e32 v1, v2, v65, vcc_lo
; %bb.82:
	s_or_b32 exec_lo, exec_lo, s3
	v_and_b32_e32 v2, 0x7f800000, v66
	s_delay_alu instid0(VALU_DEP_1) | instskip(SKIP_1) | instid1(SALU_CYCLE_1)
	v_cmp_ne_u32_e32 vcc_lo, 0x7f800000, v2
                                        ; implicit-def: $vgpr2
	s_and_saveexec_b32 s3, vcc_lo
	s_xor_b32 s3, exec_lo, s3
; %bb.83:
	v_bfe_u32 v2, v66, 16, 1
	s_delay_alu instid0(VALU_DEP_1)
	v_add3_u32 v2, v66, v2, 0x7fff
; %bb.84:
	s_and_not1_saveexec_b32 s3, s3
; %bb.85:
	v_and_b32_e32 v2, 0xffff, v66
	v_or_b32_e32 v3, 0x10000, v66
	s_delay_alu instid0(VALU_DEP_2) | instskip(NEXT) | instid1(VALU_DEP_2)
	v_cmp_eq_u32_e32 vcc_lo, 0, v2
	v_cndmask_b32_e32 v2, v3, v66, vcc_lo
; %bb.86:
	s_or_b32 exec_lo, exec_lo, s3
	v_and_b32_e32 v3, 0x7f800000, v67
	s_delay_alu instid0(VALU_DEP_1) | instskip(SKIP_1) | instid1(SALU_CYCLE_1)
	v_cmp_ne_u32_e32 vcc_lo, 0x7f800000, v3
                                        ; implicit-def: $vgpr3
	s_and_saveexec_b32 s3, vcc_lo
	s_xor_b32 s3, exec_lo, s3
; %bb.87:
	v_bfe_u32 v3, v67, 16, 1
	s_delay_alu instid0(VALU_DEP_1)
	v_add3_u32 v3, v67, v3, 0x7fff
; %bb.88:
	s_and_not1_saveexec_b32 s3, s3
; %bb.89:
	v_and_b32_e32 v3, 0xffff, v67
	v_or_b32_e32 v4, 0x10000, v67
	s_delay_alu instid0(VALU_DEP_2) | instskip(NEXT) | instid1(VALU_DEP_2)
	v_cmp_eq_u32_e32 vcc_lo, 0, v3
	v_cndmask_b32_e32 v3, v4, v67, vcc_lo
; %bb.90:
	s_or_b32 exec_lo, exec_lo, s3
	v_and_b32_e32 v4, 0x7f800000, v68
	s_delay_alu instid0(VALU_DEP_1) | instskip(SKIP_1) | instid1(SALU_CYCLE_1)
	v_cmp_ne_u32_e32 vcc_lo, 0x7f800000, v4
                                        ; implicit-def: $vgpr4
	s_and_saveexec_b32 s3, vcc_lo
	s_xor_b32 s3, exec_lo, s3
; %bb.91:
	v_bfe_u32 v4, v68, 16, 1
	s_delay_alu instid0(VALU_DEP_1)
	v_add3_u32 v4, v68, v4, 0x7fff
; %bb.92:
	s_and_not1_saveexec_b32 s3, s3
; %bb.93:
	v_and_b32_e32 v4, 0xffff, v68
	v_or_b32_e32 v5, 0x10000, v68
	s_delay_alu instid0(VALU_DEP_2) | instskip(NEXT) | instid1(VALU_DEP_2)
	v_cmp_eq_u32_e32 vcc_lo, 0, v4
	v_cndmask_b32_e32 v4, v5, v68, vcc_lo
; %bb.94:
	s_or_b32 exec_lo, exec_lo, s3
	v_and_b32_e32 v5, 0x7f800000, v69
	s_delay_alu instid0(VALU_DEP_1) | instskip(SKIP_1) | instid1(SALU_CYCLE_1)
	v_cmp_ne_u32_e32 vcc_lo, 0x7f800000, v5
                                        ; implicit-def: $vgpr5
	s_and_saveexec_b32 s3, vcc_lo
	s_xor_b32 s3, exec_lo, s3
; %bb.95:
	v_bfe_u32 v5, v69, 16, 1
	s_delay_alu instid0(VALU_DEP_1)
	v_add3_u32 v5, v69, v5, 0x7fff
; %bb.96:
	s_and_not1_saveexec_b32 s3, s3
; %bb.97:
	v_and_b32_e32 v5, 0xffff, v69
	v_or_b32_e32 v6, 0x10000, v69
	s_delay_alu instid0(VALU_DEP_2) | instskip(NEXT) | instid1(VALU_DEP_2)
	v_cmp_eq_u32_e32 vcc_lo, 0, v5
	v_cndmask_b32_e32 v5, v6, v69, vcc_lo
; %bb.98:
	s_or_b32 exec_lo, exec_lo, s3
	v_and_b32_e32 v6, 0x7f800000, v70
	s_delay_alu instid0(VALU_DEP_1) | instskip(SKIP_1) | instid1(SALU_CYCLE_1)
	v_cmp_ne_u32_e32 vcc_lo, 0x7f800000, v6
                                        ; implicit-def: $vgpr6
	s_and_saveexec_b32 s3, vcc_lo
	s_xor_b32 s3, exec_lo, s3
; %bb.99:
	v_bfe_u32 v6, v70, 16, 1
	s_delay_alu instid0(VALU_DEP_1)
	v_add3_u32 v6, v70, v6, 0x7fff
; %bb.100:
	s_and_not1_saveexec_b32 s3, s3
; %bb.101:
	v_and_b32_e32 v6, 0xffff, v70
	v_or_b32_e32 v7, 0x10000, v70
	s_delay_alu instid0(VALU_DEP_2) | instskip(NEXT) | instid1(VALU_DEP_2)
	v_cmp_eq_u32_e32 vcc_lo, 0, v6
	v_cndmask_b32_e32 v6, v7, v70, vcc_lo
; %bb.102:
	s_or_b32 exec_lo, exec_lo, s3
	v_and_b32_e32 v7, 0x7f800000, v71
	s_delay_alu instid0(VALU_DEP_1) | instskip(SKIP_1) | instid1(SALU_CYCLE_1)
	v_cmp_ne_u32_e32 vcc_lo, 0x7f800000, v7
                                        ; implicit-def: $vgpr7
	s_and_saveexec_b32 s3, vcc_lo
	s_xor_b32 s3, exec_lo, s3
; %bb.103:
	v_bfe_u32 v7, v71, 16, 1
	s_delay_alu instid0(VALU_DEP_1)
	v_add3_u32 v7, v71, v7, 0x7fff
; %bb.104:
	s_and_not1_saveexec_b32 s3, s3
; %bb.105:
	v_and_b32_e32 v7, 0xffff, v71
	v_or_b32_e32 v8, 0x10000, v71
	s_delay_alu instid0(VALU_DEP_2) | instskip(NEXT) | instid1(VALU_DEP_2)
	v_cmp_eq_u32_e32 vcc_lo, 0, v7
	v_cndmask_b32_e32 v7, v8, v71, vcc_lo
; %bb.106:
	s_or_b32 exec_lo, exec_lo, s3
	v_and_b32_e32 v8, 0x7f800000, v72
	s_delay_alu instid0(VALU_DEP_1) | instskip(SKIP_1) | instid1(SALU_CYCLE_1)
	v_cmp_ne_u32_e32 vcc_lo, 0x7f800000, v8
                                        ; implicit-def: $vgpr8
	s_and_saveexec_b32 s3, vcc_lo
	s_xor_b32 s3, exec_lo, s3
; %bb.107:
	v_bfe_u32 v8, v72, 16, 1
	s_delay_alu instid0(VALU_DEP_1)
	v_add3_u32 v8, v72, v8, 0x7fff
                                        ; implicit-def: $vgpr65_vgpr66_vgpr67_vgpr68_vgpr69_vgpr70_vgpr71_vgpr72
; %bb.108:
	s_and_not1_saveexec_b32 s3, s3
; %bb.109:
	v_and_b32_e32 v8, 0xffff, v72
	v_or_b32_e32 v9, 0x10000, v72
	s_delay_alu instid0(VALU_DEP_2) | instskip(NEXT) | instid1(VALU_DEP_2)
	v_cmp_eq_u32_e32 vcc_lo, 0, v8
	v_cndmask_b32_e32 v8, v9, v72, vcc_lo
; %bb.110:
	s_or_b32 exec_lo, exec_lo, s3
	s_delay_alu instid0(VALU_DEP_1)
	v_perm_b32 v7, v8, v7, 0x7060302
	v_perm_b32 v6, v6, v5, 0x7060302
	;; [unrolled: 1-line block ×4, first 2 shown]
	s_barrier
	buffer_gl0_inv
	v_cmp_eq_u32_e32 vcc_lo, 1, v78
	ds_store_b128 v76, v[4:7]
	s_waitcnt lgkmcnt(0)
	s_barrier
	buffer_gl0_inv
	ds_load_b128 v[1:4], v82
	ds_load_b128 v[5:8], v82 offset:16
	v_cmp_eq_u32_e64 s3, 1, v79
	v_cmp_eq_u32_e64 s4, 2, v78
	;; [unrolled: 1-line block ×5, first 2 shown]
	s_waitcnt lgkmcnt(1)
	v_lshrrev_b32_e32 v9, 16, v1
	s_waitcnt lgkmcnt(0)
	v_lshrrev_b32_e32 v13, 16, v5
	v_lshrrev_b32_e32 v10, 16, v2
	;; [unrolled: 1-line block ×4, first 2 shown]
	v_cndmask_b32_e64 v19, v1, v9, s3
	v_cndmask_b32_e32 v18, v5, v13, vcc_lo
	v_cndmask_b32_e64 v20, v5, v13, s3
	v_cndmask_b32_e32 v17, v1, v9, vcc_lo
	v_cmp_eq_u32_e32 vcc_lo, 2, v79
	v_lshrrev_b32_e32 v15, 16, v7
	v_cmp_eq_u32_e64 s3, 1, v77
	v_lshrrev_b32_e32 v12, 16, v4
	v_lshrrev_b32_e32 v16, 16, v8
	v_cndmask_b32_e32 v20, v20, v6, vcc_lo
	v_cndmask_b32_e64 v17, v17, v2, s4
	v_cndmask_b32_e32 v19, v19, v2, vcc_lo
	v_cndmask_b32_e64 v18, v18, v6, s4
	v_cmp_eq_u32_e32 vcc_lo, 4, v78
	v_cmp_eq_u32_e64 s4, 3, v79
	v_cndmask_b32_e64 v17, v17, v10, s5
	v_cndmask_b32_e64 v21, v1, v9, s3
	;; [unrolled: 1-line block ×5, first 2 shown]
	v_cndmask_b32_e32 v17, v17, v3, vcc_lo
	v_cndmask_b32_e64 v20, v20, v14, s4
	v_cndmask_b32_e32 v18, v18, v7, vcc_lo
	v_cmp_eq_u32_e32 vcc_lo, 4, v79
	v_cmp_eq_u32_e64 s4, 5, v79
	v_cmp_eq_u32_e64 s3, 2, v81
	v_cndmask_b32_e64 v21, v21, v2, s7
	v_cmp_eq_u32_e64 s5, 5, v78
	v_cndmask_b32_e32 v19, v19, v3, vcc_lo
	v_cndmask_b32_e32 v20, v20, v7, vcc_lo
	v_cmp_eq_u32_e32 vcc_lo, 6, v79
	s_delay_alu instid0(VALU_DEP_4) | instskip(NEXT) | instid1(VALU_DEP_4)
	v_cndmask_b32_e64 v17, v17, v11, s5
	v_cndmask_b32_e64 v19, v19, v11, s4
	s_delay_alu instid0(VALU_DEP_4) | instskip(SKIP_1) | instid1(VALU_DEP_3)
	v_cndmask_b32_e64 v20, v20, v15, s4
	v_cmp_eq_u32_e64 s4, 1, v81
	v_cndmask_b32_e32 v19, v19, v4, vcc_lo
	v_cndmask_b32_e64 v18, v18, v15, s5
	s_delay_alu instid0(VALU_DEP_3)
	v_cndmask_b32_e64 v1, v1, v9, s4
	v_cndmask_b32_e64 v5, v5, v13, s4
	v_cmp_eq_u32_e64 s4, 3, v77
	v_cndmask_b32_e64 v13, v22, v6, s7
	v_cmp_eq_u32_e64 s7, 3, v81
	v_cndmask_b32_e64 v1, v1, v2, s3
	v_cndmask_b32_e64 v2, v5, v6, s3
	;; [unrolled: 1-line block ×3, first 2 shown]
	v_cmp_eq_u32_e64 s3, 4, v77
	v_cndmask_b32_e64 v6, v13, v14, s4
	v_cndmask_b32_e64 v1, v1, v10, s7
	v_cmp_eq_u32_e64 s4, 4, v81
	v_cndmask_b32_e64 v2, v2, v14, s7
	v_cndmask_b32_e64 v5, v9, v3, s3
	;; [unrolled: 3-line block ×3, first 2 shown]
	v_cndmask_b32_e64 v2, v2, v7, s4
	v_cmp_eq_u32_e64 s3, 5, v81
	v_cmp_eq_u32_e64 s5, 6, v78
	v_cndmask_b32_e64 v5, v5, v11, s7
	v_cmp_eq_u32_e64 s4, 6, v77
	v_cndmask_b32_e64 v3, v6, v15, s7
	v_cndmask_b32_e64 v1, v1, v11, s3
	v_cmp_eq_u32_e64 s7, 6, v81
	v_cndmask_b32_e64 v2, v2, v15, s3
	v_cndmask_b32_e64 v17, v17, v4, s5
	v_cndmask_b32_e64 v18, v18, v8, s5
	v_cmp_eq_u32_e64 s5, 7, v78
	v_cndmask_b32_e64 v5, v5, v4, s4
	;; [unrolled: 4-line block ×3, first 2 shown]
	v_cmp_eq_u32_e64 s4, 7, v77
	v_cndmask_b32_e32 v4, v20, v8, vcc_lo
	v_cndmask_b32_e64 v17, v17, v12, s5
	v_cndmask_b32_e64 v19, v19, v12, s6
	;; [unrolled: 1-line block ×8, first 2 shown]
	v_cmp_gt_u32_e32 vcc_lo, 32, v0
	v_perm_b32 v4, v2, v1, 0x5040100
	v_perm_b32 v3, v3, v5, 0x5040100
	;; [unrolled: 1-line block ×4, first 2 shown]
	s_and_b32 s2, vcc_lo, s2
	ds_store_b128 v76, v[1:4]
	s_waitcnt lgkmcnt(0)
	s_barrier
	buffer_gl0_inv
	s_and_saveexec_b32 s3, s2
	s_cbranch_execz .LBB1355_2
; %bb.111:
	s_load_b64 s[0:1], s[0:1], 0x68
	s_lshl_b32 s4, s34, 6
	v_or_b32_e32 v2, s31, v74
	s_mul_i32 s2, s4, s30
	v_lshlrev_b32_e32 v0, 10, v0
	s_mul_i32 s2, s2, s8
	v_lshlrev_b32_e32 v1, 4, v75
	s_ashr_i32 s3, s2, 31
	v_mul_lo_u32 v20, v2, s4
	s_lshl_b64 s[2:3], s[2:3], 1
	v_lshlrev_b32_e32 v3, 6, v74
	v_and_b32_e32 v0, 0x3800, v0
	s_delay_alu instid0(VALU_DEP_1) | instskip(NEXT) | instid1(VALU_DEP_4)
	v_or3_b32 v16, v0, v1, v3
	v_ashrrev_i32_e32 v21, 31, v20
	ds_load_b128 v[0:3], v16
	ds_load_b128 v[4:7], v16 offset:128
	s_waitcnt lgkmcnt(0)
	s_add_u32 s2, s0, s2
	s_addc_u32 s3, s1, s3
	s_lshl_b32 s0, s14, 6
	ds_load_b128 v[8:11], v16 offset:256
	ds_load_b128 v[12:15], v16 offset:384
	;; [unrolled: 1-line block ×3, first 2 shown]
	s_ashr_i32 s1, s0, 31
	s_delay_alu instid0(SALU_CYCLE_1) | instskip(NEXT) | instid1(SALU_CYCLE_1)
	s_lshl_b64 s[0:1], s[0:1], 1
	s_add_u32 s0, s2, s0
	s_addc_u32 s1, s3, s1
	s_lshl_b32 s2, s34, 7
	v_add_co_u32 v30, s0, s0, v73
	v_add_nc_u32_e32 v22, s2, v20
	v_lshlrev_b64 v[20:21], 1, v[20:21]
	v_add_co_ci_u32_e64 v31, null, s1, 0, s0
	s_delay_alu instid0(VALU_DEP_3) | instskip(SKIP_1) | instid1(VALU_DEP_4)
	v_add_nc_u32_e32 v24, s2, v22
	v_ashrrev_i32_e32 v23, 31, v22
	v_add_co_u32 v20, vcc_lo, v30, v20
	s_delay_alu instid0(VALU_DEP_4) | instskip(NEXT) | instid1(VALU_DEP_4)
	v_add_co_ci_u32_e32 v21, vcc_lo, v31, v21, vcc_lo
	v_add_nc_u32_e32 v26, s2, v24
	v_ashrrev_i32_e32 v25, 31, v24
	v_lshlrev_b64 v[22:23], 1, v[22:23]
	s_delay_alu instid0(VALU_DEP_3) | instskip(SKIP_1) | instid1(VALU_DEP_4)
	v_add_nc_u32_e32 v28, s2, v26
	v_ashrrev_i32_e32 v27, 31, v26
	v_lshlrev_b64 v[24:25], 1, v[24:25]
	s_delay_alu instid0(VALU_DEP_4) | instskip(NEXT) | instid1(VALU_DEP_4)
	v_add_co_u32 v22, vcc_lo, v30, v22
	v_ashrrev_i32_e32 v29, 31, v28
	s_delay_alu instid0(VALU_DEP_4) | instskip(SKIP_2) | instid1(VALU_DEP_4)
	v_lshlrev_b64 v[26:27], 1, v[26:27]
	v_add_co_ci_u32_e32 v23, vcc_lo, v31, v23, vcc_lo
	v_add_co_u32 v24, vcc_lo, v30, v24
	v_lshlrev_b64 v[28:29], 1, v[28:29]
	v_add_co_ci_u32_e32 v25, vcc_lo, v31, v25, vcc_lo
	v_add_co_u32 v26, vcc_lo, v30, v26
	v_add_co_ci_u32_e32 v27, vcc_lo, v31, v27, vcc_lo
	s_delay_alu instid0(VALU_DEP_4)
	v_add_co_u32 v28, vcc_lo, v30, v28
	v_add_co_ci_u32_e32 v29, vcc_lo, v31, v29, vcc_lo
	s_clause 0x1
	global_store_b128 v[20:21], v[0:3], off
	global_store_b128 v[22:23], v[4:7], off
	s_waitcnt lgkmcnt(2)
	global_store_b128 v[24:25], v[8:11], off
	s_waitcnt lgkmcnt(1)
	;; [unrolled: 2-line block ×3, first 2 shown]
	global_store_b128 v[28:29], v[16:19], off
	s_nop 0
	s_sendmsg sendmsg(MSG_DEALLOC_VGPRS)
	s_endpgm
	.section	.rodata,"a",@progbits
	.p2align	6, 0x0
	.amdhsa_kernel _Z39paged_attention_ll4mi_QKV_mfma16_kernelI14__hip_bfloat16hLN4vllm18Fp8KVCacheDataTypeE1EhLi16ELi64ELi256ELb1ELi10EL8MFMAType1EEvPKT_PKT0_S9_ifPKiSB_SB_iPKfiiiPfSE_PS4_PT2_iSD_SD_
		.amdhsa_group_segment_fixed_size 17472
		.amdhsa_private_segment_fixed_size 0
		.amdhsa_kernarg_size 400
		.amdhsa_user_sgpr_count 13
		.amdhsa_user_sgpr_dispatch_ptr 0
		.amdhsa_user_sgpr_queue_ptr 0
		.amdhsa_user_sgpr_kernarg_segment_ptr 1
		.amdhsa_user_sgpr_dispatch_id 0
		.amdhsa_user_sgpr_private_segment_size 0
		.amdhsa_wavefront_size32 1
		.amdhsa_uses_dynamic_stack 0
		.amdhsa_enable_private_segment 0
		.amdhsa_system_sgpr_workgroup_id_x 1
		.amdhsa_system_sgpr_workgroup_id_y 1
		.amdhsa_system_sgpr_workgroup_id_z 1
		.amdhsa_system_sgpr_workgroup_info 0
		.amdhsa_system_vgpr_workitem_id 0
		.amdhsa_next_free_vgpr 124
		.amdhsa_next_free_sgpr 38
		.amdhsa_reserve_vcc 1
		.amdhsa_float_round_mode_32 0
		.amdhsa_float_round_mode_16_64 0
		.amdhsa_float_denorm_mode_32 3
		.amdhsa_float_denorm_mode_16_64 3
		.amdhsa_dx10_clamp 1
		.amdhsa_ieee_mode 1
		.amdhsa_fp16_overflow 0
		.amdhsa_workgroup_processor_mode 1
		.amdhsa_memory_ordered 1
		.amdhsa_forward_progress 0
		.amdhsa_shared_vgpr_count 0
		.amdhsa_exception_fp_ieee_invalid_op 0
		.amdhsa_exception_fp_denorm_src 0
		.amdhsa_exception_fp_ieee_div_zero 0
		.amdhsa_exception_fp_ieee_overflow 0
		.amdhsa_exception_fp_ieee_underflow 0
		.amdhsa_exception_fp_ieee_inexact 0
		.amdhsa_exception_int_div_zero 0
	.end_amdhsa_kernel
	.section	.text._Z39paged_attention_ll4mi_QKV_mfma16_kernelI14__hip_bfloat16hLN4vllm18Fp8KVCacheDataTypeE1EhLi16ELi64ELi256ELb1ELi10EL8MFMAType1EEvPKT_PKT0_S9_ifPKiSB_SB_iPKfiiiPfSE_PS4_PT2_iSD_SD_,"axG",@progbits,_Z39paged_attention_ll4mi_QKV_mfma16_kernelI14__hip_bfloat16hLN4vllm18Fp8KVCacheDataTypeE1EhLi16ELi64ELi256ELb1ELi10EL8MFMAType1EEvPKT_PKT0_S9_ifPKiSB_SB_iPKfiiiPfSE_PS4_PT2_iSD_SD_,comdat
.Lfunc_end1355:
	.size	_Z39paged_attention_ll4mi_QKV_mfma16_kernelI14__hip_bfloat16hLN4vllm18Fp8KVCacheDataTypeE1EhLi16ELi64ELi256ELb1ELi10EL8MFMAType1EEvPKT_PKT0_S9_ifPKiSB_SB_iPKfiiiPfSE_PS4_PT2_iSD_SD_, .Lfunc_end1355-_Z39paged_attention_ll4mi_QKV_mfma16_kernelI14__hip_bfloat16hLN4vllm18Fp8KVCacheDataTypeE1EhLi16ELi64ELi256ELb1ELi10EL8MFMAType1EEvPKT_PKT0_S9_ifPKiSB_SB_iPKfiiiPfSE_PS4_PT2_iSD_SD_
                                        ; -- End function
	.section	.AMDGPU.csdata,"",@progbits
; Kernel info:
; codeLenInByte = 8760
; NumSgprs: 40
; NumVgprs: 124
; ScratchSize: 0
; MemoryBound: 0
; FloatMode: 240
; IeeeMode: 1
; LDSByteSize: 17472 bytes/workgroup (compile time only)
; SGPRBlocks: 4
; VGPRBlocks: 15
; NumSGPRsForWavesPerEU: 40
; NumVGPRsForWavesPerEU: 124
; Occupancy: 10
; WaveLimiterHint : 1
; COMPUTE_PGM_RSRC2:SCRATCH_EN: 0
; COMPUTE_PGM_RSRC2:USER_SGPR: 13
; COMPUTE_PGM_RSRC2:TRAP_HANDLER: 0
; COMPUTE_PGM_RSRC2:TGID_X_EN: 1
; COMPUTE_PGM_RSRC2:TGID_Y_EN: 1
; COMPUTE_PGM_RSRC2:TGID_Z_EN: 1
; COMPUTE_PGM_RSRC2:TIDIG_COMP_CNT: 0
	.section	.text._Z39paged_attention_ll4mi_QKV_mfma16_kernelI14__hip_bfloat16hLN4vllm18Fp8KVCacheDataTypeE1EhLi16ELi64ELi256ELb1ELi11EL8MFMAType1EEvPKT_PKT0_S9_ifPKiSB_SB_iPKfiiiPfSE_PS4_PT2_iSD_SD_,"axG",@progbits,_Z39paged_attention_ll4mi_QKV_mfma16_kernelI14__hip_bfloat16hLN4vllm18Fp8KVCacheDataTypeE1EhLi16ELi64ELi256ELb1ELi11EL8MFMAType1EEvPKT_PKT0_S9_ifPKiSB_SB_iPKfiiiPfSE_PS4_PT2_iSD_SD_,comdat
	.protected	_Z39paged_attention_ll4mi_QKV_mfma16_kernelI14__hip_bfloat16hLN4vllm18Fp8KVCacheDataTypeE1EhLi16ELi64ELi256ELb1ELi11EL8MFMAType1EEvPKT_PKT0_S9_ifPKiSB_SB_iPKfiiiPfSE_PS4_PT2_iSD_SD_ ; -- Begin function _Z39paged_attention_ll4mi_QKV_mfma16_kernelI14__hip_bfloat16hLN4vllm18Fp8KVCacheDataTypeE1EhLi16ELi64ELi256ELb1ELi11EL8MFMAType1EEvPKT_PKT0_S9_ifPKiSB_SB_iPKfiiiPfSE_PS4_PT2_iSD_SD_
	.globl	_Z39paged_attention_ll4mi_QKV_mfma16_kernelI14__hip_bfloat16hLN4vllm18Fp8KVCacheDataTypeE1EhLi16ELi64ELi256ELb1ELi11EL8MFMAType1EEvPKT_PKT0_S9_ifPKiSB_SB_iPKfiiiPfSE_PS4_PT2_iSD_SD_
	.p2align	8
	.type	_Z39paged_attention_ll4mi_QKV_mfma16_kernelI14__hip_bfloat16hLN4vllm18Fp8KVCacheDataTypeE1EhLi16ELi64ELi256ELb1ELi11EL8MFMAType1EEvPKT_PKT0_S9_ifPKiSB_SB_iPKfiiiPfSE_PS4_PT2_iSD_SD_,@function
_Z39paged_attention_ll4mi_QKV_mfma16_kernelI14__hip_bfloat16hLN4vllm18Fp8KVCacheDataTypeE1EhLi16ELi64ELi256ELb1ELi11EL8MFMAType1EEvPKT_PKT0_S9_ifPKiSB_SB_iPKfiiiPfSE_PS4_PT2_iSD_SD_: ; @_Z39paged_attention_ll4mi_QKV_mfma16_kernelI14__hip_bfloat16hLN4vllm18Fp8KVCacheDataTypeE1EhLi16ELi64ELi256ELb1ELi11EL8MFMAType1EEvPKT_PKT0_S9_ifPKiSB_SB_iPKfiiiPfSE_PS4_PT2_iSD_SD_
; %bb.0:
	s_load_b64 s[2:3], s[0:1], 0x30
	s_mov_b32 s34, s13
	s_waitcnt lgkmcnt(0)
	s_cmp_lg_u64 s[2:3], 0
	s_cselect_b32 s8, -1, 0
	s_ashr_i32 s35, s13, 31
	s_cmp_eq_u64 s[2:3], 0
	s_cbranch_scc1 .LBB1356_3
; %bb.1:
	s_lshl_b64 s[4:5], s[34:35], 2
	s_delay_alu instid0(SALU_CYCLE_1) | instskip(SKIP_4) | instid1(SALU_CYCLE_1)
	s_add_u32 s4, s2, s4
	s_addc_u32 s5, s3, s5
	s_load_b64 s[4:5], s[4:5], 0x0
	s_waitcnt lgkmcnt(0)
	s_sub_i32 s4, s5, s4
	s_cmp_eq_u32 s4, 1
	s_cselect_b32 s4, -1, 0
	s_delay_alu instid0(SALU_CYCLE_1)
	s_and_not1_b32 vcc_lo, exec_lo, s4
	s_cbranch_vccz .LBB1356_4
.LBB1356_2:
	s_nop 0
	s_sendmsg sendmsg(MSG_DEALLOC_VGPRS)
	s_endpgm
.LBB1356_3:
.LBB1356_4:
	s_load_b64 s[4:5], s[0:1], 0x28
	s_lshl_b64 s[6:7], s[34:35], 2
	s_waitcnt lgkmcnt(0)
	s_add_u32 s4, s4, s6
	s_addc_u32 s5, s5, s7
	s_lshl_b32 s12, s14, 8
	s_load_b32 s24, s[4:5], 0x0
	s_waitcnt lgkmcnt(0)
	s_cmp_ge_i32 s12, s24
	s_cbranch_scc1 .LBB1356_2
; %bb.5:
	s_clause 0x1
	s_load_b128 s[20:23], s[0:1], 0x8
	s_load_b64 s[4:5], s[0:1], 0x20
	s_and_not1_b32 vcc_lo, exec_lo, s8
	s_cbranch_vccnz .LBB1356_7
; %bb.6:
	s_add_u32 s2, s2, s6
	s_addc_u32 s3, s3, s7
	s_load_b32 s3, s[2:3], 0x0
	s_branch .LBB1356_8
.LBB1356_7:
	s_mov_b32 s3, s34
.LBB1356_8:
	s_load_b128 s[16:19], s[0:1], 0x48
	v_lshrrev_b32_e32 v66, 5, v0
	v_bfe_u32 v74, v0, 4, 1
	v_and_b32_e32 v65, 15, v0
	v_and_b32_e32 v67, 31, v0
	;; [unrolled: 1-line block ×3, first 2 shown]
	s_mul_i32 s31, s15, 11
	v_lshl_or_b32 v1, v66, 1, v74
	v_lshlrev_b32_e32 v2, 3, v65
	v_cmp_gt_u32_e64 s2, 8, v65
	s_delay_alu instid0(VALU_DEP_3) | instskip(NEXT) | instid1(VALU_DEP_3)
	v_cmp_gt_u32_e32 vcc_lo, 11, v1
	v_lshlrev_b32_e32 v73, 1, v2
	s_delay_alu instid0(VALU_DEP_3) | instskip(NEXT) | instid1(SALU_CYCLE_1)
	s_and_b32 s7, s2, vcc_lo
	s_and_saveexec_b32 s6, s7
	s_cbranch_execz .LBB1356_10
; %bb.9:
	s_load_b64 s[8:9], s[0:1], 0x0
	v_add_lshl_u32 v2, v1, s31, 6
	s_waitcnt lgkmcnt(0)
	s_mul_hi_i32 s11, s3, s16
	s_mul_i32 s10, s3, s16
	v_lshlrev_b32_e32 v6, 10, v65
	s_lshl_b64 s[10:11], s[10:11], 1
	v_ashrrev_i32_e32 v3, 31, v2
	v_lshlrev_b32_e32 v1, 6, v1
	v_lshlrev_b32_e32 v7, 10, v75
	v_and_b32_e32 v6, 0x3800, v6
	s_delay_alu instid0(VALU_DEP_4) | instskip(NEXT) | instid1(VALU_DEP_2)
	v_lshlrev_b64 v[2:3], 1, v[2:3]
	v_or3_b32 v1, v6, v7, v1
	s_add_u32 s3, s8, s10
	s_addc_u32 s7, s9, s11
	s_delay_alu instid0(VALU_DEP_2) | instskip(NEXT) | instid1(VALU_DEP_3)
	v_add_co_u32 v2, vcc_lo, s3, v2
	v_add_co_ci_u32_e32 v3, vcc_lo, s7, v3, vcc_lo
	s_delay_alu instid0(VALU_DEP_2) | instskip(NEXT) | instid1(VALU_DEP_2)
	v_add_co_u32 v2, vcc_lo, v2, v73
	v_add_co_ci_u32_e32 v3, vcc_lo, 0, v3, vcc_lo
	global_load_b128 v[2:5], v[2:3], off
	s_waitcnt vmcnt(0)
	ds_store_b128 v1, v[2:5]
.LBB1356_10:
	s_or_b32 exec_lo, exec_lo, s6
	v_and_b32_e32 v1, 0xef, v0
	s_waitcnt lgkmcnt(0)
	s_add_i32 s3, s24, 15
	s_clause 0x1
	s_load_b32 s6, s[0:1], 0x38
	s_load_b32 s19, s[0:1], 0x1c
	s_ashr_i32 s7, s3, 31
	v_add_nc_u32_e32 v1, s12, v1
	s_lshr_b32 s7, s7, 28
	s_waitcnt lgkmcnt(0)
	s_add_i32 s3, s3, s7
	s_barrier
	v_ashrrev_i32_e32 v2, 31, v1
	v_or_b32_e32 v3, 16, v1
	s_ashr_i32 s3, s3, 4
	v_cmp_gt_i32_e32 vcc_lo, s24, v1
	s_add_i32 s3, s3, -1
	v_lshrrev_b32_e32 v2, 28, v2
	buffer_gl0_inv
	s_mul_i32 s27, s15, s18
	v_add_nc_u32_e32 v4, v1, v2
	s_mul_i32 s6, s34, s6
	s_delay_alu instid0(SALU_CYCLE_1) | instskip(NEXT) | instid1(VALU_DEP_1)
	s_ashr_i32 s7, s6, 31
	v_ashrrev_i32_e32 v4, 4, v4
	v_add_nc_u32_e32 v2, v3, v2
	s_lshl_b64 s[6:7], s[6:7], 2
	s_delay_alu instid0(SALU_CYCLE_1) | instskip(NEXT) | instid1(VALU_DEP_2)
	s_add_u32 s26, s4, s6
	v_cndmask_b32_e32 v1, s3, v4, vcc_lo
	s_delay_alu instid0(VALU_DEP_2)
	v_ashrrev_i32_e32 v2, 4, v2
	v_cmp_gt_i32_e32 vcc_lo, s24, v3
	s_addc_u32 s25, s5, s7
	s_ashr_i32 s28, s27, 31
	s_add_u32 s13, s20, s27
	s_addc_u32 s15, s21, s28
	v_cndmask_b32_e32 v3, s3, v2, vcc_lo
	v_ashrrev_i32_e32 v2, 31, v1
	s_lshl_b32 s4, s14, 4
	s_delay_alu instid0(SALU_CYCLE_1) | instskip(NEXT) | instid1(VALU_DEP_2)
	s_ashr_i32 s5, s4, 31
	v_ashrrev_i32_e32 v4, 31, v3
	s_delay_alu instid0(VALU_DEP_2) | instskip(SKIP_1) | instid1(SALU_CYCLE_1)
	v_lshlrev_b64 v[1:2], 2, v[1:2]
	s_lshl_b64 s[4:5], s[4:5], 2
	s_add_u32 s4, s26, s4
	s_delay_alu instid0(VALU_DEP_2) | instskip(SKIP_1) | instid1(VALU_DEP_2)
	v_lshlrev_b64 v[3:4], 2, v[3:4]
	s_addc_u32 s5, s25, s5
	v_add_co_u32 v1, vcc_lo, s26, v1
	v_add_co_ci_u32_e32 v2, vcc_lo, s25, v2, vcc_lo
	s_delay_alu instid0(VALU_DEP_3) | instskip(NEXT) | instid1(VALU_DEP_4)
	v_add_co_u32 v3, vcc_lo, s26, v3
	v_add_co_ci_u32_e32 v4, vcc_lo, s25, v4, vcc_lo
	s_clause 0x1
	global_load_b32 v5, v[1:2], off
	global_load_b32 v7, v[3:4], off
	s_or_b32 s6, s12, 32
	v_lshlrev_b32_e32 v1, 4, v0
	s_ashr_i32 s7, s6, 4
	s_cmp_lt_i32 s6, s24
	v_cmp_gt_u32_e32 vcc_lo, 11, v65
	s_cselect_b32 s6, s7, s3
	v_and_b32_e32 v1, 0xf0, v1
	s_ashr_i32 s7, s6, 31
	s_delay_alu instid0(SALU_CYCLE_1) | instskip(NEXT) | instid1(SALU_CYCLE_1)
	s_lshl_b64 s[6:7], s[6:7], 2
	s_add_u32 s6, s26, s6
	s_addc_u32 s7, s25, s7
	s_or_b32 s8, s12, 64
	v_add_co_u32 v1, s13, s13, v1
	s_ashr_i32 s9, s8, 4
	s_cmp_lt_i32 s8, s24
	v_add_co_ci_u32_e64 v2, null, s15, 0, s13
	s_cselect_b32 s8, s9, s3
	s_delay_alu instid0(SALU_CYCLE_1) | instskip(NEXT) | instid1(SALU_CYCLE_1)
	s_ashr_i32 s9, s8, 31
	s_lshl_b64 s[8:9], s[8:9], 2
	s_delay_alu instid0(SALU_CYCLE_1) | instskip(SKIP_2) | instid1(SALU_CYCLE_1)
	s_add_u32 s8, s26, s8
	s_addc_u32 s9, s25, s9
	s_or_b32 s10, s12, 0x60
	s_ashr_i32 s11, s10, 4
	s_cmp_lt_i32 s10, s24
	s_cselect_b32 s10, s11, s3
	s_delay_alu instid0(SALU_CYCLE_1) | instskip(NEXT) | instid1(SALU_CYCLE_1)
	s_ashr_i32 s11, s10, 31
	s_lshl_b64 s[10:11], s[10:11], 2
	s_delay_alu instid0(SALU_CYCLE_1) | instskip(SKIP_2) | instid1(SALU_CYCLE_1)
	s_add_u32 s10, s26, s10
	s_addc_u32 s11, s25, s11
	s_or_b32 s16, s12, 0x80
	s_ashr_i32 s18, s16, 4
	s_cmp_lt_i32 s16, s24
	;; [unrolled: 10-line block ×3, first 2 shown]
	s_cselect_b32 s20, s18, s3
	s_delay_alu instid0(SALU_CYCLE_1) | instskip(NEXT) | instid1(SALU_CYCLE_1)
	s_ashr_i32 s21, s20, 31
	s_lshl_b64 s[20:21], s[20:21], 2
	s_delay_alu instid0(SALU_CYCLE_1)
	s_add_u32 s38, s26, s20
	s_addc_u32 s39, s25, s21
	s_clause 0x5
	s_load_b32 s21, s[4:5], 0x0
	s_load_b32 s13, s[6:7], 0x0
	;; [unrolled: 1-line block ×6, first 2 shown]
	s_or_b32 s8, s12, 0xc0
	s_mov_b32 s4, 0
	s_ashr_i32 s9, s8, 4
	s_cmp_lt_i32 s8, s24
	s_mov_b32 s11, s4
	s_cselect_b32 s36, s9, s3
	s_mov_b32 s5, s4
	s_ashr_i32 s37, s36, 31
	s_mov_b32 s6, s4
	s_lshl_b64 s[36:37], s[36:37], 2
	s_mov_b32 s7, s4
	s_add_u32 s36, s26, s36
	s_addc_u32 s37, s25, s37
	s_or_b32 s29, s12, 0xe0
	s_mov_b32 s8, s4
	s_ashr_i32 s30, s29, 4
	s_mov_b32 s9, s4
	s_mov_b32 s10, s4
	s_cmp_lt_i32 s29, s24
	v_dual_mov_b32 v107, s11 :: v_dual_mov_b32 v100, s4
	v_mov_b32_e32 v106, s10
	v_dual_mov_b32 v104, s8 :: v_dual_mov_b32 v103, s7
	v_dual_mov_b32 v102, s6 :: v_dual_mov_b32 v101, s5
	s_waitcnt vmcnt(1)
	v_mad_i64_i32 v[3:4], null, v5, s17, v[1:2]
	s_waitcnt vmcnt(0)
	v_mad_i64_i32 v[5:6], null, v7, s17, v[1:2]
	v_add_nc_u32_e32 v1, -11, v65
	v_lshlrev_b32_e32 v2, 4, v65
	s_clause 0x7
	global_load_b128 v[49:52], v[3:4], off
	global_load_b128 v[53:56], v[3:4], off offset:256
	global_load_b128 v[76:79], v[5:6], off
	global_load_b128 v[80:83], v[5:6], off offset:256
	global_load_b128 v[84:87], v[3:4], off offset:512
	;; [unrolled: 1-line block ×5, first 2 shown]
	v_cndmask_b32_e32 v1, v1, v65, vcc_lo
	v_mov_b32_e32 v105, s9
	s_cselect_b32 s4, s30, s3
	v_lshl_or_b32 v2, v66, 8, v2
	s_ashr_i32 s5, s4, 31
	v_lshlrev_b32_e32 v70, 6, v1
	s_lshl_b64 s[4:5], s[4:5], 2
	s_load_b32 s3, s[36:37], 0x0
	s_add_u32 s4, s26, s4
	s_addc_u32 s5, s25, s5
	ds_load_b128 v[108:111], v70
	ds_load_b128 v[112:115], v70 offset:1024
	s_load_b32 s4, s[4:5], 0x0
	s_add_u32 s6, s22, s27
	s_addc_u32 s7, s23, s28
	v_add_co_u32 v9, s6, s6, v2
	s_delay_alu instid0(VALU_DEP_1) | instskip(SKIP_1) | instid1(VALU_DEP_1)
	v_add_co_ci_u32_e64 v10, null, s7, 0, s6
	s_waitcnt lgkmcnt(0)
	v_mad_i64_i32 v[1:2], null, s21, s17, v[9:10]
	v_mad_i64_i32 v[3:4], null, s13, s17, v[9:10]
	;; [unrolled: 1-line block ×7, first 2 shown]
	s_clause 0x9
	global_load_b128 v[57:60], v[1:2], off
	global_load_b128 v[61:64], v[1:2], off offset:16
	global_load_b128 v[41:44], v[3:4], off
	global_load_b128 v[45:48], v[3:4], off offset:16
	;; [unrolled: 2-line block ×5, first 2 shown]
	v_mad_i64_i32 v[68:69], null, s4, s17, v[9:10]
	s_clause 0x3
	global_load_b128 v[9:12], v[13:14], off
	global_load_b128 v[13:16], v[13:14], off offset:16
	global_load_b128 v[17:20], v[21:22], off
	global_load_b128 v[21:24], v[21:22], off offset:16
	s_waitcnt vmcnt(20)
	v_wmma_f32_16x16x16_bf16 v[116:123], v[49:56], v[108:115], v[100:107]
	s_clause 0x1
	global_load_b128 v[49:52], v[68:69], off
	global_load_b128 v[53:56], v[68:69], off offset:16
	v_and_b32_e32 v68, 0xe0, v0
	v_mbcnt_lo_u32_b32 v69, -1, 0
	s_delay_alu instid0(VALU_DEP_2)
	v_add_nc_u32_e32 v68, s12, v68
	s_waitcnt vmcnt(20)
	v_wmma_f32_16x16x16_bf16 v[100:107], v[76:83], v[108:115], v[100:107]
	ds_load_b128 v[76:79], v70 offset:2048
	ds_load_b128 v[80:83], v70 offset:3072
	v_xor_b32_e32 v70, 16, v69
	s_waitcnt vmcnt(0) lgkmcnt(0)
	v_or_b32_e32 v68, v68, v74
	s_barrier
	buffer_gl0_inv
	v_cmp_gt_i32_e32 vcc_lo, 32, v70
	v_or_b32_e32 v71, 4, v68
	v_or_b32_e32 v72, 6, v68
	v_cmp_gt_i32_e64 s3, s24, v68
	v_or_b32_e32 v108, 8, v68
	v_or_b32_e32 v109, 10, v68
	v_cmp_gt_i32_e64 s4, s24, v71
	v_cmp_gt_i32_e64 s5, s24, v72
	s_delay_alu instid0(VALU_DEP_4) | instskip(NEXT) | instid1(VALU_DEP_4)
	v_cmp_gt_i32_e64 s6, s24, v108
	v_cmp_gt_i32_e64 s7, s24, v109
	v_wmma_f32_16x16x16_bf16 v[116:123], v[84:91], v[76:83], v[116:123]
	v_cndmask_b32_e32 v69, v69, v70, vcc_lo
	v_or_b32_e32 v70, 2, v68
	v_wmma_f32_16x16x16_bf16 v[100:107], v[92:99], v[76:83], v[100:107]
	v_or_b32_e32 v89, 22, v68
	v_dual_mul_f32 v82, s19, v119 :: v_dual_mul_f32 v79, s19, v122
	v_dual_mul_f32 v92, s19, v117 :: v_dual_mul_f32 v93, s19, v116
	s_delay_alu instid0(VALU_DEP_4) | instskip(SKIP_2) | instid1(VALU_DEP_4)
	v_mul_f32_e32 v98, s19, v103
	v_cmp_gt_i32_e32 vcc_lo, s24, v70
	v_dual_mul_f32 v83, s19, v118 :: v_dual_mul_f32 v96, s19, v105
	v_cndmask_b32_e64 v93, 0xff7fffff, v93, s3
	v_or_b32_e32 v84, 12, v68
	v_cndmask_b32_e32 v92, 0xff7fffff, v92, vcc_lo
	v_or_b32_e32 v85, 14, v68
	v_dual_mul_f32 v80, s19, v121 :: v_dual_mul_f32 v81, s19, v120
	v_mul_f32_e32 v94, s19, v107
	v_cndmask_b32_e64 v71, 0xff7fffff, v83, s4
	v_cndmask_b32_e64 v72, 0xff7fffff, v82, s5
	v_cmp_gt_i32_e64 s13, s24, v89
	v_lshlrev_b32_e32 v89, 2, v69
	v_max3_f32 v82, v93, 0xff7fffff, v92
	v_or_b32_e32 v86, 16, v68
	v_or_b32_e32 v87, 18, v68
	v_mul_f32_e32 v78, s19, v123
	v_cndmask_b32_e64 v81, 0xff7fffff, v81, s6
	v_cndmask_b32_e64 v80, 0xff7fffff, v80, s7
	v_max3_f32 v71, v82, v71, v72
	v_cmp_gt_i32_e64 s8, s24, v84
	v_cmp_gt_i32_e64 s9, s24, v85
	v_or_b32_e32 v88, 20, v68
	v_or_b32_e32 v90, 24, v68
	;; [unrolled: 1-line block ×5, first 2 shown]
	v_dual_mul_f32 v95, s19, v106 :: v_dual_mul_f32 v70, s19, v101
	v_dual_mul_f32 v99, s19, v102 :: v_dual_mul_f32 v68, s19, v100
	v_cndmask_b32_e64 v72, 0xff7fffff, v79, s8
	v_cndmask_b32_e64 v78, 0xff7fffff, v78, s9
	v_max3_f32 v71, v71, v81, v80
	v_cmp_gt_i32_e64 s10, s24, v86
	v_cmp_gt_i32_e64 s11, s24, v87
	;; [unrolled: 1-line block ×3, first 2 shown]
	v_mul_f32_e32 v97, s19, v104
	v_max3_f32 v71, v71, v72, v78
	v_cndmask_b32_e64 v68, 0xff7fffff, v68, s10
	v_cndmask_b32_e64 v70, 0xff7fffff, v70, s11
	;; [unrolled: 1-line block ×4, first 2 shown]
	v_cmp_gt_i32_e64 s15, s24, v90
	v_cmp_gt_i32_e64 s16, s24, v91
	v_max3_f32 v68, v71, v68, v70
	v_cmp_gt_i32_e64 s17, s24, v76
	v_cmp_gt_i32_e64 s18, s24, v77
	v_cndmask_b32_e64 v70, 0xff7fffff, v97, s15
	v_cndmask_b32_e64 v71, 0xff7fffff, v96, s16
	v_max3_f32 v68, v68, v72, v78
	v_cndmask_b32_e64 v72, 0xff7fffff, v95, s17
	v_cndmask_b32_e64 v76, 0xff7fffff, v94, s18
	s_delay_alu instid0(VALU_DEP_3) | instskip(NEXT) | instid1(VALU_DEP_1)
	v_max3_f32 v68, v68, v70, v71
	v_max3_f32 v68, v68, v72, v76
	ds_bpermute_b32 v69, v89, v68
	s_waitcnt lgkmcnt(0)
	v_max_f32_e32 v69, v69, v69
	s_delay_alu instid0(VALU_DEP_1) | instskip(NEXT) | instid1(VALU_DEP_1)
	v_max_f32_e32 v68, v68, v69
	v_fma_f32 v69, s19, v116, -v68
	v_fma_f32 v70, s19, v117, -v68
	;; [unrolled: 1-line block ×5, first 2 shown]
	s_delay_alu instid0(VALU_DEP_4) | instskip(NEXT) | instid1(VALU_DEP_4)
	v_dual_mul_f32 v69, 0x3fb8aa3b, v69 :: v_dual_mul_f32 v70, 0x3fb8aa3b, v70
	v_mul_f32_e32 v72, 0x3fb8aa3b, v72
	v_fma_f32 v78, s19, v122, -v68
	s_delay_alu instid0(VALU_DEP_4) | instskip(NEXT) | instid1(VALU_DEP_4)
	v_mul_f32_e32 v77, 0x3fb8aa3b, v76
	v_exp_f32_e32 v69, v69
	v_exp_f32_e32 v70, v70
	v_mul_f32_e32 v71, 0x3fb8aa3b, v71
	v_exp_f32_e32 v72, v72
	v_mul_f32_e32 v78, 0x3fb8aa3b, v78
	v_exp_f32_e32 v77, v77
	v_fma_f32 v81, s19, v105, -v68
	s_delay_alu instid0(VALU_DEP_2)
	v_exp_f32_e32 v78, v78
	v_cndmask_b32_e64 v80, 0, v69, s3
	v_cndmask_b32_e32 v76, 0, v70, vcc_lo
	v_exp_f32_e32 v71, v71
	v_fma_f32 v69, s19, v121, -v68
	v_cndmask_b32_e64 v85, 0, v72, s5
	v_add_f32_e32 v70, 0, v80
	s_delay_alu instid0(TRANS32_DEP_3)
	v_cndmask_b32_e64 v86, 0, v77, s6
	v_fma_f32 v77, s19, v101, -v68
	v_mul_f32_e32 v69, 0x3fb8aa3b, v69
	v_fma_f32 v72, s19, v100, -v68
	v_cndmask_b32_e64 v84, 0, v78, s8
	v_fma_f32 v78, s19, v103, -v68
	v_cndmask_b32_e64 v83, 0, v71, s4
	v_fma_f32 v71, s19, v123, -v68
	v_add_f32_e32 v70, v70, v76
	v_exp_f32_e32 v69, v69
	v_mul_f32_e32 v77, 0x3fb8aa3b, v77
	v_mul_f32_e32 v81, 0x3fb8aa3b, v81
	;; [unrolled: 1-line block ×3, first 2 shown]
	v_add_f32_e32 v70, v70, v83
	v_cmp_gt_u32_e64 s3, 16, v67
	v_exp_f32_e32 v77, v77
	v_exp_f32_e32 v81, v81
	;; [unrolled: 1-line block ×3, first 2 shown]
	v_cndmask_b32_e64 v87, 0, v69, s7
	v_add_f32_e32 v70, v70, v85
	s_delay_alu instid0(VALU_DEP_1) | instskip(SKIP_1) | instid1(VALU_DEP_2)
	v_dual_mul_f32 v72, 0x3fb8aa3b, v72 :: v_dual_add_f32 v69, v70, v86
	v_fma_f32 v70, s19, v102, -v68
	v_exp_f32_e32 v72, v72
	s_waitcnt_depctr 0xfff
	v_cndmask_b32_e64 v88, 0, v71, s9
	v_fma_f32 v71, s19, v104, -v68
	v_dual_add_f32 v69, v69, v87 :: v_dual_mul_f32 v70, 0x3fb8aa3b, v70
	s_delay_alu instid0(VALU_DEP_2) | instskip(NEXT) | instid1(VALU_DEP_2)
	v_dual_mul_f32 v78, 0x3fb8aa3b, v78 :: v_dual_mul_f32 v71, 0x3fb8aa3b, v71
	v_add_f32_e32 v69, v69, v84
	s_delay_alu instid0(VALU_DEP_3) | instskip(SKIP_1) | instid1(VALU_DEP_3)
	v_exp_f32_e32 v79, v70
	v_cndmask_b32_e64 v70, 0, v72, s10
	v_exp_f32_e32 v78, v78
	v_exp_f32_e32 v82, v71
	v_add_f32_e32 v72, v69, v88
	v_cndmask_b32_e64 v69, 0, v77, s11
	v_fma_f32 v77, s19, v106, -v68
	s_delay_alu instid0(VALU_DEP_3) | instskip(NEXT) | instid1(TRANS32_DEP_3)
	v_add_f32_e32 v72, v72, v70
	v_cndmask_b32_e64 v71, 0, v79, s12
	s_delay_alu instid0(VALU_DEP_3) | instskip(NEXT) | instid1(VALU_DEP_3)
	v_mul_f32_e32 v77, 0x3fb8aa3b, v77
	v_add_f32_e32 v79, v72, v69
	s_delay_alu instid0(TRANS32_DEP_2) | instskip(NEXT) | instid1(VALU_DEP_3)
	v_cndmask_b32_e64 v72, 0, v78, s13
	v_exp_f32_e32 v90, v77
	v_cndmask_b32_e64 v77, 0, v82, s15
	s_delay_alu instid0(VALU_DEP_3) | instskip(SKIP_1) | instid1(VALU_DEP_1)
	v_add_f32_e32 v78, v79, v71
	v_fma_f32 v79, s19, v107, -v68
	v_dual_add_f32 v82, v78, v72 :: v_dual_mul_f32 v79, 0x3fb8aa3b, v79
	v_cndmask_b32_e64 v78, 0, v81, s16
	s_delay_alu instid0(VALU_DEP_2) | instskip(NEXT) | instid1(VALU_DEP_3)
	v_add_f32_e32 v81, v82, v77
	v_exp_f32_e32 v82, v79
	s_delay_alu instid0(TRANS32_DEP_2) | instskip(NEXT) | instid1(VALU_DEP_2)
	v_cndmask_b32_e64 v79, 0, v90, s17
	v_add_f32_e32 v81, v81, v78
	s_delay_alu instid0(VALU_DEP_1) | instskip(SKIP_2) | instid1(VALU_DEP_1)
	v_add_f32_e32 v90, v81, v79
	s_waitcnt_depctr 0xfff
	v_cndmask_b32_e64 v81, 0, v82, s18
	v_add_f32_e32 v82, v90, v81
	ds_bpermute_b32 v89, v89, v82
	s_and_saveexec_b32 s4, s3
	s_cbranch_execz .LBB1356_12
; %bb.11:
	v_mul_u32_u24_e32 v67, 0x44, v66
	s_delay_alu instid0(VALU_DEP_1) | instskip(SKIP_1) | instid1(VALU_DEP_1)
	v_lshl_add_u32 v67, v65, 2, v67
	s_waitcnt lgkmcnt(0)
	v_dual_add_f32 v82, v82, v89 :: v_dual_add_nc_u32 v67, 0x4000, v67
	ds_store_2addr_b32 v67, v68, v82 offset1:136
.LBB1356_12:
	s_or_b32 exec_lo, exec_lo, s4
	v_lshlrev_b32_e32 v67, 2, v65
	s_waitcnt lgkmcnt(0)
	s_barrier
	buffer_gl0_inv
	v_cmp_eq_u32_e32 vcc_lo, 1, v66
	v_add_nc_u32_e32 v82, 0x4000, v67
	v_cmp_eq_u32_e64 s4, 2, v66
	v_cmp_eq_u32_e64 s6, 7, v66
	ds_load_2addr_b32 v[89:90], v82 offset1:17
	ds_load_2addr_b32 v[91:92], v82 offset0:34 offset1:51
	ds_load_2addr_b32 v[93:94], v82 offset0:68 offset1:85
	;; [unrolled: 1-line block ×4, first 2 shown]
	s_waitcnt lgkmcnt(4)
	v_max3_f32 v67, v89, 0xff7fffff, v90
	s_waitcnt lgkmcnt(3)
	s_delay_alu instid0(VALU_DEP_1) | instskip(SKIP_1) | instid1(VALU_DEP_1)
	v_max3_f32 v67, v67, v91, v92
	s_waitcnt lgkmcnt(2)
	v_max3_f32 v67, v67, v93, v94
	s_waitcnt lgkmcnt(1)
	s_delay_alu instid0(VALU_DEP_1) | instskip(NEXT) | instid1(VALU_DEP_1)
	v_max3_f32 v67, v67, v95, v96
	v_sub_f32_e32 v93, v93, v67
	s_delay_alu instid0(VALU_DEP_1) | instskip(NEXT) | instid1(VALU_DEP_1)
	v_dual_sub_f32 v68, v89, v67 :: v_dual_mul_f32 v103, 0x3fb8aa3b, v93
	v_mul_f32_e32 v68, 0x3fb8aa3b, v68
	s_delay_alu instid0(VALU_DEP_1)
	v_exp_f32_e32 v100, v68
	v_sub_f32_e32 v68, v92, v67
	v_sub_f32_e32 v99, v90, v67
	ds_load_2addr_b32 v[89:90], v82 offset0:170 offset1:187
	v_dual_mul_f32 v102, 0x3fb8aa3b, v68 :: v_dual_mul_f32 v99, 0x3fb8aa3b, v99
	s_waitcnt lgkmcnt(1)
	v_fma_f32 v68, v100, v97, 0
	s_delay_alu instid0(VALU_DEP_2) | instskip(NEXT) | instid1(VALU_DEP_2)
	v_exp_f32_e32 v102, v102
	v_exp_f32_e32 v99, v99
	s_waitcnt_depctr 0xfff
	v_fmac_f32_e32 v68, v99, v98
	v_sub_f32_e32 v91, v91, v67
	s_delay_alu instid0(VALU_DEP_1)
	v_mul_f32_e32 v101, 0x3fb8aa3b, v91
	ds_load_2addr_b32 v[91:92], v82 offset0:204 offset1:221
	v_sub_f32_e32 v97, v94, v67
	ds_load_2addr_b32 v[93:94], v82 offset0:238 offset1:255
	s_waitcnt lgkmcnt(0)
	v_exp_f32_e32 v101, v101
	s_barrier
	buffer_gl0_inv
	v_dual_fmac_f32 v68, v101, v89 :: v_dual_sub_f32 v89, v96, v67
	v_dual_sub_f32 v82, v95, v67 :: v_dual_mul_f32 v95, 0x3fb8aa3b, v97
	v_exp_f32_e32 v97, v103
	s_delay_alu instid0(VALU_DEP_2) | instskip(NEXT) | instid1(VALU_DEP_2)
	v_dual_fmac_f32 v68, v102, v90 :: v_dual_mul_f32 v89, 0x3fb8aa3b, v89
	v_mul_f32_e32 v82, 0x3fb8aa3b, v82
	s_delay_alu instid0(VALU_DEP_3) | instskip(NEXT) | instid1(VALU_DEP_2)
	v_exp_f32_e32 v95, v95
	v_exp_f32_e32 v89, v89
	s_delay_alu instid0(VALU_DEP_1)
	v_exp_f32_e32 v82, v82
	v_fmac_f32_e32 v68, v97, v91
	s_delay_alu instid0(TRANS32_DEP_3) | instid1(VALU_DEP_1)
	v_fmac_f32_e32 v68, v95, v92
	s_waitcnt_depctr 0xfff
	v_fmac_f32_e32 v68, v82, v93
	s_delay_alu instid0(VALU_DEP_1) | instskip(NEXT) | instid1(VALU_DEP_1)
	v_fmac_f32_e32 v68, v89, v94
	v_add_f32_e32 v90, 0x358637bd, v68
	s_delay_alu instid0(VALU_DEP_1) | instskip(NEXT) | instid1(VALU_DEP_1)
	v_div_scale_f32 v91, null, v90, v90, 1.0
	v_rcp_f32_e32 v92, v91
	s_waitcnt_depctr 0xfff
	v_fma_f32 v93, -v91, v92, 1.0
	s_delay_alu instid0(VALU_DEP_1) | instskip(SKIP_1) | instid1(VALU_DEP_2)
	v_dual_fmac_f32 v92, v93, v92 :: v_dual_cndmask_b32 v93, v100, v99
	v_cmp_eq_u32_e32 vcc_lo, 3, v66
	v_cndmask_b32_e64 v93, v93, v101, s4
	v_cmp_eq_u32_e64 s4, 4, v66
	s_delay_alu instid0(VALU_DEP_2) | instskip(SKIP_1) | instid1(VALU_DEP_2)
	v_cndmask_b32_e32 v93, v93, v102, vcc_lo
	v_cmp_eq_u32_e32 vcc_lo, 5, v66
	v_cndmask_b32_e64 v93, v93, v97, s4
	v_cmp_eq_u32_e64 s4, 6, v66
	s_delay_alu instid0(VALU_DEP_2) | instskip(SKIP_1) | instid1(VALU_DEP_1)
	v_cndmask_b32_e32 v93, v93, v95, vcc_lo
	v_div_scale_f32 v94, s5, 1.0, v90, 1.0
	s_mov_b32 vcc_lo, s5
	s_delay_alu instid0(VALU_DEP_2) | instskip(NEXT) | instid1(VALU_DEP_2)
	v_cndmask_b32_e64 v82, v93, v82, s4
	v_mul_f32_e32 v96, v94, v92
	s_mov_b32 s4, exec_lo
	s_delay_alu instid0(VALU_DEP_2) | instskip(NEXT) | instid1(VALU_DEP_2)
	v_cndmask_b32_e64 v82, v82, v89, s6
	v_fma_f32 v98, -v91, v96, v94
	s_delay_alu instid0(VALU_DEP_1) | instskip(NEXT) | instid1(VALU_DEP_1)
	v_fmac_f32_e32 v96, v98, v92
	v_fma_f32 v91, -v91, v96, v94
	s_delay_alu instid0(VALU_DEP_1) | instskip(NEXT) | instid1(VALU_DEP_1)
	v_div_fmas_f32 v91, v91, v92, v96
	v_div_fixup_f32 v90, v91, v90, 1.0
	s_delay_alu instid0(VALU_DEP_1) | instskip(NEXT) | instid1(VALU_DEP_1)
	v_mul_f32_e32 v82, v82, v90
	v_mul_f32_e32 v87, v82, v87
	;; [unrolled: 1-line block ×7, first 2 shown]
	v_dual_mul_f32 v86, v82, v83 :: v_dual_and_b32 v91, 0x7f800000, v90
	v_mul_f32_e32 v85, v82, v76
                                        ; implicit-def: $vgpr76
	s_delay_alu instid0(VALU_DEP_2)
	v_cmpx_ne_u32_e32 0x7f800000, v91
	s_xor_b32 s4, exec_lo, s4
; %bb.13:
	v_bfe_u32 v76, v90, 16, 1
	s_delay_alu instid0(VALU_DEP_1)
	v_add3_u32 v76, v90, v76, 0x7fff
                                        ; implicit-def: $vgpr90
; %bb.14:
	s_and_not1_saveexec_b32 s4, s4
; %bb.15:
	v_and_b32_e32 v76, 0xffff, v90
	v_or_b32_e32 v83, 0x10000, v90
	s_delay_alu instid0(VALU_DEP_2) | instskip(NEXT) | instid1(VALU_DEP_2)
	v_cmp_eq_u32_e32 vcc_lo, 0, v76
	v_cndmask_b32_e32 v76, v83, v90, vcc_lo
; %bb.16:
	s_or_b32 exec_lo, exec_lo, s4
	v_and_b32_e32 v83, 0x7f800000, v85
	s_delay_alu instid0(VALU_DEP_1) | instskip(SKIP_1) | instid1(SALU_CYCLE_1)
	v_cmp_ne_u32_e32 vcc_lo, 0x7f800000, v83
                                        ; implicit-def: $vgpr83
	s_and_saveexec_b32 s4, vcc_lo
	s_xor_b32 s4, exec_lo, s4
; %bb.17:
	v_bfe_u32 v83, v85, 16, 1
	s_delay_alu instid0(VALU_DEP_1)
	v_add3_u32 v83, v85, v83, 0x7fff
                                        ; implicit-def: $vgpr85
; %bb.18:
	s_and_not1_saveexec_b32 s4, s4
; %bb.19:
	v_and_b32_e32 v83, 0xffff, v85
	v_or_b32_e32 v90, 0x10000, v85
	s_delay_alu instid0(VALU_DEP_2) | instskip(NEXT) | instid1(VALU_DEP_2)
	v_cmp_eq_u32_e32 vcc_lo, 0, v83
	v_cndmask_b32_e32 v83, v90, v85, vcc_lo
; %bb.20:
	s_or_b32 exec_lo, exec_lo, s4
	v_and_b32_e32 v85, 0x7f800000, v86
	s_delay_alu instid0(VALU_DEP_1) | instskip(SKIP_1) | instid1(SALU_CYCLE_1)
	v_cmp_ne_u32_e32 vcc_lo, 0x7f800000, v85
                                        ; implicit-def: $vgpr85
	s_and_saveexec_b32 s4, vcc_lo
	s_xor_b32 s4, exec_lo, s4
; %bb.21:
	v_bfe_u32 v85, v86, 16, 1
	s_delay_alu instid0(VALU_DEP_1)
	v_add3_u32 v85, v86, v85, 0x7fff
                                        ; implicit-def: $vgpr86
; %bb.22:
	s_and_not1_saveexec_b32 s4, s4
; %bb.23:
	v_and_b32_e32 v85, 0xffff, v86
	v_or_b32_e32 v90, 0x10000, v86
	s_delay_alu instid0(VALU_DEP_2) | instskip(NEXT) | instid1(VALU_DEP_2)
	v_cmp_eq_u32_e32 vcc_lo, 0, v85
	v_cndmask_b32_e32 v85, v90, v86, vcc_lo
; %bb.24:
	s_or_b32 exec_lo, exec_lo, s4
	v_and_b32_e32 v86, 0x7f800000, v89
	s_delay_alu instid0(VALU_DEP_1) | instskip(SKIP_1) | instid1(SALU_CYCLE_1)
	v_cmp_ne_u32_e32 vcc_lo, 0x7f800000, v86
                                        ; implicit-def: $vgpr86
	s_and_saveexec_b32 s4, vcc_lo
	s_xor_b32 s4, exec_lo, s4
; %bb.25:
	v_bfe_u32 v86, v89, 16, 1
	s_delay_alu instid0(VALU_DEP_1)
	v_add3_u32 v86, v89, v86, 0x7fff
                                        ; implicit-def: $vgpr89
; %bb.26:
	s_and_not1_saveexec_b32 s4, s4
; %bb.27:
	v_and_b32_e32 v86, 0xffff, v89
	v_or_b32_e32 v90, 0x10000, v89
	s_delay_alu instid0(VALU_DEP_2) | instskip(NEXT) | instid1(VALU_DEP_2)
	v_cmp_eq_u32_e32 vcc_lo, 0, v86
	v_cndmask_b32_e32 v86, v90, v89, vcc_lo
; %bb.28:
	s_or_b32 exec_lo, exec_lo, s4
	v_and_b32_e32 v89, 0x7f800000, v88
	s_delay_alu instid0(VALU_DEP_1) | instskip(SKIP_1) | instid1(SALU_CYCLE_1)
	v_cmp_ne_u32_e32 vcc_lo, 0x7f800000, v89
                                        ; implicit-def: $vgpr89
	s_and_saveexec_b32 s4, vcc_lo
	s_xor_b32 s4, exec_lo, s4
; %bb.29:
	v_bfe_u32 v89, v88, 16, 1
	s_delay_alu instid0(VALU_DEP_1)
	v_add3_u32 v89, v88, v89, 0x7fff
                                        ; implicit-def: $vgpr88
; %bb.30:
	s_and_not1_saveexec_b32 s4, s4
; %bb.31:
	v_and_b32_e32 v89, 0xffff, v88
	v_or_b32_e32 v90, 0x10000, v88
	s_delay_alu instid0(VALU_DEP_2) | instskip(NEXT) | instid1(VALU_DEP_2)
	v_cmp_eq_u32_e32 vcc_lo, 0, v89
	v_cndmask_b32_e32 v89, v90, v88, vcc_lo
; %bb.32:
	s_or_b32 exec_lo, exec_lo, s4
	v_and_b32_e32 v88, 0x7f800000, v87
	s_delay_alu instid0(VALU_DEP_1) | instskip(SKIP_1) | instid1(SALU_CYCLE_1)
	v_cmp_ne_u32_e32 vcc_lo, 0x7f800000, v88
                                        ; implicit-def: $vgpr88
	s_and_saveexec_b32 s4, vcc_lo
	s_xor_b32 s4, exec_lo, s4
; %bb.33:
	v_bfe_u32 v88, v87, 16, 1
	s_delay_alu instid0(VALU_DEP_1)
	v_add3_u32 v88, v87, v88, 0x7fff
                                        ; implicit-def: $vgpr87
; %bb.34:
	s_and_not1_saveexec_b32 s4, s4
; %bb.35:
	v_and_b32_e32 v88, 0xffff, v87
	v_or_b32_e32 v90, 0x10000, v87
	s_delay_alu instid0(VALU_DEP_2) | instskip(NEXT) | instid1(VALU_DEP_2)
	v_cmp_eq_u32_e32 vcc_lo, 0, v88
	v_cndmask_b32_e32 v88, v90, v87, vcc_lo
; %bb.36:
	s_or_b32 exec_lo, exec_lo, s4
	v_and_b32_e32 v87, 0x7f800000, v84
	s_delay_alu instid0(VALU_DEP_1) | instskip(SKIP_1) | instid1(SALU_CYCLE_1)
	v_cmp_ne_u32_e32 vcc_lo, 0x7f800000, v87
                                        ; implicit-def: $vgpr87
	s_and_saveexec_b32 s4, vcc_lo
	s_xor_b32 s4, exec_lo, s4
; %bb.37:
	v_bfe_u32 v87, v84, 16, 1
	s_delay_alu instid0(VALU_DEP_1)
	v_add3_u32 v87, v84, v87, 0x7fff
                                        ; implicit-def: $vgpr84
; %bb.38:
	s_and_not1_saveexec_b32 s4, s4
; %bb.39:
	v_and_b32_e32 v87, 0xffff, v84
	v_or_b32_e32 v90, 0x10000, v84
	s_delay_alu instid0(VALU_DEP_2) | instskip(NEXT) | instid1(VALU_DEP_2)
	v_cmp_eq_u32_e32 vcc_lo, 0, v87
	v_cndmask_b32_e32 v87, v90, v84, vcc_lo
; %bb.40:
	s_or_b32 exec_lo, exec_lo, s4
	v_and_b32_e32 v84, 0x7f800000, v80
	s_delay_alu instid0(VALU_DEP_1) | instskip(SKIP_1) | instid1(SALU_CYCLE_1)
	v_cmp_ne_u32_e32 vcc_lo, 0x7f800000, v84
                                        ; implicit-def: $vgpr84
	s_and_saveexec_b32 s4, vcc_lo
	s_xor_b32 s4, exec_lo, s4
; %bb.41:
	v_bfe_u32 v84, v80, 16, 1
	s_delay_alu instid0(VALU_DEP_1)
	v_add3_u32 v84, v80, v84, 0x7fff
                                        ; implicit-def: $vgpr80
; %bb.42:
	s_and_not1_saveexec_b32 s4, s4
; %bb.43:
	v_and_b32_e32 v84, 0xffff, v80
	v_or_b32_e32 v90, 0x10000, v80
	s_delay_alu instid0(VALU_DEP_2) | instskip(NEXT) | instid1(VALU_DEP_2)
	v_cmp_eq_u32_e32 vcc_lo, 0, v84
	v_cndmask_b32_e32 v84, v90, v80, vcc_lo
; %bb.44:
	s_or_b32 exec_lo, exec_lo, s4
	s_load_b64 s[36:37], s[0:1], 0x94
	v_lshlrev_b32_e32 v91, 4, v74
	s_delay_alu instid0(VALU_DEP_2)
	v_perm_b32 v90, v84, v87, 0x7060302
	v_dual_mul_f32 v79, v82, v79 :: v_dual_lshlrev_b32 v80, 6, v65
	v_dual_mul_f32 v77, v82, v77 :: v_dual_lshlrev_b32 v92, 11, v66
	v_mul_f32_e32 v84, v82, v70
	v_perm_b32 v89, v88, v89, 0x7060302
	v_perm_b32 v88, v86, v85, 0x7060302
	;; [unrolled: 1-line block ×3, first 2 shown]
	v_mul_f32_e32 v70, v82, v81
	v_or3_b32 v76, v91, v92, v80
	v_dual_mul_f32 v78, v82, v78 :: v_dual_and_b32 v85, 0x7f800000, v84
	v_mul_f32_e32 v83, v82, v72
	v_mul_f32_e32 v81, v82, v71
	;; [unrolled: 1-line block ×3, first 2 shown]
	s_mov_b32 s4, exec_lo
	ds_store_b128 v76, v[87:90]
                                        ; implicit-def: $vgpr69
	v_cmpx_ne_u32_e32 0x7f800000, v85
	s_xor_b32 s4, exec_lo, s4
; %bb.45:
	v_bfe_u32 v69, v84, 16, 1
	s_delay_alu instid0(VALU_DEP_1)
	v_add3_u32 v69, v84, v69, 0x7fff
                                        ; implicit-def: $vgpr84
; %bb.46:
	s_and_not1_saveexec_b32 s4, s4
; %bb.47:
	v_and_b32_e32 v69, 0xffff, v84
	v_or_b32_e32 v71, 0x10000, v84
	s_delay_alu instid0(VALU_DEP_2) | instskip(NEXT) | instid1(VALU_DEP_2)
	v_cmp_eq_u32_e32 vcc_lo, 0, v69
	v_cndmask_b32_e32 v69, v71, v84, vcc_lo
; %bb.48:
	s_or_b32 exec_lo, exec_lo, s4
	v_and_b32_e32 v71, 0x7f800000, v72
	s_delay_alu instid0(VALU_DEP_1) | instskip(SKIP_1) | instid1(SALU_CYCLE_1)
	v_cmp_ne_u32_e32 vcc_lo, 0x7f800000, v71
                                        ; implicit-def: $vgpr71
	s_and_saveexec_b32 s4, vcc_lo
	s_xor_b32 s4, exec_lo, s4
; %bb.49:
	v_bfe_u32 v71, v72, 16, 1
	s_delay_alu instid0(VALU_DEP_1)
	v_add3_u32 v71, v72, v71, 0x7fff
                                        ; implicit-def: $vgpr72
; %bb.50:
	s_and_not1_saveexec_b32 s4, s4
; %bb.51:
	v_and_b32_e32 v71, 0xffff, v72
	v_or_b32_e32 v82, 0x10000, v72
	s_delay_alu instid0(VALU_DEP_2) | instskip(NEXT) | instid1(VALU_DEP_2)
	v_cmp_eq_u32_e32 vcc_lo, 0, v71
	v_cndmask_b32_e32 v71, v82, v72, vcc_lo
; %bb.52:
	s_or_b32 exec_lo, exec_lo, s4
	v_and_b32_e32 v72, 0x7f800000, v81
	s_delay_alu instid0(VALU_DEP_1) | instskip(SKIP_1) | instid1(SALU_CYCLE_1)
	v_cmp_ne_u32_e32 vcc_lo, 0x7f800000, v72
                                        ; implicit-def: $vgpr72
	s_and_saveexec_b32 s4, vcc_lo
	s_xor_b32 s4, exec_lo, s4
; %bb.53:
	v_bfe_u32 v72, v81, 16, 1
	s_delay_alu instid0(VALU_DEP_1)
	v_add3_u32 v72, v81, v72, 0x7fff
                                        ; implicit-def: $vgpr81
; %bb.54:
	s_and_not1_saveexec_b32 s4, s4
; %bb.55:
	v_and_b32_e32 v72, 0xffff, v81
	v_or_b32_e32 v82, 0x10000, v81
	s_delay_alu instid0(VALU_DEP_2) | instskip(NEXT) | instid1(VALU_DEP_2)
	v_cmp_eq_u32_e32 vcc_lo, 0, v72
	v_cndmask_b32_e32 v72, v82, v81, vcc_lo
; %bb.56:
	s_or_b32 exec_lo, exec_lo, s4
	v_and_b32_e32 v81, 0x7f800000, v83
	s_delay_alu instid0(VALU_DEP_1) | instskip(SKIP_1) | instid1(SALU_CYCLE_1)
	v_cmp_ne_u32_e32 vcc_lo, 0x7f800000, v81
                                        ; implicit-def: $vgpr81
	s_and_saveexec_b32 s4, vcc_lo
	s_xor_b32 s4, exec_lo, s4
; %bb.57:
	v_bfe_u32 v81, v83, 16, 1
	s_delay_alu instid0(VALU_DEP_1)
	v_add3_u32 v81, v83, v81, 0x7fff
                                        ; implicit-def: $vgpr83
; %bb.58:
	s_and_not1_saveexec_b32 s4, s4
; %bb.59:
	v_and_b32_e32 v81, 0xffff, v83
	v_or_b32_e32 v82, 0x10000, v83
	s_delay_alu instid0(VALU_DEP_2) | instskip(NEXT) | instid1(VALU_DEP_2)
	v_cmp_eq_u32_e32 vcc_lo, 0, v81
	v_cndmask_b32_e32 v81, v82, v83, vcc_lo
; %bb.60:
	s_or_b32 exec_lo, exec_lo, s4
	v_and_b32_e32 v82, 0x7f800000, v77
	s_delay_alu instid0(VALU_DEP_1) | instskip(SKIP_1) | instid1(SALU_CYCLE_1)
	v_cmp_ne_u32_e32 vcc_lo, 0x7f800000, v82
                                        ; implicit-def: $vgpr82
	s_and_saveexec_b32 s4, vcc_lo
	s_xor_b32 s4, exec_lo, s4
; %bb.61:
	v_bfe_u32 v82, v77, 16, 1
	s_delay_alu instid0(VALU_DEP_1)
	v_add3_u32 v82, v77, v82, 0x7fff
                                        ; implicit-def: $vgpr77
; %bb.62:
	s_and_not1_saveexec_b32 s4, s4
; %bb.63:
	v_and_b32_e32 v82, 0xffff, v77
	v_or_b32_e32 v83, 0x10000, v77
	s_delay_alu instid0(VALU_DEP_2) | instskip(NEXT) | instid1(VALU_DEP_2)
	v_cmp_eq_u32_e32 vcc_lo, 0, v82
	v_cndmask_b32_e32 v82, v83, v77, vcc_lo
; %bb.64:
	s_or_b32 exec_lo, exec_lo, s4
	v_and_b32_e32 v77, 0x7f800000, v78
	s_delay_alu instid0(VALU_DEP_1) | instskip(SKIP_1) | instid1(SALU_CYCLE_1)
	v_cmp_ne_u32_e32 vcc_lo, 0x7f800000, v77
                                        ; implicit-def: $vgpr77
	s_and_saveexec_b32 s4, vcc_lo
	s_xor_b32 s4, exec_lo, s4
; %bb.65:
	v_bfe_u32 v77, v78, 16, 1
	s_delay_alu instid0(VALU_DEP_1)
	v_add3_u32 v77, v78, v77, 0x7fff
                                        ; implicit-def: $vgpr78
; %bb.66:
	s_and_not1_saveexec_b32 s4, s4
; %bb.67:
	v_and_b32_e32 v77, 0xffff, v78
	v_or_b32_e32 v83, 0x10000, v78
	s_delay_alu instid0(VALU_DEP_2) | instskip(NEXT) | instid1(VALU_DEP_2)
	v_cmp_eq_u32_e32 vcc_lo, 0, v77
	v_cndmask_b32_e32 v77, v83, v78, vcc_lo
; %bb.68:
	s_or_b32 exec_lo, exec_lo, s4
	v_and_b32_e32 v78, 0x7f800000, v79
	s_delay_alu instid0(VALU_DEP_1) | instskip(SKIP_1) | instid1(SALU_CYCLE_1)
	v_cmp_ne_u32_e32 vcc_lo, 0x7f800000, v78
                                        ; implicit-def: $vgpr78
	s_and_saveexec_b32 s4, vcc_lo
	s_xor_b32 s4, exec_lo, s4
; %bb.69:
	v_bfe_u32 v78, v79, 16, 1
	s_delay_alu instid0(VALU_DEP_1)
	v_add3_u32 v78, v79, v78, 0x7fff
                                        ; implicit-def: $vgpr79
; %bb.70:
	s_and_not1_saveexec_b32 s4, s4
; %bb.71:
	v_and_b32_e32 v78, 0xffff, v79
	v_or_b32_e32 v83, 0x10000, v79
	s_delay_alu instid0(VALU_DEP_2) | instskip(NEXT) | instid1(VALU_DEP_2)
	v_cmp_eq_u32_e32 vcc_lo, 0, v78
	v_cndmask_b32_e32 v78, v83, v79, vcc_lo
; %bb.72:
	s_or_b32 exec_lo, exec_lo, s4
	v_and_b32_e32 v79, 0x7f800000, v70
	s_delay_alu instid0(VALU_DEP_1) | instskip(SKIP_1) | instid1(SALU_CYCLE_1)
	v_cmp_ne_u32_e32 vcc_lo, 0x7f800000, v79
                                        ; implicit-def: $vgpr79
	s_and_saveexec_b32 s4, vcc_lo
	s_xor_b32 s4, exec_lo, s4
; %bb.73:
	v_bfe_u32 v79, v70, 16, 1
	s_delay_alu instid0(VALU_DEP_1)
	v_add3_u32 v79, v70, v79, 0x7fff
                                        ; implicit-def: $vgpr70
; %bb.74:
	s_and_not1_saveexec_b32 s4, s4
; %bb.75:
	v_and_b32_e32 v79, 0xffff, v70
	v_or_b32_e32 v83, 0x10000, v70
	s_delay_alu instid0(VALU_DEP_2) | instskip(NEXT) | instid1(VALU_DEP_2)
	v_cmp_eq_u32_e32 vcc_lo, 0, v79
	v_cndmask_b32_e32 v79, v83, v70, vcc_lo
; %bb.76:
	s_or_b32 exec_lo, exec_lo, s4
	s_delay_alu instid0(VALU_DEP_1)
	v_perm_b32 v86, v79, v78, 0x7060302
	v_perm_b32 v85, v77, v82, 0x7060302
	;; [unrolled: 1-line block ×4, first 2 shown]
	v_lshl_or_b32 v82, v66, 11, v80
	ds_store_b128 v76, v[83:86] offset:1024
	s_waitcnt lgkmcnt(0)
	s_barrier
	buffer_gl0_inv
	ds_load_b128 v[69:72], v82
	ds_load_b128 v[83:86], v82 offset:16
	s_waitcnt lgkmcnt(1)
	v_lshrrev_b32_e32 v66, 16, v69
	s_waitcnt lgkmcnt(0)
	v_lshrrev_b32_e32 v91, 16, v83
	v_lshlrev_b32_e32 v78, 2, v74
	v_lshrrev_b32_e32 v95, 16, v70
	v_lshrrev_b32_e32 v98, 16, v84
	;; [unrolled: 1-line block ×4, first 2 shown]
	v_cmp_eq_u32_e32 vcc_lo, 1, v78
	v_lshrrev_b32_e32 v97, 16, v72
	v_lshrrev_b32_e32 v100, 16, v86
	v_cndmask_b32_e32 v87, v83, v91, vcc_lo
	v_or_b32_e32 v79, 1, v78
	v_cndmask_b32_e32 v81, v69, v66, vcc_lo
	v_cmp_eq_u32_e64 s5, 2, v78
	v_cmp_eq_u32_e64 s8, 3, v78
	;; [unrolled: 1-line block ×5, first 2 shown]
	v_cndmask_b32_e64 v81, v81, v70, s5
	v_cndmask_b32_e64 v87, v87, v84, s5
	v_cmp_eq_u32_e64 s9, 3, v79
	v_cndmask_b32_e64 v88, v69, v66, s4
	v_or_b32_e32 v77, 2, v78
	v_cndmask_b32_e64 v81, v81, v95, s8
	v_cndmask_b32_e64 v87, v87, v98, s8
	;; [unrolled: 1-line block ×4, first 2 shown]
	v_cmp_eq_u32_e64 s11, 5, v78
	v_cndmask_b32_e64 v81, v81, v71, s10
	v_cndmask_b32_e64 v87, v87, v85, s10
	v_cmp_eq_u32_e64 s12, 4, v79
	v_cndmask_b32_e64 v88, v88, v95, s9
	v_cmp_eq_u32_e64 s6, 1, v77
	v_cndmask_b32_e64 v89, v89, v84, s7
	v_cndmask_b32_e64 v81, v81, v96, s11
	v_cmp_eq_u32_e64 s13, 6, v78
	v_cndmask_b32_e64 v88, v88, v71, s12
	;; [unrolled: 3-line block ×3, first 2 shown]
	v_cndmask_b32_e64 v89, v89, v98, s9
	v_cndmask_b32_e64 v81, v81, v72, s13
	v_cmp_eq_u32_e64 s16, 7, v78
	v_cndmask_b32_e64 v88, v88, v96, s15
	v_cndmask_b32_e64 v87, v87, v86, s13
	v_cmp_eq_u32_e64 s17, 6, v79
	v_cmp_eq_u32_e64 s18, 2, v77
	v_cndmask_b32_e64 v89, v89, v85, s12
	v_cndmask_b32_e64 v101, v81, v97, s16
	;; [unrolled: 1-line block ×6, first 2 shown]
	v_cmp_eq_u32_e64 s19, 7, v79
	v_cmp_eq_u32_e64 s20, 3, v77
	;; [unrolled: 1-line block ×4, first 2 shown]
	v_cndmask_b32_e64 v87, v87, v84, s18
	v_cndmask_b32_e64 v103, v88, v97, s19
	;; [unrolled: 1-line block ×4, first 2 shown]
	v_or_b32_e32 v81, 3, v78
	v_cndmask_b32_e64 v93, v87, v98, s20
	v_cmp_eq_u32_e64 s25, 6, v77
	v_cndmask_b32_e64 v104, v88, v86, s17
	v_cndmask_b32_e64 v92, v89, v71, s21
	v_cmp_eq_u32_e64 s22, 1, v81
	ds_load_b128 v[87:90], v82 offset:1024
	v_cmp_eq_u32_e64 s24, 2, v81
	v_cmp_eq_u32_e64 s26, 3, v81
	v_cndmask_b32_e64 v105, v92, v96, s23
	v_cndmask_b32_e64 v66, v69, v66, s22
	;; [unrolled: 1-line block ×4, first 2 shown]
	ds_load_b128 v[91:94], v82 offset:1040
	v_cmp_eq_u32_e64 s27, 4, v81
	v_cndmask_b32_e64 v66, v66, v70, s24
	v_cmp_eq_u32_e64 s28, 7, v77
	v_cndmask_b32_e64 v70, v83, v84, s24
	v_cndmask_b32_e64 v84, v105, v72, s25
	v_cmp_eq_u32_e64 s29, 5, v81
	v_cndmask_b32_e64 v66, v66, v95, s26
	v_cmp_eq_u32_e64 s30, 6, v81
	v_cndmask_b32_e64 v70, v70, v98, s26
	v_cndmask_b32_e64 v69, v69, v99, s23
	;; [unrolled: 1-line block ×4, first 2 shown]
	s_waitcnt lgkmcnt(1)
	v_lshrrev_b32_e32 v95, 16, v87
	v_cndmask_b32_e64 v70, v70, v85, s27
	v_cndmask_b32_e64 v71, v84, v97, s28
	;; [unrolled: 1-line block ×4, first 2 shown]
	v_cndmask_b32_e32 v84, v87, v95, vcc_lo
	v_cndmask_b32_e64 v70, v70, v99, s29
	s_waitcnt lgkmcnt(0)
	v_lshrrev_b32_e32 v85, 16, v91
	v_lshrrev_b32_e32 v96, 16, v88
	v_cndmask_b32_e64 v98, v87, v95, s4
	v_cndmask_b32_e64 v84, v84, v88, s5
	;; [unrolled: 1-line block ×3, first 2 shown]
	v_cndmask_b32_e32 v99, v91, v85, vcc_lo
	v_cmp_eq_u32_e32 vcc_lo, 7, v81
	v_cndmask_b32_e64 v66, v66, v72, s30
	v_cndmask_b32_e64 v72, v84, v96, s8
	;; [unrolled: 1-line block ×3, first 2 shown]
	v_lshrrev_b32_e32 v98, 16, v92
	v_cndmask_b32_e32 v70, v70, v100, vcc_lo
	v_cndmask_b32_e64 v86, v99, v92, s5
	v_cndmask_b32_e64 v69, v69, v100, s28
	v_lshrrev_b32_e32 v100, 16, v93
	v_cndmask_b32_e64 v72, v72, v89, s10
	v_lshrrev_b32_e32 v99, 16, v89
	v_cndmask_b32_e64 v86, v86, v98, s8
	v_perm_b32 v71, v69, v71, 0x5040100
	v_cndmask_b32_e64 v84, v84, v96, s9
	s_delay_alu instid0(VALU_DEP_3) | instskip(NEXT) | instid1(VALU_DEP_2)
	v_cndmask_b32_e64 v86, v86, v93, s10
	v_cndmask_b32_e64 v84, v84, v89, s12
	s_delay_alu instid0(VALU_DEP_2) | instskip(NEXT) | instid1(VALU_DEP_1)
	v_cndmask_b32_e64 v86, v86, v100, s11
	v_cndmask_b32_e64 v69, v86, v94, s13
	;; [unrolled: 1-line block ×5, first 2 shown]
	s_delay_alu instid0(VALU_DEP_3) | instskip(NEXT) | instid1(VALU_DEP_3)
	v_cndmask_b32_e64 v86, v86, v88, s18
	v_cndmask_b32_e64 v87, v87, v88, s24
	s_delay_alu instid0(VALU_DEP_3) | instskip(NEXT) | instid1(VALU_DEP_3)
	v_cndmask_b32_e64 v88, v95, v92, s24
	v_cndmask_b32_e64 v86, v86, v96, s20
	;; [unrolled: 3-line block ×7, first 2 shown]
	s_delay_alu instid0(VALU_DEP_3) | instskip(SKIP_2) | instid1(VALU_DEP_2)
	v_cndmask_b32_e64 v88, v88, v94, s30
	v_cndmask_b32_e32 v66, v66, v97, vcc_lo
	v_cndmask_b32_e64 v97, v72, v99, s11
	v_perm_b32 v72, v70, v66, 0x5040100
	v_perm_b32 v70, v83, v103, 0x5040100
	v_cndmask_b32_e64 v103, v91, v85, s6
	v_cndmask_b32_e64 v85, v91, v85, s4
	;; [unrolled: 1-line block ×4, first 2 shown]
	v_lshrrev_b32_e32 v97, 16, v90
	v_cndmask_b32_e64 v91, v103, v92, s18
	v_cndmask_b32_e64 v85, v85, v92, s7
	v_cndmask_b32_e64 v66, v66, v90, s17
	s_mov_b32 s4, exec_lo
	v_cndmask_b32_e64 v83, v84, v97, s16
	v_cndmask_b32_e64 v91, v91, v98, s20
	;; [unrolled: 1-line block ×3, first 2 shown]
	v_lshrrev_b32_e32 v84, 16, v94
	v_cndmask_b32_e64 v66, v66, v97, s19
	v_cndmask_b32_e64 v90, v86, v97, s28
	;; [unrolled: 1-line block ×4, first 2 shown]
	v_dual_cndmask_b32 v86, v87, v97 :: v_dual_cndmask_b32 v87, v88, v84
	v_cndmask_b32_e64 v91, v69, v84, s16
	s_delay_alu instid0(VALU_DEP_4) | instskip(NEXT) | instid1(VALU_DEP_4)
	v_cndmask_b32_e64 v89, v89, v100, s23
	v_cndmask_b32_e64 v85, v85, v100, s15
	v_perm_b32 v69, v102, v101, 0x5040100
	v_perm_b32 v86, v87, v86, 0x5040100
	;; [unrolled: 1-line block ×3, first 2 shown]
	v_cndmask_b32_e64 v89, v89, v94, s25
	v_cndmask_b32_e64 v85, v85, v94, s17
	s_mul_i32 s9, s37, 11
	s_delay_alu instid0(VALU_DEP_2) | instskip(NEXT) | instid1(VALU_DEP_2)
	v_cndmask_b32_e64 v88, v89, v84, s28
	v_cndmask_b32_e64 v89, v85, v84, s19
	s_delay_alu instid0(VALU_DEP_2) | instskip(NEXT) | instid1(VALU_DEP_2)
	v_perm_b32 v85, v88, v90, 0x5040100
	v_perm_b32 v84, v89, v66, 0x5040100
	ds_store_b128 v76, v[69:72]
	ds_store_b128 v76, v[83:86] offset:1024
	v_cmpx_gt_u32_e32 11, v0
	s_cbranch_execz .LBB1356_78
; %bb.77:
	s_mul_i32 s5, s9, s34
	s_load_b128 s[16:19], s[0:1], 0x58
	v_add3_u32 v69, s5, s31, v65
	s_delay_alu instid0(VALU_DEP_1) | instskip(NEXT) | instid1(VALU_DEP_1)
	v_mad_u64_u32 v[65:66], null, v69, s36, s[14:15]
	v_ashrrev_i32_e32 v66, 31, v65
	s_delay_alu instid0(VALU_DEP_1) | instskip(SKIP_1) | instid1(VALU_DEP_1)
	v_lshlrev_b64 v[65:66], 2, v[65:66]
	s_waitcnt lgkmcnt(0)
	v_add_co_u32 v69, vcc_lo, s18, v65
	s_delay_alu instid0(VALU_DEP_2)
	v_add_co_ci_u32_e32 v70, vcc_lo, s19, v66, vcc_lo
	v_add_co_u32 v65, vcc_lo, s16, v65
	v_add_co_ci_u32_e32 v66, vcc_lo, s17, v66, vcc_lo
	global_store_b32 v[69:70], v67, off
	global_store_b32 v[65:66], v68, off
.LBB1356_78:
	s_or_b32 exec_lo, exec_lo, s4
	s_waitcnt lgkmcnt(0)
	s_waitcnt_vscnt null, 0x0
	s_barrier
	buffer_gl0_inv
	ds_load_b128 v[83:86], v80
	ds_load_b128 v[87:90], v80 offset:16
	ds_load_b128 v[95:98], v80 offset:2064
	;; [unrolled: 1-line block ×3, first 2 shown]
	v_mov_b32_e32 v65, 0
	ds_load_b128 v[103:106], v80 offset:4112
	ds_load_b128 v[99:102], v80 offset:4096
	;; [unrolled: 1-line block ×4, first 2 shown]
	v_mov_b32_e32 v66, v65
	v_mov_b32_e32 v67, v65
	;; [unrolled: 1-line block ×7, first 2 shown]
	s_waitcnt lgkmcnt(6)
	s_delay_alu instid0(VALU_DEP_1)
	v_wmma_f32_16x16x16_bf16 v[65:72], v[57:64], v[83:90], v[65:72]
	ds_load_b128 v[61:64], v80 offset:8208
	ds_load_b128 v[57:60], v80 offset:8192
	s_waitcnt lgkmcnt(6)
	v_wmma_f32_16x16x16_bf16 v[65:72], v[41:48], v[91:98], v[65:72]
	ds_load_b128 v[45:48], v80 offset:10256
	ds_load_b128 v[41:44], v80 offset:10240
	s_waitcnt lgkmcnt(6)
	;; [unrolled: 4-line block ×4, first 2 shown]
	v_wmma_f32_16x16x16_bf16 v[65:72], v[1:8], v[57:64], v[65:72]
	s_waitcnt lgkmcnt(4)
	s_delay_alu instid0(VALU_DEP_1) | instskip(SKIP_1) | instid1(VALU_DEP_1)
	v_wmma_f32_16x16x16_bf16 v[65:72], v[9:16], v[41:48], v[65:72]
	s_waitcnt lgkmcnt(2)
	v_wmma_f32_16x16x16_bf16 v[65:72], v[17:24], v[33:40], v[65:72]
	s_waitcnt lgkmcnt(0)
	s_delay_alu instid0(VALU_DEP_1) | instskip(NEXT) | instid1(VALU_DEP_1)
	v_wmma_f32_16x16x16_bf16 v[65:72], v[49:56], v[25:32], v[65:72]
	v_and_b32_e32 v1, 0x7f800000, v65
	s_delay_alu instid0(VALU_DEP_1) | instskip(SKIP_1) | instid1(SALU_CYCLE_1)
	v_cmp_ne_u32_e32 vcc_lo, 0x7f800000, v1
                                        ; implicit-def: $vgpr1
	s_and_saveexec_b32 s4, vcc_lo
	s_xor_b32 s4, exec_lo, s4
; %bb.79:
	v_bfe_u32 v1, v65, 16, 1
	s_delay_alu instid0(VALU_DEP_1)
	v_add3_u32 v1, v65, v1, 0x7fff
; %bb.80:
	s_and_not1_saveexec_b32 s4, s4
; %bb.81:
	v_and_b32_e32 v1, 0xffff, v65
	v_or_b32_e32 v2, 0x10000, v65
	s_delay_alu instid0(VALU_DEP_2) | instskip(NEXT) | instid1(VALU_DEP_2)
	v_cmp_eq_u32_e32 vcc_lo, 0, v1
	v_cndmask_b32_e32 v1, v2, v65, vcc_lo
; %bb.82:
	s_or_b32 exec_lo, exec_lo, s4
	v_and_b32_e32 v2, 0x7f800000, v66
	s_delay_alu instid0(VALU_DEP_1) | instskip(SKIP_1) | instid1(SALU_CYCLE_1)
	v_cmp_ne_u32_e32 vcc_lo, 0x7f800000, v2
                                        ; implicit-def: $vgpr2
	s_and_saveexec_b32 s4, vcc_lo
	s_xor_b32 s4, exec_lo, s4
; %bb.83:
	v_bfe_u32 v2, v66, 16, 1
	s_delay_alu instid0(VALU_DEP_1)
	v_add3_u32 v2, v66, v2, 0x7fff
; %bb.84:
	s_and_not1_saveexec_b32 s4, s4
; %bb.85:
	v_and_b32_e32 v2, 0xffff, v66
	v_or_b32_e32 v3, 0x10000, v66
	s_delay_alu instid0(VALU_DEP_2) | instskip(NEXT) | instid1(VALU_DEP_2)
	v_cmp_eq_u32_e32 vcc_lo, 0, v2
	v_cndmask_b32_e32 v2, v3, v66, vcc_lo
; %bb.86:
	s_or_b32 exec_lo, exec_lo, s4
	v_and_b32_e32 v3, 0x7f800000, v67
	s_delay_alu instid0(VALU_DEP_1) | instskip(SKIP_1) | instid1(SALU_CYCLE_1)
	v_cmp_ne_u32_e32 vcc_lo, 0x7f800000, v3
                                        ; implicit-def: $vgpr3
	s_and_saveexec_b32 s4, vcc_lo
	s_xor_b32 s4, exec_lo, s4
; %bb.87:
	v_bfe_u32 v3, v67, 16, 1
	s_delay_alu instid0(VALU_DEP_1)
	v_add3_u32 v3, v67, v3, 0x7fff
; %bb.88:
	s_and_not1_saveexec_b32 s4, s4
; %bb.89:
	v_and_b32_e32 v3, 0xffff, v67
	v_or_b32_e32 v4, 0x10000, v67
	s_delay_alu instid0(VALU_DEP_2) | instskip(NEXT) | instid1(VALU_DEP_2)
	v_cmp_eq_u32_e32 vcc_lo, 0, v3
	v_cndmask_b32_e32 v3, v4, v67, vcc_lo
; %bb.90:
	s_or_b32 exec_lo, exec_lo, s4
	v_and_b32_e32 v4, 0x7f800000, v68
	s_delay_alu instid0(VALU_DEP_1) | instskip(SKIP_1) | instid1(SALU_CYCLE_1)
	v_cmp_ne_u32_e32 vcc_lo, 0x7f800000, v4
                                        ; implicit-def: $vgpr4
	s_and_saveexec_b32 s4, vcc_lo
	s_xor_b32 s4, exec_lo, s4
; %bb.91:
	v_bfe_u32 v4, v68, 16, 1
	s_delay_alu instid0(VALU_DEP_1)
	v_add3_u32 v4, v68, v4, 0x7fff
; %bb.92:
	s_and_not1_saveexec_b32 s4, s4
; %bb.93:
	v_and_b32_e32 v4, 0xffff, v68
	v_or_b32_e32 v5, 0x10000, v68
	s_delay_alu instid0(VALU_DEP_2) | instskip(NEXT) | instid1(VALU_DEP_2)
	v_cmp_eq_u32_e32 vcc_lo, 0, v4
	v_cndmask_b32_e32 v4, v5, v68, vcc_lo
; %bb.94:
	s_or_b32 exec_lo, exec_lo, s4
	v_and_b32_e32 v5, 0x7f800000, v69
	s_delay_alu instid0(VALU_DEP_1) | instskip(SKIP_1) | instid1(SALU_CYCLE_1)
	v_cmp_ne_u32_e32 vcc_lo, 0x7f800000, v5
                                        ; implicit-def: $vgpr5
	s_and_saveexec_b32 s4, vcc_lo
	s_xor_b32 s4, exec_lo, s4
; %bb.95:
	v_bfe_u32 v5, v69, 16, 1
	s_delay_alu instid0(VALU_DEP_1)
	v_add3_u32 v5, v69, v5, 0x7fff
; %bb.96:
	s_and_not1_saveexec_b32 s4, s4
; %bb.97:
	v_and_b32_e32 v5, 0xffff, v69
	v_or_b32_e32 v6, 0x10000, v69
	s_delay_alu instid0(VALU_DEP_2) | instskip(NEXT) | instid1(VALU_DEP_2)
	v_cmp_eq_u32_e32 vcc_lo, 0, v5
	v_cndmask_b32_e32 v5, v6, v69, vcc_lo
; %bb.98:
	s_or_b32 exec_lo, exec_lo, s4
	v_and_b32_e32 v6, 0x7f800000, v70
	s_delay_alu instid0(VALU_DEP_1) | instskip(SKIP_1) | instid1(SALU_CYCLE_1)
	v_cmp_ne_u32_e32 vcc_lo, 0x7f800000, v6
                                        ; implicit-def: $vgpr6
	s_and_saveexec_b32 s4, vcc_lo
	s_xor_b32 s4, exec_lo, s4
; %bb.99:
	v_bfe_u32 v6, v70, 16, 1
	s_delay_alu instid0(VALU_DEP_1)
	v_add3_u32 v6, v70, v6, 0x7fff
; %bb.100:
	s_and_not1_saveexec_b32 s4, s4
; %bb.101:
	v_and_b32_e32 v6, 0xffff, v70
	v_or_b32_e32 v7, 0x10000, v70
	s_delay_alu instid0(VALU_DEP_2) | instskip(NEXT) | instid1(VALU_DEP_2)
	v_cmp_eq_u32_e32 vcc_lo, 0, v6
	v_cndmask_b32_e32 v6, v7, v70, vcc_lo
; %bb.102:
	s_or_b32 exec_lo, exec_lo, s4
	v_and_b32_e32 v7, 0x7f800000, v71
	s_delay_alu instid0(VALU_DEP_1) | instskip(SKIP_1) | instid1(SALU_CYCLE_1)
	v_cmp_ne_u32_e32 vcc_lo, 0x7f800000, v7
                                        ; implicit-def: $vgpr7
	s_and_saveexec_b32 s4, vcc_lo
	s_xor_b32 s4, exec_lo, s4
; %bb.103:
	v_bfe_u32 v7, v71, 16, 1
	s_delay_alu instid0(VALU_DEP_1)
	v_add3_u32 v7, v71, v7, 0x7fff
; %bb.104:
	s_and_not1_saveexec_b32 s4, s4
; %bb.105:
	v_and_b32_e32 v7, 0xffff, v71
	v_or_b32_e32 v8, 0x10000, v71
	s_delay_alu instid0(VALU_DEP_2) | instskip(NEXT) | instid1(VALU_DEP_2)
	v_cmp_eq_u32_e32 vcc_lo, 0, v7
	v_cndmask_b32_e32 v7, v8, v71, vcc_lo
; %bb.106:
	s_or_b32 exec_lo, exec_lo, s4
	v_and_b32_e32 v8, 0x7f800000, v72
	s_delay_alu instid0(VALU_DEP_1) | instskip(SKIP_1) | instid1(SALU_CYCLE_1)
	v_cmp_ne_u32_e32 vcc_lo, 0x7f800000, v8
                                        ; implicit-def: $vgpr8
	s_and_saveexec_b32 s4, vcc_lo
	s_xor_b32 s4, exec_lo, s4
; %bb.107:
	v_bfe_u32 v8, v72, 16, 1
	s_delay_alu instid0(VALU_DEP_1)
	v_add3_u32 v8, v72, v8, 0x7fff
                                        ; implicit-def: $vgpr65_vgpr66_vgpr67_vgpr68_vgpr69_vgpr70_vgpr71_vgpr72
; %bb.108:
	s_and_not1_saveexec_b32 s4, s4
; %bb.109:
	v_and_b32_e32 v8, 0xffff, v72
	v_or_b32_e32 v9, 0x10000, v72
	s_delay_alu instid0(VALU_DEP_2) | instskip(NEXT) | instid1(VALU_DEP_2)
	v_cmp_eq_u32_e32 vcc_lo, 0, v8
	v_cndmask_b32_e32 v8, v9, v72, vcc_lo
; %bb.110:
	s_or_b32 exec_lo, exec_lo, s4
	s_delay_alu instid0(VALU_DEP_1)
	v_perm_b32 v7, v8, v7, 0x7060302
	v_perm_b32 v6, v6, v5, 0x7060302
	;; [unrolled: 1-line block ×4, first 2 shown]
	s_barrier
	buffer_gl0_inv
	v_cmp_eq_u32_e32 vcc_lo, 1, v78
	ds_store_b128 v76, v[4:7]
	s_waitcnt lgkmcnt(0)
	s_barrier
	buffer_gl0_inv
	ds_load_b128 v[1:4], v82
	ds_load_b128 v[5:8], v82 offset:16
	v_cmp_eq_u32_e64 s4, 1, v79
	v_cmp_eq_u32_e64 s5, 2, v78
	;; [unrolled: 1-line block ×5, first 2 shown]
	s_waitcnt lgkmcnt(1)
	v_lshrrev_b32_e32 v9, 16, v1
	s_waitcnt lgkmcnt(0)
	v_lshrrev_b32_e32 v13, 16, v5
	v_lshrrev_b32_e32 v10, 16, v2
	;; [unrolled: 1-line block ×4, first 2 shown]
	v_cndmask_b32_e64 v19, v1, v9, s4
	v_cndmask_b32_e32 v18, v5, v13, vcc_lo
	v_cndmask_b32_e64 v20, v5, v13, s4
	v_cndmask_b32_e32 v17, v1, v9, vcc_lo
	v_cmp_eq_u32_e32 vcc_lo, 2, v79
	v_lshrrev_b32_e32 v15, 16, v7
	v_cmp_eq_u32_e64 s4, 1, v77
	v_lshrrev_b32_e32 v12, 16, v4
	v_lshrrev_b32_e32 v16, 16, v8
	v_cndmask_b32_e32 v20, v20, v6, vcc_lo
	v_cndmask_b32_e64 v17, v17, v2, s5
	v_cndmask_b32_e32 v19, v19, v2, vcc_lo
	v_cndmask_b32_e64 v18, v18, v6, s5
	v_cmp_eq_u32_e32 vcc_lo, 4, v78
	v_cmp_eq_u32_e64 s5, 3, v79
	v_cndmask_b32_e64 v17, v17, v10, s6
	v_cndmask_b32_e64 v21, v1, v9, s4
	;; [unrolled: 1-line block ×5, first 2 shown]
	v_cndmask_b32_e32 v17, v17, v3, vcc_lo
	v_cndmask_b32_e64 v20, v20, v14, s5
	v_cndmask_b32_e32 v18, v18, v7, vcc_lo
	v_cmp_eq_u32_e32 vcc_lo, 4, v79
	v_cmp_eq_u32_e64 s5, 5, v79
	v_cmp_eq_u32_e64 s4, 2, v81
	v_cndmask_b32_e64 v21, v21, v2, s8
	v_cmp_eq_u32_e64 s6, 5, v78
	v_cndmask_b32_e32 v19, v19, v3, vcc_lo
	v_cndmask_b32_e32 v20, v20, v7, vcc_lo
	v_cmp_eq_u32_e32 vcc_lo, 6, v79
	s_delay_alu instid0(VALU_DEP_4) | instskip(NEXT) | instid1(VALU_DEP_4)
	v_cndmask_b32_e64 v17, v17, v11, s6
	v_cndmask_b32_e64 v19, v19, v11, s5
	s_delay_alu instid0(VALU_DEP_4) | instskip(SKIP_1) | instid1(VALU_DEP_3)
	v_cndmask_b32_e64 v20, v20, v15, s5
	v_cmp_eq_u32_e64 s5, 1, v81
	v_cndmask_b32_e32 v19, v19, v4, vcc_lo
	v_cndmask_b32_e64 v18, v18, v15, s6
	s_delay_alu instid0(VALU_DEP_3)
	v_cndmask_b32_e64 v1, v1, v9, s5
	v_cndmask_b32_e64 v5, v5, v13, s5
	v_cmp_eq_u32_e64 s5, 3, v77
	v_cndmask_b32_e64 v13, v22, v6, s8
	v_cmp_eq_u32_e64 s8, 3, v81
	v_cndmask_b32_e64 v1, v1, v2, s4
	v_cndmask_b32_e64 v2, v5, v6, s4
	;; [unrolled: 1-line block ×3, first 2 shown]
	v_cmp_eq_u32_e64 s4, 4, v77
	v_cndmask_b32_e64 v6, v13, v14, s5
	v_cndmask_b32_e64 v1, v1, v10, s8
	v_cmp_eq_u32_e64 s5, 4, v81
	v_cndmask_b32_e64 v2, v2, v14, s8
	v_cndmask_b32_e64 v5, v9, v3, s4
	;; [unrolled: 3-line block ×3, first 2 shown]
	v_cndmask_b32_e64 v2, v2, v7, s5
	v_cmp_eq_u32_e64 s4, 5, v81
	v_cmp_eq_u32_e64 s6, 6, v78
	v_cndmask_b32_e64 v5, v5, v11, s8
	v_cmp_eq_u32_e64 s5, 6, v77
	v_cndmask_b32_e64 v3, v6, v15, s8
	v_cndmask_b32_e64 v1, v1, v11, s4
	v_cmp_eq_u32_e64 s8, 6, v81
	v_cndmask_b32_e64 v2, v2, v15, s4
	v_cndmask_b32_e64 v17, v17, v4, s6
	v_cndmask_b32_e64 v18, v18, v8, s6
	v_cmp_eq_u32_e64 s6, 7, v78
	v_cndmask_b32_e64 v5, v5, v4, s5
	;; [unrolled: 4-line block ×3, first 2 shown]
	v_cmp_eq_u32_e64 s5, 7, v77
	v_cndmask_b32_e32 v4, v20, v8, vcc_lo
	v_cndmask_b32_e64 v17, v17, v12, s6
	v_cndmask_b32_e64 v19, v19, v12, s7
	v_cndmask_b32_e64 v1, v1, v12, s4
	v_cndmask_b32_e64 v5, v5, v12, s5
	v_cndmask_b32_e64 v2, v2, v16, s4
	v_cndmask_b32_e64 v3, v3, v16, s5
	v_cndmask_b32_e64 v6, v4, v16, s7
	v_cndmask_b32_e64 v7, v18, v16, s6
	v_cmp_gt_u32_e32 vcc_lo, 32, v0
	v_perm_b32 v4, v2, v1, 0x5040100
	v_perm_b32 v3, v3, v5, 0x5040100
	;; [unrolled: 1-line block ×4, first 2 shown]
	s_and_b32 s2, vcc_lo, s2
	ds_store_b128 v76, v[1:4]
	s_waitcnt lgkmcnt(0)
	s_barrier
	buffer_gl0_inv
	s_and_saveexec_b32 s4, s2
	s_cbranch_execz .LBB1356_2
; %bb.111:
	s_load_b64 s[4:5], s[0:1], 0x68
	v_lshlrev_b32_e32 v0, 10, v0
	v_lshlrev_b32_e32 v1, 4, v75
	s_lshl_b32 s0, s36, 6
	v_add_nc_u32_e32 v7, s31, v74
	s_mul_i32 s1, s0, s34
	s_delay_alu instid0(SALU_CYCLE_1) | instskip(SKIP_1) | instid1(VALU_DEP_2)
	s_mul_i32 s6, s1, s9
	v_and_or_b32 v0, 0x3800, v0, v1
	v_mul_lo_u32 v1, v7, s0
	v_add_nc_u32_e32 v2, 2, v7
	s_ashr_i32 s7, s6, 31
	v_add_nc_u32_e32 v4, 4, v7
	s_lshl_b64 s[6:7], s[6:7], 1
	v_add_nc_u32_e32 v8, 6, v7
	v_mul_lo_u32 v3, v2, s0
	v_lshl_or_b32 v19, v74, 6, v0
	v_ashrrev_i32_e32 v2, 31, v1
	v_mul_lo_u32 v11, v4, s0
	v_mul_lo_u32 v25, v8, s0
	s_waitcnt lgkmcnt(0)
	s_add_u32 s1, s4, s6
	s_addc_u32 s2, s5, s7
	s_lshl_b32 s4, s14, 6
	v_lshlrev_b64 v[5:6], 1, v[1:2]
	s_ashr_i32 s5, s4, 31
	v_ashrrev_i32_e32 v4, 31, v3
	s_lshl_b64 s[4:5], s[4:5], 1
	v_ashrrev_i32_e32 v12, 31, v11
	s_add_u32 s1, s1, s4
	s_addc_u32 s2, s2, s5
	v_add_co_u32 v1, s1, s1, v73
	s_delay_alu instid0(VALU_DEP_1) | instskip(SKIP_1) | instid1(VALU_DEP_3)
	v_add_co_ci_u32_e64 v2, null, s2, 0, s1
	v_lshlrev_b64 v[3:4], 1, v[3:4]
	v_add_co_u32 v23, vcc_lo, v1, v5
	v_add_nc_u32_e32 v5, 8, v7
	s_delay_alu instid0(VALU_DEP_4) | instskip(NEXT) | instid1(VALU_DEP_4)
	v_add_co_ci_u32_e32 v24, vcc_lo, v2, v6, vcc_lo
	v_add_co_u32 v27, vcc_lo, v1, v3
	s_delay_alu instid0(VALU_DEP_3)
	v_mul_lo_u32 v29, v5, s0
	v_add_co_ci_u32_e32 v28, vcc_lo, v2, v4, vcc_lo
	ds_load_b128 v[3:6], v19
	ds_load_b128 v[7:10], v19 offset:128
	v_lshlrev_b64 v[31:32], 1, v[11:12]
	ds_load_b128 v[11:14], v19 offset:256
	ds_load_b128 v[15:18], v19 offset:384
	;; [unrolled: 1-line block ×3, first 2 shown]
	v_ashrrev_i32_e32 v26, 31, v25
	v_ashrrev_i32_e32 v30, 31, v29
	v_add_co_u32 v31, vcc_lo, v1, v31
	s_delay_alu instid0(VALU_DEP_3) | instskip(NEXT) | instid1(VALU_DEP_3)
	v_lshlrev_b64 v[25:26], 1, v[25:26]
	v_lshlrev_b64 v[29:30], 1, v[29:30]
	v_add_co_ci_u32_e32 v32, vcc_lo, v2, v32, vcc_lo
	s_delay_alu instid0(VALU_DEP_3) | instskip(NEXT) | instid1(VALU_DEP_4)
	v_add_co_u32 v25, vcc_lo, v1, v25
	v_add_co_ci_u32_e32 v26, vcc_lo, v2, v26, vcc_lo
	s_delay_alu instid0(VALU_DEP_4)
	v_add_co_u32 v29, vcc_lo, v1, v29
	v_add_co_ci_u32_e32 v30, vcc_lo, v2, v30, vcc_lo
	s_waitcnt lgkmcnt(4)
	global_store_b128 v[23:24], v[3:6], off
	s_waitcnt lgkmcnt(3)
	global_store_b128 v[27:28], v[7:10], off
	s_waitcnt lgkmcnt(2)
	global_store_b128 v[31:32], v[11:14], off
	s_waitcnt lgkmcnt(1)
	global_store_b128 v[25:26], v[15:18], off
	s_waitcnt lgkmcnt(0)
	global_store_b128 v[29:30], v[19:22], off
	s_and_b32 exec_lo, exec_lo, s3
	s_cbranch_execz .LBB1356_2
; %bb.112:
	ds_load_b128 v[3:6], v0 offset:640
	s_add_i32 s1, s31, 10
	s_delay_alu instid0(SALU_CYCLE_1) | instskip(NEXT) | instid1(SALU_CYCLE_1)
	s_mul_i32 s0, s1, s0
	s_ashr_i32 s1, s0, 31
	s_delay_alu instid0(SALU_CYCLE_1) | instskip(NEXT) | instid1(SALU_CYCLE_1)
	s_lshl_b64 s[0:1], s[0:1], 1
	v_add_co_u32 v0, vcc_lo, v1, s0
	v_add_co_ci_u32_e32 v1, vcc_lo, s1, v2, vcc_lo
	s_waitcnt lgkmcnt(0)
	global_store_b128 v[0:1], v[3:6], off
	s_nop 0
	s_sendmsg sendmsg(MSG_DEALLOC_VGPRS)
	s_endpgm
	.section	.rodata,"a",@progbits
	.p2align	6, 0x0
	.amdhsa_kernel _Z39paged_attention_ll4mi_QKV_mfma16_kernelI14__hip_bfloat16hLN4vllm18Fp8KVCacheDataTypeE1EhLi16ELi64ELi256ELb1ELi11EL8MFMAType1EEvPKT_PKT0_S9_ifPKiSB_SB_iPKfiiiPfSE_PS4_PT2_iSD_SD_
		.amdhsa_group_segment_fixed_size 17472
		.amdhsa_private_segment_fixed_size 0
		.amdhsa_kernarg_size 400
		.amdhsa_user_sgpr_count 13
		.amdhsa_user_sgpr_dispatch_ptr 0
		.amdhsa_user_sgpr_queue_ptr 0
		.amdhsa_user_sgpr_kernarg_segment_ptr 1
		.amdhsa_user_sgpr_dispatch_id 0
		.amdhsa_user_sgpr_private_segment_size 0
		.amdhsa_wavefront_size32 1
		.amdhsa_uses_dynamic_stack 0
		.amdhsa_enable_private_segment 0
		.amdhsa_system_sgpr_workgroup_id_x 1
		.amdhsa_system_sgpr_workgroup_id_y 1
		.amdhsa_system_sgpr_workgroup_id_z 1
		.amdhsa_system_sgpr_workgroup_info 0
		.amdhsa_system_vgpr_workitem_id 0
		.amdhsa_next_free_vgpr 124
		.amdhsa_next_free_sgpr 40
		.amdhsa_reserve_vcc 1
		.amdhsa_float_round_mode_32 0
		.amdhsa_float_round_mode_16_64 0
		.amdhsa_float_denorm_mode_32 3
		.amdhsa_float_denorm_mode_16_64 3
		.amdhsa_dx10_clamp 1
		.amdhsa_ieee_mode 1
		.amdhsa_fp16_overflow 0
		.amdhsa_workgroup_processor_mode 1
		.amdhsa_memory_ordered 1
		.amdhsa_forward_progress 0
		.amdhsa_shared_vgpr_count 0
		.amdhsa_exception_fp_ieee_invalid_op 0
		.amdhsa_exception_fp_denorm_src 0
		.amdhsa_exception_fp_ieee_div_zero 0
		.amdhsa_exception_fp_ieee_overflow 0
		.amdhsa_exception_fp_ieee_underflow 0
		.amdhsa_exception_fp_ieee_inexact 0
		.amdhsa_exception_int_div_zero 0
	.end_amdhsa_kernel
	.section	.text._Z39paged_attention_ll4mi_QKV_mfma16_kernelI14__hip_bfloat16hLN4vllm18Fp8KVCacheDataTypeE1EhLi16ELi64ELi256ELb1ELi11EL8MFMAType1EEvPKT_PKT0_S9_ifPKiSB_SB_iPKfiiiPfSE_PS4_PT2_iSD_SD_,"axG",@progbits,_Z39paged_attention_ll4mi_QKV_mfma16_kernelI14__hip_bfloat16hLN4vllm18Fp8KVCacheDataTypeE1EhLi16ELi64ELi256ELb1ELi11EL8MFMAType1EEvPKT_PKT0_S9_ifPKiSB_SB_iPKfiiiPfSE_PS4_PT2_iSD_SD_,comdat
.Lfunc_end1356:
	.size	_Z39paged_attention_ll4mi_QKV_mfma16_kernelI14__hip_bfloat16hLN4vllm18Fp8KVCacheDataTypeE1EhLi16ELi64ELi256ELb1ELi11EL8MFMAType1EEvPKT_PKT0_S9_ifPKiSB_SB_iPKfiiiPfSE_PS4_PT2_iSD_SD_, .Lfunc_end1356-_Z39paged_attention_ll4mi_QKV_mfma16_kernelI14__hip_bfloat16hLN4vllm18Fp8KVCacheDataTypeE1EhLi16ELi64ELi256ELb1ELi11EL8MFMAType1EEvPKT_PKT0_S9_ifPKiSB_SB_iPKfiiiPfSE_PS4_PT2_iSD_SD_
                                        ; -- End function
	.section	.AMDGPU.csdata,"",@progbits
; Kernel info:
; codeLenInByte = 8856
; NumSgprs: 42
; NumVgprs: 124
; ScratchSize: 0
; MemoryBound: 0
; FloatMode: 240
; IeeeMode: 1
; LDSByteSize: 17472 bytes/workgroup (compile time only)
; SGPRBlocks: 5
; VGPRBlocks: 15
; NumSGPRsForWavesPerEU: 42
; NumVGPRsForWavesPerEU: 124
; Occupancy: 10
; WaveLimiterHint : 1
; COMPUTE_PGM_RSRC2:SCRATCH_EN: 0
; COMPUTE_PGM_RSRC2:USER_SGPR: 13
; COMPUTE_PGM_RSRC2:TRAP_HANDLER: 0
; COMPUTE_PGM_RSRC2:TGID_X_EN: 1
; COMPUTE_PGM_RSRC2:TGID_Y_EN: 1
; COMPUTE_PGM_RSRC2:TGID_Z_EN: 1
; COMPUTE_PGM_RSRC2:TIDIG_COMP_CNT: 0
	.section	.text._Z39paged_attention_ll4mi_QKV_mfma16_kernelI14__hip_bfloat16hLN4vllm18Fp8KVCacheDataTypeE1EhLi16ELi64ELi256ELb1ELi12EL8MFMAType1EEvPKT_PKT0_S9_ifPKiSB_SB_iPKfiiiPfSE_PS4_PT2_iSD_SD_,"axG",@progbits,_Z39paged_attention_ll4mi_QKV_mfma16_kernelI14__hip_bfloat16hLN4vllm18Fp8KVCacheDataTypeE1EhLi16ELi64ELi256ELb1ELi12EL8MFMAType1EEvPKT_PKT0_S9_ifPKiSB_SB_iPKfiiiPfSE_PS4_PT2_iSD_SD_,comdat
	.protected	_Z39paged_attention_ll4mi_QKV_mfma16_kernelI14__hip_bfloat16hLN4vllm18Fp8KVCacheDataTypeE1EhLi16ELi64ELi256ELb1ELi12EL8MFMAType1EEvPKT_PKT0_S9_ifPKiSB_SB_iPKfiiiPfSE_PS4_PT2_iSD_SD_ ; -- Begin function _Z39paged_attention_ll4mi_QKV_mfma16_kernelI14__hip_bfloat16hLN4vllm18Fp8KVCacheDataTypeE1EhLi16ELi64ELi256ELb1ELi12EL8MFMAType1EEvPKT_PKT0_S9_ifPKiSB_SB_iPKfiiiPfSE_PS4_PT2_iSD_SD_
	.globl	_Z39paged_attention_ll4mi_QKV_mfma16_kernelI14__hip_bfloat16hLN4vllm18Fp8KVCacheDataTypeE1EhLi16ELi64ELi256ELb1ELi12EL8MFMAType1EEvPKT_PKT0_S9_ifPKiSB_SB_iPKfiiiPfSE_PS4_PT2_iSD_SD_
	.p2align	8
	.type	_Z39paged_attention_ll4mi_QKV_mfma16_kernelI14__hip_bfloat16hLN4vllm18Fp8KVCacheDataTypeE1EhLi16ELi64ELi256ELb1ELi12EL8MFMAType1EEvPKT_PKT0_S9_ifPKiSB_SB_iPKfiiiPfSE_PS4_PT2_iSD_SD_,@function
_Z39paged_attention_ll4mi_QKV_mfma16_kernelI14__hip_bfloat16hLN4vllm18Fp8KVCacheDataTypeE1EhLi16ELi64ELi256ELb1ELi12EL8MFMAType1EEvPKT_PKT0_S9_ifPKiSB_SB_iPKfiiiPfSE_PS4_PT2_iSD_SD_: ; @_Z39paged_attention_ll4mi_QKV_mfma16_kernelI14__hip_bfloat16hLN4vllm18Fp8KVCacheDataTypeE1EhLi16ELi64ELi256ELb1ELi12EL8MFMAType1EEvPKT_PKT0_S9_ifPKiSB_SB_iPKfiiiPfSE_PS4_PT2_iSD_SD_
; %bb.0:
	s_load_b64 s[2:3], s[0:1], 0x30
	s_mov_b32 s30, s13
	s_waitcnt lgkmcnt(0)
	s_cmp_lg_u64 s[2:3], 0
	s_cselect_b32 s8, -1, 0
	s_ashr_i32 s31, s13, 31
	s_cmp_eq_u64 s[2:3], 0
	s_cbranch_scc1 .LBB1357_3
; %bb.1:
	s_lshl_b64 s[4:5], s[30:31], 2
	s_delay_alu instid0(SALU_CYCLE_1) | instskip(SKIP_4) | instid1(SALU_CYCLE_1)
	s_add_u32 s4, s2, s4
	s_addc_u32 s5, s3, s5
	s_load_b64 s[4:5], s[4:5], 0x0
	s_waitcnt lgkmcnt(0)
	s_sub_i32 s4, s5, s4
	s_cmp_eq_u32 s4, 1
	s_cselect_b32 s4, -1, 0
	s_delay_alu instid0(SALU_CYCLE_1)
	s_and_not1_b32 vcc_lo, exec_lo, s4
	s_cbranch_vccz .LBB1357_4
.LBB1357_2:
	s_endpgm
.LBB1357_3:
.LBB1357_4:
	s_load_b64 s[4:5], s[0:1], 0x28
	s_lshl_b64 s[6:7], s[30:31], 2
	s_waitcnt lgkmcnt(0)
	s_add_u32 s4, s4, s6
	s_addc_u32 s5, s5, s7
	s_lshl_b32 s12, s14, 8
	s_load_b32 s24, s[4:5], 0x0
	s_waitcnt lgkmcnt(0)
	s_cmp_ge_i32 s12, s24
	s_cbranch_scc1 .LBB1357_2
; %bb.5:
	s_clause 0x1
	s_load_b128 s[20:23], s[0:1], 0x8
	s_load_b64 s[4:5], s[0:1], 0x20
	s_and_not1_b32 vcc_lo, exec_lo, s8
	s_cbranch_vccnz .LBB1357_7
; %bb.6:
	s_add_u32 s2, s2, s6
	s_addc_u32 s3, s3, s7
	s_load_b32 s3, s[2:3], 0x0
	s_branch .LBB1357_8
.LBB1357_7:
	s_mov_b32 s3, s30
.LBB1357_8:
	s_load_b128 s[16:19], s[0:1], 0x48
	v_and_b32_e32 v65, 15, v0
	v_cmp_gt_u32_e32 vcc_lo, 0xc0, v0
	v_lshrrev_b32_e32 v66, 5, v0
	v_and_b32_e32 v67, 31, v0
	v_and_b32_e32 v75, 1, v0
	v_lshlrev_b32_e32 v1, 3, v65
	v_cmp_gt_u32_e64 s2, 8, v65
	v_bfe_u32 v74, v0, 4, 1
	s_mul_i32 s31, s15, 12
	s_delay_alu instid0(VALU_DEP_3) | instskip(NEXT) | instid1(VALU_DEP_3)
	v_lshlrev_b32_e32 v73, 1, v1
	s_and_b32 s7, vcc_lo, s2
	s_delay_alu instid0(SALU_CYCLE_1)
	s_and_saveexec_b32 s6, s7
	s_cbranch_execz .LBB1357_10
; %bb.9:
	s_load_b64 s[8:9], s[0:1], 0x0
	v_lshl_or_b32 v5, v66, 1, v74
	s_waitcnt lgkmcnt(0)
	s_mul_hi_i32 s11, s3, s16
	s_mul_i32 s10, s3, s16
	v_lshlrev_b32_e32 v6, 10, v65
	s_lshl_b64 s[10:11], s[10:11], 1
	v_add_lshl_u32 v1, v5, s31, 6
	v_lshlrev_b32_e32 v5, 6, v5
	v_lshlrev_b32_e32 v7, 10, v75
	v_and_b32_e32 v6, 0x3800, v6
	s_delay_alu instid0(VALU_DEP_4) | instskip(NEXT) | instid1(VALU_DEP_2)
	v_ashrrev_i32_e32 v2, 31, v1
	v_or3_b32 v5, v6, v7, v5
	s_delay_alu instid0(VALU_DEP_2) | instskip(SKIP_2) | instid1(VALU_DEP_1)
	v_lshlrev_b64 v[1:2], 1, v[1:2]
	s_add_u32 s3, s8, s10
	s_addc_u32 s7, s9, s11
	v_add_co_u32 v1, vcc_lo, s3, v1
	s_delay_alu instid0(VALU_DEP_2) | instskip(NEXT) | instid1(VALU_DEP_2)
	v_add_co_ci_u32_e32 v2, vcc_lo, s7, v2, vcc_lo
	v_add_co_u32 v1, vcc_lo, v1, v73
	s_delay_alu instid0(VALU_DEP_2)
	v_add_co_ci_u32_e32 v2, vcc_lo, 0, v2, vcc_lo
	global_load_b128 v[1:4], v[1:2], off
	s_waitcnt vmcnt(0)
	ds_store_b128 v5, v[1:4]
.LBB1357_10:
	s_or_b32 exec_lo, exec_lo, s6
	v_and_b32_e32 v1, 0xef, v0
	s_waitcnt lgkmcnt(0)
	s_add_i32 s3, s24, 15
	s_clause 0x1
	s_load_b32 s6, s[0:1], 0x38
	s_load_b32 s19, s[0:1], 0x1c
	s_ashr_i32 s7, s3, 31
	v_add_nc_u32_e32 v1, s12, v1
	s_lshr_b32 s7, s7, 28
	s_waitcnt lgkmcnt(0)
	s_add_i32 s3, s3, s7
	s_barrier
	v_ashrrev_i32_e32 v2, 31, v1
	v_or_b32_e32 v3, 16, v1
	s_ashr_i32 s3, s3, 4
	v_cmp_gt_i32_e32 vcc_lo, s24, v1
	s_add_i32 s3, s3, -1
	v_lshrrev_b32_e32 v2, 28, v2
	buffer_gl0_inv
	s_mul_i32 s27, s15, s18
	v_add_nc_u32_e32 v4, v1, v2
	s_mul_i32 s6, s30, s6
	s_delay_alu instid0(SALU_CYCLE_1) | instskip(NEXT) | instid1(VALU_DEP_1)
	s_ashr_i32 s7, s6, 31
	v_ashrrev_i32_e32 v4, 4, v4
	v_add_nc_u32_e32 v2, v3, v2
	s_lshl_b64 s[6:7], s[6:7], 2
	s_delay_alu instid0(SALU_CYCLE_1) | instskip(NEXT) | instid1(VALU_DEP_2)
	s_add_u32 s26, s4, s6
	v_cndmask_b32_e32 v1, s3, v4, vcc_lo
	s_delay_alu instid0(VALU_DEP_2)
	v_ashrrev_i32_e32 v2, 4, v2
	v_cmp_gt_i32_e32 vcc_lo, s24, v3
	s_addc_u32 s25, s5, s7
	s_ashr_i32 s28, s27, 31
	s_add_u32 s13, s20, s27
	s_addc_u32 s15, s21, s28
	v_cndmask_b32_e32 v3, s3, v2, vcc_lo
	v_ashrrev_i32_e32 v2, 31, v1
	s_lshl_b32 s4, s14, 4
	s_delay_alu instid0(SALU_CYCLE_1) | instskip(NEXT) | instid1(VALU_DEP_2)
	s_ashr_i32 s5, s4, 31
	v_ashrrev_i32_e32 v4, 31, v3
	s_delay_alu instid0(VALU_DEP_2) | instskip(SKIP_1) | instid1(SALU_CYCLE_1)
	v_lshlrev_b64 v[1:2], 2, v[1:2]
	s_lshl_b64 s[4:5], s[4:5], 2
	s_add_u32 s4, s26, s4
	s_delay_alu instid0(VALU_DEP_2) | instskip(SKIP_1) | instid1(VALU_DEP_2)
	v_lshlrev_b64 v[3:4], 2, v[3:4]
	s_addc_u32 s5, s25, s5
	v_add_co_u32 v1, vcc_lo, s26, v1
	v_add_co_ci_u32_e32 v2, vcc_lo, s25, v2, vcc_lo
	s_delay_alu instid0(VALU_DEP_3) | instskip(NEXT) | instid1(VALU_DEP_4)
	v_add_co_u32 v3, vcc_lo, s26, v3
	v_add_co_ci_u32_e32 v4, vcc_lo, s25, v4, vcc_lo
	s_clause 0x1
	global_load_b32 v5, v[1:2], off
	global_load_b32 v7, v[3:4], off
	s_or_b32 s6, s12, 32
	v_lshlrev_b32_e32 v1, 4, v0
	s_ashr_i32 s7, s6, 4
	s_cmp_lt_i32 s6, s24
	v_cmp_gt_u32_e32 vcc_lo, 12, v65
	s_cselect_b32 s6, s7, s3
	v_and_b32_e32 v1, 0xf0, v1
	s_ashr_i32 s7, s6, 31
	s_delay_alu instid0(SALU_CYCLE_1) | instskip(NEXT) | instid1(SALU_CYCLE_1)
	s_lshl_b64 s[6:7], s[6:7], 2
	s_add_u32 s6, s26, s6
	s_addc_u32 s7, s25, s7
	s_or_b32 s8, s12, 64
	v_add_co_u32 v1, s13, s13, v1
	s_ashr_i32 s9, s8, 4
	s_cmp_lt_i32 s8, s24
	v_add_co_ci_u32_e64 v2, null, s15, 0, s13
	s_cselect_b32 s8, s9, s3
	s_delay_alu instid0(SALU_CYCLE_1) | instskip(NEXT) | instid1(SALU_CYCLE_1)
	s_ashr_i32 s9, s8, 31
	s_lshl_b64 s[8:9], s[8:9], 2
	s_delay_alu instid0(SALU_CYCLE_1) | instskip(SKIP_2) | instid1(SALU_CYCLE_1)
	s_add_u32 s8, s26, s8
	s_addc_u32 s9, s25, s9
	s_or_b32 s10, s12, 0x60
	s_ashr_i32 s11, s10, 4
	s_cmp_lt_i32 s10, s24
	s_cselect_b32 s10, s11, s3
	s_delay_alu instid0(SALU_CYCLE_1) | instskip(NEXT) | instid1(SALU_CYCLE_1)
	s_ashr_i32 s11, s10, 31
	s_lshl_b64 s[10:11], s[10:11], 2
	s_delay_alu instid0(SALU_CYCLE_1) | instskip(SKIP_2) | instid1(SALU_CYCLE_1)
	s_add_u32 s10, s26, s10
	s_addc_u32 s11, s25, s11
	s_or_b32 s16, s12, 0x80
	s_ashr_i32 s18, s16, 4
	s_cmp_lt_i32 s16, s24
	;; [unrolled: 10-line block ×3, first 2 shown]
	s_cselect_b32 s20, s18, s3
	s_delay_alu instid0(SALU_CYCLE_1) | instskip(NEXT) | instid1(SALU_CYCLE_1)
	s_ashr_i32 s21, s20, 31
	s_lshl_b64 s[20:21], s[20:21], 2
	s_delay_alu instid0(SALU_CYCLE_1)
	s_add_u32 s36, s26, s20
	s_addc_u32 s37, s25, s21
	s_clause 0x5
	s_load_b32 s21, s[4:5], 0x0
	s_load_b32 s13, s[6:7], 0x0
	;; [unrolled: 1-line block ×6, first 2 shown]
	s_or_b32 s8, s12, 0xc0
	s_mov_b32 s4, 0
	s_ashr_i32 s9, s8, 4
	s_cmp_lt_i32 s8, s24
	s_mov_b32 s11, s4
	s_cselect_b32 s34, s9, s3
	s_mov_b32 s5, s4
	s_ashr_i32 s35, s34, 31
	s_mov_b32 s6, s4
	s_lshl_b64 s[34:35], s[34:35], 2
	s_mov_b32 s7, s4
	s_add_u32 s34, s26, s34
	s_addc_u32 s35, s25, s35
	s_or_b32 s29, s12, 0xe0
	s_mov_b32 s8, s4
	s_ashr_i32 s33, s29, 4
	s_mov_b32 s9, s4
	s_mov_b32 s10, s4
	s_cmp_lt_i32 s29, s24
	v_dual_mov_b32 v107, s11 :: v_dual_mov_b32 v100, s4
	v_mov_b32_e32 v106, s10
	v_dual_mov_b32 v104, s8 :: v_dual_mov_b32 v103, s7
	v_dual_mov_b32 v102, s6 :: v_dual_mov_b32 v101, s5
	s_waitcnt vmcnt(1)
	v_mad_i64_i32 v[3:4], null, v5, s17, v[1:2]
	s_waitcnt vmcnt(0)
	v_mad_i64_i32 v[5:6], null, v7, s17, v[1:2]
	v_add_nc_u32_e32 v1, -12, v65
	v_lshlrev_b32_e32 v2, 4, v65
	s_clause 0x7
	global_load_b128 v[49:52], v[3:4], off
	global_load_b128 v[53:56], v[3:4], off offset:256
	global_load_b128 v[76:79], v[5:6], off
	global_load_b128 v[80:83], v[5:6], off offset:256
	global_load_b128 v[84:87], v[3:4], off offset:512
	;; [unrolled: 1-line block ×5, first 2 shown]
	v_cndmask_b32_e32 v1, v1, v65, vcc_lo
	v_mov_b32_e32 v105, s9
	s_cselect_b32 s4, s33, s3
	v_lshl_or_b32 v2, v66, 8, v2
	s_ashr_i32 s5, s4, 31
	v_lshlrev_b32_e32 v70, 6, v1
	s_lshl_b64 s[4:5], s[4:5], 2
	s_load_b32 s3, s[34:35], 0x0
	s_add_u32 s4, s26, s4
	s_addc_u32 s5, s25, s5
	ds_load_b128 v[108:111], v70
	ds_load_b128 v[112:115], v70 offset:1024
	s_load_b32 s4, s[4:5], 0x0
	s_add_u32 s6, s22, s27
	s_addc_u32 s7, s23, s28
	v_add_co_u32 v9, s6, s6, v2
	s_delay_alu instid0(VALU_DEP_1) | instskip(SKIP_1) | instid1(VALU_DEP_1)
	v_add_co_ci_u32_e64 v10, null, s7, 0, s6
	s_waitcnt lgkmcnt(0)
	v_mad_i64_i32 v[1:2], null, s21, s17, v[9:10]
	v_mad_i64_i32 v[3:4], null, s13, s17, v[9:10]
	;; [unrolled: 1-line block ×7, first 2 shown]
	s_clause 0x9
	global_load_b128 v[57:60], v[1:2], off
	global_load_b128 v[61:64], v[1:2], off offset:16
	global_load_b128 v[41:44], v[3:4], off
	global_load_b128 v[45:48], v[3:4], off offset:16
	;; [unrolled: 2-line block ×5, first 2 shown]
	v_mad_i64_i32 v[68:69], null, s4, s17, v[9:10]
	s_clause 0x3
	global_load_b128 v[9:12], v[13:14], off
	global_load_b128 v[13:16], v[13:14], off offset:16
	global_load_b128 v[17:20], v[21:22], off
	global_load_b128 v[21:24], v[21:22], off offset:16
	s_waitcnt vmcnt(20)
	v_wmma_f32_16x16x16_bf16 v[116:123], v[49:56], v[108:115], v[100:107]
	s_clause 0x1
	global_load_b128 v[49:52], v[68:69], off
	global_load_b128 v[53:56], v[68:69], off offset:16
	v_and_b32_e32 v68, 0xe0, v0
	v_mbcnt_lo_u32_b32 v69, -1, 0
	s_delay_alu instid0(VALU_DEP_2)
	v_add_nc_u32_e32 v68, s12, v68
	s_waitcnt vmcnt(20)
	v_wmma_f32_16x16x16_bf16 v[100:107], v[76:83], v[108:115], v[100:107]
	ds_load_b128 v[76:79], v70 offset:2048
	ds_load_b128 v[80:83], v70 offset:3072
	v_xor_b32_e32 v70, 16, v69
	s_waitcnt vmcnt(0) lgkmcnt(0)
	v_or_b32_e32 v68, v68, v74
	s_barrier
	buffer_gl0_inv
	v_cmp_gt_i32_e32 vcc_lo, 32, v70
	v_or_b32_e32 v71, 4, v68
	v_or_b32_e32 v72, 6, v68
	v_cmp_gt_i32_e64 s3, s24, v68
	v_or_b32_e32 v108, 8, v68
	v_or_b32_e32 v109, 10, v68
	v_cmp_gt_i32_e64 s4, s24, v71
	v_cmp_gt_i32_e64 s5, s24, v72
	s_delay_alu instid0(VALU_DEP_4) | instskip(NEXT) | instid1(VALU_DEP_4)
	v_cmp_gt_i32_e64 s6, s24, v108
	v_cmp_gt_i32_e64 s7, s24, v109
	v_wmma_f32_16x16x16_bf16 v[116:123], v[84:91], v[76:83], v[116:123]
	v_cndmask_b32_e32 v69, v69, v70, vcc_lo
	v_or_b32_e32 v70, 2, v68
	v_wmma_f32_16x16x16_bf16 v[100:107], v[92:99], v[76:83], v[100:107]
	v_or_b32_e32 v89, 22, v68
	v_dual_mul_f32 v82, s19, v119 :: v_dual_mul_f32 v79, s19, v122
	v_dual_mul_f32 v92, s19, v117 :: v_dual_mul_f32 v93, s19, v116
	s_delay_alu instid0(VALU_DEP_4) | instskip(SKIP_2) | instid1(VALU_DEP_4)
	v_mul_f32_e32 v98, s19, v103
	v_cmp_gt_i32_e32 vcc_lo, s24, v70
	v_dual_mul_f32 v83, s19, v118 :: v_dual_mul_f32 v96, s19, v105
	v_cndmask_b32_e64 v93, 0xff7fffff, v93, s3
	v_or_b32_e32 v84, 12, v68
	v_cndmask_b32_e32 v92, 0xff7fffff, v92, vcc_lo
	v_or_b32_e32 v85, 14, v68
	v_dual_mul_f32 v80, s19, v121 :: v_dual_mul_f32 v81, s19, v120
	v_mul_f32_e32 v94, s19, v107
	v_cndmask_b32_e64 v71, 0xff7fffff, v83, s4
	v_cndmask_b32_e64 v72, 0xff7fffff, v82, s5
	v_cmp_gt_i32_e64 s13, s24, v89
	v_lshlrev_b32_e32 v89, 2, v69
	v_max3_f32 v82, v93, 0xff7fffff, v92
	v_or_b32_e32 v86, 16, v68
	v_or_b32_e32 v87, 18, v68
	v_mul_f32_e32 v78, s19, v123
	v_cndmask_b32_e64 v81, 0xff7fffff, v81, s6
	v_cndmask_b32_e64 v80, 0xff7fffff, v80, s7
	v_max3_f32 v71, v82, v71, v72
	v_cmp_gt_i32_e64 s8, s24, v84
	v_cmp_gt_i32_e64 s9, s24, v85
	v_or_b32_e32 v88, 20, v68
	v_or_b32_e32 v90, 24, v68
	;; [unrolled: 1-line block ×5, first 2 shown]
	v_dual_mul_f32 v95, s19, v106 :: v_dual_mul_f32 v70, s19, v101
	v_dual_mul_f32 v99, s19, v102 :: v_dual_mul_f32 v68, s19, v100
	v_cndmask_b32_e64 v72, 0xff7fffff, v79, s8
	v_cndmask_b32_e64 v78, 0xff7fffff, v78, s9
	v_max3_f32 v71, v71, v81, v80
	v_cmp_gt_i32_e64 s10, s24, v86
	v_cmp_gt_i32_e64 s11, s24, v87
	;; [unrolled: 1-line block ×3, first 2 shown]
	v_mul_f32_e32 v97, s19, v104
	v_max3_f32 v71, v71, v72, v78
	v_cndmask_b32_e64 v68, 0xff7fffff, v68, s10
	v_cndmask_b32_e64 v70, 0xff7fffff, v70, s11
	;; [unrolled: 1-line block ×4, first 2 shown]
	v_cmp_gt_i32_e64 s15, s24, v90
	v_cmp_gt_i32_e64 s16, s24, v91
	v_max3_f32 v68, v71, v68, v70
	v_cmp_gt_i32_e64 s17, s24, v76
	v_cmp_gt_i32_e64 s18, s24, v77
	v_cndmask_b32_e64 v70, 0xff7fffff, v97, s15
	v_cndmask_b32_e64 v71, 0xff7fffff, v96, s16
	v_max3_f32 v68, v68, v72, v78
	v_cndmask_b32_e64 v72, 0xff7fffff, v95, s17
	v_cndmask_b32_e64 v76, 0xff7fffff, v94, s18
	s_delay_alu instid0(VALU_DEP_3) | instskip(NEXT) | instid1(VALU_DEP_1)
	v_max3_f32 v68, v68, v70, v71
	v_max3_f32 v68, v68, v72, v76
	ds_bpermute_b32 v69, v89, v68
	s_waitcnt lgkmcnt(0)
	v_max_f32_e32 v69, v69, v69
	s_delay_alu instid0(VALU_DEP_1) | instskip(NEXT) | instid1(VALU_DEP_1)
	v_max_f32_e32 v68, v68, v69
	v_fma_f32 v69, s19, v116, -v68
	v_fma_f32 v70, s19, v117, -v68
	;; [unrolled: 1-line block ×5, first 2 shown]
	s_delay_alu instid0(VALU_DEP_4) | instskip(NEXT) | instid1(VALU_DEP_4)
	v_dual_mul_f32 v69, 0x3fb8aa3b, v69 :: v_dual_mul_f32 v70, 0x3fb8aa3b, v70
	v_mul_f32_e32 v72, 0x3fb8aa3b, v72
	v_fma_f32 v78, s19, v122, -v68
	s_delay_alu instid0(VALU_DEP_4) | instskip(NEXT) | instid1(VALU_DEP_4)
	v_mul_f32_e32 v77, 0x3fb8aa3b, v76
	v_exp_f32_e32 v69, v69
	v_exp_f32_e32 v70, v70
	v_mul_f32_e32 v71, 0x3fb8aa3b, v71
	v_exp_f32_e32 v72, v72
	v_mul_f32_e32 v78, 0x3fb8aa3b, v78
	v_exp_f32_e32 v77, v77
	v_fma_f32 v81, s19, v105, -v68
	s_delay_alu instid0(VALU_DEP_2)
	v_exp_f32_e32 v78, v78
	v_cndmask_b32_e64 v80, 0, v69, s3
	v_cndmask_b32_e32 v76, 0, v70, vcc_lo
	v_exp_f32_e32 v71, v71
	v_fma_f32 v69, s19, v121, -v68
	v_cndmask_b32_e64 v85, 0, v72, s5
	v_add_f32_e32 v70, 0, v80
	s_delay_alu instid0(TRANS32_DEP_3)
	v_cndmask_b32_e64 v86, 0, v77, s6
	v_fma_f32 v77, s19, v101, -v68
	v_mul_f32_e32 v69, 0x3fb8aa3b, v69
	v_fma_f32 v72, s19, v100, -v68
	v_cndmask_b32_e64 v84, 0, v78, s8
	v_fma_f32 v78, s19, v103, -v68
	v_cndmask_b32_e64 v83, 0, v71, s4
	v_fma_f32 v71, s19, v123, -v68
	v_add_f32_e32 v70, v70, v76
	v_exp_f32_e32 v69, v69
	v_mul_f32_e32 v77, 0x3fb8aa3b, v77
	v_mul_f32_e32 v81, 0x3fb8aa3b, v81
	;; [unrolled: 1-line block ×3, first 2 shown]
	v_add_f32_e32 v70, v70, v83
	s_mov_b32 s3, exec_lo
	v_exp_f32_e32 v77, v77
	v_exp_f32_e32 v81, v81
	;; [unrolled: 1-line block ×3, first 2 shown]
	v_cndmask_b32_e64 v87, 0, v69, s7
	v_add_f32_e32 v70, v70, v85
	s_delay_alu instid0(VALU_DEP_1) | instskip(SKIP_1) | instid1(VALU_DEP_2)
	v_dual_mul_f32 v72, 0x3fb8aa3b, v72 :: v_dual_add_f32 v69, v70, v86
	v_fma_f32 v70, s19, v102, -v68
	v_exp_f32_e32 v72, v72
	s_waitcnt_depctr 0xfff
	v_cndmask_b32_e64 v88, 0, v71, s9
	v_fma_f32 v71, s19, v104, -v68
	v_dual_add_f32 v69, v69, v87 :: v_dual_mul_f32 v70, 0x3fb8aa3b, v70
	s_delay_alu instid0(VALU_DEP_2) | instskip(NEXT) | instid1(VALU_DEP_2)
	v_dual_mul_f32 v78, 0x3fb8aa3b, v78 :: v_dual_mul_f32 v71, 0x3fb8aa3b, v71
	v_add_f32_e32 v69, v69, v84
	s_delay_alu instid0(VALU_DEP_3) | instskip(SKIP_1) | instid1(VALU_DEP_3)
	v_exp_f32_e32 v79, v70
	v_cndmask_b32_e64 v70, 0, v72, s10
	v_exp_f32_e32 v78, v78
	v_exp_f32_e32 v82, v71
	v_add_f32_e32 v72, v69, v88
	v_cndmask_b32_e64 v69, 0, v77, s11
	v_fma_f32 v77, s19, v106, -v68
	s_delay_alu instid0(VALU_DEP_3) | instskip(NEXT) | instid1(TRANS32_DEP_3)
	v_add_f32_e32 v72, v72, v70
	v_cndmask_b32_e64 v71, 0, v79, s12
	s_delay_alu instid0(VALU_DEP_3) | instskip(NEXT) | instid1(VALU_DEP_3)
	v_mul_f32_e32 v77, 0x3fb8aa3b, v77
	v_add_f32_e32 v79, v72, v69
	s_delay_alu instid0(TRANS32_DEP_2) | instskip(NEXT) | instid1(VALU_DEP_3)
	v_cndmask_b32_e64 v72, 0, v78, s13
	v_exp_f32_e32 v90, v77
	v_cndmask_b32_e64 v77, 0, v82, s15
	s_delay_alu instid0(VALU_DEP_3) | instskip(SKIP_1) | instid1(VALU_DEP_1)
	v_add_f32_e32 v78, v79, v71
	v_fma_f32 v79, s19, v107, -v68
	v_dual_add_f32 v82, v78, v72 :: v_dual_mul_f32 v79, 0x3fb8aa3b, v79
	v_cndmask_b32_e64 v78, 0, v81, s16
	s_delay_alu instid0(VALU_DEP_2) | instskip(NEXT) | instid1(VALU_DEP_3)
	v_add_f32_e32 v81, v82, v77
	v_exp_f32_e32 v82, v79
	s_delay_alu instid0(TRANS32_DEP_2) | instskip(NEXT) | instid1(VALU_DEP_2)
	v_cndmask_b32_e64 v79, 0, v90, s17
	v_add_f32_e32 v81, v81, v78
	s_delay_alu instid0(VALU_DEP_1) | instskip(SKIP_2) | instid1(VALU_DEP_1)
	v_add_f32_e32 v90, v81, v79
	s_waitcnt_depctr 0xfff
	v_cndmask_b32_e64 v81, 0, v82, s18
	v_add_f32_e32 v82, v90, v81
	ds_bpermute_b32 v89, v89, v82
	v_cmpx_gt_u32_e32 16, v67
	s_cbranch_execz .LBB1357_12
; %bb.11:
	v_mul_u32_u24_e32 v67, 0x44, v66
	s_delay_alu instid0(VALU_DEP_1) | instskip(SKIP_1) | instid1(VALU_DEP_1)
	v_lshl_add_u32 v67, v65, 2, v67
	s_waitcnt lgkmcnt(0)
	v_dual_add_f32 v82, v82, v89 :: v_dual_add_nc_u32 v67, 0x4000, v67
	ds_store_2addr_b32 v67, v68, v82 offset1:136
.LBB1357_12:
	s_or_b32 exec_lo, exec_lo, s3
	v_lshlrev_b32_e32 v67, 2, v65
	s_waitcnt lgkmcnt(0)
	s_barrier
	buffer_gl0_inv
	v_cmp_eq_u32_e32 vcc_lo, 1, v66
	v_add_nc_u32_e32 v82, 0x4000, v67
	v_cmp_eq_u32_e64 s3, 2, v66
	v_cmp_eq_u32_e64 s5, 7, v66
	ds_load_2addr_b32 v[89:90], v82 offset1:17
	ds_load_2addr_b32 v[91:92], v82 offset0:34 offset1:51
	ds_load_2addr_b32 v[93:94], v82 offset0:68 offset1:85
	;; [unrolled: 1-line block ×4, first 2 shown]
	s_waitcnt lgkmcnt(4)
	v_max3_f32 v67, v89, 0xff7fffff, v90
	s_waitcnt lgkmcnt(3)
	s_delay_alu instid0(VALU_DEP_1) | instskip(SKIP_1) | instid1(VALU_DEP_1)
	v_max3_f32 v67, v67, v91, v92
	s_waitcnt lgkmcnt(2)
	v_max3_f32 v67, v67, v93, v94
	s_waitcnt lgkmcnt(1)
	s_delay_alu instid0(VALU_DEP_1) | instskip(NEXT) | instid1(VALU_DEP_1)
	v_max3_f32 v67, v67, v95, v96
	v_sub_f32_e32 v93, v93, v67
	s_delay_alu instid0(VALU_DEP_1) | instskip(NEXT) | instid1(VALU_DEP_1)
	v_dual_sub_f32 v68, v89, v67 :: v_dual_mul_f32 v103, 0x3fb8aa3b, v93
	v_mul_f32_e32 v68, 0x3fb8aa3b, v68
	s_delay_alu instid0(VALU_DEP_1)
	v_exp_f32_e32 v100, v68
	v_sub_f32_e32 v68, v92, v67
	v_sub_f32_e32 v99, v90, v67
	ds_load_2addr_b32 v[89:90], v82 offset0:170 offset1:187
	v_dual_mul_f32 v102, 0x3fb8aa3b, v68 :: v_dual_mul_f32 v99, 0x3fb8aa3b, v99
	s_waitcnt lgkmcnt(1)
	v_fma_f32 v68, v100, v97, 0
	s_delay_alu instid0(VALU_DEP_2) | instskip(NEXT) | instid1(VALU_DEP_2)
	v_exp_f32_e32 v102, v102
	v_exp_f32_e32 v99, v99
	s_waitcnt_depctr 0xfff
	v_fmac_f32_e32 v68, v99, v98
	v_sub_f32_e32 v91, v91, v67
	s_delay_alu instid0(VALU_DEP_1)
	v_mul_f32_e32 v101, 0x3fb8aa3b, v91
	ds_load_2addr_b32 v[91:92], v82 offset0:204 offset1:221
	v_sub_f32_e32 v97, v94, v67
	ds_load_2addr_b32 v[93:94], v82 offset0:238 offset1:255
	s_waitcnt lgkmcnt(0)
	v_exp_f32_e32 v101, v101
	s_barrier
	buffer_gl0_inv
	v_dual_fmac_f32 v68, v101, v89 :: v_dual_sub_f32 v89, v96, v67
	v_dual_sub_f32 v82, v95, v67 :: v_dual_mul_f32 v95, 0x3fb8aa3b, v97
	v_exp_f32_e32 v97, v103
	s_delay_alu instid0(VALU_DEP_2) | instskip(NEXT) | instid1(VALU_DEP_2)
	v_dual_fmac_f32 v68, v102, v90 :: v_dual_mul_f32 v89, 0x3fb8aa3b, v89
	v_mul_f32_e32 v82, 0x3fb8aa3b, v82
	s_delay_alu instid0(VALU_DEP_3) | instskip(NEXT) | instid1(VALU_DEP_2)
	v_exp_f32_e32 v95, v95
	v_exp_f32_e32 v89, v89
	s_delay_alu instid0(VALU_DEP_1)
	v_exp_f32_e32 v82, v82
	v_fmac_f32_e32 v68, v97, v91
	s_delay_alu instid0(TRANS32_DEP_3) | instid1(VALU_DEP_1)
	v_fmac_f32_e32 v68, v95, v92
	s_waitcnt_depctr 0xfff
	v_fmac_f32_e32 v68, v82, v93
	s_delay_alu instid0(VALU_DEP_1) | instskip(NEXT) | instid1(VALU_DEP_1)
	v_fmac_f32_e32 v68, v89, v94
	v_add_f32_e32 v90, 0x358637bd, v68
	s_delay_alu instid0(VALU_DEP_1) | instskip(NEXT) | instid1(VALU_DEP_1)
	v_div_scale_f32 v91, null, v90, v90, 1.0
	v_rcp_f32_e32 v92, v91
	s_waitcnt_depctr 0xfff
	v_fma_f32 v93, -v91, v92, 1.0
	s_delay_alu instid0(VALU_DEP_1) | instskip(SKIP_1) | instid1(VALU_DEP_2)
	v_dual_fmac_f32 v92, v93, v92 :: v_dual_cndmask_b32 v93, v100, v99
	v_cmp_eq_u32_e32 vcc_lo, 3, v66
	v_cndmask_b32_e64 v93, v93, v101, s3
	v_cmp_eq_u32_e64 s3, 4, v66
	s_delay_alu instid0(VALU_DEP_2) | instskip(SKIP_1) | instid1(VALU_DEP_2)
	v_cndmask_b32_e32 v93, v93, v102, vcc_lo
	v_cmp_eq_u32_e32 vcc_lo, 5, v66
	v_cndmask_b32_e64 v93, v93, v97, s3
	v_cmp_eq_u32_e64 s3, 6, v66
	s_delay_alu instid0(VALU_DEP_2) | instskip(SKIP_1) | instid1(VALU_DEP_1)
	v_cndmask_b32_e32 v93, v93, v95, vcc_lo
	v_div_scale_f32 v94, s4, 1.0, v90, 1.0
	s_mov_b32 vcc_lo, s4
	s_delay_alu instid0(VALU_DEP_2) | instskip(NEXT) | instid1(VALU_DEP_2)
	v_cndmask_b32_e64 v82, v93, v82, s3
	v_mul_f32_e32 v96, v94, v92
	s_mov_b32 s3, exec_lo
	s_delay_alu instid0(VALU_DEP_2) | instskip(NEXT) | instid1(VALU_DEP_2)
	v_cndmask_b32_e64 v82, v82, v89, s5
	v_fma_f32 v98, -v91, v96, v94
	s_delay_alu instid0(VALU_DEP_1) | instskip(NEXT) | instid1(VALU_DEP_1)
	v_fmac_f32_e32 v96, v98, v92
	v_fma_f32 v91, -v91, v96, v94
	s_delay_alu instid0(VALU_DEP_1) | instskip(NEXT) | instid1(VALU_DEP_1)
	v_div_fmas_f32 v91, v91, v92, v96
	v_div_fixup_f32 v90, v91, v90, 1.0
	s_delay_alu instid0(VALU_DEP_1) | instskip(NEXT) | instid1(VALU_DEP_1)
	v_mul_f32_e32 v82, v82, v90
	v_mul_f32_e32 v87, v82, v87
	;; [unrolled: 1-line block ×7, first 2 shown]
	v_dual_mul_f32 v86, v82, v83 :: v_dual_and_b32 v91, 0x7f800000, v90
	v_mul_f32_e32 v85, v82, v76
                                        ; implicit-def: $vgpr76
	s_delay_alu instid0(VALU_DEP_2)
	v_cmpx_ne_u32_e32 0x7f800000, v91
	s_xor_b32 s3, exec_lo, s3
; %bb.13:
	v_bfe_u32 v76, v90, 16, 1
	s_delay_alu instid0(VALU_DEP_1)
	v_add3_u32 v76, v90, v76, 0x7fff
                                        ; implicit-def: $vgpr90
; %bb.14:
	s_and_not1_saveexec_b32 s3, s3
; %bb.15:
	v_and_b32_e32 v76, 0xffff, v90
	v_or_b32_e32 v83, 0x10000, v90
	s_delay_alu instid0(VALU_DEP_2) | instskip(NEXT) | instid1(VALU_DEP_2)
	v_cmp_eq_u32_e32 vcc_lo, 0, v76
	v_cndmask_b32_e32 v76, v83, v90, vcc_lo
; %bb.16:
	s_or_b32 exec_lo, exec_lo, s3
	v_and_b32_e32 v83, 0x7f800000, v85
	s_delay_alu instid0(VALU_DEP_1) | instskip(SKIP_1) | instid1(SALU_CYCLE_1)
	v_cmp_ne_u32_e32 vcc_lo, 0x7f800000, v83
                                        ; implicit-def: $vgpr83
	s_and_saveexec_b32 s3, vcc_lo
	s_xor_b32 s3, exec_lo, s3
; %bb.17:
	v_bfe_u32 v83, v85, 16, 1
	s_delay_alu instid0(VALU_DEP_1)
	v_add3_u32 v83, v85, v83, 0x7fff
                                        ; implicit-def: $vgpr85
; %bb.18:
	s_and_not1_saveexec_b32 s3, s3
; %bb.19:
	v_and_b32_e32 v83, 0xffff, v85
	v_or_b32_e32 v90, 0x10000, v85
	s_delay_alu instid0(VALU_DEP_2) | instskip(NEXT) | instid1(VALU_DEP_2)
	v_cmp_eq_u32_e32 vcc_lo, 0, v83
	v_cndmask_b32_e32 v83, v90, v85, vcc_lo
; %bb.20:
	s_or_b32 exec_lo, exec_lo, s3
	v_and_b32_e32 v85, 0x7f800000, v86
	s_delay_alu instid0(VALU_DEP_1) | instskip(SKIP_1) | instid1(SALU_CYCLE_1)
	v_cmp_ne_u32_e32 vcc_lo, 0x7f800000, v85
                                        ; implicit-def: $vgpr85
	s_and_saveexec_b32 s3, vcc_lo
	s_xor_b32 s3, exec_lo, s3
; %bb.21:
	v_bfe_u32 v85, v86, 16, 1
	s_delay_alu instid0(VALU_DEP_1)
	v_add3_u32 v85, v86, v85, 0x7fff
                                        ; implicit-def: $vgpr86
; %bb.22:
	s_and_not1_saveexec_b32 s3, s3
; %bb.23:
	v_and_b32_e32 v85, 0xffff, v86
	v_or_b32_e32 v90, 0x10000, v86
	s_delay_alu instid0(VALU_DEP_2) | instskip(NEXT) | instid1(VALU_DEP_2)
	v_cmp_eq_u32_e32 vcc_lo, 0, v85
	v_cndmask_b32_e32 v85, v90, v86, vcc_lo
; %bb.24:
	s_or_b32 exec_lo, exec_lo, s3
	v_and_b32_e32 v86, 0x7f800000, v89
	s_delay_alu instid0(VALU_DEP_1) | instskip(SKIP_1) | instid1(SALU_CYCLE_1)
	v_cmp_ne_u32_e32 vcc_lo, 0x7f800000, v86
                                        ; implicit-def: $vgpr86
	s_and_saveexec_b32 s3, vcc_lo
	s_xor_b32 s3, exec_lo, s3
; %bb.25:
	v_bfe_u32 v86, v89, 16, 1
	s_delay_alu instid0(VALU_DEP_1)
	v_add3_u32 v86, v89, v86, 0x7fff
                                        ; implicit-def: $vgpr89
; %bb.26:
	s_and_not1_saveexec_b32 s3, s3
; %bb.27:
	v_and_b32_e32 v86, 0xffff, v89
	v_or_b32_e32 v90, 0x10000, v89
	s_delay_alu instid0(VALU_DEP_2) | instskip(NEXT) | instid1(VALU_DEP_2)
	v_cmp_eq_u32_e32 vcc_lo, 0, v86
	v_cndmask_b32_e32 v86, v90, v89, vcc_lo
; %bb.28:
	s_or_b32 exec_lo, exec_lo, s3
	v_and_b32_e32 v89, 0x7f800000, v88
	s_delay_alu instid0(VALU_DEP_1) | instskip(SKIP_1) | instid1(SALU_CYCLE_1)
	v_cmp_ne_u32_e32 vcc_lo, 0x7f800000, v89
                                        ; implicit-def: $vgpr89
	s_and_saveexec_b32 s3, vcc_lo
	s_xor_b32 s3, exec_lo, s3
; %bb.29:
	v_bfe_u32 v89, v88, 16, 1
	s_delay_alu instid0(VALU_DEP_1)
	v_add3_u32 v89, v88, v89, 0x7fff
                                        ; implicit-def: $vgpr88
; %bb.30:
	s_and_not1_saveexec_b32 s3, s3
; %bb.31:
	v_and_b32_e32 v89, 0xffff, v88
	v_or_b32_e32 v90, 0x10000, v88
	s_delay_alu instid0(VALU_DEP_2) | instskip(NEXT) | instid1(VALU_DEP_2)
	v_cmp_eq_u32_e32 vcc_lo, 0, v89
	v_cndmask_b32_e32 v89, v90, v88, vcc_lo
; %bb.32:
	s_or_b32 exec_lo, exec_lo, s3
	v_and_b32_e32 v88, 0x7f800000, v87
	s_delay_alu instid0(VALU_DEP_1) | instskip(SKIP_1) | instid1(SALU_CYCLE_1)
	v_cmp_ne_u32_e32 vcc_lo, 0x7f800000, v88
                                        ; implicit-def: $vgpr88
	s_and_saveexec_b32 s3, vcc_lo
	s_xor_b32 s3, exec_lo, s3
; %bb.33:
	v_bfe_u32 v88, v87, 16, 1
	s_delay_alu instid0(VALU_DEP_1)
	v_add3_u32 v88, v87, v88, 0x7fff
                                        ; implicit-def: $vgpr87
; %bb.34:
	s_and_not1_saveexec_b32 s3, s3
; %bb.35:
	v_and_b32_e32 v88, 0xffff, v87
	v_or_b32_e32 v90, 0x10000, v87
	s_delay_alu instid0(VALU_DEP_2) | instskip(NEXT) | instid1(VALU_DEP_2)
	v_cmp_eq_u32_e32 vcc_lo, 0, v88
	v_cndmask_b32_e32 v88, v90, v87, vcc_lo
; %bb.36:
	s_or_b32 exec_lo, exec_lo, s3
	v_and_b32_e32 v87, 0x7f800000, v84
	s_delay_alu instid0(VALU_DEP_1) | instskip(SKIP_1) | instid1(SALU_CYCLE_1)
	v_cmp_ne_u32_e32 vcc_lo, 0x7f800000, v87
                                        ; implicit-def: $vgpr87
	s_and_saveexec_b32 s3, vcc_lo
	s_xor_b32 s3, exec_lo, s3
; %bb.37:
	v_bfe_u32 v87, v84, 16, 1
	s_delay_alu instid0(VALU_DEP_1)
	v_add3_u32 v87, v84, v87, 0x7fff
                                        ; implicit-def: $vgpr84
; %bb.38:
	s_and_not1_saveexec_b32 s3, s3
; %bb.39:
	v_and_b32_e32 v87, 0xffff, v84
	v_or_b32_e32 v90, 0x10000, v84
	s_delay_alu instid0(VALU_DEP_2) | instskip(NEXT) | instid1(VALU_DEP_2)
	v_cmp_eq_u32_e32 vcc_lo, 0, v87
	v_cndmask_b32_e32 v87, v90, v84, vcc_lo
; %bb.40:
	s_or_b32 exec_lo, exec_lo, s3
	v_and_b32_e32 v84, 0x7f800000, v80
	s_delay_alu instid0(VALU_DEP_1) | instskip(SKIP_1) | instid1(SALU_CYCLE_1)
	v_cmp_ne_u32_e32 vcc_lo, 0x7f800000, v84
                                        ; implicit-def: $vgpr84
	s_and_saveexec_b32 s3, vcc_lo
	s_xor_b32 s3, exec_lo, s3
; %bb.41:
	v_bfe_u32 v84, v80, 16, 1
	s_delay_alu instid0(VALU_DEP_1)
	v_add3_u32 v84, v80, v84, 0x7fff
                                        ; implicit-def: $vgpr80
; %bb.42:
	s_and_not1_saveexec_b32 s3, s3
; %bb.43:
	v_and_b32_e32 v84, 0xffff, v80
	v_or_b32_e32 v90, 0x10000, v80
	s_delay_alu instid0(VALU_DEP_2) | instskip(NEXT) | instid1(VALU_DEP_2)
	v_cmp_eq_u32_e32 vcc_lo, 0, v84
	v_cndmask_b32_e32 v84, v90, v80, vcc_lo
; %bb.44:
	s_or_b32 exec_lo, exec_lo, s3
	s_load_b64 s[34:35], s[0:1], 0x94
	v_lshlrev_b32_e32 v91, 4, v74
	s_delay_alu instid0(VALU_DEP_2)
	v_perm_b32 v90, v84, v87, 0x7060302
	v_dual_mul_f32 v79, v82, v79 :: v_dual_lshlrev_b32 v80, 6, v65
	v_dual_mul_f32 v77, v82, v77 :: v_dual_lshlrev_b32 v92, 11, v66
	v_mul_f32_e32 v84, v82, v70
	v_perm_b32 v89, v88, v89, 0x7060302
	v_perm_b32 v88, v86, v85, 0x7060302
	;; [unrolled: 1-line block ×3, first 2 shown]
	v_mul_f32_e32 v70, v82, v81
	v_or3_b32 v76, v91, v92, v80
	v_dual_mul_f32 v78, v82, v78 :: v_dual_and_b32 v85, 0x7f800000, v84
	v_mul_f32_e32 v83, v82, v72
	v_mul_f32_e32 v81, v82, v71
	;; [unrolled: 1-line block ×3, first 2 shown]
	s_mov_b32 s3, exec_lo
	ds_store_b128 v76, v[87:90]
                                        ; implicit-def: $vgpr69
	v_cmpx_ne_u32_e32 0x7f800000, v85
	s_xor_b32 s3, exec_lo, s3
; %bb.45:
	v_bfe_u32 v69, v84, 16, 1
	s_delay_alu instid0(VALU_DEP_1)
	v_add3_u32 v69, v84, v69, 0x7fff
                                        ; implicit-def: $vgpr84
; %bb.46:
	s_and_not1_saveexec_b32 s3, s3
; %bb.47:
	v_and_b32_e32 v69, 0xffff, v84
	v_or_b32_e32 v71, 0x10000, v84
	s_delay_alu instid0(VALU_DEP_2) | instskip(NEXT) | instid1(VALU_DEP_2)
	v_cmp_eq_u32_e32 vcc_lo, 0, v69
	v_cndmask_b32_e32 v69, v71, v84, vcc_lo
; %bb.48:
	s_or_b32 exec_lo, exec_lo, s3
	v_and_b32_e32 v71, 0x7f800000, v72
	s_delay_alu instid0(VALU_DEP_1) | instskip(SKIP_1) | instid1(SALU_CYCLE_1)
	v_cmp_ne_u32_e32 vcc_lo, 0x7f800000, v71
                                        ; implicit-def: $vgpr71
	s_and_saveexec_b32 s3, vcc_lo
	s_xor_b32 s3, exec_lo, s3
; %bb.49:
	v_bfe_u32 v71, v72, 16, 1
	s_delay_alu instid0(VALU_DEP_1)
	v_add3_u32 v71, v72, v71, 0x7fff
                                        ; implicit-def: $vgpr72
; %bb.50:
	s_and_not1_saveexec_b32 s3, s3
; %bb.51:
	v_and_b32_e32 v71, 0xffff, v72
	v_or_b32_e32 v82, 0x10000, v72
	s_delay_alu instid0(VALU_DEP_2) | instskip(NEXT) | instid1(VALU_DEP_2)
	v_cmp_eq_u32_e32 vcc_lo, 0, v71
	v_cndmask_b32_e32 v71, v82, v72, vcc_lo
; %bb.52:
	s_or_b32 exec_lo, exec_lo, s3
	v_and_b32_e32 v72, 0x7f800000, v81
	s_delay_alu instid0(VALU_DEP_1) | instskip(SKIP_1) | instid1(SALU_CYCLE_1)
	v_cmp_ne_u32_e32 vcc_lo, 0x7f800000, v72
                                        ; implicit-def: $vgpr72
	s_and_saveexec_b32 s3, vcc_lo
	s_xor_b32 s3, exec_lo, s3
; %bb.53:
	v_bfe_u32 v72, v81, 16, 1
	s_delay_alu instid0(VALU_DEP_1)
	v_add3_u32 v72, v81, v72, 0x7fff
                                        ; implicit-def: $vgpr81
; %bb.54:
	s_and_not1_saveexec_b32 s3, s3
; %bb.55:
	v_and_b32_e32 v72, 0xffff, v81
	v_or_b32_e32 v82, 0x10000, v81
	s_delay_alu instid0(VALU_DEP_2) | instskip(NEXT) | instid1(VALU_DEP_2)
	v_cmp_eq_u32_e32 vcc_lo, 0, v72
	v_cndmask_b32_e32 v72, v82, v81, vcc_lo
; %bb.56:
	s_or_b32 exec_lo, exec_lo, s3
	v_and_b32_e32 v81, 0x7f800000, v83
	s_delay_alu instid0(VALU_DEP_1) | instskip(SKIP_1) | instid1(SALU_CYCLE_1)
	v_cmp_ne_u32_e32 vcc_lo, 0x7f800000, v81
                                        ; implicit-def: $vgpr81
	s_and_saveexec_b32 s3, vcc_lo
	s_xor_b32 s3, exec_lo, s3
; %bb.57:
	v_bfe_u32 v81, v83, 16, 1
	s_delay_alu instid0(VALU_DEP_1)
	v_add3_u32 v81, v83, v81, 0x7fff
                                        ; implicit-def: $vgpr83
; %bb.58:
	s_and_not1_saveexec_b32 s3, s3
; %bb.59:
	v_and_b32_e32 v81, 0xffff, v83
	v_or_b32_e32 v82, 0x10000, v83
	s_delay_alu instid0(VALU_DEP_2) | instskip(NEXT) | instid1(VALU_DEP_2)
	v_cmp_eq_u32_e32 vcc_lo, 0, v81
	v_cndmask_b32_e32 v81, v82, v83, vcc_lo
; %bb.60:
	s_or_b32 exec_lo, exec_lo, s3
	v_and_b32_e32 v82, 0x7f800000, v77
	s_delay_alu instid0(VALU_DEP_1) | instskip(SKIP_1) | instid1(SALU_CYCLE_1)
	v_cmp_ne_u32_e32 vcc_lo, 0x7f800000, v82
                                        ; implicit-def: $vgpr82
	s_and_saveexec_b32 s3, vcc_lo
	s_xor_b32 s3, exec_lo, s3
; %bb.61:
	v_bfe_u32 v82, v77, 16, 1
	s_delay_alu instid0(VALU_DEP_1)
	v_add3_u32 v82, v77, v82, 0x7fff
                                        ; implicit-def: $vgpr77
; %bb.62:
	s_and_not1_saveexec_b32 s3, s3
; %bb.63:
	v_and_b32_e32 v82, 0xffff, v77
	v_or_b32_e32 v83, 0x10000, v77
	s_delay_alu instid0(VALU_DEP_2) | instskip(NEXT) | instid1(VALU_DEP_2)
	v_cmp_eq_u32_e32 vcc_lo, 0, v82
	v_cndmask_b32_e32 v82, v83, v77, vcc_lo
; %bb.64:
	s_or_b32 exec_lo, exec_lo, s3
	v_and_b32_e32 v77, 0x7f800000, v78
	s_delay_alu instid0(VALU_DEP_1) | instskip(SKIP_1) | instid1(SALU_CYCLE_1)
	v_cmp_ne_u32_e32 vcc_lo, 0x7f800000, v77
                                        ; implicit-def: $vgpr77
	s_and_saveexec_b32 s3, vcc_lo
	s_xor_b32 s3, exec_lo, s3
; %bb.65:
	v_bfe_u32 v77, v78, 16, 1
	s_delay_alu instid0(VALU_DEP_1)
	v_add3_u32 v77, v78, v77, 0x7fff
                                        ; implicit-def: $vgpr78
; %bb.66:
	s_and_not1_saveexec_b32 s3, s3
; %bb.67:
	v_and_b32_e32 v77, 0xffff, v78
	v_or_b32_e32 v83, 0x10000, v78
	s_delay_alu instid0(VALU_DEP_2) | instskip(NEXT) | instid1(VALU_DEP_2)
	v_cmp_eq_u32_e32 vcc_lo, 0, v77
	v_cndmask_b32_e32 v77, v83, v78, vcc_lo
; %bb.68:
	s_or_b32 exec_lo, exec_lo, s3
	v_and_b32_e32 v78, 0x7f800000, v79
	s_delay_alu instid0(VALU_DEP_1) | instskip(SKIP_1) | instid1(SALU_CYCLE_1)
	v_cmp_ne_u32_e32 vcc_lo, 0x7f800000, v78
                                        ; implicit-def: $vgpr78
	s_and_saveexec_b32 s3, vcc_lo
	s_xor_b32 s3, exec_lo, s3
; %bb.69:
	v_bfe_u32 v78, v79, 16, 1
	s_delay_alu instid0(VALU_DEP_1)
	v_add3_u32 v78, v79, v78, 0x7fff
                                        ; implicit-def: $vgpr79
; %bb.70:
	s_and_not1_saveexec_b32 s3, s3
; %bb.71:
	v_and_b32_e32 v78, 0xffff, v79
	v_or_b32_e32 v83, 0x10000, v79
	s_delay_alu instid0(VALU_DEP_2) | instskip(NEXT) | instid1(VALU_DEP_2)
	v_cmp_eq_u32_e32 vcc_lo, 0, v78
	v_cndmask_b32_e32 v78, v83, v79, vcc_lo
; %bb.72:
	s_or_b32 exec_lo, exec_lo, s3
	v_and_b32_e32 v79, 0x7f800000, v70
	s_delay_alu instid0(VALU_DEP_1) | instskip(SKIP_1) | instid1(SALU_CYCLE_1)
	v_cmp_ne_u32_e32 vcc_lo, 0x7f800000, v79
                                        ; implicit-def: $vgpr79
	s_and_saveexec_b32 s3, vcc_lo
	s_xor_b32 s3, exec_lo, s3
; %bb.73:
	v_bfe_u32 v79, v70, 16, 1
	s_delay_alu instid0(VALU_DEP_1)
	v_add3_u32 v79, v70, v79, 0x7fff
                                        ; implicit-def: $vgpr70
; %bb.74:
	s_and_not1_saveexec_b32 s3, s3
; %bb.75:
	v_and_b32_e32 v79, 0xffff, v70
	v_or_b32_e32 v83, 0x10000, v70
	s_delay_alu instid0(VALU_DEP_2) | instskip(NEXT) | instid1(VALU_DEP_2)
	v_cmp_eq_u32_e32 vcc_lo, 0, v79
	v_cndmask_b32_e32 v79, v83, v70, vcc_lo
; %bb.76:
	s_or_b32 exec_lo, exec_lo, s3
	s_delay_alu instid0(VALU_DEP_1)
	v_perm_b32 v86, v79, v78, 0x7060302
	v_perm_b32 v85, v77, v82, 0x7060302
	;; [unrolled: 1-line block ×4, first 2 shown]
	v_lshl_or_b32 v82, v66, 11, v80
	ds_store_b128 v76, v[83:86] offset:1024
	s_waitcnt lgkmcnt(0)
	s_barrier
	buffer_gl0_inv
	ds_load_b128 v[69:72], v82
	ds_load_b128 v[83:86], v82 offset:16
	s_waitcnt lgkmcnt(1)
	v_lshrrev_b32_e32 v66, 16, v69
	s_waitcnt lgkmcnt(0)
	v_lshrrev_b32_e32 v91, 16, v83
	v_lshlrev_b32_e32 v78, 2, v74
	v_lshrrev_b32_e32 v95, 16, v70
	v_lshrrev_b32_e32 v98, 16, v84
	;; [unrolled: 1-line block ×4, first 2 shown]
	v_cmp_eq_u32_e32 vcc_lo, 1, v78
	v_lshrrev_b32_e32 v97, 16, v72
	v_lshrrev_b32_e32 v100, 16, v86
	v_cndmask_b32_e32 v87, v83, v91, vcc_lo
	v_or_b32_e32 v79, 1, v78
	v_cndmask_b32_e32 v81, v69, v66, vcc_lo
	v_cmp_eq_u32_e64 s4, 2, v78
	v_cmp_eq_u32_e64 s7, 3, v78
	;; [unrolled: 1-line block ×5, first 2 shown]
	v_cndmask_b32_e64 v81, v81, v70, s4
	v_cndmask_b32_e64 v87, v87, v84, s4
	v_cmp_eq_u32_e64 s8, 3, v79
	v_cndmask_b32_e64 v88, v69, v66, s3
	v_or_b32_e32 v77, 2, v78
	v_cndmask_b32_e64 v81, v81, v95, s7
	v_cndmask_b32_e64 v87, v87, v98, s7
	;; [unrolled: 1-line block ×4, first 2 shown]
	v_cmp_eq_u32_e64 s10, 5, v78
	v_cndmask_b32_e64 v81, v81, v71, s9
	v_cndmask_b32_e64 v87, v87, v85, s9
	v_cmp_eq_u32_e64 s11, 4, v79
	v_cndmask_b32_e64 v88, v88, v95, s8
	v_cmp_eq_u32_e64 s5, 1, v77
	v_cndmask_b32_e64 v89, v89, v84, s6
	v_cndmask_b32_e64 v81, v81, v96, s10
	v_cmp_eq_u32_e64 s12, 6, v78
	v_cndmask_b32_e64 v88, v88, v71, s11
	;; [unrolled: 3-line block ×3, first 2 shown]
	v_cndmask_b32_e64 v89, v89, v98, s8
	v_cndmask_b32_e64 v81, v81, v72, s12
	v_cmp_eq_u32_e64 s15, 7, v78
	v_cndmask_b32_e64 v88, v88, v96, s13
	v_cndmask_b32_e64 v87, v87, v86, s12
	v_cmp_eq_u32_e64 s16, 6, v79
	v_cmp_eq_u32_e64 s17, 2, v77
	v_cndmask_b32_e64 v89, v89, v85, s11
	v_cndmask_b32_e64 v101, v81, v97, s15
	;; [unrolled: 1-line block ×6, first 2 shown]
	v_cmp_eq_u32_e64 s18, 7, v79
	v_cmp_eq_u32_e64 s19, 3, v77
	;; [unrolled: 1-line block ×4, first 2 shown]
	v_cndmask_b32_e64 v87, v87, v84, s17
	v_cndmask_b32_e64 v103, v88, v97, s18
	;; [unrolled: 1-line block ×4, first 2 shown]
	v_or_b32_e32 v81, 3, v78
	v_cndmask_b32_e64 v93, v87, v98, s19
	v_cmp_eq_u32_e64 s24, 6, v77
	v_cndmask_b32_e64 v104, v88, v86, s16
	v_cndmask_b32_e64 v92, v89, v71, s20
	v_cmp_eq_u32_e64 s21, 1, v81
	ds_load_b128 v[87:90], v82 offset:1024
	v_cmp_eq_u32_e64 s23, 2, v81
	v_cmp_eq_u32_e64 s25, 3, v81
	v_cndmask_b32_e64 v105, v92, v96, s22
	v_cndmask_b32_e64 v66, v69, v66, s21
	;; [unrolled: 1-line block ×4, first 2 shown]
	ds_load_b128 v[91:94], v82 offset:1040
	v_cmp_eq_u32_e64 s26, 4, v81
	v_cndmask_b32_e64 v66, v66, v70, s23
	v_cmp_eq_u32_e64 s27, 7, v77
	v_cndmask_b32_e64 v70, v83, v84, s23
	v_cndmask_b32_e64 v84, v105, v72, s24
	v_cmp_eq_u32_e64 s28, 5, v81
	v_cndmask_b32_e64 v66, v66, v95, s25
	v_cmp_eq_u32_e64 s29, 6, v81
	v_cndmask_b32_e64 v70, v70, v98, s25
	v_cndmask_b32_e64 v69, v69, v99, s22
	;; [unrolled: 1-line block ×4, first 2 shown]
	s_waitcnt lgkmcnt(1)
	v_lshrrev_b32_e32 v95, 16, v87
	v_cndmask_b32_e64 v70, v70, v85, s26
	v_cndmask_b32_e64 v71, v84, v97, s27
	;; [unrolled: 1-line block ×4, first 2 shown]
	v_cndmask_b32_e32 v84, v87, v95, vcc_lo
	v_cndmask_b32_e64 v70, v70, v99, s28
	s_waitcnt lgkmcnt(0)
	v_lshrrev_b32_e32 v85, 16, v91
	v_lshrrev_b32_e32 v96, 16, v88
	v_cndmask_b32_e64 v98, v87, v95, s3
	v_cndmask_b32_e64 v84, v84, v88, s4
	;; [unrolled: 1-line block ×3, first 2 shown]
	v_cndmask_b32_e32 v99, v91, v85, vcc_lo
	v_cmp_eq_u32_e32 vcc_lo, 7, v81
	v_cndmask_b32_e64 v66, v66, v72, s29
	v_cndmask_b32_e64 v72, v84, v96, s7
	;; [unrolled: 1-line block ×3, first 2 shown]
	v_lshrrev_b32_e32 v98, 16, v92
	v_cndmask_b32_e32 v70, v70, v100, vcc_lo
	v_cndmask_b32_e64 v86, v99, v92, s4
	v_cndmask_b32_e64 v69, v69, v100, s27
	v_lshrrev_b32_e32 v100, 16, v93
	v_cndmask_b32_e64 v72, v72, v89, s9
	v_lshrrev_b32_e32 v99, 16, v89
	v_cndmask_b32_e64 v86, v86, v98, s7
	v_perm_b32 v71, v69, v71, 0x5040100
	v_cndmask_b32_e64 v84, v84, v96, s8
	s_delay_alu instid0(VALU_DEP_3) | instskip(NEXT) | instid1(VALU_DEP_2)
	v_cndmask_b32_e64 v86, v86, v93, s9
	v_cndmask_b32_e64 v84, v84, v89, s11
	s_delay_alu instid0(VALU_DEP_2) | instskip(NEXT) | instid1(VALU_DEP_1)
	v_cndmask_b32_e64 v86, v86, v100, s10
	v_cndmask_b32_e64 v69, v86, v94, s12
	;; [unrolled: 1-line block ×5, first 2 shown]
	s_delay_alu instid0(VALU_DEP_3) | instskip(NEXT) | instid1(VALU_DEP_3)
	v_cndmask_b32_e64 v86, v86, v88, s17
	v_cndmask_b32_e64 v87, v87, v88, s23
	s_delay_alu instid0(VALU_DEP_3) | instskip(NEXT) | instid1(VALU_DEP_3)
	v_cndmask_b32_e64 v88, v95, v92, s23
	v_cndmask_b32_e64 v86, v86, v96, s19
	;; [unrolled: 3-line block ×7, first 2 shown]
	s_delay_alu instid0(VALU_DEP_3) | instskip(SKIP_2) | instid1(VALU_DEP_2)
	v_cndmask_b32_e64 v88, v88, v94, s29
	v_cndmask_b32_e32 v66, v66, v97, vcc_lo
	v_cndmask_b32_e64 v97, v72, v99, s10
	v_perm_b32 v72, v70, v66, 0x5040100
	v_perm_b32 v70, v83, v103, 0x5040100
	v_cndmask_b32_e64 v103, v91, v85, s5
	v_cndmask_b32_e64 v85, v91, v85, s3
	;; [unrolled: 1-line block ×4, first 2 shown]
	v_lshrrev_b32_e32 v97, 16, v90
	v_cndmask_b32_e64 v91, v103, v92, s17
	v_cndmask_b32_e64 v85, v85, v92, s6
	;; [unrolled: 1-line block ×3, first 2 shown]
	s_mov_b32 s3, exec_lo
	v_cndmask_b32_e64 v83, v84, v97, s15
	v_cndmask_b32_e64 v91, v91, v98, s19
	;; [unrolled: 1-line block ×3, first 2 shown]
	v_lshrrev_b32_e32 v84, 16, v94
	v_cndmask_b32_e64 v66, v66, v97, s18
	v_cndmask_b32_e64 v90, v86, v97, s27
	;; [unrolled: 1-line block ×4, first 2 shown]
	v_dual_cndmask_b32 v86, v87, v97 :: v_dual_cndmask_b32 v87, v88, v84
	v_cndmask_b32_e64 v91, v69, v84, s15
	s_delay_alu instid0(VALU_DEP_4) | instskip(NEXT) | instid1(VALU_DEP_4)
	v_cndmask_b32_e64 v89, v89, v100, s22
	v_cndmask_b32_e64 v85, v85, v100, s13
	v_perm_b32 v69, v102, v101, 0x5040100
	v_perm_b32 v86, v87, v86, 0x5040100
	;; [unrolled: 1-line block ×3, first 2 shown]
	v_cndmask_b32_e64 v89, v89, v94, s24
	v_cndmask_b32_e64 v85, v85, v94, s16
	s_mul_i32 s8, s35, 12
	s_delay_alu instid0(VALU_DEP_2) | instskip(NEXT) | instid1(VALU_DEP_2)
	v_cndmask_b32_e64 v88, v89, v84, s27
	v_cndmask_b32_e64 v89, v85, v84, s18
	s_delay_alu instid0(VALU_DEP_2) | instskip(NEXT) | instid1(VALU_DEP_2)
	v_perm_b32 v85, v88, v90, 0x5040100
	v_perm_b32 v84, v89, v66, 0x5040100
	ds_store_b128 v76, v[69:72]
	ds_store_b128 v76, v[83:86] offset:1024
	v_cmpx_gt_u32_e32 12, v0
	s_cbranch_execz .LBB1357_78
; %bb.77:
	s_mul_i32 s4, s8, s30
	s_delay_alu instid0(SALU_CYCLE_1) | instskip(SKIP_1) | instid1(VALU_DEP_1)
	v_add3_u32 v69, s4, s31, v65
	s_load_b128 s[4:7], s[0:1], 0x58
	v_mad_u64_u32 v[65:66], null, v69, s34, s[14:15]
	s_delay_alu instid0(VALU_DEP_1) | instskip(NEXT) | instid1(VALU_DEP_1)
	v_ashrrev_i32_e32 v66, 31, v65
	v_lshlrev_b64 v[65:66], 2, v[65:66]
	s_waitcnt lgkmcnt(0)
	s_delay_alu instid0(VALU_DEP_1) | instskip(NEXT) | instid1(VALU_DEP_2)
	v_add_co_u32 v69, vcc_lo, s6, v65
	v_add_co_ci_u32_e32 v70, vcc_lo, s7, v66, vcc_lo
	v_add_co_u32 v65, vcc_lo, s4, v65
	v_add_co_ci_u32_e32 v66, vcc_lo, s5, v66, vcc_lo
	global_store_b32 v[69:70], v67, off
	global_store_b32 v[65:66], v68, off
.LBB1357_78:
	s_or_b32 exec_lo, exec_lo, s3
	s_waitcnt lgkmcnt(0)
	s_waitcnt_vscnt null, 0x0
	s_barrier
	buffer_gl0_inv
	ds_load_b128 v[83:86], v80
	ds_load_b128 v[87:90], v80 offset:16
	ds_load_b128 v[95:98], v80 offset:2064
	;; [unrolled: 1-line block ×3, first 2 shown]
	v_mov_b32_e32 v65, 0
	ds_load_b128 v[103:106], v80 offset:4112
	ds_load_b128 v[99:102], v80 offset:4096
	;; [unrolled: 1-line block ×4, first 2 shown]
	v_mov_b32_e32 v66, v65
	v_mov_b32_e32 v67, v65
	;; [unrolled: 1-line block ×7, first 2 shown]
	s_waitcnt lgkmcnt(6)
	s_delay_alu instid0(VALU_DEP_1)
	v_wmma_f32_16x16x16_bf16 v[65:72], v[57:64], v[83:90], v[65:72]
	ds_load_b128 v[61:64], v80 offset:8208
	ds_load_b128 v[57:60], v80 offset:8192
	s_waitcnt lgkmcnt(6)
	v_wmma_f32_16x16x16_bf16 v[65:72], v[41:48], v[91:98], v[65:72]
	ds_load_b128 v[45:48], v80 offset:10256
	ds_load_b128 v[41:44], v80 offset:10240
	s_waitcnt lgkmcnt(6)
	;; [unrolled: 4-line block ×4, first 2 shown]
	v_wmma_f32_16x16x16_bf16 v[65:72], v[1:8], v[57:64], v[65:72]
	s_waitcnt lgkmcnt(4)
	s_delay_alu instid0(VALU_DEP_1) | instskip(SKIP_1) | instid1(VALU_DEP_1)
	v_wmma_f32_16x16x16_bf16 v[65:72], v[9:16], v[41:48], v[65:72]
	s_waitcnt lgkmcnt(2)
	v_wmma_f32_16x16x16_bf16 v[65:72], v[17:24], v[33:40], v[65:72]
	s_waitcnt lgkmcnt(0)
	s_delay_alu instid0(VALU_DEP_1) | instskip(NEXT) | instid1(VALU_DEP_1)
	v_wmma_f32_16x16x16_bf16 v[65:72], v[49:56], v[25:32], v[65:72]
	v_and_b32_e32 v1, 0x7f800000, v65
	s_delay_alu instid0(VALU_DEP_1) | instskip(SKIP_1) | instid1(SALU_CYCLE_1)
	v_cmp_ne_u32_e32 vcc_lo, 0x7f800000, v1
                                        ; implicit-def: $vgpr1
	s_and_saveexec_b32 s3, vcc_lo
	s_xor_b32 s3, exec_lo, s3
; %bb.79:
	v_bfe_u32 v1, v65, 16, 1
	s_delay_alu instid0(VALU_DEP_1)
	v_add3_u32 v1, v65, v1, 0x7fff
; %bb.80:
	s_and_not1_saveexec_b32 s3, s3
; %bb.81:
	v_and_b32_e32 v1, 0xffff, v65
	v_or_b32_e32 v2, 0x10000, v65
	s_delay_alu instid0(VALU_DEP_2) | instskip(NEXT) | instid1(VALU_DEP_2)
	v_cmp_eq_u32_e32 vcc_lo, 0, v1
	v_cndmask_b32_e32 v1, v2, v65, vcc_lo
; %bb.82:
	s_or_b32 exec_lo, exec_lo, s3
	v_and_b32_e32 v2, 0x7f800000, v66
	s_delay_alu instid0(VALU_DEP_1) | instskip(SKIP_1) | instid1(SALU_CYCLE_1)
	v_cmp_ne_u32_e32 vcc_lo, 0x7f800000, v2
                                        ; implicit-def: $vgpr2
	s_and_saveexec_b32 s3, vcc_lo
	s_xor_b32 s3, exec_lo, s3
; %bb.83:
	v_bfe_u32 v2, v66, 16, 1
	s_delay_alu instid0(VALU_DEP_1)
	v_add3_u32 v2, v66, v2, 0x7fff
; %bb.84:
	s_and_not1_saveexec_b32 s3, s3
; %bb.85:
	v_and_b32_e32 v2, 0xffff, v66
	v_or_b32_e32 v3, 0x10000, v66
	s_delay_alu instid0(VALU_DEP_2) | instskip(NEXT) | instid1(VALU_DEP_2)
	v_cmp_eq_u32_e32 vcc_lo, 0, v2
	v_cndmask_b32_e32 v2, v3, v66, vcc_lo
; %bb.86:
	s_or_b32 exec_lo, exec_lo, s3
	v_and_b32_e32 v3, 0x7f800000, v67
	s_delay_alu instid0(VALU_DEP_1) | instskip(SKIP_1) | instid1(SALU_CYCLE_1)
	v_cmp_ne_u32_e32 vcc_lo, 0x7f800000, v3
                                        ; implicit-def: $vgpr3
	s_and_saveexec_b32 s3, vcc_lo
	s_xor_b32 s3, exec_lo, s3
; %bb.87:
	v_bfe_u32 v3, v67, 16, 1
	s_delay_alu instid0(VALU_DEP_1)
	v_add3_u32 v3, v67, v3, 0x7fff
; %bb.88:
	s_and_not1_saveexec_b32 s3, s3
; %bb.89:
	v_and_b32_e32 v3, 0xffff, v67
	v_or_b32_e32 v4, 0x10000, v67
	s_delay_alu instid0(VALU_DEP_2) | instskip(NEXT) | instid1(VALU_DEP_2)
	v_cmp_eq_u32_e32 vcc_lo, 0, v3
	v_cndmask_b32_e32 v3, v4, v67, vcc_lo
; %bb.90:
	s_or_b32 exec_lo, exec_lo, s3
	v_and_b32_e32 v4, 0x7f800000, v68
	s_delay_alu instid0(VALU_DEP_1) | instskip(SKIP_1) | instid1(SALU_CYCLE_1)
	v_cmp_ne_u32_e32 vcc_lo, 0x7f800000, v4
                                        ; implicit-def: $vgpr4
	s_and_saveexec_b32 s3, vcc_lo
	s_xor_b32 s3, exec_lo, s3
; %bb.91:
	v_bfe_u32 v4, v68, 16, 1
	s_delay_alu instid0(VALU_DEP_1)
	v_add3_u32 v4, v68, v4, 0x7fff
; %bb.92:
	s_and_not1_saveexec_b32 s3, s3
; %bb.93:
	v_and_b32_e32 v4, 0xffff, v68
	v_or_b32_e32 v5, 0x10000, v68
	s_delay_alu instid0(VALU_DEP_2) | instskip(NEXT) | instid1(VALU_DEP_2)
	v_cmp_eq_u32_e32 vcc_lo, 0, v4
	v_cndmask_b32_e32 v4, v5, v68, vcc_lo
; %bb.94:
	s_or_b32 exec_lo, exec_lo, s3
	v_and_b32_e32 v5, 0x7f800000, v69
	s_delay_alu instid0(VALU_DEP_1) | instskip(SKIP_1) | instid1(SALU_CYCLE_1)
	v_cmp_ne_u32_e32 vcc_lo, 0x7f800000, v5
                                        ; implicit-def: $vgpr5
	s_and_saveexec_b32 s3, vcc_lo
	s_xor_b32 s3, exec_lo, s3
; %bb.95:
	v_bfe_u32 v5, v69, 16, 1
	s_delay_alu instid0(VALU_DEP_1)
	v_add3_u32 v5, v69, v5, 0x7fff
; %bb.96:
	s_and_not1_saveexec_b32 s3, s3
; %bb.97:
	v_and_b32_e32 v5, 0xffff, v69
	v_or_b32_e32 v6, 0x10000, v69
	s_delay_alu instid0(VALU_DEP_2) | instskip(NEXT) | instid1(VALU_DEP_2)
	v_cmp_eq_u32_e32 vcc_lo, 0, v5
	v_cndmask_b32_e32 v5, v6, v69, vcc_lo
; %bb.98:
	s_or_b32 exec_lo, exec_lo, s3
	v_and_b32_e32 v6, 0x7f800000, v70
	s_delay_alu instid0(VALU_DEP_1) | instskip(SKIP_1) | instid1(SALU_CYCLE_1)
	v_cmp_ne_u32_e32 vcc_lo, 0x7f800000, v6
                                        ; implicit-def: $vgpr6
	s_and_saveexec_b32 s3, vcc_lo
	s_xor_b32 s3, exec_lo, s3
; %bb.99:
	v_bfe_u32 v6, v70, 16, 1
	s_delay_alu instid0(VALU_DEP_1)
	v_add3_u32 v6, v70, v6, 0x7fff
; %bb.100:
	s_and_not1_saveexec_b32 s3, s3
; %bb.101:
	v_and_b32_e32 v6, 0xffff, v70
	v_or_b32_e32 v7, 0x10000, v70
	s_delay_alu instid0(VALU_DEP_2) | instskip(NEXT) | instid1(VALU_DEP_2)
	v_cmp_eq_u32_e32 vcc_lo, 0, v6
	v_cndmask_b32_e32 v6, v7, v70, vcc_lo
; %bb.102:
	s_or_b32 exec_lo, exec_lo, s3
	v_and_b32_e32 v7, 0x7f800000, v71
	s_delay_alu instid0(VALU_DEP_1) | instskip(SKIP_1) | instid1(SALU_CYCLE_1)
	v_cmp_ne_u32_e32 vcc_lo, 0x7f800000, v7
                                        ; implicit-def: $vgpr7
	s_and_saveexec_b32 s3, vcc_lo
	s_xor_b32 s3, exec_lo, s3
; %bb.103:
	v_bfe_u32 v7, v71, 16, 1
	s_delay_alu instid0(VALU_DEP_1)
	v_add3_u32 v7, v71, v7, 0x7fff
; %bb.104:
	s_and_not1_saveexec_b32 s3, s3
; %bb.105:
	v_and_b32_e32 v7, 0xffff, v71
	v_or_b32_e32 v8, 0x10000, v71
	s_delay_alu instid0(VALU_DEP_2) | instskip(NEXT) | instid1(VALU_DEP_2)
	v_cmp_eq_u32_e32 vcc_lo, 0, v7
	v_cndmask_b32_e32 v7, v8, v71, vcc_lo
; %bb.106:
	s_or_b32 exec_lo, exec_lo, s3
	v_and_b32_e32 v8, 0x7f800000, v72
	s_delay_alu instid0(VALU_DEP_1) | instskip(SKIP_1) | instid1(SALU_CYCLE_1)
	v_cmp_ne_u32_e32 vcc_lo, 0x7f800000, v8
                                        ; implicit-def: $vgpr8
	s_and_saveexec_b32 s3, vcc_lo
	s_xor_b32 s3, exec_lo, s3
; %bb.107:
	v_bfe_u32 v8, v72, 16, 1
	s_delay_alu instid0(VALU_DEP_1)
	v_add3_u32 v8, v72, v8, 0x7fff
                                        ; implicit-def: $vgpr65_vgpr66_vgpr67_vgpr68_vgpr69_vgpr70_vgpr71_vgpr72
; %bb.108:
	s_and_not1_saveexec_b32 s3, s3
; %bb.109:
	v_and_b32_e32 v8, 0xffff, v72
	v_or_b32_e32 v9, 0x10000, v72
	s_delay_alu instid0(VALU_DEP_2) | instskip(NEXT) | instid1(VALU_DEP_2)
	v_cmp_eq_u32_e32 vcc_lo, 0, v8
	v_cndmask_b32_e32 v8, v9, v72, vcc_lo
; %bb.110:
	s_or_b32 exec_lo, exec_lo, s3
	s_delay_alu instid0(VALU_DEP_1)
	v_perm_b32 v7, v8, v7, 0x7060302
	v_perm_b32 v6, v6, v5, 0x7060302
	;; [unrolled: 1-line block ×4, first 2 shown]
	s_barrier
	buffer_gl0_inv
	v_cmp_eq_u32_e32 vcc_lo, 1, v78
	ds_store_b128 v76, v[4:7]
	s_waitcnt lgkmcnt(0)
	s_barrier
	buffer_gl0_inv
	ds_load_b128 v[1:4], v82
	ds_load_b128 v[5:8], v82 offset:16
	v_cmp_eq_u32_e64 s3, 1, v79
	v_cmp_eq_u32_e64 s4, 2, v78
	;; [unrolled: 1-line block ×5, first 2 shown]
	s_waitcnt lgkmcnt(1)
	v_lshrrev_b32_e32 v9, 16, v1
	s_waitcnt lgkmcnt(0)
	v_lshrrev_b32_e32 v13, 16, v5
	v_lshrrev_b32_e32 v10, 16, v2
	;; [unrolled: 1-line block ×4, first 2 shown]
	v_cndmask_b32_e64 v19, v1, v9, s3
	v_cndmask_b32_e32 v18, v5, v13, vcc_lo
	v_cndmask_b32_e64 v20, v5, v13, s3
	v_cndmask_b32_e32 v17, v1, v9, vcc_lo
	v_cmp_eq_u32_e32 vcc_lo, 2, v79
	v_lshrrev_b32_e32 v15, 16, v7
	v_cmp_eq_u32_e64 s3, 1, v77
	v_lshrrev_b32_e32 v12, 16, v4
	v_lshrrev_b32_e32 v16, 16, v8
	v_cndmask_b32_e32 v20, v20, v6, vcc_lo
	v_cndmask_b32_e64 v17, v17, v2, s4
	v_cndmask_b32_e32 v19, v19, v2, vcc_lo
	v_cndmask_b32_e64 v18, v18, v6, s4
	v_cmp_eq_u32_e32 vcc_lo, 4, v78
	v_cmp_eq_u32_e64 s4, 3, v79
	v_cndmask_b32_e64 v17, v17, v10, s5
	v_cndmask_b32_e64 v21, v1, v9, s3
	;; [unrolled: 1-line block ×5, first 2 shown]
	v_cndmask_b32_e32 v17, v17, v3, vcc_lo
	v_cndmask_b32_e64 v20, v20, v14, s4
	v_cndmask_b32_e32 v18, v18, v7, vcc_lo
	v_cmp_eq_u32_e32 vcc_lo, 4, v79
	v_cmp_eq_u32_e64 s4, 5, v79
	v_cmp_eq_u32_e64 s3, 2, v81
	v_cndmask_b32_e64 v21, v21, v2, s7
	v_cmp_eq_u32_e64 s5, 5, v78
	v_cndmask_b32_e32 v19, v19, v3, vcc_lo
	v_cndmask_b32_e32 v20, v20, v7, vcc_lo
	v_cmp_eq_u32_e32 vcc_lo, 6, v79
	s_delay_alu instid0(VALU_DEP_4) | instskip(NEXT) | instid1(VALU_DEP_4)
	v_cndmask_b32_e64 v17, v17, v11, s5
	v_cndmask_b32_e64 v19, v19, v11, s4
	s_delay_alu instid0(VALU_DEP_4) | instskip(SKIP_1) | instid1(VALU_DEP_3)
	v_cndmask_b32_e64 v20, v20, v15, s4
	v_cmp_eq_u32_e64 s4, 1, v81
	v_cndmask_b32_e32 v19, v19, v4, vcc_lo
	v_cndmask_b32_e64 v18, v18, v15, s5
	s_delay_alu instid0(VALU_DEP_3)
	v_cndmask_b32_e64 v1, v1, v9, s4
	v_cndmask_b32_e64 v5, v5, v13, s4
	v_cmp_eq_u32_e64 s4, 3, v77
	v_cndmask_b32_e64 v13, v22, v6, s7
	v_cmp_eq_u32_e64 s7, 3, v81
	v_cndmask_b32_e64 v1, v1, v2, s3
	v_cndmask_b32_e64 v2, v5, v6, s3
	;; [unrolled: 1-line block ×3, first 2 shown]
	v_cmp_eq_u32_e64 s3, 4, v77
	v_cndmask_b32_e64 v6, v13, v14, s4
	v_cndmask_b32_e64 v1, v1, v10, s7
	v_cmp_eq_u32_e64 s4, 4, v81
	v_cndmask_b32_e64 v2, v2, v14, s7
	v_cndmask_b32_e64 v5, v9, v3, s3
	;; [unrolled: 3-line block ×3, first 2 shown]
	v_cndmask_b32_e64 v2, v2, v7, s4
	v_cmp_eq_u32_e64 s3, 5, v81
	v_cmp_eq_u32_e64 s5, 6, v78
	v_cndmask_b32_e64 v5, v5, v11, s7
	v_cmp_eq_u32_e64 s4, 6, v77
	v_cndmask_b32_e64 v3, v6, v15, s7
	v_cndmask_b32_e64 v1, v1, v11, s3
	v_cmp_eq_u32_e64 s7, 6, v81
	v_cndmask_b32_e64 v2, v2, v15, s3
	v_cndmask_b32_e64 v17, v17, v4, s5
	v_cndmask_b32_e64 v18, v18, v8, s5
	v_cmp_eq_u32_e64 s5, 7, v78
	v_cndmask_b32_e64 v5, v5, v4, s4
	;; [unrolled: 4-line block ×3, first 2 shown]
	v_cmp_eq_u32_e64 s4, 7, v77
	v_cndmask_b32_e32 v4, v20, v8, vcc_lo
	v_cndmask_b32_e64 v17, v17, v12, s5
	v_cndmask_b32_e64 v19, v19, v12, s6
	;; [unrolled: 1-line block ×8, first 2 shown]
	v_cmp_gt_u32_e32 vcc_lo, 32, v0
	v_perm_b32 v4, v2, v1, 0x5040100
	v_perm_b32 v3, v3, v5, 0x5040100
	;; [unrolled: 1-line block ×4, first 2 shown]
	s_and_b32 s2, vcc_lo, s2
	ds_store_b128 v76, v[1:4]
	s_waitcnt lgkmcnt(0)
	s_barrier
	buffer_gl0_inv
	s_and_saveexec_b32 s3, s2
	s_cbranch_execz .LBB1357_2
; %bb.111:
	s_load_b64 s[0:1], s[0:1], 0x68
	v_lshlrev_b32_e32 v0, 10, v0
	s_lshl_b32 s4, s34, 6
	v_or_b32_e32 v3, s31, v74
	s_mul_i32 s2, s4, s30
	v_lshlrev_b32_e32 v1, 4, v75
	s_mul_i32 s2, s2, s8
	v_lshlrev_b32_e32 v2, 6, v74
	v_and_b32_e32 v0, 0x3800, v0
	s_ashr_i32 s3, s2, 31
	v_mul_lo_u32 v4, v3, s4
	s_lshl_b64 s[2:3], s[2:3], 1
	s_delay_alu instid0(VALU_DEP_2) | instskip(NEXT) | instid1(VALU_DEP_2)
	v_or3_b32 v16, v0, v1, v2
	v_ashrrev_i32_e32 v5, 31, v4
	ds_load_b128 v[0:3], v16
	s_waitcnt lgkmcnt(0)
	s_add_u32 s2, s0, s2
	s_addc_u32 s3, s1, s3
	s_lshl_b32 s0, s14, 6
	v_lshlrev_b64 v[5:6], 1, v[4:5]
	s_ashr_i32 s1, s0, 31
	s_delay_alu instid0(SALU_CYCLE_1) | instskip(NEXT) | instid1(SALU_CYCLE_1)
	s_lshl_b64 s[0:1], s[0:1], 1
	s_add_u32 s0, s2, s0
	s_addc_u32 s1, s3, s1
	s_lshl_b32 s2, s34, 7
	v_add_co_u32 v30, s0, s0, v73
	v_add_nc_u32_e32 v8, s2, v4
	v_add_co_ci_u32_e64 v31, null, s1, 0, s0
	s_delay_alu instid0(VALU_DEP_3) | instskip(NEXT) | instid1(VALU_DEP_3)
	v_add_co_u32 v12, vcc_lo, v30, v5
	v_add_nc_u32_e32 v10, s2, v8
	v_ashrrev_i32_e32 v9, 31, v8
	s_delay_alu instid0(VALU_DEP_4)
	v_add_co_ci_u32_e32 v13, vcc_lo, v31, v6, vcc_lo
	ds_load_b128 v[4:7], v16 offset:128
	v_ashrrev_i32_e32 v11, 31, v10
	v_lshlrev_b64 v[8:9], 1, v[8:9]
	v_add_nc_u32_e32 v14, s2, v10
	global_store_b128 v[12:13], v[0:3], off
	v_lshlrev_b64 v[0:1], 1, v[10:11]
	v_ashrrev_i32_e32 v15, 31, v14
	v_add_co_u32 v22, vcc_lo, v30, v8
	v_add_nc_u32_e32 v20, s2, v14
	v_add_co_ci_u32_e32 v23, vcc_lo, v31, v9, vcc_lo
	v_add_co_u32 v26, vcc_lo, v30, v0
	v_lshlrev_b64 v[24:25], 1, v[14:15]
	v_add_co_ci_u32_e32 v27, vcc_lo, v31, v1, vcc_lo
	ds_load_b128 v[0:3], v16 offset:256
	ds_load_b128 v[8:11], v16 offset:384
	;; [unrolled: 1-line block ×4, first 2 shown]
	v_add_nc_u32_e32 v28, s2, v20
	v_ashrrev_i32_e32 v21, 31, v20
	v_add_co_u32 v24, vcc_lo, v30, v24
	v_add_co_ci_u32_e32 v25, vcc_lo, v31, v25, vcc_lo
	s_delay_alu instid0(VALU_DEP_4) | instskip(NEXT) | instid1(VALU_DEP_4)
	v_ashrrev_i32_e32 v29, 31, v28
	v_lshlrev_b64 v[20:21], 1, v[20:21]
	s_delay_alu instid0(VALU_DEP_2) | instskip(NEXT) | instid1(VALU_DEP_2)
	v_lshlrev_b64 v[28:29], 1, v[28:29]
	v_add_co_u32 v20, vcc_lo, v30, v20
	s_delay_alu instid0(VALU_DEP_3) | instskip(NEXT) | instid1(VALU_DEP_3)
	v_add_co_ci_u32_e32 v21, vcc_lo, v31, v21, vcc_lo
	v_add_co_u32 v28, vcc_lo, v30, v28
	s_delay_alu instid0(VALU_DEP_4)
	v_add_co_ci_u32_e32 v29, vcc_lo, v31, v29, vcc_lo
	s_waitcnt lgkmcnt(4)
	global_store_b128 v[22:23], v[4:7], off
	s_waitcnt lgkmcnt(3)
	global_store_b128 v[26:27], v[0:3], off
	;; [unrolled: 2-line block ×5, first 2 shown]
	s_nop 0
	s_sendmsg sendmsg(MSG_DEALLOC_VGPRS)
	s_endpgm
	.section	.rodata,"a",@progbits
	.p2align	6, 0x0
	.amdhsa_kernel _Z39paged_attention_ll4mi_QKV_mfma16_kernelI14__hip_bfloat16hLN4vllm18Fp8KVCacheDataTypeE1EhLi16ELi64ELi256ELb1ELi12EL8MFMAType1EEvPKT_PKT0_S9_ifPKiSB_SB_iPKfiiiPfSE_PS4_PT2_iSD_SD_
		.amdhsa_group_segment_fixed_size 17472
		.amdhsa_private_segment_fixed_size 0
		.amdhsa_kernarg_size 400
		.amdhsa_user_sgpr_count 13
		.amdhsa_user_sgpr_dispatch_ptr 0
		.amdhsa_user_sgpr_queue_ptr 0
		.amdhsa_user_sgpr_kernarg_segment_ptr 1
		.amdhsa_user_sgpr_dispatch_id 0
		.amdhsa_user_sgpr_private_segment_size 0
		.amdhsa_wavefront_size32 1
		.amdhsa_uses_dynamic_stack 0
		.amdhsa_enable_private_segment 0
		.amdhsa_system_sgpr_workgroup_id_x 1
		.amdhsa_system_sgpr_workgroup_id_y 1
		.amdhsa_system_sgpr_workgroup_id_z 1
		.amdhsa_system_sgpr_workgroup_info 0
		.amdhsa_system_vgpr_workitem_id 0
		.amdhsa_next_free_vgpr 124
		.amdhsa_next_free_sgpr 38
		.amdhsa_reserve_vcc 1
		.amdhsa_float_round_mode_32 0
		.amdhsa_float_round_mode_16_64 0
		.amdhsa_float_denorm_mode_32 3
		.amdhsa_float_denorm_mode_16_64 3
		.amdhsa_dx10_clamp 1
		.amdhsa_ieee_mode 1
		.amdhsa_fp16_overflow 0
		.amdhsa_workgroup_processor_mode 1
		.amdhsa_memory_ordered 1
		.amdhsa_forward_progress 0
		.amdhsa_shared_vgpr_count 0
		.amdhsa_exception_fp_ieee_invalid_op 0
		.amdhsa_exception_fp_denorm_src 0
		.amdhsa_exception_fp_ieee_div_zero 0
		.amdhsa_exception_fp_ieee_overflow 0
		.amdhsa_exception_fp_ieee_underflow 0
		.amdhsa_exception_fp_ieee_inexact 0
		.amdhsa_exception_int_div_zero 0
	.end_amdhsa_kernel
	.section	.text._Z39paged_attention_ll4mi_QKV_mfma16_kernelI14__hip_bfloat16hLN4vllm18Fp8KVCacheDataTypeE1EhLi16ELi64ELi256ELb1ELi12EL8MFMAType1EEvPKT_PKT0_S9_ifPKiSB_SB_iPKfiiiPfSE_PS4_PT2_iSD_SD_,"axG",@progbits,_Z39paged_attention_ll4mi_QKV_mfma16_kernelI14__hip_bfloat16hLN4vllm18Fp8KVCacheDataTypeE1EhLi16ELi64ELi256ELb1ELi12EL8MFMAType1EEvPKT_PKT0_S9_ifPKiSB_SB_iPKfiiiPfSE_PS4_PT2_iSD_SD_,comdat
.Lfunc_end1357:
	.size	_Z39paged_attention_ll4mi_QKV_mfma16_kernelI14__hip_bfloat16hLN4vllm18Fp8KVCacheDataTypeE1EhLi16ELi64ELi256ELb1ELi12EL8MFMAType1EEvPKT_PKT0_S9_ifPKiSB_SB_iPKfiiiPfSE_PS4_PT2_iSD_SD_, .Lfunc_end1357-_Z39paged_attention_ll4mi_QKV_mfma16_kernelI14__hip_bfloat16hLN4vllm18Fp8KVCacheDataTypeE1EhLi16ELi64ELi256ELb1ELi12EL8MFMAType1EEvPKT_PKT0_S9_ifPKiSB_SB_iPKfiiiPfSE_PS4_PT2_iSD_SD_
                                        ; -- End function
	.section	.AMDGPU.csdata,"",@progbits
; Kernel info:
; codeLenInByte = 8808
; NumSgprs: 40
; NumVgprs: 124
; ScratchSize: 0
; MemoryBound: 0
; FloatMode: 240
; IeeeMode: 1
; LDSByteSize: 17472 bytes/workgroup (compile time only)
; SGPRBlocks: 4
; VGPRBlocks: 15
; NumSGPRsForWavesPerEU: 40
; NumVGPRsForWavesPerEU: 124
; Occupancy: 10
; WaveLimiterHint : 1
; COMPUTE_PGM_RSRC2:SCRATCH_EN: 0
; COMPUTE_PGM_RSRC2:USER_SGPR: 13
; COMPUTE_PGM_RSRC2:TRAP_HANDLER: 0
; COMPUTE_PGM_RSRC2:TGID_X_EN: 1
; COMPUTE_PGM_RSRC2:TGID_Y_EN: 1
; COMPUTE_PGM_RSRC2:TGID_Z_EN: 1
; COMPUTE_PGM_RSRC2:TIDIG_COMP_CNT: 0
	.section	.text._Z39paged_attention_ll4mi_QKV_mfma16_kernelI14__hip_bfloat16hLN4vllm18Fp8KVCacheDataTypeE1EhLi16ELi64ELi256ELb1ELi13EL8MFMAType1EEvPKT_PKT0_S9_ifPKiSB_SB_iPKfiiiPfSE_PS4_PT2_iSD_SD_,"axG",@progbits,_Z39paged_attention_ll4mi_QKV_mfma16_kernelI14__hip_bfloat16hLN4vllm18Fp8KVCacheDataTypeE1EhLi16ELi64ELi256ELb1ELi13EL8MFMAType1EEvPKT_PKT0_S9_ifPKiSB_SB_iPKfiiiPfSE_PS4_PT2_iSD_SD_,comdat
	.protected	_Z39paged_attention_ll4mi_QKV_mfma16_kernelI14__hip_bfloat16hLN4vllm18Fp8KVCacheDataTypeE1EhLi16ELi64ELi256ELb1ELi13EL8MFMAType1EEvPKT_PKT0_S9_ifPKiSB_SB_iPKfiiiPfSE_PS4_PT2_iSD_SD_ ; -- Begin function _Z39paged_attention_ll4mi_QKV_mfma16_kernelI14__hip_bfloat16hLN4vllm18Fp8KVCacheDataTypeE1EhLi16ELi64ELi256ELb1ELi13EL8MFMAType1EEvPKT_PKT0_S9_ifPKiSB_SB_iPKfiiiPfSE_PS4_PT2_iSD_SD_
	.globl	_Z39paged_attention_ll4mi_QKV_mfma16_kernelI14__hip_bfloat16hLN4vllm18Fp8KVCacheDataTypeE1EhLi16ELi64ELi256ELb1ELi13EL8MFMAType1EEvPKT_PKT0_S9_ifPKiSB_SB_iPKfiiiPfSE_PS4_PT2_iSD_SD_
	.p2align	8
	.type	_Z39paged_attention_ll4mi_QKV_mfma16_kernelI14__hip_bfloat16hLN4vllm18Fp8KVCacheDataTypeE1EhLi16ELi64ELi256ELb1ELi13EL8MFMAType1EEvPKT_PKT0_S9_ifPKiSB_SB_iPKfiiiPfSE_PS4_PT2_iSD_SD_,@function
_Z39paged_attention_ll4mi_QKV_mfma16_kernelI14__hip_bfloat16hLN4vllm18Fp8KVCacheDataTypeE1EhLi16ELi64ELi256ELb1ELi13EL8MFMAType1EEvPKT_PKT0_S9_ifPKiSB_SB_iPKfiiiPfSE_PS4_PT2_iSD_SD_: ; @_Z39paged_attention_ll4mi_QKV_mfma16_kernelI14__hip_bfloat16hLN4vllm18Fp8KVCacheDataTypeE1EhLi16ELi64ELi256ELb1ELi13EL8MFMAType1EEvPKT_PKT0_S9_ifPKiSB_SB_iPKfiiiPfSE_PS4_PT2_iSD_SD_
; %bb.0:
	s_load_b64 s[2:3], s[0:1], 0x30
	s_mov_b32 s34, s13
	s_waitcnt lgkmcnt(0)
	s_cmp_lg_u64 s[2:3], 0
	s_cselect_b32 s8, -1, 0
	s_ashr_i32 s35, s13, 31
	s_cmp_eq_u64 s[2:3], 0
	s_cbranch_scc1 .LBB1358_3
; %bb.1:
	s_lshl_b64 s[4:5], s[34:35], 2
	s_delay_alu instid0(SALU_CYCLE_1) | instskip(SKIP_4) | instid1(SALU_CYCLE_1)
	s_add_u32 s4, s2, s4
	s_addc_u32 s5, s3, s5
	s_load_b64 s[4:5], s[4:5], 0x0
	s_waitcnt lgkmcnt(0)
	s_sub_i32 s4, s5, s4
	s_cmp_eq_u32 s4, 1
	s_cselect_b32 s4, -1, 0
	s_delay_alu instid0(SALU_CYCLE_1)
	s_and_not1_b32 vcc_lo, exec_lo, s4
	s_cbranch_vccz .LBB1358_4
.LBB1358_2:
	s_nop 0
	s_sendmsg sendmsg(MSG_DEALLOC_VGPRS)
	s_endpgm
.LBB1358_3:
.LBB1358_4:
	s_load_b64 s[4:5], s[0:1], 0x28
	s_lshl_b64 s[6:7], s[34:35], 2
	s_waitcnt lgkmcnt(0)
	s_add_u32 s4, s4, s6
	s_addc_u32 s5, s5, s7
	s_lshl_b32 s12, s14, 8
	s_load_b32 s24, s[4:5], 0x0
	s_waitcnt lgkmcnt(0)
	s_cmp_ge_i32 s12, s24
	s_cbranch_scc1 .LBB1358_2
; %bb.5:
	s_clause 0x1
	s_load_b128 s[20:23], s[0:1], 0x8
	s_load_b64 s[4:5], s[0:1], 0x20
	s_and_not1_b32 vcc_lo, exec_lo, s8
	s_cbranch_vccnz .LBB1358_7
; %bb.6:
	s_add_u32 s2, s2, s6
	s_addc_u32 s3, s3, s7
	s_load_b32 s3, s[2:3], 0x0
	s_branch .LBB1358_8
.LBB1358_7:
	s_mov_b32 s3, s34
.LBB1358_8:
	s_load_b128 s[16:19], s[0:1], 0x48
	v_lshrrev_b32_e32 v66, 5, v0
	v_bfe_u32 v74, v0, 4, 1
	v_and_b32_e32 v65, 15, v0
	v_and_b32_e32 v67, 31, v0
	;; [unrolled: 1-line block ×3, first 2 shown]
	s_mul_i32 s31, s15, 13
	v_lshl_or_b32 v1, v66, 1, v74
	v_lshlrev_b32_e32 v2, 3, v65
	v_cmp_gt_u32_e64 s2, 8, v65
	s_delay_alu instid0(VALU_DEP_3) | instskip(NEXT) | instid1(VALU_DEP_3)
	v_cmp_gt_u32_e32 vcc_lo, 13, v1
	v_lshlrev_b32_e32 v73, 1, v2
	s_delay_alu instid0(VALU_DEP_3) | instskip(NEXT) | instid1(SALU_CYCLE_1)
	s_and_b32 s7, s2, vcc_lo
	s_and_saveexec_b32 s6, s7
	s_cbranch_execz .LBB1358_10
; %bb.9:
	s_load_b64 s[8:9], s[0:1], 0x0
	v_add_lshl_u32 v2, v1, s31, 6
	s_waitcnt lgkmcnt(0)
	s_mul_hi_i32 s11, s3, s16
	s_mul_i32 s10, s3, s16
	v_lshlrev_b32_e32 v6, 10, v65
	s_lshl_b64 s[10:11], s[10:11], 1
	v_ashrrev_i32_e32 v3, 31, v2
	v_lshlrev_b32_e32 v1, 6, v1
	v_lshlrev_b32_e32 v7, 10, v75
	v_and_b32_e32 v6, 0x3800, v6
	s_delay_alu instid0(VALU_DEP_4) | instskip(NEXT) | instid1(VALU_DEP_2)
	v_lshlrev_b64 v[2:3], 1, v[2:3]
	v_or3_b32 v1, v6, v7, v1
	s_add_u32 s3, s8, s10
	s_addc_u32 s7, s9, s11
	s_delay_alu instid0(VALU_DEP_2) | instskip(NEXT) | instid1(VALU_DEP_3)
	v_add_co_u32 v2, vcc_lo, s3, v2
	v_add_co_ci_u32_e32 v3, vcc_lo, s7, v3, vcc_lo
	s_delay_alu instid0(VALU_DEP_2) | instskip(NEXT) | instid1(VALU_DEP_2)
	v_add_co_u32 v2, vcc_lo, v2, v73
	v_add_co_ci_u32_e32 v3, vcc_lo, 0, v3, vcc_lo
	global_load_b128 v[2:5], v[2:3], off
	s_waitcnt vmcnt(0)
	ds_store_b128 v1, v[2:5]
.LBB1358_10:
	s_or_b32 exec_lo, exec_lo, s6
	v_and_b32_e32 v1, 0xef, v0
	s_waitcnt lgkmcnt(0)
	s_add_i32 s3, s24, 15
	s_clause 0x1
	s_load_b32 s6, s[0:1], 0x38
	s_load_b32 s19, s[0:1], 0x1c
	s_ashr_i32 s7, s3, 31
	v_add_nc_u32_e32 v1, s12, v1
	s_lshr_b32 s7, s7, 28
	s_waitcnt lgkmcnt(0)
	s_add_i32 s3, s3, s7
	s_barrier
	v_ashrrev_i32_e32 v2, 31, v1
	v_or_b32_e32 v3, 16, v1
	s_ashr_i32 s3, s3, 4
	v_cmp_gt_i32_e32 vcc_lo, s24, v1
	s_add_i32 s3, s3, -1
	v_lshrrev_b32_e32 v2, 28, v2
	buffer_gl0_inv
	s_mul_i32 s27, s15, s18
	v_add_nc_u32_e32 v4, v1, v2
	s_mul_i32 s6, s34, s6
	s_delay_alu instid0(SALU_CYCLE_1) | instskip(NEXT) | instid1(VALU_DEP_1)
	s_ashr_i32 s7, s6, 31
	v_ashrrev_i32_e32 v4, 4, v4
	v_add_nc_u32_e32 v2, v3, v2
	s_lshl_b64 s[6:7], s[6:7], 2
	s_delay_alu instid0(SALU_CYCLE_1) | instskip(NEXT) | instid1(VALU_DEP_2)
	s_add_u32 s26, s4, s6
	v_cndmask_b32_e32 v1, s3, v4, vcc_lo
	s_delay_alu instid0(VALU_DEP_2)
	v_ashrrev_i32_e32 v2, 4, v2
	v_cmp_gt_i32_e32 vcc_lo, s24, v3
	s_addc_u32 s25, s5, s7
	s_ashr_i32 s28, s27, 31
	s_add_u32 s13, s20, s27
	s_addc_u32 s15, s21, s28
	v_cndmask_b32_e32 v3, s3, v2, vcc_lo
	v_ashrrev_i32_e32 v2, 31, v1
	s_lshl_b32 s4, s14, 4
	s_delay_alu instid0(SALU_CYCLE_1) | instskip(NEXT) | instid1(VALU_DEP_2)
	s_ashr_i32 s5, s4, 31
	v_ashrrev_i32_e32 v4, 31, v3
	s_delay_alu instid0(VALU_DEP_2) | instskip(SKIP_1) | instid1(SALU_CYCLE_1)
	v_lshlrev_b64 v[1:2], 2, v[1:2]
	s_lshl_b64 s[4:5], s[4:5], 2
	s_add_u32 s4, s26, s4
	s_delay_alu instid0(VALU_DEP_2) | instskip(SKIP_1) | instid1(VALU_DEP_2)
	v_lshlrev_b64 v[3:4], 2, v[3:4]
	s_addc_u32 s5, s25, s5
	v_add_co_u32 v1, vcc_lo, s26, v1
	v_add_co_ci_u32_e32 v2, vcc_lo, s25, v2, vcc_lo
	s_delay_alu instid0(VALU_DEP_3) | instskip(NEXT) | instid1(VALU_DEP_4)
	v_add_co_u32 v3, vcc_lo, s26, v3
	v_add_co_ci_u32_e32 v4, vcc_lo, s25, v4, vcc_lo
	s_clause 0x1
	global_load_b32 v5, v[1:2], off
	global_load_b32 v7, v[3:4], off
	s_or_b32 s6, s12, 32
	v_lshlrev_b32_e32 v1, 4, v0
	s_ashr_i32 s7, s6, 4
	s_cmp_lt_i32 s6, s24
	v_cmp_gt_u32_e32 vcc_lo, 13, v65
	s_cselect_b32 s6, s7, s3
	v_and_b32_e32 v1, 0xf0, v1
	s_ashr_i32 s7, s6, 31
	s_delay_alu instid0(SALU_CYCLE_1) | instskip(NEXT) | instid1(SALU_CYCLE_1)
	s_lshl_b64 s[6:7], s[6:7], 2
	s_add_u32 s6, s26, s6
	s_addc_u32 s7, s25, s7
	s_or_b32 s8, s12, 64
	v_add_co_u32 v1, s13, s13, v1
	s_ashr_i32 s9, s8, 4
	s_cmp_lt_i32 s8, s24
	v_add_co_ci_u32_e64 v2, null, s15, 0, s13
	s_cselect_b32 s8, s9, s3
	s_delay_alu instid0(SALU_CYCLE_1) | instskip(NEXT) | instid1(SALU_CYCLE_1)
	s_ashr_i32 s9, s8, 31
	s_lshl_b64 s[8:9], s[8:9], 2
	s_delay_alu instid0(SALU_CYCLE_1) | instskip(SKIP_2) | instid1(SALU_CYCLE_1)
	s_add_u32 s8, s26, s8
	s_addc_u32 s9, s25, s9
	s_or_b32 s10, s12, 0x60
	s_ashr_i32 s11, s10, 4
	s_cmp_lt_i32 s10, s24
	s_cselect_b32 s10, s11, s3
	s_delay_alu instid0(SALU_CYCLE_1) | instskip(NEXT) | instid1(SALU_CYCLE_1)
	s_ashr_i32 s11, s10, 31
	s_lshl_b64 s[10:11], s[10:11], 2
	s_delay_alu instid0(SALU_CYCLE_1) | instskip(SKIP_2) | instid1(SALU_CYCLE_1)
	s_add_u32 s10, s26, s10
	s_addc_u32 s11, s25, s11
	s_or_b32 s16, s12, 0x80
	s_ashr_i32 s18, s16, 4
	s_cmp_lt_i32 s16, s24
	;; [unrolled: 10-line block ×3, first 2 shown]
	s_cselect_b32 s20, s18, s3
	s_delay_alu instid0(SALU_CYCLE_1) | instskip(NEXT) | instid1(SALU_CYCLE_1)
	s_ashr_i32 s21, s20, 31
	s_lshl_b64 s[20:21], s[20:21], 2
	s_delay_alu instid0(SALU_CYCLE_1)
	s_add_u32 s38, s26, s20
	s_addc_u32 s39, s25, s21
	s_clause 0x5
	s_load_b32 s21, s[4:5], 0x0
	s_load_b32 s13, s[6:7], 0x0
	;; [unrolled: 1-line block ×6, first 2 shown]
	s_or_b32 s8, s12, 0xc0
	s_mov_b32 s4, 0
	s_ashr_i32 s9, s8, 4
	s_cmp_lt_i32 s8, s24
	s_mov_b32 s11, s4
	s_cselect_b32 s36, s9, s3
	s_mov_b32 s5, s4
	s_ashr_i32 s37, s36, 31
	s_mov_b32 s6, s4
	s_lshl_b64 s[36:37], s[36:37], 2
	s_mov_b32 s7, s4
	s_add_u32 s36, s26, s36
	s_addc_u32 s37, s25, s37
	s_or_b32 s29, s12, 0xe0
	s_mov_b32 s8, s4
	s_ashr_i32 s30, s29, 4
	s_mov_b32 s9, s4
	s_mov_b32 s10, s4
	s_cmp_lt_i32 s29, s24
	v_dual_mov_b32 v107, s11 :: v_dual_mov_b32 v100, s4
	v_mov_b32_e32 v106, s10
	v_dual_mov_b32 v104, s8 :: v_dual_mov_b32 v103, s7
	v_dual_mov_b32 v102, s6 :: v_dual_mov_b32 v101, s5
	s_waitcnt vmcnt(1)
	v_mad_i64_i32 v[3:4], null, v5, s17, v[1:2]
	s_waitcnt vmcnt(0)
	v_mad_i64_i32 v[5:6], null, v7, s17, v[1:2]
	v_add_nc_u32_e32 v1, -13, v65
	v_lshlrev_b32_e32 v2, 4, v65
	s_clause 0x7
	global_load_b128 v[49:52], v[3:4], off
	global_load_b128 v[53:56], v[3:4], off offset:256
	global_load_b128 v[76:79], v[5:6], off
	global_load_b128 v[80:83], v[5:6], off offset:256
	global_load_b128 v[84:87], v[3:4], off offset:512
	;; [unrolled: 1-line block ×5, first 2 shown]
	v_cndmask_b32_e32 v1, v1, v65, vcc_lo
	v_mov_b32_e32 v105, s9
	s_cselect_b32 s4, s30, s3
	v_lshl_or_b32 v2, v66, 8, v2
	s_ashr_i32 s5, s4, 31
	v_lshlrev_b32_e32 v70, 6, v1
	s_lshl_b64 s[4:5], s[4:5], 2
	s_load_b32 s3, s[36:37], 0x0
	s_add_u32 s4, s26, s4
	s_addc_u32 s5, s25, s5
	ds_load_b128 v[108:111], v70
	ds_load_b128 v[112:115], v70 offset:1024
	s_load_b32 s4, s[4:5], 0x0
	s_add_u32 s6, s22, s27
	s_addc_u32 s7, s23, s28
	v_add_co_u32 v9, s6, s6, v2
	s_delay_alu instid0(VALU_DEP_1) | instskip(SKIP_1) | instid1(VALU_DEP_1)
	v_add_co_ci_u32_e64 v10, null, s7, 0, s6
	s_waitcnt lgkmcnt(0)
	v_mad_i64_i32 v[1:2], null, s21, s17, v[9:10]
	v_mad_i64_i32 v[3:4], null, s13, s17, v[9:10]
	;; [unrolled: 1-line block ×7, first 2 shown]
	s_clause 0x9
	global_load_b128 v[57:60], v[1:2], off
	global_load_b128 v[61:64], v[1:2], off offset:16
	global_load_b128 v[41:44], v[3:4], off
	global_load_b128 v[45:48], v[3:4], off offset:16
	;; [unrolled: 2-line block ×5, first 2 shown]
	v_mad_i64_i32 v[68:69], null, s4, s17, v[9:10]
	s_clause 0x3
	global_load_b128 v[9:12], v[13:14], off
	global_load_b128 v[13:16], v[13:14], off offset:16
	global_load_b128 v[17:20], v[21:22], off
	global_load_b128 v[21:24], v[21:22], off offset:16
	s_waitcnt vmcnt(20)
	v_wmma_f32_16x16x16_bf16 v[116:123], v[49:56], v[108:115], v[100:107]
	s_clause 0x1
	global_load_b128 v[49:52], v[68:69], off
	global_load_b128 v[53:56], v[68:69], off offset:16
	v_and_b32_e32 v68, 0xe0, v0
	v_mbcnt_lo_u32_b32 v69, -1, 0
	s_delay_alu instid0(VALU_DEP_2)
	v_add_nc_u32_e32 v68, s12, v68
	s_waitcnt vmcnt(20)
	v_wmma_f32_16x16x16_bf16 v[100:107], v[76:83], v[108:115], v[100:107]
	ds_load_b128 v[76:79], v70 offset:2048
	ds_load_b128 v[80:83], v70 offset:3072
	v_xor_b32_e32 v70, 16, v69
	s_waitcnt vmcnt(0) lgkmcnt(0)
	v_or_b32_e32 v68, v68, v74
	s_barrier
	buffer_gl0_inv
	v_cmp_gt_i32_e32 vcc_lo, 32, v70
	v_or_b32_e32 v71, 4, v68
	v_or_b32_e32 v72, 6, v68
	v_cmp_gt_i32_e64 s3, s24, v68
	v_or_b32_e32 v108, 8, v68
	v_or_b32_e32 v109, 10, v68
	v_cmp_gt_i32_e64 s4, s24, v71
	v_cmp_gt_i32_e64 s5, s24, v72
	s_delay_alu instid0(VALU_DEP_4) | instskip(NEXT) | instid1(VALU_DEP_4)
	v_cmp_gt_i32_e64 s6, s24, v108
	v_cmp_gt_i32_e64 s7, s24, v109
	v_wmma_f32_16x16x16_bf16 v[116:123], v[84:91], v[76:83], v[116:123]
	v_cndmask_b32_e32 v69, v69, v70, vcc_lo
	v_or_b32_e32 v70, 2, v68
	v_wmma_f32_16x16x16_bf16 v[100:107], v[92:99], v[76:83], v[100:107]
	v_or_b32_e32 v89, 22, v68
	v_dual_mul_f32 v82, s19, v119 :: v_dual_mul_f32 v79, s19, v122
	v_dual_mul_f32 v92, s19, v117 :: v_dual_mul_f32 v93, s19, v116
	s_delay_alu instid0(VALU_DEP_4) | instskip(SKIP_2) | instid1(VALU_DEP_4)
	v_mul_f32_e32 v98, s19, v103
	v_cmp_gt_i32_e32 vcc_lo, s24, v70
	v_dual_mul_f32 v83, s19, v118 :: v_dual_mul_f32 v96, s19, v105
	v_cndmask_b32_e64 v93, 0xff7fffff, v93, s3
	v_or_b32_e32 v84, 12, v68
	v_cndmask_b32_e32 v92, 0xff7fffff, v92, vcc_lo
	v_or_b32_e32 v85, 14, v68
	v_dual_mul_f32 v80, s19, v121 :: v_dual_mul_f32 v81, s19, v120
	v_mul_f32_e32 v94, s19, v107
	v_cndmask_b32_e64 v71, 0xff7fffff, v83, s4
	v_cndmask_b32_e64 v72, 0xff7fffff, v82, s5
	v_cmp_gt_i32_e64 s13, s24, v89
	v_lshlrev_b32_e32 v89, 2, v69
	v_max3_f32 v82, v93, 0xff7fffff, v92
	v_or_b32_e32 v86, 16, v68
	v_or_b32_e32 v87, 18, v68
	v_mul_f32_e32 v78, s19, v123
	v_cndmask_b32_e64 v81, 0xff7fffff, v81, s6
	v_cndmask_b32_e64 v80, 0xff7fffff, v80, s7
	v_max3_f32 v71, v82, v71, v72
	v_cmp_gt_i32_e64 s8, s24, v84
	v_cmp_gt_i32_e64 s9, s24, v85
	v_or_b32_e32 v88, 20, v68
	v_or_b32_e32 v90, 24, v68
	;; [unrolled: 1-line block ×5, first 2 shown]
	v_dual_mul_f32 v95, s19, v106 :: v_dual_mul_f32 v70, s19, v101
	v_dual_mul_f32 v99, s19, v102 :: v_dual_mul_f32 v68, s19, v100
	v_cndmask_b32_e64 v72, 0xff7fffff, v79, s8
	v_cndmask_b32_e64 v78, 0xff7fffff, v78, s9
	v_max3_f32 v71, v71, v81, v80
	v_cmp_gt_i32_e64 s10, s24, v86
	v_cmp_gt_i32_e64 s11, s24, v87
	;; [unrolled: 1-line block ×3, first 2 shown]
	v_mul_f32_e32 v97, s19, v104
	v_max3_f32 v71, v71, v72, v78
	v_cndmask_b32_e64 v68, 0xff7fffff, v68, s10
	v_cndmask_b32_e64 v70, 0xff7fffff, v70, s11
	;; [unrolled: 1-line block ×4, first 2 shown]
	v_cmp_gt_i32_e64 s15, s24, v90
	v_cmp_gt_i32_e64 s16, s24, v91
	v_max3_f32 v68, v71, v68, v70
	v_cmp_gt_i32_e64 s17, s24, v76
	v_cmp_gt_i32_e64 s18, s24, v77
	v_cndmask_b32_e64 v70, 0xff7fffff, v97, s15
	v_cndmask_b32_e64 v71, 0xff7fffff, v96, s16
	v_max3_f32 v68, v68, v72, v78
	v_cndmask_b32_e64 v72, 0xff7fffff, v95, s17
	v_cndmask_b32_e64 v76, 0xff7fffff, v94, s18
	s_delay_alu instid0(VALU_DEP_3) | instskip(NEXT) | instid1(VALU_DEP_1)
	v_max3_f32 v68, v68, v70, v71
	v_max3_f32 v68, v68, v72, v76
	ds_bpermute_b32 v69, v89, v68
	s_waitcnt lgkmcnt(0)
	v_max_f32_e32 v69, v69, v69
	s_delay_alu instid0(VALU_DEP_1) | instskip(NEXT) | instid1(VALU_DEP_1)
	v_max_f32_e32 v68, v68, v69
	v_fma_f32 v69, s19, v116, -v68
	v_fma_f32 v70, s19, v117, -v68
	;; [unrolled: 1-line block ×5, first 2 shown]
	s_delay_alu instid0(VALU_DEP_4) | instskip(NEXT) | instid1(VALU_DEP_4)
	v_dual_mul_f32 v69, 0x3fb8aa3b, v69 :: v_dual_mul_f32 v70, 0x3fb8aa3b, v70
	v_mul_f32_e32 v72, 0x3fb8aa3b, v72
	v_fma_f32 v78, s19, v122, -v68
	s_delay_alu instid0(VALU_DEP_4) | instskip(NEXT) | instid1(VALU_DEP_4)
	v_mul_f32_e32 v77, 0x3fb8aa3b, v76
	v_exp_f32_e32 v69, v69
	v_exp_f32_e32 v70, v70
	v_mul_f32_e32 v71, 0x3fb8aa3b, v71
	v_exp_f32_e32 v72, v72
	v_mul_f32_e32 v78, 0x3fb8aa3b, v78
	v_exp_f32_e32 v77, v77
	v_fma_f32 v81, s19, v105, -v68
	s_delay_alu instid0(VALU_DEP_2)
	v_exp_f32_e32 v78, v78
	v_cndmask_b32_e64 v80, 0, v69, s3
	v_cndmask_b32_e32 v76, 0, v70, vcc_lo
	v_exp_f32_e32 v71, v71
	v_fma_f32 v69, s19, v121, -v68
	v_cndmask_b32_e64 v85, 0, v72, s5
	v_add_f32_e32 v70, 0, v80
	s_delay_alu instid0(TRANS32_DEP_3)
	v_cndmask_b32_e64 v86, 0, v77, s6
	v_fma_f32 v77, s19, v101, -v68
	v_mul_f32_e32 v69, 0x3fb8aa3b, v69
	v_fma_f32 v72, s19, v100, -v68
	v_cndmask_b32_e64 v84, 0, v78, s8
	v_fma_f32 v78, s19, v103, -v68
	v_cndmask_b32_e64 v83, 0, v71, s4
	v_fma_f32 v71, s19, v123, -v68
	v_add_f32_e32 v70, v70, v76
	v_exp_f32_e32 v69, v69
	v_mul_f32_e32 v77, 0x3fb8aa3b, v77
	v_mul_f32_e32 v81, 0x3fb8aa3b, v81
	;; [unrolled: 1-line block ×3, first 2 shown]
	v_add_f32_e32 v70, v70, v83
	v_cmp_gt_u32_e64 s3, 16, v67
	v_exp_f32_e32 v77, v77
	v_exp_f32_e32 v81, v81
	v_exp_f32_e32 v71, v71
	v_cndmask_b32_e64 v87, 0, v69, s7
	v_add_f32_e32 v70, v70, v85
	s_delay_alu instid0(VALU_DEP_1) | instskip(SKIP_1) | instid1(VALU_DEP_2)
	v_dual_mul_f32 v72, 0x3fb8aa3b, v72 :: v_dual_add_f32 v69, v70, v86
	v_fma_f32 v70, s19, v102, -v68
	v_exp_f32_e32 v72, v72
	s_waitcnt_depctr 0xfff
	v_cndmask_b32_e64 v88, 0, v71, s9
	v_fma_f32 v71, s19, v104, -v68
	v_dual_add_f32 v69, v69, v87 :: v_dual_mul_f32 v70, 0x3fb8aa3b, v70
	s_delay_alu instid0(VALU_DEP_2) | instskip(NEXT) | instid1(VALU_DEP_2)
	v_dual_mul_f32 v78, 0x3fb8aa3b, v78 :: v_dual_mul_f32 v71, 0x3fb8aa3b, v71
	v_add_f32_e32 v69, v69, v84
	s_delay_alu instid0(VALU_DEP_3) | instskip(SKIP_1) | instid1(VALU_DEP_3)
	v_exp_f32_e32 v79, v70
	v_cndmask_b32_e64 v70, 0, v72, s10
	v_exp_f32_e32 v78, v78
	v_exp_f32_e32 v82, v71
	v_add_f32_e32 v72, v69, v88
	v_cndmask_b32_e64 v69, 0, v77, s11
	v_fma_f32 v77, s19, v106, -v68
	s_delay_alu instid0(VALU_DEP_3) | instskip(NEXT) | instid1(TRANS32_DEP_3)
	v_add_f32_e32 v72, v72, v70
	v_cndmask_b32_e64 v71, 0, v79, s12
	s_delay_alu instid0(VALU_DEP_3) | instskip(NEXT) | instid1(VALU_DEP_3)
	v_mul_f32_e32 v77, 0x3fb8aa3b, v77
	v_add_f32_e32 v79, v72, v69
	s_delay_alu instid0(TRANS32_DEP_2) | instskip(NEXT) | instid1(VALU_DEP_3)
	v_cndmask_b32_e64 v72, 0, v78, s13
	v_exp_f32_e32 v90, v77
	v_cndmask_b32_e64 v77, 0, v82, s15
	s_delay_alu instid0(VALU_DEP_3) | instskip(SKIP_1) | instid1(VALU_DEP_1)
	v_add_f32_e32 v78, v79, v71
	v_fma_f32 v79, s19, v107, -v68
	v_dual_add_f32 v82, v78, v72 :: v_dual_mul_f32 v79, 0x3fb8aa3b, v79
	v_cndmask_b32_e64 v78, 0, v81, s16
	s_delay_alu instid0(VALU_DEP_2) | instskip(NEXT) | instid1(VALU_DEP_3)
	v_add_f32_e32 v81, v82, v77
	v_exp_f32_e32 v82, v79
	s_delay_alu instid0(TRANS32_DEP_2) | instskip(NEXT) | instid1(VALU_DEP_2)
	v_cndmask_b32_e64 v79, 0, v90, s17
	v_add_f32_e32 v81, v81, v78
	s_delay_alu instid0(VALU_DEP_1) | instskip(SKIP_2) | instid1(VALU_DEP_1)
	v_add_f32_e32 v90, v81, v79
	s_waitcnt_depctr 0xfff
	v_cndmask_b32_e64 v81, 0, v82, s18
	v_add_f32_e32 v82, v90, v81
	ds_bpermute_b32 v89, v89, v82
	s_and_saveexec_b32 s4, s3
	s_cbranch_execz .LBB1358_12
; %bb.11:
	v_mul_u32_u24_e32 v67, 0x44, v66
	s_delay_alu instid0(VALU_DEP_1) | instskip(SKIP_1) | instid1(VALU_DEP_1)
	v_lshl_add_u32 v67, v65, 2, v67
	s_waitcnt lgkmcnt(0)
	v_dual_add_f32 v82, v82, v89 :: v_dual_add_nc_u32 v67, 0x4000, v67
	ds_store_2addr_b32 v67, v68, v82 offset1:136
.LBB1358_12:
	s_or_b32 exec_lo, exec_lo, s4
	v_lshlrev_b32_e32 v67, 2, v65
	s_waitcnt lgkmcnt(0)
	s_barrier
	buffer_gl0_inv
	v_cmp_eq_u32_e32 vcc_lo, 1, v66
	v_add_nc_u32_e32 v82, 0x4000, v67
	v_cmp_eq_u32_e64 s4, 2, v66
	v_cmp_eq_u32_e64 s6, 7, v66
	ds_load_2addr_b32 v[89:90], v82 offset1:17
	ds_load_2addr_b32 v[91:92], v82 offset0:34 offset1:51
	ds_load_2addr_b32 v[93:94], v82 offset0:68 offset1:85
	;; [unrolled: 1-line block ×4, first 2 shown]
	s_waitcnt lgkmcnt(4)
	v_max3_f32 v67, v89, 0xff7fffff, v90
	s_waitcnt lgkmcnt(3)
	s_delay_alu instid0(VALU_DEP_1) | instskip(SKIP_1) | instid1(VALU_DEP_1)
	v_max3_f32 v67, v67, v91, v92
	s_waitcnt lgkmcnt(2)
	v_max3_f32 v67, v67, v93, v94
	s_waitcnt lgkmcnt(1)
	s_delay_alu instid0(VALU_DEP_1) | instskip(NEXT) | instid1(VALU_DEP_1)
	v_max3_f32 v67, v67, v95, v96
	v_sub_f32_e32 v93, v93, v67
	s_delay_alu instid0(VALU_DEP_1) | instskip(NEXT) | instid1(VALU_DEP_1)
	v_dual_sub_f32 v68, v89, v67 :: v_dual_mul_f32 v103, 0x3fb8aa3b, v93
	v_mul_f32_e32 v68, 0x3fb8aa3b, v68
	s_delay_alu instid0(VALU_DEP_1)
	v_exp_f32_e32 v100, v68
	v_sub_f32_e32 v68, v92, v67
	v_sub_f32_e32 v99, v90, v67
	ds_load_2addr_b32 v[89:90], v82 offset0:170 offset1:187
	v_dual_mul_f32 v102, 0x3fb8aa3b, v68 :: v_dual_mul_f32 v99, 0x3fb8aa3b, v99
	s_waitcnt lgkmcnt(1)
	v_fma_f32 v68, v100, v97, 0
	s_delay_alu instid0(VALU_DEP_2) | instskip(NEXT) | instid1(VALU_DEP_2)
	v_exp_f32_e32 v102, v102
	v_exp_f32_e32 v99, v99
	s_waitcnt_depctr 0xfff
	v_fmac_f32_e32 v68, v99, v98
	v_sub_f32_e32 v91, v91, v67
	s_delay_alu instid0(VALU_DEP_1)
	v_mul_f32_e32 v101, 0x3fb8aa3b, v91
	ds_load_2addr_b32 v[91:92], v82 offset0:204 offset1:221
	v_sub_f32_e32 v97, v94, v67
	ds_load_2addr_b32 v[93:94], v82 offset0:238 offset1:255
	s_waitcnt lgkmcnt(0)
	v_exp_f32_e32 v101, v101
	s_barrier
	buffer_gl0_inv
	v_dual_fmac_f32 v68, v101, v89 :: v_dual_sub_f32 v89, v96, v67
	v_dual_sub_f32 v82, v95, v67 :: v_dual_mul_f32 v95, 0x3fb8aa3b, v97
	v_exp_f32_e32 v97, v103
	s_delay_alu instid0(VALU_DEP_2) | instskip(NEXT) | instid1(VALU_DEP_2)
	v_dual_fmac_f32 v68, v102, v90 :: v_dual_mul_f32 v89, 0x3fb8aa3b, v89
	v_mul_f32_e32 v82, 0x3fb8aa3b, v82
	s_delay_alu instid0(VALU_DEP_3) | instskip(NEXT) | instid1(VALU_DEP_2)
	v_exp_f32_e32 v95, v95
	v_exp_f32_e32 v89, v89
	s_delay_alu instid0(VALU_DEP_1)
	v_exp_f32_e32 v82, v82
	v_fmac_f32_e32 v68, v97, v91
	s_delay_alu instid0(TRANS32_DEP_3) | instid1(VALU_DEP_1)
	v_fmac_f32_e32 v68, v95, v92
	s_waitcnt_depctr 0xfff
	v_fmac_f32_e32 v68, v82, v93
	s_delay_alu instid0(VALU_DEP_1) | instskip(NEXT) | instid1(VALU_DEP_1)
	v_fmac_f32_e32 v68, v89, v94
	v_add_f32_e32 v90, 0x358637bd, v68
	s_delay_alu instid0(VALU_DEP_1) | instskip(NEXT) | instid1(VALU_DEP_1)
	v_div_scale_f32 v91, null, v90, v90, 1.0
	v_rcp_f32_e32 v92, v91
	s_waitcnt_depctr 0xfff
	v_fma_f32 v93, -v91, v92, 1.0
	s_delay_alu instid0(VALU_DEP_1) | instskip(SKIP_1) | instid1(VALU_DEP_2)
	v_dual_fmac_f32 v92, v93, v92 :: v_dual_cndmask_b32 v93, v100, v99
	v_cmp_eq_u32_e32 vcc_lo, 3, v66
	v_cndmask_b32_e64 v93, v93, v101, s4
	v_cmp_eq_u32_e64 s4, 4, v66
	s_delay_alu instid0(VALU_DEP_2) | instskip(SKIP_1) | instid1(VALU_DEP_2)
	v_cndmask_b32_e32 v93, v93, v102, vcc_lo
	v_cmp_eq_u32_e32 vcc_lo, 5, v66
	v_cndmask_b32_e64 v93, v93, v97, s4
	v_cmp_eq_u32_e64 s4, 6, v66
	s_delay_alu instid0(VALU_DEP_2) | instskip(SKIP_1) | instid1(VALU_DEP_1)
	v_cndmask_b32_e32 v93, v93, v95, vcc_lo
	v_div_scale_f32 v94, s5, 1.0, v90, 1.0
	s_mov_b32 vcc_lo, s5
	s_delay_alu instid0(VALU_DEP_2) | instskip(NEXT) | instid1(VALU_DEP_2)
	v_cndmask_b32_e64 v82, v93, v82, s4
	v_mul_f32_e32 v96, v94, v92
	s_mov_b32 s4, exec_lo
	s_delay_alu instid0(VALU_DEP_2) | instskip(NEXT) | instid1(VALU_DEP_2)
	v_cndmask_b32_e64 v82, v82, v89, s6
	v_fma_f32 v98, -v91, v96, v94
	s_delay_alu instid0(VALU_DEP_1) | instskip(NEXT) | instid1(VALU_DEP_1)
	v_fmac_f32_e32 v96, v98, v92
	v_fma_f32 v91, -v91, v96, v94
	s_delay_alu instid0(VALU_DEP_1) | instskip(NEXT) | instid1(VALU_DEP_1)
	v_div_fmas_f32 v91, v91, v92, v96
	v_div_fixup_f32 v90, v91, v90, 1.0
	s_delay_alu instid0(VALU_DEP_1) | instskip(NEXT) | instid1(VALU_DEP_1)
	v_mul_f32_e32 v82, v82, v90
	v_mul_f32_e32 v87, v82, v87
	;; [unrolled: 1-line block ×7, first 2 shown]
	v_dual_mul_f32 v86, v82, v83 :: v_dual_and_b32 v91, 0x7f800000, v90
	v_mul_f32_e32 v85, v82, v76
                                        ; implicit-def: $vgpr76
	s_delay_alu instid0(VALU_DEP_2)
	v_cmpx_ne_u32_e32 0x7f800000, v91
	s_xor_b32 s4, exec_lo, s4
; %bb.13:
	v_bfe_u32 v76, v90, 16, 1
	s_delay_alu instid0(VALU_DEP_1)
	v_add3_u32 v76, v90, v76, 0x7fff
                                        ; implicit-def: $vgpr90
; %bb.14:
	s_and_not1_saveexec_b32 s4, s4
; %bb.15:
	v_and_b32_e32 v76, 0xffff, v90
	v_or_b32_e32 v83, 0x10000, v90
	s_delay_alu instid0(VALU_DEP_2) | instskip(NEXT) | instid1(VALU_DEP_2)
	v_cmp_eq_u32_e32 vcc_lo, 0, v76
	v_cndmask_b32_e32 v76, v83, v90, vcc_lo
; %bb.16:
	s_or_b32 exec_lo, exec_lo, s4
	v_and_b32_e32 v83, 0x7f800000, v85
	s_delay_alu instid0(VALU_DEP_1) | instskip(SKIP_1) | instid1(SALU_CYCLE_1)
	v_cmp_ne_u32_e32 vcc_lo, 0x7f800000, v83
                                        ; implicit-def: $vgpr83
	s_and_saveexec_b32 s4, vcc_lo
	s_xor_b32 s4, exec_lo, s4
; %bb.17:
	v_bfe_u32 v83, v85, 16, 1
	s_delay_alu instid0(VALU_DEP_1)
	v_add3_u32 v83, v85, v83, 0x7fff
                                        ; implicit-def: $vgpr85
; %bb.18:
	s_and_not1_saveexec_b32 s4, s4
; %bb.19:
	v_and_b32_e32 v83, 0xffff, v85
	v_or_b32_e32 v90, 0x10000, v85
	s_delay_alu instid0(VALU_DEP_2) | instskip(NEXT) | instid1(VALU_DEP_2)
	v_cmp_eq_u32_e32 vcc_lo, 0, v83
	v_cndmask_b32_e32 v83, v90, v85, vcc_lo
; %bb.20:
	s_or_b32 exec_lo, exec_lo, s4
	v_and_b32_e32 v85, 0x7f800000, v86
	s_delay_alu instid0(VALU_DEP_1) | instskip(SKIP_1) | instid1(SALU_CYCLE_1)
	v_cmp_ne_u32_e32 vcc_lo, 0x7f800000, v85
                                        ; implicit-def: $vgpr85
	s_and_saveexec_b32 s4, vcc_lo
	s_xor_b32 s4, exec_lo, s4
; %bb.21:
	v_bfe_u32 v85, v86, 16, 1
	s_delay_alu instid0(VALU_DEP_1)
	v_add3_u32 v85, v86, v85, 0x7fff
                                        ; implicit-def: $vgpr86
; %bb.22:
	s_and_not1_saveexec_b32 s4, s4
; %bb.23:
	v_and_b32_e32 v85, 0xffff, v86
	v_or_b32_e32 v90, 0x10000, v86
	s_delay_alu instid0(VALU_DEP_2) | instskip(NEXT) | instid1(VALU_DEP_2)
	v_cmp_eq_u32_e32 vcc_lo, 0, v85
	v_cndmask_b32_e32 v85, v90, v86, vcc_lo
; %bb.24:
	s_or_b32 exec_lo, exec_lo, s4
	v_and_b32_e32 v86, 0x7f800000, v89
	s_delay_alu instid0(VALU_DEP_1) | instskip(SKIP_1) | instid1(SALU_CYCLE_1)
	v_cmp_ne_u32_e32 vcc_lo, 0x7f800000, v86
                                        ; implicit-def: $vgpr86
	s_and_saveexec_b32 s4, vcc_lo
	s_xor_b32 s4, exec_lo, s4
; %bb.25:
	v_bfe_u32 v86, v89, 16, 1
	s_delay_alu instid0(VALU_DEP_1)
	v_add3_u32 v86, v89, v86, 0x7fff
                                        ; implicit-def: $vgpr89
; %bb.26:
	s_and_not1_saveexec_b32 s4, s4
; %bb.27:
	v_and_b32_e32 v86, 0xffff, v89
	v_or_b32_e32 v90, 0x10000, v89
	s_delay_alu instid0(VALU_DEP_2) | instskip(NEXT) | instid1(VALU_DEP_2)
	v_cmp_eq_u32_e32 vcc_lo, 0, v86
	v_cndmask_b32_e32 v86, v90, v89, vcc_lo
; %bb.28:
	s_or_b32 exec_lo, exec_lo, s4
	v_and_b32_e32 v89, 0x7f800000, v88
	s_delay_alu instid0(VALU_DEP_1) | instskip(SKIP_1) | instid1(SALU_CYCLE_1)
	v_cmp_ne_u32_e32 vcc_lo, 0x7f800000, v89
                                        ; implicit-def: $vgpr89
	s_and_saveexec_b32 s4, vcc_lo
	s_xor_b32 s4, exec_lo, s4
; %bb.29:
	v_bfe_u32 v89, v88, 16, 1
	s_delay_alu instid0(VALU_DEP_1)
	v_add3_u32 v89, v88, v89, 0x7fff
                                        ; implicit-def: $vgpr88
; %bb.30:
	s_and_not1_saveexec_b32 s4, s4
; %bb.31:
	v_and_b32_e32 v89, 0xffff, v88
	v_or_b32_e32 v90, 0x10000, v88
	s_delay_alu instid0(VALU_DEP_2) | instskip(NEXT) | instid1(VALU_DEP_2)
	v_cmp_eq_u32_e32 vcc_lo, 0, v89
	v_cndmask_b32_e32 v89, v90, v88, vcc_lo
; %bb.32:
	s_or_b32 exec_lo, exec_lo, s4
	v_and_b32_e32 v88, 0x7f800000, v87
	s_delay_alu instid0(VALU_DEP_1) | instskip(SKIP_1) | instid1(SALU_CYCLE_1)
	v_cmp_ne_u32_e32 vcc_lo, 0x7f800000, v88
                                        ; implicit-def: $vgpr88
	s_and_saveexec_b32 s4, vcc_lo
	s_xor_b32 s4, exec_lo, s4
; %bb.33:
	v_bfe_u32 v88, v87, 16, 1
	s_delay_alu instid0(VALU_DEP_1)
	v_add3_u32 v88, v87, v88, 0x7fff
                                        ; implicit-def: $vgpr87
; %bb.34:
	s_and_not1_saveexec_b32 s4, s4
; %bb.35:
	v_and_b32_e32 v88, 0xffff, v87
	v_or_b32_e32 v90, 0x10000, v87
	s_delay_alu instid0(VALU_DEP_2) | instskip(NEXT) | instid1(VALU_DEP_2)
	v_cmp_eq_u32_e32 vcc_lo, 0, v88
	v_cndmask_b32_e32 v88, v90, v87, vcc_lo
; %bb.36:
	s_or_b32 exec_lo, exec_lo, s4
	v_and_b32_e32 v87, 0x7f800000, v84
	s_delay_alu instid0(VALU_DEP_1) | instskip(SKIP_1) | instid1(SALU_CYCLE_1)
	v_cmp_ne_u32_e32 vcc_lo, 0x7f800000, v87
                                        ; implicit-def: $vgpr87
	s_and_saveexec_b32 s4, vcc_lo
	s_xor_b32 s4, exec_lo, s4
; %bb.37:
	v_bfe_u32 v87, v84, 16, 1
	s_delay_alu instid0(VALU_DEP_1)
	v_add3_u32 v87, v84, v87, 0x7fff
                                        ; implicit-def: $vgpr84
; %bb.38:
	s_and_not1_saveexec_b32 s4, s4
; %bb.39:
	v_and_b32_e32 v87, 0xffff, v84
	v_or_b32_e32 v90, 0x10000, v84
	s_delay_alu instid0(VALU_DEP_2) | instskip(NEXT) | instid1(VALU_DEP_2)
	v_cmp_eq_u32_e32 vcc_lo, 0, v87
	v_cndmask_b32_e32 v87, v90, v84, vcc_lo
; %bb.40:
	s_or_b32 exec_lo, exec_lo, s4
	v_and_b32_e32 v84, 0x7f800000, v80
	s_delay_alu instid0(VALU_DEP_1) | instskip(SKIP_1) | instid1(SALU_CYCLE_1)
	v_cmp_ne_u32_e32 vcc_lo, 0x7f800000, v84
                                        ; implicit-def: $vgpr84
	s_and_saveexec_b32 s4, vcc_lo
	s_xor_b32 s4, exec_lo, s4
; %bb.41:
	v_bfe_u32 v84, v80, 16, 1
	s_delay_alu instid0(VALU_DEP_1)
	v_add3_u32 v84, v80, v84, 0x7fff
                                        ; implicit-def: $vgpr80
; %bb.42:
	s_and_not1_saveexec_b32 s4, s4
; %bb.43:
	v_and_b32_e32 v84, 0xffff, v80
	v_or_b32_e32 v90, 0x10000, v80
	s_delay_alu instid0(VALU_DEP_2) | instskip(NEXT) | instid1(VALU_DEP_2)
	v_cmp_eq_u32_e32 vcc_lo, 0, v84
	v_cndmask_b32_e32 v84, v90, v80, vcc_lo
; %bb.44:
	s_or_b32 exec_lo, exec_lo, s4
	s_load_b64 s[36:37], s[0:1], 0x94
	v_lshlrev_b32_e32 v91, 4, v74
	s_delay_alu instid0(VALU_DEP_2)
	v_perm_b32 v90, v84, v87, 0x7060302
	v_dual_mul_f32 v79, v82, v79 :: v_dual_lshlrev_b32 v80, 6, v65
	v_dual_mul_f32 v77, v82, v77 :: v_dual_lshlrev_b32 v92, 11, v66
	v_mul_f32_e32 v84, v82, v70
	v_perm_b32 v89, v88, v89, 0x7060302
	v_perm_b32 v88, v86, v85, 0x7060302
	;; [unrolled: 1-line block ×3, first 2 shown]
	v_mul_f32_e32 v70, v82, v81
	v_or3_b32 v76, v91, v92, v80
	v_dual_mul_f32 v78, v82, v78 :: v_dual_and_b32 v85, 0x7f800000, v84
	v_mul_f32_e32 v83, v82, v72
	v_mul_f32_e32 v81, v82, v71
	v_mul_f32_e32 v72, v82, v69
	s_mov_b32 s4, exec_lo
	ds_store_b128 v76, v[87:90]
                                        ; implicit-def: $vgpr69
	v_cmpx_ne_u32_e32 0x7f800000, v85
	s_xor_b32 s4, exec_lo, s4
; %bb.45:
	v_bfe_u32 v69, v84, 16, 1
	s_delay_alu instid0(VALU_DEP_1)
	v_add3_u32 v69, v84, v69, 0x7fff
                                        ; implicit-def: $vgpr84
; %bb.46:
	s_and_not1_saveexec_b32 s4, s4
; %bb.47:
	v_and_b32_e32 v69, 0xffff, v84
	v_or_b32_e32 v71, 0x10000, v84
	s_delay_alu instid0(VALU_DEP_2) | instskip(NEXT) | instid1(VALU_DEP_2)
	v_cmp_eq_u32_e32 vcc_lo, 0, v69
	v_cndmask_b32_e32 v69, v71, v84, vcc_lo
; %bb.48:
	s_or_b32 exec_lo, exec_lo, s4
	v_and_b32_e32 v71, 0x7f800000, v72
	s_delay_alu instid0(VALU_DEP_1) | instskip(SKIP_1) | instid1(SALU_CYCLE_1)
	v_cmp_ne_u32_e32 vcc_lo, 0x7f800000, v71
                                        ; implicit-def: $vgpr71
	s_and_saveexec_b32 s4, vcc_lo
	s_xor_b32 s4, exec_lo, s4
; %bb.49:
	v_bfe_u32 v71, v72, 16, 1
	s_delay_alu instid0(VALU_DEP_1)
	v_add3_u32 v71, v72, v71, 0x7fff
                                        ; implicit-def: $vgpr72
; %bb.50:
	s_and_not1_saveexec_b32 s4, s4
; %bb.51:
	v_and_b32_e32 v71, 0xffff, v72
	v_or_b32_e32 v82, 0x10000, v72
	s_delay_alu instid0(VALU_DEP_2) | instskip(NEXT) | instid1(VALU_DEP_2)
	v_cmp_eq_u32_e32 vcc_lo, 0, v71
	v_cndmask_b32_e32 v71, v82, v72, vcc_lo
; %bb.52:
	s_or_b32 exec_lo, exec_lo, s4
	v_and_b32_e32 v72, 0x7f800000, v81
	s_delay_alu instid0(VALU_DEP_1) | instskip(SKIP_1) | instid1(SALU_CYCLE_1)
	v_cmp_ne_u32_e32 vcc_lo, 0x7f800000, v72
                                        ; implicit-def: $vgpr72
	s_and_saveexec_b32 s4, vcc_lo
	s_xor_b32 s4, exec_lo, s4
; %bb.53:
	v_bfe_u32 v72, v81, 16, 1
	s_delay_alu instid0(VALU_DEP_1)
	v_add3_u32 v72, v81, v72, 0x7fff
                                        ; implicit-def: $vgpr81
; %bb.54:
	s_and_not1_saveexec_b32 s4, s4
; %bb.55:
	v_and_b32_e32 v72, 0xffff, v81
	v_or_b32_e32 v82, 0x10000, v81
	s_delay_alu instid0(VALU_DEP_2) | instskip(NEXT) | instid1(VALU_DEP_2)
	v_cmp_eq_u32_e32 vcc_lo, 0, v72
	v_cndmask_b32_e32 v72, v82, v81, vcc_lo
; %bb.56:
	s_or_b32 exec_lo, exec_lo, s4
	v_and_b32_e32 v81, 0x7f800000, v83
	s_delay_alu instid0(VALU_DEP_1) | instskip(SKIP_1) | instid1(SALU_CYCLE_1)
	v_cmp_ne_u32_e32 vcc_lo, 0x7f800000, v81
                                        ; implicit-def: $vgpr81
	s_and_saveexec_b32 s4, vcc_lo
	s_xor_b32 s4, exec_lo, s4
; %bb.57:
	v_bfe_u32 v81, v83, 16, 1
	s_delay_alu instid0(VALU_DEP_1)
	v_add3_u32 v81, v83, v81, 0x7fff
                                        ; implicit-def: $vgpr83
; %bb.58:
	s_and_not1_saveexec_b32 s4, s4
; %bb.59:
	v_and_b32_e32 v81, 0xffff, v83
	v_or_b32_e32 v82, 0x10000, v83
	s_delay_alu instid0(VALU_DEP_2) | instskip(NEXT) | instid1(VALU_DEP_2)
	v_cmp_eq_u32_e32 vcc_lo, 0, v81
	v_cndmask_b32_e32 v81, v82, v83, vcc_lo
; %bb.60:
	s_or_b32 exec_lo, exec_lo, s4
	v_and_b32_e32 v82, 0x7f800000, v77
	s_delay_alu instid0(VALU_DEP_1) | instskip(SKIP_1) | instid1(SALU_CYCLE_1)
	v_cmp_ne_u32_e32 vcc_lo, 0x7f800000, v82
                                        ; implicit-def: $vgpr82
	s_and_saveexec_b32 s4, vcc_lo
	s_xor_b32 s4, exec_lo, s4
; %bb.61:
	v_bfe_u32 v82, v77, 16, 1
	s_delay_alu instid0(VALU_DEP_1)
	v_add3_u32 v82, v77, v82, 0x7fff
                                        ; implicit-def: $vgpr77
; %bb.62:
	s_and_not1_saveexec_b32 s4, s4
; %bb.63:
	v_and_b32_e32 v82, 0xffff, v77
	v_or_b32_e32 v83, 0x10000, v77
	s_delay_alu instid0(VALU_DEP_2) | instskip(NEXT) | instid1(VALU_DEP_2)
	v_cmp_eq_u32_e32 vcc_lo, 0, v82
	v_cndmask_b32_e32 v82, v83, v77, vcc_lo
; %bb.64:
	s_or_b32 exec_lo, exec_lo, s4
	v_and_b32_e32 v77, 0x7f800000, v78
	s_delay_alu instid0(VALU_DEP_1) | instskip(SKIP_1) | instid1(SALU_CYCLE_1)
	v_cmp_ne_u32_e32 vcc_lo, 0x7f800000, v77
                                        ; implicit-def: $vgpr77
	s_and_saveexec_b32 s4, vcc_lo
	s_xor_b32 s4, exec_lo, s4
; %bb.65:
	v_bfe_u32 v77, v78, 16, 1
	s_delay_alu instid0(VALU_DEP_1)
	v_add3_u32 v77, v78, v77, 0x7fff
                                        ; implicit-def: $vgpr78
; %bb.66:
	s_and_not1_saveexec_b32 s4, s4
; %bb.67:
	v_and_b32_e32 v77, 0xffff, v78
	v_or_b32_e32 v83, 0x10000, v78
	s_delay_alu instid0(VALU_DEP_2) | instskip(NEXT) | instid1(VALU_DEP_2)
	v_cmp_eq_u32_e32 vcc_lo, 0, v77
	v_cndmask_b32_e32 v77, v83, v78, vcc_lo
; %bb.68:
	s_or_b32 exec_lo, exec_lo, s4
	v_and_b32_e32 v78, 0x7f800000, v79
	s_delay_alu instid0(VALU_DEP_1) | instskip(SKIP_1) | instid1(SALU_CYCLE_1)
	v_cmp_ne_u32_e32 vcc_lo, 0x7f800000, v78
                                        ; implicit-def: $vgpr78
	s_and_saveexec_b32 s4, vcc_lo
	s_xor_b32 s4, exec_lo, s4
; %bb.69:
	v_bfe_u32 v78, v79, 16, 1
	s_delay_alu instid0(VALU_DEP_1)
	v_add3_u32 v78, v79, v78, 0x7fff
                                        ; implicit-def: $vgpr79
; %bb.70:
	s_and_not1_saveexec_b32 s4, s4
; %bb.71:
	v_and_b32_e32 v78, 0xffff, v79
	v_or_b32_e32 v83, 0x10000, v79
	s_delay_alu instid0(VALU_DEP_2) | instskip(NEXT) | instid1(VALU_DEP_2)
	v_cmp_eq_u32_e32 vcc_lo, 0, v78
	v_cndmask_b32_e32 v78, v83, v79, vcc_lo
; %bb.72:
	s_or_b32 exec_lo, exec_lo, s4
	v_and_b32_e32 v79, 0x7f800000, v70
	s_delay_alu instid0(VALU_DEP_1) | instskip(SKIP_1) | instid1(SALU_CYCLE_1)
	v_cmp_ne_u32_e32 vcc_lo, 0x7f800000, v79
                                        ; implicit-def: $vgpr79
	s_and_saveexec_b32 s4, vcc_lo
	s_xor_b32 s4, exec_lo, s4
; %bb.73:
	v_bfe_u32 v79, v70, 16, 1
	s_delay_alu instid0(VALU_DEP_1)
	v_add3_u32 v79, v70, v79, 0x7fff
                                        ; implicit-def: $vgpr70
; %bb.74:
	s_and_not1_saveexec_b32 s4, s4
; %bb.75:
	v_and_b32_e32 v79, 0xffff, v70
	v_or_b32_e32 v83, 0x10000, v70
	s_delay_alu instid0(VALU_DEP_2) | instskip(NEXT) | instid1(VALU_DEP_2)
	v_cmp_eq_u32_e32 vcc_lo, 0, v79
	v_cndmask_b32_e32 v79, v83, v70, vcc_lo
; %bb.76:
	s_or_b32 exec_lo, exec_lo, s4
	s_delay_alu instid0(VALU_DEP_1)
	v_perm_b32 v86, v79, v78, 0x7060302
	v_perm_b32 v85, v77, v82, 0x7060302
	;; [unrolled: 1-line block ×4, first 2 shown]
	v_lshl_or_b32 v82, v66, 11, v80
	ds_store_b128 v76, v[83:86] offset:1024
	s_waitcnt lgkmcnt(0)
	s_barrier
	buffer_gl0_inv
	ds_load_b128 v[69:72], v82
	ds_load_b128 v[83:86], v82 offset:16
	s_waitcnt lgkmcnt(1)
	v_lshrrev_b32_e32 v66, 16, v69
	s_waitcnt lgkmcnt(0)
	v_lshrrev_b32_e32 v91, 16, v83
	v_lshlrev_b32_e32 v78, 2, v74
	v_lshrrev_b32_e32 v95, 16, v70
	v_lshrrev_b32_e32 v98, 16, v84
	;; [unrolled: 1-line block ×4, first 2 shown]
	v_cmp_eq_u32_e32 vcc_lo, 1, v78
	v_lshrrev_b32_e32 v97, 16, v72
	v_lshrrev_b32_e32 v100, 16, v86
	v_cndmask_b32_e32 v87, v83, v91, vcc_lo
	v_or_b32_e32 v79, 1, v78
	v_cndmask_b32_e32 v81, v69, v66, vcc_lo
	v_cmp_eq_u32_e64 s5, 2, v78
	v_cmp_eq_u32_e64 s8, 3, v78
	;; [unrolled: 1-line block ×5, first 2 shown]
	v_cndmask_b32_e64 v81, v81, v70, s5
	v_cndmask_b32_e64 v87, v87, v84, s5
	v_cmp_eq_u32_e64 s9, 3, v79
	v_cndmask_b32_e64 v88, v69, v66, s4
	v_or_b32_e32 v77, 2, v78
	v_cndmask_b32_e64 v81, v81, v95, s8
	v_cndmask_b32_e64 v87, v87, v98, s8
	;; [unrolled: 1-line block ×4, first 2 shown]
	v_cmp_eq_u32_e64 s11, 5, v78
	v_cndmask_b32_e64 v81, v81, v71, s10
	v_cndmask_b32_e64 v87, v87, v85, s10
	v_cmp_eq_u32_e64 s12, 4, v79
	v_cndmask_b32_e64 v88, v88, v95, s9
	v_cmp_eq_u32_e64 s6, 1, v77
	v_cndmask_b32_e64 v89, v89, v84, s7
	v_cndmask_b32_e64 v81, v81, v96, s11
	v_cmp_eq_u32_e64 s13, 6, v78
	v_cndmask_b32_e64 v88, v88, v71, s12
	;; [unrolled: 3-line block ×3, first 2 shown]
	v_cndmask_b32_e64 v89, v89, v98, s9
	v_cndmask_b32_e64 v81, v81, v72, s13
	v_cmp_eq_u32_e64 s16, 7, v78
	v_cndmask_b32_e64 v88, v88, v96, s15
	v_cndmask_b32_e64 v87, v87, v86, s13
	v_cmp_eq_u32_e64 s17, 6, v79
	v_cmp_eq_u32_e64 s18, 2, v77
	v_cndmask_b32_e64 v89, v89, v85, s12
	v_cndmask_b32_e64 v101, v81, v97, s16
	v_cndmask_b32_e64 v102, v87, v100, s16
	v_cndmask_b32_e64 v88, v88, v72, s17
	v_cndmask_b32_e64 v81, v90, v70, s18
	v_cndmask_b32_e64 v87, v83, v91, s6
	v_cmp_eq_u32_e64 s19, 7, v79
	v_cmp_eq_u32_e64 s20, 3, v77
	;; [unrolled: 1-line block ×4, first 2 shown]
	v_cndmask_b32_e64 v87, v87, v84, s18
	v_cndmask_b32_e64 v103, v88, v97, s19
	;; [unrolled: 1-line block ×4, first 2 shown]
	v_or_b32_e32 v81, 3, v78
	v_cndmask_b32_e64 v93, v87, v98, s20
	v_cmp_eq_u32_e64 s25, 6, v77
	v_cndmask_b32_e64 v104, v88, v86, s17
	v_cndmask_b32_e64 v92, v89, v71, s21
	v_cmp_eq_u32_e64 s22, 1, v81
	ds_load_b128 v[87:90], v82 offset:1024
	v_cmp_eq_u32_e64 s24, 2, v81
	v_cmp_eq_u32_e64 s26, 3, v81
	v_cndmask_b32_e64 v105, v92, v96, s23
	v_cndmask_b32_e64 v66, v69, v66, s22
	;; [unrolled: 1-line block ×4, first 2 shown]
	ds_load_b128 v[91:94], v82 offset:1040
	v_cmp_eq_u32_e64 s27, 4, v81
	v_cndmask_b32_e64 v66, v66, v70, s24
	v_cmp_eq_u32_e64 s28, 7, v77
	v_cndmask_b32_e64 v70, v83, v84, s24
	v_cndmask_b32_e64 v84, v105, v72, s25
	v_cmp_eq_u32_e64 s29, 5, v81
	v_cndmask_b32_e64 v66, v66, v95, s26
	v_cmp_eq_u32_e64 s30, 6, v81
	v_cndmask_b32_e64 v70, v70, v98, s26
	v_cndmask_b32_e64 v69, v69, v99, s23
	;; [unrolled: 1-line block ×4, first 2 shown]
	s_waitcnt lgkmcnt(1)
	v_lshrrev_b32_e32 v95, 16, v87
	v_cndmask_b32_e64 v70, v70, v85, s27
	v_cndmask_b32_e64 v71, v84, v97, s28
	;; [unrolled: 1-line block ×4, first 2 shown]
	v_cndmask_b32_e32 v84, v87, v95, vcc_lo
	v_cndmask_b32_e64 v70, v70, v99, s29
	s_waitcnt lgkmcnt(0)
	v_lshrrev_b32_e32 v85, 16, v91
	v_lshrrev_b32_e32 v96, 16, v88
	v_cndmask_b32_e64 v98, v87, v95, s4
	v_cndmask_b32_e64 v84, v84, v88, s5
	;; [unrolled: 1-line block ×3, first 2 shown]
	v_cndmask_b32_e32 v99, v91, v85, vcc_lo
	v_cmp_eq_u32_e32 vcc_lo, 7, v81
	v_cndmask_b32_e64 v66, v66, v72, s30
	v_cndmask_b32_e64 v72, v84, v96, s8
	;; [unrolled: 1-line block ×3, first 2 shown]
	v_lshrrev_b32_e32 v98, 16, v92
	v_cndmask_b32_e32 v70, v70, v100, vcc_lo
	v_cndmask_b32_e64 v86, v99, v92, s5
	v_cndmask_b32_e64 v69, v69, v100, s28
	v_lshrrev_b32_e32 v100, 16, v93
	v_cndmask_b32_e64 v72, v72, v89, s10
	v_lshrrev_b32_e32 v99, 16, v89
	v_cndmask_b32_e64 v86, v86, v98, s8
	v_perm_b32 v71, v69, v71, 0x5040100
	v_cndmask_b32_e64 v84, v84, v96, s9
	s_delay_alu instid0(VALU_DEP_3) | instskip(NEXT) | instid1(VALU_DEP_2)
	v_cndmask_b32_e64 v86, v86, v93, s10
	v_cndmask_b32_e64 v84, v84, v89, s12
	s_delay_alu instid0(VALU_DEP_2) | instskip(NEXT) | instid1(VALU_DEP_1)
	v_cndmask_b32_e64 v86, v86, v100, s11
	v_cndmask_b32_e64 v69, v86, v94, s13
	;; [unrolled: 1-line block ×5, first 2 shown]
	s_delay_alu instid0(VALU_DEP_3) | instskip(NEXT) | instid1(VALU_DEP_3)
	v_cndmask_b32_e64 v86, v86, v88, s18
	v_cndmask_b32_e64 v87, v87, v88, s24
	s_delay_alu instid0(VALU_DEP_3) | instskip(NEXT) | instid1(VALU_DEP_3)
	v_cndmask_b32_e64 v88, v95, v92, s24
	v_cndmask_b32_e64 v86, v86, v96, s20
	;; [unrolled: 3-line block ×7, first 2 shown]
	s_delay_alu instid0(VALU_DEP_3) | instskip(SKIP_2) | instid1(VALU_DEP_2)
	v_cndmask_b32_e64 v88, v88, v94, s30
	v_cndmask_b32_e32 v66, v66, v97, vcc_lo
	v_cndmask_b32_e64 v97, v72, v99, s11
	v_perm_b32 v72, v70, v66, 0x5040100
	v_perm_b32 v70, v83, v103, 0x5040100
	v_cndmask_b32_e64 v103, v91, v85, s6
	v_cndmask_b32_e64 v85, v91, v85, s4
	;; [unrolled: 1-line block ×4, first 2 shown]
	v_lshrrev_b32_e32 v97, 16, v90
	v_cndmask_b32_e64 v91, v103, v92, s18
	v_cndmask_b32_e64 v85, v85, v92, s7
	;; [unrolled: 1-line block ×3, first 2 shown]
	s_mov_b32 s4, exec_lo
	v_cndmask_b32_e64 v83, v84, v97, s16
	v_cndmask_b32_e64 v91, v91, v98, s20
	;; [unrolled: 1-line block ×3, first 2 shown]
	v_lshrrev_b32_e32 v84, 16, v94
	v_cndmask_b32_e64 v66, v66, v97, s19
	v_cndmask_b32_e64 v90, v86, v97, s28
	v_cndmask_b32_e64 v89, v91, v93, s21
	v_cndmask_b32_e64 v85, v85, v93, s12
	v_dual_cndmask_b32 v86, v87, v97 :: v_dual_cndmask_b32 v87, v88, v84
	v_cndmask_b32_e64 v91, v69, v84, s16
	s_delay_alu instid0(VALU_DEP_4) | instskip(NEXT) | instid1(VALU_DEP_4)
	v_cndmask_b32_e64 v89, v89, v100, s23
	v_cndmask_b32_e64 v85, v85, v100, s15
	v_perm_b32 v69, v102, v101, 0x5040100
	v_perm_b32 v86, v87, v86, 0x5040100
	;; [unrolled: 1-line block ×3, first 2 shown]
	v_cndmask_b32_e64 v89, v89, v94, s25
	v_cndmask_b32_e64 v85, v85, v94, s17
	s_mul_i32 s9, s37, 13
	s_delay_alu instid0(VALU_DEP_2) | instskip(NEXT) | instid1(VALU_DEP_2)
	v_cndmask_b32_e64 v88, v89, v84, s28
	v_cndmask_b32_e64 v89, v85, v84, s19
	s_delay_alu instid0(VALU_DEP_2) | instskip(NEXT) | instid1(VALU_DEP_2)
	v_perm_b32 v85, v88, v90, 0x5040100
	v_perm_b32 v84, v89, v66, 0x5040100
	ds_store_b128 v76, v[69:72]
	ds_store_b128 v76, v[83:86] offset:1024
	v_cmpx_gt_u32_e32 13, v0
	s_cbranch_execz .LBB1358_78
; %bb.77:
	s_mul_i32 s5, s9, s34
	s_load_b128 s[16:19], s[0:1], 0x58
	v_add3_u32 v69, s5, s31, v65
	s_delay_alu instid0(VALU_DEP_1) | instskip(NEXT) | instid1(VALU_DEP_1)
	v_mad_u64_u32 v[65:66], null, v69, s36, s[14:15]
	v_ashrrev_i32_e32 v66, 31, v65
	s_delay_alu instid0(VALU_DEP_1) | instskip(SKIP_1) | instid1(VALU_DEP_1)
	v_lshlrev_b64 v[65:66], 2, v[65:66]
	s_waitcnt lgkmcnt(0)
	v_add_co_u32 v69, vcc_lo, s18, v65
	s_delay_alu instid0(VALU_DEP_2)
	v_add_co_ci_u32_e32 v70, vcc_lo, s19, v66, vcc_lo
	v_add_co_u32 v65, vcc_lo, s16, v65
	v_add_co_ci_u32_e32 v66, vcc_lo, s17, v66, vcc_lo
	global_store_b32 v[69:70], v67, off
	global_store_b32 v[65:66], v68, off
.LBB1358_78:
	s_or_b32 exec_lo, exec_lo, s4
	s_waitcnt lgkmcnt(0)
	s_waitcnt_vscnt null, 0x0
	s_barrier
	buffer_gl0_inv
	ds_load_b128 v[83:86], v80
	ds_load_b128 v[87:90], v80 offset:16
	ds_load_b128 v[95:98], v80 offset:2064
	;; [unrolled: 1-line block ×3, first 2 shown]
	v_mov_b32_e32 v65, 0
	ds_load_b128 v[103:106], v80 offset:4112
	ds_load_b128 v[99:102], v80 offset:4096
	ds_load_b128 v[111:114], v80 offset:6160
	ds_load_b128 v[107:110], v80 offset:6144
	v_mov_b32_e32 v66, v65
	v_mov_b32_e32 v67, v65
	;; [unrolled: 1-line block ×7, first 2 shown]
	s_waitcnt lgkmcnt(6)
	s_delay_alu instid0(VALU_DEP_1)
	v_wmma_f32_16x16x16_bf16 v[65:72], v[57:64], v[83:90], v[65:72]
	ds_load_b128 v[61:64], v80 offset:8208
	ds_load_b128 v[57:60], v80 offset:8192
	s_waitcnt lgkmcnt(6)
	v_wmma_f32_16x16x16_bf16 v[65:72], v[41:48], v[91:98], v[65:72]
	ds_load_b128 v[45:48], v80 offset:10256
	ds_load_b128 v[41:44], v80 offset:10240
	s_waitcnt lgkmcnt(6)
	v_wmma_f32_16x16x16_bf16 v[65:72], v[33:40], v[99:106], v[65:72]
	ds_load_b128 v[37:40], v80 offset:12304
	ds_load_b128 v[33:36], v80 offset:12288
	s_waitcnt lgkmcnt(6)
	v_wmma_f32_16x16x16_bf16 v[65:72], v[25:32], v[107:114], v[65:72]
	ds_load_b128 v[29:32], v80 offset:14352
	ds_load_b128 v[25:28], v80 offset:14336
	s_waitcnt lgkmcnt(6)
	v_wmma_f32_16x16x16_bf16 v[65:72], v[1:8], v[57:64], v[65:72]
	s_waitcnt lgkmcnt(4)
	s_delay_alu instid0(VALU_DEP_1) | instskip(SKIP_1) | instid1(VALU_DEP_1)
	v_wmma_f32_16x16x16_bf16 v[65:72], v[9:16], v[41:48], v[65:72]
	s_waitcnt lgkmcnt(2)
	v_wmma_f32_16x16x16_bf16 v[65:72], v[17:24], v[33:40], v[65:72]
	s_waitcnt lgkmcnt(0)
	s_delay_alu instid0(VALU_DEP_1) | instskip(NEXT) | instid1(VALU_DEP_1)
	v_wmma_f32_16x16x16_bf16 v[65:72], v[49:56], v[25:32], v[65:72]
	v_and_b32_e32 v1, 0x7f800000, v65
	s_delay_alu instid0(VALU_DEP_1) | instskip(SKIP_1) | instid1(SALU_CYCLE_1)
	v_cmp_ne_u32_e32 vcc_lo, 0x7f800000, v1
                                        ; implicit-def: $vgpr1
	s_and_saveexec_b32 s4, vcc_lo
	s_xor_b32 s4, exec_lo, s4
; %bb.79:
	v_bfe_u32 v1, v65, 16, 1
	s_delay_alu instid0(VALU_DEP_1)
	v_add3_u32 v1, v65, v1, 0x7fff
; %bb.80:
	s_and_not1_saveexec_b32 s4, s4
; %bb.81:
	v_and_b32_e32 v1, 0xffff, v65
	v_or_b32_e32 v2, 0x10000, v65
	s_delay_alu instid0(VALU_DEP_2) | instskip(NEXT) | instid1(VALU_DEP_2)
	v_cmp_eq_u32_e32 vcc_lo, 0, v1
	v_cndmask_b32_e32 v1, v2, v65, vcc_lo
; %bb.82:
	s_or_b32 exec_lo, exec_lo, s4
	v_and_b32_e32 v2, 0x7f800000, v66
	s_delay_alu instid0(VALU_DEP_1) | instskip(SKIP_1) | instid1(SALU_CYCLE_1)
	v_cmp_ne_u32_e32 vcc_lo, 0x7f800000, v2
                                        ; implicit-def: $vgpr2
	s_and_saveexec_b32 s4, vcc_lo
	s_xor_b32 s4, exec_lo, s4
; %bb.83:
	v_bfe_u32 v2, v66, 16, 1
	s_delay_alu instid0(VALU_DEP_1)
	v_add3_u32 v2, v66, v2, 0x7fff
; %bb.84:
	s_and_not1_saveexec_b32 s4, s4
; %bb.85:
	v_and_b32_e32 v2, 0xffff, v66
	v_or_b32_e32 v3, 0x10000, v66
	s_delay_alu instid0(VALU_DEP_2) | instskip(NEXT) | instid1(VALU_DEP_2)
	v_cmp_eq_u32_e32 vcc_lo, 0, v2
	v_cndmask_b32_e32 v2, v3, v66, vcc_lo
; %bb.86:
	s_or_b32 exec_lo, exec_lo, s4
	v_and_b32_e32 v3, 0x7f800000, v67
	s_delay_alu instid0(VALU_DEP_1) | instskip(SKIP_1) | instid1(SALU_CYCLE_1)
	v_cmp_ne_u32_e32 vcc_lo, 0x7f800000, v3
                                        ; implicit-def: $vgpr3
	s_and_saveexec_b32 s4, vcc_lo
	s_xor_b32 s4, exec_lo, s4
; %bb.87:
	v_bfe_u32 v3, v67, 16, 1
	s_delay_alu instid0(VALU_DEP_1)
	v_add3_u32 v3, v67, v3, 0x7fff
; %bb.88:
	s_and_not1_saveexec_b32 s4, s4
; %bb.89:
	v_and_b32_e32 v3, 0xffff, v67
	v_or_b32_e32 v4, 0x10000, v67
	s_delay_alu instid0(VALU_DEP_2) | instskip(NEXT) | instid1(VALU_DEP_2)
	v_cmp_eq_u32_e32 vcc_lo, 0, v3
	v_cndmask_b32_e32 v3, v4, v67, vcc_lo
; %bb.90:
	s_or_b32 exec_lo, exec_lo, s4
	v_and_b32_e32 v4, 0x7f800000, v68
	s_delay_alu instid0(VALU_DEP_1) | instskip(SKIP_1) | instid1(SALU_CYCLE_1)
	v_cmp_ne_u32_e32 vcc_lo, 0x7f800000, v4
                                        ; implicit-def: $vgpr4
	s_and_saveexec_b32 s4, vcc_lo
	s_xor_b32 s4, exec_lo, s4
; %bb.91:
	v_bfe_u32 v4, v68, 16, 1
	s_delay_alu instid0(VALU_DEP_1)
	v_add3_u32 v4, v68, v4, 0x7fff
; %bb.92:
	s_and_not1_saveexec_b32 s4, s4
; %bb.93:
	v_and_b32_e32 v4, 0xffff, v68
	v_or_b32_e32 v5, 0x10000, v68
	s_delay_alu instid0(VALU_DEP_2) | instskip(NEXT) | instid1(VALU_DEP_2)
	v_cmp_eq_u32_e32 vcc_lo, 0, v4
	v_cndmask_b32_e32 v4, v5, v68, vcc_lo
; %bb.94:
	s_or_b32 exec_lo, exec_lo, s4
	v_and_b32_e32 v5, 0x7f800000, v69
	s_delay_alu instid0(VALU_DEP_1) | instskip(SKIP_1) | instid1(SALU_CYCLE_1)
	v_cmp_ne_u32_e32 vcc_lo, 0x7f800000, v5
                                        ; implicit-def: $vgpr5
	s_and_saveexec_b32 s4, vcc_lo
	s_xor_b32 s4, exec_lo, s4
; %bb.95:
	v_bfe_u32 v5, v69, 16, 1
	s_delay_alu instid0(VALU_DEP_1)
	v_add3_u32 v5, v69, v5, 0x7fff
; %bb.96:
	s_and_not1_saveexec_b32 s4, s4
; %bb.97:
	v_and_b32_e32 v5, 0xffff, v69
	v_or_b32_e32 v6, 0x10000, v69
	s_delay_alu instid0(VALU_DEP_2) | instskip(NEXT) | instid1(VALU_DEP_2)
	v_cmp_eq_u32_e32 vcc_lo, 0, v5
	v_cndmask_b32_e32 v5, v6, v69, vcc_lo
; %bb.98:
	s_or_b32 exec_lo, exec_lo, s4
	v_and_b32_e32 v6, 0x7f800000, v70
	s_delay_alu instid0(VALU_DEP_1) | instskip(SKIP_1) | instid1(SALU_CYCLE_1)
	v_cmp_ne_u32_e32 vcc_lo, 0x7f800000, v6
                                        ; implicit-def: $vgpr6
	s_and_saveexec_b32 s4, vcc_lo
	s_xor_b32 s4, exec_lo, s4
; %bb.99:
	v_bfe_u32 v6, v70, 16, 1
	s_delay_alu instid0(VALU_DEP_1)
	v_add3_u32 v6, v70, v6, 0x7fff
; %bb.100:
	s_and_not1_saveexec_b32 s4, s4
; %bb.101:
	v_and_b32_e32 v6, 0xffff, v70
	v_or_b32_e32 v7, 0x10000, v70
	s_delay_alu instid0(VALU_DEP_2) | instskip(NEXT) | instid1(VALU_DEP_2)
	v_cmp_eq_u32_e32 vcc_lo, 0, v6
	v_cndmask_b32_e32 v6, v7, v70, vcc_lo
; %bb.102:
	s_or_b32 exec_lo, exec_lo, s4
	v_and_b32_e32 v7, 0x7f800000, v71
	s_delay_alu instid0(VALU_DEP_1) | instskip(SKIP_1) | instid1(SALU_CYCLE_1)
	v_cmp_ne_u32_e32 vcc_lo, 0x7f800000, v7
                                        ; implicit-def: $vgpr7
	s_and_saveexec_b32 s4, vcc_lo
	s_xor_b32 s4, exec_lo, s4
; %bb.103:
	v_bfe_u32 v7, v71, 16, 1
	s_delay_alu instid0(VALU_DEP_1)
	v_add3_u32 v7, v71, v7, 0x7fff
; %bb.104:
	s_and_not1_saveexec_b32 s4, s4
; %bb.105:
	v_and_b32_e32 v7, 0xffff, v71
	v_or_b32_e32 v8, 0x10000, v71
	s_delay_alu instid0(VALU_DEP_2) | instskip(NEXT) | instid1(VALU_DEP_2)
	v_cmp_eq_u32_e32 vcc_lo, 0, v7
	v_cndmask_b32_e32 v7, v8, v71, vcc_lo
; %bb.106:
	s_or_b32 exec_lo, exec_lo, s4
	v_and_b32_e32 v8, 0x7f800000, v72
	s_delay_alu instid0(VALU_DEP_1) | instskip(SKIP_1) | instid1(SALU_CYCLE_1)
	v_cmp_ne_u32_e32 vcc_lo, 0x7f800000, v8
                                        ; implicit-def: $vgpr8
	s_and_saveexec_b32 s4, vcc_lo
	s_xor_b32 s4, exec_lo, s4
; %bb.107:
	v_bfe_u32 v8, v72, 16, 1
	s_delay_alu instid0(VALU_DEP_1)
	v_add3_u32 v8, v72, v8, 0x7fff
                                        ; implicit-def: $vgpr65_vgpr66_vgpr67_vgpr68_vgpr69_vgpr70_vgpr71_vgpr72
; %bb.108:
	s_and_not1_saveexec_b32 s4, s4
; %bb.109:
	v_and_b32_e32 v8, 0xffff, v72
	v_or_b32_e32 v9, 0x10000, v72
	s_delay_alu instid0(VALU_DEP_2) | instskip(NEXT) | instid1(VALU_DEP_2)
	v_cmp_eq_u32_e32 vcc_lo, 0, v8
	v_cndmask_b32_e32 v8, v9, v72, vcc_lo
; %bb.110:
	s_or_b32 exec_lo, exec_lo, s4
	s_delay_alu instid0(VALU_DEP_1)
	v_perm_b32 v7, v8, v7, 0x7060302
	v_perm_b32 v6, v6, v5, 0x7060302
	;; [unrolled: 1-line block ×4, first 2 shown]
	s_barrier
	buffer_gl0_inv
	v_cmp_eq_u32_e32 vcc_lo, 1, v78
	ds_store_b128 v76, v[4:7]
	s_waitcnt lgkmcnt(0)
	s_barrier
	buffer_gl0_inv
	ds_load_b128 v[1:4], v82
	ds_load_b128 v[5:8], v82 offset:16
	v_cmp_eq_u32_e64 s4, 1, v79
	v_cmp_eq_u32_e64 s5, 2, v78
	;; [unrolled: 1-line block ×5, first 2 shown]
	s_waitcnt lgkmcnt(1)
	v_lshrrev_b32_e32 v9, 16, v1
	s_waitcnt lgkmcnt(0)
	v_lshrrev_b32_e32 v13, 16, v5
	v_lshrrev_b32_e32 v10, 16, v2
	;; [unrolled: 1-line block ×4, first 2 shown]
	v_cndmask_b32_e64 v19, v1, v9, s4
	v_cndmask_b32_e32 v18, v5, v13, vcc_lo
	v_cndmask_b32_e64 v20, v5, v13, s4
	v_cndmask_b32_e32 v17, v1, v9, vcc_lo
	v_cmp_eq_u32_e32 vcc_lo, 2, v79
	v_lshrrev_b32_e32 v15, 16, v7
	v_cmp_eq_u32_e64 s4, 1, v77
	v_lshrrev_b32_e32 v12, 16, v4
	v_lshrrev_b32_e32 v16, 16, v8
	v_cndmask_b32_e32 v20, v20, v6, vcc_lo
	v_cndmask_b32_e64 v17, v17, v2, s5
	v_cndmask_b32_e32 v19, v19, v2, vcc_lo
	v_cndmask_b32_e64 v18, v18, v6, s5
	v_cmp_eq_u32_e32 vcc_lo, 4, v78
	v_cmp_eq_u32_e64 s5, 3, v79
	v_cndmask_b32_e64 v17, v17, v10, s6
	v_cndmask_b32_e64 v21, v1, v9, s4
	;; [unrolled: 1-line block ×5, first 2 shown]
	v_cndmask_b32_e32 v17, v17, v3, vcc_lo
	v_cndmask_b32_e64 v20, v20, v14, s5
	v_cndmask_b32_e32 v18, v18, v7, vcc_lo
	v_cmp_eq_u32_e32 vcc_lo, 4, v79
	v_cmp_eq_u32_e64 s5, 5, v79
	v_cmp_eq_u32_e64 s4, 2, v81
	v_cndmask_b32_e64 v21, v21, v2, s8
	v_cmp_eq_u32_e64 s6, 5, v78
	v_cndmask_b32_e32 v19, v19, v3, vcc_lo
	v_cndmask_b32_e32 v20, v20, v7, vcc_lo
	v_cmp_eq_u32_e32 vcc_lo, 6, v79
	s_delay_alu instid0(VALU_DEP_4) | instskip(NEXT) | instid1(VALU_DEP_4)
	v_cndmask_b32_e64 v17, v17, v11, s6
	v_cndmask_b32_e64 v19, v19, v11, s5
	s_delay_alu instid0(VALU_DEP_4) | instskip(SKIP_1) | instid1(VALU_DEP_3)
	v_cndmask_b32_e64 v20, v20, v15, s5
	v_cmp_eq_u32_e64 s5, 1, v81
	v_cndmask_b32_e32 v19, v19, v4, vcc_lo
	v_cndmask_b32_e64 v18, v18, v15, s6
	s_delay_alu instid0(VALU_DEP_3)
	v_cndmask_b32_e64 v1, v1, v9, s5
	v_cndmask_b32_e64 v5, v5, v13, s5
	v_cmp_eq_u32_e64 s5, 3, v77
	v_cndmask_b32_e64 v13, v22, v6, s8
	v_cmp_eq_u32_e64 s8, 3, v81
	v_cndmask_b32_e64 v1, v1, v2, s4
	v_cndmask_b32_e64 v2, v5, v6, s4
	;; [unrolled: 1-line block ×3, first 2 shown]
	v_cmp_eq_u32_e64 s4, 4, v77
	v_cndmask_b32_e64 v6, v13, v14, s5
	v_cndmask_b32_e64 v1, v1, v10, s8
	v_cmp_eq_u32_e64 s5, 4, v81
	v_cndmask_b32_e64 v2, v2, v14, s8
	v_cndmask_b32_e64 v5, v9, v3, s4
	;; [unrolled: 3-line block ×3, first 2 shown]
	v_cndmask_b32_e64 v2, v2, v7, s5
	v_cmp_eq_u32_e64 s4, 5, v81
	v_cmp_eq_u32_e64 s6, 6, v78
	v_cndmask_b32_e64 v5, v5, v11, s8
	v_cmp_eq_u32_e64 s5, 6, v77
	v_cndmask_b32_e64 v3, v6, v15, s8
	v_cndmask_b32_e64 v1, v1, v11, s4
	v_cmp_eq_u32_e64 s8, 6, v81
	v_cndmask_b32_e64 v2, v2, v15, s4
	v_cndmask_b32_e64 v17, v17, v4, s6
	v_cndmask_b32_e64 v18, v18, v8, s6
	v_cmp_eq_u32_e64 s6, 7, v78
	v_cndmask_b32_e64 v5, v5, v4, s5
	;; [unrolled: 4-line block ×3, first 2 shown]
	v_cmp_eq_u32_e64 s5, 7, v77
	v_cndmask_b32_e32 v4, v20, v8, vcc_lo
	v_cndmask_b32_e64 v17, v17, v12, s6
	v_cndmask_b32_e64 v19, v19, v12, s7
	;; [unrolled: 1-line block ×8, first 2 shown]
	v_cmp_gt_u32_e32 vcc_lo, 32, v0
	v_perm_b32 v4, v2, v1, 0x5040100
	v_perm_b32 v3, v3, v5, 0x5040100
	;; [unrolled: 1-line block ×4, first 2 shown]
	s_and_b32 s2, vcc_lo, s2
	ds_store_b128 v76, v[1:4]
	s_waitcnt lgkmcnt(0)
	s_barrier
	buffer_gl0_inv
	s_and_saveexec_b32 s4, s2
	s_cbranch_execz .LBB1358_2
; %bb.111:
	s_load_b64 s[4:5], s[0:1], 0x68
	v_lshlrev_b32_e32 v0, 10, v0
	v_lshlrev_b32_e32 v1, 4, v75
	s_lshl_b32 s0, s36, 6
	v_add_nc_u32_e32 v18, s31, v74
	s_mul_i32 s1, s0, s34
	s_delay_alu instid0(VALU_DEP_2) | instskip(SKIP_1) | instid1(VALU_DEP_2)
	v_and_or_b32 v0, 0x3800, v0, v1
	s_mul_i32 s6, s1, s9
	v_mul_lo_u32 v1, v18, s0
	s_ashr_i32 s7, s6, 31
	v_add_nc_u32_e32 v2, 2, v18
	v_lshl_or_b32 v19, v74, 6, v0
	s_lshl_b64 s[6:7], s[6:7], 1
	v_add_nc_u32_e32 v8, 4, v18
	v_add_nc_u32_e32 v15, 6, v18
	v_mul_lo_u32 v7, v2, s0
	ds_load_b128 v[3:6], v19
	v_ashrrev_i32_e32 v2, 31, v1
	v_mul_lo_u32 v11, v8, s0
	s_waitcnt lgkmcnt(0)
	s_add_u32 s1, s4, s6
	s_addc_u32 s2, s5, s7
	s_lshl_b32 s4, s14, 6
	v_lshlrev_b64 v[9:10], 1, v[1:2]
	s_ashr_i32 s5, s4, 31
	v_ashrrev_i32_e32 v8, 31, v7
	s_lshl_b64 s[4:5], s[4:5], 1
	v_ashrrev_i32_e32 v12, 31, v11
	s_add_u32 s1, s1, s4
	s_addc_u32 s2, s2, s5
	v_add_co_u32 v1, s1, s1, v73
	s_delay_alu instid0(VALU_DEP_1) | instskip(SKIP_1) | instid1(VALU_DEP_3)
	v_add_co_ci_u32_e64 v2, null, s2, 0, s1
	v_mul_lo_u32 v15, v15, s0
	v_add_co_u32 v13, vcc_lo, v1, v9
	s_delay_alu instid0(VALU_DEP_3)
	v_add_co_ci_u32_e32 v14, vcc_lo, v2, v10, vcc_lo
	v_lshlrev_b64 v[16:17], 1, v[7:8]
	ds_load_b128 v[7:10], v19 offset:128
	global_store_b128 v[13:14], v[3:6], off
	v_add_nc_u32_e32 v5, 8, v18
	v_lshlrev_b64 v[3:4], 1, v[11:12]
	v_add_co_u32 v23, vcc_lo, v1, v16
	v_ashrrev_i32_e32 v16, 31, v15
	s_delay_alu instid0(VALU_DEP_4) | instskip(SKIP_3) | instid1(VALU_DEP_3)
	v_mul_lo_u32 v25, v5, s0
	v_add_nc_u32_e32 v5, 10, v18
	v_add_co_ci_u32_e32 v24, vcc_lo, v2, v17, vcc_lo
	v_add_co_u32 v27, vcc_lo, v1, v3
	v_mul_lo_u32 v29, v5, s0
	v_add_co_ci_u32_e32 v28, vcc_lo, v2, v4, vcc_lo
	v_lshlrev_b64 v[31:32], 1, v[15:16]
	ds_load_b128 v[3:6], v19 offset:256
	ds_load_b128 v[11:14], v19 offset:384
	;; [unrolled: 1-line block ×4, first 2 shown]
	v_ashrrev_i32_e32 v26, 31, v25
	v_ashrrev_i32_e32 v30, 31, v29
	v_add_co_u32 v31, vcc_lo, v1, v31
	s_delay_alu instid0(VALU_DEP_3) | instskip(SKIP_1) | instid1(VALU_DEP_4)
	v_lshlrev_b64 v[25:26], 1, v[25:26]
	v_add_co_ci_u32_e32 v32, vcc_lo, v2, v32, vcc_lo
	v_lshlrev_b64 v[29:30], 1, v[29:30]
	s_delay_alu instid0(VALU_DEP_3) | instskip(NEXT) | instid1(VALU_DEP_4)
	v_add_co_u32 v25, vcc_lo, v1, v25
	v_add_co_ci_u32_e32 v26, vcc_lo, v2, v26, vcc_lo
	s_delay_alu instid0(VALU_DEP_3) | instskip(NEXT) | instid1(VALU_DEP_4)
	v_add_co_u32 v29, vcc_lo, v1, v29
	v_add_co_ci_u32_e32 v30, vcc_lo, v2, v30, vcc_lo
	s_waitcnt lgkmcnt(4)
	global_store_b128 v[23:24], v[7:10], off
	s_waitcnt lgkmcnt(3)
	global_store_b128 v[27:28], v[3:6], off
	;; [unrolled: 2-line block ×5, first 2 shown]
	s_and_b32 exec_lo, exec_lo, s3
	s_cbranch_execz .LBB1358_2
; %bb.112:
	ds_load_b128 v[3:6], v0 offset:768
	s_add_i32 s1, s31, 12
	s_delay_alu instid0(SALU_CYCLE_1) | instskip(NEXT) | instid1(SALU_CYCLE_1)
	s_mul_i32 s0, s1, s0
	s_ashr_i32 s1, s0, 31
	s_delay_alu instid0(SALU_CYCLE_1) | instskip(NEXT) | instid1(SALU_CYCLE_1)
	s_lshl_b64 s[0:1], s[0:1], 1
	v_add_co_u32 v0, vcc_lo, v1, s0
	v_add_co_ci_u32_e32 v1, vcc_lo, s1, v2, vcc_lo
	s_waitcnt lgkmcnt(0)
	global_store_b128 v[0:1], v[3:6], off
	s_nop 0
	s_sendmsg sendmsg(MSG_DEALLOC_VGPRS)
	s_endpgm
	.section	.rodata,"a",@progbits
	.p2align	6, 0x0
	.amdhsa_kernel _Z39paged_attention_ll4mi_QKV_mfma16_kernelI14__hip_bfloat16hLN4vllm18Fp8KVCacheDataTypeE1EhLi16ELi64ELi256ELb1ELi13EL8MFMAType1EEvPKT_PKT0_S9_ifPKiSB_SB_iPKfiiiPfSE_PS4_PT2_iSD_SD_
		.amdhsa_group_segment_fixed_size 17472
		.amdhsa_private_segment_fixed_size 0
		.amdhsa_kernarg_size 400
		.amdhsa_user_sgpr_count 13
		.amdhsa_user_sgpr_dispatch_ptr 0
		.amdhsa_user_sgpr_queue_ptr 0
		.amdhsa_user_sgpr_kernarg_segment_ptr 1
		.amdhsa_user_sgpr_dispatch_id 0
		.amdhsa_user_sgpr_private_segment_size 0
		.amdhsa_wavefront_size32 1
		.amdhsa_uses_dynamic_stack 0
		.amdhsa_enable_private_segment 0
		.amdhsa_system_sgpr_workgroup_id_x 1
		.amdhsa_system_sgpr_workgroup_id_y 1
		.amdhsa_system_sgpr_workgroup_id_z 1
		.amdhsa_system_sgpr_workgroup_info 0
		.amdhsa_system_vgpr_workitem_id 0
		.amdhsa_next_free_vgpr 124
		.amdhsa_next_free_sgpr 40
		.amdhsa_reserve_vcc 1
		.amdhsa_float_round_mode_32 0
		.amdhsa_float_round_mode_16_64 0
		.amdhsa_float_denorm_mode_32 3
		.amdhsa_float_denorm_mode_16_64 3
		.amdhsa_dx10_clamp 1
		.amdhsa_ieee_mode 1
		.amdhsa_fp16_overflow 0
		.amdhsa_workgroup_processor_mode 1
		.amdhsa_memory_ordered 1
		.amdhsa_forward_progress 0
		.amdhsa_shared_vgpr_count 0
		.amdhsa_exception_fp_ieee_invalid_op 0
		.amdhsa_exception_fp_denorm_src 0
		.amdhsa_exception_fp_ieee_div_zero 0
		.amdhsa_exception_fp_ieee_overflow 0
		.amdhsa_exception_fp_ieee_underflow 0
		.amdhsa_exception_fp_ieee_inexact 0
		.amdhsa_exception_int_div_zero 0
	.end_amdhsa_kernel
	.section	.text._Z39paged_attention_ll4mi_QKV_mfma16_kernelI14__hip_bfloat16hLN4vllm18Fp8KVCacheDataTypeE1EhLi16ELi64ELi256ELb1ELi13EL8MFMAType1EEvPKT_PKT0_S9_ifPKiSB_SB_iPKfiiiPfSE_PS4_PT2_iSD_SD_,"axG",@progbits,_Z39paged_attention_ll4mi_QKV_mfma16_kernelI14__hip_bfloat16hLN4vllm18Fp8KVCacheDataTypeE1EhLi16ELi64ELi256ELb1ELi13EL8MFMAType1EEvPKT_PKT0_S9_ifPKiSB_SB_iPKfiiiPfSE_PS4_PT2_iSD_SD_,comdat
.Lfunc_end1358:
	.size	_Z39paged_attention_ll4mi_QKV_mfma16_kernelI14__hip_bfloat16hLN4vllm18Fp8KVCacheDataTypeE1EhLi16ELi64ELi256ELb1ELi13EL8MFMAType1EEvPKT_PKT0_S9_ifPKiSB_SB_iPKfiiiPfSE_PS4_PT2_iSD_SD_, .Lfunc_end1358-_Z39paged_attention_ll4mi_QKV_mfma16_kernelI14__hip_bfloat16hLN4vllm18Fp8KVCacheDataTypeE1EhLi16ELi64ELi256ELb1ELi13EL8MFMAType1EEvPKT_PKT0_S9_ifPKiSB_SB_iPKfiiiPfSE_PS4_PT2_iSD_SD_
                                        ; -- End function
	.section	.AMDGPU.csdata,"",@progbits
; Kernel info:
; codeLenInByte = 8908
; NumSgprs: 42
; NumVgprs: 124
; ScratchSize: 0
; MemoryBound: 0
; FloatMode: 240
; IeeeMode: 1
; LDSByteSize: 17472 bytes/workgroup (compile time only)
; SGPRBlocks: 5
; VGPRBlocks: 15
; NumSGPRsForWavesPerEU: 42
; NumVGPRsForWavesPerEU: 124
; Occupancy: 10
; WaveLimiterHint : 1
; COMPUTE_PGM_RSRC2:SCRATCH_EN: 0
; COMPUTE_PGM_RSRC2:USER_SGPR: 13
; COMPUTE_PGM_RSRC2:TRAP_HANDLER: 0
; COMPUTE_PGM_RSRC2:TGID_X_EN: 1
; COMPUTE_PGM_RSRC2:TGID_Y_EN: 1
; COMPUTE_PGM_RSRC2:TGID_Z_EN: 1
; COMPUTE_PGM_RSRC2:TIDIG_COMP_CNT: 0
	.section	.text._Z39paged_attention_ll4mi_QKV_mfma16_kernelI14__hip_bfloat16hLN4vllm18Fp8KVCacheDataTypeE1EhLi16ELi64ELi256ELb1ELi14EL8MFMAType1EEvPKT_PKT0_S9_ifPKiSB_SB_iPKfiiiPfSE_PS4_PT2_iSD_SD_,"axG",@progbits,_Z39paged_attention_ll4mi_QKV_mfma16_kernelI14__hip_bfloat16hLN4vllm18Fp8KVCacheDataTypeE1EhLi16ELi64ELi256ELb1ELi14EL8MFMAType1EEvPKT_PKT0_S9_ifPKiSB_SB_iPKfiiiPfSE_PS4_PT2_iSD_SD_,comdat
	.protected	_Z39paged_attention_ll4mi_QKV_mfma16_kernelI14__hip_bfloat16hLN4vllm18Fp8KVCacheDataTypeE1EhLi16ELi64ELi256ELb1ELi14EL8MFMAType1EEvPKT_PKT0_S9_ifPKiSB_SB_iPKfiiiPfSE_PS4_PT2_iSD_SD_ ; -- Begin function _Z39paged_attention_ll4mi_QKV_mfma16_kernelI14__hip_bfloat16hLN4vllm18Fp8KVCacheDataTypeE1EhLi16ELi64ELi256ELb1ELi14EL8MFMAType1EEvPKT_PKT0_S9_ifPKiSB_SB_iPKfiiiPfSE_PS4_PT2_iSD_SD_
	.globl	_Z39paged_attention_ll4mi_QKV_mfma16_kernelI14__hip_bfloat16hLN4vllm18Fp8KVCacheDataTypeE1EhLi16ELi64ELi256ELb1ELi14EL8MFMAType1EEvPKT_PKT0_S9_ifPKiSB_SB_iPKfiiiPfSE_PS4_PT2_iSD_SD_
	.p2align	8
	.type	_Z39paged_attention_ll4mi_QKV_mfma16_kernelI14__hip_bfloat16hLN4vllm18Fp8KVCacheDataTypeE1EhLi16ELi64ELi256ELb1ELi14EL8MFMAType1EEvPKT_PKT0_S9_ifPKiSB_SB_iPKfiiiPfSE_PS4_PT2_iSD_SD_,@function
_Z39paged_attention_ll4mi_QKV_mfma16_kernelI14__hip_bfloat16hLN4vllm18Fp8KVCacheDataTypeE1EhLi16ELi64ELi256ELb1ELi14EL8MFMAType1EEvPKT_PKT0_S9_ifPKiSB_SB_iPKfiiiPfSE_PS4_PT2_iSD_SD_: ; @_Z39paged_attention_ll4mi_QKV_mfma16_kernelI14__hip_bfloat16hLN4vllm18Fp8KVCacheDataTypeE1EhLi16ELi64ELi256ELb1ELi14EL8MFMAType1EEvPKT_PKT0_S9_ifPKiSB_SB_iPKfiiiPfSE_PS4_PT2_iSD_SD_
; %bb.0:
	s_load_b64 s[2:3], s[0:1], 0x30
	s_mov_b32 s30, s13
	s_waitcnt lgkmcnt(0)
	s_cmp_lg_u64 s[2:3], 0
	s_cselect_b32 s8, -1, 0
	s_ashr_i32 s31, s13, 31
	s_cmp_eq_u64 s[2:3], 0
	s_cbranch_scc1 .LBB1359_3
; %bb.1:
	s_lshl_b64 s[4:5], s[30:31], 2
	s_delay_alu instid0(SALU_CYCLE_1) | instskip(SKIP_4) | instid1(SALU_CYCLE_1)
	s_add_u32 s4, s2, s4
	s_addc_u32 s5, s3, s5
	s_load_b64 s[4:5], s[4:5], 0x0
	s_waitcnt lgkmcnt(0)
	s_sub_i32 s4, s5, s4
	s_cmp_eq_u32 s4, 1
	s_cselect_b32 s4, -1, 0
	s_delay_alu instid0(SALU_CYCLE_1)
	s_and_not1_b32 vcc_lo, exec_lo, s4
	s_cbranch_vccz .LBB1359_4
.LBB1359_2:
	s_endpgm
.LBB1359_3:
.LBB1359_4:
	s_load_b64 s[4:5], s[0:1], 0x28
	s_lshl_b64 s[6:7], s[30:31], 2
	s_waitcnt lgkmcnt(0)
	s_add_u32 s4, s4, s6
	s_addc_u32 s5, s5, s7
	s_lshl_b32 s12, s14, 8
	s_load_b32 s24, s[4:5], 0x0
	s_waitcnt lgkmcnt(0)
	s_cmp_ge_i32 s12, s24
	s_cbranch_scc1 .LBB1359_2
; %bb.5:
	s_clause 0x1
	s_load_b128 s[20:23], s[0:1], 0x8
	s_load_b64 s[4:5], s[0:1], 0x20
	s_and_not1_b32 vcc_lo, exec_lo, s8
	s_cbranch_vccnz .LBB1359_7
; %bb.6:
	s_add_u32 s2, s2, s6
	s_addc_u32 s3, s3, s7
	s_load_b32 s3, s[2:3], 0x0
	s_branch .LBB1359_8
.LBB1359_7:
	s_mov_b32 s3, s30
.LBB1359_8:
	s_load_b128 s[16:19], s[0:1], 0x48
	v_and_b32_e32 v65, 15, v0
	v_cmp_gt_u32_e32 vcc_lo, 0xe0, v0
	v_lshrrev_b32_e32 v66, 5, v0
	v_and_b32_e32 v67, 31, v0
	v_and_b32_e32 v75, 1, v0
	v_lshlrev_b32_e32 v1, 3, v65
	v_cmp_gt_u32_e64 s2, 8, v65
	v_bfe_u32 v74, v0, 4, 1
	s_mul_i32 s31, s15, 14
	s_delay_alu instid0(VALU_DEP_3) | instskip(NEXT) | instid1(VALU_DEP_3)
	v_lshlrev_b32_e32 v73, 1, v1
	s_and_b32 s7, vcc_lo, s2
	s_delay_alu instid0(SALU_CYCLE_1)
	s_and_saveexec_b32 s6, s7
	s_cbranch_execz .LBB1359_10
; %bb.9:
	s_load_b64 s[8:9], s[0:1], 0x0
	v_lshl_or_b32 v5, v66, 1, v74
	s_waitcnt lgkmcnt(0)
	s_mul_hi_i32 s11, s3, s16
	s_mul_i32 s10, s3, s16
	v_lshlrev_b32_e32 v6, 10, v65
	s_lshl_b64 s[10:11], s[10:11], 1
	v_add_lshl_u32 v1, v5, s31, 6
	v_lshlrev_b32_e32 v5, 6, v5
	v_lshlrev_b32_e32 v7, 10, v75
	v_and_b32_e32 v6, 0x3800, v6
	s_delay_alu instid0(VALU_DEP_4) | instskip(NEXT) | instid1(VALU_DEP_2)
	v_ashrrev_i32_e32 v2, 31, v1
	v_or3_b32 v5, v6, v7, v5
	s_delay_alu instid0(VALU_DEP_2) | instskip(SKIP_2) | instid1(VALU_DEP_1)
	v_lshlrev_b64 v[1:2], 1, v[1:2]
	s_add_u32 s3, s8, s10
	s_addc_u32 s7, s9, s11
	v_add_co_u32 v1, vcc_lo, s3, v1
	s_delay_alu instid0(VALU_DEP_2) | instskip(NEXT) | instid1(VALU_DEP_2)
	v_add_co_ci_u32_e32 v2, vcc_lo, s7, v2, vcc_lo
	v_add_co_u32 v1, vcc_lo, v1, v73
	s_delay_alu instid0(VALU_DEP_2)
	v_add_co_ci_u32_e32 v2, vcc_lo, 0, v2, vcc_lo
	global_load_b128 v[1:4], v[1:2], off
	s_waitcnt vmcnt(0)
	ds_store_b128 v5, v[1:4]
.LBB1359_10:
	s_or_b32 exec_lo, exec_lo, s6
	v_and_b32_e32 v1, 0xef, v0
	s_waitcnt lgkmcnt(0)
	s_add_i32 s3, s24, 15
	s_clause 0x1
	s_load_b32 s6, s[0:1], 0x38
	s_load_b32 s19, s[0:1], 0x1c
	s_ashr_i32 s7, s3, 31
	v_add_nc_u32_e32 v1, s12, v1
	s_lshr_b32 s7, s7, 28
	s_waitcnt lgkmcnt(0)
	s_add_i32 s3, s3, s7
	s_barrier
	v_ashrrev_i32_e32 v2, 31, v1
	v_or_b32_e32 v3, 16, v1
	s_ashr_i32 s3, s3, 4
	v_cmp_gt_i32_e32 vcc_lo, s24, v1
	s_add_i32 s3, s3, -1
	v_lshrrev_b32_e32 v2, 28, v2
	buffer_gl0_inv
	s_mul_i32 s27, s15, s18
	v_add_nc_u32_e32 v4, v1, v2
	s_mul_i32 s6, s30, s6
	s_delay_alu instid0(SALU_CYCLE_1) | instskip(NEXT) | instid1(VALU_DEP_1)
	s_ashr_i32 s7, s6, 31
	v_ashrrev_i32_e32 v4, 4, v4
	v_add_nc_u32_e32 v2, v3, v2
	s_lshl_b64 s[6:7], s[6:7], 2
	s_delay_alu instid0(SALU_CYCLE_1) | instskip(NEXT) | instid1(VALU_DEP_2)
	s_add_u32 s26, s4, s6
	v_cndmask_b32_e32 v1, s3, v4, vcc_lo
	s_delay_alu instid0(VALU_DEP_2)
	v_ashrrev_i32_e32 v2, 4, v2
	v_cmp_gt_i32_e32 vcc_lo, s24, v3
	s_addc_u32 s25, s5, s7
	s_ashr_i32 s28, s27, 31
	s_add_u32 s13, s20, s27
	s_addc_u32 s15, s21, s28
	v_cndmask_b32_e32 v3, s3, v2, vcc_lo
	v_ashrrev_i32_e32 v2, 31, v1
	s_lshl_b32 s4, s14, 4
	s_delay_alu instid0(SALU_CYCLE_1) | instskip(NEXT) | instid1(VALU_DEP_2)
	s_ashr_i32 s5, s4, 31
	v_ashrrev_i32_e32 v4, 31, v3
	s_delay_alu instid0(VALU_DEP_2) | instskip(SKIP_1) | instid1(SALU_CYCLE_1)
	v_lshlrev_b64 v[1:2], 2, v[1:2]
	s_lshl_b64 s[4:5], s[4:5], 2
	s_add_u32 s4, s26, s4
	s_delay_alu instid0(VALU_DEP_2) | instskip(SKIP_1) | instid1(VALU_DEP_2)
	v_lshlrev_b64 v[3:4], 2, v[3:4]
	s_addc_u32 s5, s25, s5
	v_add_co_u32 v1, vcc_lo, s26, v1
	v_add_co_ci_u32_e32 v2, vcc_lo, s25, v2, vcc_lo
	s_delay_alu instid0(VALU_DEP_3) | instskip(NEXT) | instid1(VALU_DEP_4)
	v_add_co_u32 v3, vcc_lo, s26, v3
	v_add_co_ci_u32_e32 v4, vcc_lo, s25, v4, vcc_lo
	s_clause 0x1
	global_load_b32 v5, v[1:2], off
	global_load_b32 v7, v[3:4], off
	s_or_b32 s6, s12, 32
	v_lshlrev_b32_e32 v1, 4, v0
	s_ashr_i32 s7, s6, 4
	s_cmp_lt_i32 s6, s24
	v_cmp_gt_u32_e32 vcc_lo, 14, v65
	s_cselect_b32 s6, s7, s3
	v_and_b32_e32 v1, 0xf0, v1
	s_ashr_i32 s7, s6, 31
	s_delay_alu instid0(SALU_CYCLE_1) | instskip(NEXT) | instid1(SALU_CYCLE_1)
	s_lshl_b64 s[6:7], s[6:7], 2
	s_add_u32 s6, s26, s6
	s_addc_u32 s7, s25, s7
	s_or_b32 s8, s12, 64
	v_add_co_u32 v1, s13, s13, v1
	s_ashr_i32 s9, s8, 4
	s_cmp_lt_i32 s8, s24
	v_add_co_ci_u32_e64 v2, null, s15, 0, s13
	s_cselect_b32 s8, s9, s3
	s_delay_alu instid0(SALU_CYCLE_1) | instskip(NEXT) | instid1(SALU_CYCLE_1)
	s_ashr_i32 s9, s8, 31
	s_lshl_b64 s[8:9], s[8:9], 2
	s_delay_alu instid0(SALU_CYCLE_1) | instskip(SKIP_2) | instid1(SALU_CYCLE_1)
	s_add_u32 s8, s26, s8
	s_addc_u32 s9, s25, s9
	s_or_b32 s10, s12, 0x60
	s_ashr_i32 s11, s10, 4
	s_cmp_lt_i32 s10, s24
	s_cselect_b32 s10, s11, s3
	s_delay_alu instid0(SALU_CYCLE_1) | instskip(NEXT) | instid1(SALU_CYCLE_1)
	s_ashr_i32 s11, s10, 31
	s_lshl_b64 s[10:11], s[10:11], 2
	s_delay_alu instid0(SALU_CYCLE_1) | instskip(SKIP_2) | instid1(SALU_CYCLE_1)
	s_add_u32 s10, s26, s10
	s_addc_u32 s11, s25, s11
	s_or_b32 s16, s12, 0x80
	s_ashr_i32 s18, s16, 4
	s_cmp_lt_i32 s16, s24
	;; [unrolled: 10-line block ×3, first 2 shown]
	s_cselect_b32 s20, s18, s3
	s_delay_alu instid0(SALU_CYCLE_1) | instskip(NEXT) | instid1(SALU_CYCLE_1)
	s_ashr_i32 s21, s20, 31
	s_lshl_b64 s[20:21], s[20:21], 2
	s_delay_alu instid0(SALU_CYCLE_1)
	s_add_u32 s36, s26, s20
	s_addc_u32 s37, s25, s21
	s_clause 0x5
	s_load_b32 s21, s[4:5], 0x0
	s_load_b32 s13, s[6:7], 0x0
	;; [unrolled: 1-line block ×6, first 2 shown]
	s_or_b32 s8, s12, 0xc0
	s_mov_b32 s4, 0
	s_ashr_i32 s9, s8, 4
	s_cmp_lt_i32 s8, s24
	s_mov_b32 s11, s4
	s_cselect_b32 s34, s9, s3
	s_mov_b32 s5, s4
	s_ashr_i32 s35, s34, 31
	s_mov_b32 s6, s4
	s_lshl_b64 s[34:35], s[34:35], 2
	s_mov_b32 s7, s4
	s_add_u32 s34, s26, s34
	s_addc_u32 s35, s25, s35
	s_or_b32 s29, s12, 0xe0
	s_mov_b32 s8, s4
	s_ashr_i32 s33, s29, 4
	s_mov_b32 s9, s4
	s_mov_b32 s10, s4
	s_cmp_lt_i32 s29, s24
	v_dual_mov_b32 v107, s11 :: v_dual_mov_b32 v100, s4
	v_mov_b32_e32 v106, s10
	v_dual_mov_b32 v104, s8 :: v_dual_mov_b32 v103, s7
	v_dual_mov_b32 v102, s6 :: v_dual_mov_b32 v101, s5
	s_waitcnt vmcnt(1)
	v_mad_i64_i32 v[3:4], null, v5, s17, v[1:2]
	s_waitcnt vmcnt(0)
	v_mad_i64_i32 v[5:6], null, v7, s17, v[1:2]
	v_add_nc_u32_e32 v1, -14, v65
	v_lshlrev_b32_e32 v2, 4, v65
	s_clause 0x7
	global_load_b128 v[49:52], v[3:4], off
	global_load_b128 v[53:56], v[3:4], off offset:256
	global_load_b128 v[76:79], v[5:6], off
	global_load_b128 v[80:83], v[5:6], off offset:256
	global_load_b128 v[84:87], v[3:4], off offset:512
	;; [unrolled: 1-line block ×5, first 2 shown]
	v_cndmask_b32_e32 v1, v1, v65, vcc_lo
	v_mov_b32_e32 v105, s9
	s_cselect_b32 s4, s33, s3
	v_lshl_or_b32 v2, v66, 8, v2
	s_ashr_i32 s5, s4, 31
	v_lshlrev_b32_e32 v70, 6, v1
	s_lshl_b64 s[4:5], s[4:5], 2
	s_load_b32 s3, s[34:35], 0x0
	s_add_u32 s4, s26, s4
	s_addc_u32 s5, s25, s5
	ds_load_b128 v[108:111], v70
	ds_load_b128 v[112:115], v70 offset:1024
	s_load_b32 s4, s[4:5], 0x0
	s_add_u32 s6, s22, s27
	s_addc_u32 s7, s23, s28
	v_add_co_u32 v9, s6, s6, v2
	s_delay_alu instid0(VALU_DEP_1) | instskip(SKIP_1) | instid1(VALU_DEP_1)
	v_add_co_ci_u32_e64 v10, null, s7, 0, s6
	s_waitcnt lgkmcnt(0)
	v_mad_i64_i32 v[1:2], null, s21, s17, v[9:10]
	v_mad_i64_i32 v[3:4], null, s13, s17, v[9:10]
	;; [unrolled: 1-line block ×7, first 2 shown]
	s_clause 0x9
	global_load_b128 v[57:60], v[1:2], off
	global_load_b128 v[61:64], v[1:2], off offset:16
	global_load_b128 v[41:44], v[3:4], off
	global_load_b128 v[45:48], v[3:4], off offset:16
	;; [unrolled: 2-line block ×5, first 2 shown]
	v_mad_i64_i32 v[68:69], null, s4, s17, v[9:10]
	s_clause 0x3
	global_load_b128 v[9:12], v[13:14], off
	global_load_b128 v[13:16], v[13:14], off offset:16
	global_load_b128 v[17:20], v[21:22], off
	global_load_b128 v[21:24], v[21:22], off offset:16
	s_waitcnt vmcnt(20)
	v_wmma_f32_16x16x16_bf16 v[116:123], v[49:56], v[108:115], v[100:107]
	s_clause 0x1
	global_load_b128 v[49:52], v[68:69], off
	global_load_b128 v[53:56], v[68:69], off offset:16
	v_and_b32_e32 v68, 0xe0, v0
	v_mbcnt_lo_u32_b32 v69, -1, 0
	s_delay_alu instid0(VALU_DEP_2)
	v_add_nc_u32_e32 v68, s12, v68
	s_waitcnt vmcnt(20)
	v_wmma_f32_16x16x16_bf16 v[100:107], v[76:83], v[108:115], v[100:107]
	ds_load_b128 v[76:79], v70 offset:2048
	ds_load_b128 v[80:83], v70 offset:3072
	v_xor_b32_e32 v70, 16, v69
	s_waitcnt vmcnt(0) lgkmcnt(0)
	v_or_b32_e32 v68, v68, v74
	s_barrier
	buffer_gl0_inv
	v_cmp_gt_i32_e32 vcc_lo, 32, v70
	v_or_b32_e32 v71, 4, v68
	v_or_b32_e32 v72, 6, v68
	v_cmp_gt_i32_e64 s3, s24, v68
	v_or_b32_e32 v108, 8, v68
	v_or_b32_e32 v109, 10, v68
	v_cmp_gt_i32_e64 s4, s24, v71
	v_cmp_gt_i32_e64 s5, s24, v72
	s_delay_alu instid0(VALU_DEP_4) | instskip(NEXT) | instid1(VALU_DEP_4)
	v_cmp_gt_i32_e64 s6, s24, v108
	v_cmp_gt_i32_e64 s7, s24, v109
	v_wmma_f32_16x16x16_bf16 v[116:123], v[84:91], v[76:83], v[116:123]
	v_cndmask_b32_e32 v69, v69, v70, vcc_lo
	v_or_b32_e32 v70, 2, v68
	v_wmma_f32_16x16x16_bf16 v[100:107], v[92:99], v[76:83], v[100:107]
	v_or_b32_e32 v89, 22, v68
	v_dual_mul_f32 v82, s19, v119 :: v_dual_mul_f32 v79, s19, v122
	v_dual_mul_f32 v92, s19, v117 :: v_dual_mul_f32 v93, s19, v116
	s_delay_alu instid0(VALU_DEP_4) | instskip(SKIP_2) | instid1(VALU_DEP_4)
	v_mul_f32_e32 v98, s19, v103
	v_cmp_gt_i32_e32 vcc_lo, s24, v70
	v_dual_mul_f32 v83, s19, v118 :: v_dual_mul_f32 v96, s19, v105
	v_cndmask_b32_e64 v93, 0xff7fffff, v93, s3
	v_or_b32_e32 v84, 12, v68
	v_cndmask_b32_e32 v92, 0xff7fffff, v92, vcc_lo
	v_or_b32_e32 v85, 14, v68
	v_dual_mul_f32 v80, s19, v121 :: v_dual_mul_f32 v81, s19, v120
	v_mul_f32_e32 v94, s19, v107
	v_cndmask_b32_e64 v71, 0xff7fffff, v83, s4
	v_cndmask_b32_e64 v72, 0xff7fffff, v82, s5
	v_cmp_gt_i32_e64 s13, s24, v89
	v_lshlrev_b32_e32 v89, 2, v69
	v_max3_f32 v82, v93, 0xff7fffff, v92
	v_or_b32_e32 v86, 16, v68
	v_or_b32_e32 v87, 18, v68
	v_mul_f32_e32 v78, s19, v123
	v_cndmask_b32_e64 v81, 0xff7fffff, v81, s6
	v_cndmask_b32_e64 v80, 0xff7fffff, v80, s7
	v_max3_f32 v71, v82, v71, v72
	v_cmp_gt_i32_e64 s8, s24, v84
	v_cmp_gt_i32_e64 s9, s24, v85
	v_or_b32_e32 v88, 20, v68
	v_or_b32_e32 v90, 24, v68
	v_or_b32_e32 v91, 26, v68
	v_or_b32_e32 v76, 28, v68
	v_or_b32_e32 v77, 30, v68
	v_dual_mul_f32 v95, s19, v106 :: v_dual_mul_f32 v70, s19, v101
	v_dual_mul_f32 v99, s19, v102 :: v_dual_mul_f32 v68, s19, v100
	v_cndmask_b32_e64 v72, 0xff7fffff, v79, s8
	v_cndmask_b32_e64 v78, 0xff7fffff, v78, s9
	v_max3_f32 v71, v71, v81, v80
	v_cmp_gt_i32_e64 s10, s24, v86
	v_cmp_gt_i32_e64 s11, s24, v87
	;; [unrolled: 1-line block ×3, first 2 shown]
	v_mul_f32_e32 v97, s19, v104
	v_max3_f32 v71, v71, v72, v78
	v_cndmask_b32_e64 v68, 0xff7fffff, v68, s10
	v_cndmask_b32_e64 v70, 0xff7fffff, v70, s11
	;; [unrolled: 1-line block ×4, first 2 shown]
	v_cmp_gt_i32_e64 s15, s24, v90
	v_cmp_gt_i32_e64 s16, s24, v91
	v_max3_f32 v68, v71, v68, v70
	v_cmp_gt_i32_e64 s17, s24, v76
	v_cmp_gt_i32_e64 s18, s24, v77
	v_cndmask_b32_e64 v70, 0xff7fffff, v97, s15
	v_cndmask_b32_e64 v71, 0xff7fffff, v96, s16
	v_max3_f32 v68, v68, v72, v78
	v_cndmask_b32_e64 v72, 0xff7fffff, v95, s17
	v_cndmask_b32_e64 v76, 0xff7fffff, v94, s18
	s_delay_alu instid0(VALU_DEP_3) | instskip(NEXT) | instid1(VALU_DEP_1)
	v_max3_f32 v68, v68, v70, v71
	v_max3_f32 v68, v68, v72, v76
	ds_bpermute_b32 v69, v89, v68
	s_waitcnt lgkmcnt(0)
	v_max_f32_e32 v69, v69, v69
	s_delay_alu instid0(VALU_DEP_1) | instskip(NEXT) | instid1(VALU_DEP_1)
	v_max_f32_e32 v68, v68, v69
	v_fma_f32 v69, s19, v116, -v68
	v_fma_f32 v70, s19, v117, -v68
	;; [unrolled: 1-line block ×5, first 2 shown]
	s_delay_alu instid0(VALU_DEP_4) | instskip(NEXT) | instid1(VALU_DEP_4)
	v_dual_mul_f32 v69, 0x3fb8aa3b, v69 :: v_dual_mul_f32 v70, 0x3fb8aa3b, v70
	v_mul_f32_e32 v72, 0x3fb8aa3b, v72
	v_fma_f32 v78, s19, v122, -v68
	s_delay_alu instid0(VALU_DEP_4) | instskip(NEXT) | instid1(VALU_DEP_4)
	v_mul_f32_e32 v77, 0x3fb8aa3b, v76
	v_exp_f32_e32 v69, v69
	v_exp_f32_e32 v70, v70
	v_mul_f32_e32 v71, 0x3fb8aa3b, v71
	v_exp_f32_e32 v72, v72
	v_mul_f32_e32 v78, 0x3fb8aa3b, v78
	v_exp_f32_e32 v77, v77
	v_fma_f32 v81, s19, v105, -v68
	s_delay_alu instid0(VALU_DEP_2)
	v_exp_f32_e32 v78, v78
	v_cndmask_b32_e64 v80, 0, v69, s3
	v_cndmask_b32_e32 v76, 0, v70, vcc_lo
	v_exp_f32_e32 v71, v71
	v_fma_f32 v69, s19, v121, -v68
	v_cndmask_b32_e64 v85, 0, v72, s5
	v_add_f32_e32 v70, 0, v80
	s_delay_alu instid0(TRANS32_DEP_3)
	v_cndmask_b32_e64 v86, 0, v77, s6
	v_fma_f32 v77, s19, v101, -v68
	v_mul_f32_e32 v69, 0x3fb8aa3b, v69
	v_fma_f32 v72, s19, v100, -v68
	v_cndmask_b32_e64 v84, 0, v78, s8
	v_fma_f32 v78, s19, v103, -v68
	v_cndmask_b32_e64 v83, 0, v71, s4
	v_fma_f32 v71, s19, v123, -v68
	v_add_f32_e32 v70, v70, v76
	v_exp_f32_e32 v69, v69
	v_mul_f32_e32 v77, 0x3fb8aa3b, v77
	v_mul_f32_e32 v81, 0x3fb8aa3b, v81
	;; [unrolled: 1-line block ×3, first 2 shown]
	v_add_f32_e32 v70, v70, v83
	s_mov_b32 s3, exec_lo
	v_exp_f32_e32 v77, v77
	v_exp_f32_e32 v81, v81
	;; [unrolled: 1-line block ×3, first 2 shown]
	v_cndmask_b32_e64 v87, 0, v69, s7
	v_add_f32_e32 v70, v70, v85
	s_delay_alu instid0(VALU_DEP_1) | instskip(SKIP_1) | instid1(VALU_DEP_2)
	v_dual_mul_f32 v72, 0x3fb8aa3b, v72 :: v_dual_add_f32 v69, v70, v86
	v_fma_f32 v70, s19, v102, -v68
	v_exp_f32_e32 v72, v72
	s_waitcnt_depctr 0xfff
	v_cndmask_b32_e64 v88, 0, v71, s9
	v_fma_f32 v71, s19, v104, -v68
	v_dual_add_f32 v69, v69, v87 :: v_dual_mul_f32 v70, 0x3fb8aa3b, v70
	s_delay_alu instid0(VALU_DEP_2) | instskip(NEXT) | instid1(VALU_DEP_2)
	v_dual_mul_f32 v78, 0x3fb8aa3b, v78 :: v_dual_mul_f32 v71, 0x3fb8aa3b, v71
	v_add_f32_e32 v69, v69, v84
	s_delay_alu instid0(VALU_DEP_3) | instskip(SKIP_1) | instid1(VALU_DEP_3)
	v_exp_f32_e32 v79, v70
	v_cndmask_b32_e64 v70, 0, v72, s10
	v_exp_f32_e32 v78, v78
	v_exp_f32_e32 v82, v71
	v_add_f32_e32 v72, v69, v88
	v_cndmask_b32_e64 v69, 0, v77, s11
	v_fma_f32 v77, s19, v106, -v68
	s_delay_alu instid0(VALU_DEP_3) | instskip(NEXT) | instid1(TRANS32_DEP_3)
	v_add_f32_e32 v72, v72, v70
	v_cndmask_b32_e64 v71, 0, v79, s12
	s_delay_alu instid0(VALU_DEP_3) | instskip(NEXT) | instid1(VALU_DEP_3)
	v_mul_f32_e32 v77, 0x3fb8aa3b, v77
	v_add_f32_e32 v79, v72, v69
	s_delay_alu instid0(TRANS32_DEP_2) | instskip(NEXT) | instid1(VALU_DEP_3)
	v_cndmask_b32_e64 v72, 0, v78, s13
	v_exp_f32_e32 v90, v77
	v_cndmask_b32_e64 v77, 0, v82, s15
	s_delay_alu instid0(VALU_DEP_3) | instskip(SKIP_1) | instid1(VALU_DEP_1)
	v_add_f32_e32 v78, v79, v71
	v_fma_f32 v79, s19, v107, -v68
	v_dual_add_f32 v82, v78, v72 :: v_dual_mul_f32 v79, 0x3fb8aa3b, v79
	v_cndmask_b32_e64 v78, 0, v81, s16
	s_delay_alu instid0(VALU_DEP_2) | instskip(NEXT) | instid1(VALU_DEP_3)
	v_add_f32_e32 v81, v82, v77
	v_exp_f32_e32 v82, v79
	s_delay_alu instid0(TRANS32_DEP_2) | instskip(NEXT) | instid1(VALU_DEP_2)
	v_cndmask_b32_e64 v79, 0, v90, s17
	v_add_f32_e32 v81, v81, v78
	s_delay_alu instid0(VALU_DEP_1) | instskip(SKIP_2) | instid1(VALU_DEP_1)
	v_add_f32_e32 v90, v81, v79
	s_waitcnt_depctr 0xfff
	v_cndmask_b32_e64 v81, 0, v82, s18
	v_add_f32_e32 v82, v90, v81
	ds_bpermute_b32 v89, v89, v82
	v_cmpx_gt_u32_e32 16, v67
	s_cbranch_execz .LBB1359_12
; %bb.11:
	v_mul_u32_u24_e32 v67, 0x44, v66
	s_delay_alu instid0(VALU_DEP_1) | instskip(SKIP_1) | instid1(VALU_DEP_1)
	v_lshl_add_u32 v67, v65, 2, v67
	s_waitcnt lgkmcnt(0)
	v_dual_add_f32 v82, v82, v89 :: v_dual_add_nc_u32 v67, 0x4000, v67
	ds_store_2addr_b32 v67, v68, v82 offset1:136
.LBB1359_12:
	s_or_b32 exec_lo, exec_lo, s3
	v_lshlrev_b32_e32 v67, 2, v65
	s_waitcnt lgkmcnt(0)
	s_barrier
	buffer_gl0_inv
	v_cmp_eq_u32_e32 vcc_lo, 1, v66
	v_add_nc_u32_e32 v82, 0x4000, v67
	v_cmp_eq_u32_e64 s3, 2, v66
	v_cmp_eq_u32_e64 s5, 7, v66
	ds_load_2addr_b32 v[89:90], v82 offset1:17
	ds_load_2addr_b32 v[91:92], v82 offset0:34 offset1:51
	ds_load_2addr_b32 v[93:94], v82 offset0:68 offset1:85
	;; [unrolled: 1-line block ×4, first 2 shown]
	s_waitcnt lgkmcnt(4)
	v_max3_f32 v67, v89, 0xff7fffff, v90
	s_waitcnt lgkmcnt(3)
	s_delay_alu instid0(VALU_DEP_1) | instskip(SKIP_1) | instid1(VALU_DEP_1)
	v_max3_f32 v67, v67, v91, v92
	s_waitcnt lgkmcnt(2)
	v_max3_f32 v67, v67, v93, v94
	s_waitcnt lgkmcnt(1)
	s_delay_alu instid0(VALU_DEP_1) | instskip(NEXT) | instid1(VALU_DEP_1)
	v_max3_f32 v67, v67, v95, v96
	v_sub_f32_e32 v93, v93, v67
	s_delay_alu instid0(VALU_DEP_1) | instskip(NEXT) | instid1(VALU_DEP_1)
	v_dual_sub_f32 v68, v89, v67 :: v_dual_mul_f32 v103, 0x3fb8aa3b, v93
	v_mul_f32_e32 v68, 0x3fb8aa3b, v68
	s_delay_alu instid0(VALU_DEP_1)
	v_exp_f32_e32 v100, v68
	v_sub_f32_e32 v68, v92, v67
	v_sub_f32_e32 v99, v90, v67
	ds_load_2addr_b32 v[89:90], v82 offset0:170 offset1:187
	v_dual_mul_f32 v102, 0x3fb8aa3b, v68 :: v_dual_mul_f32 v99, 0x3fb8aa3b, v99
	s_waitcnt lgkmcnt(1)
	v_fma_f32 v68, v100, v97, 0
	s_delay_alu instid0(VALU_DEP_2) | instskip(NEXT) | instid1(VALU_DEP_2)
	v_exp_f32_e32 v102, v102
	v_exp_f32_e32 v99, v99
	s_waitcnt_depctr 0xfff
	v_fmac_f32_e32 v68, v99, v98
	v_sub_f32_e32 v91, v91, v67
	s_delay_alu instid0(VALU_DEP_1)
	v_mul_f32_e32 v101, 0x3fb8aa3b, v91
	ds_load_2addr_b32 v[91:92], v82 offset0:204 offset1:221
	v_sub_f32_e32 v97, v94, v67
	ds_load_2addr_b32 v[93:94], v82 offset0:238 offset1:255
	s_waitcnt lgkmcnt(0)
	v_exp_f32_e32 v101, v101
	s_barrier
	buffer_gl0_inv
	v_dual_fmac_f32 v68, v101, v89 :: v_dual_sub_f32 v89, v96, v67
	v_dual_sub_f32 v82, v95, v67 :: v_dual_mul_f32 v95, 0x3fb8aa3b, v97
	v_exp_f32_e32 v97, v103
	s_delay_alu instid0(VALU_DEP_2) | instskip(NEXT) | instid1(VALU_DEP_2)
	v_dual_fmac_f32 v68, v102, v90 :: v_dual_mul_f32 v89, 0x3fb8aa3b, v89
	v_mul_f32_e32 v82, 0x3fb8aa3b, v82
	s_delay_alu instid0(VALU_DEP_3) | instskip(NEXT) | instid1(VALU_DEP_2)
	v_exp_f32_e32 v95, v95
	v_exp_f32_e32 v89, v89
	s_delay_alu instid0(VALU_DEP_1)
	v_exp_f32_e32 v82, v82
	v_fmac_f32_e32 v68, v97, v91
	s_delay_alu instid0(TRANS32_DEP_3) | instid1(VALU_DEP_1)
	v_fmac_f32_e32 v68, v95, v92
	s_waitcnt_depctr 0xfff
	v_fmac_f32_e32 v68, v82, v93
	s_delay_alu instid0(VALU_DEP_1) | instskip(NEXT) | instid1(VALU_DEP_1)
	v_fmac_f32_e32 v68, v89, v94
	v_add_f32_e32 v90, 0x358637bd, v68
	s_delay_alu instid0(VALU_DEP_1) | instskip(NEXT) | instid1(VALU_DEP_1)
	v_div_scale_f32 v91, null, v90, v90, 1.0
	v_rcp_f32_e32 v92, v91
	s_waitcnt_depctr 0xfff
	v_fma_f32 v93, -v91, v92, 1.0
	s_delay_alu instid0(VALU_DEP_1) | instskip(SKIP_1) | instid1(VALU_DEP_2)
	v_dual_fmac_f32 v92, v93, v92 :: v_dual_cndmask_b32 v93, v100, v99
	v_cmp_eq_u32_e32 vcc_lo, 3, v66
	v_cndmask_b32_e64 v93, v93, v101, s3
	v_cmp_eq_u32_e64 s3, 4, v66
	s_delay_alu instid0(VALU_DEP_2) | instskip(SKIP_1) | instid1(VALU_DEP_2)
	v_cndmask_b32_e32 v93, v93, v102, vcc_lo
	v_cmp_eq_u32_e32 vcc_lo, 5, v66
	v_cndmask_b32_e64 v93, v93, v97, s3
	v_cmp_eq_u32_e64 s3, 6, v66
	s_delay_alu instid0(VALU_DEP_2) | instskip(SKIP_1) | instid1(VALU_DEP_1)
	v_cndmask_b32_e32 v93, v93, v95, vcc_lo
	v_div_scale_f32 v94, s4, 1.0, v90, 1.0
	s_mov_b32 vcc_lo, s4
	s_delay_alu instid0(VALU_DEP_2) | instskip(NEXT) | instid1(VALU_DEP_2)
	v_cndmask_b32_e64 v82, v93, v82, s3
	v_mul_f32_e32 v96, v94, v92
	s_mov_b32 s3, exec_lo
	s_delay_alu instid0(VALU_DEP_2) | instskip(NEXT) | instid1(VALU_DEP_2)
	v_cndmask_b32_e64 v82, v82, v89, s5
	v_fma_f32 v98, -v91, v96, v94
	s_delay_alu instid0(VALU_DEP_1) | instskip(NEXT) | instid1(VALU_DEP_1)
	v_fmac_f32_e32 v96, v98, v92
	v_fma_f32 v91, -v91, v96, v94
	s_delay_alu instid0(VALU_DEP_1) | instskip(NEXT) | instid1(VALU_DEP_1)
	v_div_fmas_f32 v91, v91, v92, v96
	v_div_fixup_f32 v90, v91, v90, 1.0
	s_delay_alu instid0(VALU_DEP_1) | instskip(NEXT) | instid1(VALU_DEP_1)
	v_mul_f32_e32 v82, v82, v90
	v_mul_f32_e32 v87, v82, v87
	;; [unrolled: 1-line block ×7, first 2 shown]
	v_dual_mul_f32 v86, v82, v83 :: v_dual_and_b32 v91, 0x7f800000, v90
	v_mul_f32_e32 v85, v82, v76
                                        ; implicit-def: $vgpr76
	s_delay_alu instid0(VALU_DEP_2)
	v_cmpx_ne_u32_e32 0x7f800000, v91
	s_xor_b32 s3, exec_lo, s3
; %bb.13:
	v_bfe_u32 v76, v90, 16, 1
	s_delay_alu instid0(VALU_DEP_1)
	v_add3_u32 v76, v90, v76, 0x7fff
                                        ; implicit-def: $vgpr90
; %bb.14:
	s_and_not1_saveexec_b32 s3, s3
; %bb.15:
	v_and_b32_e32 v76, 0xffff, v90
	v_or_b32_e32 v83, 0x10000, v90
	s_delay_alu instid0(VALU_DEP_2) | instskip(NEXT) | instid1(VALU_DEP_2)
	v_cmp_eq_u32_e32 vcc_lo, 0, v76
	v_cndmask_b32_e32 v76, v83, v90, vcc_lo
; %bb.16:
	s_or_b32 exec_lo, exec_lo, s3
	v_and_b32_e32 v83, 0x7f800000, v85
	s_delay_alu instid0(VALU_DEP_1) | instskip(SKIP_1) | instid1(SALU_CYCLE_1)
	v_cmp_ne_u32_e32 vcc_lo, 0x7f800000, v83
                                        ; implicit-def: $vgpr83
	s_and_saveexec_b32 s3, vcc_lo
	s_xor_b32 s3, exec_lo, s3
; %bb.17:
	v_bfe_u32 v83, v85, 16, 1
	s_delay_alu instid0(VALU_DEP_1)
	v_add3_u32 v83, v85, v83, 0x7fff
                                        ; implicit-def: $vgpr85
; %bb.18:
	s_and_not1_saveexec_b32 s3, s3
; %bb.19:
	v_and_b32_e32 v83, 0xffff, v85
	v_or_b32_e32 v90, 0x10000, v85
	s_delay_alu instid0(VALU_DEP_2) | instskip(NEXT) | instid1(VALU_DEP_2)
	v_cmp_eq_u32_e32 vcc_lo, 0, v83
	v_cndmask_b32_e32 v83, v90, v85, vcc_lo
; %bb.20:
	s_or_b32 exec_lo, exec_lo, s3
	v_and_b32_e32 v85, 0x7f800000, v86
	s_delay_alu instid0(VALU_DEP_1) | instskip(SKIP_1) | instid1(SALU_CYCLE_1)
	v_cmp_ne_u32_e32 vcc_lo, 0x7f800000, v85
                                        ; implicit-def: $vgpr85
	s_and_saveexec_b32 s3, vcc_lo
	s_xor_b32 s3, exec_lo, s3
; %bb.21:
	v_bfe_u32 v85, v86, 16, 1
	s_delay_alu instid0(VALU_DEP_1)
	v_add3_u32 v85, v86, v85, 0x7fff
                                        ; implicit-def: $vgpr86
; %bb.22:
	s_and_not1_saveexec_b32 s3, s3
; %bb.23:
	v_and_b32_e32 v85, 0xffff, v86
	v_or_b32_e32 v90, 0x10000, v86
	s_delay_alu instid0(VALU_DEP_2) | instskip(NEXT) | instid1(VALU_DEP_2)
	v_cmp_eq_u32_e32 vcc_lo, 0, v85
	v_cndmask_b32_e32 v85, v90, v86, vcc_lo
; %bb.24:
	s_or_b32 exec_lo, exec_lo, s3
	v_and_b32_e32 v86, 0x7f800000, v89
	s_delay_alu instid0(VALU_DEP_1) | instskip(SKIP_1) | instid1(SALU_CYCLE_1)
	v_cmp_ne_u32_e32 vcc_lo, 0x7f800000, v86
                                        ; implicit-def: $vgpr86
	s_and_saveexec_b32 s3, vcc_lo
	s_xor_b32 s3, exec_lo, s3
; %bb.25:
	v_bfe_u32 v86, v89, 16, 1
	s_delay_alu instid0(VALU_DEP_1)
	v_add3_u32 v86, v89, v86, 0x7fff
                                        ; implicit-def: $vgpr89
; %bb.26:
	s_and_not1_saveexec_b32 s3, s3
; %bb.27:
	v_and_b32_e32 v86, 0xffff, v89
	v_or_b32_e32 v90, 0x10000, v89
	s_delay_alu instid0(VALU_DEP_2) | instskip(NEXT) | instid1(VALU_DEP_2)
	v_cmp_eq_u32_e32 vcc_lo, 0, v86
	v_cndmask_b32_e32 v86, v90, v89, vcc_lo
; %bb.28:
	s_or_b32 exec_lo, exec_lo, s3
	v_and_b32_e32 v89, 0x7f800000, v88
	s_delay_alu instid0(VALU_DEP_1) | instskip(SKIP_1) | instid1(SALU_CYCLE_1)
	v_cmp_ne_u32_e32 vcc_lo, 0x7f800000, v89
                                        ; implicit-def: $vgpr89
	s_and_saveexec_b32 s3, vcc_lo
	s_xor_b32 s3, exec_lo, s3
; %bb.29:
	v_bfe_u32 v89, v88, 16, 1
	s_delay_alu instid0(VALU_DEP_1)
	v_add3_u32 v89, v88, v89, 0x7fff
                                        ; implicit-def: $vgpr88
; %bb.30:
	s_and_not1_saveexec_b32 s3, s3
; %bb.31:
	v_and_b32_e32 v89, 0xffff, v88
	v_or_b32_e32 v90, 0x10000, v88
	s_delay_alu instid0(VALU_DEP_2) | instskip(NEXT) | instid1(VALU_DEP_2)
	v_cmp_eq_u32_e32 vcc_lo, 0, v89
	v_cndmask_b32_e32 v89, v90, v88, vcc_lo
; %bb.32:
	s_or_b32 exec_lo, exec_lo, s3
	v_and_b32_e32 v88, 0x7f800000, v87
	s_delay_alu instid0(VALU_DEP_1) | instskip(SKIP_1) | instid1(SALU_CYCLE_1)
	v_cmp_ne_u32_e32 vcc_lo, 0x7f800000, v88
                                        ; implicit-def: $vgpr88
	s_and_saveexec_b32 s3, vcc_lo
	s_xor_b32 s3, exec_lo, s3
; %bb.33:
	v_bfe_u32 v88, v87, 16, 1
	s_delay_alu instid0(VALU_DEP_1)
	v_add3_u32 v88, v87, v88, 0x7fff
                                        ; implicit-def: $vgpr87
; %bb.34:
	s_and_not1_saveexec_b32 s3, s3
; %bb.35:
	v_and_b32_e32 v88, 0xffff, v87
	v_or_b32_e32 v90, 0x10000, v87
	s_delay_alu instid0(VALU_DEP_2) | instskip(NEXT) | instid1(VALU_DEP_2)
	v_cmp_eq_u32_e32 vcc_lo, 0, v88
	v_cndmask_b32_e32 v88, v90, v87, vcc_lo
; %bb.36:
	s_or_b32 exec_lo, exec_lo, s3
	v_and_b32_e32 v87, 0x7f800000, v84
	s_delay_alu instid0(VALU_DEP_1) | instskip(SKIP_1) | instid1(SALU_CYCLE_1)
	v_cmp_ne_u32_e32 vcc_lo, 0x7f800000, v87
                                        ; implicit-def: $vgpr87
	s_and_saveexec_b32 s3, vcc_lo
	s_xor_b32 s3, exec_lo, s3
; %bb.37:
	v_bfe_u32 v87, v84, 16, 1
	s_delay_alu instid0(VALU_DEP_1)
	v_add3_u32 v87, v84, v87, 0x7fff
                                        ; implicit-def: $vgpr84
; %bb.38:
	s_and_not1_saveexec_b32 s3, s3
; %bb.39:
	v_and_b32_e32 v87, 0xffff, v84
	v_or_b32_e32 v90, 0x10000, v84
	s_delay_alu instid0(VALU_DEP_2) | instskip(NEXT) | instid1(VALU_DEP_2)
	v_cmp_eq_u32_e32 vcc_lo, 0, v87
	v_cndmask_b32_e32 v87, v90, v84, vcc_lo
; %bb.40:
	s_or_b32 exec_lo, exec_lo, s3
	v_and_b32_e32 v84, 0x7f800000, v80
	s_delay_alu instid0(VALU_DEP_1) | instskip(SKIP_1) | instid1(SALU_CYCLE_1)
	v_cmp_ne_u32_e32 vcc_lo, 0x7f800000, v84
                                        ; implicit-def: $vgpr84
	s_and_saveexec_b32 s3, vcc_lo
	s_xor_b32 s3, exec_lo, s3
; %bb.41:
	v_bfe_u32 v84, v80, 16, 1
	s_delay_alu instid0(VALU_DEP_1)
	v_add3_u32 v84, v80, v84, 0x7fff
                                        ; implicit-def: $vgpr80
; %bb.42:
	s_and_not1_saveexec_b32 s3, s3
; %bb.43:
	v_and_b32_e32 v84, 0xffff, v80
	v_or_b32_e32 v90, 0x10000, v80
	s_delay_alu instid0(VALU_DEP_2) | instskip(NEXT) | instid1(VALU_DEP_2)
	v_cmp_eq_u32_e32 vcc_lo, 0, v84
	v_cndmask_b32_e32 v84, v90, v80, vcc_lo
; %bb.44:
	s_or_b32 exec_lo, exec_lo, s3
	s_load_b64 s[34:35], s[0:1], 0x94
	v_lshlrev_b32_e32 v91, 4, v74
	s_delay_alu instid0(VALU_DEP_2)
	v_perm_b32 v90, v84, v87, 0x7060302
	v_dual_mul_f32 v79, v82, v79 :: v_dual_lshlrev_b32 v80, 6, v65
	v_dual_mul_f32 v77, v82, v77 :: v_dual_lshlrev_b32 v92, 11, v66
	v_mul_f32_e32 v84, v82, v70
	v_perm_b32 v89, v88, v89, 0x7060302
	v_perm_b32 v88, v86, v85, 0x7060302
	;; [unrolled: 1-line block ×3, first 2 shown]
	v_mul_f32_e32 v70, v82, v81
	v_or3_b32 v76, v91, v92, v80
	v_dual_mul_f32 v78, v82, v78 :: v_dual_and_b32 v85, 0x7f800000, v84
	v_mul_f32_e32 v83, v82, v72
	v_mul_f32_e32 v81, v82, v71
	;; [unrolled: 1-line block ×3, first 2 shown]
	s_mov_b32 s3, exec_lo
	ds_store_b128 v76, v[87:90]
                                        ; implicit-def: $vgpr69
	v_cmpx_ne_u32_e32 0x7f800000, v85
	s_xor_b32 s3, exec_lo, s3
; %bb.45:
	v_bfe_u32 v69, v84, 16, 1
	s_delay_alu instid0(VALU_DEP_1)
	v_add3_u32 v69, v84, v69, 0x7fff
                                        ; implicit-def: $vgpr84
; %bb.46:
	s_and_not1_saveexec_b32 s3, s3
; %bb.47:
	v_and_b32_e32 v69, 0xffff, v84
	v_or_b32_e32 v71, 0x10000, v84
	s_delay_alu instid0(VALU_DEP_2) | instskip(NEXT) | instid1(VALU_DEP_2)
	v_cmp_eq_u32_e32 vcc_lo, 0, v69
	v_cndmask_b32_e32 v69, v71, v84, vcc_lo
; %bb.48:
	s_or_b32 exec_lo, exec_lo, s3
	v_and_b32_e32 v71, 0x7f800000, v72
	s_delay_alu instid0(VALU_DEP_1) | instskip(SKIP_1) | instid1(SALU_CYCLE_1)
	v_cmp_ne_u32_e32 vcc_lo, 0x7f800000, v71
                                        ; implicit-def: $vgpr71
	s_and_saveexec_b32 s3, vcc_lo
	s_xor_b32 s3, exec_lo, s3
; %bb.49:
	v_bfe_u32 v71, v72, 16, 1
	s_delay_alu instid0(VALU_DEP_1)
	v_add3_u32 v71, v72, v71, 0x7fff
                                        ; implicit-def: $vgpr72
; %bb.50:
	s_and_not1_saveexec_b32 s3, s3
; %bb.51:
	v_and_b32_e32 v71, 0xffff, v72
	v_or_b32_e32 v82, 0x10000, v72
	s_delay_alu instid0(VALU_DEP_2) | instskip(NEXT) | instid1(VALU_DEP_2)
	v_cmp_eq_u32_e32 vcc_lo, 0, v71
	v_cndmask_b32_e32 v71, v82, v72, vcc_lo
; %bb.52:
	s_or_b32 exec_lo, exec_lo, s3
	v_and_b32_e32 v72, 0x7f800000, v81
	s_delay_alu instid0(VALU_DEP_1) | instskip(SKIP_1) | instid1(SALU_CYCLE_1)
	v_cmp_ne_u32_e32 vcc_lo, 0x7f800000, v72
                                        ; implicit-def: $vgpr72
	s_and_saveexec_b32 s3, vcc_lo
	s_xor_b32 s3, exec_lo, s3
; %bb.53:
	v_bfe_u32 v72, v81, 16, 1
	s_delay_alu instid0(VALU_DEP_1)
	v_add3_u32 v72, v81, v72, 0x7fff
                                        ; implicit-def: $vgpr81
; %bb.54:
	s_and_not1_saveexec_b32 s3, s3
; %bb.55:
	v_and_b32_e32 v72, 0xffff, v81
	v_or_b32_e32 v82, 0x10000, v81
	s_delay_alu instid0(VALU_DEP_2) | instskip(NEXT) | instid1(VALU_DEP_2)
	v_cmp_eq_u32_e32 vcc_lo, 0, v72
	v_cndmask_b32_e32 v72, v82, v81, vcc_lo
; %bb.56:
	s_or_b32 exec_lo, exec_lo, s3
	v_and_b32_e32 v81, 0x7f800000, v83
	s_delay_alu instid0(VALU_DEP_1) | instskip(SKIP_1) | instid1(SALU_CYCLE_1)
	v_cmp_ne_u32_e32 vcc_lo, 0x7f800000, v81
                                        ; implicit-def: $vgpr81
	s_and_saveexec_b32 s3, vcc_lo
	s_xor_b32 s3, exec_lo, s3
; %bb.57:
	v_bfe_u32 v81, v83, 16, 1
	s_delay_alu instid0(VALU_DEP_1)
	v_add3_u32 v81, v83, v81, 0x7fff
                                        ; implicit-def: $vgpr83
; %bb.58:
	s_and_not1_saveexec_b32 s3, s3
; %bb.59:
	v_and_b32_e32 v81, 0xffff, v83
	v_or_b32_e32 v82, 0x10000, v83
	s_delay_alu instid0(VALU_DEP_2) | instskip(NEXT) | instid1(VALU_DEP_2)
	v_cmp_eq_u32_e32 vcc_lo, 0, v81
	v_cndmask_b32_e32 v81, v82, v83, vcc_lo
; %bb.60:
	s_or_b32 exec_lo, exec_lo, s3
	v_and_b32_e32 v82, 0x7f800000, v77
	s_delay_alu instid0(VALU_DEP_1) | instskip(SKIP_1) | instid1(SALU_CYCLE_1)
	v_cmp_ne_u32_e32 vcc_lo, 0x7f800000, v82
                                        ; implicit-def: $vgpr82
	s_and_saveexec_b32 s3, vcc_lo
	s_xor_b32 s3, exec_lo, s3
; %bb.61:
	v_bfe_u32 v82, v77, 16, 1
	s_delay_alu instid0(VALU_DEP_1)
	v_add3_u32 v82, v77, v82, 0x7fff
                                        ; implicit-def: $vgpr77
; %bb.62:
	s_and_not1_saveexec_b32 s3, s3
; %bb.63:
	v_and_b32_e32 v82, 0xffff, v77
	v_or_b32_e32 v83, 0x10000, v77
	s_delay_alu instid0(VALU_DEP_2) | instskip(NEXT) | instid1(VALU_DEP_2)
	v_cmp_eq_u32_e32 vcc_lo, 0, v82
	v_cndmask_b32_e32 v82, v83, v77, vcc_lo
; %bb.64:
	s_or_b32 exec_lo, exec_lo, s3
	v_and_b32_e32 v77, 0x7f800000, v78
	s_delay_alu instid0(VALU_DEP_1) | instskip(SKIP_1) | instid1(SALU_CYCLE_1)
	v_cmp_ne_u32_e32 vcc_lo, 0x7f800000, v77
                                        ; implicit-def: $vgpr77
	s_and_saveexec_b32 s3, vcc_lo
	s_xor_b32 s3, exec_lo, s3
; %bb.65:
	v_bfe_u32 v77, v78, 16, 1
	s_delay_alu instid0(VALU_DEP_1)
	v_add3_u32 v77, v78, v77, 0x7fff
                                        ; implicit-def: $vgpr78
; %bb.66:
	s_and_not1_saveexec_b32 s3, s3
; %bb.67:
	v_and_b32_e32 v77, 0xffff, v78
	v_or_b32_e32 v83, 0x10000, v78
	s_delay_alu instid0(VALU_DEP_2) | instskip(NEXT) | instid1(VALU_DEP_2)
	v_cmp_eq_u32_e32 vcc_lo, 0, v77
	v_cndmask_b32_e32 v77, v83, v78, vcc_lo
; %bb.68:
	s_or_b32 exec_lo, exec_lo, s3
	v_and_b32_e32 v78, 0x7f800000, v79
	s_delay_alu instid0(VALU_DEP_1) | instskip(SKIP_1) | instid1(SALU_CYCLE_1)
	v_cmp_ne_u32_e32 vcc_lo, 0x7f800000, v78
                                        ; implicit-def: $vgpr78
	s_and_saveexec_b32 s3, vcc_lo
	s_xor_b32 s3, exec_lo, s3
; %bb.69:
	v_bfe_u32 v78, v79, 16, 1
	s_delay_alu instid0(VALU_DEP_1)
	v_add3_u32 v78, v79, v78, 0x7fff
                                        ; implicit-def: $vgpr79
; %bb.70:
	s_and_not1_saveexec_b32 s3, s3
; %bb.71:
	v_and_b32_e32 v78, 0xffff, v79
	v_or_b32_e32 v83, 0x10000, v79
	s_delay_alu instid0(VALU_DEP_2) | instskip(NEXT) | instid1(VALU_DEP_2)
	v_cmp_eq_u32_e32 vcc_lo, 0, v78
	v_cndmask_b32_e32 v78, v83, v79, vcc_lo
; %bb.72:
	s_or_b32 exec_lo, exec_lo, s3
	v_and_b32_e32 v79, 0x7f800000, v70
	s_delay_alu instid0(VALU_DEP_1) | instskip(SKIP_1) | instid1(SALU_CYCLE_1)
	v_cmp_ne_u32_e32 vcc_lo, 0x7f800000, v79
                                        ; implicit-def: $vgpr79
	s_and_saveexec_b32 s3, vcc_lo
	s_xor_b32 s3, exec_lo, s3
; %bb.73:
	v_bfe_u32 v79, v70, 16, 1
	s_delay_alu instid0(VALU_DEP_1)
	v_add3_u32 v79, v70, v79, 0x7fff
                                        ; implicit-def: $vgpr70
; %bb.74:
	s_and_not1_saveexec_b32 s3, s3
; %bb.75:
	v_and_b32_e32 v79, 0xffff, v70
	v_or_b32_e32 v83, 0x10000, v70
	s_delay_alu instid0(VALU_DEP_2) | instskip(NEXT) | instid1(VALU_DEP_2)
	v_cmp_eq_u32_e32 vcc_lo, 0, v79
	v_cndmask_b32_e32 v79, v83, v70, vcc_lo
; %bb.76:
	s_or_b32 exec_lo, exec_lo, s3
	s_delay_alu instid0(VALU_DEP_1)
	v_perm_b32 v86, v79, v78, 0x7060302
	v_perm_b32 v85, v77, v82, 0x7060302
	v_perm_b32 v84, v81, v72, 0x7060302
	v_perm_b32 v83, v71, v69, 0x7060302
	v_lshl_or_b32 v82, v66, 11, v80
	ds_store_b128 v76, v[83:86] offset:1024
	s_waitcnt lgkmcnt(0)
	s_barrier
	buffer_gl0_inv
	ds_load_b128 v[69:72], v82
	ds_load_b128 v[83:86], v82 offset:16
	s_waitcnt lgkmcnt(1)
	v_lshrrev_b32_e32 v66, 16, v69
	s_waitcnt lgkmcnt(0)
	v_lshrrev_b32_e32 v91, 16, v83
	v_lshlrev_b32_e32 v78, 2, v74
	v_lshrrev_b32_e32 v95, 16, v70
	v_lshrrev_b32_e32 v98, 16, v84
	;; [unrolled: 1-line block ×4, first 2 shown]
	v_cmp_eq_u32_e32 vcc_lo, 1, v78
	v_lshrrev_b32_e32 v97, 16, v72
	v_lshrrev_b32_e32 v100, 16, v86
	v_cndmask_b32_e32 v87, v83, v91, vcc_lo
	v_or_b32_e32 v79, 1, v78
	v_cndmask_b32_e32 v81, v69, v66, vcc_lo
	v_cmp_eq_u32_e64 s4, 2, v78
	v_cmp_eq_u32_e64 s7, 3, v78
	;; [unrolled: 1-line block ×5, first 2 shown]
	v_cndmask_b32_e64 v81, v81, v70, s4
	v_cndmask_b32_e64 v87, v87, v84, s4
	v_cmp_eq_u32_e64 s8, 3, v79
	v_cndmask_b32_e64 v88, v69, v66, s3
	v_or_b32_e32 v77, 2, v78
	v_cndmask_b32_e64 v81, v81, v95, s7
	v_cndmask_b32_e64 v87, v87, v98, s7
	;; [unrolled: 1-line block ×4, first 2 shown]
	v_cmp_eq_u32_e64 s10, 5, v78
	v_cndmask_b32_e64 v81, v81, v71, s9
	v_cndmask_b32_e64 v87, v87, v85, s9
	v_cmp_eq_u32_e64 s11, 4, v79
	v_cndmask_b32_e64 v88, v88, v95, s8
	v_cmp_eq_u32_e64 s5, 1, v77
	v_cndmask_b32_e64 v89, v89, v84, s6
	v_cndmask_b32_e64 v81, v81, v96, s10
	v_cmp_eq_u32_e64 s12, 6, v78
	v_cndmask_b32_e64 v88, v88, v71, s11
	;; [unrolled: 3-line block ×3, first 2 shown]
	v_cndmask_b32_e64 v89, v89, v98, s8
	v_cndmask_b32_e64 v81, v81, v72, s12
	v_cmp_eq_u32_e64 s15, 7, v78
	v_cndmask_b32_e64 v88, v88, v96, s13
	v_cndmask_b32_e64 v87, v87, v86, s12
	v_cmp_eq_u32_e64 s16, 6, v79
	v_cmp_eq_u32_e64 s17, 2, v77
	v_cndmask_b32_e64 v89, v89, v85, s11
	v_cndmask_b32_e64 v101, v81, v97, s15
	;; [unrolled: 1-line block ×6, first 2 shown]
	v_cmp_eq_u32_e64 s18, 7, v79
	v_cmp_eq_u32_e64 s19, 3, v77
	;; [unrolled: 1-line block ×4, first 2 shown]
	v_cndmask_b32_e64 v87, v87, v84, s17
	v_cndmask_b32_e64 v103, v88, v97, s18
	;; [unrolled: 1-line block ×4, first 2 shown]
	v_or_b32_e32 v81, 3, v78
	v_cndmask_b32_e64 v93, v87, v98, s19
	v_cmp_eq_u32_e64 s24, 6, v77
	v_cndmask_b32_e64 v104, v88, v86, s16
	v_cndmask_b32_e64 v92, v89, v71, s20
	v_cmp_eq_u32_e64 s21, 1, v81
	ds_load_b128 v[87:90], v82 offset:1024
	v_cmp_eq_u32_e64 s23, 2, v81
	v_cmp_eq_u32_e64 s25, 3, v81
	v_cndmask_b32_e64 v105, v92, v96, s22
	v_cndmask_b32_e64 v66, v69, v66, s21
	;; [unrolled: 1-line block ×4, first 2 shown]
	ds_load_b128 v[91:94], v82 offset:1040
	v_cmp_eq_u32_e64 s26, 4, v81
	v_cndmask_b32_e64 v66, v66, v70, s23
	v_cmp_eq_u32_e64 s27, 7, v77
	v_cndmask_b32_e64 v70, v83, v84, s23
	v_cndmask_b32_e64 v84, v105, v72, s24
	v_cmp_eq_u32_e64 s28, 5, v81
	v_cndmask_b32_e64 v66, v66, v95, s25
	v_cmp_eq_u32_e64 s29, 6, v81
	v_cndmask_b32_e64 v70, v70, v98, s25
	v_cndmask_b32_e64 v69, v69, v99, s22
	;; [unrolled: 1-line block ×4, first 2 shown]
	s_waitcnt lgkmcnt(1)
	v_lshrrev_b32_e32 v95, 16, v87
	v_cndmask_b32_e64 v70, v70, v85, s26
	v_cndmask_b32_e64 v71, v84, v97, s27
	;; [unrolled: 1-line block ×4, first 2 shown]
	v_cndmask_b32_e32 v84, v87, v95, vcc_lo
	v_cndmask_b32_e64 v70, v70, v99, s28
	s_waitcnt lgkmcnt(0)
	v_lshrrev_b32_e32 v85, 16, v91
	v_lshrrev_b32_e32 v96, 16, v88
	v_cndmask_b32_e64 v98, v87, v95, s3
	v_cndmask_b32_e64 v84, v84, v88, s4
	v_cndmask_b32_e64 v70, v70, v86, s29
	v_cndmask_b32_e32 v99, v91, v85, vcc_lo
	v_cmp_eq_u32_e32 vcc_lo, 7, v81
	v_cndmask_b32_e64 v66, v66, v72, s29
	v_cndmask_b32_e64 v72, v84, v96, s7
	;; [unrolled: 1-line block ×3, first 2 shown]
	v_lshrrev_b32_e32 v98, 16, v92
	v_cndmask_b32_e32 v70, v70, v100, vcc_lo
	v_cndmask_b32_e64 v86, v99, v92, s4
	v_cndmask_b32_e64 v69, v69, v100, s27
	v_lshrrev_b32_e32 v100, 16, v93
	v_cndmask_b32_e64 v72, v72, v89, s9
	v_lshrrev_b32_e32 v99, 16, v89
	v_cndmask_b32_e64 v86, v86, v98, s7
	v_perm_b32 v71, v69, v71, 0x5040100
	v_cndmask_b32_e64 v84, v84, v96, s8
	s_delay_alu instid0(VALU_DEP_3) | instskip(NEXT) | instid1(VALU_DEP_2)
	v_cndmask_b32_e64 v86, v86, v93, s9
	v_cndmask_b32_e64 v84, v84, v89, s11
	s_delay_alu instid0(VALU_DEP_2) | instskip(NEXT) | instid1(VALU_DEP_1)
	v_cndmask_b32_e64 v86, v86, v100, s10
	v_cndmask_b32_e64 v69, v86, v94, s12
	;; [unrolled: 1-line block ×5, first 2 shown]
	s_delay_alu instid0(VALU_DEP_3) | instskip(NEXT) | instid1(VALU_DEP_3)
	v_cndmask_b32_e64 v86, v86, v88, s17
	v_cndmask_b32_e64 v87, v87, v88, s23
	s_delay_alu instid0(VALU_DEP_3) | instskip(NEXT) | instid1(VALU_DEP_3)
	v_cndmask_b32_e64 v88, v95, v92, s23
	v_cndmask_b32_e64 v86, v86, v96, s19
	;; [unrolled: 3-line block ×7, first 2 shown]
	s_delay_alu instid0(VALU_DEP_3) | instskip(SKIP_2) | instid1(VALU_DEP_2)
	v_cndmask_b32_e64 v88, v88, v94, s29
	v_cndmask_b32_e32 v66, v66, v97, vcc_lo
	v_cndmask_b32_e64 v97, v72, v99, s10
	v_perm_b32 v72, v70, v66, 0x5040100
	v_perm_b32 v70, v83, v103, 0x5040100
	v_cndmask_b32_e64 v103, v91, v85, s5
	v_cndmask_b32_e64 v85, v91, v85, s3
	;; [unrolled: 1-line block ×4, first 2 shown]
	v_lshrrev_b32_e32 v97, 16, v90
	v_cndmask_b32_e64 v91, v103, v92, s17
	v_cndmask_b32_e64 v85, v85, v92, s6
	;; [unrolled: 1-line block ×3, first 2 shown]
	s_mov_b32 s3, exec_lo
	v_cndmask_b32_e64 v83, v84, v97, s15
	v_cndmask_b32_e64 v91, v91, v98, s19
	;; [unrolled: 1-line block ×3, first 2 shown]
	v_lshrrev_b32_e32 v84, 16, v94
	v_cndmask_b32_e64 v66, v66, v97, s18
	v_cndmask_b32_e64 v90, v86, v97, s27
	v_cndmask_b32_e64 v89, v91, v93, s20
	v_cndmask_b32_e64 v85, v85, v93, s11
	v_dual_cndmask_b32 v86, v87, v97 :: v_dual_cndmask_b32 v87, v88, v84
	v_cndmask_b32_e64 v91, v69, v84, s15
	s_delay_alu instid0(VALU_DEP_4) | instskip(NEXT) | instid1(VALU_DEP_4)
	v_cndmask_b32_e64 v89, v89, v100, s22
	v_cndmask_b32_e64 v85, v85, v100, s13
	v_perm_b32 v69, v102, v101, 0x5040100
	v_perm_b32 v86, v87, v86, 0x5040100
	;; [unrolled: 1-line block ×3, first 2 shown]
	v_cndmask_b32_e64 v89, v89, v94, s24
	v_cndmask_b32_e64 v85, v85, v94, s16
	s_mul_i32 s8, s35, 14
	s_delay_alu instid0(VALU_DEP_2) | instskip(NEXT) | instid1(VALU_DEP_2)
	v_cndmask_b32_e64 v88, v89, v84, s27
	v_cndmask_b32_e64 v89, v85, v84, s18
	s_delay_alu instid0(VALU_DEP_2) | instskip(NEXT) | instid1(VALU_DEP_2)
	v_perm_b32 v85, v88, v90, 0x5040100
	v_perm_b32 v84, v89, v66, 0x5040100
	ds_store_b128 v76, v[69:72]
	ds_store_b128 v76, v[83:86] offset:1024
	v_cmpx_gt_u32_e32 14, v0
	s_cbranch_execz .LBB1359_78
; %bb.77:
	s_mul_i32 s4, s8, s30
	s_delay_alu instid0(SALU_CYCLE_1) | instskip(SKIP_1) | instid1(VALU_DEP_1)
	v_add3_u32 v69, s4, s31, v65
	s_load_b128 s[4:7], s[0:1], 0x58
	v_mad_u64_u32 v[65:66], null, v69, s34, s[14:15]
	s_delay_alu instid0(VALU_DEP_1) | instskip(NEXT) | instid1(VALU_DEP_1)
	v_ashrrev_i32_e32 v66, 31, v65
	v_lshlrev_b64 v[65:66], 2, v[65:66]
	s_waitcnt lgkmcnt(0)
	s_delay_alu instid0(VALU_DEP_1) | instskip(NEXT) | instid1(VALU_DEP_2)
	v_add_co_u32 v69, vcc_lo, s6, v65
	v_add_co_ci_u32_e32 v70, vcc_lo, s7, v66, vcc_lo
	v_add_co_u32 v65, vcc_lo, s4, v65
	v_add_co_ci_u32_e32 v66, vcc_lo, s5, v66, vcc_lo
	global_store_b32 v[69:70], v67, off
	global_store_b32 v[65:66], v68, off
.LBB1359_78:
	s_or_b32 exec_lo, exec_lo, s3
	s_waitcnt lgkmcnt(0)
	s_waitcnt_vscnt null, 0x0
	s_barrier
	buffer_gl0_inv
	ds_load_b128 v[83:86], v80
	ds_load_b128 v[87:90], v80 offset:16
	ds_load_b128 v[95:98], v80 offset:2064
	;; [unrolled: 1-line block ×3, first 2 shown]
	v_mov_b32_e32 v65, 0
	ds_load_b128 v[103:106], v80 offset:4112
	ds_load_b128 v[99:102], v80 offset:4096
	ds_load_b128 v[111:114], v80 offset:6160
	ds_load_b128 v[107:110], v80 offset:6144
	v_mov_b32_e32 v66, v65
	v_mov_b32_e32 v67, v65
	;; [unrolled: 1-line block ×7, first 2 shown]
	s_waitcnt lgkmcnt(6)
	s_delay_alu instid0(VALU_DEP_1)
	v_wmma_f32_16x16x16_bf16 v[65:72], v[57:64], v[83:90], v[65:72]
	ds_load_b128 v[61:64], v80 offset:8208
	ds_load_b128 v[57:60], v80 offset:8192
	s_waitcnt lgkmcnt(6)
	v_wmma_f32_16x16x16_bf16 v[65:72], v[41:48], v[91:98], v[65:72]
	ds_load_b128 v[45:48], v80 offset:10256
	ds_load_b128 v[41:44], v80 offset:10240
	s_waitcnt lgkmcnt(6)
	;; [unrolled: 4-line block ×4, first 2 shown]
	v_wmma_f32_16x16x16_bf16 v[65:72], v[1:8], v[57:64], v[65:72]
	s_waitcnt lgkmcnt(4)
	s_delay_alu instid0(VALU_DEP_1) | instskip(SKIP_1) | instid1(VALU_DEP_1)
	v_wmma_f32_16x16x16_bf16 v[65:72], v[9:16], v[41:48], v[65:72]
	s_waitcnt lgkmcnt(2)
	v_wmma_f32_16x16x16_bf16 v[65:72], v[17:24], v[33:40], v[65:72]
	s_waitcnt lgkmcnt(0)
	s_delay_alu instid0(VALU_DEP_1) | instskip(NEXT) | instid1(VALU_DEP_1)
	v_wmma_f32_16x16x16_bf16 v[65:72], v[49:56], v[25:32], v[65:72]
	v_and_b32_e32 v1, 0x7f800000, v65
	s_delay_alu instid0(VALU_DEP_1) | instskip(SKIP_1) | instid1(SALU_CYCLE_1)
	v_cmp_ne_u32_e32 vcc_lo, 0x7f800000, v1
                                        ; implicit-def: $vgpr1
	s_and_saveexec_b32 s3, vcc_lo
	s_xor_b32 s3, exec_lo, s3
; %bb.79:
	v_bfe_u32 v1, v65, 16, 1
	s_delay_alu instid0(VALU_DEP_1)
	v_add3_u32 v1, v65, v1, 0x7fff
; %bb.80:
	s_and_not1_saveexec_b32 s3, s3
; %bb.81:
	v_and_b32_e32 v1, 0xffff, v65
	v_or_b32_e32 v2, 0x10000, v65
	s_delay_alu instid0(VALU_DEP_2) | instskip(NEXT) | instid1(VALU_DEP_2)
	v_cmp_eq_u32_e32 vcc_lo, 0, v1
	v_cndmask_b32_e32 v1, v2, v65, vcc_lo
; %bb.82:
	s_or_b32 exec_lo, exec_lo, s3
	v_and_b32_e32 v2, 0x7f800000, v66
	s_delay_alu instid0(VALU_DEP_1) | instskip(SKIP_1) | instid1(SALU_CYCLE_1)
	v_cmp_ne_u32_e32 vcc_lo, 0x7f800000, v2
                                        ; implicit-def: $vgpr2
	s_and_saveexec_b32 s3, vcc_lo
	s_xor_b32 s3, exec_lo, s3
; %bb.83:
	v_bfe_u32 v2, v66, 16, 1
	s_delay_alu instid0(VALU_DEP_1)
	v_add3_u32 v2, v66, v2, 0x7fff
; %bb.84:
	s_and_not1_saveexec_b32 s3, s3
; %bb.85:
	v_and_b32_e32 v2, 0xffff, v66
	v_or_b32_e32 v3, 0x10000, v66
	s_delay_alu instid0(VALU_DEP_2) | instskip(NEXT) | instid1(VALU_DEP_2)
	v_cmp_eq_u32_e32 vcc_lo, 0, v2
	v_cndmask_b32_e32 v2, v3, v66, vcc_lo
; %bb.86:
	s_or_b32 exec_lo, exec_lo, s3
	v_and_b32_e32 v3, 0x7f800000, v67
	s_delay_alu instid0(VALU_DEP_1) | instskip(SKIP_1) | instid1(SALU_CYCLE_1)
	v_cmp_ne_u32_e32 vcc_lo, 0x7f800000, v3
                                        ; implicit-def: $vgpr3
	s_and_saveexec_b32 s3, vcc_lo
	s_xor_b32 s3, exec_lo, s3
; %bb.87:
	v_bfe_u32 v3, v67, 16, 1
	s_delay_alu instid0(VALU_DEP_1)
	v_add3_u32 v3, v67, v3, 0x7fff
; %bb.88:
	s_and_not1_saveexec_b32 s3, s3
; %bb.89:
	v_and_b32_e32 v3, 0xffff, v67
	v_or_b32_e32 v4, 0x10000, v67
	s_delay_alu instid0(VALU_DEP_2) | instskip(NEXT) | instid1(VALU_DEP_2)
	v_cmp_eq_u32_e32 vcc_lo, 0, v3
	v_cndmask_b32_e32 v3, v4, v67, vcc_lo
; %bb.90:
	s_or_b32 exec_lo, exec_lo, s3
	v_and_b32_e32 v4, 0x7f800000, v68
	s_delay_alu instid0(VALU_DEP_1) | instskip(SKIP_1) | instid1(SALU_CYCLE_1)
	v_cmp_ne_u32_e32 vcc_lo, 0x7f800000, v4
                                        ; implicit-def: $vgpr4
	s_and_saveexec_b32 s3, vcc_lo
	s_xor_b32 s3, exec_lo, s3
; %bb.91:
	v_bfe_u32 v4, v68, 16, 1
	s_delay_alu instid0(VALU_DEP_1)
	v_add3_u32 v4, v68, v4, 0x7fff
; %bb.92:
	s_and_not1_saveexec_b32 s3, s3
; %bb.93:
	v_and_b32_e32 v4, 0xffff, v68
	v_or_b32_e32 v5, 0x10000, v68
	s_delay_alu instid0(VALU_DEP_2) | instskip(NEXT) | instid1(VALU_DEP_2)
	v_cmp_eq_u32_e32 vcc_lo, 0, v4
	v_cndmask_b32_e32 v4, v5, v68, vcc_lo
; %bb.94:
	s_or_b32 exec_lo, exec_lo, s3
	v_and_b32_e32 v5, 0x7f800000, v69
	s_delay_alu instid0(VALU_DEP_1) | instskip(SKIP_1) | instid1(SALU_CYCLE_1)
	v_cmp_ne_u32_e32 vcc_lo, 0x7f800000, v5
                                        ; implicit-def: $vgpr5
	s_and_saveexec_b32 s3, vcc_lo
	s_xor_b32 s3, exec_lo, s3
; %bb.95:
	v_bfe_u32 v5, v69, 16, 1
	s_delay_alu instid0(VALU_DEP_1)
	v_add3_u32 v5, v69, v5, 0x7fff
; %bb.96:
	s_and_not1_saveexec_b32 s3, s3
; %bb.97:
	v_and_b32_e32 v5, 0xffff, v69
	v_or_b32_e32 v6, 0x10000, v69
	s_delay_alu instid0(VALU_DEP_2) | instskip(NEXT) | instid1(VALU_DEP_2)
	v_cmp_eq_u32_e32 vcc_lo, 0, v5
	v_cndmask_b32_e32 v5, v6, v69, vcc_lo
; %bb.98:
	s_or_b32 exec_lo, exec_lo, s3
	v_and_b32_e32 v6, 0x7f800000, v70
	s_delay_alu instid0(VALU_DEP_1) | instskip(SKIP_1) | instid1(SALU_CYCLE_1)
	v_cmp_ne_u32_e32 vcc_lo, 0x7f800000, v6
                                        ; implicit-def: $vgpr6
	s_and_saveexec_b32 s3, vcc_lo
	s_xor_b32 s3, exec_lo, s3
; %bb.99:
	v_bfe_u32 v6, v70, 16, 1
	s_delay_alu instid0(VALU_DEP_1)
	v_add3_u32 v6, v70, v6, 0x7fff
; %bb.100:
	s_and_not1_saveexec_b32 s3, s3
; %bb.101:
	v_and_b32_e32 v6, 0xffff, v70
	v_or_b32_e32 v7, 0x10000, v70
	s_delay_alu instid0(VALU_DEP_2) | instskip(NEXT) | instid1(VALU_DEP_2)
	v_cmp_eq_u32_e32 vcc_lo, 0, v6
	v_cndmask_b32_e32 v6, v7, v70, vcc_lo
; %bb.102:
	s_or_b32 exec_lo, exec_lo, s3
	v_and_b32_e32 v7, 0x7f800000, v71
	s_delay_alu instid0(VALU_DEP_1) | instskip(SKIP_1) | instid1(SALU_CYCLE_1)
	v_cmp_ne_u32_e32 vcc_lo, 0x7f800000, v7
                                        ; implicit-def: $vgpr7
	s_and_saveexec_b32 s3, vcc_lo
	s_xor_b32 s3, exec_lo, s3
; %bb.103:
	v_bfe_u32 v7, v71, 16, 1
	s_delay_alu instid0(VALU_DEP_1)
	v_add3_u32 v7, v71, v7, 0x7fff
; %bb.104:
	s_and_not1_saveexec_b32 s3, s3
; %bb.105:
	v_and_b32_e32 v7, 0xffff, v71
	v_or_b32_e32 v8, 0x10000, v71
	s_delay_alu instid0(VALU_DEP_2) | instskip(NEXT) | instid1(VALU_DEP_2)
	v_cmp_eq_u32_e32 vcc_lo, 0, v7
	v_cndmask_b32_e32 v7, v8, v71, vcc_lo
; %bb.106:
	s_or_b32 exec_lo, exec_lo, s3
	v_and_b32_e32 v8, 0x7f800000, v72
	s_delay_alu instid0(VALU_DEP_1) | instskip(SKIP_1) | instid1(SALU_CYCLE_1)
	v_cmp_ne_u32_e32 vcc_lo, 0x7f800000, v8
                                        ; implicit-def: $vgpr8
	s_and_saveexec_b32 s3, vcc_lo
	s_xor_b32 s3, exec_lo, s3
; %bb.107:
	v_bfe_u32 v8, v72, 16, 1
	s_delay_alu instid0(VALU_DEP_1)
	v_add3_u32 v8, v72, v8, 0x7fff
                                        ; implicit-def: $vgpr65_vgpr66_vgpr67_vgpr68_vgpr69_vgpr70_vgpr71_vgpr72
; %bb.108:
	s_and_not1_saveexec_b32 s3, s3
; %bb.109:
	v_and_b32_e32 v8, 0xffff, v72
	v_or_b32_e32 v9, 0x10000, v72
	s_delay_alu instid0(VALU_DEP_2) | instskip(NEXT) | instid1(VALU_DEP_2)
	v_cmp_eq_u32_e32 vcc_lo, 0, v8
	v_cndmask_b32_e32 v8, v9, v72, vcc_lo
; %bb.110:
	s_or_b32 exec_lo, exec_lo, s3
	s_delay_alu instid0(VALU_DEP_1)
	v_perm_b32 v7, v8, v7, 0x7060302
	v_perm_b32 v6, v6, v5, 0x7060302
	;; [unrolled: 1-line block ×4, first 2 shown]
	s_barrier
	buffer_gl0_inv
	v_cmp_eq_u32_e32 vcc_lo, 1, v78
	ds_store_b128 v76, v[4:7]
	s_waitcnt lgkmcnt(0)
	s_barrier
	buffer_gl0_inv
	ds_load_b128 v[1:4], v82
	ds_load_b128 v[5:8], v82 offset:16
	v_cmp_eq_u32_e64 s3, 1, v79
	v_cmp_eq_u32_e64 s4, 2, v78
	;; [unrolled: 1-line block ×5, first 2 shown]
	s_waitcnt lgkmcnt(1)
	v_lshrrev_b32_e32 v9, 16, v1
	s_waitcnt lgkmcnt(0)
	v_lshrrev_b32_e32 v13, 16, v5
	v_lshrrev_b32_e32 v10, 16, v2
	;; [unrolled: 1-line block ×4, first 2 shown]
	v_cndmask_b32_e64 v19, v1, v9, s3
	v_cndmask_b32_e32 v18, v5, v13, vcc_lo
	v_cndmask_b32_e64 v20, v5, v13, s3
	v_cndmask_b32_e32 v17, v1, v9, vcc_lo
	v_cmp_eq_u32_e32 vcc_lo, 2, v79
	v_lshrrev_b32_e32 v15, 16, v7
	v_cmp_eq_u32_e64 s3, 1, v77
	v_lshrrev_b32_e32 v12, 16, v4
	v_lshrrev_b32_e32 v16, 16, v8
	v_cndmask_b32_e32 v20, v20, v6, vcc_lo
	v_cndmask_b32_e64 v17, v17, v2, s4
	v_cndmask_b32_e32 v19, v19, v2, vcc_lo
	v_cndmask_b32_e64 v18, v18, v6, s4
	v_cmp_eq_u32_e32 vcc_lo, 4, v78
	v_cmp_eq_u32_e64 s4, 3, v79
	v_cndmask_b32_e64 v17, v17, v10, s5
	v_cndmask_b32_e64 v21, v1, v9, s3
	;; [unrolled: 1-line block ×5, first 2 shown]
	v_cndmask_b32_e32 v17, v17, v3, vcc_lo
	v_cndmask_b32_e64 v20, v20, v14, s4
	v_cndmask_b32_e32 v18, v18, v7, vcc_lo
	v_cmp_eq_u32_e32 vcc_lo, 4, v79
	v_cmp_eq_u32_e64 s4, 5, v79
	v_cmp_eq_u32_e64 s3, 2, v81
	v_cndmask_b32_e64 v21, v21, v2, s7
	v_cmp_eq_u32_e64 s5, 5, v78
	v_cndmask_b32_e32 v19, v19, v3, vcc_lo
	v_cndmask_b32_e32 v20, v20, v7, vcc_lo
	v_cmp_eq_u32_e32 vcc_lo, 6, v79
	s_delay_alu instid0(VALU_DEP_4) | instskip(NEXT) | instid1(VALU_DEP_4)
	v_cndmask_b32_e64 v17, v17, v11, s5
	v_cndmask_b32_e64 v19, v19, v11, s4
	s_delay_alu instid0(VALU_DEP_4) | instskip(SKIP_1) | instid1(VALU_DEP_3)
	v_cndmask_b32_e64 v20, v20, v15, s4
	v_cmp_eq_u32_e64 s4, 1, v81
	v_cndmask_b32_e32 v19, v19, v4, vcc_lo
	v_cndmask_b32_e64 v18, v18, v15, s5
	s_delay_alu instid0(VALU_DEP_3)
	v_cndmask_b32_e64 v1, v1, v9, s4
	v_cndmask_b32_e64 v5, v5, v13, s4
	v_cmp_eq_u32_e64 s4, 3, v77
	v_cndmask_b32_e64 v13, v22, v6, s7
	v_cmp_eq_u32_e64 s7, 3, v81
	v_cndmask_b32_e64 v1, v1, v2, s3
	v_cndmask_b32_e64 v2, v5, v6, s3
	;; [unrolled: 1-line block ×3, first 2 shown]
	v_cmp_eq_u32_e64 s3, 4, v77
	v_cndmask_b32_e64 v6, v13, v14, s4
	v_cndmask_b32_e64 v1, v1, v10, s7
	v_cmp_eq_u32_e64 s4, 4, v81
	v_cndmask_b32_e64 v2, v2, v14, s7
	v_cndmask_b32_e64 v5, v9, v3, s3
	;; [unrolled: 3-line block ×3, first 2 shown]
	v_cndmask_b32_e64 v2, v2, v7, s4
	v_cmp_eq_u32_e64 s3, 5, v81
	v_cmp_eq_u32_e64 s5, 6, v78
	v_cndmask_b32_e64 v5, v5, v11, s7
	v_cmp_eq_u32_e64 s4, 6, v77
	v_cndmask_b32_e64 v3, v6, v15, s7
	v_cndmask_b32_e64 v1, v1, v11, s3
	v_cmp_eq_u32_e64 s7, 6, v81
	v_cndmask_b32_e64 v2, v2, v15, s3
	v_cndmask_b32_e64 v17, v17, v4, s5
	v_cndmask_b32_e64 v18, v18, v8, s5
	v_cmp_eq_u32_e64 s5, 7, v78
	v_cndmask_b32_e64 v5, v5, v4, s4
	;; [unrolled: 4-line block ×3, first 2 shown]
	v_cmp_eq_u32_e64 s4, 7, v77
	v_cndmask_b32_e32 v4, v20, v8, vcc_lo
	v_cndmask_b32_e64 v17, v17, v12, s5
	v_cndmask_b32_e64 v19, v19, v12, s6
	;; [unrolled: 1-line block ×8, first 2 shown]
	v_cmp_gt_u32_e32 vcc_lo, 32, v0
	v_perm_b32 v4, v2, v1, 0x5040100
	v_perm_b32 v3, v3, v5, 0x5040100
	;; [unrolled: 1-line block ×4, first 2 shown]
	s_and_b32 s2, vcc_lo, s2
	ds_store_b128 v76, v[1:4]
	s_waitcnt lgkmcnt(0)
	s_barrier
	buffer_gl0_inv
	s_and_saveexec_b32 s3, s2
	s_cbranch_execz .LBB1359_2
; %bb.111:
	s_load_b64 s[0:1], s[0:1], 0x68
	v_lshlrev_b32_e32 v0, 10, v0
	s_lshl_b32 s4, s34, 6
	v_or_b32_e32 v3, s31, v74
	s_mul_i32 s2, s4, s30
	v_lshlrev_b32_e32 v1, 4, v75
	v_lshlrev_b32_e32 v2, 6, v74
	v_and_b32_e32 v0, 0x3800, v0
	s_mul_i32 s2, s2, s8
	v_mul_lo_u32 v8, v3, s4
	s_ashr_i32 s3, s2, 31
	s_delay_alu instid0(SALU_CYCLE_1)
	s_lshl_b64 s[2:3], s[2:3], 1
	v_or3_b32 v16, v0, v1, v2
	ds_load_b128 v[0:3], v16
	ds_load_b128 v[4:7], v16 offset:128
	v_ashrrev_i32_e32 v9, 31, v8
	s_waitcnt lgkmcnt(0)
	s_add_u32 s2, s0, s2
	s_addc_u32 s3, s1, s3
	s_lshl_b32 s0, s14, 6
	s_delay_alu instid0(SALU_CYCLE_1) | instskip(SKIP_2) | instid1(SALU_CYCLE_1)
	s_ashr_i32 s1, s0, 31
	v_lshlrev_b64 v[9:10], 1, v[8:9]
	s_lshl_b64 s[0:1], s[0:1], 1
	s_add_u32 s0, s2, s0
	s_addc_u32 s1, s3, s1
	s_lshl_b32 s2, s34, 7
	v_add_co_u32 v30, s0, s0, v73
	v_add_nc_u32_e32 v11, s2, v8
	v_add_co_ci_u32_e64 v31, null, s1, 0, s0
	s_delay_alu instid0(VALU_DEP_3) | instskip(NEXT) | instid1(VALU_DEP_3)
	v_add_co_u32 v9, vcc_lo, v30, v9
	v_add_nc_u32_e32 v8, s2, v11
	s_delay_alu instid0(VALU_DEP_3) | instskip(SKIP_1) | instid1(VALU_DEP_3)
	v_add_co_ci_u32_e32 v10, vcc_lo, v31, v10, vcc_lo
	v_ashrrev_i32_e32 v12, 31, v11
	v_add_nc_u32_e32 v13, s2, v8
	global_store_b128 v[9:10], v[0:3], off
	v_ashrrev_i32_e32 v9, 31, v8
	v_lshlrev_b64 v[11:12], 1, v[11:12]
	v_ashrrev_i32_e32 v14, 31, v13
	v_add_nc_u32_e32 v10, s2, v13
	s_delay_alu instid0(VALU_DEP_4) | instskip(NEXT) | instid1(VALU_DEP_4)
	v_lshlrev_b64 v[2:3], 1, v[8:9]
	v_add_co_u32 v0, vcc_lo, v30, v11
	s_delay_alu instid0(VALU_DEP_4)
	v_lshlrev_b64 v[8:9], 1, v[13:14]
	v_add_co_ci_u32_e32 v1, vcc_lo, v31, v12, vcc_lo
	v_ashrrev_i32_e32 v11, 31, v10
	v_add_co_u32 v22, vcc_lo, v30, v2
	v_add_nc_u32_e32 v20, s2, v10
	v_add_co_ci_u32_e32 v23, vcc_lo, v31, v3, vcc_lo
	v_add_co_u32 v24, vcc_lo, v30, v8
	global_store_b128 v[0:1], v[4:7], off
	v_add_co_ci_u32_e32 v25, vcc_lo, v31, v9, vcc_lo
	ds_load_b128 v[0:3], v16 offset:256
	ds_load_b128 v[4:7], v16 offset:384
	v_lshlrev_b64 v[26:27], 1, v[10:11]
	ds_load_b128 v[8:11], v16 offset:512
	ds_load_b128 v[12:15], v16 offset:640
	;; [unrolled: 1-line block ×3, first 2 shown]
	v_add_nc_u32_e32 v28, s2, v20
	v_ashrrev_i32_e32 v21, 31, v20
	v_add_co_u32 v26, vcc_lo, v30, v26
	s_delay_alu instid0(VALU_DEP_3) | instskip(NEXT) | instid1(VALU_DEP_3)
	v_ashrrev_i32_e32 v29, 31, v28
	v_lshlrev_b64 v[20:21], 1, v[20:21]
	v_add_co_ci_u32_e32 v27, vcc_lo, v31, v27, vcc_lo
	s_delay_alu instid0(VALU_DEP_3) | instskip(NEXT) | instid1(VALU_DEP_3)
	v_lshlrev_b64 v[28:29], 1, v[28:29]
	v_add_co_u32 v20, vcc_lo, v30, v20
	s_delay_alu instid0(VALU_DEP_4) | instskip(NEXT) | instid1(VALU_DEP_3)
	v_add_co_ci_u32_e32 v21, vcc_lo, v31, v21, vcc_lo
	v_add_co_u32 v28, vcc_lo, v30, v28
	s_delay_alu instid0(VALU_DEP_4)
	v_add_co_ci_u32_e32 v29, vcc_lo, v31, v29, vcc_lo
	s_waitcnt lgkmcnt(4)
	global_store_b128 v[22:23], v[0:3], off
	s_waitcnt lgkmcnt(3)
	global_store_b128 v[24:25], v[4:7], off
	;; [unrolled: 2-line block ×5, first 2 shown]
	s_nop 0
	s_sendmsg sendmsg(MSG_DEALLOC_VGPRS)
	s_endpgm
	.section	.rodata,"a",@progbits
	.p2align	6, 0x0
	.amdhsa_kernel _Z39paged_attention_ll4mi_QKV_mfma16_kernelI14__hip_bfloat16hLN4vllm18Fp8KVCacheDataTypeE1EhLi16ELi64ELi256ELb1ELi14EL8MFMAType1EEvPKT_PKT0_S9_ifPKiSB_SB_iPKfiiiPfSE_PS4_PT2_iSD_SD_
		.amdhsa_group_segment_fixed_size 17472
		.amdhsa_private_segment_fixed_size 0
		.amdhsa_kernarg_size 400
		.amdhsa_user_sgpr_count 13
		.amdhsa_user_sgpr_dispatch_ptr 0
		.amdhsa_user_sgpr_queue_ptr 0
		.amdhsa_user_sgpr_kernarg_segment_ptr 1
		.amdhsa_user_sgpr_dispatch_id 0
		.amdhsa_user_sgpr_private_segment_size 0
		.amdhsa_wavefront_size32 1
		.amdhsa_uses_dynamic_stack 0
		.amdhsa_enable_private_segment 0
		.amdhsa_system_sgpr_workgroup_id_x 1
		.amdhsa_system_sgpr_workgroup_id_y 1
		.amdhsa_system_sgpr_workgroup_id_z 1
		.amdhsa_system_sgpr_workgroup_info 0
		.amdhsa_system_vgpr_workitem_id 0
		.amdhsa_next_free_vgpr 124
		.amdhsa_next_free_sgpr 38
		.amdhsa_reserve_vcc 1
		.amdhsa_float_round_mode_32 0
		.amdhsa_float_round_mode_16_64 0
		.amdhsa_float_denorm_mode_32 3
		.amdhsa_float_denorm_mode_16_64 3
		.amdhsa_dx10_clamp 1
		.amdhsa_ieee_mode 1
		.amdhsa_fp16_overflow 0
		.amdhsa_workgroup_processor_mode 1
		.amdhsa_memory_ordered 1
		.amdhsa_forward_progress 0
		.amdhsa_shared_vgpr_count 0
		.amdhsa_exception_fp_ieee_invalid_op 0
		.amdhsa_exception_fp_denorm_src 0
		.amdhsa_exception_fp_ieee_div_zero 0
		.amdhsa_exception_fp_ieee_overflow 0
		.amdhsa_exception_fp_ieee_underflow 0
		.amdhsa_exception_fp_ieee_inexact 0
		.amdhsa_exception_int_div_zero 0
	.end_amdhsa_kernel
	.section	.text._Z39paged_attention_ll4mi_QKV_mfma16_kernelI14__hip_bfloat16hLN4vllm18Fp8KVCacheDataTypeE1EhLi16ELi64ELi256ELb1ELi14EL8MFMAType1EEvPKT_PKT0_S9_ifPKiSB_SB_iPKfiiiPfSE_PS4_PT2_iSD_SD_,"axG",@progbits,_Z39paged_attention_ll4mi_QKV_mfma16_kernelI14__hip_bfloat16hLN4vllm18Fp8KVCacheDataTypeE1EhLi16ELi64ELi256ELb1ELi14EL8MFMAType1EEvPKT_PKT0_S9_ifPKiSB_SB_iPKfiiiPfSE_PS4_PT2_iSD_SD_,comdat
.Lfunc_end1359:
	.size	_Z39paged_attention_ll4mi_QKV_mfma16_kernelI14__hip_bfloat16hLN4vllm18Fp8KVCacheDataTypeE1EhLi16ELi64ELi256ELb1ELi14EL8MFMAType1EEvPKT_PKT0_S9_ifPKiSB_SB_iPKfiiiPfSE_PS4_PT2_iSD_SD_, .Lfunc_end1359-_Z39paged_attention_ll4mi_QKV_mfma16_kernelI14__hip_bfloat16hLN4vllm18Fp8KVCacheDataTypeE1EhLi16ELi64ELi256ELb1ELi14EL8MFMAType1EEvPKT_PKT0_S9_ifPKiSB_SB_iPKfiiiPfSE_PS4_PT2_iSD_SD_
                                        ; -- End function
	.section	.AMDGPU.csdata,"",@progbits
; Kernel info:
; codeLenInByte = 8860
; NumSgprs: 40
; NumVgprs: 124
; ScratchSize: 0
; MemoryBound: 0
; FloatMode: 240
; IeeeMode: 1
; LDSByteSize: 17472 bytes/workgroup (compile time only)
; SGPRBlocks: 4
; VGPRBlocks: 15
; NumSGPRsForWavesPerEU: 40
; NumVGPRsForWavesPerEU: 124
; Occupancy: 10
; WaveLimiterHint : 1
; COMPUTE_PGM_RSRC2:SCRATCH_EN: 0
; COMPUTE_PGM_RSRC2:USER_SGPR: 13
; COMPUTE_PGM_RSRC2:TRAP_HANDLER: 0
; COMPUTE_PGM_RSRC2:TGID_X_EN: 1
; COMPUTE_PGM_RSRC2:TGID_Y_EN: 1
; COMPUTE_PGM_RSRC2:TGID_Z_EN: 1
; COMPUTE_PGM_RSRC2:TIDIG_COMP_CNT: 0
	.section	.text._Z39paged_attention_ll4mi_QKV_mfma16_kernelI14__hip_bfloat16hLN4vllm18Fp8KVCacheDataTypeE1EhLi16ELi64ELi256ELb1ELi15EL8MFMAType1EEvPKT_PKT0_S9_ifPKiSB_SB_iPKfiiiPfSE_PS4_PT2_iSD_SD_,"axG",@progbits,_Z39paged_attention_ll4mi_QKV_mfma16_kernelI14__hip_bfloat16hLN4vllm18Fp8KVCacheDataTypeE1EhLi16ELi64ELi256ELb1ELi15EL8MFMAType1EEvPKT_PKT0_S9_ifPKiSB_SB_iPKfiiiPfSE_PS4_PT2_iSD_SD_,comdat
	.protected	_Z39paged_attention_ll4mi_QKV_mfma16_kernelI14__hip_bfloat16hLN4vllm18Fp8KVCacheDataTypeE1EhLi16ELi64ELi256ELb1ELi15EL8MFMAType1EEvPKT_PKT0_S9_ifPKiSB_SB_iPKfiiiPfSE_PS4_PT2_iSD_SD_ ; -- Begin function _Z39paged_attention_ll4mi_QKV_mfma16_kernelI14__hip_bfloat16hLN4vllm18Fp8KVCacheDataTypeE1EhLi16ELi64ELi256ELb1ELi15EL8MFMAType1EEvPKT_PKT0_S9_ifPKiSB_SB_iPKfiiiPfSE_PS4_PT2_iSD_SD_
	.globl	_Z39paged_attention_ll4mi_QKV_mfma16_kernelI14__hip_bfloat16hLN4vllm18Fp8KVCacheDataTypeE1EhLi16ELi64ELi256ELb1ELi15EL8MFMAType1EEvPKT_PKT0_S9_ifPKiSB_SB_iPKfiiiPfSE_PS4_PT2_iSD_SD_
	.p2align	8
	.type	_Z39paged_attention_ll4mi_QKV_mfma16_kernelI14__hip_bfloat16hLN4vllm18Fp8KVCacheDataTypeE1EhLi16ELi64ELi256ELb1ELi15EL8MFMAType1EEvPKT_PKT0_S9_ifPKiSB_SB_iPKfiiiPfSE_PS4_PT2_iSD_SD_,@function
_Z39paged_attention_ll4mi_QKV_mfma16_kernelI14__hip_bfloat16hLN4vllm18Fp8KVCacheDataTypeE1EhLi16ELi64ELi256ELb1ELi15EL8MFMAType1EEvPKT_PKT0_S9_ifPKiSB_SB_iPKfiiiPfSE_PS4_PT2_iSD_SD_: ; @_Z39paged_attention_ll4mi_QKV_mfma16_kernelI14__hip_bfloat16hLN4vllm18Fp8KVCacheDataTypeE1EhLi16ELi64ELi256ELb1ELi15EL8MFMAType1EEvPKT_PKT0_S9_ifPKiSB_SB_iPKfiiiPfSE_PS4_PT2_iSD_SD_
; %bb.0:
	s_load_b64 s[2:3], s[0:1], 0x30
	s_mov_b32 s34, s13
	s_waitcnt lgkmcnt(0)
	s_cmp_lg_u64 s[2:3], 0
	s_cselect_b32 s8, -1, 0
	s_ashr_i32 s35, s13, 31
	s_cmp_eq_u64 s[2:3], 0
	s_cbranch_scc1 .LBB1360_3
; %bb.1:
	s_lshl_b64 s[4:5], s[34:35], 2
	s_delay_alu instid0(SALU_CYCLE_1) | instskip(SKIP_4) | instid1(SALU_CYCLE_1)
	s_add_u32 s4, s2, s4
	s_addc_u32 s5, s3, s5
	s_load_b64 s[4:5], s[4:5], 0x0
	s_waitcnt lgkmcnt(0)
	s_sub_i32 s4, s5, s4
	s_cmp_eq_u32 s4, 1
	s_cselect_b32 s4, -1, 0
	s_delay_alu instid0(SALU_CYCLE_1)
	s_and_not1_b32 vcc_lo, exec_lo, s4
	s_cbranch_vccz .LBB1360_4
.LBB1360_2:
	s_nop 0
	s_sendmsg sendmsg(MSG_DEALLOC_VGPRS)
	s_endpgm
.LBB1360_3:
.LBB1360_4:
	s_load_b64 s[4:5], s[0:1], 0x28
	s_lshl_b64 s[6:7], s[34:35], 2
	s_waitcnt lgkmcnt(0)
	s_add_u32 s4, s4, s6
	s_addc_u32 s5, s5, s7
	s_lshl_b32 s12, s14, 8
	s_load_b32 s24, s[4:5], 0x0
	s_waitcnt lgkmcnt(0)
	s_cmp_ge_i32 s12, s24
	s_cbranch_scc1 .LBB1360_2
; %bb.5:
	s_clause 0x1
	s_load_b128 s[20:23], s[0:1], 0x8
	s_load_b64 s[4:5], s[0:1], 0x20
	s_and_not1_b32 vcc_lo, exec_lo, s8
	s_cbranch_vccnz .LBB1360_7
; %bb.6:
	s_add_u32 s2, s2, s6
	s_addc_u32 s3, s3, s7
	s_load_b32 s3, s[2:3], 0x0
	s_branch .LBB1360_8
.LBB1360_7:
	s_mov_b32 s3, s34
.LBB1360_8:
	s_load_b128 s[16:19], s[0:1], 0x48
	v_lshrrev_b32_e32 v66, 5, v0
	v_bfe_u32 v74, v0, 4, 1
	v_and_b32_e32 v65, 15, v0
	v_and_b32_e32 v67, 31, v0
	;; [unrolled: 1-line block ×3, first 2 shown]
	s_mul_i32 s31, s15, 15
	v_lshl_or_b32 v1, v66, 1, v74
	v_lshlrev_b32_e32 v2, 3, v65
	v_cmp_gt_u32_e64 s2, 8, v65
	s_delay_alu instid0(VALU_DEP_3) | instskip(NEXT) | instid1(VALU_DEP_3)
	v_cmp_gt_u32_e32 vcc_lo, 15, v1
	v_lshlrev_b32_e32 v73, 1, v2
	s_delay_alu instid0(VALU_DEP_3) | instskip(NEXT) | instid1(SALU_CYCLE_1)
	s_and_b32 s7, s2, vcc_lo
	s_and_saveexec_b32 s6, s7
	s_cbranch_execz .LBB1360_10
; %bb.9:
	s_load_b64 s[8:9], s[0:1], 0x0
	v_add_lshl_u32 v2, v1, s31, 6
	s_waitcnt lgkmcnt(0)
	s_mul_hi_i32 s11, s3, s16
	s_mul_i32 s10, s3, s16
	v_lshlrev_b32_e32 v6, 10, v65
	s_lshl_b64 s[10:11], s[10:11], 1
	v_ashrrev_i32_e32 v3, 31, v2
	v_lshlrev_b32_e32 v1, 6, v1
	v_lshlrev_b32_e32 v7, 10, v75
	v_and_b32_e32 v6, 0x3800, v6
	s_delay_alu instid0(VALU_DEP_4) | instskip(NEXT) | instid1(VALU_DEP_2)
	v_lshlrev_b64 v[2:3], 1, v[2:3]
	v_or3_b32 v1, v6, v7, v1
	s_add_u32 s3, s8, s10
	s_addc_u32 s7, s9, s11
	s_delay_alu instid0(VALU_DEP_2) | instskip(NEXT) | instid1(VALU_DEP_3)
	v_add_co_u32 v2, vcc_lo, s3, v2
	v_add_co_ci_u32_e32 v3, vcc_lo, s7, v3, vcc_lo
	s_delay_alu instid0(VALU_DEP_2) | instskip(NEXT) | instid1(VALU_DEP_2)
	v_add_co_u32 v2, vcc_lo, v2, v73
	v_add_co_ci_u32_e32 v3, vcc_lo, 0, v3, vcc_lo
	global_load_b128 v[2:5], v[2:3], off
	s_waitcnt vmcnt(0)
	ds_store_b128 v1, v[2:5]
.LBB1360_10:
	s_or_b32 exec_lo, exec_lo, s6
	v_and_b32_e32 v1, 0xef, v0
	s_waitcnt lgkmcnt(0)
	s_add_i32 s3, s24, 15
	s_clause 0x1
	s_load_b32 s6, s[0:1], 0x38
	s_load_b32 s19, s[0:1], 0x1c
	s_ashr_i32 s7, s3, 31
	v_add_nc_u32_e32 v1, s12, v1
	s_lshr_b32 s7, s7, 28
	s_waitcnt lgkmcnt(0)
	s_add_i32 s3, s3, s7
	s_barrier
	v_ashrrev_i32_e32 v2, 31, v1
	v_or_b32_e32 v3, 16, v1
	s_ashr_i32 s3, s3, 4
	v_cmp_gt_i32_e32 vcc_lo, s24, v1
	s_add_i32 s3, s3, -1
	v_lshrrev_b32_e32 v2, 28, v2
	buffer_gl0_inv
	s_mul_i32 s27, s15, s18
	v_add_nc_u32_e32 v4, v1, v2
	s_mul_i32 s6, s34, s6
	s_delay_alu instid0(SALU_CYCLE_1) | instskip(NEXT) | instid1(VALU_DEP_1)
	s_ashr_i32 s7, s6, 31
	v_ashrrev_i32_e32 v4, 4, v4
	v_add_nc_u32_e32 v2, v3, v2
	s_lshl_b64 s[6:7], s[6:7], 2
	s_delay_alu instid0(SALU_CYCLE_1) | instskip(NEXT) | instid1(VALU_DEP_2)
	s_add_u32 s26, s4, s6
	v_cndmask_b32_e32 v1, s3, v4, vcc_lo
	s_delay_alu instid0(VALU_DEP_2)
	v_ashrrev_i32_e32 v2, 4, v2
	v_cmp_gt_i32_e32 vcc_lo, s24, v3
	s_addc_u32 s25, s5, s7
	s_ashr_i32 s28, s27, 31
	s_add_u32 s13, s20, s27
	s_addc_u32 s15, s21, s28
	v_cndmask_b32_e32 v3, s3, v2, vcc_lo
	v_ashrrev_i32_e32 v2, 31, v1
	s_lshl_b32 s4, s14, 4
	s_delay_alu instid0(SALU_CYCLE_1) | instskip(NEXT) | instid1(VALU_DEP_2)
	s_ashr_i32 s5, s4, 31
	v_ashrrev_i32_e32 v4, 31, v3
	s_delay_alu instid0(VALU_DEP_2) | instskip(SKIP_1) | instid1(SALU_CYCLE_1)
	v_lshlrev_b64 v[1:2], 2, v[1:2]
	s_lshl_b64 s[4:5], s[4:5], 2
	s_add_u32 s4, s26, s4
	s_delay_alu instid0(VALU_DEP_2) | instskip(SKIP_1) | instid1(VALU_DEP_2)
	v_lshlrev_b64 v[3:4], 2, v[3:4]
	s_addc_u32 s5, s25, s5
	v_add_co_u32 v1, vcc_lo, s26, v1
	v_add_co_ci_u32_e32 v2, vcc_lo, s25, v2, vcc_lo
	s_delay_alu instid0(VALU_DEP_3) | instskip(NEXT) | instid1(VALU_DEP_4)
	v_add_co_u32 v3, vcc_lo, s26, v3
	v_add_co_ci_u32_e32 v4, vcc_lo, s25, v4, vcc_lo
	s_clause 0x1
	global_load_b32 v5, v[1:2], off
	global_load_b32 v7, v[3:4], off
	s_or_b32 s6, s12, 32
	v_lshlrev_b32_e32 v1, 4, v0
	s_ashr_i32 s7, s6, 4
	s_cmp_lt_i32 s6, s24
	v_cmp_ne_u32_e32 vcc_lo, 15, v65
	s_cselect_b32 s6, s7, s3
	v_and_b32_e32 v1, 0xf0, v1
	s_ashr_i32 s7, s6, 31
	s_delay_alu instid0(SALU_CYCLE_1) | instskip(NEXT) | instid1(SALU_CYCLE_1)
	s_lshl_b64 s[6:7], s[6:7], 2
	s_add_u32 s6, s26, s6
	s_addc_u32 s7, s25, s7
	s_or_b32 s8, s12, 64
	v_add_co_u32 v1, s13, s13, v1
	s_ashr_i32 s9, s8, 4
	s_cmp_lt_i32 s8, s24
	v_add_co_ci_u32_e64 v2, null, s15, 0, s13
	s_cselect_b32 s8, s9, s3
	s_delay_alu instid0(SALU_CYCLE_1) | instskip(NEXT) | instid1(SALU_CYCLE_1)
	s_ashr_i32 s9, s8, 31
	s_lshl_b64 s[8:9], s[8:9], 2
	s_delay_alu instid0(SALU_CYCLE_1) | instskip(SKIP_2) | instid1(SALU_CYCLE_1)
	s_add_u32 s8, s26, s8
	s_addc_u32 s9, s25, s9
	s_or_b32 s10, s12, 0x60
	s_ashr_i32 s11, s10, 4
	s_cmp_lt_i32 s10, s24
	s_cselect_b32 s10, s11, s3
	s_delay_alu instid0(SALU_CYCLE_1) | instskip(NEXT) | instid1(SALU_CYCLE_1)
	s_ashr_i32 s11, s10, 31
	s_lshl_b64 s[10:11], s[10:11], 2
	s_delay_alu instid0(SALU_CYCLE_1) | instskip(SKIP_2) | instid1(SALU_CYCLE_1)
	s_add_u32 s10, s26, s10
	s_addc_u32 s11, s25, s11
	s_or_b32 s16, s12, 0x80
	s_ashr_i32 s18, s16, 4
	s_cmp_lt_i32 s16, s24
	;; [unrolled: 10-line block ×3, first 2 shown]
	s_cselect_b32 s20, s18, s3
	s_delay_alu instid0(SALU_CYCLE_1) | instskip(NEXT) | instid1(SALU_CYCLE_1)
	s_ashr_i32 s21, s20, 31
	s_lshl_b64 s[20:21], s[20:21], 2
	s_delay_alu instid0(SALU_CYCLE_1)
	s_add_u32 s38, s26, s20
	s_addc_u32 s39, s25, s21
	s_clause 0x5
	s_load_b32 s21, s[4:5], 0x0
	s_load_b32 s13, s[6:7], 0x0
	;; [unrolled: 1-line block ×6, first 2 shown]
	s_or_b32 s7, s12, 0xc0
	s_mov_b32 s4, 0
	s_ashr_i32 s8, s7, 4
	s_cmp_lt_i32 s7, s24
	s_mov_b32 s5, s4
	s_cselect_b32 s10, s8, s3
	s_mov_b32 s6, s4
	s_ashr_i32 s11, s10, 31
	s_mov_b32 s7, s4
	s_lshl_b64 s[36:37], s[10:11], 2
	s_mov_b32 s11, s4
	s_add_u32 s36, s26, s36
	s_addc_u32 s37, s25, s37
	s_or_b32 s29, s12, 0xe0
	s_mov_b32 s8, s4
	s_ashr_i32 s30, s29, 4
	s_mov_b32 s9, s4
	s_mov_b32 s10, s4
	s_cmp_lt_i32 s29, s24
	s_waitcnt vmcnt(1)
	v_mad_i64_i32 v[3:4], null, v5, s17, v[1:2]
	s_waitcnt vmcnt(0)
	v_mad_i64_i32 v[5:6], null, v7, s17, v[1:2]
	v_cndmask_b32_e32 v1, 0, v65, vcc_lo
	v_mov_b32_e32 v107, s11
	s_clause 0x7
	global_load_b128 v[49:52], v[3:4], off
	global_load_b128 v[53:56], v[3:4], off offset:256
	global_load_b128 v[76:79], v[5:6], off
	global_load_b128 v[80:83], v[5:6], off offset:256
	global_load_b128 v[84:87], v[3:4], off offset:512
	;; [unrolled: 1-line block ×5, first 2 shown]
	v_lshlrev_b32_e32 v70, 6, v1
	v_dual_mov_b32 v106, s10 :: v_dual_mov_b32 v105, s9
	v_dual_mov_b32 v104, s8 :: v_dual_mov_b32 v103, s7
	;; [unrolled: 1-line block ×3, first 2 shown]
	v_mov_b32_e32 v100, s4
	s_cselect_b32 s4, s30, s3
	v_lshlrev_b32_e32 v2, 4, v65
	s_ashr_i32 s5, s4, 31
	s_load_b32 s3, s[36:37], 0x0
	s_lshl_b64 s[4:5], s[4:5], 2
	ds_load_b128 v[108:111], v70
	ds_load_b128 v[112:115], v70 offset:1024
	s_add_u32 s4, s26, s4
	s_addc_u32 s5, s25, s5
	v_lshl_or_b32 v1, v66, 8, v2
	s_load_b32 s4, s[4:5], 0x0
	s_add_u32 s6, s22, s27
	s_addc_u32 s7, s23, s28
	s_delay_alu instid0(VALU_DEP_1) | instskip(NEXT) | instid1(VALU_DEP_1)
	v_add_co_u32 v9, s6, s6, v1
	v_add_co_ci_u32_e64 v10, null, s7, 0, s6
	s_waitcnt lgkmcnt(0)
	s_delay_alu instid0(VALU_DEP_1)
	v_mad_i64_i32 v[1:2], null, s21, s17, v[9:10]
	v_mad_i64_i32 v[3:4], null, s13, s17, v[9:10]
	;; [unrolled: 1-line block ×7, first 2 shown]
	s_clause 0x9
	global_load_b128 v[57:60], v[1:2], off
	global_load_b128 v[61:64], v[1:2], off offset:16
	global_load_b128 v[41:44], v[3:4], off
	global_load_b128 v[45:48], v[3:4], off offset:16
	;; [unrolled: 2-line block ×5, first 2 shown]
	v_mad_i64_i32 v[68:69], null, s4, s17, v[9:10]
	s_clause 0x3
	global_load_b128 v[9:12], v[13:14], off
	global_load_b128 v[13:16], v[13:14], off offset:16
	global_load_b128 v[17:20], v[21:22], off
	global_load_b128 v[21:24], v[21:22], off offset:16
	s_waitcnt vmcnt(20)
	v_wmma_f32_16x16x16_bf16 v[116:123], v[49:56], v[108:115], v[100:107]
	s_clause 0x1
	global_load_b128 v[49:52], v[68:69], off
	global_load_b128 v[53:56], v[68:69], off offset:16
	v_and_b32_e32 v68, 0xe0, v0
	v_mbcnt_lo_u32_b32 v69, -1, 0
	s_delay_alu instid0(VALU_DEP_2)
	v_add_nc_u32_e32 v68, s12, v68
	s_waitcnt vmcnt(20)
	v_wmma_f32_16x16x16_bf16 v[100:107], v[76:83], v[108:115], v[100:107]
	ds_load_b128 v[76:79], v70 offset:2048
	ds_load_b128 v[80:83], v70 offset:3072
	v_xor_b32_e32 v70, 16, v69
	s_waitcnt vmcnt(0) lgkmcnt(0)
	v_or_b32_e32 v68, v68, v74
	s_barrier
	buffer_gl0_inv
	v_cmp_gt_i32_e32 vcc_lo, 32, v70
	v_or_b32_e32 v71, 4, v68
	v_or_b32_e32 v72, 6, v68
	v_cmp_gt_i32_e64 s3, s24, v68
	v_or_b32_e32 v108, 8, v68
	v_or_b32_e32 v109, 10, v68
	v_cmp_gt_i32_e64 s4, s24, v71
	v_cmp_gt_i32_e64 s5, s24, v72
	s_delay_alu instid0(VALU_DEP_4) | instskip(NEXT) | instid1(VALU_DEP_4)
	v_cmp_gt_i32_e64 s6, s24, v108
	v_cmp_gt_i32_e64 s7, s24, v109
	v_wmma_f32_16x16x16_bf16 v[116:123], v[84:91], v[76:83], v[116:123]
	v_cndmask_b32_e32 v69, v69, v70, vcc_lo
	v_or_b32_e32 v70, 2, v68
	v_wmma_f32_16x16x16_bf16 v[100:107], v[92:99], v[76:83], v[100:107]
	v_or_b32_e32 v89, 22, v68
	v_dual_mul_f32 v80, s19, v121 :: v_dual_mul_f32 v81, s19, v120
	v_dual_mul_f32 v92, s19, v117 :: v_dual_mul_f32 v93, s19, v116
	s_delay_alu instid0(VALU_DEP_4)
	v_mul_f32_e32 v96, s19, v105
	v_cmp_gt_i32_e32 vcc_lo, s24, v70
	v_dual_mul_f32 v79, s19, v122 :: v_dual_mul_f32 v82, s19, v119
	v_dual_mul_f32 v83, s19, v118 :: v_dual_mul_f32 v94, s19, v107
	v_cndmask_b32_e64 v93, 0xff7fffff, v93, s3
	v_cndmask_b32_e32 v92, 0xff7fffff, v92, vcc_lo
	v_or_b32_e32 v84, 12, v68
	v_or_b32_e32 v85, 14, v68
	v_cndmask_b32_e64 v71, 0xff7fffff, v83, s4
	v_cndmask_b32_e64 v72, 0xff7fffff, v82, s5
	v_cmp_gt_i32_e64 s13, s24, v89
	v_lshlrev_b32_e32 v89, 2, v69
	v_max3_f32 v82, v93, 0xff7fffff, v92
	v_or_b32_e32 v86, 16, v68
	v_or_b32_e32 v87, 18, v68
	v_mul_f32_e32 v78, s19, v123
	v_cndmask_b32_e64 v81, 0xff7fffff, v81, s6
	v_cndmask_b32_e64 v80, 0xff7fffff, v80, s7
	v_max3_f32 v71, v82, v71, v72
	v_cmp_gt_i32_e64 s8, s24, v84
	v_cmp_gt_i32_e64 s9, s24, v85
	v_or_b32_e32 v88, 20, v68
	v_or_b32_e32 v90, 24, v68
	v_or_b32_e32 v91, 26, v68
	v_or_b32_e32 v76, 28, v68
	v_or_b32_e32 v77, 30, v68
	v_dual_mul_f32 v97, s19, v104 :: v_dual_mul_f32 v70, s19, v101
	v_dual_mul_f32 v99, s19, v102 :: v_dual_mul_f32 v68, s19, v100
	v_cndmask_b32_e64 v72, 0xff7fffff, v79, s8
	v_cndmask_b32_e64 v78, 0xff7fffff, v78, s9
	v_max3_f32 v71, v71, v81, v80
	v_cmp_gt_i32_e64 s10, s24, v86
	v_cmp_gt_i32_e64 s11, s24, v87
	v_dual_mul_f32 v95, s19, v106 :: v_dual_mul_f32 v98, s19, v103
	s_delay_alu instid0(VALU_DEP_4) | instskip(NEXT) | instid1(VALU_DEP_4)
	v_max3_f32 v71, v71, v72, v78
	v_cndmask_b32_e64 v68, 0xff7fffff, v68, s10
	s_delay_alu instid0(VALU_DEP_4)
	v_cndmask_b32_e64 v70, 0xff7fffff, v70, s11
	v_cmp_gt_i32_e64 s12, s24, v88
	v_cndmask_b32_e64 v78, 0xff7fffff, v98, s13
	v_cmp_gt_i32_e64 s15, s24, v90
	v_cmp_gt_i32_e64 s16, s24, v91
	v_max3_f32 v68, v71, v68, v70
	v_cndmask_b32_e64 v72, 0xff7fffff, v99, s12
	v_cmp_gt_i32_e64 s17, s24, v76
	v_cndmask_b32_e64 v70, 0xff7fffff, v97, s15
	v_cndmask_b32_e64 v71, 0xff7fffff, v96, s16
	v_cmp_gt_i32_e64 s18, s24, v77
	v_max3_f32 v68, v68, v72, v78
	v_cndmask_b32_e64 v72, 0xff7fffff, v95, s17
	s_delay_alu instid0(VALU_DEP_3) | instskip(NEXT) | instid1(VALU_DEP_3)
	v_cndmask_b32_e64 v76, 0xff7fffff, v94, s18
	v_max3_f32 v68, v68, v70, v71
	s_delay_alu instid0(VALU_DEP_1) | instskip(SKIP_3) | instid1(VALU_DEP_1)
	v_max3_f32 v68, v68, v72, v76
	ds_bpermute_b32 v69, v89, v68
	s_waitcnt lgkmcnt(0)
	v_max_f32_e32 v69, v69, v69
	v_max_f32_e32 v68, v68, v69
	s_delay_alu instid0(VALU_DEP_1) | instskip(NEXT) | instid1(VALU_DEP_1)
	v_fma_f32 v71, s19, v118, -v68
	v_mul_f32_e32 v71, 0x3fb8aa3b, v71
	v_fma_f32 v70, s19, v117, -v68
	v_fma_f32 v69, s19, v116, -v68
	;; [unrolled: 1-line block ×5, first 2 shown]
	s_delay_alu instid0(VALU_DEP_4) | instskip(SKIP_1) | instid1(VALU_DEP_3)
	v_dual_mul_f32 v70, 0x3fb8aa3b, v70 :: v_dual_mul_f32 v69, 0x3fb8aa3b, v69
	v_exp_f32_e32 v71, v71
	v_mul_f32_e32 v72, 0x3fb8aa3b, v72
	v_fma_f32 v81, s19, v105, -v68
	s_delay_alu instid0(VALU_DEP_3)
	v_exp_f32_e32 v70, v70
	v_mul_f32_e32 v77, 0x3fb8aa3b, v76
	v_exp_f32_e32 v69, v69
	v_exp_f32_e32 v72, v72
	v_mul_f32_e32 v81, 0x3fb8aa3b, v81
	v_cndmask_b32_e64 v83, 0, v71, s4
	v_fma_f32 v71, s19, v123, -v68
	s_delay_alu instid0(VALU_DEP_3) | instskip(SKIP_4) | instid1(TRANS32_DEP_3)
	v_exp_f32_e32 v81, v81
	v_cndmask_b32_e32 v76, 0, v70, vcc_lo
	v_exp_f32_e32 v77, v77
	v_cndmask_b32_e64 v80, 0, v69, s3
	v_fma_f32 v69, s19, v121, -v68
	v_cndmask_b32_e64 v85, 0, v72, s5
	v_mul_f32_e32 v71, 0x3fb8aa3b, v71
	v_fma_f32 v72, s19, v100, -v68
	s_delay_alu instid0(VALU_DEP_4) | instskip(SKIP_1) | instid1(VALU_DEP_4)
	v_dual_add_f32 v70, 0, v80 :: v_dual_mul_f32 v69, 0x3fb8aa3b, v69
	v_cmp_gt_u32_e64 s3, 16, v67
	v_exp_f32_e32 v71, v71
	s_delay_alu instid0(TRANS32_DEP_2) | instskip(SKIP_4) | instid1(VALU_DEP_3)
	v_cndmask_b32_e64 v86, 0, v77, s6
	v_fma_f32 v77, s19, v101, -v68
	v_mul_f32_e32 v78, 0x3fb8aa3b, v78
	v_add_f32_e32 v70, v70, v76
	v_exp_f32_e32 v69, v69
	v_mul_f32_e32 v77, 0x3fb8aa3b, v77
	s_delay_alu instid0(VALU_DEP_3) | instskip(NEXT) | instid1(TRANS32_DEP_3)
	v_exp_f32_e32 v78, v78
	v_cndmask_b32_e64 v88, 0, v71, s9
	v_fma_f32 v71, s19, v104, -v68
	s_delay_alu instid0(VALU_DEP_3) | instskip(NEXT) | instid1(TRANS32_DEP_3)
	v_exp_f32_e32 v77, v77
	v_cndmask_b32_e64 v87, 0, v69, s7
	s_delay_alu instid0(VALU_DEP_2)
	v_mul_f32_e32 v71, 0x3fb8aa3b, v71
	s_waitcnt_depctr 0xfff
	v_cndmask_b32_e64 v84, 0, v78, s8
	v_add_f32_e32 v70, v70, v83
	v_fma_f32 v78, s19, v103, -v68
	v_exp_f32_e32 v82, v71
	s_delay_alu instid0(VALU_DEP_2) | instskip(SKIP_1) | instid1(VALU_DEP_3)
	v_add_f32_e32 v70, v70, v85
	v_mul_f32_e32 v72, 0x3fb8aa3b, v72
	v_mul_f32_e32 v78, 0x3fb8aa3b, v78
	s_delay_alu instid0(VALU_DEP_3) | instskip(SKIP_1) | instid1(VALU_DEP_4)
	v_add_f32_e32 v69, v70, v86
	v_fma_f32 v70, s19, v102, -v68
	v_exp_f32_e32 v72, v72
	s_delay_alu instid0(VALU_DEP_3) | instskip(NEXT) | instid1(VALU_DEP_1)
	v_exp_f32_e32 v78, v78
	v_dual_add_f32 v69, v69, v87 :: v_dual_mul_f32 v70, 0x3fb8aa3b, v70
	s_delay_alu instid0(VALU_DEP_1) | instskip(NEXT) | instid1(VALU_DEP_2)
	v_add_f32_e32 v69, v69, v84
	v_exp_f32_e32 v79, v70
	s_delay_alu instid0(TRANS32_DEP_3) | instskip(NEXT) | instid1(VALU_DEP_2)
	v_cndmask_b32_e64 v70, 0, v72, s10
	v_add_f32_e32 v72, v69, v88
	v_cndmask_b32_e64 v69, 0, v77, s11
	v_fma_f32 v77, s19, v106, -v68
	s_waitcnt_depctr 0xfff
	v_cndmask_b32_e64 v71, 0, v79, s12
	v_dual_mul_f32 v77, 0x3fb8aa3b, v77 :: v_dual_add_f32 v72, v72, v70
	s_delay_alu instid0(VALU_DEP_1) | instskip(NEXT) | instid1(VALU_DEP_1)
	v_exp_f32_e32 v90, v77
	v_add_f32_e32 v79, v72, v69
	v_cndmask_b32_e64 v72, 0, v78, s13
	v_cndmask_b32_e64 v77, 0, v82, s15
	s_delay_alu instid0(VALU_DEP_3) | instskip(SKIP_1) | instid1(VALU_DEP_1)
	v_add_f32_e32 v78, v79, v71
	v_fma_f32 v79, s19, v107, -v68
	v_dual_add_f32 v82, v78, v72 :: v_dual_mul_f32 v79, 0x3fb8aa3b, v79
	v_cndmask_b32_e64 v78, 0, v81, s16
	s_delay_alu instid0(VALU_DEP_2) | instskip(NEXT) | instid1(VALU_DEP_3)
	v_add_f32_e32 v81, v82, v77
	v_exp_f32_e32 v82, v79
	v_cndmask_b32_e64 v79, 0, v90, s17
	s_delay_alu instid0(VALU_DEP_2) | instskip(NEXT) | instid1(VALU_DEP_1)
	v_add_f32_e32 v81, v81, v78
	v_add_f32_e32 v90, v81, v79
	s_waitcnt_depctr 0xfff
	v_cndmask_b32_e64 v81, 0, v82, s18
	s_delay_alu instid0(VALU_DEP_1)
	v_add_f32_e32 v82, v90, v81
	ds_bpermute_b32 v89, v89, v82
	s_and_saveexec_b32 s4, s3
	s_cbranch_execz .LBB1360_12
; %bb.11:
	v_mul_u32_u24_e32 v67, 0x44, v66
	s_delay_alu instid0(VALU_DEP_1) | instskip(SKIP_1) | instid1(VALU_DEP_1)
	v_lshl_add_u32 v67, v65, 2, v67
	s_waitcnt lgkmcnt(0)
	v_dual_add_f32 v82, v82, v89 :: v_dual_add_nc_u32 v67, 0x4000, v67
	ds_store_2addr_b32 v67, v68, v82 offset1:136
.LBB1360_12:
	s_or_b32 exec_lo, exec_lo, s4
	v_lshlrev_b32_e32 v67, 2, v65
	s_waitcnt lgkmcnt(0)
	s_barrier
	buffer_gl0_inv
	v_cmp_eq_u32_e32 vcc_lo, 1, v66
	v_add_nc_u32_e32 v82, 0x4000, v67
	v_cmp_eq_u32_e64 s4, 2, v66
	v_cmp_eq_u32_e64 s6, 7, v66
	ds_load_2addr_b32 v[89:90], v82 offset1:17
	ds_load_2addr_b32 v[91:92], v82 offset0:34 offset1:51
	ds_load_2addr_b32 v[93:94], v82 offset0:68 offset1:85
	ds_load_2addr_b32 v[95:96], v82 offset0:102 offset1:119
	ds_load_2addr_b32 v[97:98], v82 offset0:136 offset1:153
	s_waitcnt lgkmcnt(4)
	v_max3_f32 v67, v89, 0xff7fffff, v90
	s_waitcnt lgkmcnt(3)
	s_delay_alu instid0(VALU_DEP_1) | instskip(SKIP_1) | instid1(VALU_DEP_1)
	v_max3_f32 v67, v67, v91, v92
	s_waitcnt lgkmcnt(2)
	v_max3_f32 v67, v67, v93, v94
	s_waitcnt lgkmcnt(1)
	s_delay_alu instid0(VALU_DEP_1) | instskip(NEXT) | instid1(VALU_DEP_1)
	v_max3_f32 v67, v67, v95, v96
	v_sub_f32_e32 v93, v93, v67
	s_delay_alu instid0(VALU_DEP_1) | instskip(NEXT) | instid1(VALU_DEP_1)
	v_dual_sub_f32 v68, v89, v67 :: v_dual_mul_f32 v103, 0x3fb8aa3b, v93
	v_mul_f32_e32 v68, 0x3fb8aa3b, v68
	s_delay_alu instid0(VALU_DEP_1)
	v_exp_f32_e32 v100, v68
	v_sub_f32_e32 v68, v92, v67
	v_sub_f32_e32 v99, v90, v67
	ds_load_2addr_b32 v[89:90], v82 offset0:170 offset1:187
	v_dual_mul_f32 v102, 0x3fb8aa3b, v68 :: v_dual_mul_f32 v99, 0x3fb8aa3b, v99
	s_waitcnt lgkmcnt(1)
	v_fma_f32 v68, v100, v97, 0
	s_delay_alu instid0(VALU_DEP_2) | instskip(NEXT) | instid1(VALU_DEP_2)
	v_exp_f32_e32 v102, v102
	v_exp_f32_e32 v99, v99
	s_waitcnt_depctr 0xfff
	v_fmac_f32_e32 v68, v99, v98
	v_sub_f32_e32 v91, v91, v67
	s_delay_alu instid0(VALU_DEP_1)
	v_mul_f32_e32 v101, 0x3fb8aa3b, v91
	ds_load_2addr_b32 v[91:92], v82 offset0:204 offset1:221
	v_sub_f32_e32 v97, v94, v67
	ds_load_2addr_b32 v[93:94], v82 offset0:238 offset1:255
	s_waitcnt lgkmcnt(0)
	v_exp_f32_e32 v101, v101
	s_barrier
	buffer_gl0_inv
	v_dual_fmac_f32 v68, v101, v89 :: v_dual_sub_f32 v89, v96, v67
	v_dual_sub_f32 v82, v95, v67 :: v_dual_mul_f32 v95, 0x3fb8aa3b, v97
	v_exp_f32_e32 v97, v103
	s_delay_alu instid0(VALU_DEP_2) | instskip(NEXT) | instid1(VALU_DEP_2)
	v_dual_fmac_f32 v68, v102, v90 :: v_dual_mul_f32 v89, 0x3fb8aa3b, v89
	v_mul_f32_e32 v82, 0x3fb8aa3b, v82
	s_delay_alu instid0(VALU_DEP_3) | instskip(NEXT) | instid1(VALU_DEP_2)
	v_exp_f32_e32 v95, v95
	v_exp_f32_e32 v89, v89
	s_delay_alu instid0(VALU_DEP_1)
	v_exp_f32_e32 v82, v82
	v_fmac_f32_e32 v68, v97, v91
	s_delay_alu instid0(TRANS32_DEP_3) | instid1(VALU_DEP_1)
	v_fmac_f32_e32 v68, v95, v92
	s_waitcnt_depctr 0xfff
	v_fmac_f32_e32 v68, v82, v93
	s_delay_alu instid0(VALU_DEP_1) | instskip(NEXT) | instid1(VALU_DEP_1)
	v_fmac_f32_e32 v68, v89, v94
	v_add_f32_e32 v90, 0x358637bd, v68
	s_delay_alu instid0(VALU_DEP_1) | instskip(NEXT) | instid1(VALU_DEP_1)
	v_div_scale_f32 v91, null, v90, v90, 1.0
	v_rcp_f32_e32 v92, v91
	s_waitcnt_depctr 0xfff
	v_fma_f32 v93, -v91, v92, 1.0
	s_delay_alu instid0(VALU_DEP_1) | instskip(SKIP_1) | instid1(VALU_DEP_2)
	v_dual_fmac_f32 v92, v93, v92 :: v_dual_cndmask_b32 v93, v100, v99
	v_cmp_eq_u32_e32 vcc_lo, 3, v66
	v_cndmask_b32_e64 v93, v93, v101, s4
	v_cmp_eq_u32_e64 s4, 4, v66
	s_delay_alu instid0(VALU_DEP_2) | instskip(SKIP_1) | instid1(VALU_DEP_2)
	v_cndmask_b32_e32 v93, v93, v102, vcc_lo
	v_cmp_eq_u32_e32 vcc_lo, 5, v66
	v_cndmask_b32_e64 v93, v93, v97, s4
	v_cmp_eq_u32_e64 s4, 6, v66
	s_delay_alu instid0(VALU_DEP_2) | instskip(SKIP_1) | instid1(VALU_DEP_1)
	v_cndmask_b32_e32 v93, v93, v95, vcc_lo
	v_div_scale_f32 v94, s5, 1.0, v90, 1.0
	s_mov_b32 vcc_lo, s5
	s_delay_alu instid0(VALU_DEP_2) | instskip(NEXT) | instid1(VALU_DEP_2)
	v_cndmask_b32_e64 v82, v93, v82, s4
	v_mul_f32_e32 v96, v94, v92
	s_mov_b32 s4, exec_lo
	s_delay_alu instid0(VALU_DEP_2) | instskip(NEXT) | instid1(VALU_DEP_2)
	v_cndmask_b32_e64 v82, v82, v89, s6
	v_fma_f32 v98, -v91, v96, v94
	s_delay_alu instid0(VALU_DEP_1) | instskip(NEXT) | instid1(VALU_DEP_1)
	v_fmac_f32_e32 v96, v98, v92
	v_fma_f32 v91, -v91, v96, v94
	s_delay_alu instid0(VALU_DEP_1) | instskip(NEXT) | instid1(VALU_DEP_1)
	v_div_fmas_f32 v91, v91, v92, v96
	v_div_fixup_f32 v90, v91, v90, 1.0
	s_delay_alu instid0(VALU_DEP_1) | instskip(NEXT) | instid1(VALU_DEP_1)
	v_mul_f32_e32 v82, v82, v90
	v_mul_f32_e32 v87, v82, v87
	v_mul_f32_e32 v90, v82, v80
	v_mul_f32_e32 v80, v82, v88
	v_mul_f32_e32 v84, v82, v84
	v_mul_f32_e32 v88, v82, v86
	v_mul_f32_e32 v89, v82, v85
	v_dual_mul_f32 v86, v82, v83 :: v_dual_and_b32 v91, 0x7f800000, v90
	v_mul_f32_e32 v85, v82, v76
                                        ; implicit-def: $vgpr76
	s_delay_alu instid0(VALU_DEP_2)
	v_cmpx_ne_u32_e32 0x7f800000, v91
	s_xor_b32 s4, exec_lo, s4
; %bb.13:
	v_bfe_u32 v76, v90, 16, 1
	s_delay_alu instid0(VALU_DEP_1)
	v_add3_u32 v76, v90, v76, 0x7fff
                                        ; implicit-def: $vgpr90
; %bb.14:
	s_and_not1_saveexec_b32 s4, s4
; %bb.15:
	v_and_b32_e32 v76, 0xffff, v90
	v_or_b32_e32 v83, 0x10000, v90
	s_delay_alu instid0(VALU_DEP_2) | instskip(NEXT) | instid1(VALU_DEP_2)
	v_cmp_eq_u32_e32 vcc_lo, 0, v76
	v_cndmask_b32_e32 v76, v83, v90, vcc_lo
; %bb.16:
	s_or_b32 exec_lo, exec_lo, s4
	v_and_b32_e32 v83, 0x7f800000, v85
	s_delay_alu instid0(VALU_DEP_1) | instskip(SKIP_1) | instid1(SALU_CYCLE_1)
	v_cmp_ne_u32_e32 vcc_lo, 0x7f800000, v83
                                        ; implicit-def: $vgpr83
	s_and_saveexec_b32 s4, vcc_lo
	s_xor_b32 s4, exec_lo, s4
; %bb.17:
	v_bfe_u32 v83, v85, 16, 1
	s_delay_alu instid0(VALU_DEP_1)
	v_add3_u32 v83, v85, v83, 0x7fff
                                        ; implicit-def: $vgpr85
; %bb.18:
	s_and_not1_saveexec_b32 s4, s4
; %bb.19:
	v_and_b32_e32 v83, 0xffff, v85
	v_or_b32_e32 v90, 0x10000, v85
	s_delay_alu instid0(VALU_DEP_2) | instskip(NEXT) | instid1(VALU_DEP_2)
	v_cmp_eq_u32_e32 vcc_lo, 0, v83
	v_cndmask_b32_e32 v83, v90, v85, vcc_lo
; %bb.20:
	s_or_b32 exec_lo, exec_lo, s4
	v_and_b32_e32 v85, 0x7f800000, v86
	s_delay_alu instid0(VALU_DEP_1) | instskip(SKIP_1) | instid1(SALU_CYCLE_1)
	v_cmp_ne_u32_e32 vcc_lo, 0x7f800000, v85
                                        ; implicit-def: $vgpr85
	s_and_saveexec_b32 s4, vcc_lo
	s_xor_b32 s4, exec_lo, s4
; %bb.21:
	v_bfe_u32 v85, v86, 16, 1
	s_delay_alu instid0(VALU_DEP_1)
	v_add3_u32 v85, v86, v85, 0x7fff
                                        ; implicit-def: $vgpr86
; %bb.22:
	s_and_not1_saveexec_b32 s4, s4
; %bb.23:
	v_and_b32_e32 v85, 0xffff, v86
	v_or_b32_e32 v90, 0x10000, v86
	s_delay_alu instid0(VALU_DEP_2) | instskip(NEXT) | instid1(VALU_DEP_2)
	v_cmp_eq_u32_e32 vcc_lo, 0, v85
	v_cndmask_b32_e32 v85, v90, v86, vcc_lo
; %bb.24:
	s_or_b32 exec_lo, exec_lo, s4
	v_and_b32_e32 v86, 0x7f800000, v89
	s_delay_alu instid0(VALU_DEP_1) | instskip(SKIP_1) | instid1(SALU_CYCLE_1)
	v_cmp_ne_u32_e32 vcc_lo, 0x7f800000, v86
                                        ; implicit-def: $vgpr86
	s_and_saveexec_b32 s4, vcc_lo
	s_xor_b32 s4, exec_lo, s4
; %bb.25:
	v_bfe_u32 v86, v89, 16, 1
	s_delay_alu instid0(VALU_DEP_1)
	v_add3_u32 v86, v89, v86, 0x7fff
                                        ; implicit-def: $vgpr89
; %bb.26:
	s_and_not1_saveexec_b32 s4, s4
; %bb.27:
	v_and_b32_e32 v86, 0xffff, v89
	v_or_b32_e32 v90, 0x10000, v89
	s_delay_alu instid0(VALU_DEP_2) | instskip(NEXT) | instid1(VALU_DEP_2)
	v_cmp_eq_u32_e32 vcc_lo, 0, v86
	v_cndmask_b32_e32 v86, v90, v89, vcc_lo
; %bb.28:
	s_or_b32 exec_lo, exec_lo, s4
	v_and_b32_e32 v89, 0x7f800000, v88
	s_delay_alu instid0(VALU_DEP_1) | instskip(SKIP_1) | instid1(SALU_CYCLE_1)
	v_cmp_ne_u32_e32 vcc_lo, 0x7f800000, v89
                                        ; implicit-def: $vgpr89
	s_and_saveexec_b32 s4, vcc_lo
	s_xor_b32 s4, exec_lo, s4
; %bb.29:
	v_bfe_u32 v89, v88, 16, 1
	s_delay_alu instid0(VALU_DEP_1)
	v_add3_u32 v89, v88, v89, 0x7fff
                                        ; implicit-def: $vgpr88
; %bb.30:
	s_and_not1_saveexec_b32 s4, s4
; %bb.31:
	v_and_b32_e32 v89, 0xffff, v88
	v_or_b32_e32 v90, 0x10000, v88
	s_delay_alu instid0(VALU_DEP_2) | instskip(NEXT) | instid1(VALU_DEP_2)
	v_cmp_eq_u32_e32 vcc_lo, 0, v89
	v_cndmask_b32_e32 v89, v90, v88, vcc_lo
; %bb.32:
	s_or_b32 exec_lo, exec_lo, s4
	v_and_b32_e32 v88, 0x7f800000, v87
	s_delay_alu instid0(VALU_DEP_1) | instskip(SKIP_1) | instid1(SALU_CYCLE_1)
	v_cmp_ne_u32_e32 vcc_lo, 0x7f800000, v88
                                        ; implicit-def: $vgpr88
	s_and_saveexec_b32 s4, vcc_lo
	s_xor_b32 s4, exec_lo, s4
; %bb.33:
	v_bfe_u32 v88, v87, 16, 1
	s_delay_alu instid0(VALU_DEP_1)
	v_add3_u32 v88, v87, v88, 0x7fff
                                        ; implicit-def: $vgpr87
; %bb.34:
	s_and_not1_saveexec_b32 s4, s4
; %bb.35:
	v_and_b32_e32 v88, 0xffff, v87
	v_or_b32_e32 v90, 0x10000, v87
	s_delay_alu instid0(VALU_DEP_2) | instskip(NEXT) | instid1(VALU_DEP_2)
	v_cmp_eq_u32_e32 vcc_lo, 0, v88
	v_cndmask_b32_e32 v88, v90, v87, vcc_lo
; %bb.36:
	s_or_b32 exec_lo, exec_lo, s4
	v_and_b32_e32 v87, 0x7f800000, v84
	s_delay_alu instid0(VALU_DEP_1) | instskip(SKIP_1) | instid1(SALU_CYCLE_1)
	v_cmp_ne_u32_e32 vcc_lo, 0x7f800000, v87
                                        ; implicit-def: $vgpr87
	s_and_saveexec_b32 s4, vcc_lo
	s_xor_b32 s4, exec_lo, s4
; %bb.37:
	v_bfe_u32 v87, v84, 16, 1
	s_delay_alu instid0(VALU_DEP_1)
	v_add3_u32 v87, v84, v87, 0x7fff
                                        ; implicit-def: $vgpr84
; %bb.38:
	s_and_not1_saveexec_b32 s4, s4
; %bb.39:
	v_and_b32_e32 v87, 0xffff, v84
	v_or_b32_e32 v90, 0x10000, v84
	s_delay_alu instid0(VALU_DEP_2) | instskip(NEXT) | instid1(VALU_DEP_2)
	v_cmp_eq_u32_e32 vcc_lo, 0, v87
	v_cndmask_b32_e32 v87, v90, v84, vcc_lo
; %bb.40:
	s_or_b32 exec_lo, exec_lo, s4
	v_and_b32_e32 v84, 0x7f800000, v80
	s_delay_alu instid0(VALU_DEP_1) | instskip(SKIP_1) | instid1(SALU_CYCLE_1)
	v_cmp_ne_u32_e32 vcc_lo, 0x7f800000, v84
                                        ; implicit-def: $vgpr84
	s_and_saveexec_b32 s4, vcc_lo
	s_xor_b32 s4, exec_lo, s4
; %bb.41:
	v_bfe_u32 v84, v80, 16, 1
	s_delay_alu instid0(VALU_DEP_1)
	v_add3_u32 v84, v80, v84, 0x7fff
                                        ; implicit-def: $vgpr80
; %bb.42:
	s_and_not1_saveexec_b32 s4, s4
; %bb.43:
	v_and_b32_e32 v84, 0xffff, v80
	v_or_b32_e32 v90, 0x10000, v80
	s_delay_alu instid0(VALU_DEP_2) | instskip(NEXT) | instid1(VALU_DEP_2)
	v_cmp_eq_u32_e32 vcc_lo, 0, v84
	v_cndmask_b32_e32 v84, v90, v80, vcc_lo
; %bb.44:
	s_or_b32 exec_lo, exec_lo, s4
	s_load_b64 s[36:37], s[0:1], 0x94
	v_lshlrev_b32_e32 v91, 4, v74
	s_delay_alu instid0(VALU_DEP_2)
	v_perm_b32 v90, v84, v87, 0x7060302
	v_dual_mul_f32 v79, v82, v79 :: v_dual_lshlrev_b32 v80, 6, v65
	v_dual_mul_f32 v77, v82, v77 :: v_dual_lshlrev_b32 v92, 11, v66
	v_mul_f32_e32 v84, v82, v70
	v_perm_b32 v89, v88, v89, 0x7060302
	v_perm_b32 v88, v86, v85, 0x7060302
	;; [unrolled: 1-line block ×3, first 2 shown]
	v_mul_f32_e32 v70, v82, v81
	v_or3_b32 v76, v91, v92, v80
	v_dual_mul_f32 v78, v82, v78 :: v_dual_and_b32 v85, 0x7f800000, v84
	v_mul_f32_e32 v83, v82, v72
	v_mul_f32_e32 v81, v82, v71
	;; [unrolled: 1-line block ×3, first 2 shown]
	s_mov_b32 s4, exec_lo
	ds_store_b128 v76, v[87:90]
                                        ; implicit-def: $vgpr69
	v_cmpx_ne_u32_e32 0x7f800000, v85
	s_xor_b32 s4, exec_lo, s4
; %bb.45:
	v_bfe_u32 v69, v84, 16, 1
	s_delay_alu instid0(VALU_DEP_1)
	v_add3_u32 v69, v84, v69, 0x7fff
                                        ; implicit-def: $vgpr84
; %bb.46:
	s_and_not1_saveexec_b32 s4, s4
; %bb.47:
	v_and_b32_e32 v69, 0xffff, v84
	v_or_b32_e32 v71, 0x10000, v84
	s_delay_alu instid0(VALU_DEP_2) | instskip(NEXT) | instid1(VALU_DEP_2)
	v_cmp_eq_u32_e32 vcc_lo, 0, v69
	v_cndmask_b32_e32 v69, v71, v84, vcc_lo
; %bb.48:
	s_or_b32 exec_lo, exec_lo, s4
	v_and_b32_e32 v71, 0x7f800000, v72
	s_delay_alu instid0(VALU_DEP_1) | instskip(SKIP_1) | instid1(SALU_CYCLE_1)
	v_cmp_ne_u32_e32 vcc_lo, 0x7f800000, v71
                                        ; implicit-def: $vgpr71
	s_and_saveexec_b32 s4, vcc_lo
	s_xor_b32 s4, exec_lo, s4
; %bb.49:
	v_bfe_u32 v71, v72, 16, 1
	s_delay_alu instid0(VALU_DEP_1)
	v_add3_u32 v71, v72, v71, 0x7fff
                                        ; implicit-def: $vgpr72
; %bb.50:
	s_and_not1_saveexec_b32 s4, s4
; %bb.51:
	v_and_b32_e32 v71, 0xffff, v72
	v_or_b32_e32 v82, 0x10000, v72
	s_delay_alu instid0(VALU_DEP_2) | instskip(NEXT) | instid1(VALU_DEP_2)
	v_cmp_eq_u32_e32 vcc_lo, 0, v71
	v_cndmask_b32_e32 v71, v82, v72, vcc_lo
; %bb.52:
	s_or_b32 exec_lo, exec_lo, s4
	v_and_b32_e32 v72, 0x7f800000, v81
	s_delay_alu instid0(VALU_DEP_1) | instskip(SKIP_1) | instid1(SALU_CYCLE_1)
	v_cmp_ne_u32_e32 vcc_lo, 0x7f800000, v72
                                        ; implicit-def: $vgpr72
	s_and_saveexec_b32 s4, vcc_lo
	s_xor_b32 s4, exec_lo, s4
; %bb.53:
	v_bfe_u32 v72, v81, 16, 1
	s_delay_alu instid0(VALU_DEP_1)
	v_add3_u32 v72, v81, v72, 0x7fff
                                        ; implicit-def: $vgpr81
; %bb.54:
	s_and_not1_saveexec_b32 s4, s4
; %bb.55:
	v_and_b32_e32 v72, 0xffff, v81
	v_or_b32_e32 v82, 0x10000, v81
	s_delay_alu instid0(VALU_DEP_2) | instskip(NEXT) | instid1(VALU_DEP_2)
	v_cmp_eq_u32_e32 vcc_lo, 0, v72
	v_cndmask_b32_e32 v72, v82, v81, vcc_lo
; %bb.56:
	s_or_b32 exec_lo, exec_lo, s4
	v_and_b32_e32 v81, 0x7f800000, v83
	s_delay_alu instid0(VALU_DEP_1) | instskip(SKIP_1) | instid1(SALU_CYCLE_1)
	v_cmp_ne_u32_e32 vcc_lo, 0x7f800000, v81
                                        ; implicit-def: $vgpr81
	s_and_saveexec_b32 s4, vcc_lo
	s_xor_b32 s4, exec_lo, s4
; %bb.57:
	v_bfe_u32 v81, v83, 16, 1
	s_delay_alu instid0(VALU_DEP_1)
	v_add3_u32 v81, v83, v81, 0x7fff
                                        ; implicit-def: $vgpr83
; %bb.58:
	s_and_not1_saveexec_b32 s4, s4
; %bb.59:
	v_and_b32_e32 v81, 0xffff, v83
	v_or_b32_e32 v82, 0x10000, v83
	s_delay_alu instid0(VALU_DEP_2) | instskip(NEXT) | instid1(VALU_DEP_2)
	v_cmp_eq_u32_e32 vcc_lo, 0, v81
	v_cndmask_b32_e32 v81, v82, v83, vcc_lo
; %bb.60:
	s_or_b32 exec_lo, exec_lo, s4
	v_and_b32_e32 v82, 0x7f800000, v77
	s_delay_alu instid0(VALU_DEP_1) | instskip(SKIP_1) | instid1(SALU_CYCLE_1)
	v_cmp_ne_u32_e32 vcc_lo, 0x7f800000, v82
                                        ; implicit-def: $vgpr82
	s_and_saveexec_b32 s4, vcc_lo
	s_xor_b32 s4, exec_lo, s4
; %bb.61:
	v_bfe_u32 v82, v77, 16, 1
	s_delay_alu instid0(VALU_DEP_1)
	v_add3_u32 v82, v77, v82, 0x7fff
                                        ; implicit-def: $vgpr77
; %bb.62:
	s_and_not1_saveexec_b32 s4, s4
; %bb.63:
	v_and_b32_e32 v82, 0xffff, v77
	v_or_b32_e32 v83, 0x10000, v77
	s_delay_alu instid0(VALU_DEP_2) | instskip(NEXT) | instid1(VALU_DEP_2)
	v_cmp_eq_u32_e32 vcc_lo, 0, v82
	v_cndmask_b32_e32 v82, v83, v77, vcc_lo
; %bb.64:
	s_or_b32 exec_lo, exec_lo, s4
	v_and_b32_e32 v77, 0x7f800000, v78
	s_delay_alu instid0(VALU_DEP_1) | instskip(SKIP_1) | instid1(SALU_CYCLE_1)
	v_cmp_ne_u32_e32 vcc_lo, 0x7f800000, v77
                                        ; implicit-def: $vgpr77
	s_and_saveexec_b32 s4, vcc_lo
	s_xor_b32 s4, exec_lo, s4
; %bb.65:
	v_bfe_u32 v77, v78, 16, 1
	s_delay_alu instid0(VALU_DEP_1)
	v_add3_u32 v77, v78, v77, 0x7fff
                                        ; implicit-def: $vgpr78
; %bb.66:
	s_and_not1_saveexec_b32 s4, s4
; %bb.67:
	v_and_b32_e32 v77, 0xffff, v78
	v_or_b32_e32 v83, 0x10000, v78
	s_delay_alu instid0(VALU_DEP_2) | instskip(NEXT) | instid1(VALU_DEP_2)
	v_cmp_eq_u32_e32 vcc_lo, 0, v77
	v_cndmask_b32_e32 v77, v83, v78, vcc_lo
; %bb.68:
	s_or_b32 exec_lo, exec_lo, s4
	v_and_b32_e32 v78, 0x7f800000, v79
	s_delay_alu instid0(VALU_DEP_1) | instskip(SKIP_1) | instid1(SALU_CYCLE_1)
	v_cmp_ne_u32_e32 vcc_lo, 0x7f800000, v78
                                        ; implicit-def: $vgpr78
	s_and_saveexec_b32 s4, vcc_lo
	s_xor_b32 s4, exec_lo, s4
; %bb.69:
	v_bfe_u32 v78, v79, 16, 1
	s_delay_alu instid0(VALU_DEP_1)
	v_add3_u32 v78, v79, v78, 0x7fff
                                        ; implicit-def: $vgpr79
; %bb.70:
	s_and_not1_saveexec_b32 s4, s4
; %bb.71:
	v_and_b32_e32 v78, 0xffff, v79
	v_or_b32_e32 v83, 0x10000, v79
	s_delay_alu instid0(VALU_DEP_2) | instskip(NEXT) | instid1(VALU_DEP_2)
	v_cmp_eq_u32_e32 vcc_lo, 0, v78
	v_cndmask_b32_e32 v78, v83, v79, vcc_lo
; %bb.72:
	s_or_b32 exec_lo, exec_lo, s4
	v_and_b32_e32 v79, 0x7f800000, v70
	s_delay_alu instid0(VALU_DEP_1) | instskip(SKIP_1) | instid1(SALU_CYCLE_1)
	v_cmp_ne_u32_e32 vcc_lo, 0x7f800000, v79
                                        ; implicit-def: $vgpr79
	s_and_saveexec_b32 s4, vcc_lo
	s_xor_b32 s4, exec_lo, s4
; %bb.73:
	v_bfe_u32 v79, v70, 16, 1
	s_delay_alu instid0(VALU_DEP_1)
	v_add3_u32 v79, v70, v79, 0x7fff
                                        ; implicit-def: $vgpr70
; %bb.74:
	s_and_not1_saveexec_b32 s4, s4
; %bb.75:
	v_and_b32_e32 v79, 0xffff, v70
	v_or_b32_e32 v83, 0x10000, v70
	s_delay_alu instid0(VALU_DEP_2) | instskip(NEXT) | instid1(VALU_DEP_2)
	v_cmp_eq_u32_e32 vcc_lo, 0, v79
	v_cndmask_b32_e32 v79, v83, v70, vcc_lo
; %bb.76:
	s_or_b32 exec_lo, exec_lo, s4
	s_delay_alu instid0(VALU_DEP_1)
	v_perm_b32 v86, v79, v78, 0x7060302
	v_perm_b32 v85, v77, v82, 0x7060302
	;; [unrolled: 1-line block ×4, first 2 shown]
	v_lshl_or_b32 v82, v66, 11, v80
	ds_store_b128 v76, v[83:86] offset:1024
	s_waitcnt lgkmcnt(0)
	s_barrier
	buffer_gl0_inv
	ds_load_b128 v[69:72], v82
	ds_load_b128 v[83:86], v82 offset:16
	s_waitcnt lgkmcnt(1)
	v_lshrrev_b32_e32 v66, 16, v69
	s_waitcnt lgkmcnt(0)
	v_lshrrev_b32_e32 v91, 16, v83
	v_lshlrev_b32_e32 v78, 2, v74
	v_lshrrev_b32_e32 v95, 16, v70
	v_lshrrev_b32_e32 v98, 16, v84
	;; [unrolled: 1-line block ×4, first 2 shown]
	v_cmp_eq_u32_e32 vcc_lo, 1, v78
	v_lshrrev_b32_e32 v97, 16, v72
	v_lshrrev_b32_e32 v100, 16, v86
	v_cndmask_b32_e32 v87, v83, v91, vcc_lo
	v_or_b32_e32 v79, 1, v78
	v_cndmask_b32_e32 v81, v69, v66, vcc_lo
	v_cmp_eq_u32_e64 s5, 2, v78
	v_cmp_eq_u32_e64 s8, 3, v78
	;; [unrolled: 1-line block ×5, first 2 shown]
	v_cndmask_b32_e64 v81, v81, v70, s5
	v_cndmask_b32_e64 v87, v87, v84, s5
	v_cmp_eq_u32_e64 s9, 3, v79
	v_cndmask_b32_e64 v88, v69, v66, s4
	v_or_b32_e32 v77, 2, v78
	v_cndmask_b32_e64 v81, v81, v95, s8
	v_cndmask_b32_e64 v87, v87, v98, s8
	;; [unrolled: 1-line block ×4, first 2 shown]
	v_cmp_eq_u32_e64 s11, 5, v78
	v_cndmask_b32_e64 v81, v81, v71, s10
	v_cndmask_b32_e64 v87, v87, v85, s10
	v_cmp_eq_u32_e64 s12, 4, v79
	v_cndmask_b32_e64 v88, v88, v95, s9
	v_cmp_eq_u32_e64 s6, 1, v77
	v_cndmask_b32_e64 v89, v89, v84, s7
	v_cndmask_b32_e64 v81, v81, v96, s11
	v_cmp_eq_u32_e64 s13, 6, v78
	v_cndmask_b32_e64 v88, v88, v71, s12
	;; [unrolled: 3-line block ×3, first 2 shown]
	v_cndmask_b32_e64 v89, v89, v98, s9
	v_cndmask_b32_e64 v81, v81, v72, s13
	v_cmp_eq_u32_e64 s16, 7, v78
	v_cndmask_b32_e64 v88, v88, v96, s15
	v_cndmask_b32_e64 v87, v87, v86, s13
	v_cmp_eq_u32_e64 s17, 6, v79
	v_cmp_eq_u32_e64 s18, 2, v77
	v_cndmask_b32_e64 v89, v89, v85, s12
	v_cndmask_b32_e64 v101, v81, v97, s16
	;; [unrolled: 1-line block ×6, first 2 shown]
	v_cmp_eq_u32_e64 s19, 7, v79
	v_cmp_eq_u32_e64 s20, 3, v77
	;; [unrolled: 1-line block ×4, first 2 shown]
	v_cndmask_b32_e64 v87, v87, v84, s18
	v_cndmask_b32_e64 v103, v88, v97, s19
	;; [unrolled: 1-line block ×4, first 2 shown]
	v_or_b32_e32 v81, 3, v78
	v_cndmask_b32_e64 v93, v87, v98, s20
	v_cmp_eq_u32_e64 s25, 6, v77
	v_cndmask_b32_e64 v104, v88, v86, s17
	v_cndmask_b32_e64 v92, v89, v71, s21
	v_cmp_eq_u32_e64 s22, 1, v81
	ds_load_b128 v[87:90], v82 offset:1024
	v_cmp_eq_u32_e64 s24, 2, v81
	v_cmp_eq_u32_e64 s26, 3, v81
	v_cndmask_b32_e64 v105, v92, v96, s23
	v_cndmask_b32_e64 v66, v69, v66, s22
	;; [unrolled: 1-line block ×4, first 2 shown]
	ds_load_b128 v[91:94], v82 offset:1040
	v_cmp_eq_u32_e64 s27, 4, v81
	v_cndmask_b32_e64 v66, v66, v70, s24
	v_cmp_eq_u32_e64 s28, 7, v77
	v_cndmask_b32_e64 v70, v83, v84, s24
	v_cndmask_b32_e64 v84, v105, v72, s25
	v_cmp_eq_u32_e64 s29, 5, v81
	v_cndmask_b32_e64 v66, v66, v95, s26
	v_cmp_eq_u32_e64 s30, 6, v81
	v_cndmask_b32_e64 v70, v70, v98, s26
	v_cndmask_b32_e64 v69, v69, v99, s23
	v_cndmask_b32_e64 v83, v104, v100, s19
	v_cndmask_b32_e64 v66, v66, v71, s27
	s_waitcnt lgkmcnt(1)
	v_lshrrev_b32_e32 v95, 16, v87
	v_cndmask_b32_e64 v70, v70, v85, s27
	v_cndmask_b32_e64 v71, v84, v97, s28
	;; [unrolled: 1-line block ×4, first 2 shown]
	v_cndmask_b32_e32 v84, v87, v95, vcc_lo
	v_cndmask_b32_e64 v70, v70, v99, s29
	s_waitcnt lgkmcnt(0)
	v_lshrrev_b32_e32 v85, 16, v91
	v_lshrrev_b32_e32 v96, 16, v88
	v_cndmask_b32_e64 v98, v87, v95, s4
	v_cndmask_b32_e64 v84, v84, v88, s5
	v_cndmask_b32_e64 v70, v70, v86, s30
	v_cndmask_b32_e32 v99, v91, v85, vcc_lo
	v_cmp_eq_u32_e32 vcc_lo, 7, v81
	v_cndmask_b32_e64 v66, v66, v72, s30
	v_cndmask_b32_e64 v72, v84, v96, s8
	;; [unrolled: 1-line block ×3, first 2 shown]
	v_lshrrev_b32_e32 v98, 16, v92
	v_cndmask_b32_e32 v70, v70, v100, vcc_lo
	v_cndmask_b32_e64 v86, v99, v92, s5
	v_cndmask_b32_e64 v69, v69, v100, s28
	v_lshrrev_b32_e32 v100, 16, v93
	v_cndmask_b32_e64 v72, v72, v89, s10
	v_lshrrev_b32_e32 v99, 16, v89
	v_cndmask_b32_e64 v86, v86, v98, s8
	v_perm_b32 v71, v69, v71, 0x5040100
	v_cndmask_b32_e64 v84, v84, v96, s9
	s_delay_alu instid0(VALU_DEP_3) | instskip(NEXT) | instid1(VALU_DEP_2)
	v_cndmask_b32_e64 v86, v86, v93, s10
	v_cndmask_b32_e64 v84, v84, v89, s12
	s_delay_alu instid0(VALU_DEP_2) | instskip(NEXT) | instid1(VALU_DEP_1)
	v_cndmask_b32_e64 v86, v86, v100, s11
	v_cndmask_b32_e64 v69, v86, v94, s13
	;; [unrolled: 1-line block ×5, first 2 shown]
	s_delay_alu instid0(VALU_DEP_3) | instskip(NEXT) | instid1(VALU_DEP_3)
	v_cndmask_b32_e64 v86, v86, v88, s18
	v_cndmask_b32_e64 v87, v87, v88, s24
	s_delay_alu instid0(VALU_DEP_3) | instskip(NEXT) | instid1(VALU_DEP_3)
	v_cndmask_b32_e64 v88, v95, v92, s24
	v_cndmask_b32_e64 v86, v86, v96, s20
	;; [unrolled: 3-line block ×7, first 2 shown]
	s_delay_alu instid0(VALU_DEP_3) | instskip(SKIP_2) | instid1(VALU_DEP_2)
	v_cndmask_b32_e64 v88, v88, v94, s30
	v_cndmask_b32_e32 v66, v66, v97, vcc_lo
	v_cndmask_b32_e64 v97, v72, v99, s11
	v_perm_b32 v72, v70, v66, 0x5040100
	v_perm_b32 v70, v83, v103, 0x5040100
	v_cndmask_b32_e64 v103, v91, v85, s6
	v_cndmask_b32_e64 v85, v91, v85, s4
	;; [unrolled: 1-line block ×4, first 2 shown]
	v_lshrrev_b32_e32 v97, 16, v90
	v_cndmask_b32_e64 v91, v103, v92, s18
	v_cndmask_b32_e64 v85, v85, v92, s7
	;; [unrolled: 1-line block ×3, first 2 shown]
	s_mov_b32 s4, exec_lo
	v_cndmask_b32_e64 v83, v84, v97, s16
	v_cndmask_b32_e64 v91, v91, v98, s20
	;; [unrolled: 1-line block ×3, first 2 shown]
	v_lshrrev_b32_e32 v84, 16, v94
	v_cndmask_b32_e64 v66, v66, v97, s19
	v_cndmask_b32_e64 v90, v86, v97, s28
	;; [unrolled: 1-line block ×4, first 2 shown]
	v_dual_cndmask_b32 v86, v87, v97 :: v_dual_cndmask_b32 v87, v88, v84
	v_cndmask_b32_e64 v91, v69, v84, s16
	s_delay_alu instid0(VALU_DEP_4) | instskip(NEXT) | instid1(VALU_DEP_4)
	v_cndmask_b32_e64 v89, v89, v100, s23
	v_cndmask_b32_e64 v85, v85, v100, s15
	v_perm_b32 v69, v102, v101, 0x5040100
	v_perm_b32 v86, v87, v86, 0x5040100
	;; [unrolled: 1-line block ×3, first 2 shown]
	v_cndmask_b32_e64 v89, v89, v94, s25
	v_cndmask_b32_e64 v85, v85, v94, s17
	s_mul_i32 s9, s37, 15
	s_delay_alu instid0(VALU_DEP_2) | instskip(NEXT) | instid1(VALU_DEP_2)
	v_cndmask_b32_e64 v88, v89, v84, s28
	v_cndmask_b32_e64 v89, v85, v84, s19
	s_delay_alu instid0(VALU_DEP_2) | instskip(NEXT) | instid1(VALU_DEP_2)
	v_perm_b32 v85, v88, v90, 0x5040100
	v_perm_b32 v84, v89, v66, 0x5040100
	ds_store_b128 v76, v[69:72]
	ds_store_b128 v76, v[83:86] offset:1024
	v_cmpx_gt_u32_e32 15, v0
	s_cbranch_execz .LBB1360_78
; %bb.77:
	s_mul_i32 s5, s9, s34
	s_load_b128 s[16:19], s[0:1], 0x58
	v_add3_u32 v69, s5, s31, v65
	s_delay_alu instid0(VALU_DEP_1) | instskip(NEXT) | instid1(VALU_DEP_1)
	v_mad_u64_u32 v[65:66], null, v69, s36, s[14:15]
	v_ashrrev_i32_e32 v66, 31, v65
	s_delay_alu instid0(VALU_DEP_1) | instskip(SKIP_1) | instid1(VALU_DEP_1)
	v_lshlrev_b64 v[65:66], 2, v[65:66]
	s_waitcnt lgkmcnt(0)
	v_add_co_u32 v69, vcc_lo, s18, v65
	s_delay_alu instid0(VALU_DEP_2)
	v_add_co_ci_u32_e32 v70, vcc_lo, s19, v66, vcc_lo
	v_add_co_u32 v65, vcc_lo, s16, v65
	v_add_co_ci_u32_e32 v66, vcc_lo, s17, v66, vcc_lo
	global_store_b32 v[69:70], v67, off
	global_store_b32 v[65:66], v68, off
.LBB1360_78:
	s_or_b32 exec_lo, exec_lo, s4
	s_waitcnt lgkmcnt(0)
	s_waitcnt_vscnt null, 0x0
	s_barrier
	buffer_gl0_inv
	ds_load_b128 v[83:86], v80
	ds_load_b128 v[87:90], v80 offset:16
	ds_load_b128 v[95:98], v80 offset:2064
	ds_load_b128 v[91:94], v80 offset:2048
	v_mov_b32_e32 v65, 0
	ds_load_b128 v[103:106], v80 offset:4112
	ds_load_b128 v[99:102], v80 offset:4096
	;; [unrolled: 1-line block ×4, first 2 shown]
	v_mov_b32_e32 v66, v65
	v_mov_b32_e32 v67, v65
	;; [unrolled: 1-line block ×7, first 2 shown]
	s_waitcnt lgkmcnt(6)
	s_delay_alu instid0(VALU_DEP_1)
	v_wmma_f32_16x16x16_bf16 v[65:72], v[57:64], v[83:90], v[65:72]
	ds_load_b128 v[61:64], v80 offset:8208
	ds_load_b128 v[57:60], v80 offset:8192
	s_waitcnt lgkmcnt(6)
	v_wmma_f32_16x16x16_bf16 v[65:72], v[41:48], v[91:98], v[65:72]
	ds_load_b128 v[45:48], v80 offset:10256
	ds_load_b128 v[41:44], v80 offset:10240
	s_waitcnt lgkmcnt(6)
	;; [unrolled: 4-line block ×4, first 2 shown]
	v_wmma_f32_16x16x16_bf16 v[65:72], v[1:8], v[57:64], v[65:72]
	s_waitcnt lgkmcnt(4)
	s_delay_alu instid0(VALU_DEP_1) | instskip(SKIP_1) | instid1(VALU_DEP_1)
	v_wmma_f32_16x16x16_bf16 v[65:72], v[9:16], v[41:48], v[65:72]
	s_waitcnt lgkmcnt(2)
	v_wmma_f32_16x16x16_bf16 v[65:72], v[17:24], v[33:40], v[65:72]
	s_waitcnt lgkmcnt(0)
	s_delay_alu instid0(VALU_DEP_1) | instskip(NEXT) | instid1(VALU_DEP_1)
	v_wmma_f32_16x16x16_bf16 v[65:72], v[49:56], v[25:32], v[65:72]
	v_and_b32_e32 v1, 0x7f800000, v65
	s_delay_alu instid0(VALU_DEP_1) | instskip(SKIP_1) | instid1(SALU_CYCLE_1)
	v_cmp_ne_u32_e32 vcc_lo, 0x7f800000, v1
                                        ; implicit-def: $vgpr1
	s_and_saveexec_b32 s4, vcc_lo
	s_xor_b32 s4, exec_lo, s4
; %bb.79:
	v_bfe_u32 v1, v65, 16, 1
	s_delay_alu instid0(VALU_DEP_1)
	v_add3_u32 v1, v65, v1, 0x7fff
; %bb.80:
	s_and_not1_saveexec_b32 s4, s4
; %bb.81:
	v_and_b32_e32 v1, 0xffff, v65
	v_or_b32_e32 v2, 0x10000, v65
	s_delay_alu instid0(VALU_DEP_2) | instskip(NEXT) | instid1(VALU_DEP_2)
	v_cmp_eq_u32_e32 vcc_lo, 0, v1
	v_cndmask_b32_e32 v1, v2, v65, vcc_lo
; %bb.82:
	s_or_b32 exec_lo, exec_lo, s4
	v_and_b32_e32 v2, 0x7f800000, v66
	s_delay_alu instid0(VALU_DEP_1) | instskip(SKIP_1) | instid1(SALU_CYCLE_1)
	v_cmp_ne_u32_e32 vcc_lo, 0x7f800000, v2
                                        ; implicit-def: $vgpr2
	s_and_saveexec_b32 s4, vcc_lo
	s_xor_b32 s4, exec_lo, s4
; %bb.83:
	v_bfe_u32 v2, v66, 16, 1
	s_delay_alu instid0(VALU_DEP_1)
	v_add3_u32 v2, v66, v2, 0x7fff
; %bb.84:
	s_and_not1_saveexec_b32 s4, s4
; %bb.85:
	v_and_b32_e32 v2, 0xffff, v66
	v_or_b32_e32 v3, 0x10000, v66
	s_delay_alu instid0(VALU_DEP_2) | instskip(NEXT) | instid1(VALU_DEP_2)
	v_cmp_eq_u32_e32 vcc_lo, 0, v2
	v_cndmask_b32_e32 v2, v3, v66, vcc_lo
; %bb.86:
	s_or_b32 exec_lo, exec_lo, s4
	v_and_b32_e32 v3, 0x7f800000, v67
	s_delay_alu instid0(VALU_DEP_1) | instskip(SKIP_1) | instid1(SALU_CYCLE_1)
	v_cmp_ne_u32_e32 vcc_lo, 0x7f800000, v3
                                        ; implicit-def: $vgpr3
	s_and_saveexec_b32 s4, vcc_lo
	s_xor_b32 s4, exec_lo, s4
; %bb.87:
	v_bfe_u32 v3, v67, 16, 1
	s_delay_alu instid0(VALU_DEP_1)
	v_add3_u32 v3, v67, v3, 0x7fff
; %bb.88:
	s_and_not1_saveexec_b32 s4, s4
; %bb.89:
	v_and_b32_e32 v3, 0xffff, v67
	v_or_b32_e32 v4, 0x10000, v67
	s_delay_alu instid0(VALU_DEP_2) | instskip(NEXT) | instid1(VALU_DEP_2)
	v_cmp_eq_u32_e32 vcc_lo, 0, v3
	v_cndmask_b32_e32 v3, v4, v67, vcc_lo
; %bb.90:
	s_or_b32 exec_lo, exec_lo, s4
	v_and_b32_e32 v4, 0x7f800000, v68
	s_delay_alu instid0(VALU_DEP_1) | instskip(SKIP_1) | instid1(SALU_CYCLE_1)
	v_cmp_ne_u32_e32 vcc_lo, 0x7f800000, v4
                                        ; implicit-def: $vgpr4
	s_and_saveexec_b32 s4, vcc_lo
	s_xor_b32 s4, exec_lo, s4
; %bb.91:
	v_bfe_u32 v4, v68, 16, 1
	s_delay_alu instid0(VALU_DEP_1)
	v_add3_u32 v4, v68, v4, 0x7fff
; %bb.92:
	s_and_not1_saveexec_b32 s4, s4
; %bb.93:
	v_and_b32_e32 v4, 0xffff, v68
	v_or_b32_e32 v5, 0x10000, v68
	s_delay_alu instid0(VALU_DEP_2) | instskip(NEXT) | instid1(VALU_DEP_2)
	v_cmp_eq_u32_e32 vcc_lo, 0, v4
	v_cndmask_b32_e32 v4, v5, v68, vcc_lo
; %bb.94:
	s_or_b32 exec_lo, exec_lo, s4
	v_and_b32_e32 v5, 0x7f800000, v69
	s_delay_alu instid0(VALU_DEP_1) | instskip(SKIP_1) | instid1(SALU_CYCLE_1)
	v_cmp_ne_u32_e32 vcc_lo, 0x7f800000, v5
                                        ; implicit-def: $vgpr5
	s_and_saveexec_b32 s4, vcc_lo
	s_xor_b32 s4, exec_lo, s4
; %bb.95:
	v_bfe_u32 v5, v69, 16, 1
	s_delay_alu instid0(VALU_DEP_1)
	v_add3_u32 v5, v69, v5, 0x7fff
; %bb.96:
	s_and_not1_saveexec_b32 s4, s4
; %bb.97:
	v_and_b32_e32 v5, 0xffff, v69
	v_or_b32_e32 v6, 0x10000, v69
	s_delay_alu instid0(VALU_DEP_2) | instskip(NEXT) | instid1(VALU_DEP_2)
	v_cmp_eq_u32_e32 vcc_lo, 0, v5
	v_cndmask_b32_e32 v5, v6, v69, vcc_lo
; %bb.98:
	s_or_b32 exec_lo, exec_lo, s4
	v_and_b32_e32 v6, 0x7f800000, v70
	s_delay_alu instid0(VALU_DEP_1) | instskip(SKIP_1) | instid1(SALU_CYCLE_1)
	v_cmp_ne_u32_e32 vcc_lo, 0x7f800000, v6
                                        ; implicit-def: $vgpr6
	s_and_saveexec_b32 s4, vcc_lo
	s_xor_b32 s4, exec_lo, s4
; %bb.99:
	v_bfe_u32 v6, v70, 16, 1
	s_delay_alu instid0(VALU_DEP_1)
	v_add3_u32 v6, v70, v6, 0x7fff
; %bb.100:
	s_and_not1_saveexec_b32 s4, s4
; %bb.101:
	v_and_b32_e32 v6, 0xffff, v70
	v_or_b32_e32 v7, 0x10000, v70
	s_delay_alu instid0(VALU_DEP_2) | instskip(NEXT) | instid1(VALU_DEP_2)
	v_cmp_eq_u32_e32 vcc_lo, 0, v6
	v_cndmask_b32_e32 v6, v7, v70, vcc_lo
; %bb.102:
	s_or_b32 exec_lo, exec_lo, s4
	v_and_b32_e32 v7, 0x7f800000, v71
	s_delay_alu instid0(VALU_DEP_1) | instskip(SKIP_1) | instid1(SALU_CYCLE_1)
	v_cmp_ne_u32_e32 vcc_lo, 0x7f800000, v7
                                        ; implicit-def: $vgpr7
	s_and_saveexec_b32 s4, vcc_lo
	s_xor_b32 s4, exec_lo, s4
; %bb.103:
	v_bfe_u32 v7, v71, 16, 1
	s_delay_alu instid0(VALU_DEP_1)
	v_add3_u32 v7, v71, v7, 0x7fff
; %bb.104:
	s_and_not1_saveexec_b32 s4, s4
; %bb.105:
	v_and_b32_e32 v7, 0xffff, v71
	v_or_b32_e32 v8, 0x10000, v71
	s_delay_alu instid0(VALU_DEP_2) | instskip(NEXT) | instid1(VALU_DEP_2)
	v_cmp_eq_u32_e32 vcc_lo, 0, v7
	v_cndmask_b32_e32 v7, v8, v71, vcc_lo
; %bb.106:
	s_or_b32 exec_lo, exec_lo, s4
	v_and_b32_e32 v8, 0x7f800000, v72
	s_delay_alu instid0(VALU_DEP_1) | instskip(SKIP_1) | instid1(SALU_CYCLE_1)
	v_cmp_ne_u32_e32 vcc_lo, 0x7f800000, v8
                                        ; implicit-def: $vgpr8
	s_and_saveexec_b32 s4, vcc_lo
	s_xor_b32 s4, exec_lo, s4
; %bb.107:
	v_bfe_u32 v8, v72, 16, 1
	s_delay_alu instid0(VALU_DEP_1)
	v_add3_u32 v8, v72, v8, 0x7fff
                                        ; implicit-def: $vgpr65_vgpr66_vgpr67_vgpr68_vgpr69_vgpr70_vgpr71_vgpr72
; %bb.108:
	s_and_not1_saveexec_b32 s4, s4
; %bb.109:
	v_and_b32_e32 v8, 0xffff, v72
	v_or_b32_e32 v9, 0x10000, v72
	s_delay_alu instid0(VALU_DEP_2) | instskip(NEXT) | instid1(VALU_DEP_2)
	v_cmp_eq_u32_e32 vcc_lo, 0, v8
	v_cndmask_b32_e32 v8, v9, v72, vcc_lo
; %bb.110:
	s_or_b32 exec_lo, exec_lo, s4
	s_delay_alu instid0(VALU_DEP_1)
	v_perm_b32 v7, v8, v7, 0x7060302
	v_perm_b32 v6, v6, v5, 0x7060302
	;; [unrolled: 1-line block ×4, first 2 shown]
	s_barrier
	buffer_gl0_inv
	v_cmp_eq_u32_e32 vcc_lo, 1, v78
	ds_store_b128 v76, v[4:7]
	s_waitcnt lgkmcnt(0)
	s_barrier
	buffer_gl0_inv
	ds_load_b128 v[1:4], v82
	ds_load_b128 v[5:8], v82 offset:16
	v_cmp_eq_u32_e64 s4, 1, v79
	v_cmp_eq_u32_e64 s5, 2, v78
	;; [unrolled: 1-line block ×5, first 2 shown]
	s_waitcnt lgkmcnt(1)
	v_lshrrev_b32_e32 v9, 16, v1
	s_waitcnt lgkmcnt(0)
	v_lshrrev_b32_e32 v13, 16, v5
	v_lshrrev_b32_e32 v10, 16, v2
	v_lshrrev_b32_e32 v14, 16, v6
	v_lshrrev_b32_e32 v11, 16, v3
	v_cndmask_b32_e64 v19, v1, v9, s4
	v_cndmask_b32_e32 v18, v5, v13, vcc_lo
	v_cndmask_b32_e64 v20, v5, v13, s4
	v_cndmask_b32_e32 v17, v1, v9, vcc_lo
	v_cmp_eq_u32_e32 vcc_lo, 2, v79
	v_lshrrev_b32_e32 v15, 16, v7
	v_cmp_eq_u32_e64 s4, 1, v77
	v_lshrrev_b32_e32 v12, 16, v4
	v_lshrrev_b32_e32 v16, 16, v8
	v_cndmask_b32_e32 v20, v20, v6, vcc_lo
	v_cndmask_b32_e64 v17, v17, v2, s5
	v_cndmask_b32_e32 v19, v19, v2, vcc_lo
	v_cndmask_b32_e64 v18, v18, v6, s5
	v_cmp_eq_u32_e32 vcc_lo, 4, v78
	v_cmp_eq_u32_e64 s5, 3, v79
	v_cndmask_b32_e64 v17, v17, v10, s6
	v_cndmask_b32_e64 v21, v1, v9, s4
	;; [unrolled: 1-line block ×5, first 2 shown]
	v_cndmask_b32_e32 v17, v17, v3, vcc_lo
	v_cndmask_b32_e64 v20, v20, v14, s5
	v_cndmask_b32_e32 v18, v18, v7, vcc_lo
	v_cmp_eq_u32_e32 vcc_lo, 4, v79
	v_cmp_eq_u32_e64 s5, 5, v79
	v_cmp_eq_u32_e64 s4, 2, v81
	v_cndmask_b32_e64 v21, v21, v2, s8
	v_cmp_eq_u32_e64 s6, 5, v78
	v_cndmask_b32_e32 v19, v19, v3, vcc_lo
	v_cndmask_b32_e32 v20, v20, v7, vcc_lo
	v_cmp_eq_u32_e32 vcc_lo, 6, v79
	s_delay_alu instid0(VALU_DEP_4) | instskip(NEXT) | instid1(VALU_DEP_4)
	v_cndmask_b32_e64 v17, v17, v11, s6
	v_cndmask_b32_e64 v19, v19, v11, s5
	s_delay_alu instid0(VALU_DEP_4) | instskip(SKIP_1) | instid1(VALU_DEP_3)
	v_cndmask_b32_e64 v20, v20, v15, s5
	v_cmp_eq_u32_e64 s5, 1, v81
	v_cndmask_b32_e32 v19, v19, v4, vcc_lo
	v_cndmask_b32_e64 v18, v18, v15, s6
	s_delay_alu instid0(VALU_DEP_3)
	v_cndmask_b32_e64 v1, v1, v9, s5
	v_cndmask_b32_e64 v5, v5, v13, s5
	v_cmp_eq_u32_e64 s5, 3, v77
	v_cndmask_b32_e64 v13, v22, v6, s8
	v_cmp_eq_u32_e64 s8, 3, v81
	v_cndmask_b32_e64 v1, v1, v2, s4
	v_cndmask_b32_e64 v2, v5, v6, s4
	;; [unrolled: 1-line block ×3, first 2 shown]
	v_cmp_eq_u32_e64 s4, 4, v77
	v_cndmask_b32_e64 v6, v13, v14, s5
	v_cndmask_b32_e64 v1, v1, v10, s8
	v_cmp_eq_u32_e64 s5, 4, v81
	v_cndmask_b32_e64 v2, v2, v14, s8
	v_cndmask_b32_e64 v5, v9, v3, s4
	;; [unrolled: 3-line block ×3, first 2 shown]
	v_cndmask_b32_e64 v2, v2, v7, s5
	v_cmp_eq_u32_e64 s4, 5, v81
	v_cmp_eq_u32_e64 s6, 6, v78
	v_cndmask_b32_e64 v5, v5, v11, s8
	v_cmp_eq_u32_e64 s5, 6, v77
	v_cndmask_b32_e64 v3, v6, v15, s8
	v_cndmask_b32_e64 v1, v1, v11, s4
	v_cmp_eq_u32_e64 s8, 6, v81
	v_cndmask_b32_e64 v2, v2, v15, s4
	v_cndmask_b32_e64 v17, v17, v4, s6
	v_cndmask_b32_e64 v18, v18, v8, s6
	v_cmp_eq_u32_e64 s6, 7, v78
	v_cndmask_b32_e64 v5, v5, v4, s5
	;; [unrolled: 4-line block ×3, first 2 shown]
	v_cmp_eq_u32_e64 s5, 7, v77
	v_cndmask_b32_e32 v4, v20, v8, vcc_lo
	v_cndmask_b32_e64 v17, v17, v12, s6
	v_cndmask_b32_e64 v19, v19, v12, s7
	;; [unrolled: 1-line block ×8, first 2 shown]
	v_cmp_gt_u32_e32 vcc_lo, 32, v0
	v_perm_b32 v4, v2, v1, 0x5040100
	v_perm_b32 v3, v3, v5, 0x5040100
	v_perm_b32 v2, v6, v19, 0x5040100
	v_perm_b32 v1, v7, v17, 0x5040100
	s_and_b32 s2, vcc_lo, s2
	ds_store_b128 v76, v[1:4]
	s_waitcnt lgkmcnt(0)
	s_barrier
	buffer_gl0_inv
	s_and_saveexec_b32 s4, s2
	s_cbranch_execz .LBB1360_2
; %bb.111:
	s_load_b64 s[4:5], s[0:1], 0x68
	v_add_nc_u32_e32 v20, s31, v74
	v_lshlrev_b32_e32 v0, 10, v0
	v_lshlrev_b32_e32 v1, 4, v75
	s_lshl_b32 s0, s36, 6
	s_delay_alu instid0(SALU_CYCLE_1)
	s_mul_i32 s1, s0, s34
	v_add_nc_u32_e32 v2, 2, v20
	s_mul_i32 s6, s1, s9
	v_and_or_b32 v0, 0x3800, v0, v1
	v_mul_lo_u32 v1, v20, s0
	s_ashr_i32 s7, s6, 31
	v_mul_lo_u32 v11, v2, s0
	s_lshl_b64 s[6:7], s[6:7], 1
	v_add_nc_u32_e32 v3, 4, v20
	v_lshl_or_b32 v21, v74, 6, v0
	v_add_nc_u32_e32 v16, 6, v20
	v_ashrrev_i32_e32 v2, 31, v1
	s_delay_alu instid0(VALU_DEP_4)
	v_mul_lo_u32 v13, v3, s0
	s_waitcnt lgkmcnt(0)
	s_add_u32 s1, s4, s6
	s_addc_u32 s2, s5, s7
	s_lshl_b32 s4, s14, 6
	ds_load_b128 v[3:6], v21
	ds_load_b128 v[7:10], v21 offset:128
	s_ashr_i32 s5, s4, 31
	v_ashrrev_i32_e32 v12, 31, v11
	s_lshl_b64 s[4:5], s[4:5], 1
	v_lshlrev_b64 v[14:15], 1, v[1:2]
	s_add_u32 s1, s1, s4
	s_addc_u32 s2, s2, s5
	v_add_co_u32 v1, s1, s1, v73
	s_delay_alu instid0(VALU_DEP_1) | instskip(SKIP_1) | instid1(VALU_DEP_3)
	v_add_co_ci_u32_e64 v2, null, s2, 0, s1
	v_lshlrev_b64 v[11:12], 1, v[11:12]
	v_add_co_u32 v18, vcc_lo, v1, v14
	v_mul_lo_u32 v16, v16, s0
	s_delay_alu instid0(VALU_DEP_4) | instskip(NEXT) | instid1(VALU_DEP_4)
	v_add_co_ci_u32_e32 v19, vcc_lo, v2, v15, vcc_lo
	v_add_co_u32 v11, vcc_lo, v1, v11
	v_ashrrev_i32_e32 v14, 31, v13
	v_add_co_ci_u32_e32 v12, vcc_lo, v2, v12, vcc_lo
	v_add_nc_u32_e32 v15, 8, v20
	v_ashrrev_i32_e32 v17, 31, v16
	s_waitcnt lgkmcnt(1)
	global_store_b128 v[18:19], v[3:6], off
	v_lshlrev_b64 v[3:4], 1, v[13:14]
	s_waitcnt lgkmcnt(0)
	global_store_b128 v[11:12], v[7:10], off
	v_mul_lo_u32 v11, v15, s0
	v_add_nc_u32_e32 v7, 10, v20
	v_lshlrev_b64 v[5:6], 1, v[16:17]
	v_add_co_u32 v23, vcc_lo, v1, v3
	v_add_nc_u32_e32 v3, 12, v20
	s_delay_alu instid0(VALU_DEP_4)
	v_mul_lo_u32 v25, v7, s0
	v_ashrrev_i32_e32 v12, 31, v11
	v_add_co_ci_u32_e32 v24, vcc_lo, v2, v4, vcc_lo
	v_add_co_u32 v27, vcc_lo, v1, v5
	v_mul_lo_u32 v29, v3, s0
	v_add_co_ci_u32_e32 v28, vcc_lo, v2, v6, vcc_lo
	ds_load_b128 v[3:6], v21 offset:256
	ds_load_b128 v[7:10], v21 offset:384
	v_lshlrev_b64 v[31:32], 1, v[11:12]
	ds_load_b128 v[11:14], v21 offset:512
	ds_load_b128 v[15:18], v21 offset:640
	;; [unrolled: 1-line block ×3, first 2 shown]
	v_ashrrev_i32_e32 v26, 31, v25
	v_ashrrev_i32_e32 v30, 31, v29
	v_add_co_u32 v31, vcc_lo, v1, v31
	s_delay_alu instid0(VALU_DEP_3) | instskip(NEXT) | instid1(VALU_DEP_3)
	v_lshlrev_b64 v[25:26], 1, v[25:26]
	v_lshlrev_b64 v[29:30], 1, v[29:30]
	v_add_co_ci_u32_e32 v32, vcc_lo, v2, v32, vcc_lo
	s_delay_alu instid0(VALU_DEP_3) | instskip(NEXT) | instid1(VALU_DEP_4)
	v_add_co_u32 v25, vcc_lo, v1, v25
	v_add_co_ci_u32_e32 v26, vcc_lo, v2, v26, vcc_lo
	s_delay_alu instid0(VALU_DEP_4)
	v_add_co_u32 v29, vcc_lo, v1, v29
	v_add_co_ci_u32_e32 v30, vcc_lo, v2, v30, vcc_lo
	s_waitcnt lgkmcnt(4)
	global_store_b128 v[23:24], v[3:6], off
	s_waitcnt lgkmcnt(3)
	global_store_b128 v[27:28], v[7:10], off
	;; [unrolled: 2-line block ×5, first 2 shown]
	s_and_b32 exec_lo, exec_lo, s3
	s_cbranch_execz .LBB1360_2
; %bb.112:
	ds_load_b128 v[3:6], v0 offset:896
	s_add_i32 s1, s31, 14
	s_delay_alu instid0(SALU_CYCLE_1) | instskip(NEXT) | instid1(SALU_CYCLE_1)
	s_mul_i32 s0, s1, s0
	s_ashr_i32 s1, s0, 31
	s_delay_alu instid0(SALU_CYCLE_1) | instskip(NEXT) | instid1(SALU_CYCLE_1)
	s_lshl_b64 s[0:1], s[0:1], 1
	v_add_co_u32 v0, vcc_lo, v1, s0
	v_add_co_ci_u32_e32 v1, vcc_lo, s1, v2, vcc_lo
	s_waitcnt lgkmcnt(0)
	global_store_b128 v[0:1], v[3:6], off
	s_nop 0
	s_sendmsg sendmsg(MSG_DEALLOC_VGPRS)
	s_endpgm
	.section	.rodata,"a",@progbits
	.p2align	6, 0x0
	.amdhsa_kernel _Z39paged_attention_ll4mi_QKV_mfma16_kernelI14__hip_bfloat16hLN4vllm18Fp8KVCacheDataTypeE1EhLi16ELi64ELi256ELb1ELi15EL8MFMAType1EEvPKT_PKT0_S9_ifPKiSB_SB_iPKfiiiPfSE_PS4_PT2_iSD_SD_
		.amdhsa_group_segment_fixed_size 17472
		.amdhsa_private_segment_fixed_size 0
		.amdhsa_kernarg_size 400
		.amdhsa_user_sgpr_count 13
		.amdhsa_user_sgpr_dispatch_ptr 0
		.amdhsa_user_sgpr_queue_ptr 0
		.amdhsa_user_sgpr_kernarg_segment_ptr 1
		.amdhsa_user_sgpr_dispatch_id 0
		.amdhsa_user_sgpr_private_segment_size 0
		.amdhsa_wavefront_size32 1
		.amdhsa_uses_dynamic_stack 0
		.amdhsa_enable_private_segment 0
		.amdhsa_system_sgpr_workgroup_id_x 1
		.amdhsa_system_sgpr_workgroup_id_y 1
		.amdhsa_system_sgpr_workgroup_id_z 1
		.amdhsa_system_sgpr_workgroup_info 0
		.amdhsa_system_vgpr_workitem_id 0
		.amdhsa_next_free_vgpr 124
		.amdhsa_next_free_sgpr 40
		.amdhsa_reserve_vcc 1
		.amdhsa_float_round_mode_32 0
		.amdhsa_float_round_mode_16_64 0
		.amdhsa_float_denorm_mode_32 3
		.amdhsa_float_denorm_mode_16_64 3
		.amdhsa_dx10_clamp 1
		.amdhsa_ieee_mode 1
		.amdhsa_fp16_overflow 0
		.amdhsa_workgroup_processor_mode 1
		.amdhsa_memory_ordered 1
		.amdhsa_forward_progress 0
		.amdhsa_shared_vgpr_count 0
		.amdhsa_exception_fp_ieee_invalid_op 0
		.amdhsa_exception_fp_denorm_src 0
		.amdhsa_exception_fp_ieee_div_zero 0
		.amdhsa_exception_fp_ieee_overflow 0
		.amdhsa_exception_fp_ieee_underflow 0
		.amdhsa_exception_fp_ieee_inexact 0
		.amdhsa_exception_int_div_zero 0
	.end_amdhsa_kernel
	.section	.text._Z39paged_attention_ll4mi_QKV_mfma16_kernelI14__hip_bfloat16hLN4vllm18Fp8KVCacheDataTypeE1EhLi16ELi64ELi256ELb1ELi15EL8MFMAType1EEvPKT_PKT0_S9_ifPKiSB_SB_iPKfiiiPfSE_PS4_PT2_iSD_SD_,"axG",@progbits,_Z39paged_attention_ll4mi_QKV_mfma16_kernelI14__hip_bfloat16hLN4vllm18Fp8KVCacheDataTypeE1EhLi16ELi64ELi256ELb1ELi15EL8MFMAType1EEvPKT_PKT0_S9_ifPKiSB_SB_iPKfiiiPfSE_PS4_PT2_iSD_SD_,comdat
.Lfunc_end1360:
	.size	_Z39paged_attention_ll4mi_QKV_mfma16_kernelI14__hip_bfloat16hLN4vllm18Fp8KVCacheDataTypeE1EhLi16ELi64ELi256ELb1ELi15EL8MFMAType1EEvPKT_PKT0_S9_ifPKiSB_SB_iPKfiiiPfSE_PS4_PT2_iSD_SD_, .Lfunc_end1360-_Z39paged_attention_ll4mi_QKV_mfma16_kernelI14__hip_bfloat16hLN4vllm18Fp8KVCacheDataTypeE1EhLi16ELi64ELi256ELb1ELi15EL8MFMAType1EEvPKT_PKT0_S9_ifPKiSB_SB_iPKfiiiPfSE_PS4_PT2_iSD_SD_
                                        ; -- End function
	.section	.AMDGPU.csdata,"",@progbits
; Kernel info:
; codeLenInByte = 9008
; NumSgprs: 42
; NumVgprs: 124
; ScratchSize: 0
; MemoryBound: 0
; FloatMode: 240
; IeeeMode: 1
; LDSByteSize: 17472 bytes/workgroup (compile time only)
; SGPRBlocks: 5
; VGPRBlocks: 15
; NumSGPRsForWavesPerEU: 42
; NumVGPRsForWavesPerEU: 124
; Occupancy: 10
; WaveLimiterHint : 1
; COMPUTE_PGM_RSRC2:SCRATCH_EN: 0
; COMPUTE_PGM_RSRC2:USER_SGPR: 13
; COMPUTE_PGM_RSRC2:TRAP_HANDLER: 0
; COMPUTE_PGM_RSRC2:TGID_X_EN: 1
; COMPUTE_PGM_RSRC2:TGID_Y_EN: 1
; COMPUTE_PGM_RSRC2:TGID_Z_EN: 1
; COMPUTE_PGM_RSRC2:TIDIG_COMP_CNT: 0
	.section	.text._Z39paged_attention_ll4mi_QKV_mfma16_kernelI14__hip_bfloat16hLN4vllm18Fp8KVCacheDataTypeE1EhLi16ELi64ELi256ELb1ELi16EL8MFMAType1EEvPKT_PKT0_S9_ifPKiSB_SB_iPKfiiiPfSE_PS4_PT2_iSD_SD_,"axG",@progbits,_Z39paged_attention_ll4mi_QKV_mfma16_kernelI14__hip_bfloat16hLN4vllm18Fp8KVCacheDataTypeE1EhLi16ELi64ELi256ELb1ELi16EL8MFMAType1EEvPKT_PKT0_S9_ifPKiSB_SB_iPKfiiiPfSE_PS4_PT2_iSD_SD_,comdat
	.protected	_Z39paged_attention_ll4mi_QKV_mfma16_kernelI14__hip_bfloat16hLN4vllm18Fp8KVCacheDataTypeE1EhLi16ELi64ELi256ELb1ELi16EL8MFMAType1EEvPKT_PKT0_S9_ifPKiSB_SB_iPKfiiiPfSE_PS4_PT2_iSD_SD_ ; -- Begin function _Z39paged_attention_ll4mi_QKV_mfma16_kernelI14__hip_bfloat16hLN4vllm18Fp8KVCacheDataTypeE1EhLi16ELi64ELi256ELb1ELi16EL8MFMAType1EEvPKT_PKT0_S9_ifPKiSB_SB_iPKfiiiPfSE_PS4_PT2_iSD_SD_
	.globl	_Z39paged_attention_ll4mi_QKV_mfma16_kernelI14__hip_bfloat16hLN4vllm18Fp8KVCacheDataTypeE1EhLi16ELi64ELi256ELb1ELi16EL8MFMAType1EEvPKT_PKT0_S9_ifPKiSB_SB_iPKfiiiPfSE_PS4_PT2_iSD_SD_
	.p2align	8
	.type	_Z39paged_attention_ll4mi_QKV_mfma16_kernelI14__hip_bfloat16hLN4vllm18Fp8KVCacheDataTypeE1EhLi16ELi64ELi256ELb1ELi16EL8MFMAType1EEvPKT_PKT0_S9_ifPKiSB_SB_iPKfiiiPfSE_PS4_PT2_iSD_SD_,@function
_Z39paged_attention_ll4mi_QKV_mfma16_kernelI14__hip_bfloat16hLN4vllm18Fp8KVCacheDataTypeE1EhLi16ELi64ELi256ELb1ELi16EL8MFMAType1EEvPKT_PKT0_S9_ifPKiSB_SB_iPKfiiiPfSE_PS4_PT2_iSD_SD_: ; @_Z39paged_attention_ll4mi_QKV_mfma16_kernelI14__hip_bfloat16hLN4vllm18Fp8KVCacheDataTypeE1EhLi16ELi64ELi256ELb1ELi16EL8MFMAType1EEvPKT_PKT0_S9_ifPKiSB_SB_iPKfiiiPfSE_PS4_PT2_iSD_SD_
; %bb.0:
	s_load_b64 s[2:3], s[0:1], 0x30
	s_mov_b32 s30, s13
	s_waitcnt lgkmcnt(0)
	s_cmp_lg_u64 s[2:3], 0
	s_cselect_b32 s8, -1, 0
	s_ashr_i32 s31, s13, 31
	s_cmp_eq_u64 s[2:3], 0
	s_cbranch_scc1 .LBB1361_3
; %bb.1:
	s_lshl_b64 s[4:5], s[30:31], 2
	s_delay_alu instid0(SALU_CYCLE_1) | instskip(SKIP_4) | instid1(SALU_CYCLE_1)
	s_add_u32 s4, s2, s4
	s_addc_u32 s5, s3, s5
	s_load_b64 s[4:5], s[4:5], 0x0
	s_waitcnt lgkmcnt(0)
	s_sub_i32 s4, s5, s4
	s_cmp_eq_u32 s4, 1
	s_cselect_b32 s4, -1, 0
	s_delay_alu instid0(SALU_CYCLE_1)
	s_and_not1_b32 vcc_lo, exec_lo, s4
	s_cbranch_vccz .LBB1361_4
.LBB1361_2:
	s_endpgm
.LBB1361_3:
.LBB1361_4:
	s_load_b64 s[4:5], s[0:1], 0x28
	s_lshl_b64 s[6:7], s[30:31], 2
	s_waitcnt lgkmcnt(0)
	s_add_u32 s4, s4, s6
	s_addc_u32 s5, s5, s7
	s_lshl_b32 s12, s14, 8
	s_load_b32 s24, s[4:5], 0x0
	s_waitcnt lgkmcnt(0)
	s_cmp_ge_i32 s12, s24
	s_cbranch_scc1 .LBB1361_2
; %bb.5:
	s_clause 0x1
	s_load_b128 s[20:23], s[0:1], 0x8
	s_load_b64 s[4:5], s[0:1], 0x20
	s_and_not1_b32 vcc_lo, exec_lo, s8
	s_cbranch_vccnz .LBB1361_7
; %bb.6:
	s_add_u32 s2, s2, s6
	s_addc_u32 s3, s3, s7
	s_load_b32 s3, s[2:3], 0x0
	s_branch .LBB1361_8
.LBB1361_7:
	s_mov_b32 s3, s30
.LBB1361_8:
	s_load_b128 s[16:19], s[0:1], 0x48
	v_and_b32_e32 v66, 15, v0
	v_cmp_gt_u32_e32 vcc_lo, 0x100, v0
	v_lshrrev_b32_e32 v65, 5, v0
	v_and_b32_e32 v67, 31, v0
	v_and_b32_e32 v75, 1, v0
	v_lshlrev_b32_e32 v1, 3, v66
	v_cmp_gt_u32_e64 s2, 8, v66
	v_bfe_u32 v74, v0, 4, 1
	s_lshl_b32 s31, s15, 4
	s_delay_alu instid0(VALU_DEP_3) | instskip(NEXT) | instid1(VALU_DEP_3)
	v_lshlrev_b32_e32 v73, 1, v1
	s_and_b32 s7, vcc_lo, s2
	s_delay_alu instid0(SALU_CYCLE_1)
	s_and_saveexec_b32 s6, s7
	s_cbranch_execz .LBB1361_10
; %bb.9:
	v_lshl_or_b32 v5, v65, 1, v74
	s_load_b64 s[8:9], s[0:1], 0x0
	s_waitcnt lgkmcnt(0)
	s_mul_hi_i32 s11, s3, s16
	s_mul_i32 s10, s3, s16
	v_lshlrev_b32_e32 v6, 10, v66
	v_or_b32_e32 v1, s31, v5
	s_lshl_b64 s[10:11], s[10:11], 1
	v_lshlrev_b32_e32 v5, 6, v5
	v_lshlrev_b32_e32 v7, 10, v75
	v_and_b32_e32 v6, 0x3800, v6
	v_lshlrev_b32_e32 v1, 6, v1
	s_delay_alu instid0(VALU_DEP_2) | instskip(NEXT) | instid1(VALU_DEP_2)
	v_or3_b32 v5, v6, v7, v5
	v_ashrrev_i32_e32 v2, 31, v1
	s_delay_alu instid0(VALU_DEP_1) | instskip(SKIP_2) | instid1(VALU_DEP_1)
	v_lshlrev_b64 v[1:2], 1, v[1:2]
	s_add_u32 s3, s8, s10
	s_addc_u32 s7, s9, s11
	v_add_co_u32 v1, vcc_lo, s3, v1
	s_delay_alu instid0(VALU_DEP_2) | instskip(NEXT) | instid1(VALU_DEP_2)
	v_add_co_ci_u32_e32 v2, vcc_lo, s7, v2, vcc_lo
	v_add_co_u32 v1, vcc_lo, v1, v73
	s_delay_alu instid0(VALU_DEP_2)
	v_add_co_ci_u32_e32 v2, vcc_lo, 0, v2, vcc_lo
	global_load_b128 v[1:4], v[1:2], off
	s_waitcnt vmcnt(0)
	ds_store_b128 v5, v[1:4]
.LBB1361_10:
	s_or_b32 exec_lo, exec_lo, s6
	v_and_b32_e32 v1, 0xef, v0
	s_waitcnt lgkmcnt(0)
	s_add_i32 s3, s24, 15
	s_clause 0x1
	s_load_b32 s6, s[0:1], 0x38
	s_load_b32 s19, s[0:1], 0x1c
	s_ashr_i32 s7, s3, 31
	v_add_nc_u32_e32 v1, s12, v1
	s_lshr_b32 s7, s7, 28
	s_waitcnt lgkmcnt(0)
	s_add_i32 s3, s3, s7
	s_barrier
	v_ashrrev_i32_e32 v2, 31, v1
	v_or_b32_e32 v3, 16, v1
	s_ashr_i32 s3, s3, 4
	v_cmp_gt_i32_e32 vcc_lo, s24, v1
	s_add_i32 s3, s3, -1
	v_lshrrev_b32_e32 v2, 28, v2
	buffer_gl0_inv
	s_mul_i32 s27, s15, s18
	v_add_nc_u32_e32 v4, v1, v2
	s_mul_i32 s6, s30, s6
	s_delay_alu instid0(SALU_CYCLE_1) | instskip(NEXT) | instid1(VALU_DEP_1)
	s_ashr_i32 s7, s6, 31
	v_ashrrev_i32_e32 v4, 4, v4
	v_add_nc_u32_e32 v2, v3, v2
	s_lshl_b64 s[6:7], s[6:7], 2
	s_delay_alu instid0(SALU_CYCLE_1) | instskip(NEXT) | instid1(VALU_DEP_2)
	s_add_u32 s26, s4, s6
	v_cndmask_b32_e32 v1, s3, v4, vcc_lo
	s_delay_alu instid0(VALU_DEP_2)
	v_ashrrev_i32_e32 v2, 4, v2
	v_cmp_gt_i32_e32 vcc_lo, s24, v3
	s_addc_u32 s25, s5, s7
	s_ashr_i32 s28, s27, 31
	s_add_u32 s13, s20, s27
	s_addc_u32 s15, s21, s28
	v_cndmask_b32_e32 v3, s3, v2, vcc_lo
	v_ashrrev_i32_e32 v2, 31, v1
	s_lshl_b32 s4, s14, 4
	s_delay_alu instid0(SALU_CYCLE_1) | instskip(NEXT) | instid1(VALU_DEP_2)
	s_ashr_i32 s5, s4, 31
	v_ashrrev_i32_e32 v4, 31, v3
	s_delay_alu instid0(VALU_DEP_2) | instskip(SKIP_1) | instid1(SALU_CYCLE_1)
	v_lshlrev_b64 v[1:2], 2, v[1:2]
	s_lshl_b64 s[4:5], s[4:5], 2
	s_add_u32 s4, s26, s4
	s_delay_alu instid0(VALU_DEP_2) | instskip(SKIP_1) | instid1(VALU_DEP_2)
	v_lshlrev_b64 v[3:4], 2, v[3:4]
	s_addc_u32 s5, s25, s5
	v_add_co_u32 v1, vcc_lo, s26, v1
	v_add_co_ci_u32_e32 v2, vcc_lo, s25, v2, vcc_lo
	s_delay_alu instid0(VALU_DEP_3) | instskip(NEXT) | instid1(VALU_DEP_4)
	v_add_co_u32 v3, vcc_lo, s26, v3
	v_add_co_ci_u32_e32 v4, vcc_lo, s25, v4, vcc_lo
	s_clause 0x1
	global_load_b32 v5, v[1:2], off
	global_load_b32 v7, v[3:4], off
	s_or_b32 s6, s12, 32
	v_lshlrev_b32_e32 v1, 4, v0
	s_ashr_i32 s7, s6, 4
	s_cmp_lt_i32 s6, s24
	s_cselect_b32 s6, s7, s3
	s_delay_alu instid0(VALU_DEP_1) | instskip(SKIP_1) | instid1(SALU_CYCLE_1)
	v_and_b32_e32 v1, 0xf0, v1
	s_ashr_i32 s7, s6, 31
	s_lshl_b64 s[6:7], s[6:7], 2
	s_delay_alu instid0(SALU_CYCLE_1)
	s_add_u32 s6, s26, s6
	s_addc_u32 s7, s25, s7
	s_or_b32 s8, s12, 64
	v_add_co_u32 v1, s13, s13, v1
	s_ashr_i32 s9, s8, 4
	s_cmp_lt_i32 s8, s24
	v_add_co_ci_u32_e64 v2, null, s15, 0, s13
	s_cselect_b32 s8, s9, s3
	s_delay_alu instid0(SALU_CYCLE_1) | instskip(NEXT) | instid1(SALU_CYCLE_1)
	s_ashr_i32 s9, s8, 31
	s_lshl_b64 s[8:9], s[8:9], 2
	s_delay_alu instid0(SALU_CYCLE_1) | instskip(SKIP_2) | instid1(SALU_CYCLE_1)
	s_add_u32 s8, s26, s8
	s_addc_u32 s9, s25, s9
	s_or_b32 s10, s12, 0x60
	s_ashr_i32 s11, s10, 4
	s_cmp_lt_i32 s10, s24
	s_cselect_b32 s10, s11, s3
	s_delay_alu instid0(SALU_CYCLE_1) | instskip(NEXT) | instid1(SALU_CYCLE_1)
	s_ashr_i32 s11, s10, 31
	s_lshl_b64 s[10:11], s[10:11], 2
	s_delay_alu instid0(SALU_CYCLE_1) | instskip(SKIP_2) | instid1(SALU_CYCLE_1)
	s_add_u32 s10, s26, s10
	s_addc_u32 s11, s25, s11
	s_or_b32 s16, s12, 0x80
	s_ashr_i32 s18, s16, 4
	s_cmp_lt_i32 s16, s24
	s_cselect_b32 s20, s18, s3
	s_delay_alu instid0(SALU_CYCLE_1) | instskip(NEXT) | instid1(SALU_CYCLE_1)
	s_ashr_i32 s21, s20, 31
	s_lshl_b64 s[20:21], s[20:21], 2
	s_delay_alu instid0(SALU_CYCLE_1) | instskip(SKIP_2) | instid1(SALU_CYCLE_1)
	s_add_u32 s34, s26, s20
	s_addc_u32 s35, s25, s21
	s_or_b32 s16, s12, 0xa0
	s_ashr_i32 s18, s16, 4
	s_cmp_lt_i32 s16, s24
	s_cselect_b32 s20, s18, s3
	s_delay_alu instid0(SALU_CYCLE_1) | instskip(NEXT) | instid1(SALU_CYCLE_1)
	s_ashr_i32 s21, s20, 31
	s_lshl_b64 s[20:21], s[20:21], 2
	s_delay_alu instid0(SALU_CYCLE_1)
	s_add_u32 s36, s26, s20
	s_addc_u32 s37, s25, s21
	s_clause 0x5
	s_load_b32 s21, s[4:5], 0x0
	s_load_b32 s13, s[6:7], 0x0
	;; [unrolled: 1-line block ×6, first 2 shown]
	s_or_b32 s6, s12, 0xc0
	s_mov_b32 s4, 0
	s_ashr_i32 s7, s6, 4
	s_cmp_lt_i32 s6, s24
	s_mov_b32 s5, s4
	s_cselect_b32 s10, s7, s3
	s_mov_b32 s6, s4
	s_ashr_i32 s11, s10, 31
	s_mov_b32 s7, s4
	s_lshl_b64 s[10:11], s[10:11], 2
	s_mov_b32 s8, s4
	s_add_u32 s34, s26, s10
	s_addc_u32 s35, s25, s11
	s_or_b32 s11, s12, 0xe0
	s_mov_b32 s9, s4
	s_ashr_i32 s29, s11, 4
	s_cmp_lt_i32 s11, s24
	s_mov_b32 s11, s4
	s_cselect_b32 s36, s29, s3
	s_mov_b32 s10, s4
	s_ashr_i32 s37, s36, 31
	v_mov_b32_e32 v108, s11
	v_mov_b32_e32 v102, s5
	v_dual_mov_b32 v105, s8 :: v_dual_lshlrev_b32 v76, 6, v66
	v_dual_mov_b32 v107, s10 :: v_dual_mov_b32 v106, s9
	v_dual_mov_b32 v104, s7 :: v_dual_mov_b32 v103, s6
	v_mov_b32_e32 v101, s4
	s_lshl_b64 s[4:5], s[36:37], 2
	s_delay_alu instid0(SALU_CYCLE_1)
	s_add_u32 s4, s26, s4
	s_addc_u32 s5, s25, s5
	s_add_u32 s6, s22, s27
	s_addc_u32 s7, s23, s28
	s_waitcnt vmcnt(1)
	v_mad_i64_i32 v[3:4], null, v5, s17, v[1:2]
	s_waitcnt vmcnt(0)
	v_mad_i64_i32 v[5:6], null, v7, s17, v[1:2]
	v_lshlrev_b32_e32 v1, 4, v66
	s_clause 0x7
	global_load_b128 v[49:52], v[3:4], off
	global_load_b128 v[53:56], v[3:4], off offset:256
	global_load_b128 v[77:80], v[5:6], off
	global_load_b128 v[81:84], v[5:6], off offset:256
	global_load_b128 v[85:88], v[3:4], off offset:512
	;; [unrolled: 1-line block ×5, first 2 shown]
	v_lshl_or_b32 v1, v65, 8, v1
	s_load_b32 s3, s[34:35], 0x0
	ds_load_b128 v[109:112], v76
	ds_load_b128 v[113:116], v76 offset:1024
	s_load_b32 s4, s[4:5], 0x0
	v_add_co_u32 v9, s6, s6, v1
	s_delay_alu instid0(VALU_DEP_1) | instskip(SKIP_1) | instid1(VALU_DEP_1)
	v_add_co_ci_u32_e64 v10, null, s7, 0, s6
	s_waitcnt lgkmcnt(0)
	v_mad_i64_i32 v[1:2], null, s21, s17, v[9:10]
	v_mad_i64_i32 v[3:4], null, s13, s17, v[9:10]
	;; [unrolled: 1-line block ×7, first 2 shown]
	s_clause 0x9
	global_load_b128 v[57:60], v[1:2], off
	global_load_b128 v[61:64], v[1:2], off offset:16
	global_load_b128 v[41:44], v[3:4], off
	global_load_b128 v[45:48], v[3:4], off offset:16
	;; [unrolled: 2-line block ×5, first 2 shown]
	v_mad_i64_i32 v[68:69], null, s4, s17, v[9:10]
	s_clause 0x3
	global_load_b128 v[9:12], v[13:14], off
	global_load_b128 v[13:16], v[13:14], off offset:16
	global_load_b128 v[17:20], v[21:22], off
	global_load_b128 v[21:24], v[21:22], off offset:16
	s_waitcnt vmcnt(20)
	v_wmma_f32_16x16x16_bf16 v[117:124], v[49:56], v[109:116], v[101:108]
	s_clause 0x1
	global_load_b128 v[49:52], v[68:69], off
	global_load_b128 v[53:56], v[68:69], off offset:16
	v_and_b32_e32 v68, 0xe0, v0
	v_mbcnt_lo_u32_b32 v69, -1, 0
	s_delay_alu instid0(VALU_DEP_2)
	v_add_nc_u32_e32 v68, s12, v68
	s_waitcnt vmcnt(20)
	v_wmma_f32_16x16x16_bf16 v[101:108], v[77:84], v[109:116], v[101:108]
	ds_load_b128 v[77:80], v76 offset:2048
	ds_load_b128 v[81:84], v76 offset:3072
	v_xor_b32_e32 v70, 16, v69
	s_waitcnt vmcnt(0) lgkmcnt(0)
	v_or_b32_e32 v68, v68, v74
	s_barrier
	buffer_gl0_inv
	v_cmp_gt_i32_e32 vcc_lo, 32, v70
	v_or_b32_e32 v71, 4, v68
	v_or_b32_e32 v72, 6, v68
	v_cmp_gt_i32_e64 s3, s24, v68
	v_or_b32_e32 v109, 8, v68
	s_delay_alu instid0(VALU_DEP_4) | instskip(NEXT) | instid1(VALU_DEP_4)
	v_cmp_gt_i32_e64 s4, s24, v71
	v_cmp_gt_i32_e64 s5, s24, v72
	s_delay_alu instid0(VALU_DEP_3)
	v_cmp_gt_i32_e64 s6, s24, v109
	v_wmma_f32_16x16x16_bf16 v[117:124], v[85:92], v[77:84], v[117:124]
	v_cndmask_b32_e32 v69, v69, v70, vcc_lo
	v_or_b32_e32 v70, 2, v68
	v_wmma_f32_16x16x16_bf16 v[101:108], v[93:100], v[77:84], v[101:108]
	v_or_b32_e32 v85, 10, v68
	v_dual_mul_f32 v84, s19, v120 :: v_dual_mul_f32 v83, s19, v121
	v_dual_mul_f32 v94, s19, v118 :: v_dual_mul_f32 v95, s19, v117
	s_delay_alu instid0(VALU_DEP_4) | instskip(SKIP_2) | instid1(VALU_DEP_4)
	v_mul_f32_e32 v98, s19, v106
	v_cmp_gt_i32_e32 vcc_lo, s24, v70
	v_dual_mul_f32 v93, s19, v119 :: v_dual_mul_f32 v96, s19, v108
	v_cndmask_b32_e64 v95, 0xff7fffff, v95, s3
	v_or_b32_e32 v86, 12, v68
	v_cndmask_b32_e32 v94, 0xff7fffff, v94, vcc_lo
	v_or_b32_e32 v87, 14, v68
	v_dual_mul_f32 v81, s19, v123 :: v_dual_mul_f32 v82, s19, v122
	v_cndmask_b32_e64 v93, 0xff7fffff, v93, s4
	v_cndmask_b32_e64 v72, 0xff7fffff, v84, s5
	v_max3_f32 v84, v95, 0xff7fffff, v94
	v_cmp_gt_i32_e64 s7, s24, v85
	v_or_b32_e32 v88, 16, v68
	v_or_b32_e32 v89, 18, v68
	v_mul_f32_e32 v80, s19, v124
	v_cndmask_b32_e64 v83, 0xff7fffff, v83, s6
	v_cndmask_b32_e64 v82, 0xff7fffff, v82, s7
	v_max3_f32 v72, v84, v93, v72
	v_cmp_gt_i32_e64 s8, s24, v86
	v_cmp_gt_i32_e64 s9, s24, v87
	v_or_b32_e32 v90, 20, v68
	v_or_b32_e32 v91, 22, v68
	;; [unrolled: 1-line block ×6, first 2 shown]
	v_dual_mul_f32 v68, s19, v102 :: v_dual_mul_f32 v71, s19, v101
	v_cndmask_b32_e64 v81, 0xff7fffff, v81, s8
	v_cndmask_b32_e64 v80, 0xff7fffff, v80, s9
	v_max3_f32 v72, v72, v83, v82
	v_cmp_gt_i32_e64 s10, s24, v88
	v_cmp_gt_i32_e64 s11, s24, v89
	v_dual_mul_f32 v97, s19, v107 :: v_dual_mul_f32 v100, s19, v104
	v_dual_mul_f32 v99, s19, v105 :: v_dual_mul_f32 v70, s19, v103
	s_delay_alu instid0(VALU_DEP_4) | instskip(NEXT) | instid1(VALU_DEP_4)
	v_cndmask_b32_e64 v71, 0xff7fffff, v71, s10
	v_cndmask_b32_e64 v68, 0xff7fffff, v68, s11
	v_max3_f32 v72, v72, v81, v80
	v_cmp_gt_i32_e64 s12, s24, v90
	v_cmp_gt_i32_e64 s13, s24, v91
	;; [unrolled: 1-line block ×4, first 2 shown]
	v_max3_f32 v68, v72, v71, v68
	v_cndmask_b32_e64 v70, 0xff7fffff, v70, s12
	v_cndmask_b32_e64 v80, 0xff7fffff, v100, s13
	;; [unrolled: 1-line block ×4, first 2 shown]
	v_cmp_gt_i32_e64 s17, s24, v78
	v_cmp_gt_i32_e64 s18, s24, v79
	v_max3_f32 v68, v68, v70, v80
	v_lshlrev_b32_e32 v90, 2, v69
	s_delay_alu instid0(VALU_DEP_4) | instskip(NEXT) | instid1(VALU_DEP_4)
	v_cndmask_b32_e64 v70, 0xff7fffff, v97, s17
	v_cndmask_b32_e64 v77, 0xff7fffff, v96, s18
	s_delay_alu instid0(VALU_DEP_4) | instskip(NEXT) | instid1(VALU_DEP_1)
	v_max3_f32 v68, v68, v71, v72
	v_max3_f32 v68, v68, v70, v77
	ds_bpermute_b32 v69, v90, v68
	s_waitcnt lgkmcnt(0)
	v_max_f32_e32 v69, v69, v69
	s_delay_alu instid0(VALU_DEP_1) | instskip(NEXT) | instid1(VALU_DEP_1)
	v_max_f32_e32 v81, v68, v69
	v_fma_f32 v68, s19, v117, -v81
	s_delay_alu instid0(VALU_DEP_1)
	v_mul_f32_e32 v68, 0x3fb8aa3b, v68
	v_fma_f32 v69, s19, v118, -v81
	v_fma_f32 v71, s19, v120, -v81
	;; [unrolled: 1-line block ×4, first 2 shown]
	v_exp_f32_e32 v68, v68
	v_mul_f32_e32 v69, 0x3fb8aa3b, v69
	s_delay_alu instid0(VALU_DEP_3) | instskip(NEXT) | instid1(VALU_DEP_3)
	v_dual_mul_f32 v71, 0x3fb8aa3b, v71 :: v_dual_mul_f32 v72, 0x3fb8aa3b, v72
	v_mul_f32_e32 v70, 0x3fb8aa3b, v70
	v_fma_f32 v78, s19, v123, -v81
	s_delay_alu instid0(VALU_DEP_4) | instskip(NEXT) | instid1(VALU_DEP_3)
	v_exp_f32_e32 v69, v69
	v_exp_f32_e32 v71, v71
	;; [unrolled: 1-line block ×4, first 2 shown]
	v_cndmask_b32_e64 v82, 0, v68, s3
	v_fma_f32 v68, s19, v122, -v81
	v_mul_f32_e32 v78, 0x3fb8aa3b, v78
	v_fma_f32 v80, s19, v106, -v81
	s_mov_b32 s3, exec_lo
	s_delay_alu instid0(VALU_DEP_3) | instskip(NEXT) | instid1(TRANS32_DEP_2)
	v_dual_cndmask_b32 v77, 0, v69 :: v_dual_mul_f32 v68, 0x3fb8aa3b, v68
	v_cndmask_b32_e64 v86, 0, v72, s6
	v_fma_f32 v72, s19, v102, -v81
	v_add_f32_e32 v69, 0, v82
	v_cndmask_b32_e64 v83, 0, v70, s4
	v_exp_f32_e32 v68, v68
	v_fma_f32 v70, s19, v124, -v81
	s_delay_alu instid0(VALU_DEP_3) | instskip(SKIP_2) | instid1(VALU_DEP_4)
	v_dual_mul_f32 v72, 0x3fb8aa3b, v72 :: v_dual_add_f32 v69, v69, v77
	v_cndmask_b32_e64 v85, 0, v71, s5
	v_fma_f32 v71, s19, v101, -v81
	v_mul_f32_e32 v70, 0x3fb8aa3b, v70
	v_exp_f32_e32 v78, v78
	v_add_f32_e32 v69, v69, v83
	v_exp_f32_e32 v72, v72
	s_delay_alu instid0(TRANS32_DEP_3) | instskip(SKIP_1) | instid1(VALU_DEP_2)
	v_cndmask_b32_e64 v87, 0, v68, s7
	v_exp_f32_e32 v70, v70
	v_add_f32_e32 v69, v69, v85
	v_mul_f32_e32 v71, 0x3fb8aa3b, v71
	s_delay_alu instid0(TRANS32_DEP_3) | instskip(NEXT) | instid1(VALU_DEP_3)
	v_cndmask_b32_e64 v84, 0, v78, s8
	v_add_f32_e32 v68, v69, v86
	v_fma_f32 v69, s19, v103, -v81
	s_delay_alu instid0(VALU_DEP_4) | instskip(SKIP_1) | instid1(TRANS32_DEP_2)
	v_exp_f32_e32 v71, v71
	v_fma_f32 v78, s19, v104, -v81
	v_cndmask_b32_e64 v88, 0, v70, s9
	s_delay_alu instid0(VALU_DEP_3) | instskip(SKIP_1) | instid1(VALU_DEP_2)
	v_dual_add_f32 v68, v68, v87 :: v_dual_mul_f32 v69, 0x3fb8aa3b, v69
	v_fma_f32 v70, s19, v105, -v81
	v_add_f32_e32 v68, v68, v84
	v_mul_f32_e32 v78, 0x3fb8aa3b, v78
	s_delay_alu instid0(VALU_DEP_4) | instskip(NEXT) | instid1(TRANS32_DEP_2)
	v_exp_f32_e32 v79, v69
	v_cndmask_b32_e64 v69, 0, v71, s10
	s_delay_alu instid0(VALU_DEP_3) | instskip(NEXT) | instid1(VALU_DEP_3)
	v_dual_add_f32 v71, v68, v88 :: v_dual_mul_f32 v70, 0x3fb8aa3b, v70
	v_exp_f32_e32 v78, v78
	v_cndmask_b32_e64 v68, 0, v72, s11
	v_fma_f32 v72, s19, v107, -v81
	s_delay_alu instid0(VALU_DEP_3) | instskip(SKIP_1) | instid1(TRANS32_DEP_3)
	v_add_f32_e32 v71, v71, v69
	v_exp_f32_e32 v89, v70
	v_cndmask_b32_e64 v70, 0, v79, s12
	s_delay_alu instid0(VALU_DEP_2) | instskip(NEXT) | instid1(TRANS32_DEP_2)
	v_add_f32_e32 v79, v71, v68
	v_cndmask_b32_e64 v71, 0, v78, s13
	s_delay_alu instid0(VALU_DEP_2) | instskip(SKIP_2) | instid1(VALU_DEP_1)
	v_add_f32_e32 v78, v79, v70
	v_mul_f32_e32 v80, 0x3fb8aa3b, v80
	v_fma_f32 v79, s19, v108, -v81
	v_dual_mul_f32 v72, 0x3fb8aa3b, v72 :: v_dual_mul_f32 v79, 0x3fb8aa3b, v79
	s_delay_alu instid0(VALU_DEP_1) | instskip(NEXT) | instid1(TRANS32_DEP_2)
	v_exp_f32_e32 v91, v72
	v_cndmask_b32_e64 v72, 0, v89, s15
	v_add_f32_e32 v89, v78, v71
	v_exp_f32_e32 v80, v80
	s_waitcnt_depctr 0xfff
	v_cndmask_b32_e64 v78, 0, v80, s16
	v_add_f32_e32 v80, v89, v72
	v_exp_f32_e32 v89, v79
	v_cndmask_b32_e64 v79, 0, v91, s17
	s_delay_alu instid0(VALU_DEP_2) | instskip(NEXT) | instid1(VALU_DEP_1)
	v_add_f32_e32 v80, v80, v78
	v_add_f32_e32 v91, v80, v79
	s_waitcnt_depctr 0xfff
	v_cndmask_b32_e64 v80, 0, v89, s18
	s_delay_alu instid0(VALU_DEP_1)
	v_add_f32_e32 v89, v91, v80
	ds_bpermute_b32 v90, v90, v89
	v_cmpx_gt_u32_e32 16, v67
	s_cbranch_execz .LBB1361_12
; %bb.11:
	v_mul_u32_u24_e32 v67, 0x44, v65
	s_waitcnt lgkmcnt(0)
	v_add_f32_e32 v89, v89, v90
	s_delay_alu instid0(VALU_DEP_2) | instskip(NEXT) | instid1(VALU_DEP_1)
	v_lshl_add_u32 v67, v66, 2, v67
	v_add_nc_u32_e32 v67, 0x4000, v67
	ds_store_2addr_b32 v67, v81, v89 offset1:136
.LBB1361_12:
	s_or_b32 exec_lo, exec_lo, s3
	v_lshlrev_b32_e32 v66, 2, v66
	s_waitcnt lgkmcnt(0)
	s_barrier
	buffer_gl0_inv
	v_cmp_eq_u32_e32 vcc_lo, 1, v65
	v_add_nc_u32_e32 v81, 0x4000, v66
	v_cmp_eq_u32_e64 s3, 2, v65
	v_cmp_eq_u32_e64 s5, 7, v65
	ds_load_2addr_b32 v[89:90], v81 offset1:17
	ds_load_2addr_b32 v[91:92], v81 offset0:34 offset1:51
	ds_load_2addr_b32 v[93:94], v81 offset0:68 offset1:85
	;; [unrolled: 1-line block ×4, first 2 shown]
	s_waitcnt lgkmcnt(4)
	v_max3_f32 v66, v89, 0xff7fffff, v90
	s_waitcnt lgkmcnt(3)
	s_delay_alu instid0(VALU_DEP_1) | instskip(SKIP_1) | instid1(VALU_DEP_1)
	v_max3_f32 v66, v66, v91, v92
	s_waitcnt lgkmcnt(2)
	v_max3_f32 v66, v66, v93, v94
	s_waitcnt lgkmcnt(1)
	s_delay_alu instid0(VALU_DEP_1) | instskip(NEXT) | instid1(VALU_DEP_1)
	v_max3_f32 v66, v66, v95, v96
	v_sub_f32_e32 v67, v89, v66
	v_sub_f32_e32 v91, v91, v66
	;; [unrolled: 1-line block ×3, first 2 shown]
	s_delay_alu instid0(VALU_DEP_3) | instskip(NEXT) | instid1(VALU_DEP_3)
	v_mul_f32_e32 v67, 0x3fb8aa3b, v67
	v_mul_f32_e32 v101, 0x3fb8aa3b, v91
	s_delay_alu instid0(VALU_DEP_3) | instskip(NEXT) | instid1(VALU_DEP_3)
	v_mul_f32_e32 v103, 0x3fb8aa3b, v93
	v_exp_f32_e32 v100, v67
	v_sub_f32_e32 v67, v92, v66
	v_sub_f32_e32 v99, v90, v66
	ds_load_2addr_b32 v[89:90], v81 offset0:170 offset1:187
	ds_load_2addr_b32 v[91:92], v81 offset0:204 offset1:221
	v_exp_f32_e32 v101, v101
	v_mul_f32_e32 v102, 0x3fb8aa3b, v67
	v_mul_f32_e32 v99, 0x3fb8aa3b, v99
	s_waitcnt lgkmcnt(2)
	v_fma_f32 v67, v100, v97, 0
	v_sub_f32_e32 v97, v94, v66
	s_delay_alu instid0(VALU_DEP_3)
	v_exp_f32_e32 v99, v99
	v_exp_f32_e32 v102, v102
	ds_load_2addr_b32 v[93:94], v81 offset0:238 offset1:255
	v_sub_f32_e32 v81, v95, v66
	v_mul_f32_e32 v95, 0x3fb8aa3b, v97
	v_exp_f32_e32 v97, v103
	s_waitcnt lgkmcnt(0)
	s_barrier
	v_mul_f32_e32 v81, 0x3fb8aa3b, v81
	v_exp_f32_e32 v95, v95
	v_fmac_f32_e32 v67, v99, v98
	buffer_gl0_inv
	v_exp_f32_e32 v81, v81
	v_fmac_f32_e32 v67, v101, v89
	v_sub_f32_e32 v89, v96, v66
	s_delay_alu instid0(VALU_DEP_2) | instskip(NEXT) | instid1(VALU_DEP_2)
	v_fmac_f32_e32 v67, v102, v90
	v_mul_f32_e32 v89, 0x3fb8aa3b, v89
	s_delay_alu instid0(VALU_DEP_2) | instskip(NEXT) | instid1(VALU_DEP_2)
	v_fmac_f32_e32 v67, v97, v91
	v_exp_f32_e32 v89, v89
	s_delay_alu instid0(VALU_DEP_1)
	v_fmac_f32_e32 v67, v95, v92
	s_delay_alu instid0(TRANS32_DEP_2) | instid1(VALU_DEP_1)
	v_fmac_f32_e32 v67, v81, v93
	s_waitcnt_depctr 0xfff
	v_fmac_f32_e32 v67, v89, v94
	s_delay_alu instid0(VALU_DEP_1) | instskip(NEXT) | instid1(VALU_DEP_1)
	v_add_f32_e32 v90, 0x358637bd, v67
	v_div_scale_f32 v91, null, v90, v90, 1.0
	v_div_scale_f32 v94, s4, 1.0, v90, 1.0
	s_delay_alu instid0(VALU_DEP_2) | instskip(SKIP_2) | instid1(VALU_DEP_1)
	v_rcp_f32_e32 v92, v91
	s_waitcnt_depctr 0xfff
	v_fma_f32 v93, -v91, v92, 1.0
	v_dual_fmac_f32 v92, v93, v92 :: v_dual_cndmask_b32 v93, v100, v99
	v_cmp_eq_u32_e32 vcc_lo, 3, v65
	s_delay_alu instid0(VALU_DEP_2) | instskip(NEXT) | instid1(VALU_DEP_3)
	v_mul_f32_e32 v96, v94, v92
	v_cndmask_b32_e64 v93, v93, v101, s3
	v_cmp_eq_u32_e64 s3, 4, v65
	s_delay_alu instid0(VALU_DEP_3) | instskip(NEXT) | instid1(VALU_DEP_3)
	v_fma_f32 v98, -v91, v96, v94
	v_cndmask_b32_e32 v93, v93, v102, vcc_lo
	v_cmp_eq_u32_e32 vcc_lo, 5, v65
	s_delay_alu instid0(VALU_DEP_3) | instskip(NEXT) | instid1(VALU_DEP_3)
	v_fmac_f32_e32 v96, v98, v92
	v_cndmask_b32_e64 v93, v93, v97, s3
	v_cmp_eq_u32_e64 s3, 6, v65
	s_delay_alu instid0(VALU_DEP_3) | instskip(NEXT) | instid1(VALU_DEP_3)
	v_fma_f32 v91, -v91, v96, v94
	v_cndmask_b32_e32 v93, v93, v95, vcc_lo
	s_mov_b32 vcc_lo, s4
	s_delay_alu instid0(VALU_DEP_2) | instskip(NEXT) | instid1(VALU_DEP_2)
	v_div_fmas_f32 v91, v91, v92, v96
	v_cndmask_b32_e64 v81, v93, v81, s3
	s_mov_b32 s3, exec_lo
	s_delay_alu instid0(VALU_DEP_2) | instskip(NEXT) | instid1(VALU_DEP_2)
	v_div_fixup_f32 v90, v91, v90, 1.0
	v_cndmask_b32_e64 v81, v81, v89, s5
	s_delay_alu instid0(VALU_DEP_1) | instskip(NEXT) | instid1(VALU_DEP_1)
	v_mul_f32_e32 v81, v81, v90
	v_mul_f32_e32 v90, v81, v82
	v_mul_f32_e32 v82, v81, v88
	v_mul_f32_e32 v84, v81, v84
	v_mul_f32_e32 v87, v81, v87
	v_mul_f32_e32 v88, v81, v86
	v_dual_mul_f32 v86, v81, v83 :: v_dual_and_b32 v91, 0x7f800000, v90
	v_mul_f32_e32 v89, v81, v85
	v_mul_f32_e32 v85, v81, v77
                                        ; implicit-def: $vgpr77
	s_delay_alu instid0(VALU_DEP_3)
	v_cmpx_ne_u32_e32 0x7f800000, v91
	s_xor_b32 s3, exec_lo, s3
; %bb.13:
	v_bfe_u32 v77, v90, 16, 1
	s_delay_alu instid0(VALU_DEP_1)
	v_add3_u32 v77, v90, v77, 0x7fff
                                        ; implicit-def: $vgpr90
; %bb.14:
	s_and_not1_saveexec_b32 s3, s3
; %bb.15:
	v_and_b32_e32 v77, 0xffff, v90
	v_or_b32_e32 v83, 0x10000, v90
	s_delay_alu instid0(VALU_DEP_2) | instskip(NEXT) | instid1(VALU_DEP_2)
	v_cmp_eq_u32_e32 vcc_lo, 0, v77
	v_cndmask_b32_e32 v77, v83, v90, vcc_lo
; %bb.16:
	s_or_b32 exec_lo, exec_lo, s3
	v_and_b32_e32 v83, 0x7f800000, v85
	s_delay_alu instid0(VALU_DEP_1) | instskip(SKIP_1) | instid1(SALU_CYCLE_1)
	v_cmp_ne_u32_e32 vcc_lo, 0x7f800000, v83
                                        ; implicit-def: $vgpr83
	s_and_saveexec_b32 s3, vcc_lo
	s_xor_b32 s3, exec_lo, s3
; %bb.17:
	v_bfe_u32 v83, v85, 16, 1
	s_delay_alu instid0(VALU_DEP_1)
	v_add3_u32 v83, v85, v83, 0x7fff
                                        ; implicit-def: $vgpr85
; %bb.18:
	s_and_not1_saveexec_b32 s3, s3
; %bb.19:
	v_and_b32_e32 v83, 0xffff, v85
	v_or_b32_e32 v90, 0x10000, v85
	s_delay_alu instid0(VALU_DEP_2) | instskip(NEXT) | instid1(VALU_DEP_2)
	v_cmp_eq_u32_e32 vcc_lo, 0, v83
	v_cndmask_b32_e32 v83, v90, v85, vcc_lo
; %bb.20:
	s_or_b32 exec_lo, exec_lo, s3
	v_and_b32_e32 v85, 0x7f800000, v86
	s_delay_alu instid0(VALU_DEP_1) | instskip(SKIP_1) | instid1(SALU_CYCLE_1)
	v_cmp_ne_u32_e32 vcc_lo, 0x7f800000, v85
                                        ; implicit-def: $vgpr85
	s_and_saveexec_b32 s3, vcc_lo
	s_xor_b32 s3, exec_lo, s3
; %bb.21:
	v_bfe_u32 v85, v86, 16, 1
	s_delay_alu instid0(VALU_DEP_1)
	v_add3_u32 v85, v86, v85, 0x7fff
                                        ; implicit-def: $vgpr86
; %bb.22:
	s_and_not1_saveexec_b32 s3, s3
; %bb.23:
	v_and_b32_e32 v85, 0xffff, v86
	v_or_b32_e32 v90, 0x10000, v86
	s_delay_alu instid0(VALU_DEP_2) | instskip(NEXT) | instid1(VALU_DEP_2)
	v_cmp_eq_u32_e32 vcc_lo, 0, v85
	v_cndmask_b32_e32 v85, v90, v86, vcc_lo
; %bb.24:
	s_or_b32 exec_lo, exec_lo, s3
	v_and_b32_e32 v86, 0x7f800000, v89
	s_delay_alu instid0(VALU_DEP_1) | instskip(SKIP_1) | instid1(SALU_CYCLE_1)
	v_cmp_ne_u32_e32 vcc_lo, 0x7f800000, v86
                                        ; implicit-def: $vgpr86
	s_and_saveexec_b32 s3, vcc_lo
	s_xor_b32 s3, exec_lo, s3
; %bb.25:
	v_bfe_u32 v86, v89, 16, 1
	s_delay_alu instid0(VALU_DEP_1)
	v_add3_u32 v86, v89, v86, 0x7fff
                                        ; implicit-def: $vgpr89
; %bb.26:
	s_and_not1_saveexec_b32 s3, s3
; %bb.27:
	v_and_b32_e32 v86, 0xffff, v89
	v_or_b32_e32 v90, 0x10000, v89
	s_delay_alu instid0(VALU_DEP_2) | instskip(NEXT) | instid1(VALU_DEP_2)
	v_cmp_eq_u32_e32 vcc_lo, 0, v86
	v_cndmask_b32_e32 v86, v90, v89, vcc_lo
; %bb.28:
	s_or_b32 exec_lo, exec_lo, s3
	v_and_b32_e32 v89, 0x7f800000, v88
	s_delay_alu instid0(VALU_DEP_1) | instskip(SKIP_1) | instid1(SALU_CYCLE_1)
	v_cmp_ne_u32_e32 vcc_lo, 0x7f800000, v89
                                        ; implicit-def: $vgpr89
	s_and_saveexec_b32 s3, vcc_lo
	s_xor_b32 s3, exec_lo, s3
; %bb.29:
	v_bfe_u32 v89, v88, 16, 1
	s_delay_alu instid0(VALU_DEP_1)
	v_add3_u32 v89, v88, v89, 0x7fff
                                        ; implicit-def: $vgpr88
; %bb.30:
	s_and_not1_saveexec_b32 s3, s3
; %bb.31:
	v_and_b32_e32 v89, 0xffff, v88
	v_or_b32_e32 v90, 0x10000, v88
	s_delay_alu instid0(VALU_DEP_2) | instskip(NEXT) | instid1(VALU_DEP_2)
	v_cmp_eq_u32_e32 vcc_lo, 0, v89
	v_cndmask_b32_e32 v89, v90, v88, vcc_lo
; %bb.32:
	s_or_b32 exec_lo, exec_lo, s3
	v_and_b32_e32 v88, 0x7f800000, v87
	s_delay_alu instid0(VALU_DEP_1) | instskip(SKIP_1) | instid1(SALU_CYCLE_1)
	v_cmp_ne_u32_e32 vcc_lo, 0x7f800000, v88
                                        ; implicit-def: $vgpr88
	s_and_saveexec_b32 s3, vcc_lo
	s_xor_b32 s3, exec_lo, s3
; %bb.33:
	v_bfe_u32 v88, v87, 16, 1
	s_delay_alu instid0(VALU_DEP_1)
	v_add3_u32 v88, v87, v88, 0x7fff
                                        ; implicit-def: $vgpr87
; %bb.34:
	s_and_not1_saveexec_b32 s3, s3
; %bb.35:
	v_and_b32_e32 v88, 0xffff, v87
	v_or_b32_e32 v90, 0x10000, v87
	s_delay_alu instid0(VALU_DEP_2) | instskip(NEXT) | instid1(VALU_DEP_2)
	v_cmp_eq_u32_e32 vcc_lo, 0, v88
	v_cndmask_b32_e32 v88, v90, v87, vcc_lo
; %bb.36:
	s_or_b32 exec_lo, exec_lo, s3
	v_and_b32_e32 v87, 0x7f800000, v84
	s_delay_alu instid0(VALU_DEP_1) | instskip(SKIP_1) | instid1(SALU_CYCLE_1)
	v_cmp_ne_u32_e32 vcc_lo, 0x7f800000, v87
                                        ; implicit-def: $vgpr87
	s_and_saveexec_b32 s3, vcc_lo
	s_xor_b32 s3, exec_lo, s3
; %bb.37:
	v_bfe_u32 v87, v84, 16, 1
	s_delay_alu instid0(VALU_DEP_1)
	v_add3_u32 v87, v84, v87, 0x7fff
                                        ; implicit-def: $vgpr84
; %bb.38:
	s_and_not1_saveexec_b32 s3, s3
; %bb.39:
	v_and_b32_e32 v87, 0xffff, v84
	v_or_b32_e32 v90, 0x10000, v84
	s_delay_alu instid0(VALU_DEP_2) | instskip(NEXT) | instid1(VALU_DEP_2)
	v_cmp_eq_u32_e32 vcc_lo, 0, v87
	v_cndmask_b32_e32 v87, v90, v84, vcc_lo
; %bb.40:
	s_or_b32 exec_lo, exec_lo, s3
	v_and_b32_e32 v84, 0x7f800000, v82
	s_delay_alu instid0(VALU_DEP_1) | instskip(SKIP_1) | instid1(SALU_CYCLE_1)
	v_cmp_ne_u32_e32 vcc_lo, 0x7f800000, v84
                                        ; implicit-def: $vgpr84
	s_and_saveexec_b32 s3, vcc_lo
	s_xor_b32 s3, exec_lo, s3
; %bb.41:
	v_bfe_u32 v84, v82, 16, 1
	s_delay_alu instid0(VALU_DEP_1)
	v_add3_u32 v84, v82, v84, 0x7fff
                                        ; implicit-def: $vgpr82
; %bb.42:
	s_and_not1_saveexec_b32 s3, s3
; %bb.43:
	v_and_b32_e32 v84, 0xffff, v82
	v_or_b32_e32 v90, 0x10000, v82
	s_delay_alu instid0(VALU_DEP_2) | instskip(NEXT) | instid1(VALU_DEP_2)
	v_cmp_eq_u32_e32 vcc_lo, 0, v84
	v_cndmask_b32_e32 v84, v90, v82, vcc_lo
; %bb.44:
	s_or_b32 exec_lo, exec_lo, s3
	s_load_b64 s[34:35], s[0:1], 0x94
	v_lshlrev_b32_e32 v82, 4, v74
	s_delay_alu instid0(VALU_DEP_2)
	v_perm_b32 v90, v84, v87, 0x7060302
	v_lshlrev_b32_e32 v84, 11, v65
	v_perm_b32 v87, v83, v77, 0x7060302
	v_mul_f32_e32 v83, v81, v69
	v_mul_f32_e32 v69, v81, v80
	v_perm_b32 v89, v88, v89, 0x7060302
	v_perm_b32 v88, v86, v85, 0x7060302
	v_or3_b32 v77, v82, v84, v76
	v_mul_f32_e32 v79, v81, v79
	v_mul_f32_e32 v78, v81, v78
	v_and_b32_e32 v84, 0x7f800000, v83
	v_mul_f32_e32 v72, v81, v72
	v_mul_f32_e32 v82, v81, v71
	;; [unrolled: 1-line block ×4, first 2 shown]
	s_mov_b32 s3, exec_lo
	ds_store_b128 v77, v[87:90]
                                        ; implicit-def: $vgpr68
	v_cmpx_ne_u32_e32 0x7f800000, v84
	s_xor_b32 s3, exec_lo, s3
; %bb.45:
	v_bfe_u32 v68, v83, 16, 1
	s_delay_alu instid0(VALU_DEP_1)
	v_add3_u32 v68, v83, v68, 0x7fff
                                        ; implicit-def: $vgpr83
; %bb.46:
	s_and_not1_saveexec_b32 s3, s3
; %bb.47:
	v_and_b32_e32 v68, 0xffff, v83
	v_or_b32_e32 v70, 0x10000, v83
	s_delay_alu instid0(VALU_DEP_2) | instskip(NEXT) | instid1(VALU_DEP_2)
	v_cmp_eq_u32_e32 vcc_lo, 0, v68
	v_cndmask_b32_e32 v68, v70, v83, vcc_lo
; %bb.48:
	s_or_b32 exec_lo, exec_lo, s3
	v_and_b32_e32 v70, 0x7f800000, v71
	s_delay_alu instid0(VALU_DEP_1) | instskip(SKIP_1) | instid1(SALU_CYCLE_1)
	v_cmp_ne_u32_e32 vcc_lo, 0x7f800000, v70
                                        ; implicit-def: $vgpr70
	s_and_saveexec_b32 s3, vcc_lo
	s_xor_b32 s3, exec_lo, s3
; %bb.49:
	v_bfe_u32 v70, v71, 16, 1
	s_delay_alu instid0(VALU_DEP_1)
	v_add3_u32 v70, v71, v70, 0x7fff
                                        ; implicit-def: $vgpr71
; %bb.50:
	s_and_not1_saveexec_b32 s3, s3
; %bb.51:
	v_and_b32_e32 v70, 0xffff, v71
	v_or_b32_e32 v81, 0x10000, v71
	s_delay_alu instid0(VALU_DEP_2) | instskip(NEXT) | instid1(VALU_DEP_2)
	v_cmp_eq_u32_e32 vcc_lo, 0, v70
	v_cndmask_b32_e32 v70, v81, v71, vcc_lo
; %bb.52:
	s_or_b32 exec_lo, exec_lo, s3
	v_and_b32_e32 v71, 0x7f800000, v80
	s_delay_alu instid0(VALU_DEP_1) | instskip(SKIP_1) | instid1(SALU_CYCLE_1)
	v_cmp_ne_u32_e32 vcc_lo, 0x7f800000, v71
                                        ; implicit-def: $vgpr71
	s_and_saveexec_b32 s3, vcc_lo
	s_xor_b32 s3, exec_lo, s3
; %bb.53:
	v_bfe_u32 v71, v80, 16, 1
	s_delay_alu instid0(VALU_DEP_1)
	v_add3_u32 v71, v80, v71, 0x7fff
                                        ; implicit-def: $vgpr80
; %bb.54:
	s_and_not1_saveexec_b32 s3, s3
; %bb.55:
	v_and_b32_e32 v71, 0xffff, v80
	v_or_b32_e32 v81, 0x10000, v80
	s_delay_alu instid0(VALU_DEP_2) | instskip(NEXT) | instid1(VALU_DEP_2)
	v_cmp_eq_u32_e32 vcc_lo, 0, v71
	v_cndmask_b32_e32 v71, v81, v80, vcc_lo
; %bb.56:
	s_or_b32 exec_lo, exec_lo, s3
	v_and_b32_e32 v80, 0x7f800000, v82
	s_delay_alu instid0(VALU_DEP_1) | instskip(SKIP_1) | instid1(SALU_CYCLE_1)
	v_cmp_ne_u32_e32 vcc_lo, 0x7f800000, v80
                                        ; implicit-def: $vgpr80
	s_and_saveexec_b32 s3, vcc_lo
	s_xor_b32 s3, exec_lo, s3
; %bb.57:
	v_bfe_u32 v80, v82, 16, 1
	s_delay_alu instid0(VALU_DEP_1)
	v_add3_u32 v80, v82, v80, 0x7fff
                                        ; implicit-def: $vgpr82
; %bb.58:
	s_and_not1_saveexec_b32 s3, s3
; %bb.59:
	v_and_b32_e32 v80, 0xffff, v82
	v_or_b32_e32 v81, 0x10000, v82
	s_delay_alu instid0(VALU_DEP_2) | instskip(NEXT) | instid1(VALU_DEP_2)
	v_cmp_eq_u32_e32 vcc_lo, 0, v80
	v_cndmask_b32_e32 v80, v81, v82, vcc_lo
; %bb.60:
	s_or_b32 exec_lo, exec_lo, s3
	v_and_b32_e32 v81, 0x7f800000, v72
	s_delay_alu instid0(VALU_DEP_1) | instskip(SKIP_1) | instid1(SALU_CYCLE_1)
	v_cmp_ne_u32_e32 vcc_lo, 0x7f800000, v81
                                        ; implicit-def: $vgpr81
	s_and_saveexec_b32 s3, vcc_lo
	s_xor_b32 s3, exec_lo, s3
; %bb.61:
	v_bfe_u32 v81, v72, 16, 1
	s_delay_alu instid0(VALU_DEP_1)
	v_add3_u32 v81, v72, v81, 0x7fff
                                        ; implicit-def: $vgpr72
; %bb.62:
	s_and_not1_saveexec_b32 s3, s3
; %bb.63:
	v_and_b32_e32 v81, 0xffff, v72
	v_or_b32_e32 v82, 0x10000, v72
	s_delay_alu instid0(VALU_DEP_2) | instskip(NEXT) | instid1(VALU_DEP_2)
	v_cmp_eq_u32_e32 vcc_lo, 0, v81
	v_cndmask_b32_e32 v81, v82, v72, vcc_lo
; %bb.64:
	s_or_b32 exec_lo, exec_lo, s3
	v_and_b32_e32 v72, 0x7f800000, v78
	s_delay_alu instid0(VALU_DEP_1) | instskip(SKIP_1) | instid1(SALU_CYCLE_1)
	v_cmp_ne_u32_e32 vcc_lo, 0x7f800000, v72
                                        ; implicit-def: $vgpr72
	s_and_saveexec_b32 s3, vcc_lo
	s_xor_b32 s3, exec_lo, s3
; %bb.65:
	v_bfe_u32 v72, v78, 16, 1
	s_delay_alu instid0(VALU_DEP_1)
	v_add3_u32 v72, v78, v72, 0x7fff
                                        ; implicit-def: $vgpr78
; %bb.66:
	s_and_not1_saveexec_b32 s3, s3
; %bb.67:
	v_and_b32_e32 v72, 0xffff, v78
	v_or_b32_e32 v82, 0x10000, v78
	s_delay_alu instid0(VALU_DEP_2) | instskip(NEXT) | instid1(VALU_DEP_2)
	v_cmp_eq_u32_e32 vcc_lo, 0, v72
	v_cndmask_b32_e32 v72, v82, v78, vcc_lo
; %bb.68:
	s_or_b32 exec_lo, exec_lo, s3
	v_and_b32_e32 v78, 0x7f800000, v79
	s_delay_alu instid0(VALU_DEP_1) | instskip(SKIP_1) | instid1(SALU_CYCLE_1)
	v_cmp_ne_u32_e32 vcc_lo, 0x7f800000, v78
                                        ; implicit-def: $vgpr78
	s_and_saveexec_b32 s3, vcc_lo
	s_xor_b32 s3, exec_lo, s3
; %bb.69:
	v_bfe_u32 v78, v79, 16, 1
	s_delay_alu instid0(VALU_DEP_1)
	v_add3_u32 v78, v79, v78, 0x7fff
                                        ; implicit-def: $vgpr79
; %bb.70:
	s_and_not1_saveexec_b32 s3, s3
; %bb.71:
	v_and_b32_e32 v78, 0xffff, v79
	v_or_b32_e32 v82, 0x10000, v79
	s_delay_alu instid0(VALU_DEP_2) | instskip(NEXT) | instid1(VALU_DEP_2)
	v_cmp_eq_u32_e32 vcc_lo, 0, v78
	v_cndmask_b32_e32 v78, v82, v79, vcc_lo
; %bb.72:
	s_or_b32 exec_lo, exec_lo, s3
	v_and_b32_e32 v79, 0x7f800000, v69
	s_delay_alu instid0(VALU_DEP_1) | instskip(SKIP_1) | instid1(SALU_CYCLE_1)
	v_cmp_ne_u32_e32 vcc_lo, 0x7f800000, v79
                                        ; implicit-def: $vgpr79
	s_and_saveexec_b32 s3, vcc_lo
	s_xor_b32 s3, exec_lo, s3
; %bb.73:
	v_bfe_u32 v79, v69, 16, 1
	s_delay_alu instid0(VALU_DEP_1)
	v_add3_u32 v79, v69, v79, 0x7fff
                                        ; implicit-def: $vgpr69
; %bb.74:
	s_and_not1_saveexec_b32 s3, s3
; %bb.75:
	v_and_b32_e32 v79, 0xffff, v69
	v_or_b32_e32 v82, 0x10000, v69
	s_delay_alu instid0(VALU_DEP_2) | instskip(NEXT) | instid1(VALU_DEP_2)
	v_cmp_eq_u32_e32 vcc_lo, 0, v79
	v_cndmask_b32_e32 v79, v82, v69, vcc_lo
; %bb.76:
	s_or_b32 exec_lo, exec_lo, s3
	s_delay_alu instid0(VALU_DEP_1)
	v_perm_b32 v86, v79, v78, 0x7060302
	v_perm_b32 v85, v72, v81, 0x7060302
	;; [unrolled: 1-line block ×4, first 2 shown]
	v_lshl_or_b32 v82, v65, 11, v76
	v_lshlrev_b32_e32 v79, 2, v74
	ds_store_b128 v77, v[83:86] offset:1024
	s_waitcnt lgkmcnt(0)
	s_barrier
	buffer_gl0_inv
	ds_load_b128 v[68:71], v82
	ds_load_b128 v[83:86], v82 offset:16
	v_or_b32_e32 v80, 1, v79
	v_cmp_eq_u32_e32 vcc_lo, 1, v79
	v_cmp_eq_u32_e64 s4, 2, v79
	v_cmp_eq_u32_e64 s7, 3, v79
	v_cmp_eq_u32_e64 s9, 4, v79
	v_cmp_eq_u32_e64 s3, 1, v80
	v_cmp_eq_u32_e64 s6, 2, v80
	v_cmp_eq_u32_e64 s8, 3, v80
	v_or_b32_e32 v78, 2, v79
	v_cmp_eq_u32_e64 s10, 5, v79
	v_cmp_eq_u32_e64 s11, 4, v80
	;; [unrolled: 1-line block ×9, first 2 shown]
	s_waitcnt lgkmcnt(1)
	v_lshrrev_b32_e32 v65, 16, v68
	s_waitcnt lgkmcnt(0)
	v_lshrrev_b32_e32 v91, 16, v83
	v_lshrrev_b32_e32 v72, 16, v69
	;; [unrolled: 1-line block ×4, first 2 shown]
	v_cndmask_b32_e32 v81, v68, v65, vcc_lo
	v_cndmask_b32_e32 v87, v83, v91, vcc_lo
	v_cndmask_b32_e64 v88, v68, v65, s3
	v_lshrrev_b32_e32 v98, 16, v85
	v_cndmask_b32_e64 v89, v83, v91, s3
	v_cndmask_b32_e64 v81, v81, v69, s4
	v_cndmask_b32_e64 v87, v87, v84, s4
	v_cndmask_b32_e64 v88, v88, v69, s6
	v_lshrrev_b32_e32 v96, 16, v71
	v_cndmask_b32_e64 v89, v89, v84, s6
	v_cndmask_b32_e64 v81, v81, v72, s7
	v_cndmask_b32_e64 v87, v87, v97, s7
	;; [unrolled: 5-line block ×3, first 2 shown]
	v_cndmask_b32_e64 v88, v88, v70, s11
	v_cndmask_b32_e64 v89, v89, v97, s8
	v_cmp_eq_u32_e64 s19, 3, v78
	v_cndmask_b32_e64 v81, v81, v95, s10
	v_cndmask_b32_e64 v87, v87, v98, s10
	;; [unrolled: 1-line block ×4, first 2 shown]
	v_cmp_eq_u32_e64 s20, 4, v78
	v_cndmask_b32_e64 v81, v81, v71, s12
	v_cndmask_b32_e64 v87, v87, v86, s12
	;; [unrolled: 1-line block ×3, first 2 shown]
	v_cmp_eq_u32_e64 s22, 5, v78
	v_cmp_eq_u32_e64 s24, 6, v78
	v_cndmask_b32_e64 v100, v81, v96, s15
	v_cndmask_b32_e64 v101, v87, v99, s15
	;; [unrolled: 1-line block ×6, first 2 shown]
	v_cmp_eq_u32_e64 s27, 7, v78
	v_cndmask_b32_e64 v89, v81, v72, s19
	v_cndmask_b32_e64 v87, v87, v84, s17
	v_or_b32_e32 v81, 3, v79
	v_cndmask_b32_e64 v103, v88, v86, s16
	s_delay_alu instid0(VALU_DEP_4) | instskip(NEXT) | instid1(VALU_DEP_4)
	v_cndmask_b32_e64 v92, v89, v70, s20
	v_cndmask_b32_e64 v93, v87, v97, s19
	s_delay_alu instid0(VALU_DEP_4)
	v_cmp_eq_u32_e64 s21, 1, v81
	ds_load_b128 v[87:90], v82 offset:1024
	v_cmp_eq_u32_e64 s23, 2, v81
	v_cndmask_b32_e64 v104, v92, v95, s22
	v_cmp_eq_u32_e64 s25, 3, v81
	v_cndmask_b32_e64 v65, v68, v65, s21
	v_cndmask_b32_e64 v68, v93, v85, s20
	v_cndmask_b32_e64 v83, v83, v91, s21
	ds_load_b128 v[91:94], v82 offset:1040
	v_cmp_eq_u32_e64 s26, 4, v81
	v_cndmask_b32_e64 v65, v65, v69, s23
	v_cmp_eq_u32_e64 s28, 5, v81
	v_cndmask_b32_e64 v69, v83, v84, s23
	;; [unrolled: 2-line block ×3, first 2 shown]
	v_cndmask_b32_e64 v65, v65, v72, s25
	v_cndmask_b32_e64 v72, v104, v71, s24
	;; [unrolled: 1-line block ×6, first 2 shown]
	s_waitcnt lgkmcnt(1)
	v_lshrrev_b32_e32 v84, 16, v87
	v_cndmask_b32_e64 v69, v69, v85, s26
	v_cndmask_b32_e64 v70, v72, v96, s27
	;; [unrolled: 1-line block ×4, first 2 shown]
	v_cndmask_b32_e32 v72, v87, v84, vcc_lo
	v_cndmask_b32_e64 v69, v69, v98, s28
	s_waitcnt lgkmcnt(0)
	v_lshrrev_b32_e32 v85, 16, v91
	v_lshrrev_b32_e32 v95, 16, v88
	v_cndmask_b32_e64 v97, v87, v84, s3
	v_cndmask_b32_e64 v72, v72, v88, s4
	;; [unrolled: 1-line block ×3, first 2 shown]
	v_cndmask_b32_e32 v98, v91, v85, vcc_lo
	v_cmp_eq_u32_e32 vcc_lo, 7, v81
	v_cndmask_b32_e64 v69, v69, v86, s29
	v_cndmask_b32_e64 v71, v72, v95, s7
	;; [unrolled: 1-line block ×3, first 2 shown]
	v_lshrrev_b32_e32 v97, 16, v92
	v_cndmask_b32_e32 v65, v65, v96, vcc_lo
	v_cndmask_b32_e64 v86, v98, v92, s4
	v_cndmask_b32_e32 v69, v69, v99, vcc_lo
	v_lshrrev_b32_e32 v99, 16, v93
	v_cndmask_b32_e64 v71, v71, v89, s9
	v_lshrrev_b32_e32 v98, 16, v89
	v_cndmask_b32_e64 v86, v86, v97, s7
	v_perm_b32 v70, v68, v70, 0x5040100
	v_cndmask_b32_e64 v72, v72, v95, s8
	s_delay_alu instid0(VALU_DEP_4) | instskip(NEXT) | instid1(VALU_DEP_4)
	v_cndmask_b32_e64 v96, v71, v98, s10
	v_cndmask_b32_e64 v86, v86, v93, s9
	v_perm_b32 v71, v69, v65, 0x5040100
	v_perm_b32 v69, v83, v102, 0x5040100
	v_cndmask_b32_e64 v102, v91, v85, s5
	v_cndmask_b32_e64 v72, v72, v89, s11
	v_cndmask_b32_e64 v86, v86, v99, s10
	v_lshrrev_b32_e32 v83, 16, v94
	s_delay_alu instid0(VALU_DEP_3) | instskip(NEXT) | instid1(VALU_DEP_3)
	v_cndmask_b32_e64 v65, v72, v98, s13
	v_cndmask_b32_e64 v68, v86, v94, s12
	;; [unrolled: 1-line block ×27, first 2 shown]
	v_lshrrev_b32_e32 v96, 16, v90
	v_cndmask_b32_e64 v65, v65, v90, s16
	v_cndmask_b32_e64 v86, v86, v90, s24
	;; [unrolled: 1-line block ×9, first 2 shown]
	v_cndmask_b32_e32 v84, v84, v96, vcc_lo
	v_cndmask_b32_e32 v86, v87, v83, vcc_lo
	v_cndmask_b32_e64 v87, v88, v83, s27
	v_cndmask_b32_e64 v88, v85, v83, s18
	;; [unrolled: 1-line block ×3, first 2 shown]
	v_perm_b32 v68, v101, v100, 0x5040100
	v_perm_b32 v86, v86, v84, 0x5040100
	;; [unrolled: 1-line block ×5, first 2 shown]
	s_lshl_b32 s8, s35, 4
	s_mov_b32 s3, exec_lo
	ds_store_b128 v77, v[68:71]
	ds_store_b128 v77, v[83:86] offset:1024
	v_cmpx_gt_u32_e32 16, v0
	s_cbranch_execz .LBB1361_78
; %bb.77:
	v_or_b32_e32 v65, s31, v0
	s_load_b128 s[4:7], s[0:1], 0x58
	s_delay_alu instid0(VALU_DEP_1) | instskip(NEXT) | instid1(VALU_DEP_1)
	v_mad_u64_u32 v[68:69], null, s8, s30, v[65:66]
	v_mad_u64_u32 v[69:70], null, v68, s34, s[14:15]
	s_delay_alu instid0(VALU_DEP_1) | instskip(NEXT) | instid1(VALU_DEP_1)
	v_ashrrev_i32_e32 v70, 31, v69
	v_lshlrev_b64 v[68:69], 2, v[69:70]
	s_waitcnt lgkmcnt(0)
	s_delay_alu instid0(VALU_DEP_1) | instskip(NEXT) | instid1(VALU_DEP_2)
	v_add_co_u32 v70, vcc_lo, s6, v68
	v_add_co_ci_u32_e32 v71, vcc_lo, s7, v69, vcc_lo
	v_add_co_u32 v68, vcc_lo, s4, v68
	v_add_co_ci_u32_e32 v69, vcc_lo, s5, v69, vcc_lo
	global_store_b32 v[70:71], v66, off
	global_store_b32 v[68:69], v67, off
.LBB1361_78:
	s_or_b32 exec_lo, exec_lo, s3
	s_waitcnt lgkmcnt(0)
	s_waitcnt_vscnt null, 0x0
	s_barrier
	buffer_gl0_inv
	ds_load_b128 v[83:86], v76
	ds_load_b128 v[87:90], v76 offset:16
	ds_load_b128 v[95:98], v76 offset:2064
	ds_load_b128 v[91:94], v76 offset:2048
	v_mov_b32_e32 v65, 0
	ds_load_b128 v[103:106], v76 offset:4112
	ds_load_b128 v[99:102], v76 offset:4096
	ds_load_b128 v[111:114], v76 offset:6160
	ds_load_b128 v[107:110], v76 offset:6144
	v_mov_b32_e32 v66, v65
	v_mov_b32_e32 v67, v65
	;; [unrolled: 1-line block ×7, first 2 shown]
	s_waitcnt lgkmcnt(6)
	s_delay_alu instid0(VALU_DEP_1)
	v_wmma_f32_16x16x16_bf16 v[65:72], v[57:64], v[83:90], v[65:72]
	ds_load_b128 v[61:64], v76 offset:8208
	ds_load_b128 v[57:60], v76 offset:8192
	s_waitcnt lgkmcnt(6)
	v_wmma_f32_16x16x16_bf16 v[65:72], v[41:48], v[91:98], v[65:72]
	ds_load_b128 v[45:48], v76 offset:10256
	ds_load_b128 v[41:44], v76 offset:10240
	s_waitcnt lgkmcnt(6)
	;; [unrolled: 4-line block ×4, first 2 shown]
	v_wmma_f32_16x16x16_bf16 v[65:72], v[1:8], v[57:64], v[65:72]
	s_waitcnt lgkmcnt(4)
	s_delay_alu instid0(VALU_DEP_1) | instskip(SKIP_1) | instid1(VALU_DEP_1)
	v_wmma_f32_16x16x16_bf16 v[65:72], v[9:16], v[41:48], v[65:72]
	s_waitcnt lgkmcnt(2)
	v_wmma_f32_16x16x16_bf16 v[65:72], v[17:24], v[33:40], v[65:72]
	s_waitcnt lgkmcnt(0)
	s_delay_alu instid0(VALU_DEP_1) | instskip(NEXT) | instid1(VALU_DEP_1)
	v_wmma_f32_16x16x16_bf16 v[65:72], v[49:56], v[25:32], v[65:72]
	v_and_b32_e32 v1, 0x7f800000, v65
	s_delay_alu instid0(VALU_DEP_1) | instskip(SKIP_1) | instid1(SALU_CYCLE_1)
	v_cmp_ne_u32_e32 vcc_lo, 0x7f800000, v1
                                        ; implicit-def: $vgpr1
	s_and_saveexec_b32 s3, vcc_lo
	s_xor_b32 s3, exec_lo, s3
; %bb.79:
	v_bfe_u32 v1, v65, 16, 1
	s_delay_alu instid0(VALU_DEP_1)
	v_add3_u32 v1, v65, v1, 0x7fff
; %bb.80:
	s_and_not1_saveexec_b32 s3, s3
; %bb.81:
	v_and_b32_e32 v1, 0xffff, v65
	v_or_b32_e32 v2, 0x10000, v65
	s_delay_alu instid0(VALU_DEP_2) | instskip(NEXT) | instid1(VALU_DEP_2)
	v_cmp_eq_u32_e32 vcc_lo, 0, v1
	v_cndmask_b32_e32 v1, v2, v65, vcc_lo
; %bb.82:
	s_or_b32 exec_lo, exec_lo, s3
	v_and_b32_e32 v2, 0x7f800000, v66
	s_delay_alu instid0(VALU_DEP_1) | instskip(SKIP_1) | instid1(SALU_CYCLE_1)
	v_cmp_ne_u32_e32 vcc_lo, 0x7f800000, v2
                                        ; implicit-def: $vgpr2
	s_and_saveexec_b32 s3, vcc_lo
	s_xor_b32 s3, exec_lo, s3
; %bb.83:
	v_bfe_u32 v2, v66, 16, 1
	s_delay_alu instid0(VALU_DEP_1)
	v_add3_u32 v2, v66, v2, 0x7fff
; %bb.84:
	s_and_not1_saveexec_b32 s3, s3
; %bb.85:
	v_and_b32_e32 v2, 0xffff, v66
	v_or_b32_e32 v3, 0x10000, v66
	s_delay_alu instid0(VALU_DEP_2) | instskip(NEXT) | instid1(VALU_DEP_2)
	v_cmp_eq_u32_e32 vcc_lo, 0, v2
	v_cndmask_b32_e32 v2, v3, v66, vcc_lo
; %bb.86:
	s_or_b32 exec_lo, exec_lo, s3
	v_and_b32_e32 v3, 0x7f800000, v67
	s_delay_alu instid0(VALU_DEP_1) | instskip(SKIP_1) | instid1(SALU_CYCLE_1)
	v_cmp_ne_u32_e32 vcc_lo, 0x7f800000, v3
                                        ; implicit-def: $vgpr3
	s_and_saveexec_b32 s3, vcc_lo
	s_xor_b32 s3, exec_lo, s3
; %bb.87:
	v_bfe_u32 v3, v67, 16, 1
	s_delay_alu instid0(VALU_DEP_1)
	v_add3_u32 v3, v67, v3, 0x7fff
; %bb.88:
	s_and_not1_saveexec_b32 s3, s3
; %bb.89:
	v_and_b32_e32 v3, 0xffff, v67
	v_or_b32_e32 v4, 0x10000, v67
	s_delay_alu instid0(VALU_DEP_2) | instskip(NEXT) | instid1(VALU_DEP_2)
	v_cmp_eq_u32_e32 vcc_lo, 0, v3
	v_cndmask_b32_e32 v3, v4, v67, vcc_lo
; %bb.90:
	s_or_b32 exec_lo, exec_lo, s3
	v_and_b32_e32 v4, 0x7f800000, v68
	s_delay_alu instid0(VALU_DEP_1) | instskip(SKIP_1) | instid1(SALU_CYCLE_1)
	v_cmp_ne_u32_e32 vcc_lo, 0x7f800000, v4
                                        ; implicit-def: $vgpr4
	s_and_saveexec_b32 s3, vcc_lo
	s_xor_b32 s3, exec_lo, s3
; %bb.91:
	v_bfe_u32 v4, v68, 16, 1
	s_delay_alu instid0(VALU_DEP_1)
	v_add3_u32 v4, v68, v4, 0x7fff
; %bb.92:
	s_and_not1_saveexec_b32 s3, s3
; %bb.93:
	v_and_b32_e32 v4, 0xffff, v68
	v_or_b32_e32 v5, 0x10000, v68
	s_delay_alu instid0(VALU_DEP_2) | instskip(NEXT) | instid1(VALU_DEP_2)
	v_cmp_eq_u32_e32 vcc_lo, 0, v4
	v_cndmask_b32_e32 v4, v5, v68, vcc_lo
; %bb.94:
	s_or_b32 exec_lo, exec_lo, s3
	v_and_b32_e32 v5, 0x7f800000, v69
	s_delay_alu instid0(VALU_DEP_1) | instskip(SKIP_1) | instid1(SALU_CYCLE_1)
	v_cmp_ne_u32_e32 vcc_lo, 0x7f800000, v5
                                        ; implicit-def: $vgpr5
	s_and_saveexec_b32 s3, vcc_lo
	s_xor_b32 s3, exec_lo, s3
; %bb.95:
	v_bfe_u32 v5, v69, 16, 1
	s_delay_alu instid0(VALU_DEP_1)
	v_add3_u32 v5, v69, v5, 0x7fff
; %bb.96:
	s_and_not1_saveexec_b32 s3, s3
; %bb.97:
	v_and_b32_e32 v5, 0xffff, v69
	v_or_b32_e32 v6, 0x10000, v69
	s_delay_alu instid0(VALU_DEP_2) | instskip(NEXT) | instid1(VALU_DEP_2)
	v_cmp_eq_u32_e32 vcc_lo, 0, v5
	v_cndmask_b32_e32 v5, v6, v69, vcc_lo
; %bb.98:
	s_or_b32 exec_lo, exec_lo, s3
	v_and_b32_e32 v6, 0x7f800000, v70
	s_delay_alu instid0(VALU_DEP_1) | instskip(SKIP_1) | instid1(SALU_CYCLE_1)
	v_cmp_ne_u32_e32 vcc_lo, 0x7f800000, v6
                                        ; implicit-def: $vgpr6
	s_and_saveexec_b32 s3, vcc_lo
	s_xor_b32 s3, exec_lo, s3
; %bb.99:
	v_bfe_u32 v6, v70, 16, 1
	s_delay_alu instid0(VALU_DEP_1)
	v_add3_u32 v6, v70, v6, 0x7fff
; %bb.100:
	s_and_not1_saveexec_b32 s3, s3
; %bb.101:
	v_and_b32_e32 v6, 0xffff, v70
	v_or_b32_e32 v7, 0x10000, v70
	s_delay_alu instid0(VALU_DEP_2) | instskip(NEXT) | instid1(VALU_DEP_2)
	v_cmp_eq_u32_e32 vcc_lo, 0, v6
	v_cndmask_b32_e32 v6, v7, v70, vcc_lo
; %bb.102:
	s_or_b32 exec_lo, exec_lo, s3
	v_and_b32_e32 v7, 0x7f800000, v71
	s_delay_alu instid0(VALU_DEP_1) | instskip(SKIP_1) | instid1(SALU_CYCLE_1)
	v_cmp_ne_u32_e32 vcc_lo, 0x7f800000, v7
                                        ; implicit-def: $vgpr7
	s_and_saveexec_b32 s3, vcc_lo
	s_xor_b32 s3, exec_lo, s3
; %bb.103:
	v_bfe_u32 v7, v71, 16, 1
	s_delay_alu instid0(VALU_DEP_1)
	v_add3_u32 v7, v71, v7, 0x7fff
; %bb.104:
	s_and_not1_saveexec_b32 s3, s3
; %bb.105:
	v_and_b32_e32 v7, 0xffff, v71
	v_or_b32_e32 v8, 0x10000, v71
	s_delay_alu instid0(VALU_DEP_2) | instskip(NEXT) | instid1(VALU_DEP_2)
	v_cmp_eq_u32_e32 vcc_lo, 0, v7
	v_cndmask_b32_e32 v7, v8, v71, vcc_lo
; %bb.106:
	s_or_b32 exec_lo, exec_lo, s3
	v_and_b32_e32 v8, 0x7f800000, v72
	s_delay_alu instid0(VALU_DEP_1) | instskip(SKIP_1) | instid1(SALU_CYCLE_1)
	v_cmp_ne_u32_e32 vcc_lo, 0x7f800000, v8
                                        ; implicit-def: $vgpr8
	s_and_saveexec_b32 s3, vcc_lo
	s_xor_b32 s3, exec_lo, s3
; %bb.107:
	v_bfe_u32 v8, v72, 16, 1
	s_delay_alu instid0(VALU_DEP_1)
	v_add3_u32 v8, v72, v8, 0x7fff
                                        ; implicit-def: $vgpr65_vgpr66_vgpr67_vgpr68_vgpr69_vgpr70_vgpr71_vgpr72
; %bb.108:
	s_and_not1_saveexec_b32 s3, s3
; %bb.109:
	v_and_b32_e32 v8, 0xffff, v72
	v_or_b32_e32 v9, 0x10000, v72
	s_delay_alu instid0(VALU_DEP_2) | instskip(NEXT) | instid1(VALU_DEP_2)
	v_cmp_eq_u32_e32 vcc_lo, 0, v8
	v_cndmask_b32_e32 v8, v9, v72, vcc_lo
; %bb.110:
	s_or_b32 exec_lo, exec_lo, s3
	s_delay_alu instid0(VALU_DEP_1)
	v_perm_b32 v7, v8, v7, 0x7060302
	v_perm_b32 v6, v6, v5, 0x7060302
	;; [unrolled: 1-line block ×4, first 2 shown]
	s_barrier
	buffer_gl0_inv
	v_cmp_eq_u32_e32 vcc_lo, 1, v79
	ds_store_b128 v77, v[4:7]
	s_waitcnt lgkmcnt(0)
	s_barrier
	buffer_gl0_inv
	ds_load_b128 v[1:4], v82
	ds_load_b128 v[5:8], v82 offset:16
	v_cmp_eq_u32_e64 s3, 1, v80
	v_cmp_eq_u32_e64 s4, 2, v79
	;; [unrolled: 1-line block ×5, first 2 shown]
	s_waitcnt lgkmcnt(1)
	v_lshrrev_b32_e32 v9, 16, v1
	s_waitcnt lgkmcnt(0)
	v_lshrrev_b32_e32 v13, 16, v5
	v_lshrrev_b32_e32 v10, 16, v2
	;; [unrolled: 1-line block ×4, first 2 shown]
	v_cndmask_b32_e64 v19, v1, v9, s3
	v_cndmask_b32_e32 v18, v5, v13, vcc_lo
	v_cndmask_b32_e64 v20, v5, v13, s3
	v_cndmask_b32_e32 v17, v1, v9, vcc_lo
	v_cmp_eq_u32_e32 vcc_lo, 2, v80
	v_lshrrev_b32_e32 v15, 16, v7
	v_cmp_eq_u32_e64 s3, 1, v78
	v_lshrrev_b32_e32 v12, 16, v4
	v_lshrrev_b32_e32 v16, 16, v8
	v_cndmask_b32_e32 v20, v20, v6, vcc_lo
	v_cndmask_b32_e64 v17, v17, v2, s4
	v_cndmask_b32_e32 v19, v19, v2, vcc_lo
	v_cndmask_b32_e64 v18, v18, v6, s4
	v_cmp_eq_u32_e32 vcc_lo, 4, v79
	v_cmp_eq_u32_e64 s4, 3, v80
	v_cndmask_b32_e64 v17, v17, v10, s5
	v_cndmask_b32_e64 v21, v1, v9, s3
	;; [unrolled: 1-line block ×5, first 2 shown]
	v_cndmask_b32_e32 v17, v17, v3, vcc_lo
	v_cndmask_b32_e64 v20, v20, v14, s4
	v_cndmask_b32_e32 v18, v18, v7, vcc_lo
	v_cmp_eq_u32_e32 vcc_lo, 4, v80
	v_cmp_eq_u32_e64 s4, 5, v80
	v_cmp_eq_u32_e64 s3, 2, v81
	v_cndmask_b32_e64 v21, v21, v2, s7
	v_cmp_eq_u32_e64 s5, 5, v79
	v_cndmask_b32_e32 v19, v19, v3, vcc_lo
	v_cndmask_b32_e32 v20, v20, v7, vcc_lo
	v_cmp_eq_u32_e32 vcc_lo, 6, v80
	s_delay_alu instid0(VALU_DEP_4) | instskip(NEXT) | instid1(VALU_DEP_4)
	v_cndmask_b32_e64 v17, v17, v11, s5
	v_cndmask_b32_e64 v19, v19, v11, s4
	s_delay_alu instid0(VALU_DEP_4) | instskip(SKIP_1) | instid1(VALU_DEP_3)
	v_cndmask_b32_e64 v20, v20, v15, s4
	v_cmp_eq_u32_e64 s4, 1, v81
	v_cndmask_b32_e32 v19, v19, v4, vcc_lo
	v_cndmask_b32_e64 v18, v18, v15, s5
	s_delay_alu instid0(VALU_DEP_3)
	v_cndmask_b32_e64 v1, v1, v9, s4
	v_cndmask_b32_e64 v5, v5, v13, s4
	v_cmp_eq_u32_e64 s4, 3, v78
	v_cndmask_b32_e64 v13, v22, v6, s7
	v_cmp_eq_u32_e64 s7, 3, v81
	v_cndmask_b32_e64 v1, v1, v2, s3
	v_cndmask_b32_e64 v2, v5, v6, s3
	;; [unrolled: 1-line block ×3, first 2 shown]
	v_cmp_eq_u32_e64 s3, 4, v78
	v_cndmask_b32_e64 v6, v13, v14, s4
	v_cndmask_b32_e64 v1, v1, v10, s7
	v_cmp_eq_u32_e64 s4, 4, v81
	v_cndmask_b32_e64 v2, v2, v14, s7
	v_cndmask_b32_e64 v5, v9, v3, s3
	;; [unrolled: 3-line block ×3, first 2 shown]
	v_cndmask_b32_e64 v2, v2, v7, s4
	v_cmp_eq_u32_e64 s3, 5, v81
	v_cmp_eq_u32_e64 s5, 6, v79
	v_cndmask_b32_e64 v5, v5, v11, s7
	v_cmp_eq_u32_e64 s4, 6, v78
	v_cndmask_b32_e64 v3, v6, v15, s7
	v_cndmask_b32_e64 v1, v1, v11, s3
	v_cmp_eq_u32_e64 s7, 6, v81
	v_cndmask_b32_e64 v2, v2, v15, s3
	v_cndmask_b32_e64 v17, v17, v4, s5
	v_cndmask_b32_e64 v18, v18, v8, s5
	v_cmp_eq_u32_e64 s5, 7, v79
	v_cndmask_b32_e64 v5, v5, v4, s4
	;; [unrolled: 4-line block ×3, first 2 shown]
	v_cmp_eq_u32_e64 s4, 7, v78
	v_cndmask_b32_e32 v4, v20, v8, vcc_lo
	v_cndmask_b32_e64 v17, v17, v12, s5
	v_cndmask_b32_e64 v19, v19, v12, s6
	;; [unrolled: 1-line block ×8, first 2 shown]
	v_cmp_gt_u32_e32 vcc_lo, 32, v0
	v_perm_b32 v4, v2, v1, 0x5040100
	v_perm_b32 v3, v3, v5, 0x5040100
	;; [unrolled: 1-line block ×4, first 2 shown]
	s_and_b32 s2, vcc_lo, s2
	ds_store_b128 v77, v[1:4]
	s_waitcnt lgkmcnt(0)
	s_barrier
	buffer_gl0_inv
	s_and_saveexec_b32 s3, s2
	s_cbranch_execz .LBB1361_2
; %bb.111:
	s_load_b64 s[0:1], s[0:1], 0x68
	v_lshlrev_b32_e32 v0, 10, v0
	s_lshl_b32 s4, s34, 6
	v_or_b32_e32 v23, s31, v74
	s_mul_i32 s2, s4, s30
	v_lshlrev_b32_e32 v1, 4, v75
	v_lshlrev_b32_e32 v2, 6, v74
	s_mul_i32 s2, s2, s8
	v_and_b32_e32 v0, 0x3800, v0
	v_mul_lo_u32 v8, v23, s4
	s_ashr_i32 s3, s2, 31
	v_or_b32_e32 v3, 2, v23
	s_lshl_b64 s[2:3], s[2:3], 1
	v_or3_b32 v27, v0, v1, v2
	v_or_b32_e32 v11, 4, v23
	v_or_b32_e32 v18, 6, v23
	v_mul_lo_u32 v10, v3, s4
	v_ashrrev_i32_e32 v9, 31, v8
	ds_load_b128 v[0:3], v27
	ds_load_b128 v[4:7], v27 offset:128
	v_mul_lo_u32 v12, v11, s4
	s_waitcnt lgkmcnt(0)
	s_add_u32 s2, s0, s2
	s_addc_u32 s3, s1, s3
	s_lshl_b32 s0, s14, 6
	v_lshlrev_b64 v[8:9], 1, v[8:9]
	s_ashr_i32 s1, s0, 31
	v_ashrrev_i32_e32 v11, 31, v10
	s_lshl_b64 s[0:1], s[0:1], 1
	v_ashrrev_i32_e32 v13, 31, v12
	s_add_u32 s0, s2, s0
	s_addc_u32 s1, s3, s1
	v_add_co_u32 v30, s0, s0, v73
	s_delay_alu instid0(VALU_DEP_1) | instskip(SKIP_1) | instid1(VALU_DEP_3)
	v_add_co_ci_u32_e64 v31, null, s1, 0, s0
	v_lshlrev_b64 v[16:17], 1, v[10:11]
	v_add_co_u32 v14, vcc_lo, v30, v8
	s_delay_alu instid0(VALU_DEP_3)
	v_add_co_ci_u32_e32 v15, vcc_lo, v31, v9, vcc_lo
	ds_load_b128 v[8:11], v27 offset:256
	v_mul_lo_u32 v18, v18, s4
	v_or_b32_e32 v19, 8, v23
	v_add_co_u32 v16, vcc_lo, v30, v16
	global_store_b128 v[14:15], v[0:3], off
	v_lshlrev_b64 v[0:1], 1, v[12:13]
	v_add_co_ci_u32_e32 v17, vcc_lo, v31, v17, vcc_lo
	v_mul_lo_u32 v12, v19, s4
	v_ashrrev_i32_e32 v19, 31, v18
	v_or_b32_e32 v14, 10, v23
	global_store_b128 v[16:17], v[4:7], off
	v_add_co_u32 v4, vcc_lo, v30, v0
	v_add_co_ci_u32_e32 v5, vcc_lo, v31, v1, vcc_lo
	ds_load_b128 v[0:3], v27 offset:384
	v_ashrrev_i32_e32 v13, 31, v12
	v_lshlrev_b64 v[6:7], 1, v[18:19]
	v_mul_lo_u32 v14, v14, s4
	s_waitcnt lgkmcnt(1)
	global_store_b128 v[4:5], v[8:11], off
	v_or_b32_e32 v8, 12, v23
	v_lshlrev_b64 v[4:5], 1, v[12:13]
	v_add_co_u32 v20, vcc_lo, v30, v6
	v_or_b32_e32 v6, 14, v23
	v_ashrrev_i32_e32 v15, 31, v14
	v_mul_lo_u32 v22, v8, s4
	v_add_co_ci_u32_e32 v21, vcc_lo, v31, v7, vcc_lo
	v_add_co_u32 v24, vcc_lo, v30, v4
	v_mul_lo_u32 v26, v6, s4
	v_add_co_ci_u32_e32 v25, vcc_lo, v31, v5, vcc_lo
	v_lshlrev_b64 v[28:29], 1, v[14:15]
	ds_load_b128 v[4:7], v27 offset:512
	ds_load_b128 v[8:11], v27 offset:640
	;; [unrolled: 1-line block ×4, first 2 shown]
	v_ashrrev_i32_e32 v23, 31, v22
	v_ashrrev_i32_e32 v27, 31, v26
	v_add_co_u32 v28, vcc_lo, v30, v28
	s_delay_alu instid0(VALU_DEP_3) | instskip(SKIP_1) | instid1(VALU_DEP_4)
	v_lshlrev_b64 v[22:23], 1, v[22:23]
	v_add_co_ci_u32_e32 v29, vcc_lo, v31, v29, vcc_lo
	v_lshlrev_b64 v[26:27], 1, v[26:27]
	s_delay_alu instid0(VALU_DEP_3) | instskip(NEXT) | instid1(VALU_DEP_4)
	v_add_co_u32 v22, vcc_lo, v30, v22
	v_add_co_ci_u32_e32 v23, vcc_lo, v31, v23, vcc_lo
	s_delay_alu instid0(VALU_DEP_3) | instskip(NEXT) | instid1(VALU_DEP_4)
	v_add_co_u32 v26, vcc_lo, v30, v26
	v_add_co_ci_u32_e32 v27, vcc_lo, v31, v27, vcc_lo
	s_waitcnt lgkmcnt(4)
	global_store_b128 v[20:21], v[0:3], off
	s_waitcnt lgkmcnt(3)
	global_store_b128 v[24:25], v[4:7], off
	;; [unrolled: 2-line block ×5, first 2 shown]
	s_nop 0
	s_sendmsg sendmsg(MSG_DEALLOC_VGPRS)
	s_endpgm
	.section	.rodata,"a",@progbits
	.p2align	6, 0x0
	.amdhsa_kernel _Z39paged_attention_ll4mi_QKV_mfma16_kernelI14__hip_bfloat16hLN4vllm18Fp8KVCacheDataTypeE1EhLi16ELi64ELi256ELb1ELi16EL8MFMAType1EEvPKT_PKT0_S9_ifPKiSB_SB_iPKfiiiPfSE_PS4_PT2_iSD_SD_
		.amdhsa_group_segment_fixed_size 17472
		.amdhsa_private_segment_fixed_size 0
		.amdhsa_kernarg_size 400
		.amdhsa_user_sgpr_count 13
		.amdhsa_user_sgpr_dispatch_ptr 0
		.amdhsa_user_sgpr_queue_ptr 0
		.amdhsa_user_sgpr_kernarg_segment_ptr 1
		.amdhsa_user_sgpr_dispatch_id 0
		.amdhsa_user_sgpr_private_segment_size 0
		.amdhsa_wavefront_size32 1
		.amdhsa_uses_dynamic_stack 0
		.amdhsa_enable_private_segment 0
		.amdhsa_system_sgpr_workgroup_id_x 1
		.amdhsa_system_sgpr_workgroup_id_y 1
		.amdhsa_system_sgpr_workgroup_id_z 1
		.amdhsa_system_sgpr_workgroup_info 0
		.amdhsa_system_vgpr_workitem_id 0
		.amdhsa_next_free_vgpr 125
		.amdhsa_next_free_sgpr 38
		.amdhsa_reserve_vcc 1
		.amdhsa_float_round_mode_32 0
		.amdhsa_float_round_mode_16_64 0
		.amdhsa_float_denorm_mode_32 3
		.amdhsa_float_denorm_mode_16_64 3
		.amdhsa_dx10_clamp 1
		.amdhsa_ieee_mode 1
		.amdhsa_fp16_overflow 0
		.amdhsa_workgroup_processor_mode 1
		.amdhsa_memory_ordered 1
		.amdhsa_forward_progress 0
		.amdhsa_shared_vgpr_count 0
		.amdhsa_exception_fp_ieee_invalid_op 0
		.amdhsa_exception_fp_denorm_src 0
		.amdhsa_exception_fp_ieee_div_zero 0
		.amdhsa_exception_fp_ieee_overflow 0
		.amdhsa_exception_fp_ieee_underflow 0
		.amdhsa_exception_fp_ieee_inexact 0
		.amdhsa_exception_int_div_zero 0
	.end_amdhsa_kernel
	.section	.text._Z39paged_attention_ll4mi_QKV_mfma16_kernelI14__hip_bfloat16hLN4vllm18Fp8KVCacheDataTypeE1EhLi16ELi64ELi256ELb1ELi16EL8MFMAType1EEvPKT_PKT0_S9_ifPKiSB_SB_iPKfiiiPfSE_PS4_PT2_iSD_SD_,"axG",@progbits,_Z39paged_attention_ll4mi_QKV_mfma16_kernelI14__hip_bfloat16hLN4vllm18Fp8KVCacheDataTypeE1EhLi16ELi64ELi256ELb1ELi16EL8MFMAType1EEvPKT_PKT0_S9_ifPKiSB_SB_iPKfiiiPfSE_PS4_PT2_iSD_SD_,comdat
.Lfunc_end1361:
	.size	_Z39paged_attention_ll4mi_QKV_mfma16_kernelI14__hip_bfloat16hLN4vllm18Fp8KVCacheDataTypeE1EhLi16ELi64ELi256ELb1ELi16EL8MFMAType1EEvPKT_PKT0_S9_ifPKiSB_SB_iPKfiiiPfSE_PS4_PT2_iSD_SD_, .Lfunc_end1361-_Z39paged_attention_ll4mi_QKV_mfma16_kernelI14__hip_bfloat16hLN4vllm18Fp8KVCacheDataTypeE1EhLi16ELi64ELi256ELb1ELi16EL8MFMAType1EEvPKT_PKT0_S9_ifPKiSB_SB_iPKfiiiPfSE_PS4_PT2_iSD_SD_
                                        ; -- End function
	.section	.AMDGPU.csdata,"",@progbits
; Kernel info:
; codeLenInByte = 8912
; NumSgprs: 40
; NumVgprs: 125
; ScratchSize: 0
; MemoryBound: 0
; FloatMode: 240
; IeeeMode: 1
; LDSByteSize: 17472 bytes/workgroup (compile time only)
; SGPRBlocks: 4
; VGPRBlocks: 15
; NumSGPRsForWavesPerEU: 40
; NumVGPRsForWavesPerEU: 125
; Occupancy: 10
; WaveLimiterHint : 1
; COMPUTE_PGM_RSRC2:SCRATCH_EN: 0
; COMPUTE_PGM_RSRC2:USER_SGPR: 13
; COMPUTE_PGM_RSRC2:TRAP_HANDLER: 0
; COMPUTE_PGM_RSRC2:TGID_X_EN: 1
; COMPUTE_PGM_RSRC2:TGID_Y_EN: 1
; COMPUTE_PGM_RSRC2:TGID_Z_EN: 1
; COMPUTE_PGM_RSRC2:TIDIG_COMP_CNT: 0
	.section	.text._Z39paged_attention_ll4mi_QKV_mfma16_kernelI14__hip_bfloat16hLN4vllm18Fp8KVCacheDataTypeE1EhLi16ELi64ELi256ELb1ELi1EL8MFMAType1EEvPKT_PKT0_S9_ifPKiSB_SB_iPKfiiiPfSE_PS4_PT2_iSD_SD_,"axG",@progbits,_Z39paged_attention_ll4mi_QKV_mfma16_kernelI14__hip_bfloat16hLN4vllm18Fp8KVCacheDataTypeE1EhLi16ELi64ELi256ELb1ELi1EL8MFMAType1EEvPKT_PKT0_S9_ifPKiSB_SB_iPKfiiiPfSE_PS4_PT2_iSD_SD_,comdat
	.protected	_Z39paged_attention_ll4mi_QKV_mfma16_kernelI14__hip_bfloat16hLN4vllm18Fp8KVCacheDataTypeE1EhLi16ELi64ELi256ELb1ELi1EL8MFMAType1EEvPKT_PKT0_S9_ifPKiSB_SB_iPKfiiiPfSE_PS4_PT2_iSD_SD_ ; -- Begin function _Z39paged_attention_ll4mi_QKV_mfma16_kernelI14__hip_bfloat16hLN4vllm18Fp8KVCacheDataTypeE1EhLi16ELi64ELi256ELb1ELi1EL8MFMAType1EEvPKT_PKT0_S9_ifPKiSB_SB_iPKfiiiPfSE_PS4_PT2_iSD_SD_
	.globl	_Z39paged_attention_ll4mi_QKV_mfma16_kernelI14__hip_bfloat16hLN4vllm18Fp8KVCacheDataTypeE1EhLi16ELi64ELi256ELb1ELi1EL8MFMAType1EEvPKT_PKT0_S9_ifPKiSB_SB_iPKfiiiPfSE_PS4_PT2_iSD_SD_
	.p2align	8
	.type	_Z39paged_attention_ll4mi_QKV_mfma16_kernelI14__hip_bfloat16hLN4vllm18Fp8KVCacheDataTypeE1EhLi16ELi64ELi256ELb1ELi1EL8MFMAType1EEvPKT_PKT0_S9_ifPKiSB_SB_iPKfiiiPfSE_PS4_PT2_iSD_SD_,@function
_Z39paged_attention_ll4mi_QKV_mfma16_kernelI14__hip_bfloat16hLN4vllm18Fp8KVCacheDataTypeE1EhLi16ELi64ELi256ELb1ELi1EL8MFMAType1EEvPKT_PKT0_S9_ifPKiSB_SB_iPKfiiiPfSE_PS4_PT2_iSD_SD_: ; @_Z39paged_attention_ll4mi_QKV_mfma16_kernelI14__hip_bfloat16hLN4vllm18Fp8KVCacheDataTypeE1EhLi16ELi64ELi256ELb1ELi1EL8MFMAType1EEvPKT_PKT0_S9_ifPKiSB_SB_iPKfiiiPfSE_PS4_PT2_iSD_SD_
; %bb.0:
	s_load_b64 s[4:5], s[0:1], 0x30
	s_mov_b32 s34, s13
	s_waitcnt lgkmcnt(0)
	s_cmp_lg_u64 s[4:5], 0
	s_cselect_b32 s6, -1, 0
	s_ashr_i32 s35, s13, 31
	s_cmp_eq_u64 s[4:5], 0
	s_cbranch_scc1 .LBB1362_3
; %bb.1:
	s_lshl_b64 s[2:3], s[34:35], 2
	s_delay_alu instid0(SALU_CYCLE_1) | instskip(SKIP_4) | instid1(SALU_CYCLE_1)
	s_add_u32 s2, s4, s2
	s_addc_u32 s3, s5, s3
	s_load_b64 s[2:3], s[2:3], 0x0
	s_waitcnt lgkmcnt(0)
	s_sub_i32 s2, s3, s2
	s_cmp_eq_u32 s2, 1
	s_cselect_b32 s2, -1, 0
	s_delay_alu instid0(SALU_CYCLE_1)
	s_and_not1_b32 vcc_lo, exec_lo, s2
	s_cbranch_vccz .LBB1362_4
.LBB1362_2:
	s_endpgm
.LBB1362_3:
.LBB1362_4:
	s_load_b64 s[2:3], s[0:1], 0x28
	s_lshl_b64 s[8:9], s[34:35], 2
	s_waitcnt lgkmcnt(0)
	s_add_u32 s2, s2, s8
	s_addc_u32 s3, s3, s9
	s_lshl_b32 s12, s14, 8
	s_load_b32 s33, s[2:3], 0x0
	s_waitcnt lgkmcnt(0)
	s_cmp_ge_i32 s12, s33
	s_cbranch_scc1 .LBB1362_2
; %bb.5:
	s_clause 0x1
	s_load_b128 s[28:31], s[0:1], 0x8
	s_load_b64 s[2:3], s[0:1], 0x20
	s_and_not1_b32 vcc_lo, exec_lo, s6
	s_mov_b64 s[6:7], s[34:35]
	s_cbranch_vccnz .LBB1362_7
; %bb.6:
	s_add_u32 s4, s4, s8
	s_addc_u32 s5, s5, s9
	s_load_b32 s6, s[4:5], 0x0
.LBB1362_7:
	s_load_b128 s[24:27], s[0:1], 0x48
	v_and_b32_e32 v73, 15, v0
	s_mov_b32 s13, exec_lo
                                        ; implicit-def: $sgpr16
                                        ; implicit-def: $sgpr4
	s_delay_alu instid0(VALU_DEP_1)
	v_cmpx_eq_u32_e32 0, v73
	s_cbranch_execz .LBB1362_9
; %bb.8:
	s_load_b64 s[4:5], s[0:1], 0x0
	s_waitcnt lgkmcnt(0)
	s_mul_hi_i32 s7, s6, s24
	s_mul_i32 s6, s6, s24
	s_delay_alu instid0(SALU_CYCLE_1) | instskip(NEXT) | instid1(SALU_CYCLE_1)
	s_lshl_b64 s[6:7], s[6:7], 1
	s_add_u32 s6, s4, s6
	s_addc_u32 s7, s5, s7
	s_lshl_b32 s4, s15, 6
	s_delay_alu instid0(SALU_CYCLE_1) | instskip(NEXT) | instid1(SALU_CYCLE_1)
	s_ashr_i32 s5, s4, 31
	s_lshl_b64 s[4:5], s[4:5], 1
	s_delay_alu instid0(SALU_CYCLE_1)
	s_add_u32 s4, s6, s4
	s_addc_u32 s5, s7, s5
	s_clause 0x1
	s_load_b256 s[16:23], s[4:5], 0x0
	s_load_b256 s[4:11], s[4:5], 0x40
.LBB1362_9:
	s_or_b32 exec_lo, exec_lo, s13
	s_waitcnt lgkmcnt(0)
	v_dual_mov_b32 v114, s23 :: v_dual_and_b32 v1, 0xef, v0
	s_add_i32 s13, s33, 15
	s_load_b32 s27, s[0:1], 0x38
	s_ashr_i32 s24, s13, 31
	s_delay_alu instid0(VALU_DEP_1) | instskip(SKIP_3) | instid1(VALU_DEP_2)
	v_dual_mov_b32 v112, s21 :: v_dual_add_nc_u32 v1, s12, v1
	s_lshr_b32 s24, s24, 28
	v_lshrrev_b32_e32 v65, 5, v0
	s_add_i32 s13, s13, s24
	v_ashrrev_i32_e32 v2, 31, v1
	v_or_b32_e32 v3, 16, v1
	s_ashr_i32 s13, s13, 4
	v_cmp_gt_i32_e32 vcc_lo, s33, v1
	s_add_i32 s13, s13, -1
	v_lshrrev_b32_e32 v2, 28, v2
	s_load_b32 s24, s[0:1], 0x1c
	v_mbcnt_lo_u32_b32 v67, -1, 0
	v_dual_mov_b32 v113, s22 :: v_dual_lshlrev_b32 v74, 4, v73
	s_delay_alu instid0(VALU_DEP_3) | instskip(SKIP_1) | instid1(VALU_DEP_4)
	v_add_nc_u32_e32 v4, v1, v2
	v_mov_b32_e32 v110, s19
	v_xor_b32_e32 v68, 16, v67
	s_waitcnt lgkmcnt(0)
	s_mul_i32 s36, s34, s27
	v_mov_b32_e32 v108, s17
	v_ashrrev_i32_e32 v4, 4, v4
	v_add_nc_u32_e32 v2, v3, v2
	s_ashr_i32 s37, s36, 31
	v_and_b32_e32 v66, 0xe0, v0
	s_lshl_b64 s[36:37], s[36:37], 2
	v_cndmask_b32_e32 v1, s13, v4, vcc_lo
	v_ashrrev_i32_e32 v2, 4, v2
	v_cmp_gt_i32_e32 vcc_lo, s33, v3
	s_add_u32 s36, s2, s36
	s_addc_u32 s35, s3, s37
	s_mul_i32 s37, s15, s26
	v_add_nc_u32_e32 v66, s12, v66
	v_cndmask_b32_e32 v3, s13, v2, vcc_lo
	v_ashrrev_i32_e32 v2, 31, v1
	s_ashr_i32 s38, s37, 31
	s_add_u32 s39, s28, s37
	s_addc_u32 s46, s29, s38
	v_ashrrev_i32_e32 v4, 31, v3
	v_lshlrev_b64 v[1:2], 2, v[1:2]
	s_lshl_b32 s2, s14, 4
	s_delay_alu instid0(SALU_CYCLE_1) | instskip(NEXT) | instid1(VALU_DEP_2)
	s_ashr_i32 s3, s2, 31
	v_lshlrev_b64 v[3:4], 2, v[3:4]
	s_lshl_b64 s[2:3], s[2:3], 2
	s_delay_alu instid0(VALU_DEP_2) | instskip(SKIP_1) | instid1(VALU_DEP_3)
	v_add_co_u32 v1, vcc_lo, s36, v1
	v_add_co_ci_u32_e32 v2, vcc_lo, s35, v2, vcc_lo
	v_add_co_u32 v3, vcc_lo, s36, v3
	s_delay_alu instid0(VALU_DEP_4)
	v_add_co_ci_u32_e32 v4, vcc_lo, s35, v4, vcc_lo
	s_clause 0x1
	global_load_b32 v5, v[1:2], off
	global_load_b32 v7, v[3:4], off
	s_add_u32 s2, s36, s2
	s_addc_u32 s3, s35, s3
	s_or_b32 s26, s12, 32
	v_lshlrev_b32_e32 v1, 4, v0
	s_ashr_i32 s27, s26, 4
	s_cmp_lt_i32 s26, s33
	v_cmp_gt_i32_e32 vcc_lo, 32, v68
	s_cselect_b32 s26, s27, s13
	v_and_b32_e32 v1, 0xf0, v1
	s_ashr_i32 s27, s26, 31
	s_delay_alu instid0(SALU_CYCLE_1) | instskip(NEXT) | instid1(SALU_CYCLE_1)
	s_lshl_b64 s[26:27], s[26:27], 2
	s_add_u32 s26, s36, s26
	s_addc_u32 s27, s35, s27
	s_or_b32 s28, s12, 64
	v_add_co_u32 v1, s39, s39, v1
	s_ashr_i32 s29, s28, 4
	s_cmp_lt_i32 s28, s33
	v_add_co_ci_u32_e64 v2, null, s46, 0, s39
	s_cselect_b32 s28, s29, s13
	s_delay_alu instid0(SALU_CYCLE_1) | instskip(NEXT) | instid1(SALU_CYCLE_1)
	s_ashr_i32 s29, s28, 31
	s_lshl_b64 s[28:29], s[28:29], 2
	s_delay_alu instid0(SALU_CYCLE_1) | instskip(SKIP_2) | instid1(SALU_CYCLE_1)
	s_add_u32 s40, s36, s28
	s_addc_u32 s41, s35, s29
	s_or_b32 s28, s12, 0x60
	s_ashr_i32 s29, s28, 4
	s_cmp_lt_i32 s28, s33
	s_cselect_b32 s28, s29, s13
	s_delay_alu instid0(SALU_CYCLE_1) | instskip(NEXT) | instid1(SALU_CYCLE_1)
	s_ashr_i32 s29, s28, 31
	s_lshl_b64 s[28:29], s[28:29], 2
	s_delay_alu instid0(SALU_CYCLE_1) | instskip(SKIP_2) | instid1(SALU_CYCLE_1)
	s_add_u32 s42, s36, s28
	s_addc_u32 s43, s35, s29
	s_or_b32 s28, s12, 0x80
	s_ashr_i32 s29, s28, 4
	s_cmp_lt_i32 s28, s33
	;; [unrolled: 10-line block ×3, first 2 shown]
	s_cselect_b32 s28, s29, s13
	s_delay_alu instid0(SALU_CYCLE_1) | instskip(NEXT) | instid1(SALU_CYCLE_1)
	s_ashr_i32 s29, s28, 31
	s_lshl_b64 s[28:29], s[28:29], 2
	s_delay_alu instid0(SALU_CYCLE_1)
	s_add_u32 s46, s36, s28
	s_addc_u32 s47, s35, s29
	s_clause 0x5
	s_load_b32 s29, s[2:3], 0x0
	s_load_b32 s2, s[26:27], 0x0
	;; [unrolled: 1-line block ×6, first 2 shown]
	s_or_b32 s39, s12, 0xc0
	s_delay_alu instid0(SALU_CYCLE_1) | instskip(SKIP_2) | instid1(SALU_CYCLE_1)
	s_ashr_i32 s40, s39, 4
	s_cmp_lt_i32 s39, s33
	s_cselect_b32 s40, s40, s13
	s_ashr_i32 s41, s40, 31
	s_delay_alu instid0(SALU_CYCLE_1) | instskip(NEXT) | instid1(SALU_CYCLE_1)
	s_lshl_b64 s[40:41], s[40:41], 2
	s_add_u32 s40, s36, s40
	s_addc_u32 s41, s35, s41
	s_or_b32 s39, s12, 0xe0
	s_delay_alu instid0(SALU_CYCLE_1) | instskip(SKIP_2) | instid1(SALU_CYCLE_1)
	s_ashr_i32 s42, s39, 4
	s_cmp_lt_i32 s39, s33
	s_cselect_b32 s42, s42, s13
	s_ashr_i32 s43, s42, 31
	s_delay_alu instid0(SALU_CYCLE_1)
	s_lshl_b64 s[42:43], s[42:43], 2
	s_waitcnt vmcnt(1)
	v_mad_i64_i32 v[3:4], null, v5, s25, v[1:2]
	s_waitcnt vmcnt(0)
	v_mad_i64_i32 v[5:6], null, v7, s25, v[1:2]
	s_clause 0x7
	global_load_b128 v[75:78], v[3:4], off
	global_load_b128 v[79:82], v[3:4], off offset:256
	global_load_b128 v[83:86], v[5:6], off
	global_load_b128 v[87:90], v[5:6], off offset:256
	global_load_b128 v[91:94], v[3:4], off offset:512
	;; [unrolled: 1-line block ×5, first 2 shown]
	v_lshl_or_b32 v1, v65, 8, v74
	s_load_b32 s13, s[40:41], 0x0
	s_add_u32 s40, s36, s42
	s_addc_u32 s41, s35, s43
	s_add_u32 s30, s30, s37
	s_addc_u32 s31, s31, s38
	v_add_co_u32 v1, s30, s30, v1
	s_delay_alu instid0(VALU_DEP_1) | instskip(SKIP_3) | instid1(VALU_DEP_1)
	v_add_co_ci_u32_e64 v2, null, s31, 0, s30
	s_load_b32 s30, s[40:41], 0x0
	s_mov_b32 s36, 0
	s_waitcnt lgkmcnt(0)
	v_mad_i64_i32 v[3:4], null, s29, s25, v[1:2]
	v_mad_i64_i32 v[9:10], null, s26, s25, v[1:2]
	;; [unrolled: 1-line block ×7, first 2 shown]
	s_clause 0x5
	global_load_b128 v[49:52], v[3:4], off
	global_load_b128 v[53:56], v[3:4], off offset:16
	global_load_b128 v[41:44], v[5:6], off
	global_load_b128 v[45:48], v[5:6], off offset:16
	;; [unrolled: 2-line block ×3, first 2 shown]
	s_mov_b32 s43, s36
	s_mov_b32 s37, s36
	v_mad_i64_i32 v[61:62], null, s30, s25, v[1:2]
	s_clause 0x9
	global_load_b128 v[25:28], v[9:10], off
	global_load_b128 v[29:32], v[9:10], off offset:16
	global_load_b128 v[1:4], v[11:12], off
	global_load_b128 v[5:8], v[11:12], off offset:16
	global_load_b128 v[9:12], v[13:14], off
	global_load_b128 v[13:16], v[13:14], off offset:16
	global_load_b128 v[17:20], v[21:22], off
	global_load_b128 v[21:24], v[21:22], off offset:16
	global_load_b128 v[57:60], v[61:62], off
	global_load_b128 v[61:64], v[61:62], off offset:16
	s_mov_b32 s38, s36
	s_mov_b32 s39, s36
	;; [unrolled: 1-line block ×5, first 2 shown]
	v_dual_mov_b32 v111, s20 :: v_dual_mov_b32 v122, s43
	v_dual_mov_b32 v109, s18 :: v_dual_mov_b32 v120, s41
	;; [unrolled: 1-line block ×4, first 2 shown]
	v_mov_b32_e32 v119, s40
	v_mov_b32_e32 v117, s38
	;; [unrolled: 1-line block ×3, first 2 shown]
	s_waitcnt vmcnt(0)
	s_barrier
	buffer_gl0_inv
	v_wmma_f32_16x16x16_bf16 v[123:130], v[75:82], v[107:114], v[115:122]
	v_bfe_u32 v75, v0, 4, 1
	v_wmma_f32_16x16x16_bf16 v[115:122], v[83:90], v[107:114], v[115:122]
	v_dual_mov_b32 v83, s11 :: v_dual_mov_b32 v80, s8
	v_mov_b32_e32 v82, s10
	s_delay_alu instid0(VALU_DEP_4) | instskip(SKIP_3) | instid1(VALU_DEP_4)
	v_or_b32_e32 v66, v66, v75
	v_dual_mov_b32 v81, s9 :: v_dual_mov_b32 v78, s6
	v_dual_mov_b32 v79, s7 :: v_dual_mov_b32 v76, s4
	v_mov_b32_e32 v77, s5
	v_or_b32_e32 v69, 4, v66
	v_or_b32_e32 v70, 6, v66
	;; [unrolled: 1-line block ×3, first 2 shown]
	v_cmp_gt_i32_e64 s2, s33, v66
	v_wmma_f32_16x16x16_bf16 v[123:130], v[91:98], v[76:83], v[123:130]
	v_cndmask_b32_e32 v67, v67, v68, vcc_lo
	v_or_b32_e32 v68, 2, v66
	v_wmma_f32_16x16x16_bf16 v[115:122], v[99:106], v[76:83], v[115:122]
	v_or_b32_e32 v72, 10, v66
	v_dual_mul_f32 v82, s24, v126 :: v_dual_mul_f32 v81, s24, v127
	v_dual_mul_f32 v92, s24, v124 :: v_dual_mul_f32 v93, s24, v123
	s_delay_alu instid0(VALU_DEP_4) | instskip(SKIP_2) | instid1(VALU_DEP_4)
	v_mul_f32_e32 v96, s24, v120
	v_cmp_gt_i32_e32 vcc_lo, s33, v68
	v_dual_mul_f32 v83, s24, v125 :: v_dual_mul_f32 v94, s24, v122
	v_cndmask_b32_e64 v93, 0xff7fffff, v93, s2
	v_cmp_gt_i32_e64 s3, s33, v69
	v_cndmask_b32_e32 v92, 0xff7fffff, v92, vcc_lo
	v_cmp_gt_i32_e64 s4, s33, v70
	v_cmp_gt_i32_e64 s5, s33, v71
	v_or_b32_e32 v84, 12, v66
	v_or_b32_e32 v85, 14, v66
	v_dual_mul_f32 v79, s24, v129 :: v_dual_mul_f32 v80, s24, v128
	v_cndmask_b32_e64 v69, 0xff7fffff, v83, s3
	v_cndmask_b32_e64 v70, 0xff7fffff, v82, s4
	;; [unrolled: 1-line block ×3, first 2 shown]
	v_cmp_gt_i32_e64 s6, s33, v72
	v_lshlrev_b32_e32 v81, 2, v67
	v_max3_f32 v82, v93, 0xff7fffff, v92
	v_or_b32_e32 v86, 16, v66
	v_or_b32_e32 v87, 18, v66
	v_mul_f32_e32 v78, s24, v130
	v_cndmask_b32_e64 v72, 0xff7fffff, v80, s6
	v_max3_f32 v69, v82, v69, v70
	v_cmp_gt_i32_e64 s7, s33, v84
	v_cmp_gt_i32_e64 s8, s33, v85
	v_or_b32_e32 v88, 20, v66
	v_or_b32_e32 v89, 22, v66
	;; [unrolled: 1-line block ×6, first 2 shown]
	v_dual_mul_f32 v97, s24, v119 :: v_dual_mul_f32 v68, s24, v116
	v_dual_mul_f32 v99, s24, v117 :: v_dual_mul_f32 v66, s24, v115
	v_cndmask_b32_e64 v70, 0xff7fffff, v79, s7
	v_cndmask_b32_e64 v78, 0xff7fffff, v78, s8
	v_max3_f32 v69, v69, v71, v72
	v_cmp_gt_i32_e64 s9, s33, v86
	v_cmp_gt_i32_e64 s10, s33, v87
	v_dual_mul_f32 v95, s24, v121 :: v_dual_mul_f32 v98, s24, v118
	s_delay_alu instid0(VALU_DEP_4) | instskip(NEXT) | instid1(VALU_DEP_4)
	v_max3_f32 v69, v69, v70, v78
	v_cndmask_b32_e64 v66, 0xff7fffff, v66, s9
	s_delay_alu instid0(VALU_DEP_4)
	v_cndmask_b32_e64 v68, 0xff7fffff, v68, s10
	v_cmp_gt_i32_e64 s11, s33, v88
	v_cmp_gt_i32_e64 s12, s33, v89
	;; [unrolled: 1-line block ×4, first 2 shown]
	v_max3_f32 v66, v69, v66, v68
	v_cndmask_b32_e64 v70, 0xff7fffff, v99, s11
	v_cndmask_b32_e64 v71, 0xff7fffff, v98, s12
	;; [unrolled: 1-line block ×4, first 2 shown]
	v_cmp_gt_i32_e64 s17, s33, v76
	v_cmp_gt_i32_e64 s18, s33, v77
	v_max3_f32 v66, v66, v70, v71
	s_delay_alu instid0(VALU_DEP_3) | instskip(NEXT) | instid1(VALU_DEP_3)
	v_cndmask_b32_e64 v70, 0xff7fffff, v95, s17
	v_cndmask_b32_e64 v71, 0xff7fffff, v94, s18
	s_delay_alu instid0(VALU_DEP_3) | instskip(NEXT) | instid1(VALU_DEP_1)
	v_max3_f32 v66, v66, v68, v69
	v_max3_f32 v66, v66, v70, v71
	ds_bpermute_b32 v67, v81, v66
	s_waitcnt lgkmcnt(0)
	v_max_f32_e32 v67, v67, v67
	s_delay_alu instid0(VALU_DEP_1) | instskip(NEXT) | instid1(VALU_DEP_1)
	v_max_f32_e32 v66, v66, v67
	v_fma_f32 v69, s24, v125, -v66
	s_delay_alu instid0(VALU_DEP_1)
	v_mul_f32_e32 v69, 0x3fb8aa3b, v69
	v_fma_f32 v67, s24, v123, -v66
	v_fma_f32 v68, s24, v124, -v66
	;; [unrolled: 1-line block ×4, first 2 shown]
	v_exp_f32_e32 v69, v69
	s_delay_alu instid0(VALU_DEP_3) | instskip(NEXT) | instid1(VALU_DEP_3)
	v_dual_mul_f32 v67, 0x3fb8aa3b, v67 :: v_dual_mul_f32 v68, 0x3fb8aa3b, v68
	v_mul_f32_e32 v70, 0x3fb8aa3b, v70
	v_fma_f32 v72, s24, v129, -v66
	v_fma_f32 v77, s24, v119, -v66
	s_delay_alu instid0(VALU_DEP_4)
	v_exp_f32_e32 v67, v67
	v_exp_f32_e32 v68, v68
	v_mul_f32_e32 v71, 0x3fb8aa3b, v71
	v_exp_f32_e32 v70, v70
	v_cndmask_b32_e64 v82, 0, v69, s3
	v_fma_f32 v69, s24, v130, -v66
	v_fma_f32 v88, s24, v122, -v66
	s_mov_b32 s3, exec_lo
	v_mul_f32_e32 v77, 0x3fb8aa3b, v77
	s_delay_alu instid0(TRANS32_DEP_3) | instskip(NEXT) | instid1(TRANS32_DEP_2)
	v_cndmask_b32_e64 v80, 0, v67, s2
	v_cndmask_b32_e32 v76, 0, v68, vcc_lo
	v_fma_f32 v67, s24, v128, -v66
	v_exp_f32_e32 v71, v71
	v_cndmask_b32_e64 v84, 0, v70, s4
	v_dual_add_f32 v68, 0, v80 :: v_dual_mul_f32 v69, 0x3fb8aa3b, v69
	s_delay_alu instid0(VALU_DEP_3) | instskip(SKIP_2) | instid1(VALU_DEP_3)
	v_mul_f32_e32 v67, 0x3fb8aa3b, v67
	v_fma_f32 v70, s24, v115, -v66
	v_exp_f32_e32 v77, v77
	v_add_f32_e32 v68, v68, v76
	v_exp_f32_e32 v69, v69
	v_exp_f32_e32 v67, v67
	v_cndmask_b32_e64 v85, 0, v71, s5
	v_fma_f32 v71, s24, v116, -v66
	v_add_f32_e32 v68, v68, v82
	s_delay_alu instid0(VALU_DEP_2)
	v_dual_mul_f32 v88, 0x3fb8aa3b, v88 :: v_dual_mul_f32 v71, 0x3fb8aa3b, v71
	s_waitcnt_depctr 0xfff
	v_cndmask_b32_e64 v87, 0, v69, s8
	v_cndmask_b32_e64 v86, 0, v67, s6
	v_add_f32_e32 v68, v68, v84
	v_mul_f32_e32 v72, 0x3fb8aa3b, v72
	v_exp_f32_e32 v71, v71
	s_delay_alu instid0(VALU_DEP_2) | instskip(NEXT) | instid1(VALU_DEP_2)
	v_add_f32_e32 v67, v68, v85
	v_exp_f32_e32 v72, v72
	v_fma_f32 v68, s24, v117, -v66
	s_delay_alu instid0(VALU_DEP_2) | instskip(SKIP_4) | instid1(VALU_DEP_3)
	v_add_f32_e32 v67, v67, v86
	s_waitcnt_depctr 0xfff
	v_cndmask_b32_e64 v83, 0, v72, s7
	v_mul_f32_e32 v70, 0x3fb8aa3b, v70
	v_fma_f32 v72, s24, v118, -v66
	v_add_f32_e32 v67, v67, v83
	s_delay_alu instid0(VALU_DEP_3) | instskip(SKIP_1) | instid1(VALU_DEP_2)
	v_exp_f32_e32 v70, v70
	v_mul_f32_e32 v68, 0x3fb8aa3b, v68
	v_dual_mul_f32 v72, 0x3fb8aa3b, v72 :: v_dual_add_f32 v67, v67, v87
	s_delay_alu instid0(VALU_DEP_2) | instskip(NEXT) | instid1(VALU_DEP_1)
	v_exp_f32_e32 v78, v68
	v_exp_f32_e32 v72, v72
	v_cndmask_b32_e64 v68, 0, v71, s10
	v_fma_f32 v71, s24, v121, -v66
	s_delay_alu instid0(TRANS32_DEP_3) | instskip(SKIP_1) | instid1(VALU_DEP_2)
	v_cndmask_b32_e64 v69, 0, v70, s9
	v_fma_f32 v70, s24, v120, -v66
	v_add_f32_e32 v67, v67, v69
	s_delay_alu instid0(VALU_DEP_2) | instskip(NEXT) | instid1(TRANS32_DEP_2)
	v_mul_f32_e32 v79, 0x3fb8aa3b, v70
	v_cndmask_b32_e64 v70, 0, v78, s11
	v_mul_f32_e32 v78, 0x3fb8aa3b, v71
	s_delay_alu instid0(TRANS32_DEP_1) | instskip(SKIP_4) | instid1(VALU_DEP_2)
	v_cndmask_b32_e64 v71, 0, v72, s12
	v_add_f32_e32 v67, v67, v68
	v_exp_f32_e32 v79, v79
	v_cndmask_b32_e64 v72, 0, v77, s13
	v_exp_f32_e32 v78, v78
	v_add_f32_e32 v67, v67, v70
	s_waitcnt_depctr 0xfff
	v_cndmask_b32_e64 v77, 0, v79, s16
	v_exp_f32_e32 v79, v88
	v_dual_add_f32 v67, v67, v71 :: v_dual_and_b32 v88, 31, v0
	v_cndmask_b32_e64 v78, 0, v78, s17
	s_delay_alu instid0(VALU_DEP_2) | instskip(NEXT) | instid1(VALU_DEP_3)
	v_cmp_lt_u32_e64 s2, 15, v88
	v_add_f32_e32 v67, v67, v72
	s_waitcnt_depctr 0xfff
	v_cndmask_b32_e64 v79, 0, v79, s18
	v_add_f32_e32 v67, v67, v77
	s_delay_alu instid0(VALU_DEP_1) | instskip(NEXT) | instid1(VALU_DEP_1)
	v_add_f32_e32 v67, v67, v78
	v_add_f32_e32 v67, v67, v79
	ds_bpermute_b32 v81, v81, v67
	v_cmpx_gt_u32_e32 16, v88
	s_cbranch_execz .LBB1362_11
; %bb.10:
	v_mul_u32_u24_e32 v88, 0x44, v65
	s_waitcnt lgkmcnt(0)
	v_add_f32_e32 v67, v67, v81
	s_delay_alu instid0(VALU_DEP_2) | instskip(NEXT) | instid1(VALU_DEP_1)
	v_lshl_add_u32 v88, v73, 2, v88
	v_add_nc_u32_e32 v81, 0x4000, v88
	ds_store_2addr_b32 v81, v66, v67 offset1:136
.LBB1362_11:
	s_or_b32 exec_lo, exec_lo, s3
	v_lshlrev_b32_e32 v66, 2, v73
	s_waitcnt lgkmcnt(0)
	s_barrier
	buffer_gl0_inv
	v_cmp_eq_u32_e32 vcc_lo, 1, v65
	v_add_nc_u32_e32 v81, 0x4000, v66
	v_cmp_eq_u32_e64 s3, 2, v65
	v_cmp_eq_u32_e64 s5, 7, v65
	ds_load_2addr_b32 v[88:89], v81 offset1:17
	ds_load_2addr_b32 v[90:91], v81 offset0:34 offset1:51
	ds_load_2addr_b32 v[92:93], v81 offset0:68 offset1:85
	;; [unrolled: 1-line block ×4, first 2 shown]
	s_waitcnt lgkmcnt(4)
	v_max3_f32 v66, v88, 0xff7fffff, v89
	s_waitcnt lgkmcnt(3)
	s_delay_alu instid0(VALU_DEP_1) | instskip(SKIP_1) | instid1(VALU_DEP_1)
	v_max3_f32 v66, v66, v90, v91
	s_waitcnt lgkmcnt(2)
	v_max3_f32 v66, v66, v92, v93
	s_waitcnt lgkmcnt(1)
	s_delay_alu instid0(VALU_DEP_1) | instskip(NEXT) | instid1(VALU_DEP_1)
	v_max3_f32 v66, v66, v94, v95
	v_sub_f32_e32 v92, v92, v66
	s_delay_alu instid0(VALU_DEP_1) | instskip(NEXT) | instid1(VALU_DEP_1)
	v_dual_sub_f32 v67, v88, v66 :: v_dual_mul_f32 v102, 0x3fb8aa3b, v92
	v_mul_f32_e32 v67, 0x3fb8aa3b, v67
	s_delay_alu instid0(VALU_DEP_1)
	v_exp_f32_e32 v99, v67
	v_sub_f32_e32 v67, v91, v66
	v_sub_f32_e32 v98, v89, v66
	ds_load_2addr_b32 v[88:89], v81 offset0:170 offset1:187
	v_dual_mul_f32 v101, 0x3fb8aa3b, v67 :: v_dual_mul_f32 v98, 0x3fb8aa3b, v98
	s_waitcnt lgkmcnt(1)
	v_fma_f32 v67, v99, v96, 0
	s_delay_alu instid0(VALU_DEP_2) | instskip(NEXT) | instid1(VALU_DEP_2)
	v_exp_f32_e32 v101, v101
	v_exp_f32_e32 v98, v98
	s_waitcnt_depctr 0xfff
	v_fmac_f32_e32 v67, v98, v97
	v_sub_f32_e32 v90, v90, v66
	s_delay_alu instid0(VALU_DEP_1)
	v_mul_f32_e32 v100, 0x3fb8aa3b, v90
	ds_load_2addr_b32 v[90:91], v81 offset0:204 offset1:221
	v_sub_f32_e32 v96, v93, v66
	ds_load_2addr_b32 v[92:93], v81 offset0:238 offset1:255
	s_waitcnt lgkmcnt(0)
	v_exp_f32_e32 v100, v100
	s_barrier
	buffer_gl0_inv
	v_dual_fmac_f32 v67, v100, v88 :: v_dual_sub_f32 v88, v95, v66
	v_dual_sub_f32 v81, v94, v66 :: v_dual_mul_f32 v94, 0x3fb8aa3b, v96
	v_exp_f32_e32 v96, v102
	s_delay_alu instid0(VALU_DEP_2) | instskip(NEXT) | instid1(VALU_DEP_2)
	v_dual_fmac_f32 v67, v101, v89 :: v_dual_mul_f32 v88, 0x3fb8aa3b, v88
	v_mul_f32_e32 v81, 0x3fb8aa3b, v81
	s_delay_alu instid0(VALU_DEP_3) | instskip(NEXT) | instid1(VALU_DEP_2)
	v_exp_f32_e32 v94, v94
	v_exp_f32_e32 v88, v88
	s_delay_alu instid0(VALU_DEP_1)
	v_exp_f32_e32 v81, v81
	v_fmac_f32_e32 v67, v96, v90
	s_delay_alu instid0(TRANS32_DEP_3) | instid1(VALU_DEP_1)
	v_fmac_f32_e32 v67, v94, v91
	s_waitcnt_depctr 0xfff
	v_fmac_f32_e32 v67, v81, v92
	s_delay_alu instid0(VALU_DEP_1) | instskip(NEXT) | instid1(VALU_DEP_1)
	v_fmac_f32_e32 v67, v88, v93
	v_add_f32_e32 v89, 0x358637bd, v67
	s_delay_alu instid0(VALU_DEP_1) | instskip(NEXT) | instid1(VALU_DEP_1)
	v_div_scale_f32 v90, null, v89, v89, 1.0
	v_rcp_f32_e32 v91, v90
	s_waitcnt_depctr 0xfff
	v_fma_f32 v92, -v90, v91, 1.0
	s_delay_alu instid0(VALU_DEP_1) | instskip(SKIP_1) | instid1(VALU_DEP_2)
	v_dual_fmac_f32 v91, v92, v91 :: v_dual_cndmask_b32 v92, v99, v98
	v_cmp_eq_u32_e32 vcc_lo, 3, v65
	v_cndmask_b32_e64 v92, v92, v100, s3
	v_cmp_eq_u32_e64 s3, 4, v65
	s_delay_alu instid0(VALU_DEP_2) | instskip(SKIP_1) | instid1(VALU_DEP_2)
	v_cndmask_b32_e32 v92, v92, v101, vcc_lo
	v_cmp_eq_u32_e32 vcc_lo, 5, v65
	v_cndmask_b32_e64 v92, v92, v96, s3
	v_cmp_eq_u32_e64 s3, 6, v65
	s_delay_alu instid0(VALU_DEP_2) | instskip(SKIP_1) | instid1(VALU_DEP_1)
	v_cndmask_b32_e32 v92, v92, v94, vcc_lo
	v_div_scale_f32 v93, s4, 1.0, v89, 1.0
	s_mov_b32 vcc_lo, s4
	s_delay_alu instid0(VALU_DEP_2) | instskip(NEXT) | instid1(VALU_DEP_2)
	v_cndmask_b32_e64 v81, v92, v81, s3
	v_mul_f32_e32 v95, v93, v91
	s_mov_b32 s3, exec_lo
	s_delay_alu instid0(VALU_DEP_2) | instskip(NEXT) | instid1(VALU_DEP_2)
	v_cndmask_b32_e64 v81, v81, v88, s5
	v_fma_f32 v97, -v90, v95, v93
	s_delay_alu instid0(VALU_DEP_1) | instskip(NEXT) | instid1(VALU_DEP_1)
	v_fmac_f32_e32 v95, v97, v91
	v_fma_f32 v90, -v90, v95, v93
	s_delay_alu instid0(VALU_DEP_1) | instskip(NEXT) | instid1(VALU_DEP_1)
	v_div_fmas_f32 v90, v90, v91, v95
	v_div_fixup_f32 v89, v90, v89, 1.0
	s_delay_alu instid0(VALU_DEP_1) | instskip(NEXT) | instid1(VALU_DEP_1)
	v_mul_f32_e32 v81, v81, v89
	v_mul_f32_e32 v89, v81, v80
	;; [unrolled: 1-line block ×6, first 2 shown]
	v_and_b32_e32 v90, 0x7f800000, v89
	v_mul_f32_e32 v88, v81, v84
	v_mul_f32_e32 v85, v81, v82
	;; [unrolled: 1-line block ×3, first 2 shown]
                                        ; implicit-def: $vgpr76
	s_delay_alu instid0(VALU_DEP_4)
	v_cmpx_ne_u32_e32 0x7f800000, v90
	s_xor_b32 s3, exec_lo, s3
; %bb.12:
	v_bfe_u32 v76, v89, 16, 1
	s_delay_alu instid0(VALU_DEP_1)
	v_add3_u32 v76, v89, v76, 0x7fff
                                        ; implicit-def: $vgpr89
; %bb.13:
	s_and_not1_saveexec_b32 s3, s3
; %bb.14:
	v_and_b32_e32 v76, 0xffff, v89
	v_or_b32_e32 v82, 0x10000, v89
	s_delay_alu instid0(VALU_DEP_2) | instskip(NEXT) | instid1(VALU_DEP_2)
	v_cmp_eq_u32_e32 vcc_lo, 0, v76
	v_cndmask_b32_e32 v76, v82, v89, vcc_lo
; %bb.15:
	s_or_b32 exec_lo, exec_lo, s3
	v_and_b32_e32 v82, 0x7f800000, v84
	s_delay_alu instid0(VALU_DEP_1) | instskip(SKIP_1) | instid1(SALU_CYCLE_1)
	v_cmp_ne_u32_e32 vcc_lo, 0x7f800000, v82
                                        ; implicit-def: $vgpr82
	s_and_saveexec_b32 s3, vcc_lo
	s_xor_b32 s3, exec_lo, s3
; %bb.16:
	v_bfe_u32 v82, v84, 16, 1
	s_delay_alu instid0(VALU_DEP_1)
	v_add3_u32 v82, v84, v82, 0x7fff
                                        ; implicit-def: $vgpr84
; %bb.17:
	s_and_not1_saveexec_b32 s3, s3
; %bb.18:
	v_and_b32_e32 v82, 0xffff, v84
	v_or_b32_e32 v89, 0x10000, v84
	s_delay_alu instid0(VALU_DEP_2) | instskip(NEXT) | instid1(VALU_DEP_2)
	v_cmp_eq_u32_e32 vcc_lo, 0, v82
	v_cndmask_b32_e32 v82, v89, v84, vcc_lo
; %bb.19:
	s_or_b32 exec_lo, exec_lo, s3
	v_and_b32_e32 v84, 0x7f800000, v85
	s_delay_alu instid0(VALU_DEP_1) | instskip(SKIP_1) | instid1(SALU_CYCLE_1)
	v_cmp_ne_u32_e32 vcc_lo, 0x7f800000, v84
                                        ; implicit-def: $vgpr84
	s_and_saveexec_b32 s3, vcc_lo
	s_xor_b32 s3, exec_lo, s3
; %bb.20:
	v_bfe_u32 v84, v85, 16, 1
	s_delay_alu instid0(VALU_DEP_1)
	v_add3_u32 v84, v85, v84, 0x7fff
                                        ; implicit-def: $vgpr85
; %bb.21:
	s_and_not1_saveexec_b32 s3, s3
; %bb.22:
	v_and_b32_e32 v84, 0xffff, v85
	v_or_b32_e32 v89, 0x10000, v85
	s_delay_alu instid0(VALU_DEP_2) | instskip(NEXT) | instid1(VALU_DEP_2)
	v_cmp_eq_u32_e32 vcc_lo, 0, v84
	v_cndmask_b32_e32 v84, v89, v85, vcc_lo
; %bb.23:
	s_or_b32 exec_lo, exec_lo, s3
	v_and_b32_e32 v85, 0x7f800000, v88
	s_delay_alu instid0(VALU_DEP_1) | instskip(SKIP_1) | instid1(SALU_CYCLE_1)
	v_cmp_ne_u32_e32 vcc_lo, 0x7f800000, v85
                                        ; implicit-def: $vgpr85
	s_and_saveexec_b32 s3, vcc_lo
	s_xor_b32 s3, exec_lo, s3
; %bb.24:
	v_bfe_u32 v85, v88, 16, 1
	s_delay_alu instid0(VALU_DEP_1)
	v_add3_u32 v85, v88, v85, 0x7fff
                                        ; implicit-def: $vgpr88
; %bb.25:
	s_and_not1_saveexec_b32 s3, s3
; %bb.26:
	v_and_b32_e32 v85, 0xffff, v88
	v_or_b32_e32 v89, 0x10000, v88
	s_delay_alu instid0(VALU_DEP_2) | instskip(NEXT) | instid1(VALU_DEP_2)
	v_cmp_eq_u32_e32 vcc_lo, 0, v85
	v_cndmask_b32_e32 v85, v89, v88, vcc_lo
; %bb.27:
	s_or_b32 exec_lo, exec_lo, s3
	v_and_b32_e32 v88, 0x7f800000, v87
	s_delay_alu instid0(VALU_DEP_1) | instskip(SKIP_1) | instid1(SALU_CYCLE_1)
	v_cmp_ne_u32_e32 vcc_lo, 0x7f800000, v88
                                        ; implicit-def: $vgpr88
	s_and_saveexec_b32 s3, vcc_lo
	s_xor_b32 s3, exec_lo, s3
; %bb.28:
	v_bfe_u32 v88, v87, 16, 1
	s_delay_alu instid0(VALU_DEP_1)
	v_add3_u32 v88, v87, v88, 0x7fff
                                        ; implicit-def: $vgpr87
; %bb.29:
	s_and_not1_saveexec_b32 s3, s3
; %bb.30:
	v_and_b32_e32 v88, 0xffff, v87
	v_or_b32_e32 v89, 0x10000, v87
	s_delay_alu instid0(VALU_DEP_2) | instskip(NEXT) | instid1(VALU_DEP_2)
	v_cmp_eq_u32_e32 vcc_lo, 0, v88
	v_cndmask_b32_e32 v88, v89, v87, vcc_lo
; %bb.31:
	s_or_b32 exec_lo, exec_lo, s3
	v_and_b32_e32 v87, 0x7f800000, v86
	s_delay_alu instid0(VALU_DEP_1) | instskip(SKIP_1) | instid1(SALU_CYCLE_1)
	v_cmp_ne_u32_e32 vcc_lo, 0x7f800000, v87
                                        ; implicit-def: $vgpr87
	s_and_saveexec_b32 s3, vcc_lo
	s_xor_b32 s3, exec_lo, s3
; %bb.32:
	v_bfe_u32 v87, v86, 16, 1
	s_delay_alu instid0(VALU_DEP_1)
	v_add3_u32 v87, v86, v87, 0x7fff
                                        ; implicit-def: $vgpr86
; %bb.33:
	s_and_not1_saveexec_b32 s3, s3
; %bb.34:
	v_and_b32_e32 v87, 0xffff, v86
	v_or_b32_e32 v89, 0x10000, v86
	s_delay_alu instid0(VALU_DEP_2) | instskip(NEXT) | instid1(VALU_DEP_2)
	v_cmp_eq_u32_e32 vcc_lo, 0, v87
	v_cndmask_b32_e32 v87, v89, v86, vcc_lo
; %bb.35:
	s_or_b32 exec_lo, exec_lo, s3
	v_and_b32_e32 v86, 0x7f800000, v83
	s_delay_alu instid0(VALU_DEP_1) | instskip(SKIP_1) | instid1(SALU_CYCLE_1)
	v_cmp_ne_u32_e32 vcc_lo, 0x7f800000, v86
                                        ; implicit-def: $vgpr86
	s_and_saveexec_b32 s3, vcc_lo
	s_xor_b32 s3, exec_lo, s3
; %bb.36:
	v_bfe_u32 v86, v83, 16, 1
	s_delay_alu instid0(VALU_DEP_1)
	v_add3_u32 v86, v83, v86, 0x7fff
                                        ; implicit-def: $vgpr83
; %bb.37:
	s_and_not1_saveexec_b32 s3, s3
; %bb.38:
	v_and_b32_e32 v86, 0xffff, v83
	v_or_b32_e32 v89, 0x10000, v83
	s_delay_alu instid0(VALU_DEP_2) | instskip(NEXT) | instid1(VALU_DEP_2)
	v_cmp_eq_u32_e32 vcc_lo, 0, v86
	v_cndmask_b32_e32 v86, v89, v83, vcc_lo
; %bb.39:
	s_or_b32 exec_lo, exec_lo, s3
	v_and_b32_e32 v83, 0x7f800000, v80
	s_delay_alu instid0(VALU_DEP_1) | instskip(SKIP_1) | instid1(SALU_CYCLE_1)
	v_cmp_ne_u32_e32 vcc_lo, 0x7f800000, v83
                                        ; implicit-def: $vgpr83
	s_and_saveexec_b32 s3, vcc_lo
	s_xor_b32 s3, exec_lo, s3
; %bb.40:
	v_bfe_u32 v83, v80, 16, 1
	s_delay_alu instid0(VALU_DEP_1)
	v_add3_u32 v83, v80, v83, 0x7fff
                                        ; implicit-def: $vgpr80
; %bb.41:
	s_and_not1_saveexec_b32 s3, s3
; %bb.42:
	v_and_b32_e32 v83, 0xffff, v80
	v_or_b32_e32 v89, 0x10000, v80
	s_delay_alu instid0(VALU_DEP_2) | instskip(NEXT) | instid1(VALU_DEP_2)
	v_cmp_eq_u32_e32 vcc_lo, 0, v83
	v_cndmask_b32_e32 v83, v89, v80, vcc_lo
; %bb.43:
	s_or_b32 exec_lo, exec_lo, s3
	s_load_b64 s[36:37], s[0:1], 0x94
	v_lshlrev_b32_e32 v90, 4, v75
	s_delay_alu instid0(VALU_DEP_2)
	v_perm_b32 v89, v83, v86, 0x7060302
	v_mul_f32_e32 v83, v81, v69
	v_dual_mul_f32 v69, v81, v79 :: v_dual_lshlrev_b32 v80, 6, v73
	v_dual_mul_f32 v78, v81, v78 :: v_dual_lshlrev_b32 v91, 11, v65
	v_perm_b32 v88, v87, v88, 0x7060302
	v_perm_b32 v87, v85, v84, 0x7060302
	v_perm_b32 v86, v82, v76, 0x7060302
	s_delay_alu instid0(VALU_DEP_4)
	v_or3_b32 v76, v90, v91, v80
	v_dual_mul_f32 v77, v81, v77 :: v_dual_and_b32 v84, 0x7f800000, v83
	v_mul_f32_e32 v72, v81, v72
	v_mul_f32_e32 v82, v81, v71
	;; [unrolled: 1-line block ×4, first 2 shown]
	s_mov_b32 s3, exec_lo
	ds_store_b128 v76, v[86:89]
                                        ; implicit-def: $vgpr68
	v_cmpx_ne_u32_e32 0x7f800000, v84
	s_xor_b32 s3, exec_lo, s3
; %bb.44:
	v_bfe_u32 v68, v83, 16, 1
	s_delay_alu instid0(VALU_DEP_1)
	v_add3_u32 v68, v83, v68, 0x7fff
                                        ; implicit-def: $vgpr83
; %bb.45:
	s_and_not1_saveexec_b32 s3, s3
; %bb.46:
	v_and_b32_e32 v68, 0xffff, v83
	v_or_b32_e32 v70, 0x10000, v83
	s_delay_alu instid0(VALU_DEP_2) | instskip(NEXT) | instid1(VALU_DEP_2)
	v_cmp_eq_u32_e32 vcc_lo, 0, v68
	v_cndmask_b32_e32 v68, v70, v83, vcc_lo
; %bb.47:
	s_or_b32 exec_lo, exec_lo, s3
	v_and_b32_e32 v70, 0x7f800000, v71
	s_delay_alu instid0(VALU_DEP_1) | instskip(SKIP_1) | instid1(SALU_CYCLE_1)
	v_cmp_ne_u32_e32 vcc_lo, 0x7f800000, v70
                                        ; implicit-def: $vgpr70
	s_and_saveexec_b32 s3, vcc_lo
	s_xor_b32 s3, exec_lo, s3
; %bb.48:
	v_bfe_u32 v70, v71, 16, 1
	s_delay_alu instid0(VALU_DEP_1)
	v_add3_u32 v70, v71, v70, 0x7fff
                                        ; implicit-def: $vgpr71
; %bb.49:
	s_and_not1_saveexec_b32 s3, s3
; %bb.50:
	v_and_b32_e32 v70, 0xffff, v71
	v_or_b32_e32 v81, 0x10000, v71
	s_delay_alu instid0(VALU_DEP_2) | instskip(NEXT) | instid1(VALU_DEP_2)
	v_cmp_eq_u32_e32 vcc_lo, 0, v70
	v_cndmask_b32_e32 v70, v81, v71, vcc_lo
; %bb.51:
	s_or_b32 exec_lo, exec_lo, s3
	v_and_b32_e32 v71, 0x7f800000, v79
	s_delay_alu instid0(VALU_DEP_1) | instskip(SKIP_1) | instid1(SALU_CYCLE_1)
	v_cmp_ne_u32_e32 vcc_lo, 0x7f800000, v71
                                        ; implicit-def: $vgpr71
	s_and_saveexec_b32 s3, vcc_lo
	s_xor_b32 s3, exec_lo, s3
; %bb.52:
	v_bfe_u32 v71, v79, 16, 1
	s_delay_alu instid0(VALU_DEP_1)
	v_add3_u32 v71, v79, v71, 0x7fff
                                        ; implicit-def: $vgpr79
; %bb.53:
	s_and_not1_saveexec_b32 s3, s3
; %bb.54:
	v_and_b32_e32 v71, 0xffff, v79
	v_or_b32_e32 v81, 0x10000, v79
	s_delay_alu instid0(VALU_DEP_2) | instskip(NEXT) | instid1(VALU_DEP_2)
	v_cmp_eq_u32_e32 vcc_lo, 0, v71
	v_cndmask_b32_e32 v71, v81, v79, vcc_lo
; %bb.55:
	s_or_b32 exec_lo, exec_lo, s3
	v_and_b32_e32 v79, 0x7f800000, v82
	s_delay_alu instid0(VALU_DEP_1) | instskip(SKIP_1) | instid1(SALU_CYCLE_1)
	v_cmp_ne_u32_e32 vcc_lo, 0x7f800000, v79
                                        ; implicit-def: $vgpr79
	s_and_saveexec_b32 s3, vcc_lo
	s_xor_b32 s3, exec_lo, s3
; %bb.56:
	v_bfe_u32 v79, v82, 16, 1
	s_delay_alu instid0(VALU_DEP_1)
	v_add3_u32 v79, v82, v79, 0x7fff
                                        ; implicit-def: $vgpr82
; %bb.57:
	s_and_not1_saveexec_b32 s3, s3
; %bb.58:
	v_and_b32_e32 v79, 0xffff, v82
	v_or_b32_e32 v81, 0x10000, v82
	s_delay_alu instid0(VALU_DEP_2) | instskip(NEXT) | instid1(VALU_DEP_2)
	v_cmp_eq_u32_e32 vcc_lo, 0, v79
	v_cndmask_b32_e32 v79, v81, v82, vcc_lo
; %bb.59:
	s_or_b32 exec_lo, exec_lo, s3
	v_and_b32_e32 v81, 0x7f800000, v72
	s_delay_alu instid0(VALU_DEP_1) | instskip(SKIP_1) | instid1(SALU_CYCLE_1)
	v_cmp_ne_u32_e32 vcc_lo, 0x7f800000, v81
                                        ; implicit-def: $vgpr81
	s_and_saveexec_b32 s3, vcc_lo
	s_xor_b32 s3, exec_lo, s3
; %bb.60:
	v_bfe_u32 v81, v72, 16, 1
	s_delay_alu instid0(VALU_DEP_1)
	v_add3_u32 v81, v72, v81, 0x7fff
                                        ; implicit-def: $vgpr72
; %bb.61:
	s_and_not1_saveexec_b32 s3, s3
; %bb.62:
	v_and_b32_e32 v81, 0xffff, v72
	v_or_b32_e32 v82, 0x10000, v72
	s_delay_alu instid0(VALU_DEP_2) | instskip(NEXT) | instid1(VALU_DEP_2)
	v_cmp_eq_u32_e32 vcc_lo, 0, v81
	v_cndmask_b32_e32 v81, v82, v72, vcc_lo
; %bb.63:
	s_or_b32 exec_lo, exec_lo, s3
	v_and_b32_e32 v72, 0x7f800000, v77
	s_delay_alu instid0(VALU_DEP_1) | instskip(SKIP_1) | instid1(SALU_CYCLE_1)
	v_cmp_ne_u32_e32 vcc_lo, 0x7f800000, v72
                                        ; implicit-def: $vgpr72
	s_and_saveexec_b32 s3, vcc_lo
	s_xor_b32 s3, exec_lo, s3
; %bb.64:
	v_bfe_u32 v72, v77, 16, 1
	s_delay_alu instid0(VALU_DEP_1)
	v_add3_u32 v72, v77, v72, 0x7fff
                                        ; implicit-def: $vgpr77
; %bb.65:
	s_and_not1_saveexec_b32 s3, s3
; %bb.66:
	v_and_b32_e32 v72, 0xffff, v77
	v_or_b32_e32 v82, 0x10000, v77
	s_delay_alu instid0(VALU_DEP_2) | instskip(NEXT) | instid1(VALU_DEP_2)
	v_cmp_eq_u32_e32 vcc_lo, 0, v72
	v_cndmask_b32_e32 v72, v82, v77, vcc_lo
; %bb.67:
	s_or_b32 exec_lo, exec_lo, s3
	v_and_b32_e32 v77, 0x7f800000, v78
	s_delay_alu instid0(VALU_DEP_1) | instskip(SKIP_1) | instid1(SALU_CYCLE_1)
	v_cmp_ne_u32_e32 vcc_lo, 0x7f800000, v77
                                        ; implicit-def: $vgpr77
	s_and_saveexec_b32 s3, vcc_lo
	s_xor_b32 s3, exec_lo, s3
; %bb.68:
	v_bfe_u32 v77, v78, 16, 1
	s_delay_alu instid0(VALU_DEP_1)
	v_add3_u32 v77, v78, v77, 0x7fff
                                        ; implicit-def: $vgpr78
; %bb.69:
	s_and_not1_saveexec_b32 s3, s3
; %bb.70:
	v_and_b32_e32 v77, 0xffff, v78
	v_or_b32_e32 v82, 0x10000, v78
	s_delay_alu instid0(VALU_DEP_2) | instskip(NEXT) | instid1(VALU_DEP_2)
	v_cmp_eq_u32_e32 vcc_lo, 0, v77
	v_cndmask_b32_e32 v77, v82, v78, vcc_lo
; %bb.71:
	s_or_b32 exec_lo, exec_lo, s3
	v_and_b32_e32 v78, 0x7f800000, v69
	s_delay_alu instid0(VALU_DEP_1) | instskip(SKIP_1) | instid1(SALU_CYCLE_1)
	v_cmp_ne_u32_e32 vcc_lo, 0x7f800000, v78
                                        ; implicit-def: $vgpr78
	s_and_saveexec_b32 s3, vcc_lo
	s_xor_b32 s3, exec_lo, s3
; %bb.72:
	v_bfe_u32 v78, v69, 16, 1
	s_delay_alu instid0(VALU_DEP_1)
	v_add3_u32 v78, v69, v78, 0x7fff
                                        ; implicit-def: $vgpr69
; %bb.73:
	s_and_not1_saveexec_b32 s3, s3
; %bb.74:
	v_and_b32_e32 v78, 0xffff, v69
	v_or_b32_e32 v82, 0x10000, v69
	s_delay_alu instid0(VALU_DEP_2) | instskip(NEXT) | instid1(VALU_DEP_2)
	v_cmp_eq_u32_e32 vcc_lo, 0, v78
	v_cndmask_b32_e32 v78, v82, v69, vcc_lo
; %bb.75:
	s_or_b32 exec_lo, exec_lo, s3
	s_delay_alu instid0(VALU_DEP_1)
	v_perm_b32 v86, v78, v77, 0x7060302
	v_perm_b32 v85, v72, v81, 0x7060302
	;; [unrolled: 1-line block ×4, first 2 shown]
	v_lshl_or_b32 v82, v65, 11, v80
	ds_store_b128 v76, v[83:86] offset:1024
	s_waitcnt lgkmcnt(0)
	s_barrier
	buffer_gl0_inv
	ds_load_b128 v[68:71], v82
	ds_load_b128 v[83:86], v82 offset:16
	s_waitcnt lgkmcnt(1)
	v_lshrrev_b32_e32 v65, 16, v68
	v_lshlrev_b32_e32 v78, 2, v75
	s_waitcnt lgkmcnt(0)
	v_lshrrev_b32_e32 v91, 16, v83
	v_lshrrev_b32_e32 v72, 16, v69
	;; [unrolled: 1-line block ×4, first 2 shown]
	v_cmp_eq_u32_e32 vcc_lo, 1, v78
	v_lshrrev_b32_e32 v98, 16, v85
	v_lshrrev_b32_e32 v96, 16, v71
	;; [unrolled: 1-line block ×3, first 2 shown]
	v_cndmask_b32_e32 v81, v68, v65, vcc_lo
	v_or_b32_e32 v79, 1, v78
	v_cmp_eq_u32_e64 s4, 2, v78
	v_cndmask_b32_e32 v87, v83, v91, vcc_lo
	v_cmp_eq_u32_e64 s7, 3, v78
	v_cmp_eq_u32_e64 s9, 4, v78
	v_cmp_eq_u32_e64 s3, 1, v79
	v_cndmask_b32_e64 v81, v81, v69, s4
	v_cmp_eq_u32_e64 s6, 2, v79
	v_cndmask_b32_e64 v87, v87, v84, s4
	v_cmp_eq_u32_e64 s8, 3, v79
	v_cndmask_b32_e64 v88, v68, v65, s3
	v_cndmask_b32_e64 v81, v81, v72, s7
	v_or_b32_e32 v77, 2, v78
	v_cndmask_b32_e64 v87, v87, v97, s7
	v_cndmask_b32_e64 v89, v83, v91, s3
	;; [unrolled: 1-line block ×4, first 2 shown]
	v_cmp_eq_u32_e64 s10, 5, v78
	v_cndmask_b32_e64 v87, v87, v85, s9
	v_cmp_eq_u32_e64 s11, 4, v79
	v_cndmask_b32_e64 v88, v88, v72, s8
	;; [unrolled: 2-line block ×3, first 2 shown]
	v_cndmask_b32_e64 v81, v81, v95, s10
	v_cmp_eq_u32_e64 s12, 6, v78
	v_cndmask_b32_e64 v88, v88, v70, s11
	v_cndmask_b32_e64 v87, v87, v98, s10
	v_cmp_eq_u32_e64 s13, 5, v79
	v_cndmask_b32_e64 v90, v68, v65, s5
	v_cndmask_b32_e64 v89, v89, v97, s8
	;; [unrolled: 1-line block ×3, first 2 shown]
	v_cmp_eq_u32_e64 s16, 7, v78
	v_cndmask_b32_e64 v88, v88, v95, s13
	v_cndmask_b32_e64 v87, v87, v86, s12
	v_cmp_eq_u32_e64 s17, 6, v79
	v_cmp_eq_u32_e64 s18, 2, v77
	v_cndmask_b32_e64 v89, v89, v85, s11
	v_cndmask_b32_e64 v100, v81, v96, s16
	;; [unrolled: 1-line block ×6, first 2 shown]
	v_cmp_eq_u32_e64 s19, 7, v79
	v_cmp_eq_u32_e64 s20, 3, v77
	;; [unrolled: 1-line block ×4, first 2 shown]
	v_cndmask_b32_e64 v87, v87, v84, s18
	v_cndmask_b32_e64 v102, v88, v96, s19
	;; [unrolled: 1-line block ×4, first 2 shown]
	v_or_b32_e32 v81, 3, v78
	v_cndmask_b32_e64 v93, v87, v97, s20
	v_cmp_eq_u32_e64 s25, 6, v77
	v_cndmask_b32_e64 v103, v88, v86, s17
	v_cndmask_b32_e64 v92, v89, v70, s21
	v_cmp_eq_u32_e64 s22, 1, v81
	ds_load_b128 v[87:90], v82 offset:1024
	v_cmp_eq_u32_e64 s24, 2, v81
	v_cmp_eq_u32_e64 s26, 3, v81
	v_cndmask_b32_e64 v104, v92, v95, s23
	v_cndmask_b32_e64 v65, v68, v65, s22
	;; [unrolled: 1-line block ×4, first 2 shown]
	ds_load_b128 v[91:94], v82 offset:1040
	v_cmp_eq_u32_e64 s27, 4, v81
	v_cndmask_b32_e64 v65, v65, v69, s24
	v_cmp_eq_u32_e64 s29, 5, v81
	v_cndmask_b32_e64 v69, v83, v84, s24
	v_cmp_eq_u32_e64 s28, 7, v77
	v_cmp_eq_u32_e64 s30, 6, v81
	v_cndmask_b32_e64 v65, v65, v72, s26
	v_cndmask_b32_e64 v72, v104, v71, s25
	;; [unrolled: 1-line block ×6, first 2 shown]
	s_waitcnt lgkmcnt(1)
	v_lshrrev_b32_e32 v84, 16, v87
	v_cndmask_b32_e64 v69, v69, v85, s27
	v_cndmask_b32_e64 v70, v72, v96, s28
	;; [unrolled: 1-line block ×4, first 2 shown]
	v_lshrrev_b32_e32 v95, 16, v88
	v_cndmask_b32_e64 v69, v69, v98, s29
	s_waitcnt lgkmcnt(0)
	v_lshrrev_b32_e32 v85, 16, v91
	v_cndmask_b32_e64 v97, v87, v84, s3
	v_cndmask_b32_e64 v65, v65, v71, s30
	;; [unrolled: 1-line block ×4, first 2 shown]
	v_cndmask_b32_e32 v72, v87, v84, vcc_lo
	v_cndmask_b32_e32 v98, v91, v85, vcc_lo
	v_cmp_eq_u32_e32 vcc_lo, 7, v81
	v_perm_b32 v70, v68, v70, 0x5040100
	v_cndmask_b32_e32 v65, v65, v96, vcc_lo
	v_cndmask_b32_e32 v69, v69, v99, vcc_lo
	v_cndmask_b32_e64 v72, v72, v88, s4
	v_cndmask_b32_e64 v86, v98, v92, s4
	v_lshrrev_b32_e32 v99, 16, v93
	v_lshrrev_b32_e32 v98, 16, v89
	s_delay_alu instid0(VALU_DEP_4) | instskip(SKIP_2) | instid1(VALU_DEP_3)
	v_cndmask_b32_e64 v71, v72, v95, s7
	v_cndmask_b32_e64 v72, v97, v88, s6
	v_lshrrev_b32_e32 v97, 16, v92
	v_cndmask_b32_e64 v71, v71, v89, s9
	s_delay_alu instid0(VALU_DEP_3) | instskip(NEXT) | instid1(VALU_DEP_3)
	v_cndmask_b32_e64 v72, v72, v95, s8
	v_cndmask_b32_e64 v86, v86, v97, s7
	s_delay_alu instid0(VALU_DEP_3) | instskip(SKIP_1) | instid1(VALU_DEP_3)
	v_cndmask_b32_e64 v96, v71, v98, s10
	v_perm_b32 v71, v69, v65, 0x5040100
	v_cndmask_b32_e64 v86, v86, v93, s9
	v_perm_b32 v69, v83, v102, 0x5040100
	v_cndmask_b32_e64 v102, v91, v85, s5
	v_cndmask_b32_e64 v72, v72, v89, s11
	v_lshrrev_b32_e32 v83, 16, v94
	v_cndmask_b32_e64 v86, v86, v99, s10
	s_delay_alu instid0(VALU_DEP_3) | instskip(SKIP_1) | instid1(VALU_DEP_3)
	v_cndmask_b32_e64 v65, v72, v98, s13
	v_cndmask_b32_e64 v72, v96, v90, s12
	v_cndmask_b32_e64 v68, v86, v94, s12
	v_cndmask_b32_e64 v86, v87, v84, s5
	v_cndmask_b32_e64 v84, v87, v84, s22
	v_cndmask_b32_e64 v87, v91, v85, s22
	v_cndmask_b32_e64 v85, v91, v85, s3
	v_lshrrev_b32_e32 v96, 16, v90
	v_cndmask_b32_e64 v86, v86, v88, s18
	v_cndmask_b32_e64 v84, v84, v88, s24
	;; [unrolled: 1-line block ×29, first 2 shown]
	v_cndmask_b32_e32 v84, v84, v96, vcc_lo
	v_cndmask_b32_e32 v86, v87, v83, vcc_lo
	v_cndmask_b32_e64 v87, v88, v83, s28
	v_cndmask_b32_e64 v88, v85, v83, s19
	;; [unrolled: 1-line block ×3, first 2 shown]
	v_perm_b32 v68, v101, v100, 0x5040100
	v_perm_b32 v86, v86, v84, 0x5040100
	;; [unrolled: 1-line block ×5, first 2 shown]
	s_mov_b32 s3, exec_lo
	ds_store_b128 v76, v[68:71]
	ds_store_b128 v76, v[83:86] offset:1024
	v_cmpx_eq_u32_e32 0, v0
	s_cbranch_execz .LBB1362_77
; %bb.76:
	s_load_b128 s[4:7], s[0:1], 0x58
	s_mul_i32 s8, s37, s34
	v_mov_b32_e32 v65, 0
	s_add_i32 s8, s8, s15
	s_delay_alu instid0(SALU_CYCLE_1) | instskip(NEXT) | instid1(SALU_CYCLE_1)
	s_mul_i32 s8, s8, s36
	s_add_i32 s8, s8, s14
	s_delay_alu instid0(SALU_CYCLE_1) | instskip(NEXT) | instid1(SALU_CYCLE_1)
	s_ashr_i32 s9, s8, 31
	s_lshl_b64 s[8:9], s[8:9], 2
	s_waitcnt lgkmcnt(0)
	s_add_u32 s6, s6, s8
	s_addc_u32 s7, s7, s9
	s_add_u32 s4, s4, s8
	s_addc_u32 s5, s5, s9
	s_clause 0x1
	global_store_b32 v65, v66, s[6:7]
	global_store_b32 v65, v67, s[4:5]
.LBB1362_77:
	s_or_b32 exec_lo, exec_lo, s3
	s_waitcnt lgkmcnt(0)
	s_waitcnt_vscnt null, 0x0
	s_barrier
	buffer_gl0_inv
	ds_load_b128 v[83:86], v80
	ds_load_b128 v[87:90], v80 offset:16
	ds_load_b128 v[95:98], v80 offset:2064
	;; [unrolled: 1-line block ×3, first 2 shown]
	v_mov_b32_e32 v65, 0
	ds_load_b128 v[103:106], v80 offset:4112
	ds_load_b128 v[99:102], v80 offset:4096
	;; [unrolled: 1-line block ×4, first 2 shown]
	v_mov_b32_e32 v66, v65
	v_mov_b32_e32 v67, v65
	v_mov_b32_e32 v68, v65
	v_mov_b32_e32 v69, v65
	v_mov_b32_e32 v70, v65
	v_mov_b32_e32 v71, v65
	v_mov_b32_e32 v72, v65
	s_waitcnt lgkmcnt(6)
	s_delay_alu instid0(VALU_DEP_1)
	v_wmma_f32_16x16x16_bf16 v[65:72], v[49:56], v[83:90], v[65:72]
	ds_load_b128 v[53:56], v80 offset:8208
	ds_load_b128 v[49:52], v80 offset:8192
	s_waitcnt lgkmcnt(6)
	v_wmma_f32_16x16x16_bf16 v[65:72], v[41:48], v[91:98], v[65:72]
	ds_load_b128 v[45:48], v80 offset:10256
	ds_load_b128 v[41:44], v80 offset:10240
	s_waitcnt lgkmcnt(6)
	;; [unrolled: 4-line block ×4, first 2 shown]
	v_wmma_f32_16x16x16_bf16 v[65:72], v[1:8], v[49:56], v[65:72]
	s_waitcnt lgkmcnt(4)
	s_delay_alu instid0(VALU_DEP_1) | instskip(SKIP_1) | instid1(VALU_DEP_1)
	v_wmma_f32_16x16x16_bf16 v[65:72], v[9:16], v[41:48], v[65:72]
	s_waitcnt lgkmcnt(2)
	v_wmma_f32_16x16x16_bf16 v[65:72], v[17:24], v[33:40], v[65:72]
	s_waitcnt lgkmcnt(0)
	s_delay_alu instid0(VALU_DEP_1) | instskip(NEXT) | instid1(VALU_DEP_1)
	v_wmma_f32_16x16x16_bf16 v[65:72], v[57:64], v[25:32], v[65:72]
	v_and_b32_e32 v1, 0x7f800000, v65
	s_delay_alu instid0(VALU_DEP_1) | instskip(SKIP_1) | instid1(SALU_CYCLE_1)
	v_cmp_ne_u32_e32 vcc_lo, 0x7f800000, v1
                                        ; implicit-def: $vgpr1
	s_and_saveexec_b32 s3, vcc_lo
	s_xor_b32 s3, exec_lo, s3
; %bb.78:
	v_bfe_u32 v1, v65, 16, 1
	s_delay_alu instid0(VALU_DEP_1)
	v_add3_u32 v1, v65, v1, 0x7fff
; %bb.79:
	s_and_not1_saveexec_b32 s3, s3
; %bb.80:
	v_and_b32_e32 v1, 0xffff, v65
	v_or_b32_e32 v2, 0x10000, v65
	s_delay_alu instid0(VALU_DEP_2) | instskip(NEXT) | instid1(VALU_DEP_2)
	v_cmp_eq_u32_e32 vcc_lo, 0, v1
	v_cndmask_b32_e32 v1, v2, v65, vcc_lo
; %bb.81:
	s_or_b32 exec_lo, exec_lo, s3
	v_and_b32_e32 v2, 0x7f800000, v66
	s_delay_alu instid0(VALU_DEP_1) | instskip(SKIP_1) | instid1(SALU_CYCLE_1)
	v_cmp_ne_u32_e32 vcc_lo, 0x7f800000, v2
                                        ; implicit-def: $vgpr2
	s_and_saveexec_b32 s3, vcc_lo
	s_xor_b32 s3, exec_lo, s3
; %bb.82:
	v_bfe_u32 v2, v66, 16, 1
	s_delay_alu instid0(VALU_DEP_1)
	v_add3_u32 v2, v66, v2, 0x7fff
; %bb.83:
	s_and_not1_saveexec_b32 s3, s3
; %bb.84:
	v_and_b32_e32 v2, 0xffff, v66
	v_or_b32_e32 v3, 0x10000, v66
	s_delay_alu instid0(VALU_DEP_2) | instskip(NEXT) | instid1(VALU_DEP_2)
	v_cmp_eq_u32_e32 vcc_lo, 0, v2
	v_cndmask_b32_e32 v2, v3, v66, vcc_lo
; %bb.85:
	s_or_b32 exec_lo, exec_lo, s3
	v_and_b32_e32 v3, 0x7f800000, v67
	s_delay_alu instid0(VALU_DEP_1) | instskip(SKIP_1) | instid1(SALU_CYCLE_1)
	v_cmp_ne_u32_e32 vcc_lo, 0x7f800000, v3
                                        ; implicit-def: $vgpr3
	s_and_saveexec_b32 s3, vcc_lo
	s_xor_b32 s3, exec_lo, s3
; %bb.86:
	v_bfe_u32 v3, v67, 16, 1
	s_delay_alu instid0(VALU_DEP_1)
	v_add3_u32 v3, v67, v3, 0x7fff
; %bb.87:
	s_and_not1_saveexec_b32 s3, s3
; %bb.88:
	v_and_b32_e32 v3, 0xffff, v67
	v_or_b32_e32 v4, 0x10000, v67
	s_delay_alu instid0(VALU_DEP_2) | instskip(NEXT) | instid1(VALU_DEP_2)
	v_cmp_eq_u32_e32 vcc_lo, 0, v3
	v_cndmask_b32_e32 v3, v4, v67, vcc_lo
; %bb.89:
	s_or_b32 exec_lo, exec_lo, s3
	v_and_b32_e32 v4, 0x7f800000, v68
	s_delay_alu instid0(VALU_DEP_1) | instskip(SKIP_1) | instid1(SALU_CYCLE_1)
	v_cmp_ne_u32_e32 vcc_lo, 0x7f800000, v4
                                        ; implicit-def: $vgpr4
	s_and_saveexec_b32 s3, vcc_lo
	s_xor_b32 s3, exec_lo, s3
; %bb.90:
	v_bfe_u32 v4, v68, 16, 1
	s_delay_alu instid0(VALU_DEP_1)
	v_add3_u32 v4, v68, v4, 0x7fff
; %bb.91:
	s_and_not1_saveexec_b32 s3, s3
; %bb.92:
	v_and_b32_e32 v4, 0xffff, v68
	v_or_b32_e32 v5, 0x10000, v68
	s_delay_alu instid0(VALU_DEP_2) | instskip(NEXT) | instid1(VALU_DEP_2)
	v_cmp_eq_u32_e32 vcc_lo, 0, v4
	v_cndmask_b32_e32 v4, v5, v68, vcc_lo
; %bb.93:
	s_or_b32 exec_lo, exec_lo, s3
	v_and_b32_e32 v5, 0x7f800000, v69
	s_delay_alu instid0(VALU_DEP_1) | instskip(SKIP_1) | instid1(SALU_CYCLE_1)
	v_cmp_ne_u32_e32 vcc_lo, 0x7f800000, v5
                                        ; implicit-def: $vgpr5
	s_and_saveexec_b32 s3, vcc_lo
	s_xor_b32 s3, exec_lo, s3
; %bb.94:
	v_bfe_u32 v5, v69, 16, 1
	s_delay_alu instid0(VALU_DEP_1)
	v_add3_u32 v5, v69, v5, 0x7fff
; %bb.95:
	s_and_not1_saveexec_b32 s3, s3
; %bb.96:
	v_and_b32_e32 v5, 0xffff, v69
	v_or_b32_e32 v6, 0x10000, v69
	s_delay_alu instid0(VALU_DEP_2) | instskip(NEXT) | instid1(VALU_DEP_2)
	v_cmp_eq_u32_e32 vcc_lo, 0, v5
	v_cndmask_b32_e32 v5, v6, v69, vcc_lo
; %bb.97:
	s_or_b32 exec_lo, exec_lo, s3
	v_and_b32_e32 v6, 0x7f800000, v70
	s_delay_alu instid0(VALU_DEP_1) | instskip(SKIP_1) | instid1(SALU_CYCLE_1)
	v_cmp_ne_u32_e32 vcc_lo, 0x7f800000, v6
                                        ; implicit-def: $vgpr6
	s_and_saveexec_b32 s3, vcc_lo
	s_xor_b32 s3, exec_lo, s3
; %bb.98:
	v_bfe_u32 v6, v70, 16, 1
	s_delay_alu instid0(VALU_DEP_1)
	v_add3_u32 v6, v70, v6, 0x7fff
; %bb.99:
	s_and_not1_saveexec_b32 s3, s3
; %bb.100:
	v_and_b32_e32 v6, 0xffff, v70
	v_or_b32_e32 v7, 0x10000, v70
	s_delay_alu instid0(VALU_DEP_2) | instskip(NEXT) | instid1(VALU_DEP_2)
	v_cmp_eq_u32_e32 vcc_lo, 0, v6
	v_cndmask_b32_e32 v6, v7, v70, vcc_lo
; %bb.101:
	s_or_b32 exec_lo, exec_lo, s3
	v_and_b32_e32 v7, 0x7f800000, v71
	s_delay_alu instid0(VALU_DEP_1) | instskip(SKIP_1) | instid1(SALU_CYCLE_1)
	v_cmp_ne_u32_e32 vcc_lo, 0x7f800000, v7
                                        ; implicit-def: $vgpr7
	s_and_saveexec_b32 s3, vcc_lo
	s_xor_b32 s3, exec_lo, s3
; %bb.102:
	v_bfe_u32 v7, v71, 16, 1
	s_delay_alu instid0(VALU_DEP_1)
	v_add3_u32 v7, v71, v7, 0x7fff
; %bb.103:
	s_and_not1_saveexec_b32 s3, s3
; %bb.104:
	v_and_b32_e32 v7, 0xffff, v71
	v_or_b32_e32 v8, 0x10000, v71
	s_delay_alu instid0(VALU_DEP_2) | instskip(NEXT) | instid1(VALU_DEP_2)
	v_cmp_eq_u32_e32 vcc_lo, 0, v7
	v_cndmask_b32_e32 v7, v8, v71, vcc_lo
; %bb.105:
	s_or_b32 exec_lo, exec_lo, s3
	v_and_b32_e32 v8, 0x7f800000, v72
	s_delay_alu instid0(VALU_DEP_1) | instskip(SKIP_1) | instid1(SALU_CYCLE_1)
	v_cmp_ne_u32_e32 vcc_lo, 0x7f800000, v8
                                        ; implicit-def: $vgpr8
	s_and_saveexec_b32 s3, vcc_lo
	s_xor_b32 s3, exec_lo, s3
; %bb.106:
	v_bfe_u32 v8, v72, 16, 1
	s_delay_alu instid0(VALU_DEP_1)
	v_add3_u32 v8, v72, v8, 0x7fff
                                        ; implicit-def: $vgpr65_vgpr66_vgpr67_vgpr68_vgpr69_vgpr70_vgpr71_vgpr72
; %bb.107:
	s_and_not1_saveexec_b32 s3, s3
; %bb.108:
	v_and_b32_e32 v8, 0xffff, v72
	v_or_b32_e32 v9, 0x10000, v72
	s_delay_alu instid0(VALU_DEP_2) | instskip(NEXT) | instid1(VALU_DEP_2)
	v_cmp_eq_u32_e32 vcc_lo, 0, v8
	v_cndmask_b32_e32 v8, v9, v72, vcc_lo
; %bb.109:
	s_or_b32 exec_lo, exec_lo, s3
	s_delay_alu instid0(VALU_DEP_1)
	v_perm_b32 v7, v8, v7, 0x7060302
	v_perm_b32 v6, v6, v5, 0x7060302
	;; [unrolled: 1-line block ×4, first 2 shown]
	s_barrier
	buffer_gl0_inv
	v_cmp_eq_u32_e32 vcc_lo, 1, v78
	ds_store_b128 v76, v[4:7]
	s_waitcnt lgkmcnt(0)
	s_barrier
	buffer_gl0_inv
	ds_load_b128 v[1:4], v82
	ds_load_b128 v[5:8], v82 offset:16
	v_cmp_eq_u32_e64 s3, 1, v79
	v_cmp_eq_u32_e64 s4, 2, v78
	;; [unrolled: 1-line block ×5, first 2 shown]
	s_waitcnt lgkmcnt(1)
	v_lshrrev_b32_e32 v9, 16, v1
	s_waitcnt lgkmcnt(0)
	v_lshrrev_b32_e32 v13, 16, v5
	v_lshrrev_b32_e32 v10, 16, v2
	v_lshrrev_b32_e32 v14, 16, v6
	v_lshrrev_b32_e32 v11, 16, v3
	v_cndmask_b32_e64 v19, v1, v9, s3
	v_cndmask_b32_e32 v18, v5, v13, vcc_lo
	v_cndmask_b32_e64 v20, v5, v13, s3
	v_cndmask_b32_e32 v17, v1, v9, vcc_lo
	v_cmp_eq_u32_e32 vcc_lo, 2, v79
	v_lshrrev_b32_e32 v15, 16, v7
	v_cmp_eq_u32_e64 s3, 1, v77
	v_lshrrev_b32_e32 v12, 16, v4
	v_lshrrev_b32_e32 v16, 16, v8
	v_cndmask_b32_e32 v20, v20, v6, vcc_lo
	v_cndmask_b32_e64 v17, v17, v2, s4
	v_cndmask_b32_e32 v19, v19, v2, vcc_lo
	v_cndmask_b32_e64 v18, v18, v6, s4
	v_cmp_eq_u32_e32 vcc_lo, 4, v78
	v_cmp_eq_u32_e64 s4, 3, v79
	v_cndmask_b32_e64 v17, v17, v10, s5
	v_cndmask_b32_e64 v21, v1, v9, s3
	;; [unrolled: 1-line block ×5, first 2 shown]
	v_cndmask_b32_e32 v17, v17, v3, vcc_lo
	v_cndmask_b32_e64 v20, v20, v14, s4
	v_cndmask_b32_e32 v18, v18, v7, vcc_lo
	v_cmp_eq_u32_e32 vcc_lo, 4, v79
	v_cmp_eq_u32_e64 s4, 5, v79
	v_cmp_eq_u32_e64 s3, 2, v81
	v_cndmask_b32_e64 v21, v21, v2, s7
	v_cmp_eq_u32_e64 s5, 5, v78
	v_cndmask_b32_e32 v19, v19, v3, vcc_lo
	v_cndmask_b32_e32 v20, v20, v7, vcc_lo
	v_cmp_eq_u32_e32 vcc_lo, 6, v79
	s_delay_alu instid0(VALU_DEP_4) | instskip(NEXT) | instid1(VALU_DEP_4)
	v_cndmask_b32_e64 v17, v17, v11, s5
	v_cndmask_b32_e64 v19, v19, v11, s4
	s_delay_alu instid0(VALU_DEP_4) | instskip(SKIP_1) | instid1(VALU_DEP_3)
	v_cndmask_b32_e64 v20, v20, v15, s4
	v_cmp_eq_u32_e64 s4, 1, v81
	v_cndmask_b32_e32 v19, v19, v4, vcc_lo
	v_cndmask_b32_e64 v18, v18, v15, s5
	s_delay_alu instid0(VALU_DEP_3)
	v_cndmask_b32_e64 v1, v1, v9, s4
	v_cndmask_b32_e64 v5, v5, v13, s4
	v_cmp_eq_u32_e64 s4, 3, v77
	v_cndmask_b32_e64 v13, v22, v6, s7
	v_cmp_eq_u32_e64 s7, 3, v81
	v_cndmask_b32_e64 v1, v1, v2, s3
	v_cndmask_b32_e64 v2, v5, v6, s3
	;; [unrolled: 1-line block ×3, first 2 shown]
	v_cmp_eq_u32_e64 s3, 4, v77
	v_cndmask_b32_e64 v6, v13, v14, s4
	v_cndmask_b32_e64 v1, v1, v10, s7
	v_cmp_eq_u32_e64 s4, 4, v81
	v_cndmask_b32_e64 v2, v2, v14, s7
	v_cndmask_b32_e64 v5, v9, v3, s3
	;; [unrolled: 3-line block ×3, first 2 shown]
	v_cndmask_b32_e64 v2, v2, v7, s4
	v_cmp_eq_u32_e64 s3, 5, v81
	v_cndmask_b32_e64 v5, v5, v11, s7
	v_cndmask_b32_e64 v3, v6, v15, s7
	v_cmp_eq_u32_e64 s7, 6, v81
	v_cmp_eq_u32_e64 s5, 6, v78
	v_cndmask_b32_e64 v1, v1, v11, s3
	v_cndmask_b32_e64 v2, v2, v15, s3
	v_cmp_eq_u32_e64 s4, 6, v77
	v_cmp_eq_u32_e64 s3, 7, v81
	v_cndmask_b32_e64 v17, v17, v4, s5
	v_cndmask_b32_e64 v1, v1, v4, s7
	;; [unrolled: 1-line block ×4, first 2 shown]
	v_cmp_eq_u32_e64 s5, 7, v78
	v_cndmask_b32_e64 v5, v5, v4, s4
	v_cndmask_b32_e64 v3, v3, v8, s4
	v_cmp_eq_u32_e64 s4, 7, v77
	v_cndmask_b32_e32 v4, v20, v8, vcc_lo
	v_cndmask_b32_e64 v1, v1, v12, s3
	v_cndmask_b32_e64 v2, v2, v16, s3
	v_cmp_lt_u32_e32 vcc_lo, 31, v0
	v_cmp_lt_u32_e64 s3, 7, v73
	v_cndmask_b32_e64 v17, v17, v12, s5
	v_cndmask_b32_e64 v19, v19, v12, s6
	;; [unrolled: 1-line block ×6, first 2 shown]
	s_or_b32 s3, vcc_lo, s3
	v_perm_b32 v4, v2, v1, 0x5040100
	v_perm_b32 v3, v3, v5, 0x5040100
	;; [unrolled: 1-line block ×4, first 2 shown]
	s_or_b32 s2, s2, s3
	s_delay_alu instid0(SALU_CYCLE_1)
	s_xor_b32 s2, s2, -1
	ds_store_b128 v76, v[1:4]
	s_waitcnt lgkmcnt(0)
	s_barrier
	buffer_gl0_inv
	s_and_saveexec_b32 s3, s2
	s_cbranch_execz .LBB1362_2
; %bb.110:
	s_load_b64 s[0:1], s[0:1], 0x68
	v_lshlrev_b32_e32 v1, 10, v0
	v_and_b32_e32 v0, 1, v0
	v_lshlrev_b32_e32 v2, 6, v75
	s_lshl_b32 s4, s36, 6
	s_delay_alu instid0(VALU_DEP_3) | instskip(NEXT) | instid1(VALU_DEP_3)
	v_and_b32_e32 v1, 0x3800, v1
	v_lshlrev_b32_e32 v0, 4, v0
	s_mul_i32 s2, s4, s34
	s_delay_alu instid0(SALU_CYCLE_1) | instskip(NEXT) | instid1(VALU_DEP_1)
	s_mul_i32 s2, s2, s37
	v_or3_b32 v0, v1, v2, v0
	s_ashr_i32 s3, s2, 31
	s_delay_alu instid0(SALU_CYCLE_1)
	s_lshl_b64 s[2:3], s[2:3], 1
	ds_load_b128 v[0:3], v0
	s_waitcnt lgkmcnt(0)
	s_add_u32 s5, s0, s2
	s_addc_u32 s3, s1, s3
	s_lshl_b32 s0, s14, 6
	s_mul_i32 s2, s4, s15
	s_ashr_i32 s1, s0, 31
	s_delay_alu instid0(SALU_CYCLE_1) | instskip(NEXT) | instid1(SALU_CYCLE_1)
	s_lshl_b64 s[0:1], s[0:1], 1
	s_add_u32 s4, s5, s0
	s_addc_u32 s5, s3, s1
	s_ashr_i32 s3, s2, 31
	s_delay_alu instid0(SALU_CYCLE_1) | instskip(NEXT) | instid1(SALU_CYCLE_1)
	s_lshl_b64 s[0:1], s[2:3], 1
	s_add_u32 s0, s4, s0
	s_addc_u32 s1, s5, s1
	global_store_b128 v74, v[0:3], s[0:1]
	s_nop 0
	s_sendmsg sendmsg(MSG_DEALLOC_VGPRS)
	s_endpgm
	.section	.rodata,"a",@progbits
	.p2align	6, 0x0
	.amdhsa_kernel _Z39paged_attention_ll4mi_QKV_mfma16_kernelI14__hip_bfloat16hLN4vllm18Fp8KVCacheDataTypeE1EhLi16ELi64ELi256ELb1ELi1EL8MFMAType1EEvPKT_PKT0_S9_ifPKiSB_SB_iPKfiiiPfSE_PS4_PT2_iSD_SD_
		.amdhsa_group_segment_fixed_size 17472
		.amdhsa_private_segment_fixed_size 0
		.amdhsa_kernarg_size 400
		.amdhsa_user_sgpr_count 13
		.amdhsa_user_sgpr_dispatch_ptr 0
		.amdhsa_user_sgpr_queue_ptr 0
		.amdhsa_user_sgpr_kernarg_segment_ptr 1
		.amdhsa_user_sgpr_dispatch_id 0
		.amdhsa_user_sgpr_private_segment_size 0
		.amdhsa_wavefront_size32 1
		.amdhsa_uses_dynamic_stack 0
		.amdhsa_enable_private_segment 0
		.amdhsa_system_sgpr_workgroup_id_x 1
		.amdhsa_system_sgpr_workgroup_id_y 1
		.amdhsa_system_sgpr_workgroup_id_z 1
		.amdhsa_system_sgpr_workgroup_info 0
		.amdhsa_system_vgpr_workitem_id 0
		.amdhsa_next_free_vgpr 131
		.amdhsa_next_free_sgpr 48
		.amdhsa_reserve_vcc 1
		.amdhsa_float_round_mode_32 0
		.amdhsa_float_round_mode_16_64 0
		.amdhsa_float_denorm_mode_32 3
		.amdhsa_float_denorm_mode_16_64 3
		.amdhsa_dx10_clamp 1
		.amdhsa_ieee_mode 1
		.amdhsa_fp16_overflow 0
		.amdhsa_workgroup_processor_mode 1
		.amdhsa_memory_ordered 1
		.amdhsa_forward_progress 0
		.amdhsa_shared_vgpr_count 0
		.amdhsa_exception_fp_ieee_invalid_op 0
		.amdhsa_exception_fp_denorm_src 0
		.amdhsa_exception_fp_ieee_div_zero 0
		.amdhsa_exception_fp_ieee_overflow 0
		.amdhsa_exception_fp_ieee_underflow 0
		.amdhsa_exception_fp_ieee_inexact 0
		.amdhsa_exception_int_div_zero 0
	.end_amdhsa_kernel
	.section	.text._Z39paged_attention_ll4mi_QKV_mfma16_kernelI14__hip_bfloat16hLN4vllm18Fp8KVCacheDataTypeE1EhLi16ELi64ELi256ELb1ELi1EL8MFMAType1EEvPKT_PKT0_S9_ifPKiSB_SB_iPKfiiiPfSE_PS4_PT2_iSD_SD_,"axG",@progbits,_Z39paged_attention_ll4mi_QKV_mfma16_kernelI14__hip_bfloat16hLN4vllm18Fp8KVCacheDataTypeE1EhLi16ELi64ELi256ELb1ELi1EL8MFMAType1EEvPKT_PKT0_S9_ifPKiSB_SB_iPKfiiiPfSE_PS4_PT2_iSD_SD_,comdat
.Lfunc_end1362:
	.size	_Z39paged_attention_ll4mi_QKV_mfma16_kernelI14__hip_bfloat16hLN4vllm18Fp8KVCacheDataTypeE1EhLi16ELi64ELi256ELb1ELi1EL8MFMAType1EEvPKT_PKT0_S9_ifPKiSB_SB_iPKfiiiPfSE_PS4_PT2_iSD_SD_, .Lfunc_end1362-_Z39paged_attention_ll4mi_QKV_mfma16_kernelI14__hip_bfloat16hLN4vllm18Fp8KVCacheDataTypeE1EhLi16ELi64ELi256ELb1ELi1EL8MFMAType1EEvPKT_PKT0_S9_ifPKiSB_SB_iPKfiiiPfSE_PS4_PT2_iSD_SD_
                                        ; -- End function
	.section	.AMDGPU.csdata,"",@progbits
; Kernel info:
; codeLenInByte = 8416
; NumSgprs: 50
; NumVgprs: 131
; ScratchSize: 0
; MemoryBound: 1
; FloatMode: 240
; IeeeMode: 1
; LDSByteSize: 17472 bytes/workgroup (compile time only)
; SGPRBlocks: 6
; VGPRBlocks: 16
; NumSGPRsForWavesPerEU: 50
; NumVGPRsForWavesPerEU: 131
; Occupancy: 10
; WaveLimiterHint : 1
; COMPUTE_PGM_RSRC2:SCRATCH_EN: 0
; COMPUTE_PGM_RSRC2:USER_SGPR: 13
; COMPUTE_PGM_RSRC2:TRAP_HANDLER: 0
; COMPUTE_PGM_RSRC2:TGID_X_EN: 1
; COMPUTE_PGM_RSRC2:TGID_Y_EN: 1
; COMPUTE_PGM_RSRC2:TGID_Z_EN: 1
; COMPUTE_PGM_RSRC2:TIDIG_COMP_CNT: 0
	.section	.text._Z39paged_attention_ll4mi_QKV_mfma16_kernelI14__hip_bfloat16hLN4vllm18Fp8KVCacheDataTypeE1EhLi16ELi64ELi256ELb1ELi2EL8MFMAType1EEvPKT_PKT0_S9_ifPKiSB_SB_iPKfiiiPfSE_PS4_PT2_iSD_SD_,"axG",@progbits,_Z39paged_attention_ll4mi_QKV_mfma16_kernelI14__hip_bfloat16hLN4vllm18Fp8KVCacheDataTypeE1EhLi16ELi64ELi256ELb1ELi2EL8MFMAType1EEvPKT_PKT0_S9_ifPKiSB_SB_iPKfiiiPfSE_PS4_PT2_iSD_SD_,comdat
	.protected	_Z39paged_attention_ll4mi_QKV_mfma16_kernelI14__hip_bfloat16hLN4vllm18Fp8KVCacheDataTypeE1EhLi16ELi64ELi256ELb1ELi2EL8MFMAType1EEvPKT_PKT0_S9_ifPKiSB_SB_iPKfiiiPfSE_PS4_PT2_iSD_SD_ ; -- Begin function _Z39paged_attention_ll4mi_QKV_mfma16_kernelI14__hip_bfloat16hLN4vllm18Fp8KVCacheDataTypeE1EhLi16ELi64ELi256ELb1ELi2EL8MFMAType1EEvPKT_PKT0_S9_ifPKiSB_SB_iPKfiiiPfSE_PS4_PT2_iSD_SD_
	.globl	_Z39paged_attention_ll4mi_QKV_mfma16_kernelI14__hip_bfloat16hLN4vllm18Fp8KVCacheDataTypeE1EhLi16ELi64ELi256ELb1ELi2EL8MFMAType1EEvPKT_PKT0_S9_ifPKiSB_SB_iPKfiiiPfSE_PS4_PT2_iSD_SD_
	.p2align	8
	.type	_Z39paged_attention_ll4mi_QKV_mfma16_kernelI14__hip_bfloat16hLN4vllm18Fp8KVCacheDataTypeE1EhLi16ELi64ELi256ELb1ELi2EL8MFMAType1EEvPKT_PKT0_S9_ifPKiSB_SB_iPKfiiiPfSE_PS4_PT2_iSD_SD_,@function
_Z39paged_attention_ll4mi_QKV_mfma16_kernelI14__hip_bfloat16hLN4vllm18Fp8KVCacheDataTypeE1EhLi16ELi64ELi256ELb1ELi2EL8MFMAType1EEvPKT_PKT0_S9_ifPKiSB_SB_iPKfiiiPfSE_PS4_PT2_iSD_SD_: ; @_Z39paged_attention_ll4mi_QKV_mfma16_kernelI14__hip_bfloat16hLN4vllm18Fp8KVCacheDataTypeE1EhLi16ELi64ELi256ELb1ELi2EL8MFMAType1EEvPKT_PKT0_S9_ifPKiSB_SB_iPKfiiiPfSE_PS4_PT2_iSD_SD_
; %bb.0:
	s_load_b64 s[2:3], s[0:1], 0x30
	s_mov_b32 s30, s13
	s_waitcnt lgkmcnt(0)
	s_cmp_lg_u64 s[2:3], 0
	s_cselect_b32 s8, -1, 0
	s_ashr_i32 s31, s13, 31
	s_cmp_eq_u64 s[2:3], 0
	s_cbranch_scc1 .LBB1363_3
; %bb.1:
	s_lshl_b64 s[4:5], s[30:31], 2
	s_delay_alu instid0(SALU_CYCLE_1) | instskip(SKIP_4) | instid1(SALU_CYCLE_1)
	s_add_u32 s4, s2, s4
	s_addc_u32 s5, s3, s5
	s_load_b64 s[4:5], s[4:5], 0x0
	s_waitcnt lgkmcnt(0)
	s_sub_i32 s4, s5, s4
	s_cmp_eq_u32 s4, 1
	s_cselect_b32 s4, -1, 0
	s_delay_alu instid0(SALU_CYCLE_1)
	s_and_not1_b32 vcc_lo, exec_lo, s4
	s_cbranch_vccz .LBB1363_4
.LBB1363_2:
	s_endpgm
.LBB1363_3:
.LBB1363_4:
	s_load_b64 s[4:5], s[0:1], 0x28
	s_lshl_b64 s[6:7], s[30:31], 2
	s_waitcnt lgkmcnt(0)
	s_add_u32 s4, s4, s6
	s_addc_u32 s5, s5, s7
	s_lshl_b32 s12, s14, 8
	s_load_b32 s24, s[4:5], 0x0
	s_waitcnt lgkmcnt(0)
	s_cmp_ge_i32 s12, s24
	s_cbranch_scc1 .LBB1363_2
; %bb.5:
	s_clause 0x1
	s_load_b128 s[20:23], s[0:1], 0x8
	s_load_b64 s[4:5], s[0:1], 0x20
	s_and_not1_b32 vcc_lo, exec_lo, s8
	s_cbranch_vccnz .LBB1363_7
; %bb.6:
	s_add_u32 s2, s2, s6
	s_addc_u32 s3, s3, s7
	s_load_b32 s3, s[2:3], 0x0
	s_branch .LBB1363_8
.LBB1363_7:
	s_mov_b32 s3, s30
.LBB1363_8:
	s_load_b128 s[16:19], s[0:1], 0x48
	v_and_b32_e32 v66, 15, v0
	v_bfe_u32 v65, v0, 4, 1
	s_lshl_b32 s31, s15, 1
	v_cmp_gt_u32_e32 vcc_lo, 32, v0
	v_and_b32_e32 v68, 31, v0
	v_lshlrev_b32_e32 v1, 3, v66
	v_cmp_gt_u32_e64 s2, 8, v66
	v_and_b32_e32 v76, 1, v0
	v_or_b32_e32 v75, s31, v65
	v_lshlrev_b32_e32 v74, 6, v65
	v_lshlrev_b32_e32 v73, 1, v1
	s_and_b32 s29, vcc_lo, s2
	s_delay_alu instid0(SALU_CYCLE_1)
	s_and_saveexec_b32 s2, s29
	s_cbranch_execz .LBB1363_10
; %bb.9:
	s_load_b64 s[6:7], s[0:1], 0x0
	v_lshlrev_b32_e32 v1, 6, v75
	s_waitcnt lgkmcnt(0)
	s_mul_hi_i32 s9, s3, s16
	s_mul_i32 s8, s3, s16
	v_lshlrev_b32_e32 v5, 10, v66
	s_lshl_b64 s[8:9], s[8:9], 1
	v_ashrrev_i32_e32 v2, 31, v1
	v_lshlrev_b32_e32 v6, 10, v76
	s_delay_alu instid0(VALU_DEP_3) | instskip(NEXT) | instid1(VALU_DEP_3)
	v_and_b32_e32 v5, 0x3800, v5
	v_lshlrev_b64 v[1:2], 1, v[1:2]
	s_delay_alu instid0(VALU_DEP_2) | instskip(SKIP_2) | instid1(VALU_DEP_2)
	v_or3_b32 v5, v5, v6, v74
	s_add_u32 s3, s6, s8
	s_addc_u32 s6, s7, s9
	v_add_co_u32 v1, vcc_lo, s3, v1
	s_delay_alu instid0(VALU_DEP_3) | instskip(NEXT) | instid1(VALU_DEP_2)
	v_add_co_ci_u32_e32 v2, vcc_lo, s6, v2, vcc_lo
	v_add_co_u32 v1, vcc_lo, v1, v73
	s_delay_alu instid0(VALU_DEP_2)
	v_add_co_ci_u32_e32 v2, vcc_lo, 0, v2, vcc_lo
	global_load_b128 v[1:4], v[1:2], off
	s_waitcnt vmcnt(0)
	ds_store_b128 v5, v[1:4]
.LBB1363_10:
	s_or_b32 exec_lo, exec_lo, s2
	v_and_b32_e32 v1, 0xef, v0
	s_add_i32 s2, s24, 15
	s_waitcnt lgkmcnt(0)
	s_clause 0x1
	s_load_b32 s3, s[0:1], 0x38
	s_load_b32 s19, s[0:1], 0x1c
	s_ashr_i32 s6, s2, 31
	v_add_nc_u32_e32 v1, s12, v1
	s_lshr_b32 s6, s6, 28
	s_waitcnt lgkmcnt(0)
	s_add_i32 s2, s2, s6
	s_barrier
	v_ashrrev_i32_e32 v2, 31, v1
	v_or_b32_e32 v3, 16, v1
	s_ashr_i32 s2, s2, 4
	v_cmp_gt_i32_e32 vcc_lo, s24, v1
	s_add_i32 s2, s2, -1
	v_lshrrev_b32_e32 v2, 28, v2
	buffer_gl0_inv
	s_mul_i32 s27, s15, s18
	v_lshrrev_b32_e32 v67, 5, v0
	v_lshlrev_b32_e32 v71, 6, v76
	v_add_nc_u32_e32 v4, v1, v2
	s_mul_i32 s6, s30, s3
	s_delay_alu instid0(SALU_CYCLE_1) | instskip(NEXT) | instid1(VALU_DEP_1)
	s_ashr_i32 s7, s6, 31
	v_ashrrev_i32_e32 v4, 4, v4
	v_add_nc_u32_e32 v2, v3, v2
	s_lshl_b64 s[6:7], s[6:7], 2
	s_delay_alu instid0(SALU_CYCLE_1) | instskip(NEXT) | instid1(VALU_DEP_2)
	s_add_u32 s26, s4, s6
	v_cndmask_b32_e32 v1, s2, v4, vcc_lo
	s_delay_alu instid0(VALU_DEP_2)
	v_ashrrev_i32_e32 v2, 4, v2
	v_cmp_gt_i32_e32 vcc_lo, s24, v3
	s_addc_u32 s25, s5, s7
	s_ashr_i32 s28, s27, 31
	s_add_u32 s3, s20, s27
	s_addc_u32 s13, s21, s28
	v_cndmask_b32_e32 v3, s2, v2, vcc_lo
	v_ashrrev_i32_e32 v2, 31, v1
	s_lshl_b32 s4, s14, 4
	s_delay_alu instid0(SALU_CYCLE_1) | instskip(NEXT) | instid1(VALU_DEP_2)
	s_ashr_i32 s5, s4, 31
	v_ashrrev_i32_e32 v4, 31, v3
	s_delay_alu instid0(VALU_DEP_2) | instskip(SKIP_1) | instid1(SALU_CYCLE_1)
	v_lshlrev_b64 v[1:2], 2, v[1:2]
	s_lshl_b64 s[4:5], s[4:5], 2
	s_add_u32 s4, s26, s4
	s_delay_alu instid0(VALU_DEP_2) | instskip(SKIP_1) | instid1(VALU_DEP_2)
	v_lshlrev_b64 v[3:4], 2, v[3:4]
	s_addc_u32 s5, s25, s5
	v_add_co_u32 v1, vcc_lo, s26, v1
	v_add_co_ci_u32_e32 v2, vcc_lo, s25, v2, vcc_lo
	s_delay_alu instid0(VALU_DEP_3) | instskip(NEXT) | instid1(VALU_DEP_4)
	v_add_co_u32 v3, vcc_lo, s26, v3
	v_add_co_ci_u32_e32 v4, vcc_lo, s25, v4, vcc_lo
	s_clause 0x1
	global_load_b32 v5, v[1:2], off
	global_load_b32 v7, v[3:4], off
	s_or_b32 s6, s12, 32
	v_lshlrev_b32_e32 v1, 4, v0
	s_ashr_i32 s7, s6, 4
	s_cmp_lt_i32 s6, s24
	s_cselect_b32 s6, s7, s2
	s_delay_alu instid0(VALU_DEP_1) | instskip(SKIP_1) | instid1(SALU_CYCLE_1)
	v_and_b32_e32 v1, 0xf0, v1
	s_ashr_i32 s7, s6, 31
	s_lshl_b64 s[6:7], s[6:7], 2
	s_delay_alu instid0(SALU_CYCLE_1)
	s_add_u32 s6, s26, s6
	s_addc_u32 s7, s25, s7
	s_or_b32 s8, s12, 64
	v_add_co_u32 v1, s3, s3, v1
	s_ashr_i32 s9, s8, 4
	s_cmp_lt_i32 s8, s24
	v_add_co_ci_u32_e64 v2, null, s13, 0, s3
	s_cselect_b32 s8, s9, s2
	s_delay_alu instid0(SALU_CYCLE_1) | instskip(NEXT) | instid1(SALU_CYCLE_1)
	s_ashr_i32 s9, s8, 31
	s_lshl_b64 s[8:9], s[8:9], 2
	s_delay_alu instid0(SALU_CYCLE_1) | instskip(SKIP_2) | instid1(SALU_CYCLE_1)
	s_add_u32 s8, s26, s8
	s_addc_u32 s9, s25, s9
	s_or_b32 s10, s12, 0x60
	s_ashr_i32 s11, s10, 4
	s_cmp_lt_i32 s10, s24
	s_cselect_b32 s10, s11, s2
	s_delay_alu instid0(SALU_CYCLE_1) | instskip(NEXT) | instid1(SALU_CYCLE_1)
	s_ashr_i32 s11, s10, 31
	s_lshl_b64 s[10:11], s[10:11], 2
	s_delay_alu instid0(SALU_CYCLE_1) | instskip(SKIP_2) | instid1(SALU_CYCLE_1)
	s_add_u32 s10, s26, s10
	s_addc_u32 s11, s25, s11
	s_or_b32 s15, s12, 0x80
	s_ashr_i32 s16, s15, 4
	s_cmp_lt_i32 s15, s24
	;; [unrolled: 10-line block ×3, first 2 shown]
	s_cselect_b32 s20, s16, s2
	s_delay_alu instid0(SALU_CYCLE_1) | instskip(NEXT) | instid1(SALU_CYCLE_1)
	s_ashr_i32 s21, s20, 31
	s_lshl_b64 s[20:21], s[20:21], 2
	s_delay_alu instid0(SALU_CYCLE_1)
	s_add_u32 s36, s26, s20
	s_addc_u32 s37, s25, s21
	s_clause 0x5
	s_load_b32 s20, s[4:5], 0x0
	s_load_b32 s3, s[6:7], 0x0
	;; [unrolled: 1-line block ×6, first 2 shown]
	s_or_b32 s6, s12, 0xc0
	s_mov_b32 s4, 0
	s_ashr_i32 s7, s6, 4
	s_cmp_lt_i32 s6, s24
	s_mov_b32 s5, s4
	s_cselect_b32 s10, s7, s2
	s_mov_b32 s6, s4
	s_ashr_i32 s11, s10, 31
	s_mov_b32 s7, s4
	s_lshl_b64 s[10:11], s[10:11], 2
	s_mov_b32 s8, s4
	s_add_u32 s34, s26, s10
	s_addc_u32 s35, s25, s11
	s_or_b32 s11, s12, 0xe0
	s_mov_b32 s9, s4
	s_ashr_i32 s21, s11, 4
	s_cmp_lt_i32 s11, s24
	s_mov_b32 s11, s4
	s_cselect_b32 s36, s21, s2
	s_mov_b32 s10, s4
	s_ashr_i32 s37, s36, 31
	v_mov_b32_e32 v108, s11
	v_dual_mov_b32 v102, s5 :: v_dual_mov_b32 v107, s10
	v_dual_mov_b32 v106, s9 :: v_dual_mov_b32 v105, s8
	;; [unrolled: 1-line block ×3, first 2 shown]
	v_mov_b32_e32 v101, s4
	s_lshl_b64 s[4:5], s[36:37], 2
	s_delay_alu instid0(SALU_CYCLE_1)
	s_add_u32 s4, s26, s4
	s_addc_u32 s5, s25, s5
	s_add_u32 s6, s22, s27
	s_addc_u32 s7, s23, s28
	s_waitcnt vmcnt(1)
	v_mad_i64_i32 v[3:4], null, v5, s17, v[1:2]
	s_waitcnt vmcnt(0)
	v_mad_i64_i32 v[5:6], null, v7, s17, v[1:2]
	v_lshlrev_b32_e32 v1, 4, v66
	s_clause 0x7
	global_load_b128 v[49:52], v[3:4], off
	global_load_b128 v[53:56], v[3:4], off offset:256
	global_load_b128 v[77:80], v[5:6], off
	global_load_b128 v[81:84], v[5:6], off offset:256
	global_load_b128 v[85:88], v[3:4], off offset:512
	;; [unrolled: 1-line block ×5, first 2 shown]
	v_lshl_or_b32 v1, v67, 8, v1
	s_load_b32 s2, s[34:35], 0x0
	ds_load_b128 v[109:112], v71
	ds_load_b128 v[113:116], v71 offset:1024
	s_load_b32 s4, s[4:5], 0x0
	v_add_co_u32 v9, s6, s6, v1
	s_delay_alu instid0(VALU_DEP_1) | instskip(SKIP_1) | instid1(VALU_DEP_1)
	v_add_co_ci_u32_e64 v10, null, s7, 0, s6
	s_waitcnt lgkmcnt(0)
	v_mad_i64_i32 v[1:2], null, s20, s17, v[9:10]
	v_mad_i64_i32 v[3:4], null, s3, s17, v[9:10]
	;; [unrolled: 1-line block ×7, first 2 shown]
	s_clause 0x9
	global_load_b128 v[57:60], v[1:2], off
	global_load_b128 v[61:64], v[1:2], off offset:16
	global_load_b128 v[41:44], v[3:4], off
	global_load_b128 v[45:48], v[3:4], off offset:16
	;; [unrolled: 2-line block ×5, first 2 shown]
	v_mad_i64_i32 v[69:70], null, s4, s17, v[9:10]
	s_clause 0x3
	global_load_b128 v[9:12], v[13:14], off
	global_load_b128 v[13:16], v[13:14], off offset:16
	global_load_b128 v[17:20], v[21:22], off
	global_load_b128 v[21:24], v[21:22], off offset:16
	s_waitcnt vmcnt(20)
	v_wmma_f32_16x16x16_bf16 v[117:124], v[49:56], v[109:116], v[101:108]
	s_clause 0x1
	global_load_b128 v[49:52], v[69:70], off
	global_load_b128 v[53:56], v[69:70], off offset:16
	s_waitcnt vmcnt(20)
	v_wmma_f32_16x16x16_bf16 v[101:108], v[77:84], v[109:116], v[101:108]
	ds_load_b128 v[77:80], v71 offset:2048
	ds_load_b128 v[81:84], v71 offset:3072
	v_mbcnt_lo_u32_b32 v70, -1, 0
	s_waitcnt vmcnt(0) lgkmcnt(0)
	s_barrier
	buffer_gl0_inv
	v_xor_b32_e32 v71, 16, v70
	s_delay_alu instid0(VALU_DEP_1) | instskip(SKIP_4) | instid1(VALU_DEP_2)
	v_cmp_gt_i32_e32 vcc_lo, 32, v71
	v_cndmask_b32_e32 v70, v70, v71, vcc_lo
	v_wmma_f32_16x16x16_bf16 v[101:108], v[93:100], v[77:84], v[101:108]
	v_and_b32_e32 v69, 0xe0, v0
	v_wmma_f32_16x16x16_bf16 v[117:124], v[85:92], v[77:84], v[117:124]
	v_dual_mul_f32 v98, s19, v106 :: v_dual_add_nc_u32 v69, s12, v69
	s_delay_alu instid0(VALU_DEP_4) | instskip(NEXT) | instid1(VALU_DEP_3)
	v_mul_f32_e32 v96, s19, v108
	v_dual_mul_f32 v94, s19, v118 :: v_dual_mul_f32 v95, s19, v117
	s_delay_alu instid0(VALU_DEP_4) | instskip(NEXT) | instid1(VALU_DEP_4)
	v_mul_f32_e32 v84, s19, v120
	v_or_b32_e32 v69, v69, v65
	v_dual_mul_f32 v93, s19, v119 :: v_dual_mul_f32 v82, s19, v122
	v_dual_mul_f32 v83, s19, v121 :: v_dual_mul_f32 v80, s19, v124
	s_delay_alu instid0(VALU_DEP_3)
	v_or_b32_e32 v71, 2, v69
	v_or_b32_e32 v72, 4, v69
	;; [unrolled: 1-line block ×3, first 2 shown]
	v_cmp_gt_i32_e64 s2, s24, v69
	v_or_b32_e32 v110, 8, v69
	v_cmp_gt_i32_e32 vcc_lo, s24, v71
	v_or_b32_e32 v85, 10, v69
	v_cmp_gt_i32_e64 s3, s24, v72
	v_cndmask_b32_e64 v95, 0xff7fffff, v95, s2
	v_cmp_gt_i32_e64 s4, s24, v109
	v_cndmask_b32_e32 v94, 0xff7fffff, v94, vcc_lo
	v_or_b32_e32 v86, 12, v69
	v_or_b32_e32 v87, 14, v69
	v_mul_f32_e32 v72, s19, v101
	v_cndmask_b32_e64 v93, 0xff7fffff, v93, s3
	v_cndmask_b32_e64 v84, 0xff7fffff, v84, s4
	v_max3_f32 v94, v95, 0xff7fffff, v94
	v_cmp_gt_i32_e64 s5, s24, v110
	v_cmp_gt_i32_e64 s6, s24, v85
	v_or_b32_e32 v88, 16, v69
	v_or_b32_e32 v89, 18, v69
	v_dual_mul_f32 v81, s19, v123 :: v_dual_mul_f32 v100, s19, v104
	v_cndmask_b32_e64 v83, 0xff7fffff, v83, s5
	v_cndmask_b32_e64 v82, 0xff7fffff, v82, s6
	v_max3_f32 v84, v94, v93, v84
	v_cmp_gt_i32_e64 s7, s24, v86
	v_cmp_gt_i32_e64 s8, s24, v87
	v_or_b32_e32 v90, 20, v69
	v_or_b32_e32 v91, 22, v69
	;; [unrolled: 1-line block ×6, first 2 shown]
	v_mul_f32_e32 v69, s19, v102
	v_cndmask_b32_e64 v81, 0xff7fffff, v81, s7
	v_cndmask_b32_e64 v80, 0xff7fffff, v80, s8
	v_max3_f32 v82, v84, v83, v82
	v_cmp_gt_i32_e64 s9, s24, v88
	v_cmp_gt_i32_e64 s10, s24, v89
	v_mul_f32_e32 v71, s19, v103
	v_cmp_gt_i32_e64 s11, s24, v90
	v_max3_f32 v80, v82, v81, v80
	v_cndmask_b32_e64 v72, 0xff7fffff, v72, s9
	v_cndmask_b32_e64 v69, 0xff7fffff, v69, s10
	v_cmp_gt_i32_e64 s12, s24, v91
	v_mul_f32_e32 v99, s19, v105
	v_cndmask_b32_e64 v71, 0xff7fffff, v71, s11
	v_cmp_gt_i32_e64 s13, s24, v92
	v_max3_f32 v69, v80, v72, v69
	v_cndmask_b32_e64 v81, 0xff7fffff, v100, s12
	v_cmp_gt_i32_e64 s15, s24, v77
	v_mul_f32_e32 v97, s19, v107
	v_cndmask_b32_e64 v72, 0xff7fffff, v99, s13
	v_cmp_gt_i32_e64 s16, s24, v78
	v_max3_f32 v69, v69, v71, v81
	v_cndmask_b32_e64 v77, 0xff7fffff, v98, s15
	v_cmp_gt_i32_e64 s17, s24, v79
	v_lshlrev_b32_e32 v91, 2, v70
	v_cndmask_b32_e64 v71, 0xff7fffff, v97, s16
	s_delay_alu instid0(VALU_DEP_4) | instskip(NEXT) | instid1(VALU_DEP_4)
	v_max3_f32 v69, v69, v72, v77
	v_cndmask_b32_e64 v78, 0xff7fffff, v96, s17
	s_delay_alu instid0(VALU_DEP_1) | instskip(SKIP_3) | instid1(VALU_DEP_1)
	v_max3_f32 v69, v69, v71, v78
	ds_bpermute_b32 v70, v91, v69
	s_waitcnt lgkmcnt(0)
	v_max_f32_e32 v70, v70, v70
	v_max_f32_e32 v69, v69, v70
	s_delay_alu instid0(VALU_DEP_1) | instskip(SKIP_4) | instid1(VALU_DEP_4)
	v_fma_f32 v70, s19, v117, -v69
	v_fma_f32 v71, s19, v118, -v69
	;; [unrolled: 1-line block ×5, first 2 shown]
	v_dual_mul_f32 v70, 0x3fb8aa3b, v70 :: v_dual_mul_f32 v71, 0x3fb8aa3b, v71
	s_delay_alu instid0(VALU_DEP_3) | instskip(NEXT) | instid1(VALU_DEP_3)
	v_dual_mul_f32 v72, 0x3fb8aa3b, v72 :: v_dual_mul_f32 v77, 0x3fb8aa3b, v77
	v_mul_f32_e32 v78, 0x3fb8aa3b, v78
	s_delay_alu instid0(VALU_DEP_3) | instskip(NEXT) | instid1(VALU_DEP_3)
	v_exp_f32_e32 v70, v70
	v_exp_f32_e32 v71, v71
	s_delay_alu instid0(VALU_DEP_2)
	v_exp_f32_e32 v72, v72
	v_exp_f32_e32 v79, v77
	;; [unrolled: 1-line block ×3, first 2 shown]
	v_cndmask_b32_e64 v81, 0, v70, s2
	v_fma_f32 v70, s19, v122, -v69
	v_cndmask_b32_e32 v77, 0, v71, vcc_lo
	s_delay_alu instid0(TRANS32_DEP_3)
	v_cndmask_b32_e64 v85, 0, v72, s3
	s_waitcnt_depctr 0xfff
	v_cndmask_b32_e64 v87, 0, v79, s4
	v_dual_add_f32 v71, 0, v81 :: v_dual_mul_f32 v70, 0x3fb8aa3b, v70
	v_cndmask_b32_e64 v88, 0, v78, s5
	s_mov_b32 s2, exec_lo
	s_delay_alu instid0(VALU_DEP_2) | instskip(NEXT) | instid1(VALU_DEP_3)
	v_add_f32_e32 v71, v71, v77
	v_exp_f32_e32 v70, v70
	s_delay_alu instid0(VALU_DEP_1) | instskip(NEXT) | instid1(VALU_DEP_1)
	v_add_f32_e32 v71, v71, v85
	v_add_f32_e32 v71, v71, v87
	s_waitcnt_depctr 0xfff
	v_cndmask_b32_e64 v89, 0, v70, s6
	v_add_f32_e32 v70, v71, v88
	s_delay_alu instid0(VALU_DEP_1)
	v_add_f32_e32 v70, v70, v89
	v_fma_f32 v80, s19, v123, -v69
	v_fma_f32 v72, s19, v124, -v69
	;; [unrolled: 1-line block ×5, first 2 shown]
	v_mul_f32_e32 v80, 0x3fb8aa3b, v80
	s_delay_alu instid0(VALU_DEP_4) | instskip(NEXT) | instid1(VALU_DEP_3)
	v_dual_mul_f32 v72, 0x3fb8aa3b, v72 :: v_dual_mul_f32 v79, 0x3fb8aa3b, v79
	v_dual_mul_f32 v78, 0x3fb8aa3b, v78 :: v_dual_mul_f32 v71, 0x3fb8aa3b, v71
	s_delay_alu instid0(VALU_DEP_3) | instskip(NEXT) | instid1(VALU_DEP_2)
	v_exp_f32_e32 v80, v80
	v_exp_f32_e32 v72, v72
	s_delay_alu instid0(VALU_DEP_2) | instskip(NEXT) | instid1(VALU_DEP_1)
	v_exp_f32_e32 v79, v79
	v_exp_f32_e32 v78, v78
	;; [unrolled: 1-line block ×3, first 2 shown]
	v_fma_f32 v83, s19, v106, -v69
	v_cndmask_b32_e64 v86, 0, v80, s7
	v_fma_f32 v80, s19, v104, -v69
	v_cndmask_b32_e64 v90, 0, v72, s8
	v_fma_f32 v72, s19, v105, -v69
	s_delay_alu instid0(TRANS32_DEP_3) | instskip(SKIP_2) | instid1(VALU_DEP_2)
	v_cndmask_b32_e64 v71, 0, v79, s9
	v_add_f32_e32 v70, v70, v86
	v_dual_mul_f32 v80, 0x3fb8aa3b, v80 :: v_dual_mul_f32 v83, 0x3fb8aa3b, v83
	v_dual_mul_f32 v72, 0x3fb8aa3b, v72 :: v_dual_add_f32 v79, v70, v90
	s_delay_alu instid0(VALU_DEP_2) | instskip(SKIP_1) | instid1(VALU_DEP_2)
	v_exp_f32_e32 v80, v80
	v_cndmask_b32_e64 v70, 0, v78, s10
	v_exp_f32_e32 v84, v72
	v_cndmask_b32_e64 v72, 0, v82, s11
	v_add_f32_e32 v78, v79, v71
	v_fma_f32 v79, s19, v107, -v69
	v_exp_f32_e32 v83, v83
	s_delay_alu instid0(VALU_DEP_1) | instskip(NEXT) | instid1(TRANS32_DEP_3)
	v_dual_add_f32 v82, v78, v70 :: v_dual_mul_f32 v79, 0x3fb8aa3b, v79
	v_cndmask_b32_e64 v78, 0, v80, s12
	s_delay_alu instid0(VALU_DEP_2) | instskip(SKIP_1) | instid1(VALU_DEP_4)
	v_add_f32_e32 v80, v82, v72
	v_fma_f32 v82, s19, v108, -v69
	v_exp_f32_e32 v92, v79
	v_cndmask_b32_e64 v79, 0, v84, s13
	s_delay_alu instid0(VALU_DEP_3) | instskip(NEXT) | instid1(VALU_DEP_3)
	v_add_f32_e32 v84, v80, v78
	v_mul_f32_e32 v82, 0x3fb8aa3b, v82
	s_delay_alu instid0(TRANS32_DEP_2) | instskip(NEXT) | instid1(VALU_DEP_3)
	v_cndmask_b32_e64 v80, 0, v83, s15
	v_add_f32_e32 v83, v84, v79
	s_delay_alu instid0(VALU_DEP_3) | instskip(NEXT) | instid1(TRANS32_DEP_2)
	v_exp_f32_e32 v84, v82
	v_cndmask_b32_e64 v82, 0, v92, s16
	s_delay_alu instid0(VALU_DEP_2) | instskip(NEXT) | instid1(VALU_DEP_1)
	v_add_f32_e32 v83, v83, v80
	v_add_f32_e32 v92, v83, v82
	s_waitcnt_depctr 0xfff
	v_cndmask_b32_e64 v83, 0, v84, s17
	s_delay_alu instid0(VALU_DEP_1)
	v_add_f32_e32 v84, v92, v83
	ds_bpermute_b32 v91, v91, v84
	v_cmpx_gt_u32_e32 16, v68
	s_cbranch_execz .LBB1363_12
; %bb.11:
	v_mul_u32_u24_e32 v68, 0x44, v67
	s_waitcnt lgkmcnt(0)
	v_add_f32_e32 v84, v84, v91
	s_delay_alu instid0(VALU_DEP_2) | instskip(NEXT) | instid1(VALU_DEP_1)
	v_lshl_add_u32 v68, v66, 2, v68
	v_add_nc_u32_e32 v68, 0x4000, v68
	ds_store_2addr_b32 v68, v69, v84 offset1:136
.LBB1363_12:
	s_or_b32 exec_lo, exec_lo, s2
	v_lshlrev_b32_e32 v68, 2, v66
	s_waitcnt lgkmcnt(0)
	s_barrier
	buffer_gl0_inv
	v_cmp_eq_u32_e32 vcc_lo, 1, v67
	v_add_nc_u32_e32 v84, 0x4000, v68
	v_cmp_eq_u32_e64 s2, 2, v67
	v_cmp_eq_u32_e64 s4, 7, v67
	ds_load_2addr_b32 v[91:92], v84 offset1:17
	ds_load_2addr_b32 v[93:94], v84 offset0:34 offset1:51
	ds_load_2addr_b32 v[95:96], v84 offset0:68 offset1:85
	;; [unrolled: 1-line block ×4, first 2 shown]
	s_waitcnt lgkmcnt(4)
	v_max3_f32 v68, v91, 0xff7fffff, v92
	s_waitcnt lgkmcnt(3)
	s_delay_alu instid0(VALU_DEP_1) | instskip(SKIP_1) | instid1(VALU_DEP_1)
	v_max3_f32 v68, v68, v93, v94
	s_waitcnt lgkmcnt(2)
	v_max3_f32 v68, v68, v95, v96
	s_waitcnt lgkmcnt(1)
	s_delay_alu instid0(VALU_DEP_1) | instskip(NEXT) | instid1(VALU_DEP_1)
	v_max3_f32 v68, v68, v97, v98
	v_sub_f32_e32 v69, v91, v68
	v_sub_f32_e32 v93, v93, v68
	;; [unrolled: 1-line block ×3, first 2 shown]
	s_delay_alu instid0(VALU_DEP_3) | instskip(NEXT) | instid1(VALU_DEP_3)
	v_mul_f32_e32 v69, 0x3fb8aa3b, v69
	v_mul_f32_e32 v103, 0x3fb8aa3b, v93
	s_delay_alu instid0(VALU_DEP_3) | instskip(NEXT) | instid1(VALU_DEP_3)
	v_mul_f32_e32 v105, 0x3fb8aa3b, v95
	v_exp_f32_e32 v102, v69
	v_sub_f32_e32 v69, v94, v68
	v_sub_f32_e32 v101, v92, v68
	ds_load_2addr_b32 v[91:92], v84 offset0:170 offset1:187
	v_exp_f32_e32 v103, v103
	v_mul_f32_e32 v104, 0x3fb8aa3b, v69
	v_mul_f32_e32 v101, 0x3fb8aa3b, v101
	s_waitcnt lgkmcnt(1)
	v_fma_f32 v69, v102, v99, 0
	v_sub_f32_e32 v99, v96, v68
	s_delay_alu instid0(VALU_DEP_3) | instskip(SKIP_4) | instid1(VALU_DEP_1)
	v_exp_f32_e32 v101, v101
	v_exp_f32_e32 v104, v104
	s_waitcnt_depctr 0xfff
	v_fmac_f32_e32 v69, v101, v100
	s_waitcnt lgkmcnt(0)
	v_fmac_f32_e32 v69, v103, v91
	ds_load_2addr_b32 v[93:94], v84 offset0:204 offset1:221
	ds_load_2addr_b32 v[95:96], v84 offset0:238 offset1:255
	v_dual_sub_f32 v84, v97, v68 :: v_dual_mul_f32 v97, 0x3fb8aa3b, v99
	v_exp_f32_e32 v99, v105
	v_sub_f32_e32 v91, v98, v68
	v_fmac_f32_e32 v69, v104, v92
	s_delay_alu instid0(VALU_DEP_3)
	v_mul_f32_e32 v84, 0x3fb8aa3b, v84
	v_exp_f32_e32 v97, v97
	s_waitcnt lgkmcnt(0)
	v_mul_f32_e32 v91, 0x3fb8aa3b, v91
	s_barrier
	v_exp_f32_e32 v84, v84
	buffer_gl0_inv
	v_exp_f32_e32 v91, v91
	v_fmac_f32_e32 v69, v99, v93
	s_delay_alu instid0(VALU_DEP_1) | instskip(NEXT) | instid1(VALU_DEP_1)
	v_fmac_f32_e32 v69, v97, v94
	v_fmac_f32_e32 v69, v84, v95
	s_waitcnt_depctr 0xfff
	v_fmac_f32_e32 v69, v91, v96
	s_delay_alu instid0(VALU_DEP_1) | instskip(NEXT) | instid1(VALU_DEP_1)
	v_add_f32_e32 v92, 0x358637bd, v69
	v_div_scale_f32 v93, null, v92, v92, 1.0
	v_div_scale_f32 v96, s3, 1.0, v92, 1.0
	s_delay_alu instid0(VALU_DEP_2) | instskip(SKIP_2) | instid1(VALU_DEP_1)
	v_rcp_f32_e32 v94, v93
	s_waitcnt_depctr 0xfff
	v_fma_f32 v95, -v93, v94, 1.0
	v_dual_fmac_f32 v94, v95, v94 :: v_dual_cndmask_b32 v95, v102, v101
	v_cmp_eq_u32_e32 vcc_lo, 3, v67
	s_delay_alu instid0(VALU_DEP_2) | instskip(NEXT) | instid1(VALU_DEP_3)
	v_mul_f32_e32 v98, v96, v94
	v_cndmask_b32_e64 v95, v95, v103, s2
	v_cmp_eq_u32_e64 s2, 4, v67
	s_delay_alu instid0(VALU_DEP_3) | instskip(NEXT) | instid1(VALU_DEP_3)
	v_fma_f32 v100, -v93, v98, v96
	v_cndmask_b32_e32 v95, v95, v104, vcc_lo
	v_cmp_eq_u32_e32 vcc_lo, 5, v67
	s_delay_alu instid0(VALU_DEP_3) | instskip(NEXT) | instid1(VALU_DEP_3)
	v_fmac_f32_e32 v98, v100, v94
	v_cndmask_b32_e64 v95, v95, v99, s2
	v_cmp_eq_u32_e64 s2, 6, v67
	s_delay_alu instid0(VALU_DEP_3) | instskip(NEXT) | instid1(VALU_DEP_3)
	v_fma_f32 v93, -v93, v98, v96
	v_cndmask_b32_e32 v95, v95, v97, vcc_lo
	s_mov_b32 vcc_lo, s3
	s_delay_alu instid0(VALU_DEP_2) | instskip(NEXT) | instid1(VALU_DEP_2)
	v_div_fmas_f32 v93, v93, v94, v98
	v_cndmask_b32_e64 v84, v95, v84, s2
	s_mov_b32 s2, exec_lo
	s_delay_alu instid0(VALU_DEP_2) | instskip(NEXT) | instid1(VALU_DEP_2)
	v_div_fixup_f32 v92, v93, v92, 1.0
	v_cndmask_b32_e64 v84, v84, v91, s4
	s_delay_alu instid0(VALU_DEP_1) | instskip(NEXT) | instid1(VALU_DEP_1)
	v_mul_f32_e32 v84, v84, v92
	v_mul_f32_e32 v92, v84, v81
	v_mul_f32_e32 v81, v84, v90
	v_mul_f32_e32 v90, v84, v88
	v_mul_f32_e32 v86, v84, v86
	v_mul_f32_e32 v89, v84, v89
	v_and_b32_e32 v93, 0x7f800000, v92
	v_mul_f32_e32 v91, v84, v87
	v_mul_f32_e32 v88, v84, v85
	;; [unrolled: 1-line block ×3, first 2 shown]
                                        ; implicit-def: $vgpr77
	s_delay_alu instid0(VALU_DEP_4)
	v_cmpx_ne_u32_e32 0x7f800000, v93
	s_xor_b32 s2, exec_lo, s2
; %bb.13:
	v_bfe_u32 v77, v92, 16, 1
	s_delay_alu instid0(VALU_DEP_1)
	v_add3_u32 v77, v92, v77, 0x7fff
                                        ; implicit-def: $vgpr92
; %bb.14:
	s_and_not1_saveexec_b32 s2, s2
; %bb.15:
	v_and_b32_e32 v77, 0xffff, v92
	v_or_b32_e32 v85, 0x10000, v92
	s_delay_alu instid0(VALU_DEP_2) | instskip(NEXT) | instid1(VALU_DEP_2)
	v_cmp_eq_u32_e32 vcc_lo, 0, v77
	v_cndmask_b32_e32 v77, v85, v92, vcc_lo
; %bb.16:
	s_or_b32 exec_lo, exec_lo, s2
	v_and_b32_e32 v85, 0x7f800000, v87
	s_delay_alu instid0(VALU_DEP_1) | instskip(SKIP_1) | instid1(SALU_CYCLE_1)
	v_cmp_ne_u32_e32 vcc_lo, 0x7f800000, v85
                                        ; implicit-def: $vgpr85
	s_and_saveexec_b32 s2, vcc_lo
	s_xor_b32 s2, exec_lo, s2
; %bb.17:
	v_bfe_u32 v85, v87, 16, 1
	s_delay_alu instid0(VALU_DEP_1)
	v_add3_u32 v85, v87, v85, 0x7fff
                                        ; implicit-def: $vgpr87
; %bb.18:
	s_and_not1_saveexec_b32 s2, s2
; %bb.19:
	v_and_b32_e32 v85, 0xffff, v87
	v_or_b32_e32 v92, 0x10000, v87
	s_delay_alu instid0(VALU_DEP_2) | instskip(NEXT) | instid1(VALU_DEP_2)
	v_cmp_eq_u32_e32 vcc_lo, 0, v85
	v_cndmask_b32_e32 v85, v92, v87, vcc_lo
; %bb.20:
	s_or_b32 exec_lo, exec_lo, s2
	v_and_b32_e32 v87, 0x7f800000, v88
	s_delay_alu instid0(VALU_DEP_1) | instskip(SKIP_1) | instid1(SALU_CYCLE_1)
	v_cmp_ne_u32_e32 vcc_lo, 0x7f800000, v87
                                        ; implicit-def: $vgpr87
	s_and_saveexec_b32 s2, vcc_lo
	s_xor_b32 s2, exec_lo, s2
; %bb.21:
	v_bfe_u32 v87, v88, 16, 1
	s_delay_alu instid0(VALU_DEP_1)
	v_add3_u32 v87, v88, v87, 0x7fff
                                        ; implicit-def: $vgpr88
; %bb.22:
	s_and_not1_saveexec_b32 s2, s2
; %bb.23:
	v_and_b32_e32 v87, 0xffff, v88
	v_or_b32_e32 v92, 0x10000, v88
	s_delay_alu instid0(VALU_DEP_2) | instskip(NEXT) | instid1(VALU_DEP_2)
	v_cmp_eq_u32_e32 vcc_lo, 0, v87
	v_cndmask_b32_e32 v87, v92, v88, vcc_lo
; %bb.24:
	s_or_b32 exec_lo, exec_lo, s2
	v_and_b32_e32 v88, 0x7f800000, v91
	s_delay_alu instid0(VALU_DEP_1) | instskip(SKIP_1) | instid1(SALU_CYCLE_1)
	v_cmp_ne_u32_e32 vcc_lo, 0x7f800000, v88
                                        ; implicit-def: $vgpr88
	s_and_saveexec_b32 s2, vcc_lo
	s_xor_b32 s2, exec_lo, s2
; %bb.25:
	v_bfe_u32 v88, v91, 16, 1
	s_delay_alu instid0(VALU_DEP_1)
	v_add3_u32 v88, v91, v88, 0x7fff
                                        ; implicit-def: $vgpr91
; %bb.26:
	s_and_not1_saveexec_b32 s2, s2
; %bb.27:
	v_and_b32_e32 v88, 0xffff, v91
	v_or_b32_e32 v92, 0x10000, v91
	s_delay_alu instid0(VALU_DEP_2) | instskip(NEXT) | instid1(VALU_DEP_2)
	v_cmp_eq_u32_e32 vcc_lo, 0, v88
	v_cndmask_b32_e32 v88, v92, v91, vcc_lo
; %bb.28:
	s_or_b32 exec_lo, exec_lo, s2
	v_and_b32_e32 v91, 0x7f800000, v90
	s_delay_alu instid0(VALU_DEP_1) | instskip(SKIP_1) | instid1(SALU_CYCLE_1)
	v_cmp_ne_u32_e32 vcc_lo, 0x7f800000, v91
                                        ; implicit-def: $vgpr91
	s_and_saveexec_b32 s2, vcc_lo
	s_xor_b32 s2, exec_lo, s2
; %bb.29:
	v_bfe_u32 v91, v90, 16, 1
	s_delay_alu instid0(VALU_DEP_1)
	v_add3_u32 v91, v90, v91, 0x7fff
                                        ; implicit-def: $vgpr90
; %bb.30:
	s_and_not1_saveexec_b32 s2, s2
; %bb.31:
	v_and_b32_e32 v91, 0xffff, v90
	v_or_b32_e32 v92, 0x10000, v90
	s_delay_alu instid0(VALU_DEP_2) | instskip(NEXT) | instid1(VALU_DEP_2)
	v_cmp_eq_u32_e32 vcc_lo, 0, v91
	v_cndmask_b32_e32 v91, v92, v90, vcc_lo
; %bb.32:
	s_or_b32 exec_lo, exec_lo, s2
	v_and_b32_e32 v90, 0x7f800000, v89
	s_delay_alu instid0(VALU_DEP_1) | instskip(SKIP_1) | instid1(SALU_CYCLE_1)
	v_cmp_ne_u32_e32 vcc_lo, 0x7f800000, v90
                                        ; implicit-def: $vgpr90
	s_and_saveexec_b32 s2, vcc_lo
	s_xor_b32 s2, exec_lo, s2
; %bb.33:
	v_bfe_u32 v90, v89, 16, 1
	s_delay_alu instid0(VALU_DEP_1)
	v_add3_u32 v90, v89, v90, 0x7fff
                                        ; implicit-def: $vgpr89
; %bb.34:
	s_and_not1_saveexec_b32 s2, s2
; %bb.35:
	v_and_b32_e32 v90, 0xffff, v89
	v_or_b32_e32 v92, 0x10000, v89
	s_delay_alu instid0(VALU_DEP_2) | instskip(NEXT) | instid1(VALU_DEP_2)
	v_cmp_eq_u32_e32 vcc_lo, 0, v90
	v_cndmask_b32_e32 v90, v92, v89, vcc_lo
; %bb.36:
	s_or_b32 exec_lo, exec_lo, s2
	v_and_b32_e32 v89, 0x7f800000, v86
	s_delay_alu instid0(VALU_DEP_1) | instskip(SKIP_1) | instid1(SALU_CYCLE_1)
	v_cmp_ne_u32_e32 vcc_lo, 0x7f800000, v89
                                        ; implicit-def: $vgpr89
	s_and_saveexec_b32 s2, vcc_lo
	s_xor_b32 s2, exec_lo, s2
; %bb.37:
	v_bfe_u32 v89, v86, 16, 1
	s_delay_alu instid0(VALU_DEP_1)
	v_add3_u32 v89, v86, v89, 0x7fff
                                        ; implicit-def: $vgpr86
; %bb.38:
	s_and_not1_saveexec_b32 s2, s2
; %bb.39:
	v_and_b32_e32 v89, 0xffff, v86
	v_or_b32_e32 v92, 0x10000, v86
	s_delay_alu instid0(VALU_DEP_2) | instskip(NEXT) | instid1(VALU_DEP_2)
	v_cmp_eq_u32_e32 vcc_lo, 0, v89
	v_cndmask_b32_e32 v89, v92, v86, vcc_lo
; %bb.40:
	s_or_b32 exec_lo, exec_lo, s2
	v_and_b32_e32 v86, 0x7f800000, v81
	s_delay_alu instid0(VALU_DEP_1) | instskip(SKIP_1) | instid1(SALU_CYCLE_1)
	v_cmp_ne_u32_e32 vcc_lo, 0x7f800000, v86
                                        ; implicit-def: $vgpr86
	s_and_saveexec_b32 s2, vcc_lo
	s_xor_b32 s2, exec_lo, s2
; %bb.41:
	v_bfe_u32 v86, v81, 16, 1
	s_delay_alu instid0(VALU_DEP_1)
	v_add3_u32 v86, v81, v86, 0x7fff
                                        ; implicit-def: $vgpr81
; %bb.42:
	s_and_not1_saveexec_b32 s2, s2
; %bb.43:
	v_and_b32_e32 v86, 0xffff, v81
	v_or_b32_e32 v92, 0x10000, v81
	s_delay_alu instid0(VALU_DEP_2) | instskip(NEXT) | instid1(VALU_DEP_2)
	v_cmp_eq_u32_e32 vcc_lo, 0, v86
	v_cndmask_b32_e32 v86, v92, v81, vcc_lo
; %bb.44:
	s_or_b32 exec_lo, exec_lo, s2
	s_load_b64 s[34:35], s[0:1], 0x94
	v_lshlrev_b32_e32 v93, 4, v65
	s_delay_alu instid0(VALU_DEP_2)
	v_perm_b32 v92, v86, v89, 0x7060302
	v_dual_mul_f32 v80, v84, v80 :: v_dual_lshlrev_b32 v81, 6, v66
	v_lshlrev_b32_e32 v66, 11, v67
	v_perm_b32 v89, v85, v77, 0x7060302
	v_mul_f32_e32 v85, v84, v71
	v_mul_f32_e32 v71, v84, v82
	v_perm_b32 v91, v90, v91, 0x7060302
	v_perm_b32 v90, v88, v87, 0x7060302
	v_or3_b32 v77, v93, v66, v81
	v_mul_f32_e32 v66, v84, v83
	v_dual_mul_f32 v79, v84, v79 :: v_dual_and_b32 v86, 0x7f800000, v85
	v_mul_f32_e32 v83, v84, v78
	v_mul_f32_e32 v82, v84, v72
	v_mul_f32_e32 v78, v84, v70
	s_mov_b32 s2, exec_lo
	ds_store_b128 v77, v[89:92]
                                        ; implicit-def: $vgpr70
	v_cmpx_ne_u32_e32 0x7f800000, v86
	s_xor_b32 s2, exec_lo, s2
; %bb.45:
	v_bfe_u32 v70, v85, 16, 1
	s_delay_alu instid0(VALU_DEP_1)
	v_add3_u32 v70, v85, v70, 0x7fff
                                        ; implicit-def: $vgpr85
; %bb.46:
	s_and_not1_saveexec_b32 s2, s2
; %bb.47:
	v_and_b32_e32 v70, 0xffff, v85
	v_or_b32_e32 v72, 0x10000, v85
	s_delay_alu instid0(VALU_DEP_2) | instskip(NEXT) | instid1(VALU_DEP_2)
	v_cmp_eq_u32_e32 vcc_lo, 0, v70
	v_cndmask_b32_e32 v70, v72, v85, vcc_lo
; %bb.48:
	s_or_b32 exec_lo, exec_lo, s2
	v_and_b32_e32 v72, 0x7f800000, v78
	s_delay_alu instid0(VALU_DEP_1) | instskip(SKIP_1) | instid1(SALU_CYCLE_1)
	v_cmp_ne_u32_e32 vcc_lo, 0x7f800000, v72
                                        ; implicit-def: $vgpr72
	s_and_saveexec_b32 s2, vcc_lo
	s_xor_b32 s2, exec_lo, s2
; %bb.49:
	v_bfe_u32 v72, v78, 16, 1
	s_delay_alu instid0(VALU_DEP_1)
	v_add3_u32 v72, v78, v72, 0x7fff
                                        ; implicit-def: $vgpr78
; %bb.50:
	s_and_not1_saveexec_b32 s2, s2
; %bb.51:
	v_and_b32_e32 v72, 0xffff, v78
	v_or_b32_e32 v84, 0x10000, v78
	s_delay_alu instid0(VALU_DEP_2) | instskip(NEXT) | instid1(VALU_DEP_2)
	v_cmp_eq_u32_e32 vcc_lo, 0, v72
	v_cndmask_b32_e32 v72, v84, v78, vcc_lo
; %bb.52:
	s_or_b32 exec_lo, exec_lo, s2
	v_and_b32_e32 v78, 0x7f800000, v82
	s_delay_alu instid0(VALU_DEP_1) | instskip(SKIP_1) | instid1(SALU_CYCLE_1)
	v_cmp_ne_u32_e32 vcc_lo, 0x7f800000, v78
                                        ; implicit-def: $vgpr78
	s_and_saveexec_b32 s2, vcc_lo
	s_xor_b32 s2, exec_lo, s2
; %bb.53:
	v_bfe_u32 v78, v82, 16, 1
	s_delay_alu instid0(VALU_DEP_1)
	v_add3_u32 v78, v82, v78, 0x7fff
                                        ; implicit-def: $vgpr82
; %bb.54:
	s_and_not1_saveexec_b32 s2, s2
; %bb.55:
	v_and_b32_e32 v78, 0xffff, v82
	v_or_b32_e32 v84, 0x10000, v82
	s_delay_alu instid0(VALU_DEP_2) | instskip(NEXT) | instid1(VALU_DEP_2)
	v_cmp_eq_u32_e32 vcc_lo, 0, v78
	v_cndmask_b32_e32 v78, v84, v82, vcc_lo
; %bb.56:
	s_or_b32 exec_lo, exec_lo, s2
	v_and_b32_e32 v82, 0x7f800000, v83
	s_delay_alu instid0(VALU_DEP_1) | instskip(SKIP_1) | instid1(SALU_CYCLE_1)
	v_cmp_ne_u32_e32 vcc_lo, 0x7f800000, v82
                                        ; implicit-def: $vgpr82
	s_and_saveexec_b32 s2, vcc_lo
	s_xor_b32 s2, exec_lo, s2
; %bb.57:
	v_bfe_u32 v82, v83, 16, 1
	s_delay_alu instid0(VALU_DEP_1)
	v_add3_u32 v82, v83, v82, 0x7fff
                                        ; implicit-def: $vgpr83
; %bb.58:
	s_and_not1_saveexec_b32 s2, s2
; %bb.59:
	v_and_b32_e32 v82, 0xffff, v83
	v_or_b32_e32 v84, 0x10000, v83
	s_delay_alu instid0(VALU_DEP_2) | instskip(NEXT) | instid1(VALU_DEP_2)
	v_cmp_eq_u32_e32 vcc_lo, 0, v82
	v_cndmask_b32_e32 v82, v84, v83, vcc_lo
; %bb.60:
	s_or_b32 exec_lo, exec_lo, s2
	v_and_b32_e32 v83, 0x7f800000, v79
	s_delay_alu instid0(VALU_DEP_1) | instskip(SKIP_1) | instid1(SALU_CYCLE_1)
	v_cmp_ne_u32_e32 vcc_lo, 0x7f800000, v83
                                        ; implicit-def: $vgpr83
	s_and_saveexec_b32 s2, vcc_lo
	s_xor_b32 s2, exec_lo, s2
; %bb.61:
	v_bfe_u32 v83, v79, 16, 1
	s_delay_alu instid0(VALU_DEP_1)
	v_add3_u32 v83, v79, v83, 0x7fff
                                        ; implicit-def: $vgpr79
; %bb.62:
	s_and_not1_saveexec_b32 s2, s2
; %bb.63:
	v_and_b32_e32 v83, 0xffff, v79
	v_or_b32_e32 v84, 0x10000, v79
	s_delay_alu instid0(VALU_DEP_2) | instskip(NEXT) | instid1(VALU_DEP_2)
	v_cmp_eq_u32_e32 vcc_lo, 0, v83
	v_cndmask_b32_e32 v83, v84, v79, vcc_lo
; %bb.64:
	s_or_b32 exec_lo, exec_lo, s2
	v_and_b32_e32 v79, 0x7f800000, v80
	s_delay_alu instid0(VALU_DEP_1) | instskip(SKIP_1) | instid1(SALU_CYCLE_1)
	v_cmp_ne_u32_e32 vcc_lo, 0x7f800000, v79
                                        ; implicit-def: $vgpr79
	s_and_saveexec_b32 s2, vcc_lo
	s_xor_b32 s2, exec_lo, s2
; %bb.65:
	v_bfe_u32 v79, v80, 16, 1
	s_delay_alu instid0(VALU_DEP_1)
	v_add3_u32 v79, v80, v79, 0x7fff
                                        ; implicit-def: $vgpr80
; %bb.66:
	s_and_not1_saveexec_b32 s2, s2
; %bb.67:
	v_and_b32_e32 v79, 0xffff, v80
	v_or_b32_e32 v84, 0x10000, v80
	s_delay_alu instid0(VALU_DEP_2) | instskip(NEXT) | instid1(VALU_DEP_2)
	v_cmp_eq_u32_e32 vcc_lo, 0, v79
	v_cndmask_b32_e32 v79, v84, v80, vcc_lo
; %bb.68:
	s_or_b32 exec_lo, exec_lo, s2
	v_and_b32_e32 v80, 0x7f800000, v71
	s_delay_alu instid0(VALU_DEP_1) | instskip(SKIP_1) | instid1(SALU_CYCLE_1)
	v_cmp_ne_u32_e32 vcc_lo, 0x7f800000, v80
                                        ; implicit-def: $vgpr80
	s_and_saveexec_b32 s2, vcc_lo
	s_xor_b32 s2, exec_lo, s2
; %bb.69:
	v_bfe_u32 v80, v71, 16, 1
	s_delay_alu instid0(VALU_DEP_1)
	v_add3_u32 v80, v71, v80, 0x7fff
                                        ; implicit-def: $vgpr71
; %bb.70:
	s_and_not1_saveexec_b32 s2, s2
; %bb.71:
	v_and_b32_e32 v80, 0xffff, v71
	v_or_b32_e32 v84, 0x10000, v71
	s_delay_alu instid0(VALU_DEP_2) | instskip(NEXT) | instid1(VALU_DEP_2)
	v_cmp_eq_u32_e32 vcc_lo, 0, v80
	v_cndmask_b32_e32 v80, v84, v71, vcc_lo
; %bb.72:
	s_or_b32 exec_lo, exec_lo, s2
	v_and_b32_e32 v71, 0x7f800000, v66
	s_delay_alu instid0(VALU_DEP_1) | instskip(SKIP_1) | instid1(SALU_CYCLE_1)
	v_cmp_ne_u32_e32 vcc_lo, 0x7f800000, v71
                                        ; implicit-def: $vgpr71
	s_and_saveexec_b32 s2, vcc_lo
	s_xor_b32 s2, exec_lo, s2
; %bb.73:
	v_bfe_u32 v71, v66, 16, 1
	s_delay_alu instid0(VALU_DEP_1)
	v_add3_u32 v71, v66, v71, 0x7fff
                                        ; implicit-def: $vgpr66
; %bb.74:
	s_and_not1_saveexec_b32 s2, s2
; %bb.75:
	v_and_b32_e32 v71, 0xffff, v66
	v_or_b32_e32 v84, 0x10000, v66
	s_delay_alu instid0(VALU_DEP_2) | instskip(NEXT) | instid1(VALU_DEP_2)
	v_cmp_eq_u32_e32 vcc_lo, 0, v71
	v_cndmask_b32_e32 v71, v84, v66, vcc_lo
; %bb.76:
	s_or_b32 exec_lo, exec_lo, s2
	s_delay_alu instid0(VALU_DEP_1)
	v_perm_b32 v87, v71, v80, 0x7060302
	v_perm_b32 v86, v79, v83, 0x7060302
	;; [unrolled: 1-line block ×4, first 2 shown]
	v_lshl_or_b32 v83, v67, 11, v81
	ds_store_b128 v77, v[84:87] offset:1024
	s_waitcnt lgkmcnt(0)
	s_barrier
	buffer_gl0_inv
	ds_load_b128 v[84:87], v83
	ds_load_b128 v[88:91], v83 offset:16
	s_waitcnt lgkmcnt(1)
	v_lshrrev_b32_e32 v70, 16, v87
	s_waitcnt lgkmcnt(0)
	v_lshrrev_b32_e32 v71, 16, v88
	v_lshlrev_b32_e32 v79, 2, v65
	v_lshrrev_b32_e32 v65, 16, v84
	v_lshrrev_b32_e32 v66, 16, v85
	;; [unrolled: 1-line block ×4, first 2 shown]
	v_cmp_eq_u32_e32 vcc_lo, 1, v79
	v_lshrrev_b32_e32 v100, 16, v90
	v_lshrrev_b32_e32 v101, 16, v91
	v_cndmask_b32_e32 v92, v88, v71, vcc_lo
	v_or_b32_e32 v80, 1, v79
	v_cndmask_b32_e32 v82, v84, v65, vcc_lo
	v_cmp_eq_u32_e64 s3, 2, v79
	v_cmp_eq_u32_e64 s6, 3, v79
	v_cmp_eq_u32_e64 s8, 4, v79
	v_cmp_eq_u32_e64 s2, 1, v80
	v_cmp_eq_u32_e64 s5, 2, v80
	v_cndmask_b32_e64 v82, v82, v85, s3
	v_cndmask_b32_e64 v92, v92, v89, s3
	v_cmp_eq_u32_e64 s7, 3, v80
	v_cndmask_b32_e64 v93, v84, v65, s2
	v_or_b32_e32 v78, 2, v79
	v_cndmask_b32_e64 v82, v82, v66, s6
	v_cndmask_b32_e64 v92, v92, v72, s6
	;; [unrolled: 1-line block ×4, first 2 shown]
	v_cmp_eq_u32_e64 s9, 5, v79
	v_cndmask_b32_e64 v82, v82, v86, s8
	v_cndmask_b32_e64 v92, v92, v90, s8
	v_cmp_eq_u32_e64 s10, 4, v80
	v_cndmask_b32_e64 v93, v93, v66, s7
	v_cmp_eq_u32_e64 s4, 1, v78
	v_cndmask_b32_e64 v94, v94, v89, s5
	v_cndmask_b32_e64 v82, v82, v67, s9
	v_cmp_eq_u32_e64 s11, 6, v79
	v_cndmask_b32_e64 v93, v93, v86, s10
	;; [unrolled: 3-line block ×3, first 2 shown]
	v_cndmask_b32_e64 v94, v94, v72, s7
	v_cndmask_b32_e64 v82, v82, v87, s11
	v_cmp_eq_u32_e64 s13, 7, v79
	v_cndmask_b32_e64 v93, v93, v67, s12
	v_cndmask_b32_e64 v92, v92, v91, s11
	v_cmp_eq_u32_e64 s15, 6, v80
	v_cmp_eq_u32_e64 s16, 2, v78
	v_cndmask_b32_e64 v94, v94, v90, s10
	v_cndmask_b32_e64 v102, v82, v70, s13
	;; [unrolled: 1-line block ×6, first 2 shown]
	v_cmp_eq_u32_e64 s17, 7, v80
	v_cmp_eq_u32_e64 s18, 3, v78
	;; [unrolled: 1-line block ×4, first 2 shown]
	v_cndmask_b32_e64 v92, v92, v89, s16
	v_cndmask_b32_e64 v104, v93, v70, s17
	;; [unrolled: 1-line block ×4, first 2 shown]
	v_or_b32_e32 v82, 3, v79
	v_cndmask_b32_e64 v97, v92, v72, s18
	v_cmp_eq_u32_e64 s23, 6, v78
	v_cndmask_b32_e64 v105, v93, v91, s15
	v_cndmask_b32_e64 v96, v94, v86, s19
	v_cmp_eq_u32_e64 s20, 1, v82
	ds_load_b128 v[92:95], v83 offset:1024
	v_cmp_eq_u32_e64 s22, 2, v82
	v_cmp_eq_u32_e64 s24, 3, v82
	v_cndmask_b32_e64 v106, v96, v67, s21
	v_cndmask_b32_e64 v65, v84, v65, s20
	v_cndmask_b32_e64 v84, v97, v90, s19
	ds_load_b128 v[96:99], v83 offset:1040
	v_cndmask_b32_e64 v71, v88, v71, s20
	v_cmp_eq_u32_e64 s25, 4, v82
	v_cndmask_b32_e64 v65, v65, v85, s22
	v_cmp_eq_u32_e64 s27, 5, v82
	v_cmp_eq_u32_e64 s28, 6, v82
	v_cndmask_b32_e64 v71, v71, v89, s22
	v_cndmask_b32_e64 v84, v84, v100, s21
	;; [unrolled: 1-line block ×4, first 2 shown]
	v_cmp_eq_u32_e64 s26, 7, v78
	v_cndmask_b32_e64 v71, v71, v72, s24
	v_cndmask_b32_e64 v84, v84, v91, s23
	;; [unrolled: 1-line block ×3, first 2 shown]
	s_waitcnt lgkmcnt(1)
	v_lshrrev_b32_e32 v72, 16, v92
	v_lshrrev_b32_e32 v88, 16, v93
	v_cndmask_b32_e64 v71, v71, v90, s25
	v_cndmask_b32_e64 v66, v66, v70, s26
	v_cndmask_b32_e64 v65, v65, v67, s27
	v_cndmask_b32_e64 v89, v92, v72, s2
	v_cndmask_b32_e64 v84, v84, v101, s26
	v_cndmask_b32_e64 v67, v71, v100, s27
	s_waitcnt lgkmcnt(0)
	v_lshrrev_b32_e32 v71, 16, v96
	v_cndmask_b32_e64 v65, v65, v87, s28
	v_cndmask_b32_e64 v87, v89, v93, s5
	v_lshrrev_b32_e32 v100, 16, v98
	v_cndmask_b32_e64 v67, v67, v91, s28
	v_cndmask_b32_e32 v86, v92, v72, vcc_lo
	v_cndmask_b32_e32 v90, v96, v71, vcc_lo
	v_cmp_eq_u32_e32 vcc_lo, 7, v82
	v_cndmask_b32_e64 v87, v87, v88, s7
	v_lshrrev_b32_e32 v91, 16, v94
	v_cndmask_b32_e64 v85, v105, v101, s17
	v_cndmask_b32_e64 v89, v90, v97, s3
	v_cndmask_b32_e32 v67, v67, v101, vcc_lo
	v_cndmask_b32_e64 v86, v86, v93, s3
	v_lshrrev_b32_e32 v90, 16, v97
	v_cndmask_b32_e32 v65, v65, v70, vcc_lo
	v_cndmask_b32_e64 v70, v87, v94, s10
	v_cndmask_b32_e64 v101, v96, v71, s4
	;; [unrolled: 1-line block ×4, first 2 shown]
	v_perm_b32 v87, v67, v65, 0x5040100
	v_cndmask_b32_e64 v65, v70, v91, s12
	v_lshrrev_b32_e32 v70, 16, v95
	v_cndmask_b32_e64 v86, v86, v94, s8
	v_cndmask_b32_e64 v89, v89, v98, s8
	v_perm_b32 v85, v85, v104, 0x5040100
	v_cndmask_b32_e64 v65, v65, v95, s15
	s_delay_alu instid0(VALU_DEP_4) | instskip(NEXT) | instid1(VALU_DEP_4)
	v_cndmask_b32_e64 v86, v86, v91, s9
	v_cndmask_b32_e64 v89, v89, v100, s9
	s_delay_alu instid0(VALU_DEP_3) | instskip(NEXT) | instid1(VALU_DEP_3)
	v_cndmask_b32_e64 v65, v65, v70, s17
	v_cndmask_b32_e64 v67, v86, v95, s11
	v_perm_b32 v86, v84, v66, 0x5040100
	v_lshrrev_b32_e32 v84, 16, v99
	s_delay_alu instid0(VALU_DEP_3)
	v_cndmask_b32_e64 v66, v67, v70, s13
	v_cndmask_b32_e64 v67, v89, v99, s11
	;; [unrolled: 1-line block ×33, first 2 shown]
	v_cndmask_b32_e32 v70, v72, v70, vcc_lo
	v_cndmask_b32_e32 v72, v88, v84, vcc_lo
	v_cndmask_b32_e64 v88, v90, v84, s26
	v_cndmask_b32_e64 v71, v71, v84, s17
	v_perm_b32 v84, v103, v102, 0x5040100
	s_lshl_b32 s7, s35, 1
	v_perm_b32 v91, v72, v70, 0x5040100
	v_perm_b32 v90, v88, v89, 0x5040100
	;; [unrolled: 1-line block ×4, first 2 shown]
	s_mov_b32 s2, exec_lo
	ds_store_b128 v77, v[84:87]
	ds_store_b128 v77, v[88:91] offset:1024
	v_cmpx_gt_u32_e32 2, v0
	s_cbranch_execz .LBB1363_78
; %bb.77:
	v_or_b32_e32 v65, s31, v0
	s_load_b128 s[8:11], s[0:1], 0x58
	s_delay_alu instid0(VALU_DEP_1) | instskip(NEXT) | instid1(VALU_DEP_1)
	v_mad_u64_u32 v[66:67], null, s7, s30, v[65:66]
	v_mad_u64_u32 v[70:71], null, v66, s34, s[14:15]
	s_delay_alu instid0(VALU_DEP_1) | instskip(NEXT) | instid1(VALU_DEP_1)
	v_ashrrev_i32_e32 v71, 31, v70
	v_lshlrev_b64 v[65:66], 2, v[70:71]
	s_waitcnt lgkmcnt(0)
	s_delay_alu instid0(VALU_DEP_1) | instskip(NEXT) | instid1(VALU_DEP_2)
	v_add_co_u32 v70, vcc_lo, s10, v65
	v_add_co_ci_u32_e32 v71, vcc_lo, s11, v66, vcc_lo
	v_add_co_u32 v65, vcc_lo, s8, v65
	v_add_co_ci_u32_e32 v66, vcc_lo, s9, v66, vcc_lo
	global_store_b32 v[70:71], v68, off
	global_store_b32 v[65:66], v69, off
.LBB1363_78:
	s_or_b32 exec_lo, exec_lo, s2
	s_waitcnt lgkmcnt(0)
	s_waitcnt_vscnt null, 0x0
	s_barrier
	buffer_gl0_inv
	ds_load_b128 v[84:87], v81
	ds_load_b128 v[88:91], v81 offset:16
	ds_load_b128 v[96:99], v81 offset:2064
	;; [unrolled: 1-line block ×3, first 2 shown]
	v_mov_b32_e32 v65, 0
	ds_load_b128 v[104:107], v81 offset:4112
	ds_load_b128 v[100:103], v81 offset:4096
	;; [unrolled: 1-line block ×4, first 2 shown]
	v_mov_b32_e32 v66, v65
	v_mov_b32_e32 v67, v65
	v_mov_b32_e32 v68, v65
	v_mov_b32_e32 v69, v65
	v_mov_b32_e32 v70, v65
	v_mov_b32_e32 v71, v65
	v_mov_b32_e32 v72, v65
	s_waitcnt lgkmcnt(6)
	s_delay_alu instid0(VALU_DEP_1)
	v_wmma_f32_16x16x16_bf16 v[65:72], v[57:64], v[84:91], v[65:72]
	ds_load_b128 v[61:64], v81 offset:8208
	ds_load_b128 v[57:60], v81 offset:8192
	s_waitcnt lgkmcnt(6)
	v_wmma_f32_16x16x16_bf16 v[65:72], v[41:48], v[92:99], v[65:72]
	ds_load_b128 v[45:48], v81 offset:10256
	ds_load_b128 v[41:44], v81 offset:10240
	s_waitcnt lgkmcnt(6)
	;; [unrolled: 4-line block ×4, first 2 shown]
	v_wmma_f32_16x16x16_bf16 v[65:72], v[1:8], v[57:64], v[65:72]
	s_waitcnt lgkmcnt(4)
	s_delay_alu instid0(VALU_DEP_1) | instskip(SKIP_1) | instid1(VALU_DEP_1)
	v_wmma_f32_16x16x16_bf16 v[65:72], v[9:16], v[41:48], v[65:72]
	s_waitcnt lgkmcnt(2)
	v_wmma_f32_16x16x16_bf16 v[65:72], v[17:24], v[33:40], v[65:72]
	s_waitcnt lgkmcnt(0)
	s_delay_alu instid0(VALU_DEP_1) | instskip(NEXT) | instid1(VALU_DEP_1)
	v_wmma_f32_16x16x16_bf16 v[65:72], v[49:56], v[25:32], v[65:72]
	v_and_b32_e32 v1, 0x7f800000, v65
	s_delay_alu instid0(VALU_DEP_1) | instskip(SKIP_1) | instid1(SALU_CYCLE_1)
	v_cmp_ne_u32_e32 vcc_lo, 0x7f800000, v1
                                        ; implicit-def: $vgpr1
	s_and_saveexec_b32 s2, vcc_lo
	s_xor_b32 s2, exec_lo, s2
; %bb.79:
	v_bfe_u32 v1, v65, 16, 1
	s_delay_alu instid0(VALU_DEP_1)
	v_add3_u32 v1, v65, v1, 0x7fff
; %bb.80:
	s_and_not1_saveexec_b32 s2, s2
; %bb.81:
	v_and_b32_e32 v1, 0xffff, v65
	v_or_b32_e32 v2, 0x10000, v65
	s_delay_alu instid0(VALU_DEP_2) | instskip(NEXT) | instid1(VALU_DEP_2)
	v_cmp_eq_u32_e32 vcc_lo, 0, v1
	v_cndmask_b32_e32 v1, v2, v65, vcc_lo
; %bb.82:
	s_or_b32 exec_lo, exec_lo, s2
	v_and_b32_e32 v2, 0x7f800000, v66
	s_delay_alu instid0(VALU_DEP_1) | instskip(SKIP_1) | instid1(SALU_CYCLE_1)
	v_cmp_ne_u32_e32 vcc_lo, 0x7f800000, v2
                                        ; implicit-def: $vgpr2
	s_and_saveexec_b32 s2, vcc_lo
	s_xor_b32 s2, exec_lo, s2
; %bb.83:
	v_bfe_u32 v2, v66, 16, 1
	s_delay_alu instid0(VALU_DEP_1)
	v_add3_u32 v2, v66, v2, 0x7fff
; %bb.84:
	s_and_not1_saveexec_b32 s2, s2
; %bb.85:
	v_and_b32_e32 v2, 0xffff, v66
	v_or_b32_e32 v3, 0x10000, v66
	s_delay_alu instid0(VALU_DEP_2) | instskip(NEXT) | instid1(VALU_DEP_2)
	v_cmp_eq_u32_e32 vcc_lo, 0, v2
	v_cndmask_b32_e32 v2, v3, v66, vcc_lo
; %bb.86:
	s_or_b32 exec_lo, exec_lo, s2
	v_and_b32_e32 v3, 0x7f800000, v67
	s_delay_alu instid0(VALU_DEP_1) | instskip(SKIP_1) | instid1(SALU_CYCLE_1)
	v_cmp_ne_u32_e32 vcc_lo, 0x7f800000, v3
                                        ; implicit-def: $vgpr3
	s_and_saveexec_b32 s2, vcc_lo
	s_xor_b32 s2, exec_lo, s2
; %bb.87:
	v_bfe_u32 v3, v67, 16, 1
	s_delay_alu instid0(VALU_DEP_1)
	v_add3_u32 v3, v67, v3, 0x7fff
; %bb.88:
	s_and_not1_saveexec_b32 s2, s2
; %bb.89:
	v_and_b32_e32 v3, 0xffff, v67
	v_or_b32_e32 v4, 0x10000, v67
	s_delay_alu instid0(VALU_DEP_2) | instskip(NEXT) | instid1(VALU_DEP_2)
	v_cmp_eq_u32_e32 vcc_lo, 0, v3
	v_cndmask_b32_e32 v3, v4, v67, vcc_lo
; %bb.90:
	s_or_b32 exec_lo, exec_lo, s2
	v_and_b32_e32 v4, 0x7f800000, v68
	s_delay_alu instid0(VALU_DEP_1) | instskip(SKIP_1) | instid1(SALU_CYCLE_1)
	v_cmp_ne_u32_e32 vcc_lo, 0x7f800000, v4
                                        ; implicit-def: $vgpr4
	s_and_saveexec_b32 s2, vcc_lo
	s_xor_b32 s2, exec_lo, s2
; %bb.91:
	v_bfe_u32 v4, v68, 16, 1
	s_delay_alu instid0(VALU_DEP_1)
	v_add3_u32 v4, v68, v4, 0x7fff
; %bb.92:
	s_and_not1_saveexec_b32 s2, s2
; %bb.93:
	v_and_b32_e32 v4, 0xffff, v68
	v_or_b32_e32 v5, 0x10000, v68
	s_delay_alu instid0(VALU_DEP_2) | instskip(NEXT) | instid1(VALU_DEP_2)
	v_cmp_eq_u32_e32 vcc_lo, 0, v4
	v_cndmask_b32_e32 v4, v5, v68, vcc_lo
; %bb.94:
	s_or_b32 exec_lo, exec_lo, s2
	v_and_b32_e32 v5, 0x7f800000, v69
	s_delay_alu instid0(VALU_DEP_1) | instskip(SKIP_1) | instid1(SALU_CYCLE_1)
	v_cmp_ne_u32_e32 vcc_lo, 0x7f800000, v5
                                        ; implicit-def: $vgpr5
	s_and_saveexec_b32 s2, vcc_lo
	s_xor_b32 s2, exec_lo, s2
; %bb.95:
	v_bfe_u32 v5, v69, 16, 1
	s_delay_alu instid0(VALU_DEP_1)
	v_add3_u32 v5, v69, v5, 0x7fff
; %bb.96:
	s_and_not1_saveexec_b32 s2, s2
; %bb.97:
	v_and_b32_e32 v5, 0xffff, v69
	v_or_b32_e32 v6, 0x10000, v69
	s_delay_alu instid0(VALU_DEP_2) | instskip(NEXT) | instid1(VALU_DEP_2)
	v_cmp_eq_u32_e32 vcc_lo, 0, v5
	v_cndmask_b32_e32 v5, v6, v69, vcc_lo
; %bb.98:
	s_or_b32 exec_lo, exec_lo, s2
	v_and_b32_e32 v6, 0x7f800000, v70
	s_delay_alu instid0(VALU_DEP_1) | instskip(SKIP_1) | instid1(SALU_CYCLE_1)
	v_cmp_ne_u32_e32 vcc_lo, 0x7f800000, v6
                                        ; implicit-def: $vgpr6
	s_and_saveexec_b32 s2, vcc_lo
	s_xor_b32 s2, exec_lo, s2
; %bb.99:
	v_bfe_u32 v6, v70, 16, 1
	s_delay_alu instid0(VALU_DEP_1)
	v_add3_u32 v6, v70, v6, 0x7fff
; %bb.100:
	s_and_not1_saveexec_b32 s2, s2
; %bb.101:
	v_and_b32_e32 v6, 0xffff, v70
	v_or_b32_e32 v7, 0x10000, v70
	s_delay_alu instid0(VALU_DEP_2) | instskip(NEXT) | instid1(VALU_DEP_2)
	v_cmp_eq_u32_e32 vcc_lo, 0, v6
	v_cndmask_b32_e32 v6, v7, v70, vcc_lo
; %bb.102:
	s_or_b32 exec_lo, exec_lo, s2
	v_and_b32_e32 v7, 0x7f800000, v71
	s_delay_alu instid0(VALU_DEP_1) | instskip(SKIP_1) | instid1(SALU_CYCLE_1)
	v_cmp_ne_u32_e32 vcc_lo, 0x7f800000, v7
                                        ; implicit-def: $vgpr7
	s_and_saveexec_b32 s2, vcc_lo
	s_xor_b32 s2, exec_lo, s2
; %bb.103:
	v_bfe_u32 v7, v71, 16, 1
	s_delay_alu instid0(VALU_DEP_1)
	v_add3_u32 v7, v71, v7, 0x7fff
; %bb.104:
	s_and_not1_saveexec_b32 s2, s2
; %bb.105:
	v_and_b32_e32 v7, 0xffff, v71
	v_or_b32_e32 v8, 0x10000, v71
	s_delay_alu instid0(VALU_DEP_2) | instskip(NEXT) | instid1(VALU_DEP_2)
	v_cmp_eq_u32_e32 vcc_lo, 0, v7
	v_cndmask_b32_e32 v7, v8, v71, vcc_lo
; %bb.106:
	s_or_b32 exec_lo, exec_lo, s2
	v_and_b32_e32 v8, 0x7f800000, v72
	s_delay_alu instid0(VALU_DEP_1) | instskip(SKIP_1) | instid1(SALU_CYCLE_1)
	v_cmp_ne_u32_e32 vcc_lo, 0x7f800000, v8
                                        ; implicit-def: $vgpr8
	s_and_saveexec_b32 s2, vcc_lo
	s_xor_b32 s2, exec_lo, s2
; %bb.107:
	v_bfe_u32 v8, v72, 16, 1
	s_delay_alu instid0(VALU_DEP_1)
	v_add3_u32 v8, v72, v8, 0x7fff
                                        ; implicit-def: $vgpr65_vgpr66_vgpr67_vgpr68_vgpr69_vgpr70_vgpr71_vgpr72
; %bb.108:
	s_and_not1_saveexec_b32 s2, s2
; %bb.109:
	v_and_b32_e32 v8, 0xffff, v72
	v_or_b32_e32 v9, 0x10000, v72
	s_delay_alu instid0(VALU_DEP_2) | instskip(NEXT) | instid1(VALU_DEP_2)
	v_cmp_eq_u32_e32 vcc_lo, 0, v8
	v_cndmask_b32_e32 v8, v9, v72, vcc_lo
; %bb.110:
	s_or_b32 exec_lo, exec_lo, s2
	s_delay_alu instid0(VALU_DEP_1)
	v_perm_b32 v7, v8, v7, 0x7060302
	v_perm_b32 v6, v6, v5, 0x7060302
	;; [unrolled: 1-line block ×4, first 2 shown]
	s_barrier
	buffer_gl0_inv
	v_cmp_eq_u32_e32 vcc_lo, 1, v79
	ds_store_b128 v77, v[4:7]
	s_waitcnt lgkmcnt(0)
	s_barrier
	buffer_gl0_inv
	ds_load_b128 v[1:4], v83
	ds_load_b128 v[5:8], v83 offset:16
	v_cmp_eq_u32_e64 s2, 1, v80
	v_cmp_eq_u32_e64 s3, 2, v79
	;; [unrolled: 1-line block ×5, first 2 shown]
	s_waitcnt lgkmcnt(1)
	v_lshrrev_b32_e32 v9, 16, v1
	s_waitcnt lgkmcnt(0)
	v_lshrrev_b32_e32 v13, 16, v5
	v_lshrrev_b32_e32 v10, 16, v2
	;; [unrolled: 1-line block ×4, first 2 shown]
	v_cndmask_b32_e64 v19, v1, v9, s2
	v_cndmask_b32_e32 v18, v5, v13, vcc_lo
	v_cndmask_b32_e64 v20, v5, v13, s2
	v_cndmask_b32_e32 v17, v1, v9, vcc_lo
	v_cmp_eq_u32_e32 vcc_lo, 2, v80
	v_lshrrev_b32_e32 v15, 16, v7
	v_cmp_eq_u32_e64 s2, 1, v78
	v_lshrrev_b32_e32 v12, 16, v4
	v_lshrrev_b32_e32 v16, 16, v8
	v_cndmask_b32_e32 v20, v20, v6, vcc_lo
	v_cndmask_b32_e64 v17, v17, v2, s3
	v_cndmask_b32_e32 v19, v19, v2, vcc_lo
	v_cndmask_b32_e64 v18, v18, v6, s3
	v_cmp_eq_u32_e32 vcc_lo, 4, v79
	v_cmp_eq_u32_e64 s3, 3, v80
	v_cndmask_b32_e64 v17, v17, v10, s4
	v_cndmask_b32_e64 v21, v1, v9, s2
	;; [unrolled: 1-line block ×5, first 2 shown]
	v_cndmask_b32_e32 v17, v17, v3, vcc_lo
	v_cndmask_b32_e64 v20, v20, v14, s3
	v_cndmask_b32_e32 v18, v18, v7, vcc_lo
	v_cmp_eq_u32_e32 vcc_lo, 4, v80
	v_cmp_eq_u32_e64 s3, 5, v80
	v_cmp_eq_u32_e64 s2, 2, v82
	v_cndmask_b32_e64 v21, v21, v2, s6
	v_cmp_eq_u32_e64 s4, 5, v79
	v_cndmask_b32_e32 v19, v19, v3, vcc_lo
	v_cndmask_b32_e32 v20, v20, v7, vcc_lo
	v_cmp_eq_u32_e32 vcc_lo, 6, v80
	s_delay_alu instid0(VALU_DEP_4) | instskip(NEXT) | instid1(VALU_DEP_4)
	v_cndmask_b32_e64 v17, v17, v11, s4
	v_cndmask_b32_e64 v19, v19, v11, s3
	s_delay_alu instid0(VALU_DEP_4) | instskip(SKIP_1) | instid1(VALU_DEP_3)
	v_cndmask_b32_e64 v20, v20, v15, s3
	v_cmp_eq_u32_e64 s3, 1, v82
	v_cndmask_b32_e32 v19, v19, v4, vcc_lo
	v_cndmask_b32_e64 v18, v18, v15, s4
	s_delay_alu instid0(VALU_DEP_3)
	v_cndmask_b32_e64 v1, v1, v9, s3
	v_cndmask_b32_e64 v5, v5, v13, s3
	v_cmp_eq_u32_e64 s3, 3, v78
	v_cndmask_b32_e64 v13, v22, v6, s6
	v_cmp_eq_u32_e64 s6, 3, v82
	v_cndmask_b32_e64 v1, v1, v2, s2
	v_cndmask_b32_e64 v2, v5, v6, s2
	;; [unrolled: 1-line block ×3, first 2 shown]
	v_cmp_eq_u32_e64 s2, 4, v78
	v_cndmask_b32_e64 v6, v13, v14, s3
	v_cndmask_b32_e64 v1, v1, v10, s6
	v_cmp_eq_u32_e64 s3, 4, v82
	v_cndmask_b32_e64 v2, v2, v14, s6
	v_cndmask_b32_e64 v5, v9, v3, s2
	;; [unrolled: 3-line block ×3, first 2 shown]
	v_cndmask_b32_e64 v2, v2, v7, s3
	v_cmp_eq_u32_e64 s2, 5, v82
	v_cmp_eq_u32_e64 s4, 6, v79
	v_cndmask_b32_e64 v5, v5, v11, s6
	v_cmp_eq_u32_e64 s3, 6, v78
	v_cndmask_b32_e64 v3, v6, v15, s6
	v_cndmask_b32_e64 v1, v1, v11, s2
	v_cmp_eq_u32_e64 s6, 6, v82
	v_cndmask_b32_e64 v2, v2, v15, s2
	v_cndmask_b32_e64 v17, v17, v4, s4
	v_cndmask_b32_e64 v18, v18, v8, s4
	v_cmp_eq_u32_e64 s4, 7, v79
	v_cndmask_b32_e64 v5, v5, v4, s3
	;; [unrolled: 4-line block ×3, first 2 shown]
	v_cmp_eq_u32_e64 s3, 7, v78
	v_cndmask_b32_e32 v4, v20, v8, vcc_lo
	v_cndmask_b32_e64 v17, v17, v12, s4
	v_cndmask_b32_e64 v19, v19, v12, s5
	;; [unrolled: 1-line block ×8, first 2 shown]
	s_delay_alu instid0(VALU_DEP_4) | instskip(NEXT) | instid1(VALU_DEP_4)
	v_perm_b32 v4, v2, v1, 0x5040100
	v_perm_b32 v3, v3, v5, 0x5040100
	s_delay_alu instid0(VALU_DEP_4) | instskip(NEXT) | instid1(VALU_DEP_4)
	v_perm_b32 v2, v6, v19, 0x5040100
	v_perm_b32 v1, v7, v17, 0x5040100
	ds_store_b128 v77, v[1:4]
	s_waitcnt lgkmcnt(0)
	s_barrier
	buffer_gl0_inv
	s_and_saveexec_b32 s2, s29
	s_cbranch_execz .LBB1363_2
; %bb.111:
	s_load_b64 s[0:1], s[0:1], 0x68
	v_lshlrev_b32_e32 v0, 10, v0
	s_lshl_b32 s2, s34, 6
	v_lshlrev_b32_e32 v1, 4, v76
	v_mul_lo_u32 v4, s2, v75
	s_mul_i32 s3, s2, s30
	v_and_b32_e32 v0, 0x3800, v0
	s_mul_i32 s2, s3, s7
	s_delay_alu instid0(SALU_CYCLE_1) | instskip(NEXT) | instid1(VALU_DEP_1)
	s_ashr_i32 s3, s2, 31
	v_or3_b32 v0, v0, v74, v1
	s_lshl_b64 s[2:3], s[2:3], 1
	s_delay_alu instid0(VALU_DEP_3)
	v_ashrrev_i32_e32 v5, 31, v4
	ds_load_b128 v[0:3], v0
	v_lshlrev_b64 v[4:5], 1, v[4:5]
	s_waitcnt lgkmcnt(0)
	s_add_u32 s2, s0, s2
	s_addc_u32 s3, s1, s3
	s_lshl_b32 s0, s14, 6
	s_delay_alu instid0(SALU_CYCLE_1) | instskip(NEXT) | instid1(SALU_CYCLE_1)
	s_ashr_i32 s1, s0, 31
	s_lshl_b64 s[0:1], s[0:1], 1
	s_delay_alu instid0(SALU_CYCLE_1) | instskip(SKIP_3) | instid1(VALU_DEP_2)
	s_add_u32 s0, s2, s0
	s_addc_u32 s1, s3, s1
	v_add_co_u32 v4, vcc_lo, s0, v4
	v_add_co_ci_u32_e32 v5, vcc_lo, s1, v5, vcc_lo
	v_add_co_u32 v4, vcc_lo, v4, v73
	s_delay_alu instid0(VALU_DEP_2)
	v_add_co_ci_u32_e32 v5, vcc_lo, 0, v5, vcc_lo
	global_store_b128 v[4:5], v[0:3], off
	s_nop 0
	s_sendmsg sendmsg(MSG_DEALLOC_VGPRS)
	s_endpgm
	.section	.rodata,"a",@progbits
	.p2align	6, 0x0
	.amdhsa_kernel _Z39paged_attention_ll4mi_QKV_mfma16_kernelI14__hip_bfloat16hLN4vllm18Fp8KVCacheDataTypeE1EhLi16ELi64ELi256ELb1ELi2EL8MFMAType1EEvPKT_PKT0_S9_ifPKiSB_SB_iPKfiiiPfSE_PS4_PT2_iSD_SD_
		.amdhsa_group_segment_fixed_size 17472
		.amdhsa_private_segment_fixed_size 0
		.amdhsa_kernarg_size 400
		.amdhsa_user_sgpr_count 13
		.amdhsa_user_sgpr_dispatch_ptr 0
		.amdhsa_user_sgpr_queue_ptr 0
		.amdhsa_user_sgpr_kernarg_segment_ptr 1
		.amdhsa_user_sgpr_dispatch_id 0
		.amdhsa_user_sgpr_private_segment_size 0
		.amdhsa_wavefront_size32 1
		.amdhsa_uses_dynamic_stack 0
		.amdhsa_enable_private_segment 0
		.amdhsa_system_sgpr_workgroup_id_x 1
		.amdhsa_system_sgpr_workgroup_id_y 1
		.amdhsa_system_sgpr_workgroup_id_z 1
		.amdhsa_system_sgpr_workgroup_info 0
		.amdhsa_system_vgpr_workitem_id 0
		.amdhsa_next_free_vgpr 125
		.amdhsa_next_free_sgpr 38
		.amdhsa_reserve_vcc 1
		.amdhsa_float_round_mode_32 0
		.amdhsa_float_round_mode_16_64 0
		.amdhsa_float_denorm_mode_32 3
		.amdhsa_float_denorm_mode_16_64 3
		.amdhsa_dx10_clamp 1
		.amdhsa_ieee_mode 1
		.amdhsa_fp16_overflow 0
		.amdhsa_workgroup_processor_mode 1
		.amdhsa_memory_ordered 1
		.amdhsa_forward_progress 0
		.amdhsa_shared_vgpr_count 0
		.amdhsa_exception_fp_ieee_invalid_op 0
		.amdhsa_exception_fp_denorm_src 0
		.amdhsa_exception_fp_ieee_div_zero 0
		.amdhsa_exception_fp_ieee_overflow 0
		.amdhsa_exception_fp_ieee_underflow 0
		.amdhsa_exception_fp_ieee_inexact 0
		.amdhsa_exception_int_div_zero 0
	.end_amdhsa_kernel
	.section	.text._Z39paged_attention_ll4mi_QKV_mfma16_kernelI14__hip_bfloat16hLN4vllm18Fp8KVCacheDataTypeE1EhLi16ELi64ELi256ELb1ELi2EL8MFMAType1EEvPKT_PKT0_S9_ifPKiSB_SB_iPKfiiiPfSE_PS4_PT2_iSD_SD_,"axG",@progbits,_Z39paged_attention_ll4mi_QKV_mfma16_kernelI14__hip_bfloat16hLN4vllm18Fp8KVCacheDataTypeE1EhLi16ELi64ELi256ELb1ELi2EL8MFMAType1EEvPKT_PKT0_S9_ifPKiSB_SB_iPKfiiiPfSE_PS4_PT2_iSD_SD_,comdat
.Lfunc_end1363:
	.size	_Z39paged_attention_ll4mi_QKV_mfma16_kernelI14__hip_bfloat16hLN4vllm18Fp8KVCacheDataTypeE1EhLi16ELi64ELi256ELb1ELi2EL8MFMAType1EEvPKT_PKT0_S9_ifPKiSB_SB_iPKfiiiPfSE_PS4_PT2_iSD_SD_, .Lfunc_end1363-_Z39paged_attention_ll4mi_QKV_mfma16_kernelI14__hip_bfloat16hLN4vllm18Fp8KVCacheDataTypeE1EhLi16ELi64ELi256ELb1ELi2EL8MFMAType1EEvPKT_PKT0_S9_ifPKiSB_SB_iPKfiiiPfSE_PS4_PT2_iSD_SD_
                                        ; -- End function
	.section	.AMDGPU.csdata,"",@progbits
; Kernel info:
; codeLenInByte = 8492
; NumSgprs: 40
; NumVgprs: 125
; ScratchSize: 0
; MemoryBound: 0
; FloatMode: 240
; IeeeMode: 1
; LDSByteSize: 17472 bytes/workgroup (compile time only)
; SGPRBlocks: 4
; VGPRBlocks: 15
; NumSGPRsForWavesPerEU: 40
; NumVGPRsForWavesPerEU: 125
; Occupancy: 10
; WaveLimiterHint : 1
; COMPUTE_PGM_RSRC2:SCRATCH_EN: 0
; COMPUTE_PGM_RSRC2:USER_SGPR: 13
; COMPUTE_PGM_RSRC2:TRAP_HANDLER: 0
; COMPUTE_PGM_RSRC2:TGID_X_EN: 1
; COMPUTE_PGM_RSRC2:TGID_Y_EN: 1
; COMPUTE_PGM_RSRC2:TGID_Z_EN: 1
; COMPUTE_PGM_RSRC2:TIDIG_COMP_CNT: 0
	.section	.text._Z39paged_attention_ll4mi_QKV_mfma16_kernelI14__hip_bfloat16hLN4vllm18Fp8KVCacheDataTypeE1EhLi16ELi64ELi256ELb1ELi3EL8MFMAType1EEvPKT_PKT0_S9_ifPKiSB_SB_iPKfiiiPfSE_PS4_PT2_iSD_SD_,"axG",@progbits,_Z39paged_attention_ll4mi_QKV_mfma16_kernelI14__hip_bfloat16hLN4vllm18Fp8KVCacheDataTypeE1EhLi16ELi64ELi256ELb1ELi3EL8MFMAType1EEvPKT_PKT0_S9_ifPKiSB_SB_iPKfiiiPfSE_PS4_PT2_iSD_SD_,comdat
	.protected	_Z39paged_attention_ll4mi_QKV_mfma16_kernelI14__hip_bfloat16hLN4vllm18Fp8KVCacheDataTypeE1EhLi16ELi64ELi256ELb1ELi3EL8MFMAType1EEvPKT_PKT0_S9_ifPKiSB_SB_iPKfiiiPfSE_PS4_PT2_iSD_SD_ ; -- Begin function _Z39paged_attention_ll4mi_QKV_mfma16_kernelI14__hip_bfloat16hLN4vllm18Fp8KVCacheDataTypeE1EhLi16ELi64ELi256ELb1ELi3EL8MFMAType1EEvPKT_PKT0_S9_ifPKiSB_SB_iPKfiiiPfSE_PS4_PT2_iSD_SD_
	.globl	_Z39paged_attention_ll4mi_QKV_mfma16_kernelI14__hip_bfloat16hLN4vllm18Fp8KVCacheDataTypeE1EhLi16ELi64ELi256ELb1ELi3EL8MFMAType1EEvPKT_PKT0_S9_ifPKiSB_SB_iPKfiiiPfSE_PS4_PT2_iSD_SD_
	.p2align	8
	.type	_Z39paged_attention_ll4mi_QKV_mfma16_kernelI14__hip_bfloat16hLN4vllm18Fp8KVCacheDataTypeE1EhLi16ELi64ELi256ELb1ELi3EL8MFMAType1EEvPKT_PKT0_S9_ifPKiSB_SB_iPKfiiiPfSE_PS4_PT2_iSD_SD_,@function
_Z39paged_attention_ll4mi_QKV_mfma16_kernelI14__hip_bfloat16hLN4vllm18Fp8KVCacheDataTypeE1EhLi16ELi64ELi256ELb1ELi3EL8MFMAType1EEvPKT_PKT0_S9_ifPKiSB_SB_iPKfiiiPfSE_PS4_PT2_iSD_SD_: ; @_Z39paged_attention_ll4mi_QKV_mfma16_kernelI14__hip_bfloat16hLN4vllm18Fp8KVCacheDataTypeE1EhLi16ELi64ELi256ELb1ELi3EL8MFMAType1EEvPKT_PKT0_S9_ifPKiSB_SB_iPKfiiiPfSE_PS4_PT2_iSD_SD_
; %bb.0:
	s_load_b64 s[2:3], s[0:1], 0x30
	s_mov_b32 s34, s13
	s_waitcnt lgkmcnt(0)
	s_cmp_lg_u64 s[2:3], 0
	s_cselect_b32 s8, -1, 0
	s_ashr_i32 s35, s13, 31
	s_cmp_eq_u64 s[2:3], 0
	s_cbranch_scc1 .LBB1364_3
; %bb.1:
	s_lshl_b64 s[4:5], s[34:35], 2
	s_delay_alu instid0(SALU_CYCLE_1) | instskip(SKIP_4) | instid1(SALU_CYCLE_1)
	s_add_u32 s4, s2, s4
	s_addc_u32 s5, s3, s5
	s_load_b64 s[4:5], s[4:5], 0x0
	s_waitcnt lgkmcnt(0)
	s_sub_i32 s4, s5, s4
	s_cmp_eq_u32 s4, 1
	s_cselect_b32 s4, -1, 0
	s_delay_alu instid0(SALU_CYCLE_1)
	s_and_not1_b32 vcc_lo, exec_lo, s4
	s_cbranch_vccz .LBB1364_4
.LBB1364_2:
	s_nop 0
	s_sendmsg sendmsg(MSG_DEALLOC_VGPRS)
	s_endpgm
.LBB1364_3:
.LBB1364_4:
	s_load_b64 s[4:5], s[0:1], 0x28
	s_lshl_b64 s[6:7], s[34:35], 2
	s_waitcnt lgkmcnt(0)
	s_add_u32 s4, s4, s6
	s_addc_u32 s5, s5, s7
	s_lshl_b32 s12, s14, 8
	s_load_b32 s24, s[4:5], 0x0
	s_waitcnt lgkmcnt(0)
	s_cmp_ge_i32 s12, s24
	s_cbranch_scc1 .LBB1364_2
; %bb.5:
	s_clause 0x1
	s_load_b128 s[20:23], s[0:1], 0x8
	s_load_b64 s[4:5], s[0:1], 0x20
	s_and_not1_b32 vcc_lo, exec_lo, s8
	s_cbranch_vccnz .LBB1364_7
; %bb.6:
	s_add_u32 s2, s2, s6
	s_addc_u32 s3, s3, s7
	s_load_b32 s3, s[2:3], 0x0
	s_branch .LBB1364_8
.LBB1364_7:
	s_mov_b32 s3, s34
.LBB1364_8:
	s_load_b128 s[16:19], s[0:1], 0x48
	v_lshrrev_b32_e32 v66, 5, v0
	v_bfe_u32 v74, v0, 4, 1
	v_and_b32_e32 v65, 15, v0
	v_and_b32_e32 v67, 31, v0
	;; [unrolled: 1-line block ×3, first 2 shown]
	s_mul_i32 s31, s15, 3
	v_lshl_or_b32 v1, v66, 1, v74
	v_lshlrev_b32_e32 v2, 3, v65
	v_cmp_gt_u32_e64 s2, 8, v65
	s_delay_alu instid0(VALU_DEP_3) | instskip(NEXT) | instid1(VALU_DEP_3)
	v_cmp_gt_u32_e32 vcc_lo, 3, v1
	v_lshlrev_b32_e32 v73, 1, v2
	s_delay_alu instid0(VALU_DEP_3) | instskip(NEXT) | instid1(SALU_CYCLE_1)
	s_and_b32 s7, s2, vcc_lo
	s_and_saveexec_b32 s6, s7
	s_cbranch_execz .LBB1364_10
; %bb.9:
	s_load_b64 s[8:9], s[0:1], 0x0
	v_add_lshl_u32 v2, v1, s31, 6
	s_waitcnt lgkmcnt(0)
	s_mul_hi_i32 s11, s3, s16
	s_mul_i32 s10, s3, s16
	v_lshlrev_b32_e32 v6, 10, v65
	s_lshl_b64 s[10:11], s[10:11], 1
	v_ashrrev_i32_e32 v3, 31, v2
	v_lshlrev_b32_e32 v1, 6, v1
	v_lshlrev_b32_e32 v7, 10, v75
	v_and_b32_e32 v6, 0x3800, v6
	s_delay_alu instid0(VALU_DEP_4) | instskip(NEXT) | instid1(VALU_DEP_2)
	v_lshlrev_b64 v[2:3], 1, v[2:3]
	v_or3_b32 v1, v6, v7, v1
	s_add_u32 s3, s8, s10
	s_addc_u32 s7, s9, s11
	s_delay_alu instid0(VALU_DEP_2) | instskip(NEXT) | instid1(VALU_DEP_3)
	v_add_co_u32 v2, vcc_lo, s3, v2
	v_add_co_ci_u32_e32 v3, vcc_lo, s7, v3, vcc_lo
	s_delay_alu instid0(VALU_DEP_2) | instskip(NEXT) | instid1(VALU_DEP_2)
	v_add_co_u32 v2, vcc_lo, v2, v73
	v_add_co_ci_u32_e32 v3, vcc_lo, 0, v3, vcc_lo
	global_load_b128 v[2:5], v[2:3], off
	s_waitcnt vmcnt(0)
	ds_store_b128 v1, v[2:5]
.LBB1364_10:
	s_or_b32 exec_lo, exec_lo, s6
	v_and_b32_e32 v1, 0xef, v0
	s_waitcnt lgkmcnt(0)
	s_add_i32 s3, s24, 15
	s_clause 0x1
	s_load_b32 s6, s[0:1], 0x38
	s_load_b32 s19, s[0:1], 0x1c
	s_ashr_i32 s7, s3, 31
	v_add_nc_u32_e32 v1, s12, v1
	s_lshr_b32 s7, s7, 28
	s_waitcnt lgkmcnt(0)
	s_add_i32 s3, s3, s7
	s_barrier
	v_ashrrev_i32_e32 v2, 31, v1
	v_or_b32_e32 v3, 16, v1
	s_ashr_i32 s3, s3, 4
	v_cmp_gt_i32_e32 vcc_lo, s24, v1
	s_add_i32 s3, s3, -1
	v_lshrrev_b32_e32 v2, 28, v2
	buffer_gl0_inv
	s_mul_i32 s27, s15, s18
	v_add_nc_u32_e32 v4, v1, v2
	s_mul_i32 s6, s34, s6
	s_delay_alu instid0(SALU_CYCLE_1) | instskip(NEXT) | instid1(VALU_DEP_1)
	s_ashr_i32 s7, s6, 31
	v_ashrrev_i32_e32 v4, 4, v4
	v_add_nc_u32_e32 v2, v3, v2
	s_lshl_b64 s[6:7], s[6:7], 2
	s_delay_alu instid0(SALU_CYCLE_1) | instskip(NEXT) | instid1(VALU_DEP_2)
	s_add_u32 s26, s4, s6
	v_cndmask_b32_e32 v1, s3, v4, vcc_lo
	s_delay_alu instid0(VALU_DEP_2)
	v_ashrrev_i32_e32 v2, 4, v2
	v_cmp_gt_i32_e32 vcc_lo, s24, v3
	s_addc_u32 s25, s5, s7
	s_ashr_i32 s28, s27, 31
	s_add_u32 s13, s20, s27
	s_addc_u32 s15, s21, s28
	v_cndmask_b32_e32 v3, s3, v2, vcc_lo
	v_ashrrev_i32_e32 v2, 31, v1
	s_lshl_b32 s4, s14, 4
	s_delay_alu instid0(SALU_CYCLE_1) | instskip(NEXT) | instid1(VALU_DEP_2)
	s_ashr_i32 s5, s4, 31
	v_ashrrev_i32_e32 v4, 31, v3
	s_delay_alu instid0(VALU_DEP_2) | instskip(SKIP_1) | instid1(SALU_CYCLE_1)
	v_lshlrev_b64 v[1:2], 2, v[1:2]
	s_lshl_b64 s[4:5], s[4:5], 2
	s_add_u32 s4, s26, s4
	s_delay_alu instid0(VALU_DEP_2) | instskip(SKIP_1) | instid1(VALU_DEP_2)
	v_lshlrev_b64 v[3:4], 2, v[3:4]
	s_addc_u32 s5, s25, s5
	v_add_co_u32 v1, vcc_lo, s26, v1
	v_add_co_ci_u32_e32 v2, vcc_lo, s25, v2, vcc_lo
	s_delay_alu instid0(VALU_DEP_3) | instskip(NEXT) | instid1(VALU_DEP_4)
	v_add_co_u32 v3, vcc_lo, s26, v3
	v_add_co_ci_u32_e32 v4, vcc_lo, s25, v4, vcc_lo
	s_clause 0x1
	global_load_b32 v5, v[1:2], off
	global_load_b32 v7, v[3:4], off
	s_or_b32 s6, s12, 32
	v_lshlrev_b32_e32 v1, 4, v0
	s_ashr_i32 s7, s6, 4
	s_cmp_lt_i32 s6, s24
	s_cselect_b32 s6, s7, s3
	s_delay_alu instid0(VALU_DEP_1) | instskip(SKIP_1) | instid1(SALU_CYCLE_1)
	v_and_b32_e32 v1, 0xf0, v1
	s_ashr_i32 s7, s6, 31
	s_lshl_b64 s[6:7], s[6:7], 2
	s_delay_alu instid0(SALU_CYCLE_1)
	s_add_u32 s6, s26, s6
	s_addc_u32 s7, s25, s7
	s_or_b32 s8, s12, 64
	v_add_co_u32 v1, s13, s13, v1
	s_ashr_i32 s9, s8, 4
	s_cmp_lt_i32 s8, s24
	v_add_co_ci_u32_e64 v2, null, s15, 0, s13
	s_cselect_b32 s8, s9, s3
	s_delay_alu instid0(SALU_CYCLE_1) | instskip(NEXT) | instid1(SALU_CYCLE_1)
	s_ashr_i32 s9, s8, 31
	s_lshl_b64 s[8:9], s[8:9], 2
	s_delay_alu instid0(SALU_CYCLE_1) | instskip(SKIP_2) | instid1(SALU_CYCLE_1)
	s_add_u32 s8, s26, s8
	s_addc_u32 s9, s25, s9
	s_or_b32 s10, s12, 0x60
	s_ashr_i32 s11, s10, 4
	s_cmp_lt_i32 s10, s24
	s_cselect_b32 s10, s11, s3
	s_delay_alu instid0(SALU_CYCLE_1) | instskip(NEXT) | instid1(SALU_CYCLE_1)
	s_ashr_i32 s11, s10, 31
	s_lshl_b64 s[10:11], s[10:11], 2
	s_delay_alu instid0(SALU_CYCLE_1) | instskip(SKIP_2) | instid1(SALU_CYCLE_1)
	s_add_u32 s10, s26, s10
	s_addc_u32 s11, s25, s11
	s_or_b32 s16, s12, 0x80
	s_ashr_i32 s18, s16, 4
	s_cmp_lt_i32 s16, s24
	;; [unrolled: 10-line block ×3, first 2 shown]
	s_cselect_b32 s20, s18, s3
	s_delay_alu instid0(SALU_CYCLE_1) | instskip(NEXT) | instid1(SALU_CYCLE_1)
	s_ashr_i32 s21, s20, 31
	s_lshl_b64 s[20:21], s[20:21], 2
	s_delay_alu instid0(SALU_CYCLE_1)
	s_add_u32 s38, s26, s20
	s_addc_u32 s39, s25, s21
	s_clause 0x5
	s_load_b32 s21, s[4:5], 0x0
	s_load_b32 s13, s[6:7], 0x0
	;; [unrolled: 1-line block ×6, first 2 shown]
	s_or_b32 s9, s12, 0xc0
	s_mov_b32 s4, 0
	s_ashr_i32 s10, s9, 4
	s_cmp_lt_i32 s9, s24
	s_mov_b32 s11, s4
	s_cselect_b32 s36, s10, s3
	s_mov_b32 s5, s4
	s_ashr_i32 s37, s36, 31
	s_mov_b32 s6, s4
	s_lshl_b64 s[36:37], s[36:37], 2
	s_mov_b32 s7, s4
	s_add_u32 s36, s26, s36
	s_addc_u32 s37, s25, s37
	s_or_b32 s29, s12, 0xe0
	s_mov_b32 s8, s4
	s_ashr_i32 s30, s29, 4
	s_mov_b32 s9, s4
	s_mov_b32 s10, s4
	s_cmp_lt_i32 s29, s24
	v_dual_mov_b32 v107, s11 :: v_dual_mov_b32 v100, s4
	v_mov_b32_e32 v106, s10
	v_dual_mov_b32 v104, s8 :: v_dual_mov_b32 v103, s7
	v_dual_mov_b32 v102, s6 :: v_dual_mov_b32 v101, s5
	s_waitcnt vmcnt(1)
	v_mad_i64_i32 v[3:4], null, v5, s17, v[1:2]
	s_waitcnt vmcnt(0)
	v_mad_i64_i32 v[5:6], null, v7, s17, v[1:2]
	v_mul_lo_u16 v1, 0x56, v65
	v_lshlrev_b32_e32 v2, 4, v65
	s_clause 0x7
	global_load_b128 v[49:52], v[3:4], off
	global_load_b128 v[53:56], v[3:4], off offset:256
	global_load_b128 v[76:79], v[5:6], off
	global_load_b128 v[80:83], v[5:6], off offset:256
	global_load_b128 v[84:87], v[3:4], off offset:512
	;; [unrolled: 1-line block ×5, first 2 shown]
	v_lshrrev_b16 v1, 8, v1
	v_lshl_or_b32 v2, v66, 8, v2
	s_delay_alu instid0(VALU_DEP_2) | instskip(NEXT) | instid1(VALU_DEP_1)
	v_mul_lo_u16 v1, v1, 3
	v_sub_nc_u16 v1, v65, v1
	s_delay_alu instid0(VALU_DEP_1)
	v_and_b32_e32 v1, 0xff, v1
	v_mov_b32_e32 v105, s9
	s_cselect_b32 s4, s30, s3
	s_load_b32 s3, s[36:37], 0x0
	s_ashr_i32 s5, s4, 31
	v_lshlrev_b32_e32 v70, 6, v1
	s_lshl_b64 s[4:5], s[4:5], 2
	ds_load_b128 v[108:111], v70
	ds_load_b128 v[112:115], v70 offset:1024
	s_add_u32 s4, s26, s4
	s_addc_u32 s5, s25, s5
	s_add_u32 s6, s22, s27
	s_load_b32 s4, s[4:5], 0x0
	s_addc_u32 s7, s23, s28
	v_add_co_u32 v9, s6, s6, v2
	s_delay_alu instid0(VALU_DEP_1) | instskip(SKIP_1) | instid1(VALU_DEP_1)
	v_add_co_ci_u32_e64 v10, null, s7, 0, s6
	s_waitcnt lgkmcnt(0)
	v_mad_i64_i32 v[1:2], null, s21, s17, v[9:10]
	v_mad_i64_i32 v[3:4], null, s13, s17, v[9:10]
	;; [unrolled: 1-line block ×7, first 2 shown]
	s_clause 0x9
	global_load_b128 v[57:60], v[1:2], off
	global_load_b128 v[61:64], v[1:2], off offset:16
	global_load_b128 v[41:44], v[3:4], off
	global_load_b128 v[45:48], v[3:4], off offset:16
	;; [unrolled: 2-line block ×5, first 2 shown]
	v_mad_i64_i32 v[68:69], null, s4, s17, v[9:10]
	s_clause 0x3
	global_load_b128 v[9:12], v[13:14], off
	global_load_b128 v[13:16], v[13:14], off offset:16
	global_load_b128 v[17:20], v[21:22], off
	global_load_b128 v[21:24], v[21:22], off offset:16
	s_waitcnt vmcnt(20)
	v_wmma_f32_16x16x16_bf16 v[116:123], v[49:56], v[108:115], v[100:107]
	s_clause 0x1
	global_load_b128 v[49:52], v[68:69], off
	global_load_b128 v[53:56], v[68:69], off offset:16
	v_and_b32_e32 v68, 0xe0, v0
	v_mbcnt_lo_u32_b32 v69, -1, 0
	s_delay_alu instid0(VALU_DEP_2)
	v_add_nc_u32_e32 v68, s12, v68
	s_waitcnt vmcnt(20)
	v_wmma_f32_16x16x16_bf16 v[100:107], v[76:83], v[108:115], v[100:107]
	ds_load_b128 v[76:79], v70 offset:2048
	ds_load_b128 v[80:83], v70 offset:3072
	v_xor_b32_e32 v70, 16, v69
	s_waitcnt vmcnt(0) lgkmcnt(0)
	v_or_b32_e32 v68, v68, v74
	s_barrier
	buffer_gl0_inv
	v_cmp_gt_i32_e32 vcc_lo, 32, v70
	v_or_b32_e32 v71, 4, v68
	v_or_b32_e32 v72, 6, v68
	v_cmp_gt_i32_e64 s3, s24, v68
	v_or_b32_e32 v108, 8, v68
	v_or_b32_e32 v109, 10, v68
	v_cmp_gt_i32_e64 s4, s24, v71
	v_cmp_gt_i32_e64 s5, s24, v72
	s_delay_alu instid0(VALU_DEP_4) | instskip(NEXT) | instid1(VALU_DEP_4)
	v_cmp_gt_i32_e64 s6, s24, v108
	v_cmp_gt_i32_e64 s7, s24, v109
	v_wmma_f32_16x16x16_bf16 v[116:123], v[84:91], v[76:83], v[116:123]
	v_cndmask_b32_e32 v69, v69, v70, vcc_lo
	v_or_b32_e32 v70, 2, v68
	v_wmma_f32_16x16x16_bf16 v[100:107], v[92:99], v[76:83], v[100:107]
	v_or_b32_e32 v89, 22, v68
	v_dual_mul_f32 v80, s19, v121 :: v_dual_mul_f32 v81, s19, v120
	v_dual_mul_f32 v92, s19, v117 :: v_dual_mul_f32 v93, s19, v116
	s_delay_alu instid0(VALU_DEP_4)
	v_mul_f32_e32 v96, s19, v105
	v_cmp_gt_i32_e32 vcc_lo, s24, v70
	v_dual_mul_f32 v79, s19, v122 :: v_dual_mul_f32 v82, s19, v119
	v_dual_mul_f32 v83, s19, v118 :: v_dual_mul_f32 v94, s19, v107
	v_cndmask_b32_e64 v93, 0xff7fffff, v93, s3
	v_cndmask_b32_e32 v92, 0xff7fffff, v92, vcc_lo
	v_or_b32_e32 v84, 12, v68
	v_or_b32_e32 v85, 14, v68
	v_cndmask_b32_e64 v71, 0xff7fffff, v83, s4
	v_cndmask_b32_e64 v72, 0xff7fffff, v82, s5
	v_cmp_gt_i32_e64 s13, s24, v89
	v_lshlrev_b32_e32 v89, 2, v69
	v_max3_f32 v82, v93, 0xff7fffff, v92
	v_or_b32_e32 v86, 16, v68
	v_or_b32_e32 v87, 18, v68
	v_mul_f32_e32 v78, s19, v123
	v_cndmask_b32_e64 v81, 0xff7fffff, v81, s6
	v_cndmask_b32_e64 v80, 0xff7fffff, v80, s7
	v_max3_f32 v71, v82, v71, v72
	v_cmp_gt_i32_e64 s8, s24, v84
	v_cmp_gt_i32_e64 s9, s24, v85
	v_or_b32_e32 v88, 20, v68
	v_or_b32_e32 v90, 24, v68
	;; [unrolled: 1-line block ×5, first 2 shown]
	v_dual_mul_f32 v97, s19, v104 :: v_dual_mul_f32 v70, s19, v101
	v_dual_mul_f32 v99, s19, v102 :: v_dual_mul_f32 v68, s19, v100
	v_cndmask_b32_e64 v72, 0xff7fffff, v79, s8
	v_cndmask_b32_e64 v78, 0xff7fffff, v78, s9
	v_max3_f32 v71, v71, v81, v80
	v_cmp_gt_i32_e64 s10, s24, v86
	v_cmp_gt_i32_e64 s11, s24, v87
	v_dual_mul_f32 v95, s19, v106 :: v_dual_mul_f32 v98, s19, v103
	s_delay_alu instid0(VALU_DEP_4) | instskip(NEXT) | instid1(VALU_DEP_4)
	v_max3_f32 v71, v71, v72, v78
	v_cndmask_b32_e64 v68, 0xff7fffff, v68, s10
	s_delay_alu instid0(VALU_DEP_4)
	v_cndmask_b32_e64 v70, 0xff7fffff, v70, s11
	v_cmp_gt_i32_e64 s12, s24, v88
	v_cndmask_b32_e64 v78, 0xff7fffff, v98, s13
	v_cmp_gt_i32_e64 s15, s24, v90
	v_cmp_gt_i32_e64 s16, s24, v91
	v_max3_f32 v68, v71, v68, v70
	v_cndmask_b32_e64 v72, 0xff7fffff, v99, s12
	v_cmp_gt_i32_e64 s17, s24, v76
	v_cndmask_b32_e64 v70, 0xff7fffff, v97, s15
	v_cndmask_b32_e64 v71, 0xff7fffff, v96, s16
	v_cmp_gt_i32_e64 s18, s24, v77
	v_max3_f32 v68, v68, v72, v78
	v_cndmask_b32_e64 v72, 0xff7fffff, v95, s17
	s_delay_alu instid0(VALU_DEP_3) | instskip(NEXT) | instid1(VALU_DEP_3)
	v_cndmask_b32_e64 v76, 0xff7fffff, v94, s18
	v_max3_f32 v68, v68, v70, v71
	s_delay_alu instid0(VALU_DEP_1) | instskip(SKIP_3) | instid1(VALU_DEP_1)
	v_max3_f32 v68, v68, v72, v76
	ds_bpermute_b32 v69, v89, v68
	s_waitcnt lgkmcnt(0)
	v_max_f32_e32 v69, v69, v69
	v_max_f32_e32 v68, v68, v69
	s_delay_alu instid0(VALU_DEP_1) | instskip(NEXT) | instid1(VALU_DEP_1)
	v_fma_f32 v71, s19, v118, -v68
	v_mul_f32_e32 v71, 0x3fb8aa3b, v71
	v_fma_f32 v70, s19, v117, -v68
	v_fma_f32 v69, s19, v116, -v68
	;; [unrolled: 1-line block ×5, first 2 shown]
	s_delay_alu instid0(VALU_DEP_4) | instskip(SKIP_1) | instid1(VALU_DEP_3)
	v_dual_mul_f32 v70, 0x3fb8aa3b, v70 :: v_dual_mul_f32 v69, 0x3fb8aa3b, v69
	v_exp_f32_e32 v71, v71
	v_mul_f32_e32 v72, 0x3fb8aa3b, v72
	v_fma_f32 v81, s19, v105, -v68
	s_delay_alu instid0(VALU_DEP_3)
	v_exp_f32_e32 v70, v70
	v_mul_f32_e32 v77, 0x3fb8aa3b, v76
	v_exp_f32_e32 v69, v69
	v_exp_f32_e32 v72, v72
	v_mul_f32_e32 v81, 0x3fb8aa3b, v81
	v_cndmask_b32_e64 v83, 0, v71, s4
	v_fma_f32 v71, s19, v123, -v68
	s_delay_alu instid0(VALU_DEP_3) | instskip(SKIP_4) | instid1(TRANS32_DEP_3)
	v_exp_f32_e32 v81, v81
	v_cndmask_b32_e32 v76, 0, v70, vcc_lo
	v_exp_f32_e32 v77, v77
	v_cndmask_b32_e64 v80, 0, v69, s3
	v_fma_f32 v69, s19, v121, -v68
	v_cndmask_b32_e64 v85, 0, v72, s5
	v_mul_f32_e32 v71, 0x3fb8aa3b, v71
	v_fma_f32 v72, s19, v100, -v68
	s_delay_alu instid0(VALU_DEP_4) | instskip(SKIP_1) | instid1(VALU_DEP_4)
	v_dual_add_f32 v70, 0, v80 :: v_dual_mul_f32 v69, 0x3fb8aa3b, v69
	v_cmp_gt_u32_e64 s3, 16, v67
	v_exp_f32_e32 v71, v71
	s_delay_alu instid0(TRANS32_DEP_2) | instskip(SKIP_4) | instid1(VALU_DEP_3)
	v_cndmask_b32_e64 v86, 0, v77, s6
	v_fma_f32 v77, s19, v101, -v68
	v_mul_f32_e32 v78, 0x3fb8aa3b, v78
	v_add_f32_e32 v70, v70, v76
	v_exp_f32_e32 v69, v69
	v_mul_f32_e32 v77, 0x3fb8aa3b, v77
	s_delay_alu instid0(VALU_DEP_3) | instskip(NEXT) | instid1(TRANS32_DEP_3)
	v_exp_f32_e32 v78, v78
	v_cndmask_b32_e64 v88, 0, v71, s9
	v_fma_f32 v71, s19, v104, -v68
	s_delay_alu instid0(VALU_DEP_3) | instskip(NEXT) | instid1(TRANS32_DEP_3)
	v_exp_f32_e32 v77, v77
	v_cndmask_b32_e64 v87, 0, v69, s7
	s_delay_alu instid0(VALU_DEP_2)
	v_mul_f32_e32 v71, 0x3fb8aa3b, v71
	s_waitcnt_depctr 0xfff
	v_cndmask_b32_e64 v84, 0, v78, s8
	v_add_f32_e32 v70, v70, v83
	v_fma_f32 v78, s19, v103, -v68
	v_exp_f32_e32 v82, v71
	s_delay_alu instid0(VALU_DEP_2) | instskip(SKIP_1) | instid1(VALU_DEP_3)
	v_add_f32_e32 v70, v70, v85
	v_mul_f32_e32 v72, 0x3fb8aa3b, v72
	v_mul_f32_e32 v78, 0x3fb8aa3b, v78
	s_delay_alu instid0(VALU_DEP_3) | instskip(SKIP_1) | instid1(VALU_DEP_4)
	v_add_f32_e32 v69, v70, v86
	v_fma_f32 v70, s19, v102, -v68
	v_exp_f32_e32 v72, v72
	s_delay_alu instid0(VALU_DEP_3) | instskip(NEXT) | instid1(VALU_DEP_1)
	v_exp_f32_e32 v78, v78
	v_dual_add_f32 v69, v69, v87 :: v_dual_mul_f32 v70, 0x3fb8aa3b, v70
	s_delay_alu instid0(VALU_DEP_1) | instskip(NEXT) | instid1(VALU_DEP_2)
	v_add_f32_e32 v69, v69, v84
	v_exp_f32_e32 v79, v70
	s_delay_alu instid0(TRANS32_DEP_3) | instskip(NEXT) | instid1(VALU_DEP_2)
	v_cndmask_b32_e64 v70, 0, v72, s10
	v_add_f32_e32 v72, v69, v88
	v_cndmask_b32_e64 v69, 0, v77, s11
	v_fma_f32 v77, s19, v106, -v68
	s_waitcnt_depctr 0xfff
	v_cndmask_b32_e64 v71, 0, v79, s12
	v_dual_mul_f32 v77, 0x3fb8aa3b, v77 :: v_dual_add_f32 v72, v72, v70
	s_delay_alu instid0(VALU_DEP_1) | instskip(NEXT) | instid1(VALU_DEP_1)
	v_exp_f32_e32 v90, v77
	v_add_f32_e32 v79, v72, v69
	v_cndmask_b32_e64 v72, 0, v78, s13
	v_cndmask_b32_e64 v77, 0, v82, s15
	s_delay_alu instid0(VALU_DEP_3) | instskip(SKIP_1) | instid1(VALU_DEP_1)
	v_add_f32_e32 v78, v79, v71
	v_fma_f32 v79, s19, v107, -v68
	v_dual_add_f32 v82, v78, v72 :: v_dual_mul_f32 v79, 0x3fb8aa3b, v79
	v_cndmask_b32_e64 v78, 0, v81, s16
	s_delay_alu instid0(VALU_DEP_2) | instskip(NEXT) | instid1(VALU_DEP_3)
	v_add_f32_e32 v81, v82, v77
	v_exp_f32_e32 v82, v79
	v_cndmask_b32_e64 v79, 0, v90, s17
	s_delay_alu instid0(VALU_DEP_2) | instskip(NEXT) | instid1(VALU_DEP_1)
	v_add_f32_e32 v81, v81, v78
	v_add_f32_e32 v90, v81, v79
	s_waitcnt_depctr 0xfff
	v_cndmask_b32_e64 v81, 0, v82, s18
	s_delay_alu instid0(VALU_DEP_1)
	v_add_f32_e32 v82, v90, v81
	ds_bpermute_b32 v89, v89, v82
	s_and_saveexec_b32 s4, s3
	s_cbranch_execz .LBB1364_12
; %bb.11:
	v_mul_u32_u24_e32 v67, 0x44, v66
	s_delay_alu instid0(VALU_DEP_1) | instskip(SKIP_1) | instid1(VALU_DEP_1)
	v_lshl_add_u32 v67, v65, 2, v67
	s_waitcnt lgkmcnt(0)
	v_dual_add_f32 v82, v82, v89 :: v_dual_add_nc_u32 v67, 0x4000, v67
	ds_store_2addr_b32 v67, v68, v82 offset1:136
.LBB1364_12:
	s_or_b32 exec_lo, exec_lo, s4
	v_lshlrev_b32_e32 v67, 2, v65
	s_waitcnt lgkmcnt(0)
	s_barrier
	buffer_gl0_inv
	v_cmp_eq_u32_e32 vcc_lo, 1, v66
	v_add_nc_u32_e32 v82, 0x4000, v67
	v_cmp_eq_u32_e64 s4, 2, v66
	v_cmp_eq_u32_e64 s6, 7, v66
	ds_load_2addr_b32 v[89:90], v82 offset1:17
	ds_load_2addr_b32 v[91:92], v82 offset0:34 offset1:51
	ds_load_2addr_b32 v[93:94], v82 offset0:68 offset1:85
	;; [unrolled: 1-line block ×4, first 2 shown]
	s_waitcnt lgkmcnt(4)
	v_max3_f32 v67, v89, 0xff7fffff, v90
	s_waitcnt lgkmcnt(3)
	s_delay_alu instid0(VALU_DEP_1) | instskip(SKIP_1) | instid1(VALU_DEP_1)
	v_max3_f32 v67, v67, v91, v92
	s_waitcnt lgkmcnt(2)
	v_max3_f32 v67, v67, v93, v94
	s_waitcnt lgkmcnt(1)
	s_delay_alu instid0(VALU_DEP_1) | instskip(NEXT) | instid1(VALU_DEP_1)
	v_max3_f32 v67, v67, v95, v96
	v_sub_f32_e32 v93, v93, v67
	s_delay_alu instid0(VALU_DEP_1) | instskip(NEXT) | instid1(VALU_DEP_1)
	v_dual_sub_f32 v68, v89, v67 :: v_dual_mul_f32 v103, 0x3fb8aa3b, v93
	v_mul_f32_e32 v68, 0x3fb8aa3b, v68
	s_delay_alu instid0(VALU_DEP_1)
	v_exp_f32_e32 v100, v68
	v_sub_f32_e32 v68, v92, v67
	v_sub_f32_e32 v99, v90, v67
	ds_load_2addr_b32 v[89:90], v82 offset0:170 offset1:187
	v_dual_mul_f32 v102, 0x3fb8aa3b, v68 :: v_dual_mul_f32 v99, 0x3fb8aa3b, v99
	s_waitcnt lgkmcnt(1)
	v_fma_f32 v68, v100, v97, 0
	s_delay_alu instid0(VALU_DEP_2) | instskip(NEXT) | instid1(VALU_DEP_2)
	v_exp_f32_e32 v102, v102
	v_exp_f32_e32 v99, v99
	s_waitcnt_depctr 0xfff
	v_fmac_f32_e32 v68, v99, v98
	v_sub_f32_e32 v91, v91, v67
	s_delay_alu instid0(VALU_DEP_1)
	v_mul_f32_e32 v101, 0x3fb8aa3b, v91
	ds_load_2addr_b32 v[91:92], v82 offset0:204 offset1:221
	v_sub_f32_e32 v97, v94, v67
	ds_load_2addr_b32 v[93:94], v82 offset0:238 offset1:255
	s_waitcnt lgkmcnt(0)
	v_exp_f32_e32 v101, v101
	s_barrier
	buffer_gl0_inv
	v_dual_fmac_f32 v68, v101, v89 :: v_dual_sub_f32 v89, v96, v67
	v_dual_sub_f32 v82, v95, v67 :: v_dual_mul_f32 v95, 0x3fb8aa3b, v97
	v_exp_f32_e32 v97, v103
	s_delay_alu instid0(VALU_DEP_2) | instskip(NEXT) | instid1(VALU_DEP_2)
	v_dual_fmac_f32 v68, v102, v90 :: v_dual_mul_f32 v89, 0x3fb8aa3b, v89
	v_mul_f32_e32 v82, 0x3fb8aa3b, v82
	s_delay_alu instid0(VALU_DEP_3) | instskip(NEXT) | instid1(VALU_DEP_2)
	v_exp_f32_e32 v95, v95
	v_exp_f32_e32 v89, v89
	s_delay_alu instid0(VALU_DEP_1)
	v_exp_f32_e32 v82, v82
	v_fmac_f32_e32 v68, v97, v91
	s_delay_alu instid0(TRANS32_DEP_3) | instid1(VALU_DEP_1)
	v_fmac_f32_e32 v68, v95, v92
	s_waitcnt_depctr 0xfff
	v_fmac_f32_e32 v68, v82, v93
	s_delay_alu instid0(VALU_DEP_1) | instskip(NEXT) | instid1(VALU_DEP_1)
	v_fmac_f32_e32 v68, v89, v94
	v_add_f32_e32 v90, 0x358637bd, v68
	s_delay_alu instid0(VALU_DEP_1) | instskip(NEXT) | instid1(VALU_DEP_1)
	v_div_scale_f32 v91, null, v90, v90, 1.0
	v_rcp_f32_e32 v92, v91
	s_waitcnt_depctr 0xfff
	v_fma_f32 v93, -v91, v92, 1.0
	s_delay_alu instid0(VALU_DEP_1) | instskip(SKIP_1) | instid1(VALU_DEP_2)
	v_dual_fmac_f32 v92, v93, v92 :: v_dual_cndmask_b32 v93, v100, v99
	v_cmp_eq_u32_e32 vcc_lo, 3, v66
	v_cndmask_b32_e64 v93, v93, v101, s4
	v_cmp_eq_u32_e64 s4, 4, v66
	s_delay_alu instid0(VALU_DEP_2) | instskip(SKIP_1) | instid1(VALU_DEP_2)
	v_cndmask_b32_e32 v93, v93, v102, vcc_lo
	v_cmp_eq_u32_e32 vcc_lo, 5, v66
	v_cndmask_b32_e64 v93, v93, v97, s4
	v_cmp_eq_u32_e64 s4, 6, v66
	s_delay_alu instid0(VALU_DEP_2) | instskip(SKIP_1) | instid1(VALU_DEP_1)
	v_cndmask_b32_e32 v93, v93, v95, vcc_lo
	v_div_scale_f32 v94, s5, 1.0, v90, 1.0
	s_mov_b32 vcc_lo, s5
	s_delay_alu instid0(VALU_DEP_2) | instskip(NEXT) | instid1(VALU_DEP_2)
	v_cndmask_b32_e64 v82, v93, v82, s4
	v_mul_f32_e32 v96, v94, v92
	s_mov_b32 s4, exec_lo
	s_delay_alu instid0(VALU_DEP_2) | instskip(NEXT) | instid1(VALU_DEP_2)
	v_cndmask_b32_e64 v82, v82, v89, s6
	v_fma_f32 v98, -v91, v96, v94
	s_delay_alu instid0(VALU_DEP_1) | instskip(NEXT) | instid1(VALU_DEP_1)
	v_fmac_f32_e32 v96, v98, v92
	v_fma_f32 v91, -v91, v96, v94
	s_delay_alu instid0(VALU_DEP_1) | instskip(NEXT) | instid1(VALU_DEP_1)
	v_div_fmas_f32 v91, v91, v92, v96
	v_div_fixup_f32 v90, v91, v90, 1.0
	s_delay_alu instid0(VALU_DEP_1) | instskip(NEXT) | instid1(VALU_DEP_1)
	v_mul_f32_e32 v82, v82, v90
	v_mul_f32_e32 v87, v82, v87
	;; [unrolled: 1-line block ×7, first 2 shown]
	v_dual_mul_f32 v86, v82, v83 :: v_dual_and_b32 v91, 0x7f800000, v90
	v_mul_f32_e32 v85, v82, v76
                                        ; implicit-def: $vgpr76
	s_delay_alu instid0(VALU_DEP_2)
	v_cmpx_ne_u32_e32 0x7f800000, v91
	s_xor_b32 s4, exec_lo, s4
; %bb.13:
	v_bfe_u32 v76, v90, 16, 1
	s_delay_alu instid0(VALU_DEP_1)
	v_add3_u32 v76, v90, v76, 0x7fff
                                        ; implicit-def: $vgpr90
; %bb.14:
	s_and_not1_saveexec_b32 s4, s4
; %bb.15:
	v_and_b32_e32 v76, 0xffff, v90
	v_or_b32_e32 v83, 0x10000, v90
	s_delay_alu instid0(VALU_DEP_2) | instskip(NEXT) | instid1(VALU_DEP_2)
	v_cmp_eq_u32_e32 vcc_lo, 0, v76
	v_cndmask_b32_e32 v76, v83, v90, vcc_lo
; %bb.16:
	s_or_b32 exec_lo, exec_lo, s4
	v_and_b32_e32 v83, 0x7f800000, v85
	s_delay_alu instid0(VALU_DEP_1) | instskip(SKIP_1) | instid1(SALU_CYCLE_1)
	v_cmp_ne_u32_e32 vcc_lo, 0x7f800000, v83
                                        ; implicit-def: $vgpr83
	s_and_saveexec_b32 s4, vcc_lo
	s_xor_b32 s4, exec_lo, s4
; %bb.17:
	v_bfe_u32 v83, v85, 16, 1
	s_delay_alu instid0(VALU_DEP_1)
	v_add3_u32 v83, v85, v83, 0x7fff
                                        ; implicit-def: $vgpr85
; %bb.18:
	s_and_not1_saveexec_b32 s4, s4
; %bb.19:
	v_and_b32_e32 v83, 0xffff, v85
	v_or_b32_e32 v90, 0x10000, v85
	s_delay_alu instid0(VALU_DEP_2) | instskip(NEXT) | instid1(VALU_DEP_2)
	v_cmp_eq_u32_e32 vcc_lo, 0, v83
	v_cndmask_b32_e32 v83, v90, v85, vcc_lo
; %bb.20:
	s_or_b32 exec_lo, exec_lo, s4
	v_and_b32_e32 v85, 0x7f800000, v86
	s_delay_alu instid0(VALU_DEP_1) | instskip(SKIP_1) | instid1(SALU_CYCLE_1)
	v_cmp_ne_u32_e32 vcc_lo, 0x7f800000, v85
                                        ; implicit-def: $vgpr85
	s_and_saveexec_b32 s4, vcc_lo
	s_xor_b32 s4, exec_lo, s4
; %bb.21:
	v_bfe_u32 v85, v86, 16, 1
	s_delay_alu instid0(VALU_DEP_1)
	v_add3_u32 v85, v86, v85, 0x7fff
                                        ; implicit-def: $vgpr86
; %bb.22:
	s_and_not1_saveexec_b32 s4, s4
; %bb.23:
	v_and_b32_e32 v85, 0xffff, v86
	v_or_b32_e32 v90, 0x10000, v86
	s_delay_alu instid0(VALU_DEP_2) | instskip(NEXT) | instid1(VALU_DEP_2)
	v_cmp_eq_u32_e32 vcc_lo, 0, v85
	v_cndmask_b32_e32 v85, v90, v86, vcc_lo
; %bb.24:
	s_or_b32 exec_lo, exec_lo, s4
	v_and_b32_e32 v86, 0x7f800000, v89
	s_delay_alu instid0(VALU_DEP_1) | instskip(SKIP_1) | instid1(SALU_CYCLE_1)
	v_cmp_ne_u32_e32 vcc_lo, 0x7f800000, v86
                                        ; implicit-def: $vgpr86
	s_and_saveexec_b32 s4, vcc_lo
	s_xor_b32 s4, exec_lo, s4
; %bb.25:
	v_bfe_u32 v86, v89, 16, 1
	s_delay_alu instid0(VALU_DEP_1)
	v_add3_u32 v86, v89, v86, 0x7fff
                                        ; implicit-def: $vgpr89
; %bb.26:
	s_and_not1_saveexec_b32 s4, s4
; %bb.27:
	v_and_b32_e32 v86, 0xffff, v89
	v_or_b32_e32 v90, 0x10000, v89
	s_delay_alu instid0(VALU_DEP_2) | instskip(NEXT) | instid1(VALU_DEP_2)
	v_cmp_eq_u32_e32 vcc_lo, 0, v86
	v_cndmask_b32_e32 v86, v90, v89, vcc_lo
; %bb.28:
	s_or_b32 exec_lo, exec_lo, s4
	v_and_b32_e32 v89, 0x7f800000, v88
	s_delay_alu instid0(VALU_DEP_1) | instskip(SKIP_1) | instid1(SALU_CYCLE_1)
	v_cmp_ne_u32_e32 vcc_lo, 0x7f800000, v89
                                        ; implicit-def: $vgpr89
	s_and_saveexec_b32 s4, vcc_lo
	s_xor_b32 s4, exec_lo, s4
; %bb.29:
	v_bfe_u32 v89, v88, 16, 1
	s_delay_alu instid0(VALU_DEP_1)
	v_add3_u32 v89, v88, v89, 0x7fff
                                        ; implicit-def: $vgpr88
; %bb.30:
	s_and_not1_saveexec_b32 s4, s4
; %bb.31:
	v_and_b32_e32 v89, 0xffff, v88
	v_or_b32_e32 v90, 0x10000, v88
	s_delay_alu instid0(VALU_DEP_2) | instskip(NEXT) | instid1(VALU_DEP_2)
	v_cmp_eq_u32_e32 vcc_lo, 0, v89
	v_cndmask_b32_e32 v89, v90, v88, vcc_lo
; %bb.32:
	s_or_b32 exec_lo, exec_lo, s4
	v_and_b32_e32 v88, 0x7f800000, v87
	s_delay_alu instid0(VALU_DEP_1) | instskip(SKIP_1) | instid1(SALU_CYCLE_1)
	v_cmp_ne_u32_e32 vcc_lo, 0x7f800000, v88
                                        ; implicit-def: $vgpr88
	s_and_saveexec_b32 s4, vcc_lo
	s_xor_b32 s4, exec_lo, s4
; %bb.33:
	v_bfe_u32 v88, v87, 16, 1
	s_delay_alu instid0(VALU_DEP_1)
	v_add3_u32 v88, v87, v88, 0x7fff
                                        ; implicit-def: $vgpr87
; %bb.34:
	s_and_not1_saveexec_b32 s4, s4
; %bb.35:
	v_and_b32_e32 v88, 0xffff, v87
	v_or_b32_e32 v90, 0x10000, v87
	s_delay_alu instid0(VALU_DEP_2) | instskip(NEXT) | instid1(VALU_DEP_2)
	v_cmp_eq_u32_e32 vcc_lo, 0, v88
	v_cndmask_b32_e32 v88, v90, v87, vcc_lo
; %bb.36:
	s_or_b32 exec_lo, exec_lo, s4
	v_and_b32_e32 v87, 0x7f800000, v84
	s_delay_alu instid0(VALU_DEP_1) | instskip(SKIP_1) | instid1(SALU_CYCLE_1)
	v_cmp_ne_u32_e32 vcc_lo, 0x7f800000, v87
                                        ; implicit-def: $vgpr87
	s_and_saveexec_b32 s4, vcc_lo
	s_xor_b32 s4, exec_lo, s4
; %bb.37:
	v_bfe_u32 v87, v84, 16, 1
	s_delay_alu instid0(VALU_DEP_1)
	v_add3_u32 v87, v84, v87, 0x7fff
                                        ; implicit-def: $vgpr84
; %bb.38:
	s_and_not1_saveexec_b32 s4, s4
; %bb.39:
	v_and_b32_e32 v87, 0xffff, v84
	v_or_b32_e32 v90, 0x10000, v84
	s_delay_alu instid0(VALU_DEP_2) | instskip(NEXT) | instid1(VALU_DEP_2)
	v_cmp_eq_u32_e32 vcc_lo, 0, v87
	v_cndmask_b32_e32 v87, v90, v84, vcc_lo
; %bb.40:
	s_or_b32 exec_lo, exec_lo, s4
	v_and_b32_e32 v84, 0x7f800000, v80
	s_delay_alu instid0(VALU_DEP_1) | instskip(SKIP_1) | instid1(SALU_CYCLE_1)
	v_cmp_ne_u32_e32 vcc_lo, 0x7f800000, v84
                                        ; implicit-def: $vgpr84
	s_and_saveexec_b32 s4, vcc_lo
	s_xor_b32 s4, exec_lo, s4
; %bb.41:
	v_bfe_u32 v84, v80, 16, 1
	s_delay_alu instid0(VALU_DEP_1)
	v_add3_u32 v84, v80, v84, 0x7fff
                                        ; implicit-def: $vgpr80
; %bb.42:
	s_and_not1_saveexec_b32 s4, s4
; %bb.43:
	v_and_b32_e32 v84, 0xffff, v80
	v_or_b32_e32 v90, 0x10000, v80
	s_delay_alu instid0(VALU_DEP_2) | instskip(NEXT) | instid1(VALU_DEP_2)
	v_cmp_eq_u32_e32 vcc_lo, 0, v84
	v_cndmask_b32_e32 v84, v90, v80, vcc_lo
; %bb.44:
	s_or_b32 exec_lo, exec_lo, s4
	s_load_b64 s[36:37], s[0:1], 0x94
	v_lshlrev_b32_e32 v91, 4, v74
	s_delay_alu instid0(VALU_DEP_2)
	v_perm_b32 v90, v84, v87, 0x7060302
	v_dual_mul_f32 v79, v82, v79 :: v_dual_lshlrev_b32 v80, 6, v65
	v_dual_mul_f32 v77, v82, v77 :: v_dual_lshlrev_b32 v92, 11, v66
	v_mul_f32_e32 v84, v82, v70
	v_perm_b32 v89, v88, v89, 0x7060302
	v_perm_b32 v88, v86, v85, 0x7060302
	;; [unrolled: 1-line block ×3, first 2 shown]
	v_mul_f32_e32 v70, v82, v81
	v_or3_b32 v76, v91, v92, v80
	v_dual_mul_f32 v78, v82, v78 :: v_dual_and_b32 v85, 0x7f800000, v84
	v_mul_f32_e32 v83, v82, v72
	v_mul_f32_e32 v81, v82, v71
	;; [unrolled: 1-line block ×3, first 2 shown]
	s_mov_b32 s4, exec_lo
	ds_store_b128 v76, v[87:90]
                                        ; implicit-def: $vgpr69
	v_cmpx_ne_u32_e32 0x7f800000, v85
	s_xor_b32 s4, exec_lo, s4
; %bb.45:
	v_bfe_u32 v69, v84, 16, 1
	s_delay_alu instid0(VALU_DEP_1)
	v_add3_u32 v69, v84, v69, 0x7fff
                                        ; implicit-def: $vgpr84
; %bb.46:
	s_and_not1_saveexec_b32 s4, s4
; %bb.47:
	v_and_b32_e32 v69, 0xffff, v84
	v_or_b32_e32 v71, 0x10000, v84
	s_delay_alu instid0(VALU_DEP_2) | instskip(NEXT) | instid1(VALU_DEP_2)
	v_cmp_eq_u32_e32 vcc_lo, 0, v69
	v_cndmask_b32_e32 v69, v71, v84, vcc_lo
; %bb.48:
	s_or_b32 exec_lo, exec_lo, s4
	v_and_b32_e32 v71, 0x7f800000, v72
	s_delay_alu instid0(VALU_DEP_1) | instskip(SKIP_1) | instid1(SALU_CYCLE_1)
	v_cmp_ne_u32_e32 vcc_lo, 0x7f800000, v71
                                        ; implicit-def: $vgpr71
	s_and_saveexec_b32 s4, vcc_lo
	s_xor_b32 s4, exec_lo, s4
; %bb.49:
	v_bfe_u32 v71, v72, 16, 1
	s_delay_alu instid0(VALU_DEP_1)
	v_add3_u32 v71, v72, v71, 0x7fff
                                        ; implicit-def: $vgpr72
; %bb.50:
	s_and_not1_saveexec_b32 s4, s4
; %bb.51:
	v_and_b32_e32 v71, 0xffff, v72
	v_or_b32_e32 v82, 0x10000, v72
	s_delay_alu instid0(VALU_DEP_2) | instskip(NEXT) | instid1(VALU_DEP_2)
	v_cmp_eq_u32_e32 vcc_lo, 0, v71
	v_cndmask_b32_e32 v71, v82, v72, vcc_lo
; %bb.52:
	s_or_b32 exec_lo, exec_lo, s4
	v_and_b32_e32 v72, 0x7f800000, v81
	s_delay_alu instid0(VALU_DEP_1) | instskip(SKIP_1) | instid1(SALU_CYCLE_1)
	v_cmp_ne_u32_e32 vcc_lo, 0x7f800000, v72
                                        ; implicit-def: $vgpr72
	s_and_saveexec_b32 s4, vcc_lo
	s_xor_b32 s4, exec_lo, s4
; %bb.53:
	v_bfe_u32 v72, v81, 16, 1
	s_delay_alu instid0(VALU_DEP_1)
	v_add3_u32 v72, v81, v72, 0x7fff
                                        ; implicit-def: $vgpr81
; %bb.54:
	s_and_not1_saveexec_b32 s4, s4
; %bb.55:
	v_and_b32_e32 v72, 0xffff, v81
	v_or_b32_e32 v82, 0x10000, v81
	s_delay_alu instid0(VALU_DEP_2) | instskip(NEXT) | instid1(VALU_DEP_2)
	v_cmp_eq_u32_e32 vcc_lo, 0, v72
	v_cndmask_b32_e32 v72, v82, v81, vcc_lo
; %bb.56:
	s_or_b32 exec_lo, exec_lo, s4
	v_and_b32_e32 v81, 0x7f800000, v83
	s_delay_alu instid0(VALU_DEP_1) | instskip(SKIP_1) | instid1(SALU_CYCLE_1)
	v_cmp_ne_u32_e32 vcc_lo, 0x7f800000, v81
                                        ; implicit-def: $vgpr81
	s_and_saveexec_b32 s4, vcc_lo
	s_xor_b32 s4, exec_lo, s4
; %bb.57:
	v_bfe_u32 v81, v83, 16, 1
	s_delay_alu instid0(VALU_DEP_1)
	v_add3_u32 v81, v83, v81, 0x7fff
                                        ; implicit-def: $vgpr83
; %bb.58:
	s_and_not1_saveexec_b32 s4, s4
; %bb.59:
	v_and_b32_e32 v81, 0xffff, v83
	v_or_b32_e32 v82, 0x10000, v83
	s_delay_alu instid0(VALU_DEP_2) | instskip(NEXT) | instid1(VALU_DEP_2)
	v_cmp_eq_u32_e32 vcc_lo, 0, v81
	v_cndmask_b32_e32 v81, v82, v83, vcc_lo
; %bb.60:
	s_or_b32 exec_lo, exec_lo, s4
	v_and_b32_e32 v82, 0x7f800000, v77
	s_delay_alu instid0(VALU_DEP_1) | instskip(SKIP_1) | instid1(SALU_CYCLE_1)
	v_cmp_ne_u32_e32 vcc_lo, 0x7f800000, v82
                                        ; implicit-def: $vgpr82
	s_and_saveexec_b32 s4, vcc_lo
	s_xor_b32 s4, exec_lo, s4
; %bb.61:
	v_bfe_u32 v82, v77, 16, 1
	s_delay_alu instid0(VALU_DEP_1)
	v_add3_u32 v82, v77, v82, 0x7fff
                                        ; implicit-def: $vgpr77
; %bb.62:
	s_and_not1_saveexec_b32 s4, s4
; %bb.63:
	v_and_b32_e32 v82, 0xffff, v77
	v_or_b32_e32 v83, 0x10000, v77
	s_delay_alu instid0(VALU_DEP_2) | instskip(NEXT) | instid1(VALU_DEP_2)
	v_cmp_eq_u32_e32 vcc_lo, 0, v82
	v_cndmask_b32_e32 v82, v83, v77, vcc_lo
; %bb.64:
	s_or_b32 exec_lo, exec_lo, s4
	v_and_b32_e32 v77, 0x7f800000, v78
	s_delay_alu instid0(VALU_DEP_1) | instskip(SKIP_1) | instid1(SALU_CYCLE_1)
	v_cmp_ne_u32_e32 vcc_lo, 0x7f800000, v77
                                        ; implicit-def: $vgpr77
	s_and_saveexec_b32 s4, vcc_lo
	s_xor_b32 s4, exec_lo, s4
; %bb.65:
	v_bfe_u32 v77, v78, 16, 1
	s_delay_alu instid0(VALU_DEP_1)
	v_add3_u32 v77, v78, v77, 0x7fff
                                        ; implicit-def: $vgpr78
; %bb.66:
	s_and_not1_saveexec_b32 s4, s4
; %bb.67:
	v_and_b32_e32 v77, 0xffff, v78
	v_or_b32_e32 v83, 0x10000, v78
	s_delay_alu instid0(VALU_DEP_2) | instskip(NEXT) | instid1(VALU_DEP_2)
	v_cmp_eq_u32_e32 vcc_lo, 0, v77
	v_cndmask_b32_e32 v77, v83, v78, vcc_lo
; %bb.68:
	s_or_b32 exec_lo, exec_lo, s4
	v_and_b32_e32 v78, 0x7f800000, v79
	s_delay_alu instid0(VALU_DEP_1) | instskip(SKIP_1) | instid1(SALU_CYCLE_1)
	v_cmp_ne_u32_e32 vcc_lo, 0x7f800000, v78
                                        ; implicit-def: $vgpr78
	s_and_saveexec_b32 s4, vcc_lo
	s_xor_b32 s4, exec_lo, s4
; %bb.69:
	v_bfe_u32 v78, v79, 16, 1
	s_delay_alu instid0(VALU_DEP_1)
	v_add3_u32 v78, v79, v78, 0x7fff
                                        ; implicit-def: $vgpr79
; %bb.70:
	s_and_not1_saveexec_b32 s4, s4
; %bb.71:
	v_and_b32_e32 v78, 0xffff, v79
	v_or_b32_e32 v83, 0x10000, v79
	s_delay_alu instid0(VALU_DEP_2) | instskip(NEXT) | instid1(VALU_DEP_2)
	v_cmp_eq_u32_e32 vcc_lo, 0, v78
	v_cndmask_b32_e32 v78, v83, v79, vcc_lo
; %bb.72:
	s_or_b32 exec_lo, exec_lo, s4
	v_and_b32_e32 v79, 0x7f800000, v70
	s_delay_alu instid0(VALU_DEP_1) | instskip(SKIP_1) | instid1(SALU_CYCLE_1)
	v_cmp_ne_u32_e32 vcc_lo, 0x7f800000, v79
                                        ; implicit-def: $vgpr79
	s_and_saveexec_b32 s4, vcc_lo
	s_xor_b32 s4, exec_lo, s4
; %bb.73:
	v_bfe_u32 v79, v70, 16, 1
	s_delay_alu instid0(VALU_DEP_1)
	v_add3_u32 v79, v70, v79, 0x7fff
                                        ; implicit-def: $vgpr70
; %bb.74:
	s_and_not1_saveexec_b32 s4, s4
; %bb.75:
	v_and_b32_e32 v79, 0xffff, v70
	v_or_b32_e32 v83, 0x10000, v70
	s_delay_alu instid0(VALU_DEP_2) | instskip(NEXT) | instid1(VALU_DEP_2)
	v_cmp_eq_u32_e32 vcc_lo, 0, v79
	v_cndmask_b32_e32 v79, v83, v70, vcc_lo
; %bb.76:
	s_or_b32 exec_lo, exec_lo, s4
	s_delay_alu instid0(VALU_DEP_1)
	v_perm_b32 v86, v79, v78, 0x7060302
	v_perm_b32 v85, v77, v82, 0x7060302
	v_perm_b32 v84, v81, v72, 0x7060302
	v_perm_b32 v83, v71, v69, 0x7060302
	v_lshl_or_b32 v82, v66, 11, v80
	ds_store_b128 v76, v[83:86] offset:1024
	s_waitcnt lgkmcnt(0)
	s_barrier
	buffer_gl0_inv
	ds_load_b128 v[69:72], v82
	ds_load_b128 v[83:86], v82 offset:16
	s_waitcnt lgkmcnt(1)
	v_lshrrev_b32_e32 v66, 16, v69
	s_waitcnt lgkmcnt(0)
	v_lshrrev_b32_e32 v91, 16, v83
	v_lshlrev_b32_e32 v78, 2, v74
	v_lshrrev_b32_e32 v95, 16, v70
	v_lshrrev_b32_e32 v98, 16, v84
	;; [unrolled: 1-line block ×4, first 2 shown]
	v_cmp_eq_u32_e32 vcc_lo, 1, v78
	v_lshrrev_b32_e32 v97, 16, v72
	v_lshrrev_b32_e32 v100, 16, v86
	v_cndmask_b32_e32 v87, v83, v91, vcc_lo
	v_or_b32_e32 v79, 1, v78
	v_cndmask_b32_e32 v81, v69, v66, vcc_lo
	v_cmp_eq_u32_e64 s5, 2, v78
	v_cmp_eq_u32_e64 s8, 3, v78
	;; [unrolled: 1-line block ×5, first 2 shown]
	v_cndmask_b32_e64 v81, v81, v70, s5
	v_cndmask_b32_e64 v87, v87, v84, s5
	v_cmp_eq_u32_e64 s9, 3, v79
	v_cndmask_b32_e64 v88, v69, v66, s4
	v_or_b32_e32 v77, 2, v78
	v_cndmask_b32_e64 v81, v81, v95, s8
	v_cndmask_b32_e64 v87, v87, v98, s8
	;; [unrolled: 1-line block ×4, first 2 shown]
	v_cmp_eq_u32_e64 s11, 5, v78
	v_cndmask_b32_e64 v81, v81, v71, s10
	v_cndmask_b32_e64 v87, v87, v85, s10
	v_cmp_eq_u32_e64 s12, 4, v79
	v_cndmask_b32_e64 v88, v88, v95, s9
	v_cmp_eq_u32_e64 s6, 1, v77
	v_cndmask_b32_e64 v89, v89, v84, s7
	v_cndmask_b32_e64 v81, v81, v96, s11
	v_cmp_eq_u32_e64 s13, 6, v78
	v_cndmask_b32_e64 v88, v88, v71, s12
	;; [unrolled: 3-line block ×3, first 2 shown]
	v_cndmask_b32_e64 v89, v89, v98, s9
	v_cndmask_b32_e64 v81, v81, v72, s13
	v_cmp_eq_u32_e64 s16, 7, v78
	v_cndmask_b32_e64 v88, v88, v96, s15
	v_cndmask_b32_e64 v87, v87, v86, s13
	v_cmp_eq_u32_e64 s17, 6, v79
	v_cmp_eq_u32_e64 s18, 2, v77
	v_cndmask_b32_e64 v89, v89, v85, s12
	v_cndmask_b32_e64 v101, v81, v97, s16
	;; [unrolled: 1-line block ×6, first 2 shown]
	v_cmp_eq_u32_e64 s19, 7, v79
	v_cmp_eq_u32_e64 s20, 3, v77
	;; [unrolled: 1-line block ×4, first 2 shown]
	v_cndmask_b32_e64 v87, v87, v84, s18
	v_cndmask_b32_e64 v103, v88, v97, s19
	;; [unrolled: 1-line block ×4, first 2 shown]
	v_or_b32_e32 v81, 3, v78
	v_cndmask_b32_e64 v93, v87, v98, s20
	v_cmp_eq_u32_e64 s25, 6, v77
	v_cndmask_b32_e64 v104, v88, v86, s17
	v_cndmask_b32_e64 v92, v89, v71, s21
	v_cmp_eq_u32_e64 s22, 1, v81
	ds_load_b128 v[87:90], v82 offset:1024
	v_cmp_eq_u32_e64 s24, 2, v81
	v_cmp_eq_u32_e64 s26, 3, v81
	v_cndmask_b32_e64 v105, v92, v96, s23
	v_cndmask_b32_e64 v66, v69, v66, s22
	;; [unrolled: 1-line block ×4, first 2 shown]
	ds_load_b128 v[91:94], v82 offset:1040
	v_cmp_eq_u32_e64 s27, 4, v81
	v_cndmask_b32_e64 v66, v66, v70, s24
	v_cmp_eq_u32_e64 s28, 7, v77
	v_cndmask_b32_e64 v70, v83, v84, s24
	v_cndmask_b32_e64 v84, v105, v72, s25
	v_cmp_eq_u32_e64 s29, 5, v81
	v_cndmask_b32_e64 v66, v66, v95, s26
	v_cmp_eq_u32_e64 s30, 6, v81
	v_cndmask_b32_e64 v70, v70, v98, s26
	v_cndmask_b32_e64 v69, v69, v99, s23
	;; [unrolled: 1-line block ×4, first 2 shown]
	s_waitcnt lgkmcnt(1)
	v_lshrrev_b32_e32 v95, 16, v87
	v_cndmask_b32_e64 v70, v70, v85, s27
	v_cndmask_b32_e64 v71, v84, v97, s28
	;; [unrolled: 1-line block ×4, first 2 shown]
	v_cndmask_b32_e32 v84, v87, v95, vcc_lo
	v_cndmask_b32_e64 v70, v70, v99, s29
	s_waitcnt lgkmcnt(0)
	v_lshrrev_b32_e32 v85, 16, v91
	v_lshrrev_b32_e32 v96, 16, v88
	v_cndmask_b32_e64 v98, v87, v95, s4
	v_cndmask_b32_e64 v84, v84, v88, s5
	v_cndmask_b32_e64 v70, v70, v86, s30
	v_cndmask_b32_e32 v99, v91, v85, vcc_lo
	v_cmp_eq_u32_e32 vcc_lo, 7, v81
	v_cndmask_b32_e64 v66, v66, v72, s30
	v_cndmask_b32_e64 v72, v84, v96, s8
	;; [unrolled: 1-line block ×3, first 2 shown]
	v_lshrrev_b32_e32 v98, 16, v92
	v_cndmask_b32_e32 v70, v70, v100, vcc_lo
	v_cndmask_b32_e64 v86, v99, v92, s5
	v_cndmask_b32_e64 v69, v69, v100, s28
	v_lshrrev_b32_e32 v100, 16, v93
	v_cndmask_b32_e64 v72, v72, v89, s10
	v_lshrrev_b32_e32 v99, 16, v89
	v_cndmask_b32_e64 v86, v86, v98, s8
	v_perm_b32 v71, v69, v71, 0x5040100
	v_cndmask_b32_e64 v84, v84, v96, s9
	s_delay_alu instid0(VALU_DEP_3) | instskip(NEXT) | instid1(VALU_DEP_2)
	v_cndmask_b32_e64 v86, v86, v93, s10
	v_cndmask_b32_e64 v84, v84, v89, s12
	s_delay_alu instid0(VALU_DEP_2) | instskip(NEXT) | instid1(VALU_DEP_1)
	v_cndmask_b32_e64 v86, v86, v100, s11
	v_cndmask_b32_e64 v69, v86, v94, s13
	;; [unrolled: 1-line block ×5, first 2 shown]
	s_delay_alu instid0(VALU_DEP_3) | instskip(NEXT) | instid1(VALU_DEP_3)
	v_cndmask_b32_e64 v86, v86, v88, s18
	v_cndmask_b32_e64 v87, v87, v88, s24
	s_delay_alu instid0(VALU_DEP_3) | instskip(NEXT) | instid1(VALU_DEP_3)
	v_cndmask_b32_e64 v88, v95, v92, s24
	v_cndmask_b32_e64 v86, v86, v96, s20
	;; [unrolled: 3-line block ×7, first 2 shown]
	s_delay_alu instid0(VALU_DEP_3) | instskip(SKIP_2) | instid1(VALU_DEP_2)
	v_cndmask_b32_e64 v88, v88, v94, s30
	v_cndmask_b32_e32 v66, v66, v97, vcc_lo
	v_cndmask_b32_e64 v97, v72, v99, s11
	v_perm_b32 v72, v70, v66, 0x5040100
	v_perm_b32 v70, v83, v103, 0x5040100
	v_cndmask_b32_e64 v103, v91, v85, s6
	v_cndmask_b32_e64 v85, v91, v85, s4
	v_cndmask_b32_e64 v66, v84, v99, s15
	v_cndmask_b32_e64 v84, v97, v90, s13
	v_lshrrev_b32_e32 v97, 16, v90
	v_cndmask_b32_e64 v91, v103, v92, s18
	v_cndmask_b32_e64 v85, v85, v92, s7
	;; [unrolled: 1-line block ×3, first 2 shown]
	s_mov_b32 s4, exec_lo
	v_cndmask_b32_e64 v83, v84, v97, s16
	v_cndmask_b32_e64 v91, v91, v98, s20
	;; [unrolled: 1-line block ×3, first 2 shown]
	v_lshrrev_b32_e32 v84, 16, v94
	v_cndmask_b32_e64 v66, v66, v97, s19
	v_cndmask_b32_e64 v90, v86, v97, s28
	;; [unrolled: 1-line block ×4, first 2 shown]
	v_dual_cndmask_b32 v86, v87, v97 :: v_dual_cndmask_b32 v87, v88, v84
	v_cndmask_b32_e64 v91, v69, v84, s16
	s_delay_alu instid0(VALU_DEP_4) | instskip(NEXT) | instid1(VALU_DEP_4)
	v_cndmask_b32_e64 v89, v89, v100, s23
	v_cndmask_b32_e64 v85, v85, v100, s15
	v_perm_b32 v69, v102, v101, 0x5040100
	v_perm_b32 v86, v87, v86, 0x5040100
	v_perm_b32 v83, v91, v83, 0x5040100
	v_cndmask_b32_e64 v89, v89, v94, s25
	v_cndmask_b32_e64 v85, v85, v94, s17
	s_mul_i32 s9, s37, 3
	s_delay_alu instid0(VALU_DEP_2) | instskip(NEXT) | instid1(VALU_DEP_2)
	v_cndmask_b32_e64 v88, v89, v84, s28
	v_cndmask_b32_e64 v89, v85, v84, s19
	s_delay_alu instid0(VALU_DEP_2) | instskip(NEXT) | instid1(VALU_DEP_2)
	v_perm_b32 v85, v88, v90, 0x5040100
	v_perm_b32 v84, v89, v66, 0x5040100
	ds_store_b128 v76, v[69:72]
	ds_store_b128 v76, v[83:86] offset:1024
	v_cmpx_gt_u32_e32 3, v0
	s_cbranch_execz .LBB1364_78
; %bb.77:
	s_mul_i32 s5, s9, s34
	s_load_b128 s[16:19], s[0:1], 0x58
	v_add3_u32 v69, s5, s31, v65
	s_delay_alu instid0(VALU_DEP_1) | instskip(NEXT) | instid1(VALU_DEP_1)
	v_mad_u64_u32 v[65:66], null, v69, s36, s[14:15]
	v_ashrrev_i32_e32 v66, 31, v65
	s_delay_alu instid0(VALU_DEP_1) | instskip(SKIP_1) | instid1(VALU_DEP_1)
	v_lshlrev_b64 v[65:66], 2, v[65:66]
	s_waitcnt lgkmcnt(0)
	v_add_co_u32 v69, vcc_lo, s18, v65
	s_delay_alu instid0(VALU_DEP_2)
	v_add_co_ci_u32_e32 v70, vcc_lo, s19, v66, vcc_lo
	v_add_co_u32 v65, vcc_lo, s16, v65
	v_add_co_ci_u32_e32 v66, vcc_lo, s17, v66, vcc_lo
	global_store_b32 v[69:70], v67, off
	global_store_b32 v[65:66], v68, off
.LBB1364_78:
	s_or_b32 exec_lo, exec_lo, s4
	s_waitcnt lgkmcnt(0)
	s_waitcnt_vscnt null, 0x0
	s_barrier
	buffer_gl0_inv
	ds_load_b128 v[83:86], v80
	ds_load_b128 v[87:90], v80 offset:16
	ds_load_b128 v[95:98], v80 offset:2064
	;; [unrolled: 1-line block ×3, first 2 shown]
	v_mov_b32_e32 v65, 0
	ds_load_b128 v[103:106], v80 offset:4112
	ds_load_b128 v[99:102], v80 offset:4096
	;; [unrolled: 1-line block ×4, first 2 shown]
	v_mov_b32_e32 v66, v65
	v_mov_b32_e32 v67, v65
	;; [unrolled: 1-line block ×7, first 2 shown]
	s_waitcnt lgkmcnt(6)
	s_delay_alu instid0(VALU_DEP_1)
	v_wmma_f32_16x16x16_bf16 v[65:72], v[57:64], v[83:90], v[65:72]
	ds_load_b128 v[61:64], v80 offset:8208
	ds_load_b128 v[57:60], v80 offset:8192
	s_waitcnt lgkmcnt(6)
	v_wmma_f32_16x16x16_bf16 v[65:72], v[41:48], v[91:98], v[65:72]
	ds_load_b128 v[45:48], v80 offset:10256
	ds_load_b128 v[41:44], v80 offset:10240
	s_waitcnt lgkmcnt(6)
	;; [unrolled: 4-line block ×4, first 2 shown]
	v_wmma_f32_16x16x16_bf16 v[65:72], v[1:8], v[57:64], v[65:72]
	s_waitcnt lgkmcnt(4)
	s_delay_alu instid0(VALU_DEP_1) | instskip(SKIP_1) | instid1(VALU_DEP_1)
	v_wmma_f32_16x16x16_bf16 v[65:72], v[9:16], v[41:48], v[65:72]
	s_waitcnt lgkmcnt(2)
	v_wmma_f32_16x16x16_bf16 v[65:72], v[17:24], v[33:40], v[65:72]
	s_waitcnt lgkmcnt(0)
	s_delay_alu instid0(VALU_DEP_1) | instskip(NEXT) | instid1(VALU_DEP_1)
	v_wmma_f32_16x16x16_bf16 v[65:72], v[49:56], v[25:32], v[65:72]
	v_and_b32_e32 v1, 0x7f800000, v65
	s_delay_alu instid0(VALU_DEP_1) | instskip(SKIP_1) | instid1(SALU_CYCLE_1)
	v_cmp_ne_u32_e32 vcc_lo, 0x7f800000, v1
                                        ; implicit-def: $vgpr1
	s_and_saveexec_b32 s4, vcc_lo
	s_xor_b32 s4, exec_lo, s4
; %bb.79:
	v_bfe_u32 v1, v65, 16, 1
	s_delay_alu instid0(VALU_DEP_1)
	v_add3_u32 v1, v65, v1, 0x7fff
; %bb.80:
	s_and_not1_saveexec_b32 s4, s4
; %bb.81:
	v_and_b32_e32 v1, 0xffff, v65
	v_or_b32_e32 v2, 0x10000, v65
	s_delay_alu instid0(VALU_DEP_2) | instskip(NEXT) | instid1(VALU_DEP_2)
	v_cmp_eq_u32_e32 vcc_lo, 0, v1
	v_cndmask_b32_e32 v1, v2, v65, vcc_lo
; %bb.82:
	s_or_b32 exec_lo, exec_lo, s4
	v_and_b32_e32 v2, 0x7f800000, v66
	s_delay_alu instid0(VALU_DEP_1) | instskip(SKIP_1) | instid1(SALU_CYCLE_1)
	v_cmp_ne_u32_e32 vcc_lo, 0x7f800000, v2
                                        ; implicit-def: $vgpr2
	s_and_saveexec_b32 s4, vcc_lo
	s_xor_b32 s4, exec_lo, s4
; %bb.83:
	v_bfe_u32 v2, v66, 16, 1
	s_delay_alu instid0(VALU_DEP_1)
	v_add3_u32 v2, v66, v2, 0x7fff
; %bb.84:
	s_and_not1_saveexec_b32 s4, s4
; %bb.85:
	v_and_b32_e32 v2, 0xffff, v66
	v_or_b32_e32 v3, 0x10000, v66
	s_delay_alu instid0(VALU_DEP_2) | instskip(NEXT) | instid1(VALU_DEP_2)
	v_cmp_eq_u32_e32 vcc_lo, 0, v2
	v_cndmask_b32_e32 v2, v3, v66, vcc_lo
; %bb.86:
	s_or_b32 exec_lo, exec_lo, s4
	v_and_b32_e32 v3, 0x7f800000, v67
	s_delay_alu instid0(VALU_DEP_1) | instskip(SKIP_1) | instid1(SALU_CYCLE_1)
	v_cmp_ne_u32_e32 vcc_lo, 0x7f800000, v3
                                        ; implicit-def: $vgpr3
	s_and_saveexec_b32 s4, vcc_lo
	s_xor_b32 s4, exec_lo, s4
; %bb.87:
	v_bfe_u32 v3, v67, 16, 1
	s_delay_alu instid0(VALU_DEP_1)
	v_add3_u32 v3, v67, v3, 0x7fff
; %bb.88:
	s_and_not1_saveexec_b32 s4, s4
; %bb.89:
	v_and_b32_e32 v3, 0xffff, v67
	v_or_b32_e32 v4, 0x10000, v67
	s_delay_alu instid0(VALU_DEP_2) | instskip(NEXT) | instid1(VALU_DEP_2)
	v_cmp_eq_u32_e32 vcc_lo, 0, v3
	v_cndmask_b32_e32 v3, v4, v67, vcc_lo
; %bb.90:
	s_or_b32 exec_lo, exec_lo, s4
	v_and_b32_e32 v4, 0x7f800000, v68
	s_delay_alu instid0(VALU_DEP_1) | instskip(SKIP_1) | instid1(SALU_CYCLE_1)
	v_cmp_ne_u32_e32 vcc_lo, 0x7f800000, v4
                                        ; implicit-def: $vgpr4
	s_and_saveexec_b32 s4, vcc_lo
	s_xor_b32 s4, exec_lo, s4
; %bb.91:
	v_bfe_u32 v4, v68, 16, 1
	s_delay_alu instid0(VALU_DEP_1)
	v_add3_u32 v4, v68, v4, 0x7fff
; %bb.92:
	s_and_not1_saveexec_b32 s4, s4
; %bb.93:
	v_and_b32_e32 v4, 0xffff, v68
	v_or_b32_e32 v5, 0x10000, v68
	s_delay_alu instid0(VALU_DEP_2) | instskip(NEXT) | instid1(VALU_DEP_2)
	v_cmp_eq_u32_e32 vcc_lo, 0, v4
	v_cndmask_b32_e32 v4, v5, v68, vcc_lo
; %bb.94:
	s_or_b32 exec_lo, exec_lo, s4
	v_and_b32_e32 v5, 0x7f800000, v69
	s_delay_alu instid0(VALU_DEP_1) | instskip(SKIP_1) | instid1(SALU_CYCLE_1)
	v_cmp_ne_u32_e32 vcc_lo, 0x7f800000, v5
                                        ; implicit-def: $vgpr5
	s_and_saveexec_b32 s4, vcc_lo
	s_xor_b32 s4, exec_lo, s4
; %bb.95:
	v_bfe_u32 v5, v69, 16, 1
	s_delay_alu instid0(VALU_DEP_1)
	v_add3_u32 v5, v69, v5, 0x7fff
; %bb.96:
	s_and_not1_saveexec_b32 s4, s4
; %bb.97:
	v_and_b32_e32 v5, 0xffff, v69
	v_or_b32_e32 v6, 0x10000, v69
	s_delay_alu instid0(VALU_DEP_2) | instskip(NEXT) | instid1(VALU_DEP_2)
	v_cmp_eq_u32_e32 vcc_lo, 0, v5
	v_cndmask_b32_e32 v5, v6, v69, vcc_lo
; %bb.98:
	s_or_b32 exec_lo, exec_lo, s4
	v_and_b32_e32 v6, 0x7f800000, v70
	s_delay_alu instid0(VALU_DEP_1) | instskip(SKIP_1) | instid1(SALU_CYCLE_1)
	v_cmp_ne_u32_e32 vcc_lo, 0x7f800000, v6
                                        ; implicit-def: $vgpr6
	s_and_saveexec_b32 s4, vcc_lo
	s_xor_b32 s4, exec_lo, s4
; %bb.99:
	v_bfe_u32 v6, v70, 16, 1
	s_delay_alu instid0(VALU_DEP_1)
	v_add3_u32 v6, v70, v6, 0x7fff
; %bb.100:
	s_and_not1_saveexec_b32 s4, s4
; %bb.101:
	v_and_b32_e32 v6, 0xffff, v70
	v_or_b32_e32 v7, 0x10000, v70
	s_delay_alu instid0(VALU_DEP_2) | instskip(NEXT) | instid1(VALU_DEP_2)
	v_cmp_eq_u32_e32 vcc_lo, 0, v6
	v_cndmask_b32_e32 v6, v7, v70, vcc_lo
; %bb.102:
	s_or_b32 exec_lo, exec_lo, s4
	v_and_b32_e32 v7, 0x7f800000, v71
	s_delay_alu instid0(VALU_DEP_1) | instskip(SKIP_1) | instid1(SALU_CYCLE_1)
	v_cmp_ne_u32_e32 vcc_lo, 0x7f800000, v7
                                        ; implicit-def: $vgpr7
	s_and_saveexec_b32 s4, vcc_lo
	s_xor_b32 s4, exec_lo, s4
; %bb.103:
	v_bfe_u32 v7, v71, 16, 1
	s_delay_alu instid0(VALU_DEP_1)
	v_add3_u32 v7, v71, v7, 0x7fff
; %bb.104:
	s_and_not1_saveexec_b32 s4, s4
; %bb.105:
	v_and_b32_e32 v7, 0xffff, v71
	v_or_b32_e32 v8, 0x10000, v71
	s_delay_alu instid0(VALU_DEP_2) | instskip(NEXT) | instid1(VALU_DEP_2)
	v_cmp_eq_u32_e32 vcc_lo, 0, v7
	v_cndmask_b32_e32 v7, v8, v71, vcc_lo
; %bb.106:
	s_or_b32 exec_lo, exec_lo, s4
	v_and_b32_e32 v8, 0x7f800000, v72
	s_delay_alu instid0(VALU_DEP_1) | instskip(SKIP_1) | instid1(SALU_CYCLE_1)
	v_cmp_ne_u32_e32 vcc_lo, 0x7f800000, v8
                                        ; implicit-def: $vgpr8
	s_and_saveexec_b32 s4, vcc_lo
	s_xor_b32 s4, exec_lo, s4
; %bb.107:
	v_bfe_u32 v8, v72, 16, 1
	s_delay_alu instid0(VALU_DEP_1)
	v_add3_u32 v8, v72, v8, 0x7fff
                                        ; implicit-def: $vgpr65_vgpr66_vgpr67_vgpr68_vgpr69_vgpr70_vgpr71_vgpr72
; %bb.108:
	s_and_not1_saveexec_b32 s4, s4
; %bb.109:
	v_and_b32_e32 v8, 0xffff, v72
	v_or_b32_e32 v9, 0x10000, v72
	s_delay_alu instid0(VALU_DEP_2) | instskip(NEXT) | instid1(VALU_DEP_2)
	v_cmp_eq_u32_e32 vcc_lo, 0, v8
	v_cndmask_b32_e32 v8, v9, v72, vcc_lo
; %bb.110:
	s_or_b32 exec_lo, exec_lo, s4
	s_delay_alu instid0(VALU_DEP_1)
	v_perm_b32 v7, v8, v7, 0x7060302
	v_perm_b32 v6, v6, v5, 0x7060302
	;; [unrolled: 1-line block ×4, first 2 shown]
	s_barrier
	buffer_gl0_inv
	v_cmp_eq_u32_e32 vcc_lo, 1, v78
	ds_store_b128 v76, v[4:7]
	s_waitcnt lgkmcnt(0)
	s_barrier
	buffer_gl0_inv
	ds_load_b128 v[1:4], v82
	ds_load_b128 v[5:8], v82 offset:16
	v_cmp_eq_u32_e64 s4, 1, v79
	v_cmp_eq_u32_e64 s5, 2, v78
	;; [unrolled: 1-line block ×5, first 2 shown]
	s_waitcnt lgkmcnt(1)
	v_lshrrev_b32_e32 v9, 16, v1
	s_waitcnt lgkmcnt(0)
	v_lshrrev_b32_e32 v13, 16, v5
	v_lshrrev_b32_e32 v10, 16, v2
	v_lshrrev_b32_e32 v14, 16, v6
	v_lshrrev_b32_e32 v11, 16, v3
	v_cndmask_b32_e64 v19, v1, v9, s4
	v_cndmask_b32_e32 v18, v5, v13, vcc_lo
	v_cndmask_b32_e64 v20, v5, v13, s4
	v_cndmask_b32_e32 v17, v1, v9, vcc_lo
	v_cmp_eq_u32_e32 vcc_lo, 2, v79
	v_lshrrev_b32_e32 v15, 16, v7
	v_cmp_eq_u32_e64 s4, 1, v77
	v_lshrrev_b32_e32 v12, 16, v4
	v_lshrrev_b32_e32 v16, 16, v8
	v_cndmask_b32_e32 v20, v20, v6, vcc_lo
	v_cndmask_b32_e64 v17, v17, v2, s5
	v_cndmask_b32_e32 v19, v19, v2, vcc_lo
	v_cndmask_b32_e64 v18, v18, v6, s5
	v_cmp_eq_u32_e32 vcc_lo, 4, v78
	v_cmp_eq_u32_e64 s5, 3, v79
	v_cndmask_b32_e64 v17, v17, v10, s6
	v_cndmask_b32_e64 v21, v1, v9, s4
	;; [unrolled: 1-line block ×5, first 2 shown]
	v_cndmask_b32_e32 v17, v17, v3, vcc_lo
	v_cndmask_b32_e64 v20, v20, v14, s5
	v_cndmask_b32_e32 v18, v18, v7, vcc_lo
	v_cmp_eq_u32_e32 vcc_lo, 4, v79
	v_cmp_eq_u32_e64 s5, 5, v79
	v_cmp_eq_u32_e64 s4, 2, v81
	v_cndmask_b32_e64 v21, v21, v2, s8
	v_cmp_eq_u32_e64 s6, 5, v78
	v_cndmask_b32_e32 v19, v19, v3, vcc_lo
	v_cndmask_b32_e32 v20, v20, v7, vcc_lo
	v_cmp_eq_u32_e32 vcc_lo, 6, v79
	s_delay_alu instid0(VALU_DEP_4) | instskip(NEXT) | instid1(VALU_DEP_4)
	v_cndmask_b32_e64 v17, v17, v11, s6
	v_cndmask_b32_e64 v19, v19, v11, s5
	s_delay_alu instid0(VALU_DEP_4) | instskip(SKIP_1) | instid1(VALU_DEP_3)
	v_cndmask_b32_e64 v20, v20, v15, s5
	v_cmp_eq_u32_e64 s5, 1, v81
	v_cndmask_b32_e32 v19, v19, v4, vcc_lo
	v_cndmask_b32_e64 v18, v18, v15, s6
	s_delay_alu instid0(VALU_DEP_3)
	v_cndmask_b32_e64 v1, v1, v9, s5
	v_cndmask_b32_e64 v5, v5, v13, s5
	v_cmp_eq_u32_e64 s5, 3, v77
	v_cndmask_b32_e64 v13, v22, v6, s8
	v_cmp_eq_u32_e64 s8, 3, v81
	v_cndmask_b32_e64 v1, v1, v2, s4
	v_cndmask_b32_e64 v2, v5, v6, s4
	;; [unrolled: 1-line block ×3, first 2 shown]
	v_cmp_eq_u32_e64 s4, 4, v77
	v_cndmask_b32_e64 v6, v13, v14, s5
	v_cndmask_b32_e64 v1, v1, v10, s8
	v_cmp_eq_u32_e64 s5, 4, v81
	v_cndmask_b32_e64 v2, v2, v14, s8
	v_cndmask_b32_e64 v5, v9, v3, s4
	;; [unrolled: 3-line block ×3, first 2 shown]
	v_cndmask_b32_e64 v2, v2, v7, s5
	v_cmp_eq_u32_e64 s4, 5, v81
	v_cmp_eq_u32_e64 s6, 6, v78
	v_cndmask_b32_e64 v5, v5, v11, s8
	v_cmp_eq_u32_e64 s5, 6, v77
	v_cndmask_b32_e64 v3, v6, v15, s8
	v_cndmask_b32_e64 v1, v1, v11, s4
	v_cmp_eq_u32_e64 s8, 6, v81
	v_cndmask_b32_e64 v2, v2, v15, s4
	v_cndmask_b32_e64 v17, v17, v4, s6
	v_cndmask_b32_e64 v18, v18, v8, s6
	v_cmp_eq_u32_e64 s6, 7, v78
	v_cndmask_b32_e64 v5, v5, v4, s5
	;; [unrolled: 4-line block ×3, first 2 shown]
	v_cmp_eq_u32_e64 s5, 7, v77
	v_cndmask_b32_e32 v4, v20, v8, vcc_lo
	v_cndmask_b32_e64 v17, v17, v12, s6
	v_cndmask_b32_e64 v19, v19, v12, s7
	;; [unrolled: 1-line block ×8, first 2 shown]
	v_cmp_gt_u32_e32 vcc_lo, 32, v0
	v_perm_b32 v4, v2, v1, 0x5040100
	v_perm_b32 v3, v3, v5, 0x5040100
	;; [unrolled: 1-line block ×4, first 2 shown]
	s_and_b32 s2, vcc_lo, s2
	ds_store_b128 v76, v[1:4]
	s_waitcnt lgkmcnt(0)
	s_barrier
	buffer_gl0_inv
	s_and_saveexec_b32 s4, s2
	s_cbranch_execz .LBB1364_2
; %bb.111:
	s_load_b64 s[4:5], s[0:1], 0x68
	v_lshlrev_b32_e32 v0, 10, v0
	v_lshlrev_b32_e32 v2, 4, v75
	v_add_nc_u32_e32 v1, s31, v74
	s_lshl_b32 s0, s36, 6
	s_delay_alu instid0(SALU_CYCLE_1) | instskip(NEXT) | instid1(VALU_DEP_2)
	s_mul_i32 s1, s0, s34
	v_and_or_b32 v0, 0x3800, v0, v2
	s_mul_i32 s6, s1, s9
	v_mul_lo_u32 v1, v1, s0
	s_ashr_i32 s7, s6, 31
	s_delay_alu instid0(VALU_DEP_2) | instskip(SKIP_1) | instid1(VALU_DEP_2)
	v_lshl_or_b32 v3, v74, 6, v0
	s_lshl_b64 s[6:7], s[6:7], 1
	v_ashrrev_i32_e32 v2, 31, v1
	ds_load_b128 v[3:6], v3
	s_waitcnt lgkmcnt(0)
	s_add_u32 s1, s4, s6
	s_addc_u32 s2, s5, s7
	s_lshl_b32 s4, s14, 6
	v_lshlrev_b64 v[7:8], 1, v[1:2]
	s_ashr_i32 s5, s4, 31
	s_delay_alu instid0(SALU_CYCLE_1) | instskip(NEXT) | instid1(SALU_CYCLE_1)
	s_lshl_b64 s[4:5], s[4:5], 1
	s_add_u32 s1, s1, s4
	s_addc_u32 s2, s2, s5
	v_add_co_u32 v1, s1, s1, v73
	s_delay_alu instid0(VALU_DEP_1) | instskip(NEXT) | instid1(VALU_DEP_2)
	v_add_co_ci_u32_e64 v2, null, s2, 0, s1
	v_add_co_u32 v7, vcc_lo, v1, v7
	s_delay_alu instid0(VALU_DEP_2)
	v_add_co_ci_u32_e32 v8, vcc_lo, v2, v8, vcc_lo
	global_store_b128 v[7:8], v[3:6], off
	s_and_b32 exec_lo, exec_lo, s3
	s_cbranch_execz .LBB1364_2
; %bb.112:
	ds_load_b128 v[3:6], v0 offset:128
	s_add_i32 s1, s31, 2
	s_delay_alu instid0(SALU_CYCLE_1) | instskip(NEXT) | instid1(SALU_CYCLE_1)
	s_mul_i32 s0, s1, s0
	s_ashr_i32 s1, s0, 31
	s_delay_alu instid0(SALU_CYCLE_1) | instskip(NEXT) | instid1(SALU_CYCLE_1)
	s_lshl_b64 s[0:1], s[0:1], 1
	v_add_co_u32 v0, vcc_lo, v1, s0
	v_add_co_ci_u32_e32 v1, vcc_lo, s1, v2, vcc_lo
	s_waitcnt lgkmcnt(0)
	global_store_b128 v[0:1], v[3:6], off
	s_nop 0
	s_sendmsg sendmsg(MSG_DEALLOC_VGPRS)
	s_endpgm
	.section	.rodata,"a",@progbits
	.p2align	6, 0x0
	.amdhsa_kernel _Z39paged_attention_ll4mi_QKV_mfma16_kernelI14__hip_bfloat16hLN4vllm18Fp8KVCacheDataTypeE1EhLi16ELi64ELi256ELb1ELi3EL8MFMAType1EEvPKT_PKT0_S9_ifPKiSB_SB_iPKfiiiPfSE_PS4_PT2_iSD_SD_
		.amdhsa_group_segment_fixed_size 17472
		.amdhsa_private_segment_fixed_size 0
		.amdhsa_kernarg_size 400
		.amdhsa_user_sgpr_count 13
		.amdhsa_user_sgpr_dispatch_ptr 0
		.amdhsa_user_sgpr_queue_ptr 0
		.amdhsa_user_sgpr_kernarg_segment_ptr 1
		.amdhsa_user_sgpr_dispatch_id 0
		.amdhsa_user_sgpr_private_segment_size 0
		.amdhsa_wavefront_size32 1
		.amdhsa_uses_dynamic_stack 0
		.amdhsa_enable_private_segment 0
		.amdhsa_system_sgpr_workgroup_id_x 1
		.amdhsa_system_sgpr_workgroup_id_y 1
		.amdhsa_system_sgpr_workgroup_id_z 1
		.amdhsa_system_sgpr_workgroup_info 0
		.amdhsa_system_vgpr_workitem_id 0
		.amdhsa_next_free_vgpr 124
		.amdhsa_next_free_sgpr 40
		.amdhsa_reserve_vcc 1
		.amdhsa_float_round_mode_32 0
		.amdhsa_float_round_mode_16_64 0
		.amdhsa_float_denorm_mode_32 3
		.amdhsa_float_denorm_mode_16_64 3
		.amdhsa_dx10_clamp 1
		.amdhsa_ieee_mode 1
		.amdhsa_fp16_overflow 0
		.amdhsa_workgroup_processor_mode 1
		.amdhsa_memory_ordered 1
		.amdhsa_forward_progress 0
		.amdhsa_shared_vgpr_count 0
		.amdhsa_exception_fp_ieee_invalid_op 0
		.amdhsa_exception_fp_denorm_src 0
		.amdhsa_exception_fp_ieee_div_zero 0
		.amdhsa_exception_fp_ieee_overflow 0
		.amdhsa_exception_fp_ieee_underflow 0
		.amdhsa_exception_fp_ieee_inexact 0
		.amdhsa_exception_int_div_zero 0
	.end_amdhsa_kernel
	.section	.text._Z39paged_attention_ll4mi_QKV_mfma16_kernelI14__hip_bfloat16hLN4vllm18Fp8KVCacheDataTypeE1EhLi16ELi64ELi256ELb1ELi3EL8MFMAType1EEvPKT_PKT0_S9_ifPKiSB_SB_iPKfiiiPfSE_PS4_PT2_iSD_SD_,"axG",@progbits,_Z39paged_attention_ll4mi_QKV_mfma16_kernelI14__hip_bfloat16hLN4vllm18Fp8KVCacheDataTypeE1EhLi16ELi64ELi256ELb1ELi3EL8MFMAType1EEvPKT_PKT0_S9_ifPKiSB_SB_iPKfiiiPfSE_PS4_PT2_iSD_SD_,comdat
.Lfunc_end1364:
	.size	_Z39paged_attention_ll4mi_QKV_mfma16_kernelI14__hip_bfloat16hLN4vllm18Fp8KVCacheDataTypeE1EhLi16ELi64ELi256ELb1ELi3EL8MFMAType1EEvPKT_PKT0_S9_ifPKiSB_SB_iPKfiiiPfSE_PS4_PT2_iSD_SD_, .Lfunc_end1364-_Z39paged_attention_ll4mi_QKV_mfma16_kernelI14__hip_bfloat16hLN4vllm18Fp8KVCacheDataTypeE1EhLi16ELi64ELi256ELb1ELi3EL8MFMAType1EEvPKT_PKT0_S9_ifPKiSB_SB_iPKfiiiPfSE_PS4_PT2_iSD_SD_
                                        ; -- End function
	.section	.AMDGPU.csdata,"",@progbits
; Kernel info:
; codeLenInByte = 8700
; NumSgprs: 42
; NumVgprs: 124
; ScratchSize: 0
; MemoryBound: 0
; FloatMode: 240
; IeeeMode: 1
; LDSByteSize: 17472 bytes/workgroup (compile time only)
; SGPRBlocks: 5
; VGPRBlocks: 15
; NumSGPRsForWavesPerEU: 42
; NumVGPRsForWavesPerEU: 124
; Occupancy: 10
; WaveLimiterHint : 1
; COMPUTE_PGM_RSRC2:SCRATCH_EN: 0
; COMPUTE_PGM_RSRC2:USER_SGPR: 13
; COMPUTE_PGM_RSRC2:TRAP_HANDLER: 0
; COMPUTE_PGM_RSRC2:TGID_X_EN: 1
; COMPUTE_PGM_RSRC2:TGID_Y_EN: 1
; COMPUTE_PGM_RSRC2:TGID_Z_EN: 1
; COMPUTE_PGM_RSRC2:TIDIG_COMP_CNT: 0
	.section	.text._Z39paged_attention_ll4mi_QKV_mfma16_kernelI14__hip_bfloat16hLN4vllm18Fp8KVCacheDataTypeE1EhLi16ELi64ELi256ELb1ELi4EL8MFMAType1EEvPKT_PKT0_S9_ifPKiSB_SB_iPKfiiiPfSE_PS4_PT2_iSD_SD_,"axG",@progbits,_Z39paged_attention_ll4mi_QKV_mfma16_kernelI14__hip_bfloat16hLN4vllm18Fp8KVCacheDataTypeE1EhLi16ELi64ELi256ELb1ELi4EL8MFMAType1EEvPKT_PKT0_S9_ifPKiSB_SB_iPKfiiiPfSE_PS4_PT2_iSD_SD_,comdat
	.protected	_Z39paged_attention_ll4mi_QKV_mfma16_kernelI14__hip_bfloat16hLN4vllm18Fp8KVCacheDataTypeE1EhLi16ELi64ELi256ELb1ELi4EL8MFMAType1EEvPKT_PKT0_S9_ifPKiSB_SB_iPKfiiiPfSE_PS4_PT2_iSD_SD_ ; -- Begin function _Z39paged_attention_ll4mi_QKV_mfma16_kernelI14__hip_bfloat16hLN4vllm18Fp8KVCacheDataTypeE1EhLi16ELi64ELi256ELb1ELi4EL8MFMAType1EEvPKT_PKT0_S9_ifPKiSB_SB_iPKfiiiPfSE_PS4_PT2_iSD_SD_
	.globl	_Z39paged_attention_ll4mi_QKV_mfma16_kernelI14__hip_bfloat16hLN4vllm18Fp8KVCacheDataTypeE1EhLi16ELi64ELi256ELb1ELi4EL8MFMAType1EEvPKT_PKT0_S9_ifPKiSB_SB_iPKfiiiPfSE_PS4_PT2_iSD_SD_
	.p2align	8
	.type	_Z39paged_attention_ll4mi_QKV_mfma16_kernelI14__hip_bfloat16hLN4vllm18Fp8KVCacheDataTypeE1EhLi16ELi64ELi256ELb1ELi4EL8MFMAType1EEvPKT_PKT0_S9_ifPKiSB_SB_iPKfiiiPfSE_PS4_PT2_iSD_SD_,@function
_Z39paged_attention_ll4mi_QKV_mfma16_kernelI14__hip_bfloat16hLN4vllm18Fp8KVCacheDataTypeE1EhLi16ELi64ELi256ELb1ELi4EL8MFMAType1EEvPKT_PKT0_S9_ifPKiSB_SB_iPKfiiiPfSE_PS4_PT2_iSD_SD_: ; @_Z39paged_attention_ll4mi_QKV_mfma16_kernelI14__hip_bfloat16hLN4vllm18Fp8KVCacheDataTypeE1EhLi16ELi64ELi256ELb1ELi4EL8MFMAType1EEvPKT_PKT0_S9_ifPKiSB_SB_iPKfiiiPfSE_PS4_PT2_iSD_SD_
; %bb.0:
	s_load_b64 s[2:3], s[0:1], 0x30
	s_mov_b32 s30, s13
	s_waitcnt lgkmcnt(0)
	s_cmp_lg_u64 s[2:3], 0
	s_cselect_b32 s8, -1, 0
	s_ashr_i32 s31, s13, 31
	s_cmp_eq_u64 s[2:3], 0
	s_cbranch_scc1 .LBB1365_3
; %bb.1:
	s_lshl_b64 s[4:5], s[30:31], 2
	s_delay_alu instid0(SALU_CYCLE_1) | instskip(SKIP_4) | instid1(SALU_CYCLE_1)
	s_add_u32 s4, s2, s4
	s_addc_u32 s5, s3, s5
	s_load_b64 s[4:5], s[4:5], 0x0
	s_waitcnt lgkmcnt(0)
	s_sub_i32 s4, s5, s4
	s_cmp_eq_u32 s4, 1
	s_cselect_b32 s4, -1, 0
	s_delay_alu instid0(SALU_CYCLE_1)
	s_and_not1_b32 vcc_lo, exec_lo, s4
	s_cbranch_vccz .LBB1365_4
.LBB1365_2:
	s_endpgm
.LBB1365_3:
.LBB1365_4:
	s_load_b64 s[4:5], s[0:1], 0x28
	s_lshl_b64 s[6:7], s[30:31], 2
	s_waitcnt lgkmcnt(0)
	s_add_u32 s4, s4, s6
	s_addc_u32 s5, s5, s7
	s_lshl_b32 s12, s14, 8
	s_load_b32 s24, s[4:5], 0x0
	s_waitcnt lgkmcnt(0)
	s_cmp_ge_i32 s12, s24
	s_cbranch_scc1 .LBB1365_2
; %bb.5:
	s_clause 0x1
	s_load_b128 s[20:23], s[0:1], 0x8
	s_load_b64 s[4:5], s[0:1], 0x20
	s_and_not1_b32 vcc_lo, exec_lo, s8
	s_cbranch_vccnz .LBB1365_7
; %bb.6:
	s_add_u32 s2, s2, s6
	s_addc_u32 s3, s3, s7
	s_load_b32 s3, s[2:3], 0x0
	s_branch .LBB1365_8
.LBB1365_7:
	s_mov_b32 s3, s30
.LBB1365_8:
	s_load_b128 s[16:19], s[0:1], 0x48
	v_and_b32_e32 v66, 15, v0
	v_cmp_gt_u32_e32 vcc_lo, 64, v0
	v_lshrrev_b32_e32 v65, 5, v0
	v_and_b32_e32 v67, 31, v0
	v_and_b32_e32 v74, 1, v0
	v_lshlrev_b32_e32 v1, 3, v66
	v_cmp_gt_u32_e64 s2, 8, v66
	v_bfe_u32 v75, v0, 4, 1
	s_lshl_b32 s31, s15, 2
	s_delay_alu instid0(VALU_DEP_3) | instskip(NEXT) | instid1(VALU_DEP_3)
	v_lshlrev_b32_e32 v73, 1, v1
	s_and_b32 s7, vcc_lo, s2
	s_delay_alu instid0(SALU_CYCLE_1)
	s_and_saveexec_b32 s6, s7
	s_cbranch_execz .LBB1365_10
; %bb.9:
	v_lshl_or_b32 v5, v65, 1, v75
	s_load_b64 s[8:9], s[0:1], 0x0
	s_waitcnt lgkmcnt(0)
	s_mul_hi_i32 s11, s3, s16
	s_mul_i32 s10, s3, s16
	v_lshlrev_b32_e32 v6, 10, v66
	v_or_b32_e32 v1, s31, v5
	s_lshl_b64 s[10:11], s[10:11], 1
	v_lshlrev_b32_e32 v5, 6, v5
	v_lshlrev_b32_e32 v7, 10, v74
	v_and_b32_e32 v6, 0x3800, v6
	v_lshlrev_b32_e32 v1, 6, v1
	s_delay_alu instid0(VALU_DEP_2) | instskip(NEXT) | instid1(VALU_DEP_2)
	v_or3_b32 v5, v6, v7, v5
	v_ashrrev_i32_e32 v2, 31, v1
	s_delay_alu instid0(VALU_DEP_1) | instskip(SKIP_2) | instid1(VALU_DEP_1)
	v_lshlrev_b64 v[1:2], 1, v[1:2]
	s_add_u32 s3, s8, s10
	s_addc_u32 s7, s9, s11
	v_add_co_u32 v1, vcc_lo, s3, v1
	s_delay_alu instid0(VALU_DEP_2) | instskip(NEXT) | instid1(VALU_DEP_2)
	v_add_co_ci_u32_e32 v2, vcc_lo, s7, v2, vcc_lo
	v_add_co_u32 v1, vcc_lo, v1, v73
	s_delay_alu instid0(VALU_DEP_2)
	v_add_co_ci_u32_e32 v2, vcc_lo, 0, v2, vcc_lo
	global_load_b128 v[1:4], v[1:2], off
	s_waitcnt vmcnt(0)
	ds_store_b128 v5, v[1:4]
.LBB1365_10:
	s_or_b32 exec_lo, exec_lo, s6
	v_and_b32_e32 v1, 0xef, v0
	s_waitcnt lgkmcnt(0)
	s_add_i32 s3, s24, 15
	s_clause 0x1
	s_load_b32 s6, s[0:1], 0x38
	s_load_b32 s19, s[0:1], 0x1c
	s_ashr_i32 s7, s3, 31
	v_add_nc_u32_e32 v1, s12, v1
	s_lshr_b32 s7, s7, 28
	s_waitcnt lgkmcnt(0)
	s_add_i32 s3, s3, s7
	s_barrier
	v_ashrrev_i32_e32 v2, 31, v1
	v_or_b32_e32 v3, 16, v1
	s_ashr_i32 s3, s3, 4
	v_cmp_gt_i32_e32 vcc_lo, s24, v1
	s_add_i32 s3, s3, -1
	v_lshrrev_b32_e32 v2, 28, v2
	buffer_gl0_inv
	s_mul_i32 s27, s15, s18
	v_add_nc_u32_e32 v4, v1, v2
	s_mul_i32 s6, s30, s6
	s_delay_alu instid0(SALU_CYCLE_1) | instskip(NEXT) | instid1(VALU_DEP_1)
	s_ashr_i32 s7, s6, 31
	v_ashrrev_i32_e32 v4, 4, v4
	v_add_nc_u32_e32 v2, v3, v2
	s_lshl_b64 s[6:7], s[6:7], 2
	s_delay_alu instid0(SALU_CYCLE_1) | instskip(NEXT) | instid1(VALU_DEP_2)
	s_add_u32 s26, s4, s6
	v_cndmask_b32_e32 v1, s3, v4, vcc_lo
	s_delay_alu instid0(VALU_DEP_2)
	v_ashrrev_i32_e32 v2, 4, v2
	v_cmp_gt_i32_e32 vcc_lo, s24, v3
	s_addc_u32 s25, s5, s7
	s_ashr_i32 s28, s27, 31
	s_add_u32 s13, s20, s27
	s_addc_u32 s15, s21, s28
	v_cndmask_b32_e32 v3, s3, v2, vcc_lo
	v_ashrrev_i32_e32 v2, 31, v1
	s_lshl_b32 s4, s14, 4
	s_delay_alu instid0(SALU_CYCLE_1) | instskip(NEXT) | instid1(VALU_DEP_2)
	s_ashr_i32 s5, s4, 31
	v_ashrrev_i32_e32 v4, 31, v3
	s_delay_alu instid0(VALU_DEP_2) | instskip(SKIP_1) | instid1(SALU_CYCLE_1)
	v_lshlrev_b64 v[1:2], 2, v[1:2]
	s_lshl_b64 s[4:5], s[4:5], 2
	s_add_u32 s4, s26, s4
	s_delay_alu instid0(VALU_DEP_2) | instskip(SKIP_1) | instid1(VALU_DEP_2)
	v_lshlrev_b64 v[3:4], 2, v[3:4]
	s_addc_u32 s5, s25, s5
	v_add_co_u32 v1, vcc_lo, s26, v1
	v_add_co_ci_u32_e32 v2, vcc_lo, s25, v2, vcc_lo
	s_delay_alu instid0(VALU_DEP_3) | instskip(NEXT) | instid1(VALU_DEP_4)
	v_add_co_u32 v3, vcc_lo, s26, v3
	v_add_co_ci_u32_e32 v4, vcc_lo, s25, v4, vcc_lo
	s_clause 0x1
	global_load_b32 v5, v[1:2], off
	global_load_b32 v7, v[3:4], off
	s_or_b32 s6, s12, 32
	v_lshlrev_b32_e32 v1, 4, v0
	s_ashr_i32 s7, s6, 4
	s_cmp_lt_i32 s6, s24
	s_cselect_b32 s6, s7, s3
	s_delay_alu instid0(VALU_DEP_1) | instskip(SKIP_1) | instid1(SALU_CYCLE_1)
	v_and_b32_e32 v1, 0xf0, v1
	s_ashr_i32 s7, s6, 31
	s_lshl_b64 s[6:7], s[6:7], 2
	s_delay_alu instid0(SALU_CYCLE_1)
	s_add_u32 s6, s26, s6
	s_addc_u32 s7, s25, s7
	s_or_b32 s8, s12, 64
	v_add_co_u32 v1, s13, s13, v1
	s_ashr_i32 s9, s8, 4
	s_cmp_lt_i32 s8, s24
	v_add_co_ci_u32_e64 v2, null, s15, 0, s13
	s_cselect_b32 s8, s9, s3
	s_delay_alu instid0(SALU_CYCLE_1) | instskip(NEXT) | instid1(SALU_CYCLE_1)
	s_ashr_i32 s9, s8, 31
	s_lshl_b64 s[8:9], s[8:9], 2
	s_delay_alu instid0(SALU_CYCLE_1) | instskip(SKIP_2) | instid1(SALU_CYCLE_1)
	s_add_u32 s8, s26, s8
	s_addc_u32 s9, s25, s9
	s_or_b32 s10, s12, 0x60
	s_ashr_i32 s11, s10, 4
	s_cmp_lt_i32 s10, s24
	s_cselect_b32 s10, s11, s3
	s_delay_alu instid0(SALU_CYCLE_1) | instskip(NEXT) | instid1(SALU_CYCLE_1)
	s_ashr_i32 s11, s10, 31
	s_lshl_b64 s[10:11], s[10:11], 2
	s_delay_alu instid0(SALU_CYCLE_1) | instskip(SKIP_2) | instid1(SALU_CYCLE_1)
	s_add_u32 s10, s26, s10
	s_addc_u32 s11, s25, s11
	s_or_b32 s16, s12, 0x80
	s_ashr_i32 s18, s16, 4
	s_cmp_lt_i32 s16, s24
	s_cselect_b32 s20, s18, s3
	s_delay_alu instid0(SALU_CYCLE_1) | instskip(NEXT) | instid1(SALU_CYCLE_1)
	s_ashr_i32 s21, s20, 31
	s_lshl_b64 s[20:21], s[20:21], 2
	s_delay_alu instid0(SALU_CYCLE_1) | instskip(SKIP_2) | instid1(SALU_CYCLE_1)
	s_add_u32 s34, s26, s20
	s_addc_u32 s35, s25, s21
	s_or_b32 s16, s12, 0xa0
	s_ashr_i32 s18, s16, 4
	s_cmp_lt_i32 s16, s24
	s_cselect_b32 s20, s18, s3
	s_delay_alu instid0(SALU_CYCLE_1) | instskip(NEXT) | instid1(SALU_CYCLE_1)
	s_ashr_i32 s21, s20, 31
	s_lshl_b64 s[20:21], s[20:21], 2
	s_delay_alu instid0(SALU_CYCLE_1)
	s_add_u32 s36, s26, s20
	s_addc_u32 s37, s25, s21
	s_clause 0x5
	s_load_b32 s21, s[4:5], 0x0
	s_load_b32 s13, s[6:7], 0x0
	;; [unrolled: 1-line block ×6, first 2 shown]
	s_or_b32 s7, s12, 0xc0
	s_mov_b32 s4, 0
	s_ashr_i32 s8, s7, 4
	s_cmp_lt_i32 s7, s24
	s_mov_b32 s5, s4
	s_cselect_b32 s10, s8, s3
	s_mov_b32 s6, s4
	s_ashr_i32 s11, s10, 31
	s_mov_b32 s7, s4
	s_lshl_b64 s[34:35], s[10:11], 2
	s_mov_b32 s11, s4
	s_add_u32 s34, s26, s34
	s_addc_u32 s35, s25, s35
	s_or_b32 s29, s12, 0xe0
	s_mov_b32 s8, s4
	s_ashr_i32 s33, s29, 4
	s_mov_b32 s9, s4
	s_mov_b32 s10, s4
	s_cmp_lt_i32 s29, s24
	v_dual_mov_b32 v107, s11 :: v_dual_mov_b32 v100, s4
	v_mov_b32_e32 v106, s10
	v_dual_mov_b32 v104, s8 :: v_dual_mov_b32 v103, s7
	v_dual_mov_b32 v102, s6 :: v_dual_mov_b32 v101, s5
	v_mov_b32_e32 v105, s9
	s_cselect_b32 s4, s33, s3
	s_delay_alu instid0(SALU_CYCLE_1) | instskip(NEXT) | instid1(SALU_CYCLE_1)
	s_ashr_i32 s5, s4, 31
	s_lshl_b64 s[4:5], s[4:5], 2
	s_delay_alu instid0(SALU_CYCLE_1)
	s_add_u32 s4, s26, s4
	s_addc_u32 s5, s25, s5
	s_add_u32 s6, s22, s27
	s_addc_u32 s7, s23, s28
	s_waitcnt vmcnt(1)
	v_mad_i64_i32 v[3:4], null, v5, s17, v[1:2]
	s_waitcnt vmcnt(0)
	v_mad_i64_i32 v[5:6], null, v7, s17, v[1:2]
	s_clause 0x7
	global_load_b128 v[49:52], v[3:4], off
	global_load_b128 v[53:56], v[3:4], off offset:256
	global_load_b128 v[76:79], v[5:6], off
	global_load_b128 v[80:83], v[5:6], off offset:256
	global_load_b128 v[84:87], v[3:4], off offset:512
	;; [unrolled: 1-line block ×5, first 2 shown]
	v_and_b32_e32 v1, 3, v0
	v_lshlrev_b32_e32 v2, 4, v66
	s_load_b32 s3, s[34:35], 0x0
	s_delay_alu instid0(VALU_DEP_2) | instskip(NEXT) | instid1(VALU_DEP_2)
	v_lshlrev_b32_e32 v70, 6, v1
	v_lshl_or_b32 v1, v65, 8, v2
	ds_load_b128 v[108:111], v70
	ds_load_b128 v[112:115], v70 offset:1024
	s_load_b32 s4, s[4:5], 0x0
	v_add_co_u32 v9, s6, s6, v1
	s_delay_alu instid0(VALU_DEP_1) | instskip(SKIP_1) | instid1(VALU_DEP_1)
	v_add_co_ci_u32_e64 v10, null, s7, 0, s6
	s_waitcnt lgkmcnt(0)
	v_mad_i64_i32 v[1:2], null, s21, s17, v[9:10]
	v_mad_i64_i32 v[3:4], null, s13, s17, v[9:10]
	;; [unrolled: 1-line block ×7, first 2 shown]
	s_clause 0x9
	global_load_b128 v[57:60], v[1:2], off
	global_load_b128 v[61:64], v[1:2], off offset:16
	global_load_b128 v[41:44], v[3:4], off
	global_load_b128 v[45:48], v[3:4], off offset:16
	;; [unrolled: 2-line block ×5, first 2 shown]
	v_mad_i64_i32 v[68:69], null, s4, s17, v[9:10]
	s_clause 0x3
	global_load_b128 v[9:12], v[13:14], off
	global_load_b128 v[13:16], v[13:14], off offset:16
	global_load_b128 v[17:20], v[21:22], off
	global_load_b128 v[21:24], v[21:22], off offset:16
	s_waitcnt vmcnt(20)
	v_wmma_f32_16x16x16_bf16 v[116:123], v[49:56], v[108:115], v[100:107]
	s_clause 0x1
	global_load_b128 v[49:52], v[68:69], off
	global_load_b128 v[53:56], v[68:69], off offset:16
	v_and_b32_e32 v68, 0xe0, v0
	v_mbcnt_lo_u32_b32 v69, -1, 0
	s_delay_alu instid0(VALU_DEP_2)
	v_add_nc_u32_e32 v68, s12, v68
	s_waitcnt vmcnt(20)
	v_wmma_f32_16x16x16_bf16 v[100:107], v[76:83], v[108:115], v[100:107]
	ds_load_b128 v[76:79], v70 offset:2048
	ds_load_b128 v[80:83], v70 offset:3072
	v_xor_b32_e32 v70, 16, v69
	s_waitcnt vmcnt(0) lgkmcnt(0)
	v_or_b32_e32 v68, v68, v75
	s_barrier
	buffer_gl0_inv
	v_cmp_gt_i32_e32 vcc_lo, 32, v70
	v_or_b32_e32 v71, 4, v68
	v_or_b32_e32 v72, 6, v68
	v_cmp_gt_i32_e64 s3, s24, v68
	v_or_b32_e32 v108, 8, v68
	v_or_b32_e32 v109, 10, v68
	v_cmp_gt_i32_e64 s4, s24, v71
	v_cmp_gt_i32_e64 s5, s24, v72
	s_delay_alu instid0(VALU_DEP_4) | instskip(NEXT) | instid1(VALU_DEP_4)
	v_cmp_gt_i32_e64 s6, s24, v108
	v_cmp_gt_i32_e64 s7, s24, v109
	v_wmma_f32_16x16x16_bf16 v[116:123], v[84:91], v[76:83], v[116:123]
	v_cndmask_b32_e32 v69, v69, v70, vcc_lo
	v_or_b32_e32 v70, 2, v68
	v_wmma_f32_16x16x16_bf16 v[100:107], v[92:99], v[76:83], v[100:107]
	v_or_b32_e32 v89, 22, v68
	v_dual_mul_f32 v80, s19, v121 :: v_dual_mul_f32 v81, s19, v120
	v_dual_mul_f32 v92, s19, v117 :: v_dual_mul_f32 v93, s19, v116
	s_delay_alu instid0(VALU_DEP_4)
	v_mul_f32_e32 v96, s19, v105
	v_cmp_gt_i32_e32 vcc_lo, s24, v70
	v_dual_mul_f32 v79, s19, v122 :: v_dual_mul_f32 v82, s19, v119
	v_dual_mul_f32 v83, s19, v118 :: v_dual_mul_f32 v94, s19, v107
	v_cndmask_b32_e64 v93, 0xff7fffff, v93, s3
	v_cndmask_b32_e32 v92, 0xff7fffff, v92, vcc_lo
	v_or_b32_e32 v84, 12, v68
	v_or_b32_e32 v85, 14, v68
	v_cndmask_b32_e64 v71, 0xff7fffff, v83, s4
	v_cndmask_b32_e64 v72, 0xff7fffff, v82, s5
	v_cmp_gt_i32_e64 s13, s24, v89
	v_lshlrev_b32_e32 v89, 2, v69
	v_max3_f32 v82, v93, 0xff7fffff, v92
	v_or_b32_e32 v86, 16, v68
	v_or_b32_e32 v87, 18, v68
	v_mul_f32_e32 v78, s19, v123
	v_cndmask_b32_e64 v81, 0xff7fffff, v81, s6
	v_cndmask_b32_e64 v80, 0xff7fffff, v80, s7
	v_max3_f32 v71, v82, v71, v72
	v_cmp_gt_i32_e64 s8, s24, v84
	v_cmp_gt_i32_e64 s9, s24, v85
	v_or_b32_e32 v88, 20, v68
	v_or_b32_e32 v90, 24, v68
	;; [unrolled: 1-line block ×5, first 2 shown]
	v_dual_mul_f32 v97, s19, v104 :: v_dual_mul_f32 v70, s19, v101
	v_dual_mul_f32 v99, s19, v102 :: v_dual_mul_f32 v68, s19, v100
	v_cndmask_b32_e64 v72, 0xff7fffff, v79, s8
	v_cndmask_b32_e64 v78, 0xff7fffff, v78, s9
	v_max3_f32 v71, v71, v81, v80
	v_cmp_gt_i32_e64 s10, s24, v86
	v_cmp_gt_i32_e64 s11, s24, v87
	v_dual_mul_f32 v95, s19, v106 :: v_dual_mul_f32 v98, s19, v103
	s_delay_alu instid0(VALU_DEP_4) | instskip(NEXT) | instid1(VALU_DEP_4)
	v_max3_f32 v71, v71, v72, v78
	v_cndmask_b32_e64 v68, 0xff7fffff, v68, s10
	s_delay_alu instid0(VALU_DEP_4)
	v_cndmask_b32_e64 v70, 0xff7fffff, v70, s11
	v_cmp_gt_i32_e64 s12, s24, v88
	v_cndmask_b32_e64 v78, 0xff7fffff, v98, s13
	v_cmp_gt_i32_e64 s15, s24, v90
	v_cmp_gt_i32_e64 s16, s24, v91
	v_max3_f32 v68, v71, v68, v70
	v_cndmask_b32_e64 v72, 0xff7fffff, v99, s12
	v_cmp_gt_i32_e64 s17, s24, v76
	v_cndmask_b32_e64 v70, 0xff7fffff, v97, s15
	v_cndmask_b32_e64 v71, 0xff7fffff, v96, s16
	v_cmp_gt_i32_e64 s18, s24, v77
	v_max3_f32 v68, v68, v72, v78
	v_cndmask_b32_e64 v72, 0xff7fffff, v95, s17
	s_delay_alu instid0(VALU_DEP_3) | instskip(NEXT) | instid1(VALU_DEP_3)
	v_cndmask_b32_e64 v76, 0xff7fffff, v94, s18
	v_max3_f32 v68, v68, v70, v71
	s_delay_alu instid0(VALU_DEP_1) | instskip(SKIP_3) | instid1(VALU_DEP_1)
	v_max3_f32 v68, v68, v72, v76
	ds_bpermute_b32 v69, v89, v68
	s_waitcnt lgkmcnt(0)
	v_max_f32_e32 v69, v69, v69
	v_max_f32_e32 v68, v68, v69
	s_delay_alu instid0(VALU_DEP_1) | instskip(NEXT) | instid1(VALU_DEP_1)
	v_fma_f32 v71, s19, v118, -v68
	v_mul_f32_e32 v71, 0x3fb8aa3b, v71
	v_fma_f32 v70, s19, v117, -v68
	v_fma_f32 v69, s19, v116, -v68
	;; [unrolled: 1-line block ×5, first 2 shown]
	s_delay_alu instid0(VALU_DEP_4) | instskip(SKIP_1) | instid1(VALU_DEP_3)
	v_dual_mul_f32 v70, 0x3fb8aa3b, v70 :: v_dual_mul_f32 v69, 0x3fb8aa3b, v69
	v_exp_f32_e32 v71, v71
	v_mul_f32_e32 v72, 0x3fb8aa3b, v72
	v_fma_f32 v81, s19, v105, -v68
	s_delay_alu instid0(VALU_DEP_3)
	v_exp_f32_e32 v70, v70
	v_mul_f32_e32 v77, 0x3fb8aa3b, v76
	v_exp_f32_e32 v69, v69
	v_exp_f32_e32 v72, v72
	v_mul_f32_e32 v81, 0x3fb8aa3b, v81
	v_cndmask_b32_e64 v83, 0, v71, s4
	v_fma_f32 v71, s19, v123, -v68
	s_delay_alu instid0(VALU_DEP_3) | instskip(SKIP_4) | instid1(TRANS32_DEP_3)
	v_exp_f32_e32 v81, v81
	v_cndmask_b32_e32 v76, 0, v70, vcc_lo
	v_exp_f32_e32 v77, v77
	v_cndmask_b32_e64 v80, 0, v69, s3
	v_fma_f32 v69, s19, v121, -v68
	v_cndmask_b32_e64 v85, 0, v72, s5
	v_mul_f32_e32 v71, 0x3fb8aa3b, v71
	v_fma_f32 v72, s19, v100, -v68
	s_delay_alu instid0(VALU_DEP_4) | instskip(SKIP_1) | instid1(VALU_DEP_3)
	v_dual_add_f32 v70, 0, v80 :: v_dual_mul_f32 v69, 0x3fb8aa3b, v69
	s_mov_b32 s3, exec_lo
	v_exp_f32_e32 v71, v71
	s_delay_alu instid0(TRANS32_DEP_2) | instskip(SKIP_4) | instid1(VALU_DEP_3)
	v_cndmask_b32_e64 v86, 0, v77, s6
	v_fma_f32 v77, s19, v101, -v68
	v_mul_f32_e32 v78, 0x3fb8aa3b, v78
	v_add_f32_e32 v70, v70, v76
	v_exp_f32_e32 v69, v69
	v_mul_f32_e32 v77, 0x3fb8aa3b, v77
	s_delay_alu instid0(VALU_DEP_3) | instskip(NEXT) | instid1(TRANS32_DEP_3)
	v_exp_f32_e32 v78, v78
	v_cndmask_b32_e64 v88, 0, v71, s9
	v_fma_f32 v71, s19, v104, -v68
	s_delay_alu instid0(VALU_DEP_3) | instskip(NEXT) | instid1(TRANS32_DEP_3)
	v_exp_f32_e32 v77, v77
	v_cndmask_b32_e64 v87, 0, v69, s7
	s_delay_alu instid0(VALU_DEP_2)
	v_mul_f32_e32 v71, 0x3fb8aa3b, v71
	s_waitcnt_depctr 0xfff
	v_cndmask_b32_e64 v84, 0, v78, s8
	v_add_f32_e32 v70, v70, v83
	v_fma_f32 v78, s19, v103, -v68
	v_exp_f32_e32 v82, v71
	s_delay_alu instid0(VALU_DEP_2) | instskip(SKIP_1) | instid1(VALU_DEP_3)
	v_add_f32_e32 v70, v70, v85
	v_mul_f32_e32 v72, 0x3fb8aa3b, v72
	v_mul_f32_e32 v78, 0x3fb8aa3b, v78
	s_delay_alu instid0(VALU_DEP_3) | instskip(SKIP_1) | instid1(VALU_DEP_4)
	v_add_f32_e32 v69, v70, v86
	v_fma_f32 v70, s19, v102, -v68
	v_exp_f32_e32 v72, v72
	s_delay_alu instid0(VALU_DEP_3) | instskip(NEXT) | instid1(VALU_DEP_1)
	v_exp_f32_e32 v78, v78
	v_dual_add_f32 v69, v69, v87 :: v_dual_mul_f32 v70, 0x3fb8aa3b, v70
	s_delay_alu instid0(VALU_DEP_1) | instskip(NEXT) | instid1(VALU_DEP_2)
	v_add_f32_e32 v69, v69, v84
	v_exp_f32_e32 v79, v70
	s_delay_alu instid0(TRANS32_DEP_3) | instskip(NEXT) | instid1(VALU_DEP_2)
	v_cndmask_b32_e64 v70, 0, v72, s10
	v_add_f32_e32 v72, v69, v88
	v_cndmask_b32_e64 v69, 0, v77, s11
	v_fma_f32 v77, s19, v106, -v68
	s_waitcnt_depctr 0xfff
	v_cndmask_b32_e64 v71, 0, v79, s12
	v_dual_mul_f32 v77, 0x3fb8aa3b, v77 :: v_dual_add_f32 v72, v72, v70
	s_delay_alu instid0(VALU_DEP_1) | instskip(NEXT) | instid1(VALU_DEP_1)
	v_exp_f32_e32 v90, v77
	v_add_f32_e32 v79, v72, v69
	v_cndmask_b32_e64 v72, 0, v78, s13
	v_cndmask_b32_e64 v77, 0, v82, s15
	s_delay_alu instid0(VALU_DEP_3) | instskip(SKIP_1) | instid1(VALU_DEP_1)
	v_add_f32_e32 v78, v79, v71
	v_fma_f32 v79, s19, v107, -v68
	v_dual_add_f32 v82, v78, v72 :: v_dual_mul_f32 v79, 0x3fb8aa3b, v79
	v_cndmask_b32_e64 v78, 0, v81, s16
	s_delay_alu instid0(VALU_DEP_2) | instskip(NEXT) | instid1(VALU_DEP_3)
	v_add_f32_e32 v81, v82, v77
	v_exp_f32_e32 v82, v79
	v_cndmask_b32_e64 v79, 0, v90, s17
	s_delay_alu instid0(VALU_DEP_2) | instskip(NEXT) | instid1(VALU_DEP_1)
	v_add_f32_e32 v81, v81, v78
	v_add_f32_e32 v90, v81, v79
	s_waitcnt_depctr 0xfff
	v_cndmask_b32_e64 v81, 0, v82, s18
	s_delay_alu instid0(VALU_DEP_1)
	v_add_f32_e32 v82, v90, v81
	ds_bpermute_b32 v89, v89, v82
	v_cmpx_gt_u32_e32 16, v67
	s_cbranch_execz .LBB1365_12
; %bb.11:
	v_mul_u32_u24_e32 v67, 0x44, v65
	s_delay_alu instid0(VALU_DEP_1) | instskip(SKIP_1) | instid1(VALU_DEP_1)
	v_lshl_add_u32 v67, v66, 2, v67
	s_waitcnt lgkmcnt(0)
	v_dual_add_f32 v82, v82, v89 :: v_dual_add_nc_u32 v67, 0x4000, v67
	ds_store_2addr_b32 v67, v68, v82 offset1:136
.LBB1365_12:
	s_or_b32 exec_lo, exec_lo, s3
	v_lshlrev_b32_e32 v67, 2, v66
	s_waitcnt lgkmcnt(0)
	s_barrier
	buffer_gl0_inv
	v_cmp_eq_u32_e32 vcc_lo, 1, v65
	v_add_nc_u32_e32 v82, 0x4000, v67
	v_cmp_eq_u32_e64 s3, 2, v65
	v_cmp_eq_u32_e64 s5, 7, v65
	ds_load_2addr_b32 v[89:90], v82 offset1:17
	ds_load_2addr_b32 v[91:92], v82 offset0:34 offset1:51
	ds_load_2addr_b32 v[93:94], v82 offset0:68 offset1:85
	ds_load_2addr_b32 v[95:96], v82 offset0:102 offset1:119
	ds_load_2addr_b32 v[97:98], v82 offset0:136 offset1:153
	s_waitcnt lgkmcnt(4)
	v_max3_f32 v67, v89, 0xff7fffff, v90
	s_waitcnt lgkmcnt(3)
	s_delay_alu instid0(VALU_DEP_1) | instskip(SKIP_1) | instid1(VALU_DEP_1)
	v_max3_f32 v67, v67, v91, v92
	s_waitcnt lgkmcnt(2)
	v_max3_f32 v67, v67, v93, v94
	s_waitcnt lgkmcnt(1)
	s_delay_alu instid0(VALU_DEP_1) | instskip(NEXT) | instid1(VALU_DEP_1)
	v_max3_f32 v67, v67, v95, v96
	v_sub_f32_e32 v93, v93, v67
	s_delay_alu instid0(VALU_DEP_1) | instskip(NEXT) | instid1(VALU_DEP_1)
	v_dual_sub_f32 v68, v89, v67 :: v_dual_mul_f32 v103, 0x3fb8aa3b, v93
	v_mul_f32_e32 v68, 0x3fb8aa3b, v68
	s_delay_alu instid0(VALU_DEP_1)
	v_exp_f32_e32 v100, v68
	v_sub_f32_e32 v68, v92, v67
	v_sub_f32_e32 v99, v90, v67
	ds_load_2addr_b32 v[89:90], v82 offset0:170 offset1:187
	v_dual_mul_f32 v102, 0x3fb8aa3b, v68 :: v_dual_mul_f32 v99, 0x3fb8aa3b, v99
	s_waitcnt lgkmcnt(1)
	v_fma_f32 v68, v100, v97, 0
	s_delay_alu instid0(VALU_DEP_2) | instskip(NEXT) | instid1(VALU_DEP_2)
	v_exp_f32_e32 v102, v102
	v_exp_f32_e32 v99, v99
	s_waitcnt_depctr 0xfff
	v_fmac_f32_e32 v68, v99, v98
	v_sub_f32_e32 v91, v91, v67
	s_delay_alu instid0(VALU_DEP_1)
	v_mul_f32_e32 v101, 0x3fb8aa3b, v91
	ds_load_2addr_b32 v[91:92], v82 offset0:204 offset1:221
	v_sub_f32_e32 v97, v94, v67
	ds_load_2addr_b32 v[93:94], v82 offset0:238 offset1:255
	s_waitcnt lgkmcnt(0)
	v_exp_f32_e32 v101, v101
	s_barrier
	buffer_gl0_inv
	v_dual_fmac_f32 v68, v101, v89 :: v_dual_sub_f32 v89, v96, v67
	v_dual_sub_f32 v82, v95, v67 :: v_dual_mul_f32 v95, 0x3fb8aa3b, v97
	v_exp_f32_e32 v97, v103
	s_delay_alu instid0(VALU_DEP_2) | instskip(NEXT) | instid1(VALU_DEP_2)
	v_dual_fmac_f32 v68, v102, v90 :: v_dual_mul_f32 v89, 0x3fb8aa3b, v89
	v_mul_f32_e32 v82, 0x3fb8aa3b, v82
	s_delay_alu instid0(VALU_DEP_3) | instskip(NEXT) | instid1(VALU_DEP_2)
	v_exp_f32_e32 v95, v95
	v_exp_f32_e32 v89, v89
	s_delay_alu instid0(VALU_DEP_1)
	v_exp_f32_e32 v82, v82
	v_fmac_f32_e32 v68, v97, v91
	s_delay_alu instid0(TRANS32_DEP_3) | instid1(VALU_DEP_1)
	v_fmac_f32_e32 v68, v95, v92
	s_waitcnt_depctr 0xfff
	v_fmac_f32_e32 v68, v82, v93
	s_delay_alu instid0(VALU_DEP_1) | instskip(NEXT) | instid1(VALU_DEP_1)
	v_fmac_f32_e32 v68, v89, v94
	v_add_f32_e32 v90, 0x358637bd, v68
	s_delay_alu instid0(VALU_DEP_1) | instskip(NEXT) | instid1(VALU_DEP_1)
	v_div_scale_f32 v91, null, v90, v90, 1.0
	v_rcp_f32_e32 v92, v91
	s_waitcnt_depctr 0xfff
	v_fma_f32 v93, -v91, v92, 1.0
	s_delay_alu instid0(VALU_DEP_1) | instskip(SKIP_1) | instid1(VALU_DEP_2)
	v_dual_fmac_f32 v92, v93, v92 :: v_dual_cndmask_b32 v93, v100, v99
	v_cmp_eq_u32_e32 vcc_lo, 3, v65
	v_cndmask_b32_e64 v93, v93, v101, s3
	v_cmp_eq_u32_e64 s3, 4, v65
	s_delay_alu instid0(VALU_DEP_2) | instskip(SKIP_1) | instid1(VALU_DEP_2)
	v_cndmask_b32_e32 v93, v93, v102, vcc_lo
	v_cmp_eq_u32_e32 vcc_lo, 5, v65
	v_cndmask_b32_e64 v93, v93, v97, s3
	v_cmp_eq_u32_e64 s3, 6, v65
	s_delay_alu instid0(VALU_DEP_2) | instskip(SKIP_1) | instid1(VALU_DEP_1)
	v_cndmask_b32_e32 v93, v93, v95, vcc_lo
	v_div_scale_f32 v94, s4, 1.0, v90, 1.0
	s_mov_b32 vcc_lo, s4
	s_delay_alu instid0(VALU_DEP_2) | instskip(NEXT) | instid1(VALU_DEP_2)
	v_cndmask_b32_e64 v82, v93, v82, s3
	v_mul_f32_e32 v96, v94, v92
	s_mov_b32 s3, exec_lo
	s_delay_alu instid0(VALU_DEP_2) | instskip(NEXT) | instid1(VALU_DEP_2)
	v_cndmask_b32_e64 v82, v82, v89, s5
	v_fma_f32 v98, -v91, v96, v94
	s_delay_alu instid0(VALU_DEP_1) | instskip(NEXT) | instid1(VALU_DEP_1)
	v_fmac_f32_e32 v96, v98, v92
	v_fma_f32 v91, -v91, v96, v94
	s_delay_alu instid0(VALU_DEP_1) | instskip(NEXT) | instid1(VALU_DEP_1)
	v_div_fmas_f32 v91, v91, v92, v96
	v_div_fixup_f32 v90, v91, v90, 1.0
	s_delay_alu instid0(VALU_DEP_1) | instskip(NEXT) | instid1(VALU_DEP_1)
	v_mul_f32_e32 v82, v82, v90
	v_mul_f32_e32 v87, v82, v87
	;; [unrolled: 1-line block ×7, first 2 shown]
	v_dual_mul_f32 v86, v82, v83 :: v_dual_and_b32 v91, 0x7f800000, v90
	v_mul_f32_e32 v85, v82, v76
                                        ; implicit-def: $vgpr76
	s_delay_alu instid0(VALU_DEP_2)
	v_cmpx_ne_u32_e32 0x7f800000, v91
	s_xor_b32 s3, exec_lo, s3
; %bb.13:
	v_bfe_u32 v76, v90, 16, 1
	s_delay_alu instid0(VALU_DEP_1)
	v_add3_u32 v76, v90, v76, 0x7fff
                                        ; implicit-def: $vgpr90
; %bb.14:
	s_and_not1_saveexec_b32 s3, s3
; %bb.15:
	v_and_b32_e32 v76, 0xffff, v90
	v_or_b32_e32 v83, 0x10000, v90
	s_delay_alu instid0(VALU_DEP_2) | instskip(NEXT) | instid1(VALU_DEP_2)
	v_cmp_eq_u32_e32 vcc_lo, 0, v76
	v_cndmask_b32_e32 v76, v83, v90, vcc_lo
; %bb.16:
	s_or_b32 exec_lo, exec_lo, s3
	v_and_b32_e32 v83, 0x7f800000, v85
	s_delay_alu instid0(VALU_DEP_1) | instskip(SKIP_1) | instid1(SALU_CYCLE_1)
	v_cmp_ne_u32_e32 vcc_lo, 0x7f800000, v83
                                        ; implicit-def: $vgpr83
	s_and_saveexec_b32 s3, vcc_lo
	s_xor_b32 s3, exec_lo, s3
; %bb.17:
	v_bfe_u32 v83, v85, 16, 1
	s_delay_alu instid0(VALU_DEP_1)
	v_add3_u32 v83, v85, v83, 0x7fff
                                        ; implicit-def: $vgpr85
; %bb.18:
	s_and_not1_saveexec_b32 s3, s3
; %bb.19:
	v_and_b32_e32 v83, 0xffff, v85
	v_or_b32_e32 v90, 0x10000, v85
	s_delay_alu instid0(VALU_DEP_2) | instskip(NEXT) | instid1(VALU_DEP_2)
	v_cmp_eq_u32_e32 vcc_lo, 0, v83
	v_cndmask_b32_e32 v83, v90, v85, vcc_lo
; %bb.20:
	s_or_b32 exec_lo, exec_lo, s3
	v_and_b32_e32 v85, 0x7f800000, v86
	s_delay_alu instid0(VALU_DEP_1) | instskip(SKIP_1) | instid1(SALU_CYCLE_1)
	v_cmp_ne_u32_e32 vcc_lo, 0x7f800000, v85
                                        ; implicit-def: $vgpr85
	s_and_saveexec_b32 s3, vcc_lo
	s_xor_b32 s3, exec_lo, s3
; %bb.21:
	v_bfe_u32 v85, v86, 16, 1
	s_delay_alu instid0(VALU_DEP_1)
	v_add3_u32 v85, v86, v85, 0x7fff
                                        ; implicit-def: $vgpr86
; %bb.22:
	s_and_not1_saveexec_b32 s3, s3
; %bb.23:
	v_and_b32_e32 v85, 0xffff, v86
	v_or_b32_e32 v90, 0x10000, v86
	s_delay_alu instid0(VALU_DEP_2) | instskip(NEXT) | instid1(VALU_DEP_2)
	v_cmp_eq_u32_e32 vcc_lo, 0, v85
	v_cndmask_b32_e32 v85, v90, v86, vcc_lo
; %bb.24:
	s_or_b32 exec_lo, exec_lo, s3
	v_and_b32_e32 v86, 0x7f800000, v89
	s_delay_alu instid0(VALU_DEP_1) | instskip(SKIP_1) | instid1(SALU_CYCLE_1)
	v_cmp_ne_u32_e32 vcc_lo, 0x7f800000, v86
                                        ; implicit-def: $vgpr86
	s_and_saveexec_b32 s3, vcc_lo
	s_xor_b32 s3, exec_lo, s3
; %bb.25:
	v_bfe_u32 v86, v89, 16, 1
	s_delay_alu instid0(VALU_DEP_1)
	v_add3_u32 v86, v89, v86, 0x7fff
                                        ; implicit-def: $vgpr89
; %bb.26:
	s_and_not1_saveexec_b32 s3, s3
; %bb.27:
	v_and_b32_e32 v86, 0xffff, v89
	v_or_b32_e32 v90, 0x10000, v89
	s_delay_alu instid0(VALU_DEP_2) | instskip(NEXT) | instid1(VALU_DEP_2)
	v_cmp_eq_u32_e32 vcc_lo, 0, v86
	v_cndmask_b32_e32 v86, v90, v89, vcc_lo
; %bb.28:
	s_or_b32 exec_lo, exec_lo, s3
	v_and_b32_e32 v89, 0x7f800000, v88
	s_delay_alu instid0(VALU_DEP_1) | instskip(SKIP_1) | instid1(SALU_CYCLE_1)
	v_cmp_ne_u32_e32 vcc_lo, 0x7f800000, v89
                                        ; implicit-def: $vgpr89
	s_and_saveexec_b32 s3, vcc_lo
	s_xor_b32 s3, exec_lo, s3
; %bb.29:
	v_bfe_u32 v89, v88, 16, 1
	s_delay_alu instid0(VALU_DEP_1)
	v_add3_u32 v89, v88, v89, 0x7fff
                                        ; implicit-def: $vgpr88
; %bb.30:
	s_and_not1_saveexec_b32 s3, s3
; %bb.31:
	v_and_b32_e32 v89, 0xffff, v88
	v_or_b32_e32 v90, 0x10000, v88
	s_delay_alu instid0(VALU_DEP_2) | instskip(NEXT) | instid1(VALU_DEP_2)
	v_cmp_eq_u32_e32 vcc_lo, 0, v89
	v_cndmask_b32_e32 v89, v90, v88, vcc_lo
; %bb.32:
	s_or_b32 exec_lo, exec_lo, s3
	v_and_b32_e32 v88, 0x7f800000, v87
	s_delay_alu instid0(VALU_DEP_1) | instskip(SKIP_1) | instid1(SALU_CYCLE_1)
	v_cmp_ne_u32_e32 vcc_lo, 0x7f800000, v88
                                        ; implicit-def: $vgpr88
	s_and_saveexec_b32 s3, vcc_lo
	s_xor_b32 s3, exec_lo, s3
; %bb.33:
	v_bfe_u32 v88, v87, 16, 1
	s_delay_alu instid0(VALU_DEP_1)
	v_add3_u32 v88, v87, v88, 0x7fff
                                        ; implicit-def: $vgpr87
; %bb.34:
	s_and_not1_saveexec_b32 s3, s3
; %bb.35:
	v_and_b32_e32 v88, 0xffff, v87
	v_or_b32_e32 v90, 0x10000, v87
	s_delay_alu instid0(VALU_DEP_2) | instskip(NEXT) | instid1(VALU_DEP_2)
	v_cmp_eq_u32_e32 vcc_lo, 0, v88
	v_cndmask_b32_e32 v88, v90, v87, vcc_lo
; %bb.36:
	s_or_b32 exec_lo, exec_lo, s3
	v_and_b32_e32 v87, 0x7f800000, v84
	s_delay_alu instid0(VALU_DEP_1) | instskip(SKIP_1) | instid1(SALU_CYCLE_1)
	v_cmp_ne_u32_e32 vcc_lo, 0x7f800000, v87
                                        ; implicit-def: $vgpr87
	s_and_saveexec_b32 s3, vcc_lo
	s_xor_b32 s3, exec_lo, s3
; %bb.37:
	v_bfe_u32 v87, v84, 16, 1
	s_delay_alu instid0(VALU_DEP_1)
	v_add3_u32 v87, v84, v87, 0x7fff
                                        ; implicit-def: $vgpr84
; %bb.38:
	s_and_not1_saveexec_b32 s3, s3
; %bb.39:
	v_and_b32_e32 v87, 0xffff, v84
	v_or_b32_e32 v90, 0x10000, v84
	s_delay_alu instid0(VALU_DEP_2) | instskip(NEXT) | instid1(VALU_DEP_2)
	v_cmp_eq_u32_e32 vcc_lo, 0, v87
	v_cndmask_b32_e32 v87, v90, v84, vcc_lo
; %bb.40:
	s_or_b32 exec_lo, exec_lo, s3
	v_and_b32_e32 v84, 0x7f800000, v80
	s_delay_alu instid0(VALU_DEP_1) | instskip(SKIP_1) | instid1(SALU_CYCLE_1)
	v_cmp_ne_u32_e32 vcc_lo, 0x7f800000, v84
                                        ; implicit-def: $vgpr84
	s_and_saveexec_b32 s3, vcc_lo
	s_xor_b32 s3, exec_lo, s3
; %bb.41:
	v_bfe_u32 v84, v80, 16, 1
	s_delay_alu instid0(VALU_DEP_1)
	v_add3_u32 v84, v80, v84, 0x7fff
                                        ; implicit-def: $vgpr80
; %bb.42:
	s_and_not1_saveexec_b32 s3, s3
; %bb.43:
	v_and_b32_e32 v84, 0xffff, v80
	v_or_b32_e32 v90, 0x10000, v80
	s_delay_alu instid0(VALU_DEP_2) | instskip(NEXT) | instid1(VALU_DEP_2)
	v_cmp_eq_u32_e32 vcc_lo, 0, v84
	v_cndmask_b32_e32 v84, v90, v80, vcc_lo
; %bb.44:
	s_or_b32 exec_lo, exec_lo, s3
	s_load_b64 s[34:35], s[0:1], 0x94
	v_lshlrev_b32_e32 v91, 4, v75
	s_delay_alu instid0(VALU_DEP_2)
	v_perm_b32 v90, v84, v87, 0x7060302
	v_dual_mul_f32 v77, v82, v77 :: v_dual_lshlrev_b32 v80, 6, v66
	v_lshlrev_b32_e32 v66, 11, v65
	v_perm_b32 v87, v83, v76, 0x7060302
	v_mul_f32_e32 v83, v82, v70
	v_perm_b32 v89, v88, v89, 0x7060302
	v_perm_b32 v88, v86, v85, 0x7060302
	v_or3_b32 v76, v91, v66, v80
	v_mul_f32_e32 v66, v82, v81
	v_mul_f32_e32 v70, v82, v79
	;; [unrolled: 1-line block ×3, first 2 shown]
	v_dual_mul_f32 v81, v82, v72 :: v_dual_and_b32 v84, 0x7f800000, v83
	v_mul_f32_e32 v79, v82, v71
	v_mul_f32_e32 v72, v82, v69
	s_mov_b32 s3, exec_lo
	ds_store_b128 v76, v[87:90]
                                        ; implicit-def: $vgpr69
	v_cmpx_ne_u32_e32 0x7f800000, v84
	s_xor_b32 s3, exec_lo, s3
; %bb.45:
	v_bfe_u32 v69, v83, 16, 1
	s_delay_alu instid0(VALU_DEP_1)
	v_add3_u32 v69, v83, v69, 0x7fff
                                        ; implicit-def: $vgpr83
; %bb.46:
	s_and_not1_saveexec_b32 s3, s3
; %bb.47:
	v_and_b32_e32 v69, 0xffff, v83
	v_or_b32_e32 v71, 0x10000, v83
	s_delay_alu instid0(VALU_DEP_2) | instskip(NEXT) | instid1(VALU_DEP_2)
	v_cmp_eq_u32_e32 vcc_lo, 0, v69
	v_cndmask_b32_e32 v69, v71, v83, vcc_lo
; %bb.48:
	s_or_b32 exec_lo, exec_lo, s3
	v_and_b32_e32 v71, 0x7f800000, v72
	s_delay_alu instid0(VALU_DEP_1) | instskip(SKIP_1) | instid1(SALU_CYCLE_1)
	v_cmp_ne_u32_e32 vcc_lo, 0x7f800000, v71
                                        ; implicit-def: $vgpr71
	s_and_saveexec_b32 s3, vcc_lo
	s_xor_b32 s3, exec_lo, s3
; %bb.49:
	v_bfe_u32 v71, v72, 16, 1
	s_delay_alu instid0(VALU_DEP_1)
	v_add3_u32 v71, v72, v71, 0x7fff
                                        ; implicit-def: $vgpr72
; %bb.50:
	s_and_not1_saveexec_b32 s3, s3
; %bb.51:
	v_and_b32_e32 v71, 0xffff, v72
	v_or_b32_e32 v82, 0x10000, v72
	s_delay_alu instid0(VALU_DEP_2) | instskip(NEXT) | instid1(VALU_DEP_2)
	v_cmp_eq_u32_e32 vcc_lo, 0, v71
	v_cndmask_b32_e32 v71, v82, v72, vcc_lo
; %bb.52:
	s_or_b32 exec_lo, exec_lo, s3
	v_and_b32_e32 v72, 0x7f800000, v79
	s_delay_alu instid0(VALU_DEP_1) | instskip(SKIP_1) | instid1(SALU_CYCLE_1)
	v_cmp_ne_u32_e32 vcc_lo, 0x7f800000, v72
                                        ; implicit-def: $vgpr72
	s_and_saveexec_b32 s3, vcc_lo
	s_xor_b32 s3, exec_lo, s3
; %bb.53:
	v_bfe_u32 v72, v79, 16, 1
	s_delay_alu instid0(VALU_DEP_1)
	v_add3_u32 v72, v79, v72, 0x7fff
                                        ; implicit-def: $vgpr79
; %bb.54:
	s_and_not1_saveexec_b32 s3, s3
; %bb.55:
	v_and_b32_e32 v72, 0xffff, v79
	v_or_b32_e32 v82, 0x10000, v79
	s_delay_alu instid0(VALU_DEP_2) | instskip(NEXT) | instid1(VALU_DEP_2)
	v_cmp_eq_u32_e32 vcc_lo, 0, v72
	v_cndmask_b32_e32 v72, v82, v79, vcc_lo
; %bb.56:
	s_or_b32 exec_lo, exec_lo, s3
	v_and_b32_e32 v79, 0x7f800000, v81
	s_delay_alu instid0(VALU_DEP_1) | instskip(SKIP_1) | instid1(SALU_CYCLE_1)
	v_cmp_ne_u32_e32 vcc_lo, 0x7f800000, v79
                                        ; implicit-def: $vgpr79
	s_and_saveexec_b32 s3, vcc_lo
	s_xor_b32 s3, exec_lo, s3
; %bb.57:
	v_bfe_u32 v79, v81, 16, 1
	s_delay_alu instid0(VALU_DEP_1)
	v_add3_u32 v79, v81, v79, 0x7fff
                                        ; implicit-def: $vgpr81
; %bb.58:
	s_and_not1_saveexec_b32 s3, s3
; %bb.59:
	v_and_b32_e32 v79, 0xffff, v81
	v_or_b32_e32 v82, 0x10000, v81
	s_delay_alu instid0(VALU_DEP_2) | instskip(NEXT) | instid1(VALU_DEP_2)
	v_cmp_eq_u32_e32 vcc_lo, 0, v79
	v_cndmask_b32_e32 v79, v82, v81, vcc_lo
; %bb.60:
	s_or_b32 exec_lo, exec_lo, s3
	v_and_b32_e32 v81, 0x7f800000, v77
	s_delay_alu instid0(VALU_DEP_1) | instskip(SKIP_1) | instid1(SALU_CYCLE_1)
	v_cmp_ne_u32_e32 vcc_lo, 0x7f800000, v81
                                        ; implicit-def: $vgpr81
	s_and_saveexec_b32 s3, vcc_lo
	s_xor_b32 s3, exec_lo, s3
; %bb.61:
	v_bfe_u32 v81, v77, 16, 1
	s_delay_alu instid0(VALU_DEP_1)
	v_add3_u32 v81, v77, v81, 0x7fff
                                        ; implicit-def: $vgpr77
; %bb.62:
	s_and_not1_saveexec_b32 s3, s3
; %bb.63:
	v_and_b32_e32 v81, 0xffff, v77
	v_or_b32_e32 v82, 0x10000, v77
	s_delay_alu instid0(VALU_DEP_2) | instskip(NEXT) | instid1(VALU_DEP_2)
	v_cmp_eq_u32_e32 vcc_lo, 0, v81
	v_cndmask_b32_e32 v81, v82, v77, vcc_lo
; %bb.64:
	s_or_b32 exec_lo, exec_lo, s3
	v_and_b32_e32 v77, 0x7f800000, v78
	s_delay_alu instid0(VALU_DEP_1) | instskip(SKIP_1) | instid1(SALU_CYCLE_1)
	v_cmp_ne_u32_e32 vcc_lo, 0x7f800000, v77
                                        ; implicit-def: $vgpr77
	s_and_saveexec_b32 s3, vcc_lo
	s_xor_b32 s3, exec_lo, s3
; %bb.65:
	v_bfe_u32 v77, v78, 16, 1
	s_delay_alu instid0(VALU_DEP_1)
	v_add3_u32 v77, v78, v77, 0x7fff
                                        ; implicit-def: $vgpr78
; %bb.66:
	s_and_not1_saveexec_b32 s3, s3
; %bb.67:
	v_and_b32_e32 v77, 0xffff, v78
	v_or_b32_e32 v82, 0x10000, v78
	s_delay_alu instid0(VALU_DEP_2) | instskip(NEXT) | instid1(VALU_DEP_2)
	v_cmp_eq_u32_e32 vcc_lo, 0, v77
	v_cndmask_b32_e32 v77, v82, v78, vcc_lo
; %bb.68:
	s_or_b32 exec_lo, exec_lo, s3
	v_and_b32_e32 v78, 0x7f800000, v70
	s_delay_alu instid0(VALU_DEP_1) | instskip(SKIP_1) | instid1(SALU_CYCLE_1)
	v_cmp_ne_u32_e32 vcc_lo, 0x7f800000, v78
                                        ; implicit-def: $vgpr78
	s_and_saveexec_b32 s3, vcc_lo
	s_xor_b32 s3, exec_lo, s3
; %bb.69:
	v_bfe_u32 v78, v70, 16, 1
	s_delay_alu instid0(VALU_DEP_1)
	v_add3_u32 v78, v70, v78, 0x7fff
                                        ; implicit-def: $vgpr70
; %bb.70:
	s_and_not1_saveexec_b32 s3, s3
; %bb.71:
	v_and_b32_e32 v78, 0xffff, v70
	v_or_b32_e32 v82, 0x10000, v70
	s_delay_alu instid0(VALU_DEP_2) | instskip(NEXT) | instid1(VALU_DEP_2)
	v_cmp_eq_u32_e32 vcc_lo, 0, v78
	v_cndmask_b32_e32 v78, v82, v70, vcc_lo
; %bb.72:
	s_or_b32 exec_lo, exec_lo, s3
	v_and_b32_e32 v70, 0x7f800000, v66
	s_delay_alu instid0(VALU_DEP_1) | instskip(SKIP_1) | instid1(SALU_CYCLE_1)
	v_cmp_ne_u32_e32 vcc_lo, 0x7f800000, v70
                                        ; implicit-def: $vgpr70
	s_and_saveexec_b32 s3, vcc_lo
	s_xor_b32 s3, exec_lo, s3
; %bb.73:
	v_bfe_u32 v70, v66, 16, 1
	s_delay_alu instid0(VALU_DEP_1)
	v_add3_u32 v70, v66, v70, 0x7fff
                                        ; implicit-def: $vgpr66
; %bb.74:
	s_and_not1_saveexec_b32 s3, s3
; %bb.75:
	v_and_b32_e32 v70, 0xffff, v66
	v_or_b32_e32 v82, 0x10000, v66
	s_delay_alu instid0(VALU_DEP_2) | instskip(NEXT) | instid1(VALU_DEP_2)
	v_cmp_eq_u32_e32 vcc_lo, 0, v70
	v_cndmask_b32_e32 v70, v82, v66, vcc_lo
; %bb.76:
	s_or_b32 exec_lo, exec_lo, s3
	s_delay_alu instid0(VALU_DEP_1)
	v_perm_b32 v86, v70, v78, 0x7060302
	v_perm_b32 v85, v77, v81, 0x7060302
	;; [unrolled: 1-line block ×4, first 2 shown]
	v_lshl_or_b32 v82, v65, 11, v80
	ds_store_b128 v76, v[83:86] offset:1024
	s_waitcnt lgkmcnt(0)
	s_barrier
	buffer_gl0_inv
	ds_load_b128 v[69:72], v82
	ds_load_b128 v[83:86], v82 offset:16
	s_waitcnt lgkmcnt(1)
	v_lshrrev_b32_e32 v65, 16, v69
	v_lshlrev_b32_e32 v78, 2, v75
	s_waitcnt lgkmcnt(0)
	v_lshrrev_b32_e32 v91, 16, v83
	v_lshrrev_b32_e32 v66, 16, v70
	;; [unrolled: 1-line block ×4, first 2 shown]
	v_cmp_eq_u32_e32 vcc_lo, 1, v78
	v_lshrrev_b32_e32 v98, 16, v85
	v_lshrrev_b32_e32 v96, 16, v72
	;; [unrolled: 1-line block ×3, first 2 shown]
	v_cndmask_b32_e32 v81, v69, v65, vcc_lo
	v_or_b32_e32 v79, 1, v78
	v_cmp_eq_u32_e64 s4, 2, v78
	v_cndmask_b32_e32 v87, v83, v91, vcc_lo
	v_cmp_eq_u32_e64 s7, 3, v78
	v_cmp_eq_u32_e64 s9, 4, v78
	;; [unrolled: 1-line block ×3, first 2 shown]
	v_cndmask_b32_e64 v81, v81, v70, s4
	v_cmp_eq_u32_e64 s6, 2, v79
	v_cndmask_b32_e64 v87, v87, v84, s4
	v_cmp_eq_u32_e64 s8, 3, v79
	v_cndmask_b32_e64 v88, v69, v65, s3
	v_cndmask_b32_e64 v81, v81, v66, s7
	v_or_b32_e32 v77, 2, v78
	v_cndmask_b32_e64 v87, v87, v97, s7
	v_cndmask_b32_e64 v89, v83, v91, s3
	;; [unrolled: 1-line block ×4, first 2 shown]
	v_cmp_eq_u32_e64 s10, 5, v78
	v_cndmask_b32_e64 v87, v87, v85, s9
	v_cmp_eq_u32_e64 s11, 4, v79
	v_cndmask_b32_e64 v88, v88, v66, s8
	;; [unrolled: 2-line block ×3, first 2 shown]
	v_cndmask_b32_e64 v81, v81, v95, s10
	v_cmp_eq_u32_e64 s12, 6, v78
	v_cndmask_b32_e64 v88, v88, v71, s11
	v_cndmask_b32_e64 v87, v87, v98, s10
	v_cmp_eq_u32_e64 s13, 5, v79
	v_cndmask_b32_e64 v90, v69, v65, s5
	v_cndmask_b32_e64 v89, v89, v97, s8
	;; [unrolled: 1-line block ×3, first 2 shown]
	v_cmp_eq_u32_e64 s15, 7, v78
	v_cndmask_b32_e64 v88, v88, v95, s13
	v_cndmask_b32_e64 v87, v87, v86, s12
	v_cmp_eq_u32_e64 s16, 6, v79
	v_cmp_eq_u32_e64 s17, 2, v77
	v_cndmask_b32_e64 v89, v89, v85, s11
	v_cndmask_b32_e64 v100, v81, v96, s15
	;; [unrolled: 1-line block ×6, first 2 shown]
	v_cmp_eq_u32_e64 s18, 7, v79
	v_cmp_eq_u32_e64 s19, 3, v77
	;; [unrolled: 1-line block ×4, first 2 shown]
	v_cndmask_b32_e64 v87, v87, v84, s17
	v_cndmask_b32_e64 v102, v88, v96, s18
	;; [unrolled: 1-line block ×4, first 2 shown]
	v_or_b32_e32 v81, 3, v78
	v_cndmask_b32_e64 v93, v87, v97, s19
	v_cmp_eq_u32_e64 s24, 6, v77
	v_cndmask_b32_e64 v103, v88, v86, s16
	v_cndmask_b32_e64 v92, v89, v71, s20
	v_cmp_eq_u32_e64 s21, 1, v81
	ds_load_b128 v[87:90], v82 offset:1024
	v_cmp_eq_u32_e64 s23, 2, v81
	v_cmp_eq_u32_e64 s25, 3, v81
	v_cndmask_b32_e64 v104, v92, v95, s22
	v_cndmask_b32_e64 v65, v69, v65, s21
	;; [unrolled: 1-line block ×4, first 2 shown]
	ds_load_b128 v[91:94], v82 offset:1040
	v_cmp_eq_u32_e64 s26, 4, v81
	v_cndmask_b32_e64 v65, v65, v70, s23
	v_cmp_eq_u32_e64 s28, 5, v81
	v_cndmask_b32_e64 v70, v83, v84, s23
	;; [unrolled: 2-line block ×3, first 2 shown]
	v_cndmask_b32_e64 v65, v65, v66, s25
	v_cndmask_b32_e64 v66, v104, v72, s24
	;; [unrolled: 1-line block ×3, first 2 shown]
	v_cmp_eq_u32_e64 s27, 7, v77
	v_cndmask_b32_e64 v69, v69, v86, s24
	v_cndmask_b32_e64 v65, v65, v71, s26
	s_waitcnt lgkmcnt(1)
	v_lshrrev_b32_e32 v84, 16, v87
	v_cndmask_b32_e64 v70, v70, v85, s26
	v_cndmask_b32_e64 v83, v103, v99, s18
	v_cndmask_b32_e64 v66, v66, v96, s27
	v_cndmask_b32_e64 v65, v65, v95, s28
	v_lshrrev_b32_e32 v95, 16, v88
	v_cndmask_b32_e64 v70, v70, v98, s28
	s_waitcnt lgkmcnt(0)
	v_lshrrev_b32_e32 v85, 16, v91
	v_cndmask_b32_e64 v97, v87, v84, s3
	v_cndmask_b32_e64 v65, v65, v72, s29
	;; [unrolled: 1-line block ×4, first 2 shown]
	v_cndmask_b32_e32 v71, v87, v84, vcc_lo
	v_cndmask_b32_e32 v98, v91, v85, vcc_lo
	v_cmp_eq_u32_e32 vcc_lo, 7, v81
	v_cndmask_b32_e64 v72, v97, v88, s6
	v_lshrrev_b32_e32 v97, 16, v92
	v_lshrrev_b32_e32 v103, 16, v90
	v_dual_cndmask_b32 v65, v65, v96 :: v_dual_cndmask_b32 v70, v70, v99
	v_cndmask_b32_e64 v71, v71, v88, s4
	v_cndmask_b32_e64 v86, v98, v92, s4
	;; [unrolled: 1-line block ×3, first 2 shown]
	v_lshrrev_b32_e32 v98, 16, v89
	v_lshrrev_b32_e32 v99, 16, v93
	v_cndmask_b32_e64 v71, v71, v95, s7
	v_cndmask_b32_e64 v86, v86, v97, s7
	;; [unrolled: 1-line block ×3, first 2 shown]
	v_perm_b32 v72, v70, v65, 0x5040100
	v_perm_b32 v70, v83, v102, 0x5040100
	v_cndmask_b32_e64 v71, v71, v89, s9
	v_cndmask_b32_e64 v86, v86, v93, s9
	;; [unrolled: 1-line block ×3, first 2 shown]
	v_lshrrev_b32_e32 v83, 16, v94
	s_delay_alu instid0(VALU_DEP_4) | instskip(NEXT) | instid1(VALU_DEP_4)
	v_cndmask_b32_e64 v71, v71, v98, s10
	v_cndmask_b32_e64 v86, v86, v99, s10
	s_delay_alu instid0(VALU_DEP_4) | instskip(NEXT) | instid1(VALU_DEP_3)
	v_cndmask_b32_e64 v65, v65, v90, s16
	v_cndmask_b32_e64 v96, v71, v90, s12
	v_perm_b32 v71, v69, v66, 0x5040100
	s_delay_alu instid0(VALU_DEP_4)
	v_cndmask_b32_e64 v69, v86, v94, s12
	v_cndmask_b32_e64 v86, v87, v84, s5
	;; [unrolled: 1-line block ×34, first 2 shown]
	v_cndmask_b32_e32 v84, v84, v103, vcc_lo
	v_cndmask_b32_e32 v86, v87, v83, vcc_lo
	v_cndmask_b32_e64 v87, v88, v83, s27
	v_cndmask_b32_e64 v88, v85, v83, s18
	;; [unrolled: 1-line block ×3, first 2 shown]
	v_perm_b32 v69, v101, v100, 0x5040100
	v_perm_b32 v86, v86, v84, 0x5040100
	;; [unrolled: 1-line block ×5, first 2 shown]
	s_lshl_b32 s8, s35, 2
	s_mov_b32 s3, exec_lo
	ds_store_b128 v76, v[69:72]
	ds_store_b128 v76, v[83:86] offset:1024
	v_cmpx_gt_u32_e32 4, v0
	s_cbranch_execz .LBB1365_78
; %bb.77:
	v_or_b32_e32 v65, s31, v0
	s_load_b128 s[4:7], s[0:1], 0x58
	s_delay_alu instid0(VALU_DEP_1) | instskip(NEXT) | instid1(VALU_DEP_1)
	v_mad_u64_u32 v[69:70], null, s8, s30, v[65:66]
	v_mad_u64_u32 v[65:66], null, v69, s34, s[14:15]
	s_delay_alu instid0(VALU_DEP_1) | instskip(NEXT) | instid1(VALU_DEP_1)
	v_ashrrev_i32_e32 v66, 31, v65
	v_lshlrev_b64 v[65:66], 2, v[65:66]
	s_waitcnt lgkmcnt(0)
	s_delay_alu instid0(VALU_DEP_1) | instskip(NEXT) | instid1(VALU_DEP_2)
	v_add_co_u32 v69, vcc_lo, s6, v65
	v_add_co_ci_u32_e32 v70, vcc_lo, s7, v66, vcc_lo
	v_add_co_u32 v65, vcc_lo, s4, v65
	v_add_co_ci_u32_e32 v66, vcc_lo, s5, v66, vcc_lo
	global_store_b32 v[69:70], v67, off
	global_store_b32 v[65:66], v68, off
.LBB1365_78:
	s_or_b32 exec_lo, exec_lo, s3
	s_waitcnt lgkmcnt(0)
	s_waitcnt_vscnt null, 0x0
	s_barrier
	buffer_gl0_inv
	ds_load_b128 v[83:86], v80
	ds_load_b128 v[87:90], v80 offset:16
	ds_load_b128 v[95:98], v80 offset:2064
	;; [unrolled: 1-line block ×3, first 2 shown]
	v_mov_b32_e32 v65, 0
	ds_load_b128 v[103:106], v80 offset:4112
	ds_load_b128 v[99:102], v80 offset:4096
	;; [unrolled: 1-line block ×4, first 2 shown]
	v_mov_b32_e32 v66, v65
	v_mov_b32_e32 v67, v65
	;; [unrolled: 1-line block ×7, first 2 shown]
	s_waitcnt lgkmcnt(6)
	s_delay_alu instid0(VALU_DEP_1)
	v_wmma_f32_16x16x16_bf16 v[65:72], v[57:64], v[83:90], v[65:72]
	ds_load_b128 v[61:64], v80 offset:8208
	ds_load_b128 v[57:60], v80 offset:8192
	s_waitcnt lgkmcnt(6)
	v_wmma_f32_16x16x16_bf16 v[65:72], v[41:48], v[91:98], v[65:72]
	ds_load_b128 v[45:48], v80 offset:10256
	ds_load_b128 v[41:44], v80 offset:10240
	s_waitcnt lgkmcnt(6)
	;; [unrolled: 4-line block ×4, first 2 shown]
	v_wmma_f32_16x16x16_bf16 v[65:72], v[1:8], v[57:64], v[65:72]
	s_waitcnt lgkmcnt(4)
	s_delay_alu instid0(VALU_DEP_1) | instskip(SKIP_1) | instid1(VALU_DEP_1)
	v_wmma_f32_16x16x16_bf16 v[65:72], v[9:16], v[41:48], v[65:72]
	s_waitcnt lgkmcnt(2)
	v_wmma_f32_16x16x16_bf16 v[65:72], v[17:24], v[33:40], v[65:72]
	s_waitcnt lgkmcnt(0)
	s_delay_alu instid0(VALU_DEP_1) | instskip(NEXT) | instid1(VALU_DEP_1)
	v_wmma_f32_16x16x16_bf16 v[65:72], v[49:56], v[25:32], v[65:72]
	v_and_b32_e32 v1, 0x7f800000, v65
	s_delay_alu instid0(VALU_DEP_1) | instskip(SKIP_1) | instid1(SALU_CYCLE_1)
	v_cmp_ne_u32_e32 vcc_lo, 0x7f800000, v1
                                        ; implicit-def: $vgpr1
	s_and_saveexec_b32 s3, vcc_lo
	s_xor_b32 s3, exec_lo, s3
; %bb.79:
	v_bfe_u32 v1, v65, 16, 1
	s_delay_alu instid0(VALU_DEP_1)
	v_add3_u32 v1, v65, v1, 0x7fff
; %bb.80:
	s_and_not1_saveexec_b32 s3, s3
; %bb.81:
	v_and_b32_e32 v1, 0xffff, v65
	v_or_b32_e32 v2, 0x10000, v65
	s_delay_alu instid0(VALU_DEP_2) | instskip(NEXT) | instid1(VALU_DEP_2)
	v_cmp_eq_u32_e32 vcc_lo, 0, v1
	v_cndmask_b32_e32 v1, v2, v65, vcc_lo
; %bb.82:
	s_or_b32 exec_lo, exec_lo, s3
	v_and_b32_e32 v2, 0x7f800000, v66
	s_delay_alu instid0(VALU_DEP_1) | instskip(SKIP_1) | instid1(SALU_CYCLE_1)
	v_cmp_ne_u32_e32 vcc_lo, 0x7f800000, v2
                                        ; implicit-def: $vgpr2
	s_and_saveexec_b32 s3, vcc_lo
	s_xor_b32 s3, exec_lo, s3
; %bb.83:
	v_bfe_u32 v2, v66, 16, 1
	s_delay_alu instid0(VALU_DEP_1)
	v_add3_u32 v2, v66, v2, 0x7fff
; %bb.84:
	s_and_not1_saveexec_b32 s3, s3
; %bb.85:
	v_and_b32_e32 v2, 0xffff, v66
	v_or_b32_e32 v3, 0x10000, v66
	s_delay_alu instid0(VALU_DEP_2) | instskip(NEXT) | instid1(VALU_DEP_2)
	v_cmp_eq_u32_e32 vcc_lo, 0, v2
	v_cndmask_b32_e32 v2, v3, v66, vcc_lo
; %bb.86:
	s_or_b32 exec_lo, exec_lo, s3
	v_and_b32_e32 v3, 0x7f800000, v67
	s_delay_alu instid0(VALU_DEP_1) | instskip(SKIP_1) | instid1(SALU_CYCLE_1)
	v_cmp_ne_u32_e32 vcc_lo, 0x7f800000, v3
                                        ; implicit-def: $vgpr3
	s_and_saveexec_b32 s3, vcc_lo
	s_xor_b32 s3, exec_lo, s3
; %bb.87:
	v_bfe_u32 v3, v67, 16, 1
	s_delay_alu instid0(VALU_DEP_1)
	v_add3_u32 v3, v67, v3, 0x7fff
; %bb.88:
	s_and_not1_saveexec_b32 s3, s3
; %bb.89:
	v_and_b32_e32 v3, 0xffff, v67
	v_or_b32_e32 v4, 0x10000, v67
	s_delay_alu instid0(VALU_DEP_2) | instskip(NEXT) | instid1(VALU_DEP_2)
	v_cmp_eq_u32_e32 vcc_lo, 0, v3
	v_cndmask_b32_e32 v3, v4, v67, vcc_lo
; %bb.90:
	s_or_b32 exec_lo, exec_lo, s3
	v_and_b32_e32 v4, 0x7f800000, v68
	s_delay_alu instid0(VALU_DEP_1) | instskip(SKIP_1) | instid1(SALU_CYCLE_1)
	v_cmp_ne_u32_e32 vcc_lo, 0x7f800000, v4
                                        ; implicit-def: $vgpr4
	s_and_saveexec_b32 s3, vcc_lo
	s_xor_b32 s3, exec_lo, s3
; %bb.91:
	v_bfe_u32 v4, v68, 16, 1
	s_delay_alu instid0(VALU_DEP_1)
	v_add3_u32 v4, v68, v4, 0x7fff
; %bb.92:
	s_and_not1_saveexec_b32 s3, s3
; %bb.93:
	v_and_b32_e32 v4, 0xffff, v68
	v_or_b32_e32 v5, 0x10000, v68
	s_delay_alu instid0(VALU_DEP_2) | instskip(NEXT) | instid1(VALU_DEP_2)
	v_cmp_eq_u32_e32 vcc_lo, 0, v4
	v_cndmask_b32_e32 v4, v5, v68, vcc_lo
; %bb.94:
	s_or_b32 exec_lo, exec_lo, s3
	v_and_b32_e32 v5, 0x7f800000, v69
	s_delay_alu instid0(VALU_DEP_1) | instskip(SKIP_1) | instid1(SALU_CYCLE_1)
	v_cmp_ne_u32_e32 vcc_lo, 0x7f800000, v5
                                        ; implicit-def: $vgpr5
	s_and_saveexec_b32 s3, vcc_lo
	s_xor_b32 s3, exec_lo, s3
; %bb.95:
	v_bfe_u32 v5, v69, 16, 1
	s_delay_alu instid0(VALU_DEP_1)
	v_add3_u32 v5, v69, v5, 0x7fff
; %bb.96:
	s_and_not1_saveexec_b32 s3, s3
; %bb.97:
	v_and_b32_e32 v5, 0xffff, v69
	v_or_b32_e32 v6, 0x10000, v69
	s_delay_alu instid0(VALU_DEP_2) | instskip(NEXT) | instid1(VALU_DEP_2)
	v_cmp_eq_u32_e32 vcc_lo, 0, v5
	v_cndmask_b32_e32 v5, v6, v69, vcc_lo
; %bb.98:
	s_or_b32 exec_lo, exec_lo, s3
	v_and_b32_e32 v6, 0x7f800000, v70
	s_delay_alu instid0(VALU_DEP_1) | instskip(SKIP_1) | instid1(SALU_CYCLE_1)
	v_cmp_ne_u32_e32 vcc_lo, 0x7f800000, v6
                                        ; implicit-def: $vgpr6
	s_and_saveexec_b32 s3, vcc_lo
	s_xor_b32 s3, exec_lo, s3
; %bb.99:
	v_bfe_u32 v6, v70, 16, 1
	s_delay_alu instid0(VALU_DEP_1)
	v_add3_u32 v6, v70, v6, 0x7fff
; %bb.100:
	s_and_not1_saveexec_b32 s3, s3
; %bb.101:
	v_and_b32_e32 v6, 0xffff, v70
	v_or_b32_e32 v7, 0x10000, v70
	s_delay_alu instid0(VALU_DEP_2) | instskip(NEXT) | instid1(VALU_DEP_2)
	v_cmp_eq_u32_e32 vcc_lo, 0, v6
	v_cndmask_b32_e32 v6, v7, v70, vcc_lo
; %bb.102:
	s_or_b32 exec_lo, exec_lo, s3
	v_and_b32_e32 v7, 0x7f800000, v71
	s_delay_alu instid0(VALU_DEP_1) | instskip(SKIP_1) | instid1(SALU_CYCLE_1)
	v_cmp_ne_u32_e32 vcc_lo, 0x7f800000, v7
                                        ; implicit-def: $vgpr7
	s_and_saveexec_b32 s3, vcc_lo
	s_xor_b32 s3, exec_lo, s3
; %bb.103:
	v_bfe_u32 v7, v71, 16, 1
	s_delay_alu instid0(VALU_DEP_1)
	v_add3_u32 v7, v71, v7, 0x7fff
; %bb.104:
	s_and_not1_saveexec_b32 s3, s3
; %bb.105:
	v_and_b32_e32 v7, 0xffff, v71
	v_or_b32_e32 v8, 0x10000, v71
	s_delay_alu instid0(VALU_DEP_2) | instskip(NEXT) | instid1(VALU_DEP_2)
	v_cmp_eq_u32_e32 vcc_lo, 0, v7
	v_cndmask_b32_e32 v7, v8, v71, vcc_lo
; %bb.106:
	s_or_b32 exec_lo, exec_lo, s3
	v_and_b32_e32 v8, 0x7f800000, v72
	s_delay_alu instid0(VALU_DEP_1) | instskip(SKIP_1) | instid1(SALU_CYCLE_1)
	v_cmp_ne_u32_e32 vcc_lo, 0x7f800000, v8
                                        ; implicit-def: $vgpr8
	s_and_saveexec_b32 s3, vcc_lo
	s_xor_b32 s3, exec_lo, s3
; %bb.107:
	v_bfe_u32 v8, v72, 16, 1
	s_delay_alu instid0(VALU_DEP_1)
	v_add3_u32 v8, v72, v8, 0x7fff
                                        ; implicit-def: $vgpr65_vgpr66_vgpr67_vgpr68_vgpr69_vgpr70_vgpr71_vgpr72
; %bb.108:
	s_and_not1_saveexec_b32 s3, s3
; %bb.109:
	v_and_b32_e32 v8, 0xffff, v72
	v_or_b32_e32 v9, 0x10000, v72
	s_delay_alu instid0(VALU_DEP_2) | instskip(NEXT) | instid1(VALU_DEP_2)
	v_cmp_eq_u32_e32 vcc_lo, 0, v8
	v_cndmask_b32_e32 v8, v9, v72, vcc_lo
; %bb.110:
	s_or_b32 exec_lo, exec_lo, s3
	s_delay_alu instid0(VALU_DEP_1)
	v_perm_b32 v7, v8, v7, 0x7060302
	v_perm_b32 v6, v6, v5, 0x7060302
	;; [unrolled: 1-line block ×4, first 2 shown]
	s_barrier
	buffer_gl0_inv
	v_cmp_eq_u32_e32 vcc_lo, 1, v78
	ds_store_b128 v76, v[4:7]
	s_waitcnt lgkmcnt(0)
	s_barrier
	buffer_gl0_inv
	ds_load_b128 v[1:4], v82
	ds_load_b128 v[5:8], v82 offset:16
	v_cmp_eq_u32_e64 s3, 1, v79
	v_cmp_eq_u32_e64 s4, 2, v78
	;; [unrolled: 1-line block ×5, first 2 shown]
	s_waitcnt lgkmcnt(1)
	v_lshrrev_b32_e32 v9, 16, v1
	s_waitcnt lgkmcnt(0)
	v_lshrrev_b32_e32 v13, 16, v5
	v_lshrrev_b32_e32 v10, 16, v2
	;; [unrolled: 1-line block ×4, first 2 shown]
	v_cndmask_b32_e64 v19, v1, v9, s3
	v_cndmask_b32_e32 v18, v5, v13, vcc_lo
	v_cndmask_b32_e64 v20, v5, v13, s3
	v_cndmask_b32_e32 v17, v1, v9, vcc_lo
	v_cmp_eq_u32_e32 vcc_lo, 2, v79
	v_lshrrev_b32_e32 v15, 16, v7
	v_cmp_eq_u32_e64 s3, 1, v77
	v_lshrrev_b32_e32 v12, 16, v4
	v_lshrrev_b32_e32 v16, 16, v8
	v_cndmask_b32_e32 v20, v20, v6, vcc_lo
	v_cndmask_b32_e64 v17, v17, v2, s4
	v_cndmask_b32_e32 v19, v19, v2, vcc_lo
	v_cndmask_b32_e64 v18, v18, v6, s4
	v_cmp_eq_u32_e32 vcc_lo, 4, v78
	v_cmp_eq_u32_e64 s4, 3, v79
	v_cndmask_b32_e64 v17, v17, v10, s5
	v_cndmask_b32_e64 v21, v1, v9, s3
	v_cndmask_b32_e64 v18, v18, v14, s5
	v_cndmask_b32_e64 v22, v5, v13, s3
	v_cndmask_b32_e64 v19, v19, v10, s4
	v_cndmask_b32_e32 v17, v17, v3, vcc_lo
	v_cndmask_b32_e64 v20, v20, v14, s4
	v_cndmask_b32_e32 v18, v18, v7, vcc_lo
	v_cmp_eq_u32_e32 vcc_lo, 4, v79
	v_cmp_eq_u32_e64 s4, 5, v79
	v_cmp_eq_u32_e64 s3, 2, v81
	v_cndmask_b32_e64 v21, v21, v2, s7
	v_cmp_eq_u32_e64 s5, 5, v78
	v_cndmask_b32_e32 v19, v19, v3, vcc_lo
	v_cndmask_b32_e32 v20, v20, v7, vcc_lo
	v_cmp_eq_u32_e32 vcc_lo, 6, v79
	s_delay_alu instid0(VALU_DEP_4) | instskip(NEXT) | instid1(VALU_DEP_4)
	v_cndmask_b32_e64 v17, v17, v11, s5
	v_cndmask_b32_e64 v19, v19, v11, s4
	s_delay_alu instid0(VALU_DEP_4) | instskip(SKIP_1) | instid1(VALU_DEP_3)
	v_cndmask_b32_e64 v20, v20, v15, s4
	v_cmp_eq_u32_e64 s4, 1, v81
	v_cndmask_b32_e32 v19, v19, v4, vcc_lo
	v_cndmask_b32_e64 v18, v18, v15, s5
	s_delay_alu instid0(VALU_DEP_3)
	v_cndmask_b32_e64 v1, v1, v9, s4
	v_cndmask_b32_e64 v5, v5, v13, s4
	v_cmp_eq_u32_e64 s4, 3, v77
	v_cndmask_b32_e64 v13, v22, v6, s7
	v_cmp_eq_u32_e64 s7, 3, v81
	v_cndmask_b32_e64 v1, v1, v2, s3
	v_cndmask_b32_e64 v2, v5, v6, s3
	v_cndmask_b32_e64 v9, v21, v10, s4
	v_cmp_eq_u32_e64 s3, 4, v77
	v_cndmask_b32_e64 v6, v13, v14, s4
	v_cndmask_b32_e64 v1, v1, v10, s7
	v_cmp_eq_u32_e64 s4, 4, v81
	v_cndmask_b32_e64 v2, v2, v14, s7
	v_cndmask_b32_e64 v5, v9, v3, s3
	;; [unrolled: 3-line block ×3, first 2 shown]
	v_cndmask_b32_e64 v2, v2, v7, s4
	v_cmp_eq_u32_e64 s3, 5, v81
	v_cmp_eq_u32_e64 s5, 6, v78
	v_cndmask_b32_e64 v5, v5, v11, s7
	v_cmp_eq_u32_e64 s4, 6, v77
	v_cndmask_b32_e64 v3, v6, v15, s7
	v_cndmask_b32_e64 v1, v1, v11, s3
	v_cmp_eq_u32_e64 s7, 6, v81
	v_cndmask_b32_e64 v2, v2, v15, s3
	v_cndmask_b32_e64 v17, v17, v4, s5
	v_cndmask_b32_e64 v18, v18, v8, s5
	v_cmp_eq_u32_e64 s5, 7, v78
	v_cndmask_b32_e64 v5, v5, v4, s4
	;; [unrolled: 4-line block ×3, first 2 shown]
	v_cmp_eq_u32_e64 s4, 7, v77
	v_cndmask_b32_e32 v4, v20, v8, vcc_lo
	v_cndmask_b32_e64 v17, v17, v12, s5
	v_cndmask_b32_e64 v19, v19, v12, s6
	;; [unrolled: 1-line block ×8, first 2 shown]
	v_cmp_gt_u32_e32 vcc_lo, 32, v0
	v_perm_b32 v4, v2, v1, 0x5040100
	v_perm_b32 v3, v3, v5, 0x5040100
	;; [unrolled: 1-line block ×4, first 2 shown]
	s_and_b32 s2, vcc_lo, s2
	ds_store_b128 v76, v[1:4]
	s_waitcnt lgkmcnt(0)
	s_barrier
	buffer_gl0_inv
	s_and_saveexec_b32 s3, s2
	s_cbranch_execz .LBB1365_2
; %bb.111:
	s_load_b64 s[0:1], s[0:1], 0x68
	v_lshlrev_b32_e32 v0, 10, v0
	v_or_b32_e32 v1, s31, v75
	s_lshl_b32 s4, s34, 6
	v_lshlrev_b32_e32 v2, 4, v74
	s_mul_i32 s2, s4, s30
	v_lshlrev_b32_e32 v3, 6, v75
	v_mul_lo_u32 v8, v1, s4
	v_and_b32_e32 v0, 0x3800, v0
	v_or_b32_e32 v1, 2, v1
	s_mul_i32 s2, s2, s8
	s_delay_alu instid0(SALU_CYCLE_1) | instskip(NEXT) | instid1(VALU_DEP_2)
	s_ashr_i32 s3, s2, 31
	v_or3_b32 v4, v0, v2, v3
	s_lshl_b64 s[2:3], s[2:3], 1
	v_mul_lo_u32 v10, v1, s4
	v_ashrrev_i32_e32 v9, 31, v8
	ds_load_b128 v[0:3], v4
	ds_load_b128 v[4:7], v4 offset:128
	s_waitcnt lgkmcnt(0)
	s_add_u32 s2, s0, s2
	s_addc_u32 s3, s1, s3
	s_lshl_b32 s0, s14, 6
	v_ashrrev_i32_e32 v11, 31, v10
	s_ashr_i32 s1, s0, 31
	v_lshlrev_b64 v[8:9], 1, v[8:9]
	s_lshl_b64 s[0:1], s[0:1], 1
	s_delay_alu instid0(SALU_CYCLE_1) | instskip(SKIP_2) | instid1(VALU_DEP_1)
	s_add_u32 s0, s2, s0
	s_addc_u32 s1, s3, s1
	v_add_co_u32 v12, s0, s0, v73
	v_add_co_ci_u32_e64 v13, null, s1, 0, s0
	v_lshlrev_b64 v[10:11], 1, v[10:11]
	s_delay_alu instid0(VALU_DEP_3) | instskip(NEXT) | instid1(VALU_DEP_3)
	v_add_co_u32 v8, vcc_lo, v12, v8
	v_add_co_ci_u32_e32 v9, vcc_lo, v13, v9, vcc_lo
	s_delay_alu instid0(VALU_DEP_3) | instskip(NEXT) | instid1(VALU_DEP_4)
	v_add_co_u32 v10, vcc_lo, v12, v10
	v_add_co_ci_u32_e32 v11, vcc_lo, v13, v11, vcc_lo
	s_clause 0x1
	global_store_b128 v[8:9], v[0:3], off
	global_store_b128 v[10:11], v[4:7], off
	s_nop 0
	s_sendmsg sendmsg(MSG_DEALLOC_VGPRS)
	s_endpgm
	.section	.rodata,"a",@progbits
	.p2align	6, 0x0
	.amdhsa_kernel _Z39paged_attention_ll4mi_QKV_mfma16_kernelI14__hip_bfloat16hLN4vllm18Fp8KVCacheDataTypeE1EhLi16ELi64ELi256ELb1ELi4EL8MFMAType1EEvPKT_PKT0_S9_ifPKiSB_SB_iPKfiiiPfSE_PS4_PT2_iSD_SD_
		.amdhsa_group_segment_fixed_size 17472
		.amdhsa_private_segment_fixed_size 0
		.amdhsa_kernarg_size 400
		.amdhsa_user_sgpr_count 13
		.amdhsa_user_sgpr_dispatch_ptr 0
		.amdhsa_user_sgpr_queue_ptr 0
		.amdhsa_user_sgpr_kernarg_segment_ptr 1
		.amdhsa_user_sgpr_dispatch_id 0
		.amdhsa_user_sgpr_private_segment_size 0
		.amdhsa_wavefront_size32 1
		.amdhsa_uses_dynamic_stack 0
		.amdhsa_enable_private_segment 0
		.amdhsa_system_sgpr_workgroup_id_x 1
		.amdhsa_system_sgpr_workgroup_id_y 1
		.amdhsa_system_sgpr_workgroup_id_z 1
		.amdhsa_system_sgpr_workgroup_info 0
		.amdhsa_system_vgpr_workitem_id 0
		.amdhsa_next_free_vgpr 124
		.amdhsa_next_free_sgpr 38
		.amdhsa_reserve_vcc 1
		.amdhsa_float_round_mode_32 0
		.amdhsa_float_round_mode_16_64 0
		.amdhsa_float_denorm_mode_32 3
		.amdhsa_float_denorm_mode_16_64 3
		.amdhsa_dx10_clamp 1
		.amdhsa_ieee_mode 1
		.amdhsa_fp16_overflow 0
		.amdhsa_workgroup_processor_mode 1
		.amdhsa_memory_ordered 1
		.amdhsa_forward_progress 0
		.amdhsa_shared_vgpr_count 0
		.amdhsa_exception_fp_ieee_invalid_op 0
		.amdhsa_exception_fp_denorm_src 0
		.amdhsa_exception_fp_ieee_div_zero 0
		.amdhsa_exception_fp_ieee_overflow 0
		.amdhsa_exception_fp_ieee_underflow 0
		.amdhsa_exception_fp_ieee_inexact 0
		.amdhsa_exception_int_div_zero 0
	.end_amdhsa_kernel
	.section	.text._Z39paged_attention_ll4mi_QKV_mfma16_kernelI14__hip_bfloat16hLN4vllm18Fp8KVCacheDataTypeE1EhLi16ELi64ELi256ELb1ELi4EL8MFMAType1EEvPKT_PKT0_S9_ifPKiSB_SB_iPKfiiiPfSE_PS4_PT2_iSD_SD_,"axG",@progbits,_Z39paged_attention_ll4mi_QKV_mfma16_kernelI14__hip_bfloat16hLN4vllm18Fp8KVCacheDataTypeE1EhLi16ELi64ELi256ELb1ELi4EL8MFMAType1EEvPKT_PKT0_S9_ifPKiSB_SB_iPKfiiiPfSE_PS4_PT2_iSD_SD_,comdat
.Lfunc_end1365:
	.size	_Z39paged_attention_ll4mi_QKV_mfma16_kernelI14__hip_bfloat16hLN4vllm18Fp8KVCacheDataTypeE1EhLi16ELi64ELi256ELb1ELi4EL8MFMAType1EEvPKT_PKT0_S9_ifPKiSB_SB_iPKfiiiPfSE_PS4_PT2_iSD_SD_, .Lfunc_end1365-_Z39paged_attention_ll4mi_QKV_mfma16_kernelI14__hip_bfloat16hLN4vllm18Fp8KVCacheDataTypeE1EhLi16ELi64ELi256ELb1ELi4EL8MFMAType1EEvPKT_PKT0_S9_ifPKiSB_SB_iPKfiiiPfSE_PS4_PT2_iSD_SD_
                                        ; -- End function
	.section	.AMDGPU.csdata,"",@progbits
; Kernel info:
; codeLenInByte = 8604
; NumSgprs: 40
; NumVgprs: 124
; ScratchSize: 0
; MemoryBound: 0
; FloatMode: 240
; IeeeMode: 1
; LDSByteSize: 17472 bytes/workgroup (compile time only)
; SGPRBlocks: 4
; VGPRBlocks: 15
; NumSGPRsForWavesPerEU: 40
; NumVGPRsForWavesPerEU: 124
; Occupancy: 10
; WaveLimiterHint : 1
; COMPUTE_PGM_RSRC2:SCRATCH_EN: 0
; COMPUTE_PGM_RSRC2:USER_SGPR: 13
; COMPUTE_PGM_RSRC2:TRAP_HANDLER: 0
; COMPUTE_PGM_RSRC2:TGID_X_EN: 1
; COMPUTE_PGM_RSRC2:TGID_Y_EN: 1
; COMPUTE_PGM_RSRC2:TGID_Z_EN: 1
; COMPUTE_PGM_RSRC2:TIDIG_COMP_CNT: 0
	.section	.text._Z38paged_attention_ll4mi_QKV_mfma4_kernelI14__hip_bfloat16hLN4vllm18Fp8KVCacheDataTypeE1EhLi16ELi64ELi256ELb0ELi1EEvPKT_PKT0_S8_ifPKiSA_SA_iPKfiiiPfSD_PS3_PT2_iSC_SC_,"axG",@progbits,_Z38paged_attention_ll4mi_QKV_mfma4_kernelI14__hip_bfloat16hLN4vllm18Fp8KVCacheDataTypeE1EhLi16ELi64ELi256ELb0ELi1EEvPKT_PKT0_S8_ifPKiSA_SA_iPKfiiiPfSD_PS3_PT2_iSC_SC_,comdat
	.protected	_Z38paged_attention_ll4mi_QKV_mfma4_kernelI14__hip_bfloat16hLN4vllm18Fp8KVCacheDataTypeE1EhLi16ELi64ELi256ELb0ELi1EEvPKT_PKT0_S8_ifPKiSA_SA_iPKfiiiPfSD_PS3_PT2_iSC_SC_ ; -- Begin function _Z38paged_attention_ll4mi_QKV_mfma4_kernelI14__hip_bfloat16hLN4vllm18Fp8KVCacheDataTypeE1EhLi16ELi64ELi256ELb0ELi1EEvPKT_PKT0_S8_ifPKiSA_SA_iPKfiiiPfSD_PS3_PT2_iSC_SC_
	.globl	_Z38paged_attention_ll4mi_QKV_mfma4_kernelI14__hip_bfloat16hLN4vllm18Fp8KVCacheDataTypeE1EhLi16ELi64ELi256ELb0ELi1EEvPKT_PKT0_S8_ifPKiSA_SA_iPKfiiiPfSD_PS3_PT2_iSC_SC_
	.p2align	8
	.type	_Z38paged_attention_ll4mi_QKV_mfma4_kernelI14__hip_bfloat16hLN4vllm18Fp8KVCacheDataTypeE1EhLi16ELi64ELi256ELb0ELi1EEvPKT_PKT0_S8_ifPKiSA_SA_iPKfiiiPfSD_PS3_PT2_iSC_SC_,@function
_Z38paged_attention_ll4mi_QKV_mfma4_kernelI14__hip_bfloat16hLN4vllm18Fp8KVCacheDataTypeE1EhLi16ELi64ELi256ELb0ELi1EEvPKT_PKT0_S8_ifPKiSA_SA_iPKfiiiPfSD_PS3_PT2_iSC_SC_: ; @_Z38paged_attention_ll4mi_QKV_mfma4_kernelI14__hip_bfloat16hLN4vllm18Fp8KVCacheDataTypeE1EhLi16ELi64ELi256ELb0ELi1EEvPKT_PKT0_S8_ifPKiSA_SA_iPKfiiiPfSD_PS3_PT2_iSC_SC_
; %bb.0:
	s_add_u32 s8, s0, 0x90
	s_addc_u32 s9, s1, 0
	s_getpc_b64 s[0:1]
	s_add_u32 s0, s0, __PRETTY_FUNCTION__._Z38paged_attention_ll4mi_QKV_mfma4_kernelI14__hip_bfloat16hLN4vllm18Fp8KVCacheDataTypeE1EhLi16ELi64ELi256ELb0ELi1EEvPKT_PKT0_S8_ifPKiSA_SA_iPKfiiiPfSD_PS3_PT2_iSC_SC_@rel32@lo+4
	s_addc_u32 s1, s1, __PRETTY_FUNCTION__._Z38paged_attention_ll4mi_QKV_mfma4_kernelI14__hip_bfloat16hLN4vllm18Fp8KVCacheDataTypeE1EhLi16ELi64ELi256ELb0ELi1EEvPKT_PKT0_S8_ifPKiSA_SA_iPKfiiiPfSD_PS3_PT2_iSC_SC_@rel32@hi+12
	s_delay_alu instid0(SALU_CYCLE_1) | instskip(SKIP_4) | instid1(SALU_CYCLE_1)
	v_dual_mov_b32 v0, s0 :: v_dual_mov_b32 v1, s1
	s_mov_b32 s32, 0
	s_getpc_b64 s[2:3]
	s_add_u32 s2, s2, __assert_fail@rel32@lo+4
	s_addc_u32 s3, s3, __assert_fail@rel32@hi+12
	s_swappc_b64 s[30:31], s[2:3]
	.section	.rodata,"a",@progbits
	.p2align	6, 0x0
	.amdhsa_kernel _Z38paged_attention_ll4mi_QKV_mfma4_kernelI14__hip_bfloat16hLN4vllm18Fp8KVCacheDataTypeE1EhLi16ELi64ELi256ELb0ELi1EEvPKT_PKT0_S8_ifPKiSA_SA_iPKfiiiPfSD_PS3_PT2_iSC_SC_
		.amdhsa_group_segment_fixed_size 0
		.amdhsa_private_segment_fixed_size 64
		.amdhsa_kernarg_size 400
		.amdhsa_user_sgpr_count 15
		.amdhsa_user_sgpr_dispatch_ptr 0
		.amdhsa_user_sgpr_queue_ptr 0
		.amdhsa_user_sgpr_kernarg_segment_ptr 1
		.amdhsa_user_sgpr_dispatch_id 0
		.amdhsa_user_sgpr_private_segment_size 0
		.amdhsa_wavefront_size32 1
		.amdhsa_uses_dynamic_stack 0
		.amdhsa_enable_private_segment 1
		.amdhsa_system_sgpr_workgroup_id_x 1
		.amdhsa_system_sgpr_workgroup_id_y 0
		.amdhsa_system_sgpr_workgroup_id_z 0
		.amdhsa_system_sgpr_workgroup_info 0
		.amdhsa_system_vgpr_workitem_id 0
		.amdhsa_next_free_vgpr 41
		.amdhsa_next_free_sgpr 34
		.amdhsa_reserve_vcc 1
		.amdhsa_float_round_mode_32 0
		.amdhsa_float_round_mode_16_64 0
		.amdhsa_float_denorm_mode_32 3
		.amdhsa_float_denorm_mode_16_64 3
		.amdhsa_dx10_clamp 1
		.amdhsa_ieee_mode 1
		.amdhsa_fp16_overflow 0
		.amdhsa_workgroup_processor_mode 1
		.amdhsa_memory_ordered 1
		.amdhsa_forward_progress 0
		.amdhsa_shared_vgpr_count 0
		.amdhsa_exception_fp_ieee_invalid_op 0
		.amdhsa_exception_fp_denorm_src 0
		.amdhsa_exception_fp_ieee_div_zero 0
		.amdhsa_exception_fp_ieee_overflow 0
		.amdhsa_exception_fp_ieee_underflow 0
		.amdhsa_exception_fp_ieee_inexact 0
		.amdhsa_exception_int_div_zero 0
	.end_amdhsa_kernel
	.section	.text._Z38paged_attention_ll4mi_QKV_mfma4_kernelI14__hip_bfloat16hLN4vllm18Fp8KVCacheDataTypeE1EhLi16ELi64ELi256ELb0ELi1EEvPKT_PKT0_S8_ifPKiSA_SA_iPKfiiiPfSD_PS3_PT2_iSC_SC_,"axG",@progbits,_Z38paged_attention_ll4mi_QKV_mfma4_kernelI14__hip_bfloat16hLN4vllm18Fp8KVCacheDataTypeE1EhLi16ELi64ELi256ELb0ELi1EEvPKT_PKT0_S8_ifPKiSA_SA_iPKfiiiPfSD_PS3_PT2_iSC_SC_,comdat
.Lfunc_end1366:
	.size	_Z38paged_attention_ll4mi_QKV_mfma4_kernelI14__hip_bfloat16hLN4vllm18Fp8KVCacheDataTypeE1EhLi16ELi64ELi256ELb0ELi1EEvPKT_PKT0_S8_ifPKiSA_SA_iPKfiiiPfSD_PS3_PT2_iSC_SC_, .Lfunc_end1366-_Z38paged_attention_ll4mi_QKV_mfma4_kernelI14__hip_bfloat16hLN4vllm18Fp8KVCacheDataTypeE1EhLi16ELi64ELi256ELb0ELi1EEvPKT_PKT0_S8_ifPKiSA_SA_iPKfiiiPfSD_PS3_PT2_iSC_SC_
                                        ; -- End function
	.section	.AMDGPU.csdata,"",@progbits
; Kernel info:
; codeLenInByte = 72
; NumSgprs: 36
; NumVgprs: 41
; ScratchSize: 64
; MemoryBound: 0
; FloatMode: 240
; IeeeMode: 1
; LDSByteSize: 0 bytes/workgroup (compile time only)
; SGPRBlocks: 4
; VGPRBlocks: 5
; NumSGPRsForWavesPerEU: 36
; NumVGPRsForWavesPerEU: 41
; Occupancy: 16
; WaveLimiterHint : 1
; COMPUTE_PGM_RSRC2:SCRATCH_EN: 1
; COMPUTE_PGM_RSRC2:USER_SGPR: 15
; COMPUTE_PGM_RSRC2:TRAP_HANDLER: 0
; COMPUTE_PGM_RSRC2:TGID_X_EN: 1
; COMPUTE_PGM_RSRC2:TGID_Y_EN: 0
; COMPUTE_PGM_RSRC2:TGID_Z_EN: 0
; COMPUTE_PGM_RSRC2:TIDIG_COMP_CNT: 0
	.section	.text._Z38paged_attention_ll4mi_QKV_mfma4_kernelI14__hip_bfloat16hLN4vllm18Fp8KVCacheDataTypeE1EhLi16ELi64ELi256ELb0ELi2EEvPKT_PKT0_S8_ifPKiSA_SA_iPKfiiiPfSD_PS3_PT2_iSC_SC_,"axG",@progbits,_Z38paged_attention_ll4mi_QKV_mfma4_kernelI14__hip_bfloat16hLN4vllm18Fp8KVCacheDataTypeE1EhLi16ELi64ELi256ELb0ELi2EEvPKT_PKT0_S8_ifPKiSA_SA_iPKfiiiPfSD_PS3_PT2_iSC_SC_,comdat
	.protected	_Z38paged_attention_ll4mi_QKV_mfma4_kernelI14__hip_bfloat16hLN4vllm18Fp8KVCacheDataTypeE1EhLi16ELi64ELi256ELb0ELi2EEvPKT_PKT0_S8_ifPKiSA_SA_iPKfiiiPfSD_PS3_PT2_iSC_SC_ ; -- Begin function _Z38paged_attention_ll4mi_QKV_mfma4_kernelI14__hip_bfloat16hLN4vllm18Fp8KVCacheDataTypeE1EhLi16ELi64ELi256ELb0ELi2EEvPKT_PKT0_S8_ifPKiSA_SA_iPKfiiiPfSD_PS3_PT2_iSC_SC_
	.globl	_Z38paged_attention_ll4mi_QKV_mfma4_kernelI14__hip_bfloat16hLN4vllm18Fp8KVCacheDataTypeE1EhLi16ELi64ELi256ELb0ELi2EEvPKT_PKT0_S8_ifPKiSA_SA_iPKfiiiPfSD_PS3_PT2_iSC_SC_
	.p2align	8
	.type	_Z38paged_attention_ll4mi_QKV_mfma4_kernelI14__hip_bfloat16hLN4vllm18Fp8KVCacheDataTypeE1EhLi16ELi64ELi256ELb0ELi2EEvPKT_PKT0_S8_ifPKiSA_SA_iPKfiiiPfSD_PS3_PT2_iSC_SC_,@function
_Z38paged_attention_ll4mi_QKV_mfma4_kernelI14__hip_bfloat16hLN4vllm18Fp8KVCacheDataTypeE1EhLi16ELi64ELi256ELb0ELi2EEvPKT_PKT0_S8_ifPKiSA_SA_iPKfiiiPfSD_PS3_PT2_iSC_SC_: ; @_Z38paged_attention_ll4mi_QKV_mfma4_kernelI14__hip_bfloat16hLN4vllm18Fp8KVCacheDataTypeE1EhLi16ELi64ELi256ELb0ELi2EEvPKT_PKT0_S8_ifPKiSA_SA_iPKfiiiPfSD_PS3_PT2_iSC_SC_
; %bb.0:
	s_add_u32 s8, s0, 0x90
	s_addc_u32 s9, s1, 0
	s_getpc_b64 s[0:1]
	s_add_u32 s0, s0, __PRETTY_FUNCTION__._Z38paged_attention_ll4mi_QKV_mfma4_kernelI14__hip_bfloat16hLN4vllm18Fp8KVCacheDataTypeE1EhLi16ELi64ELi256ELb0ELi2EEvPKT_PKT0_S8_ifPKiSA_SA_iPKfiiiPfSD_PS3_PT2_iSC_SC_@rel32@lo+4
	s_addc_u32 s1, s1, __PRETTY_FUNCTION__._Z38paged_attention_ll4mi_QKV_mfma4_kernelI14__hip_bfloat16hLN4vllm18Fp8KVCacheDataTypeE1EhLi16ELi64ELi256ELb0ELi2EEvPKT_PKT0_S8_ifPKiSA_SA_iPKfiiiPfSD_PS3_PT2_iSC_SC_@rel32@hi+12
	s_delay_alu instid0(SALU_CYCLE_1) | instskip(SKIP_4) | instid1(SALU_CYCLE_1)
	v_dual_mov_b32 v0, s0 :: v_dual_mov_b32 v1, s1
	s_mov_b32 s32, 0
	s_getpc_b64 s[2:3]
	s_add_u32 s2, s2, __assert_fail@rel32@lo+4
	s_addc_u32 s3, s3, __assert_fail@rel32@hi+12
	s_swappc_b64 s[30:31], s[2:3]
	.section	.rodata,"a",@progbits
	.p2align	6, 0x0
	.amdhsa_kernel _Z38paged_attention_ll4mi_QKV_mfma4_kernelI14__hip_bfloat16hLN4vllm18Fp8KVCacheDataTypeE1EhLi16ELi64ELi256ELb0ELi2EEvPKT_PKT0_S8_ifPKiSA_SA_iPKfiiiPfSD_PS3_PT2_iSC_SC_
		.amdhsa_group_segment_fixed_size 0
		.amdhsa_private_segment_fixed_size 64
		.amdhsa_kernarg_size 400
		.amdhsa_user_sgpr_count 15
		.amdhsa_user_sgpr_dispatch_ptr 0
		.amdhsa_user_sgpr_queue_ptr 0
		.amdhsa_user_sgpr_kernarg_segment_ptr 1
		.amdhsa_user_sgpr_dispatch_id 0
		.amdhsa_user_sgpr_private_segment_size 0
		.amdhsa_wavefront_size32 1
		.amdhsa_uses_dynamic_stack 0
		.amdhsa_enable_private_segment 1
		.amdhsa_system_sgpr_workgroup_id_x 1
		.amdhsa_system_sgpr_workgroup_id_y 0
		.amdhsa_system_sgpr_workgroup_id_z 0
		.amdhsa_system_sgpr_workgroup_info 0
		.amdhsa_system_vgpr_workitem_id 0
		.amdhsa_next_free_vgpr 41
		.amdhsa_next_free_sgpr 34
		.amdhsa_reserve_vcc 1
		.amdhsa_float_round_mode_32 0
		.amdhsa_float_round_mode_16_64 0
		.amdhsa_float_denorm_mode_32 3
		.amdhsa_float_denorm_mode_16_64 3
		.amdhsa_dx10_clamp 1
		.amdhsa_ieee_mode 1
		.amdhsa_fp16_overflow 0
		.amdhsa_workgroup_processor_mode 1
		.amdhsa_memory_ordered 1
		.amdhsa_forward_progress 0
		.amdhsa_shared_vgpr_count 0
		.amdhsa_exception_fp_ieee_invalid_op 0
		.amdhsa_exception_fp_denorm_src 0
		.amdhsa_exception_fp_ieee_div_zero 0
		.amdhsa_exception_fp_ieee_overflow 0
		.amdhsa_exception_fp_ieee_underflow 0
		.amdhsa_exception_fp_ieee_inexact 0
		.amdhsa_exception_int_div_zero 0
	.end_amdhsa_kernel
	.section	.text._Z38paged_attention_ll4mi_QKV_mfma4_kernelI14__hip_bfloat16hLN4vllm18Fp8KVCacheDataTypeE1EhLi16ELi64ELi256ELb0ELi2EEvPKT_PKT0_S8_ifPKiSA_SA_iPKfiiiPfSD_PS3_PT2_iSC_SC_,"axG",@progbits,_Z38paged_attention_ll4mi_QKV_mfma4_kernelI14__hip_bfloat16hLN4vllm18Fp8KVCacheDataTypeE1EhLi16ELi64ELi256ELb0ELi2EEvPKT_PKT0_S8_ifPKiSA_SA_iPKfiiiPfSD_PS3_PT2_iSC_SC_,comdat
.Lfunc_end1367:
	.size	_Z38paged_attention_ll4mi_QKV_mfma4_kernelI14__hip_bfloat16hLN4vllm18Fp8KVCacheDataTypeE1EhLi16ELi64ELi256ELb0ELi2EEvPKT_PKT0_S8_ifPKiSA_SA_iPKfiiiPfSD_PS3_PT2_iSC_SC_, .Lfunc_end1367-_Z38paged_attention_ll4mi_QKV_mfma4_kernelI14__hip_bfloat16hLN4vllm18Fp8KVCacheDataTypeE1EhLi16ELi64ELi256ELb0ELi2EEvPKT_PKT0_S8_ifPKiSA_SA_iPKfiiiPfSD_PS3_PT2_iSC_SC_
                                        ; -- End function
	.section	.AMDGPU.csdata,"",@progbits
; Kernel info:
; codeLenInByte = 72
; NumSgprs: 36
; NumVgprs: 41
; ScratchSize: 64
; MemoryBound: 0
; FloatMode: 240
; IeeeMode: 1
; LDSByteSize: 0 bytes/workgroup (compile time only)
; SGPRBlocks: 4
; VGPRBlocks: 5
; NumSGPRsForWavesPerEU: 36
; NumVGPRsForWavesPerEU: 41
; Occupancy: 16
; WaveLimiterHint : 1
; COMPUTE_PGM_RSRC2:SCRATCH_EN: 1
; COMPUTE_PGM_RSRC2:USER_SGPR: 15
; COMPUTE_PGM_RSRC2:TRAP_HANDLER: 0
; COMPUTE_PGM_RSRC2:TGID_X_EN: 1
; COMPUTE_PGM_RSRC2:TGID_Y_EN: 0
; COMPUTE_PGM_RSRC2:TGID_Z_EN: 0
; COMPUTE_PGM_RSRC2:TIDIG_COMP_CNT: 0
	.section	.text._Z38paged_attention_ll4mi_QKV_mfma4_kernelI14__hip_bfloat16hLN4vllm18Fp8KVCacheDataTypeE1EhLi16ELi64ELi256ELb0ELi3EEvPKT_PKT0_S8_ifPKiSA_SA_iPKfiiiPfSD_PS3_PT2_iSC_SC_,"axG",@progbits,_Z38paged_attention_ll4mi_QKV_mfma4_kernelI14__hip_bfloat16hLN4vllm18Fp8KVCacheDataTypeE1EhLi16ELi64ELi256ELb0ELi3EEvPKT_PKT0_S8_ifPKiSA_SA_iPKfiiiPfSD_PS3_PT2_iSC_SC_,comdat
	.protected	_Z38paged_attention_ll4mi_QKV_mfma4_kernelI14__hip_bfloat16hLN4vllm18Fp8KVCacheDataTypeE1EhLi16ELi64ELi256ELb0ELi3EEvPKT_PKT0_S8_ifPKiSA_SA_iPKfiiiPfSD_PS3_PT2_iSC_SC_ ; -- Begin function _Z38paged_attention_ll4mi_QKV_mfma4_kernelI14__hip_bfloat16hLN4vllm18Fp8KVCacheDataTypeE1EhLi16ELi64ELi256ELb0ELi3EEvPKT_PKT0_S8_ifPKiSA_SA_iPKfiiiPfSD_PS3_PT2_iSC_SC_
	.globl	_Z38paged_attention_ll4mi_QKV_mfma4_kernelI14__hip_bfloat16hLN4vllm18Fp8KVCacheDataTypeE1EhLi16ELi64ELi256ELb0ELi3EEvPKT_PKT0_S8_ifPKiSA_SA_iPKfiiiPfSD_PS3_PT2_iSC_SC_
	.p2align	8
	.type	_Z38paged_attention_ll4mi_QKV_mfma4_kernelI14__hip_bfloat16hLN4vllm18Fp8KVCacheDataTypeE1EhLi16ELi64ELi256ELb0ELi3EEvPKT_PKT0_S8_ifPKiSA_SA_iPKfiiiPfSD_PS3_PT2_iSC_SC_,@function
_Z38paged_attention_ll4mi_QKV_mfma4_kernelI14__hip_bfloat16hLN4vllm18Fp8KVCacheDataTypeE1EhLi16ELi64ELi256ELb0ELi3EEvPKT_PKT0_S8_ifPKiSA_SA_iPKfiiiPfSD_PS3_PT2_iSC_SC_: ; @_Z38paged_attention_ll4mi_QKV_mfma4_kernelI14__hip_bfloat16hLN4vllm18Fp8KVCacheDataTypeE1EhLi16ELi64ELi256ELb0ELi3EEvPKT_PKT0_S8_ifPKiSA_SA_iPKfiiiPfSD_PS3_PT2_iSC_SC_
; %bb.0:
	s_add_u32 s8, s0, 0x90
	s_addc_u32 s9, s1, 0
	s_getpc_b64 s[0:1]
	s_add_u32 s0, s0, __PRETTY_FUNCTION__._Z38paged_attention_ll4mi_QKV_mfma4_kernelI14__hip_bfloat16hLN4vllm18Fp8KVCacheDataTypeE1EhLi16ELi64ELi256ELb0ELi3EEvPKT_PKT0_S8_ifPKiSA_SA_iPKfiiiPfSD_PS3_PT2_iSC_SC_@rel32@lo+4
	s_addc_u32 s1, s1, __PRETTY_FUNCTION__._Z38paged_attention_ll4mi_QKV_mfma4_kernelI14__hip_bfloat16hLN4vllm18Fp8KVCacheDataTypeE1EhLi16ELi64ELi256ELb0ELi3EEvPKT_PKT0_S8_ifPKiSA_SA_iPKfiiiPfSD_PS3_PT2_iSC_SC_@rel32@hi+12
	s_delay_alu instid0(SALU_CYCLE_1) | instskip(SKIP_4) | instid1(SALU_CYCLE_1)
	v_dual_mov_b32 v0, s0 :: v_dual_mov_b32 v1, s1
	s_mov_b32 s32, 0
	s_getpc_b64 s[2:3]
	s_add_u32 s2, s2, __assert_fail@rel32@lo+4
	s_addc_u32 s3, s3, __assert_fail@rel32@hi+12
	s_swappc_b64 s[30:31], s[2:3]
	.section	.rodata,"a",@progbits
	.p2align	6, 0x0
	.amdhsa_kernel _Z38paged_attention_ll4mi_QKV_mfma4_kernelI14__hip_bfloat16hLN4vllm18Fp8KVCacheDataTypeE1EhLi16ELi64ELi256ELb0ELi3EEvPKT_PKT0_S8_ifPKiSA_SA_iPKfiiiPfSD_PS3_PT2_iSC_SC_
		.amdhsa_group_segment_fixed_size 0
		.amdhsa_private_segment_fixed_size 64
		.amdhsa_kernarg_size 400
		.amdhsa_user_sgpr_count 15
		.amdhsa_user_sgpr_dispatch_ptr 0
		.amdhsa_user_sgpr_queue_ptr 0
		.amdhsa_user_sgpr_kernarg_segment_ptr 1
		.amdhsa_user_sgpr_dispatch_id 0
		.amdhsa_user_sgpr_private_segment_size 0
		.amdhsa_wavefront_size32 1
		.amdhsa_uses_dynamic_stack 0
		.amdhsa_enable_private_segment 1
		.amdhsa_system_sgpr_workgroup_id_x 1
		.amdhsa_system_sgpr_workgroup_id_y 0
		.amdhsa_system_sgpr_workgroup_id_z 0
		.amdhsa_system_sgpr_workgroup_info 0
		.amdhsa_system_vgpr_workitem_id 0
		.amdhsa_next_free_vgpr 41
		.amdhsa_next_free_sgpr 34
		.amdhsa_reserve_vcc 1
		.amdhsa_float_round_mode_32 0
		.amdhsa_float_round_mode_16_64 0
		.amdhsa_float_denorm_mode_32 3
		.amdhsa_float_denorm_mode_16_64 3
		.amdhsa_dx10_clamp 1
		.amdhsa_ieee_mode 1
		.amdhsa_fp16_overflow 0
		.amdhsa_workgroup_processor_mode 1
		.amdhsa_memory_ordered 1
		.amdhsa_forward_progress 0
		.amdhsa_shared_vgpr_count 0
		.amdhsa_exception_fp_ieee_invalid_op 0
		.amdhsa_exception_fp_denorm_src 0
		.amdhsa_exception_fp_ieee_div_zero 0
		.amdhsa_exception_fp_ieee_overflow 0
		.amdhsa_exception_fp_ieee_underflow 0
		.amdhsa_exception_fp_ieee_inexact 0
		.amdhsa_exception_int_div_zero 0
	.end_amdhsa_kernel
	.section	.text._Z38paged_attention_ll4mi_QKV_mfma4_kernelI14__hip_bfloat16hLN4vllm18Fp8KVCacheDataTypeE1EhLi16ELi64ELi256ELb0ELi3EEvPKT_PKT0_S8_ifPKiSA_SA_iPKfiiiPfSD_PS3_PT2_iSC_SC_,"axG",@progbits,_Z38paged_attention_ll4mi_QKV_mfma4_kernelI14__hip_bfloat16hLN4vllm18Fp8KVCacheDataTypeE1EhLi16ELi64ELi256ELb0ELi3EEvPKT_PKT0_S8_ifPKiSA_SA_iPKfiiiPfSD_PS3_PT2_iSC_SC_,comdat
.Lfunc_end1368:
	.size	_Z38paged_attention_ll4mi_QKV_mfma4_kernelI14__hip_bfloat16hLN4vllm18Fp8KVCacheDataTypeE1EhLi16ELi64ELi256ELb0ELi3EEvPKT_PKT0_S8_ifPKiSA_SA_iPKfiiiPfSD_PS3_PT2_iSC_SC_, .Lfunc_end1368-_Z38paged_attention_ll4mi_QKV_mfma4_kernelI14__hip_bfloat16hLN4vllm18Fp8KVCacheDataTypeE1EhLi16ELi64ELi256ELb0ELi3EEvPKT_PKT0_S8_ifPKiSA_SA_iPKfiiiPfSD_PS3_PT2_iSC_SC_
                                        ; -- End function
	.section	.AMDGPU.csdata,"",@progbits
; Kernel info:
; codeLenInByte = 72
; NumSgprs: 36
; NumVgprs: 41
; ScratchSize: 64
; MemoryBound: 0
; FloatMode: 240
; IeeeMode: 1
; LDSByteSize: 0 bytes/workgroup (compile time only)
; SGPRBlocks: 4
; VGPRBlocks: 5
; NumSGPRsForWavesPerEU: 36
; NumVGPRsForWavesPerEU: 41
; Occupancy: 16
; WaveLimiterHint : 1
; COMPUTE_PGM_RSRC2:SCRATCH_EN: 1
; COMPUTE_PGM_RSRC2:USER_SGPR: 15
; COMPUTE_PGM_RSRC2:TRAP_HANDLER: 0
; COMPUTE_PGM_RSRC2:TGID_X_EN: 1
; COMPUTE_PGM_RSRC2:TGID_Y_EN: 0
; COMPUTE_PGM_RSRC2:TGID_Z_EN: 0
; COMPUTE_PGM_RSRC2:TIDIG_COMP_CNT: 0
	.section	.text._Z38paged_attention_ll4mi_QKV_mfma4_kernelI14__hip_bfloat16hLN4vllm18Fp8KVCacheDataTypeE1EhLi16ELi64ELi256ELb0ELi4EEvPKT_PKT0_S8_ifPKiSA_SA_iPKfiiiPfSD_PS3_PT2_iSC_SC_,"axG",@progbits,_Z38paged_attention_ll4mi_QKV_mfma4_kernelI14__hip_bfloat16hLN4vllm18Fp8KVCacheDataTypeE1EhLi16ELi64ELi256ELb0ELi4EEvPKT_PKT0_S8_ifPKiSA_SA_iPKfiiiPfSD_PS3_PT2_iSC_SC_,comdat
	.protected	_Z38paged_attention_ll4mi_QKV_mfma4_kernelI14__hip_bfloat16hLN4vllm18Fp8KVCacheDataTypeE1EhLi16ELi64ELi256ELb0ELi4EEvPKT_PKT0_S8_ifPKiSA_SA_iPKfiiiPfSD_PS3_PT2_iSC_SC_ ; -- Begin function _Z38paged_attention_ll4mi_QKV_mfma4_kernelI14__hip_bfloat16hLN4vllm18Fp8KVCacheDataTypeE1EhLi16ELi64ELi256ELb0ELi4EEvPKT_PKT0_S8_ifPKiSA_SA_iPKfiiiPfSD_PS3_PT2_iSC_SC_
	.globl	_Z38paged_attention_ll4mi_QKV_mfma4_kernelI14__hip_bfloat16hLN4vllm18Fp8KVCacheDataTypeE1EhLi16ELi64ELi256ELb0ELi4EEvPKT_PKT0_S8_ifPKiSA_SA_iPKfiiiPfSD_PS3_PT2_iSC_SC_
	.p2align	8
	.type	_Z38paged_attention_ll4mi_QKV_mfma4_kernelI14__hip_bfloat16hLN4vllm18Fp8KVCacheDataTypeE1EhLi16ELi64ELi256ELb0ELi4EEvPKT_PKT0_S8_ifPKiSA_SA_iPKfiiiPfSD_PS3_PT2_iSC_SC_,@function
_Z38paged_attention_ll4mi_QKV_mfma4_kernelI14__hip_bfloat16hLN4vllm18Fp8KVCacheDataTypeE1EhLi16ELi64ELi256ELb0ELi4EEvPKT_PKT0_S8_ifPKiSA_SA_iPKfiiiPfSD_PS3_PT2_iSC_SC_: ; @_Z38paged_attention_ll4mi_QKV_mfma4_kernelI14__hip_bfloat16hLN4vllm18Fp8KVCacheDataTypeE1EhLi16ELi64ELi256ELb0ELi4EEvPKT_PKT0_S8_ifPKiSA_SA_iPKfiiiPfSD_PS3_PT2_iSC_SC_
; %bb.0:
	s_add_u32 s8, s0, 0x90
	s_addc_u32 s9, s1, 0
	s_getpc_b64 s[0:1]
	s_add_u32 s0, s0, __PRETTY_FUNCTION__._Z38paged_attention_ll4mi_QKV_mfma4_kernelI14__hip_bfloat16hLN4vllm18Fp8KVCacheDataTypeE1EhLi16ELi64ELi256ELb0ELi4EEvPKT_PKT0_S8_ifPKiSA_SA_iPKfiiiPfSD_PS3_PT2_iSC_SC_@rel32@lo+4
	s_addc_u32 s1, s1, __PRETTY_FUNCTION__._Z38paged_attention_ll4mi_QKV_mfma4_kernelI14__hip_bfloat16hLN4vllm18Fp8KVCacheDataTypeE1EhLi16ELi64ELi256ELb0ELi4EEvPKT_PKT0_S8_ifPKiSA_SA_iPKfiiiPfSD_PS3_PT2_iSC_SC_@rel32@hi+12
	s_delay_alu instid0(SALU_CYCLE_1) | instskip(SKIP_4) | instid1(SALU_CYCLE_1)
	v_dual_mov_b32 v0, s0 :: v_dual_mov_b32 v1, s1
	s_mov_b32 s32, 0
	s_getpc_b64 s[2:3]
	s_add_u32 s2, s2, __assert_fail@rel32@lo+4
	s_addc_u32 s3, s3, __assert_fail@rel32@hi+12
	s_swappc_b64 s[30:31], s[2:3]
	.section	.rodata,"a",@progbits
	.p2align	6, 0x0
	.amdhsa_kernel _Z38paged_attention_ll4mi_QKV_mfma4_kernelI14__hip_bfloat16hLN4vllm18Fp8KVCacheDataTypeE1EhLi16ELi64ELi256ELb0ELi4EEvPKT_PKT0_S8_ifPKiSA_SA_iPKfiiiPfSD_PS3_PT2_iSC_SC_
		.amdhsa_group_segment_fixed_size 0
		.amdhsa_private_segment_fixed_size 64
		.amdhsa_kernarg_size 400
		.amdhsa_user_sgpr_count 15
		.amdhsa_user_sgpr_dispatch_ptr 0
		.amdhsa_user_sgpr_queue_ptr 0
		.amdhsa_user_sgpr_kernarg_segment_ptr 1
		.amdhsa_user_sgpr_dispatch_id 0
		.amdhsa_user_sgpr_private_segment_size 0
		.amdhsa_wavefront_size32 1
		.amdhsa_uses_dynamic_stack 0
		.amdhsa_enable_private_segment 1
		.amdhsa_system_sgpr_workgroup_id_x 1
		.amdhsa_system_sgpr_workgroup_id_y 0
		.amdhsa_system_sgpr_workgroup_id_z 0
		.amdhsa_system_sgpr_workgroup_info 0
		.amdhsa_system_vgpr_workitem_id 0
		.amdhsa_next_free_vgpr 41
		.amdhsa_next_free_sgpr 34
		.amdhsa_reserve_vcc 1
		.amdhsa_float_round_mode_32 0
		.amdhsa_float_round_mode_16_64 0
		.amdhsa_float_denorm_mode_32 3
		.amdhsa_float_denorm_mode_16_64 3
		.amdhsa_dx10_clamp 1
		.amdhsa_ieee_mode 1
		.amdhsa_fp16_overflow 0
		.amdhsa_workgroup_processor_mode 1
		.amdhsa_memory_ordered 1
		.amdhsa_forward_progress 0
		.amdhsa_shared_vgpr_count 0
		.amdhsa_exception_fp_ieee_invalid_op 0
		.amdhsa_exception_fp_denorm_src 0
		.amdhsa_exception_fp_ieee_div_zero 0
		.amdhsa_exception_fp_ieee_overflow 0
		.amdhsa_exception_fp_ieee_underflow 0
		.amdhsa_exception_fp_ieee_inexact 0
		.amdhsa_exception_int_div_zero 0
	.end_amdhsa_kernel
	.section	.text._Z38paged_attention_ll4mi_QKV_mfma4_kernelI14__hip_bfloat16hLN4vllm18Fp8KVCacheDataTypeE1EhLi16ELi64ELi256ELb0ELi4EEvPKT_PKT0_S8_ifPKiSA_SA_iPKfiiiPfSD_PS3_PT2_iSC_SC_,"axG",@progbits,_Z38paged_attention_ll4mi_QKV_mfma4_kernelI14__hip_bfloat16hLN4vllm18Fp8KVCacheDataTypeE1EhLi16ELi64ELi256ELb0ELi4EEvPKT_PKT0_S8_ifPKiSA_SA_iPKfiiiPfSD_PS3_PT2_iSC_SC_,comdat
.Lfunc_end1369:
	.size	_Z38paged_attention_ll4mi_QKV_mfma4_kernelI14__hip_bfloat16hLN4vllm18Fp8KVCacheDataTypeE1EhLi16ELi64ELi256ELb0ELi4EEvPKT_PKT0_S8_ifPKiSA_SA_iPKfiiiPfSD_PS3_PT2_iSC_SC_, .Lfunc_end1369-_Z38paged_attention_ll4mi_QKV_mfma4_kernelI14__hip_bfloat16hLN4vllm18Fp8KVCacheDataTypeE1EhLi16ELi64ELi256ELb0ELi4EEvPKT_PKT0_S8_ifPKiSA_SA_iPKfiiiPfSD_PS3_PT2_iSC_SC_
                                        ; -- End function
	.section	.AMDGPU.csdata,"",@progbits
; Kernel info:
; codeLenInByte = 72
; NumSgprs: 36
; NumVgprs: 41
; ScratchSize: 64
; MemoryBound: 0
; FloatMode: 240
; IeeeMode: 1
; LDSByteSize: 0 bytes/workgroup (compile time only)
; SGPRBlocks: 4
; VGPRBlocks: 5
; NumSGPRsForWavesPerEU: 36
; NumVGPRsForWavesPerEU: 41
; Occupancy: 16
; WaveLimiterHint : 1
; COMPUTE_PGM_RSRC2:SCRATCH_EN: 1
; COMPUTE_PGM_RSRC2:USER_SGPR: 15
; COMPUTE_PGM_RSRC2:TRAP_HANDLER: 0
; COMPUTE_PGM_RSRC2:TGID_X_EN: 1
; COMPUTE_PGM_RSRC2:TGID_Y_EN: 0
; COMPUTE_PGM_RSRC2:TGID_Z_EN: 0
; COMPUTE_PGM_RSRC2:TIDIG_COMP_CNT: 0
	.section	.text._Z39paged_attention_ll4mi_QKV_mfma16_kernelI14__hip_bfloat16hLN4vllm18Fp8KVCacheDataTypeE1EhLi16ELi64ELi256ELb0ELi5EL8MFMAType1EEvPKT_PKT0_S9_ifPKiSB_SB_iPKfiiiPfSE_PS4_PT2_iSD_SD_,"axG",@progbits,_Z39paged_attention_ll4mi_QKV_mfma16_kernelI14__hip_bfloat16hLN4vllm18Fp8KVCacheDataTypeE1EhLi16ELi64ELi256ELb0ELi5EL8MFMAType1EEvPKT_PKT0_S9_ifPKiSB_SB_iPKfiiiPfSE_PS4_PT2_iSD_SD_,comdat
	.protected	_Z39paged_attention_ll4mi_QKV_mfma16_kernelI14__hip_bfloat16hLN4vllm18Fp8KVCacheDataTypeE1EhLi16ELi64ELi256ELb0ELi5EL8MFMAType1EEvPKT_PKT0_S9_ifPKiSB_SB_iPKfiiiPfSE_PS4_PT2_iSD_SD_ ; -- Begin function _Z39paged_attention_ll4mi_QKV_mfma16_kernelI14__hip_bfloat16hLN4vllm18Fp8KVCacheDataTypeE1EhLi16ELi64ELi256ELb0ELi5EL8MFMAType1EEvPKT_PKT0_S9_ifPKiSB_SB_iPKfiiiPfSE_PS4_PT2_iSD_SD_
	.globl	_Z39paged_attention_ll4mi_QKV_mfma16_kernelI14__hip_bfloat16hLN4vllm18Fp8KVCacheDataTypeE1EhLi16ELi64ELi256ELb0ELi5EL8MFMAType1EEvPKT_PKT0_S9_ifPKiSB_SB_iPKfiiiPfSE_PS4_PT2_iSD_SD_
	.p2align	8
	.type	_Z39paged_attention_ll4mi_QKV_mfma16_kernelI14__hip_bfloat16hLN4vllm18Fp8KVCacheDataTypeE1EhLi16ELi64ELi256ELb0ELi5EL8MFMAType1EEvPKT_PKT0_S9_ifPKiSB_SB_iPKfiiiPfSE_PS4_PT2_iSD_SD_,@function
_Z39paged_attention_ll4mi_QKV_mfma16_kernelI14__hip_bfloat16hLN4vllm18Fp8KVCacheDataTypeE1EhLi16ELi64ELi256ELb0ELi5EL8MFMAType1EEvPKT_PKT0_S9_ifPKiSB_SB_iPKfiiiPfSE_PS4_PT2_iSD_SD_: ; @_Z39paged_attention_ll4mi_QKV_mfma16_kernelI14__hip_bfloat16hLN4vllm18Fp8KVCacheDataTypeE1EhLi16ELi64ELi256ELb0ELi5EL8MFMAType1EEvPKT_PKT0_S9_ifPKiSB_SB_iPKfiiiPfSE_PS4_PT2_iSD_SD_
; %bb.0:
	s_load_b64 s[2:3], s[0:1], 0x30
	s_mov_b32 s34, s13
	s_waitcnt lgkmcnt(0)
	s_cmp_lg_u64 s[2:3], 0
	s_cselect_b32 s8, -1, 0
	s_ashr_i32 s35, s13, 31
	s_cmp_eq_u64 s[2:3], 0
	s_cbranch_scc1 .LBB1370_3
; %bb.1:
	s_lshl_b64 s[4:5], s[34:35], 2
	s_delay_alu instid0(SALU_CYCLE_1) | instskip(SKIP_4) | instid1(SALU_CYCLE_1)
	s_add_u32 s4, s2, s4
	s_addc_u32 s5, s3, s5
	s_load_b64 s[4:5], s[4:5], 0x0
	s_waitcnt lgkmcnt(0)
	s_sub_i32 s4, s5, s4
	s_cmp_eq_u32 s4, 1
	s_cselect_b32 s4, -1, 0
	s_delay_alu instid0(SALU_CYCLE_1)
	s_and_not1_b32 vcc_lo, exec_lo, s4
	s_cbranch_vccz .LBB1370_4
.LBB1370_2:
	s_nop 0
	s_sendmsg sendmsg(MSG_DEALLOC_VGPRS)
	s_endpgm
.LBB1370_3:
.LBB1370_4:
	s_load_b64 s[4:5], s[0:1], 0x28
	s_lshl_b64 s[6:7], s[34:35], 2
	s_waitcnt lgkmcnt(0)
	s_add_u32 s4, s4, s6
	s_addc_u32 s5, s5, s7
	s_lshl_b32 s12, s14, 8
	s_load_b32 s24, s[4:5], 0x0
	s_waitcnt lgkmcnt(0)
	s_cmp_ge_i32 s12, s24
	s_cbranch_scc1 .LBB1370_2
; %bb.5:
	s_clause 0x1
	s_load_b128 s[20:23], s[0:1], 0x8
	s_load_b64 s[4:5], s[0:1], 0x20
	s_and_not1_b32 vcc_lo, exec_lo, s8
	s_cbranch_vccnz .LBB1370_7
; %bb.6:
	s_add_u32 s2, s2, s6
	s_addc_u32 s3, s3, s7
	s_load_b32 s3, s[2:3], 0x0
	s_branch .LBB1370_8
.LBB1370_7:
	s_mov_b32 s3, s34
.LBB1370_8:
	s_load_b128 s[16:19], s[0:1], 0x48
	v_lshrrev_b32_e32 v66, 5, v0
	v_bfe_u32 v74, v0, 4, 1
	v_and_b32_e32 v65, 15, v0
	v_and_b32_e32 v67, 31, v0
	;; [unrolled: 1-line block ×3, first 2 shown]
	s_mul_i32 s31, s15, 5
	v_lshl_or_b32 v1, v66, 1, v74
	v_lshlrev_b32_e32 v2, 3, v65
	v_cmp_gt_u32_e64 s2, 8, v65
	s_delay_alu instid0(VALU_DEP_3) | instskip(NEXT) | instid1(VALU_DEP_3)
	v_cmp_gt_u32_e32 vcc_lo, 5, v1
	v_lshlrev_b32_e32 v73, 1, v2
	s_delay_alu instid0(VALU_DEP_3) | instskip(NEXT) | instid1(SALU_CYCLE_1)
	s_and_b32 s7, s2, vcc_lo
	s_and_saveexec_b32 s6, s7
	s_cbranch_execz .LBB1370_10
; %bb.9:
	s_load_b64 s[8:9], s[0:1], 0x0
	v_add_lshl_u32 v2, v1, s31, 6
	s_waitcnt lgkmcnt(0)
	s_mul_hi_i32 s11, s3, s16
	s_mul_i32 s10, s3, s16
	v_lshlrev_b32_e32 v6, 10, v65
	s_lshl_b64 s[10:11], s[10:11], 1
	v_ashrrev_i32_e32 v3, 31, v2
	v_lshlrev_b32_e32 v1, 6, v1
	v_lshlrev_b32_e32 v7, 10, v75
	v_and_b32_e32 v6, 0x3800, v6
	s_delay_alu instid0(VALU_DEP_4) | instskip(NEXT) | instid1(VALU_DEP_2)
	v_lshlrev_b64 v[2:3], 1, v[2:3]
	v_or3_b32 v1, v6, v7, v1
	s_add_u32 s3, s8, s10
	s_addc_u32 s7, s9, s11
	s_delay_alu instid0(VALU_DEP_2) | instskip(NEXT) | instid1(VALU_DEP_3)
	v_add_co_u32 v2, vcc_lo, s3, v2
	v_add_co_ci_u32_e32 v3, vcc_lo, s7, v3, vcc_lo
	s_delay_alu instid0(VALU_DEP_2) | instskip(NEXT) | instid1(VALU_DEP_2)
	v_add_co_u32 v2, vcc_lo, v2, v73
	v_add_co_ci_u32_e32 v3, vcc_lo, 0, v3, vcc_lo
	global_load_b128 v[2:5], v[2:3], off
	s_waitcnt vmcnt(0)
	ds_store_b128 v1, v[2:5]
.LBB1370_10:
	s_or_b32 exec_lo, exec_lo, s6
	v_and_b32_e32 v1, 0xef, v0
	s_waitcnt lgkmcnt(0)
	s_add_i32 s3, s24, 15
	s_clause 0x1
	s_load_b32 s6, s[0:1], 0x38
	s_load_b32 s19, s[0:1], 0x1c
	s_ashr_i32 s7, s3, 31
	v_add_nc_u32_e32 v1, s12, v1
	s_lshr_b32 s7, s7, 28
	s_waitcnt lgkmcnt(0)
	s_add_i32 s3, s3, s7
	s_barrier
	v_ashrrev_i32_e32 v2, 31, v1
	v_or_b32_e32 v3, 16, v1
	s_ashr_i32 s3, s3, 4
	v_cmp_gt_i32_e32 vcc_lo, s24, v1
	s_add_i32 s3, s3, -1
	v_lshrrev_b32_e32 v2, 28, v2
	buffer_gl0_inv
	s_mul_i32 s27, s15, s18
	v_add_nc_u32_e32 v4, v1, v2
	s_mul_i32 s6, s34, s6
	s_delay_alu instid0(SALU_CYCLE_1) | instskip(NEXT) | instid1(VALU_DEP_1)
	s_ashr_i32 s7, s6, 31
	v_ashrrev_i32_e32 v4, 4, v4
	v_add_nc_u32_e32 v2, v3, v2
	s_lshl_b64 s[6:7], s[6:7], 2
	s_delay_alu instid0(SALU_CYCLE_1) | instskip(NEXT) | instid1(VALU_DEP_2)
	s_add_u32 s26, s4, s6
	v_cndmask_b32_e32 v1, s3, v4, vcc_lo
	s_delay_alu instid0(VALU_DEP_2)
	v_ashrrev_i32_e32 v2, 4, v2
	v_cmp_gt_i32_e32 vcc_lo, s24, v3
	s_addc_u32 s25, s5, s7
	s_ashr_i32 s28, s27, 31
	s_add_u32 s13, s20, s27
	s_addc_u32 s15, s21, s28
	v_cndmask_b32_e32 v3, s3, v2, vcc_lo
	v_ashrrev_i32_e32 v2, 31, v1
	s_lshl_b32 s4, s14, 4
	s_delay_alu instid0(SALU_CYCLE_1) | instskip(NEXT) | instid1(VALU_DEP_2)
	s_ashr_i32 s5, s4, 31
	v_ashrrev_i32_e32 v4, 31, v3
	s_delay_alu instid0(VALU_DEP_2) | instskip(SKIP_1) | instid1(SALU_CYCLE_1)
	v_lshlrev_b64 v[1:2], 2, v[1:2]
	s_lshl_b64 s[4:5], s[4:5], 2
	s_add_u32 s4, s26, s4
	s_delay_alu instid0(VALU_DEP_2) | instskip(SKIP_1) | instid1(VALU_DEP_2)
	v_lshlrev_b64 v[3:4], 2, v[3:4]
	s_addc_u32 s5, s25, s5
	v_add_co_u32 v1, vcc_lo, s26, v1
	v_add_co_ci_u32_e32 v2, vcc_lo, s25, v2, vcc_lo
	s_delay_alu instid0(VALU_DEP_3) | instskip(NEXT) | instid1(VALU_DEP_4)
	v_add_co_u32 v3, vcc_lo, s26, v3
	v_add_co_ci_u32_e32 v4, vcc_lo, s25, v4, vcc_lo
	s_clause 0x1
	global_load_b32 v5, v[1:2], off
	global_load_b32 v7, v[3:4], off
	s_or_b32 s6, s12, 32
	v_lshlrev_b32_e32 v1, 4, v0
	s_ashr_i32 s7, s6, 4
	s_cmp_lt_i32 s6, s24
	s_cselect_b32 s6, s7, s3
	s_delay_alu instid0(VALU_DEP_1) | instskip(SKIP_1) | instid1(SALU_CYCLE_1)
	v_and_b32_e32 v1, 0xf0, v1
	s_ashr_i32 s7, s6, 31
	s_lshl_b64 s[6:7], s[6:7], 2
	s_delay_alu instid0(SALU_CYCLE_1)
	s_add_u32 s6, s26, s6
	s_addc_u32 s7, s25, s7
	s_or_b32 s8, s12, 64
	v_add_co_u32 v1, s13, s13, v1
	s_ashr_i32 s9, s8, 4
	s_cmp_lt_i32 s8, s24
	v_add_co_ci_u32_e64 v2, null, s15, 0, s13
	s_cselect_b32 s8, s9, s3
	s_delay_alu instid0(SALU_CYCLE_1) | instskip(NEXT) | instid1(SALU_CYCLE_1)
	s_ashr_i32 s9, s8, 31
	s_lshl_b64 s[8:9], s[8:9], 2
	s_delay_alu instid0(SALU_CYCLE_1) | instskip(SKIP_2) | instid1(SALU_CYCLE_1)
	s_add_u32 s8, s26, s8
	s_addc_u32 s9, s25, s9
	s_or_b32 s10, s12, 0x60
	s_ashr_i32 s11, s10, 4
	s_cmp_lt_i32 s10, s24
	s_cselect_b32 s10, s11, s3
	s_delay_alu instid0(SALU_CYCLE_1) | instskip(NEXT) | instid1(SALU_CYCLE_1)
	s_ashr_i32 s11, s10, 31
	s_lshl_b64 s[10:11], s[10:11], 2
	s_delay_alu instid0(SALU_CYCLE_1) | instskip(SKIP_2) | instid1(SALU_CYCLE_1)
	s_add_u32 s10, s26, s10
	s_addc_u32 s11, s25, s11
	s_or_b32 s16, s12, 0x80
	s_ashr_i32 s18, s16, 4
	s_cmp_lt_i32 s16, s24
	s_cselect_b32 s20, s18, s3
	s_delay_alu instid0(SALU_CYCLE_1) | instskip(NEXT) | instid1(SALU_CYCLE_1)
	s_ashr_i32 s21, s20, 31
	s_lshl_b64 s[20:21], s[20:21], 2
	s_delay_alu instid0(SALU_CYCLE_1) | instskip(SKIP_2) | instid1(SALU_CYCLE_1)
	s_add_u32 s36, s26, s20
	s_addc_u32 s37, s25, s21
	s_or_b32 s16, s12, 0xa0
	s_ashr_i32 s18, s16, 4
	s_cmp_lt_i32 s16, s24
	s_cselect_b32 s20, s18, s3
	s_delay_alu instid0(SALU_CYCLE_1) | instskip(NEXT) | instid1(SALU_CYCLE_1)
	s_ashr_i32 s21, s20, 31
	s_lshl_b64 s[20:21], s[20:21], 2
	s_delay_alu instid0(SALU_CYCLE_1)
	s_add_u32 s38, s26, s20
	s_addc_u32 s39, s25, s21
	s_clause 0x5
	s_load_b32 s21, s[4:5], 0x0
	s_load_b32 s13, s[6:7], 0x0
	;; [unrolled: 1-line block ×6, first 2 shown]
	s_or_b32 s9, s12, 0xc0
	s_mov_b32 s4, 0
	s_ashr_i32 s10, s9, 4
	s_cmp_lt_i32 s9, s24
	s_mov_b32 s11, s4
	s_cselect_b32 s36, s10, s3
	s_mov_b32 s5, s4
	s_ashr_i32 s37, s36, 31
	s_mov_b32 s6, s4
	s_lshl_b64 s[36:37], s[36:37], 2
	s_mov_b32 s7, s4
	s_add_u32 s36, s26, s36
	s_addc_u32 s37, s25, s37
	s_or_b32 s29, s12, 0xe0
	s_mov_b32 s8, s4
	s_ashr_i32 s30, s29, 4
	s_mov_b32 s9, s4
	s_mov_b32 s10, s4
	s_cmp_lt_i32 s29, s24
	v_dual_mov_b32 v107, s11 :: v_dual_mov_b32 v100, s4
	v_mov_b32_e32 v106, s10
	v_dual_mov_b32 v104, s8 :: v_dual_mov_b32 v103, s7
	v_dual_mov_b32 v102, s6 :: v_dual_mov_b32 v101, s5
	s_waitcnt vmcnt(1)
	v_mad_i64_i32 v[3:4], null, v5, s17, v[1:2]
	s_waitcnt vmcnt(0)
	v_mad_i64_i32 v[5:6], null, v7, s17, v[1:2]
	v_mul_lo_u16 v1, v65, 52
	v_lshlrev_b32_e32 v2, 4, v65
	s_clause 0x7
	global_load_b128 v[49:52], v[3:4], off
	global_load_b128 v[53:56], v[3:4], off offset:256
	global_load_b128 v[76:79], v[5:6], off
	global_load_b128 v[80:83], v[5:6], off offset:256
	global_load_b128 v[84:87], v[3:4], off offset:512
	global_load_b128 v[88:91], v[3:4], off offset:768
	global_load_b128 v[92:95], v[5:6], off offset:512
	global_load_b128 v[96:99], v[5:6], off offset:768
	v_lshrrev_b16 v1, 8, v1
	v_lshl_or_b32 v2, v66, 8, v2
	s_delay_alu instid0(VALU_DEP_2) | instskip(NEXT) | instid1(VALU_DEP_1)
	v_mul_lo_u16 v1, v1, 5
	v_sub_nc_u16 v1, v65, v1
	s_delay_alu instid0(VALU_DEP_1)
	v_and_b32_e32 v1, 0xff, v1
	v_mov_b32_e32 v105, s9
	s_cselect_b32 s4, s30, s3
	s_load_b32 s3, s[36:37], 0x0
	s_ashr_i32 s5, s4, 31
	v_lshlrev_b32_e32 v70, 6, v1
	s_lshl_b64 s[4:5], s[4:5], 2
	ds_load_b128 v[108:111], v70
	ds_load_b128 v[112:115], v70 offset:1024
	s_add_u32 s4, s26, s4
	s_addc_u32 s5, s25, s5
	s_add_u32 s6, s22, s27
	s_load_b32 s4, s[4:5], 0x0
	s_addc_u32 s7, s23, s28
	v_add_co_u32 v9, s6, s6, v2
	s_delay_alu instid0(VALU_DEP_1) | instskip(SKIP_1) | instid1(VALU_DEP_1)
	v_add_co_ci_u32_e64 v10, null, s7, 0, s6
	s_waitcnt lgkmcnt(0)
	v_mad_i64_i32 v[1:2], null, s21, s17, v[9:10]
	v_mad_i64_i32 v[3:4], null, s13, s17, v[9:10]
	v_mad_i64_i32 v[5:6], null, s15, s17, v[9:10]
	v_mad_i64_i32 v[7:8], null, s16, s17, v[9:10]
	v_mad_i64_i32 v[13:14], null, s20, s17, v[9:10]
	v_mad_i64_i32 v[11:12], null, s18, s17, v[9:10]
	v_mad_i64_i32 v[21:22], null, s3, s17, v[9:10]
	s_clause 0x9
	global_load_b128 v[57:60], v[1:2], off
	global_load_b128 v[61:64], v[1:2], off offset:16
	global_load_b128 v[41:44], v[3:4], off
	global_load_b128 v[45:48], v[3:4], off offset:16
	;; [unrolled: 2-line block ×5, first 2 shown]
	v_mad_i64_i32 v[68:69], null, s4, s17, v[9:10]
	s_clause 0x3
	global_load_b128 v[9:12], v[13:14], off
	global_load_b128 v[13:16], v[13:14], off offset:16
	global_load_b128 v[17:20], v[21:22], off
	global_load_b128 v[21:24], v[21:22], off offset:16
	s_waitcnt vmcnt(20)
	v_wmma_f32_16x16x16_bf16 v[116:123], v[49:56], v[108:115], v[100:107]
	s_clause 0x1
	global_load_b128 v[49:52], v[68:69], off
	global_load_b128 v[53:56], v[68:69], off offset:16
	v_and_b32_e32 v68, 0xe0, v0
	v_mbcnt_lo_u32_b32 v69, -1, 0
	s_delay_alu instid0(VALU_DEP_2)
	v_add_nc_u32_e32 v68, s12, v68
	s_waitcnt vmcnt(20)
	v_wmma_f32_16x16x16_bf16 v[100:107], v[76:83], v[108:115], v[100:107]
	ds_load_b128 v[76:79], v70 offset:2048
	ds_load_b128 v[80:83], v70 offset:3072
	v_xor_b32_e32 v70, 16, v69
	s_waitcnt vmcnt(0) lgkmcnt(0)
	v_or_b32_e32 v68, v68, v74
	s_barrier
	buffer_gl0_inv
	v_cmp_gt_i32_e32 vcc_lo, 32, v70
	v_or_b32_e32 v71, 4, v68
	v_or_b32_e32 v72, 6, v68
	v_cmp_gt_i32_e64 s3, s24, v68
	v_or_b32_e32 v108, 8, v68
	v_or_b32_e32 v109, 10, v68
	v_cmp_gt_i32_e64 s4, s24, v71
	v_cmp_gt_i32_e64 s5, s24, v72
	s_delay_alu instid0(VALU_DEP_4) | instskip(NEXT) | instid1(VALU_DEP_4)
	v_cmp_gt_i32_e64 s6, s24, v108
	v_cmp_gt_i32_e64 s7, s24, v109
	v_wmma_f32_16x16x16_bf16 v[116:123], v[84:91], v[76:83], v[116:123]
	v_cndmask_b32_e32 v69, v69, v70, vcc_lo
	v_or_b32_e32 v70, 2, v68
	v_wmma_f32_16x16x16_bf16 v[100:107], v[92:99], v[76:83], v[100:107]
	v_or_b32_e32 v89, 22, v68
	v_dual_mul_f32 v80, s19, v121 :: v_dual_mul_f32 v81, s19, v120
	v_dual_mul_f32 v92, s19, v117 :: v_dual_mul_f32 v93, s19, v116
	s_delay_alu instid0(VALU_DEP_4)
	v_mul_f32_e32 v96, s19, v105
	v_cmp_gt_i32_e32 vcc_lo, s24, v70
	v_dual_mul_f32 v79, s19, v122 :: v_dual_mul_f32 v82, s19, v119
	v_dual_mul_f32 v83, s19, v118 :: v_dual_mul_f32 v94, s19, v107
	v_cndmask_b32_e64 v93, 0xff7fffff, v93, s3
	v_cndmask_b32_e32 v92, 0xff7fffff, v92, vcc_lo
	v_or_b32_e32 v84, 12, v68
	v_or_b32_e32 v85, 14, v68
	v_cndmask_b32_e64 v71, 0xff7fffff, v83, s4
	v_cndmask_b32_e64 v72, 0xff7fffff, v82, s5
	v_cmp_gt_i32_e64 s13, s24, v89
	v_lshlrev_b32_e32 v89, 2, v69
	v_max3_f32 v82, v93, 0xff7fffff, v92
	v_or_b32_e32 v86, 16, v68
	v_or_b32_e32 v87, 18, v68
	v_mul_f32_e32 v78, s19, v123
	v_cndmask_b32_e64 v81, 0xff7fffff, v81, s6
	v_cndmask_b32_e64 v80, 0xff7fffff, v80, s7
	v_max3_f32 v71, v82, v71, v72
	v_cmp_gt_i32_e64 s8, s24, v84
	v_cmp_gt_i32_e64 s9, s24, v85
	v_or_b32_e32 v88, 20, v68
	v_or_b32_e32 v90, 24, v68
	;; [unrolled: 1-line block ×5, first 2 shown]
	v_dual_mul_f32 v97, s19, v104 :: v_dual_mul_f32 v70, s19, v101
	v_dual_mul_f32 v99, s19, v102 :: v_dual_mul_f32 v68, s19, v100
	v_cndmask_b32_e64 v72, 0xff7fffff, v79, s8
	v_cndmask_b32_e64 v78, 0xff7fffff, v78, s9
	v_max3_f32 v71, v71, v81, v80
	v_cmp_gt_i32_e64 s10, s24, v86
	v_cmp_gt_i32_e64 s11, s24, v87
	v_dual_mul_f32 v95, s19, v106 :: v_dual_mul_f32 v98, s19, v103
	s_delay_alu instid0(VALU_DEP_4) | instskip(NEXT) | instid1(VALU_DEP_4)
	v_max3_f32 v71, v71, v72, v78
	v_cndmask_b32_e64 v68, 0xff7fffff, v68, s10
	s_delay_alu instid0(VALU_DEP_4)
	v_cndmask_b32_e64 v70, 0xff7fffff, v70, s11
	v_cmp_gt_i32_e64 s12, s24, v88
	v_cndmask_b32_e64 v78, 0xff7fffff, v98, s13
	v_cmp_gt_i32_e64 s15, s24, v90
	v_cmp_gt_i32_e64 s16, s24, v91
	v_max3_f32 v68, v71, v68, v70
	v_cndmask_b32_e64 v72, 0xff7fffff, v99, s12
	v_cmp_gt_i32_e64 s17, s24, v76
	v_cndmask_b32_e64 v70, 0xff7fffff, v97, s15
	v_cndmask_b32_e64 v71, 0xff7fffff, v96, s16
	v_cmp_gt_i32_e64 s18, s24, v77
	v_max3_f32 v68, v68, v72, v78
	v_cndmask_b32_e64 v72, 0xff7fffff, v95, s17
	s_delay_alu instid0(VALU_DEP_3) | instskip(NEXT) | instid1(VALU_DEP_3)
	v_cndmask_b32_e64 v76, 0xff7fffff, v94, s18
	v_max3_f32 v68, v68, v70, v71
	s_delay_alu instid0(VALU_DEP_1) | instskip(SKIP_3) | instid1(VALU_DEP_1)
	v_max3_f32 v68, v68, v72, v76
	ds_bpermute_b32 v69, v89, v68
	s_waitcnt lgkmcnt(0)
	v_max_f32_e32 v69, v69, v69
	v_max_f32_e32 v68, v68, v69
	s_delay_alu instid0(VALU_DEP_1) | instskip(NEXT) | instid1(VALU_DEP_1)
	v_fma_f32 v71, s19, v118, -v68
	v_mul_f32_e32 v71, 0x3fb8aa3b, v71
	v_fma_f32 v70, s19, v117, -v68
	v_fma_f32 v69, s19, v116, -v68
	;; [unrolled: 1-line block ×5, first 2 shown]
	s_delay_alu instid0(VALU_DEP_4) | instskip(SKIP_1) | instid1(VALU_DEP_3)
	v_dual_mul_f32 v70, 0x3fb8aa3b, v70 :: v_dual_mul_f32 v69, 0x3fb8aa3b, v69
	v_exp_f32_e32 v71, v71
	v_mul_f32_e32 v72, 0x3fb8aa3b, v72
	v_fma_f32 v81, s19, v105, -v68
	s_delay_alu instid0(VALU_DEP_3)
	v_exp_f32_e32 v70, v70
	v_mul_f32_e32 v77, 0x3fb8aa3b, v76
	v_exp_f32_e32 v69, v69
	v_exp_f32_e32 v72, v72
	v_mul_f32_e32 v81, 0x3fb8aa3b, v81
	v_cndmask_b32_e64 v83, 0, v71, s4
	v_fma_f32 v71, s19, v123, -v68
	s_delay_alu instid0(VALU_DEP_3) | instskip(SKIP_4) | instid1(TRANS32_DEP_3)
	v_exp_f32_e32 v81, v81
	v_cndmask_b32_e32 v76, 0, v70, vcc_lo
	v_exp_f32_e32 v77, v77
	v_cndmask_b32_e64 v80, 0, v69, s3
	v_fma_f32 v69, s19, v121, -v68
	v_cndmask_b32_e64 v85, 0, v72, s5
	v_mul_f32_e32 v71, 0x3fb8aa3b, v71
	v_fma_f32 v72, s19, v100, -v68
	s_delay_alu instid0(VALU_DEP_4) | instskip(SKIP_1) | instid1(VALU_DEP_4)
	v_dual_add_f32 v70, 0, v80 :: v_dual_mul_f32 v69, 0x3fb8aa3b, v69
	v_cmp_gt_u32_e64 s3, 16, v67
	v_exp_f32_e32 v71, v71
	s_delay_alu instid0(TRANS32_DEP_2) | instskip(SKIP_4) | instid1(VALU_DEP_3)
	v_cndmask_b32_e64 v86, 0, v77, s6
	v_fma_f32 v77, s19, v101, -v68
	v_mul_f32_e32 v78, 0x3fb8aa3b, v78
	v_add_f32_e32 v70, v70, v76
	v_exp_f32_e32 v69, v69
	v_mul_f32_e32 v77, 0x3fb8aa3b, v77
	s_delay_alu instid0(VALU_DEP_3) | instskip(NEXT) | instid1(TRANS32_DEP_3)
	v_exp_f32_e32 v78, v78
	v_cndmask_b32_e64 v88, 0, v71, s9
	v_fma_f32 v71, s19, v104, -v68
	s_delay_alu instid0(VALU_DEP_3) | instskip(NEXT) | instid1(TRANS32_DEP_3)
	v_exp_f32_e32 v77, v77
	v_cndmask_b32_e64 v87, 0, v69, s7
	s_delay_alu instid0(VALU_DEP_2)
	v_mul_f32_e32 v71, 0x3fb8aa3b, v71
	s_waitcnt_depctr 0xfff
	v_cndmask_b32_e64 v84, 0, v78, s8
	v_add_f32_e32 v70, v70, v83
	v_fma_f32 v78, s19, v103, -v68
	v_exp_f32_e32 v82, v71
	s_delay_alu instid0(VALU_DEP_2) | instskip(SKIP_1) | instid1(VALU_DEP_3)
	v_add_f32_e32 v70, v70, v85
	v_mul_f32_e32 v72, 0x3fb8aa3b, v72
	v_mul_f32_e32 v78, 0x3fb8aa3b, v78
	s_delay_alu instid0(VALU_DEP_3) | instskip(SKIP_1) | instid1(VALU_DEP_4)
	v_add_f32_e32 v69, v70, v86
	v_fma_f32 v70, s19, v102, -v68
	v_exp_f32_e32 v72, v72
	s_delay_alu instid0(VALU_DEP_3) | instskip(NEXT) | instid1(VALU_DEP_1)
	v_exp_f32_e32 v78, v78
	v_dual_add_f32 v69, v69, v87 :: v_dual_mul_f32 v70, 0x3fb8aa3b, v70
	s_delay_alu instid0(VALU_DEP_1) | instskip(NEXT) | instid1(VALU_DEP_2)
	v_add_f32_e32 v69, v69, v84
	v_exp_f32_e32 v79, v70
	s_delay_alu instid0(TRANS32_DEP_3) | instskip(NEXT) | instid1(VALU_DEP_2)
	v_cndmask_b32_e64 v70, 0, v72, s10
	v_add_f32_e32 v72, v69, v88
	v_cndmask_b32_e64 v69, 0, v77, s11
	v_fma_f32 v77, s19, v106, -v68
	s_waitcnt_depctr 0xfff
	v_cndmask_b32_e64 v71, 0, v79, s12
	v_dual_mul_f32 v77, 0x3fb8aa3b, v77 :: v_dual_add_f32 v72, v72, v70
	s_delay_alu instid0(VALU_DEP_1) | instskip(NEXT) | instid1(VALU_DEP_1)
	v_exp_f32_e32 v90, v77
	v_add_f32_e32 v79, v72, v69
	v_cndmask_b32_e64 v72, 0, v78, s13
	v_cndmask_b32_e64 v77, 0, v82, s15
	s_delay_alu instid0(VALU_DEP_3) | instskip(SKIP_1) | instid1(VALU_DEP_1)
	v_add_f32_e32 v78, v79, v71
	v_fma_f32 v79, s19, v107, -v68
	v_dual_add_f32 v82, v78, v72 :: v_dual_mul_f32 v79, 0x3fb8aa3b, v79
	v_cndmask_b32_e64 v78, 0, v81, s16
	s_delay_alu instid0(VALU_DEP_2) | instskip(NEXT) | instid1(VALU_DEP_3)
	v_add_f32_e32 v81, v82, v77
	v_exp_f32_e32 v82, v79
	v_cndmask_b32_e64 v79, 0, v90, s17
	s_delay_alu instid0(VALU_DEP_2) | instskip(NEXT) | instid1(VALU_DEP_1)
	v_add_f32_e32 v81, v81, v78
	v_add_f32_e32 v90, v81, v79
	s_waitcnt_depctr 0xfff
	v_cndmask_b32_e64 v81, 0, v82, s18
	s_delay_alu instid0(VALU_DEP_1)
	v_add_f32_e32 v82, v90, v81
	ds_bpermute_b32 v89, v89, v82
	s_and_saveexec_b32 s4, s3
	s_cbranch_execz .LBB1370_12
; %bb.11:
	v_mul_u32_u24_e32 v67, 0x44, v66
	s_delay_alu instid0(VALU_DEP_1) | instskip(SKIP_1) | instid1(VALU_DEP_1)
	v_lshl_add_u32 v67, v65, 2, v67
	s_waitcnt lgkmcnt(0)
	v_dual_add_f32 v82, v82, v89 :: v_dual_add_nc_u32 v67, 0x4000, v67
	ds_store_2addr_b32 v67, v68, v82 offset1:136
.LBB1370_12:
	s_or_b32 exec_lo, exec_lo, s4
	v_lshlrev_b32_e32 v67, 2, v65
	s_waitcnt lgkmcnt(0)
	s_barrier
	buffer_gl0_inv
	v_cmp_eq_u32_e32 vcc_lo, 1, v66
	v_add_nc_u32_e32 v82, 0x4000, v67
	v_cmp_eq_u32_e64 s4, 2, v66
	v_cmp_eq_u32_e64 s6, 7, v66
	ds_load_2addr_b32 v[89:90], v82 offset1:17
	ds_load_2addr_b32 v[91:92], v82 offset0:34 offset1:51
	ds_load_2addr_b32 v[93:94], v82 offset0:68 offset1:85
	;; [unrolled: 1-line block ×4, first 2 shown]
	s_waitcnt lgkmcnt(4)
	v_max3_f32 v67, v89, 0xff7fffff, v90
	s_waitcnt lgkmcnt(3)
	s_delay_alu instid0(VALU_DEP_1) | instskip(SKIP_1) | instid1(VALU_DEP_1)
	v_max3_f32 v67, v67, v91, v92
	s_waitcnt lgkmcnt(2)
	v_max3_f32 v67, v67, v93, v94
	s_waitcnt lgkmcnt(1)
	s_delay_alu instid0(VALU_DEP_1) | instskip(NEXT) | instid1(VALU_DEP_1)
	v_max3_f32 v67, v67, v95, v96
	v_sub_f32_e32 v93, v93, v67
	s_delay_alu instid0(VALU_DEP_1) | instskip(NEXT) | instid1(VALU_DEP_1)
	v_dual_sub_f32 v68, v89, v67 :: v_dual_mul_f32 v103, 0x3fb8aa3b, v93
	v_mul_f32_e32 v68, 0x3fb8aa3b, v68
	s_delay_alu instid0(VALU_DEP_1)
	v_exp_f32_e32 v100, v68
	v_sub_f32_e32 v68, v92, v67
	v_sub_f32_e32 v99, v90, v67
	ds_load_2addr_b32 v[89:90], v82 offset0:170 offset1:187
	v_dual_mul_f32 v102, 0x3fb8aa3b, v68 :: v_dual_mul_f32 v99, 0x3fb8aa3b, v99
	s_waitcnt lgkmcnt(1)
	v_fma_f32 v68, v100, v97, 0
	s_delay_alu instid0(VALU_DEP_2) | instskip(NEXT) | instid1(VALU_DEP_2)
	v_exp_f32_e32 v102, v102
	v_exp_f32_e32 v99, v99
	s_waitcnt_depctr 0xfff
	v_fmac_f32_e32 v68, v99, v98
	v_sub_f32_e32 v91, v91, v67
	s_delay_alu instid0(VALU_DEP_1)
	v_mul_f32_e32 v101, 0x3fb8aa3b, v91
	ds_load_2addr_b32 v[91:92], v82 offset0:204 offset1:221
	v_sub_f32_e32 v97, v94, v67
	ds_load_2addr_b32 v[93:94], v82 offset0:238 offset1:255
	s_waitcnt lgkmcnt(0)
	v_exp_f32_e32 v101, v101
	s_barrier
	buffer_gl0_inv
	v_dual_fmac_f32 v68, v101, v89 :: v_dual_sub_f32 v89, v96, v67
	v_dual_sub_f32 v82, v95, v67 :: v_dual_mul_f32 v95, 0x3fb8aa3b, v97
	v_exp_f32_e32 v97, v103
	s_delay_alu instid0(VALU_DEP_2) | instskip(NEXT) | instid1(VALU_DEP_2)
	v_dual_fmac_f32 v68, v102, v90 :: v_dual_mul_f32 v89, 0x3fb8aa3b, v89
	v_mul_f32_e32 v82, 0x3fb8aa3b, v82
	s_delay_alu instid0(VALU_DEP_3) | instskip(NEXT) | instid1(VALU_DEP_2)
	v_exp_f32_e32 v95, v95
	v_exp_f32_e32 v89, v89
	s_delay_alu instid0(VALU_DEP_1)
	v_exp_f32_e32 v82, v82
	v_fmac_f32_e32 v68, v97, v91
	s_delay_alu instid0(TRANS32_DEP_3) | instid1(VALU_DEP_1)
	v_fmac_f32_e32 v68, v95, v92
	s_waitcnt_depctr 0xfff
	v_fmac_f32_e32 v68, v82, v93
	s_delay_alu instid0(VALU_DEP_1) | instskip(NEXT) | instid1(VALU_DEP_1)
	v_fmac_f32_e32 v68, v89, v94
	v_add_f32_e32 v90, 0x358637bd, v68
	s_delay_alu instid0(VALU_DEP_1) | instskip(NEXT) | instid1(VALU_DEP_1)
	v_div_scale_f32 v91, null, v90, v90, 1.0
	v_rcp_f32_e32 v92, v91
	s_waitcnt_depctr 0xfff
	v_fma_f32 v93, -v91, v92, 1.0
	s_delay_alu instid0(VALU_DEP_1) | instskip(SKIP_1) | instid1(VALU_DEP_2)
	v_dual_fmac_f32 v92, v93, v92 :: v_dual_cndmask_b32 v93, v100, v99
	v_cmp_eq_u32_e32 vcc_lo, 3, v66
	v_cndmask_b32_e64 v93, v93, v101, s4
	v_cmp_eq_u32_e64 s4, 4, v66
	s_delay_alu instid0(VALU_DEP_2) | instskip(SKIP_1) | instid1(VALU_DEP_2)
	v_cndmask_b32_e32 v93, v93, v102, vcc_lo
	v_cmp_eq_u32_e32 vcc_lo, 5, v66
	v_cndmask_b32_e64 v93, v93, v97, s4
	v_cmp_eq_u32_e64 s4, 6, v66
	s_delay_alu instid0(VALU_DEP_2) | instskip(SKIP_1) | instid1(VALU_DEP_1)
	v_cndmask_b32_e32 v93, v93, v95, vcc_lo
	v_div_scale_f32 v94, s5, 1.0, v90, 1.0
	s_mov_b32 vcc_lo, s5
	s_delay_alu instid0(VALU_DEP_2) | instskip(NEXT) | instid1(VALU_DEP_2)
	v_cndmask_b32_e64 v82, v93, v82, s4
	v_mul_f32_e32 v96, v94, v92
	s_mov_b32 s4, exec_lo
	s_delay_alu instid0(VALU_DEP_2) | instskip(NEXT) | instid1(VALU_DEP_2)
	v_cndmask_b32_e64 v82, v82, v89, s6
	v_fma_f32 v98, -v91, v96, v94
	s_delay_alu instid0(VALU_DEP_1) | instskip(NEXT) | instid1(VALU_DEP_1)
	v_fmac_f32_e32 v96, v98, v92
	v_fma_f32 v91, -v91, v96, v94
	s_delay_alu instid0(VALU_DEP_1) | instskip(NEXT) | instid1(VALU_DEP_1)
	v_div_fmas_f32 v91, v91, v92, v96
	v_div_fixup_f32 v90, v91, v90, 1.0
	s_delay_alu instid0(VALU_DEP_1) | instskip(NEXT) | instid1(VALU_DEP_1)
	v_mul_f32_e32 v82, v82, v90
	v_mul_f32_e32 v87, v82, v87
	v_mul_f32_e32 v90, v82, v80
	v_mul_f32_e32 v80, v82, v88
	v_mul_f32_e32 v84, v82, v84
	v_mul_f32_e32 v88, v82, v86
	v_mul_f32_e32 v89, v82, v85
	v_dual_mul_f32 v86, v82, v83 :: v_dual_and_b32 v91, 0x7f800000, v90
	v_mul_f32_e32 v85, v82, v76
                                        ; implicit-def: $vgpr76
	s_delay_alu instid0(VALU_DEP_2)
	v_cmpx_ne_u32_e32 0x7f800000, v91
	s_xor_b32 s4, exec_lo, s4
; %bb.13:
	v_bfe_u32 v76, v90, 16, 1
	s_delay_alu instid0(VALU_DEP_1)
	v_add3_u32 v76, v90, v76, 0x7fff
                                        ; implicit-def: $vgpr90
; %bb.14:
	s_and_not1_saveexec_b32 s4, s4
; %bb.15:
	v_and_b32_e32 v76, 0xffff, v90
	v_or_b32_e32 v83, 0x10000, v90
	s_delay_alu instid0(VALU_DEP_2) | instskip(NEXT) | instid1(VALU_DEP_2)
	v_cmp_eq_u32_e32 vcc_lo, 0, v76
	v_cndmask_b32_e32 v76, v83, v90, vcc_lo
; %bb.16:
	s_or_b32 exec_lo, exec_lo, s4
	v_and_b32_e32 v83, 0x7f800000, v85
	s_delay_alu instid0(VALU_DEP_1) | instskip(SKIP_1) | instid1(SALU_CYCLE_1)
	v_cmp_ne_u32_e32 vcc_lo, 0x7f800000, v83
                                        ; implicit-def: $vgpr83
	s_and_saveexec_b32 s4, vcc_lo
	s_xor_b32 s4, exec_lo, s4
; %bb.17:
	v_bfe_u32 v83, v85, 16, 1
	s_delay_alu instid0(VALU_DEP_1)
	v_add3_u32 v83, v85, v83, 0x7fff
                                        ; implicit-def: $vgpr85
; %bb.18:
	s_and_not1_saveexec_b32 s4, s4
; %bb.19:
	v_and_b32_e32 v83, 0xffff, v85
	v_or_b32_e32 v90, 0x10000, v85
	s_delay_alu instid0(VALU_DEP_2) | instskip(NEXT) | instid1(VALU_DEP_2)
	v_cmp_eq_u32_e32 vcc_lo, 0, v83
	v_cndmask_b32_e32 v83, v90, v85, vcc_lo
; %bb.20:
	s_or_b32 exec_lo, exec_lo, s4
	v_and_b32_e32 v85, 0x7f800000, v86
	s_delay_alu instid0(VALU_DEP_1) | instskip(SKIP_1) | instid1(SALU_CYCLE_1)
	v_cmp_ne_u32_e32 vcc_lo, 0x7f800000, v85
                                        ; implicit-def: $vgpr85
	s_and_saveexec_b32 s4, vcc_lo
	s_xor_b32 s4, exec_lo, s4
; %bb.21:
	v_bfe_u32 v85, v86, 16, 1
	s_delay_alu instid0(VALU_DEP_1)
	v_add3_u32 v85, v86, v85, 0x7fff
                                        ; implicit-def: $vgpr86
; %bb.22:
	s_and_not1_saveexec_b32 s4, s4
; %bb.23:
	v_and_b32_e32 v85, 0xffff, v86
	v_or_b32_e32 v90, 0x10000, v86
	s_delay_alu instid0(VALU_DEP_2) | instskip(NEXT) | instid1(VALU_DEP_2)
	v_cmp_eq_u32_e32 vcc_lo, 0, v85
	v_cndmask_b32_e32 v85, v90, v86, vcc_lo
; %bb.24:
	s_or_b32 exec_lo, exec_lo, s4
	v_and_b32_e32 v86, 0x7f800000, v89
	s_delay_alu instid0(VALU_DEP_1) | instskip(SKIP_1) | instid1(SALU_CYCLE_1)
	v_cmp_ne_u32_e32 vcc_lo, 0x7f800000, v86
                                        ; implicit-def: $vgpr86
	s_and_saveexec_b32 s4, vcc_lo
	s_xor_b32 s4, exec_lo, s4
; %bb.25:
	v_bfe_u32 v86, v89, 16, 1
	s_delay_alu instid0(VALU_DEP_1)
	v_add3_u32 v86, v89, v86, 0x7fff
                                        ; implicit-def: $vgpr89
; %bb.26:
	s_and_not1_saveexec_b32 s4, s4
; %bb.27:
	v_and_b32_e32 v86, 0xffff, v89
	v_or_b32_e32 v90, 0x10000, v89
	s_delay_alu instid0(VALU_DEP_2) | instskip(NEXT) | instid1(VALU_DEP_2)
	v_cmp_eq_u32_e32 vcc_lo, 0, v86
	v_cndmask_b32_e32 v86, v90, v89, vcc_lo
; %bb.28:
	s_or_b32 exec_lo, exec_lo, s4
	v_and_b32_e32 v89, 0x7f800000, v88
	s_delay_alu instid0(VALU_DEP_1) | instskip(SKIP_1) | instid1(SALU_CYCLE_1)
	v_cmp_ne_u32_e32 vcc_lo, 0x7f800000, v89
                                        ; implicit-def: $vgpr89
	s_and_saveexec_b32 s4, vcc_lo
	s_xor_b32 s4, exec_lo, s4
; %bb.29:
	v_bfe_u32 v89, v88, 16, 1
	s_delay_alu instid0(VALU_DEP_1)
	v_add3_u32 v89, v88, v89, 0x7fff
                                        ; implicit-def: $vgpr88
; %bb.30:
	s_and_not1_saveexec_b32 s4, s4
; %bb.31:
	v_and_b32_e32 v89, 0xffff, v88
	v_or_b32_e32 v90, 0x10000, v88
	s_delay_alu instid0(VALU_DEP_2) | instskip(NEXT) | instid1(VALU_DEP_2)
	v_cmp_eq_u32_e32 vcc_lo, 0, v89
	v_cndmask_b32_e32 v89, v90, v88, vcc_lo
; %bb.32:
	s_or_b32 exec_lo, exec_lo, s4
	v_and_b32_e32 v88, 0x7f800000, v87
	s_delay_alu instid0(VALU_DEP_1) | instskip(SKIP_1) | instid1(SALU_CYCLE_1)
	v_cmp_ne_u32_e32 vcc_lo, 0x7f800000, v88
                                        ; implicit-def: $vgpr88
	s_and_saveexec_b32 s4, vcc_lo
	s_xor_b32 s4, exec_lo, s4
; %bb.33:
	v_bfe_u32 v88, v87, 16, 1
	s_delay_alu instid0(VALU_DEP_1)
	v_add3_u32 v88, v87, v88, 0x7fff
                                        ; implicit-def: $vgpr87
; %bb.34:
	s_and_not1_saveexec_b32 s4, s4
; %bb.35:
	v_and_b32_e32 v88, 0xffff, v87
	v_or_b32_e32 v90, 0x10000, v87
	s_delay_alu instid0(VALU_DEP_2) | instskip(NEXT) | instid1(VALU_DEP_2)
	v_cmp_eq_u32_e32 vcc_lo, 0, v88
	v_cndmask_b32_e32 v88, v90, v87, vcc_lo
; %bb.36:
	s_or_b32 exec_lo, exec_lo, s4
	v_and_b32_e32 v87, 0x7f800000, v84
	s_delay_alu instid0(VALU_DEP_1) | instskip(SKIP_1) | instid1(SALU_CYCLE_1)
	v_cmp_ne_u32_e32 vcc_lo, 0x7f800000, v87
                                        ; implicit-def: $vgpr87
	s_and_saveexec_b32 s4, vcc_lo
	s_xor_b32 s4, exec_lo, s4
; %bb.37:
	v_bfe_u32 v87, v84, 16, 1
	s_delay_alu instid0(VALU_DEP_1)
	v_add3_u32 v87, v84, v87, 0x7fff
                                        ; implicit-def: $vgpr84
; %bb.38:
	s_and_not1_saveexec_b32 s4, s4
; %bb.39:
	v_and_b32_e32 v87, 0xffff, v84
	v_or_b32_e32 v90, 0x10000, v84
	s_delay_alu instid0(VALU_DEP_2) | instskip(NEXT) | instid1(VALU_DEP_2)
	v_cmp_eq_u32_e32 vcc_lo, 0, v87
	v_cndmask_b32_e32 v87, v90, v84, vcc_lo
; %bb.40:
	s_or_b32 exec_lo, exec_lo, s4
	v_and_b32_e32 v84, 0x7f800000, v80
	s_delay_alu instid0(VALU_DEP_1) | instskip(SKIP_1) | instid1(SALU_CYCLE_1)
	v_cmp_ne_u32_e32 vcc_lo, 0x7f800000, v84
                                        ; implicit-def: $vgpr84
	s_and_saveexec_b32 s4, vcc_lo
	s_xor_b32 s4, exec_lo, s4
; %bb.41:
	v_bfe_u32 v84, v80, 16, 1
	s_delay_alu instid0(VALU_DEP_1)
	v_add3_u32 v84, v80, v84, 0x7fff
                                        ; implicit-def: $vgpr80
; %bb.42:
	s_and_not1_saveexec_b32 s4, s4
; %bb.43:
	v_and_b32_e32 v84, 0xffff, v80
	v_or_b32_e32 v90, 0x10000, v80
	s_delay_alu instid0(VALU_DEP_2) | instskip(NEXT) | instid1(VALU_DEP_2)
	v_cmp_eq_u32_e32 vcc_lo, 0, v84
	v_cndmask_b32_e32 v84, v90, v80, vcc_lo
; %bb.44:
	s_or_b32 exec_lo, exec_lo, s4
	s_load_b64 s[36:37], s[0:1], 0x94
	v_lshlrev_b32_e32 v91, 4, v74
	s_delay_alu instid0(VALU_DEP_2)
	v_perm_b32 v90, v84, v87, 0x7060302
	v_dual_mul_f32 v79, v82, v79 :: v_dual_lshlrev_b32 v80, 6, v65
	v_dual_mul_f32 v77, v82, v77 :: v_dual_lshlrev_b32 v92, 11, v66
	v_mul_f32_e32 v84, v82, v70
	v_perm_b32 v89, v88, v89, 0x7060302
	v_perm_b32 v88, v86, v85, 0x7060302
	;; [unrolled: 1-line block ×3, first 2 shown]
	v_mul_f32_e32 v70, v82, v81
	v_or3_b32 v76, v91, v92, v80
	v_dual_mul_f32 v78, v82, v78 :: v_dual_and_b32 v85, 0x7f800000, v84
	v_mul_f32_e32 v83, v82, v72
	v_mul_f32_e32 v81, v82, v71
	v_mul_f32_e32 v72, v82, v69
	s_mov_b32 s4, exec_lo
	ds_store_b128 v76, v[87:90]
                                        ; implicit-def: $vgpr69
	v_cmpx_ne_u32_e32 0x7f800000, v85
	s_xor_b32 s4, exec_lo, s4
; %bb.45:
	v_bfe_u32 v69, v84, 16, 1
	s_delay_alu instid0(VALU_DEP_1)
	v_add3_u32 v69, v84, v69, 0x7fff
                                        ; implicit-def: $vgpr84
; %bb.46:
	s_and_not1_saveexec_b32 s4, s4
; %bb.47:
	v_and_b32_e32 v69, 0xffff, v84
	v_or_b32_e32 v71, 0x10000, v84
	s_delay_alu instid0(VALU_DEP_2) | instskip(NEXT) | instid1(VALU_DEP_2)
	v_cmp_eq_u32_e32 vcc_lo, 0, v69
	v_cndmask_b32_e32 v69, v71, v84, vcc_lo
; %bb.48:
	s_or_b32 exec_lo, exec_lo, s4
	v_and_b32_e32 v71, 0x7f800000, v72
	s_delay_alu instid0(VALU_DEP_1) | instskip(SKIP_1) | instid1(SALU_CYCLE_1)
	v_cmp_ne_u32_e32 vcc_lo, 0x7f800000, v71
                                        ; implicit-def: $vgpr71
	s_and_saveexec_b32 s4, vcc_lo
	s_xor_b32 s4, exec_lo, s4
; %bb.49:
	v_bfe_u32 v71, v72, 16, 1
	s_delay_alu instid0(VALU_DEP_1)
	v_add3_u32 v71, v72, v71, 0x7fff
                                        ; implicit-def: $vgpr72
; %bb.50:
	s_and_not1_saveexec_b32 s4, s4
; %bb.51:
	v_and_b32_e32 v71, 0xffff, v72
	v_or_b32_e32 v82, 0x10000, v72
	s_delay_alu instid0(VALU_DEP_2) | instskip(NEXT) | instid1(VALU_DEP_2)
	v_cmp_eq_u32_e32 vcc_lo, 0, v71
	v_cndmask_b32_e32 v71, v82, v72, vcc_lo
; %bb.52:
	s_or_b32 exec_lo, exec_lo, s4
	v_and_b32_e32 v72, 0x7f800000, v81
	s_delay_alu instid0(VALU_DEP_1) | instskip(SKIP_1) | instid1(SALU_CYCLE_1)
	v_cmp_ne_u32_e32 vcc_lo, 0x7f800000, v72
                                        ; implicit-def: $vgpr72
	s_and_saveexec_b32 s4, vcc_lo
	s_xor_b32 s4, exec_lo, s4
; %bb.53:
	v_bfe_u32 v72, v81, 16, 1
	s_delay_alu instid0(VALU_DEP_1)
	v_add3_u32 v72, v81, v72, 0x7fff
                                        ; implicit-def: $vgpr81
; %bb.54:
	s_and_not1_saveexec_b32 s4, s4
; %bb.55:
	v_and_b32_e32 v72, 0xffff, v81
	v_or_b32_e32 v82, 0x10000, v81
	s_delay_alu instid0(VALU_DEP_2) | instskip(NEXT) | instid1(VALU_DEP_2)
	v_cmp_eq_u32_e32 vcc_lo, 0, v72
	v_cndmask_b32_e32 v72, v82, v81, vcc_lo
; %bb.56:
	s_or_b32 exec_lo, exec_lo, s4
	v_and_b32_e32 v81, 0x7f800000, v83
	s_delay_alu instid0(VALU_DEP_1) | instskip(SKIP_1) | instid1(SALU_CYCLE_1)
	v_cmp_ne_u32_e32 vcc_lo, 0x7f800000, v81
                                        ; implicit-def: $vgpr81
	s_and_saveexec_b32 s4, vcc_lo
	s_xor_b32 s4, exec_lo, s4
; %bb.57:
	v_bfe_u32 v81, v83, 16, 1
	s_delay_alu instid0(VALU_DEP_1)
	v_add3_u32 v81, v83, v81, 0x7fff
                                        ; implicit-def: $vgpr83
; %bb.58:
	s_and_not1_saveexec_b32 s4, s4
; %bb.59:
	v_and_b32_e32 v81, 0xffff, v83
	v_or_b32_e32 v82, 0x10000, v83
	s_delay_alu instid0(VALU_DEP_2) | instskip(NEXT) | instid1(VALU_DEP_2)
	v_cmp_eq_u32_e32 vcc_lo, 0, v81
	v_cndmask_b32_e32 v81, v82, v83, vcc_lo
; %bb.60:
	s_or_b32 exec_lo, exec_lo, s4
	v_and_b32_e32 v82, 0x7f800000, v77
	s_delay_alu instid0(VALU_DEP_1) | instskip(SKIP_1) | instid1(SALU_CYCLE_1)
	v_cmp_ne_u32_e32 vcc_lo, 0x7f800000, v82
                                        ; implicit-def: $vgpr82
	s_and_saveexec_b32 s4, vcc_lo
	s_xor_b32 s4, exec_lo, s4
; %bb.61:
	v_bfe_u32 v82, v77, 16, 1
	s_delay_alu instid0(VALU_DEP_1)
	v_add3_u32 v82, v77, v82, 0x7fff
                                        ; implicit-def: $vgpr77
; %bb.62:
	s_and_not1_saveexec_b32 s4, s4
; %bb.63:
	v_and_b32_e32 v82, 0xffff, v77
	v_or_b32_e32 v83, 0x10000, v77
	s_delay_alu instid0(VALU_DEP_2) | instskip(NEXT) | instid1(VALU_DEP_2)
	v_cmp_eq_u32_e32 vcc_lo, 0, v82
	v_cndmask_b32_e32 v82, v83, v77, vcc_lo
; %bb.64:
	s_or_b32 exec_lo, exec_lo, s4
	v_and_b32_e32 v77, 0x7f800000, v78
	s_delay_alu instid0(VALU_DEP_1) | instskip(SKIP_1) | instid1(SALU_CYCLE_1)
	v_cmp_ne_u32_e32 vcc_lo, 0x7f800000, v77
                                        ; implicit-def: $vgpr77
	s_and_saveexec_b32 s4, vcc_lo
	s_xor_b32 s4, exec_lo, s4
; %bb.65:
	v_bfe_u32 v77, v78, 16, 1
	s_delay_alu instid0(VALU_DEP_1)
	v_add3_u32 v77, v78, v77, 0x7fff
                                        ; implicit-def: $vgpr78
; %bb.66:
	s_and_not1_saveexec_b32 s4, s4
; %bb.67:
	v_and_b32_e32 v77, 0xffff, v78
	v_or_b32_e32 v83, 0x10000, v78
	s_delay_alu instid0(VALU_DEP_2) | instskip(NEXT) | instid1(VALU_DEP_2)
	v_cmp_eq_u32_e32 vcc_lo, 0, v77
	v_cndmask_b32_e32 v77, v83, v78, vcc_lo
; %bb.68:
	s_or_b32 exec_lo, exec_lo, s4
	v_and_b32_e32 v78, 0x7f800000, v79
	s_delay_alu instid0(VALU_DEP_1) | instskip(SKIP_1) | instid1(SALU_CYCLE_1)
	v_cmp_ne_u32_e32 vcc_lo, 0x7f800000, v78
                                        ; implicit-def: $vgpr78
	s_and_saveexec_b32 s4, vcc_lo
	s_xor_b32 s4, exec_lo, s4
; %bb.69:
	v_bfe_u32 v78, v79, 16, 1
	s_delay_alu instid0(VALU_DEP_1)
	v_add3_u32 v78, v79, v78, 0x7fff
                                        ; implicit-def: $vgpr79
; %bb.70:
	s_and_not1_saveexec_b32 s4, s4
; %bb.71:
	v_and_b32_e32 v78, 0xffff, v79
	v_or_b32_e32 v83, 0x10000, v79
	s_delay_alu instid0(VALU_DEP_2) | instskip(NEXT) | instid1(VALU_DEP_2)
	v_cmp_eq_u32_e32 vcc_lo, 0, v78
	v_cndmask_b32_e32 v78, v83, v79, vcc_lo
; %bb.72:
	s_or_b32 exec_lo, exec_lo, s4
	v_and_b32_e32 v79, 0x7f800000, v70
	s_delay_alu instid0(VALU_DEP_1) | instskip(SKIP_1) | instid1(SALU_CYCLE_1)
	v_cmp_ne_u32_e32 vcc_lo, 0x7f800000, v79
                                        ; implicit-def: $vgpr79
	s_and_saveexec_b32 s4, vcc_lo
	s_xor_b32 s4, exec_lo, s4
; %bb.73:
	v_bfe_u32 v79, v70, 16, 1
	s_delay_alu instid0(VALU_DEP_1)
	v_add3_u32 v79, v70, v79, 0x7fff
                                        ; implicit-def: $vgpr70
; %bb.74:
	s_and_not1_saveexec_b32 s4, s4
; %bb.75:
	v_and_b32_e32 v79, 0xffff, v70
	v_or_b32_e32 v83, 0x10000, v70
	s_delay_alu instid0(VALU_DEP_2) | instskip(NEXT) | instid1(VALU_DEP_2)
	v_cmp_eq_u32_e32 vcc_lo, 0, v79
	v_cndmask_b32_e32 v79, v83, v70, vcc_lo
; %bb.76:
	s_or_b32 exec_lo, exec_lo, s4
	s_delay_alu instid0(VALU_DEP_1)
	v_perm_b32 v86, v79, v78, 0x7060302
	v_perm_b32 v85, v77, v82, 0x7060302
	;; [unrolled: 1-line block ×4, first 2 shown]
	v_lshl_or_b32 v82, v66, 11, v80
	ds_store_b128 v76, v[83:86] offset:1024
	s_waitcnt lgkmcnt(0)
	s_barrier
	buffer_gl0_inv
	ds_load_b128 v[69:72], v82
	ds_load_b128 v[83:86], v82 offset:16
	s_waitcnt lgkmcnt(1)
	v_lshrrev_b32_e32 v66, 16, v69
	s_waitcnt lgkmcnt(0)
	v_lshrrev_b32_e32 v91, 16, v83
	v_lshlrev_b32_e32 v78, 2, v74
	v_lshrrev_b32_e32 v95, 16, v70
	v_lshrrev_b32_e32 v98, 16, v84
	;; [unrolled: 1-line block ×4, first 2 shown]
	v_cmp_eq_u32_e32 vcc_lo, 1, v78
	v_lshrrev_b32_e32 v97, 16, v72
	v_lshrrev_b32_e32 v100, 16, v86
	v_cndmask_b32_e32 v87, v83, v91, vcc_lo
	v_or_b32_e32 v79, 1, v78
	v_cndmask_b32_e32 v81, v69, v66, vcc_lo
	v_cmp_eq_u32_e64 s5, 2, v78
	v_cmp_eq_u32_e64 s8, 3, v78
	;; [unrolled: 1-line block ×5, first 2 shown]
	v_cndmask_b32_e64 v81, v81, v70, s5
	v_cndmask_b32_e64 v87, v87, v84, s5
	v_cmp_eq_u32_e64 s9, 3, v79
	v_cndmask_b32_e64 v88, v69, v66, s4
	v_or_b32_e32 v77, 2, v78
	v_cndmask_b32_e64 v81, v81, v95, s8
	v_cndmask_b32_e64 v87, v87, v98, s8
	v_cndmask_b32_e64 v89, v83, v91, s4
	v_cndmask_b32_e64 v88, v88, v70, s7
	v_cmp_eq_u32_e64 s11, 5, v78
	v_cndmask_b32_e64 v81, v81, v71, s10
	v_cndmask_b32_e64 v87, v87, v85, s10
	v_cmp_eq_u32_e64 s12, 4, v79
	v_cndmask_b32_e64 v88, v88, v95, s9
	v_cmp_eq_u32_e64 s6, 1, v77
	v_cndmask_b32_e64 v89, v89, v84, s7
	v_cndmask_b32_e64 v81, v81, v96, s11
	v_cmp_eq_u32_e64 s13, 6, v78
	v_cndmask_b32_e64 v88, v88, v71, s12
	;; [unrolled: 3-line block ×3, first 2 shown]
	v_cndmask_b32_e64 v89, v89, v98, s9
	v_cndmask_b32_e64 v81, v81, v72, s13
	v_cmp_eq_u32_e64 s16, 7, v78
	v_cndmask_b32_e64 v88, v88, v96, s15
	v_cndmask_b32_e64 v87, v87, v86, s13
	v_cmp_eq_u32_e64 s17, 6, v79
	v_cmp_eq_u32_e64 s18, 2, v77
	v_cndmask_b32_e64 v89, v89, v85, s12
	v_cndmask_b32_e64 v101, v81, v97, s16
	;; [unrolled: 1-line block ×6, first 2 shown]
	v_cmp_eq_u32_e64 s19, 7, v79
	v_cmp_eq_u32_e64 s20, 3, v77
	;; [unrolled: 1-line block ×4, first 2 shown]
	v_cndmask_b32_e64 v87, v87, v84, s18
	v_cndmask_b32_e64 v103, v88, v97, s19
	;; [unrolled: 1-line block ×4, first 2 shown]
	v_or_b32_e32 v81, 3, v78
	v_cndmask_b32_e64 v93, v87, v98, s20
	v_cmp_eq_u32_e64 s25, 6, v77
	v_cndmask_b32_e64 v104, v88, v86, s17
	v_cndmask_b32_e64 v92, v89, v71, s21
	v_cmp_eq_u32_e64 s22, 1, v81
	ds_load_b128 v[87:90], v82 offset:1024
	v_cmp_eq_u32_e64 s24, 2, v81
	v_cmp_eq_u32_e64 s26, 3, v81
	v_cndmask_b32_e64 v105, v92, v96, s23
	v_cndmask_b32_e64 v66, v69, v66, s22
	;; [unrolled: 1-line block ×4, first 2 shown]
	ds_load_b128 v[91:94], v82 offset:1040
	v_cmp_eq_u32_e64 s27, 4, v81
	v_cndmask_b32_e64 v66, v66, v70, s24
	v_cmp_eq_u32_e64 s28, 7, v77
	v_cndmask_b32_e64 v70, v83, v84, s24
	v_cndmask_b32_e64 v84, v105, v72, s25
	v_cmp_eq_u32_e64 s29, 5, v81
	v_cndmask_b32_e64 v66, v66, v95, s26
	v_cmp_eq_u32_e64 s30, 6, v81
	v_cndmask_b32_e64 v70, v70, v98, s26
	v_cndmask_b32_e64 v69, v69, v99, s23
	;; [unrolled: 1-line block ×4, first 2 shown]
	s_waitcnt lgkmcnt(1)
	v_lshrrev_b32_e32 v95, 16, v87
	v_cndmask_b32_e64 v70, v70, v85, s27
	v_cndmask_b32_e64 v71, v84, v97, s28
	;; [unrolled: 1-line block ×4, first 2 shown]
	v_cndmask_b32_e32 v84, v87, v95, vcc_lo
	v_cndmask_b32_e64 v70, v70, v99, s29
	s_waitcnt lgkmcnt(0)
	v_lshrrev_b32_e32 v85, 16, v91
	v_lshrrev_b32_e32 v96, 16, v88
	v_cndmask_b32_e64 v98, v87, v95, s4
	v_cndmask_b32_e64 v84, v84, v88, s5
	;; [unrolled: 1-line block ×3, first 2 shown]
	v_cndmask_b32_e32 v99, v91, v85, vcc_lo
	v_cmp_eq_u32_e32 vcc_lo, 7, v81
	v_cndmask_b32_e64 v66, v66, v72, s30
	v_cndmask_b32_e64 v72, v84, v96, s8
	;; [unrolled: 1-line block ×3, first 2 shown]
	v_lshrrev_b32_e32 v98, 16, v92
	v_cndmask_b32_e32 v70, v70, v100, vcc_lo
	v_cndmask_b32_e64 v86, v99, v92, s5
	v_cndmask_b32_e64 v69, v69, v100, s28
	v_lshrrev_b32_e32 v100, 16, v93
	v_cndmask_b32_e64 v72, v72, v89, s10
	v_lshrrev_b32_e32 v99, 16, v89
	v_cndmask_b32_e64 v86, v86, v98, s8
	v_perm_b32 v71, v69, v71, 0x5040100
	v_cndmask_b32_e64 v84, v84, v96, s9
	s_delay_alu instid0(VALU_DEP_3) | instskip(NEXT) | instid1(VALU_DEP_2)
	v_cndmask_b32_e64 v86, v86, v93, s10
	v_cndmask_b32_e64 v84, v84, v89, s12
	s_delay_alu instid0(VALU_DEP_2) | instskip(NEXT) | instid1(VALU_DEP_1)
	v_cndmask_b32_e64 v86, v86, v100, s11
	v_cndmask_b32_e64 v69, v86, v94, s13
	;; [unrolled: 1-line block ×5, first 2 shown]
	s_delay_alu instid0(VALU_DEP_3) | instskip(NEXT) | instid1(VALU_DEP_3)
	v_cndmask_b32_e64 v86, v86, v88, s18
	v_cndmask_b32_e64 v87, v87, v88, s24
	s_delay_alu instid0(VALU_DEP_3) | instskip(NEXT) | instid1(VALU_DEP_3)
	v_cndmask_b32_e64 v88, v95, v92, s24
	v_cndmask_b32_e64 v86, v86, v96, s20
	;; [unrolled: 3-line block ×7, first 2 shown]
	s_delay_alu instid0(VALU_DEP_3) | instskip(SKIP_2) | instid1(VALU_DEP_2)
	v_cndmask_b32_e64 v88, v88, v94, s30
	v_cndmask_b32_e32 v66, v66, v97, vcc_lo
	v_cndmask_b32_e64 v97, v72, v99, s11
	v_perm_b32 v72, v70, v66, 0x5040100
	v_perm_b32 v70, v83, v103, 0x5040100
	v_cndmask_b32_e64 v103, v91, v85, s6
	v_cndmask_b32_e64 v85, v91, v85, s4
	;; [unrolled: 1-line block ×4, first 2 shown]
	v_lshrrev_b32_e32 v97, 16, v90
	v_cndmask_b32_e64 v91, v103, v92, s18
	v_cndmask_b32_e64 v85, v85, v92, s7
	;; [unrolled: 1-line block ×3, first 2 shown]
	s_mov_b32 s4, exec_lo
	v_cndmask_b32_e64 v83, v84, v97, s16
	v_cndmask_b32_e64 v91, v91, v98, s20
	;; [unrolled: 1-line block ×3, first 2 shown]
	v_lshrrev_b32_e32 v84, 16, v94
	v_cndmask_b32_e64 v66, v66, v97, s19
	v_cndmask_b32_e64 v90, v86, v97, s28
	;; [unrolled: 1-line block ×4, first 2 shown]
	v_dual_cndmask_b32 v86, v87, v97 :: v_dual_cndmask_b32 v87, v88, v84
	v_cndmask_b32_e64 v91, v69, v84, s16
	s_delay_alu instid0(VALU_DEP_4) | instskip(NEXT) | instid1(VALU_DEP_4)
	v_cndmask_b32_e64 v89, v89, v100, s23
	v_cndmask_b32_e64 v85, v85, v100, s15
	v_perm_b32 v69, v102, v101, 0x5040100
	v_perm_b32 v86, v87, v86, 0x5040100
	;; [unrolled: 1-line block ×3, first 2 shown]
	v_cndmask_b32_e64 v89, v89, v94, s25
	v_cndmask_b32_e64 v85, v85, v94, s17
	s_mul_i32 s9, s37, 5
	s_delay_alu instid0(VALU_DEP_2) | instskip(NEXT) | instid1(VALU_DEP_2)
	v_cndmask_b32_e64 v88, v89, v84, s28
	v_cndmask_b32_e64 v89, v85, v84, s19
	s_delay_alu instid0(VALU_DEP_2) | instskip(NEXT) | instid1(VALU_DEP_2)
	v_perm_b32 v85, v88, v90, 0x5040100
	v_perm_b32 v84, v89, v66, 0x5040100
	ds_store_b128 v76, v[69:72]
	ds_store_b128 v76, v[83:86] offset:1024
	v_cmpx_gt_u32_e32 5, v0
	s_cbranch_execz .LBB1370_78
; %bb.77:
	s_mul_i32 s5, s9, s34
	s_load_b128 s[16:19], s[0:1], 0x58
	v_add3_u32 v69, s5, s31, v65
	s_delay_alu instid0(VALU_DEP_1) | instskip(NEXT) | instid1(VALU_DEP_1)
	v_mad_u64_u32 v[65:66], null, v69, s36, s[14:15]
	v_ashrrev_i32_e32 v66, 31, v65
	s_delay_alu instid0(VALU_DEP_1) | instskip(SKIP_1) | instid1(VALU_DEP_1)
	v_lshlrev_b64 v[65:66], 2, v[65:66]
	s_waitcnt lgkmcnt(0)
	v_add_co_u32 v69, vcc_lo, s18, v65
	s_delay_alu instid0(VALU_DEP_2)
	v_add_co_ci_u32_e32 v70, vcc_lo, s19, v66, vcc_lo
	v_add_co_u32 v65, vcc_lo, s16, v65
	v_add_co_ci_u32_e32 v66, vcc_lo, s17, v66, vcc_lo
	global_store_b32 v[69:70], v67, off
	global_store_b32 v[65:66], v68, off
.LBB1370_78:
	s_or_b32 exec_lo, exec_lo, s4
	s_waitcnt lgkmcnt(0)
	s_waitcnt_vscnt null, 0x0
	s_barrier
	buffer_gl0_inv
	ds_load_b128 v[83:86], v80
	ds_load_b128 v[87:90], v80 offset:16
	ds_load_b128 v[95:98], v80 offset:2064
	ds_load_b128 v[91:94], v80 offset:2048
	v_mov_b32_e32 v65, 0
	ds_load_b128 v[103:106], v80 offset:4112
	ds_load_b128 v[99:102], v80 offset:4096
	;; [unrolled: 1-line block ×4, first 2 shown]
	v_mov_b32_e32 v66, v65
	v_mov_b32_e32 v67, v65
	;; [unrolled: 1-line block ×7, first 2 shown]
	s_waitcnt lgkmcnt(6)
	s_delay_alu instid0(VALU_DEP_1)
	v_wmma_f32_16x16x16_bf16 v[65:72], v[57:64], v[83:90], v[65:72]
	ds_load_b128 v[61:64], v80 offset:8208
	ds_load_b128 v[57:60], v80 offset:8192
	s_waitcnt lgkmcnt(6)
	v_wmma_f32_16x16x16_bf16 v[65:72], v[41:48], v[91:98], v[65:72]
	ds_load_b128 v[45:48], v80 offset:10256
	ds_load_b128 v[41:44], v80 offset:10240
	s_waitcnt lgkmcnt(6)
	;; [unrolled: 4-line block ×4, first 2 shown]
	v_wmma_f32_16x16x16_bf16 v[65:72], v[1:8], v[57:64], v[65:72]
	s_waitcnt lgkmcnt(4)
	s_delay_alu instid0(VALU_DEP_1) | instskip(SKIP_1) | instid1(VALU_DEP_1)
	v_wmma_f32_16x16x16_bf16 v[65:72], v[9:16], v[41:48], v[65:72]
	s_waitcnt lgkmcnt(2)
	v_wmma_f32_16x16x16_bf16 v[65:72], v[17:24], v[33:40], v[65:72]
	s_waitcnt lgkmcnt(0)
	s_delay_alu instid0(VALU_DEP_1) | instskip(NEXT) | instid1(VALU_DEP_1)
	v_wmma_f32_16x16x16_bf16 v[65:72], v[49:56], v[25:32], v[65:72]
	v_and_b32_e32 v1, 0x7f800000, v65
	s_delay_alu instid0(VALU_DEP_1) | instskip(SKIP_1) | instid1(SALU_CYCLE_1)
	v_cmp_ne_u32_e32 vcc_lo, 0x7f800000, v1
                                        ; implicit-def: $vgpr1
	s_and_saveexec_b32 s4, vcc_lo
	s_xor_b32 s4, exec_lo, s4
; %bb.79:
	v_bfe_u32 v1, v65, 16, 1
	s_delay_alu instid0(VALU_DEP_1)
	v_add3_u32 v1, v65, v1, 0x7fff
; %bb.80:
	s_and_not1_saveexec_b32 s4, s4
; %bb.81:
	v_and_b32_e32 v1, 0xffff, v65
	v_or_b32_e32 v2, 0x10000, v65
	s_delay_alu instid0(VALU_DEP_2) | instskip(NEXT) | instid1(VALU_DEP_2)
	v_cmp_eq_u32_e32 vcc_lo, 0, v1
	v_cndmask_b32_e32 v1, v2, v65, vcc_lo
; %bb.82:
	s_or_b32 exec_lo, exec_lo, s4
	v_and_b32_e32 v2, 0x7f800000, v66
	s_delay_alu instid0(VALU_DEP_1) | instskip(SKIP_1) | instid1(SALU_CYCLE_1)
	v_cmp_ne_u32_e32 vcc_lo, 0x7f800000, v2
                                        ; implicit-def: $vgpr2
	s_and_saveexec_b32 s4, vcc_lo
	s_xor_b32 s4, exec_lo, s4
; %bb.83:
	v_bfe_u32 v2, v66, 16, 1
	s_delay_alu instid0(VALU_DEP_1)
	v_add3_u32 v2, v66, v2, 0x7fff
; %bb.84:
	s_and_not1_saveexec_b32 s4, s4
; %bb.85:
	v_and_b32_e32 v2, 0xffff, v66
	v_or_b32_e32 v3, 0x10000, v66
	s_delay_alu instid0(VALU_DEP_2) | instskip(NEXT) | instid1(VALU_DEP_2)
	v_cmp_eq_u32_e32 vcc_lo, 0, v2
	v_cndmask_b32_e32 v2, v3, v66, vcc_lo
; %bb.86:
	s_or_b32 exec_lo, exec_lo, s4
	v_and_b32_e32 v3, 0x7f800000, v67
	s_delay_alu instid0(VALU_DEP_1) | instskip(SKIP_1) | instid1(SALU_CYCLE_1)
	v_cmp_ne_u32_e32 vcc_lo, 0x7f800000, v3
                                        ; implicit-def: $vgpr3
	s_and_saveexec_b32 s4, vcc_lo
	s_xor_b32 s4, exec_lo, s4
; %bb.87:
	v_bfe_u32 v3, v67, 16, 1
	s_delay_alu instid0(VALU_DEP_1)
	v_add3_u32 v3, v67, v3, 0x7fff
; %bb.88:
	s_and_not1_saveexec_b32 s4, s4
; %bb.89:
	v_and_b32_e32 v3, 0xffff, v67
	v_or_b32_e32 v4, 0x10000, v67
	s_delay_alu instid0(VALU_DEP_2) | instskip(NEXT) | instid1(VALU_DEP_2)
	v_cmp_eq_u32_e32 vcc_lo, 0, v3
	v_cndmask_b32_e32 v3, v4, v67, vcc_lo
; %bb.90:
	s_or_b32 exec_lo, exec_lo, s4
	v_and_b32_e32 v4, 0x7f800000, v68
	s_delay_alu instid0(VALU_DEP_1) | instskip(SKIP_1) | instid1(SALU_CYCLE_1)
	v_cmp_ne_u32_e32 vcc_lo, 0x7f800000, v4
                                        ; implicit-def: $vgpr4
	s_and_saveexec_b32 s4, vcc_lo
	s_xor_b32 s4, exec_lo, s4
; %bb.91:
	v_bfe_u32 v4, v68, 16, 1
	s_delay_alu instid0(VALU_DEP_1)
	v_add3_u32 v4, v68, v4, 0x7fff
; %bb.92:
	s_and_not1_saveexec_b32 s4, s4
; %bb.93:
	v_and_b32_e32 v4, 0xffff, v68
	v_or_b32_e32 v5, 0x10000, v68
	s_delay_alu instid0(VALU_DEP_2) | instskip(NEXT) | instid1(VALU_DEP_2)
	v_cmp_eq_u32_e32 vcc_lo, 0, v4
	v_cndmask_b32_e32 v4, v5, v68, vcc_lo
; %bb.94:
	s_or_b32 exec_lo, exec_lo, s4
	v_and_b32_e32 v5, 0x7f800000, v69
	s_delay_alu instid0(VALU_DEP_1) | instskip(SKIP_1) | instid1(SALU_CYCLE_1)
	v_cmp_ne_u32_e32 vcc_lo, 0x7f800000, v5
                                        ; implicit-def: $vgpr5
	s_and_saveexec_b32 s4, vcc_lo
	s_xor_b32 s4, exec_lo, s4
; %bb.95:
	v_bfe_u32 v5, v69, 16, 1
	s_delay_alu instid0(VALU_DEP_1)
	v_add3_u32 v5, v69, v5, 0x7fff
; %bb.96:
	s_and_not1_saveexec_b32 s4, s4
; %bb.97:
	v_and_b32_e32 v5, 0xffff, v69
	v_or_b32_e32 v6, 0x10000, v69
	s_delay_alu instid0(VALU_DEP_2) | instskip(NEXT) | instid1(VALU_DEP_2)
	v_cmp_eq_u32_e32 vcc_lo, 0, v5
	v_cndmask_b32_e32 v5, v6, v69, vcc_lo
; %bb.98:
	s_or_b32 exec_lo, exec_lo, s4
	v_and_b32_e32 v6, 0x7f800000, v70
	s_delay_alu instid0(VALU_DEP_1) | instskip(SKIP_1) | instid1(SALU_CYCLE_1)
	v_cmp_ne_u32_e32 vcc_lo, 0x7f800000, v6
                                        ; implicit-def: $vgpr6
	s_and_saveexec_b32 s4, vcc_lo
	s_xor_b32 s4, exec_lo, s4
; %bb.99:
	v_bfe_u32 v6, v70, 16, 1
	s_delay_alu instid0(VALU_DEP_1)
	v_add3_u32 v6, v70, v6, 0x7fff
; %bb.100:
	s_and_not1_saveexec_b32 s4, s4
; %bb.101:
	v_and_b32_e32 v6, 0xffff, v70
	v_or_b32_e32 v7, 0x10000, v70
	s_delay_alu instid0(VALU_DEP_2) | instskip(NEXT) | instid1(VALU_DEP_2)
	v_cmp_eq_u32_e32 vcc_lo, 0, v6
	v_cndmask_b32_e32 v6, v7, v70, vcc_lo
; %bb.102:
	s_or_b32 exec_lo, exec_lo, s4
	v_and_b32_e32 v7, 0x7f800000, v71
	s_delay_alu instid0(VALU_DEP_1) | instskip(SKIP_1) | instid1(SALU_CYCLE_1)
	v_cmp_ne_u32_e32 vcc_lo, 0x7f800000, v7
                                        ; implicit-def: $vgpr7
	s_and_saveexec_b32 s4, vcc_lo
	s_xor_b32 s4, exec_lo, s4
; %bb.103:
	v_bfe_u32 v7, v71, 16, 1
	s_delay_alu instid0(VALU_DEP_1)
	v_add3_u32 v7, v71, v7, 0x7fff
; %bb.104:
	s_and_not1_saveexec_b32 s4, s4
; %bb.105:
	v_and_b32_e32 v7, 0xffff, v71
	v_or_b32_e32 v8, 0x10000, v71
	s_delay_alu instid0(VALU_DEP_2) | instskip(NEXT) | instid1(VALU_DEP_2)
	v_cmp_eq_u32_e32 vcc_lo, 0, v7
	v_cndmask_b32_e32 v7, v8, v71, vcc_lo
; %bb.106:
	s_or_b32 exec_lo, exec_lo, s4
	v_and_b32_e32 v8, 0x7f800000, v72
	s_delay_alu instid0(VALU_DEP_1) | instskip(SKIP_1) | instid1(SALU_CYCLE_1)
	v_cmp_ne_u32_e32 vcc_lo, 0x7f800000, v8
                                        ; implicit-def: $vgpr8
	s_and_saveexec_b32 s4, vcc_lo
	s_xor_b32 s4, exec_lo, s4
; %bb.107:
	v_bfe_u32 v8, v72, 16, 1
	s_delay_alu instid0(VALU_DEP_1)
	v_add3_u32 v8, v72, v8, 0x7fff
                                        ; implicit-def: $vgpr65_vgpr66_vgpr67_vgpr68_vgpr69_vgpr70_vgpr71_vgpr72
; %bb.108:
	s_and_not1_saveexec_b32 s4, s4
; %bb.109:
	v_and_b32_e32 v8, 0xffff, v72
	v_or_b32_e32 v9, 0x10000, v72
	s_delay_alu instid0(VALU_DEP_2) | instskip(NEXT) | instid1(VALU_DEP_2)
	v_cmp_eq_u32_e32 vcc_lo, 0, v8
	v_cndmask_b32_e32 v8, v9, v72, vcc_lo
; %bb.110:
	s_or_b32 exec_lo, exec_lo, s4
	s_delay_alu instid0(VALU_DEP_1)
	v_perm_b32 v7, v8, v7, 0x7060302
	v_perm_b32 v6, v6, v5, 0x7060302
	;; [unrolled: 1-line block ×4, first 2 shown]
	s_barrier
	buffer_gl0_inv
	v_cmp_eq_u32_e32 vcc_lo, 1, v78
	ds_store_b128 v76, v[4:7]
	s_waitcnt lgkmcnt(0)
	s_barrier
	buffer_gl0_inv
	ds_load_b128 v[1:4], v82
	ds_load_b128 v[5:8], v82 offset:16
	v_cmp_eq_u32_e64 s4, 1, v79
	v_cmp_eq_u32_e64 s5, 2, v78
	v_cmp_eq_u32_e64 s6, 3, v78
	v_cmp_eq_u32_e64 s8, 2, v77
	v_cmp_eq_u32_e64 s7, 7, v79
	s_waitcnt lgkmcnt(1)
	v_lshrrev_b32_e32 v9, 16, v1
	s_waitcnt lgkmcnt(0)
	v_lshrrev_b32_e32 v13, 16, v5
	v_lshrrev_b32_e32 v10, 16, v2
	;; [unrolled: 1-line block ×4, first 2 shown]
	v_cndmask_b32_e64 v19, v1, v9, s4
	v_cndmask_b32_e32 v18, v5, v13, vcc_lo
	v_cndmask_b32_e64 v20, v5, v13, s4
	v_cndmask_b32_e32 v17, v1, v9, vcc_lo
	v_cmp_eq_u32_e32 vcc_lo, 2, v79
	v_lshrrev_b32_e32 v15, 16, v7
	v_cmp_eq_u32_e64 s4, 1, v77
	v_lshrrev_b32_e32 v12, 16, v4
	v_lshrrev_b32_e32 v16, 16, v8
	v_cndmask_b32_e32 v20, v20, v6, vcc_lo
	v_cndmask_b32_e64 v17, v17, v2, s5
	v_cndmask_b32_e32 v19, v19, v2, vcc_lo
	v_cndmask_b32_e64 v18, v18, v6, s5
	v_cmp_eq_u32_e32 vcc_lo, 4, v78
	v_cmp_eq_u32_e64 s5, 3, v79
	v_cndmask_b32_e64 v17, v17, v10, s6
	v_cndmask_b32_e64 v21, v1, v9, s4
	v_cndmask_b32_e64 v18, v18, v14, s6
	v_cndmask_b32_e64 v22, v5, v13, s4
	v_cndmask_b32_e64 v19, v19, v10, s5
	v_cndmask_b32_e32 v17, v17, v3, vcc_lo
	v_cndmask_b32_e64 v20, v20, v14, s5
	v_cndmask_b32_e32 v18, v18, v7, vcc_lo
	v_cmp_eq_u32_e32 vcc_lo, 4, v79
	v_cmp_eq_u32_e64 s5, 5, v79
	v_cmp_eq_u32_e64 s4, 2, v81
	v_cndmask_b32_e64 v21, v21, v2, s8
	v_cmp_eq_u32_e64 s6, 5, v78
	v_cndmask_b32_e32 v19, v19, v3, vcc_lo
	v_cndmask_b32_e32 v20, v20, v7, vcc_lo
	v_cmp_eq_u32_e32 vcc_lo, 6, v79
	s_delay_alu instid0(VALU_DEP_4) | instskip(NEXT) | instid1(VALU_DEP_4)
	v_cndmask_b32_e64 v17, v17, v11, s6
	v_cndmask_b32_e64 v19, v19, v11, s5
	s_delay_alu instid0(VALU_DEP_4) | instskip(SKIP_1) | instid1(VALU_DEP_3)
	v_cndmask_b32_e64 v20, v20, v15, s5
	v_cmp_eq_u32_e64 s5, 1, v81
	v_cndmask_b32_e32 v19, v19, v4, vcc_lo
	v_cndmask_b32_e64 v18, v18, v15, s6
	s_delay_alu instid0(VALU_DEP_3)
	v_cndmask_b32_e64 v1, v1, v9, s5
	v_cndmask_b32_e64 v5, v5, v13, s5
	v_cmp_eq_u32_e64 s5, 3, v77
	v_cndmask_b32_e64 v13, v22, v6, s8
	v_cmp_eq_u32_e64 s8, 3, v81
	v_cndmask_b32_e64 v1, v1, v2, s4
	v_cndmask_b32_e64 v2, v5, v6, s4
	;; [unrolled: 1-line block ×3, first 2 shown]
	v_cmp_eq_u32_e64 s4, 4, v77
	v_cndmask_b32_e64 v6, v13, v14, s5
	v_cndmask_b32_e64 v1, v1, v10, s8
	v_cmp_eq_u32_e64 s5, 4, v81
	v_cndmask_b32_e64 v2, v2, v14, s8
	v_cndmask_b32_e64 v5, v9, v3, s4
	;; [unrolled: 3-line block ×3, first 2 shown]
	v_cndmask_b32_e64 v2, v2, v7, s5
	v_cmp_eq_u32_e64 s4, 5, v81
	v_cmp_eq_u32_e64 s6, 6, v78
	v_cndmask_b32_e64 v5, v5, v11, s8
	v_cmp_eq_u32_e64 s5, 6, v77
	v_cndmask_b32_e64 v3, v6, v15, s8
	v_cndmask_b32_e64 v1, v1, v11, s4
	v_cmp_eq_u32_e64 s8, 6, v81
	v_cndmask_b32_e64 v2, v2, v15, s4
	v_cndmask_b32_e64 v17, v17, v4, s6
	v_cndmask_b32_e64 v18, v18, v8, s6
	v_cmp_eq_u32_e64 s6, 7, v78
	v_cndmask_b32_e64 v5, v5, v4, s5
	;; [unrolled: 4-line block ×3, first 2 shown]
	v_cmp_eq_u32_e64 s5, 7, v77
	v_cndmask_b32_e32 v4, v20, v8, vcc_lo
	v_cndmask_b32_e64 v17, v17, v12, s6
	v_cndmask_b32_e64 v19, v19, v12, s7
	;; [unrolled: 1-line block ×8, first 2 shown]
	v_cmp_gt_u32_e32 vcc_lo, 32, v0
	v_perm_b32 v4, v2, v1, 0x5040100
	v_perm_b32 v3, v3, v5, 0x5040100
	;; [unrolled: 1-line block ×4, first 2 shown]
	s_and_b32 s2, vcc_lo, s2
	ds_store_b128 v76, v[1:4]
	s_waitcnt lgkmcnt(0)
	s_barrier
	buffer_gl0_inv
	s_and_saveexec_b32 s4, s2
	s_cbranch_execz .LBB1370_2
; %bb.111:
	s_load_b64 s[4:5], s[0:1], 0x68
	v_lshlrev_b32_e32 v0, 10, v0
	v_add_nc_u32_e32 v2, s31, v74
	v_lshlrev_b32_e32 v3, 4, v75
	s_lshl_b32 s0, s36, 6
	s_delay_alu instid0(SALU_CYCLE_1) | instskip(NEXT) | instid1(VALU_DEP_2)
	s_mul_i32 s1, s0, s34
	v_mul_lo_u32 v1, v2, s0
	s_delay_alu instid0(VALU_DEP_2) | instskip(SKIP_2) | instid1(SALU_CYCLE_1)
	v_and_or_b32 v0, 0x3800, v0, v3
	v_add_nc_u32_e32 v2, 2, v2
	s_mul_i32 s6, s1, s9
	s_ashr_i32 s7, s6, 31
	s_delay_alu instid0(VALU_DEP_2)
	v_lshl_or_b32 v7, v74, 6, v0
	s_lshl_b64 s[6:7], s[6:7], 1
	v_mul_lo_u32 v11, v2, s0
	v_ashrrev_i32_e32 v2, 31, v1
	ds_load_b128 v[3:6], v7
	ds_load_b128 v[7:10], v7 offset:128
	s_waitcnt lgkmcnt(0)
	s_add_u32 s1, s4, s6
	s_addc_u32 s2, s5, s7
	s_lshl_b32 s4, s14, 6
	v_ashrrev_i32_e32 v12, 31, v11
	s_ashr_i32 s5, s4, 31
	v_lshlrev_b64 v[13:14], 1, v[1:2]
	s_lshl_b64 s[4:5], s[4:5], 1
	s_delay_alu instid0(SALU_CYCLE_1) | instskip(SKIP_2) | instid1(VALU_DEP_1)
	s_add_u32 s1, s1, s4
	s_addc_u32 s2, s2, s5
	v_add_co_u32 v1, s1, s1, v73
	v_add_co_ci_u32_e64 v2, null, s2, 0, s1
	v_lshlrev_b64 v[11:12], 1, v[11:12]
	s_delay_alu instid0(VALU_DEP_3) | instskip(NEXT) | instid1(VALU_DEP_3)
	v_add_co_u32 v13, vcc_lo, v1, v13
	v_add_co_ci_u32_e32 v14, vcc_lo, v2, v14, vcc_lo
	s_delay_alu instid0(VALU_DEP_3) | instskip(NEXT) | instid1(VALU_DEP_4)
	v_add_co_u32 v11, vcc_lo, v1, v11
	v_add_co_ci_u32_e32 v12, vcc_lo, v2, v12, vcc_lo
	s_clause 0x1
	global_store_b128 v[13:14], v[3:6], off
	global_store_b128 v[11:12], v[7:10], off
	s_and_b32 exec_lo, exec_lo, s3
	s_cbranch_execz .LBB1370_2
; %bb.112:
	ds_load_b128 v[3:6], v0 offset:256
	s_add_i32 s1, s31, 4
	s_delay_alu instid0(SALU_CYCLE_1) | instskip(NEXT) | instid1(SALU_CYCLE_1)
	s_mul_i32 s0, s1, s0
	s_ashr_i32 s1, s0, 31
	s_delay_alu instid0(SALU_CYCLE_1) | instskip(NEXT) | instid1(SALU_CYCLE_1)
	s_lshl_b64 s[0:1], s[0:1], 1
	v_add_co_u32 v0, vcc_lo, v1, s0
	v_add_co_ci_u32_e32 v1, vcc_lo, s1, v2, vcc_lo
	s_waitcnt lgkmcnt(0)
	global_store_b128 v[0:1], v[3:6], off
	s_nop 0
	s_sendmsg sendmsg(MSG_DEALLOC_VGPRS)
	s_endpgm
	.section	.rodata,"a",@progbits
	.p2align	6, 0x0
	.amdhsa_kernel _Z39paged_attention_ll4mi_QKV_mfma16_kernelI14__hip_bfloat16hLN4vllm18Fp8KVCacheDataTypeE1EhLi16ELi64ELi256ELb0ELi5EL8MFMAType1EEvPKT_PKT0_S9_ifPKiSB_SB_iPKfiiiPfSE_PS4_PT2_iSD_SD_
		.amdhsa_group_segment_fixed_size 17472
		.amdhsa_private_segment_fixed_size 0
		.amdhsa_kernarg_size 400
		.amdhsa_user_sgpr_count 13
		.amdhsa_user_sgpr_dispatch_ptr 0
		.amdhsa_user_sgpr_queue_ptr 0
		.amdhsa_user_sgpr_kernarg_segment_ptr 1
		.amdhsa_user_sgpr_dispatch_id 0
		.amdhsa_user_sgpr_private_segment_size 0
		.amdhsa_wavefront_size32 1
		.amdhsa_uses_dynamic_stack 0
		.amdhsa_enable_private_segment 0
		.amdhsa_system_sgpr_workgroup_id_x 1
		.amdhsa_system_sgpr_workgroup_id_y 1
		.amdhsa_system_sgpr_workgroup_id_z 1
		.amdhsa_system_sgpr_workgroup_info 0
		.amdhsa_system_vgpr_workitem_id 0
		.amdhsa_next_free_vgpr 124
		.amdhsa_next_free_sgpr 40
		.amdhsa_reserve_vcc 1
		.amdhsa_float_round_mode_32 0
		.amdhsa_float_round_mode_16_64 0
		.amdhsa_float_denorm_mode_32 3
		.amdhsa_float_denorm_mode_16_64 3
		.amdhsa_dx10_clamp 1
		.amdhsa_ieee_mode 1
		.amdhsa_fp16_overflow 0
		.amdhsa_workgroup_processor_mode 1
		.amdhsa_memory_ordered 1
		.amdhsa_forward_progress 0
		.amdhsa_shared_vgpr_count 0
		.amdhsa_exception_fp_ieee_invalid_op 0
		.amdhsa_exception_fp_denorm_src 0
		.amdhsa_exception_fp_ieee_div_zero 0
		.amdhsa_exception_fp_ieee_overflow 0
		.amdhsa_exception_fp_ieee_underflow 0
		.amdhsa_exception_fp_ieee_inexact 0
		.amdhsa_exception_int_div_zero 0
	.end_amdhsa_kernel
	.section	.text._Z39paged_attention_ll4mi_QKV_mfma16_kernelI14__hip_bfloat16hLN4vllm18Fp8KVCacheDataTypeE1EhLi16ELi64ELi256ELb0ELi5EL8MFMAType1EEvPKT_PKT0_S9_ifPKiSB_SB_iPKfiiiPfSE_PS4_PT2_iSD_SD_,"axG",@progbits,_Z39paged_attention_ll4mi_QKV_mfma16_kernelI14__hip_bfloat16hLN4vllm18Fp8KVCacheDataTypeE1EhLi16ELi64ELi256ELb0ELi5EL8MFMAType1EEvPKT_PKT0_S9_ifPKiSB_SB_iPKfiiiPfSE_PS4_PT2_iSD_SD_,comdat
.Lfunc_end1370:
	.size	_Z39paged_attention_ll4mi_QKV_mfma16_kernelI14__hip_bfloat16hLN4vllm18Fp8KVCacheDataTypeE1EhLi16ELi64ELi256ELb0ELi5EL8MFMAType1EEvPKT_PKT0_S9_ifPKiSB_SB_iPKfiiiPfSE_PS4_PT2_iSD_SD_, .Lfunc_end1370-_Z39paged_attention_ll4mi_QKV_mfma16_kernelI14__hip_bfloat16hLN4vllm18Fp8KVCacheDataTypeE1EhLi16ELi64ELi256ELb0ELi5EL8MFMAType1EEvPKT_PKT0_S9_ifPKiSB_SB_iPKfiiiPfSE_PS4_PT2_iSD_SD_
                                        ; -- End function
	.section	.AMDGPU.csdata,"",@progbits
; Kernel info:
; codeLenInByte = 8756
; NumSgprs: 42
; NumVgprs: 124
; ScratchSize: 0
; MemoryBound: 0
; FloatMode: 240
; IeeeMode: 1
; LDSByteSize: 17472 bytes/workgroup (compile time only)
; SGPRBlocks: 5
; VGPRBlocks: 15
; NumSGPRsForWavesPerEU: 42
; NumVGPRsForWavesPerEU: 124
; Occupancy: 10
; WaveLimiterHint : 1
; COMPUTE_PGM_RSRC2:SCRATCH_EN: 0
; COMPUTE_PGM_RSRC2:USER_SGPR: 13
; COMPUTE_PGM_RSRC2:TRAP_HANDLER: 0
; COMPUTE_PGM_RSRC2:TGID_X_EN: 1
; COMPUTE_PGM_RSRC2:TGID_Y_EN: 1
; COMPUTE_PGM_RSRC2:TGID_Z_EN: 1
; COMPUTE_PGM_RSRC2:TIDIG_COMP_CNT: 0
	.section	.text._Z39paged_attention_ll4mi_QKV_mfma16_kernelI14__hip_bfloat16hLN4vllm18Fp8KVCacheDataTypeE1EhLi16ELi64ELi256ELb0ELi6EL8MFMAType1EEvPKT_PKT0_S9_ifPKiSB_SB_iPKfiiiPfSE_PS4_PT2_iSD_SD_,"axG",@progbits,_Z39paged_attention_ll4mi_QKV_mfma16_kernelI14__hip_bfloat16hLN4vllm18Fp8KVCacheDataTypeE1EhLi16ELi64ELi256ELb0ELi6EL8MFMAType1EEvPKT_PKT0_S9_ifPKiSB_SB_iPKfiiiPfSE_PS4_PT2_iSD_SD_,comdat
	.protected	_Z39paged_attention_ll4mi_QKV_mfma16_kernelI14__hip_bfloat16hLN4vllm18Fp8KVCacheDataTypeE1EhLi16ELi64ELi256ELb0ELi6EL8MFMAType1EEvPKT_PKT0_S9_ifPKiSB_SB_iPKfiiiPfSE_PS4_PT2_iSD_SD_ ; -- Begin function _Z39paged_attention_ll4mi_QKV_mfma16_kernelI14__hip_bfloat16hLN4vllm18Fp8KVCacheDataTypeE1EhLi16ELi64ELi256ELb0ELi6EL8MFMAType1EEvPKT_PKT0_S9_ifPKiSB_SB_iPKfiiiPfSE_PS4_PT2_iSD_SD_
	.globl	_Z39paged_attention_ll4mi_QKV_mfma16_kernelI14__hip_bfloat16hLN4vllm18Fp8KVCacheDataTypeE1EhLi16ELi64ELi256ELb0ELi6EL8MFMAType1EEvPKT_PKT0_S9_ifPKiSB_SB_iPKfiiiPfSE_PS4_PT2_iSD_SD_
	.p2align	8
	.type	_Z39paged_attention_ll4mi_QKV_mfma16_kernelI14__hip_bfloat16hLN4vllm18Fp8KVCacheDataTypeE1EhLi16ELi64ELi256ELb0ELi6EL8MFMAType1EEvPKT_PKT0_S9_ifPKiSB_SB_iPKfiiiPfSE_PS4_PT2_iSD_SD_,@function
_Z39paged_attention_ll4mi_QKV_mfma16_kernelI14__hip_bfloat16hLN4vllm18Fp8KVCacheDataTypeE1EhLi16ELi64ELi256ELb0ELi6EL8MFMAType1EEvPKT_PKT0_S9_ifPKiSB_SB_iPKfiiiPfSE_PS4_PT2_iSD_SD_: ; @_Z39paged_attention_ll4mi_QKV_mfma16_kernelI14__hip_bfloat16hLN4vllm18Fp8KVCacheDataTypeE1EhLi16ELi64ELi256ELb0ELi6EL8MFMAType1EEvPKT_PKT0_S9_ifPKiSB_SB_iPKfiiiPfSE_PS4_PT2_iSD_SD_
; %bb.0:
	s_load_b64 s[2:3], s[0:1], 0x30
	s_mov_b32 s30, s13
	s_waitcnt lgkmcnt(0)
	s_cmp_lg_u64 s[2:3], 0
	s_cselect_b32 s8, -1, 0
	s_ashr_i32 s31, s13, 31
	s_cmp_eq_u64 s[2:3], 0
	s_cbranch_scc1 .LBB1371_3
; %bb.1:
	s_lshl_b64 s[4:5], s[30:31], 2
	s_delay_alu instid0(SALU_CYCLE_1) | instskip(SKIP_4) | instid1(SALU_CYCLE_1)
	s_add_u32 s4, s2, s4
	s_addc_u32 s5, s3, s5
	s_load_b64 s[4:5], s[4:5], 0x0
	s_waitcnt lgkmcnt(0)
	s_sub_i32 s4, s5, s4
	s_cmp_eq_u32 s4, 1
	s_cselect_b32 s4, -1, 0
	s_delay_alu instid0(SALU_CYCLE_1)
	s_and_not1_b32 vcc_lo, exec_lo, s4
	s_cbranch_vccz .LBB1371_4
.LBB1371_2:
	s_endpgm
.LBB1371_3:
.LBB1371_4:
	s_load_b64 s[4:5], s[0:1], 0x28
	s_lshl_b64 s[6:7], s[30:31], 2
	s_waitcnt lgkmcnt(0)
	s_add_u32 s4, s4, s6
	s_addc_u32 s5, s5, s7
	s_lshl_b32 s12, s14, 8
	s_load_b32 s24, s[4:5], 0x0
	s_waitcnt lgkmcnt(0)
	s_cmp_ge_i32 s12, s24
	s_cbranch_scc1 .LBB1371_2
; %bb.5:
	s_clause 0x1
	s_load_b128 s[20:23], s[0:1], 0x8
	s_load_b64 s[4:5], s[0:1], 0x20
	s_and_not1_b32 vcc_lo, exec_lo, s8
	s_cbranch_vccnz .LBB1371_7
; %bb.6:
	s_add_u32 s2, s2, s6
	s_addc_u32 s3, s3, s7
	s_load_b32 s3, s[2:3], 0x0
	s_branch .LBB1371_8
.LBB1371_7:
	s_mov_b32 s3, s30
.LBB1371_8:
	s_load_b128 s[16:19], s[0:1], 0x48
	v_and_b32_e32 v65, 15, v0
	v_cmp_gt_u32_e32 vcc_lo, 0x60, v0
	v_lshrrev_b32_e32 v66, 5, v0
	v_and_b32_e32 v67, 31, v0
	v_and_b32_e32 v75, 1, v0
	v_lshlrev_b32_e32 v1, 3, v65
	v_cmp_gt_u32_e64 s2, 8, v65
	v_bfe_u32 v74, v0, 4, 1
	s_mul_i32 s31, s15, 6
	s_delay_alu instid0(VALU_DEP_3) | instskip(NEXT) | instid1(VALU_DEP_3)
	v_lshlrev_b32_e32 v73, 1, v1
	s_and_b32 s7, vcc_lo, s2
	s_delay_alu instid0(SALU_CYCLE_1)
	s_and_saveexec_b32 s6, s7
	s_cbranch_execz .LBB1371_10
; %bb.9:
	s_load_b64 s[8:9], s[0:1], 0x0
	v_lshl_or_b32 v5, v66, 1, v74
	s_waitcnt lgkmcnt(0)
	s_mul_hi_i32 s11, s3, s16
	s_mul_i32 s10, s3, s16
	v_lshlrev_b32_e32 v6, 10, v65
	s_lshl_b64 s[10:11], s[10:11], 1
	v_add_lshl_u32 v1, v5, s31, 6
	v_lshlrev_b32_e32 v5, 6, v5
	v_lshlrev_b32_e32 v7, 10, v75
	v_and_b32_e32 v6, 0x3800, v6
	s_delay_alu instid0(VALU_DEP_4) | instskip(NEXT) | instid1(VALU_DEP_2)
	v_ashrrev_i32_e32 v2, 31, v1
	v_or3_b32 v5, v6, v7, v5
	s_delay_alu instid0(VALU_DEP_2) | instskip(SKIP_2) | instid1(VALU_DEP_1)
	v_lshlrev_b64 v[1:2], 1, v[1:2]
	s_add_u32 s3, s8, s10
	s_addc_u32 s7, s9, s11
	v_add_co_u32 v1, vcc_lo, s3, v1
	s_delay_alu instid0(VALU_DEP_2) | instskip(NEXT) | instid1(VALU_DEP_2)
	v_add_co_ci_u32_e32 v2, vcc_lo, s7, v2, vcc_lo
	v_add_co_u32 v1, vcc_lo, v1, v73
	s_delay_alu instid0(VALU_DEP_2)
	v_add_co_ci_u32_e32 v2, vcc_lo, 0, v2, vcc_lo
	global_load_b128 v[1:4], v[1:2], off
	s_waitcnt vmcnt(0)
	ds_store_b128 v5, v[1:4]
.LBB1371_10:
	s_or_b32 exec_lo, exec_lo, s6
	v_and_b32_e32 v1, 0xef, v0
	s_waitcnt lgkmcnt(0)
	s_add_i32 s3, s24, 15
	s_clause 0x1
	s_load_b32 s6, s[0:1], 0x38
	s_load_b32 s19, s[0:1], 0x1c
	s_ashr_i32 s7, s3, 31
	v_add_nc_u32_e32 v1, s12, v1
	s_lshr_b32 s7, s7, 28
	s_waitcnt lgkmcnt(0)
	s_add_i32 s3, s3, s7
	s_barrier
	v_ashrrev_i32_e32 v2, 31, v1
	v_or_b32_e32 v3, 16, v1
	s_ashr_i32 s3, s3, 4
	v_cmp_gt_i32_e32 vcc_lo, s24, v1
	s_add_i32 s3, s3, -1
	v_lshrrev_b32_e32 v2, 28, v2
	buffer_gl0_inv
	s_mul_i32 s27, s15, s18
	v_add_nc_u32_e32 v4, v1, v2
	s_mul_i32 s6, s30, s6
	s_delay_alu instid0(SALU_CYCLE_1) | instskip(NEXT) | instid1(VALU_DEP_1)
	s_ashr_i32 s7, s6, 31
	v_ashrrev_i32_e32 v4, 4, v4
	v_add_nc_u32_e32 v2, v3, v2
	s_lshl_b64 s[6:7], s[6:7], 2
	s_delay_alu instid0(SALU_CYCLE_1) | instskip(NEXT) | instid1(VALU_DEP_2)
	s_add_u32 s26, s4, s6
	v_cndmask_b32_e32 v1, s3, v4, vcc_lo
	s_delay_alu instid0(VALU_DEP_2)
	v_ashrrev_i32_e32 v2, 4, v2
	v_cmp_gt_i32_e32 vcc_lo, s24, v3
	s_addc_u32 s25, s5, s7
	s_ashr_i32 s28, s27, 31
	s_add_u32 s13, s20, s27
	s_addc_u32 s15, s21, s28
	v_cndmask_b32_e32 v3, s3, v2, vcc_lo
	v_ashrrev_i32_e32 v2, 31, v1
	s_lshl_b32 s4, s14, 4
	s_delay_alu instid0(SALU_CYCLE_1) | instskip(NEXT) | instid1(VALU_DEP_2)
	s_ashr_i32 s5, s4, 31
	v_ashrrev_i32_e32 v4, 31, v3
	s_delay_alu instid0(VALU_DEP_2) | instskip(SKIP_1) | instid1(SALU_CYCLE_1)
	v_lshlrev_b64 v[1:2], 2, v[1:2]
	s_lshl_b64 s[4:5], s[4:5], 2
	s_add_u32 s4, s26, s4
	s_delay_alu instid0(VALU_DEP_2) | instskip(SKIP_1) | instid1(VALU_DEP_2)
	v_lshlrev_b64 v[3:4], 2, v[3:4]
	s_addc_u32 s5, s25, s5
	v_add_co_u32 v1, vcc_lo, s26, v1
	v_add_co_ci_u32_e32 v2, vcc_lo, s25, v2, vcc_lo
	s_delay_alu instid0(VALU_DEP_3) | instskip(NEXT) | instid1(VALU_DEP_4)
	v_add_co_u32 v3, vcc_lo, s26, v3
	v_add_co_ci_u32_e32 v4, vcc_lo, s25, v4, vcc_lo
	s_clause 0x1
	global_load_b32 v5, v[1:2], off
	global_load_b32 v7, v[3:4], off
	s_or_b32 s6, s12, 32
	v_lshlrev_b32_e32 v1, 4, v0
	s_ashr_i32 s7, s6, 4
	s_cmp_lt_i32 s6, s24
	s_cselect_b32 s6, s7, s3
	s_delay_alu instid0(VALU_DEP_1) | instskip(SKIP_1) | instid1(SALU_CYCLE_1)
	v_and_b32_e32 v1, 0xf0, v1
	s_ashr_i32 s7, s6, 31
	s_lshl_b64 s[6:7], s[6:7], 2
	s_delay_alu instid0(SALU_CYCLE_1)
	s_add_u32 s6, s26, s6
	s_addc_u32 s7, s25, s7
	s_or_b32 s8, s12, 64
	v_add_co_u32 v1, s13, s13, v1
	s_ashr_i32 s9, s8, 4
	s_cmp_lt_i32 s8, s24
	v_add_co_ci_u32_e64 v2, null, s15, 0, s13
	s_cselect_b32 s8, s9, s3
	s_delay_alu instid0(SALU_CYCLE_1) | instskip(NEXT) | instid1(SALU_CYCLE_1)
	s_ashr_i32 s9, s8, 31
	s_lshl_b64 s[8:9], s[8:9], 2
	s_delay_alu instid0(SALU_CYCLE_1) | instskip(SKIP_2) | instid1(SALU_CYCLE_1)
	s_add_u32 s8, s26, s8
	s_addc_u32 s9, s25, s9
	s_or_b32 s10, s12, 0x60
	s_ashr_i32 s11, s10, 4
	s_cmp_lt_i32 s10, s24
	s_cselect_b32 s10, s11, s3
	s_delay_alu instid0(SALU_CYCLE_1) | instskip(NEXT) | instid1(SALU_CYCLE_1)
	s_ashr_i32 s11, s10, 31
	s_lshl_b64 s[10:11], s[10:11], 2
	s_delay_alu instid0(SALU_CYCLE_1) | instskip(SKIP_2) | instid1(SALU_CYCLE_1)
	s_add_u32 s10, s26, s10
	s_addc_u32 s11, s25, s11
	s_or_b32 s16, s12, 0x80
	s_ashr_i32 s18, s16, 4
	s_cmp_lt_i32 s16, s24
	;; [unrolled: 10-line block ×3, first 2 shown]
	s_cselect_b32 s20, s18, s3
	s_delay_alu instid0(SALU_CYCLE_1) | instskip(NEXT) | instid1(SALU_CYCLE_1)
	s_ashr_i32 s21, s20, 31
	s_lshl_b64 s[20:21], s[20:21], 2
	s_delay_alu instid0(SALU_CYCLE_1)
	s_add_u32 s36, s26, s20
	s_addc_u32 s37, s25, s21
	s_clause 0x5
	s_load_b32 s21, s[4:5], 0x0
	s_load_b32 s13, s[6:7], 0x0
	;; [unrolled: 1-line block ×6, first 2 shown]
	s_or_b32 s9, s12, 0xc0
	s_mov_b32 s4, 0
	s_ashr_i32 s10, s9, 4
	s_cmp_lt_i32 s9, s24
	s_mov_b32 s11, s4
	s_cselect_b32 s34, s10, s3
	s_mov_b32 s5, s4
	s_ashr_i32 s35, s34, 31
	s_mov_b32 s6, s4
	s_lshl_b64 s[34:35], s[34:35], 2
	s_mov_b32 s7, s4
	s_add_u32 s34, s26, s34
	s_addc_u32 s35, s25, s35
	s_or_b32 s29, s12, 0xe0
	s_mov_b32 s8, s4
	s_ashr_i32 s33, s29, 4
	s_mov_b32 s9, s4
	s_mov_b32 s10, s4
	s_cmp_lt_i32 s29, s24
	v_dual_mov_b32 v107, s11 :: v_dual_mov_b32 v100, s4
	v_mov_b32_e32 v106, s10
	v_dual_mov_b32 v104, s8 :: v_dual_mov_b32 v103, s7
	v_dual_mov_b32 v102, s6 :: v_dual_mov_b32 v101, s5
	s_waitcnt vmcnt(1)
	v_mad_i64_i32 v[3:4], null, v5, s17, v[1:2]
	s_waitcnt vmcnt(0)
	v_mad_i64_i32 v[5:6], null, v7, s17, v[1:2]
	v_mul_lo_u16 v1, v65, 43
	v_lshlrev_b32_e32 v2, 4, v65
	s_clause 0x7
	global_load_b128 v[49:52], v[3:4], off
	global_load_b128 v[53:56], v[3:4], off offset:256
	global_load_b128 v[76:79], v[5:6], off
	global_load_b128 v[80:83], v[5:6], off offset:256
	global_load_b128 v[84:87], v[3:4], off offset:512
	;; [unrolled: 1-line block ×5, first 2 shown]
	v_lshrrev_b16 v1, 8, v1
	v_lshl_or_b32 v2, v66, 8, v2
	s_delay_alu instid0(VALU_DEP_2) | instskip(NEXT) | instid1(VALU_DEP_1)
	v_mul_lo_u16 v1, v1, 6
	v_sub_nc_u16 v1, v65, v1
	s_delay_alu instid0(VALU_DEP_1)
	v_and_b32_e32 v1, 0xff, v1
	v_mov_b32_e32 v105, s9
	s_cselect_b32 s4, s33, s3
	s_load_b32 s3, s[34:35], 0x0
	s_ashr_i32 s5, s4, 31
	v_lshlrev_b32_e32 v70, 6, v1
	s_lshl_b64 s[4:5], s[4:5], 2
	ds_load_b128 v[108:111], v70
	ds_load_b128 v[112:115], v70 offset:1024
	s_add_u32 s4, s26, s4
	s_addc_u32 s5, s25, s5
	s_add_u32 s6, s22, s27
	s_load_b32 s4, s[4:5], 0x0
	s_addc_u32 s7, s23, s28
	v_add_co_u32 v9, s6, s6, v2
	s_delay_alu instid0(VALU_DEP_1) | instskip(SKIP_1) | instid1(VALU_DEP_1)
	v_add_co_ci_u32_e64 v10, null, s7, 0, s6
	s_waitcnt lgkmcnt(0)
	v_mad_i64_i32 v[1:2], null, s21, s17, v[9:10]
	v_mad_i64_i32 v[3:4], null, s13, s17, v[9:10]
	;; [unrolled: 1-line block ×7, first 2 shown]
	s_clause 0x9
	global_load_b128 v[57:60], v[1:2], off
	global_load_b128 v[61:64], v[1:2], off offset:16
	global_load_b128 v[41:44], v[3:4], off
	global_load_b128 v[45:48], v[3:4], off offset:16
	;; [unrolled: 2-line block ×5, first 2 shown]
	v_mad_i64_i32 v[68:69], null, s4, s17, v[9:10]
	s_clause 0x3
	global_load_b128 v[9:12], v[13:14], off
	global_load_b128 v[13:16], v[13:14], off offset:16
	global_load_b128 v[17:20], v[21:22], off
	global_load_b128 v[21:24], v[21:22], off offset:16
	s_waitcnt vmcnt(20)
	v_wmma_f32_16x16x16_bf16 v[116:123], v[49:56], v[108:115], v[100:107]
	s_clause 0x1
	global_load_b128 v[49:52], v[68:69], off
	global_load_b128 v[53:56], v[68:69], off offset:16
	v_and_b32_e32 v68, 0xe0, v0
	v_mbcnt_lo_u32_b32 v69, -1, 0
	s_delay_alu instid0(VALU_DEP_2)
	v_add_nc_u32_e32 v68, s12, v68
	s_waitcnt vmcnt(20)
	v_wmma_f32_16x16x16_bf16 v[100:107], v[76:83], v[108:115], v[100:107]
	ds_load_b128 v[76:79], v70 offset:2048
	ds_load_b128 v[80:83], v70 offset:3072
	v_xor_b32_e32 v70, 16, v69
	s_waitcnt vmcnt(0) lgkmcnt(0)
	v_or_b32_e32 v68, v68, v74
	s_barrier
	buffer_gl0_inv
	v_cmp_gt_i32_e32 vcc_lo, 32, v70
	v_or_b32_e32 v71, 4, v68
	v_or_b32_e32 v72, 6, v68
	v_cmp_gt_i32_e64 s3, s24, v68
	v_or_b32_e32 v108, 8, v68
	v_or_b32_e32 v109, 10, v68
	v_cmp_gt_i32_e64 s4, s24, v71
	v_cmp_gt_i32_e64 s5, s24, v72
	s_delay_alu instid0(VALU_DEP_4) | instskip(NEXT) | instid1(VALU_DEP_4)
	v_cmp_gt_i32_e64 s6, s24, v108
	v_cmp_gt_i32_e64 s7, s24, v109
	v_wmma_f32_16x16x16_bf16 v[116:123], v[84:91], v[76:83], v[116:123]
	v_cndmask_b32_e32 v69, v69, v70, vcc_lo
	v_or_b32_e32 v70, 2, v68
	v_wmma_f32_16x16x16_bf16 v[100:107], v[92:99], v[76:83], v[100:107]
	v_or_b32_e32 v89, 22, v68
	v_dual_mul_f32 v80, s19, v121 :: v_dual_mul_f32 v81, s19, v120
	v_dual_mul_f32 v92, s19, v117 :: v_dual_mul_f32 v93, s19, v116
	s_delay_alu instid0(VALU_DEP_4)
	v_mul_f32_e32 v96, s19, v105
	v_cmp_gt_i32_e32 vcc_lo, s24, v70
	v_dual_mul_f32 v79, s19, v122 :: v_dual_mul_f32 v82, s19, v119
	v_dual_mul_f32 v83, s19, v118 :: v_dual_mul_f32 v94, s19, v107
	v_cndmask_b32_e64 v93, 0xff7fffff, v93, s3
	v_cndmask_b32_e32 v92, 0xff7fffff, v92, vcc_lo
	v_or_b32_e32 v84, 12, v68
	v_or_b32_e32 v85, 14, v68
	v_cndmask_b32_e64 v71, 0xff7fffff, v83, s4
	v_cndmask_b32_e64 v72, 0xff7fffff, v82, s5
	v_cmp_gt_i32_e64 s13, s24, v89
	v_lshlrev_b32_e32 v89, 2, v69
	v_max3_f32 v82, v93, 0xff7fffff, v92
	v_or_b32_e32 v86, 16, v68
	v_or_b32_e32 v87, 18, v68
	v_mul_f32_e32 v78, s19, v123
	v_cndmask_b32_e64 v81, 0xff7fffff, v81, s6
	v_cndmask_b32_e64 v80, 0xff7fffff, v80, s7
	v_max3_f32 v71, v82, v71, v72
	v_cmp_gt_i32_e64 s8, s24, v84
	v_cmp_gt_i32_e64 s9, s24, v85
	v_or_b32_e32 v88, 20, v68
	v_or_b32_e32 v90, 24, v68
	;; [unrolled: 1-line block ×5, first 2 shown]
	v_dual_mul_f32 v97, s19, v104 :: v_dual_mul_f32 v70, s19, v101
	v_dual_mul_f32 v99, s19, v102 :: v_dual_mul_f32 v68, s19, v100
	v_cndmask_b32_e64 v72, 0xff7fffff, v79, s8
	v_cndmask_b32_e64 v78, 0xff7fffff, v78, s9
	v_max3_f32 v71, v71, v81, v80
	v_cmp_gt_i32_e64 s10, s24, v86
	v_cmp_gt_i32_e64 s11, s24, v87
	v_dual_mul_f32 v95, s19, v106 :: v_dual_mul_f32 v98, s19, v103
	s_delay_alu instid0(VALU_DEP_4) | instskip(NEXT) | instid1(VALU_DEP_4)
	v_max3_f32 v71, v71, v72, v78
	v_cndmask_b32_e64 v68, 0xff7fffff, v68, s10
	s_delay_alu instid0(VALU_DEP_4)
	v_cndmask_b32_e64 v70, 0xff7fffff, v70, s11
	v_cmp_gt_i32_e64 s12, s24, v88
	v_cndmask_b32_e64 v78, 0xff7fffff, v98, s13
	v_cmp_gt_i32_e64 s15, s24, v90
	v_cmp_gt_i32_e64 s16, s24, v91
	v_max3_f32 v68, v71, v68, v70
	v_cndmask_b32_e64 v72, 0xff7fffff, v99, s12
	v_cmp_gt_i32_e64 s17, s24, v76
	v_cndmask_b32_e64 v70, 0xff7fffff, v97, s15
	v_cndmask_b32_e64 v71, 0xff7fffff, v96, s16
	v_cmp_gt_i32_e64 s18, s24, v77
	v_max3_f32 v68, v68, v72, v78
	v_cndmask_b32_e64 v72, 0xff7fffff, v95, s17
	s_delay_alu instid0(VALU_DEP_3) | instskip(NEXT) | instid1(VALU_DEP_3)
	v_cndmask_b32_e64 v76, 0xff7fffff, v94, s18
	v_max3_f32 v68, v68, v70, v71
	s_delay_alu instid0(VALU_DEP_1) | instskip(SKIP_3) | instid1(VALU_DEP_1)
	v_max3_f32 v68, v68, v72, v76
	ds_bpermute_b32 v69, v89, v68
	s_waitcnt lgkmcnt(0)
	v_max_f32_e32 v69, v69, v69
	v_max_f32_e32 v68, v68, v69
	s_delay_alu instid0(VALU_DEP_1) | instskip(NEXT) | instid1(VALU_DEP_1)
	v_fma_f32 v71, s19, v118, -v68
	v_mul_f32_e32 v71, 0x3fb8aa3b, v71
	v_fma_f32 v70, s19, v117, -v68
	v_fma_f32 v69, s19, v116, -v68
	;; [unrolled: 1-line block ×5, first 2 shown]
	s_delay_alu instid0(VALU_DEP_4) | instskip(SKIP_1) | instid1(VALU_DEP_3)
	v_dual_mul_f32 v70, 0x3fb8aa3b, v70 :: v_dual_mul_f32 v69, 0x3fb8aa3b, v69
	v_exp_f32_e32 v71, v71
	v_mul_f32_e32 v72, 0x3fb8aa3b, v72
	v_fma_f32 v81, s19, v105, -v68
	s_delay_alu instid0(VALU_DEP_3)
	v_exp_f32_e32 v70, v70
	v_mul_f32_e32 v77, 0x3fb8aa3b, v76
	v_exp_f32_e32 v69, v69
	v_exp_f32_e32 v72, v72
	v_mul_f32_e32 v81, 0x3fb8aa3b, v81
	v_cndmask_b32_e64 v83, 0, v71, s4
	v_fma_f32 v71, s19, v123, -v68
	s_delay_alu instid0(VALU_DEP_3) | instskip(SKIP_4) | instid1(TRANS32_DEP_3)
	v_exp_f32_e32 v81, v81
	v_cndmask_b32_e32 v76, 0, v70, vcc_lo
	v_exp_f32_e32 v77, v77
	v_cndmask_b32_e64 v80, 0, v69, s3
	v_fma_f32 v69, s19, v121, -v68
	v_cndmask_b32_e64 v85, 0, v72, s5
	v_mul_f32_e32 v71, 0x3fb8aa3b, v71
	v_fma_f32 v72, s19, v100, -v68
	s_delay_alu instid0(VALU_DEP_4) | instskip(SKIP_1) | instid1(VALU_DEP_3)
	v_dual_add_f32 v70, 0, v80 :: v_dual_mul_f32 v69, 0x3fb8aa3b, v69
	s_mov_b32 s3, exec_lo
	v_exp_f32_e32 v71, v71
	s_delay_alu instid0(TRANS32_DEP_2) | instskip(SKIP_4) | instid1(VALU_DEP_3)
	v_cndmask_b32_e64 v86, 0, v77, s6
	v_fma_f32 v77, s19, v101, -v68
	v_mul_f32_e32 v78, 0x3fb8aa3b, v78
	v_add_f32_e32 v70, v70, v76
	v_exp_f32_e32 v69, v69
	v_mul_f32_e32 v77, 0x3fb8aa3b, v77
	s_delay_alu instid0(VALU_DEP_3) | instskip(NEXT) | instid1(TRANS32_DEP_3)
	v_exp_f32_e32 v78, v78
	v_cndmask_b32_e64 v88, 0, v71, s9
	v_fma_f32 v71, s19, v104, -v68
	s_delay_alu instid0(VALU_DEP_3) | instskip(NEXT) | instid1(TRANS32_DEP_3)
	v_exp_f32_e32 v77, v77
	v_cndmask_b32_e64 v87, 0, v69, s7
	s_delay_alu instid0(VALU_DEP_2)
	v_mul_f32_e32 v71, 0x3fb8aa3b, v71
	s_waitcnt_depctr 0xfff
	v_cndmask_b32_e64 v84, 0, v78, s8
	v_add_f32_e32 v70, v70, v83
	v_fma_f32 v78, s19, v103, -v68
	v_exp_f32_e32 v82, v71
	s_delay_alu instid0(VALU_DEP_2) | instskip(SKIP_1) | instid1(VALU_DEP_3)
	v_add_f32_e32 v70, v70, v85
	v_mul_f32_e32 v72, 0x3fb8aa3b, v72
	v_mul_f32_e32 v78, 0x3fb8aa3b, v78
	s_delay_alu instid0(VALU_DEP_3) | instskip(SKIP_1) | instid1(VALU_DEP_4)
	v_add_f32_e32 v69, v70, v86
	v_fma_f32 v70, s19, v102, -v68
	v_exp_f32_e32 v72, v72
	s_delay_alu instid0(VALU_DEP_3) | instskip(NEXT) | instid1(VALU_DEP_1)
	v_exp_f32_e32 v78, v78
	v_dual_add_f32 v69, v69, v87 :: v_dual_mul_f32 v70, 0x3fb8aa3b, v70
	s_delay_alu instid0(VALU_DEP_1) | instskip(NEXT) | instid1(VALU_DEP_2)
	v_add_f32_e32 v69, v69, v84
	v_exp_f32_e32 v79, v70
	s_delay_alu instid0(TRANS32_DEP_3) | instskip(NEXT) | instid1(VALU_DEP_2)
	v_cndmask_b32_e64 v70, 0, v72, s10
	v_add_f32_e32 v72, v69, v88
	v_cndmask_b32_e64 v69, 0, v77, s11
	v_fma_f32 v77, s19, v106, -v68
	s_waitcnt_depctr 0xfff
	v_cndmask_b32_e64 v71, 0, v79, s12
	v_dual_mul_f32 v77, 0x3fb8aa3b, v77 :: v_dual_add_f32 v72, v72, v70
	s_delay_alu instid0(VALU_DEP_1) | instskip(NEXT) | instid1(VALU_DEP_1)
	v_exp_f32_e32 v90, v77
	v_add_f32_e32 v79, v72, v69
	v_cndmask_b32_e64 v72, 0, v78, s13
	v_cndmask_b32_e64 v77, 0, v82, s15
	s_delay_alu instid0(VALU_DEP_3) | instskip(SKIP_1) | instid1(VALU_DEP_1)
	v_add_f32_e32 v78, v79, v71
	v_fma_f32 v79, s19, v107, -v68
	v_dual_add_f32 v82, v78, v72 :: v_dual_mul_f32 v79, 0x3fb8aa3b, v79
	v_cndmask_b32_e64 v78, 0, v81, s16
	s_delay_alu instid0(VALU_DEP_2) | instskip(NEXT) | instid1(VALU_DEP_3)
	v_add_f32_e32 v81, v82, v77
	v_exp_f32_e32 v82, v79
	v_cndmask_b32_e64 v79, 0, v90, s17
	s_delay_alu instid0(VALU_DEP_2) | instskip(NEXT) | instid1(VALU_DEP_1)
	v_add_f32_e32 v81, v81, v78
	v_add_f32_e32 v90, v81, v79
	s_waitcnt_depctr 0xfff
	v_cndmask_b32_e64 v81, 0, v82, s18
	s_delay_alu instid0(VALU_DEP_1)
	v_add_f32_e32 v82, v90, v81
	ds_bpermute_b32 v89, v89, v82
	v_cmpx_gt_u32_e32 16, v67
	s_cbranch_execz .LBB1371_12
; %bb.11:
	v_mul_u32_u24_e32 v67, 0x44, v66
	s_delay_alu instid0(VALU_DEP_1) | instskip(SKIP_1) | instid1(VALU_DEP_1)
	v_lshl_add_u32 v67, v65, 2, v67
	s_waitcnt lgkmcnt(0)
	v_dual_add_f32 v82, v82, v89 :: v_dual_add_nc_u32 v67, 0x4000, v67
	ds_store_2addr_b32 v67, v68, v82 offset1:136
.LBB1371_12:
	s_or_b32 exec_lo, exec_lo, s3
	v_lshlrev_b32_e32 v67, 2, v65
	s_waitcnt lgkmcnt(0)
	s_barrier
	buffer_gl0_inv
	v_cmp_eq_u32_e32 vcc_lo, 1, v66
	v_add_nc_u32_e32 v82, 0x4000, v67
	v_cmp_eq_u32_e64 s3, 2, v66
	v_cmp_eq_u32_e64 s5, 7, v66
	ds_load_2addr_b32 v[89:90], v82 offset1:17
	ds_load_2addr_b32 v[91:92], v82 offset0:34 offset1:51
	ds_load_2addr_b32 v[93:94], v82 offset0:68 offset1:85
	;; [unrolled: 1-line block ×4, first 2 shown]
	s_waitcnt lgkmcnt(4)
	v_max3_f32 v67, v89, 0xff7fffff, v90
	s_waitcnt lgkmcnt(3)
	s_delay_alu instid0(VALU_DEP_1) | instskip(SKIP_1) | instid1(VALU_DEP_1)
	v_max3_f32 v67, v67, v91, v92
	s_waitcnt lgkmcnt(2)
	v_max3_f32 v67, v67, v93, v94
	s_waitcnt lgkmcnt(1)
	s_delay_alu instid0(VALU_DEP_1) | instskip(NEXT) | instid1(VALU_DEP_1)
	v_max3_f32 v67, v67, v95, v96
	v_sub_f32_e32 v93, v93, v67
	s_delay_alu instid0(VALU_DEP_1) | instskip(NEXT) | instid1(VALU_DEP_1)
	v_dual_sub_f32 v68, v89, v67 :: v_dual_mul_f32 v103, 0x3fb8aa3b, v93
	v_mul_f32_e32 v68, 0x3fb8aa3b, v68
	s_delay_alu instid0(VALU_DEP_1)
	v_exp_f32_e32 v100, v68
	v_sub_f32_e32 v68, v92, v67
	v_sub_f32_e32 v99, v90, v67
	ds_load_2addr_b32 v[89:90], v82 offset0:170 offset1:187
	v_dual_mul_f32 v102, 0x3fb8aa3b, v68 :: v_dual_mul_f32 v99, 0x3fb8aa3b, v99
	s_waitcnt lgkmcnt(1)
	v_fma_f32 v68, v100, v97, 0
	s_delay_alu instid0(VALU_DEP_2) | instskip(NEXT) | instid1(VALU_DEP_2)
	v_exp_f32_e32 v102, v102
	v_exp_f32_e32 v99, v99
	s_waitcnt_depctr 0xfff
	v_fmac_f32_e32 v68, v99, v98
	v_sub_f32_e32 v91, v91, v67
	s_delay_alu instid0(VALU_DEP_1)
	v_mul_f32_e32 v101, 0x3fb8aa3b, v91
	ds_load_2addr_b32 v[91:92], v82 offset0:204 offset1:221
	v_sub_f32_e32 v97, v94, v67
	ds_load_2addr_b32 v[93:94], v82 offset0:238 offset1:255
	s_waitcnt lgkmcnt(0)
	v_exp_f32_e32 v101, v101
	s_barrier
	buffer_gl0_inv
	v_dual_fmac_f32 v68, v101, v89 :: v_dual_sub_f32 v89, v96, v67
	v_dual_sub_f32 v82, v95, v67 :: v_dual_mul_f32 v95, 0x3fb8aa3b, v97
	v_exp_f32_e32 v97, v103
	s_delay_alu instid0(VALU_DEP_2) | instskip(NEXT) | instid1(VALU_DEP_2)
	v_dual_fmac_f32 v68, v102, v90 :: v_dual_mul_f32 v89, 0x3fb8aa3b, v89
	v_mul_f32_e32 v82, 0x3fb8aa3b, v82
	s_delay_alu instid0(VALU_DEP_3) | instskip(NEXT) | instid1(VALU_DEP_2)
	v_exp_f32_e32 v95, v95
	v_exp_f32_e32 v89, v89
	s_delay_alu instid0(VALU_DEP_1)
	v_exp_f32_e32 v82, v82
	v_fmac_f32_e32 v68, v97, v91
	s_delay_alu instid0(TRANS32_DEP_3) | instid1(VALU_DEP_1)
	v_fmac_f32_e32 v68, v95, v92
	s_waitcnt_depctr 0xfff
	v_fmac_f32_e32 v68, v82, v93
	s_delay_alu instid0(VALU_DEP_1) | instskip(NEXT) | instid1(VALU_DEP_1)
	v_fmac_f32_e32 v68, v89, v94
	v_add_f32_e32 v90, 0x358637bd, v68
	s_delay_alu instid0(VALU_DEP_1) | instskip(NEXT) | instid1(VALU_DEP_1)
	v_div_scale_f32 v91, null, v90, v90, 1.0
	v_rcp_f32_e32 v92, v91
	s_waitcnt_depctr 0xfff
	v_fma_f32 v93, -v91, v92, 1.0
	s_delay_alu instid0(VALU_DEP_1) | instskip(SKIP_1) | instid1(VALU_DEP_2)
	v_dual_fmac_f32 v92, v93, v92 :: v_dual_cndmask_b32 v93, v100, v99
	v_cmp_eq_u32_e32 vcc_lo, 3, v66
	v_cndmask_b32_e64 v93, v93, v101, s3
	v_cmp_eq_u32_e64 s3, 4, v66
	s_delay_alu instid0(VALU_DEP_2) | instskip(SKIP_1) | instid1(VALU_DEP_2)
	v_cndmask_b32_e32 v93, v93, v102, vcc_lo
	v_cmp_eq_u32_e32 vcc_lo, 5, v66
	v_cndmask_b32_e64 v93, v93, v97, s3
	v_cmp_eq_u32_e64 s3, 6, v66
	s_delay_alu instid0(VALU_DEP_2) | instskip(SKIP_1) | instid1(VALU_DEP_1)
	v_cndmask_b32_e32 v93, v93, v95, vcc_lo
	v_div_scale_f32 v94, s4, 1.0, v90, 1.0
	s_mov_b32 vcc_lo, s4
	s_delay_alu instid0(VALU_DEP_2) | instskip(NEXT) | instid1(VALU_DEP_2)
	v_cndmask_b32_e64 v82, v93, v82, s3
	v_mul_f32_e32 v96, v94, v92
	s_mov_b32 s3, exec_lo
	s_delay_alu instid0(VALU_DEP_2) | instskip(NEXT) | instid1(VALU_DEP_2)
	v_cndmask_b32_e64 v82, v82, v89, s5
	v_fma_f32 v98, -v91, v96, v94
	s_delay_alu instid0(VALU_DEP_1) | instskip(NEXT) | instid1(VALU_DEP_1)
	v_fmac_f32_e32 v96, v98, v92
	v_fma_f32 v91, -v91, v96, v94
	s_delay_alu instid0(VALU_DEP_1) | instskip(NEXT) | instid1(VALU_DEP_1)
	v_div_fmas_f32 v91, v91, v92, v96
	v_div_fixup_f32 v90, v91, v90, 1.0
	s_delay_alu instid0(VALU_DEP_1) | instskip(NEXT) | instid1(VALU_DEP_1)
	v_mul_f32_e32 v82, v82, v90
	v_mul_f32_e32 v87, v82, v87
	;; [unrolled: 1-line block ×7, first 2 shown]
	v_dual_mul_f32 v86, v82, v83 :: v_dual_and_b32 v91, 0x7f800000, v90
	v_mul_f32_e32 v85, v82, v76
                                        ; implicit-def: $vgpr76
	s_delay_alu instid0(VALU_DEP_2)
	v_cmpx_ne_u32_e32 0x7f800000, v91
	s_xor_b32 s3, exec_lo, s3
; %bb.13:
	v_bfe_u32 v76, v90, 16, 1
	s_delay_alu instid0(VALU_DEP_1)
	v_add3_u32 v76, v90, v76, 0x7fff
                                        ; implicit-def: $vgpr90
; %bb.14:
	s_and_not1_saveexec_b32 s3, s3
; %bb.15:
	v_and_b32_e32 v76, 0xffff, v90
	v_or_b32_e32 v83, 0x10000, v90
	s_delay_alu instid0(VALU_DEP_2) | instskip(NEXT) | instid1(VALU_DEP_2)
	v_cmp_eq_u32_e32 vcc_lo, 0, v76
	v_cndmask_b32_e32 v76, v83, v90, vcc_lo
; %bb.16:
	s_or_b32 exec_lo, exec_lo, s3
	v_and_b32_e32 v83, 0x7f800000, v85
	s_delay_alu instid0(VALU_DEP_1) | instskip(SKIP_1) | instid1(SALU_CYCLE_1)
	v_cmp_ne_u32_e32 vcc_lo, 0x7f800000, v83
                                        ; implicit-def: $vgpr83
	s_and_saveexec_b32 s3, vcc_lo
	s_xor_b32 s3, exec_lo, s3
; %bb.17:
	v_bfe_u32 v83, v85, 16, 1
	s_delay_alu instid0(VALU_DEP_1)
	v_add3_u32 v83, v85, v83, 0x7fff
                                        ; implicit-def: $vgpr85
; %bb.18:
	s_and_not1_saveexec_b32 s3, s3
; %bb.19:
	v_and_b32_e32 v83, 0xffff, v85
	v_or_b32_e32 v90, 0x10000, v85
	s_delay_alu instid0(VALU_DEP_2) | instskip(NEXT) | instid1(VALU_DEP_2)
	v_cmp_eq_u32_e32 vcc_lo, 0, v83
	v_cndmask_b32_e32 v83, v90, v85, vcc_lo
; %bb.20:
	s_or_b32 exec_lo, exec_lo, s3
	v_and_b32_e32 v85, 0x7f800000, v86
	s_delay_alu instid0(VALU_DEP_1) | instskip(SKIP_1) | instid1(SALU_CYCLE_1)
	v_cmp_ne_u32_e32 vcc_lo, 0x7f800000, v85
                                        ; implicit-def: $vgpr85
	s_and_saveexec_b32 s3, vcc_lo
	s_xor_b32 s3, exec_lo, s3
; %bb.21:
	v_bfe_u32 v85, v86, 16, 1
	s_delay_alu instid0(VALU_DEP_1)
	v_add3_u32 v85, v86, v85, 0x7fff
                                        ; implicit-def: $vgpr86
; %bb.22:
	s_and_not1_saveexec_b32 s3, s3
; %bb.23:
	v_and_b32_e32 v85, 0xffff, v86
	v_or_b32_e32 v90, 0x10000, v86
	s_delay_alu instid0(VALU_DEP_2) | instskip(NEXT) | instid1(VALU_DEP_2)
	v_cmp_eq_u32_e32 vcc_lo, 0, v85
	v_cndmask_b32_e32 v85, v90, v86, vcc_lo
; %bb.24:
	s_or_b32 exec_lo, exec_lo, s3
	v_and_b32_e32 v86, 0x7f800000, v89
	s_delay_alu instid0(VALU_DEP_1) | instskip(SKIP_1) | instid1(SALU_CYCLE_1)
	v_cmp_ne_u32_e32 vcc_lo, 0x7f800000, v86
                                        ; implicit-def: $vgpr86
	s_and_saveexec_b32 s3, vcc_lo
	s_xor_b32 s3, exec_lo, s3
; %bb.25:
	v_bfe_u32 v86, v89, 16, 1
	s_delay_alu instid0(VALU_DEP_1)
	v_add3_u32 v86, v89, v86, 0x7fff
                                        ; implicit-def: $vgpr89
; %bb.26:
	s_and_not1_saveexec_b32 s3, s3
; %bb.27:
	v_and_b32_e32 v86, 0xffff, v89
	v_or_b32_e32 v90, 0x10000, v89
	s_delay_alu instid0(VALU_DEP_2) | instskip(NEXT) | instid1(VALU_DEP_2)
	v_cmp_eq_u32_e32 vcc_lo, 0, v86
	v_cndmask_b32_e32 v86, v90, v89, vcc_lo
; %bb.28:
	s_or_b32 exec_lo, exec_lo, s3
	v_and_b32_e32 v89, 0x7f800000, v88
	s_delay_alu instid0(VALU_DEP_1) | instskip(SKIP_1) | instid1(SALU_CYCLE_1)
	v_cmp_ne_u32_e32 vcc_lo, 0x7f800000, v89
                                        ; implicit-def: $vgpr89
	s_and_saveexec_b32 s3, vcc_lo
	s_xor_b32 s3, exec_lo, s3
; %bb.29:
	v_bfe_u32 v89, v88, 16, 1
	s_delay_alu instid0(VALU_DEP_1)
	v_add3_u32 v89, v88, v89, 0x7fff
                                        ; implicit-def: $vgpr88
; %bb.30:
	s_and_not1_saveexec_b32 s3, s3
; %bb.31:
	v_and_b32_e32 v89, 0xffff, v88
	v_or_b32_e32 v90, 0x10000, v88
	s_delay_alu instid0(VALU_DEP_2) | instskip(NEXT) | instid1(VALU_DEP_2)
	v_cmp_eq_u32_e32 vcc_lo, 0, v89
	v_cndmask_b32_e32 v89, v90, v88, vcc_lo
; %bb.32:
	s_or_b32 exec_lo, exec_lo, s3
	v_and_b32_e32 v88, 0x7f800000, v87
	s_delay_alu instid0(VALU_DEP_1) | instskip(SKIP_1) | instid1(SALU_CYCLE_1)
	v_cmp_ne_u32_e32 vcc_lo, 0x7f800000, v88
                                        ; implicit-def: $vgpr88
	s_and_saveexec_b32 s3, vcc_lo
	s_xor_b32 s3, exec_lo, s3
; %bb.33:
	v_bfe_u32 v88, v87, 16, 1
	s_delay_alu instid0(VALU_DEP_1)
	v_add3_u32 v88, v87, v88, 0x7fff
                                        ; implicit-def: $vgpr87
; %bb.34:
	s_and_not1_saveexec_b32 s3, s3
; %bb.35:
	v_and_b32_e32 v88, 0xffff, v87
	v_or_b32_e32 v90, 0x10000, v87
	s_delay_alu instid0(VALU_DEP_2) | instskip(NEXT) | instid1(VALU_DEP_2)
	v_cmp_eq_u32_e32 vcc_lo, 0, v88
	v_cndmask_b32_e32 v88, v90, v87, vcc_lo
; %bb.36:
	s_or_b32 exec_lo, exec_lo, s3
	v_and_b32_e32 v87, 0x7f800000, v84
	s_delay_alu instid0(VALU_DEP_1) | instskip(SKIP_1) | instid1(SALU_CYCLE_1)
	v_cmp_ne_u32_e32 vcc_lo, 0x7f800000, v87
                                        ; implicit-def: $vgpr87
	s_and_saveexec_b32 s3, vcc_lo
	s_xor_b32 s3, exec_lo, s3
; %bb.37:
	v_bfe_u32 v87, v84, 16, 1
	s_delay_alu instid0(VALU_DEP_1)
	v_add3_u32 v87, v84, v87, 0x7fff
                                        ; implicit-def: $vgpr84
; %bb.38:
	s_and_not1_saveexec_b32 s3, s3
; %bb.39:
	v_and_b32_e32 v87, 0xffff, v84
	v_or_b32_e32 v90, 0x10000, v84
	s_delay_alu instid0(VALU_DEP_2) | instskip(NEXT) | instid1(VALU_DEP_2)
	v_cmp_eq_u32_e32 vcc_lo, 0, v87
	v_cndmask_b32_e32 v87, v90, v84, vcc_lo
; %bb.40:
	s_or_b32 exec_lo, exec_lo, s3
	v_and_b32_e32 v84, 0x7f800000, v80
	s_delay_alu instid0(VALU_DEP_1) | instskip(SKIP_1) | instid1(SALU_CYCLE_1)
	v_cmp_ne_u32_e32 vcc_lo, 0x7f800000, v84
                                        ; implicit-def: $vgpr84
	s_and_saveexec_b32 s3, vcc_lo
	s_xor_b32 s3, exec_lo, s3
; %bb.41:
	v_bfe_u32 v84, v80, 16, 1
	s_delay_alu instid0(VALU_DEP_1)
	v_add3_u32 v84, v80, v84, 0x7fff
                                        ; implicit-def: $vgpr80
; %bb.42:
	s_and_not1_saveexec_b32 s3, s3
; %bb.43:
	v_and_b32_e32 v84, 0xffff, v80
	v_or_b32_e32 v90, 0x10000, v80
	s_delay_alu instid0(VALU_DEP_2) | instskip(NEXT) | instid1(VALU_DEP_2)
	v_cmp_eq_u32_e32 vcc_lo, 0, v84
	v_cndmask_b32_e32 v84, v90, v80, vcc_lo
; %bb.44:
	s_or_b32 exec_lo, exec_lo, s3
	s_load_b64 s[34:35], s[0:1], 0x94
	v_lshlrev_b32_e32 v91, 4, v74
	s_delay_alu instid0(VALU_DEP_2)
	v_perm_b32 v90, v84, v87, 0x7060302
	v_dual_mul_f32 v79, v82, v79 :: v_dual_lshlrev_b32 v80, 6, v65
	v_dual_mul_f32 v77, v82, v77 :: v_dual_lshlrev_b32 v92, 11, v66
	v_mul_f32_e32 v84, v82, v70
	v_perm_b32 v89, v88, v89, 0x7060302
	v_perm_b32 v88, v86, v85, 0x7060302
	;; [unrolled: 1-line block ×3, first 2 shown]
	v_mul_f32_e32 v70, v82, v81
	v_or3_b32 v76, v91, v92, v80
	v_dual_mul_f32 v78, v82, v78 :: v_dual_and_b32 v85, 0x7f800000, v84
	v_mul_f32_e32 v83, v82, v72
	v_mul_f32_e32 v81, v82, v71
	v_mul_f32_e32 v72, v82, v69
	s_mov_b32 s3, exec_lo
	ds_store_b128 v76, v[87:90]
                                        ; implicit-def: $vgpr69
	v_cmpx_ne_u32_e32 0x7f800000, v85
	s_xor_b32 s3, exec_lo, s3
; %bb.45:
	v_bfe_u32 v69, v84, 16, 1
	s_delay_alu instid0(VALU_DEP_1)
	v_add3_u32 v69, v84, v69, 0x7fff
                                        ; implicit-def: $vgpr84
; %bb.46:
	s_and_not1_saveexec_b32 s3, s3
; %bb.47:
	v_and_b32_e32 v69, 0xffff, v84
	v_or_b32_e32 v71, 0x10000, v84
	s_delay_alu instid0(VALU_DEP_2) | instskip(NEXT) | instid1(VALU_DEP_2)
	v_cmp_eq_u32_e32 vcc_lo, 0, v69
	v_cndmask_b32_e32 v69, v71, v84, vcc_lo
; %bb.48:
	s_or_b32 exec_lo, exec_lo, s3
	v_and_b32_e32 v71, 0x7f800000, v72
	s_delay_alu instid0(VALU_DEP_1) | instskip(SKIP_1) | instid1(SALU_CYCLE_1)
	v_cmp_ne_u32_e32 vcc_lo, 0x7f800000, v71
                                        ; implicit-def: $vgpr71
	s_and_saveexec_b32 s3, vcc_lo
	s_xor_b32 s3, exec_lo, s3
; %bb.49:
	v_bfe_u32 v71, v72, 16, 1
	s_delay_alu instid0(VALU_DEP_1)
	v_add3_u32 v71, v72, v71, 0x7fff
                                        ; implicit-def: $vgpr72
; %bb.50:
	s_and_not1_saveexec_b32 s3, s3
; %bb.51:
	v_and_b32_e32 v71, 0xffff, v72
	v_or_b32_e32 v82, 0x10000, v72
	s_delay_alu instid0(VALU_DEP_2) | instskip(NEXT) | instid1(VALU_DEP_2)
	v_cmp_eq_u32_e32 vcc_lo, 0, v71
	v_cndmask_b32_e32 v71, v82, v72, vcc_lo
; %bb.52:
	s_or_b32 exec_lo, exec_lo, s3
	v_and_b32_e32 v72, 0x7f800000, v81
	s_delay_alu instid0(VALU_DEP_1) | instskip(SKIP_1) | instid1(SALU_CYCLE_1)
	v_cmp_ne_u32_e32 vcc_lo, 0x7f800000, v72
                                        ; implicit-def: $vgpr72
	s_and_saveexec_b32 s3, vcc_lo
	s_xor_b32 s3, exec_lo, s3
; %bb.53:
	v_bfe_u32 v72, v81, 16, 1
	s_delay_alu instid0(VALU_DEP_1)
	v_add3_u32 v72, v81, v72, 0x7fff
                                        ; implicit-def: $vgpr81
; %bb.54:
	s_and_not1_saveexec_b32 s3, s3
; %bb.55:
	v_and_b32_e32 v72, 0xffff, v81
	v_or_b32_e32 v82, 0x10000, v81
	s_delay_alu instid0(VALU_DEP_2) | instskip(NEXT) | instid1(VALU_DEP_2)
	v_cmp_eq_u32_e32 vcc_lo, 0, v72
	v_cndmask_b32_e32 v72, v82, v81, vcc_lo
; %bb.56:
	s_or_b32 exec_lo, exec_lo, s3
	v_and_b32_e32 v81, 0x7f800000, v83
	s_delay_alu instid0(VALU_DEP_1) | instskip(SKIP_1) | instid1(SALU_CYCLE_1)
	v_cmp_ne_u32_e32 vcc_lo, 0x7f800000, v81
                                        ; implicit-def: $vgpr81
	s_and_saveexec_b32 s3, vcc_lo
	s_xor_b32 s3, exec_lo, s3
; %bb.57:
	v_bfe_u32 v81, v83, 16, 1
	s_delay_alu instid0(VALU_DEP_1)
	v_add3_u32 v81, v83, v81, 0x7fff
                                        ; implicit-def: $vgpr83
; %bb.58:
	s_and_not1_saveexec_b32 s3, s3
; %bb.59:
	v_and_b32_e32 v81, 0xffff, v83
	v_or_b32_e32 v82, 0x10000, v83
	s_delay_alu instid0(VALU_DEP_2) | instskip(NEXT) | instid1(VALU_DEP_2)
	v_cmp_eq_u32_e32 vcc_lo, 0, v81
	v_cndmask_b32_e32 v81, v82, v83, vcc_lo
; %bb.60:
	s_or_b32 exec_lo, exec_lo, s3
	v_and_b32_e32 v82, 0x7f800000, v77
	s_delay_alu instid0(VALU_DEP_1) | instskip(SKIP_1) | instid1(SALU_CYCLE_1)
	v_cmp_ne_u32_e32 vcc_lo, 0x7f800000, v82
                                        ; implicit-def: $vgpr82
	s_and_saveexec_b32 s3, vcc_lo
	s_xor_b32 s3, exec_lo, s3
; %bb.61:
	v_bfe_u32 v82, v77, 16, 1
	s_delay_alu instid0(VALU_DEP_1)
	v_add3_u32 v82, v77, v82, 0x7fff
                                        ; implicit-def: $vgpr77
; %bb.62:
	s_and_not1_saveexec_b32 s3, s3
; %bb.63:
	v_and_b32_e32 v82, 0xffff, v77
	v_or_b32_e32 v83, 0x10000, v77
	s_delay_alu instid0(VALU_DEP_2) | instskip(NEXT) | instid1(VALU_DEP_2)
	v_cmp_eq_u32_e32 vcc_lo, 0, v82
	v_cndmask_b32_e32 v82, v83, v77, vcc_lo
; %bb.64:
	s_or_b32 exec_lo, exec_lo, s3
	v_and_b32_e32 v77, 0x7f800000, v78
	s_delay_alu instid0(VALU_DEP_1) | instskip(SKIP_1) | instid1(SALU_CYCLE_1)
	v_cmp_ne_u32_e32 vcc_lo, 0x7f800000, v77
                                        ; implicit-def: $vgpr77
	s_and_saveexec_b32 s3, vcc_lo
	s_xor_b32 s3, exec_lo, s3
; %bb.65:
	v_bfe_u32 v77, v78, 16, 1
	s_delay_alu instid0(VALU_DEP_1)
	v_add3_u32 v77, v78, v77, 0x7fff
                                        ; implicit-def: $vgpr78
; %bb.66:
	s_and_not1_saveexec_b32 s3, s3
; %bb.67:
	v_and_b32_e32 v77, 0xffff, v78
	v_or_b32_e32 v83, 0x10000, v78
	s_delay_alu instid0(VALU_DEP_2) | instskip(NEXT) | instid1(VALU_DEP_2)
	v_cmp_eq_u32_e32 vcc_lo, 0, v77
	v_cndmask_b32_e32 v77, v83, v78, vcc_lo
; %bb.68:
	s_or_b32 exec_lo, exec_lo, s3
	v_and_b32_e32 v78, 0x7f800000, v79
	s_delay_alu instid0(VALU_DEP_1) | instskip(SKIP_1) | instid1(SALU_CYCLE_1)
	v_cmp_ne_u32_e32 vcc_lo, 0x7f800000, v78
                                        ; implicit-def: $vgpr78
	s_and_saveexec_b32 s3, vcc_lo
	s_xor_b32 s3, exec_lo, s3
; %bb.69:
	v_bfe_u32 v78, v79, 16, 1
	s_delay_alu instid0(VALU_DEP_1)
	v_add3_u32 v78, v79, v78, 0x7fff
                                        ; implicit-def: $vgpr79
; %bb.70:
	s_and_not1_saveexec_b32 s3, s3
; %bb.71:
	v_and_b32_e32 v78, 0xffff, v79
	v_or_b32_e32 v83, 0x10000, v79
	s_delay_alu instid0(VALU_DEP_2) | instskip(NEXT) | instid1(VALU_DEP_2)
	v_cmp_eq_u32_e32 vcc_lo, 0, v78
	v_cndmask_b32_e32 v78, v83, v79, vcc_lo
; %bb.72:
	s_or_b32 exec_lo, exec_lo, s3
	v_and_b32_e32 v79, 0x7f800000, v70
	s_delay_alu instid0(VALU_DEP_1) | instskip(SKIP_1) | instid1(SALU_CYCLE_1)
	v_cmp_ne_u32_e32 vcc_lo, 0x7f800000, v79
                                        ; implicit-def: $vgpr79
	s_and_saveexec_b32 s3, vcc_lo
	s_xor_b32 s3, exec_lo, s3
; %bb.73:
	v_bfe_u32 v79, v70, 16, 1
	s_delay_alu instid0(VALU_DEP_1)
	v_add3_u32 v79, v70, v79, 0x7fff
                                        ; implicit-def: $vgpr70
; %bb.74:
	s_and_not1_saveexec_b32 s3, s3
; %bb.75:
	v_and_b32_e32 v79, 0xffff, v70
	v_or_b32_e32 v83, 0x10000, v70
	s_delay_alu instid0(VALU_DEP_2) | instskip(NEXT) | instid1(VALU_DEP_2)
	v_cmp_eq_u32_e32 vcc_lo, 0, v79
	v_cndmask_b32_e32 v79, v83, v70, vcc_lo
; %bb.76:
	s_or_b32 exec_lo, exec_lo, s3
	s_delay_alu instid0(VALU_DEP_1)
	v_perm_b32 v86, v79, v78, 0x7060302
	v_perm_b32 v85, v77, v82, 0x7060302
	;; [unrolled: 1-line block ×4, first 2 shown]
	v_lshl_or_b32 v82, v66, 11, v80
	ds_store_b128 v76, v[83:86] offset:1024
	s_waitcnt lgkmcnt(0)
	s_barrier
	buffer_gl0_inv
	ds_load_b128 v[69:72], v82
	ds_load_b128 v[83:86], v82 offset:16
	s_waitcnt lgkmcnt(1)
	v_lshrrev_b32_e32 v66, 16, v69
	s_waitcnt lgkmcnt(0)
	v_lshrrev_b32_e32 v91, 16, v83
	v_lshlrev_b32_e32 v78, 2, v74
	v_lshrrev_b32_e32 v95, 16, v70
	v_lshrrev_b32_e32 v98, 16, v84
	;; [unrolled: 1-line block ×4, first 2 shown]
	v_cmp_eq_u32_e32 vcc_lo, 1, v78
	v_lshrrev_b32_e32 v97, 16, v72
	v_lshrrev_b32_e32 v100, 16, v86
	v_cndmask_b32_e32 v87, v83, v91, vcc_lo
	v_or_b32_e32 v79, 1, v78
	v_cndmask_b32_e32 v81, v69, v66, vcc_lo
	v_cmp_eq_u32_e64 s4, 2, v78
	v_cmp_eq_u32_e64 s7, 3, v78
	;; [unrolled: 1-line block ×5, first 2 shown]
	v_cndmask_b32_e64 v81, v81, v70, s4
	v_cndmask_b32_e64 v87, v87, v84, s4
	v_cmp_eq_u32_e64 s8, 3, v79
	v_cndmask_b32_e64 v88, v69, v66, s3
	v_or_b32_e32 v77, 2, v78
	v_cndmask_b32_e64 v81, v81, v95, s7
	v_cndmask_b32_e64 v87, v87, v98, s7
	;; [unrolled: 1-line block ×4, first 2 shown]
	v_cmp_eq_u32_e64 s10, 5, v78
	v_cndmask_b32_e64 v81, v81, v71, s9
	v_cndmask_b32_e64 v87, v87, v85, s9
	v_cmp_eq_u32_e64 s11, 4, v79
	v_cndmask_b32_e64 v88, v88, v95, s8
	v_cmp_eq_u32_e64 s5, 1, v77
	v_cndmask_b32_e64 v89, v89, v84, s6
	v_cndmask_b32_e64 v81, v81, v96, s10
	v_cmp_eq_u32_e64 s12, 6, v78
	v_cndmask_b32_e64 v88, v88, v71, s11
	v_cndmask_b32_e64 v87, v87, v99, s10
	v_cmp_eq_u32_e64 s13, 5, v79
	v_cndmask_b32_e64 v90, v69, v66, s5
	v_cndmask_b32_e64 v89, v89, v98, s8
	v_cndmask_b32_e64 v81, v81, v72, s12
	v_cmp_eq_u32_e64 s15, 7, v78
	v_cndmask_b32_e64 v88, v88, v96, s13
	v_cndmask_b32_e64 v87, v87, v86, s12
	v_cmp_eq_u32_e64 s16, 6, v79
	v_cmp_eq_u32_e64 s17, 2, v77
	v_cndmask_b32_e64 v89, v89, v85, s11
	v_cndmask_b32_e64 v101, v81, v97, s15
	;; [unrolled: 1-line block ×6, first 2 shown]
	v_cmp_eq_u32_e64 s18, 7, v79
	v_cmp_eq_u32_e64 s19, 3, v77
	;; [unrolled: 1-line block ×4, first 2 shown]
	v_cndmask_b32_e64 v87, v87, v84, s17
	v_cndmask_b32_e64 v103, v88, v97, s18
	;; [unrolled: 1-line block ×4, first 2 shown]
	v_or_b32_e32 v81, 3, v78
	v_cndmask_b32_e64 v93, v87, v98, s19
	v_cmp_eq_u32_e64 s24, 6, v77
	v_cndmask_b32_e64 v104, v88, v86, s16
	v_cndmask_b32_e64 v92, v89, v71, s20
	v_cmp_eq_u32_e64 s21, 1, v81
	ds_load_b128 v[87:90], v82 offset:1024
	v_cmp_eq_u32_e64 s23, 2, v81
	v_cmp_eq_u32_e64 s25, 3, v81
	v_cndmask_b32_e64 v105, v92, v96, s22
	v_cndmask_b32_e64 v66, v69, v66, s21
	;; [unrolled: 1-line block ×4, first 2 shown]
	ds_load_b128 v[91:94], v82 offset:1040
	v_cmp_eq_u32_e64 s26, 4, v81
	v_cndmask_b32_e64 v66, v66, v70, s23
	v_cmp_eq_u32_e64 s27, 7, v77
	v_cndmask_b32_e64 v70, v83, v84, s23
	v_cndmask_b32_e64 v84, v105, v72, s24
	v_cmp_eq_u32_e64 s28, 5, v81
	v_cndmask_b32_e64 v66, v66, v95, s25
	v_cmp_eq_u32_e64 s29, 6, v81
	v_cndmask_b32_e64 v70, v70, v98, s25
	v_cndmask_b32_e64 v69, v69, v99, s22
	;; [unrolled: 1-line block ×4, first 2 shown]
	s_waitcnt lgkmcnt(1)
	v_lshrrev_b32_e32 v95, 16, v87
	v_cndmask_b32_e64 v70, v70, v85, s26
	v_cndmask_b32_e64 v71, v84, v97, s27
	;; [unrolled: 1-line block ×4, first 2 shown]
	v_cndmask_b32_e32 v84, v87, v95, vcc_lo
	v_cndmask_b32_e64 v70, v70, v99, s28
	s_waitcnt lgkmcnt(0)
	v_lshrrev_b32_e32 v85, 16, v91
	v_lshrrev_b32_e32 v96, 16, v88
	v_cndmask_b32_e64 v98, v87, v95, s3
	v_cndmask_b32_e64 v84, v84, v88, s4
	;; [unrolled: 1-line block ×3, first 2 shown]
	v_cndmask_b32_e32 v99, v91, v85, vcc_lo
	v_cmp_eq_u32_e32 vcc_lo, 7, v81
	v_cndmask_b32_e64 v66, v66, v72, s29
	v_cndmask_b32_e64 v72, v84, v96, s7
	;; [unrolled: 1-line block ×3, first 2 shown]
	v_lshrrev_b32_e32 v98, 16, v92
	v_cndmask_b32_e32 v70, v70, v100, vcc_lo
	v_cndmask_b32_e64 v86, v99, v92, s4
	v_cndmask_b32_e64 v69, v69, v100, s27
	v_lshrrev_b32_e32 v100, 16, v93
	v_cndmask_b32_e64 v72, v72, v89, s9
	v_lshrrev_b32_e32 v99, 16, v89
	v_cndmask_b32_e64 v86, v86, v98, s7
	v_perm_b32 v71, v69, v71, 0x5040100
	v_cndmask_b32_e64 v84, v84, v96, s8
	s_delay_alu instid0(VALU_DEP_3) | instskip(NEXT) | instid1(VALU_DEP_2)
	v_cndmask_b32_e64 v86, v86, v93, s9
	v_cndmask_b32_e64 v84, v84, v89, s11
	s_delay_alu instid0(VALU_DEP_2) | instskip(NEXT) | instid1(VALU_DEP_1)
	v_cndmask_b32_e64 v86, v86, v100, s10
	v_cndmask_b32_e64 v69, v86, v94, s12
	;; [unrolled: 1-line block ×5, first 2 shown]
	s_delay_alu instid0(VALU_DEP_3) | instskip(NEXT) | instid1(VALU_DEP_3)
	v_cndmask_b32_e64 v86, v86, v88, s17
	v_cndmask_b32_e64 v87, v87, v88, s23
	s_delay_alu instid0(VALU_DEP_3) | instskip(NEXT) | instid1(VALU_DEP_3)
	v_cndmask_b32_e64 v88, v95, v92, s23
	v_cndmask_b32_e64 v86, v86, v96, s19
	;; [unrolled: 3-line block ×7, first 2 shown]
	s_delay_alu instid0(VALU_DEP_3) | instskip(SKIP_2) | instid1(VALU_DEP_2)
	v_cndmask_b32_e64 v88, v88, v94, s29
	v_cndmask_b32_e32 v66, v66, v97, vcc_lo
	v_cndmask_b32_e64 v97, v72, v99, s10
	v_perm_b32 v72, v70, v66, 0x5040100
	v_perm_b32 v70, v83, v103, 0x5040100
	v_cndmask_b32_e64 v103, v91, v85, s5
	v_cndmask_b32_e64 v85, v91, v85, s3
	;; [unrolled: 1-line block ×4, first 2 shown]
	v_lshrrev_b32_e32 v97, 16, v90
	v_cndmask_b32_e64 v91, v103, v92, s17
	v_cndmask_b32_e64 v85, v85, v92, s6
	;; [unrolled: 1-line block ×3, first 2 shown]
	s_mov_b32 s3, exec_lo
	v_cndmask_b32_e64 v83, v84, v97, s15
	v_cndmask_b32_e64 v91, v91, v98, s19
	;; [unrolled: 1-line block ×3, first 2 shown]
	v_lshrrev_b32_e32 v84, 16, v94
	v_cndmask_b32_e64 v66, v66, v97, s18
	v_cndmask_b32_e64 v90, v86, v97, s27
	;; [unrolled: 1-line block ×4, first 2 shown]
	v_dual_cndmask_b32 v86, v87, v97 :: v_dual_cndmask_b32 v87, v88, v84
	v_cndmask_b32_e64 v91, v69, v84, s15
	s_delay_alu instid0(VALU_DEP_4) | instskip(NEXT) | instid1(VALU_DEP_4)
	v_cndmask_b32_e64 v89, v89, v100, s22
	v_cndmask_b32_e64 v85, v85, v100, s13
	v_perm_b32 v69, v102, v101, 0x5040100
	v_perm_b32 v86, v87, v86, 0x5040100
	;; [unrolled: 1-line block ×3, first 2 shown]
	v_cndmask_b32_e64 v89, v89, v94, s24
	v_cndmask_b32_e64 v85, v85, v94, s16
	s_mul_i32 s8, s35, 6
	s_delay_alu instid0(VALU_DEP_2) | instskip(NEXT) | instid1(VALU_DEP_2)
	v_cndmask_b32_e64 v88, v89, v84, s27
	v_cndmask_b32_e64 v89, v85, v84, s18
	s_delay_alu instid0(VALU_DEP_2) | instskip(NEXT) | instid1(VALU_DEP_2)
	v_perm_b32 v85, v88, v90, 0x5040100
	v_perm_b32 v84, v89, v66, 0x5040100
	ds_store_b128 v76, v[69:72]
	ds_store_b128 v76, v[83:86] offset:1024
	v_cmpx_gt_u32_e32 6, v0
	s_cbranch_execz .LBB1371_78
; %bb.77:
	s_mul_i32 s4, s8, s30
	s_delay_alu instid0(SALU_CYCLE_1) | instskip(SKIP_1) | instid1(VALU_DEP_1)
	v_add3_u32 v69, s4, s31, v65
	s_load_b128 s[4:7], s[0:1], 0x58
	v_mad_u64_u32 v[65:66], null, v69, s34, s[14:15]
	s_delay_alu instid0(VALU_DEP_1) | instskip(NEXT) | instid1(VALU_DEP_1)
	v_ashrrev_i32_e32 v66, 31, v65
	v_lshlrev_b64 v[65:66], 2, v[65:66]
	s_waitcnt lgkmcnt(0)
	s_delay_alu instid0(VALU_DEP_1) | instskip(NEXT) | instid1(VALU_DEP_2)
	v_add_co_u32 v69, vcc_lo, s6, v65
	v_add_co_ci_u32_e32 v70, vcc_lo, s7, v66, vcc_lo
	v_add_co_u32 v65, vcc_lo, s4, v65
	v_add_co_ci_u32_e32 v66, vcc_lo, s5, v66, vcc_lo
	global_store_b32 v[69:70], v67, off
	global_store_b32 v[65:66], v68, off
.LBB1371_78:
	s_or_b32 exec_lo, exec_lo, s3
	s_waitcnt lgkmcnt(0)
	s_waitcnt_vscnt null, 0x0
	s_barrier
	buffer_gl0_inv
	ds_load_b128 v[83:86], v80
	ds_load_b128 v[87:90], v80 offset:16
	ds_load_b128 v[95:98], v80 offset:2064
	;; [unrolled: 1-line block ×3, first 2 shown]
	v_mov_b32_e32 v65, 0
	ds_load_b128 v[103:106], v80 offset:4112
	ds_load_b128 v[99:102], v80 offset:4096
	ds_load_b128 v[111:114], v80 offset:6160
	ds_load_b128 v[107:110], v80 offset:6144
	v_mov_b32_e32 v66, v65
	v_mov_b32_e32 v67, v65
	;; [unrolled: 1-line block ×7, first 2 shown]
	s_waitcnt lgkmcnt(6)
	s_delay_alu instid0(VALU_DEP_1)
	v_wmma_f32_16x16x16_bf16 v[65:72], v[57:64], v[83:90], v[65:72]
	ds_load_b128 v[61:64], v80 offset:8208
	ds_load_b128 v[57:60], v80 offset:8192
	s_waitcnt lgkmcnt(6)
	v_wmma_f32_16x16x16_bf16 v[65:72], v[41:48], v[91:98], v[65:72]
	ds_load_b128 v[45:48], v80 offset:10256
	ds_load_b128 v[41:44], v80 offset:10240
	s_waitcnt lgkmcnt(6)
	;; [unrolled: 4-line block ×4, first 2 shown]
	v_wmma_f32_16x16x16_bf16 v[65:72], v[1:8], v[57:64], v[65:72]
	s_waitcnt lgkmcnt(4)
	s_delay_alu instid0(VALU_DEP_1) | instskip(SKIP_1) | instid1(VALU_DEP_1)
	v_wmma_f32_16x16x16_bf16 v[65:72], v[9:16], v[41:48], v[65:72]
	s_waitcnt lgkmcnt(2)
	v_wmma_f32_16x16x16_bf16 v[65:72], v[17:24], v[33:40], v[65:72]
	s_waitcnt lgkmcnt(0)
	s_delay_alu instid0(VALU_DEP_1) | instskip(NEXT) | instid1(VALU_DEP_1)
	v_wmma_f32_16x16x16_bf16 v[65:72], v[49:56], v[25:32], v[65:72]
	v_and_b32_e32 v1, 0x7f800000, v65
	s_delay_alu instid0(VALU_DEP_1) | instskip(SKIP_1) | instid1(SALU_CYCLE_1)
	v_cmp_ne_u32_e32 vcc_lo, 0x7f800000, v1
                                        ; implicit-def: $vgpr1
	s_and_saveexec_b32 s3, vcc_lo
	s_xor_b32 s3, exec_lo, s3
; %bb.79:
	v_bfe_u32 v1, v65, 16, 1
	s_delay_alu instid0(VALU_DEP_1)
	v_add3_u32 v1, v65, v1, 0x7fff
; %bb.80:
	s_and_not1_saveexec_b32 s3, s3
; %bb.81:
	v_and_b32_e32 v1, 0xffff, v65
	v_or_b32_e32 v2, 0x10000, v65
	s_delay_alu instid0(VALU_DEP_2) | instskip(NEXT) | instid1(VALU_DEP_2)
	v_cmp_eq_u32_e32 vcc_lo, 0, v1
	v_cndmask_b32_e32 v1, v2, v65, vcc_lo
; %bb.82:
	s_or_b32 exec_lo, exec_lo, s3
	v_and_b32_e32 v2, 0x7f800000, v66
	s_delay_alu instid0(VALU_DEP_1) | instskip(SKIP_1) | instid1(SALU_CYCLE_1)
	v_cmp_ne_u32_e32 vcc_lo, 0x7f800000, v2
                                        ; implicit-def: $vgpr2
	s_and_saveexec_b32 s3, vcc_lo
	s_xor_b32 s3, exec_lo, s3
; %bb.83:
	v_bfe_u32 v2, v66, 16, 1
	s_delay_alu instid0(VALU_DEP_1)
	v_add3_u32 v2, v66, v2, 0x7fff
; %bb.84:
	s_and_not1_saveexec_b32 s3, s3
; %bb.85:
	v_and_b32_e32 v2, 0xffff, v66
	v_or_b32_e32 v3, 0x10000, v66
	s_delay_alu instid0(VALU_DEP_2) | instskip(NEXT) | instid1(VALU_DEP_2)
	v_cmp_eq_u32_e32 vcc_lo, 0, v2
	v_cndmask_b32_e32 v2, v3, v66, vcc_lo
; %bb.86:
	s_or_b32 exec_lo, exec_lo, s3
	v_and_b32_e32 v3, 0x7f800000, v67
	s_delay_alu instid0(VALU_DEP_1) | instskip(SKIP_1) | instid1(SALU_CYCLE_1)
	v_cmp_ne_u32_e32 vcc_lo, 0x7f800000, v3
                                        ; implicit-def: $vgpr3
	s_and_saveexec_b32 s3, vcc_lo
	s_xor_b32 s3, exec_lo, s3
; %bb.87:
	v_bfe_u32 v3, v67, 16, 1
	s_delay_alu instid0(VALU_DEP_1)
	v_add3_u32 v3, v67, v3, 0x7fff
; %bb.88:
	s_and_not1_saveexec_b32 s3, s3
; %bb.89:
	v_and_b32_e32 v3, 0xffff, v67
	v_or_b32_e32 v4, 0x10000, v67
	s_delay_alu instid0(VALU_DEP_2) | instskip(NEXT) | instid1(VALU_DEP_2)
	v_cmp_eq_u32_e32 vcc_lo, 0, v3
	v_cndmask_b32_e32 v3, v4, v67, vcc_lo
; %bb.90:
	s_or_b32 exec_lo, exec_lo, s3
	v_and_b32_e32 v4, 0x7f800000, v68
	s_delay_alu instid0(VALU_DEP_1) | instskip(SKIP_1) | instid1(SALU_CYCLE_1)
	v_cmp_ne_u32_e32 vcc_lo, 0x7f800000, v4
                                        ; implicit-def: $vgpr4
	s_and_saveexec_b32 s3, vcc_lo
	s_xor_b32 s3, exec_lo, s3
; %bb.91:
	v_bfe_u32 v4, v68, 16, 1
	s_delay_alu instid0(VALU_DEP_1)
	v_add3_u32 v4, v68, v4, 0x7fff
; %bb.92:
	s_and_not1_saveexec_b32 s3, s3
; %bb.93:
	v_and_b32_e32 v4, 0xffff, v68
	v_or_b32_e32 v5, 0x10000, v68
	s_delay_alu instid0(VALU_DEP_2) | instskip(NEXT) | instid1(VALU_DEP_2)
	v_cmp_eq_u32_e32 vcc_lo, 0, v4
	v_cndmask_b32_e32 v4, v5, v68, vcc_lo
; %bb.94:
	s_or_b32 exec_lo, exec_lo, s3
	v_and_b32_e32 v5, 0x7f800000, v69
	s_delay_alu instid0(VALU_DEP_1) | instskip(SKIP_1) | instid1(SALU_CYCLE_1)
	v_cmp_ne_u32_e32 vcc_lo, 0x7f800000, v5
                                        ; implicit-def: $vgpr5
	s_and_saveexec_b32 s3, vcc_lo
	s_xor_b32 s3, exec_lo, s3
; %bb.95:
	v_bfe_u32 v5, v69, 16, 1
	s_delay_alu instid0(VALU_DEP_1)
	v_add3_u32 v5, v69, v5, 0x7fff
; %bb.96:
	s_and_not1_saveexec_b32 s3, s3
; %bb.97:
	v_and_b32_e32 v5, 0xffff, v69
	v_or_b32_e32 v6, 0x10000, v69
	s_delay_alu instid0(VALU_DEP_2) | instskip(NEXT) | instid1(VALU_DEP_2)
	v_cmp_eq_u32_e32 vcc_lo, 0, v5
	v_cndmask_b32_e32 v5, v6, v69, vcc_lo
; %bb.98:
	s_or_b32 exec_lo, exec_lo, s3
	v_and_b32_e32 v6, 0x7f800000, v70
	s_delay_alu instid0(VALU_DEP_1) | instskip(SKIP_1) | instid1(SALU_CYCLE_1)
	v_cmp_ne_u32_e32 vcc_lo, 0x7f800000, v6
                                        ; implicit-def: $vgpr6
	s_and_saveexec_b32 s3, vcc_lo
	s_xor_b32 s3, exec_lo, s3
; %bb.99:
	v_bfe_u32 v6, v70, 16, 1
	s_delay_alu instid0(VALU_DEP_1)
	v_add3_u32 v6, v70, v6, 0x7fff
; %bb.100:
	s_and_not1_saveexec_b32 s3, s3
; %bb.101:
	v_and_b32_e32 v6, 0xffff, v70
	v_or_b32_e32 v7, 0x10000, v70
	s_delay_alu instid0(VALU_DEP_2) | instskip(NEXT) | instid1(VALU_DEP_2)
	v_cmp_eq_u32_e32 vcc_lo, 0, v6
	v_cndmask_b32_e32 v6, v7, v70, vcc_lo
; %bb.102:
	s_or_b32 exec_lo, exec_lo, s3
	v_and_b32_e32 v7, 0x7f800000, v71
	s_delay_alu instid0(VALU_DEP_1) | instskip(SKIP_1) | instid1(SALU_CYCLE_1)
	v_cmp_ne_u32_e32 vcc_lo, 0x7f800000, v7
                                        ; implicit-def: $vgpr7
	s_and_saveexec_b32 s3, vcc_lo
	s_xor_b32 s3, exec_lo, s3
; %bb.103:
	v_bfe_u32 v7, v71, 16, 1
	s_delay_alu instid0(VALU_DEP_1)
	v_add3_u32 v7, v71, v7, 0x7fff
; %bb.104:
	s_and_not1_saveexec_b32 s3, s3
; %bb.105:
	v_and_b32_e32 v7, 0xffff, v71
	v_or_b32_e32 v8, 0x10000, v71
	s_delay_alu instid0(VALU_DEP_2) | instskip(NEXT) | instid1(VALU_DEP_2)
	v_cmp_eq_u32_e32 vcc_lo, 0, v7
	v_cndmask_b32_e32 v7, v8, v71, vcc_lo
; %bb.106:
	s_or_b32 exec_lo, exec_lo, s3
	v_and_b32_e32 v8, 0x7f800000, v72
	s_delay_alu instid0(VALU_DEP_1) | instskip(SKIP_1) | instid1(SALU_CYCLE_1)
	v_cmp_ne_u32_e32 vcc_lo, 0x7f800000, v8
                                        ; implicit-def: $vgpr8
	s_and_saveexec_b32 s3, vcc_lo
	s_xor_b32 s3, exec_lo, s3
; %bb.107:
	v_bfe_u32 v8, v72, 16, 1
	s_delay_alu instid0(VALU_DEP_1)
	v_add3_u32 v8, v72, v8, 0x7fff
                                        ; implicit-def: $vgpr65_vgpr66_vgpr67_vgpr68_vgpr69_vgpr70_vgpr71_vgpr72
; %bb.108:
	s_and_not1_saveexec_b32 s3, s3
; %bb.109:
	v_and_b32_e32 v8, 0xffff, v72
	v_or_b32_e32 v9, 0x10000, v72
	s_delay_alu instid0(VALU_DEP_2) | instskip(NEXT) | instid1(VALU_DEP_2)
	v_cmp_eq_u32_e32 vcc_lo, 0, v8
	v_cndmask_b32_e32 v8, v9, v72, vcc_lo
; %bb.110:
	s_or_b32 exec_lo, exec_lo, s3
	s_delay_alu instid0(VALU_DEP_1)
	v_perm_b32 v7, v8, v7, 0x7060302
	v_perm_b32 v6, v6, v5, 0x7060302
	;; [unrolled: 1-line block ×4, first 2 shown]
	s_barrier
	buffer_gl0_inv
	v_cmp_eq_u32_e32 vcc_lo, 1, v78
	ds_store_b128 v76, v[4:7]
	s_waitcnt lgkmcnt(0)
	s_barrier
	buffer_gl0_inv
	ds_load_b128 v[1:4], v82
	ds_load_b128 v[5:8], v82 offset:16
	v_cmp_eq_u32_e64 s3, 1, v79
	v_cmp_eq_u32_e64 s4, 2, v78
	;; [unrolled: 1-line block ×5, first 2 shown]
	s_waitcnt lgkmcnt(1)
	v_lshrrev_b32_e32 v9, 16, v1
	s_waitcnt lgkmcnt(0)
	v_lshrrev_b32_e32 v13, 16, v5
	v_lshrrev_b32_e32 v10, 16, v2
	;; [unrolled: 1-line block ×4, first 2 shown]
	v_cndmask_b32_e64 v19, v1, v9, s3
	v_cndmask_b32_e32 v18, v5, v13, vcc_lo
	v_cndmask_b32_e64 v20, v5, v13, s3
	v_cndmask_b32_e32 v17, v1, v9, vcc_lo
	v_cmp_eq_u32_e32 vcc_lo, 2, v79
	v_lshrrev_b32_e32 v15, 16, v7
	v_cmp_eq_u32_e64 s3, 1, v77
	v_lshrrev_b32_e32 v12, 16, v4
	v_lshrrev_b32_e32 v16, 16, v8
	v_cndmask_b32_e32 v20, v20, v6, vcc_lo
	v_cndmask_b32_e64 v17, v17, v2, s4
	v_cndmask_b32_e32 v19, v19, v2, vcc_lo
	v_cndmask_b32_e64 v18, v18, v6, s4
	v_cmp_eq_u32_e32 vcc_lo, 4, v78
	v_cmp_eq_u32_e64 s4, 3, v79
	v_cndmask_b32_e64 v17, v17, v10, s5
	v_cndmask_b32_e64 v21, v1, v9, s3
	v_cndmask_b32_e64 v18, v18, v14, s5
	v_cndmask_b32_e64 v22, v5, v13, s3
	v_cndmask_b32_e64 v19, v19, v10, s4
	v_cndmask_b32_e32 v17, v17, v3, vcc_lo
	v_cndmask_b32_e64 v20, v20, v14, s4
	v_cndmask_b32_e32 v18, v18, v7, vcc_lo
	v_cmp_eq_u32_e32 vcc_lo, 4, v79
	v_cmp_eq_u32_e64 s4, 5, v79
	v_cmp_eq_u32_e64 s3, 2, v81
	v_cndmask_b32_e64 v21, v21, v2, s7
	v_cmp_eq_u32_e64 s5, 5, v78
	v_cndmask_b32_e32 v19, v19, v3, vcc_lo
	v_cndmask_b32_e32 v20, v20, v7, vcc_lo
	v_cmp_eq_u32_e32 vcc_lo, 6, v79
	s_delay_alu instid0(VALU_DEP_4) | instskip(NEXT) | instid1(VALU_DEP_4)
	v_cndmask_b32_e64 v17, v17, v11, s5
	v_cndmask_b32_e64 v19, v19, v11, s4
	s_delay_alu instid0(VALU_DEP_4) | instskip(SKIP_1) | instid1(VALU_DEP_3)
	v_cndmask_b32_e64 v20, v20, v15, s4
	v_cmp_eq_u32_e64 s4, 1, v81
	v_cndmask_b32_e32 v19, v19, v4, vcc_lo
	v_cndmask_b32_e64 v18, v18, v15, s5
	s_delay_alu instid0(VALU_DEP_3)
	v_cndmask_b32_e64 v1, v1, v9, s4
	v_cndmask_b32_e64 v5, v5, v13, s4
	v_cmp_eq_u32_e64 s4, 3, v77
	v_cndmask_b32_e64 v13, v22, v6, s7
	v_cmp_eq_u32_e64 s7, 3, v81
	v_cndmask_b32_e64 v1, v1, v2, s3
	v_cndmask_b32_e64 v2, v5, v6, s3
	;; [unrolled: 1-line block ×3, first 2 shown]
	v_cmp_eq_u32_e64 s3, 4, v77
	v_cndmask_b32_e64 v6, v13, v14, s4
	v_cndmask_b32_e64 v1, v1, v10, s7
	v_cmp_eq_u32_e64 s4, 4, v81
	v_cndmask_b32_e64 v2, v2, v14, s7
	v_cndmask_b32_e64 v5, v9, v3, s3
	;; [unrolled: 3-line block ×3, first 2 shown]
	v_cndmask_b32_e64 v2, v2, v7, s4
	v_cmp_eq_u32_e64 s3, 5, v81
	v_cmp_eq_u32_e64 s5, 6, v78
	v_cndmask_b32_e64 v5, v5, v11, s7
	v_cmp_eq_u32_e64 s4, 6, v77
	v_cndmask_b32_e64 v3, v6, v15, s7
	v_cndmask_b32_e64 v1, v1, v11, s3
	v_cmp_eq_u32_e64 s7, 6, v81
	v_cndmask_b32_e64 v2, v2, v15, s3
	v_cndmask_b32_e64 v17, v17, v4, s5
	v_cndmask_b32_e64 v18, v18, v8, s5
	v_cmp_eq_u32_e64 s5, 7, v78
	v_cndmask_b32_e64 v5, v5, v4, s4
	;; [unrolled: 4-line block ×3, first 2 shown]
	v_cmp_eq_u32_e64 s4, 7, v77
	v_cndmask_b32_e32 v4, v20, v8, vcc_lo
	v_cndmask_b32_e64 v17, v17, v12, s5
	v_cndmask_b32_e64 v19, v19, v12, s6
	v_cndmask_b32_e64 v1, v1, v12, s3
	v_cndmask_b32_e64 v5, v5, v12, s4
	v_cndmask_b32_e64 v2, v2, v16, s3
	v_cndmask_b32_e64 v3, v3, v16, s4
	v_cndmask_b32_e64 v6, v4, v16, s6
	v_cndmask_b32_e64 v7, v18, v16, s5
	v_cmp_gt_u32_e32 vcc_lo, 32, v0
	v_perm_b32 v4, v2, v1, 0x5040100
	v_perm_b32 v3, v3, v5, 0x5040100
	;; [unrolled: 1-line block ×4, first 2 shown]
	s_and_b32 s2, vcc_lo, s2
	ds_store_b128 v76, v[1:4]
	s_waitcnt lgkmcnt(0)
	s_barrier
	buffer_gl0_inv
	s_and_saveexec_b32 s3, s2
	s_cbranch_execz .LBB1371_2
; %bb.111:
	s_load_b64 s[0:1], s[0:1], 0x68
	s_lshl_b32 s4, s34, 6
	v_or_b32_e32 v3, s31, v74
	s_mul_i32 s2, s4, s30
	v_lshlrev_b32_e32 v0, 10, v0
	s_mul_i32 s2, s2, s8
	v_lshlrev_b32_e32 v1, 4, v75
	s_ashr_i32 s3, s2, 31
	v_mul_lo_u32 v12, v3, s4
	s_lshl_b64 s[2:3], s[2:3], 1
	v_lshlrev_b32_e32 v2, 6, v74
	v_and_b32_e32 v0, 0x3800, v0
	s_delay_alu instid0(VALU_DEP_1) | instskip(NEXT) | instid1(VALU_DEP_4)
	v_or3_b32 v8, v0, v1, v2
	v_ashrrev_i32_e32 v13, 31, v12
	ds_load_b128 v[0:3], v8
	ds_load_b128 v[4:7], v8 offset:128
	ds_load_b128 v[8:11], v8 offset:256
	s_waitcnt lgkmcnt(0)
	s_add_u32 s2, s0, s2
	s_addc_u32 s3, s1, s3
	s_lshl_b32 s0, s14, 6
	s_delay_alu instid0(SALU_CYCLE_1) | instskip(NEXT) | instid1(SALU_CYCLE_1)
	s_ashr_i32 s1, s0, 31
	s_lshl_b64 s[0:1], s[0:1], 1
	s_delay_alu instid0(SALU_CYCLE_1)
	s_add_u32 s0, s2, s0
	s_addc_u32 s1, s3, s1
	s_lshl_b32 s2, s34, 7
	v_add_co_u32 v18, s0, s0, v73
	v_add_nc_u32_e32 v14, s2, v12
	v_lshlrev_b64 v[12:13], 1, v[12:13]
	v_add_co_ci_u32_e64 v19, null, s1, 0, s0
	s_delay_alu instid0(VALU_DEP_3) | instskip(SKIP_1) | instid1(VALU_DEP_4)
	v_add_nc_u32_e32 v16, s2, v14
	v_ashrrev_i32_e32 v15, 31, v14
	v_add_co_u32 v12, vcc_lo, v18, v12
	s_delay_alu instid0(VALU_DEP_4) | instskip(NEXT) | instid1(VALU_DEP_4)
	v_add_co_ci_u32_e32 v13, vcc_lo, v19, v13, vcc_lo
	v_ashrrev_i32_e32 v17, 31, v16
	s_delay_alu instid0(VALU_DEP_4) | instskip(NEXT) | instid1(VALU_DEP_2)
	v_lshlrev_b64 v[14:15], 1, v[14:15]
	v_lshlrev_b64 v[16:17], 1, v[16:17]
	s_delay_alu instid0(VALU_DEP_2) | instskip(NEXT) | instid1(VALU_DEP_3)
	v_add_co_u32 v14, vcc_lo, v18, v14
	v_add_co_ci_u32_e32 v15, vcc_lo, v19, v15, vcc_lo
	s_delay_alu instid0(VALU_DEP_3) | instskip(NEXT) | instid1(VALU_DEP_4)
	v_add_co_u32 v16, vcc_lo, v18, v16
	v_add_co_ci_u32_e32 v17, vcc_lo, v19, v17, vcc_lo
	s_clause 0x2
	global_store_b128 v[12:13], v[0:3], off
	global_store_b128 v[14:15], v[4:7], off
	;; [unrolled: 1-line block ×3, first 2 shown]
	s_nop 0
	s_sendmsg sendmsg(MSG_DEALLOC_VGPRS)
	s_endpgm
	.section	.rodata,"a",@progbits
	.p2align	6, 0x0
	.amdhsa_kernel _Z39paged_attention_ll4mi_QKV_mfma16_kernelI14__hip_bfloat16hLN4vllm18Fp8KVCacheDataTypeE1EhLi16ELi64ELi256ELb0ELi6EL8MFMAType1EEvPKT_PKT0_S9_ifPKiSB_SB_iPKfiiiPfSE_PS4_PT2_iSD_SD_
		.amdhsa_group_segment_fixed_size 17472
		.amdhsa_private_segment_fixed_size 0
		.amdhsa_kernarg_size 400
		.amdhsa_user_sgpr_count 13
		.amdhsa_user_sgpr_dispatch_ptr 0
		.amdhsa_user_sgpr_queue_ptr 0
		.amdhsa_user_sgpr_kernarg_segment_ptr 1
		.amdhsa_user_sgpr_dispatch_id 0
		.amdhsa_user_sgpr_private_segment_size 0
		.amdhsa_wavefront_size32 1
		.amdhsa_uses_dynamic_stack 0
		.amdhsa_enable_private_segment 0
		.amdhsa_system_sgpr_workgroup_id_x 1
		.amdhsa_system_sgpr_workgroup_id_y 1
		.amdhsa_system_sgpr_workgroup_id_z 1
		.amdhsa_system_sgpr_workgroup_info 0
		.amdhsa_system_vgpr_workitem_id 0
		.amdhsa_next_free_vgpr 124
		.amdhsa_next_free_sgpr 38
		.amdhsa_reserve_vcc 1
		.amdhsa_float_round_mode_32 0
		.amdhsa_float_round_mode_16_64 0
		.amdhsa_float_denorm_mode_32 3
		.amdhsa_float_denorm_mode_16_64 3
		.amdhsa_dx10_clamp 1
		.amdhsa_ieee_mode 1
		.amdhsa_fp16_overflow 0
		.amdhsa_workgroup_processor_mode 1
		.amdhsa_memory_ordered 1
		.amdhsa_forward_progress 0
		.amdhsa_shared_vgpr_count 0
		.amdhsa_exception_fp_ieee_invalid_op 0
		.amdhsa_exception_fp_denorm_src 0
		.amdhsa_exception_fp_ieee_div_zero 0
		.amdhsa_exception_fp_ieee_overflow 0
		.amdhsa_exception_fp_ieee_underflow 0
		.amdhsa_exception_fp_ieee_inexact 0
		.amdhsa_exception_int_div_zero 0
	.end_amdhsa_kernel
	.section	.text._Z39paged_attention_ll4mi_QKV_mfma16_kernelI14__hip_bfloat16hLN4vllm18Fp8KVCacheDataTypeE1EhLi16ELi64ELi256ELb0ELi6EL8MFMAType1EEvPKT_PKT0_S9_ifPKiSB_SB_iPKfiiiPfSE_PS4_PT2_iSD_SD_,"axG",@progbits,_Z39paged_attention_ll4mi_QKV_mfma16_kernelI14__hip_bfloat16hLN4vllm18Fp8KVCacheDataTypeE1EhLi16ELi64ELi256ELb0ELi6EL8MFMAType1EEvPKT_PKT0_S9_ifPKiSB_SB_iPKfiiiPfSE_PS4_PT2_iSD_SD_,comdat
.Lfunc_end1371:
	.size	_Z39paged_attention_ll4mi_QKV_mfma16_kernelI14__hip_bfloat16hLN4vllm18Fp8KVCacheDataTypeE1EhLi16ELi64ELi256ELb0ELi6EL8MFMAType1EEvPKT_PKT0_S9_ifPKiSB_SB_iPKfiiiPfSE_PS4_PT2_iSD_SD_, .Lfunc_end1371-_Z39paged_attention_ll4mi_QKV_mfma16_kernelI14__hip_bfloat16hLN4vllm18Fp8KVCacheDataTypeE1EhLi16ELi64ELi256ELb0ELi6EL8MFMAType1EEvPKT_PKT0_S9_ifPKiSB_SB_iPKfiiiPfSE_PS4_PT2_iSD_SD_
                                        ; -- End function
	.section	.AMDGPU.csdata,"",@progbits
; Kernel info:
; codeLenInByte = 8736
; NumSgprs: 40
; NumVgprs: 124
; ScratchSize: 0
; MemoryBound: 0
; FloatMode: 240
; IeeeMode: 1
; LDSByteSize: 17472 bytes/workgroup (compile time only)
; SGPRBlocks: 4
; VGPRBlocks: 15
; NumSGPRsForWavesPerEU: 40
; NumVGPRsForWavesPerEU: 124
; Occupancy: 10
; WaveLimiterHint : 1
; COMPUTE_PGM_RSRC2:SCRATCH_EN: 0
; COMPUTE_PGM_RSRC2:USER_SGPR: 13
; COMPUTE_PGM_RSRC2:TRAP_HANDLER: 0
; COMPUTE_PGM_RSRC2:TGID_X_EN: 1
; COMPUTE_PGM_RSRC2:TGID_Y_EN: 1
; COMPUTE_PGM_RSRC2:TGID_Z_EN: 1
; COMPUTE_PGM_RSRC2:TIDIG_COMP_CNT: 0
	.section	.text._Z39paged_attention_ll4mi_QKV_mfma16_kernelI14__hip_bfloat16hLN4vllm18Fp8KVCacheDataTypeE1EhLi16ELi64ELi256ELb0ELi7EL8MFMAType1EEvPKT_PKT0_S9_ifPKiSB_SB_iPKfiiiPfSE_PS4_PT2_iSD_SD_,"axG",@progbits,_Z39paged_attention_ll4mi_QKV_mfma16_kernelI14__hip_bfloat16hLN4vllm18Fp8KVCacheDataTypeE1EhLi16ELi64ELi256ELb0ELi7EL8MFMAType1EEvPKT_PKT0_S9_ifPKiSB_SB_iPKfiiiPfSE_PS4_PT2_iSD_SD_,comdat
	.protected	_Z39paged_attention_ll4mi_QKV_mfma16_kernelI14__hip_bfloat16hLN4vllm18Fp8KVCacheDataTypeE1EhLi16ELi64ELi256ELb0ELi7EL8MFMAType1EEvPKT_PKT0_S9_ifPKiSB_SB_iPKfiiiPfSE_PS4_PT2_iSD_SD_ ; -- Begin function _Z39paged_attention_ll4mi_QKV_mfma16_kernelI14__hip_bfloat16hLN4vllm18Fp8KVCacheDataTypeE1EhLi16ELi64ELi256ELb0ELi7EL8MFMAType1EEvPKT_PKT0_S9_ifPKiSB_SB_iPKfiiiPfSE_PS4_PT2_iSD_SD_
	.globl	_Z39paged_attention_ll4mi_QKV_mfma16_kernelI14__hip_bfloat16hLN4vllm18Fp8KVCacheDataTypeE1EhLi16ELi64ELi256ELb0ELi7EL8MFMAType1EEvPKT_PKT0_S9_ifPKiSB_SB_iPKfiiiPfSE_PS4_PT2_iSD_SD_
	.p2align	8
	.type	_Z39paged_attention_ll4mi_QKV_mfma16_kernelI14__hip_bfloat16hLN4vllm18Fp8KVCacheDataTypeE1EhLi16ELi64ELi256ELb0ELi7EL8MFMAType1EEvPKT_PKT0_S9_ifPKiSB_SB_iPKfiiiPfSE_PS4_PT2_iSD_SD_,@function
_Z39paged_attention_ll4mi_QKV_mfma16_kernelI14__hip_bfloat16hLN4vllm18Fp8KVCacheDataTypeE1EhLi16ELi64ELi256ELb0ELi7EL8MFMAType1EEvPKT_PKT0_S9_ifPKiSB_SB_iPKfiiiPfSE_PS4_PT2_iSD_SD_: ; @_Z39paged_attention_ll4mi_QKV_mfma16_kernelI14__hip_bfloat16hLN4vllm18Fp8KVCacheDataTypeE1EhLi16ELi64ELi256ELb0ELi7EL8MFMAType1EEvPKT_PKT0_S9_ifPKiSB_SB_iPKfiiiPfSE_PS4_PT2_iSD_SD_
; %bb.0:
	s_load_b64 s[2:3], s[0:1], 0x30
	s_mov_b32 s34, s13
	s_waitcnt lgkmcnt(0)
	s_cmp_lg_u64 s[2:3], 0
	s_cselect_b32 s8, -1, 0
	s_ashr_i32 s35, s13, 31
	s_cmp_eq_u64 s[2:3], 0
	s_cbranch_scc1 .LBB1372_3
; %bb.1:
	s_lshl_b64 s[4:5], s[34:35], 2
	s_delay_alu instid0(SALU_CYCLE_1) | instskip(SKIP_4) | instid1(SALU_CYCLE_1)
	s_add_u32 s4, s2, s4
	s_addc_u32 s5, s3, s5
	s_load_b64 s[4:5], s[4:5], 0x0
	s_waitcnt lgkmcnt(0)
	s_sub_i32 s4, s5, s4
	s_cmp_eq_u32 s4, 1
	s_cselect_b32 s4, -1, 0
	s_delay_alu instid0(SALU_CYCLE_1)
	s_and_not1_b32 vcc_lo, exec_lo, s4
	s_cbranch_vccz .LBB1372_4
.LBB1372_2:
	s_nop 0
	s_sendmsg sendmsg(MSG_DEALLOC_VGPRS)
	s_endpgm
.LBB1372_3:
.LBB1372_4:
	s_load_b64 s[4:5], s[0:1], 0x28
	s_lshl_b64 s[6:7], s[34:35], 2
	s_waitcnt lgkmcnt(0)
	s_add_u32 s4, s4, s6
	s_addc_u32 s5, s5, s7
	s_lshl_b32 s12, s14, 8
	s_load_b32 s24, s[4:5], 0x0
	s_waitcnt lgkmcnt(0)
	s_cmp_ge_i32 s12, s24
	s_cbranch_scc1 .LBB1372_2
; %bb.5:
	s_clause 0x1
	s_load_b128 s[20:23], s[0:1], 0x8
	s_load_b64 s[4:5], s[0:1], 0x20
	s_and_not1_b32 vcc_lo, exec_lo, s8
	s_cbranch_vccnz .LBB1372_7
; %bb.6:
	s_add_u32 s2, s2, s6
	s_addc_u32 s3, s3, s7
	s_load_b32 s3, s[2:3], 0x0
	s_branch .LBB1372_8
.LBB1372_7:
	s_mov_b32 s3, s34
.LBB1372_8:
	s_load_b128 s[16:19], s[0:1], 0x48
	v_lshrrev_b32_e32 v66, 5, v0
	v_bfe_u32 v74, v0, 4, 1
	v_and_b32_e32 v65, 15, v0
	v_and_b32_e32 v67, 31, v0
	;; [unrolled: 1-line block ×3, first 2 shown]
	s_mul_i32 s31, s15, 7
	v_lshl_or_b32 v1, v66, 1, v74
	v_lshlrev_b32_e32 v2, 3, v65
	v_cmp_gt_u32_e64 s2, 8, v65
	s_delay_alu instid0(VALU_DEP_3) | instskip(NEXT) | instid1(VALU_DEP_3)
	v_cmp_gt_u32_e32 vcc_lo, 7, v1
	v_lshlrev_b32_e32 v73, 1, v2
	s_delay_alu instid0(VALU_DEP_3) | instskip(NEXT) | instid1(SALU_CYCLE_1)
	s_and_b32 s7, s2, vcc_lo
	s_and_saveexec_b32 s6, s7
	s_cbranch_execz .LBB1372_10
; %bb.9:
	s_load_b64 s[8:9], s[0:1], 0x0
	v_add_lshl_u32 v2, v1, s31, 6
	s_waitcnt lgkmcnt(0)
	s_mul_hi_i32 s11, s3, s16
	s_mul_i32 s10, s3, s16
	v_lshlrev_b32_e32 v6, 10, v65
	s_lshl_b64 s[10:11], s[10:11], 1
	v_ashrrev_i32_e32 v3, 31, v2
	v_lshlrev_b32_e32 v1, 6, v1
	v_lshlrev_b32_e32 v7, 10, v75
	v_and_b32_e32 v6, 0x3800, v6
	s_delay_alu instid0(VALU_DEP_4) | instskip(NEXT) | instid1(VALU_DEP_2)
	v_lshlrev_b64 v[2:3], 1, v[2:3]
	v_or3_b32 v1, v6, v7, v1
	s_add_u32 s3, s8, s10
	s_addc_u32 s7, s9, s11
	s_delay_alu instid0(VALU_DEP_2) | instskip(NEXT) | instid1(VALU_DEP_3)
	v_add_co_u32 v2, vcc_lo, s3, v2
	v_add_co_ci_u32_e32 v3, vcc_lo, s7, v3, vcc_lo
	s_delay_alu instid0(VALU_DEP_2) | instskip(NEXT) | instid1(VALU_DEP_2)
	v_add_co_u32 v2, vcc_lo, v2, v73
	v_add_co_ci_u32_e32 v3, vcc_lo, 0, v3, vcc_lo
	global_load_b128 v[2:5], v[2:3], off
	s_waitcnt vmcnt(0)
	ds_store_b128 v1, v[2:5]
.LBB1372_10:
	s_or_b32 exec_lo, exec_lo, s6
	v_and_b32_e32 v1, 0xef, v0
	s_waitcnt lgkmcnt(0)
	s_add_i32 s3, s24, 15
	s_clause 0x1
	s_load_b32 s6, s[0:1], 0x38
	s_load_b32 s19, s[0:1], 0x1c
	s_ashr_i32 s7, s3, 31
	v_add_nc_u32_e32 v1, s12, v1
	s_lshr_b32 s7, s7, 28
	s_waitcnt lgkmcnt(0)
	s_add_i32 s3, s3, s7
	s_barrier
	v_ashrrev_i32_e32 v2, 31, v1
	v_or_b32_e32 v3, 16, v1
	s_ashr_i32 s3, s3, 4
	v_cmp_gt_i32_e32 vcc_lo, s24, v1
	s_add_i32 s3, s3, -1
	v_lshrrev_b32_e32 v2, 28, v2
	buffer_gl0_inv
	s_mul_i32 s27, s15, s18
	v_add_nc_u32_e32 v4, v1, v2
	s_mul_i32 s6, s34, s6
	s_delay_alu instid0(SALU_CYCLE_1) | instskip(NEXT) | instid1(VALU_DEP_1)
	s_ashr_i32 s7, s6, 31
	v_ashrrev_i32_e32 v4, 4, v4
	v_add_nc_u32_e32 v2, v3, v2
	s_lshl_b64 s[6:7], s[6:7], 2
	s_delay_alu instid0(SALU_CYCLE_1) | instskip(NEXT) | instid1(VALU_DEP_2)
	s_add_u32 s26, s4, s6
	v_cndmask_b32_e32 v1, s3, v4, vcc_lo
	s_delay_alu instid0(VALU_DEP_2)
	v_ashrrev_i32_e32 v2, 4, v2
	v_cmp_gt_i32_e32 vcc_lo, s24, v3
	s_addc_u32 s25, s5, s7
	s_ashr_i32 s28, s27, 31
	s_add_u32 s13, s20, s27
	s_addc_u32 s15, s21, s28
	v_cndmask_b32_e32 v3, s3, v2, vcc_lo
	v_ashrrev_i32_e32 v2, 31, v1
	s_lshl_b32 s4, s14, 4
	s_delay_alu instid0(SALU_CYCLE_1) | instskip(NEXT) | instid1(VALU_DEP_2)
	s_ashr_i32 s5, s4, 31
	v_ashrrev_i32_e32 v4, 31, v3
	s_delay_alu instid0(VALU_DEP_2) | instskip(SKIP_1) | instid1(SALU_CYCLE_1)
	v_lshlrev_b64 v[1:2], 2, v[1:2]
	s_lshl_b64 s[4:5], s[4:5], 2
	s_add_u32 s4, s26, s4
	s_delay_alu instid0(VALU_DEP_2) | instskip(SKIP_1) | instid1(VALU_DEP_2)
	v_lshlrev_b64 v[3:4], 2, v[3:4]
	s_addc_u32 s5, s25, s5
	v_add_co_u32 v1, vcc_lo, s26, v1
	v_add_co_ci_u32_e32 v2, vcc_lo, s25, v2, vcc_lo
	s_delay_alu instid0(VALU_DEP_3) | instskip(NEXT) | instid1(VALU_DEP_4)
	v_add_co_u32 v3, vcc_lo, s26, v3
	v_add_co_ci_u32_e32 v4, vcc_lo, s25, v4, vcc_lo
	s_clause 0x1
	global_load_b32 v5, v[1:2], off
	global_load_b32 v7, v[3:4], off
	s_or_b32 s6, s12, 32
	v_lshlrev_b32_e32 v1, 4, v0
	s_ashr_i32 s7, s6, 4
	s_cmp_lt_i32 s6, s24
	s_cselect_b32 s6, s7, s3
	s_delay_alu instid0(VALU_DEP_1) | instskip(SKIP_1) | instid1(SALU_CYCLE_1)
	v_and_b32_e32 v1, 0xf0, v1
	s_ashr_i32 s7, s6, 31
	s_lshl_b64 s[6:7], s[6:7], 2
	s_delay_alu instid0(SALU_CYCLE_1)
	s_add_u32 s6, s26, s6
	s_addc_u32 s7, s25, s7
	s_or_b32 s8, s12, 64
	v_add_co_u32 v1, s13, s13, v1
	s_ashr_i32 s9, s8, 4
	s_cmp_lt_i32 s8, s24
	v_add_co_ci_u32_e64 v2, null, s15, 0, s13
	s_cselect_b32 s8, s9, s3
	s_delay_alu instid0(SALU_CYCLE_1) | instskip(NEXT) | instid1(SALU_CYCLE_1)
	s_ashr_i32 s9, s8, 31
	s_lshl_b64 s[8:9], s[8:9], 2
	s_delay_alu instid0(SALU_CYCLE_1) | instskip(SKIP_2) | instid1(SALU_CYCLE_1)
	s_add_u32 s8, s26, s8
	s_addc_u32 s9, s25, s9
	s_or_b32 s10, s12, 0x60
	s_ashr_i32 s11, s10, 4
	s_cmp_lt_i32 s10, s24
	s_cselect_b32 s10, s11, s3
	s_delay_alu instid0(SALU_CYCLE_1) | instskip(NEXT) | instid1(SALU_CYCLE_1)
	s_ashr_i32 s11, s10, 31
	s_lshl_b64 s[10:11], s[10:11], 2
	s_delay_alu instid0(SALU_CYCLE_1) | instskip(SKIP_2) | instid1(SALU_CYCLE_1)
	s_add_u32 s10, s26, s10
	s_addc_u32 s11, s25, s11
	s_or_b32 s16, s12, 0x80
	s_ashr_i32 s18, s16, 4
	s_cmp_lt_i32 s16, s24
	;; [unrolled: 10-line block ×3, first 2 shown]
	s_cselect_b32 s20, s18, s3
	s_delay_alu instid0(SALU_CYCLE_1) | instskip(NEXT) | instid1(SALU_CYCLE_1)
	s_ashr_i32 s21, s20, 31
	s_lshl_b64 s[20:21], s[20:21], 2
	s_delay_alu instid0(SALU_CYCLE_1)
	s_add_u32 s38, s26, s20
	s_addc_u32 s39, s25, s21
	s_clause 0x5
	s_load_b32 s21, s[4:5], 0x0
	s_load_b32 s13, s[6:7], 0x0
	;; [unrolled: 1-line block ×6, first 2 shown]
	s_or_b32 s9, s12, 0xc0
	s_mov_b32 s4, 0
	s_ashr_i32 s10, s9, 4
	s_cmp_lt_i32 s9, s24
	s_mov_b32 s11, s4
	s_cselect_b32 s36, s10, s3
	s_mov_b32 s5, s4
	s_ashr_i32 s37, s36, 31
	s_mov_b32 s6, s4
	s_lshl_b64 s[36:37], s[36:37], 2
	s_mov_b32 s7, s4
	s_add_u32 s36, s26, s36
	s_addc_u32 s37, s25, s37
	s_or_b32 s29, s12, 0xe0
	s_mov_b32 s8, s4
	s_ashr_i32 s30, s29, 4
	s_mov_b32 s9, s4
	s_mov_b32 s10, s4
	s_cmp_lt_i32 s29, s24
	v_dual_mov_b32 v107, s11 :: v_dual_mov_b32 v100, s4
	v_mov_b32_e32 v106, s10
	v_dual_mov_b32 v104, s8 :: v_dual_mov_b32 v103, s7
	v_dual_mov_b32 v102, s6 :: v_dual_mov_b32 v101, s5
	s_waitcnt vmcnt(1)
	v_mad_i64_i32 v[3:4], null, v5, s17, v[1:2]
	s_waitcnt vmcnt(0)
	v_mad_i64_i32 v[5:6], null, v7, s17, v[1:2]
	v_mul_lo_u16 v1, v65, 37
	v_lshlrev_b32_e32 v2, 4, v65
	s_clause 0x7
	global_load_b128 v[49:52], v[3:4], off
	global_load_b128 v[53:56], v[3:4], off offset:256
	global_load_b128 v[76:79], v[5:6], off
	global_load_b128 v[80:83], v[5:6], off offset:256
	global_load_b128 v[84:87], v[3:4], off offset:512
	;; [unrolled: 1-line block ×5, first 2 shown]
	v_lshrrev_b16 v1, 8, v1
	v_lshl_or_b32 v2, v66, 8, v2
	s_delay_alu instid0(VALU_DEP_2) | instskip(NEXT) | instid1(VALU_DEP_1)
	v_mul_lo_u16 v1, v1, 7
	v_sub_nc_u16 v1, v65, v1
	s_delay_alu instid0(VALU_DEP_1)
	v_and_b32_e32 v1, 0xff, v1
	v_mov_b32_e32 v105, s9
	s_cselect_b32 s4, s30, s3
	s_load_b32 s3, s[36:37], 0x0
	s_ashr_i32 s5, s4, 31
	v_lshlrev_b32_e32 v70, 6, v1
	s_lshl_b64 s[4:5], s[4:5], 2
	ds_load_b128 v[108:111], v70
	ds_load_b128 v[112:115], v70 offset:1024
	s_add_u32 s4, s26, s4
	s_addc_u32 s5, s25, s5
	s_add_u32 s6, s22, s27
	s_load_b32 s4, s[4:5], 0x0
	s_addc_u32 s7, s23, s28
	v_add_co_u32 v9, s6, s6, v2
	s_delay_alu instid0(VALU_DEP_1) | instskip(SKIP_1) | instid1(VALU_DEP_1)
	v_add_co_ci_u32_e64 v10, null, s7, 0, s6
	s_waitcnt lgkmcnt(0)
	v_mad_i64_i32 v[1:2], null, s21, s17, v[9:10]
	v_mad_i64_i32 v[3:4], null, s13, s17, v[9:10]
	;; [unrolled: 1-line block ×7, first 2 shown]
	s_clause 0x9
	global_load_b128 v[57:60], v[1:2], off
	global_load_b128 v[61:64], v[1:2], off offset:16
	global_load_b128 v[41:44], v[3:4], off
	global_load_b128 v[45:48], v[3:4], off offset:16
	;; [unrolled: 2-line block ×5, first 2 shown]
	v_mad_i64_i32 v[68:69], null, s4, s17, v[9:10]
	s_clause 0x3
	global_load_b128 v[9:12], v[13:14], off
	global_load_b128 v[13:16], v[13:14], off offset:16
	global_load_b128 v[17:20], v[21:22], off
	global_load_b128 v[21:24], v[21:22], off offset:16
	s_waitcnt vmcnt(20)
	v_wmma_f32_16x16x16_bf16 v[116:123], v[49:56], v[108:115], v[100:107]
	s_clause 0x1
	global_load_b128 v[49:52], v[68:69], off
	global_load_b128 v[53:56], v[68:69], off offset:16
	v_and_b32_e32 v68, 0xe0, v0
	v_mbcnt_lo_u32_b32 v69, -1, 0
	s_delay_alu instid0(VALU_DEP_2)
	v_add_nc_u32_e32 v68, s12, v68
	s_waitcnt vmcnt(20)
	v_wmma_f32_16x16x16_bf16 v[100:107], v[76:83], v[108:115], v[100:107]
	ds_load_b128 v[76:79], v70 offset:2048
	ds_load_b128 v[80:83], v70 offset:3072
	v_xor_b32_e32 v70, 16, v69
	s_waitcnt vmcnt(0) lgkmcnt(0)
	v_or_b32_e32 v68, v68, v74
	s_barrier
	buffer_gl0_inv
	v_cmp_gt_i32_e32 vcc_lo, 32, v70
	v_or_b32_e32 v71, 4, v68
	v_or_b32_e32 v72, 6, v68
	v_cmp_gt_i32_e64 s3, s24, v68
	v_or_b32_e32 v108, 8, v68
	v_or_b32_e32 v109, 10, v68
	v_cmp_gt_i32_e64 s4, s24, v71
	v_cmp_gt_i32_e64 s5, s24, v72
	s_delay_alu instid0(VALU_DEP_4) | instskip(NEXT) | instid1(VALU_DEP_4)
	v_cmp_gt_i32_e64 s6, s24, v108
	v_cmp_gt_i32_e64 s7, s24, v109
	v_wmma_f32_16x16x16_bf16 v[116:123], v[84:91], v[76:83], v[116:123]
	v_cndmask_b32_e32 v69, v69, v70, vcc_lo
	v_or_b32_e32 v70, 2, v68
	v_wmma_f32_16x16x16_bf16 v[100:107], v[92:99], v[76:83], v[100:107]
	v_or_b32_e32 v89, 22, v68
	v_dual_mul_f32 v80, s19, v121 :: v_dual_mul_f32 v81, s19, v120
	v_dual_mul_f32 v92, s19, v117 :: v_dual_mul_f32 v93, s19, v116
	s_delay_alu instid0(VALU_DEP_4)
	v_mul_f32_e32 v96, s19, v105
	v_cmp_gt_i32_e32 vcc_lo, s24, v70
	v_dual_mul_f32 v79, s19, v122 :: v_dual_mul_f32 v82, s19, v119
	v_dual_mul_f32 v83, s19, v118 :: v_dual_mul_f32 v94, s19, v107
	v_cndmask_b32_e64 v93, 0xff7fffff, v93, s3
	v_cndmask_b32_e32 v92, 0xff7fffff, v92, vcc_lo
	v_or_b32_e32 v84, 12, v68
	v_or_b32_e32 v85, 14, v68
	v_cndmask_b32_e64 v71, 0xff7fffff, v83, s4
	v_cndmask_b32_e64 v72, 0xff7fffff, v82, s5
	v_cmp_gt_i32_e64 s13, s24, v89
	v_lshlrev_b32_e32 v89, 2, v69
	v_max3_f32 v82, v93, 0xff7fffff, v92
	v_or_b32_e32 v86, 16, v68
	v_or_b32_e32 v87, 18, v68
	v_mul_f32_e32 v78, s19, v123
	v_cndmask_b32_e64 v81, 0xff7fffff, v81, s6
	v_cndmask_b32_e64 v80, 0xff7fffff, v80, s7
	v_max3_f32 v71, v82, v71, v72
	v_cmp_gt_i32_e64 s8, s24, v84
	v_cmp_gt_i32_e64 s9, s24, v85
	v_or_b32_e32 v88, 20, v68
	v_or_b32_e32 v90, 24, v68
	;; [unrolled: 1-line block ×5, first 2 shown]
	v_dual_mul_f32 v97, s19, v104 :: v_dual_mul_f32 v70, s19, v101
	v_dual_mul_f32 v99, s19, v102 :: v_dual_mul_f32 v68, s19, v100
	v_cndmask_b32_e64 v72, 0xff7fffff, v79, s8
	v_cndmask_b32_e64 v78, 0xff7fffff, v78, s9
	v_max3_f32 v71, v71, v81, v80
	v_cmp_gt_i32_e64 s10, s24, v86
	v_cmp_gt_i32_e64 s11, s24, v87
	v_dual_mul_f32 v95, s19, v106 :: v_dual_mul_f32 v98, s19, v103
	s_delay_alu instid0(VALU_DEP_4) | instskip(NEXT) | instid1(VALU_DEP_4)
	v_max3_f32 v71, v71, v72, v78
	v_cndmask_b32_e64 v68, 0xff7fffff, v68, s10
	s_delay_alu instid0(VALU_DEP_4)
	v_cndmask_b32_e64 v70, 0xff7fffff, v70, s11
	v_cmp_gt_i32_e64 s12, s24, v88
	v_cndmask_b32_e64 v78, 0xff7fffff, v98, s13
	v_cmp_gt_i32_e64 s15, s24, v90
	v_cmp_gt_i32_e64 s16, s24, v91
	v_max3_f32 v68, v71, v68, v70
	v_cndmask_b32_e64 v72, 0xff7fffff, v99, s12
	v_cmp_gt_i32_e64 s17, s24, v76
	v_cndmask_b32_e64 v70, 0xff7fffff, v97, s15
	v_cndmask_b32_e64 v71, 0xff7fffff, v96, s16
	v_cmp_gt_i32_e64 s18, s24, v77
	v_max3_f32 v68, v68, v72, v78
	v_cndmask_b32_e64 v72, 0xff7fffff, v95, s17
	s_delay_alu instid0(VALU_DEP_3) | instskip(NEXT) | instid1(VALU_DEP_3)
	v_cndmask_b32_e64 v76, 0xff7fffff, v94, s18
	v_max3_f32 v68, v68, v70, v71
	s_delay_alu instid0(VALU_DEP_1) | instskip(SKIP_3) | instid1(VALU_DEP_1)
	v_max3_f32 v68, v68, v72, v76
	ds_bpermute_b32 v69, v89, v68
	s_waitcnt lgkmcnt(0)
	v_max_f32_e32 v69, v69, v69
	v_max_f32_e32 v68, v68, v69
	s_delay_alu instid0(VALU_DEP_1) | instskip(NEXT) | instid1(VALU_DEP_1)
	v_fma_f32 v71, s19, v118, -v68
	v_mul_f32_e32 v71, 0x3fb8aa3b, v71
	v_fma_f32 v70, s19, v117, -v68
	v_fma_f32 v69, s19, v116, -v68
	v_fma_f32 v76, s19, v120, -v68
	v_fma_f32 v72, s19, v119, -v68
	v_fma_f32 v78, s19, v122, -v68
	s_delay_alu instid0(VALU_DEP_4) | instskip(SKIP_1) | instid1(VALU_DEP_3)
	v_dual_mul_f32 v70, 0x3fb8aa3b, v70 :: v_dual_mul_f32 v69, 0x3fb8aa3b, v69
	v_exp_f32_e32 v71, v71
	v_mul_f32_e32 v72, 0x3fb8aa3b, v72
	v_fma_f32 v81, s19, v105, -v68
	s_delay_alu instid0(VALU_DEP_3)
	v_exp_f32_e32 v70, v70
	v_mul_f32_e32 v77, 0x3fb8aa3b, v76
	v_exp_f32_e32 v69, v69
	v_exp_f32_e32 v72, v72
	v_mul_f32_e32 v81, 0x3fb8aa3b, v81
	v_cndmask_b32_e64 v83, 0, v71, s4
	v_fma_f32 v71, s19, v123, -v68
	s_delay_alu instid0(VALU_DEP_3) | instskip(SKIP_4) | instid1(TRANS32_DEP_3)
	v_exp_f32_e32 v81, v81
	v_cndmask_b32_e32 v76, 0, v70, vcc_lo
	v_exp_f32_e32 v77, v77
	v_cndmask_b32_e64 v80, 0, v69, s3
	v_fma_f32 v69, s19, v121, -v68
	v_cndmask_b32_e64 v85, 0, v72, s5
	v_mul_f32_e32 v71, 0x3fb8aa3b, v71
	v_fma_f32 v72, s19, v100, -v68
	s_delay_alu instid0(VALU_DEP_4) | instskip(SKIP_1) | instid1(VALU_DEP_4)
	v_dual_add_f32 v70, 0, v80 :: v_dual_mul_f32 v69, 0x3fb8aa3b, v69
	v_cmp_gt_u32_e64 s3, 16, v67
	v_exp_f32_e32 v71, v71
	s_delay_alu instid0(TRANS32_DEP_2) | instskip(SKIP_4) | instid1(VALU_DEP_3)
	v_cndmask_b32_e64 v86, 0, v77, s6
	v_fma_f32 v77, s19, v101, -v68
	v_mul_f32_e32 v78, 0x3fb8aa3b, v78
	v_add_f32_e32 v70, v70, v76
	v_exp_f32_e32 v69, v69
	v_mul_f32_e32 v77, 0x3fb8aa3b, v77
	s_delay_alu instid0(VALU_DEP_3) | instskip(NEXT) | instid1(TRANS32_DEP_3)
	v_exp_f32_e32 v78, v78
	v_cndmask_b32_e64 v88, 0, v71, s9
	v_fma_f32 v71, s19, v104, -v68
	s_delay_alu instid0(VALU_DEP_3) | instskip(NEXT) | instid1(TRANS32_DEP_3)
	v_exp_f32_e32 v77, v77
	v_cndmask_b32_e64 v87, 0, v69, s7
	s_delay_alu instid0(VALU_DEP_2)
	v_mul_f32_e32 v71, 0x3fb8aa3b, v71
	s_waitcnt_depctr 0xfff
	v_cndmask_b32_e64 v84, 0, v78, s8
	v_add_f32_e32 v70, v70, v83
	v_fma_f32 v78, s19, v103, -v68
	v_exp_f32_e32 v82, v71
	s_delay_alu instid0(VALU_DEP_2) | instskip(SKIP_1) | instid1(VALU_DEP_3)
	v_add_f32_e32 v70, v70, v85
	v_mul_f32_e32 v72, 0x3fb8aa3b, v72
	v_mul_f32_e32 v78, 0x3fb8aa3b, v78
	s_delay_alu instid0(VALU_DEP_3) | instskip(SKIP_1) | instid1(VALU_DEP_4)
	v_add_f32_e32 v69, v70, v86
	v_fma_f32 v70, s19, v102, -v68
	v_exp_f32_e32 v72, v72
	s_delay_alu instid0(VALU_DEP_3) | instskip(NEXT) | instid1(VALU_DEP_1)
	v_exp_f32_e32 v78, v78
	v_dual_add_f32 v69, v69, v87 :: v_dual_mul_f32 v70, 0x3fb8aa3b, v70
	s_delay_alu instid0(VALU_DEP_1) | instskip(NEXT) | instid1(VALU_DEP_2)
	v_add_f32_e32 v69, v69, v84
	v_exp_f32_e32 v79, v70
	s_delay_alu instid0(TRANS32_DEP_3) | instskip(NEXT) | instid1(VALU_DEP_2)
	v_cndmask_b32_e64 v70, 0, v72, s10
	v_add_f32_e32 v72, v69, v88
	v_cndmask_b32_e64 v69, 0, v77, s11
	v_fma_f32 v77, s19, v106, -v68
	s_waitcnt_depctr 0xfff
	v_cndmask_b32_e64 v71, 0, v79, s12
	v_dual_mul_f32 v77, 0x3fb8aa3b, v77 :: v_dual_add_f32 v72, v72, v70
	s_delay_alu instid0(VALU_DEP_1) | instskip(NEXT) | instid1(VALU_DEP_1)
	v_exp_f32_e32 v90, v77
	v_add_f32_e32 v79, v72, v69
	v_cndmask_b32_e64 v72, 0, v78, s13
	v_cndmask_b32_e64 v77, 0, v82, s15
	s_delay_alu instid0(VALU_DEP_3) | instskip(SKIP_1) | instid1(VALU_DEP_1)
	v_add_f32_e32 v78, v79, v71
	v_fma_f32 v79, s19, v107, -v68
	v_dual_add_f32 v82, v78, v72 :: v_dual_mul_f32 v79, 0x3fb8aa3b, v79
	v_cndmask_b32_e64 v78, 0, v81, s16
	s_delay_alu instid0(VALU_DEP_2) | instskip(NEXT) | instid1(VALU_DEP_3)
	v_add_f32_e32 v81, v82, v77
	v_exp_f32_e32 v82, v79
	v_cndmask_b32_e64 v79, 0, v90, s17
	s_delay_alu instid0(VALU_DEP_2) | instskip(NEXT) | instid1(VALU_DEP_1)
	v_add_f32_e32 v81, v81, v78
	v_add_f32_e32 v90, v81, v79
	s_waitcnt_depctr 0xfff
	v_cndmask_b32_e64 v81, 0, v82, s18
	s_delay_alu instid0(VALU_DEP_1)
	v_add_f32_e32 v82, v90, v81
	ds_bpermute_b32 v89, v89, v82
	s_and_saveexec_b32 s4, s3
	s_cbranch_execz .LBB1372_12
; %bb.11:
	v_mul_u32_u24_e32 v67, 0x44, v66
	s_delay_alu instid0(VALU_DEP_1) | instskip(SKIP_1) | instid1(VALU_DEP_1)
	v_lshl_add_u32 v67, v65, 2, v67
	s_waitcnt lgkmcnt(0)
	v_dual_add_f32 v82, v82, v89 :: v_dual_add_nc_u32 v67, 0x4000, v67
	ds_store_2addr_b32 v67, v68, v82 offset1:136
.LBB1372_12:
	s_or_b32 exec_lo, exec_lo, s4
	v_lshlrev_b32_e32 v67, 2, v65
	s_waitcnt lgkmcnt(0)
	s_barrier
	buffer_gl0_inv
	v_cmp_eq_u32_e32 vcc_lo, 1, v66
	v_add_nc_u32_e32 v82, 0x4000, v67
	v_cmp_eq_u32_e64 s4, 2, v66
	v_cmp_eq_u32_e64 s6, 7, v66
	ds_load_2addr_b32 v[89:90], v82 offset1:17
	ds_load_2addr_b32 v[91:92], v82 offset0:34 offset1:51
	ds_load_2addr_b32 v[93:94], v82 offset0:68 offset1:85
	;; [unrolled: 1-line block ×4, first 2 shown]
	s_waitcnt lgkmcnt(4)
	v_max3_f32 v67, v89, 0xff7fffff, v90
	s_waitcnt lgkmcnt(3)
	s_delay_alu instid0(VALU_DEP_1) | instskip(SKIP_1) | instid1(VALU_DEP_1)
	v_max3_f32 v67, v67, v91, v92
	s_waitcnt lgkmcnt(2)
	v_max3_f32 v67, v67, v93, v94
	s_waitcnt lgkmcnt(1)
	s_delay_alu instid0(VALU_DEP_1) | instskip(NEXT) | instid1(VALU_DEP_1)
	v_max3_f32 v67, v67, v95, v96
	v_sub_f32_e32 v93, v93, v67
	s_delay_alu instid0(VALU_DEP_1) | instskip(NEXT) | instid1(VALU_DEP_1)
	v_dual_sub_f32 v68, v89, v67 :: v_dual_mul_f32 v103, 0x3fb8aa3b, v93
	v_mul_f32_e32 v68, 0x3fb8aa3b, v68
	s_delay_alu instid0(VALU_DEP_1)
	v_exp_f32_e32 v100, v68
	v_sub_f32_e32 v68, v92, v67
	v_sub_f32_e32 v99, v90, v67
	ds_load_2addr_b32 v[89:90], v82 offset0:170 offset1:187
	v_dual_mul_f32 v102, 0x3fb8aa3b, v68 :: v_dual_mul_f32 v99, 0x3fb8aa3b, v99
	s_waitcnt lgkmcnt(1)
	v_fma_f32 v68, v100, v97, 0
	s_delay_alu instid0(VALU_DEP_2) | instskip(NEXT) | instid1(VALU_DEP_2)
	v_exp_f32_e32 v102, v102
	v_exp_f32_e32 v99, v99
	s_waitcnt_depctr 0xfff
	v_fmac_f32_e32 v68, v99, v98
	v_sub_f32_e32 v91, v91, v67
	s_delay_alu instid0(VALU_DEP_1)
	v_mul_f32_e32 v101, 0x3fb8aa3b, v91
	ds_load_2addr_b32 v[91:92], v82 offset0:204 offset1:221
	v_sub_f32_e32 v97, v94, v67
	ds_load_2addr_b32 v[93:94], v82 offset0:238 offset1:255
	s_waitcnt lgkmcnt(0)
	v_exp_f32_e32 v101, v101
	s_barrier
	buffer_gl0_inv
	v_dual_fmac_f32 v68, v101, v89 :: v_dual_sub_f32 v89, v96, v67
	v_dual_sub_f32 v82, v95, v67 :: v_dual_mul_f32 v95, 0x3fb8aa3b, v97
	v_exp_f32_e32 v97, v103
	s_delay_alu instid0(VALU_DEP_2) | instskip(NEXT) | instid1(VALU_DEP_2)
	v_dual_fmac_f32 v68, v102, v90 :: v_dual_mul_f32 v89, 0x3fb8aa3b, v89
	v_mul_f32_e32 v82, 0x3fb8aa3b, v82
	s_delay_alu instid0(VALU_DEP_3) | instskip(NEXT) | instid1(VALU_DEP_2)
	v_exp_f32_e32 v95, v95
	v_exp_f32_e32 v89, v89
	s_delay_alu instid0(VALU_DEP_1)
	v_exp_f32_e32 v82, v82
	v_fmac_f32_e32 v68, v97, v91
	s_delay_alu instid0(TRANS32_DEP_3) | instid1(VALU_DEP_1)
	v_fmac_f32_e32 v68, v95, v92
	s_waitcnt_depctr 0xfff
	v_fmac_f32_e32 v68, v82, v93
	s_delay_alu instid0(VALU_DEP_1) | instskip(NEXT) | instid1(VALU_DEP_1)
	v_fmac_f32_e32 v68, v89, v94
	v_add_f32_e32 v90, 0x358637bd, v68
	s_delay_alu instid0(VALU_DEP_1) | instskip(NEXT) | instid1(VALU_DEP_1)
	v_div_scale_f32 v91, null, v90, v90, 1.0
	v_rcp_f32_e32 v92, v91
	s_waitcnt_depctr 0xfff
	v_fma_f32 v93, -v91, v92, 1.0
	s_delay_alu instid0(VALU_DEP_1) | instskip(SKIP_1) | instid1(VALU_DEP_2)
	v_dual_fmac_f32 v92, v93, v92 :: v_dual_cndmask_b32 v93, v100, v99
	v_cmp_eq_u32_e32 vcc_lo, 3, v66
	v_cndmask_b32_e64 v93, v93, v101, s4
	v_cmp_eq_u32_e64 s4, 4, v66
	s_delay_alu instid0(VALU_DEP_2) | instskip(SKIP_1) | instid1(VALU_DEP_2)
	v_cndmask_b32_e32 v93, v93, v102, vcc_lo
	v_cmp_eq_u32_e32 vcc_lo, 5, v66
	v_cndmask_b32_e64 v93, v93, v97, s4
	v_cmp_eq_u32_e64 s4, 6, v66
	s_delay_alu instid0(VALU_DEP_2) | instskip(SKIP_1) | instid1(VALU_DEP_1)
	v_cndmask_b32_e32 v93, v93, v95, vcc_lo
	v_div_scale_f32 v94, s5, 1.0, v90, 1.0
	s_mov_b32 vcc_lo, s5
	s_delay_alu instid0(VALU_DEP_2) | instskip(NEXT) | instid1(VALU_DEP_2)
	v_cndmask_b32_e64 v82, v93, v82, s4
	v_mul_f32_e32 v96, v94, v92
	s_mov_b32 s4, exec_lo
	s_delay_alu instid0(VALU_DEP_2) | instskip(NEXT) | instid1(VALU_DEP_2)
	v_cndmask_b32_e64 v82, v82, v89, s6
	v_fma_f32 v98, -v91, v96, v94
	s_delay_alu instid0(VALU_DEP_1) | instskip(NEXT) | instid1(VALU_DEP_1)
	v_fmac_f32_e32 v96, v98, v92
	v_fma_f32 v91, -v91, v96, v94
	s_delay_alu instid0(VALU_DEP_1) | instskip(NEXT) | instid1(VALU_DEP_1)
	v_div_fmas_f32 v91, v91, v92, v96
	v_div_fixup_f32 v90, v91, v90, 1.0
	s_delay_alu instid0(VALU_DEP_1) | instskip(NEXT) | instid1(VALU_DEP_1)
	v_mul_f32_e32 v82, v82, v90
	v_mul_f32_e32 v87, v82, v87
	;; [unrolled: 1-line block ×7, first 2 shown]
	v_dual_mul_f32 v86, v82, v83 :: v_dual_and_b32 v91, 0x7f800000, v90
	v_mul_f32_e32 v85, v82, v76
                                        ; implicit-def: $vgpr76
	s_delay_alu instid0(VALU_DEP_2)
	v_cmpx_ne_u32_e32 0x7f800000, v91
	s_xor_b32 s4, exec_lo, s4
; %bb.13:
	v_bfe_u32 v76, v90, 16, 1
	s_delay_alu instid0(VALU_DEP_1)
	v_add3_u32 v76, v90, v76, 0x7fff
                                        ; implicit-def: $vgpr90
; %bb.14:
	s_and_not1_saveexec_b32 s4, s4
; %bb.15:
	v_and_b32_e32 v76, 0xffff, v90
	v_or_b32_e32 v83, 0x10000, v90
	s_delay_alu instid0(VALU_DEP_2) | instskip(NEXT) | instid1(VALU_DEP_2)
	v_cmp_eq_u32_e32 vcc_lo, 0, v76
	v_cndmask_b32_e32 v76, v83, v90, vcc_lo
; %bb.16:
	s_or_b32 exec_lo, exec_lo, s4
	v_and_b32_e32 v83, 0x7f800000, v85
	s_delay_alu instid0(VALU_DEP_1) | instskip(SKIP_1) | instid1(SALU_CYCLE_1)
	v_cmp_ne_u32_e32 vcc_lo, 0x7f800000, v83
                                        ; implicit-def: $vgpr83
	s_and_saveexec_b32 s4, vcc_lo
	s_xor_b32 s4, exec_lo, s4
; %bb.17:
	v_bfe_u32 v83, v85, 16, 1
	s_delay_alu instid0(VALU_DEP_1)
	v_add3_u32 v83, v85, v83, 0x7fff
                                        ; implicit-def: $vgpr85
; %bb.18:
	s_and_not1_saveexec_b32 s4, s4
; %bb.19:
	v_and_b32_e32 v83, 0xffff, v85
	v_or_b32_e32 v90, 0x10000, v85
	s_delay_alu instid0(VALU_DEP_2) | instskip(NEXT) | instid1(VALU_DEP_2)
	v_cmp_eq_u32_e32 vcc_lo, 0, v83
	v_cndmask_b32_e32 v83, v90, v85, vcc_lo
; %bb.20:
	s_or_b32 exec_lo, exec_lo, s4
	v_and_b32_e32 v85, 0x7f800000, v86
	s_delay_alu instid0(VALU_DEP_1) | instskip(SKIP_1) | instid1(SALU_CYCLE_1)
	v_cmp_ne_u32_e32 vcc_lo, 0x7f800000, v85
                                        ; implicit-def: $vgpr85
	s_and_saveexec_b32 s4, vcc_lo
	s_xor_b32 s4, exec_lo, s4
; %bb.21:
	v_bfe_u32 v85, v86, 16, 1
	s_delay_alu instid0(VALU_DEP_1)
	v_add3_u32 v85, v86, v85, 0x7fff
                                        ; implicit-def: $vgpr86
; %bb.22:
	s_and_not1_saveexec_b32 s4, s4
; %bb.23:
	v_and_b32_e32 v85, 0xffff, v86
	v_or_b32_e32 v90, 0x10000, v86
	s_delay_alu instid0(VALU_DEP_2) | instskip(NEXT) | instid1(VALU_DEP_2)
	v_cmp_eq_u32_e32 vcc_lo, 0, v85
	v_cndmask_b32_e32 v85, v90, v86, vcc_lo
; %bb.24:
	s_or_b32 exec_lo, exec_lo, s4
	v_and_b32_e32 v86, 0x7f800000, v89
	s_delay_alu instid0(VALU_DEP_1) | instskip(SKIP_1) | instid1(SALU_CYCLE_1)
	v_cmp_ne_u32_e32 vcc_lo, 0x7f800000, v86
                                        ; implicit-def: $vgpr86
	s_and_saveexec_b32 s4, vcc_lo
	s_xor_b32 s4, exec_lo, s4
; %bb.25:
	v_bfe_u32 v86, v89, 16, 1
	s_delay_alu instid0(VALU_DEP_1)
	v_add3_u32 v86, v89, v86, 0x7fff
                                        ; implicit-def: $vgpr89
; %bb.26:
	s_and_not1_saveexec_b32 s4, s4
; %bb.27:
	v_and_b32_e32 v86, 0xffff, v89
	v_or_b32_e32 v90, 0x10000, v89
	s_delay_alu instid0(VALU_DEP_2) | instskip(NEXT) | instid1(VALU_DEP_2)
	v_cmp_eq_u32_e32 vcc_lo, 0, v86
	v_cndmask_b32_e32 v86, v90, v89, vcc_lo
; %bb.28:
	s_or_b32 exec_lo, exec_lo, s4
	v_and_b32_e32 v89, 0x7f800000, v88
	s_delay_alu instid0(VALU_DEP_1) | instskip(SKIP_1) | instid1(SALU_CYCLE_1)
	v_cmp_ne_u32_e32 vcc_lo, 0x7f800000, v89
                                        ; implicit-def: $vgpr89
	s_and_saveexec_b32 s4, vcc_lo
	s_xor_b32 s4, exec_lo, s4
; %bb.29:
	v_bfe_u32 v89, v88, 16, 1
	s_delay_alu instid0(VALU_DEP_1)
	v_add3_u32 v89, v88, v89, 0x7fff
                                        ; implicit-def: $vgpr88
; %bb.30:
	s_and_not1_saveexec_b32 s4, s4
; %bb.31:
	v_and_b32_e32 v89, 0xffff, v88
	v_or_b32_e32 v90, 0x10000, v88
	s_delay_alu instid0(VALU_DEP_2) | instskip(NEXT) | instid1(VALU_DEP_2)
	v_cmp_eq_u32_e32 vcc_lo, 0, v89
	v_cndmask_b32_e32 v89, v90, v88, vcc_lo
; %bb.32:
	s_or_b32 exec_lo, exec_lo, s4
	v_and_b32_e32 v88, 0x7f800000, v87
	s_delay_alu instid0(VALU_DEP_1) | instskip(SKIP_1) | instid1(SALU_CYCLE_1)
	v_cmp_ne_u32_e32 vcc_lo, 0x7f800000, v88
                                        ; implicit-def: $vgpr88
	s_and_saveexec_b32 s4, vcc_lo
	s_xor_b32 s4, exec_lo, s4
; %bb.33:
	v_bfe_u32 v88, v87, 16, 1
	s_delay_alu instid0(VALU_DEP_1)
	v_add3_u32 v88, v87, v88, 0x7fff
                                        ; implicit-def: $vgpr87
; %bb.34:
	s_and_not1_saveexec_b32 s4, s4
; %bb.35:
	v_and_b32_e32 v88, 0xffff, v87
	v_or_b32_e32 v90, 0x10000, v87
	s_delay_alu instid0(VALU_DEP_2) | instskip(NEXT) | instid1(VALU_DEP_2)
	v_cmp_eq_u32_e32 vcc_lo, 0, v88
	v_cndmask_b32_e32 v88, v90, v87, vcc_lo
; %bb.36:
	s_or_b32 exec_lo, exec_lo, s4
	v_and_b32_e32 v87, 0x7f800000, v84
	s_delay_alu instid0(VALU_DEP_1) | instskip(SKIP_1) | instid1(SALU_CYCLE_1)
	v_cmp_ne_u32_e32 vcc_lo, 0x7f800000, v87
                                        ; implicit-def: $vgpr87
	s_and_saveexec_b32 s4, vcc_lo
	s_xor_b32 s4, exec_lo, s4
; %bb.37:
	v_bfe_u32 v87, v84, 16, 1
	s_delay_alu instid0(VALU_DEP_1)
	v_add3_u32 v87, v84, v87, 0x7fff
                                        ; implicit-def: $vgpr84
; %bb.38:
	s_and_not1_saveexec_b32 s4, s4
; %bb.39:
	v_and_b32_e32 v87, 0xffff, v84
	v_or_b32_e32 v90, 0x10000, v84
	s_delay_alu instid0(VALU_DEP_2) | instskip(NEXT) | instid1(VALU_DEP_2)
	v_cmp_eq_u32_e32 vcc_lo, 0, v87
	v_cndmask_b32_e32 v87, v90, v84, vcc_lo
; %bb.40:
	s_or_b32 exec_lo, exec_lo, s4
	v_and_b32_e32 v84, 0x7f800000, v80
	s_delay_alu instid0(VALU_DEP_1) | instskip(SKIP_1) | instid1(SALU_CYCLE_1)
	v_cmp_ne_u32_e32 vcc_lo, 0x7f800000, v84
                                        ; implicit-def: $vgpr84
	s_and_saveexec_b32 s4, vcc_lo
	s_xor_b32 s4, exec_lo, s4
; %bb.41:
	v_bfe_u32 v84, v80, 16, 1
	s_delay_alu instid0(VALU_DEP_1)
	v_add3_u32 v84, v80, v84, 0x7fff
                                        ; implicit-def: $vgpr80
; %bb.42:
	s_and_not1_saveexec_b32 s4, s4
; %bb.43:
	v_and_b32_e32 v84, 0xffff, v80
	v_or_b32_e32 v90, 0x10000, v80
	s_delay_alu instid0(VALU_DEP_2) | instskip(NEXT) | instid1(VALU_DEP_2)
	v_cmp_eq_u32_e32 vcc_lo, 0, v84
	v_cndmask_b32_e32 v84, v90, v80, vcc_lo
; %bb.44:
	s_or_b32 exec_lo, exec_lo, s4
	s_load_b64 s[36:37], s[0:1], 0x94
	v_lshlrev_b32_e32 v91, 4, v74
	s_delay_alu instid0(VALU_DEP_2)
	v_perm_b32 v90, v84, v87, 0x7060302
	v_dual_mul_f32 v79, v82, v79 :: v_dual_lshlrev_b32 v80, 6, v65
	v_dual_mul_f32 v77, v82, v77 :: v_dual_lshlrev_b32 v92, 11, v66
	v_mul_f32_e32 v84, v82, v70
	v_perm_b32 v89, v88, v89, 0x7060302
	v_perm_b32 v88, v86, v85, 0x7060302
	;; [unrolled: 1-line block ×3, first 2 shown]
	v_mul_f32_e32 v70, v82, v81
	v_or3_b32 v76, v91, v92, v80
	v_dual_mul_f32 v78, v82, v78 :: v_dual_and_b32 v85, 0x7f800000, v84
	v_mul_f32_e32 v83, v82, v72
	v_mul_f32_e32 v81, v82, v71
	;; [unrolled: 1-line block ×3, first 2 shown]
	s_mov_b32 s4, exec_lo
	ds_store_b128 v76, v[87:90]
                                        ; implicit-def: $vgpr69
	v_cmpx_ne_u32_e32 0x7f800000, v85
	s_xor_b32 s4, exec_lo, s4
; %bb.45:
	v_bfe_u32 v69, v84, 16, 1
	s_delay_alu instid0(VALU_DEP_1)
	v_add3_u32 v69, v84, v69, 0x7fff
                                        ; implicit-def: $vgpr84
; %bb.46:
	s_and_not1_saveexec_b32 s4, s4
; %bb.47:
	v_and_b32_e32 v69, 0xffff, v84
	v_or_b32_e32 v71, 0x10000, v84
	s_delay_alu instid0(VALU_DEP_2) | instskip(NEXT) | instid1(VALU_DEP_2)
	v_cmp_eq_u32_e32 vcc_lo, 0, v69
	v_cndmask_b32_e32 v69, v71, v84, vcc_lo
; %bb.48:
	s_or_b32 exec_lo, exec_lo, s4
	v_and_b32_e32 v71, 0x7f800000, v72
	s_delay_alu instid0(VALU_DEP_1) | instskip(SKIP_1) | instid1(SALU_CYCLE_1)
	v_cmp_ne_u32_e32 vcc_lo, 0x7f800000, v71
                                        ; implicit-def: $vgpr71
	s_and_saveexec_b32 s4, vcc_lo
	s_xor_b32 s4, exec_lo, s4
; %bb.49:
	v_bfe_u32 v71, v72, 16, 1
	s_delay_alu instid0(VALU_DEP_1)
	v_add3_u32 v71, v72, v71, 0x7fff
                                        ; implicit-def: $vgpr72
; %bb.50:
	s_and_not1_saveexec_b32 s4, s4
; %bb.51:
	v_and_b32_e32 v71, 0xffff, v72
	v_or_b32_e32 v82, 0x10000, v72
	s_delay_alu instid0(VALU_DEP_2) | instskip(NEXT) | instid1(VALU_DEP_2)
	v_cmp_eq_u32_e32 vcc_lo, 0, v71
	v_cndmask_b32_e32 v71, v82, v72, vcc_lo
; %bb.52:
	s_or_b32 exec_lo, exec_lo, s4
	v_and_b32_e32 v72, 0x7f800000, v81
	s_delay_alu instid0(VALU_DEP_1) | instskip(SKIP_1) | instid1(SALU_CYCLE_1)
	v_cmp_ne_u32_e32 vcc_lo, 0x7f800000, v72
                                        ; implicit-def: $vgpr72
	s_and_saveexec_b32 s4, vcc_lo
	s_xor_b32 s4, exec_lo, s4
; %bb.53:
	v_bfe_u32 v72, v81, 16, 1
	s_delay_alu instid0(VALU_DEP_1)
	v_add3_u32 v72, v81, v72, 0x7fff
                                        ; implicit-def: $vgpr81
; %bb.54:
	s_and_not1_saveexec_b32 s4, s4
; %bb.55:
	v_and_b32_e32 v72, 0xffff, v81
	v_or_b32_e32 v82, 0x10000, v81
	s_delay_alu instid0(VALU_DEP_2) | instskip(NEXT) | instid1(VALU_DEP_2)
	v_cmp_eq_u32_e32 vcc_lo, 0, v72
	v_cndmask_b32_e32 v72, v82, v81, vcc_lo
; %bb.56:
	s_or_b32 exec_lo, exec_lo, s4
	v_and_b32_e32 v81, 0x7f800000, v83
	s_delay_alu instid0(VALU_DEP_1) | instskip(SKIP_1) | instid1(SALU_CYCLE_1)
	v_cmp_ne_u32_e32 vcc_lo, 0x7f800000, v81
                                        ; implicit-def: $vgpr81
	s_and_saveexec_b32 s4, vcc_lo
	s_xor_b32 s4, exec_lo, s4
; %bb.57:
	v_bfe_u32 v81, v83, 16, 1
	s_delay_alu instid0(VALU_DEP_1)
	v_add3_u32 v81, v83, v81, 0x7fff
                                        ; implicit-def: $vgpr83
; %bb.58:
	s_and_not1_saveexec_b32 s4, s4
; %bb.59:
	v_and_b32_e32 v81, 0xffff, v83
	v_or_b32_e32 v82, 0x10000, v83
	s_delay_alu instid0(VALU_DEP_2) | instskip(NEXT) | instid1(VALU_DEP_2)
	v_cmp_eq_u32_e32 vcc_lo, 0, v81
	v_cndmask_b32_e32 v81, v82, v83, vcc_lo
; %bb.60:
	s_or_b32 exec_lo, exec_lo, s4
	v_and_b32_e32 v82, 0x7f800000, v77
	s_delay_alu instid0(VALU_DEP_1) | instskip(SKIP_1) | instid1(SALU_CYCLE_1)
	v_cmp_ne_u32_e32 vcc_lo, 0x7f800000, v82
                                        ; implicit-def: $vgpr82
	s_and_saveexec_b32 s4, vcc_lo
	s_xor_b32 s4, exec_lo, s4
; %bb.61:
	v_bfe_u32 v82, v77, 16, 1
	s_delay_alu instid0(VALU_DEP_1)
	v_add3_u32 v82, v77, v82, 0x7fff
                                        ; implicit-def: $vgpr77
; %bb.62:
	s_and_not1_saveexec_b32 s4, s4
; %bb.63:
	v_and_b32_e32 v82, 0xffff, v77
	v_or_b32_e32 v83, 0x10000, v77
	s_delay_alu instid0(VALU_DEP_2) | instskip(NEXT) | instid1(VALU_DEP_2)
	v_cmp_eq_u32_e32 vcc_lo, 0, v82
	v_cndmask_b32_e32 v82, v83, v77, vcc_lo
; %bb.64:
	s_or_b32 exec_lo, exec_lo, s4
	v_and_b32_e32 v77, 0x7f800000, v78
	s_delay_alu instid0(VALU_DEP_1) | instskip(SKIP_1) | instid1(SALU_CYCLE_1)
	v_cmp_ne_u32_e32 vcc_lo, 0x7f800000, v77
                                        ; implicit-def: $vgpr77
	s_and_saveexec_b32 s4, vcc_lo
	s_xor_b32 s4, exec_lo, s4
; %bb.65:
	v_bfe_u32 v77, v78, 16, 1
	s_delay_alu instid0(VALU_DEP_1)
	v_add3_u32 v77, v78, v77, 0x7fff
                                        ; implicit-def: $vgpr78
; %bb.66:
	s_and_not1_saveexec_b32 s4, s4
; %bb.67:
	v_and_b32_e32 v77, 0xffff, v78
	v_or_b32_e32 v83, 0x10000, v78
	s_delay_alu instid0(VALU_DEP_2) | instskip(NEXT) | instid1(VALU_DEP_2)
	v_cmp_eq_u32_e32 vcc_lo, 0, v77
	v_cndmask_b32_e32 v77, v83, v78, vcc_lo
; %bb.68:
	s_or_b32 exec_lo, exec_lo, s4
	v_and_b32_e32 v78, 0x7f800000, v79
	s_delay_alu instid0(VALU_DEP_1) | instskip(SKIP_1) | instid1(SALU_CYCLE_1)
	v_cmp_ne_u32_e32 vcc_lo, 0x7f800000, v78
                                        ; implicit-def: $vgpr78
	s_and_saveexec_b32 s4, vcc_lo
	s_xor_b32 s4, exec_lo, s4
; %bb.69:
	v_bfe_u32 v78, v79, 16, 1
	s_delay_alu instid0(VALU_DEP_1)
	v_add3_u32 v78, v79, v78, 0x7fff
                                        ; implicit-def: $vgpr79
; %bb.70:
	s_and_not1_saveexec_b32 s4, s4
; %bb.71:
	v_and_b32_e32 v78, 0xffff, v79
	v_or_b32_e32 v83, 0x10000, v79
	s_delay_alu instid0(VALU_DEP_2) | instskip(NEXT) | instid1(VALU_DEP_2)
	v_cmp_eq_u32_e32 vcc_lo, 0, v78
	v_cndmask_b32_e32 v78, v83, v79, vcc_lo
; %bb.72:
	s_or_b32 exec_lo, exec_lo, s4
	v_and_b32_e32 v79, 0x7f800000, v70
	s_delay_alu instid0(VALU_DEP_1) | instskip(SKIP_1) | instid1(SALU_CYCLE_1)
	v_cmp_ne_u32_e32 vcc_lo, 0x7f800000, v79
                                        ; implicit-def: $vgpr79
	s_and_saveexec_b32 s4, vcc_lo
	s_xor_b32 s4, exec_lo, s4
; %bb.73:
	v_bfe_u32 v79, v70, 16, 1
	s_delay_alu instid0(VALU_DEP_1)
	v_add3_u32 v79, v70, v79, 0x7fff
                                        ; implicit-def: $vgpr70
; %bb.74:
	s_and_not1_saveexec_b32 s4, s4
; %bb.75:
	v_and_b32_e32 v79, 0xffff, v70
	v_or_b32_e32 v83, 0x10000, v70
	s_delay_alu instid0(VALU_DEP_2) | instskip(NEXT) | instid1(VALU_DEP_2)
	v_cmp_eq_u32_e32 vcc_lo, 0, v79
	v_cndmask_b32_e32 v79, v83, v70, vcc_lo
; %bb.76:
	s_or_b32 exec_lo, exec_lo, s4
	s_delay_alu instid0(VALU_DEP_1)
	v_perm_b32 v86, v79, v78, 0x7060302
	v_perm_b32 v85, v77, v82, 0x7060302
	;; [unrolled: 1-line block ×4, first 2 shown]
	v_lshl_or_b32 v82, v66, 11, v80
	ds_store_b128 v76, v[83:86] offset:1024
	s_waitcnt lgkmcnt(0)
	s_barrier
	buffer_gl0_inv
	ds_load_b128 v[69:72], v82
	ds_load_b128 v[83:86], v82 offset:16
	s_waitcnt lgkmcnt(1)
	v_lshrrev_b32_e32 v66, 16, v69
	s_waitcnt lgkmcnt(0)
	v_lshrrev_b32_e32 v91, 16, v83
	v_lshlrev_b32_e32 v78, 2, v74
	v_lshrrev_b32_e32 v95, 16, v70
	v_lshrrev_b32_e32 v98, 16, v84
	;; [unrolled: 1-line block ×4, first 2 shown]
	v_cmp_eq_u32_e32 vcc_lo, 1, v78
	v_lshrrev_b32_e32 v97, 16, v72
	v_lshrrev_b32_e32 v100, 16, v86
	v_cndmask_b32_e32 v87, v83, v91, vcc_lo
	v_or_b32_e32 v79, 1, v78
	v_cndmask_b32_e32 v81, v69, v66, vcc_lo
	v_cmp_eq_u32_e64 s5, 2, v78
	v_cmp_eq_u32_e64 s8, 3, v78
	;; [unrolled: 1-line block ×5, first 2 shown]
	v_cndmask_b32_e64 v81, v81, v70, s5
	v_cndmask_b32_e64 v87, v87, v84, s5
	v_cmp_eq_u32_e64 s9, 3, v79
	v_cndmask_b32_e64 v88, v69, v66, s4
	v_or_b32_e32 v77, 2, v78
	v_cndmask_b32_e64 v81, v81, v95, s8
	v_cndmask_b32_e64 v87, v87, v98, s8
	;; [unrolled: 1-line block ×4, first 2 shown]
	v_cmp_eq_u32_e64 s11, 5, v78
	v_cndmask_b32_e64 v81, v81, v71, s10
	v_cndmask_b32_e64 v87, v87, v85, s10
	v_cmp_eq_u32_e64 s12, 4, v79
	v_cndmask_b32_e64 v88, v88, v95, s9
	v_cmp_eq_u32_e64 s6, 1, v77
	v_cndmask_b32_e64 v89, v89, v84, s7
	v_cndmask_b32_e64 v81, v81, v96, s11
	v_cmp_eq_u32_e64 s13, 6, v78
	v_cndmask_b32_e64 v88, v88, v71, s12
	;; [unrolled: 3-line block ×3, first 2 shown]
	v_cndmask_b32_e64 v89, v89, v98, s9
	v_cndmask_b32_e64 v81, v81, v72, s13
	v_cmp_eq_u32_e64 s16, 7, v78
	v_cndmask_b32_e64 v88, v88, v96, s15
	v_cndmask_b32_e64 v87, v87, v86, s13
	v_cmp_eq_u32_e64 s17, 6, v79
	v_cmp_eq_u32_e64 s18, 2, v77
	v_cndmask_b32_e64 v89, v89, v85, s12
	v_cndmask_b32_e64 v101, v81, v97, s16
	;; [unrolled: 1-line block ×6, first 2 shown]
	v_cmp_eq_u32_e64 s19, 7, v79
	v_cmp_eq_u32_e64 s20, 3, v77
	;; [unrolled: 1-line block ×4, first 2 shown]
	v_cndmask_b32_e64 v87, v87, v84, s18
	v_cndmask_b32_e64 v103, v88, v97, s19
	;; [unrolled: 1-line block ×4, first 2 shown]
	v_or_b32_e32 v81, 3, v78
	v_cndmask_b32_e64 v93, v87, v98, s20
	v_cmp_eq_u32_e64 s25, 6, v77
	v_cndmask_b32_e64 v104, v88, v86, s17
	v_cndmask_b32_e64 v92, v89, v71, s21
	v_cmp_eq_u32_e64 s22, 1, v81
	ds_load_b128 v[87:90], v82 offset:1024
	v_cmp_eq_u32_e64 s24, 2, v81
	v_cmp_eq_u32_e64 s26, 3, v81
	v_cndmask_b32_e64 v105, v92, v96, s23
	v_cndmask_b32_e64 v66, v69, v66, s22
	v_cndmask_b32_e64 v69, v93, v85, s21
	v_cndmask_b32_e64 v83, v83, v91, s22
	ds_load_b128 v[91:94], v82 offset:1040
	v_cmp_eq_u32_e64 s27, 4, v81
	v_cndmask_b32_e64 v66, v66, v70, s24
	v_cmp_eq_u32_e64 s28, 7, v77
	v_cndmask_b32_e64 v70, v83, v84, s24
	v_cndmask_b32_e64 v84, v105, v72, s25
	v_cmp_eq_u32_e64 s29, 5, v81
	v_cndmask_b32_e64 v66, v66, v95, s26
	v_cmp_eq_u32_e64 s30, 6, v81
	v_cndmask_b32_e64 v70, v70, v98, s26
	v_cndmask_b32_e64 v69, v69, v99, s23
	;; [unrolled: 1-line block ×4, first 2 shown]
	s_waitcnt lgkmcnt(1)
	v_lshrrev_b32_e32 v95, 16, v87
	v_cndmask_b32_e64 v70, v70, v85, s27
	v_cndmask_b32_e64 v71, v84, v97, s28
	;; [unrolled: 1-line block ×4, first 2 shown]
	v_cndmask_b32_e32 v84, v87, v95, vcc_lo
	v_cndmask_b32_e64 v70, v70, v99, s29
	s_waitcnt lgkmcnt(0)
	v_lshrrev_b32_e32 v85, 16, v91
	v_lshrrev_b32_e32 v96, 16, v88
	v_cndmask_b32_e64 v98, v87, v95, s4
	v_cndmask_b32_e64 v84, v84, v88, s5
	;; [unrolled: 1-line block ×3, first 2 shown]
	v_cndmask_b32_e32 v99, v91, v85, vcc_lo
	v_cmp_eq_u32_e32 vcc_lo, 7, v81
	v_cndmask_b32_e64 v66, v66, v72, s30
	v_cndmask_b32_e64 v72, v84, v96, s8
	;; [unrolled: 1-line block ×3, first 2 shown]
	v_lshrrev_b32_e32 v98, 16, v92
	v_cndmask_b32_e32 v70, v70, v100, vcc_lo
	v_cndmask_b32_e64 v86, v99, v92, s5
	v_cndmask_b32_e64 v69, v69, v100, s28
	v_lshrrev_b32_e32 v100, 16, v93
	v_cndmask_b32_e64 v72, v72, v89, s10
	v_lshrrev_b32_e32 v99, 16, v89
	v_cndmask_b32_e64 v86, v86, v98, s8
	v_perm_b32 v71, v69, v71, 0x5040100
	v_cndmask_b32_e64 v84, v84, v96, s9
	s_delay_alu instid0(VALU_DEP_3) | instskip(NEXT) | instid1(VALU_DEP_2)
	v_cndmask_b32_e64 v86, v86, v93, s10
	v_cndmask_b32_e64 v84, v84, v89, s12
	s_delay_alu instid0(VALU_DEP_2) | instskip(NEXT) | instid1(VALU_DEP_1)
	v_cndmask_b32_e64 v86, v86, v100, s11
	v_cndmask_b32_e64 v69, v86, v94, s13
	;; [unrolled: 1-line block ×5, first 2 shown]
	s_delay_alu instid0(VALU_DEP_3) | instskip(NEXT) | instid1(VALU_DEP_3)
	v_cndmask_b32_e64 v86, v86, v88, s18
	v_cndmask_b32_e64 v87, v87, v88, s24
	s_delay_alu instid0(VALU_DEP_3) | instskip(NEXT) | instid1(VALU_DEP_3)
	v_cndmask_b32_e64 v88, v95, v92, s24
	v_cndmask_b32_e64 v86, v86, v96, s20
	;; [unrolled: 3-line block ×7, first 2 shown]
	s_delay_alu instid0(VALU_DEP_3) | instskip(SKIP_2) | instid1(VALU_DEP_2)
	v_cndmask_b32_e64 v88, v88, v94, s30
	v_cndmask_b32_e32 v66, v66, v97, vcc_lo
	v_cndmask_b32_e64 v97, v72, v99, s11
	v_perm_b32 v72, v70, v66, 0x5040100
	v_perm_b32 v70, v83, v103, 0x5040100
	v_cndmask_b32_e64 v103, v91, v85, s6
	v_cndmask_b32_e64 v85, v91, v85, s4
	;; [unrolled: 1-line block ×4, first 2 shown]
	v_lshrrev_b32_e32 v97, 16, v90
	v_cndmask_b32_e64 v91, v103, v92, s18
	v_cndmask_b32_e64 v85, v85, v92, s7
	;; [unrolled: 1-line block ×3, first 2 shown]
	s_mov_b32 s4, exec_lo
	v_cndmask_b32_e64 v83, v84, v97, s16
	v_cndmask_b32_e64 v91, v91, v98, s20
	;; [unrolled: 1-line block ×3, first 2 shown]
	v_lshrrev_b32_e32 v84, 16, v94
	v_cndmask_b32_e64 v66, v66, v97, s19
	v_cndmask_b32_e64 v90, v86, v97, s28
	;; [unrolled: 1-line block ×4, first 2 shown]
	v_dual_cndmask_b32 v86, v87, v97 :: v_dual_cndmask_b32 v87, v88, v84
	v_cndmask_b32_e64 v91, v69, v84, s16
	s_delay_alu instid0(VALU_DEP_4) | instskip(NEXT) | instid1(VALU_DEP_4)
	v_cndmask_b32_e64 v89, v89, v100, s23
	v_cndmask_b32_e64 v85, v85, v100, s15
	v_perm_b32 v69, v102, v101, 0x5040100
	v_perm_b32 v86, v87, v86, 0x5040100
	;; [unrolled: 1-line block ×3, first 2 shown]
	v_cndmask_b32_e64 v89, v89, v94, s25
	v_cndmask_b32_e64 v85, v85, v94, s17
	s_mul_i32 s9, s37, 7
	s_delay_alu instid0(VALU_DEP_2) | instskip(NEXT) | instid1(VALU_DEP_2)
	v_cndmask_b32_e64 v88, v89, v84, s28
	v_cndmask_b32_e64 v89, v85, v84, s19
	s_delay_alu instid0(VALU_DEP_2) | instskip(NEXT) | instid1(VALU_DEP_2)
	v_perm_b32 v85, v88, v90, 0x5040100
	v_perm_b32 v84, v89, v66, 0x5040100
	ds_store_b128 v76, v[69:72]
	ds_store_b128 v76, v[83:86] offset:1024
	v_cmpx_gt_u32_e32 7, v0
	s_cbranch_execz .LBB1372_78
; %bb.77:
	s_mul_i32 s5, s9, s34
	s_load_b128 s[16:19], s[0:1], 0x58
	v_add3_u32 v69, s5, s31, v65
	s_delay_alu instid0(VALU_DEP_1) | instskip(NEXT) | instid1(VALU_DEP_1)
	v_mad_u64_u32 v[65:66], null, v69, s36, s[14:15]
	v_ashrrev_i32_e32 v66, 31, v65
	s_delay_alu instid0(VALU_DEP_1) | instskip(SKIP_1) | instid1(VALU_DEP_1)
	v_lshlrev_b64 v[65:66], 2, v[65:66]
	s_waitcnt lgkmcnt(0)
	v_add_co_u32 v69, vcc_lo, s18, v65
	s_delay_alu instid0(VALU_DEP_2)
	v_add_co_ci_u32_e32 v70, vcc_lo, s19, v66, vcc_lo
	v_add_co_u32 v65, vcc_lo, s16, v65
	v_add_co_ci_u32_e32 v66, vcc_lo, s17, v66, vcc_lo
	global_store_b32 v[69:70], v67, off
	global_store_b32 v[65:66], v68, off
.LBB1372_78:
	s_or_b32 exec_lo, exec_lo, s4
	s_waitcnt lgkmcnt(0)
	s_waitcnt_vscnt null, 0x0
	s_barrier
	buffer_gl0_inv
	ds_load_b128 v[83:86], v80
	ds_load_b128 v[87:90], v80 offset:16
	ds_load_b128 v[95:98], v80 offset:2064
	;; [unrolled: 1-line block ×3, first 2 shown]
	v_mov_b32_e32 v65, 0
	ds_load_b128 v[103:106], v80 offset:4112
	ds_load_b128 v[99:102], v80 offset:4096
	;; [unrolled: 1-line block ×4, first 2 shown]
	v_mov_b32_e32 v66, v65
	v_mov_b32_e32 v67, v65
	v_mov_b32_e32 v68, v65
	v_mov_b32_e32 v69, v65
	v_mov_b32_e32 v70, v65
	v_mov_b32_e32 v71, v65
	v_mov_b32_e32 v72, v65
	s_waitcnt lgkmcnt(6)
	s_delay_alu instid0(VALU_DEP_1)
	v_wmma_f32_16x16x16_bf16 v[65:72], v[57:64], v[83:90], v[65:72]
	ds_load_b128 v[61:64], v80 offset:8208
	ds_load_b128 v[57:60], v80 offset:8192
	s_waitcnt lgkmcnt(6)
	v_wmma_f32_16x16x16_bf16 v[65:72], v[41:48], v[91:98], v[65:72]
	ds_load_b128 v[45:48], v80 offset:10256
	ds_load_b128 v[41:44], v80 offset:10240
	s_waitcnt lgkmcnt(6)
	;; [unrolled: 4-line block ×4, first 2 shown]
	v_wmma_f32_16x16x16_bf16 v[65:72], v[1:8], v[57:64], v[65:72]
	s_waitcnt lgkmcnt(4)
	s_delay_alu instid0(VALU_DEP_1) | instskip(SKIP_1) | instid1(VALU_DEP_1)
	v_wmma_f32_16x16x16_bf16 v[65:72], v[9:16], v[41:48], v[65:72]
	s_waitcnt lgkmcnt(2)
	v_wmma_f32_16x16x16_bf16 v[65:72], v[17:24], v[33:40], v[65:72]
	s_waitcnt lgkmcnt(0)
	s_delay_alu instid0(VALU_DEP_1) | instskip(NEXT) | instid1(VALU_DEP_1)
	v_wmma_f32_16x16x16_bf16 v[65:72], v[49:56], v[25:32], v[65:72]
	v_and_b32_e32 v1, 0x7f800000, v65
	s_delay_alu instid0(VALU_DEP_1) | instskip(SKIP_1) | instid1(SALU_CYCLE_1)
	v_cmp_ne_u32_e32 vcc_lo, 0x7f800000, v1
                                        ; implicit-def: $vgpr1
	s_and_saveexec_b32 s4, vcc_lo
	s_xor_b32 s4, exec_lo, s4
; %bb.79:
	v_bfe_u32 v1, v65, 16, 1
	s_delay_alu instid0(VALU_DEP_1)
	v_add3_u32 v1, v65, v1, 0x7fff
; %bb.80:
	s_and_not1_saveexec_b32 s4, s4
; %bb.81:
	v_and_b32_e32 v1, 0xffff, v65
	v_or_b32_e32 v2, 0x10000, v65
	s_delay_alu instid0(VALU_DEP_2) | instskip(NEXT) | instid1(VALU_DEP_2)
	v_cmp_eq_u32_e32 vcc_lo, 0, v1
	v_cndmask_b32_e32 v1, v2, v65, vcc_lo
; %bb.82:
	s_or_b32 exec_lo, exec_lo, s4
	v_and_b32_e32 v2, 0x7f800000, v66
	s_delay_alu instid0(VALU_DEP_1) | instskip(SKIP_1) | instid1(SALU_CYCLE_1)
	v_cmp_ne_u32_e32 vcc_lo, 0x7f800000, v2
                                        ; implicit-def: $vgpr2
	s_and_saveexec_b32 s4, vcc_lo
	s_xor_b32 s4, exec_lo, s4
; %bb.83:
	v_bfe_u32 v2, v66, 16, 1
	s_delay_alu instid0(VALU_DEP_1)
	v_add3_u32 v2, v66, v2, 0x7fff
; %bb.84:
	s_and_not1_saveexec_b32 s4, s4
; %bb.85:
	v_and_b32_e32 v2, 0xffff, v66
	v_or_b32_e32 v3, 0x10000, v66
	s_delay_alu instid0(VALU_DEP_2) | instskip(NEXT) | instid1(VALU_DEP_2)
	v_cmp_eq_u32_e32 vcc_lo, 0, v2
	v_cndmask_b32_e32 v2, v3, v66, vcc_lo
; %bb.86:
	s_or_b32 exec_lo, exec_lo, s4
	v_and_b32_e32 v3, 0x7f800000, v67
	s_delay_alu instid0(VALU_DEP_1) | instskip(SKIP_1) | instid1(SALU_CYCLE_1)
	v_cmp_ne_u32_e32 vcc_lo, 0x7f800000, v3
                                        ; implicit-def: $vgpr3
	s_and_saveexec_b32 s4, vcc_lo
	s_xor_b32 s4, exec_lo, s4
; %bb.87:
	v_bfe_u32 v3, v67, 16, 1
	s_delay_alu instid0(VALU_DEP_1)
	v_add3_u32 v3, v67, v3, 0x7fff
; %bb.88:
	s_and_not1_saveexec_b32 s4, s4
; %bb.89:
	v_and_b32_e32 v3, 0xffff, v67
	v_or_b32_e32 v4, 0x10000, v67
	s_delay_alu instid0(VALU_DEP_2) | instskip(NEXT) | instid1(VALU_DEP_2)
	v_cmp_eq_u32_e32 vcc_lo, 0, v3
	v_cndmask_b32_e32 v3, v4, v67, vcc_lo
; %bb.90:
	s_or_b32 exec_lo, exec_lo, s4
	v_and_b32_e32 v4, 0x7f800000, v68
	s_delay_alu instid0(VALU_DEP_1) | instskip(SKIP_1) | instid1(SALU_CYCLE_1)
	v_cmp_ne_u32_e32 vcc_lo, 0x7f800000, v4
                                        ; implicit-def: $vgpr4
	s_and_saveexec_b32 s4, vcc_lo
	s_xor_b32 s4, exec_lo, s4
; %bb.91:
	v_bfe_u32 v4, v68, 16, 1
	s_delay_alu instid0(VALU_DEP_1)
	v_add3_u32 v4, v68, v4, 0x7fff
; %bb.92:
	s_and_not1_saveexec_b32 s4, s4
; %bb.93:
	v_and_b32_e32 v4, 0xffff, v68
	v_or_b32_e32 v5, 0x10000, v68
	s_delay_alu instid0(VALU_DEP_2) | instskip(NEXT) | instid1(VALU_DEP_2)
	v_cmp_eq_u32_e32 vcc_lo, 0, v4
	v_cndmask_b32_e32 v4, v5, v68, vcc_lo
; %bb.94:
	s_or_b32 exec_lo, exec_lo, s4
	v_and_b32_e32 v5, 0x7f800000, v69
	s_delay_alu instid0(VALU_DEP_1) | instskip(SKIP_1) | instid1(SALU_CYCLE_1)
	v_cmp_ne_u32_e32 vcc_lo, 0x7f800000, v5
                                        ; implicit-def: $vgpr5
	s_and_saveexec_b32 s4, vcc_lo
	s_xor_b32 s4, exec_lo, s4
; %bb.95:
	v_bfe_u32 v5, v69, 16, 1
	s_delay_alu instid0(VALU_DEP_1)
	v_add3_u32 v5, v69, v5, 0x7fff
; %bb.96:
	s_and_not1_saveexec_b32 s4, s4
; %bb.97:
	v_and_b32_e32 v5, 0xffff, v69
	v_or_b32_e32 v6, 0x10000, v69
	s_delay_alu instid0(VALU_DEP_2) | instskip(NEXT) | instid1(VALU_DEP_2)
	v_cmp_eq_u32_e32 vcc_lo, 0, v5
	v_cndmask_b32_e32 v5, v6, v69, vcc_lo
; %bb.98:
	s_or_b32 exec_lo, exec_lo, s4
	v_and_b32_e32 v6, 0x7f800000, v70
	s_delay_alu instid0(VALU_DEP_1) | instskip(SKIP_1) | instid1(SALU_CYCLE_1)
	v_cmp_ne_u32_e32 vcc_lo, 0x7f800000, v6
                                        ; implicit-def: $vgpr6
	s_and_saveexec_b32 s4, vcc_lo
	s_xor_b32 s4, exec_lo, s4
; %bb.99:
	v_bfe_u32 v6, v70, 16, 1
	s_delay_alu instid0(VALU_DEP_1)
	v_add3_u32 v6, v70, v6, 0x7fff
; %bb.100:
	s_and_not1_saveexec_b32 s4, s4
; %bb.101:
	v_and_b32_e32 v6, 0xffff, v70
	v_or_b32_e32 v7, 0x10000, v70
	s_delay_alu instid0(VALU_DEP_2) | instskip(NEXT) | instid1(VALU_DEP_2)
	v_cmp_eq_u32_e32 vcc_lo, 0, v6
	v_cndmask_b32_e32 v6, v7, v70, vcc_lo
; %bb.102:
	s_or_b32 exec_lo, exec_lo, s4
	v_and_b32_e32 v7, 0x7f800000, v71
	s_delay_alu instid0(VALU_DEP_1) | instskip(SKIP_1) | instid1(SALU_CYCLE_1)
	v_cmp_ne_u32_e32 vcc_lo, 0x7f800000, v7
                                        ; implicit-def: $vgpr7
	s_and_saveexec_b32 s4, vcc_lo
	s_xor_b32 s4, exec_lo, s4
; %bb.103:
	v_bfe_u32 v7, v71, 16, 1
	s_delay_alu instid0(VALU_DEP_1)
	v_add3_u32 v7, v71, v7, 0x7fff
; %bb.104:
	s_and_not1_saveexec_b32 s4, s4
; %bb.105:
	v_and_b32_e32 v7, 0xffff, v71
	v_or_b32_e32 v8, 0x10000, v71
	s_delay_alu instid0(VALU_DEP_2) | instskip(NEXT) | instid1(VALU_DEP_2)
	v_cmp_eq_u32_e32 vcc_lo, 0, v7
	v_cndmask_b32_e32 v7, v8, v71, vcc_lo
; %bb.106:
	s_or_b32 exec_lo, exec_lo, s4
	v_and_b32_e32 v8, 0x7f800000, v72
	s_delay_alu instid0(VALU_DEP_1) | instskip(SKIP_1) | instid1(SALU_CYCLE_1)
	v_cmp_ne_u32_e32 vcc_lo, 0x7f800000, v8
                                        ; implicit-def: $vgpr8
	s_and_saveexec_b32 s4, vcc_lo
	s_xor_b32 s4, exec_lo, s4
; %bb.107:
	v_bfe_u32 v8, v72, 16, 1
	s_delay_alu instid0(VALU_DEP_1)
	v_add3_u32 v8, v72, v8, 0x7fff
                                        ; implicit-def: $vgpr65_vgpr66_vgpr67_vgpr68_vgpr69_vgpr70_vgpr71_vgpr72
; %bb.108:
	s_and_not1_saveexec_b32 s4, s4
; %bb.109:
	v_and_b32_e32 v8, 0xffff, v72
	v_or_b32_e32 v9, 0x10000, v72
	s_delay_alu instid0(VALU_DEP_2) | instskip(NEXT) | instid1(VALU_DEP_2)
	v_cmp_eq_u32_e32 vcc_lo, 0, v8
	v_cndmask_b32_e32 v8, v9, v72, vcc_lo
; %bb.110:
	s_or_b32 exec_lo, exec_lo, s4
	s_delay_alu instid0(VALU_DEP_1)
	v_perm_b32 v7, v8, v7, 0x7060302
	v_perm_b32 v6, v6, v5, 0x7060302
	;; [unrolled: 1-line block ×4, first 2 shown]
	s_barrier
	buffer_gl0_inv
	v_cmp_eq_u32_e32 vcc_lo, 1, v78
	ds_store_b128 v76, v[4:7]
	s_waitcnt lgkmcnt(0)
	s_barrier
	buffer_gl0_inv
	ds_load_b128 v[1:4], v82
	ds_load_b128 v[5:8], v82 offset:16
	v_cmp_eq_u32_e64 s4, 1, v79
	v_cmp_eq_u32_e64 s5, 2, v78
	;; [unrolled: 1-line block ×5, first 2 shown]
	s_waitcnt lgkmcnt(1)
	v_lshrrev_b32_e32 v9, 16, v1
	s_waitcnt lgkmcnt(0)
	v_lshrrev_b32_e32 v13, 16, v5
	v_lshrrev_b32_e32 v10, 16, v2
	;; [unrolled: 1-line block ×4, first 2 shown]
	v_cndmask_b32_e64 v19, v1, v9, s4
	v_cndmask_b32_e32 v18, v5, v13, vcc_lo
	v_cndmask_b32_e64 v20, v5, v13, s4
	v_cndmask_b32_e32 v17, v1, v9, vcc_lo
	v_cmp_eq_u32_e32 vcc_lo, 2, v79
	v_lshrrev_b32_e32 v15, 16, v7
	v_cmp_eq_u32_e64 s4, 1, v77
	v_lshrrev_b32_e32 v12, 16, v4
	v_lshrrev_b32_e32 v16, 16, v8
	v_cndmask_b32_e32 v20, v20, v6, vcc_lo
	v_cndmask_b32_e64 v17, v17, v2, s5
	v_cndmask_b32_e32 v19, v19, v2, vcc_lo
	v_cndmask_b32_e64 v18, v18, v6, s5
	v_cmp_eq_u32_e32 vcc_lo, 4, v78
	v_cmp_eq_u32_e64 s5, 3, v79
	v_cndmask_b32_e64 v17, v17, v10, s6
	v_cndmask_b32_e64 v21, v1, v9, s4
	;; [unrolled: 1-line block ×5, first 2 shown]
	v_cndmask_b32_e32 v17, v17, v3, vcc_lo
	v_cndmask_b32_e64 v20, v20, v14, s5
	v_cndmask_b32_e32 v18, v18, v7, vcc_lo
	v_cmp_eq_u32_e32 vcc_lo, 4, v79
	v_cmp_eq_u32_e64 s5, 5, v79
	v_cmp_eq_u32_e64 s4, 2, v81
	v_cndmask_b32_e64 v21, v21, v2, s8
	v_cmp_eq_u32_e64 s6, 5, v78
	v_cndmask_b32_e32 v19, v19, v3, vcc_lo
	v_cndmask_b32_e32 v20, v20, v7, vcc_lo
	v_cmp_eq_u32_e32 vcc_lo, 6, v79
	s_delay_alu instid0(VALU_DEP_4) | instskip(NEXT) | instid1(VALU_DEP_4)
	v_cndmask_b32_e64 v17, v17, v11, s6
	v_cndmask_b32_e64 v19, v19, v11, s5
	s_delay_alu instid0(VALU_DEP_4) | instskip(SKIP_1) | instid1(VALU_DEP_3)
	v_cndmask_b32_e64 v20, v20, v15, s5
	v_cmp_eq_u32_e64 s5, 1, v81
	v_cndmask_b32_e32 v19, v19, v4, vcc_lo
	v_cndmask_b32_e64 v18, v18, v15, s6
	s_delay_alu instid0(VALU_DEP_3)
	v_cndmask_b32_e64 v1, v1, v9, s5
	v_cndmask_b32_e64 v5, v5, v13, s5
	v_cmp_eq_u32_e64 s5, 3, v77
	v_cndmask_b32_e64 v13, v22, v6, s8
	v_cmp_eq_u32_e64 s8, 3, v81
	v_cndmask_b32_e64 v1, v1, v2, s4
	v_cndmask_b32_e64 v2, v5, v6, s4
	;; [unrolled: 1-line block ×3, first 2 shown]
	v_cmp_eq_u32_e64 s4, 4, v77
	v_cndmask_b32_e64 v6, v13, v14, s5
	v_cndmask_b32_e64 v1, v1, v10, s8
	v_cmp_eq_u32_e64 s5, 4, v81
	v_cndmask_b32_e64 v2, v2, v14, s8
	v_cndmask_b32_e64 v5, v9, v3, s4
	;; [unrolled: 3-line block ×3, first 2 shown]
	v_cndmask_b32_e64 v2, v2, v7, s5
	v_cmp_eq_u32_e64 s4, 5, v81
	v_cmp_eq_u32_e64 s6, 6, v78
	v_cndmask_b32_e64 v5, v5, v11, s8
	v_cmp_eq_u32_e64 s5, 6, v77
	v_cndmask_b32_e64 v3, v6, v15, s8
	v_cndmask_b32_e64 v1, v1, v11, s4
	v_cmp_eq_u32_e64 s8, 6, v81
	v_cndmask_b32_e64 v2, v2, v15, s4
	v_cndmask_b32_e64 v17, v17, v4, s6
	v_cndmask_b32_e64 v18, v18, v8, s6
	v_cmp_eq_u32_e64 s6, 7, v78
	v_cndmask_b32_e64 v5, v5, v4, s5
	;; [unrolled: 4-line block ×3, first 2 shown]
	v_cmp_eq_u32_e64 s5, 7, v77
	v_cndmask_b32_e32 v4, v20, v8, vcc_lo
	v_cndmask_b32_e64 v17, v17, v12, s6
	v_cndmask_b32_e64 v19, v19, v12, s7
	;; [unrolled: 1-line block ×8, first 2 shown]
	v_cmp_gt_u32_e32 vcc_lo, 32, v0
	v_perm_b32 v4, v2, v1, 0x5040100
	v_perm_b32 v3, v3, v5, 0x5040100
	;; [unrolled: 1-line block ×4, first 2 shown]
	s_and_b32 s2, vcc_lo, s2
	ds_store_b128 v76, v[1:4]
	s_waitcnt lgkmcnt(0)
	s_barrier
	buffer_gl0_inv
	s_and_saveexec_b32 s4, s2
	s_cbranch_execz .LBB1372_2
; %bb.111:
	s_load_b64 s[4:5], s[0:1], 0x68
	v_lshlrev_b32_e32 v0, 10, v0
	v_add_nc_u32_e32 v2, s31, v74
	v_lshlrev_b32_e32 v3, 4, v75
	s_lshl_b32 s0, s36, 6
	s_delay_alu instid0(SALU_CYCLE_1) | instskip(NEXT) | instid1(VALU_DEP_2)
	s_mul_i32 s1, s0, s34
	v_mul_lo_u32 v1, v2, s0
	s_delay_alu instid0(VALU_DEP_2)
	v_and_or_b32 v0, 0x3800, v0, v3
	v_add_nc_u32_e32 v3, 2, v2
	s_mul_i32 s6, s1, s9
	v_add_nc_u32_e32 v4, 4, v2
	s_ashr_i32 s7, s6, 31
	v_lshl_or_b32 v11, v74, 6, v0
	s_lshl_b64 s[6:7], s[6:7], 1
	v_mul_lo_u32 v15, v3, s0
	v_mul_lo_u32 v17, v4, s0
	v_ashrrev_i32_e32 v2, 31, v1
	ds_load_b128 v[3:6], v11
	ds_load_b128 v[7:10], v11 offset:128
	ds_load_b128 v[11:14], v11 offset:256
	s_waitcnt lgkmcnt(0)
	s_add_u32 s1, s4, s6
	s_addc_u32 s2, s5, s7
	s_lshl_b32 s4, s14, 6
	v_ashrrev_i32_e32 v16, 31, v15
	s_ashr_i32 s5, s4, 31
	v_lshlrev_b64 v[19:20], 1, v[1:2]
	s_lshl_b64 s[4:5], s[4:5], 1
	v_ashrrev_i32_e32 v18, 31, v17
	s_add_u32 s1, s1, s4
	s_addc_u32 s2, s2, s5
	v_add_co_u32 v1, s1, s1, v73
	s_delay_alu instid0(VALU_DEP_1) | instskip(SKIP_1) | instid1(VALU_DEP_3)
	v_add_co_ci_u32_e64 v2, null, s2, 0, s1
	v_lshlrev_b64 v[15:16], 1, v[15:16]
	v_add_co_u32 v19, vcc_lo, v1, v19
	v_lshlrev_b64 v[17:18], 1, v[17:18]
	s_delay_alu instid0(VALU_DEP_4) | instskip(NEXT) | instid1(VALU_DEP_4)
	v_add_co_ci_u32_e32 v20, vcc_lo, v2, v20, vcc_lo
	v_add_co_u32 v15, vcc_lo, v1, v15
	v_add_co_ci_u32_e32 v16, vcc_lo, v2, v16, vcc_lo
	s_delay_alu instid0(VALU_DEP_4)
	v_add_co_u32 v17, vcc_lo, v1, v17
	v_add_co_ci_u32_e32 v18, vcc_lo, v2, v18, vcc_lo
	s_clause 0x2
	global_store_b128 v[19:20], v[3:6], off
	global_store_b128 v[15:16], v[7:10], off
	;; [unrolled: 1-line block ×3, first 2 shown]
	s_and_b32 exec_lo, exec_lo, s3
	s_cbranch_execz .LBB1372_2
; %bb.112:
	ds_load_b128 v[3:6], v0 offset:384
	s_add_i32 s1, s31, 6
	s_delay_alu instid0(SALU_CYCLE_1) | instskip(NEXT) | instid1(SALU_CYCLE_1)
	s_mul_i32 s0, s1, s0
	s_ashr_i32 s1, s0, 31
	s_delay_alu instid0(SALU_CYCLE_1) | instskip(NEXT) | instid1(SALU_CYCLE_1)
	s_lshl_b64 s[0:1], s[0:1], 1
	v_add_co_u32 v0, vcc_lo, v1, s0
	v_add_co_ci_u32_e32 v1, vcc_lo, s1, v2, vcc_lo
	s_waitcnt lgkmcnt(0)
	global_store_b128 v[0:1], v[3:6], off
	s_nop 0
	s_sendmsg sendmsg(MSG_DEALLOC_VGPRS)
	s_endpgm
	.section	.rodata,"a",@progbits
	.p2align	6, 0x0
	.amdhsa_kernel _Z39paged_attention_ll4mi_QKV_mfma16_kernelI14__hip_bfloat16hLN4vllm18Fp8KVCacheDataTypeE1EhLi16ELi64ELi256ELb0ELi7EL8MFMAType1EEvPKT_PKT0_S9_ifPKiSB_SB_iPKfiiiPfSE_PS4_PT2_iSD_SD_
		.amdhsa_group_segment_fixed_size 17472
		.amdhsa_private_segment_fixed_size 0
		.amdhsa_kernarg_size 400
		.amdhsa_user_sgpr_count 13
		.amdhsa_user_sgpr_dispatch_ptr 0
		.amdhsa_user_sgpr_queue_ptr 0
		.amdhsa_user_sgpr_kernarg_segment_ptr 1
		.amdhsa_user_sgpr_dispatch_id 0
		.amdhsa_user_sgpr_private_segment_size 0
		.amdhsa_wavefront_size32 1
		.amdhsa_uses_dynamic_stack 0
		.amdhsa_enable_private_segment 0
		.amdhsa_system_sgpr_workgroup_id_x 1
		.amdhsa_system_sgpr_workgroup_id_y 1
		.amdhsa_system_sgpr_workgroup_id_z 1
		.amdhsa_system_sgpr_workgroup_info 0
		.amdhsa_system_vgpr_workitem_id 0
		.amdhsa_next_free_vgpr 124
		.amdhsa_next_free_sgpr 40
		.amdhsa_reserve_vcc 1
		.amdhsa_float_round_mode_32 0
		.amdhsa_float_round_mode_16_64 0
		.amdhsa_float_denorm_mode_32 3
		.amdhsa_float_denorm_mode_16_64 3
		.amdhsa_dx10_clamp 1
		.amdhsa_ieee_mode 1
		.amdhsa_fp16_overflow 0
		.amdhsa_workgroup_processor_mode 1
		.amdhsa_memory_ordered 1
		.amdhsa_forward_progress 0
		.amdhsa_shared_vgpr_count 0
		.amdhsa_exception_fp_ieee_invalid_op 0
		.amdhsa_exception_fp_denorm_src 0
		.amdhsa_exception_fp_ieee_div_zero 0
		.amdhsa_exception_fp_ieee_overflow 0
		.amdhsa_exception_fp_ieee_underflow 0
		.amdhsa_exception_fp_ieee_inexact 0
		.amdhsa_exception_int_div_zero 0
	.end_amdhsa_kernel
	.section	.text._Z39paged_attention_ll4mi_QKV_mfma16_kernelI14__hip_bfloat16hLN4vllm18Fp8KVCacheDataTypeE1EhLi16ELi64ELi256ELb0ELi7EL8MFMAType1EEvPKT_PKT0_S9_ifPKiSB_SB_iPKfiiiPfSE_PS4_PT2_iSD_SD_,"axG",@progbits,_Z39paged_attention_ll4mi_QKV_mfma16_kernelI14__hip_bfloat16hLN4vllm18Fp8KVCacheDataTypeE1EhLi16ELi64ELi256ELb0ELi7EL8MFMAType1EEvPKT_PKT0_S9_ifPKiSB_SB_iPKfiiiPfSE_PS4_PT2_iSD_SD_,comdat
.Lfunc_end1372:
	.size	_Z39paged_attention_ll4mi_QKV_mfma16_kernelI14__hip_bfloat16hLN4vllm18Fp8KVCacheDataTypeE1EhLi16ELi64ELi256ELb0ELi7EL8MFMAType1EEvPKT_PKT0_S9_ifPKiSB_SB_iPKfiiiPfSE_PS4_PT2_iSD_SD_, .Lfunc_end1372-_Z39paged_attention_ll4mi_QKV_mfma16_kernelI14__hip_bfloat16hLN4vllm18Fp8KVCacheDataTypeE1EhLi16ELi64ELi256ELb0ELi7EL8MFMAType1EEvPKT_PKT0_S9_ifPKiSB_SB_iPKfiiiPfSE_PS4_PT2_iSD_SD_
                                        ; -- End function
	.section	.AMDGPU.csdata,"",@progbits
; Kernel info:
; codeLenInByte = 8804
; NumSgprs: 42
; NumVgprs: 124
; ScratchSize: 0
; MemoryBound: 0
; FloatMode: 240
; IeeeMode: 1
; LDSByteSize: 17472 bytes/workgroup (compile time only)
; SGPRBlocks: 5
; VGPRBlocks: 15
; NumSGPRsForWavesPerEU: 42
; NumVGPRsForWavesPerEU: 124
; Occupancy: 10
; WaveLimiterHint : 1
; COMPUTE_PGM_RSRC2:SCRATCH_EN: 0
; COMPUTE_PGM_RSRC2:USER_SGPR: 13
; COMPUTE_PGM_RSRC2:TRAP_HANDLER: 0
; COMPUTE_PGM_RSRC2:TGID_X_EN: 1
; COMPUTE_PGM_RSRC2:TGID_Y_EN: 1
; COMPUTE_PGM_RSRC2:TGID_Z_EN: 1
; COMPUTE_PGM_RSRC2:TIDIG_COMP_CNT: 0
	.section	.text._Z39paged_attention_ll4mi_QKV_mfma16_kernelI14__hip_bfloat16hLN4vllm18Fp8KVCacheDataTypeE1EhLi16ELi64ELi256ELb0ELi8EL8MFMAType1EEvPKT_PKT0_S9_ifPKiSB_SB_iPKfiiiPfSE_PS4_PT2_iSD_SD_,"axG",@progbits,_Z39paged_attention_ll4mi_QKV_mfma16_kernelI14__hip_bfloat16hLN4vllm18Fp8KVCacheDataTypeE1EhLi16ELi64ELi256ELb0ELi8EL8MFMAType1EEvPKT_PKT0_S9_ifPKiSB_SB_iPKfiiiPfSE_PS4_PT2_iSD_SD_,comdat
	.protected	_Z39paged_attention_ll4mi_QKV_mfma16_kernelI14__hip_bfloat16hLN4vllm18Fp8KVCacheDataTypeE1EhLi16ELi64ELi256ELb0ELi8EL8MFMAType1EEvPKT_PKT0_S9_ifPKiSB_SB_iPKfiiiPfSE_PS4_PT2_iSD_SD_ ; -- Begin function _Z39paged_attention_ll4mi_QKV_mfma16_kernelI14__hip_bfloat16hLN4vllm18Fp8KVCacheDataTypeE1EhLi16ELi64ELi256ELb0ELi8EL8MFMAType1EEvPKT_PKT0_S9_ifPKiSB_SB_iPKfiiiPfSE_PS4_PT2_iSD_SD_
	.globl	_Z39paged_attention_ll4mi_QKV_mfma16_kernelI14__hip_bfloat16hLN4vllm18Fp8KVCacheDataTypeE1EhLi16ELi64ELi256ELb0ELi8EL8MFMAType1EEvPKT_PKT0_S9_ifPKiSB_SB_iPKfiiiPfSE_PS4_PT2_iSD_SD_
	.p2align	8
	.type	_Z39paged_attention_ll4mi_QKV_mfma16_kernelI14__hip_bfloat16hLN4vllm18Fp8KVCacheDataTypeE1EhLi16ELi64ELi256ELb0ELi8EL8MFMAType1EEvPKT_PKT0_S9_ifPKiSB_SB_iPKfiiiPfSE_PS4_PT2_iSD_SD_,@function
_Z39paged_attention_ll4mi_QKV_mfma16_kernelI14__hip_bfloat16hLN4vllm18Fp8KVCacheDataTypeE1EhLi16ELi64ELi256ELb0ELi8EL8MFMAType1EEvPKT_PKT0_S9_ifPKiSB_SB_iPKfiiiPfSE_PS4_PT2_iSD_SD_: ; @_Z39paged_attention_ll4mi_QKV_mfma16_kernelI14__hip_bfloat16hLN4vllm18Fp8KVCacheDataTypeE1EhLi16ELi64ELi256ELb0ELi8EL8MFMAType1EEvPKT_PKT0_S9_ifPKiSB_SB_iPKfiiiPfSE_PS4_PT2_iSD_SD_
; %bb.0:
	s_load_b64 s[2:3], s[0:1], 0x30
	s_mov_b32 s30, s13
	s_waitcnt lgkmcnt(0)
	s_cmp_lg_u64 s[2:3], 0
	s_cselect_b32 s8, -1, 0
	s_ashr_i32 s31, s13, 31
	s_cmp_eq_u64 s[2:3], 0
	s_cbranch_scc1 .LBB1373_3
; %bb.1:
	s_lshl_b64 s[4:5], s[30:31], 2
	s_delay_alu instid0(SALU_CYCLE_1) | instskip(SKIP_4) | instid1(SALU_CYCLE_1)
	s_add_u32 s4, s2, s4
	s_addc_u32 s5, s3, s5
	s_load_b64 s[4:5], s[4:5], 0x0
	s_waitcnt lgkmcnt(0)
	s_sub_i32 s4, s5, s4
	s_cmp_eq_u32 s4, 1
	s_cselect_b32 s4, -1, 0
	s_delay_alu instid0(SALU_CYCLE_1)
	s_and_not1_b32 vcc_lo, exec_lo, s4
	s_cbranch_vccz .LBB1373_4
.LBB1373_2:
	s_endpgm
.LBB1373_3:
.LBB1373_4:
	s_load_b64 s[4:5], s[0:1], 0x28
	s_lshl_b64 s[6:7], s[30:31], 2
	s_waitcnt lgkmcnt(0)
	s_add_u32 s4, s4, s6
	s_addc_u32 s5, s5, s7
	s_lshl_b32 s12, s14, 8
	s_load_b32 s24, s[4:5], 0x0
	s_waitcnt lgkmcnt(0)
	s_cmp_ge_i32 s12, s24
	s_cbranch_scc1 .LBB1373_2
; %bb.5:
	s_clause 0x1
	s_load_b128 s[20:23], s[0:1], 0x8
	s_load_b64 s[4:5], s[0:1], 0x20
	s_and_not1_b32 vcc_lo, exec_lo, s8
	s_cbranch_vccnz .LBB1373_7
; %bb.6:
	s_add_u32 s2, s2, s6
	s_addc_u32 s3, s3, s7
	s_load_b32 s3, s[2:3], 0x0
	s_branch .LBB1373_8
.LBB1373_7:
	s_mov_b32 s3, s30
.LBB1373_8:
	s_load_b128 s[16:19], s[0:1], 0x48
	v_and_b32_e32 v66, 15, v0
	v_cmp_gt_u32_e32 vcc_lo, 0x80, v0
	v_lshrrev_b32_e32 v65, 5, v0
	v_and_b32_e32 v67, 31, v0
	v_and_b32_e32 v74, 1, v0
	v_lshlrev_b32_e32 v1, 3, v66
	v_cmp_gt_u32_e64 s2, 8, v66
	v_bfe_u32 v75, v0, 4, 1
	s_lshl_b32 s31, s15, 3
	s_delay_alu instid0(VALU_DEP_3) | instskip(NEXT) | instid1(VALU_DEP_3)
	v_lshlrev_b32_e32 v73, 1, v1
	s_and_b32 s7, vcc_lo, s2
	s_delay_alu instid0(SALU_CYCLE_1)
	s_and_saveexec_b32 s6, s7
	s_cbranch_execz .LBB1373_10
; %bb.9:
	v_lshl_or_b32 v5, v65, 1, v75
	s_load_b64 s[8:9], s[0:1], 0x0
	s_waitcnt lgkmcnt(0)
	s_mul_hi_i32 s11, s3, s16
	s_mul_i32 s10, s3, s16
	v_lshlrev_b32_e32 v6, 10, v66
	v_or_b32_e32 v1, s31, v5
	s_lshl_b64 s[10:11], s[10:11], 1
	v_lshlrev_b32_e32 v5, 6, v5
	v_lshlrev_b32_e32 v7, 10, v74
	v_and_b32_e32 v6, 0x3800, v6
	v_lshlrev_b32_e32 v1, 6, v1
	s_delay_alu instid0(VALU_DEP_2) | instskip(NEXT) | instid1(VALU_DEP_2)
	v_or3_b32 v5, v6, v7, v5
	v_ashrrev_i32_e32 v2, 31, v1
	s_delay_alu instid0(VALU_DEP_1) | instskip(SKIP_2) | instid1(VALU_DEP_1)
	v_lshlrev_b64 v[1:2], 1, v[1:2]
	s_add_u32 s3, s8, s10
	s_addc_u32 s7, s9, s11
	v_add_co_u32 v1, vcc_lo, s3, v1
	s_delay_alu instid0(VALU_DEP_2) | instskip(NEXT) | instid1(VALU_DEP_2)
	v_add_co_ci_u32_e32 v2, vcc_lo, s7, v2, vcc_lo
	v_add_co_u32 v1, vcc_lo, v1, v73
	s_delay_alu instid0(VALU_DEP_2)
	v_add_co_ci_u32_e32 v2, vcc_lo, 0, v2, vcc_lo
	global_load_b128 v[1:4], v[1:2], off
	s_waitcnt vmcnt(0)
	ds_store_b128 v5, v[1:4]
.LBB1373_10:
	s_or_b32 exec_lo, exec_lo, s6
	v_and_b32_e32 v1, 0xef, v0
	s_waitcnt lgkmcnt(0)
	s_add_i32 s3, s24, 15
	s_clause 0x1
	s_load_b32 s6, s[0:1], 0x38
	s_load_b32 s19, s[0:1], 0x1c
	s_ashr_i32 s7, s3, 31
	v_add_nc_u32_e32 v1, s12, v1
	s_lshr_b32 s7, s7, 28
	s_waitcnt lgkmcnt(0)
	s_add_i32 s3, s3, s7
	s_barrier
	v_ashrrev_i32_e32 v2, 31, v1
	v_or_b32_e32 v3, 16, v1
	s_ashr_i32 s3, s3, 4
	v_cmp_gt_i32_e32 vcc_lo, s24, v1
	s_add_i32 s3, s3, -1
	v_lshrrev_b32_e32 v2, 28, v2
	buffer_gl0_inv
	s_mul_i32 s27, s15, s18
	v_add_nc_u32_e32 v4, v1, v2
	s_mul_i32 s6, s30, s6
	s_delay_alu instid0(SALU_CYCLE_1) | instskip(NEXT) | instid1(VALU_DEP_1)
	s_ashr_i32 s7, s6, 31
	v_ashrrev_i32_e32 v4, 4, v4
	v_add_nc_u32_e32 v2, v3, v2
	s_lshl_b64 s[6:7], s[6:7], 2
	s_delay_alu instid0(SALU_CYCLE_1) | instskip(NEXT) | instid1(VALU_DEP_2)
	s_add_u32 s26, s4, s6
	v_cndmask_b32_e32 v1, s3, v4, vcc_lo
	s_delay_alu instid0(VALU_DEP_2)
	v_ashrrev_i32_e32 v2, 4, v2
	v_cmp_gt_i32_e32 vcc_lo, s24, v3
	s_addc_u32 s25, s5, s7
	s_ashr_i32 s28, s27, 31
	s_add_u32 s13, s20, s27
	s_addc_u32 s15, s21, s28
	v_cndmask_b32_e32 v3, s3, v2, vcc_lo
	v_ashrrev_i32_e32 v2, 31, v1
	s_lshl_b32 s4, s14, 4
	s_delay_alu instid0(SALU_CYCLE_1) | instskip(NEXT) | instid1(VALU_DEP_2)
	s_ashr_i32 s5, s4, 31
	v_ashrrev_i32_e32 v4, 31, v3
	s_delay_alu instid0(VALU_DEP_2) | instskip(SKIP_1) | instid1(SALU_CYCLE_1)
	v_lshlrev_b64 v[1:2], 2, v[1:2]
	s_lshl_b64 s[4:5], s[4:5], 2
	s_add_u32 s4, s26, s4
	s_delay_alu instid0(VALU_DEP_2) | instskip(SKIP_1) | instid1(VALU_DEP_2)
	v_lshlrev_b64 v[3:4], 2, v[3:4]
	s_addc_u32 s5, s25, s5
	v_add_co_u32 v1, vcc_lo, s26, v1
	v_add_co_ci_u32_e32 v2, vcc_lo, s25, v2, vcc_lo
	s_delay_alu instid0(VALU_DEP_3) | instskip(NEXT) | instid1(VALU_DEP_4)
	v_add_co_u32 v3, vcc_lo, s26, v3
	v_add_co_ci_u32_e32 v4, vcc_lo, s25, v4, vcc_lo
	s_clause 0x1
	global_load_b32 v5, v[1:2], off
	global_load_b32 v7, v[3:4], off
	s_or_b32 s6, s12, 32
	v_lshlrev_b32_e32 v1, 4, v0
	s_ashr_i32 s7, s6, 4
	s_cmp_lt_i32 s6, s24
	s_cselect_b32 s6, s7, s3
	s_delay_alu instid0(VALU_DEP_1) | instskip(SKIP_1) | instid1(SALU_CYCLE_1)
	v_and_b32_e32 v1, 0xf0, v1
	s_ashr_i32 s7, s6, 31
	s_lshl_b64 s[6:7], s[6:7], 2
	s_delay_alu instid0(SALU_CYCLE_1)
	s_add_u32 s6, s26, s6
	s_addc_u32 s7, s25, s7
	s_or_b32 s8, s12, 64
	v_add_co_u32 v1, s13, s13, v1
	s_ashr_i32 s9, s8, 4
	s_cmp_lt_i32 s8, s24
	v_add_co_ci_u32_e64 v2, null, s15, 0, s13
	s_cselect_b32 s8, s9, s3
	s_delay_alu instid0(SALU_CYCLE_1) | instskip(NEXT) | instid1(SALU_CYCLE_1)
	s_ashr_i32 s9, s8, 31
	s_lshl_b64 s[8:9], s[8:9], 2
	s_delay_alu instid0(SALU_CYCLE_1) | instskip(SKIP_2) | instid1(SALU_CYCLE_1)
	s_add_u32 s8, s26, s8
	s_addc_u32 s9, s25, s9
	s_or_b32 s10, s12, 0x60
	s_ashr_i32 s11, s10, 4
	s_cmp_lt_i32 s10, s24
	s_cselect_b32 s10, s11, s3
	s_delay_alu instid0(SALU_CYCLE_1) | instskip(NEXT) | instid1(SALU_CYCLE_1)
	s_ashr_i32 s11, s10, 31
	s_lshl_b64 s[10:11], s[10:11], 2
	s_delay_alu instid0(SALU_CYCLE_1) | instskip(SKIP_2) | instid1(SALU_CYCLE_1)
	s_add_u32 s10, s26, s10
	s_addc_u32 s11, s25, s11
	s_or_b32 s16, s12, 0x80
	s_ashr_i32 s18, s16, 4
	s_cmp_lt_i32 s16, s24
	;; [unrolled: 10-line block ×3, first 2 shown]
	s_cselect_b32 s20, s18, s3
	s_delay_alu instid0(SALU_CYCLE_1) | instskip(NEXT) | instid1(SALU_CYCLE_1)
	s_ashr_i32 s21, s20, 31
	s_lshl_b64 s[20:21], s[20:21], 2
	s_delay_alu instid0(SALU_CYCLE_1)
	s_add_u32 s36, s26, s20
	s_addc_u32 s37, s25, s21
	s_clause 0x5
	s_load_b32 s21, s[4:5], 0x0
	s_load_b32 s13, s[6:7], 0x0
	;; [unrolled: 1-line block ×6, first 2 shown]
	s_or_b32 s7, s12, 0xc0
	s_mov_b32 s4, 0
	s_ashr_i32 s8, s7, 4
	s_cmp_lt_i32 s7, s24
	s_mov_b32 s5, s4
	s_cselect_b32 s10, s8, s3
	s_mov_b32 s6, s4
	s_ashr_i32 s11, s10, 31
	s_mov_b32 s7, s4
	s_lshl_b64 s[34:35], s[10:11], 2
	s_mov_b32 s11, s4
	s_add_u32 s34, s26, s34
	s_addc_u32 s35, s25, s35
	s_or_b32 s29, s12, 0xe0
	s_mov_b32 s8, s4
	s_ashr_i32 s33, s29, 4
	s_mov_b32 s9, s4
	s_mov_b32 s10, s4
	s_cmp_lt_i32 s29, s24
	v_dual_mov_b32 v107, s11 :: v_dual_mov_b32 v100, s4
	v_mov_b32_e32 v106, s10
	v_dual_mov_b32 v104, s8 :: v_dual_mov_b32 v103, s7
	v_dual_mov_b32 v102, s6 :: v_dual_mov_b32 v101, s5
	v_mov_b32_e32 v105, s9
	s_cselect_b32 s4, s33, s3
	s_delay_alu instid0(SALU_CYCLE_1) | instskip(NEXT) | instid1(SALU_CYCLE_1)
	s_ashr_i32 s5, s4, 31
	s_lshl_b64 s[4:5], s[4:5], 2
	s_delay_alu instid0(SALU_CYCLE_1)
	s_add_u32 s4, s26, s4
	s_addc_u32 s5, s25, s5
	s_add_u32 s6, s22, s27
	s_addc_u32 s7, s23, s28
	s_waitcnt vmcnt(1)
	v_mad_i64_i32 v[3:4], null, v5, s17, v[1:2]
	s_waitcnt vmcnt(0)
	v_mad_i64_i32 v[5:6], null, v7, s17, v[1:2]
	s_clause 0x7
	global_load_b128 v[49:52], v[3:4], off
	global_load_b128 v[53:56], v[3:4], off offset:256
	global_load_b128 v[76:79], v[5:6], off
	global_load_b128 v[80:83], v[5:6], off offset:256
	global_load_b128 v[84:87], v[3:4], off offset:512
	;; [unrolled: 1-line block ×5, first 2 shown]
	v_and_b32_e32 v1, 7, v0
	v_lshlrev_b32_e32 v2, 4, v66
	s_load_b32 s3, s[34:35], 0x0
	s_delay_alu instid0(VALU_DEP_2) | instskip(NEXT) | instid1(VALU_DEP_2)
	v_lshlrev_b32_e32 v70, 6, v1
	v_lshl_or_b32 v1, v65, 8, v2
	ds_load_b128 v[108:111], v70
	ds_load_b128 v[112:115], v70 offset:1024
	s_load_b32 s4, s[4:5], 0x0
	v_add_co_u32 v9, s6, s6, v1
	s_delay_alu instid0(VALU_DEP_1) | instskip(SKIP_1) | instid1(VALU_DEP_1)
	v_add_co_ci_u32_e64 v10, null, s7, 0, s6
	s_waitcnt lgkmcnt(0)
	v_mad_i64_i32 v[1:2], null, s21, s17, v[9:10]
	v_mad_i64_i32 v[3:4], null, s13, s17, v[9:10]
	;; [unrolled: 1-line block ×7, first 2 shown]
	s_clause 0x9
	global_load_b128 v[57:60], v[1:2], off
	global_load_b128 v[61:64], v[1:2], off offset:16
	global_load_b128 v[41:44], v[3:4], off
	global_load_b128 v[45:48], v[3:4], off offset:16
	;; [unrolled: 2-line block ×5, first 2 shown]
	v_mad_i64_i32 v[68:69], null, s4, s17, v[9:10]
	s_clause 0x3
	global_load_b128 v[9:12], v[13:14], off
	global_load_b128 v[13:16], v[13:14], off offset:16
	global_load_b128 v[17:20], v[21:22], off
	global_load_b128 v[21:24], v[21:22], off offset:16
	s_waitcnt vmcnt(20)
	v_wmma_f32_16x16x16_bf16 v[116:123], v[49:56], v[108:115], v[100:107]
	s_clause 0x1
	global_load_b128 v[49:52], v[68:69], off
	global_load_b128 v[53:56], v[68:69], off offset:16
	v_and_b32_e32 v68, 0xe0, v0
	v_mbcnt_lo_u32_b32 v69, -1, 0
	s_delay_alu instid0(VALU_DEP_2)
	v_add_nc_u32_e32 v68, s12, v68
	s_waitcnt vmcnt(20)
	v_wmma_f32_16x16x16_bf16 v[100:107], v[76:83], v[108:115], v[100:107]
	ds_load_b128 v[76:79], v70 offset:2048
	ds_load_b128 v[80:83], v70 offset:3072
	v_xor_b32_e32 v70, 16, v69
	s_waitcnt vmcnt(0) lgkmcnt(0)
	v_or_b32_e32 v68, v68, v75
	s_barrier
	buffer_gl0_inv
	v_cmp_gt_i32_e32 vcc_lo, 32, v70
	v_or_b32_e32 v71, 4, v68
	v_or_b32_e32 v72, 6, v68
	v_cmp_gt_i32_e64 s3, s24, v68
	v_or_b32_e32 v108, 8, v68
	v_or_b32_e32 v109, 10, v68
	v_cmp_gt_i32_e64 s4, s24, v71
	v_cmp_gt_i32_e64 s5, s24, v72
	s_delay_alu instid0(VALU_DEP_4) | instskip(NEXT) | instid1(VALU_DEP_4)
	v_cmp_gt_i32_e64 s6, s24, v108
	v_cmp_gt_i32_e64 s7, s24, v109
	v_wmma_f32_16x16x16_bf16 v[116:123], v[84:91], v[76:83], v[116:123]
	v_cndmask_b32_e32 v69, v69, v70, vcc_lo
	v_or_b32_e32 v70, 2, v68
	v_wmma_f32_16x16x16_bf16 v[100:107], v[92:99], v[76:83], v[100:107]
	v_or_b32_e32 v89, 22, v68
	v_dual_mul_f32 v80, s19, v121 :: v_dual_mul_f32 v81, s19, v120
	v_dual_mul_f32 v92, s19, v117 :: v_dual_mul_f32 v93, s19, v116
	s_delay_alu instid0(VALU_DEP_4)
	v_mul_f32_e32 v96, s19, v105
	v_cmp_gt_i32_e32 vcc_lo, s24, v70
	v_dual_mul_f32 v79, s19, v122 :: v_dual_mul_f32 v82, s19, v119
	v_dual_mul_f32 v83, s19, v118 :: v_dual_mul_f32 v94, s19, v107
	v_cndmask_b32_e64 v93, 0xff7fffff, v93, s3
	v_cndmask_b32_e32 v92, 0xff7fffff, v92, vcc_lo
	v_or_b32_e32 v84, 12, v68
	v_or_b32_e32 v85, 14, v68
	v_cndmask_b32_e64 v71, 0xff7fffff, v83, s4
	v_cndmask_b32_e64 v72, 0xff7fffff, v82, s5
	v_cmp_gt_i32_e64 s13, s24, v89
	v_lshlrev_b32_e32 v89, 2, v69
	v_max3_f32 v82, v93, 0xff7fffff, v92
	v_or_b32_e32 v86, 16, v68
	v_or_b32_e32 v87, 18, v68
	v_mul_f32_e32 v78, s19, v123
	v_cndmask_b32_e64 v81, 0xff7fffff, v81, s6
	v_cndmask_b32_e64 v80, 0xff7fffff, v80, s7
	v_max3_f32 v71, v82, v71, v72
	v_cmp_gt_i32_e64 s8, s24, v84
	v_cmp_gt_i32_e64 s9, s24, v85
	v_or_b32_e32 v88, 20, v68
	v_or_b32_e32 v90, 24, v68
	;; [unrolled: 1-line block ×5, first 2 shown]
	v_dual_mul_f32 v97, s19, v104 :: v_dual_mul_f32 v70, s19, v101
	v_dual_mul_f32 v99, s19, v102 :: v_dual_mul_f32 v68, s19, v100
	v_cndmask_b32_e64 v72, 0xff7fffff, v79, s8
	v_cndmask_b32_e64 v78, 0xff7fffff, v78, s9
	v_max3_f32 v71, v71, v81, v80
	v_cmp_gt_i32_e64 s10, s24, v86
	v_cmp_gt_i32_e64 s11, s24, v87
	v_dual_mul_f32 v95, s19, v106 :: v_dual_mul_f32 v98, s19, v103
	s_delay_alu instid0(VALU_DEP_4) | instskip(NEXT) | instid1(VALU_DEP_4)
	v_max3_f32 v71, v71, v72, v78
	v_cndmask_b32_e64 v68, 0xff7fffff, v68, s10
	s_delay_alu instid0(VALU_DEP_4)
	v_cndmask_b32_e64 v70, 0xff7fffff, v70, s11
	v_cmp_gt_i32_e64 s12, s24, v88
	v_cndmask_b32_e64 v78, 0xff7fffff, v98, s13
	v_cmp_gt_i32_e64 s15, s24, v90
	v_cmp_gt_i32_e64 s16, s24, v91
	v_max3_f32 v68, v71, v68, v70
	v_cndmask_b32_e64 v72, 0xff7fffff, v99, s12
	v_cmp_gt_i32_e64 s17, s24, v76
	v_cndmask_b32_e64 v70, 0xff7fffff, v97, s15
	v_cndmask_b32_e64 v71, 0xff7fffff, v96, s16
	v_cmp_gt_i32_e64 s18, s24, v77
	v_max3_f32 v68, v68, v72, v78
	v_cndmask_b32_e64 v72, 0xff7fffff, v95, s17
	s_delay_alu instid0(VALU_DEP_3) | instskip(NEXT) | instid1(VALU_DEP_3)
	v_cndmask_b32_e64 v76, 0xff7fffff, v94, s18
	v_max3_f32 v68, v68, v70, v71
	s_delay_alu instid0(VALU_DEP_1) | instskip(SKIP_3) | instid1(VALU_DEP_1)
	v_max3_f32 v68, v68, v72, v76
	ds_bpermute_b32 v69, v89, v68
	s_waitcnt lgkmcnt(0)
	v_max_f32_e32 v69, v69, v69
	v_max_f32_e32 v68, v68, v69
	s_delay_alu instid0(VALU_DEP_1) | instskip(NEXT) | instid1(VALU_DEP_1)
	v_fma_f32 v71, s19, v118, -v68
	v_mul_f32_e32 v71, 0x3fb8aa3b, v71
	v_fma_f32 v70, s19, v117, -v68
	v_fma_f32 v69, s19, v116, -v68
	v_fma_f32 v76, s19, v120, -v68
	v_fma_f32 v72, s19, v119, -v68
	v_fma_f32 v78, s19, v122, -v68
	s_delay_alu instid0(VALU_DEP_4) | instskip(SKIP_1) | instid1(VALU_DEP_3)
	v_dual_mul_f32 v70, 0x3fb8aa3b, v70 :: v_dual_mul_f32 v69, 0x3fb8aa3b, v69
	v_exp_f32_e32 v71, v71
	v_mul_f32_e32 v72, 0x3fb8aa3b, v72
	v_fma_f32 v81, s19, v105, -v68
	s_delay_alu instid0(VALU_DEP_3)
	v_exp_f32_e32 v70, v70
	v_mul_f32_e32 v77, 0x3fb8aa3b, v76
	v_exp_f32_e32 v69, v69
	v_exp_f32_e32 v72, v72
	v_mul_f32_e32 v81, 0x3fb8aa3b, v81
	v_cndmask_b32_e64 v83, 0, v71, s4
	v_fma_f32 v71, s19, v123, -v68
	s_delay_alu instid0(VALU_DEP_3) | instskip(SKIP_4) | instid1(TRANS32_DEP_3)
	v_exp_f32_e32 v81, v81
	v_cndmask_b32_e32 v76, 0, v70, vcc_lo
	v_exp_f32_e32 v77, v77
	v_cndmask_b32_e64 v80, 0, v69, s3
	v_fma_f32 v69, s19, v121, -v68
	v_cndmask_b32_e64 v85, 0, v72, s5
	v_mul_f32_e32 v71, 0x3fb8aa3b, v71
	v_fma_f32 v72, s19, v100, -v68
	s_delay_alu instid0(VALU_DEP_4) | instskip(SKIP_1) | instid1(VALU_DEP_3)
	v_dual_add_f32 v70, 0, v80 :: v_dual_mul_f32 v69, 0x3fb8aa3b, v69
	s_mov_b32 s3, exec_lo
	v_exp_f32_e32 v71, v71
	s_delay_alu instid0(TRANS32_DEP_2) | instskip(SKIP_4) | instid1(VALU_DEP_3)
	v_cndmask_b32_e64 v86, 0, v77, s6
	v_fma_f32 v77, s19, v101, -v68
	v_mul_f32_e32 v78, 0x3fb8aa3b, v78
	v_add_f32_e32 v70, v70, v76
	v_exp_f32_e32 v69, v69
	v_mul_f32_e32 v77, 0x3fb8aa3b, v77
	s_delay_alu instid0(VALU_DEP_3) | instskip(NEXT) | instid1(TRANS32_DEP_3)
	v_exp_f32_e32 v78, v78
	v_cndmask_b32_e64 v88, 0, v71, s9
	v_fma_f32 v71, s19, v104, -v68
	s_delay_alu instid0(VALU_DEP_3) | instskip(NEXT) | instid1(TRANS32_DEP_3)
	v_exp_f32_e32 v77, v77
	v_cndmask_b32_e64 v87, 0, v69, s7
	s_delay_alu instid0(VALU_DEP_2)
	v_mul_f32_e32 v71, 0x3fb8aa3b, v71
	s_waitcnt_depctr 0xfff
	v_cndmask_b32_e64 v84, 0, v78, s8
	v_add_f32_e32 v70, v70, v83
	v_fma_f32 v78, s19, v103, -v68
	v_exp_f32_e32 v82, v71
	s_delay_alu instid0(VALU_DEP_2) | instskip(SKIP_1) | instid1(VALU_DEP_3)
	v_add_f32_e32 v70, v70, v85
	v_mul_f32_e32 v72, 0x3fb8aa3b, v72
	v_mul_f32_e32 v78, 0x3fb8aa3b, v78
	s_delay_alu instid0(VALU_DEP_3) | instskip(SKIP_1) | instid1(VALU_DEP_4)
	v_add_f32_e32 v69, v70, v86
	v_fma_f32 v70, s19, v102, -v68
	v_exp_f32_e32 v72, v72
	s_delay_alu instid0(VALU_DEP_3) | instskip(NEXT) | instid1(VALU_DEP_1)
	v_exp_f32_e32 v78, v78
	v_dual_add_f32 v69, v69, v87 :: v_dual_mul_f32 v70, 0x3fb8aa3b, v70
	s_delay_alu instid0(VALU_DEP_1) | instskip(NEXT) | instid1(VALU_DEP_2)
	v_add_f32_e32 v69, v69, v84
	v_exp_f32_e32 v79, v70
	s_delay_alu instid0(TRANS32_DEP_3) | instskip(NEXT) | instid1(VALU_DEP_2)
	v_cndmask_b32_e64 v70, 0, v72, s10
	v_add_f32_e32 v72, v69, v88
	v_cndmask_b32_e64 v69, 0, v77, s11
	v_fma_f32 v77, s19, v106, -v68
	s_waitcnt_depctr 0xfff
	v_cndmask_b32_e64 v71, 0, v79, s12
	v_dual_mul_f32 v77, 0x3fb8aa3b, v77 :: v_dual_add_f32 v72, v72, v70
	s_delay_alu instid0(VALU_DEP_1) | instskip(NEXT) | instid1(VALU_DEP_1)
	v_exp_f32_e32 v90, v77
	v_add_f32_e32 v79, v72, v69
	v_cndmask_b32_e64 v72, 0, v78, s13
	v_cndmask_b32_e64 v77, 0, v82, s15
	s_delay_alu instid0(VALU_DEP_3) | instskip(SKIP_1) | instid1(VALU_DEP_1)
	v_add_f32_e32 v78, v79, v71
	v_fma_f32 v79, s19, v107, -v68
	v_dual_add_f32 v82, v78, v72 :: v_dual_mul_f32 v79, 0x3fb8aa3b, v79
	v_cndmask_b32_e64 v78, 0, v81, s16
	s_delay_alu instid0(VALU_DEP_2) | instskip(NEXT) | instid1(VALU_DEP_3)
	v_add_f32_e32 v81, v82, v77
	v_exp_f32_e32 v82, v79
	v_cndmask_b32_e64 v79, 0, v90, s17
	s_delay_alu instid0(VALU_DEP_2) | instskip(NEXT) | instid1(VALU_DEP_1)
	v_add_f32_e32 v81, v81, v78
	v_add_f32_e32 v90, v81, v79
	s_waitcnt_depctr 0xfff
	v_cndmask_b32_e64 v81, 0, v82, s18
	s_delay_alu instid0(VALU_DEP_1)
	v_add_f32_e32 v82, v90, v81
	ds_bpermute_b32 v89, v89, v82
	v_cmpx_gt_u32_e32 16, v67
	s_cbranch_execz .LBB1373_12
; %bb.11:
	v_mul_u32_u24_e32 v67, 0x44, v65
	s_delay_alu instid0(VALU_DEP_1) | instskip(SKIP_1) | instid1(VALU_DEP_1)
	v_lshl_add_u32 v67, v66, 2, v67
	s_waitcnt lgkmcnt(0)
	v_dual_add_f32 v82, v82, v89 :: v_dual_add_nc_u32 v67, 0x4000, v67
	ds_store_2addr_b32 v67, v68, v82 offset1:136
.LBB1373_12:
	s_or_b32 exec_lo, exec_lo, s3
	v_lshlrev_b32_e32 v67, 2, v66
	s_waitcnt lgkmcnt(0)
	s_barrier
	buffer_gl0_inv
	v_cmp_eq_u32_e32 vcc_lo, 1, v65
	v_add_nc_u32_e32 v82, 0x4000, v67
	v_cmp_eq_u32_e64 s3, 2, v65
	v_cmp_eq_u32_e64 s5, 7, v65
	ds_load_2addr_b32 v[89:90], v82 offset1:17
	ds_load_2addr_b32 v[91:92], v82 offset0:34 offset1:51
	ds_load_2addr_b32 v[93:94], v82 offset0:68 offset1:85
	;; [unrolled: 1-line block ×4, first 2 shown]
	s_waitcnt lgkmcnt(4)
	v_max3_f32 v67, v89, 0xff7fffff, v90
	s_waitcnt lgkmcnt(3)
	s_delay_alu instid0(VALU_DEP_1) | instskip(SKIP_1) | instid1(VALU_DEP_1)
	v_max3_f32 v67, v67, v91, v92
	s_waitcnt lgkmcnt(2)
	v_max3_f32 v67, v67, v93, v94
	s_waitcnt lgkmcnt(1)
	s_delay_alu instid0(VALU_DEP_1) | instskip(NEXT) | instid1(VALU_DEP_1)
	v_max3_f32 v67, v67, v95, v96
	v_sub_f32_e32 v93, v93, v67
	s_delay_alu instid0(VALU_DEP_1) | instskip(NEXT) | instid1(VALU_DEP_1)
	v_dual_sub_f32 v68, v89, v67 :: v_dual_mul_f32 v103, 0x3fb8aa3b, v93
	v_mul_f32_e32 v68, 0x3fb8aa3b, v68
	s_delay_alu instid0(VALU_DEP_1)
	v_exp_f32_e32 v100, v68
	v_sub_f32_e32 v68, v92, v67
	v_sub_f32_e32 v99, v90, v67
	ds_load_2addr_b32 v[89:90], v82 offset0:170 offset1:187
	v_dual_mul_f32 v102, 0x3fb8aa3b, v68 :: v_dual_mul_f32 v99, 0x3fb8aa3b, v99
	s_waitcnt lgkmcnt(1)
	v_fma_f32 v68, v100, v97, 0
	s_delay_alu instid0(VALU_DEP_2) | instskip(NEXT) | instid1(VALU_DEP_2)
	v_exp_f32_e32 v102, v102
	v_exp_f32_e32 v99, v99
	s_waitcnt_depctr 0xfff
	v_fmac_f32_e32 v68, v99, v98
	v_sub_f32_e32 v91, v91, v67
	s_delay_alu instid0(VALU_DEP_1)
	v_mul_f32_e32 v101, 0x3fb8aa3b, v91
	ds_load_2addr_b32 v[91:92], v82 offset0:204 offset1:221
	v_sub_f32_e32 v97, v94, v67
	ds_load_2addr_b32 v[93:94], v82 offset0:238 offset1:255
	s_waitcnt lgkmcnt(0)
	v_exp_f32_e32 v101, v101
	s_barrier
	buffer_gl0_inv
	v_dual_fmac_f32 v68, v101, v89 :: v_dual_sub_f32 v89, v96, v67
	v_dual_sub_f32 v82, v95, v67 :: v_dual_mul_f32 v95, 0x3fb8aa3b, v97
	v_exp_f32_e32 v97, v103
	s_delay_alu instid0(VALU_DEP_2) | instskip(NEXT) | instid1(VALU_DEP_2)
	v_dual_fmac_f32 v68, v102, v90 :: v_dual_mul_f32 v89, 0x3fb8aa3b, v89
	v_mul_f32_e32 v82, 0x3fb8aa3b, v82
	s_delay_alu instid0(VALU_DEP_3) | instskip(NEXT) | instid1(VALU_DEP_2)
	v_exp_f32_e32 v95, v95
	v_exp_f32_e32 v89, v89
	s_delay_alu instid0(VALU_DEP_1)
	v_exp_f32_e32 v82, v82
	v_fmac_f32_e32 v68, v97, v91
	s_delay_alu instid0(TRANS32_DEP_3) | instid1(VALU_DEP_1)
	v_fmac_f32_e32 v68, v95, v92
	s_waitcnt_depctr 0xfff
	v_fmac_f32_e32 v68, v82, v93
	s_delay_alu instid0(VALU_DEP_1) | instskip(NEXT) | instid1(VALU_DEP_1)
	v_fmac_f32_e32 v68, v89, v94
	v_add_f32_e32 v90, 0x358637bd, v68
	s_delay_alu instid0(VALU_DEP_1) | instskip(NEXT) | instid1(VALU_DEP_1)
	v_div_scale_f32 v91, null, v90, v90, 1.0
	v_rcp_f32_e32 v92, v91
	s_waitcnt_depctr 0xfff
	v_fma_f32 v93, -v91, v92, 1.0
	s_delay_alu instid0(VALU_DEP_1) | instskip(SKIP_1) | instid1(VALU_DEP_2)
	v_dual_fmac_f32 v92, v93, v92 :: v_dual_cndmask_b32 v93, v100, v99
	v_cmp_eq_u32_e32 vcc_lo, 3, v65
	v_cndmask_b32_e64 v93, v93, v101, s3
	v_cmp_eq_u32_e64 s3, 4, v65
	s_delay_alu instid0(VALU_DEP_2) | instskip(SKIP_1) | instid1(VALU_DEP_2)
	v_cndmask_b32_e32 v93, v93, v102, vcc_lo
	v_cmp_eq_u32_e32 vcc_lo, 5, v65
	v_cndmask_b32_e64 v93, v93, v97, s3
	v_cmp_eq_u32_e64 s3, 6, v65
	s_delay_alu instid0(VALU_DEP_2) | instskip(SKIP_1) | instid1(VALU_DEP_1)
	v_cndmask_b32_e32 v93, v93, v95, vcc_lo
	v_div_scale_f32 v94, s4, 1.0, v90, 1.0
	s_mov_b32 vcc_lo, s4
	s_delay_alu instid0(VALU_DEP_2) | instskip(NEXT) | instid1(VALU_DEP_2)
	v_cndmask_b32_e64 v82, v93, v82, s3
	v_mul_f32_e32 v96, v94, v92
	s_mov_b32 s3, exec_lo
	s_delay_alu instid0(VALU_DEP_2) | instskip(NEXT) | instid1(VALU_DEP_2)
	v_cndmask_b32_e64 v82, v82, v89, s5
	v_fma_f32 v98, -v91, v96, v94
	s_delay_alu instid0(VALU_DEP_1) | instskip(NEXT) | instid1(VALU_DEP_1)
	v_fmac_f32_e32 v96, v98, v92
	v_fma_f32 v91, -v91, v96, v94
	s_delay_alu instid0(VALU_DEP_1) | instskip(NEXT) | instid1(VALU_DEP_1)
	v_div_fmas_f32 v91, v91, v92, v96
	v_div_fixup_f32 v90, v91, v90, 1.0
	s_delay_alu instid0(VALU_DEP_1) | instskip(NEXT) | instid1(VALU_DEP_1)
	v_mul_f32_e32 v82, v82, v90
	v_mul_f32_e32 v87, v82, v87
	;; [unrolled: 1-line block ×7, first 2 shown]
	v_dual_mul_f32 v86, v82, v83 :: v_dual_and_b32 v91, 0x7f800000, v90
	v_mul_f32_e32 v85, v82, v76
                                        ; implicit-def: $vgpr76
	s_delay_alu instid0(VALU_DEP_2)
	v_cmpx_ne_u32_e32 0x7f800000, v91
	s_xor_b32 s3, exec_lo, s3
; %bb.13:
	v_bfe_u32 v76, v90, 16, 1
	s_delay_alu instid0(VALU_DEP_1)
	v_add3_u32 v76, v90, v76, 0x7fff
                                        ; implicit-def: $vgpr90
; %bb.14:
	s_and_not1_saveexec_b32 s3, s3
; %bb.15:
	v_and_b32_e32 v76, 0xffff, v90
	v_or_b32_e32 v83, 0x10000, v90
	s_delay_alu instid0(VALU_DEP_2) | instskip(NEXT) | instid1(VALU_DEP_2)
	v_cmp_eq_u32_e32 vcc_lo, 0, v76
	v_cndmask_b32_e32 v76, v83, v90, vcc_lo
; %bb.16:
	s_or_b32 exec_lo, exec_lo, s3
	v_and_b32_e32 v83, 0x7f800000, v85
	s_delay_alu instid0(VALU_DEP_1) | instskip(SKIP_1) | instid1(SALU_CYCLE_1)
	v_cmp_ne_u32_e32 vcc_lo, 0x7f800000, v83
                                        ; implicit-def: $vgpr83
	s_and_saveexec_b32 s3, vcc_lo
	s_xor_b32 s3, exec_lo, s3
; %bb.17:
	v_bfe_u32 v83, v85, 16, 1
	s_delay_alu instid0(VALU_DEP_1)
	v_add3_u32 v83, v85, v83, 0x7fff
                                        ; implicit-def: $vgpr85
; %bb.18:
	s_and_not1_saveexec_b32 s3, s3
; %bb.19:
	v_and_b32_e32 v83, 0xffff, v85
	v_or_b32_e32 v90, 0x10000, v85
	s_delay_alu instid0(VALU_DEP_2) | instskip(NEXT) | instid1(VALU_DEP_2)
	v_cmp_eq_u32_e32 vcc_lo, 0, v83
	v_cndmask_b32_e32 v83, v90, v85, vcc_lo
; %bb.20:
	s_or_b32 exec_lo, exec_lo, s3
	v_and_b32_e32 v85, 0x7f800000, v86
	s_delay_alu instid0(VALU_DEP_1) | instskip(SKIP_1) | instid1(SALU_CYCLE_1)
	v_cmp_ne_u32_e32 vcc_lo, 0x7f800000, v85
                                        ; implicit-def: $vgpr85
	s_and_saveexec_b32 s3, vcc_lo
	s_xor_b32 s3, exec_lo, s3
; %bb.21:
	v_bfe_u32 v85, v86, 16, 1
	s_delay_alu instid0(VALU_DEP_1)
	v_add3_u32 v85, v86, v85, 0x7fff
                                        ; implicit-def: $vgpr86
; %bb.22:
	s_and_not1_saveexec_b32 s3, s3
; %bb.23:
	v_and_b32_e32 v85, 0xffff, v86
	v_or_b32_e32 v90, 0x10000, v86
	s_delay_alu instid0(VALU_DEP_2) | instskip(NEXT) | instid1(VALU_DEP_2)
	v_cmp_eq_u32_e32 vcc_lo, 0, v85
	v_cndmask_b32_e32 v85, v90, v86, vcc_lo
; %bb.24:
	s_or_b32 exec_lo, exec_lo, s3
	v_and_b32_e32 v86, 0x7f800000, v89
	s_delay_alu instid0(VALU_DEP_1) | instskip(SKIP_1) | instid1(SALU_CYCLE_1)
	v_cmp_ne_u32_e32 vcc_lo, 0x7f800000, v86
                                        ; implicit-def: $vgpr86
	s_and_saveexec_b32 s3, vcc_lo
	s_xor_b32 s3, exec_lo, s3
; %bb.25:
	v_bfe_u32 v86, v89, 16, 1
	s_delay_alu instid0(VALU_DEP_1)
	v_add3_u32 v86, v89, v86, 0x7fff
                                        ; implicit-def: $vgpr89
; %bb.26:
	s_and_not1_saveexec_b32 s3, s3
; %bb.27:
	v_and_b32_e32 v86, 0xffff, v89
	v_or_b32_e32 v90, 0x10000, v89
	s_delay_alu instid0(VALU_DEP_2) | instskip(NEXT) | instid1(VALU_DEP_2)
	v_cmp_eq_u32_e32 vcc_lo, 0, v86
	v_cndmask_b32_e32 v86, v90, v89, vcc_lo
; %bb.28:
	s_or_b32 exec_lo, exec_lo, s3
	v_and_b32_e32 v89, 0x7f800000, v88
	s_delay_alu instid0(VALU_DEP_1) | instskip(SKIP_1) | instid1(SALU_CYCLE_1)
	v_cmp_ne_u32_e32 vcc_lo, 0x7f800000, v89
                                        ; implicit-def: $vgpr89
	s_and_saveexec_b32 s3, vcc_lo
	s_xor_b32 s3, exec_lo, s3
; %bb.29:
	v_bfe_u32 v89, v88, 16, 1
	s_delay_alu instid0(VALU_DEP_1)
	v_add3_u32 v89, v88, v89, 0x7fff
                                        ; implicit-def: $vgpr88
; %bb.30:
	s_and_not1_saveexec_b32 s3, s3
; %bb.31:
	v_and_b32_e32 v89, 0xffff, v88
	v_or_b32_e32 v90, 0x10000, v88
	s_delay_alu instid0(VALU_DEP_2) | instskip(NEXT) | instid1(VALU_DEP_2)
	v_cmp_eq_u32_e32 vcc_lo, 0, v89
	v_cndmask_b32_e32 v89, v90, v88, vcc_lo
; %bb.32:
	s_or_b32 exec_lo, exec_lo, s3
	v_and_b32_e32 v88, 0x7f800000, v87
	s_delay_alu instid0(VALU_DEP_1) | instskip(SKIP_1) | instid1(SALU_CYCLE_1)
	v_cmp_ne_u32_e32 vcc_lo, 0x7f800000, v88
                                        ; implicit-def: $vgpr88
	s_and_saveexec_b32 s3, vcc_lo
	s_xor_b32 s3, exec_lo, s3
; %bb.33:
	v_bfe_u32 v88, v87, 16, 1
	s_delay_alu instid0(VALU_DEP_1)
	v_add3_u32 v88, v87, v88, 0x7fff
                                        ; implicit-def: $vgpr87
; %bb.34:
	s_and_not1_saveexec_b32 s3, s3
; %bb.35:
	v_and_b32_e32 v88, 0xffff, v87
	v_or_b32_e32 v90, 0x10000, v87
	s_delay_alu instid0(VALU_DEP_2) | instskip(NEXT) | instid1(VALU_DEP_2)
	v_cmp_eq_u32_e32 vcc_lo, 0, v88
	v_cndmask_b32_e32 v88, v90, v87, vcc_lo
; %bb.36:
	s_or_b32 exec_lo, exec_lo, s3
	v_and_b32_e32 v87, 0x7f800000, v84
	s_delay_alu instid0(VALU_DEP_1) | instskip(SKIP_1) | instid1(SALU_CYCLE_1)
	v_cmp_ne_u32_e32 vcc_lo, 0x7f800000, v87
                                        ; implicit-def: $vgpr87
	s_and_saveexec_b32 s3, vcc_lo
	s_xor_b32 s3, exec_lo, s3
; %bb.37:
	v_bfe_u32 v87, v84, 16, 1
	s_delay_alu instid0(VALU_DEP_1)
	v_add3_u32 v87, v84, v87, 0x7fff
                                        ; implicit-def: $vgpr84
; %bb.38:
	s_and_not1_saveexec_b32 s3, s3
; %bb.39:
	v_and_b32_e32 v87, 0xffff, v84
	v_or_b32_e32 v90, 0x10000, v84
	s_delay_alu instid0(VALU_DEP_2) | instskip(NEXT) | instid1(VALU_DEP_2)
	v_cmp_eq_u32_e32 vcc_lo, 0, v87
	v_cndmask_b32_e32 v87, v90, v84, vcc_lo
; %bb.40:
	s_or_b32 exec_lo, exec_lo, s3
	v_and_b32_e32 v84, 0x7f800000, v80
	s_delay_alu instid0(VALU_DEP_1) | instskip(SKIP_1) | instid1(SALU_CYCLE_1)
	v_cmp_ne_u32_e32 vcc_lo, 0x7f800000, v84
                                        ; implicit-def: $vgpr84
	s_and_saveexec_b32 s3, vcc_lo
	s_xor_b32 s3, exec_lo, s3
; %bb.41:
	v_bfe_u32 v84, v80, 16, 1
	s_delay_alu instid0(VALU_DEP_1)
	v_add3_u32 v84, v80, v84, 0x7fff
                                        ; implicit-def: $vgpr80
; %bb.42:
	s_and_not1_saveexec_b32 s3, s3
; %bb.43:
	v_and_b32_e32 v84, 0xffff, v80
	v_or_b32_e32 v90, 0x10000, v80
	s_delay_alu instid0(VALU_DEP_2) | instskip(NEXT) | instid1(VALU_DEP_2)
	v_cmp_eq_u32_e32 vcc_lo, 0, v84
	v_cndmask_b32_e32 v84, v90, v80, vcc_lo
; %bb.44:
	s_or_b32 exec_lo, exec_lo, s3
	s_load_b64 s[34:35], s[0:1], 0x94
	v_lshlrev_b32_e32 v91, 4, v75
	s_delay_alu instid0(VALU_DEP_2)
	v_perm_b32 v90, v84, v87, 0x7060302
	v_dual_mul_f32 v77, v82, v77 :: v_dual_lshlrev_b32 v80, 6, v66
	v_lshlrev_b32_e32 v66, 11, v65
	v_perm_b32 v87, v83, v76, 0x7060302
	v_mul_f32_e32 v83, v82, v70
	v_perm_b32 v89, v88, v89, 0x7060302
	v_perm_b32 v88, v86, v85, 0x7060302
	v_or3_b32 v76, v91, v66, v80
	v_mul_f32_e32 v66, v82, v81
	v_mul_f32_e32 v70, v82, v79
	;; [unrolled: 1-line block ×3, first 2 shown]
	v_dual_mul_f32 v81, v82, v72 :: v_dual_and_b32 v84, 0x7f800000, v83
	v_mul_f32_e32 v79, v82, v71
	v_mul_f32_e32 v72, v82, v69
	s_mov_b32 s3, exec_lo
	ds_store_b128 v76, v[87:90]
                                        ; implicit-def: $vgpr69
	v_cmpx_ne_u32_e32 0x7f800000, v84
	s_xor_b32 s3, exec_lo, s3
; %bb.45:
	v_bfe_u32 v69, v83, 16, 1
	s_delay_alu instid0(VALU_DEP_1)
	v_add3_u32 v69, v83, v69, 0x7fff
                                        ; implicit-def: $vgpr83
; %bb.46:
	s_and_not1_saveexec_b32 s3, s3
; %bb.47:
	v_and_b32_e32 v69, 0xffff, v83
	v_or_b32_e32 v71, 0x10000, v83
	s_delay_alu instid0(VALU_DEP_2) | instskip(NEXT) | instid1(VALU_DEP_2)
	v_cmp_eq_u32_e32 vcc_lo, 0, v69
	v_cndmask_b32_e32 v69, v71, v83, vcc_lo
; %bb.48:
	s_or_b32 exec_lo, exec_lo, s3
	v_and_b32_e32 v71, 0x7f800000, v72
	s_delay_alu instid0(VALU_DEP_1) | instskip(SKIP_1) | instid1(SALU_CYCLE_1)
	v_cmp_ne_u32_e32 vcc_lo, 0x7f800000, v71
                                        ; implicit-def: $vgpr71
	s_and_saveexec_b32 s3, vcc_lo
	s_xor_b32 s3, exec_lo, s3
; %bb.49:
	v_bfe_u32 v71, v72, 16, 1
	s_delay_alu instid0(VALU_DEP_1)
	v_add3_u32 v71, v72, v71, 0x7fff
                                        ; implicit-def: $vgpr72
; %bb.50:
	s_and_not1_saveexec_b32 s3, s3
; %bb.51:
	v_and_b32_e32 v71, 0xffff, v72
	v_or_b32_e32 v82, 0x10000, v72
	s_delay_alu instid0(VALU_DEP_2) | instskip(NEXT) | instid1(VALU_DEP_2)
	v_cmp_eq_u32_e32 vcc_lo, 0, v71
	v_cndmask_b32_e32 v71, v82, v72, vcc_lo
; %bb.52:
	s_or_b32 exec_lo, exec_lo, s3
	v_and_b32_e32 v72, 0x7f800000, v79
	s_delay_alu instid0(VALU_DEP_1) | instskip(SKIP_1) | instid1(SALU_CYCLE_1)
	v_cmp_ne_u32_e32 vcc_lo, 0x7f800000, v72
                                        ; implicit-def: $vgpr72
	s_and_saveexec_b32 s3, vcc_lo
	s_xor_b32 s3, exec_lo, s3
; %bb.53:
	v_bfe_u32 v72, v79, 16, 1
	s_delay_alu instid0(VALU_DEP_1)
	v_add3_u32 v72, v79, v72, 0x7fff
                                        ; implicit-def: $vgpr79
; %bb.54:
	s_and_not1_saveexec_b32 s3, s3
; %bb.55:
	v_and_b32_e32 v72, 0xffff, v79
	v_or_b32_e32 v82, 0x10000, v79
	s_delay_alu instid0(VALU_DEP_2) | instskip(NEXT) | instid1(VALU_DEP_2)
	v_cmp_eq_u32_e32 vcc_lo, 0, v72
	v_cndmask_b32_e32 v72, v82, v79, vcc_lo
; %bb.56:
	s_or_b32 exec_lo, exec_lo, s3
	v_and_b32_e32 v79, 0x7f800000, v81
	s_delay_alu instid0(VALU_DEP_1) | instskip(SKIP_1) | instid1(SALU_CYCLE_1)
	v_cmp_ne_u32_e32 vcc_lo, 0x7f800000, v79
                                        ; implicit-def: $vgpr79
	s_and_saveexec_b32 s3, vcc_lo
	s_xor_b32 s3, exec_lo, s3
; %bb.57:
	v_bfe_u32 v79, v81, 16, 1
	s_delay_alu instid0(VALU_DEP_1)
	v_add3_u32 v79, v81, v79, 0x7fff
                                        ; implicit-def: $vgpr81
; %bb.58:
	s_and_not1_saveexec_b32 s3, s3
; %bb.59:
	v_and_b32_e32 v79, 0xffff, v81
	v_or_b32_e32 v82, 0x10000, v81
	s_delay_alu instid0(VALU_DEP_2) | instskip(NEXT) | instid1(VALU_DEP_2)
	v_cmp_eq_u32_e32 vcc_lo, 0, v79
	v_cndmask_b32_e32 v79, v82, v81, vcc_lo
; %bb.60:
	s_or_b32 exec_lo, exec_lo, s3
	v_and_b32_e32 v81, 0x7f800000, v77
	s_delay_alu instid0(VALU_DEP_1) | instskip(SKIP_1) | instid1(SALU_CYCLE_1)
	v_cmp_ne_u32_e32 vcc_lo, 0x7f800000, v81
                                        ; implicit-def: $vgpr81
	s_and_saveexec_b32 s3, vcc_lo
	s_xor_b32 s3, exec_lo, s3
; %bb.61:
	v_bfe_u32 v81, v77, 16, 1
	s_delay_alu instid0(VALU_DEP_1)
	v_add3_u32 v81, v77, v81, 0x7fff
                                        ; implicit-def: $vgpr77
; %bb.62:
	s_and_not1_saveexec_b32 s3, s3
; %bb.63:
	v_and_b32_e32 v81, 0xffff, v77
	v_or_b32_e32 v82, 0x10000, v77
	s_delay_alu instid0(VALU_DEP_2) | instskip(NEXT) | instid1(VALU_DEP_2)
	v_cmp_eq_u32_e32 vcc_lo, 0, v81
	v_cndmask_b32_e32 v81, v82, v77, vcc_lo
; %bb.64:
	s_or_b32 exec_lo, exec_lo, s3
	v_and_b32_e32 v77, 0x7f800000, v78
	s_delay_alu instid0(VALU_DEP_1) | instskip(SKIP_1) | instid1(SALU_CYCLE_1)
	v_cmp_ne_u32_e32 vcc_lo, 0x7f800000, v77
                                        ; implicit-def: $vgpr77
	s_and_saveexec_b32 s3, vcc_lo
	s_xor_b32 s3, exec_lo, s3
; %bb.65:
	v_bfe_u32 v77, v78, 16, 1
	s_delay_alu instid0(VALU_DEP_1)
	v_add3_u32 v77, v78, v77, 0x7fff
                                        ; implicit-def: $vgpr78
; %bb.66:
	s_and_not1_saveexec_b32 s3, s3
; %bb.67:
	v_and_b32_e32 v77, 0xffff, v78
	v_or_b32_e32 v82, 0x10000, v78
	s_delay_alu instid0(VALU_DEP_2) | instskip(NEXT) | instid1(VALU_DEP_2)
	v_cmp_eq_u32_e32 vcc_lo, 0, v77
	v_cndmask_b32_e32 v77, v82, v78, vcc_lo
; %bb.68:
	s_or_b32 exec_lo, exec_lo, s3
	v_and_b32_e32 v78, 0x7f800000, v70
	s_delay_alu instid0(VALU_DEP_1) | instskip(SKIP_1) | instid1(SALU_CYCLE_1)
	v_cmp_ne_u32_e32 vcc_lo, 0x7f800000, v78
                                        ; implicit-def: $vgpr78
	s_and_saveexec_b32 s3, vcc_lo
	s_xor_b32 s3, exec_lo, s3
; %bb.69:
	v_bfe_u32 v78, v70, 16, 1
	s_delay_alu instid0(VALU_DEP_1)
	v_add3_u32 v78, v70, v78, 0x7fff
                                        ; implicit-def: $vgpr70
; %bb.70:
	s_and_not1_saveexec_b32 s3, s3
; %bb.71:
	v_and_b32_e32 v78, 0xffff, v70
	v_or_b32_e32 v82, 0x10000, v70
	s_delay_alu instid0(VALU_DEP_2) | instskip(NEXT) | instid1(VALU_DEP_2)
	v_cmp_eq_u32_e32 vcc_lo, 0, v78
	v_cndmask_b32_e32 v78, v82, v70, vcc_lo
; %bb.72:
	s_or_b32 exec_lo, exec_lo, s3
	v_and_b32_e32 v70, 0x7f800000, v66
	s_delay_alu instid0(VALU_DEP_1) | instskip(SKIP_1) | instid1(SALU_CYCLE_1)
	v_cmp_ne_u32_e32 vcc_lo, 0x7f800000, v70
                                        ; implicit-def: $vgpr70
	s_and_saveexec_b32 s3, vcc_lo
	s_xor_b32 s3, exec_lo, s3
; %bb.73:
	v_bfe_u32 v70, v66, 16, 1
	s_delay_alu instid0(VALU_DEP_1)
	v_add3_u32 v70, v66, v70, 0x7fff
                                        ; implicit-def: $vgpr66
; %bb.74:
	s_and_not1_saveexec_b32 s3, s3
; %bb.75:
	v_and_b32_e32 v70, 0xffff, v66
	v_or_b32_e32 v82, 0x10000, v66
	s_delay_alu instid0(VALU_DEP_2) | instskip(NEXT) | instid1(VALU_DEP_2)
	v_cmp_eq_u32_e32 vcc_lo, 0, v70
	v_cndmask_b32_e32 v70, v82, v66, vcc_lo
; %bb.76:
	s_or_b32 exec_lo, exec_lo, s3
	s_delay_alu instid0(VALU_DEP_1)
	v_perm_b32 v86, v70, v78, 0x7060302
	v_perm_b32 v85, v77, v81, 0x7060302
	;; [unrolled: 1-line block ×4, first 2 shown]
	v_lshl_or_b32 v82, v65, 11, v80
	ds_store_b128 v76, v[83:86] offset:1024
	s_waitcnt lgkmcnt(0)
	s_barrier
	buffer_gl0_inv
	ds_load_b128 v[69:72], v82
	ds_load_b128 v[83:86], v82 offset:16
	s_waitcnt lgkmcnt(1)
	v_lshrrev_b32_e32 v65, 16, v69
	v_lshlrev_b32_e32 v78, 2, v75
	s_waitcnt lgkmcnt(0)
	v_lshrrev_b32_e32 v91, 16, v83
	v_lshrrev_b32_e32 v66, 16, v70
	;; [unrolled: 1-line block ×4, first 2 shown]
	v_cmp_eq_u32_e32 vcc_lo, 1, v78
	v_lshrrev_b32_e32 v98, 16, v85
	v_lshrrev_b32_e32 v96, 16, v72
	;; [unrolled: 1-line block ×3, first 2 shown]
	v_cndmask_b32_e32 v81, v69, v65, vcc_lo
	v_or_b32_e32 v79, 1, v78
	v_cmp_eq_u32_e64 s4, 2, v78
	v_cndmask_b32_e32 v87, v83, v91, vcc_lo
	v_cmp_eq_u32_e64 s7, 3, v78
	v_cmp_eq_u32_e64 s9, 4, v78
	;; [unrolled: 1-line block ×3, first 2 shown]
	v_cndmask_b32_e64 v81, v81, v70, s4
	v_cmp_eq_u32_e64 s6, 2, v79
	v_cndmask_b32_e64 v87, v87, v84, s4
	v_cmp_eq_u32_e64 s8, 3, v79
	v_cndmask_b32_e64 v88, v69, v65, s3
	v_cndmask_b32_e64 v81, v81, v66, s7
	v_or_b32_e32 v77, 2, v78
	v_cndmask_b32_e64 v87, v87, v97, s7
	v_cndmask_b32_e64 v89, v83, v91, s3
	v_cndmask_b32_e64 v88, v88, v70, s6
	v_cndmask_b32_e64 v81, v81, v71, s9
	v_cmp_eq_u32_e64 s10, 5, v78
	v_cndmask_b32_e64 v87, v87, v85, s9
	v_cmp_eq_u32_e64 s11, 4, v79
	v_cndmask_b32_e64 v88, v88, v66, s8
	;; [unrolled: 2-line block ×3, first 2 shown]
	v_cndmask_b32_e64 v81, v81, v95, s10
	v_cmp_eq_u32_e64 s12, 6, v78
	v_cndmask_b32_e64 v88, v88, v71, s11
	v_cndmask_b32_e64 v87, v87, v98, s10
	v_cmp_eq_u32_e64 s13, 5, v79
	v_cndmask_b32_e64 v90, v69, v65, s5
	v_cndmask_b32_e64 v89, v89, v97, s8
	;; [unrolled: 1-line block ×3, first 2 shown]
	v_cmp_eq_u32_e64 s15, 7, v78
	v_cndmask_b32_e64 v88, v88, v95, s13
	v_cndmask_b32_e64 v87, v87, v86, s12
	v_cmp_eq_u32_e64 s16, 6, v79
	v_cmp_eq_u32_e64 s17, 2, v77
	v_cndmask_b32_e64 v89, v89, v85, s11
	v_cndmask_b32_e64 v100, v81, v96, s15
	;; [unrolled: 1-line block ×6, first 2 shown]
	v_cmp_eq_u32_e64 s18, 7, v79
	v_cmp_eq_u32_e64 s19, 3, v77
	;; [unrolled: 1-line block ×4, first 2 shown]
	v_cndmask_b32_e64 v87, v87, v84, s17
	v_cndmask_b32_e64 v102, v88, v96, s18
	v_cndmask_b32_e64 v88, v89, v98, s13
	v_cndmask_b32_e64 v89, v81, v66, s19
	v_or_b32_e32 v81, 3, v78
	v_cndmask_b32_e64 v93, v87, v97, s19
	v_cmp_eq_u32_e64 s24, 6, v77
	v_cndmask_b32_e64 v103, v88, v86, s16
	v_cndmask_b32_e64 v92, v89, v71, s20
	v_cmp_eq_u32_e64 s21, 1, v81
	ds_load_b128 v[87:90], v82 offset:1024
	v_cmp_eq_u32_e64 s23, 2, v81
	v_cmp_eq_u32_e64 s25, 3, v81
	v_cndmask_b32_e64 v104, v92, v95, s22
	v_cndmask_b32_e64 v65, v69, v65, s21
	v_cndmask_b32_e64 v69, v93, v85, s20
	v_cndmask_b32_e64 v83, v83, v91, s21
	ds_load_b128 v[91:94], v82 offset:1040
	v_cmp_eq_u32_e64 s26, 4, v81
	v_cndmask_b32_e64 v65, v65, v70, s23
	v_cmp_eq_u32_e64 s28, 5, v81
	v_cndmask_b32_e64 v70, v83, v84, s23
	;; [unrolled: 2-line block ×3, first 2 shown]
	v_cndmask_b32_e64 v65, v65, v66, s25
	v_cndmask_b32_e64 v66, v104, v72, s24
	;; [unrolled: 1-line block ×3, first 2 shown]
	v_cmp_eq_u32_e64 s27, 7, v77
	v_cndmask_b32_e64 v69, v69, v86, s24
	v_cndmask_b32_e64 v65, v65, v71, s26
	s_waitcnt lgkmcnt(1)
	v_lshrrev_b32_e32 v84, 16, v87
	v_cndmask_b32_e64 v70, v70, v85, s26
	v_cndmask_b32_e64 v83, v103, v99, s18
	;; [unrolled: 1-line block ×4, first 2 shown]
	v_lshrrev_b32_e32 v95, 16, v88
	v_cndmask_b32_e64 v70, v70, v98, s28
	s_waitcnt lgkmcnt(0)
	v_lshrrev_b32_e32 v85, 16, v91
	v_cndmask_b32_e64 v97, v87, v84, s3
	v_cndmask_b32_e64 v65, v65, v72, s29
	;; [unrolled: 1-line block ×4, first 2 shown]
	v_cndmask_b32_e32 v71, v87, v84, vcc_lo
	v_cndmask_b32_e32 v98, v91, v85, vcc_lo
	v_cmp_eq_u32_e32 vcc_lo, 7, v81
	v_cndmask_b32_e64 v72, v97, v88, s6
	v_lshrrev_b32_e32 v97, 16, v92
	v_lshrrev_b32_e32 v103, 16, v90
	v_dual_cndmask_b32 v65, v65, v96 :: v_dual_cndmask_b32 v70, v70, v99
	v_cndmask_b32_e64 v71, v71, v88, s4
	v_cndmask_b32_e64 v86, v98, v92, s4
	;; [unrolled: 1-line block ×3, first 2 shown]
	v_lshrrev_b32_e32 v98, 16, v89
	v_lshrrev_b32_e32 v99, 16, v93
	v_cndmask_b32_e64 v71, v71, v95, s7
	v_cndmask_b32_e64 v86, v86, v97, s7
	;; [unrolled: 1-line block ×3, first 2 shown]
	v_perm_b32 v72, v70, v65, 0x5040100
	v_perm_b32 v70, v83, v102, 0x5040100
	v_cndmask_b32_e64 v71, v71, v89, s9
	v_cndmask_b32_e64 v86, v86, v93, s9
	;; [unrolled: 1-line block ×3, first 2 shown]
	v_lshrrev_b32_e32 v83, 16, v94
	s_delay_alu instid0(VALU_DEP_4) | instskip(NEXT) | instid1(VALU_DEP_4)
	v_cndmask_b32_e64 v71, v71, v98, s10
	v_cndmask_b32_e64 v86, v86, v99, s10
	s_delay_alu instid0(VALU_DEP_4) | instskip(NEXT) | instid1(VALU_DEP_3)
	v_cndmask_b32_e64 v65, v65, v90, s16
	v_cndmask_b32_e64 v96, v71, v90, s12
	v_perm_b32 v71, v69, v66, 0x5040100
	s_delay_alu instid0(VALU_DEP_4)
	v_cndmask_b32_e64 v69, v86, v94, s12
	v_cndmask_b32_e64 v86, v87, v84, s5
	;; [unrolled: 1-line block ×34, first 2 shown]
	v_cndmask_b32_e32 v84, v84, v103, vcc_lo
	v_cndmask_b32_e32 v86, v87, v83, vcc_lo
	v_cndmask_b32_e64 v87, v88, v83, s27
	v_cndmask_b32_e64 v88, v85, v83, s18
	;; [unrolled: 1-line block ×3, first 2 shown]
	v_perm_b32 v69, v101, v100, 0x5040100
	v_perm_b32 v86, v86, v84, 0x5040100
	;; [unrolled: 1-line block ×5, first 2 shown]
	s_lshl_b32 s8, s35, 3
	s_mov_b32 s3, exec_lo
	ds_store_b128 v76, v[69:72]
	ds_store_b128 v76, v[83:86] offset:1024
	v_cmpx_gt_u32_e32 8, v0
	s_cbranch_execz .LBB1373_78
; %bb.77:
	v_or_b32_e32 v65, s31, v0
	s_load_b128 s[4:7], s[0:1], 0x58
	s_delay_alu instid0(VALU_DEP_1) | instskip(NEXT) | instid1(VALU_DEP_1)
	v_mad_u64_u32 v[69:70], null, s8, s30, v[65:66]
	v_mad_u64_u32 v[65:66], null, v69, s34, s[14:15]
	s_delay_alu instid0(VALU_DEP_1) | instskip(NEXT) | instid1(VALU_DEP_1)
	v_ashrrev_i32_e32 v66, 31, v65
	v_lshlrev_b64 v[65:66], 2, v[65:66]
	s_waitcnt lgkmcnt(0)
	s_delay_alu instid0(VALU_DEP_1) | instskip(NEXT) | instid1(VALU_DEP_2)
	v_add_co_u32 v69, vcc_lo, s6, v65
	v_add_co_ci_u32_e32 v70, vcc_lo, s7, v66, vcc_lo
	v_add_co_u32 v65, vcc_lo, s4, v65
	v_add_co_ci_u32_e32 v66, vcc_lo, s5, v66, vcc_lo
	global_store_b32 v[69:70], v67, off
	global_store_b32 v[65:66], v68, off
.LBB1373_78:
	s_or_b32 exec_lo, exec_lo, s3
	s_waitcnt lgkmcnt(0)
	s_waitcnt_vscnt null, 0x0
	s_barrier
	buffer_gl0_inv
	ds_load_b128 v[83:86], v80
	ds_load_b128 v[87:90], v80 offset:16
	ds_load_b128 v[95:98], v80 offset:2064
	;; [unrolled: 1-line block ×3, first 2 shown]
	v_mov_b32_e32 v65, 0
	ds_load_b128 v[103:106], v80 offset:4112
	ds_load_b128 v[99:102], v80 offset:4096
	ds_load_b128 v[111:114], v80 offset:6160
	ds_load_b128 v[107:110], v80 offset:6144
	v_mov_b32_e32 v66, v65
	v_mov_b32_e32 v67, v65
	;; [unrolled: 1-line block ×7, first 2 shown]
	s_waitcnt lgkmcnt(6)
	s_delay_alu instid0(VALU_DEP_1)
	v_wmma_f32_16x16x16_bf16 v[65:72], v[57:64], v[83:90], v[65:72]
	ds_load_b128 v[61:64], v80 offset:8208
	ds_load_b128 v[57:60], v80 offset:8192
	s_waitcnt lgkmcnt(6)
	v_wmma_f32_16x16x16_bf16 v[65:72], v[41:48], v[91:98], v[65:72]
	ds_load_b128 v[45:48], v80 offset:10256
	ds_load_b128 v[41:44], v80 offset:10240
	s_waitcnt lgkmcnt(6)
	;; [unrolled: 4-line block ×4, first 2 shown]
	v_wmma_f32_16x16x16_bf16 v[65:72], v[1:8], v[57:64], v[65:72]
	s_waitcnt lgkmcnt(4)
	s_delay_alu instid0(VALU_DEP_1) | instskip(SKIP_1) | instid1(VALU_DEP_1)
	v_wmma_f32_16x16x16_bf16 v[65:72], v[9:16], v[41:48], v[65:72]
	s_waitcnt lgkmcnt(2)
	v_wmma_f32_16x16x16_bf16 v[65:72], v[17:24], v[33:40], v[65:72]
	s_waitcnt lgkmcnt(0)
	s_delay_alu instid0(VALU_DEP_1) | instskip(NEXT) | instid1(VALU_DEP_1)
	v_wmma_f32_16x16x16_bf16 v[65:72], v[49:56], v[25:32], v[65:72]
	v_and_b32_e32 v1, 0x7f800000, v65
	s_delay_alu instid0(VALU_DEP_1) | instskip(SKIP_1) | instid1(SALU_CYCLE_1)
	v_cmp_ne_u32_e32 vcc_lo, 0x7f800000, v1
                                        ; implicit-def: $vgpr1
	s_and_saveexec_b32 s3, vcc_lo
	s_xor_b32 s3, exec_lo, s3
; %bb.79:
	v_bfe_u32 v1, v65, 16, 1
	s_delay_alu instid0(VALU_DEP_1)
	v_add3_u32 v1, v65, v1, 0x7fff
; %bb.80:
	s_and_not1_saveexec_b32 s3, s3
; %bb.81:
	v_and_b32_e32 v1, 0xffff, v65
	v_or_b32_e32 v2, 0x10000, v65
	s_delay_alu instid0(VALU_DEP_2) | instskip(NEXT) | instid1(VALU_DEP_2)
	v_cmp_eq_u32_e32 vcc_lo, 0, v1
	v_cndmask_b32_e32 v1, v2, v65, vcc_lo
; %bb.82:
	s_or_b32 exec_lo, exec_lo, s3
	v_and_b32_e32 v2, 0x7f800000, v66
	s_delay_alu instid0(VALU_DEP_1) | instskip(SKIP_1) | instid1(SALU_CYCLE_1)
	v_cmp_ne_u32_e32 vcc_lo, 0x7f800000, v2
                                        ; implicit-def: $vgpr2
	s_and_saveexec_b32 s3, vcc_lo
	s_xor_b32 s3, exec_lo, s3
; %bb.83:
	v_bfe_u32 v2, v66, 16, 1
	s_delay_alu instid0(VALU_DEP_1)
	v_add3_u32 v2, v66, v2, 0x7fff
; %bb.84:
	s_and_not1_saveexec_b32 s3, s3
; %bb.85:
	v_and_b32_e32 v2, 0xffff, v66
	v_or_b32_e32 v3, 0x10000, v66
	s_delay_alu instid0(VALU_DEP_2) | instskip(NEXT) | instid1(VALU_DEP_2)
	v_cmp_eq_u32_e32 vcc_lo, 0, v2
	v_cndmask_b32_e32 v2, v3, v66, vcc_lo
; %bb.86:
	s_or_b32 exec_lo, exec_lo, s3
	v_and_b32_e32 v3, 0x7f800000, v67
	s_delay_alu instid0(VALU_DEP_1) | instskip(SKIP_1) | instid1(SALU_CYCLE_1)
	v_cmp_ne_u32_e32 vcc_lo, 0x7f800000, v3
                                        ; implicit-def: $vgpr3
	s_and_saveexec_b32 s3, vcc_lo
	s_xor_b32 s3, exec_lo, s3
; %bb.87:
	v_bfe_u32 v3, v67, 16, 1
	s_delay_alu instid0(VALU_DEP_1)
	v_add3_u32 v3, v67, v3, 0x7fff
; %bb.88:
	s_and_not1_saveexec_b32 s3, s3
; %bb.89:
	v_and_b32_e32 v3, 0xffff, v67
	v_or_b32_e32 v4, 0x10000, v67
	s_delay_alu instid0(VALU_DEP_2) | instskip(NEXT) | instid1(VALU_DEP_2)
	v_cmp_eq_u32_e32 vcc_lo, 0, v3
	v_cndmask_b32_e32 v3, v4, v67, vcc_lo
; %bb.90:
	s_or_b32 exec_lo, exec_lo, s3
	v_and_b32_e32 v4, 0x7f800000, v68
	s_delay_alu instid0(VALU_DEP_1) | instskip(SKIP_1) | instid1(SALU_CYCLE_1)
	v_cmp_ne_u32_e32 vcc_lo, 0x7f800000, v4
                                        ; implicit-def: $vgpr4
	s_and_saveexec_b32 s3, vcc_lo
	s_xor_b32 s3, exec_lo, s3
; %bb.91:
	v_bfe_u32 v4, v68, 16, 1
	s_delay_alu instid0(VALU_DEP_1)
	v_add3_u32 v4, v68, v4, 0x7fff
; %bb.92:
	s_and_not1_saveexec_b32 s3, s3
; %bb.93:
	v_and_b32_e32 v4, 0xffff, v68
	v_or_b32_e32 v5, 0x10000, v68
	s_delay_alu instid0(VALU_DEP_2) | instskip(NEXT) | instid1(VALU_DEP_2)
	v_cmp_eq_u32_e32 vcc_lo, 0, v4
	v_cndmask_b32_e32 v4, v5, v68, vcc_lo
; %bb.94:
	s_or_b32 exec_lo, exec_lo, s3
	v_and_b32_e32 v5, 0x7f800000, v69
	s_delay_alu instid0(VALU_DEP_1) | instskip(SKIP_1) | instid1(SALU_CYCLE_1)
	v_cmp_ne_u32_e32 vcc_lo, 0x7f800000, v5
                                        ; implicit-def: $vgpr5
	s_and_saveexec_b32 s3, vcc_lo
	s_xor_b32 s3, exec_lo, s3
; %bb.95:
	v_bfe_u32 v5, v69, 16, 1
	s_delay_alu instid0(VALU_DEP_1)
	v_add3_u32 v5, v69, v5, 0x7fff
; %bb.96:
	s_and_not1_saveexec_b32 s3, s3
; %bb.97:
	v_and_b32_e32 v5, 0xffff, v69
	v_or_b32_e32 v6, 0x10000, v69
	s_delay_alu instid0(VALU_DEP_2) | instskip(NEXT) | instid1(VALU_DEP_2)
	v_cmp_eq_u32_e32 vcc_lo, 0, v5
	v_cndmask_b32_e32 v5, v6, v69, vcc_lo
; %bb.98:
	s_or_b32 exec_lo, exec_lo, s3
	v_and_b32_e32 v6, 0x7f800000, v70
	s_delay_alu instid0(VALU_DEP_1) | instskip(SKIP_1) | instid1(SALU_CYCLE_1)
	v_cmp_ne_u32_e32 vcc_lo, 0x7f800000, v6
                                        ; implicit-def: $vgpr6
	s_and_saveexec_b32 s3, vcc_lo
	s_xor_b32 s3, exec_lo, s3
; %bb.99:
	v_bfe_u32 v6, v70, 16, 1
	s_delay_alu instid0(VALU_DEP_1)
	v_add3_u32 v6, v70, v6, 0x7fff
; %bb.100:
	s_and_not1_saveexec_b32 s3, s3
; %bb.101:
	v_and_b32_e32 v6, 0xffff, v70
	v_or_b32_e32 v7, 0x10000, v70
	s_delay_alu instid0(VALU_DEP_2) | instskip(NEXT) | instid1(VALU_DEP_2)
	v_cmp_eq_u32_e32 vcc_lo, 0, v6
	v_cndmask_b32_e32 v6, v7, v70, vcc_lo
; %bb.102:
	s_or_b32 exec_lo, exec_lo, s3
	v_and_b32_e32 v7, 0x7f800000, v71
	s_delay_alu instid0(VALU_DEP_1) | instskip(SKIP_1) | instid1(SALU_CYCLE_1)
	v_cmp_ne_u32_e32 vcc_lo, 0x7f800000, v7
                                        ; implicit-def: $vgpr7
	s_and_saveexec_b32 s3, vcc_lo
	s_xor_b32 s3, exec_lo, s3
; %bb.103:
	v_bfe_u32 v7, v71, 16, 1
	s_delay_alu instid0(VALU_DEP_1)
	v_add3_u32 v7, v71, v7, 0x7fff
; %bb.104:
	s_and_not1_saveexec_b32 s3, s3
; %bb.105:
	v_and_b32_e32 v7, 0xffff, v71
	v_or_b32_e32 v8, 0x10000, v71
	s_delay_alu instid0(VALU_DEP_2) | instskip(NEXT) | instid1(VALU_DEP_2)
	v_cmp_eq_u32_e32 vcc_lo, 0, v7
	v_cndmask_b32_e32 v7, v8, v71, vcc_lo
; %bb.106:
	s_or_b32 exec_lo, exec_lo, s3
	v_and_b32_e32 v8, 0x7f800000, v72
	s_delay_alu instid0(VALU_DEP_1) | instskip(SKIP_1) | instid1(SALU_CYCLE_1)
	v_cmp_ne_u32_e32 vcc_lo, 0x7f800000, v8
                                        ; implicit-def: $vgpr8
	s_and_saveexec_b32 s3, vcc_lo
	s_xor_b32 s3, exec_lo, s3
; %bb.107:
	v_bfe_u32 v8, v72, 16, 1
	s_delay_alu instid0(VALU_DEP_1)
	v_add3_u32 v8, v72, v8, 0x7fff
                                        ; implicit-def: $vgpr65_vgpr66_vgpr67_vgpr68_vgpr69_vgpr70_vgpr71_vgpr72
; %bb.108:
	s_and_not1_saveexec_b32 s3, s3
; %bb.109:
	v_and_b32_e32 v8, 0xffff, v72
	v_or_b32_e32 v9, 0x10000, v72
	s_delay_alu instid0(VALU_DEP_2) | instskip(NEXT) | instid1(VALU_DEP_2)
	v_cmp_eq_u32_e32 vcc_lo, 0, v8
	v_cndmask_b32_e32 v8, v9, v72, vcc_lo
; %bb.110:
	s_or_b32 exec_lo, exec_lo, s3
	s_delay_alu instid0(VALU_DEP_1)
	v_perm_b32 v7, v8, v7, 0x7060302
	v_perm_b32 v6, v6, v5, 0x7060302
	;; [unrolled: 1-line block ×4, first 2 shown]
	s_barrier
	buffer_gl0_inv
	v_cmp_eq_u32_e32 vcc_lo, 1, v78
	ds_store_b128 v76, v[4:7]
	s_waitcnt lgkmcnt(0)
	s_barrier
	buffer_gl0_inv
	ds_load_b128 v[1:4], v82
	ds_load_b128 v[5:8], v82 offset:16
	v_cmp_eq_u32_e64 s3, 1, v79
	v_cmp_eq_u32_e64 s4, 2, v78
	v_cmp_eq_u32_e64 s5, 3, v78
	v_cmp_eq_u32_e64 s7, 2, v77
	v_cmp_eq_u32_e64 s6, 7, v79
	s_waitcnt lgkmcnt(1)
	v_lshrrev_b32_e32 v9, 16, v1
	s_waitcnt lgkmcnt(0)
	v_lshrrev_b32_e32 v13, 16, v5
	v_lshrrev_b32_e32 v10, 16, v2
	;; [unrolled: 1-line block ×4, first 2 shown]
	v_cndmask_b32_e64 v19, v1, v9, s3
	v_cndmask_b32_e32 v18, v5, v13, vcc_lo
	v_cndmask_b32_e64 v20, v5, v13, s3
	v_cndmask_b32_e32 v17, v1, v9, vcc_lo
	v_cmp_eq_u32_e32 vcc_lo, 2, v79
	v_lshrrev_b32_e32 v15, 16, v7
	v_cmp_eq_u32_e64 s3, 1, v77
	v_lshrrev_b32_e32 v12, 16, v4
	v_lshrrev_b32_e32 v16, 16, v8
	v_cndmask_b32_e32 v20, v20, v6, vcc_lo
	v_cndmask_b32_e64 v17, v17, v2, s4
	v_cndmask_b32_e32 v19, v19, v2, vcc_lo
	v_cndmask_b32_e64 v18, v18, v6, s4
	v_cmp_eq_u32_e32 vcc_lo, 4, v78
	v_cmp_eq_u32_e64 s4, 3, v79
	v_cndmask_b32_e64 v17, v17, v10, s5
	v_cndmask_b32_e64 v21, v1, v9, s3
	;; [unrolled: 1-line block ×5, first 2 shown]
	v_cndmask_b32_e32 v17, v17, v3, vcc_lo
	v_cndmask_b32_e64 v20, v20, v14, s4
	v_cndmask_b32_e32 v18, v18, v7, vcc_lo
	v_cmp_eq_u32_e32 vcc_lo, 4, v79
	v_cmp_eq_u32_e64 s4, 5, v79
	v_cmp_eq_u32_e64 s3, 2, v81
	v_cndmask_b32_e64 v21, v21, v2, s7
	v_cmp_eq_u32_e64 s5, 5, v78
	v_cndmask_b32_e32 v19, v19, v3, vcc_lo
	v_cndmask_b32_e32 v20, v20, v7, vcc_lo
	v_cmp_eq_u32_e32 vcc_lo, 6, v79
	s_delay_alu instid0(VALU_DEP_4) | instskip(NEXT) | instid1(VALU_DEP_4)
	v_cndmask_b32_e64 v17, v17, v11, s5
	v_cndmask_b32_e64 v19, v19, v11, s4
	s_delay_alu instid0(VALU_DEP_4) | instskip(SKIP_1) | instid1(VALU_DEP_3)
	v_cndmask_b32_e64 v20, v20, v15, s4
	v_cmp_eq_u32_e64 s4, 1, v81
	v_cndmask_b32_e32 v19, v19, v4, vcc_lo
	v_cndmask_b32_e64 v18, v18, v15, s5
	s_delay_alu instid0(VALU_DEP_3)
	v_cndmask_b32_e64 v1, v1, v9, s4
	v_cndmask_b32_e64 v5, v5, v13, s4
	v_cmp_eq_u32_e64 s4, 3, v77
	v_cndmask_b32_e64 v13, v22, v6, s7
	v_cmp_eq_u32_e64 s7, 3, v81
	v_cndmask_b32_e64 v1, v1, v2, s3
	v_cndmask_b32_e64 v2, v5, v6, s3
	v_cndmask_b32_e64 v9, v21, v10, s4
	v_cmp_eq_u32_e64 s3, 4, v77
	v_cndmask_b32_e64 v6, v13, v14, s4
	v_cndmask_b32_e64 v1, v1, v10, s7
	v_cmp_eq_u32_e64 s4, 4, v81
	v_cndmask_b32_e64 v2, v2, v14, s7
	v_cndmask_b32_e64 v5, v9, v3, s3
	v_cmp_eq_u32_e64 s7, 5, v77
	v_cndmask_b32_e64 v6, v6, v7, s3
	v_cndmask_b32_e64 v1, v1, v3, s4
	v_cndmask_b32_e64 v2, v2, v7, s4
	v_cmp_eq_u32_e64 s3, 5, v81
	v_cmp_eq_u32_e64 s5, 6, v78
	v_cndmask_b32_e64 v5, v5, v11, s7
	v_cmp_eq_u32_e64 s4, 6, v77
	v_cndmask_b32_e64 v3, v6, v15, s7
	v_cndmask_b32_e64 v1, v1, v11, s3
	v_cmp_eq_u32_e64 s7, 6, v81
	v_cndmask_b32_e64 v2, v2, v15, s3
	v_cndmask_b32_e64 v17, v17, v4, s5
	v_cndmask_b32_e64 v18, v18, v8, s5
	v_cmp_eq_u32_e64 s5, 7, v78
	v_cndmask_b32_e64 v5, v5, v4, s4
	;; [unrolled: 4-line block ×3, first 2 shown]
	v_cmp_eq_u32_e64 s4, 7, v77
	v_cndmask_b32_e32 v4, v20, v8, vcc_lo
	v_cndmask_b32_e64 v17, v17, v12, s5
	v_cndmask_b32_e64 v19, v19, v12, s6
	;; [unrolled: 1-line block ×8, first 2 shown]
	v_cmp_gt_u32_e32 vcc_lo, 32, v0
	v_perm_b32 v4, v2, v1, 0x5040100
	v_perm_b32 v3, v3, v5, 0x5040100
	;; [unrolled: 1-line block ×4, first 2 shown]
	s_and_b32 s2, vcc_lo, s2
	ds_store_b128 v76, v[1:4]
	s_waitcnt lgkmcnt(0)
	s_barrier
	buffer_gl0_inv
	s_and_saveexec_b32 s3, s2
	s_cbranch_execz .LBB1373_2
; %bb.111:
	s_load_b64 s[0:1], s[0:1], 0x68
	s_lshl_b32 s4, s34, 6
	v_or_b32_e32 v2, s31, v75
	s_mul_i32 s2, s4, s30
	v_lshlrev_b32_e32 v1, 10, v0
	s_mul_i32 s2, s2, s8
	v_lshlrev_b32_e32 v3, 4, v74
	v_mul_lo_u32 v0, v2, s4
	s_ashr_i32 s3, s2, 31
	v_lshlrev_b32_e32 v4, 6, v75
	v_and_b32_e32 v1, 0x3800, v1
	v_or_b32_e32 v5, 2, v2
	s_lshl_b64 s[2:3], s[2:3], 1
	v_or_b32_e32 v6, 4, v2
	v_or_b32_e32 v7, 6, v2
	v_or3_b32 v12, v1, v3, v4
	v_ashrrev_i32_e32 v1, 31, v0
	v_mul_lo_u32 v2, v5, s4
	v_mul_lo_u32 v16, v6, s4
	;; [unrolled: 1-line block ×3, first 2 shown]
	s_waitcnt lgkmcnt(0)
	s_add_u32 s2, s0, s2
	s_addc_u32 s3, s1, s3
	s_lshl_b32 s0, s14, 6
	v_lshlrev_b64 v[0:1], 1, v[0:1]
	s_ashr_i32 s1, s0, 31
	v_ashrrev_i32_e32 v3, 31, v2
	s_lshl_b64 s[0:1], s[0:1], 1
	v_ashrrev_i32_e32 v17, 31, v16
	s_add_u32 s0, s2, s0
	s_addc_u32 s1, s3, s1
	v_add_co_u32 v24, s0, s0, v73
	s_delay_alu instid0(VALU_DEP_1) | instskip(SKIP_1) | instid1(VALU_DEP_3)
	v_add_co_ci_u32_e64 v25, null, s1, 0, s0
	v_lshlrev_b64 v[22:23], 1, v[2:3]
	v_add_co_u32 v18, vcc_lo, v24, v0
	s_delay_alu instid0(VALU_DEP_3)
	v_add_co_ci_u32_e32 v19, vcc_lo, v25, v1, vcc_lo
	ds_load_b128 v[0:3], v12
	ds_load_b128 v[4:7], v12 offset:128
	ds_load_b128 v[8:11], v12 offset:256
	;; [unrolled: 1-line block ×3, first 2 shown]
	v_ashrrev_i32_e32 v21, 31, v20
	v_lshlrev_b64 v[16:17], 1, v[16:17]
	v_add_co_u32 v22, vcc_lo, v24, v22
	v_add_co_ci_u32_e32 v23, vcc_lo, v25, v23, vcc_lo
	s_delay_alu instid0(VALU_DEP_4) | instskip(NEXT) | instid1(VALU_DEP_4)
	v_lshlrev_b64 v[20:21], 1, v[20:21]
	v_add_co_u32 v16, vcc_lo, v24, v16
	v_add_co_ci_u32_e32 v17, vcc_lo, v25, v17, vcc_lo
	s_delay_alu instid0(VALU_DEP_3) | instskip(NEXT) | instid1(VALU_DEP_4)
	v_add_co_u32 v20, vcc_lo, v24, v20
	v_add_co_ci_u32_e32 v21, vcc_lo, v25, v21, vcc_lo
	s_waitcnt lgkmcnt(3)
	global_store_b128 v[18:19], v[0:3], off
	s_waitcnt lgkmcnt(2)
	global_store_b128 v[22:23], v[4:7], off
	;; [unrolled: 2-line block ×4, first 2 shown]
	s_nop 0
	s_sendmsg sendmsg(MSG_DEALLOC_VGPRS)
	s_endpgm
	.section	.rodata,"a",@progbits
	.p2align	6, 0x0
	.amdhsa_kernel _Z39paged_attention_ll4mi_QKV_mfma16_kernelI14__hip_bfloat16hLN4vllm18Fp8KVCacheDataTypeE1EhLi16ELi64ELi256ELb0ELi8EL8MFMAType1EEvPKT_PKT0_S9_ifPKiSB_SB_iPKfiiiPfSE_PS4_PT2_iSD_SD_
		.amdhsa_group_segment_fixed_size 17472
		.amdhsa_private_segment_fixed_size 0
		.amdhsa_kernarg_size 400
		.amdhsa_user_sgpr_count 13
		.amdhsa_user_sgpr_dispatch_ptr 0
		.amdhsa_user_sgpr_queue_ptr 0
		.amdhsa_user_sgpr_kernarg_segment_ptr 1
		.amdhsa_user_sgpr_dispatch_id 0
		.amdhsa_user_sgpr_private_segment_size 0
		.amdhsa_wavefront_size32 1
		.amdhsa_uses_dynamic_stack 0
		.amdhsa_enable_private_segment 0
		.amdhsa_system_sgpr_workgroup_id_x 1
		.amdhsa_system_sgpr_workgroup_id_y 1
		.amdhsa_system_sgpr_workgroup_id_z 1
		.amdhsa_system_sgpr_workgroup_info 0
		.amdhsa_system_vgpr_workitem_id 0
		.amdhsa_next_free_vgpr 124
		.amdhsa_next_free_sgpr 38
		.amdhsa_reserve_vcc 1
		.amdhsa_float_round_mode_32 0
		.amdhsa_float_round_mode_16_64 0
		.amdhsa_float_denorm_mode_32 3
		.amdhsa_float_denorm_mode_16_64 3
		.amdhsa_dx10_clamp 1
		.amdhsa_ieee_mode 1
		.amdhsa_fp16_overflow 0
		.amdhsa_workgroup_processor_mode 1
		.amdhsa_memory_ordered 1
		.amdhsa_forward_progress 0
		.amdhsa_shared_vgpr_count 0
		.amdhsa_exception_fp_ieee_invalid_op 0
		.amdhsa_exception_fp_denorm_src 0
		.amdhsa_exception_fp_ieee_div_zero 0
		.amdhsa_exception_fp_ieee_overflow 0
		.amdhsa_exception_fp_ieee_underflow 0
		.amdhsa_exception_fp_ieee_inexact 0
		.amdhsa_exception_int_div_zero 0
	.end_amdhsa_kernel
	.section	.text._Z39paged_attention_ll4mi_QKV_mfma16_kernelI14__hip_bfloat16hLN4vllm18Fp8KVCacheDataTypeE1EhLi16ELi64ELi256ELb0ELi8EL8MFMAType1EEvPKT_PKT0_S9_ifPKiSB_SB_iPKfiiiPfSE_PS4_PT2_iSD_SD_,"axG",@progbits,_Z39paged_attention_ll4mi_QKV_mfma16_kernelI14__hip_bfloat16hLN4vllm18Fp8KVCacheDataTypeE1EhLi16ELi64ELi256ELb0ELi8EL8MFMAType1EEvPKT_PKT0_S9_ifPKiSB_SB_iPKfiiiPfSE_PS4_PT2_iSD_SD_,comdat
.Lfunc_end1373:
	.size	_Z39paged_attention_ll4mi_QKV_mfma16_kernelI14__hip_bfloat16hLN4vllm18Fp8KVCacheDataTypeE1EhLi16ELi64ELi256ELb0ELi8EL8MFMAType1EEvPKT_PKT0_S9_ifPKiSB_SB_iPKfiiiPfSE_PS4_PT2_iSD_SD_, .Lfunc_end1373-_Z39paged_attention_ll4mi_QKV_mfma16_kernelI14__hip_bfloat16hLN4vllm18Fp8KVCacheDataTypeE1EhLi16ELi64ELi256ELb0ELi8EL8MFMAType1EEvPKT_PKT0_S9_ifPKiSB_SB_iPKfiiiPfSE_PS4_PT2_iSD_SD_
                                        ; -- End function
	.section	.AMDGPU.csdata,"",@progbits
; Kernel info:
; codeLenInByte = 8724
; NumSgprs: 40
; NumVgprs: 124
; ScratchSize: 0
; MemoryBound: 0
; FloatMode: 240
; IeeeMode: 1
; LDSByteSize: 17472 bytes/workgroup (compile time only)
; SGPRBlocks: 4
; VGPRBlocks: 15
; NumSGPRsForWavesPerEU: 40
; NumVGPRsForWavesPerEU: 124
; Occupancy: 10
; WaveLimiterHint : 1
; COMPUTE_PGM_RSRC2:SCRATCH_EN: 0
; COMPUTE_PGM_RSRC2:USER_SGPR: 13
; COMPUTE_PGM_RSRC2:TRAP_HANDLER: 0
; COMPUTE_PGM_RSRC2:TGID_X_EN: 1
; COMPUTE_PGM_RSRC2:TGID_Y_EN: 1
; COMPUTE_PGM_RSRC2:TGID_Z_EN: 1
; COMPUTE_PGM_RSRC2:TIDIG_COMP_CNT: 0
	.section	.text._Z39paged_attention_ll4mi_QKV_mfma16_kernelI14__hip_bfloat16hLN4vllm18Fp8KVCacheDataTypeE1EhLi16ELi64ELi256ELb0ELi9EL8MFMAType1EEvPKT_PKT0_S9_ifPKiSB_SB_iPKfiiiPfSE_PS4_PT2_iSD_SD_,"axG",@progbits,_Z39paged_attention_ll4mi_QKV_mfma16_kernelI14__hip_bfloat16hLN4vllm18Fp8KVCacheDataTypeE1EhLi16ELi64ELi256ELb0ELi9EL8MFMAType1EEvPKT_PKT0_S9_ifPKiSB_SB_iPKfiiiPfSE_PS4_PT2_iSD_SD_,comdat
	.protected	_Z39paged_attention_ll4mi_QKV_mfma16_kernelI14__hip_bfloat16hLN4vllm18Fp8KVCacheDataTypeE1EhLi16ELi64ELi256ELb0ELi9EL8MFMAType1EEvPKT_PKT0_S9_ifPKiSB_SB_iPKfiiiPfSE_PS4_PT2_iSD_SD_ ; -- Begin function _Z39paged_attention_ll4mi_QKV_mfma16_kernelI14__hip_bfloat16hLN4vllm18Fp8KVCacheDataTypeE1EhLi16ELi64ELi256ELb0ELi9EL8MFMAType1EEvPKT_PKT0_S9_ifPKiSB_SB_iPKfiiiPfSE_PS4_PT2_iSD_SD_
	.globl	_Z39paged_attention_ll4mi_QKV_mfma16_kernelI14__hip_bfloat16hLN4vllm18Fp8KVCacheDataTypeE1EhLi16ELi64ELi256ELb0ELi9EL8MFMAType1EEvPKT_PKT0_S9_ifPKiSB_SB_iPKfiiiPfSE_PS4_PT2_iSD_SD_
	.p2align	8
	.type	_Z39paged_attention_ll4mi_QKV_mfma16_kernelI14__hip_bfloat16hLN4vllm18Fp8KVCacheDataTypeE1EhLi16ELi64ELi256ELb0ELi9EL8MFMAType1EEvPKT_PKT0_S9_ifPKiSB_SB_iPKfiiiPfSE_PS4_PT2_iSD_SD_,@function
_Z39paged_attention_ll4mi_QKV_mfma16_kernelI14__hip_bfloat16hLN4vllm18Fp8KVCacheDataTypeE1EhLi16ELi64ELi256ELb0ELi9EL8MFMAType1EEvPKT_PKT0_S9_ifPKiSB_SB_iPKfiiiPfSE_PS4_PT2_iSD_SD_: ; @_Z39paged_attention_ll4mi_QKV_mfma16_kernelI14__hip_bfloat16hLN4vllm18Fp8KVCacheDataTypeE1EhLi16ELi64ELi256ELb0ELi9EL8MFMAType1EEvPKT_PKT0_S9_ifPKiSB_SB_iPKfiiiPfSE_PS4_PT2_iSD_SD_
; %bb.0:
	s_load_b64 s[2:3], s[0:1], 0x30
	s_mov_b32 s34, s13
	s_waitcnt lgkmcnt(0)
	s_cmp_lg_u64 s[2:3], 0
	s_cselect_b32 s8, -1, 0
	s_ashr_i32 s35, s13, 31
	s_cmp_eq_u64 s[2:3], 0
	s_cbranch_scc1 .LBB1374_3
; %bb.1:
	s_lshl_b64 s[4:5], s[34:35], 2
	s_delay_alu instid0(SALU_CYCLE_1) | instskip(SKIP_4) | instid1(SALU_CYCLE_1)
	s_add_u32 s4, s2, s4
	s_addc_u32 s5, s3, s5
	s_load_b64 s[4:5], s[4:5], 0x0
	s_waitcnt lgkmcnt(0)
	s_sub_i32 s4, s5, s4
	s_cmp_eq_u32 s4, 1
	s_cselect_b32 s4, -1, 0
	s_delay_alu instid0(SALU_CYCLE_1)
	s_and_not1_b32 vcc_lo, exec_lo, s4
	s_cbranch_vccz .LBB1374_4
.LBB1374_2:
	s_nop 0
	s_sendmsg sendmsg(MSG_DEALLOC_VGPRS)
	s_endpgm
.LBB1374_3:
.LBB1374_4:
	s_load_b64 s[4:5], s[0:1], 0x28
	s_lshl_b64 s[6:7], s[34:35], 2
	s_waitcnt lgkmcnt(0)
	s_add_u32 s4, s4, s6
	s_addc_u32 s5, s5, s7
	s_lshl_b32 s12, s14, 8
	s_load_b32 s24, s[4:5], 0x0
	s_waitcnt lgkmcnt(0)
	s_cmp_ge_i32 s12, s24
	s_cbranch_scc1 .LBB1374_2
; %bb.5:
	s_clause 0x1
	s_load_b128 s[20:23], s[0:1], 0x8
	s_load_b64 s[4:5], s[0:1], 0x20
	s_and_not1_b32 vcc_lo, exec_lo, s8
	s_cbranch_vccnz .LBB1374_7
; %bb.6:
	s_add_u32 s2, s2, s6
	s_addc_u32 s3, s3, s7
	s_load_b32 s3, s[2:3], 0x0
	s_branch .LBB1374_8
.LBB1374_7:
	s_mov_b32 s3, s34
.LBB1374_8:
	s_load_b128 s[16:19], s[0:1], 0x48
	v_lshrrev_b32_e32 v66, 5, v0
	v_bfe_u32 v74, v0, 4, 1
	v_and_b32_e32 v65, 15, v0
	v_and_b32_e32 v67, 31, v0
	;; [unrolled: 1-line block ×3, first 2 shown]
	s_mul_i32 s31, s15, 9
	v_lshl_or_b32 v1, v66, 1, v74
	v_lshlrev_b32_e32 v2, 3, v65
	v_cmp_gt_u32_e64 s2, 8, v65
	s_delay_alu instid0(VALU_DEP_3) | instskip(NEXT) | instid1(VALU_DEP_3)
	v_cmp_gt_u32_e32 vcc_lo, 9, v1
	v_lshlrev_b32_e32 v73, 1, v2
	s_delay_alu instid0(VALU_DEP_3) | instskip(NEXT) | instid1(SALU_CYCLE_1)
	s_and_b32 s7, s2, vcc_lo
	s_and_saveexec_b32 s6, s7
	s_cbranch_execz .LBB1374_10
; %bb.9:
	s_load_b64 s[8:9], s[0:1], 0x0
	v_add_lshl_u32 v2, v1, s31, 6
	s_waitcnt lgkmcnt(0)
	s_mul_hi_i32 s11, s3, s16
	s_mul_i32 s10, s3, s16
	v_lshlrev_b32_e32 v6, 10, v65
	s_lshl_b64 s[10:11], s[10:11], 1
	v_ashrrev_i32_e32 v3, 31, v2
	v_lshlrev_b32_e32 v1, 6, v1
	v_lshlrev_b32_e32 v7, 10, v75
	v_and_b32_e32 v6, 0x3800, v6
	s_delay_alu instid0(VALU_DEP_4) | instskip(NEXT) | instid1(VALU_DEP_2)
	v_lshlrev_b64 v[2:3], 1, v[2:3]
	v_or3_b32 v1, v6, v7, v1
	s_add_u32 s3, s8, s10
	s_addc_u32 s7, s9, s11
	s_delay_alu instid0(VALU_DEP_2) | instskip(NEXT) | instid1(VALU_DEP_3)
	v_add_co_u32 v2, vcc_lo, s3, v2
	v_add_co_ci_u32_e32 v3, vcc_lo, s7, v3, vcc_lo
	s_delay_alu instid0(VALU_DEP_2) | instskip(NEXT) | instid1(VALU_DEP_2)
	v_add_co_u32 v2, vcc_lo, v2, v73
	v_add_co_ci_u32_e32 v3, vcc_lo, 0, v3, vcc_lo
	global_load_b128 v[2:5], v[2:3], off
	s_waitcnt vmcnt(0)
	ds_store_b128 v1, v[2:5]
.LBB1374_10:
	s_or_b32 exec_lo, exec_lo, s6
	v_and_b32_e32 v1, 0xef, v0
	s_waitcnt lgkmcnt(0)
	s_add_i32 s3, s24, 15
	s_clause 0x1
	s_load_b32 s6, s[0:1], 0x38
	s_load_b32 s19, s[0:1], 0x1c
	s_ashr_i32 s7, s3, 31
	v_add_nc_u32_e32 v1, s12, v1
	s_lshr_b32 s7, s7, 28
	s_waitcnt lgkmcnt(0)
	s_add_i32 s3, s3, s7
	s_barrier
	v_ashrrev_i32_e32 v2, 31, v1
	v_or_b32_e32 v3, 16, v1
	s_ashr_i32 s3, s3, 4
	v_cmp_gt_i32_e32 vcc_lo, s24, v1
	s_add_i32 s3, s3, -1
	v_lshrrev_b32_e32 v2, 28, v2
	buffer_gl0_inv
	s_mul_i32 s27, s15, s18
	v_add_nc_u32_e32 v4, v1, v2
	s_mul_i32 s6, s34, s6
	s_delay_alu instid0(SALU_CYCLE_1) | instskip(NEXT) | instid1(VALU_DEP_1)
	s_ashr_i32 s7, s6, 31
	v_ashrrev_i32_e32 v4, 4, v4
	v_add_nc_u32_e32 v2, v3, v2
	s_lshl_b64 s[6:7], s[6:7], 2
	s_delay_alu instid0(SALU_CYCLE_1) | instskip(NEXT) | instid1(VALU_DEP_2)
	s_add_u32 s26, s4, s6
	v_cndmask_b32_e32 v1, s3, v4, vcc_lo
	s_delay_alu instid0(VALU_DEP_2)
	v_ashrrev_i32_e32 v2, 4, v2
	v_cmp_gt_i32_e32 vcc_lo, s24, v3
	s_addc_u32 s25, s5, s7
	s_ashr_i32 s28, s27, 31
	s_add_u32 s13, s20, s27
	s_addc_u32 s15, s21, s28
	v_cndmask_b32_e32 v3, s3, v2, vcc_lo
	v_ashrrev_i32_e32 v2, 31, v1
	s_lshl_b32 s4, s14, 4
	s_delay_alu instid0(SALU_CYCLE_1) | instskip(NEXT) | instid1(VALU_DEP_2)
	s_ashr_i32 s5, s4, 31
	v_ashrrev_i32_e32 v4, 31, v3
	s_delay_alu instid0(VALU_DEP_2) | instskip(SKIP_1) | instid1(SALU_CYCLE_1)
	v_lshlrev_b64 v[1:2], 2, v[1:2]
	s_lshl_b64 s[4:5], s[4:5], 2
	s_add_u32 s4, s26, s4
	s_delay_alu instid0(VALU_DEP_2) | instskip(SKIP_1) | instid1(VALU_DEP_2)
	v_lshlrev_b64 v[3:4], 2, v[3:4]
	s_addc_u32 s5, s25, s5
	v_add_co_u32 v1, vcc_lo, s26, v1
	v_add_co_ci_u32_e32 v2, vcc_lo, s25, v2, vcc_lo
	s_delay_alu instid0(VALU_DEP_3) | instskip(NEXT) | instid1(VALU_DEP_4)
	v_add_co_u32 v3, vcc_lo, s26, v3
	v_add_co_ci_u32_e32 v4, vcc_lo, s25, v4, vcc_lo
	s_clause 0x1
	global_load_b32 v5, v[1:2], off
	global_load_b32 v7, v[3:4], off
	s_or_b32 s6, s12, 32
	v_lshlrev_b32_e32 v1, 4, v0
	s_ashr_i32 s7, s6, 4
	s_cmp_lt_i32 s6, s24
	v_cmp_gt_u32_e32 vcc_lo, 9, v65
	s_cselect_b32 s6, s7, s3
	v_and_b32_e32 v1, 0xf0, v1
	s_ashr_i32 s7, s6, 31
	s_delay_alu instid0(SALU_CYCLE_1) | instskip(NEXT) | instid1(SALU_CYCLE_1)
	s_lshl_b64 s[6:7], s[6:7], 2
	s_add_u32 s6, s26, s6
	s_addc_u32 s7, s25, s7
	s_or_b32 s8, s12, 64
	v_add_co_u32 v1, s13, s13, v1
	s_ashr_i32 s9, s8, 4
	s_cmp_lt_i32 s8, s24
	v_add_co_ci_u32_e64 v2, null, s15, 0, s13
	s_cselect_b32 s8, s9, s3
	s_delay_alu instid0(SALU_CYCLE_1) | instskip(NEXT) | instid1(SALU_CYCLE_1)
	s_ashr_i32 s9, s8, 31
	s_lshl_b64 s[8:9], s[8:9], 2
	s_delay_alu instid0(SALU_CYCLE_1) | instskip(SKIP_2) | instid1(SALU_CYCLE_1)
	s_add_u32 s8, s26, s8
	s_addc_u32 s9, s25, s9
	s_or_b32 s10, s12, 0x60
	s_ashr_i32 s11, s10, 4
	s_cmp_lt_i32 s10, s24
	s_cselect_b32 s10, s11, s3
	s_delay_alu instid0(SALU_CYCLE_1) | instskip(NEXT) | instid1(SALU_CYCLE_1)
	s_ashr_i32 s11, s10, 31
	s_lshl_b64 s[10:11], s[10:11], 2
	s_delay_alu instid0(SALU_CYCLE_1) | instskip(SKIP_2) | instid1(SALU_CYCLE_1)
	s_add_u32 s10, s26, s10
	s_addc_u32 s11, s25, s11
	s_or_b32 s16, s12, 0x80
	s_ashr_i32 s18, s16, 4
	s_cmp_lt_i32 s16, s24
	;; [unrolled: 10-line block ×3, first 2 shown]
	s_cselect_b32 s20, s18, s3
	s_delay_alu instid0(SALU_CYCLE_1) | instskip(NEXT) | instid1(SALU_CYCLE_1)
	s_ashr_i32 s21, s20, 31
	s_lshl_b64 s[20:21], s[20:21], 2
	s_delay_alu instid0(SALU_CYCLE_1)
	s_add_u32 s38, s26, s20
	s_addc_u32 s39, s25, s21
	s_clause 0x5
	s_load_b32 s21, s[4:5], 0x0
	s_load_b32 s13, s[6:7], 0x0
	;; [unrolled: 1-line block ×6, first 2 shown]
	s_or_b32 s8, s12, 0xc0
	s_mov_b32 s4, 0
	s_ashr_i32 s9, s8, 4
	s_cmp_lt_i32 s8, s24
	s_mov_b32 s11, s4
	s_cselect_b32 s36, s9, s3
	s_mov_b32 s5, s4
	s_ashr_i32 s37, s36, 31
	s_mov_b32 s6, s4
	s_lshl_b64 s[36:37], s[36:37], 2
	s_mov_b32 s7, s4
	s_add_u32 s36, s26, s36
	s_addc_u32 s37, s25, s37
	s_or_b32 s29, s12, 0xe0
	s_mov_b32 s8, s4
	s_ashr_i32 s30, s29, 4
	s_mov_b32 s9, s4
	s_mov_b32 s10, s4
	s_cmp_lt_i32 s29, s24
	v_dual_mov_b32 v107, s11 :: v_dual_mov_b32 v100, s4
	v_mov_b32_e32 v106, s10
	v_dual_mov_b32 v104, s8 :: v_dual_mov_b32 v103, s7
	v_dual_mov_b32 v102, s6 :: v_dual_mov_b32 v101, s5
	s_waitcnt vmcnt(1)
	v_mad_i64_i32 v[3:4], null, v5, s17, v[1:2]
	s_waitcnt vmcnt(0)
	v_mad_i64_i32 v[5:6], null, v7, s17, v[1:2]
	v_add_nc_u32_e32 v1, -9, v65
	v_lshlrev_b32_e32 v2, 4, v65
	s_clause 0x7
	global_load_b128 v[49:52], v[3:4], off
	global_load_b128 v[53:56], v[3:4], off offset:256
	global_load_b128 v[76:79], v[5:6], off
	global_load_b128 v[80:83], v[5:6], off offset:256
	global_load_b128 v[84:87], v[3:4], off offset:512
	global_load_b128 v[88:91], v[3:4], off offset:768
	global_load_b128 v[92:95], v[5:6], off offset:512
	global_load_b128 v[96:99], v[5:6], off offset:768
	v_cndmask_b32_e32 v1, v1, v65, vcc_lo
	v_mov_b32_e32 v105, s9
	s_cselect_b32 s4, s30, s3
	v_lshl_or_b32 v2, v66, 8, v2
	s_ashr_i32 s5, s4, 31
	v_lshlrev_b32_e32 v70, 6, v1
	s_lshl_b64 s[4:5], s[4:5], 2
	s_load_b32 s3, s[36:37], 0x0
	s_add_u32 s4, s26, s4
	s_addc_u32 s5, s25, s5
	ds_load_b128 v[108:111], v70
	ds_load_b128 v[112:115], v70 offset:1024
	s_load_b32 s4, s[4:5], 0x0
	s_add_u32 s6, s22, s27
	s_addc_u32 s7, s23, s28
	v_add_co_u32 v9, s6, s6, v2
	s_delay_alu instid0(VALU_DEP_1) | instskip(SKIP_1) | instid1(VALU_DEP_1)
	v_add_co_ci_u32_e64 v10, null, s7, 0, s6
	s_waitcnt lgkmcnt(0)
	v_mad_i64_i32 v[1:2], null, s21, s17, v[9:10]
	v_mad_i64_i32 v[3:4], null, s13, s17, v[9:10]
	;; [unrolled: 1-line block ×7, first 2 shown]
	s_clause 0x9
	global_load_b128 v[57:60], v[1:2], off
	global_load_b128 v[61:64], v[1:2], off offset:16
	global_load_b128 v[41:44], v[3:4], off
	global_load_b128 v[45:48], v[3:4], off offset:16
	;; [unrolled: 2-line block ×5, first 2 shown]
	v_mad_i64_i32 v[68:69], null, s4, s17, v[9:10]
	s_clause 0x3
	global_load_b128 v[9:12], v[13:14], off
	global_load_b128 v[13:16], v[13:14], off offset:16
	global_load_b128 v[17:20], v[21:22], off
	global_load_b128 v[21:24], v[21:22], off offset:16
	s_waitcnt vmcnt(20)
	v_wmma_f32_16x16x16_bf16 v[116:123], v[49:56], v[108:115], v[100:107]
	s_clause 0x1
	global_load_b128 v[49:52], v[68:69], off
	global_load_b128 v[53:56], v[68:69], off offset:16
	v_and_b32_e32 v68, 0xe0, v0
	v_mbcnt_lo_u32_b32 v69, -1, 0
	s_delay_alu instid0(VALU_DEP_2)
	v_add_nc_u32_e32 v68, s12, v68
	s_waitcnt vmcnt(20)
	v_wmma_f32_16x16x16_bf16 v[100:107], v[76:83], v[108:115], v[100:107]
	ds_load_b128 v[76:79], v70 offset:2048
	ds_load_b128 v[80:83], v70 offset:3072
	v_xor_b32_e32 v70, 16, v69
	s_waitcnt vmcnt(0) lgkmcnt(0)
	v_or_b32_e32 v68, v68, v74
	s_barrier
	buffer_gl0_inv
	v_cmp_gt_i32_e32 vcc_lo, 32, v70
	v_or_b32_e32 v71, 4, v68
	v_or_b32_e32 v72, 6, v68
	v_cmp_gt_i32_e64 s3, s24, v68
	v_or_b32_e32 v108, 8, v68
	v_or_b32_e32 v109, 10, v68
	v_cmp_gt_i32_e64 s4, s24, v71
	v_cmp_gt_i32_e64 s5, s24, v72
	s_delay_alu instid0(VALU_DEP_4) | instskip(NEXT) | instid1(VALU_DEP_4)
	v_cmp_gt_i32_e64 s6, s24, v108
	v_cmp_gt_i32_e64 s7, s24, v109
	v_wmma_f32_16x16x16_bf16 v[116:123], v[84:91], v[76:83], v[116:123]
	v_cndmask_b32_e32 v69, v69, v70, vcc_lo
	v_or_b32_e32 v70, 2, v68
	v_wmma_f32_16x16x16_bf16 v[100:107], v[92:99], v[76:83], v[100:107]
	v_or_b32_e32 v89, 22, v68
	v_dual_mul_f32 v82, s19, v119 :: v_dual_mul_f32 v79, s19, v122
	v_dual_mul_f32 v92, s19, v117 :: v_dual_mul_f32 v93, s19, v116
	s_delay_alu instid0(VALU_DEP_4) | instskip(SKIP_2) | instid1(VALU_DEP_4)
	v_mul_f32_e32 v98, s19, v103
	v_cmp_gt_i32_e32 vcc_lo, s24, v70
	v_dual_mul_f32 v83, s19, v118 :: v_dual_mul_f32 v96, s19, v105
	v_cndmask_b32_e64 v93, 0xff7fffff, v93, s3
	v_or_b32_e32 v84, 12, v68
	v_cndmask_b32_e32 v92, 0xff7fffff, v92, vcc_lo
	v_or_b32_e32 v85, 14, v68
	v_dual_mul_f32 v80, s19, v121 :: v_dual_mul_f32 v81, s19, v120
	v_mul_f32_e32 v94, s19, v107
	v_cndmask_b32_e64 v71, 0xff7fffff, v83, s4
	v_cndmask_b32_e64 v72, 0xff7fffff, v82, s5
	v_cmp_gt_i32_e64 s13, s24, v89
	v_lshlrev_b32_e32 v89, 2, v69
	v_max3_f32 v82, v93, 0xff7fffff, v92
	v_or_b32_e32 v86, 16, v68
	v_or_b32_e32 v87, 18, v68
	v_mul_f32_e32 v78, s19, v123
	v_cndmask_b32_e64 v81, 0xff7fffff, v81, s6
	v_cndmask_b32_e64 v80, 0xff7fffff, v80, s7
	v_max3_f32 v71, v82, v71, v72
	v_cmp_gt_i32_e64 s8, s24, v84
	v_cmp_gt_i32_e64 s9, s24, v85
	v_or_b32_e32 v88, 20, v68
	v_or_b32_e32 v90, 24, v68
	;; [unrolled: 1-line block ×5, first 2 shown]
	v_dual_mul_f32 v95, s19, v106 :: v_dual_mul_f32 v70, s19, v101
	v_dual_mul_f32 v99, s19, v102 :: v_dual_mul_f32 v68, s19, v100
	v_cndmask_b32_e64 v72, 0xff7fffff, v79, s8
	v_cndmask_b32_e64 v78, 0xff7fffff, v78, s9
	v_max3_f32 v71, v71, v81, v80
	v_cmp_gt_i32_e64 s10, s24, v86
	v_cmp_gt_i32_e64 s11, s24, v87
	;; [unrolled: 1-line block ×3, first 2 shown]
	v_mul_f32_e32 v97, s19, v104
	v_max3_f32 v71, v71, v72, v78
	v_cndmask_b32_e64 v68, 0xff7fffff, v68, s10
	v_cndmask_b32_e64 v70, 0xff7fffff, v70, s11
	;; [unrolled: 1-line block ×4, first 2 shown]
	v_cmp_gt_i32_e64 s15, s24, v90
	v_cmp_gt_i32_e64 s16, s24, v91
	v_max3_f32 v68, v71, v68, v70
	v_cmp_gt_i32_e64 s17, s24, v76
	v_cmp_gt_i32_e64 s18, s24, v77
	v_cndmask_b32_e64 v70, 0xff7fffff, v97, s15
	v_cndmask_b32_e64 v71, 0xff7fffff, v96, s16
	v_max3_f32 v68, v68, v72, v78
	v_cndmask_b32_e64 v72, 0xff7fffff, v95, s17
	v_cndmask_b32_e64 v76, 0xff7fffff, v94, s18
	s_delay_alu instid0(VALU_DEP_3) | instskip(NEXT) | instid1(VALU_DEP_1)
	v_max3_f32 v68, v68, v70, v71
	v_max3_f32 v68, v68, v72, v76
	ds_bpermute_b32 v69, v89, v68
	s_waitcnt lgkmcnt(0)
	v_max_f32_e32 v69, v69, v69
	s_delay_alu instid0(VALU_DEP_1) | instskip(NEXT) | instid1(VALU_DEP_1)
	v_max_f32_e32 v68, v68, v69
	v_fma_f32 v69, s19, v116, -v68
	v_fma_f32 v70, s19, v117, -v68
	;; [unrolled: 1-line block ×5, first 2 shown]
	s_delay_alu instid0(VALU_DEP_4) | instskip(NEXT) | instid1(VALU_DEP_4)
	v_dual_mul_f32 v69, 0x3fb8aa3b, v69 :: v_dual_mul_f32 v70, 0x3fb8aa3b, v70
	v_mul_f32_e32 v72, 0x3fb8aa3b, v72
	v_fma_f32 v78, s19, v122, -v68
	s_delay_alu instid0(VALU_DEP_4) | instskip(NEXT) | instid1(VALU_DEP_4)
	v_mul_f32_e32 v77, 0x3fb8aa3b, v76
	v_exp_f32_e32 v69, v69
	v_exp_f32_e32 v70, v70
	v_mul_f32_e32 v71, 0x3fb8aa3b, v71
	v_exp_f32_e32 v72, v72
	v_mul_f32_e32 v78, 0x3fb8aa3b, v78
	v_exp_f32_e32 v77, v77
	v_fma_f32 v81, s19, v105, -v68
	s_delay_alu instid0(VALU_DEP_2)
	v_exp_f32_e32 v78, v78
	v_cndmask_b32_e64 v80, 0, v69, s3
	v_cndmask_b32_e32 v76, 0, v70, vcc_lo
	v_exp_f32_e32 v71, v71
	v_fma_f32 v69, s19, v121, -v68
	v_cndmask_b32_e64 v85, 0, v72, s5
	v_add_f32_e32 v70, 0, v80
	s_delay_alu instid0(TRANS32_DEP_3)
	v_cndmask_b32_e64 v86, 0, v77, s6
	v_fma_f32 v77, s19, v101, -v68
	v_mul_f32_e32 v69, 0x3fb8aa3b, v69
	v_fma_f32 v72, s19, v100, -v68
	v_cndmask_b32_e64 v84, 0, v78, s8
	v_fma_f32 v78, s19, v103, -v68
	v_cndmask_b32_e64 v83, 0, v71, s4
	v_fma_f32 v71, s19, v123, -v68
	v_add_f32_e32 v70, v70, v76
	v_exp_f32_e32 v69, v69
	v_mul_f32_e32 v77, 0x3fb8aa3b, v77
	v_mul_f32_e32 v81, 0x3fb8aa3b, v81
	v_mul_f32_e32 v71, 0x3fb8aa3b, v71
	v_add_f32_e32 v70, v70, v83
	v_cmp_gt_u32_e64 s3, 16, v67
	v_exp_f32_e32 v77, v77
	v_exp_f32_e32 v81, v81
	;; [unrolled: 1-line block ×3, first 2 shown]
	v_cndmask_b32_e64 v87, 0, v69, s7
	v_add_f32_e32 v70, v70, v85
	s_delay_alu instid0(VALU_DEP_1) | instskip(SKIP_1) | instid1(VALU_DEP_2)
	v_dual_mul_f32 v72, 0x3fb8aa3b, v72 :: v_dual_add_f32 v69, v70, v86
	v_fma_f32 v70, s19, v102, -v68
	v_exp_f32_e32 v72, v72
	s_waitcnt_depctr 0xfff
	v_cndmask_b32_e64 v88, 0, v71, s9
	v_fma_f32 v71, s19, v104, -v68
	v_dual_add_f32 v69, v69, v87 :: v_dual_mul_f32 v70, 0x3fb8aa3b, v70
	s_delay_alu instid0(VALU_DEP_2) | instskip(NEXT) | instid1(VALU_DEP_2)
	v_dual_mul_f32 v78, 0x3fb8aa3b, v78 :: v_dual_mul_f32 v71, 0x3fb8aa3b, v71
	v_add_f32_e32 v69, v69, v84
	s_delay_alu instid0(VALU_DEP_3) | instskip(SKIP_1) | instid1(VALU_DEP_3)
	v_exp_f32_e32 v79, v70
	v_cndmask_b32_e64 v70, 0, v72, s10
	v_exp_f32_e32 v78, v78
	v_exp_f32_e32 v82, v71
	v_add_f32_e32 v72, v69, v88
	v_cndmask_b32_e64 v69, 0, v77, s11
	v_fma_f32 v77, s19, v106, -v68
	s_delay_alu instid0(VALU_DEP_3) | instskip(NEXT) | instid1(TRANS32_DEP_3)
	v_add_f32_e32 v72, v72, v70
	v_cndmask_b32_e64 v71, 0, v79, s12
	s_delay_alu instid0(VALU_DEP_3) | instskip(NEXT) | instid1(VALU_DEP_3)
	v_mul_f32_e32 v77, 0x3fb8aa3b, v77
	v_add_f32_e32 v79, v72, v69
	s_delay_alu instid0(TRANS32_DEP_2) | instskip(NEXT) | instid1(VALU_DEP_3)
	v_cndmask_b32_e64 v72, 0, v78, s13
	v_exp_f32_e32 v90, v77
	v_cndmask_b32_e64 v77, 0, v82, s15
	s_delay_alu instid0(VALU_DEP_3) | instskip(SKIP_1) | instid1(VALU_DEP_1)
	v_add_f32_e32 v78, v79, v71
	v_fma_f32 v79, s19, v107, -v68
	v_dual_add_f32 v82, v78, v72 :: v_dual_mul_f32 v79, 0x3fb8aa3b, v79
	v_cndmask_b32_e64 v78, 0, v81, s16
	s_delay_alu instid0(VALU_DEP_2) | instskip(NEXT) | instid1(VALU_DEP_3)
	v_add_f32_e32 v81, v82, v77
	v_exp_f32_e32 v82, v79
	s_delay_alu instid0(TRANS32_DEP_2) | instskip(NEXT) | instid1(VALU_DEP_2)
	v_cndmask_b32_e64 v79, 0, v90, s17
	v_add_f32_e32 v81, v81, v78
	s_delay_alu instid0(VALU_DEP_1) | instskip(SKIP_2) | instid1(VALU_DEP_1)
	v_add_f32_e32 v90, v81, v79
	s_waitcnt_depctr 0xfff
	v_cndmask_b32_e64 v81, 0, v82, s18
	v_add_f32_e32 v82, v90, v81
	ds_bpermute_b32 v89, v89, v82
	s_and_saveexec_b32 s4, s3
	s_cbranch_execz .LBB1374_12
; %bb.11:
	v_mul_u32_u24_e32 v67, 0x44, v66
	s_delay_alu instid0(VALU_DEP_1) | instskip(SKIP_1) | instid1(VALU_DEP_1)
	v_lshl_add_u32 v67, v65, 2, v67
	s_waitcnt lgkmcnt(0)
	v_dual_add_f32 v82, v82, v89 :: v_dual_add_nc_u32 v67, 0x4000, v67
	ds_store_2addr_b32 v67, v68, v82 offset1:136
.LBB1374_12:
	s_or_b32 exec_lo, exec_lo, s4
	v_lshlrev_b32_e32 v67, 2, v65
	s_waitcnt lgkmcnt(0)
	s_barrier
	buffer_gl0_inv
	v_cmp_eq_u32_e32 vcc_lo, 1, v66
	v_add_nc_u32_e32 v82, 0x4000, v67
	v_cmp_eq_u32_e64 s4, 2, v66
	v_cmp_eq_u32_e64 s6, 7, v66
	ds_load_2addr_b32 v[89:90], v82 offset1:17
	ds_load_2addr_b32 v[91:92], v82 offset0:34 offset1:51
	ds_load_2addr_b32 v[93:94], v82 offset0:68 offset1:85
	;; [unrolled: 1-line block ×4, first 2 shown]
	s_waitcnt lgkmcnt(4)
	v_max3_f32 v67, v89, 0xff7fffff, v90
	s_waitcnt lgkmcnt(3)
	s_delay_alu instid0(VALU_DEP_1) | instskip(SKIP_1) | instid1(VALU_DEP_1)
	v_max3_f32 v67, v67, v91, v92
	s_waitcnt lgkmcnt(2)
	v_max3_f32 v67, v67, v93, v94
	s_waitcnt lgkmcnt(1)
	s_delay_alu instid0(VALU_DEP_1) | instskip(NEXT) | instid1(VALU_DEP_1)
	v_max3_f32 v67, v67, v95, v96
	v_sub_f32_e32 v93, v93, v67
	s_delay_alu instid0(VALU_DEP_1) | instskip(NEXT) | instid1(VALU_DEP_1)
	v_dual_sub_f32 v68, v89, v67 :: v_dual_mul_f32 v103, 0x3fb8aa3b, v93
	v_mul_f32_e32 v68, 0x3fb8aa3b, v68
	s_delay_alu instid0(VALU_DEP_1)
	v_exp_f32_e32 v100, v68
	v_sub_f32_e32 v68, v92, v67
	v_sub_f32_e32 v99, v90, v67
	ds_load_2addr_b32 v[89:90], v82 offset0:170 offset1:187
	v_dual_mul_f32 v102, 0x3fb8aa3b, v68 :: v_dual_mul_f32 v99, 0x3fb8aa3b, v99
	s_waitcnt lgkmcnt(1)
	v_fma_f32 v68, v100, v97, 0
	s_delay_alu instid0(VALU_DEP_2) | instskip(NEXT) | instid1(VALU_DEP_2)
	v_exp_f32_e32 v102, v102
	v_exp_f32_e32 v99, v99
	s_waitcnt_depctr 0xfff
	v_fmac_f32_e32 v68, v99, v98
	v_sub_f32_e32 v91, v91, v67
	s_delay_alu instid0(VALU_DEP_1)
	v_mul_f32_e32 v101, 0x3fb8aa3b, v91
	ds_load_2addr_b32 v[91:92], v82 offset0:204 offset1:221
	v_sub_f32_e32 v97, v94, v67
	ds_load_2addr_b32 v[93:94], v82 offset0:238 offset1:255
	s_waitcnt lgkmcnt(0)
	v_exp_f32_e32 v101, v101
	s_barrier
	buffer_gl0_inv
	v_dual_fmac_f32 v68, v101, v89 :: v_dual_sub_f32 v89, v96, v67
	v_dual_sub_f32 v82, v95, v67 :: v_dual_mul_f32 v95, 0x3fb8aa3b, v97
	v_exp_f32_e32 v97, v103
	s_delay_alu instid0(VALU_DEP_2) | instskip(NEXT) | instid1(VALU_DEP_2)
	v_dual_fmac_f32 v68, v102, v90 :: v_dual_mul_f32 v89, 0x3fb8aa3b, v89
	v_mul_f32_e32 v82, 0x3fb8aa3b, v82
	s_delay_alu instid0(VALU_DEP_3) | instskip(NEXT) | instid1(VALU_DEP_2)
	v_exp_f32_e32 v95, v95
	v_exp_f32_e32 v89, v89
	s_delay_alu instid0(VALU_DEP_1)
	v_exp_f32_e32 v82, v82
	v_fmac_f32_e32 v68, v97, v91
	s_delay_alu instid0(TRANS32_DEP_3) | instid1(VALU_DEP_1)
	v_fmac_f32_e32 v68, v95, v92
	s_waitcnt_depctr 0xfff
	v_fmac_f32_e32 v68, v82, v93
	s_delay_alu instid0(VALU_DEP_1) | instskip(NEXT) | instid1(VALU_DEP_1)
	v_fmac_f32_e32 v68, v89, v94
	v_add_f32_e32 v90, 0x358637bd, v68
	s_delay_alu instid0(VALU_DEP_1) | instskip(NEXT) | instid1(VALU_DEP_1)
	v_div_scale_f32 v91, null, v90, v90, 1.0
	v_rcp_f32_e32 v92, v91
	s_waitcnt_depctr 0xfff
	v_fma_f32 v93, -v91, v92, 1.0
	s_delay_alu instid0(VALU_DEP_1) | instskip(SKIP_1) | instid1(VALU_DEP_2)
	v_dual_fmac_f32 v92, v93, v92 :: v_dual_cndmask_b32 v93, v100, v99
	v_cmp_eq_u32_e32 vcc_lo, 3, v66
	v_cndmask_b32_e64 v93, v93, v101, s4
	v_cmp_eq_u32_e64 s4, 4, v66
	s_delay_alu instid0(VALU_DEP_2) | instskip(SKIP_1) | instid1(VALU_DEP_2)
	v_cndmask_b32_e32 v93, v93, v102, vcc_lo
	v_cmp_eq_u32_e32 vcc_lo, 5, v66
	v_cndmask_b32_e64 v93, v93, v97, s4
	v_cmp_eq_u32_e64 s4, 6, v66
	s_delay_alu instid0(VALU_DEP_2) | instskip(SKIP_1) | instid1(VALU_DEP_1)
	v_cndmask_b32_e32 v93, v93, v95, vcc_lo
	v_div_scale_f32 v94, s5, 1.0, v90, 1.0
	s_mov_b32 vcc_lo, s5
	s_delay_alu instid0(VALU_DEP_2) | instskip(NEXT) | instid1(VALU_DEP_2)
	v_cndmask_b32_e64 v82, v93, v82, s4
	v_mul_f32_e32 v96, v94, v92
	s_mov_b32 s4, exec_lo
	s_delay_alu instid0(VALU_DEP_2) | instskip(NEXT) | instid1(VALU_DEP_2)
	v_cndmask_b32_e64 v82, v82, v89, s6
	v_fma_f32 v98, -v91, v96, v94
	s_delay_alu instid0(VALU_DEP_1) | instskip(NEXT) | instid1(VALU_DEP_1)
	v_fmac_f32_e32 v96, v98, v92
	v_fma_f32 v91, -v91, v96, v94
	s_delay_alu instid0(VALU_DEP_1) | instskip(NEXT) | instid1(VALU_DEP_1)
	v_div_fmas_f32 v91, v91, v92, v96
	v_div_fixup_f32 v90, v91, v90, 1.0
	s_delay_alu instid0(VALU_DEP_1) | instskip(NEXT) | instid1(VALU_DEP_1)
	v_mul_f32_e32 v82, v82, v90
	v_mul_f32_e32 v87, v82, v87
	v_mul_f32_e32 v90, v82, v80
	v_mul_f32_e32 v80, v82, v88
	v_mul_f32_e32 v84, v82, v84
	v_mul_f32_e32 v88, v82, v86
	v_mul_f32_e32 v89, v82, v85
	v_dual_mul_f32 v86, v82, v83 :: v_dual_and_b32 v91, 0x7f800000, v90
	v_mul_f32_e32 v85, v82, v76
                                        ; implicit-def: $vgpr76
	s_delay_alu instid0(VALU_DEP_2)
	v_cmpx_ne_u32_e32 0x7f800000, v91
	s_xor_b32 s4, exec_lo, s4
; %bb.13:
	v_bfe_u32 v76, v90, 16, 1
	s_delay_alu instid0(VALU_DEP_1)
	v_add3_u32 v76, v90, v76, 0x7fff
                                        ; implicit-def: $vgpr90
; %bb.14:
	s_and_not1_saveexec_b32 s4, s4
; %bb.15:
	v_and_b32_e32 v76, 0xffff, v90
	v_or_b32_e32 v83, 0x10000, v90
	s_delay_alu instid0(VALU_DEP_2) | instskip(NEXT) | instid1(VALU_DEP_2)
	v_cmp_eq_u32_e32 vcc_lo, 0, v76
	v_cndmask_b32_e32 v76, v83, v90, vcc_lo
; %bb.16:
	s_or_b32 exec_lo, exec_lo, s4
	v_and_b32_e32 v83, 0x7f800000, v85
	s_delay_alu instid0(VALU_DEP_1) | instskip(SKIP_1) | instid1(SALU_CYCLE_1)
	v_cmp_ne_u32_e32 vcc_lo, 0x7f800000, v83
                                        ; implicit-def: $vgpr83
	s_and_saveexec_b32 s4, vcc_lo
	s_xor_b32 s4, exec_lo, s4
; %bb.17:
	v_bfe_u32 v83, v85, 16, 1
	s_delay_alu instid0(VALU_DEP_1)
	v_add3_u32 v83, v85, v83, 0x7fff
                                        ; implicit-def: $vgpr85
; %bb.18:
	s_and_not1_saveexec_b32 s4, s4
; %bb.19:
	v_and_b32_e32 v83, 0xffff, v85
	v_or_b32_e32 v90, 0x10000, v85
	s_delay_alu instid0(VALU_DEP_2) | instskip(NEXT) | instid1(VALU_DEP_2)
	v_cmp_eq_u32_e32 vcc_lo, 0, v83
	v_cndmask_b32_e32 v83, v90, v85, vcc_lo
; %bb.20:
	s_or_b32 exec_lo, exec_lo, s4
	v_and_b32_e32 v85, 0x7f800000, v86
	s_delay_alu instid0(VALU_DEP_1) | instskip(SKIP_1) | instid1(SALU_CYCLE_1)
	v_cmp_ne_u32_e32 vcc_lo, 0x7f800000, v85
                                        ; implicit-def: $vgpr85
	s_and_saveexec_b32 s4, vcc_lo
	s_xor_b32 s4, exec_lo, s4
; %bb.21:
	v_bfe_u32 v85, v86, 16, 1
	s_delay_alu instid0(VALU_DEP_1)
	v_add3_u32 v85, v86, v85, 0x7fff
                                        ; implicit-def: $vgpr86
; %bb.22:
	s_and_not1_saveexec_b32 s4, s4
; %bb.23:
	v_and_b32_e32 v85, 0xffff, v86
	v_or_b32_e32 v90, 0x10000, v86
	s_delay_alu instid0(VALU_DEP_2) | instskip(NEXT) | instid1(VALU_DEP_2)
	v_cmp_eq_u32_e32 vcc_lo, 0, v85
	v_cndmask_b32_e32 v85, v90, v86, vcc_lo
; %bb.24:
	s_or_b32 exec_lo, exec_lo, s4
	v_and_b32_e32 v86, 0x7f800000, v89
	s_delay_alu instid0(VALU_DEP_1) | instskip(SKIP_1) | instid1(SALU_CYCLE_1)
	v_cmp_ne_u32_e32 vcc_lo, 0x7f800000, v86
                                        ; implicit-def: $vgpr86
	s_and_saveexec_b32 s4, vcc_lo
	s_xor_b32 s4, exec_lo, s4
; %bb.25:
	v_bfe_u32 v86, v89, 16, 1
	s_delay_alu instid0(VALU_DEP_1)
	v_add3_u32 v86, v89, v86, 0x7fff
                                        ; implicit-def: $vgpr89
; %bb.26:
	s_and_not1_saveexec_b32 s4, s4
; %bb.27:
	v_and_b32_e32 v86, 0xffff, v89
	v_or_b32_e32 v90, 0x10000, v89
	s_delay_alu instid0(VALU_DEP_2) | instskip(NEXT) | instid1(VALU_DEP_2)
	v_cmp_eq_u32_e32 vcc_lo, 0, v86
	v_cndmask_b32_e32 v86, v90, v89, vcc_lo
; %bb.28:
	s_or_b32 exec_lo, exec_lo, s4
	v_and_b32_e32 v89, 0x7f800000, v88
	s_delay_alu instid0(VALU_DEP_1) | instskip(SKIP_1) | instid1(SALU_CYCLE_1)
	v_cmp_ne_u32_e32 vcc_lo, 0x7f800000, v89
                                        ; implicit-def: $vgpr89
	s_and_saveexec_b32 s4, vcc_lo
	s_xor_b32 s4, exec_lo, s4
; %bb.29:
	v_bfe_u32 v89, v88, 16, 1
	s_delay_alu instid0(VALU_DEP_1)
	v_add3_u32 v89, v88, v89, 0x7fff
                                        ; implicit-def: $vgpr88
; %bb.30:
	s_and_not1_saveexec_b32 s4, s4
; %bb.31:
	v_and_b32_e32 v89, 0xffff, v88
	v_or_b32_e32 v90, 0x10000, v88
	s_delay_alu instid0(VALU_DEP_2) | instskip(NEXT) | instid1(VALU_DEP_2)
	v_cmp_eq_u32_e32 vcc_lo, 0, v89
	v_cndmask_b32_e32 v89, v90, v88, vcc_lo
; %bb.32:
	s_or_b32 exec_lo, exec_lo, s4
	v_and_b32_e32 v88, 0x7f800000, v87
	s_delay_alu instid0(VALU_DEP_1) | instskip(SKIP_1) | instid1(SALU_CYCLE_1)
	v_cmp_ne_u32_e32 vcc_lo, 0x7f800000, v88
                                        ; implicit-def: $vgpr88
	s_and_saveexec_b32 s4, vcc_lo
	s_xor_b32 s4, exec_lo, s4
; %bb.33:
	v_bfe_u32 v88, v87, 16, 1
	s_delay_alu instid0(VALU_DEP_1)
	v_add3_u32 v88, v87, v88, 0x7fff
                                        ; implicit-def: $vgpr87
; %bb.34:
	s_and_not1_saveexec_b32 s4, s4
; %bb.35:
	v_and_b32_e32 v88, 0xffff, v87
	v_or_b32_e32 v90, 0x10000, v87
	s_delay_alu instid0(VALU_DEP_2) | instskip(NEXT) | instid1(VALU_DEP_2)
	v_cmp_eq_u32_e32 vcc_lo, 0, v88
	v_cndmask_b32_e32 v88, v90, v87, vcc_lo
; %bb.36:
	s_or_b32 exec_lo, exec_lo, s4
	v_and_b32_e32 v87, 0x7f800000, v84
	s_delay_alu instid0(VALU_DEP_1) | instskip(SKIP_1) | instid1(SALU_CYCLE_1)
	v_cmp_ne_u32_e32 vcc_lo, 0x7f800000, v87
                                        ; implicit-def: $vgpr87
	s_and_saveexec_b32 s4, vcc_lo
	s_xor_b32 s4, exec_lo, s4
; %bb.37:
	v_bfe_u32 v87, v84, 16, 1
	s_delay_alu instid0(VALU_DEP_1)
	v_add3_u32 v87, v84, v87, 0x7fff
                                        ; implicit-def: $vgpr84
; %bb.38:
	s_and_not1_saveexec_b32 s4, s4
; %bb.39:
	v_and_b32_e32 v87, 0xffff, v84
	v_or_b32_e32 v90, 0x10000, v84
	s_delay_alu instid0(VALU_DEP_2) | instskip(NEXT) | instid1(VALU_DEP_2)
	v_cmp_eq_u32_e32 vcc_lo, 0, v87
	v_cndmask_b32_e32 v87, v90, v84, vcc_lo
; %bb.40:
	s_or_b32 exec_lo, exec_lo, s4
	v_and_b32_e32 v84, 0x7f800000, v80
	s_delay_alu instid0(VALU_DEP_1) | instskip(SKIP_1) | instid1(SALU_CYCLE_1)
	v_cmp_ne_u32_e32 vcc_lo, 0x7f800000, v84
                                        ; implicit-def: $vgpr84
	s_and_saveexec_b32 s4, vcc_lo
	s_xor_b32 s4, exec_lo, s4
; %bb.41:
	v_bfe_u32 v84, v80, 16, 1
	s_delay_alu instid0(VALU_DEP_1)
	v_add3_u32 v84, v80, v84, 0x7fff
                                        ; implicit-def: $vgpr80
; %bb.42:
	s_and_not1_saveexec_b32 s4, s4
; %bb.43:
	v_and_b32_e32 v84, 0xffff, v80
	v_or_b32_e32 v90, 0x10000, v80
	s_delay_alu instid0(VALU_DEP_2) | instskip(NEXT) | instid1(VALU_DEP_2)
	v_cmp_eq_u32_e32 vcc_lo, 0, v84
	v_cndmask_b32_e32 v84, v90, v80, vcc_lo
; %bb.44:
	s_or_b32 exec_lo, exec_lo, s4
	s_load_b64 s[36:37], s[0:1], 0x94
	v_lshlrev_b32_e32 v91, 4, v74
	s_delay_alu instid0(VALU_DEP_2)
	v_perm_b32 v90, v84, v87, 0x7060302
	v_dual_mul_f32 v79, v82, v79 :: v_dual_lshlrev_b32 v80, 6, v65
	v_dual_mul_f32 v77, v82, v77 :: v_dual_lshlrev_b32 v92, 11, v66
	v_mul_f32_e32 v84, v82, v70
	v_perm_b32 v89, v88, v89, 0x7060302
	v_perm_b32 v88, v86, v85, 0x7060302
	;; [unrolled: 1-line block ×3, first 2 shown]
	v_mul_f32_e32 v70, v82, v81
	v_or3_b32 v76, v91, v92, v80
	v_dual_mul_f32 v78, v82, v78 :: v_dual_and_b32 v85, 0x7f800000, v84
	v_mul_f32_e32 v83, v82, v72
	v_mul_f32_e32 v81, v82, v71
	;; [unrolled: 1-line block ×3, first 2 shown]
	s_mov_b32 s4, exec_lo
	ds_store_b128 v76, v[87:90]
                                        ; implicit-def: $vgpr69
	v_cmpx_ne_u32_e32 0x7f800000, v85
	s_xor_b32 s4, exec_lo, s4
; %bb.45:
	v_bfe_u32 v69, v84, 16, 1
	s_delay_alu instid0(VALU_DEP_1)
	v_add3_u32 v69, v84, v69, 0x7fff
                                        ; implicit-def: $vgpr84
; %bb.46:
	s_and_not1_saveexec_b32 s4, s4
; %bb.47:
	v_and_b32_e32 v69, 0xffff, v84
	v_or_b32_e32 v71, 0x10000, v84
	s_delay_alu instid0(VALU_DEP_2) | instskip(NEXT) | instid1(VALU_DEP_2)
	v_cmp_eq_u32_e32 vcc_lo, 0, v69
	v_cndmask_b32_e32 v69, v71, v84, vcc_lo
; %bb.48:
	s_or_b32 exec_lo, exec_lo, s4
	v_and_b32_e32 v71, 0x7f800000, v72
	s_delay_alu instid0(VALU_DEP_1) | instskip(SKIP_1) | instid1(SALU_CYCLE_1)
	v_cmp_ne_u32_e32 vcc_lo, 0x7f800000, v71
                                        ; implicit-def: $vgpr71
	s_and_saveexec_b32 s4, vcc_lo
	s_xor_b32 s4, exec_lo, s4
; %bb.49:
	v_bfe_u32 v71, v72, 16, 1
	s_delay_alu instid0(VALU_DEP_1)
	v_add3_u32 v71, v72, v71, 0x7fff
                                        ; implicit-def: $vgpr72
; %bb.50:
	s_and_not1_saveexec_b32 s4, s4
; %bb.51:
	v_and_b32_e32 v71, 0xffff, v72
	v_or_b32_e32 v82, 0x10000, v72
	s_delay_alu instid0(VALU_DEP_2) | instskip(NEXT) | instid1(VALU_DEP_2)
	v_cmp_eq_u32_e32 vcc_lo, 0, v71
	v_cndmask_b32_e32 v71, v82, v72, vcc_lo
; %bb.52:
	s_or_b32 exec_lo, exec_lo, s4
	v_and_b32_e32 v72, 0x7f800000, v81
	s_delay_alu instid0(VALU_DEP_1) | instskip(SKIP_1) | instid1(SALU_CYCLE_1)
	v_cmp_ne_u32_e32 vcc_lo, 0x7f800000, v72
                                        ; implicit-def: $vgpr72
	s_and_saveexec_b32 s4, vcc_lo
	s_xor_b32 s4, exec_lo, s4
; %bb.53:
	v_bfe_u32 v72, v81, 16, 1
	s_delay_alu instid0(VALU_DEP_1)
	v_add3_u32 v72, v81, v72, 0x7fff
                                        ; implicit-def: $vgpr81
; %bb.54:
	s_and_not1_saveexec_b32 s4, s4
; %bb.55:
	v_and_b32_e32 v72, 0xffff, v81
	v_or_b32_e32 v82, 0x10000, v81
	s_delay_alu instid0(VALU_DEP_2) | instskip(NEXT) | instid1(VALU_DEP_2)
	v_cmp_eq_u32_e32 vcc_lo, 0, v72
	v_cndmask_b32_e32 v72, v82, v81, vcc_lo
; %bb.56:
	s_or_b32 exec_lo, exec_lo, s4
	v_and_b32_e32 v81, 0x7f800000, v83
	s_delay_alu instid0(VALU_DEP_1) | instskip(SKIP_1) | instid1(SALU_CYCLE_1)
	v_cmp_ne_u32_e32 vcc_lo, 0x7f800000, v81
                                        ; implicit-def: $vgpr81
	s_and_saveexec_b32 s4, vcc_lo
	s_xor_b32 s4, exec_lo, s4
; %bb.57:
	v_bfe_u32 v81, v83, 16, 1
	s_delay_alu instid0(VALU_DEP_1)
	v_add3_u32 v81, v83, v81, 0x7fff
                                        ; implicit-def: $vgpr83
; %bb.58:
	s_and_not1_saveexec_b32 s4, s4
; %bb.59:
	v_and_b32_e32 v81, 0xffff, v83
	v_or_b32_e32 v82, 0x10000, v83
	s_delay_alu instid0(VALU_DEP_2) | instskip(NEXT) | instid1(VALU_DEP_2)
	v_cmp_eq_u32_e32 vcc_lo, 0, v81
	v_cndmask_b32_e32 v81, v82, v83, vcc_lo
; %bb.60:
	s_or_b32 exec_lo, exec_lo, s4
	v_and_b32_e32 v82, 0x7f800000, v77
	s_delay_alu instid0(VALU_DEP_1) | instskip(SKIP_1) | instid1(SALU_CYCLE_1)
	v_cmp_ne_u32_e32 vcc_lo, 0x7f800000, v82
                                        ; implicit-def: $vgpr82
	s_and_saveexec_b32 s4, vcc_lo
	s_xor_b32 s4, exec_lo, s4
; %bb.61:
	v_bfe_u32 v82, v77, 16, 1
	s_delay_alu instid0(VALU_DEP_1)
	v_add3_u32 v82, v77, v82, 0x7fff
                                        ; implicit-def: $vgpr77
; %bb.62:
	s_and_not1_saveexec_b32 s4, s4
; %bb.63:
	v_and_b32_e32 v82, 0xffff, v77
	v_or_b32_e32 v83, 0x10000, v77
	s_delay_alu instid0(VALU_DEP_2) | instskip(NEXT) | instid1(VALU_DEP_2)
	v_cmp_eq_u32_e32 vcc_lo, 0, v82
	v_cndmask_b32_e32 v82, v83, v77, vcc_lo
; %bb.64:
	s_or_b32 exec_lo, exec_lo, s4
	v_and_b32_e32 v77, 0x7f800000, v78
	s_delay_alu instid0(VALU_DEP_1) | instskip(SKIP_1) | instid1(SALU_CYCLE_1)
	v_cmp_ne_u32_e32 vcc_lo, 0x7f800000, v77
                                        ; implicit-def: $vgpr77
	s_and_saveexec_b32 s4, vcc_lo
	s_xor_b32 s4, exec_lo, s4
; %bb.65:
	v_bfe_u32 v77, v78, 16, 1
	s_delay_alu instid0(VALU_DEP_1)
	v_add3_u32 v77, v78, v77, 0x7fff
                                        ; implicit-def: $vgpr78
; %bb.66:
	s_and_not1_saveexec_b32 s4, s4
; %bb.67:
	v_and_b32_e32 v77, 0xffff, v78
	v_or_b32_e32 v83, 0x10000, v78
	s_delay_alu instid0(VALU_DEP_2) | instskip(NEXT) | instid1(VALU_DEP_2)
	v_cmp_eq_u32_e32 vcc_lo, 0, v77
	v_cndmask_b32_e32 v77, v83, v78, vcc_lo
; %bb.68:
	s_or_b32 exec_lo, exec_lo, s4
	v_and_b32_e32 v78, 0x7f800000, v79
	s_delay_alu instid0(VALU_DEP_1) | instskip(SKIP_1) | instid1(SALU_CYCLE_1)
	v_cmp_ne_u32_e32 vcc_lo, 0x7f800000, v78
                                        ; implicit-def: $vgpr78
	s_and_saveexec_b32 s4, vcc_lo
	s_xor_b32 s4, exec_lo, s4
; %bb.69:
	v_bfe_u32 v78, v79, 16, 1
	s_delay_alu instid0(VALU_DEP_1)
	v_add3_u32 v78, v79, v78, 0x7fff
                                        ; implicit-def: $vgpr79
; %bb.70:
	s_and_not1_saveexec_b32 s4, s4
; %bb.71:
	v_and_b32_e32 v78, 0xffff, v79
	v_or_b32_e32 v83, 0x10000, v79
	s_delay_alu instid0(VALU_DEP_2) | instskip(NEXT) | instid1(VALU_DEP_2)
	v_cmp_eq_u32_e32 vcc_lo, 0, v78
	v_cndmask_b32_e32 v78, v83, v79, vcc_lo
; %bb.72:
	s_or_b32 exec_lo, exec_lo, s4
	v_and_b32_e32 v79, 0x7f800000, v70
	s_delay_alu instid0(VALU_DEP_1) | instskip(SKIP_1) | instid1(SALU_CYCLE_1)
	v_cmp_ne_u32_e32 vcc_lo, 0x7f800000, v79
                                        ; implicit-def: $vgpr79
	s_and_saveexec_b32 s4, vcc_lo
	s_xor_b32 s4, exec_lo, s4
; %bb.73:
	v_bfe_u32 v79, v70, 16, 1
	s_delay_alu instid0(VALU_DEP_1)
	v_add3_u32 v79, v70, v79, 0x7fff
                                        ; implicit-def: $vgpr70
; %bb.74:
	s_and_not1_saveexec_b32 s4, s4
; %bb.75:
	v_and_b32_e32 v79, 0xffff, v70
	v_or_b32_e32 v83, 0x10000, v70
	s_delay_alu instid0(VALU_DEP_2) | instskip(NEXT) | instid1(VALU_DEP_2)
	v_cmp_eq_u32_e32 vcc_lo, 0, v79
	v_cndmask_b32_e32 v79, v83, v70, vcc_lo
; %bb.76:
	s_or_b32 exec_lo, exec_lo, s4
	s_delay_alu instid0(VALU_DEP_1)
	v_perm_b32 v86, v79, v78, 0x7060302
	v_perm_b32 v85, v77, v82, 0x7060302
	;; [unrolled: 1-line block ×4, first 2 shown]
	v_lshl_or_b32 v82, v66, 11, v80
	ds_store_b128 v76, v[83:86] offset:1024
	s_waitcnt lgkmcnt(0)
	s_barrier
	buffer_gl0_inv
	ds_load_b128 v[69:72], v82
	ds_load_b128 v[83:86], v82 offset:16
	s_waitcnt lgkmcnt(1)
	v_lshrrev_b32_e32 v66, 16, v69
	s_waitcnt lgkmcnt(0)
	v_lshrrev_b32_e32 v91, 16, v83
	v_lshlrev_b32_e32 v78, 2, v74
	v_lshrrev_b32_e32 v95, 16, v70
	v_lshrrev_b32_e32 v98, 16, v84
	v_lshrrev_b32_e32 v96, 16, v71
	v_lshrrev_b32_e32 v99, 16, v85
	v_cmp_eq_u32_e32 vcc_lo, 1, v78
	v_lshrrev_b32_e32 v97, 16, v72
	v_lshrrev_b32_e32 v100, 16, v86
	v_cndmask_b32_e32 v87, v83, v91, vcc_lo
	v_or_b32_e32 v79, 1, v78
	v_cndmask_b32_e32 v81, v69, v66, vcc_lo
	v_cmp_eq_u32_e64 s5, 2, v78
	v_cmp_eq_u32_e64 s8, 3, v78
	;; [unrolled: 1-line block ×5, first 2 shown]
	v_cndmask_b32_e64 v81, v81, v70, s5
	v_cndmask_b32_e64 v87, v87, v84, s5
	v_cmp_eq_u32_e64 s9, 3, v79
	v_cndmask_b32_e64 v88, v69, v66, s4
	v_or_b32_e32 v77, 2, v78
	v_cndmask_b32_e64 v81, v81, v95, s8
	v_cndmask_b32_e64 v87, v87, v98, s8
	;; [unrolled: 1-line block ×4, first 2 shown]
	v_cmp_eq_u32_e64 s11, 5, v78
	v_cndmask_b32_e64 v81, v81, v71, s10
	v_cndmask_b32_e64 v87, v87, v85, s10
	v_cmp_eq_u32_e64 s12, 4, v79
	v_cndmask_b32_e64 v88, v88, v95, s9
	v_cmp_eq_u32_e64 s6, 1, v77
	v_cndmask_b32_e64 v89, v89, v84, s7
	v_cndmask_b32_e64 v81, v81, v96, s11
	v_cmp_eq_u32_e64 s13, 6, v78
	v_cndmask_b32_e64 v88, v88, v71, s12
	;; [unrolled: 3-line block ×3, first 2 shown]
	v_cndmask_b32_e64 v89, v89, v98, s9
	v_cndmask_b32_e64 v81, v81, v72, s13
	v_cmp_eq_u32_e64 s16, 7, v78
	v_cndmask_b32_e64 v88, v88, v96, s15
	v_cndmask_b32_e64 v87, v87, v86, s13
	v_cmp_eq_u32_e64 s17, 6, v79
	v_cmp_eq_u32_e64 s18, 2, v77
	v_cndmask_b32_e64 v89, v89, v85, s12
	v_cndmask_b32_e64 v101, v81, v97, s16
	;; [unrolled: 1-line block ×6, first 2 shown]
	v_cmp_eq_u32_e64 s19, 7, v79
	v_cmp_eq_u32_e64 s20, 3, v77
	;; [unrolled: 1-line block ×4, first 2 shown]
	v_cndmask_b32_e64 v87, v87, v84, s18
	v_cndmask_b32_e64 v103, v88, v97, s19
	;; [unrolled: 1-line block ×4, first 2 shown]
	v_or_b32_e32 v81, 3, v78
	v_cndmask_b32_e64 v93, v87, v98, s20
	v_cmp_eq_u32_e64 s25, 6, v77
	v_cndmask_b32_e64 v104, v88, v86, s17
	v_cndmask_b32_e64 v92, v89, v71, s21
	v_cmp_eq_u32_e64 s22, 1, v81
	ds_load_b128 v[87:90], v82 offset:1024
	v_cmp_eq_u32_e64 s24, 2, v81
	v_cmp_eq_u32_e64 s26, 3, v81
	v_cndmask_b32_e64 v105, v92, v96, s23
	v_cndmask_b32_e64 v66, v69, v66, s22
	;; [unrolled: 1-line block ×4, first 2 shown]
	ds_load_b128 v[91:94], v82 offset:1040
	v_cmp_eq_u32_e64 s27, 4, v81
	v_cndmask_b32_e64 v66, v66, v70, s24
	v_cmp_eq_u32_e64 s28, 7, v77
	v_cndmask_b32_e64 v70, v83, v84, s24
	v_cndmask_b32_e64 v84, v105, v72, s25
	v_cmp_eq_u32_e64 s29, 5, v81
	v_cndmask_b32_e64 v66, v66, v95, s26
	v_cmp_eq_u32_e64 s30, 6, v81
	v_cndmask_b32_e64 v70, v70, v98, s26
	v_cndmask_b32_e64 v69, v69, v99, s23
	;; [unrolled: 1-line block ×4, first 2 shown]
	s_waitcnt lgkmcnt(1)
	v_lshrrev_b32_e32 v95, 16, v87
	v_cndmask_b32_e64 v70, v70, v85, s27
	v_cndmask_b32_e64 v71, v84, v97, s28
	;; [unrolled: 1-line block ×4, first 2 shown]
	v_cndmask_b32_e32 v84, v87, v95, vcc_lo
	v_cndmask_b32_e64 v70, v70, v99, s29
	s_waitcnt lgkmcnt(0)
	v_lshrrev_b32_e32 v85, 16, v91
	v_lshrrev_b32_e32 v96, 16, v88
	v_cndmask_b32_e64 v98, v87, v95, s4
	v_cndmask_b32_e64 v84, v84, v88, s5
	;; [unrolled: 1-line block ×3, first 2 shown]
	v_cndmask_b32_e32 v99, v91, v85, vcc_lo
	v_cmp_eq_u32_e32 vcc_lo, 7, v81
	v_cndmask_b32_e64 v66, v66, v72, s30
	v_cndmask_b32_e64 v72, v84, v96, s8
	;; [unrolled: 1-line block ×3, first 2 shown]
	v_lshrrev_b32_e32 v98, 16, v92
	v_cndmask_b32_e32 v70, v70, v100, vcc_lo
	v_cndmask_b32_e64 v86, v99, v92, s5
	v_cndmask_b32_e64 v69, v69, v100, s28
	v_lshrrev_b32_e32 v100, 16, v93
	v_cndmask_b32_e64 v72, v72, v89, s10
	v_lshrrev_b32_e32 v99, 16, v89
	v_cndmask_b32_e64 v86, v86, v98, s8
	v_perm_b32 v71, v69, v71, 0x5040100
	v_cndmask_b32_e64 v84, v84, v96, s9
	s_delay_alu instid0(VALU_DEP_3) | instskip(NEXT) | instid1(VALU_DEP_2)
	v_cndmask_b32_e64 v86, v86, v93, s10
	v_cndmask_b32_e64 v84, v84, v89, s12
	s_delay_alu instid0(VALU_DEP_2) | instskip(NEXT) | instid1(VALU_DEP_1)
	v_cndmask_b32_e64 v86, v86, v100, s11
	v_cndmask_b32_e64 v69, v86, v94, s13
	;; [unrolled: 1-line block ×5, first 2 shown]
	s_delay_alu instid0(VALU_DEP_3) | instskip(NEXT) | instid1(VALU_DEP_3)
	v_cndmask_b32_e64 v86, v86, v88, s18
	v_cndmask_b32_e64 v87, v87, v88, s24
	s_delay_alu instid0(VALU_DEP_3) | instskip(NEXT) | instid1(VALU_DEP_3)
	v_cndmask_b32_e64 v88, v95, v92, s24
	v_cndmask_b32_e64 v86, v86, v96, s20
	;; [unrolled: 3-line block ×7, first 2 shown]
	s_delay_alu instid0(VALU_DEP_3) | instskip(SKIP_2) | instid1(VALU_DEP_2)
	v_cndmask_b32_e64 v88, v88, v94, s30
	v_cndmask_b32_e32 v66, v66, v97, vcc_lo
	v_cndmask_b32_e64 v97, v72, v99, s11
	v_perm_b32 v72, v70, v66, 0x5040100
	v_perm_b32 v70, v83, v103, 0x5040100
	v_cndmask_b32_e64 v103, v91, v85, s6
	v_cndmask_b32_e64 v85, v91, v85, s4
	;; [unrolled: 1-line block ×4, first 2 shown]
	v_lshrrev_b32_e32 v97, 16, v90
	v_cndmask_b32_e64 v91, v103, v92, s18
	v_cndmask_b32_e64 v85, v85, v92, s7
	;; [unrolled: 1-line block ×3, first 2 shown]
	s_mov_b32 s4, exec_lo
	v_cndmask_b32_e64 v83, v84, v97, s16
	v_cndmask_b32_e64 v91, v91, v98, s20
	;; [unrolled: 1-line block ×3, first 2 shown]
	v_lshrrev_b32_e32 v84, 16, v94
	v_cndmask_b32_e64 v66, v66, v97, s19
	v_cndmask_b32_e64 v90, v86, v97, s28
	;; [unrolled: 1-line block ×4, first 2 shown]
	v_dual_cndmask_b32 v86, v87, v97 :: v_dual_cndmask_b32 v87, v88, v84
	v_cndmask_b32_e64 v91, v69, v84, s16
	s_delay_alu instid0(VALU_DEP_4) | instskip(NEXT) | instid1(VALU_DEP_4)
	v_cndmask_b32_e64 v89, v89, v100, s23
	v_cndmask_b32_e64 v85, v85, v100, s15
	v_perm_b32 v69, v102, v101, 0x5040100
	v_perm_b32 v86, v87, v86, 0x5040100
	;; [unrolled: 1-line block ×3, first 2 shown]
	v_cndmask_b32_e64 v89, v89, v94, s25
	v_cndmask_b32_e64 v85, v85, v94, s17
	s_mul_i32 s9, s37, 9
	s_delay_alu instid0(VALU_DEP_2) | instskip(NEXT) | instid1(VALU_DEP_2)
	v_cndmask_b32_e64 v88, v89, v84, s28
	v_cndmask_b32_e64 v89, v85, v84, s19
	s_delay_alu instid0(VALU_DEP_2) | instskip(NEXT) | instid1(VALU_DEP_2)
	v_perm_b32 v85, v88, v90, 0x5040100
	v_perm_b32 v84, v89, v66, 0x5040100
	ds_store_b128 v76, v[69:72]
	ds_store_b128 v76, v[83:86] offset:1024
	v_cmpx_gt_u32_e32 9, v0
	s_cbranch_execz .LBB1374_78
; %bb.77:
	s_mul_i32 s5, s9, s34
	s_load_b128 s[16:19], s[0:1], 0x58
	v_add3_u32 v69, s5, s31, v65
	s_delay_alu instid0(VALU_DEP_1) | instskip(NEXT) | instid1(VALU_DEP_1)
	v_mad_u64_u32 v[65:66], null, v69, s36, s[14:15]
	v_ashrrev_i32_e32 v66, 31, v65
	s_delay_alu instid0(VALU_DEP_1) | instskip(SKIP_1) | instid1(VALU_DEP_1)
	v_lshlrev_b64 v[65:66], 2, v[65:66]
	s_waitcnt lgkmcnt(0)
	v_add_co_u32 v69, vcc_lo, s18, v65
	s_delay_alu instid0(VALU_DEP_2)
	v_add_co_ci_u32_e32 v70, vcc_lo, s19, v66, vcc_lo
	v_add_co_u32 v65, vcc_lo, s16, v65
	v_add_co_ci_u32_e32 v66, vcc_lo, s17, v66, vcc_lo
	global_store_b32 v[69:70], v67, off
	global_store_b32 v[65:66], v68, off
.LBB1374_78:
	s_or_b32 exec_lo, exec_lo, s4
	s_waitcnt lgkmcnt(0)
	s_waitcnt_vscnt null, 0x0
	s_barrier
	buffer_gl0_inv
	ds_load_b128 v[83:86], v80
	ds_load_b128 v[87:90], v80 offset:16
	ds_load_b128 v[95:98], v80 offset:2064
	;; [unrolled: 1-line block ×3, first 2 shown]
	v_mov_b32_e32 v65, 0
	ds_load_b128 v[103:106], v80 offset:4112
	ds_load_b128 v[99:102], v80 offset:4096
	;; [unrolled: 1-line block ×4, first 2 shown]
	v_mov_b32_e32 v66, v65
	v_mov_b32_e32 v67, v65
	;; [unrolled: 1-line block ×7, first 2 shown]
	s_waitcnt lgkmcnt(6)
	s_delay_alu instid0(VALU_DEP_1)
	v_wmma_f32_16x16x16_bf16 v[65:72], v[57:64], v[83:90], v[65:72]
	ds_load_b128 v[61:64], v80 offset:8208
	ds_load_b128 v[57:60], v80 offset:8192
	s_waitcnt lgkmcnt(6)
	v_wmma_f32_16x16x16_bf16 v[65:72], v[41:48], v[91:98], v[65:72]
	ds_load_b128 v[45:48], v80 offset:10256
	ds_load_b128 v[41:44], v80 offset:10240
	s_waitcnt lgkmcnt(6)
	;; [unrolled: 4-line block ×4, first 2 shown]
	v_wmma_f32_16x16x16_bf16 v[65:72], v[1:8], v[57:64], v[65:72]
	s_waitcnt lgkmcnt(4)
	s_delay_alu instid0(VALU_DEP_1) | instskip(SKIP_1) | instid1(VALU_DEP_1)
	v_wmma_f32_16x16x16_bf16 v[65:72], v[9:16], v[41:48], v[65:72]
	s_waitcnt lgkmcnt(2)
	v_wmma_f32_16x16x16_bf16 v[65:72], v[17:24], v[33:40], v[65:72]
	s_waitcnt lgkmcnt(0)
	s_delay_alu instid0(VALU_DEP_1) | instskip(NEXT) | instid1(VALU_DEP_1)
	v_wmma_f32_16x16x16_bf16 v[65:72], v[49:56], v[25:32], v[65:72]
	v_and_b32_e32 v1, 0x7f800000, v65
	s_delay_alu instid0(VALU_DEP_1) | instskip(SKIP_1) | instid1(SALU_CYCLE_1)
	v_cmp_ne_u32_e32 vcc_lo, 0x7f800000, v1
                                        ; implicit-def: $vgpr1
	s_and_saveexec_b32 s4, vcc_lo
	s_xor_b32 s4, exec_lo, s4
; %bb.79:
	v_bfe_u32 v1, v65, 16, 1
	s_delay_alu instid0(VALU_DEP_1)
	v_add3_u32 v1, v65, v1, 0x7fff
; %bb.80:
	s_and_not1_saveexec_b32 s4, s4
; %bb.81:
	v_and_b32_e32 v1, 0xffff, v65
	v_or_b32_e32 v2, 0x10000, v65
	s_delay_alu instid0(VALU_DEP_2) | instskip(NEXT) | instid1(VALU_DEP_2)
	v_cmp_eq_u32_e32 vcc_lo, 0, v1
	v_cndmask_b32_e32 v1, v2, v65, vcc_lo
; %bb.82:
	s_or_b32 exec_lo, exec_lo, s4
	v_and_b32_e32 v2, 0x7f800000, v66
	s_delay_alu instid0(VALU_DEP_1) | instskip(SKIP_1) | instid1(SALU_CYCLE_1)
	v_cmp_ne_u32_e32 vcc_lo, 0x7f800000, v2
                                        ; implicit-def: $vgpr2
	s_and_saveexec_b32 s4, vcc_lo
	s_xor_b32 s4, exec_lo, s4
; %bb.83:
	v_bfe_u32 v2, v66, 16, 1
	s_delay_alu instid0(VALU_DEP_1)
	v_add3_u32 v2, v66, v2, 0x7fff
; %bb.84:
	s_and_not1_saveexec_b32 s4, s4
; %bb.85:
	v_and_b32_e32 v2, 0xffff, v66
	v_or_b32_e32 v3, 0x10000, v66
	s_delay_alu instid0(VALU_DEP_2) | instskip(NEXT) | instid1(VALU_DEP_2)
	v_cmp_eq_u32_e32 vcc_lo, 0, v2
	v_cndmask_b32_e32 v2, v3, v66, vcc_lo
; %bb.86:
	s_or_b32 exec_lo, exec_lo, s4
	v_and_b32_e32 v3, 0x7f800000, v67
	s_delay_alu instid0(VALU_DEP_1) | instskip(SKIP_1) | instid1(SALU_CYCLE_1)
	v_cmp_ne_u32_e32 vcc_lo, 0x7f800000, v3
                                        ; implicit-def: $vgpr3
	s_and_saveexec_b32 s4, vcc_lo
	s_xor_b32 s4, exec_lo, s4
; %bb.87:
	v_bfe_u32 v3, v67, 16, 1
	s_delay_alu instid0(VALU_DEP_1)
	v_add3_u32 v3, v67, v3, 0x7fff
; %bb.88:
	s_and_not1_saveexec_b32 s4, s4
; %bb.89:
	v_and_b32_e32 v3, 0xffff, v67
	v_or_b32_e32 v4, 0x10000, v67
	s_delay_alu instid0(VALU_DEP_2) | instskip(NEXT) | instid1(VALU_DEP_2)
	v_cmp_eq_u32_e32 vcc_lo, 0, v3
	v_cndmask_b32_e32 v3, v4, v67, vcc_lo
; %bb.90:
	s_or_b32 exec_lo, exec_lo, s4
	v_and_b32_e32 v4, 0x7f800000, v68
	s_delay_alu instid0(VALU_DEP_1) | instskip(SKIP_1) | instid1(SALU_CYCLE_1)
	v_cmp_ne_u32_e32 vcc_lo, 0x7f800000, v4
                                        ; implicit-def: $vgpr4
	s_and_saveexec_b32 s4, vcc_lo
	s_xor_b32 s4, exec_lo, s4
; %bb.91:
	v_bfe_u32 v4, v68, 16, 1
	s_delay_alu instid0(VALU_DEP_1)
	v_add3_u32 v4, v68, v4, 0x7fff
; %bb.92:
	s_and_not1_saveexec_b32 s4, s4
; %bb.93:
	v_and_b32_e32 v4, 0xffff, v68
	v_or_b32_e32 v5, 0x10000, v68
	s_delay_alu instid0(VALU_DEP_2) | instskip(NEXT) | instid1(VALU_DEP_2)
	v_cmp_eq_u32_e32 vcc_lo, 0, v4
	v_cndmask_b32_e32 v4, v5, v68, vcc_lo
; %bb.94:
	s_or_b32 exec_lo, exec_lo, s4
	v_and_b32_e32 v5, 0x7f800000, v69
	s_delay_alu instid0(VALU_DEP_1) | instskip(SKIP_1) | instid1(SALU_CYCLE_1)
	v_cmp_ne_u32_e32 vcc_lo, 0x7f800000, v5
                                        ; implicit-def: $vgpr5
	s_and_saveexec_b32 s4, vcc_lo
	s_xor_b32 s4, exec_lo, s4
; %bb.95:
	v_bfe_u32 v5, v69, 16, 1
	s_delay_alu instid0(VALU_DEP_1)
	v_add3_u32 v5, v69, v5, 0x7fff
; %bb.96:
	s_and_not1_saveexec_b32 s4, s4
; %bb.97:
	v_and_b32_e32 v5, 0xffff, v69
	v_or_b32_e32 v6, 0x10000, v69
	s_delay_alu instid0(VALU_DEP_2) | instskip(NEXT) | instid1(VALU_DEP_2)
	v_cmp_eq_u32_e32 vcc_lo, 0, v5
	v_cndmask_b32_e32 v5, v6, v69, vcc_lo
; %bb.98:
	s_or_b32 exec_lo, exec_lo, s4
	v_and_b32_e32 v6, 0x7f800000, v70
	s_delay_alu instid0(VALU_DEP_1) | instskip(SKIP_1) | instid1(SALU_CYCLE_1)
	v_cmp_ne_u32_e32 vcc_lo, 0x7f800000, v6
                                        ; implicit-def: $vgpr6
	s_and_saveexec_b32 s4, vcc_lo
	s_xor_b32 s4, exec_lo, s4
; %bb.99:
	v_bfe_u32 v6, v70, 16, 1
	s_delay_alu instid0(VALU_DEP_1)
	v_add3_u32 v6, v70, v6, 0x7fff
; %bb.100:
	s_and_not1_saveexec_b32 s4, s4
; %bb.101:
	v_and_b32_e32 v6, 0xffff, v70
	v_or_b32_e32 v7, 0x10000, v70
	s_delay_alu instid0(VALU_DEP_2) | instskip(NEXT) | instid1(VALU_DEP_2)
	v_cmp_eq_u32_e32 vcc_lo, 0, v6
	v_cndmask_b32_e32 v6, v7, v70, vcc_lo
; %bb.102:
	s_or_b32 exec_lo, exec_lo, s4
	v_and_b32_e32 v7, 0x7f800000, v71
	s_delay_alu instid0(VALU_DEP_1) | instskip(SKIP_1) | instid1(SALU_CYCLE_1)
	v_cmp_ne_u32_e32 vcc_lo, 0x7f800000, v7
                                        ; implicit-def: $vgpr7
	s_and_saveexec_b32 s4, vcc_lo
	s_xor_b32 s4, exec_lo, s4
; %bb.103:
	v_bfe_u32 v7, v71, 16, 1
	s_delay_alu instid0(VALU_DEP_1)
	v_add3_u32 v7, v71, v7, 0x7fff
; %bb.104:
	s_and_not1_saveexec_b32 s4, s4
; %bb.105:
	v_and_b32_e32 v7, 0xffff, v71
	v_or_b32_e32 v8, 0x10000, v71
	s_delay_alu instid0(VALU_DEP_2) | instskip(NEXT) | instid1(VALU_DEP_2)
	v_cmp_eq_u32_e32 vcc_lo, 0, v7
	v_cndmask_b32_e32 v7, v8, v71, vcc_lo
; %bb.106:
	s_or_b32 exec_lo, exec_lo, s4
	v_and_b32_e32 v8, 0x7f800000, v72
	s_delay_alu instid0(VALU_DEP_1) | instskip(SKIP_1) | instid1(SALU_CYCLE_1)
	v_cmp_ne_u32_e32 vcc_lo, 0x7f800000, v8
                                        ; implicit-def: $vgpr8
	s_and_saveexec_b32 s4, vcc_lo
	s_xor_b32 s4, exec_lo, s4
; %bb.107:
	v_bfe_u32 v8, v72, 16, 1
	s_delay_alu instid0(VALU_DEP_1)
	v_add3_u32 v8, v72, v8, 0x7fff
                                        ; implicit-def: $vgpr65_vgpr66_vgpr67_vgpr68_vgpr69_vgpr70_vgpr71_vgpr72
; %bb.108:
	s_and_not1_saveexec_b32 s4, s4
; %bb.109:
	v_and_b32_e32 v8, 0xffff, v72
	v_or_b32_e32 v9, 0x10000, v72
	s_delay_alu instid0(VALU_DEP_2) | instskip(NEXT) | instid1(VALU_DEP_2)
	v_cmp_eq_u32_e32 vcc_lo, 0, v8
	v_cndmask_b32_e32 v8, v9, v72, vcc_lo
; %bb.110:
	s_or_b32 exec_lo, exec_lo, s4
	s_delay_alu instid0(VALU_DEP_1)
	v_perm_b32 v7, v8, v7, 0x7060302
	v_perm_b32 v6, v6, v5, 0x7060302
	v_perm_b32 v5, v4, v3, 0x7060302
	v_perm_b32 v4, v2, v1, 0x7060302
	s_barrier
	buffer_gl0_inv
	v_cmp_eq_u32_e32 vcc_lo, 1, v78
	ds_store_b128 v76, v[4:7]
	s_waitcnt lgkmcnt(0)
	s_barrier
	buffer_gl0_inv
	ds_load_b128 v[1:4], v82
	ds_load_b128 v[5:8], v82 offset:16
	v_cmp_eq_u32_e64 s4, 1, v79
	v_cmp_eq_u32_e64 s5, 2, v78
	;; [unrolled: 1-line block ×5, first 2 shown]
	s_waitcnt lgkmcnt(1)
	v_lshrrev_b32_e32 v9, 16, v1
	s_waitcnt lgkmcnt(0)
	v_lshrrev_b32_e32 v13, 16, v5
	v_lshrrev_b32_e32 v10, 16, v2
	;; [unrolled: 1-line block ×4, first 2 shown]
	v_cndmask_b32_e64 v19, v1, v9, s4
	v_cndmask_b32_e32 v18, v5, v13, vcc_lo
	v_cndmask_b32_e64 v20, v5, v13, s4
	v_cndmask_b32_e32 v17, v1, v9, vcc_lo
	v_cmp_eq_u32_e32 vcc_lo, 2, v79
	v_lshrrev_b32_e32 v15, 16, v7
	v_cmp_eq_u32_e64 s4, 1, v77
	v_lshrrev_b32_e32 v12, 16, v4
	v_lshrrev_b32_e32 v16, 16, v8
	v_cndmask_b32_e32 v20, v20, v6, vcc_lo
	v_cndmask_b32_e64 v17, v17, v2, s5
	v_cndmask_b32_e32 v19, v19, v2, vcc_lo
	v_cndmask_b32_e64 v18, v18, v6, s5
	v_cmp_eq_u32_e32 vcc_lo, 4, v78
	v_cmp_eq_u32_e64 s5, 3, v79
	v_cndmask_b32_e64 v17, v17, v10, s6
	v_cndmask_b32_e64 v21, v1, v9, s4
	v_cndmask_b32_e64 v18, v18, v14, s6
	v_cndmask_b32_e64 v22, v5, v13, s4
	v_cndmask_b32_e64 v19, v19, v10, s5
	v_cndmask_b32_e32 v17, v17, v3, vcc_lo
	v_cndmask_b32_e64 v20, v20, v14, s5
	v_cndmask_b32_e32 v18, v18, v7, vcc_lo
	v_cmp_eq_u32_e32 vcc_lo, 4, v79
	v_cmp_eq_u32_e64 s5, 5, v79
	v_cmp_eq_u32_e64 s4, 2, v81
	v_cndmask_b32_e64 v21, v21, v2, s8
	v_cmp_eq_u32_e64 s6, 5, v78
	v_cndmask_b32_e32 v19, v19, v3, vcc_lo
	v_cndmask_b32_e32 v20, v20, v7, vcc_lo
	v_cmp_eq_u32_e32 vcc_lo, 6, v79
	s_delay_alu instid0(VALU_DEP_4) | instskip(NEXT) | instid1(VALU_DEP_4)
	v_cndmask_b32_e64 v17, v17, v11, s6
	v_cndmask_b32_e64 v19, v19, v11, s5
	s_delay_alu instid0(VALU_DEP_4) | instskip(SKIP_1) | instid1(VALU_DEP_3)
	v_cndmask_b32_e64 v20, v20, v15, s5
	v_cmp_eq_u32_e64 s5, 1, v81
	v_cndmask_b32_e32 v19, v19, v4, vcc_lo
	v_cndmask_b32_e64 v18, v18, v15, s6
	s_delay_alu instid0(VALU_DEP_3)
	v_cndmask_b32_e64 v1, v1, v9, s5
	v_cndmask_b32_e64 v5, v5, v13, s5
	v_cmp_eq_u32_e64 s5, 3, v77
	v_cndmask_b32_e64 v13, v22, v6, s8
	v_cmp_eq_u32_e64 s8, 3, v81
	v_cndmask_b32_e64 v1, v1, v2, s4
	v_cndmask_b32_e64 v2, v5, v6, s4
	;; [unrolled: 1-line block ×3, first 2 shown]
	v_cmp_eq_u32_e64 s4, 4, v77
	v_cndmask_b32_e64 v6, v13, v14, s5
	v_cndmask_b32_e64 v1, v1, v10, s8
	v_cmp_eq_u32_e64 s5, 4, v81
	v_cndmask_b32_e64 v2, v2, v14, s8
	v_cndmask_b32_e64 v5, v9, v3, s4
	;; [unrolled: 3-line block ×3, first 2 shown]
	v_cndmask_b32_e64 v2, v2, v7, s5
	v_cmp_eq_u32_e64 s4, 5, v81
	v_cmp_eq_u32_e64 s6, 6, v78
	v_cndmask_b32_e64 v5, v5, v11, s8
	v_cmp_eq_u32_e64 s5, 6, v77
	v_cndmask_b32_e64 v3, v6, v15, s8
	v_cndmask_b32_e64 v1, v1, v11, s4
	v_cmp_eq_u32_e64 s8, 6, v81
	v_cndmask_b32_e64 v2, v2, v15, s4
	v_cndmask_b32_e64 v17, v17, v4, s6
	v_cndmask_b32_e64 v18, v18, v8, s6
	v_cmp_eq_u32_e64 s6, 7, v78
	v_cndmask_b32_e64 v5, v5, v4, s5
	;; [unrolled: 4-line block ×3, first 2 shown]
	v_cmp_eq_u32_e64 s5, 7, v77
	v_cndmask_b32_e32 v4, v20, v8, vcc_lo
	v_cndmask_b32_e64 v17, v17, v12, s6
	v_cndmask_b32_e64 v19, v19, v12, s7
	;; [unrolled: 1-line block ×8, first 2 shown]
	v_cmp_gt_u32_e32 vcc_lo, 32, v0
	v_perm_b32 v4, v2, v1, 0x5040100
	v_perm_b32 v3, v3, v5, 0x5040100
	;; [unrolled: 1-line block ×4, first 2 shown]
	s_and_b32 s2, vcc_lo, s2
	ds_store_b128 v76, v[1:4]
	s_waitcnt lgkmcnt(0)
	s_barrier
	buffer_gl0_inv
	s_and_saveexec_b32 s4, s2
	s_cbranch_execz .LBB1374_2
; %bb.111:
	s_load_b64 s[4:5], s[0:1], 0x68
	v_lshlrev_b32_e32 v0, 10, v0
	v_lshlrev_b32_e32 v1, 4, v75
	s_lshl_b32 s0, s36, 6
	v_add_nc_u32_e32 v2, s31, v74
	s_mul_i32 s1, s0, s34
	s_delay_alu instid0(SALU_CYCLE_1) | instskip(SKIP_1) | instid1(VALU_DEP_2)
	s_mul_i32 s6, s1, s9
	v_and_or_b32 v0, 0x3800, v0, v1
	v_mul_lo_u32 v1, v2, s0
	s_ashr_i32 s7, s6, 31
	v_add_nc_u32_e32 v3, 2, v2
	s_lshl_b64 s[6:7], s[6:7], 1
	v_add_nc_u32_e32 v4, 4, v2
	v_add_nc_u32_e32 v5, 6, v2
	v_lshl_or_b32 v15, v74, 6, v0
	v_mul_lo_u32 v3, v3, s0
	v_ashrrev_i32_e32 v2, 31, v1
	v_mul_lo_u32 v19, v4, s0
	v_mul_lo_u32 v21, v5, s0
	s_waitcnt lgkmcnt(0)
	s_add_u32 s1, s4, s6
	s_addc_u32 s2, s5, s7
	s_lshl_b32 s4, s14, 6
	v_lshlrev_b64 v[5:6], 1, v[1:2]
	s_ashr_i32 s5, s4, 31
	v_ashrrev_i32_e32 v4, 31, v3
	s_lshl_b64 s[4:5], s[4:5], 1
	v_ashrrev_i32_e32 v20, 31, v19
	s_add_u32 s1, s1, s4
	s_addc_u32 s2, s2, s5
	v_add_co_u32 v1, s1, s1, v73
	s_delay_alu instid0(VALU_DEP_1) | instskip(SKIP_1) | instid1(VALU_DEP_3)
	v_add_co_ci_u32_e64 v2, null, s2, 0, s1
	v_lshlrev_b64 v[25:26], 1, v[3:4]
	v_add_co_u32 v23, vcc_lo, v1, v5
	s_delay_alu instid0(VALU_DEP_3)
	v_add_co_ci_u32_e32 v24, vcc_lo, v2, v6, vcc_lo
	ds_load_b128 v[3:6], v15
	ds_load_b128 v[7:10], v15 offset:128
	ds_load_b128 v[11:14], v15 offset:256
	;; [unrolled: 1-line block ×3, first 2 shown]
	v_ashrrev_i32_e32 v22, 31, v21
	v_lshlrev_b64 v[19:20], 1, v[19:20]
	v_add_co_u32 v25, vcc_lo, v1, v25
	v_add_co_ci_u32_e32 v26, vcc_lo, v2, v26, vcc_lo
	s_delay_alu instid0(VALU_DEP_4) | instskip(NEXT) | instid1(VALU_DEP_4)
	v_lshlrev_b64 v[21:22], 1, v[21:22]
	v_add_co_u32 v19, vcc_lo, v1, v19
	v_add_co_ci_u32_e32 v20, vcc_lo, v2, v20, vcc_lo
	s_delay_alu instid0(VALU_DEP_3) | instskip(NEXT) | instid1(VALU_DEP_4)
	v_add_co_u32 v21, vcc_lo, v1, v21
	v_add_co_ci_u32_e32 v22, vcc_lo, v2, v22, vcc_lo
	s_waitcnt lgkmcnt(3)
	global_store_b128 v[23:24], v[3:6], off
	s_waitcnt lgkmcnt(2)
	global_store_b128 v[25:26], v[7:10], off
	;; [unrolled: 2-line block ×4, first 2 shown]
	s_and_b32 exec_lo, exec_lo, s3
	s_cbranch_execz .LBB1374_2
; %bb.112:
	ds_load_b128 v[3:6], v0 offset:512
	s_add_i32 s1, s31, 8
	s_delay_alu instid0(SALU_CYCLE_1) | instskip(NEXT) | instid1(SALU_CYCLE_1)
	s_mul_i32 s0, s1, s0
	s_ashr_i32 s1, s0, 31
	s_delay_alu instid0(SALU_CYCLE_1) | instskip(NEXT) | instid1(SALU_CYCLE_1)
	s_lshl_b64 s[0:1], s[0:1], 1
	v_add_co_u32 v0, vcc_lo, v1, s0
	v_add_co_ci_u32_e32 v1, vcc_lo, s1, v2, vcc_lo
	s_waitcnt lgkmcnt(0)
	global_store_b128 v[0:1], v[3:6], off
	s_nop 0
	s_sendmsg sendmsg(MSG_DEALLOC_VGPRS)
	s_endpgm
	.section	.rodata,"a",@progbits
	.p2align	6, 0x0
	.amdhsa_kernel _Z39paged_attention_ll4mi_QKV_mfma16_kernelI14__hip_bfloat16hLN4vllm18Fp8KVCacheDataTypeE1EhLi16ELi64ELi256ELb0ELi9EL8MFMAType1EEvPKT_PKT0_S9_ifPKiSB_SB_iPKfiiiPfSE_PS4_PT2_iSD_SD_
		.amdhsa_group_segment_fixed_size 17472
		.amdhsa_private_segment_fixed_size 0
		.amdhsa_kernarg_size 400
		.amdhsa_user_sgpr_count 13
		.amdhsa_user_sgpr_dispatch_ptr 0
		.amdhsa_user_sgpr_queue_ptr 0
		.amdhsa_user_sgpr_kernarg_segment_ptr 1
		.amdhsa_user_sgpr_dispatch_id 0
		.amdhsa_user_sgpr_private_segment_size 0
		.amdhsa_wavefront_size32 1
		.amdhsa_uses_dynamic_stack 0
		.amdhsa_enable_private_segment 0
		.amdhsa_system_sgpr_workgroup_id_x 1
		.amdhsa_system_sgpr_workgroup_id_y 1
		.amdhsa_system_sgpr_workgroup_id_z 1
		.amdhsa_system_sgpr_workgroup_info 0
		.amdhsa_system_vgpr_workitem_id 0
		.amdhsa_next_free_vgpr 124
		.amdhsa_next_free_sgpr 40
		.amdhsa_reserve_vcc 1
		.amdhsa_float_round_mode_32 0
		.amdhsa_float_round_mode_16_64 0
		.amdhsa_float_denorm_mode_32 3
		.amdhsa_float_denorm_mode_16_64 3
		.amdhsa_dx10_clamp 1
		.amdhsa_ieee_mode 1
		.amdhsa_fp16_overflow 0
		.amdhsa_workgroup_processor_mode 1
		.amdhsa_memory_ordered 1
		.amdhsa_forward_progress 0
		.amdhsa_shared_vgpr_count 0
		.amdhsa_exception_fp_ieee_invalid_op 0
		.amdhsa_exception_fp_denorm_src 0
		.amdhsa_exception_fp_ieee_div_zero 0
		.amdhsa_exception_fp_ieee_overflow 0
		.amdhsa_exception_fp_ieee_underflow 0
		.amdhsa_exception_fp_ieee_inexact 0
		.amdhsa_exception_int_div_zero 0
	.end_amdhsa_kernel
	.section	.text._Z39paged_attention_ll4mi_QKV_mfma16_kernelI14__hip_bfloat16hLN4vllm18Fp8KVCacheDataTypeE1EhLi16ELi64ELi256ELb0ELi9EL8MFMAType1EEvPKT_PKT0_S9_ifPKiSB_SB_iPKfiiiPfSE_PS4_PT2_iSD_SD_,"axG",@progbits,_Z39paged_attention_ll4mi_QKV_mfma16_kernelI14__hip_bfloat16hLN4vllm18Fp8KVCacheDataTypeE1EhLi16ELi64ELi256ELb0ELi9EL8MFMAType1EEvPKT_PKT0_S9_ifPKiSB_SB_iPKfiiiPfSE_PS4_PT2_iSD_SD_,comdat
.Lfunc_end1374:
	.size	_Z39paged_attention_ll4mi_QKV_mfma16_kernelI14__hip_bfloat16hLN4vllm18Fp8KVCacheDataTypeE1EhLi16ELi64ELi256ELb0ELi9EL8MFMAType1EEvPKT_PKT0_S9_ifPKiSB_SB_iPKfiiiPfSE_PS4_PT2_iSD_SD_, .Lfunc_end1374-_Z39paged_attention_ll4mi_QKV_mfma16_kernelI14__hip_bfloat16hLN4vllm18Fp8KVCacheDataTypeE1EhLi16ELi64ELi256ELb0ELi9EL8MFMAType1EEvPKT_PKT0_S9_ifPKiSB_SB_iPKfiiiPfSE_PS4_PT2_iSD_SD_
                                        ; -- End function
	.section	.AMDGPU.csdata,"",@progbits
; Kernel info:
; codeLenInByte = 8792
; NumSgprs: 42
; NumVgprs: 124
; ScratchSize: 0
; MemoryBound: 0
; FloatMode: 240
; IeeeMode: 1
; LDSByteSize: 17472 bytes/workgroup (compile time only)
; SGPRBlocks: 5
; VGPRBlocks: 15
; NumSGPRsForWavesPerEU: 42
; NumVGPRsForWavesPerEU: 124
; Occupancy: 10
; WaveLimiterHint : 1
; COMPUTE_PGM_RSRC2:SCRATCH_EN: 0
; COMPUTE_PGM_RSRC2:USER_SGPR: 13
; COMPUTE_PGM_RSRC2:TRAP_HANDLER: 0
; COMPUTE_PGM_RSRC2:TGID_X_EN: 1
; COMPUTE_PGM_RSRC2:TGID_Y_EN: 1
; COMPUTE_PGM_RSRC2:TGID_Z_EN: 1
; COMPUTE_PGM_RSRC2:TIDIG_COMP_CNT: 0
	.section	.text._Z39paged_attention_ll4mi_QKV_mfma16_kernelI14__hip_bfloat16hLN4vllm18Fp8KVCacheDataTypeE1EhLi16ELi64ELi256ELb0ELi10EL8MFMAType1EEvPKT_PKT0_S9_ifPKiSB_SB_iPKfiiiPfSE_PS4_PT2_iSD_SD_,"axG",@progbits,_Z39paged_attention_ll4mi_QKV_mfma16_kernelI14__hip_bfloat16hLN4vllm18Fp8KVCacheDataTypeE1EhLi16ELi64ELi256ELb0ELi10EL8MFMAType1EEvPKT_PKT0_S9_ifPKiSB_SB_iPKfiiiPfSE_PS4_PT2_iSD_SD_,comdat
	.protected	_Z39paged_attention_ll4mi_QKV_mfma16_kernelI14__hip_bfloat16hLN4vllm18Fp8KVCacheDataTypeE1EhLi16ELi64ELi256ELb0ELi10EL8MFMAType1EEvPKT_PKT0_S9_ifPKiSB_SB_iPKfiiiPfSE_PS4_PT2_iSD_SD_ ; -- Begin function _Z39paged_attention_ll4mi_QKV_mfma16_kernelI14__hip_bfloat16hLN4vllm18Fp8KVCacheDataTypeE1EhLi16ELi64ELi256ELb0ELi10EL8MFMAType1EEvPKT_PKT0_S9_ifPKiSB_SB_iPKfiiiPfSE_PS4_PT2_iSD_SD_
	.globl	_Z39paged_attention_ll4mi_QKV_mfma16_kernelI14__hip_bfloat16hLN4vllm18Fp8KVCacheDataTypeE1EhLi16ELi64ELi256ELb0ELi10EL8MFMAType1EEvPKT_PKT0_S9_ifPKiSB_SB_iPKfiiiPfSE_PS4_PT2_iSD_SD_
	.p2align	8
	.type	_Z39paged_attention_ll4mi_QKV_mfma16_kernelI14__hip_bfloat16hLN4vllm18Fp8KVCacheDataTypeE1EhLi16ELi64ELi256ELb0ELi10EL8MFMAType1EEvPKT_PKT0_S9_ifPKiSB_SB_iPKfiiiPfSE_PS4_PT2_iSD_SD_,@function
_Z39paged_attention_ll4mi_QKV_mfma16_kernelI14__hip_bfloat16hLN4vllm18Fp8KVCacheDataTypeE1EhLi16ELi64ELi256ELb0ELi10EL8MFMAType1EEvPKT_PKT0_S9_ifPKiSB_SB_iPKfiiiPfSE_PS4_PT2_iSD_SD_: ; @_Z39paged_attention_ll4mi_QKV_mfma16_kernelI14__hip_bfloat16hLN4vllm18Fp8KVCacheDataTypeE1EhLi16ELi64ELi256ELb0ELi10EL8MFMAType1EEvPKT_PKT0_S9_ifPKiSB_SB_iPKfiiiPfSE_PS4_PT2_iSD_SD_
; %bb.0:
	s_load_b64 s[2:3], s[0:1], 0x30
	s_mov_b32 s30, s13
	s_waitcnt lgkmcnt(0)
	s_cmp_lg_u64 s[2:3], 0
	s_cselect_b32 s8, -1, 0
	s_ashr_i32 s31, s13, 31
	s_cmp_eq_u64 s[2:3], 0
	s_cbranch_scc1 .LBB1375_3
; %bb.1:
	s_lshl_b64 s[4:5], s[30:31], 2
	s_delay_alu instid0(SALU_CYCLE_1) | instskip(SKIP_4) | instid1(SALU_CYCLE_1)
	s_add_u32 s4, s2, s4
	s_addc_u32 s5, s3, s5
	s_load_b64 s[4:5], s[4:5], 0x0
	s_waitcnt lgkmcnt(0)
	s_sub_i32 s4, s5, s4
	s_cmp_eq_u32 s4, 1
	s_cselect_b32 s4, -1, 0
	s_delay_alu instid0(SALU_CYCLE_1)
	s_and_not1_b32 vcc_lo, exec_lo, s4
	s_cbranch_vccz .LBB1375_4
.LBB1375_2:
	s_endpgm
.LBB1375_3:
.LBB1375_4:
	s_load_b64 s[4:5], s[0:1], 0x28
	s_lshl_b64 s[6:7], s[30:31], 2
	s_waitcnt lgkmcnt(0)
	s_add_u32 s4, s4, s6
	s_addc_u32 s5, s5, s7
	s_lshl_b32 s12, s14, 8
	s_load_b32 s24, s[4:5], 0x0
	s_waitcnt lgkmcnt(0)
	s_cmp_ge_i32 s12, s24
	s_cbranch_scc1 .LBB1375_2
; %bb.5:
	s_clause 0x1
	s_load_b128 s[20:23], s[0:1], 0x8
	s_load_b64 s[4:5], s[0:1], 0x20
	s_and_not1_b32 vcc_lo, exec_lo, s8
	s_cbranch_vccnz .LBB1375_7
; %bb.6:
	s_add_u32 s2, s2, s6
	s_addc_u32 s3, s3, s7
	s_load_b32 s3, s[2:3], 0x0
	s_branch .LBB1375_8
.LBB1375_7:
	s_mov_b32 s3, s30
.LBB1375_8:
	s_load_b128 s[16:19], s[0:1], 0x48
	v_and_b32_e32 v65, 15, v0
	v_cmp_gt_u32_e32 vcc_lo, 0xa0, v0
	v_lshrrev_b32_e32 v66, 5, v0
	v_and_b32_e32 v67, 31, v0
	v_and_b32_e32 v75, 1, v0
	v_lshlrev_b32_e32 v1, 3, v65
	v_cmp_gt_u32_e64 s2, 8, v65
	v_bfe_u32 v74, v0, 4, 1
	s_mul_i32 s31, s15, 10
	s_delay_alu instid0(VALU_DEP_3) | instskip(NEXT) | instid1(VALU_DEP_3)
	v_lshlrev_b32_e32 v73, 1, v1
	s_and_b32 s7, vcc_lo, s2
	s_delay_alu instid0(SALU_CYCLE_1)
	s_and_saveexec_b32 s6, s7
	s_cbranch_execz .LBB1375_10
; %bb.9:
	s_load_b64 s[8:9], s[0:1], 0x0
	v_lshl_or_b32 v5, v66, 1, v74
	s_waitcnt lgkmcnt(0)
	s_mul_hi_i32 s11, s3, s16
	s_mul_i32 s10, s3, s16
	v_lshlrev_b32_e32 v6, 10, v65
	s_lshl_b64 s[10:11], s[10:11], 1
	v_add_lshl_u32 v1, v5, s31, 6
	v_lshlrev_b32_e32 v5, 6, v5
	v_lshlrev_b32_e32 v7, 10, v75
	v_and_b32_e32 v6, 0x3800, v6
	s_delay_alu instid0(VALU_DEP_4) | instskip(NEXT) | instid1(VALU_DEP_2)
	v_ashrrev_i32_e32 v2, 31, v1
	v_or3_b32 v5, v6, v7, v5
	s_delay_alu instid0(VALU_DEP_2) | instskip(SKIP_2) | instid1(VALU_DEP_1)
	v_lshlrev_b64 v[1:2], 1, v[1:2]
	s_add_u32 s3, s8, s10
	s_addc_u32 s7, s9, s11
	v_add_co_u32 v1, vcc_lo, s3, v1
	s_delay_alu instid0(VALU_DEP_2) | instskip(NEXT) | instid1(VALU_DEP_2)
	v_add_co_ci_u32_e32 v2, vcc_lo, s7, v2, vcc_lo
	v_add_co_u32 v1, vcc_lo, v1, v73
	s_delay_alu instid0(VALU_DEP_2)
	v_add_co_ci_u32_e32 v2, vcc_lo, 0, v2, vcc_lo
	global_load_b128 v[1:4], v[1:2], off
	s_waitcnt vmcnt(0)
	ds_store_b128 v5, v[1:4]
.LBB1375_10:
	s_or_b32 exec_lo, exec_lo, s6
	v_and_b32_e32 v1, 0xef, v0
	s_waitcnt lgkmcnt(0)
	s_add_i32 s3, s24, 15
	s_clause 0x1
	s_load_b32 s6, s[0:1], 0x38
	s_load_b32 s19, s[0:1], 0x1c
	s_ashr_i32 s7, s3, 31
	v_add_nc_u32_e32 v1, s12, v1
	s_lshr_b32 s7, s7, 28
	s_waitcnt lgkmcnt(0)
	s_add_i32 s3, s3, s7
	s_barrier
	v_ashrrev_i32_e32 v2, 31, v1
	v_or_b32_e32 v3, 16, v1
	s_ashr_i32 s3, s3, 4
	v_cmp_gt_i32_e32 vcc_lo, s24, v1
	s_add_i32 s3, s3, -1
	v_lshrrev_b32_e32 v2, 28, v2
	buffer_gl0_inv
	s_mul_i32 s27, s15, s18
	v_add_nc_u32_e32 v4, v1, v2
	s_mul_i32 s6, s30, s6
	s_delay_alu instid0(SALU_CYCLE_1) | instskip(NEXT) | instid1(VALU_DEP_1)
	s_ashr_i32 s7, s6, 31
	v_ashrrev_i32_e32 v4, 4, v4
	v_add_nc_u32_e32 v2, v3, v2
	s_lshl_b64 s[6:7], s[6:7], 2
	s_delay_alu instid0(SALU_CYCLE_1) | instskip(NEXT) | instid1(VALU_DEP_2)
	s_add_u32 s26, s4, s6
	v_cndmask_b32_e32 v1, s3, v4, vcc_lo
	s_delay_alu instid0(VALU_DEP_2)
	v_ashrrev_i32_e32 v2, 4, v2
	v_cmp_gt_i32_e32 vcc_lo, s24, v3
	s_addc_u32 s25, s5, s7
	s_ashr_i32 s28, s27, 31
	s_add_u32 s13, s20, s27
	s_addc_u32 s15, s21, s28
	v_cndmask_b32_e32 v3, s3, v2, vcc_lo
	v_ashrrev_i32_e32 v2, 31, v1
	s_lshl_b32 s4, s14, 4
	s_delay_alu instid0(SALU_CYCLE_1) | instskip(NEXT) | instid1(VALU_DEP_2)
	s_ashr_i32 s5, s4, 31
	v_ashrrev_i32_e32 v4, 31, v3
	s_delay_alu instid0(VALU_DEP_2) | instskip(SKIP_1) | instid1(SALU_CYCLE_1)
	v_lshlrev_b64 v[1:2], 2, v[1:2]
	s_lshl_b64 s[4:5], s[4:5], 2
	s_add_u32 s4, s26, s4
	s_delay_alu instid0(VALU_DEP_2) | instskip(SKIP_1) | instid1(VALU_DEP_2)
	v_lshlrev_b64 v[3:4], 2, v[3:4]
	s_addc_u32 s5, s25, s5
	v_add_co_u32 v1, vcc_lo, s26, v1
	v_add_co_ci_u32_e32 v2, vcc_lo, s25, v2, vcc_lo
	s_delay_alu instid0(VALU_DEP_3) | instskip(NEXT) | instid1(VALU_DEP_4)
	v_add_co_u32 v3, vcc_lo, s26, v3
	v_add_co_ci_u32_e32 v4, vcc_lo, s25, v4, vcc_lo
	s_clause 0x1
	global_load_b32 v5, v[1:2], off
	global_load_b32 v7, v[3:4], off
	s_or_b32 s6, s12, 32
	v_lshlrev_b32_e32 v1, 4, v0
	s_ashr_i32 s7, s6, 4
	s_cmp_lt_i32 s6, s24
	v_cmp_gt_u32_e32 vcc_lo, 10, v65
	s_cselect_b32 s6, s7, s3
	v_and_b32_e32 v1, 0xf0, v1
	s_ashr_i32 s7, s6, 31
	s_delay_alu instid0(SALU_CYCLE_1) | instskip(NEXT) | instid1(SALU_CYCLE_1)
	s_lshl_b64 s[6:7], s[6:7], 2
	s_add_u32 s6, s26, s6
	s_addc_u32 s7, s25, s7
	s_or_b32 s8, s12, 64
	v_add_co_u32 v1, s13, s13, v1
	s_ashr_i32 s9, s8, 4
	s_cmp_lt_i32 s8, s24
	v_add_co_ci_u32_e64 v2, null, s15, 0, s13
	s_cselect_b32 s8, s9, s3
	s_delay_alu instid0(SALU_CYCLE_1) | instskip(NEXT) | instid1(SALU_CYCLE_1)
	s_ashr_i32 s9, s8, 31
	s_lshl_b64 s[8:9], s[8:9], 2
	s_delay_alu instid0(SALU_CYCLE_1) | instskip(SKIP_2) | instid1(SALU_CYCLE_1)
	s_add_u32 s8, s26, s8
	s_addc_u32 s9, s25, s9
	s_or_b32 s10, s12, 0x60
	s_ashr_i32 s11, s10, 4
	s_cmp_lt_i32 s10, s24
	s_cselect_b32 s10, s11, s3
	s_delay_alu instid0(SALU_CYCLE_1) | instskip(NEXT) | instid1(SALU_CYCLE_1)
	s_ashr_i32 s11, s10, 31
	s_lshl_b64 s[10:11], s[10:11], 2
	s_delay_alu instid0(SALU_CYCLE_1) | instskip(SKIP_2) | instid1(SALU_CYCLE_1)
	s_add_u32 s10, s26, s10
	s_addc_u32 s11, s25, s11
	s_or_b32 s16, s12, 0x80
	s_ashr_i32 s18, s16, 4
	s_cmp_lt_i32 s16, s24
	;; [unrolled: 10-line block ×3, first 2 shown]
	s_cselect_b32 s20, s18, s3
	s_delay_alu instid0(SALU_CYCLE_1) | instskip(NEXT) | instid1(SALU_CYCLE_1)
	s_ashr_i32 s21, s20, 31
	s_lshl_b64 s[20:21], s[20:21], 2
	s_delay_alu instid0(SALU_CYCLE_1)
	s_add_u32 s36, s26, s20
	s_addc_u32 s37, s25, s21
	s_clause 0x5
	s_load_b32 s21, s[4:5], 0x0
	s_load_b32 s13, s[6:7], 0x0
	;; [unrolled: 1-line block ×6, first 2 shown]
	s_or_b32 s8, s12, 0xc0
	s_mov_b32 s4, 0
	s_ashr_i32 s9, s8, 4
	s_cmp_lt_i32 s8, s24
	s_mov_b32 s11, s4
	s_cselect_b32 s34, s9, s3
	s_mov_b32 s5, s4
	s_ashr_i32 s35, s34, 31
	s_mov_b32 s6, s4
	s_lshl_b64 s[34:35], s[34:35], 2
	s_mov_b32 s7, s4
	s_add_u32 s34, s26, s34
	s_addc_u32 s35, s25, s35
	s_or_b32 s29, s12, 0xe0
	s_mov_b32 s8, s4
	s_ashr_i32 s33, s29, 4
	s_mov_b32 s9, s4
	s_mov_b32 s10, s4
	s_cmp_lt_i32 s29, s24
	v_dual_mov_b32 v107, s11 :: v_dual_mov_b32 v100, s4
	v_mov_b32_e32 v106, s10
	v_dual_mov_b32 v104, s8 :: v_dual_mov_b32 v103, s7
	v_dual_mov_b32 v102, s6 :: v_dual_mov_b32 v101, s5
	s_waitcnt vmcnt(1)
	v_mad_i64_i32 v[3:4], null, v5, s17, v[1:2]
	s_waitcnt vmcnt(0)
	v_mad_i64_i32 v[5:6], null, v7, s17, v[1:2]
	v_add_nc_u32_e32 v1, -10, v65
	v_lshlrev_b32_e32 v2, 4, v65
	s_clause 0x7
	global_load_b128 v[49:52], v[3:4], off
	global_load_b128 v[53:56], v[3:4], off offset:256
	global_load_b128 v[76:79], v[5:6], off
	global_load_b128 v[80:83], v[5:6], off offset:256
	global_load_b128 v[84:87], v[3:4], off offset:512
	;; [unrolled: 1-line block ×5, first 2 shown]
	v_cndmask_b32_e32 v1, v1, v65, vcc_lo
	v_mov_b32_e32 v105, s9
	s_cselect_b32 s4, s33, s3
	v_lshl_or_b32 v2, v66, 8, v2
	s_ashr_i32 s5, s4, 31
	v_lshlrev_b32_e32 v70, 6, v1
	s_lshl_b64 s[4:5], s[4:5], 2
	s_load_b32 s3, s[34:35], 0x0
	s_add_u32 s4, s26, s4
	s_addc_u32 s5, s25, s5
	ds_load_b128 v[108:111], v70
	ds_load_b128 v[112:115], v70 offset:1024
	s_load_b32 s4, s[4:5], 0x0
	s_add_u32 s6, s22, s27
	s_addc_u32 s7, s23, s28
	v_add_co_u32 v9, s6, s6, v2
	s_delay_alu instid0(VALU_DEP_1) | instskip(SKIP_1) | instid1(VALU_DEP_1)
	v_add_co_ci_u32_e64 v10, null, s7, 0, s6
	s_waitcnt lgkmcnt(0)
	v_mad_i64_i32 v[1:2], null, s21, s17, v[9:10]
	v_mad_i64_i32 v[3:4], null, s13, s17, v[9:10]
	;; [unrolled: 1-line block ×7, first 2 shown]
	s_clause 0x9
	global_load_b128 v[57:60], v[1:2], off
	global_load_b128 v[61:64], v[1:2], off offset:16
	global_load_b128 v[41:44], v[3:4], off
	global_load_b128 v[45:48], v[3:4], off offset:16
	;; [unrolled: 2-line block ×5, first 2 shown]
	v_mad_i64_i32 v[68:69], null, s4, s17, v[9:10]
	s_clause 0x3
	global_load_b128 v[9:12], v[13:14], off
	global_load_b128 v[13:16], v[13:14], off offset:16
	global_load_b128 v[17:20], v[21:22], off
	global_load_b128 v[21:24], v[21:22], off offset:16
	s_waitcnt vmcnt(20)
	v_wmma_f32_16x16x16_bf16 v[116:123], v[49:56], v[108:115], v[100:107]
	s_clause 0x1
	global_load_b128 v[49:52], v[68:69], off
	global_load_b128 v[53:56], v[68:69], off offset:16
	v_and_b32_e32 v68, 0xe0, v0
	v_mbcnt_lo_u32_b32 v69, -1, 0
	s_delay_alu instid0(VALU_DEP_2)
	v_add_nc_u32_e32 v68, s12, v68
	s_waitcnt vmcnt(20)
	v_wmma_f32_16x16x16_bf16 v[100:107], v[76:83], v[108:115], v[100:107]
	ds_load_b128 v[76:79], v70 offset:2048
	ds_load_b128 v[80:83], v70 offset:3072
	v_xor_b32_e32 v70, 16, v69
	s_waitcnt vmcnt(0) lgkmcnt(0)
	v_or_b32_e32 v68, v68, v74
	s_barrier
	buffer_gl0_inv
	v_cmp_gt_i32_e32 vcc_lo, 32, v70
	v_or_b32_e32 v71, 4, v68
	v_or_b32_e32 v72, 6, v68
	v_cmp_gt_i32_e64 s3, s24, v68
	v_or_b32_e32 v108, 8, v68
	v_or_b32_e32 v109, 10, v68
	v_cmp_gt_i32_e64 s4, s24, v71
	v_cmp_gt_i32_e64 s5, s24, v72
	s_delay_alu instid0(VALU_DEP_4) | instskip(NEXT) | instid1(VALU_DEP_4)
	v_cmp_gt_i32_e64 s6, s24, v108
	v_cmp_gt_i32_e64 s7, s24, v109
	v_wmma_f32_16x16x16_bf16 v[116:123], v[84:91], v[76:83], v[116:123]
	v_cndmask_b32_e32 v69, v69, v70, vcc_lo
	v_or_b32_e32 v70, 2, v68
	v_wmma_f32_16x16x16_bf16 v[100:107], v[92:99], v[76:83], v[100:107]
	v_or_b32_e32 v89, 22, v68
	v_dual_mul_f32 v82, s19, v119 :: v_dual_mul_f32 v79, s19, v122
	v_dual_mul_f32 v92, s19, v117 :: v_dual_mul_f32 v93, s19, v116
	s_delay_alu instid0(VALU_DEP_4) | instskip(SKIP_2) | instid1(VALU_DEP_4)
	v_mul_f32_e32 v98, s19, v103
	v_cmp_gt_i32_e32 vcc_lo, s24, v70
	v_dual_mul_f32 v83, s19, v118 :: v_dual_mul_f32 v96, s19, v105
	v_cndmask_b32_e64 v93, 0xff7fffff, v93, s3
	v_or_b32_e32 v84, 12, v68
	v_cndmask_b32_e32 v92, 0xff7fffff, v92, vcc_lo
	v_or_b32_e32 v85, 14, v68
	v_dual_mul_f32 v80, s19, v121 :: v_dual_mul_f32 v81, s19, v120
	v_mul_f32_e32 v94, s19, v107
	v_cndmask_b32_e64 v71, 0xff7fffff, v83, s4
	v_cndmask_b32_e64 v72, 0xff7fffff, v82, s5
	v_cmp_gt_i32_e64 s13, s24, v89
	v_lshlrev_b32_e32 v89, 2, v69
	v_max3_f32 v82, v93, 0xff7fffff, v92
	v_or_b32_e32 v86, 16, v68
	v_or_b32_e32 v87, 18, v68
	v_mul_f32_e32 v78, s19, v123
	v_cndmask_b32_e64 v81, 0xff7fffff, v81, s6
	v_cndmask_b32_e64 v80, 0xff7fffff, v80, s7
	v_max3_f32 v71, v82, v71, v72
	v_cmp_gt_i32_e64 s8, s24, v84
	v_cmp_gt_i32_e64 s9, s24, v85
	v_or_b32_e32 v88, 20, v68
	v_or_b32_e32 v90, 24, v68
	v_or_b32_e32 v91, 26, v68
	v_or_b32_e32 v76, 28, v68
	v_or_b32_e32 v77, 30, v68
	v_dual_mul_f32 v95, s19, v106 :: v_dual_mul_f32 v70, s19, v101
	v_dual_mul_f32 v99, s19, v102 :: v_dual_mul_f32 v68, s19, v100
	v_cndmask_b32_e64 v72, 0xff7fffff, v79, s8
	v_cndmask_b32_e64 v78, 0xff7fffff, v78, s9
	v_max3_f32 v71, v71, v81, v80
	v_cmp_gt_i32_e64 s10, s24, v86
	v_cmp_gt_i32_e64 s11, s24, v87
	;; [unrolled: 1-line block ×3, first 2 shown]
	v_mul_f32_e32 v97, s19, v104
	v_max3_f32 v71, v71, v72, v78
	v_cndmask_b32_e64 v68, 0xff7fffff, v68, s10
	v_cndmask_b32_e64 v70, 0xff7fffff, v70, s11
	;; [unrolled: 1-line block ×4, first 2 shown]
	v_cmp_gt_i32_e64 s15, s24, v90
	v_cmp_gt_i32_e64 s16, s24, v91
	v_max3_f32 v68, v71, v68, v70
	v_cmp_gt_i32_e64 s17, s24, v76
	v_cmp_gt_i32_e64 s18, s24, v77
	v_cndmask_b32_e64 v70, 0xff7fffff, v97, s15
	v_cndmask_b32_e64 v71, 0xff7fffff, v96, s16
	v_max3_f32 v68, v68, v72, v78
	v_cndmask_b32_e64 v72, 0xff7fffff, v95, s17
	v_cndmask_b32_e64 v76, 0xff7fffff, v94, s18
	s_delay_alu instid0(VALU_DEP_3) | instskip(NEXT) | instid1(VALU_DEP_1)
	v_max3_f32 v68, v68, v70, v71
	v_max3_f32 v68, v68, v72, v76
	ds_bpermute_b32 v69, v89, v68
	s_waitcnt lgkmcnt(0)
	v_max_f32_e32 v69, v69, v69
	s_delay_alu instid0(VALU_DEP_1) | instskip(NEXT) | instid1(VALU_DEP_1)
	v_max_f32_e32 v68, v68, v69
	v_fma_f32 v69, s19, v116, -v68
	v_fma_f32 v70, s19, v117, -v68
	;; [unrolled: 1-line block ×5, first 2 shown]
	s_delay_alu instid0(VALU_DEP_4) | instskip(NEXT) | instid1(VALU_DEP_4)
	v_dual_mul_f32 v69, 0x3fb8aa3b, v69 :: v_dual_mul_f32 v70, 0x3fb8aa3b, v70
	v_mul_f32_e32 v72, 0x3fb8aa3b, v72
	v_fma_f32 v78, s19, v122, -v68
	s_delay_alu instid0(VALU_DEP_4) | instskip(NEXT) | instid1(VALU_DEP_4)
	v_mul_f32_e32 v77, 0x3fb8aa3b, v76
	v_exp_f32_e32 v69, v69
	v_exp_f32_e32 v70, v70
	v_mul_f32_e32 v71, 0x3fb8aa3b, v71
	v_exp_f32_e32 v72, v72
	v_mul_f32_e32 v78, 0x3fb8aa3b, v78
	v_exp_f32_e32 v77, v77
	v_fma_f32 v81, s19, v105, -v68
	s_delay_alu instid0(VALU_DEP_2)
	v_exp_f32_e32 v78, v78
	v_cndmask_b32_e64 v80, 0, v69, s3
	v_cndmask_b32_e32 v76, 0, v70, vcc_lo
	v_exp_f32_e32 v71, v71
	v_fma_f32 v69, s19, v121, -v68
	v_cndmask_b32_e64 v85, 0, v72, s5
	v_add_f32_e32 v70, 0, v80
	s_delay_alu instid0(TRANS32_DEP_3)
	v_cndmask_b32_e64 v86, 0, v77, s6
	v_fma_f32 v77, s19, v101, -v68
	v_mul_f32_e32 v69, 0x3fb8aa3b, v69
	v_fma_f32 v72, s19, v100, -v68
	v_cndmask_b32_e64 v84, 0, v78, s8
	v_fma_f32 v78, s19, v103, -v68
	v_cndmask_b32_e64 v83, 0, v71, s4
	v_fma_f32 v71, s19, v123, -v68
	v_add_f32_e32 v70, v70, v76
	v_exp_f32_e32 v69, v69
	v_mul_f32_e32 v77, 0x3fb8aa3b, v77
	v_mul_f32_e32 v81, 0x3fb8aa3b, v81
	;; [unrolled: 1-line block ×3, first 2 shown]
	v_add_f32_e32 v70, v70, v83
	s_mov_b32 s3, exec_lo
	v_exp_f32_e32 v77, v77
	v_exp_f32_e32 v81, v81
	;; [unrolled: 1-line block ×3, first 2 shown]
	v_cndmask_b32_e64 v87, 0, v69, s7
	v_add_f32_e32 v70, v70, v85
	s_delay_alu instid0(VALU_DEP_1) | instskip(SKIP_1) | instid1(VALU_DEP_2)
	v_dual_mul_f32 v72, 0x3fb8aa3b, v72 :: v_dual_add_f32 v69, v70, v86
	v_fma_f32 v70, s19, v102, -v68
	v_exp_f32_e32 v72, v72
	s_waitcnt_depctr 0xfff
	v_cndmask_b32_e64 v88, 0, v71, s9
	v_fma_f32 v71, s19, v104, -v68
	v_dual_add_f32 v69, v69, v87 :: v_dual_mul_f32 v70, 0x3fb8aa3b, v70
	s_delay_alu instid0(VALU_DEP_2) | instskip(NEXT) | instid1(VALU_DEP_2)
	v_dual_mul_f32 v78, 0x3fb8aa3b, v78 :: v_dual_mul_f32 v71, 0x3fb8aa3b, v71
	v_add_f32_e32 v69, v69, v84
	s_delay_alu instid0(VALU_DEP_3) | instskip(SKIP_1) | instid1(VALU_DEP_3)
	v_exp_f32_e32 v79, v70
	v_cndmask_b32_e64 v70, 0, v72, s10
	v_exp_f32_e32 v78, v78
	v_exp_f32_e32 v82, v71
	v_add_f32_e32 v72, v69, v88
	v_cndmask_b32_e64 v69, 0, v77, s11
	v_fma_f32 v77, s19, v106, -v68
	s_delay_alu instid0(VALU_DEP_3) | instskip(NEXT) | instid1(TRANS32_DEP_3)
	v_add_f32_e32 v72, v72, v70
	v_cndmask_b32_e64 v71, 0, v79, s12
	s_delay_alu instid0(VALU_DEP_3) | instskip(NEXT) | instid1(VALU_DEP_3)
	v_mul_f32_e32 v77, 0x3fb8aa3b, v77
	v_add_f32_e32 v79, v72, v69
	s_delay_alu instid0(TRANS32_DEP_2) | instskip(NEXT) | instid1(VALU_DEP_3)
	v_cndmask_b32_e64 v72, 0, v78, s13
	v_exp_f32_e32 v90, v77
	v_cndmask_b32_e64 v77, 0, v82, s15
	s_delay_alu instid0(VALU_DEP_3) | instskip(SKIP_1) | instid1(VALU_DEP_1)
	v_add_f32_e32 v78, v79, v71
	v_fma_f32 v79, s19, v107, -v68
	v_dual_add_f32 v82, v78, v72 :: v_dual_mul_f32 v79, 0x3fb8aa3b, v79
	v_cndmask_b32_e64 v78, 0, v81, s16
	s_delay_alu instid0(VALU_DEP_2) | instskip(NEXT) | instid1(VALU_DEP_3)
	v_add_f32_e32 v81, v82, v77
	v_exp_f32_e32 v82, v79
	s_delay_alu instid0(TRANS32_DEP_2) | instskip(NEXT) | instid1(VALU_DEP_2)
	v_cndmask_b32_e64 v79, 0, v90, s17
	v_add_f32_e32 v81, v81, v78
	s_delay_alu instid0(VALU_DEP_1) | instskip(SKIP_2) | instid1(VALU_DEP_1)
	v_add_f32_e32 v90, v81, v79
	s_waitcnt_depctr 0xfff
	v_cndmask_b32_e64 v81, 0, v82, s18
	v_add_f32_e32 v82, v90, v81
	ds_bpermute_b32 v89, v89, v82
	v_cmpx_gt_u32_e32 16, v67
	s_cbranch_execz .LBB1375_12
; %bb.11:
	v_mul_u32_u24_e32 v67, 0x44, v66
	s_delay_alu instid0(VALU_DEP_1) | instskip(SKIP_1) | instid1(VALU_DEP_1)
	v_lshl_add_u32 v67, v65, 2, v67
	s_waitcnt lgkmcnt(0)
	v_dual_add_f32 v82, v82, v89 :: v_dual_add_nc_u32 v67, 0x4000, v67
	ds_store_2addr_b32 v67, v68, v82 offset1:136
.LBB1375_12:
	s_or_b32 exec_lo, exec_lo, s3
	v_lshlrev_b32_e32 v67, 2, v65
	s_waitcnt lgkmcnt(0)
	s_barrier
	buffer_gl0_inv
	v_cmp_eq_u32_e32 vcc_lo, 1, v66
	v_add_nc_u32_e32 v82, 0x4000, v67
	v_cmp_eq_u32_e64 s3, 2, v66
	v_cmp_eq_u32_e64 s5, 7, v66
	ds_load_2addr_b32 v[89:90], v82 offset1:17
	ds_load_2addr_b32 v[91:92], v82 offset0:34 offset1:51
	ds_load_2addr_b32 v[93:94], v82 offset0:68 offset1:85
	ds_load_2addr_b32 v[95:96], v82 offset0:102 offset1:119
	ds_load_2addr_b32 v[97:98], v82 offset0:136 offset1:153
	s_waitcnt lgkmcnt(4)
	v_max3_f32 v67, v89, 0xff7fffff, v90
	s_waitcnt lgkmcnt(3)
	s_delay_alu instid0(VALU_DEP_1) | instskip(SKIP_1) | instid1(VALU_DEP_1)
	v_max3_f32 v67, v67, v91, v92
	s_waitcnt lgkmcnt(2)
	v_max3_f32 v67, v67, v93, v94
	s_waitcnt lgkmcnt(1)
	s_delay_alu instid0(VALU_DEP_1) | instskip(NEXT) | instid1(VALU_DEP_1)
	v_max3_f32 v67, v67, v95, v96
	v_sub_f32_e32 v93, v93, v67
	s_delay_alu instid0(VALU_DEP_1) | instskip(NEXT) | instid1(VALU_DEP_1)
	v_dual_sub_f32 v68, v89, v67 :: v_dual_mul_f32 v103, 0x3fb8aa3b, v93
	v_mul_f32_e32 v68, 0x3fb8aa3b, v68
	s_delay_alu instid0(VALU_DEP_1)
	v_exp_f32_e32 v100, v68
	v_sub_f32_e32 v68, v92, v67
	v_sub_f32_e32 v99, v90, v67
	ds_load_2addr_b32 v[89:90], v82 offset0:170 offset1:187
	v_dual_mul_f32 v102, 0x3fb8aa3b, v68 :: v_dual_mul_f32 v99, 0x3fb8aa3b, v99
	s_waitcnt lgkmcnt(1)
	v_fma_f32 v68, v100, v97, 0
	s_delay_alu instid0(VALU_DEP_2) | instskip(NEXT) | instid1(VALU_DEP_2)
	v_exp_f32_e32 v102, v102
	v_exp_f32_e32 v99, v99
	s_waitcnt_depctr 0xfff
	v_fmac_f32_e32 v68, v99, v98
	v_sub_f32_e32 v91, v91, v67
	s_delay_alu instid0(VALU_DEP_1)
	v_mul_f32_e32 v101, 0x3fb8aa3b, v91
	ds_load_2addr_b32 v[91:92], v82 offset0:204 offset1:221
	v_sub_f32_e32 v97, v94, v67
	ds_load_2addr_b32 v[93:94], v82 offset0:238 offset1:255
	s_waitcnt lgkmcnt(0)
	v_exp_f32_e32 v101, v101
	s_barrier
	buffer_gl0_inv
	v_dual_fmac_f32 v68, v101, v89 :: v_dual_sub_f32 v89, v96, v67
	v_dual_sub_f32 v82, v95, v67 :: v_dual_mul_f32 v95, 0x3fb8aa3b, v97
	v_exp_f32_e32 v97, v103
	s_delay_alu instid0(VALU_DEP_2) | instskip(NEXT) | instid1(VALU_DEP_2)
	v_dual_fmac_f32 v68, v102, v90 :: v_dual_mul_f32 v89, 0x3fb8aa3b, v89
	v_mul_f32_e32 v82, 0x3fb8aa3b, v82
	s_delay_alu instid0(VALU_DEP_3) | instskip(NEXT) | instid1(VALU_DEP_2)
	v_exp_f32_e32 v95, v95
	v_exp_f32_e32 v89, v89
	s_delay_alu instid0(VALU_DEP_1)
	v_exp_f32_e32 v82, v82
	v_fmac_f32_e32 v68, v97, v91
	s_delay_alu instid0(TRANS32_DEP_3) | instid1(VALU_DEP_1)
	v_fmac_f32_e32 v68, v95, v92
	s_waitcnt_depctr 0xfff
	v_fmac_f32_e32 v68, v82, v93
	s_delay_alu instid0(VALU_DEP_1) | instskip(NEXT) | instid1(VALU_DEP_1)
	v_fmac_f32_e32 v68, v89, v94
	v_add_f32_e32 v90, 0x358637bd, v68
	s_delay_alu instid0(VALU_DEP_1) | instskip(NEXT) | instid1(VALU_DEP_1)
	v_div_scale_f32 v91, null, v90, v90, 1.0
	v_rcp_f32_e32 v92, v91
	s_waitcnt_depctr 0xfff
	v_fma_f32 v93, -v91, v92, 1.0
	s_delay_alu instid0(VALU_DEP_1) | instskip(SKIP_1) | instid1(VALU_DEP_2)
	v_dual_fmac_f32 v92, v93, v92 :: v_dual_cndmask_b32 v93, v100, v99
	v_cmp_eq_u32_e32 vcc_lo, 3, v66
	v_cndmask_b32_e64 v93, v93, v101, s3
	v_cmp_eq_u32_e64 s3, 4, v66
	s_delay_alu instid0(VALU_DEP_2) | instskip(SKIP_1) | instid1(VALU_DEP_2)
	v_cndmask_b32_e32 v93, v93, v102, vcc_lo
	v_cmp_eq_u32_e32 vcc_lo, 5, v66
	v_cndmask_b32_e64 v93, v93, v97, s3
	v_cmp_eq_u32_e64 s3, 6, v66
	s_delay_alu instid0(VALU_DEP_2) | instskip(SKIP_1) | instid1(VALU_DEP_1)
	v_cndmask_b32_e32 v93, v93, v95, vcc_lo
	v_div_scale_f32 v94, s4, 1.0, v90, 1.0
	s_mov_b32 vcc_lo, s4
	s_delay_alu instid0(VALU_DEP_2) | instskip(NEXT) | instid1(VALU_DEP_2)
	v_cndmask_b32_e64 v82, v93, v82, s3
	v_mul_f32_e32 v96, v94, v92
	s_mov_b32 s3, exec_lo
	s_delay_alu instid0(VALU_DEP_2) | instskip(NEXT) | instid1(VALU_DEP_2)
	v_cndmask_b32_e64 v82, v82, v89, s5
	v_fma_f32 v98, -v91, v96, v94
	s_delay_alu instid0(VALU_DEP_1) | instskip(NEXT) | instid1(VALU_DEP_1)
	v_fmac_f32_e32 v96, v98, v92
	v_fma_f32 v91, -v91, v96, v94
	s_delay_alu instid0(VALU_DEP_1) | instskip(NEXT) | instid1(VALU_DEP_1)
	v_div_fmas_f32 v91, v91, v92, v96
	v_div_fixup_f32 v90, v91, v90, 1.0
	s_delay_alu instid0(VALU_DEP_1) | instskip(NEXT) | instid1(VALU_DEP_1)
	v_mul_f32_e32 v82, v82, v90
	v_mul_f32_e32 v87, v82, v87
	;; [unrolled: 1-line block ×7, first 2 shown]
	v_dual_mul_f32 v86, v82, v83 :: v_dual_and_b32 v91, 0x7f800000, v90
	v_mul_f32_e32 v85, v82, v76
                                        ; implicit-def: $vgpr76
	s_delay_alu instid0(VALU_DEP_2)
	v_cmpx_ne_u32_e32 0x7f800000, v91
	s_xor_b32 s3, exec_lo, s3
; %bb.13:
	v_bfe_u32 v76, v90, 16, 1
	s_delay_alu instid0(VALU_DEP_1)
	v_add3_u32 v76, v90, v76, 0x7fff
                                        ; implicit-def: $vgpr90
; %bb.14:
	s_and_not1_saveexec_b32 s3, s3
; %bb.15:
	v_and_b32_e32 v76, 0xffff, v90
	v_or_b32_e32 v83, 0x10000, v90
	s_delay_alu instid0(VALU_DEP_2) | instskip(NEXT) | instid1(VALU_DEP_2)
	v_cmp_eq_u32_e32 vcc_lo, 0, v76
	v_cndmask_b32_e32 v76, v83, v90, vcc_lo
; %bb.16:
	s_or_b32 exec_lo, exec_lo, s3
	v_and_b32_e32 v83, 0x7f800000, v85
	s_delay_alu instid0(VALU_DEP_1) | instskip(SKIP_1) | instid1(SALU_CYCLE_1)
	v_cmp_ne_u32_e32 vcc_lo, 0x7f800000, v83
                                        ; implicit-def: $vgpr83
	s_and_saveexec_b32 s3, vcc_lo
	s_xor_b32 s3, exec_lo, s3
; %bb.17:
	v_bfe_u32 v83, v85, 16, 1
	s_delay_alu instid0(VALU_DEP_1)
	v_add3_u32 v83, v85, v83, 0x7fff
                                        ; implicit-def: $vgpr85
; %bb.18:
	s_and_not1_saveexec_b32 s3, s3
; %bb.19:
	v_and_b32_e32 v83, 0xffff, v85
	v_or_b32_e32 v90, 0x10000, v85
	s_delay_alu instid0(VALU_DEP_2) | instskip(NEXT) | instid1(VALU_DEP_2)
	v_cmp_eq_u32_e32 vcc_lo, 0, v83
	v_cndmask_b32_e32 v83, v90, v85, vcc_lo
; %bb.20:
	s_or_b32 exec_lo, exec_lo, s3
	v_and_b32_e32 v85, 0x7f800000, v86
	s_delay_alu instid0(VALU_DEP_1) | instskip(SKIP_1) | instid1(SALU_CYCLE_1)
	v_cmp_ne_u32_e32 vcc_lo, 0x7f800000, v85
                                        ; implicit-def: $vgpr85
	s_and_saveexec_b32 s3, vcc_lo
	s_xor_b32 s3, exec_lo, s3
; %bb.21:
	v_bfe_u32 v85, v86, 16, 1
	s_delay_alu instid0(VALU_DEP_1)
	v_add3_u32 v85, v86, v85, 0x7fff
                                        ; implicit-def: $vgpr86
; %bb.22:
	s_and_not1_saveexec_b32 s3, s3
; %bb.23:
	v_and_b32_e32 v85, 0xffff, v86
	v_or_b32_e32 v90, 0x10000, v86
	s_delay_alu instid0(VALU_DEP_2) | instskip(NEXT) | instid1(VALU_DEP_2)
	v_cmp_eq_u32_e32 vcc_lo, 0, v85
	v_cndmask_b32_e32 v85, v90, v86, vcc_lo
; %bb.24:
	s_or_b32 exec_lo, exec_lo, s3
	v_and_b32_e32 v86, 0x7f800000, v89
	s_delay_alu instid0(VALU_DEP_1) | instskip(SKIP_1) | instid1(SALU_CYCLE_1)
	v_cmp_ne_u32_e32 vcc_lo, 0x7f800000, v86
                                        ; implicit-def: $vgpr86
	s_and_saveexec_b32 s3, vcc_lo
	s_xor_b32 s3, exec_lo, s3
; %bb.25:
	v_bfe_u32 v86, v89, 16, 1
	s_delay_alu instid0(VALU_DEP_1)
	v_add3_u32 v86, v89, v86, 0x7fff
                                        ; implicit-def: $vgpr89
; %bb.26:
	s_and_not1_saveexec_b32 s3, s3
; %bb.27:
	v_and_b32_e32 v86, 0xffff, v89
	v_or_b32_e32 v90, 0x10000, v89
	s_delay_alu instid0(VALU_DEP_2) | instskip(NEXT) | instid1(VALU_DEP_2)
	v_cmp_eq_u32_e32 vcc_lo, 0, v86
	v_cndmask_b32_e32 v86, v90, v89, vcc_lo
; %bb.28:
	s_or_b32 exec_lo, exec_lo, s3
	v_and_b32_e32 v89, 0x7f800000, v88
	s_delay_alu instid0(VALU_DEP_1) | instskip(SKIP_1) | instid1(SALU_CYCLE_1)
	v_cmp_ne_u32_e32 vcc_lo, 0x7f800000, v89
                                        ; implicit-def: $vgpr89
	s_and_saveexec_b32 s3, vcc_lo
	s_xor_b32 s3, exec_lo, s3
; %bb.29:
	v_bfe_u32 v89, v88, 16, 1
	s_delay_alu instid0(VALU_DEP_1)
	v_add3_u32 v89, v88, v89, 0x7fff
                                        ; implicit-def: $vgpr88
; %bb.30:
	s_and_not1_saveexec_b32 s3, s3
; %bb.31:
	v_and_b32_e32 v89, 0xffff, v88
	v_or_b32_e32 v90, 0x10000, v88
	s_delay_alu instid0(VALU_DEP_2) | instskip(NEXT) | instid1(VALU_DEP_2)
	v_cmp_eq_u32_e32 vcc_lo, 0, v89
	v_cndmask_b32_e32 v89, v90, v88, vcc_lo
; %bb.32:
	s_or_b32 exec_lo, exec_lo, s3
	v_and_b32_e32 v88, 0x7f800000, v87
	s_delay_alu instid0(VALU_DEP_1) | instskip(SKIP_1) | instid1(SALU_CYCLE_1)
	v_cmp_ne_u32_e32 vcc_lo, 0x7f800000, v88
                                        ; implicit-def: $vgpr88
	s_and_saveexec_b32 s3, vcc_lo
	s_xor_b32 s3, exec_lo, s3
; %bb.33:
	v_bfe_u32 v88, v87, 16, 1
	s_delay_alu instid0(VALU_DEP_1)
	v_add3_u32 v88, v87, v88, 0x7fff
                                        ; implicit-def: $vgpr87
; %bb.34:
	s_and_not1_saveexec_b32 s3, s3
; %bb.35:
	v_and_b32_e32 v88, 0xffff, v87
	v_or_b32_e32 v90, 0x10000, v87
	s_delay_alu instid0(VALU_DEP_2) | instskip(NEXT) | instid1(VALU_DEP_2)
	v_cmp_eq_u32_e32 vcc_lo, 0, v88
	v_cndmask_b32_e32 v88, v90, v87, vcc_lo
; %bb.36:
	s_or_b32 exec_lo, exec_lo, s3
	v_and_b32_e32 v87, 0x7f800000, v84
	s_delay_alu instid0(VALU_DEP_1) | instskip(SKIP_1) | instid1(SALU_CYCLE_1)
	v_cmp_ne_u32_e32 vcc_lo, 0x7f800000, v87
                                        ; implicit-def: $vgpr87
	s_and_saveexec_b32 s3, vcc_lo
	s_xor_b32 s3, exec_lo, s3
; %bb.37:
	v_bfe_u32 v87, v84, 16, 1
	s_delay_alu instid0(VALU_DEP_1)
	v_add3_u32 v87, v84, v87, 0x7fff
                                        ; implicit-def: $vgpr84
; %bb.38:
	s_and_not1_saveexec_b32 s3, s3
; %bb.39:
	v_and_b32_e32 v87, 0xffff, v84
	v_or_b32_e32 v90, 0x10000, v84
	s_delay_alu instid0(VALU_DEP_2) | instskip(NEXT) | instid1(VALU_DEP_2)
	v_cmp_eq_u32_e32 vcc_lo, 0, v87
	v_cndmask_b32_e32 v87, v90, v84, vcc_lo
; %bb.40:
	s_or_b32 exec_lo, exec_lo, s3
	v_and_b32_e32 v84, 0x7f800000, v80
	s_delay_alu instid0(VALU_DEP_1) | instskip(SKIP_1) | instid1(SALU_CYCLE_1)
	v_cmp_ne_u32_e32 vcc_lo, 0x7f800000, v84
                                        ; implicit-def: $vgpr84
	s_and_saveexec_b32 s3, vcc_lo
	s_xor_b32 s3, exec_lo, s3
; %bb.41:
	v_bfe_u32 v84, v80, 16, 1
	s_delay_alu instid0(VALU_DEP_1)
	v_add3_u32 v84, v80, v84, 0x7fff
                                        ; implicit-def: $vgpr80
; %bb.42:
	s_and_not1_saveexec_b32 s3, s3
; %bb.43:
	v_and_b32_e32 v84, 0xffff, v80
	v_or_b32_e32 v90, 0x10000, v80
	s_delay_alu instid0(VALU_DEP_2) | instskip(NEXT) | instid1(VALU_DEP_2)
	v_cmp_eq_u32_e32 vcc_lo, 0, v84
	v_cndmask_b32_e32 v84, v90, v80, vcc_lo
; %bb.44:
	s_or_b32 exec_lo, exec_lo, s3
	s_load_b64 s[34:35], s[0:1], 0x94
	v_lshlrev_b32_e32 v91, 4, v74
	s_delay_alu instid0(VALU_DEP_2)
	v_perm_b32 v90, v84, v87, 0x7060302
	v_dual_mul_f32 v79, v82, v79 :: v_dual_lshlrev_b32 v80, 6, v65
	v_dual_mul_f32 v77, v82, v77 :: v_dual_lshlrev_b32 v92, 11, v66
	v_mul_f32_e32 v84, v82, v70
	v_perm_b32 v89, v88, v89, 0x7060302
	v_perm_b32 v88, v86, v85, 0x7060302
	v_perm_b32 v87, v83, v76, 0x7060302
	v_mul_f32_e32 v70, v82, v81
	v_or3_b32 v76, v91, v92, v80
	v_dual_mul_f32 v78, v82, v78 :: v_dual_and_b32 v85, 0x7f800000, v84
	v_mul_f32_e32 v83, v82, v72
	v_mul_f32_e32 v81, v82, v71
	;; [unrolled: 1-line block ×3, first 2 shown]
	s_mov_b32 s3, exec_lo
	ds_store_b128 v76, v[87:90]
                                        ; implicit-def: $vgpr69
	v_cmpx_ne_u32_e32 0x7f800000, v85
	s_xor_b32 s3, exec_lo, s3
; %bb.45:
	v_bfe_u32 v69, v84, 16, 1
	s_delay_alu instid0(VALU_DEP_1)
	v_add3_u32 v69, v84, v69, 0x7fff
                                        ; implicit-def: $vgpr84
; %bb.46:
	s_and_not1_saveexec_b32 s3, s3
; %bb.47:
	v_and_b32_e32 v69, 0xffff, v84
	v_or_b32_e32 v71, 0x10000, v84
	s_delay_alu instid0(VALU_DEP_2) | instskip(NEXT) | instid1(VALU_DEP_2)
	v_cmp_eq_u32_e32 vcc_lo, 0, v69
	v_cndmask_b32_e32 v69, v71, v84, vcc_lo
; %bb.48:
	s_or_b32 exec_lo, exec_lo, s3
	v_and_b32_e32 v71, 0x7f800000, v72
	s_delay_alu instid0(VALU_DEP_1) | instskip(SKIP_1) | instid1(SALU_CYCLE_1)
	v_cmp_ne_u32_e32 vcc_lo, 0x7f800000, v71
                                        ; implicit-def: $vgpr71
	s_and_saveexec_b32 s3, vcc_lo
	s_xor_b32 s3, exec_lo, s3
; %bb.49:
	v_bfe_u32 v71, v72, 16, 1
	s_delay_alu instid0(VALU_DEP_1)
	v_add3_u32 v71, v72, v71, 0x7fff
                                        ; implicit-def: $vgpr72
; %bb.50:
	s_and_not1_saveexec_b32 s3, s3
; %bb.51:
	v_and_b32_e32 v71, 0xffff, v72
	v_or_b32_e32 v82, 0x10000, v72
	s_delay_alu instid0(VALU_DEP_2) | instskip(NEXT) | instid1(VALU_DEP_2)
	v_cmp_eq_u32_e32 vcc_lo, 0, v71
	v_cndmask_b32_e32 v71, v82, v72, vcc_lo
; %bb.52:
	s_or_b32 exec_lo, exec_lo, s3
	v_and_b32_e32 v72, 0x7f800000, v81
	s_delay_alu instid0(VALU_DEP_1) | instskip(SKIP_1) | instid1(SALU_CYCLE_1)
	v_cmp_ne_u32_e32 vcc_lo, 0x7f800000, v72
                                        ; implicit-def: $vgpr72
	s_and_saveexec_b32 s3, vcc_lo
	s_xor_b32 s3, exec_lo, s3
; %bb.53:
	v_bfe_u32 v72, v81, 16, 1
	s_delay_alu instid0(VALU_DEP_1)
	v_add3_u32 v72, v81, v72, 0x7fff
                                        ; implicit-def: $vgpr81
; %bb.54:
	s_and_not1_saveexec_b32 s3, s3
; %bb.55:
	v_and_b32_e32 v72, 0xffff, v81
	v_or_b32_e32 v82, 0x10000, v81
	s_delay_alu instid0(VALU_DEP_2) | instskip(NEXT) | instid1(VALU_DEP_2)
	v_cmp_eq_u32_e32 vcc_lo, 0, v72
	v_cndmask_b32_e32 v72, v82, v81, vcc_lo
; %bb.56:
	s_or_b32 exec_lo, exec_lo, s3
	v_and_b32_e32 v81, 0x7f800000, v83
	s_delay_alu instid0(VALU_DEP_1) | instskip(SKIP_1) | instid1(SALU_CYCLE_1)
	v_cmp_ne_u32_e32 vcc_lo, 0x7f800000, v81
                                        ; implicit-def: $vgpr81
	s_and_saveexec_b32 s3, vcc_lo
	s_xor_b32 s3, exec_lo, s3
; %bb.57:
	v_bfe_u32 v81, v83, 16, 1
	s_delay_alu instid0(VALU_DEP_1)
	v_add3_u32 v81, v83, v81, 0x7fff
                                        ; implicit-def: $vgpr83
; %bb.58:
	s_and_not1_saveexec_b32 s3, s3
; %bb.59:
	v_and_b32_e32 v81, 0xffff, v83
	v_or_b32_e32 v82, 0x10000, v83
	s_delay_alu instid0(VALU_DEP_2) | instskip(NEXT) | instid1(VALU_DEP_2)
	v_cmp_eq_u32_e32 vcc_lo, 0, v81
	v_cndmask_b32_e32 v81, v82, v83, vcc_lo
; %bb.60:
	s_or_b32 exec_lo, exec_lo, s3
	v_and_b32_e32 v82, 0x7f800000, v77
	s_delay_alu instid0(VALU_DEP_1) | instskip(SKIP_1) | instid1(SALU_CYCLE_1)
	v_cmp_ne_u32_e32 vcc_lo, 0x7f800000, v82
                                        ; implicit-def: $vgpr82
	s_and_saveexec_b32 s3, vcc_lo
	s_xor_b32 s3, exec_lo, s3
; %bb.61:
	v_bfe_u32 v82, v77, 16, 1
	s_delay_alu instid0(VALU_DEP_1)
	v_add3_u32 v82, v77, v82, 0x7fff
                                        ; implicit-def: $vgpr77
; %bb.62:
	s_and_not1_saveexec_b32 s3, s3
; %bb.63:
	v_and_b32_e32 v82, 0xffff, v77
	v_or_b32_e32 v83, 0x10000, v77
	s_delay_alu instid0(VALU_DEP_2) | instskip(NEXT) | instid1(VALU_DEP_2)
	v_cmp_eq_u32_e32 vcc_lo, 0, v82
	v_cndmask_b32_e32 v82, v83, v77, vcc_lo
; %bb.64:
	s_or_b32 exec_lo, exec_lo, s3
	v_and_b32_e32 v77, 0x7f800000, v78
	s_delay_alu instid0(VALU_DEP_1) | instskip(SKIP_1) | instid1(SALU_CYCLE_1)
	v_cmp_ne_u32_e32 vcc_lo, 0x7f800000, v77
                                        ; implicit-def: $vgpr77
	s_and_saveexec_b32 s3, vcc_lo
	s_xor_b32 s3, exec_lo, s3
; %bb.65:
	v_bfe_u32 v77, v78, 16, 1
	s_delay_alu instid0(VALU_DEP_1)
	v_add3_u32 v77, v78, v77, 0x7fff
                                        ; implicit-def: $vgpr78
; %bb.66:
	s_and_not1_saveexec_b32 s3, s3
; %bb.67:
	v_and_b32_e32 v77, 0xffff, v78
	v_or_b32_e32 v83, 0x10000, v78
	s_delay_alu instid0(VALU_DEP_2) | instskip(NEXT) | instid1(VALU_DEP_2)
	v_cmp_eq_u32_e32 vcc_lo, 0, v77
	v_cndmask_b32_e32 v77, v83, v78, vcc_lo
; %bb.68:
	s_or_b32 exec_lo, exec_lo, s3
	v_and_b32_e32 v78, 0x7f800000, v79
	s_delay_alu instid0(VALU_DEP_1) | instskip(SKIP_1) | instid1(SALU_CYCLE_1)
	v_cmp_ne_u32_e32 vcc_lo, 0x7f800000, v78
                                        ; implicit-def: $vgpr78
	s_and_saveexec_b32 s3, vcc_lo
	s_xor_b32 s3, exec_lo, s3
; %bb.69:
	v_bfe_u32 v78, v79, 16, 1
	s_delay_alu instid0(VALU_DEP_1)
	v_add3_u32 v78, v79, v78, 0x7fff
                                        ; implicit-def: $vgpr79
; %bb.70:
	s_and_not1_saveexec_b32 s3, s3
; %bb.71:
	v_and_b32_e32 v78, 0xffff, v79
	v_or_b32_e32 v83, 0x10000, v79
	s_delay_alu instid0(VALU_DEP_2) | instskip(NEXT) | instid1(VALU_DEP_2)
	v_cmp_eq_u32_e32 vcc_lo, 0, v78
	v_cndmask_b32_e32 v78, v83, v79, vcc_lo
; %bb.72:
	s_or_b32 exec_lo, exec_lo, s3
	v_and_b32_e32 v79, 0x7f800000, v70
	s_delay_alu instid0(VALU_DEP_1) | instskip(SKIP_1) | instid1(SALU_CYCLE_1)
	v_cmp_ne_u32_e32 vcc_lo, 0x7f800000, v79
                                        ; implicit-def: $vgpr79
	s_and_saveexec_b32 s3, vcc_lo
	s_xor_b32 s3, exec_lo, s3
; %bb.73:
	v_bfe_u32 v79, v70, 16, 1
	s_delay_alu instid0(VALU_DEP_1)
	v_add3_u32 v79, v70, v79, 0x7fff
                                        ; implicit-def: $vgpr70
; %bb.74:
	s_and_not1_saveexec_b32 s3, s3
; %bb.75:
	v_and_b32_e32 v79, 0xffff, v70
	v_or_b32_e32 v83, 0x10000, v70
	s_delay_alu instid0(VALU_DEP_2) | instskip(NEXT) | instid1(VALU_DEP_2)
	v_cmp_eq_u32_e32 vcc_lo, 0, v79
	v_cndmask_b32_e32 v79, v83, v70, vcc_lo
; %bb.76:
	s_or_b32 exec_lo, exec_lo, s3
	s_delay_alu instid0(VALU_DEP_1)
	v_perm_b32 v86, v79, v78, 0x7060302
	v_perm_b32 v85, v77, v82, 0x7060302
	;; [unrolled: 1-line block ×4, first 2 shown]
	v_lshl_or_b32 v82, v66, 11, v80
	ds_store_b128 v76, v[83:86] offset:1024
	s_waitcnt lgkmcnt(0)
	s_barrier
	buffer_gl0_inv
	ds_load_b128 v[69:72], v82
	ds_load_b128 v[83:86], v82 offset:16
	s_waitcnt lgkmcnt(1)
	v_lshrrev_b32_e32 v66, 16, v69
	s_waitcnt lgkmcnt(0)
	v_lshrrev_b32_e32 v91, 16, v83
	v_lshlrev_b32_e32 v78, 2, v74
	v_lshrrev_b32_e32 v95, 16, v70
	v_lshrrev_b32_e32 v98, 16, v84
	;; [unrolled: 1-line block ×4, first 2 shown]
	v_cmp_eq_u32_e32 vcc_lo, 1, v78
	v_lshrrev_b32_e32 v97, 16, v72
	v_lshrrev_b32_e32 v100, 16, v86
	v_cndmask_b32_e32 v87, v83, v91, vcc_lo
	v_or_b32_e32 v79, 1, v78
	v_cndmask_b32_e32 v81, v69, v66, vcc_lo
	v_cmp_eq_u32_e64 s4, 2, v78
	v_cmp_eq_u32_e64 s7, 3, v78
	;; [unrolled: 1-line block ×5, first 2 shown]
	v_cndmask_b32_e64 v81, v81, v70, s4
	v_cndmask_b32_e64 v87, v87, v84, s4
	v_cmp_eq_u32_e64 s8, 3, v79
	v_cndmask_b32_e64 v88, v69, v66, s3
	v_or_b32_e32 v77, 2, v78
	v_cndmask_b32_e64 v81, v81, v95, s7
	v_cndmask_b32_e64 v87, v87, v98, s7
	;; [unrolled: 1-line block ×4, first 2 shown]
	v_cmp_eq_u32_e64 s10, 5, v78
	v_cndmask_b32_e64 v81, v81, v71, s9
	v_cndmask_b32_e64 v87, v87, v85, s9
	v_cmp_eq_u32_e64 s11, 4, v79
	v_cndmask_b32_e64 v88, v88, v95, s8
	v_cmp_eq_u32_e64 s5, 1, v77
	v_cndmask_b32_e64 v89, v89, v84, s6
	v_cndmask_b32_e64 v81, v81, v96, s10
	v_cmp_eq_u32_e64 s12, 6, v78
	v_cndmask_b32_e64 v88, v88, v71, s11
	;; [unrolled: 3-line block ×3, first 2 shown]
	v_cndmask_b32_e64 v89, v89, v98, s8
	v_cndmask_b32_e64 v81, v81, v72, s12
	v_cmp_eq_u32_e64 s15, 7, v78
	v_cndmask_b32_e64 v88, v88, v96, s13
	v_cndmask_b32_e64 v87, v87, v86, s12
	v_cmp_eq_u32_e64 s16, 6, v79
	v_cmp_eq_u32_e64 s17, 2, v77
	v_cndmask_b32_e64 v89, v89, v85, s11
	v_cndmask_b32_e64 v101, v81, v97, s15
	;; [unrolled: 1-line block ×6, first 2 shown]
	v_cmp_eq_u32_e64 s18, 7, v79
	v_cmp_eq_u32_e64 s19, 3, v77
	;; [unrolled: 1-line block ×4, first 2 shown]
	v_cndmask_b32_e64 v87, v87, v84, s17
	v_cndmask_b32_e64 v103, v88, v97, s18
	;; [unrolled: 1-line block ×4, first 2 shown]
	v_or_b32_e32 v81, 3, v78
	v_cndmask_b32_e64 v93, v87, v98, s19
	v_cmp_eq_u32_e64 s24, 6, v77
	v_cndmask_b32_e64 v104, v88, v86, s16
	v_cndmask_b32_e64 v92, v89, v71, s20
	v_cmp_eq_u32_e64 s21, 1, v81
	ds_load_b128 v[87:90], v82 offset:1024
	v_cmp_eq_u32_e64 s23, 2, v81
	v_cmp_eq_u32_e64 s25, 3, v81
	v_cndmask_b32_e64 v105, v92, v96, s22
	v_cndmask_b32_e64 v66, v69, v66, s21
	;; [unrolled: 1-line block ×4, first 2 shown]
	ds_load_b128 v[91:94], v82 offset:1040
	v_cmp_eq_u32_e64 s26, 4, v81
	v_cndmask_b32_e64 v66, v66, v70, s23
	v_cmp_eq_u32_e64 s27, 7, v77
	v_cndmask_b32_e64 v70, v83, v84, s23
	v_cndmask_b32_e64 v84, v105, v72, s24
	v_cmp_eq_u32_e64 s28, 5, v81
	v_cndmask_b32_e64 v66, v66, v95, s25
	v_cmp_eq_u32_e64 s29, 6, v81
	v_cndmask_b32_e64 v70, v70, v98, s25
	v_cndmask_b32_e64 v69, v69, v99, s22
	;; [unrolled: 1-line block ×4, first 2 shown]
	s_waitcnt lgkmcnt(1)
	v_lshrrev_b32_e32 v95, 16, v87
	v_cndmask_b32_e64 v70, v70, v85, s26
	v_cndmask_b32_e64 v71, v84, v97, s27
	;; [unrolled: 1-line block ×4, first 2 shown]
	v_cndmask_b32_e32 v84, v87, v95, vcc_lo
	v_cndmask_b32_e64 v70, v70, v99, s28
	s_waitcnt lgkmcnt(0)
	v_lshrrev_b32_e32 v85, 16, v91
	v_lshrrev_b32_e32 v96, 16, v88
	v_cndmask_b32_e64 v98, v87, v95, s3
	v_cndmask_b32_e64 v84, v84, v88, s4
	;; [unrolled: 1-line block ×3, first 2 shown]
	v_cndmask_b32_e32 v99, v91, v85, vcc_lo
	v_cmp_eq_u32_e32 vcc_lo, 7, v81
	v_cndmask_b32_e64 v66, v66, v72, s29
	v_cndmask_b32_e64 v72, v84, v96, s7
	v_cndmask_b32_e64 v84, v98, v88, s6
	v_lshrrev_b32_e32 v98, 16, v92
	v_cndmask_b32_e32 v70, v70, v100, vcc_lo
	v_cndmask_b32_e64 v86, v99, v92, s4
	v_cndmask_b32_e64 v69, v69, v100, s27
	v_lshrrev_b32_e32 v100, 16, v93
	v_cndmask_b32_e64 v72, v72, v89, s9
	v_lshrrev_b32_e32 v99, 16, v89
	v_cndmask_b32_e64 v86, v86, v98, s7
	v_perm_b32 v71, v69, v71, 0x5040100
	v_cndmask_b32_e64 v84, v84, v96, s8
	s_delay_alu instid0(VALU_DEP_3) | instskip(NEXT) | instid1(VALU_DEP_2)
	v_cndmask_b32_e64 v86, v86, v93, s9
	v_cndmask_b32_e64 v84, v84, v89, s11
	s_delay_alu instid0(VALU_DEP_2) | instskip(NEXT) | instid1(VALU_DEP_1)
	v_cndmask_b32_e64 v86, v86, v100, s10
	v_cndmask_b32_e64 v69, v86, v94, s12
	;; [unrolled: 1-line block ×5, first 2 shown]
	s_delay_alu instid0(VALU_DEP_3) | instskip(NEXT) | instid1(VALU_DEP_3)
	v_cndmask_b32_e64 v86, v86, v88, s17
	v_cndmask_b32_e64 v87, v87, v88, s23
	s_delay_alu instid0(VALU_DEP_3) | instskip(NEXT) | instid1(VALU_DEP_3)
	v_cndmask_b32_e64 v88, v95, v92, s23
	v_cndmask_b32_e64 v86, v86, v96, s19
	;; [unrolled: 3-line block ×7, first 2 shown]
	s_delay_alu instid0(VALU_DEP_3) | instskip(SKIP_2) | instid1(VALU_DEP_2)
	v_cndmask_b32_e64 v88, v88, v94, s29
	v_cndmask_b32_e32 v66, v66, v97, vcc_lo
	v_cndmask_b32_e64 v97, v72, v99, s10
	v_perm_b32 v72, v70, v66, 0x5040100
	v_perm_b32 v70, v83, v103, 0x5040100
	v_cndmask_b32_e64 v103, v91, v85, s5
	v_cndmask_b32_e64 v85, v91, v85, s3
	;; [unrolled: 1-line block ×4, first 2 shown]
	v_lshrrev_b32_e32 v97, 16, v90
	v_cndmask_b32_e64 v91, v103, v92, s17
	v_cndmask_b32_e64 v85, v85, v92, s6
	;; [unrolled: 1-line block ×3, first 2 shown]
	s_mov_b32 s3, exec_lo
	v_cndmask_b32_e64 v83, v84, v97, s15
	v_cndmask_b32_e64 v91, v91, v98, s19
	;; [unrolled: 1-line block ×3, first 2 shown]
	v_lshrrev_b32_e32 v84, 16, v94
	v_cndmask_b32_e64 v66, v66, v97, s18
	v_cndmask_b32_e64 v90, v86, v97, s27
	;; [unrolled: 1-line block ×4, first 2 shown]
	v_dual_cndmask_b32 v86, v87, v97 :: v_dual_cndmask_b32 v87, v88, v84
	v_cndmask_b32_e64 v91, v69, v84, s15
	s_delay_alu instid0(VALU_DEP_4) | instskip(NEXT) | instid1(VALU_DEP_4)
	v_cndmask_b32_e64 v89, v89, v100, s22
	v_cndmask_b32_e64 v85, v85, v100, s13
	v_perm_b32 v69, v102, v101, 0x5040100
	v_perm_b32 v86, v87, v86, 0x5040100
	;; [unrolled: 1-line block ×3, first 2 shown]
	v_cndmask_b32_e64 v89, v89, v94, s24
	v_cndmask_b32_e64 v85, v85, v94, s16
	s_mul_i32 s8, s35, 10
	s_delay_alu instid0(VALU_DEP_2) | instskip(NEXT) | instid1(VALU_DEP_2)
	v_cndmask_b32_e64 v88, v89, v84, s27
	v_cndmask_b32_e64 v89, v85, v84, s18
	s_delay_alu instid0(VALU_DEP_2) | instskip(NEXT) | instid1(VALU_DEP_2)
	v_perm_b32 v85, v88, v90, 0x5040100
	v_perm_b32 v84, v89, v66, 0x5040100
	ds_store_b128 v76, v[69:72]
	ds_store_b128 v76, v[83:86] offset:1024
	v_cmpx_gt_u32_e32 10, v0
	s_cbranch_execz .LBB1375_78
; %bb.77:
	s_mul_i32 s4, s8, s30
	s_delay_alu instid0(SALU_CYCLE_1) | instskip(SKIP_1) | instid1(VALU_DEP_1)
	v_add3_u32 v69, s4, s31, v65
	s_load_b128 s[4:7], s[0:1], 0x58
	v_mad_u64_u32 v[65:66], null, v69, s34, s[14:15]
	s_delay_alu instid0(VALU_DEP_1) | instskip(NEXT) | instid1(VALU_DEP_1)
	v_ashrrev_i32_e32 v66, 31, v65
	v_lshlrev_b64 v[65:66], 2, v[65:66]
	s_waitcnt lgkmcnt(0)
	s_delay_alu instid0(VALU_DEP_1) | instskip(NEXT) | instid1(VALU_DEP_2)
	v_add_co_u32 v69, vcc_lo, s6, v65
	v_add_co_ci_u32_e32 v70, vcc_lo, s7, v66, vcc_lo
	v_add_co_u32 v65, vcc_lo, s4, v65
	v_add_co_ci_u32_e32 v66, vcc_lo, s5, v66, vcc_lo
	global_store_b32 v[69:70], v67, off
	global_store_b32 v[65:66], v68, off
.LBB1375_78:
	s_or_b32 exec_lo, exec_lo, s3
	s_waitcnt lgkmcnt(0)
	s_waitcnt_vscnt null, 0x0
	s_barrier
	buffer_gl0_inv
	ds_load_b128 v[83:86], v80
	ds_load_b128 v[87:90], v80 offset:16
	ds_load_b128 v[95:98], v80 offset:2064
	;; [unrolled: 1-line block ×3, first 2 shown]
	v_mov_b32_e32 v65, 0
	ds_load_b128 v[103:106], v80 offset:4112
	ds_load_b128 v[99:102], v80 offset:4096
	;; [unrolled: 1-line block ×4, first 2 shown]
	v_mov_b32_e32 v66, v65
	v_mov_b32_e32 v67, v65
	;; [unrolled: 1-line block ×7, first 2 shown]
	s_waitcnt lgkmcnt(6)
	s_delay_alu instid0(VALU_DEP_1)
	v_wmma_f32_16x16x16_bf16 v[65:72], v[57:64], v[83:90], v[65:72]
	ds_load_b128 v[61:64], v80 offset:8208
	ds_load_b128 v[57:60], v80 offset:8192
	s_waitcnt lgkmcnt(6)
	v_wmma_f32_16x16x16_bf16 v[65:72], v[41:48], v[91:98], v[65:72]
	ds_load_b128 v[45:48], v80 offset:10256
	ds_load_b128 v[41:44], v80 offset:10240
	s_waitcnt lgkmcnt(6)
	;; [unrolled: 4-line block ×4, first 2 shown]
	v_wmma_f32_16x16x16_bf16 v[65:72], v[1:8], v[57:64], v[65:72]
	s_waitcnt lgkmcnt(4)
	s_delay_alu instid0(VALU_DEP_1) | instskip(SKIP_1) | instid1(VALU_DEP_1)
	v_wmma_f32_16x16x16_bf16 v[65:72], v[9:16], v[41:48], v[65:72]
	s_waitcnt lgkmcnt(2)
	v_wmma_f32_16x16x16_bf16 v[65:72], v[17:24], v[33:40], v[65:72]
	s_waitcnt lgkmcnt(0)
	s_delay_alu instid0(VALU_DEP_1) | instskip(NEXT) | instid1(VALU_DEP_1)
	v_wmma_f32_16x16x16_bf16 v[65:72], v[49:56], v[25:32], v[65:72]
	v_and_b32_e32 v1, 0x7f800000, v65
	s_delay_alu instid0(VALU_DEP_1) | instskip(SKIP_1) | instid1(SALU_CYCLE_1)
	v_cmp_ne_u32_e32 vcc_lo, 0x7f800000, v1
                                        ; implicit-def: $vgpr1
	s_and_saveexec_b32 s3, vcc_lo
	s_xor_b32 s3, exec_lo, s3
; %bb.79:
	v_bfe_u32 v1, v65, 16, 1
	s_delay_alu instid0(VALU_DEP_1)
	v_add3_u32 v1, v65, v1, 0x7fff
; %bb.80:
	s_and_not1_saveexec_b32 s3, s3
; %bb.81:
	v_and_b32_e32 v1, 0xffff, v65
	v_or_b32_e32 v2, 0x10000, v65
	s_delay_alu instid0(VALU_DEP_2) | instskip(NEXT) | instid1(VALU_DEP_2)
	v_cmp_eq_u32_e32 vcc_lo, 0, v1
	v_cndmask_b32_e32 v1, v2, v65, vcc_lo
; %bb.82:
	s_or_b32 exec_lo, exec_lo, s3
	v_and_b32_e32 v2, 0x7f800000, v66
	s_delay_alu instid0(VALU_DEP_1) | instskip(SKIP_1) | instid1(SALU_CYCLE_1)
	v_cmp_ne_u32_e32 vcc_lo, 0x7f800000, v2
                                        ; implicit-def: $vgpr2
	s_and_saveexec_b32 s3, vcc_lo
	s_xor_b32 s3, exec_lo, s3
; %bb.83:
	v_bfe_u32 v2, v66, 16, 1
	s_delay_alu instid0(VALU_DEP_1)
	v_add3_u32 v2, v66, v2, 0x7fff
; %bb.84:
	s_and_not1_saveexec_b32 s3, s3
; %bb.85:
	v_and_b32_e32 v2, 0xffff, v66
	v_or_b32_e32 v3, 0x10000, v66
	s_delay_alu instid0(VALU_DEP_2) | instskip(NEXT) | instid1(VALU_DEP_2)
	v_cmp_eq_u32_e32 vcc_lo, 0, v2
	v_cndmask_b32_e32 v2, v3, v66, vcc_lo
; %bb.86:
	s_or_b32 exec_lo, exec_lo, s3
	v_and_b32_e32 v3, 0x7f800000, v67
	s_delay_alu instid0(VALU_DEP_1) | instskip(SKIP_1) | instid1(SALU_CYCLE_1)
	v_cmp_ne_u32_e32 vcc_lo, 0x7f800000, v3
                                        ; implicit-def: $vgpr3
	s_and_saveexec_b32 s3, vcc_lo
	s_xor_b32 s3, exec_lo, s3
; %bb.87:
	v_bfe_u32 v3, v67, 16, 1
	s_delay_alu instid0(VALU_DEP_1)
	v_add3_u32 v3, v67, v3, 0x7fff
; %bb.88:
	s_and_not1_saveexec_b32 s3, s3
; %bb.89:
	v_and_b32_e32 v3, 0xffff, v67
	v_or_b32_e32 v4, 0x10000, v67
	s_delay_alu instid0(VALU_DEP_2) | instskip(NEXT) | instid1(VALU_DEP_2)
	v_cmp_eq_u32_e32 vcc_lo, 0, v3
	v_cndmask_b32_e32 v3, v4, v67, vcc_lo
; %bb.90:
	s_or_b32 exec_lo, exec_lo, s3
	v_and_b32_e32 v4, 0x7f800000, v68
	s_delay_alu instid0(VALU_DEP_1) | instskip(SKIP_1) | instid1(SALU_CYCLE_1)
	v_cmp_ne_u32_e32 vcc_lo, 0x7f800000, v4
                                        ; implicit-def: $vgpr4
	s_and_saveexec_b32 s3, vcc_lo
	s_xor_b32 s3, exec_lo, s3
; %bb.91:
	v_bfe_u32 v4, v68, 16, 1
	s_delay_alu instid0(VALU_DEP_1)
	v_add3_u32 v4, v68, v4, 0x7fff
; %bb.92:
	s_and_not1_saveexec_b32 s3, s3
; %bb.93:
	v_and_b32_e32 v4, 0xffff, v68
	v_or_b32_e32 v5, 0x10000, v68
	s_delay_alu instid0(VALU_DEP_2) | instskip(NEXT) | instid1(VALU_DEP_2)
	v_cmp_eq_u32_e32 vcc_lo, 0, v4
	v_cndmask_b32_e32 v4, v5, v68, vcc_lo
; %bb.94:
	s_or_b32 exec_lo, exec_lo, s3
	v_and_b32_e32 v5, 0x7f800000, v69
	s_delay_alu instid0(VALU_DEP_1) | instskip(SKIP_1) | instid1(SALU_CYCLE_1)
	v_cmp_ne_u32_e32 vcc_lo, 0x7f800000, v5
                                        ; implicit-def: $vgpr5
	s_and_saveexec_b32 s3, vcc_lo
	s_xor_b32 s3, exec_lo, s3
; %bb.95:
	v_bfe_u32 v5, v69, 16, 1
	s_delay_alu instid0(VALU_DEP_1)
	v_add3_u32 v5, v69, v5, 0x7fff
; %bb.96:
	s_and_not1_saveexec_b32 s3, s3
; %bb.97:
	v_and_b32_e32 v5, 0xffff, v69
	v_or_b32_e32 v6, 0x10000, v69
	s_delay_alu instid0(VALU_DEP_2) | instskip(NEXT) | instid1(VALU_DEP_2)
	v_cmp_eq_u32_e32 vcc_lo, 0, v5
	v_cndmask_b32_e32 v5, v6, v69, vcc_lo
; %bb.98:
	s_or_b32 exec_lo, exec_lo, s3
	v_and_b32_e32 v6, 0x7f800000, v70
	s_delay_alu instid0(VALU_DEP_1) | instskip(SKIP_1) | instid1(SALU_CYCLE_1)
	v_cmp_ne_u32_e32 vcc_lo, 0x7f800000, v6
                                        ; implicit-def: $vgpr6
	s_and_saveexec_b32 s3, vcc_lo
	s_xor_b32 s3, exec_lo, s3
; %bb.99:
	v_bfe_u32 v6, v70, 16, 1
	s_delay_alu instid0(VALU_DEP_1)
	v_add3_u32 v6, v70, v6, 0x7fff
; %bb.100:
	s_and_not1_saveexec_b32 s3, s3
; %bb.101:
	v_and_b32_e32 v6, 0xffff, v70
	v_or_b32_e32 v7, 0x10000, v70
	s_delay_alu instid0(VALU_DEP_2) | instskip(NEXT) | instid1(VALU_DEP_2)
	v_cmp_eq_u32_e32 vcc_lo, 0, v6
	v_cndmask_b32_e32 v6, v7, v70, vcc_lo
; %bb.102:
	s_or_b32 exec_lo, exec_lo, s3
	v_and_b32_e32 v7, 0x7f800000, v71
	s_delay_alu instid0(VALU_DEP_1) | instskip(SKIP_1) | instid1(SALU_CYCLE_1)
	v_cmp_ne_u32_e32 vcc_lo, 0x7f800000, v7
                                        ; implicit-def: $vgpr7
	s_and_saveexec_b32 s3, vcc_lo
	s_xor_b32 s3, exec_lo, s3
; %bb.103:
	v_bfe_u32 v7, v71, 16, 1
	s_delay_alu instid0(VALU_DEP_1)
	v_add3_u32 v7, v71, v7, 0x7fff
; %bb.104:
	s_and_not1_saveexec_b32 s3, s3
; %bb.105:
	v_and_b32_e32 v7, 0xffff, v71
	v_or_b32_e32 v8, 0x10000, v71
	s_delay_alu instid0(VALU_DEP_2) | instskip(NEXT) | instid1(VALU_DEP_2)
	v_cmp_eq_u32_e32 vcc_lo, 0, v7
	v_cndmask_b32_e32 v7, v8, v71, vcc_lo
; %bb.106:
	s_or_b32 exec_lo, exec_lo, s3
	v_and_b32_e32 v8, 0x7f800000, v72
	s_delay_alu instid0(VALU_DEP_1) | instskip(SKIP_1) | instid1(SALU_CYCLE_1)
	v_cmp_ne_u32_e32 vcc_lo, 0x7f800000, v8
                                        ; implicit-def: $vgpr8
	s_and_saveexec_b32 s3, vcc_lo
	s_xor_b32 s3, exec_lo, s3
; %bb.107:
	v_bfe_u32 v8, v72, 16, 1
	s_delay_alu instid0(VALU_DEP_1)
	v_add3_u32 v8, v72, v8, 0x7fff
                                        ; implicit-def: $vgpr65_vgpr66_vgpr67_vgpr68_vgpr69_vgpr70_vgpr71_vgpr72
; %bb.108:
	s_and_not1_saveexec_b32 s3, s3
; %bb.109:
	v_and_b32_e32 v8, 0xffff, v72
	v_or_b32_e32 v9, 0x10000, v72
	s_delay_alu instid0(VALU_DEP_2) | instskip(NEXT) | instid1(VALU_DEP_2)
	v_cmp_eq_u32_e32 vcc_lo, 0, v8
	v_cndmask_b32_e32 v8, v9, v72, vcc_lo
; %bb.110:
	s_or_b32 exec_lo, exec_lo, s3
	s_delay_alu instid0(VALU_DEP_1)
	v_perm_b32 v7, v8, v7, 0x7060302
	v_perm_b32 v6, v6, v5, 0x7060302
	;; [unrolled: 1-line block ×4, first 2 shown]
	s_barrier
	buffer_gl0_inv
	v_cmp_eq_u32_e32 vcc_lo, 1, v78
	ds_store_b128 v76, v[4:7]
	s_waitcnt lgkmcnt(0)
	s_barrier
	buffer_gl0_inv
	ds_load_b128 v[1:4], v82
	ds_load_b128 v[5:8], v82 offset:16
	v_cmp_eq_u32_e64 s3, 1, v79
	v_cmp_eq_u32_e64 s4, 2, v78
	;; [unrolled: 1-line block ×5, first 2 shown]
	s_waitcnt lgkmcnt(1)
	v_lshrrev_b32_e32 v9, 16, v1
	s_waitcnt lgkmcnt(0)
	v_lshrrev_b32_e32 v13, 16, v5
	v_lshrrev_b32_e32 v10, 16, v2
	;; [unrolled: 1-line block ×4, first 2 shown]
	v_cndmask_b32_e64 v19, v1, v9, s3
	v_cndmask_b32_e32 v18, v5, v13, vcc_lo
	v_cndmask_b32_e64 v20, v5, v13, s3
	v_cndmask_b32_e32 v17, v1, v9, vcc_lo
	v_cmp_eq_u32_e32 vcc_lo, 2, v79
	v_lshrrev_b32_e32 v15, 16, v7
	v_cmp_eq_u32_e64 s3, 1, v77
	v_lshrrev_b32_e32 v12, 16, v4
	v_lshrrev_b32_e32 v16, 16, v8
	v_cndmask_b32_e32 v20, v20, v6, vcc_lo
	v_cndmask_b32_e64 v17, v17, v2, s4
	v_cndmask_b32_e32 v19, v19, v2, vcc_lo
	v_cndmask_b32_e64 v18, v18, v6, s4
	v_cmp_eq_u32_e32 vcc_lo, 4, v78
	v_cmp_eq_u32_e64 s4, 3, v79
	v_cndmask_b32_e64 v17, v17, v10, s5
	v_cndmask_b32_e64 v21, v1, v9, s3
	;; [unrolled: 1-line block ×5, first 2 shown]
	v_cndmask_b32_e32 v17, v17, v3, vcc_lo
	v_cndmask_b32_e64 v20, v20, v14, s4
	v_cndmask_b32_e32 v18, v18, v7, vcc_lo
	v_cmp_eq_u32_e32 vcc_lo, 4, v79
	v_cmp_eq_u32_e64 s4, 5, v79
	v_cmp_eq_u32_e64 s3, 2, v81
	v_cndmask_b32_e64 v21, v21, v2, s7
	v_cmp_eq_u32_e64 s5, 5, v78
	v_cndmask_b32_e32 v19, v19, v3, vcc_lo
	v_cndmask_b32_e32 v20, v20, v7, vcc_lo
	v_cmp_eq_u32_e32 vcc_lo, 6, v79
	s_delay_alu instid0(VALU_DEP_4) | instskip(NEXT) | instid1(VALU_DEP_4)
	v_cndmask_b32_e64 v17, v17, v11, s5
	v_cndmask_b32_e64 v19, v19, v11, s4
	s_delay_alu instid0(VALU_DEP_4) | instskip(SKIP_1) | instid1(VALU_DEP_3)
	v_cndmask_b32_e64 v20, v20, v15, s4
	v_cmp_eq_u32_e64 s4, 1, v81
	v_cndmask_b32_e32 v19, v19, v4, vcc_lo
	v_cndmask_b32_e64 v18, v18, v15, s5
	s_delay_alu instid0(VALU_DEP_3)
	v_cndmask_b32_e64 v1, v1, v9, s4
	v_cndmask_b32_e64 v5, v5, v13, s4
	v_cmp_eq_u32_e64 s4, 3, v77
	v_cndmask_b32_e64 v13, v22, v6, s7
	v_cmp_eq_u32_e64 s7, 3, v81
	v_cndmask_b32_e64 v1, v1, v2, s3
	v_cndmask_b32_e64 v2, v5, v6, s3
	;; [unrolled: 1-line block ×3, first 2 shown]
	v_cmp_eq_u32_e64 s3, 4, v77
	v_cndmask_b32_e64 v6, v13, v14, s4
	v_cndmask_b32_e64 v1, v1, v10, s7
	v_cmp_eq_u32_e64 s4, 4, v81
	v_cndmask_b32_e64 v2, v2, v14, s7
	v_cndmask_b32_e64 v5, v9, v3, s3
	;; [unrolled: 3-line block ×3, first 2 shown]
	v_cndmask_b32_e64 v2, v2, v7, s4
	v_cmp_eq_u32_e64 s3, 5, v81
	v_cmp_eq_u32_e64 s5, 6, v78
	v_cndmask_b32_e64 v5, v5, v11, s7
	v_cmp_eq_u32_e64 s4, 6, v77
	v_cndmask_b32_e64 v3, v6, v15, s7
	v_cndmask_b32_e64 v1, v1, v11, s3
	v_cmp_eq_u32_e64 s7, 6, v81
	v_cndmask_b32_e64 v2, v2, v15, s3
	v_cndmask_b32_e64 v17, v17, v4, s5
	v_cndmask_b32_e64 v18, v18, v8, s5
	v_cmp_eq_u32_e64 s5, 7, v78
	v_cndmask_b32_e64 v5, v5, v4, s4
	;; [unrolled: 4-line block ×3, first 2 shown]
	v_cmp_eq_u32_e64 s4, 7, v77
	v_cndmask_b32_e32 v4, v20, v8, vcc_lo
	v_cndmask_b32_e64 v17, v17, v12, s5
	v_cndmask_b32_e64 v19, v19, v12, s6
	;; [unrolled: 1-line block ×8, first 2 shown]
	v_cmp_gt_u32_e32 vcc_lo, 32, v0
	v_perm_b32 v4, v2, v1, 0x5040100
	v_perm_b32 v3, v3, v5, 0x5040100
	;; [unrolled: 1-line block ×4, first 2 shown]
	s_and_b32 s2, vcc_lo, s2
	ds_store_b128 v76, v[1:4]
	s_waitcnt lgkmcnt(0)
	s_barrier
	buffer_gl0_inv
	s_and_saveexec_b32 s3, s2
	s_cbranch_execz .LBB1375_2
; %bb.111:
	s_load_b64 s[0:1], s[0:1], 0x68
	s_lshl_b32 s4, s34, 6
	v_or_b32_e32 v2, s31, v74
	s_mul_i32 s2, s4, s30
	v_lshlrev_b32_e32 v0, 10, v0
	s_mul_i32 s2, s2, s8
	v_lshlrev_b32_e32 v1, 4, v75
	s_ashr_i32 s3, s2, 31
	v_mul_lo_u32 v20, v2, s4
	s_lshl_b64 s[2:3], s[2:3], 1
	v_lshlrev_b32_e32 v3, 6, v74
	v_and_b32_e32 v0, 0x3800, v0
	s_delay_alu instid0(VALU_DEP_1) | instskip(NEXT) | instid1(VALU_DEP_4)
	v_or3_b32 v16, v0, v1, v3
	v_ashrrev_i32_e32 v21, 31, v20
	ds_load_b128 v[0:3], v16
	ds_load_b128 v[4:7], v16 offset:128
	s_waitcnt lgkmcnt(0)
	s_add_u32 s2, s0, s2
	s_addc_u32 s3, s1, s3
	s_lshl_b32 s0, s14, 6
	ds_load_b128 v[8:11], v16 offset:256
	ds_load_b128 v[12:15], v16 offset:384
	;; [unrolled: 1-line block ×3, first 2 shown]
	s_ashr_i32 s1, s0, 31
	s_delay_alu instid0(SALU_CYCLE_1) | instskip(NEXT) | instid1(SALU_CYCLE_1)
	s_lshl_b64 s[0:1], s[0:1], 1
	s_add_u32 s0, s2, s0
	s_addc_u32 s1, s3, s1
	s_lshl_b32 s2, s34, 7
	v_add_co_u32 v30, s0, s0, v73
	v_add_nc_u32_e32 v22, s2, v20
	v_lshlrev_b64 v[20:21], 1, v[20:21]
	v_add_co_ci_u32_e64 v31, null, s1, 0, s0
	s_delay_alu instid0(VALU_DEP_3) | instskip(SKIP_1) | instid1(VALU_DEP_4)
	v_add_nc_u32_e32 v24, s2, v22
	v_ashrrev_i32_e32 v23, 31, v22
	v_add_co_u32 v20, vcc_lo, v30, v20
	s_delay_alu instid0(VALU_DEP_4) | instskip(NEXT) | instid1(VALU_DEP_4)
	v_add_co_ci_u32_e32 v21, vcc_lo, v31, v21, vcc_lo
	v_add_nc_u32_e32 v26, s2, v24
	v_ashrrev_i32_e32 v25, 31, v24
	v_lshlrev_b64 v[22:23], 1, v[22:23]
	s_delay_alu instid0(VALU_DEP_3) | instskip(SKIP_1) | instid1(VALU_DEP_4)
	v_add_nc_u32_e32 v28, s2, v26
	v_ashrrev_i32_e32 v27, 31, v26
	v_lshlrev_b64 v[24:25], 1, v[24:25]
	s_delay_alu instid0(VALU_DEP_4) | instskip(NEXT) | instid1(VALU_DEP_4)
	v_add_co_u32 v22, vcc_lo, v30, v22
	v_ashrrev_i32_e32 v29, 31, v28
	s_delay_alu instid0(VALU_DEP_4) | instskip(SKIP_2) | instid1(VALU_DEP_4)
	v_lshlrev_b64 v[26:27], 1, v[26:27]
	v_add_co_ci_u32_e32 v23, vcc_lo, v31, v23, vcc_lo
	v_add_co_u32 v24, vcc_lo, v30, v24
	v_lshlrev_b64 v[28:29], 1, v[28:29]
	v_add_co_ci_u32_e32 v25, vcc_lo, v31, v25, vcc_lo
	v_add_co_u32 v26, vcc_lo, v30, v26
	v_add_co_ci_u32_e32 v27, vcc_lo, v31, v27, vcc_lo
	s_delay_alu instid0(VALU_DEP_4)
	v_add_co_u32 v28, vcc_lo, v30, v28
	v_add_co_ci_u32_e32 v29, vcc_lo, v31, v29, vcc_lo
	s_clause 0x1
	global_store_b128 v[20:21], v[0:3], off
	global_store_b128 v[22:23], v[4:7], off
	s_waitcnt lgkmcnt(2)
	global_store_b128 v[24:25], v[8:11], off
	s_waitcnt lgkmcnt(1)
	global_store_b128 v[26:27], v[12:15], off
	s_waitcnt lgkmcnt(0)
	global_store_b128 v[28:29], v[16:19], off
	s_nop 0
	s_sendmsg sendmsg(MSG_DEALLOC_VGPRS)
	s_endpgm
	.section	.rodata,"a",@progbits
	.p2align	6, 0x0
	.amdhsa_kernel _Z39paged_attention_ll4mi_QKV_mfma16_kernelI14__hip_bfloat16hLN4vllm18Fp8KVCacheDataTypeE1EhLi16ELi64ELi256ELb0ELi10EL8MFMAType1EEvPKT_PKT0_S9_ifPKiSB_SB_iPKfiiiPfSE_PS4_PT2_iSD_SD_
		.amdhsa_group_segment_fixed_size 17472
		.amdhsa_private_segment_fixed_size 0
		.amdhsa_kernarg_size 400
		.amdhsa_user_sgpr_count 13
		.amdhsa_user_sgpr_dispatch_ptr 0
		.amdhsa_user_sgpr_queue_ptr 0
		.amdhsa_user_sgpr_kernarg_segment_ptr 1
		.amdhsa_user_sgpr_dispatch_id 0
		.amdhsa_user_sgpr_private_segment_size 0
		.amdhsa_wavefront_size32 1
		.amdhsa_uses_dynamic_stack 0
		.amdhsa_enable_private_segment 0
		.amdhsa_system_sgpr_workgroup_id_x 1
		.amdhsa_system_sgpr_workgroup_id_y 1
		.amdhsa_system_sgpr_workgroup_id_z 1
		.amdhsa_system_sgpr_workgroup_info 0
		.amdhsa_system_vgpr_workitem_id 0
		.amdhsa_next_free_vgpr 124
		.amdhsa_next_free_sgpr 38
		.amdhsa_reserve_vcc 1
		.amdhsa_float_round_mode_32 0
		.amdhsa_float_round_mode_16_64 0
		.amdhsa_float_denorm_mode_32 3
		.amdhsa_float_denorm_mode_16_64 3
		.amdhsa_dx10_clamp 1
		.amdhsa_ieee_mode 1
		.amdhsa_fp16_overflow 0
		.amdhsa_workgroup_processor_mode 1
		.amdhsa_memory_ordered 1
		.amdhsa_forward_progress 0
		.amdhsa_shared_vgpr_count 0
		.amdhsa_exception_fp_ieee_invalid_op 0
		.amdhsa_exception_fp_denorm_src 0
		.amdhsa_exception_fp_ieee_div_zero 0
		.amdhsa_exception_fp_ieee_overflow 0
		.amdhsa_exception_fp_ieee_underflow 0
		.amdhsa_exception_fp_ieee_inexact 0
		.amdhsa_exception_int_div_zero 0
	.end_amdhsa_kernel
	.section	.text._Z39paged_attention_ll4mi_QKV_mfma16_kernelI14__hip_bfloat16hLN4vllm18Fp8KVCacheDataTypeE1EhLi16ELi64ELi256ELb0ELi10EL8MFMAType1EEvPKT_PKT0_S9_ifPKiSB_SB_iPKfiiiPfSE_PS4_PT2_iSD_SD_,"axG",@progbits,_Z39paged_attention_ll4mi_QKV_mfma16_kernelI14__hip_bfloat16hLN4vllm18Fp8KVCacheDataTypeE1EhLi16ELi64ELi256ELb0ELi10EL8MFMAType1EEvPKT_PKT0_S9_ifPKiSB_SB_iPKfiiiPfSE_PS4_PT2_iSD_SD_,comdat
.Lfunc_end1375:
	.size	_Z39paged_attention_ll4mi_QKV_mfma16_kernelI14__hip_bfloat16hLN4vllm18Fp8KVCacheDataTypeE1EhLi16ELi64ELi256ELb0ELi10EL8MFMAType1EEvPKT_PKT0_S9_ifPKiSB_SB_iPKfiiiPfSE_PS4_PT2_iSD_SD_, .Lfunc_end1375-_Z39paged_attention_ll4mi_QKV_mfma16_kernelI14__hip_bfloat16hLN4vllm18Fp8KVCacheDataTypeE1EhLi16ELi64ELi256ELb0ELi10EL8MFMAType1EEvPKT_PKT0_S9_ifPKiSB_SB_iPKfiiiPfSE_PS4_PT2_iSD_SD_
                                        ; -- End function
	.section	.AMDGPU.csdata,"",@progbits
; Kernel info:
; codeLenInByte = 8760
; NumSgprs: 40
; NumVgprs: 124
; ScratchSize: 0
; MemoryBound: 0
; FloatMode: 240
; IeeeMode: 1
; LDSByteSize: 17472 bytes/workgroup (compile time only)
; SGPRBlocks: 4
; VGPRBlocks: 15
; NumSGPRsForWavesPerEU: 40
; NumVGPRsForWavesPerEU: 124
; Occupancy: 10
; WaveLimiterHint : 1
; COMPUTE_PGM_RSRC2:SCRATCH_EN: 0
; COMPUTE_PGM_RSRC2:USER_SGPR: 13
; COMPUTE_PGM_RSRC2:TRAP_HANDLER: 0
; COMPUTE_PGM_RSRC2:TGID_X_EN: 1
; COMPUTE_PGM_RSRC2:TGID_Y_EN: 1
; COMPUTE_PGM_RSRC2:TGID_Z_EN: 1
; COMPUTE_PGM_RSRC2:TIDIG_COMP_CNT: 0
	.section	.text._Z39paged_attention_ll4mi_QKV_mfma16_kernelI14__hip_bfloat16hLN4vllm18Fp8KVCacheDataTypeE1EhLi16ELi64ELi256ELb0ELi11EL8MFMAType1EEvPKT_PKT0_S9_ifPKiSB_SB_iPKfiiiPfSE_PS4_PT2_iSD_SD_,"axG",@progbits,_Z39paged_attention_ll4mi_QKV_mfma16_kernelI14__hip_bfloat16hLN4vllm18Fp8KVCacheDataTypeE1EhLi16ELi64ELi256ELb0ELi11EL8MFMAType1EEvPKT_PKT0_S9_ifPKiSB_SB_iPKfiiiPfSE_PS4_PT2_iSD_SD_,comdat
	.protected	_Z39paged_attention_ll4mi_QKV_mfma16_kernelI14__hip_bfloat16hLN4vllm18Fp8KVCacheDataTypeE1EhLi16ELi64ELi256ELb0ELi11EL8MFMAType1EEvPKT_PKT0_S9_ifPKiSB_SB_iPKfiiiPfSE_PS4_PT2_iSD_SD_ ; -- Begin function _Z39paged_attention_ll4mi_QKV_mfma16_kernelI14__hip_bfloat16hLN4vllm18Fp8KVCacheDataTypeE1EhLi16ELi64ELi256ELb0ELi11EL8MFMAType1EEvPKT_PKT0_S9_ifPKiSB_SB_iPKfiiiPfSE_PS4_PT2_iSD_SD_
	.globl	_Z39paged_attention_ll4mi_QKV_mfma16_kernelI14__hip_bfloat16hLN4vllm18Fp8KVCacheDataTypeE1EhLi16ELi64ELi256ELb0ELi11EL8MFMAType1EEvPKT_PKT0_S9_ifPKiSB_SB_iPKfiiiPfSE_PS4_PT2_iSD_SD_
	.p2align	8
	.type	_Z39paged_attention_ll4mi_QKV_mfma16_kernelI14__hip_bfloat16hLN4vllm18Fp8KVCacheDataTypeE1EhLi16ELi64ELi256ELb0ELi11EL8MFMAType1EEvPKT_PKT0_S9_ifPKiSB_SB_iPKfiiiPfSE_PS4_PT2_iSD_SD_,@function
_Z39paged_attention_ll4mi_QKV_mfma16_kernelI14__hip_bfloat16hLN4vllm18Fp8KVCacheDataTypeE1EhLi16ELi64ELi256ELb0ELi11EL8MFMAType1EEvPKT_PKT0_S9_ifPKiSB_SB_iPKfiiiPfSE_PS4_PT2_iSD_SD_: ; @_Z39paged_attention_ll4mi_QKV_mfma16_kernelI14__hip_bfloat16hLN4vllm18Fp8KVCacheDataTypeE1EhLi16ELi64ELi256ELb0ELi11EL8MFMAType1EEvPKT_PKT0_S9_ifPKiSB_SB_iPKfiiiPfSE_PS4_PT2_iSD_SD_
; %bb.0:
	s_load_b64 s[2:3], s[0:1], 0x30
	s_mov_b32 s34, s13
	s_waitcnt lgkmcnt(0)
	s_cmp_lg_u64 s[2:3], 0
	s_cselect_b32 s8, -1, 0
	s_ashr_i32 s35, s13, 31
	s_cmp_eq_u64 s[2:3], 0
	s_cbranch_scc1 .LBB1376_3
; %bb.1:
	s_lshl_b64 s[4:5], s[34:35], 2
	s_delay_alu instid0(SALU_CYCLE_1) | instskip(SKIP_4) | instid1(SALU_CYCLE_1)
	s_add_u32 s4, s2, s4
	s_addc_u32 s5, s3, s5
	s_load_b64 s[4:5], s[4:5], 0x0
	s_waitcnt lgkmcnt(0)
	s_sub_i32 s4, s5, s4
	s_cmp_eq_u32 s4, 1
	s_cselect_b32 s4, -1, 0
	s_delay_alu instid0(SALU_CYCLE_1)
	s_and_not1_b32 vcc_lo, exec_lo, s4
	s_cbranch_vccz .LBB1376_4
.LBB1376_2:
	s_nop 0
	s_sendmsg sendmsg(MSG_DEALLOC_VGPRS)
	s_endpgm
.LBB1376_3:
.LBB1376_4:
	s_load_b64 s[4:5], s[0:1], 0x28
	s_lshl_b64 s[6:7], s[34:35], 2
	s_waitcnt lgkmcnt(0)
	s_add_u32 s4, s4, s6
	s_addc_u32 s5, s5, s7
	s_lshl_b32 s12, s14, 8
	s_load_b32 s24, s[4:5], 0x0
	s_waitcnt lgkmcnt(0)
	s_cmp_ge_i32 s12, s24
	s_cbranch_scc1 .LBB1376_2
; %bb.5:
	s_clause 0x1
	s_load_b128 s[20:23], s[0:1], 0x8
	s_load_b64 s[4:5], s[0:1], 0x20
	s_and_not1_b32 vcc_lo, exec_lo, s8
	s_cbranch_vccnz .LBB1376_7
; %bb.6:
	s_add_u32 s2, s2, s6
	s_addc_u32 s3, s3, s7
	s_load_b32 s3, s[2:3], 0x0
	s_branch .LBB1376_8
.LBB1376_7:
	s_mov_b32 s3, s34
.LBB1376_8:
	s_load_b128 s[16:19], s[0:1], 0x48
	v_lshrrev_b32_e32 v66, 5, v0
	v_bfe_u32 v74, v0, 4, 1
	v_and_b32_e32 v65, 15, v0
	v_and_b32_e32 v67, 31, v0
	;; [unrolled: 1-line block ×3, first 2 shown]
	s_mul_i32 s31, s15, 11
	v_lshl_or_b32 v1, v66, 1, v74
	v_lshlrev_b32_e32 v2, 3, v65
	v_cmp_gt_u32_e64 s2, 8, v65
	s_delay_alu instid0(VALU_DEP_3) | instskip(NEXT) | instid1(VALU_DEP_3)
	v_cmp_gt_u32_e32 vcc_lo, 11, v1
	v_lshlrev_b32_e32 v73, 1, v2
	s_delay_alu instid0(VALU_DEP_3) | instskip(NEXT) | instid1(SALU_CYCLE_1)
	s_and_b32 s7, s2, vcc_lo
	s_and_saveexec_b32 s6, s7
	s_cbranch_execz .LBB1376_10
; %bb.9:
	s_load_b64 s[8:9], s[0:1], 0x0
	v_add_lshl_u32 v2, v1, s31, 6
	s_waitcnt lgkmcnt(0)
	s_mul_hi_i32 s11, s3, s16
	s_mul_i32 s10, s3, s16
	v_lshlrev_b32_e32 v6, 10, v65
	s_lshl_b64 s[10:11], s[10:11], 1
	v_ashrrev_i32_e32 v3, 31, v2
	v_lshlrev_b32_e32 v1, 6, v1
	v_lshlrev_b32_e32 v7, 10, v75
	v_and_b32_e32 v6, 0x3800, v6
	s_delay_alu instid0(VALU_DEP_4) | instskip(NEXT) | instid1(VALU_DEP_2)
	v_lshlrev_b64 v[2:3], 1, v[2:3]
	v_or3_b32 v1, v6, v7, v1
	s_add_u32 s3, s8, s10
	s_addc_u32 s7, s9, s11
	s_delay_alu instid0(VALU_DEP_2) | instskip(NEXT) | instid1(VALU_DEP_3)
	v_add_co_u32 v2, vcc_lo, s3, v2
	v_add_co_ci_u32_e32 v3, vcc_lo, s7, v3, vcc_lo
	s_delay_alu instid0(VALU_DEP_2) | instskip(NEXT) | instid1(VALU_DEP_2)
	v_add_co_u32 v2, vcc_lo, v2, v73
	v_add_co_ci_u32_e32 v3, vcc_lo, 0, v3, vcc_lo
	global_load_b128 v[2:5], v[2:3], off
	s_waitcnt vmcnt(0)
	ds_store_b128 v1, v[2:5]
.LBB1376_10:
	s_or_b32 exec_lo, exec_lo, s6
	v_and_b32_e32 v1, 0xef, v0
	s_waitcnt lgkmcnt(0)
	s_add_i32 s3, s24, 15
	s_clause 0x1
	s_load_b32 s6, s[0:1], 0x38
	s_load_b32 s19, s[0:1], 0x1c
	s_ashr_i32 s7, s3, 31
	v_add_nc_u32_e32 v1, s12, v1
	s_lshr_b32 s7, s7, 28
	s_waitcnt lgkmcnt(0)
	s_add_i32 s3, s3, s7
	s_barrier
	v_ashrrev_i32_e32 v2, 31, v1
	v_or_b32_e32 v3, 16, v1
	s_ashr_i32 s3, s3, 4
	v_cmp_gt_i32_e32 vcc_lo, s24, v1
	s_add_i32 s3, s3, -1
	v_lshrrev_b32_e32 v2, 28, v2
	buffer_gl0_inv
	s_mul_i32 s27, s15, s18
	v_add_nc_u32_e32 v4, v1, v2
	s_mul_i32 s6, s34, s6
	s_delay_alu instid0(SALU_CYCLE_1) | instskip(NEXT) | instid1(VALU_DEP_1)
	s_ashr_i32 s7, s6, 31
	v_ashrrev_i32_e32 v4, 4, v4
	v_add_nc_u32_e32 v2, v3, v2
	s_lshl_b64 s[6:7], s[6:7], 2
	s_delay_alu instid0(SALU_CYCLE_1) | instskip(NEXT) | instid1(VALU_DEP_2)
	s_add_u32 s26, s4, s6
	v_cndmask_b32_e32 v1, s3, v4, vcc_lo
	s_delay_alu instid0(VALU_DEP_2)
	v_ashrrev_i32_e32 v2, 4, v2
	v_cmp_gt_i32_e32 vcc_lo, s24, v3
	s_addc_u32 s25, s5, s7
	s_ashr_i32 s28, s27, 31
	s_add_u32 s13, s20, s27
	s_addc_u32 s15, s21, s28
	v_cndmask_b32_e32 v3, s3, v2, vcc_lo
	v_ashrrev_i32_e32 v2, 31, v1
	s_lshl_b32 s4, s14, 4
	s_delay_alu instid0(SALU_CYCLE_1) | instskip(NEXT) | instid1(VALU_DEP_2)
	s_ashr_i32 s5, s4, 31
	v_ashrrev_i32_e32 v4, 31, v3
	s_delay_alu instid0(VALU_DEP_2) | instskip(SKIP_1) | instid1(SALU_CYCLE_1)
	v_lshlrev_b64 v[1:2], 2, v[1:2]
	s_lshl_b64 s[4:5], s[4:5], 2
	s_add_u32 s4, s26, s4
	s_delay_alu instid0(VALU_DEP_2) | instskip(SKIP_1) | instid1(VALU_DEP_2)
	v_lshlrev_b64 v[3:4], 2, v[3:4]
	s_addc_u32 s5, s25, s5
	v_add_co_u32 v1, vcc_lo, s26, v1
	v_add_co_ci_u32_e32 v2, vcc_lo, s25, v2, vcc_lo
	s_delay_alu instid0(VALU_DEP_3) | instskip(NEXT) | instid1(VALU_DEP_4)
	v_add_co_u32 v3, vcc_lo, s26, v3
	v_add_co_ci_u32_e32 v4, vcc_lo, s25, v4, vcc_lo
	s_clause 0x1
	global_load_b32 v5, v[1:2], off
	global_load_b32 v7, v[3:4], off
	s_or_b32 s6, s12, 32
	v_lshlrev_b32_e32 v1, 4, v0
	s_ashr_i32 s7, s6, 4
	s_cmp_lt_i32 s6, s24
	v_cmp_gt_u32_e32 vcc_lo, 11, v65
	s_cselect_b32 s6, s7, s3
	v_and_b32_e32 v1, 0xf0, v1
	s_ashr_i32 s7, s6, 31
	s_delay_alu instid0(SALU_CYCLE_1) | instskip(NEXT) | instid1(SALU_CYCLE_1)
	s_lshl_b64 s[6:7], s[6:7], 2
	s_add_u32 s6, s26, s6
	s_addc_u32 s7, s25, s7
	s_or_b32 s8, s12, 64
	v_add_co_u32 v1, s13, s13, v1
	s_ashr_i32 s9, s8, 4
	s_cmp_lt_i32 s8, s24
	v_add_co_ci_u32_e64 v2, null, s15, 0, s13
	s_cselect_b32 s8, s9, s3
	s_delay_alu instid0(SALU_CYCLE_1) | instskip(NEXT) | instid1(SALU_CYCLE_1)
	s_ashr_i32 s9, s8, 31
	s_lshl_b64 s[8:9], s[8:9], 2
	s_delay_alu instid0(SALU_CYCLE_1) | instskip(SKIP_2) | instid1(SALU_CYCLE_1)
	s_add_u32 s8, s26, s8
	s_addc_u32 s9, s25, s9
	s_or_b32 s10, s12, 0x60
	s_ashr_i32 s11, s10, 4
	s_cmp_lt_i32 s10, s24
	s_cselect_b32 s10, s11, s3
	s_delay_alu instid0(SALU_CYCLE_1) | instskip(NEXT) | instid1(SALU_CYCLE_1)
	s_ashr_i32 s11, s10, 31
	s_lshl_b64 s[10:11], s[10:11], 2
	s_delay_alu instid0(SALU_CYCLE_1) | instskip(SKIP_2) | instid1(SALU_CYCLE_1)
	s_add_u32 s10, s26, s10
	s_addc_u32 s11, s25, s11
	s_or_b32 s16, s12, 0x80
	s_ashr_i32 s18, s16, 4
	s_cmp_lt_i32 s16, s24
	;; [unrolled: 10-line block ×3, first 2 shown]
	s_cselect_b32 s20, s18, s3
	s_delay_alu instid0(SALU_CYCLE_1) | instskip(NEXT) | instid1(SALU_CYCLE_1)
	s_ashr_i32 s21, s20, 31
	s_lshl_b64 s[20:21], s[20:21], 2
	s_delay_alu instid0(SALU_CYCLE_1)
	s_add_u32 s38, s26, s20
	s_addc_u32 s39, s25, s21
	s_clause 0x5
	s_load_b32 s21, s[4:5], 0x0
	s_load_b32 s13, s[6:7], 0x0
	;; [unrolled: 1-line block ×6, first 2 shown]
	s_or_b32 s8, s12, 0xc0
	s_mov_b32 s4, 0
	s_ashr_i32 s9, s8, 4
	s_cmp_lt_i32 s8, s24
	s_mov_b32 s11, s4
	s_cselect_b32 s36, s9, s3
	s_mov_b32 s5, s4
	s_ashr_i32 s37, s36, 31
	s_mov_b32 s6, s4
	s_lshl_b64 s[36:37], s[36:37], 2
	s_mov_b32 s7, s4
	s_add_u32 s36, s26, s36
	s_addc_u32 s37, s25, s37
	s_or_b32 s29, s12, 0xe0
	s_mov_b32 s8, s4
	s_ashr_i32 s30, s29, 4
	s_mov_b32 s9, s4
	s_mov_b32 s10, s4
	s_cmp_lt_i32 s29, s24
	v_dual_mov_b32 v107, s11 :: v_dual_mov_b32 v100, s4
	v_mov_b32_e32 v106, s10
	v_dual_mov_b32 v104, s8 :: v_dual_mov_b32 v103, s7
	v_dual_mov_b32 v102, s6 :: v_dual_mov_b32 v101, s5
	s_waitcnt vmcnt(1)
	v_mad_i64_i32 v[3:4], null, v5, s17, v[1:2]
	s_waitcnt vmcnt(0)
	v_mad_i64_i32 v[5:6], null, v7, s17, v[1:2]
	v_add_nc_u32_e32 v1, -11, v65
	v_lshlrev_b32_e32 v2, 4, v65
	s_clause 0x7
	global_load_b128 v[49:52], v[3:4], off
	global_load_b128 v[53:56], v[3:4], off offset:256
	global_load_b128 v[76:79], v[5:6], off
	global_load_b128 v[80:83], v[5:6], off offset:256
	global_load_b128 v[84:87], v[3:4], off offset:512
	;; [unrolled: 1-line block ×5, first 2 shown]
	v_cndmask_b32_e32 v1, v1, v65, vcc_lo
	v_mov_b32_e32 v105, s9
	s_cselect_b32 s4, s30, s3
	v_lshl_or_b32 v2, v66, 8, v2
	s_ashr_i32 s5, s4, 31
	v_lshlrev_b32_e32 v70, 6, v1
	s_lshl_b64 s[4:5], s[4:5], 2
	s_load_b32 s3, s[36:37], 0x0
	s_add_u32 s4, s26, s4
	s_addc_u32 s5, s25, s5
	ds_load_b128 v[108:111], v70
	ds_load_b128 v[112:115], v70 offset:1024
	s_load_b32 s4, s[4:5], 0x0
	s_add_u32 s6, s22, s27
	s_addc_u32 s7, s23, s28
	v_add_co_u32 v9, s6, s6, v2
	s_delay_alu instid0(VALU_DEP_1) | instskip(SKIP_1) | instid1(VALU_DEP_1)
	v_add_co_ci_u32_e64 v10, null, s7, 0, s6
	s_waitcnt lgkmcnt(0)
	v_mad_i64_i32 v[1:2], null, s21, s17, v[9:10]
	v_mad_i64_i32 v[3:4], null, s13, s17, v[9:10]
	;; [unrolled: 1-line block ×7, first 2 shown]
	s_clause 0x9
	global_load_b128 v[57:60], v[1:2], off
	global_load_b128 v[61:64], v[1:2], off offset:16
	global_load_b128 v[41:44], v[3:4], off
	global_load_b128 v[45:48], v[3:4], off offset:16
	;; [unrolled: 2-line block ×5, first 2 shown]
	v_mad_i64_i32 v[68:69], null, s4, s17, v[9:10]
	s_clause 0x3
	global_load_b128 v[9:12], v[13:14], off
	global_load_b128 v[13:16], v[13:14], off offset:16
	global_load_b128 v[17:20], v[21:22], off
	global_load_b128 v[21:24], v[21:22], off offset:16
	s_waitcnt vmcnt(20)
	v_wmma_f32_16x16x16_bf16 v[116:123], v[49:56], v[108:115], v[100:107]
	s_clause 0x1
	global_load_b128 v[49:52], v[68:69], off
	global_load_b128 v[53:56], v[68:69], off offset:16
	v_and_b32_e32 v68, 0xe0, v0
	v_mbcnt_lo_u32_b32 v69, -1, 0
	s_delay_alu instid0(VALU_DEP_2)
	v_add_nc_u32_e32 v68, s12, v68
	s_waitcnt vmcnt(20)
	v_wmma_f32_16x16x16_bf16 v[100:107], v[76:83], v[108:115], v[100:107]
	ds_load_b128 v[76:79], v70 offset:2048
	ds_load_b128 v[80:83], v70 offset:3072
	v_xor_b32_e32 v70, 16, v69
	s_waitcnt vmcnt(0) lgkmcnt(0)
	v_or_b32_e32 v68, v68, v74
	s_barrier
	buffer_gl0_inv
	v_cmp_gt_i32_e32 vcc_lo, 32, v70
	v_or_b32_e32 v71, 4, v68
	v_or_b32_e32 v72, 6, v68
	v_cmp_gt_i32_e64 s3, s24, v68
	v_or_b32_e32 v108, 8, v68
	v_or_b32_e32 v109, 10, v68
	v_cmp_gt_i32_e64 s4, s24, v71
	v_cmp_gt_i32_e64 s5, s24, v72
	s_delay_alu instid0(VALU_DEP_4) | instskip(NEXT) | instid1(VALU_DEP_4)
	v_cmp_gt_i32_e64 s6, s24, v108
	v_cmp_gt_i32_e64 s7, s24, v109
	v_wmma_f32_16x16x16_bf16 v[116:123], v[84:91], v[76:83], v[116:123]
	v_cndmask_b32_e32 v69, v69, v70, vcc_lo
	v_or_b32_e32 v70, 2, v68
	v_wmma_f32_16x16x16_bf16 v[100:107], v[92:99], v[76:83], v[100:107]
	v_or_b32_e32 v89, 22, v68
	v_dual_mul_f32 v82, s19, v119 :: v_dual_mul_f32 v79, s19, v122
	v_dual_mul_f32 v92, s19, v117 :: v_dual_mul_f32 v93, s19, v116
	s_delay_alu instid0(VALU_DEP_4) | instskip(SKIP_2) | instid1(VALU_DEP_4)
	v_mul_f32_e32 v98, s19, v103
	v_cmp_gt_i32_e32 vcc_lo, s24, v70
	v_dual_mul_f32 v83, s19, v118 :: v_dual_mul_f32 v96, s19, v105
	v_cndmask_b32_e64 v93, 0xff7fffff, v93, s3
	v_or_b32_e32 v84, 12, v68
	v_cndmask_b32_e32 v92, 0xff7fffff, v92, vcc_lo
	v_or_b32_e32 v85, 14, v68
	v_dual_mul_f32 v80, s19, v121 :: v_dual_mul_f32 v81, s19, v120
	v_mul_f32_e32 v94, s19, v107
	v_cndmask_b32_e64 v71, 0xff7fffff, v83, s4
	v_cndmask_b32_e64 v72, 0xff7fffff, v82, s5
	v_cmp_gt_i32_e64 s13, s24, v89
	v_lshlrev_b32_e32 v89, 2, v69
	v_max3_f32 v82, v93, 0xff7fffff, v92
	v_or_b32_e32 v86, 16, v68
	v_or_b32_e32 v87, 18, v68
	v_mul_f32_e32 v78, s19, v123
	v_cndmask_b32_e64 v81, 0xff7fffff, v81, s6
	v_cndmask_b32_e64 v80, 0xff7fffff, v80, s7
	v_max3_f32 v71, v82, v71, v72
	v_cmp_gt_i32_e64 s8, s24, v84
	v_cmp_gt_i32_e64 s9, s24, v85
	v_or_b32_e32 v88, 20, v68
	v_or_b32_e32 v90, 24, v68
	;; [unrolled: 1-line block ×5, first 2 shown]
	v_dual_mul_f32 v95, s19, v106 :: v_dual_mul_f32 v70, s19, v101
	v_dual_mul_f32 v99, s19, v102 :: v_dual_mul_f32 v68, s19, v100
	v_cndmask_b32_e64 v72, 0xff7fffff, v79, s8
	v_cndmask_b32_e64 v78, 0xff7fffff, v78, s9
	v_max3_f32 v71, v71, v81, v80
	v_cmp_gt_i32_e64 s10, s24, v86
	v_cmp_gt_i32_e64 s11, s24, v87
	;; [unrolled: 1-line block ×3, first 2 shown]
	v_mul_f32_e32 v97, s19, v104
	v_max3_f32 v71, v71, v72, v78
	v_cndmask_b32_e64 v68, 0xff7fffff, v68, s10
	v_cndmask_b32_e64 v70, 0xff7fffff, v70, s11
	;; [unrolled: 1-line block ×4, first 2 shown]
	v_cmp_gt_i32_e64 s15, s24, v90
	v_cmp_gt_i32_e64 s16, s24, v91
	v_max3_f32 v68, v71, v68, v70
	v_cmp_gt_i32_e64 s17, s24, v76
	v_cmp_gt_i32_e64 s18, s24, v77
	v_cndmask_b32_e64 v70, 0xff7fffff, v97, s15
	v_cndmask_b32_e64 v71, 0xff7fffff, v96, s16
	v_max3_f32 v68, v68, v72, v78
	v_cndmask_b32_e64 v72, 0xff7fffff, v95, s17
	v_cndmask_b32_e64 v76, 0xff7fffff, v94, s18
	s_delay_alu instid0(VALU_DEP_3) | instskip(NEXT) | instid1(VALU_DEP_1)
	v_max3_f32 v68, v68, v70, v71
	v_max3_f32 v68, v68, v72, v76
	ds_bpermute_b32 v69, v89, v68
	s_waitcnt lgkmcnt(0)
	v_max_f32_e32 v69, v69, v69
	s_delay_alu instid0(VALU_DEP_1) | instskip(NEXT) | instid1(VALU_DEP_1)
	v_max_f32_e32 v68, v68, v69
	v_fma_f32 v69, s19, v116, -v68
	v_fma_f32 v70, s19, v117, -v68
	;; [unrolled: 1-line block ×5, first 2 shown]
	s_delay_alu instid0(VALU_DEP_4) | instskip(NEXT) | instid1(VALU_DEP_4)
	v_dual_mul_f32 v69, 0x3fb8aa3b, v69 :: v_dual_mul_f32 v70, 0x3fb8aa3b, v70
	v_mul_f32_e32 v72, 0x3fb8aa3b, v72
	v_fma_f32 v78, s19, v122, -v68
	s_delay_alu instid0(VALU_DEP_4) | instskip(NEXT) | instid1(VALU_DEP_4)
	v_mul_f32_e32 v77, 0x3fb8aa3b, v76
	v_exp_f32_e32 v69, v69
	v_exp_f32_e32 v70, v70
	v_mul_f32_e32 v71, 0x3fb8aa3b, v71
	v_exp_f32_e32 v72, v72
	v_mul_f32_e32 v78, 0x3fb8aa3b, v78
	v_exp_f32_e32 v77, v77
	v_fma_f32 v81, s19, v105, -v68
	s_delay_alu instid0(VALU_DEP_2)
	v_exp_f32_e32 v78, v78
	v_cndmask_b32_e64 v80, 0, v69, s3
	v_cndmask_b32_e32 v76, 0, v70, vcc_lo
	v_exp_f32_e32 v71, v71
	v_fma_f32 v69, s19, v121, -v68
	v_cndmask_b32_e64 v85, 0, v72, s5
	v_add_f32_e32 v70, 0, v80
	s_delay_alu instid0(TRANS32_DEP_3)
	v_cndmask_b32_e64 v86, 0, v77, s6
	v_fma_f32 v77, s19, v101, -v68
	v_mul_f32_e32 v69, 0x3fb8aa3b, v69
	v_fma_f32 v72, s19, v100, -v68
	v_cndmask_b32_e64 v84, 0, v78, s8
	v_fma_f32 v78, s19, v103, -v68
	v_cndmask_b32_e64 v83, 0, v71, s4
	v_fma_f32 v71, s19, v123, -v68
	v_add_f32_e32 v70, v70, v76
	v_exp_f32_e32 v69, v69
	v_mul_f32_e32 v77, 0x3fb8aa3b, v77
	v_mul_f32_e32 v81, 0x3fb8aa3b, v81
	;; [unrolled: 1-line block ×3, first 2 shown]
	v_add_f32_e32 v70, v70, v83
	v_cmp_gt_u32_e64 s3, 16, v67
	v_exp_f32_e32 v77, v77
	v_exp_f32_e32 v81, v81
	;; [unrolled: 1-line block ×3, first 2 shown]
	v_cndmask_b32_e64 v87, 0, v69, s7
	v_add_f32_e32 v70, v70, v85
	s_delay_alu instid0(VALU_DEP_1) | instskip(SKIP_1) | instid1(VALU_DEP_2)
	v_dual_mul_f32 v72, 0x3fb8aa3b, v72 :: v_dual_add_f32 v69, v70, v86
	v_fma_f32 v70, s19, v102, -v68
	v_exp_f32_e32 v72, v72
	s_waitcnt_depctr 0xfff
	v_cndmask_b32_e64 v88, 0, v71, s9
	v_fma_f32 v71, s19, v104, -v68
	v_dual_add_f32 v69, v69, v87 :: v_dual_mul_f32 v70, 0x3fb8aa3b, v70
	s_delay_alu instid0(VALU_DEP_2) | instskip(NEXT) | instid1(VALU_DEP_2)
	v_dual_mul_f32 v78, 0x3fb8aa3b, v78 :: v_dual_mul_f32 v71, 0x3fb8aa3b, v71
	v_add_f32_e32 v69, v69, v84
	s_delay_alu instid0(VALU_DEP_3) | instskip(SKIP_1) | instid1(VALU_DEP_3)
	v_exp_f32_e32 v79, v70
	v_cndmask_b32_e64 v70, 0, v72, s10
	v_exp_f32_e32 v78, v78
	v_exp_f32_e32 v82, v71
	v_add_f32_e32 v72, v69, v88
	v_cndmask_b32_e64 v69, 0, v77, s11
	v_fma_f32 v77, s19, v106, -v68
	s_delay_alu instid0(VALU_DEP_3) | instskip(NEXT) | instid1(TRANS32_DEP_3)
	v_add_f32_e32 v72, v72, v70
	v_cndmask_b32_e64 v71, 0, v79, s12
	s_delay_alu instid0(VALU_DEP_3) | instskip(NEXT) | instid1(VALU_DEP_3)
	v_mul_f32_e32 v77, 0x3fb8aa3b, v77
	v_add_f32_e32 v79, v72, v69
	s_delay_alu instid0(TRANS32_DEP_2) | instskip(NEXT) | instid1(VALU_DEP_3)
	v_cndmask_b32_e64 v72, 0, v78, s13
	v_exp_f32_e32 v90, v77
	v_cndmask_b32_e64 v77, 0, v82, s15
	s_delay_alu instid0(VALU_DEP_3) | instskip(SKIP_1) | instid1(VALU_DEP_1)
	v_add_f32_e32 v78, v79, v71
	v_fma_f32 v79, s19, v107, -v68
	v_dual_add_f32 v82, v78, v72 :: v_dual_mul_f32 v79, 0x3fb8aa3b, v79
	v_cndmask_b32_e64 v78, 0, v81, s16
	s_delay_alu instid0(VALU_DEP_2) | instskip(NEXT) | instid1(VALU_DEP_3)
	v_add_f32_e32 v81, v82, v77
	v_exp_f32_e32 v82, v79
	s_delay_alu instid0(TRANS32_DEP_2) | instskip(NEXT) | instid1(VALU_DEP_2)
	v_cndmask_b32_e64 v79, 0, v90, s17
	v_add_f32_e32 v81, v81, v78
	s_delay_alu instid0(VALU_DEP_1) | instskip(SKIP_2) | instid1(VALU_DEP_1)
	v_add_f32_e32 v90, v81, v79
	s_waitcnt_depctr 0xfff
	v_cndmask_b32_e64 v81, 0, v82, s18
	v_add_f32_e32 v82, v90, v81
	ds_bpermute_b32 v89, v89, v82
	s_and_saveexec_b32 s4, s3
	s_cbranch_execz .LBB1376_12
; %bb.11:
	v_mul_u32_u24_e32 v67, 0x44, v66
	s_delay_alu instid0(VALU_DEP_1) | instskip(SKIP_1) | instid1(VALU_DEP_1)
	v_lshl_add_u32 v67, v65, 2, v67
	s_waitcnt lgkmcnt(0)
	v_dual_add_f32 v82, v82, v89 :: v_dual_add_nc_u32 v67, 0x4000, v67
	ds_store_2addr_b32 v67, v68, v82 offset1:136
.LBB1376_12:
	s_or_b32 exec_lo, exec_lo, s4
	v_lshlrev_b32_e32 v67, 2, v65
	s_waitcnt lgkmcnt(0)
	s_barrier
	buffer_gl0_inv
	v_cmp_eq_u32_e32 vcc_lo, 1, v66
	v_add_nc_u32_e32 v82, 0x4000, v67
	v_cmp_eq_u32_e64 s4, 2, v66
	v_cmp_eq_u32_e64 s6, 7, v66
	ds_load_2addr_b32 v[89:90], v82 offset1:17
	ds_load_2addr_b32 v[91:92], v82 offset0:34 offset1:51
	ds_load_2addr_b32 v[93:94], v82 offset0:68 offset1:85
	ds_load_2addr_b32 v[95:96], v82 offset0:102 offset1:119
	ds_load_2addr_b32 v[97:98], v82 offset0:136 offset1:153
	s_waitcnt lgkmcnt(4)
	v_max3_f32 v67, v89, 0xff7fffff, v90
	s_waitcnt lgkmcnt(3)
	s_delay_alu instid0(VALU_DEP_1) | instskip(SKIP_1) | instid1(VALU_DEP_1)
	v_max3_f32 v67, v67, v91, v92
	s_waitcnt lgkmcnt(2)
	v_max3_f32 v67, v67, v93, v94
	s_waitcnt lgkmcnt(1)
	s_delay_alu instid0(VALU_DEP_1) | instskip(NEXT) | instid1(VALU_DEP_1)
	v_max3_f32 v67, v67, v95, v96
	v_sub_f32_e32 v93, v93, v67
	s_delay_alu instid0(VALU_DEP_1) | instskip(NEXT) | instid1(VALU_DEP_1)
	v_dual_sub_f32 v68, v89, v67 :: v_dual_mul_f32 v103, 0x3fb8aa3b, v93
	v_mul_f32_e32 v68, 0x3fb8aa3b, v68
	s_delay_alu instid0(VALU_DEP_1)
	v_exp_f32_e32 v100, v68
	v_sub_f32_e32 v68, v92, v67
	v_sub_f32_e32 v99, v90, v67
	ds_load_2addr_b32 v[89:90], v82 offset0:170 offset1:187
	v_dual_mul_f32 v102, 0x3fb8aa3b, v68 :: v_dual_mul_f32 v99, 0x3fb8aa3b, v99
	s_waitcnt lgkmcnt(1)
	v_fma_f32 v68, v100, v97, 0
	s_delay_alu instid0(VALU_DEP_2) | instskip(NEXT) | instid1(VALU_DEP_2)
	v_exp_f32_e32 v102, v102
	v_exp_f32_e32 v99, v99
	s_waitcnt_depctr 0xfff
	v_fmac_f32_e32 v68, v99, v98
	v_sub_f32_e32 v91, v91, v67
	s_delay_alu instid0(VALU_DEP_1)
	v_mul_f32_e32 v101, 0x3fb8aa3b, v91
	ds_load_2addr_b32 v[91:92], v82 offset0:204 offset1:221
	v_sub_f32_e32 v97, v94, v67
	ds_load_2addr_b32 v[93:94], v82 offset0:238 offset1:255
	s_waitcnt lgkmcnt(0)
	v_exp_f32_e32 v101, v101
	s_barrier
	buffer_gl0_inv
	v_dual_fmac_f32 v68, v101, v89 :: v_dual_sub_f32 v89, v96, v67
	v_dual_sub_f32 v82, v95, v67 :: v_dual_mul_f32 v95, 0x3fb8aa3b, v97
	v_exp_f32_e32 v97, v103
	s_delay_alu instid0(VALU_DEP_2) | instskip(NEXT) | instid1(VALU_DEP_2)
	v_dual_fmac_f32 v68, v102, v90 :: v_dual_mul_f32 v89, 0x3fb8aa3b, v89
	v_mul_f32_e32 v82, 0x3fb8aa3b, v82
	s_delay_alu instid0(VALU_DEP_3) | instskip(NEXT) | instid1(VALU_DEP_2)
	v_exp_f32_e32 v95, v95
	v_exp_f32_e32 v89, v89
	s_delay_alu instid0(VALU_DEP_1)
	v_exp_f32_e32 v82, v82
	v_fmac_f32_e32 v68, v97, v91
	s_delay_alu instid0(TRANS32_DEP_3) | instid1(VALU_DEP_1)
	v_fmac_f32_e32 v68, v95, v92
	s_waitcnt_depctr 0xfff
	v_fmac_f32_e32 v68, v82, v93
	s_delay_alu instid0(VALU_DEP_1) | instskip(NEXT) | instid1(VALU_DEP_1)
	v_fmac_f32_e32 v68, v89, v94
	v_add_f32_e32 v90, 0x358637bd, v68
	s_delay_alu instid0(VALU_DEP_1) | instskip(NEXT) | instid1(VALU_DEP_1)
	v_div_scale_f32 v91, null, v90, v90, 1.0
	v_rcp_f32_e32 v92, v91
	s_waitcnt_depctr 0xfff
	v_fma_f32 v93, -v91, v92, 1.0
	s_delay_alu instid0(VALU_DEP_1) | instskip(SKIP_1) | instid1(VALU_DEP_2)
	v_dual_fmac_f32 v92, v93, v92 :: v_dual_cndmask_b32 v93, v100, v99
	v_cmp_eq_u32_e32 vcc_lo, 3, v66
	v_cndmask_b32_e64 v93, v93, v101, s4
	v_cmp_eq_u32_e64 s4, 4, v66
	s_delay_alu instid0(VALU_DEP_2) | instskip(SKIP_1) | instid1(VALU_DEP_2)
	v_cndmask_b32_e32 v93, v93, v102, vcc_lo
	v_cmp_eq_u32_e32 vcc_lo, 5, v66
	v_cndmask_b32_e64 v93, v93, v97, s4
	v_cmp_eq_u32_e64 s4, 6, v66
	s_delay_alu instid0(VALU_DEP_2) | instskip(SKIP_1) | instid1(VALU_DEP_1)
	v_cndmask_b32_e32 v93, v93, v95, vcc_lo
	v_div_scale_f32 v94, s5, 1.0, v90, 1.0
	s_mov_b32 vcc_lo, s5
	s_delay_alu instid0(VALU_DEP_2) | instskip(NEXT) | instid1(VALU_DEP_2)
	v_cndmask_b32_e64 v82, v93, v82, s4
	v_mul_f32_e32 v96, v94, v92
	s_mov_b32 s4, exec_lo
	s_delay_alu instid0(VALU_DEP_2) | instskip(NEXT) | instid1(VALU_DEP_2)
	v_cndmask_b32_e64 v82, v82, v89, s6
	v_fma_f32 v98, -v91, v96, v94
	s_delay_alu instid0(VALU_DEP_1) | instskip(NEXT) | instid1(VALU_DEP_1)
	v_fmac_f32_e32 v96, v98, v92
	v_fma_f32 v91, -v91, v96, v94
	s_delay_alu instid0(VALU_DEP_1) | instskip(NEXT) | instid1(VALU_DEP_1)
	v_div_fmas_f32 v91, v91, v92, v96
	v_div_fixup_f32 v90, v91, v90, 1.0
	s_delay_alu instid0(VALU_DEP_1) | instskip(NEXT) | instid1(VALU_DEP_1)
	v_mul_f32_e32 v82, v82, v90
	v_mul_f32_e32 v87, v82, v87
	;; [unrolled: 1-line block ×7, first 2 shown]
	v_dual_mul_f32 v86, v82, v83 :: v_dual_and_b32 v91, 0x7f800000, v90
	v_mul_f32_e32 v85, v82, v76
                                        ; implicit-def: $vgpr76
	s_delay_alu instid0(VALU_DEP_2)
	v_cmpx_ne_u32_e32 0x7f800000, v91
	s_xor_b32 s4, exec_lo, s4
; %bb.13:
	v_bfe_u32 v76, v90, 16, 1
	s_delay_alu instid0(VALU_DEP_1)
	v_add3_u32 v76, v90, v76, 0x7fff
                                        ; implicit-def: $vgpr90
; %bb.14:
	s_and_not1_saveexec_b32 s4, s4
; %bb.15:
	v_and_b32_e32 v76, 0xffff, v90
	v_or_b32_e32 v83, 0x10000, v90
	s_delay_alu instid0(VALU_DEP_2) | instskip(NEXT) | instid1(VALU_DEP_2)
	v_cmp_eq_u32_e32 vcc_lo, 0, v76
	v_cndmask_b32_e32 v76, v83, v90, vcc_lo
; %bb.16:
	s_or_b32 exec_lo, exec_lo, s4
	v_and_b32_e32 v83, 0x7f800000, v85
	s_delay_alu instid0(VALU_DEP_1) | instskip(SKIP_1) | instid1(SALU_CYCLE_1)
	v_cmp_ne_u32_e32 vcc_lo, 0x7f800000, v83
                                        ; implicit-def: $vgpr83
	s_and_saveexec_b32 s4, vcc_lo
	s_xor_b32 s4, exec_lo, s4
; %bb.17:
	v_bfe_u32 v83, v85, 16, 1
	s_delay_alu instid0(VALU_DEP_1)
	v_add3_u32 v83, v85, v83, 0x7fff
                                        ; implicit-def: $vgpr85
; %bb.18:
	s_and_not1_saveexec_b32 s4, s4
; %bb.19:
	v_and_b32_e32 v83, 0xffff, v85
	v_or_b32_e32 v90, 0x10000, v85
	s_delay_alu instid0(VALU_DEP_2) | instskip(NEXT) | instid1(VALU_DEP_2)
	v_cmp_eq_u32_e32 vcc_lo, 0, v83
	v_cndmask_b32_e32 v83, v90, v85, vcc_lo
; %bb.20:
	s_or_b32 exec_lo, exec_lo, s4
	v_and_b32_e32 v85, 0x7f800000, v86
	s_delay_alu instid0(VALU_DEP_1) | instskip(SKIP_1) | instid1(SALU_CYCLE_1)
	v_cmp_ne_u32_e32 vcc_lo, 0x7f800000, v85
                                        ; implicit-def: $vgpr85
	s_and_saveexec_b32 s4, vcc_lo
	s_xor_b32 s4, exec_lo, s4
; %bb.21:
	v_bfe_u32 v85, v86, 16, 1
	s_delay_alu instid0(VALU_DEP_1)
	v_add3_u32 v85, v86, v85, 0x7fff
                                        ; implicit-def: $vgpr86
; %bb.22:
	s_and_not1_saveexec_b32 s4, s4
; %bb.23:
	v_and_b32_e32 v85, 0xffff, v86
	v_or_b32_e32 v90, 0x10000, v86
	s_delay_alu instid0(VALU_DEP_2) | instskip(NEXT) | instid1(VALU_DEP_2)
	v_cmp_eq_u32_e32 vcc_lo, 0, v85
	v_cndmask_b32_e32 v85, v90, v86, vcc_lo
; %bb.24:
	s_or_b32 exec_lo, exec_lo, s4
	v_and_b32_e32 v86, 0x7f800000, v89
	s_delay_alu instid0(VALU_DEP_1) | instskip(SKIP_1) | instid1(SALU_CYCLE_1)
	v_cmp_ne_u32_e32 vcc_lo, 0x7f800000, v86
                                        ; implicit-def: $vgpr86
	s_and_saveexec_b32 s4, vcc_lo
	s_xor_b32 s4, exec_lo, s4
; %bb.25:
	v_bfe_u32 v86, v89, 16, 1
	s_delay_alu instid0(VALU_DEP_1)
	v_add3_u32 v86, v89, v86, 0x7fff
                                        ; implicit-def: $vgpr89
; %bb.26:
	s_and_not1_saveexec_b32 s4, s4
; %bb.27:
	v_and_b32_e32 v86, 0xffff, v89
	v_or_b32_e32 v90, 0x10000, v89
	s_delay_alu instid0(VALU_DEP_2) | instskip(NEXT) | instid1(VALU_DEP_2)
	v_cmp_eq_u32_e32 vcc_lo, 0, v86
	v_cndmask_b32_e32 v86, v90, v89, vcc_lo
; %bb.28:
	s_or_b32 exec_lo, exec_lo, s4
	v_and_b32_e32 v89, 0x7f800000, v88
	s_delay_alu instid0(VALU_DEP_1) | instskip(SKIP_1) | instid1(SALU_CYCLE_1)
	v_cmp_ne_u32_e32 vcc_lo, 0x7f800000, v89
                                        ; implicit-def: $vgpr89
	s_and_saveexec_b32 s4, vcc_lo
	s_xor_b32 s4, exec_lo, s4
; %bb.29:
	v_bfe_u32 v89, v88, 16, 1
	s_delay_alu instid0(VALU_DEP_1)
	v_add3_u32 v89, v88, v89, 0x7fff
                                        ; implicit-def: $vgpr88
; %bb.30:
	s_and_not1_saveexec_b32 s4, s4
; %bb.31:
	v_and_b32_e32 v89, 0xffff, v88
	v_or_b32_e32 v90, 0x10000, v88
	s_delay_alu instid0(VALU_DEP_2) | instskip(NEXT) | instid1(VALU_DEP_2)
	v_cmp_eq_u32_e32 vcc_lo, 0, v89
	v_cndmask_b32_e32 v89, v90, v88, vcc_lo
; %bb.32:
	s_or_b32 exec_lo, exec_lo, s4
	v_and_b32_e32 v88, 0x7f800000, v87
	s_delay_alu instid0(VALU_DEP_1) | instskip(SKIP_1) | instid1(SALU_CYCLE_1)
	v_cmp_ne_u32_e32 vcc_lo, 0x7f800000, v88
                                        ; implicit-def: $vgpr88
	s_and_saveexec_b32 s4, vcc_lo
	s_xor_b32 s4, exec_lo, s4
; %bb.33:
	v_bfe_u32 v88, v87, 16, 1
	s_delay_alu instid0(VALU_DEP_1)
	v_add3_u32 v88, v87, v88, 0x7fff
                                        ; implicit-def: $vgpr87
; %bb.34:
	s_and_not1_saveexec_b32 s4, s4
; %bb.35:
	v_and_b32_e32 v88, 0xffff, v87
	v_or_b32_e32 v90, 0x10000, v87
	s_delay_alu instid0(VALU_DEP_2) | instskip(NEXT) | instid1(VALU_DEP_2)
	v_cmp_eq_u32_e32 vcc_lo, 0, v88
	v_cndmask_b32_e32 v88, v90, v87, vcc_lo
; %bb.36:
	s_or_b32 exec_lo, exec_lo, s4
	v_and_b32_e32 v87, 0x7f800000, v84
	s_delay_alu instid0(VALU_DEP_1) | instskip(SKIP_1) | instid1(SALU_CYCLE_1)
	v_cmp_ne_u32_e32 vcc_lo, 0x7f800000, v87
                                        ; implicit-def: $vgpr87
	s_and_saveexec_b32 s4, vcc_lo
	s_xor_b32 s4, exec_lo, s4
; %bb.37:
	v_bfe_u32 v87, v84, 16, 1
	s_delay_alu instid0(VALU_DEP_1)
	v_add3_u32 v87, v84, v87, 0x7fff
                                        ; implicit-def: $vgpr84
; %bb.38:
	s_and_not1_saveexec_b32 s4, s4
; %bb.39:
	v_and_b32_e32 v87, 0xffff, v84
	v_or_b32_e32 v90, 0x10000, v84
	s_delay_alu instid0(VALU_DEP_2) | instskip(NEXT) | instid1(VALU_DEP_2)
	v_cmp_eq_u32_e32 vcc_lo, 0, v87
	v_cndmask_b32_e32 v87, v90, v84, vcc_lo
; %bb.40:
	s_or_b32 exec_lo, exec_lo, s4
	v_and_b32_e32 v84, 0x7f800000, v80
	s_delay_alu instid0(VALU_DEP_1) | instskip(SKIP_1) | instid1(SALU_CYCLE_1)
	v_cmp_ne_u32_e32 vcc_lo, 0x7f800000, v84
                                        ; implicit-def: $vgpr84
	s_and_saveexec_b32 s4, vcc_lo
	s_xor_b32 s4, exec_lo, s4
; %bb.41:
	v_bfe_u32 v84, v80, 16, 1
	s_delay_alu instid0(VALU_DEP_1)
	v_add3_u32 v84, v80, v84, 0x7fff
                                        ; implicit-def: $vgpr80
; %bb.42:
	s_and_not1_saveexec_b32 s4, s4
; %bb.43:
	v_and_b32_e32 v84, 0xffff, v80
	v_or_b32_e32 v90, 0x10000, v80
	s_delay_alu instid0(VALU_DEP_2) | instskip(NEXT) | instid1(VALU_DEP_2)
	v_cmp_eq_u32_e32 vcc_lo, 0, v84
	v_cndmask_b32_e32 v84, v90, v80, vcc_lo
; %bb.44:
	s_or_b32 exec_lo, exec_lo, s4
	s_load_b64 s[36:37], s[0:1], 0x94
	v_lshlrev_b32_e32 v91, 4, v74
	s_delay_alu instid0(VALU_DEP_2)
	v_perm_b32 v90, v84, v87, 0x7060302
	v_dual_mul_f32 v79, v82, v79 :: v_dual_lshlrev_b32 v80, 6, v65
	v_dual_mul_f32 v77, v82, v77 :: v_dual_lshlrev_b32 v92, 11, v66
	v_mul_f32_e32 v84, v82, v70
	v_perm_b32 v89, v88, v89, 0x7060302
	v_perm_b32 v88, v86, v85, 0x7060302
	;; [unrolled: 1-line block ×3, first 2 shown]
	v_mul_f32_e32 v70, v82, v81
	v_or3_b32 v76, v91, v92, v80
	v_dual_mul_f32 v78, v82, v78 :: v_dual_and_b32 v85, 0x7f800000, v84
	v_mul_f32_e32 v83, v82, v72
	v_mul_f32_e32 v81, v82, v71
	;; [unrolled: 1-line block ×3, first 2 shown]
	s_mov_b32 s4, exec_lo
	ds_store_b128 v76, v[87:90]
                                        ; implicit-def: $vgpr69
	v_cmpx_ne_u32_e32 0x7f800000, v85
	s_xor_b32 s4, exec_lo, s4
; %bb.45:
	v_bfe_u32 v69, v84, 16, 1
	s_delay_alu instid0(VALU_DEP_1)
	v_add3_u32 v69, v84, v69, 0x7fff
                                        ; implicit-def: $vgpr84
; %bb.46:
	s_and_not1_saveexec_b32 s4, s4
; %bb.47:
	v_and_b32_e32 v69, 0xffff, v84
	v_or_b32_e32 v71, 0x10000, v84
	s_delay_alu instid0(VALU_DEP_2) | instskip(NEXT) | instid1(VALU_DEP_2)
	v_cmp_eq_u32_e32 vcc_lo, 0, v69
	v_cndmask_b32_e32 v69, v71, v84, vcc_lo
; %bb.48:
	s_or_b32 exec_lo, exec_lo, s4
	v_and_b32_e32 v71, 0x7f800000, v72
	s_delay_alu instid0(VALU_DEP_1) | instskip(SKIP_1) | instid1(SALU_CYCLE_1)
	v_cmp_ne_u32_e32 vcc_lo, 0x7f800000, v71
                                        ; implicit-def: $vgpr71
	s_and_saveexec_b32 s4, vcc_lo
	s_xor_b32 s4, exec_lo, s4
; %bb.49:
	v_bfe_u32 v71, v72, 16, 1
	s_delay_alu instid0(VALU_DEP_1)
	v_add3_u32 v71, v72, v71, 0x7fff
                                        ; implicit-def: $vgpr72
; %bb.50:
	s_and_not1_saveexec_b32 s4, s4
; %bb.51:
	v_and_b32_e32 v71, 0xffff, v72
	v_or_b32_e32 v82, 0x10000, v72
	s_delay_alu instid0(VALU_DEP_2) | instskip(NEXT) | instid1(VALU_DEP_2)
	v_cmp_eq_u32_e32 vcc_lo, 0, v71
	v_cndmask_b32_e32 v71, v82, v72, vcc_lo
; %bb.52:
	s_or_b32 exec_lo, exec_lo, s4
	v_and_b32_e32 v72, 0x7f800000, v81
	s_delay_alu instid0(VALU_DEP_1) | instskip(SKIP_1) | instid1(SALU_CYCLE_1)
	v_cmp_ne_u32_e32 vcc_lo, 0x7f800000, v72
                                        ; implicit-def: $vgpr72
	s_and_saveexec_b32 s4, vcc_lo
	s_xor_b32 s4, exec_lo, s4
; %bb.53:
	v_bfe_u32 v72, v81, 16, 1
	s_delay_alu instid0(VALU_DEP_1)
	v_add3_u32 v72, v81, v72, 0x7fff
                                        ; implicit-def: $vgpr81
; %bb.54:
	s_and_not1_saveexec_b32 s4, s4
; %bb.55:
	v_and_b32_e32 v72, 0xffff, v81
	v_or_b32_e32 v82, 0x10000, v81
	s_delay_alu instid0(VALU_DEP_2) | instskip(NEXT) | instid1(VALU_DEP_2)
	v_cmp_eq_u32_e32 vcc_lo, 0, v72
	v_cndmask_b32_e32 v72, v82, v81, vcc_lo
; %bb.56:
	s_or_b32 exec_lo, exec_lo, s4
	v_and_b32_e32 v81, 0x7f800000, v83
	s_delay_alu instid0(VALU_DEP_1) | instskip(SKIP_1) | instid1(SALU_CYCLE_1)
	v_cmp_ne_u32_e32 vcc_lo, 0x7f800000, v81
                                        ; implicit-def: $vgpr81
	s_and_saveexec_b32 s4, vcc_lo
	s_xor_b32 s4, exec_lo, s4
; %bb.57:
	v_bfe_u32 v81, v83, 16, 1
	s_delay_alu instid0(VALU_DEP_1)
	v_add3_u32 v81, v83, v81, 0x7fff
                                        ; implicit-def: $vgpr83
; %bb.58:
	s_and_not1_saveexec_b32 s4, s4
; %bb.59:
	v_and_b32_e32 v81, 0xffff, v83
	v_or_b32_e32 v82, 0x10000, v83
	s_delay_alu instid0(VALU_DEP_2) | instskip(NEXT) | instid1(VALU_DEP_2)
	v_cmp_eq_u32_e32 vcc_lo, 0, v81
	v_cndmask_b32_e32 v81, v82, v83, vcc_lo
; %bb.60:
	s_or_b32 exec_lo, exec_lo, s4
	v_and_b32_e32 v82, 0x7f800000, v77
	s_delay_alu instid0(VALU_DEP_1) | instskip(SKIP_1) | instid1(SALU_CYCLE_1)
	v_cmp_ne_u32_e32 vcc_lo, 0x7f800000, v82
                                        ; implicit-def: $vgpr82
	s_and_saveexec_b32 s4, vcc_lo
	s_xor_b32 s4, exec_lo, s4
; %bb.61:
	v_bfe_u32 v82, v77, 16, 1
	s_delay_alu instid0(VALU_DEP_1)
	v_add3_u32 v82, v77, v82, 0x7fff
                                        ; implicit-def: $vgpr77
; %bb.62:
	s_and_not1_saveexec_b32 s4, s4
; %bb.63:
	v_and_b32_e32 v82, 0xffff, v77
	v_or_b32_e32 v83, 0x10000, v77
	s_delay_alu instid0(VALU_DEP_2) | instskip(NEXT) | instid1(VALU_DEP_2)
	v_cmp_eq_u32_e32 vcc_lo, 0, v82
	v_cndmask_b32_e32 v82, v83, v77, vcc_lo
; %bb.64:
	s_or_b32 exec_lo, exec_lo, s4
	v_and_b32_e32 v77, 0x7f800000, v78
	s_delay_alu instid0(VALU_DEP_1) | instskip(SKIP_1) | instid1(SALU_CYCLE_1)
	v_cmp_ne_u32_e32 vcc_lo, 0x7f800000, v77
                                        ; implicit-def: $vgpr77
	s_and_saveexec_b32 s4, vcc_lo
	s_xor_b32 s4, exec_lo, s4
; %bb.65:
	v_bfe_u32 v77, v78, 16, 1
	s_delay_alu instid0(VALU_DEP_1)
	v_add3_u32 v77, v78, v77, 0x7fff
                                        ; implicit-def: $vgpr78
; %bb.66:
	s_and_not1_saveexec_b32 s4, s4
; %bb.67:
	v_and_b32_e32 v77, 0xffff, v78
	v_or_b32_e32 v83, 0x10000, v78
	s_delay_alu instid0(VALU_DEP_2) | instskip(NEXT) | instid1(VALU_DEP_2)
	v_cmp_eq_u32_e32 vcc_lo, 0, v77
	v_cndmask_b32_e32 v77, v83, v78, vcc_lo
; %bb.68:
	s_or_b32 exec_lo, exec_lo, s4
	v_and_b32_e32 v78, 0x7f800000, v79
	s_delay_alu instid0(VALU_DEP_1) | instskip(SKIP_1) | instid1(SALU_CYCLE_1)
	v_cmp_ne_u32_e32 vcc_lo, 0x7f800000, v78
                                        ; implicit-def: $vgpr78
	s_and_saveexec_b32 s4, vcc_lo
	s_xor_b32 s4, exec_lo, s4
; %bb.69:
	v_bfe_u32 v78, v79, 16, 1
	s_delay_alu instid0(VALU_DEP_1)
	v_add3_u32 v78, v79, v78, 0x7fff
                                        ; implicit-def: $vgpr79
; %bb.70:
	s_and_not1_saveexec_b32 s4, s4
; %bb.71:
	v_and_b32_e32 v78, 0xffff, v79
	v_or_b32_e32 v83, 0x10000, v79
	s_delay_alu instid0(VALU_DEP_2) | instskip(NEXT) | instid1(VALU_DEP_2)
	v_cmp_eq_u32_e32 vcc_lo, 0, v78
	v_cndmask_b32_e32 v78, v83, v79, vcc_lo
; %bb.72:
	s_or_b32 exec_lo, exec_lo, s4
	v_and_b32_e32 v79, 0x7f800000, v70
	s_delay_alu instid0(VALU_DEP_1) | instskip(SKIP_1) | instid1(SALU_CYCLE_1)
	v_cmp_ne_u32_e32 vcc_lo, 0x7f800000, v79
                                        ; implicit-def: $vgpr79
	s_and_saveexec_b32 s4, vcc_lo
	s_xor_b32 s4, exec_lo, s4
; %bb.73:
	v_bfe_u32 v79, v70, 16, 1
	s_delay_alu instid0(VALU_DEP_1)
	v_add3_u32 v79, v70, v79, 0x7fff
                                        ; implicit-def: $vgpr70
; %bb.74:
	s_and_not1_saveexec_b32 s4, s4
; %bb.75:
	v_and_b32_e32 v79, 0xffff, v70
	v_or_b32_e32 v83, 0x10000, v70
	s_delay_alu instid0(VALU_DEP_2) | instskip(NEXT) | instid1(VALU_DEP_2)
	v_cmp_eq_u32_e32 vcc_lo, 0, v79
	v_cndmask_b32_e32 v79, v83, v70, vcc_lo
; %bb.76:
	s_or_b32 exec_lo, exec_lo, s4
	s_delay_alu instid0(VALU_DEP_1)
	v_perm_b32 v86, v79, v78, 0x7060302
	v_perm_b32 v85, v77, v82, 0x7060302
	;; [unrolled: 1-line block ×4, first 2 shown]
	v_lshl_or_b32 v82, v66, 11, v80
	ds_store_b128 v76, v[83:86] offset:1024
	s_waitcnt lgkmcnt(0)
	s_barrier
	buffer_gl0_inv
	ds_load_b128 v[69:72], v82
	ds_load_b128 v[83:86], v82 offset:16
	s_waitcnt lgkmcnt(1)
	v_lshrrev_b32_e32 v66, 16, v69
	s_waitcnt lgkmcnt(0)
	v_lshrrev_b32_e32 v91, 16, v83
	v_lshlrev_b32_e32 v78, 2, v74
	v_lshrrev_b32_e32 v95, 16, v70
	v_lshrrev_b32_e32 v98, 16, v84
	;; [unrolled: 1-line block ×4, first 2 shown]
	v_cmp_eq_u32_e32 vcc_lo, 1, v78
	v_lshrrev_b32_e32 v97, 16, v72
	v_lshrrev_b32_e32 v100, 16, v86
	v_cndmask_b32_e32 v87, v83, v91, vcc_lo
	v_or_b32_e32 v79, 1, v78
	v_cndmask_b32_e32 v81, v69, v66, vcc_lo
	v_cmp_eq_u32_e64 s5, 2, v78
	v_cmp_eq_u32_e64 s8, 3, v78
	;; [unrolled: 1-line block ×5, first 2 shown]
	v_cndmask_b32_e64 v81, v81, v70, s5
	v_cndmask_b32_e64 v87, v87, v84, s5
	v_cmp_eq_u32_e64 s9, 3, v79
	v_cndmask_b32_e64 v88, v69, v66, s4
	v_or_b32_e32 v77, 2, v78
	v_cndmask_b32_e64 v81, v81, v95, s8
	v_cndmask_b32_e64 v87, v87, v98, s8
	v_cndmask_b32_e64 v89, v83, v91, s4
	v_cndmask_b32_e64 v88, v88, v70, s7
	v_cmp_eq_u32_e64 s11, 5, v78
	v_cndmask_b32_e64 v81, v81, v71, s10
	v_cndmask_b32_e64 v87, v87, v85, s10
	v_cmp_eq_u32_e64 s12, 4, v79
	v_cndmask_b32_e64 v88, v88, v95, s9
	v_cmp_eq_u32_e64 s6, 1, v77
	v_cndmask_b32_e64 v89, v89, v84, s7
	v_cndmask_b32_e64 v81, v81, v96, s11
	v_cmp_eq_u32_e64 s13, 6, v78
	v_cndmask_b32_e64 v88, v88, v71, s12
	;; [unrolled: 3-line block ×3, first 2 shown]
	v_cndmask_b32_e64 v89, v89, v98, s9
	v_cndmask_b32_e64 v81, v81, v72, s13
	v_cmp_eq_u32_e64 s16, 7, v78
	v_cndmask_b32_e64 v88, v88, v96, s15
	v_cndmask_b32_e64 v87, v87, v86, s13
	v_cmp_eq_u32_e64 s17, 6, v79
	v_cmp_eq_u32_e64 s18, 2, v77
	v_cndmask_b32_e64 v89, v89, v85, s12
	v_cndmask_b32_e64 v101, v81, v97, s16
	;; [unrolled: 1-line block ×6, first 2 shown]
	v_cmp_eq_u32_e64 s19, 7, v79
	v_cmp_eq_u32_e64 s20, 3, v77
	;; [unrolled: 1-line block ×4, first 2 shown]
	v_cndmask_b32_e64 v87, v87, v84, s18
	v_cndmask_b32_e64 v103, v88, v97, s19
	;; [unrolled: 1-line block ×4, first 2 shown]
	v_or_b32_e32 v81, 3, v78
	v_cndmask_b32_e64 v93, v87, v98, s20
	v_cmp_eq_u32_e64 s25, 6, v77
	v_cndmask_b32_e64 v104, v88, v86, s17
	v_cndmask_b32_e64 v92, v89, v71, s21
	v_cmp_eq_u32_e64 s22, 1, v81
	ds_load_b128 v[87:90], v82 offset:1024
	v_cmp_eq_u32_e64 s24, 2, v81
	v_cmp_eq_u32_e64 s26, 3, v81
	v_cndmask_b32_e64 v105, v92, v96, s23
	v_cndmask_b32_e64 v66, v69, v66, s22
	;; [unrolled: 1-line block ×4, first 2 shown]
	ds_load_b128 v[91:94], v82 offset:1040
	v_cmp_eq_u32_e64 s27, 4, v81
	v_cndmask_b32_e64 v66, v66, v70, s24
	v_cmp_eq_u32_e64 s28, 7, v77
	v_cndmask_b32_e64 v70, v83, v84, s24
	v_cndmask_b32_e64 v84, v105, v72, s25
	v_cmp_eq_u32_e64 s29, 5, v81
	v_cndmask_b32_e64 v66, v66, v95, s26
	v_cmp_eq_u32_e64 s30, 6, v81
	v_cndmask_b32_e64 v70, v70, v98, s26
	v_cndmask_b32_e64 v69, v69, v99, s23
	v_cndmask_b32_e64 v83, v104, v100, s19
	v_cndmask_b32_e64 v66, v66, v71, s27
	s_waitcnt lgkmcnt(1)
	v_lshrrev_b32_e32 v95, 16, v87
	v_cndmask_b32_e64 v70, v70, v85, s27
	v_cndmask_b32_e64 v71, v84, v97, s28
	;; [unrolled: 1-line block ×4, first 2 shown]
	v_cndmask_b32_e32 v84, v87, v95, vcc_lo
	v_cndmask_b32_e64 v70, v70, v99, s29
	s_waitcnt lgkmcnt(0)
	v_lshrrev_b32_e32 v85, 16, v91
	v_lshrrev_b32_e32 v96, 16, v88
	v_cndmask_b32_e64 v98, v87, v95, s4
	v_cndmask_b32_e64 v84, v84, v88, s5
	;; [unrolled: 1-line block ×3, first 2 shown]
	v_cndmask_b32_e32 v99, v91, v85, vcc_lo
	v_cmp_eq_u32_e32 vcc_lo, 7, v81
	v_cndmask_b32_e64 v66, v66, v72, s30
	v_cndmask_b32_e64 v72, v84, v96, s8
	;; [unrolled: 1-line block ×3, first 2 shown]
	v_lshrrev_b32_e32 v98, 16, v92
	v_cndmask_b32_e32 v70, v70, v100, vcc_lo
	v_cndmask_b32_e64 v86, v99, v92, s5
	v_cndmask_b32_e64 v69, v69, v100, s28
	v_lshrrev_b32_e32 v100, 16, v93
	v_cndmask_b32_e64 v72, v72, v89, s10
	v_lshrrev_b32_e32 v99, 16, v89
	v_cndmask_b32_e64 v86, v86, v98, s8
	v_perm_b32 v71, v69, v71, 0x5040100
	v_cndmask_b32_e64 v84, v84, v96, s9
	s_delay_alu instid0(VALU_DEP_3) | instskip(NEXT) | instid1(VALU_DEP_2)
	v_cndmask_b32_e64 v86, v86, v93, s10
	v_cndmask_b32_e64 v84, v84, v89, s12
	s_delay_alu instid0(VALU_DEP_2) | instskip(NEXT) | instid1(VALU_DEP_1)
	v_cndmask_b32_e64 v86, v86, v100, s11
	v_cndmask_b32_e64 v69, v86, v94, s13
	;; [unrolled: 1-line block ×5, first 2 shown]
	s_delay_alu instid0(VALU_DEP_3) | instskip(NEXT) | instid1(VALU_DEP_3)
	v_cndmask_b32_e64 v86, v86, v88, s18
	v_cndmask_b32_e64 v87, v87, v88, s24
	s_delay_alu instid0(VALU_DEP_3) | instskip(NEXT) | instid1(VALU_DEP_3)
	v_cndmask_b32_e64 v88, v95, v92, s24
	v_cndmask_b32_e64 v86, v86, v96, s20
	;; [unrolled: 3-line block ×7, first 2 shown]
	s_delay_alu instid0(VALU_DEP_3) | instskip(SKIP_2) | instid1(VALU_DEP_2)
	v_cndmask_b32_e64 v88, v88, v94, s30
	v_cndmask_b32_e32 v66, v66, v97, vcc_lo
	v_cndmask_b32_e64 v97, v72, v99, s11
	v_perm_b32 v72, v70, v66, 0x5040100
	v_perm_b32 v70, v83, v103, 0x5040100
	v_cndmask_b32_e64 v103, v91, v85, s6
	v_cndmask_b32_e64 v85, v91, v85, s4
	v_cndmask_b32_e64 v66, v84, v99, s15
	v_cndmask_b32_e64 v84, v97, v90, s13
	v_lshrrev_b32_e32 v97, 16, v90
	v_cndmask_b32_e64 v91, v103, v92, s18
	v_cndmask_b32_e64 v85, v85, v92, s7
	;; [unrolled: 1-line block ×3, first 2 shown]
	s_mov_b32 s4, exec_lo
	v_cndmask_b32_e64 v83, v84, v97, s16
	v_cndmask_b32_e64 v91, v91, v98, s20
	;; [unrolled: 1-line block ×3, first 2 shown]
	v_lshrrev_b32_e32 v84, 16, v94
	v_cndmask_b32_e64 v66, v66, v97, s19
	v_cndmask_b32_e64 v90, v86, v97, s28
	;; [unrolled: 1-line block ×4, first 2 shown]
	v_dual_cndmask_b32 v86, v87, v97 :: v_dual_cndmask_b32 v87, v88, v84
	v_cndmask_b32_e64 v91, v69, v84, s16
	s_delay_alu instid0(VALU_DEP_4) | instskip(NEXT) | instid1(VALU_DEP_4)
	v_cndmask_b32_e64 v89, v89, v100, s23
	v_cndmask_b32_e64 v85, v85, v100, s15
	v_perm_b32 v69, v102, v101, 0x5040100
	v_perm_b32 v86, v87, v86, 0x5040100
	;; [unrolled: 1-line block ×3, first 2 shown]
	v_cndmask_b32_e64 v89, v89, v94, s25
	v_cndmask_b32_e64 v85, v85, v94, s17
	s_mul_i32 s9, s37, 11
	s_delay_alu instid0(VALU_DEP_2) | instskip(NEXT) | instid1(VALU_DEP_2)
	v_cndmask_b32_e64 v88, v89, v84, s28
	v_cndmask_b32_e64 v89, v85, v84, s19
	s_delay_alu instid0(VALU_DEP_2) | instskip(NEXT) | instid1(VALU_DEP_2)
	v_perm_b32 v85, v88, v90, 0x5040100
	v_perm_b32 v84, v89, v66, 0x5040100
	ds_store_b128 v76, v[69:72]
	ds_store_b128 v76, v[83:86] offset:1024
	v_cmpx_gt_u32_e32 11, v0
	s_cbranch_execz .LBB1376_78
; %bb.77:
	s_mul_i32 s5, s9, s34
	s_load_b128 s[16:19], s[0:1], 0x58
	v_add3_u32 v69, s5, s31, v65
	s_delay_alu instid0(VALU_DEP_1) | instskip(NEXT) | instid1(VALU_DEP_1)
	v_mad_u64_u32 v[65:66], null, v69, s36, s[14:15]
	v_ashrrev_i32_e32 v66, 31, v65
	s_delay_alu instid0(VALU_DEP_1) | instskip(SKIP_1) | instid1(VALU_DEP_1)
	v_lshlrev_b64 v[65:66], 2, v[65:66]
	s_waitcnt lgkmcnt(0)
	v_add_co_u32 v69, vcc_lo, s18, v65
	s_delay_alu instid0(VALU_DEP_2)
	v_add_co_ci_u32_e32 v70, vcc_lo, s19, v66, vcc_lo
	v_add_co_u32 v65, vcc_lo, s16, v65
	v_add_co_ci_u32_e32 v66, vcc_lo, s17, v66, vcc_lo
	global_store_b32 v[69:70], v67, off
	global_store_b32 v[65:66], v68, off
.LBB1376_78:
	s_or_b32 exec_lo, exec_lo, s4
	s_waitcnt lgkmcnt(0)
	s_waitcnt_vscnt null, 0x0
	s_barrier
	buffer_gl0_inv
	ds_load_b128 v[83:86], v80
	ds_load_b128 v[87:90], v80 offset:16
	ds_load_b128 v[95:98], v80 offset:2064
	;; [unrolled: 1-line block ×3, first 2 shown]
	v_mov_b32_e32 v65, 0
	ds_load_b128 v[103:106], v80 offset:4112
	ds_load_b128 v[99:102], v80 offset:4096
	;; [unrolled: 1-line block ×4, first 2 shown]
	v_mov_b32_e32 v66, v65
	v_mov_b32_e32 v67, v65
	;; [unrolled: 1-line block ×7, first 2 shown]
	s_waitcnt lgkmcnt(6)
	s_delay_alu instid0(VALU_DEP_1)
	v_wmma_f32_16x16x16_bf16 v[65:72], v[57:64], v[83:90], v[65:72]
	ds_load_b128 v[61:64], v80 offset:8208
	ds_load_b128 v[57:60], v80 offset:8192
	s_waitcnt lgkmcnt(6)
	v_wmma_f32_16x16x16_bf16 v[65:72], v[41:48], v[91:98], v[65:72]
	ds_load_b128 v[45:48], v80 offset:10256
	ds_load_b128 v[41:44], v80 offset:10240
	s_waitcnt lgkmcnt(6)
	v_wmma_f32_16x16x16_bf16 v[65:72], v[33:40], v[99:106], v[65:72]
	ds_load_b128 v[37:40], v80 offset:12304
	ds_load_b128 v[33:36], v80 offset:12288
	s_waitcnt lgkmcnt(6)
	v_wmma_f32_16x16x16_bf16 v[65:72], v[25:32], v[107:114], v[65:72]
	ds_load_b128 v[29:32], v80 offset:14352
	ds_load_b128 v[25:28], v80 offset:14336
	s_waitcnt lgkmcnt(6)
	v_wmma_f32_16x16x16_bf16 v[65:72], v[1:8], v[57:64], v[65:72]
	s_waitcnt lgkmcnt(4)
	s_delay_alu instid0(VALU_DEP_1) | instskip(SKIP_1) | instid1(VALU_DEP_1)
	v_wmma_f32_16x16x16_bf16 v[65:72], v[9:16], v[41:48], v[65:72]
	s_waitcnt lgkmcnt(2)
	v_wmma_f32_16x16x16_bf16 v[65:72], v[17:24], v[33:40], v[65:72]
	s_waitcnt lgkmcnt(0)
	s_delay_alu instid0(VALU_DEP_1) | instskip(NEXT) | instid1(VALU_DEP_1)
	v_wmma_f32_16x16x16_bf16 v[65:72], v[49:56], v[25:32], v[65:72]
	v_and_b32_e32 v1, 0x7f800000, v65
	s_delay_alu instid0(VALU_DEP_1) | instskip(SKIP_1) | instid1(SALU_CYCLE_1)
	v_cmp_ne_u32_e32 vcc_lo, 0x7f800000, v1
                                        ; implicit-def: $vgpr1
	s_and_saveexec_b32 s4, vcc_lo
	s_xor_b32 s4, exec_lo, s4
; %bb.79:
	v_bfe_u32 v1, v65, 16, 1
	s_delay_alu instid0(VALU_DEP_1)
	v_add3_u32 v1, v65, v1, 0x7fff
; %bb.80:
	s_and_not1_saveexec_b32 s4, s4
; %bb.81:
	v_and_b32_e32 v1, 0xffff, v65
	v_or_b32_e32 v2, 0x10000, v65
	s_delay_alu instid0(VALU_DEP_2) | instskip(NEXT) | instid1(VALU_DEP_2)
	v_cmp_eq_u32_e32 vcc_lo, 0, v1
	v_cndmask_b32_e32 v1, v2, v65, vcc_lo
; %bb.82:
	s_or_b32 exec_lo, exec_lo, s4
	v_and_b32_e32 v2, 0x7f800000, v66
	s_delay_alu instid0(VALU_DEP_1) | instskip(SKIP_1) | instid1(SALU_CYCLE_1)
	v_cmp_ne_u32_e32 vcc_lo, 0x7f800000, v2
                                        ; implicit-def: $vgpr2
	s_and_saveexec_b32 s4, vcc_lo
	s_xor_b32 s4, exec_lo, s4
; %bb.83:
	v_bfe_u32 v2, v66, 16, 1
	s_delay_alu instid0(VALU_DEP_1)
	v_add3_u32 v2, v66, v2, 0x7fff
; %bb.84:
	s_and_not1_saveexec_b32 s4, s4
; %bb.85:
	v_and_b32_e32 v2, 0xffff, v66
	v_or_b32_e32 v3, 0x10000, v66
	s_delay_alu instid0(VALU_DEP_2) | instskip(NEXT) | instid1(VALU_DEP_2)
	v_cmp_eq_u32_e32 vcc_lo, 0, v2
	v_cndmask_b32_e32 v2, v3, v66, vcc_lo
; %bb.86:
	s_or_b32 exec_lo, exec_lo, s4
	v_and_b32_e32 v3, 0x7f800000, v67
	s_delay_alu instid0(VALU_DEP_1) | instskip(SKIP_1) | instid1(SALU_CYCLE_1)
	v_cmp_ne_u32_e32 vcc_lo, 0x7f800000, v3
                                        ; implicit-def: $vgpr3
	s_and_saveexec_b32 s4, vcc_lo
	s_xor_b32 s4, exec_lo, s4
; %bb.87:
	v_bfe_u32 v3, v67, 16, 1
	s_delay_alu instid0(VALU_DEP_1)
	v_add3_u32 v3, v67, v3, 0x7fff
; %bb.88:
	s_and_not1_saveexec_b32 s4, s4
; %bb.89:
	v_and_b32_e32 v3, 0xffff, v67
	v_or_b32_e32 v4, 0x10000, v67
	s_delay_alu instid0(VALU_DEP_2) | instskip(NEXT) | instid1(VALU_DEP_2)
	v_cmp_eq_u32_e32 vcc_lo, 0, v3
	v_cndmask_b32_e32 v3, v4, v67, vcc_lo
; %bb.90:
	s_or_b32 exec_lo, exec_lo, s4
	v_and_b32_e32 v4, 0x7f800000, v68
	s_delay_alu instid0(VALU_DEP_1) | instskip(SKIP_1) | instid1(SALU_CYCLE_1)
	v_cmp_ne_u32_e32 vcc_lo, 0x7f800000, v4
                                        ; implicit-def: $vgpr4
	s_and_saveexec_b32 s4, vcc_lo
	s_xor_b32 s4, exec_lo, s4
; %bb.91:
	v_bfe_u32 v4, v68, 16, 1
	s_delay_alu instid0(VALU_DEP_1)
	v_add3_u32 v4, v68, v4, 0x7fff
; %bb.92:
	s_and_not1_saveexec_b32 s4, s4
; %bb.93:
	v_and_b32_e32 v4, 0xffff, v68
	v_or_b32_e32 v5, 0x10000, v68
	s_delay_alu instid0(VALU_DEP_2) | instskip(NEXT) | instid1(VALU_DEP_2)
	v_cmp_eq_u32_e32 vcc_lo, 0, v4
	v_cndmask_b32_e32 v4, v5, v68, vcc_lo
; %bb.94:
	s_or_b32 exec_lo, exec_lo, s4
	v_and_b32_e32 v5, 0x7f800000, v69
	s_delay_alu instid0(VALU_DEP_1) | instskip(SKIP_1) | instid1(SALU_CYCLE_1)
	v_cmp_ne_u32_e32 vcc_lo, 0x7f800000, v5
                                        ; implicit-def: $vgpr5
	s_and_saveexec_b32 s4, vcc_lo
	s_xor_b32 s4, exec_lo, s4
; %bb.95:
	v_bfe_u32 v5, v69, 16, 1
	s_delay_alu instid0(VALU_DEP_1)
	v_add3_u32 v5, v69, v5, 0x7fff
; %bb.96:
	s_and_not1_saveexec_b32 s4, s4
; %bb.97:
	v_and_b32_e32 v5, 0xffff, v69
	v_or_b32_e32 v6, 0x10000, v69
	s_delay_alu instid0(VALU_DEP_2) | instskip(NEXT) | instid1(VALU_DEP_2)
	v_cmp_eq_u32_e32 vcc_lo, 0, v5
	v_cndmask_b32_e32 v5, v6, v69, vcc_lo
; %bb.98:
	s_or_b32 exec_lo, exec_lo, s4
	v_and_b32_e32 v6, 0x7f800000, v70
	s_delay_alu instid0(VALU_DEP_1) | instskip(SKIP_1) | instid1(SALU_CYCLE_1)
	v_cmp_ne_u32_e32 vcc_lo, 0x7f800000, v6
                                        ; implicit-def: $vgpr6
	s_and_saveexec_b32 s4, vcc_lo
	s_xor_b32 s4, exec_lo, s4
; %bb.99:
	v_bfe_u32 v6, v70, 16, 1
	s_delay_alu instid0(VALU_DEP_1)
	v_add3_u32 v6, v70, v6, 0x7fff
; %bb.100:
	s_and_not1_saveexec_b32 s4, s4
; %bb.101:
	v_and_b32_e32 v6, 0xffff, v70
	v_or_b32_e32 v7, 0x10000, v70
	s_delay_alu instid0(VALU_DEP_2) | instskip(NEXT) | instid1(VALU_DEP_2)
	v_cmp_eq_u32_e32 vcc_lo, 0, v6
	v_cndmask_b32_e32 v6, v7, v70, vcc_lo
; %bb.102:
	s_or_b32 exec_lo, exec_lo, s4
	v_and_b32_e32 v7, 0x7f800000, v71
	s_delay_alu instid0(VALU_DEP_1) | instskip(SKIP_1) | instid1(SALU_CYCLE_1)
	v_cmp_ne_u32_e32 vcc_lo, 0x7f800000, v7
                                        ; implicit-def: $vgpr7
	s_and_saveexec_b32 s4, vcc_lo
	s_xor_b32 s4, exec_lo, s4
; %bb.103:
	v_bfe_u32 v7, v71, 16, 1
	s_delay_alu instid0(VALU_DEP_1)
	v_add3_u32 v7, v71, v7, 0x7fff
; %bb.104:
	s_and_not1_saveexec_b32 s4, s4
; %bb.105:
	v_and_b32_e32 v7, 0xffff, v71
	v_or_b32_e32 v8, 0x10000, v71
	s_delay_alu instid0(VALU_DEP_2) | instskip(NEXT) | instid1(VALU_DEP_2)
	v_cmp_eq_u32_e32 vcc_lo, 0, v7
	v_cndmask_b32_e32 v7, v8, v71, vcc_lo
; %bb.106:
	s_or_b32 exec_lo, exec_lo, s4
	v_and_b32_e32 v8, 0x7f800000, v72
	s_delay_alu instid0(VALU_DEP_1) | instskip(SKIP_1) | instid1(SALU_CYCLE_1)
	v_cmp_ne_u32_e32 vcc_lo, 0x7f800000, v8
                                        ; implicit-def: $vgpr8
	s_and_saveexec_b32 s4, vcc_lo
	s_xor_b32 s4, exec_lo, s4
; %bb.107:
	v_bfe_u32 v8, v72, 16, 1
	s_delay_alu instid0(VALU_DEP_1)
	v_add3_u32 v8, v72, v8, 0x7fff
                                        ; implicit-def: $vgpr65_vgpr66_vgpr67_vgpr68_vgpr69_vgpr70_vgpr71_vgpr72
; %bb.108:
	s_and_not1_saveexec_b32 s4, s4
; %bb.109:
	v_and_b32_e32 v8, 0xffff, v72
	v_or_b32_e32 v9, 0x10000, v72
	s_delay_alu instid0(VALU_DEP_2) | instskip(NEXT) | instid1(VALU_DEP_2)
	v_cmp_eq_u32_e32 vcc_lo, 0, v8
	v_cndmask_b32_e32 v8, v9, v72, vcc_lo
; %bb.110:
	s_or_b32 exec_lo, exec_lo, s4
	s_delay_alu instid0(VALU_DEP_1)
	v_perm_b32 v7, v8, v7, 0x7060302
	v_perm_b32 v6, v6, v5, 0x7060302
	v_perm_b32 v5, v4, v3, 0x7060302
	v_perm_b32 v4, v2, v1, 0x7060302
	s_barrier
	buffer_gl0_inv
	v_cmp_eq_u32_e32 vcc_lo, 1, v78
	ds_store_b128 v76, v[4:7]
	s_waitcnt lgkmcnt(0)
	s_barrier
	buffer_gl0_inv
	ds_load_b128 v[1:4], v82
	ds_load_b128 v[5:8], v82 offset:16
	v_cmp_eq_u32_e64 s4, 1, v79
	v_cmp_eq_u32_e64 s5, 2, v78
	;; [unrolled: 1-line block ×5, first 2 shown]
	s_waitcnt lgkmcnt(1)
	v_lshrrev_b32_e32 v9, 16, v1
	s_waitcnt lgkmcnt(0)
	v_lshrrev_b32_e32 v13, 16, v5
	v_lshrrev_b32_e32 v10, 16, v2
	v_lshrrev_b32_e32 v14, 16, v6
	v_lshrrev_b32_e32 v11, 16, v3
	v_cndmask_b32_e64 v19, v1, v9, s4
	v_cndmask_b32_e32 v18, v5, v13, vcc_lo
	v_cndmask_b32_e64 v20, v5, v13, s4
	v_cndmask_b32_e32 v17, v1, v9, vcc_lo
	v_cmp_eq_u32_e32 vcc_lo, 2, v79
	v_lshrrev_b32_e32 v15, 16, v7
	v_cmp_eq_u32_e64 s4, 1, v77
	v_lshrrev_b32_e32 v12, 16, v4
	v_lshrrev_b32_e32 v16, 16, v8
	v_cndmask_b32_e32 v20, v20, v6, vcc_lo
	v_cndmask_b32_e64 v17, v17, v2, s5
	v_cndmask_b32_e32 v19, v19, v2, vcc_lo
	v_cndmask_b32_e64 v18, v18, v6, s5
	v_cmp_eq_u32_e32 vcc_lo, 4, v78
	v_cmp_eq_u32_e64 s5, 3, v79
	v_cndmask_b32_e64 v17, v17, v10, s6
	v_cndmask_b32_e64 v21, v1, v9, s4
	;; [unrolled: 1-line block ×5, first 2 shown]
	v_cndmask_b32_e32 v17, v17, v3, vcc_lo
	v_cndmask_b32_e64 v20, v20, v14, s5
	v_cndmask_b32_e32 v18, v18, v7, vcc_lo
	v_cmp_eq_u32_e32 vcc_lo, 4, v79
	v_cmp_eq_u32_e64 s5, 5, v79
	v_cmp_eq_u32_e64 s4, 2, v81
	v_cndmask_b32_e64 v21, v21, v2, s8
	v_cmp_eq_u32_e64 s6, 5, v78
	v_cndmask_b32_e32 v19, v19, v3, vcc_lo
	v_cndmask_b32_e32 v20, v20, v7, vcc_lo
	v_cmp_eq_u32_e32 vcc_lo, 6, v79
	s_delay_alu instid0(VALU_DEP_4) | instskip(NEXT) | instid1(VALU_DEP_4)
	v_cndmask_b32_e64 v17, v17, v11, s6
	v_cndmask_b32_e64 v19, v19, v11, s5
	s_delay_alu instid0(VALU_DEP_4) | instskip(SKIP_1) | instid1(VALU_DEP_3)
	v_cndmask_b32_e64 v20, v20, v15, s5
	v_cmp_eq_u32_e64 s5, 1, v81
	v_cndmask_b32_e32 v19, v19, v4, vcc_lo
	v_cndmask_b32_e64 v18, v18, v15, s6
	s_delay_alu instid0(VALU_DEP_3)
	v_cndmask_b32_e64 v1, v1, v9, s5
	v_cndmask_b32_e64 v5, v5, v13, s5
	v_cmp_eq_u32_e64 s5, 3, v77
	v_cndmask_b32_e64 v13, v22, v6, s8
	v_cmp_eq_u32_e64 s8, 3, v81
	v_cndmask_b32_e64 v1, v1, v2, s4
	v_cndmask_b32_e64 v2, v5, v6, s4
	;; [unrolled: 1-line block ×3, first 2 shown]
	v_cmp_eq_u32_e64 s4, 4, v77
	v_cndmask_b32_e64 v6, v13, v14, s5
	v_cndmask_b32_e64 v1, v1, v10, s8
	v_cmp_eq_u32_e64 s5, 4, v81
	v_cndmask_b32_e64 v2, v2, v14, s8
	v_cndmask_b32_e64 v5, v9, v3, s4
	;; [unrolled: 3-line block ×3, first 2 shown]
	v_cndmask_b32_e64 v2, v2, v7, s5
	v_cmp_eq_u32_e64 s4, 5, v81
	v_cmp_eq_u32_e64 s6, 6, v78
	v_cndmask_b32_e64 v5, v5, v11, s8
	v_cmp_eq_u32_e64 s5, 6, v77
	v_cndmask_b32_e64 v3, v6, v15, s8
	v_cndmask_b32_e64 v1, v1, v11, s4
	v_cmp_eq_u32_e64 s8, 6, v81
	v_cndmask_b32_e64 v2, v2, v15, s4
	v_cndmask_b32_e64 v17, v17, v4, s6
	v_cndmask_b32_e64 v18, v18, v8, s6
	v_cmp_eq_u32_e64 s6, 7, v78
	v_cndmask_b32_e64 v5, v5, v4, s5
	;; [unrolled: 4-line block ×3, first 2 shown]
	v_cmp_eq_u32_e64 s5, 7, v77
	v_cndmask_b32_e32 v4, v20, v8, vcc_lo
	v_cndmask_b32_e64 v17, v17, v12, s6
	v_cndmask_b32_e64 v19, v19, v12, s7
	;; [unrolled: 1-line block ×8, first 2 shown]
	v_cmp_gt_u32_e32 vcc_lo, 32, v0
	v_perm_b32 v4, v2, v1, 0x5040100
	v_perm_b32 v3, v3, v5, 0x5040100
	;; [unrolled: 1-line block ×4, first 2 shown]
	s_and_b32 s2, vcc_lo, s2
	ds_store_b128 v76, v[1:4]
	s_waitcnt lgkmcnt(0)
	s_barrier
	buffer_gl0_inv
	s_and_saveexec_b32 s4, s2
	s_cbranch_execz .LBB1376_2
; %bb.111:
	s_load_b64 s[4:5], s[0:1], 0x68
	v_lshlrev_b32_e32 v0, 10, v0
	v_lshlrev_b32_e32 v1, 4, v75
	s_lshl_b32 s0, s36, 6
	v_add_nc_u32_e32 v7, s31, v74
	s_mul_i32 s1, s0, s34
	s_delay_alu instid0(SALU_CYCLE_1) | instskip(SKIP_1) | instid1(VALU_DEP_2)
	s_mul_i32 s6, s1, s9
	v_and_or_b32 v0, 0x3800, v0, v1
	v_mul_lo_u32 v1, v7, s0
	v_add_nc_u32_e32 v2, 2, v7
	s_ashr_i32 s7, s6, 31
	v_add_nc_u32_e32 v4, 4, v7
	s_lshl_b64 s[6:7], s[6:7], 1
	v_add_nc_u32_e32 v8, 6, v7
	v_mul_lo_u32 v3, v2, s0
	v_lshl_or_b32 v19, v74, 6, v0
	v_ashrrev_i32_e32 v2, 31, v1
	v_mul_lo_u32 v11, v4, s0
	v_mul_lo_u32 v25, v8, s0
	s_waitcnt lgkmcnt(0)
	s_add_u32 s1, s4, s6
	s_addc_u32 s2, s5, s7
	s_lshl_b32 s4, s14, 6
	v_lshlrev_b64 v[5:6], 1, v[1:2]
	s_ashr_i32 s5, s4, 31
	v_ashrrev_i32_e32 v4, 31, v3
	s_lshl_b64 s[4:5], s[4:5], 1
	v_ashrrev_i32_e32 v12, 31, v11
	s_add_u32 s1, s1, s4
	s_addc_u32 s2, s2, s5
	v_add_co_u32 v1, s1, s1, v73
	s_delay_alu instid0(VALU_DEP_1) | instskip(SKIP_1) | instid1(VALU_DEP_3)
	v_add_co_ci_u32_e64 v2, null, s2, 0, s1
	v_lshlrev_b64 v[3:4], 1, v[3:4]
	v_add_co_u32 v23, vcc_lo, v1, v5
	v_add_nc_u32_e32 v5, 8, v7
	s_delay_alu instid0(VALU_DEP_4) | instskip(NEXT) | instid1(VALU_DEP_4)
	v_add_co_ci_u32_e32 v24, vcc_lo, v2, v6, vcc_lo
	v_add_co_u32 v27, vcc_lo, v1, v3
	s_delay_alu instid0(VALU_DEP_3)
	v_mul_lo_u32 v29, v5, s0
	v_add_co_ci_u32_e32 v28, vcc_lo, v2, v4, vcc_lo
	ds_load_b128 v[3:6], v19
	ds_load_b128 v[7:10], v19 offset:128
	v_lshlrev_b64 v[31:32], 1, v[11:12]
	ds_load_b128 v[11:14], v19 offset:256
	ds_load_b128 v[15:18], v19 offset:384
	;; [unrolled: 1-line block ×3, first 2 shown]
	v_ashrrev_i32_e32 v26, 31, v25
	v_ashrrev_i32_e32 v30, 31, v29
	v_add_co_u32 v31, vcc_lo, v1, v31
	s_delay_alu instid0(VALU_DEP_3) | instskip(NEXT) | instid1(VALU_DEP_3)
	v_lshlrev_b64 v[25:26], 1, v[25:26]
	v_lshlrev_b64 v[29:30], 1, v[29:30]
	v_add_co_ci_u32_e32 v32, vcc_lo, v2, v32, vcc_lo
	s_delay_alu instid0(VALU_DEP_3) | instskip(NEXT) | instid1(VALU_DEP_4)
	v_add_co_u32 v25, vcc_lo, v1, v25
	v_add_co_ci_u32_e32 v26, vcc_lo, v2, v26, vcc_lo
	s_delay_alu instid0(VALU_DEP_4)
	v_add_co_u32 v29, vcc_lo, v1, v29
	v_add_co_ci_u32_e32 v30, vcc_lo, v2, v30, vcc_lo
	s_waitcnt lgkmcnt(4)
	global_store_b128 v[23:24], v[3:6], off
	s_waitcnt lgkmcnt(3)
	global_store_b128 v[27:28], v[7:10], off
	;; [unrolled: 2-line block ×5, first 2 shown]
	s_and_b32 exec_lo, exec_lo, s3
	s_cbranch_execz .LBB1376_2
; %bb.112:
	ds_load_b128 v[3:6], v0 offset:640
	s_add_i32 s1, s31, 10
	s_delay_alu instid0(SALU_CYCLE_1) | instskip(NEXT) | instid1(SALU_CYCLE_1)
	s_mul_i32 s0, s1, s0
	s_ashr_i32 s1, s0, 31
	s_delay_alu instid0(SALU_CYCLE_1) | instskip(NEXT) | instid1(SALU_CYCLE_1)
	s_lshl_b64 s[0:1], s[0:1], 1
	v_add_co_u32 v0, vcc_lo, v1, s0
	v_add_co_ci_u32_e32 v1, vcc_lo, s1, v2, vcc_lo
	s_waitcnt lgkmcnt(0)
	global_store_b128 v[0:1], v[3:6], off
	s_nop 0
	s_sendmsg sendmsg(MSG_DEALLOC_VGPRS)
	s_endpgm
	.section	.rodata,"a",@progbits
	.p2align	6, 0x0
	.amdhsa_kernel _Z39paged_attention_ll4mi_QKV_mfma16_kernelI14__hip_bfloat16hLN4vllm18Fp8KVCacheDataTypeE1EhLi16ELi64ELi256ELb0ELi11EL8MFMAType1EEvPKT_PKT0_S9_ifPKiSB_SB_iPKfiiiPfSE_PS4_PT2_iSD_SD_
		.amdhsa_group_segment_fixed_size 17472
		.amdhsa_private_segment_fixed_size 0
		.amdhsa_kernarg_size 400
		.amdhsa_user_sgpr_count 13
		.amdhsa_user_sgpr_dispatch_ptr 0
		.amdhsa_user_sgpr_queue_ptr 0
		.amdhsa_user_sgpr_kernarg_segment_ptr 1
		.amdhsa_user_sgpr_dispatch_id 0
		.amdhsa_user_sgpr_private_segment_size 0
		.amdhsa_wavefront_size32 1
		.amdhsa_uses_dynamic_stack 0
		.amdhsa_enable_private_segment 0
		.amdhsa_system_sgpr_workgroup_id_x 1
		.amdhsa_system_sgpr_workgroup_id_y 1
		.amdhsa_system_sgpr_workgroup_id_z 1
		.amdhsa_system_sgpr_workgroup_info 0
		.amdhsa_system_vgpr_workitem_id 0
		.amdhsa_next_free_vgpr 124
		.amdhsa_next_free_sgpr 40
		.amdhsa_reserve_vcc 1
		.amdhsa_float_round_mode_32 0
		.amdhsa_float_round_mode_16_64 0
		.amdhsa_float_denorm_mode_32 3
		.amdhsa_float_denorm_mode_16_64 3
		.amdhsa_dx10_clamp 1
		.amdhsa_ieee_mode 1
		.amdhsa_fp16_overflow 0
		.amdhsa_workgroup_processor_mode 1
		.amdhsa_memory_ordered 1
		.amdhsa_forward_progress 0
		.amdhsa_shared_vgpr_count 0
		.amdhsa_exception_fp_ieee_invalid_op 0
		.amdhsa_exception_fp_denorm_src 0
		.amdhsa_exception_fp_ieee_div_zero 0
		.amdhsa_exception_fp_ieee_overflow 0
		.amdhsa_exception_fp_ieee_underflow 0
		.amdhsa_exception_fp_ieee_inexact 0
		.amdhsa_exception_int_div_zero 0
	.end_amdhsa_kernel
	.section	.text._Z39paged_attention_ll4mi_QKV_mfma16_kernelI14__hip_bfloat16hLN4vllm18Fp8KVCacheDataTypeE1EhLi16ELi64ELi256ELb0ELi11EL8MFMAType1EEvPKT_PKT0_S9_ifPKiSB_SB_iPKfiiiPfSE_PS4_PT2_iSD_SD_,"axG",@progbits,_Z39paged_attention_ll4mi_QKV_mfma16_kernelI14__hip_bfloat16hLN4vllm18Fp8KVCacheDataTypeE1EhLi16ELi64ELi256ELb0ELi11EL8MFMAType1EEvPKT_PKT0_S9_ifPKiSB_SB_iPKfiiiPfSE_PS4_PT2_iSD_SD_,comdat
.Lfunc_end1376:
	.size	_Z39paged_attention_ll4mi_QKV_mfma16_kernelI14__hip_bfloat16hLN4vllm18Fp8KVCacheDataTypeE1EhLi16ELi64ELi256ELb0ELi11EL8MFMAType1EEvPKT_PKT0_S9_ifPKiSB_SB_iPKfiiiPfSE_PS4_PT2_iSD_SD_, .Lfunc_end1376-_Z39paged_attention_ll4mi_QKV_mfma16_kernelI14__hip_bfloat16hLN4vllm18Fp8KVCacheDataTypeE1EhLi16ELi64ELi256ELb0ELi11EL8MFMAType1EEvPKT_PKT0_S9_ifPKiSB_SB_iPKfiiiPfSE_PS4_PT2_iSD_SD_
                                        ; -- End function
	.section	.AMDGPU.csdata,"",@progbits
; Kernel info:
; codeLenInByte = 8856
; NumSgprs: 42
; NumVgprs: 124
; ScratchSize: 0
; MemoryBound: 0
; FloatMode: 240
; IeeeMode: 1
; LDSByteSize: 17472 bytes/workgroup (compile time only)
; SGPRBlocks: 5
; VGPRBlocks: 15
; NumSGPRsForWavesPerEU: 42
; NumVGPRsForWavesPerEU: 124
; Occupancy: 10
; WaveLimiterHint : 1
; COMPUTE_PGM_RSRC2:SCRATCH_EN: 0
; COMPUTE_PGM_RSRC2:USER_SGPR: 13
; COMPUTE_PGM_RSRC2:TRAP_HANDLER: 0
; COMPUTE_PGM_RSRC2:TGID_X_EN: 1
; COMPUTE_PGM_RSRC2:TGID_Y_EN: 1
; COMPUTE_PGM_RSRC2:TGID_Z_EN: 1
; COMPUTE_PGM_RSRC2:TIDIG_COMP_CNT: 0
	.section	.text._Z39paged_attention_ll4mi_QKV_mfma16_kernelI14__hip_bfloat16hLN4vllm18Fp8KVCacheDataTypeE1EhLi16ELi64ELi256ELb0ELi12EL8MFMAType1EEvPKT_PKT0_S9_ifPKiSB_SB_iPKfiiiPfSE_PS4_PT2_iSD_SD_,"axG",@progbits,_Z39paged_attention_ll4mi_QKV_mfma16_kernelI14__hip_bfloat16hLN4vllm18Fp8KVCacheDataTypeE1EhLi16ELi64ELi256ELb0ELi12EL8MFMAType1EEvPKT_PKT0_S9_ifPKiSB_SB_iPKfiiiPfSE_PS4_PT2_iSD_SD_,comdat
	.protected	_Z39paged_attention_ll4mi_QKV_mfma16_kernelI14__hip_bfloat16hLN4vllm18Fp8KVCacheDataTypeE1EhLi16ELi64ELi256ELb0ELi12EL8MFMAType1EEvPKT_PKT0_S9_ifPKiSB_SB_iPKfiiiPfSE_PS4_PT2_iSD_SD_ ; -- Begin function _Z39paged_attention_ll4mi_QKV_mfma16_kernelI14__hip_bfloat16hLN4vllm18Fp8KVCacheDataTypeE1EhLi16ELi64ELi256ELb0ELi12EL8MFMAType1EEvPKT_PKT0_S9_ifPKiSB_SB_iPKfiiiPfSE_PS4_PT2_iSD_SD_
	.globl	_Z39paged_attention_ll4mi_QKV_mfma16_kernelI14__hip_bfloat16hLN4vllm18Fp8KVCacheDataTypeE1EhLi16ELi64ELi256ELb0ELi12EL8MFMAType1EEvPKT_PKT0_S9_ifPKiSB_SB_iPKfiiiPfSE_PS4_PT2_iSD_SD_
	.p2align	8
	.type	_Z39paged_attention_ll4mi_QKV_mfma16_kernelI14__hip_bfloat16hLN4vllm18Fp8KVCacheDataTypeE1EhLi16ELi64ELi256ELb0ELi12EL8MFMAType1EEvPKT_PKT0_S9_ifPKiSB_SB_iPKfiiiPfSE_PS4_PT2_iSD_SD_,@function
_Z39paged_attention_ll4mi_QKV_mfma16_kernelI14__hip_bfloat16hLN4vllm18Fp8KVCacheDataTypeE1EhLi16ELi64ELi256ELb0ELi12EL8MFMAType1EEvPKT_PKT0_S9_ifPKiSB_SB_iPKfiiiPfSE_PS4_PT2_iSD_SD_: ; @_Z39paged_attention_ll4mi_QKV_mfma16_kernelI14__hip_bfloat16hLN4vllm18Fp8KVCacheDataTypeE1EhLi16ELi64ELi256ELb0ELi12EL8MFMAType1EEvPKT_PKT0_S9_ifPKiSB_SB_iPKfiiiPfSE_PS4_PT2_iSD_SD_
; %bb.0:
	s_load_b64 s[2:3], s[0:1], 0x30
	s_mov_b32 s30, s13
	s_waitcnt lgkmcnt(0)
	s_cmp_lg_u64 s[2:3], 0
	s_cselect_b32 s8, -1, 0
	s_ashr_i32 s31, s13, 31
	s_cmp_eq_u64 s[2:3], 0
	s_cbranch_scc1 .LBB1377_3
; %bb.1:
	s_lshl_b64 s[4:5], s[30:31], 2
	s_delay_alu instid0(SALU_CYCLE_1) | instskip(SKIP_4) | instid1(SALU_CYCLE_1)
	s_add_u32 s4, s2, s4
	s_addc_u32 s5, s3, s5
	s_load_b64 s[4:5], s[4:5], 0x0
	s_waitcnt lgkmcnt(0)
	s_sub_i32 s4, s5, s4
	s_cmp_eq_u32 s4, 1
	s_cselect_b32 s4, -1, 0
	s_delay_alu instid0(SALU_CYCLE_1)
	s_and_not1_b32 vcc_lo, exec_lo, s4
	s_cbranch_vccz .LBB1377_4
.LBB1377_2:
	s_endpgm
.LBB1377_3:
.LBB1377_4:
	s_load_b64 s[4:5], s[0:1], 0x28
	s_lshl_b64 s[6:7], s[30:31], 2
	s_waitcnt lgkmcnt(0)
	s_add_u32 s4, s4, s6
	s_addc_u32 s5, s5, s7
	s_lshl_b32 s12, s14, 8
	s_load_b32 s24, s[4:5], 0x0
	s_waitcnt lgkmcnt(0)
	s_cmp_ge_i32 s12, s24
	s_cbranch_scc1 .LBB1377_2
; %bb.5:
	s_clause 0x1
	s_load_b128 s[20:23], s[0:1], 0x8
	s_load_b64 s[4:5], s[0:1], 0x20
	s_and_not1_b32 vcc_lo, exec_lo, s8
	s_cbranch_vccnz .LBB1377_7
; %bb.6:
	s_add_u32 s2, s2, s6
	s_addc_u32 s3, s3, s7
	s_load_b32 s3, s[2:3], 0x0
	s_branch .LBB1377_8
.LBB1377_7:
	s_mov_b32 s3, s30
.LBB1377_8:
	s_load_b128 s[16:19], s[0:1], 0x48
	v_and_b32_e32 v65, 15, v0
	v_cmp_gt_u32_e32 vcc_lo, 0xc0, v0
	v_lshrrev_b32_e32 v66, 5, v0
	v_and_b32_e32 v67, 31, v0
	v_and_b32_e32 v75, 1, v0
	v_lshlrev_b32_e32 v1, 3, v65
	v_cmp_gt_u32_e64 s2, 8, v65
	v_bfe_u32 v74, v0, 4, 1
	s_mul_i32 s31, s15, 12
	s_delay_alu instid0(VALU_DEP_3) | instskip(NEXT) | instid1(VALU_DEP_3)
	v_lshlrev_b32_e32 v73, 1, v1
	s_and_b32 s7, vcc_lo, s2
	s_delay_alu instid0(SALU_CYCLE_1)
	s_and_saveexec_b32 s6, s7
	s_cbranch_execz .LBB1377_10
; %bb.9:
	s_load_b64 s[8:9], s[0:1], 0x0
	v_lshl_or_b32 v5, v66, 1, v74
	s_waitcnt lgkmcnt(0)
	s_mul_hi_i32 s11, s3, s16
	s_mul_i32 s10, s3, s16
	v_lshlrev_b32_e32 v6, 10, v65
	s_lshl_b64 s[10:11], s[10:11], 1
	v_add_lshl_u32 v1, v5, s31, 6
	v_lshlrev_b32_e32 v5, 6, v5
	v_lshlrev_b32_e32 v7, 10, v75
	v_and_b32_e32 v6, 0x3800, v6
	s_delay_alu instid0(VALU_DEP_4) | instskip(NEXT) | instid1(VALU_DEP_2)
	v_ashrrev_i32_e32 v2, 31, v1
	v_or3_b32 v5, v6, v7, v5
	s_delay_alu instid0(VALU_DEP_2) | instskip(SKIP_2) | instid1(VALU_DEP_1)
	v_lshlrev_b64 v[1:2], 1, v[1:2]
	s_add_u32 s3, s8, s10
	s_addc_u32 s7, s9, s11
	v_add_co_u32 v1, vcc_lo, s3, v1
	s_delay_alu instid0(VALU_DEP_2) | instskip(NEXT) | instid1(VALU_DEP_2)
	v_add_co_ci_u32_e32 v2, vcc_lo, s7, v2, vcc_lo
	v_add_co_u32 v1, vcc_lo, v1, v73
	s_delay_alu instid0(VALU_DEP_2)
	v_add_co_ci_u32_e32 v2, vcc_lo, 0, v2, vcc_lo
	global_load_b128 v[1:4], v[1:2], off
	s_waitcnt vmcnt(0)
	ds_store_b128 v5, v[1:4]
.LBB1377_10:
	s_or_b32 exec_lo, exec_lo, s6
	v_and_b32_e32 v1, 0xef, v0
	s_waitcnt lgkmcnt(0)
	s_add_i32 s3, s24, 15
	s_clause 0x1
	s_load_b32 s6, s[0:1], 0x38
	s_load_b32 s19, s[0:1], 0x1c
	s_ashr_i32 s7, s3, 31
	v_add_nc_u32_e32 v1, s12, v1
	s_lshr_b32 s7, s7, 28
	s_waitcnt lgkmcnt(0)
	s_add_i32 s3, s3, s7
	s_barrier
	v_ashrrev_i32_e32 v2, 31, v1
	v_or_b32_e32 v3, 16, v1
	s_ashr_i32 s3, s3, 4
	v_cmp_gt_i32_e32 vcc_lo, s24, v1
	s_add_i32 s3, s3, -1
	v_lshrrev_b32_e32 v2, 28, v2
	buffer_gl0_inv
	s_mul_i32 s27, s15, s18
	v_add_nc_u32_e32 v4, v1, v2
	s_mul_i32 s6, s30, s6
	s_delay_alu instid0(SALU_CYCLE_1) | instskip(NEXT) | instid1(VALU_DEP_1)
	s_ashr_i32 s7, s6, 31
	v_ashrrev_i32_e32 v4, 4, v4
	v_add_nc_u32_e32 v2, v3, v2
	s_lshl_b64 s[6:7], s[6:7], 2
	s_delay_alu instid0(SALU_CYCLE_1) | instskip(NEXT) | instid1(VALU_DEP_2)
	s_add_u32 s26, s4, s6
	v_cndmask_b32_e32 v1, s3, v4, vcc_lo
	s_delay_alu instid0(VALU_DEP_2)
	v_ashrrev_i32_e32 v2, 4, v2
	v_cmp_gt_i32_e32 vcc_lo, s24, v3
	s_addc_u32 s25, s5, s7
	s_ashr_i32 s28, s27, 31
	s_add_u32 s13, s20, s27
	s_addc_u32 s15, s21, s28
	v_cndmask_b32_e32 v3, s3, v2, vcc_lo
	v_ashrrev_i32_e32 v2, 31, v1
	s_lshl_b32 s4, s14, 4
	s_delay_alu instid0(SALU_CYCLE_1) | instskip(NEXT) | instid1(VALU_DEP_2)
	s_ashr_i32 s5, s4, 31
	v_ashrrev_i32_e32 v4, 31, v3
	s_delay_alu instid0(VALU_DEP_2) | instskip(SKIP_1) | instid1(SALU_CYCLE_1)
	v_lshlrev_b64 v[1:2], 2, v[1:2]
	s_lshl_b64 s[4:5], s[4:5], 2
	s_add_u32 s4, s26, s4
	s_delay_alu instid0(VALU_DEP_2) | instskip(SKIP_1) | instid1(VALU_DEP_2)
	v_lshlrev_b64 v[3:4], 2, v[3:4]
	s_addc_u32 s5, s25, s5
	v_add_co_u32 v1, vcc_lo, s26, v1
	v_add_co_ci_u32_e32 v2, vcc_lo, s25, v2, vcc_lo
	s_delay_alu instid0(VALU_DEP_3) | instskip(NEXT) | instid1(VALU_DEP_4)
	v_add_co_u32 v3, vcc_lo, s26, v3
	v_add_co_ci_u32_e32 v4, vcc_lo, s25, v4, vcc_lo
	s_clause 0x1
	global_load_b32 v5, v[1:2], off
	global_load_b32 v7, v[3:4], off
	s_or_b32 s6, s12, 32
	v_lshlrev_b32_e32 v1, 4, v0
	s_ashr_i32 s7, s6, 4
	s_cmp_lt_i32 s6, s24
	v_cmp_gt_u32_e32 vcc_lo, 12, v65
	s_cselect_b32 s6, s7, s3
	v_and_b32_e32 v1, 0xf0, v1
	s_ashr_i32 s7, s6, 31
	s_delay_alu instid0(SALU_CYCLE_1) | instskip(NEXT) | instid1(SALU_CYCLE_1)
	s_lshl_b64 s[6:7], s[6:7], 2
	s_add_u32 s6, s26, s6
	s_addc_u32 s7, s25, s7
	s_or_b32 s8, s12, 64
	v_add_co_u32 v1, s13, s13, v1
	s_ashr_i32 s9, s8, 4
	s_cmp_lt_i32 s8, s24
	v_add_co_ci_u32_e64 v2, null, s15, 0, s13
	s_cselect_b32 s8, s9, s3
	s_delay_alu instid0(SALU_CYCLE_1) | instskip(NEXT) | instid1(SALU_CYCLE_1)
	s_ashr_i32 s9, s8, 31
	s_lshl_b64 s[8:9], s[8:9], 2
	s_delay_alu instid0(SALU_CYCLE_1) | instskip(SKIP_2) | instid1(SALU_CYCLE_1)
	s_add_u32 s8, s26, s8
	s_addc_u32 s9, s25, s9
	s_or_b32 s10, s12, 0x60
	s_ashr_i32 s11, s10, 4
	s_cmp_lt_i32 s10, s24
	s_cselect_b32 s10, s11, s3
	s_delay_alu instid0(SALU_CYCLE_1) | instskip(NEXT) | instid1(SALU_CYCLE_1)
	s_ashr_i32 s11, s10, 31
	s_lshl_b64 s[10:11], s[10:11], 2
	s_delay_alu instid0(SALU_CYCLE_1) | instskip(SKIP_2) | instid1(SALU_CYCLE_1)
	s_add_u32 s10, s26, s10
	s_addc_u32 s11, s25, s11
	s_or_b32 s16, s12, 0x80
	s_ashr_i32 s18, s16, 4
	s_cmp_lt_i32 s16, s24
	s_cselect_b32 s20, s18, s3
	s_delay_alu instid0(SALU_CYCLE_1) | instskip(NEXT) | instid1(SALU_CYCLE_1)
	s_ashr_i32 s21, s20, 31
	s_lshl_b64 s[20:21], s[20:21], 2
	s_delay_alu instid0(SALU_CYCLE_1) | instskip(SKIP_2) | instid1(SALU_CYCLE_1)
	s_add_u32 s34, s26, s20
	s_addc_u32 s35, s25, s21
	s_or_b32 s16, s12, 0xa0
	s_ashr_i32 s18, s16, 4
	s_cmp_lt_i32 s16, s24
	s_cselect_b32 s20, s18, s3
	s_delay_alu instid0(SALU_CYCLE_1) | instskip(NEXT) | instid1(SALU_CYCLE_1)
	s_ashr_i32 s21, s20, 31
	s_lshl_b64 s[20:21], s[20:21], 2
	s_delay_alu instid0(SALU_CYCLE_1)
	s_add_u32 s36, s26, s20
	s_addc_u32 s37, s25, s21
	s_clause 0x5
	s_load_b32 s21, s[4:5], 0x0
	s_load_b32 s13, s[6:7], 0x0
	;; [unrolled: 1-line block ×6, first 2 shown]
	s_or_b32 s8, s12, 0xc0
	s_mov_b32 s4, 0
	s_ashr_i32 s9, s8, 4
	s_cmp_lt_i32 s8, s24
	s_mov_b32 s11, s4
	s_cselect_b32 s34, s9, s3
	s_mov_b32 s5, s4
	s_ashr_i32 s35, s34, 31
	s_mov_b32 s6, s4
	s_lshl_b64 s[34:35], s[34:35], 2
	s_mov_b32 s7, s4
	s_add_u32 s34, s26, s34
	s_addc_u32 s35, s25, s35
	s_or_b32 s29, s12, 0xe0
	s_mov_b32 s8, s4
	s_ashr_i32 s33, s29, 4
	s_mov_b32 s9, s4
	s_mov_b32 s10, s4
	s_cmp_lt_i32 s29, s24
	v_dual_mov_b32 v107, s11 :: v_dual_mov_b32 v100, s4
	v_mov_b32_e32 v106, s10
	v_dual_mov_b32 v104, s8 :: v_dual_mov_b32 v103, s7
	v_dual_mov_b32 v102, s6 :: v_dual_mov_b32 v101, s5
	s_waitcnt vmcnt(1)
	v_mad_i64_i32 v[3:4], null, v5, s17, v[1:2]
	s_waitcnt vmcnt(0)
	v_mad_i64_i32 v[5:6], null, v7, s17, v[1:2]
	v_add_nc_u32_e32 v1, -12, v65
	v_lshlrev_b32_e32 v2, 4, v65
	s_clause 0x7
	global_load_b128 v[49:52], v[3:4], off
	global_load_b128 v[53:56], v[3:4], off offset:256
	global_load_b128 v[76:79], v[5:6], off
	global_load_b128 v[80:83], v[5:6], off offset:256
	global_load_b128 v[84:87], v[3:4], off offset:512
	;; [unrolled: 1-line block ×5, first 2 shown]
	v_cndmask_b32_e32 v1, v1, v65, vcc_lo
	v_mov_b32_e32 v105, s9
	s_cselect_b32 s4, s33, s3
	v_lshl_or_b32 v2, v66, 8, v2
	s_ashr_i32 s5, s4, 31
	v_lshlrev_b32_e32 v70, 6, v1
	s_lshl_b64 s[4:5], s[4:5], 2
	s_load_b32 s3, s[34:35], 0x0
	s_add_u32 s4, s26, s4
	s_addc_u32 s5, s25, s5
	ds_load_b128 v[108:111], v70
	ds_load_b128 v[112:115], v70 offset:1024
	s_load_b32 s4, s[4:5], 0x0
	s_add_u32 s6, s22, s27
	s_addc_u32 s7, s23, s28
	v_add_co_u32 v9, s6, s6, v2
	s_delay_alu instid0(VALU_DEP_1) | instskip(SKIP_1) | instid1(VALU_DEP_1)
	v_add_co_ci_u32_e64 v10, null, s7, 0, s6
	s_waitcnt lgkmcnt(0)
	v_mad_i64_i32 v[1:2], null, s21, s17, v[9:10]
	v_mad_i64_i32 v[3:4], null, s13, s17, v[9:10]
	;; [unrolled: 1-line block ×7, first 2 shown]
	s_clause 0x9
	global_load_b128 v[57:60], v[1:2], off
	global_load_b128 v[61:64], v[1:2], off offset:16
	global_load_b128 v[41:44], v[3:4], off
	global_load_b128 v[45:48], v[3:4], off offset:16
	;; [unrolled: 2-line block ×5, first 2 shown]
	v_mad_i64_i32 v[68:69], null, s4, s17, v[9:10]
	s_clause 0x3
	global_load_b128 v[9:12], v[13:14], off
	global_load_b128 v[13:16], v[13:14], off offset:16
	global_load_b128 v[17:20], v[21:22], off
	global_load_b128 v[21:24], v[21:22], off offset:16
	s_waitcnt vmcnt(20)
	v_wmma_f32_16x16x16_bf16 v[116:123], v[49:56], v[108:115], v[100:107]
	s_clause 0x1
	global_load_b128 v[49:52], v[68:69], off
	global_load_b128 v[53:56], v[68:69], off offset:16
	v_and_b32_e32 v68, 0xe0, v0
	v_mbcnt_lo_u32_b32 v69, -1, 0
	s_delay_alu instid0(VALU_DEP_2)
	v_add_nc_u32_e32 v68, s12, v68
	s_waitcnt vmcnt(20)
	v_wmma_f32_16x16x16_bf16 v[100:107], v[76:83], v[108:115], v[100:107]
	ds_load_b128 v[76:79], v70 offset:2048
	ds_load_b128 v[80:83], v70 offset:3072
	v_xor_b32_e32 v70, 16, v69
	s_waitcnt vmcnt(0) lgkmcnt(0)
	v_or_b32_e32 v68, v68, v74
	s_barrier
	buffer_gl0_inv
	v_cmp_gt_i32_e32 vcc_lo, 32, v70
	v_or_b32_e32 v71, 4, v68
	v_or_b32_e32 v72, 6, v68
	v_cmp_gt_i32_e64 s3, s24, v68
	v_or_b32_e32 v108, 8, v68
	v_or_b32_e32 v109, 10, v68
	v_cmp_gt_i32_e64 s4, s24, v71
	v_cmp_gt_i32_e64 s5, s24, v72
	s_delay_alu instid0(VALU_DEP_4) | instskip(NEXT) | instid1(VALU_DEP_4)
	v_cmp_gt_i32_e64 s6, s24, v108
	v_cmp_gt_i32_e64 s7, s24, v109
	v_wmma_f32_16x16x16_bf16 v[116:123], v[84:91], v[76:83], v[116:123]
	v_cndmask_b32_e32 v69, v69, v70, vcc_lo
	v_or_b32_e32 v70, 2, v68
	v_wmma_f32_16x16x16_bf16 v[100:107], v[92:99], v[76:83], v[100:107]
	v_or_b32_e32 v89, 22, v68
	v_dual_mul_f32 v82, s19, v119 :: v_dual_mul_f32 v79, s19, v122
	v_dual_mul_f32 v92, s19, v117 :: v_dual_mul_f32 v93, s19, v116
	s_delay_alu instid0(VALU_DEP_4) | instskip(SKIP_2) | instid1(VALU_DEP_4)
	v_mul_f32_e32 v98, s19, v103
	v_cmp_gt_i32_e32 vcc_lo, s24, v70
	v_dual_mul_f32 v83, s19, v118 :: v_dual_mul_f32 v96, s19, v105
	v_cndmask_b32_e64 v93, 0xff7fffff, v93, s3
	v_or_b32_e32 v84, 12, v68
	v_cndmask_b32_e32 v92, 0xff7fffff, v92, vcc_lo
	v_or_b32_e32 v85, 14, v68
	v_dual_mul_f32 v80, s19, v121 :: v_dual_mul_f32 v81, s19, v120
	v_mul_f32_e32 v94, s19, v107
	v_cndmask_b32_e64 v71, 0xff7fffff, v83, s4
	v_cndmask_b32_e64 v72, 0xff7fffff, v82, s5
	v_cmp_gt_i32_e64 s13, s24, v89
	v_lshlrev_b32_e32 v89, 2, v69
	v_max3_f32 v82, v93, 0xff7fffff, v92
	v_or_b32_e32 v86, 16, v68
	v_or_b32_e32 v87, 18, v68
	v_mul_f32_e32 v78, s19, v123
	v_cndmask_b32_e64 v81, 0xff7fffff, v81, s6
	v_cndmask_b32_e64 v80, 0xff7fffff, v80, s7
	v_max3_f32 v71, v82, v71, v72
	v_cmp_gt_i32_e64 s8, s24, v84
	v_cmp_gt_i32_e64 s9, s24, v85
	v_or_b32_e32 v88, 20, v68
	v_or_b32_e32 v90, 24, v68
	;; [unrolled: 1-line block ×5, first 2 shown]
	v_dual_mul_f32 v95, s19, v106 :: v_dual_mul_f32 v70, s19, v101
	v_dual_mul_f32 v99, s19, v102 :: v_dual_mul_f32 v68, s19, v100
	v_cndmask_b32_e64 v72, 0xff7fffff, v79, s8
	v_cndmask_b32_e64 v78, 0xff7fffff, v78, s9
	v_max3_f32 v71, v71, v81, v80
	v_cmp_gt_i32_e64 s10, s24, v86
	v_cmp_gt_i32_e64 s11, s24, v87
	;; [unrolled: 1-line block ×3, first 2 shown]
	v_mul_f32_e32 v97, s19, v104
	v_max3_f32 v71, v71, v72, v78
	v_cndmask_b32_e64 v68, 0xff7fffff, v68, s10
	v_cndmask_b32_e64 v70, 0xff7fffff, v70, s11
	v_cndmask_b32_e64 v72, 0xff7fffff, v99, s12
	v_cndmask_b32_e64 v78, 0xff7fffff, v98, s13
	v_cmp_gt_i32_e64 s15, s24, v90
	v_cmp_gt_i32_e64 s16, s24, v91
	v_max3_f32 v68, v71, v68, v70
	v_cmp_gt_i32_e64 s17, s24, v76
	v_cmp_gt_i32_e64 s18, s24, v77
	v_cndmask_b32_e64 v70, 0xff7fffff, v97, s15
	v_cndmask_b32_e64 v71, 0xff7fffff, v96, s16
	v_max3_f32 v68, v68, v72, v78
	v_cndmask_b32_e64 v72, 0xff7fffff, v95, s17
	v_cndmask_b32_e64 v76, 0xff7fffff, v94, s18
	s_delay_alu instid0(VALU_DEP_3) | instskip(NEXT) | instid1(VALU_DEP_1)
	v_max3_f32 v68, v68, v70, v71
	v_max3_f32 v68, v68, v72, v76
	ds_bpermute_b32 v69, v89, v68
	s_waitcnt lgkmcnt(0)
	v_max_f32_e32 v69, v69, v69
	s_delay_alu instid0(VALU_DEP_1) | instskip(NEXT) | instid1(VALU_DEP_1)
	v_max_f32_e32 v68, v68, v69
	v_fma_f32 v69, s19, v116, -v68
	v_fma_f32 v70, s19, v117, -v68
	;; [unrolled: 1-line block ×5, first 2 shown]
	s_delay_alu instid0(VALU_DEP_4) | instskip(NEXT) | instid1(VALU_DEP_4)
	v_dual_mul_f32 v69, 0x3fb8aa3b, v69 :: v_dual_mul_f32 v70, 0x3fb8aa3b, v70
	v_mul_f32_e32 v72, 0x3fb8aa3b, v72
	v_fma_f32 v78, s19, v122, -v68
	s_delay_alu instid0(VALU_DEP_4) | instskip(NEXT) | instid1(VALU_DEP_4)
	v_mul_f32_e32 v77, 0x3fb8aa3b, v76
	v_exp_f32_e32 v69, v69
	v_exp_f32_e32 v70, v70
	v_mul_f32_e32 v71, 0x3fb8aa3b, v71
	v_exp_f32_e32 v72, v72
	v_mul_f32_e32 v78, 0x3fb8aa3b, v78
	v_exp_f32_e32 v77, v77
	v_fma_f32 v81, s19, v105, -v68
	s_delay_alu instid0(VALU_DEP_2)
	v_exp_f32_e32 v78, v78
	v_cndmask_b32_e64 v80, 0, v69, s3
	v_cndmask_b32_e32 v76, 0, v70, vcc_lo
	v_exp_f32_e32 v71, v71
	v_fma_f32 v69, s19, v121, -v68
	v_cndmask_b32_e64 v85, 0, v72, s5
	v_add_f32_e32 v70, 0, v80
	s_delay_alu instid0(TRANS32_DEP_3)
	v_cndmask_b32_e64 v86, 0, v77, s6
	v_fma_f32 v77, s19, v101, -v68
	v_mul_f32_e32 v69, 0x3fb8aa3b, v69
	v_fma_f32 v72, s19, v100, -v68
	v_cndmask_b32_e64 v84, 0, v78, s8
	v_fma_f32 v78, s19, v103, -v68
	v_cndmask_b32_e64 v83, 0, v71, s4
	v_fma_f32 v71, s19, v123, -v68
	v_add_f32_e32 v70, v70, v76
	v_exp_f32_e32 v69, v69
	v_mul_f32_e32 v77, 0x3fb8aa3b, v77
	v_mul_f32_e32 v81, 0x3fb8aa3b, v81
	;; [unrolled: 1-line block ×3, first 2 shown]
	v_add_f32_e32 v70, v70, v83
	s_mov_b32 s3, exec_lo
	v_exp_f32_e32 v77, v77
	v_exp_f32_e32 v81, v81
	;; [unrolled: 1-line block ×3, first 2 shown]
	v_cndmask_b32_e64 v87, 0, v69, s7
	v_add_f32_e32 v70, v70, v85
	s_delay_alu instid0(VALU_DEP_1) | instskip(SKIP_1) | instid1(VALU_DEP_2)
	v_dual_mul_f32 v72, 0x3fb8aa3b, v72 :: v_dual_add_f32 v69, v70, v86
	v_fma_f32 v70, s19, v102, -v68
	v_exp_f32_e32 v72, v72
	s_waitcnt_depctr 0xfff
	v_cndmask_b32_e64 v88, 0, v71, s9
	v_fma_f32 v71, s19, v104, -v68
	v_dual_add_f32 v69, v69, v87 :: v_dual_mul_f32 v70, 0x3fb8aa3b, v70
	s_delay_alu instid0(VALU_DEP_2) | instskip(NEXT) | instid1(VALU_DEP_2)
	v_dual_mul_f32 v78, 0x3fb8aa3b, v78 :: v_dual_mul_f32 v71, 0x3fb8aa3b, v71
	v_add_f32_e32 v69, v69, v84
	s_delay_alu instid0(VALU_DEP_3) | instskip(SKIP_1) | instid1(VALU_DEP_3)
	v_exp_f32_e32 v79, v70
	v_cndmask_b32_e64 v70, 0, v72, s10
	v_exp_f32_e32 v78, v78
	v_exp_f32_e32 v82, v71
	v_add_f32_e32 v72, v69, v88
	v_cndmask_b32_e64 v69, 0, v77, s11
	v_fma_f32 v77, s19, v106, -v68
	s_delay_alu instid0(VALU_DEP_3) | instskip(NEXT) | instid1(TRANS32_DEP_3)
	v_add_f32_e32 v72, v72, v70
	v_cndmask_b32_e64 v71, 0, v79, s12
	s_delay_alu instid0(VALU_DEP_3) | instskip(NEXT) | instid1(VALU_DEP_3)
	v_mul_f32_e32 v77, 0x3fb8aa3b, v77
	v_add_f32_e32 v79, v72, v69
	s_delay_alu instid0(TRANS32_DEP_2) | instskip(NEXT) | instid1(VALU_DEP_3)
	v_cndmask_b32_e64 v72, 0, v78, s13
	v_exp_f32_e32 v90, v77
	v_cndmask_b32_e64 v77, 0, v82, s15
	s_delay_alu instid0(VALU_DEP_3) | instskip(SKIP_1) | instid1(VALU_DEP_1)
	v_add_f32_e32 v78, v79, v71
	v_fma_f32 v79, s19, v107, -v68
	v_dual_add_f32 v82, v78, v72 :: v_dual_mul_f32 v79, 0x3fb8aa3b, v79
	v_cndmask_b32_e64 v78, 0, v81, s16
	s_delay_alu instid0(VALU_DEP_2) | instskip(NEXT) | instid1(VALU_DEP_3)
	v_add_f32_e32 v81, v82, v77
	v_exp_f32_e32 v82, v79
	s_delay_alu instid0(TRANS32_DEP_2) | instskip(NEXT) | instid1(VALU_DEP_2)
	v_cndmask_b32_e64 v79, 0, v90, s17
	v_add_f32_e32 v81, v81, v78
	s_delay_alu instid0(VALU_DEP_1) | instskip(SKIP_2) | instid1(VALU_DEP_1)
	v_add_f32_e32 v90, v81, v79
	s_waitcnt_depctr 0xfff
	v_cndmask_b32_e64 v81, 0, v82, s18
	v_add_f32_e32 v82, v90, v81
	ds_bpermute_b32 v89, v89, v82
	v_cmpx_gt_u32_e32 16, v67
	s_cbranch_execz .LBB1377_12
; %bb.11:
	v_mul_u32_u24_e32 v67, 0x44, v66
	s_delay_alu instid0(VALU_DEP_1) | instskip(SKIP_1) | instid1(VALU_DEP_1)
	v_lshl_add_u32 v67, v65, 2, v67
	s_waitcnt lgkmcnt(0)
	v_dual_add_f32 v82, v82, v89 :: v_dual_add_nc_u32 v67, 0x4000, v67
	ds_store_2addr_b32 v67, v68, v82 offset1:136
.LBB1377_12:
	s_or_b32 exec_lo, exec_lo, s3
	v_lshlrev_b32_e32 v67, 2, v65
	s_waitcnt lgkmcnt(0)
	s_barrier
	buffer_gl0_inv
	v_cmp_eq_u32_e32 vcc_lo, 1, v66
	v_add_nc_u32_e32 v82, 0x4000, v67
	v_cmp_eq_u32_e64 s3, 2, v66
	v_cmp_eq_u32_e64 s5, 7, v66
	ds_load_2addr_b32 v[89:90], v82 offset1:17
	ds_load_2addr_b32 v[91:92], v82 offset0:34 offset1:51
	ds_load_2addr_b32 v[93:94], v82 offset0:68 offset1:85
	;; [unrolled: 1-line block ×4, first 2 shown]
	s_waitcnt lgkmcnt(4)
	v_max3_f32 v67, v89, 0xff7fffff, v90
	s_waitcnt lgkmcnt(3)
	s_delay_alu instid0(VALU_DEP_1) | instskip(SKIP_1) | instid1(VALU_DEP_1)
	v_max3_f32 v67, v67, v91, v92
	s_waitcnt lgkmcnt(2)
	v_max3_f32 v67, v67, v93, v94
	s_waitcnt lgkmcnt(1)
	s_delay_alu instid0(VALU_DEP_1) | instskip(NEXT) | instid1(VALU_DEP_1)
	v_max3_f32 v67, v67, v95, v96
	v_sub_f32_e32 v93, v93, v67
	s_delay_alu instid0(VALU_DEP_1) | instskip(NEXT) | instid1(VALU_DEP_1)
	v_dual_sub_f32 v68, v89, v67 :: v_dual_mul_f32 v103, 0x3fb8aa3b, v93
	v_mul_f32_e32 v68, 0x3fb8aa3b, v68
	s_delay_alu instid0(VALU_DEP_1)
	v_exp_f32_e32 v100, v68
	v_sub_f32_e32 v68, v92, v67
	v_sub_f32_e32 v99, v90, v67
	ds_load_2addr_b32 v[89:90], v82 offset0:170 offset1:187
	v_dual_mul_f32 v102, 0x3fb8aa3b, v68 :: v_dual_mul_f32 v99, 0x3fb8aa3b, v99
	s_waitcnt lgkmcnt(1)
	v_fma_f32 v68, v100, v97, 0
	s_delay_alu instid0(VALU_DEP_2) | instskip(NEXT) | instid1(VALU_DEP_2)
	v_exp_f32_e32 v102, v102
	v_exp_f32_e32 v99, v99
	s_waitcnt_depctr 0xfff
	v_fmac_f32_e32 v68, v99, v98
	v_sub_f32_e32 v91, v91, v67
	s_delay_alu instid0(VALU_DEP_1)
	v_mul_f32_e32 v101, 0x3fb8aa3b, v91
	ds_load_2addr_b32 v[91:92], v82 offset0:204 offset1:221
	v_sub_f32_e32 v97, v94, v67
	ds_load_2addr_b32 v[93:94], v82 offset0:238 offset1:255
	s_waitcnt lgkmcnt(0)
	v_exp_f32_e32 v101, v101
	s_barrier
	buffer_gl0_inv
	v_dual_fmac_f32 v68, v101, v89 :: v_dual_sub_f32 v89, v96, v67
	v_dual_sub_f32 v82, v95, v67 :: v_dual_mul_f32 v95, 0x3fb8aa3b, v97
	v_exp_f32_e32 v97, v103
	s_delay_alu instid0(VALU_DEP_2) | instskip(NEXT) | instid1(VALU_DEP_2)
	v_dual_fmac_f32 v68, v102, v90 :: v_dual_mul_f32 v89, 0x3fb8aa3b, v89
	v_mul_f32_e32 v82, 0x3fb8aa3b, v82
	s_delay_alu instid0(VALU_DEP_3) | instskip(NEXT) | instid1(VALU_DEP_2)
	v_exp_f32_e32 v95, v95
	v_exp_f32_e32 v89, v89
	s_delay_alu instid0(VALU_DEP_1)
	v_exp_f32_e32 v82, v82
	v_fmac_f32_e32 v68, v97, v91
	s_delay_alu instid0(TRANS32_DEP_3) | instid1(VALU_DEP_1)
	v_fmac_f32_e32 v68, v95, v92
	s_waitcnt_depctr 0xfff
	v_fmac_f32_e32 v68, v82, v93
	s_delay_alu instid0(VALU_DEP_1) | instskip(NEXT) | instid1(VALU_DEP_1)
	v_fmac_f32_e32 v68, v89, v94
	v_add_f32_e32 v90, 0x358637bd, v68
	s_delay_alu instid0(VALU_DEP_1) | instskip(NEXT) | instid1(VALU_DEP_1)
	v_div_scale_f32 v91, null, v90, v90, 1.0
	v_rcp_f32_e32 v92, v91
	s_waitcnt_depctr 0xfff
	v_fma_f32 v93, -v91, v92, 1.0
	s_delay_alu instid0(VALU_DEP_1) | instskip(SKIP_1) | instid1(VALU_DEP_2)
	v_dual_fmac_f32 v92, v93, v92 :: v_dual_cndmask_b32 v93, v100, v99
	v_cmp_eq_u32_e32 vcc_lo, 3, v66
	v_cndmask_b32_e64 v93, v93, v101, s3
	v_cmp_eq_u32_e64 s3, 4, v66
	s_delay_alu instid0(VALU_DEP_2) | instskip(SKIP_1) | instid1(VALU_DEP_2)
	v_cndmask_b32_e32 v93, v93, v102, vcc_lo
	v_cmp_eq_u32_e32 vcc_lo, 5, v66
	v_cndmask_b32_e64 v93, v93, v97, s3
	v_cmp_eq_u32_e64 s3, 6, v66
	s_delay_alu instid0(VALU_DEP_2) | instskip(SKIP_1) | instid1(VALU_DEP_1)
	v_cndmask_b32_e32 v93, v93, v95, vcc_lo
	v_div_scale_f32 v94, s4, 1.0, v90, 1.0
	s_mov_b32 vcc_lo, s4
	s_delay_alu instid0(VALU_DEP_2) | instskip(NEXT) | instid1(VALU_DEP_2)
	v_cndmask_b32_e64 v82, v93, v82, s3
	v_mul_f32_e32 v96, v94, v92
	s_mov_b32 s3, exec_lo
	s_delay_alu instid0(VALU_DEP_2) | instskip(NEXT) | instid1(VALU_DEP_2)
	v_cndmask_b32_e64 v82, v82, v89, s5
	v_fma_f32 v98, -v91, v96, v94
	s_delay_alu instid0(VALU_DEP_1) | instskip(NEXT) | instid1(VALU_DEP_1)
	v_fmac_f32_e32 v96, v98, v92
	v_fma_f32 v91, -v91, v96, v94
	s_delay_alu instid0(VALU_DEP_1) | instskip(NEXT) | instid1(VALU_DEP_1)
	v_div_fmas_f32 v91, v91, v92, v96
	v_div_fixup_f32 v90, v91, v90, 1.0
	s_delay_alu instid0(VALU_DEP_1) | instskip(NEXT) | instid1(VALU_DEP_1)
	v_mul_f32_e32 v82, v82, v90
	v_mul_f32_e32 v87, v82, v87
	;; [unrolled: 1-line block ×7, first 2 shown]
	v_dual_mul_f32 v86, v82, v83 :: v_dual_and_b32 v91, 0x7f800000, v90
	v_mul_f32_e32 v85, v82, v76
                                        ; implicit-def: $vgpr76
	s_delay_alu instid0(VALU_DEP_2)
	v_cmpx_ne_u32_e32 0x7f800000, v91
	s_xor_b32 s3, exec_lo, s3
; %bb.13:
	v_bfe_u32 v76, v90, 16, 1
	s_delay_alu instid0(VALU_DEP_1)
	v_add3_u32 v76, v90, v76, 0x7fff
                                        ; implicit-def: $vgpr90
; %bb.14:
	s_and_not1_saveexec_b32 s3, s3
; %bb.15:
	v_and_b32_e32 v76, 0xffff, v90
	v_or_b32_e32 v83, 0x10000, v90
	s_delay_alu instid0(VALU_DEP_2) | instskip(NEXT) | instid1(VALU_DEP_2)
	v_cmp_eq_u32_e32 vcc_lo, 0, v76
	v_cndmask_b32_e32 v76, v83, v90, vcc_lo
; %bb.16:
	s_or_b32 exec_lo, exec_lo, s3
	v_and_b32_e32 v83, 0x7f800000, v85
	s_delay_alu instid0(VALU_DEP_1) | instskip(SKIP_1) | instid1(SALU_CYCLE_1)
	v_cmp_ne_u32_e32 vcc_lo, 0x7f800000, v83
                                        ; implicit-def: $vgpr83
	s_and_saveexec_b32 s3, vcc_lo
	s_xor_b32 s3, exec_lo, s3
; %bb.17:
	v_bfe_u32 v83, v85, 16, 1
	s_delay_alu instid0(VALU_DEP_1)
	v_add3_u32 v83, v85, v83, 0x7fff
                                        ; implicit-def: $vgpr85
; %bb.18:
	s_and_not1_saveexec_b32 s3, s3
; %bb.19:
	v_and_b32_e32 v83, 0xffff, v85
	v_or_b32_e32 v90, 0x10000, v85
	s_delay_alu instid0(VALU_DEP_2) | instskip(NEXT) | instid1(VALU_DEP_2)
	v_cmp_eq_u32_e32 vcc_lo, 0, v83
	v_cndmask_b32_e32 v83, v90, v85, vcc_lo
; %bb.20:
	s_or_b32 exec_lo, exec_lo, s3
	v_and_b32_e32 v85, 0x7f800000, v86
	s_delay_alu instid0(VALU_DEP_1) | instskip(SKIP_1) | instid1(SALU_CYCLE_1)
	v_cmp_ne_u32_e32 vcc_lo, 0x7f800000, v85
                                        ; implicit-def: $vgpr85
	s_and_saveexec_b32 s3, vcc_lo
	s_xor_b32 s3, exec_lo, s3
; %bb.21:
	v_bfe_u32 v85, v86, 16, 1
	s_delay_alu instid0(VALU_DEP_1)
	v_add3_u32 v85, v86, v85, 0x7fff
                                        ; implicit-def: $vgpr86
; %bb.22:
	s_and_not1_saveexec_b32 s3, s3
; %bb.23:
	v_and_b32_e32 v85, 0xffff, v86
	v_or_b32_e32 v90, 0x10000, v86
	s_delay_alu instid0(VALU_DEP_2) | instskip(NEXT) | instid1(VALU_DEP_2)
	v_cmp_eq_u32_e32 vcc_lo, 0, v85
	v_cndmask_b32_e32 v85, v90, v86, vcc_lo
; %bb.24:
	s_or_b32 exec_lo, exec_lo, s3
	v_and_b32_e32 v86, 0x7f800000, v89
	s_delay_alu instid0(VALU_DEP_1) | instskip(SKIP_1) | instid1(SALU_CYCLE_1)
	v_cmp_ne_u32_e32 vcc_lo, 0x7f800000, v86
                                        ; implicit-def: $vgpr86
	s_and_saveexec_b32 s3, vcc_lo
	s_xor_b32 s3, exec_lo, s3
; %bb.25:
	v_bfe_u32 v86, v89, 16, 1
	s_delay_alu instid0(VALU_DEP_1)
	v_add3_u32 v86, v89, v86, 0x7fff
                                        ; implicit-def: $vgpr89
; %bb.26:
	s_and_not1_saveexec_b32 s3, s3
; %bb.27:
	v_and_b32_e32 v86, 0xffff, v89
	v_or_b32_e32 v90, 0x10000, v89
	s_delay_alu instid0(VALU_DEP_2) | instskip(NEXT) | instid1(VALU_DEP_2)
	v_cmp_eq_u32_e32 vcc_lo, 0, v86
	v_cndmask_b32_e32 v86, v90, v89, vcc_lo
; %bb.28:
	s_or_b32 exec_lo, exec_lo, s3
	v_and_b32_e32 v89, 0x7f800000, v88
	s_delay_alu instid0(VALU_DEP_1) | instskip(SKIP_1) | instid1(SALU_CYCLE_1)
	v_cmp_ne_u32_e32 vcc_lo, 0x7f800000, v89
                                        ; implicit-def: $vgpr89
	s_and_saveexec_b32 s3, vcc_lo
	s_xor_b32 s3, exec_lo, s3
; %bb.29:
	v_bfe_u32 v89, v88, 16, 1
	s_delay_alu instid0(VALU_DEP_1)
	v_add3_u32 v89, v88, v89, 0x7fff
                                        ; implicit-def: $vgpr88
; %bb.30:
	s_and_not1_saveexec_b32 s3, s3
; %bb.31:
	v_and_b32_e32 v89, 0xffff, v88
	v_or_b32_e32 v90, 0x10000, v88
	s_delay_alu instid0(VALU_DEP_2) | instskip(NEXT) | instid1(VALU_DEP_2)
	v_cmp_eq_u32_e32 vcc_lo, 0, v89
	v_cndmask_b32_e32 v89, v90, v88, vcc_lo
; %bb.32:
	s_or_b32 exec_lo, exec_lo, s3
	v_and_b32_e32 v88, 0x7f800000, v87
	s_delay_alu instid0(VALU_DEP_1) | instskip(SKIP_1) | instid1(SALU_CYCLE_1)
	v_cmp_ne_u32_e32 vcc_lo, 0x7f800000, v88
                                        ; implicit-def: $vgpr88
	s_and_saveexec_b32 s3, vcc_lo
	s_xor_b32 s3, exec_lo, s3
; %bb.33:
	v_bfe_u32 v88, v87, 16, 1
	s_delay_alu instid0(VALU_DEP_1)
	v_add3_u32 v88, v87, v88, 0x7fff
                                        ; implicit-def: $vgpr87
; %bb.34:
	s_and_not1_saveexec_b32 s3, s3
; %bb.35:
	v_and_b32_e32 v88, 0xffff, v87
	v_or_b32_e32 v90, 0x10000, v87
	s_delay_alu instid0(VALU_DEP_2) | instskip(NEXT) | instid1(VALU_DEP_2)
	v_cmp_eq_u32_e32 vcc_lo, 0, v88
	v_cndmask_b32_e32 v88, v90, v87, vcc_lo
; %bb.36:
	s_or_b32 exec_lo, exec_lo, s3
	v_and_b32_e32 v87, 0x7f800000, v84
	s_delay_alu instid0(VALU_DEP_1) | instskip(SKIP_1) | instid1(SALU_CYCLE_1)
	v_cmp_ne_u32_e32 vcc_lo, 0x7f800000, v87
                                        ; implicit-def: $vgpr87
	s_and_saveexec_b32 s3, vcc_lo
	s_xor_b32 s3, exec_lo, s3
; %bb.37:
	v_bfe_u32 v87, v84, 16, 1
	s_delay_alu instid0(VALU_DEP_1)
	v_add3_u32 v87, v84, v87, 0x7fff
                                        ; implicit-def: $vgpr84
; %bb.38:
	s_and_not1_saveexec_b32 s3, s3
; %bb.39:
	v_and_b32_e32 v87, 0xffff, v84
	v_or_b32_e32 v90, 0x10000, v84
	s_delay_alu instid0(VALU_DEP_2) | instskip(NEXT) | instid1(VALU_DEP_2)
	v_cmp_eq_u32_e32 vcc_lo, 0, v87
	v_cndmask_b32_e32 v87, v90, v84, vcc_lo
; %bb.40:
	s_or_b32 exec_lo, exec_lo, s3
	v_and_b32_e32 v84, 0x7f800000, v80
	s_delay_alu instid0(VALU_DEP_1) | instskip(SKIP_1) | instid1(SALU_CYCLE_1)
	v_cmp_ne_u32_e32 vcc_lo, 0x7f800000, v84
                                        ; implicit-def: $vgpr84
	s_and_saveexec_b32 s3, vcc_lo
	s_xor_b32 s3, exec_lo, s3
; %bb.41:
	v_bfe_u32 v84, v80, 16, 1
	s_delay_alu instid0(VALU_DEP_1)
	v_add3_u32 v84, v80, v84, 0x7fff
                                        ; implicit-def: $vgpr80
; %bb.42:
	s_and_not1_saveexec_b32 s3, s3
; %bb.43:
	v_and_b32_e32 v84, 0xffff, v80
	v_or_b32_e32 v90, 0x10000, v80
	s_delay_alu instid0(VALU_DEP_2) | instskip(NEXT) | instid1(VALU_DEP_2)
	v_cmp_eq_u32_e32 vcc_lo, 0, v84
	v_cndmask_b32_e32 v84, v90, v80, vcc_lo
; %bb.44:
	s_or_b32 exec_lo, exec_lo, s3
	s_load_b64 s[34:35], s[0:1], 0x94
	v_lshlrev_b32_e32 v91, 4, v74
	s_delay_alu instid0(VALU_DEP_2)
	v_perm_b32 v90, v84, v87, 0x7060302
	v_dual_mul_f32 v79, v82, v79 :: v_dual_lshlrev_b32 v80, 6, v65
	v_dual_mul_f32 v77, v82, v77 :: v_dual_lshlrev_b32 v92, 11, v66
	v_mul_f32_e32 v84, v82, v70
	v_perm_b32 v89, v88, v89, 0x7060302
	v_perm_b32 v88, v86, v85, 0x7060302
	;; [unrolled: 1-line block ×3, first 2 shown]
	v_mul_f32_e32 v70, v82, v81
	v_or3_b32 v76, v91, v92, v80
	v_dual_mul_f32 v78, v82, v78 :: v_dual_and_b32 v85, 0x7f800000, v84
	v_mul_f32_e32 v83, v82, v72
	v_mul_f32_e32 v81, v82, v71
	;; [unrolled: 1-line block ×3, first 2 shown]
	s_mov_b32 s3, exec_lo
	ds_store_b128 v76, v[87:90]
                                        ; implicit-def: $vgpr69
	v_cmpx_ne_u32_e32 0x7f800000, v85
	s_xor_b32 s3, exec_lo, s3
; %bb.45:
	v_bfe_u32 v69, v84, 16, 1
	s_delay_alu instid0(VALU_DEP_1)
	v_add3_u32 v69, v84, v69, 0x7fff
                                        ; implicit-def: $vgpr84
; %bb.46:
	s_and_not1_saveexec_b32 s3, s3
; %bb.47:
	v_and_b32_e32 v69, 0xffff, v84
	v_or_b32_e32 v71, 0x10000, v84
	s_delay_alu instid0(VALU_DEP_2) | instskip(NEXT) | instid1(VALU_DEP_2)
	v_cmp_eq_u32_e32 vcc_lo, 0, v69
	v_cndmask_b32_e32 v69, v71, v84, vcc_lo
; %bb.48:
	s_or_b32 exec_lo, exec_lo, s3
	v_and_b32_e32 v71, 0x7f800000, v72
	s_delay_alu instid0(VALU_DEP_1) | instskip(SKIP_1) | instid1(SALU_CYCLE_1)
	v_cmp_ne_u32_e32 vcc_lo, 0x7f800000, v71
                                        ; implicit-def: $vgpr71
	s_and_saveexec_b32 s3, vcc_lo
	s_xor_b32 s3, exec_lo, s3
; %bb.49:
	v_bfe_u32 v71, v72, 16, 1
	s_delay_alu instid0(VALU_DEP_1)
	v_add3_u32 v71, v72, v71, 0x7fff
                                        ; implicit-def: $vgpr72
; %bb.50:
	s_and_not1_saveexec_b32 s3, s3
; %bb.51:
	v_and_b32_e32 v71, 0xffff, v72
	v_or_b32_e32 v82, 0x10000, v72
	s_delay_alu instid0(VALU_DEP_2) | instskip(NEXT) | instid1(VALU_DEP_2)
	v_cmp_eq_u32_e32 vcc_lo, 0, v71
	v_cndmask_b32_e32 v71, v82, v72, vcc_lo
; %bb.52:
	s_or_b32 exec_lo, exec_lo, s3
	v_and_b32_e32 v72, 0x7f800000, v81
	s_delay_alu instid0(VALU_DEP_1) | instskip(SKIP_1) | instid1(SALU_CYCLE_1)
	v_cmp_ne_u32_e32 vcc_lo, 0x7f800000, v72
                                        ; implicit-def: $vgpr72
	s_and_saveexec_b32 s3, vcc_lo
	s_xor_b32 s3, exec_lo, s3
; %bb.53:
	v_bfe_u32 v72, v81, 16, 1
	s_delay_alu instid0(VALU_DEP_1)
	v_add3_u32 v72, v81, v72, 0x7fff
                                        ; implicit-def: $vgpr81
; %bb.54:
	s_and_not1_saveexec_b32 s3, s3
; %bb.55:
	v_and_b32_e32 v72, 0xffff, v81
	v_or_b32_e32 v82, 0x10000, v81
	s_delay_alu instid0(VALU_DEP_2) | instskip(NEXT) | instid1(VALU_DEP_2)
	v_cmp_eq_u32_e32 vcc_lo, 0, v72
	v_cndmask_b32_e32 v72, v82, v81, vcc_lo
; %bb.56:
	s_or_b32 exec_lo, exec_lo, s3
	v_and_b32_e32 v81, 0x7f800000, v83
	s_delay_alu instid0(VALU_DEP_1) | instskip(SKIP_1) | instid1(SALU_CYCLE_1)
	v_cmp_ne_u32_e32 vcc_lo, 0x7f800000, v81
                                        ; implicit-def: $vgpr81
	s_and_saveexec_b32 s3, vcc_lo
	s_xor_b32 s3, exec_lo, s3
; %bb.57:
	v_bfe_u32 v81, v83, 16, 1
	s_delay_alu instid0(VALU_DEP_1)
	v_add3_u32 v81, v83, v81, 0x7fff
                                        ; implicit-def: $vgpr83
; %bb.58:
	s_and_not1_saveexec_b32 s3, s3
; %bb.59:
	v_and_b32_e32 v81, 0xffff, v83
	v_or_b32_e32 v82, 0x10000, v83
	s_delay_alu instid0(VALU_DEP_2) | instskip(NEXT) | instid1(VALU_DEP_2)
	v_cmp_eq_u32_e32 vcc_lo, 0, v81
	v_cndmask_b32_e32 v81, v82, v83, vcc_lo
; %bb.60:
	s_or_b32 exec_lo, exec_lo, s3
	v_and_b32_e32 v82, 0x7f800000, v77
	s_delay_alu instid0(VALU_DEP_1) | instskip(SKIP_1) | instid1(SALU_CYCLE_1)
	v_cmp_ne_u32_e32 vcc_lo, 0x7f800000, v82
                                        ; implicit-def: $vgpr82
	s_and_saveexec_b32 s3, vcc_lo
	s_xor_b32 s3, exec_lo, s3
; %bb.61:
	v_bfe_u32 v82, v77, 16, 1
	s_delay_alu instid0(VALU_DEP_1)
	v_add3_u32 v82, v77, v82, 0x7fff
                                        ; implicit-def: $vgpr77
; %bb.62:
	s_and_not1_saveexec_b32 s3, s3
; %bb.63:
	v_and_b32_e32 v82, 0xffff, v77
	v_or_b32_e32 v83, 0x10000, v77
	s_delay_alu instid0(VALU_DEP_2) | instskip(NEXT) | instid1(VALU_DEP_2)
	v_cmp_eq_u32_e32 vcc_lo, 0, v82
	v_cndmask_b32_e32 v82, v83, v77, vcc_lo
; %bb.64:
	s_or_b32 exec_lo, exec_lo, s3
	v_and_b32_e32 v77, 0x7f800000, v78
	s_delay_alu instid0(VALU_DEP_1) | instskip(SKIP_1) | instid1(SALU_CYCLE_1)
	v_cmp_ne_u32_e32 vcc_lo, 0x7f800000, v77
                                        ; implicit-def: $vgpr77
	s_and_saveexec_b32 s3, vcc_lo
	s_xor_b32 s3, exec_lo, s3
; %bb.65:
	v_bfe_u32 v77, v78, 16, 1
	s_delay_alu instid0(VALU_DEP_1)
	v_add3_u32 v77, v78, v77, 0x7fff
                                        ; implicit-def: $vgpr78
; %bb.66:
	s_and_not1_saveexec_b32 s3, s3
; %bb.67:
	v_and_b32_e32 v77, 0xffff, v78
	v_or_b32_e32 v83, 0x10000, v78
	s_delay_alu instid0(VALU_DEP_2) | instskip(NEXT) | instid1(VALU_DEP_2)
	v_cmp_eq_u32_e32 vcc_lo, 0, v77
	v_cndmask_b32_e32 v77, v83, v78, vcc_lo
; %bb.68:
	s_or_b32 exec_lo, exec_lo, s3
	v_and_b32_e32 v78, 0x7f800000, v79
	s_delay_alu instid0(VALU_DEP_1) | instskip(SKIP_1) | instid1(SALU_CYCLE_1)
	v_cmp_ne_u32_e32 vcc_lo, 0x7f800000, v78
                                        ; implicit-def: $vgpr78
	s_and_saveexec_b32 s3, vcc_lo
	s_xor_b32 s3, exec_lo, s3
; %bb.69:
	v_bfe_u32 v78, v79, 16, 1
	s_delay_alu instid0(VALU_DEP_1)
	v_add3_u32 v78, v79, v78, 0x7fff
                                        ; implicit-def: $vgpr79
; %bb.70:
	s_and_not1_saveexec_b32 s3, s3
; %bb.71:
	v_and_b32_e32 v78, 0xffff, v79
	v_or_b32_e32 v83, 0x10000, v79
	s_delay_alu instid0(VALU_DEP_2) | instskip(NEXT) | instid1(VALU_DEP_2)
	v_cmp_eq_u32_e32 vcc_lo, 0, v78
	v_cndmask_b32_e32 v78, v83, v79, vcc_lo
; %bb.72:
	s_or_b32 exec_lo, exec_lo, s3
	v_and_b32_e32 v79, 0x7f800000, v70
	s_delay_alu instid0(VALU_DEP_1) | instskip(SKIP_1) | instid1(SALU_CYCLE_1)
	v_cmp_ne_u32_e32 vcc_lo, 0x7f800000, v79
                                        ; implicit-def: $vgpr79
	s_and_saveexec_b32 s3, vcc_lo
	s_xor_b32 s3, exec_lo, s3
; %bb.73:
	v_bfe_u32 v79, v70, 16, 1
	s_delay_alu instid0(VALU_DEP_1)
	v_add3_u32 v79, v70, v79, 0x7fff
                                        ; implicit-def: $vgpr70
; %bb.74:
	s_and_not1_saveexec_b32 s3, s3
; %bb.75:
	v_and_b32_e32 v79, 0xffff, v70
	v_or_b32_e32 v83, 0x10000, v70
	s_delay_alu instid0(VALU_DEP_2) | instskip(NEXT) | instid1(VALU_DEP_2)
	v_cmp_eq_u32_e32 vcc_lo, 0, v79
	v_cndmask_b32_e32 v79, v83, v70, vcc_lo
; %bb.76:
	s_or_b32 exec_lo, exec_lo, s3
	s_delay_alu instid0(VALU_DEP_1)
	v_perm_b32 v86, v79, v78, 0x7060302
	v_perm_b32 v85, v77, v82, 0x7060302
	;; [unrolled: 1-line block ×4, first 2 shown]
	v_lshl_or_b32 v82, v66, 11, v80
	ds_store_b128 v76, v[83:86] offset:1024
	s_waitcnt lgkmcnt(0)
	s_barrier
	buffer_gl0_inv
	ds_load_b128 v[69:72], v82
	ds_load_b128 v[83:86], v82 offset:16
	s_waitcnt lgkmcnt(1)
	v_lshrrev_b32_e32 v66, 16, v69
	s_waitcnt lgkmcnt(0)
	v_lshrrev_b32_e32 v91, 16, v83
	v_lshlrev_b32_e32 v78, 2, v74
	v_lshrrev_b32_e32 v95, 16, v70
	v_lshrrev_b32_e32 v98, 16, v84
	;; [unrolled: 1-line block ×4, first 2 shown]
	v_cmp_eq_u32_e32 vcc_lo, 1, v78
	v_lshrrev_b32_e32 v97, 16, v72
	v_lshrrev_b32_e32 v100, 16, v86
	v_cndmask_b32_e32 v87, v83, v91, vcc_lo
	v_or_b32_e32 v79, 1, v78
	v_cndmask_b32_e32 v81, v69, v66, vcc_lo
	v_cmp_eq_u32_e64 s4, 2, v78
	v_cmp_eq_u32_e64 s7, 3, v78
	;; [unrolled: 1-line block ×5, first 2 shown]
	v_cndmask_b32_e64 v81, v81, v70, s4
	v_cndmask_b32_e64 v87, v87, v84, s4
	v_cmp_eq_u32_e64 s8, 3, v79
	v_cndmask_b32_e64 v88, v69, v66, s3
	v_or_b32_e32 v77, 2, v78
	v_cndmask_b32_e64 v81, v81, v95, s7
	v_cndmask_b32_e64 v87, v87, v98, s7
	;; [unrolled: 1-line block ×4, first 2 shown]
	v_cmp_eq_u32_e64 s10, 5, v78
	v_cndmask_b32_e64 v81, v81, v71, s9
	v_cndmask_b32_e64 v87, v87, v85, s9
	v_cmp_eq_u32_e64 s11, 4, v79
	v_cndmask_b32_e64 v88, v88, v95, s8
	v_cmp_eq_u32_e64 s5, 1, v77
	v_cndmask_b32_e64 v89, v89, v84, s6
	v_cndmask_b32_e64 v81, v81, v96, s10
	v_cmp_eq_u32_e64 s12, 6, v78
	v_cndmask_b32_e64 v88, v88, v71, s11
	;; [unrolled: 3-line block ×3, first 2 shown]
	v_cndmask_b32_e64 v89, v89, v98, s8
	v_cndmask_b32_e64 v81, v81, v72, s12
	v_cmp_eq_u32_e64 s15, 7, v78
	v_cndmask_b32_e64 v88, v88, v96, s13
	v_cndmask_b32_e64 v87, v87, v86, s12
	v_cmp_eq_u32_e64 s16, 6, v79
	v_cmp_eq_u32_e64 s17, 2, v77
	v_cndmask_b32_e64 v89, v89, v85, s11
	v_cndmask_b32_e64 v101, v81, v97, s15
	;; [unrolled: 1-line block ×6, first 2 shown]
	v_cmp_eq_u32_e64 s18, 7, v79
	v_cmp_eq_u32_e64 s19, 3, v77
	;; [unrolled: 1-line block ×4, first 2 shown]
	v_cndmask_b32_e64 v87, v87, v84, s17
	v_cndmask_b32_e64 v103, v88, v97, s18
	;; [unrolled: 1-line block ×4, first 2 shown]
	v_or_b32_e32 v81, 3, v78
	v_cndmask_b32_e64 v93, v87, v98, s19
	v_cmp_eq_u32_e64 s24, 6, v77
	v_cndmask_b32_e64 v104, v88, v86, s16
	v_cndmask_b32_e64 v92, v89, v71, s20
	v_cmp_eq_u32_e64 s21, 1, v81
	ds_load_b128 v[87:90], v82 offset:1024
	v_cmp_eq_u32_e64 s23, 2, v81
	v_cmp_eq_u32_e64 s25, 3, v81
	v_cndmask_b32_e64 v105, v92, v96, s22
	v_cndmask_b32_e64 v66, v69, v66, s21
	;; [unrolled: 1-line block ×4, first 2 shown]
	ds_load_b128 v[91:94], v82 offset:1040
	v_cmp_eq_u32_e64 s26, 4, v81
	v_cndmask_b32_e64 v66, v66, v70, s23
	v_cmp_eq_u32_e64 s27, 7, v77
	v_cndmask_b32_e64 v70, v83, v84, s23
	v_cndmask_b32_e64 v84, v105, v72, s24
	v_cmp_eq_u32_e64 s28, 5, v81
	v_cndmask_b32_e64 v66, v66, v95, s25
	v_cmp_eq_u32_e64 s29, 6, v81
	v_cndmask_b32_e64 v70, v70, v98, s25
	v_cndmask_b32_e64 v69, v69, v99, s22
	;; [unrolled: 1-line block ×4, first 2 shown]
	s_waitcnt lgkmcnt(1)
	v_lshrrev_b32_e32 v95, 16, v87
	v_cndmask_b32_e64 v70, v70, v85, s26
	v_cndmask_b32_e64 v71, v84, v97, s27
	;; [unrolled: 1-line block ×4, first 2 shown]
	v_cndmask_b32_e32 v84, v87, v95, vcc_lo
	v_cndmask_b32_e64 v70, v70, v99, s28
	s_waitcnt lgkmcnt(0)
	v_lshrrev_b32_e32 v85, 16, v91
	v_lshrrev_b32_e32 v96, 16, v88
	v_cndmask_b32_e64 v98, v87, v95, s3
	v_cndmask_b32_e64 v84, v84, v88, s4
	;; [unrolled: 1-line block ×3, first 2 shown]
	v_cndmask_b32_e32 v99, v91, v85, vcc_lo
	v_cmp_eq_u32_e32 vcc_lo, 7, v81
	v_cndmask_b32_e64 v66, v66, v72, s29
	v_cndmask_b32_e64 v72, v84, v96, s7
	;; [unrolled: 1-line block ×3, first 2 shown]
	v_lshrrev_b32_e32 v98, 16, v92
	v_cndmask_b32_e32 v70, v70, v100, vcc_lo
	v_cndmask_b32_e64 v86, v99, v92, s4
	v_cndmask_b32_e64 v69, v69, v100, s27
	v_lshrrev_b32_e32 v100, 16, v93
	v_cndmask_b32_e64 v72, v72, v89, s9
	v_lshrrev_b32_e32 v99, 16, v89
	v_cndmask_b32_e64 v86, v86, v98, s7
	v_perm_b32 v71, v69, v71, 0x5040100
	v_cndmask_b32_e64 v84, v84, v96, s8
	s_delay_alu instid0(VALU_DEP_3) | instskip(NEXT) | instid1(VALU_DEP_2)
	v_cndmask_b32_e64 v86, v86, v93, s9
	v_cndmask_b32_e64 v84, v84, v89, s11
	s_delay_alu instid0(VALU_DEP_2) | instskip(NEXT) | instid1(VALU_DEP_1)
	v_cndmask_b32_e64 v86, v86, v100, s10
	v_cndmask_b32_e64 v69, v86, v94, s12
	;; [unrolled: 1-line block ×5, first 2 shown]
	s_delay_alu instid0(VALU_DEP_3) | instskip(NEXT) | instid1(VALU_DEP_3)
	v_cndmask_b32_e64 v86, v86, v88, s17
	v_cndmask_b32_e64 v87, v87, v88, s23
	s_delay_alu instid0(VALU_DEP_3) | instskip(NEXT) | instid1(VALU_DEP_3)
	v_cndmask_b32_e64 v88, v95, v92, s23
	v_cndmask_b32_e64 v86, v86, v96, s19
	;; [unrolled: 3-line block ×7, first 2 shown]
	s_delay_alu instid0(VALU_DEP_3) | instskip(SKIP_2) | instid1(VALU_DEP_2)
	v_cndmask_b32_e64 v88, v88, v94, s29
	v_cndmask_b32_e32 v66, v66, v97, vcc_lo
	v_cndmask_b32_e64 v97, v72, v99, s10
	v_perm_b32 v72, v70, v66, 0x5040100
	v_perm_b32 v70, v83, v103, 0x5040100
	v_cndmask_b32_e64 v103, v91, v85, s5
	v_cndmask_b32_e64 v85, v91, v85, s3
	;; [unrolled: 1-line block ×4, first 2 shown]
	v_lshrrev_b32_e32 v97, 16, v90
	v_cndmask_b32_e64 v91, v103, v92, s17
	v_cndmask_b32_e64 v85, v85, v92, s6
	;; [unrolled: 1-line block ×3, first 2 shown]
	s_mov_b32 s3, exec_lo
	v_cndmask_b32_e64 v83, v84, v97, s15
	v_cndmask_b32_e64 v91, v91, v98, s19
	;; [unrolled: 1-line block ×3, first 2 shown]
	v_lshrrev_b32_e32 v84, 16, v94
	v_cndmask_b32_e64 v66, v66, v97, s18
	v_cndmask_b32_e64 v90, v86, v97, s27
	;; [unrolled: 1-line block ×4, first 2 shown]
	v_dual_cndmask_b32 v86, v87, v97 :: v_dual_cndmask_b32 v87, v88, v84
	v_cndmask_b32_e64 v91, v69, v84, s15
	s_delay_alu instid0(VALU_DEP_4) | instskip(NEXT) | instid1(VALU_DEP_4)
	v_cndmask_b32_e64 v89, v89, v100, s22
	v_cndmask_b32_e64 v85, v85, v100, s13
	v_perm_b32 v69, v102, v101, 0x5040100
	v_perm_b32 v86, v87, v86, 0x5040100
	;; [unrolled: 1-line block ×3, first 2 shown]
	v_cndmask_b32_e64 v89, v89, v94, s24
	v_cndmask_b32_e64 v85, v85, v94, s16
	s_mul_i32 s8, s35, 12
	s_delay_alu instid0(VALU_DEP_2) | instskip(NEXT) | instid1(VALU_DEP_2)
	v_cndmask_b32_e64 v88, v89, v84, s27
	v_cndmask_b32_e64 v89, v85, v84, s18
	s_delay_alu instid0(VALU_DEP_2) | instskip(NEXT) | instid1(VALU_DEP_2)
	v_perm_b32 v85, v88, v90, 0x5040100
	v_perm_b32 v84, v89, v66, 0x5040100
	ds_store_b128 v76, v[69:72]
	ds_store_b128 v76, v[83:86] offset:1024
	v_cmpx_gt_u32_e32 12, v0
	s_cbranch_execz .LBB1377_78
; %bb.77:
	s_mul_i32 s4, s8, s30
	s_delay_alu instid0(SALU_CYCLE_1) | instskip(SKIP_1) | instid1(VALU_DEP_1)
	v_add3_u32 v69, s4, s31, v65
	s_load_b128 s[4:7], s[0:1], 0x58
	v_mad_u64_u32 v[65:66], null, v69, s34, s[14:15]
	s_delay_alu instid0(VALU_DEP_1) | instskip(NEXT) | instid1(VALU_DEP_1)
	v_ashrrev_i32_e32 v66, 31, v65
	v_lshlrev_b64 v[65:66], 2, v[65:66]
	s_waitcnt lgkmcnt(0)
	s_delay_alu instid0(VALU_DEP_1) | instskip(NEXT) | instid1(VALU_DEP_2)
	v_add_co_u32 v69, vcc_lo, s6, v65
	v_add_co_ci_u32_e32 v70, vcc_lo, s7, v66, vcc_lo
	v_add_co_u32 v65, vcc_lo, s4, v65
	v_add_co_ci_u32_e32 v66, vcc_lo, s5, v66, vcc_lo
	global_store_b32 v[69:70], v67, off
	global_store_b32 v[65:66], v68, off
.LBB1377_78:
	s_or_b32 exec_lo, exec_lo, s3
	s_waitcnt lgkmcnt(0)
	s_waitcnt_vscnt null, 0x0
	s_barrier
	buffer_gl0_inv
	ds_load_b128 v[83:86], v80
	ds_load_b128 v[87:90], v80 offset:16
	ds_load_b128 v[95:98], v80 offset:2064
	ds_load_b128 v[91:94], v80 offset:2048
	v_mov_b32_e32 v65, 0
	ds_load_b128 v[103:106], v80 offset:4112
	ds_load_b128 v[99:102], v80 offset:4096
	;; [unrolled: 1-line block ×4, first 2 shown]
	v_mov_b32_e32 v66, v65
	v_mov_b32_e32 v67, v65
	;; [unrolled: 1-line block ×7, first 2 shown]
	s_waitcnt lgkmcnt(6)
	s_delay_alu instid0(VALU_DEP_1)
	v_wmma_f32_16x16x16_bf16 v[65:72], v[57:64], v[83:90], v[65:72]
	ds_load_b128 v[61:64], v80 offset:8208
	ds_load_b128 v[57:60], v80 offset:8192
	s_waitcnt lgkmcnt(6)
	v_wmma_f32_16x16x16_bf16 v[65:72], v[41:48], v[91:98], v[65:72]
	ds_load_b128 v[45:48], v80 offset:10256
	ds_load_b128 v[41:44], v80 offset:10240
	s_waitcnt lgkmcnt(6)
	;; [unrolled: 4-line block ×4, first 2 shown]
	v_wmma_f32_16x16x16_bf16 v[65:72], v[1:8], v[57:64], v[65:72]
	s_waitcnt lgkmcnt(4)
	s_delay_alu instid0(VALU_DEP_1) | instskip(SKIP_1) | instid1(VALU_DEP_1)
	v_wmma_f32_16x16x16_bf16 v[65:72], v[9:16], v[41:48], v[65:72]
	s_waitcnt lgkmcnt(2)
	v_wmma_f32_16x16x16_bf16 v[65:72], v[17:24], v[33:40], v[65:72]
	s_waitcnt lgkmcnt(0)
	s_delay_alu instid0(VALU_DEP_1) | instskip(NEXT) | instid1(VALU_DEP_1)
	v_wmma_f32_16x16x16_bf16 v[65:72], v[49:56], v[25:32], v[65:72]
	v_and_b32_e32 v1, 0x7f800000, v65
	s_delay_alu instid0(VALU_DEP_1) | instskip(SKIP_1) | instid1(SALU_CYCLE_1)
	v_cmp_ne_u32_e32 vcc_lo, 0x7f800000, v1
                                        ; implicit-def: $vgpr1
	s_and_saveexec_b32 s3, vcc_lo
	s_xor_b32 s3, exec_lo, s3
; %bb.79:
	v_bfe_u32 v1, v65, 16, 1
	s_delay_alu instid0(VALU_DEP_1)
	v_add3_u32 v1, v65, v1, 0x7fff
; %bb.80:
	s_and_not1_saveexec_b32 s3, s3
; %bb.81:
	v_and_b32_e32 v1, 0xffff, v65
	v_or_b32_e32 v2, 0x10000, v65
	s_delay_alu instid0(VALU_DEP_2) | instskip(NEXT) | instid1(VALU_DEP_2)
	v_cmp_eq_u32_e32 vcc_lo, 0, v1
	v_cndmask_b32_e32 v1, v2, v65, vcc_lo
; %bb.82:
	s_or_b32 exec_lo, exec_lo, s3
	v_and_b32_e32 v2, 0x7f800000, v66
	s_delay_alu instid0(VALU_DEP_1) | instskip(SKIP_1) | instid1(SALU_CYCLE_1)
	v_cmp_ne_u32_e32 vcc_lo, 0x7f800000, v2
                                        ; implicit-def: $vgpr2
	s_and_saveexec_b32 s3, vcc_lo
	s_xor_b32 s3, exec_lo, s3
; %bb.83:
	v_bfe_u32 v2, v66, 16, 1
	s_delay_alu instid0(VALU_DEP_1)
	v_add3_u32 v2, v66, v2, 0x7fff
; %bb.84:
	s_and_not1_saveexec_b32 s3, s3
; %bb.85:
	v_and_b32_e32 v2, 0xffff, v66
	v_or_b32_e32 v3, 0x10000, v66
	s_delay_alu instid0(VALU_DEP_2) | instskip(NEXT) | instid1(VALU_DEP_2)
	v_cmp_eq_u32_e32 vcc_lo, 0, v2
	v_cndmask_b32_e32 v2, v3, v66, vcc_lo
; %bb.86:
	s_or_b32 exec_lo, exec_lo, s3
	v_and_b32_e32 v3, 0x7f800000, v67
	s_delay_alu instid0(VALU_DEP_1) | instskip(SKIP_1) | instid1(SALU_CYCLE_1)
	v_cmp_ne_u32_e32 vcc_lo, 0x7f800000, v3
                                        ; implicit-def: $vgpr3
	s_and_saveexec_b32 s3, vcc_lo
	s_xor_b32 s3, exec_lo, s3
; %bb.87:
	v_bfe_u32 v3, v67, 16, 1
	s_delay_alu instid0(VALU_DEP_1)
	v_add3_u32 v3, v67, v3, 0x7fff
; %bb.88:
	s_and_not1_saveexec_b32 s3, s3
; %bb.89:
	v_and_b32_e32 v3, 0xffff, v67
	v_or_b32_e32 v4, 0x10000, v67
	s_delay_alu instid0(VALU_DEP_2) | instskip(NEXT) | instid1(VALU_DEP_2)
	v_cmp_eq_u32_e32 vcc_lo, 0, v3
	v_cndmask_b32_e32 v3, v4, v67, vcc_lo
; %bb.90:
	s_or_b32 exec_lo, exec_lo, s3
	v_and_b32_e32 v4, 0x7f800000, v68
	s_delay_alu instid0(VALU_DEP_1) | instskip(SKIP_1) | instid1(SALU_CYCLE_1)
	v_cmp_ne_u32_e32 vcc_lo, 0x7f800000, v4
                                        ; implicit-def: $vgpr4
	s_and_saveexec_b32 s3, vcc_lo
	s_xor_b32 s3, exec_lo, s3
; %bb.91:
	v_bfe_u32 v4, v68, 16, 1
	s_delay_alu instid0(VALU_DEP_1)
	v_add3_u32 v4, v68, v4, 0x7fff
; %bb.92:
	s_and_not1_saveexec_b32 s3, s3
; %bb.93:
	v_and_b32_e32 v4, 0xffff, v68
	v_or_b32_e32 v5, 0x10000, v68
	s_delay_alu instid0(VALU_DEP_2) | instskip(NEXT) | instid1(VALU_DEP_2)
	v_cmp_eq_u32_e32 vcc_lo, 0, v4
	v_cndmask_b32_e32 v4, v5, v68, vcc_lo
; %bb.94:
	s_or_b32 exec_lo, exec_lo, s3
	v_and_b32_e32 v5, 0x7f800000, v69
	s_delay_alu instid0(VALU_DEP_1) | instskip(SKIP_1) | instid1(SALU_CYCLE_1)
	v_cmp_ne_u32_e32 vcc_lo, 0x7f800000, v5
                                        ; implicit-def: $vgpr5
	s_and_saveexec_b32 s3, vcc_lo
	s_xor_b32 s3, exec_lo, s3
; %bb.95:
	v_bfe_u32 v5, v69, 16, 1
	s_delay_alu instid0(VALU_DEP_1)
	v_add3_u32 v5, v69, v5, 0x7fff
; %bb.96:
	s_and_not1_saveexec_b32 s3, s3
; %bb.97:
	v_and_b32_e32 v5, 0xffff, v69
	v_or_b32_e32 v6, 0x10000, v69
	s_delay_alu instid0(VALU_DEP_2) | instskip(NEXT) | instid1(VALU_DEP_2)
	v_cmp_eq_u32_e32 vcc_lo, 0, v5
	v_cndmask_b32_e32 v5, v6, v69, vcc_lo
; %bb.98:
	s_or_b32 exec_lo, exec_lo, s3
	v_and_b32_e32 v6, 0x7f800000, v70
	s_delay_alu instid0(VALU_DEP_1) | instskip(SKIP_1) | instid1(SALU_CYCLE_1)
	v_cmp_ne_u32_e32 vcc_lo, 0x7f800000, v6
                                        ; implicit-def: $vgpr6
	s_and_saveexec_b32 s3, vcc_lo
	s_xor_b32 s3, exec_lo, s3
; %bb.99:
	v_bfe_u32 v6, v70, 16, 1
	s_delay_alu instid0(VALU_DEP_1)
	v_add3_u32 v6, v70, v6, 0x7fff
; %bb.100:
	s_and_not1_saveexec_b32 s3, s3
; %bb.101:
	v_and_b32_e32 v6, 0xffff, v70
	v_or_b32_e32 v7, 0x10000, v70
	s_delay_alu instid0(VALU_DEP_2) | instskip(NEXT) | instid1(VALU_DEP_2)
	v_cmp_eq_u32_e32 vcc_lo, 0, v6
	v_cndmask_b32_e32 v6, v7, v70, vcc_lo
; %bb.102:
	s_or_b32 exec_lo, exec_lo, s3
	v_and_b32_e32 v7, 0x7f800000, v71
	s_delay_alu instid0(VALU_DEP_1) | instskip(SKIP_1) | instid1(SALU_CYCLE_1)
	v_cmp_ne_u32_e32 vcc_lo, 0x7f800000, v7
                                        ; implicit-def: $vgpr7
	s_and_saveexec_b32 s3, vcc_lo
	s_xor_b32 s3, exec_lo, s3
; %bb.103:
	v_bfe_u32 v7, v71, 16, 1
	s_delay_alu instid0(VALU_DEP_1)
	v_add3_u32 v7, v71, v7, 0x7fff
; %bb.104:
	s_and_not1_saveexec_b32 s3, s3
; %bb.105:
	v_and_b32_e32 v7, 0xffff, v71
	v_or_b32_e32 v8, 0x10000, v71
	s_delay_alu instid0(VALU_DEP_2) | instskip(NEXT) | instid1(VALU_DEP_2)
	v_cmp_eq_u32_e32 vcc_lo, 0, v7
	v_cndmask_b32_e32 v7, v8, v71, vcc_lo
; %bb.106:
	s_or_b32 exec_lo, exec_lo, s3
	v_and_b32_e32 v8, 0x7f800000, v72
	s_delay_alu instid0(VALU_DEP_1) | instskip(SKIP_1) | instid1(SALU_CYCLE_1)
	v_cmp_ne_u32_e32 vcc_lo, 0x7f800000, v8
                                        ; implicit-def: $vgpr8
	s_and_saveexec_b32 s3, vcc_lo
	s_xor_b32 s3, exec_lo, s3
; %bb.107:
	v_bfe_u32 v8, v72, 16, 1
	s_delay_alu instid0(VALU_DEP_1)
	v_add3_u32 v8, v72, v8, 0x7fff
                                        ; implicit-def: $vgpr65_vgpr66_vgpr67_vgpr68_vgpr69_vgpr70_vgpr71_vgpr72
; %bb.108:
	s_and_not1_saveexec_b32 s3, s3
; %bb.109:
	v_and_b32_e32 v8, 0xffff, v72
	v_or_b32_e32 v9, 0x10000, v72
	s_delay_alu instid0(VALU_DEP_2) | instskip(NEXT) | instid1(VALU_DEP_2)
	v_cmp_eq_u32_e32 vcc_lo, 0, v8
	v_cndmask_b32_e32 v8, v9, v72, vcc_lo
; %bb.110:
	s_or_b32 exec_lo, exec_lo, s3
	s_delay_alu instid0(VALU_DEP_1)
	v_perm_b32 v7, v8, v7, 0x7060302
	v_perm_b32 v6, v6, v5, 0x7060302
	v_perm_b32 v5, v4, v3, 0x7060302
	v_perm_b32 v4, v2, v1, 0x7060302
	s_barrier
	buffer_gl0_inv
	v_cmp_eq_u32_e32 vcc_lo, 1, v78
	ds_store_b128 v76, v[4:7]
	s_waitcnt lgkmcnt(0)
	s_barrier
	buffer_gl0_inv
	ds_load_b128 v[1:4], v82
	ds_load_b128 v[5:8], v82 offset:16
	v_cmp_eq_u32_e64 s3, 1, v79
	v_cmp_eq_u32_e64 s4, 2, v78
	;; [unrolled: 1-line block ×5, first 2 shown]
	s_waitcnt lgkmcnt(1)
	v_lshrrev_b32_e32 v9, 16, v1
	s_waitcnt lgkmcnt(0)
	v_lshrrev_b32_e32 v13, 16, v5
	v_lshrrev_b32_e32 v10, 16, v2
	;; [unrolled: 1-line block ×4, first 2 shown]
	v_cndmask_b32_e64 v19, v1, v9, s3
	v_cndmask_b32_e32 v18, v5, v13, vcc_lo
	v_cndmask_b32_e64 v20, v5, v13, s3
	v_cndmask_b32_e32 v17, v1, v9, vcc_lo
	v_cmp_eq_u32_e32 vcc_lo, 2, v79
	v_lshrrev_b32_e32 v15, 16, v7
	v_cmp_eq_u32_e64 s3, 1, v77
	v_lshrrev_b32_e32 v12, 16, v4
	v_lshrrev_b32_e32 v16, 16, v8
	v_cndmask_b32_e32 v20, v20, v6, vcc_lo
	v_cndmask_b32_e64 v17, v17, v2, s4
	v_cndmask_b32_e32 v19, v19, v2, vcc_lo
	v_cndmask_b32_e64 v18, v18, v6, s4
	v_cmp_eq_u32_e32 vcc_lo, 4, v78
	v_cmp_eq_u32_e64 s4, 3, v79
	v_cndmask_b32_e64 v17, v17, v10, s5
	v_cndmask_b32_e64 v21, v1, v9, s3
	;; [unrolled: 1-line block ×5, first 2 shown]
	v_cndmask_b32_e32 v17, v17, v3, vcc_lo
	v_cndmask_b32_e64 v20, v20, v14, s4
	v_cndmask_b32_e32 v18, v18, v7, vcc_lo
	v_cmp_eq_u32_e32 vcc_lo, 4, v79
	v_cmp_eq_u32_e64 s4, 5, v79
	v_cmp_eq_u32_e64 s3, 2, v81
	v_cndmask_b32_e64 v21, v21, v2, s7
	v_cmp_eq_u32_e64 s5, 5, v78
	v_cndmask_b32_e32 v19, v19, v3, vcc_lo
	v_cndmask_b32_e32 v20, v20, v7, vcc_lo
	v_cmp_eq_u32_e32 vcc_lo, 6, v79
	s_delay_alu instid0(VALU_DEP_4) | instskip(NEXT) | instid1(VALU_DEP_4)
	v_cndmask_b32_e64 v17, v17, v11, s5
	v_cndmask_b32_e64 v19, v19, v11, s4
	s_delay_alu instid0(VALU_DEP_4) | instskip(SKIP_1) | instid1(VALU_DEP_3)
	v_cndmask_b32_e64 v20, v20, v15, s4
	v_cmp_eq_u32_e64 s4, 1, v81
	v_cndmask_b32_e32 v19, v19, v4, vcc_lo
	v_cndmask_b32_e64 v18, v18, v15, s5
	s_delay_alu instid0(VALU_DEP_3)
	v_cndmask_b32_e64 v1, v1, v9, s4
	v_cndmask_b32_e64 v5, v5, v13, s4
	v_cmp_eq_u32_e64 s4, 3, v77
	v_cndmask_b32_e64 v13, v22, v6, s7
	v_cmp_eq_u32_e64 s7, 3, v81
	v_cndmask_b32_e64 v1, v1, v2, s3
	v_cndmask_b32_e64 v2, v5, v6, s3
	;; [unrolled: 1-line block ×3, first 2 shown]
	v_cmp_eq_u32_e64 s3, 4, v77
	v_cndmask_b32_e64 v6, v13, v14, s4
	v_cndmask_b32_e64 v1, v1, v10, s7
	v_cmp_eq_u32_e64 s4, 4, v81
	v_cndmask_b32_e64 v2, v2, v14, s7
	v_cndmask_b32_e64 v5, v9, v3, s3
	;; [unrolled: 3-line block ×3, first 2 shown]
	v_cndmask_b32_e64 v2, v2, v7, s4
	v_cmp_eq_u32_e64 s3, 5, v81
	v_cmp_eq_u32_e64 s5, 6, v78
	v_cndmask_b32_e64 v5, v5, v11, s7
	v_cmp_eq_u32_e64 s4, 6, v77
	v_cndmask_b32_e64 v3, v6, v15, s7
	v_cndmask_b32_e64 v1, v1, v11, s3
	v_cmp_eq_u32_e64 s7, 6, v81
	v_cndmask_b32_e64 v2, v2, v15, s3
	v_cndmask_b32_e64 v17, v17, v4, s5
	v_cndmask_b32_e64 v18, v18, v8, s5
	v_cmp_eq_u32_e64 s5, 7, v78
	v_cndmask_b32_e64 v5, v5, v4, s4
	;; [unrolled: 4-line block ×3, first 2 shown]
	v_cmp_eq_u32_e64 s4, 7, v77
	v_cndmask_b32_e32 v4, v20, v8, vcc_lo
	v_cndmask_b32_e64 v17, v17, v12, s5
	v_cndmask_b32_e64 v19, v19, v12, s6
	v_cndmask_b32_e64 v1, v1, v12, s3
	v_cndmask_b32_e64 v5, v5, v12, s4
	v_cndmask_b32_e64 v2, v2, v16, s3
	v_cndmask_b32_e64 v3, v3, v16, s4
	v_cndmask_b32_e64 v6, v4, v16, s6
	v_cndmask_b32_e64 v7, v18, v16, s5
	v_cmp_gt_u32_e32 vcc_lo, 32, v0
	v_perm_b32 v4, v2, v1, 0x5040100
	v_perm_b32 v3, v3, v5, 0x5040100
	;; [unrolled: 1-line block ×4, first 2 shown]
	s_and_b32 s2, vcc_lo, s2
	ds_store_b128 v76, v[1:4]
	s_waitcnt lgkmcnt(0)
	s_barrier
	buffer_gl0_inv
	s_and_saveexec_b32 s3, s2
	s_cbranch_execz .LBB1377_2
; %bb.111:
	s_load_b64 s[0:1], s[0:1], 0x68
	v_lshlrev_b32_e32 v0, 10, v0
	s_lshl_b32 s4, s34, 6
	v_or_b32_e32 v3, s31, v74
	s_mul_i32 s2, s4, s30
	v_lshlrev_b32_e32 v1, 4, v75
	s_mul_i32 s2, s2, s8
	v_lshlrev_b32_e32 v2, 6, v74
	v_and_b32_e32 v0, 0x3800, v0
	s_ashr_i32 s3, s2, 31
	v_mul_lo_u32 v4, v3, s4
	s_lshl_b64 s[2:3], s[2:3], 1
	s_delay_alu instid0(VALU_DEP_2) | instskip(NEXT) | instid1(VALU_DEP_2)
	v_or3_b32 v16, v0, v1, v2
	v_ashrrev_i32_e32 v5, 31, v4
	ds_load_b128 v[0:3], v16
	s_waitcnt lgkmcnt(0)
	s_add_u32 s2, s0, s2
	s_addc_u32 s3, s1, s3
	s_lshl_b32 s0, s14, 6
	v_lshlrev_b64 v[5:6], 1, v[4:5]
	s_ashr_i32 s1, s0, 31
	s_delay_alu instid0(SALU_CYCLE_1) | instskip(NEXT) | instid1(SALU_CYCLE_1)
	s_lshl_b64 s[0:1], s[0:1], 1
	s_add_u32 s0, s2, s0
	s_addc_u32 s1, s3, s1
	s_lshl_b32 s2, s34, 7
	v_add_co_u32 v30, s0, s0, v73
	v_add_nc_u32_e32 v8, s2, v4
	v_add_co_ci_u32_e64 v31, null, s1, 0, s0
	s_delay_alu instid0(VALU_DEP_3) | instskip(NEXT) | instid1(VALU_DEP_3)
	v_add_co_u32 v12, vcc_lo, v30, v5
	v_add_nc_u32_e32 v10, s2, v8
	v_ashrrev_i32_e32 v9, 31, v8
	s_delay_alu instid0(VALU_DEP_4)
	v_add_co_ci_u32_e32 v13, vcc_lo, v31, v6, vcc_lo
	ds_load_b128 v[4:7], v16 offset:128
	v_ashrrev_i32_e32 v11, 31, v10
	v_lshlrev_b64 v[8:9], 1, v[8:9]
	v_add_nc_u32_e32 v14, s2, v10
	global_store_b128 v[12:13], v[0:3], off
	v_lshlrev_b64 v[0:1], 1, v[10:11]
	v_ashrrev_i32_e32 v15, 31, v14
	v_add_co_u32 v22, vcc_lo, v30, v8
	v_add_nc_u32_e32 v20, s2, v14
	v_add_co_ci_u32_e32 v23, vcc_lo, v31, v9, vcc_lo
	v_add_co_u32 v26, vcc_lo, v30, v0
	v_lshlrev_b64 v[24:25], 1, v[14:15]
	v_add_co_ci_u32_e32 v27, vcc_lo, v31, v1, vcc_lo
	ds_load_b128 v[0:3], v16 offset:256
	ds_load_b128 v[8:11], v16 offset:384
	;; [unrolled: 1-line block ×4, first 2 shown]
	v_add_nc_u32_e32 v28, s2, v20
	v_ashrrev_i32_e32 v21, 31, v20
	v_add_co_u32 v24, vcc_lo, v30, v24
	v_add_co_ci_u32_e32 v25, vcc_lo, v31, v25, vcc_lo
	s_delay_alu instid0(VALU_DEP_4) | instskip(NEXT) | instid1(VALU_DEP_4)
	v_ashrrev_i32_e32 v29, 31, v28
	v_lshlrev_b64 v[20:21], 1, v[20:21]
	s_delay_alu instid0(VALU_DEP_2) | instskip(NEXT) | instid1(VALU_DEP_2)
	v_lshlrev_b64 v[28:29], 1, v[28:29]
	v_add_co_u32 v20, vcc_lo, v30, v20
	s_delay_alu instid0(VALU_DEP_3) | instskip(NEXT) | instid1(VALU_DEP_3)
	v_add_co_ci_u32_e32 v21, vcc_lo, v31, v21, vcc_lo
	v_add_co_u32 v28, vcc_lo, v30, v28
	s_delay_alu instid0(VALU_DEP_4)
	v_add_co_ci_u32_e32 v29, vcc_lo, v31, v29, vcc_lo
	s_waitcnt lgkmcnt(4)
	global_store_b128 v[22:23], v[4:7], off
	s_waitcnt lgkmcnt(3)
	global_store_b128 v[26:27], v[0:3], off
	;; [unrolled: 2-line block ×5, first 2 shown]
	s_nop 0
	s_sendmsg sendmsg(MSG_DEALLOC_VGPRS)
	s_endpgm
	.section	.rodata,"a",@progbits
	.p2align	6, 0x0
	.amdhsa_kernel _Z39paged_attention_ll4mi_QKV_mfma16_kernelI14__hip_bfloat16hLN4vllm18Fp8KVCacheDataTypeE1EhLi16ELi64ELi256ELb0ELi12EL8MFMAType1EEvPKT_PKT0_S9_ifPKiSB_SB_iPKfiiiPfSE_PS4_PT2_iSD_SD_
		.amdhsa_group_segment_fixed_size 17472
		.amdhsa_private_segment_fixed_size 0
		.amdhsa_kernarg_size 400
		.amdhsa_user_sgpr_count 13
		.amdhsa_user_sgpr_dispatch_ptr 0
		.amdhsa_user_sgpr_queue_ptr 0
		.amdhsa_user_sgpr_kernarg_segment_ptr 1
		.amdhsa_user_sgpr_dispatch_id 0
		.amdhsa_user_sgpr_private_segment_size 0
		.amdhsa_wavefront_size32 1
		.amdhsa_uses_dynamic_stack 0
		.amdhsa_enable_private_segment 0
		.amdhsa_system_sgpr_workgroup_id_x 1
		.amdhsa_system_sgpr_workgroup_id_y 1
		.amdhsa_system_sgpr_workgroup_id_z 1
		.amdhsa_system_sgpr_workgroup_info 0
		.amdhsa_system_vgpr_workitem_id 0
		.amdhsa_next_free_vgpr 124
		.amdhsa_next_free_sgpr 38
		.amdhsa_reserve_vcc 1
		.amdhsa_float_round_mode_32 0
		.amdhsa_float_round_mode_16_64 0
		.amdhsa_float_denorm_mode_32 3
		.amdhsa_float_denorm_mode_16_64 3
		.amdhsa_dx10_clamp 1
		.amdhsa_ieee_mode 1
		.amdhsa_fp16_overflow 0
		.amdhsa_workgroup_processor_mode 1
		.amdhsa_memory_ordered 1
		.amdhsa_forward_progress 0
		.amdhsa_shared_vgpr_count 0
		.amdhsa_exception_fp_ieee_invalid_op 0
		.amdhsa_exception_fp_denorm_src 0
		.amdhsa_exception_fp_ieee_div_zero 0
		.amdhsa_exception_fp_ieee_overflow 0
		.amdhsa_exception_fp_ieee_underflow 0
		.amdhsa_exception_fp_ieee_inexact 0
		.amdhsa_exception_int_div_zero 0
	.end_amdhsa_kernel
	.section	.text._Z39paged_attention_ll4mi_QKV_mfma16_kernelI14__hip_bfloat16hLN4vllm18Fp8KVCacheDataTypeE1EhLi16ELi64ELi256ELb0ELi12EL8MFMAType1EEvPKT_PKT0_S9_ifPKiSB_SB_iPKfiiiPfSE_PS4_PT2_iSD_SD_,"axG",@progbits,_Z39paged_attention_ll4mi_QKV_mfma16_kernelI14__hip_bfloat16hLN4vllm18Fp8KVCacheDataTypeE1EhLi16ELi64ELi256ELb0ELi12EL8MFMAType1EEvPKT_PKT0_S9_ifPKiSB_SB_iPKfiiiPfSE_PS4_PT2_iSD_SD_,comdat
.Lfunc_end1377:
	.size	_Z39paged_attention_ll4mi_QKV_mfma16_kernelI14__hip_bfloat16hLN4vllm18Fp8KVCacheDataTypeE1EhLi16ELi64ELi256ELb0ELi12EL8MFMAType1EEvPKT_PKT0_S9_ifPKiSB_SB_iPKfiiiPfSE_PS4_PT2_iSD_SD_, .Lfunc_end1377-_Z39paged_attention_ll4mi_QKV_mfma16_kernelI14__hip_bfloat16hLN4vllm18Fp8KVCacheDataTypeE1EhLi16ELi64ELi256ELb0ELi12EL8MFMAType1EEvPKT_PKT0_S9_ifPKiSB_SB_iPKfiiiPfSE_PS4_PT2_iSD_SD_
                                        ; -- End function
	.section	.AMDGPU.csdata,"",@progbits
; Kernel info:
; codeLenInByte = 8808
; NumSgprs: 40
; NumVgprs: 124
; ScratchSize: 0
; MemoryBound: 0
; FloatMode: 240
; IeeeMode: 1
; LDSByteSize: 17472 bytes/workgroup (compile time only)
; SGPRBlocks: 4
; VGPRBlocks: 15
; NumSGPRsForWavesPerEU: 40
; NumVGPRsForWavesPerEU: 124
; Occupancy: 10
; WaveLimiterHint : 1
; COMPUTE_PGM_RSRC2:SCRATCH_EN: 0
; COMPUTE_PGM_RSRC2:USER_SGPR: 13
; COMPUTE_PGM_RSRC2:TRAP_HANDLER: 0
; COMPUTE_PGM_RSRC2:TGID_X_EN: 1
; COMPUTE_PGM_RSRC2:TGID_Y_EN: 1
; COMPUTE_PGM_RSRC2:TGID_Z_EN: 1
; COMPUTE_PGM_RSRC2:TIDIG_COMP_CNT: 0
	.section	.text._Z39paged_attention_ll4mi_QKV_mfma16_kernelI14__hip_bfloat16hLN4vllm18Fp8KVCacheDataTypeE1EhLi16ELi64ELi256ELb0ELi13EL8MFMAType1EEvPKT_PKT0_S9_ifPKiSB_SB_iPKfiiiPfSE_PS4_PT2_iSD_SD_,"axG",@progbits,_Z39paged_attention_ll4mi_QKV_mfma16_kernelI14__hip_bfloat16hLN4vllm18Fp8KVCacheDataTypeE1EhLi16ELi64ELi256ELb0ELi13EL8MFMAType1EEvPKT_PKT0_S9_ifPKiSB_SB_iPKfiiiPfSE_PS4_PT2_iSD_SD_,comdat
	.protected	_Z39paged_attention_ll4mi_QKV_mfma16_kernelI14__hip_bfloat16hLN4vllm18Fp8KVCacheDataTypeE1EhLi16ELi64ELi256ELb0ELi13EL8MFMAType1EEvPKT_PKT0_S9_ifPKiSB_SB_iPKfiiiPfSE_PS4_PT2_iSD_SD_ ; -- Begin function _Z39paged_attention_ll4mi_QKV_mfma16_kernelI14__hip_bfloat16hLN4vllm18Fp8KVCacheDataTypeE1EhLi16ELi64ELi256ELb0ELi13EL8MFMAType1EEvPKT_PKT0_S9_ifPKiSB_SB_iPKfiiiPfSE_PS4_PT2_iSD_SD_
	.globl	_Z39paged_attention_ll4mi_QKV_mfma16_kernelI14__hip_bfloat16hLN4vllm18Fp8KVCacheDataTypeE1EhLi16ELi64ELi256ELb0ELi13EL8MFMAType1EEvPKT_PKT0_S9_ifPKiSB_SB_iPKfiiiPfSE_PS4_PT2_iSD_SD_
	.p2align	8
	.type	_Z39paged_attention_ll4mi_QKV_mfma16_kernelI14__hip_bfloat16hLN4vllm18Fp8KVCacheDataTypeE1EhLi16ELi64ELi256ELb0ELi13EL8MFMAType1EEvPKT_PKT0_S9_ifPKiSB_SB_iPKfiiiPfSE_PS4_PT2_iSD_SD_,@function
_Z39paged_attention_ll4mi_QKV_mfma16_kernelI14__hip_bfloat16hLN4vllm18Fp8KVCacheDataTypeE1EhLi16ELi64ELi256ELb0ELi13EL8MFMAType1EEvPKT_PKT0_S9_ifPKiSB_SB_iPKfiiiPfSE_PS4_PT2_iSD_SD_: ; @_Z39paged_attention_ll4mi_QKV_mfma16_kernelI14__hip_bfloat16hLN4vllm18Fp8KVCacheDataTypeE1EhLi16ELi64ELi256ELb0ELi13EL8MFMAType1EEvPKT_PKT0_S9_ifPKiSB_SB_iPKfiiiPfSE_PS4_PT2_iSD_SD_
; %bb.0:
	s_load_b64 s[2:3], s[0:1], 0x30
	s_mov_b32 s34, s13
	s_waitcnt lgkmcnt(0)
	s_cmp_lg_u64 s[2:3], 0
	s_cselect_b32 s8, -1, 0
	s_ashr_i32 s35, s13, 31
	s_cmp_eq_u64 s[2:3], 0
	s_cbranch_scc1 .LBB1378_3
; %bb.1:
	s_lshl_b64 s[4:5], s[34:35], 2
	s_delay_alu instid0(SALU_CYCLE_1) | instskip(SKIP_4) | instid1(SALU_CYCLE_1)
	s_add_u32 s4, s2, s4
	s_addc_u32 s5, s3, s5
	s_load_b64 s[4:5], s[4:5], 0x0
	s_waitcnt lgkmcnt(0)
	s_sub_i32 s4, s5, s4
	s_cmp_eq_u32 s4, 1
	s_cselect_b32 s4, -1, 0
	s_delay_alu instid0(SALU_CYCLE_1)
	s_and_not1_b32 vcc_lo, exec_lo, s4
	s_cbranch_vccz .LBB1378_4
.LBB1378_2:
	s_nop 0
	s_sendmsg sendmsg(MSG_DEALLOC_VGPRS)
	s_endpgm
.LBB1378_3:
.LBB1378_4:
	s_load_b64 s[4:5], s[0:1], 0x28
	s_lshl_b64 s[6:7], s[34:35], 2
	s_waitcnt lgkmcnt(0)
	s_add_u32 s4, s4, s6
	s_addc_u32 s5, s5, s7
	s_lshl_b32 s12, s14, 8
	s_load_b32 s24, s[4:5], 0x0
	s_waitcnt lgkmcnt(0)
	s_cmp_ge_i32 s12, s24
	s_cbranch_scc1 .LBB1378_2
; %bb.5:
	s_clause 0x1
	s_load_b128 s[20:23], s[0:1], 0x8
	s_load_b64 s[4:5], s[0:1], 0x20
	s_and_not1_b32 vcc_lo, exec_lo, s8
	s_cbranch_vccnz .LBB1378_7
; %bb.6:
	s_add_u32 s2, s2, s6
	s_addc_u32 s3, s3, s7
	s_load_b32 s3, s[2:3], 0x0
	s_branch .LBB1378_8
.LBB1378_7:
	s_mov_b32 s3, s34
.LBB1378_8:
	s_load_b128 s[16:19], s[0:1], 0x48
	v_lshrrev_b32_e32 v66, 5, v0
	v_bfe_u32 v74, v0, 4, 1
	v_and_b32_e32 v65, 15, v0
	v_and_b32_e32 v67, 31, v0
	;; [unrolled: 1-line block ×3, first 2 shown]
	s_mul_i32 s31, s15, 13
	v_lshl_or_b32 v1, v66, 1, v74
	v_lshlrev_b32_e32 v2, 3, v65
	v_cmp_gt_u32_e64 s2, 8, v65
	s_delay_alu instid0(VALU_DEP_3) | instskip(NEXT) | instid1(VALU_DEP_3)
	v_cmp_gt_u32_e32 vcc_lo, 13, v1
	v_lshlrev_b32_e32 v73, 1, v2
	s_delay_alu instid0(VALU_DEP_3) | instskip(NEXT) | instid1(SALU_CYCLE_1)
	s_and_b32 s7, s2, vcc_lo
	s_and_saveexec_b32 s6, s7
	s_cbranch_execz .LBB1378_10
; %bb.9:
	s_load_b64 s[8:9], s[0:1], 0x0
	v_add_lshl_u32 v2, v1, s31, 6
	s_waitcnt lgkmcnt(0)
	s_mul_hi_i32 s11, s3, s16
	s_mul_i32 s10, s3, s16
	v_lshlrev_b32_e32 v6, 10, v65
	s_lshl_b64 s[10:11], s[10:11], 1
	v_ashrrev_i32_e32 v3, 31, v2
	v_lshlrev_b32_e32 v1, 6, v1
	v_lshlrev_b32_e32 v7, 10, v75
	v_and_b32_e32 v6, 0x3800, v6
	s_delay_alu instid0(VALU_DEP_4) | instskip(NEXT) | instid1(VALU_DEP_2)
	v_lshlrev_b64 v[2:3], 1, v[2:3]
	v_or3_b32 v1, v6, v7, v1
	s_add_u32 s3, s8, s10
	s_addc_u32 s7, s9, s11
	s_delay_alu instid0(VALU_DEP_2) | instskip(NEXT) | instid1(VALU_DEP_3)
	v_add_co_u32 v2, vcc_lo, s3, v2
	v_add_co_ci_u32_e32 v3, vcc_lo, s7, v3, vcc_lo
	s_delay_alu instid0(VALU_DEP_2) | instskip(NEXT) | instid1(VALU_DEP_2)
	v_add_co_u32 v2, vcc_lo, v2, v73
	v_add_co_ci_u32_e32 v3, vcc_lo, 0, v3, vcc_lo
	global_load_b128 v[2:5], v[2:3], off
	s_waitcnt vmcnt(0)
	ds_store_b128 v1, v[2:5]
.LBB1378_10:
	s_or_b32 exec_lo, exec_lo, s6
	v_and_b32_e32 v1, 0xef, v0
	s_waitcnt lgkmcnt(0)
	s_add_i32 s3, s24, 15
	s_clause 0x1
	s_load_b32 s6, s[0:1], 0x38
	s_load_b32 s19, s[0:1], 0x1c
	s_ashr_i32 s7, s3, 31
	v_add_nc_u32_e32 v1, s12, v1
	s_lshr_b32 s7, s7, 28
	s_waitcnt lgkmcnt(0)
	s_add_i32 s3, s3, s7
	s_barrier
	v_ashrrev_i32_e32 v2, 31, v1
	v_or_b32_e32 v3, 16, v1
	s_ashr_i32 s3, s3, 4
	v_cmp_gt_i32_e32 vcc_lo, s24, v1
	s_add_i32 s3, s3, -1
	v_lshrrev_b32_e32 v2, 28, v2
	buffer_gl0_inv
	s_mul_i32 s27, s15, s18
	v_add_nc_u32_e32 v4, v1, v2
	s_mul_i32 s6, s34, s6
	s_delay_alu instid0(SALU_CYCLE_1) | instskip(NEXT) | instid1(VALU_DEP_1)
	s_ashr_i32 s7, s6, 31
	v_ashrrev_i32_e32 v4, 4, v4
	v_add_nc_u32_e32 v2, v3, v2
	s_lshl_b64 s[6:7], s[6:7], 2
	s_delay_alu instid0(SALU_CYCLE_1) | instskip(NEXT) | instid1(VALU_DEP_2)
	s_add_u32 s26, s4, s6
	v_cndmask_b32_e32 v1, s3, v4, vcc_lo
	s_delay_alu instid0(VALU_DEP_2)
	v_ashrrev_i32_e32 v2, 4, v2
	v_cmp_gt_i32_e32 vcc_lo, s24, v3
	s_addc_u32 s25, s5, s7
	s_ashr_i32 s28, s27, 31
	s_add_u32 s13, s20, s27
	s_addc_u32 s15, s21, s28
	v_cndmask_b32_e32 v3, s3, v2, vcc_lo
	v_ashrrev_i32_e32 v2, 31, v1
	s_lshl_b32 s4, s14, 4
	s_delay_alu instid0(SALU_CYCLE_1) | instskip(NEXT) | instid1(VALU_DEP_2)
	s_ashr_i32 s5, s4, 31
	v_ashrrev_i32_e32 v4, 31, v3
	s_delay_alu instid0(VALU_DEP_2) | instskip(SKIP_1) | instid1(SALU_CYCLE_1)
	v_lshlrev_b64 v[1:2], 2, v[1:2]
	s_lshl_b64 s[4:5], s[4:5], 2
	s_add_u32 s4, s26, s4
	s_delay_alu instid0(VALU_DEP_2) | instskip(SKIP_1) | instid1(VALU_DEP_2)
	v_lshlrev_b64 v[3:4], 2, v[3:4]
	s_addc_u32 s5, s25, s5
	v_add_co_u32 v1, vcc_lo, s26, v1
	v_add_co_ci_u32_e32 v2, vcc_lo, s25, v2, vcc_lo
	s_delay_alu instid0(VALU_DEP_3) | instskip(NEXT) | instid1(VALU_DEP_4)
	v_add_co_u32 v3, vcc_lo, s26, v3
	v_add_co_ci_u32_e32 v4, vcc_lo, s25, v4, vcc_lo
	s_clause 0x1
	global_load_b32 v5, v[1:2], off
	global_load_b32 v7, v[3:4], off
	s_or_b32 s6, s12, 32
	v_lshlrev_b32_e32 v1, 4, v0
	s_ashr_i32 s7, s6, 4
	s_cmp_lt_i32 s6, s24
	v_cmp_gt_u32_e32 vcc_lo, 13, v65
	s_cselect_b32 s6, s7, s3
	v_and_b32_e32 v1, 0xf0, v1
	s_ashr_i32 s7, s6, 31
	s_delay_alu instid0(SALU_CYCLE_1) | instskip(NEXT) | instid1(SALU_CYCLE_1)
	s_lshl_b64 s[6:7], s[6:7], 2
	s_add_u32 s6, s26, s6
	s_addc_u32 s7, s25, s7
	s_or_b32 s8, s12, 64
	v_add_co_u32 v1, s13, s13, v1
	s_ashr_i32 s9, s8, 4
	s_cmp_lt_i32 s8, s24
	v_add_co_ci_u32_e64 v2, null, s15, 0, s13
	s_cselect_b32 s8, s9, s3
	s_delay_alu instid0(SALU_CYCLE_1) | instskip(NEXT) | instid1(SALU_CYCLE_1)
	s_ashr_i32 s9, s8, 31
	s_lshl_b64 s[8:9], s[8:9], 2
	s_delay_alu instid0(SALU_CYCLE_1) | instskip(SKIP_2) | instid1(SALU_CYCLE_1)
	s_add_u32 s8, s26, s8
	s_addc_u32 s9, s25, s9
	s_or_b32 s10, s12, 0x60
	s_ashr_i32 s11, s10, 4
	s_cmp_lt_i32 s10, s24
	s_cselect_b32 s10, s11, s3
	s_delay_alu instid0(SALU_CYCLE_1) | instskip(NEXT) | instid1(SALU_CYCLE_1)
	s_ashr_i32 s11, s10, 31
	s_lshl_b64 s[10:11], s[10:11], 2
	s_delay_alu instid0(SALU_CYCLE_1) | instskip(SKIP_2) | instid1(SALU_CYCLE_1)
	s_add_u32 s10, s26, s10
	s_addc_u32 s11, s25, s11
	s_or_b32 s16, s12, 0x80
	s_ashr_i32 s18, s16, 4
	s_cmp_lt_i32 s16, s24
	;; [unrolled: 10-line block ×3, first 2 shown]
	s_cselect_b32 s20, s18, s3
	s_delay_alu instid0(SALU_CYCLE_1) | instskip(NEXT) | instid1(SALU_CYCLE_1)
	s_ashr_i32 s21, s20, 31
	s_lshl_b64 s[20:21], s[20:21], 2
	s_delay_alu instid0(SALU_CYCLE_1)
	s_add_u32 s38, s26, s20
	s_addc_u32 s39, s25, s21
	s_clause 0x5
	s_load_b32 s21, s[4:5], 0x0
	s_load_b32 s13, s[6:7], 0x0
	;; [unrolled: 1-line block ×6, first 2 shown]
	s_or_b32 s8, s12, 0xc0
	s_mov_b32 s4, 0
	s_ashr_i32 s9, s8, 4
	s_cmp_lt_i32 s8, s24
	s_mov_b32 s11, s4
	s_cselect_b32 s36, s9, s3
	s_mov_b32 s5, s4
	s_ashr_i32 s37, s36, 31
	s_mov_b32 s6, s4
	s_lshl_b64 s[36:37], s[36:37], 2
	s_mov_b32 s7, s4
	s_add_u32 s36, s26, s36
	s_addc_u32 s37, s25, s37
	s_or_b32 s29, s12, 0xe0
	s_mov_b32 s8, s4
	s_ashr_i32 s30, s29, 4
	s_mov_b32 s9, s4
	s_mov_b32 s10, s4
	s_cmp_lt_i32 s29, s24
	v_dual_mov_b32 v107, s11 :: v_dual_mov_b32 v100, s4
	v_mov_b32_e32 v106, s10
	v_dual_mov_b32 v104, s8 :: v_dual_mov_b32 v103, s7
	v_dual_mov_b32 v102, s6 :: v_dual_mov_b32 v101, s5
	s_waitcnt vmcnt(1)
	v_mad_i64_i32 v[3:4], null, v5, s17, v[1:2]
	s_waitcnt vmcnt(0)
	v_mad_i64_i32 v[5:6], null, v7, s17, v[1:2]
	v_add_nc_u32_e32 v1, -13, v65
	v_lshlrev_b32_e32 v2, 4, v65
	s_clause 0x7
	global_load_b128 v[49:52], v[3:4], off
	global_load_b128 v[53:56], v[3:4], off offset:256
	global_load_b128 v[76:79], v[5:6], off
	global_load_b128 v[80:83], v[5:6], off offset:256
	global_load_b128 v[84:87], v[3:4], off offset:512
	global_load_b128 v[88:91], v[3:4], off offset:768
	global_load_b128 v[92:95], v[5:6], off offset:512
	global_load_b128 v[96:99], v[5:6], off offset:768
	v_cndmask_b32_e32 v1, v1, v65, vcc_lo
	v_mov_b32_e32 v105, s9
	s_cselect_b32 s4, s30, s3
	v_lshl_or_b32 v2, v66, 8, v2
	s_ashr_i32 s5, s4, 31
	v_lshlrev_b32_e32 v70, 6, v1
	s_lshl_b64 s[4:5], s[4:5], 2
	s_load_b32 s3, s[36:37], 0x0
	s_add_u32 s4, s26, s4
	s_addc_u32 s5, s25, s5
	ds_load_b128 v[108:111], v70
	ds_load_b128 v[112:115], v70 offset:1024
	s_load_b32 s4, s[4:5], 0x0
	s_add_u32 s6, s22, s27
	s_addc_u32 s7, s23, s28
	v_add_co_u32 v9, s6, s6, v2
	s_delay_alu instid0(VALU_DEP_1) | instskip(SKIP_1) | instid1(VALU_DEP_1)
	v_add_co_ci_u32_e64 v10, null, s7, 0, s6
	s_waitcnt lgkmcnt(0)
	v_mad_i64_i32 v[1:2], null, s21, s17, v[9:10]
	v_mad_i64_i32 v[3:4], null, s13, s17, v[9:10]
	v_mad_i64_i32 v[5:6], null, s15, s17, v[9:10]
	v_mad_i64_i32 v[7:8], null, s16, s17, v[9:10]
	v_mad_i64_i32 v[13:14], null, s20, s17, v[9:10]
	v_mad_i64_i32 v[11:12], null, s18, s17, v[9:10]
	v_mad_i64_i32 v[21:22], null, s3, s17, v[9:10]
	s_clause 0x9
	global_load_b128 v[57:60], v[1:2], off
	global_load_b128 v[61:64], v[1:2], off offset:16
	global_load_b128 v[41:44], v[3:4], off
	global_load_b128 v[45:48], v[3:4], off offset:16
	;; [unrolled: 2-line block ×5, first 2 shown]
	v_mad_i64_i32 v[68:69], null, s4, s17, v[9:10]
	s_clause 0x3
	global_load_b128 v[9:12], v[13:14], off
	global_load_b128 v[13:16], v[13:14], off offset:16
	global_load_b128 v[17:20], v[21:22], off
	global_load_b128 v[21:24], v[21:22], off offset:16
	s_waitcnt vmcnt(20)
	v_wmma_f32_16x16x16_bf16 v[116:123], v[49:56], v[108:115], v[100:107]
	s_clause 0x1
	global_load_b128 v[49:52], v[68:69], off
	global_load_b128 v[53:56], v[68:69], off offset:16
	v_and_b32_e32 v68, 0xe0, v0
	v_mbcnt_lo_u32_b32 v69, -1, 0
	s_delay_alu instid0(VALU_DEP_2)
	v_add_nc_u32_e32 v68, s12, v68
	s_waitcnt vmcnt(20)
	v_wmma_f32_16x16x16_bf16 v[100:107], v[76:83], v[108:115], v[100:107]
	ds_load_b128 v[76:79], v70 offset:2048
	ds_load_b128 v[80:83], v70 offset:3072
	v_xor_b32_e32 v70, 16, v69
	s_waitcnt vmcnt(0) lgkmcnt(0)
	v_or_b32_e32 v68, v68, v74
	s_barrier
	buffer_gl0_inv
	v_cmp_gt_i32_e32 vcc_lo, 32, v70
	v_or_b32_e32 v71, 4, v68
	v_or_b32_e32 v72, 6, v68
	v_cmp_gt_i32_e64 s3, s24, v68
	v_or_b32_e32 v108, 8, v68
	v_or_b32_e32 v109, 10, v68
	v_cmp_gt_i32_e64 s4, s24, v71
	v_cmp_gt_i32_e64 s5, s24, v72
	s_delay_alu instid0(VALU_DEP_4) | instskip(NEXT) | instid1(VALU_DEP_4)
	v_cmp_gt_i32_e64 s6, s24, v108
	v_cmp_gt_i32_e64 s7, s24, v109
	v_wmma_f32_16x16x16_bf16 v[116:123], v[84:91], v[76:83], v[116:123]
	v_cndmask_b32_e32 v69, v69, v70, vcc_lo
	v_or_b32_e32 v70, 2, v68
	v_wmma_f32_16x16x16_bf16 v[100:107], v[92:99], v[76:83], v[100:107]
	v_or_b32_e32 v89, 22, v68
	v_dual_mul_f32 v82, s19, v119 :: v_dual_mul_f32 v79, s19, v122
	v_dual_mul_f32 v92, s19, v117 :: v_dual_mul_f32 v93, s19, v116
	s_delay_alu instid0(VALU_DEP_4) | instskip(SKIP_2) | instid1(VALU_DEP_4)
	v_mul_f32_e32 v98, s19, v103
	v_cmp_gt_i32_e32 vcc_lo, s24, v70
	v_dual_mul_f32 v83, s19, v118 :: v_dual_mul_f32 v96, s19, v105
	v_cndmask_b32_e64 v93, 0xff7fffff, v93, s3
	v_or_b32_e32 v84, 12, v68
	v_cndmask_b32_e32 v92, 0xff7fffff, v92, vcc_lo
	v_or_b32_e32 v85, 14, v68
	v_dual_mul_f32 v80, s19, v121 :: v_dual_mul_f32 v81, s19, v120
	v_mul_f32_e32 v94, s19, v107
	v_cndmask_b32_e64 v71, 0xff7fffff, v83, s4
	v_cndmask_b32_e64 v72, 0xff7fffff, v82, s5
	v_cmp_gt_i32_e64 s13, s24, v89
	v_lshlrev_b32_e32 v89, 2, v69
	v_max3_f32 v82, v93, 0xff7fffff, v92
	v_or_b32_e32 v86, 16, v68
	v_or_b32_e32 v87, 18, v68
	v_mul_f32_e32 v78, s19, v123
	v_cndmask_b32_e64 v81, 0xff7fffff, v81, s6
	v_cndmask_b32_e64 v80, 0xff7fffff, v80, s7
	v_max3_f32 v71, v82, v71, v72
	v_cmp_gt_i32_e64 s8, s24, v84
	v_cmp_gt_i32_e64 s9, s24, v85
	v_or_b32_e32 v88, 20, v68
	v_or_b32_e32 v90, 24, v68
	;; [unrolled: 1-line block ×5, first 2 shown]
	v_dual_mul_f32 v95, s19, v106 :: v_dual_mul_f32 v70, s19, v101
	v_dual_mul_f32 v99, s19, v102 :: v_dual_mul_f32 v68, s19, v100
	v_cndmask_b32_e64 v72, 0xff7fffff, v79, s8
	v_cndmask_b32_e64 v78, 0xff7fffff, v78, s9
	v_max3_f32 v71, v71, v81, v80
	v_cmp_gt_i32_e64 s10, s24, v86
	v_cmp_gt_i32_e64 s11, s24, v87
	;; [unrolled: 1-line block ×3, first 2 shown]
	v_mul_f32_e32 v97, s19, v104
	v_max3_f32 v71, v71, v72, v78
	v_cndmask_b32_e64 v68, 0xff7fffff, v68, s10
	v_cndmask_b32_e64 v70, 0xff7fffff, v70, s11
	;; [unrolled: 1-line block ×4, first 2 shown]
	v_cmp_gt_i32_e64 s15, s24, v90
	v_cmp_gt_i32_e64 s16, s24, v91
	v_max3_f32 v68, v71, v68, v70
	v_cmp_gt_i32_e64 s17, s24, v76
	v_cmp_gt_i32_e64 s18, s24, v77
	v_cndmask_b32_e64 v70, 0xff7fffff, v97, s15
	v_cndmask_b32_e64 v71, 0xff7fffff, v96, s16
	v_max3_f32 v68, v68, v72, v78
	v_cndmask_b32_e64 v72, 0xff7fffff, v95, s17
	v_cndmask_b32_e64 v76, 0xff7fffff, v94, s18
	s_delay_alu instid0(VALU_DEP_3) | instskip(NEXT) | instid1(VALU_DEP_1)
	v_max3_f32 v68, v68, v70, v71
	v_max3_f32 v68, v68, v72, v76
	ds_bpermute_b32 v69, v89, v68
	s_waitcnt lgkmcnt(0)
	v_max_f32_e32 v69, v69, v69
	s_delay_alu instid0(VALU_DEP_1) | instskip(NEXT) | instid1(VALU_DEP_1)
	v_max_f32_e32 v68, v68, v69
	v_fma_f32 v69, s19, v116, -v68
	v_fma_f32 v70, s19, v117, -v68
	;; [unrolled: 1-line block ×5, first 2 shown]
	s_delay_alu instid0(VALU_DEP_4) | instskip(NEXT) | instid1(VALU_DEP_4)
	v_dual_mul_f32 v69, 0x3fb8aa3b, v69 :: v_dual_mul_f32 v70, 0x3fb8aa3b, v70
	v_mul_f32_e32 v72, 0x3fb8aa3b, v72
	v_fma_f32 v78, s19, v122, -v68
	s_delay_alu instid0(VALU_DEP_4) | instskip(NEXT) | instid1(VALU_DEP_4)
	v_mul_f32_e32 v77, 0x3fb8aa3b, v76
	v_exp_f32_e32 v69, v69
	v_exp_f32_e32 v70, v70
	v_mul_f32_e32 v71, 0x3fb8aa3b, v71
	v_exp_f32_e32 v72, v72
	v_mul_f32_e32 v78, 0x3fb8aa3b, v78
	v_exp_f32_e32 v77, v77
	v_fma_f32 v81, s19, v105, -v68
	s_delay_alu instid0(VALU_DEP_2)
	v_exp_f32_e32 v78, v78
	v_cndmask_b32_e64 v80, 0, v69, s3
	v_cndmask_b32_e32 v76, 0, v70, vcc_lo
	v_exp_f32_e32 v71, v71
	v_fma_f32 v69, s19, v121, -v68
	v_cndmask_b32_e64 v85, 0, v72, s5
	v_add_f32_e32 v70, 0, v80
	s_delay_alu instid0(TRANS32_DEP_3)
	v_cndmask_b32_e64 v86, 0, v77, s6
	v_fma_f32 v77, s19, v101, -v68
	v_mul_f32_e32 v69, 0x3fb8aa3b, v69
	v_fma_f32 v72, s19, v100, -v68
	v_cndmask_b32_e64 v84, 0, v78, s8
	v_fma_f32 v78, s19, v103, -v68
	v_cndmask_b32_e64 v83, 0, v71, s4
	v_fma_f32 v71, s19, v123, -v68
	v_add_f32_e32 v70, v70, v76
	v_exp_f32_e32 v69, v69
	v_mul_f32_e32 v77, 0x3fb8aa3b, v77
	v_mul_f32_e32 v81, 0x3fb8aa3b, v81
	;; [unrolled: 1-line block ×3, first 2 shown]
	v_add_f32_e32 v70, v70, v83
	v_cmp_gt_u32_e64 s3, 16, v67
	v_exp_f32_e32 v77, v77
	v_exp_f32_e32 v81, v81
	;; [unrolled: 1-line block ×3, first 2 shown]
	v_cndmask_b32_e64 v87, 0, v69, s7
	v_add_f32_e32 v70, v70, v85
	s_delay_alu instid0(VALU_DEP_1) | instskip(SKIP_1) | instid1(VALU_DEP_2)
	v_dual_mul_f32 v72, 0x3fb8aa3b, v72 :: v_dual_add_f32 v69, v70, v86
	v_fma_f32 v70, s19, v102, -v68
	v_exp_f32_e32 v72, v72
	s_waitcnt_depctr 0xfff
	v_cndmask_b32_e64 v88, 0, v71, s9
	v_fma_f32 v71, s19, v104, -v68
	v_dual_add_f32 v69, v69, v87 :: v_dual_mul_f32 v70, 0x3fb8aa3b, v70
	s_delay_alu instid0(VALU_DEP_2) | instskip(NEXT) | instid1(VALU_DEP_2)
	v_dual_mul_f32 v78, 0x3fb8aa3b, v78 :: v_dual_mul_f32 v71, 0x3fb8aa3b, v71
	v_add_f32_e32 v69, v69, v84
	s_delay_alu instid0(VALU_DEP_3) | instskip(SKIP_1) | instid1(VALU_DEP_3)
	v_exp_f32_e32 v79, v70
	v_cndmask_b32_e64 v70, 0, v72, s10
	v_exp_f32_e32 v78, v78
	v_exp_f32_e32 v82, v71
	v_add_f32_e32 v72, v69, v88
	v_cndmask_b32_e64 v69, 0, v77, s11
	v_fma_f32 v77, s19, v106, -v68
	s_delay_alu instid0(VALU_DEP_3) | instskip(NEXT) | instid1(TRANS32_DEP_3)
	v_add_f32_e32 v72, v72, v70
	v_cndmask_b32_e64 v71, 0, v79, s12
	s_delay_alu instid0(VALU_DEP_3) | instskip(NEXT) | instid1(VALU_DEP_3)
	v_mul_f32_e32 v77, 0x3fb8aa3b, v77
	v_add_f32_e32 v79, v72, v69
	s_delay_alu instid0(TRANS32_DEP_2) | instskip(NEXT) | instid1(VALU_DEP_3)
	v_cndmask_b32_e64 v72, 0, v78, s13
	v_exp_f32_e32 v90, v77
	v_cndmask_b32_e64 v77, 0, v82, s15
	s_delay_alu instid0(VALU_DEP_3) | instskip(SKIP_1) | instid1(VALU_DEP_1)
	v_add_f32_e32 v78, v79, v71
	v_fma_f32 v79, s19, v107, -v68
	v_dual_add_f32 v82, v78, v72 :: v_dual_mul_f32 v79, 0x3fb8aa3b, v79
	v_cndmask_b32_e64 v78, 0, v81, s16
	s_delay_alu instid0(VALU_DEP_2) | instskip(NEXT) | instid1(VALU_DEP_3)
	v_add_f32_e32 v81, v82, v77
	v_exp_f32_e32 v82, v79
	s_delay_alu instid0(TRANS32_DEP_2) | instskip(NEXT) | instid1(VALU_DEP_2)
	v_cndmask_b32_e64 v79, 0, v90, s17
	v_add_f32_e32 v81, v81, v78
	s_delay_alu instid0(VALU_DEP_1) | instskip(SKIP_2) | instid1(VALU_DEP_1)
	v_add_f32_e32 v90, v81, v79
	s_waitcnt_depctr 0xfff
	v_cndmask_b32_e64 v81, 0, v82, s18
	v_add_f32_e32 v82, v90, v81
	ds_bpermute_b32 v89, v89, v82
	s_and_saveexec_b32 s4, s3
	s_cbranch_execz .LBB1378_12
; %bb.11:
	v_mul_u32_u24_e32 v67, 0x44, v66
	s_delay_alu instid0(VALU_DEP_1) | instskip(SKIP_1) | instid1(VALU_DEP_1)
	v_lshl_add_u32 v67, v65, 2, v67
	s_waitcnt lgkmcnt(0)
	v_dual_add_f32 v82, v82, v89 :: v_dual_add_nc_u32 v67, 0x4000, v67
	ds_store_2addr_b32 v67, v68, v82 offset1:136
.LBB1378_12:
	s_or_b32 exec_lo, exec_lo, s4
	v_lshlrev_b32_e32 v67, 2, v65
	s_waitcnt lgkmcnt(0)
	s_barrier
	buffer_gl0_inv
	v_cmp_eq_u32_e32 vcc_lo, 1, v66
	v_add_nc_u32_e32 v82, 0x4000, v67
	v_cmp_eq_u32_e64 s4, 2, v66
	v_cmp_eq_u32_e64 s6, 7, v66
	ds_load_2addr_b32 v[89:90], v82 offset1:17
	ds_load_2addr_b32 v[91:92], v82 offset0:34 offset1:51
	ds_load_2addr_b32 v[93:94], v82 offset0:68 offset1:85
	ds_load_2addr_b32 v[95:96], v82 offset0:102 offset1:119
	ds_load_2addr_b32 v[97:98], v82 offset0:136 offset1:153
	s_waitcnt lgkmcnt(4)
	v_max3_f32 v67, v89, 0xff7fffff, v90
	s_waitcnt lgkmcnt(3)
	s_delay_alu instid0(VALU_DEP_1) | instskip(SKIP_1) | instid1(VALU_DEP_1)
	v_max3_f32 v67, v67, v91, v92
	s_waitcnt lgkmcnt(2)
	v_max3_f32 v67, v67, v93, v94
	s_waitcnt lgkmcnt(1)
	s_delay_alu instid0(VALU_DEP_1) | instskip(NEXT) | instid1(VALU_DEP_1)
	v_max3_f32 v67, v67, v95, v96
	v_sub_f32_e32 v93, v93, v67
	s_delay_alu instid0(VALU_DEP_1) | instskip(NEXT) | instid1(VALU_DEP_1)
	v_dual_sub_f32 v68, v89, v67 :: v_dual_mul_f32 v103, 0x3fb8aa3b, v93
	v_mul_f32_e32 v68, 0x3fb8aa3b, v68
	s_delay_alu instid0(VALU_DEP_1)
	v_exp_f32_e32 v100, v68
	v_sub_f32_e32 v68, v92, v67
	v_sub_f32_e32 v99, v90, v67
	ds_load_2addr_b32 v[89:90], v82 offset0:170 offset1:187
	v_dual_mul_f32 v102, 0x3fb8aa3b, v68 :: v_dual_mul_f32 v99, 0x3fb8aa3b, v99
	s_waitcnt lgkmcnt(1)
	v_fma_f32 v68, v100, v97, 0
	s_delay_alu instid0(VALU_DEP_2) | instskip(NEXT) | instid1(VALU_DEP_2)
	v_exp_f32_e32 v102, v102
	v_exp_f32_e32 v99, v99
	s_waitcnt_depctr 0xfff
	v_fmac_f32_e32 v68, v99, v98
	v_sub_f32_e32 v91, v91, v67
	s_delay_alu instid0(VALU_DEP_1)
	v_mul_f32_e32 v101, 0x3fb8aa3b, v91
	ds_load_2addr_b32 v[91:92], v82 offset0:204 offset1:221
	v_sub_f32_e32 v97, v94, v67
	ds_load_2addr_b32 v[93:94], v82 offset0:238 offset1:255
	s_waitcnt lgkmcnt(0)
	v_exp_f32_e32 v101, v101
	s_barrier
	buffer_gl0_inv
	v_dual_fmac_f32 v68, v101, v89 :: v_dual_sub_f32 v89, v96, v67
	v_dual_sub_f32 v82, v95, v67 :: v_dual_mul_f32 v95, 0x3fb8aa3b, v97
	v_exp_f32_e32 v97, v103
	s_delay_alu instid0(VALU_DEP_2) | instskip(NEXT) | instid1(VALU_DEP_2)
	v_dual_fmac_f32 v68, v102, v90 :: v_dual_mul_f32 v89, 0x3fb8aa3b, v89
	v_mul_f32_e32 v82, 0x3fb8aa3b, v82
	s_delay_alu instid0(VALU_DEP_3) | instskip(NEXT) | instid1(VALU_DEP_2)
	v_exp_f32_e32 v95, v95
	v_exp_f32_e32 v89, v89
	s_delay_alu instid0(VALU_DEP_1)
	v_exp_f32_e32 v82, v82
	v_fmac_f32_e32 v68, v97, v91
	s_delay_alu instid0(TRANS32_DEP_3) | instid1(VALU_DEP_1)
	v_fmac_f32_e32 v68, v95, v92
	s_waitcnt_depctr 0xfff
	v_fmac_f32_e32 v68, v82, v93
	s_delay_alu instid0(VALU_DEP_1) | instskip(NEXT) | instid1(VALU_DEP_1)
	v_fmac_f32_e32 v68, v89, v94
	v_add_f32_e32 v90, 0x358637bd, v68
	s_delay_alu instid0(VALU_DEP_1) | instskip(NEXT) | instid1(VALU_DEP_1)
	v_div_scale_f32 v91, null, v90, v90, 1.0
	v_rcp_f32_e32 v92, v91
	s_waitcnt_depctr 0xfff
	v_fma_f32 v93, -v91, v92, 1.0
	s_delay_alu instid0(VALU_DEP_1) | instskip(SKIP_1) | instid1(VALU_DEP_2)
	v_dual_fmac_f32 v92, v93, v92 :: v_dual_cndmask_b32 v93, v100, v99
	v_cmp_eq_u32_e32 vcc_lo, 3, v66
	v_cndmask_b32_e64 v93, v93, v101, s4
	v_cmp_eq_u32_e64 s4, 4, v66
	s_delay_alu instid0(VALU_DEP_2) | instskip(SKIP_1) | instid1(VALU_DEP_2)
	v_cndmask_b32_e32 v93, v93, v102, vcc_lo
	v_cmp_eq_u32_e32 vcc_lo, 5, v66
	v_cndmask_b32_e64 v93, v93, v97, s4
	v_cmp_eq_u32_e64 s4, 6, v66
	s_delay_alu instid0(VALU_DEP_2) | instskip(SKIP_1) | instid1(VALU_DEP_1)
	v_cndmask_b32_e32 v93, v93, v95, vcc_lo
	v_div_scale_f32 v94, s5, 1.0, v90, 1.0
	s_mov_b32 vcc_lo, s5
	s_delay_alu instid0(VALU_DEP_2) | instskip(NEXT) | instid1(VALU_DEP_2)
	v_cndmask_b32_e64 v82, v93, v82, s4
	v_mul_f32_e32 v96, v94, v92
	s_mov_b32 s4, exec_lo
	s_delay_alu instid0(VALU_DEP_2) | instskip(NEXT) | instid1(VALU_DEP_2)
	v_cndmask_b32_e64 v82, v82, v89, s6
	v_fma_f32 v98, -v91, v96, v94
	s_delay_alu instid0(VALU_DEP_1) | instskip(NEXT) | instid1(VALU_DEP_1)
	v_fmac_f32_e32 v96, v98, v92
	v_fma_f32 v91, -v91, v96, v94
	s_delay_alu instid0(VALU_DEP_1) | instskip(NEXT) | instid1(VALU_DEP_1)
	v_div_fmas_f32 v91, v91, v92, v96
	v_div_fixup_f32 v90, v91, v90, 1.0
	s_delay_alu instid0(VALU_DEP_1) | instskip(NEXT) | instid1(VALU_DEP_1)
	v_mul_f32_e32 v82, v82, v90
	v_mul_f32_e32 v87, v82, v87
	;; [unrolled: 1-line block ×7, first 2 shown]
	v_dual_mul_f32 v86, v82, v83 :: v_dual_and_b32 v91, 0x7f800000, v90
	v_mul_f32_e32 v85, v82, v76
                                        ; implicit-def: $vgpr76
	s_delay_alu instid0(VALU_DEP_2)
	v_cmpx_ne_u32_e32 0x7f800000, v91
	s_xor_b32 s4, exec_lo, s4
; %bb.13:
	v_bfe_u32 v76, v90, 16, 1
	s_delay_alu instid0(VALU_DEP_1)
	v_add3_u32 v76, v90, v76, 0x7fff
                                        ; implicit-def: $vgpr90
; %bb.14:
	s_and_not1_saveexec_b32 s4, s4
; %bb.15:
	v_and_b32_e32 v76, 0xffff, v90
	v_or_b32_e32 v83, 0x10000, v90
	s_delay_alu instid0(VALU_DEP_2) | instskip(NEXT) | instid1(VALU_DEP_2)
	v_cmp_eq_u32_e32 vcc_lo, 0, v76
	v_cndmask_b32_e32 v76, v83, v90, vcc_lo
; %bb.16:
	s_or_b32 exec_lo, exec_lo, s4
	v_and_b32_e32 v83, 0x7f800000, v85
	s_delay_alu instid0(VALU_DEP_1) | instskip(SKIP_1) | instid1(SALU_CYCLE_1)
	v_cmp_ne_u32_e32 vcc_lo, 0x7f800000, v83
                                        ; implicit-def: $vgpr83
	s_and_saveexec_b32 s4, vcc_lo
	s_xor_b32 s4, exec_lo, s4
; %bb.17:
	v_bfe_u32 v83, v85, 16, 1
	s_delay_alu instid0(VALU_DEP_1)
	v_add3_u32 v83, v85, v83, 0x7fff
                                        ; implicit-def: $vgpr85
; %bb.18:
	s_and_not1_saveexec_b32 s4, s4
; %bb.19:
	v_and_b32_e32 v83, 0xffff, v85
	v_or_b32_e32 v90, 0x10000, v85
	s_delay_alu instid0(VALU_DEP_2) | instskip(NEXT) | instid1(VALU_DEP_2)
	v_cmp_eq_u32_e32 vcc_lo, 0, v83
	v_cndmask_b32_e32 v83, v90, v85, vcc_lo
; %bb.20:
	s_or_b32 exec_lo, exec_lo, s4
	v_and_b32_e32 v85, 0x7f800000, v86
	s_delay_alu instid0(VALU_DEP_1) | instskip(SKIP_1) | instid1(SALU_CYCLE_1)
	v_cmp_ne_u32_e32 vcc_lo, 0x7f800000, v85
                                        ; implicit-def: $vgpr85
	s_and_saveexec_b32 s4, vcc_lo
	s_xor_b32 s4, exec_lo, s4
; %bb.21:
	v_bfe_u32 v85, v86, 16, 1
	s_delay_alu instid0(VALU_DEP_1)
	v_add3_u32 v85, v86, v85, 0x7fff
                                        ; implicit-def: $vgpr86
; %bb.22:
	s_and_not1_saveexec_b32 s4, s4
; %bb.23:
	v_and_b32_e32 v85, 0xffff, v86
	v_or_b32_e32 v90, 0x10000, v86
	s_delay_alu instid0(VALU_DEP_2) | instskip(NEXT) | instid1(VALU_DEP_2)
	v_cmp_eq_u32_e32 vcc_lo, 0, v85
	v_cndmask_b32_e32 v85, v90, v86, vcc_lo
; %bb.24:
	s_or_b32 exec_lo, exec_lo, s4
	v_and_b32_e32 v86, 0x7f800000, v89
	s_delay_alu instid0(VALU_DEP_1) | instskip(SKIP_1) | instid1(SALU_CYCLE_1)
	v_cmp_ne_u32_e32 vcc_lo, 0x7f800000, v86
                                        ; implicit-def: $vgpr86
	s_and_saveexec_b32 s4, vcc_lo
	s_xor_b32 s4, exec_lo, s4
; %bb.25:
	v_bfe_u32 v86, v89, 16, 1
	s_delay_alu instid0(VALU_DEP_1)
	v_add3_u32 v86, v89, v86, 0x7fff
                                        ; implicit-def: $vgpr89
; %bb.26:
	s_and_not1_saveexec_b32 s4, s4
; %bb.27:
	v_and_b32_e32 v86, 0xffff, v89
	v_or_b32_e32 v90, 0x10000, v89
	s_delay_alu instid0(VALU_DEP_2) | instskip(NEXT) | instid1(VALU_DEP_2)
	v_cmp_eq_u32_e32 vcc_lo, 0, v86
	v_cndmask_b32_e32 v86, v90, v89, vcc_lo
; %bb.28:
	s_or_b32 exec_lo, exec_lo, s4
	v_and_b32_e32 v89, 0x7f800000, v88
	s_delay_alu instid0(VALU_DEP_1) | instskip(SKIP_1) | instid1(SALU_CYCLE_1)
	v_cmp_ne_u32_e32 vcc_lo, 0x7f800000, v89
                                        ; implicit-def: $vgpr89
	s_and_saveexec_b32 s4, vcc_lo
	s_xor_b32 s4, exec_lo, s4
; %bb.29:
	v_bfe_u32 v89, v88, 16, 1
	s_delay_alu instid0(VALU_DEP_1)
	v_add3_u32 v89, v88, v89, 0x7fff
                                        ; implicit-def: $vgpr88
; %bb.30:
	s_and_not1_saveexec_b32 s4, s4
; %bb.31:
	v_and_b32_e32 v89, 0xffff, v88
	v_or_b32_e32 v90, 0x10000, v88
	s_delay_alu instid0(VALU_DEP_2) | instskip(NEXT) | instid1(VALU_DEP_2)
	v_cmp_eq_u32_e32 vcc_lo, 0, v89
	v_cndmask_b32_e32 v89, v90, v88, vcc_lo
; %bb.32:
	s_or_b32 exec_lo, exec_lo, s4
	v_and_b32_e32 v88, 0x7f800000, v87
	s_delay_alu instid0(VALU_DEP_1) | instskip(SKIP_1) | instid1(SALU_CYCLE_1)
	v_cmp_ne_u32_e32 vcc_lo, 0x7f800000, v88
                                        ; implicit-def: $vgpr88
	s_and_saveexec_b32 s4, vcc_lo
	s_xor_b32 s4, exec_lo, s4
; %bb.33:
	v_bfe_u32 v88, v87, 16, 1
	s_delay_alu instid0(VALU_DEP_1)
	v_add3_u32 v88, v87, v88, 0x7fff
                                        ; implicit-def: $vgpr87
; %bb.34:
	s_and_not1_saveexec_b32 s4, s4
; %bb.35:
	v_and_b32_e32 v88, 0xffff, v87
	v_or_b32_e32 v90, 0x10000, v87
	s_delay_alu instid0(VALU_DEP_2) | instskip(NEXT) | instid1(VALU_DEP_2)
	v_cmp_eq_u32_e32 vcc_lo, 0, v88
	v_cndmask_b32_e32 v88, v90, v87, vcc_lo
; %bb.36:
	s_or_b32 exec_lo, exec_lo, s4
	v_and_b32_e32 v87, 0x7f800000, v84
	s_delay_alu instid0(VALU_DEP_1) | instskip(SKIP_1) | instid1(SALU_CYCLE_1)
	v_cmp_ne_u32_e32 vcc_lo, 0x7f800000, v87
                                        ; implicit-def: $vgpr87
	s_and_saveexec_b32 s4, vcc_lo
	s_xor_b32 s4, exec_lo, s4
; %bb.37:
	v_bfe_u32 v87, v84, 16, 1
	s_delay_alu instid0(VALU_DEP_1)
	v_add3_u32 v87, v84, v87, 0x7fff
                                        ; implicit-def: $vgpr84
; %bb.38:
	s_and_not1_saveexec_b32 s4, s4
; %bb.39:
	v_and_b32_e32 v87, 0xffff, v84
	v_or_b32_e32 v90, 0x10000, v84
	s_delay_alu instid0(VALU_DEP_2) | instskip(NEXT) | instid1(VALU_DEP_2)
	v_cmp_eq_u32_e32 vcc_lo, 0, v87
	v_cndmask_b32_e32 v87, v90, v84, vcc_lo
; %bb.40:
	s_or_b32 exec_lo, exec_lo, s4
	v_and_b32_e32 v84, 0x7f800000, v80
	s_delay_alu instid0(VALU_DEP_1) | instskip(SKIP_1) | instid1(SALU_CYCLE_1)
	v_cmp_ne_u32_e32 vcc_lo, 0x7f800000, v84
                                        ; implicit-def: $vgpr84
	s_and_saveexec_b32 s4, vcc_lo
	s_xor_b32 s4, exec_lo, s4
; %bb.41:
	v_bfe_u32 v84, v80, 16, 1
	s_delay_alu instid0(VALU_DEP_1)
	v_add3_u32 v84, v80, v84, 0x7fff
                                        ; implicit-def: $vgpr80
; %bb.42:
	s_and_not1_saveexec_b32 s4, s4
; %bb.43:
	v_and_b32_e32 v84, 0xffff, v80
	v_or_b32_e32 v90, 0x10000, v80
	s_delay_alu instid0(VALU_DEP_2) | instskip(NEXT) | instid1(VALU_DEP_2)
	v_cmp_eq_u32_e32 vcc_lo, 0, v84
	v_cndmask_b32_e32 v84, v90, v80, vcc_lo
; %bb.44:
	s_or_b32 exec_lo, exec_lo, s4
	s_load_b64 s[36:37], s[0:1], 0x94
	v_lshlrev_b32_e32 v91, 4, v74
	s_delay_alu instid0(VALU_DEP_2)
	v_perm_b32 v90, v84, v87, 0x7060302
	v_dual_mul_f32 v79, v82, v79 :: v_dual_lshlrev_b32 v80, 6, v65
	v_dual_mul_f32 v77, v82, v77 :: v_dual_lshlrev_b32 v92, 11, v66
	v_mul_f32_e32 v84, v82, v70
	v_perm_b32 v89, v88, v89, 0x7060302
	v_perm_b32 v88, v86, v85, 0x7060302
	;; [unrolled: 1-line block ×3, first 2 shown]
	v_mul_f32_e32 v70, v82, v81
	v_or3_b32 v76, v91, v92, v80
	v_dual_mul_f32 v78, v82, v78 :: v_dual_and_b32 v85, 0x7f800000, v84
	v_mul_f32_e32 v83, v82, v72
	v_mul_f32_e32 v81, v82, v71
	;; [unrolled: 1-line block ×3, first 2 shown]
	s_mov_b32 s4, exec_lo
	ds_store_b128 v76, v[87:90]
                                        ; implicit-def: $vgpr69
	v_cmpx_ne_u32_e32 0x7f800000, v85
	s_xor_b32 s4, exec_lo, s4
; %bb.45:
	v_bfe_u32 v69, v84, 16, 1
	s_delay_alu instid0(VALU_DEP_1)
	v_add3_u32 v69, v84, v69, 0x7fff
                                        ; implicit-def: $vgpr84
; %bb.46:
	s_and_not1_saveexec_b32 s4, s4
; %bb.47:
	v_and_b32_e32 v69, 0xffff, v84
	v_or_b32_e32 v71, 0x10000, v84
	s_delay_alu instid0(VALU_DEP_2) | instskip(NEXT) | instid1(VALU_DEP_2)
	v_cmp_eq_u32_e32 vcc_lo, 0, v69
	v_cndmask_b32_e32 v69, v71, v84, vcc_lo
; %bb.48:
	s_or_b32 exec_lo, exec_lo, s4
	v_and_b32_e32 v71, 0x7f800000, v72
	s_delay_alu instid0(VALU_DEP_1) | instskip(SKIP_1) | instid1(SALU_CYCLE_1)
	v_cmp_ne_u32_e32 vcc_lo, 0x7f800000, v71
                                        ; implicit-def: $vgpr71
	s_and_saveexec_b32 s4, vcc_lo
	s_xor_b32 s4, exec_lo, s4
; %bb.49:
	v_bfe_u32 v71, v72, 16, 1
	s_delay_alu instid0(VALU_DEP_1)
	v_add3_u32 v71, v72, v71, 0x7fff
                                        ; implicit-def: $vgpr72
; %bb.50:
	s_and_not1_saveexec_b32 s4, s4
; %bb.51:
	v_and_b32_e32 v71, 0xffff, v72
	v_or_b32_e32 v82, 0x10000, v72
	s_delay_alu instid0(VALU_DEP_2) | instskip(NEXT) | instid1(VALU_DEP_2)
	v_cmp_eq_u32_e32 vcc_lo, 0, v71
	v_cndmask_b32_e32 v71, v82, v72, vcc_lo
; %bb.52:
	s_or_b32 exec_lo, exec_lo, s4
	v_and_b32_e32 v72, 0x7f800000, v81
	s_delay_alu instid0(VALU_DEP_1) | instskip(SKIP_1) | instid1(SALU_CYCLE_1)
	v_cmp_ne_u32_e32 vcc_lo, 0x7f800000, v72
                                        ; implicit-def: $vgpr72
	s_and_saveexec_b32 s4, vcc_lo
	s_xor_b32 s4, exec_lo, s4
; %bb.53:
	v_bfe_u32 v72, v81, 16, 1
	s_delay_alu instid0(VALU_DEP_1)
	v_add3_u32 v72, v81, v72, 0x7fff
                                        ; implicit-def: $vgpr81
; %bb.54:
	s_and_not1_saveexec_b32 s4, s4
; %bb.55:
	v_and_b32_e32 v72, 0xffff, v81
	v_or_b32_e32 v82, 0x10000, v81
	s_delay_alu instid0(VALU_DEP_2) | instskip(NEXT) | instid1(VALU_DEP_2)
	v_cmp_eq_u32_e32 vcc_lo, 0, v72
	v_cndmask_b32_e32 v72, v82, v81, vcc_lo
; %bb.56:
	s_or_b32 exec_lo, exec_lo, s4
	v_and_b32_e32 v81, 0x7f800000, v83
	s_delay_alu instid0(VALU_DEP_1) | instskip(SKIP_1) | instid1(SALU_CYCLE_1)
	v_cmp_ne_u32_e32 vcc_lo, 0x7f800000, v81
                                        ; implicit-def: $vgpr81
	s_and_saveexec_b32 s4, vcc_lo
	s_xor_b32 s4, exec_lo, s4
; %bb.57:
	v_bfe_u32 v81, v83, 16, 1
	s_delay_alu instid0(VALU_DEP_1)
	v_add3_u32 v81, v83, v81, 0x7fff
                                        ; implicit-def: $vgpr83
; %bb.58:
	s_and_not1_saveexec_b32 s4, s4
; %bb.59:
	v_and_b32_e32 v81, 0xffff, v83
	v_or_b32_e32 v82, 0x10000, v83
	s_delay_alu instid0(VALU_DEP_2) | instskip(NEXT) | instid1(VALU_DEP_2)
	v_cmp_eq_u32_e32 vcc_lo, 0, v81
	v_cndmask_b32_e32 v81, v82, v83, vcc_lo
; %bb.60:
	s_or_b32 exec_lo, exec_lo, s4
	v_and_b32_e32 v82, 0x7f800000, v77
	s_delay_alu instid0(VALU_DEP_1) | instskip(SKIP_1) | instid1(SALU_CYCLE_1)
	v_cmp_ne_u32_e32 vcc_lo, 0x7f800000, v82
                                        ; implicit-def: $vgpr82
	s_and_saveexec_b32 s4, vcc_lo
	s_xor_b32 s4, exec_lo, s4
; %bb.61:
	v_bfe_u32 v82, v77, 16, 1
	s_delay_alu instid0(VALU_DEP_1)
	v_add3_u32 v82, v77, v82, 0x7fff
                                        ; implicit-def: $vgpr77
; %bb.62:
	s_and_not1_saveexec_b32 s4, s4
; %bb.63:
	v_and_b32_e32 v82, 0xffff, v77
	v_or_b32_e32 v83, 0x10000, v77
	s_delay_alu instid0(VALU_DEP_2) | instskip(NEXT) | instid1(VALU_DEP_2)
	v_cmp_eq_u32_e32 vcc_lo, 0, v82
	v_cndmask_b32_e32 v82, v83, v77, vcc_lo
; %bb.64:
	s_or_b32 exec_lo, exec_lo, s4
	v_and_b32_e32 v77, 0x7f800000, v78
	s_delay_alu instid0(VALU_DEP_1) | instskip(SKIP_1) | instid1(SALU_CYCLE_1)
	v_cmp_ne_u32_e32 vcc_lo, 0x7f800000, v77
                                        ; implicit-def: $vgpr77
	s_and_saveexec_b32 s4, vcc_lo
	s_xor_b32 s4, exec_lo, s4
; %bb.65:
	v_bfe_u32 v77, v78, 16, 1
	s_delay_alu instid0(VALU_DEP_1)
	v_add3_u32 v77, v78, v77, 0x7fff
                                        ; implicit-def: $vgpr78
; %bb.66:
	s_and_not1_saveexec_b32 s4, s4
; %bb.67:
	v_and_b32_e32 v77, 0xffff, v78
	v_or_b32_e32 v83, 0x10000, v78
	s_delay_alu instid0(VALU_DEP_2) | instskip(NEXT) | instid1(VALU_DEP_2)
	v_cmp_eq_u32_e32 vcc_lo, 0, v77
	v_cndmask_b32_e32 v77, v83, v78, vcc_lo
; %bb.68:
	s_or_b32 exec_lo, exec_lo, s4
	v_and_b32_e32 v78, 0x7f800000, v79
	s_delay_alu instid0(VALU_DEP_1) | instskip(SKIP_1) | instid1(SALU_CYCLE_1)
	v_cmp_ne_u32_e32 vcc_lo, 0x7f800000, v78
                                        ; implicit-def: $vgpr78
	s_and_saveexec_b32 s4, vcc_lo
	s_xor_b32 s4, exec_lo, s4
; %bb.69:
	v_bfe_u32 v78, v79, 16, 1
	s_delay_alu instid0(VALU_DEP_1)
	v_add3_u32 v78, v79, v78, 0x7fff
                                        ; implicit-def: $vgpr79
; %bb.70:
	s_and_not1_saveexec_b32 s4, s4
; %bb.71:
	v_and_b32_e32 v78, 0xffff, v79
	v_or_b32_e32 v83, 0x10000, v79
	s_delay_alu instid0(VALU_DEP_2) | instskip(NEXT) | instid1(VALU_DEP_2)
	v_cmp_eq_u32_e32 vcc_lo, 0, v78
	v_cndmask_b32_e32 v78, v83, v79, vcc_lo
; %bb.72:
	s_or_b32 exec_lo, exec_lo, s4
	v_and_b32_e32 v79, 0x7f800000, v70
	s_delay_alu instid0(VALU_DEP_1) | instskip(SKIP_1) | instid1(SALU_CYCLE_1)
	v_cmp_ne_u32_e32 vcc_lo, 0x7f800000, v79
                                        ; implicit-def: $vgpr79
	s_and_saveexec_b32 s4, vcc_lo
	s_xor_b32 s4, exec_lo, s4
; %bb.73:
	v_bfe_u32 v79, v70, 16, 1
	s_delay_alu instid0(VALU_DEP_1)
	v_add3_u32 v79, v70, v79, 0x7fff
                                        ; implicit-def: $vgpr70
; %bb.74:
	s_and_not1_saveexec_b32 s4, s4
; %bb.75:
	v_and_b32_e32 v79, 0xffff, v70
	v_or_b32_e32 v83, 0x10000, v70
	s_delay_alu instid0(VALU_DEP_2) | instskip(NEXT) | instid1(VALU_DEP_2)
	v_cmp_eq_u32_e32 vcc_lo, 0, v79
	v_cndmask_b32_e32 v79, v83, v70, vcc_lo
; %bb.76:
	s_or_b32 exec_lo, exec_lo, s4
	s_delay_alu instid0(VALU_DEP_1)
	v_perm_b32 v86, v79, v78, 0x7060302
	v_perm_b32 v85, v77, v82, 0x7060302
	v_perm_b32 v84, v81, v72, 0x7060302
	v_perm_b32 v83, v71, v69, 0x7060302
	v_lshl_or_b32 v82, v66, 11, v80
	ds_store_b128 v76, v[83:86] offset:1024
	s_waitcnt lgkmcnt(0)
	s_barrier
	buffer_gl0_inv
	ds_load_b128 v[69:72], v82
	ds_load_b128 v[83:86], v82 offset:16
	s_waitcnt lgkmcnt(1)
	v_lshrrev_b32_e32 v66, 16, v69
	s_waitcnt lgkmcnt(0)
	v_lshrrev_b32_e32 v91, 16, v83
	v_lshlrev_b32_e32 v78, 2, v74
	v_lshrrev_b32_e32 v95, 16, v70
	v_lshrrev_b32_e32 v98, 16, v84
	;; [unrolled: 1-line block ×4, first 2 shown]
	v_cmp_eq_u32_e32 vcc_lo, 1, v78
	v_lshrrev_b32_e32 v97, 16, v72
	v_lshrrev_b32_e32 v100, 16, v86
	v_cndmask_b32_e32 v87, v83, v91, vcc_lo
	v_or_b32_e32 v79, 1, v78
	v_cndmask_b32_e32 v81, v69, v66, vcc_lo
	v_cmp_eq_u32_e64 s5, 2, v78
	v_cmp_eq_u32_e64 s8, 3, v78
	;; [unrolled: 1-line block ×5, first 2 shown]
	v_cndmask_b32_e64 v81, v81, v70, s5
	v_cndmask_b32_e64 v87, v87, v84, s5
	v_cmp_eq_u32_e64 s9, 3, v79
	v_cndmask_b32_e64 v88, v69, v66, s4
	v_or_b32_e32 v77, 2, v78
	v_cndmask_b32_e64 v81, v81, v95, s8
	v_cndmask_b32_e64 v87, v87, v98, s8
	;; [unrolled: 1-line block ×4, first 2 shown]
	v_cmp_eq_u32_e64 s11, 5, v78
	v_cndmask_b32_e64 v81, v81, v71, s10
	v_cndmask_b32_e64 v87, v87, v85, s10
	v_cmp_eq_u32_e64 s12, 4, v79
	v_cndmask_b32_e64 v88, v88, v95, s9
	v_cmp_eq_u32_e64 s6, 1, v77
	v_cndmask_b32_e64 v89, v89, v84, s7
	v_cndmask_b32_e64 v81, v81, v96, s11
	v_cmp_eq_u32_e64 s13, 6, v78
	v_cndmask_b32_e64 v88, v88, v71, s12
	;; [unrolled: 3-line block ×3, first 2 shown]
	v_cndmask_b32_e64 v89, v89, v98, s9
	v_cndmask_b32_e64 v81, v81, v72, s13
	v_cmp_eq_u32_e64 s16, 7, v78
	v_cndmask_b32_e64 v88, v88, v96, s15
	v_cndmask_b32_e64 v87, v87, v86, s13
	v_cmp_eq_u32_e64 s17, 6, v79
	v_cmp_eq_u32_e64 s18, 2, v77
	v_cndmask_b32_e64 v89, v89, v85, s12
	v_cndmask_b32_e64 v101, v81, v97, s16
	v_cndmask_b32_e64 v102, v87, v100, s16
	v_cndmask_b32_e64 v88, v88, v72, s17
	v_cndmask_b32_e64 v81, v90, v70, s18
	v_cndmask_b32_e64 v87, v83, v91, s6
	v_cmp_eq_u32_e64 s19, 7, v79
	v_cmp_eq_u32_e64 s20, 3, v77
	v_cmp_eq_u32_e64 s21, 4, v77
	v_cmp_eq_u32_e64 s23, 5, v77
	v_cndmask_b32_e64 v87, v87, v84, s18
	v_cndmask_b32_e64 v103, v88, v97, s19
	;; [unrolled: 1-line block ×4, first 2 shown]
	v_or_b32_e32 v81, 3, v78
	v_cndmask_b32_e64 v93, v87, v98, s20
	v_cmp_eq_u32_e64 s25, 6, v77
	v_cndmask_b32_e64 v104, v88, v86, s17
	v_cndmask_b32_e64 v92, v89, v71, s21
	v_cmp_eq_u32_e64 s22, 1, v81
	ds_load_b128 v[87:90], v82 offset:1024
	v_cmp_eq_u32_e64 s24, 2, v81
	v_cmp_eq_u32_e64 s26, 3, v81
	v_cndmask_b32_e64 v105, v92, v96, s23
	v_cndmask_b32_e64 v66, v69, v66, s22
	;; [unrolled: 1-line block ×4, first 2 shown]
	ds_load_b128 v[91:94], v82 offset:1040
	v_cmp_eq_u32_e64 s27, 4, v81
	v_cndmask_b32_e64 v66, v66, v70, s24
	v_cmp_eq_u32_e64 s28, 7, v77
	v_cndmask_b32_e64 v70, v83, v84, s24
	v_cndmask_b32_e64 v84, v105, v72, s25
	v_cmp_eq_u32_e64 s29, 5, v81
	v_cndmask_b32_e64 v66, v66, v95, s26
	v_cmp_eq_u32_e64 s30, 6, v81
	v_cndmask_b32_e64 v70, v70, v98, s26
	v_cndmask_b32_e64 v69, v69, v99, s23
	;; [unrolled: 1-line block ×4, first 2 shown]
	s_waitcnt lgkmcnt(1)
	v_lshrrev_b32_e32 v95, 16, v87
	v_cndmask_b32_e64 v70, v70, v85, s27
	v_cndmask_b32_e64 v71, v84, v97, s28
	;; [unrolled: 1-line block ×4, first 2 shown]
	v_cndmask_b32_e32 v84, v87, v95, vcc_lo
	v_cndmask_b32_e64 v70, v70, v99, s29
	s_waitcnt lgkmcnt(0)
	v_lshrrev_b32_e32 v85, 16, v91
	v_lshrrev_b32_e32 v96, 16, v88
	v_cndmask_b32_e64 v98, v87, v95, s4
	v_cndmask_b32_e64 v84, v84, v88, s5
	;; [unrolled: 1-line block ×3, first 2 shown]
	v_cndmask_b32_e32 v99, v91, v85, vcc_lo
	v_cmp_eq_u32_e32 vcc_lo, 7, v81
	v_cndmask_b32_e64 v66, v66, v72, s30
	v_cndmask_b32_e64 v72, v84, v96, s8
	;; [unrolled: 1-line block ×3, first 2 shown]
	v_lshrrev_b32_e32 v98, 16, v92
	v_cndmask_b32_e32 v70, v70, v100, vcc_lo
	v_cndmask_b32_e64 v86, v99, v92, s5
	v_cndmask_b32_e64 v69, v69, v100, s28
	v_lshrrev_b32_e32 v100, 16, v93
	v_cndmask_b32_e64 v72, v72, v89, s10
	v_lshrrev_b32_e32 v99, 16, v89
	v_cndmask_b32_e64 v86, v86, v98, s8
	v_perm_b32 v71, v69, v71, 0x5040100
	v_cndmask_b32_e64 v84, v84, v96, s9
	s_delay_alu instid0(VALU_DEP_3) | instskip(NEXT) | instid1(VALU_DEP_2)
	v_cndmask_b32_e64 v86, v86, v93, s10
	v_cndmask_b32_e64 v84, v84, v89, s12
	s_delay_alu instid0(VALU_DEP_2) | instskip(NEXT) | instid1(VALU_DEP_1)
	v_cndmask_b32_e64 v86, v86, v100, s11
	v_cndmask_b32_e64 v69, v86, v94, s13
	;; [unrolled: 1-line block ×5, first 2 shown]
	s_delay_alu instid0(VALU_DEP_3) | instskip(NEXT) | instid1(VALU_DEP_3)
	v_cndmask_b32_e64 v86, v86, v88, s18
	v_cndmask_b32_e64 v87, v87, v88, s24
	s_delay_alu instid0(VALU_DEP_3) | instskip(NEXT) | instid1(VALU_DEP_3)
	v_cndmask_b32_e64 v88, v95, v92, s24
	v_cndmask_b32_e64 v86, v86, v96, s20
	;; [unrolled: 3-line block ×7, first 2 shown]
	s_delay_alu instid0(VALU_DEP_3) | instskip(SKIP_2) | instid1(VALU_DEP_2)
	v_cndmask_b32_e64 v88, v88, v94, s30
	v_cndmask_b32_e32 v66, v66, v97, vcc_lo
	v_cndmask_b32_e64 v97, v72, v99, s11
	v_perm_b32 v72, v70, v66, 0x5040100
	v_perm_b32 v70, v83, v103, 0x5040100
	v_cndmask_b32_e64 v103, v91, v85, s6
	v_cndmask_b32_e64 v85, v91, v85, s4
	;; [unrolled: 1-line block ×4, first 2 shown]
	v_lshrrev_b32_e32 v97, 16, v90
	v_cndmask_b32_e64 v91, v103, v92, s18
	v_cndmask_b32_e64 v85, v85, v92, s7
	;; [unrolled: 1-line block ×3, first 2 shown]
	s_mov_b32 s4, exec_lo
	v_cndmask_b32_e64 v83, v84, v97, s16
	v_cndmask_b32_e64 v91, v91, v98, s20
	;; [unrolled: 1-line block ×3, first 2 shown]
	v_lshrrev_b32_e32 v84, 16, v94
	v_cndmask_b32_e64 v66, v66, v97, s19
	v_cndmask_b32_e64 v90, v86, v97, s28
	;; [unrolled: 1-line block ×4, first 2 shown]
	v_dual_cndmask_b32 v86, v87, v97 :: v_dual_cndmask_b32 v87, v88, v84
	v_cndmask_b32_e64 v91, v69, v84, s16
	s_delay_alu instid0(VALU_DEP_4) | instskip(NEXT) | instid1(VALU_DEP_4)
	v_cndmask_b32_e64 v89, v89, v100, s23
	v_cndmask_b32_e64 v85, v85, v100, s15
	v_perm_b32 v69, v102, v101, 0x5040100
	v_perm_b32 v86, v87, v86, 0x5040100
	;; [unrolled: 1-line block ×3, first 2 shown]
	v_cndmask_b32_e64 v89, v89, v94, s25
	v_cndmask_b32_e64 v85, v85, v94, s17
	s_mul_i32 s9, s37, 13
	s_delay_alu instid0(VALU_DEP_2) | instskip(NEXT) | instid1(VALU_DEP_2)
	v_cndmask_b32_e64 v88, v89, v84, s28
	v_cndmask_b32_e64 v89, v85, v84, s19
	s_delay_alu instid0(VALU_DEP_2) | instskip(NEXT) | instid1(VALU_DEP_2)
	v_perm_b32 v85, v88, v90, 0x5040100
	v_perm_b32 v84, v89, v66, 0x5040100
	ds_store_b128 v76, v[69:72]
	ds_store_b128 v76, v[83:86] offset:1024
	v_cmpx_gt_u32_e32 13, v0
	s_cbranch_execz .LBB1378_78
; %bb.77:
	s_mul_i32 s5, s9, s34
	s_load_b128 s[16:19], s[0:1], 0x58
	v_add3_u32 v69, s5, s31, v65
	s_delay_alu instid0(VALU_DEP_1) | instskip(NEXT) | instid1(VALU_DEP_1)
	v_mad_u64_u32 v[65:66], null, v69, s36, s[14:15]
	v_ashrrev_i32_e32 v66, 31, v65
	s_delay_alu instid0(VALU_DEP_1) | instskip(SKIP_1) | instid1(VALU_DEP_1)
	v_lshlrev_b64 v[65:66], 2, v[65:66]
	s_waitcnt lgkmcnt(0)
	v_add_co_u32 v69, vcc_lo, s18, v65
	s_delay_alu instid0(VALU_DEP_2)
	v_add_co_ci_u32_e32 v70, vcc_lo, s19, v66, vcc_lo
	v_add_co_u32 v65, vcc_lo, s16, v65
	v_add_co_ci_u32_e32 v66, vcc_lo, s17, v66, vcc_lo
	global_store_b32 v[69:70], v67, off
	global_store_b32 v[65:66], v68, off
.LBB1378_78:
	s_or_b32 exec_lo, exec_lo, s4
	s_waitcnt lgkmcnt(0)
	s_waitcnt_vscnt null, 0x0
	s_barrier
	buffer_gl0_inv
	ds_load_b128 v[83:86], v80
	ds_load_b128 v[87:90], v80 offset:16
	ds_load_b128 v[95:98], v80 offset:2064
	;; [unrolled: 1-line block ×3, first 2 shown]
	v_mov_b32_e32 v65, 0
	ds_load_b128 v[103:106], v80 offset:4112
	ds_load_b128 v[99:102], v80 offset:4096
	;; [unrolled: 1-line block ×4, first 2 shown]
	v_mov_b32_e32 v66, v65
	v_mov_b32_e32 v67, v65
	;; [unrolled: 1-line block ×7, first 2 shown]
	s_waitcnt lgkmcnt(6)
	s_delay_alu instid0(VALU_DEP_1)
	v_wmma_f32_16x16x16_bf16 v[65:72], v[57:64], v[83:90], v[65:72]
	ds_load_b128 v[61:64], v80 offset:8208
	ds_load_b128 v[57:60], v80 offset:8192
	s_waitcnt lgkmcnt(6)
	v_wmma_f32_16x16x16_bf16 v[65:72], v[41:48], v[91:98], v[65:72]
	ds_load_b128 v[45:48], v80 offset:10256
	ds_load_b128 v[41:44], v80 offset:10240
	s_waitcnt lgkmcnt(6)
	;; [unrolled: 4-line block ×4, first 2 shown]
	v_wmma_f32_16x16x16_bf16 v[65:72], v[1:8], v[57:64], v[65:72]
	s_waitcnt lgkmcnt(4)
	s_delay_alu instid0(VALU_DEP_1) | instskip(SKIP_1) | instid1(VALU_DEP_1)
	v_wmma_f32_16x16x16_bf16 v[65:72], v[9:16], v[41:48], v[65:72]
	s_waitcnt lgkmcnt(2)
	v_wmma_f32_16x16x16_bf16 v[65:72], v[17:24], v[33:40], v[65:72]
	s_waitcnt lgkmcnt(0)
	s_delay_alu instid0(VALU_DEP_1) | instskip(NEXT) | instid1(VALU_DEP_1)
	v_wmma_f32_16x16x16_bf16 v[65:72], v[49:56], v[25:32], v[65:72]
	v_and_b32_e32 v1, 0x7f800000, v65
	s_delay_alu instid0(VALU_DEP_1) | instskip(SKIP_1) | instid1(SALU_CYCLE_1)
	v_cmp_ne_u32_e32 vcc_lo, 0x7f800000, v1
                                        ; implicit-def: $vgpr1
	s_and_saveexec_b32 s4, vcc_lo
	s_xor_b32 s4, exec_lo, s4
; %bb.79:
	v_bfe_u32 v1, v65, 16, 1
	s_delay_alu instid0(VALU_DEP_1)
	v_add3_u32 v1, v65, v1, 0x7fff
; %bb.80:
	s_and_not1_saveexec_b32 s4, s4
; %bb.81:
	v_and_b32_e32 v1, 0xffff, v65
	v_or_b32_e32 v2, 0x10000, v65
	s_delay_alu instid0(VALU_DEP_2) | instskip(NEXT) | instid1(VALU_DEP_2)
	v_cmp_eq_u32_e32 vcc_lo, 0, v1
	v_cndmask_b32_e32 v1, v2, v65, vcc_lo
; %bb.82:
	s_or_b32 exec_lo, exec_lo, s4
	v_and_b32_e32 v2, 0x7f800000, v66
	s_delay_alu instid0(VALU_DEP_1) | instskip(SKIP_1) | instid1(SALU_CYCLE_1)
	v_cmp_ne_u32_e32 vcc_lo, 0x7f800000, v2
                                        ; implicit-def: $vgpr2
	s_and_saveexec_b32 s4, vcc_lo
	s_xor_b32 s4, exec_lo, s4
; %bb.83:
	v_bfe_u32 v2, v66, 16, 1
	s_delay_alu instid0(VALU_DEP_1)
	v_add3_u32 v2, v66, v2, 0x7fff
; %bb.84:
	s_and_not1_saveexec_b32 s4, s4
; %bb.85:
	v_and_b32_e32 v2, 0xffff, v66
	v_or_b32_e32 v3, 0x10000, v66
	s_delay_alu instid0(VALU_DEP_2) | instskip(NEXT) | instid1(VALU_DEP_2)
	v_cmp_eq_u32_e32 vcc_lo, 0, v2
	v_cndmask_b32_e32 v2, v3, v66, vcc_lo
; %bb.86:
	s_or_b32 exec_lo, exec_lo, s4
	v_and_b32_e32 v3, 0x7f800000, v67
	s_delay_alu instid0(VALU_DEP_1) | instskip(SKIP_1) | instid1(SALU_CYCLE_1)
	v_cmp_ne_u32_e32 vcc_lo, 0x7f800000, v3
                                        ; implicit-def: $vgpr3
	s_and_saveexec_b32 s4, vcc_lo
	s_xor_b32 s4, exec_lo, s4
; %bb.87:
	v_bfe_u32 v3, v67, 16, 1
	s_delay_alu instid0(VALU_DEP_1)
	v_add3_u32 v3, v67, v3, 0x7fff
; %bb.88:
	s_and_not1_saveexec_b32 s4, s4
; %bb.89:
	v_and_b32_e32 v3, 0xffff, v67
	v_or_b32_e32 v4, 0x10000, v67
	s_delay_alu instid0(VALU_DEP_2) | instskip(NEXT) | instid1(VALU_DEP_2)
	v_cmp_eq_u32_e32 vcc_lo, 0, v3
	v_cndmask_b32_e32 v3, v4, v67, vcc_lo
; %bb.90:
	s_or_b32 exec_lo, exec_lo, s4
	v_and_b32_e32 v4, 0x7f800000, v68
	s_delay_alu instid0(VALU_DEP_1) | instskip(SKIP_1) | instid1(SALU_CYCLE_1)
	v_cmp_ne_u32_e32 vcc_lo, 0x7f800000, v4
                                        ; implicit-def: $vgpr4
	s_and_saveexec_b32 s4, vcc_lo
	s_xor_b32 s4, exec_lo, s4
; %bb.91:
	v_bfe_u32 v4, v68, 16, 1
	s_delay_alu instid0(VALU_DEP_1)
	v_add3_u32 v4, v68, v4, 0x7fff
; %bb.92:
	s_and_not1_saveexec_b32 s4, s4
; %bb.93:
	v_and_b32_e32 v4, 0xffff, v68
	v_or_b32_e32 v5, 0x10000, v68
	s_delay_alu instid0(VALU_DEP_2) | instskip(NEXT) | instid1(VALU_DEP_2)
	v_cmp_eq_u32_e32 vcc_lo, 0, v4
	v_cndmask_b32_e32 v4, v5, v68, vcc_lo
; %bb.94:
	s_or_b32 exec_lo, exec_lo, s4
	v_and_b32_e32 v5, 0x7f800000, v69
	s_delay_alu instid0(VALU_DEP_1) | instskip(SKIP_1) | instid1(SALU_CYCLE_1)
	v_cmp_ne_u32_e32 vcc_lo, 0x7f800000, v5
                                        ; implicit-def: $vgpr5
	s_and_saveexec_b32 s4, vcc_lo
	s_xor_b32 s4, exec_lo, s4
; %bb.95:
	v_bfe_u32 v5, v69, 16, 1
	s_delay_alu instid0(VALU_DEP_1)
	v_add3_u32 v5, v69, v5, 0x7fff
; %bb.96:
	s_and_not1_saveexec_b32 s4, s4
; %bb.97:
	v_and_b32_e32 v5, 0xffff, v69
	v_or_b32_e32 v6, 0x10000, v69
	s_delay_alu instid0(VALU_DEP_2) | instskip(NEXT) | instid1(VALU_DEP_2)
	v_cmp_eq_u32_e32 vcc_lo, 0, v5
	v_cndmask_b32_e32 v5, v6, v69, vcc_lo
; %bb.98:
	s_or_b32 exec_lo, exec_lo, s4
	v_and_b32_e32 v6, 0x7f800000, v70
	s_delay_alu instid0(VALU_DEP_1) | instskip(SKIP_1) | instid1(SALU_CYCLE_1)
	v_cmp_ne_u32_e32 vcc_lo, 0x7f800000, v6
                                        ; implicit-def: $vgpr6
	s_and_saveexec_b32 s4, vcc_lo
	s_xor_b32 s4, exec_lo, s4
; %bb.99:
	v_bfe_u32 v6, v70, 16, 1
	s_delay_alu instid0(VALU_DEP_1)
	v_add3_u32 v6, v70, v6, 0x7fff
; %bb.100:
	s_and_not1_saveexec_b32 s4, s4
; %bb.101:
	v_and_b32_e32 v6, 0xffff, v70
	v_or_b32_e32 v7, 0x10000, v70
	s_delay_alu instid0(VALU_DEP_2) | instskip(NEXT) | instid1(VALU_DEP_2)
	v_cmp_eq_u32_e32 vcc_lo, 0, v6
	v_cndmask_b32_e32 v6, v7, v70, vcc_lo
; %bb.102:
	s_or_b32 exec_lo, exec_lo, s4
	v_and_b32_e32 v7, 0x7f800000, v71
	s_delay_alu instid0(VALU_DEP_1) | instskip(SKIP_1) | instid1(SALU_CYCLE_1)
	v_cmp_ne_u32_e32 vcc_lo, 0x7f800000, v7
                                        ; implicit-def: $vgpr7
	s_and_saveexec_b32 s4, vcc_lo
	s_xor_b32 s4, exec_lo, s4
; %bb.103:
	v_bfe_u32 v7, v71, 16, 1
	s_delay_alu instid0(VALU_DEP_1)
	v_add3_u32 v7, v71, v7, 0x7fff
; %bb.104:
	s_and_not1_saveexec_b32 s4, s4
; %bb.105:
	v_and_b32_e32 v7, 0xffff, v71
	v_or_b32_e32 v8, 0x10000, v71
	s_delay_alu instid0(VALU_DEP_2) | instskip(NEXT) | instid1(VALU_DEP_2)
	v_cmp_eq_u32_e32 vcc_lo, 0, v7
	v_cndmask_b32_e32 v7, v8, v71, vcc_lo
; %bb.106:
	s_or_b32 exec_lo, exec_lo, s4
	v_and_b32_e32 v8, 0x7f800000, v72
	s_delay_alu instid0(VALU_DEP_1) | instskip(SKIP_1) | instid1(SALU_CYCLE_1)
	v_cmp_ne_u32_e32 vcc_lo, 0x7f800000, v8
                                        ; implicit-def: $vgpr8
	s_and_saveexec_b32 s4, vcc_lo
	s_xor_b32 s4, exec_lo, s4
; %bb.107:
	v_bfe_u32 v8, v72, 16, 1
	s_delay_alu instid0(VALU_DEP_1)
	v_add3_u32 v8, v72, v8, 0x7fff
                                        ; implicit-def: $vgpr65_vgpr66_vgpr67_vgpr68_vgpr69_vgpr70_vgpr71_vgpr72
; %bb.108:
	s_and_not1_saveexec_b32 s4, s4
; %bb.109:
	v_and_b32_e32 v8, 0xffff, v72
	v_or_b32_e32 v9, 0x10000, v72
	s_delay_alu instid0(VALU_DEP_2) | instskip(NEXT) | instid1(VALU_DEP_2)
	v_cmp_eq_u32_e32 vcc_lo, 0, v8
	v_cndmask_b32_e32 v8, v9, v72, vcc_lo
; %bb.110:
	s_or_b32 exec_lo, exec_lo, s4
	s_delay_alu instid0(VALU_DEP_1)
	v_perm_b32 v7, v8, v7, 0x7060302
	v_perm_b32 v6, v6, v5, 0x7060302
	;; [unrolled: 1-line block ×4, first 2 shown]
	s_barrier
	buffer_gl0_inv
	v_cmp_eq_u32_e32 vcc_lo, 1, v78
	ds_store_b128 v76, v[4:7]
	s_waitcnt lgkmcnt(0)
	s_barrier
	buffer_gl0_inv
	ds_load_b128 v[1:4], v82
	ds_load_b128 v[5:8], v82 offset:16
	v_cmp_eq_u32_e64 s4, 1, v79
	v_cmp_eq_u32_e64 s5, 2, v78
	;; [unrolled: 1-line block ×5, first 2 shown]
	s_waitcnt lgkmcnt(1)
	v_lshrrev_b32_e32 v9, 16, v1
	s_waitcnt lgkmcnt(0)
	v_lshrrev_b32_e32 v13, 16, v5
	v_lshrrev_b32_e32 v10, 16, v2
	;; [unrolled: 1-line block ×4, first 2 shown]
	v_cndmask_b32_e64 v19, v1, v9, s4
	v_cndmask_b32_e32 v18, v5, v13, vcc_lo
	v_cndmask_b32_e64 v20, v5, v13, s4
	v_cndmask_b32_e32 v17, v1, v9, vcc_lo
	v_cmp_eq_u32_e32 vcc_lo, 2, v79
	v_lshrrev_b32_e32 v15, 16, v7
	v_cmp_eq_u32_e64 s4, 1, v77
	v_lshrrev_b32_e32 v12, 16, v4
	v_lshrrev_b32_e32 v16, 16, v8
	v_cndmask_b32_e32 v20, v20, v6, vcc_lo
	v_cndmask_b32_e64 v17, v17, v2, s5
	v_cndmask_b32_e32 v19, v19, v2, vcc_lo
	v_cndmask_b32_e64 v18, v18, v6, s5
	v_cmp_eq_u32_e32 vcc_lo, 4, v78
	v_cmp_eq_u32_e64 s5, 3, v79
	v_cndmask_b32_e64 v17, v17, v10, s6
	v_cndmask_b32_e64 v21, v1, v9, s4
	;; [unrolled: 1-line block ×5, first 2 shown]
	v_cndmask_b32_e32 v17, v17, v3, vcc_lo
	v_cndmask_b32_e64 v20, v20, v14, s5
	v_cndmask_b32_e32 v18, v18, v7, vcc_lo
	v_cmp_eq_u32_e32 vcc_lo, 4, v79
	v_cmp_eq_u32_e64 s5, 5, v79
	v_cmp_eq_u32_e64 s4, 2, v81
	v_cndmask_b32_e64 v21, v21, v2, s8
	v_cmp_eq_u32_e64 s6, 5, v78
	v_cndmask_b32_e32 v19, v19, v3, vcc_lo
	v_cndmask_b32_e32 v20, v20, v7, vcc_lo
	v_cmp_eq_u32_e32 vcc_lo, 6, v79
	s_delay_alu instid0(VALU_DEP_4) | instskip(NEXT) | instid1(VALU_DEP_4)
	v_cndmask_b32_e64 v17, v17, v11, s6
	v_cndmask_b32_e64 v19, v19, v11, s5
	s_delay_alu instid0(VALU_DEP_4) | instskip(SKIP_1) | instid1(VALU_DEP_3)
	v_cndmask_b32_e64 v20, v20, v15, s5
	v_cmp_eq_u32_e64 s5, 1, v81
	v_cndmask_b32_e32 v19, v19, v4, vcc_lo
	v_cndmask_b32_e64 v18, v18, v15, s6
	s_delay_alu instid0(VALU_DEP_3)
	v_cndmask_b32_e64 v1, v1, v9, s5
	v_cndmask_b32_e64 v5, v5, v13, s5
	v_cmp_eq_u32_e64 s5, 3, v77
	v_cndmask_b32_e64 v13, v22, v6, s8
	v_cmp_eq_u32_e64 s8, 3, v81
	v_cndmask_b32_e64 v1, v1, v2, s4
	v_cndmask_b32_e64 v2, v5, v6, s4
	;; [unrolled: 1-line block ×3, first 2 shown]
	v_cmp_eq_u32_e64 s4, 4, v77
	v_cndmask_b32_e64 v6, v13, v14, s5
	v_cndmask_b32_e64 v1, v1, v10, s8
	v_cmp_eq_u32_e64 s5, 4, v81
	v_cndmask_b32_e64 v2, v2, v14, s8
	v_cndmask_b32_e64 v5, v9, v3, s4
	v_cmp_eq_u32_e64 s8, 5, v77
	v_cndmask_b32_e64 v6, v6, v7, s4
	v_cndmask_b32_e64 v1, v1, v3, s5
	v_cndmask_b32_e64 v2, v2, v7, s5
	v_cmp_eq_u32_e64 s4, 5, v81
	v_cmp_eq_u32_e64 s6, 6, v78
	v_cndmask_b32_e64 v5, v5, v11, s8
	v_cmp_eq_u32_e64 s5, 6, v77
	v_cndmask_b32_e64 v3, v6, v15, s8
	v_cndmask_b32_e64 v1, v1, v11, s4
	v_cmp_eq_u32_e64 s8, 6, v81
	v_cndmask_b32_e64 v2, v2, v15, s4
	v_cndmask_b32_e64 v17, v17, v4, s6
	v_cndmask_b32_e64 v18, v18, v8, s6
	v_cmp_eq_u32_e64 s6, 7, v78
	v_cndmask_b32_e64 v5, v5, v4, s5
	;; [unrolled: 4-line block ×3, first 2 shown]
	v_cmp_eq_u32_e64 s5, 7, v77
	v_cndmask_b32_e32 v4, v20, v8, vcc_lo
	v_cndmask_b32_e64 v17, v17, v12, s6
	v_cndmask_b32_e64 v19, v19, v12, s7
	;; [unrolled: 1-line block ×8, first 2 shown]
	v_cmp_gt_u32_e32 vcc_lo, 32, v0
	v_perm_b32 v4, v2, v1, 0x5040100
	v_perm_b32 v3, v3, v5, 0x5040100
	;; [unrolled: 1-line block ×4, first 2 shown]
	s_and_b32 s2, vcc_lo, s2
	ds_store_b128 v76, v[1:4]
	s_waitcnt lgkmcnt(0)
	s_barrier
	buffer_gl0_inv
	s_and_saveexec_b32 s4, s2
	s_cbranch_execz .LBB1378_2
; %bb.111:
	s_load_b64 s[4:5], s[0:1], 0x68
	v_lshlrev_b32_e32 v0, 10, v0
	v_lshlrev_b32_e32 v1, 4, v75
	s_lshl_b32 s0, s36, 6
	v_add_nc_u32_e32 v18, s31, v74
	s_mul_i32 s1, s0, s34
	s_delay_alu instid0(VALU_DEP_2) | instskip(SKIP_1) | instid1(VALU_DEP_2)
	v_and_or_b32 v0, 0x3800, v0, v1
	s_mul_i32 s6, s1, s9
	v_mul_lo_u32 v1, v18, s0
	s_ashr_i32 s7, s6, 31
	v_add_nc_u32_e32 v2, 2, v18
	v_lshl_or_b32 v19, v74, 6, v0
	s_lshl_b64 s[6:7], s[6:7], 1
	v_add_nc_u32_e32 v8, 4, v18
	v_add_nc_u32_e32 v15, 6, v18
	v_mul_lo_u32 v7, v2, s0
	ds_load_b128 v[3:6], v19
	v_ashrrev_i32_e32 v2, 31, v1
	v_mul_lo_u32 v11, v8, s0
	s_waitcnt lgkmcnt(0)
	s_add_u32 s1, s4, s6
	s_addc_u32 s2, s5, s7
	s_lshl_b32 s4, s14, 6
	v_lshlrev_b64 v[9:10], 1, v[1:2]
	s_ashr_i32 s5, s4, 31
	v_ashrrev_i32_e32 v8, 31, v7
	s_lshl_b64 s[4:5], s[4:5], 1
	v_ashrrev_i32_e32 v12, 31, v11
	s_add_u32 s1, s1, s4
	s_addc_u32 s2, s2, s5
	v_add_co_u32 v1, s1, s1, v73
	s_delay_alu instid0(VALU_DEP_1) | instskip(SKIP_1) | instid1(VALU_DEP_3)
	v_add_co_ci_u32_e64 v2, null, s2, 0, s1
	v_mul_lo_u32 v15, v15, s0
	v_add_co_u32 v13, vcc_lo, v1, v9
	s_delay_alu instid0(VALU_DEP_3)
	v_add_co_ci_u32_e32 v14, vcc_lo, v2, v10, vcc_lo
	v_lshlrev_b64 v[16:17], 1, v[7:8]
	ds_load_b128 v[7:10], v19 offset:128
	global_store_b128 v[13:14], v[3:6], off
	v_add_nc_u32_e32 v5, 8, v18
	v_lshlrev_b64 v[3:4], 1, v[11:12]
	v_add_co_u32 v23, vcc_lo, v1, v16
	v_ashrrev_i32_e32 v16, 31, v15
	s_delay_alu instid0(VALU_DEP_4) | instskip(SKIP_3) | instid1(VALU_DEP_3)
	v_mul_lo_u32 v25, v5, s0
	v_add_nc_u32_e32 v5, 10, v18
	v_add_co_ci_u32_e32 v24, vcc_lo, v2, v17, vcc_lo
	v_add_co_u32 v27, vcc_lo, v1, v3
	v_mul_lo_u32 v29, v5, s0
	v_add_co_ci_u32_e32 v28, vcc_lo, v2, v4, vcc_lo
	v_lshlrev_b64 v[31:32], 1, v[15:16]
	ds_load_b128 v[3:6], v19 offset:256
	ds_load_b128 v[11:14], v19 offset:384
	;; [unrolled: 1-line block ×4, first 2 shown]
	v_ashrrev_i32_e32 v26, 31, v25
	v_ashrrev_i32_e32 v30, 31, v29
	v_add_co_u32 v31, vcc_lo, v1, v31
	s_delay_alu instid0(VALU_DEP_3) | instskip(SKIP_1) | instid1(VALU_DEP_4)
	v_lshlrev_b64 v[25:26], 1, v[25:26]
	v_add_co_ci_u32_e32 v32, vcc_lo, v2, v32, vcc_lo
	v_lshlrev_b64 v[29:30], 1, v[29:30]
	s_delay_alu instid0(VALU_DEP_3) | instskip(NEXT) | instid1(VALU_DEP_4)
	v_add_co_u32 v25, vcc_lo, v1, v25
	v_add_co_ci_u32_e32 v26, vcc_lo, v2, v26, vcc_lo
	s_delay_alu instid0(VALU_DEP_3) | instskip(NEXT) | instid1(VALU_DEP_4)
	v_add_co_u32 v29, vcc_lo, v1, v29
	v_add_co_ci_u32_e32 v30, vcc_lo, v2, v30, vcc_lo
	s_waitcnt lgkmcnt(4)
	global_store_b128 v[23:24], v[7:10], off
	s_waitcnt lgkmcnt(3)
	global_store_b128 v[27:28], v[3:6], off
	;; [unrolled: 2-line block ×5, first 2 shown]
	s_and_b32 exec_lo, exec_lo, s3
	s_cbranch_execz .LBB1378_2
; %bb.112:
	ds_load_b128 v[3:6], v0 offset:768
	s_add_i32 s1, s31, 12
	s_delay_alu instid0(SALU_CYCLE_1) | instskip(NEXT) | instid1(SALU_CYCLE_1)
	s_mul_i32 s0, s1, s0
	s_ashr_i32 s1, s0, 31
	s_delay_alu instid0(SALU_CYCLE_1) | instskip(NEXT) | instid1(SALU_CYCLE_1)
	s_lshl_b64 s[0:1], s[0:1], 1
	v_add_co_u32 v0, vcc_lo, v1, s0
	v_add_co_ci_u32_e32 v1, vcc_lo, s1, v2, vcc_lo
	s_waitcnt lgkmcnt(0)
	global_store_b128 v[0:1], v[3:6], off
	s_nop 0
	s_sendmsg sendmsg(MSG_DEALLOC_VGPRS)
	s_endpgm
	.section	.rodata,"a",@progbits
	.p2align	6, 0x0
	.amdhsa_kernel _Z39paged_attention_ll4mi_QKV_mfma16_kernelI14__hip_bfloat16hLN4vllm18Fp8KVCacheDataTypeE1EhLi16ELi64ELi256ELb0ELi13EL8MFMAType1EEvPKT_PKT0_S9_ifPKiSB_SB_iPKfiiiPfSE_PS4_PT2_iSD_SD_
		.amdhsa_group_segment_fixed_size 17472
		.amdhsa_private_segment_fixed_size 0
		.amdhsa_kernarg_size 400
		.amdhsa_user_sgpr_count 13
		.amdhsa_user_sgpr_dispatch_ptr 0
		.amdhsa_user_sgpr_queue_ptr 0
		.amdhsa_user_sgpr_kernarg_segment_ptr 1
		.amdhsa_user_sgpr_dispatch_id 0
		.amdhsa_user_sgpr_private_segment_size 0
		.amdhsa_wavefront_size32 1
		.amdhsa_uses_dynamic_stack 0
		.amdhsa_enable_private_segment 0
		.amdhsa_system_sgpr_workgroup_id_x 1
		.amdhsa_system_sgpr_workgroup_id_y 1
		.amdhsa_system_sgpr_workgroup_id_z 1
		.amdhsa_system_sgpr_workgroup_info 0
		.amdhsa_system_vgpr_workitem_id 0
		.amdhsa_next_free_vgpr 124
		.amdhsa_next_free_sgpr 40
		.amdhsa_reserve_vcc 1
		.amdhsa_float_round_mode_32 0
		.amdhsa_float_round_mode_16_64 0
		.amdhsa_float_denorm_mode_32 3
		.amdhsa_float_denorm_mode_16_64 3
		.amdhsa_dx10_clamp 1
		.amdhsa_ieee_mode 1
		.amdhsa_fp16_overflow 0
		.amdhsa_workgroup_processor_mode 1
		.amdhsa_memory_ordered 1
		.amdhsa_forward_progress 0
		.amdhsa_shared_vgpr_count 0
		.amdhsa_exception_fp_ieee_invalid_op 0
		.amdhsa_exception_fp_denorm_src 0
		.amdhsa_exception_fp_ieee_div_zero 0
		.amdhsa_exception_fp_ieee_overflow 0
		.amdhsa_exception_fp_ieee_underflow 0
		.amdhsa_exception_fp_ieee_inexact 0
		.amdhsa_exception_int_div_zero 0
	.end_amdhsa_kernel
	.section	.text._Z39paged_attention_ll4mi_QKV_mfma16_kernelI14__hip_bfloat16hLN4vllm18Fp8KVCacheDataTypeE1EhLi16ELi64ELi256ELb0ELi13EL8MFMAType1EEvPKT_PKT0_S9_ifPKiSB_SB_iPKfiiiPfSE_PS4_PT2_iSD_SD_,"axG",@progbits,_Z39paged_attention_ll4mi_QKV_mfma16_kernelI14__hip_bfloat16hLN4vllm18Fp8KVCacheDataTypeE1EhLi16ELi64ELi256ELb0ELi13EL8MFMAType1EEvPKT_PKT0_S9_ifPKiSB_SB_iPKfiiiPfSE_PS4_PT2_iSD_SD_,comdat
.Lfunc_end1378:
	.size	_Z39paged_attention_ll4mi_QKV_mfma16_kernelI14__hip_bfloat16hLN4vllm18Fp8KVCacheDataTypeE1EhLi16ELi64ELi256ELb0ELi13EL8MFMAType1EEvPKT_PKT0_S9_ifPKiSB_SB_iPKfiiiPfSE_PS4_PT2_iSD_SD_, .Lfunc_end1378-_Z39paged_attention_ll4mi_QKV_mfma16_kernelI14__hip_bfloat16hLN4vllm18Fp8KVCacheDataTypeE1EhLi16ELi64ELi256ELb0ELi13EL8MFMAType1EEvPKT_PKT0_S9_ifPKiSB_SB_iPKfiiiPfSE_PS4_PT2_iSD_SD_
                                        ; -- End function
	.section	.AMDGPU.csdata,"",@progbits
; Kernel info:
; codeLenInByte = 8908
; NumSgprs: 42
; NumVgprs: 124
; ScratchSize: 0
; MemoryBound: 0
; FloatMode: 240
; IeeeMode: 1
; LDSByteSize: 17472 bytes/workgroup (compile time only)
; SGPRBlocks: 5
; VGPRBlocks: 15
; NumSGPRsForWavesPerEU: 42
; NumVGPRsForWavesPerEU: 124
; Occupancy: 10
; WaveLimiterHint : 1
; COMPUTE_PGM_RSRC2:SCRATCH_EN: 0
; COMPUTE_PGM_RSRC2:USER_SGPR: 13
; COMPUTE_PGM_RSRC2:TRAP_HANDLER: 0
; COMPUTE_PGM_RSRC2:TGID_X_EN: 1
; COMPUTE_PGM_RSRC2:TGID_Y_EN: 1
; COMPUTE_PGM_RSRC2:TGID_Z_EN: 1
; COMPUTE_PGM_RSRC2:TIDIG_COMP_CNT: 0
	.section	.text._Z39paged_attention_ll4mi_QKV_mfma16_kernelI14__hip_bfloat16hLN4vllm18Fp8KVCacheDataTypeE1EhLi16ELi64ELi256ELb0ELi14EL8MFMAType1EEvPKT_PKT0_S9_ifPKiSB_SB_iPKfiiiPfSE_PS4_PT2_iSD_SD_,"axG",@progbits,_Z39paged_attention_ll4mi_QKV_mfma16_kernelI14__hip_bfloat16hLN4vllm18Fp8KVCacheDataTypeE1EhLi16ELi64ELi256ELb0ELi14EL8MFMAType1EEvPKT_PKT0_S9_ifPKiSB_SB_iPKfiiiPfSE_PS4_PT2_iSD_SD_,comdat
	.protected	_Z39paged_attention_ll4mi_QKV_mfma16_kernelI14__hip_bfloat16hLN4vllm18Fp8KVCacheDataTypeE1EhLi16ELi64ELi256ELb0ELi14EL8MFMAType1EEvPKT_PKT0_S9_ifPKiSB_SB_iPKfiiiPfSE_PS4_PT2_iSD_SD_ ; -- Begin function _Z39paged_attention_ll4mi_QKV_mfma16_kernelI14__hip_bfloat16hLN4vllm18Fp8KVCacheDataTypeE1EhLi16ELi64ELi256ELb0ELi14EL8MFMAType1EEvPKT_PKT0_S9_ifPKiSB_SB_iPKfiiiPfSE_PS4_PT2_iSD_SD_
	.globl	_Z39paged_attention_ll4mi_QKV_mfma16_kernelI14__hip_bfloat16hLN4vllm18Fp8KVCacheDataTypeE1EhLi16ELi64ELi256ELb0ELi14EL8MFMAType1EEvPKT_PKT0_S9_ifPKiSB_SB_iPKfiiiPfSE_PS4_PT2_iSD_SD_
	.p2align	8
	.type	_Z39paged_attention_ll4mi_QKV_mfma16_kernelI14__hip_bfloat16hLN4vllm18Fp8KVCacheDataTypeE1EhLi16ELi64ELi256ELb0ELi14EL8MFMAType1EEvPKT_PKT0_S9_ifPKiSB_SB_iPKfiiiPfSE_PS4_PT2_iSD_SD_,@function
_Z39paged_attention_ll4mi_QKV_mfma16_kernelI14__hip_bfloat16hLN4vllm18Fp8KVCacheDataTypeE1EhLi16ELi64ELi256ELb0ELi14EL8MFMAType1EEvPKT_PKT0_S9_ifPKiSB_SB_iPKfiiiPfSE_PS4_PT2_iSD_SD_: ; @_Z39paged_attention_ll4mi_QKV_mfma16_kernelI14__hip_bfloat16hLN4vllm18Fp8KVCacheDataTypeE1EhLi16ELi64ELi256ELb0ELi14EL8MFMAType1EEvPKT_PKT0_S9_ifPKiSB_SB_iPKfiiiPfSE_PS4_PT2_iSD_SD_
; %bb.0:
	s_load_b64 s[2:3], s[0:1], 0x30
	s_mov_b32 s30, s13
	s_waitcnt lgkmcnt(0)
	s_cmp_lg_u64 s[2:3], 0
	s_cselect_b32 s8, -1, 0
	s_ashr_i32 s31, s13, 31
	s_cmp_eq_u64 s[2:3], 0
	s_cbranch_scc1 .LBB1379_3
; %bb.1:
	s_lshl_b64 s[4:5], s[30:31], 2
	s_delay_alu instid0(SALU_CYCLE_1) | instskip(SKIP_4) | instid1(SALU_CYCLE_1)
	s_add_u32 s4, s2, s4
	s_addc_u32 s5, s3, s5
	s_load_b64 s[4:5], s[4:5], 0x0
	s_waitcnt lgkmcnt(0)
	s_sub_i32 s4, s5, s4
	s_cmp_eq_u32 s4, 1
	s_cselect_b32 s4, -1, 0
	s_delay_alu instid0(SALU_CYCLE_1)
	s_and_not1_b32 vcc_lo, exec_lo, s4
	s_cbranch_vccz .LBB1379_4
.LBB1379_2:
	s_endpgm
.LBB1379_3:
.LBB1379_4:
	s_load_b64 s[4:5], s[0:1], 0x28
	s_lshl_b64 s[6:7], s[30:31], 2
	s_waitcnt lgkmcnt(0)
	s_add_u32 s4, s4, s6
	s_addc_u32 s5, s5, s7
	s_lshl_b32 s12, s14, 8
	s_load_b32 s24, s[4:5], 0x0
	s_waitcnt lgkmcnt(0)
	s_cmp_ge_i32 s12, s24
	s_cbranch_scc1 .LBB1379_2
; %bb.5:
	s_clause 0x1
	s_load_b128 s[20:23], s[0:1], 0x8
	s_load_b64 s[4:5], s[0:1], 0x20
	s_and_not1_b32 vcc_lo, exec_lo, s8
	s_cbranch_vccnz .LBB1379_7
; %bb.6:
	s_add_u32 s2, s2, s6
	s_addc_u32 s3, s3, s7
	s_load_b32 s3, s[2:3], 0x0
	s_branch .LBB1379_8
.LBB1379_7:
	s_mov_b32 s3, s30
.LBB1379_8:
	s_load_b128 s[16:19], s[0:1], 0x48
	v_and_b32_e32 v65, 15, v0
	v_cmp_gt_u32_e32 vcc_lo, 0xe0, v0
	v_lshrrev_b32_e32 v66, 5, v0
	v_and_b32_e32 v67, 31, v0
	v_and_b32_e32 v75, 1, v0
	v_lshlrev_b32_e32 v1, 3, v65
	v_cmp_gt_u32_e64 s2, 8, v65
	v_bfe_u32 v74, v0, 4, 1
	s_mul_i32 s31, s15, 14
	s_delay_alu instid0(VALU_DEP_3) | instskip(NEXT) | instid1(VALU_DEP_3)
	v_lshlrev_b32_e32 v73, 1, v1
	s_and_b32 s7, vcc_lo, s2
	s_delay_alu instid0(SALU_CYCLE_1)
	s_and_saveexec_b32 s6, s7
	s_cbranch_execz .LBB1379_10
; %bb.9:
	s_load_b64 s[8:9], s[0:1], 0x0
	v_lshl_or_b32 v5, v66, 1, v74
	s_waitcnt lgkmcnt(0)
	s_mul_hi_i32 s11, s3, s16
	s_mul_i32 s10, s3, s16
	v_lshlrev_b32_e32 v6, 10, v65
	s_lshl_b64 s[10:11], s[10:11], 1
	v_add_lshl_u32 v1, v5, s31, 6
	v_lshlrev_b32_e32 v5, 6, v5
	v_lshlrev_b32_e32 v7, 10, v75
	v_and_b32_e32 v6, 0x3800, v6
	s_delay_alu instid0(VALU_DEP_4) | instskip(NEXT) | instid1(VALU_DEP_2)
	v_ashrrev_i32_e32 v2, 31, v1
	v_or3_b32 v5, v6, v7, v5
	s_delay_alu instid0(VALU_DEP_2) | instskip(SKIP_2) | instid1(VALU_DEP_1)
	v_lshlrev_b64 v[1:2], 1, v[1:2]
	s_add_u32 s3, s8, s10
	s_addc_u32 s7, s9, s11
	v_add_co_u32 v1, vcc_lo, s3, v1
	s_delay_alu instid0(VALU_DEP_2) | instskip(NEXT) | instid1(VALU_DEP_2)
	v_add_co_ci_u32_e32 v2, vcc_lo, s7, v2, vcc_lo
	v_add_co_u32 v1, vcc_lo, v1, v73
	s_delay_alu instid0(VALU_DEP_2)
	v_add_co_ci_u32_e32 v2, vcc_lo, 0, v2, vcc_lo
	global_load_b128 v[1:4], v[1:2], off
	s_waitcnt vmcnt(0)
	ds_store_b128 v5, v[1:4]
.LBB1379_10:
	s_or_b32 exec_lo, exec_lo, s6
	v_and_b32_e32 v1, 0xef, v0
	s_waitcnt lgkmcnt(0)
	s_add_i32 s3, s24, 15
	s_clause 0x1
	s_load_b32 s6, s[0:1], 0x38
	s_load_b32 s19, s[0:1], 0x1c
	s_ashr_i32 s7, s3, 31
	v_add_nc_u32_e32 v1, s12, v1
	s_lshr_b32 s7, s7, 28
	s_waitcnt lgkmcnt(0)
	s_add_i32 s3, s3, s7
	s_barrier
	v_ashrrev_i32_e32 v2, 31, v1
	v_or_b32_e32 v3, 16, v1
	s_ashr_i32 s3, s3, 4
	v_cmp_gt_i32_e32 vcc_lo, s24, v1
	s_add_i32 s3, s3, -1
	v_lshrrev_b32_e32 v2, 28, v2
	buffer_gl0_inv
	s_mul_i32 s27, s15, s18
	v_add_nc_u32_e32 v4, v1, v2
	s_mul_i32 s6, s30, s6
	s_delay_alu instid0(SALU_CYCLE_1) | instskip(NEXT) | instid1(VALU_DEP_1)
	s_ashr_i32 s7, s6, 31
	v_ashrrev_i32_e32 v4, 4, v4
	v_add_nc_u32_e32 v2, v3, v2
	s_lshl_b64 s[6:7], s[6:7], 2
	s_delay_alu instid0(SALU_CYCLE_1) | instskip(NEXT) | instid1(VALU_DEP_2)
	s_add_u32 s26, s4, s6
	v_cndmask_b32_e32 v1, s3, v4, vcc_lo
	s_delay_alu instid0(VALU_DEP_2)
	v_ashrrev_i32_e32 v2, 4, v2
	v_cmp_gt_i32_e32 vcc_lo, s24, v3
	s_addc_u32 s25, s5, s7
	s_ashr_i32 s28, s27, 31
	s_add_u32 s13, s20, s27
	s_addc_u32 s15, s21, s28
	v_cndmask_b32_e32 v3, s3, v2, vcc_lo
	v_ashrrev_i32_e32 v2, 31, v1
	s_lshl_b32 s4, s14, 4
	s_delay_alu instid0(SALU_CYCLE_1) | instskip(NEXT) | instid1(VALU_DEP_2)
	s_ashr_i32 s5, s4, 31
	v_ashrrev_i32_e32 v4, 31, v3
	s_delay_alu instid0(VALU_DEP_2) | instskip(SKIP_1) | instid1(SALU_CYCLE_1)
	v_lshlrev_b64 v[1:2], 2, v[1:2]
	s_lshl_b64 s[4:5], s[4:5], 2
	s_add_u32 s4, s26, s4
	s_delay_alu instid0(VALU_DEP_2) | instskip(SKIP_1) | instid1(VALU_DEP_2)
	v_lshlrev_b64 v[3:4], 2, v[3:4]
	s_addc_u32 s5, s25, s5
	v_add_co_u32 v1, vcc_lo, s26, v1
	v_add_co_ci_u32_e32 v2, vcc_lo, s25, v2, vcc_lo
	s_delay_alu instid0(VALU_DEP_3) | instskip(NEXT) | instid1(VALU_DEP_4)
	v_add_co_u32 v3, vcc_lo, s26, v3
	v_add_co_ci_u32_e32 v4, vcc_lo, s25, v4, vcc_lo
	s_clause 0x1
	global_load_b32 v5, v[1:2], off
	global_load_b32 v7, v[3:4], off
	s_or_b32 s6, s12, 32
	v_lshlrev_b32_e32 v1, 4, v0
	s_ashr_i32 s7, s6, 4
	s_cmp_lt_i32 s6, s24
	v_cmp_gt_u32_e32 vcc_lo, 14, v65
	s_cselect_b32 s6, s7, s3
	v_and_b32_e32 v1, 0xf0, v1
	s_ashr_i32 s7, s6, 31
	s_delay_alu instid0(SALU_CYCLE_1) | instskip(NEXT) | instid1(SALU_CYCLE_1)
	s_lshl_b64 s[6:7], s[6:7], 2
	s_add_u32 s6, s26, s6
	s_addc_u32 s7, s25, s7
	s_or_b32 s8, s12, 64
	v_add_co_u32 v1, s13, s13, v1
	s_ashr_i32 s9, s8, 4
	s_cmp_lt_i32 s8, s24
	v_add_co_ci_u32_e64 v2, null, s15, 0, s13
	s_cselect_b32 s8, s9, s3
	s_delay_alu instid0(SALU_CYCLE_1) | instskip(NEXT) | instid1(SALU_CYCLE_1)
	s_ashr_i32 s9, s8, 31
	s_lshl_b64 s[8:9], s[8:9], 2
	s_delay_alu instid0(SALU_CYCLE_1) | instskip(SKIP_2) | instid1(SALU_CYCLE_1)
	s_add_u32 s8, s26, s8
	s_addc_u32 s9, s25, s9
	s_or_b32 s10, s12, 0x60
	s_ashr_i32 s11, s10, 4
	s_cmp_lt_i32 s10, s24
	s_cselect_b32 s10, s11, s3
	s_delay_alu instid0(SALU_CYCLE_1) | instskip(NEXT) | instid1(SALU_CYCLE_1)
	s_ashr_i32 s11, s10, 31
	s_lshl_b64 s[10:11], s[10:11], 2
	s_delay_alu instid0(SALU_CYCLE_1) | instskip(SKIP_2) | instid1(SALU_CYCLE_1)
	s_add_u32 s10, s26, s10
	s_addc_u32 s11, s25, s11
	s_or_b32 s16, s12, 0x80
	s_ashr_i32 s18, s16, 4
	s_cmp_lt_i32 s16, s24
	;; [unrolled: 10-line block ×3, first 2 shown]
	s_cselect_b32 s20, s18, s3
	s_delay_alu instid0(SALU_CYCLE_1) | instskip(NEXT) | instid1(SALU_CYCLE_1)
	s_ashr_i32 s21, s20, 31
	s_lshl_b64 s[20:21], s[20:21], 2
	s_delay_alu instid0(SALU_CYCLE_1)
	s_add_u32 s36, s26, s20
	s_addc_u32 s37, s25, s21
	s_clause 0x5
	s_load_b32 s21, s[4:5], 0x0
	s_load_b32 s13, s[6:7], 0x0
	s_load_b32 s15, s[8:9], 0x0
	s_load_b32 s16, s[10:11], 0x0
	s_load_b32 s18, s[34:35], 0x0
	s_load_b32 s20, s[36:37], 0x0
	s_or_b32 s8, s12, 0xc0
	s_mov_b32 s4, 0
	s_ashr_i32 s9, s8, 4
	s_cmp_lt_i32 s8, s24
	s_mov_b32 s11, s4
	s_cselect_b32 s34, s9, s3
	s_mov_b32 s5, s4
	s_ashr_i32 s35, s34, 31
	s_mov_b32 s6, s4
	s_lshl_b64 s[34:35], s[34:35], 2
	s_mov_b32 s7, s4
	s_add_u32 s34, s26, s34
	s_addc_u32 s35, s25, s35
	s_or_b32 s29, s12, 0xe0
	s_mov_b32 s8, s4
	s_ashr_i32 s33, s29, 4
	s_mov_b32 s9, s4
	s_mov_b32 s10, s4
	s_cmp_lt_i32 s29, s24
	v_dual_mov_b32 v107, s11 :: v_dual_mov_b32 v100, s4
	v_mov_b32_e32 v106, s10
	v_dual_mov_b32 v104, s8 :: v_dual_mov_b32 v103, s7
	v_dual_mov_b32 v102, s6 :: v_dual_mov_b32 v101, s5
	s_waitcnt vmcnt(1)
	v_mad_i64_i32 v[3:4], null, v5, s17, v[1:2]
	s_waitcnt vmcnt(0)
	v_mad_i64_i32 v[5:6], null, v7, s17, v[1:2]
	v_add_nc_u32_e32 v1, -14, v65
	v_lshlrev_b32_e32 v2, 4, v65
	s_clause 0x7
	global_load_b128 v[49:52], v[3:4], off
	global_load_b128 v[53:56], v[3:4], off offset:256
	global_load_b128 v[76:79], v[5:6], off
	global_load_b128 v[80:83], v[5:6], off offset:256
	global_load_b128 v[84:87], v[3:4], off offset:512
	;; [unrolled: 1-line block ×5, first 2 shown]
	v_cndmask_b32_e32 v1, v1, v65, vcc_lo
	v_mov_b32_e32 v105, s9
	s_cselect_b32 s4, s33, s3
	v_lshl_or_b32 v2, v66, 8, v2
	s_ashr_i32 s5, s4, 31
	v_lshlrev_b32_e32 v70, 6, v1
	s_lshl_b64 s[4:5], s[4:5], 2
	s_load_b32 s3, s[34:35], 0x0
	s_add_u32 s4, s26, s4
	s_addc_u32 s5, s25, s5
	ds_load_b128 v[108:111], v70
	ds_load_b128 v[112:115], v70 offset:1024
	s_load_b32 s4, s[4:5], 0x0
	s_add_u32 s6, s22, s27
	s_addc_u32 s7, s23, s28
	v_add_co_u32 v9, s6, s6, v2
	s_delay_alu instid0(VALU_DEP_1) | instskip(SKIP_1) | instid1(VALU_DEP_1)
	v_add_co_ci_u32_e64 v10, null, s7, 0, s6
	s_waitcnt lgkmcnt(0)
	v_mad_i64_i32 v[1:2], null, s21, s17, v[9:10]
	v_mad_i64_i32 v[3:4], null, s13, s17, v[9:10]
	v_mad_i64_i32 v[5:6], null, s15, s17, v[9:10]
	v_mad_i64_i32 v[7:8], null, s16, s17, v[9:10]
	v_mad_i64_i32 v[13:14], null, s20, s17, v[9:10]
	v_mad_i64_i32 v[11:12], null, s18, s17, v[9:10]
	v_mad_i64_i32 v[21:22], null, s3, s17, v[9:10]
	s_clause 0x9
	global_load_b128 v[57:60], v[1:2], off
	global_load_b128 v[61:64], v[1:2], off offset:16
	global_load_b128 v[41:44], v[3:4], off
	global_load_b128 v[45:48], v[3:4], off offset:16
	;; [unrolled: 2-line block ×5, first 2 shown]
	v_mad_i64_i32 v[68:69], null, s4, s17, v[9:10]
	s_clause 0x3
	global_load_b128 v[9:12], v[13:14], off
	global_load_b128 v[13:16], v[13:14], off offset:16
	global_load_b128 v[17:20], v[21:22], off
	global_load_b128 v[21:24], v[21:22], off offset:16
	s_waitcnt vmcnt(20)
	v_wmma_f32_16x16x16_bf16 v[116:123], v[49:56], v[108:115], v[100:107]
	s_clause 0x1
	global_load_b128 v[49:52], v[68:69], off
	global_load_b128 v[53:56], v[68:69], off offset:16
	v_and_b32_e32 v68, 0xe0, v0
	v_mbcnt_lo_u32_b32 v69, -1, 0
	s_delay_alu instid0(VALU_DEP_2)
	v_add_nc_u32_e32 v68, s12, v68
	s_waitcnt vmcnt(20)
	v_wmma_f32_16x16x16_bf16 v[100:107], v[76:83], v[108:115], v[100:107]
	ds_load_b128 v[76:79], v70 offset:2048
	ds_load_b128 v[80:83], v70 offset:3072
	v_xor_b32_e32 v70, 16, v69
	s_waitcnt vmcnt(0) lgkmcnt(0)
	v_or_b32_e32 v68, v68, v74
	s_barrier
	buffer_gl0_inv
	v_cmp_gt_i32_e32 vcc_lo, 32, v70
	v_or_b32_e32 v71, 4, v68
	v_or_b32_e32 v72, 6, v68
	v_cmp_gt_i32_e64 s3, s24, v68
	v_or_b32_e32 v108, 8, v68
	v_or_b32_e32 v109, 10, v68
	v_cmp_gt_i32_e64 s4, s24, v71
	v_cmp_gt_i32_e64 s5, s24, v72
	s_delay_alu instid0(VALU_DEP_4) | instskip(NEXT) | instid1(VALU_DEP_4)
	v_cmp_gt_i32_e64 s6, s24, v108
	v_cmp_gt_i32_e64 s7, s24, v109
	v_wmma_f32_16x16x16_bf16 v[116:123], v[84:91], v[76:83], v[116:123]
	v_cndmask_b32_e32 v69, v69, v70, vcc_lo
	v_or_b32_e32 v70, 2, v68
	v_wmma_f32_16x16x16_bf16 v[100:107], v[92:99], v[76:83], v[100:107]
	v_or_b32_e32 v89, 22, v68
	v_dual_mul_f32 v82, s19, v119 :: v_dual_mul_f32 v79, s19, v122
	v_dual_mul_f32 v92, s19, v117 :: v_dual_mul_f32 v93, s19, v116
	s_delay_alu instid0(VALU_DEP_4) | instskip(SKIP_2) | instid1(VALU_DEP_4)
	v_mul_f32_e32 v98, s19, v103
	v_cmp_gt_i32_e32 vcc_lo, s24, v70
	v_dual_mul_f32 v83, s19, v118 :: v_dual_mul_f32 v96, s19, v105
	v_cndmask_b32_e64 v93, 0xff7fffff, v93, s3
	v_or_b32_e32 v84, 12, v68
	v_cndmask_b32_e32 v92, 0xff7fffff, v92, vcc_lo
	v_or_b32_e32 v85, 14, v68
	v_dual_mul_f32 v80, s19, v121 :: v_dual_mul_f32 v81, s19, v120
	v_mul_f32_e32 v94, s19, v107
	v_cndmask_b32_e64 v71, 0xff7fffff, v83, s4
	v_cndmask_b32_e64 v72, 0xff7fffff, v82, s5
	v_cmp_gt_i32_e64 s13, s24, v89
	v_lshlrev_b32_e32 v89, 2, v69
	v_max3_f32 v82, v93, 0xff7fffff, v92
	v_or_b32_e32 v86, 16, v68
	v_or_b32_e32 v87, 18, v68
	v_mul_f32_e32 v78, s19, v123
	v_cndmask_b32_e64 v81, 0xff7fffff, v81, s6
	v_cndmask_b32_e64 v80, 0xff7fffff, v80, s7
	v_max3_f32 v71, v82, v71, v72
	v_cmp_gt_i32_e64 s8, s24, v84
	v_cmp_gt_i32_e64 s9, s24, v85
	v_or_b32_e32 v88, 20, v68
	v_or_b32_e32 v90, 24, v68
	;; [unrolled: 1-line block ×5, first 2 shown]
	v_dual_mul_f32 v95, s19, v106 :: v_dual_mul_f32 v70, s19, v101
	v_dual_mul_f32 v99, s19, v102 :: v_dual_mul_f32 v68, s19, v100
	v_cndmask_b32_e64 v72, 0xff7fffff, v79, s8
	v_cndmask_b32_e64 v78, 0xff7fffff, v78, s9
	v_max3_f32 v71, v71, v81, v80
	v_cmp_gt_i32_e64 s10, s24, v86
	v_cmp_gt_i32_e64 s11, s24, v87
	;; [unrolled: 1-line block ×3, first 2 shown]
	v_mul_f32_e32 v97, s19, v104
	v_max3_f32 v71, v71, v72, v78
	v_cndmask_b32_e64 v68, 0xff7fffff, v68, s10
	v_cndmask_b32_e64 v70, 0xff7fffff, v70, s11
	;; [unrolled: 1-line block ×4, first 2 shown]
	v_cmp_gt_i32_e64 s15, s24, v90
	v_cmp_gt_i32_e64 s16, s24, v91
	v_max3_f32 v68, v71, v68, v70
	v_cmp_gt_i32_e64 s17, s24, v76
	v_cmp_gt_i32_e64 s18, s24, v77
	v_cndmask_b32_e64 v70, 0xff7fffff, v97, s15
	v_cndmask_b32_e64 v71, 0xff7fffff, v96, s16
	v_max3_f32 v68, v68, v72, v78
	v_cndmask_b32_e64 v72, 0xff7fffff, v95, s17
	v_cndmask_b32_e64 v76, 0xff7fffff, v94, s18
	s_delay_alu instid0(VALU_DEP_3) | instskip(NEXT) | instid1(VALU_DEP_1)
	v_max3_f32 v68, v68, v70, v71
	v_max3_f32 v68, v68, v72, v76
	ds_bpermute_b32 v69, v89, v68
	s_waitcnt lgkmcnt(0)
	v_max_f32_e32 v69, v69, v69
	s_delay_alu instid0(VALU_DEP_1) | instskip(NEXT) | instid1(VALU_DEP_1)
	v_max_f32_e32 v68, v68, v69
	v_fma_f32 v69, s19, v116, -v68
	v_fma_f32 v70, s19, v117, -v68
	v_fma_f32 v72, s19, v119, -v68
	v_fma_f32 v71, s19, v118, -v68
	v_fma_f32 v76, s19, v120, -v68
	s_delay_alu instid0(VALU_DEP_4) | instskip(NEXT) | instid1(VALU_DEP_4)
	v_dual_mul_f32 v69, 0x3fb8aa3b, v69 :: v_dual_mul_f32 v70, 0x3fb8aa3b, v70
	v_mul_f32_e32 v72, 0x3fb8aa3b, v72
	v_fma_f32 v78, s19, v122, -v68
	s_delay_alu instid0(VALU_DEP_4) | instskip(NEXT) | instid1(VALU_DEP_4)
	v_mul_f32_e32 v77, 0x3fb8aa3b, v76
	v_exp_f32_e32 v69, v69
	v_exp_f32_e32 v70, v70
	v_mul_f32_e32 v71, 0x3fb8aa3b, v71
	v_exp_f32_e32 v72, v72
	v_mul_f32_e32 v78, 0x3fb8aa3b, v78
	v_exp_f32_e32 v77, v77
	v_fma_f32 v81, s19, v105, -v68
	s_delay_alu instid0(VALU_DEP_2)
	v_exp_f32_e32 v78, v78
	v_cndmask_b32_e64 v80, 0, v69, s3
	v_cndmask_b32_e32 v76, 0, v70, vcc_lo
	v_exp_f32_e32 v71, v71
	v_fma_f32 v69, s19, v121, -v68
	v_cndmask_b32_e64 v85, 0, v72, s5
	v_add_f32_e32 v70, 0, v80
	s_delay_alu instid0(TRANS32_DEP_3)
	v_cndmask_b32_e64 v86, 0, v77, s6
	v_fma_f32 v77, s19, v101, -v68
	v_mul_f32_e32 v69, 0x3fb8aa3b, v69
	v_fma_f32 v72, s19, v100, -v68
	v_cndmask_b32_e64 v84, 0, v78, s8
	v_fma_f32 v78, s19, v103, -v68
	v_cndmask_b32_e64 v83, 0, v71, s4
	v_fma_f32 v71, s19, v123, -v68
	v_add_f32_e32 v70, v70, v76
	v_exp_f32_e32 v69, v69
	v_mul_f32_e32 v77, 0x3fb8aa3b, v77
	v_mul_f32_e32 v81, 0x3fb8aa3b, v81
	;; [unrolled: 1-line block ×3, first 2 shown]
	v_add_f32_e32 v70, v70, v83
	s_mov_b32 s3, exec_lo
	v_exp_f32_e32 v77, v77
	v_exp_f32_e32 v81, v81
	;; [unrolled: 1-line block ×3, first 2 shown]
	v_cndmask_b32_e64 v87, 0, v69, s7
	v_add_f32_e32 v70, v70, v85
	s_delay_alu instid0(VALU_DEP_1) | instskip(SKIP_1) | instid1(VALU_DEP_2)
	v_dual_mul_f32 v72, 0x3fb8aa3b, v72 :: v_dual_add_f32 v69, v70, v86
	v_fma_f32 v70, s19, v102, -v68
	v_exp_f32_e32 v72, v72
	s_waitcnt_depctr 0xfff
	v_cndmask_b32_e64 v88, 0, v71, s9
	v_fma_f32 v71, s19, v104, -v68
	v_dual_add_f32 v69, v69, v87 :: v_dual_mul_f32 v70, 0x3fb8aa3b, v70
	s_delay_alu instid0(VALU_DEP_2) | instskip(NEXT) | instid1(VALU_DEP_2)
	v_dual_mul_f32 v78, 0x3fb8aa3b, v78 :: v_dual_mul_f32 v71, 0x3fb8aa3b, v71
	v_add_f32_e32 v69, v69, v84
	s_delay_alu instid0(VALU_DEP_3) | instskip(SKIP_1) | instid1(VALU_DEP_3)
	v_exp_f32_e32 v79, v70
	v_cndmask_b32_e64 v70, 0, v72, s10
	v_exp_f32_e32 v78, v78
	v_exp_f32_e32 v82, v71
	v_add_f32_e32 v72, v69, v88
	v_cndmask_b32_e64 v69, 0, v77, s11
	v_fma_f32 v77, s19, v106, -v68
	s_delay_alu instid0(VALU_DEP_3) | instskip(NEXT) | instid1(TRANS32_DEP_3)
	v_add_f32_e32 v72, v72, v70
	v_cndmask_b32_e64 v71, 0, v79, s12
	s_delay_alu instid0(VALU_DEP_3) | instskip(NEXT) | instid1(VALU_DEP_3)
	v_mul_f32_e32 v77, 0x3fb8aa3b, v77
	v_add_f32_e32 v79, v72, v69
	s_delay_alu instid0(TRANS32_DEP_2) | instskip(NEXT) | instid1(VALU_DEP_3)
	v_cndmask_b32_e64 v72, 0, v78, s13
	v_exp_f32_e32 v90, v77
	v_cndmask_b32_e64 v77, 0, v82, s15
	s_delay_alu instid0(VALU_DEP_3) | instskip(SKIP_1) | instid1(VALU_DEP_1)
	v_add_f32_e32 v78, v79, v71
	v_fma_f32 v79, s19, v107, -v68
	v_dual_add_f32 v82, v78, v72 :: v_dual_mul_f32 v79, 0x3fb8aa3b, v79
	v_cndmask_b32_e64 v78, 0, v81, s16
	s_delay_alu instid0(VALU_DEP_2) | instskip(NEXT) | instid1(VALU_DEP_3)
	v_add_f32_e32 v81, v82, v77
	v_exp_f32_e32 v82, v79
	s_delay_alu instid0(TRANS32_DEP_2) | instskip(NEXT) | instid1(VALU_DEP_2)
	v_cndmask_b32_e64 v79, 0, v90, s17
	v_add_f32_e32 v81, v81, v78
	s_delay_alu instid0(VALU_DEP_1) | instskip(SKIP_2) | instid1(VALU_DEP_1)
	v_add_f32_e32 v90, v81, v79
	s_waitcnt_depctr 0xfff
	v_cndmask_b32_e64 v81, 0, v82, s18
	v_add_f32_e32 v82, v90, v81
	ds_bpermute_b32 v89, v89, v82
	v_cmpx_gt_u32_e32 16, v67
	s_cbranch_execz .LBB1379_12
; %bb.11:
	v_mul_u32_u24_e32 v67, 0x44, v66
	s_delay_alu instid0(VALU_DEP_1) | instskip(SKIP_1) | instid1(VALU_DEP_1)
	v_lshl_add_u32 v67, v65, 2, v67
	s_waitcnt lgkmcnt(0)
	v_dual_add_f32 v82, v82, v89 :: v_dual_add_nc_u32 v67, 0x4000, v67
	ds_store_2addr_b32 v67, v68, v82 offset1:136
.LBB1379_12:
	s_or_b32 exec_lo, exec_lo, s3
	v_lshlrev_b32_e32 v67, 2, v65
	s_waitcnt lgkmcnt(0)
	s_barrier
	buffer_gl0_inv
	v_cmp_eq_u32_e32 vcc_lo, 1, v66
	v_add_nc_u32_e32 v82, 0x4000, v67
	v_cmp_eq_u32_e64 s3, 2, v66
	v_cmp_eq_u32_e64 s5, 7, v66
	ds_load_2addr_b32 v[89:90], v82 offset1:17
	ds_load_2addr_b32 v[91:92], v82 offset0:34 offset1:51
	ds_load_2addr_b32 v[93:94], v82 offset0:68 offset1:85
	;; [unrolled: 1-line block ×4, first 2 shown]
	s_waitcnt lgkmcnt(4)
	v_max3_f32 v67, v89, 0xff7fffff, v90
	s_waitcnt lgkmcnt(3)
	s_delay_alu instid0(VALU_DEP_1) | instskip(SKIP_1) | instid1(VALU_DEP_1)
	v_max3_f32 v67, v67, v91, v92
	s_waitcnt lgkmcnt(2)
	v_max3_f32 v67, v67, v93, v94
	s_waitcnt lgkmcnt(1)
	s_delay_alu instid0(VALU_DEP_1) | instskip(NEXT) | instid1(VALU_DEP_1)
	v_max3_f32 v67, v67, v95, v96
	v_sub_f32_e32 v93, v93, v67
	s_delay_alu instid0(VALU_DEP_1) | instskip(NEXT) | instid1(VALU_DEP_1)
	v_dual_sub_f32 v68, v89, v67 :: v_dual_mul_f32 v103, 0x3fb8aa3b, v93
	v_mul_f32_e32 v68, 0x3fb8aa3b, v68
	s_delay_alu instid0(VALU_DEP_1)
	v_exp_f32_e32 v100, v68
	v_sub_f32_e32 v68, v92, v67
	v_sub_f32_e32 v99, v90, v67
	ds_load_2addr_b32 v[89:90], v82 offset0:170 offset1:187
	v_dual_mul_f32 v102, 0x3fb8aa3b, v68 :: v_dual_mul_f32 v99, 0x3fb8aa3b, v99
	s_waitcnt lgkmcnt(1)
	v_fma_f32 v68, v100, v97, 0
	s_delay_alu instid0(VALU_DEP_2) | instskip(NEXT) | instid1(VALU_DEP_2)
	v_exp_f32_e32 v102, v102
	v_exp_f32_e32 v99, v99
	s_waitcnt_depctr 0xfff
	v_fmac_f32_e32 v68, v99, v98
	v_sub_f32_e32 v91, v91, v67
	s_delay_alu instid0(VALU_DEP_1)
	v_mul_f32_e32 v101, 0x3fb8aa3b, v91
	ds_load_2addr_b32 v[91:92], v82 offset0:204 offset1:221
	v_sub_f32_e32 v97, v94, v67
	ds_load_2addr_b32 v[93:94], v82 offset0:238 offset1:255
	s_waitcnt lgkmcnt(0)
	v_exp_f32_e32 v101, v101
	s_barrier
	buffer_gl0_inv
	v_dual_fmac_f32 v68, v101, v89 :: v_dual_sub_f32 v89, v96, v67
	v_dual_sub_f32 v82, v95, v67 :: v_dual_mul_f32 v95, 0x3fb8aa3b, v97
	v_exp_f32_e32 v97, v103
	s_delay_alu instid0(VALU_DEP_2) | instskip(NEXT) | instid1(VALU_DEP_2)
	v_dual_fmac_f32 v68, v102, v90 :: v_dual_mul_f32 v89, 0x3fb8aa3b, v89
	v_mul_f32_e32 v82, 0x3fb8aa3b, v82
	s_delay_alu instid0(VALU_DEP_3) | instskip(NEXT) | instid1(VALU_DEP_2)
	v_exp_f32_e32 v95, v95
	v_exp_f32_e32 v89, v89
	s_delay_alu instid0(VALU_DEP_1)
	v_exp_f32_e32 v82, v82
	v_fmac_f32_e32 v68, v97, v91
	s_delay_alu instid0(TRANS32_DEP_3) | instid1(VALU_DEP_1)
	v_fmac_f32_e32 v68, v95, v92
	s_waitcnt_depctr 0xfff
	v_fmac_f32_e32 v68, v82, v93
	s_delay_alu instid0(VALU_DEP_1) | instskip(NEXT) | instid1(VALU_DEP_1)
	v_fmac_f32_e32 v68, v89, v94
	v_add_f32_e32 v90, 0x358637bd, v68
	s_delay_alu instid0(VALU_DEP_1) | instskip(NEXT) | instid1(VALU_DEP_1)
	v_div_scale_f32 v91, null, v90, v90, 1.0
	v_rcp_f32_e32 v92, v91
	s_waitcnt_depctr 0xfff
	v_fma_f32 v93, -v91, v92, 1.0
	s_delay_alu instid0(VALU_DEP_1) | instskip(SKIP_1) | instid1(VALU_DEP_2)
	v_dual_fmac_f32 v92, v93, v92 :: v_dual_cndmask_b32 v93, v100, v99
	v_cmp_eq_u32_e32 vcc_lo, 3, v66
	v_cndmask_b32_e64 v93, v93, v101, s3
	v_cmp_eq_u32_e64 s3, 4, v66
	s_delay_alu instid0(VALU_DEP_2) | instskip(SKIP_1) | instid1(VALU_DEP_2)
	v_cndmask_b32_e32 v93, v93, v102, vcc_lo
	v_cmp_eq_u32_e32 vcc_lo, 5, v66
	v_cndmask_b32_e64 v93, v93, v97, s3
	v_cmp_eq_u32_e64 s3, 6, v66
	s_delay_alu instid0(VALU_DEP_2) | instskip(SKIP_1) | instid1(VALU_DEP_1)
	v_cndmask_b32_e32 v93, v93, v95, vcc_lo
	v_div_scale_f32 v94, s4, 1.0, v90, 1.0
	s_mov_b32 vcc_lo, s4
	s_delay_alu instid0(VALU_DEP_2) | instskip(NEXT) | instid1(VALU_DEP_2)
	v_cndmask_b32_e64 v82, v93, v82, s3
	v_mul_f32_e32 v96, v94, v92
	s_mov_b32 s3, exec_lo
	s_delay_alu instid0(VALU_DEP_2) | instskip(NEXT) | instid1(VALU_DEP_2)
	v_cndmask_b32_e64 v82, v82, v89, s5
	v_fma_f32 v98, -v91, v96, v94
	s_delay_alu instid0(VALU_DEP_1) | instskip(NEXT) | instid1(VALU_DEP_1)
	v_fmac_f32_e32 v96, v98, v92
	v_fma_f32 v91, -v91, v96, v94
	s_delay_alu instid0(VALU_DEP_1) | instskip(NEXT) | instid1(VALU_DEP_1)
	v_div_fmas_f32 v91, v91, v92, v96
	v_div_fixup_f32 v90, v91, v90, 1.0
	s_delay_alu instid0(VALU_DEP_1) | instskip(NEXT) | instid1(VALU_DEP_1)
	v_mul_f32_e32 v82, v82, v90
	v_mul_f32_e32 v87, v82, v87
	;; [unrolled: 1-line block ×7, first 2 shown]
	v_dual_mul_f32 v86, v82, v83 :: v_dual_and_b32 v91, 0x7f800000, v90
	v_mul_f32_e32 v85, v82, v76
                                        ; implicit-def: $vgpr76
	s_delay_alu instid0(VALU_DEP_2)
	v_cmpx_ne_u32_e32 0x7f800000, v91
	s_xor_b32 s3, exec_lo, s3
; %bb.13:
	v_bfe_u32 v76, v90, 16, 1
	s_delay_alu instid0(VALU_DEP_1)
	v_add3_u32 v76, v90, v76, 0x7fff
                                        ; implicit-def: $vgpr90
; %bb.14:
	s_and_not1_saveexec_b32 s3, s3
; %bb.15:
	v_and_b32_e32 v76, 0xffff, v90
	v_or_b32_e32 v83, 0x10000, v90
	s_delay_alu instid0(VALU_DEP_2) | instskip(NEXT) | instid1(VALU_DEP_2)
	v_cmp_eq_u32_e32 vcc_lo, 0, v76
	v_cndmask_b32_e32 v76, v83, v90, vcc_lo
; %bb.16:
	s_or_b32 exec_lo, exec_lo, s3
	v_and_b32_e32 v83, 0x7f800000, v85
	s_delay_alu instid0(VALU_DEP_1) | instskip(SKIP_1) | instid1(SALU_CYCLE_1)
	v_cmp_ne_u32_e32 vcc_lo, 0x7f800000, v83
                                        ; implicit-def: $vgpr83
	s_and_saveexec_b32 s3, vcc_lo
	s_xor_b32 s3, exec_lo, s3
; %bb.17:
	v_bfe_u32 v83, v85, 16, 1
	s_delay_alu instid0(VALU_DEP_1)
	v_add3_u32 v83, v85, v83, 0x7fff
                                        ; implicit-def: $vgpr85
; %bb.18:
	s_and_not1_saveexec_b32 s3, s3
; %bb.19:
	v_and_b32_e32 v83, 0xffff, v85
	v_or_b32_e32 v90, 0x10000, v85
	s_delay_alu instid0(VALU_DEP_2) | instskip(NEXT) | instid1(VALU_DEP_2)
	v_cmp_eq_u32_e32 vcc_lo, 0, v83
	v_cndmask_b32_e32 v83, v90, v85, vcc_lo
; %bb.20:
	s_or_b32 exec_lo, exec_lo, s3
	v_and_b32_e32 v85, 0x7f800000, v86
	s_delay_alu instid0(VALU_DEP_1) | instskip(SKIP_1) | instid1(SALU_CYCLE_1)
	v_cmp_ne_u32_e32 vcc_lo, 0x7f800000, v85
                                        ; implicit-def: $vgpr85
	s_and_saveexec_b32 s3, vcc_lo
	s_xor_b32 s3, exec_lo, s3
; %bb.21:
	v_bfe_u32 v85, v86, 16, 1
	s_delay_alu instid0(VALU_DEP_1)
	v_add3_u32 v85, v86, v85, 0x7fff
                                        ; implicit-def: $vgpr86
; %bb.22:
	s_and_not1_saveexec_b32 s3, s3
; %bb.23:
	v_and_b32_e32 v85, 0xffff, v86
	v_or_b32_e32 v90, 0x10000, v86
	s_delay_alu instid0(VALU_DEP_2) | instskip(NEXT) | instid1(VALU_DEP_2)
	v_cmp_eq_u32_e32 vcc_lo, 0, v85
	v_cndmask_b32_e32 v85, v90, v86, vcc_lo
; %bb.24:
	s_or_b32 exec_lo, exec_lo, s3
	v_and_b32_e32 v86, 0x7f800000, v89
	s_delay_alu instid0(VALU_DEP_1) | instskip(SKIP_1) | instid1(SALU_CYCLE_1)
	v_cmp_ne_u32_e32 vcc_lo, 0x7f800000, v86
                                        ; implicit-def: $vgpr86
	s_and_saveexec_b32 s3, vcc_lo
	s_xor_b32 s3, exec_lo, s3
; %bb.25:
	v_bfe_u32 v86, v89, 16, 1
	s_delay_alu instid0(VALU_DEP_1)
	v_add3_u32 v86, v89, v86, 0x7fff
                                        ; implicit-def: $vgpr89
; %bb.26:
	s_and_not1_saveexec_b32 s3, s3
; %bb.27:
	v_and_b32_e32 v86, 0xffff, v89
	v_or_b32_e32 v90, 0x10000, v89
	s_delay_alu instid0(VALU_DEP_2) | instskip(NEXT) | instid1(VALU_DEP_2)
	v_cmp_eq_u32_e32 vcc_lo, 0, v86
	v_cndmask_b32_e32 v86, v90, v89, vcc_lo
; %bb.28:
	s_or_b32 exec_lo, exec_lo, s3
	v_and_b32_e32 v89, 0x7f800000, v88
	s_delay_alu instid0(VALU_DEP_1) | instskip(SKIP_1) | instid1(SALU_CYCLE_1)
	v_cmp_ne_u32_e32 vcc_lo, 0x7f800000, v89
                                        ; implicit-def: $vgpr89
	s_and_saveexec_b32 s3, vcc_lo
	s_xor_b32 s3, exec_lo, s3
; %bb.29:
	v_bfe_u32 v89, v88, 16, 1
	s_delay_alu instid0(VALU_DEP_1)
	v_add3_u32 v89, v88, v89, 0x7fff
                                        ; implicit-def: $vgpr88
; %bb.30:
	s_and_not1_saveexec_b32 s3, s3
; %bb.31:
	v_and_b32_e32 v89, 0xffff, v88
	v_or_b32_e32 v90, 0x10000, v88
	s_delay_alu instid0(VALU_DEP_2) | instskip(NEXT) | instid1(VALU_DEP_2)
	v_cmp_eq_u32_e32 vcc_lo, 0, v89
	v_cndmask_b32_e32 v89, v90, v88, vcc_lo
; %bb.32:
	s_or_b32 exec_lo, exec_lo, s3
	v_and_b32_e32 v88, 0x7f800000, v87
	s_delay_alu instid0(VALU_DEP_1) | instskip(SKIP_1) | instid1(SALU_CYCLE_1)
	v_cmp_ne_u32_e32 vcc_lo, 0x7f800000, v88
                                        ; implicit-def: $vgpr88
	s_and_saveexec_b32 s3, vcc_lo
	s_xor_b32 s3, exec_lo, s3
; %bb.33:
	v_bfe_u32 v88, v87, 16, 1
	s_delay_alu instid0(VALU_DEP_1)
	v_add3_u32 v88, v87, v88, 0x7fff
                                        ; implicit-def: $vgpr87
; %bb.34:
	s_and_not1_saveexec_b32 s3, s3
; %bb.35:
	v_and_b32_e32 v88, 0xffff, v87
	v_or_b32_e32 v90, 0x10000, v87
	s_delay_alu instid0(VALU_DEP_2) | instskip(NEXT) | instid1(VALU_DEP_2)
	v_cmp_eq_u32_e32 vcc_lo, 0, v88
	v_cndmask_b32_e32 v88, v90, v87, vcc_lo
; %bb.36:
	s_or_b32 exec_lo, exec_lo, s3
	v_and_b32_e32 v87, 0x7f800000, v84
	s_delay_alu instid0(VALU_DEP_1) | instskip(SKIP_1) | instid1(SALU_CYCLE_1)
	v_cmp_ne_u32_e32 vcc_lo, 0x7f800000, v87
                                        ; implicit-def: $vgpr87
	s_and_saveexec_b32 s3, vcc_lo
	s_xor_b32 s3, exec_lo, s3
; %bb.37:
	v_bfe_u32 v87, v84, 16, 1
	s_delay_alu instid0(VALU_DEP_1)
	v_add3_u32 v87, v84, v87, 0x7fff
                                        ; implicit-def: $vgpr84
; %bb.38:
	s_and_not1_saveexec_b32 s3, s3
; %bb.39:
	v_and_b32_e32 v87, 0xffff, v84
	v_or_b32_e32 v90, 0x10000, v84
	s_delay_alu instid0(VALU_DEP_2) | instskip(NEXT) | instid1(VALU_DEP_2)
	v_cmp_eq_u32_e32 vcc_lo, 0, v87
	v_cndmask_b32_e32 v87, v90, v84, vcc_lo
; %bb.40:
	s_or_b32 exec_lo, exec_lo, s3
	v_and_b32_e32 v84, 0x7f800000, v80
	s_delay_alu instid0(VALU_DEP_1) | instskip(SKIP_1) | instid1(SALU_CYCLE_1)
	v_cmp_ne_u32_e32 vcc_lo, 0x7f800000, v84
                                        ; implicit-def: $vgpr84
	s_and_saveexec_b32 s3, vcc_lo
	s_xor_b32 s3, exec_lo, s3
; %bb.41:
	v_bfe_u32 v84, v80, 16, 1
	s_delay_alu instid0(VALU_DEP_1)
	v_add3_u32 v84, v80, v84, 0x7fff
                                        ; implicit-def: $vgpr80
; %bb.42:
	s_and_not1_saveexec_b32 s3, s3
; %bb.43:
	v_and_b32_e32 v84, 0xffff, v80
	v_or_b32_e32 v90, 0x10000, v80
	s_delay_alu instid0(VALU_DEP_2) | instskip(NEXT) | instid1(VALU_DEP_2)
	v_cmp_eq_u32_e32 vcc_lo, 0, v84
	v_cndmask_b32_e32 v84, v90, v80, vcc_lo
; %bb.44:
	s_or_b32 exec_lo, exec_lo, s3
	s_load_b64 s[34:35], s[0:1], 0x94
	v_lshlrev_b32_e32 v91, 4, v74
	s_delay_alu instid0(VALU_DEP_2)
	v_perm_b32 v90, v84, v87, 0x7060302
	v_dual_mul_f32 v79, v82, v79 :: v_dual_lshlrev_b32 v80, 6, v65
	v_dual_mul_f32 v77, v82, v77 :: v_dual_lshlrev_b32 v92, 11, v66
	v_mul_f32_e32 v84, v82, v70
	v_perm_b32 v89, v88, v89, 0x7060302
	v_perm_b32 v88, v86, v85, 0x7060302
	v_perm_b32 v87, v83, v76, 0x7060302
	v_mul_f32_e32 v70, v82, v81
	v_or3_b32 v76, v91, v92, v80
	v_dual_mul_f32 v78, v82, v78 :: v_dual_and_b32 v85, 0x7f800000, v84
	v_mul_f32_e32 v83, v82, v72
	v_mul_f32_e32 v81, v82, v71
	;; [unrolled: 1-line block ×3, first 2 shown]
	s_mov_b32 s3, exec_lo
	ds_store_b128 v76, v[87:90]
                                        ; implicit-def: $vgpr69
	v_cmpx_ne_u32_e32 0x7f800000, v85
	s_xor_b32 s3, exec_lo, s3
; %bb.45:
	v_bfe_u32 v69, v84, 16, 1
	s_delay_alu instid0(VALU_DEP_1)
	v_add3_u32 v69, v84, v69, 0x7fff
                                        ; implicit-def: $vgpr84
; %bb.46:
	s_and_not1_saveexec_b32 s3, s3
; %bb.47:
	v_and_b32_e32 v69, 0xffff, v84
	v_or_b32_e32 v71, 0x10000, v84
	s_delay_alu instid0(VALU_DEP_2) | instskip(NEXT) | instid1(VALU_DEP_2)
	v_cmp_eq_u32_e32 vcc_lo, 0, v69
	v_cndmask_b32_e32 v69, v71, v84, vcc_lo
; %bb.48:
	s_or_b32 exec_lo, exec_lo, s3
	v_and_b32_e32 v71, 0x7f800000, v72
	s_delay_alu instid0(VALU_DEP_1) | instskip(SKIP_1) | instid1(SALU_CYCLE_1)
	v_cmp_ne_u32_e32 vcc_lo, 0x7f800000, v71
                                        ; implicit-def: $vgpr71
	s_and_saveexec_b32 s3, vcc_lo
	s_xor_b32 s3, exec_lo, s3
; %bb.49:
	v_bfe_u32 v71, v72, 16, 1
	s_delay_alu instid0(VALU_DEP_1)
	v_add3_u32 v71, v72, v71, 0x7fff
                                        ; implicit-def: $vgpr72
; %bb.50:
	s_and_not1_saveexec_b32 s3, s3
; %bb.51:
	v_and_b32_e32 v71, 0xffff, v72
	v_or_b32_e32 v82, 0x10000, v72
	s_delay_alu instid0(VALU_DEP_2) | instskip(NEXT) | instid1(VALU_DEP_2)
	v_cmp_eq_u32_e32 vcc_lo, 0, v71
	v_cndmask_b32_e32 v71, v82, v72, vcc_lo
; %bb.52:
	s_or_b32 exec_lo, exec_lo, s3
	v_and_b32_e32 v72, 0x7f800000, v81
	s_delay_alu instid0(VALU_DEP_1) | instskip(SKIP_1) | instid1(SALU_CYCLE_1)
	v_cmp_ne_u32_e32 vcc_lo, 0x7f800000, v72
                                        ; implicit-def: $vgpr72
	s_and_saveexec_b32 s3, vcc_lo
	s_xor_b32 s3, exec_lo, s3
; %bb.53:
	v_bfe_u32 v72, v81, 16, 1
	s_delay_alu instid0(VALU_DEP_1)
	v_add3_u32 v72, v81, v72, 0x7fff
                                        ; implicit-def: $vgpr81
; %bb.54:
	s_and_not1_saveexec_b32 s3, s3
; %bb.55:
	v_and_b32_e32 v72, 0xffff, v81
	v_or_b32_e32 v82, 0x10000, v81
	s_delay_alu instid0(VALU_DEP_2) | instskip(NEXT) | instid1(VALU_DEP_2)
	v_cmp_eq_u32_e32 vcc_lo, 0, v72
	v_cndmask_b32_e32 v72, v82, v81, vcc_lo
; %bb.56:
	s_or_b32 exec_lo, exec_lo, s3
	v_and_b32_e32 v81, 0x7f800000, v83
	s_delay_alu instid0(VALU_DEP_1) | instskip(SKIP_1) | instid1(SALU_CYCLE_1)
	v_cmp_ne_u32_e32 vcc_lo, 0x7f800000, v81
                                        ; implicit-def: $vgpr81
	s_and_saveexec_b32 s3, vcc_lo
	s_xor_b32 s3, exec_lo, s3
; %bb.57:
	v_bfe_u32 v81, v83, 16, 1
	s_delay_alu instid0(VALU_DEP_1)
	v_add3_u32 v81, v83, v81, 0x7fff
                                        ; implicit-def: $vgpr83
; %bb.58:
	s_and_not1_saveexec_b32 s3, s3
; %bb.59:
	v_and_b32_e32 v81, 0xffff, v83
	v_or_b32_e32 v82, 0x10000, v83
	s_delay_alu instid0(VALU_DEP_2) | instskip(NEXT) | instid1(VALU_DEP_2)
	v_cmp_eq_u32_e32 vcc_lo, 0, v81
	v_cndmask_b32_e32 v81, v82, v83, vcc_lo
; %bb.60:
	s_or_b32 exec_lo, exec_lo, s3
	v_and_b32_e32 v82, 0x7f800000, v77
	s_delay_alu instid0(VALU_DEP_1) | instskip(SKIP_1) | instid1(SALU_CYCLE_1)
	v_cmp_ne_u32_e32 vcc_lo, 0x7f800000, v82
                                        ; implicit-def: $vgpr82
	s_and_saveexec_b32 s3, vcc_lo
	s_xor_b32 s3, exec_lo, s3
; %bb.61:
	v_bfe_u32 v82, v77, 16, 1
	s_delay_alu instid0(VALU_DEP_1)
	v_add3_u32 v82, v77, v82, 0x7fff
                                        ; implicit-def: $vgpr77
; %bb.62:
	s_and_not1_saveexec_b32 s3, s3
; %bb.63:
	v_and_b32_e32 v82, 0xffff, v77
	v_or_b32_e32 v83, 0x10000, v77
	s_delay_alu instid0(VALU_DEP_2) | instskip(NEXT) | instid1(VALU_DEP_2)
	v_cmp_eq_u32_e32 vcc_lo, 0, v82
	v_cndmask_b32_e32 v82, v83, v77, vcc_lo
; %bb.64:
	s_or_b32 exec_lo, exec_lo, s3
	v_and_b32_e32 v77, 0x7f800000, v78
	s_delay_alu instid0(VALU_DEP_1) | instskip(SKIP_1) | instid1(SALU_CYCLE_1)
	v_cmp_ne_u32_e32 vcc_lo, 0x7f800000, v77
                                        ; implicit-def: $vgpr77
	s_and_saveexec_b32 s3, vcc_lo
	s_xor_b32 s3, exec_lo, s3
; %bb.65:
	v_bfe_u32 v77, v78, 16, 1
	s_delay_alu instid0(VALU_DEP_1)
	v_add3_u32 v77, v78, v77, 0x7fff
                                        ; implicit-def: $vgpr78
; %bb.66:
	s_and_not1_saveexec_b32 s3, s3
; %bb.67:
	v_and_b32_e32 v77, 0xffff, v78
	v_or_b32_e32 v83, 0x10000, v78
	s_delay_alu instid0(VALU_DEP_2) | instskip(NEXT) | instid1(VALU_DEP_2)
	v_cmp_eq_u32_e32 vcc_lo, 0, v77
	v_cndmask_b32_e32 v77, v83, v78, vcc_lo
; %bb.68:
	s_or_b32 exec_lo, exec_lo, s3
	v_and_b32_e32 v78, 0x7f800000, v79
	s_delay_alu instid0(VALU_DEP_1) | instskip(SKIP_1) | instid1(SALU_CYCLE_1)
	v_cmp_ne_u32_e32 vcc_lo, 0x7f800000, v78
                                        ; implicit-def: $vgpr78
	s_and_saveexec_b32 s3, vcc_lo
	s_xor_b32 s3, exec_lo, s3
; %bb.69:
	v_bfe_u32 v78, v79, 16, 1
	s_delay_alu instid0(VALU_DEP_1)
	v_add3_u32 v78, v79, v78, 0x7fff
                                        ; implicit-def: $vgpr79
; %bb.70:
	s_and_not1_saveexec_b32 s3, s3
; %bb.71:
	v_and_b32_e32 v78, 0xffff, v79
	v_or_b32_e32 v83, 0x10000, v79
	s_delay_alu instid0(VALU_DEP_2) | instskip(NEXT) | instid1(VALU_DEP_2)
	v_cmp_eq_u32_e32 vcc_lo, 0, v78
	v_cndmask_b32_e32 v78, v83, v79, vcc_lo
; %bb.72:
	s_or_b32 exec_lo, exec_lo, s3
	v_and_b32_e32 v79, 0x7f800000, v70
	s_delay_alu instid0(VALU_DEP_1) | instskip(SKIP_1) | instid1(SALU_CYCLE_1)
	v_cmp_ne_u32_e32 vcc_lo, 0x7f800000, v79
                                        ; implicit-def: $vgpr79
	s_and_saveexec_b32 s3, vcc_lo
	s_xor_b32 s3, exec_lo, s3
; %bb.73:
	v_bfe_u32 v79, v70, 16, 1
	s_delay_alu instid0(VALU_DEP_1)
	v_add3_u32 v79, v70, v79, 0x7fff
                                        ; implicit-def: $vgpr70
; %bb.74:
	s_and_not1_saveexec_b32 s3, s3
; %bb.75:
	v_and_b32_e32 v79, 0xffff, v70
	v_or_b32_e32 v83, 0x10000, v70
	s_delay_alu instid0(VALU_DEP_2) | instskip(NEXT) | instid1(VALU_DEP_2)
	v_cmp_eq_u32_e32 vcc_lo, 0, v79
	v_cndmask_b32_e32 v79, v83, v70, vcc_lo
; %bb.76:
	s_or_b32 exec_lo, exec_lo, s3
	s_delay_alu instid0(VALU_DEP_1)
	v_perm_b32 v86, v79, v78, 0x7060302
	v_perm_b32 v85, v77, v82, 0x7060302
	;; [unrolled: 1-line block ×4, first 2 shown]
	v_lshl_or_b32 v82, v66, 11, v80
	ds_store_b128 v76, v[83:86] offset:1024
	s_waitcnt lgkmcnt(0)
	s_barrier
	buffer_gl0_inv
	ds_load_b128 v[69:72], v82
	ds_load_b128 v[83:86], v82 offset:16
	s_waitcnt lgkmcnt(1)
	v_lshrrev_b32_e32 v66, 16, v69
	s_waitcnt lgkmcnt(0)
	v_lshrrev_b32_e32 v91, 16, v83
	v_lshlrev_b32_e32 v78, 2, v74
	v_lshrrev_b32_e32 v95, 16, v70
	v_lshrrev_b32_e32 v98, 16, v84
	v_lshrrev_b32_e32 v96, 16, v71
	v_lshrrev_b32_e32 v99, 16, v85
	v_cmp_eq_u32_e32 vcc_lo, 1, v78
	v_lshrrev_b32_e32 v97, 16, v72
	v_lshrrev_b32_e32 v100, 16, v86
	v_cndmask_b32_e32 v87, v83, v91, vcc_lo
	v_or_b32_e32 v79, 1, v78
	v_cndmask_b32_e32 v81, v69, v66, vcc_lo
	v_cmp_eq_u32_e64 s4, 2, v78
	v_cmp_eq_u32_e64 s7, 3, v78
	;; [unrolled: 1-line block ×5, first 2 shown]
	v_cndmask_b32_e64 v81, v81, v70, s4
	v_cndmask_b32_e64 v87, v87, v84, s4
	v_cmp_eq_u32_e64 s8, 3, v79
	v_cndmask_b32_e64 v88, v69, v66, s3
	v_or_b32_e32 v77, 2, v78
	v_cndmask_b32_e64 v81, v81, v95, s7
	v_cndmask_b32_e64 v87, v87, v98, s7
	;; [unrolled: 1-line block ×4, first 2 shown]
	v_cmp_eq_u32_e64 s10, 5, v78
	v_cndmask_b32_e64 v81, v81, v71, s9
	v_cndmask_b32_e64 v87, v87, v85, s9
	v_cmp_eq_u32_e64 s11, 4, v79
	v_cndmask_b32_e64 v88, v88, v95, s8
	v_cmp_eq_u32_e64 s5, 1, v77
	v_cndmask_b32_e64 v89, v89, v84, s6
	v_cndmask_b32_e64 v81, v81, v96, s10
	v_cmp_eq_u32_e64 s12, 6, v78
	v_cndmask_b32_e64 v88, v88, v71, s11
	;; [unrolled: 3-line block ×3, first 2 shown]
	v_cndmask_b32_e64 v89, v89, v98, s8
	v_cndmask_b32_e64 v81, v81, v72, s12
	v_cmp_eq_u32_e64 s15, 7, v78
	v_cndmask_b32_e64 v88, v88, v96, s13
	v_cndmask_b32_e64 v87, v87, v86, s12
	v_cmp_eq_u32_e64 s16, 6, v79
	v_cmp_eq_u32_e64 s17, 2, v77
	v_cndmask_b32_e64 v89, v89, v85, s11
	v_cndmask_b32_e64 v101, v81, v97, s15
	;; [unrolled: 1-line block ×6, first 2 shown]
	v_cmp_eq_u32_e64 s18, 7, v79
	v_cmp_eq_u32_e64 s19, 3, v77
	;; [unrolled: 1-line block ×4, first 2 shown]
	v_cndmask_b32_e64 v87, v87, v84, s17
	v_cndmask_b32_e64 v103, v88, v97, s18
	;; [unrolled: 1-line block ×4, first 2 shown]
	v_or_b32_e32 v81, 3, v78
	v_cndmask_b32_e64 v93, v87, v98, s19
	v_cmp_eq_u32_e64 s24, 6, v77
	v_cndmask_b32_e64 v104, v88, v86, s16
	v_cndmask_b32_e64 v92, v89, v71, s20
	v_cmp_eq_u32_e64 s21, 1, v81
	ds_load_b128 v[87:90], v82 offset:1024
	v_cmp_eq_u32_e64 s23, 2, v81
	v_cmp_eq_u32_e64 s25, 3, v81
	v_cndmask_b32_e64 v105, v92, v96, s22
	v_cndmask_b32_e64 v66, v69, v66, s21
	;; [unrolled: 1-line block ×4, first 2 shown]
	ds_load_b128 v[91:94], v82 offset:1040
	v_cmp_eq_u32_e64 s26, 4, v81
	v_cndmask_b32_e64 v66, v66, v70, s23
	v_cmp_eq_u32_e64 s27, 7, v77
	v_cndmask_b32_e64 v70, v83, v84, s23
	v_cndmask_b32_e64 v84, v105, v72, s24
	v_cmp_eq_u32_e64 s28, 5, v81
	v_cndmask_b32_e64 v66, v66, v95, s25
	v_cmp_eq_u32_e64 s29, 6, v81
	v_cndmask_b32_e64 v70, v70, v98, s25
	v_cndmask_b32_e64 v69, v69, v99, s22
	;; [unrolled: 1-line block ×4, first 2 shown]
	s_waitcnt lgkmcnt(1)
	v_lshrrev_b32_e32 v95, 16, v87
	v_cndmask_b32_e64 v70, v70, v85, s26
	v_cndmask_b32_e64 v71, v84, v97, s27
	;; [unrolled: 1-line block ×4, first 2 shown]
	v_cndmask_b32_e32 v84, v87, v95, vcc_lo
	v_cndmask_b32_e64 v70, v70, v99, s28
	s_waitcnt lgkmcnt(0)
	v_lshrrev_b32_e32 v85, 16, v91
	v_lshrrev_b32_e32 v96, 16, v88
	v_cndmask_b32_e64 v98, v87, v95, s3
	v_cndmask_b32_e64 v84, v84, v88, s4
	;; [unrolled: 1-line block ×3, first 2 shown]
	v_cndmask_b32_e32 v99, v91, v85, vcc_lo
	v_cmp_eq_u32_e32 vcc_lo, 7, v81
	v_cndmask_b32_e64 v66, v66, v72, s29
	v_cndmask_b32_e64 v72, v84, v96, s7
	;; [unrolled: 1-line block ×3, first 2 shown]
	v_lshrrev_b32_e32 v98, 16, v92
	v_cndmask_b32_e32 v70, v70, v100, vcc_lo
	v_cndmask_b32_e64 v86, v99, v92, s4
	v_cndmask_b32_e64 v69, v69, v100, s27
	v_lshrrev_b32_e32 v100, 16, v93
	v_cndmask_b32_e64 v72, v72, v89, s9
	v_lshrrev_b32_e32 v99, 16, v89
	v_cndmask_b32_e64 v86, v86, v98, s7
	v_perm_b32 v71, v69, v71, 0x5040100
	v_cndmask_b32_e64 v84, v84, v96, s8
	s_delay_alu instid0(VALU_DEP_3) | instskip(NEXT) | instid1(VALU_DEP_2)
	v_cndmask_b32_e64 v86, v86, v93, s9
	v_cndmask_b32_e64 v84, v84, v89, s11
	s_delay_alu instid0(VALU_DEP_2) | instskip(NEXT) | instid1(VALU_DEP_1)
	v_cndmask_b32_e64 v86, v86, v100, s10
	v_cndmask_b32_e64 v69, v86, v94, s12
	;; [unrolled: 1-line block ×5, first 2 shown]
	s_delay_alu instid0(VALU_DEP_3) | instskip(NEXT) | instid1(VALU_DEP_3)
	v_cndmask_b32_e64 v86, v86, v88, s17
	v_cndmask_b32_e64 v87, v87, v88, s23
	s_delay_alu instid0(VALU_DEP_3) | instskip(NEXT) | instid1(VALU_DEP_3)
	v_cndmask_b32_e64 v88, v95, v92, s23
	v_cndmask_b32_e64 v86, v86, v96, s19
	;; [unrolled: 3-line block ×7, first 2 shown]
	s_delay_alu instid0(VALU_DEP_3) | instskip(SKIP_2) | instid1(VALU_DEP_2)
	v_cndmask_b32_e64 v88, v88, v94, s29
	v_cndmask_b32_e32 v66, v66, v97, vcc_lo
	v_cndmask_b32_e64 v97, v72, v99, s10
	v_perm_b32 v72, v70, v66, 0x5040100
	v_perm_b32 v70, v83, v103, 0x5040100
	v_cndmask_b32_e64 v103, v91, v85, s5
	v_cndmask_b32_e64 v85, v91, v85, s3
	;; [unrolled: 1-line block ×4, first 2 shown]
	v_lshrrev_b32_e32 v97, 16, v90
	v_cndmask_b32_e64 v91, v103, v92, s17
	v_cndmask_b32_e64 v85, v85, v92, s6
	;; [unrolled: 1-line block ×3, first 2 shown]
	s_mov_b32 s3, exec_lo
	v_cndmask_b32_e64 v83, v84, v97, s15
	v_cndmask_b32_e64 v91, v91, v98, s19
	;; [unrolled: 1-line block ×3, first 2 shown]
	v_lshrrev_b32_e32 v84, 16, v94
	v_cndmask_b32_e64 v66, v66, v97, s18
	v_cndmask_b32_e64 v90, v86, v97, s27
	;; [unrolled: 1-line block ×4, first 2 shown]
	v_dual_cndmask_b32 v86, v87, v97 :: v_dual_cndmask_b32 v87, v88, v84
	v_cndmask_b32_e64 v91, v69, v84, s15
	s_delay_alu instid0(VALU_DEP_4) | instskip(NEXT) | instid1(VALU_DEP_4)
	v_cndmask_b32_e64 v89, v89, v100, s22
	v_cndmask_b32_e64 v85, v85, v100, s13
	v_perm_b32 v69, v102, v101, 0x5040100
	v_perm_b32 v86, v87, v86, 0x5040100
	;; [unrolled: 1-line block ×3, first 2 shown]
	v_cndmask_b32_e64 v89, v89, v94, s24
	v_cndmask_b32_e64 v85, v85, v94, s16
	s_mul_i32 s8, s35, 14
	s_delay_alu instid0(VALU_DEP_2) | instskip(NEXT) | instid1(VALU_DEP_2)
	v_cndmask_b32_e64 v88, v89, v84, s27
	v_cndmask_b32_e64 v89, v85, v84, s18
	s_delay_alu instid0(VALU_DEP_2) | instskip(NEXT) | instid1(VALU_DEP_2)
	v_perm_b32 v85, v88, v90, 0x5040100
	v_perm_b32 v84, v89, v66, 0x5040100
	ds_store_b128 v76, v[69:72]
	ds_store_b128 v76, v[83:86] offset:1024
	v_cmpx_gt_u32_e32 14, v0
	s_cbranch_execz .LBB1379_78
; %bb.77:
	s_mul_i32 s4, s8, s30
	s_delay_alu instid0(SALU_CYCLE_1) | instskip(SKIP_1) | instid1(VALU_DEP_1)
	v_add3_u32 v69, s4, s31, v65
	s_load_b128 s[4:7], s[0:1], 0x58
	v_mad_u64_u32 v[65:66], null, v69, s34, s[14:15]
	s_delay_alu instid0(VALU_DEP_1) | instskip(NEXT) | instid1(VALU_DEP_1)
	v_ashrrev_i32_e32 v66, 31, v65
	v_lshlrev_b64 v[65:66], 2, v[65:66]
	s_waitcnt lgkmcnt(0)
	s_delay_alu instid0(VALU_DEP_1) | instskip(NEXT) | instid1(VALU_DEP_2)
	v_add_co_u32 v69, vcc_lo, s6, v65
	v_add_co_ci_u32_e32 v70, vcc_lo, s7, v66, vcc_lo
	v_add_co_u32 v65, vcc_lo, s4, v65
	v_add_co_ci_u32_e32 v66, vcc_lo, s5, v66, vcc_lo
	global_store_b32 v[69:70], v67, off
	global_store_b32 v[65:66], v68, off
.LBB1379_78:
	s_or_b32 exec_lo, exec_lo, s3
	s_waitcnt lgkmcnt(0)
	s_waitcnt_vscnt null, 0x0
	s_barrier
	buffer_gl0_inv
	ds_load_b128 v[83:86], v80
	ds_load_b128 v[87:90], v80 offset:16
	ds_load_b128 v[95:98], v80 offset:2064
	;; [unrolled: 1-line block ×3, first 2 shown]
	v_mov_b32_e32 v65, 0
	ds_load_b128 v[103:106], v80 offset:4112
	ds_load_b128 v[99:102], v80 offset:4096
	;; [unrolled: 1-line block ×4, first 2 shown]
	v_mov_b32_e32 v66, v65
	v_mov_b32_e32 v67, v65
	;; [unrolled: 1-line block ×7, first 2 shown]
	s_waitcnt lgkmcnt(6)
	s_delay_alu instid0(VALU_DEP_1)
	v_wmma_f32_16x16x16_bf16 v[65:72], v[57:64], v[83:90], v[65:72]
	ds_load_b128 v[61:64], v80 offset:8208
	ds_load_b128 v[57:60], v80 offset:8192
	s_waitcnt lgkmcnt(6)
	v_wmma_f32_16x16x16_bf16 v[65:72], v[41:48], v[91:98], v[65:72]
	ds_load_b128 v[45:48], v80 offset:10256
	ds_load_b128 v[41:44], v80 offset:10240
	s_waitcnt lgkmcnt(6)
	;; [unrolled: 4-line block ×4, first 2 shown]
	v_wmma_f32_16x16x16_bf16 v[65:72], v[1:8], v[57:64], v[65:72]
	s_waitcnt lgkmcnt(4)
	s_delay_alu instid0(VALU_DEP_1) | instskip(SKIP_1) | instid1(VALU_DEP_1)
	v_wmma_f32_16x16x16_bf16 v[65:72], v[9:16], v[41:48], v[65:72]
	s_waitcnt lgkmcnt(2)
	v_wmma_f32_16x16x16_bf16 v[65:72], v[17:24], v[33:40], v[65:72]
	s_waitcnt lgkmcnt(0)
	s_delay_alu instid0(VALU_DEP_1) | instskip(NEXT) | instid1(VALU_DEP_1)
	v_wmma_f32_16x16x16_bf16 v[65:72], v[49:56], v[25:32], v[65:72]
	v_and_b32_e32 v1, 0x7f800000, v65
	s_delay_alu instid0(VALU_DEP_1) | instskip(SKIP_1) | instid1(SALU_CYCLE_1)
	v_cmp_ne_u32_e32 vcc_lo, 0x7f800000, v1
                                        ; implicit-def: $vgpr1
	s_and_saveexec_b32 s3, vcc_lo
	s_xor_b32 s3, exec_lo, s3
; %bb.79:
	v_bfe_u32 v1, v65, 16, 1
	s_delay_alu instid0(VALU_DEP_1)
	v_add3_u32 v1, v65, v1, 0x7fff
; %bb.80:
	s_and_not1_saveexec_b32 s3, s3
; %bb.81:
	v_and_b32_e32 v1, 0xffff, v65
	v_or_b32_e32 v2, 0x10000, v65
	s_delay_alu instid0(VALU_DEP_2) | instskip(NEXT) | instid1(VALU_DEP_2)
	v_cmp_eq_u32_e32 vcc_lo, 0, v1
	v_cndmask_b32_e32 v1, v2, v65, vcc_lo
; %bb.82:
	s_or_b32 exec_lo, exec_lo, s3
	v_and_b32_e32 v2, 0x7f800000, v66
	s_delay_alu instid0(VALU_DEP_1) | instskip(SKIP_1) | instid1(SALU_CYCLE_1)
	v_cmp_ne_u32_e32 vcc_lo, 0x7f800000, v2
                                        ; implicit-def: $vgpr2
	s_and_saveexec_b32 s3, vcc_lo
	s_xor_b32 s3, exec_lo, s3
; %bb.83:
	v_bfe_u32 v2, v66, 16, 1
	s_delay_alu instid0(VALU_DEP_1)
	v_add3_u32 v2, v66, v2, 0x7fff
; %bb.84:
	s_and_not1_saveexec_b32 s3, s3
; %bb.85:
	v_and_b32_e32 v2, 0xffff, v66
	v_or_b32_e32 v3, 0x10000, v66
	s_delay_alu instid0(VALU_DEP_2) | instskip(NEXT) | instid1(VALU_DEP_2)
	v_cmp_eq_u32_e32 vcc_lo, 0, v2
	v_cndmask_b32_e32 v2, v3, v66, vcc_lo
; %bb.86:
	s_or_b32 exec_lo, exec_lo, s3
	v_and_b32_e32 v3, 0x7f800000, v67
	s_delay_alu instid0(VALU_DEP_1) | instskip(SKIP_1) | instid1(SALU_CYCLE_1)
	v_cmp_ne_u32_e32 vcc_lo, 0x7f800000, v3
                                        ; implicit-def: $vgpr3
	s_and_saveexec_b32 s3, vcc_lo
	s_xor_b32 s3, exec_lo, s3
; %bb.87:
	v_bfe_u32 v3, v67, 16, 1
	s_delay_alu instid0(VALU_DEP_1)
	v_add3_u32 v3, v67, v3, 0x7fff
; %bb.88:
	s_and_not1_saveexec_b32 s3, s3
; %bb.89:
	v_and_b32_e32 v3, 0xffff, v67
	v_or_b32_e32 v4, 0x10000, v67
	s_delay_alu instid0(VALU_DEP_2) | instskip(NEXT) | instid1(VALU_DEP_2)
	v_cmp_eq_u32_e32 vcc_lo, 0, v3
	v_cndmask_b32_e32 v3, v4, v67, vcc_lo
; %bb.90:
	s_or_b32 exec_lo, exec_lo, s3
	v_and_b32_e32 v4, 0x7f800000, v68
	s_delay_alu instid0(VALU_DEP_1) | instskip(SKIP_1) | instid1(SALU_CYCLE_1)
	v_cmp_ne_u32_e32 vcc_lo, 0x7f800000, v4
                                        ; implicit-def: $vgpr4
	s_and_saveexec_b32 s3, vcc_lo
	s_xor_b32 s3, exec_lo, s3
; %bb.91:
	v_bfe_u32 v4, v68, 16, 1
	s_delay_alu instid0(VALU_DEP_1)
	v_add3_u32 v4, v68, v4, 0x7fff
; %bb.92:
	s_and_not1_saveexec_b32 s3, s3
; %bb.93:
	v_and_b32_e32 v4, 0xffff, v68
	v_or_b32_e32 v5, 0x10000, v68
	s_delay_alu instid0(VALU_DEP_2) | instskip(NEXT) | instid1(VALU_DEP_2)
	v_cmp_eq_u32_e32 vcc_lo, 0, v4
	v_cndmask_b32_e32 v4, v5, v68, vcc_lo
; %bb.94:
	s_or_b32 exec_lo, exec_lo, s3
	v_and_b32_e32 v5, 0x7f800000, v69
	s_delay_alu instid0(VALU_DEP_1) | instskip(SKIP_1) | instid1(SALU_CYCLE_1)
	v_cmp_ne_u32_e32 vcc_lo, 0x7f800000, v5
                                        ; implicit-def: $vgpr5
	s_and_saveexec_b32 s3, vcc_lo
	s_xor_b32 s3, exec_lo, s3
; %bb.95:
	v_bfe_u32 v5, v69, 16, 1
	s_delay_alu instid0(VALU_DEP_1)
	v_add3_u32 v5, v69, v5, 0x7fff
; %bb.96:
	s_and_not1_saveexec_b32 s3, s3
; %bb.97:
	v_and_b32_e32 v5, 0xffff, v69
	v_or_b32_e32 v6, 0x10000, v69
	s_delay_alu instid0(VALU_DEP_2) | instskip(NEXT) | instid1(VALU_DEP_2)
	v_cmp_eq_u32_e32 vcc_lo, 0, v5
	v_cndmask_b32_e32 v5, v6, v69, vcc_lo
; %bb.98:
	s_or_b32 exec_lo, exec_lo, s3
	v_and_b32_e32 v6, 0x7f800000, v70
	s_delay_alu instid0(VALU_DEP_1) | instskip(SKIP_1) | instid1(SALU_CYCLE_1)
	v_cmp_ne_u32_e32 vcc_lo, 0x7f800000, v6
                                        ; implicit-def: $vgpr6
	s_and_saveexec_b32 s3, vcc_lo
	s_xor_b32 s3, exec_lo, s3
; %bb.99:
	v_bfe_u32 v6, v70, 16, 1
	s_delay_alu instid0(VALU_DEP_1)
	v_add3_u32 v6, v70, v6, 0x7fff
; %bb.100:
	s_and_not1_saveexec_b32 s3, s3
; %bb.101:
	v_and_b32_e32 v6, 0xffff, v70
	v_or_b32_e32 v7, 0x10000, v70
	s_delay_alu instid0(VALU_DEP_2) | instskip(NEXT) | instid1(VALU_DEP_2)
	v_cmp_eq_u32_e32 vcc_lo, 0, v6
	v_cndmask_b32_e32 v6, v7, v70, vcc_lo
; %bb.102:
	s_or_b32 exec_lo, exec_lo, s3
	v_and_b32_e32 v7, 0x7f800000, v71
	s_delay_alu instid0(VALU_DEP_1) | instskip(SKIP_1) | instid1(SALU_CYCLE_1)
	v_cmp_ne_u32_e32 vcc_lo, 0x7f800000, v7
                                        ; implicit-def: $vgpr7
	s_and_saveexec_b32 s3, vcc_lo
	s_xor_b32 s3, exec_lo, s3
; %bb.103:
	v_bfe_u32 v7, v71, 16, 1
	s_delay_alu instid0(VALU_DEP_1)
	v_add3_u32 v7, v71, v7, 0x7fff
; %bb.104:
	s_and_not1_saveexec_b32 s3, s3
; %bb.105:
	v_and_b32_e32 v7, 0xffff, v71
	v_or_b32_e32 v8, 0x10000, v71
	s_delay_alu instid0(VALU_DEP_2) | instskip(NEXT) | instid1(VALU_DEP_2)
	v_cmp_eq_u32_e32 vcc_lo, 0, v7
	v_cndmask_b32_e32 v7, v8, v71, vcc_lo
; %bb.106:
	s_or_b32 exec_lo, exec_lo, s3
	v_and_b32_e32 v8, 0x7f800000, v72
	s_delay_alu instid0(VALU_DEP_1) | instskip(SKIP_1) | instid1(SALU_CYCLE_1)
	v_cmp_ne_u32_e32 vcc_lo, 0x7f800000, v8
                                        ; implicit-def: $vgpr8
	s_and_saveexec_b32 s3, vcc_lo
	s_xor_b32 s3, exec_lo, s3
; %bb.107:
	v_bfe_u32 v8, v72, 16, 1
	s_delay_alu instid0(VALU_DEP_1)
	v_add3_u32 v8, v72, v8, 0x7fff
                                        ; implicit-def: $vgpr65_vgpr66_vgpr67_vgpr68_vgpr69_vgpr70_vgpr71_vgpr72
; %bb.108:
	s_and_not1_saveexec_b32 s3, s3
; %bb.109:
	v_and_b32_e32 v8, 0xffff, v72
	v_or_b32_e32 v9, 0x10000, v72
	s_delay_alu instid0(VALU_DEP_2) | instskip(NEXT) | instid1(VALU_DEP_2)
	v_cmp_eq_u32_e32 vcc_lo, 0, v8
	v_cndmask_b32_e32 v8, v9, v72, vcc_lo
; %bb.110:
	s_or_b32 exec_lo, exec_lo, s3
	s_delay_alu instid0(VALU_DEP_1)
	v_perm_b32 v7, v8, v7, 0x7060302
	v_perm_b32 v6, v6, v5, 0x7060302
	;; [unrolled: 1-line block ×4, first 2 shown]
	s_barrier
	buffer_gl0_inv
	v_cmp_eq_u32_e32 vcc_lo, 1, v78
	ds_store_b128 v76, v[4:7]
	s_waitcnt lgkmcnt(0)
	s_barrier
	buffer_gl0_inv
	ds_load_b128 v[1:4], v82
	ds_load_b128 v[5:8], v82 offset:16
	v_cmp_eq_u32_e64 s3, 1, v79
	v_cmp_eq_u32_e64 s4, 2, v78
	;; [unrolled: 1-line block ×5, first 2 shown]
	s_waitcnt lgkmcnt(1)
	v_lshrrev_b32_e32 v9, 16, v1
	s_waitcnt lgkmcnt(0)
	v_lshrrev_b32_e32 v13, 16, v5
	v_lshrrev_b32_e32 v10, 16, v2
	;; [unrolled: 1-line block ×4, first 2 shown]
	v_cndmask_b32_e64 v19, v1, v9, s3
	v_cndmask_b32_e32 v18, v5, v13, vcc_lo
	v_cndmask_b32_e64 v20, v5, v13, s3
	v_cndmask_b32_e32 v17, v1, v9, vcc_lo
	v_cmp_eq_u32_e32 vcc_lo, 2, v79
	v_lshrrev_b32_e32 v15, 16, v7
	v_cmp_eq_u32_e64 s3, 1, v77
	v_lshrrev_b32_e32 v12, 16, v4
	v_lshrrev_b32_e32 v16, 16, v8
	v_cndmask_b32_e32 v20, v20, v6, vcc_lo
	v_cndmask_b32_e64 v17, v17, v2, s4
	v_cndmask_b32_e32 v19, v19, v2, vcc_lo
	v_cndmask_b32_e64 v18, v18, v6, s4
	v_cmp_eq_u32_e32 vcc_lo, 4, v78
	v_cmp_eq_u32_e64 s4, 3, v79
	v_cndmask_b32_e64 v17, v17, v10, s5
	v_cndmask_b32_e64 v21, v1, v9, s3
	;; [unrolled: 1-line block ×5, first 2 shown]
	v_cndmask_b32_e32 v17, v17, v3, vcc_lo
	v_cndmask_b32_e64 v20, v20, v14, s4
	v_cndmask_b32_e32 v18, v18, v7, vcc_lo
	v_cmp_eq_u32_e32 vcc_lo, 4, v79
	v_cmp_eq_u32_e64 s4, 5, v79
	v_cmp_eq_u32_e64 s3, 2, v81
	v_cndmask_b32_e64 v21, v21, v2, s7
	v_cmp_eq_u32_e64 s5, 5, v78
	v_cndmask_b32_e32 v19, v19, v3, vcc_lo
	v_cndmask_b32_e32 v20, v20, v7, vcc_lo
	v_cmp_eq_u32_e32 vcc_lo, 6, v79
	s_delay_alu instid0(VALU_DEP_4) | instskip(NEXT) | instid1(VALU_DEP_4)
	v_cndmask_b32_e64 v17, v17, v11, s5
	v_cndmask_b32_e64 v19, v19, v11, s4
	s_delay_alu instid0(VALU_DEP_4) | instskip(SKIP_1) | instid1(VALU_DEP_3)
	v_cndmask_b32_e64 v20, v20, v15, s4
	v_cmp_eq_u32_e64 s4, 1, v81
	v_cndmask_b32_e32 v19, v19, v4, vcc_lo
	v_cndmask_b32_e64 v18, v18, v15, s5
	s_delay_alu instid0(VALU_DEP_3)
	v_cndmask_b32_e64 v1, v1, v9, s4
	v_cndmask_b32_e64 v5, v5, v13, s4
	v_cmp_eq_u32_e64 s4, 3, v77
	v_cndmask_b32_e64 v13, v22, v6, s7
	v_cmp_eq_u32_e64 s7, 3, v81
	v_cndmask_b32_e64 v1, v1, v2, s3
	v_cndmask_b32_e64 v2, v5, v6, s3
	;; [unrolled: 1-line block ×3, first 2 shown]
	v_cmp_eq_u32_e64 s3, 4, v77
	v_cndmask_b32_e64 v6, v13, v14, s4
	v_cndmask_b32_e64 v1, v1, v10, s7
	v_cmp_eq_u32_e64 s4, 4, v81
	v_cndmask_b32_e64 v2, v2, v14, s7
	v_cndmask_b32_e64 v5, v9, v3, s3
	;; [unrolled: 3-line block ×3, first 2 shown]
	v_cndmask_b32_e64 v2, v2, v7, s4
	v_cmp_eq_u32_e64 s3, 5, v81
	v_cmp_eq_u32_e64 s5, 6, v78
	v_cndmask_b32_e64 v5, v5, v11, s7
	v_cmp_eq_u32_e64 s4, 6, v77
	v_cndmask_b32_e64 v3, v6, v15, s7
	v_cndmask_b32_e64 v1, v1, v11, s3
	v_cmp_eq_u32_e64 s7, 6, v81
	v_cndmask_b32_e64 v2, v2, v15, s3
	v_cndmask_b32_e64 v17, v17, v4, s5
	v_cndmask_b32_e64 v18, v18, v8, s5
	v_cmp_eq_u32_e64 s5, 7, v78
	v_cndmask_b32_e64 v5, v5, v4, s4
	v_cndmask_b32_e64 v3, v3, v8, s4
	v_cndmask_b32_e64 v1, v1, v4, s7
	v_cmp_eq_u32_e64 s3, 7, v81
	v_cndmask_b32_e64 v2, v2, v8, s7
	v_cmp_eq_u32_e64 s4, 7, v77
	v_cndmask_b32_e32 v4, v20, v8, vcc_lo
	v_cndmask_b32_e64 v17, v17, v12, s5
	v_cndmask_b32_e64 v19, v19, v12, s6
	;; [unrolled: 1-line block ×8, first 2 shown]
	v_cmp_gt_u32_e32 vcc_lo, 32, v0
	v_perm_b32 v4, v2, v1, 0x5040100
	v_perm_b32 v3, v3, v5, 0x5040100
	;; [unrolled: 1-line block ×4, first 2 shown]
	s_and_b32 s2, vcc_lo, s2
	ds_store_b128 v76, v[1:4]
	s_waitcnt lgkmcnt(0)
	s_barrier
	buffer_gl0_inv
	s_and_saveexec_b32 s3, s2
	s_cbranch_execz .LBB1379_2
; %bb.111:
	s_load_b64 s[0:1], s[0:1], 0x68
	v_lshlrev_b32_e32 v0, 10, v0
	s_lshl_b32 s4, s34, 6
	v_or_b32_e32 v3, s31, v74
	s_mul_i32 s2, s4, s30
	v_lshlrev_b32_e32 v1, 4, v75
	v_lshlrev_b32_e32 v2, 6, v74
	v_and_b32_e32 v0, 0x3800, v0
	s_mul_i32 s2, s2, s8
	v_mul_lo_u32 v8, v3, s4
	s_ashr_i32 s3, s2, 31
	s_delay_alu instid0(SALU_CYCLE_1)
	s_lshl_b64 s[2:3], s[2:3], 1
	v_or3_b32 v16, v0, v1, v2
	ds_load_b128 v[0:3], v16
	ds_load_b128 v[4:7], v16 offset:128
	v_ashrrev_i32_e32 v9, 31, v8
	s_waitcnt lgkmcnt(0)
	s_add_u32 s2, s0, s2
	s_addc_u32 s3, s1, s3
	s_lshl_b32 s0, s14, 6
	s_delay_alu instid0(SALU_CYCLE_1) | instskip(SKIP_2) | instid1(SALU_CYCLE_1)
	s_ashr_i32 s1, s0, 31
	v_lshlrev_b64 v[9:10], 1, v[8:9]
	s_lshl_b64 s[0:1], s[0:1], 1
	s_add_u32 s0, s2, s0
	s_addc_u32 s1, s3, s1
	s_lshl_b32 s2, s34, 7
	v_add_co_u32 v30, s0, s0, v73
	v_add_nc_u32_e32 v11, s2, v8
	v_add_co_ci_u32_e64 v31, null, s1, 0, s0
	s_delay_alu instid0(VALU_DEP_3) | instskip(NEXT) | instid1(VALU_DEP_3)
	v_add_co_u32 v9, vcc_lo, v30, v9
	v_add_nc_u32_e32 v8, s2, v11
	s_delay_alu instid0(VALU_DEP_3) | instskip(SKIP_1) | instid1(VALU_DEP_3)
	v_add_co_ci_u32_e32 v10, vcc_lo, v31, v10, vcc_lo
	v_ashrrev_i32_e32 v12, 31, v11
	v_add_nc_u32_e32 v13, s2, v8
	global_store_b128 v[9:10], v[0:3], off
	v_ashrrev_i32_e32 v9, 31, v8
	v_lshlrev_b64 v[11:12], 1, v[11:12]
	v_ashrrev_i32_e32 v14, 31, v13
	v_add_nc_u32_e32 v10, s2, v13
	s_delay_alu instid0(VALU_DEP_4) | instskip(NEXT) | instid1(VALU_DEP_4)
	v_lshlrev_b64 v[2:3], 1, v[8:9]
	v_add_co_u32 v0, vcc_lo, v30, v11
	s_delay_alu instid0(VALU_DEP_4)
	v_lshlrev_b64 v[8:9], 1, v[13:14]
	v_add_co_ci_u32_e32 v1, vcc_lo, v31, v12, vcc_lo
	v_ashrrev_i32_e32 v11, 31, v10
	v_add_co_u32 v22, vcc_lo, v30, v2
	v_add_nc_u32_e32 v20, s2, v10
	v_add_co_ci_u32_e32 v23, vcc_lo, v31, v3, vcc_lo
	v_add_co_u32 v24, vcc_lo, v30, v8
	global_store_b128 v[0:1], v[4:7], off
	v_add_co_ci_u32_e32 v25, vcc_lo, v31, v9, vcc_lo
	ds_load_b128 v[0:3], v16 offset:256
	ds_load_b128 v[4:7], v16 offset:384
	v_lshlrev_b64 v[26:27], 1, v[10:11]
	ds_load_b128 v[8:11], v16 offset:512
	ds_load_b128 v[12:15], v16 offset:640
	;; [unrolled: 1-line block ×3, first 2 shown]
	v_add_nc_u32_e32 v28, s2, v20
	v_ashrrev_i32_e32 v21, 31, v20
	v_add_co_u32 v26, vcc_lo, v30, v26
	s_delay_alu instid0(VALU_DEP_3) | instskip(NEXT) | instid1(VALU_DEP_3)
	v_ashrrev_i32_e32 v29, 31, v28
	v_lshlrev_b64 v[20:21], 1, v[20:21]
	v_add_co_ci_u32_e32 v27, vcc_lo, v31, v27, vcc_lo
	s_delay_alu instid0(VALU_DEP_3) | instskip(NEXT) | instid1(VALU_DEP_3)
	v_lshlrev_b64 v[28:29], 1, v[28:29]
	v_add_co_u32 v20, vcc_lo, v30, v20
	s_delay_alu instid0(VALU_DEP_4) | instskip(NEXT) | instid1(VALU_DEP_3)
	v_add_co_ci_u32_e32 v21, vcc_lo, v31, v21, vcc_lo
	v_add_co_u32 v28, vcc_lo, v30, v28
	s_delay_alu instid0(VALU_DEP_4)
	v_add_co_ci_u32_e32 v29, vcc_lo, v31, v29, vcc_lo
	s_waitcnt lgkmcnt(4)
	global_store_b128 v[22:23], v[0:3], off
	s_waitcnt lgkmcnt(3)
	global_store_b128 v[24:25], v[4:7], off
	;; [unrolled: 2-line block ×5, first 2 shown]
	s_nop 0
	s_sendmsg sendmsg(MSG_DEALLOC_VGPRS)
	s_endpgm
	.section	.rodata,"a",@progbits
	.p2align	6, 0x0
	.amdhsa_kernel _Z39paged_attention_ll4mi_QKV_mfma16_kernelI14__hip_bfloat16hLN4vllm18Fp8KVCacheDataTypeE1EhLi16ELi64ELi256ELb0ELi14EL8MFMAType1EEvPKT_PKT0_S9_ifPKiSB_SB_iPKfiiiPfSE_PS4_PT2_iSD_SD_
		.amdhsa_group_segment_fixed_size 17472
		.amdhsa_private_segment_fixed_size 0
		.amdhsa_kernarg_size 400
		.amdhsa_user_sgpr_count 13
		.amdhsa_user_sgpr_dispatch_ptr 0
		.amdhsa_user_sgpr_queue_ptr 0
		.amdhsa_user_sgpr_kernarg_segment_ptr 1
		.amdhsa_user_sgpr_dispatch_id 0
		.amdhsa_user_sgpr_private_segment_size 0
		.amdhsa_wavefront_size32 1
		.amdhsa_uses_dynamic_stack 0
		.amdhsa_enable_private_segment 0
		.amdhsa_system_sgpr_workgroup_id_x 1
		.amdhsa_system_sgpr_workgroup_id_y 1
		.amdhsa_system_sgpr_workgroup_id_z 1
		.amdhsa_system_sgpr_workgroup_info 0
		.amdhsa_system_vgpr_workitem_id 0
		.amdhsa_next_free_vgpr 124
		.amdhsa_next_free_sgpr 38
		.amdhsa_reserve_vcc 1
		.amdhsa_float_round_mode_32 0
		.amdhsa_float_round_mode_16_64 0
		.amdhsa_float_denorm_mode_32 3
		.amdhsa_float_denorm_mode_16_64 3
		.amdhsa_dx10_clamp 1
		.amdhsa_ieee_mode 1
		.amdhsa_fp16_overflow 0
		.amdhsa_workgroup_processor_mode 1
		.amdhsa_memory_ordered 1
		.amdhsa_forward_progress 0
		.amdhsa_shared_vgpr_count 0
		.amdhsa_exception_fp_ieee_invalid_op 0
		.amdhsa_exception_fp_denorm_src 0
		.amdhsa_exception_fp_ieee_div_zero 0
		.amdhsa_exception_fp_ieee_overflow 0
		.amdhsa_exception_fp_ieee_underflow 0
		.amdhsa_exception_fp_ieee_inexact 0
		.amdhsa_exception_int_div_zero 0
	.end_amdhsa_kernel
	.section	.text._Z39paged_attention_ll4mi_QKV_mfma16_kernelI14__hip_bfloat16hLN4vllm18Fp8KVCacheDataTypeE1EhLi16ELi64ELi256ELb0ELi14EL8MFMAType1EEvPKT_PKT0_S9_ifPKiSB_SB_iPKfiiiPfSE_PS4_PT2_iSD_SD_,"axG",@progbits,_Z39paged_attention_ll4mi_QKV_mfma16_kernelI14__hip_bfloat16hLN4vllm18Fp8KVCacheDataTypeE1EhLi16ELi64ELi256ELb0ELi14EL8MFMAType1EEvPKT_PKT0_S9_ifPKiSB_SB_iPKfiiiPfSE_PS4_PT2_iSD_SD_,comdat
.Lfunc_end1379:
	.size	_Z39paged_attention_ll4mi_QKV_mfma16_kernelI14__hip_bfloat16hLN4vllm18Fp8KVCacheDataTypeE1EhLi16ELi64ELi256ELb0ELi14EL8MFMAType1EEvPKT_PKT0_S9_ifPKiSB_SB_iPKfiiiPfSE_PS4_PT2_iSD_SD_, .Lfunc_end1379-_Z39paged_attention_ll4mi_QKV_mfma16_kernelI14__hip_bfloat16hLN4vllm18Fp8KVCacheDataTypeE1EhLi16ELi64ELi256ELb0ELi14EL8MFMAType1EEvPKT_PKT0_S9_ifPKiSB_SB_iPKfiiiPfSE_PS4_PT2_iSD_SD_
                                        ; -- End function
	.section	.AMDGPU.csdata,"",@progbits
; Kernel info:
; codeLenInByte = 8860
; NumSgprs: 40
; NumVgprs: 124
; ScratchSize: 0
; MemoryBound: 0
; FloatMode: 240
; IeeeMode: 1
; LDSByteSize: 17472 bytes/workgroup (compile time only)
; SGPRBlocks: 4
; VGPRBlocks: 15
; NumSGPRsForWavesPerEU: 40
; NumVGPRsForWavesPerEU: 124
; Occupancy: 10
; WaveLimiterHint : 1
; COMPUTE_PGM_RSRC2:SCRATCH_EN: 0
; COMPUTE_PGM_RSRC2:USER_SGPR: 13
; COMPUTE_PGM_RSRC2:TRAP_HANDLER: 0
; COMPUTE_PGM_RSRC2:TGID_X_EN: 1
; COMPUTE_PGM_RSRC2:TGID_Y_EN: 1
; COMPUTE_PGM_RSRC2:TGID_Z_EN: 1
; COMPUTE_PGM_RSRC2:TIDIG_COMP_CNT: 0
	.section	.text._Z39paged_attention_ll4mi_QKV_mfma16_kernelI14__hip_bfloat16hLN4vllm18Fp8KVCacheDataTypeE1EhLi16ELi64ELi256ELb0ELi15EL8MFMAType1EEvPKT_PKT0_S9_ifPKiSB_SB_iPKfiiiPfSE_PS4_PT2_iSD_SD_,"axG",@progbits,_Z39paged_attention_ll4mi_QKV_mfma16_kernelI14__hip_bfloat16hLN4vllm18Fp8KVCacheDataTypeE1EhLi16ELi64ELi256ELb0ELi15EL8MFMAType1EEvPKT_PKT0_S9_ifPKiSB_SB_iPKfiiiPfSE_PS4_PT2_iSD_SD_,comdat
	.protected	_Z39paged_attention_ll4mi_QKV_mfma16_kernelI14__hip_bfloat16hLN4vllm18Fp8KVCacheDataTypeE1EhLi16ELi64ELi256ELb0ELi15EL8MFMAType1EEvPKT_PKT0_S9_ifPKiSB_SB_iPKfiiiPfSE_PS4_PT2_iSD_SD_ ; -- Begin function _Z39paged_attention_ll4mi_QKV_mfma16_kernelI14__hip_bfloat16hLN4vllm18Fp8KVCacheDataTypeE1EhLi16ELi64ELi256ELb0ELi15EL8MFMAType1EEvPKT_PKT0_S9_ifPKiSB_SB_iPKfiiiPfSE_PS4_PT2_iSD_SD_
	.globl	_Z39paged_attention_ll4mi_QKV_mfma16_kernelI14__hip_bfloat16hLN4vllm18Fp8KVCacheDataTypeE1EhLi16ELi64ELi256ELb0ELi15EL8MFMAType1EEvPKT_PKT0_S9_ifPKiSB_SB_iPKfiiiPfSE_PS4_PT2_iSD_SD_
	.p2align	8
	.type	_Z39paged_attention_ll4mi_QKV_mfma16_kernelI14__hip_bfloat16hLN4vllm18Fp8KVCacheDataTypeE1EhLi16ELi64ELi256ELb0ELi15EL8MFMAType1EEvPKT_PKT0_S9_ifPKiSB_SB_iPKfiiiPfSE_PS4_PT2_iSD_SD_,@function
_Z39paged_attention_ll4mi_QKV_mfma16_kernelI14__hip_bfloat16hLN4vllm18Fp8KVCacheDataTypeE1EhLi16ELi64ELi256ELb0ELi15EL8MFMAType1EEvPKT_PKT0_S9_ifPKiSB_SB_iPKfiiiPfSE_PS4_PT2_iSD_SD_: ; @_Z39paged_attention_ll4mi_QKV_mfma16_kernelI14__hip_bfloat16hLN4vllm18Fp8KVCacheDataTypeE1EhLi16ELi64ELi256ELb0ELi15EL8MFMAType1EEvPKT_PKT0_S9_ifPKiSB_SB_iPKfiiiPfSE_PS4_PT2_iSD_SD_
; %bb.0:
	s_load_b64 s[2:3], s[0:1], 0x30
	s_mov_b32 s34, s13
	s_waitcnt lgkmcnt(0)
	s_cmp_lg_u64 s[2:3], 0
	s_cselect_b32 s8, -1, 0
	s_ashr_i32 s35, s13, 31
	s_cmp_eq_u64 s[2:3], 0
	s_cbranch_scc1 .LBB1380_3
; %bb.1:
	s_lshl_b64 s[4:5], s[34:35], 2
	s_delay_alu instid0(SALU_CYCLE_1) | instskip(SKIP_4) | instid1(SALU_CYCLE_1)
	s_add_u32 s4, s2, s4
	s_addc_u32 s5, s3, s5
	s_load_b64 s[4:5], s[4:5], 0x0
	s_waitcnt lgkmcnt(0)
	s_sub_i32 s4, s5, s4
	s_cmp_eq_u32 s4, 1
	s_cselect_b32 s4, -1, 0
	s_delay_alu instid0(SALU_CYCLE_1)
	s_and_not1_b32 vcc_lo, exec_lo, s4
	s_cbranch_vccz .LBB1380_4
.LBB1380_2:
	s_nop 0
	s_sendmsg sendmsg(MSG_DEALLOC_VGPRS)
	s_endpgm
.LBB1380_3:
.LBB1380_4:
	s_load_b64 s[4:5], s[0:1], 0x28
	s_lshl_b64 s[6:7], s[34:35], 2
	s_waitcnt lgkmcnt(0)
	s_add_u32 s4, s4, s6
	s_addc_u32 s5, s5, s7
	s_lshl_b32 s12, s14, 8
	s_load_b32 s24, s[4:5], 0x0
	s_waitcnt lgkmcnt(0)
	s_cmp_ge_i32 s12, s24
	s_cbranch_scc1 .LBB1380_2
; %bb.5:
	s_clause 0x1
	s_load_b128 s[20:23], s[0:1], 0x8
	s_load_b64 s[4:5], s[0:1], 0x20
	s_and_not1_b32 vcc_lo, exec_lo, s8
	s_cbranch_vccnz .LBB1380_7
; %bb.6:
	s_add_u32 s2, s2, s6
	s_addc_u32 s3, s3, s7
	s_load_b32 s3, s[2:3], 0x0
	s_branch .LBB1380_8
.LBB1380_7:
	s_mov_b32 s3, s34
.LBB1380_8:
	s_load_b128 s[16:19], s[0:1], 0x48
	v_lshrrev_b32_e32 v66, 5, v0
	v_bfe_u32 v74, v0, 4, 1
	v_and_b32_e32 v65, 15, v0
	v_and_b32_e32 v67, 31, v0
	;; [unrolled: 1-line block ×3, first 2 shown]
	s_mul_i32 s31, s15, 15
	v_lshl_or_b32 v1, v66, 1, v74
	v_lshlrev_b32_e32 v2, 3, v65
	v_cmp_gt_u32_e64 s2, 8, v65
	s_delay_alu instid0(VALU_DEP_3) | instskip(NEXT) | instid1(VALU_DEP_3)
	v_cmp_gt_u32_e32 vcc_lo, 15, v1
	v_lshlrev_b32_e32 v73, 1, v2
	s_delay_alu instid0(VALU_DEP_3) | instskip(NEXT) | instid1(SALU_CYCLE_1)
	s_and_b32 s7, s2, vcc_lo
	s_and_saveexec_b32 s6, s7
	s_cbranch_execz .LBB1380_10
; %bb.9:
	s_load_b64 s[8:9], s[0:1], 0x0
	v_add_lshl_u32 v2, v1, s31, 6
	s_waitcnt lgkmcnt(0)
	s_mul_hi_i32 s11, s3, s16
	s_mul_i32 s10, s3, s16
	v_lshlrev_b32_e32 v6, 10, v65
	s_lshl_b64 s[10:11], s[10:11], 1
	v_ashrrev_i32_e32 v3, 31, v2
	v_lshlrev_b32_e32 v1, 6, v1
	v_lshlrev_b32_e32 v7, 10, v75
	v_and_b32_e32 v6, 0x3800, v6
	s_delay_alu instid0(VALU_DEP_4) | instskip(NEXT) | instid1(VALU_DEP_2)
	v_lshlrev_b64 v[2:3], 1, v[2:3]
	v_or3_b32 v1, v6, v7, v1
	s_add_u32 s3, s8, s10
	s_addc_u32 s7, s9, s11
	s_delay_alu instid0(VALU_DEP_2) | instskip(NEXT) | instid1(VALU_DEP_3)
	v_add_co_u32 v2, vcc_lo, s3, v2
	v_add_co_ci_u32_e32 v3, vcc_lo, s7, v3, vcc_lo
	s_delay_alu instid0(VALU_DEP_2) | instskip(NEXT) | instid1(VALU_DEP_2)
	v_add_co_u32 v2, vcc_lo, v2, v73
	v_add_co_ci_u32_e32 v3, vcc_lo, 0, v3, vcc_lo
	global_load_b128 v[2:5], v[2:3], off
	s_waitcnt vmcnt(0)
	ds_store_b128 v1, v[2:5]
.LBB1380_10:
	s_or_b32 exec_lo, exec_lo, s6
	v_and_b32_e32 v1, 0xef, v0
	s_waitcnt lgkmcnt(0)
	s_add_i32 s3, s24, 15
	s_clause 0x1
	s_load_b32 s6, s[0:1], 0x38
	s_load_b32 s19, s[0:1], 0x1c
	s_ashr_i32 s7, s3, 31
	v_add_nc_u32_e32 v1, s12, v1
	s_lshr_b32 s7, s7, 28
	s_waitcnt lgkmcnt(0)
	s_add_i32 s3, s3, s7
	s_barrier
	v_ashrrev_i32_e32 v2, 31, v1
	v_or_b32_e32 v3, 16, v1
	s_ashr_i32 s3, s3, 4
	v_cmp_gt_i32_e32 vcc_lo, s24, v1
	s_add_i32 s3, s3, -1
	v_lshrrev_b32_e32 v2, 28, v2
	buffer_gl0_inv
	s_mul_i32 s27, s15, s18
	v_add_nc_u32_e32 v4, v1, v2
	s_mul_i32 s6, s34, s6
	s_delay_alu instid0(SALU_CYCLE_1) | instskip(NEXT) | instid1(VALU_DEP_1)
	s_ashr_i32 s7, s6, 31
	v_ashrrev_i32_e32 v4, 4, v4
	v_add_nc_u32_e32 v2, v3, v2
	s_lshl_b64 s[6:7], s[6:7], 2
	s_delay_alu instid0(SALU_CYCLE_1) | instskip(NEXT) | instid1(VALU_DEP_2)
	s_add_u32 s26, s4, s6
	v_cndmask_b32_e32 v1, s3, v4, vcc_lo
	s_delay_alu instid0(VALU_DEP_2)
	v_ashrrev_i32_e32 v2, 4, v2
	v_cmp_gt_i32_e32 vcc_lo, s24, v3
	s_addc_u32 s25, s5, s7
	s_ashr_i32 s28, s27, 31
	s_add_u32 s13, s20, s27
	s_addc_u32 s15, s21, s28
	v_cndmask_b32_e32 v3, s3, v2, vcc_lo
	v_ashrrev_i32_e32 v2, 31, v1
	s_lshl_b32 s4, s14, 4
	s_delay_alu instid0(SALU_CYCLE_1) | instskip(NEXT) | instid1(VALU_DEP_2)
	s_ashr_i32 s5, s4, 31
	v_ashrrev_i32_e32 v4, 31, v3
	s_delay_alu instid0(VALU_DEP_2) | instskip(SKIP_1) | instid1(SALU_CYCLE_1)
	v_lshlrev_b64 v[1:2], 2, v[1:2]
	s_lshl_b64 s[4:5], s[4:5], 2
	s_add_u32 s4, s26, s4
	s_delay_alu instid0(VALU_DEP_2) | instskip(SKIP_1) | instid1(VALU_DEP_2)
	v_lshlrev_b64 v[3:4], 2, v[3:4]
	s_addc_u32 s5, s25, s5
	v_add_co_u32 v1, vcc_lo, s26, v1
	v_add_co_ci_u32_e32 v2, vcc_lo, s25, v2, vcc_lo
	s_delay_alu instid0(VALU_DEP_3) | instskip(NEXT) | instid1(VALU_DEP_4)
	v_add_co_u32 v3, vcc_lo, s26, v3
	v_add_co_ci_u32_e32 v4, vcc_lo, s25, v4, vcc_lo
	s_clause 0x1
	global_load_b32 v5, v[1:2], off
	global_load_b32 v7, v[3:4], off
	s_or_b32 s6, s12, 32
	v_lshlrev_b32_e32 v1, 4, v0
	s_ashr_i32 s7, s6, 4
	s_cmp_lt_i32 s6, s24
	v_cmp_ne_u32_e32 vcc_lo, 15, v65
	s_cselect_b32 s6, s7, s3
	v_and_b32_e32 v1, 0xf0, v1
	s_ashr_i32 s7, s6, 31
	s_delay_alu instid0(SALU_CYCLE_1) | instskip(NEXT) | instid1(SALU_CYCLE_1)
	s_lshl_b64 s[6:7], s[6:7], 2
	s_add_u32 s6, s26, s6
	s_addc_u32 s7, s25, s7
	s_or_b32 s8, s12, 64
	v_add_co_u32 v1, s13, s13, v1
	s_ashr_i32 s9, s8, 4
	s_cmp_lt_i32 s8, s24
	v_add_co_ci_u32_e64 v2, null, s15, 0, s13
	s_cselect_b32 s8, s9, s3
	s_delay_alu instid0(SALU_CYCLE_1) | instskip(NEXT) | instid1(SALU_CYCLE_1)
	s_ashr_i32 s9, s8, 31
	s_lshl_b64 s[8:9], s[8:9], 2
	s_delay_alu instid0(SALU_CYCLE_1) | instskip(SKIP_2) | instid1(SALU_CYCLE_1)
	s_add_u32 s8, s26, s8
	s_addc_u32 s9, s25, s9
	s_or_b32 s10, s12, 0x60
	s_ashr_i32 s11, s10, 4
	s_cmp_lt_i32 s10, s24
	s_cselect_b32 s10, s11, s3
	s_delay_alu instid0(SALU_CYCLE_1) | instskip(NEXT) | instid1(SALU_CYCLE_1)
	s_ashr_i32 s11, s10, 31
	s_lshl_b64 s[10:11], s[10:11], 2
	s_delay_alu instid0(SALU_CYCLE_1) | instskip(SKIP_2) | instid1(SALU_CYCLE_1)
	s_add_u32 s10, s26, s10
	s_addc_u32 s11, s25, s11
	s_or_b32 s16, s12, 0x80
	s_ashr_i32 s18, s16, 4
	s_cmp_lt_i32 s16, s24
	;; [unrolled: 10-line block ×3, first 2 shown]
	s_cselect_b32 s20, s18, s3
	s_delay_alu instid0(SALU_CYCLE_1) | instskip(NEXT) | instid1(SALU_CYCLE_1)
	s_ashr_i32 s21, s20, 31
	s_lshl_b64 s[20:21], s[20:21], 2
	s_delay_alu instid0(SALU_CYCLE_1)
	s_add_u32 s38, s26, s20
	s_addc_u32 s39, s25, s21
	s_clause 0x5
	s_load_b32 s21, s[4:5], 0x0
	s_load_b32 s13, s[6:7], 0x0
	s_load_b32 s15, s[8:9], 0x0
	s_load_b32 s16, s[10:11], 0x0
	s_load_b32 s18, s[36:37], 0x0
	s_load_b32 s20, s[38:39], 0x0
	s_or_b32 s7, s12, 0xc0
	s_mov_b32 s4, 0
	s_ashr_i32 s8, s7, 4
	s_cmp_lt_i32 s7, s24
	s_mov_b32 s5, s4
	s_cselect_b32 s10, s8, s3
	s_mov_b32 s6, s4
	s_ashr_i32 s11, s10, 31
	s_mov_b32 s7, s4
	s_lshl_b64 s[36:37], s[10:11], 2
	s_mov_b32 s11, s4
	s_add_u32 s36, s26, s36
	s_addc_u32 s37, s25, s37
	s_or_b32 s29, s12, 0xe0
	s_mov_b32 s8, s4
	s_ashr_i32 s30, s29, 4
	s_mov_b32 s9, s4
	s_mov_b32 s10, s4
	s_cmp_lt_i32 s29, s24
	s_waitcnt vmcnt(1)
	v_mad_i64_i32 v[3:4], null, v5, s17, v[1:2]
	s_waitcnt vmcnt(0)
	v_mad_i64_i32 v[5:6], null, v7, s17, v[1:2]
	v_cndmask_b32_e32 v1, 0, v65, vcc_lo
	v_mov_b32_e32 v107, s11
	s_clause 0x7
	global_load_b128 v[49:52], v[3:4], off
	global_load_b128 v[53:56], v[3:4], off offset:256
	global_load_b128 v[76:79], v[5:6], off
	global_load_b128 v[80:83], v[5:6], off offset:256
	global_load_b128 v[84:87], v[3:4], off offset:512
	;; [unrolled: 1-line block ×5, first 2 shown]
	v_lshlrev_b32_e32 v70, 6, v1
	v_dual_mov_b32 v106, s10 :: v_dual_mov_b32 v105, s9
	v_dual_mov_b32 v104, s8 :: v_dual_mov_b32 v103, s7
	;; [unrolled: 1-line block ×3, first 2 shown]
	v_mov_b32_e32 v100, s4
	s_cselect_b32 s4, s30, s3
	v_lshlrev_b32_e32 v2, 4, v65
	s_ashr_i32 s5, s4, 31
	s_load_b32 s3, s[36:37], 0x0
	s_lshl_b64 s[4:5], s[4:5], 2
	ds_load_b128 v[108:111], v70
	ds_load_b128 v[112:115], v70 offset:1024
	s_add_u32 s4, s26, s4
	s_addc_u32 s5, s25, s5
	v_lshl_or_b32 v1, v66, 8, v2
	s_load_b32 s4, s[4:5], 0x0
	s_add_u32 s6, s22, s27
	s_addc_u32 s7, s23, s28
	s_delay_alu instid0(VALU_DEP_1) | instskip(NEXT) | instid1(VALU_DEP_1)
	v_add_co_u32 v9, s6, s6, v1
	v_add_co_ci_u32_e64 v10, null, s7, 0, s6
	s_waitcnt lgkmcnt(0)
	s_delay_alu instid0(VALU_DEP_1)
	v_mad_i64_i32 v[1:2], null, s21, s17, v[9:10]
	v_mad_i64_i32 v[3:4], null, s13, s17, v[9:10]
	;; [unrolled: 1-line block ×7, first 2 shown]
	s_clause 0x9
	global_load_b128 v[57:60], v[1:2], off
	global_load_b128 v[61:64], v[1:2], off offset:16
	global_load_b128 v[41:44], v[3:4], off
	global_load_b128 v[45:48], v[3:4], off offset:16
	global_load_b128 v[33:36], v[5:6], off
	global_load_b128 v[37:40], v[5:6], off offset:16
	global_load_b128 v[25:28], v[7:8], off
	global_load_b128 v[29:32], v[7:8], off offset:16
	global_load_b128 v[1:4], v[11:12], off
	global_load_b128 v[5:8], v[11:12], off offset:16
	v_mad_i64_i32 v[68:69], null, s4, s17, v[9:10]
	s_clause 0x3
	global_load_b128 v[9:12], v[13:14], off
	global_load_b128 v[13:16], v[13:14], off offset:16
	global_load_b128 v[17:20], v[21:22], off
	global_load_b128 v[21:24], v[21:22], off offset:16
	s_waitcnt vmcnt(20)
	v_wmma_f32_16x16x16_bf16 v[116:123], v[49:56], v[108:115], v[100:107]
	s_clause 0x1
	global_load_b128 v[49:52], v[68:69], off
	global_load_b128 v[53:56], v[68:69], off offset:16
	v_and_b32_e32 v68, 0xe0, v0
	v_mbcnt_lo_u32_b32 v69, -1, 0
	s_delay_alu instid0(VALU_DEP_2)
	v_add_nc_u32_e32 v68, s12, v68
	s_waitcnt vmcnt(20)
	v_wmma_f32_16x16x16_bf16 v[100:107], v[76:83], v[108:115], v[100:107]
	ds_load_b128 v[76:79], v70 offset:2048
	ds_load_b128 v[80:83], v70 offset:3072
	v_xor_b32_e32 v70, 16, v69
	s_waitcnt vmcnt(0) lgkmcnt(0)
	v_or_b32_e32 v68, v68, v74
	s_barrier
	buffer_gl0_inv
	v_cmp_gt_i32_e32 vcc_lo, 32, v70
	v_or_b32_e32 v71, 4, v68
	v_or_b32_e32 v72, 6, v68
	v_cmp_gt_i32_e64 s3, s24, v68
	v_or_b32_e32 v108, 8, v68
	v_or_b32_e32 v109, 10, v68
	v_cmp_gt_i32_e64 s4, s24, v71
	v_cmp_gt_i32_e64 s5, s24, v72
	s_delay_alu instid0(VALU_DEP_4) | instskip(NEXT) | instid1(VALU_DEP_4)
	v_cmp_gt_i32_e64 s6, s24, v108
	v_cmp_gt_i32_e64 s7, s24, v109
	v_wmma_f32_16x16x16_bf16 v[116:123], v[84:91], v[76:83], v[116:123]
	v_cndmask_b32_e32 v69, v69, v70, vcc_lo
	v_or_b32_e32 v70, 2, v68
	v_wmma_f32_16x16x16_bf16 v[100:107], v[92:99], v[76:83], v[100:107]
	v_or_b32_e32 v89, 22, v68
	v_dual_mul_f32 v80, s19, v121 :: v_dual_mul_f32 v81, s19, v120
	v_dual_mul_f32 v92, s19, v117 :: v_dual_mul_f32 v93, s19, v116
	s_delay_alu instid0(VALU_DEP_4)
	v_mul_f32_e32 v96, s19, v105
	v_cmp_gt_i32_e32 vcc_lo, s24, v70
	v_dual_mul_f32 v79, s19, v122 :: v_dual_mul_f32 v82, s19, v119
	v_dual_mul_f32 v83, s19, v118 :: v_dual_mul_f32 v94, s19, v107
	v_cndmask_b32_e64 v93, 0xff7fffff, v93, s3
	v_cndmask_b32_e32 v92, 0xff7fffff, v92, vcc_lo
	v_or_b32_e32 v84, 12, v68
	v_or_b32_e32 v85, 14, v68
	v_cndmask_b32_e64 v71, 0xff7fffff, v83, s4
	v_cndmask_b32_e64 v72, 0xff7fffff, v82, s5
	v_cmp_gt_i32_e64 s13, s24, v89
	v_lshlrev_b32_e32 v89, 2, v69
	v_max3_f32 v82, v93, 0xff7fffff, v92
	v_or_b32_e32 v86, 16, v68
	v_or_b32_e32 v87, 18, v68
	v_mul_f32_e32 v78, s19, v123
	v_cndmask_b32_e64 v81, 0xff7fffff, v81, s6
	v_cndmask_b32_e64 v80, 0xff7fffff, v80, s7
	v_max3_f32 v71, v82, v71, v72
	v_cmp_gt_i32_e64 s8, s24, v84
	v_cmp_gt_i32_e64 s9, s24, v85
	v_or_b32_e32 v88, 20, v68
	v_or_b32_e32 v90, 24, v68
	;; [unrolled: 1-line block ×5, first 2 shown]
	v_dual_mul_f32 v97, s19, v104 :: v_dual_mul_f32 v70, s19, v101
	v_dual_mul_f32 v99, s19, v102 :: v_dual_mul_f32 v68, s19, v100
	v_cndmask_b32_e64 v72, 0xff7fffff, v79, s8
	v_cndmask_b32_e64 v78, 0xff7fffff, v78, s9
	v_max3_f32 v71, v71, v81, v80
	v_cmp_gt_i32_e64 s10, s24, v86
	v_cmp_gt_i32_e64 s11, s24, v87
	v_dual_mul_f32 v95, s19, v106 :: v_dual_mul_f32 v98, s19, v103
	s_delay_alu instid0(VALU_DEP_4) | instskip(NEXT) | instid1(VALU_DEP_4)
	v_max3_f32 v71, v71, v72, v78
	v_cndmask_b32_e64 v68, 0xff7fffff, v68, s10
	s_delay_alu instid0(VALU_DEP_4)
	v_cndmask_b32_e64 v70, 0xff7fffff, v70, s11
	v_cmp_gt_i32_e64 s12, s24, v88
	v_cndmask_b32_e64 v78, 0xff7fffff, v98, s13
	v_cmp_gt_i32_e64 s15, s24, v90
	v_cmp_gt_i32_e64 s16, s24, v91
	v_max3_f32 v68, v71, v68, v70
	v_cndmask_b32_e64 v72, 0xff7fffff, v99, s12
	v_cmp_gt_i32_e64 s17, s24, v76
	v_cndmask_b32_e64 v70, 0xff7fffff, v97, s15
	v_cndmask_b32_e64 v71, 0xff7fffff, v96, s16
	v_cmp_gt_i32_e64 s18, s24, v77
	v_max3_f32 v68, v68, v72, v78
	v_cndmask_b32_e64 v72, 0xff7fffff, v95, s17
	s_delay_alu instid0(VALU_DEP_3) | instskip(NEXT) | instid1(VALU_DEP_3)
	v_cndmask_b32_e64 v76, 0xff7fffff, v94, s18
	v_max3_f32 v68, v68, v70, v71
	s_delay_alu instid0(VALU_DEP_1) | instskip(SKIP_3) | instid1(VALU_DEP_1)
	v_max3_f32 v68, v68, v72, v76
	ds_bpermute_b32 v69, v89, v68
	s_waitcnt lgkmcnt(0)
	v_max_f32_e32 v69, v69, v69
	v_max_f32_e32 v68, v68, v69
	s_delay_alu instid0(VALU_DEP_1) | instskip(NEXT) | instid1(VALU_DEP_1)
	v_fma_f32 v71, s19, v118, -v68
	v_mul_f32_e32 v71, 0x3fb8aa3b, v71
	v_fma_f32 v70, s19, v117, -v68
	v_fma_f32 v69, s19, v116, -v68
	v_fma_f32 v76, s19, v120, -v68
	v_fma_f32 v72, s19, v119, -v68
	v_fma_f32 v78, s19, v122, -v68
	s_delay_alu instid0(VALU_DEP_4) | instskip(SKIP_1) | instid1(VALU_DEP_3)
	v_dual_mul_f32 v70, 0x3fb8aa3b, v70 :: v_dual_mul_f32 v69, 0x3fb8aa3b, v69
	v_exp_f32_e32 v71, v71
	v_mul_f32_e32 v72, 0x3fb8aa3b, v72
	v_fma_f32 v81, s19, v105, -v68
	s_delay_alu instid0(VALU_DEP_3)
	v_exp_f32_e32 v70, v70
	v_mul_f32_e32 v77, 0x3fb8aa3b, v76
	v_exp_f32_e32 v69, v69
	v_exp_f32_e32 v72, v72
	v_mul_f32_e32 v81, 0x3fb8aa3b, v81
	v_cndmask_b32_e64 v83, 0, v71, s4
	v_fma_f32 v71, s19, v123, -v68
	s_delay_alu instid0(VALU_DEP_3) | instskip(SKIP_4) | instid1(TRANS32_DEP_3)
	v_exp_f32_e32 v81, v81
	v_cndmask_b32_e32 v76, 0, v70, vcc_lo
	v_exp_f32_e32 v77, v77
	v_cndmask_b32_e64 v80, 0, v69, s3
	v_fma_f32 v69, s19, v121, -v68
	v_cndmask_b32_e64 v85, 0, v72, s5
	v_mul_f32_e32 v71, 0x3fb8aa3b, v71
	v_fma_f32 v72, s19, v100, -v68
	s_delay_alu instid0(VALU_DEP_4) | instskip(SKIP_1) | instid1(VALU_DEP_4)
	v_dual_add_f32 v70, 0, v80 :: v_dual_mul_f32 v69, 0x3fb8aa3b, v69
	v_cmp_gt_u32_e64 s3, 16, v67
	v_exp_f32_e32 v71, v71
	s_delay_alu instid0(TRANS32_DEP_2) | instskip(SKIP_4) | instid1(VALU_DEP_3)
	v_cndmask_b32_e64 v86, 0, v77, s6
	v_fma_f32 v77, s19, v101, -v68
	v_mul_f32_e32 v78, 0x3fb8aa3b, v78
	v_add_f32_e32 v70, v70, v76
	v_exp_f32_e32 v69, v69
	v_mul_f32_e32 v77, 0x3fb8aa3b, v77
	s_delay_alu instid0(VALU_DEP_3) | instskip(NEXT) | instid1(TRANS32_DEP_3)
	v_exp_f32_e32 v78, v78
	v_cndmask_b32_e64 v88, 0, v71, s9
	v_fma_f32 v71, s19, v104, -v68
	s_delay_alu instid0(VALU_DEP_3) | instskip(NEXT) | instid1(TRANS32_DEP_3)
	v_exp_f32_e32 v77, v77
	v_cndmask_b32_e64 v87, 0, v69, s7
	s_delay_alu instid0(VALU_DEP_2)
	v_mul_f32_e32 v71, 0x3fb8aa3b, v71
	s_waitcnt_depctr 0xfff
	v_cndmask_b32_e64 v84, 0, v78, s8
	v_add_f32_e32 v70, v70, v83
	v_fma_f32 v78, s19, v103, -v68
	v_exp_f32_e32 v82, v71
	s_delay_alu instid0(VALU_DEP_2) | instskip(SKIP_1) | instid1(VALU_DEP_3)
	v_add_f32_e32 v70, v70, v85
	v_mul_f32_e32 v72, 0x3fb8aa3b, v72
	v_mul_f32_e32 v78, 0x3fb8aa3b, v78
	s_delay_alu instid0(VALU_DEP_3) | instskip(SKIP_1) | instid1(VALU_DEP_4)
	v_add_f32_e32 v69, v70, v86
	v_fma_f32 v70, s19, v102, -v68
	v_exp_f32_e32 v72, v72
	s_delay_alu instid0(VALU_DEP_3) | instskip(NEXT) | instid1(VALU_DEP_1)
	v_exp_f32_e32 v78, v78
	v_dual_add_f32 v69, v69, v87 :: v_dual_mul_f32 v70, 0x3fb8aa3b, v70
	s_delay_alu instid0(VALU_DEP_1) | instskip(NEXT) | instid1(VALU_DEP_2)
	v_add_f32_e32 v69, v69, v84
	v_exp_f32_e32 v79, v70
	s_delay_alu instid0(TRANS32_DEP_3) | instskip(NEXT) | instid1(VALU_DEP_2)
	v_cndmask_b32_e64 v70, 0, v72, s10
	v_add_f32_e32 v72, v69, v88
	v_cndmask_b32_e64 v69, 0, v77, s11
	v_fma_f32 v77, s19, v106, -v68
	s_waitcnt_depctr 0xfff
	v_cndmask_b32_e64 v71, 0, v79, s12
	v_dual_mul_f32 v77, 0x3fb8aa3b, v77 :: v_dual_add_f32 v72, v72, v70
	s_delay_alu instid0(VALU_DEP_1) | instskip(NEXT) | instid1(VALU_DEP_1)
	v_exp_f32_e32 v90, v77
	v_add_f32_e32 v79, v72, v69
	v_cndmask_b32_e64 v72, 0, v78, s13
	v_cndmask_b32_e64 v77, 0, v82, s15
	s_delay_alu instid0(VALU_DEP_3) | instskip(SKIP_1) | instid1(VALU_DEP_1)
	v_add_f32_e32 v78, v79, v71
	v_fma_f32 v79, s19, v107, -v68
	v_dual_add_f32 v82, v78, v72 :: v_dual_mul_f32 v79, 0x3fb8aa3b, v79
	v_cndmask_b32_e64 v78, 0, v81, s16
	s_delay_alu instid0(VALU_DEP_2) | instskip(NEXT) | instid1(VALU_DEP_3)
	v_add_f32_e32 v81, v82, v77
	v_exp_f32_e32 v82, v79
	v_cndmask_b32_e64 v79, 0, v90, s17
	s_delay_alu instid0(VALU_DEP_2) | instskip(NEXT) | instid1(VALU_DEP_1)
	v_add_f32_e32 v81, v81, v78
	v_add_f32_e32 v90, v81, v79
	s_waitcnt_depctr 0xfff
	v_cndmask_b32_e64 v81, 0, v82, s18
	s_delay_alu instid0(VALU_DEP_1)
	v_add_f32_e32 v82, v90, v81
	ds_bpermute_b32 v89, v89, v82
	s_and_saveexec_b32 s4, s3
	s_cbranch_execz .LBB1380_12
; %bb.11:
	v_mul_u32_u24_e32 v67, 0x44, v66
	s_delay_alu instid0(VALU_DEP_1) | instskip(SKIP_1) | instid1(VALU_DEP_1)
	v_lshl_add_u32 v67, v65, 2, v67
	s_waitcnt lgkmcnt(0)
	v_dual_add_f32 v82, v82, v89 :: v_dual_add_nc_u32 v67, 0x4000, v67
	ds_store_2addr_b32 v67, v68, v82 offset1:136
.LBB1380_12:
	s_or_b32 exec_lo, exec_lo, s4
	v_lshlrev_b32_e32 v67, 2, v65
	s_waitcnt lgkmcnt(0)
	s_barrier
	buffer_gl0_inv
	v_cmp_eq_u32_e32 vcc_lo, 1, v66
	v_add_nc_u32_e32 v82, 0x4000, v67
	v_cmp_eq_u32_e64 s4, 2, v66
	v_cmp_eq_u32_e64 s6, 7, v66
	ds_load_2addr_b32 v[89:90], v82 offset1:17
	ds_load_2addr_b32 v[91:92], v82 offset0:34 offset1:51
	ds_load_2addr_b32 v[93:94], v82 offset0:68 offset1:85
	;; [unrolled: 1-line block ×4, first 2 shown]
	s_waitcnt lgkmcnt(4)
	v_max3_f32 v67, v89, 0xff7fffff, v90
	s_waitcnt lgkmcnt(3)
	s_delay_alu instid0(VALU_DEP_1) | instskip(SKIP_1) | instid1(VALU_DEP_1)
	v_max3_f32 v67, v67, v91, v92
	s_waitcnt lgkmcnt(2)
	v_max3_f32 v67, v67, v93, v94
	s_waitcnt lgkmcnt(1)
	s_delay_alu instid0(VALU_DEP_1) | instskip(NEXT) | instid1(VALU_DEP_1)
	v_max3_f32 v67, v67, v95, v96
	v_sub_f32_e32 v93, v93, v67
	s_delay_alu instid0(VALU_DEP_1) | instskip(NEXT) | instid1(VALU_DEP_1)
	v_dual_sub_f32 v68, v89, v67 :: v_dual_mul_f32 v103, 0x3fb8aa3b, v93
	v_mul_f32_e32 v68, 0x3fb8aa3b, v68
	s_delay_alu instid0(VALU_DEP_1)
	v_exp_f32_e32 v100, v68
	v_sub_f32_e32 v68, v92, v67
	v_sub_f32_e32 v99, v90, v67
	ds_load_2addr_b32 v[89:90], v82 offset0:170 offset1:187
	v_dual_mul_f32 v102, 0x3fb8aa3b, v68 :: v_dual_mul_f32 v99, 0x3fb8aa3b, v99
	s_waitcnt lgkmcnt(1)
	v_fma_f32 v68, v100, v97, 0
	s_delay_alu instid0(VALU_DEP_2) | instskip(NEXT) | instid1(VALU_DEP_2)
	v_exp_f32_e32 v102, v102
	v_exp_f32_e32 v99, v99
	s_waitcnt_depctr 0xfff
	v_fmac_f32_e32 v68, v99, v98
	v_sub_f32_e32 v91, v91, v67
	s_delay_alu instid0(VALU_DEP_1)
	v_mul_f32_e32 v101, 0x3fb8aa3b, v91
	ds_load_2addr_b32 v[91:92], v82 offset0:204 offset1:221
	v_sub_f32_e32 v97, v94, v67
	ds_load_2addr_b32 v[93:94], v82 offset0:238 offset1:255
	s_waitcnt lgkmcnt(0)
	v_exp_f32_e32 v101, v101
	s_barrier
	buffer_gl0_inv
	v_dual_fmac_f32 v68, v101, v89 :: v_dual_sub_f32 v89, v96, v67
	v_dual_sub_f32 v82, v95, v67 :: v_dual_mul_f32 v95, 0x3fb8aa3b, v97
	v_exp_f32_e32 v97, v103
	s_delay_alu instid0(VALU_DEP_2) | instskip(NEXT) | instid1(VALU_DEP_2)
	v_dual_fmac_f32 v68, v102, v90 :: v_dual_mul_f32 v89, 0x3fb8aa3b, v89
	v_mul_f32_e32 v82, 0x3fb8aa3b, v82
	s_delay_alu instid0(VALU_DEP_3) | instskip(NEXT) | instid1(VALU_DEP_2)
	v_exp_f32_e32 v95, v95
	v_exp_f32_e32 v89, v89
	s_delay_alu instid0(VALU_DEP_1)
	v_exp_f32_e32 v82, v82
	v_fmac_f32_e32 v68, v97, v91
	s_delay_alu instid0(TRANS32_DEP_3) | instid1(VALU_DEP_1)
	v_fmac_f32_e32 v68, v95, v92
	s_waitcnt_depctr 0xfff
	v_fmac_f32_e32 v68, v82, v93
	s_delay_alu instid0(VALU_DEP_1) | instskip(NEXT) | instid1(VALU_DEP_1)
	v_fmac_f32_e32 v68, v89, v94
	v_add_f32_e32 v90, 0x358637bd, v68
	s_delay_alu instid0(VALU_DEP_1) | instskip(NEXT) | instid1(VALU_DEP_1)
	v_div_scale_f32 v91, null, v90, v90, 1.0
	v_rcp_f32_e32 v92, v91
	s_waitcnt_depctr 0xfff
	v_fma_f32 v93, -v91, v92, 1.0
	s_delay_alu instid0(VALU_DEP_1) | instskip(SKIP_1) | instid1(VALU_DEP_2)
	v_dual_fmac_f32 v92, v93, v92 :: v_dual_cndmask_b32 v93, v100, v99
	v_cmp_eq_u32_e32 vcc_lo, 3, v66
	v_cndmask_b32_e64 v93, v93, v101, s4
	v_cmp_eq_u32_e64 s4, 4, v66
	s_delay_alu instid0(VALU_DEP_2) | instskip(SKIP_1) | instid1(VALU_DEP_2)
	v_cndmask_b32_e32 v93, v93, v102, vcc_lo
	v_cmp_eq_u32_e32 vcc_lo, 5, v66
	v_cndmask_b32_e64 v93, v93, v97, s4
	v_cmp_eq_u32_e64 s4, 6, v66
	s_delay_alu instid0(VALU_DEP_2) | instskip(SKIP_1) | instid1(VALU_DEP_1)
	v_cndmask_b32_e32 v93, v93, v95, vcc_lo
	v_div_scale_f32 v94, s5, 1.0, v90, 1.0
	s_mov_b32 vcc_lo, s5
	s_delay_alu instid0(VALU_DEP_2) | instskip(NEXT) | instid1(VALU_DEP_2)
	v_cndmask_b32_e64 v82, v93, v82, s4
	v_mul_f32_e32 v96, v94, v92
	s_mov_b32 s4, exec_lo
	s_delay_alu instid0(VALU_DEP_2) | instskip(NEXT) | instid1(VALU_DEP_2)
	v_cndmask_b32_e64 v82, v82, v89, s6
	v_fma_f32 v98, -v91, v96, v94
	s_delay_alu instid0(VALU_DEP_1) | instskip(NEXT) | instid1(VALU_DEP_1)
	v_fmac_f32_e32 v96, v98, v92
	v_fma_f32 v91, -v91, v96, v94
	s_delay_alu instid0(VALU_DEP_1) | instskip(NEXT) | instid1(VALU_DEP_1)
	v_div_fmas_f32 v91, v91, v92, v96
	v_div_fixup_f32 v90, v91, v90, 1.0
	s_delay_alu instid0(VALU_DEP_1) | instskip(NEXT) | instid1(VALU_DEP_1)
	v_mul_f32_e32 v82, v82, v90
	v_mul_f32_e32 v87, v82, v87
	;; [unrolled: 1-line block ×7, first 2 shown]
	v_dual_mul_f32 v86, v82, v83 :: v_dual_and_b32 v91, 0x7f800000, v90
	v_mul_f32_e32 v85, v82, v76
                                        ; implicit-def: $vgpr76
	s_delay_alu instid0(VALU_DEP_2)
	v_cmpx_ne_u32_e32 0x7f800000, v91
	s_xor_b32 s4, exec_lo, s4
; %bb.13:
	v_bfe_u32 v76, v90, 16, 1
	s_delay_alu instid0(VALU_DEP_1)
	v_add3_u32 v76, v90, v76, 0x7fff
                                        ; implicit-def: $vgpr90
; %bb.14:
	s_and_not1_saveexec_b32 s4, s4
; %bb.15:
	v_and_b32_e32 v76, 0xffff, v90
	v_or_b32_e32 v83, 0x10000, v90
	s_delay_alu instid0(VALU_DEP_2) | instskip(NEXT) | instid1(VALU_DEP_2)
	v_cmp_eq_u32_e32 vcc_lo, 0, v76
	v_cndmask_b32_e32 v76, v83, v90, vcc_lo
; %bb.16:
	s_or_b32 exec_lo, exec_lo, s4
	v_and_b32_e32 v83, 0x7f800000, v85
	s_delay_alu instid0(VALU_DEP_1) | instskip(SKIP_1) | instid1(SALU_CYCLE_1)
	v_cmp_ne_u32_e32 vcc_lo, 0x7f800000, v83
                                        ; implicit-def: $vgpr83
	s_and_saveexec_b32 s4, vcc_lo
	s_xor_b32 s4, exec_lo, s4
; %bb.17:
	v_bfe_u32 v83, v85, 16, 1
	s_delay_alu instid0(VALU_DEP_1)
	v_add3_u32 v83, v85, v83, 0x7fff
                                        ; implicit-def: $vgpr85
; %bb.18:
	s_and_not1_saveexec_b32 s4, s4
; %bb.19:
	v_and_b32_e32 v83, 0xffff, v85
	v_or_b32_e32 v90, 0x10000, v85
	s_delay_alu instid0(VALU_DEP_2) | instskip(NEXT) | instid1(VALU_DEP_2)
	v_cmp_eq_u32_e32 vcc_lo, 0, v83
	v_cndmask_b32_e32 v83, v90, v85, vcc_lo
; %bb.20:
	s_or_b32 exec_lo, exec_lo, s4
	v_and_b32_e32 v85, 0x7f800000, v86
	s_delay_alu instid0(VALU_DEP_1) | instskip(SKIP_1) | instid1(SALU_CYCLE_1)
	v_cmp_ne_u32_e32 vcc_lo, 0x7f800000, v85
                                        ; implicit-def: $vgpr85
	s_and_saveexec_b32 s4, vcc_lo
	s_xor_b32 s4, exec_lo, s4
; %bb.21:
	v_bfe_u32 v85, v86, 16, 1
	s_delay_alu instid0(VALU_DEP_1)
	v_add3_u32 v85, v86, v85, 0x7fff
                                        ; implicit-def: $vgpr86
; %bb.22:
	s_and_not1_saveexec_b32 s4, s4
; %bb.23:
	v_and_b32_e32 v85, 0xffff, v86
	v_or_b32_e32 v90, 0x10000, v86
	s_delay_alu instid0(VALU_DEP_2) | instskip(NEXT) | instid1(VALU_DEP_2)
	v_cmp_eq_u32_e32 vcc_lo, 0, v85
	v_cndmask_b32_e32 v85, v90, v86, vcc_lo
; %bb.24:
	s_or_b32 exec_lo, exec_lo, s4
	v_and_b32_e32 v86, 0x7f800000, v89
	s_delay_alu instid0(VALU_DEP_1) | instskip(SKIP_1) | instid1(SALU_CYCLE_1)
	v_cmp_ne_u32_e32 vcc_lo, 0x7f800000, v86
                                        ; implicit-def: $vgpr86
	s_and_saveexec_b32 s4, vcc_lo
	s_xor_b32 s4, exec_lo, s4
; %bb.25:
	v_bfe_u32 v86, v89, 16, 1
	s_delay_alu instid0(VALU_DEP_1)
	v_add3_u32 v86, v89, v86, 0x7fff
                                        ; implicit-def: $vgpr89
; %bb.26:
	s_and_not1_saveexec_b32 s4, s4
; %bb.27:
	v_and_b32_e32 v86, 0xffff, v89
	v_or_b32_e32 v90, 0x10000, v89
	s_delay_alu instid0(VALU_DEP_2) | instskip(NEXT) | instid1(VALU_DEP_2)
	v_cmp_eq_u32_e32 vcc_lo, 0, v86
	v_cndmask_b32_e32 v86, v90, v89, vcc_lo
; %bb.28:
	s_or_b32 exec_lo, exec_lo, s4
	v_and_b32_e32 v89, 0x7f800000, v88
	s_delay_alu instid0(VALU_DEP_1) | instskip(SKIP_1) | instid1(SALU_CYCLE_1)
	v_cmp_ne_u32_e32 vcc_lo, 0x7f800000, v89
                                        ; implicit-def: $vgpr89
	s_and_saveexec_b32 s4, vcc_lo
	s_xor_b32 s4, exec_lo, s4
; %bb.29:
	v_bfe_u32 v89, v88, 16, 1
	s_delay_alu instid0(VALU_DEP_1)
	v_add3_u32 v89, v88, v89, 0x7fff
                                        ; implicit-def: $vgpr88
; %bb.30:
	s_and_not1_saveexec_b32 s4, s4
; %bb.31:
	v_and_b32_e32 v89, 0xffff, v88
	v_or_b32_e32 v90, 0x10000, v88
	s_delay_alu instid0(VALU_DEP_2) | instskip(NEXT) | instid1(VALU_DEP_2)
	v_cmp_eq_u32_e32 vcc_lo, 0, v89
	v_cndmask_b32_e32 v89, v90, v88, vcc_lo
; %bb.32:
	s_or_b32 exec_lo, exec_lo, s4
	v_and_b32_e32 v88, 0x7f800000, v87
	s_delay_alu instid0(VALU_DEP_1) | instskip(SKIP_1) | instid1(SALU_CYCLE_1)
	v_cmp_ne_u32_e32 vcc_lo, 0x7f800000, v88
                                        ; implicit-def: $vgpr88
	s_and_saveexec_b32 s4, vcc_lo
	s_xor_b32 s4, exec_lo, s4
; %bb.33:
	v_bfe_u32 v88, v87, 16, 1
	s_delay_alu instid0(VALU_DEP_1)
	v_add3_u32 v88, v87, v88, 0x7fff
                                        ; implicit-def: $vgpr87
; %bb.34:
	s_and_not1_saveexec_b32 s4, s4
; %bb.35:
	v_and_b32_e32 v88, 0xffff, v87
	v_or_b32_e32 v90, 0x10000, v87
	s_delay_alu instid0(VALU_DEP_2) | instskip(NEXT) | instid1(VALU_DEP_2)
	v_cmp_eq_u32_e32 vcc_lo, 0, v88
	v_cndmask_b32_e32 v88, v90, v87, vcc_lo
; %bb.36:
	s_or_b32 exec_lo, exec_lo, s4
	v_and_b32_e32 v87, 0x7f800000, v84
	s_delay_alu instid0(VALU_DEP_1) | instskip(SKIP_1) | instid1(SALU_CYCLE_1)
	v_cmp_ne_u32_e32 vcc_lo, 0x7f800000, v87
                                        ; implicit-def: $vgpr87
	s_and_saveexec_b32 s4, vcc_lo
	s_xor_b32 s4, exec_lo, s4
; %bb.37:
	v_bfe_u32 v87, v84, 16, 1
	s_delay_alu instid0(VALU_DEP_1)
	v_add3_u32 v87, v84, v87, 0x7fff
                                        ; implicit-def: $vgpr84
; %bb.38:
	s_and_not1_saveexec_b32 s4, s4
; %bb.39:
	v_and_b32_e32 v87, 0xffff, v84
	v_or_b32_e32 v90, 0x10000, v84
	s_delay_alu instid0(VALU_DEP_2) | instskip(NEXT) | instid1(VALU_DEP_2)
	v_cmp_eq_u32_e32 vcc_lo, 0, v87
	v_cndmask_b32_e32 v87, v90, v84, vcc_lo
; %bb.40:
	s_or_b32 exec_lo, exec_lo, s4
	v_and_b32_e32 v84, 0x7f800000, v80
	s_delay_alu instid0(VALU_DEP_1) | instskip(SKIP_1) | instid1(SALU_CYCLE_1)
	v_cmp_ne_u32_e32 vcc_lo, 0x7f800000, v84
                                        ; implicit-def: $vgpr84
	s_and_saveexec_b32 s4, vcc_lo
	s_xor_b32 s4, exec_lo, s4
; %bb.41:
	v_bfe_u32 v84, v80, 16, 1
	s_delay_alu instid0(VALU_DEP_1)
	v_add3_u32 v84, v80, v84, 0x7fff
                                        ; implicit-def: $vgpr80
; %bb.42:
	s_and_not1_saveexec_b32 s4, s4
; %bb.43:
	v_and_b32_e32 v84, 0xffff, v80
	v_or_b32_e32 v90, 0x10000, v80
	s_delay_alu instid0(VALU_DEP_2) | instskip(NEXT) | instid1(VALU_DEP_2)
	v_cmp_eq_u32_e32 vcc_lo, 0, v84
	v_cndmask_b32_e32 v84, v90, v80, vcc_lo
; %bb.44:
	s_or_b32 exec_lo, exec_lo, s4
	s_load_b64 s[36:37], s[0:1], 0x94
	v_lshlrev_b32_e32 v91, 4, v74
	s_delay_alu instid0(VALU_DEP_2)
	v_perm_b32 v90, v84, v87, 0x7060302
	v_dual_mul_f32 v79, v82, v79 :: v_dual_lshlrev_b32 v80, 6, v65
	v_dual_mul_f32 v77, v82, v77 :: v_dual_lshlrev_b32 v92, 11, v66
	v_mul_f32_e32 v84, v82, v70
	v_perm_b32 v89, v88, v89, 0x7060302
	v_perm_b32 v88, v86, v85, 0x7060302
	;; [unrolled: 1-line block ×3, first 2 shown]
	v_mul_f32_e32 v70, v82, v81
	v_or3_b32 v76, v91, v92, v80
	v_dual_mul_f32 v78, v82, v78 :: v_dual_and_b32 v85, 0x7f800000, v84
	v_mul_f32_e32 v83, v82, v72
	v_mul_f32_e32 v81, v82, v71
	;; [unrolled: 1-line block ×3, first 2 shown]
	s_mov_b32 s4, exec_lo
	ds_store_b128 v76, v[87:90]
                                        ; implicit-def: $vgpr69
	v_cmpx_ne_u32_e32 0x7f800000, v85
	s_xor_b32 s4, exec_lo, s4
; %bb.45:
	v_bfe_u32 v69, v84, 16, 1
	s_delay_alu instid0(VALU_DEP_1)
	v_add3_u32 v69, v84, v69, 0x7fff
                                        ; implicit-def: $vgpr84
; %bb.46:
	s_and_not1_saveexec_b32 s4, s4
; %bb.47:
	v_and_b32_e32 v69, 0xffff, v84
	v_or_b32_e32 v71, 0x10000, v84
	s_delay_alu instid0(VALU_DEP_2) | instskip(NEXT) | instid1(VALU_DEP_2)
	v_cmp_eq_u32_e32 vcc_lo, 0, v69
	v_cndmask_b32_e32 v69, v71, v84, vcc_lo
; %bb.48:
	s_or_b32 exec_lo, exec_lo, s4
	v_and_b32_e32 v71, 0x7f800000, v72
	s_delay_alu instid0(VALU_DEP_1) | instskip(SKIP_1) | instid1(SALU_CYCLE_1)
	v_cmp_ne_u32_e32 vcc_lo, 0x7f800000, v71
                                        ; implicit-def: $vgpr71
	s_and_saveexec_b32 s4, vcc_lo
	s_xor_b32 s4, exec_lo, s4
; %bb.49:
	v_bfe_u32 v71, v72, 16, 1
	s_delay_alu instid0(VALU_DEP_1)
	v_add3_u32 v71, v72, v71, 0x7fff
                                        ; implicit-def: $vgpr72
; %bb.50:
	s_and_not1_saveexec_b32 s4, s4
; %bb.51:
	v_and_b32_e32 v71, 0xffff, v72
	v_or_b32_e32 v82, 0x10000, v72
	s_delay_alu instid0(VALU_DEP_2) | instskip(NEXT) | instid1(VALU_DEP_2)
	v_cmp_eq_u32_e32 vcc_lo, 0, v71
	v_cndmask_b32_e32 v71, v82, v72, vcc_lo
; %bb.52:
	s_or_b32 exec_lo, exec_lo, s4
	v_and_b32_e32 v72, 0x7f800000, v81
	s_delay_alu instid0(VALU_DEP_1) | instskip(SKIP_1) | instid1(SALU_CYCLE_1)
	v_cmp_ne_u32_e32 vcc_lo, 0x7f800000, v72
                                        ; implicit-def: $vgpr72
	s_and_saveexec_b32 s4, vcc_lo
	s_xor_b32 s4, exec_lo, s4
; %bb.53:
	v_bfe_u32 v72, v81, 16, 1
	s_delay_alu instid0(VALU_DEP_1)
	v_add3_u32 v72, v81, v72, 0x7fff
                                        ; implicit-def: $vgpr81
; %bb.54:
	s_and_not1_saveexec_b32 s4, s4
; %bb.55:
	v_and_b32_e32 v72, 0xffff, v81
	v_or_b32_e32 v82, 0x10000, v81
	s_delay_alu instid0(VALU_DEP_2) | instskip(NEXT) | instid1(VALU_DEP_2)
	v_cmp_eq_u32_e32 vcc_lo, 0, v72
	v_cndmask_b32_e32 v72, v82, v81, vcc_lo
; %bb.56:
	s_or_b32 exec_lo, exec_lo, s4
	v_and_b32_e32 v81, 0x7f800000, v83
	s_delay_alu instid0(VALU_DEP_1) | instskip(SKIP_1) | instid1(SALU_CYCLE_1)
	v_cmp_ne_u32_e32 vcc_lo, 0x7f800000, v81
                                        ; implicit-def: $vgpr81
	s_and_saveexec_b32 s4, vcc_lo
	s_xor_b32 s4, exec_lo, s4
; %bb.57:
	v_bfe_u32 v81, v83, 16, 1
	s_delay_alu instid0(VALU_DEP_1)
	v_add3_u32 v81, v83, v81, 0x7fff
                                        ; implicit-def: $vgpr83
; %bb.58:
	s_and_not1_saveexec_b32 s4, s4
; %bb.59:
	v_and_b32_e32 v81, 0xffff, v83
	v_or_b32_e32 v82, 0x10000, v83
	s_delay_alu instid0(VALU_DEP_2) | instskip(NEXT) | instid1(VALU_DEP_2)
	v_cmp_eq_u32_e32 vcc_lo, 0, v81
	v_cndmask_b32_e32 v81, v82, v83, vcc_lo
; %bb.60:
	s_or_b32 exec_lo, exec_lo, s4
	v_and_b32_e32 v82, 0x7f800000, v77
	s_delay_alu instid0(VALU_DEP_1) | instskip(SKIP_1) | instid1(SALU_CYCLE_1)
	v_cmp_ne_u32_e32 vcc_lo, 0x7f800000, v82
                                        ; implicit-def: $vgpr82
	s_and_saveexec_b32 s4, vcc_lo
	s_xor_b32 s4, exec_lo, s4
; %bb.61:
	v_bfe_u32 v82, v77, 16, 1
	s_delay_alu instid0(VALU_DEP_1)
	v_add3_u32 v82, v77, v82, 0x7fff
                                        ; implicit-def: $vgpr77
; %bb.62:
	s_and_not1_saveexec_b32 s4, s4
; %bb.63:
	v_and_b32_e32 v82, 0xffff, v77
	v_or_b32_e32 v83, 0x10000, v77
	s_delay_alu instid0(VALU_DEP_2) | instskip(NEXT) | instid1(VALU_DEP_2)
	v_cmp_eq_u32_e32 vcc_lo, 0, v82
	v_cndmask_b32_e32 v82, v83, v77, vcc_lo
; %bb.64:
	s_or_b32 exec_lo, exec_lo, s4
	v_and_b32_e32 v77, 0x7f800000, v78
	s_delay_alu instid0(VALU_DEP_1) | instskip(SKIP_1) | instid1(SALU_CYCLE_1)
	v_cmp_ne_u32_e32 vcc_lo, 0x7f800000, v77
                                        ; implicit-def: $vgpr77
	s_and_saveexec_b32 s4, vcc_lo
	s_xor_b32 s4, exec_lo, s4
; %bb.65:
	v_bfe_u32 v77, v78, 16, 1
	s_delay_alu instid0(VALU_DEP_1)
	v_add3_u32 v77, v78, v77, 0x7fff
                                        ; implicit-def: $vgpr78
; %bb.66:
	s_and_not1_saveexec_b32 s4, s4
; %bb.67:
	v_and_b32_e32 v77, 0xffff, v78
	v_or_b32_e32 v83, 0x10000, v78
	s_delay_alu instid0(VALU_DEP_2) | instskip(NEXT) | instid1(VALU_DEP_2)
	v_cmp_eq_u32_e32 vcc_lo, 0, v77
	v_cndmask_b32_e32 v77, v83, v78, vcc_lo
; %bb.68:
	s_or_b32 exec_lo, exec_lo, s4
	v_and_b32_e32 v78, 0x7f800000, v79
	s_delay_alu instid0(VALU_DEP_1) | instskip(SKIP_1) | instid1(SALU_CYCLE_1)
	v_cmp_ne_u32_e32 vcc_lo, 0x7f800000, v78
                                        ; implicit-def: $vgpr78
	s_and_saveexec_b32 s4, vcc_lo
	s_xor_b32 s4, exec_lo, s4
; %bb.69:
	v_bfe_u32 v78, v79, 16, 1
	s_delay_alu instid0(VALU_DEP_1)
	v_add3_u32 v78, v79, v78, 0x7fff
                                        ; implicit-def: $vgpr79
; %bb.70:
	s_and_not1_saveexec_b32 s4, s4
; %bb.71:
	v_and_b32_e32 v78, 0xffff, v79
	v_or_b32_e32 v83, 0x10000, v79
	s_delay_alu instid0(VALU_DEP_2) | instskip(NEXT) | instid1(VALU_DEP_2)
	v_cmp_eq_u32_e32 vcc_lo, 0, v78
	v_cndmask_b32_e32 v78, v83, v79, vcc_lo
; %bb.72:
	s_or_b32 exec_lo, exec_lo, s4
	v_and_b32_e32 v79, 0x7f800000, v70
	s_delay_alu instid0(VALU_DEP_1) | instskip(SKIP_1) | instid1(SALU_CYCLE_1)
	v_cmp_ne_u32_e32 vcc_lo, 0x7f800000, v79
                                        ; implicit-def: $vgpr79
	s_and_saveexec_b32 s4, vcc_lo
	s_xor_b32 s4, exec_lo, s4
; %bb.73:
	v_bfe_u32 v79, v70, 16, 1
	s_delay_alu instid0(VALU_DEP_1)
	v_add3_u32 v79, v70, v79, 0x7fff
                                        ; implicit-def: $vgpr70
; %bb.74:
	s_and_not1_saveexec_b32 s4, s4
; %bb.75:
	v_and_b32_e32 v79, 0xffff, v70
	v_or_b32_e32 v83, 0x10000, v70
	s_delay_alu instid0(VALU_DEP_2) | instskip(NEXT) | instid1(VALU_DEP_2)
	v_cmp_eq_u32_e32 vcc_lo, 0, v79
	v_cndmask_b32_e32 v79, v83, v70, vcc_lo
; %bb.76:
	s_or_b32 exec_lo, exec_lo, s4
	s_delay_alu instid0(VALU_DEP_1)
	v_perm_b32 v86, v79, v78, 0x7060302
	v_perm_b32 v85, v77, v82, 0x7060302
	;; [unrolled: 1-line block ×4, first 2 shown]
	v_lshl_or_b32 v82, v66, 11, v80
	ds_store_b128 v76, v[83:86] offset:1024
	s_waitcnt lgkmcnt(0)
	s_barrier
	buffer_gl0_inv
	ds_load_b128 v[69:72], v82
	ds_load_b128 v[83:86], v82 offset:16
	s_waitcnt lgkmcnt(1)
	v_lshrrev_b32_e32 v66, 16, v69
	s_waitcnt lgkmcnt(0)
	v_lshrrev_b32_e32 v91, 16, v83
	v_lshlrev_b32_e32 v78, 2, v74
	v_lshrrev_b32_e32 v95, 16, v70
	v_lshrrev_b32_e32 v98, 16, v84
	;; [unrolled: 1-line block ×4, first 2 shown]
	v_cmp_eq_u32_e32 vcc_lo, 1, v78
	v_lshrrev_b32_e32 v97, 16, v72
	v_lshrrev_b32_e32 v100, 16, v86
	v_cndmask_b32_e32 v87, v83, v91, vcc_lo
	v_or_b32_e32 v79, 1, v78
	v_cndmask_b32_e32 v81, v69, v66, vcc_lo
	v_cmp_eq_u32_e64 s5, 2, v78
	v_cmp_eq_u32_e64 s8, 3, v78
	;; [unrolled: 1-line block ×5, first 2 shown]
	v_cndmask_b32_e64 v81, v81, v70, s5
	v_cndmask_b32_e64 v87, v87, v84, s5
	v_cmp_eq_u32_e64 s9, 3, v79
	v_cndmask_b32_e64 v88, v69, v66, s4
	v_or_b32_e32 v77, 2, v78
	v_cndmask_b32_e64 v81, v81, v95, s8
	v_cndmask_b32_e64 v87, v87, v98, s8
	;; [unrolled: 1-line block ×4, first 2 shown]
	v_cmp_eq_u32_e64 s11, 5, v78
	v_cndmask_b32_e64 v81, v81, v71, s10
	v_cndmask_b32_e64 v87, v87, v85, s10
	v_cmp_eq_u32_e64 s12, 4, v79
	v_cndmask_b32_e64 v88, v88, v95, s9
	v_cmp_eq_u32_e64 s6, 1, v77
	v_cndmask_b32_e64 v89, v89, v84, s7
	v_cndmask_b32_e64 v81, v81, v96, s11
	v_cmp_eq_u32_e64 s13, 6, v78
	v_cndmask_b32_e64 v88, v88, v71, s12
	;; [unrolled: 3-line block ×3, first 2 shown]
	v_cndmask_b32_e64 v89, v89, v98, s9
	v_cndmask_b32_e64 v81, v81, v72, s13
	v_cmp_eq_u32_e64 s16, 7, v78
	v_cndmask_b32_e64 v88, v88, v96, s15
	v_cndmask_b32_e64 v87, v87, v86, s13
	v_cmp_eq_u32_e64 s17, 6, v79
	v_cmp_eq_u32_e64 s18, 2, v77
	v_cndmask_b32_e64 v89, v89, v85, s12
	v_cndmask_b32_e64 v101, v81, v97, s16
	;; [unrolled: 1-line block ×6, first 2 shown]
	v_cmp_eq_u32_e64 s19, 7, v79
	v_cmp_eq_u32_e64 s20, 3, v77
	;; [unrolled: 1-line block ×4, first 2 shown]
	v_cndmask_b32_e64 v87, v87, v84, s18
	v_cndmask_b32_e64 v103, v88, v97, s19
	;; [unrolled: 1-line block ×4, first 2 shown]
	v_or_b32_e32 v81, 3, v78
	v_cndmask_b32_e64 v93, v87, v98, s20
	v_cmp_eq_u32_e64 s25, 6, v77
	v_cndmask_b32_e64 v104, v88, v86, s17
	v_cndmask_b32_e64 v92, v89, v71, s21
	v_cmp_eq_u32_e64 s22, 1, v81
	ds_load_b128 v[87:90], v82 offset:1024
	v_cmp_eq_u32_e64 s24, 2, v81
	v_cmp_eq_u32_e64 s26, 3, v81
	v_cndmask_b32_e64 v105, v92, v96, s23
	v_cndmask_b32_e64 v66, v69, v66, s22
	;; [unrolled: 1-line block ×4, first 2 shown]
	ds_load_b128 v[91:94], v82 offset:1040
	v_cmp_eq_u32_e64 s27, 4, v81
	v_cndmask_b32_e64 v66, v66, v70, s24
	v_cmp_eq_u32_e64 s28, 7, v77
	v_cndmask_b32_e64 v70, v83, v84, s24
	v_cndmask_b32_e64 v84, v105, v72, s25
	v_cmp_eq_u32_e64 s29, 5, v81
	v_cndmask_b32_e64 v66, v66, v95, s26
	v_cmp_eq_u32_e64 s30, 6, v81
	v_cndmask_b32_e64 v70, v70, v98, s26
	v_cndmask_b32_e64 v69, v69, v99, s23
	;; [unrolled: 1-line block ×4, first 2 shown]
	s_waitcnt lgkmcnt(1)
	v_lshrrev_b32_e32 v95, 16, v87
	v_cndmask_b32_e64 v70, v70, v85, s27
	v_cndmask_b32_e64 v71, v84, v97, s28
	;; [unrolled: 1-line block ×4, first 2 shown]
	v_cndmask_b32_e32 v84, v87, v95, vcc_lo
	v_cndmask_b32_e64 v70, v70, v99, s29
	s_waitcnt lgkmcnt(0)
	v_lshrrev_b32_e32 v85, 16, v91
	v_lshrrev_b32_e32 v96, 16, v88
	v_cndmask_b32_e64 v98, v87, v95, s4
	v_cndmask_b32_e64 v84, v84, v88, s5
	;; [unrolled: 1-line block ×3, first 2 shown]
	v_cndmask_b32_e32 v99, v91, v85, vcc_lo
	v_cmp_eq_u32_e32 vcc_lo, 7, v81
	v_cndmask_b32_e64 v66, v66, v72, s30
	v_cndmask_b32_e64 v72, v84, v96, s8
	;; [unrolled: 1-line block ×3, first 2 shown]
	v_lshrrev_b32_e32 v98, 16, v92
	v_cndmask_b32_e32 v70, v70, v100, vcc_lo
	v_cndmask_b32_e64 v86, v99, v92, s5
	v_cndmask_b32_e64 v69, v69, v100, s28
	v_lshrrev_b32_e32 v100, 16, v93
	v_cndmask_b32_e64 v72, v72, v89, s10
	v_lshrrev_b32_e32 v99, 16, v89
	v_cndmask_b32_e64 v86, v86, v98, s8
	v_perm_b32 v71, v69, v71, 0x5040100
	v_cndmask_b32_e64 v84, v84, v96, s9
	s_delay_alu instid0(VALU_DEP_3) | instskip(NEXT) | instid1(VALU_DEP_2)
	v_cndmask_b32_e64 v86, v86, v93, s10
	v_cndmask_b32_e64 v84, v84, v89, s12
	s_delay_alu instid0(VALU_DEP_2) | instskip(NEXT) | instid1(VALU_DEP_1)
	v_cndmask_b32_e64 v86, v86, v100, s11
	v_cndmask_b32_e64 v69, v86, v94, s13
	;; [unrolled: 1-line block ×5, first 2 shown]
	s_delay_alu instid0(VALU_DEP_3) | instskip(NEXT) | instid1(VALU_DEP_3)
	v_cndmask_b32_e64 v86, v86, v88, s18
	v_cndmask_b32_e64 v87, v87, v88, s24
	s_delay_alu instid0(VALU_DEP_3) | instskip(NEXT) | instid1(VALU_DEP_3)
	v_cndmask_b32_e64 v88, v95, v92, s24
	v_cndmask_b32_e64 v86, v86, v96, s20
	;; [unrolled: 3-line block ×7, first 2 shown]
	s_delay_alu instid0(VALU_DEP_3) | instskip(SKIP_2) | instid1(VALU_DEP_2)
	v_cndmask_b32_e64 v88, v88, v94, s30
	v_cndmask_b32_e32 v66, v66, v97, vcc_lo
	v_cndmask_b32_e64 v97, v72, v99, s11
	v_perm_b32 v72, v70, v66, 0x5040100
	v_perm_b32 v70, v83, v103, 0x5040100
	v_cndmask_b32_e64 v103, v91, v85, s6
	v_cndmask_b32_e64 v85, v91, v85, s4
	;; [unrolled: 1-line block ×4, first 2 shown]
	v_lshrrev_b32_e32 v97, 16, v90
	v_cndmask_b32_e64 v91, v103, v92, s18
	v_cndmask_b32_e64 v85, v85, v92, s7
	;; [unrolled: 1-line block ×3, first 2 shown]
	s_mov_b32 s4, exec_lo
	v_cndmask_b32_e64 v83, v84, v97, s16
	v_cndmask_b32_e64 v91, v91, v98, s20
	;; [unrolled: 1-line block ×3, first 2 shown]
	v_lshrrev_b32_e32 v84, 16, v94
	v_cndmask_b32_e64 v66, v66, v97, s19
	v_cndmask_b32_e64 v90, v86, v97, s28
	;; [unrolled: 1-line block ×4, first 2 shown]
	v_dual_cndmask_b32 v86, v87, v97 :: v_dual_cndmask_b32 v87, v88, v84
	v_cndmask_b32_e64 v91, v69, v84, s16
	s_delay_alu instid0(VALU_DEP_4) | instskip(NEXT) | instid1(VALU_DEP_4)
	v_cndmask_b32_e64 v89, v89, v100, s23
	v_cndmask_b32_e64 v85, v85, v100, s15
	v_perm_b32 v69, v102, v101, 0x5040100
	v_perm_b32 v86, v87, v86, 0x5040100
	;; [unrolled: 1-line block ×3, first 2 shown]
	v_cndmask_b32_e64 v89, v89, v94, s25
	v_cndmask_b32_e64 v85, v85, v94, s17
	s_mul_i32 s9, s37, 15
	s_delay_alu instid0(VALU_DEP_2) | instskip(NEXT) | instid1(VALU_DEP_2)
	v_cndmask_b32_e64 v88, v89, v84, s28
	v_cndmask_b32_e64 v89, v85, v84, s19
	s_delay_alu instid0(VALU_DEP_2) | instskip(NEXT) | instid1(VALU_DEP_2)
	v_perm_b32 v85, v88, v90, 0x5040100
	v_perm_b32 v84, v89, v66, 0x5040100
	ds_store_b128 v76, v[69:72]
	ds_store_b128 v76, v[83:86] offset:1024
	v_cmpx_gt_u32_e32 15, v0
	s_cbranch_execz .LBB1380_78
; %bb.77:
	s_mul_i32 s5, s9, s34
	s_load_b128 s[16:19], s[0:1], 0x58
	v_add3_u32 v69, s5, s31, v65
	s_delay_alu instid0(VALU_DEP_1) | instskip(NEXT) | instid1(VALU_DEP_1)
	v_mad_u64_u32 v[65:66], null, v69, s36, s[14:15]
	v_ashrrev_i32_e32 v66, 31, v65
	s_delay_alu instid0(VALU_DEP_1) | instskip(SKIP_1) | instid1(VALU_DEP_1)
	v_lshlrev_b64 v[65:66], 2, v[65:66]
	s_waitcnt lgkmcnt(0)
	v_add_co_u32 v69, vcc_lo, s18, v65
	s_delay_alu instid0(VALU_DEP_2)
	v_add_co_ci_u32_e32 v70, vcc_lo, s19, v66, vcc_lo
	v_add_co_u32 v65, vcc_lo, s16, v65
	v_add_co_ci_u32_e32 v66, vcc_lo, s17, v66, vcc_lo
	global_store_b32 v[69:70], v67, off
	global_store_b32 v[65:66], v68, off
.LBB1380_78:
	s_or_b32 exec_lo, exec_lo, s4
	s_waitcnt lgkmcnt(0)
	s_waitcnt_vscnt null, 0x0
	s_barrier
	buffer_gl0_inv
	ds_load_b128 v[83:86], v80
	ds_load_b128 v[87:90], v80 offset:16
	ds_load_b128 v[95:98], v80 offset:2064
	;; [unrolled: 1-line block ×3, first 2 shown]
	v_mov_b32_e32 v65, 0
	ds_load_b128 v[103:106], v80 offset:4112
	ds_load_b128 v[99:102], v80 offset:4096
	;; [unrolled: 1-line block ×4, first 2 shown]
	v_mov_b32_e32 v66, v65
	v_mov_b32_e32 v67, v65
	;; [unrolled: 1-line block ×7, first 2 shown]
	s_waitcnt lgkmcnt(6)
	s_delay_alu instid0(VALU_DEP_1)
	v_wmma_f32_16x16x16_bf16 v[65:72], v[57:64], v[83:90], v[65:72]
	ds_load_b128 v[61:64], v80 offset:8208
	ds_load_b128 v[57:60], v80 offset:8192
	s_waitcnt lgkmcnt(6)
	v_wmma_f32_16x16x16_bf16 v[65:72], v[41:48], v[91:98], v[65:72]
	ds_load_b128 v[45:48], v80 offset:10256
	ds_load_b128 v[41:44], v80 offset:10240
	s_waitcnt lgkmcnt(6)
	;; [unrolled: 4-line block ×4, first 2 shown]
	v_wmma_f32_16x16x16_bf16 v[65:72], v[1:8], v[57:64], v[65:72]
	s_waitcnt lgkmcnt(4)
	s_delay_alu instid0(VALU_DEP_1) | instskip(SKIP_1) | instid1(VALU_DEP_1)
	v_wmma_f32_16x16x16_bf16 v[65:72], v[9:16], v[41:48], v[65:72]
	s_waitcnt lgkmcnt(2)
	v_wmma_f32_16x16x16_bf16 v[65:72], v[17:24], v[33:40], v[65:72]
	s_waitcnt lgkmcnt(0)
	s_delay_alu instid0(VALU_DEP_1) | instskip(NEXT) | instid1(VALU_DEP_1)
	v_wmma_f32_16x16x16_bf16 v[65:72], v[49:56], v[25:32], v[65:72]
	v_and_b32_e32 v1, 0x7f800000, v65
	s_delay_alu instid0(VALU_DEP_1) | instskip(SKIP_1) | instid1(SALU_CYCLE_1)
	v_cmp_ne_u32_e32 vcc_lo, 0x7f800000, v1
                                        ; implicit-def: $vgpr1
	s_and_saveexec_b32 s4, vcc_lo
	s_xor_b32 s4, exec_lo, s4
; %bb.79:
	v_bfe_u32 v1, v65, 16, 1
	s_delay_alu instid0(VALU_DEP_1)
	v_add3_u32 v1, v65, v1, 0x7fff
; %bb.80:
	s_and_not1_saveexec_b32 s4, s4
; %bb.81:
	v_and_b32_e32 v1, 0xffff, v65
	v_or_b32_e32 v2, 0x10000, v65
	s_delay_alu instid0(VALU_DEP_2) | instskip(NEXT) | instid1(VALU_DEP_2)
	v_cmp_eq_u32_e32 vcc_lo, 0, v1
	v_cndmask_b32_e32 v1, v2, v65, vcc_lo
; %bb.82:
	s_or_b32 exec_lo, exec_lo, s4
	v_and_b32_e32 v2, 0x7f800000, v66
	s_delay_alu instid0(VALU_DEP_1) | instskip(SKIP_1) | instid1(SALU_CYCLE_1)
	v_cmp_ne_u32_e32 vcc_lo, 0x7f800000, v2
                                        ; implicit-def: $vgpr2
	s_and_saveexec_b32 s4, vcc_lo
	s_xor_b32 s4, exec_lo, s4
; %bb.83:
	v_bfe_u32 v2, v66, 16, 1
	s_delay_alu instid0(VALU_DEP_1)
	v_add3_u32 v2, v66, v2, 0x7fff
; %bb.84:
	s_and_not1_saveexec_b32 s4, s4
; %bb.85:
	v_and_b32_e32 v2, 0xffff, v66
	v_or_b32_e32 v3, 0x10000, v66
	s_delay_alu instid0(VALU_DEP_2) | instskip(NEXT) | instid1(VALU_DEP_2)
	v_cmp_eq_u32_e32 vcc_lo, 0, v2
	v_cndmask_b32_e32 v2, v3, v66, vcc_lo
; %bb.86:
	s_or_b32 exec_lo, exec_lo, s4
	v_and_b32_e32 v3, 0x7f800000, v67
	s_delay_alu instid0(VALU_DEP_1) | instskip(SKIP_1) | instid1(SALU_CYCLE_1)
	v_cmp_ne_u32_e32 vcc_lo, 0x7f800000, v3
                                        ; implicit-def: $vgpr3
	s_and_saveexec_b32 s4, vcc_lo
	s_xor_b32 s4, exec_lo, s4
; %bb.87:
	v_bfe_u32 v3, v67, 16, 1
	s_delay_alu instid0(VALU_DEP_1)
	v_add3_u32 v3, v67, v3, 0x7fff
; %bb.88:
	s_and_not1_saveexec_b32 s4, s4
; %bb.89:
	v_and_b32_e32 v3, 0xffff, v67
	v_or_b32_e32 v4, 0x10000, v67
	s_delay_alu instid0(VALU_DEP_2) | instskip(NEXT) | instid1(VALU_DEP_2)
	v_cmp_eq_u32_e32 vcc_lo, 0, v3
	v_cndmask_b32_e32 v3, v4, v67, vcc_lo
; %bb.90:
	s_or_b32 exec_lo, exec_lo, s4
	v_and_b32_e32 v4, 0x7f800000, v68
	s_delay_alu instid0(VALU_DEP_1) | instskip(SKIP_1) | instid1(SALU_CYCLE_1)
	v_cmp_ne_u32_e32 vcc_lo, 0x7f800000, v4
                                        ; implicit-def: $vgpr4
	s_and_saveexec_b32 s4, vcc_lo
	s_xor_b32 s4, exec_lo, s4
; %bb.91:
	v_bfe_u32 v4, v68, 16, 1
	s_delay_alu instid0(VALU_DEP_1)
	v_add3_u32 v4, v68, v4, 0x7fff
; %bb.92:
	s_and_not1_saveexec_b32 s4, s4
; %bb.93:
	v_and_b32_e32 v4, 0xffff, v68
	v_or_b32_e32 v5, 0x10000, v68
	s_delay_alu instid0(VALU_DEP_2) | instskip(NEXT) | instid1(VALU_DEP_2)
	v_cmp_eq_u32_e32 vcc_lo, 0, v4
	v_cndmask_b32_e32 v4, v5, v68, vcc_lo
; %bb.94:
	s_or_b32 exec_lo, exec_lo, s4
	v_and_b32_e32 v5, 0x7f800000, v69
	s_delay_alu instid0(VALU_DEP_1) | instskip(SKIP_1) | instid1(SALU_CYCLE_1)
	v_cmp_ne_u32_e32 vcc_lo, 0x7f800000, v5
                                        ; implicit-def: $vgpr5
	s_and_saveexec_b32 s4, vcc_lo
	s_xor_b32 s4, exec_lo, s4
; %bb.95:
	v_bfe_u32 v5, v69, 16, 1
	s_delay_alu instid0(VALU_DEP_1)
	v_add3_u32 v5, v69, v5, 0x7fff
; %bb.96:
	s_and_not1_saveexec_b32 s4, s4
; %bb.97:
	v_and_b32_e32 v5, 0xffff, v69
	v_or_b32_e32 v6, 0x10000, v69
	s_delay_alu instid0(VALU_DEP_2) | instskip(NEXT) | instid1(VALU_DEP_2)
	v_cmp_eq_u32_e32 vcc_lo, 0, v5
	v_cndmask_b32_e32 v5, v6, v69, vcc_lo
; %bb.98:
	s_or_b32 exec_lo, exec_lo, s4
	v_and_b32_e32 v6, 0x7f800000, v70
	s_delay_alu instid0(VALU_DEP_1) | instskip(SKIP_1) | instid1(SALU_CYCLE_1)
	v_cmp_ne_u32_e32 vcc_lo, 0x7f800000, v6
                                        ; implicit-def: $vgpr6
	s_and_saveexec_b32 s4, vcc_lo
	s_xor_b32 s4, exec_lo, s4
; %bb.99:
	v_bfe_u32 v6, v70, 16, 1
	s_delay_alu instid0(VALU_DEP_1)
	v_add3_u32 v6, v70, v6, 0x7fff
; %bb.100:
	s_and_not1_saveexec_b32 s4, s4
; %bb.101:
	v_and_b32_e32 v6, 0xffff, v70
	v_or_b32_e32 v7, 0x10000, v70
	s_delay_alu instid0(VALU_DEP_2) | instskip(NEXT) | instid1(VALU_DEP_2)
	v_cmp_eq_u32_e32 vcc_lo, 0, v6
	v_cndmask_b32_e32 v6, v7, v70, vcc_lo
; %bb.102:
	s_or_b32 exec_lo, exec_lo, s4
	v_and_b32_e32 v7, 0x7f800000, v71
	s_delay_alu instid0(VALU_DEP_1) | instskip(SKIP_1) | instid1(SALU_CYCLE_1)
	v_cmp_ne_u32_e32 vcc_lo, 0x7f800000, v7
                                        ; implicit-def: $vgpr7
	s_and_saveexec_b32 s4, vcc_lo
	s_xor_b32 s4, exec_lo, s4
; %bb.103:
	v_bfe_u32 v7, v71, 16, 1
	s_delay_alu instid0(VALU_DEP_1)
	v_add3_u32 v7, v71, v7, 0x7fff
; %bb.104:
	s_and_not1_saveexec_b32 s4, s4
; %bb.105:
	v_and_b32_e32 v7, 0xffff, v71
	v_or_b32_e32 v8, 0x10000, v71
	s_delay_alu instid0(VALU_DEP_2) | instskip(NEXT) | instid1(VALU_DEP_2)
	v_cmp_eq_u32_e32 vcc_lo, 0, v7
	v_cndmask_b32_e32 v7, v8, v71, vcc_lo
; %bb.106:
	s_or_b32 exec_lo, exec_lo, s4
	v_and_b32_e32 v8, 0x7f800000, v72
	s_delay_alu instid0(VALU_DEP_1) | instskip(SKIP_1) | instid1(SALU_CYCLE_1)
	v_cmp_ne_u32_e32 vcc_lo, 0x7f800000, v8
                                        ; implicit-def: $vgpr8
	s_and_saveexec_b32 s4, vcc_lo
	s_xor_b32 s4, exec_lo, s4
; %bb.107:
	v_bfe_u32 v8, v72, 16, 1
	s_delay_alu instid0(VALU_DEP_1)
	v_add3_u32 v8, v72, v8, 0x7fff
                                        ; implicit-def: $vgpr65_vgpr66_vgpr67_vgpr68_vgpr69_vgpr70_vgpr71_vgpr72
; %bb.108:
	s_and_not1_saveexec_b32 s4, s4
; %bb.109:
	v_and_b32_e32 v8, 0xffff, v72
	v_or_b32_e32 v9, 0x10000, v72
	s_delay_alu instid0(VALU_DEP_2) | instskip(NEXT) | instid1(VALU_DEP_2)
	v_cmp_eq_u32_e32 vcc_lo, 0, v8
	v_cndmask_b32_e32 v8, v9, v72, vcc_lo
; %bb.110:
	s_or_b32 exec_lo, exec_lo, s4
	s_delay_alu instid0(VALU_DEP_1)
	v_perm_b32 v7, v8, v7, 0x7060302
	v_perm_b32 v6, v6, v5, 0x7060302
	;; [unrolled: 1-line block ×4, first 2 shown]
	s_barrier
	buffer_gl0_inv
	v_cmp_eq_u32_e32 vcc_lo, 1, v78
	ds_store_b128 v76, v[4:7]
	s_waitcnt lgkmcnt(0)
	s_barrier
	buffer_gl0_inv
	ds_load_b128 v[1:4], v82
	ds_load_b128 v[5:8], v82 offset:16
	v_cmp_eq_u32_e64 s4, 1, v79
	v_cmp_eq_u32_e64 s5, 2, v78
	;; [unrolled: 1-line block ×5, first 2 shown]
	s_waitcnt lgkmcnt(1)
	v_lshrrev_b32_e32 v9, 16, v1
	s_waitcnt lgkmcnt(0)
	v_lshrrev_b32_e32 v13, 16, v5
	v_lshrrev_b32_e32 v10, 16, v2
	;; [unrolled: 1-line block ×4, first 2 shown]
	v_cndmask_b32_e64 v19, v1, v9, s4
	v_cndmask_b32_e32 v18, v5, v13, vcc_lo
	v_cndmask_b32_e64 v20, v5, v13, s4
	v_cndmask_b32_e32 v17, v1, v9, vcc_lo
	v_cmp_eq_u32_e32 vcc_lo, 2, v79
	v_lshrrev_b32_e32 v15, 16, v7
	v_cmp_eq_u32_e64 s4, 1, v77
	v_lshrrev_b32_e32 v12, 16, v4
	v_lshrrev_b32_e32 v16, 16, v8
	v_cndmask_b32_e32 v20, v20, v6, vcc_lo
	v_cndmask_b32_e64 v17, v17, v2, s5
	v_cndmask_b32_e32 v19, v19, v2, vcc_lo
	v_cndmask_b32_e64 v18, v18, v6, s5
	v_cmp_eq_u32_e32 vcc_lo, 4, v78
	v_cmp_eq_u32_e64 s5, 3, v79
	v_cndmask_b32_e64 v17, v17, v10, s6
	v_cndmask_b32_e64 v21, v1, v9, s4
	;; [unrolled: 1-line block ×5, first 2 shown]
	v_cndmask_b32_e32 v17, v17, v3, vcc_lo
	v_cndmask_b32_e64 v20, v20, v14, s5
	v_cndmask_b32_e32 v18, v18, v7, vcc_lo
	v_cmp_eq_u32_e32 vcc_lo, 4, v79
	v_cmp_eq_u32_e64 s5, 5, v79
	v_cmp_eq_u32_e64 s4, 2, v81
	v_cndmask_b32_e64 v21, v21, v2, s8
	v_cmp_eq_u32_e64 s6, 5, v78
	v_cndmask_b32_e32 v19, v19, v3, vcc_lo
	v_cndmask_b32_e32 v20, v20, v7, vcc_lo
	v_cmp_eq_u32_e32 vcc_lo, 6, v79
	s_delay_alu instid0(VALU_DEP_4) | instskip(NEXT) | instid1(VALU_DEP_4)
	v_cndmask_b32_e64 v17, v17, v11, s6
	v_cndmask_b32_e64 v19, v19, v11, s5
	s_delay_alu instid0(VALU_DEP_4) | instskip(SKIP_1) | instid1(VALU_DEP_3)
	v_cndmask_b32_e64 v20, v20, v15, s5
	v_cmp_eq_u32_e64 s5, 1, v81
	v_cndmask_b32_e32 v19, v19, v4, vcc_lo
	v_cndmask_b32_e64 v18, v18, v15, s6
	s_delay_alu instid0(VALU_DEP_3)
	v_cndmask_b32_e64 v1, v1, v9, s5
	v_cndmask_b32_e64 v5, v5, v13, s5
	v_cmp_eq_u32_e64 s5, 3, v77
	v_cndmask_b32_e64 v13, v22, v6, s8
	v_cmp_eq_u32_e64 s8, 3, v81
	v_cndmask_b32_e64 v1, v1, v2, s4
	v_cndmask_b32_e64 v2, v5, v6, s4
	;; [unrolled: 1-line block ×3, first 2 shown]
	v_cmp_eq_u32_e64 s4, 4, v77
	v_cndmask_b32_e64 v6, v13, v14, s5
	v_cndmask_b32_e64 v1, v1, v10, s8
	v_cmp_eq_u32_e64 s5, 4, v81
	v_cndmask_b32_e64 v2, v2, v14, s8
	v_cndmask_b32_e64 v5, v9, v3, s4
	v_cmp_eq_u32_e64 s8, 5, v77
	v_cndmask_b32_e64 v6, v6, v7, s4
	v_cndmask_b32_e64 v1, v1, v3, s5
	v_cndmask_b32_e64 v2, v2, v7, s5
	v_cmp_eq_u32_e64 s4, 5, v81
	v_cmp_eq_u32_e64 s6, 6, v78
	v_cndmask_b32_e64 v5, v5, v11, s8
	v_cmp_eq_u32_e64 s5, 6, v77
	v_cndmask_b32_e64 v3, v6, v15, s8
	v_cndmask_b32_e64 v1, v1, v11, s4
	v_cmp_eq_u32_e64 s8, 6, v81
	v_cndmask_b32_e64 v2, v2, v15, s4
	v_cndmask_b32_e64 v17, v17, v4, s6
	v_cndmask_b32_e64 v18, v18, v8, s6
	v_cmp_eq_u32_e64 s6, 7, v78
	v_cndmask_b32_e64 v5, v5, v4, s5
	;; [unrolled: 4-line block ×3, first 2 shown]
	v_cmp_eq_u32_e64 s5, 7, v77
	v_cndmask_b32_e32 v4, v20, v8, vcc_lo
	v_cndmask_b32_e64 v17, v17, v12, s6
	v_cndmask_b32_e64 v19, v19, v12, s7
	;; [unrolled: 1-line block ×8, first 2 shown]
	v_cmp_gt_u32_e32 vcc_lo, 32, v0
	v_perm_b32 v4, v2, v1, 0x5040100
	v_perm_b32 v3, v3, v5, 0x5040100
	;; [unrolled: 1-line block ×4, first 2 shown]
	s_and_b32 s2, vcc_lo, s2
	ds_store_b128 v76, v[1:4]
	s_waitcnt lgkmcnt(0)
	s_barrier
	buffer_gl0_inv
	s_and_saveexec_b32 s4, s2
	s_cbranch_execz .LBB1380_2
; %bb.111:
	s_load_b64 s[4:5], s[0:1], 0x68
	v_add_nc_u32_e32 v20, s31, v74
	v_lshlrev_b32_e32 v0, 10, v0
	v_lshlrev_b32_e32 v1, 4, v75
	s_lshl_b32 s0, s36, 6
	s_delay_alu instid0(SALU_CYCLE_1)
	s_mul_i32 s1, s0, s34
	v_add_nc_u32_e32 v2, 2, v20
	s_mul_i32 s6, s1, s9
	v_and_or_b32 v0, 0x3800, v0, v1
	v_mul_lo_u32 v1, v20, s0
	s_ashr_i32 s7, s6, 31
	v_mul_lo_u32 v11, v2, s0
	s_lshl_b64 s[6:7], s[6:7], 1
	v_add_nc_u32_e32 v3, 4, v20
	v_lshl_or_b32 v21, v74, 6, v0
	v_add_nc_u32_e32 v16, 6, v20
	v_ashrrev_i32_e32 v2, 31, v1
	s_delay_alu instid0(VALU_DEP_4)
	v_mul_lo_u32 v13, v3, s0
	s_waitcnt lgkmcnt(0)
	s_add_u32 s1, s4, s6
	s_addc_u32 s2, s5, s7
	s_lshl_b32 s4, s14, 6
	ds_load_b128 v[3:6], v21
	ds_load_b128 v[7:10], v21 offset:128
	s_ashr_i32 s5, s4, 31
	v_ashrrev_i32_e32 v12, 31, v11
	s_lshl_b64 s[4:5], s[4:5], 1
	v_lshlrev_b64 v[14:15], 1, v[1:2]
	s_add_u32 s1, s1, s4
	s_addc_u32 s2, s2, s5
	v_add_co_u32 v1, s1, s1, v73
	s_delay_alu instid0(VALU_DEP_1) | instskip(SKIP_1) | instid1(VALU_DEP_3)
	v_add_co_ci_u32_e64 v2, null, s2, 0, s1
	v_lshlrev_b64 v[11:12], 1, v[11:12]
	v_add_co_u32 v18, vcc_lo, v1, v14
	v_mul_lo_u32 v16, v16, s0
	s_delay_alu instid0(VALU_DEP_4) | instskip(NEXT) | instid1(VALU_DEP_4)
	v_add_co_ci_u32_e32 v19, vcc_lo, v2, v15, vcc_lo
	v_add_co_u32 v11, vcc_lo, v1, v11
	v_ashrrev_i32_e32 v14, 31, v13
	v_add_co_ci_u32_e32 v12, vcc_lo, v2, v12, vcc_lo
	v_add_nc_u32_e32 v15, 8, v20
	v_ashrrev_i32_e32 v17, 31, v16
	s_waitcnt lgkmcnt(1)
	global_store_b128 v[18:19], v[3:6], off
	v_lshlrev_b64 v[3:4], 1, v[13:14]
	s_waitcnt lgkmcnt(0)
	global_store_b128 v[11:12], v[7:10], off
	v_mul_lo_u32 v11, v15, s0
	v_add_nc_u32_e32 v7, 10, v20
	v_lshlrev_b64 v[5:6], 1, v[16:17]
	v_add_co_u32 v23, vcc_lo, v1, v3
	v_add_nc_u32_e32 v3, 12, v20
	s_delay_alu instid0(VALU_DEP_4)
	v_mul_lo_u32 v25, v7, s0
	v_ashrrev_i32_e32 v12, 31, v11
	v_add_co_ci_u32_e32 v24, vcc_lo, v2, v4, vcc_lo
	v_add_co_u32 v27, vcc_lo, v1, v5
	v_mul_lo_u32 v29, v3, s0
	v_add_co_ci_u32_e32 v28, vcc_lo, v2, v6, vcc_lo
	ds_load_b128 v[3:6], v21 offset:256
	ds_load_b128 v[7:10], v21 offset:384
	v_lshlrev_b64 v[31:32], 1, v[11:12]
	ds_load_b128 v[11:14], v21 offset:512
	ds_load_b128 v[15:18], v21 offset:640
	;; [unrolled: 1-line block ×3, first 2 shown]
	v_ashrrev_i32_e32 v26, 31, v25
	v_ashrrev_i32_e32 v30, 31, v29
	v_add_co_u32 v31, vcc_lo, v1, v31
	s_delay_alu instid0(VALU_DEP_3) | instskip(NEXT) | instid1(VALU_DEP_3)
	v_lshlrev_b64 v[25:26], 1, v[25:26]
	v_lshlrev_b64 v[29:30], 1, v[29:30]
	v_add_co_ci_u32_e32 v32, vcc_lo, v2, v32, vcc_lo
	s_delay_alu instid0(VALU_DEP_3) | instskip(NEXT) | instid1(VALU_DEP_4)
	v_add_co_u32 v25, vcc_lo, v1, v25
	v_add_co_ci_u32_e32 v26, vcc_lo, v2, v26, vcc_lo
	s_delay_alu instid0(VALU_DEP_4)
	v_add_co_u32 v29, vcc_lo, v1, v29
	v_add_co_ci_u32_e32 v30, vcc_lo, v2, v30, vcc_lo
	s_waitcnt lgkmcnt(4)
	global_store_b128 v[23:24], v[3:6], off
	s_waitcnt lgkmcnt(3)
	global_store_b128 v[27:28], v[7:10], off
	;; [unrolled: 2-line block ×5, first 2 shown]
	s_and_b32 exec_lo, exec_lo, s3
	s_cbranch_execz .LBB1380_2
; %bb.112:
	ds_load_b128 v[3:6], v0 offset:896
	s_add_i32 s1, s31, 14
	s_delay_alu instid0(SALU_CYCLE_1) | instskip(NEXT) | instid1(SALU_CYCLE_1)
	s_mul_i32 s0, s1, s0
	s_ashr_i32 s1, s0, 31
	s_delay_alu instid0(SALU_CYCLE_1) | instskip(NEXT) | instid1(SALU_CYCLE_1)
	s_lshl_b64 s[0:1], s[0:1], 1
	v_add_co_u32 v0, vcc_lo, v1, s0
	v_add_co_ci_u32_e32 v1, vcc_lo, s1, v2, vcc_lo
	s_waitcnt lgkmcnt(0)
	global_store_b128 v[0:1], v[3:6], off
	s_nop 0
	s_sendmsg sendmsg(MSG_DEALLOC_VGPRS)
	s_endpgm
	.section	.rodata,"a",@progbits
	.p2align	6, 0x0
	.amdhsa_kernel _Z39paged_attention_ll4mi_QKV_mfma16_kernelI14__hip_bfloat16hLN4vllm18Fp8KVCacheDataTypeE1EhLi16ELi64ELi256ELb0ELi15EL8MFMAType1EEvPKT_PKT0_S9_ifPKiSB_SB_iPKfiiiPfSE_PS4_PT2_iSD_SD_
		.amdhsa_group_segment_fixed_size 17472
		.amdhsa_private_segment_fixed_size 0
		.amdhsa_kernarg_size 400
		.amdhsa_user_sgpr_count 13
		.amdhsa_user_sgpr_dispatch_ptr 0
		.amdhsa_user_sgpr_queue_ptr 0
		.amdhsa_user_sgpr_kernarg_segment_ptr 1
		.amdhsa_user_sgpr_dispatch_id 0
		.amdhsa_user_sgpr_private_segment_size 0
		.amdhsa_wavefront_size32 1
		.amdhsa_uses_dynamic_stack 0
		.amdhsa_enable_private_segment 0
		.amdhsa_system_sgpr_workgroup_id_x 1
		.amdhsa_system_sgpr_workgroup_id_y 1
		.amdhsa_system_sgpr_workgroup_id_z 1
		.amdhsa_system_sgpr_workgroup_info 0
		.amdhsa_system_vgpr_workitem_id 0
		.amdhsa_next_free_vgpr 124
		.amdhsa_next_free_sgpr 40
		.amdhsa_reserve_vcc 1
		.amdhsa_float_round_mode_32 0
		.amdhsa_float_round_mode_16_64 0
		.amdhsa_float_denorm_mode_32 3
		.amdhsa_float_denorm_mode_16_64 3
		.amdhsa_dx10_clamp 1
		.amdhsa_ieee_mode 1
		.amdhsa_fp16_overflow 0
		.amdhsa_workgroup_processor_mode 1
		.amdhsa_memory_ordered 1
		.amdhsa_forward_progress 0
		.amdhsa_shared_vgpr_count 0
		.amdhsa_exception_fp_ieee_invalid_op 0
		.amdhsa_exception_fp_denorm_src 0
		.amdhsa_exception_fp_ieee_div_zero 0
		.amdhsa_exception_fp_ieee_overflow 0
		.amdhsa_exception_fp_ieee_underflow 0
		.amdhsa_exception_fp_ieee_inexact 0
		.amdhsa_exception_int_div_zero 0
	.end_amdhsa_kernel
	.section	.text._Z39paged_attention_ll4mi_QKV_mfma16_kernelI14__hip_bfloat16hLN4vllm18Fp8KVCacheDataTypeE1EhLi16ELi64ELi256ELb0ELi15EL8MFMAType1EEvPKT_PKT0_S9_ifPKiSB_SB_iPKfiiiPfSE_PS4_PT2_iSD_SD_,"axG",@progbits,_Z39paged_attention_ll4mi_QKV_mfma16_kernelI14__hip_bfloat16hLN4vllm18Fp8KVCacheDataTypeE1EhLi16ELi64ELi256ELb0ELi15EL8MFMAType1EEvPKT_PKT0_S9_ifPKiSB_SB_iPKfiiiPfSE_PS4_PT2_iSD_SD_,comdat
.Lfunc_end1380:
	.size	_Z39paged_attention_ll4mi_QKV_mfma16_kernelI14__hip_bfloat16hLN4vllm18Fp8KVCacheDataTypeE1EhLi16ELi64ELi256ELb0ELi15EL8MFMAType1EEvPKT_PKT0_S9_ifPKiSB_SB_iPKfiiiPfSE_PS4_PT2_iSD_SD_, .Lfunc_end1380-_Z39paged_attention_ll4mi_QKV_mfma16_kernelI14__hip_bfloat16hLN4vllm18Fp8KVCacheDataTypeE1EhLi16ELi64ELi256ELb0ELi15EL8MFMAType1EEvPKT_PKT0_S9_ifPKiSB_SB_iPKfiiiPfSE_PS4_PT2_iSD_SD_
                                        ; -- End function
	.section	.AMDGPU.csdata,"",@progbits
; Kernel info:
; codeLenInByte = 9008
; NumSgprs: 42
; NumVgprs: 124
; ScratchSize: 0
; MemoryBound: 0
; FloatMode: 240
; IeeeMode: 1
; LDSByteSize: 17472 bytes/workgroup (compile time only)
; SGPRBlocks: 5
; VGPRBlocks: 15
; NumSGPRsForWavesPerEU: 42
; NumVGPRsForWavesPerEU: 124
; Occupancy: 10
; WaveLimiterHint : 1
; COMPUTE_PGM_RSRC2:SCRATCH_EN: 0
; COMPUTE_PGM_RSRC2:USER_SGPR: 13
; COMPUTE_PGM_RSRC2:TRAP_HANDLER: 0
; COMPUTE_PGM_RSRC2:TGID_X_EN: 1
; COMPUTE_PGM_RSRC2:TGID_Y_EN: 1
; COMPUTE_PGM_RSRC2:TGID_Z_EN: 1
; COMPUTE_PGM_RSRC2:TIDIG_COMP_CNT: 0
	.section	.text._Z39paged_attention_ll4mi_QKV_mfma16_kernelI14__hip_bfloat16hLN4vllm18Fp8KVCacheDataTypeE1EhLi16ELi64ELi256ELb0ELi16EL8MFMAType1EEvPKT_PKT0_S9_ifPKiSB_SB_iPKfiiiPfSE_PS4_PT2_iSD_SD_,"axG",@progbits,_Z39paged_attention_ll4mi_QKV_mfma16_kernelI14__hip_bfloat16hLN4vllm18Fp8KVCacheDataTypeE1EhLi16ELi64ELi256ELb0ELi16EL8MFMAType1EEvPKT_PKT0_S9_ifPKiSB_SB_iPKfiiiPfSE_PS4_PT2_iSD_SD_,comdat
	.protected	_Z39paged_attention_ll4mi_QKV_mfma16_kernelI14__hip_bfloat16hLN4vllm18Fp8KVCacheDataTypeE1EhLi16ELi64ELi256ELb0ELi16EL8MFMAType1EEvPKT_PKT0_S9_ifPKiSB_SB_iPKfiiiPfSE_PS4_PT2_iSD_SD_ ; -- Begin function _Z39paged_attention_ll4mi_QKV_mfma16_kernelI14__hip_bfloat16hLN4vllm18Fp8KVCacheDataTypeE1EhLi16ELi64ELi256ELb0ELi16EL8MFMAType1EEvPKT_PKT0_S9_ifPKiSB_SB_iPKfiiiPfSE_PS4_PT2_iSD_SD_
	.globl	_Z39paged_attention_ll4mi_QKV_mfma16_kernelI14__hip_bfloat16hLN4vllm18Fp8KVCacheDataTypeE1EhLi16ELi64ELi256ELb0ELi16EL8MFMAType1EEvPKT_PKT0_S9_ifPKiSB_SB_iPKfiiiPfSE_PS4_PT2_iSD_SD_
	.p2align	8
	.type	_Z39paged_attention_ll4mi_QKV_mfma16_kernelI14__hip_bfloat16hLN4vllm18Fp8KVCacheDataTypeE1EhLi16ELi64ELi256ELb0ELi16EL8MFMAType1EEvPKT_PKT0_S9_ifPKiSB_SB_iPKfiiiPfSE_PS4_PT2_iSD_SD_,@function
_Z39paged_attention_ll4mi_QKV_mfma16_kernelI14__hip_bfloat16hLN4vllm18Fp8KVCacheDataTypeE1EhLi16ELi64ELi256ELb0ELi16EL8MFMAType1EEvPKT_PKT0_S9_ifPKiSB_SB_iPKfiiiPfSE_PS4_PT2_iSD_SD_: ; @_Z39paged_attention_ll4mi_QKV_mfma16_kernelI14__hip_bfloat16hLN4vllm18Fp8KVCacheDataTypeE1EhLi16ELi64ELi256ELb0ELi16EL8MFMAType1EEvPKT_PKT0_S9_ifPKiSB_SB_iPKfiiiPfSE_PS4_PT2_iSD_SD_
; %bb.0:
	s_load_b64 s[2:3], s[0:1], 0x30
	s_mov_b32 s30, s13
	s_waitcnt lgkmcnt(0)
	s_cmp_lg_u64 s[2:3], 0
	s_cselect_b32 s8, -1, 0
	s_ashr_i32 s31, s13, 31
	s_cmp_eq_u64 s[2:3], 0
	s_cbranch_scc1 .LBB1381_3
; %bb.1:
	s_lshl_b64 s[4:5], s[30:31], 2
	s_delay_alu instid0(SALU_CYCLE_1) | instskip(SKIP_4) | instid1(SALU_CYCLE_1)
	s_add_u32 s4, s2, s4
	s_addc_u32 s5, s3, s5
	s_load_b64 s[4:5], s[4:5], 0x0
	s_waitcnt lgkmcnt(0)
	s_sub_i32 s4, s5, s4
	s_cmp_eq_u32 s4, 1
	s_cselect_b32 s4, -1, 0
	s_delay_alu instid0(SALU_CYCLE_1)
	s_and_not1_b32 vcc_lo, exec_lo, s4
	s_cbranch_vccz .LBB1381_4
.LBB1381_2:
	s_endpgm
.LBB1381_3:
.LBB1381_4:
	s_load_b64 s[4:5], s[0:1], 0x28
	s_lshl_b64 s[6:7], s[30:31], 2
	s_waitcnt lgkmcnt(0)
	s_add_u32 s4, s4, s6
	s_addc_u32 s5, s5, s7
	s_lshl_b32 s12, s14, 8
	s_load_b32 s24, s[4:5], 0x0
	s_waitcnt lgkmcnt(0)
	s_cmp_ge_i32 s12, s24
	s_cbranch_scc1 .LBB1381_2
; %bb.5:
	s_clause 0x1
	s_load_b128 s[20:23], s[0:1], 0x8
	s_load_b64 s[4:5], s[0:1], 0x20
	s_and_not1_b32 vcc_lo, exec_lo, s8
	s_cbranch_vccnz .LBB1381_7
; %bb.6:
	s_add_u32 s2, s2, s6
	s_addc_u32 s3, s3, s7
	s_load_b32 s3, s[2:3], 0x0
	s_branch .LBB1381_8
.LBB1381_7:
	s_mov_b32 s3, s30
.LBB1381_8:
	s_load_b128 s[16:19], s[0:1], 0x48
	v_and_b32_e32 v66, 15, v0
	v_cmp_gt_u32_e32 vcc_lo, 0x100, v0
	v_lshrrev_b32_e32 v65, 5, v0
	v_and_b32_e32 v67, 31, v0
	v_and_b32_e32 v75, 1, v0
	v_lshlrev_b32_e32 v1, 3, v66
	v_cmp_gt_u32_e64 s2, 8, v66
	v_bfe_u32 v74, v0, 4, 1
	s_lshl_b32 s31, s15, 4
	s_delay_alu instid0(VALU_DEP_3) | instskip(NEXT) | instid1(VALU_DEP_3)
	v_lshlrev_b32_e32 v73, 1, v1
	s_and_b32 s7, vcc_lo, s2
	s_delay_alu instid0(SALU_CYCLE_1)
	s_and_saveexec_b32 s6, s7
	s_cbranch_execz .LBB1381_10
; %bb.9:
	v_lshl_or_b32 v5, v65, 1, v74
	s_load_b64 s[8:9], s[0:1], 0x0
	s_waitcnt lgkmcnt(0)
	s_mul_hi_i32 s11, s3, s16
	s_mul_i32 s10, s3, s16
	v_lshlrev_b32_e32 v6, 10, v66
	v_or_b32_e32 v1, s31, v5
	s_lshl_b64 s[10:11], s[10:11], 1
	v_lshlrev_b32_e32 v5, 6, v5
	v_lshlrev_b32_e32 v7, 10, v75
	v_and_b32_e32 v6, 0x3800, v6
	v_lshlrev_b32_e32 v1, 6, v1
	s_delay_alu instid0(VALU_DEP_2) | instskip(NEXT) | instid1(VALU_DEP_2)
	v_or3_b32 v5, v6, v7, v5
	v_ashrrev_i32_e32 v2, 31, v1
	s_delay_alu instid0(VALU_DEP_1) | instskip(SKIP_2) | instid1(VALU_DEP_1)
	v_lshlrev_b64 v[1:2], 1, v[1:2]
	s_add_u32 s3, s8, s10
	s_addc_u32 s7, s9, s11
	v_add_co_u32 v1, vcc_lo, s3, v1
	s_delay_alu instid0(VALU_DEP_2) | instskip(NEXT) | instid1(VALU_DEP_2)
	v_add_co_ci_u32_e32 v2, vcc_lo, s7, v2, vcc_lo
	v_add_co_u32 v1, vcc_lo, v1, v73
	s_delay_alu instid0(VALU_DEP_2)
	v_add_co_ci_u32_e32 v2, vcc_lo, 0, v2, vcc_lo
	global_load_b128 v[1:4], v[1:2], off
	s_waitcnt vmcnt(0)
	ds_store_b128 v5, v[1:4]
.LBB1381_10:
	s_or_b32 exec_lo, exec_lo, s6
	v_and_b32_e32 v1, 0xef, v0
	s_waitcnt lgkmcnt(0)
	s_add_i32 s3, s24, 15
	s_clause 0x1
	s_load_b32 s6, s[0:1], 0x38
	s_load_b32 s19, s[0:1], 0x1c
	s_ashr_i32 s7, s3, 31
	v_add_nc_u32_e32 v1, s12, v1
	s_lshr_b32 s7, s7, 28
	s_waitcnt lgkmcnt(0)
	s_add_i32 s3, s3, s7
	s_barrier
	v_ashrrev_i32_e32 v2, 31, v1
	v_or_b32_e32 v3, 16, v1
	s_ashr_i32 s3, s3, 4
	v_cmp_gt_i32_e32 vcc_lo, s24, v1
	s_add_i32 s3, s3, -1
	v_lshrrev_b32_e32 v2, 28, v2
	buffer_gl0_inv
	s_mul_i32 s27, s15, s18
	v_add_nc_u32_e32 v4, v1, v2
	s_mul_i32 s6, s30, s6
	s_delay_alu instid0(SALU_CYCLE_1) | instskip(NEXT) | instid1(VALU_DEP_1)
	s_ashr_i32 s7, s6, 31
	v_ashrrev_i32_e32 v4, 4, v4
	v_add_nc_u32_e32 v2, v3, v2
	s_lshl_b64 s[6:7], s[6:7], 2
	s_delay_alu instid0(SALU_CYCLE_1) | instskip(NEXT) | instid1(VALU_DEP_2)
	s_add_u32 s26, s4, s6
	v_cndmask_b32_e32 v1, s3, v4, vcc_lo
	s_delay_alu instid0(VALU_DEP_2)
	v_ashrrev_i32_e32 v2, 4, v2
	v_cmp_gt_i32_e32 vcc_lo, s24, v3
	s_addc_u32 s25, s5, s7
	s_ashr_i32 s28, s27, 31
	s_add_u32 s13, s20, s27
	s_addc_u32 s15, s21, s28
	v_cndmask_b32_e32 v3, s3, v2, vcc_lo
	v_ashrrev_i32_e32 v2, 31, v1
	s_lshl_b32 s4, s14, 4
	s_delay_alu instid0(SALU_CYCLE_1) | instskip(NEXT) | instid1(VALU_DEP_2)
	s_ashr_i32 s5, s4, 31
	v_ashrrev_i32_e32 v4, 31, v3
	s_delay_alu instid0(VALU_DEP_2) | instskip(SKIP_1) | instid1(SALU_CYCLE_1)
	v_lshlrev_b64 v[1:2], 2, v[1:2]
	s_lshl_b64 s[4:5], s[4:5], 2
	s_add_u32 s4, s26, s4
	s_delay_alu instid0(VALU_DEP_2) | instskip(SKIP_1) | instid1(VALU_DEP_2)
	v_lshlrev_b64 v[3:4], 2, v[3:4]
	s_addc_u32 s5, s25, s5
	v_add_co_u32 v1, vcc_lo, s26, v1
	v_add_co_ci_u32_e32 v2, vcc_lo, s25, v2, vcc_lo
	s_delay_alu instid0(VALU_DEP_3) | instskip(NEXT) | instid1(VALU_DEP_4)
	v_add_co_u32 v3, vcc_lo, s26, v3
	v_add_co_ci_u32_e32 v4, vcc_lo, s25, v4, vcc_lo
	s_clause 0x1
	global_load_b32 v5, v[1:2], off
	global_load_b32 v7, v[3:4], off
	s_or_b32 s6, s12, 32
	v_lshlrev_b32_e32 v1, 4, v0
	s_ashr_i32 s7, s6, 4
	s_cmp_lt_i32 s6, s24
	s_cselect_b32 s6, s7, s3
	s_delay_alu instid0(VALU_DEP_1) | instskip(SKIP_1) | instid1(SALU_CYCLE_1)
	v_and_b32_e32 v1, 0xf0, v1
	s_ashr_i32 s7, s6, 31
	s_lshl_b64 s[6:7], s[6:7], 2
	s_delay_alu instid0(SALU_CYCLE_1)
	s_add_u32 s6, s26, s6
	s_addc_u32 s7, s25, s7
	s_or_b32 s8, s12, 64
	v_add_co_u32 v1, s13, s13, v1
	s_ashr_i32 s9, s8, 4
	s_cmp_lt_i32 s8, s24
	v_add_co_ci_u32_e64 v2, null, s15, 0, s13
	s_cselect_b32 s8, s9, s3
	s_delay_alu instid0(SALU_CYCLE_1) | instskip(NEXT) | instid1(SALU_CYCLE_1)
	s_ashr_i32 s9, s8, 31
	s_lshl_b64 s[8:9], s[8:9], 2
	s_delay_alu instid0(SALU_CYCLE_1) | instskip(SKIP_2) | instid1(SALU_CYCLE_1)
	s_add_u32 s8, s26, s8
	s_addc_u32 s9, s25, s9
	s_or_b32 s10, s12, 0x60
	s_ashr_i32 s11, s10, 4
	s_cmp_lt_i32 s10, s24
	s_cselect_b32 s10, s11, s3
	s_delay_alu instid0(SALU_CYCLE_1) | instskip(NEXT) | instid1(SALU_CYCLE_1)
	s_ashr_i32 s11, s10, 31
	s_lshl_b64 s[10:11], s[10:11], 2
	s_delay_alu instid0(SALU_CYCLE_1) | instskip(SKIP_2) | instid1(SALU_CYCLE_1)
	s_add_u32 s10, s26, s10
	s_addc_u32 s11, s25, s11
	s_or_b32 s16, s12, 0x80
	s_ashr_i32 s18, s16, 4
	s_cmp_lt_i32 s16, s24
	;; [unrolled: 10-line block ×3, first 2 shown]
	s_cselect_b32 s20, s18, s3
	s_delay_alu instid0(SALU_CYCLE_1) | instskip(NEXT) | instid1(SALU_CYCLE_1)
	s_ashr_i32 s21, s20, 31
	s_lshl_b64 s[20:21], s[20:21], 2
	s_delay_alu instid0(SALU_CYCLE_1)
	s_add_u32 s36, s26, s20
	s_addc_u32 s37, s25, s21
	s_clause 0x5
	s_load_b32 s21, s[4:5], 0x0
	s_load_b32 s13, s[6:7], 0x0
	;; [unrolled: 1-line block ×6, first 2 shown]
	s_or_b32 s6, s12, 0xc0
	s_mov_b32 s4, 0
	s_ashr_i32 s7, s6, 4
	s_cmp_lt_i32 s6, s24
	s_mov_b32 s5, s4
	s_cselect_b32 s10, s7, s3
	s_mov_b32 s6, s4
	s_ashr_i32 s11, s10, 31
	s_mov_b32 s7, s4
	s_lshl_b64 s[10:11], s[10:11], 2
	s_mov_b32 s8, s4
	s_add_u32 s34, s26, s10
	s_addc_u32 s35, s25, s11
	s_or_b32 s11, s12, 0xe0
	s_mov_b32 s9, s4
	s_ashr_i32 s29, s11, 4
	s_cmp_lt_i32 s11, s24
	s_mov_b32 s11, s4
	s_cselect_b32 s36, s29, s3
	s_mov_b32 s10, s4
	s_ashr_i32 s37, s36, 31
	v_mov_b32_e32 v108, s11
	v_mov_b32_e32 v102, s5
	v_dual_mov_b32 v105, s8 :: v_dual_lshlrev_b32 v76, 6, v66
	v_dual_mov_b32 v107, s10 :: v_dual_mov_b32 v106, s9
	v_dual_mov_b32 v104, s7 :: v_dual_mov_b32 v103, s6
	v_mov_b32_e32 v101, s4
	s_lshl_b64 s[4:5], s[36:37], 2
	s_delay_alu instid0(SALU_CYCLE_1)
	s_add_u32 s4, s26, s4
	s_addc_u32 s5, s25, s5
	s_add_u32 s6, s22, s27
	s_addc_u32 s7, s23, s28
	s_waitcnt vmcnt(1)
	v_mad_i64_i32 v[3:4], null, v5, s17, v[1:2]
	s_waitcnt vmcnt(0)
	v_mad_i64_i32 v[5:6], null, v7, s17, v[1:2]
	v_lshlrev_b32_e32 v1, 4, v66
	s_clause 0x7
	global_load_b128 v[49:52], v[3:4], off
	global_load_b128 v[53:56], v[3:4], off offset:256
	global_load_b128 v[77:80], v[5:6], off
	global_load_b128 v[81:84], v[5:6], off offset:256
	global_load_b128 v[85:88], v[3:4], off offset:512
	;; [unrolled: 1-line block ×5, first 2 shown]
	v_lshl_or_b32 v1, v65, 8, v1
	s_load_b32 s3, s[34:35], 0x0
	ds_load_b128 v[109:112], v76
	ds_load_b128 v[113:116], v76 offset:1024
	s_load_b32 s4, s[4:5], 0x0
	v_add_co_u32 v9, s6, s6, v1
	s_delay_alu instid0(VALU_DEP_1) | instskip(SKIP_1) | instid1(VALU_DEP_1)
	v_add_co_ci_u32_e64 v10, null, s7, 0, s6
	s_waitcnt lgkmcnt(0)
	v_mad_i64_i32 v[1:2], null, s21, s17, v[9:10]
	v_mad_i64_i32 v[3:4], null, s13, s17, v[9:10]
	;; [unrolled: 1-line block ×7, first 2 shown]
	s_clause 0x9
	global_load_b128 v[57:60], v[1:2], off
	global_load_b128 v[61:64], v[1:2], off offset:16
	global_load_b128 v[41:44], v[3:4], off
	global_load_b128 v[45:48], v[3:4], off offset:16
	global_load_b128 v[33:36], v[5:6], off
	global_load_b128 v[37:40], v[5:6], off offset:16
	global_load_b128 v[25:28], v[7:8], off
	global_load_b128 v[29:32], v[7:8], off offset:16
	global_load_b128 v[1:4], v[11:12], off
	global_load_b128 v[5:8], v[11:12], off offset:16
	v_mad_i64_i32 v[68:69], null, s4, s17, v[9:10]
	s_clause 0x3
	global_load_b128 v[9:12], v[13:14], off
	global_load_b128 v[13:16], v[13:14], off offset:16
	global_load_b128 v[17:20], v[21:22], off
	global_load_b128 v[21:24], v[21:22], off offset:16
	s_waitcnt vmcnt(20)
	v_wmma_f32_16x16x16_bf16 v[117:124], v[49:56], v[109:116], v[101:108]
	s_clause 0x1
	global_load_b128 v[49:52], v[68:69], off
	global_load_b128 v[53:56], v[68:69], off offset:16
	v_and_b32_e32 v68, 0xe0, v0
	v_mbcnt_lo_u32_b32 v69, -1, 0
	s_delay_alu instid0(VALU_DEP_2)
	v_add_nc_u32_e32 v68, s12, v68
	s_waitcnt vmcnt(20)
	v_wmma_f32_16x16x16_bf16 v[101:108], v[77:84], v[109:116], v[101:108]
	ds_load_b128 v[77:80], v76 offset:2048
	ds_load_b128 v[81:84], v76 offset:3072
	v_xor_b32_e32 v70, 16, v69
	s_waitcnt vmcnt(0) lgkmcnt(0)
	v_or_b32_e32 v68, v68, v74
	s_barrier
	buffer_gl0_inv
	v_cmp_gt_i32_e32 vcc_lo, 32, v70
	v_or_b32_e32 v71, 4, v68
	v_or_b32_e32 v72, 6, v68
	v_cmp_gt_i32_e64 s3, s24, v68
	v_or_b32_e32 v109, 8, v68
	s_delay_alu instid0(VALU_DEP_4) | instskip(NEXT) | instid1(VALU_DEP_4)
	v_cmp_gt_i32_e64 s4, s24, v71
	v_cmp_gt_i32_e64 s5, s24, v72
	s_delay_alu instid0(VALU_DEP_3)
	v_cmp_gt_i32_e64 s6, s24, v109
	v_wmma_f32_16x16x16_bf16 v[117:124], v[85:92], v[77:84], v[117:124]
	v_cndmask_b32_e32 v69, v69, v70, vcc_lo
	v_or_b32_e32 v70, 2, v68
	v_wmma_f32_16x16x16_bf16 v[101:108], v[93:100], v[77:84], v[101:108]
	v_or_b32_e32 v85, 10, v68
	v_dual_mul_f32 v84, s19, v120 :: v_dual_mul_f32 v83, s19, v121
	v_dual_mul_f32 v94, s19, v118 :: v_dual_mul_f32 v95, s19, v117
	s_delay_alu instid0(VALU_DEP_4) | instskip(SKIP_2) | instid1(VALU_DEP_4)
	v_mul_f32_e32 v98, s19, v106
	v_cmp_gt_i32_e32 vcc_lo, s24, v70
	v_dual_mul_f32 v93, s19, v119 :: v_dual_mul_f32 v96, s19, v108
	v_cndmask_b32_e64 v95, 0xff7fffff, v95, s3
	v_or_b32_e32 v86, 12, v68
	v_cndmask_b32_e32 v94, 0xff7fffff, v94, vcc_lo
	v_or_b32_e32 v87, 14, v68
	v_dual_mul_f32 v81, s19, v123 :: v_dual_mul_f32 v82, s19, v122
	v_cndmask_b32_e64 v93, 0xff7fffff, v93, s4
	v_cndmask_b32_e64 v72, 0xff7fffff, v84, s5
	v_max3_f32 v84, v95, 0xff7fffff, v94
	v_cmp_gt_i32_e64 s7, s24, v85
	v_or_b32_e32 v88, 16, v68
	v_or_b32_e32 v89, 18, v68
	v_mul_f32_e32 v80, s19, v124
	v_cndmask_b32_e64 v83, 0xff7fffff, v83, s6
	v_cndmask_b32_e64 v82, 0xff7fffff, v82, s7
	v_max3_f32 v72, v84, v93, v72
	v_cmp_gt_i32_e64 s8, s24, v86
	v_cmp_gt_i32_e64 s9, s24, v87
	v_or_b32_e32 v90, 20, v68
	v_or_b32_e32 v91, 22, v68
	;; [unrolled: 1-line block ×6, first 2 shown]
	v_dual_mul_f32 v68, s19, v102 :: v_dual_mul_f32 v71, s19, v101
	v_cndmask_b32_e64 v81, 0xff7fffff, v81, s8
	v_cndmask_b32_e64 v80, 0xff7fffff, v80, s9
	v_max3_f32 v72, v72, v83, v82
	v_cmp_gt_i32_e64 s10, s24, v88
	v_cmp_gt_i32_e64 s11, s24, v89
	v_dual_mul_f32 v97, s19, v107 :: v_dual_mul_f32 v100, s19, v104
	v_dual_mul_f32 v99, s19, v105 :: v_dual_mul_f32 v70, s19, v103
	s_delay_alu instid0(VALU_DEP_4) | instskip(NEXT) | instid1(VALU_DEP_4)
	v_cndmask_b32_e64 v71, 0xff7fffff, v71, s10
	v_cndmask_b32_e64 v68, 0xff7fffff, v68, s11
	v_max3_f32 v72, v72, v81, v80
	v_cmp_gt_i32_e64 s12, s24, v90
	v_cmp_gt_i32_e64 s13, s24, v91
	;; [unrolled: 1-line block ×4, first 2 shown]
	v_max3_f32 v68, v72, v71, v68
	v_cndmask_b32_e64 v70, 0xff7fffff, v70, s12
	v_cndmask_b32_e64 v80, 0xff7fffff, v100, s13
	;; [unrolled: 1-line block ×4, first 2 shown]
	v_cmp_gt_i32_e64 s17, s24, v78
	v_cmp_gt_i32_e64 s18, s24, v79
	v_max3_f32 v68, v68, v70, v80
	v_lshlrev_b32_e32 v90, 2, v69
	s_delay_alu instid0(VALU_DEP_4) | instskip(NEXT) | instid1(VALU_DEP_4)
	v_cndmask_b32_e64 v70, 0xff7fffff, v97, s17
	v_cndmask_b32_e64 v77, 0xff7fffff, v96, s18
	s_delay_alu instid0(VALU_DEP_4) | instskip(NEXT) | instid1(VALU_DEP_1)
	v_max3_f32 v68, v68, v71, v72
	v_max3_f32 v68, v68, v70, v77
	ds_bpermute_b32 v69, v90, v68
	s_waitcnt lgkmcnt(0)
	v_max_f32_e32 v69, v69, v69
	s_delay_alu instid0(VALU_DEP_1) | instskip(NEXT) | instid1(VALU_DEP_1)
	v_max_f32_e32 v81, v68, v69
	v_fma_f32 v68, s19, v117, -v81
	s_delay_alu instid0(VALU_DEP_1)
	v_mul_f32_e32 v68, 0x3fb8aa3b, v68
	v_fma_f32 v69, s19, v118, -v81
	v_fma_f32 v71, s19, v120, -v81
	;; [unrolled: 1-line block ×4, first 2 shown]
	v_exp_f32_e32 v68, v68
	v_mul_f32_e32 v69, 0x3fb8aa3b, v69
	s_delay_alu instid0(VALU_DEP_3) | instskip(NEXT) | instid1(VALU_DEP_3)
	v_dual_mul_f32 v71, 0x3fb8aa3b, v71 :: v_dual_mul_f32 v72, 0x3fb8aa3b, v72
	v_mul_f32_e32 v70, 0x3fb8aa3b, v70
	v_fma_f32 v78, s19, v123, -v81
	s_delay_alu instid0(VALU_DEP_4) | instskip(NEXT) | instid1(VALU_DEP_3)
	v_exp_f32_e32 v69, v69
	v_exp_f32_e32 v71, v71
	;; [unrolled: 1-line block ×4, first 2 shown]
	v_cndmask_b32_e64 v82, 0, v68, s3
	v_fma_f32 v68, s19, v122, -v81
	v_mul_f32_e32 v78, 0x3fb8aa3b, v78
	v_fma_f32 v80, s19, v106, -v81
	s_mov_b32 s3, exec_lo
	s_delay_alu instid0(VALU_DEP_3) | instskip(NEXT) | instid1(TRANS32_DEP_2)
	v_dual_cndmask_b32 v77, 0, v69 :: v_dual_mul_f32 v68, 0x3fb8aa3b, v68
	v_cndmask_b32_e64 v86, 0, v72, s6
	v_fma_f32 v72, s19, v102, -v81
	v_add_f32_e32 v69, 0, v82
	v_cndmask_b32_e64 v83, 0, v70, s4
	v_exp_f32_e32 v68, v68
	v_fma_f32 v70, s19, v124, -v81
	s_delay_alu instid0(VALU_DEP_3) | instskip(SKIP_2) | instid1(VALU_DEP_4)
	v_dual_mul_f32 v72, 0x3fb8aa3b, v72 :: v_dual_add_f32 v69, v69, v77
	v_cndmask_b32_e64 v85, 0, v71, s5
	v_fma_f32 v71, s19, v101, -v81
	v_mul_f32_e32 v70, 0x3fb8aa3b, v70
	v_exp_f32_e32 v78, v78
	v_add_f32_e32 v69, v69, v83
	v_exp_f32_e32 v72, v72
	s_delay_alu instid0(TRANS32_DEP_3) | instskip(SKIP_1) | instid1(VALU_DEP_2)
	v_cndmask_b32_e64 v87, 0, v68, s7
	v_exp_f32_e32 v70, v70
	v_add_f32_e32 v69, v69, v85
	v_mul_f32_e32 v71, 0x3fb8aa3b, v71
	s_delay_alu instid0(TRANS32_DEP_3) | instskip(NEXT) | instid1(VALU_DEP_3)
	v_cndmask_b32_e64 v84, 0, v78, s8
	v_add_f32_e32 v68, v69, v86
	v_fma_f32 v69, s19, v103, -v81
	s_delay_alu instid0(VALU_DEP_4) | instskip(SKIP_1) | instid1(TRANS32_DEP_2)
	v_exp_f32_e32 v71, v71
	v_fma_f32 v78, s19, v104, -v81
	v_cndmask_b32_e64 v88, 0, v70, s9
	s_delay_alu instid0(VALU_DEP_3) | instskip(SKIP_1) | instid1(VALU_DEP_2)
	v_dual_add_f32 v68, v68, v87 :: v_dual_mul_f32 v69, 0x3fb8aa3b, v69
	v_fma_f32 v70, s19, v105, -v81
	v_add_f32_e32 v68, v68, v84
	v_mul_f32_e32 v78, 0x3fb8aa3b, v78
	s_delay_alu instid0(VALU_DEP_4) | instskip(NEXT) | instid1(TRANS32_DEP_2)
	v_exp_f32_e32 v79, v69
	v_cndmask_b32_e64 v69, 0, v71, s10
	s_delay_alu instid0(VALU_DEP_3) | instskip(NEXT) | instid1(VALU_DEP_3)
	v_dual_add_f32 v71, v68, v88 :: v_dual_mul_f32 v70, 0x3fb8aa3b, v70
	v_exp_f32_e32 v78, v78
	v_cndmask_b32_e64 v68, 0, v72, s11
	v_fma_f32 v72, s19, v107, -v81
	s_delay_alu instid0(VALU_DEP_3) | instskip(SKIP_1) | instid1(TRANS32_DEP_3)
	v_add_f32_e32 v71, v71, v69
	v_exp_f32_e32 v89, v70
	v_cndmask_b32_e64 v70, 0, v79, s12
	s_delay_alu instid0(VALU_DEP_2) | instskip(NEXT) | instid1(TRANS32_DEP_2)
	v_add_f32_e32 v79, v71, v68
	v_cndmask_b32_e64 v71, 0, v78, s13
	s_delay_alu instid0(VALU_DEP_2) | instskip(SKIP_2) | instid1(VALU_DEP_1)
	v_add_f32_e32 v78, v79, v70
	v_mul_f32_e32 v80, 0x3fb8aa3b, v80
	v_fma_f32 v79, s19, v108, -v81
	v_dual_mul_f32 v72, 0x3fb8aa3b, v72 :: v_dual_mul_f32 v79, 0x3fb8aa3b, v79
	s_delay_alu instid0(VALU_DEP_1) | instskip(NEXT) | instid1(TRANS32_DEP_2)
	v_exp_f32_e32 v91, v72
	v_cndmask_b32_e64 v72, 0, v89, s15
	v_add_f32_e32 v89, v78, v71
	v_exp_f32_e32 v80, v80
	s_waitcnt_depctr 0xfff
	v_cndmask_b32_e64 v78, 0, v80, s16
	v_add_f32_e32 v80, v89, v72
	v_exp_f32_e32 v89, v79
	v_cndmask_b32_e64 v79, 0, v91, s17
	s_delay_alu instid0(VALU_DEP_2) | instskip(NEXT) | instid1(VALU_DEP_1)
	v_add_f32_e32 v80, v80, v78
	v_add_f32_e32 v91, v80, v79
	s_waitcnt_depctr 0xfff
	v_cndmask_b32_e64 v80, 0, v89, s18
	s_delay_alu instid0(VALU_DEP_1)
	v_add_f32_e32 v89, v91, v80
	ds_bpermute_b32 v90, v90, v89
	v_cmpx_gt_u32_e32 16, v67
	s_cbranch_execz .LBB1381_12
; %bb.11:
	v_mul_u32_u24_e32 v67, 0x44, v65
	s_waitcnt lgkmcnt(0)
	v_add_f32_e32 v89, v89, v90
	s_delay_alu instid0(VALU_DEP_2) | instskip(NEXT) | instid1(VALU_DEP_1)
	v_lshl_add_u32 v67, v66, 2, v67
	v_add_nc_u32_e32 v67, 0x4000, v67
	ds_store_2addr_b32 v67, v81, v89 offset1:136
.LBB1381_12:
	s_or_b32 exec_lo, exec_lo, s3
	v_lshlrev_b32_e32 v66, 2, v66
	s_waitcnt lgkmcnt(0)
	s_barrier
	buffer_gl0_inv
	v_cmp_eq_u32_e32 vcc_lo, 1, v65
	v_add_nc_u32_e32 v81, 0x4000, v66
	v_cmp_eq_u32_e64 s3, 2, v65
	v_cmp_eq_u32_e64 s5, 7, v65
	ds_load_2addr_b32 v[89:90], v81 offset1:17
	ds_load_2addr_b32 v[91:92], v81 offset0:34 offset1:51
	ds_load_2addr_b32 v[93:94], v81 offset0:68 offset1:85
	;; [unrolled: 1-line block ×4, first 2 shown]
	s_waitcnt lgkmcnt(4)
	v_max3_f32 v66, v89, 0xff7fffff, v90
	s_waitcnt lgkmcnt(3)
	s_delay_alu instid0(VALU_DEP_1) | instskip(SKIP_1) | instid1(VALU_DEP_1)
	v_max3_f32 v66, v66, v91, v92
	s_waitcnt lgkmcnt(2)
	v_max3_f32 v66, v66, v93, v94
	s_waitcnt lgkmcnt(1)
	s_delay_alu instid0(VALU_DEP_1) | instskip(NEXT) | instid1(VALU_DEP_1)
	v_max3_f32 v66, v66, v95, v96
	v_sub_f32_e32 v67, v89, v66
	v_sub_f32_e32 v91, v91, v66
	;; [unrolled: 1-line block ×3, first 2 shown]
	s_delay_alu instid0(VALU_DEP_3) | instskip(NEXT) | instid1(VALU_DEP_3)
	v_mul_f32_e32 v67, 0x3fb8aa3b, v67
	v_mul_f32_e32 v101, 0x3fb8aa3b, v91
	s_delay_alu instid0(VALU_DEP_3) | instskip(NEXT) | instid1(VALU_DEP_3)
	v_mul_f32_e32 v103, 0x3fb8aa3b, v93
	v_exp_f32_e32 v100, v67
	v_sub_f32_e32 v67, v92, v66
	v_sub_f32_e32 v99, v90, v66
	ds_load_2addr_b32 v[89:90], v81 offset0:170 offset1:187
	ds_load_2addr_b32 v[91:92], v81 offset0:204 offset1:221
	v_exp_f32_e32 v101, v101
	v_mul_f32_e32 v102, 0x3fb8aa3b, v67
	v_mul_f32_e32 v99, 0x3fb8aa3b, v99
	s_waitcnt lgkmcnt(2)
	v_fma_f32 v67, v100, v97, 0
	v_sub_f32_e32 v97, v94, v66
	s_delay_alu instid0(VALU_DEP_3)
	v_exp_f32_e32 v99, v99
	v_exp_f32_e32 v102, v102
	ds_load_2addr_b32 v[93:94], v81 offset0:238 offset1:255
	v_sub_f32_e32 v81, v95, v66
	v_mul_f32_e32 v95, 0x3fb8aa3b, v97
	v_exp_f32_e32 v97, v103
	s_waitcnt lgkmcnt(0)
	s_barrier
	v_mul_f32_e32 v81, 0x3fb8aa3b, v81
	v_exp_f32_e32 v95, v95
	v_fmac_f32_e32 v67, v99, v98
	buffer_gl0_inv
	v_exp_f32_e32 v81, v81
	v_fmac_f32_e32 v67, v101, v89
	v_sub_f32_e32 v89, v96, v66
	s_delay_alu instid0(VALU_DEP_2) | instskip(NEXT) | instid1(VALU_DEP_2)
	v_fmac_f32_e32 v67, v102, v90
	v_mul_f32_e32 v89, 0x3fb8aa3b, v89
	s_delay_alu instid0(VALU_DEP_2) | instskip(NEXT) | instid1(VALU_DEP_2)
	v_fmac_f32_e32 v67, v97, v91
	v_exp_f32_e32 v89, v89
	s_delay_alu instid0(VALU_DEP_1)
	v_fmac_f32_e32 v67, v95, v92
	s_delay_alu instid0(TRANS32_DEP_2) | instid1(VALU_DEP_1)
	v_fmac_f32_e32 v67, v81, v93
	s_waitcnt_depctr 0xfff
	v_fmac_f32_e32 v67, v89, v94
	s_delay_alu instid0(VALU_DEP_1) | instskip(NEXT) | instid1(VALU_DEP_1)
	v_add_f32_e32 v90, 0x358637bd, v67
	v_div_scale_f32 v91, null, v90, v90, 1.0
	v_div_scale_f32 v94, s4, 1.0, v90, 1.0
	s_delay_alu instid0(VALU_DEP_2) | instskip(SKIP_2) | instid1(VALU_DEP_1)
	v_rcp_f32_e32 v92, v91
	s_waitcnt_depctr 0xfff
	v_fma_f32 v93, -v91, v92, 1.0
	v_dual_fmac_f32 v92, v93, v92 :: v_dual_cndmask_b32 v93, v100, v99
	v_cmp_eq_u32_e32 vcc_lo, 3, v65
	s_delay_alu instid0(VALU_DEP_2) | instskip(NEXT) | instid1(VALU_DEP_3)
	v_mul_f32_e32 v96, v94, v92
	v_cndmask_b32_e64 v93, v93, v101, s3
	v_cmp_eq_u32_e64 s3, 4, v65
	s_delay_alu instid0(VALU_DEP_3) | instskip(NEXT) | instid1(VALU_DEP_3)
	v_fma_f32 v98, -v91, v96, v94
	v_cndmask_b32_e32 v93, v93, v102, vcc_lo
	v_cmp_eq_u32_e32 vcc_lo, 5, v65
	s_delay_alu instid0(VALU_DEP_3) | instskip(NEXT) | instid1(VALU_DEP_3)
	v_fmac_f32_e32 v96, v98, v92
	v_cndmask_b32_e64 v93, v93, v97, s3
	v_cmp_eq_u32_e64 s3, 6, v65
	s_delay_alu instid0(VALU_DEP_3) | instskip(NEXT) | instid1(VALU_DEP_3)
	v_fma_f32 v91, -v91, v96, v94
	v_cndmask_b32_e32 v93, v93, v95, vcc_lo
	s_mov_b32 vcc_lo, s4
	s_delay_alu instid0(VALU_DEP_2) | instskip(NEXT) | instid1(VALU_DEP_2)
	v_div_fmas_f32 v91, v91, v92, v96
	v_cndmask_b32_e64 v81, v93, v81, s3
	s_mov_b32 s3, exec_lo
	s_delay_alu instid0(VALU_DEP_2) | instskip(NEXT) | instid1(VALU_DEP_2)
	v_div_fixup_f32 v90, v91, v90, 1.0
	v_cndmask_b32_e64 v81, v81, v89, s5
	s_delay_alu instid0(VALU_DEP_1) | instskip(NEXT) | instid1(VALU_DEP_1)
	v_mul_f32_e32 v81, v81, v90
	v_mul_f32_e32 v90, v81, v82
	;; [unrolled: 1-line block ×6, first 2 shown]
	v_dual_mul_f32 v86, v81, v83 :: v_dual_and_b32 v91, 0x7f800000, v90
	v_mul_f32_e32 v89, v81, v85
	v_mul_f32_e32 v85, v81, v77
                                        ; implicit-def: $vgpr77
	s_delay_alu instid0(VALU_DEP_3)
	v_cmpx_ne_u32_e32 0x7f800000, v91
	s_xor_b32 s3, exec_lo, s3
; %bb.13:
	v_bfe_u32 v77, v90, 16, 1
	s_delay_alu instid0(VALU_DEP_1)
	v_add3_u32 v77, v90, v77, 0x7fff
                                        ; implicit-def: $vgpr90
; %bb.14:
	s_and_not1_saveexec_b32 s3, s3
; %bb.15:
	v_and_b32_e32 v77, 0xffff, v90
	v_or_b32_e32 v83, 0x10000, v90
	s_delay_alu instid0(VALU_DEP_2) | instskip(NEXT) | instid1(VALU_DEP_2)
	v_cmp_eq_u32_e32 vcc_lo, 0, v77
	v_cndmask_b32_e32 v77, v83, v90, vcc_lo
; %bb.16:
	s_or_b32 exec_lo, exec_lo, s3
	v_and_b32_e32 v83, 0x7f800000, v85
	s_delay_alu instid0(VALU_DEP_1) | instskip(SKIP_1) | instid1(SALU_CYCLE_1)
	v_cmp_ne_u32_e32 vcc_lo, 0x7f800000, v83
                                        ; implicit-def: $vgpr83
	s_and_saveexec_b32 s3, vcc_lo
	s_xor_b32 s3, exec_lo, s3
; %bb.17:
	v_bfe_u32 v83, v85, 16, 1
	s_delay_alu instid0(VALU_DEP_1)
	v_add3_u32 v83, v85, v83, 0x7fff
                                        ; implicit-def: $vgpr85
; %bb.18:
	s_and_not1_saveexec_b32 s3, s3
; %bb.19:
	v_and_b32_e32 v83, 0xffff, v85
	v_or_b32_e32 v90, 0x10000, v85
	s_delay_alu instid0(VALU_DEP_2) | instskip(NEXT) | instid1(VALU_DEP_2)
	v_cmp_eq_u32_e32 vcc_lo, 0, v83
	v_cndmask_b32_e32 v83, v90, v85, vcc_lo
; %bb.20:
	s_or_b32 exec_lo, exec_lo, s3
	v_and_b32_e32 v85, 0x7f800000, v86
	s_delay_alu instid0(VALU_DEP_1) | instskip(SKIP_1) | instid1(SALU_CYCLE_1)
	v_cmp_ne_u32_e32 vcc_lo, 0x7f800000, v85
                                        ; implicit-def: $vgpr85
	s_and_saveexec_b32 s3, vcc_lo
	s_xor_b32 s3, exec_lo, s3
; %bb.21:
	v_bfe_u32 v85, v86, 16, 1
	s_delay_alu instid0(VALU_DEP_1)
	v_add3_u32 v85, v86, v85, 0x7fff
                                        ; implicit-def: $vgpr86
; %bb.22:
	s_and_not1_saveexec_b32 s3, s3
; %bb.23:
	v_and_b32_e32 v85, 0xffff, v86
	v_or_b32_e32 v90, 0x10000, v86
	s_delay_alu instid0(VALU_DEP_2) | instskip(NEXT) | instid1(VALU_DEP_2)
	v_cmp_eq_u32_e32 vcc_lo, 0, v85
	v_cndmask_b32_e32 v85, v90, v86, vcc_lo
; %bb.24:
	s_or_b32 exec_lo, exec_lo, s3
	v_and_b32_e32 v86, 0x7f800000, v89
	s_delay_alu instid0(VALU_DEP_1) | instskip(SKIP_1) | instid1(SALU_CYCLE_1)
	v_cmp_ne_u32_e32 vcc_lo, 0x7f800000, v86
                                        ; implicit-def: $vgpr86
	s_and_saveexec_b32 s3, vcc_lo
	s_xor_b32 s3, exec_lo, s3
; %bb.25:
	v_bfe_u32 v86, v89, 16, 1
	s_delay_alu instid0(VALU_DEP_1)
	v_add3_u32 v86, v89, v86, 0x7fff
                                        ; implicit-def: $vgpr89
; %bb.26:
	s_and_not1_saveexec_b32 s3, s3
; %bb.27:
	v_and_b32_e32 v86, 0xffff, v89
	v_or_b32_e32 v90, 0x10000, v89
	s_delay_alu instid0(VALU_DEP_2) | instskip(NEXT) | instid1(VALU_DEP_2)
	v_cmp_eq_u32_e32 vcc_lo, 0, v86
	v_cndmask_b32_e32 v86, v90, v89, vcc_lo
; %bb.28:
	s_or_b32 exec_lo, exec_lo, s3
	v_and_b32_e32 v89, 0x7f800000, v88
	s_delay_alu instid0(VALU_DEP_1) | instskip(SKIP_1) | instid1(SALU_CYCLE_1)
	v_cmp_ne_u32_e32 vcc_lo, 0x7f800000, v89
                                        ; implicit-def: $vgpr89
	s_and_saveexec_b32 s3, vcc_lo
	s_xor_b32 s3, exec_lo, s3
; %bb.29:
	v_bfe_u32 v89, v88, 16, 1
	s_delay_alu instid0(VALU_DEP_1)
	v_add3_u32 v89, v88, v89, 0x7fff
                                        ; implicit-def: $vgpr88
; %bb.30:
	s_and_not1_saveexec_b32 s3, s3
; %bb.31:
	v_and_b32_e32 v89, 0xffff, v88
	v_or_b32_e32 v90, 0x10000, v88
	s_delay_alu instid0(VALU_DEP_2) | instskip(NEXT) | instid1(VALU_DEP_2)
	v_cmp_eq_u32_e32 vcc_lo, 0, v89
	v_cndmask_b32_e32 v89, v90, v88, vcc_lo
; %bb.32:
	s_or_b32 exec_lo, exec_lo, s3
	v_and_b32_e32 v88, 0x7f800000, v87
	s_delay_alu instid0(VALU_DEP_1) | instskip(SKIP_1) | instid1(SALU_CYCLE_1)
	v_cmp_ne_u32_e32 vcc_lo, 0x7f800000, v88
                                        ; implicit-def: $vgpr88
	s_and_saveexec_b32 s3, vcc_lo
	s_xor_b32 s3, exec_lo, s3
; %bb.33:
	v_bfe_u32 v88, v87, 16, 1
	s_delay_alu instid0(VALU_DEP_1)
	v_add3_u32 v88, v87, v88, 0x7fff
                                        ; implicit-def: $vgpr87
; %bb.34:
	s_and_not1_saveexec_b32 s3, s3
; %bb.35:
	v_and_b32_e32 v88, 0xffff, v87
	v_or_b32_e32 v90, 0x10000, v87
	s_delay_alu instid0(VALU_DEP_2) | instskip(NEXT) | instid1(VALU_DEP_2)
	v_cmp_eq_u32_e32 vcc_lo, 0, v88
	v_cndmask_b32_e32 v88, v90, v87, vcc_lo
; %bb.36:
	s_or_b32 exec_lo, exec_lo, s3
	v_and_b32_e32 v87, 0x7f800000, v84
	s_delay_alu instid0(VALU_DEP_1) | instskip(SKIP_1) | instid1(SALU_CYCLE_1)
	v_cmp_ne_u32_e32 vcc_lo, 0x7f800000, v87
                                        ; implicit-def: $vgpr87
	s_and_saveexec_b32 s3, vcc_lo
	s_xor_b32 s3, exec_lo, s3
; %bb.37:
	v_bfe_u32 v87, v84, 16, 1
	s_delay_alu instid0(VALU_DEP_1)
	v_add3_u32 v87, v84, v87, 0x7fff
                                        ; implicit-def: $vgpr84
; %bb.38:
	s_and_not1_saveexec_b32 s3, s3
; %bb.39:
	v_and_b32_e32 v87, 0xffff, v84
	v_or_b32_e32 v90, 0x10000, v84
	s_delay_alu instid0(VALU_DEP_2) | instskip(NEXT) | instid1(VALU_DEP_2)
	v_cmp_eq_u32_e32 vcc_lo, 0, v87
	v_cndmask_b32_e32 v87, v90, v84, vcc_lo
; %bb.40:
	s_or_b32 exec_lo, exec_lo, s3
	v_and_b32_e32 v84, 0x7f800000, v82
	s_delay_alu instid0(VALU_DEP_1) | instskip(SKIP_1) | instid1(SALU_CYCLE_1)
	v_cmp_ne_u32_e32 vcc_lo, 0x7f800000, v84
                                        ; implicit-def: $vgpr84
	s_and_saveexec_b32 s3, vcc_lo
	s_xor_b32 s3, exec_lo, s3
; %bb.41:
	v_bfe_u32 v84, v82, 16, 1
	s_delay_alu instid0(VALU_DEP_1)
	v_add3_u32 v84, v82, v84, 0x7fff
                                        ; implicit-def: $vgpr82
; %bb.42:
	s_and_not1_saveexec_b32 s3, s3
; %bb.43:
	v_and_b32_e32 v84, 0xffff, v82
	v_or_b32_e32 v90, 0x10000, v82
	s_delay_alu instid0(VALU_DEP_2) | instskip(NEXT) | instid1(VALU_DEP_2)
	v_cmp_eq_u32_e32 vcc_lo, 0, v84
	v_cndmask_b32_e32 v84, v90, v82, vcc_lo
; %bb.44:
	s_or_b32 exec_lo, exec_lo, s3
	s_load_b64 s[34:35], s[0:1], 0x94
	v_lshlrev_b32_e32 v82, 4, v74
	s_delay_alu instid0(VALU_DEP_2)
	v_perm_b32 v90, v84, v87, 0x7060302
	v_lshlrev_b32_e32 v84, 11, v65
	v_perm_b32 v87, v83, v77, 0x7060302
	v_mul_f32_e32 v83, v81, v69
	v_mul_f32_e32 v69, v81, v80
	v_perm_b32 v89, v88, v89, 0x7060302
	v_perm_b32 v88, v86, v85, 0x7060302
	v_or3_b32 v77, v82, v84, v76
	v_mul_f32_e32 v79, v81, v79
	v_mul_f32_e32 v78, v81, v78
	v_and_b32_e32 v84, 0x7f800000, v83
	v_mul_f32_e32 v72, v81, v72
	v_mul_f32_e32 v82, v81, v71
	v_mul_f32_e32 v71, v81, v68
	v_mul_f32_e32 v80, v81, v70
	s_mov_b32 s3, exec_lo
	ds_store_b128 v77, v[87:90]
                                        ; implicit-def: $vgpr68
	v_cmpx_ne_u32_e32 0x7f800000, v84
	s_xor_b32 s3, exec_lo, s3
; %bb.45:
	v_bfe_u32 v68, v83, 16, 1
	s_delay_alu instid0(VALU_DEP_1)
	v_add3_u32 v68, v83, v68, 0x7fff
                                        ; implicit-def: $vgpr83
; %bb.46:
	s_and_not1_saveexec_b32 s3, s3
; %bb.47:
	v_and_b32_e32 v68, 0xffff, v83
	v_or_b32_e32 v70, 0x10000, v83
	s_delay_alu instid0(VALU_DEP_2) | instskip(NEXT) | instid1(VALU_DEP_2)
	v_cmp_eq_u32_e32 vcc_lo, 0, v68
	v_cndmask_b32_e32 v68, v70, v83, vcc_lo
; %bb.48:
	s_or_b32 exec_lo, exec_lo, s3
	v_and_b32_e32 v70, 0x7f800000, v71
	s_delay_alu instid0(VALU_DEP_1) | instskip(SKIP_1) | instid1(SALU_CYCLE_1)
	v_cmp_ne_u32_e32 vcc_lo, 0x7f800000, v70
                                        ; implicit-def: $vgpr70
	s_and_saveexec_b32 s3, vcc_lo
	s_xor_b32 s3, exec_lo, s3
; %bb.49:
	v_bfe_u32 v70, v71, 16, 1
	s_delay_alu instid0(VALU_DEP_1)
	v_add3_u32 v70, v71, v70, 0x7fff
                                        ; implicit-def: $vgpr71
; %bb.50:
	s_and_not1_saveexec_b32 s3, s3
; %bb.51:
	v_and_b32_e32 v70, 0xffff, v71
	v_or_b32_e32 v81, 0x10000, v71
	s_delay_alu instid0(VALU_DEP_2) | instskip(NEXT) | instid1(VALU_DEP_2)
	v_cmp_eq_u32_e32 vcc_lo, 0, v70
	v_cndmask_b32_e32 v70, v81, v71, vcc_lo
; %bb.52:
	s_or_b32 exec_lo, exec_lo, s3
	v_and_b32_e32 v71, 0x7f800000, v80
	s_delay_alu instid0(VALU_DEP_1) | instskip(SKIP_1) | instid1(SALU_CYCLE_1)
	v_cmp_ne_u32_e32 vcc_lo, 0x7f800000, v71
                                        ; implicit-def: $vgpr71
	s_and_saveexec_b32 s3, vcc_lo
	s_xor_b32 s3, exec_lo, s3
; %bb.53:
	v_bfe_u32 v71, v80, 16, 1
	s_delay_alu instid0(VALU_DEP_1)
	v_add3_u32 v71, v80, v71, 0x7fff
                                        ; implicit-def: $vgpr80
; %bb.54:
	s_and_not1_saveexec_b32 s3, s3
; %bb.55:
	v_and_b32_e32 v71, 0xffff, v80
	v_or_b32_e32 v81, 0x10000, v80
	s_delay_alu instid0(VALU_DEP_2) | instskip(NEXT) | instid1(VALU_DEP_2)
	v_cmp_eq_u32_e32 vcc_lo, 0, v71
	v_cndmask_b32_e32 v71, v81, v80, vcc_lo
; %bb.56:
	s_or_b32 exec_lo, exec_lo, s3
	v_and_b32_e32 v80, 0x7f800000, v82
	s_delay_alu instid0(VALU_DEP_1) | instskip(SKIP_1) | instid1(SALU_CYCLE_1)
	v_cmp_ne_u32_e32 vcc_lo, 0x7f800000, v80
                                        ; implicit-def: $vgpr80
	s_and_saveexec_b32 s3, vcc_lo
	s_xor_b32 s3, exec_lo, s3
; %bb.57:
	v_bfe_u32 v80, v82, 16, 1
	s_delay_alu instid0(VALU_DEP_1)
	v_add3_u32 v80, v82, v80, 0x7fff
                                        ; implicit-def: $vgpr82
; %bb.58:
	s_and_not1_saveexec_b32 s3, s3
; %bb.59:
	v_and_b32_e32 v80, 0xffff, v82
	v_or_b32_e32 v81, 0x10000, v82
	s_delay_alu instid0(VALU_DEP_2) | instskip(NEXT) | instid1(VALU_DEP_2)
	v_cmp_eq_u32_e32 vcc_lo, 0, v80
	v_cndmask_b32_e32 v80, v81, v82, vcc_lo
; %bb.60:
	s_or_b32 exec_lo, exec_lo, s3
	v_and_b32_e32 v81, 0x7f800000, v72
	s_delay_alu instid0(VALU_DEP_1) | instskip(SKIP_1) | instid1(SALU_CYCLE_1)
	v_cmp_ne_u32_e32 vcc_lo, 0x7f800000, v81
                                        ; implicit-def: $vgpr81
	s_and_saveexec_b32 s3, vcc_lo
	s_xor_b32 s3, exec_lo, s3
; %bb.61:
	v_bfe_u32 v81, v72, 16, 1
	s_delay_alu instid0(VALU_DEP_1)
	v_add3_u32 v81, v72, v81, 0x7fff
                                        ; implicit-def: $vgpr72
; %bb.62:
	s_and_not1_saveexec_b32 s3, s3
; %bb.63:
	v_and_b32_e32 v81, 0xffff, v72
	v_or_b32_e32 v82, 0x10000, v72
	s_delay_alu instid0(VALU_DEP_2) | instskip(NEXT) | instid1(VALU_DEP_2)
	v_cmp_eq_u32_e32 vcc_lo, 0, v81
	v_cndmask_b32_e32 v81, v82, v72, vcc_lo
; %bb.64:
	s_or_b32 exec_lo, exec_lo, s3
	v_and_b32_e32 v72, 0x7f800000, v78
	s_delay_alu instid0(VALU_DEP_1) | instskip(SKIP_1) | instid1(SALU_CYCLE_1)
	v_cmp_ne_u32_e32 vcc_lo, 0x7f800000, v72
                                        ; implicit-def: $vgpr72
	s_and_saveexec_b32 s3, vcc_lo
	s_xor_b32 s3, exec_lo, s3
; %bb.65:
	v_bfe_u32 v72, v78, 16, 1
	s_delay_alu instid0(VALU_DEP_1)
	v_add3_u32 v72, v78, v72, 0x7fff
                                        ; implicit-def: $vgpr78
; %bb.66:
	s_and_not1_saveexec_b32 s3, s3
; %bb.67:
	v_and_b32_e32 v72, 0xffff, v78
	v_or_b32_e32 v82, 0x10000, v78
	s_delay_alu instid0(VALU_DEP_2) | instskip(NEXT) | instid1(VALU_DEP_2)
	v_cmp_eq_u32_e32 vcc_lo, 0, v72
	v_cndmask_b32_e32 v72, v82, v78, vcc_lo
; %bb.68:
	s_or_b32 exec_lo, exec_lo, s3
	v_and_b32_e32 v78, 0x7f800000, v79
	s_delay_alu instid0(VALU_DEP_1) | instskip(SKIP_1) | instid1(SALU_CYCLE_1)
	v_cmp_ne_u32_e32 vcc_lo, 0x7f800000, v78
                                        ; implicit-def: $vgpr78
	s_and_saveexec_b32 s3, vcc_lo
	s_xor_b32 s3, exec_lo, s3
; %bb.69:
	v_bfe_u32 v78, v79, 16, 1
	s_delay_alu instid0(VALU_DEP_1)
	v_add3_u32 v78, v79, v78, 0x7fff
                                        ; implicit-def: $vgpr79
; %bb.70:
	s_and_not1_saveexec_b32 s3, s3
; %bb.71:
	v_and_b32_e32 v78, 0xffff, v79
	v_or_b32_e32 v82, 0x10000, v79
	s_delay_alu instid0(VALU_DEP_2) | instskip(NEXT) | instid1(VALU_DEP_2)
	v_cmp_eq_u32_e32 vcc_lo, 0, v78
	v_cndmask_b32_e32 v78, v82, v79, vcc_lo
; %bb.72:
	s_or_b32 exec_lo, exec_lo, s3
	v_and_b32_e32 v79, 0x7f800000, v69
	s_delay_alu instid0(VALU_DEP_1) | instskip(SKIP_1) | instid1(SALU_CYCLE_1)
	v_cmp_ne_u32_e32 vcc_lo, 0x7f800000, v79
                                        ; implicit-def: $vgpr79
	s_and_saveexec_b32 s3, vcc_lo
	s_xor_b32 s3, exec_lo, s3
; %bb.73:
	v_bfe_u32 v79, v69, 16, 1
	s_delay_alu instid0(VALU_DEP_1)
	v_add3_u32 v79, v69, v79, 0x7fff
                                        ; implicit-def: $vgpr69
; %bb.74:
	s_and_not1_saveexec_b32 s3, s3
; %bb.75:
	v_and_b32_e32 v79, 0xffff, v69
	v_or_b32_e32 v82, 0x10000, v69
	s_delay_alu instid0(VALU_DEP_2) | instskip(NEXT) | instid1(VALU_DEP_2)
	v_cmp_eq_u32_e32 vcc_lo, 0, v79
	v_cndmask_b32_e32 v79, v82, v69, vcc_lo
; %bb.76:
	s_or_b32 exec_lo, exec_lo, s3
	s_delay_alu instid0(VALU_DEP_1)
	v_perm_b32 v86, v79, v78, 0x7060302
	v_perm_b32 v85, v72, v81, 0x7060302
	;; [unrolled: 1-line block ×4, first 2 shown]
	v_lshl_or_b32 v82, v65, 11, v76
	v_lshlrev_b32_e32 v79, 2, v74
	ds_store_b128 v77, v[83:86] offset:1024
	s_waitcnt lgkmcnt(0)
	s_barrier
	buffer_gl0_inv
	ds_load_b128 v[68:71], v82
	ds_load_b128 v[83:86], v82 offset:16
	v_or_b32_e32 v80, 1, v79
	v_cmp_eq_u32_e32 vcc_lo, 1, v79
	v_cmp_eq_u32_e64 s4, 2, v79
	v_cmp_eq_u32_e64 s7, 3, v79
	;; [unrolled: 1-line block ×6, first 2 shown]
	v_or_b32_e32 v78, 2, v79
	v_cmp_eq_u32_e64 s10, 5, v79
	v_cmp_eq_u32_e64 s11, 4, v80
	;; [unrolled: 1-line block ×9, first 2 shown]
	s_waitcnt lgkmcnt(1)
	v_lshrrev_b32_e32 v65, 16, v68
	s_waitcnt lgkmcnt(0)
	v_lshrrev_b32_e32 v91, 16, v83
	v_lshrrev_b32_e32 v72, 16, v69
	;; [unrolled: 1-line block ×4, first 2 shown]
	v_cndmask_b32_e32 v81, v68, v65, vcc_lo
	v_cndmask_b32_e32 v87, v83, v91, vcc_lo
	v_cndmask_b32_e64 v88, v68, v65, s3
	v_lshrrev_b32_e32 v98, 16, v85
	v_cndmask_b32_e64 v89, v83, v91, s3
	v_cndmask_b32_e64 v81, v81, v69, s4
	v_cndmask_b32_e64 v87, v87, v84, s4
	v_cndmask_b32_e64 v88, v88, v69, s6
	v_lshrrev_b32_e32 v96, 16, v71
	v_cndmask_b32_e64 v89, v89, v84, s6
	v_cndmask_b32_e64 v81, v81, v72, s7
	v_cndmask_b32_e64 v87, v87, v97, s7
	;; [unrolled: 5-line block ×3, first 2 shown]
	v_cndmask_b32_e64 v88, v88, v70, s11
	v_cndmask_b32_e64 v89, v89, v97, s8
	v_cmp_eq_u32_e64 s19, 3, v78
	v_cndmask_b32_e64 v81, v81, v95, s10
	v_cndmask_b32_e64 v87, v87, v98, s10
	v_cndmask_b32_e64 v88, v88, v95, s13
	v_cndmask_b32_e64 v89, v89, v85, s11
	v_cmp_eq_u32_e64 s20, 4, v78
	v_cndmask_b32_e64 v81, v81, v71, s12
	v_cndmask_b32_e64 v87, v87, v86, s12
	;; [unrolled: 1-line block ×3, first 2 shown]
	v_cmp_eq_u32_e64 s22, 5, v78
	v_cmp_eq_u32_e64 s24, 6, v78
	v_cndmask_b32_e64 v100, v81, v96, s15
	v_cndmask_b32_e64 v101, v87, v99, s15
	;; [unrolled: 1-line block ×6, first 2 shown]
	v_cmp_eq_u32_e64 s27, 7, v78
	v_cndmask_b32_e64 v89, v81, v72, s19
	v_cndmask_b32_e64 v87, v87, v84, s17
	v_or_b32_e32 v81, 3, v79
	v_cndmask_b32_e64 v103, v88, v86, s16
	s_delay_alu instid0(VALU_DEP_4) | instskip(NEXT) | instid1(VALU_DEP_4)
	v_cndmask_b32_e64 v92, v89, v70, s20
	v_cndmask_b32_e64 v93, v87, v97, s19
	s_delay_alu instid0(VALU_DEP_4)
	v_cmp_eq_u32_e64 s21, 1, v81
	ds_load_b128 v[87:90], v82 offset:1024
	v_cmp_eq_u32_e64 s23, 2, v81
	v_cndmask_b32_e64 v104, v92, v95, s22
	v_cmp_eq_u32_e64 s25, 3, v81
	v_cndmask_b32_e64 v65, v68, v65, s21
	v_cndmask_b32_e64 v68, v93, v85, s20
	;; [unrolled: 1-line block ×3, first 2 shown]
	ds_load_b128 v[91:94], v82 offset:1040
	v_cmp_eq_u32_e64 s26, 4, v81
	v_cndmask_b32_e64 v65, v65, v69, s23
	v_cmp_eq_u32_e64 s28, 5, v81
	v_cndmask_b32_e64 v69, v83, v84, s23
	v_cmp_eq_u32_e64 s29, 6, v81
	v_cndmask_b32_e64 v68, v68, v98, s22
	v_cndmask_b32_e64 v65, v65, v72, s25
	v_cndmask_b32_e64 v72, v104, v71, s24
	v_cndmask_b32_e64 v69, v69, v97, s25
	v_cndmask_b32_e64 v83, v103, v99, s18
	v_cndmask_b32_e64 v68, v68, v86, s24
	v_cndmask_b32_e64 v65, v65, v70, s26
	s_waitcnt lgkmcnt(1)
	v_lshrrev_b32_e32 v84, 16, v87
	v_cndmask_b32_e64 v69, v69, v85, s26
	v_cndmask_b32_e64 v70, v72, v96, s27
	v_cndmask_b32_e64 v68, v68, v99, s27
	v_cndmask_b32_e64 v65, v65, v95, s28
	v_cndmask_b32_e32 v72, v87, v84, vcc_lo
	v_cndmask_b32_e64 v69, v69, v98, s28
	s_waitcnt lgkmcnt(0)
	v_lshrrev_b32_e32 v85, 16, v91
	v_lshrrev_b32_e32 v95, 16, v88
	v_cndmask_b32_e64 v97, v87, v84, s3
	v_cndmask_b32_e64 v72, v72, v88, s4
	;; [unrolled: 1-line block ×3, first 2 shown]
	v_cndmask_b32_e32 v98, v91, v85, vcc_lo
	v_cmp_eq_u32_e32 vcc_lo, 7, v81
	v_cndmask_b32_e64 v69, v69, v86, s29
	v_cndmask_b32_e64 v71, v72, v95, s7
	;; [unrolled: 1-line block ×3, first 2 shown]
	v_lshrrev_b32_e32 v97, 16, v92
	v_cndmask_b32_e32 v65, v65, v96, vcc_lo
	v_cndmask_b32_e64 v86, v98, v92, s4
	v_cndmask_b32_e32 v69, v69, v99, vcc_lo
	v_lshrrev_b32_e32 v99, 16, v93
	v_cndmask_b32_e64 v71, v71, v89, s9
	v_lshrrev_b32_e32 v98, 16, v89
	v_cndmask_b32_e64 v86, v86, v97, s7
	v_perm_b32 v70, v68, v70, 0x5040100
	v_cndmask_b32_e64 v72, v72, v95, s8
	s_delay_alu instid0(VALU_DEP_4) | instskip(NEXT) | instid1(VALU_DEP_4)
	v_cndmask_b32_e64 v96, v71, v98, s10
	v_cndmask_b32_e64 v86, v86, v93, s9
	v_perm_b32 v71, v69, v65, 0x5040100
	v_perm_b32 v69, v83, v102, 0x5040100
	v_cndmask_b32_e64 v102, v91, v85, s5
	v_cndmask_b32_e64 v72, v72, v89, s11
	;; [unrolled: 1-line block ×3, first 2 shown]
	v_lshrrev_b32_e32 v83, 16, v94
	s_delay_alu instid0(VALU_DEP_3) | instskip(NEXT) | instid1(VALU_DEP_3)
	v_cndmask_b32_e64 v65, v72, v98, s13
	v_cndmask_b32_e64 v68, v86, v94, s12
	;; [unrolled: 1-line block ×27, first 2 shown]
	v_lshrrev_b32_e32 v96, 16, v90
	v_cndmask_b32_e64 v65, v65, v90, s16
	v_cndmask_b32_e64 v86, v86, v90, s24
	;; [unrolled: 1-line block ×9, first 2 shown]
	v_cndmask_b32_e32 v84, v84, v96, vcc_lo
	v_cndmask_b32_e32 v86, v87, v83, vcc_lo
	v_cndmask_b32_e64 v87, v88, v83, s27
	v_cndmask_b32_e64 v88, v85, v83, s18
	;; [unrolled: 1-line block ×3, first 2 shown]
	v_perm_b32 v68, v101, v100, 0x5040100
	v_perm_b32 v86, v86, v84, 0x5040100
	;; [unrolled: 1-line block ×5, first 2 shown]
	s_lshl_b32 s8, s35, 4
	s_mov_b32 s3, exec_lo
	ds_store_b128 v77, v[68:71]
	ds_store_b128 v77, v[83:86] offset:1024
	v_cmpx_gt_u32_e32 16, v0
	s_cbranch_execz .LBB1381_78
; %bb.77:
	v_or_b32_e32 v65, s31, v0
	s_load_b128 s[4:7], s[0:1], 0x58
	s_delay_alu instid0(VALU_DEP_1) | instskip(NEXT) | instid1(VALU_DEP_1)
	v_mad_u64_u32 v[68:69], null, s8, s30, v[65:66]
	v_mad_u64_u32 v[69:70], null, v68, s34, s[14:15]
	s_delay_alu instid0(VALU_DEP_1) | instskip(NEXT) | instid1(VALU_DEP_1)
	v_ashrrev_i32_e32 v70, 31, v69
	v_lshlrev_b64 v[68:69], 2, v[69:70]
	s_waitcnt lgkmcnt(0)
	s_delay_alu instid0(VALU_DEP_1) | instskip(NEXT) | instid1(VALU_DEP_2)
	v_add_co_u32 v70, vcc_lo, s6, v68
	v_add_co_ci_u32_e32 v71, vcc_lo, s7, v69, vcc_lo
	v_add_co_u32 v68, vcc_lo, s4, v68
	v_add_co_ci_u32_e32 v69, vcc_lo, s5, v69, vcc_lo
	global_store_b32 v[70:71], v66, off
	global_store_b32 v[68:69], v67, off
.LBB1381_78:
	s_or_b32 exec_lo, exec_lo, s3
	s_waitcnt lgkmcnt(0)
	s_waitcnt_vscnt null, 0x0
	s_barrier
	buffer_gl0_inv
	ds_load_b128 v[83:86], v76
	ds_load_b128 v[87:90], v76 offset:16
	ds_load_b128 v[95:98], v76 offset:2064
	;; [unrolled: 1-line block ×3, first 2 shown]
	v_mov_b32_e32 v65, 0
	ds_load_b128 v[103:106], v76 offset:4112
	ds_load_b128 v[99:102], v76 offset:4096
	;; [unrolled: 1-line block ×4, first 2 shown]
	v_mov_b32_e32 v66, v65
	v_mov_b32_e32 v67, v65
	v_mov_b32_e32 v68, v65
	v_mov_b32_e32 v69, v65
	v_mov_b32_e32 v70, v65
	v_mov_b32_e32 v71, v65
	v_mov_b32_e32 v72, v65
	s_waitcnt lgkmcnt(6)
	s_delay_alu instid0(VALU_DEP_1)
	v_wmma_f32_16x16x16_bf16 v[65:72], v[57:64], v[83:90], v[65:72]
	ds_load_b128 v[61:64], v76 offset:8208
	ds_load_b128 v[57:60], v76 offset:8192
	s_waitcnt lgkmcnt(6)
	v_wmma_f32_16x16x16_bf16 v[65:72], v[41:48], v[91:98], v[65:72]
	ds_load_b128 v[45:48], v76 offset:10256
	ds_load_b128 v[41:44], v76 offset:10240
	s_waitcnt lgkmcnt(6)
	;; [unrolled: 4-line block ×4, first 2 shown]
	v_wmma_f32_16x16x16_bf16 v[65:72], v[1:8], v[57:64], v[65:72]
	s_waitcnt lgkmcnt(4)
	s_delay_alu instid0(VALU_DEP_1) | instskip(SKIP_1) | instid1(VALU_DEP_1)
	v_wmma_f32_16x16x16_bf16 v[65:72], v[9:16], v[41:48], v[65:72]
	s_waitcnt lgkmcnt(2)
	v_wmma_f32_16x16x16_bf16 v[65:72], v[17:24], v[33:40], v[65:72]
	s_waitcnt lgkmcnt(0)
	s_delay_alu instid0(VALU_DEP_1) | instskip(NEXT) | instid1(VALU_DEP_1)
	v_wmma_f32_16x16x16_bf16 v[65:72], v[49:56], v[25:32], v[65:72]
	v_and_b32_e32 v1, 0x7f800000, v65
	s_delay_alu instid0(VALU_DEP_1) | instskip(SKIP_1) | instid1(SALU_CYCLE_1)
	v_cmp_ne_u32_e32 vcc_lo, 0x7f800000, v1
                                        ; implicit-def: $vgpr1
	s_and_saveexec_b32 s3, vcc_lo
	s_xor_b32 s3, exec_lo, s3
; %bb.79:
	v_bfe_u32 v1, v65, 16, 1
	s_delay_alu instid0(VALU_DEP_1)
	v_add3_u32 v1, v65, v1, 0x7fff
; %bb.80:
	s_and_not1_saveexec_b32 s3, s3
; %bb.81:
	v_and_b32_e32 v1, 0xffff, v65
	v_or_b32_e32 v2, 0x10000, v65
	s_delay_alu instid0(VALU_DEP_2) | instskip(NEXT) | instid1(VALU_DEP_2)
	v_cmp_eq_u32_e32 vcc_lo, 0, v1
	v_cndmask_b32_e32 v1, v2, v65, vcc_lo
; %bb.82:
	s_or_b32 exec_lo, exec_lo, s3
	v_and_b32_e32 v2, 0x7f800000, v66
	s_delay_alu instid0(VALU_DEP_1) | instskip(SKIP_1) | instid1(SALU_CYCLE_1)
	v_cmp_ne_u32_e32 vcc_lo, 0x7f800000, v2
                                        ; implicit-def: $vgpr2
	s_and_saveexec_b32 s3, vcc_lo
	s_xor_b32 s3, exec_lo, s3
; %bb.83:
	v_bfe_u32 v2, v66, 16, 1
	s_delay_alu instid0(VALU_DEP_1)
	v_add3_u32 v2, v66, v2, 0x7fff
; %bb.84:
	s_and_not1_saveexec_b32 s3, s3
; %bb.85:
	v_and_b32_e32 v2, 0xffff, v66
	v_or_b32_e32 v3, 0x10000, v66
	s_delay_alu instid0(VALU_DEP_2) | instskip(NEXT) | instid1(VALU_DEP_2)
	v_cmp_eq_u32_e32 vcc_lo, 0, v2
	v_cndmask_b32_e32 v2, v3, v66, vcc_lo
; %bb.86:
	s_or_b32 exec_lo, exec_lo, s3
	v_and_b32_e32 v3, 0x7f800000, v67
	s_delay_alu instid0(VALU_DEP_1) | instskip(SKIP_1) | instid1(SALU_CYCLE_1)
	v_cmp_ne_u32_e32 vcc_lo, 0x7f800000, v3
                                        ; implicit-def: $vgpr3
	s_and_saveexec_b32 s3, vcc_lo
	s_xor_b32 s3, exec_lo, s3
; %bb.87:
	v_bfe_u32 v3, v67, 16, 1
	s_delay_alu instid0(VALU_DEP_1)
	v_add3_u32 v3, v67, v3, 0x7fff
; %bb.88:
	s_and_not1_saveexec_b32 s3, s3
; %bb.89:
	v_and_b32_e32 v3, 0xffff, v67
	v_or_b32_e32 v4, 0x10000, v67
	s_delay_alu instid0(VALU_DEP_2) | instskip(NEXT) | instid1(VALU_DEP_2)
	v_cmp_eq_u32_e32 vcc_lo, 0, v3
	v_cndmask_b32_e32 v3, v4, v67, vcc_lo
; %bb.90:
	s_or_b32 exec_lo, exec_lo, s3
	v_and_b32_e32 v4, 0x7f800000, v68
	s_delay_alu instid0(VALU_DEP_1) | instskip(SKIP_1) | instid1(SALU_CYCLE_1)
	v_cmp_ne_u32_e32 vcc_lo, 0x7f800000, v4
                                        ; implicit-def: $vgpr4
	s_and_saveexec_b32 s3, vcc_lo
	s_xor_b32 s3, exec_lo, s3
; %bb.91:
	v_bfe_u32 v4, v68, 16, 1
	s_delay_alu instid0(VALU_DEP_1)
	v_add3_u32 v4, v68, v4, 0x7fff
; %bb.92:
	s_and_not1_saveexec_b32 s3, s3
; %bb.93:
	v_and_b32_e32 v4, 0xffff, v68
	v_or_b32_e32 v5, 0x10000, v68
	s_delay_alu instid0(VALU_DEP_2) | instskip(NEXT) | instid1(VALU_DEP_2)
	v_cmp_eq_u32_e32 vcc_lo, 0, v4
	v_cndmask_b32_e32 v4, v5, v68, vcc_lo
; %bb.94:
	s_or_b32 exec_lo, exec_lo, s3
	v_and_b32_e32 v5, 0x7f800000, v69
	s_delay_alu instid0(VALU_DEP_1) | instskip(SKIP_1) | instid1(SALU_CYCLE_1)
	v_cmp_ne_u32_e32 vcc_lo, 0x7f800000, v5
                                        ; implicit-def: $vgpr5
	s_and_saveexec_b32 s3, vcc_lo
	s_xor_b32 s3, exec_lo, s3
; %bb.95:
	v_bfe_u32 v5, v69, 16, 1
	s_delay_alu instid0(VALU_DEP_1)
	v_add3_u32 v5, v69, v5, 0x7fff
; %bb.96:
	s_and_not1_saveexec_b32 s3, s3
; %bb.97:
	v_and_b32_e32 v5, 0xffff, v69
	v_or_b32_e32 v6, 0x10000, v69
	s_delay_alu instid0(VALU_DEP_2) | instskip(NEXT) | instid1(VALU_DEP_2)
	v_cmp_eq_u32_e32 vcc_lo, 0, v5
	v_cndmask_b32_e32 v5, v6, v69, vcc_lo
; %bb.98:
	s_or_b32 exec_lo, exec_lo, s3
	v_and_b32_e32 v6, 0x7f800000, v70
	s_delay_alu instid0(VALU_DEP_1) | instskip(SKIP_1) | instid1(SALU_CYCLE_1)
	v_cmp_ne_u32_e32 vcc_lo, 0x7f800000, v6
                                        ; implicit-def: $vgpr6
	s_and_saveexec_b32 s3, vcc_lo
	s_xor_b32 s3, exec_lo, s3
; %bb.99:
	v_bfe_u32 v6, v70, 16, 1
	s_delay_alu instid0(VALU_DEP_1)
	v_add3_u32 v6, v70, v6, 0x7fff
; %bb.100:
	s_and_not1_saveexec_b32 s3, s3
; %bb.101:
	v_and_b32_e32 v6, 0xffff, v70
	v_or_b32_e32 v7, 0x10000, v70
	s_delay_alu instid0(VALU_DEP_2) | instskip(NEXT) | instid1(VALU_DEP_2)
	v_cmp_eq_u32_e32 vcc_lo, 0, v6
	v_cndmask_b32_e32 v6, v7, v70, vcc_lo
; %bb.102:
	s_or_b32 exec_lo, exec_lo, s3
	v_and_b32_e32 v7, 0x7f800000, v71
	s_delay_alu instid0(VALU_DEP_1) | instskip(SKIP_1) | instid1(SALU_CYCLE_1)
	v_cmp_ne_u32_e32 vcc_lo, 0x7f800000, v7
                                        ; implicit-def: $vgpr7
	s_and_saveexec_b32 s3, vcc_lo
	s_xor_b32 s3, exec_lo, s3
; %bb.103:
	v_bfe_u32 v7, v71, 16, 1
	s_delay_alu instid0(VALU_DEP_1)
	v_add3_u32 v7, v71, v7, 0x7fff
; %bb.104:
	s_and_not1_saveexec_b32 s3, s3
; %bb.105:
	v_and_b32_e32 v7, 0xffff, v71
	v_or_b32_e32 v8, 0x10000, v71
	s_delay_alu instid0(VALU_DEP_2) | instskip(NEXT) | instid1(VALU_DEP_2)
	v_cmp_eq_u32_e32 vcc_lo, 0, v7
	v_cndmask_b32_e32 v7, v8, v71, vcc_lo
; %bb.106:
	s_or_b32 exec_lo, exec_lo, s3
	v_and_b32_e32 v8, 0x7f800000, v72
	s_delay_alu instid0(VALU_DEP_1) | instskip(SKIP_1) | instid1(SALU_CYCLE_1)
	v_cmp_ne_u32_e32 vcc_lo, 0x7f800000, v8
                                        ; implicit-def: $vgpr8
	s_and_saveexec_b32 s3, vcc_lo
	s_xor_b32 s3, exec_lo, s3
; %bb.107:
	v_bfe_u32 v8, v72, 16, 1
	s_delay_alu instid0(VALU_DEP_1)
	v_add3_u32 v8, v72, v8, 0x7fff
                                        ; implicit-def: $vgpr65_vgpr66_vgpr67_vgpr68_vgpr69_vgpr70_vgpr71_vgpr72
; %bb.108:
	s_and_not1_saveexec_b32 s3, s3
; %bb.109:
	v_and_b32_e32 v8, 0xffff, v72
	v_or_b32_e32 v9, 0x10000, v72
	s_delay_alu instid0(VALU_DEP_2) | instskip(NEXT) | instid1(VALU_DEP_2)
	v_cmp_eq_u32_e32 vcc_lo, 0, v8
	v_cndmask_b32_e32 v8, v9, v72, vcc_lo
; %bb.110:
	s_or_b32 exec_lo, exec_lo, s3
	s_delay_alu instid0(VALU_DEP_1)
	v_perm_b32 v7, v8, v7, 0x7060302
	v_perm_b32 v6, v6, v5, 0x7060302
	;; [unrolled: 1-line block ×4, first 2 shown]
	s_barrier
	buffer_gl0_inv
	v_cmp_eq_u32_e32 vcc_lo, 1, v79
	ds_store_b128 v77, v[4:7]
	s_waitcnt lgkmcnt(0)
	s_barrier
	buffer_gl0_inv
	ds_load_b128 v[1:4], v82
	ds_load_b128 v[5:8], v82 offset:16
	v_cmp_eq_u32_e64 s3, 1, v80
	v_cmp_eq_u32_e64 s4, 2, v79
	;; [unrolled: 1-line block ×5, first 2 shown]
	s_waitcnt lgkmcnt(1)
	v_lshrrev_b32_e32 v9, 16, v1
	s_waitcnt lgkmcnt(0)
	v_lshrrev_b32_e32 v13, 16, v5
	v_lshrrev_b32_e32 v10, 16, v2
	;; [unrolled: 1-line block ×4, first 2 shown]
	v_cndmask_b32_e64 v19, v1, v9, s3
	v_cndmask_b32_e32 v18, v5, v13, vcc_lo
	v_cndmask_b32_e64 v20, v5, v13, s3
	v_cndmask_b32_e32 v17, v1, v9, vcc_lo
	v_cmp_eq_u32_e32 vcc_lo, 2, v80
	v_lshrrev_b32_e32 v15, 16, v7
	v_cmp_eq_u32_e64 s3, 1, v78
	v_lshrrev_b32_e32 v12, 16, v4
	v_lshrrev_b32_e32 v16, 16, v8
	v_cndmask_b32_e32 v20, v20, v6, vcc_lo
	v_cndmask_b32_e64 v17, v17, v2, s4
	v_cndmask_b32_e32 v19, v19, v2, vcc_lo
	v_cndmask_b32_e64 v18, v18, v6, s4
	v_cmp_eq_u32_e32 vcc_lo, 4, v79
	v_cmp_eq_u32_e64 s4, 3, v80
	v_cndmask_b32_e64 v17, v17, v10, s5
	v_cndmask_b32_e64 v21, v1, v9, s3
	;; [unrolled: 1-line block ×5, first 2 shown]
	v_cndmask_b32_e32 v17, v17, v3, vcc_lo
	v_cndmask_b32_e64 v20, v20, v14, s4
	v_cndmask_b32_e32 v18, v18, v7, vcc_lo
	v_cmp_eq_u32_e32 vcc_lo, 4, v80
	v_cmp_eq_u32_e64 s4, 5, v80
	v_cmp_eq_u32_e64 s3, 2, v81
	v_cndmask_b32_e64 v21, v21, v2, s7
	v_cmp_eq_u32_e64 s5, 5, v79
	v_cndmask_b32_e32 v19, v19, v3, vcc_lo
	v_cndmask_b32_e32 v20, v20, v7, vcc_lo
	v_cmp_eq_u32_e32 vcc_lo, 6, v80
	s_delay_alu instid0(VALU_DEP_4) | instskip(NEXT) | instid1(VALU_DEP_4)
	v_cndmask_b32_e64 v17, v17, v11, s5
	v_cndmask_b32_e64 v19, v19, v11, s4
	s_delay_alu instid0(VALU_DEP_4) | instskip(SKIP_1) | instid1(VALU_DEP_3)
	v_cndmask_b32_e64 v20, v20, v15, s4
	v_cmp_eq_u32_e64 s4, 1, v81
	v_cndmask_b32_e32 v19, v19, v4, vcc_lo
	v_cndmask_b32_e64 v18, v18, v15, s5
	s_delay_alu instid0(VALU_DEP_3)
	v_cndmask_b32_e64 v1, v1, v9, s4
	v_cndmask_b32_e64 v5, v5, v13, s4
	v_cmp_eq_u32_e64 s4, 3, v78
	v_cndmask_b32_e64 v13, v22, v6, s7
	v_cmp_eq_u32_e64 s7, 3, v81
	v_cndmask_b32_e64 v1, v1, v2, s3
	v_cndmask_b32_e64 v2, v5, v6, s3
	;; [unrolled: 1-line block ×3, first 2 shown]
	v_cmp_eq_u32_e64 s3, 4, v78
	v_cndmask_b32_e64 v6, v13, v14, s4
	v_cndmask_b32_e64 v1, v1, v10, s7
	v_cmp_eq_u32_e64 s4, 4, v81
	v_cndmask_b32_e64 v2, v2, v14, s7
	v_cndmask_b32_e64 v5, v9, v3, s3
	;; [unrolled: 3-line block ×3, first 2 shown]
	v_cndmask_b32_e64 v2, v2, v7, s4
	v_cmp_eq_u32_e64 s3, 5, v81
	v_cmp_eq_u32_e64 s5, 6, v79
	v_cndmask_b32_e64 v5, v5, v11, s7
	v_cmp_eq_u32_e64 s4, 6, v78
	v_cndmask_b32_e64 v3, v6, v15, s7
	v_cndmask_b32_e64 v1, v1, v11, s3
	v_cmp_eq_u32_e64 s7, 6, v81
	v_cndmask_b32_e64 v2, v2, v15, s3
	v_cndmask_b32_e64 v17, v17, v4, s5
	v_cndmask_b32_e64 v18, v18, v8, s5
	v_cmp_eq_u32_e64 s5, 7, v79
	v_cndmask_b32_e64 v5, v5, v4, s4
	;; [unrolled: 4-line block ×3, first 2 shown]
	v_cmp_eq_u32_e64 s4, 7, v78
	v_cndmask_b32_e32 v4, v20, v8, vcc_lo
	v_cndmask_b32_e64 v17, v17, v12, s5
	v_cndmask_b32_e64 v19, v19, v12, s6
	;; [unrolled: 1-line block ×8, first 2 shown]
	v_cmp_gt_u32_e32 vcc_lo, 32, v0
	v_perm_b32 v4, v2, v1, 0x5040100
	v_perm_b32 v3, v3, v5, 0x5040100
	;; [unrolled: 1-line block ×4, first 2 shown]
	s_and_b32 s2, vcc_lo, s2
	ds_store_b128 v77, v[1:4]
	s_waitcnt lgkmcnt(0)
	s_barrier
	buffer_gl0_inv
	s_and_saveexec_b32 s3, s2
	s_cbranch_execz .LBB1381_2
; %bb.111:
	s_load_b64 s[0:1], s[0:1], 0x68
	v_lshlrev_b32_e32 v0, 10, v0
	s_lshl_b32 s4, s34, 6
	v_or_b32_e32 v23, s31, v74
	s_mul_i32 s2, s4, s30
	v_lshlrev_b32_e32 v1, 4, v75
	v_lshlrev_b32_e32 v2, 6, v74
	s_mul_i32 s2, s2, s8
	v_and_b32_e32 v0, 0x3800, v0
	v_mul_lo_u32 v8, v23, s4
	s_ashr_i32 s3, s2, 31
	v_or_b32_e32 v3, 2, v23
	s_lshl_b64 s[2:3], s[2:3], 1
	v_or3_b32 v27, v0, v1, v2
	v_or_b32_e32 v11, 4, v23
	v_or_b32_e32 v18, 6, v23
	v_mul_lo_u32 v10, v3, s4
	v_ashrrev_i32_e32 v9, 31, v8
	ds_load_b128 v[0:3], v27
	ds_load_b128 v[4:7], v27 offset:128
	v_mul_lo_u32 v12, v11, s4
	s_waitcnt lgkmcnt(0)
	s_add_u32 s2, s0, s2
	s_addc_u32 s3, s1, s3
	s_lshl_b32 s0, s14, 6
	v_lshlrev_b64 v[8:9], 1, v[8:9]
	s_ashr_i32 s1, s0, 31
	v_ashrrev_i32_e32 v11, 31, v10
	s_lshl_b64 s[0:1], s[0:1], 1
	v_ashrrev_i32_e32 v13, 31, v12
	s_add_u32 s0, s2, s0
	s_addc_u32 s1, s3, s1
	v_add_co_u32 v30, s0, s0, v73
	s_delay_alu instid0(VALU_DEP_1) | instskip(SKIP_1) | instid1(VALU_DEP_3)
	v_add_co_ci_u32_e64 v31, null, s1, 0, s0
	v_lshlrev_b64 v[16:17], 1, v[10:11]
	v_add_co_u32 v14, vcc_lo, v30, v8
	s_delay_alu instid0(VALU_DEP_3)
	v_add_co_ci_u32_e32 v15, vcc_lo, v31, v9, vcc_lo
	ds_load_b128 v[8:11], v27 offset:256
	v_mul_lo_u32 v18, v18, s4
	v_or_b32_e32 v19, 8, v23
	v_add_co_u32 v16, vcc_lo, v30, v16
	global_store_b128 v[14:15], v[0:3], off
	v_lshlrev_b64 v[0:1], 1, v[12:13]
	v_add_co_ci_u32_e32 v17, vcc_lo, v31, v17, vcc_lo
	v_mul_lo_u32 v12, v19, s4
	v_ashrrev_i32_e32 v19, 31, v18
	v_or_b32_e32 v14, 10, v23
	global_store_b128 v[16:17], v[4:7], off
	v_add_co_u32 v4, vcc_lo, v30, v0
	v_add_co_ci_u32_e32 v5, vcc_lo, v31, v1, vcc_lo
	ds_load_b128 v[0:3], v27 offset:384
	v_ashrrev_i32_e32 v13, 31, v12
	v_lshlrev_b64 v[6:7], 1, v[18:19]
	v_mul_lo_u32 v14, v14, s4
	s_waitcnt lgkmcnt(1)
	global_store_b128 v[4:5], v[8:11], off
	v_or_b32_e32 v8, 12, v23
	v_lshlrev_b64 v[4:5], 1, v[12:13]
	v_add_co_u32 v20, vcc_lo, v30, v6
	v_or_b32_e32 v6, 14, v23
	v_ashrrev_i32_e32 v15, 31, v14
	v_mul_lo_u32 v22, v8, s4
	v_add_co_ci_u32_e32 v21, vcc_lo, v31, v7, vcc_lo
	v_add_co_u32 v24, vcc_lo, v30, v4
	v_mul_lo_u32 v26, v6, s4
	v_add_co_ci_u32_e32 v25, vcc_lo, v31, v5, vcc_lo
	v_lshlrev_b64 v[28:29], 1, v[14:15]
	ds_load_b128 v[4:7], v27 offset:512
	ds_load_b128 v[8:11], v27 offset:640
	ds_load_b128 v[12:15], v27 offset:768
	ds_load_b128 v[16:19], v27 offset:896
	v_ashrrev_i32_e32 v23, 31, v22
	v_ashrrev_i32_e32 v27, 31, v26
	v_add_co_u32 v28, vcc_lo, v30, v28
	s_delay_alu instid0(VALU_DEP_3) | instskip(SKIP_1) | instid1(VALU_DEP_4)
	v_lshlrev_b64 v[22:23], 1, v[22:23]
	v_add_co_ci_u32_e32 v29, vcc_lo, v31, v29, vcc_lo
	v_lshlrev_b64 v[26:27], 1, v[26:27]
	s_delay_alu instid0(VALU_DEP_3) | instskip(NEXT) | instid1(VALU_DEP_4)
	v_add_co_u32 v22, vcc_lo, v30, v22
	v_add_co_ci_u32_e32 v23, vcc_lo, v31, v23, vcc_lo
	s_delay_alu instid0(VALU_DEP_3) | instskip(NEXT) | instid1(VALU_DEP_4)
	v_add_co_u32 v26, vcc_lo, v30, v26
	v_add_co_ci_u32_e32 v27, vcc_lo, v31, v27, vcc_lo
	s_waitcnt lgkmcnt(4)
	global_store_b128 v[20:21], v[0:3], off
	s_waitcnt lgkmcnt(3)
	global_store_b128 v[24:25], v[4:7], off
	;; [unrolled: 2-line block ×5, first 2 shown]
	s_nop 0
	s_sendmsg sendmsg(MSG_DEALLOC_VGPRS)
	s_endpgm
	.section	.rodata,"a",@progbits
	.p2align	6, 0x0
	.amdhsa_kernel _Z39paged_attention_ll4mi_QKV_mfma16_kernelI14__hip_bfloat16hLN4vllm18Fp8KVCacheDataTypeE1EhLi16ELi64ELi256ELb0ELi16EL8MFMAType1EEvPKT_PKT0_S9_ifPKiSB_SB_iPKfiiiPfSE_PS4_PT2_iSD_SD_
		.amdhsa_group_segment_fixed_size 17472
		.amdhsa_private_segment_fixed_size 0
		.amdhsa_kernarg_size 400
		.amdhsa_user_sgpr_count 13
		.amdhsa_user_sgpr_dispatch_ptr 0
		.amdhsa_user_sgpr_queue_ptr 0
		.amdhsa_user_sgpr_kernarg_segment_ptr 1
		.amdhsa_user_sgpr_dispatch_id 0
		.amdhsa_user_sgpr_private_segment_size 0
		.amdhsa_wavefront_size32 1
		.amdhsa_uses_dynamic_stack 0
		.amdhsa_enable_private_segment 0
		.amdhsa_system_sgpr_workgroup_id_x 1
		.amdhsa_system_sgpr_workgroup_id_y 1
		.amdhsa_system_sgpr_workgroup_id_z 1
		.amdhsa_system_sgpr_workgroup_info 0
		.amdhsa_system_vgpr_workitem_id 0
		.amdhsa_next_free_vgpr 125
		.amdhsa_next_free_sgpr 38
		.amdhsa_reserve_vcc 1
		.amdhsa_float_round_mode_32 0
		.amdhsa_float_round_mode_16_64 0
		.amdhsa_float_denorm_mode_32 3
		.amdhsa_float_denorm_mode_16_64 3
		.amdhsa_dx10_clamp 1
		.amdhsa_ieee_mode 1
		.amdhsa_fp16_overflow 0
		.amdhsa_workgroup_processor_mode 1
		.amdhsa_memory_ordered 1
		.amdhsa_forward_progress 0
		.amdhsa_shared_vgpr_count 0
		.amdhsa_exception_fp_ieee_invalid_op 0
		.amdhsa_exception_fp_denorm_src 0
		.amdhsa_exception_fp_ieee_div_zero 0
		.amdhsa_exception_fp_ieee_overflow 0
		.amdhsa_exception_fp_ieee_underflow 0
		.amdhsa_exception_fp_ieee_inexact 0
		.amdhsa_exception_int_div_zero 0
	.end_amdhsa_kernel
	.section	.text._Z39paged_attention_ll4mi_QKV_mfma16_kernelI14__hip_bfloat16hLN4vllm18Fp8KVCacheDataTypeE1EhLi16ELi64ELi256ELb0ELi16EL8MFMAType1EEvPKT_PKT0_S9_ifPKiSB_SB_iPKfiiiPfSE_PS4_PT2_iSD_SD_,"axG",@progbits,_Z39paged_attention_ll4mi_QKV_mfma16_kernelI14__hip_bfloat16hLN4vllm18Fp8KVCacheDataTypeE1EhLi16ELi64ELi256ELb0ELi16EL8MFMAType1EEvPKT_PKT0_S9_ifPKiSB_SB_iPKfiiiPfSE_PS4_PT2_iSD_SD_,comdat
.Lfunc_end1381:
	.size	_Z39paged_attention_ll4mi_QKV_mfma16_kernelI14__hip_bfloat16hLN4vllm18Fp8KVCacheDataTypeE1EhLi16ELi64ELi256ELb0ELi16EL8MFMAType1EEvPKT_PKT0_S9_ifPKiSB_SB_iPKfiiiPfSE_PS4_PT2_iSD_SD_, .Lfunc_end1381-_Z39paged_attention_ll4mi_QKV_mfma16_kernelI14__hip_bfloat16hLN4vllm18Fp8KVCacheDataTypeE1EhLi16ELi64ELi256ELb0ELi16EL8MFMAType1EEvPKT_PKT0_S9_ifPKiSB_SB_iPKfiiiPfSE_PS4_PT2_iSD_SD_
                                        ; -- End function
	.section	.AMDGPU.csdata,"",@progbits
; Kernel info:
; codeLenInByte = 8912
; NumSgprs: 40
; NumVgprs: 125
; ScratchSize: 0
; MemoryBound: 0
; FloatMode: 240
; IeeeMode: 1
; LDSByteSize: 17472 bytes/workgroup (compile time only)
; SGPRBlocks: 4
; VGPRBlocks: 15
; NumSGPRsForWavesPerEU: 40
; NumVGPRsForWavesPerEU: 125
; Occupancy: 10
; WaveLimiterHint : 1
; COMPUTE_PGM_RSRC2:SCRATCH_EN: 0
; COMPUTE_PGM_RSRC2:USER_SGPR: 13
; COMPUTE_PGM_RSRC2:TRAP_HANDLER: 0
; COMPUTE_PGM_RSRC2:TGID_X_EN: 1
; COMPUTE_PGM_RSRC2:TGID_Y_EN: 1
; COMPUTE_PGM_RSRC2:TGID_Z_EN: 1
; COMPUTE_PGM_RSRC2:TIDIG_COMP_CNT: 0
	.section	.text._Z39paged_attention_ll4mi_QKV_mfma16_kernelI14__hip_bfloat16hLN4vllm18Fp8KVCacheDataTypeE1EhLi16ELi64ELi256ELb0ELi1EL8MFMAType1EEvPKT_PKT0_S9_ifPKiSB_SB_iPKfiiiPfSE_PS4_PT2_iSD_SD_,"axG",@progbits,_Z39paged_attention_ll4mi_QKV_mfma16_kernelI14__hip_bfloat16hLN4vllm18Fp8KVCacheDataTypeE1EhLi16ELi64ELi256ELb0ELi1EL8MFMAType1EEvPKT_PKT0_S9_ifPKiSB_SB_iPKfiiiPfSE_PS4_PT2_iSD_SD_,comdat
	.protected	_Z39paged_attention_ll4mi_QKV_mfma16_kernelI14__hip_bfloat16hLN4vllm18Fp8KVCacheDataTypeE1EhLi16ELi64ELi256ELb0ELi1EL8MFMAType1EEvPKT_PKT0_S9_ifPKiSB_SB_iPKfiiiPfSE_PS4_PT2_iSD_SD_ ; -- Begin function _Z39paged_attention_ll4mi_QKV_mfma16_kernelI14__hip_bfloat16hLN4vllm18Fp8KVCacheDataTypeE1EhLi16ELi64ELi256ELb0ELi1EL8MFMAType1EEvPKT_PKT0_S9_ifPKiSB_SB_iPKfiiiPfSE_PS4_PT2_iSD_SD_
	.globl	_Z39paged_attention_ll4mi_QKV_mfma16_kernelI14__hip_bfloat16hLN4vllm18Fp8KVCacheDataTypeE1EhLi16ELi64ELi256ELb0ELi1EL8MFMAType1EEvPKT_PKT0_S9_ifPKiSB_SB_iPKfiiiPfSE_PS4_PT2_iSD_SD_
	.p2align	8
	.type	_Z39paged_attention_ll4mi_QKV_mfma16_kernelI14__hip_bfloat16hLN4vllm18Fp8KVCacheDataTypeE1EhLi16ELi64ELi256ELb0ELi1EL8MFMAType1EEvPKT_PKT0_S9_ifPKiSB_SB_iPKfiiiPfSE_PS4_PT2_iSD_SD_,@function
_Z39paged_attention_ll4mi_QKV_mfma16_kernelI14__hip_bfloat16hLN4vllm18Fp8KVCacheDataTypeE1EhLi16ELi64ELi256ELb0ELi1EL8MFMAType1EEvPKT_PKT0_S9_ifPKiSB_SB_iPKfiiiPfSE_PS4_PT2_iSD_SD_: ; @_Z39paged_attention_ll4mi_QKV_mfma16_kernelI14__hip_bfloat16hLN4vllm18Fp8KVCacheDataTypeE1EhLi16ELi64ELi256ELb0ELi1EL8MFMAType1EEvPKT_PKT0_S9_ifPKiSB_SB_iPKfiiiPfSE_PS4_PT2_iSD_SD_
; %bb.0:
	s_load_b64 s[4:5], s[0:1], 0x30
	s_mov_b32 s34, s13
	s_waitcnt lgkmcnt(0)
	s_cmp_lg_u64 s[4:5], 0
	s_cselect_b32 s6, -1, 0
	s_ashr_i32 s35, s13, 31
	s_cmp_eq_u64 s[4:5], 0
	s_cbranch_scc1 .LBB1382_3
; %bb.1:
	s_lshl_b64 s[2:3], s[34:35], 2
	s_delay_alu instid0(SALU_CYCLE_1) | instskip(SKIP_4) | instid1(SALU_CYCLE_1)
	s_add_u32 s2, s4, s2
	s_addc_u32 s3, s5, s3
	s_load_b64 s[2:3], s[2:3], 0x0
	s_waitcnt lgkmcnt(0)
	s_sub_i32 s2, s3, s2
	s_cmp_eq_u32 s2, 1
	s_cselect_b32 s2, -1, 0
	s_delay_alu instid0(SALU_CYCLE_1)
	s_and_not1_b32 vcc_lo, exec_lo, s2
	s_cbranch_vccz .LBB1382_4
.LBB1382_2:
	s_endpgm
.LBB1382_3:
.LBB1382_4:
	s_load_b64 s[2:3], s[0:1], 0x28
	s_lshl_b64 s[8:9], s[34:35], 2
	s_waitcnt lgkmcnt(0)
	s_add_u32 s2, s2, s8
	s_addc_u32 s3, s3, s9
	s_lshl_b32 s12, s14, 8
	s_load_b32 s33, s[2:3], 0x0
	s_waitcnt lgkmcnt(0)
	s_cmp_ge_i32 s12, s33
	s_cbranch_scc1 .LBB1382_2
; %bb.5:
	s_clause 0x1
	s_load_b128 s[28:31], s[0:1], 0x8
	s_load_b64 s[2:3], s[0:1], 0x20
	s_and_not1_b32 vcc_lo, exec_lo, s6
	s_mov_b64 s[6:7], s[34:35]
	s_cbranch_vccnz .LBB1382_7
; %bb.6:
	s_add_u32 s4, s4, s8
	s_addc_u32 s5, s5, s9
	s_load_b32 s6, s[4:5], 0x0
.LBB1382_7:
	s_load_b128 s[24:27], s[0:1], 0x48
	v_and_b32_e32 v73, 15, v0
	s_mov_b32 s13, exec_lo
                                        ; implicit-def: $sgpr16
                                        ; implicit-def: $sgpr4
	s_delay_alu instid0(VALU_DEP_1)
	v_cmpx_eq_u32_e32 0, v73
	s_cbranch_execz .LBB1382_9
; %bb.8:
	s_load_b64 s[4:5], s[0:1], 0x0
	s_waitcnt lgkmcnt(0)
	s_mul_hi_i32 s7, s6, s24
	s_mul_i32 s6, s6, s24
	s_delay_alu instid0(SALU_CYCLE_1) | instskip(NEXT) | instid1(SALU_CYCLE_1)
	s_lshl_b64 s[6:7], s[6:7], 1
	s_add_u32 s6, s4, s6
	s_addc_u32 s7, s5, s7
	s_lshl_b32 s4, s15, 6
	s_delay_alu instid0(SALU_CYCLE_1) | instskip(NEXT) | instid1(SALU_CYCLE_1)
	s_ashr_i32 s5, s4, 31
	s_lshl_b64 s[4:5], s[4:5], 1
	s_delay_alu instid0(SALU_CYCLE_1)
	s_add_u32 s4, s6, s4
	s_addc_u32 s5, s7, s5
	s_clause 0x1
	s_load_b256 s[16:23], s[4:5], 0x0
	s_load_b256 s[4:11], s[4:5], 0x40
.LBB1382_9:
	s_or_b32 exec_lo, exec_lo, s13
	s_waitcnt lgkmcnt(0)
	v_dual_mov_b32 v114, s23 :: v_dual_and_b32 v1, 0xef, v0
	s_add_i32 s13, s33, 15
	s_load_b32 s27, s[0:1], 0x38
	s_ashr_i32 s24, s13, 31
	s_delay_alu instid0(VALU_DEP_1) | instskip(SKIP_3) | instid1(VALU_DEP_2)
	v_dual_mov_b32 v112, s21 :: v_dual_add_nc_u32 v1, s12, v1
	s_lshr_b32 s24, s24, 28
	v_lshrrev_b32_e32 v65, 5, v0
	s_add_i32 s13, s13, s24
	v_ashrrev_i32_e32 v2, 31, v1
	v_or_b32_e32 v3, 16, v1
	s_ashr_i32 s13, s13, 4
	v_cmp_gt_i32_e32 vcc_lo, s33, v1
	s_add_i32 s13, s13, -1
	v_lshrrev_b32_e32 v2, 28, v2
	s_load_b32 s24, s[0:1], 0x1c
	v_mbcnt_lo_u32_b32 v67, -1, 0
	v_dual_mov_b32 v113, s22 :: v_dual_lshlrev_b32 v74, 4, v73
	s_delay_alu instid0(VALU_DEP_3) | instskip(SKIP_1) | instid1(VALU_DEP_4)
	v_add_nc_u32_e32 v4, v1, v2
	v_mov_b32_e32 v110, s19
	v_xor_b32_e32 v68, 16, v67
	s_waitcnt lgkmcnt(0)
	s_mul_i32 s36, s34, s27
	v_mov_b32_e32 v108, s17
	v_ashrrev_i32_e32 v4, 4, v4
	v_add_nc_u32_e32 v2, v3, v2
	s_ashr_i32 s37, s36, 31
	v_and_b32_e32 v66, 0xe0, v0
	s_lshl_b64 s[36:37], s[36:37], 2
	v_cndmask_b32_e32 v1, s13, v4, vcc_lo
	v_ashrrev_i32_e32 v2, 4, v2
	v_cmp_gt_i32_e32 vcc_lo, s33, v3
	s_add_u32 s36, s2, s36
	s_addc_u32 s35, s3, s37
	s_mul_i32 s37, s15, s26
	v_add_nc_u32_e32 v66, s12, v66
	v_cndmask_b32_e32 v3, s13, v2, vcc_lo
	v_ashrrev_i32_e32 v2, 31, v1
	s_ashr_i32 s38, s37, 31
	s_add_u32 s39, s28, s37
	s_addc_u32 s46, s29, s38
	v_ashrrev_i32_e32 v4, 31, v3
	v_lshlrev_b64 v[1:2], 2, v[1:2]
	s_lshl_b32 s2, s14, 4
	s_delay_alu instid0(SALU_CYCLE_1) | instskip(NEXT) | instid1(VALU_DEP_2)
	s_ashr_i32 s3, s2, 31
	v_lshlrev_b64 v[3:4], 2, v[3:4]
	s_lshl_b64 s[2:3], s[2:3], 2
	s_delay_alu instid0(VALU_DEP_2) | instskip(SKIP_1) | instid1(VALU_DEP_3)
	v_add_co_u32 v1, vcc_lo, s36, v1
	v_add_co_ci_u32_e32 v2, vcc_lo, s35, v2, vcc_lo
	v_add_co_u32 v3, vcc_lo, s36, v3
	s_delay_alu instid0(VALU_DEP_4)
	v_add_co_ci_u32_e32 v4, vcc_lo, s35, v4, vcc_lo
	s_clause 0x1
	global_load_b32 v5, v[1:2], off
	global_load_b32 v7, v[3:4], off
	s_add_u32 s2, s36, s2
	s_addc_u32 s3, s35, s3
	s_or_b32 s26, s12, 32
	v_lshlrev_b32_e32 v1, 4, v0
	s_ashr_i32 s27, s26, 4
	s_cmp_lt_i32 s26, s33
	v_cmp_gt_i32_e32 vcc_lo, 32, v68
	s_cselect_b32 s26, s27, s13
	v_and_b32_e32 v1, 0xf0, v1
	s_ashr_i32 s27, s26, 31
	s_delay_alu instid0(SALU_CYCLE_1) | instskip(NEXT) | instid1(SALU_CYCLE_1)
	s_lshl_b64 s[26:27], s[26:27], 2
	s_add_u32 s26, s36, s26
	s_addc_u32 s27, s35, s27
	s_or_b32 s28, s12, 64
	v_add_co_u32 v1, s39, s39, v1
	s_ashr_i32 s29, s28, 4
	s_cmp_lt_i32 s28, s33
	v_add_co_ci_u32_e64 v2, null, s46, 0, s39
	s_cselect_b32 s28, s29, s13
	s_delay_alu instid0(SALU_CYCLE_1) | instskip(NEXT) | instid1(SALU_CYCLE_1)
	s_ashr_i32 s29, s28, 31
	s_lshl_b64 s[28:29], s[28:29], 2
	s_delay_alu instid0(SALU_CYCLE_1) | instskip(SKIP_2) | instid1(SALU_CYCLE_1)
	s_add_u32 s40, s36, s28
	s_addc_u32 s41, s35, s29
	s_or_b32 s28, s12, 0x60
	s_ashr_i32 s29, s28, 4
	s_cmp_lt_i32 s28, s33
	s_cselect_b32 s28, s29, s13
	s_delay_alu instid0(SALU_CYCLE_1) | instskip(NEXT) | instid1(SALU_CYCLE_1)
	s_ashr_i32 s29, s28, 31
	s_lshl_b64 s[28:29], s[28:29], 2
	s_delay_alu instid0(SALU_CYCLE_1) | instskip(SKIP_2) | instid1(SALU_CYCLE_1)
	s_add_u32 s42, s36, s28
	s_addc_u32 s43, s35, s29
	s_or_b32 s28, s12, 0x80
	s_ashr_i32 s29, s28, 4
	s_cmp_lt_i32 s28, s33
	;; [unrolled: 10-line block ×3, first 2 shown]
	s_cselect_b32 s28, s29, s13
	s_delay_alu instid0(SALU_CYCLE_1) | instskip(NEXT) | instid1(SALU_CYCLE_1)
	s_ashr_i32 s29, s28, 31
	s_lshl_b64 s[28:29], s[28:29], 2
	s_delay_alu instid0(SALU_CYCLE_1)
	s_add_u32 s46, s36, s28
	s_addc_u32 s47, s35, s29
	s_clause 0x5
	s_load_b32 s29, s[2:3], 0x0
	s_load_b32 s2, s[26:27], 0x0
	;; [unrolled: 1-line block ×6, first 2 shown]
	s_or_b32 s39, s12, 0xc0
	s_delay_alu instid0(SALU_CYCLE_1) | instskip(SKIP_2) | instid1(SALU_CYCLE_1)
	s_ashr_i32 s40, s39, 4
	s_cmp_lt_i32 s39, s33
	s_cselect_b32 s40, s40, s13
	s_ashr_i32 s41, s40, 31
	s_delay_alu instid0(SALU_CYCLE_1) | instskip(NEXT) | instid1(SALU_CYCLE_1)
	s_lshl_b64 s[40:41], s[40:41], 2
	s_add_u32 s40, s36, s40
	s_addc_u32 s41, s35, s41
	s_or_b32 s39, s12, 0xe0
	s_delay_alu instid0(SALU_CYCLE_1) | instskip(SKIP_2) | instid1(SALU_CYCLE_1)
	s_ashr_i32 s42, s39, 4
	s_cmp_lt_i32 s39, s33
	s_cselect_b32 s42, s42, s13
	s_ashr_i32 s43, s42, 31
	s_delay_alu instid0(SALU_CYCLE_1)
	s_lshl_b64 s[42:43], s[42:43], 2
	s_waitcnt vmcnt(1)
	v_mad_i64_i32 v[3:4], null, v5, s25, v[1:2]
	s_waitcnt vmcnt(0)
	v_mad_i64_i32 v[5:6], null, v7, s25, v[1:2]
	s_clause 0x7
	global_load_b128 v[75:78], v[3:4], off
	global_load_b128 v[79:82], v[3:4], off offset:256
	global_load_b128 v[83:86], v[5:6], off
	global_load_b128 v[87:90], v[5:6], off offset:256
	global_load_b128 v[91:94], v[3:4], off offset:512
	;; [unrolled: 1-line block ×5, first 2 shown]
	v_lshl_or_b32 v1, v65, 8, v74
	s_load_b32 s13, s[40:41], 0x0
	s_add_u32 s40, s36, s42
	s_addc_u32 s41, s35, s43
	s_add_u32 s30, s30, s37
	s_addc_u32 s31, s31, s38
	v_add_co_u32 v1, s30, s30, v1
	s_delay_alu instid0(VALU_DEP_1) | instskip(SKIP_3) | instid1(VALU_DEP_1)
	v_add_co_ci_u32_e64 v2, null, s31, 0, s30
	s_load_b32 s30, s[40:41], 0x0
	s_mov_b32 s36, 0
	s_waitcnt lgkmcnt(0)
	v_mad_i64_i32 v[3:4], null, s29, s25, v[1:2]
	v_mad_i64_i32 v[9:10], null, s26, s25, v[1:2]
	;; [unrolled: 1-line block ×7, first 2 shown]
	s_clause 0x5
	global_load_b128 v[49:52], v[3:4], off
	global_load_b128 v[53:56], v[3:4], off offset:16
	global_load_b128 v[41:44], v[5:6], off
	global_load_b128 v[45:48], v[5:6], off offset:16
	;; [unrolled: 2-line block ×3, first 2 shown]
	s_mov_b32 s43, s36
	s_mov_b32 s37, s36
	v_mad_i64_i32 v[61:62], null, s30, s25, v[1:2]
	s_clause 0x9
	global_load_b128 v[25:28], v[9:10], off
	global_load_b128 v[29:32], v[9:10], off offset:16
	global_load_b128 v[1:4], v[11:12], off
	global_load_b128 v[5:8], v[11:12], off offset:16
	;; [unrolled: 2-line block ×5, first 2 shown]
	s_mov_b32 s38, s36
	s_mov_b32 s39, s36
	;; [unrolled: 1-line block ×5, first 2 shown]
	v_dual_mov_b32 v111, s20 :: v_dual_mov_b32 v122, s43
	v_dual_mov_b32 v109, s18 :: v_dual_mov_b32 v120, s41
	;; [unrolled: 1-line block ×4, first 2 shown]
	v_mov_b32_e32 v119, s40
	v_mov_b32_e32 v117, s38
	;; [unrolled: 1-line block ×3, first 2 shown]
	s_waitcnt vmcnt(0)
	s_barrier
	buffer_gl0_inv
	v_wmma_f32_16x16x16_bf16 v[123:130], v[75:82], v[107:114], v[115:122]
	v_bfe_u32 v75, v0, 4, 1
	v_wmma_f32_16x16x16_bf16 v[115:122], v[83:90], v[107:114], v[115:122]
	v_dual_mov_b32 v83, s11 :: v_dual_mov_b32 v80, s8
	v_mov_b32_e32 v82, s10
	s_delay_alu instid0(VALU_DEP_4) | instskip(SKIP_3) | instid1(VALU_DEP_4)
	v_or_b32_e32 v66, v66, v75
	v_dual_mov_b32 v81, s9 :: v_dual_mov_b32 v78, s6
	v_dual_mov_b32 v79, s7 :: v_dual_mov_b32 v76, s4
	v_mov_b32_e32 v77, s5
	v_or_b32_e32 v69, 4, v66
	v_or_b32_e32 v70, 6, v66
	;; [unrolled: 1-line block ×3, first 2 shown]
	v_cmp_gt_i32_e64 s2, s33, v66
	v_wmma_f32_16x16x16_bf16 v[123:130], v[91:98], v[76:83], v[123:130]
	v_cndmask_b32_e32 v67, v67, v68, vcc_lo
	v_or_b32_e32 v68, 2, v66
	v_wmma_f32_16x16x16_bf16 v[115:122], v[99:106], v[76:83], v[115:122]
	v_or_b32_e32 v72, 10, v66
	v_dual_mul_f32 v82, s24, v126 :: v_dual_mul_f32 v81, s24, v127
	v_dual_mul_f32 v92, s24, v124 :: v_dual_mul_f32 v93, s24, v123
	s_delay_alu instid0(VALU_DEP_4) | instskip(SKIP_2) | instid1(VALU_DEP_4)
	v_mul_f32_e32 v96, s24, v120
	v_cmp_gt_i32_e32 vcc_lo, s33, v68
	v_dual_mul_f32 v83, s24, v125 :: v_dual_mul_f32 v94, s24, v122
	v_cndmask_b32_e64 v93, 0xff7fffff, v93, s2
	v_cmp_gt_i32_e64 s3, s33, v69
	v_cndmask_b32_e32 v92, 0xff7fffff, v92, vcc_lo
	v_cmp_gt_i32_e64 s4, s33, v70
	v_cmp_gt_i32_e64 s5, s33, v71
	v_or_b32_e32 v84, 12, v66
	v_or_b32_e32 v85, 14, v66
	v_dual_mul_f32 v79, s24, v129 :: v_dual_mul_f32 v80, s24, v128
	v_cndmask_b32_e64 v69, 0xff7fffff, v83, s3
	v_cndmask_b32_e64 v70, 0xff7fffff, v82, s4
	;; [unrolled: 1-line block ×3, first 2 shown]
	v_cmp_gt_i32_e64 s6, s33, v72
	v_lshlrev_b32_e32 v81, 2, v67
	v_max3_f32 v82, v93, 0xff7fffff, v92
	v_or_b32_e32 v86, 16, v66
	v_or_b32_e32 v87, 18, v66
	v_mul_f32_e32 v78, s24, v130
	v_cndmask_b32_e64 v72, 0xff7fffff, v80, s6
	v_max3_f32 v69, v82, v69, v70
	v_cmp_gt_i32_e64 s7, s33, v84
	v_cmp_gt_i32_e64 s8, s33, v85
	v_or_b32_e32 v88, 20, v66
	v_or_b32_e32 v89, 22, v66
	;; [unrolled: 1-line block ×6, first 2 shown]
	v_dual_mul_f32 v97, s24, v119 :: v_dual_mul_f32 v68, s24, v116
	v_dual_mul_f32 v99, s24, v117 :: v_dual_mul_f32 v66, s24, v115
	v_cndmask_b32_e64 v70, 0xff7fffff, v79, s7
	v_cndmask_b32_e64 v78, 0xff7fffff, v78, s8
	v_max3_f32 v69, v69, v71, v72
	v_cmp_gt_i32_e64 s9, s33, v86
	v_cmp_gt_i32_e64 s10, s33, v87
	v_dual_mul_f32 v95, s24, v121 :: v_dual_mul_f32 v98, s24, v118
	s_delay_alu instid0(VALU_DEP_4) | instskip(NEXT) | instid1(VALU_DEP_4)
	v_max3_f32 v69, v69, v70, v78
	v_cndmask_b32_e64 v66, 0xff7fffff, v66, s9
	s_delay_alu instid0(VALU_DEP_4)
	v_cndmask_b32_e64 v68, 0xff7fffff, v68, s10
	v_cmp_gt_i32_e64 s11, s33, v88
	v_cmp_gt_i32_e64 s12, s33, v89
	;; [unrolled: 1-line block ×4, first 2 shown]
	v_max3_f32 v66, v69, v66, v68
	v_cndmask_b32_e64 v70, 0xff7fffff, v99, s11
	v_cndmask_b32_e64 v71, 0xff7fffff, v98, s12
	;; [unrolled: 1-line block ×4, first 2 shown]
	v_cmp_gt_i32_e64 s17, s33, v76
	v_cmp_gt_i32_e64 s18, s33, v77
	v_max3_f32 v66, v66, v70, v71
	s_delay_alu instid0(VALU_DEP_3) | instskip(NEXT) | instid1(VALU_DEP_3)
	v_cndmask_b32_e64 v70, 0xff7fffff, v95, s17
	v_cndmask_b32_e64 v71, 0xff7fffff, v94, s18
	s_delay_alu instid0(VALU_DEP_3) | instskip(NEXT) | instid1(VALU_DEP_1)
	v_max3_f32 v66, v66, v68, v69
	v_max3_f32 v66, v66, v70, v71
	ds_bpermute_b32 v67, v81, v66
	s_waitcnt lgkmcnt(0)
	v_max_f32_e32 v67, v67, v67
	s_delay_alu instid0(VALU_DEP_1) | instskip(NEXT) | instid1(VALU_DEP_1)
	v_max_f32_e32 v66, v66, v67
	v_fma_f32 v69, s24, v125, -v66
	s_delay_alu instid0(VALU_DEP_1)
	v_mul_f32_e32 v69, 0x3fb8aa3b, v69
	v_fma_f32 v67, s24, v123, -v66
	v_fma_f32 v68, s24, v124, -v66
	;; [unrolled: 1-line block ×4, first 2 shown]
	v_exp_f32_e32 v69, v69
	s_delay_alu instid0(VALU_DEP_3) | instskip(NEXT) | instid1(VALU_DEP_3)
	v_dual_mul_f32 v67, 0x3fb8aa3b, v67 :: v_dual_mul_f32 v68, 0x3fb8aa3b, v68
	v_mul_f32_e32 v70, 0x3fb8aa3b, v70
	v_fma_f32 v72, s24, v129, -v66
	v_fma_f32 v77, s24, v119, -v66
	s_delay_alu instid0(VALU_DEP_4)
	v_exp_f32_e32 v67, v67
	v_exp_f32_e32 v68, v68
	v_mul_f32_e32 v71, 0x3fb8aa3b, v71
	v_exp_f32_e32 v70, v70
	v_cndmask_b32_e64 v82, 0, v69, s3
	v_fma_f32 v69, s24, v130, -v66
	v_fma_f32 v88, s24, v122, -v66
	s_mov_b32 s3, exec_lo
	v_mul_f32_e32 v77, 0x3fb8aa3b, v77
	s_delay_alu instid0(TRANS32_DEP_3) | instskip(NEXT) | instid1(TRANS32_DEP_2)
	v_cndmask_b32_e64 v80, 0, v67, s2
	v_cndmask_b32_e32 v76, 0, v68, vcc_lo
	v_fma_f32 v67, s24, v128, -v66
	v_exp_f32_e32 v71, v71
	v_cndmask_b32_e64 v84, 0, v70, s4
	v_dual_add_f32 v68, 0, v80 :: v_dual_mul_f32 v69, 0x3fb8aa3b, v69
	s_delay_alu instid0(VALU_DEP_3) | instskip(SKIP_2) | instid1(VALU_DEP_3)
	v_mul_f32_e32 v67, 0x3fb8aa3b, v67
	v_fma_f32 v70, s24, v115, -v66
	v_exp_f32_e32 v77, v77
	v_add_f32_e32 v68, v68, v76
	v_exp_f32_e32 v69, v69
	v_exp_f32_e32 v67, v67
	v_cndmask_b32_e64 v85, 0, v71, s5
	v_fma_f32 v71, s24, v116, -v66
	v_add_f32_e32 v68, v68, v82
	s_delay_alu instid0(VALU_DEP_2)
	v_dual_mul_f32 v88, 0x3fb8aa3b, v88 :: v_dual_mul_f32 v71, 0x3fb8aa3b, v71
	s_waitcnt_depctr 0xfff
	v_cndmask_b32_e64 v87, 0, v69, s8
	v_cndmask_b32_e64 v86, 0, v67, s6
	v_add_f32_e32 v68, v68, v84
	v_mul_f32_e32 v72, 0x3fb8aa3b, v72
	v_exp_f32_e32 v71, v71
	s_delay_alu instid0(VALU_DEP_2) | instskip(NEXT) | instid1(VALU_DEP_2)
	v_add_f32_e32 v67, v68, v85
	v_exp_f32_e32 v72, v72
	v_fma_f32 v68, s24, v117, -v66
	s_delay_alu instid0(VALU_DEP_2) | instskip(SKIP_4) | instid1(VALU_DEP_3)
	v_add_f32_e32 v67, v67, v86
	s_waitcnt_depctr 0xfff
	v_cndmask_b32_e64 v83, 0, v72, s7
	v_mul_f32_e32 v70, 0x3fb8aa3b, v70
	v_fma_f32 v72, s24, v118, -v66
	v_add_f32_e32 v67, v67, v83
	s_delay_alu instid0(VALU_DEP_3) | instskip(SKIP_1) | instid1(VALU_DEP_2)
	v_exp_f32_e32 v70, v70
	v_mul_f32_e32 v68, 0x3fb8aa3b, v68
	v_dual_mul_f32 v72, 0x3fb8aa3b, v72 :: v_dual_add_f32 v67, v67, v87
	s_delay_alu instid0(VALU_DEP_2) | instskip(NEXT) | instid1(VALU_DEP_1)
	v_exp_f32_e32 v78, v68
	v_exp_f32_e32 v72, v72
	v_cndmask_b32_e64 v68, 0, v71, s10
	v_fma_f32 v71, s24, v121, -v66
	s_delay_alu instid0(TRANS32_DEP_3) | instskip(SKIP_1) | instid1(VALU_DEP_2)
	v_cndmask_b32_e64 v69, 0, v70, s9
	v_fma_f32 v70, s24, v120, -v66
	v_add_f32_e32 v67, v67, v69
	s_delay_alu instid0(VALU_DEP_2) | instskip(NEXT) | instid1(TRANS32_DEP_2)
	v_mul_f32_e32 v79, 0x3fb8aa3b, v70
	v_cndmask_b32_e64 v70, 0, v78, s11
	v_mul_f32_e32 v78, 0x3fb8aa3b, v71
	s_delay_alu instid0(TRANS32_DEP_1) | instskip(SKIP_4) | instid1(VALU_DEP_2)
	v_cndmask_b32_e64 v71, 0, v72, s12
	v_add_f32_e32 v67, v67, v68
	v_exp_f32_e32 v79, v79
	v_cndmask_b32_e64 v72, 0, v77, s13
	v_exp_f32_e32 v78, v78
	v_add_f32_e32 v67, v67, v70
	s_waitcnt_depctr 0xfff
	v_cndmask_b32_e64 v77, 0, v79, s16
	v_exp_f32_e32 v79, v88
	v_dual_add_f32 v67, v67, v71 :: v_dual_and_b32 v88, 31, v0
	v_cndmask_b32_e64 v78, 0, v78, s17
	s_delay_alu instid0(VALU_DEP_2) | instskip(NEXT) | instid1(VALU_DEP_3)
	v_cmp_lt_u32_e64 s2, 15, v88
	v_add_f32_e32 v67, v67, v72
	s_waitcnt_depctr 0xfff
	v_cndmask_b32_e64 v79, 0, v79, s18
	v_add_f32_e32 v67, v67, v77
	s_delay_alu instid0(VALU_DEP_1) | instskip(NEXT) | instid1(VALU_DEP_1)
	v_add_f32_e32 v67, v67, v78
	v_add_f32_e32 v67, v67, v79
	ds_bpermute_b32 v81, v81, v67
	v_cmpx_gt_u32_e32 16, v88
	s_cbranch_execz .LBB1382_11
; %bb.10:
	v_mul_u32_u24_e32 v88, 0x44, v65
	s_waitcnt lgkmcnt(0)
	v_add_f32_e32 v67, v67, v81
	s_delay_alu instid0(VALU_DEP_2) | instskip(NEXT) | instid1(VALU_DEP_1)
	v_lshl_add_u32 v88, v73, 2, v88
	v_add_nc_u32_e32 v81, 0x4000, v88
	ds_store_2addr_b32 v81, v66, v67 offset1:136
.LBB1382_11:
	s_or_b32 exec_lo, exec_lo, s3
	v_lshlrev_b32_e32 v66, 2, v73
	s_waitcnt lgkmcnt(0)
	s_barrier
	buffer_gl0_inv
	v_cmp_eq_u32_e32 vcc_lo, 1, v65
	v_add_nc_u32_e32 v81, 0x4000, v66
	v_cmp_eq_u32_e64 s3, 2, v65
	v_cmp_eq_u32_e64 s5, 7, v65
	ds_load_2addr_b32 v[88:89], v81 offset1:17
	ds_load_2addr_b32 v[90:91], v81 offset0:34 offset1:51
	ds_load_2addr_b32 v[92:93], v81 offset0:68 offset1:85
	;; [unrolled: 1-line block ×4, first 2 shown]
	s_waitcnt lgkmcnt(4)
	v_max3_f32 v66, v88, 0xff7fffff, v89
	s_waitcnt lgkmcnt(3)
	s_delay_alu instid0(VALU_DEP_1) | instskip(SKIP_1) | instid1(VALU_DEP_1)
	v_max3_f32 v66, v66, v90, v91
	s_waitcnt lgkmcnt(2)
	v_max3_f32 v66, v66, v92, v93
	s_waitcnt lgkmcnt(1)
	s_delay_alu instid0(VALU_DEP_1) | instskip(NEXT) | instid1(VALU_DEP_1)
	v_max3_f32 v66, v66, v94, v95
	v_sub_f32_e32 v92, v92, v66
	s_delay_alu instid0(VALU_DEP_1) | instskip(NEXT) | instid1(VALU_DEP_1)
	v_dual_sub_f32 v67, v88, v66 :: v_dual_mul_f32 v102, 0x3fb8aa3b, v92
	v_mul_f32_e32 v67, 0x3fb8aa3b, v67
	s_delay_alu instid0(VALU_DEP_1)
	v_exp_f32_e32 v99, v67
	v_sub_f32_e32 v67, v91, v66
	v_sub_f32_e32 v98, v89, v66
	ds_load_2addr_b32 v[88:89], v81 offset0:170 offset1:187
	v_dual_mul_f32 v101, 0x3fb8aa3b, v67 :: v_dual_mul_f32 v98, 0x3fb8aa3b, v98
	s_waitcnt lgkmcnt(1)
	v_fma_f32 v67, v99, v96, 0
	s_delay_alu instid0(VALU_DEP_2) | instskip(NEXT) | instid1(VALU_DEP_2)
	v_exp_f32_e32 v101, v101
	v_exp_f32_e32 v98, v98
	s_waitcnt_depctr 0xfff
	v_fmac_f32_e32 v67, v98, v97
	v_sub_f32_e32 v90, v90, v66
	s_delay_alu instid0(VALU_DEP_1)
	v_mul_f32_e32 v100, 0x3fb8aa3b, v90
	ds_load_2addr_b32 v[90:91], v81 offset0:204 offset1:221
	v_sub_f32_e32 v96, v93, v66
	ds_load_2addr_b32 v[92:93], v81 offset0:238 offset1:255
	s_waitcnt lgkmcnt(0)
	v_exp_f32_e32 v100, v100
	s_barrier
	buffer_gl0_inv
	v_dual_fmac_f32 v67, v100, v88 :: v_dual_sub_f32 v88, v95, v66
	v_dual_sub_f32 v81, v94, v66 :: v_dual_mul_f32 v94, 0x3fb8aa3b, v96
	v_exp_f32_e32 v96, v102
	s_delay_alu instid0(VALU_DEP_2) | instskip(NEXT) | instid1(VALU_DEP_2)
	v_dual_fmac_f32 v67, v101, v89 :: v_dual_mul_f32 v88, 0x3fb8aa3b, v88
	v_mul_f32_e32 v81, 0x3fb8aa3b, v81
	s_delay_alu instid0(VALU_DEP_3) | instskip(NEXT) | instid1(VALU_DEP_2)
	v_exp_f32_e32 v94, v94
	v_exp_f32_e32 v88, v88
	s_delay_alu instid0(VALU_DEP_1)
	v_exp_f32_e32 v81, v81
	v_fmac_f32_e32 v67, v96, v90
	s_delay_alu instid0(TRANS32_DEP_3) | instid1(VALU_DEP_1)
	v_fmac_f32_e32 v67, v94, v91
	s_waitcnt_depctr 0xfff
	v_fmac_f32_e32 v67, v81, v92
	s_delay_alu instid0(VALU_DEP_1) | instskip(NEXT) | instid1(VALU_DEP_1)
	v_fmac_f32_e32 v67, v88, v93
	v_add_f32_e32 v89, 0x358637bd, v67
	s_delay_alu instid0(VALU_DEP_1) | instskip(NEXT) | instid1(VALU_DEP_1)
	v_div_scale_f32 v90, null, v89, v89, 1.0
	v_rcp_f32_e32 v91, v90
	s_waitcnt_depctr 0xfff
	v_fma_f32 v92, -v90, v91, 1.0
	s_delay_alu instid0(VALU_DEP_1) | instskip(SKIP_1) | instid1(VALU_DEP_2)
	v_dual_fmac_f32 v91, v92, v91 :: v_dual_cndmask_b32 v92, v99, v98
	v_cmp_eq_u32_e32 vcc_lo, 3, v65
	v_cndmask_b32_e64 v92, v92, v100, s3
	v_cmp_eq_u32_e64 s3, 4, v65
	s_delay_alu instid0(VALU_DEP_2) | instskip(SKIP_1) | instid1(VALU_DEP_2)
	v_cndmask_b32_e32 v92, v92, v101, vcc_lo
	v_cmp_eq_u32_e32 vcc_lo, 5, v65
	v_cndmask_b32_e64 v92, v92, v96, s3
	v_cmp_eq_u32_e64 s3, 6, v65
	s_delay_alu instid0(VALU_DEP_2) | instskip(SKIP_1) | instid1(VALU_DEP_1)
	v_cndmask_b32_e32 v92, v92, v94, vcc_lo
	v_div_scale_f32 v93, s4, 1.0, v89, 1.0
	s_mov_b32 vcc_lo, s4
	s_delay_alu instid0(VALU_DEP_2) | instskip(NEXT) | instid1(VALU_DEP_2)
	v_cndmask_b32_e64 v81, v92, v81, s3
	v_mul_f32_e32 v95, v93, v91
	s_mov_b32 s3, exec_lo
	s_delay_alu instid0(VALU_DEP_2) | instskip(NEXT) | instid1(VALU_DEP_2)
	v_cndmask_b32_e64 v81, v81, v88, s5
	v_fma_f32 v97, -v90, v95, v93
	s_delay_alu instid0(VALU_DEP_1) | instskip(NEXT) | instid1(VALU_DEP_1)
	v_fmac_f32_e32 v95, v97, v91
	v_fma_f32 v90, -v90, v95, v93
	s_delay_alu instid0(VALU_DEP_1) | instskip(NEXT) | instid1(VALU_DEP_1)
	v_div_fmas_f32 v90, v90, v91, v95
	v_div_fixup_f32 v89, v90, v89, 1.0
	s_delay_alu instid0(VALU_DEP_1) | instskip(NEXT) | instid1(VALU_DEP_1)
	v_mul_f32_e32 v81, v81, v89
	v_mul_f32_e32 v89, v81, v80
	;; [unrolled: 1-line block ×6, first 2 shown]
	v_and_b32_e32 v90, 0x7f800000, v89
	v_mul_f32_e32 v88, v81, v84
	v_mul_f32_e32 v85, v81, v82
	;; [unrolled: 1-line block ×3, first 2 shown]
                                        ; implicit-def: $vgpr76
	s_delay_alu instid0(VALU_DEP_4)
	v_cmpx_ne_u32_e32 0x7f800000, v90
	s_xor_b32 s3, exec_lo, s3
; %bb.12:
	v_bfe_u32 v76, v89, 16, 1
	s_delay_alu instid0(VALU_DEP_1)
	v_add3_u32 v76, v89, v76, 0x7fff
                                        ; implicit-def: $vgpr89
; %bb.13:
	s_and_not1_saveexec_b32 s3, s3
; %bb.14:
	v_and_b32_e32 v76, 0xffff, v89
	v_or_b32_e32 v82, 0x10000, v89
	s_delay_alu instid0(VALU_DEP_2) | instskip(NEXT) | instid1(VALU_DEP_2)
	v_cmp_eq_u32_e32 vcc_lo, 0, v76
	v_cndmask_b32_e32 v76, v82, v89, vcc_lo
; %bb.15:
	s_or_b32 exec_lo, exec_lo, s3
	v_and_b32_e32 v82, 0x7f800000, v84
	s_delay_alu instid0(VALU_DEP_1) | instskip(SKIP_1) | instid1(SALU_CYCLE_1)
	v_cmp_ne_u32_e32 vcc_lo, 0x7f800000, v82
                                        ; implicit-def: $vgpr82
	s_and_saveexec_b32 s3, vcc_lo
	s_xor_b32 s3, exec_lo, s3
; %bb.16:
	v_bfe_u32 v82, v84, 16, 1
	s_delay_alu instid0(VALU_DEP_1)
	v_add3_u32 v82, v84, v82, 0x7fff
                                        ; implicit-def: $vgpr84
; %bb.17:
	s_and_not1_saveexec_b32 s3, s3
; %bb.18:
	v_and_b32_e32 v82, 0xffff, v84
	v_or_b32_e32 v89, 0x10000, v84
	s_delay_alu instid0(VALU_DEP_2) | instskip(NEXT) | instid1(VALU_DEP_2)
	v_cmp_eq_u32_e32 vcc_lo, 0, v82
	v_cndmask_b32_e32 v82, v89, v84, vcc_lo
; %bb.19:
	s_or_b32 exec_lo, exec_lo, s3
	v_and_b32_e32 v84, 0x7f800000, v85
	s_delay_alu instid0(VALU_DEP_1) | instskip(SKIP_1) | instid1(SALU_CYCLE_1)
	v_cmp_ne_u32_e32 vcc_lo, 0x7f800000, v84
                                        ; implicit-def: $vgpr84
	s_and_saveexec_b32 s3, vcc_lo
	s_xor_b32 s3, exec_lo, s3
; %bb.20:
	v_bfe_u32 v84, v85, 16, 1
	s_delay_alu instid0(VALU_DEP_1)
	v_add3_u32 v84, v85, v84, 0x7fff
                                        ; implicit-def: $vgpr85
; %bb.21:
	s_and_not1_saveexec_b32 s3, s3
; %bb.22:
	v_and_b32_e32 v84, 0xffff, v85
	v_or_b32_e32 v89, 0x10000, v85
	s_delay_alu instid0(VALU_DEP_2) | instskip(NEXT) | instid1(VALU_DEP_2)
	v_cmp_eq_u32_e32 vcc_lo, 0, v84
	v_cndmask_b32_e32 v84, v89, v85, vcc_lo
; %bb.23:
	s_or_b32 exec_lo, exec_lo, s3
	v_and_b32_e32 v85, 0x7f800000, v88
	s_delay_alu instid0(VALU_DEP_1) | instskip(SKIP_1) | instid1(SALU_CYCLE_1)
	v_cmp_ne_u32_e32 vcc_lo, 0x7f800000, v85
                                        ; implicit-def: $vgpr85
	s_and_saveexec_b32 s3, vcc_lo
	s_xor_b32 s3, exec_lo, s3
; %bb.24:
	v_bfe_u32 v85, v88, 16, 1
	s_delay_alu instid0(VALU_DEP_1)
	v_add3_u32 v85, v88, v85, 0x7fff
                                        ; implicit-def: $vgpr88
; %bb.25:
	s_and_not1_saveexec_b32 s3, s3
; %bb.26:
	v_and_b32_e32 v85, 0xffff, v88
	v_or_b32_e32 v89, 0x10000, v88
	s_delay_alu instid0(VALU_DEP_2) | instskip(NEXT) | instid1(VALU_DEP_2)
	v_cmp_eq_u32_e32 vcc_lo, 0, v85
	v_cndmask_b32_e32 v85, v89, v88, vcc_lo
; %bb.27:
	s_or_b32 exec_lo, exec_lo, s3
	v_and_b32_e32 v88, 0x7f800000, v87
	s_delay_alu instid0(VALU_DEP_1) | instskip(SKIP_1) | instid1(SALU_CYCLE_1)
	v_cmp_ne_u32_e32 vcc_lo, 0x7f800000, v88
                                        ; implicit-def: $vgpr88
	s_and_saveexec_b32 s3, vcc_lo
	s_xor_b32 s3, exec_lo, s3
; %bb.28:
	v_bfe_u32 v88, v87, 16, 1
	s_delay_alu instid0(VALU_DEP_1)
	v_add3_u32 v88, v87, v88, 0x7fff
                                        ; implicit-def: $vgpr87
; %bb.29:
	s_and_not1_saveexec_b32 s3, s3
; %bb.30:
	v_and_b32_e32 v88, 0xffff, v87
	v_or_b32_e32 v89, 0x10000, v87
	s_delay_alu instid0(VALU_DEP_2) | instskip(NEXT) | instid1(VALU_DEP_2)
	v_cmp_eq_u32_e32 vcc_lo, 0, v88
	v_cndmask_b32_e32 v88, v89, v87, vcc_lo
; %bb.31:
	s_or_b32 exec_lo, exec_lo, s3
	v_and_b32_e32 v87, 0x7f800000, v86
	s_delay_alu instid0(VALU_DEP_1) | instskip(SKIP_1) | instid1(SALU_CYCLE_1)
	v_cmp_ne_u32_e32 vcc_lo, 0x7f800000, v87
                                        ; implicit-def: $vgpr87
	s_and_saveexec_b32 s3, vcc_lo
	s_xor_b32 s3, exec_lo, s3
; %bb.32:
	v_bfe_u32 v87, v86, 16, 1
	s_delay_alu instid0(VALU_DEP_1)
	v_add3_u32 v87, v86, v87, 0x7fff
                                        ; implicit-def: $vgpr86
; %bb.33:
	s_and_not1_saveexec_b32 s3, s3
; %bb.34:
	v_and_b32_e32 v87, 0xffff, v86
	v_or_b32_e32 v89, 0x10000, v86
	s_delay_alu instid0(VALU_DEP_2) | instskip(NEXT) | instid1(VALU_DEP_2)
	v_cmp_eq_u32_e32 vcc_lo, 0, v87
	v_cndmask_b32_e32 v87, v89, v86, vcc_lo
; %bb.35:
	s_or_b32 exec_lo, exec_lo, s3
	v_and_b32_e32 v86, 0x7f800000, v83
	s_delay_alu instid0(VALU_DEP_1) | instskip(SKIP_1) | instid1(SALU_CYCLE_1)
	v_cmp_ne_u32_e32 vcc_lo, 0x7f800000, v86
                                        ; implicit-def: $vgpr86
	s_and_saveexec_b32 s3, vcc_lo
	s_xor_b32 s3, exec_lo, s3
; %bb.36:
	v_bfe_u32 v86, v83, 16, 1
	s_delay_alu instid0(VALU_DEP_1)
	v_add3_u32 v86, v83, v86, 0x7fff
                                        ; implicit-def: $vgpr83
; %bb.37:
	s_and_not1_saveexec_b32 s3, s3
; %bb.38:
	v_and_b32_e32 v86, 0xffff, v83
	v_or_b32_e32 v89, 0x10000, v83
	s_delay_alu instid0(VALU_DEP_2) | instskip(NEXT) | instid1(VALU_DEP_2)
	v_cmp_eq_u32_e32 vcc_lo, 0, v86
	v_cndmask_b32_e32 v86, v89, v83, vcc_lo
; %bb.39:
	s_or_b32 exec_lo, exec_lo, s3
	v_and_b32_e32 v83, 0x7f800000, v80
	s_delay_alu instid0(VALU_DEP_1) | instskip(SKIP_1) | instid1(SALU_CYCLE_1)
	v_cmp_ne_u32_e32 vcc_lo, 0x7f800000, v83
                                        ; implicit-def: $vgpr83
	s_and_saveexec_b32 s3, vcc_lo
	s_xor_b32 s3, exec_lo, s3
; %bb.40:
	v_bfe_u32 v83, v80, 16, 1
	s_delay_alu instid0(VALU_DEP_1)
	v_add3_u32 v83, v80, v83, 0x7fff
                                        ; implicit-def: $vgpr80
; %bb.41:
	s_and_not1_saveexec_b32 s3, s3
; %bb.42:
	v_and_b32_e32 v83, 0xffff, v80
	v_or_b32_e32 v89, 0x10000, v80
	s_delay_alu instid0(VALU_DEP_2) | instskip(NEXT) | instid1(VALU_DEP_2)
	v_cmp_eq_u32_e32 vcc_lo, 0, v83
	v_cndmask_b32_e32 v83, v89, v80, vcc_lo
; %bb.43:
	s_or_b32 exec_lo, exec_lo, s3
	s_load_b64 s[36:37], s[0:1], 0x94
	v_lshlrev_b32_e32 v90, 4, v75
	s_delay_alu instid0(VALU_DEP_2)
	v_perm_b32 v89, v83, v86, 0x7060302
	v_mul_f32_e32 v83, v81, v69
	v_dual_mul_f32 v69, v81, v79 :: v_dual_lshlrev_b32 v80, 6, v73
	v_dual_mul_f32 v78, v81, v78 :: v_dual_lshlrev_b32 v91, 11, v65
	v_perm_b32 v88, v87, v88, 0x7060302
	v_perm_b32 v87, v85, v84, 0x7060302
	;; [unrolled: 1-line block ×3, first 2 shown]
	s_delay_alu instid0(VALU_DEP_4)
	v_or3_b32 v76, v90, v91, v80
	v_dual_mul_f32 v77, v81, v77 :: v_dual_and_b32 v84, 0x7f800000, v83
	v_mul_f32_e32 v72, v81, v72
	v_mul_f32_e32 v82, v81, v71
	;; [unrolled: 1-line block ×4, first 2 shown]
	s_mov_b32 s3, exec_lo
	ds_store_b128 v76, v[86:89]
                                        ; implicit-def: $vgpr68
	v_cmpx_ne_u32_e32 0x7f800000, v84
	s_xor_b32 s3, exec_lo, s3
; %bb.44:
	v_bfe_u32 v68, v83, 16, 1
	s_delay_alu instid0(VALU_DEP_1)
	v_add3_u32 v68, v83, v68, 0x7fff
                                        ; implicit-def: $vgpr83
; %bb.45:
	s_and_not1_saveexec_b32 s3, s3
; %bb.46:
	v_and_b32_e32 v68, 0xffff, v83
	v_or_b32_e32 v70, 0x10000, v83
	s_delay_alu instid0(VALU_DEP_2) | instskip(NEXT) | instid1(VALU_DEP_2)
	v_cmp_eq_u32_e32 vcc_lo, 0, v68
	v_cndmask_b32_e32 v68, v70, v83, vcc_lo
; %bb.47:
	s_or_b32 exec_lo, exec_lo, s3
	v_and_b32_e32 v70, 0x7f800000, v71
	s_delay_alu instid0(VALU_DEP_1) | instskip(SKIP_1) | instid1(SALU_CYCLE_1)
	v_cmp_ne_u32_e32 vcc_lo, 0x7f800000, v70
                                        ; implicit-def: $vgpr70
	s_and_saveexec_b32 s3, vcc_lo
	s_xor_b32 s3, exec_lo, s3
; %bb.48:
	v_bfe_u32 v70, v71, 16, 1
	s_delay_alu instid0(VALU_DEP_1)
	v_add3_u32 v70, v71, v70, 0x7fff
                                        ; implicit-def: $vgpr71
; %bb.49:
	s_and_not1_saveexec_b32 s3, s3
; %bb.50:
	v_and_b32_e32 v70, 0xffff, v71
	v_or_b32_e32 v81, 0x10000, v71
	s_delay_alu instid0(VALU_DEP_2) | instskip(NEXT) | instid1(VALU_DEP_2)
	v_cmp_eq_u32_e32 vcc_lo, 0, v70
	v_cndmask_b32_e32 v70, v81, v71, vcc_lo
; %bb.51:
	s_or_b32 exec_lo, exec_lo, s3
	v_and_b32_e32 v71, 0x7f800000, v79
	s_delay_alu instid0(VALU_DEP_1) | instskip(SKIP_1) | instid1(SALU_CYCLE_1)
	v_cmp_ne_u32_e32 vcc_lo, 0x7f800000, v71
                                        ; implicit-def: $vgpr71
	s_and_saveexec_b32 s3, vcc_lo
	s_xor_b32 s3, exec_lo, s3
; %bb.52:
	v_bfe_u32 v71, v79, 16, 1
	s_delay_alu instid0(VALU_DEP_1)
	v_add3_u32 v71, v79, v71, 0x7fff
                                        ; implicit-def: $vgpr79
; %bb.53:
	s_and_not1_saveexec_b32 s3, s3
; %bb.54:
	v_and_b32_e32 v71, 0xffff, v79
	v_or_b32_e32 v81, 0x10000, v79
	s_delay_alu instid0(VALU_DEP_2) | instskip(NEXT) | instid1(VALU_DEP_2)
	v_cmp_eq_u32_e32 vcc_lo, 0, v71
	v_cndmask_b32_e32 v71, v81, v79, vcc_lo
; %bb.55:
	s_or_b32 exec_lo, exec_lo, s3
	v_and_b32_e32 v79, 0x7f800000, v82
	s_delay_alu instid0(VALU_DEP_1) | instskip(SKIP_1) | instid1(SALU_CYCLE_1)
	v_cmp_ne_u32_e32 vcc_lo, 0x7f800000, v79
                                        ; implicit-def: $vgpr79
	s_and_saveexec_b32 s3, vcc_lo
	s_xor_b32 s3, exec_lo, s3
; %bb.56:
	v_bfe_u32 v79, v82, 16, 1
	s_delay_alu instid0(VALU_DEP_1)
	v_add3_u32 v79, v82, v79, 0x7fff
                                        ; implicit-def: $vgpr82
; %bb.57:
	s_and_not1_saveexec_b32 s3, s3
; %bb.58:
	v_and_b32_e32 v79, 0xffff, v82
	v_or_b32_e32 v81, 0x10000, v82
	s_delay_alu instid0(VALU_DEP_2) | instskip(NEXT) | instid1(VALU_DEP_2)
	v_cmp_eq_u32_e32 vcc_lo, 0, v79
	v_cndmask_b32_e32 v79, v81, v82, vcc_lo
; %bb.59:
	s_or_b32 exec_lo, exec_lo, s3
	v_and_b32_e32 v81, 0x7f800000, v72
	s_delay_alu instid0(VALU_DEP_1) | instskip(SKIP_1) | instid1(SALU_CYCLE_1)
	v_cmp_ne_u32_e32 vcc_lo, 0x7f800000, v81
                                        ; implicit-def: $vgpr81
	s_and_saveexec_b32 s3, vcc_lo
	s_xor_b32 s3, exec_lo, s3
; %bb.60:
	v_bfe_u32 v81, v72, 16, 1
	s_delay_alu instid0(VALU_DEP_1)
	v_add3_u32 v81, v72, v81, 0x7fff
                                        ; implicit-def: $vgpr72
; %bb.61:
	s_and_not1_saveexec_b32 s3, s3
; %bb.62:
	v_and_b32_e32 v81, 0xffff, v72
	v_or_b32_e32 v82, 0x10000, v72
	s_delay_alu instid0(VALU_DEP_2) | instskip(NEXT) | instid1(VALU_DEP_2)
	v_cmp_eq_u32_e32 vcc_lo, 0, v81
	v_cndmask_b32_e32 v81, v82, v72, vcc_lo
; %bb.63:
	s_or_b32 exec_lo, exec_lo, s3
	v_and_b32_e32 v72, 0x7f800000, v77
	s_delay_alu instid0(VALU_DEP_1) | instskip(SKIP_1) | instid1(SALU_CYCLE_1)
	v_cmp_ne_u32_e32 vcc_lo, 0x7f800000, v72
                                        ; implicit-def: $vgpr72
	s_and_saveexec_b32 s3, vcc_lo
	s_xor_b32 s3, exec_lo, s3
; %bb.64:
	v_bfe_u32 v72, v77, 16, 1
	s_delay_alu instid0(VALU_DEP_1)
	v_add3_u32 v72, v77, v72, 0x7fff
                                        ; implicit-def: $vgpr77
; %bb.65:
	s_and_not1_saveexec_b32 s3, s3
; %bb.66:
	v_and_b32_e32 v72, 0xffff, v77
	v_or_b32_e32 v82, 0x10000, v77
	s_delay_alu instid0(VALU_DEP_2) | instskip(NEXT) | instid1(VALU_DEP_2)
	v_cmp_eq_u32_e32 vcc_lo, 0, v72
	v_cndmask_b32_e32 v72, v82, v77, vcc_lo
; %bb.67:
	s_or_b32 exec_lo, exec_lo, s3
	v_and_b32_e32 v77, 0x7f800000, v78
	s_delay_alu instid0(VALU_DEP_1) | instskip(SKIP_1) | instid1(SALU_CYCLE_1)
	v_cmp_ne_u32_e32 vcc_lo, 0x7f800000, v77
                                        ; implicit-def: $vgpr77
	s_and_saveexec_b32 s3, vcc_lo
	s_xor_b32 s3, exec_lo, s3
; %bb.68:
	v_bfe_u32 v77, v78, 16, 1
	s_delay_alu instid0(VALU_DEP_1)
	v_add3_u32 v77, v78, v77, 0x7fff
                                        ; implicit-def: $vgpr78
; %bb.69:
	s_and_not1_saveexec_b32 s3, s3
; %bb.70:
	v_and_b32_e32 v77, 0xffff, v78
	v_or_b32_e32 v82, 0x10000, v78
	s_delay_alu instid0(VALU_DEP_2) | instskip(NEXT) | instid1(VALU_DEP_2)
	v_cmp_eq_u32_e32 vcc_lo, 0, v77
	v_cndmask_b32_e32 v77, v82, v78, vcc_lo
; %bb.71:
	s_or_b32 exec_lo, exec_lo, s3
	v_and_b32_e32 v78, 0x7f800000, v69
	s_delay_alu instid0(VALU_DEP_1) | instskip(SKIP_1) | instid1(SALU_CYCLE_1)
	v_cmp_ne_u32_e32 vcc_lo, 0x7f800000, v78
                                        ; implicit-def: $vgpr78
	s_and_saveexec_b32 s3, vcc_lo
	s_xor_b32 s3, exec_lo, s3
; %bb.72:
	v_bfe_u32 v78, v69, 16, 1
	s_delay_alu instid0(VALU_DEP_1)
	v_add3_u32 v78, v69, v78, 0x7fff
                                        ; implicit-def: $vgpr69
; %bb.73:
	s_and_not1_saveexec_b32 s3, s3
; %bb.74:
	v_and_b32_e32 v78, 0xffff, v69
	v_or_b32_e32 v82, 0x10000, v69
	s_delay_alu instid0(VALU_DEP_2) | instskip(NEXT) | instid1(VALU_DEP_2)
	v_cmp_eq_u32_e32 vcc_lo, 0, v78
	v_cndmask_b32_e32 v78, v82, v69, vcc_lo
; %bb.75:
	s_or_b32 exec_lo, exec_lo, s3
	s_delay_alu instid0(VALU_DEP_1)
	v_perm_b32 v86, v78, v77, 0x7060302
	v_perm_b32 v85, v72, v81, 0x7060302
	;; [unrolled: 1-line block ×4, first 2 shown]
	v_lshl_or_b32 v82, v65, 11, v80
	ds_store_b128 v76, v[83:86] offset:1024
	s_waitcnt lgkmcnt(0)
	s_barrier
	buffer_gl0_inv
	ds_load_b128 v[68:71], v82
	ds_load_b128 v[83:86], v82 offset:16
	s_waitcnt lgkmcnt(1)
	v_lshrrev_b32_e32 v65, 16, v68
	v_lshlrev_b32_e32 v78, 2, v75
	s_waitcnt lgkmcnt(0)
	v_lshrrev_b32_e32 v91, 16, v83
	v_lshrrev_b32_e32 v72, 16, v69
	;; [unrolled: 1-line block ×4, first 2 shown]
	v_cmp_eq_u32_e32 vcc_lo, 1, v78
	v_lshrrev_b32_e32 v98, 16, v85
	v_lshrrev_b32_e32 v96, 16, v71
	;; [unrolled: 1-line block ×3, first 2 shown]
	v_cndmask_b32_e32 v81, v68, v65, vcc_lo
	v_or_b32_e32 v79, 1, v78
	v_cmp_eq_u32_e64 s4, 2, v78
	v_cndmask_b32_e32 v87, v83, v91, vcc_lo
	v_cmp_eq_u32_e64 s7, 3, v78
	v_cmp_eq_u32_e64 s9, 4, v78
	;; [unrolled: 1-line block ×3, first 2 shown]
	v_cndmask_b32_e64 v81, v81, v69, s4
	v_cmp_eq_u32_e64 s6, 2, v79
	v_cndmask_b32_e64 v87, v87, v84, s4
	v_cmp_eq_u32_e64 s8, 3, v79
	v_cndmask_b32_e64 v88, v68, v65, s3
	v_cndmask_b32_e64 v81, v81, v72, s7
	v_or_b32_e32 v77, 2, v78
	v_cndmask_b32_e64 v87, v87, v97, s7
	v_cndmask_b32_e64 v89, v83, v91, s3
	;; [unrolled: 1-line block ×4, first 2 shown]
	v_cmp_eq_u32_e64 s10, 5, v78
	v_cndmask_b32_e64 v87, v87, v85, s9
	v_cmp_eq_u32_e64 s11, 4, v79
	v_cndmask_b32_e64 v88, v88, v72, s8
	;; [unrolled: 2-line block ×3, first 2 shown]
	v_cndmask_b32_e64 v81, v81, v95, s10
	v_cmp_eq_u32_e64 s12, 6, v78
	v_cndmask_b32_e64 v88, v88, v70, s11
	v_cndmask_b32_e64 v87, v87, v98, s10
	v_cmp_eq_u32_e64 s13, 5, v79
	v_cndmask_b32_e64 v90, v68, v65, s5
	v_cndmask_b32_e64 v89, v89, v97, s8
	;; [unrolled: 1-line block ×3, first 2 shown]
	v_cmp_eq_u32_e64 s16, 7, v78
	v_cndmask_b32_e64 v88, v88, v95, s13
	v_cndmask_b32_e64 v87, v87, v86, s12
	v_cmp_eq_u32_e64 s17, 6, v79
	v_cmp_eq_u32_e64 s18, 2, v77
	v_cndmask_b32_e64 v89, v89, v85, s11
	v_cndmask_b32_e64 v100, v81, v96, s16
	;; [unrolled: 1-line block ×6, first 2 shown]
	v_cmp_eq_u32_e64 s19, 7, v79
	v_cmp_eq_u32_e64 s20, 3, v77
	;; [unrolled: 1-line block ×4, first 2 shown]
	v_cndmask_b32_e64 v87, v87, v84, s18
	v_cndmask_b32_e64 v102, v88, v96, s19
	;; [unrolled: 1-line block ×4, first 2 shown]
	v_or_b32_e32 v81, 3, v78
	v_cndmask_b32_e64 v93, v87, v97, s20
	v_cmp_eq_u32_e64 s25, 6, v77
	v_cndmask_b32_e64 v103, v88, v86, s17
	v_cndmask_b32_e64 v92, v89, v70, s21
	v_cmp_eq_u32_e64 s22, 1, v81
	ds_load_b128 v[87:90], v82 offset:1024
	v_cmp_eq_u32_e64 s24, 2, v81
	v_cmp_eq_u32_e64 s26, 3, v81
	v_cndmask_b32_e64 v104, v92, v95, s23
	v_cndmask_b32_e64 v65, v68, v65, s22
	;; [unrolled: 1-line block ×4, first 2 shown]
	ds_load_b128 v[91:94], v82 offset:1040
	v_cmp_eq_u32_e64 s27, 4, v81
	v_cndmask_b32_e64 v65, v65, v69, s24
	v_cmp_eq_u32_e64 s29, 5, v81
	v_cndmask_b32_e64 v69, v83, v84, s24
	v_cmp_eq_u32_e64 s28, 7, v77
	v_cmp_eq_u32_e64 s30, 6, v81
	v_cndmask_b32_e64 v65, v65, v72, s26
	v_cndmask_b32_e64 v72, v104, v71, s25
	;; [unrolled: 1-line block ×6, first 2 shown]
	s_waitcnt lgkmcnt(1)
	v_lshrrev_b32_e32 v84, 16, v87
	v_cndmask_b32_e64 v69, v69, v85, s27
	v_cndmask_b32_e64 v70, v72, v96, s28
	v_cndmask_b32_e64 v68, v68, v86, s25
	v_cndmask_b32_e64 v65, v65, v95, s29
	v_lshrrev_b32_e32 v95, 16, v88
	v_cndmask_b32_e64 v69, v69, v98, s29
	s_waitcnt lgkmcnt(0)
	v_lshrrev_b32_e32 v85, 16, v91
	v_cndmask_b32_e64 v97, v87, v84, s3
	v_cndmask_b32_e64 v65, v65, v71, s30
	;; [unrolled: 1-line block ×4, first 2 shown]
	v_cndmask_b32_e32 v72, v87, v84, vcc_lo
	v_cndmask_b32_e32 v98, v91, v85, vcc_lo
	v_cmp_eq_u32_e32 vcc_lo, 7, v81
	v_perm_b32 v70, v68, v70, 0x5040100
	v_cndmask_b32_e32 v65, v65, v96, vcc_lo
	v_cndmask_b32_e32 v69, v69, v99, vcc_lo
	v_cndmask_b32_e64 v72, v72, v88, s4
	v_cndmask_b32_e64 v86, v98, v92, s4
	v_lshrrev_b32_e32 v99, 16, v93
	v_lshrrev_b32_e32 v98, 16, v89
	s_delay_alu instid0(VALU_DEP_4) | instskip(SKIP_2) | instid1(VALU_DEP_3)
	v_cndmask_b32_e64 v71, v72, v95, s7
	v_cndmask_b32_e64 v72, v97, v88, s6
	v_lshrrev_b32_e32 v97, 16, v92
	v_cndmask_b32_e64 v71, v71, v89, s9
	s_delay_alu instid0(VALU_DEP_3) | instskip(NEXT) | instid1(VALU_DEP_3)
	v_cndmask_b32_e64 v72, v72, v95, s8
	v_cndmask_b32_e64 v86, v86, v97, s7
	s_delay_alu instid0(VALU_DEP_3) | instskip(SKIP_1) | instid1(VALU_DEP_3)
	v_cndmask_b32_e64 v96, v71, v98, s10
	v_perm_b32 v71, v69, v65, 0x5040100
	v_cndmask_b32_e64 v86, v86, v93, s9
	v_perm_b32 v69, v83, v102, 0x5040100
	v_cndmask_b32_e64 v102, v91, v85, s5
	v_cndmask_b32_e64 v72, v72, v89, s11
	v_lshrrev_b32_e32 v83, 16, v94
	v_cndmask_b32_e64 v86, v86, v99, s10
	s_delay_alu instid0(VALU_DEP_3) | instskip(SKIP_1) | instid1(VALU_DEP_3)
	v_cndmask_b32_e64 v65, v72, v98, s13
	v_cndmask_b32_e64 v72, v96, v90, s12
	v_cndmask_b32_e64 v68, v86, v94, s12
	v_cndmask_b32_e64 v86, v87, v84, s5
	v_cndmask_b32_e64 v84, v87, v84, s22
	v_cndmask_b32_e64 v87, v91, v85, s22
	v_cndmask_b32_e64 v85, v91, v85, s3
	v_lshrrev_b32_e32 v96, 16, v90
	v_cndmask_b32_e64 v86, v86, v88, s18
	v_cndmask_b32_e64 v84, v84, v88, s24
	;; [unrolled: 1-line block ×29, first 2 shown]
	v_cndmask_b32_e32 v84, v84, v96, vcc_lo
	v_cndmask_b32_e32 v86, v87, v83, vcc_lo
	v_cndmask_b32_e64 v87, v88, v83, s28
	v_cndmask_b32_e64 v88, v85, v83, s19
	;; [unrolled: 1-line block ×3, first 2 shown]
	v_perm_b32 v68, v101, v100, 0x5040100
	v_perm_b32 v86, v86, v84, 0x5040100
	;; [unrolled: 1-line block ×5, first 2 shown]
	s_mov_b32 s3, exec_lo
	ds_store_b128 v76, v[68:71]
	ds_store_b128 v76, v[83:86] offset:1024
	v_cmpx_eq_u32_e32 0, v0
	s_cbranch_execz .LBB1382_77
; %bb.76:
	s_load_b128 s[4:7], s[0:1], 0x58
	s_mul_i32 s8, s37, s34
	v_mov_b32_e32 v65, 0
	s_add_i32 s8, s8, s15
	s_delay_alu instid0(SALU_CYCLE_1) | instskip(NEXT) | instid1(SALU_CYCLE_1)
	s_mul_i32 s8, s8, s36
	s_add_i32 s8, s8, s14
	s_delay_alu instid0(SALU_CYCLE_1) | instskip(NEXT) | instid1(SALU_CYCLE_1)
	s_ashr_i32 s9, s8, 31
	s_lshl_b64 s[8:9], s[8:9], 2
	s_waitcnt lgkmcnt(0)
	s_add_u32 s6, s6, s8
	s_addc_u32 s7, s7, s9
	s_add_u32 s4, s4, s8
	s_addc_u32 s5, s5, s9
	s_clause 0x1
	global_store_b32 v65, v66, s[6:7]
	global_store_b32 v65, v67, s[4:5]
.LBB1382_77:
	s_or_b32 exec_lo, exec_lo, s3
	s_waitcnt lgkmcnt(0)
	s_waitcnt_vscnt null, 0x0
	s_barrier
	buffer_gl0_inv
	ds_load_b128 v[83:86], v80
	ds_load_b128 v[87:90], v80 offset:16
	ds_load_b128 v[95:98], v80 offset:2064
	;; [unrolled: 1-line block ×3, first 2 shown]
	v_mov_b32_e32 v65, 0
	ds_load_b128 v[103:106], v80 offset:4112
	ds_load_b128 v[99:102], v80 offset:4096
	;; [unrolled: 1-line block ×4, first 2 shown]
	v_mov_b32_e32 v66, v65
	v_mov_b32_e32 v67, v65
	;; [unrolled: 1-line block ×7, first 2 shown]
	s_waitcnt lgkmcnt(6)
	s_delay_alu instid0(VALU_DEP_1)
	v_wmma_f32_16x16x16_bf16 v[65:72], v[49:56], v[83:90], v[65:72]
	ds_load_b128 v[53:56], v80 offset:8208
	ds_load_b128 v[49:52], v80 offset:8192
	s_waitcnt lgkmcnt(6)
	v_wmma_f32_16x16x16_bf16 v[65:72], v[41:48], v[91:98], v[65:72]
	ds_load_b128 v[45:48], v80 offset:10256
	ds_load_b128 v[41:44], v80 offset:10240
	s_waitcnt lgkmcnt(6)
	;; [unrolled: 4-line block ×4, first 2 shown]
	v_wmma_f32_16x16x16_bf16 v[65:72], v[1:8], v[49:56], v[65:72]
	s_waitcnt lgkmcnt(4)
	s_delay_alu instid0(VALU_DEP_1) | instskip(SKIP_1) | instid1(VALU_DEP_1)
	v_wmma_f32_16x16x16_bf16 v[65:72], v[9:16], v[41:48], v[65:72]
	s_waitcnt lgkmcnt(2)
	v_wmma_f32_16x16x16_bf16 v[65:72], v[17:24], v[33:40], v[65:72]
	s_waitcnt lgkmcnt(0)
	s_delay_alu instid0(VALU_DEP_1) | instskip(NEXT) | instid1(VALU_DEP_1)
	v_wmma_f32_16x16x16_bf16 v[65:72], v[57:64], v[25:32], v[65:72]
	v_and_b32_e32 v1, 0x7f800000, v65
	s_delay_alu instid0(VALU_DEP_1) | instskip(SKIP_1) | instid1(SALU_CYCLE_1)
	v_cmp_ne_u32_e32 vcc_lo, 0x7f800000, v1
                                        ; implicit-def: $vgpr1
	s_and_saveexec_b32 s3, vcc_lo
	s_xor_b32 s3, exec_lo, s3
; %bb.78:
	v_bfe_u32 v1, v65, 16, 1
	s_delay_alu instid0(VALU_DEP_1)
	v_add3_u32 v1, v65, v1, 0x7fff
; %bb.79:
	s_and_not1_saveexec_b32 s3, s3
; %bb.80:
	v_and_b32_e32 v1, 0xffff, v65
	v_or_b32_e32 v2, 0x10000, v65
	s_delay_alu instid0(VALU_DEP_2) | instskip(NEXT) | instid1(VALU_DEP_2)
	v_cmp_eq_u32_e32 vcc_lo, 0, v1
	v_cndmask_b32_e32 v1, v2, v65, vcc_lo
; %bb.81:
	s_or_b32 exec_lo, exec_lo, s3
	v_and_b32_e32 v2, 0x7f800000, v66
	s_delay_alu instid0(VALU_DEP_1) | instskip(SKIP_1) | instid1(SALU_CYCLE_1)
	v_cmp_ne_u32_e32 vcc_lo, 0x7f800000, v2
                                        ; implicit-def: $vgpr2
	s_and_saveexec_b32 s3, vcc_lo
	s_xor_b32 s3, exec_lo, s3
; %bb.82:
	v_bfe_u32 v2, v66, 16, 1
	s_delay_alu instid0(VALU_DEP_1)
	v_add3_u32 v2, v66, v2, 0x7fff
; %bb.83:
	s_and_not1_saveexec_b32 s3, s3
; %bb.84:
	v_and_b32_e32 v2, 0xffff, v66
	v_or_b32_e32 v3, 0x10000, v66
	s_delay_alu instid0(VALU_DEP_2) | instskip(NEXT) | instid1(VALU_DEP_2)
	v_cmp_eq_u32_e32 vcc_lo, 0, v2
	v_cndmask_b32_e32 v2, v3, v66, vcc_lo
; %bb.85:
	s_or_b32 exec_lo, exec_lo, s3
	v_and_b32_e32 v3, 0x7f800000, v67
	s_delay_alu instid0(VALU_DEP_1) | instskip(SKIP_1) | instid1(SALU_CYCLE_1)
	v_cmp_ne_u32_e32 vcc_lo, 0x7f800000, v3
                                        ; implicit-def: $vgpr3
	s_and_saveexec_b32 s3, vcc_lo
	s_xor_b32 s3, exec_lo, s3
; %bb.86:
	v_bfe_u32 v3, v67, 16, 1
	s_delay_alu instid0(VALU_DEP_1)
	v_add3_u32 v3, v67, v3, 0x7fff
; %bb.87:
	s_and_not1_saveexec_b32 s3, s3
; %bb.88:
	v_and_b32_e32 v3, 0xffff, v67
	v_or_b32_e32 v4, 0x10000, v67
	s_delay_alu instid0(VALU_DEP_2) | instskip(NEXT) | instid1(VALU_DEP_2)
	v_cmp_eq_u32_e32 vcc_lo, 0, v3
	v_cndmask_b32_e32 v3, v4, v67, vcc_lo
; %bb.89:
	s_or_b32 exec_lo, exec_lo, s3
	v_and_b32_e32 v4, 0x7f800000, v68
	s_delay_alu instid0(VALU_DEP_1) | instskip(SKIP_1) | instid1(SALU_CYCLE_1)
	v_cmp_ne_u32_e32 vcc_lo, 0x7f800000, v4
                                        ; implicit-def: $vgpr4
	s_and_saveexec_b32 s3, vcc_lo
	s_xor_b32 s3, exec_lo, s3
; %bb.90:
	v_bfe_u32 v4, v68, 16, 1
	s_delay_alu instid0(VALU_DEP_1)
	v_add3_u32 v4, v68, v4, 0x7fff
; %bb.91:
	s_and_not1_saveexec_b32 s3, s3
; %bb.92:
	v_and_b32_e32 v4, 0xffff, v68
	v_or_b32_e32 v5, 0x10000, v68
	s_delay_alu instid0(VALU_DEP_2) | instskip(NEXT) | instid1(VALU_DEP_2)
	v_cmp_eq_u32_e32 vcc_lo, 0, v4
	v_cndmask_b32_e32 v4, v5, v68, vcc_lo
; %bb.93:
	s_or_b32 exec_lo, exec_lo, s3
	v_and_b32_e32 v5, 0x7f800000, v69
	s_delay_alu instid0(VALU_DEP_1) | instskip(SKIP_1) | instid1(SALU_CYCLE_1)
	v_cmp_ne_u32_e32 vcc_lo, 0x7f800000, v5
                                        ; implicit-def: $vgpr5
	s_and_saveexec_b32 s3, vcc_lo
	s_xor_b32 s3, exec_lo, s3
; %bb.94:
	v_bfe_u32 v5, v69, 16, 1
	s_delay_alu instid0(VALU_DEP_1)
	v_add3_u32 v5, v69, v5, 0x7fff
; %bb.95:
	s_and_not1_saveexec_b32 s3, s3
; %bb.96:
	v_and_b32_e32 v5, 0xffff, v69
	v_or_b32_e32 v6, 0x10000, v69
	s_delay_alu instid0(VALU_DEP_2) | instskip(NEXT) | instid1(VALU_DEP_2)
	v_cmp_eq_u32_e32 vcc_lo, 0, v5
	v_cndmask_b32_e32 v5, v6, v69, vcc_lo
; %bb.97:
	s_or_b32 exec_lo, exec_lo, s3
	v_and_b32_e32 v6, 0x7f800000, v70
	s_delay_alu instid0(VALU_DEP_1) | instskip(SKIP_1) | instid1(SALU_CYCLE_1)
	v_cmp_ne_u32_e32 vcc_lo, 0x7f800000, v6
                                        ; implicit-def: $vgpr6
	s_and_saveexec_b32 s3, vcc_lo
	s_xor_b32 s3, exec_lo, s3
; %bb.98:
	v_bfe_u32 v6, v70, 16, 1
	s_delay_alu instid0(VALU_DEP_1)
	v_add3_u32 v6, v70, v6, 0x7fff
; %bb.99:
	s_and_not1_saveexec_b32 s3, s3
; %bb.100:
	v_and_b32_e32 v6, 0xffff, v70
	v_or_b32_e32 v7, 0x10000, v70
	s_delay_alu instid0(VALU_DEP_2) | instskip(NEXT) | instid1(VALU_DEP_2)
	v_cmp_eq_u32_e32 vcc_lo, 0, v6
	v_cndmask_b32_e32 v6, v7, v70, vcc_lo
; %bb.101:
	s_or_b32 exec_lo, exec_lo, s3
	v_and_b32_e32 v7, 0x7f800000, v71
	s_delay_alu instid0(VALU_DEP_1) | instskip(SKIP_1) | instid1(SALU_CYCLE_1)
	v_cmp_ne_u32_e32 vcc_lo, 0x7f800000, v7
                                        ; implicit-def: $vgpr7
	s_and_saveexec_b32 s3, vcc_lo
	s_xor_b32 s3, exec_lo, s3
; %bb.102:
	v_bfe_u32 v7, v71, 16, 1
	s_delay_alu instid0(VALU_DEP_1)
	v_add3_u32 v7, v71, v7, 0x7fff
; %bb.103:
	s_and_not1_saveexec_b32 s3, s3
; %bb.104:
	v_and_b32_e32 v7, 0xffff, v71
	v_or_b32_e32 v8, 0x10000, v71
	s_delay_alu instid0(VALU_DEP_2) | instskip(NEXT) | instid1(VALU_DEP_2)
	v_cmp_eq_u32_e32 vcc_lo, 0, v7
	v_cndmask_b32_e32 v7, v8, v71, vcc_lo
; %bb.105:
	s_or_b32 exec_lo, exec_lo, s3
	v_and_b32_e32 v8, 0x7f800000, v72
	s_delay_alu instid0(VALU_DEP_1) | instskip(SKIP_1) | instid1(SALU_CYCLE_1)
	v_cmp_ne_u32_e32 vcc_lo, 0x7f800000, v8
                                        ; implicit-def: $vgpr8
	s_and_saveexec_b32 s3, vcc_lo
	s_xor_b32 s3, exec_lo, s3
; %bb.106:
	v_bfe_u32 v8, v72, 16, 1
	s_delay_alu instid0(VALU_DEP_1)
	v_add3_u32 v8, v72, v8, 0x7fff
                                        ; implicit-def: $vgpr65_vgpr66_vgpr67_vgpr68_vgpr69_vgpr70_vgpr71_vgpr72
; %bb.107:
	s_and_not1_saveexec_b32 s3, s3
; %bb.108:
	v_and_b32_e32 v8, 0xffff, v72
	v_or_b32_e32 v9, 0x10000, v72
	s_delay_alu instid0(VALU_DEP_2) | instskip(NEXT) | instid1(VALU_DEP_2)
	v_cmp_eq_u32_e32 vcc_lo, 0, v8
	v_cndmask_b32_e32 v8, v9, v72, vcc_lo
; %bb.109:
	s_or_b32 exec_lo, exec_lo, s3
	s_delay_alu instid0(VALU_DEP_1)
	v_perm_b32 v7, v8, v7, 0x7060302
	v_perm_b32 v6, v6, v5, 0x7060302
	;; [unrolled: 1-line block ×4, first 2 shown]
	s_barrier
	buffer_gl0_inv
	v_cmp_eq_u32_e32 vcc_lo, 1, v78
	ds_store_b128 v76, v[4:7]
	s_waitcnt lgkmcnt(0)
	s_barrier
	buffer_gl0_inv
	ds_load_b128 v[1:4], v82
	ds_load_b128 v[5:8], v82 offset:16
	v_cmp_eq_u32_e64 s3, 1, v79
	v_cmp_eq_u32_e64 s4, 2, v78
	;; [unrolled: 1-line block ×5, first 2 shown]
	s_waitcnt lgkmcnt(1)
	v_lshrrev_b32_e32 v9, 16, v1
	s_waitcnt lgkmcnt(0)
	v_lshrrev_b32_e32 v13, 16, v5
	v_lshrrev_b32_e32 v10, 16, v2
	;; [unrolled: 1-line block ×4, first 2 shown]
	v_cndmask_b32_e64 v19, v1, v9, s3
	v_cndmask_b32_e32 v18, v5, v13, vcc_lo
	v_cndmask_b32_e64 v20, v5, v13, s3
	v_cndmask_b32_e32 v17, v1, v9, vcc_lo
	v_cmp_eq_u32_e32 vcc_lo, 2, v79
	v_lshrrev_b32_e32 v15, 16, v7
	v_cmp_eq_u32_e64 s3, 1, v77
	v_lshrrev_b32_e32 v12, 16, v4
	v_lshrrev_b32_e32 v16, 16, v8
	v_cndmask_b32_e32 v20, v20, v6, vcc_lo
	v_cndmask_b32_e64 v17, v17, v2, s4
	v_cndmask_b32_e32 v19, v19, v2, vcc_lo
	v_cndmask_b32_e64 v18, v18, v6, s4
	v_cmp_eq_u32_e32 vcc_lo, 4, v78
	v_cmp_eq_u32_e64 s4, 3, v79
	v_cndmask_b32_e64 v17, v17, v10, s5
	v_cndmask_b32_e64 v21, v1, v9, s3
	;; [unrolled: 1-line block ×5, first 2 shown]
	v_cndmask_b32_e32 v17, v17, v3, vcc_lo
	v_cndmask_b32_e64 v20, v20, v14, s4
	v_cndmask_b32_e32 v18, v18, v7, vcc_lo
	v_cmp_eq_u32_e32 vcc_lo, 4, v79
	v_cmp_eq_u32_e64 s4, 5, v79
	v_cmp_eq_u32_e64 s3, 2, v81
	v_cndmask_b32_e64 v21, v21, v2, s7
	v_cmp_eq_u32_e64 s5, 5, v78
	v_cndmask_b32_e32 v19, v19, v3, vcc_lo
	v_cndmask_b32_e32 v20, v20, v7, vcc_lo
	v_cmp_eq_u32_e32 vcc_lo, 6, v79
	s_delay_alu instid0(VALU_DEP_4) | instskip(NEXT) | instid1(VALU_DEP_4)
	v_cndmask_b32_e64 v17, v17, v11, s5
	v_cndmask_b32_e64 v19, v19, v11, s4
	s_delay_alu instid0(VALU_DEP_4) | instskip(SKIP_1) | instid1(VALU_DEP_3)
	v_cndmask_b32_e64 v20, v20, v15, s4
	v_cmp_eq_u32_e64 s4, 1, v81
	v_cndmask_b32_e32 v19, v19, v4, vcc_lo
	v_cndmask_b32_e64 v18, v18, v15, s5
	s_delay_alu instid0(VALU_DEP_3)
	v_cndmask_b32_e64 v1, v1, v9, s4
	v_cndmask_b32_e64 v5, v5, v13, s4
	v_cmp_eq_u32_e64 s4, 3, v77
	v_cndmask_b32_e64 v13, v22, v6, s7
	v_cmp_eq_u32_e64 s7, 3, v81
	v_cndmask_b32_e64 v1, v1, v2, s3
	v_cndmask_b32_e64 v2, v5, v6, s3
	;; [unrolled: 1-line block ×3, first 2 shown]
	v_cmp_eq_u32_e64 s3, 4, v77
	v_cndmask_b32_e64 v6, v13, v14, s4
	v_cndmask_b32_e64 v1, v1, v10, s7
	v_cmp_eq_u32_e64 s4, 4, v81
	v_cndmask_b32_e64 v2, v2, v14, s7
	v_cndmask_b32_e64 v5, v9, v3, s3
	;; [unrolled: 3-line block ×3, first 2 shown]
	v_cndmask_b32_e64 v2, v2, v7, s4
	v_cmp_eq_u32_e64 s3, 5, v81
	v_cndmask_b32_e64 v5, v5, v11, s7
	v_cndmask_b32_e64 v3, v6, v15, s7
	v_cmp_eq_u32_e64 s7, 6, v81
	v_cmp_eq_u32_e64 s5, 6, v78
	v_cndmask_b32_e64 v1, v1, v11, s3
	v_cndmask_b32_e64 v2, v2, v15, s3
	v_cmp_eq_u32_e64 s4, 6, v77
	v_cmp_eq_u32_e64 s3, 7, v81
	v_cndmask_b32_e64 v17, v17, v4, s5
	v_cndmask_b32_e64 v1, v1, v4, s7
	;; [unrolled: 1-line block ×4, first 2 shown]
	v_cmp_eq_u32_e64 s5, 7, v78
	v_cndmask_b32_e64 v5, v5, v4, s4
	v_cndmask_b32_e64 v3, v3, v8, s4
	v_cmp_eq_u32_e64 s4, 7, v77
	v_cndmask_b32_e32 v4, v20, v8, vcc_lo
	v_cndmask_b32_e64 v1, v1, v12, s3
	v_cndmask_b32_e64 v2, v2, v16, s3
	v_cmp_lt_u32_e32 vcc_lo, 31, v0
	v_cmp_lt_u32_e64 s3, 7, v73
	v_cndmask_b32_e64 v17, v17, v12, s5
	v_cndmask_b32_e64 v19, v19, v12, s6
	;; [unrolled: 1-line block ×6, first 2 shown]
	s_or_b32 s3, vcc_lo, s3
	v_perm_b32 v4, v2, v1, 0x5040100
	v_perm_b32 v3, v3, v5, 0x5040100
	v_perm_b32 v2, v6, v19, 0x5040100
	v_perm_b32 v1, v7, v17, 0x5040100
	s_or_b32 s2, s2, s3
	s_delay_alu instid0(SALU_CYCLE_1)
	s_xor_b32 s2, s2, -1
	ds_store_b128 v76, v[1:4]
	s_waitcnt lgkmcnt(0)
	s_barrier
	buffer_gl0_inv
	s_and_saveexec_b32 s3, s2
	s_cbranch_execz .LBB1382_2
; %bb.110:
	s_load_b64 s[0:1], s[0:1], 0x68
	v_lshlrev_b32_e32 v1, 10, v0
	v_and_b32_e32 v0, 1, v0
	v_lshlrev_b32_e32 v2, 6, v75
	s_lshl_b32 s4, s36, 6
	s_delay_alu instid0(VALU_DEP_3) | instskip(NEXT) | instid1(VALU_DEP_3)
	v_and_b32_e32 v1, 0x3800, v1
	v_lshlrev_b32_e32 v0, 4, v0
	s_mul_i32 s2, s4, s34
	s_delay_alu instid0(SALU_CYCLE_1) | instskip(NEXT) | instid1(VALU_DEP_1)
	s_mul_i32 s2, s2, s37
	v_or3_b32 v0, v1, v2, v0
	s_ashr_i32 s3, s2, 31
	s_delay_alu instid0(SALU_CYCLE_1)
	s_lshl_b64 s[2:3], s[2:3], 1
	ds_load_b128 v[0:3], v0
	s_waitcnt lgkmcnt(0)
	s_add_u32 s5, s0, s2
	s_addc_u32 s3, s1, s3
	s_lshl_b32 s0, s14, 6
	s_mul_i32 s2, s4, s15
	s_ashr_i32 s1, s0, 31
	s_delay_alu instid0(SALU_CYCLE_1) | instskip(NEXT) | instid1(SALU_CYCLE_1)
	s_lshl_b64 s[0:1], s[0:1], 1
	s_add_u32 s4, s5, s0
	s_addc_u32 s5, s3, s1
	s_ashr_i32 s3, s2, 31
	s_delay_alu instid0(SALU_CYCLE_1) | instskip(NEXT) | instid1(SALU_CYCLE_1)
	s_lshl_b64 s[0:1], s[2:3], 1
	s_add_u32 s0, s4, s0
	s_addc_u32 s1, s5, s1
	global_store_b128 v74, v[0:3], s[0:1]
	s_nop 0
	s_sendmsg sendmsg(MSG_DEALLOC_VGPRS)
	s_endpgm
	.section	.rodata,"a",@progbits
	.p2align	6, 0x0
	.amdhsa_kernel _Z39paged_attention_ll4mi_QKV_mfma16_kernelI14__hip_bfloat16hLN4vllm18Fp8KVCacheDataTypeE1EhLi16ELi64ELi256ELb0ELi1EL8MFMAType1EEvPKT_PKT0_S9_ifPKiSB_SB_iPKfiiiPfSE_PS4_PT2_iSD_SD_
		.amdhsa_group_segment_fixed_size 17472
		.amdhsa_private_segment_fixed_size 0
		.amdhsa_kernarg_size 400
		.amdhsa_user_sgpr_count 13
		.amdhsa_user_sgpr_dispatch_ptr 0
		.amdhsa_user_sgpr_queue_ptr 0
		.amdhsa_user_sgpr_kernarg_segment_ptr 1
		.amdhsa_user_sgpr_dispatch_id 0
		.amdhsa_user_sgpr_private_segment_size 0
		.amdhsa_wavefront_size32 1
		.amdhsa_uses_dynamic_stack 0
		.amdhsa_enable_private_segment 0
		.amdhsa_system_sgpr_workgroup_id_x 1
		.amdhsa_system_sgpr_workgroup_id_y 1
		.amdhsa_system_sgpr_workgroup_id_z 1
		.amdhsa_system_sgpr_workgroup_info 0
		.amdhsa_system_vgpr_workitem_id 0
		.amdhsa_next_free_vgpr 131
		.amdhsa_next_free_sgpr 48
		.amdhsa_reserve_vcc 1
		.amdhsa_float_round_mode_32 0
		.amdhsa_float_round_mode_16_64 0
		.amdhsa_float_denorm_mode_32 3
		.amdhsa_float_denorm_mode_16_64 3
		.amdhsa_dx10_clamp 1
		.amdhsa_ieee_mode 1
		.amdhsa_fp16_overflow 0
		.amdhsa_workgroup_processor_mode 1
		.amdhsa_memory_ordered 1
		.amdhsa_forward_progress 0
		.amdhsa_shared_vgpr_count 0
		.amdhsa_exception_fp_ieee_invalid_op 0
		.amdhsa_exception_fp_denorm_src 0
		.amdhsa_exception_fp_ieee_div_zero 0
		.amdhsa_exception_fp_ieee_overflow 0
		.amdhsa_exception_fp_ieee_underflow 0
		.amdhsa_exception_fp_ieee_inexact 0
		.amdhsa_exception_int_div_zero 0
	.end_amdhsa_kernel
	.section	.text._Z39paged_attention_ll4mi_QKV_mfma16_kernelI14__hip_bfloat16hLN4vllm18Fp8KVCacheDataTypeE1EhLi16ELi64ELi256ELb0ELi1EL8MFMAType1EEvPKT_PKT0_S9_ifPKiSB_SB_iPKfiiiPfSE_PS4_PT2_iSD_SD_,"axG",@progbits,_Z39paged_attention_ll4mi_QKV_mfma16_kernelI14__hip_bfloat16hLN4vllm18Fp8KVCacheDataTypeE1EhLi16ELi64ELi256ELb0ELi1EL8MFMAType1EEvPKT_PKT0_S9_ifPKiSB_SB_iPKfiiiPfSE_PS4_PT2_iSD_SD_,comdat
.Lfunc_end1382:
	.size	_Z39paged_attention_ll4mi_QKV_mfma16_kernelI14__hip_bfloat16hLN4vllm18Fp8KVCacheDataTypeE1EhLi16ELi64ELi256ELb0ELi1EL8MFMAType1EEvPKT_PKT0_S9_ifPKiSB_SB_iPKfiiiPfSE_PS4_PT2_iSD_SD_, .Lfunc_end1382-_Z39paged_attention_ll4mi_QKV_mfma16_kernelI14__hip_bfloat16hLN4vllm18Fp8KVCacheDataTypeE1EhLi16ELi64ELi256ELb0ELi1EL8MFMAType1EEvPKT_PKT0_S9_ifPKiSB_SB_iPKfiiiPfSE_PS4_PT2_iSD_SD_
                                        ; -- End function
	.section	.AMDGPU.csdata,"",@progbits
; Kernel info:
; codeLenInByte = 8416
; NumSgprs: 50
; NumVgprs: 131
; ScratchSize: 0
; MemoryBound: 1
; FloatMode: 240
; IeeeMode: 1
; LDSByteSize: 17472 bytes/workgroup (compile time only)
; SGPRBlocks: 6
; VGPRBlocks: 16
; NumSGPRsForWavesPerEU: 50
; NumVGPRsForWavesPerEU: 131
; Occupancy: 10
; WaveLimiterHint : 1
; COMPUTE_PGM_RSRC2:SCRATCH_EN: 0
; COMPUTE_PGM_RSRC2:USER_SGPR: 13
; COMPUTE_PGM_RSRC2:TRAP_HANDLER: 0
; COMPUTE_PGM_RSRC2:TGID_X_EN: 1
; COMPUTE_PGM_RSRC2:TGID_Y_EN: 1
; COMPUTE_PGM_RSRC2:TGID_Z_EN: 1
; COMPUTE_PGM_RSRC2:TIDIG_COMP_CNT: 0
	.section	.text._Z39paged_attention_ll4mi_QKV_mfma16_kernelI14__hip_bfloat16hLN4vllm18Fp8KVCacheDataTypeE1EhLi16ELi64ELi256ELb0ELi2EL8MFMAType1EEvPKT_PKT0_S9_ifPKiSB_SB_iPKfiiiPfSE_PS4_PT2_iSD_SD_,"axG",@progbits,_Z39paged_attention_ll4mi_QKV_mfma16_kernelI14__hip_bfloat16hLN4vllm18Fp8KVCacheDataTypeE1EhLi16ELi64ELi256ELb0ELi2EL8MFMAType1EEvPKT_PKT0_S9_ifPKiSB_SB_iPKfiiiPfSE_PS4_PT2_iSD_SD_,comdat
	.protected	_Z39paged_attention_ll4mi_QKV_mfma16_kernelI14__hip_bfloat16hLN4vllm18Fp8KVCacheDataTypeE1EhLi16ELi64ELi256ELb0ELi2EL8MFMAType1EEvPKT_PKT0_S9_ifPKiSB_SB_iPKfiiiPfSE_PS4_PT2_iSD_SD_ ; -- Begin function _Z39paged_attention_ll4mi_QKV_mfma16_kernelI14__hip_bfloat16hLN4vllm18Fp8KVCacheDataTypeE1EhLi16ELi64ELi256ELb0ELi2EL8MFMAType1EEvPKT_PKT0_S9_ifPKiSB_SB_iPKfiiiPfSE_PS4_PT2_iSD_SD_
	.globl	_Z39paged_attention_ll4mi_QKV_mfma16_kernelI14__hip_bfloat16hLN4vllm18Fp8KVCacheDataTypeE1EhLi16ELi64ELi256ELb0ELi2EL8MFMAType1EEvPKT_PKT0_S9_ifPKiSB_SB_iPKfiiiPfSE_PS4_PT2_iSD_SD_
	.p2align	8
	.type	_Z39paged_attention_ll4mi_QKV_mfma16_kernelI14__hip_bfloat16hLN4vllm18Fp8KVCacheDataTypeE1EhLi16ELi64ELi256ELb0ELi2EL8MFMAType1EEvPKT_PKT0_S9_ifPKiSB_SB_iPKfiiiPfSE_PS4_PT2_iSD_SD_,@function
_Z39paged_attention_ll4mi_QKV_mfma16_kernelI14__hip_bfloat16hLN4vllm18Fp8KVCacheDataTypeE1EhLi16ELi64ELi256ELb0ELi2EL8MFMAType1EEvPKT_PKT0_S9_ifPKiSB_SB_iPKfiiiPfSE_PS4_PT2_iSD_SD_: ; @_Z39paged_attention_ll4mi_QKV_mfma16_kernelI14__hip_bfloat16hLN4vllm18Fp8KVCacheDataTypeE1EhLi16ELi64ELi256ELb0ELi2EL8MFMAType1EEvPKT_PKT0_S9_ifPKiSB_SB_iPKfiiiPfSE_PS4_PT2_iSD_SD_
; %bb.0:
	s_load_b64 s[2:3], s[0:1], 0x30
	s_mov_b32 s30, s13
	s_waitcnt lgkmcnt(0)
	s_cmp_lg_u64 s[2:3], 0
	s_cselect_b32 s8, -1, 0
	s_ashr_i32 s31, s13, 31
	s_cmp_eq_u64 s[2:3], 0
	s_cbranch_scc1 .LBB1383_3
; %bb.1:
	s_lshl_b64 s[4:5], s[30:31], 2
	s_delay_alu instid0(SALU_CYCLE_1) | instskip(SKIP_4) | instid1(SALU_CYCLE_1)
	s_add_u32 s4, s2, s4
	s_addc_u32 s5, s3, s5
	s_load_b64 s[4:5], s[4:5], 0x0
	s_waitcnt lgkmcnt(0)
	s_sub_i32 s4, s5, s4
	s_cmp_eq_u32 s4, 1
	s_cselect_b32 s4, -1, 0
	s_delay_alu instid0(SALU_CYCLE_1)
	s_and_not1_b32 vcc_lo, exec_lo, s4
	s_cbranch_vccz .LBB1383_4
.LBB1383_2:
	s_endpgm
.LBB1383_3:
.LBB1383_4:
	s_load_b64 s[4:5], s[0:1], 0x28
	s_lshl_b64 s[6:7], s[30:31], 2
	s_waitcnt lgkmcnt(0)
	s_add_u32 s4, s4, s6
	s_addc_u32 s5, s5, s7
	s_lshl_b32 s12, s14, 8
	s_load_b32 s24, s[4:5], 0x0
	s_waitcnt lgkmcnt(0)
	s_cmp_ge_i32 s12, s24
	s_cbranch_scc1 .LBB1383_2
; %bb.5:
	s_clause 0x1
	s_load_b128 s[20:23], s[0:1], 0x8
	s_load_b64 s[4:5], s[0:1], 0x20
	s_and_not1_b32 vcc_lo, exec_lo, s8
	s_cbranch_vccnz .LBB1383_7
; %bb.6:
	s_add_u32 s2, s2, s6
	s_addc_u32 s3, s3, s7
	s_load_b32 s3, s[2:3], 0x0
	s_branch .LBB1383_8
.LBB1383_7:
	s_mov_b32 s3, s30
.LBB1383_8:
	s_load_b128 s[16:19], s[0:1], 0x48
	v_and_b32_e32 v66, 15, v0
	v_bfe_u32 v65, v0, 4, 1
	s_lshl_b32 s31, s15, 1
	v_cmp_gt_u32_e32 vcc_lo, 32, v0
	v_and_b32_e32 v68, 31, v0
	v_lshlrev_b32_e32 v1, 3, v66
	v_cmp_gt_u32_e64 s2, 8, v66
	v_and_b32_e32 v76, 1, v0
	v_or_b32_e32 v75, s31, v65
	v_lshlrev_b32_e32 v74, 6, v65
	v_lshlrev_b32_e32 v73, 1, v1
	s_and_b32 s29, vcc_lo, s2
	s_delay_alu instid0(SALU_CYCLE_1)
	s_and_saveexec_b32 s2, s29
	s_cbranch_execz .LBB1383_10
; %bb.9:
	s_load_b64 s[6:7], s[0:1], 0x0
	v_lshlrev_b32_e32 v1, 6, v75
	s_waitcnt lgkmcnt(0)
	s_mul_hi_i32 s9, s3, s16
	s_mul_i32 s8, s3, s16
	v_lshlrev_b32_e32 v5, 10, v66
	s_lshl_b64 s[8:9], s[8:9], 1
	v_ashrrev_i32_e32 v2, 31, v1
	v_lshlrev_b32_e32 v6, 10, v76
	s_delay_alu instid0(VALU_DEP_3) | instskip(NEXT) | instid1(VALU_DEP_3)
	v_and_b32_e32 v5, 0x3800, v5
	v_lshlrev_b64 v[1:2], 1, v[1:2]
	s_delay_alu instid0(VALU_DEP_2) | instskip(SKIP_2) | instid1(VALU_DEP_2)
	v_or3_b32 v5, v5, v6, v74
	s_add_u32 s3, s6, s8
	s_addc_u32 s6, s7, s9
	v_add_co_u32 v1, vcc_lo, s3, v1
	s_delay_alu instid0(VALU_DEP_3) | instskip(NEXT) | instid1(VALU_DEP_2)
	v_add_co_ci_u32_e32 v2, vcc_lo, s6, v2, vcc_lo
	v_add_co_u32 v1, vcc_lo, v1, v73
	s_delay_alu instid0(VALU_DEP_2)
	v_add_co_ci_u32_e32 v2, vcc_lo, 0, v2, vcc_lo
	global_load_b128 v[1:4], v[1:2], off
	s_waitcnt vmcnt(0)
	ds_store_b128 v5, v[1:4]
.LBB1383_10:
	s_or_b32 exec_lo, exec_lo, s2
	v_and_b32_e32 v1, 0xef, v0
	s_add_i32 s2, s24, 15
	s_waitcnt lgkmcnt(0)
	s_clause 0x1
	s_load_b32 s3, s[0:1], 0x38
	s_load_b32 s19, s[0:1], 0x1c
	s_ashr_i32 s6, s2, 31
	v_add_nc_u32_e32 v1, s12, v1
	s_lshr_b32 s6, s6, 28
	s_waitcnt lgkmcnt(0)
	s_add_i32 s2, s2, s6
	s_barrier
	v_ashrrev_i32_e32 v2, 31, v1
	v_or_b32_e32 v3, 16, v1
	s_ashr_i32 s2, s2, 4
	v_cmp_gt_i32_e32 vcc_lo, s24, v1
	s_add_i32 s2, s2, -1
	v_lshrrev_b32_e32 v2, 28, v2
	buffer_gl0_inv
	s_mul_i32 s27, s15, s18
	v_lshrrev_b32_e32 v67, 5, v0
	v_lshlrev_b32_e32 v71, 6, v76
	v_add_nc_u32_e32 v4, v1, v2
	s_mul_i32 s6, s30, s3
	s_delay_alu instid0(SALU_CYCLE_1) | instskip(NEXT) | instid1(VALU_DEP_1)
	s_ashr_i32 s7, s6, 31
	v_ashrrev_i32_e32 v4, 4, v4
	v_add_nc_u32_e32 v2, v3, v2
	s_lshl_b64 s[6:7], s[6:7], 2
	s_delay_alu instid0(SALU_CYCLE_1) | instskip(NEXT) | instid1(VALU_DEP_2)
	s_add_u32 s26, s4, s6
	v_cndmask_b32_e32 v1, s2, v4, vcc_lo
	s_delay_alu instid0(VALU_DEP_2)
	v_ashrrev_i32_e32 v2, 4, v2
	v_cmp_gt_i32_e32 vcc_lo, s24, v3
	s_addc_u32 s25, s5, s7
	s_ashr_i32 s28, s27, 31
	s_add_u32 s3, s20, s27
	s_addc_u32 s13, s21, s28
	v_cndmask_b32_e32 v3, s2, v2, vcc_lo
	v_ashrrev_i32_e32 v2, 31, v1
	s_lshl_b32 s4, s14, 4
	s_delay_alu instid0(SALU_CYCLE_1) | instskip(NEXT) | instid1(VALU_DEP_2)
	s_ashr_i32 s5, s4, 31
	v_ashrrev_i32_e32 v4, 31, v3
	s_delay_alu instid0(VALU_DEP_2) | instskip(SKIP_1) | instid1(SALU_CYCLE_1)
	v_lshlrev_b64 v[1:2], 2, v[1:2]
	s_lshl_b64 s[4:5], s[4:5], 2
	s_add_u32 s4, s26, s4
	s_delay_alu instid0(VALU_DEP_2) | instskip(SKIP_1) | instid1(VALU_DEP_2)
	v_lshlrev_b64 v[3:4], 2, v[3:4]
	s_addc_u32 s5, s25, s5
	v_add_co_u32 v1, vcc_lo, s26, v1
	v_add_co_ci_u32_e32 v2, vcc_lo, s25, v2, vcc_lo
	s_delay_alu instid0(VALU_DEP_3) | instskip(NEXT) | instid1(VALU_DEP_4)
	v_add_co_u32 v3, vcc_lo, s26, v3
	v_add_co_ci_u32_e32 v4, vcc_lo, s25, v4, vcc_lo
	s_clause 0x1
	global_load_b32 v5, v[1:2], off
	global_load_b32 v7, v[3:4], off
	s_or_b32 s6, s12, 32
	v_lshlrev_b32_e32 v1, 4, v0
	s_ashr_i32 s7, s6, 4
	s_cmp_lt_i32 s6, s24
	s_cselect_b32 s6, s7, s2
	s_delay_alu instid0(VALU_DEP_1) | instskip(SKIP_1) | instid1(SALU_CYCLE_1)
	v_and_b32_e32 v1, 0xf0, v1
	s_ashr_i32 s7, s6, 31
	s_lshl_b64 s[6:7], s[6:7], 2
	s_delay_alu instid0(SALU_CYCLE_1)
	s_add_u32 s6, s26, s6
	s_addc_u32 s7, s25, s7
	s_or_b32 s8, s12, 64
	v_add_co_u32 v1, s3, s3, v1
	s_ashr_i32 s9, s8, 4
	s_cmp_lt_i32 s8, s24
	v_add_co_ci_u32_e64 v2, null, s13, 0, s3
	s_cselect_b32 s8, s9, s2
	s_delay_alu instid0(SALU_CYCLE_1) | instskip(NEXT) | instid1(SALU_CYCLE_1)
	s_ashr_i32 s9, s8, 31
	s_lshl_b64 s[8:9], s[8:9], 2
	s_delay_alu instid0(SALU_CYCLE_1) | instskip(SKIP_2) | instid1(SALU_CYCLE_1)
	s_add_u32 s8, s26, s8
	s_addc_u32 s9, s25, s9
	s_or_b32 s10, s12, 0x60
	s_ashr_i32 s11, s10, 4
	s_cmp_lt_i32 s10, s24
	s_cselect_b32 s10, s11, s2
	s_delay_alu instid0(SALU_CYCLE_1) | instskip(NEXT) | instid1(SALU_CYCLE_1)
	s_ashr_i32 s11, s10, 31
	s_lshl_b64 s[10:11], s[10:11], 2
	s_delay_alu instid0(SALU_CYCLE_1) | instskip(SKIP_2) | instid1(SALU_CYCLE_1)
	s_add_u32 s10, s26, s10
	s_addc_u32 s11, s25, s11
	s_or_b32 s15, s12, 0x80
	s_ashr_i32 s16, s15, 4
	s_cmp_lt_i32 s15, s24
	;; [unrolled: 10-line block ×3, first 2 shown]
	s_cselect_b32 s20, s16, s2
	s_delay_alu instid0(SALU_CYCLE_1) | instskip(NEXT) | instid1(SALU_CYCLE_1)
	s_ashr_i32 s21, s20, 31
	s_lshl_b64 s[20:21], s[20:21], 2
	s_delay_alu instid0(SALU_CYCLE_1)
	s_add_u32 s36, s26, s20
	s_addc_u32 s37, s25, s21
	s_clause 0x5
	s_load_b32 s20, s[4:5], 0x0
	s_load_b32 s3, s[6:7], 0x0
	;; [unrolled: 1-line block ×6, first 2 shown]
	s_or_b32 s6, s12, 0xc0
	s_mov_b32 s4, 0
	s_ashr_i32 s7, s6, 4
	s_cmp_lt_i32 s6, s24
	s_mov_b32 s5, s4
	s_cselect_b32 s10, s7, s2
	s_mov_b32 s6, s4
	s_ashr_i32 s11, s10, 31
	s_mov_b32 s7, s4
	s_lshl_b64 s[10:11], s[10:11], 2
	s_mov_b32 s8, s4
	s_add_u32 s34, s26, s10
	s_addc_u32 s35, s25, s11
	s_or_b32 s11, s12, 0xe0
	s_mov_b32 s9, s4
	s_ashr_i32 s21, s11, 4
	s_cmp_lt_i32 s11, s24
	s_mov_b32 s11, s4
	s_cselect_b32 s36, s21, s2
	s_mov_b32 s10, s4
	s_ashr_i32 s37, s36, 31
	v_mov_b32_e32 v108, s11
	v_dual_mov_b32 v102, s5 :: v_dual_mov_b32 v107, s10
	v_dual_mov_b32 v106, s9 :: v_dual_mov_b32 v105, s8
	;; [unrolled: 1-line block ×3, first 2 shown]
	v_mov_b32_e32 v101, s4
	s_lshl_b64 s[4:5], s[36:37], 2
	s_delay_alu instid0(SALU_CYCLE_1)
	s_add_u32 s4, s26, s4
	s_addc_u32 s5, s25, s5
	s_add_u32 s6, s22, s27
	s_addc_u32 s7, s23, s28
	s_waitcnt vmcnt(1)
	v_mad_i64_i32 v[3:4], null, v5, s17, v[1:2]
	s_waitcnt vmcnt(0)
	v_mad_i64_i32 v[5:6], null, v7, s17, v[1:2]
	v_lshlrev_b32_e32 v1, 4, v66
	s_clause 0x7
	global_load_b128 v[49:52], v[3:4], off
	global_load_b128 v[53:56], v[3:4], off offset:256
	global_load_b128 v[77:80], v[5:6], off
	global_load_b128 v[81:84], v[5:6], off offset:256
	global_load_b128 v[85:88], v[3:4], off offset:512
	global_load_b128 v[89:92], v[3:4], off offset:768
	global_load_b128 v[93:96], v[5:6], off offset:512
	global_load_b128 v[97:100], v[5:6], off offset:768
	v_lshl_or_b32 v1, v67, 8, v1
	s_load_b32 s2, s[34:35], 0x0
	ds_load_b128 v[109:112], v71
	ds_load_b128 v[113:116], v71 offset:1024
	s_load_b32 s4, s[4:5], 0x0
	v_add_co_u32 v9, s6, s6, v1
	s_delay_alu instid0(VALU_DEP_1) | instskip(SKIP_1) | instid1(VALU_DEP_1)
	v_add_co_ci_u32_e64 v10, null, s7, 0, s6
	s_waitcnt lgkmcnt(0)
	v_mad_i64_i32 v[1:2], null, s20, s17, v[9:10]
	v_mad_i64_i32 v[3:4], null, s3, s17, v[9:10]
	;; [unrolled: 1-line block ×7, first 2 shown]
	s_clause 0x9
	global_load_b128 v[57:60], v[1:2], off
	global_load_b128 v[61:64], v[1:2], off offset:16
	global_load_b128 v[41:44], v[3:4], off
	global_load_b128 v[45:48], v[3:4], off offset:16
	;; [unrolled: 2-line block ×5, first 2 shown]
	v_mad_i64_i32 v[69:70], null, s4, s17, v[9:10]
	s_clause 0x3
	global_load_b128 v[9:12], v[13:14], off
	global_load_b128 v[13:16], v[13:14], off offset:16
	global_load_b128 v[17:20], v[21:22], off
	global_load_b128 v[21:24], v[21:22], off offset:16
	s_waitcnt vmcnt(20)
	v_wmma_f32_16x16x16_bf16 v[117:124], v[49:56], v[109:116], v[101:108]
	s_clause 0x1
	global_load_b128 v[49:52], v[69:70], off
	global_load_b128 v[53:56], v[69:70], off offset:16
	s_waitcnt vmcnt(20)
	v_wmma_f32_16x16x16_bf16 v[101:108], v[77:84], v[109:116], v[101:108]
	ds_load_b128 v[77:80], v71 offset:2048
	ds_load_b128 v[81:84], v71 offset:3072
	v_mbcnt_lo_u32_b32 v70, -1, 0
	s_waitcnt vmcnt(0) lgkmcnt(0)
	s_barrier
	buffer_gl0_inv
	v_xor_b32_e32 v71, 16, v70
	s_delay_alu instid0(VALU_DEP_1) | instskip(SKIP_4) | instid1(VALU_DEP_2)
	v_cmp_gt_i32_e32 vcc_lo, 32, v71
	v_cndmask_b32_e32 v70, v70, v71, vcc_lo
	v_wmma_f32_16x16x16_bf16 v[101:108], v[93:100], v[77:84], v[101:108]
	v_and_b32_e32 v69, 0xe0, v0
	v_wmma_f32_16x16x16_bf16 v[117:124], v[85:92], v[77:84], v[117:124]
	v_dual_mul_f32 v98, s19, v106 :: v_dual_add_nc_u32 v69, s12, v69
	s_delay_alu instid0(VALU_DEP_4) | instskip(NEXT) | instid1(VALU_DEP_3)
	v_mul_f32_e32 v96, s19, v108
	v_dual_mul_f32 v94, s19, v118 :: v_dual_mul_f32 v95, s19, v117
	s_delay_alu instid0(VALU_DEP_4) | instskip(NEXT) | instid1(VALU_DEP_4)
	v_mul_f32_e32 v84, s19, v120
	v_or_b32_e32 v69, v69, v65
	v_dual_mul_f32 v93, s19, v119 :: v_dual_mul_f32 v82, s19, v122
	v_dual_mul_f32 v83, s19, v121 :: v_dual_mul_f32 v80, s19, v124
	s_delay_alu instid0(VALU_DEP_3)
	v_or_b32_e32 v71, 2, v69
	v_or_b32_e32 v72, 4, v69
	v_or_b32_e32 v109, 6, v69
	v_cmp_gt_i32_e64 s2, s24, v69
	v_or_b32_e32 v110, 8, v69
	v_cmp_gt_i32_e32 vcc_lo, s24, v71
	v_or_b32_e32 v85, 10, v69
	v_cmp_gt_i32_e64 s3, s24, v72
	v_cndmask_b32_e64 v95, 0xff7fffff, v95, s2
	v_cmp_gt_i32_e64 s4, s24, v109
	v_cndmask_b32_e32 v94, 0xff7fffff, v94, vcc_lo
	v_or_b32_e32 v86, 12, v69
	v_or_b32_e32 v87, 14, v69
	v_mul_f32_e32 v72, s19, v101
	v_cndmask_b32_e64 v93, 0xff7fffff, v93, s3
	v_cndmask_b32_e64 v84, 0xff7fffff, v84, s4
	v_max3_f32 v94, v95, 0xff7fffff, v94
	v_cmp_gt_i32_e64 s5, s24, v110
	v_cmp_gt_i32_e64 s6, s24, v85
	v_or_b32_e32 v88, 16, v69
	v_or_b32_e32 v89, 18, v69
	v_dual_mul_f32 v81, s19, v123 :: v_dual_mul_f32 v100, s19, v104
	v_cndmask_b32_e64 v83, 0xff7fffff, v83, s5
	v_cndmask_b32_e64 v82, 0xff7fffff, v82, s6
	v_max3_f32 v84, v94, v93, v84
	v_cmp_gt_i32_e64 s7, s24, v86
	v_cmp_gt_i32_e64 s8, s24, v87
	v_or_b32_e32 v90, 20, v69
	v_or_b32_e32 v91, 22, v69
	;; [unrolled: 1-line block ×6, first 2 shown]
	v_mul_f32_e32 v69, s19, v102
	v_cndmask_b32_e64 v81, 0xff7fffff, v81, s7
	v_cndmask_b32_e64 v80, 0xff7fffff, v80, s8
	v_max3_f32 v82, v84, v83, v82
	v_cmp_gt_i32_e64 s9, s24, v88
	v_cmp_gt_i32_e64 s10, s24, v89
	v_mul_f32_e32 v71, s19, v103
	v_cmp_gt_i32_e64 s11, s24, v90
	v_max3_f32 v80, v82, v81, v80
	v_cndmask_b32_e64 v72, 0xff7fffff, v72, s9
	v_cndmask_b32_e64 v69, 0xff7fffff, v69, s10
	v_cmp_gt_i32_e64 s12, s24, v91
	v_mul_f32_e32 v99, s19, v105
	v_cndmask_b32_e64 v71, 0xff7fffff, v71, s11
	v_cmp_gt_i32_e64 s13, s24, v92
	v_max3_f32 v69, v80, v72, v69
	v_cndmask_b32_e64 v81, 0xff7fffff, v100, s12
	v_cmp_gt_i32_e64 s15, s24, v77
	v_mul_f32_e32 v97, s19, v107
	v_cndmask_b32_e64 v72, 0xff7fffff, v99, s13
	v_cmp_gt_i32_e64 s16, s24, v78
	v_max3_f32 v69, v69, v71, v81
	v_cndmask_b32_e64 v77, 0xff7fffff, v98, s15
	v_cmp_gt_i32_e64 s17, s24, v79
	v_lshlrev_b32_e32 v91, 2, v70
	v_cndmask_b32_e64 v71, 0xff7fffff, v97, s16
	s_delay_alu instid0(VALU_DEP_4) | instskip(NEXT) | instid1(VALU_DEP_4)
	v_max3_f32 v69, v69, v72, v77
	v_cndmask_b32_e64 v78, 0xff7fffff, v96, s17
	s_delay_alu instid0(VALU_DEP_1) | instskip(SKIP_3) | instid1(VALU_DEP_1)
	v_max3_f32 v69, v69, v71, v78
	ds_bpermute_b32 v70, v91, v69
	s_waitcnt lgkmcnt(0)
	v_max_f32_e32 v70, v70, v70
	v_max_f32_e32 v69, v69, v70
	s_delay_alu instid0(VALU_DEP_1) | instskip(SKIP_4) | instid1(VALU_DEP_4)
	v_fma_f32 v70, s19, v117, -v69
	v_fma_f32 v71, s19, v118, -v69
	v_fma_f32 v72, s19, v119, -v69
	v_fma_f32 v77, s19, v120, -v69
	v_fma_f32 v78, s19, v121, -v69
	v_dual_mul_f32 v70, 0x3fb8aa3b, v70 :: v_dual_mul_f32 v71, 0x3fb8aa3b, v71
	s_delay_alu instid0(VALU_DEP_3) | instskip(NEXT) | instid1(VALU_DEP_3)
	v_dual_mul_f32 v72, 0x3fb8aa3b, v72 :: v_dual_mul_f32 v77, 0x3fb8aa3b, v77
	v_mul_f32_e32 v78, 0x3fb8aa3b, v78
	s_delay_alu instid0(VALU_DEP_3) | instskip(NEXT) | instid1(VALU_DEP_3)
	v_exp_f32_e32 v70, v70
	v_exp_f32_e32 v71, v71
	s_delay_alu instid0(VALU_DEP_2)
	v_exp_f32_e32 v72, v72
	v_exp_f32_e32 v79, v77
	;; [unrolled: 1-line block ×3, first 2 shown]
	v_cndmask_b32_e64 v81, 0, v70, s2
	v_fma_f32 v70, s19, v122, -v69
	v_cndmask_b32_e32 v77, 0, v71, vcc_lo
	s_delay_alu instid0(TRANS32_DEP_3)
	v_cndmask_b32_e64 v85, 0, v72, s3
	s_waitcnt_depctr 0xfff
	v_cndmask_b32_e64 v87, 0, v79, s4
	v_dual_add_f32 v71, 0, v81 :: v_dual_mul_f32 v70, 0x3fb8aa3b, v70
	v_cndmask_b32_e64 v88, 0, v78, s5
	s_mov_b32 s2, exec_lo
	s_delay_alu instid0(VALU_DEP_2) | instskip(NEXT) | instid1(VALU_DEP_3)
	v_add_f32_e32 v71, v71, v77
	v_exp_f32_e32 v70, v70
	s_delay_alu instid0(VALU_DEP_1) | instskip(NEXT) | instid1(VALU_DEP_1)
	v_add_f32_e32 v71, v71, v85
	v_add_f32_e32 v71, v71, v87
	s_waitcnt_depctr 0xfff
	v_cndmask_b32_e64 v89, 0, v70, s6
	v_add_f32_e32 v70, v71, v88
	s_delay_alu instid0(VALU_DEP_1)
	v_add_f32_e32 v70, v70, v89
	v_fma_f32 v80, s19, v123, -v69
	v_fma_f32 v72, s19, v124, -v69
	;; [unrolled: 1-line block ×5, first 2 shown]
	v_mul_f32_e32 v80, 0x3fb8aa3b, v80
	s_delay_alu instid0(VALU_DEP_4) | instskip(NEXT) | instid1(VALU_DEP_3)
	v_dual_mul_f32 v72, 0x3fb8aa3b, v72 :: v_dual_mul_f32 v79, 0x3fb8aa3b, v79
	v_dual_mul_f32 v78, 0x3fb8aa3b, v78 :: v_dual_mul_f32 v71, 0x3fb8aa3b, v71
	s_delay_alu instid0(VALU_DEP_3) | instskip(NEXT) | instid1(VALU_DEP_2)
	v_exp_f32_e32 v80, v80
	v_exp_f32_e32 v72, v72
	s_delay_alu instid0(VALU_DEP_2) | instskip(NEXT) | instid1(VALU_DEP_1)
	v_exp_f32_e32 v79, v79
	v_exp_f32_e32 v78, v78
	;; [unrolled: 1-line block ×3, first 2 shown]
	v_fma_f32 v83, s19, v106, -v69
	v_cndmask_b32_e64 v86, 0, v80, s7
	v_fma_f32 v80, s19, v104, -v69
	v_cndmask_b32_e64 v90, 0, v72, s8
	v_fma_f32 v72, s19, v105, -v69
	s_delay_alu instid0(TRANS32_DEP_3) | instskip(SKIP_2) | instid1(VALU_DEP_2)
	v_cndmask_b32_e64 v71, 0, v79, s9
	v_add_f32_e32 v70, v70, v86
	v_dual_mul_f32 v80, 0x3fb8aa3b, v80 :: v_dual_mul_f32 v83, 0x3fb8aa3b, v83
	v_dual_mul_f32 v72, 0x3fb8aa3b, v72 :: v_dual_add_f32 v79, v70, v90
	s_delay_alu instid0(VALU_DEP_2) | instskip(SKIP_1) | instid1(VALU_DEP_2)
	v_exp_f32_e32 v80, v80
	v_cndmask_b32_e64 v70, 0, v78, s10
	v_exp_f32_e32 v84, v72
	v_cndmask_b32_e64 v72, 0, v82, s11
	v_add_f32_e32 v78, v79, v71
	v_fma_f32 v79, s19, v107, -v69
	v_exp_f32_e32 v83, v83
	s_delay_alu instid0(VALU_DEP_1) | instskip(NEXT) | instid1(TRANS32_DEP_3)
	v_dual_add_f32 v82, v78, v70 :: v_dual_mul_f32 v79, 0x3fb8aa3b, v79
	v_cndmask_b32_e64 v78, 0, v80, s12
	s_delay_alu instid0(VALU_DEP_2) | instskip(SKIP_1) | instid1(VALU_DEP_4)
	v_add_f32_e32 v80, v82, v72
	v_fma_f32 v82, s19, v108, -v69
	v_exp_f32_e32 v92, v79
	v_cndmask_b32_e64 v79, 0, v84, s13
	s_delay_alu instid0(VALU_DEP_3) | instskip(NEXT) | instid1(VALU_DEP_3)
	v_add_f32_e32 v84, v80, v78
	v_mul_f32_e32 v82, 0x3fb8aa3b, v82
	s_delay_alu instid0(TRANS32_DEP_2) | instskip(NEXT) | instid1(VALU_DEP_3)
	v_cndmask_b32_e64 v80, 0, v83, s15
	v_add_f32_e32 v83, v84, v79
	s_delay_alu instid0(VALU_DEP_3) | instskip(NEXT) | instid1(TRANS32_DEP_2)
	v_exp_f32_e32 v84, v82
	v_cndmask_b32_e64 v82, 0, v92, s16
	s_delay_alu instid0(VALU_DEP_2) | instskip(NEXT) | instid1(VALU_DEP_1)
	v_add_f32_e32 v83, v83, v80
	v_add_f32_e32 v92, v83, v82
	s_waitcnt_depctr 0xfff
	v_cndmask_b32_e64 v83, 0, v84, s17
	s_delay_alu instid0(VALU_DEP_1)
	v_add_f32_e32 v84, v92, v83
	ds_bpermute_b32 v91, v91, v84
	v_cmpx_gt_u32_e32 16, v68
	s_cbranch_execz .LBB1383_12
; %bb.11:
	v_mul_u32_u24_e32 v68, 0x44, v67
	s_waitcnt lgkmcnt(0)
	v_add_f32_e32 v84, v84, v91
	s_delay_alu instid0(VALU_DEP_2) | instskip(NEXT) | instid1(VALU_DEP_1)
	v_lshl_add_u32 v68, v66, 2, v68
	v_add_nc_u32_e32 v68, 0x4000, v68
	ds_store_2addr_b32 v68, v69, v84 offset1:136
.LBB1383_12:
	s_or_b32 exec_lo, exec_lo, s2
	v_lshlrev_b32_e32 v68, 2, v66
	s_waitcnt lgkmcnt(0)
	s_barrier
	buffer_gl0_inv
	v_cmp_eq_u32_e32 vcc_lo, 1, v67
	v_add_nc_u32_e32 v84, 0x4000, v68
	v_cmp_eq_u32_e64 s2, 2, v67
	v_cmp_eq_u32_e64 s4, 7, v67
	ds_load_2addr_b32 v[91:92], v84 offset1:17
	ds_load_2addr_b32 v[93:94], v84 offset0:34 offset1:51
	ds_load_2addr_b32 v[95:96], v84 offset0:68 offset1:85
	;; [unrolled: 1-line block ×4, first 2 shown]
	s_waitcnt lgkmcnt(4)
	v_max3_f32 v68, v91, 0xff7fffff, v92
	s_waitcnt lgkmcnt(3)
	s_delay_alu instid0(VALU_DEP_1) | instskip(SKIP_1) | instid1(VALU_DEP_1)
	v_max3_f32 v68, v68, v93, v94
	s_waitcnt lgkmcnt(2)
	v_max3_f32 v68, v68, v95, v96
	s_waitcnt lgkmcnt(1)
	s_delay_alu instid0(VALU_DEP_1) | instskip(NEXT) | instid1(VALU_DEP_1)
	v_max3_f32 v68, v68, v97, v98
	v_sub_f32_e32 v69, v91, v68
	v_sub_f32_e32 v93, v93, v68
	;; [unrolled: 1-line block ×3, first 2 shown]
	s_delay_alu instid0(VALU_DEP_3) | instskip(NEXT) | instid1(VALU_DEP_3)
	v_mul_f32_e32 v69, 0x3fb8aa3b, v69
	v_mul_f32_e32 v103, 0x3fb8aa3b, v93
	s_delay_alu instid0(VALU_DEP_3) | instskip(NEXT) | instid1(VALU_DEP_3)
	v_mul_f32_e32 v105, 0x3fb8aa3b, v95
	v_exp_f32_e32 v102, v69
	v_sub_f32_e32 v69, v94, v68
	v_sub_f32_e32 v101, v92, v68
	ds_load_2addr_b32 v[91:92], v84 offset0:170 offset1:187
	v_exp_f32_e32 v103, v103
	v_mul_f32_e32 v104, 0x3fb8aa3b, v69
	v_mul_f32_e32 v101, 0x3fb8aa3b, v101
	s_waitcnt lgkmcnt(1)
	v_fma_f32 v69, v102, v99, 0
	v_sub_f32_e32 v99, v96, v68
	s_delay_alu instid0(VALU_DEP_3) | instskip(SKIP_4) | instid1(VALU_DEP_1)
	v_exp_f32_e32 v101, v101
	v_exp_f32_e32 v104, v104
	s_waitcnt_depctr 0xfff
	v_fmac_f32_e32 v69, v101, v100
	s_waitcnt lgkmcnt(0)
	v_fmac_f32_e32 v69, v103, v91
	ds_load_2addr_b32 v[93:94], v84 offset0:204 offset1:221
	ds_load_2addr_b32 v[95:96], v84 offset0:238 offset1:255
	v_dual_sub_f32 v84, v97, v68 :: v_dual_mul_f32 v97, 0x3fb8aa3b, v99
	v_exp_f32_e32 v99, v105
	v_sub_f32_e32 v91, v98, v68
	v_fmac_f32_e32 v69, v104, v92
	s_delay_alu instid0(VALU_DEP_3)
	v_mul_f32_e32 v84, 0x3fb8aa3b, v84
	v_exp_f32_e32 v97, v97
	s_waitcnt lgkmcnt(0)
	v_mul_f32_e32 v91, 0x3fb8aa3b, v91
	s_barrier
	v_exp_f32_e32 v84, v84
	buffer_gl0_inv
	v_exp_f32_e32 v91, v91
	v_fmac_f32_e32 v69, v99, v93
	s_delay_alu instid0(VALU_DEP_1) | instskip(NEXT) | instid1(VALU_DEP_1)
	v_fmac_f32_e32 v69, v97, v94
	v_fmac_f32_e32 v69, v84, v95
	s_waitcnt_depctr 0xfff
	v_fmac_f32_e32 v69, v91, v96
	s_delay_alu instid0(VALU_DEP_1) | instskip(NEXT) | instid1(VALU_DEP_1)
	v_add_f32_e32 v92, 0x358637bd, v69
	v_div_scale_f32 v93, null, v92, v92, 1.0
	v_div_scale_f32 v96, s3, 1.0, v92, 1.0
	s_delay_alu instid0(VALU_DEP_2) | instskip(SKIP_2) | instid1(VALU_DEP_1)
	v_rcp_f32_e32 v94, v93
	s_waitcnt_depctr 0xfff
	v_fma_f32 v95, -v93, v94, 1.0
	v_dual_fmac_f32 v94, v95, v94 :: v_dual_cndmask_b32 v95, v102, v101
	v_cmp_eq_u32_e32 vcc_lo, 3, v67
	s_delay_alu instid0(VALU_DEP_2) | instskip(NEXT) | instid1(VALU_DEP_3)
	v_mul_f32_e32 v98, v96, v94
	v_cndmask_b32_e64 v95, v95, v103, s2
	v_cmp_eq_u32_e64 s2, 4, v67
	s_delay_alu instid0(VALU_DEP_3) | instskip(NEXT) | instid1(VALU_DEP_3)
	v_fma_f32 v100, -v93, v98, v96
	v_cndmask_b32_e32 v95, v95, v104, vcc_lo
	v_cmp_eq_u32_e32 vcc_lo, 5, v67
	s_delay_alu instid0(VALU_DEP_3) | instskip(NEXT) | instid1(VALU_DEP_3)
	v_fmac_f32_e32 v98, v100, v94
	v_cndmask_b32_e64 v95, v95, v99, s2
	v_cmp_eq_u32_e64 s2, 6, v67
	s_delay_alu instid0(VALU_DEP_3) | instskip(NEXT) | instid1(VALU_DEP_3)
	v_fma_f32 v93, -v93, v98, v96
	v_cndmask_b32_e32 v95, v95, v97, vcc_lo
	s_mov_b32 vcc_lo, s3
	s_delay_alu instid0(VALU_DEP_2) | instskip(NEXT) | instid1(VALU_DEP_2)
	v_div_fmas_f32 v93, v93, v94, v98
	v_cndmask_b32_e64 v84, v95, v84, s2
	s_mov_b32 s2, exec_lo
	s_delay_alu instid0(VALU_DEP_2) | instskip(NEXT) | instid1(VALU_DEP_2)
	v_div_fixup_f32 v92, v93, v92, 1.0
	v_cndmask_b32_e64 v84, v84, v91, s4
	s_delay_alu instid0(VALU_DEP_1) | instskip(NEXT) | instid1(VALU_DEP_1)
	v_mul_f32_e32 v84, v84, v92
	v_mul_f32_e32 v92, v84, v81
	;; [unrolled: 1-line block ×6, first 2 shown]
	v_and_b32_e32 v93, 0x7f800000, v92
	v_mul_f32_e32 v91, v84, v87
	v_mul_f32_e32 v88, v84, v85
	;; [unrolled: 1-line block ×3, first 2 shown]
                                        ; implicit-def: $vgpr77
	s_delay_alu instid0(VALU_DEP_4)
	v_cmpx_ne_u32_e32 0x7f800000, v93
	s_xor_b32 s2, exec_lo, s2
; %bb.13:
	v_bfe_u32 v77, v92, 16, 1
	s_delay_alu instid0(VALU_DEP_1)
	v_add3_u32 v77, v92, v77, 0x7fff
                                        ; implicit-def: $vgpr92
; %bb.14:
	s_and_not1_saveexec_b32 s2, s2
; %bb.15:
	v_and_b32_e32 v77, 0xffff, v92
	v_or_b32_e32 v85, 0x10000, v92
	s_delay_alu instid0(VALU_DEP_2) | instskip(NEXT) | instid1(VALU_DEP_2)
	v_cmp_eq_u32_e32 vcc_lo, 0, v77
	v_cndmask_b32_e32 v77, v85, v92, vcc_lo
; %bb.16:
	s_or_b32 exec_lo, exec_lo, s2
	v_and_b32_e32 v85, 0x7f800000, v87
	s_delay_alu instid0(VALU_DEP_1) | instskip(SKIP_1) | instid1(SALU_CYCLE_1)
	v_cmp_ne_u32_e32 vcc_lo, 0x7f800000, v85
                                        ; implicit-def: $vgpr85
	s_and_saveexec_b32 s2, vcc_lo
	s_xor_b32 s2, exec_lo, s2
; %bb.17:
	v_bfe_u32 v85, v87, 16, 1
	s_delay_alu instid0(VALU_DEP_1)
	v_add3_u32 v85, v87, v85, 0x7fff
                                        ; implicit-def: $vgpr87
; %bb.18:
	s_and_not1_saveexec_b32 s2, s2
; %bb.19:
	v_and_b32_e32 v85, 0xffff, v87
	v_or_b32_e32 v92, 0x10000, v87
	s_delay_alu instid0(VALU_DEP_2) | instskip(NEXT) | instid1(VALU_DEP_2)
	v_cmp_eq_u32_e32 vcc_lo, 0, v85
	v_cndmask_b32_e32 v85, v92, v87, vcc_lo
; %bb.20:
	s_or_b32 exec_lo, exec_lo, s2
	v_and_b32_e32 v87, 0x7f800000, v88
	s_delay_alu instid0(VALU_DEP_1) | instskip(SKIP_1) | instid1(SALU_CYCLE_1)
	v_cmp_ne_u32_e32 vcc_lo, 0x7f800000, v87
                                        ; implicit-def: $vgpr87
	s_and_saveexec_b32 s2, vcc_lo
	s_xor_b32 s2, exec_lo, s2
; %bb.21:
	v_bfe_u32 v87, v88, 16, 1
	s_delay_alu instid0(VALU_DEP_1)
	v_add3_u32 v87, v88, v87, 0x7fff
                                        ; implicit-def: $vgpr88
; %bb.22:
	s_and_not1_saveexec_b32 s2, s2
; %bb.23:
	v_and_b32_e32 v87, 0xffff, v88
	v_or_b32_e32 v92, 0x10000, v88
	s_delay_alu instid0(VALU_DEP_2) | instskip(NEXT) | instid1(VALU_DEP_2)
	v_cmp_eq_u32_e32 vcc_lo, 0, v87
	v_cndmask_b32_e32 v87, v92, v88, vcc_lo
; %bb.24:
	s_or_b32 exec_lo, exec_lo, s2
	v_and_b32_e32 v88, 0x7f800000, v91
	s_delay_alu instid0(VALU_DEP_1) | instskip(SKIP_1) | instid1(SALU_CYCLE_1)
	v_cmp_ne_u32_e32 vcc_lo, 0x7f800000, v88
                                        ; implicit-def: $vgpr88
	s_and_saveexec_b32 s2, vcc_lo
	s_xor_b32 s2, exec_lo, s2
; %bb.25:
	v_bfe_u32 v88, v91, 16, 1
	s_delay_alu instid0(VALU_DEP_1)
	v_add3_u32 v88, v91, v88, 0x7fff
                                        ; implicit-def: $vgpr91
; %bb.26:
	s_and_not1_saveexec_b32 s2, s2
; %bb.27:
	v_and_b32_e32 v88, 0xffff, v91
	v_or_b32_e32 v92, 0x10000, v91
	s_delay_alu instid0(VALU_DEP_2) | instskip(NEXT) | instid1(VALU_DEP_2)
	v_cmp_eq_u32_e32 vcc_lo, 0, v88
	v_cndmask_b32_e32 v88, v92, v91, vcc_lo
; %bb.28:
	s_or_b32 exec_lo, exec_lo, s2
	v_and_b32_e32 v91, 0x7f800000, v90
	s_delay_alu instid0(VALU_DEP_1) | instskip(SKIP_1) | instid1(SALU_CYCLE_1)
	v_cmp_ne_u32_e32 vcc_lo, 0x7f800000, v91
                                        ; implicit-def: $vgpr91
	s_and_saveexec_b32 s2, vcc_lo
	s_xor_b32 s2, exec_lo, s2
; %bb.29:
	v_bfe_u32 v91, v90, 16, 1
	s_delay_alu instid0(VALU_DEP_1)
	v_add3_u32 v91, v90, v91, 0x7fff
                                        ; implicit-def: $vgpr90
; %bb.30:
	s_and_not1_saveexec_b32 s2, s2
; %bb.31:
	v_and_b32_e32 v91, 0xffff, v90
	v_or_b32_e32 v92, 0x10000, v90
	s_delay_alu instid0(VALU_DEP_2) | instskip(NEXT) | instid1(VALU_DEP_2)
	v_cmp_eq_u32_e32 vcc_lo, 0, v91
	v_cndmask_b32_e32 v91, v92, v90, vcc_lo
; %bb.32:
	s_or_b32 exec_lo, exec_lo, s2
	v_and_b32_e32 v90, 0x7f800000, v89
	s_delay_alu instid0(VALU_DEP_1) | instskip(SKIP_1) | instid1(SALU_CYCLE_1)
	v_cmp_ne_u32_e32 vcc_lo, 0x7f800000, v90
                                        ; implicit-def: $vgpr90
	s_and_saveexec_b32 s2, vcc_lo
	s_xor_b32 s2, exec_lo, s2
; %bb.33:
	v_bfe_u32 v90, v89, 16, 1
	s_delay_alu instid0(VALU_DEP_1)
	v_add3_u32 v90, v89, v90, 0x7fff
                                        ; implicit-def: $vgpr89
; %bb.34:
	s_and_not1_saveexec_b32 s2, s2
; %bb.35:
	v_and_b32_e32 v90, 0xffff, v89
	v_or_b32_e32 v92, 0x10000, v89
	s_delay_alu instid0(VALU_DEP_2) | instskip(NEXT) | instid1(VALU_DEP_2)
	v_cmp_eq_u32_e32 vcc_lo, 0, v90
	v_cndmask_b32_e32 v90, v92, v89, vcc_lo
; %bb.36:
	s_or_b32 exec_lo, exec_lo, s2
	v_and_b32_e32 v89, 0x7f800000, v86
	s_delay_alu instid0(VALU_DEP_1) | instskip(SKIP_1) | instid1(SALU_CYCLE_1)
	v_cmp_ne_u32_e32 vcc_lo, 0x7f800000, v89
                                        ; implicit-def: $vgpr89
	s_and_saveexec_b32 s2, vcc_lo
	s_xor_b32 s2, exec_lo, s2
; %bb.37:
	v_bfe_u32 v89, v86, 16, 1
	s_delay_alu instid0(VALU_DEP_1)
	v_add3_u32 v89, v86, v89, 0x7fff
                                        ; implicit-def: $vgpr86
; %bb.38:
	s_and_not1_saveexec_b32 s2, s2
; %bb.39:
	v_and_b32_e32 v89, 0xffff, v86
	v_or_b32_e32 v92, 0x10000, v86
	s_delay_alu instid0(VALU_DEP_2) | instskip(NEXT) | instid1(VALU_DEP_2)
	v_cmp_eq_u32_e32 vcc_lo, 0, v89
	v_cndmask_b32_e32 v89, v92, v86, vcc_lo
; %bb.40:
	s_or_b32 exec_lo, exec_lo, s2
	v_and_b32_e32 v86, 0x7f800000, v81
	s_delay_alu instid0(VALU_DEP_1) | instskip(SKIP_1) | instid1(SALU_CYCLE_1)
	v_cmp_ne_u32_e32 vcc_lo, 0x7f800000, v86
                                        ; implicit-def: $vgpr86
	s_and_saveexec_b32 s2, vcc_lo
	s_xor_b32 s2, exec_lo, s2
; %bb.41:
	v_bfe_u32 v86, v81, 16, 1
	s_delay_alu instid0(VALU_DEP_1)
	v_add3_u32 v86, v81, v86, 0x7fff
                                        ; implicit-def: $vgpr81
; %bb.42:
	s_and_not1_saveexec_b32 s2, s2
; %bb.43:
	v_and_b32_e32 v86, 0xffff, v81
	v_or_b32_e32 v92, 0x10000, v81
	s_delay_alu instid0(VALU_DEP_2) | instskip(NEXT) | instid1(VALU_DEP_2)
	v_cmp_eq_u32_e32 vcc_lo, 0, v86
	v_cndmask_b32_e32 v86, v92, v81, vcc_lo
; %bb.44:
	s_or_b32 exec_lo, exec_lo, s2
	s_load_b64 s[34:35], s[0:1], 0x94
	v_lshlrev_b32_e32 v93, 4, v65
	s_delay_alu instid0(VALU_DEP_2)
	v_perm_b32 v92, v86, v89, 0x7060302
	v_dual_mul_f32 v80, v84, v80 :: v_dual_lshlrev_b32 v81, 6, v66
	v_lshlrev_b32_e32 v66, 11, v67
	v_perm_b32 v89, v85, v77, 0x7060302
	v_mul_f32_e32 v85, v84, v71
	v_mul_f32_e32 v71, v84, v82
	v_perm_b32 v91, v90, v91, 0x7060302
	v_perm_b32 v90, v88, v87, 0x7060302
	v_or3_b32 v77, v93, v66, v81
	v_mul_f32_e32 v66, v84, v83
	v_dual_mul_f32 v79, v84, v79 :: v_dual_and_b32 v86, 0x7f800000, v85
	v_mul_f32_e32 v83, v84, v78
	v_mul_f32_e32 v82, v84, v72
	;; [unrolled: 1-line block ×3, first 2 shown]
	s_mov_b32 s2, exec_lo
	ds_store_b128 v77, v[89:92]
                                        ; implicit-def: $vgpr70
	v_cmpx_ne_u32_e32 0x7f800000, v86
	s_xor_b32 s2, exec_lo, s2
; %bb.45:
	v_bfe_u32 v70, v85, 16, 1
	s_delay_alu instid0(VALU_DEP_1)
	v_add3_u32 v70, v85, v70, 0x7fff
                                        ; implicit-def: $vgpr85
; %bb.46:
	s_and_not1_saveexec_b32 s2, s2
; %bb.47:
	v_and_b32_e32 v70, 0xffff, v85
	v_or_b32_e32 v72, 0x10000, v85
	s_delay_alu instid0(VALU_DEP_2) | instskip(NEXT) | instid1(VALU_DEP_2)
	v_cmp_eq_u32_e32 vcc_lo, 0, v70
	v_cndmask_b32_e32 v70, v72, v85, vcc_lo
; %bb.48:
	s_or_b32 exec_lo, exec_lo, s2
	v_and_b32_e32 v72, 0x7f800000, v78
	s_delay_alu instid0(VALU_DEP_1) | instskip(SKIP_1) | instid1(SALU_CYCLE_1)
	v_cmp_ne_u32_e32 vcc_lo, 0x7f800000, v72
                                        ; implicit-def: $vgpr72
	s_and_saveexec_b32 s2, vcc_lo
	s_xor_b32 s2, exec_lo, s2
; %bb.49:
	v_bfe_u32 v72, v78, 16, 1
	s_delay_alu instid0(VALU_DEP_1)
	v_add3_u32 v72, v78, v72, 0x7fff
                                        ; implicit-def: $vgpr78
; %bb.50:
	s_and_not1_saveexec_b32 s2, s2
; %bb.51:
	v_and_b32_e32 v72, 0xffff, v78
	v_or_b32_e32 v84, 0x10000, v78
	s_delay_alu instid0(VALU_DEP_2) | instskip(NEXT) | instid1(VALU_DEP_2)
	v_cmp_eq_u32_e32 vcc_lo, 0, v72
	v_cndmask_b32_e32 v72, v84, v78, vcc_lo
; %bb.52:
	s_or_b32 exec_lo, exec_lo, s2
	v_and_b32_e32 v78, 0x7f800000, v82
	s_delay_alu instid0(VALU_DEP_1) | instskip(SKIP_1) | instid1(SALU_CYCLE_1)
	v_cmp_ne_u32_e32 vcc_lo, 0x7f800000, v78
                                        ; implicit-def: $vgpr78
	s_and_saveexec_b32 s2, vcc_lo
	s_xor_b32 s2, exec_lo, s2
; %bb.53:
	v_bfe_u32 v78, v82, 16, 1
	s_delay_alu instid0(VALU_DEP_1)
	v_add3_u32 v78, v82, v78, 0x7fff
                                        ; implicit-def: $vgpr82
; %bb.54:
	s_and_not1_saveexec_b32 s2, s2
; %bb.55:
	v_and_b32_e32 v78, 0xffff, v82
	v_or_b32_e32 v84, 0x10000, v82
	s_delay_alu instid0(VALU_DEP_2) | instskip(NEXT) | instid1(VALU_DEP_2)
	v_cmp_eq_u32_e32 vcc_lo, 0, v78
	v_cndmask_b32_e32 v78, v84, v82, vcc_lo
; %bb.56:
	s_or_b32 exec_lo, exec_lo, s2
	v_and_b32_e32 v82, 0x7f800000, v83
	s_delay_alu instid0(VALU_DEP_1) | instskip(SKIP_1) | instid1(SALU_CYCLE_1)
	v_cmp_ne_u32_e32 vcc_lo, 0x7f800000, v82
                                        ; implicit-def: $vgpr82
	s_and_saveexec_b32 s2, vcc_lo
	s_xor_b32 s2, exec_lo, s2
; %bb.57:
	v_bfe_u32 v82, v83, 16, 1
	s_delay_alu instid0(VALU_DEP_1)
	v_add3_u32 v82, v83, v82, 0x7fff
                                        ; implicit-def: $vgpr83
; %bb.58:
	s_and_not1_saveexec_b32 s2, s2
; %bb.59:
	v_and_b32_e32 v82, 0xffff, v83
	v_or_b32_e32 v84, 0x10000, v83
	s_delay_alu instid0(VALU_DEP_2) | instskip(NEXT) | instid1(VALU_DEP_2)
	v_cmp_eq_u32_e32 vcc_lo, 0, v82
	v_cndmask_b32_e32 v82, v84, v83, vcc_lo
; %bb.60:
	s_or_b32 exec_lo, exec_lo, s2
	v_and_b32_e32 v83, 0x7f800000, v79
	s_delay_alu instid0(VALU_DEP_1) | instskip(SKIP_1) | instid1(SALU_CYCLE_1)
	v_cmp_ne_u32_e32 vcc_lo, 0x7f800000, v83
                                        ; implicit-def: $vgpr83
	s_and_saveexec_b32 s2, vcc_lo
	s_xor_b32 s2, exec_lo, s2
; %bb.61:
	v_bfe_u32 v83, v79, 16, 1
	s_delay_alu instid0(VALU_DEP_1)
	v_add3_u32 v83, v79, v83, 0x7fff
                                        ; implicit-def: $vgpr79
; %bb.62:
	s_and_not1_saveexec_b32 s2, s2
; %bb.63:
	v_and_b32_e32 v83, 0xffff, v79
	v_or_b32_e32 v84, 0x10000, v79
	s_delay_alu instid0(VALU_DEP_2) | instskip(NEXT) | instid1(VALU_DEP_2)
	v_cmp_eq_u32_e32 vcc_lo, 0, v83
	v_cndmask_b32_e32 v83, v84, v79, vcc_lo
; %bb.64:
	s_or_b32 exec_lo, exec_lo, s2
	v_and_b32_e32 v79, 0x7f800000, v80
	s_delay_alu instid0(VALU_DEP_1) | instskip(SKIP_1) | instid1(SALU_CYCLE_1)
	v_cmp_ne_u32_e32 vcc_lo, 0x7f800000, v79
                                        ; implicit-def: $vgpr79
	s_and_saveexec_b32 s2, vcc_lo
	s_xor_b32 s2, exec_lo, s2
; %bb.65:
	v_bfe_u32 v79, v80, 16, 1
	s_delay_alu instid0(VALU_DEP_1)
	v_add3_u32 v79, v80, v79, 0x7fff
                                        ; implicit-def: $vgpr80
; %bb.66:
	s_and_not1_saveexec_b32 s2, s2
; %bb.67:
	v_and_b32_e32 v79, 0xffff, v80
	v_or_b32_e32 v84, 0x10000, v80
	s_delay_alu instid0(VALU_DEP_2) | instskip(NEXT) | instid1(VALU_DEP_2)
	v_cmp_eq_u32_e32 vcc_lo, 0, v79
	v_cndmask_b32_e32 v79, v84, v80, vcc_lo
; %bb.68:
	s_or_b32 exec_lo, exec_lo, s2
	v_and_b32_e32 v80, 0x7f800000, v71
	s_delay_alu instid0(VALU_DEP_1) | instskip(SKIP_1) | instid1(SALU_CYCLE_1)
	v_cmp_ne_u32_e32 vcc_lo, 0x7f800000, v80
                                        ; implicit-def: $vgpr80
	s_and_saveexec_b32 s2, vcc_lo
	s_xor_b32 s2, exec_lo, s2
; %bb.69:
	v_bfe_u32 v80, v71, 16, 1
	s_delay_alu instid0(VALU_DEP_1)
	v_add3_u32 v80, v71, v80, 0x7fff
                                        ; implicit-def: $vgpr71
; %bb.70:
	s_and_not1_saveexec_b32 s2, s2
; %bb.71:
	v_and_b32_e32 v80, 0xffff, v71
	v_or_b32_e32 v84, 0x10000, v71
	s_delay_alu instid0(VALU_DEP_2) | instskip(NEXT) | instid1(VALU_DEP_2)
	v_cmp_eq_u32_e32 vcc_lo, 0, v80
	v_cndmask_b32_e32 v80, v84, v71, vcc_lo
; %bb.72:
	s_or_b32 exec_lo, exec_lo, s2
	v_and_b32_e32 v71, 0x7f800000, v66
	s_delay_alu instid0(VALU_DEP_1) | instskip(SKIP_1) | instid1(SALU_CYCLE_1)
	v_cmp_ne_u32_e32 vcc_lo, 0x7f800000, v71
                                        ; implicit-def: $vgpr71
	s_and_saveexec_b32 s2, vcc_lo
	s_xor_b32 s2, exec_lo, s2
; %bb.73:
	v_bfe_u32 v71, v66, 16, 1
	s_delay_alu instid0(VALU_DEP_1)
	v_add3_u32 v71, v66, v71, 0x7fff
                                        ; implicit-def: $vgpr66
; %bb.74:
	s_and_not1_saveexec_b32 s2, s2
; %bb.75:
	v_and_b32_e32 v71, 0xffff, v66
	v_or_b32_e32 v84, 0x10000, v66
	s_delay_alu instid0(VALU_DEP_2) | instskip(NEXT) | instid1(VALU_DEP_2)
	v_cmp_eq_u32_e32 vcc_lo, 0, v71
	v_cndmask_b32_e32 v71, v84, v66, vcc_lo
; %bb.76:
	s_or_b32 exec_lo, exec_lo, s2
	s_delay_alu instid0(VALU_DEP_1)
	v_perm_b32 v87, v71, v80, 0x7060302
	v_perm_b32 v86, v79, v83, 0x7060302
	;; [unrolled: 1-line block ×4, first 2 shown]
	v_lshl_or_b32 v83, v67, 11, v81
	ds_store_b128 v77, v[84:87] offset:1024
	s_waitcnt lgkmcnt(0)
	s_barrier
	buffer_gl0_inv
	ds_load_b128 v[84:87], v83
	ds_load_b128 v[88:91], v83 offset:16
	s_waitcnt lgkmcnt(1)
	v_lshrrev_b32_e32 v70, 16, v87
	s_waitcnt lgkmcnt(0)
	v_lshrrev_b32_e32 v71, 16, v88
	v_lshlrev_b32_e32 v79, 2, v65
	v_lshrrev_b32_e32 v65, 16, v84
	v_lshrrev_b32_e32 v66, 16, v85
	;; [unrolled: 1-line block ×4, first 2 shown]
	v_cmp_eq_u32_e32 vcc_lo, 1, v79
	v_lshrrev_b32_e32 v100, 16, v90
	v_lshrrev_b32_e32 v101, 16, v91
	v_cndmask_b32_e32 v92, v88, v71, vcc_lo
	v_or_b32_e32 v80, 1, v79
	v_cndmask_b32_e32 v82, v84, v65, vcc_lo
	v_cmp_eq_u32_e64 s3, 2, v79
	v_cmp_eq_u32_e64 s6, 3, v79
	;; [unrolled: 1-line block ×5, first 2 shown]
	v_cndmask_b32_e64 v82, v82, v85, s3
	v_cndmask_b32_e64 v92, v92, v89, s3
	v_cmp_eq_u32_e64 s7, 3, v80
	v_cndmask_b32_e64 v93, v84, v65, s2
	v_or_b32_e32 v78, 2, v79
	v_cndmask_b32_e64 v82, v82, v66, s6
	v_cndmask_b32_e64 v92, v92, v72, s6
	;; [unrolled: 1-line block ×4, first 2 shown]
	v_cmp_eq_u32_e64 s9, 5, v79
	v_cndmask_b32_e64 v82, v82, v86, s8
	v_cndmask_b32_e64 v92, v92, v90, s8
	v_cmp_eq_u32_e64 s10, 4, v80
	v_cndmask_b32_e64 v93, v93, v66, s7
	v_cmp_eq_u32_e64 s4, 1, v78
	v_cndmask_b32_e64 v94, v94, v89, s5
	v_cndmask_b32_e64 v82, v82, v67, s9
	v_cmp_eq_u32_e64 s11, 6, v79
	v_cndmask_b32_e64 v93, v93, v86, s10
	v_cndmask_b32_e64 v92, v92, v100, s9
	v_cmp_eq_u32_e64 s12, 5, v80
	v_cndmask_b32_e64 v95, v84, v65, s4
	v_cndmask_b32_e64 v94, v94, v72, s7
	v_cndmask_b32_e64 v82, v82, v87, s11
	v_cmp_eq_u32_e64 s13, 7, v79
	v_cndmask_b32_e64 v93, v93, v67, s12
	v_cndmask_b32_e64 v92, v92, v91, s11
	v_cmp_eq_u32_e64 s15, 6, v80
	v_cmp_eq_u32_e64 s16, 2, v78
	v_cndmask_b32_e64 v94, v94, v90, s10
	v_cndmask_b32_e64 v102, v82, v70, s13
	;; [unrolled: 1-line block ×6, first 2 shown]
	v_cmp_eq_u32_e64 s17, 7, v80
	v_cmp_eq_u32_e64 s18, 3, v78
	v_cmp_eq_u32_e64 s19, 4, v78
	v_cmp_eq_u32_e64 s21, 5, v78
	v_cndmask_b32_e64 v92, v92, v89, s16
	v_cndmask_b32_e64 v104, v93, v70, s17
	;; [unrolled: 1-line block ×4, first 2 shown]
	v_or_b32_e32 v82, 3, v79
	v_cndmask_b32_e64 v97, v92, v72, s18
	v_cmp_eq_u32_e64 s23, 6, v78
	v_cndmask_b32_e64 v105, v93, v91, s15
	v_cndmask_b32_e64 v96, v94, v86, s19
	v_cmp_eq_u32_e64 s20, 1, v82
	ds_load_b128 v[92:95], v83 offset:1024
	v_cmp_eq_u32_e64 s22, 2, v82
	v_cmp_eq_u32_e64 s24, 3, v82
	v_cndmask_b32_e64 v106, v96, v67, s21
	v_cndmask_b32_e64 v65, v84, v65, s20
	;; [unrolled: 1-line block ×3, first 2 shown]
	ds_load_b128 v[96:99], v83 offset:1040
	v_cndmask_b32_e64 v71, v88, v71, s20
	v_cmp_eq_u32_e64 s25, 4, v82
	v_cndmask_b32_e64 v65, v65, v85, s22
	v_cmp_eq_u32_e64 s27, 5, v82
	v_cmp_eq_u32_e64 s28, 6, v82
	v_cndmask_b32_e64 v71, v71, v89, s22
	v_cndmask_b32_e64 v84, v84, v100, s21
	v_cndmask_b32_e64 v65, v65, v66, s24
	v_cndmask_b32_e64 v66, v106, v87, s23
	v_cmp_eq_u32_e64 s26, 7, v78
	v_cndmask_b32_e64 v71, v71, v72, s24
	v_cndmask_b32_e64 v84, v84, v91, s23
	;; [unrolled: 1-line block ×3, first 2 shown]
	s_waitcnt lgkmcnt(1)
	v_lshrrev_b32_e32 v72, 16, v92
	v_lshrrev_b32_e32 v88, 16, v93
	v_cndmask_b32_e64 v71, v71, v90, s25
	v_cndmask_b32_e64 v66, v66, v70, s26
	;; [unrolled: 1-line block ×6, first 2 shown]
	s_waitcnt lgkmcnt(0)
	v_lshrrev_b32_e32 v71, 16, v96
	v_cndmask_b32_e64 v65, v65, v87, s28
	v_cndmask_b32_e64 v87, v89, v93, s5
	v_lshrrev_b32_e32 v100, 16, v98
	v_cndmask_b32_e64 v67, v67, v91, s28
	v_cndmask_b32_e32 v86, v92, v72, vcc_lo
	v_cndmask_b32_e32 v90, v96, v71, vcc_lo
	v_cmp_eq_u32_e32 vcc_lo, 7, v82
	v_cndmask_b32_e64 v87, v87, v88, s7
	v_lshrrev_b32_e32 v91, 16, v94
	v_cndmask_b32_e64 v85, v105, v101, s17
	v_cndmask_b32_e64 v89, v90, v97, s3
	v_cndmask_b32_e32 v67, v67, v101, vcc_lo
	v_cndmask_b32_e64 v86, v86, v93, s3
	v_lshrrev_b32_e32 v90, 16, v97
	v_cndmask_b32_e32 v65, v65, v70, vcc_lo
	v_cndmask_b32_e64 v70, v87, v94, s10
	v_cndmask_b32_e64 v101, v96, v71, s4
	;; [unrolled: 1-line block ×4, first 2 shown]
	v_perm_b32 v87, v67, v65, 0x5040100
	v_cndmask_b32_e64 v65, v70, v91, s12
	v_lshrrev_b32_e32 v70, 16, v95
	v_cndmask_b32_e64 v86, v86, v94, s8
	v_cndmask_b32_e64 v89, v89, v98, s8
	v_perm_b32 v85, v85, v104, 0x5040100
	v_cndmask_b32_e64 v65, v65, v95, s15
	s_delay_alu instid0(VALU_DEP_4) | instskip(NEXT) | instid1(VALU_DEP_4)
	v_cndmask_b32_e64 v86, v86, v91, s9
	v_cndmask_b32_e64 v89, v89, v100, s9
	s_delay_alu instid0(VALU_DEP_3) | instskip(NEXT) | instid1(VALU_DEP_3)
	v_cndmask_b32_e64 v65, v65, v70, s17
	v_cndmask_b32_e64 v67, v86, v95, s11
	v_perm_b32 v86, v84, v66, 0x5040100
	v_lshrrev_b32_e32 v84, 16, v99
	s_delay_alu instid0(VALU_DEP_3)
	v_cndmask_b32_e64 v66, v67, v70, s13
	v_cndmask_b32_e64 v67, v89, v99, s11
	;; [unrolled: 1-line block ×33, first 2 shown]
	v_cndmask_b32_e32 v70, v72, v70, vcc_lo
	v_cndmask_b32_e32 v72, v88, v84, vcc_lo
	v_cndmask_b32_e64 v88, v90, v84, s26
	v_cndmask_b32_e64 v71, v71, v84, s17
	v_perm_b32 v84, v103, v102, 0x5040100
	s_lshl_b32 s7, s35, 1
	v_perm_b32 v91, v72, v70, 0x5040100
	v_perm_b32 v90, v88, v89, 0x5040100
	;; [unrolled: 1-line block ×4, first 2 shown]
	s_mov_b32 s2, exec_lo
	ds_store_b128 v77, v[84:87]
	ds_store_b128 v77, v[88:91] offset:1024
	v_cmpx_gt_u32_e32 2, v0
	s_cbranch_execz .LBB1383_78
; %bb.77:
	v_or_b32_e32 v65, s31, v0
	s_load_b128 s[8:11], s[0:1], 0x58
	s_delay_alu instid0(VALU_DEP_1) | instskip(NEXT) | instid1(VALU_DEP_1)
	v_mad_u64_u32 v[66:67], null, s7, s30, v[65:66]
	v_mad_u64_u32 v[70:71], null, v66, s34, s[14:15]
	s_delay_alu instid0(VALU_DEP_1) | instskip(NEXT) | instid1(VALU_DEP_1)
	v_ashrrev_i32_e32 v71, 31, v70
	v_lshlrev_b64 v[65:66], 2, v[70:71]
	s_waitcnt lgkmcnt(0)
	s_delay_alu instid0(VALU_DEP_1) | instskip(NEXT) | instid1(VALU_DEP_2)
	v_add_co_u32 v70, vcc_lo, s10, v65
	v_add_co_ci_u32_e32 v71, vcc_lo, s11, v66, vcc_lo
	v_add_co_u32 v65, vcc_lo, s8, v65
	v_add_co_ci_u32_e32 v66, vcc_lo, s9, v66, vcc_lo
	global_store_b32 v[70:71], v68, off
	global_store_b32 v[65:66], v69, off
.LBB1383_78:
	s_or_b32 exec_lo, exec_lo, s2
	s_waitcnt lgkmcnt(0)
	s_waitcnt_vscnt null, 0x0
	s_barrier
	buffer_gl0_inv
	ds_load_b128 v[84:87], v81
	ds_load_b128 v[88:91], v81 offset:16
	ds_load_b128 v[96:99], v81 offset:2064
	;; [unrolled: 1-line block ×3, first 2 shown]
	v_mov_b32_e32 v65, 0
	ds_load_b128 v[104:107], v81 offset:4112
	ds_load_b128 v[100:103], v81 offset:4096
	;; [unrolled: 1-line block ×4, first 2 shown]
	v_mov_b32_e32 v66, v65
	v_mov_b32_e32 v67, v65
	v_mov_b32_e32 v68, v65
	v_mov_b32_e32 v69, v65
	v_mov_b32_e32 v70, v65
	v_mov_b32_e32 v71, v65
	v_mov_b32_e32 v72, v65
	s_waitcnt lgkmcnt(6)
	s_delay_alu instid0(VALU_DEP_1)
	v_wmma_f32_16x16x16_bf16 v[65:72], v[57:64], v[84:91], v[65:72]
	ds_load_b128 v[61:64], v81 offset:8208
	ds_load_b128 v[57:60], v81 offset:8192
	s_waitcnt lgkmcnt(6)
	v_wmma_f32_16x16x16_bf16 v[65:72], v[41:48], v[92:99], v[65:72]
	ds_load_b128 v[45:48], v81 offset:10256
	ds_load_b128 v[41:44], v81 offset:10240
	s_waitcnt lgkmcnt(6)
	v_wmma_f32_16x16x16_bf16 v[65:72], v[33:40], v[100:107], v[65:72]
	ds_load_b128 v[37:40], v81 offset:12304
	ds_load_b128 v[33:36], v81 offset:12288
	s_waitcnt lgkmcnt(6)
	v_wmma_f32_16x16x16_bf16 v[65:72], v[25:32], v[108:115], v[65:72]
	ds_load_b128 v[29:32], v81 offset:14352
	ds_load_b128 v[25:28], v81 offset:14336
	s_waitcnt lgkmcnt(6)
	v_wmma_f32_16x16x16_bf16 v[65:72], v[1:8], v[57:64], v[65:72]
	s_waitcnt lgkmcnt(4)
	s_delay_alu instid0(VALU_DEP_1) | instskip(SKIP_1) | instid1(VALU_DEP_1)
	v_wmma_f32_16x16x16_bf16 v[65:72], v[9:16], v[41:48], v[65:72]
	s_waitcnt lgkmcnt(2)
	v_wmma_f32_16x16x16_bf16 v[65:72], v[17:24], v[33:40], v[65:72]
	s_waitcnt lgkmcnt(0)
	s_delay_alu instid0(VALU_DEP_1) | instskip(NEXT) | instid1(VALU_DEP_1)
	v_wmma_f32_16x16x16_bf16 v[65:72], v[49:56], v[25:32], v[65:72]
	v_and_b32_e32 v1, 0x7f800000, v65
	s_delay_alu instid0(VALU_DEP_1) | instskip(SKIP_1) | instid1(SALU_CYCLE_1)
	v_cmp_ne_u32_e32 vcc_lo, 0x7f800000, v1
                                        ; implicit-def: $vgpr1
	s_and_saveexec_b32 s2, vcc_lo
	s_xor_b32 s2, exec_lo, s2
; %bb.79:
	v_bfe_u32 v1, v65, 16, 1
	s_delay_alu instid0(VALU_DEP_1)
	v_add3_u32 v1, v65, v1, 0x7fff
; %bb.80:
	s_and_not1_saveexec_b32 s2, s2
; %bb.81:
	v_and_b32_e32 v1, 0xffff, v65
	v_or_b32_e32 v2, 0x10000, v65
	s_delay_alu instid0(VALU_DEP_2) | instskip(NEXT) | instid1(VALU_DEP_2)
	v_cmp_eq_u32_e32 vcc_lo, 0, v1
	v_cndmask_b32_e32 v1, v2, v65, vcc_lo
; %bb.82:
	s_or_b32 exec_lo, exec_lo, s2
	v_and_b32_e32 v2, 0x7f800000, v66
	s_delay_alu instid0(VALU_DEP_1) | instskip(SKIP_1) | instid1(SALU_CYCLE_1)
	v_cmp_ne_u32_e32 vcc_lo, 0x7f800000, v2
                                        ; implicit-def: $vgpr2
	s_and_saveexec_b32 s2, vcc_lo
	s_xor_b32 s2, exec_lo, s2
; %bb.83:
	v_bfe_u32 v2, v66, 16, 1
	s_delay_alu instid0(VALU_DEP_1)
	v_add3_u32 v2, v66, v2, 0x7fff
; %bb.84:
	s_and_not1_saveexec_b32 s2, s2
; %bb.85:
	v_and_b32_e32 v2, 0xffff, v66
	v_or_b32_e32 v3, 0x10000, v66
	s_delay_alu instid0(VALU_DEP_2) | instskip(NEXT) | instid1(VALU_DEP_2)
	v_cmp_eq_u32_e32 vcc_lo, 0, v2
	v_cndmask_b32_e32 v2, v3, v66, vcc_lo
; %bb.86:
	s_or_b32 exec_lo, exec_lo, s2
	v_and_b32_e32 v3, 0x7f800000, v67
	s_delay_alu instid0(VALU_DEP_1) | instskip(SKIP_1) | instid1(SALU_CYCLE_1)
	v_cmp_ne_u32_e32 vcc_lo, 0x7f800000, v3
                                        ; implicit-def: $vgpr3
	s_and_saveexec_b32 s2, vcc_lo
	s_xor_b32 s2, exec_lo, s2
; %bb.87:
	v_bfe_u32 v3, v67, 16, 1
	s_delay_alu instid0(VALU_DEP_1)
	v_add3_u32 v3, v67, v3, 0x7fff
; %bb.88:
	s_and_not1_saveexec_b32 s2, s2
; %bb.89:
	v_and_b32_e32 v3, 0xffff, v67
	v_or_b32_e32 v4, 0x10000, v67
	s_delay_alu instid0(VALU_DEP_2) | instskip(NEXT) | instid1(VALU_DEP_2)
	v_cmp_eq_u32_e32 vcc_lo, 0, v3
	v_cndmask_b32_e32 v3, v4, v67, vcc_lo
; %bb.90:
	s_or_b32 exec_lo, exec_lo, s2
	v_and_b32_e32 v4, 0x7f800000, v68
	s_delay_alu instid0(VALU_DEP_1) | instskip(SKIP_1) | instid1(SALU_CYCLE_1)
	v_cmp_ne_u32_e32 vcc_lo, 0x7f800000, v4
                                        ; implicit-def: $vgpr4
	s_and_saveexec_b32 s2, vcc_lo
	s_xor_b32 s2, exec_lo, s2
; %bb.91:
	v_bfe_u32 v4, v68, 16, 1
	s_delay_alu instid0(VALU_DEP_1)
	v_add3_u32 v4, v68, v4, 0x7fff
; %bb.92:
	s_and_not1_saveexec_b32 s2, s2
; %bb.93:
	v_and_b32_e32 v4, 0xffff, v68
	v_or_b32_e32 v5, 0x10000, v68
	s_delay_alu instid0(VALU_DEP_2) | instskip(NEXT) | instid1(VALU_DEP_2)
	v_cmp_eq_u32_e32 vcc_lo, 0, v4
	v_cndmask_b32_e32 v4, v5, v68, vcc_lo
; %bb.94:
	s_or_b32 exec_lo, exec_lo, s2
	v_and_b32_e32 v5, 0x7f800000, v69
	s_delay_alu instid0(VALU_DEP_1) | instskip(SKIP_1) | instid1(SALU_CYCLE_1)
	v_cmp_ne_u32_e32 vcc_lo, 0x7f800000, v5
                                        ; implicit-def: $vgpr5
	s_and_saveexec_b32 s2, vcc_lo
	s_xor_b32 s2, exec_lo, s2
; %bb.95:
	v_bfe_u32 v5, v69, 16, 1
	s_delay_alu instid0(VALU_DEP_1)
	v_add3_u32 v5, v69, v5, 0x7fff
; %bb.96:
	s_and_not1_saveexec_b32 s2, s2
; %bb.97:
	v_and_b32_e32 v5, 0xffff, v69
	v_or_b32_e32 v6, 0x10000, v69
	s_delay_alu instid0(VALU_DEP_2) | instskip(NEXT) | instid1(VALU_DEP_2)
	v_cmp_eq_u32_e32 vcc_lo, 0, v5
	v_cndmask_b32_e32 v5, v6, v69, vcc_lo
; %bb.98:
	s_or_b32 exec_lo, exec_lo, s2
	v_and_b32_e32 v6, 0x7f800000, v70
	s_delay_alu instid0(VALU_DEP_1) | instskip(SKIP_1) | instid1(SALU_CYCLE_1)
	v_cmp_ne_u32_e32 vcc_lo, 0x7f800000, v6
                                        ; implicit-def: $vgpr6
	s_and_saveexec_b32 s2, vcc_lo
	s_xor_b32 s2, exec_lo, s2
; %bb.99:
	v_bfe_u32 v6, v70, 16, 1
	s_delay_alu instid0(VALU_DEP_1)
	v_add3_u32 v6, v70, v6, 0x7fff
; %bb.100:
	s_and_not1_saveexec_b32 s2, s2
; %bb.101:
	v_and_b32_e32 v6, 0xffff, v70
	v_or_b32_e32 v7, 0x10000, v70
	s_delay_alu instid0(VALU_DEP_2) | instskip(NEXT) | instid1(VALU_DEP_2)
	v_cmp_eq_u32_e32 vcc_lo, 0, v6
	v_cndmask_b32_e32 v6, v7, v70, vcc_lo
; %bb.102:
	s_or_b32 exec_lo, exec_lo, s2
	v_and_b32_e32 v7, 0x7f800000, v71
	s_delay_alu instid0(VALU_DEP_1) | instskip(SKIP_1) | instid1(SALU_CYCLE_1)
	v_cmp_ne_u32_e32 vcc_lo, 0x7f800000, v7
                                        ; implicit-def: $vgpr7
	s_and_saveexec_b32 s2, vcc_lo
	s_xor_b32 s2, exec_lo, s2
; %bb.103:
	v_bfe_u32 v7, v71, 16, 1
	s_delay_alu instid0(VALU_DEP_1)
	v_add3_u32 v7, v71, v7, 0x7fff
; %bb.104:
	s_and_not1_saveexec_b32 s2, s2
; %bb.105:
	v_and_b32_e32 v7, 0xffff, v71
	v_or_b32_e32 v8, 0x10000, v71
	s_delay_alu instid0(VALU_DEP_2) | instskip(NEXT) | instid1(VALU_DEP_2)
	v_cmp_eq_u32_e32 vcc_lo, 0, v7
	v_cndmask_b32_e32 v7, v8, v71, vcc_lo
; %bb.106:
	s_or_b32 exec_lo, exec_lo, s2
	v_and_b32_e32 v8, 0x7f800000, v72
	s_delay_alu instid0(VALU_DEP_1) | instskip(SKIP_1) | instid1(SALU_CYCLE_1)
	v_cmp_ne_u32_e32 vcc_lo, 0x7f800000, v8
                                        ; implicit-def: $vgpr8
	s_and_saveexec_b32 s2, vcc_lo
	s_xor_b32 s2, exec_lo, s2
; %bb.107:
	v_bfe_u32 v8, v72, 16, 1
	s_delay_alu instid0(VALU_DEP_1)
	v_add3_u32 v8, v72, v8, 0x7fff
                                        ; implicit-def: $vgpr65_vgpr66_vgpr67_vgpr68_vgpr69_vgpr70_vgpr71_vgpr72
; %bb.108:
	s_and_not1_saveexec_b32 s2, s2
; %bb.109:
	v_and_b32_e32 v8, 0xffff, v72
	v_or_b32_e32 v9, 0x10000, v72
	s_delay_alu instid0(VALU_DEP_2) | instskip(NEXT) | instid1(VALU_DEP_2)
	v_cmp_eq_u32_e32 vcc_lo, 0, v8
	v_cndmask_b32_e32 v8, v9, v72, vcc_lo
; %bb.110:
	s_or_b32 exec_lo, exec_lo, s2
	s_delay_alu instid0(VALU_DEP_1)
	v_perm_b32 v7, v8, v7, 0x7060302
	v_perm_b32 v6, v6, v5, 0x7060302
	;; [unrolled: 1-line block ×4, first 2 shown]
	s_barrier
	buffer_gl0_inv
	v_cmp_eq_u32_e32 vcc_lo, 1, v79
	ds_store_b128 v77, v[4:7]
	s_waitcnt lgkmcnt(0)
	s_barrier
	buffer_gl0_inv
	ds_load_b128 v[1:4], v83
	ds_load_b128 v[5:8], v83 offset:16
	v_cmp_eq_u32_e64 s2, 1, v80
	v_cmp_eq_u32_e64 s3, 2, v79
	;; [unrolled: 1-line block ×5, first 2 shown]
	s_waitcnt lgkmcnt(1)
	v_lshrrev_b32_e32 v9, 16, v1
	s_waitcnt lgkmcnt(0)
	v_lshrrev_b32_e32 v13, 16, v5
	v_lshrrev_b32_e32 v10, 16, v2
	;; [unrolled: 1-line block ×4, first 2 shown]
	v_cndmask_b32_e64 v19, v1, v9, s2
	v_cndmask_b32_e32 v18, v5, v13, vcc_lo
	v_cndmask_b32_e64 v20, v5, v13, s2
	v_cndmask_b32_e32 v17, v1, v9, vcc_lo
	v_cmp_eq_u32_e32 vcc_lo, 2, v80
	v_lshrrev_b32_e32 v15, 16, v7
	v_cmp_eq_u32_e64 s2, 1, v78
	v_lshrrev_b32_e32 v12, 16, v4
	v_lshrrev_b32_e32 v16, 16, v8
	v_cndmask_b32_e32 v20, v20, v6, vcc_lo
	v_cndmask_b32_e64 v17, v17, v2, s3
	v_cndmask_b32_e32 v19, v19, v2, vcc_lo
	v_cndmask_b32_e64 v18, v18, v6, s3
	v_cmp_eq_u32_e32 vcc_lo, 4, v79
	v_cmp_eq_u32_e64 s3, 3, v80
	v_cndmask_b32_e64 v17, v17, v10, s4
	v_cndmask_b32_e64 v21, v1, v9, s2
	;; [unrolled: 1-line block ×5, first 2 shown]
	v_cndmask_b32_e32 v17, v17, v3, vcc_lo
	v_cndmask_b32_e64 v20, v20, v14, s3
	v_cndmask_b32_e32 v18, v18, v7, vcc_lo
	v_cmp_eq_u32_e32 vcc_lo, 4, v80
	v_cmp_eq_u32_e64 s3, 5, v80
	v_cmp_eq_u32_e64 s2, 2, v82
	v_cndmask_b32_e64 v21, v21, v2, s6
	v_cmp_eq_u32_e64 s4, 5, v79
	v_cndmask_b32_e32 v19, v19, v3, vcc_lo
	v_cndmask_b32_e32 v20, v20, v7, vcc_lo
	v_cmp_eq_u32_e32 vcc_lo, 6, v80
	s_delay_alu instid0(VALU_DEP_4) | instskip(NEXT) | instid1(VALU_DEP_4)
	v_cndmask_b32_e64 v17, v17, v11, s4
	v_cndmask_b32_e64 v19, v19, v11, s3
	s_delay_alu instid0(VALU_DEP_4) | instskip(SKIP_1) | instid1(VALU_DEP_3)
	v_cndmask_b32_e64 v20, v20, v15, s3
	v_cmp_eq_u32_e64 s3, 1, v82
	v_cndmask_b32_e32 v19, v19, v4, vcc_lo
	v_cndmask_b32_e64 v18, v18, v15, s4
	s_delay_alu instid0(VALU_DEP_3)
	v_cndmask_b32_e64 v1, v1, v9, s3
	v_cndmask_b32_e64 v5, v5, v13, s3
	v_cmp_eq_u32_e64 s3, 3, v78
	v_cndmask_b32_e64 v13, v22, v6, s6
	v_cmp_eq_u32_e64 s6, 3, v82
	v_cndmask_b32_e64 v1, v1, v2, s2
	v_cndmask_b32_e64 v2, v5, v6, s2
	;; [unrolled: 1-line block ×3, first 2 shown]
	v_cmp_eq_u32_e64 s2, 4, v78
	v_cndmask_b32_e64 v6, v13, v14, s3
	v_cndmask_b32_e64 v1, v1, v10, s6
	v_cmp_eq_u32_e64 s3, 4, v82
	v_cndmask_b32_e64 v2, v2, v14, s6
	v_cndmask_b32_e64 v5, v9, v3, s2
	;; [unrolled: 3-line block ×3, first 2 shown]
	v_cndmask_b32_e64 v2, v2, v7, s3
	v_cmp_eq_u32_e64 s2, 5, v82
	v_cmp_eq_u32_e64 s4, 6, v79
	v_cndmask_b32_e64 v5, v5, v11, s6
	v_cmp_eq_u32_e64 s3, 6, v78
	v_cndmask_b32_e64 v3, v6, v15, s6
	v_cndmask_b32_e64 v1, v1, v11, s2
	v_cmp_eq_u32_e64 s6, 6, v82
	v_cndmask_b32_e64 v2, v2, v15, s2
	v_cndmask_b32_e64 v17, v17, v4, s4
	v_cndmask_b32_e64 v18, v18, v8, s4
	v_cmp_eq_u32_e64 s4, 7, v79
	v_cndmask_b32_e64 v5, v5, v4, s3
	;; [unrolled: 4-line block ×3, first 2 shown]
	v_cmp_eq_u32_e64 s3, 7, v78
	v_cndmask_b32_e32 v4, v20, v8, vcc_lo
	v_cndmask_b32_e64 v17, v17, v12, s4
	v_cndmask_b32_e64 v19, v19, v12, s5
	v_cndmask_b32_e64 v1, v1, v12, s2
	v_cndmask_b32_e64 v5, v5, v12, s3
	v_cndmask_b32_e64 v2, v2, v16, s2
	v_cndmask_b32_e64 v3, v3, v16, s3
	v_cndmask_b32_e64 v6, v4, v16, s5
	v_cndmask_b32_e64 v7, v18, v16, s4
	s_delay_alu instid0(VALU_DEP_4) | instskip(NEXT) | instid1(VALU_DEP_4)
	v_perm_b32 v4, v2, v1, 0x5040100
	v_perm_b32 v3, v3, v5, 0x5040100
	s_delay_alu instid0(VALU_DEP_4) | instskip(NEXT) | instid1(VALU_DEP_4)
	v_perm_b32 v2, v6, v19, 0x5040100
	v_perm_b32 v1, v7, v17, 0x5040100
	ds_store_b128 v77, v[1:4]
	s_waitcnt lgkmcnt(0)
	s_barrier
	buffer_gl0_inv
	s_and_saveexec_b32 s2, s29
	s_cbranch_execz .LBB1383_2
; %bb.111:
	s_load_b64 s[0:1], s[0:1], 0x68
	v_lshlrev_b32_e32 v0, 10, v0
	s_lshl_b32 s2, s34, 6
	v_lshlrev_b32_e32 v1, 4, v76
	v_mul_lo_u32 v4, s2, v75
	s_mul_i32 s3, s2, s30
	v_and_b32_e32 v0, 0x3800, v0
	s_mul_i32 s2, s3, s7
	s_delay_alu instid0(SALU_CYCLE_1) | instskip(NEXT) | instid1(VALU_DEP_1)
	s_ashr_i32 s3, s2, 31
	v_or3_b32 v0, v0, v74, v1
	s_lshl_b64 s[2:3], s[2:3], 1
	s_delay_alu instid0(VALU_DEP_3)
	v_ashrrev_i32_e32 v5, 31, v4
	ds_load_b128 v[0:3], v0
	v_lshlrev_b64 v[4:5], 1, v[4:5]
	s_waitcnt lgkmcnt(0)
	s_add_u32 s2, s0, s2
	s_addc_u32 s3, s1, s3
	s_lshl_b32 s0, s14, 6
	s_delay_alu instid0(SALU_CYCLE_1) | instskip(NEXT) | instid1(SALU_CYCLE_1)
	s_ashr_i32 s1, s0, 31
	s_lshl_b64 s[0:1], s[0:1], 1
	s_delay_alu instid0(SALU_CYCLE_1) | instskip(SKIP_3) | instid1(VALU_DEP_2)
	s_add_u32 s0, s2, s0
	s_addc_u32 s1, s3, s1
	v_add_co_u32 v4, vcc_lo, s0, v4
	v_add_co_ci_u32_e32 v5, vcc_lo, s1, v5, vcc_lo
	v_add_co_u32 v4, vcc_lo, v4, v73
	s_delay_alu instid0(VALU_DEP_2)
	v_add_co_ci_u32_e32 v5, vcc_lo, 0, v5, vcc_lo
	global_store_b128 v[4:5], v[0:3], off
	s_nop 0
	s_sendmsg sendmsg(MSG_DEALLOC_VGPRS)
	s_endpgm
	.section	.rodata,"a",@progbits
	.p2align	6, 0x0
	.amdhsa_kernel _Z39paged_attention_ll4mi_QKV_mfma16_kernelI14__hip_bfloat16hLN4vllm18Fp8KVCacheDataTypeE1EhLi16ELi64ELi256ELb0ELi2EL8MFMAType1EEvPKT_PKT0_S9_ifPKiSB_SB_iPKfiiiPfSE_PS4_PT2_iSD_SD_
		.amdhsa_group_segment_fixed_size 17472
		.amdhsa_private_segment_fixed_size 0
		.amdhsa_kernarg_size 400
		.amdhsa_user_sgpr_count 13
		.amdhsa_user_sgpr_dispatch_ptr 0
		.amdhsa_user_sgpr_queue_ptr 0
		.amdhsa_user_sgpr_kernarg_segment_ptr 1
		.amdhsa_user_sgpr_dispatch_id 0
		.amdhsa_user_sgpr_private_segment_size 0
		.amdhsa_wavefront_size32 1
		.amdhsa_uses_dynamic_stack 0
		.amdhsa_enable_private_segment 0
		.amdhsa_system_sgpr_workgroup_id_x 1
		.amdhsa_system_sgpr_workgroup_id_y 1
		.amdhsa_system_sgpr_workgroup_id_z 1
		.amdhsa_system_sgpr_workgroup_info 0
		.amdhsa_system_vgpr_workitem_id 0
		.amdhsa_next_free_vgpr 125
		.amdhsa_next_free_sgpr 38
		.amdhsa_reserve_vcc 1
		.amdhsa_float_round_mode_32 0
		.amdhsa_float_round_mode_16_64 0
		.amdhsa_float_denorm_mode_32 3
		.amdhsa_float_denorm_mode_16_64 3
		.amdhsa_dx10_clamp 1
		.amdhsa_ieee_mode 1
		.amdhsa_fp16_overflow 0
		.amdhsa_workgroup_processor_mode 1
		.amdhsa_memory_ordered 1
		.amdhsa_forward_progress 0
		.amdhsa_shared_vgpr_count 0
		.amdhsa_exception_fp_ieee_invalid_op 0
		.amdhsa_exception_fp_denorm_src 0
		.amdhsa_exception_fp_ieee_div_zero 0
		.amdhsa_exception_fp_ieee_overflow 0
		.amdhsa_exception_fp_ieee_underflow 0
		.amdhsa_exception_fp_ieee_inexact 0
		.amdhsa_exception_int_div_zero 0
	.end_amdhsa_kernel
	.section	.text._Z39paged_attention_ll4mi_QKV_mfma16_kernelI14__hip_bfloat16hLN4vllm18Fp8KVCacheDataTypeE1EhLi16ELi64ELi256ELb0ELi2EL8MFMAType1EEvPKT_PKT0_S9_ifPKiSB_SB_iPKfiiiPfSE_PS4_PT2_iSD_SD_,"axG",@progbits,_Z39paged_attention_ll4mi_QKV_mfma16_kernelI14__hip_bfloat16hLN4vllm18Fp8KVCacheDataTypeE1EhLi16ELi64ELi256ELb0ELi2EL8MFMAType1EEvPKT_PKT0_S9_ifPKiSB_SB_iPKfiiiPfSE_PS4_PT2_iSD_SD_,comdat
.Lfunc_end1383:
	.size	_Z39paged_attention_ll4mi_QKV_mfma16_kernelI14__hip_bfloat16hLN4vllm18Fp8KVCacheDataTypeE1EhLi16ELi64ELi256ELb0ELi2EL8MFMAType1EEvPKT_PKT0_S9_ifPKiSB_SB_iPKfiiiPfSE_PS4_PT2_iSD_SD_, .Lfunc_end1383-_Z39paged_attention_ll4mi_QKV_mfma16_kernelI14__hip_bfloat16hLN4vllm18Fp8KVCacheDataTypeE1EhLi16ELi64ELi256ELb0ELi2EL8MFMAType1EEvPKT_PKT0_S9_ifPKiSB_SB_iPKfiiiPfSE_PS4_PT2_iSD_SD_
                                        ; -- End function
	.section	.AMDGPU.csdata,"",@progbits
; Kernel info:
; codeLenInByte = 8492
; NumSgprs: 40
; NumVgprs: 125
; ScratchSize: 0
; MemoryBound: 0
; FloatMode: 240
; IeeeMode: 1
; LDSByteSize: 17472 bytes/workgroup (compile time only)
; SGPRBlocks: 4
; VGPRBlocks: 15
; NumSGPRsForWavesPerEU: 40
; NumVGPRsForWavesPerEU: 125
; Occupancy: 10
; WaveLimiterHint : 1
; COMPUTE_PGM_RSRC2:SCRATCH_EN: 0
; COMPUTE_PGM_RSRC2:USER_SGPR: 13
; COMPUTE_PGM_RSRC2:TRAP_HANDLER: 0
; COMPUTE_PGM_RSRC2:TGID_X_EN: 1
; COMPUTE_PGM_RSRC2:TGID_Y_EN: 1
; COMPUTE_PGM_RSRC2:TGID_Z_EN: 1
; COMPUTE_PGM_RSRC2:TIDIG_COMP_CNT: 0
	.section	.text._Z39paged_attention_ll4mi_QKV_mfma16_kernelI14__hip_bfloat16hLN4vllm18Fp8KVCacheDataTypeE1EhLi16ELi64ELi256ELb0ELi3EL8MFMAType1EEvPKT_PKT0_S9_ifPKiSB_SB_iPKfiiiPfSE_PS4_PT2_iSD_SD_,"axG",@progbits,_Z39paged_attention_ll4mi_QKV_mfma16_kernelI14__hip_bfloat16hLN4vllm18Fp8KVCacheDataTypeE1EhLi16ELi64ELi256ELb0ELi3EL8MFMAType1EEvPKT_PKT0_S9_ifPKiSB_SB_iPKfiiiPfSE_PS4_PT2_iSD_SD_,comdat
	.protected	_Z39paged_attention_ll4mi_QKV_mfma16_kernelI14__hip_bfloat16hLN4vllm18Fp8KVCacheDataTypeE1EhLi16ELi64ELi256ELb0ELi3EL8MFMAType1EEvPKT_PKT0_S9_ifPKiSB_SB_iPKfiiiPfSE_PS4_PT2_iSD_SD_ ; -- Begin function _Z39paged_attention_ll4mi_QKV_mfma16_kernelI14__hip_bfloat16hLN4vllm18Fp8KVCacheDataTypeE1EhLi16ELi64ELi256ELb0ELi3EL8MFMAType1EEvPKT_PKT0_S9_ifPKiSB_SB_iPKfiiiPfSE_PS4_PT2_iSD_SD_
	.globl	_Z39paged_attention_ll4mi_QKV_mfma16_kernelI14__hip_bfloat16hLN4vllm18Fp8KVCacheDataTypeE1EhLi16ELi64ELi256ELb0ELi3EL8MFMAType1EEvPKT_PKT0_S9_ifPKiSB_SB_iPKfiiiPfSE_PS4_PT2_iSD_SD_
	.p2align	8
	.type	_Z39paged_attention_ll4mi_QKV_mfma16_kernelI14__hip_bfloat16hLN4vllm18Fp8KVCacheDataTypeE1EhLi16ELi64ELi256ELb0ELi3EL8MFMAType1EEvPKT_PKT0_S9_ifPKiSB_SB_iPKfiiiPfSE_PS4_PT2_iSD_SD_,@function
_Z39paged_attention_ll4mi_QKV_mfma16_kernelI14__hip_bfloat16hLN4vllm18Fp8KVCacheDataTypeE1EhLi16ELi64ELi256ELb0ELi3EL8MFMAType1EEvPKT_PKT0_S9_ifPKiSB_SB_iPKfiiiPfSE_PS4_PT2_iSD_SD_: ; @_Z39paged_attention_ll4mi_QKV_mfma16_kernelI14__hip_bfloat16hLN4vllm18Fp8KVCacheDataTypeE1EhLi16ELi64ELi256ELb0ELi3EL8MFMAType1EEvPKT_PKT0_S9_ifPKiSB_SB_iPKfiiiPfSE_PS4_PT2_iSD_SD_
; %bb.0:
	s_load_b64 s[2:3], s[0:1], 0x30
	s_mov_b32 s34, s13
	s_waitcnt lgkmcnt(0)
	s_cmp_lg_u64 s[2:3], 0
	s_cselect_b32 s8, -1, 0
	s_ashr_i32 s35, s13, 31
	s_cmp_eq_u64 s[2:3], 0
	s_cbranch_scc1 .LBB1384_3
; %bb.1:
	s_lshl_b64 s[4:5], s[34:35], 2
	s_delay_alu instid0(SALU_CYCLE_1) | instskip(SKIP_4) | instid1(SALU_CYCLE_1)
	s_add_u32 s4, s2, s4
	s_addc_u32 s5, s3, s5
	s_load_b64 s[4:5], s[4:5], 0x0
	s_waitcnt lgkmcnt(0)
	s_sub_i32 s4, s5, s4
	s_cmp_eq_u32 s4, 1
	s_cselect_b32 s4, -1, 0
	s_delay_alu instid0(SALU_CYCLE_1)
	s_and_not1_b32 vcc_lo, exec_lo, s4
	s_cbranch_vccz .LBB1384_4
.LBB1384_2:
	s_nop 0
	s_sendmsg sendmsg(MSG_DEALLOC_VGPRS)
	s_endpgm
.LBB1384_3:
.LBB1384_4:
	s_load_b64 s[4:5], s[0:1], 0x28
	s_lshl_b64 s[6:7], s[34:35], 2
	s_waitcnt lgkmcnt(0)
	s_add_u32 s4, s4, s6
	s_addc_u32 s5, s5, s7
	s_lshl_b32 s12, s14, 8
	s_load_b32 s24, s[4:5], 0x0
	s_waitcnt lgkmcnt(0)
	s_cmp_ge_i32 s12, s24
	s_cbranch_scc1 .LBB1384_2
; %bb.5:
	s_clause 0x1
	s_load_b128 s[20:23], s[0:1], 0x8
	s_load_b64 s[4:5], s[0:1], 0x20
	s_and_not1_b32 vcc_lo, exec_lo, s8
	s_cbranch_vccnz .LBB1384_7
; %bb.6:
	s_add_u32 s2, s2, s6
	s_addc_u32 s3, s3, s7
	s_load_b32 s3, s[2:3], 0x0
	s_branch .LBB1384_8
.LBB1384_7:
	s_mov_b32 s3, s34
.LBB1384_8:
	s_load_b128 s[16:19], s[0:1], 0x48
	v_lshrrev_b32_e32 v66, 5, v0
	v_bfe_u32 v74, v0, 4, 1
	v_and_b32_e32 v65, 15, v0
	v_and_b32_e32 v67, 31, v0
	;; [unrolled: 1-line block ×3, first 2 shown]
	s_mul_i32 s31, s15, 3
	v_lshl_or_b32 v1, v66, 1, v74
	v_lshlrev_b32_e32 v2, 3, v65
	v_cmp_gt_u32_e64 s2, 8, v65
	s_delay_alu instid0(VALU_DEP_3) | instskip(NEXT) | instid1(VALU_DEP_3)
	v_cmp_gt_u32_e32 vcc_lo, 3, v1
	v_lshlrev_b32_e32 v73, 1, v2
	s_delay_alu instid0(VALU_DEP_3) | instskip(NEXT) | instid1(SALU_CYCLE_1)
	s_and_b32 s7, s2, vcc_lo
	s_and_saveexec_b32 s6, s7
	s_cbranch_execz .LBB1384_10
; %bb.9:
	s_load_b64 s[8:9], s[0:1], 0x0
	v_add_lshl_u32 v2, v1, s31, 6
	s_waitcnt lgkmcnt(0)
	s_mul_hi_i32 s11, s3, s16
	s_mul_i32 s10, s3, s16
	v_lshlrev_b32_e32 v6, 10, v65
	s_lshl_b64 s[10:11], s[10:11], 1
	v_ashrrev_i32_e32 v3, 31, v2
	v_lshlrev_b32_e32 v1, 6, v1
	v_lshlrev_b32_e32 v7, 10, v75
	v_and_b32_e32 v6, 0x3800, v6
	s_delay_alu instid0(VALU_DEP_4) | instskip(NEXT) | instid1(VALU_DEP_2)
	v_lshlrev_b64 v[2:3], 1, v[2:3]
	v_or3_b32 v1, v6, v7, v1
	s_add_u32 s3, s8, s10
	s_addc_u32 s7, s9, s11
	s_delay_alu instid0(VALU_DEP_2) | instskip(NEXT) | instid1(VALU_DEP_3)
	v_add_co_u32 v2, vcc_lo, s3, v2
	v_add_co_ci_u32_e32 v3, vcc_lo, s7, v3, vcc_lo
	s_delay_alu instid0(VALU_DEP_2) | instskip(NEXT) | instid1(VALU_DEP_2)
	v_add_co_u32 v2, vcc_lo, v2, v73
	v_add_co_ci_u32_e32 v3, vcc_lo, 0, v3, vcc_lo
	global_load_b128 v[2:5], v[2:3], off
	s_waitcnt vmcnt(0)
	ds_store_b128 v1, v[2:5]
.LBB1384_10:
	s_or_b32 exec_lo, exec_lo, s6
	v_and_b32_e32 v1, 0xef, v0
	s_waitcnt lgkmcnt(0)
	s_add_i32 s3, s24, 15
	s_clause 0x1
	s_load_b32 s6, s[0:1], 0x38
	s_load_b32 s19, s[0:1], 0x1c
	s_ashr_i32 s7, s3, 31
	v_add_nc_u32_e32 v1, s12, v1
	s_lshr_b32 s7, s7, 28
	s_waitcnt lgkmcnt(0)
	s_add_i32 s3, s3, s7
	s_barrier
	v_ashrrev_i32_e32 v2, 31, v1
	v_or_b32_e32 v3, 16, v1
	s_ashr_i32 s3, s3, 4
	v_cmp_gt_i32_e32 vcc_lo, s24, v1
	s_add_i32 s3, s3, -1
	v_lshrrev_b32_e32 v2, 28, v2
	buffer_gl0_inv
	s_mul_i32 s27, s15, s18
	v_add_nc_u32_e32 v4, v1, v2
	s_mul_i32 s6, s34, s6
	s_delay_alu instid0(SALU_CYCLE_1) | instskip(NEXT) | instid1(VALU_DEP_1)
	s_ashr_i32 s7, s6, 31
	v_ashrrev_i32_e32 v4, 4, v4
	v_add_nc_u32_e32 v2, v3, v2
	s_lshl_b64 s[6:7], s[6:7], 2
	s_delay_alu instid0(SALU_CYCLE_1) | instskip(NEXT) | instid1(VALU_DEP_2)
	s_add_u32 s26, s4, s6
	v_cndmask_b32_e32 v1, s3, v4, vcc_lo
	s_delay_alu instid0(VALU_DEP_2)
	v_ashrrev_i32_e32 v2, 4, v2
	v_cmp_gt_i32_e32 vcc_lo, s24, v3
	s_addc_u32 s25, s5, s7
	s_ashr_i32 s28, s27, 31
	s_add_u32 s13, s20, s27
	s_addc_u32 s15, s21, s28
	v_cndmask_b32_e32 v3, s3, v2, vcc_lo
	v_ashrrev_i32_e32 v2, 31, v1
	s_lshl_b32 s4, s14, 4
	s_delay_alu instid0(SALU_CYCLE_1) | instskip(NEXT) | instid1(VALU_DEP_2)
	s_ashr_i32 s5, s4, 31
	v_ashrrev_i32_e32 v4, 31, v3
	s_delay_alu instid0(VALU_DEP_2) | instskip(SKIP_1) | instid1(SALU_CYCLE_1)
	v_lshlrev_b64 v[1:2], 2, v[1:2]
	s_lshl_b64 s[4:5], s[4:5], 2
	s_add_u32 s4, s26, s4
	s_delay_alu instid0(VALU_DEP_2) | instskip(SKIP_1) | instid1(VALU_DEP_2)
	v_lshlrev_b64 v[3:4], 2, v[3:4]
	s_addc_u32 s5, s25, s5
	v_add_co_u32 v1, vcc_lo, s26, v1
	v_add_co_ci_u32_e32 v2, vcc_lo, s25, v2, vcc_lo
	s_delay_alu instid0(VALU_DEP_3) | instskip(NEXT) | instid1(VALU_DEP_4)
	v_add_co_u32 v3, vcc_lo, s26, v3
	v_add_co_ci_u32_e32 v4, vcc_lo, s25, v4, vcc_lo
	s_clause 0x1
	global_load_b32 v5, v[1:2], off
	global_load_b32 v7, v[3:4], off
	s_or_b32 s6, s12, 32
	v_lshlrev_b32_e32 v1, 4, v0
	s_ashr_i32 s7, s6, 4
	s_cmp_lt_i32 s6, s24
	s_cselect_b32 s6, s7, s3
	s_delay_alu instid0(VALU_DEP_1) | instskip(SKIP_1) | instid1(SALU_CYCLE_1)
	v_and_b32_e32 v1, 0xf0, v1
	s_ashr_i32 s7, s6, 31
	s_lshl_b64 s[6:7], s[6:7], 2
	s_delay_alu instid0(SALU_CYCLE_1)
	s_add_u32 s6, s26, s6
	s_addc_u32 s7, s25, s7
	s_or_b32 s8, s12, 64
	v_add_co_u32 v1, s13, s13, v1
	s_ashr_i32 s9, s8, 4
	s_cmp_lt_i32 s8, s24
	v_add_co_ci_u32_e64 v2, null, s15, 0, s13
	s_cselect_b32 s8, s9, s3
	s_delay_alu instid0(SALU_CYCLE_1) | instskip(NEXT) | instid1(SALU_CYCLE_1)
	s_ashr_i32 s9, s8, 31
	s_lshl_b64 s[8:9], s[8:9], 2
	s_delay_alu instid0(SALU_CYCLE_1) | instskip(SKIP_2) | instid1(SALU_CYCLE_1)
	s_add_u32 s8, s26, s8
	s_addc_u32 s9, s25, s9
	s_or_b32 s10, s12, 0x60
	s_ashr_i32 s11, s10, 4
	s_cmp_lt_i32 s10, s24
	s_cselect_b32 s10, s11, s3
	s_delay_alu instid0(SALU_CYCLE_1) | instskip(NEXT) | instid1(SALU_CYCLE_1)
	s_ashr_i32 s11, s10, 31
	s_lshl_b64 s[10:11], s[10:11], 2
	s_delay_alu instid0(SALU_CYCLE_1) | instskip(SKIP_2) | instid1(SALU_CYCLE_1)
	s_add_u32 s10, s26, s10
	s_addc_u32 s11, s25, s11
	s_or_b32 s16, s12, 0x80
	s_ashr_i32 s18, s16, 4
	s_cmp_lt_i32 s16, s24
	;; [unrolled: 10-line block ×3, first 2 shown]
	s_cselect_b32 s20, s18, s3
	s_delay_alu instid0(SALU_CYCLE_1) | instskip(NEXT) | instid1(SALU_CYCLE_1)
	s_ashr_i32 s21, s20, 31
	s_lshl_b64 s[20:21], s[20:21], 2
	s_delay_alu instid0(SALU_CYCLE_1)
	s_add_u32 s38, s26, s20
	s_addc_u32 s39, s25, s21
	s_clause 0x5
	s_load_b32 s21, s[4:5], 0x0
	s_load_b32 s13, s[6:7], 0x0
	;; [unrolled: 1-line block ×6, first 2 shown]
	s_or_b32 s9, s12, 0xc0
	s_mov_b32 s4, 0
	s_ashr_i32 s10, s9, 4
	s_cmp_lt_i32 s9, s24
	s_mov_b32 s11, s4
	s_cselect_b32 s36, s10, s3
	s_mov_b32 s5, s4
	s_ashr_i32 s37, s36, 31
	s_mov_b32 s6, s4
	s_lshl_b64 s[36:37], s[36:37], 2
	s_mov_b32 s7, s4
	s_add_u32 s36, s26, s36
	s_addc_u32 s37, s25, s37
	s_or_b32 s29, s12, 0xe0
	s_mov_b32 s8, s4
	s_ashr_i32 s30, s29, 4
	s_mov_b32 s9, s4
	s_mov_b32 s10, s4
	s_cmp_lt_i32 s29, s24
	v_dual_mov_b32 v107, s11 :: v_dual_mov_b32 v100, s4
	v_mov_b32_e32 v106, s10
	v_dual_mov_b32 v104, s8 :: v_dual_mov_b32 v103, s7
	v_dual_mov_b32 v102, s6 :: v_dual_mov_b32 v101, s5
	s_waitcnt vmcnt(1)
	v_mad_i64_i32 v[3:4], null, v5, s17, v[1:2]
	s_waitcnt vmcnt(0)
	v_mad_i64_i32 v[5:6], null, v7, s17, v[1:2]
	v_mul_lo_u16 v1, 0x56, v65
	v_lshlrev_b32_e32 v2, 4, v65
	s_clause 0x7
	global_load_b128 v[49:52], v[3:4], off
	global_load_b128 v[53:56], v[3:4], off offset:256
	global_load_b128 v[76:79], v[5:6], off
	global_load_b128 v[80:83], v[5:6], off offset:256
	global_load_b128 v[84:87], v[3:4], off offset:512
	;; [unrolled: 1-line block ×5, first 2 shown]
	v_lshrrev_b16 v1, 8, v1
	v_lshl_or_b32 v2, v66, 8, v2
	s_delay_alu instid0(VALU_DEP_2) | instskip(NEXT) | instid1(VALU_DEP_1)
	v_mul_lo_u16 v1, v1, 3
	v_sub_nc_u16 v1, v65, v1
	s_delay_alu instid0(VALU_DEP_1)
	v_and_b32_e32 v1, 0xff, v1
	v_mov_b32_e32 v105, s9
	s_cselect_b32 s4, s30, s3
	s_load_b32 s3, s[36:37], 0x0
	s_ashr_i32 s5, s4, 31
	v_lshlrev_b32_e32 v70, 6, v1
	s_lshl_b64 s[4:5], s[4:5], 2
	ds_load_b128 v[108:111], v70
	ds_load_b128 v[112:115], v70 offset:1024
	s_add_u32 s4, s26, s4
	s_addc_u32 s5, s25, s5
	s_add_u32 s6, s22, s27
	s_load_b32 s4, s[4:5], 0x0
	s_addc_u32 s7, s23, s28
	v_add_co_u32 v9, s6, s6, v2
	s_delay_alu instid0(VALU_DEP_1) | instskip(SKIP_1) | instid1(VALU_DEP_1)
	v_add_co_ci_u32_e64 v10, null, s7, 0, s6
	s_waitcnt lgkmcnt(0)
	v_mad_i64_i32 v[1:2], null, s21, s17, v[9:10]
	v_mad_i64_i32 v[3:4], null, s13, s17, v[9:10]
	;; [unrolled: 1-line block ×7, first 2 shown]
	s_clause 0x9
	global_load_b128 v[57:60], v[1:2], off
	global_load_b128 v[61:64], v[1:2], off offset:16
	global_load_b128 v[41:44], v[3:4], off
	global_load_b128 v[45:48], v[3:4], off offset:16
	;; [unrolled: 2-line block ×5, first 2 shown]
	v_mad_i64_i32 v[68:69], null, s4, s17, v[9:10]
	s_clause 0x3
	global_load_b128 v[9:12], v[13:14], off
	global_load_b128 v[13:16], v[13:14], off offset:16
	global_load_b128 v[17:20], v[21:22], off
	global_load_b128 v[21:24], v[21:22], off offset:16
	s_waitcnt vmcnt(20)
	v_wmma_f32_16x16x16_bf16 v[116:123], v[49:56], v[108:115], v[100:107]
	s_clause 0x1
	global_load_b128 v[49:52], v[68:69], off
	global_load_b128 v[53:56], v[68:69], off offset:16
	v_and_b32_e32 v68, 0xe0, v0
	v_mbcnt_lo_u32_b32 v69, -1, 0
	s_delay_alu instid0(VALU_DEP_2)
	v_add_nc_u32_e32 v68, s12, v68
	s_waitcnt vmcnt(20)
	v_wmma_f32_16x16x16_bf16 v[100:107], v[76:83], v[108:115], v[100:107]
	ds_load_b128 v[76:79], v70 offset:2048
	ds_load_b128 v[80:83], v70 offset:3072
	v_xor_b32_e32 v70, 16, v69
	s_waitcnt vmcnt(0) lgkmcnt(0)
	v_or_b32_e32 v68, v68, v74
	s_barrier
	buffer_gl0_inv
	v_cmp_gt_i32_e32 vcc_lo, 32, v70
	v_or_b32_e32 v71, 4, v68
	v_or_b32_e32 v72, 6, v68
	v_cmp_gt_i32_e64 s3, s24, v68
	v_or_b32_e32 v108, 8, v68
	v_or_b32_e32 v109, 10, v68
	v_cmp_gt_i32_e64 s4, s24, v71
	v_cmp_gt_i32_e64 s5, s24, v72
	s_delay_alu instid0(VALU_DEP_4) | instskip(NEXT) | instid1(VALU_DEP_4)
	v_cmp_gt_i32_e64 s6, s24, v108
	v_cmp_gt_i32_e64 s7, s24, v109
	v_wmma_f32_16x16x16_bf16 v[116:123], v[84:91], v[76:83], v[116:123]
	v_cndmask_b32_e32 v69, v69, v70, vcc_lo
	v_or_b32_e32 v70, 2, v68
	v_wmma_f32_16x16x16_bf16 v[100:107], v[92:99], v[76:83], v[100:107]
	v_or_b32_e32 v89, 22, v68
	v_dual_mul_f32 v80, s19, v121 :: v_dual_mul_f32 v81, s19, v120
	v_dual_mul_f32 v92, s19, v117 :: v_dual_mul_f32 v93, s19, v116
	s_delay_alu instid0(VALU_DEP_4)
	v_mul_f32_e32 v96, s19, v105
	v_cmp_gt_i32_e32 vcc_lo, s24, v70
	v_dual_mul_f32 v79, s19, v122 :: v_dual_mul_f32 v82, s19, v119
	v_dual_mul_f32 v83, s19, v118 :: v_dual_mul_f32 v94, s19, v107
	v_cndmask_b32_e64 v93, 0xff7fffff, v93, s3
	v_cndmask_b32_e32 v92, 0xff7fffff, v92, vcc_lo
	v_or_b32_e32 v84, 12, v68
	v_or_b32_e32 v85, 14, v68
	v_cndmask_b32_e64 v71, 0xff7fffff, v83, s4
	v_cndmask_b32_e64 v72, 0xff7fffff, v82, s5
	v_cmp_gt_i32_e64 s13, s24, v89
	v_lshlrev_b32_e32 v89, 2, v69
	v_max3_f32 v82, v93, 0xff7fffff, v92
	v_or_b32_e32 v86, 16, v68
	v_or_b32_e32 v87, 18, v68
	v_mul_f32_e32 v78, s19, v123
	v_cndmask_b32_e64 v81, 0xff7fffff, v81, s6
	v_cndmask_b32_e64 v80, 0xff7fffff, v80, s7
	v_max3_f32 v71, v82, v71, v72
	v_cmp_gt_i32_e64 s8, s24, v84
	v_cmp_gt_i32_e64 s9, s24, v85
	v_or_b32_e32 v88, 20, v68
	v_or_b32_e32 v90, 24, v68
	;; [unrolled: 1-line block ×5, first 2 shown]
	v_dual_mul_f32 v97, s19, v104 :: v_dual_mul_f32 v70, s19, v101
	v_dual_mul_f32 v99, s19, v102 :: v_dual_mul_f32 v68, s19, v100
	v_cndmask_b32_e64 v72, 0xff7fffff, v79, s8
	v_cndmask_b32_e64 v78, 0xff7fffff, v78, s9
	v_max3_f32 v71, v71, v81, v80
	v_cmp_gt_i32_e64 s10, s24, v86
	v_cmp_gt_i32_e64 s11, s24, v87
	v_dual_mul_f32 v95, s19, v106 :: v_dual_mul_f32 v98, s19, v103
	s_delay_alu instid0(VALU_DEP_4) | instskip(NEXT) | instid1(VALU_DEP_4)
	v_max3_f32 v71, v71, v72, v78
	v_cndmask_b32_e64 v68, 0xff7fffff, v68, s10
	s_delay_alu instid0(VALU_DEP_4)
	v_cndmask_b32_e64 v70, 0xff7fffff, v70, s11
	v_cmp_gt_i32_e64 s12, s24, v88
	v_cndmask_b32_e64 v78, 0xff7fffff, v98, s13
	v_cmp_gt_i32_e64 s15, s24, v90
	v_cmp_gt_i32_e64 s16, s24, v91
	v_max3_f32 v68, v71, v68, v70
	v_cndmask_b32_e64 v72, 0xff7fffff, v99, s12
	v_cmp_gt_i32_e64 s17, s24, v76
	v_cndmask_b32_e64 v70, 0xff7fffff, v97, s15
	v_cndmask_b32_e64 v71, 0xff7fffff, v96, s16
	v_cmp_gt_i32_e64 s18, s24, v77
	v_max3_f32 v68, v68, v72, v78
	v_cndmask_b32_e64 v72, 0xff7fffff, v95, s17
	s_delay_alu instid0(VALU_DEP_3) | instskip(NEXT) | instid1(VALU_DEP_3)
	v_cndmask_b32_e64 v76, 0xff7fffff, v94, s18
	v_max3_f32 v68, v68, v70, v71
	s_delay_alu instid0(VALU_DEP_1) | instskip(SKIP_3) | instid1(VALU_DEP_1)
	v_max3_f32 v68, v68, v72, v76
	ds_bpermute_b32 v69, v89, v68
	s_waitcnt lgkmcnt(0)
	v_max_f32_e32 v69, v69, v69
	v_max_f32_e32 v68, v68, v69
	s_delay_alu instid0(VALU_DEP_1) | instskip(NEXT) | instid1(VALU_DEP_1)
	v_fma_f32 v71, s19, v118, -v68
	v_mul_f32_e32 v71, 0x3fb8aa3b, v71
	v_fma_f32 v70, s19, v117, -v68
	v_fma_f32 v69, s19, v116, -v68
	;; [unrolled: 1-line block ×5, first 2 shown]
	s_delay_alu instid0(VALU_DEP_4) | instskip(SKIP_1) | instid1(VALU_DEP_3)
	v_dual_mul_f32 v70, 0x3fb8aa3b, v70 :: v_dual_mul_f32 v69, 0x3fb8aa3b, v69
	v_exp_f32_e32 v71, v71
	v_mul_f32_e32 v72, 0x3fb8aa3b, v72
	v_fma_f32 v81, s19, v105, -v68
	s_delay_alu instid0(VALU_DEP_3)
	v_exp_f32_e32 v70, v70
	v_mul_f32_e32 v77, 0x3fb8aa3b, v76
	v_exp_f32_e32 v69, v69
	v_exp_f32_e32 v72, v72
	v_mul_f32_e32 v81, 0x3fb8aa3b, v81
	v_cndmask_b32_e64 v83, 0, v71, s4
	v_fma_f32 v71, s19, v123, -v68
	s_delay_alu instid0(VALU_DEP_3) | instskip(SKIP_4) | instid1(TRANS32_DEP_3)
	v_exp_f32_e32 v81, v81
	v_cndmask_b32_e32 v76, 0, v70, vcc_lo
	v_exp_f32_e32 v77, v77
	v_cndmask_b32_e64 v80, 0, v69, s3
	v_fma_f32 v69, s19, v121, -v68
	v_cndmask_b32_e64 v85, 0, v72, s5
	v_mul_f32_e32 v71, 0x3fb8aa3b, v71
	v_fma_f32 v72, s19, v100, -v68
	s_delay_alu instid0(VALU_DEP_4) | instskip(SKIP_1) | instid1(VALU_DEP_4)
	v_dual_add_f32 v70, 0, v80 :: v_dual_mul_f32 v69, 0x3fb8aa3b, v69
	v_cmp_gt_u32_e64 s3, 16, v67
	v_exp_f32_e32 v71, v71
	s_delay_alu instid0(TRANS32_DEP_2) | instskip(SKIP_4) | instid1(VALU_DEP_3)
	v_cndmask_b32_e64 v86, 0, v77, s6
	v_fma_f32 v77, s19, v101, -v68
	v_mul_f32_e32 v78, 0x3fb8aa3b, v78
	v_add_f32_e32 v70, v70, v76
	v_exp_f32_e32 v69, v69
	v_mul_f32_e32 v77, 0x3fb8aa3b, v77
	s_delay_alu instid0(VALU_DEP_3) | instskip(NEXT) | instid1(TRANS32_DEP_3)
	v_exp_f32_e32 v78, v78
	v_cndmask_b32_e64 v88, 0, v71, s9
	v_fma_f32 v71, s19, v104, -v68
	s_delay_alu instid0(VALU_DEP_3) | instskip(NEXT) | instid1(TRANS32_DEP_3)
	v_exp_f32_e32 v77, v77
	v_cndmask_b32_e64 v87, 0, v69, s7
	s_delay_alu instid0(VALU_DEP_2)
	v_mul_f32_e32 v71, 0x3fb8aa3b, v71
	s_waitcnt_depctr 0xfff
	v_cndmask_b32_e64 v84, 0, v78, s8
	v_add_f32_e32 v70, v70, v83
	v_fma_f32 v78, s19, v103, -v68
	v_exp_f32_e32 v82, v71
	s_delay_alu instid0(VALU_DEP_2) | instskip(SKIP_1) | instid1(VALU_DEP_3)
	v_add_f32_e32 v70, v70, v85
	v_mul_f32_e32 v72, 0x3fb8aa3b, v72
	v_mul_f32_e32 v78, 0x3fb8aa3b, v78
	s_delay_alu instid0(VALU_DEP_3) | instskip(SKIP_1) | instid1(VALU_DEP_4)
	v_add_f32_e32 v69, v70, v86
	v_fma_f32 v70, s19, v102, -v68
	v_exp_f32_e32 v72, v72
	s_delay_alu instid0(VALU_DEP_3) | instskip(NEXT) | instid1(VALU_DEP_1)
	v_exp_f32_e32 v78, v78
	v_dual_add_f32 v69, v69, v87 :: v_dual_mul_f32 v70, 0x3fb8aa3b, v70
	s_delay_alu instid0(VALU_DEP_1) | instskip(NEXT) | instid1(VALU_DEP_2)
	v_add_f32_e32 v69, v69, v84
	v_exp_f32_e32 v79, v70
	s_delay_alu instid0(TRANS32_DEP_3) | instskip(NEXT) | instid1(VALU_DEP_2)
	v_cndmask_b32_e64 v70, 0, v72, s10
	v_add_f32_e32 v72, v69, v88
	v_cndmask_b32_e64 v69, 0, v77, s11
	v_fma_f32 v77, s19, v106, -v68
	s_waitcnt_depctr 0xfff
	v_cndmask_b32_e64 v71, 0, v79, s12
	v_dual_mul_f32 v77, 0x3fb8aa3b, v77 :: v_dual_add_f32 v72, v72, v70
	s_delay_alu instid0(VALU_DEP_1) | instskip(NEXT) | instid1(VALU_DEP_1)
	v_exp_f32_e32 v90, v77
	v_add_f32_e32 v79, v72, v69
	v_cndmask_b32_e64 v72, 0, v78, s13
	v_cndmask_b32_e64 v77, 0, v82, s15
	s_delay_alu instid0(VALU_DEP_3) | instskip(SKIP_1) | instid1(VALU_DEP_1)
	v_add_f32_e32 v78, v79, v71
	v_fma_f32 v79, s19, v107, -v68
	v_dual_add_f32 v82, v78, v72 :: v_dual_mul_f32 v79, 0x3fb8aa3b, v79
	v_cndmask_b32_e64 v78, 0, v81, s16
	s_delay_alu instid0(VALU_DEP_2) | instskip(NEXT) | instid1(VALU_DEP_3)
	v_add_f32_e32 v81, v82, v77
	v_exp_f32_e32 v82, v79
	v_cndmask_b32_e64 v79, 0, v90, s17
	s_delay_alu instid0(VALU_DEP_2) | instskip(NEXT) | instid1(VALU_DEP_1)
	v_add_f32_e32 v81, v81, v78
	v_add_f32_e32 v90, v81, v79
	s_waitcnt_depctr 0xfff
	v_cndmask_b32_e64 v81, 0, v82, s18
	s_delay_alu instid0(VALU_DEP_1)
	v_add_f32_e32 v82, v90, v81
	ds_bpermute_b32 v89, v89, v82
	s_and_saveexec_b32 s4, s3
	s_cbranch_execz .LBB1384_12
; %bb.11:
	v_mul_u32_u24_e32 v67, 0x44, v66
	s_delay_alu instid0(VALU_DEP_1) | instskip(SKIP_1) | instid1(VALU_DEP_1)
	v_lshl_add_u32 v67, v65, 2, v67
	s_waitcnt lgkmcnt(0)
	v_dual_add_f32 v82, v82, v89 :: v_dual_add_nc_u32 v67, 0x4000, v67
	ds_store_2addr_b32 v67, v68, v82 offset1:136
.LBB1384_12:
	s_or_b32 exec_lo, exec_lo, s4
	v_lshlrev_b32_e32 v67, 2, v65
	s_waitcnt lgkmcnt(0)
	s_barrier
	buffer_gl0_inv
	v_cmp_eq_u32_e32 vcc_lo, 1, v66
	v_add_nc_u32_e32 v82, 0x4000, v67
	v_cmp_eq_u32_e64 s4, 2, v66
	v_cmp_eq_u32_e64 s6, 7, v66
	ds_load_2addr_b32 v[89:90], v82 offset1:17
	ds_load_2addr_b32 v[91:92], v82 offset0:34 offset1:51
	ds_load_2addr_b32 v[93:94], v82 offset0:68 offset1:85
	;; [unrolled: 1-line block ×4, first 2 shown]
	s_waitcnt lgkmcnt(4)
	v_max3_f32 v67, v89, 0xff7fffff, v90
	s_waitcnt lgkmcnt(3)
	s_delay_alu instid0(VALU_DEP_1) | instskip(SKIP_1) | instid1(VALU_DEP_1)
	v_max3_f32 v67, v67, v91, v92
	s_waitcnt lgkmcnt(2)
	v_max3_f32 v67, v67, v93, v94
	s_waitcnt lgkmcnt(1)
	s_delay_alu instid0(VALU_DEP_1) | instskip(NEXT) | instid1(VALU_DEP_1)
	v_max3_f32 v67, v67, v95, v96
	v_sub_f32_e32 v93, v93, v67
	s_delay_alu instid0(VALU_DEP_1) | instskip(NEXT) | instid1(VALU_DEP_1)
	v_dual_sub_f32 v68, v89, v67 :: v_dual_mul_f32 v103, 0x3fb8aa3b, v93
	v_mul_f32_e32 v68, 0x3fb8aa3b, v68
	s_delay_alu instid0(VALU_DEP_1)
	v_exp_f32_e32 v100, v68
	v_sub_f32_e32 v68, v92, v67
	v_sub_f32_e32 v99, v90, v67
	ds_load_2addr_b32 v[89:90], v82 offset0:170 offset1:187
	v_dual_mul_f32 v102, 0x3fb8aa3b, v68 :: v_dual_mul_f32 v99, 0x3fb8aa3b, v99
	s_waitcnt lgkmcnt(1)
	v_fma_f32 v68, v100, v97, 0
	s_delay_alu instid0(VALU_DEP_2) | instskip(NEXT) | instid1(VALU_DEP_2)
	v_exp_f32_e32 v102, v102
	v_exp_f32_e32 v99, v99
	s_waitcnt_depctr 0xfff
	v_fmac_f32_e32 v68, v99, v98
	v_sub_f32_e32 v91, v91, v67
	s_delay_alu instid0(VALU_DEP_1)
	v_mul_f32_e32 v101, 0x3fb8aa3b, v91
	ds_load_2addr_b32 v[91:92], v82 offset0:204 offset1:221
	v_sub_f32_e32 v97, v94, v67
	ds_load_2addr_b32 v[93:94], v82 offset0:238 offset1:255
	s_waitcnt lgkmcnt(0)
	v_exp_f32_e32 v101, v101
	s_barrier
	buffer_gl0_inv
	v_dual_fmac_f32 v68, v101, v89 :: v_dual_sub_f32 v89, v96, v67
	v_dual_sub_f32 v82, v95, v67 :: v_dual_mul_f32 v95, 0x3fb8aa3b, v97
	v_exp_f32_e32 v97, v103
	s_delay_alu instid0(VALU_DEP_2) | instskip(NEXT) | instid1(VALU_DEP_2)
	v_dual_fmac_f32 v68, v102, v90 :: v_dual_mul_f32 v89, 0x3fb8aa3b, v89
	v_mul_f32_e32 v82, 0x3fb8aa3b, v82
	s_delay_alu instid0(VALU_DEP_3) | instskip(NEXT) | instid1(VALU_DEP_2)
	v_exp_f32_e32 v95, v95
	v_exp_f32_e32 v89, v89
	s_delay_alu instid0(VALU_DEP_1)
	v_exp_f32_e32 v82, v82
	v_fmac_f32_e32 v68, v97, v91
	s_delay_alu instid0(TRANS32_DEP_3) | instid1(VALU_DEP_1)
	v_fmac_f32_e32 v68, v95, v92
	s_waitcnt_depctr 0xfff
	v_fmac_f32_e32 v68, v82, v93
	s_delay_alu instid0(VALU_DEP_1) | instskip(NEXT) | instid1(VALU_DEP_1)
	v_fmac_f32_e32 v68, v89, v94
	v_add_f32_e32 v90, 0x358637bd, v68
	s_delay_alu instid0(VALU_DEP_1) | instskip(NEXT) | instid1(VALU_DEP_1)
	v_div_scale_f32 v91, null, v90, v90, 1.0
	v_rcp_f32_e32 v92, v91
	s_waitcnt_depctr 0xfff
	v_fma_f32 v93, -v91, v92, 1.0
	s_delay_alu instid0(VALU_DEP_1) | instskip(SKIP_1) | instid1(VALU_DEP_2)
	v_dual_fmac_f32 v92, v93, v92 :: v_dual_cndmask_b32 v93, v100, v99
	v_cmp_eq_u32_e32 vcc_lo, 3, v66
	v_cndmask_b32_e64 v93, v93, v101, s4
	v_cmp_eq_u32_e64 s4, 4, v66
	s_delay_alu instid0(VALU_DEP_2) | instskip(SKIP_1) | instid1(VALU_DEP_2)
	v_cndmask_b32_e32 v93, v93, v102, vcc_lo
	v_cmp_eq_u32_e32 vcc_lo, 5, v66
	v_cndmask_b32_e64 v93, v93, v97, s4
	v_cmp_eq_u32_e64 s4, 6, v66
	s_delay_alu instid0(VALU_DEP_2) | instskip(SKIP_1) | instid1(VALU_DEP_1)
	v_cndmask_b32_e32 v93, v93, v95, vcc_lo
	v_div_scale_f32 v94, s5, 1.0, v90, 1.0
	s_mov_b32 vcc_lo, s5
	s_delay_alu instid0(VALU_DEP_2) | instskip(NEXT) | instid1(VALU_DEP_2)
	v_cndmask_b32_e64 v82, v93, v82, s4
	v_mul_f32_e32 v96, v94, v92
	s_mov_b32 s4, exec_lo
	s_delay_alu instid0(VALU_DEP_2) | instskip(NEXT) | instid1(VALU_DEP_2)
	v_cndmask_b32_e64 v82, v82, v89, s6
	v_fma_f32 v98, -v91, v96, v94
	s_delay_alu instid0(VALU_DEP_1) | instskip(NEXT) | instid1(VALU_DEP_1)
	v_fmac_f32_e32 v96, v98, v92
	v_fma_f32 v91, -v91, v96, v94
	s_delay_alu instid0(VALU_DEP_1) | instskip(NEXT) | instid1(VALU_DEP_1)
	v_div_fmas_f32 v91, v91, v92, v96
	v_div_fixup_f32 v90, v91, v90, 1.0
	s_delay_alu instid0(VALU_DEP_1) | instskip(NEXT) | instid1(VALU_DEP_1)
	v_mul_f32_e32 v82, v82, v90
	v_mul_f32_e32 v87, v82, v87
	;; [unrolled: 1-line block ×7, first 2 shown]
	v_dual_mul_f32 v86, v82, v83 :: v_dual_and_b32 v91, 0x7f800000, v90
	v_mul_f32_e32 v85, v82, v76
                                        ; implicit-def: $vgpr76
	s_delay_alu instid0(VALU_DEP_2)
	v_cmpx_ne_u32_e32 0x7f800000, v91
	s_xor_b32 s4, exec_lo, s4
; %bb.13:
	v_bfe_u32 v76, v90, 16, 1
	s_delay_alu instid0(VALU_DEP_1)
	v_add3_u32 v76, v90, v76, 0x7fff
                                        ; implicit-def: $vgpr90
; %bb.14:
	s_and_not1_saveexec_b32 s4, s4
; %bb.15:
	v_and_b32_e32 v76, 0xffff, v90
	v_or_b32_e32 v83, 0x10000, v90
	s_delay_alu instid0(VALU_DEP_2) | instskip(NEXT) | instid1(VALU_DEP_2)
	v_cmp_eq_u32_e32 vcc_lo, 0, v76
	v_cndmask_b32_e32 v76, v83, v90, vcc_lo
; %bb.16:
	s_or_b32 exec_lo, exec_lo, s4
	v_and_b32_e32 v83, 0x7f800000, v85
	s_delay_alu instid0(VALU_DEP_1) | instskip(SKIP_1) | instid1(SALU_CYCLE_1)
	v_cmp_ne_u32_e32 vcc_lo, 0x7f800000, v83
                                        ; implicit-def: $vgpr83
	s_and_saveexec_b32 s4, vcc_lo
	s_xor_b32 s4, exec_lo, s4
; %bb.17:
	v_bfe_u32 v83, v85, 16, 1
	s_delay_alu instid0(VALU_DEP_1)
	v_add3_u32 v83, v85, v83, 0x7fff
                                        ; implicit-def: $vgpr85
; %bb.18:
	s_and_not1_saveexec_b32 s4, s4
; %bb.19:
	v_and_b32_e32 v83, 0xffff, v85
	v_or_b32_e32 v90, 0x10000, v85
	s_delay_alu instid0(VALU_DEP_2) | instskip(NEXT) | instid1(VALU_DEP_2)
	v_cmp_eq_u32_e32 vcc_lo, 0, v83
	v_cndmask_b32_e32 v83, v90, v85, vcc_lo
; %bb.20:
	s_or_b32 exec_lo, exec_lo, s4
	v_and_b32_e32 v85, 0x7f800000, v86
	s_delay_alu instid0(VALU_DEP_1) | instskip(SKIP_1) | instid1(SALU_CYCLE_1)
	v_cmp_ne_u32_e32 vcc_lo, 0x7f800000, v85
                                        ; implicit-def: $vgpr85
	s_and_saveexec_b32 s4, vcc_lo
	s_xor_b32 s4, exec_lo, s4
; %bb.21:
	v_bfe_u32 v85, v86, 16, 1
	s_delay_alu instid0(VALU_DEP_1)
	v_add3_u32 v85, v86, v85, 0x7fff
                                        ; implicit-def: $vgpr86
; %bb.22:
	s_and_not1_saveexec_b32 s4, s4
; %bb.23:
	v_and_b32_e32 v85, 0xffff, v86
	v_or_b32_e32 v90, 0x10000, v86
	s_delay_alu instid0(VALU_DEP_2) | instskip(NEXT) | instid1(VALU_DEP_2)
	v_cmp_eq_u32_e32 vcc_lo, 0, v85
	v_cndmask_b32_e32 v85, v90, v86, vcc_lo
; %bb.24:
	s_or_b32 exec_lo, exec_lo, s4
	v_and_b32_e32 v86, 0x7f800000, v89
	s_delay_alu instid0(VALU_DEP_1) | instskip(SKIP_1) | instid1(SALU_CYCLE_1)
	v_cmp_ne_u32_e32 vcc_lo, 0x7f800000, v86
                                        ; implicit-def: $vgpr86
	s_and_saveexec_b32 s4, vcc_lo
	s_xor_b32 s4, exec_lo, s4
; %bb.25:
	v_bfe_u32 v86, v89, 16, 1
	s_delay_alu instid0(VALU_DEP_1)
	v_add3_u32 v86, v89, v86, 0x7fff
                                        ; implicit-def: $vgpr89
; %bb.26:
	s_and_not1_saveexec_b32 s4, s4
; %bb.27:
	v_and_b32_e32 v86, 0xffff, v89
	v_or_b32_e32 v90, 0x10000, v89
	s_delay_alu instid0(VALU_DEP_2) | instskip(NEXT) | instid1(VALU_DEP_2)
	v_cmp_eq_u32_e32 vcc_lo, 0, v86
	v_cndmask_b32_e32 v86, v90, v89, vcc_lo
; %bb.28:
	s_or_b32 exec_lo, exec_lo, s4
	v_and_b32_e32 v89, 0x7f800000, v88
	s_delay_alu instid0(VALU_DEP_1) | instskip(SKIP_1) | instid1(SALU_CYCLE_1)
	v_cmp_ne_u32_e32 vcc_lo, 0x7f800000, v89
                                        ; implicit-def: $vgpr89
	s_and_saveexec_b32 s4, vcc_lo
	s_xor_b32 s4, exec_lo, s4
; %bb.29:
	v_bfe_u32 v89, v88, 16, 1
	s_delay_alu instid0(VALU_DEP_1)
	v_add3_u32 v89, v88, v89, 0x7fff
                                        ; implicit-def: $vgpr88
; %bb.30:
	s_and_not1_saveexec_b32 s4, s4
; %bb.31:
	v_and_b32_e32 v89, 0xffff, v88
	v_or_b32_e32 v90, 0x10000, v88
	s_delay_alu instid0(VALU_DEP_2) | instskip(NEXT) | instid1(VALU_DEP_2)
	v_cmp_eq_u32_e32 vcc_lo, 0, v89
	v_cndmask_b32_e32 v89, v90, v88, vcc_lo
; %bb.32:
	s_or_b32 exec_lo, exec_lo, s4
	v_and_b32_e32 v88, 0x7f800000, v87
	s_delay_alu instid0(VALU_DEP_1) | instskip(SKIP_1) | instid1(SALU_CYCLE_1)
	v_cmp_ne_u32_e32 vcc_lo, 0x7f800000, v88
                                        ; implicit-def: $vgpr88
	s_and_saveexec_b32 s4, vcc_lo
	s_xor_b32 s4, exec_lo, s4
; %bb.33:
	v_bfe_u32 v88, v87, 16, 1
	s_delay_alu instid0(VALU_DEP_1)
	v_add3_u32 v88, v87, v88, 0x7fff
                                        ; implicit-def: $vgpr87
; %bb.34:
	s_and_not1_saveexec_b32 s4, s4
; %bb.35:
	v_and_b32_e32 v88, 0xffff, v87
	v_or_b32_e32 v90, 0x10000, v87
	s_delay_alu instid0(VALU_DEP_2) | instskip(NEXT) | instid1(VALU_DEP_2)
	v_cmp_eq_u32_e32 vcc_lo, 0, v88
	v_cndmask_b32_e32 v88, v90, v87, vcc_lo
; %bb.36:
	s_or_b32 exec_lo, exec_lo, s4
	v_and_b32_e32 v87, 0x7f800000, v84
	s_delay_alu instid0(VALU_DEP_1) | instskip(SKIP_1) | instid1(SALU_CYCLE_1)
	v_cmp_ne_u32_e32 vcc_lo, 0x7f800000, v87
                                        ; implicit-def: $vgpr87
	s_and_saveexec_b32 s4, vcc_lo
	s_xor_b32 s4, exec_lo, s4
; %bb.37:
	v_bfe_u32 v87, v84, 16, 1
	s_delay_alu instid0(VALU_DEP_1)
	v_add3_u32 v87, v84, v87, 0x7fff
                                        ; implicit-def: $vgpr84
; %bb.38:
	s_and_not1_saveexec_b32 s4, s4
; %bb.39:
	v_and_b32_e32 v87, 0xffff, v84
	v_or_b32_e32 v90, 0x10000, v84
	s_delay_alu instid0(VALU_DEP_2) | instskip(NEXT) | instid1(VALU_DEP_2)
	v_cmp_eq_u32_e32 vcc_lo, 0, v87
	v_cndmask_b32_e32 v87, v90, v84, vcc_lo
; %bb.40:
	s_or_b32 exec_lo, exec_lo, s4
	v_and_b32_e32 v84, 0x7f800000, v80
	s_delay_alu instid0(VALU_DEP_1) | instskip(SKIP_1) | instid1(SALU_CYCLE_1)
	v_cmp_ne_u32_e32 vcc_lo, 0x7f800000, v84
                                        ; implicit-def: $vgpr84
	s_and_saveexec_b32 s4, vcc_lo
	s_xor_b32 s4, exec_lo, s4
; %bb.41:
	v_bfe_u32 v84, v80, 16, 1
	s_delay_alu instid0(VALU_DEP_1)
	v_add3_u32 v84, v80, v84, 0x7fff
                                        ; implicit-def: $vgpr80
; %bb.42:
	s_and_not1_saveexec_b32 s4, s4
; %bb.43:
	v_and_b32_e32 v84, 0xffff, v80
	v_or_b32_e32 v90, 0x10000, v80
	s_delay_alu instid0(VALU_DEP_2) | instskip(NEXT) | instid1(VALU_DEP_2)
	v_cmp_eq_u32_e32 vcc_lo, 0, v84
	v_cndmask_b32_e32 v84, v90, v80, vcc_lo
; %bb.44:
	s_or_b32 exec_lo, exec_lo, s4
	s_load_b64 s[36:37], s[0:1], 0x94
	v_lshlrev_b32_e32 v91, 4, v74
	s_delay_alu instid0(VALU_DEP_2)
	v_perm_b32 v90, v84, v87, 0x7060302
	v_dual_mul_f32 v79, v82, v79 :: v_dual_lshlrev_b32 v80, 6, v65
	v_dual_mul_f32 v77, v82, v77 :: v_dual_lshlrev_b32 v92, 11, v66
	v_mul_f32_e32 v84, v82, v70
	v_perm_b32 v89, v88, v89, 0x7060302
	v_perm_b32 v88, v86, v85, 0x7060302
	;; [unrolled: 1-line block ×3, first 2 shown]
	v_mul_f32_e32 v70, v82, v81
	v_or3_b32 v76, v91, v92, v80
	v_dual_mul_f32 v78, v82, v78 :: v_dual_and_b32 v85, 0x7f800000, v84
	v_mul_f32_e32 v83, v82, v72
	v_mul_f32_e32 v81, v82, v71
	;; [unrolled: 1-line block ×3, first 2 shown]
	s_mov_b32 s4, exec_lo
	ds_store_b128 v76, v[87:90]
                                        ; implicit-def: $vgpr69
	v_cmpx_ne_u32_e32 0x7f800000, v85
	s_xor_b32 s4, exec_lo, s4
; %bb.45:
	v_bfe_u32 v69, v84, 16, 1
	s_delay_alu instid0(VALU_DEP_1)
	v_add3_u32 v69, v84, v69, 0x7fff
                                        ; implicit-def: $vgpr84
; %bb.46:
	s_and_not1_saveexec_b32 s4, s4
; %bb.47:
	v_and_b32_e32 v69, 0xffff, v84
	v_or_b32_e32 v71, 0x10000, v84
	s_delay_alu instid0(VALU_DEP_2) | instskip(NEXT) | instid1(VALU_DEP_2)
	v_cmp_eq_u32_e32 vcc_lo, 0, v69
	v_cndmask_b32_e32 v69, v71, v84, vcc_lo
; %bb.48:
	s_or_b32 exec_lo, exec_lo, s4
	v_and_b32_e32 v71, 0x7f800000, v72
	s_delay_alu instid0(VALU_DEP_1) | instskip(SKIP_1) | instid1(SALU_CYCLE_1)
	v_cmp_ne_u32_e32 vcc_lo, 0x7f800000, v71
                                        ; implicit-def: $vgpr71
	s_and_saveexec_b32 s4, vcc_lo
	s_xor_b32 s4, exec_lo, s4
; %bb.49:
	v_bfe_u32 v71, v72, 16, 1
	s_delay_alu instid0(VALU_DEP_1)
	v_add3_u32 v71, v72, v71, 0x7fff
                                        ; implicit-def: $vgpr72
; %bb.50:
	s_and_not1_saveexec_b32 s4, s4
; %bb.51:
	v_and_b32_e32 v71, 0xffff, v72
	v_or_b32_e32 v82, 0x10000, v72
	s_delay_alu instid0(VALU_DEP_2) | instskip(NEXT) | instid1(VALU_DEP_2)
	v_cmp_eq_u32_e32 vcc_lo, 0, v71
	v_cndmask_b32_e32 v71, v82, v72, vcc_lo
; %bb.52:
	s_or_b32 exec_lo, exec_lo, s4
	v_and_b32_e32 v72, 0x7f800000, v81
	s_delay_alu instid0(VALU_DEP_1) | instskip(SKIP_1) | instid1(SALU_CYCLE_1)
	v_cmp_ne_u32_e32 vcc_lo, 0x7f800000, v72
                                        ; implicit-def: $vgpr72
	s_and_saveexec_b32 s4, vcc_lo
	s_xor_b32 s4, exec_lo, s4
; %bb.53:
	v_bfe_u32 v72, v81, 16, 1
	s_delay_alu instid0(VALU_DEP_1)
	v_add3_u32 v72, v81, v72, 0x7fff
                                        ; implicit-def: $vgpr81
; %bb.54:
	s_and_not1_saveexec_b32 s4, s4
; %bb.55:
	v_and_b32_e32 v72, 0xffff, v81
	v_or_b32_e32 v82, 0x10000, v81
	s_delay_alu instid0(VALU_DEP_2) | instskip(NEXT) | instid1(VALU_DEP_2)
	v_cmp_eq_u32_e32 vcc_lo, 0, v72
	v_cndmask_b32_e32 v72, v82, v81, vcc_lo
; %bb.56:
	s_or_b32 exec_lo, exec_lo, s4
	v_and_b32_e32 v81, 0x7f800000, v83
	s_delay_alu instid0(VALU_DEP_1) | instskip(SKIP_1) | instid1(SALU_CYCLE_1)
	v_cmp_ne_u32_e32 vcc_lo, 0x7f800000, v81
                                        ; implicit-def: $vgpr81
	s_and_saveexec_b32 s4, vcc_lo
	s_xor_b32 s4, exec_lo, s4
; %bb.57:
	v_bfe_u32 v81, v83, 16, 1
	s_delay_alu instid0(VALU_DEP_1)
	v_add3_u32 v81, v83, v81, 0x7fff
                                        ; implicit-def: $vgpr83
; %bb.58:
	s_and_not1_saveexec_b32 s4, s4
; %bb.59:
	v_and_b32_e32 v81, 0xffff, v83
	v_or_b32_e32 v82, 0x10000, v83
	s_delay_alu instid0(VALU_DEP_2) | instskip(NEXT) | instid1(VALU_DEP_2)
	v_cmp_eq_u32_e32 vcc_lo, 0, v81
	v_cndmask_b32_e32 v81, v82, v83, vcc_lo
; %bb.60:
	s_or_b32 exec_lo, exec_lo, s4
	v_and_b32_e32 v82, 0x7f800000, v77
	s_delay_alu instid0(VALU_DEP_1) | instskip(SKIP_1) | instid1(SALU_CYCLE_1)
	v_cmp_ne_u32_e32 vcc_lo, 0x7f800000, v82
                                        ; implicit-def: $vgpr82
	s_and_saveexec_b32 s4, vcc_lo
	s_xor_b32 s4, exec_lo, s4
; %bb.61:
	v_bfe_u32 v82, v77, 16, 1
	s_delay_alu instid0(VALU_DEP_1)
	v_add3_u32 v82, v77, v82, 0x7fff
                                        ; implicit-def: $vgpr77
; %bb.62:
	s_and_not1_saveexec_b32 s4, s4
; %bb.63:
	v_and_b32_e32 v82, 0xffff, v77
	v_or_b32_e32 v83, 0x10000, v77
	s_delay_alu instid0(VALU_DEP_2) | instskip(NEXT) | instid1(VALU_DEP_2)
	v_cmp_eq_u32_e32 vcc_lo, 0, v82
	v_cndmask_b32_e32 v82, v83, v77, vcc_lo
; %bb.64:
	s_or_b32 exec_lo, exec_lo, s4
	v_and_b32_e32 v77, 0x7f800000, v78
	s_delay_alu instid0(VALU_DEP_1) | instskip(SKIP_1) | instid1(SALU_CYCLE_1)
	v_cmp_ne_u32_e32 vcc_lo, 0x7f800000, v77
                                        ; implicit-def: $vgpr77
	s_and_saveexec_b32 s4, vcc_lo
	s_xor_b32 s4, exec_lo, s4
; %bb.65:
	v_bfe_u32 v77, v78, 16, 1
	s_delay_alu instid0(VALU_DEP_1)
	v_add3_u32 v77, v78, v77, 0x7fff
                                        ; implicit-def: $vgpr78
; %bb.66:
	s_and_not1_saveexec_b32 s4, s4
; %bb.67:
	v_and_b32_e32 v77, 0xffff, v78
	v_or_b32_e32 v83, 0x10000, v78
	s_delay_alu instid0(VALU_DEP_2) | instskip(NEXT) | instid1(VALU_DEP_2)
	v_cmp_eq_u32_e32 vcc_lo, 0, v77
	v_cndmask_b32_e32 v77, v83, v78, vcc_lo
; %bb.68:
	s_or_b32 exec_lo, exec_lo, s4
	v_and_b32_e32 v78, 0x7f800000, v79
	s_delay_alu instid0(VALU_DEP_1) | instskip(SKIP_1) | instid1(SALU_CYCLE_1)
	v_cmp_ne_u32_e32 vcc_lo, 0x7f800000, v78
                                        ; implicit-def: $vgpr78
	s_and_saveexec_b32 s4, vcc_lo
	s_xor_b32 s4, exec_lo, s4
; %bb.69:
	v_bfe_u32 v78, v79, 16, 1
	s_delay_alu instid0(VALU_DEP_1)
	v_add3_u32 v78, v79, v78, 0x7fff
                                        ; implicit-def: $vgpr79
; %bb.70:
	s_and_not1_saveexec_b32 s4, s4
; %bb.71:
	v_and_b32_e32 v78, 0xffff, v79
	v_or_b32_e32 v83, 0x10000, v79
	s_delay_alu instid0(VALU_DEP_2) | instskip(NEXT) | instid1(VALU_DEP_2)
	v_cmp_eq_u32_e32 vcc_lo, 0, v78
	v_cndmask_b32_e32 v78, v83, v79, vcc_lo
; %bb.72:
	s_or_b32 exec_lo, exec_lo, s4
	v_and_b32_e32 v79, 0x7f800000, v70
	s_delay_alu instid0(VALU_DEP_1) | instskip(SKIP_1) | instid1(SALU_CYCLE_1)
	v_cmp_ne_u32_e32 vcc_lo, 0x7f800000, v79
                                        ; implicit-def: $vgpr79
	s_and_saveexec_b32 s4, vcc_lo
	s_xor_b32 s4, exec_lo, s4
; %bb.73:
	v_bfe_u32 v79, v70, 16, 1
	s_delay_alu instid0(VALU_DEP_1)
	v_add3_u32 v79, v70, v79, 0x7fff
                                        ; implicit-def: $vgpr70
; %bb.74:
	s_and_not1_saveexec_b32 s4, s4
; %bb.75:
	v_and_b32_e32 v79, 0xffff, v70
	v_or_b32_e32 v83, 0x10000, v70
	s_delay_alu instid0(VALU_DEP_2) | instskip(NEXT) | instid1(VALU_DEP_2)
	v_cmp_eq_u32_e32 vcc_lo, 0, v79
	v_cndmask_b32_e32 v79, v83, v70, vcc_lo
; %bb.76:
	s_or_b32 exec_lo, exec_lo, s4
	s_delay_alu instid0(VALU_DEP_1)
	v_perm_b32 v86, v79, v78, 0x7060302
	v_perm_b32 v85, v77, v82, 0x7060302
	;; [unrolled: 1-line block ×4, first 2 shown]
	v_lshl_or_b32 v82, v66, 11, v80
	ds_store_b128 v76, v[83:86] offset:1024
	s_waitcnt lgkmcnt(0)
	s_barrier
	buffer_gl0_inv
	ds_load_b128 v[69:72], v82
	ds_load_b128 v[83:86], v82 offset:16
	s_waitcnt lgkmcnt(1)
	v_lshrrev_b32_e32 v66, 16, v69
	s_waitcnt lgkmcnt(0)
	v_lshrrev_b32_e32 v91, 16, v83
	v_lshlrev_b32_e32 v78, 2, v74
	v_lshrrev_b32_e32 v95, 16, v70
	v_lshrrev_b32_e32 v98, 16, v84
	v_lshrrev_b32_e32 v96, 16, v71
	v_lshrrev_b32_e32 v99, 16, v85
	v_cmp_eq_u32_e32 vcc_lo, 1, v78
	v_lshrrev_b32_e32 v97, 16, v72
	v_lshrrev_b32_e32 v100, 16, v86
	v_cndmask_b32_e32 v87, v83, v91, vcc_lo
	v_or_b32_e32 v79, 1, v78
	v_cndmask_b32_e32 v81, v69, v66, vcc_lo
	v_cmp_eq_u32_e64 s5, 2, v78
	v_cmp_eq_u32_e64 s8, 3, v78
	;; [unrolled: 1-line block ×5, first 2 shown]
	v_cndmask_b32_e64 v81, v81, v70, s5
	v_cndmask_b32_e64 v87, v87, v84, s5
	v_cmp_eq_u32_e64 s9, 3, v79
	v_cndmask_b32_e64 v88, v69, v66, s4
	v_or_b32_e32 v77, 2, v78
	v_cndmask_b32_e64 v81, v81, v95, s8
	v_cndmask_b32_e64 v87, v87, v98, s8
	;; [unrolled: 1-line block ×4, first 2 shown]
	v_cmp_eq_u32_e64 s11, 5, v78
	v_cndmask_b32_e64 v81, v81, v71, s10
	v_cndmask_b32_e64 v87, v87, v85, s10
	v_cmp_eq_u32_e64 s12, 4, v79
	v_cndmask_b32_e64 v88, v88, v95, s9
	v_cmp_eq_u32_e64 s6, 1, v77
	v_cndmask_b32_e64 v89, v89, v84, s7
	v_cndmask_b32_e64 v81, v81, v96, s11
	v_cmp_eq_u32_e64 s13, 6, v78
	v_cndmask_b32_e64 v88, v88, v71, s12
	;; [unrolled: 3-line block ×3, first 2 shown]
	v_cndmask_b32_e64 v89, v89, v98, s9
	v_cndmask_b32_e64 v81, v81, v72, s13
	v_cmp_eq_u32_e64 s16, 7, v78
	v_cndmask_b32_e64 v88, v88, v96, s15
	v_cndmask_b32_e64 v87, v87, v86, s13
	v_cmp_eq_u32_e64 s17, 6, v79
	v_cmp_eq_u32_e64 s18, 2, v77
	v_cndmask_b32_e64 v89, v89, v85, s12
	v_cndmask_b32_e64 v101, v81, v97, s16
	;; [unrolled: 1-line block ×6, first 2 shown]
	v_cmp_eq_u32_e64 s19, 7, v79
	v_cmp_eq_u32_e64 s20, 3, v77
	;; [unrolled: 1-line block ×4, first 2 shown]
	v_cndmask_b32_e64 v87, v87, v84, s18
	v_cndmask_b32_e64 v103, v88, v97, s19
	;; [unrolled: 1-line block ×4, first 2 shown]
	v_or_b32_e32 v81, 3, v78
	v_cndmask_b32_e64 v93, v87, v98, s20
	v_cmp_eq_u32_e64 s25, 6, v77
	v_cndmask_b32_e64 v104, v88, v86, s17
	v_cndmask_b32_e64 v92, v89, v71, s21
	v_cmp_eq_u32_e64 s22, 1, v81
	ds_load_b128 v[87:90], v82 offset:1024
	v_cmp_eq_u32_e64 s24, 2, v81
	v_cmp_eq_u32_e64 s26, 3, v81
	v_cndmask_b32_e64 v105, v92, v96, s23
	v_cndmask_b32_e64 v66, v69, v66, s22
	;; [unrolled: 1-line block ×4, first 2 shown]
	ds_load_b128 v[91:94], v82 offset:1040
	v_cmp_eq_u32_e64 s27, 4, v81
	v_cndmask_b32_e64 v66, v66, v70, s24
	v_cmp_eq_u32_e64 s28, 7, v77
	v_cndmask_b32_e64 v70, v83, v84, s24
	v_cndmask_b32_e64 v84, v105, v72, s25
	v_cmp_eq_u32_e64 s29, 5, v81
	v_cndmask_b32_e64 v66, v66, v95, s26
	v_cmp_eq_u32_e64 s30, 6, v81
	v_cndmask_b32_e64 v70, v70, v98, s26
	v_cndmask_b32_e64 v69, v69, v99, s23
	;; [unrolled: 1-line block ×4, first 2 shown]
	s_waitcnt lgkmcnt(1)
	v_lshrrev_b32_e32 v95, 16, v87
	v_cndmask_b32_e64 v70, v70, v85, s27
	v_cndmask_b32_e64 v71, v84, v97, s28
	;; [unrolled: 1-line block ×4, first 2 shown]
	v_cndmask_b32_e32 v84, v87, v95, vcc_lo
	v_cndmask_b32_e64 v70, v70, v99, s29
	s_waitcnt lgkmcnt(0)
	v_lshrrev_b32_e32 v85, 16, v91
	v_lshrrev_b32_e32 v96, 16, v88
	v_cndmask_b32_e64 v98, v87, v95, s4
	v_cndmask_b32_e64 v84, v84, v88, s5
	;; [unrolled: 1-line block ×3, first 2 shown]
	v_cndmask_b32_e32 v99, v91, v85, vcc_lo
	v_cmp_eq_u32_e32 vcc_lo, 7, v81
	v_cndmask_b32_e64 v66, v66, v72, s30
	v_cndmask_b32_e64 v72, v84, v96, s8
	;; [unrolled: 1-line block ×3, first 2 shown]
	v_lshrrev_b32_e32 v98, 16, v92
	v_cndmask_b32_e32 v70, v70, v100, vcc_lo
	v_cndmask_b32_e64 v86, v99, v92, s5
	v_cndmask_b32_e64 v69, v69, v100, s28
	v_lshrrev_b32_e32 v100, 16, v93
	v_cndmask_b32_e64 v72, v72, v89, s10
	v_lshrrev_b32_e32 v99, 16, v89
	v_cndmask_b32_e64 v86, v86, v98, s8
	v_perm_b32 v71, v69, v71, 0x5040100
	v_cndmask_b32_e64 v84, v84, v96, s9
	s_delay_alu instid0(VALU_DEP_3) | instskip(NEXT) | instid1(VALU_DEP_2)
	v_cndmask_b32_e64 v86, v86, v93, s10
	v_cndmask_b32_e64 v84, v84, v89, s12
	s_delay_alu instid0(VALU_DEP_2) | instskip(NEXT) | instid1(VALU_DEP_1)
	v_cndmask_b32_e64 v86, v86, v100, s11
	v_cndmask_b32_e64 v69, v86, v94, s13
	;; [unrolled: 1-line block ×5, first 2 shown]
	s_delay_alu instid0(VALU_DEP_3) | instskip(NEXT) | instid1(VALU_DEP_3)
	v_cndmask_b32_e64 v86, v86, v88, s18
	v_cndmask_b32_e64 v87, v87, v88, s24
	s_delay_alu instid0(VALU_DEP_3) | instskip(NEXT) | instid1(VALU_DEP_3)
	v_cndmask_b32_e64 v88, v95, v92, s24
	v_cndmask_b32_e64 v86, v86, v96, s20
	;; [unrolled: 3-line block ×7, first 2 shown]
	s_delay_alu instid0(VALU_DEP_3) | instskip(SKIP_2) | instid1(VALU_DEP_2)
	v_cndmask_b32_e64 v88, v88, v94, s30
	v_cndmask_b32_e32 v66, v66, v97, vcc_lo
	v_cndmask_b32_e64 v97, v72, v99, s11
	v_perm_b32 v72, v70, v66, 0x5040100
	v_perm_b32 v70, v83, v103, 0x5040100
	v_cndmask_b32_e64 v103, v91, v85, s6
	v_cndmask_b32_e64 v85, v91, v85, s4
	;; [unrolled: 1-line block ×4, first 2 shown]
	v_lshrrev_b32_e32 v97, 16, v90
	v_cndmask_b32_e64 v91, v103, v92, s18
	v_cndmask_b32_e64 v85, v85, v92, s7
	;; [unrolled: 1-line block ×3, first 2 shown]
	s_mov_b32 s4, exec_lo
	v_cndmask_b32_e64 v83, v84, v97, s16
	v_cndmask_b32_e64 v91, v91, v98, s20
	;; [unrolled: 1-line block ×3, first 2 shown]
	v_lshrrev_b32_e32 v84, 16, v94
	v_cndmask_b32_e64 v66, v66, v97, s19
	v_cndmask_b32_e64 v90, v86, v97, s28
	;; [unrolled: 1-line block ×4, first 2 shown]
	v_dual_cndmask_b32 v86, v87, v97 :: v_dual_cndmask_b32 v87, v88, v84
	v_cndmask_b32_e64 v91, v69, v84, s16
	s_delay_alu instid0(VALU_DEP_4) | instskip(NEXT) | instid1(VALU_DEP_4)
	v_cndmask_b32_e64 v89, v89, v100, s23
	v_cndmask_b32_e64 v85, v85, v100, s15
	v_perm_b32 v69, v102, v101, 0x5040100
	v_perm_b32 v86, v87, v86, 0x5040100
	;; [unrolled: 1-line block ×3, first 2 shown]
	v_cndmask_b32_e64 v89, v89, v94, s25
	v_cndmask_b32_e64 v85, v85, v94, s17
	s_mul_i32 s9, s37, 3
	s_delay_alu instid0(VALU_DEP_2) | instskip(NEXT) | instid1(VALU_DEP_2)
	v_cndmask_b32_e64 v88, v89, v84, s28
	v_cndmask_b32_e64 v89, v85, v84, s19
	s_delay_alu instid0(VALU_DEP_2) | instskip(NEXT) | instid1(VALU_DEP_2)
	v_perm_b32 v85, v88, v90, 0x5040100
	v_perm_b32 v84, v89, v66, 0x5040100
	ds_store_b128 v76, v[69:72]
	ds_store_b128 v76, v[83:86] offset:1024
	v_cmpx_gt_u32_e32 3, v0
	s_cbranch_execz .LBB1384_78
; %bb.77:
	s_mul_i32 s5, s9, s34
	s_load_b128 s[16:19], s[0:1], 0x58
	v_add3_u32 v69, s5, s31, v65
	s_delay_alu instid0(VALU_DEP_1) | instskip(NEXT) | instid1(VALU_DEP_1)
	v_mad_u64_u32 v[65:66], null, v69, s36, s[14:15]
	v_ashrrev_i32_e32 v66, 31, v65
	s_delay_alu instid0(VALU_DEP_1) | instskip(SKIP_1) | instid1(VALU_DEP_1)
	v_lshlrev_b64 v[65:66], 2, v[65:66]
	s_waitcnt lgkmcnt(0)
	v_add_co_u32 v69, vcc_lo, s18, v65
	s_delay_alu instid0(VALU_DEP_2)
	v_add_co_ci_u32_e32 v70, vcc_lo, s19, v66, vcc_lo
	v_add_co_u32 v65, vcc_lo, s16, v65
	v_add_co_ci_u32_e32 v66, vcc_lo, s17, v66, vcc_lo
	global_store_b32 v[69:70], v67, off
	global_store_b32 v[65:66], v68, off
.LBB1384_78:
	s_or_b32 exec_lo, exec_lo, s4
	s_waitcnt lgkmcnt(0)
	s_waitcnt_vscnt null, 0x0
	s_barrier
	buffer_gl0_inv
	ds_load_b128 v[83:86], v80
	ds_load_b128 v[87:90], v80 offset:16
	ds_load_b128 v[95:98], v80 offset:2064
	;; [unrolled: 1-line block ×3, first 2 shown]
	v_mov_b32_e32 v65, 0
	ds_load_b128 v[103:106], v80 offset:4112
	ds_load_b128 v[99:102], v80 offset:4096
	;; [unrolled: 1-line block ×4, first 2 shown]
	v_mov_b32_e32 v66, v65
	v_mov_b32_e32 v67, v65
	;; [unrolled: 1-line block ×7, first 2 shown]
	s_waitcnt lgkmcnt(6)
	s_delay_alu instid0(VALU_DEP_1)
	v_wmma_f32_16x16x16_bf16 v[65:72], v[57:64], v[83:90], v[65:72]
	ds_load_b128 v[61:64], v80 offset:8208
	ds_load_b128 v[57:60], v80 offset:8192
	s_waitcnt lgkmcnt(6)
	v_wmma_f32_16x16x16_bf16 v[65:72], v[41:48], v[91:98], v[65:72]
	ds_load_b128 v[45:48], v80 offset:10256
	ds_load_b128 v[41:44], v80 offset:10240
	s_waitcnt lgkmcnt(6)
	v_wmma_f32_16x16x16_bf16 v[65:72], v[33:40], v[99:106], v[65:72]
	ds_load_b128 v[37:40], v80 offset:12304
	ds_load_b128 v[33:36], v80 offset:12288
	s_waitcnt lgkmcnt(6)
	v_wmma_f32_16x16x16_bf16 v[65:72], v[25:32], v[107:114], v[65:72]
	ds_load_b128 v[29:32], v80 offset:14352
	ds_load_b128 v[25:28], v80 offset:14336
	s_waitcnt lgkmcnt(6)
	v_wmma_f32_16x16x16_bf16 v[65:72], v[1:8], v[57:64], v[65:72]
	s_waitcnt lgkmcnt(4)
	s_delay_alu instid0(VALU_DEP_1) | instskip(SKIP_1) | instid1(VALU_DEP_1)
	v_wmma_f32_16x16x16_bf16 v[65:72], v[9:16], v[41:48], v[65:72]
	s_waitcnt lgkmcnt(2)
	v_wmma_f32_16x16x16_bf16 v[65:72], v[17:24], v[33:40], v[65:72]
	s_waitcnt lgkmcnt(0)
	s_delay_alu instid0(VALU_DEP_1) | instskip(NEXT) | instid1(VALU_DEP_1)
	v_wmma_f32_16x16x16_bf16 v[65:72], v[49:56], v[25:32], v[65:72]
	v_and_b32_e32 v1, 0x7f800000, v65
	s_delay_alu instid0(VALU_DEP_1) | instskip(SKIP_1) | instid1(SALU_CYCLE_1)
	v_cmp_ne_u32_e32 vcc_lo, 0x7f800000, v1
                                        ; implicit-def: $vgpr1
	s_and_saveexec_b32 s4, vcc_lo
	s_xor_b32 s4, exec_lo, s4
; %bb.79:
	v_bfe_u32 v1, v65, 16, 1
	s_delay_alu instid0(VALU_DEP_1)
	v_add3_u32 v1, v65, v1, 0x7fff
; %bb.80:
	s_and_not1_saveexec_b32 s4, s4
; %bb.81:
	v_and_b32_e32 v1, 0xffff, v65
	v_or_b32_e32 v2, 0x10000, v65
	s_delay_alu instid0(VALU_DEP_2) | instskip(NEXT) | instid1(VALU_DEP_2)
	v_cmp_eq_u32_e32 vcc_lo, 0, v1
	v_cndmask_b32_e32 v1, v2, v65, vcc_lo
; %bb.82:
	s_or_b32 exec_lo, exec_lo, s4
	v_and_b32_e32 v2, 0x7f800000, v66
	s_delay_alu instid0(VALU_DEP_1) | instskip(SKIP_1) | instid1(SALU_CYCLE_1)
	v_cmp_ne_u32_e32 vcc_lo, 0x7f800000, v2
                                        ; implicit-def: $vgpr2
	s_and_saveexec_b32 s4, vcc_lo
	s_xor_b32 s4, exec_lo, s4
; %bb.83:
	v_bfe_u32 v2, v66, 16, 1
	s_delay_alu instid0(VALU_DEP_1)
	v_add3_u32 v2, v66, v2, 0x7fff
; %bb.84:
	s_and_not1_saveexec_b32 s4, s4
; %bb.85:
	v_and_b32_e32 v2, 0xffff, v66
	v_or_b32_e32 v3, 0x10000, v66
	s_delay_alu instid0(VALU_DEP_2) | instskip(NEXT) | instid1(VALU_DEP_2)
	v_cmp_eq_u32_e32 vcc_lo, 0, v2
	v_cndmask_b32_e32 v2, v3, v66, vcc_lo
; %bb.86:
	s_or_b32 exec_lo, exec_lo, s4
	v_and_b32_e32 v3, 0x7f800000, v67
	s_delay_alu instid0(VALU_DEP_1) | instskip(SKIP_1) | instid1(SALU_CYCLE_1)
	v_cmp_ne_u32_e32 vcc_lo, 0x7f800000, v3
                                        ; implicit-def: $vgpr3
	s_and_saveexec_b32 s4, vcc_lo
	s_xor_b32 s4, exec_lo, s4
; %bb.87:
	v_bfe_u32 v3, v67, 16, 1
	s_delay_alu instid0(VALU_DEP_1)
	v_add3_u32 v3, v67, v3, 0x7fff
; %bb.88:
	s_and_not1_saveexec_b32 s4, s4
; %bb.89:
	v_and_b32_e32 v3, 0xffff, v67
	v_or_b32_e32 v4, 0x10000, v67
	s_delay_alu instid0(VALU_DEP_2) | instskip(NEXT) | instid1(VALU_DEP_2)
	v_cmp_eq_u32_e32 vcc_lo, 0, v3
	v_cndmask_b32_e32 v3, v4, v67, vcc_lo
; %bb.90:
	s_or_b32 exec_lo, exec_lo, s4
	v_and_b32_e32 v4, 0x7f800000, v68
	s_delay_alu instid0(VALU_DEP_1) | instskip(SKIP_1) | instid1(SALU_CYCLE_1)
	v_cmp_ne_u32_e32 vcc_lo, 0x7f800000, v4
                                        ; implicit-def: $vgpr4
	s_and_saveexec_b32 s4, vcc_lo
	s_xor_b32 s4, exec_lo, s4
; %bb.91:
	v_bfe_u32 v4, v68, 16, 1
	s_delay_alu instid0(VALU_DEP_1)
	v_add3_u32 v4, v68, v4, 0x7fff
; %bb.92:
	s_and_not1_saveexec_b32 s4, s4
; %bb.93:
	v_and_b32_e32 v4, 0xffff, v68
	v_or_b32_e32 v5, 0x10000, v68
	s_delay_alu instid0(VALU_DEP_2) | instskip(NEXT) | instid1(VALU_DEP_2)
	v_cmp_eq_u32_e32 vcc_lo, 0, v4
	v_cndmask_b32_e32 v4, v5, v68, vcc_lo
; %bb.94:
	s_or_b32 exec_lo, exec_lo, s4
	v_and_b32_e32 v5, 0x7f800000, v69
	s_delay_alu instid0(VALU_DEP_1) | instskip(SKIP_1) | instid1(SALU_CYCLE_1)
	v_cmp_ne_u32_e32 vcc_lo, 0x7f800000, v5
                                        ; implicit-def: $vgpr5
	s_and_saveexec_b32 s4, vcc_lo
	s_xor_b32 s4, exec_lo, s4
; %bb.95:
	v_bfe_u32 v5, v69, 16, 1
	s_delay_alu instid0(VALU_DEP_1)
	v_add3_u32 v5, v69, v5, 0x7fff
; %bb.96:
	s_and_not1_saveexec_b32 s4, s4
; %bb.97:
	v_and_b32_e32 v5, 0xffff, v69
	v_or_b32_e32 v6, 0x10000, v69
	s_delay_alu instid0(VALU_DEP_2) | instskip(NEXT) | instid1(VALU_DEP_2)
	v_cmp_eq_u32_e32 vcc_lo, 0, v5
	v_cndmask_b32_e32 v5, v6, v69, vcc_lo
; %bb.98:
	s_or_b32 exec_lo, exec_lo, s4
	v_and_b32_e32 v6, 0x7f800000, v70
	s_delay_alu instid0(VALU_DEP_1) | instskip(SKIP_1) | instid1(SALU_CYCLE_1)
	v_cmp_ne_u32_e32 vcc_lo, 0x7f800000, v6
                                        ; implicit-def: $vgpr6
	s_and_saveexec_b32 s4, vcc_lo
	s_xor_b32 s4, exec_lo, s4
; %bb.99:
	v_bfe_u32 v6, v70, 16, 1
	s_delay_alu instid0(VALU_DEP_1)
	v_add3_u32 v6, v70, v6, 0x7fff
; %bb.100:
	s_and_not1_saveexec_b32 s4, s4
; %bb.101:
	v_and_b32_e32 v6, 0xffff, v70
	v_or_b32_e32 v7, 0x10000, v70
	s_delay_alu instid0(VALU_DEP_2) | instskip(NEXT) | instid1(VALU_DEP_2)
	v_cmp_eq_u32_e32 vcc_lo, 0, v6
	v_cndmask_b32_e32 v6, v7, v70, vcc_lo
; %bb.102:
	s_or_b32 exec_lo, exec_lo, s4
	v_and_b32_e32 v7, 0x7f800000, v71
	s_delay_alu instid0(VALU_DEP_1) | instskip(SKIP_1) | instid1(SALU_CYCLE_1)
	v_cmp_ne_u32_e32 vcc_lo, 0x7f800000, v7
                                        ; implicit-def: $vgpr7
	s_and_saveexec_b32 s4, vcc_lo
	s_xor_b32 s4, exec_lo, s4
; %bb.103:
	v_bfe_u32 v7, v71, 16, 1
	s_delay_alu instid0(VALU_DEP_1)
	v_add3_u32 v7, v71, v7, 0x7fff
; %bb.104:
	s_and_not1_saveexec_b32 s4, s4
; %bb.105:
	v_and_b32_e32 v7, 0xffff, v71
	v_or_b32_e32 v8, 0x10000, v71
	s_delay_alu instid0(VALU_DEP_2) | instskip(NEXT) | instid1(VALU_DEP_2)
	v_cmp_eq_u32_e32 vcc_lo, 0, v7
	v_cndmask_b32_e32 v7, v8, v71, vcc_lo
; %bb.106:
	s_or_b32 exec_lo, exec_lo, s4
	v_and_b32_e32 v8, 0x7f800000, v72
	s_delay_alu instid0(VALU_DEP_1) | instskip(SKIP_1) | instid1(SALU_CYCLE_1)
	v_cmp_ne_u32_e32 vcc_lo, 0x7f800000, v8
                                        ; implicit-def: $vgpr8
	s_and_saveexec_b32 s4, vcc_lo
	s_xor_b32 s4, exec_lo, s4
; %bb.107:
	v_bfe_u32 v8, v72, 16, 1
	s_delay_alu instid0(VALU_DEP_1)
	v_add3_u32 v8, v72, v8, 0x7fff
                                        ; implicit-def: $vgpr65_vgpr66_vgpr67_vgpr68_vgpr69_vgpr70_vgpr71_vgpr72
; %bb.108:
	s_and_not1_saveexec_b32 s4, s4
; %bb.109:
	v_and_b32_e32 v8, 0xffff, v72
	v_or_b32_e32 v9, 0x10000, v72
	s_delay_alu instid0(VALU_DEP_2) | instskip(NEXT) | instid1(VALU_DEP_2)
	v_cmp_eq_u32_e32 vcc_lo, 0, v8
	v_cndmask_b32_e32 v8, v9, v72, vcc_lo
; %bb.110:
	s_or_b32 exec_lo, exec_lo, s4
	s_delay_alu instid0(VALU_DEP_1)
	v_perm_b32 v7, v8, v7, 0x7060302
	v_perm_b32 v6, v6, v5, 0x7060302
	v_perm_b32 v5, v4, v3, 0x7060302
	v_perm_b32 v4, v2, v1, 0x7060302
	s_barrier
	buffer_gl0_inv
	v_cmp_eq_u32_e32 vcc_lo, 1, v78
	ds_store_b128 v76, v[4:7]
	s_waitcnt lgkmcnt(0)
	s_barrier
	buffer_gl0_inv
	ds_load_b128 v[1:4], v82
	ds_load_b128 v[5:8], v82 offset:16
	v_cmp_eq_u32_e64 s4, 1, v79
	v_cmp_eq_u32_e64 s5, 2, v78
	v_cmp_eq_u32_e64 s6, 3, v78
	v_cmp_eq_u32_e64 s8, 2, v77
	v_cmp_eq_u32_e64 s7, 7, v79
	s_waitcnt lgkmcnt(1)
	v_lshrrev_b32_e32 v9, 16, v1
	s_waitcnt lgkmcnt(0)
	v_lshrrev_b32_e32 v13, 16, v5
	v_lshrrev_b32_e32 v10, 16, v2
	;; [unrolled: 1-line block ×4, first 2 shown]
	v_cndmask_b32_e64 v19, v1, v9, s4
	v_cndmask_b32_e32 v18, v5, v13, vcc_lo
	v_cndmask_b32_e64 v20, v5, v13, s4
	v_cndmask_b32_e32 v17, v1, v9, vcc_lo
	v_cmp_eq_u32_e32 vcc_lo, 2, v79
	v_lshrrev_b32_e32 v15, 16, v7
	v_cmp_eq_u32_e64 s4, 1, v77
	v_lshrrev_b32_e32 v12, 16, v4
	v_lshrrev_b32_e32 v16, 16, v8
	v_cndmask_b32_e32 v20, v20, v6, vcc_lo
	v_cndmask_b32_e64 v17, v17, v2, s5
	v_cndmask_b32_e32 v19, v19, v2, vcc_lo
	v_cndmask_b32_e64 v18, v18, v6, s5
	v_cmp_eq_u32_e32 vcc_lo, 4, v78
	v_cmp_eq_u32_e64 s5, 3, v79
	v_cndmask_b32_e64 v17, v17, v10, s6
	v_cndmask_b32_e64 v21, v1, v9, s4
	;; [unrolled: 1-line block ×5, first 2 shown]
	v_cndmask_b32_e32 v17, v17, v3, vcc_lo
	v_cndmask_b32_e64 v20, v20, v14, s5
	v_cndmask_b32_e32 v18, v18, v7, vcc_lo
	v_cmp_eq_u32_e32 vcc_lo, 4, v79
	v_cmp_eq_u32_e64 s5, 5, v79
	v_cmp_eq_u32_e64 s4, 2, v81
	v_cndmask_b32_e64 v21, v21, v2, s8
	v_cmp_eq_u32_e64 s6, 5, v78
	v_cndmask_b32_e32 v19, v19, v3, vcc_lo
	v_cndmask_b32_e32 v20, v20, v7, vcc_lo
	v_cmp_eq_u32_e32 vcc_lo, 6, v79
	s_delay_alu instid0(VALU_DEP_4) | instskip(NEXT) | instid1(VALU_DEP_4)
	v_cndmask_b32_e64 v17, v17, v11, s6
	v_cndmask_b32_e64 v19, v19, v11, s5
	s_delay_alu instid0(VALU_DEP_4) | instskip(SKIP_1) | instid1(VALU_DEP_3)
	v_cndmask_b32_e64 v20, v20, v15, s5
	v_cmp_eq_u32_e64 s5, 1, v81
	v_cndmask_b32_e32 v19, v19, v4, vcc_lo
	v_cndmask_b32_e64 v18, v18, v15, s6
	s_delay_alu instid0(VALU_DEP_3)
	v_cndmask_b32_e64 v1, v1, v9, s5
	v_cndmask_b32_e64 v5, v5, v13, s5
	v_cmp_eq_u32_e64 s5, 3, v77
	v_cndmask_b32_e64 v13, v22, v6, s8
	v_cmp_eq_u32_e64 s8, 3, v81
	v_cndmask_b32_e64 v1, v1, v2, s4
	v_cndmask_b32_e64 v2, v5, v6, s4
	;; [unrolled: 1-line block ×3, first 2 shown]
	v_cmp_eq_u32_e64 s4, 4, v77
	v_cndmask_b32_e64 v6, v13, v14, s5
	v_cndmask_b32_e64 v1, v1, v10, s8
	v_cmp_eq_u32_e64 s5, 4, v81
	v_cndmask_b32_e64 v2, v2, v14, s8
	v_cndmask_b32_e64 v5, v9, v3, s4
	;; [unrolled: 3-line block ×3, first 2 shown]
	v_cndmask_b32_e64 v2, v2, v7, s5
	v_cmp_eq_u32_e64 s4, 5, v81
	v_cmp_eq_u32_e64 s6, 6, v78
	v_cndmask_b32_e64 v5, v5, v11, s8
	v_cmp_eq_u32_e64 s5, 6, v77
	v_cndmask_b32_e64 v3, v6, v15, s8
	v_cndmask_b32_e64 v1, v1, v11, s4
	v_cmp_eq_u32_e64 s8, 6, v81
	v_cndmask_b32_e64 v2, v2, v15, s4
	v_cndmask_b32_e64 v17, v17, v4, s6
	v_cndmask_b32_e64 v18, v18, v8, s6
	v_cmp_eq_u32_e64 s6, 7, v78
	v_cndmask_b32_e64 v5, v5, v4, s5
	;; [unrolled: 4-line block ×3, first 2 shown]
	v_cmp_eq_u32_e64 s5, 7, v77
	v_cndmask_b32_e32 v4, v20, v8, vcc_lo
	v_cndmask_b32_e64 v17, v17, v12, s6
	v_cndmask_b32_e64 v19, v19, v12, s7
	;; [unrolled: 1-line block ×8, first 2 shown]
	v_cmp_gt_u32_e32 vcc_lo, 32, v0
	v_perm_b32 v4, v2, v1, 0x5040100
	v_perm_b32 v3, v3, v5, 0x5040100
	;; [unrolled: 1-line block ×4, first 2 shown]
	s_and_b32 s2, vcc_lo, s2
	ds_store_b128 v76, v[1:4]
	s_waitcnt lgkmcnt(0)
	s_barrier
	buffer_gl0_inv
	s_and_saveexec_b32 s4, s2
	s_cbranch_execz .LBB1384_2
; %bb.111:
	s_load_b64 s[4:5], s[0:1], 0x68
	v_lshlrev_b32_e32 v0, 10, v0
	v_lshlrev_b32_e32 v2, 4, v75
	v_add_nc_u32_e32 v1, s31, v74
	s_lshl_b32 s0, s36, 6
	s_delay_alu instid0(SALU_CYCLE_1) | instskip(NEXT) | instid1(VALU_DEP_2)
	s_mul_i32 s1, s0, s34
	v_and_or_b32 v0, 0x3800, v0, v2
	s_mul_i32 s6, s1, s9
	v_mul_lo_u32 v1, v1, s0
	s_ashr_i32 s7, s6, 31
	s_delay_alu instid0(VALU_DEP_2) | instskip(SKIP_1) | instid1(VALU_DEP_2)
	v_lshl_or_b32 v3, v74, 6, v0
	s_lshl_b64 s[6:7], s[6:7], 1
	v_ashrrev_i32_e32 v2, 31, v1
	ds_load_b128 v[3:6], v3
	s_waitcnt lgkmcnt(0)
	s_add_u32 s1, s4, s6
	s_addc_u32 s2, s5, s7
	s_lshl_b32 s4, s14, 6
	v_lshlrev_b64 v[7:8], 1, v[1:2]
	s_ashr_i32 s5, s4, 31
	s_delay_alu instid0(SALU_CYCLE_1) | instskip(NEXT) | instid1(SALU_CYCLE_1)
	s_lshl_b64 s[4:5], s[4:5], 1
	s_add_u32 s1, s1, s4
	s_addc_u32 s2, s2, s5
	v_add_co_u32 v1, s1, s1, v73
	s_delay_alu instid0(VALU_DEP_1) | instskip(NEXT) | instid1(VALU_DEP_2)
	v_add_co_ci_u32_e64 v2, null, s2, 0, s1
	v_add_co_u32 v7, vcc_lo, v1, v7
	s_delay_alu instid0(VALU_DEP_2)
	v_add_co_ci_u32_e32 v8, vcc_lo, v2, v8, vcc_lo
	global_store_b128 v[7:8], v[3:6], off
	s_and_b32 exec_lo, exec_lo, s3
	s_cbranch_execz .LBB1384_2
; %bb.112:
	ds_load_b128 v[3:6], v0 offset:128
	s_add_i32 s1, s31, 2
	s_delay_alu instid0(SALU_CYCLE_1) | instskip(NEXT) | instid1(SALU_CYCLE_1)
	s_mul_i32 s0, s1, s0
	s_ashr_i32 s1, s0, 31
	s_delay_alu instid0(SALU_CYCLE_1) | instskip(NEXT) | instid1(SALU_CYCLE_1)
	s_lshl_b64 s[0:1], s[0:1], 1
	v_add_co_u32 v0, vcc_lo, v1, s0
	v_add_co_ci_u32_e32 v1, vcc_lo, s1, v2, vcc_lo
	s_waitcnt lgkmcnt(0)
	global_store_b128 v[0:1], v[3:6], off
	s_nop 0
	s_sendmsg sendmsg(MSG_DEALLOC_VGPRS)
	s_endpgm
	.section	.rodata,"a",@progbits
	.p2align	6, 0x0
	.amdhsa_kernel _Z39paged_attention_ll4mi_QKV_mfma16_kernelI14__hip_bfloat16hLN4vllm18Fp8KVCacheDataTypeE1EhLi16ELi64ELi256ELb0ELi3EL8MFMAType1EEvPKT_PKT0_S9_ifPKiSB_SB_iPKfiiiPfSE_PS4_PT2_iSD_SD_
		.amdhsa_group_segment_fixed_size 17472
		.amdhsa_private_segment_fixed_size 0
		.amdhsa_kernarg_size 400
		.amdhsa_user_sgpr_count 13
		.amdhsa_user_sgpr_dispatch_ptr 0
		.amdhsa_user_sgpr_queue_ptr 0
		.amdhsa_user_sgpr_kernarg_segment_ptr 1
		.amdhsa_user_sgpr_dispatch_id 0
		.amdhsa_user_sgpr_private_segment_size 0
		.amdhsa_wavefront_size32 1
		.amdhsa_uses_dynamic_stack 0
		.amdhsa_enable_private_segment 0
		.amdhsa_system_sgpr_workgroup_id_x 1
		.amdhsa_system_sgpr_workgroup_id_y 1
		.amdhsa_system_sgpr_workgroup_id_z 1
		.amdhsa_system_sgpr_workgroup_info 0
		.amdhsa_system_vgpr_workitem_id 0
		.amdhsa_next_free_vgpr 124
		.amdhsa_next_free_sgpr 40
		.amdhsa_reserve_vcc 1
		.amdhsa_float_round_mode_32 0
		.amdhsa_float_round_mode_16_64 0
		.amdhsa_float_denorm_mode_32 3
		.amdhsa_float_denorm_mode_16_64 3
		.amdhsa_dx10_clamp 1
		.amdhsa_ieee_mode 1
		.amdhsa_fp16_overflow 0
		.amdhsa_workgroup_processor_mode 1
		.amdhsa_memory_ordered 1
		.amdhsa_forward_progress 0
		.amdhsa_shared_vgpr_count 0
		.amdhsa_exception_fp_ieee_invalid_op 0
		.amdhsa_exception_fp_denorm_src 0
		.amdhsa_exception_fp_ieee_div_zero 0
		.amdhsa_exception_fp_ieee_overflow 0
		.amdhsa_exception_fp_ieee_underflow 0
		.amdhsa_exception_fp_ieee_inexact 0
		.amdhsa_exception_int_div_zero 0
	.end_amdhsa_kernel
	.section	.text._Z39paged_attention_ll4mi_QKV_mfma16_kernelI14__hip_bfloat16hLN4vllm18Fp8KVCacheDataTypeE1EhLi16ELi64ELi256ELb0ELi3EL8MFMAType1EEvPKT_PKT0_S9_ifPKiSB_SB_iPKfiiiPfSE_PS4_PT2_iSD_SD_,"axG",@progbits,_Z39paged_attention_ll4mi_QKV_mfma16_kernelI14__hip_bfloat16hLN4vllm18Fp8KVCacheDataTypeE1EhLi16ELi64ELi256ELb0ELi3EL8MFMAType1EEvPKT_PKT0_S9_ifPKiSB_SB_iPKfiiiPfSE_PS4_PT2_iSD_SD_,comdat
.Lfunc_end1384:
	.size	_Z39paged_attention_ll4mi_QKV_mfma16_kernelI14__hip_bfloat16hLN4vllm18Fp8KVCacheDataTypeE1EhLi16ELi64ELi256ELb0ELi3EL8MFMAType1EEvPKT_PKT0_S9_ifPKiSB_SB_iPKfiiiPfSE_PS4_PT2_iSD_SD_, .Lfunc_end1384-_Z39paged_attention_ll4mi_QKV_mfma16_kernelI14__hip_bfloat16hLN4vllm18Fp8KVCacheDataTypeE1EhLi16ELi64ELi256ELb0ELi3EL8MFMAType1EEvPKT_PKT0_S9_ifPKiSB_SB_iPKfiiiPfSE_PS4_PT2_iSD_SD_
                                        ; -- End function
	.section	.AMDGPU.csdata,"",@progbits
; Kernel info:
; codeLenInByte = 8700
; NumSgprs: 42
; NumVgprs: 124
; ScratchSize: 0
; MemoryBound: 0
; FloatMode: 240
; IeeeMode: 1
; LDSByteSize: 17472 bytes/workgroup (compile time only)
; SGPRBlocks: 5
; VGPRBlocks: 15
; NumSGPRsForWavesPerEU: 42
; NumVGPRsForWavesPerEU: 124
; Occupancy: 10
; WaveLimiterHint : 1
; COMPUTE_PGM_RSRC2:SCRATCH_EN: 0
; COMPUTE_PGM_RSRC2:USER_SGPR: 13
; COMPUTE_PGM_RSRC2:TRAP_HANDLER: 0
; COMPUTE_PGM_RSRC2:TGID_X_EN: 1
; COMPUTE_PGM_RSRC2:TGID_Y_EN: 1
; COMPUTE_PGM_RSRC2:TGID_Z_EN: 1
; COMPUTE_PGM_RSRC2:TIDIG_COMP_CNT: 0
	.section	.text._Z39paged_attention_ll4mi_QKV_mfma16_kernelI14__hip_bfloat16hLN4vllm18Fp8KVCacheDataTypeE1EhLi16ELi64ELi256ELb0ELi4EL8MFMAType1EEvPKT_PKT0_S9_ifPKiSB_SB_iPKfiiiPfSE_PS4_PT2_iSD_SD_,"axG",@progbits,_Z39paged_attention_ll4mi_QKV_mfma16_kernelI14__hip_bfloat16hLN4vllm18Fp8KVCacheDataTypeE1EhLi16ELi64ELi256ELb0ELi4EL8MFMAType1EEvPKT_PKT0_S9_ifPKiSB_SB_iPKfiiiPfSE_PS4_PT2_iSD_SD_,comdat
	.protected	_Z39paged_attention_ll4mi_QKV_mfma16_kernelI14__hip_bfloat16hLN4vllm18Fp8KVCacheDataTypeE1EhLi16ELi64ELi256ELb0ELi4EL8MFMAType1EEvPKT_PKT0_S9_ifPKiSB_SB_iPKfiiiPfSE_PS4_PT2_iSD_SD_ ; -- Begin function _Z39paged_attention_ll4mi_QKV_mfma16_kernelI14__hip_bfloat16hLN4vllm18Fp8KVCacheDataTypeE1EhLi16ELi64ELi256ELb0ELi4EL8MFMAType1EEvPKT_PKT0_S9_ifPKiSB_SB_iPKfiiiPfSE_PS4_PT2_iSD_SD_
	.globl	_Z39paged_attention_ll4mi_QKV_mfma16_kernelI14__hip_bfloat16hLN4vllm18Fp8KVCacheDataTypeE1EhLi16ELi64ELi256ELb0ELi4EL8MFMAType1EEvPKT_PKT0_S9_ifPKiSB_SB_iPKfiiiPfSE_PS4_PT2_iSD_SD_
	.p2align	8
	.type	_Z39paged_attention_ll4mi_QKV_mfma16_kernelI14__hip_bfloat16hLN4vllm18Fp8KVCacheDataTypeE1EhLi16ELi64ELi256ELb0ELi4EL8MFMAType1EEvPKT_PKT0_S9_ifPKiSB_SB_iPKfiiiPfSE_PS4_PT2_iSD_SD_,@function
_Z39paged_attention_ll4mi_QKV_mfma16_kernelI14__hip_bfloat16hLN4vllm18Fp8KVCacheDataTypeE1EhLi16ELi64ELi256ELb0ELi4EL8MFMAType1EEvPKT_PKT0_S9_ifPKiSB_SB_iPKfiiiPfSE_PS4_PT2_iSD_SD_: ; @_Z39paged_attention_ll4mi_QKV_mfma16_kernelI14__hip_bfloat16hLN4vllm18Fp8KVCacheDataTypeE1EhLi16ELi64ELi256ELb0ELi4EL8MFMAType1EEvPKT_PKT0_S9_ifPKiSB_SB_iPKfiiiPfSE_PS4_PT2_iSD_SD_
; %bb.0:
	s_load_b64 s[2:3], s[0:1], 0x30
	s_mov_b32 s30, s13
	s_waitcnt lgkmcnt(0)
	s_cmp_lg_u64 s[2:3], 0
	s_cselect_b32 s8, -1, 0
	s_ashr_i32 s31, s13, 31
	s_cmp_eq_u64 s[2:3], 0
	s_cbranch_scc1 .LBB1385_3
; %bb.1:
	s_lshl_b64 s[4:5], s[30:31], 2
	s_delay_alu instid0(SALU_CYCLE_1) | instskip(SKIP_4) | instid1(SALU_CYCLE_1)
	s_add_u32 s4, s2, s4
	s_addc_u32 s5, s3, s5
	s_load_b64 s[4:5], s[4:5], 0x0
	s_waitcnt lgkmcnt(0)
	s_sub_i32 s4, s5, s4
	s_cmp_eq_u32 s4, 1
	s_cselect_b32 s4, -1, 0
	s_delay_alu instid0(SALU_CYCLE_1)
	s_and_not1_b32 vcc_lo, exec_lo, s4
	s_cbranch_vccz .LBB1385_4
.LBB1385_2:
	s_endpgm
.LBB1385_3:
.LBB1385_4:
	s_load_b64 s[4:5], s[0:1], 0x28
	s_lshl_b64 s[6:7], s[30:31], 2
	s_waitcnt lgkmcnt(0)
	s_add_u32 s4, s4, s6
	s_addc_u32 s5, s5, s7
	s_lshl_b32 s12, s14, 8
	s_load_b32 s24, s[4:5], 0x0
	s_waitcnt lgkmcnt(0)
	s_cmp_ge_i32 s12, s24
	s_cbranch_scc1 .LBB1385_2
; %bb.5:
	s_clause 0x1
	s_load_b128 s[20:23], s[0:1], 0x8
	s_load_b64 s[4:5], s[0:1], 0x20
	s_and_not1_b32 vcc_lo, exec_lo, s8
	s_cbranch_vccnz .LBB1385_7
; %bb.6:
	s_add_u32 s2, s2, s6
	s_addc_u32 s3, s3, s7
	s_load_b32 s3, s[2:3], 0x0
	s_branch .LBB1385_8
.LBB1385_7:
	s_mov_b32 s3, s30
.LBB1385_8:
	s_load_b128 s[16:19], s[0:1], 0x48
	v_and_b32_e32 v66, 15, v0
	v_cmp_gt_u32_e32 vcc_lo, 64, v0
	v_lshrrev_b32_e32 v65, 5, v0
	v_and_b32_e32 v67, 31, v0
	v_and_b32_e32 v74, 1, v0
	v_lshlrev_b32_e32 v1, 3, v66
	v_cmp_gt_u32_e64 s2, 8, v66
	v_bfe_u32 v75, v0, 4, 1
	s_lshl_b32 s31, s15, 2
	s_delay_alu instid0(VALU_DEP_3) | instskip(NEXT) | instid1(VALU_DEP_3)
	v_lshlrev_b32_e32 v73, 1, v1
	s_and_b32 s7, vcc_lo, s2
	s_delay_alu instid0(SALU_CYCLE_1)
	s_and_saveexec_b32 s6, s7
	s_cbranch_execz .LBB1385_10
; %bb.9:
	v_lshl_or_b32 v5, v65, 1, v75
	s_load_b64 s[8:9], s[0:1], 0x0
	s_waitcnt lgkmcnt(0)
	s_mul_hi_i32 s11, s3, s16
	s_mul_i32 s10, s3, s16
	v_lshlrev_b32_e32 v6, 10, v66
	v_or_b32_e32 v1, s31, v5
	s_lshl_b64 s[10:11], s[10:11], 1
	v_lshlrev_b32_e32 v5, 6, v5
	v_lshlrev_b32_e32 v7, 10, v74
	v_and_b32_e32 v6, 0x3800, v6
	v_lshlrev_b32_e32 v1, 6, v1
	s_delay_alu instid0(VALU_DEP_2) | instskip(NEXT) | instid1(VALU_DEP_2)
	v_or3_b32 v5, v6, v7, v5
	v_ashrrev_i32_e32 v2, 31, v1
	s_delay_alu instid0(VALU_DEP_1) | instskip(SKIP_2) | instid1(VALU_DEP_1)
	v_lshlrev_b64 v[1:2], 1, v[1:2]
	s_add_u32 s3, s8, s10
	s_addc_u32 s7, s9, s11
	v_add_co_u32 v1, vcc_lo, s3, v1
	s_delay_alu instid0(VALU_DEP_2) | instskip(NEXT) | instid1(VALU_DEP_2)
	v_add_co_ci_u32_e32 v2, vcc_lo, s7, v2, vcc_lo
	v_add_co_u32 v1, vcc_lo, v1, v73
	s_delay_alu instid0(VALU_DEP_2)
	v_add_co_ci_u32_e32 v2, vcc_lo, 0, v2, vcc_lo
	global_load_b128 v[1:4], v[1:2], off
	s_waitcnt vmcnt(0)
	ds_store_b128 v5, v[1:4]
.LBB1385_10:
	s_or_b32 exec_lo, exec_lo, s6
	v_and_b32_e32 v1, 0xef, v0
	s_waitcnt lgkmcnt(0)
	s_add_i32 s3, s24, 15
	s_clause 0x1
	s_load_b32 s6, s[0:1], 0x38
	s_load_b32 s19, s[0:1], 0x1c
	s_ashr_i32 s7, s3, 31
	v_add_nc_u32_e32 v1, s12, v1
	s_lshr_b32 s7, s7, 28
	s_waitcnt lgkmcnt(0)
	s_add_i32 s3, s3, s7
	s_barrier
	v_ashrrev_i32_e32 v2, 31, v1
	v_or_b32_e32 v3, 16, v1
	s_ashr_i32 s3, s3, 4
	v_cmp_gt_i32_e32 vcc_lo, s24, v1
	s_add_i32 s3, s3, -1
	v_lshrrev_b32_e32 v2, 28, v2
	buffer_gl0_inv
	s_mul_i32 s27, s15, s18
	v_add_nc_u32_e32 v4, v1, v2
	s_mul_i32 s6, s30, s6
	s_delay_alu instid0(SALU_CYCLE_1) | instskip(NEXT) | instid1(VALU_DEP_1)
	s_ashr_i32 s7, s6, 31
	v_ashrrev_i32_e32 v4, 4, v4
	v_add_nc_u32_e32 v2, v3, v2
	s_lshl_b64 s[6:7], s[6:7], 2
	s_delay_alu instid0(SALU_CYCLE_1) | instskip(NEXT) | instid1(VALU_DEP_2)
	s_add_u32 s26, s4, s6
	v_cndmask_b32_e32 v1, s3, v4, vcc_lo
	s_delay_alu instid0(VALU_DEP_2)
	v_ashrrev_i32_e32 v2, 4, v2
	v_cmp_gt_i32_e32 vcc_lo, s24, v3
	s_addc_u32 s25, s5, s7
	s_ashr_i32 s28, s27, 31
	s_add_u32 s13, s20, s27
	s_addc_u32 s15, s21, s28
	v_cndmask_b32_e32 v3, s3, v2, vcc_lo
	v_ashrrev_i32_e32 v2, 31, v1
	s_lshl_b32 s4, s14, 4
	s_delay_alu instid0(SALU_CYCLE_1) | instskip(NEXT) | instid1(VALU_DEP_2)
	s_ashr_i32 s5, s4, 31
	v_ashrrev_i32_e32 v4, 31, v3
	s_delay_alu instid0(VALU_DEP_2) | instskip(SKIP_1) | instid1(SALU_CYCLE_1)
	v_lshlrev_b64 v[1:2], 2, v[1:2]
	s_lshl_b64 s[4:5], s[4:5], 2
	s_add_u32 s4, s26, s4
	s_delay_alu instid0(VALU_DEP_2) | instskip(SKIP_1) | instid1(VALU_DEP_2)
	v_lshlrev_b64 v[3:4], 2, v[3:4]
	s_addc_u32 s5, s25, s5
	v_add_co_u32 v1, vcc_lo, s26, v1
	v_add_co_ci_u32_e32 v2, vcc_lo, s25, v2, vcc_lo
	s_delay_alu instid0(VALU_DEP_3) | instskip(NEXT) | instid1(VALU_DEP_4)
	v_add_co_u32 v3, vcc_lo, s26, v3
	v_add_co_ci_u32_e32 v4, vcc_lo, s25, v4, vcc_lo
	s_clause 0x1
	global_load_b32 v5, v[1:2], off
	global_load_b32 v7, v[3:4], off
	s_or_b32 s6, s12, 32
	v_lshlrev_b32_e32 v1, 4, v0
	s_ashr_i32 s7, s6, 4
	s_cmp_lt_i32 s6, s24
	s_cselect_b32 s6, s7, s3
	s_delay_alu instid0(VALU_DEP_1) | instskip(SKIP_1) | instid1(SALU_CYCLE_1)
	v_and_b32_e32 v1, 0xf0, v1
	s_ashr_i32 s7, s6, 31
	s_lshl_b64 s[6:7], s[6:7], 2
	s_delay_alu instid0(SALU_CYCLE_1)
	s_add_u32 s6, s26, s6
	s_addc_u32 s7, s25, s7
	s_or_b32 s8, s12, 64
	v_add_co_u32 v1, s13, s13, v1
	s_ashr_i32 s9, s8, 4
	s_cmp_lt_i32 s8, s24
	v_add_co_ci_u32_e64 v2, null, s15, 0, s13
	s_cselect_b32 s8, s9, s3
	s_delay_alu instid0(SALU_CYCLE_1) | instskip(NEXT) | instid1(SALU_CYCLE_1)
	s_ashr_i32 s9, s8, 31
	s_lshl_b64 s[8:9], s[8:9], 2
	s_delay_alu instid0(SALU_CYCLE_1) | instskip(SKIP_2) | instid1(SALU_CYCLE_1)
	s_add_u32 s8, s26, s8
	s_addc_u32 s9, s25, s9
	s_or_b32 s10, s12, 0x60
	s_ashr_i32 s11, s10, 4
	s_cmp_lt_i32 s10, s24
	s_cselect_b32 s10, s11, s3
	s_delay_alu instid0(SALU_CYCLE_1) | instskip(NEXT) | instid1(SALU_CYCLE_1)
	s_ashr_i32 s11, s10, 31
	s_lshl_b64 s[10:11], s[10:11], 2
	s_delay_alu instid0(SALU_CYCLE_1) | instskip(SKIP_2) | instid1(SALU_CYCLE_1)
	s_add_u32 s10, s26, s10
	s_addc_u32 s11, s25, s11
	s_or_b32 s16, s12, 0x80
	s_ashr_i32 s18, s16, 4
	s_cmp_lt_i32 s16, s24
	;; [unrolled: 10-line block ×3, first 2 shown]
	s_cselect_b32 s20, s18, s3
	s_delay_alu instid0(SALU_CYCLE_1) | instskip(NEXT) | instid1(SALU_CYCLE_1)
	s_ashr_i32 s21, s20, 31
	s_lshl_b64 s[20:21], s[20:21], 2
	s_delay_alu instid0(SALU_CYCLE_1)
	s_add_u32 s36, s26, s20
	s_addc_u32 s37, s25, s21
	s_clause 0x5
	s_load_b32 s21, s[4:5], 0x0
	s_load_b32 s13, s[6:7], 0x0
	;; [unrolled: 1-line block ×6, first 2 shown]
	s_or_b32 s7, s12, 0xc0
	s_mov_b32 s4, 0
	s_ashr_i32 s8, s7, 4
	s_cmp_lt_i32 s7, s24
	s_mov_b32 s5, s4
	s_cselect_b32 s10, s8, s3
	s_mov_b32 s6, s4
	s_ashr_i32 s11, s10, 31
	s_mov_b32 s7, s4
	s_lshl_b64 s[34:35], s[10:11], 2
	s_mov_b32 s11, s4
	s_add_u32 s34, s26, s34
	s_addc_u32 s35, s25, s35
	s_or_b32 s29, s12, 0xe0
	s_mov_b32 s8, s4
	s_ashr_i32 s33, s29, 4
	s_mov_b32 s9, s4
	s_mov_b32 s10, s4
	s_cmp_lt_i32 s29, s24
	v_dual_mov_b32 v107, s11 :: v_dual_mov_b32 v100, s4
	v_mov_b32_e32 v106, s10
	v_dual_mov_b32 v104, s8 :: v_dual_mov_b32 v103, s7
	v_dual_mov_b32 v102, s6 :: v_dual_mov_b32 v101, s5
	v_mov_b32_e32 v105, s9
	s_cselect_b32 s4, s33, s3
	s_delay_alu instid0(SALU_CYCLE_1) | instskip(NEXT) | instid1(SALU_CYCLE_1)
	s_ashr_i32 s5, s4, 31
	s_lshl_b64 s[4:5], s[4:5], 2
	s_delay_alu instid0(SALU_CYCLE_1)
	s_add_u32 s4, s26, s4
	s_addc_u32 s5, s25, s5
	s_add_u32 s6, s22, s27
	s_addc_u32 s7, s23, s28
	s_waitcnt vmcnt(1)
	v_mad_i64_i32 v[3:4], null, v5, s17, v[1:2]
	s_waitcnt vmcnt(0)
	v_mad_i64_i32 v[5:6], null, v7, s17, v[1:2]
	s_clause 0x7
	global_load_b128 v[49:52], v[3:4], off
	global_load_b128 v[53:56], v[3:4], off offset:256
	global_load_b128 v[76:79], v[5:6], off
	global_load_b128 v[80:83], v[5:6], off offset:256
	global_load_b128 v[84:87], v[3:4], off offset:512
	;; [unrolled: 1-line block ×5, first 2 shown]
	v_and_b32_e32 v1, 3, v0
	v_lshlrev_b32_e32 v2, 4, v66
	s_load_b32 s3, s[34:35], 0x0
	s_delay_alu instid0(VALU_DEP_2) | instskip(NEXT) | instid1(VALU_DEP_2)
	v_lshlrev_b32_e32 v70, 6, v1
	v_lshl_or_b32 v1, v65, 8, v2
	ds_load_b128 v[108:111], v70
	ds_load_b128 v[112:115], v70 offset:1024
	s_load_b32 s4, s[4:5], 0x0
	v_add_co_u32 v9, s6, s6, v1
	s_delay_alu instid0(VALU_DEP_1) | instskip(SKIP_1) | instid1(VALU_DEP_1)
	v_add_co_ci_u32_e64 v10, null, s7, 0, s6
	s_waitcnt lgkmcnt(0)
	v_mad_i64_i32 v[1:2], null, s21, s17, v[9:10]
	v_mad_i64_i32 v[3:4], null, s13, s17, v[9:10]
	v_mad_i64_i32 v[5:6], null, s15, s17, v[9:10]
	v_mad_i64_i32 v[7:8], null, s16, s17, v[9:10]
	v_mad_i64_i32 v[13:14], null, s20, s17, v[9:10]
	v_mad_i64_i32 v[11:12], null, s18, s17, v[9:10]
	v_mad_i64_i32 v[21:22], null, s3, s17, v[9:10]
	s_clause 0x9
	global_load_b128 v[57:60], v[1:2], off
	global_load_b128 v[61:64], v[1:2], off offset:16
	global_load_b128 v[41:44], v[3:4], off
	global_load_b128 v[45:48], v[3:4], off offset:16
	;; [unrolled: 2-line block ×5, first 2 shown]
	v_mad_i64_i32 v[68:69], null, s4, s17, v[9:10]
	s_clause 0x3
	global_load_b128 v[9:12], v[13:14], off
	global_load_b128 v[13:16], v[13:14], off offset:16
	global_load_b128 v[17:20], v[21:22], off
	global_load_b128 v[21:24], v[21:22], off offset:16
	s_waitcnt vmcnt(20)
	v_wmma_f32_16x16x16_bf16 v[116:123], v[49:56], v[108:115], v[100:107]
	s_clause 0x1
	global_load_b128 v[49:52], v[68:69], off
	global_load_b128 v[53:56], v[68:69], off offset:16
	v_and_b32_e32 v68, 0xe0, v0
	v_mbcnt_lo_u32_b32 v69, -1, 0
	s_delay_alu instid0(VALU_DEP_2)
	v_add_nc_u32_e32 v68, s12, v68
	s_waitcnt vmcnt(20)
	v_wmma_f32_16x16x16_bf16 v[100:107], v[76:83], v[108:115], v[100:107]
	ds_load_b128 v[76:79], v70 offset:2048
	ds_load_b128 v[80:83], v70 offset:3072
	v_xor_b32_e32 v70, 16, v69
	s_waitcnt vmcnt(0) lgkmcnt(0)
	v_or_b32_e32 v68, v68, v75
	s_barrier
	buffer_gl0_inv
	v_cmp_gt_i32_e32 vcc_lo, 32, v70
	v_or_b32_e32 v71, 4, v68
	v_or_b32_e32 v72, 6, v68
	v_cmp_gt_i32_e64 s3, s24, v68
	v_or_b32_e32 v108, 8, v68
	v_or_b32_e32 v109, 10, v68
	v_cmp_gt_i32_e64 s4, s24, v71
	v_cmp_gt_i32_e64 s5, s24, v72
	s_delay_alu instid0(VALU_DEP_4) | instskip(NEXT) | instid1(VALU_DEP_4)
	v_cmp_gt_i32_e64 s6, s24, v108
	v_cmp_gt_i32_e64 s7, s24, v109
	v_wmma_f32_16x16x16_bf16 v[116:123], v[84:91], v[76:83], v[116:123]
	v_cndmask_b32_e32 v69, v69, v70, vcc_lo
	v_or_b32_e32 v70, 2, v68
	v_wmma_f32_16x16x16_bf16 v[100:107], v[92:99], v[76:83], v[100:107]
	v_or_b32_e32 v89, 22, v68
	v_dual_mul_f32 v80, s19, v121 :: v_dual_mul_f32 v81, s19, v120
	v_dual_mul_f32 v92, s19, v117 :: v_dual_mul_f32 v93, s19, v116
	s_delay_alu instid0(VALU_DEP_4)
	v_mul_f32_e32 v96, s19, v105
	v_cmp_gt_i32_e32 vcc_lo, s24, v70
	v_dual_mul_f32 v79, s19, v122 :: v_dual_mul_f32 v82, s19, v119
	v_dual_mul_f32 v83, s19, v118 :: v_dual_mul_f32 v94, s19, v107
	v_cndmask_b32_e64 v93, 0xff7fffff, v93, s3
	v_cndmask_b32_e32 v92, 0xff7fffff, v92, vcc_lo
	v_or_b32_e32 v84, 12, v68
	v_or_b32_e32 v85, 14, v68
	v_cndmask_b32_e64 v71, 0xff7fffff, v83, s4
	v_cndmask_b32_e64 v72, 0xff7fffff, v82, s5
	v_cmp_gt_i32_e64 s13, s24, v89
	v_lshlrev_b32_e32 v89, 2, v69
	v_max3_f32 v82, v93, 0xff7fffff, v92
	v_or_b32_e32 v86, 16, v68
	v_or_b32_e32 v87, 18, v68
	v_mul_f32_e32 v78, s19, v123
	v_cndmask_b32_e64 v81, 0xff7fffff, v81, s6
	v_cndmask_b32_e64 v80, 0xff7fffff, v80, s7
	v_max3_f32 v71, v82, v71, v72
	v_cmp_gt_i32_e64 s8, s24, v84
	v_cmp_gt_i32_e64 s9, s24, v85
	v_or_b32_e32 v88, 20, v68
	v_or_b32_e32 v90, 24, v68
	;; [unrolled: 1-line block ×5, first 2 shown]
	v_dual_mul_f32 v97, s19, v104 :: v_dual_mul_f32 v70, s19, v101
	v_dual_mul_f32 v99, s19, v102 :: v_dual_mul_f32 v68, s19, v100
	v_cndmask_b32_e64 v72, 0xff7fffff, v79, s8
	v_cndmask_b32_e64 v78, 0xff7fffff, v78, s9
	v_max3_f32 v71, v71, v81, v80
	v_cmp_gt_i32_e64 s10, s24, v86
	v_cmp_gt_i32_e64 s11, s24, v87
	v_dual_mul_f32 v95, s19, v106 :: v_dual_mul_f32 v98, s19, v103
	s_delay_alu instid0(VALU_DEP_4) | instskip(NEXT) | instid1(VALU_DEP_4)
	v_max3_f32 v71, v71, v72, v78
	v_cndmask_b32_e64 v68, 0xff7fffff, v68, s10
	s_delay_alu instid0(VALU_DEP_4)
	v_cndmask_b32_e64 v70, 0xff7fffff, v70, s11
	v_cmp_gt_i32_e64 s12, s24, v88
	v_cndmask_b32_e64 v78, 0xff7fffff, v98, s13
	v_cmp_gt_i32_e64 s15, s24, v90
	v_cmp_gt_i32_e64 s16, s24, v91
	v_max3_f32 v68, v71, v68, v70
	v_cndmask_b32_e64 v72, 0xff7fffff, v99, s12
	v_cmp_gt_i32_e64 s17, s24, v76
	v_cndmask_b32_e64 v70, 0xff7fffff, v97, s15
	v_cndmask_b32_e64 v71, 0xff7fffff, v96, s16
	v_cmp_gt_i32_e64 s18, s24, v77
	v_max3_f32 v68, v68, v72, v78
	v_cndmask_b32_e64 v72, 0xff7fffff, v95, s17
	s_delay_alu instid0(VALU_DEP_3) | instskip(NEXT) | instid1(VALU_DEP_3)
	v_cndmask_b32_e64 v76, 0xff7fffff, v94, s18
	v_max3_f32 v68, v68, v70, v71
	s_delay_alu instid0(VALU_DEP_1) | instskip(SKIP_3) | instid1(VALU_DEP_1)
	v_max3_f32 v68, v68, v72, v76
	ds_bpermute_b32 v69, v89, v68
	s_waitcnt lgkmcnt(0)
	v_max_f32_e32 v69, v69, v69
	v_max_f32_e32 v68, v68, v69
	s_delay_alu instid0(VALU_DEP_1) | instskip(NEXT) | instid1(VALU_DEP_1)
	v_fma_f32 v71, s19, v118, -v68
	v_mul_f32_e32 v71, 0x3fb8aa3b, v71
	v_fma_f32 v70, s19, v117, -v68
	v_fma_f32 v69, s19, v116, -v68
	v_fma_f32 v76, s19, v120, -v68
	v_fma_f32 v72, s19, v119, -v68
	v_fma_f32 v78, s19, v122, -v68
	s_delay_alu instid0(VALU_DEP_4) | instskip(SKIP_1) | instid1(VALU_DEP_3)
	v_dual_mul_f32 v70, 0x3fb8aa3b, v70 :: v_dual_mul_f32 v69, 0x3fb8aa3b, v69
	v_exp_f32_e32 v71, v71
	v_mul_f32_e32 v72, 0x3fb8aa3b, v72
	v_fma_f32 v81, s19, v105, -v68
	s_delay_alu instid0(VALU_DEP_3)
	v_exp_f32_e32 v70, v70
	v_mul_f32_e32 v77, 0x3fb8aa3b, v76
	v_exp_f32_e32 v69, v69
	v_exp_f32_e32 v72, v72
	v_mul_f32_e32 v81, 0x3fb8aa3b, v81
	v_cndmask_b32_e64 v83, 0, v71, s4
	v_fma_f32 v71, s19, v123, -v68
	s_delay_alu instid0(VALU_DEP_3) | instskip(SKIP_4) | instid1(TRANS32_DEP_3)
	v_exp_f32_e32 v81, v81
	v_cndmask_b32_e32 v76, 0, v70, vcc_lo
	v_exp_f32_e32 v77, v77
	v_cndmask_b32_e64 v80, 0, v69, s3
	v_fma_f32 v69, s19, v121, -v68
	v_cndmask_b32_e64 v85, 0, v72, s5
	v_mul_f32_e32 v71, 0x3fb8aa3b, v71
	v_fma_f32 v72, s19, v100, -v68
	s_delay_alu instid0(VALU_DEP_4) | instskip(SKIP_1) | instid1(VALU_DEP_3)
	v_dual_add_f32 v70, 0, v80 :: v_dual_mul_f32 v69, 0x3fb8aa3b, v69
	s_mov_b32 s3, exec_lo
	v_exp_f32_e32 v71, v71
	s_delay_alu instid0(TRANS32_DEP_2) | instskip(SKIP_4) | instid1(VALU_DEP_3)
	v_cndmask_b32_e64 v86, 0, v77, s6
	v_fma_f32 v77, s19, v101, -v68
	v_mul_f32_e32 v78, 0x3fb8aa3b, v78
	v_add_f32_e32 v70, v70, v76
	v_exp_f32_e32 v69, v69
	v_mul_f32_e32 v77, 0x3fb8aa3b, v77
	s_delay_alu instid0(VALU_DEP_3) | instskip(NEXT) | instid1(TRANS32_DEP_3)
	v_exp_f32_e32 v78, v78
	v_cndmask_b32_e64 v88, 0, v71, s9
	v_fma_f32 v71, s19, v104, -v68
	s_delay_alu instid0(VALU_DEP_3) | instskip(NEXT) | instid1(TRANS32_DEP_3)
	v_exp_f32_e32 v77, v77
	v_cndmask_b32_e64 v87, 0, v69, s7
	s_delay_alu instid0(VALU_DEP_2)
	v_mul_f32_e32 v71, 0x3fb8aa3b, v71
	s_waitcnt_depctr 0xfff
	v_cndmask_b32_e64 v84, 0, v78, s8
	v_add_f32_e32 v70, v70, v83
	v_fma_f32 v78, s19, v103, -v68
	v_exp_f32_e32 v82, v71
	s_delay_alu instid0(VALU_DEP_2) | instskip(SKIP_1) | instid1(VALU_DEP_3)
	v_add_f32_e32 v70, v70, v85
	v_mul_f32_e32 v72, 0x3fb8aa3b, v72
	v_mul_f32_e32 v78, 0x3fb8aa3b, v78
	s_delay_alu instid0(VALU_DEP_3) | instskip(SKIP_1) | instid1(VALU_DEP_4)
	v_add_f32_e32 v69, v70, v86
	v_fma_f32 v70, s19, v102, -v68
	v_exp_f32_e32 v72, v72
	s_delay_alu instid0(VALU_DEP_3) | instskip(NEXT) | instid1(VALU_DEP_1)
	v_exp_f32_e32 v78, v78
	v_dual_add_f32 v69, v69, v87 :: v_dual_mul_f32 v70, 0x3fb8aa3b, v70
	s_delay_alu instid0(VALU_DEP_1) | instskip(NEXT) | instid1(VALU_DEP_2)
	v_add_f32_e32 v69, v69, v84
	v_exp_f32_e32 v79, v70
	s_delay_alu instid0(TRANS32_DEP_3) | instskip(NEXT) | instid1(VALU_DEP_2)
	v_cndmask_b32_e64 v70, 0, v72, s10
	v_add_f32_e32 v72, v69, v88
	v_cndmask_b32_e64 v69, 0, v77, s11
	v_fma_f32 v77, s19, v106, -v68
	s_waitcnt_depctr 0xfff
	v_cndmask_b32_e64 v71, 0, v79, s12
	v_dual_mul_f32 v77, 0x3fb8aa3b, v77 :: v_dual_add_f32 v72, v72, v70
	s_delay_alu instid0(VALU_DEP_1) | instskip(NEXT) | instid1(VALU_DEP_1)
	v_exp_f32_e32 v90, v77
	v_add_f32_e32 v79, v72, v69
	v_cndmask_b32_e64 v72, 0, v78, s13
	v_cndmask_b32_e64 v77, 0, v82, s15
	s_delay_alu instid0(VALU_DEP_3) | instskip(SKIP_1) | instid1(VALU_DEP_1)
	v_add_f32_e32 v78, v79, v71
	v_fma_f32 v79, s19, v107, -v68
	v_dual_add_f32 v82, v78, v72 :: v_dual_mul_f32 v79, 0x3fb8aa3b, v79
	v_cndmask_b32_e64 v78, 0, v81, s16
	s_delay_alu instid0(VALU_DEP_2) | instskip(NEXT) | instid1(VALU_DEP_3)
	v_add_f32_e32 v81, v82, v77
	v_exp_f32_e32 v82, v79
	v_cndmask_b32_e64 v79, 0, v90, s17
	s_delay_alu instid0(VALU_DEP_2) | instskip(NEXT) | instid1(VALU_DEP_1)
	v_add_f32_e32 v81, v81, v78
	v_add_f32_e32 v90, v81, v79
	s_waitcnt_depctr 0xfff
	v_cndmask_b32_e64 v81, 0, v82, s18
	s_delay_alu instid0(VALU_DEP_1)
	v_add_f32_e32 v82, v90, v81
	ds_bpermute_b32 v89, v89, v82
	v_cmpx_gt_u32_e32 16, v67
	s_cbranch_execz .LBB1385_12
; %bb.11:
	v_mul_u32_u24_e32 v67, 0x44, v65
	s_delay_alu instid0(VALU_DEP_1) | instskip(SKIP_1) | instid1(VALU_DEP_1)
	v_lshl_add_u32 v67, v66, 2, v67
	s_waitcnt lgkmcnt(0)
	v_dual_add_f32 v82, v82, v89 :: v_dual_add_nc_u32 v67, 0x4000, v67
	ds_store_2addr_b32 v67, v68, v82 offset1:136
.LBB1385_12:
	s_or_b32 exec_lo, exec_lo, s3
	v_lshlrev_b32_e32 v67, 2, v66
	s_waitcnt lgkmcnt(0)
	s_barrier
	buffer_gl0_inv
	v_cmp_eq_u32_e32 vcc_lo, 1, v65
	v_add_nc_u32_e32 v82, 0x4000, v67
	v_cmp_eq_u32_e64 s3, 2, v65
	v_cmp_eq_u32_e64 s5, 7, v65
	ds_load_2addr_b32 v[89:90], v82 offset1:17
	ds_load_2addr_b32 v[91:92], v82 offset0:34 offset1:51
	ds_load_2addr_b32 v[93:94], v82 offset0:68 offset1:85
	;; [unrolled: 1-line block ×4, first 2 shown]
	s_waitcnt lgkmcnt(4)
	v_max3_f32 v67, v89, 0xff7fffff, v90
	s_waitcnt lgkmcnt(3)
	s_delay_alu instid0(VALU_DEP_1) | instskip(SKIP_1) | instid1(VALU_DEP_1)
	v_max3_f32 v67, v67, v91, v92
	s_waitcnt lgkmcnt(2)
	v_max3_f32 v67, v67, v93, v94
	s_waitcnt lgkmcnt(1)
	s_delay_alu instid0(VALU_DEP_1) | instskip(NEXT) | instid1(VALU_DEP_1)
	v_max3_f32 v67, v67, v95, v96
	v_sub_f32_e32 v93, v93, v67
	s_delay_alu instid0(VALU_DEP_1) | instskip(NEXT) | instid1(VALU_DEP_1)
	v_dual_sub_f32 v68, v89, v67 :: v_dual_mul_f32 v103, 0x3fb8aa3b, v93
	v_mul_f32_e32 v68, 0x3fb8aa3b, v68
	s_delay_alu instid0(VALU_DEP_1)
	v_exp_f32_e32 v100, v68
	v_sub_f32_e32 v68, v92, v67
	v_sub_f32_e32 v99, v90, v67
	ds_load_2addr_b32 v[89:90], v82 offset0:170 offset1:187
	v_dual_mul_f32 v102, 0x3fb8aa3b, v68 :: v_dual_mul_f32 v99, 0x3fb8aa3b, v99
	s_waitcnt lgkmcnt(1)
	v_fma_f32 v68, v100, v97, 0
	s_delay_alu instid0(VALU_DEP_2) | instskip(NEXT) | instid1(VALU_DEP_2)
	v_exp_f32_e32 v102, v102
	v_exp_f32_e32 v99, v99
	s_waitcnt_depctr 0xfff
	v_fmac_f32_e32 v68, v99, v98
	v_sub_f32_e32 v91, v91, v67
	s_delay_alu instid0(VALU_DEP_1)
	v_mul_f32_e32 v101, 0x3fb8aa3b, v91
	ds_load_2addr_b32 v[91:92], v82 offset0:204 offset1:221
	v_sub_f32_e32 v97, v94, v67
	ds_load_2addr_b32 v[93:94], v82 offset0:238 offset1:255
	s_waitcnt lgkmcnt(0)
	v_exp_f32_e32 v101, v101
	s_barrier
	buffer_gl0_inv
	v_dual_fmac_f32 v68, v101, v89 :: v_dual_sub_f32 v89, v96, v67
	v_dual_sub_f32 v82, v95, v67 :: v_dual_mul_f32 v95, 0x3fb8aa3b, v97
	v_exp_f32_e32 v97, v103
	s_delay_alu instid0(VALU_DEP_2) | instskip(NEXT) | instid1(VALU_DEP_2)
	v_dual_fmac_f32 v68, v102, v90 :: v_dual_mul_f32 v89, 0x3fb8aa3b, v89
	v_mul_f32_e32 v82, 0x3fb8aa3b, v82
	s_delay_alu instid0(VALU_DEP_3) | instskip(NEXT) | instid1(VALU_DEP_2)
	v_exp_f32_e32 v95, v95
	v_exp_f32_e32 v89, v89
	s_delay_alu instid0(VALU_DEP_1)
	v_exp_f32_e32 v82, v82
	v_fmac_f32_e32 v68, v97, v91
	s_delay_alu instid0(TRANS32_DEP_3) | instid1(VALU_DEP_1)
	v_fmac_f32_e32 v68, v95, v92
	s_waitcnt_depctr 0xfff
	v_fmac_f32_e32 v68, v82, v93
	s_delay_alu instid0(VALU_DEP_1) | instskip(NEXT) | instid1(VALU_DEP_1)
	v_fmac_f32_e32 v68, v89, v94
	v_add_f32_e32 v90, 0x358637bd, v68
	s_delay_alu instid0(VALU_DEP_1) | instskip(NEXT) | instid1(VALU_DEP_1)
	v_div_scale_f32 v91, null, v90, v90, 1.0
	v_rcp_f32_e32 v92, v91
	s_waitcnt_depctr 0xfff
	v_fma_f32 v93, -v91, v92, 1.0
	s_delay_alu instid0(VALU_DEP_1) | instskip(SKIP_1) | instid1(VALU_DEP_2)
	v_dual_fmac_f32 v92, v93, v92 :: v_dual_cndmask_b32 v93, v100, v99
	v_cmp_eq_u32_e32 vcc_lo, 3, v65
	v_cndmask_b32_e64 v93, v93, v101, s3
	v_cmp_eq_u32_e64 s3, 4, v65
	s_delay_alu instid0(VALU_DEP_2) | instskip(SKIP_1) | instid1(VALU_DEP_2)
	v_cndmask_b32_e32 v93, v93, v102, vcc_lo
	v_cmp_eq_u32_e32 vcc_lo, 5, v65
	v_cndmask_b32_e64 v93, v93, v97, s3
	v_cmp_eq_u32_e64 s3, 6, v65
	s_delay_alu instid0(VALU_DEP_2) | instskip(SKIP_1) | instid1(VALU_DEP_1)
	v_cndmask_b32_e32 v93, v93, v95, vcc_lo
	v_div_scale_f32 v94, s4, 1.0, v90, 1.0
	s_mov_b32 vcc_lo, s4
	s_delay_alu instid0(VALU_DEP_2) | instskip(NEXT) | instid1(VALU_DEP_2)
	v_cndmask_b32_e64 v82, v93, v82, s3
	v_mul_f32_e32 v96, v94, v92
	s_mov_b32 s3, exec_lo
	s_delay_alu instid0(VALU_DEP_2) | instskip(NEXT) | instid1(VALU_DEP_2)
	v_cndmask_b32_e64 v82, v82, v89, s5
	v_fma_f32 v98, -v91, v96, v94
	s_delay_alu instid0(VALU_DEP_1) | instskip(NEXT) | instid1(VALU_DEP_1)
	v_fmac_f32_e32 v96, v98, v92
	v_fma_f32 v91, -v91, v96, v94
	s_delay_alu instid0(VALU_DEP_1) | instskip(NEXT) | instid1(VALU_DEP_1)
	v_div_fmas_f32 v91, v91, v92, v96
	v_div_fixup_f32 v90, v91, v90, 1.0
	s_delay_alu instid0(VALU_DEP_1) | instskip(NEXT) | instid1(VALU_DEP_1)
	v_mul_f32_e32 v82, v82, v90
	v_mul_f32_e32 v87, v82, v87
	;; [unrolled: 1-line block ×7, first 2 shown]
	v_dual_mul_f32 v86, v82, v83 :: v_dual_and_b32 v91, 0x7f800000, v90
	v_mul_f32_e32 v85, v82, v76
                                        ; implicit-def: $vgpr76
	s_delay_alu instid0(VALU_DEP_2)
	v_cmpx_ne_u32_e32 0x7f800000, v91
	s_xor_b32 s3, exec_lo, s3
; %bb.13:
	v_bfe_u32 v76, v90, 16, 1
	s_delay_alu instid0(VALU_DEP_1)
	v_add3_u32 v76, v90, v76, 0x7fff
                                        ; implicit-def: $vgpr90
; %bb.14:
	s_and_not1_saveexec_b32 s3, s3
; %bb.15:
	v_and_b32_e32 v76, 0xffff, v90
	v_or_b32_e32 v83, 0x10000, v90
	s_delay_alu instid0(VALU_DEP_2) | instskip(NEXT) | instid1(VALU_DEP_2)
	v_cmp_eq_u32_e32 vcc_lo, 0, v76
	v_cndmask_b32_e32 v76, v83, v90, vcc_lo
; %bb.16:
	s_or_b32 exec_lo, exec_lo, s3
	v_and_b32_e32 v83, 0x7f800000, v85
	s_delay_alu instid0(VALU_DEP_1) | instskip(SKIP_1) | instid1(SALU_CYCLE_1)
	v_cmp_ne_u32_e32 vcc_lo, 0x7f800000, v83
                                        ; implicit-def: $vgpr83
	s_and_saveexec_b32 s3, vcc_lo
	s_xor_b32 s3, exec_lo, s3
; %bb.17:
	v_bfe_u32 v83, v85, 16, 1
	s_delay_alu instid0(VALU_DEP_1)
	v_add3_u32 v83, v85, v83, 0x7fff
                                        ; implicit-def: $vgpr85
; %bb.18:
	s_and_not1_saveexec_b32 s3, s3
; %bb.19:
	v_and_b32_e32 v83, 0xffff, v85
	v_or_b32_e32 v90, 0x10000, v85
	s_delay_alu instid0(VALU_DEP_2) | instskip(NEXT) | instid1(VALU_DEP_2)
	v_cmp_eq_u32_e32 vcc_lo, 0, v83
	v_cndmask_b32_e32 v83, v90, v85, vcc_lo
; %bb.20:
	s_or_b32 exec_lo, exec_lo, s3
	v_and_b32_e32 v85, 0x7f800000, v86
	s_delay_alu instid0(VALU_DEP_1) | instskip(SKIP_1) | instid1(SALU_CYCLE_1)
	v_cmp_ne_u32_e32 vcc_lo, 0x7f800000, v85
                                        ; implicit-def: $vgpr85
	s_and_saveexec_b32 s3, vcc_lo
	s_xor_b32 s3, exec_lo, s3
; %bb.21:
	v_bfe_u32 v85, v86, 16, 1
	s_delay_alu instid0(VALU_DEP_1)
	v_add3_u32 v85, v86, v85, 0x7fff
                                        ; implicit-def: $vgpr86
; %bb.22:
	s_and_not1_saveexec_b32 s3, s3
; %bb.23:
	v_and_b32_e32 v85, 0xffff, v86
	v_or_b32_e32 v90, 0x10000, v86
	s_delay_alu instid0(VALU_DEP_2) | instskip(NEXT) | instid1(VALU_DEP_2)
	v_cmp_eq_u32_e32 vcc_lo, 0, v85
	v_cndmask_b32_e32 v85, v90, v86, vcc_lo
; %bb.24:
	s_or_b32 exec_lo, exec_lo, s3
	v_and_b32_e32 v86, 0x7f800000, v89
	s_delay_alu instid0(VALU_DEP_1) | instskip(SKIP_1) | instid1(SALU_CYCLE_1)
	v_cmp_ne_u32_e32 vcc_lo, 0x7f800000, v86
                                        ; implicit-def: $vgpr86
	s_and_saveexec_b32 s3, vcc_lo
	s_xor_b32 s3, exec_lo, s3
; %bb.25:
	v_bfe_u32 v86, v89, 16, 1
	s_delay_alu instid0(VALU_DEP_1)
	v_add3_u32 v86, v89, v86, 0x7fff
                                        ; implicit-def: $vgpr89
; %bb.26:
	s_and_not1_saveexec_b32 s3, s3
; %bb.27:
	v_and_b32_e32 v86, 0xffff, v89
	v_or_b32_e32 v90, 0x10000, v89
	s_delay_alu instid0(VALU_DEP_2) | instskip(NEXT) | instid1(VALU_DEP_2)
	v_cmp_eq_u32_e32 vcc_lo, 0, v86
	v_cndmask_b32_e32 v86, v90, v89, vcc_lo
; %bb.28:
	s_or_b32 exec_lo, exec_lo, s3
	v_and_b32_e32 v89, 0x7f800000, v88
	s_delay_alu instid0(VALU_DEP_1) | instskip(SKIP_1) | instid1(SALU_CYCLE_1)
	v_cmp_ne_u32_e32 vcc_lo, 0x7f800000, v89
                                        ; implicit-def: $vgpr89
	s_and_saveexec_b32 s3, vcc_lo
	s_xor_b32 s3, exec_lo, s3
; %bb.29:
	v_bfe_u32 v89, v88, 16, 1
	s_delay_alu instid0(VALU_DEP_1)
	v_add3_u32 v89, v88, v89, 0x7fff
                                        ; implicit-def: $vgpr88
; %bb.30:
	s_and_not1_saveexec_b32 s3, s3
; %bb.31:
	v_and_b32_e32 v89, 0xffff, v88
	v_or_b32_e32 v90, 0x10000, v88
	s_delay_alu instid0(VALU_DEP_2) | instskip(NEXT) | instid1(VALU_DEP_2)
	v_cmp_eq_u32_e32 vcc_lo, 0, v89
	v_cndmask_b32_e32 v89, v90, v88, vcc_lo
; %bb.32:
	s_or_b32 exec_lo, exec_lo, s3
	v_and_b32_e32 v88, 0x7f800000, v87
	s_delay_alu instid0(VALU_DEP_1) | instskip(SKIP_1) | instid1(SALU_CYCLE_1)
	v_cmp_ne_u32_e32 vcc_lo, 0x7f800000, v88
                                        ; implicit-def: $vgpr88
	s_and_saveexec_b32 s3, vcc_lo
	s_xor_b32 s3, exec_lo, s3
; %bb.33:
	v_bfe_u32 v88, v87, 16, 1
	s_delay_alu instid0(VALU_DEP_1)
	v_add3_u32 v88, v87, v88, 0x7fff
                                        ; implicit-def: $vgpr87
; %bb.34:
	s_and_not1_saveexec_b32 s3, s3
; %bb.35:
	v_and_b32_e32 v88, 0xffff, v87
	v_or_b32_e32 v90, 0x10000, v87
	s_delay_alu instid0(VALU_DEP_2) | instskip(NEXT) | instid1(VALU_DEP_2)
	v_cmp_eq_u32_e32 vcc_lo, 0, v88
	v_cndmask_b32_e32 v88, v90, v87, vcc_lo
; %bb.36:
	s_or_b32 exec_lo, exec_lo, s3
	v_and_b32_e32 v87, 0x7f800000, v84
	s_delay_alu instid0(VALU_DEP_1) | instskip(SKIP_1) | instid1(SALU_CYCLE_1)
	v_cmp_ne_u32_e32 vcc_lo, 0x7f800000, v87
                                        ; implicit-def: $vgpr87
	s_and_saveexec_b32 s3, vcc_lo
	s_xor_b32 s3, exec_lo, s3
; %bb.37:
	v_bfe_u32 v87, v84, 16, 1
	s_delay_alu instid0(VALU_DEP_1)
	v_add3_u32 v87, v84, v87, 0x7fff
                                        ; implicit-def: $vgpr84
; %bb.38:
	s_and_not1_saveexec_b32 s3, s3
; %bb.39:
	v_and_b32_e32 v87, 0xffff, v84
	v_or_b32_e32 v90, 0x10000, v84
	s_delay_alu instid0(VALU_DEP_2) | instskip(NEXT) | instid1(VALU_DEP_2)
	v_cmp_eq_u32_e32 vcc_lo, 0, v87
	v_cndmask_b32_e32 v87, v90, v84, vcc_lo
; %bb.40:
	s_or_b32 exec_lo, exec_lo, s3
	v_and_b32_e32 v84, 0x7f800000, v80
	s_delay_alu instid0(VALU_DEP_1) | instskip(SKIP_1) | instid1(SALU_CYCLE_1)
	v_cmp_ne_u32_e32 vcc_lo, 0x7f800000, v84
                                        ; implicit-def: $vgpr84
	s_and_saveexec_b32 s3, vcc_lo
	s_xor_b32 s3, exec_lo, s3
; %bb.41:
	v_bfe_u32 v84, v80, 16, 1
	s_delay_alu instid0(VALU_DEP_1)
	v_add3_u32 v84, v80, v84, 0x7fff
                                        ; implicit-def: $vgpr80
; %bb.42:
	s_and_not1_saveexec_b32 s3, s3
; %bb.43:
	v_and_b32_e32 v84, 0xffff, v80
	v_or_b32_e32 v90, 0x10000, v80
	s_delay_alu instid0(VALU_DEP_2) | instskip(NEXT) | instid1(VALU_DEP_2)
	v_cmp_eq_u32_e32 vcc_lo, 0, v84
	v_cndmask_b32_e32 v84, v90, v80, vcc_lo
; %bb.44:
	s_or_b32 exec_lo, exec_lo, s3
	s_load_b64 s[34:35], s[0:1], 0x94
	v_lshlrev_b32_e32 v91, 4, v75
	s_delay_alu instid0(VALU_DEP_2)
	v_perm_b32 v90, v84, v87, 0x7060302
	v_dual_mul_f32 v77, v82, v77 :: v_dual_lshlrev_b32 v80, 6, v66
	v_lshlrev_b32_e32 v66, 11, v65
	v_perm_b32 v87, v83, v76, 0x7060302
	v_mul_f32_e32 v83, v82, v70
	v_perm_b32 v89, v88, v89, 0x7060302
	v_perm_b32 v88, v86, v85, 0x7060302
	v_or3_b32 v76, v91, v66, v80
	v_mul_f32_e32 v66, v82, v81
	v_mul_f32_e32 v70, v82, v79
	;; [unrolled: 1-line block ×3, first 2 shown]
	v_dual_mul_f32 v81, v82, v72 :: v_dual_and_b32 v84, 0x7f800000, v83
	v_mul_f32_e32 v79, v82, v71
	v_mul_f32_e32 v72, v82, v69
	s_mov_b32 s3, exec_lo
	ds_store_b128 v76, v[87:90]
                                        ; implicit-def: $vgpr69
	v_cmpx_ne_u32_e32 0x7f800000, v84
	s_xor_b32 s3, exec_lo, s3
; %bb.45:
	v_bfe_u32 v69, v83, 16, 1
	s_delay_alu instid0(VALU_DEP_1)
	v_add3_u32 v69, v83, v69, 0x7fff
                                        ; implicit-def: $vgpr83
; %bb.46:
	s_and_not1_saveexec_b32 s3, s3
; %bb.47:
	v_and_b32_e32 v69, 0xffff, v83
	v_or_b32_e32 v71, 0x10000, v83
	s_delay_alu instid0(VALU_DEP_2) | instskip(NEXT) | instid1(VALU_DEP_2)
	v_cmp_eq_u32_e32 vcc_lo, 0, v69
	v_cndmask_b32_e32 v69, v71, v83, vcc_lo
; %bb.48:
	s_or_b32 exec_lo, exec_lo, s3
	v_and_b32_e32 v71, 0x7f800000, v72
	s_delay_alu instid0(VALU_DEP_1) | instskip(SKIP_1) | instid1(SALU_CYCLE_1)
	v_cmp_ne_u32_e32 vcc_lo, 0x7f800000, v71
                                        ; implicit-def: $vgpr71
	s_and_saveexec_b32 s3, vcc_lo
	s_xor_b32 s3, exec_lo, s3
; %bb.49:
	v_bfe_u32 v71, v72, 16, 1
	s_delay_alu instid0(VALU_DEP_1)
	v_add3_u32 v71, v72, v71, 0x7fff
                                        ; implicit-def: $vgpr72
; %bb.50:
	s_and_not1_saveexec_b32 s3, s3
; %bb.51:
	v_and_b32_e32 v71, 0xffff, v72
	v_or_b32_e32 v82, 0x10000, v72
	s_delay_alu instid0(VALU_DEP_2) | instskip(NEXT) | instid1(VALU_DEP_2)
	v_cmp_eq_u32_e32 vcc_lo, 0, v71
	v_cndmask_b32_e32 v71, v82, v72, vcc_lo
; %bb.52:
	s_or_b32 exec_lo, exec_lo, s3
	v_and_b32_e32 v72, 0x7f800000, v79
	s_delay_alu instid0(VALU_DEP_1) | instskip(SKIP_1) | instid1(SALU_CYCLE_1)
	v_cmp_ne_u32_e32 vcc_lo, 0x7f800000, v72
                                        ; implicit-def: $vgpr72
	s_and_saveexec_b32 s3, vcc_lo
	s_xor_b32 s3, exec_lo, s3
; %bb.53:
	v_bfe_u32 v72, v79, 16, 1
	s_delay_alu instid0(VALU_DEP_1)
	v_add3_u32 v72, v79, v72, 0x7fff
                                        ; implicit-def: $vgpr79
; %bb.54:
	s_and_not1_saveexec_b32 s3, s3
; %bb.55:
	v_and_b32_e32 v72, 0xffff, v79
	v_or_b32_e32 v82, 0x10000, v79
	s_delay_alu instid0(VALU_DEP_2) | instskip(NEXT) | instid1(VALU_DEP_2)
	v_cmp_eq_u32_e32 vcc_lo, 0, v72
	v_cndmask_b32_e32 v72, v82, v79, vcc_lo
; %bb.56:
	s_or_b32 exec_lo, exec_lo, s3
	v_and_b32_e32 v79, 0x7f800000, v81
	s_delay_alu instid0(VALU_DEP_1) | instskip(SKIP_1) | instid1(SALU_CYCLE_1)
	v_cmp_ne_u32_e32 vcc_lo, 0x7f800000, v79
                                        ; implicit-def: $vgpr79
	s_and_saveexec_b32 s3, vcc_lo
	s_xor_b32 s3, exec_lo, s3
; %bb.57:
	v_bfe_u32 v79, v81, 16, 1
	s_delay_alu instid0(VALU_DEP_1)
	v_add3_u32 v79, v81, v79, 0x7fff
                                        ; implicit-def: $vgpr81
; %bb.58:
	s_and_not1_saveexec_b32 s3, s3
; %bb.59:
	v_and_b32_e32 v79, 0xffff, v81
	v_or_b32_e32 v82, 0x10000, v81
	s_delay_alu instid0(VALU_DEP_2) | instskip(NEXT) | instid1(VALU_DEP_2)
	v_cmp_eq_u32_e32 vcc_lo, 0, v79
	v_cndmask_b32_e32 v79, v82, v81, vcc_lo
; %bb.60:
	s_or_b32 exec_lo, exec_lo, s3
	v_and_b32_e32 v81, 0x7f800000, v77
	s_delay_alu instid0(VALU_DEP_1) | instskip(SKIP_1) | instid1(SALU_CYCLE_1)
	v_cmp_ne_u32_e32 vcc_lo, 0x7f800000, v81
                                        ; implicit-def: $vgpr81
	s_and_saveexec_b32 s3, vcc_lo
	s_xor_b32 s3, exec_lo, s3
; %bb.61:
	v_bfe_u32 v81, v77, 16, 1
	s_delay_alu instid0(VALU_DEP_1)
	v_add3_u32 v81, v77, v81, 0x7fff
                                        ; implicit-def: $vgpr77
; %bb.62:
	s_and_not1_saveexec_b32 s3, s3
; %bb.63:
	v_and_b32_e32 v81, 0xffff, v77
	v_or_b32_e32 v82, 0x10000, v77
	s_delay_alu instid0(VALU_DEP_2) | instskip(NEXT) | instid1(VALU_DEP_2)
	v_cmp_eq_u32_e32 vcc_lo, 0, v81
	v_cndmask_b32_e32 v81, v82, v77, vcc_lo
; %bb.64:
	s_or_b32 exec_lo, exec_lo, s3
	v_and_b32_e32 v77, 0x7f800000, v78
	s_delay_alu instid0(VALU_DEP_1) | instskip(SKIP_1) | instid1(SALU_CYCLE_1)
	v_cmp_ne_u32_e32 vcc_lo, 0x7f800000, v77
                                        ; implicit-def: $vgpr77
	s_and_saveexec_b32 s3, vcc_lo
	s_xor_b32 s3, exec_lo, s3
; %bb.65:
	v_bfe_u32 v77, v78, 16, 1
	s_delay_alu instid0(VALU_DEP_1)
	v_add3_u32 v77, v78, v77, 0x7fff
                                        ; implicit-def: $vgpr78
; %bb.66:
	s_and_not1_saveexec_b32 s3, s3
; %bb.67:
	v_and_b32_e32 v77, 0xffff, v78
	v_or_b32_e32 v82, 0x10000, v78
	s_delay_alu instid0(VALU_DEP_2) | instskip(NEXT) | instid1(VALU_DEP_2)
	v_cmp_eq_u32_e32 vcc_lo, 0, v77
	v_cndmask_b32_e32 v77, v82, v78, vcc_lo
; %bb.68:
	s_or_b32 exec_lo, exec_lo, s3
	v_and_b32_e32 v78, 0x7f800000, v70
	s_delay_alu instid0(VALU_DEP_1) | instskip(SKIP_1) | instid1(SALU_CYCLE_1)
	v_cmp_ne_u32_e32 vcc_lo, 0x7f800000, v78
                                        ; implicit-def: $vgpr78
	s_and_saveexec_b32 s3, vcc_lo
	s_xor_b32 s3, exec_lo, s3
; %bb.69:
	v_bfe_u32 v78, v70, 16, 1
	s_delay_alu instid0(VALU_DEP_1)
	v_add3_u32 v78, v70, v78, 0x7fff
                                        ; implicit-def: $vgpr70
; %bb.70:
	s_and_not1_saveexec_b32 s3, s3
; %bb.71:
	v_and_b32_e32 v78, 0xffff, v70
	v_or_b32_e32 v82, 0x10000, v70
	s_delay_alu instid0(VALU_DEP_2) | instskip(NEXT) | instid1(VALU_DEP_2)
	v_cmp_eq_u32_e32 vcc_lo, 0, v78
	v_cndmask_b32_e32 v78, v82, v70, vcc_lo
; %bb.72:
	s_or_b32 exec_lo, exec_lo, s3
	v_and_b32_e32 v70, 0x7f800000, v66
	s_delay_alu instid0(VALU_DEP_1) | instskip(SKIP_1) | instid1(SALU_CYCLE_1)
	v_cmp_ne_u32_e32 vcc_lo, 0x7f800000, v70
                                        ; implicit-def: $vgpr70
	s_and_saveexec_b32 s3, vcc_lo
	s_xor_b32 s3, exec_lo, s3
; %bb.73:
	v_bfe_u32 v70, v66, 16, 1
	s_delay_alu instid0(VALU_DEP_1)
	v_add3_u32 v70, v66, v70, 0x7fff
                                        ; implicit-def: $vgpr66
; %bb.74:
	s_and_not1_saveexec_b32 s3, s3
; %bb.75:
	v_and_b32_e32 v70, 0xffff, v66
	v_or_b32_e32 v82, 0x10000, v66
	s_delay_alu instid0(VALU_DEP_2) | instskip(NEXT) | instid1(VALU_DEP_2)
	v_cmp_eq_u32_e32 vcc_lo, 0, v70
	v_cndmask_b32_e32 v70, v82, v66, vcc_lo
; %bb.76:
	s_or_b32 exec_lo, exec_lo, s3
	s_delay_alu instid0(VALU_DEP_1)
	v_perm_b32 v86, v70, v78, 0x7060302
	v_perm_b32 v85, v77, v81, 0x7060302
	;; [unrolled: 1-line block ×4, first 2 shown]
	v_lshl_or_b32 v82, v65, 11, v80
	ds_store_b128 v76, v[83:86] offset:1024
	s_waitcnt lgkmcnt(0)
	s_barrier
	buffer_gl0_inv
	ds_load_b128 v[69:72], v82
	ds_load_b128 v[83:86], v82 offset:16
	s_waitcnt lgkmcnt(1)
	v_lshrrev_b32_e32 v65, 16, v69
	v_lshlrev_b32_e32 v78, 2, v75
	s_waitcnt lgkmcnt(0)
	v_lshrrev_b32_e32 v91, 16, v83
	v_lshrrev_b32_e32 v66, 16, v70
	;; [unrolled: 1-line block ×4, first 2 shown]
	v_cmp_eq_u32_e32 vcc_lo, 1, v78
	v_lshrrev_b32_e32 v98, 16, v85
	v_lshrrev_b32_e32 v96, 16, v72
	;; [unrolled: 1-line block ×3, first 2 shown]
	v_cndmask_b32_e32 v81, v69, v65, vcc_lo
	v_or_b32_e32 v79, 1, v78
	v_cmp_eq_u32_e64 s4, 2, v78
	v_cndmask_b32_e32 v87, v83, v91, vcc_lo
	v_cmp_eq_u32_e64 s7, 3, v78
	v_cmp_eq_u32_e64 s9, 4, v78
	;; [unrolled: 1-line block ×3, first 2 shown]
	v_cndmask_b32_e64 v81, v81, v70, s4
	v_cmp_eq_u32_e64 s6, 2, v79
	v_cndmask_b32_e64 v87, v87, v84, s4
	v_cmp_eq_u32_e64 s8, 3, v79
	v_cndmask_b32_e64 v88, v69, v65, s3
	v_cndmask_b32_e64 v81, v81, v66, s7
	v_or_b32_e32 v77, 2, v78
	v_cndmask_b32_e64 v87, v87, v97, s7
	v_cndmask_b32_e64 v89, v83, v91, s3
	v_cndmask_b32_e64 v88, v88, v70, s6
	v_cndmask_b32_e64 v81, v81, v71, s9
	v_cmp_eq_u32_e64 s10, 5, v78
	v_cndmask_b32_e64 v87, v87, v85, s9
	v_cmp_eq_u32_e64 s11, 4, v79
	v_cndmask_b32_e64 v88, v88, v66, s8
	;; [unrolled: 2-line block ×3, first 2 shown]
	v_cndmask_b32_e64 v81, v81, v95, s10
	v_cmp_eq_u32_e64 s12, 6, v78
	v_cndmask_b32_e64 v88, v88, v71, s11
	v_cndmask_b32_e64 v87, v87, v98, s10
	v_cmp_eq_u32_e64 s13, 5, v79
	v_cndmask_b32_e64 v90, v69, v65, s5
	v_cndmask_b32_e64 v89, v89, v97, s8
	;; [unrolled: 1-line block ×3, first 2 shown]
	v_cmp_eq_u32_e64 s15, 7, v78
	v_cndmask_b32_e64 v88, v88, v95, s13
	v_cndmask_b32_e64 v87, v87, v86, s12
	v_cmp_eq_u32_e64 s16, 6, v79
	v_cmp_eq_u32_e64 s17, 2, v77
	v_cndmask_b32_e64 v89, v89, v85, s11
	v_cndmask_b32_e64 v100, v81, v96, s15
	;; [unrolled: 1-line block ×6, first 2 shown]
	v_cmp_eq_u32_e64 s18, 7, v79
	v_cmp_eq_u32_e64 s19, 3, v77
	;; [unrolled: 1-line block ×4, first 2 shown]
	v_cndmask_b32_e64 v87, v87, v84, s17
	v_cndmask_b32_e64 v102, v88, v96, s18
	;; [unrolled: 1-line block ×4, first 2 shown]
	v_or_b32_e32 v81, 3, v78
	v_cndmask_b32_e64 v93, v87, v97, s19
	v_cmp_eq_u32_e64 s24, 6, v77
	v_cndmask_b32_e64 v103, v88, v86, s16
	v_cndmask_b32_e64 v92, v89, v71, s20
	v_cmp_eq_u32_e64 s21, 1, v81
	ds_load_b128 v[87:90], v82 offset:1024
	v_cmp_eq_u32_e64 s23, 2, v81
	v_cmp_eq_u32_e64 s25, 3, v81
	v_cndmask_b32_e64 v104, v92, v95, s22
	v_cndmask_b32_e64 v65, v69, v65, s21
	;; [unrolled: 1-line block ×4, first 2 shown]
	ds_load_b128 v[91:94], v82 offset:1040
	v_cmp_eq_u32_e64 s26, 4, v81
	v_cndmask_b32_e64 v65, v65, v70, s23
	v_cmp_eq_u32_e64 s28, 5, v81
	v_cndmask_b32_e64 v70, v83, v84, s23
	;; [unrolled: 2-line block ×3, first 2 shown]
	v_cndmask_b32_e64 v65, v65, v66, s25
	v_cndmask_b32_e64 v66, v104, v72, s24
	;; [unrolled: 1-line block ×3, first 2 shown]
	v_cmp_eq_u32_e64 s27, 7, v77
	v_cndmask_b32_e64 v69, v69, v86, s24
	v_cndmask_b32_e64 v65, v65, v71, s26
	s_waitcnt lgkmcnt(1)
	v_lshrrev_b32_e32 v84, 16, v87
	v_cndmask_b32_e64 v70, v70, v85, s26
	v_cndmask_b32_e64 v83, v103, v99, s18
	;; [unrolled: 1-line block ×4, first 2 shown]
	v_lshrrev_b32_e32 v95, 16, v88
	v_cndmask_b32_e64 v70, v70, v98, s28
	s_waitcnt lgkmcnt(0)
	v_lshrrev_b32_e32 v85, 16, v91
	v_cndmask_b32_e64 v97, v87, v84, s3
	v_cndmask_b32_e64 v65, v65, v72, s29
	;; [unrolled: 1-line block ×4, first 2 shown]
	v_cndmask_b32_e32 v71, v87, v84, vcc_lo
	v_cndmask_b32_e32 v98, v91, v85, vcc_lo
	v_cmp_eq_u32_e32 vcc_lo, 7, v81
	v_cndmask_b32_e64 v72, v97, v88, s6
	v_lshrrev_b32_e32 v97, 16, v92
	v_lshrrev_b32_e32 v103, 16, v90
	v_dual_cndmask_b32 v65, v65, v96 :: v_dual_cndmask_b32 v70, v70, v99
	v_cndmask_b32_e64 v71, v71, v88, s4
	v_cndmask_b32_e64 v86, v98, v92, s4
	;; [unrolled: 1-line block ×3, first 2 shown]
	v_lshrrev_b32_e32 v98, 16, v89
	v_lshrrev_b32_e32 v99, 16, v93
	v_cndmask_b32_e64 v71, v71, v95, s7
	v_cndmask_b32_e64 v86, v86, v97, s7
	;; [unrolled: 1-line block ×3, first 2 shown]
	v_perm_b32 v72, v70, v65, 0x5040100
	v_perm_b32 v70, v83, v102, 0x5040100
	v_cndmask_b32_e64 v71, v71, v89, s9
	v_cndmask_b32_e64 v86, v86, v93, s9
	;; [unrolled: 1-line block ×3, first 2 shown]
	v_lshrrev_b32_e32 v83, 16, v94
	s_delay_alu instid0(VALU_DEP_4) | instskip(NEXT) | instid1(VALU_DEP_4)
	v_cndmask_b32_e64 v71, v71, v98, s10
	v_cndmask_b32_e64 v86, v86, v99, s10
	s_delay_alu instid0(VALU_DEP_4) | instskip(NEXT) | instid1(VALU_DEP_3)
	v_cndmask_b32_e64 v65, v65, v90, s16
	v_cndmask_b32_e64 v96, v71, v90, s12
	v_perm_b32 v71, v69, v66, 0x5040100
	s_delay_alu instid0(VALU_DEP_4)
	v_cndmask_b32_e64 v69, v86, v94, s12
	v_cndmask_b32_e64 v86, v87, v84, s5
	v_cndmask_b32_e64 v84, v87, v84, s21
	v_cndmask_b32_e64 v66, v96, v103, s15
	v_cndmask_b32_e64 v87, v91, v85, s21
	v_cndmask_b32_e64 v96, v91, v85, s5
	v_cndmask_b32_e64 v85, v91, v85, s3
	v_cndmask_b32_e64 v86, v86, v88, s17
	v_cndmask_b32_e64 v84, v84, v88, s23
	v_cndmask_b32_e64 v87, v87, v92, s23
	v_cndmask_b32_e64 v88, v96, v92, s17
	v_cndmask_b32_e64 v85, v85, v92, s6
	v_cndmask_b32_e64 v86, v86, v95, s19
	v_cndmask_b32_e64 v84, v84, v95, s25
	v_cndmask_b32_e64 v87, v87, v97, s25
	v_cndmask_b32_e64 v88, v88, v97, s19
	v_cndmask_b32_e64 v85, v85, v97, s8
	v_cndmask_b32_e64 v86, v86, v89, s20
	v_cndmask_b32_e64 v84, v84, v89, s26
	v_cndmask_b32_e64 v87, v87, v93, s26
	v_cndmask_b32_e64 v88, v88, v93, s20
	v_cndmask_b32_e64 v85, v85, v93, s11
	v_cndmask_b32_e64 v86, v86, v98, s22
	v_cndmask_b32_e64 v84, v84, v98, s28
	v_cndmask_b32_e64 v87, v87, v99, s28
	v_cndmask_b32_e64 v88, v88, v99, s22
	v_cndmask_b32_e64 v85, v85, v99, s13
	v_cndmask_b32_e64 v86, v86, v90, s24
	v_cndmask_b32_e64 v84, v84, v90, s29
	v_cndmask_b32_e64 v87, v87, v94, s29
	v_cndmask_b32_e64 v88, v88, v94, s24
	v_cndmask_b32_e64 v85, v85, v94, s16
	v_cndmask_b32_e64 v65, v65, v103, s18
	v_cndmask_b32_e64 v89, v86, v103, s27
	v_cndmask_b32_e32 v84, v84, v103, vcc_lo
	v_cndmask_b32_e32 v86, v87, v83, vcc_lo
	v_cndmask_b32_e64 v87, v88, v83, s27
	v_cndmask_b32_e64 v88, v85, v83, s18
	;; [unrolled: 1-line block ×3, first 2 shown]
	v_perm_b32 v69, v101, v100, 0x5040100
	v_perm_b32 v86, v86, v84, 0x5040100
	;; [unrolled: 1-line block ×5, first 2 shown]
	s_lshl_b32 s8, s35, 2
	s_mov_b32 s3, exec_lo
	ds_store_b128 v76, v[69:72]
	ds_store_b128 v76, v[83:86] offset:1024
	v_cmpx_gt_u32_e32 4, v0
	s_cbranch_execz .LBB1385_78
; %bb.77:
	v_or_b32_e32 v65, s31, v0
	s_load_b128 s[4:7], s[0:1], 0x58
	s_delay_alu instid0(VALU_DEP_1) | instskip(NEXT) | instid1(VALU_DEP_1)
	v_mad_u64_u32 v[69:70], null, s8, s30, v[65:66]
	v_mad_u64_u32 v[65:66], null, v69, s34, s[14:15]
	s_delay_alu instid0(VALU_DEP_1) | instskip(NEXT) | instid1(VALU_DEP_1)
	v_ashrrev_i32_e32 v66, 31, v65
	v_lshlrev_b64 v[65:66], 2, v[65:66]
	s_waitcnt lgkmcnt(0)
	s_delay_alu instid0(VALU_DEP_1) | instskip(NEXT) | instid1(VALU_DEP_2)
	v_add_co_u32 v69, vcc_lo, s6, v65
	v_add_co_ci_u32_e32 v70, vcc_lo, s7, v66, vcc_lo
	v_add_co_u32 v65, vcc_lo, s4, v65
	v_add_co_ci_u32_e32 v66, vcc_lo, s5, v66, vcc_lo
	global_store_b32 v[69:70], v67, off
	global_store_b32 v[65:66], v68, off
.LBB1385_78:
	s_or_b32 exec_lo, exec_lo, s3
	s_waitcnt lgkmcnt(0)
	s_waitcnt_vscnt null, 0x0
	s_barrier
	buffer_gl0_inv
	ds_load_b128 v[83:86], v80
	ds_load_b128 v[87:90], v80 offset:16
	ds_load_b128 v[95:98], v80 offset:2064
	;; [unrolled: 1-line block ×3, first 2 shown]
	v_mov_b32_e32 v65, 0
	ds_load_b128 v[103:106], v80 offset:4112
	ds_load_b128 v[99:102], v80 offset:4096
	;; [unrolled: 1-line block ×4, first 2 shown]
	v_mov_b32_e32 v66, v65
	v_mov_b32_e32 v67, v65
	;; [unrolled: 1-line block ×7, first 2 shown]
	s_waitcnt lgkmcnt(6)
	s_delay_alu instid0(VALU_DEP_1)
	v_wmma_f32_16x16x16_bf16 v[65:72], v[57:64], v[83:90], v[65:72]
	ds_load_b128 v[61:64], v80 offset:8208
	ds_load_b128 v[57:60], v80 offset:8192
	s_waitcnt lgkmcnt(6)
	v_wmma_f32_16x16x16_bf16 v[65:72], v[41:48], v[91:98], v[65:72]
	ds_load_b128 v[45:48], v80 offset:10256
	ds_load_b128 v[41:44], v80 offset:10240
	s_waitcnt lgkmcnt(6)
	v_wmma_f32_16x16x16_bf16 v[65:72], v[33:40], v[99:106], v[65:72]
	ds_load_b128 v[37:40], v80 offset:12304
	ds_load_b128 v[33:36], v80 offset:12288
	s_waitcnt lgkmcnt(6)
	v_wmma_f32_16x16x16_bf16 v[65:72], v[25:32], v[107:114], v[65:72]
	ds_load_b128 v[29:32], v80 offset:14352
	ds_load_b128 v[25:28], v80 offset:14336
	s_waitcnt lgkmcnt(6)
	v_wmma_f32_16x16x16_bf16 v[65:72], v[1:8], v[57:64], v[65:72]
	s_waitcnt lgkmcnt(4)
	s_delay_alu instid0(VALU_DEP_1) | instskip(SKIP_1) | instid1(VALU_DEP_1)
	v_wmma_f32_16x16x16_bf16 v[65:72], v[9:16], v[41:48], v[65:72]
	s_waitcnt lgkmcnt(2)
	v_wmma_f32_16x16x16_bf16 v[65:72], v[17:24], v[33:40], v[65:72]
	s_waitcnt lgkmcnt(0)
	s_delay_alu instid0(VALU_DEP_1) | instskip(NEXT) | instid1(VALU_DEP_1)
	v_wmma_f32_16x16x16_bf16 v[65:72], v[49:56], v[25:32], v[65:72]
	v_and_b32_e32 v1, 0x7f800000, v65
	s_delay_alu instid0(VALU_DEP_1) | instskip(SKIP_1) | instid1(SALU_CYCLE_1)
	v_cmp_ne_u32_e32 vcc_lo, 0x7f800000, v1
                                        ; implicit-def: $vgpr1
	s_and_saveexec_b32 s3, vcc_lo
	s_xor_b32 s3, exec_lo, s3
; %bb.79:
	v_bfe_u32 v1, v65, 16, 1
	s_delay_alu instid0(VALU_DEP_1)
	v_add3_u32 v1, v65, v1, 0x7fff
; %bb.80:
	s_and_not1_saveexec_b32 s3, s3
; %bb.81:
	v_and_b32_e32 v1, 0xffff, v65
	v_or_b32_e32 v2, 0x10000, v65
	s_delay_alu instid0(VALU_DEP_2) | instskip(NEXT) | instid1(VALU_DEP_2)
	v_cmp_eq_u32_e32 vcc_lo, 0, v1
	v_cndmask_b32_e32 v1, v2, v65, vcc_lo
; %bb.82:
	s_or_b32 exec_lo, exec_lo, s3
	v_and_b32_e32 v2, 0x7f800000, v66
	s_delay_alu instid0(VALU_DEP_1) | instskip(SKIP_1) | instid1(SALU_CYCLE_1)
	v_cmp_ne_u32_e32 vcc_lo, 0x7f800000, v2
                                        ; implicit-def: $vgpr2
	s_and_saveexec_b32 s3, vcc_lo
	s_xor_b32 s3, exec_lo, s3
; %bb.83:
	v_bfe_u32 v2, v66, 16, 1
	s_delay_alu instid0(VALU_DEP_1)
	v_add3_u32 v2, v66, v2, 0x7fff
; %bb.84:
	s_and_not1_saveexec_b32 s3, s3
; %bb.85:
	v_and_b32_e32 v2, 0xffff, v66
	v_or_b32_e32 v3, 0x10000, v66
	s_delay_alu instid0(VALU_DEP_2) | instskip(NEXT) | instid1(VALU_DEP_2)
	v_cmp_eq_u32_e32 vcc_lo, 0, v2
	v_cndmask_b32_e32 v2, v3, v66, vcc_lo
; %bb.86:
	s_or_b32 exec_lo, exec_lo, s3
	v_and_b32_e32 v3, 0x7f800000, v67
	s_delay_alu instid0(VALU_DEP_1) | instskip(SKIP_1) | instid1(SALU_CYCLE_1)
	v_cmp_ne_u32_e32 vcc_lo, 0x7f800000, v3
                                        ; implicit-def: $vgpr3
	s_and_saveexec_b32 s3, vcc_lo
	s_xor_b32 s3, exec_lo, s3
; %bb.87:
	v_bfe_u32 v3, v67, 16, 1
	s_delay_alu instid0(VALU_DEP_1)
	v_add3_u32 v3, v67, v3, 0x7fff
; %bb.88:
	s_and_not1_saveexec_b32 s3, s3
; %bb.89:
	v_and_b32_e32 v3, 0xffff, v67
	v_or_b32_e32 v4, 0x10000, v67
	s_delay_alu instid0(VALU_DEP_2) | instskip(NEXT) | instid1(VALU_DEP_2)
	v_cmp_eq_u32_e32 vcc_lo, 0, v3
	v_cndmask_b32_e32 v3, v4, v67, vcc_lo
; %bb.90:
	s_or_b32 exec_lo, exec_lo, s3
	v_and_b32_e32 v4, 0x7f800000, v68
	s_delay_alu instid0(VALU_DEP_1) | instskip(SKIP_1) | instid1(SALU_CYCLE_1)
	v_cmp_ne_u32_e32 vcc_lo, 0x7f800000, v4
                                        ; implicit-def: $vgpr4
	s_and_saveexec_b32 s3, vcc_lo
	s_xor_b32 s3, exec_lo, s3
; %bb.91:
	v_bfe_u32 v4, v68, 16, 1
	s_delay_alu instid0(VALU_DEP_1)
	v_add3_u32 v4, v68, v4, 0x7fff
; %bb.92:
	s_and_not1_saveexec_b32 s3, s3
; %bb.93:
	v_and_b32_e32 v4, 0xffff, v68
	v_or_b32_e32 v5, 0x10000, v68
	s_delay_alu instid0(VALU_DEP_2) | instskip(NEXT) | instid1(VALU_DEP_2)
	v_cmp_eq_u32_e32 vcc_lo, 0, v4
	v_cndmask_b32_e32 v4, v5, v68, vcc_lo
; %bb.94:
	s_or_b32 exec_lo, exec_lo, s3
	v_and_b32_e32 v5, 0x7f800000, v69
	s_delay_alu instid0(VALU_DEP_1) | instskip(SKIP_1) | instid1(SALU_CYCLE_1)
	v_cmp_ne_u32_e32 vcc_lo, 0x7f800000, v5
                                        ; implicit-def: $vgpr5
	s_and_saveexec_b32 s3, vcc_lo
	s_xor_b32 s3, exec_lo, s3
; %bb.95:
	v_bfe_u32 v5, v69, 16, 1
	s_delay_alu instid0(VALU_DEP_1)
	v_add3_u32 v5, v69, v5, 0x7fff
; %bb.96:
	s_and_not1_saveexec_b32 s3, s3
; %bb.97:
	v_and_b32_e32 v5, 0xffff, v69
	v_or_b32_e32 v6, 0x10000, v69
	s_delay_alu instid0(VALU_DEP_2) | instskip(NEXT) | instid1(VALU_DEP_2)
	v_cmp_eq_u32_e32 vcc_lo, 0, v5
	v_cndmask_b32_e32 v5, v6, v69, vcc_lo
; %bb.98:
	s_or_b32 exec_lo, exec_lo, s3
	v_and_b32_e32 v6, 0x7f800000, v70
	s_delay_alu instid0(VALU_DEP_1) | instskip(SKIP_1) | instid1(SALU_CYCLE_1)
	v_cmp_ne_u32_e32 vcc_lo, 0x7f800000, v6
                                        ; implicit-def: $vgpr6
	s_and_saveexec_b32 s3, vcc_lo
	s_xor_b32 s3, exec_lo, s3
; %bb.99:
	v_bfe_u32 v6, v70, 16, 1
	s_delay_alu instid0(VALU_DEP_1)
	v_add3_u32 v6, v70, v6, 0x7fff
; %bb.100:
	s_and_not1_saveexec_b32 s3, s3
; %bb.101:
	v_and_b32_e32 v6, 0xffff, v70
	v_or_b32_e32 v7, 0x10000, v70
	s_delay_alu instid0(VALU_DEP_2) | instskip(NEXT) | instid1(VALU_DEP_2)
	v_cmp_eq_u32_e32 vcc_lo, 0, v6
	v_cndmask_b32_e32 v6, v7, v70, vcc_lo
; %bb.102:
	s_or_b32 exec_lo, exec_lo, s3
	v_and_b32_e32 v7, 0x7f800000, v71
	s_delay_alu instid0(VALU_DEP_1) | instskip(SKIP_1) | instid1(SALU_CYCLE_1)
	v_cmp_ne_u32_e32 vcc_lo, 0x7f800000, v7
                                        ; implicit-def: $vgpr7
	s_and_saveexec_b32 s3, vcc_lo
	s_xor_b32 s3, exec_lo, s3
; %bb.103:
	v_bfe_u32 v7, v71, 16, 1
	s_delay_alu instid0(VALU_DEP_1)
	v_add3_u32 v7, v71, v7, 0x7fff
; %bb.104:
	s_and_not1_saveexec_b32 s3, s3
; %bb.105:
	v_and_b32_e32 v7, 0xffff, v71
	v_or_b32_e32 v8, 0x10000, v71
	s_delay_alu instid0(VALU_DEP_2) | instskip(NEXT) | instid1(VALU_DEP_2)
	v_cmp_eq_u32_e32 vcc_lo, 0, v7
	v_cndmask_b32_e32 v7, v8, v71, vcc_lo
; %bb.106:
	s_or_b32 exec_lo, exec_lo, s3
	v_and_b32_e32 v8, 0x7f800000, v72
	s_delay_alu instid0(VALU_DEP_1) | instskip(SKIP_1) | instid1(SALU_CYCLE_1)
	v_cmp_ne_u32_e32 vcc_lo, 0x7f800000, v8
                                        ; implicit-def: $vgpr8
	s_and_saveexec_b32 s3, vcc_lo
	s_xor_b32 s3, exec_lo, s3
; %bb.107:
	v_bfe_u32 v8, v72, 16, 1
	s_delay_alu instid0(VALU_DEP_1)
	v_add3_u32 v8, v72, v8, 0x7fff
                                        ; implicit-def: $vgpr65_vgpr66_vgpr67_vgpr68_vgpr69_vgpr70_vgpr71_vgpr72
; %bb.108:
	s_and_not1_saveexec_b32 s3, s3
; %bb.109:
	v_and_b32_e32 v8, 0xffff, v72
	v_or_b32_e32 v9, 0x10000, v72
	s_delay_alu instid0(VALU_DEP_2) | instskip(NEXT) | instid1(VALU_DEP_2)
	v_cmp_eq_u32_e32 vcc_lo, 0, v8
	v_cndmask_b32_e32 v8, v9, v72, vcc_lo
; %bb.110:
	s_or_b32 exec_lo, exec_lo, s3
	s_delay_alu instid0(VALU_DEP_1)
	v_perm_b32 v7, v8, v7, 0x7060302
	v_perm_b32 v6, v6, v5, 0x7060302
	;; [unrolled: 1-line block ×4, first 2 shown]
	s_barrier
	buffer_gl0_inv
	v_cmp_eq_u32_e32 vcc_lo, 1, v78
	ds_store_b128 v76, v[4:7]
	s_waitcnt lgkmcnt(0)
	s_barrier
	buffer_gl0_inv
	ds_load_b128 v[1:4], v82
	ds_load_b128 v[5:8], v82 offset:16
	v_cmp_eq_u32_e64 s3, 1, v79
	v_cmp_eq_u32_e64 s4, 2, v78
	;; [unrolled: 1-line block ×5, first 2 shown]
	s_waitcnt lgkmcnt(1)
	v_lshrrev_b32_e32 v9, 16, v1
	s_waitcnt lgkmcnt(0)
	v_lshrrev_b32_e32 v13, 16, v5
	v_lshrrev_b32_e32 v10, 16, v2
	;; [unrolled: 1-line block ×4, first 2 shown]
	v_cndmask_b32_e64 v19, v1, v9, s3
	v_cndmask_b32_e32 v18, v5, v13, vcc_lo
	v_cndmask_b32_e64 v20, v5, v13, s3
	v_cndmask_b32_e32 v17, v1, v9, vcc_lo
	v_cmp_eq_u32_e32 vcc_lo, 2, v79
	v_lshrrev_b32_e32 v15, 16, v7
	v_cmp_eq_u32_e64 s3, 1, v77
	v_lshrrev_b32_e32 v12, 16, v4
	v_lshrrev_b32_e32 v16, 16, v8
	v_cndmask_b32_e32 v20, v20, v6, vcc_lo
	v_cndmask_b32_e64 v17, v17, v2, s4
	v_cndmask_b32_e32 v19, v19, v2, vcc_lo
	v_cndmask_b32_e64 v18, v18, v6, s4
	v_cmp_eq_u32_e32 vcc_lo, 4, v78
	v_cmp_eq_u32_e64 s4, 3, v79
	v_cndmask_b32_e64 v17, v17, v10, s5
	v_cndmask_b32_e64 v21, v1, v9, s3
	;; [unrolled: 1-line block ×5, first 2 shown]
	v_cndmask_b32_e32 v17, v17, v3, vcc_lo
	v_cndmask_b32_e64 v20, v20, v14, s4
	v_cndmask_b32_e32 v18, v18, v7, vcc_lo
	v_cmp_eq_u32_e32 vcc_lo, 4, v79
	v_cmp_eq_u32_e64 s4, 5, v79
	v_cmp_eq_u32_e64 s3, 2, v81
	v_cndmask_b32_e64 v21, v21, v2, s7
	v_cmp_eq_u32_e64 s5, 5, v78
	v_cndmask_b32_e32 v19, v19, v3, vcc_lo
	v_cndmask_b32_e32 v20, v20, v7, vcc_lo
	v_cmp_eq_u32_e32 vcc_lo, 6, v79
	s_delay_alu instid0(VALU_DEP_4) | instskip(NEXT) | instid1(VALU_DEP_4)
	v_cndmask_b32_e64 v17, v17, v11, s5
	v_cndmask_b32_e64 v19, v19, v11, s4
	s_delay_alu instid0(VALU_DEP_4) | instskip(SKIP_1) | instid1(VALU_DEP_3)
	v_cndmask_b32_e64 v20, v20, v15, s4
	v_cmp_eq_u32_e64 s4, 1, v81
	v_cndmask_b32_e32 v19, v19, v4, vcc_lo
	v_cndmask_b32_e64 v18, v18, v15, s5
	s_delay_alu instid0(VALU_DEP_3)
	v_cndmask_b32_e64 v1, v1, v9, s4
	v_cndmask_b32_e64 v5, v5, v13, s4
	v_cmp_eq_u32_e64 s4, 3, v77
	v_cndmask_b32_e64 v13, v22, v6, s7
	v_cmp_eq_u32_e64 s7, 3, v81
	v_cndmask_b32_e64 v1, v1, v2, s3
	v_cndmask_b32_e64 v2, v5, v6, s3
	;; [unrolled: 1-line block ×3, first 2 shown]
	v_cmp_eq_u32_e64 s3, 4, v77
	v_cndmask_b32_e64 v6, v13, v14, s4
	v_cndmask_b32_e64 v1, v1, v10, s7
	v_cmp_eq_u32_e64 s4, 4, v81
	v_cndmask_b32_e64 v2, v2, v14, s7
	v_cndmask_b32_e64 v5, v9, v3, s3
	;; [unrolled: 3-line block ×3, first 2 shown]
	v_cndmask_b32_e64 v2, v2, v7, s4
	v_cmp_eq_u32_e64 s3, 5, v81
	v_cmp_eq_u32_e64 s5, 6, v78
	v_cndmask_b32_e64 v5, v5, v11, s7
	v_cmp_eq_u32_e64 s4, 6, v77
	v_cndmask_b32_e64 v3, v6, v15, s7
	v_cndmask_b32_e64 v1, v1, v11, s3
	v_cmp_eq_u32_e64 s7, 6, v81
	v_cndmask_b32_e64 v2, v2, v15, s3
	v_cndmask_b32_e64 v17, v17, v4, s5
	v_cndmask_b32_e64 v18, v18, v8, s5
	v_cmp_eq_u32_e64 s5, 7, v78
	v_cndmask_b32_e64 v5, v5, v4, s4
	;; [unrolled: 4-line block ×3, first 2 shown]
	v_cmp_eq_u32_e64 s4, 7, v77
	v_cndmask_b32_e32 v4, v20, v8, vcc_lo
	v_cndmask_b32_e64 v17, v17, v12, s5
	v_cndmask_b32_e64 v19, v19, v12, s6
	;; [unrolled: 1-line block ×8, first 2 shown]
	v_cmp_gt_u32_e32 vcc_lo, 32, v0
	v_perm_b32 v4, v2, v1, 0x5040100
	v_perm_b32 v3, v3, v5, 0x5040100
	;; [unrolled: 1-line block ×4, first 2 shown]
	s_and_b32 s2, vcc_lo, s2
	ds_store_b128 v76, v[1:4]
	s_waitcnt lgkmcnt(0)
	s_barrier
	buffer_gl0_inv
	s_and_saveexec_b32 s3, s2
	s_cbranch_execz .LBB1385_2
; %bb.111:
	s_load_b64 s[0:1], s[0:1], 0x68
	v_lshlrev_b32_e32 v0, 10, v0
	v_or_b32_e32 v1, s31, v75
	s_lshl_b32 s4, s34, 6
	v_lshlrev_b32_e32 v2, 4, v74
	s_mul_i32 s2, s4, s30
	v_lshlrev_b32_e32 v3, 6, v75
	v_mul_lo_u32 v8, v1, s4
	v_and_b32_e32 v0, 0x3800, v0
	v_or_b32_e32 v1, 2, v1
	s_mul_i32 s2, s2, s8
	s_delay_alu instid0(SALU_CYCLE_1) | instskip(NEXT) | instid1(VALU_DEP_2)
	s_ashr_i32 s3, s2, 31
	v_or3_b32 v4, v0, v2, v3
	s_lshl_b64 s[2:3], s[2:3], 1
	v_mul_lo_u32 v10, v1, s4
	v_ashrrev_i32_e32 v9, 31, v8
	ds_load_b128 v[0:3], v4
	ds_load_b128 v[4:7], v4 offset:128
	s_waitcnt lgkmcnt(0)
	s_add_u32 s2, s0, s2
	s_addc_u32 s3, s1, s3
	s_lshl_b32 s0, s14, 6
	v_ashrrev_i32_e32 v11, 31, v10
	s_ashr_i32 s1, s0, 31
	v_lshlrev_b64 v[8:9], 1, v[8:9]
	s_lshl_b64 s[0:1], s[0:1], 1
	s_delay_alu instid0(SALU_CYCLE_1) | instskip(SKIP_2) | instid1(VALU_DEP_1)
	s_add_u32 s0, s2, s0
	s_addc_u32 s1, s3, s1
	v_add_co_u32 v12, s0, s0, v73
	v_add_co_ci_u32_e64 v13, null, s1, 0, s0
	v_lshlrev_b64 v[10:11], 1, v[10:11]
	s_delay_alu instid0(VALU_DEP_3) | instskip(NEXT) | instid1(VALU_DEP_3)
	v_add_co_u32 v8, vcc_lo, v12, v8
	v_add_co_ci_u32_e32 v9, vcc_lo, v13, v9, vcc_lo
	s_delay_alu instid0(VALU_DEP_3) | instskip(NEXT) | instid1(VALU_DEP_4)
	v_add_co_u32 v10, vcc_lo, v12, v10
	v_add_co_ci_u32_e32 v11, vcc_lo, v13, v11, vcc_lo
	s_clause 0x1
	global_store_b128 v[8:9], v[0:3], off
	global_store_b128 v[10:11], v[4:7], off
	s_nop 0
	s_sendmsg sendmsg(MSG_DEALLOC_VGPRS)
	s_endpgm
	.section	.rodata,"a",@progbits
	.p2align	6, 0x0
	.amdhsa_kernel _Z39paged_attention_ll4mi_QKV_mfma16_kernelI14__hip_bfloat16hLN4vllm18Fp8KVCacheDataTypeE1EhLi16ELi64ELi256ELb0ELi4EL8MFMAType1EEvPKT_PKT0_S9_ifPKiSB_SB_iPKfiiiPfSE_PS4_PT2_iSD_SD_
		.amdhsa_group_segment_fixed_size 17472
		.amdhsa_private_segment_fixed_size 0
		.amdhsa_kernarg_size 400
		.amdhsa_user_sgpr_count 13
		.amdhsa_user_sgpr_dispatch_ptr 0
		.amdhsa_user_sgpr_queue_ptr 0
		.amdhsa_user_sgpr_kernarg_segment_ptr 1
		.amdhsa_user_sgpr_dispatch_id 0
		.amdhsa_user_sgpr_private_segment_size 0
		.amdhsa_wavefront_size32 1
		.amdhsa_uses_dynamic_stack 0
		.amdhsa_enable_private_segment 0
		.amdhsa_system_sgpr_workgroup_id_x 1
		.amdhsa_system_sgpr_workgroup_id_y 1
		.amdhsa_system_sgpr_workgroup_id_z 1
		.amdhsa_system_sgpr_workgroup_info 0
		.amdhsa_system_vgpr_workitem_id 0
		.amdhsa_next_free_vgpr 124
		.amdhsa_next_free_sgpr 38
		.amdhsa_reserve_vcc 1
		.amdhsa_float_round_mode_32 0
		.amdhsa_float_round_mode_16_64 0
		.amdhsa_float_denorm_mode_32 3
		.amdhsa_float_denorm_mode_16_64 3
		.amdhsa_dx10_clamp 1
		.amdhsa_ieee_mode 1
		.amdhsa_fp16_overflow 0
		.amdhsa_workgroup_processor_mode 1
		.amdhsa_memory_ordered 1
		.amdhsa_forward_progress 0
		.amdhsa_shared_vgpr_count 0
		.amdhsa_exception_fp_ieee_invalid_op 0
		.amdhsa_exception_fp_denorm_src 0
		.amdhsa_exception_fp_ieee_div_zero 0
		.amdhsa_exception_fp_ieee_overflow 0
		.amdhsa_exception_fp_ieee_underflow 0
		.amdhsa_exception_fp_ieee_inexact 0
		.amdhsa_exception_int_div_zero 0
	.end_amdhsa_kernel
	.section	.text._Z39paged_attention_ll4mi_QKV_mfma16_kernelI14__hip_bfloat16hLN4vllm18Fp8KVCacheDataTypeE1EhLi16ELi64ELi256ELb0ELi4EL8MFMAType1EEvPKT_PKT0_S9_ifPKiSB_SB_iPKfiiiPfSE_PS4_PT2_iSD_SD_,"axG",@progbits,_Z39paged_attention_ll4mi_QKV_mfma16_kernelI14__hip_bfloat16hLN4vllm18Fp8KVCacheDataTypeE1EhLi16ELi64ELi256ELb0ELi4EL8MFMAType1EEvPKT_PKT0_S9_ifPKiSB_SB_iPKfiiiPfSE_PS4_PT2_iSD_SD_,comdat
.Lfunc_end1385:
	.size	_Z39paged_attention_ll4mi_QKV_mfma16_kernelI14__hip_bfloat16hLN4vllm18Fp8KVCacheDataTypeE1EhLi16ELi64ELi256ELb0ELi4EL8MFMAType1EEvPKT_PKT0_S9_ifPKiSB_SB_iPKfiiiPfSE_PS4_PT2_iSD_SD_, .Lfunc_end1385-_Z39paged_attention_ll4mi_QKV_mfma16_kernelI14__hip_bfloat16hLN4vllm18Fp8KVCacheDataTypeE1EhLi16ELi64ELi256ELb0ELi4EL8MFMAType1EEvPKT_PKT0_S9_ifPKiSB_SB_iPKfiiiPfSE_PS4_PT2_iSD_SD_
                                        ; -- End function
	.section	.AMDGPU.csdata,"",@progbits
; Kernel info:
; codeLenInByte = 8604
; NumSgprs: 40
; NumVgprs: 124
; ScratchSize: 0
; MemoryBound: 0
; FloatMode: 240
; IeeeMode: 1
; LDSByteSize: 17472 bytes/workgroup (compile time only)
; SGPRBlocks: 4
; VGPRBlocks: 15
; NumSGPRsForWavesPerEU: 40
; NumVGPRsForWavesPerEU: 124
; Occupancy: 10
; WaveLimiterHint : 1
; COMPUTE_PGM_RSRC2:SCRATCH_EN: 0
; COMPUTE_PGM_RSRC2:USER_SGPR: 13
; COMPUTE_PGM_RSRC2:TRAP_HANDLER: 0
; COMPUTE_PGM_RSRC2:TGID_X_EN: 1
; COMPUTE_PGM_RSRC2:TGID_Y_EN: 1
; COMPUTE_PGM_RSRC2:TGID_Z_EN: 1
; COMPUTE_PGM_RSRC2:TIDIG_COMP_CNT: 0
	.section	.text._Z38paged_attention_ll4mi_QKV_mfma4_kernelI14__hip_bfloat16hLN4vllm18Fp8KVCacheDataTypeE1ES0_Li16ELi64ELi256ELb1ELi1EEvPKT_PKT0_S8_ifPKiSA_SA_iPKfiiiPfSD_PS3_PT2_iSC_SC_,"axG",@progbits,_Z38paged_attention_ll4mi_QKV_mfma4_kernelI14__hip_bfloat16hLN4vllm18Fp8KVCacheDataTypeE1ES0_Li16ELi64ELi256ELb1ELi1EEvPKT_PKT0_S8_ifPKiSA_SA_iPKfiiiPfSD_PS3_PT2_iSC_SC_,comdat
	.protected	_Z38paged_attention_ll4mi_QKV_mfma4_kernelI14__hip_bfloat16hLN4vllm18Fp8KVCacheDataTypeE1ES0_Li16ELi64ELi256ELb1ELi1EEvPKT_PKT0_S8_ifPKiSA_SA_iPKfiiiPfSD_PS3_PT2_iSC_SC_ ; -- Begin function _Z38paged_attention_ll4mi_QKV_mfma4_kernelI14__hip_bfloat16hLN4vllm18Fp8KVCacheDataTypeE1ES0_Li16ELi64ELi256ELb1ELi1EEvPKT_PKT0_S8_ifPKiSA_SA_iPKfiiiPfSD_PS3_PT2_iSC_SC_
	.globl	_Z38paged_attention_ll4mi_QKV_mfma4_kernelI14__hip_bfloat16hLN4vllm18Fp8KVCacheDataTypeE1ES0_Li16ELi64ELi256ELb1ELi1EEvPKT_PKT0_S8_ifPKiSA_SA_iPKfiiiPfSD_PS3_PT2_iSC_SC_
	.p2align	8
	.type	_Z38paged_attention_ll4mi_QKV_mfma4_kernelI14__hip_bfloat16hLN4vllm18Fp8KVCacheDataTypeE1ES0_Li16ELi64ELi256ELb1ELi1EEvPKT_PKT0_S8_ifPKiSA_SA_iPKfiiiPfSD_PS3_PT2_iSC_SC_,@function
_Z38paged_attention_ll4mi_QKV_mfma4_kernelI14__hip_bfloat16hLN4vllm18Fp8KVCacheDataTypeE1ES0_Li16ELi64ELi256ELb1ELi1EEvPKT_PKT0_S8_ifPKiSA_SA_iPKfiiiPfSD_PS3_PT2_iSC_SC_: ; @_Z38paged_attention_ll4mi_QKV_mfma4_kernelI14__hip_bfloat16hLN4vllm18Fp8KVCacheDataTypeE1ES0_Li16ELi64ELi256ELb1ELi1EEvPKT_PKT0_S8_ifPKiSA_SA_iPKfiiiPfSD_PS3_PT2_iSC_SC_
; %bb.0:
	s_add_u32 s8, s0, 0x90
	s_addc_u32 s9, s1, 0
	s_getpc_b64 s[0:1]
	s_add_u32 s0, s0, __PRETTY_FUNCTION__._Z38paged_attention_ll4mi_QKV_mfma4_kernelI14__hip_bfloat16hLN4vllm18Fp8KVCacheDataTypeE1ES0_Li16ELi64ELi256ELb1ELi1EEvPKT_PKT0_S8_ifPKiSA_SA_iPKfiiiPfSD_PS3_PT2_iSC_SC_@rel32@lo+4
	s_addc_u32 s1, s1, __PRETTY_FUNCTION__._Z38paged_attention_ll4mi_QKV_mfma4_kernelI14__hip_bfloat16hLN4vllm18Fp8KVCacheDataTypeE1ES0_Li16ELi64ELi256ELb1ELi1EEvPKT_PKT0_S8_ifPKiSA_SA_iPKfiiiPfSD_PS3_PT2_iSC_SC_@rel32@hi+12
	s_delay_alu instid0(SALU_CYCLE_1) | instskip(SKIP_4) | instid1(SALU_CYCLE_1)
	v_dual_mov_b32 v0, s0 :: v_dual_mov_b32 v1, s1
	s_mov_b32 s32, 0
	s_getpc_b64 s[2:3]
	s_add_u32 s2, s2, __assert_fail@rel32@lo+4
	s_addc_u32 s3, s3, __assert_fail@rel32@hi+12
	s_swappc_b64 s[30:31], s[2:3]
	.section	.rodata,"a",@progbits
	.p2align	6, 0x0
	.amdhsa_kernel _Z38paged_attention_ll4mi_QKV_mfma4_kernelI14__hip_bfloat16hLN4vllm18Fp8KVCacheDataTypeE1ES0_Li16ELi64ELi256ELb1ELi1EEvPKT_PKT0_S8_ifPKiSA_SA_iPKfiiiPfSD_PS3_PT2_iSC_SC_
		.amdhsa_group_segment_fixed_size 0
		.amdhsa_private_segment_fixed_size 64
		.amdhsa_kernarg_size 400
		.amdhsa_user_sgpr_count 15
		.amdhsa_user_sgpr_dispatch_ptr 0
		.amdhsa_user_sgpr_queue_ptr 0
		.amdhsa_user_sgpr_kernarg_segment_ptr 1
		.amdhsa_user_sgpr_dispatch_id 0
		.amdhsa_user_sgpr_private_segment_size 0
		.amdhsa_wavefront_size32 1
		.amdhsa_uses_dynamic_stack 0
		.amdhsa_enable_private_segment 1
		.amdhsa_system_sgpr_workgroup_id_x 1
		.amdhsa_system_sgpr_workgroup_id_y 0
		.amdhsa_system_sgpr_workgroup_id_z 0
		.amdhsa_system_sgpr_workgroup_info 0
		.amdhsa_system_vgpr_workitem_id 0
		.amdhsa_next_free_vgpr 41
		.amdhsa_next_free_sgpr 34
		.amdhsa_reserve_vcc 1
		.amdhsa_float_round_mode_32 0
		.amdhsa_float_round_mode_16_64 0
		.amdhsa_float_denorm_mode_32 3
		.amdhsa_float_denorm_mode_16_64 3
		.amdhsa_dx10_clamp 1
		.amdhsa_ieee_mode 1
		.amdhsa_fp16_overflow 0
		.amdhsa_workgroup_processor_mode 1
		.amdhsa_memory_ordered 1
		.amdhsa_forward_progress 0
		.amdhsa_shared_vgpr_count 0
		.amdhsa_exception_fp_ieee_invalid_op 0
		.amdhsa_exception_fp_denorm_src 0
		.amdhsa_exception_fp_ieee_div_zero 0
		.amdhsa_exception_fp_ieee_overflow 0
		.amdhsa_exception_fp_ieee_underflow 0
		.amdhsa_exception_fp_ieee_inexact 0
		.amdhsa_exception_int_div_zero 0
	.end_amdhsa_kernel
	.section	.text._Z38paged_attention_ll4mi_QKV_mfma4_kernelI14__hip_bfloat16hLN4vllm18Fp8KVCacheDataTypeE1ES0_Li16ELi64ELi256ELb1ELi1EEvPKT_PKT0_S8_ifPKiSA_SA_iPKfiiiPfSD_PS3_PT2_iSC_SC_,"axG",@progbits,_Z38paged_attention_ll4mi_QKV_mfma4_kernelI14__hip_bfloat16hLN4vllm18Fp8KVCacheDataTypeE1ES0_Li16ELi64ELi256ELb1ELi1EEvPKT_PKT0_S8_ifPKiSA_SA_iPKfiiiPfSD_PS3_PT2_iSC_SC_,comdat
.Lfunc_end1386:
	.size	_Z38paged_attention_ll4mi_QKV_mfma4_kernelI14__hip_bfloat16hLN4vllm18Fp8KVCacheDataTypeE1ES0_Li16ELi64ELi256ELb1ELi1EEvPKT_PKT0_S8_ifPKiSA_SA_iPKfiiiPfSD_PS3_PT2_iSC_SC_, .Lfunc_end1386-_Z38paged_attention_ll4mi_QKV_mfma4_kernelI14__hip_bfloat16hLN4vllm18Fp8KVCacheDataTypeE1ES0_Li16ELi64ELi256ELb1ELi1EEvPKT_PKT0_S8_ifPKiSA_SA_iPKfiiiPfSD_PS3_PT2_iSC_SC_
                                        ; -- End function
	.section	.AMDGPU.csdata,"",@progbits
; Kernel info:
; codeLenInByte = 72
; NumSgprs: 36
; NumVgprs: 41
; ScratchSize: 64
; MemoryBound: 0
; FloatMode: 240
; IeeeMode: 1
; LDSByteSize: 0 bytes/workgroup (compile time only)
; SGPRBlocks: 4
; VGPRBlocks: 5
; NumSGPRsForWavesPerEU: 36
; NumVGPRsForWavesPerEU: 41
; Occupancy: 16
; WaveLimiterHint : 1
; COMPUTE_PGM_RSRC2:SCRATCH_EN: 1
; COMPUTE_PGM_RSRC2:USER_SGPR: 15
; COMPUTE_PGM_RSRC2:TRAP_HANDLER: 0
; COMPUTE_PGM_RSRC2:TGID_X_EN: 1
; COMPUTE_PGM_RSRC2:TGID_Y_EN: 0
; COMPUTE_PGM_RSRC2:TGID_Z_EN: 0
; COMPUTE_PGM_RSRC2:TIDIG_COMP_CNT: 0
	.section	.text._Z38paged_attention_ll4mi_QKV_mfma4_kernelI14__hip_bfloat16hLN4vllm18Fp8KVCacheDataTypeE1ES0_Li16ELi64ELi256ELb1ELi2EEvPKT_PKT0_S8_ifPKiSA_SA_iPKfiiiPfSD_PS3_PT2_iSC_SC_,"axG",@progbits,_Z38paged_attention_ll4mi_QKV_mfma4_kernelI14__hip_bfloat16hLN4vllm18Fp8KVCacheDataTypeE1ES0_Li16ELi64ELi256ELb1ELi2EEvPKT_PKT0_S8_ifPKiSA_SA_iPKfiiiPfSD_PS3_PT2_iSC_SC_,comdat
	.protected	_Z38paged_attention_ll4mi_QKV_mfma4_kernelI14__hip_bfloat16hLN4vllm18Fp8KVCacheDataTypeE1ES0_Li16ELi64ELi256ELb1ELi2EEvPKT_PKT0_S8_ifPKiSA_SA_iPKfiiiPfSD_PS3_PT2_iSC_SC_ ; -- Begin function _Z38paged_attention_ll4mi_QKV_mfma4_kernelI14__hip_bfloat16hLN4vllm18Fp8KVCacheDataTypeE1ES0_Li16ELi64ELi256ELb1ELi2EEvPKT_PKT0_S8_ifPKiSA_SA_iPKfiiiPfSD_PS3_PT2_iSC_SC_
	.globl	_Z38paged_attention_ll4mi_QKV_mfma4_kernelI14__hip_bfloat16hLN4vllm18Fp8KVCacheDataTypeE1ES0_Li16ELi64ELi256ELb1ELi2EEvPKT_PKT0_S8_ifPKiSA_SA_iPKfiiiPfSD_PS3_PT2_iSC_SC_
	.p2align	8
	.type	_Z38paged_attention_ll4mi_QKV_mfma4_kernelI14__hip_bfloat16hLN4vllm18Fp8KVCacheDataTypeE1ES0_Li16ELi64ELi256ELb1ELi2EEvPKT_PKT0_S8_ifPKiSA_SA_iPKfiiiPfSD_PS3_PT2_iSC_SC_,@function
_Z38paged_attention_ll4mi_QKV_mfma4_kernelI14__hip_bfloat16hLN4vllm18Fp8KVCacheDataTypeE1ES0_Li16ELi64ELi256ELb1ELi2EEvPKT_PKT0_S8_ifPKiSA_SA_iPKfiiiPfSD_PS3_PT2_iSC_SC_: ; @_Z38paged_attention_ll4mi_QKV_mfma4_kernelI14__hip_bfloat16hLN4vllm18Fp8KVCacheDataTypeE1ES0_Li16ELi64ELi256ELb1ELi2EEvPKT_PKT0_S8_ifPKiSA_SA_iPKfiiiPfSD_PS3_PT2_iSC_SC_
; %bb.0:
	s_add_u32 s8, s0, 0x90
	s_addc_u32 s9, s1, 0
	s_getpc_b64 s[0:1]
	s_add_u32 s0, s0, __PRETTY_FUNCTION__._Z38paged_attention_ll4mi_QKV_mfma4_kernelI14__hip_bfloat16hLN4vllm18Fp8KVCacheDataTypeE1ES0_Li16ELi64ELi256ELb1ELi2EEvPKT_PKT0_S8_ifPKiSA_SA_iPKfiiiPfSD_PS3_PT2_iSC_SC_@rel32@lo+4
	s_addc_u32 s1, s1, __PRETTY_FUNCTION__._Z38paged_attention_ll4mi_QKV_mfma4_kernelI14__hip_bfloat16hLN4vllm18Fp8KVCacheDataTypeE1ES0_Li16ELi64ELi256ELb1ELi2EEvPKT_PKT0_S8_ifPKiSA_SA_iPKfiiiPfSD_PS3_PT2_iSC_SC_@rel32@hi+12
	s_delay_alu instid0(SALU_CYCLE_1) | instskip(SKIP_4) | instid1(SALU_CYCLE_1)
	v_dual_mov_b32 v0, s0 :: v_dual_mov_b32 v1, s1
	s_mov_b32 s32, 0
	s_getpc_b64 s[2:3]
	s_add_u32 s2, s2, __assert_fail@rel32@lo+4
	s_addc_u32 s3, s3, __assert_fail@rel32@hi+12
	s_swappc_b64 s[30:31], s[2:3]
	.section	.rodata,"a",@progbits
	.p2align	6, 0x0
	.amdhsa_kernel _Z38paged_attention_ll4mi_QKV_mfma4_kernelI14__hip_bfloat16hLN4vllm18Fp8KVCacheDataTypeE1ES0_Li16ELi64ELi256ELb1ELi2EEvPKT_PKT0_S8_ifPKiSA_SA_iPKfiiiPfSD_PS3_PT2_iSC_SC_
		.amdhsa_group_segment_fixed_size 0
		.amdhsa_private_segment_fixed_size 64
		.amdhsa_kernarg_size 400
		.amdhsa_user_sgpr_count 15
		.amdhsa_user_sgpr_dispatch_ptr 0
		.amdhsa_user_sgpr_queue_ptr 0
		.amdhsa_user_sgpr_kernarg_segment_ptr 1
		.amdhsa_user_sgpr_dispatch_id 0
		.amdhsa_user_sgpr_private_segment_size 0
		.amdhsa_wavefront_size32 1
		.amdhsa_uses_dynamic_stack 0
		.amdhsa_enable_private_segment 1
		.amdhsa_system_sgpr_workgroup_id_x 1
		.amdhsa_system_sgpr_workgroup_id_y 0
		.amdhsa_system_sgpr_workgroup_id_z 0
		.amdhsa_system_sgpr_workgroup_info 0
		.amdhsa_system_vgpr_workitem_id 0
		.amdhsa_next_free_vgpr 41
		.amdhsa_next_free_sgpr 34
		.amdhsa_reserve_vcc 1
		.amdhsa_float_round_mode_32 0
		.amdhsa_float_round_mode_16_64 0
		.amdhsa_float_denorm_mode_32 3
		.amdhsa_float_denorm_mode_16_64 3
		.amdhsa_dx10_clamp 1
		.amdhsa_ieee_mode 1
		.amdhsa_fp16_overflow 0
		.amdhsa_workgroup_processor_mode 1
		.amdhsa_memory_ordered 1
		.amdhsa_forward_progress 0
		.amdhsa_shared_vgpr_count 0
		.amdhsa_exception_fp_ieee_invalid_op 0
		.amdhsa_exception_fp_denorm_src 0
		.amdhsa_exception_fp_ieee_div_zero 0
		.amdhsa_exception_fp_ieee_overflow 0
		.amdhsa_exception_fp_ieee_underflow 0
		.amdhsa_exception_fp_ieee_inexact 0
		.amdhsa_exception_int_div_zero 0
	.end_amdhsa_kernel
	.section	.text._Z38paged_attention_ll4mi_QKV_mfma4_kernelI14__hip_bfloat16hLN4vllm18Fp8KVCacheDataTypeE1ES0_Li16ELi64ELi256ELb1ELi2EEvPKT_PKT0_S8_ifPKiSA_SA_iPKfiiiPfSD_PS3_PT2_iSC_SC_,"axG",@progbits,_Z38paged_attention_ll4mi_QKV_mfma4_kernelI14__hip_bfloat16hLN4vllm18Fp8KVCacheDataTypeE1ES0_Li16ELi64ELi256ELb1ELi2EEvPKT_PKT0_S8_ifPKiSA_SA_iPKfiiiPfSD_PS3_PT2_iSC_SC_,comdat
.Lfunc_end1387:
	.size	_Z38paged_attention_ll4mi_QKV_mfma4_kernelI14__hip_bfloat16hLN4vllm18Fp8KVCacheDataTypeE1ES0_Li16ELi64ELi256ELb1ELi2EEvPKT_PKT0_S8_ifPKiSA_SA_iPKfiiiPfSD_PS3_PT2_iSC_SC_, .Lfunc_end1387-_Z38paged_attention_ll4mi_QKV_mfma4_kernelI14__hip_bfloat16hLN4vllm18Fp8KVCacheDataTypeE1ES0_Li16ELi64ELi256ELb1ELi2EEvPKT_PKT0_S8_ifPKiSA_SA_iPKfiiiPfSD_PS3_PT2_iSC_SC_
                                        ; -- End function
	.section	.AMDGPU.csdata,"",@progbits
; Kernel info:
; codeLenInByte = 72
; NumSgprs: 36
; NumVgprs: 41
; ScratchSize: 64
; MemoryBound: 0
; FloatMode: 240
; IeeeMode: 1
; LDSByteSize: 0 bytes/workgroup (compile time only)
; SGPRBlocks: 4
; VGPRBlocks: 5
; NumSGPRsForWavesPerEU: 36
; NumVGPRsForWavesPerEU: 41
; Occupancy: 16
; WaveLimiterHint : 1
; COMPUTE_PGM_RSRC2:SCRATCH_EN: 1
; COMPUTE_PGM_RSRC2:USER_SGPR: 15
; COMPUTE_PGM_RSRC2:TRAP_HANDLER: 0
; COMPUTE_PGM_RSRC2:TGID_X_EN: 1
; COMPUTE_PGM_RSRC2:TGID_Y_EN: 0
; COMPUTE_PGM_RSRC2:TGID_Z_EN: 0
; COMPUTE_PGM_RSRC2:TIDIG_COMP_CNT: 0
	.section	.text._Z38paged_attention_ll4mi_QKV_mfma4_kernelI14__hip_bfloat16hLN4vllm18Fp8KVCacheDataTypeE1ES0_Li16ELi64ELi256ELb1ELi3EEvPKT_PKT0_S8_ifPKiSA_SA_iPKfiiiPfSD_PS3_PT2_iSC_SC_,"axG",@progbits,_Z38paged_attention_ll4mi_QKV_mfma4_kernelI14__hip_bfloat16hLN4vllm18Fp8KVCacheDataTypeE1ES0_Li16ELi64ELi256ELb1ELi3EEvPKT_PKT0_S8_ifPKiSA_SA_iPKfiiiPfSD_PS3_PT2_iSC_SC_,comdat
	.protected	_Z38paged_attention_ll4mi_QKV_mfma4_kernelI14__hip_bfloat16hLN4vllm18Fp8KVCacheDataTypeE1ES0_Li16ELi64ELi256ELb1ELi3EEvPKT_PKT0_S8_ifPKiSA_SA_iPKfiiiPfSD_PS3_PT2_iSC_SC_ ; -- Begin function _Z38paged_attention_ll4mi_QKV_mfma4_kernelI14__hip_bfloat16hLN4vllm18Fp8KVCacheDataTypeE1ES0_Li16ELi64ELi256ELb1ELi3EEvPKT_PKT0_S8_ifPKiSA_SA_iPKfiiiPfSD_PS3_PT2_iSC_SC_
	.globl	_Z38paged_attention_ll4mi_QKV_mfma4_kernelI14__hip_bfloat16hLN4vllm18Fp8KVCacheDataTypeE1ES0_Li16ELi64ELi256ELb1ELi3EEvPKT_PKT0_S8_ifPKiSA_SA_iPKfiiiPfSD_PS3_PT2_iSC_SC_
	.p2align	8
	.type	_Z38paged_attention_ll4mi_QKV_mfma4_kernelI14__hip_bfloat16hLN4vllm18Fp8KVCacheDataTypeE1ES0_Li16ELi64ELi256ELb1ELi3EEvPKT_PKT0_S8_ifPKiSA_SA_iPKfiiiPfSD_PS3_PT2_iSC_SC_,@function
_Z38paged_attention_ll4mi_QKV_mfma4_kernelI14__hip_bfloat16hLN4vllm18Fp8KVCacheDataTypeE1ES0_Li16ELi64ELi256ELb1ELi3EEvPKT_PKT0_S8_ifPKiSA_SA_iPKfiiiPfSD_PS3_PT2_iSC_SC_: ; @_Z38paged_attention_ll4mi_QKV_mfma4_kernelI14__hip_bfloat16hLN4vllm18Fp8KVCacheDataTypeE1ES0_Li16ELi64ELi256ELb1ELi3EEvPKT_PKT0_S8_ifPKiSA_SA_iPKfiiiPfSD_PS3_PT2_iSC_SC_
; %bb.0:
	s_add_u32 s8, s0, 0x90
	s_addc_u32 s9, s1, 0
	s_getpc_b64 s[0:1]
	s_add_u32 s0, s0, __PRETTY_FUNCTION__._Z38paged_attention_ll4mi_QKV_mfma4_kernelI14__hip_bfloat16hLN4vllm18Fp8KVCacheDataTypeE1ES0_Li16ELi64ELi256ELb1ELi3EEvPKT_PKT0_S8_ifPKiSA_SA_iPKfiiiPfSD_PS3_PT2_iSC_SC_@rel32@lo+4
	s_addc_u32 s1, s1, __PRETTY_FUNCTION__._Z38paged_attention_ll4mi_QKV_mfma4_kernelI14__hip_bfloat16hLN4vllm18Fp8KVCacheDataTypeE1ES0_Li16ELi64ELi256ELb1ELi3EEvPKT_PKT0_S8_ifPKiSA_SA_iPKfiiiPfSD_PS3_PT2_iSC_SC_@rel32@hi+12
	s_delay_alu instid0(SALU_CYCLE_1) | instskip(SKIP_4) | instid1(SALU_CYCLE_1)
	v_dual_mov_b32 v0, s0 :: v_dual_mov_b32 v1, s1
	s_mov_b32 s32, 0
	s_getpc_b64 s[2:3]
	s_add_u32 s2, s2, __assert_fail@rel32@lo+4
	s_addc_u32 s3, s3, __assert_fail@rel32@hi+12
	s_swappc_b64 s[30:31], s[2:3]
	.section	.rodata,"a",@progbits
	.p2align	6, 0x0
	.amdhsa_kernel _Z38paged_attention_ll4mi_QKV_mfma4_kernelI14__hip_bfloat16hLN4vllm18Fp8KVCacheDataTypeE1ES0_Li16ELi64ELi256ELb1ELi3EEvPKT_PKT0_S8_ifPKiSA_SA_iPKfiiiPfSD_PS3_PT2_iSC_SC_
		.amdhsa_group_segment_fixed_size 0
		.amdhsa_private_segment_fixed_size 64
		.amdhsa_kernarg_size 400
		.amdhsa_user_sgpr_count 15
		.amdhsa_user_sgpr_dispatch_ptr 0
		.amdhsa_user_sgpr_queue_ptr 0
		.amdhsa_user_sgpr_kernarg_segment_ptr 1
		.amdhsa_user_sgpr_dispatch_id 0
		.amdhsa_user_sgpr_private_segment_size 0
		.amdhsa_wavefront_size32 1
		.amdhsa_uses_dynamic_stack 0
		.amdhsa_enable_private_segment 1
		.amdhsa_system_sgpr_workgroup_id_x 1
		.amdhsa_system_sgpr_workgroup_id_y 0
		.amdhsa_system_sgpr_workgroup_id_z 0
		.amdhsa_system_sgpr_workgroup_info 0
		.amdhsa_system_vgpr_workitem_id 0
		.amdhsa_next_free_vgpr 41
		.amdhsa_next_free_sgpr 34
		.amdhsa_reserve_vcc 1
		.amdhsa_float_round_mode_32 0
		.amdhsa_float_round_mode_16_64 0
		.amdhsa_float_denorm_mode_32 3
		.amdhsa_float_denorm_mode_16_64 3
		.amdhsa_dx10_clamp 1
		.amdhsa_ieee_mode 1
		.amdhsa_fp16_overflow 0
		.amdhsa_workgroup_processor_mode 1
		.amdhsa_memory_ordered 1
		.amdhsa_forward_progress 0
		.amdhsa_shared_vgpr_count 0
		.amdhsa_exception_fp_ieee_invalid_op 0
		.amdhsa_exception_fp_denorm_src 0
		.amdhsa_exception_fp_ieee_div_zero 0
		.amdhsa_exception_fp_ieee_overflow 0
		.amdhsa_exception_fp_ieee_underflow 0
		.amdhsa_exception_fp_ieee_inexact 0
		.amdhsa_exception_int_div_zero 0
	.end_amdhsa_kernel
	.section	.text._Z38paged_attention_ll4mi_QKV_mfma4_kernelI14__hip_bfloat16hLN4vllm18Fp8KVCacheDataTypeE1ES0_Li16ELi64ELi256ELb1ELi3EEvPKT_PKT0_S8_ifPKiSA_SA_iPKfiiiPfSD_PS3_PT2_iSC_SC_,"axG",@progbits,_Z38paged_attention_ll4mi_QKV_mfma4_kernelI14__hip_bfloat16hLN4vllm18Fp8KVCacheDataTypeE1ES0_Li16ELi64ELi256ELb1ELi3EEvPKT_PKT0_S8_ifPKiSA_SA_iPKfiiiPfSD_PS3_PT2_iSC_SC_,comdat
.Lfunc_end1388:
	.size	_Z38paged_attention_ll4mi_QKV_mfma4_kernelI14__hip_bfloat16hLN4vllm18Fp8KVCacheDataTypeE1ES0_Li16ELi64ELi256ELb1ELi3EEvPKT_PKT0_S8_ifPKiSA_SA_iPKfiiiPfSD_PS3_PT2_iSC_SC_, .Lfunc_end1388-_Z38paged_attention_ll4mi_QKV_mfma4_kernelI14__hip_bfloat16hLN4vllm18Fp8KVCacheDataTypeE1ES0_Li16ELi64ELi256ELb1ELi3EEvPKT_PKT0_S8_ifPKiSA_SA_iPKfiiiPfSD_PS3_PT2_iSC_SC_
                                        ; -- End function
	.section	.AMDGPU.csdata,"",@progbits
; Kernel info:
; codeLenInByte = 72
; NumSgprs: 36
; NumVgprs: 41
; ScratchSize: 64
; MemoryBound: 0
; FloatMode: 240
; IeeeMode: 1
; LDSByteSize: 0 bytes/workgroup (compile time only)
; SGPRBlocks: 4
; VGPRBlocks: 5
; NumSGPRsForWavesPerEU: 36
; NumVGPRsForWavesPerEU: 41
; Occupancy: 16
; WaveLimiterHint : 1
; COMPUTE_PGM_RSRC2:SCRATCH_EN: 1
; COMPUTE_PGM_RSRC2:USER_SGPR: 15
; COMPUTE_PGM_RSRC2:TRAP_HANDLER: 0
; COMPUTE_PGM_RSRC2:TGID_X_EN: 1
; COMPUTE_PGM_RSRC2:TGID_Y_EN: 0
; COMPUTE_PGM_RSRC2:TGID_Z_EN: 0
; COMPUTE_PGM_RSRC2:TIDIG_COMP_CNT: 0
	.section	.text._Z38paged_attention_ll4mi_QKV_mfma4_kernelI14__hip_bfloat16hLN4vllm18Fp8KVCacheDataTypeE1ES0_Li16ELi64ELi256ELb1ELi4EEvPKT_PKT0_S8_ifPKiSA_SA_iPKfiiiPfSD_PS3_PT2_iSC_SC_,"axG",@progbits,_Z38paged_attention_ll4mi_QKV_mfma4_kernelI14__hip_bfloat16hLN4vllm18Fp8KVCacheDataTypeE1ES0_Li16ELi64ELi256ELb1ELi4EEvPKT_PKT0_S8_ifPKiSA_SA_iPKfiiiPfSD_PS3_PT2_iSC_SC_,comdat
	.protected	_Z38paged_attention_ll4mi_QKV_mfma4_kernelI14__hip_bfloat16hLN4vllm18Fp8KVCacheDataTypeE1ES0_Li16ELi64ELi256ELb1ELi4EEvPKT_PKT0_S8_ifPKiSA_SA_iPKfiiiPfSD_PS3_PT2_iSC_SC_ ; -- Begin function _Z38paged_attention_ll4mi_QKV_mfma4_kernelI14__hip_bfloat16hLN4vllm18Fp8KVCacheDataTypeE1ES0_Li16ELi64ELi256ELb1ELi4EEvPKT_PKT0_S8_ifPKiSA_SA_iPKfiiiPfSD_PS3_PT2_iSC_SC_
	.globl	_Z38paged_attention_ll4mi_QKV_mfma4_kernelI14__hip_bfloat16hLN4vllm18Fp8KVCacheDataTypeE1ES0_Li16ELi64ELi256ELb1ELi4EEvPKT_PKT0_S8_ifPKiSA_SA_iPKfiiiPfSD_PS3_PT2_iSC_SC_
	.p2align	8
	.type	_Z38paged_attention_ll4mi_QKV_mfma4_kernelI14__hip_bfloat16hLN4vllm18Fp8KVCacheDataTypeE1ES0_Li16ELi64ELi256ELb1ELi4EEvPKT_PKT0_S8_ifPKiSA_SA_iPKfiiiPfSD_PS3_PT2_iSC_SC_,@function
_Z38paged_attention_ll4mi_QKV_mfma4_kernelI14__hip_bfloat16hLN4vllm18Fp8KVCacheDataTypeE1ES0_Li16ELi64ELi256ELb1ELi4EEvPKT_PKT0_S8_ifPKiSA_SA_iPKfiiiPfSD_PS3_PT2_iSC_SC_: ; @_Z38paged_attention_ll4mi_QKV_mfma4_kernelI14__hip_bfloat16hLN4vllm18Fp8KVCacheDataTypeE1ES0_Li16ELi64ELi256ELb1ELi4EEvPKT_PKT0_S8_ifPKiSA_SA_iPKfiiiPfSD_PS3_PT2_iSC_SC_
; %bb.0:
	s_add_u32 s8, s0, 0x90
	s_addc_u32 s9, s1, 0
	s_getpc_b64 s[0:1]
	s_add_u32 s0, s0, __PRETTY_FUNCTION__._Z38paged_attention_ll4mi_QKV_mfma4_kernelI14__hip_bfloat16hLN4vllm18Fp8KVCacheDataTypeE1ES0_Li16ELi64ELi256ELb1ELi4EEvPKT_PKT0_S8_ifPKiSA_SA_iPKfiiiPfSD_PS3_PT2_iSC_SC_@rel32@lo+4
	s_addc_u32 s1, s1, __PRETTY_FUNCTION__._Z38paged_attention_ll4mi_QKV_mfma4_kernelI14__hip_bfloat16hLN4vllm18Fp8KVCacheDataTypeE1ES0_Li16ELi64ELi256ELb1ELi4EEvPKT_PKT0_S8_ifPKiSA_SA_iPKfiiiPfSD_PS3_PT2_iSC_SC_@rel32@hi+12
	s_delay_alu instid0(SALU_CYCLE_1) | instskip(SKIP_4) | instid1(SALU_CYCLE_1)
	v_dual_mov_b32 v0, s0 :: v_dual_mov_b32 v1, s1
	s_mov_b32 s32, 0
	s_getpc_b64 s[2:3]
	s_add_u32 s2, s2, __assert_fail@rel32@lo+4
	s_addc_u32 s3, s3, __assert_fail@rel32@hi+12
	s_swappc_b64 s[30:31], s[2:3]
	.section	.rodata,"a",@progbits
	.p2align	6, 0x0
	.amdhsa_kernel _Z38paged_attention_ll4mi_QKV_mfma4_kernelI14__hip_bfloat16hLN4vllm18Fp8KVCacheDataTypeE1ES0_Li16ELi64ELi256ELb1ELi4EEvPKT_PKT0_S8_ifPKiSA_SA_iPKfiiiPfSD_PS3_PT2_iSC_SC_
		.amdhsa_group_segment_fixed_size 0
		.amdhsa_private_segment_fixed_size 64
		.amdhsa_kernarg_size 400
		.amdhsa_user_sgpr_count 15
		.amdhsa_user_sgpr_dispatch_ptr 0
		.amdhsa_user_sgpr_queue_ptr 0
		.amdhsa_user_sgpr_kernarg_segment_ptr 1
		.amdhsa_user_sgpr_dispatch_id 0
		.amdhsa_user_sgpr_private_segment_size 0
		.amdhsa_wavefront_size32 1
		.amdhsa_uses_dynamic_stack 0
		.amdhsa_enable_private_segment 1
		.amdhsa_system_sgpr_workgroup_id_x 1
		.amdhsa_system_sgpr_workgroup_id_y 0
		.amdhsa_system_sgpr_workgroup_id_z 0
		.amdhsa_system_sgpr_workgroup_info 0
		.amdhsa_system_vgpr_workitem_id 0
		.amdhsa_next_free_vgpr 41
		.amdhsa_next_free_sgpr 34
		.amdhsa_reserve_vcc 1
		.amdhsa_float_round_mode_32 0
		.amdhsa_float_round_mode_16_64 0
		.amdhsa_float_denorm_mode_32 3
		.amdhsa_float_denorm_mode_16_64 3
		.amdhsa_dx10_clamp 1
		.amdhsa_ieee_mode 1
		.amdhsa_fp16_overflow 0
		.amdhsa_workgroup_processor_mode 1
		.amdhsa_memory_ordered 1
		.amdhsa_forward_progress 0
		.amdhsa_shared_vgpr_count 0
		.amdhsa_exception_fp_ieee_invalid_op 0
		.amdhsa_exception_fp_denorm_src 0
		.amdhsa_exception_fp_ieee_div_zero 0
		.amdhsa_exception_fp_ieee_overflow 0
		.amdhsa_exception_fp_ieee_underflow 0
		.amdhsa_exception_fp_ieee_inexact 0
		.amdhsa_exception_int_div_zero 0
	.end_amdhsa_kernel
	.section	.text._Z38paged_attention_ll4mi_QKV_mfma4_kernelI14__hip_bfloat16hLN4vllm18Fp8KVCacheDataTypeE1ES0_Li16ELi64ELi256ELb1ELi4EEvPKT_PKT0_S8_ifPKiSA_SA_iPKfiiiPfSD_PS3_PT2_iSC_SC_,"axG",@progbits,_Z38paged_attention_ll4mi_QKV_mfma4_kernelI14__hip_bfloat16hLN4vllm18Fp8KVCacheDataTypeE1ES0_Li16ELi64ELi256ELb1ELi4EEvPKT_PKT0_S8_ifPKiSA_SA_iPKfiiiPfSD_PS3_PT2_iSC_SC_,comdat
.Lfunc_end1389:
	.size	_Z38paged_attention_ll4mi_QKV_mfma4_kernelI14__hip_bfloat16hLN4vllm18Fp8KVCacheDataTypeE1ES0_Li16ELi64ELi256ELb1ELi4EEvPKT_PKT0_S8_ifPKiSA_SA_iPKfiiiPfSD_PS3_PT2_iSC_SC_, .Lfunc_end1389-_Z38paged_attention_ll4mi_QKV_mfma4_kernelI14__hip_bfloat16hLN4vllm18Fp8KVCacheDataTypeE1ES0_Li16ELi64ELi256ELb1ELi4EEvPKT_PKT0_S8_ifPKiSA_SA_iPKfiiiPfSD_PS3_PT2_iSC_SC_
                                        ; -- End function
	.section	.AMDGPU.csdata,"",@progbits
; Kernel info:
; codeLenInByte = 72
; NumSgprs: 36
; NumVgprs: 41
; ScratchSize: 64
; MemoryBound: 0
; FloatMode: 240
; IeeeMode: 1
; LDSByteSize: 0 bytes/workgroup (compile time only)
; SGPRBlocks: 4
; VGPRBlocks: 5
; NumSGPRsForWavesPerEU: 36
; NumVGPRsForWavesPerEU: 41
; Occupancy: 16
; WaveLimiterHint : 1
; COMPUTE_PGM_RSRC2:SCRATCH_EN: 1
; COMPUTE_PGM_RSRC2:USER_SGPR: 15
; COMPUTE_PGM_RSRC2:TRAP_HANDLER: 0
; COMPUTE_PGM_RSRC2:TGID_X_EN: 1
; COMPUTE_PGM_RSRC2:TGID_Y_EN: 0
; COMPUTE_PGM_RSRC2:TGID_Z_EN: 0
; COMPUTE_PGM_RSRC2:TIDIG_COMP_CNT: 0
	.section	.text._Z39paged_attention_ll4mi_QKV_mfma16_kernelI14__hip_bfloat16hLN4vllm18Fp8KVCacheDataTypeE1ES0_Li16ELi64ELi256ELb1ELi5EL8MFMAType1EEvPKT_PKT0_S9_ifPKiSB_SB_iPKfiiiPfSE_PS4_PT2_iSD_SD_,"axG",@progbits,_Z39paged_attention_ll4mi_QKV_mfma16_kernelI14__hip_bfloat16hLN4vllm18Fp8KVCacheDataTypeE1ES0_Li16ELi64ELi256ELb1ELi5EL8MFMAType1EEvPKT_PKT0_S9_ifPKiSB_SB_iPKfiiiPfSE_PS4_PT2_iSD_SD_,comdat
	.protected	_Z39paged_attention_ll4mi_QKV_mfma16_kernelI14__hip_bfloat16hLN4vllm18Fp8KVCacheDataTypeE1ES0_Li16ELi64ELi256ELb1ELi5EL8MFMAType1EEvPKT_PKT0_S9_ifPKiSB_SB_iPKfiiiPfSE_PS4_PT2_iSD_SD_ ; -- Begin function _Z39paged_attention_ll4mi_QKV_mfma16_kernelI14__hip_bfloat16hLN4vllm18Fp8KVCacheDataTypeE1ES0_Li16ELi64ELi256ELb1ELi5EL8MFMAType1EEvPKT_PKT0_S9_ifPKiSB_SB_iPKfiiiPfSE_PS4_PT2_iSD_SD_
	.globl	_Z39paged_attention_ll4mi_QKV_mfma16_kernelI14__hip_bfloat16hLN4vllm18Fp8KVCacheDataTypeE1ES0_Li16ELi64ELi256ELb1ELi5EL8MFMAType1EEvPKT_PKT0_S9_ifPKiSB_SB_iPKfiiiPfSE_PS4_PT2_iSD_SD_
	.p2align	8
	.type	_Z39paged_attention_ll4mi_QKV_mfma16_kernelI14__hip_bfloat16hLN4vllm18Fp8KVCacheDataTypeE1ES0_Li16ELi64ELi256ELb1ELi5EL8MFMAType1EEvPKT_PKT0_S9_ifPKiSB_SB_iPKfiiiPfSE_PS4_PT2_iSD_SD_,@function
_Z39paged_attention_ll4mi_QKV_mfma16_kernelI14__hip_bfloat16hLN4vllm18Fp8KVCacheDataTypeE1ES0_Li16ELi64ELi256ELb1ELi5EL8MFMAType1EEvPKT_PKT0_S9_ifPKiSB_SB_iPKfiiiPfSE_PS4_PT2_iSD_SD_: ; @_Z39paged_attention_ll4mi_QKV_mfma16_kernelI14__hip_bfloat16hLN4vllm18Fp8KVCacheDataTypeE1ES0_Li16ELi64ELi256ELb1ELi5EL8MFMAType1EEvPKT_PKT0_S9_ifPKiSB_SB_iPKfiiiPfSE_PS4_PT2_iSD_SD_
; %bb.0:
	s_load_b64 s[2:3], s[0:1], 0x30
	s_mov_b32 s34, s13
	s_waitcnt lgkmcnt(0)
	s_cmp_lg_u64 s[2:3], 0
	s_cselect_b32 s8, -1, 0
	s_ashr_i32 s35, s13, 31
	s_cmp_eq_u64 s[2:3], 0
	s_cbranch_scc1 .LBB1390_3
; %bb.1:
	s_lshl_b64 s[4:5], s[34:35], 2
	s_delay_alu instid0(SALU_CYCLE_1) | instskip(SKIP_4) | instid1(SALU_CYCLE_1)
	s_add_u32 s4, s2, s4
	s_addc_u32 s5, s3, s5
	s_load_b64 s[4:5], s[4:5], 0x0
	s_waitcnt lgkmcnt(0)
	s_sub_i32 s4, s5, s4
	s_cmp_eq_u32 s4, 1
	s_cselect_b32 s4, -1, 0
	s_delay_alu instid0(SALU_CYCLE_1)
	s_and_not1_b32 vcc_lo, exec_lo, s4
	s_cbranch_vccz .LBB1390_4
.LBB1390_2:
	s_nop 0
	s_sendmsg sendmsg(MSG_DEALLOC_VGPRS)
	s_endpgm
.LBB1390_3:
.LBB1390_4:
	s_load_b64 s[4:5], s[0:1], 0x28
	s_lshl_b64 s[6:7], s[34:35], 2
	s_waitcnt lgkmcnt(0)
	s_add_u32 s4, s4, s6
	s_addc_u32 s5, s5, s7
	s_lshl_b32 s12, s14, 8
	s_load_b32 s24, s[4:5], 0x0
	s_waitcnt lgkmcnt(0)
	s_cmp_ge_i32 s12, s24
	s_cbranch_scc1 .LBB1390_2
; %bb.5:
	s_clause 0x1
	s_load_b128 s[20:23], s[0:1], 0x8
	s_load_b64 s[4:5], s[0:1], 0x20
	s_and_not1_b32 vcc_lo, exec_lo, s8
	s_cbranch_vccnz .LBB1390_7
; %bb.6:
	s_add_u32 s2, s2, s6
	s_addc_u32 s3, s3, s7
	s_load_b32 s3, s[2:3], 0x0
	s_branch .LBB1390_8
.LBB1390_7:
	s_mov_b32 s3, s34
.LBB1390_8:
	s_load_b128 s[16:19], s[0:1], 0x48
	v_lshrrev_b32_e32 v66, 5, v0
	v_bfe_u32 v74, v0, 4, 1
	v_and_b32_e32 v65, 15, v0
	v_and_b32_e32 v67, 31, v0
	;; [unrolled: 1-line block ×3, first 2 shown]
	s_mul_i32 s31, s15, 5
	v_lshl_or_b32 v1, v66, 1, v74
	v_lshlrev_b32_e32 v2, 3, v65
	v_cmp_gt_u32_e64 s2, 8, v65
	s_delay_alu instid0(VALU_DEP_3) | instskip(NEXT) | instid1(VALU_DEP_3)
	v_cmp_gt_u32_e32 vcc_lo, 5, v1
	v_lshlrev_b32_e32 v73, 1, v2
	s_delay_alu instid0(VALU_DEP_3) | instskip(NEXT) | instid1(SALU_CYCLE_1)
	s_and_b32 s7, s2, vcc_lo
	s_and_saveexec_b32 s6, s7
	s_cbranch_execz .LBB1390_10
; %bb.9:
	s_load_b64 s[8:9], s[0:1], 0x0
	v_add_lshl_u32 v2, v1, s31, 6
	s_waitcnt lgkmcnt(0)
	s_mul_hi_i32 s11, s3, s16
	s_mul_i32 s10, s3, s16
	v_lshlrev_b32_e32 v6, 10, v65
	s_lshl_b64 s[10:11], s[10:11], 1
	v_ashrrev_i32_e32 v3, 31, v2
	v_lshlrev_b32_e32 v1, 6, v1
	v_lshlrev_b32_e32 v7, 10, v75
	v_and_b32_e32 v6, 0x3800, v6
	s_delay_alu instid0(VALU_DEP_4) | instskip(NEXT) | instid1(VALU_DEP_2)
	v_lshlrev_b64 v[2:3], 1, v[2:3]
	v_or3_b32 v1, v6, v7, v1
	s_add_u32 s3, s8, s10
	s_addc_u32 s7, s9, s11
	s_delay_alu instid0(VALU_DEP_2) | instskip(NEXT) | instid1(VALU_DEP_3)
	v_add_co_u32 v2, vcc_lo, s3, v2
	v_add_co_ci_u32_e32 v3, vcc_lo, s7, v3, vcc_lo
	s_delay_alu instid0(VALU_DEP_2) | instskip(NEXT) | instid1(VALU_DEP_2)
	v_add_co_u32 v2, vcc_lo, v2, v73
	v_add_co_ci_u32_e32 v3, vcc_lo, 0, v3, vcc_lo
	global_load_b128 v[2:5], v[2:3], off
	s_waitcnt vmcnt(0)
	ds_store_b128 v1, v[2:5]
.LBB1390_10:
	s_or_b32 exec_lo, exec_lo, s6
	v_and_b32_e32 v1, 0xef, v0
	s_waitcnt lgkmcnt(0)
	s_add_i32 s3, s24, 15
	s_clause 0x1
	s_load_b32 s6, s[0:1], 0x38
	s_load_b32 s19, s[0:1], 0x1c
	s_ashr_i32 s7, s3, 31
	v_add_nc_u32_e32 v1, s12, v1
	s_lshr_b32 s7, s7, 28
	s_waitcnt lgkmcnt(0)
	s_add_i32 s3, s3, s7
	s_barrier
	v_ashrrev_i32_e32 v2, 31, v1
	v_or_b32_e32 v3, 16, v1
	s_ashr_i32 s3, s3, 4
	v_cmp_gt_i32_e32 vcc_lo, s24, v1
	s_add_i32 s3, s3, -1
	v_lshrrev_b32_e32 v2, 28, v2
	buffer_gl0_inv
	s_mul_i32 s27, s15, s18
	v_add_nc_u32_e32 v4, v1, v2
	s_mul_i32 s6, s34, s6
	s_delay_alu instid0(SALU_CYCLE_1) | instskip(NEXT) | instid1(VALU_DEP_1)
	s_ashr_i32 s7, s6, 31
	v_ashrrev_i32_e32 v4, 4, v4
	v_add_nc_u32_e32 v2, v3, v2
	s_lshl_b64 s[6:7], s[6:7], 2
	s_delay_alu instid0(SALU_CYCLE_1) | instskip(NEXT) | instid1(VALU_DEP_2)
	s_add_u32 s26, s4, s6
	v_cndmask_b32_e32 v1, s3, v4, vcc_lo
	s_delay_alu instid0(VALU_DEP_2)
	v_ashrrev_i32_e32 v2, 4, v2
	v_cmp_gt_i32_e32 vcc_lo, s24, v3
	s_addc_u32 s25, s5, s7
	s_ashr_i32 s28, s27, 31
	s_add_u32 s13, s20, s27
	s_addc_u32 s15, s21, s28
	v_cndmask_b32_e32 v3, s3, v2, vcc_lo
	v_ashrrev_i32_e32 v2, 31, v1
	s_lshl_b32 s4, s14, 4
	s_delay_alu instid0(SALU_CYCLE_1) | instskip(NEXT) | instid1(VALU_DEP_2)
	s_ashr_i32 s5, s4, 31
	v_ashrrev_i32_e32 v4, 31, v3
	s_delay_alu instid0(VALU_DEP_2) | instskip(SKIP_1) | instid1(SALU_CYCLE_1)
	v_lshlrev_b64 v[1:2], 2, v[1:2]
	s_lshl_b64 s[4:5], s[4:5], 2
	s_add_u32 s4, s26, s4
	s_delay_alu instid0(VALU_DEP_2) | instskip(SKIP_1) | instid1(VALU_DEP_2)
	v_lshlrev_b64 v[3:4], 2, v[3:4]
	s_addc_u32 s5, s25, s5
	v_add_co_u32 v1, vcc_lo, s26, v1
	v_add_co_ci_u32_e32 v2, vcc_lo, s25, v2, vcc_lo
	s_delay_alu instid0(VALU_DEP_3) | instskip(NEXT) | instid1(VALU_DEP_4)
	v_add_co_u32 v3, vcc_lo, s26, v3
	v_add_co_ci_u32_e32 v4, vcc_lo, s25, v4, vcc_lo
	s_clause 0x1
	global_load_b32 v5, v[1:2], off
	global_load_b32 v7, v[3:4], off
	s_or_b32 s6, s12, 32
	v_lshlrev_b32_e32 v1, 4, v0
	s_ashr_i32 s7, s6, 4
	s_cmp_lt_i32 s6, s24
	s_cselect_b32 s6, s7, s3
	s_delay_alu instid0(VALU_DEP_1) | instskip(SKIP_1) | instid1(SALU_CYCLE_1)
	v_and_b32_e32 v1, 0xf0, v1
	s_ashr_i32 s7, s6, 31
	s_lshl_b64 s[6:7], s[6:7], 2
	s_delay_alu instid0(SALU_CYCLE_1)
	s_add_u32 s6, s26, s6
	s_addc_u32 s7, s25, s7
	s_or_b32 s8, s12, 64
	v_add_co_u32 v1, s13, s13, v1
	s_ashr_i32 s9, s8, 4
	s_cmp_lt_i32 s8, s24
	v_add_co_ci_u32_e64 v2, null, s15, 0, s13
	s_cselect_b32 s8, s9, s3
	s_delay_alu instid0(SALU_CYCLE_1) | instskip(NEXT) | instid1(SALU_CYCLE_1)
	s_ashr_i32 s9, s8, 31
	s_lshl_b64 s[8:9], s[8:9], 2
	s_delay_alu instid0(SALU_CYCLE_1) | instskip(SKIP_2) | instid1(SALU_CYCLE_1)
	s_add_u32 s8, s26, s8
	s_addc_u32 s9, s25, s9
	s_or_b32 s10, s12, 0x60
	s_ashr_i32 s11, s10, 4
	s_cmp_lt_i32 s10, s24
	s_cselect_b32 s10, s11, s3
	s_delay_alu instid0(SALU_CYCLE_1) | instskip(NEXT) | instid1(SALU_CYCLE_1)
	s_ashr_i32 s11, s10, 31
	s_lshl_b64 s[10:11], s[10:11], 2
	s_delay_alu instid0(SALU_CYCLE_1) | instskip(SKIP_2) | instid1(SALU_CYCLE_1)
	s_add_u32 s10, s26, s10
	s_addc_u32 s11, s25, s11
	s_or_b32 s16, s12, 0x80
	s_ashr_i32 s18, s16, 4
	s_cmp_lt_i32 s16, s24
	;; [unrolled: 10-line block ×3, first 2 shown]
	s_cselect_b32 s20, s18, s3
	s_delay_alu instid0(SALU_CYCLE_1) | instskip(NEXT) | instid1(SALU_CYCLE_1)
	s_ashr_i32 s21, s20, 31
	s_lshl_b64 s[20:21], s[20:21], 2
	s_delay_alu instid0(SALU_CYCLE_1)
	s_add_u32 s38, s26, s20
	s_addc_u32 s39, s25, s21
	s_clause 0x5
	s_load_b32 s21, s[4:5], 0x0
	s_load_b32 s13, s[6:7], 0x0
	;; [unrolled: 1-line block ×6, first 2 shown]
	s_or_b32 s9, s12, 0xc0
	s_mov_b32 s4, 0
	s_ashr_i32 s10, s9, 4
	s_cmp_lt_i32 s9, s24
	s_mov_b32 s11, s4
	s_cselect_b32 s36, s10, s3
	s_mov_b32 s5, s4
	s_ashr_i32 s37, s36, 31
	s_mov_b32 s6, s4
	s_lshl_b64 s[36:37], s[36:37], 2
	s_mov_b32 s7, s4
	s_add_u32 s36, s26, s36
	s_addc_u32 s37, s25, s37
	s_or_b32 s29, s12, 0xe0
	s_mov_b32 s8, s4
	s_ashr_i32 s30, s29, 4
	s_mov_b32 s9, s4
	s_mov_b32 s10, s4
	s_cmp_lt_i32 s29, s24
	v_dual_mov_b32 v107, s11 :: v_dual_mov_b32 v100, s4
	v_mov_b32_e32 v106, s10
	v_dual_mov_b32 v104, s8 :: v_dual_mov_b32 v103, s7
	v_dual_mov_b32 v102, s6 :: v_dual_mov_b32 v101, s5
	s_waitcnt vmcnt(1)
	v_mad_i64_i32 v[3:4], null, v5, s17, v[1:2]
	s_waitcnt vmcnt(0)
	v_mad_i64_i32 v[5:6], null, v7, s17, v[1:2]
	v_mul_lo_u16 v1, v65, 52
	v_lshlrev_b32_e32 v2, 4, v65
	s_clause 0x7
	global_load_b128 v[49:52], v[3:4], off
	global_load_b128 v[53:56], v[3:4], off offset:256
	global_load_b128 v[76:79], v[5:6], off
	global_load_b128 v[80:83], v[5:6], off offset:256
	global_load_b128 v[84:87], v[3:4], off offset:512
	;; [unrolled: 1-line block ×5, first 2 shown]
	v_lshrrev_b16 v1, 8, v1
	v_lshl_or_b32 v2, v66, 8, v2
	s_delay_alu instid0(VALU_DEP_2) | instskip(NEXT) | instid1(VALU_DEP_1)
	v_mul_lo_u16 v1, v1, 5
	v_sub_nc_u16 v1, v65, v1
	s_delay_alu instid0(VALU_DEP_1)
	v_and_b32_e32 v1, 0xff, v1
	v_mov_b32_e32 v105, s9
	s_cselect_b32 s4, s30, s3
	s_load_b32 s3, s[36:37], 0x0
	s_ashr_i32 s5, s4, 31
	v_lshlrev_b32_e32 v70, 6, v1
	s_lshl_b64 s[4:5], s[4:5], 2
	ds_load_b128 v[108:111], v70
	ds_load_b128 v[112:115], v70 offset:1024
	s_add_u32 s4, s26, s4
	s_addc_u32 s5, s25, s5
	s_add_u32 s6, s22, s27
	s_load_b32 s4, s[4:5], 0x0
	s_addc_u32 s7, s23, s28
	v_add_co_u32 v9, s6, s6, v2
	s_delay_alu instid0(VALU_DEP_1) | instskip(SKIP_1) | instid1(VALU_DEP_1)
	v_add_co_ci_u32_e64 v10, null, s7, 0, s6
	s_waitcnt lgkmcnt(0)
	v_mad_i64_i32 v[1:2], null, s21, s17, v[9:10]
	v_mad_i64_i32 v[3:4], null, s13, s17, v[9:10]
	;; [unrolled: 1-line block ×7, first 2 shown]
	s_clause 0x9
	global_load_b128 v[57:60], v[1:2], off
	global_load_b128 v[61:64], v[1:2], off offset:16
	global_load_b128 v[41:44], v[3:4], off
	global_load_b128 v[45:48], v[3:4], off offset:16
	;; [unrolled: 2-line block ×5, first 2 shown]
	v_mad_i64_i32 v[68:69], null, s4, s17, v[9:10]
	s_clause 0x3
	global_load_b128 v[9:12], v[13:14], off
	global_load_b128 v[13:16], v[13:14], off offset:16
	global_load_b128 v[17:20], v[21:22], off
	global_load_b128 v[21:24], v[21:22], off offset:16
	s_waitcnt vmcnt(20)
	v_wmma_f32_16x16x16_bf16 v[116:123], v[49:56], v[108:115], v[100:107]
	s_clause 0x1
	global_load_b128 v[49:52], v[68:69], off
	global_load_b128 v[53:56], v[68:69], off offset:16
	v_and_b32_e32 v68, 0xe0, v0
	v_mbcnt_lo_u32_b32 v69, -1, 0
	s_delay_alu instid0(VALU_DEP_2)
	v_add_nc_u32_e32 v68, s12, v68
	s_waitcnt vmcnt(20)
	v_wmma_f32_16x16x16_bf16 v[100:107], v[76:83], v[108:115], v[100:107]
	ds_load_b128 v[76:79], v70 offset:2048
	ds_load_b128 v[80:83], v70 offset:3072
	v_xor_b32_e32 v70, 16, v69
	s_waitcnt vmcnt(0) lgkmcnt(0)
	v_or_b32_e32 v68, v68, v74
	s_barrier
	buffer_gl0_inv
	v_cmp_gt_i32_e32 vcc_lo, 32, v70
	v_or_b32_e32 v71, 4, v68
	v_or_b32_e32 v72, 6, v68
	v_cmp_gt_i32_e64 s3, s24, v68
	v_or_b32_e32 v108, 8, v68
	v_or_b32_e32 v109, 10, v68
	v_cmp_gt_i32_e64 s4, s24, v71
	v_cmp_gt_i32_e64 s5, s24, v72
	s_delay_alu instid0(VALU_DEP_4) | instskip(NEXT) | instid1(VALU_DEP_4)
	v_cmp_gt_i32_e64 s6, s24, v108
	v_cmp_gt_i32_e64 s7, s24, v109
	v_wmma_f32_16x16x16_bf16 v[116:123], v[84:91], v[76:83], v[116:123]
	v_cndmask_b32_e32 v69, v69, v70, vcc_lo
	v_or_b32_e32 v70, 2, v68
	v_wmma_f32_16x16x16_bf16 v[100:107], v[92:99], v[76:83], v[100:107]
	v_or_b32_e32 v89, 22, v68
	v_dual_mul_f32 v80, s19, v121 :: v_dual_mul_f32 v81, s19, v120
	v_dual_mul_f32 v92, s19, v117 :: v_dual_mul_f32 v93, s19, v116
	s_delay_alu instid0(VALU_DEP_4)
	v_mul_f32_e32 v96, s19, v105
	v_cmp_gt_i32_e32 vcc_lo, s24, v70
	v_dual_mul_f32 v79, s19, v122 :: v_dual_mul_f32 v82, s19, v119
	v_dual_mul_f32 v83, s19, v118 :: v_dual_mul_f32 v94, s19, v107
	v_cndmask_b32_e64 v93, 0xff7fffff, v93, s3
	v_cndmask_b32_e32 v92, 0xff7fffff, v92, vcc_lo
	v_or_b32_e32 v84, 12, v68
	v_or_b32_e32 v85, 14, v68
	v_cndmask_b32_e64 v71, 0xff7fffff, v83, s4
	v_cndmask_b32_e64 v72, 0xff7fffff, v82, s5
	v_cmp_gt_i32_e64 s13, s24, v89
	v_lshlrev_b32_e32 v89, 2, v69
	v_max3_f32 v82, v93, 0xff7fffff, v92
	v_or_b32_e32 v86, 16, v68
	v_or_b32_e32 v87, 18, v68
	v_mul_f32_e32 v78, s19, v123
	v_cndmask_b32_e64 v81, 0xff7fffff, v81, s6
	v_cndmask_b32_e64 v80, 0xff7fffff, v80, s7
	v_max3_f32 v71, v82, v71, v72
	v_cmp_gt_i32_e64 s8, s24, v84
	v_cmp_gt_i32_e64 s9, s24, v85
	v_or_b32_e32 v88, 20, v68
	v_or_b32_e32 v90, 24, v68
	v_or_b32_e32 v91, 26, v68
	v_or_b32_e32 v76, 28, v68
	v_or_b32_e32 v77, 30, v68
	v_dual_mul_f32 v97, s19, v104 :: v_dual_mul_f32 v70, s19, v101
	v_dual_mul_f32 v99, s19, v102 :: v_dual_mul_f32 v68, s19, v100
	v_cndmask_b32_e64 v72, 0xff7fffff, v79, s8
	v_cndmask_b32_e64 v78, 0xff7fffff, v78, s9
	v_max3_f32 v71, v71, v81, v80
	v_cmp_gt_i32_e64 s10, s24, v86
	v_cmp_gt_i32_e64 s11, s24, v87
	v_dual_mul_f32 v95, s19, v106 :: v_dual_mul_f32 v98, s19, v103
	s_delay_alu instid0(VALU_DEP_4) | instskip(NEXT) | instid1(VALU_DEP_4)
	v_max3_f32 v71, v71, v72, v78
	v_cndmask_b32_e64 v68, 0xff7fffff, v68, s10
	s_delay_alu instid0(VALU_DEP_4)
	v_cndmask_b32_e64 v70, 0xff7fffff, v70, s11
	v_cmp_gt_i32_e64 s12, s24, v88
	v_cndmask_b32_e64 v78, 0xff7fffff, v98, s13
	v_cmp_gt_i32_e64 s15, s24, v90
	v_cmp_gt_i32_e64 s16, s24, v91
	v_max3_f32 v68, v71, v68, v70
	v_cndmask_b32_e64 v72, 0xff7fffff, v99, s12
	v_cmp_gt_i32_e64 s17, s24, v76
	v_cndmask_b32_e64 v70, 0xff7fffff, v97, s15
	v_cndmask_b32_e64 v71, 0xff7fffff, v96, s16
	v_cmp_gt_i32_e64 s18, s24, v77
	v_max3_f32 v68, v68, v72, v78
	v_cndmask_b32_e64 v72, 0xff7fffff, v95, s17
	s_delay_alu instid0(VALU_DEP_3) | instskip(NEXT) | instid1(VALU_DEP_3)
	v_cndmask_b32_e64 v76, 0xff7fffff, v94, s18
	v_max3_f32 v68, v68, v70, v71
	s_delay_alu instid0(VALU_DEP_1) | instskip(SKIP_3) | instid1(VALU_DEP_1)
	v_max3_f32 v68, v68, v72, v76
	ds_bpermute_b32 v69, v89, v68
	s_waitcnt lgkmcnt(0)
	v_max_f32_e32 v69, v69, v69
	v_max_f32_e32 v68, v68, v69
	s_delay_alu instid0(VALU_DEP_1) | instskip(NEXT) | instid1(VALU_DEP_1)
	v_fma_f32 v71, s19, v118, -v68
	v_mul_f32_e32 v71, 0x3fb8aa3b, v71
	v_fma_f32 v70, s19, v117, -v68
	v_fma_f32 v69, s19, v116, -v68
	;; [unrolled: 1-line block ×5, first 2 shown]
	s_delay_alu instid0(VALU_DEP_4) | instskip(SKIP_1) | instid1(VALU_DEP_3)
	v_dual_mul_f32 v70, 0x3fb8aa3b, v70 :: v_dual_mul_f32 v69, 0x3fb8aa3b, v69
	v_exp_f32_e32 v71, v71
	v_mul_f32_e32 v72, 0x3fb8aa3b, v72
	v_fma_f32 v81, s19, v105, -v68
	s_delay_alu instid0(VALU_DEP_3)
	v_exp_f32_e32 v70, v70
	v_mul_f32_e32 v77, 0x3fb8aa3b, v76
	v_exp_f32_e32 v69, v69
	v_exp_f32_e32 v72, v72
	v_mul_f32_e32 v81, 0x3fb8aa3b, v81
	v_cndmask_b32_e64 v83, 0, v71, s4
	v_fma_f32 v71, s19, v123, -v68
	s_delay_alu instid0(VALU_DEP_3) | instskip(SKIP_4) | instid1(TRANS32_DEP_3)
	v_exp_f32_e32 v81, v81
	v_cndmask_b32_e32 v76, 0, v70, vcc_lo
	v_exp_f32_e32 v77, v77
	v_cndmask_b32_e64 v80, 0, v69, s3
	v_fma_f32 v69, s19, v121, -v68
	v_cndmask_b32_e64 v85, 0, v72, s5
	v_mul_f32_e32 v71, 0x3fb8aa3b, v71
	v_fma_f32 v72, s19, v100, -v68
	s_delay_alu instid0(VALU_DEP_4) | instskip(SKIP_1) | instid1(VALU_DEP_4)
	v_dual_add_f32 v70, 0, v80 :: v_dual_mul_f32 v69, 0x3fb8aa3b, v69
	v_cmp_gt_u32_e64 s3, 16, v67
	v_exp_f32_e32 v71, v71
	s_delay_alu instid0(TRANS32_DEP_2) | instskip(SKIP_4) | instid1(VALU_DEP_3)
	v_cndmask_b32_e64 v86, 0, v77, s6
	v_fma_f32 v77, s19, v101, -v68
	v_mul_f32_e32 v78, 0x3fb8aa3b, v78
	v_add_f32_e32 v70, v70, v76
	v_exp_f32_e32 v69, v69
	v_mul_f32_e32 v77, 0x3fb8aa3b, v77
	s_delay_alu instid0(VALU_DEP_3) | instskip(NEXT) | instid1(TRANS32_DEP_3)
	v_exp_f32_e32 v78, v78
	v_cndmask_b32_e64 v88, 0, v71, s9
	v_fma_f32 v71, s19, v104, -v68
	s_delay_alu instid0(VALU_DEP_3) | instskip(NEXT) | instid1(TRANS32_DEP_3)
	v_exp_f32_e32 v77, v77
	v_cndmask_b32_e64 v87, 0, v69, s7
	s_delay_alu instid0(VALU_DEP_2)
	v_mul_f32_e32 v71, 0x3fb8aa3b, v71
	s_waitcnt_depctr 0xfff
	v_cndmask_b32_e64 v84, 0, v78, s8
	v_add_f32_e32 v70, v70, v83
	v_fma_f32 v78, s19, v103, -v68
	v_exp_f32_e32 v82, v71
	s_delay_alu instid0(VALU_DEP_2) | instskip(SKIP_1) | instid1(VALU_DEP_3)
	v_add_f32_e32 v70, v70, v85
	v_mul_f32_e32 v72, 0x3fb8aa3b, v72
	v_mul_f32_e32 v78, 0x3fb8aa3b, v78
	s_delay_alu instid0(VALU_DEP_3) | instskip(SKIP_1) | instid1(VALU_DEP_4)
	v_add_f32_e32 v69, v70, v86
	v_fma_f32 v70, s19, v102, -v68
	v_exp_f32_e32 v72, v72
	s_delay_alu instid0(VALU_DEP_3) | instskip(NEXT) | instid1(VALU_DEP_1)
	v_exp_f32_e32 v78, v78
	v_dual_add_f32 v69, v69, v87 :: v_dual_mul_f32 v70, 0x3fb8aa3b, v70
	s_delay_alu instid0(VALU_DEP_1) | instskip(NEXT) | instid1(VALU_DEP_2)
	v_add_f32_e32 v69, v69, v84
	v_exp_f32_e32 v79, v70
	s_delay_alu instid0(TRANS32_DEP_3) | instskip(NEXT) | instid1(VALU_DEP_2)
	v_cndmask_b32_e64 v70, 0, v72, s10
	v_add_f32_e32 v72, v69, v88
	v_cndmask_b32_e64 v69, 0, v77, s11
	v_fma_f32 v77, s19, v106, -v68
	s_waitcnt_depctr 0xfff
	v_cndmask_b32_e64 v71, 0, v79, s12
	v_dual_mul_f32 v77, 0x3fb8aa3b, v77 :: v_dual_add_f32 v72, v72, v70
	s_delay_alu instid0(VALU_DEP_1) | instskip(NEXT) | instid1(VALU_DEP_1)
	v_exp_f32_e32 v90, v77
	v_add_f32_e32 v79, v72, v69
	v_cndmask_b32_e64 v72, 0, v78, s13
	v_cndmask_b32_e64 v77, 0, v82, s15
	s_delay_alu instid0(VALU_DEP_3) | instskip(SKIP_1) | instid1(VALU_DEP_1)
	v_add_f32_e32 v78, v79, v71
	v_fma_f32 v79, s19, v107, -v68
	v_dual_add_f32 v82, v78, v72 :: v_dual_mul_f32 v79, 0x3fb8aa3b, v79
	v_cndmask_b32_e64 v78, 0, v81, s16
	s_delay_alu instid0(VALU_DEP_2) | instskip(NEXT) | instid1(VALU_DEP_3)
	v_add_f32_e32 v81, v82, v77
	v_exp_f32_e32 v82, v79
	v_cndmask_b32_e64 v79, 0, v90, s17
	s_delay_alu instid0(VALU_DEP_2) | instskip(NEXT) | instid1(VALU_DEP_1)
	v_add_f32_e32 v81, v81, v78
	v_add_f32_e32 v90, v81, v79
	s_waitcnt_depctr 0xfff
	v_cndmask_b32_e64 v81, 0, v82, s18
	s_delay_alu instid0(VALU_DEP_1)
	v_add_f32_e32 v82, v90, v81
	ds_bpermute_b32 v89, v89, v82
	s_and_saveexec_b32 s4, s3
	s_cbranch_execz .LBB1390_12
; %bb.11:
	v_mul_u32_u24_e32 v67, 0x44, v66
	s_delay_alu instid0(VALU_DEP_1) | instskip(SKIP_1) | instid1(VALU_DEP_1)
	v_lshl_add_u32 v67, v65, 2, v67
	s_waitcnt lgkmcnt(0)
	v_dual_add_f32 v82, v82, v89 :: v_dual_add_nc_u32 v67, 0x4000, v67
	ds_store_2addr_b32 v67, v68, v82 offset1:136
.LBB1390_12:
	s_or_b32 exec_lo, exec_lo, s4
	v_lshlrev_b32_e32 v67, 2, v65
	s_waitcnt lgkmcnt(0)
	s_barrier
	buffer_gl0_inv
	v_cmp_eq_u32_e32 vcc_lo, 1, v66
	v_add_nc_u32_e32 v82, 0x4000, v67
	v_cmp_eq_u32_e64 s4, 2, v66
	v_cmp_eq_u32_e64 s6, 7, v66
	ds_load_2addr_b32 v[89:90], v82 offset1:17
	ds_load_2addr_b32 v[91:92], v82 offset0:34 offset1:51
	ds_load_2addr_b32 v[93:94], v82 offset0:68 offset1:85
	;; [unrolled: 1-line block ×4, first 2 shown]
	s_waitcnt lgkmcnt(4)
	v_max3_f32 v67, v89, 0xff7fffff, v90
	s_waitcnt lgkmcnt(3)
	s_delay_alu instid0(VALU_DEP_1) | instskip(SKIP_1) | instid1(VALU_DEP_1)
	v_max3_f32 v67, v67, v91, v92
	s_waitcnt lgkmcnt(2)
	v_max3_f32 v67, v67, v93, v94
	s_waitcnt lgkmcnt(1)
	s_delay_alu instid0(VALU_DEP_1) | instskip(NEXT) | instid1(VALU_DEP_1)
	v_max3_f32 v67, v67, v95, v96
	v_sub_f32_e32 v93, v93, v67
	s_delay_alu instid0(VALU_DEP_1) | instskip(NEXT) | instid1(VALU_DEP_1)
	v_dual_sub_f32 v68, v89, v67 :: v_dual_mul_f32 v103, 0x3fb8aa3b, v93
	v_mul_f32_e32 v68, 0x3fb8aa3b, v68
	s_delay_alu instid0(VALU_DEP_1)
	v_exp_f32_e32 v100, v68
	v_sub_f32_e32 v68, v92, v67
	v_sub_f32_e32 v99, v90, v67
	ds_load_2addr_b32 v[89:90], v82 offset0:170 offset1:187
	v_dual_mul_f32 v102, 0x3fb8aa3b, v68 :: v_dual_mul_f32 v99, 0x3fb8aa3b, v99
	s_waitcnt lgkmcnt(1)
	v_fma_f32 v68, v100, v97, 0
	s_delay_alu instid0(VALU_DEP_2) | instskip(NEXT) | instid1(VALU_DEP_2)
	v_exp_f32_e32 v102, v102
	v_exp_f32_e32 v99, v99
	s_waitcnt_depctr 0xfff
	v_fmac_f32_e32 v68, v99, v98
	v_sub_f32_e32 v91, v91, v67
	s_delay_alu instid0(VALU_DEP_1)
	v_mul_f32_e32 v101, 0x3fb8aa3b, v91
	ds_load_2addr_b32 v[91:92], v82 offset0:204 offset1:221
	v_sub_f32_e32 v97, v94, v67
	ds_load_2addr_b32 v[93:94], v82 offset0:238 offset1:255
	s_waitcnt lgkmcnt(0)
	v_exp_f32_e32 v101, v101
	s_barrier
	buffer_gl0_inv
	v_dual_fmac_f32 v68, v101, v89 :: v_dual_sub_f32 v89, v96, v67
	v_dual_sub_f32 v82, v95, v67 :: v_dual_mul_f32 v95, 0x3fb8aa3b, v97
	v_exp_f32_e32 v97, v103
	s_delay_alu instid0(VALU_DEP_2) | instskip(NEXT) | instid1(VALU_DEP_2)
	v_dual_fmac_f32 v68, v102, v90 :: v_dual_mul_f32 v89, 0x3fb8aa3b, v89
	v_mul_f32_e32 v82, 0x3fb8aa3b, v82
	s_delay_alu instid0(VALU_DEP_3) | instskip(NEXT) | instid1(VALU_DEP_2)
	v_exp_f32_e32 v95, v95
	v_exp_f32_e32 v89, v89
	s_delay_alu instid0(VALU_DEP_1)
	v_exp_f32_e32 v82, v82
	v_fmac_f32_e32 v68, v97, v91
	s_delay_alu instid0(TRANS32_DEP_3) | instid1(VALU_DEP_1)
	v_fmac_f32_e32 v68, v95, v92
	s_waitcnt_depctr 0xfff
	v_fmac_f32_e32 v68, v82, v93
	s_delay_alu instid0(VALU_DEP_1) | instskip(NEXT) | instid1(VALU_DEP_1)
	v_fmac_f32_e32 v68, v89, v94
	v_add_f32_e32 v90, 0x358637bd, v68
	s_delay_alu instid0(VALU_DEP_1) | instskip(NEXT) | instid1(VALU_DEP_1)
	v_div_scale_f32 v91, null, v90, v90, 1.0
	v_rcp_f32_e32 v92, v91
	s_waitcnt_depctr 0xfff
	v_fma_f32 v93, -v91, v92, 1.0
	s_delay_alu instid0(VALU_DEP_1) | instskip(SKIP_1) | instid1(VALU_DEP_2)
	v_dual_fmac_f32 v92, v93, v92 :: v_dual_cndmask_b32 v93, v100, v99
	v_cmp_eq_u32_e32 vcc_lo, 3, v66
	v_cndmask_b32_e64 v93, v93, v101, s4
	v_cmp_eq_u32_e64 s4, 4, v66
	s_delay_alu instid0(VALU_DEP_2) | instskip(SKIP_1) | instid1(VALU_DEP_2)
	v_cndmask_b32_e32 v93, v93, v102, vcc_lo
	v_cmp_eq_u32_e32 vcc_lo, 5, v66
	v_cndmask_b32_e64 v93, v93, v97, s4
	v_cmp_eq_u32_e64 s4, 6, v66
	s_delay_alu instid0(VALU_DEP_2) | instskip(SKIP_1) | instid1(VALU_DEP_1)
	v_cndmask_b32_e32 v93, v93, v95, vcc_lo
	v_div_scale_f32 v94, s5, 1.0, v90, 1.0
	s_mov_b32 vcc_lo, s5
	s_delay_alu instid0(VALU_DEP_2) | instskip(NEXT) | instid1(VALU_DEP_2)
	v_cndmask_b32_e64 v82, v93, v82, s4
	v_mul_f32_e32 v96, v94, v92
	s_mov_b32 s4, exec_lo
	s_delay_alu instid0(VALU_DEP_2) | instskip(NEXT) | instid1(VALU_DEP_2)
	v_cndmask_b32_e64 v82, v82, v89, s6
	v_fma_f32 v98, -v91, v96, v94
	s_delay_alu instid0(VALU_DEP_1) | instskip(NEXT) | instid1(VALU_DEP_1)
	v_fmac_f32_e32 v96, v98, v92
	v_fma_f32 v91, -v91, v96, v94
	s_delay_alu instid0(VALU_DEP_1) | instskip(NEXT) | instid1(VALU_DEP_1)
	v_div_fmas_f32 v91, v91, v92, v96
	v_div_fixup_f32 v90, v91, v90, 1.0
	s_delay_alu instid0(VALU_DEP_1) | instskip(NEXT) | instid1(VALU_DEP_1)
	v_mul_f32_e32 v82, v82, v90
	v_mul_f32_e32 v87, v82, v87
	;; [unrolled: 1-line block ×7, first 2 shown]
	v_dual_mul_f32 v86, v82, v83 :: v_dual_and_b32 v91, 0x7f800000, v90
	v_mul_f32_e32 v85, v82, v76
                                        ; implicit-def: $vgpr76
	s_delay_alu instid0(VALU_DEP_2)
	v_cmpx_ne_u32_e32 0x7f800000, v91
	s_xor_b32 s4, exec_lo, s4
; %bb.13:
	v_bfe_u32 v76, v90, 16, 1
	s_delay_alu instid0(VALU_DEP_1)
	v_add3_u32 v76, v90, v76, 0x7fff
                                        ; implicit-def: $vgpr90
; %bb.14:
	s_and_not1_saveexec_b32 s4, s4
; %bb.15:
	v_and_b32_e32 v76, 0xffff, v90
	v_or_b32_e32 v83, 0x10000, v90
	s_delay_alu instid0(VALU_DEP_2) | instskip(NEXT) | instid1(VALU_DEP_2)
	v_cmp_eq_u32_e32 vcc_lo, 0, v76
	v_cndmask_b32_e32 v76, v83, v90, vcc_lo
; %bb.16:
	s_or_b32 exec_lo, exec_lo, s4
	v_and_b32_e32 v83, 0x7f800000, v85
	s_delay_alu instid0(VALU_DEP_1) | instskip(SKIP_1) | instid1(SALU_CYCLE_1)
	v_cmp_ne_u32_e32 vcc_lo, 0x7f800000, v83
                                        ; implicit-def: $vgpr83
	s_and_saveexec_b32 s4, vcc_lo
	s_xor_b32 s4, exec_lo, s4
; %bb.17:
	v_bfe_u32 v83, v85, 16, 1
	s_delay_alu instid0(VALU_DEP_1)
	v_add3_u32 v83, v85, v83, 0x7fff
                                        ; implicit-def: $vgpr85
; %bb.18:
	s_and_not1_saveexec_b32 s4, s4
; %bb.19:
	v_and_b32_e32 v83, 0xffff, v85
	v_or_b32_e32 v90, 0x10000, v85
	s_delay_alu instid0(VALU_DEP_2) | instskip(NEXT) | instid1(VALU_DEP_2)
	v_cmp_eq_u32_e32 vcc_lo, 0, v83
	v_cndmask_b32_e32 v83, v90, v85, vcc_lo
; %bb.20:
	s_or_b32 exec_lo, exec_lo, s4
	v_and_b32_e32 v85, 0x7f800000, v86
	s_delay_alu instid0(VALU_DEP_1) | instskip(SKIP_1) | instid1(SALU_CYCLE_1)
	v_cmp_ne_u32_e32 vcc_lo, 0x7f800000, v85
                                        ; implicit-def: $vgpr85
	s_and_saveexec_b32 s4, vcc_lo
	s_xor_b32 s4, exec_lo, s4
; %bb.21:
	v_bfe_u32 v85, v86, 16, 1
	s_delay_alu instid0(VALU_DEP_1)
	v_add3_u32 v85, v86, v85, 0x7fff
                                        ; implicit-def: $vgpr86
; %bb.22:
	s_and_not1_saveexec_b32 s4, s4
; %bb.23:
	v_and_b32_e32 v85, 0xffff, v86
	v_or_b32_e32 v90, 0x10000, v86
	s_delay_alu instid0(VALU_DEP_2) | instskip(NEXT) | instid1(VALU_DEP_2)
	v_cmp_eq_u32_e32 vcc_lo, 0, v85
	v_cndmask_b32_e32 v85, v90, v86, vcc_lo
; %bb.24:
	s_or_b32 exec_lo, exec_lo, s4
	v_and_b32_e32 v86, 0x7f800000, v89
	s_delay_alu instid0(VALU_DEP_1) | instskip(SKIP_1) | instid1(SALU_CYCLE_1)
	v_cmp_ne_u32_e32 vcc_lo, 0x7f800000, v86
                                        ; implicit-def: $vgpr86
	s_and_saveexec_b32 s4, vcc_lo
	s_xor_b32 s4, exec_lo, s4
; %bb.25:
	v_bfe_u32 v86, v89, 16, 1
	s_delay_alu instid0(VALU_DEP_1)
	v_add3_u32 v86, v89, v86, 0x7fff
                                        ; implicit-def: $vgpr89
; %bb.26:
	s_and_not1_saveexec_b32 s4, s4
; %bb.27:
	v_and_b32_e32 v86, 0xffff, v89
	v_or_b32_e32 v90, 0x10000, v89
	s_delay_alu instid0(VALU_DEP_2) | instskip(NEXT) | instid1(VALU_DEP_2)
	v_cmp_eq_u32_e32 vcc_lo, 0, v86
	v_cndmask_b32_e32 v86, v90, v89, vcc_lo
; %bb.28:
	s_or_b32 exec_lo, exec_lo, s4
	v_and_b32_e32 v89, 0x7f800000, v88
	s_delay_alu instid0(VALU_DEP_1) | instskip(SKIP_1) | instid1(SALU_CYCLE_1)
	v_cmp_ne_u32_e32 vcc_lo, 0x7f800000, v89
                                        ; implicit-def: $vgpr89
	s_and_saveexec_b32 s4, vcc_lo
	s_xor_b32 s4, exec_lo, s4
; %bb.29:
	v_bfe_u32 v89, v88, 16, 1
	s_delay_alu instid0(VALU_DEP_1)
	v_add3_u32 v89, v88, v89, 0x7fff
                                        ; implicit-def: $vgpr88
; %bb.30:
	s_and_not1_saveexec_b32 s4, s4
; %bb.31:
	v_and_b32_e32 v89, 0xffff, v88
	v_or_b32_e32 v90, 0x10000, v88
	s_delay_alu instid0(VALU_DEP_2) | instskip(NEXT) | instid1(VALU_DEP_2)
	v_cmp_eq_u32_e32 vcc_lo, 0, v89
	v_cndmask_b32_e32 v89, v90, v88, vcc_lo
; %bb.32:
	s_or_b32 exec_lo, exec_lo, s4
	v_and_b32_e32 v88, 0x7f800000, v87
	s_delay_alu instid0(VALU_DEP_1) | instskip(SKIP_1) | instid1(SALU_CYCLE_1)
	v_cmp_ne_u32_e32 vcc_lo, 0x7f800000, v88
                                        ; implicit-def: $vgpr88
	s_and_saveexec_b32 s4, vcc_lo
	s_xor_b32 s4, exec_lo, s4
; %bb.33:
	v_bfe_u32 v88, v87, 16, 1
	s_delay_alu instid0(VALU_DEP_1)
	v_add3_u32 v88, v87, v88, 0x7fff
                                        ; implicit-def: $vgpr87
; %bb.34:
	s_and_not1_saveexec_b32 s4, s4
; %bb.35:
	v_and_b32_e32 v88, 0xffff, v87
	v_or_b32_e32 v90, 0x10000, v87
	s_delay_alu instid0(VALU_DEP_2) | instskip(NEXT) | instid1(VALU_DEP_2)
	v_cmp_eq_u32_e32 vcc_lo, 0, v88
	v_cndmask_b32_e32 v88, v90, v87, vcc_lo
; %bb.36:
	s_or_b32 exec_lo, exec_lo, s4
	v_and_b32_e32 v87, 0x7f800000, v84
	s_delay_alu instid0(VALU_DEP_1) | instskip(SKIP_1) | instid1(SALU_CYCLE_1)
	v_cmp_ne_u32_e32 vcc_lo, 0x7f800000, v87
                                        ; implicit-def: $vgpr87
	s_and_saveexec_b32 s4, vcc_lo
	s_xor_b32 s4, exec_lo, s4
; %bb.37:
	v_bfe_u32 v87, v84, 16, 1
	s_delay_alu instid0(VALU_DEP_1)
	v_add3_u32 v87, v84, v87, 0x7fff
                                        ; implicit-def: $vgpr84
; %bb.38:
	s_and_not1_saveexec_b32 s4, s4
; %bb.39:
	v_and_b32_e32 v87, 0xffff, v84
	v_or_b32_e32 v90, 0x10000, v84
	s_delay_alu instid0(VALU_DEP_2) | instskip(NEXT) | instid1(VALU_DEP_2)
	v_cmp_eq_u32_e32 vcc_lo, 0, v87
	v_cndmask_b32_e32 v87, v90, v84, vcc_lo
; %bb.40:
	s_or_b32 exec_lo, exec_lo, s4
	v_and_b32_e32 v84, 0x7f800000, v80
	s_delay_alu instid0(VALU_DEP_1) | instskip(SKIP_1) | instid1(SALU_CYCLE_1)
	v_cmp_ne_u32_e32 vcc_lo, 0x7f800000, v84
                                        ; implicit-def: $vgpr84
	s_and_saveexec_b32 s4, vcc_lo
	s_xor_b32 s4, exec_lo, s4
; %bb.41:
	v_bfe_u32 v84, v80, 16, 1
	s_delay_alu instid0(VALU_DEP_1)
	v_add3_u32 v84, v80, v84, 0x7fff
                                        ; implicit-def: $vgpr80
; %bb.42:
	s_and_not1_saveexec_b32 s4, s4
; %bb.43:
	v_and_b32_e32 v84, 0xffff, v80
	v_or_b32_e32 v90, 0x10000, v80
	s_delay_alu instid0(VALU_DEP_2) | instskip(NEXT) | instid1(VALU_DEP_2)
	v_cmp_eq_u32_e32 vcc_lo, 0, v84
	v_cndmask_b32_e32 v84, v90, v80, vcc_lo
; %bb.44:
	s_or_b32 exec_lo, exec_lo, s4
	s_load_b64 s[36:37], s[0:1], 0x94
	v_lshlrev_b32_e32 v91, 4, v74
	s_delay_alu instid0(VALU_DEP_2)
	v_perm_b32 v90, v84, v87, 0x7060302
	v_dual_mul_f32 v79, v82, v79 :: v_dual_lshlrev_b32 v80, 6, v65
	v_dual_mul_f32 v77, v82, v77 :: v_dual_lshlrev_b32 v92, 11, v66
	v_mul_f32_e32 v84, v82, v70
	v_perm_b32 v89, v88, v89, 0x7060302
	v_perm_b32 v88, v86, v85, 0x7060302
	;; [unrolled: 1-line block ×3, first 2 shown]
	v_mul_f32_e32 v70, v82, v81
	v_or3_b32 v76, v91, v92, v80
	v_dual_mul_f32 v78, v82, v78 :: v_dual_and_b32 v85, 0x7f800000, v84
	v_mul_f32_e32 v83, v82, v72
	v_mul_f32_e32 v81, v82, v71
	;; [unrolled: 1-line block ×3, first 2 shown]
	s_mov_b32 s4, exec_lo
	ds_store_b128 v76, v[87:90]
                                        ; implicit-def: $vgpr69
	v_cmpx_ne_u32_e32 0x7f800000, v85
	s_xor_b32 s4, exec_lo, s4
; %bb.45:
	v_bfe_u32 v69, v84, 16, 1
	s_delay_alu instid0(VALU_DEP_1)
	v_add3_u32 v69, v84, v69, 0x7fff
                                        ; implicit-def: $vgpr84
; %bb.46:
	s_and_not1_saveexec_b32 s4, s4
; %bb.47:
	v_and_b32_e32 v69, 0xffff, v84
	v_or_b32_e32 v71, 0x10000, v84
	s_delay_alu instid0(VALU_DEP_2) | instskip(NEXT) | instid1(VALU_DEP_2)
	v_cmp_eq_u32_e32 vcc_lo, 0, v69
	v_cndmask_b32_e32 v69, v71, v84, vcc_lo
; %bb.48:
	s_or_b32 exec_lo, exec_lo, s4
	v_and_b32_e32 v71, 0x7f800000, v72
	s_delay_alu instid0(VALU_DEP_1) | instskip(SKIP_1) | instid1(SALU_CYCLE_1)
	v_cmp_ne_u32_e32 vcc_lo, 0x7f800000, v71
                                        ; implicit-def: $vgpr71
	s_and_saveexec_b32 s4, vcc_lo
	s_xor_b32 s4, exec_lo, s4
; %bb.49:
	v_bfe_u32 v71, v72, 16, 1
	s_delay_alu instid0(VALU_DEP_1)
	v_add3_u32 v71, v72, v71, 0x7fff
                                        ; implicit-def: $vgpr72
; %bb.50:
	s_and_not1_saveexec_b32 s4, s4
; %bb.51:
	v_and_b32_e32 v71, 0xffff, v72
	v_or_b32_e32 v82, 0x10000, v72
	s_delay_alu instid0(VALU_DEP_2) | instskip(NEXT) | instid1(VALU_DEP_2)
	v_cmp_eq_u32_e32 vcc_lo, 0, v71
	v_cndmask_b32_e32 v71, v82, v72, vcc_lo
; %bb.52:
	s_or_b32 exec_lo, exec_lo, s4
	v_and_b32_e32 v72, 0x7f800000, v81
	s_delay_alu instid0(VALU_DEP_1) | instskip(SKIP_1) | instid1(SALU_CYCLE_1)
	v_cmp_ne_u32_e32 vcc_lo, 0x7f800000, v72
                                        ; implicit-def: $vgpr72
	s_and_saveexec_b32 s4, vcc_lo
	s_xor_b32 s4, exec_lo, s4
; %bb.53:
	v_bfe_u32 v72, v81, 16, 1
	s_delay_alu instid0(VALU_DEP_1)
	v_add3_u32 v72, v81, v72, 0x7fff
                                        ; implicit-def: $vgpr81
; %bb.54:
	s_and_not1_saveexec_b32 s4, s4
; %bb.55:
	v_and_b32_e32 v72, 0xffff, v81
	v_or_b32_e32 v82, 0x10000, v81
	s_delay_alu instid0(VALU_DEP_2) | instskip(NEXT) | instid1(VALU_DEP_2)
	v_cmp_eq_u32_e32 vcc_lo, 0, v72
	v_cndmask_b32_e32 v72, v82, v81, vcc_lo
; %bb.56:
	s_or_b32 exec_lo, exec_lo, s4
	v_and_b32_e32 v81, 0x7f800000, v83
	s_delay_alu instid0(VALU_DEP_1) | instskip(SKIP_1) | instid1(SALU_CYCLE_1)
	v_cmp_ne_u32_e32 vcc_lo, 0x7f800000, v81
                                        ; implicit-def: $vgpr81
	s_and_saveexec_b32 s4, vcc_lo
	s_xor_b32 s4, exec_lo, s4
; %bb.57:
	v_bfe_u32 v81, v83, 16, 1
	s_delay_alu instid0(VALU_DEP_1)
	v_add3_u32 v81, v83, v81, 0x7fff
                                        ; implicit-def: $vgpr83
; %bb.58:
	s_and_not1_saveexec_b32 s4, s4
; %bb.59:
	v_and_b32_e32 v81, 0xffff, v83
	v_or_b32_e32 v82, 0x10000, v83
	s_delay_alu instid0(VALU_DEP_2) | instskip(NEXT) | instid1(VALU_DEP_2)
	v_cmp_eq_u32_e32 vcc_lo, 0, v81
	v_cndmask_b32_e32 v81, v82, v83, vcc_lo
; %bb.60:
	s_or_b32 exec_lo, exec_lo, s4
	v_and_b32_e32 v82, 0x7f800000, v77
	s_delay_alu instid0(VALU_DEP_1) | instskip(SKIP_1) | instid1(SALU_CYCLE_1)
	v_cmp_ne_u32_e32 vcc_lo, 0x7f800000, v82
                                        ; implicit-def: $vgpr82
	s_and_saveexec_b32 s4, vcc_lo
	s_xor_b32 s4, exec_lo, s4
; %bb.61:
	v_bfe_u32 v82, v77, 16, 1
	s_delay_alu instid0(VALU_DEP_1)
	v_add3_u32 v82, v77, v82, 0x7fff
                                        ; implicit-def: $vgpr77
; %bb.62:
	s_and_not1_saveexec_b32 s4, s4
; %bb.63:
	v_and_b32_e32 v82, 0xffff, v77
	v_or_b32_e32 v83, 0x10000, v77
	s_delay_alu instid0(VALU_DEP_2) | instskip(NEXT) | instid1(VALU_DEP_2)
	v_cmp_eq_u32_e32 vcc_lo, 0, v82
	v_cndmask_b32_e32 v82, v83, v77, vcc_lo
; %bb.64:
	s_or_b32 exec_lo, exec_lo, s4
	v_and_b32_e32 v77, 0x7f800000, v78
	s_delay_alu instid0(VALU_DEP_1) | instskip(SKIP_1) | instid1(SALU_CYCLE_1)
	v_cmp_ne_u32_e32 vcc_lo, 0x7f800000, v77
                                        ; implicit-def: $vgpr77
	s_and_saveexec_b32 s4, vcc_lo
	s_xor_b32 s4, exec_lo, s4
; %bb.65:
	v_bfe_u32 v77, v78, 16, 1
	s_delay_alu instid0(VALU_DEP_1)
	v_add3_u32 v77, v78, v77, 0x7fff
                                        ; implicit-def: $vgpr78
; %bb.66:
	s_and_not1_saveexec_b32 s4, s4
; %bb.67:
	v_and_b32_e32 v77, 0xffff, v78
	v_or_b32_e32 v83, 0x10000, v78
	s_delay_alu instid0(VALU_DEP_2) | instskip(NEXT) | instid1(VALU_DEP_2)
	v_cmp_eq_u32_e32 vcc_lo, 0, v77
	v_cndmask_b32_e32 v77, v83, v78, vcc_lo
; %bb.68:
	s_or_b32 exec_lo, exec_lo, s4
	v_and_b32_e32 v78, 0x7f800000, v79
	s_delay_alu instid0(VALU_DEP_1) | instskip(SKIP_1) | instid1(SALU_CYCLE_1)
	v_cmp_ne_u32_e32 vcc_lo, 0x7f800000, v78
                                        ; implicit-def: $vgpr78
	s_and_saveexec_b32 s4, vcc_lo
	s_xor_b32 s4, exec_lo, s4
; %bb.69:
	v_bfe_u32 v78, v79, 16, 1
	s_delay_alu instid0(VALU_DEP_1)
	v_add3_u32 v78, v79, v78, 0x7fff
                                        ; implicit-def: $vgpr79
; %bb.70:
	s_and_not1_saveexec_b32 s4, s4
; %bb.71:
	v_and_b32_e32 v78, 0xffff, v79
	v_or_b32_e32 v83, 0x10000, v79
	s_delay_alu instid0(VALU_DEP_2) | instskip(NEXT) | instid1(VALU_DEP_2)
	v_cmp_eq_u32_e32 vcc_lo, 0, v78
	v_cndmask_b32_e32 v78, v83, v79, vcc_lo
; %bb.72:
	s_or_b32 exec_lo, exec_lo, s4
	v_and_b32_e32 v79, 0x7f800000, v70
	s_delay_alu instid0(VALU_DEP_1) | instskip(SKIP_1) | instid1(SALU_CYCLE_1)
	v_cmp_ne_u32_e32 vcc_lo, 0x7f800000, v79
                                        ; implicit-def: $vgpr79
	s_and_saveexec_b32 s4, vcc_lo
	s_xor_b32 s4, exec_lo, s4
; %bb.73:
	v_bfe_u32 v79, v70, 16, 1
	s_delay_alu instid0(VALU_DEP_1)
	v_add3_u32 v79, v70, v79, 0x7fff
                                        ; implicit-def: $vgpr70
; %bb.74:
	s_and_not1_saveexec_b32 s4, s4
; %bb.75:
	v_and_b32_e32 v79, 0xffff, v70
	v_or_b32_e32 v83, 0x10000, v70
	s_delay_alu instid0(VALU_DEP_2) | instskip(NEXT) | instid1(VALU_DEP_2)
	v_cmp_eq_u32_e32 vcc_lo, 0, v79
	v_cndmask_b32_e32 v79, v83, v70, vcc_lo
; %bb.76:
	s_or_b32 exec_lo, exec_lo, s4
	s_delay_alu instid0(VALU_DEP_1)
	v_perm_b32 v86, v79, v78, 0x7060302
	v_perm_b32 v85, v77, v82, 0x7060302
	;; [unrolled: 1-line block ×4, first 2 shown]
	v_lshl_or_b32 v82, v66, 11, v80
	ds_store_b128 v76, v[83:86] offset:1024
	s_waitcnt lgkmcnt(0)
	s_barrier
	buffer_gl0_inv
	ds_load_b128 v[69:72], v82
	ds_load_b128 v[83:86], v82 offset:16
	s_waitcnt lgkmcnt(1)
	v_lshrrev_b32_e32 v66, 16, v69
	s_waitcnt lgkmcnt(0)
	v_lshrrev_b32_e32 v91, 16, v83
	v_lshlrev_b32_e32 v78, 2, v74
	v_lshrrev_b32_e32 v95, 16, v70
	v_lshrrev_b32_e32 v98, 16, v84
	;; [unrolled: 1-line block ×4, first 2 shown]
	v_cmp_eq_u32_e32 vcc_lo, 1, v78
	v_lshrrev_b32_e32 v97, 16, v72
	v_lshrrev_b32_e32 v100, 16, v86
	v_cndmask_b32_e32 v87, v83, v91, vcc_lo
	v_or_b32_e32 v79, 1, v78
	v_cndmask_b32_e32 v81, v69, v66, vcc_lo
	v_cmp_eq_u32_e64 s5, 2, v78
	v_cmp_eq_u32_e64 s8, 3, v78
	;; [unrolled: 1-line block ×5, first 2 shown]
	v_cndmask_b32_e64 v81, v81, v70, s5
	v_cndmask_b32_e64 v87, v87, v84, s5
	v_cmp_eq_u32_e64 s9, 3, v79
	v_cndmask_b32_e64 v88, v69, v66, s4
	v_or_b32_e32 v77, 2, v78
	v_cndmask_b32_e64 v81, v81, v95, s8
	v_cndmask_b32_e64 v87, v87, v98, s8
	;; [unrolled: 1-line block ×4, first 2 shown]
	v_cmp_eq_u32_e64 s11, 5, v78
	v_cndmask_b32_e64 v81, v81, v71, s10
	v_cndmask_b32_e64 v87, v87, v85, s10
	v_cmp_eq_u32_e64 s12, 4, v79
	v_cndmask_b32_e64 v88, v88, v95, s9
	v_cmp_eq_u32_e64 s6, 1, v77
	v_cndmask_b32_e64 v89, v89, v84, s7
	v_cndmask_b32_e64 v81, v81, v96, s11
	v_cmp_eq_u32_e64 s13, 6, v78
	v_cndmask_b32_e64 v88, v88, v71, s12
	;; [unrolled: 3-line block ×3, first 2 shown]
	v_cndmask_b32_e64 v89, v89, v98, s9
	v_cndmask_b32_e64 v81, v81, v72, s13
	v_cmp_eq_u32_e64 s16, 7, v78
	v_cndmask_b32_e64 v88, v88, v96, s15
	v_cndmask_b32_e64 v87, v87, v86, s13
	v_cmp_eq_u32_e64 s17, 6, v79
	v_cmp_eq_u32_e64 s18, 2, v77
	v_cndmask_b32_e64 v89, v89, v85, s12
	v_cndmask_b32_e64 v101, v81, v97, s16
	;; [unrolled: 1-line block ×6, first 2 shown]
	v_cmp_eq_u32_e64 s19, 7, v79
	v_cmp_eq_u32_e64 s20, 3, v77
	;; [unrolled: 1-line block ×4, first 2 shown]
	v_cndmask_b32_e64 v87, v87, v84, s18
	v_cndmask_b32_e64 v103, v88, v97, s19
	;; [unrolled: 1-line block ×4, first 2 shown]
	v_or_b32_e32 v81, 3, v78
	v_cndmask_b32_e64 v93, v87, v98, s20
	v_cmp_eq_u32_e64 s25, 6, v77
	v_cndmask_b32_e64 v104, v88, v86, s17
	v_cndmask_b32_e64 v92, v89, v71, s21
	v_cmp_eq_u32_e64 s22, 1, v81
	ds_load_b128 v[87:90], v82 offset:1024
	v_cmp_eq_u32_e64 s24, 2, v81
	v_cmp_eq_u32_e64 s26, 3, v81
	v_cndmask_b32_e64 v105, v92, v96, s23
	v_cndmask_b32_e64 v66, v69, v66, s22
	;; [unrolled: 1-line block ×4, first 2 shown]
	ds_load_b128 v[91:94], v82 offset:1040
	v_cmp_eq_u32_e64 s27, 4, v81
	v_cndmask_b32_e64 v66, v66, v70, s24
	v_cmp_eq_u32_e64 s28, 7, v77
	v_cndmask_b32_e64 v70, v83, v84, s24
	v_cndmask_b32_e64 v84, v105, v72, s25
	v_cmp_eq_u32_e64 s29, 5, v81
	v_cndmask_b32_e64 v66, v66, v95, s26
	v_cmp_eq_u32_e64 s30, 6, v81
	v_cndmask_b32_e64 v70, v70, v98, s26
	v_cndmask_b32_e64 v69, v69, v99, s23
	;; [unrolled: 1-line block ×4, first 2 shown]
	s_waitcnt lgkmcnt(1)
	v_lshrrev_b32_e32 v95, 16, v87
	v_cndmask_b32_e64 v70, v70, v85, s27
	v_cndmask_b32_e64 v71, v84, v97, s28
	v_cndmask_b32_e64 v69, v69, v86, s25
	v_cndmask_b32_e64 v66, v66, v96, s29
	v_cndmask_b32_e32 v84, v87, v95, vcc_lo
	v_cndmask_b32_e64 v70, v70, v99, s29
	s_waitcnt lgkmcnt(0)
	v_lshrrev_b32_e32 v85, 16, v91
	v_lshrrev_b32_e32 v96, 16, v88
	v_cndmask_b32_e64 v98, v87, v95, s4
	v_cndmask_b32_e64 v84, v84, v88, s5
	;; [unrolled: 1-line block ×3, first 2 shown]
	v_cndmask_b32_e32 v99, v91, v85, vcc_lo
	v_cmp_eq_u32_e32 vcc_lo, 7, v81
	v_cndmask_b32_e64 v66, v66, v72, s30
	v_cndmask_b32_e64 v72, v84, v96, s8
	;; [unrolled: 1-line block ×3, first 2 shown]
	v_lshrrev_b32_e32 v98, 16, v92
	v_cndmask_b32_e32 v70, v70, v100, vcc_lo
	v_cndmask_b32_e64 v86, v99, v92, s5
	v_cndmask_b32_e64 v69, v69, v100, s28
	v_lshrrev_b32_e32 v100, 16, v93
	v_cndmask_b32_e64 v72, v72, v89, s10
	v_lshrrev_b32_e32 v99, 16, v89
	v_cndmask_b32_e64 v86, v86, v98, s8
	v_perm_b32 v71, v69, v71, 0x5040100
	v_cndmask_b32_e64 v84, v84, v96, s9
	s_delay_alu instid0(VALU_DEP_3) | instskip(NEXT) | instid1(VALU_DEP_2)
	v_cndmask_b32_e64 v86, v86, v93, s10
	v_cndmask_b32_e64 v84, v84, v89, s12
	s_delay_alu instid0(VALU_DEP_2) | instskip(NEXT) | instid1(VALU_DEP_1)
	v_cndmask_b32_e64 v86, v86, v100, s11
	v_cndmask_b32_e64 v69, v86, v94, s13
	;; [unrolled: 1-line block ×5, first 2 shown]
	s_delay_alu instid0(VALU_DEP_3) | instskip(NEXT) | instid1(VALU_DEP_3)
	v_cndmask_b32_e64 v86, v86, v88, s18
	v_cndmask_b32_e64 v87, v87, v88, s24
	s_delay_alu instid0(VALU_DEP_3) | instskip(NEXT) | instid1(VALU_DEP_3)
	v_cndmask_b32_e64 v88, v95, v92, s24
	v_cndmask_b32_e64 v86, v86, v96, s20
	;; [unrolled: 3-line block ×7, first 2 shown]
	s_delay_alu instid0(VALU_DEP_3) | instskip(SKIP_2) | instid1(VALU_DEP_2)
	v_cndmask_b32_e64 v88, v88, v94, s30
	v_cndmask_b32_e32 v66, v66, v97, vcc_lo
	v_cndmask_b32_e64 v97, v72, v99, s11
	v_perm_b32 v72, v70, v66, 0x5040100
	v_perm_b32 v70, v83, v103, 0x5040100
	v_cndmask_b32_e64 v103, v91, v85, s6
	v_cndmask_b32_e64 v85, v91, v85, s4
	;; [unrolled: 1-line block ×4, first 2 shown]
	v_lshrrev_b32_e32 v97, 16, v90
	v_cndmask_b32_e64 v91, v103, v92, s18
	v_cndmask_b32_e64 v85, v85, v92, s7
	;; [unrolled: 1-line block ×3, first 2 shown]
	s_mov_b32 s4, exec_lo
	v_cndmask_b32_e64 v83, v84, v97, s16
	v_cndmask_b32_e64 v91, v91, v98, s20
	;; [unrolled: 1-line block ×3, first 2 shown]
	v_lshrrev_b32_e32 v84, 16, v94
	v_cndmask_b32_e64 v66, v66, v97, s19
	v_cndmask_b32_e64 v90, v86, v97, s28
	;; [unrolled: 1-line block ×4, first 2 shown]
	v_dual_cndmask_b32 v86, v87, v97 :: v_dual_cndmask_b32 v87, v88, v84
	v_cndmask_b32_e64 v91, v69, v84, s16
	s_delay_alu instid0(VALU_DEP_4) | instskip(NEXT) | instid1(VALU_DEP_4)
	v_cndmask_b32_e64 v89, v89, v100, s23
	v_cndmask_b32_e64 v85, v85, v100, s15
	v_perm_b32 v69, v102, v101, 0x5040100
	v_perm_b32 v86, v87, v86, 0x5040100
	;; [unrolled: 1-line block ×3, first 2 shown]
	v_cndmask_b32_e64 v89, v89, v94, s25
	v_cndmask_b32_e64 v85, v85, v94, s17
	s_mul_i32 s9, s37, 5
	s_delay_alu instid0(VALU_DEP_2) | instskip(NEXT) | instid1(VALU_DEP_2)
	v_cndmask_b32_e64 v88, v89, v84, s28
	v_cndmask_b32_e64 v89, v85, v84, s19
	s_delay_alu instid0(VALU_DEP_2) | instskip(NEXT) | instid1(VALU_DEP_2)
	v_perm_b32 v85, v88, v90, 0x5040100
	v_perm_b32 v84, v89, v66, 0x5040100
	ds_store_b128 v76, v[69:72]
	ds_store_b128 v76, v[83:86] offset:1024
	v_cmpx_gt_u32_e32 5, v0
	s_cbranch_execz .LBB1390_78
; %bb.77:
	s_mul_i32 s5, s9, s34
	s_load_b128 s[16:19], s[0:1], 0x58
	v_add3_u32 v69, s5, s31, v65
	s_delay_alu instid0(VALU_DEP_1) | instskip(NEXT) | instid1(VALU_DEP_1)
	v_mad_u64_u32 v[65:66], null, v69, s36, s[14:15]
	v_ashrrev_i32_e32 v66, 31, v65
	s_delay_alu instid0(VALU_DEP_1) | instskip(SKIP_1) | instid1(VALU_DEP_1)
	v_lshlrev_b64 v[65:66], 2, v[65:66]
	s_waitcnt lgkmcnt(0)
	v_add_co_u32 v69, vcc_lo, s18, v65
	s_delay_alu instid0(VALU_DEP_2)
	v_add_co_ci_u32_e32 v70, vcc_lo, s19, v66, vcc_lo
	v_add_co_u32 v65, vcc_lo, s16, v65
	v_add_co_ci_u32_e32 v66, vcc_lo, s17, v66, vcc_lo
	global_store_b32 v[69:70], v67, off
	global_store_b32 v[65:66], v68, off
.LBB1390_78:
	s_or_b32 exec_lo, exec_lo, s4
	s_waitcnt lgkmcnt(0)
	s_waitcnt_vscnt null, 0x0
	s_barrier
	buffer_gl0_inv
	ds_load_b128 v[83:86], v80
	ds_load_b128 v[87:90], v80 offset:16
	ds_load_b128 v[95:98], v80 offset:2064
	;; [unrolled: 1-line block ×3, first 2 shown]
	v_mov_b32_e32 v65, 0
	ds_load_b128 v[103:106], v80 offset:4112
	ds_load_b128 v[99:102], v80 offset:4096
	;; [unrolled: 1-line block ×4, first 2 shown]
	v_mov_b32_e32 v66, v65
	v_mov_b32_e32 v67, v65
	;; [unrolled: 1-line block ×7, first 2 shown]
	s_waitcnt lgkmcnt(6)
	s_delay_alu instid0(VALU_DEP_1)
	v_wmma_f32_16x16x16_bf16 v[65:72], v[57:64], v[83:90], v[65:72]
	ds_load_b128 v[61:64], v80 offset:8208
	ds_load_b128 v[57:60], v80 offset:8192
	s_waitcnt lgkmcnt(6)
	v_wmma_f32_16x16x16_bf16 v[65:72], v[41:48], v[91:98], v[65:72]
	ds_load_b128 v[45:48], v80 offset:10256
	ds_load_b128 v[41:44], v80 offset:10240
	s_waitcnt lgkmcnt(6)
	;; [unrolled: 4-line block ×4, first 2 shown]
	v_wmma_f32_16x16x16_bf16 v[65:72], v[1:8], v[57:64], v[65:72]
	s_waitcnt lgkmcnt(4)
	s_delay_alu instid0(VALU_DEP_1) | instskip(SKIP_1) | instid1(VALU_DEP_1)
	v_wmma_f32_16x16x16_bf16 v[65:72], v[9:16], v[41:48], v[65:72]
	s_waitcnt lgkmcnt(2)
	v_wmma_f32_16x16x16_bf16 v[65:72], v[17:24], v[33:40], v[65:72]
	s_waitcnt lgkmcnt(0)
	s_delay_alu instid0(VALU_DEP_1) | instskip(NEXT) | instid1(VALU_DEP_1)
	v_wmma_f32_16x16x16_bf16 v[65:72], v[49:56], v[25:32], v[65:72]
	v_and_b32_e32 v1, 0x7f800000, v65
	s_delay_alu instid0(VALU_DEP_1) | instskip(SKIP_1) | instid1(SALU_CYCLE_1)
	v_cmp_ne_u32_e32 vcc_lo, 0x7f800000, v1
                                        ; implicit-def: $vgpr1
	s_and_saveexec_b32 s4, vcc_lo
	s_xor_b32 s4, exec_lo, s4
; %bb.79:
	v_bfe_u32 v1, v65, 16, 1
	s_delay_alu instid0(VALU_DEP_1)
	v_add3_u32 v1, v65, v1, 0x7fff
; %bb.80:
	s_and_not1_saveexec_b32 s4, s4
; %bb.81:
	v_and_b32_e32 v1, 0xffff, v65
	v_or_b32_e32 v2, 0x10000, v65
	s_delay_alu instid0(VALU_DEP_2) | instskip(NEXT) | instid1(VALU_DEP_2)
	v_cmp_eq_u32_e32 vcc_lo, 0, v1
	v_cndmask_b32_e32 v1, v2, v65, vcc_lo
; %bb.82:
	s_or_b32 exec_lo, exec_lo, s4
	v_and_b32_e32 v2, 0x7f800000, v66
	s_delay_alu instid0(VALU_DEP_1) | instskip(SKIP_1) | instid1(SALU_CYCLE_1)
	v_cmp_ne_u32_e32 vcc_lo, 0x7f800000, v2
                                        ; implicit-def: $vgpr2
	s_and_saveexec_b32 s4, vcc_lo
	s_xor_b32 s4, exec_lo, s4
; %bb.83:
	v_bfe_u32 v2, v66, 16, 1
	s_delay_alu instid0(VALU_DEP_1)
	v_add3_u32 v2, v66, v2, 0x7fff
; %bb.84:
	s_and_not1_saveexec_b32 s4, s4
; %bb.85:
	v_and_b32_e32 v2, 0xffff, v66
	v_or_b32_e32 v3, 0x10000, v66
	s_delay_alu instid0(VALU_DEP_2) | instskip(NEXT) | instid1(VALU_DEP_2)
	v_cmp_eq_u32_e32 vcc_lo, 0, v2
	v_cndmask_b32_e32 v2, v3, v66, vcc_lo
; %bb.86:
	s_or_b32 exec_lo, exec_lo, s4
	v_and_b32_e32 v3, 0x7f800000, v67
	s_delay_alu instid0(VALU_DEP_1) | instskip(SKIP_1) | instid1(SALU_CYCLE_1)
	v_cmp_ne_u32_e32 vcc_lo, 0x7f800000, v3
                                        ; implicit-def: $vgpr3
	s_and_saveexec_b32 s4, vcc_lo
	s_xor_b32 s4, exec_lo, s4
; %bb.87:
	v_bfe_u32 v3, v67, 16, 1
	s_delay_alu instid0(VALU_DEP_1)
	v_add3_u32 v3, v67, v3, 0x7fff
; %bb.88:
	s_and_not1_saveexec_b32 s4, s4
; %bb.89:
	v_and_b32_e32 v3, 0xffff, v67
	v_or_b32_e32 v4, 0x10000, v67
	s_delay_alu instid0(VALU_DEP_2) | instskip(NEXT) | instid1(VALU_DEP_2)
	v_cmp_eq_u32_e32 vcc_lo, 0, v3
	v_cndmask_b32_e32 v3, v4, v67, vcc_lo
; %bb.90:
	s_or_b32 exec_lo, exec_lo, s4
	v_and_b32_e32 v4, 0x7f800000, v68
	s_delay_alu instid0(VALU_DEP_1) | instskip(SKIP_1) | instid1(SALU_CYCLE_1)
	v_cmp_ne_u32_e32 vcc_lo, 0x7f800000, v4
                                        ; implicit-def: $vgpr4
	s_and_saveexec_b32 s4, vcc_lo
	s_xor_b32 s4, exec_lo, s4
; %bb.91:
	v_bfe_u32 v4, v68, 16, 1
	s_delay_alu instid0(VALU_DEP_1)
	v_add3_u32 v4, v68, v4, 0x7fff
; %bb.92:
	s_and_not1_saveexec_b32 s4, s4
; %bb.93:
	v_and_b32_e32 v4, 0xffff, v68
	v_or_b32_e32 v5, 0x10000, v68
	s_delay_alu instid0(VALU_DEP_2) | instskip(NEXT) | instid1(VALU_DEP_2)
	v_cmp_eq_u32_e32 vcc_lo, 0, v4
	v_cndmask_b32_e32 v4, v5, v68, vcc_lo
; %bb.94:
	s_or_b32 exec_lo, exec_lo, s4
	v_and_b32_e32 v5, 0x7f800000, v69
	s_delay_alu instid0(VALU_DEP_1) | instskip(SKIP_1) | instid1(SALU_CYCLE_1)
	v_cmp_ne_u32_e32 vcc_lo, 0x7f800000, v5
                                        ; implicit-def: $vgpr5
	s_and_saveexec_b32 s4, vcc_lo
	s_xor_b32 s4, exec_lo, s4
; %bb.95:
	v_bfe_u32 v5, v69, 16, 1
	s_delay_alu instid0(VALU_DEP_1)
	v_add3_u32 v5, v69, v5, 0x7fff
; %bb.96:
	s_and_not1_saveexec_b32 s4, s4
; %bb.97:
	v_and_b32_e32 v5, 0xffff, v69
	v_or_b32_e32 v6, 0x10000, v69
	s_delay_alu instid0(VALU_DEP_2) | instskip(NEXT) | instid1(VALU_DEP_2)
	v_cmp_eq_u32_e32 vcc_lo, 0, v5
	v_cndmask_b32_e32 v5, v6, v69, vcc_lo
; %bb.98:
	s_or_b32 exec_lo, exec_lo, s4
	v_and_b32_e32 v6, 0x7f800000, v70
	s_delay_alu instid0(VALU_DEP_1) | instskip(SKIP_1) | instid1(SALU_CYCLE_1)
	v_cmp_ne_u32_e32 vcc_lo, 0x7f800000, v6
                                        ; implicit-def: $vgpr6
	s_and_saveexec_b32 s4, vcc_lo
	s_xor_b32 s4, exec_lo, s4
; %bb.99:
	v_bfe_u32 v6, v70, 16, 1
	s_delay_alu instid0(VALU_DEP_1)
	v_add3_u32 v6, v70, v6, 0x7fff
; %bb.100:
	s_and_not1_saveexec_b32 s4, s4
; %bb.101:
	v_and_b32_e32 v6, 0xffff, v70
	v_or_b32_e32 v7, 0x10000, v70
	s_delay_alu instid0(VALU_DEP_2) | instskip(NEXT) | instid1(VALU_DEP_2)
	v_cmp_eq_u32_e32 vcc_lo, 0, v6
	v_cndmask_b32_e32 v6, v7, v70, vcc_lo
; %bb.102:
	s_or_b32 exec_lo, exec_lo, s4
	v_and_b32_e32 v7, 0x7f800000, v71
	s_delay_alu instid0(VALU_DEP_1) | instskip(SKIP_1) | instid1(SALU_CYCLE_1)
	v_cmp_ne_u32_e32 vcc_lo, 0x7f800000, v7
                                        ; implicit-def: $vgpr7
	s_and_saveexec_b32 s4, vcc_lo
	s_xor_b32 s4, exec_lo, s4
; %bb.103:
	v_bfe_u32 v7, v71, 16, 1
	s_delay_alu instid0(VALU_DEP_1)
	v_add3_u32 v7, v71, v7, 0x7fff
; %bb.104:
	s_and_not1_saveexec_b32 s4, s4
; %bb.105:
	v_and_b32_e32 v7, 0xffff, v71
	v_or_b32_e32 v8, 0x10000, v71
	s_delay_alu instid0(VALU_DEP_2) | instskip(NEXT) | instid1(VALU_DEP_2)
	v_cmp_eq_u32_e32 vcc_lo, 0, v7
	v_cndmask_b32_e32 v7, v8, v71, vcc_lo
; %bb.106:
	s_or_b32 exec_lo, exec_lo, s4
	v_and_b32_e32 v8, 0x7f800000, v72
	s_delay_alu instid0(VALU_DEP_1) | instskip(SKIP_1) | instid1(SALU_CYCLE_1)
	v_cmp_ne_u32_e32 vcc_lo, 0x7f800000, v8
                                        ; implicit-def: $vgpr8
	s_and_saveexec_b32 s4, vcc_lo
	s_xor_b32 s4, exec_lo, s4
; %bb.107:
	v_bfe_u32 v8, v72, 16, 1
	s_delay_alu instid0(VALU_DEP_1)
	v_add3_u32 v8, v72, v8, 0x7fff
                                        ; implicit-def: $vgpr65_vgpr66_vgpr67_vgpr68_vgpr69_vgpr70_vgpr71_vgpr72
; %bb.108:
	s_and_not1_saveexec_b32 s4, s4
; %bb.109:
	v_and_b32_e32 v8, 0xffff, v72
	v_or_b32_e32 v9, 0x10000, v72
	s_delay_alu instid0(VALU_DEP_2) | instskip(NEXT) | instid1(VALU_DEP_2)
	v_cmp_eq_u32_e32 vcc_lo, 0, v8
	v_cndmask_b32_e32 v8, v9, v72, vcc_lo
; %bb.110:
	s_or_b32 exec_lo, exec_lo, s4
	s_delay_alu instid0(VALU_DEP_1)
	v_perm_b32 v7, v8, v7, 0x7060302
	v_perm_b32 v6, v6, v5, 0x7060302
	v_perm_b32 v5, v4, v3, 0x7060302
	v_perm_b32 v4, v2, v1, 0x7060302
	s_barrier
	buffer_gl0_inv
	v_cmp_eq_u32_e32 vcc_lo, 1, v78
	ds_store_b128 v76, v[4:7]
	s_waitcnt lgkmcnt(0)
	s_barrier
	buffer_gl0_inv
	ds_load_b128 v[1:4], v82
	ds_load_b128 v[5:8], v82 offset:16
	v_cmp_eq_u32_e64 s4, 1, v79
	v_cmp_eq_u32_e64 s5, 2, v78
	;; [unrolled: 1-line block ×5, first 2 shown]
	s_waitcnt lgkmcnt(1)
	v_lshrrev_b32_e32 v9, 16, v1
	s_waitcnt lgkmcnt(0)
	v_lshrrev_b32_e32 v13, 16, v5
	v_lshrrev_b32_e32 v10, 16, v2
	;; [unrolled: 1-line block ×4, first 2 shown]
	v_cndmask_b32_e64 v19, v1, v9, s4
	v_cndmask_b32_e32 v18, v5, v13, vcc_lo
	v_cndmask_b32_e64 v20, v5, v13, s4
	v_cndmask_b32_e32 v17, v1, v9, vcc_lo
	v_cmp_eq_u32_e32 vcc_lo, 2, v79
	v_lshrrev_b32_e32 v15, 16, v7
	v_cmp_eq_u32_e64 s4, 1, v77
	v_lshrrev_b32_e32 v12, 16, v4
	v_lshrrev_b32_e32 v16, 16, v8
	v_cndmask_b32_e32 v20, v20, v6, vcc_lo
	v_cndmask_b32_e64 v17, v17, v2, s5
	v_cndmask_b32_e32 v19, v19, v2, vcc_lo
	v_cndmask_b32_e64 v18, v18, v6, s5
	v_cmp_eq_u32_e32 vcc_lo, 4, v78
	v_cmp_eq_u32_e64 s5, 3, v79
	v_cndmask_b32_e64 v17, v17, v10, s6
	v_cndmask_b32_e64 v21, v1, v9, s4
	;; [unrolled: 1-line block ×5, first 2 shown]
	v_cndmask_b32_e32 v17, v17, v3, vcc_lo
	v_cndmask_b32_e64 v20, v20, v14, s5
	v_cndmask_b32_e32 v18, v18, v7, vcc_lo
	v_cmp_eq_u32_e32 vcc_lo, 4, v79
	v_cmp_eq_u32_e64 s5, 5, v79
	v_cmp_eq_u32_e64 s4, 2, v81
	v_cndmask_b32_e64 v21, v21, v2, s8
	v_cmp_eq_u32_e64 s6, 5, v78
	v_cndmask_b32_e32 v19, v19, v3, vcc_lo
	v_cndmask_b32_e32 v20, v20, v7, vcc_lo
	v_cmp_eq_u32_e32 vcc_lo, 6, v79
	s_delay_alu instid0(VALU_DEP_4) | instskip(NEXT) | instid1(VALU_DEP_4)
	v_cndmask_b32_e64 v17, v17, v11, s6
	v_cndmask_b32_e64 v19, v19, v11, s5
	s_delay_alu instid0(VALU_DEP_4) | instskip(SKIP_1) | instid1(VALU_DEP_3)
	v_cndmask_b32_e64 v20, v20, v15, s5
	v_cmp_eq_u32_e64 s5, 1, v81
	v_cndmask_b32_e32 v19, v19, v4, vcc_lo
	v_cndmask_b32_e64 v18, v18, v15, s6
	s_delay_alu instid0(VALU_DEP_3)
	v_cndmask_b32_e64 v1, v1, v9, s5
	v_cndmask_b32_e64 v5, v5, v13, s5
	v_cmp_eq_u32_e64 s5, 3, v77
	v_cndmask_b32_e64 v13, v22, v6, s8
	v_cmp_eq_u32_e64 s8, 3, v81
	v_cndmask_b32_e64 v1, v1, v2, s4
	v_cndmask_b32_e64 v2, v5, v6, s4
	;; [unrolled: 1-line block ×3, first 2 shown]
	v_cmp_eq_u32_e64 s4, 4, v77
	v_cndmask_b32_e64 v6, v13, v14, s5
	v_cndmask_b32_e64 v1, v1, v10, s8
	v_cmp_eq_u32_e64 s5, 4, v81
	v_cndmask_b32_e64 v2, v2, v14, s8
	v_cndmask_b32_e64 v5, v9, v3, s4
	;; [unrolled: 3-line block ×3, first 2 shown]
	v_cndmask_b32_e64 v2, v2, v7, s5
	v_cmp_eq_u32_e64 s4, 5, v81
	v_cmp_eq_u32_e64 s6, 6, v78
	v_cndmask_b32_e64 v5, v5, v11, s8
	v_cmp_eq_u32_e64 s5, 6, v77
	v_cndmask_b32_e64 v3, v6, v15, s8
	v_cndmask_b32_e64 v1, v1, v11, s4
	v_cmp_eq_u32_e64 s8, 6, v81
	v_cndmask_b32_e64 v2, v2, v15, s4
	v_cndmask_b32_e64 v17, v17, v4, s6
	v_cndmask_b32_e64 v18, v18, v8, s6
	v_cmp_eq_u32_e64 s6, 7, v78
	v_cndmask_b32_e64 v5, v5, v4, s5
	;; [unrolled: 4-line block ×3, first 2 shown]
	v_cmp_eq_u32_e64 s5, 7, v77
	v_cndmask_b32_e32 v4, v20, v8, vcc_lo
	v_cndmask_b32_e64 v17, v17, v12, s6
	v_cndmask_b32_e64 v19, v19, v12, s7
	;; [unrolled: 1-line block ×8, first 2 shown]
	v_cmp_gt_u32_e32 vcc_lo, 32, v0
	v_perm_b32 v4, v2, v1, 0x5040100
	v_perm_b32 v3, v3, v5, 0x5040100
	;; [unrolled: 1-line block ×4, first 2 shown]
	s_and_b32 s2, vcc_lo, s2
	ds_store_b128 v76, v[1:4]
	s_waitcnt lgkmcnt(0)
	s_barrier
	buffer_gl0_inv
	s_and_saveexec_b32 s4, s2
	s_cbranch_execz .LBB1390_2
; %bb.111:
	s_load_b64 s[4:5], s[0:1], 0x68
	v_lshlrev_b32_e32 v0, 10, v0
	v_add_nc_u32_e32 v2, s31, v74
	v_lshlrev_b32_e32 v3, 4, v75
	s_lshl_b32 s0, s36, 6
	s_delay_alu instid0(SALU_CYCLE_1) | instskip(NEXT) | instid1(VALU_DEP_2)
	s_mul_i32 s1, s0, s34
	v_mul_lo_u32 v1, v2, s0
	s_delay_alu instid0(VALU_DEP_2) | instskip(SKIP_2) | instid1(SALU_CYCLE_1)
	v_and_or_b32 v0, 0x3800, v0, v3
	v_add_nc_u32_e32 v2, 2, v2
	s_mul_i32 s6, s1, s9
	s_ashr_i32 s7, s6, 31
	s_delay_alu instid0(VALU_DEP_2)
	v_lshl_or_b32 v7, v74, 6, v0
	s_lshl_b64 s[6:7], s[6:7], 1
	v_mul_lo_u32 v11, v2, s0
	v_ashrrev_i32_e32 v2, 31, v1
	ds_load_b128 v[3:6], v7
	ds_load_b128 v[7:10], v7 offset:128
	s_waitcnt lgkmcnt(0)
	s_add_u32 s1, s4, s6
	s_addc_u32 s2, s5, s7
	s_lshl_b32 s4, s14, 6
	v_ashrrev_i32_e32 v12, 31, v11
	s_ashr_i32 s5, s4, 31
	v_lshlrev_b64 v[13:14], 1, v[1:2]
	s_lshl_b64 s[4:5], s[4:5], 1
	s_delay_alu instid0(SALU_CYCLE_1) | instskip(SKIP_2) | instid1(VALU_DEP_1)
	s_add_u32 s1, s1, s4
	s_addc_u32 s2, s2, s5
	v_add_co_u32 v1, s1, s1, v73
	v_add_co_ci_u32_e64 v2, null, s2, 0, s1
	v_lshlrev_b64 v[11:12], 1, v[11:12]
	s_delay_alu instid0(VALU_DEP_3) | instskip(NEXT) | instid1(VALU_DEP_3)
	v_add_co_u32 v13, vcc_lo, v1, v13
	v_add_co_ci_u32_e32 v14, vcc_lo, v2, v14, vcc_lo
	s_delay_alu instid0(VALU_DEP_3) | instskip(NEXT) | instid1(VALU_DEP_4)
	v_add_co_u32 v11, vcc_lo, v1, v11
	v_add_co_ci_u32_e32 v12, vcc_lo, v2, v12, vcc_lo
	s_clause 0x1
	global_store_b128 v[13:14], v[3:6], off
	global_store_b128 v[11:12], v[7:10], off
	s_and_b32 exec_lo, exec_lo, s3
	s_cbranch_execz .LBB1390_2
; %bb.112:
	ds_load_b128 v[3:6], v0 offset:256
	s_add_i32 s1, s31, 4
	s_delay_alu instid0(SALU_CYCLE_1) | instskip(NEXT) | instid1(SALU_CYCLE_1)
	s_mul_i32 s0, s1, s0
	s_ashr_i32 s1, s0, 31
	s_delay_alu instid0(SALU_CYCLE_1) | instskip(NEXT) | instid1(SALU_CYCLE_1)
	s_lshl_b64 s[0:1], s[0:1], 1
	v_add_co_u32 v0, vcc_lo, v1, s0
	v_add_co_ci_u32_e32 v1, vcc_lo, s1, v2, vcc_lo
	s_waitcnt lgkmcnt(0)
	global_store_b128 v[0:1], v[3:6], off
	s_nop 0
	s_sendmsg sendmsg(MSG_DEALLOC_VGPRS)
	s_endpgm
	.section	.rodata,"a",@progbits
	.p2align	6, 0x0
	.amdhsa_kernel _Z39paged_attention_ll4mi_QKV_mfma16_kernelI14__hip_bfloat16hLN4vllm18Fp8KVCacheDataTypeE1ES0_Li16ELi64ELi256ELb1ELi5EL8MFMAType1EEvPKT_PKT0_S9_ifPKiSB_SB_iPKfiiiPfSE_PS4_PT2_iSD_SD_
		.amdhsa_group_segment_fixed_size 17472
		.amdhsa_private_segment_fixed_size 0
		.amdhsa_kernarg_size 400
		.amdhsa_user_sgpr_count 13
		.amdhsa_user_sgpr_dispatch_ptr 0
		.amdhsa_user_sgpr_queue_ptr 0
		.amdhsa_user_sgpr_kernarg_segment_ptr 1
		.amdhsa_user_sgpr_dispatch_id 0
		.amdhsa_user_sgpr_private_segment_size 0
		.amdhsa_wavefront_size32 1
		.amdhsa_uses_dynamic_stack 0
		.amdhsa_enable_private_segment 0
		.amdhsa_system_sgpr_workgroup_id_x 1
		.amdhsa_system_sgpr_workgroup_id_y 1
		.amdhsa_system_sgpr_workgroup_id_z 1
		.amdhsa_system_sgpr_workgroup_info 0
		.amdhsa_system_vgpr_workitem_id 0
		.amdhsa_next_free_vgpr 124
		.amdhsa_next_free_sgpr 40
		.amdhsa_reserve_vcc 1
		.amdhsa_float_round_mode_32 0
		.amdhsa_float_round_mode_16_64 0
		.amdhsa_float_denorm_mode_32 3
		.amdhsa_float_denorm_mode_16_64 3
		.amdhsa_dx10_clamp 1
		.amdhsa_ieee_mode 1
		.amdhsa_fp16_overflow 0
		.amdhsa_workgroup_processor_mode 1
		.amdhsa_memory_ordered 1
		.amdhsa_forward_progress 0
		.amdhsa_shared_vgpr_count 0
		.amdhsa_exception_fp_ieee_invalid_op 0
		.amdhsa_exception_fp_denorm_src 0
		.amdhsa_exception_fp_ieee_div_zero 0
		.amdhsa_exception_fp_ieee_overflow 0
		.amdhsa_exception_fp_ieee_underflow 0
		.amdhsa_exception_fp_ieee_inexact 0
		.amdhsa_exception_int_div_zero 0
	.end_amdhsa_kernel
	.section	.text._Z39paged_attention_ll4mi_QKV_mfma16_kernelI14__hip_bfloat16hLN4vllm18Fp8KVCacheDataTypeE1ES0_Li16ELi64ELi256ELb1ELi5EL8MFMAType1EEvPKT_PKT0_S9_ifPKiSB_SB_iPKfiiiPfSE_PS4_PT2_iSD_SD_,"axG",@progbits,_Z39paged_attention_ll4mi_QKV_mfma16_kernelI14__hip_bfloat16hLN4vllm18Fp8KVCacheDataTypeE1ES0_Li16ELi64ELi256ELb1ELi5EL8MFMAType1EEvPKT_PKT0_S9_ifPKiSB_SB_iPKfiiiPfSE_PS4_PT2_iSD_SD_,comdat
.Lfunc_end1390:
	.size	_Z39paged_attention_ll4mi_QKV_mfma16_kernelI14__hip_bfloat16hLN4vllm18Fp8KVCacheDataTypeE1ES0_Li16ELi64ELi256ELb1ELi5EL8MFMAType1EEvPKT_PKT0_S9_ifPKiSB_SB_iPKfiiiPfSE_PS4_PT2_iSD_SD_, .Lfunc_end1390-_Z39paged_attention_ll4mi_QKV_mfma16_kernelI14__hip_bfloat16hLN4vllm18Fp8KVCacheDataTypeE1ES0_Li16ELi64ELi256ELb1ELi5EL8MFMAType1EEvPKT_PKT0_S9_ifPKiSB_SB_iPKfiiiPfSE_PS4_PT2_iSD_SD_
                                        ; -- End function
	.section	.AMDGPU.csdata,"",@progbits
; Kernel info:
; codeLenInByte = 8756
; NumSgprs: 42
; NumVgprs: 124
; ScratchSize: 0
; MemoryBound: 0
; FloatMode: 240
; IeeeMode: 1
; LDSByteSize: 17472 bytes/workgroup (compile time only)
; SGPRBlocks: 5
; VGPRBlocks: 15
; NumSGPRsForWavesPerEU: 42
; NumVGPRsForWavesPerEU: 124
; Occupancy: 10
; WaveLimiterHint : 1
; COMPUTE_PGM_RSRC2:SCRATCH_EN: 0
; COMPUTE_PGM_RSRC2:USER_SGPR: 13
; COMPUTE_PGM_RSRC2:TRAP_HANDLER: 0
; COMPUTE_PGM_RSRC2:TGID_X_EN: 1
; COMPUTE_PGM_RSRC2:TGID_Y_EN: 1
; COMPUTE_PGM_RSRC2:TGID_Z_EN: 1
; COMPUTE_PGM_RSRC2:TIDIG_COMP_CNT: 0
	.section	.text._Z39paged_attention_ll4mi_QKV_mfma16_kernelI14__hip_bfloat16hLN4vllm18Fp8KVCacheDataTypeE1ES0_Li16ELi64ELi256ELb1ELi6EL8MFMAType1EEvPKT_PKT0_S9_ifPKiSB_SB_iPKfiiiPfSE_PS4_PT2_iSD_SD_,"axG",@progbits,_Z39paged_attention_ll4mi_QKV_mfma16_kernelI14__hip_bfloat16hLN4vllm18Fp8KVCacheDataTypeE1ES0_Li16ELi64ELi256ELb1ELi6EL8MFMAType1EEvPKT_PKT0_S9_ifPKiSB_SB_iPKfiiiPfSE_PS4_PT2_iSD_SD_,comdat
	.protected	_Z39paged_attention_ll4mi_QKV_mfma16_kernelI14__hip_bfloat16hLN4vllm18Fp8KVCacheDataTypeE1ES0_Li16ELi64ELi256ELb1ELi6EL8MFMAType1EEvPKT_PKT0_S9_ifPKiSB_SB_iPKfiiiPfSE_PS4_PT2_iSD_SD_ ; -- Begin function _Z39paged_attention_ll4mi_QKV_mfma16_kernelI14__hip_bfloat16hLN4vllm18Fp8KVCacheDataTypeE1ES0_Li16ELi64ELi256ELb1ELi6EL8MFMAType1EEvPKT_PKT0_S9_ifPKiSB_SB_iPKfiiiPfSE_PS4_PT2_iSD_SD_
	.globl	_Z39paged_attention_ll4mi_QKV_mfma16_kernelI14__hip_bfloat16hLN4vllm18Fp8KVCacheDataTypeE1ES0_Li16ELi64ELi256ELb1ELi6EL8MFMAType1EEvPKT_PKT0_S9_ifPKiSB_SB_iPKfiiiPfSE_PS4_PT2_iSD_SD_
	.p2align	8
	.type	_Z39paged_attention_ll4mi_QKV_mfma16_kernelI14__hip_bfloat16hLN4vllm18Fp8KVCacheDataTypeE1ES0_Li16ELi64ELi256ELb1ELi6EL8MFMAType1EEvPKT_PKT0_S9_ifPKiSB_SB_iPKfiiiPfSE_PS4_PT2_iSD_SD_,@function
_Z39paged_attention_ll4mi_QKV_mfma16_kernelI14__hip_bfloat16hLN4vllm18Fp8KVCacheDataTypeE1ES0_Li16ELi64ELi256ELb1ELi6EL8MFMAType1EEvPKT_PKT0_S9_ifPKiSB_SB_iPKfiiiPfSE_PS4_PT2_iSD_SD_: ; @_Z39paged_attention_ll4mi_QKV_mfma16_kernelI14__hip_bfloat16hLN4vllm18Fp8KVCacheDataTypeE1ES0_Li16ELi64ELi256ELb1ELi6EL8MFMAType1EEvPKT_PKT0_S9_ifPKiSB_SB_iPKfiiiPfSE_PS4_PT2_iSD_SD_
; %bb.0:
	s_load_b64 s[2:3], s[0:1], 0x30
	s_mov_b32 s30, s13
	s_waitcnt lgkmcnt(0)
	s_cmp_lg_u64 s[2:3], 0
	s_cselect_b32 s8, -1, 0
	s_ashr_i32 s31, s13, 31
	s_cmp_eq_u64 s[2:3], 0
	s_cbranch_scc1 .LBB1391_3
; %bb.1:
	s_lshl_b64 s[4:5], s[30:31], 2
	s_delay_alu instid0(SALU_CYCLE_1) | instskip(SKIP_4) | instid1(SALU_CYCLE_1)
	s_add_u32 s4, s2, s4
	s_addc_u32 s5, s3, s5
	s_load_b64 s[4:5], s[4:5], 0x0
	s_waitcnt lgkmcnt(0)
	s_sub_i32 s4, s5, s4
	s_cmp_eq_u32 s4, 1
	s_cselect_b32 s4, -1, 0
	s_delay_alu instid0(SALU_CYCLE_1)
	s_and_not1_b32 vcc_lo, exec_lo, s4
	s_cbranch_vccz .LBB1391_4
.LBB1391_2:
	s_endpgm
.LBB1391_3:
.LBB1391_4:
	s_load_b64 s[4:5], s[0:1], 0x28
	s_lshl_b64 s[6:7], s[30:31], 2
	s_waitcnt lgkmcnt(0)
	s_add_u32 s4, s4, s6
	s_addc_u32 s5, s5, s7
	s_lshl_b32 s12, s14, 8
	s_load_b32 s24, s[4:5], 0x0
	s_waitcnt lgkmcnt(0)
	s_cmp_ge_i32 s12, s24
	s_cbranch_scc1 .LBB1391_2
; %bb.5:
	s_clause 0x1
	s_load_b128 s[20:23], s[0:1], 0x8
	s_load_b64 s[4:5], s[0:1], 0x20
	s_and_not1_b32 vcc_lo, exec_lo, s8
	s_cbranch_vccnz .LBB1391_7
; %bb.6:
	s_add_u32 s2, s2, s6
	s_addc_u32 s3, s3, s7
	s_load_b32 s3, s[2:3], 0x0
	s_branch .LBB1391_8
.LBB1391_7:
	s_mov_b32 s3, s30
.LBB1391_8:
	s_load_b128 s[16:19], s[0:1], 0x48
	v_and_b32_e32 v65, 15, v0
	v_cmp_gt_u32_e32 vcc_lo, 0x60, v0
	v_lshrrev_b32_e32 v66, 5, v0
	v_and_b32_e32 v67, 31, v0
	v_and_b32_e32 v75, 1, v0
	v_lshlrev_b32_e32 v1, 3, v65
	v_cmp_gt_u32_e64 s2, 8, v65
	v_bfe_u32 v74, v0, 4, 1
	s_mul_i32 s31, s15, 6
	s_delay_alu instid0(VALU_DEP_3) | instskip(NEXT) | instid1(VALU_DEP_3)
	v_lshlrev_b32_e32 v73, 1, v1
	s_and_b32 s7, vcc_lo, s2
	s_delay_alu instid0(SALU_CYCLE_1)
	s_and_saveexec_b32 s6, s7
	s_cbranch_execz .LBB1391_10
; %bb.9:
	s_load_b64 s[8:9], s[0:1], 0x0
	v_lshl_or_b32 v5, v66, 1, v74
	s_waitcnt lgkmcnt(0)
	s_mul_hi_i32 s11, s3, s16
	s_mul_i32 s10, s3, s16
	v_lshlrev_b32_e32 v6, 10, v65
	s_lshl_b64 s[10:11], s[10:11], 1
	v_add_lshl_u32 v1, v5, s31, 6
	v_lshlrev_b32_e32 v5, 6, v5
	v_lshlrev_b32_e32 v7, 10, v75
	v_and_b32_e32 v6, 0x3800, v6
	s_delay_alu instid0(VALU_DEP_4) | instskip(NEXT) | instid1(VALU_DEP_2)
	v_ashrrev_i32_e32 v2, 31, v1
	v_or3_b32 v5, v6, v7, v5
	s_delay_alu instid0(VALU_DEP_2) | instskip(SKIP_2) | instid1(VALU_DEP_1)
	v_lshlrev_b64 v[1:2], 1, v[1:2]
	s_add_u32 s3, s8, s10
	s_addc_u32 s7, s9, s11
	v_add_co_u32 v1, vcc_lo, s3, v1
	s_delay_alu instid0(VALU_DEP_2) | instskip(NEXT) | instid1(VALU_DEP_2)
	v_add_co_ci_u32_e32 v2, vcc_lo, s7, v2, vcc_lo
	v_add_co_u32 v1, vcc_lo, v1, v73
	s_delay_alu instid0(VALU_DEP_2)
	v_add_co_ci_u32_e32 v2, vcc_lo, 0, v2, vcc_lo
	global_load_b128 v[1:4], v[1:2], off
	s_waitcnt vmcnt(0)
	ds_store_b128 v5, v[1:4]
.LBB1391_10:
	s_or_b32 exec_lo, exec_lo, s6
	v_and_b32_e32 v1, 0xef, v0
	s_waitcnt lgkmcnt(0)
	s_add_i32 s3, s24, 15
	s_clause 0x1
	s_load_b32 s6, s[0:1], 0x38
	s_load_b32 s19, s[0:1], 0x1c
	s_ashr_i32 s7, s3, 31
	v_add_nc_u32_e32 v1, s12, v1
	s_lshr_b32 s7, s7, 28
	s_waitcnt lgkmcnt(0)
	s_add_i32 s3, s3, s7
	s_barrier
	v_ashrrev_i32_e32 v2, 31, v1
	v_or_b32_e32 v3, 16, v1
	s_ashr_i32 s3, s3, 4
	v_cmp_gt_i32_e32 vcc_lo, s24, v1
	s_add_i32 s3, s3, -1
	v_lshrrev_b32_e32 v2, 28, v2
	buffer_gl0_inv
	s_mul_i32 s27, s15, s18
	v_add_nc_u32_e32 v4, v1, v2
	s_mul_i32 s6, s30, s6
	s_delay_alu instid0(SALU_CYCLE_1) | instskip(NEXT) | instid1(VALU_DEP_1)
	s_ashr_i32 s7, s6, 31
	v_ashrrev_i32_e32 v4, 4, v4
	v_add_nc_u32_e32 v2, v3, v2
	s_lshl_b64 s[6:7], s[6:7], 2
	s_delay_alu instid0(SALU_CYCLE_1) | instskip(NEXT) | instid1(VALU_DEP_2)
	s_add_u32 s26, s4, s6
	v_cndmask_b32_e32 v1, s3, v4, vcc_lo
	s_delay_alu instid0(VALU_DEP_2)
	v_ashrrev_i32_e32 v2, 4, v2
	v_cmp_gt_i32_e32 vcc_lo, s24, v3
	s_addc_u32 s25, s5, s7
	s_ashr_i32 s28, s27, 31
	s_add_u32 s13, s20, s27
	s_addc_u32 s15, s21, s28
	v_cndmask_b32_e32 v3, s3, v2, vcc_lo
	v_ashrrev_i32_e32 v2, 31, v1
	s_lshl_b32 s4, s14, 4
	s_delay_alu instid0(SALU_CYCLE_1) | instskip(NEXT) | instid1(VALU_DEP_2)
	s_ashr_i32 s5, s4, 31
	v_ashrrev_i32_e32 v4, 31, v3
	s_delay_alu instid0(VALU_DEP_2) | instskip(SKIP_1) | instid1(SALU_CYCLE_1)
	v_lshlrev_b64 v[1:2], 2, v[1:2]
	s_lshl_b64 s[4:5], s[4:5], 2
	s_add_u32 s4, s26, s4
	s_delay_alu instid0(VALU_DEP_2) | instskip(SKIP_1) | instid1(VALU_DEP_2)
	v_lshlrev_b64 v[3:4], 2, v[3:4]
	s_addc_u32 s5, s25, s5
	v_add_co_u32 v1, vcc_lo, s26, v1
	v_add_co_ci_u32_e32 v2, vcc_lo, s25, v2, vcc_lo
	s_delay_alu instid0(VALU_DEP_3) | instskip(NEXT) | instid1(VALU_DEP_4)
	v_add_co_u32 v3, vcc_lo, s26, v3
	v_add_co_ci_u32_e32 v4, vcc_lo, s25, v4, vcc_lo
	s_clause 0x1
	global_load_b32 v5, v[1:2], off
	global_load_b32 v7, v[3:4], off
	s_or_b32 s6, s12, 32
	v_lshlrev_b32_e32 v1, 4, v0
	s_ashr_i32 s7, s6, 4
	s_cmp_lt_i32 s6, s24
	s_cselect_b32 s6, s7, s3
	s_delay_alu instid0(VALU_DEP_1) | instskip(SKIP_1) | instid1(SALU_CYCLE_1)
	v_and_b32_e32 v1, 0xf0, v1
	s_ashr_i32 s7, s6, 31
	s_lshl_b64 s[6:7], s[6:7], 2
	s_delay_alu instid0(SALU_CYCLE_1)
	s_add_u32 s6, s26, s6
	s_addc_u32 s7, s25, s7
	s_or_b32 s8, s12, 64
	v_add_co_u32 v1, s13, s13, v1
	s_ashr_i32 s9, s8, 4
	s_cmp_lt_i32 s8, s24
	v_add_co_ci_u32_e64 v2, null, s15, 0, s13
	s_cselect_b32 s8, s9, s3
	s_delay_alu instid0(SALU_CYCLE_1) | instskip(NEXT) | instid1(SALU_CYCLE_1)
	s_ashr_i32 s9, s8, 31
	s_lshl_b64 s[8:9], s[8:9], 2
	s_delay_alu instid0(SALU_CYCLE_1) | instskip(SKIP_2) | instid1(SALU_CYCLE_1)
	s_add_u32 s8, s26, s8
	s_addc_u32 s9, s25, s9
	s_or_b32 s10, s12, 0x60
	s_ashr_i32 s11, s10, 4
	s_cmp_lt_i32 s10, s24
	s_cselect_b32 s10, s11, s3
	s_delay_alu instid0(SALU_CYCLE_1) | instskip(NEXT) | instid1(SALU_CYCLE_1)
	s_ashr_i32 s11, s10, 31
	s_lshl_b64 s[10:11], s[10:11], 2
	s_delay_alu instid0(SALU_CYCLE_1) | instskip(SKIP_2) | instid1(SALU_CYCLE_1)
	s_add_u32 s10, s26, s10
	s_addc_u32 s11, s25, s11
	s_or_b32 s16, s12, 0x80
	s_ashr_i32 s18, s16, 4
	s_cmp_lt_i32 s16, s24
	;; [unrolled: 10-line block ×3, first 2 shown]
	s_cselect_b32 s20, s18, s3
	s_delay_alu instid0(SALU_CYCLE_1) | instskip(NEXT) | instid1(SALU_CYCLE_1)
	s_ashr_i32 s21, s20, 31
	s_lshl_b64 s[20:21], s[20:21], 2
	s_delay_alu instid0(SALU_CYCLE_1)
	s_add_u32 s36, s26, s20
	s_addc_u32 s37, s25, s21
	s_clause 0x5
	s_load_b32 s21, s[4:5], 0x0
	s_load_b32 s13, s[6:7], 0x0
	;; [unrolled: 1-line block ×6, first 2 shown]
	s_or_b32 s9, s12, 0xc0
	s_mov_b32 s4, 0
	s_ashr_i32 s10, s9, 4
	s_cmp_lt_i32 s9, s24
	s_mov_b32 s11, s4
	s_cselect_b32 s34, s10, s3
	s_mov_b32 s5, s4
	s_ashr_i32 s35, s34, 31
	s_mov_b32 s6, s4
	s_lshl_b64 s[34:35], s[34:35], 2
	s_mov_b32 s7, s4
	s_add_u32 s34, s26, s34
	s_addc_u32 s35, s25, s35
	s_or_b32 s29, s12, 0xe0
	s_mov_b32 s8, s4
	s_ashr_i32 s33, s29, 4
	s_mov_b32 s9, s4
	s_mov_b32 s10, s4
	s_cmp_lt_i32 s29, s24
	v_dual_mov_b32 v107, s11 :: v_dual_mov_b32 v100, s4
	v_mov_b32_e32 v106, s10
	v_dual_mov_b32 v104, s8 :: v_dual_mov_b32 v103, s7
	v_dual_mov_b32 v102, s6 :: v_dual_mov_b32 v101, s5
	s_waitcnt vmcnt(1)
	v_mad_i64_i32 v[3:4], null, v5, s17, v[1:2]
	s_waitcnt vmcnt(0)
	v_mad_i64_i32 v[5:6], null, v7, s17, v[1:2]
	v_mul_lo_u16 v1, v65, 43
	v_lshlrev_b32_e32 v2, 4, v65
	s_clause 0x7
	global_load_b128 v[49:52], v[3:4], off
	global_load_b128 v[53:56], v[3:4], off offset:256
	global_load_b128 v[76:79], v[5:6], off
	global_load_b128 v[80:83], v[5:6], off offset:256
	global_load_b128 v[84:87], v[3:4], off offset:512
	;; [unrolled: 1-line block ×5, first 2 shown]
	v_lshrrev_b16 v1, 8, v1
	v_lshl_or_b32 v2, v66, 8, v2
	s_delay_alu instid0(VALU_DEP_2) | instskip(NEXT) | instid1(VALU_DEP_1)
	v_mul_lo_u16 v1, v1, 6
	v_sub_nc_u16 v1, v65, v1
	s_delay_alu instid0(VALU_DEP_1)
	v_and_b32_e32 v1, 0xff, v1
	v_mov_b32_e32 v105, s9
	s_cselect_b32 s4, s33, s3
	s_load_b32 s3, s[34:35], 0x0
	s_ashr_i32 s5, s4, 31
	v_lshlrev_b32_e32 v70, 6, v1
	s_lshl_b64 s[4:5], s[4:5], 2
	ds_load_b128 v[108:111], v70
	ds_load_b128 v[112:115], v70 offset:1024
	s_add_u32 s4, s26, s4
	s_addc_u32 s5, s25, s5
	s_add_u32 s6, s22, s27
	s_load_b32 s4, s[4:5], 0x0
	s_addc_u32 s7, s23, s28
	v_add_co_u32 v9, s6, s6, v2
	s_delay_alu instid0(VALU_DEP_1) | instskip(SKIP_1) | instid1(VALU_DEP_1)
	v_add_co_ci_u32_e64 v10, null, s7, 0, s6
	s_waitcnt lgkmcnt(0)
	v_mad_i64_i32 v[1:2], null, s21, s17, v[9:10]
	v_mad_i64_i32 v[3:4], null, s13, s17, v[9:10]
	;; [unrolled: 1-line block ×7, first 2 shown]
	s_clause 0x9
	global_load_b128 v[57:60], v[1:2], off
	global_load_b128 v[61:64], v[1:2], off offset:16
	global_load_b128 v[41:44], v[3:4], off
	global_load_b128 v[45:48], v[3:4], off offset:16
	global_load_b128 v[33:36], v[5:6], off
	global_load_b128 v[37:40], v[5:6], off offset:16
	global_load_b128 v[25:28], v[7:8], off
	global_load_b128 v[29:32], v[7:8], off offset:16
	global_load_b128 v[1:4], v[11:12], off
	global_load_b128 v[5:8], v[11:12], off offset:16
	v_mad_i64_i32 v[68:69], null, s4, s17, v[9:10]
	s_clause 0x3
	global_load_b128 v[9:12], v[13:14], off
	global_load_b128 v[13:16], v[13:14], off offset:16
	global_load_b128 v[17:20], v[21:22], off
	global_load_b128 v[21:24], v[21:22], off offset:16
	s_waitcnt vmcnt(20)
	v_wmma_f32_16x16x16_bf16 v[116:123], v[49:56], v[108:115], v[100:107]
	s_clause 0x1
	global_load_b128 v[49:52], v[68:69], off
	global_load_b128 v[53:56], v[68:69], off offset:16
	v_and_b32_e32 v68, 0xe0, v0
	v_mbcnt_lo_u32_b32 v69, -1, 0
	s_delay_alu instid0(VALU_DEP_2)
	v_add_nc_u32_e32 v68, s12, v68
	s_waitcnt vmcnt(20)
	v_wmma_f32_16x16x16_bf16 v[100:107], v[76:83], v[108:115], v[100:107]
	ds_load_b128 v[76:79], v70 offset:2048
	ds_load_b128 v[80:83], v70 offset:3072
	v_xor_b32_e32 v70, 16, v69
	s_waitcnt vmcnt(0) lgkmcnt(0)
	v_or_b32_e32 v68, v68, v74
	s_barrier
	buffer_gl0_inv
	v_cmp_gt_i32_e32 vcc_lo, 32, v70
	v_or_b32_e32 v71, 4, v68
	v_or_b32_e32 v72, 6, v68
	v_cmp_gt_i32_e64 s3, s24, v68
	v_or_b32_e32 v108, 8, v68
	v_or_b32_e32 v109, 10, v68
	v_cmp_gt_i32_e64 s4, s24, v71
	v_cmp_gt_i32_e64 s5, s24, v72
	s_delay_alu instid0(VALU_DEP_4) | instskip(NEXT) | instid1(VALU_DEP_4)
	v_cmp_gt_i32_e64 s6, s24, v108
	v_cmp_gt_i32_e64 s7, s24, v109
	v_wmma_f32_16x16x16_bf16 v[116:123], v[84:91], v[76:83], v[116:123]
	v_cndmask_b32_e32 v69, v69, v70, vcc_lo
	v_or_b32_e32 v70, 2, v68
	v_wmma_f32_16x16x16_bf16 v[100:107], v[92:99], v[76:83], v[100:107]
	v_or_b32_e32 v89, 22, v68
	v_dual_mul_f32 v80, s19, v121 :: v_dual_mul_f32 v81, s19, v120
	v_dual_mul_f32 v92, s19, v117 :: v_dual_mul_f32 v93, s19, v116
	s_delay_alu instid0(VALU_DEP_4)
	v_mul_f32_e32 v96, s19, v105
	v_cmp_gt_i32_e32 vcc_lo, s24, v70
	v_dual_mul_f32 v79, s19, v122 :: v_dual_mul_f32 v82, s19, v119
	v_dual_mul_f32 v83, s19, v118 :: v_dual_mul_f32 v94, s19, v107
	v_cndmask_b32_e64 v93, 0xff7fffff, v93, s3
	v_cndmask_b32_e32 v92, 0xff7fffff, v92, vcc_lo
	v_or_b32_e32 v84, 12, v68
	v_or_b32_e32 v85, 14, v68
	v_cndmask_b32_e64 v71, 0xff7fffff, v83, s4
	v_cndmask_b32_e64 v72, 0xff7fffff, v82, s5
	v_cmp_gt_i32_e64 s13, s24, v89
	v_lshlrev_b32_e32 v89, 2, v69
	v_max3_f32 v82, v93, 0xff7fffff, v92
	v_or_b32_e32 v86, 16, v68
	v_or_b32_e32 v87, 18, v68
	v_mul_f32_e32 v78, s19, v123
	v_cndmask_b32_e64 v81, 0xff7fffff, v81, s6
	v_cndmask_b32_e64 v80, 0xff7fffff, v80, s7
	v_max3_f32 v71, v82, v71, v72
	v_cmp_gt_i32_e64 s8, s24, v84
	v_cmp_gt_i32_e64 s9, s24, v85
	v_or_b32_e32 v88, 20, v68
	v_or_b32_e32 v90, 24, v68
	v_or_b32_e32 v91, 26, v68
	v_or_b32_e32 v76, 28, v68
	v_or_b32_e32 v77, 30, v68
	v_dual_mul_f32 v97, s19, v104 :: v_dual_mul_f32 v70, s19, v101
	v_dual_mul_f32 v99, s19, v102 :: v_dual_mul_f32 v68, s19, v100
	v_cndmask_b32_e64 v72, 0xff7fffff, v79, s8
	v_cndmask_b32_e64 v78, 0xff7fffff, v78, s9
	v_max3_f32 v71, v71, v81, v80
	v_cmp_gt_i32_e64 s10, s24, v86
	v_cmp_gt_i32_e64 s11, s24, v87
	v_dual_mul_f32 v95, s19, v106 :: v_dual_mul_f32 v98, s19, v103
	s_delay_alu instid0(VALU_DEP_4) | instskip(NEXT) | instid1(VALU_DEP_4)
	v_max3_f32 v71, v71, v72, v78
	v_cndmask_b32_e64 v68, 0xff7fffff, v68, s10
	s_delay_alu instid0(VALU_DEP_4)
	v_cndmask_b32_e64 v70, 0xff7fffff, v70, s11
	v_cmp_gt_i32_e64 s12, s24, v88
	v_cndmask_b32_e64 v78, 0xff7fffff, v98, s13
	v_cmp_gt_i32_e64 s15, s24, v90
	v_cmp_gt_i32_e64 s16, s24, v91
	v_max3_f32 v68, v71, v68, v70
	v_cndmask_b32_e64 v72, 0xff7fffff, v99, s12
	v_cmp_gt_i32_e64 s17, s24, v76
	v_cndmask_b32_e64 v70, 0xff7fffff, v97, s15
	v_cndmask_b32_e64 v71, 0xff7fffff, v96, s16
	v_cmp_gt_i32_e64 s18, s24, v77
	v_max3_f32 v68, v68, v72, v78
	v_cndmask_b32_e64 v72, 0xff7fffff, v95, s17
	s_delay_alu instid0(VALU_DEP_3) | instskip(NEXT) | instid1(VALU_DEP_3)
	v_cndmask_b32_e64 v76, 0xff7fffff, v94, s18
	v_max3_f32 v68, v68, v70, v71
	s_delay_alu instid0(VALU_DEP_1) | instskip(SKIP_3) | instid1(VALU_DEP_1)
	v_max3_f32 v68, v68, v72, v76
	ds_bpermute_b32 v69, v89, v68
	s_waitcnt lgkmcnt(0)
	v_max_f32_e32 v69, v69, v69
	v_max_f32_e32 v68, v68, v69
	s_delay_alu instid0(VALU_DEP_1) | instskip(NEXT) | instid1(VALU_DEP_1)
	v_fma_f32 v71, s19, v118, -v68
	v_mul_f32_e32 v71, 0x3fb8aa3b, v71
	v_fma_f32 v70, s19, v117, -v68
	v_fma_f32 v69, s19, v116, -v68
	;; [unrolled: 1-line block ×5, first 2 shown]
	s_delay_alu instid0(VALU_DEP_4) | instskip(SKIP_1) | instid1(VALU_DEP_3)
	v_dual_mul_f32 v70, 0x3fb8aa3b, v70 :: v_dual_mul_f32 v69, 0x3fb8aa3b, v69
	v_exp_f32_e32 v71, v71
	v_mul_f32_e32 v72, 0x3fb8aa3b, v72
	v_fma_f32 v81, s19, v105, -v68
	s_delay_alu instid0(VALU_DEP_3)
	v_exp_f32_e32 v70, v70
	v_mul_f32_e32 v77, 0x3fb8aa3b, v76
	v_exp_f32_e32 v69, v69
	v_exp_f32_e32 v72, v72
	v_mul_f32_e32 v81, 0x3fb8aa3b, v81
	v_cndmask_b32_e64 v83, 0, v71, s4
	v_fma_f32 v71, s19, v123, -v68
	s_delay_alu instid0(VALU_DEP_3) | instskip(SKIP_4) | instid1(TRANS32_DEP_3)
	v_exp_f32_e32 v81, v81
	v_cndmask_b32_e32 v76, 0, v70, vcc_lo
	v_exp_f32_e32 v77, v77
	v_cndmask_b32_e64 v80, 0, v69, s3
	v_fma_f32 v69, s19, v121, -v68
	v_cndmask_b32_e64 v85, 0, v72, s5
	v_mul_f32_e32 v71, 0x3fb8aa3b, v71
	v_fma_f32 v72, s19, v100, -v68
	s_delay_alu instid0(VALU_DEP_4) | instskip(SKIP_1) | instid1(VALU_DEP_3)
	v_dual_add_f32 v70, 0, v80 :: v_dual_mul_f32 v69, 0x3fb8aa3b, v69
	s_mov_b32 s3, exec_lo
	v_exp_f32_e32 v71, v71
	s_delay_alu instid0(TRANS32_DEP_2) | instskip(SKIP_4) | instid1(VALU_DEP_3)
	v_cndmask_b32_e64 v86, 0, v77, s6
	v_fma_f32 v77, s19, v101, -v68
	v_mul_f32_e32 v78, 0x3fb8aa3b, v78
	v_add_f32_e32 v70, v70, v76
	v_exp_f32_e32 v69, v69
	v_mul_f32_e32 v77, 0x3fb8aa3b, v77
	s_delay_alu instid0(VALU_DEP_3) | instskip(NEXT) | instid1(TRANS32_DEP_3)
	v_exp_f32_e32 v78, v78
	v_cndmask_b32_e64 v88, 0, v71, s9
	v_fma_f32 v71, s19, v104, -v68
	s_delay_alu instid0(VALU_DEP_3) | instskip(NEXT) | instid1(TRANS32_DEP_3)
	v_exp_f32_e32 v77, v77
	v_cndmask_b32_e64 v87, 0, v69, s7
	s_delay_alu instid0(VALU_DEP_2)
	v_mul_f32_e32 v71, 0x3fb8aa3b, v71
	s_waitcnt_depctr 0xfff
	v_cndmask_b32_e64 v84, 0, v78, s8
	v_add_f32_e32 v70, v70, v83
	v_fma_f32 v78, s19, v103, -v68
	v_exp_f32_e32 v82, v71
	s_delay_alu instid0(VALU_DEP_2) | instskip(SKIP_1) | instid1(VALU_DEP_3)
	v_add_f32_e32 v70, v70, v85
	v_mul_f32_e32 v72, 0x3fb8aa3b, v72
	v_mul_f32_e32 v78, 0x3fb8aa3b, v78
	s_delay_alu instid0(VALU_DEP_3) | instskip(SKIP_1) | instid1(VALU_DEP_4)
	v_add_f32_e32 v69, v70, v86
	v_fma_f32 v70, s19, v102, -v68
	v_exp_f32_e32 v72, v72
	s_delay_alu instid0(VALU_DEP_3) | instskip(NEXT) | instid1(VALU_DEP_1)
	v_exp_f32_e32 v78, v78
	v_dual_add_f32 v69, v69, v87 :: v_dual_mul_f32 v70, 0x3fb8aa3b, v70
	s_delay_alu instid0(VALU_DEP_1) | instskip(NEXT) | instid1(VALU_DEP_2)
	v_add_f32_e32 v69, v69, v84
	v_exp_f32_e32 v79, v70
	s_delay_alu instid0(TRANS32_DEP_3) | instskip(NEXT) | instid1(VALU_DEP_2)
	v_cndmask_b32_e64 v70, 0, v72, s10
	v_add_f32_e32 v72, v69, v88
	v_cndmask_b32_e64 v69, 0, v77, s11
	v_fma_f32 v77, s19, v106, -v68
	s_waitcnt_depctr 0xfff
	v_cndmask_b32_e64 v71, 0, v79, s12
	v_dual_mul_f32 v77, 0x3fb8aa3b, v77 :: v_dual_add_f32 v72, v72, v70
	s_delay_alu instid0(VALU_DEP_1) | instskip(NEXT) | instid1(VALU_DEP_1)
	v_exp_f32_e32 v90, v77
	v_add_f32_e32 v79, v72, v69
	v_cndmask_b32_e64 v72, 0, v78, s13
	v_cndmask_b32_e64 v77, 0, v82, s15
	s_delay_alu instid0(VALU_DEP_3) | instskip(SKIP_1) | instid1(VALU_DEP_1)
	v_add_f32_e32 v78, v79, v71
	v_fma_f32 v79, s19, v107, -v68
	v_dual_add_f32 v82, v78, v72 :: v_dual_mul_f32 v79, 0x3fb8aa3b, v79
	v_cndmask_b32_e64 v78, 0, v81, s16
	s_delay_alu instid0(VALU_DEP_2) | instskip(NEXT) | instid1(VALU_DEP_3)
	v_add_f32_e32 v81, v82, v77
	v_exp_f32_e32 v82, v79
	v_cndmask_b32_e64 v79, 0, v90, s17
	s_delay_alu instid0(VALU_DEP_2) | instskip(NEXT) | instid1(VALU_DEP_1)
	v_add_f32_e32 v81, v81, v78
	v_add_f32_e32 v90, v81, v79
	s_waitcnt_depctr 0xfff
	v_cndmask_b32_e64 v81, 0, v82, s18
	s_delay_alu instid0(VALU_DEP_1)
	v_add_f32_e32 v82, v90, v81
	ds_bpermute_b32 v89, v89, v82
	v_cmpx_gt_u32_e32 16, v67
	s_cbranch_execz .LBB1391_12
; %bb.11:
	v_mul_u32_u24_e32 v67, 0x44, v66
	s_delay_alu instid0(VALU_DEP_1) | instskip(SKIP_1) | instid1(VALU_DEP_1)
	v_lshl_add_u32 v67, v65, 2, v67
	s_waitcnt lgkmcnt(0)
	v_dual_add_f32 v82, v82, v89 :: v_dual_add_nc_u32 v67, 0x4000, v67
	ds_store_2addr_b32 v67, v68, v82 offset1:136
.LBB1391_12:
	s_or_b32 exec_lo, exec_lo, s3
	v_lshlrev_b32_e32 v67, 2, v65
	s_waitcnt lgkmcnt(0)
	s_barrier
	buffer_gl0_inv
	v_cmp_eq_u32_e32 vcc_lo, 1, v66
	v_add_nc_u32_e32 v82, 0x4000, v67
	v_cmp_eq_u32_e64 s3, 2, v66
	v_cmp_eq_u32_e64 s5, 7, v66
	ds_load_2addr_b32 v[89:90], v82 offset1:17
	ds_load_2addr_b32 v[91:92], v82 offset0:34 offset1:51
	ds_load_2addr_b32 v[93:94], v82 offset0:68 offset1:85
	;; [unrolled: 1-line block ×4, first 2 shown]
	s_waitcnt lgkmcnt(4)
	v_max3_f32 v67, v89, 0xff7fffff, v90
	s_waitcnt lgkmcnt(3)
	s_delay_alu instid0(VALU_DEP_1) | instskip(SKIP_1) | instid1(VALU_DEP_1)
	v_max3_f32 v67, v67, v91, v92
	s_waitcnt lgkmcnt(2)
	v_max3_f32 v67, v67, v93, v94
	s_waitcnt lgkmcnt(1)
	s_delay_alu instid0(VALU_DEP_1) | instskip(NEXT) | instid1(VALU_DEP_1)
	v_max3_f32 v67, v67, v95, v96
	v_sub_f32_e32 v93, v93, v67
	s_delay_alu instid0(VALU_DEP_1) | instskip(NEXT) | instid1(VALU_DEP_1)
	v_dual_sub_f32 v68, v89, v67 :: v_dual_mul_f32 v103, 0x3fb8aa3b, v93
	v_mul_f32_e32 v68, 0x3fb8aa3b, v68
	s_delay_alu instid0(VALU_DEP_1)
	v_exp_f32_e32 v100, v68
	v_sub_f32_e32 v68, v92, v67
	v_sub_f32_e32 v99, v90, v67
	ds_load_2addr_b32 v[89:90], v82 offset0:170 offset1:187
	v_dual_mul_f32 v102, 0x3fb8aa3b, v68 :: v_dual_mul_f32 v99, 0x3fb8aa3b, v99
	s_waitcnt lgkmcnt(1)
	v_fma_f32 v68, v100, v97, 0
	s_delay_alu instid0(VALU_DEP_2) | instskip(NEXT) | instid1(VALU_DEP_2)
	v_exp_f32_e32 v102, v102
	v_exp_f32_e32 v99, v99
	s_waitcnt_depctr 0xfff
	v_fmac_f32_e32 v68, v99, v98
	v_sub_f32_e32 v91, v91, v67
	s_delay_alu instid0(VALU_DEP_1)
	v_mul_f32_e32 v101, 0x3fb8aa3b, v91
	ds_load_2addr_b32 v[91:92], v82 offset0:204 offset1:221
	v_sub_f32_e32 v97, v94, v67
	ds_load_2addr_b32 v[93:94], v82 offset0:238 offset1:255
	s_waitcnt lgkmcnt(0)
	v_exp_f32_e32 v101, v101
	s_barrier
	buffer_gl0_inv
	v_dual_fmac_f32 v68, v101, v89 :: v_dual_sub_f32 v89, v96, v67
	v_dual_sub_f32 v82, v95, v67 :: v_dual_mul_f32 v95, 0x3fb8aa3b, v97
	v_exp_f32_e32 v97, v103
	s_delay_alu instid0(VALU_DEP_2) | instskip(NEXT) | instid1(VALU_DEP_2)
	v_dual_fmac_f32 v68, v102, v90 :: v_dual_mul_f32 v89, 0x3fb8aa3b, v89
	v_mul_f32_e32 v82, 0x3fb8aa3b, v82
	s_delay_alu instid0(VALU_DEP_3) | instskip(NEXT) | instid1(VALU_DEP_2)
	v_exp_f32_e32 v95, v95
	v_exp_f32_e32 v89, v89
	s_delay_alu instid0(VALU_DEP_1)
	v_exp_f32_e32 v82, v82
	v_fmac_f32_e32 v68, v97, v91
	s_delay_alu instid0(TRANS32_DEP_3) | instid1(VALU_DEP_1)
	v_fmac_f32_e32 v68, v95, v92
	s_waitcnt_depctr 0xfff
	v_fmac_f32_e32 v68, v82, v93
	s_delay_alu instid0(VALU_DEP_1) | instskip(NEXT) | instid1(VALU_DEP_1)
	v_fmac_f32_e32 v68, v89, v94
	v_add_f32_e32 v90, 0x358637bd, v68
	s_delay_alu instid0(VALU_DEP_1) | instskip(NEXT) | instid1(VALU_DEP_1)
	v_div_scale_f32 v91, null, v90, v90, 1.0
	v_rcp_f32_e32 v92, v91
	s_waitcnt_depctr 0xfff
	v_fma_f32 v93, -v91, v92, 1.0
	s_delay_alu instid0(VALU_DEP_1) | instskip(SKIP_1) | instid1(VALU_DEP_2)
	v_dual_fmac_f32 v92, v93, v92 :: v_dual_cndmask_b32 v93, v100, v99
	v_cmp_eq_u32_e32 vcc_lo, 3, v66
	v_cndmask_b32_e64 v93, v93, v101, s3
	v_cmp_eq_u32_e64 s3, 4, v66
	s_delay_alu instid0(VALU_DEP_2) | instskip(SKIP_1) | instid1(VALU_DEP_2)
	v_cndmask_b32_e32 v93, v93, v102, vcc_lo
	v_cmp_eq_u32_e32 vcc_lo, 5, v66
	v_cndmask_b32_e64 v93, v93, v97, s3
	v_cmp_eq_u32_e64 s3, 6, v66
	s_delay_alu instid0(VALU_DEP_2) | instskip(SKIP_1) | instid1(VALU_DEP_1)
	v_cndmask_b32_e32 v93, v93, v95, vcc_lo
	v_div_scale_f32 v94, s4, 1.0, v90, 1.0
	s_mov_b32 vcc_lo, s4
	s_delay_alu instid0(VALU_DEP_2) | instskip(NEXT) | instid1(VALU_DEP_2)
	v_cndmask_b32_e64 v82, v93, v82, s3
	v_mul_f32_e32 v96, v94, v92
	s_mov_b32 s3, exec_lo
	s_delay_alu instid0(VALU_DEP_2) | instskip(NEXT) | instid1(VALU_DEP_2)
	v_cndmask_b32_e64 v82, v82, v89, s5
	v_fma_f32 v98, -v91, v96, v94
	s_delay_alu instid0(VALU_DEP_1) | instskip(NEXT) | instid1(VALU_DEP_1)
	v_fmac_f32_e32 v96, v98, v92
	v_fma_f32 v91, -v91, v96, v94
	s_delay_alu instid0(VALU_DEP_1) | instskip(NEXT) | instid1(VALU_DEP_1)
	v_div_fmas_f32 v91, v91, v92, v96
	v_div_fixup_f32 v90, v91, v90, 1.0
	s_delay_alu instid0(VALU_DEP_1) | instskip(NEXT) | instid1(VALU_DEP_1)
	v_mul_f32_e32 v82, v82, v90
	v_mul_f32_e32 v87, v82, v87
	;; [unrolled: 1-line block ×7, first 2 shown]
	v_dual_mul_f32 v86, v82, v83 :: v_dual_and_b32 v91, 0x7f800000, v90
	v_mul_f32_e32 v85, v82, v76
                                        ; implicit-def: $vgpr76
	s_delay_alu instid0(VALU_DEP_2)
	v_cmpx_ne_u32_e32 0x7f800000, v91
	s_xor_b32 s3, exec_lo, s3
; %bb.13:
	v_bfe_u32 v76, v90, 16, 1
	s_delay_alu instid0(VALU_DEP_1)
	v_add3_u32 v76, v90, v76, 0x7fff
                                        ; implicit-def: $vgpr90
; %bb.14:
	s_and_not1_saveexec_b32 s3, s3
; %bb.15:
	v_and_b32_e32 v76, 0xffff, v90
	v_or_b32_e32 v83, 0x10000, v90
	s_delay_alu instid0(VALU_DEP_2) | instskip(NEXT) | instid1(VALU_DEP_2)
	v_cmp_eq_u32_e32 vcc_lo, 0, v76
	v_cndmask_b32_e32 v76, v83, v90, vcc_lo
; %bb.16:
	s_or_b32 exec_lo, exec_lo, s3
	v_and_b32_e32 v83, 0x7f800000, v85
	s_delay_alu instid0(VALU_DEP_1) | instskip(SKIP_1) | instid1(SALU_CYCLE_1)
	v_cmp_ne_u32_e32 vcc_lo, 0x7f800000, v83
                                        ; implicit-def: $vgpr83
	s_and_saveexec_b32 s3, vcc_lo
	s_xor_b32 s3, exec_lo, s3
; %bb.17:
	v_bfe_u32 v83, v85, 16, 1
	s_delay_alu instid0(VALU_DEP_1)
	v_add3_u32 v83, v85, v83, 0x7fff
                                        ; implicit-def: $vgpr85
; %bb.18:
	s_and_not1_saveexec_b32 s3, s3
; %bb.19:
	v_and_b32_e32 v83, 0xffff, v85
	v_or_b32_e32 v90, 0x10000, v85
	s_delay_alu instid0(VALU_DEP_2) | instskip(NEXT) | instid1(VALU_DEP_2)
	v_cmp_eq_u32_e32 vcc_lo, 0, v83
	v_cndmask_b32_e32 v83, v90, v85, vcc_lo
; %bb.20:
	s_or_b32 exec_lo, exec_lo, s3
	v_and_b32_e32 v85, 0x7f800000, v86
	s_delay_alu instid0(VALU_DEP_1) | instskip(SKIP_1) | instid1(SALU_CYCLE_1)
	v_cmp_ne_u32_e32 vcc_lo, 0x7f800000, v85
                                        ; implicit-def: $vgpr85
	s_and_saveexec_b32 s3, vcc_lo
	s_xor_b32 s3, exec_lo, s3
; %bb.21:
	v_bfe_u32 v85, v86, 16, 1
	s_delay_alu instid0(VALU_DEP_1)
	v_add3_u32 v85, v86, v85, 0x7fff
                                        ; implicit-def: $vgpr86
; %bb.22:
	s_and_not1_saveexec_b32 s3, s3
; %bb.23:
	v_and_b32_e32 v85, 0xffff, v86
	v_or_b32_e32 v90, 0x10000, v86
	s_delay_alu instid0(VALU_DEP_2) | instskip(NEXT) | instid1(VALU_DEP_2)
	v_cmp_eq_u32_e32 vcc_lo, 0, v85
	v_cndmask_b32_e32 v85, v90, v86, vcc_lo
; %bb.24:
	s_or_b32 exec_lo, exec_lo, s3
	v_and_b32_e32 v86, 0x7f800000, v89
	s_delay_alu instid0(VALU_DEP_1) | instskip(SKIP_1) | instid1(SALU_CYCLE_1)
	v_cmp_ne_u32_e32 vcc_lo, 0x7f800000, v86
                                        ; implicit-def: $vgpr86
	s_and_saveexec_b32 s3, vcc_lo
	s_xor_b32 s3, exec_lo, s3
; %bb.25:
	v_bfe_u32 v86, v89, 16, 1
	s_delay_alu instid0(VALU_DEP_1)
	v_add3_u32 v86, v89, v86, 0x7fff
                                        ; implicit-def: $vgpr89
; %bb.26:
	s_and_not1_saveexec_b32 s3, s3
; %bb.27:
	v_and_b32_e32 v86, 0xffff, v89
	v_or_b32_e32 v90, 0x10000, v89
	s_delay_alu instid0(VALU_DEP_2) | instskip(NEXT) | instid1(VALU_DEP_2)
	v_cmp_eq_u32_e32 vcc_lo, 0, v86
	v_cndmask_b32_e32 v86, v90, v89, vcc_lo
; %bb.28:
	s_or_b32 exec_lo, exec_lo, s3
	v_and_b32_e32 v89, 0x7f800000, v88
	s_delay_alu instid0(VALU_DEP_1) | instskip(SKIP_1) | instid1(SALU_CYCLE_1)
	v_cmp_ne_u32_e32 vcc_lo, 0x7f800000, v89
                                        ; implicit-def: $vgpr89
	s_and_saveexec_b32 s3, vcc_lo
	s_xor_b32 s3, exec_lo, s3
; %bb.29:
	v_bfe_u32 v89, v88, 16, 1
	s_delay_alu instid0(VALU_DEP_1)
	v_add3_u32 v89, v88, v89, 0x7fff
                                        ; implicit-def: $vgpr88
; %bb.30:
	s_and_not1_saveexec_b32 s3, s3
; %bb.31:
	v_and_b32_e32 v89, 0xffff, v88
	v_or_b32_e32 v90, 0x10000, v88
	s_delay_alu instid0(VALU_DEP_2) | instskip(NEXT) | instid1(VALU_DEP_2)
	v_cmp_eq_u32_e32 vcc_lo, 0, v89
	v_cndmask_b32_e32 v89, v90, v88, vcc_lo
; %bb.32:
	s_or_b32 exec_lo, exec_lo, s3
	v_and_b32_e32 v88, 0x7f800000, v87
	s_delay_alu instid0(VALU_DEP_1) | instskip(SKIP_1) | instid1(SALU_CYCLE_1)
	v_cmp_ne_u32_e32 vcc_lo, 0x7f800000, v88
                                        ; implicit-def: $vgpr88
	s_and_saveexec_b32 s3, vcc_lo
	s_xor_b32 s3, exec_lo, s3
; %bb.33:
	v_bfe_u32 v88, v87, 16, 1
	s_delay_alu instid0(VALU_DEP_1)
	v_add3_u32 v88, v87, v88, 0x7fff
                                        ; implicit-def: $vgpr87
; %bb.34:
	s_and_not1_saveexec_b32 s3, s3
; %bb.35:
	v_and_b32_e32 v88, 0xffff, v87
	v_or_b32_e32 v90, 0x10000, v87
	s_delay_alu instid0(VALU_DEP_2) | instskip(NEXT) | instid1(VALU_DEP_2)
	v_cmp_eq_u32_e32 vcc_lo, 0, v88
	v_cndmask_b32_e32 v88, v90, v87, vcc_lo
; %bb.36:
	s_or_b32 exec_lo, exec_lo, s3
	v_and_b32_e32 v87, 0x7f800000, v84
	s_delay_alu instid0(VALU_DEP_1) | instskip(SKIP_1) | instid1(SALU_CYCLE_1)
	v_cmp_ne_u32_e32 vcc_lo, 0x7f800000, v87
                                        ; implicit-def: $vgpr87
	s_and_saveexec_b32 s3, vcc_lo
	s_xor_b32 s3, exec_lo, s3
; %bb.37:
	v_bfe_u32 v87, v84, 16, 1
	s_delay_alu instid0(VALU_DEP_1)
	v_add3_u32 v87, v84, v87, 0x7fff
                                        ; implicit-def: $vgpr84
; %bb.38:
	s_and_not1_saveexec_b32 s3, s3
; %bb.39:
	v_and_b32_e32 v87, 0xffff, v84
	v_or_b32_e32 v90, 0x10000, v84
	s_delay_alu instid0(VALU_DEP_2) | instskip(NEXT) | instid1(VALU_DEP_2)
	v_cmp_eq_u32_e32 vcc_lo, 0, v87
	v_cndmask_b32_e32 v87, v90, v84, vcc_lo
; %bb.40:
	s_or_b32 exec_lo, exec_lo, s3
	v_and_b32_e32 v84, 0x7f800000, v80
	s_delay_alu instid0(VALU_DEP_1) | instskip(SKIP_1) | instid1(SALU_CYCLE_1)
	v_cmp_ne_u32_e32 vcc_lo, 0x7f800000, v84
                                        ; implicit-def: $vgpr84
	s_and_saveexec_b32 s3, vcc_lo
	s_xor_b32 s3, exec_lo, s3
; %bb.41:
	v_bfe_u32 v84, v80, 16, 1
	s_delay_alu instid0(VALU_DEP_1)
	v_add3_u32 v84, v80, v84, 0x7fff
                                        ; implicit-def: $vgpr80
; %bb.42:
	s_and_not1_saveexec_b32 s3, s3
; %bb.43:
	v_and_b32_e32 v84, 0xffff, v80
	v_or_b32_e32 v90, 0x10000, v80
	s_delay_alu instid0(VALU_DEP_2) | instskip(NEXT) | instid1(VALU_DEP_2)
	v_cmp_eq_u32_e32 vcc_lo, 0, v84
	v_cndmask_b32_e32 v84, v90, v80, vcc_lo
; %bb.44:
	s_or_b32 exec_lo, exec_lo, s3
	s_load_b64 s[34:35], s[0:1], 0x94
	v_lshlrev_b32_e32 v91, 4, v74
	s_delay_alu instid0(VALU_DEP_2)
	v_perm_b32 v90, v84, v87, 0x7060302
	v_dual_mul_f32 v79, v82, v79 :: v_dual_lshlrev_b32 v80, 6, v65
	v_dual_mul_f32 v77, v82, v77 :: v_dual_lshlrev_b32 v92, 11, v66
	v_mul_f32_e32 v84, v82, v70
	v_perm_b32 v89, v88, v89, 0x7060302
	v_perm_b32 v88, v86, v85, 0x7060302
	v_perm_b32 v87, v83, v76, 0x7060302
	v_mul_f32_e32 v70, v82, v81
	v_or3_b32 v76, v91, v92, v80
	v_dual_mul_f32 v78, v82, v78 :: v_dual_and_b32 v85, 0x7f800000, v84
	v_mul_f32_e32 v83, v82, v72
	v_mul_f32_e32 v81, v82, v71
	;; [unrolled: 1-line block ×3, first 2 shown]
	s_mov_b32 s3, exec_lo
	ds_store_b128 v76, v[87:90]
                                        ; implicit-def: $vgpr69
	v_cmpx_ne_u32_e32 0x7f800000, v85
	s_xor_b32 s3, exec_lo, s3
; %bb.45:
	v_bfe_u32 v69, v84, 16, 1
	s_delay_alu instid0(VALU_DEP_1)
	v_add3_u32 v69, v84, v69, 0x7fff
                                        ; implicit-def: $vgpr84
; %bb.46:
	s_and_not1_saveexec_b32 s3, s3
; %bb.47:
	v_and_b32_e32 v69, 0xffff, v84
	v_or_b32_e32 v71, 0x10000, v84
	s_delay_alu instid0(VALU_DEP_2) | instskip(NEXT) | instid1(VALU_DEP_2)
	v_cmp_eq_u32_e32 vcc_lo, 0, v69
	v_cndmask_b32_e32 v69, v71, v84, vcc_lo
; %bb.48:
	s_or_b32 exec_lo, exec_lo, s3
	v_and_b32_e32 v71, 0x7f800000, v72
	s_delay_alu instid0(VALU_DEP_1) | instskip(SKIP_1) | instid1(SALU_CYCLE_1)
	v_cmp_ne_u32_e32 vcc_lo, 0x7f800000, v71
                                        ; implicit-def: $vgpr71
	s_and_saveexec_b32 s3, vcc_lo
	s_xor_b32 s3, exec_lo, s3
; %bb.49:
	v_bfe_u32 v71, v72, 16, 1
	s_delay_alu instid0(VALU_DEP_1)
	v_add3_u32 v71, v72, v71, 0x7fff
                                        ; implicit-def: $vgpr72
; %bb.50:
	s_and_not1_saveexec_b32 s3, s3
; %bb.51:
	v_and_b32_e32 v71, 0xffff, v72
	v_or_b32_e32 v82, 0x10000, v72
	s_delay_alu instid0(VALU_DEP_2) | instskip(NEXT) | instid1(VALU_DEP_2)
	v_cmp_eq_u32_e32 vcc_lo, 0, v71
	v_cndmask_b32_e32 v71, v82, v72, vcc_lo
; %bb.52:
	s_or_b32 exec_lo, exec_lo, s3
	v_and_b32_e32 v72, 0x7f800000, v81
	s_delay_alu instid0(VALU_DEP_1) | instskip(SKIP_1) | instid1(SALU_CYCLE_1)
	v_cmp_ne_u32_e32 vcc_lo, 0x7f800000, v72
                                        ; implicit-def: $vgpr72
	s_and_saveexec_b32 s3, vcc_lo
	s_xor_b32 s3, exec_lo, s3
; %bb.53:
	v_bfe_u32 v72, v81, 16, 1
	s_delay_alu instid0(VALU_DEP_1)
	v_add3_u32 v72, v81, v72, 0x7fff
                                        ; implicit-def: $vgpr81
; %bb.54:
	s_and_not1_saveexec_b32 s3, s3
; %bb.55:
	v_and_b32_e32 v72, 0xffff, v81
	v_or_b32_e32 v82, 0x10000, v81
	s_delay_alu instid0(VALU_DEP_2) | instskip(NEXT) | instid1(VALU_DEP_2)
	v_cmp_eq_u32_e32 vcc_lo, 0, v72
	v_cndmask_b32_e32 v72, v82, v81, vcc_lo
; %bb.56:
	s_or_b32 exec_lo, exec_lo, s3
	v_and_b32_e32 v81, 0x7f800000, v83
	s_delay_alu instid0(VALU_DEP_1) | instskip(SKIP_1) | instid1(SALU_CYCLE_1)
	v_cmp_ne_u32_e32 vcc_lo, 0x7f800000, v81
                                        ; implicit-def: $vgpr81
	s_and_saveexec_b32 s3, vcc_lo
	s_xor_b32 s3, exec_lo, s3
; %bb.57:
	v_bfe_u32 v81, v83, 16, 1
	s_delay_alu instid0(VALU_DEP_1)
	v_add3_u32 v81, v83, v81, 0x7fff
                                        ; implicit-def: $vgpr83
; %bb.58:
	s_and_not1_saveexec_b32 s3, s3
; %bb.59:
	v_and_b32_e32 v81, 0xffff, v83
	v_or_b32_e32 v82, 0x10000, v83
	s_delay_alu instid0(VALU_DEP_2) | instskip(NEXT) | instid1(VALU_DEP_2)
	v_cmp_eq_u32_e32 vcc_lo, 0, v81
	v_cndmask_b32_e32 v81, v82, v83, vcc_lo
; %bb.60:
	s_or_b32 exec_lo, exec_lo, s3
	v_and_b32_e32 v82, 0x7f800000, v77
	s_delay_alu instid0(VALU_DEP_1) | instskip(SKIP_1) | instid1(SALU_CYCLE_1)
	v_cmp_ne_u32_e32 vcc_lo, 0x7f800000, v82
                                        ; implicit-def: $vgpr82
	s_and_saveexec_b32 s3, vcc_lo
	s_xor_b32 s3, exec_lo, s3
; %bb.61:
	v_bfe_u32 v82, v77, 16, 1
	s_delay_alu instid0(VALU_DEP_1)
	v_add3_u32 v82, v77, v82, 0x7fff
                                        ; implicit-def: $vgpr77
; %bb.62:
	s_and_not1_saveexec_b32 s3, s3
; %bb.63:
	v_and_b32_e32 v82, 0xffff, v77
	v_or_b32_e32 v83, 0x10000, v77
	s_delay_alu instid0(VALU_DEP_2) | instskip(NEXT) | instid1(VALU_DEP_2)
	v_cmp_eq_u32_e32 vcc_lo, 0, v82
	v_cndmask_b32_e32 v82, v83, v77, vcc_lo
; %bb.64:
	s_or_b32 exec_lo, exec_lo, s3
	v_and_b32_e32 v77, 0x7f800000, v78
	s_delay_alu instid0(VALU_DEP_1) | instskip(SKIP_1) | instid1(SALU_CYCLE_1)
	v_cmp_ne_u32_e32 vcc_lo, 0x7f800000, v77
                                        ; implicit-def: $vgpr77
	s_and_saveexec_b32 s3, vcc_lo
	s_xor_b32 s3, exec_lo, s3
; %bb.65:
	v_bfe_u32 v77, v78, 16, 1
	s_delay_alu instid0(VALU_DEP_1)
	v_add3_u32 v77, v78, v77, 0x7fff
                                        ; implicit-def: $vgpr78
; %bb.66:
	s_and_not1_saveexec_b32 s3, s3
; %bb.67:
	v_and_b32_e32 v77, 0xffff, v78
	v_or_b32_e32 v83, 0x10000, v78
	s_delay_alu instid0(VALU_DEP_2) | instskip(NEXT) | instid1(VALU_DEP_2)
	v_cmp_eq_u32_e32 vcc_lo, 0, v77
	v_cndmask_b32_e32 v77, v83, v78, vcc_lo
; %bb.68:
	s_or_b32 exec_lo, exec_lo, s3
	v_and_b32_e32 v78, 0x7f800000, v79
	s_delay_alu instid0(VALU_DEP_1) | instskip(SKIP_1) | instid1(SALU_CYCLE_1)
	v_cmp_ne_u32_e32 vcc_lo, 0x7f800000, v78
                                        ; implicit-def: $vgpr78
	s_and_saveexec_b32 s3, vcc_lo
	s_xor_b32 s3, exec_lo, s3
; %bb.69:
	v_bfe_u32 v78, v79, 16, 1
	s_delay_alu instid0(VALU_DEP_1)
	v_add3_u32 v78, v79, v78, 0x7fff
                                        ; implicit-def: $vgpr79
; %bb.70:
	s_and_not1_saveexec_b32 s3, s3
; %bb.71:
	v_and_b32_e32 v78, 0xffff, v79
	v_or_b32_e32 v83, 0x10000, v79
	s_delay_alu instid0(VALU_DEP_2) | instskip(NEXT) | instid1(VALU_DEP_2)
	v_cmp_eq_u32_e32 vcc_lo, 0, v78
	v_cndmask_b32_e32 v78, v83, v79, vcc_lo
; %bb.72:
	s_or_b32 exec_lo, exec_lo, s3
	v_and_b32_e32 v79, 0x7f800000, v70
	s_delay_alu instid0(VALU_DEP_1) | instskip(SKIP_1) | instid1(SALU_CYCLE_1)
	v_cmp_ne_u32_e32 vcc_lo, 0x7f800000, v79
                                        ; implicit-def: $vgpr79
	s_and_saveexec_b32 s3, vcc_lo
	s_xor_b32 s3, exec_lo, s3
; %bb.73:
	v_bfe_u32 v79, v70, 16, 1
	s_delay_alu instid0(VALU_DEP_1)
	v_add3_u32 v79, v70, v79, 0x7fff
                                        ; implicit-def: $vgpr70
; %bb.74:
	s_and_not1_saveexec_b32 s3, s3
; %bb.75:
	v_and_b32_e32 v79, 0xffff, v70
	v_or_b32_e32 v83, 0x10000, v70
	s_delay_alu instid0(VALU_DEP_2) | instskip(NEXT) | instid1(VALU_DEP_2)
	v_cmp_eq_u32_e32 vcc_lo, 0, v79
	v_cndmask_b32_e32 v79, v83, v70, vcc_lo
; %bb.76:
	s_or_b32 exec_lo, exec_lo, s3
	s_delay_alu instid0(VALU_DEP_1)
	v_perm_b32 v86, v79, v78, 0x7060302
	v_perm_b32 v85, v77, v82, 0x7060302
	;; [unrolled: 1-line block ×4, first 2 shown]
	v_lshl_or_b32 v82, v66, 11, v80
	ds_store_b128 v76, v[83:86] offset:1024
	s_waitcnt lgkmcnt(0)
	s_barrier
	buffer_gl0_inv
	ds_load_b128 v[69:72], v82
	ds_load_b128 v[83:86], v82 offset:16
	s_waitcnt lgkmcnt(1)
	v_lshrrev_b32_e32 v66, 16, v69
	s_waitcnt lgkmcnt(0)
	v_lshrrev_b32_e32 v91, 16, v83
	v_lshlrev_b32_e32 v78, 2, v74
	v_lshrrev_b32_e32 v95, 16, v70
	v_lshrrev_b32_e32 v98, 16, v84
	;; [unrolled: 1-line block ×4, first 2 shown]
	v_cmp_eq_u32_e32 vcc_lo, 1, v78
	v_lshrrev_b32_e32 v97, 16, v72
	v_lshrrev_b32_e32 v100, 16, v86
	v_cndmask_b32_e32 v87, v83, v91, vcc_lo
	v_or_b32_e32 v79, 1, v78
	v_cndmask_b32_e32 v81, v69, v66, vcc_lo
	v_cmp_eq_u32_e64 s4, 2, v78
	v_cmp_eq_u32_e64 s7, 3, v78
	;; [unrolled: 1-line block ×5, first 2 shown]
	v_cndmask_b32_e64 v81, v81, v70, s4
	v_cndmask_b32_e64 v87, v87, v84, s4
	v_cmp_eq_u32_e64 s8, 3, v79
	v_cndmask_b32_e64 v88, v69, v66, s3
	v_or_b32_e32 v77, 2, v78
	v_cndmask_b32_e64 v81, v81, v95, s7
	v_cndmask_b32_e64 v87, v87, v98, s7
	;; [unrolled: 1-line block ×4, first 2 shown]
	v_cmp_eq_u32_e64 s10, 5, v78
	v_cndmask_b32_e64 v81, v81, v71, s9
	v_cndmask_b32_e64 v87, v87, v85, s9
	v_cmp_eq_u32_e64 s11, 4, v79
	v_cndmask_b32_e64 v88, v88, v95, s8
	v_cmp_eq_u32_e64 s5, 1, v77
	v_cndmask_b32_e64 v89, v89, v84, s6
	v_cndmask_b32_e64 v81, v81, v96, s10
	v_cmp_eq_u32_e64 s12, 6, v78
	v_cndmask_b32_e64 v88, v88, v71, s11
	;; [unrolled: 3-line block ×3, first 2 shown]
	v_cndmask_b32_e64 v89, v89, v98, s8
	v_cndmask_b32_e64 v81, v81, v72, s12
	v_cmp_eq_u32_e64 s15, 7, v78
	v_cndmask_b32_e64 v88, v88, v96, s13
	v_cndmask_b32_e64 v87, v87, v86, s12
	v_cmp_eq_u32_e64 s16, 6, v79
	v_cmp_eq_u32_e64 s17, 2, v77
	v_cndmask_b32_e64 v89, v89, v85, s11
	v_cndmask_b32_e64 v101, v81, v97, s15
	;; [unrolled: 1-line block ×6, first 2 shown]
	v_cmp_eq_u32_e64 s18, 7, v79
	v_cmp_eq_u32_e64 s19, 3, v77
	;; [unrolled: 1-line block ×4, first 2 shown]
	v_cndmask_b32_e64 v87, v87, v84, s17
	v_cndmask_b32_e64 v103, v88, v97, s18
	;; [unrolled: 1-line block ×4, first 2 shown]
	v_or_b32_e32 v81, 3, v78
	v_cndmask_b32_e64 v93, v87, v98, s19
	v_cmp_eq_u32_e64 s24, 6, v77
	v_cndmask_b32_e64 v104, v88, v86, s16
	v_cndmask_b32_e64 v92, v89, v71, s20
	v_cmp_eq_u32_e64 s21, 1, v81
	ds_load_b128 v[87:90], v82 offset:1024
	v_cmp_eq_u32_e64 s23, 2, v81
	v_cmp_eq_u32_e64 s25, 3, v81
	v_cndmask_b32_e64 v105, v92, v96, s22
	v_cndmask_b32_e64 v66, v69, v66, s21
	v_cndmask_b32_e64 v69, v93, v85, s20
	v_cndmask_b32_e64 v83, v83, v91, s21
	ds_load_b128 v[91:94], v82 offset:1040
	v_cmp_eq_u32_e64 s26, 4, v81
	v_cndmask_b32_e64 v66, v66, v70, s23
	v_cmp_eq_u32_e64 s27, 7, v77
	v_cndmask_b32_e64 v70, v83, v84, s23
	v_cndmask_b32_e64 v84, v105, v72, s24
	v_cmp_eq_u32_e64 s28, 5, v81
	v_cndmask_b32_e64 v66, v66, v95, s25
	v_cmp_eq_u32_e64 s29, 6, v81
	v_cndmask_b32_e64 v70, v70, v98, s25
	v_cndmask_b32_e64 v69, v69, v99, s22
	;; [unrolled: 1-line block ×4, first 2 shown]
	s_waitcnt lgkmcnt(1)
	v_lshrrev_b32_e32 v95, 16, v87
	v_cndmask_b32_e64 v70, v70, v85, s26
	v_cndmask_b32_e64 v71, v84, v97, s27
	;; [unrolled: 1-line block ×4, first 2 shown]
	v_cndmask_b32_e32 v84, v87, v95, vcc_lo
	v_cndmask_b32_e64 v70, v70, v99, s28
	s_waitcnt lgkmcnt(0)
	v_lshrrev_b32_e32 v85, 16, v91
	v_lshrrev_b32_e32 v96, 16, v88
	v_cndmask_b32_e64 v98, v87, v95, s3
	v_cndmask_b32_e64 v84, v84, v88, s4
	v_cndmask_b32_e64 v70, v70, v86, s29
	v_cndmask_b32_e32 v99, v91, v85, vcc_lo
	v_cmp_eq_u32_e32 vcc_lo, 7, v81
	v_cndmask_b32_e64 v66, v66, v72, s29
	v_cndmask_b32_e64 v72, v84, v96, s7
	v_cndmask_b32_e64 v84, v98, v88, s6
	v_lshrrev_b32_e32 v98, 16, v92
	v_cndmask_b32_e32 v70, v70, v100, vcc_lo
	v_cndmask_b32_e64 v86, v99, v92, s4
	v_cndmask_b32_e64 v69, v69, v100, s27
	v_lshrrev_b32_e32 v100, 16, v93
	v_cndmask_b32_e64 v72, v72, v89, s9
	v_lshrrev_b32_e32 v99, 16, v89
	v_cndmask_b32_e64 v86, v86, v98, s7
	v_perm_b32 v71, v69, v71, 0x5040100
	v_cndmask_b32_e64 v84, v84, v96, s8
	s_delay_alu instid0(VALU_DEP_3) | instskip(NEXT) | instid1(VALU_DEP_2)
	v_cndmask_b32_e64 v86, v86, v93, s9
	v_cndmask_b32_e64 v84, v84, v89, s11
	s_delay_alu instid0(VALU_DEP_2) | instskip(NEXT) | instid1(VALU_DEP_1)
	v_cndmask_b32_e64 v86, v86, v100, s10
	v_cndmask_b32_e64 v69, v86, v94, s12
	;; [unrolled: 1-line block ×5, first 2 shown]
	s_delay_alu instid0(VALU_DEP_3) | instskip(NEXT) | instid1(VALU_DEP_3)
	v_cndmask_b32_e64 v86, v86, v88, s17
	v_cndmask_b32_e64 v87, v87, v88, s23
	s_delay_alu instid0(VALU_DEP_3) | instskip(NEXT) | instid1(VALU_DEP_3)
	v_cndmask_b32_e64 v88, v95, v92, s23
	v_cndmask_b32_e64 v86, v86, v96, s19
	s_delay_alu instid0(VALU_DEP_3) | instskip(NEXT) | instid1(VALU_DEP_3)
	v_cndmask_b32_e64 v87, v87, v96, s25
	v_cndmask_b32_e64 v88, v88, v98, s25
	s_delay_alu instid0(VALU_DEP_3) | instskip(NEXT) | instid1(VALU_DEP_3)
	v_cndmask_b32_e64 v86, v86, v89, s20
	v_cndmask_b32_e64 v87, v87, v89, s26
	s_delay_alu instid0(VALU_DEP_3) | instskip(NEXT) | instid1(VALU_DEP_3)
	v_cndmask_b32_e64 v88, v88, v93, s26
	v_cndmask_b32_e64 v86, v86, v99, s22
	s_delay_alu instid0(VALU_DEP_3) | instskip(NEXT) | instid1(VALU_DEP_3)
	v_cndmask_b32_e64 v87, v87, v99, s28
	v_cndmask_b32_e64 v88, v88, v100, s28
	s_delay_alu instid0(VALU_DEP_3) | instskip(NEXT) | instid1(VALU_DEP_3)
	v_cndmask_b32_e64 v86, v86, v90, s24
	v_cndmask_b32_e64 v87, v87, v90, s29
	s_delay_alu instid0(VALU_DEP_3) | instskip(SKIP_2) | instid1(VALU_DEP_2)
	v_cndmask_b32_e64 v88, v88, v94, s29
	v_cndmask_b32_e32 v66, v66, v97, vcc_lo
	v_cndmask_b32_e64 v97, v72, v99, s10
	v_perm_b32 v72, v70, v66, 0x5040100
	v_perm_b32 v70, v83, v103, 0x5040100
	v_cndmask_b32_e64 v103, v91, v85, s5
	v_cndmask_b32_e64 v85, v91, v85, s3
	;; [unrolled: 1-line block ×4, first 2 shown]
	v_lshrrev_b32_e32 v97, 16, v90
	v_cndmask_b32_e64 v91, v103, v92, s17
	v_cndmask_b32_e64 v85, v85, v92, s6
	;; [unrolled: 1-line block ×3, first 2 shown]
	s_mov_b32 s3, exec_lo
	v_cndmask_b32_e64 v83, v84, v97, s15
	v_cndmask_b32_e64 v91, v91, v98, s19
	;; [unrolled: 1-line block ×3, first 2 shown]
	v_lshrrev_b32_e32 v84, 16, v94
	v_cndmask_b32_e64 v66, v66, v97, s18
	v_cndmask_b32_e64 v90, v86, v97, s27
	;; [unrolled: 1-line block ×4, first 2 shown]
	v_dual_cndmask_b32 v86, v87, v97 :: v_dual_cndmask_b32 v87, v88, v84
	v_cndmask_b32_e64 v91, v69, v84, s15
	s_delay_alu instid0(VALU_DEP_4) | instskip(NEXT) | instid1(VALU_DEP_4)
	v_cndmask_b32_e64 v89, v89, v100, s22
	v_cndmask_b32_e64 v85, v85, v100, s13
	v_perm_b32 v69, v102, v101, 0x5040100
	v_perm_b32 v86, v87, v86, 0x5040100
	;; [unrolled: 1-line block ×3, first 2 shown]
	v_cndmask_b32_e64 v89, v89, v94, s24
	v_cndmask_b32_e64 v85, v85, v94, s16
	s_mul_i32 s8, s35, 6
	s_delay_alu instid0(VALU_DEP_2) | instskip(NEXT) | instid1(VALU_DEP_2)
	v_cndmask_b32_e64 v88, v89, v84, s27
	v_cndmask_b32_e64 v89, v85, v84, s18
	s_delay_alu instid0(VALU_DEP_2) | instskip(NEXT) | instid1(VALU_DEP_2)
	v_perm_b32 v85, v88, v90, 0x5040100
	v_perm_b32 v84, v89, v66, 0x5040100
	ds_store_b128 v76, v[69:72]
	ds_store_b128 v76, v[83:86] offset:1024
	v_cmpx_gt_u32_e32 6, v0
	s_cbranch_execz .LBB1391_78
; %bb.77:
	s_mul_i32 s4, s8, s30
	s_delay_alu instid0(SALU_CYCLE_1) | instskip(SKIP_1) | instid1(VALU_DEP_1)
	v_add3_u32 v69, s4, s31, v65
	s_load_b128 s[4:7], s[0:1], 0x58
	v_mad_u64_u32 v[65:66], null, v69, s34, s[14:15]
	s_delay_alu instid0(VALU_DEP_1) | instskip(NEXT) | instid1(VALU_DEP_1)
	v_ashrrev_i32_e32 v66, 31, v65
	v_lshlrev_b64 v[65:66], 2, v[65:66]
	s_waitcnt lgkmcnt(0)
	s_delay_alu instid0(VALU_DEP_1) | instskip(NEXT) | instid1(VALU_DEP_2)
	v_add_co_u32 v69, vcc_lo, s6, v65
	v_add_co_ci_u32_e32 v70, vcc_lo, s7, v66, vcc_lo
	v_add_co_u32 v65, vcc_lo, s4, v65
	v_add_co_ci_u32_e32 v66, vcc_lo, s5, v66, vcc_lo
	global_store_b32 v[69:70], v67, off
	global_store_b32 v[65:66], v68, off
.LBB1391_78:
	s_or_b32 exec_lo, exec_lo, s3
	s_waitcnt lgkmcnt(0)
	s_waitcnt_vscnt null, 0x0
	s_barrier
	buffer_gl0_inv
	ds_load_b128 v[83:86], v80
	ds_load_b128 v[87:90], v80 offset:16
	ds_load_b128 v[95:98], v80 offset:2064
	;; [unrolled: 1-line block ×3, first 2 shown]
	v_mov_b32_e32 v65, 0
	ds_load_b128 v[103:106], v80 offset:4112
	ds_load_b128 v[99:102], v80 offset:4096
	;; [unrolled: 1-line block ×4, first 2 shown]
	v_mov_b32_e32 v66, v65
	v_mov_b32_e32 v67, v65
	;; [unrolled: 1-line block ×7, first 2 shown]
	s_waitcnt lgkmcnt(6)
	s_delay_alu instid0(VALU_DEP_1)
	v_wmma_f32_16x16x16_bf16 v[65:72], v[57:64], v[83:90], v[65:72]
	ds_load_b128 v[61:64], v80 offset:8208
	ds_load_b128 v[57:60], v80 offset:8192
	s_waitcnt lgkmcnt(6)
	v_wmma_f32_16x16x16_bf16 v[65:72], v[41:48], v[91:98], v[65:72]
	ds_load_b128 v[45:48], v80 offset:10256
	ds_load_b128 v[41:44], v80 offset:10240
	s_waitcnt lgkmcnt(6)
	;; [unrolled: 4-line block ×4, first 2 shown]
	v_wmma_f32_16x16x16_bf16 v[65:72], v[1:8], v[57:64], v[65:72]
	s_waitcnt lgkmcnt(4)
	s_delay_alu instid0(VALU_DEP_1) | instskip(SKIP_1) | instid1(VALU_DEP_1)
	v_wmma_f32_16x16x16_bf16 v[65:72], v[9:16], v[41:48], v[65:72]
	s_waitcnt lgkmcnt(2)
	v_wmma_f32_16x16x16_bf16 v[65:72], v[17:24], v[33:40], v[65:72]
	s_waitcnt lgkmcnt(0)
	s_delay_alu instid0(VALU_DEP_1) | instskip(NEXT) | instid1(VALU_DEP_1)
	v_wmma_f32_16x16x16_bf16 v[65:72], v[49:56], v[25:32], v[65:72]
	v_and_b32_e32 v1, 0x7f800000, v65
	s_delay_alu instid0(VALU_DEP_1) | instskip(SKIP_1) | instid1(SALU_CYCLE_1)
	v_cmp_ne_u32_e32 vcc_lo, 0x7f800000, v1
                                        ; implicit-def: $vgpr1
	s_and_saveexec_b32 s3, vcc_lo
	s_xor_b32 s3, exec_lo, s3
; %bb.79:
	v_bfe_u32 v1, v65, 16, 1
	s_delay_alu instid0(VALU_DEP_1)
	v_add3_u32 v1, v65, v1, 0x7fff
; %bb.80:
	s_and_not1_saveexec_b32 s3, s3
; %bb.81:
	v_and_b32_e32 v1, 0xffff, v65
	v_or_b32_e32 v2, 0x10000, v65
	s_delay_alu instid0(VALU_DEP_2) | instskip(NEXT) | instid1(VALU_DEP_2)
	v_cmp_eq_u32_e32 vcc_lo, 0, v1
	v_cndmask_b32_e32 v1, v2, v65, vcc_lo
; %bb.82:
	s_or_b32 exec_lo, exec_lo, s3
	v_and_b32_e32 v2, 0x7f800000, v66
	s_delay_alu instid0(VALU_DEP_1) | instskip(SKIP_1) | instid1(SALU_CYCLE_1)
	v_cmp_ne_u32_e32 vcc_lo, 0x7f800000, v2
                                        ; implicit-def: $vgpr2
	s_and_saveexec_b32 s3, vcc_lo
	s_xor_b32 s3, exec_lo, s3
; %bb.83:
	v_bfe_u32 v2, v66, 16, 1
	s_delay_alu instid0(VALU_DEP_1)
	v_add3_u32 v2, v66, v2, 0x7fff
; %bb.84:
	s_and_not1_saveexec_b32 s3, s3
; %bb.85:
	v_and_b32_e32 v2, 0xffff, v66
	v_or_b32_e32 v3, 0x10000, v66
	s_delay_alu instid0(VALU_DEP_2) | instskip(NEXT) | instid1(VALU_DEP_2)
	v_cmp_eq_u32_e32 vcc_lo, 0, v2
	v_cndmask_b32_e32 v2, v3, v66, vcc_lo
; %bb.86:
	s_or_b32 exec_lo, exec_lo, s3
	v_and_b32_e32 v3, 0x7f800000, v67
	s_delay_alu instid0(VALU_DEP_1) | instskip(SKIP_1) | instid1(SALU_CYCLE_1)
	v_cmp_ne_u32_e32 vcc_lo, 0x7f800000, v3
                                        ; implicit-def: $vgpr3
	s_and_saveexec_b32 s3, vcc_lo
	s_xor_b32 s3, exec_lo, s3
; %bb.87:
	v_bfe_u32 v3, v67, 16, 1
	s_delay_alu instid0(VALU_DEP_1)
	v_add3_u32 v3, v67, v3, 0x7fff
; %bb.88:
	s_and_not1_saveexec_b32 s3, s3
; %bb.89:
	v_and_b32_e32 v3, 0xffff, v67
	v_or_b32_e32 v4, 0x10000, v67
	s_delay_alu instid0(VALU_DEP_2) | instskip(NEXT) | instid1(VALU_DEP_2)
	v_cmp_eq_u32_e32 vcc_lo, 0, v3
	v_cndmask_b32_e32 v3, v4, v67, vcc_lo
; %bb.90:
	s_or_b32 exec_lo, exec_lo, s3
	v_and_b32_e32 v4, 0x7f800000, v68
	s_delay_alu instid0(VALU_DEP_1) | instskip(SKIP_1) | instid1(SALU_CYCLE_1)
	v_cmp_ne_u32_e32 vcc_lo, 0x7f800000, v4
                                        ; implicit-def: $vgpr4
	s_and_saveexec_b32 s3, vcc_lo
	s_xor_b32 s3, exec_lo, s3
; %bb.91:
	v_bfe_u32 v4, v68, 16, 1
	s_delay_alu instid0(VALU_DEP_1)
	v_add3_u32 v4, v68, v4, 0x7fff
; %bb.92:
	s_and_not1_saveexec_b32 s3, s3
; %bb.93:
	v_and_b32_e32 v4, 0xffff, v68
	v_or_b32_e32 v5, 0x10000, v68
	s_delay_alu instid0(VALU_DEP_2) | instskip(NEXT) | instid1(VALU_DEP_2)
	v_cmp_eq_u32_e32 vcc_lo, 0, v4
	v_cndmask_b32_e32 v4, v5, v68, vcc_lo
; %bb.94:
	s_or_b32 exec_lo, exec_lo, s3
	v_and_b32_e32 v5, 0x7f800000, v69
	s_delay_alu instid0(VALU_DEP_1) | instskip(SKIP_1) | instid1(SALU_CYCLE_1)
	v_cmp_ne_u32_e32 vcc_lo, 0x7f800000, v5
                                        ; implicit-def: $vgpr5
	s_and_saveexec_b32 s3, vcc_lo
	s_xor_b32 s3, exec_lo, s3
; %bb.95:
	v_bfe_u32 v5, v69, 16, 1
	s_delay_alu instid0(VALU_DEP_1)
	v_add3_u32 v5, v69, v5, 0x7fff
; %bb.96:
	s_and_not1_saveexec_b32 s3, s3
; %bb.97:
	v_and_b32_e32 v5, 0xffff, v69
	v_or_b32_e32 v6, 0x10000, v69
	s_delay_alu instid0(VALU_DEP_2) | instskip(NEXT) | instid1(VALU_DEP_2)
	v_cmp_eq_u32_e32 vcc_lo, 0, v5
	v_cndmask_b32_e32 v5, v6, v69, vcc_lo
; %bb.98:
	s_or_b32 exec_lo, exec_lo, s3
	v_and_b32_e32 v6, 0x7f800000, v70
	s_delay_alu instid0(VALU_DEP_1) | instskip(SKIP_1) | instid1(SALU_CYCLE_1)
	v_cmp_ne_u32_e32 vcc_lo, 0x7f800000, v6
                                        ; implicit-def: $vgpr6
	s_and_saveexec_b32 s3, vcc_lo
	s_xor_b32 s3, exec_lo, s3
; %bb.99:
	v_bfe_u32 v6, v70, 16, 1
	s_delay_alu instid0(VALU_DEP_1)
	v_add3_u32 v6, v70, v6, 0x7fff
; %bb.100:
	s_and_not1_saveexec_b32 s3, s3
; %bb.101:
	v_and_b32_e32 v6, 0xffff, v70
	v_or_b32_e32 v7, 0x10000, v70
	s_delay_alu instid0(VALU_DEP_2) | instskip(NEXT) | instid1(VALU_DEP_2)
	v_cmp_eq_u32_e32 vcc_lo, 0, v6
	v_cndmask_b32_e32 v6, v7, v70, vcc_lo
; %bb.102:
	s_or_b32 exec_lo, exec_lo, s3
	v_and_b32_e32 v7, 0x7f800000, v71
	s_delay_alu instid0(VALU_DEP_1) | instskip(SKIP_1) | instid1(SALU_CYCLE_1)
	v_cmp_ne_u32_e32 vcc_lo, 0x7f800000, v7
                                        ; implicit-def: $vgpr7
	s_and_saveexec_b32 s3, vcc_lo
	s_xor_b32 s3, exec_lo, s3
; %bb.103:
	v_bfe_u32 v7, v71, 16, 1
	s_delay_alu instid0(VALU_DEP_1)
	v_add3_u32 v7, v71, v7, 0x7fff
; %bb.104:
	s_and_not1_saveexec_b32 s3, s3
; %bb.105:
	v_and_b32_e32 v7, 0xffff, v71
	v_or_b32_e32 v8, 0x10000, v71
	s_delay_alu instid0(VALU_DEP_2) | instskip(NEXT) | instid1(VALU_DEP_2)
	v_cmp_eq_u32_e32 vcc_lo, 0, v7
	v_cndmask_b32_e32 v7, v8, v71, vcc_lo
; %bb.106:
	s_or_b32 exec_lo, exec_lo, s3
	v_and_b32_e32 v8, 0x7f800000, v72
	s_delay_alu instid0(VALU_DEP_1) | instskip(SKIP_1) | instid1(SALU_CYCLE_1)
	v_cmp_ne_u32_e32 vcc_lo, 0x7f800000, v8
                                        ; implicit-def: $vgpr8
	s_and_saveexec_b32 s3, vcc_lo
	s_xor_b32 s3, exec_lo, s3
; %bb.107:
	v_bfe_u32 v8, v72, 16, 1
	s_delay_alu instid0(VALU_DEP_1)
	v_add3_u32 v8, v72, v8, 0x7fff
                                        ; implicit-def: $vgpr65_vgpr66_vgpr67_vgpr68_vgpr69_vgpr70_vgpr71_vgpr72
; %bb.108:
	s_and_not1_saveexec_b32 s3, s3
; %bb.109:
	v_and_b32_e32 v8, 0xffff, v72
	v_or_b32_e32 v9, 0x10000, v72
	s_delay_alu instid0(VALU_DEP_2) | instskip(NEXT) | instid1(VALU_DEP_2)
	v_cmp_eq_u32_e32 vcc_lo, 0, v8
	v_cndmask_b32_e32 v8, v9, v72, vcc_lo
; %bb.110:
	s_or_b32 exec_lo, exec_lo, s3
	s_delay_alu instid0(VALU_DEP_1)
	v_perm_b32 v7, v8, v7, 0x7060302
	v_perm_b32 v6, v6, v5, 0x7060302
	v_perm_b32 v5, v4, v3, 0x7060302
	v_perm_b32 v4, v2, v1, 0x7060302
	s_barrier
	buffer_gl0_inv
	v_cmp_eq_u32_e32 vcc_lo, 1, v78
	ds_store_b128 v76, v[4:7]
	s_waitcnt lgkmcnt(0)
	s_barrier
	buffer_gl0_inv
	ds_load_b128 v[1:4], v82
	ds_load_b128 v[5:8], v82 offset:16
	v_cmp_eq_u32_e64 s3, 1, v79
	v_cmp_eq_u32_e64 s4, 2, v78
	;; [unrolled: 1-line block ×5, first 2 shown]
	s_waitcnt lgkmcnt(1)
	v_lshrrev_b32_e32 v9, 16, v1
	s_waitcnt lgkmcnt(0)
	v_lshrrev_b32_e32 v13, 16, v5
	v_lshrrev_b32_e32 v10, 16, v2
	;; [unrolled: 1-line block ×4, first 2 shown]
	v_cndmask_b32_e64 v19, v1, v9, s3
	v_cndmask_b32_e32 v18, v5, v13, vcc_lo
	v_cndmask_b32_e64 v20, v5, v13, s3
	v_cndmask_b32_e32 v17, v1, v9, vcc_lo
	v_cmp_eq_u32_e32 vcc_lo, 2, v79
	v_lshrrev_b32_e32 v15, 16, v7
	v_cmp_eq_u32_e64 s3, 1, v77
	v_lshrrev_b32_e32 v12, 16, v4
	v_lshrrev_b32_e32 v16, 16, v8
	v_cndmask_b32_e32 v20, v20, v6, vcc_lo
	v_cndmask_b32_e64 v17, v17, v2, s4
	v_cndmask_b32_e32 v19, v19, v2, vcc_lo
	v_cndmask_b32_e64 v18, v18, v6, s4
	v_cmp_eq_u32_e32 vcc_lo, 4, v78
	v_cmp_eq_u32_e64 s4, 3, v79
	v_cndmask_b32_e64 v17, v17, v10, s5
	v_cndmask_b32_e64 v21, v1, v9, s3
	;; [unrolled: 1-line block ×5, first 2 shown]
	v_cndmask_b32_e32 v17, v17, v3, vcc_lo
	v_cndmask_b32_e64 v20, v20, v14, s4
	v_cndmask_b32_e32 v18, v18, v7, vcc_lo
	v_cmp_eq_u32_e32 vcc_lo, 4, v79
	v_cmp_eq_u32_e64 s4, 5, v79
	v_cmp_eq_u32_e64 s3, 2, v81
	v_cndmask_b32_e64 v21, v21, v2, s7
	v_cmp_eq_u32_e64 s5, 5, v78
	v_cndmask_b32_e32 v19, v19, v3, vcc_lo
	v_cndmask_b32_e32 v20, v20, v7, vcc_lo
	v_cmp_eq_u32_e32 vcc_lo, 6, v79
	s_delay_alu instid0(VALU_DEP_4) | instskip(NEXT) | instid1(VALU_DEP_4)
	v_cndmask_b32_e64 v17, v17, v11, s5
	v_cndmask_b32_e64 v19, v19, v11, s4
	s_delay_alu instid0(VALU_DEP_4) | instskip(SKIP_1) | instid1(VALU_DEP_3)
	v_cndmask_b32_e64 v20, v20, v15, s4
	v_cmp_eq_u32_e64 s4, 1, v81
	v_cndmask_b32_e32 v19, v19, v4, vcc_lo
	v_cndmask_b32_e64 v18, v18, v15, s5
	s_delay_alu instid0(VALU_DEP_3)
	v_cndmask_b32_e64 v1, v1, v9, s4
	v_cndmask_b32_e64 v5, v5, v13, s4
	v_cmp_eq_u32_e64 s4, 3, v77
	v_cndmask_b32_e64 v13, v22, v6, s7
	v_cmp_eq_u32_e64 s7, 3, v81
	v_cndmask_b32_e64 v1, v1, v2, s3
	v_cndmask_b32_e64 v2, v5, v6, s3
	;; [unrolled: 1-line block ×3, first 2 shown]
	v_cmp_eq_u32_e64 s3, 4, v77
	v_cndmask_b32_e64 v6, v13, v14, s4
	v_cndmask_b32_e64 v1, v1, v10, s7
	v_cmp_eq_u32_e64 s4, 4, v81
	v_cndmask_b32_e64 v2, v2, v14, s7
	v_cndmask_b32_e64 v5, v9, v3, s3
	;; [unrolled: 3-line block ×3, first 2 shown]
	v_cndmask_b32_e64 v2, v2, v7, s4
	v_cmp_eq_u32_e64 s3, 5, v81
	v_cmp_eq_u32_e64 s5, 6, v78
	v_cndmask_b32_e64 v5, v5, v11, s7
	v_cmp_eq_u32_e64 s4, 6, v77
	v_cndmask_b32_e64 v3, v6, v15, s7
	v_cndmask_b32_e64 v1, v1, v11, s3
	v_cmp_eq_u32_e64 s7, 6, v81
	v_cndmask_b32_e64 v2, v2, v15, s3
	v_cndmask_b32_e64 v17, v17, v4, s5
	v_cndmask_b32_e64 v18, v18, v8, s5
	v_cmp_eq_u32_e64 s5, 7, v78
	v_cndmask_b32_e64 v5, v5, v4, s4
	;; [unrolled: 4-line block ×3, first 2 shown]
	v_cmp_eq_u32_e64 s4, 7, v77
	v_cndmask_b32_e32 v4, v20, v8, vcc_lo
	v_cndmask_b32_e64 v17, v17, v12, s5
	v_cndmask_b32_e64 v19, v19, v12, s6
	;; [unrolled: 1-line block ×8, first 2 shown]
	v_cmp_gt_u32_e32 vcc_lo, 32, v0
	v_perm_b32 v4, v2, v1, 0x5040100
	v_perm_b32 v3, v3, v5, 0x5040100
	;; [unrolled: 1-line block ×4, first 2 shown]
	s_and_b32 s2, vcc_lo, s2
	ds_store_b128 v76, v[1:4]
	s_waitcnt lgkmcnt(0)
	s_barrier
	buffer_gl0_inv
	s_and_saveexec_b32 s3, s2
	s_cbranch_execz .LBB1391_2
; %bb.111:
	s_load_b64 s[0:1], s[0:1], 0x68
	s_lshl_b32 s4, s34, 6
	v_or_b32_e32 v3, s31, v74
	s_mul_i32 s2, s4, s30
	v_lshlrev_b32_e32 v0, 10, v0
	s_mul_i32 s2, s2, s8
	v_lshlrev_b32_e32 v1, 4, v75
	s_ashr_i32 s3, s2, 31
	v_mul_lo_u32 v12, v3, s4
	s_lshl_b64 s[2:3], s[2:3], 1
	v_lshlrev_b32_e32 v2, 6, v74
	v_and_b32_e32 v0, 0x3800, v0
	s_delay_alu instid0(VALU_DEP_1) | instskip(NEXT) | instid1(VALU_DEP_4)
	v_or3_b32 v8, v0, v1, v2
	v_ashrrev_i32_e32 v13, 31, v12
	ds_load_b128 v[0:3], v8
	ds_load_b128 v[4:7], v8 offset:128
	ds_load_b128 v[8:11], v8 offset:256
	s_waitcnt lgkmcnt(0)
	s_add_u32 s2, s0, s2
	s_addc_u32 s3, s1, s3
	s_lshl_b32 s0, s14, 6
	s_delay_alu instid0(SALU_CYCLE_1) | instskip(NEXT) | instid1(SALU_CYCLE_1)
	s_ashr_i32 s1, s0, 31
	s_lshl_b64 s[0:1], s[0:1], 1
	s_delay_alu instid0(SALU_CYCLE_1)
	s_add_u32 s0, s2, s0
	s_addc_u32 s1, s3, s1
	s_lshl_b32 s2, s34, 7
	v_add_co_u32 v18, s0, s0, v73
	v_add_nc_u32_e32 v14, s2, v12
	v_lshlrev_b64 v[12:13], 1, v[12:13]
	v_add_co_ci_u32_e64 v19, null, s1, 0, s0
	s_delay_alu instid0(VALU_DEP_3) | instskip(SKIP_1) | instid1(VALU_DEP_4)
	v_add_nc_u32_e32 v16, s2, v14
	v_ashrrev_i32_e32 v15, 31, v14
	v_add_co_u32 v12, vcc_lo, v18, v12
	s_delay_alu instid0(VALU_DEP_4) | instskip(NEXT) | instid1(VALU_DEP_4)
	v_add_co_ci_u32_e32 v13, vcc_lo, v19, v13, vcc_lo
	v_ashrrev_i32_e32 v17, 31, v16
	s_delay_alu instid0(VALU_DEP_4) | instskip(NEXT) | instid1(VALU_DEP_2)
	v_lshlrev_b64 v[14:15], 1, v[14:15]
	v_lshlrev_b64 v[16:17], 1, v[16:17]
	s_delay_alu instid0(VALU_DEP_2) | instskip(NEXT) | instid1(VALU_DEP_3)
	v_add_co_u32 v14, vcc_lo, v18, v14
	v_add_co_ci_u32_e32 v15, vcc_lo, v19, v15, vcc_lo
	s_delay_alu instid0(VALU_DEP_3) | instskip(NEXT) | instid1(VALU_DEP_4)
	v_add_co_u32 v16, vcc_lo, v18, v16
	v_add_co_ci_u32_e32 v17, vcc_lo, v19, v17, vcc_lo
	s_clause 0x2
	global_store_b128 v[12:13], v[0:3], off
	global_store_b128 v[14:15], v[4:7], off
	;; [unrolled: 1-line block ×3, first 2 shown]
	s_nop 0
	s_sendmsg sendmsg(MSG_DEALLOC_VGPRS)
	s_endpgm
	.section	.rodata,"a",@progbits
	.p2align	6, 0x0
	.amdhsa_kernel _Z39paged_attention_ll4mi_QKV_mfma16_kernelI14__hip_bfloat16hLN4vllm18Fp8KVCacheDataTypeE1ES0_Li16ELi64ELi256ELb1ELi6EL8MFMAType1EEvPKT_PKT0_S9_ifPKiSB_SB_iPKfiiiPfSE_PS4_PT2_iSD_SD_
		.amdhsa_group_segment_fixed_size 17472
		.amdhsa_private_segment_fixed_size 0
		.amdhsa_kernarg_size 400
		.amdhsa_user_sgpr_count 13
		.amdhsa_user_sgpr_dispatch_ptr 0
		.amdhsa_user_sgpr_queue_ptr 0
		.amdhsa_user_sgpr_kernarg_segment_ptr 1
		.amdhsa_user_sgpr_dispatch_id 0
		.amdhsa_user_sgpr_private_segment_size 0
		.amdhsa_wavefront_size32 1
		.amdhsa_uses_dynamic_stack 0
		.amdhsa_enable_private_segment 0
		.amdhsa_system_sgpr_workgroup_id_x 1
		.amdhsa_system_sgpr_workgroup_id_y 1
		.amdhsa_system_sgpr_workgroup_id_z 1
		.amdhsa_system_sgpr_workgroup_info 0
		.amdhsa_system_vgpr_workitem_id 0
		.amdhsa_next_free_vgpr 124
		.amdhsa_next_free_sgpr 38
		.amdhsa_reserve_vcc 1
		.amdhsa_float_round_mode_32 0
		.amdhsa_float_round_mode_16_64 0
		.amdhsa_float_denorm_mode_32 3
		.amdhsa_float_denorm_mode_16_64 3
		.amdhsa_dx10_clamp 1
		.amdhsa_ieee_mode 1
		.amdhsa_fp16_overflow 0
		.amdhsa_workgroup_processor_mode 1
		.amdhsa_memory_ordered 1
		.amdhsa_forward_progress 0
		.amdhsa_shared_vgpr_count 0
		.amdhsa_exception_fp_ieee_invalid_op 0
		.amdhsa_exception_fp_denorm_src 0
		.amdhsa_exception_fp_ieee_div_zero 0
		.amdhsa_exception_fp_ieee_overflow 0
		.amdhsa_exception_fp_ieee_underflow 0
		.amdhsa_exception_fp_ieee_inexact 0
		.amdhsa_exception_int_div_zero 0
	.end_amdhsa_kernel
	.section	.text._Z39paged_attention_ll4mi_QKV_mfma16_kernelI14__hip_bfloat16hLN4vllm18Fp8KVCacheDataTypeE1ES0_Li16ELi64ELi256ELb1ELi6EL8MFMAType1EEvPKT_PKT0_S9_ifPKiSB_SB_iPKfiiiPfSE_PS4_PT2_iSD_SD_,"axG",@progbits,_Z39paged_attention_ll4mi_QKV_mfma16_kernelI14__hip_bfloat16hLN4vllm18Fp8KVCacheDataTypeE1ES0_Li16ELi64ELi256ELb1ELi6EL8MFMAType1EEvPKT_PKT0_S9_ifPKiSB_SB_iPKfiiiPfSE_PS4_PT2_iSD_SD_,comdat
.Lfunc_end1391:
	.size	_Z39paged_attention_ll4mi_QKV_mfma16_kernelI14__hip_bfloat16hLN4vllm18Fp8KVCacheDataTypeE1ES0_Li16ELi64ELi256ELb1ELi6EL8MFMAType1EEvPKT_PKT0_S9_ifPKiSB_SB_iPKfiiiPfSE_PS4_PT2_iSD_SD_, .Lfunc_end1391-_Z39paged_attention_ll4mi_QKV_mfma16_kernelI14__hip_bfloat16hLN4vllm18Fp8KVCacheDataTypeE1ES0_Li16ELi64ELi256ELb1ELi6EL8MFMAType1EEvPKT_PKT0_S9_ifPKiSB_SB_iPKfiiiPfSE_PS4_PT2_iSD_SD_
                                        ; -- End function
	.section	.AMDGPU.csdata,"",@progbits
; Kernel info:
; codeLenInByte = 8736
; NumSgprs: 40
; NumVgprs: 124
; ScratchSize: 0
; MemoryBound: 0
; FloatMode: 240
; IeeeMode: 1
; LDSByteSize: 17472 bytes/workgroup (compile time only)
; SGPRBlocks: 4
; VGPRBlocks: 15
; NumSGPRsForWavesPerEU: 40
; NumVGPRsForWavesPerEU: 124
; Occupancy: 10
; WaveLimiterHint : 1
; COMPUTE_PGM_RSRC2:SCRATCH_EN: 0
; COMPUTE_PGM_RSRC2:USER_SGPR: 13
; COMPUTE_PGM_RSRC2:TRAP_HANDLER: 0
; COMPUTE_PGM_RSRC2:TGID_X_EN: 1
; COMPUTE_PGM_RSRC2:TGID_Y_EN: 1
; COMPUTE_PGM_RSRC2:TGID_Z_EN: 1
; COMPUTE_PGM_RSRC2:TIDIG_COMP_CNT: 0
	.section	.text._Z39paged_attention_ll4mi_QKV_mfma16_kernelI14__hip_bfloat16hLN4vllm18Fp8KVCacheDataTypeE1ES0_Li16ELi64ELi256ELb1ELi7EL8MFMAType1EEvPKT_PKT0_S9_ifPKiSB_SB_iPKfiiiPfSE_PS4_PT2_iSD_SD_,"axG",@progbits,_Z39paged_attention_ll4mi_QKV_mfma16_kernelI14__hip_bfloat16hLN4vllm18Fp8KVCacheDataTypeE1ES0_Li16ELi64ELi256ELb1ELi7EL8MFMAType1EEvPKT_PKT0_S9_ifPKiSB_SB_iPKfiiiPfSE_PS4_PT2_iSD_SD_,comdat
	.protected	_Z39paged_attention_ll4mi_QKV_mfma16_kernelI14__hip_bfloat16hLN4vllm18Fp8KVCacheDataTypeE1ES0_Li16ELi64ELi256ELb1ELi7EL8MFMAType1EEvPKT_PKT0_S9_ifPKiSB_SB_iPKfiiiPfSE_PS4_PT2_iSD_SD_ ; -- Begin function _Z39paged_attention_ll4mi_QKV_mfma16_kernelI14__hip_bfloat16hLN4vllm18Fp8KVCacheDataTypeE1ES0_Li16ELi64ELi256ELb1ELi7EL8MFMAType1EEvPKT_PKT0_S9_ifPKiSB_SB_iPKfiiiPfSE_PS4_PT2_iSD_SD_
	.globl	_Z39paged_attention_ll4mi_QKV_mfma16_kernelI14__hip_bfloat16hLN4vllm18Fp8KVCacheDataTypeE1ES0_Li16ELi64ELi256ELb1ELi7EL8MFMAType1EEvPKT_PKT0_S9_ifPKiSB_SB_iPKfiiiPfSE_PS4_PT2_iSD_SD_
	.p2align	8
	.type	_Z39paged_attention_ll4mi_QKV_mfma16_kernelI14__hip_bfloat16hLN4vllm18Fp8KVCacheDataTypeE1ES0_Li16ELi64ELi256ELb1ELi7EL8MFMAType1EEvPKT_PKT0_S9_ifPKiSB_SB_iPKfiiiPfSE_PS4_PT2_iSD_SD_,@function
_Z39paged_attention_ll4mi_QKV_mfma16_kernelI14__hip_bfloat16hLN4vllm18Fp8KVCacheDataTypeE1ES0_Li16ELi64ELi256ELb1ELi7EL8MFMAType1EEvPKT_PKT0_S9_ifPKiSB_SB_iPKfiiiPfSE_PS4_PT2_iSD_SD_: ; @_Z39paged_attention_ll4mi_QKV_mfma16_kernelI14__hip_bfloat16hLN4vllm18Fp8KVCacheDataTypeE1ES0_Li16ELi64ELi256ELb1ELi7EL8MFMAType1EEvPKT_PKT0_S9_ifPKiSB_SB_iPKfiiiPfSE_PS4_PT2_iSD_SD_
; %bb.0:
	s_load_b64 s[2:3], s[0:1], 0x30
	s_mov_b32 s34, s13
	s_waitcnt lgkmcnt(0)
	s_cmp_lg_u64 s[2:3], 0
	s_cselect_b32 s8, -1, 0
	s_ashr_i32 s35, s13, 31
	s_cmp_eq_u64 s[2:3], 0
	s_cbranch_scc1 .LBB1392_3
; %bb.1:
	s_lshl_b64 s[4:5], s[34:35], 2
	s_delay_alu instid0(SALU_CYCLE_1) | instskip(SKIP_4) | instid1(SALU_CYCLE_1)
	s_add_u32 s4, s2, s4
	s_addc_u32 s5, s3, s5
	s_load_b64 s[4:5], s[4:5], 0x0
	s_waitcnt lgkmcnt(0)
	s_sub_i32 s4, s5, s4
	s_cmp_eq_u32 s4, 1
	s_cselect_b32 s4, -1, 0
	s_delay_alu instid0(SALU_CYCLE_1)
	s_and_not1_b32 vcc_lo, exec_lo, s4
	s_cbranch_vccz .LBB1392_4
.LBB1392_2:
	s_nop 0
	s_sendmsg sendmsg(MSG_DEALLOC_VGPRS)
	s_endpgm
.LBB1392_3:
.LBB1392_4:
	s_load_b64 s[4:5], s[0:1], 0x28
	s_lshl_b64 s[6:7], s[34:35], 2
	s_waitcnt lgkmcnt(0)
	s_add_u32 s4, s4, s6
	s_addc_u32 s5, s5, s7
	s_lshl_b32 s12, s14, 8
	s_load_b32 s24, s[4:5], 0x0
	s_waitcnt lgkmcnt(0)
	s_cmp_ge_i32 s12, s24
	s_cbranch_scc1 .LBB1392_2
; %bb.5:
	s_clause 0x1
	s_load_b128 s[20:23], s[0:1], 0x8
	s_load_b64 s[4:5], s[0:1], 0x20
	s_and_not1_b32 vcc_lo, exec_lo, s8
	s_cbranch_vccnz .LBB1392_7
; %bb.6:
	s_add_u32 s2, s2, s6
	s_addc_u32 s3, s3, s7
	s_load_b32 s3, s[2:3], 0x0
	s_branch .LBB1392_8
.LBB1392_7:
	s_mov_b32 s3, s34
.LBB1392_8:
	s_load_b128 s[16:19], s[0:1], 0x48
	v_lshrrev_b32_e32 v66, 5, v0
	v_bfe_u32 v74, v0, 4, 1
	v_and_b32_e32 v65, 15, v0
	v_and_b32_e32 v67, 31, v0
	;; [unrolled: 1-line block ×3, first 2 shown]
	s_mul_i32 s31, s15, 7
	v_lshl_or_b32 v1, v66, 1, v74
	v_lshlrev_b32_e32 v2, 3, v65
	v_cmp_gt_u32_e64 s2, 8, v65
	s_delay_alu instid0(VALU_DEP_3) | instskip(NEXT) | instid1(VALU_DEP_3)
	v_cmp_gt_u32_e32 vcc_lo, 7, v1
	v_lshlrev_b32_e32 v73, 1, v2
	s_delay_alu instid0(VALU_DEP_3) | instskip(NEXT) | instid1(SALU_CYCLE_1)
	s_and_b32 s7, s2, vcc_lo
	s_and_saveexec_b32 s6, s7
	s_cbranch_execz .LBB1392_10
; %bb.9:
	s_load_b64 s[8:9], s[0:1], 0x0
	v_add_lshl_u32 v2, v1, s31, 6
	s_waitcnt lgkmcnt(0)
	s_mul_hi_i32 s11, s3, s16
	s_mul_i32 s10, s3, s16
	v_lshlrev_b32_e32 v6, 10, v65
	s_lshl_b64 s[10:11], s[10:11], 1
	v_ashrrev_i32_e32 v3, 31, v2
	v_lshlrev_b32_e32 v1, 6, v1
	v_lshlrev_b32_e32 v7, 10, v75
	v_and_b32_e32 v6, 0x3800, v6
	s_delay_alu instid0(VALU_DEP_4) | instskip(NEXT) | instid1(VALU_DEP_2)
	v_lshlrev_b64 v[2:3], 1, v[2:3]
	v_or3_b32 v1, v6, v7, v1
	s_add_u32 s3, s8, s10
	s_addc_u32 s7, s9, s11
	s_delay_alu instid0(VALU_DEP_2) | instskip(NEXT) | instid1(VALU_DEP_3)
	v_add_co_u32 v2, vcc_lo, s3, v2
	v_add_co_ci_u32_e32 v3, vcc_lo, s7, v3, vcc_lo
	s_delay_alu instid0(VALU_DEP_2) | instskip(NEXT) | instid1(VALU_DEP_2)
	v_add_co_u32 v2, vcc_lo, v2, v73
	v_add_co_ci_u32_e32 v3, vcc_lo, 0, v3, vcc_lo
	global_load_b128 v[2:5], v[2:3], off
	s_waitcnt vmcnt(0)
	ds_store_b128 v1, v[2:5]
.LBB1392_10:
	s_or_b32 exec_lo, exec_lo, s6
	v_and_b32_e32 v1, 0xef, v0
	s_waitcnt lgkmcnt(0)
	s_add_i32 s3, s24, 15
	s_clause 0x1
	s_load_b32 s6, s[0:1], 0x38
	s_load_b32 s19, s[0:1], 0x1c
	s_ashr_i32 s7, s3, 31
	v_add_nc_u32_e32 v1, s12, v1
	s_lshr_b32 s7, s7, 28
	s_waitcnt lgkmcnt(0)
	s_add_i32 s3, s3, s7
	s_barrier
	v_ashrrev_i32_e32 v2, 31, v1
	v_or_b32_e32 v3, 16, v1
	s_ashr_i32 s3, s3, 4
	v_cmp_gt_i32_e32 vcc_lo, s24, v1
	s_add_i32 s3, s3, -1
	v_lshrrev_b32_e32 v2, 28, v2
	buffer_gl0_inv
	s_mul_i32 s27, s15, s18
	v_add_nc_u32_e32 v4, v1, v2
	s_mul_i32 s6, s34, s6
	s_delay_alu instid0(SALU_CYCLE_1) | instskip(NEXT) | instid1(VALU_DEP_1)
	s_ashr_i32 s7, s6, 31
	v_ashrrev_i32_e32 v4, 4, v4
	v_add_nc_u32_e32 v2, v3, v2
	s_lshl_b64 s[6:7], s[6:7], 2
	s_delay_alu instid0(SALU_CYCLE_1) | instskip(NEXT) | instid1(VALU_DEP_2)
	s_add_u32 s26, s4, s6
	v_cndmask_b32_e32 v1, s3, v4, vcc_lo
	s_delay_alu instid0(VALU_DEP_2)
	v_ashrrev_i32_e32 v2, 4, v2
	v_cmp_gt_i32_e32 vcc_lo, s24, v3
	s_addc_u32 s25, s5, s7
	s_ashr_i32 s28, s27, 31
	s_add_u32 s13, s20, s27
	s_addc_u32 s15, s21, s28
	v_cndmask_b32_e32 v3, s3, v2, vcc_lo
	v_ashrrev_i32_e32 v2, 31, v1
	s_lshl_b32 s4, s14, 4
	s_delay_alu instid0(SALU_CYCLE_1) | instskip(NEXT) | instid1(VALU_DEP_2)
	s_ashr_i32 s5, s4, 31
	v_ashrrev_i32_e32 v4, 31, v3
	s_delay_alu instid0(VALU_DEP_2) | instskip(SKIP_1) | instid1(SALU_CYCLE_1)
	v_lshlrev_b64 v[1:2], 2, v[1:2]
	s_lshl_b64 s[4:5], s[4:5], 2
	s_add_u32 s4, s26, s4
	s_delay_alu instid0(VALU_DEP_2) | instskip(SKIP_1) | instid1(VALU_DEP_2)
	v_lshlrev_b64 v[3:4], 2, v[3:4]
	s_addc_u32 s5, s25, s5
	v_add_co_u32 v1, vcc_lo, s26, v1
	v_add_co_ci_u32_e32 v2, vcc_lo, s25, v2, vcc_lo
	s_delay_alu instid0(VALU_DEP_3) | instskip(NEXT) | instid1(VALU_DEP_4)
	v_add_co_u32 v3, vcc_lo, s26, v3
	v_add_co_ci_u32_e32 v4, vcc_lo, s25, v4, vcc_lo
	s_clause 0x1
	global_load_b32 v5, v[1:2], off
	global_load_b32 v7, v[3:4], off
	s_or_b32 s6, s12, 32
	v_lshlrev_b32_e32 v1, 4, v0
	s_ashr_i32 s7, s6, 4
	s_cmp_lt_i32 s6, s24
	s_cselect_b32 s6, s7, s3
	s_delay_alu instid0(VALU_DEP_1) | instskip(SKIP_1) | instid1(SALU_CYCLE_1)
	v_and_b32_e32 v1, 0xf0, v1
	s_ashr_i32 s7, s6, 31
	s_lshl_b64 s[6:7], s[6:7], 2
	s_delay_alu instid0(SALU_CYCLE_1)
	s_add_u32 s6, s26, s6
	s_addc_u32 s7, s25, s7
	s_or_b32 s8, s12, 64
	v_add_co_u32 v1, s13, s13, v1
	s_ashr_i32 s9, s8, 4
	s_cmp_lt_i32 s8, s24
	v_add_co_ci_u32_e64 v2, null, s15, 0, s13
	s_cselect_b32 s8, s9, s3
	s_delay_alu instid0(SALU_CYCLE_1) | instskip(NEXT) | instid1(SALU_CYCLE_1)
	s_ashr_i32 s9, s8, 31
	s_lshl_b64 s[8:9], s[8:9], 2
	s_delay_alu instid0(SALU_CYCLE_1) | instskip(SKIP_2) | instid1(SALU_CYCLE_1)
	s_add_u32 s8, s26, s8
	s_addc_u32 s9, s25, s9
	s_or_b32 s10, s12, 0x60
	s_ashr_i32 s11, s10, 4
	s_cmp_lt_i32 s10, s24
	s_cselect_b32 s10, s11, s3
	s_delay_alu instid0(SALU_CYCLE_1) | instskip(NEXT) | instid1(SALU_CYCLE_1)
	s_ashr_i32 s11, s10, 31
	s_lshl_b64 s[10:11], s[10:11], 2
	s_delay_alu instid0(SALU_CYCLE_1) | instskip(SKIP_2) | instid1(SALU_CYCLE_1)
	s_add_u32 s10, s26, s10
	s_addc_u32 s11, s25, s11
	s_or_b32 s16, s12, 0x80
	s_ashr_i32 s18, s16, 4
	s_cmp_lt_i32 s16, s24
	;; [unrolled: 10-line block ×3, first 2 shown]
	s_cselect_b32 s20, s18, s3
	s_delay_alu instid0(SALU_CYCLE_1) | instskip(NEXT) | instid1(SALU_CYCLE_1)
	s_ashr_i32 s21, s20, 31
	s_lshl_b64 s[20:21], s[20:21], 2
	s_delay_alu instid0(SALU_CYCLE_1)
	s_add_u32 s38, s26, s20
	s_addc_u32 s39, s25, s21
	s_clause 0x5
	s_load_b32 s21, s[4:5], 0x0
	s_load_b32 s13, s[6:7], 0x0
	;; [unrolled: 1-line block ×6, first 2 shown]
	s_or_b32 s9, s12, 0xc0
	s_mov_b32 s4, 0
	s_ashr_i32 s10, s9, 4
	s_cmp_lt_i32 s9, s24
	s_mov_b32 s11, s4
	s_cselect_b32 s36, s10, s3
	s_mov_b32 s5, s4
	s_ashr_i32 s37, s36, 31
	s_mov_b32 s6, s4
	s_lshl_b64 s[36:37], s[36:37], 2
	s_mov_b32 s7, s4
	s_add_u32 s36, s26, s36
	s_addc_u32 s37, s25, s37
	s_or_b32 s29, s12, 0xe0
	s_mov_b32 s8, s4
	s_ashr_i32 s30, s29, 4
	s_mov_b32 s9, s4
	s_mov_b32 s10, s4
	s_cmp_lt_i32 s29, s24
	v_dual_mov_b32 v107, s11 :: v_dual_mov_b32 v100, s4
	v_mov_b32_e32 v106, s10
	v_dual_mov_b32 v104, s8 :: v_dual_mov_b32 v103, s7
	v_dual_mov_b32 v102, s6 :: v_dual_mov_b32 v101, s5
	s_waitcnt vmcnt(1)
	v_mad_i64_i32 v[3:4], null, v5, s17, v[1:2]
	s_waitcnt vmcnt(0)
	v_mad_i64_i32 v[5:6], null, v7, s17, v[1:2]
	v_mul_lo_u16 v1, v65, 37
	v_lshlrev_b32_e32 v2, 4, v65
	s_clause 0x7
	global_load_b128 v[49:52], v[3:4], off
	global_load_b128 v[53:56], v[3:4], off offset:256
	global_load_b128 v[76:79], v[5:6], off
	global_load_b128 v[80:83], v[5:6], off offset:256
	global_load_b128 v[84:87], v[3:4], off offset:512
	;; [unrolled: 1-line block ×5, first 2 shown]
	v_lshrrev_b16 v1, 8, v1
	v_lshl_or_b32 v2, v66, 8, v2
	s_delay_alu instid0(VALU_DEP_2) | instskip(NEXT) | instid1(VALU_DEP_1)
	v_mul_lo_u16 v1, v1, 7
	v_sub_nc_u16 v1, v65, v1
	s_delay_alu instid0(VALU_DEP_1)
	v_and_b32_e32 v1, 0xff, v1
	v_mov_b32_e32 v105, s9
	s_cselect_b32 s4, s30, s3
	s_load_b32 s3, s[36:37], 0x0
	s_ashr_i32 s5, s4, 31
	v_lshlrev_b32_e32 v70, 6, v1
	s_lshl_b64 s[4:5], s[4:5], 2
	ds_load_b128 v[108:111], v70
	ds_load_b128 v[112:115], v70 offset:1024
	s_add_u32 s4, s26, s4
	s_addc_u32 s5, s25, s5
	s_add_u32 s6, s22, s27
	s_load_b32 s4, s[4:5], 0x0
	s_addc_u32 s7, s23, s28
	v_add_co_u32 v9, s6, s6, v2
	s_delay_alu instid0(VALU_DEP_1) | instskip(SKIP_1) | instid1(VALU_DEP_1)
	v_add_co_ci_u32_e64 v10, null, s7, 0, s6
	s_waitcnt lgkmcnt(0)
	v_mad_i64_i32 v[1:2], null, s21, s17, v[9:10]
	v_mad_i64_i32 v[3:4], null, s13, s17, v[9:10]
	;; [unrolled: 1-line block ×7, first 2 shown]
	s_clause 0x9
	global_load_b128 v[57:60], v[1:2], off
	global_load_b128 v[61:64], v[1:2], off offset:16
	global_load_b128 v[41:44], v[3:4], off
	global_load_b128 v[45:48], v[3:4], off offset:16
	;; [unrolled: 2-line block ×5, first 2 shown]
	v_mad_i64_i32 v[68:69], null, s4, s17, v[9:10]
	s_clause 0x3
	global_load_b128 v[9:12], v[13:14], off
	global_load_b128 v[13:16], v[13:14], off offset:16
	global_load_b128 v[17:20], v[21:22], off
	global_load_b128 v[21:24], v[21:22], off offset:16
	s_waitcnt vmcnt(20)
	v_wmma_f32_16x16x16_bf16 v[116:123], v[49:56], v[108:115], v[100:107]
	s_clause 0x1
	global_load_b128 v[49:52], v[68:69], off
	global_load_b128 v[53:56], v[68:69], off offset:16
	v_and_b32_e32 v68, 0xe0, v0
	v_mbcnt_lo_u32_b32 v69, -1, 0
	s_delay_alu instid0(VALU_DEP_2)
	v_add_nc_u32_e32 v68, s12, v68
	s_waitcnt vmcnt(20)
	v_wmma_f32_16x16x16_bf16 v[100:107], v[76:83], v[108:115], v[100:107]
	ds_load_b128 v[76:79], v70 offset:2048
	ds_load_b128 v[80:83], v70 offset:3072
	v_xor_b32_e32 v70, 16, v69
	s_waitcnt vmcnt(0) lgkmcnt(0)
	v_or_b32_e32 v68, v68, v74
	s_barrier
	buffer_gl0_inv
	v_cmp_gt_i32_e32 vcc_lo, 32, v70
	v_or_b32_e32 v71, 4, v68
	v_or_b32_e32 v72, 6, v68
	v_cmp_gt_i32_e64 s3, s24, v68
	v_or_b32_e32 v108, 8, v68
	v_or_b32_e32 v109, 10, v68
	v_cmp_gt_i32_e64 s4, s24, v71
	v_cmp_gt_i32_e64 s5, s24, v72
	s_delay_alu instid0(VALU_DEP_4) | instskip(NEXT) | instid1(VALU_DEP_4)
	v_cmp_gt_i32_e64 s6, s24, v108
	v_cmp_gt_i32_e64 s7, s24, v109
	v_wmma_f32_16x16x16_bf16 v[116:123], v[84:91], v[76:83], v[116:123]
	v_cndmask_b32_e32 v69, v69, v70, vcc_lo
	v_or_b32_e32 v70, 2, v68
	v_wmma_f32_16x16x16_bf16 v[100:107], v[92:99], v[76:83], v[100:107]
	v_or_b32_e32 v89, 22, v68
	v_dual_mul_f32 v80, s19, v121 :: v_dual_mul_f32 v81, s19, v120
	v_dual_mul_f32 v92, s19, v117 :: v_dual_mul_f32 v93, s19, v116
	s_delay_alu instid0(VALU_DEP_4)
	v_mul_f32_e32 v96, s19, v105
	v_cmp_gt_i32_e32 vcc_lo, s24, v70
	v_dual_mul_f32 v79, s19, v122 :: v_dual_mul_f32 v82, s19, v119
	v_dual_mul_f32 v83, s19, v118 :: v_dual_mul_f32 v94, s19, v107
	v_cndmask_b32_e64 v93, 0xff7fffff, v93, s3
	v_cndmask_b32_e32 v92, 0xff7fffff, v92, vcc_lo
	v_or_b32_e32 v84, 12, v68
	v_or_b32_e32 v85, 14, v68
	v_cndmask_b32_e64 v71, 0xff7fffff, v83, s4
	v_cndmask_b32_e64 v72, 0xff7fffff, v82, s5
	v_cmp_gt_i32_e64 s13, s24, v89
	v_lshlrev_b32_e32 v89, 2, v69
	v_max3_f32 v82, v93, 0xff7fffff, v92
	v_or_b32_e32 v86, 16, v68
	v_or_b32_e32 v87, 18, v68
	v_mul_f32_e32 v78, s19, v123
	v_cndmask_b32_e64 v81, 0xff7fffff, v81, s6
	v_cndmask_b32_e64 v80, 0xff7fffff, v80, s7
	v_max3_f32 v71, v82, v71, v72
	v_cmp_gt_i32_e64 s8, s24, v84
	v_cmp_gt_i32_e64 s9, s24, v85
	v_or_b32_e32 v88, 20, v68
	v_or_b32_e32 v90, 24, v68
	v_or_b32_e32 v91, 26, v68
	v_or_b32_e32 v76, 28, v68
	v_or_b32_e32 v77, 30, v68
	v_dual_mul_f32 v97, s19, v104 :: v_dual_mul_f32 v70, s19, v101
	v_dual_mul_f32 v99, s19, v102 :: v_dual_mul_f32 v68, s19, v100
	v_cndmask_b32_e64 v72, 0xff7fffff, v79, s8
	v_cndmask_b32_e64 v78, 0xff7fffff, v78, s9
	v_max3_f32 v71, v71, v81, v80
	v_cmp_gt_i32_e64 s10, s24, v86
	v_cmp_gt_i32_e64 s11, s24, v87
	v_dual_mul_f32 v95, s19, v106 :: v_dual_mul_f32 v98, s19, v103
	s_delay_alu instid0(VALU_DEP_4) | instskip(NEXT) | instid1(VALU_DEP_4)
	v_max3_f32 v71, v71, v72, v78
	v_cndmask_b32_e64 v68, 0xff7fffff, v68, s10
	s_delay_alu instid0(VALU_DEP_4)
	v_cndmask_b32_e64 v70, 0xff7fffff, v70, s11
	v_cmp_gt_i32_e64 s12, s24, v88
	v_cndmask_b32_e64 v78, 0xff7fffff, v98, s13
	v_cmp_gt_i32_e64 s15, s24, v90
	v_cmp_gt_i32_e64 s16, s24, v91
	v_max3_f32 v68, v71, v68, v70
	v_cndmask_b32_e64 v72, 0xff7fffff, v99, s12
	v_cmp_gt_i32_e64 s17, s24, v76
	v_cndmask_b32_e64 v70, 0xff7fffff, v97, s15
	v_cndmask_b32_e64 v71, 0xff7fffff, v96, s16
	v_cmp_gt_i32_e64 s18, s24, v77
	v_max3_f32 v68, v68, v72, v78
	v_cndmask_b32_e64 v72, 0xff7fffff, v95, s17
	s_delay_alu instid0(VALU_DEP_3) | instskip(NEXT) | instid1(VALU_DEP_3)
	v_cndmask_b32_e64 v76, 0xff7fffff, v94, s18
	v_max3_f32 v68, v68, v70, v71
	s_delay_alu instid0(VALU_DEP_1) | instskip(SKIP_3) | instid1(VALU_DEP_1)
	v_max3_f32 v68, v68, v72, v76
	ds_bpermute_b32 v69, v89, v68
	s_waitcnt lgkmcnt(0)
	v_max_f32_e32 v69, v69, v69
	v_max_f32_e32 v68, v68, v69
	s_delay_alu instid0(VALU_DEP_1) | instskip(NEXT) | instid1(VALU_DEP_1)
	v_fma_f32 v71, s19, v118, -v68
	v_mul_f32_e32 v71, 0x3fb8aa3b, v71
	v_fma_f32 v70, s19, v117, -v68
	v_fma_f32 v69, s19, v116, -v68
	;; [unrolled: 1-line block ×5, first 2 shown]
	s_delay_alu instid0(VALU_DEP_4) | instskip(SKIP_1) | instid1(VALU_DEP_3)
	v_dual_mul_f32 v70, 0x3fb8aa3b, v70 :: v_dual_mul_f32 v69, 0x3fb8aa3b, v69
	v_exp_f32_e32 v71, v71
	v_mul_f32_e32 v72, 0x3fb8aa3b, v72
	v_fma_f32 v81, s19, v105, -v68
	s_delay_alu instid0(VALU_DEP_3)
	v_exp_f32_e32 v70, v70
	v_mul_f32_e32 v77, 0x3fb8aa3b, v76
	v_exp_f32_e32 v69, v69
	v_exp_f32_e32 v72, v72
	v_mul_f32_e32 v81, 0x3fb8aa3b, v81
	v_cndmask_b32_e64 v83, 0, v71, s4
	v_fma_f32 v71, s19, v123, -v68
	s_delay_alu instid0(VALU_DEP_3) | instskip(SKIP_4) | instid1(TRANS32_DEP_3)
	v_exp_f32_e32 v81, v81
	v_cndmask_b32_e32 v76, 0, v70, vcc_lo
	v_exp_f32_e32 v77, v77
	v_cndmask_b32_e64 v80, 0, v69, s3
	v_fma_f32 v69, s19, v121, -v68
	v_cndmask_b32_e64 v85, 0, v72, s5
	v_mul_f32_e32 v71, 0x3fb8aa3b, v71
	v_fma_f32 v72, s19, v100, -v68
	s_delay_alu instid0(VALU_DEP_4) | instskip(SKIP_1) | instid1(VALU_DEP_4)
	v_dual_add_f32 v70, 0, v80 :: v_dual_mul_f32 v69, 0x3fb8aa3b, v69
	v_cmp_gt_u32_e64 s3, 16, v67
	v_exp_f32_e32 v71, v71
	s_delay_alu instid0(TRANS32_DEP_2) | instskip(SKIP_4) | instid1(VALU_DEP_3)
	v_cndmask_b32_e64 v86, 0, v77, s6
	v_fma_f32 v77, s19, v101, -v68
	v_mul_f32_e32 v78, 0x3fb8aa3b, v78
	v_add_f32_e32 v70, v70, v76
	v_exp_f32_e32 v69, v69
	v_mul_f32_e32 v77, 0x3fb8aa3b, v77
	s_delay_alu instid0(VALU_DEP_3) | instskip(NEXT) | instid1(TRANS32_DEP_3)
	v_exp_f32_e32 v78, v78
	v_cndmask_b32_e64 v88, 0, v71, s9
	v_fma_f32 v71, s19, v104, -v68
	s_delay_alu instid0(VALU_DEP_3) | instskip(NEXT) | instid1(TRANS32_DEP_3)
	v_exp_f32_e32 v77, v77
	v_cndmask_b32_e64 v87, 0, v69, s7
	s_delay_alu instid0(VALU_DEP_2)
	v_mul_f32_e32 v71, 0x3fb8aa3b, v71
	s_waitcnt_depctr 0xfff
	v_cndmask_b32_e64 v84, 0, v78, s8
	v_add_f32_e32 v70, v70, v83
	v_fma_f32 v78, s19, v103, -v68
	v_exp_f32_e32 v82, v71
	s_delay_alu instid0(VALU_DEP_2) | instskip(SKIP_1) | instid1(VALU_DEP_3)
	v_add_f32_e32 v70, v70, v85
	v_mul_f32_e32 v72, 0x3fb8aa3b, v72
	v_mul_f32_e32 v78, 0x3fb8aa3b, v78
	s_delay_alu instid0(VALU_DEP_3) | instskip(SKIP_1) | instid1(VALU_DEP_4)
	v_add_f32_e32 v69, v70, v86
	v_fma_f32 v70, s19, v102, -v68
	v_exp_f32_e32 v72, v72
	s_delay_alu instid0(VALU_DEP_3) | instskip(NEXT) | instid1(VALU_DEP_1)
	v_exp_f32_e32 v78, v78
	v_dual_add_f32 v69, v69, v87 :: v_dual_mul_f32 v70, 0x3fb8aa3b, v70
	s_delay_alu instid0(VALU_DEP_1) | instskip(NEXT) | instid1(VALU_DEP_2)
	v_add_f32_e32 v69, v69, v84
	v_exp_f32_e32 v79, v70
	s_delay_alu instid0(TRANS32_DEP_3) | instskip(NEXT) | instid1(VALU_DEP_2)
	v_cndmask_b32_e64 v70, 0, v72, s10
	v_add_f32_e32 v72, v69, v88
	v_cndmask_b32_e64 v69, 0, v77, s11
	v_fma_f32 v77, s19, v106, -v68
	s_waitcnt_depctr 0xfff
	v_cndmask_b32_e64 v71, 0, v79, s12
	v_dual_mul_f32 v77, 0x3fb8aa3b, v77 :: v_dual_add_f32 v72, v72, v70
	s_delay_alu instid0(VALU_DEP_1) | instskip(NEXT) | instid1(VALU_DEP_1)
	v_exp_f32_e32 v90, v77
	v_add_f32_e32 v79, v72, v69
	v_cndmask_b32_e64 v72, 0, v78, s13
	v_cndmask_b32_e64 v77, 0, v82, s15
	s_delay_alu instid0(VALU_DEP_3) | instskip(SKIP_1) | instid1(VALU_DEP_1)
	v_add_f32_e32 v78, v79, v71
	v_fma_f32 v79, s19, v107, -v68
	v_dual_add_f32 v82, v78, v72 :: v_dual_mul_f32 v79, 0x3fb8aa3b, v79
	v_cndmask_b32_e64 v78, 0, v81, s16
	s_delay_alu instid0(VALU_DEP_2) | instskip(NEXT) | instid1(VALU_DEP_3)
	v_add_f32_e32 v81, v82, v77
	v_exp_f32_e32 v82, v79
	v_cndmask_b32_e64 v79, 0, v90, s17
	s_delay_alu instid0(VALU_DEP_2) | instskip(NEXT) | instid1(VALU_DEP_1)
	v_add_f32_e32 v81, v81, v78
	v_add_f32_e32 v90, v81, v79
	s_waitcnt_depctr 0xfff
	v_cndmask_b32_e64 v81, 0, v82, s18
	s_delay_alu instid0(VALU_DEP_1)
	v_add_f32_e32 v82, v90, v81
	ds_bpermute_b32 v89, v89, v82
	s_and_saveexec_b32 s4, s3
	s_cbranch_execz .LBB1392_12
; %bb.11:
	v_mul_u32_u24_e32 v67, 0x44, v66
	s_delay_alu instid0(VALU_DEP_1) | instskip(SKIP_1) | instid1(VALU_DEP_1)
	v_lshl_add_u32 v67, v65, 2, v67
	s_waitcnt lgkmcnt(0)
	v_dual_add_f32 v82, v82, v89 :: v_dual_add_nc_u32 v67, 0x4000, v67
	ds_store_2addr_b32 v67, v68, v82 offset1:136
.LBB1392_12:
	s_or_b32 exec_lo, exec_lo, s4
	v_lshlrev_b32_e32 v67, 2, v65
	s_waitcnt lgkmcnt(0)
	s_barrier
	buffer_gl0_inv
	v_cmp_eq_u32_e32 vcc_lo, 1, v66
	v_add_nc_u32_e32 v82, 0x4000, v67
	v_cmp_eq_u32_e64 s4, 2, v66
	v_cmp_eq_u32_e64 s6, 7, v66
	ds_load_2addr_b32 v[89:90], v82 offset1:17
	ds_load_2addr_b32 v[91:92], v82 offset0:34 offset1:51
	ds_load_2addr_b32 v[93:94], v82 offset0:68 offset1:85
	;; [unrolled: 1-line block ×4, first 2 shown]
	s_waitcnt lgkmcnt(4)
	v_max3_f32 v67, v89, 0xff7fffff, v90
	s_waitcnt lgkmcnt(3)
	s_delay_alu instid0(VALU_DEP_1) | instskip(SKIP_1) | instid1(VALU_DEP_1)
	v_max3_f32 v67, v67, v91, v92
	s_waitcnt lgkmcnt(2)
	v_max3_f32 v67, v67, v93, v94
	s_waitcnt lgkmcnt(1)
	s_delay_alu instid0(VALU_DEP_1) | instskip(NEXT) | instid1(VALU_DEP_1)
	v_max3_f32 v67, v67, v95, v96
	v_sub_f32_e32 v93, v93, v67
	s_delay_alu instid0(VALU_DEP_1) | instskip(NEXT) | instid1(VALU_DEP_1)
	v_dual_sub_f32 v68, v89, v67 :: v_dual_mul_f32 v103, 0x3fb8aa3b, v93
	v_mul_f32_e32 v68, 0x3fb8aa3b, v68
	s_delay_alu instid0(VALU_DEP_1)
	v_exp_f32_e32 v100, v68
	v_sub_f32_e32 v68, v92, v67
	v_sub_f32_e32 v99, v90, v67
	ds_load_2addr_b32 v[89:90], v82 offset0:170 offset1:187
	v_dual_mul_f32 v102, 0x3fb8aa3b, v68 :: v_dual_mul_f32 v99, 0x3fb8aa3b, v99
	s_waitcnt lgkmcnt(1)
	v_fma_f32 v68, v100, v97, 0
	s_delay_alu instid0(VALU_DEP_2) | instskip(NEXT) | instid1(VALU_DEP_2)
	v_exp_f32_e32 v102, v102
	v_exp_f32_e32 v99, v99
	s_waitcnt_depctr 0xfff
	v_fmac_f32_e32 v68, v99, v98
	v_sub_f32_e32 v91, v91, v67
	s_delay_alu instid0(VALU_DEP_1)
	v_mul_f32_e32 v101, 0x3fb8aa3b, v91
	ds_load_2addr_b32 v[91:92], v82 offset0:204 offset1:221
	v_sub_f32_e32 v97, v94, v67
	ds_load_2addr_b32 v[93:94], v82 offset0:238 offset1:255
	s_waitcnt lgkmcnt(0)
	v_exp_f32_e32 v101, v101
	s_barrier
	buffer_gl0_inv
	v_dual_fmac_f32 v68, v101, v89 :: v_dual_sub_f32 v89, v96, v67
	v_dual_sub_f32 v82, v95, v67 :: v_dual_mul_f32 v95, 0x3fb8aa3b, v97
	v_exp_f32_e32 v97, v103
	s_delay_alu instid0(VALU_DEP_2) | instskip(NEXT) | instid1(VALU_DEP_2)
	v_dual_fmac_f32 v68, v102, v90 :: v_dual_mul_f32 v89, 0x3fb8aa3b, v89
	v_mul_f32_e32 v82, 0x3fb8aa3b, v82
	s_delay_alu instid0(VALU_DEP_3) | instskip(NEXT) | instid1(VALU_DEP_2)
	v_exp_f32_e32 v95, v95
	v_exp_f32_e32 v89, v89
	s_delay_alu instid0(VALU_DEP_1)
	v_exp_f32_e32 v82, v82
	v_fmac_f32_e32 v68, v97, v91
	s_delay_alu instid0(TRANS32_DEP_3) | instid1(VALU_DEP_1)
	v_fmac_f32_e32 v68, v95, v92
	s_waitcnt_depctr 0xfff
	v_fmac_f32_e32 v68, v82, v93
	s_delay_alu instid0(VALU_DEP_1) | instskip(NEXT) | instid1(VALU_DEP_1)
	v_fmac_f32_e32 v68, v89, v94
	v_add_f32_e32 v90, 0x358637bd, v68
	s_delay_alu instid0(VALU_DEP_1) | instskip(NEXT) | instid1(VALU_DEP_1)
	v_div_scale_f32 v91, null, v90, v90, 1.0
	v_rcp_f32_e32 v92, v91
	s_waitcnt_depctr 0xfff
	v_fma_f32 v93, -v91, v92, 1.0
	s_delay_alu instid0(VALU_DEP_1) | instskip(SKIP_1) | instid1(VALU_DEP_2)
	v_dual_fmac_f32 v92, v93, v92 :: v_dual_cndmask_b32 v93, v100, v99
	v_cmp_eq_u32_e32 vcc_lo, 3, v66
	v_cndmask_b32_e64 v93, v93, v101, s4
	v_cmp_eq_u32_e64 s4, 4, v66
	s_delay_alu instid0(VALU_DEP_2) | instskip(SKIP_1) | instid1(VALU_DEP_2)
	v_cndmask_b32_e32 v93, v93, v102, vcc_lo
	v_cmp_eq_u32_e32 vcc_lo, 5, v66
	v_cndmask_b32_e64 v93, v93, v97, s4
	v_cmp_eq_u32_e64 s4, 6, v66
	s_delay_alu instid0(VALU_DEP_2) | instskip(SKIP_1) | instid1(VALU_DEP_1)
	v_cndmask_b32_e32 v93, v93, v95, vcc_lo
	v_div_scale_f32 v94, s5, 1.0, v90, 1.0
	s_mov_b32 vcc_lo, s5
	s_delay_alu instid0(VALU_DEP_2) | instskip(NEXT) | instid1(VALU_DEP_2)
	v_cndmask_b32_e64 v82, v93, v82, s4
	v_mul_f32_e32 v96, v94, v92
	s_mov_b32 s4, exec_lo
	s_delay_alu instid0(VALU_DEP_2) | instskip(NEXT) | instid1(VALU_DEP_2)
	v_cndmask_b32_e64 v82, v82, v89, s6
	v_fma_f32 v98, -v91, v96, v94
	s_delay_alu instid0(VALU_DEP_1) | instskip(NEXT) | instid1(VALU_DEP_1)
	v_fmac_f32_e32 v96, v98, v92
	v_fma_f32 v91, -v91, v96, v94
	s_delay_alu instid0(VALU_DEP_1) | instskip(NEXT) | instid1(VALU_DEP_1)
	v_div_fmas_f32 v91, v91, v92, v96
	v_div_fixup_f32 v90, v91, v90, 1.0
	s_delay_alu instid0(VALU_DEP_1) | instskip(NEXT) | instid1(VALU_DEP_1)
	v_mul_f32_e32 v82, v82, v90
	v_mul_f32_e32 v87, v82, v87
	;; [unrolled: 1-line block ×7, first 2 shown]
	v_dual_mul_f32 v86, v82, v83 :: v_dual_and_b32 v91, 0x7f800000, v90
	v_mul_f32_e32 v85, v82, v76
                                        ; implicit-def: $vgpr76
	s_delay_alu instid0(VALU_DEP_2)
	v_cmpx_ne_u32_e32 0x7f800000, v91
	s_xor_b32 s4, exec_lo, s4
; %bb.13:
	v_bfe_u32 v76, v90, 16, 1
	s_delay_alu instid0(VALU_DEP_1)
	v_add3_u32 v76, v90, v76, 0x7fff
                                        ; implicit-def: $vgpr90
; %bb.14:
	s_and_not1_saveexec_b32 s4, s4
; %bb.15:
	v_and_b32_e32 v76, 0xffff, v90
	v_or_b32_e32 v83, 0x10000, v90
	s_delay_alu instid0(VALU_DEP_2) | instskip(NEXT) | instid1(VALU_DEP_2)
	v_cmp_eq_u32_e32 vcc_lo, 0, v76
	v_cndmask_b32_e32 v76, v83, v90, vcc_lo
; %bb.16:
	s_or_b32 exec_lo, exec_lo, s4
	v_and_b32_e32 v83, 0x7f800000, v85
	s_delay_alu instid0(VALU_DEP_1) | instskip(SKIP_1) | instid1(SALU_CYCLE_1)
	v_cmp_ne_u32_e32 vcc_lo, 0x7f800000, v83
                                        ; implicit-def: $vgpr83
	s_and_saveexec_b32 s4, vcc_lo
	s_xor_b32 s4, exec_lo, s4
; %bb.17:
	v_bfe_u32 v83, v85, 16, 1
	s_delay_alu instid0(VALU_DEP_1)
	v_add3_u32 v83, v85, v83, 0x7fff
                                        ; implicit-def: $vgpr85
; %bb.18:
	s_and_not1_saveexec_b32 s4, s4
; %bb.19:
	v_and_b32_e32 v83, 0xffff, v85
	v_or_b32_e32 v90, 0x10000, v85
	s_delay_alu instid0(VALU_DEP_2) | instskip(NEXT) | instid1(VALU_DEP_2)
	v_cmp_eq_u32_e32 vcc_lo, 0, v83
	v_cndmask_b32_e32 v83, v90, v85, vcc_lo
; %bb.20:
	s_or_b32 exec_lo, exec_lo, s4
	v_and_b32_e32 v85, 0x7f800000, v86
	s_delay_alu instid0(VALU_DEP_1) | instskip(SKIP_1) | instid1(SALU_CYCLE_1)
	v_cmp_ne_u32_e32 vcc_lo, 0x7f800000, v85
                                        ; implicit-def: $vgpr85
	s_and_saveexec_b32 s4, vcc_lo
	s_xor_b32 s4, exec_lo, s4
; %bb.21:
	v_bfe_u32 v85, v86, 16, 1
	s_delay_alu instid0(VALU_DEP_1)
	v_add3_u32 v85, v86, v85, 0x7fff
                                        ; implicit-def: $vgpr86
; %bb.22:
	s_and_not1_saveexec_b32 s4, s4
; %bb.23:
	v_and_b32_e32 v85, 0xffff, v86
	v_or_b32_e32 v90, 0x10000, v86
	s_delay_alu instid0(VALU_DEP_2) | instskip(NEXT) | instid1(VALU_DEP_2)
	v_cmp_eq_u32_e32 vcc_lo, 0, v85
	v_cndmask_b32_e32 v85, v90, v86, vcc_lo
; %bb.24:
	s_or_b32 exec_lo, exec_lo, s4
	v_and_b32_e32 v86, 0x7f800000, v89
	s_delay_alu instid0(VALU_DEP_1) | instskip(SKIP_1) | instid1(SALU_CYCLE_1)
	v_cmp_ne_u32_e32 vcc_lo, 0x7f800000, v86
                                        ; implicit-def: $vgpr86
	s_and_saveexec_b32 s4, vcc_lo
	s_xor_b32 s4, exec_lo, s4
; %bb.25:
	v_bfe_u32 v86, v89, 16, 1
	s_delay_alu instid0(VALU_DEP_1)
	v_add3_u32 v86, v89, v86, 0x7fff
                                        ; implicit-def: $vgpr89
; %bb.26:
	s_and_not1_saveexec_b32 s4, s4
; %bb.27:
	v_and_b32_e32 v86, 0xffff, v89
	v_or_b32_e32 v90, 0x10000, v89
	s_delay_alu instid0(VALU_DEP_2) | instskip(NEXT) | instid1(VALU_DEP_2)
	v_cmp_eq_u32_e32 vcc_lo, 0, v86
	v_cndmask_b32_e32 v86, v90, v89, vcc_lo
; %bb.28:
	s_or_b32 exec_lo, exec_lo, s4
	v_and_b32_e32 v89, 0x7f800000, v88
	s_delay_alu instid0(VALU_DEP_1) | instskip(SKIP_1) | instid1(SALU_CYCLE_1)
	v_cmp_ne_u32_e32 vcc_lo, 0x7f800000, v89
                                        ; implicit-def: $vgpr89
	s_and_saveexec_b32 s4, vcc_lo
	s_xor_b32 s4, exec_lo, s4
; %bb.29:
	v_bfe_u32 v89, v88, 16, 1
	s_delay_alu instid0(VALU_DEP_1)
	v_add3_u32 v89, v88, v89, 0x7fff
                                        ; implicit-def: $vgpr88
; %bb.30:
	s_and_not1_saveexec_b32 s4, s4
; %bb.31:
	v_and_b32_e32 v89, 0xffff, v88
	v_or_b32_e32 v90, 0x10000, v88
	s_delay_alu instid0(VALU_DEP_2) | instskip(NEXT) | instid1(VALU_DEP_2)
	v_cmp_eq_u32_e32 vcc_lo, 0, v89
	v_cndmask_b32_e32 v89, v90, v88, vcc_lo
; %bb.32:
	s_or_b32 exec_lo, exec_lo, s4
	v_and_b32_e32 v88, 0x7f800000, v87
	s_delay_alu instid0(VALU_DEP_1) | instskip(SKIP_1) | instid1(SALU_CYCLE_1)
	v_cmp_ne_u32_e32 vcc_lo, 0x7f800000, v88
                                        ; implicit-def: $vgpr88
	s_and_saveexec_b32 s4, vcc_lo
	s_xor_b32 s4, exec_lo, s4
; %bb.33:
	v_bfe_u32 v88, v87, 16, 1
	s_delay_alu instid0(VALU_DEP_1)
	v_add3_u32 v88, v87, v88, 0x7fff
                                        ; implicit-def: $vgpr87
; %bb.34:
	s_and_not1_saveexec_b32 s4, s4
; %bb.35:
	v_and_b32_e32 v88, 0xffff, v87
	v_or_b32_e32 v90, 0x10000, v87
	s_delay_alu instid0(VALU_DEP_2) | instskip(NEXT) | instid1(VALU_DEP_2)
	v_cmp_eq_u32_e32 vcc_lo, 0, v88
	v_cndmask_b32_e32 v88, v90, v87, vcc_lo
; %bb.36:
	s_or_b32 exec_lo, exec_lo, s4
	v_and_b32_e32 v87, 0x7f800000, v84
	s_delay_alu instid0(VALU_DEP_1) | instskip(SKIP_1) | instid1(SALU_CYCLE_1)
	v_cmp_ne_u32_e32 vcc_lo, 0x7f800000, v87
                                        ; implicit-def: $vgpr87
	s_and_saveexec_b32 s4, vcc_lo
	s_xor_b32 s4, exec_lo, s4
; %bb.37:
	v_bfe_u32 v87, v84, 16, 1
	s_delay_alu instid0(VALU_DEP_1)
	v_add3_u32 v87, v84, v87, 0x7fff
                                        ; implicit-def: $vgpr84
; %bb.38:
	s_and_not1_saveexec_b32 s4, s4
; %bb.39:
	v_and_b32_e32 v87, 0xffff, v84
	v_or_b32_e32 v90, 0x10000, v84
	s_delay_alu instid0(VALU_DEP_2) | instskip(NEXT) | instid1(VALU_DEP_2)
	v_cmp_eq_u32_e32 vcc_lo, 0, v87
	v_cndmask_b32_e32 v87, v90, v84, vcc_lo
; %bb.40:
	s_or_b32 exec_lo, exec_lo, s4
	v_and_b32_e32 v84, 0x7f800000, v80
	s_delay_alu instid0(VALU_DEP_1) | instskip(SKIP_1) | instid1(SALU_CYCLE_1)
	v_cmp_ne_u32_e32 vcc_lo, 0x7f800000, v84
                                        ; implicit-def: $vgpr84
	s_and_saveexec_b32 s4, vcc_lo
	s_xor_b32 s4, exec_lo, s4
; %bb.41:
	v_bfe_u32 v84, v80, 16, 1
	s_delay_alu instid0(VALU_DEP_1)
	v_add3_u32 v84, v80, v84, 0x7fff
                                        ; implicit-def: $vgpr80
; %bb.42:
	s_and_not1_saveexec_b32 s4, s4
; %bb.43:
	v_and_b32_e32 v84, 0xffff, v80
	v_or_b32_e32 v90, 0x10000, v80
	s_delay_alu instid0(VALU_DEP_2) | instskip(NEXT) | instid1(VALU_DEP_2)
	v_cmp_eq_u32_e32 vcc_lo, 0, v84
	v_cndmask_b32_e32 v84, v90, v80, vcc_lo
; %bb.44:
	s_or_b32 exec_lo, exec_lo, s4
	s_load_b64 s[36:37], s[0:1], 0x94
	v_lshlrev_b32_e32 v91, 4, v74
	s_delay_alu instid0(VALU_DEP_2)
	v_perm_b32 v90, v84, v87, 0x7060302
	v_dual_mul_f32 v79, v82, v79 :: v_dual_lshlrev_b32 v80, 6, v65
	v_dual_mul_f32 v77, v82, v77 :: v_dual_lshlrev_b32 v92, 11, v66
	v_mul_f32_e32 v84, v82, v70
	v_perm_b32 v89, v88, v89, 0x7060302
	v_perm_b32 v88, v86, v85, 0x7060302
	;; [unrolled: 1-line block ×3, first 2 shown]
	v_mul_f32_e32 v70, v82, v81
	v_or3_b32 v76, v91, v92, v80
	v_dual_mul_f32 v78, v82, v78 :: v_dual_and_b32 v85, 0x7f800000, v84
	v_mul_f32_e32 v83, v82, v72
	v_mul_f32_e32 v81, v82, v71
	;; [unrolled: 1-line block ×3, first 2 shown]
	s_mov_b32 s4, exec_lo
	ds_store_b128 v76, v[87:90]
                                        ; implicit-def: $vgpr69
	v_cmpx_ne_u32_e32 0x7f800000, v85
	s_xor_b32 s4, exec_lo, s4
; %bb.45:
	v_bfe_u32 v69, v84, 16, 1
	s_delay_alu instid0(VALU_DEP_1)
	v_add3_u32 v69, v84, v69, 0x7fff
                                        ; implicit-def: $vgpr84
; %bb.46:
	s_and_not1_saveexec_b32 s4, s4
; %bb.47:
	v_and_b32_e32 v69, 0xffff, v84
	v_or_b32_e32 v71, 0x10000, v84
	s_delay_alu instid0(VALU_DEP_2) | instskip(NEXT) | instid1(VALU_DEP_2)
	v_cmp_eq_u32_e32 vcc_lo, 0, v69
	v_cndmask_b32_e32 v69, v71, v84, vcc_lo
; %bb.48:
	s_or_b32 exec_lo, exec_lo, s4
	v_and_b32_e32 v71, 0x7f800000, v72
	s_delay_alu instid0(VALU_DEP_1) | instskip(SKIP_1) | instid1(SALU_CYCLE_1)
	v_cmp_ne_u32_e32 vcc_lo, 0x7f800000, v71
                                        ; implicit-def: $vgpr71
	s_and_saveexec_b32 s4, vcc_lo
	s_xor_b32 s4, exec_lo, s4
; %bb.49:
	v_bfe_u32 v71, v72, 16, 1
	s_delay_alu instid0(VALU_DEP_1)
	v_add3_u32 v71, v72, v71, 0x7fff
                                        ; implicit-def: $vgpr72
; %bb.50:
	s_and_not1_saveexec_b32 s4, s4
; %bb.51:
	v_and_b32_e32 v71, 0xffff, v72
	v_or_b32_e32 v82, 0x10000, v72
	s_delay_alu instid0(VALU_DEP_2) | instskip(NEXT) | instid1(VALU_DEP_2)
	v_cmp_eq_u32_e32 vcc_lo, 0, v71
	v_cndmask_b32_e32 v71, v82, v72, vcc_lo
; %bb.52:
	s_or_b32 exec_lo, exec_lo, s4
	v_and_b32_e32 v72, 0x7f800000, v81
	s_delay_alu instid0(VALU_DEP_1) | instskip(SKIP_1) | instid1(SALU_CYCLE_1)
	v_cmp_ne_u32_e32 vcc_lo, 0x7f800000, v72
                                        ; implicit-def: $vgpr72
	s_and_saveexec_b32 s4, vcc_lo
	s_xor_b32 s4, exec_lo, s4
; %bb.53:
	v_bfe_u32 v72, v81, 16, 1
	s_delay_alu instid0(VALU_DEP_1)
	v_add3_u32 v72, v81, v72, 0x7fff
                                        ; implicit-def: $vgpr81
; %bb.54:
	s_and_not1_saveexec_b32 s4, s4
; %bb.55:
	v_and_b32_e32 v72, 0xffff, v81
	v_or_b32_e32 v82, 0x10000, v81
	s_delay_alu instid0(VALU_DEP_2) | instskip(NEXT) | instid1(VALU_DEP_2)
	v_cmp_eq_u32_e32 vcc_lo, 0, v72
	v_cndmask_b32_e32 v72, v82, v81, vcc_lo
; %bb.56:
	s_or_b32 exec_lo, exec_lo, s4
	v_and_b32_e32 v81, 0x7f800000, v83
	s_delay_alu instid0(VALU_DEP_1) | instskip(SKIP_1) | instid1(SALU_CYCLE_1)
	v_cmp_ne_u32_e32 vcc_lo, 0x7f800000, v81
                                        ; implicit-def: $vgpr81
	s_and_saveexec_b32 s4, vcc_lo
	s_xor_b32 s4, exec_lo, s4
; %bb.57:
	v_bfe_u32 v81, v83, 16, 1
	s_delay_alu instid0(VALU_DEP_1)
	v_add3_u32 v81, v83, v81, 0x7fff
                                        ; implicit-def: $vgpr83
; %bb.58:
	s_and_not1_saveexec_b32 s4, s4
; %bb.59:
	v_and_b32_e32 v81, 0xffff, v83
	v_or_b32_e32 v82, 0x10000, v83
	s_delay_alu instid0(VALU_DEP_2) | instskip(NEXT) | instid1(VALU_DEP_2)
	v_cmp_eq_u32_e32 vcc_lo, 0, v81
	v_cndmask_b32_e32 v81, v82, v83, vcc_lo
; %bb.60:
	s_or_b32 exec_lo, exec_lo, s4
	v_and_b32_e32 v82, 0x7f800000, v77
	s_delay_alu instid0(VALU_DEP_1) | instskip(SKIP_1) | instid1(SALU_CYCLE_1)
	v_cmp_ne_u32_e32 vcc_lo, 0x7f800000, v82
                                        ; implicit-def: $vgpr82
	s_and_saveexec_b32 s4, vcc_lo
	s_xor_b32 s4, exec_lo, s4
; %bb.61:
	v_bfe_u32 v82, v77, 16, 1
	s_delay_alu instid0(VALU_DEP_1)
	v_add3_u32 v82, v77, v82, 0x7fff
                                        ; implicit-def: $vgpr77
; %bb.62:
	s_and_not1_saveexec_b32 s4, s4
; %bb.63:
	v_and_b32_e32 v82, 0xffff, v77
	v_or_b32_e32 v83, 0x10000, v77
	s_delay_alu instid0(VALU_DEP_2) | instskip(NEXT) | instid1(VALU_DEP_2)
	v_cmp_eq_u32_e32 vcc_lo, 0, v82
	v_cndmask_b32_e32 v82, v83, v77, vcc_lo
; %bb.64:
	s_or_b32 exec_lo, exec_lo, s4
	v_and_b32_e32 v77, 0x7f800000, v78
	s_delay_alu instid0(VALU_DEP_1) | instskip(SKIP_1) | instid1(SALU_CYCLE_1)
	v_cmp_ne_u32_e32 vcc_lo, 0x7f800000, v77
                                        ; implicit-def: $vgpr77
	s_and_saveexec_b32 s4, vcc_lo
	s_xor_b32 s4, exec_lo, s4
; %bb.65:
	v_bfe_u32 v77, v78, 16, 1
	s_delay_alu instid0(VALU_DEP_1)
	v_add3_u32 v77, v78, v77, 0x7fff
                                        ; implicit-def: $vgpr78
; %bb.66:
	s_and_not1_saveexec_b32 s4, s4
; %bb.67:
	v_and_b32_e32 v77, 0xffff, v78
	v_or_b32_e32 v83, 0x10000, v78
	s_delay_alu instid0(VALU_DEP_2) | instskip(NEXT) | instid1(VALU_DEP_2)
	v_cmp_eq_u32_e32 vcc_lo, 0, v77
	v_cndmask_b32_e32 v77, v83, v78, vcc_lo
; %bb.68:
	s_or_b32 exec_lo, exec_lo, s4
	v_and_b32_e32 v78, 0x7f800000, v79
	s_delay_alu instid0(VALU_DEP_1) | instskip(SKIP_1) | instid1(SALU_CYCLE_1)
	v_cmp_ne_u32_e32 vcc_lo, 0x7f800000, v78
                                        ; implicit-def: $vgpr78
	s_and_saveexec_b32 s4, vcc_lo
	s_xor_b32 s4, exec_lo, s4
; %bb.69:
	v_bfe_u32 v78, v79, 16, 1
	s_delay_alu instid0(VALU_DEP_1)
	v_add3_u32 v78, v79, v78, 0x7fff
                                        ; implicit-def: $vgpr79
; %bb.70:
	s_and_not1_saveexec_b32 s4, s4
; %bb.71:
	v_and_b32_e32 v78, 0xffff, v79
	v_or_b32_e32 v83, 0x10000, v79
	s_delay_alu instid0(VALU_DEP_2) | instskip(NEXT) | instid1(VALU_DEP_2)
	v_cmp_eq_u32_e32 vcc_lo, 0, v78
	v_cndmask_b32_e32 v78, v83, v79, vcc_lo
; %bb.72:
	s_or_b32 exec_lo, exec_lo, s4
	v_and_b32_e32 v79, 0x7f800000, v70
	s_delay_alu instid0(VALU_DEP_1) | instskip(SKIP_1) | instid1(SALU_CYCLE_1)
	v_cmp_ne_u32_e32 vcc_lo, 0x7f800000, v79
                                        ; implicit-def: $vgpr79
	s_and_saveexec_b32 s4, vcc_lo
	s_xor_b32 s4, exec_lo, s4
; %bb.73:
	v_bfe_u32 v79, v70, 16, 1
	s_delay_alu instid0(VALU_DEP_1)
	v_add3_u32 v79, v70, v79, 0x7fff
                                        ; implicit-def: $vgpr70
; %bb.74:
	s_and_not1_saveexec_b32 s4, s4
; %bb.75:
	v_and_b32_e32 v79, 0xffff, v70
	v_or_b32_e32 v83, 0x10000, v70
	s_delay_alu instid0(VALU_DEP_2) | instskip(NEXT) | instid1(VALU_DEP_2)
	v_cmp_eq_u32_e32 vcc_lo, 0, v79
	v_cndmask_b32_e32 v79, v83, v70, vcc_lo
; %bb.76:
	s_or_b32 exec_lo, exec_lo, s4
	s_delay_alu instid0(VALU_DEP_1)
	v_perm_b32 v86, v79, v78, 0x7060302
	v_perm_b32 v85, v77, v82, 0x7060302
	v_perm_b32 v84, v81, v72, 0x7060302
	v_perm_b32 v83, v71, v69, 0x7060302
	v_lshl_or_b32 v82, v66, 11, v80
	ds_store_b128 v76, v[83:86] offset:1024
	s_waitcnt lgkmcnt(0)
	s_barrier
	buffer_gl0_inv
	ds_load_b128 v[69:72], v82
	ds_load_b128 v[83:86], v82 offset:16
	s_waitcnt lgkmcnt(1)
	v_lshrrev_b32_e32 v66, 16, v69
	s_waitcnt lgkmcnt(0)
	v_lshrrev_b32_e32 v91, 16, v83
	v_lshlrev_b32_e32 v78, 2, v74
	v_lshrrev_b32_e32 v95, 16, v70
	v_lshrrev_b32_e32 v98, 16, v84
	;; [unrolled: 1-line block ×4, first 2 shown]
	v_cmp_eq_u32_e32 vcc_lo, 1, v78
	v_lshrrev_b32_e32 v97, 16, v72
	v_lshrrev_b32_e32 v100, 16, v86
	v_cndmask_b32_e32 v87, v83, v91, vcc_lo
	v_or_b32_e32 v79, 1, v78
	v_cndmask_b32_e32 v81, v69, v66, vcc_lo
	v_cmp_eq_u32_e64 s5, 2, v78
	v_cmp_eq_u32_e64 s8, 3, v78
	v_cmp_eq_u32_e64 s10, 4, v78
	v_cmp_eq_u32_e64 s4, 1, v79
	v_cmp_eq_u32_e64 s7, 2, v79
	v_cndmask_b32_e64 v81, v81, v70, s5
	v_cndmask_b32_e64 v87, v87, v84, s5
	v_cmp_eq_u32_e64 s9, 3, v79
	v_cndmask_b32_e64 v88, v69, v66, s4
	v_or_b32_e32 v77, 2, v78
	v_cndmask_b32_e64 v81, v81, v95, s8
	v_cndmask_b32_e64 v87, v87, v98, s8
	;; [unrolled: 1-line block ×4, first 2 shown]
	v_cmp_eq_u32_e64 s11, 5, v78
	v_cndmask_b32_e64 v81, v81, v71, s10
	v_cndmask_b32_e64 v87, v87, v85, s10
	v_cmp_eq_u32_e64 s12, 4, v79
	v_cndmask_b32_e64 v88, v88, v95, s9
	v_cmp_eq_u32_e64 s6, 1, v77
	v_cndmask_b32_e64 v89, v89, v84, s7
	v_cndmask_b32_e64 v81, v81, v96, s11
	v_cmp_eq_u32_e64 s13, 6, v78
	v_cndmask_b32_e64 v88, v88, v71, s12
	;; [unrolled: 3-line block ×3, first 2 shown]
	v_cndmask_b32_e64 v89, v89, v98, s9
	v_cndmask_b32_e64 v81, v81, v72, s13
	v_cmp_eq_u32_e64 s16, 7, v78
	v_cndmask_b32_e64 v88, v88, v96, s15
	v_cndmask_b32_e64 v87, v87, v86, s13
	v_cmp_eq_u32_e64 s17, 6, v79
	v_cmp_eq_u32_e64 s18, 2, v77
	v_cndmask_b32_e64 v89, v89, v85, s12
	v_cndmask_b32_e64 v101, v81, v97, s16
	;; [unrolled: 1-line block ×6, first 2 shown]
	v_cmp_eq_u32_e64 s19, 7, v79
	v_cmp_eq_u32_e64 s20, 3, v77
	;; [unrolled: 1-line block ×4, first 2 shown]
	v_cndmask_b32_e64 v87, v87, v84, s18
	v_cndmask_b32_e64 v103, v88, v97, s19
	;; [unrolled: 1-line block ×4, first 2 shown]
	v_or_b32_e32 v81, 3, v78
	v_cndmask_b32_e64 v93, v87, v98, s20
	v_cmp_eq_u32_e64 s25, 6, v77
	v_cndmask_b32_e64 v104, v88, v86, s17
	v_cndmask_b32_e64 v92, v89, v71, s21
	v_cmp_eq_u32_e64 s22, 1, v81
	ds_load_b128 v[87:90], v82 offset:1024
	v_cmp_eq_u32_e64 s24, 2, v81
	v_cmp_eq_u32_e64 s26, 3, v81
	v_cndmask_b32_e64 v105, v92, v96, s23
	v_cndmask_b32_e64 v66, v69, v66, s22
	;; [unrolled: 1-line block ×4, first 2 shown]
	ds_load_b128 v[91:94], v82 offset:1040
	v_cmp_eq_u32_e64 s27, 4, v81
	v_cndmask_b32_e64 v66, v66, v70, s24
	v_cmp_eq_u32_e64 s28, 7, v77
	v_cndmask_b32_e64 v70, v83, v84, s24
	v_cndmask_b32_e64 v84, v105, v72, s25
	v_cmp_eq_u32_e64 s29, 5, v81
	v_cndmask_b32_e64 v66, v66, v95, s26
	v_cmp_eq_u32_e64 s30, 6, v81
	v_cndmask_b32_e64 v70, v70, v98, s26
	v_cndmask_b32_e64 v69, v69, v99, s23
	;; [unrolled: 1-line block ×4, first 2 shown]
	s_waitcnt lgkmcnt(1)
	v_lshrrev_b32_e32 v95, 16, v87
	v_cndmask_b32_e64 v70, v70, v85, s27
	v_cndmask_b32_e64 v71, v84, v97, s28
	;; [unrolled: 1-line block ×4, first 2 shown]
	v_cndmask_b32_e32 v84, v87, v95, vcc_lo
	v_cndmask_b32_e64 v70, v70, v99, s29
	s_waitcnt lgkmcnt(0)
	v_lshrrev_b32_e32 v85, 16, v91
	v_lshrrev_b32_e32 v96, 16, v88
	v_cndmask_b32_e64 v98, v87, v95, s4
	v_cndmask_b32_e64 v84, v84, v88, s5
	;; [unrolled: 1-line block ×3, first 2 shown]
	v_cndmask_b32_e32 v99, v91, v85, vcc_lo
	v_cmp_eq_u32_e32 vcc_lo, 7, v81
	v_cndmask_b32_e64 v66, v66, v72, s30
	v_cndmask_b32_e64 v72, v84, v96, s8
	;; [unrolled: 1-line block ×3, first 2 shown]
	v_lshrrev_b32_e32 v98, 16, v92
	v_cndmask_b32_e32 v70, v70, v100, vcc_lo
	v_cndmask_b32_e64 v86, v99, v92, s5
	v_cndmask_b32_e64 v69, v69, v100, s28
	v_lshrrev_b32_e32 v100, 16, v93
	v_cndmask_b32_e64 v72, v72, v89, s10
	v_lshrrev_b32_e32 v99, 16, v89
	v_cndmask_b32_e64 v86, v86, v98, s8
	v_perm_b32 v71, v69, v71, 0x5040100
	v_cndmask_b32_e64 v84, v84, v96, s9
	s_delay_alu instid0(VALU_DEP_3) | instskip(NEXT) | instid1(VALU_DEP_2)
	v_cndmask_b32_e64 v86, v86, v93, s10
	v_cndmask_b32_e64 v84, v84, v89, s12
	s_delay_alu instid0(VALU_DEP_2) | instskip(NEXT) | instid1(VALU_DEP_1)
	v_cndmask_b32_e64 v86, v86, v100, s11
	v_cndmask_b32_e64 v69, v86, v94, s13
	;; [unrolled: 1-line block ×5, first 2 shown]
	s_delay_alu instid0(VALU_DEP_3) | instskip(NEXT) | instid1(VALU_DEP_3)
	v_cndmask_b32_e64 v86, v86, v88, s18
	v_cndmask_b32_e64 v87, v87, v88, s24
	s_delay_alu instid0(VALU_DEP_3) | instskip(NEXT) | instid1(VALU_DEP_3)
	v_cndmask_b32_e64 v88, v95, v92, s24
	v_cndmask_b32_e64 v86, v86, v96, s20
	;; [unrolled: 3-line block ×7, first 2 shown]
	s_delay_alu instid0(VALU_DEP_3) | instskip(SKIP_2) | instid1(VALU_DEP_2)
	v_cndmask_b32_e64 v88, v88, v94, s30
	v_cndmask_b32_e32 v66, v66, v97, vcc_lo
	v_cndmask_b32_e64 v97, v72, v99, s11
	v_perm_b32 v72, v70, v66, 0x5040100
	v_perm_b32 v70, v83, v103, 0x5040100
	v_cndmask_b32_e64 v103, v91, v85, s6
	v_cndmask_b32_e64 v85, v91, v85, s4
	;; [unrolled: 1-line block ×4, first 2 shown]
	v_lshrrev_b32_e32 v97, 16, v90
	v_cndmask_b32_e64 v91, v103, v92, s18
	v_cndmask_b32_e64 v85, v85, v92, s7
	;; [unrolled: 1-line block ×3, first 2 shown]
	s_mov_b32 s4, exec_lo
	v_cndmask_b32_e64 v83, v84, v97, s16
	v_cndmask_b32_e64 v91, v91, v98, s20
	;; [unrolled: 1-line block ×3, first 2 shown]
	v_lshrrev_b32_e32 v84, 16, v94
	v_cndmask_b32_e64 v66, v66, v97, s19
	v_cndmask_b32_e64 v90, v86, v97, s28
	;; [unrolled: 1-line block ×4, first 2 shown]
	v_dual_cndmask_b32 v86, v87, v97 :: v_dual_cndmask_b32 v87, v88, v84
	v_cndmask_b32_e64 v91, v69, v84, s16
	s_delay_alu instid0(VALU_DEP_4) | instskip(NEXT) | instid1(VALU_DEP_4)
	v_cndmask_b32_e64 v89, v89, v100, s23
	v_cndmask_b32_e64 v85, v85, v100, s15
	v_perm_b32 v69, v102, v101, 0x5040100
	v_perm_b32 v86, v87, v86, 0x5040100
	;; [unrolled: 1-line block ×3, first 2 shown]
	v_cndmask_b32_e64 v89, v89, v94, s25
	v_cndmask_b32_e64 v85, v85, v94, s17
	s_mul_i32 s9, s37, 7
	s_delay_alu instid0(VALU_DEP_2) | instskip(NEXT) | instid1(VALU_DEP_2)
	v_cndmask_b32_e64 v88, v89, v84, s28
	v_cndmask_b32_e64 v89, v85, v84, s19
	s_delay_alu instid0(VALU_DEP_2) | instskip(NEXT) | instid1(VALU_DEP_2)
	v_perm_b32 v85, v88, v90, 0x5040100
	v_perm_b32 v84, v89, v66, 0x5040100
	ds_store_b128 v76, v[69:72]
	ds_store_b128 v76, v[83:86] offset:1024
	v_cmpx_gt_u32_e32 7, v0
	s_cbranch_execz .LBB1392_78
; %bb.77:
	s_mul_i32 s5, s9, s34
	s_load_b128 s[16:19], s[0:1], 0x58
	v_add3_u32 v69, s5, s31, v65
	s_delay_alu instid0(VALU_DEP_1) | instskip(NEXT) | instid1(VALU_DEP_1)
	v_mad_u64_u32 v[65:66], null, v69, s36, s[14:15]
	v_ashrrev_i32_e32 v66, 31, v65
	s_delay_alu instid0(VALU_DEP_1) | instskip(SKIP_1) | instid1(VALU_DEP_1)
	v_lshlrev_b64 v[65:66], 2, v[65:66]
	s_waitcnt lgkmcnt(0)
	v_add_co_u32 v69, vcc_lo, s18, v65
	s_delay_alu instid0(VALU_DEP_2)
	v_add_co_ci_u32_e32 v70, vcc_lo, s19, v66, vcc_lo
	v_add_co_u32 v65, vcc_lo, s16, v65
	v_add_co_ci_u32_e32 v66, vcc_lo, s17, v66, vcc_lo
	global_store_b32 v[69:70], v67, off
	global_store_b32 v[65:66], v68, off
.LBB1392_78:
	s_or_b32 exec_lo, exec_lo, s4
	s_waitcnt lgkmcnt(0)
	s_waitcnt_vscnt null, 0x0
	s_barrier
	buffer_gl0_inv
	ds_load_b128 v[83:86], v80
	ds_load_b128 v[87:90], v80 offset:16
	ds_load_b128 v[95:98], v80 offset:2064
	;; [unrolled: 1-line block ×3, first 2 shown]
	v_mov_b32_e32 v65, 0
	ds_load_b128 v[103:106], v80 offset:4112
	ds_load_b128 v[99:102], v80 offset:4096
	;; [unrolled: 1-line block ×4, first 2 shown]
	v_mov_b32_e32 v66, v65
	v_mov_b32_e32 v67, v65
	;; [unrolled: 1-line block ×7, first 2 shown]
	s_waitcnt lgkmcnt(6)
	s_delay_alu instid0(VALU_DEP_1)
	v_wmma_f32_16x16x16_bf16 v[65:72], v[57:64], v[83:90], v[65:72]
	ds_load_b128 v[61:64], v80 offset:8208
	ds_load_b128 v[57:60], v80 offset:8192
	s_waitcnt lgkmcnt(6)
	v_wmma_f32_16x16x16_bf16 v[65:72], v[41:48], v[91:98], v[65:72]
	ds_load_b128 v[45:48], v80 offset:10256
	ds_load_b128 v[41:44], v80 offset:10240
	s_waitcnt lgkmcnt(6)
	v_wmma_f32_16x16x16_bf16 v[65:72], v[33:40], v[99:106], v[65:72]
	ds_load_b128 v[37:40], v80 offset:12304
	ds_load_b128 v[33:36], v80 offset:12288
	s_waitcnt lgkmcnt(6)
	v_wmma_f32_16x16x16_bf16 v[65:72], v[25:32], v[107:114], v[65:72]
	ds_load_b128 v[29:32], v80 offset:14352
	ds_load_b128 v[25:28], v80 offset:14336
	s_waitcnt lgkmcnt(6)
	v_wmma_f32_16x16x16_bf16 v[65:72], v[1:8], v[57:64], v[65:72]
	s_waitcnt lgkmcnt(4)
	s_delay_alu instid0(VALU_DEP_1) | instskip(SKIP_1) | instid1(VALU_DEP_1)
	v_wmma_f32_16x16x16_bf16 v[65:72], v[9:16], v[41:48], v[65:72]
	s_waitcnt lgkmcnt(2)
	v_wmma_f32_16x16x16_bf16 v[65:72], v[17:24], v[33:40], v[65:72]
	s_waitcnt lgkmcnt(0)
	s_delay_alu instid0(VALU_DEP_1) | instskip(NEXT) | instid1(VALU_DEP_1)
	v_wmma_f32_16x16x16_bf16 v[65:72], v[49:56], v[25:32], v[65:72]
	v_and_b32_e32 v1, 0x7f800000, v65
	s_delay_alu instid0(VALU_DEP_1) | instskip(SKIP_1) | instid1(SALU_CYCLE_1)
	v_cmp_ne_u32_e32 vcc_lo, 0x7f800000, v1
                                        ; implicit-def: $vgpr1
	s_and_saveexec_b32 s4, vcc_lo
	s_xor_b32 s4, exec_lo, s4
; %bb.79:
	v_bfe_u32 v1, v65, 16, 1
	s_delay_alu instid0(VALU_DEP_1)
	v_add3_u32 v1, v65, v1, 0x7fff
; %bb.80:
	s_and_not1_saveexec_b32 s4, s4
; %bb.81:
	v_and_b32_e32 v1, 0xffff, v65
	v_or_b32_e32 v2, 0x10000, v65
	s_delay_alu instid0(VALU_DEP_2) | instskip(NEXT) | instid1(VALU_DEP_2)
	v_cmp_eq_u32_e32 vcc_lo, 0, v1
	v_cndmask_b32_e32 v1, v2, v65, vcc_lo
; %bb.82:
	s_or_b32 exec_lo, exec_lo, s4
	v_and_b32_e32 v2, 0x7f800000, v66
	s_delay_alu instid0(VALU_DEP_1) | instskip(SKIP_1) | instid1(SALU_CYCLE_1)
	v_cmp_ne_u32_e32 vcc_lo, 0x7f800000, v2
                                        ; implicit-def: $vgpr2
	s_and_saveexec_b32 s4, vcc_lo
	s_xor_b32 s4, exec_lo, s4
; %bb.83:
	v_bfe_u32 v2, v66, 16, 1
	s_delay_alu instid0(VALU_DEP_1)
	v_add3_u32 v2, v66, v2, 0x7fff
; %bb.84:
	s_and_not1_saveexec_b32 s4, s4
; %bb.85:
	v_and_b32_e32 v2, 0xffff, v66
	v_or_b32_e32 v3, 0x10000, v66
	s_delay_alu instid0(VALU_DEP_2) | instskip(NEXT) | instid1(VALU_DEP_2)
	v_cmp_eq_u32_e32 vcc_lo, 0, v2
	v_cndmask_b32_e32 v2, v3, v66, vcc_lo
; %bb.86:
	s_or_b32 exec_lo, exec_lo, s4
	v_and_b32_e32 v3, 0x7f800000, v67
	s_delay_alu instid0(VALU_DEP_1) | instskip(SKIP_1) | instid1(SALU_CYCLE_1)
	v_cmp_ne_u32_e32 vcc_lo, 0x7f800000, v3
                                        ; implicit-def: $vgpr3
	s_and_saveexec_b32 s4, vcc_lo
	s_xor_b32 s4, exec_lo, s4
; %bb.87:
	v_bfe_u32 v3, v67, 16, 1
	s_delay_alu instid0(VALU_DEP_1)
	v_add3_u32 v3, v67, v3, 0x7fff
; %bb.88:
	s_and_not1_saveexec_b32 s4, s4
; %bb.89:
	v_and_b32_e32 v3, 0xffff, v67
	v_or_b32_e32 v4, 0x10000, v67
	s_delay_alu instid0(VALU_DEP_2) | instskip(NEXT) | instid1(VALU_DEP_2)
	v_cmp_eq_u32_e32 vcc_lo, 0, v3
	v_cndmask_b32_e32 v3, v4, v67, vcc_lo
; %bb.90:
	s_or_b32 exec_lo, exec_lo, s4
	v_and_b32_e32 v4, 0x7f800000, v68
	s_delay_alu instid0(VALU_DEP_1) | instskip(SKIP_1) | instid1(SALU_CYCLE_1)
	v_cmp_ne_u32_e32 vcc_lo, 0x7f800000, v4
                                        ; implicit-def: $vgpr4
	s_and_saveexec_b32 s4, vcc_lo
	s_xor_b32 s4, exec_lo, s4
; %bb.91:
	v_bfe_u32 v4, v68, 16, 1
	s_delay_alu instid0(VALU_DEP_1)
	v_add3_u32 v4, v68, v4, 0x7fff
; %bb.92:
	s_and_not1_saveexec_b32 s4, s4
; %bb.93:
	v_and_b32_e32 v4, 0xffff, v68
	v_or_b32_e32 v5, 0x10000, v68
	s_delay_alu instid0(VALU_DEP_2) | instskip(NEXT) | instid1(VALU_DEP_2)
	v_cmp_eq_u32_e32 vcc_lo, 0, v4
	v_cndmask_b32_e32 v4, v5, v68, vcc_lo
; %bb.94:
	s_or_b32 exec_lo, exec_lo, s4
	v_and_b32_e32 v5, 0x7f800000, v69
	s_delay_alu instid0(VALU_DEP_1) | instskip(SKIP_1) | instid1(SALU_CYCLE_1)
	v_cmp_ne_u32_e32 vcc_lo, 0x7f800000, v5
                                        ; implicit-def: $vgpr5
	s_and_saveexec_b32 s4, vcc_lo
	s_xor_b32 s4, exec_lo, s4
; %bb.95:
	v_bfe_u32 v5, v69, 16, 1
	s_delay_alu instid0(VALU_DEP_1)
	v_add3_u32 v5, v69, v5, 0x7fff
; %bb.96:
	s_and_not1_saveexec_b32 s4, s4
; %bb.97:
	v_and_b32_e32 v5, 0xffff, v69
	v_or_b32_e32 v6, 0x10000, v69
	s_delay_alu instid0(VALU_DEP_2) | instskip(NEXT) | instid1(VALU_DEP_2)
	v_cmp_eq_u32_e32 vcc_lo, 0, v5
	v_cndmask_b32_e32 v5, v6, v69, vcc_lo
; %bb.98:
	s_or_b32 exec_lo, exec_lo, s4
	v_and_b32_e32 v6, 0x7f800000, v70
	s_delay_alu instid0(VALU_DEP_1) | instskip(SKIP_1) | instid1(SALU_CYCLE_1)
	v_cmp_ne_u32_e32 vcc_lo, 0x7f800000, v6
                                        ; implicit-def: $vgpr6
	s_and_saveexec_b32 s4, vcc_lo
	s_xor_b32 s4, exec_lo, s4
; %bb.99:
	v_bfe_u32 v6, v70, 16, 1
	s_delay_alu instid0(VALU_DEP_1)
	v_add3_u32 v6, v70, v6, 0x7fff
; %bb.100:
	s_and_not1_saveexec_b32 s4, s4
; %bb.101:
	v_and_b32_e32 v6, 0xffff, v70
	v_or_b32_e32 v7, 0x10000, v70
	s_delay_alu instid0(VALU_DEP_2) | instskip(NEXT) | instid1(VALU_DEP_2)
	v_cmp_eq_u32_e32 vcc_lo, 0, v6
	v_cndmask_b32_e32 v6, v7, v70, vcc_lo
; %bb.102:
	s_or_b32 exec_lo, exec_lo, s4
	v_and_b32_e32 v7, 0x7f800000, v71
	s_delay_alu instid0(VALU_DEP_1) | instskip(SKIP_1) | instid1(SALU_CYCLE_1)
	v_cmp_ne_u32_e32 vcc_lo, 0x7f800000, v7
                                        ; implicit-def: $vgpr7
	s_and_saveexec_b32 s4, vcc_lo
	s_xor_b32 s4, exec_lo, s4
; %bb.103:
	v_bfe_u32 v7, v71, 16, 1
	s_delay_alu instid0(VALU_DEP_1)
	v_add3_u32 v7, v71, v7, 0x7fff
; %bb.104:
	s_and_not1_saveexec_b32 s4, s4
; %bb.105:
	v_and_b32_e32 v7, 0xffff, v71
	v_or_b32_e32 v8, 0x10000, v71
	s_delay_alu instid0(VALU_DEP_2) | instskip(NEXT) | instid1(VALU_DEP_2)
	v_cmp_eq_u32_e32 vcc_lo, 0, v7
	v_cndmask_b32_e32 v7, v8, v71, vcc_lo
; %bb.106:
	s_or_b32 exec_lo, exec_lo, s4
	v_and_b32_e32 v8, 0x7f800000, v72
	s_delay_alu instid0(VALU_DEP_1) | instskip(SKIP_1) | instid1(SALU_CYCLE_1)
	v_cmp_ne_u32_e32 vcc_lo, 0x7f800000, v8
                                        ; implicit-def: $vgpr8
	s_and_saveexec_b32 s4, vcc_lo
	s_xor_b32 s4, exec_lo, s4
; %bb.107:
	v_bfe_u32 v8, v72, 16, 1
	s_delay_alu instid0(VALU_DEP_1)
	v_add3_u32 v8, v72, v8, 0x7fff
                                        ; implicit-def: $vgpr65_vgpr66_vgpr67_vgpr68_vgpr69_vgpr70_vgpr71_vgpr72
; %bb.108:
	s_and_not1_saveexec_b32 s4, s4
; %bb.109:
	v_and_b32_e32 v8, 0xffff, v72
	v_or_b32_e32 v9, 0x10000, v72
	s_delay_alu instid0(VALU_DEP_2) | instskip(NEXT) | instid1(VALU_DEP_2)
	v_cmp_eq_u32_e32 vcc_lo, 0, v8
	v_cndmask_b32_e32 v8, v9, v72, vcc_lo
; %bb.110:
	s_or_b32 exec_lo, exec_lo, s4
	s_delay_alu instid0(VALU_DEP_1)
	v_perm_b32 v7, v8, v7, 0x7060302
	v_perm_b32 v6, v6, v5, 0x7060302
	;; [unrolled: 1-line block ×4, first 2 shown]
	s_barrier
	buffer_gl0_inv
	v_cmp_eq_u32_e32 vcc_lo, 1, v78
	ds_store_b128 v76, v[4:7]
	s_waitcnt lgkmcnt(0)
	s_barrier
	buffer_gl0_inv
	ds_load_b128 v[1:4], v82
	ds_load_b128 v[5:8], v82 offset:16
	v_cmp_eq_u32_e64 s4, 1, v79
	v_cmp_eq_u32_e64 s5, 2, v78
	;; [unrolled: 1-line block ×5, first 2 shown]
	s_waitcnt lgkmcnt(1)
	v_lshrrev_b32_e32 v9, 16, v1
	s_waitcnt lgkmcnt(0)
	v_lshrrev_b32_e32 v13, 16, v5
	v_lshrrev_b32_e32 v10, 16, v2
	;; [unrolled: 1-line block ×4, first 2 shown]
	v_cndmask_b32_e64 v19, v1, v9, s4
	v_cndmask_b32_e32 v18, v5, v13, vcc_lo
	v_cndmask_b32_e64 v20, v5, v13, s4
	v_cndmask_b32_e32 v17, v1, v9, vcc_lo
	v_cmp_eq_u32_e32 vcc_lo, 2, v79
	v_lshrrev_b32_e32 v15, 16, v7
	v_cmp_eq_u32_e64 s4, 1, v77
	v_lshrrev_b32_e32 v12, 16, v4
	v_lshrrev_b32_e32 v16, 16, v8
	v_cndmask_b32_e32 v20, v20, v6, vcc_lo
	v_cndmask_b32_e64 v17, v17, v2, s5
	v_cndmask_b32_e32 v19, v19, v2, vcc_lo
	v_cndmask_b32_e64 v18, v18, v6, s5
	v_cmp_eq_u32_e32 vcc_lo, 4, v78
	v_cmp_eq_u32_e64 s5, 3, v79
	v_cndmask_b32_e64 v17, v17, v10, s6
	v_cndmask_b32_e64 v21, v1, v9, s4
	;; [unrolled: 1-line block ×5, first 2 shown]
	v_cndmask_b32_e32 v17, v17, v3, vcc_lo
	v_cndmask_b32_e64 v20, v20, v14, s5
	v_cndmask_b32_e32 v18, v18, v7, vcc_lo
	v_cmp_eq_u32_e32 vcc_lo, 4, v79
	v_cmp_eq_u32_e64 s5, 5, v79
	v_cmp_eq_u32_e64 s4, 2, v81
	v_cndmask_b32_e64 v21, v21, v2, s8
	v_cmp_eq_u32_e64 s6, 5, v78
	v_cndmask_b32_e32 v19, v19, v3, vcc_lo
	v_cndmask_b32_e32 v20, v20, v7, vcc_lo
	v_cmp_eq_u32_e32 vcc_lo, 6, v79
	s_delay_alu instid0(VALU_DEP_4) | instskip(NEXT) | instid1(VALU_DEP_4)
	v_cndmask_b32_e64 v17, v17, v11, s6
	v_cndmask_b32_e64 v19, v19, v11, s5
	s_delay_alu instid0(VALU_DEP_4) | instskip(SKIP_1) | instid1(VALU_DEP_3)
	v_cndmask_b32_e64 v20, v20, v15, s5
	v_cmp_eq_u32_e64 s5, 1, v81
	v_cndmask_b32_e32 v19, v19, v4, vcc_lo
	v_cndmask_b32_e64 v18, v18, v15, s6
	s_delay_alu instid0(VALU_DEP_3)
	v_cndmask_b32_e64 v1, v1, v9, s5
	v_cndmask_b32_e64 v5, v5, v13, s5
	v_cmp_eq_u32_e64 s5, 3, v77
	v_cndmask_b32_e64 v13, v22, v6, s8
	v_cmp_eq_u32_e64 s8, 3, v81
	v_cndmask_b32_e64 v1, v1, v2, s4
	v_cndmask_b32_e64 v2, v5, v6, s4
	;; [unrolled: 1-line block ×3, first 2 shown]
	v_cmp_eq_u32_e64 s4, 4, v77
	v_cndmask_b32_e64 v6, v13, v14, s5
	v_cndmask_b32_e64 v1, v1, v10, s8
	v_cmp_eq_u32_e64 s5, 4, v81
	v_cndmask_b32_e64 v2, v2, v14, s8
	v_cndmask_b32_e64 v5, v9, v3, s4
	;; [unrolled: 3-line block ×3, first 2 shown]
	v_cndmask_b32_e64 v2, v2, v7, s5
	v_cmp_eq_u32_e64 s4, 5, v81
	v_cmp_eq_u32_e64 s6, 6, v78
	v_cndmask_b32_e64 v5, v5, v11, s8
	v_cmp_eq_u32_e64 s5, 6, v77
	v_cndmask_b32_e64 v3, v6, v15, s8
	v_cndmask_b32_e64 v1, v1, v11, s4
	v_cmp_eq_u32_e64 s8, 6, v81
	v_cndmask_b32_e64 v2, v2, v15, s4
	v_cndmask_b32_e64 v17, v17, v4, s6
	v_cndmask_b32_e64 v18, v18, v8, s6
	v_cmp_eq_u32_e64 s6, 7, v78
	v_cndmask_b32_e64 v5, v5, v4, s5
	;; [unrolled: 4-line block ×3, first 2 shown]
	v_cmp_eq_u32_e64 s5, 7, v77
	v_cndmask_b32_e32 v4, v20, v8, vcc_lo
	v_cndmask_b32_e64 v17, v17, v12, s6
	v_cndmask_b32_e64 v19, v19, v12, s7
	;; [unrolled: 1-line block ×8, first 2 shown]
	v_cmp_gt_u32_e32 vcc_lo, 32, v0
	v_perm_b32 v4, v2, v1, 0x5040100
	v_perm_b32 v3, v3, v5, 0x5040100
	;; [unrolled: 1-line block ×4, first 2 shown]
	s_and_b32 s2, vcc_lo, s2
	ds_store_b128 v76, v[1:4]
	s_waitcnt lgkmcnt(0)
	s_barrier
	buffer_gl0_inv
	s_and_saveexec_b32 s4, s2
	s_cbranch_execz .LBB1392_2
; %bb.111:
	s_load_b64 s[4:5], s[0:1], 0x68
	v_lshlrev_b32_e32 v0, 10, v0
	v_add_nc_u32_e32 v2, s31, v74
	v_lshlrev_b32_e32 v3, 4, v75
	s_lshl_b32 s0, s36, 6
	s_delay_alu instid0(SALU_CYCLE_1) | instskip(NEXT) | instid1(VALU_DEP_2)
	s_mul_i32 s1, s0, s34
	v_mul_lo_u32 v1, v2, s0
	s_delay_alu instid0(VALU_DEP_2)
	v_and_or_b32 v0, 0x3800, v0, v3
	v_add_nc_u32_e32 v3, 2, v2
	s_mul_i32 s6, s1, s9
	v_add_nc_u32_e32 v4, 4, v2
	s_ashr_i32 s7, s6, 31
	v_lshl_or_b32 v11, v74, 6, v0
	s_lshl_b64 s[6:7], s[6:7], 1
	v_mul_lo_u32 v15, v3, s0
	v_mul_lo_u32 v17, v4, s0
	v_ashrrev_i32_e32 v2, 31, v1
	ds_load_b128 v[3:6], v11
	ds_load_b128 v[7:10], v11 offset:128
	ds_load_b128 v[11:14], v11 offset:256
	s_waitcnt lgkmcnt(0)
	s_add_u32 s1, s4, s6
	s_addc_u32 s2, s5, s7
	s_lshl_b32 s4, s14, 6
	v_ashrrev_i32_e32 v16, 31, v15
	s_ashr_i32 s5, s4, 31
	v_lshlrev_b64 v[19:20], 1, v[1:2]
	s_lshl_b64 s[4:5], s[4:5], 1
	v_ashrrev_i32_e32 v18, 31, v17
	s_add_u32 s1, s1, s4
	s_addc_u32 s2, s2, s5
	v_add_co_u32 v1, s1, s1, v73
	s_delay_alu instid0(VALU_DEP_1) | instskip(SKIP_1) | instid1(VALU_DEP_3)
	v_add_co_ci_u32_e64 v2, null, s2, 0, s1
	v_lshlrev_b64 v[15:16], 1, v[15:16]
	v_add_co_u32 v19, vcc_lo, v1, v19
	v_lshlrev_b64 v[17:18], 1, v[17:18]
	s_delay_alu instid0(VALU_DEP_4) | instskip(NEXT) | instid1(VALU_DEP_4)
	v_add_co_ci_u32_e32 v20, vcc_lo, v2, v20, vcc_lo
	v_add_co_u32 v15, vcc_lo, v1, v15
	v_add_co_ci_u32_e32 v16, vcc_lo, v2, v16, vcc_lo
	s_delay_alu instid0(VALU_DEP_4)
	v_add_co_u32 v17, vcc_lo, v1, v17
	v_add_co_ci_u32_e32 v18, vcc_lo, v2, v18, vcc_lo
	s_clause 0x2
	global_store_b128 v[19:20], v[3:6], off
	global_store_b128 v[15:16], v[7:10], off
	;; [unrolled: 1-line block ×3, first 2 shown]
	s_and_b32 exec_lo, exec_lo, s3
	s_cbranch_execz .LBB1392_2
; %bb.112:
	ds_load_b128 v[3:6], v0 offset:384
	s_add_i32 s1, s31, 6
	s_delay_alu instid0(SALU_CYCLE_1) | instskip(NEXT) | instid1(SALU_CYCLE_1)
	s_mul_i32 s0, s1, s0
	s_ashr_i32 s1, s0, 31
	s_delay_alu instid0(SALU_CYCLE_1) | instskip(NEXT) | instid1(SALU_CYCLE_1)
	s_lshl_b64 s[0:1], s[0:1], 1
	v_add_co_u32 v0, vcc_lo, v1, s0
	v_add_co_ci_u32_e32 v1, vcc_lo, s1, v2, vcc_lo
	s_waitcnt lgkmcnt(0)
	global_store_b128 v[0:1], v[3:6], off
	s_nop 0
	s_sendmsg sendmsg(MSG_DEALLOC_VGPRS)
	s_endpgm
	.section	.rodata,"a",@progbits
	.p2align	6, 0x0
	.amdhsa_kernel _Z39paged_attention_ll4mi_QKV_mfma16_kernelI14__hip_bfloat16hLN4vllm18Fp8KVCacheDataTypeE1ES0_Li16ELi64ELi256ELb1ELi7EL8MFMAType1EEvPKT_PKT0_S9_ifPKiSB_SB_iPKfiiiPfSE_PS4_PT2_iSD_SD_
		.amdhsa_group_segment_fixed_size 17472
		.amdhsa_private_segment_fixed_size 0
		.amdhsa_kernarg_size 400
		.amdhsa_user_sgpr_count 13
		.amdhsa_user_sgpr_dispatch_ptr 0
		.amdhsa_user_sgpr_queue_ptr 0
		.amdhsa_user_sgpr_kernarg_segment_ptr 1
		.amdhsa_user_sgpr_dispatch_id 0
		.amdhsa_user_sgpr_private_segment_size 0
		.amdhsa_wavefront_size32 1
		.amdhsa_uses_dynamic_stack 0
		.amdhsa_enable_private_segment 0
		.amdhsa_system_sgpr_workgroup_id_x 1
		.amdhsa_system_sgpr_workgroup_id_y 1
		.amdhsa_system_sgpr_workgroup_id_z 1
		.amdhsa_system_sgpr_workgroup_info 0
		.amdhsa_system_vgpr_workitem_id 0
		.amdhsa_next_free_vgpr 124
		.amdhsa_next_free_sgpr 40
		.amdhsa_reserve_vcc 1
		.amdhsa_float_round_mode_32 0
		.amdhsa_float_round_mode_16_64 0
		.amdhsa_float_denorm_mode_32 3
		.amdhsa_float_denorm_mode_16_64 3
		.amdhsa_dx10_clamp 1
		.amdhsa_ieee_mode 1
		.amdhsa_fp16_overflow 0
		.amdhsa_workgroup_processor_mode 1
		.amdhsa_memory_ordered 1
		.amdhsa_forward_progress 0
		.amdhsa_shared_vgpr_count 0
		.amdhsa_exception_fp_ieee_invalid_op 0
		.amdhsa_exception_fp_denorm_src 0
		.amdhsa_exception_fp_ieee_div_zero 0
		.amdhsa_exception_fp_ieee_overflow 0
		.amdhsa_exception_fp_ieee_underflow 0
		.amdhsa_exception_fp_ieee_inexact 0
		.amdhsa_exception_int_div_zero 0
	.end_amdhsa_kernel
	.section	.text._Z39paged_attention_ll4mi_QKV_mfma16_kernelI14__hip_bfloat16hLN4vllm18Fp8KVCacheDataTypeE1ES0_Li16ELi64ELi256ELb1ELi7EL8MFMAType1EEvPKT_PKT0_S9_ifPKiSB_SB_iPKfiiiPfSE_PS4_PT2_iSD_SD_,"axG",@progbits,_Z39paged_attention_ll4mi_QKV_mfma16_kernelI14__hip_bfloat16hLN4vllm18Fp8KVCacheDataTypeE1ES0_Li16ELi64ELi256ELb1ELi7EL8MFMAType1EEvPKT_PKT0_S9_ifPKiSB_SB_iPKfiiiPfSE_PS4_PT2_iSD_SD_,comdat
.Lfunc_end1392:
	.size	_Z39paged_attention_ll4mi_QKV_mfma16_kernelI14__hip_bfloat16hLN4vllm18Fp8KVCacheDataTypeE1ES0_Li16ELi64ELi256ELb1ELi7EL8MFMAType1EEvPKT_PKT0_S9_ifPKiSB_SB_iPKfiiiPfSE_PS4_PT2_iSD_SD_, .Lfunc_end1392-_Z39paged_attention_ll4mi_QKV_mfma16_kernelI14__hip_bfloat16hLN4vllm18Fp8KVCacheDataTypeE1ES0_Li16ELi64ELi256ELb1ELi7EL8MFMAType1EEvPKT_PKT0_S9_ifPKiSB_SB_iPKfiiiPfSE_PS4_PT2_iSD_SD_
                                        ; -- End function
	.section	.AMDGPU.csdata,"",@progbits
; Kernel info:
; codeLenInByte = 8804
; NumSgprs: 42
; NumVgprs: 124
; ScratchSize: 0
; MemoryBound: 0
; FloatMode: 240
; IeeeMode: 1
; LDSByteSize: 17472 bytes/workgroup (compile time only)
; SGPRBlocks: 5
; VGPRBlocks: 15
; NumSGPRsForWavesPerEU: 42
; NumVGPRsForWavesPerEU: 124
; Occupancy: 10
; WaveLimiterHint : 1
; COMPUTE_PGM_RSRC2:SCRATCH_EN: 0
; COMPUTE_PGM_RSRC2:USER_SGPR: 13
; COMPUTE_PGM_RSRC2:TRAP_HANDLER: 0
; COMPUTE_PGM_RSRC2:TGID_X_EN: 1
; COMPUTE_PGM_RSRC2:TGID_Y_EN: 1
; COMPUTE_PGM_RSRC2:TGID_Z_EN: 1
; COMPUTE_PGM_RSRC2:TIDIG_COMP_CNT: 0
	.section	.text._Z39paged_attention_ll4mi_QKV_mfma16_kernelI14__hip_bfloat16hLN4vllm18Fp8KVCacheDataTypeE1ES0_Li16ELi64ELi256ELb1ELi8EL8MFMAType1EEvPKT_PKT0_S9_ifPKiSB_SB_iPKfiiiPfSE_PS4_PT2_iSD_SD_,"axG",@progbits,_Z39paged_attention_ll4mi_QKV_mfma16_kernelI14__hip_bfloat16hLN4vllm18Fp8KVCacheDataTypeE1ES0_Li16ELi64ELi256ELb1ELi8EL8MFMAType1EEvPKT_PKT0_S9_ifPKiSB_SB_iPKfiiiPfSE_PS4_PT2_iSD_SD_,comdat
	.protected	_Z39paged_attention_ll4mi_QKV_mfma16_kernelI14__hip_bfloat16hLN4vllm18Fp8KVCacheDataTypeE1ES0_Li16ELi64ELi256ELb1ELi8EL8MFMAType1EEvPKT_PKT0_S9_ifPKiSB_SB_iPKfiiiPfSE_PS4_PT2_iSD_SD_ ; -- Begin function _Z39paged_attention_ll4mi_QKV_mfma16_kernelI14__hip_bfloat16hLN4vllm18Fp8KVCacheDataTypeE1ES0_Li16ELi64ELi256ELb1ELi8EL8MFMAType1EEvPKT_PKT0_S9_ifPKiSB_SB_iPKfiiiPfSE_PS4_PT2_iSD_SD_
	.globl	_Z39paged_attention_ll4mi_QKV_mfma16_kernelI14__hip_bfloat16hLN4vllm18Fp8KVCacheDataTypeE1ES0_Li16ELi64ELi256ELb1ELi8EL8MFMAType1EEvPKT_PKT0_S9_ifPKiSB_SB_iPKfiiiPfSE_PS4_PT2_iSD_SD_
	.p2align	8
	.type	_Z39paged_attention_ll4mi_QKV_mfma16_kernelI14__hip_bfloat16hLN4vllm18Fp8KVCacheDataTypeE1ES0_Li16ELi64ELi256ELb1ELi8EL8MFMAType1EEvPKT_PKT0_S9_ifPKiSB_SB_iPKfiiiPfSE_PS4_PT2_iSD_SD_,@function
_Z39paged_attention_ll4mi_QKV_mfma16_kernelI14__hip_bfloat16hLN4vllm18Fp8KVCacheDataTypeE1ES0_Li16ELi64ELi256ELb1ELi8EL8MFMAType1EEvPKT_PKT0_S9_ifPKiSB_SB_iPKfiiiPfSE_PS4_PT2_iSD_SD_: ; @_Z39paged_attention_ll4mi_QKV_mfma16_kernelI14__hip_bfloat16hLN4vllm18Fp8KVCacheDataTypeE1ES0_Li16ELi64ELi256ELb1ELi8EL8MFMAType1EEvPKT_PKT0_S9_ifPKiSB_SB_iPKfiiiPfSE_PS4_PT2_iSD_SD_
; %bb.0:
	s_load_b64 s[2:3], s[0:1], 0x30
	s_mov_b32 s30, s13
	s_waitcnt lgkmcnt(0)
	s_cmp_lg_u64 s[2:3], 0
	s_cselect_b32 s8, -1, 0
	s_ashr_i32 s31, s13, 31
	s_cmp_eq_u64 s[2:3], 0
	s_cbranch_scc1 .LBB1393_3
; %bb.1:
	s_lshl_b64 s[4:5], s[30:31], 2
	s_delay_alu instid0(SALU_CYCLE_1) | instskip(SKIP_4) | instid1(SALU_CYCLE_1)
	s_add_u32 s4, s2, s4
	s_addc_u32 s5, s3, s5
	s_load_b64 s[4:5], s[4:5], 0x0
	s_waitcnt lgkmcnt(0)
	s_sub_i32 s4, s5, s4
	s_cmp_eq_u32 s4, 1
	s_cselect_b32 s4, -1, 0
	s_delay_alu instid0(SALU_CYCLE_1)
	s_and_not1_b32 vcc_lo, exec_lo, s4
	s_cbranch_vccz .LBB1393_4
.LBB1393_2:
	s_endpgm
.LBB1393_3:
.LBB1393_4:
	s_load_b64 s[4:5], s[0:1], 0x28
	s_lshl_b64 s[6:7], s[30:31], 2
	s_waitcnt lgkmcnt(0)
	s_add_u32 s4, s4, s6
	s_addc_u32 s5, s5, s7
	s_lshl_b32 s12, s14, 8
	s_load_b32 s24, s[4:5], 0x0
	s_waitcnt lgkmcnt(0)
	s_cmp_ge_i32 s12, s24
	s_cbranch_scc1 .LBB1393_2
; %bb.5:
	s_clause 0x1
	s_load_b128 s[20:23], s[0:1], 0x8
	s_load_b64 s[4:5], s[0:1], 0x20
	s_and_not1_b32 vcc_lo, exec_lo, s8
	s_cbranch_vccnz .LBB1393_7
; %bb.6:
	s_add_u32 s2, s2, s6
	s_addc_u32 s3, s3, s7
	s_load_b32 s3, s[2:3], 0x0
	s_branch .LBB1393_8
.LBB1393_7:
	s_mov_b32 s3, s30
.LBB1393_8:
	s_load_b128 s[16:19], s[0:1], 0x48
	v_and_b32_e32 v66, 15, v0
	v_cmp_gt_u32_e32 vcc_lo, 0x80, v0
	v_lshrrev_b32_e32 v65, 5, v0
	v_and_b32_e32 v67, 31, v0
	v_and_b32_e32 v74, 1, v0
	v_lshlrev_b32_e32 v1, 3, v66
	v_cmp_gt_u32_e64 s2, 8, v66
	v_bfe_u32 v75, v0, 4, 1
	s_lshl_b32 s31, s15, 3
	s_delay_alu instid0(VALU_DEP_3) | instskip(NEXT) | instid1(VALU_DEP_3)
	v_lshlrev_b32_e32 v73, 1, v1
	s_and_b32 s7, vcc_lo, s2
	s_delay_alu instid0(SALU_CYCLE_1)
	s_and_saveexec_b32 s6, s7
	s_cbranch_execz .LBB1393_10
; %bb.9:
	v_lshl_or_b32 v5, v65, 1, v75
	s_load_b64 s[8:9], s[0:1], 0x0
	s_waitcnt lgkmcnt(0)
	s_mul_hi_i32 s11, s3, s16
	s_mul_i32 s10, s3, s16
	v_lshlrev_b32_e32 v6, 10, v66
	v_or_b32_e32 v1, s31, v5
	s_lshl_b64 s[10:11], s[10:11], 1
	v_lshlrev_b32_e32 v5, 6, v5
	v_lshlrev_b32_e32 v7, 10, v74
	v_and_b32_e32 v6, 0x3800, v6
	v_lshlrev_b32_e32 v1, 6, v1
	s_delay_alu instid0(VALU_DEP_2) | instskip(NEXT) | instid1(VALU_DEP_2)
	v_or3_b32 v5, v6, v7, v5
	v_ashrrev_i32_e32 v2, 31, v1
	s_delay_alu instid0(VALU_DEP_1) | instskip(SKIP_2) | instid1(VALU_DEP_1)
	v_lshlrev_b64 v[1:2], 1, v[1:2]
	s_add_u32 s3, s8, s10
	s_addc_u32 s7, s9, s11
	v_add_co_u32 v1, vcc_lo, s3, v1
	s_delay_alu instid0(VALU_DEP_2) | instskip(NEXT) | instid1(VALU_DEP_2)
	v_add_co_ci_u32_e32 v2, vcc_lo, s7, v2, vcc_lo
	v_add_co_u32 v1, vcc_lo, v1, v73
	s_delay_alu instid0(VALU_DEP_2)
	v_add_co_ci_u32_e32 v2, vcc_lo, 0, v2, vcc_lo
	global_load_b128 v[1:4], v[1:2], off
	s_waitcnt vmcnt(0)
	ds_store_b128 v5, v[1:4]
.LBB1393_10:
	s_or_b32 exec_lo, exec_lo, s6
	v_and_b32_e32 v1, 0xef, v0
	s_waitcnt lgkmcnt(0)
	s_add_i32 s3, s24, 15
	s_clause 0x1
	s_load_b32 s6, s[0:1], 0x38
	s_load_b32 s19, s[0:1], 0x1c
	s_ashr_i32 s7, s3, 31
	v_add_nc_u32_e32 v1, s12, v1
	s_lshr_b32 s7, s7, 28
	s_waitcnt lgkmcnt(0)
	s_add_i32 s3, s3, s7
	s_barrier
	v_ashrrev_i32_e32 v2, 31, v1
	v_or_b32_e32 v3, 16, v1
	s_ashr_i32 s3, s3, 4
	v_cmp_gt_i32_e32 vcc_lo, s24, v1
	s_add_i32 s3, s3, -1
	v_lshrrev_b32_e32 v2, 28, v2
	buffer_gl0_inv
	s_mul_i32 s27, s15, s18
	v_add_nc_u32_e32 v4, v1, v2
	s_mul_i32 s6, s30, s6
	s_delay_alu instid0(SALU_CYCLE_1) | instskip(NEXT) | instid1(VALU_DEP_1)
	s_ashr_i32 s7, s6, 31
	v_ashrrev_i32_e32 v4, 4, v4
	v_add_nc_u32_e32 v2, v3, v2
	s_lshl_b64 s[6:7], s[6:7], 2
	s_delay_alu instid0(SALU_CYCLE_1) | instskip(NEXT) | instid1(VALU_DEP_2)
	s_add_u32 s26, s4, s6
	v_cndmask_b32_e32 v1, s3, v4, vcc_lo
	s_delay_alu instid0(VALU_DEP_2)
	v_ashrrev_i32_e32 v2, 4, v2
	v_cmp_gt_i32_e32 vcc_lo, s24, v3
	s_addc_u32 s25, s5, s7
	s_ashr_i32 s28, s27, 31
	s_add_u32 s13, s20, s27
	s_addc_u32 s15, s21, s28
	v_cndmask_b32_e32 v3, s3, v2, vcc_lo
	v_ashrrev_i32_e32 v2, 31, v1
	s_lshl_b32 s4, s14, 4
	s_delay_alu instid0(SALU_CYCLE_1) | instskip(NEXT) | instid1(VALU_DEP_2)
	s_ashr_i32 s5, s4, 31
	v_ashrrev_i32_e32 v4, 31, v3
	s_delay_alu instid0(VALU_DEP_2) | instskip(SKIP_1) | instid1(SALU_CYCLE_1)
	v_lshlrev_b64 v[1:2], 2, v[1:2]
	s_lshl_b64 s[4:5], s[4:5], 2
	s_add_u32 s4, s26, s4
	s_delay_alu instid0(VALU_DEP_2) | instskip(SKIP_1) | instid1(VALU_DEP_2)
	v_lshlrev_b64 v[3:4], 2, v[3:4]
	s_addc_u32 s5, s25, s5
	v_add_co_u32 v1, vcc_lo, s26, v1
	v_add_co_ci_u32_e32 v2, vcc_lo, s25, v2, vcc_lo
	s_delay_alu instid0(VALU_DEP_3) | instskip(NEXT) | instid1(VALU_DEP_4)
	v_add_co_u32 v3, vcc_lo, s26, v3
	v_add_co_ci_u32_e32 v4, vcc_lo, s25, v4, vcc_lo
	s_clause 0x1
	global_load_b32 v5, v[1:2], off
	global_load_b32 v7, v[3:4], off
	s_or_b32 s6, s12, 32
	v_lshlrev_b32_e32 v1, 4, v0
	s_ashr_i32 s7, s6, 4
	s_cmp_lt_i32 s6, s24
	s_cselect_b32 s6, s7, s3
	s_delay_alu instid0(VALU_DEP_1) | instskip(SKIP_1) | instid1(SALU_CYCLE_1)
	v_and_b32_e32 v1, 0xf0, v1
	s_ashr_i32 s7, s6, 31
	s_lshl_b64 s[6:7], s[6:7], 2
	s_delay_alu instid0(SALU_CYCLE_1)
	s_add_u32 s6, s26, s6
	s_addc_u32 s7, s25, s7
	s_or_b32 s8, s12, 64
	v_add_co_u32 v1, s13, s13, v1
	s_ashr_i32 s9, s8, 4
	s_cmp_lt_i32 s8, s24
	v_add_co_ci_u32_e64 v2, null, s15, 0, s13
	s_cselect_b32 s8, s9, s3
	s_delay_alu instid0(SALU_CYCLE_1) | instskip(NEXT) | instid1(SALU_CYCLE_1)
	s_ashr_i32 s9, s8, 31
	s_lshl_b64 s[8:9], s[8:9], 2
	s_delay_alu instid0(SALU_CYCLE_1) | instskip(SKIP_2) | instid1(SALU_CYCLE_1)
	s_add_u32 s8, s26, s8
	s_addc_u32 s9, s25, s9
	s_or_b32 s10, s12, 0x60
	s_ashr_i32 s11, s10, 4
	s_cmp_lt_i32 s10, s24
	s_cselect_b32 s10, s11, s3
	s_delay_alu instid0(SALU_CYCLE_1) | instskip(NEXT) | instid1(SALU_CYCLE_1)
	s_ashr_i32 s11, s10, 31
	s_lshl_b64 s[10:11], s[10:11], 2
	s_delay_alu instid0(SALU_CYCLE_1) | instskip(SKIP_2) | instid1(SALU_CYCLE_1)
	s_add_u32 s10, s26, s10
	s_addc_u32 s11, s25, s11
	s_or_b32 s16, s12, 0x80
	s_ashr_i32 s18, s16, 4
	s_cmp_lt_i32 s16, s24
	;; [unrolled: 10-line block ×3, first 2 shown]
	s_cselect_b32 s20, s18, s3
	s_delay_alu instid0(SALU_CYCLE_1) | instskip(NEXT) | instid1(SALU_CYCLE_1)
	s_ashr_i32 s21, s20, 31
	s_lshl_b64 s[20:21], s[20:21], 2
	s_delay_alu instid0(SALU_CYCLE_1)
	s_add_u32 s36, s26, s20
	s_addc_u32 s37, s25, s21
	s_clause 0x5
	s_load_b32 s21, s[4:5], 0x0
	s_load_b32 s13, s[6:7], 0x0
	;; [unrolled: 1-line block ×6, first 2 shown]
	s_or_b32 s7, s12, 0xc0
	s_mov_b32 s4, 0
	s_ashr_i32 s8, s7, 4
	s_cmp_lt_i32 s7, s24
	s_mov_b32 s5, s4
	s_cselect_b32 s10, s8, s3
	s_mov_b32 s6, s4
	s_ashr_i32 s11, s10, 31
	s_mov_b32 s7, s4
	s_lshl_b64 s[34:35], s[10:11], 2
	s_mov_b32 s11, s4
	s_add_u32 s34, s26, s34
	s_addc_u32 s35, s25, s35
	s_or_b32 s29, s12, 0xe0
	s_mov_b32 s8, s4
	s_ashr_i32 s33, s29, 4
	s_mov_b32 s9, s4
	s_mov_b32 s10, s4
	s_cmp_lt_i32 s29, s24
	v_dual_mov_b32 v107, s11 :: v_dual_mov_b32 v100, s4
	v_mov_b32_e32 v106, s10
	v_dual_mov_b32 v104, s8 :: v_dual_mov_b32 v103, s7
	v_dual_mov_b32 v102, s6 :: v_dual_mov_b32 v101, s5
	v_mov_b32_e32 v105, s9
	s_cselect_b32 s4, s33, s3
	s_delay_alu instid0(SALU_CYCLE_1) | instskip(NEXT) | instid1(SALU_CYCLE_1)
	s_ashr_i32 s5, s4, 31
	s_lshl_b64 s[4:5], s[4:5], 2
	s_delay_alu instid0(SALU_CYCLE_1)
	s_add_u32 s4, s26, s4
	s_addc_u32 s5, s25, s5
	s_add_u32 s6, s22, s27
	s_addc_u32 s7, s23, s28
	s_waitcnt vmcnt(1)
	v_mad_i64_i32 v[3:4], null, v5, s17, v[1:2]
	s_waitcnt vmcnt(0)
	v_mad_i64_i32 v[5:6], null, v7, s17, v[1:2]
	s_clause 0x7
	global_load_b128 v[49:52], v[3:4], off
	global_load_b128 v[53:56], v[3:4], off offset:256
	global_load_b128 v[76:79], v[5:6], off
	global_load_b128 v[80:83], v[5:6], off offset:256
	global_load_b128 v[84:87], v[3:4], off offset:512
	;; [unrolled: 1-line block ×5, first 2 shown]
	v_and_b32_e32 v1, 7, v0
	v_lshlrev_b32_e32 v2, 4, v66
	s_load_b32 s3, s[34:35], 0x0
	s_delay_alu instid0(VALU_DEP_2) | instskip(NEXT) | instid1(VALU_DEP_2)
	v_lshlrev_b32_e32 v70, 6, v1
	v_lshl_or_b32 v1, v65, 8, v2
	ds_load_b128 v[108:111], v70
	ds_load_b128 v[112:115], v70 offset:1024
	s_load_b32 s4, s[4:5], 0x0
	v_add_co_u32 v9, s6, s6, v1
	s_delay_alu instid0(VALU_DEP_1) | instskip(SKIP_1) | instid1(VALU_DEP_1)
	v_add_co_ci_u32_e64 v10, null, s7, 0, s6
	s_waitcnt lgkmcnt(0)
	v_mad_i64_i32 v[1:2], null, s21, s17, v[9:10]
	v_mad_i64_i32 v[3:4], null, s13, s17, v[9:10]
	;; [unrolled: 1-line block ×7, first 2 shown]
	s_clause 0x9
	global_load_b128 v[57:60], v[1:2], off
	global_load_b128 v[61:64], v[1:2], off offset:16
	global_load_b128 v[41:44], v[3:4], off
	global_load_b128 v[45:48], v[3:4], off offset:16
	;; [unrolled: 2-line block ×5, first 2 shown]
	v_mad_i64_i32 v[68:69], null, s4, s17, v[9:10]
	s_clause 0x3
	global_load_b128 v[9:12], v[13:14], off
	global_load_b128 v[13:16], v[13:14], off offset:16
	global_load_b128 v[17:20], v[21:22], off
	global_load_b128 v[21:24], v[21:22], off offset:16
	s_waitcnt vmcnt(20)
	v_wmma_f32_16x16x16_bf16 v[116:123], v[49:56], v[108:115], v[100:107]
	s_clause 0x1
	global_load_b128 v[49:52], v[68:69], off
	global_load_b128 v[53:56], v[68:69], off offset:16
	v_and_b32_e32 v68, 0xe0, v0
	v_mbcnt_lo_u32_b32 v69, -1, 0
	s_delay_alu instid0(VALU_DEP_2)
	v_add_nc_u32_e32 v68, s12, v68
	s_waitcnt vmcnt(20)
	v_wmma_f32_16x16x16_bf16 v[100:107], v[76:83], v[108:115], v[100:107]
	ds_load_b128 v[76:79], v70 offset:2048
	ds_load_b128 v[80:83], v70 offset:3072
	v_xor_b32_e32 v70, 16, v69
	s_waitcnt vmcnt(0) lgkmcnt(0)
	v_or_b32_e32 v68, v68, v75
	s_barrier
	buffer_gl0_inv
	v_cmp_gt_i32_e32 vcc_lo, 32, v70
	v_or_b32_e32 v71, 4, v68
	v_or_b32_e32 v72, 6, v68
	v_cmp_gt_i32_e64 s3, s24, v68
	v_or_b32_e32 v108, 8, v68
	v_or_b32_e32 v109, 10, v68
	v_cmp_gt_i32_e64 s4, s24, v71
	v_cmp_gt_i32_e64 s5, s24, v72
	s_delay_alu instid0(VALU_DEP_4) | instskip(NEXT) | instid1(VALU_DEP_4)
	v_cmp_gt_i32_e64 s6, s24, v108
	v_cmp_gt_i32_e64 s7, s24, v109
	v_wmma_f32_16x16x16_bf16 v[116:123], v[84:91], v[76:83], v[116:123]
	v_cndmask_b32_e32 v69, v69, v70, vcc_lo
	v_or_b32_e32 v70, 2, v68
	v_wmma_f32_16x16x16_bf16 v[100:107], v[92:99], v[76:83], v[100:107]
	v_or_b32_e32 v89, 22, v68
	v_dual_mul_f32 v80, s19, v121 :: v_dual_mul_f32 v81, s19, v120
	v_dual_mul_f32 v92, s19, v117 :: v_dual_mul_f32 v93, s19, v116
	s_delay_alu instid0(VALU_DEP_4)
	v_mul_f32_e32 v96, s19, v105
	v_cmp_gt_i32_e32 vcc_lo, s24, v70
	v_dual_mul_f32 v79, s19, v122 :: v_dual_mul_f32 v82, s19, v119
	v_dual_mul_f32 v83, s19, v118 :: v_dual_mul_f32 v94, s19, v107
	v_cndmask_b32_e64 v93, 0xff7fffff, v93, s3
	v_cndmask_b32_e32 v92, 0xff7fffff, v92, vcc_lo
	v_or_b32_e32 v84, 12, v68
	v_or_b32_e32 v85, 14, v68
	v_cndmask_b32_e64 v71, 0xff7fffff, v83, s4
	v_cndmask_b32_e64 v72, 0xff7fffff, v82, s5
	v_cmp_gt_i32_e64 s13, s24, v89
	v_lshlrev_b32_e32 v89, 2, v69
	v_max3_f32 v82, v93, 0xff7fffff, v92
	v_or_b32_e32 v86, 16, v68
	v_or_b32_e32 v87, 18, v68
	v_mul_f32_e32 v78, s19, v123
	v_cndmask_b32_e64 v81, 0xff7fffff, v81, s6
	v_cndmask_b32_e64 v80, 0xff7fffff, v80, s7
	v_max3_f32 v71, v82, v71, v72
	v_cmp_gt_i32_e64 s8, s24, v84
	v_cmp_gt_i32_e64 s9, s24, v85
	v_or_b32_e32 v88, 20, v68
	v_or_b32_e32 v90, 24, v68
	;; [unrolled: 1-line block ×5, first 2 shown]
	v_dual_mul_f32 v97, s19, v104 :: v_dual_mul_f32 v70, s19, v101
	v_dual_mul_f32 v99, s19, v102 :: v_dual_mul_f32 v68, s19, v100
	v_cndmask_b32_e64 v72, 0xff7fffff, v79, s8
	v_cndmask_b32_e64 v78, 0xff7fffff, v78, s9
	v_max3_f32 v71, v71, v81, v80
	v_cmp_gt_i32_e64 s10, s24, v86
	v_cmp_gt_i32_e64 s11, s24, v87
	v_dual_mul_f32 v95, s19, v106 :: v_dual_mul_f32 v98, s19, v103
	s_delay_alu instid0(VALU_DEP_4) | instskip(NEXT) | instid1(VALU_DEP_4)
	v_max3_f32 v71, v71, v72, v78
	v_cndmask_b32_e64 v68, 0xff7fffff, v68, s10
	s_delay_alu instid0(VALU_DEP_4)
	v_cndmask_b32_e64 v70, 0xff7fffff, v70, s11
	v_cmp_gt_i32_e64 s12, s24, v88
	v_cndmask_b32_e64 v78, 0xff7fffff, v98, s13
	v_cmp_gt_i32_e64 s15, s24, v90
	v_cmp_gt_i32_e64 s16, s24, v91
	v_max3_f32 v68, v71, v68, v70
	v_cndmask_b32_e64 v72, 0xff7fffff, v99, s12
	v_cmp_gt_i32_e64 s17, s24, v76
	v_cndmask_b32_e64 v70, 0xff7fffff, v97, s15
	v_cndmask_b32_e64 v71, 0xff7fffff, v96, s16
	v_cmp_gt_i32_e64 s18, s24, v77
	v_max3_f32 v68, v68, v72, v78
	v_cndmask_b32_e64 v72, 0xff7fffff, v95, s17
	s_delay_alu instid0(VALU_DEP_3) | instskip(NEXT) | instid1(VALU_DEP_3)
	v_cndmask_b32_e64 v76, 0xff7fffff, v94, s18
	v_max3_f32 v68, v68, v70, v71
	s_delay_alu instid0(VALU_DEP_1) | instskip(SKIP_3) | instid1(VALU_DEP_1)
	v_max3_f32 v68, v68, v72, v76
	ds_bpermute_b32 v69, v89, v68
	s_waitcnt lgkmcnt(0)
	v_max_f32_e32 v69, v69, v69
	v_max_f32_e32 v68, v68, v69
	s_delay_alu instid0(VALU_DEP_1) | instskip(NEXT) | instid1(VALU_DEP_1)
	v_fma_f32 v71, s19, v118, -v68
	v_mul_f32_e32 v71, 0x3fb8aa3b, v71
	v_fma_f32 v70, s19, v117, -v68
	v_fma_f32 v69, s19, v116, -v68
	;; [unrolled: 1-line block ×5, first 2 shown]
	s_delay_alu instid0(VALU_DEP_4) | instskip(SKIP_1) | instid1(VALU_DEP_3)
	v_dual_mul_f32 v70, 0x3fb8aa3b, v70 :: v_dual_mul_f32 v69, 0x3fb8aa3b, v69
	v_exp_f32_e32 v71, v71
	v_mul_f32_e32 v72, 0x3fb8aa3b, v72
	v_fma_f32 v81, s19, v105, -v68
	s_delay_alu instid0(VALU_DEP_3)
	v_exp_f32_e32 v70, v70
	v_mul_f32_e32 v77, 0x3fb8aa3b, v76
	v_exp_f32_e32 v69, v69
	v_exp_f32_e32 v72, v72
	v_mul_f32_e32 v81, 0x3fb8aa3b, v81
	v_cndmask_b32_e64 v83, 0, v71, s4
	v_fma_f32 v71, s19, v123, -v68
	s_delay_alu instid0(VALU_DEP_3) | instskip(SKIP_4) | instid1(TRANS32_DEP_3)
	v_exp_f32_e32 v81, v81
	v_cndmask_b32_e32 v76, 0, v70, vcc_lo
	v_exp_f32_e32 v77, v77
	v_cndmask_b32_e64 v80, 0, v69, s3
	v_fma_f32 v69, s19, v121, -v68
	v_cndmask_b32_e64 v85, 0, v72, s5
	v_mul_f32_e32 v71, 0x3fb8aa3b, v71
	v_fma_f32 v72, s19, v100, -v68
	s_delay_alu instid0(VALU_DEP_4) | instskip(SKIP_1) | instid1(VALU_DEP_3)
	v_dual_add_f32 v70, 0, v80 :: v_dual_mul_f32 v69, 0x3fb8aa3b, v69
	s_mov_b32 s3, exec_lo
	v_exp_f32_e32 v71, v71
	s_delay_alu instid0(TRANS32_DEP_2) | instskip(SKIP_4) | instid1(VALU_DEP_3)
	v_cndmask_b32_e64 v86, 0, v77, s6
	v_fma_f32 v77, s19, v101, -v68
	v_mul_f32_e32 v78, 0x3fb8aa3b, v78
	v_add_f32_e32 v70, v70, v76
	v_exp_f32_e32 v69, v69
	v_mul_f32_e32 v77, 0x3fb8aa3b, v77
	s_delay_alu instid0(VALU_DEP_3) | instskip(NEXT) | instid1(TRANS32_DEP_3)
	v_exp_f32_e32 v78, v78
	v_cndmask_b32_e64 v88, 0, v71, s9
	v_fma_f32 v71, s19, v104, -v68
	s_delay_alu instid0(VALU_DEP_3) | instskip(NEXT) | instid1(TRANS32_DEP_3)
	v_exp_f32_e32 v77, v77
	v_cndmask_b32_e64 v87, 0, v69, s7
	s_delay_alu instid0(VALU_DEP_2)
	v_mul_f32_e32 v71, 0x3fb8aa3b, v71
	s_waitcnt_depctr 0xfff
	v_cndmask_b32_e64 v84, 0, v78, s8
	v_add_f32_e32 v70, v70, v83
	v_fma_f32 v78, s19, v103, -v68
	v_exp_f32_e32 v82, v71
	s_delay_alu instid0(VALU_DEP_2) | instskip(SKIP_1) | instid1(VALU_DEP_3)
	v_add_f32_e32 v70, v70, v85
	v_mul_f32_e32 v72, 0x3fb8aa3b, v72
	v_mul_f32_e32 v78, 0x3fb8aa3b, v78
	s_delay_alu instid0(VALU_DEP_3) | instskip(SKIP_1) | instid1(VALU_DEP_4)
	v_add_f32_e32 v69, v70, v86
	v_fma_f32 v70, s19, v102, -v68
	v_exp_f32_e32 v72, v72
	s_delay_alu instid0(VALU_DEP_3) | instskip(NEXT) | instid1(VALU_DEP_1)
	v_exp_f32_e32 v78, v78
	v_dual_add_f32 v69, v69, v87 :: v_dual_mul_f32 v70, 0x3fb8aa3b, v70
	s_delay_alu instid0(VALU_DEP_1) | instskip(NEXT) | instid1(VALU_DEP_2)
	v_add_f32_e32 v69, v69, v84
	v_exp_f32_e32 v79, v70
	s_delay_alu instid0(TRANS32_DEP_3) | instskip(NEXT) | instid1(VALU_DEP_2)
	v_cndmask_b32_e64 v70, 0, v72, s10
	v_add_f32_e32 v72, v69, v88
	v_cndmask_b32_e64 v69, 0, v77, s11
	v_fma_f32 v77, s19, v106, -v68
	s_waitcnt_depctr 0xfff
	v_cndmask_b32_e64 v71, 0, v79, s12
	v_dual_mul_f32 v77, 0x3fb8aa3b, v77 :: v_dual_add_f32 v72, v72, v70
	s_delay_alu instid0(VALU_DEP_1) | instskip(NEXT) | instid1(VALU_DEP_1)
	v_exp_f32_e32 v90, v77
	v_add_f32_e32 v79, v72, v69
	v_cndmask_b32_e64 v72, 0, v78, s13
	v_cndmask_b32_e64 v77, 0, v82, s15
	s_delay_alu instid0(VALU_DEP_3) | instskip(SKIP_1) | instid1(VALU_DEP_1)
	v_add_f32_e32 v78, v79, v71
	v_fma_f32 v79, s19, v107, -v68
	v_dual_add_f32 v82, v78, v72 :: v_dual_mul_f32 v79, 0x3fb8aa3b, v79
	v_cndmask_b32_e64 v78, 0, v81, s16
	s_delay_alu instid0(VALU_DEP_2) | instskip(NEXT) | instid1(VALU_DEP_3)
	v_add_f32_e32 v81, v82, v77
	v_exp_f32_e32 v82, v79
	v_cndmask_b32_e64 v79, 0, v90, s17
	s_delay_alu instid0(VALU_DEP_2) | instskip(NEXT) | instid1(VALU_DEP_1)
	v_add_f32_e32 v81, v81, v78
	v_add_f32_e32 v90, v81, v79
	s_waitcnt_depctr 0xfff
	v_cndmask_b32_e64 v81, 0, v82, s18
	s_delay_alu instid0(VALU_DEP_1)
	v_add_f32_e32 v82, v90, v81
	ds_bpermute_b32 v89, v89, v82
	v_cmpx_gt_u32_e32 16, v67
	s_cbranch_execz .LBB1393_12
; %bb.11:
	v_mul_u32_u24_e32 v67, 0x44, v65
	s_delay_alu instid0(VALU_DEP_1) | instskip(SKIP_1) | instid1(VALU_DEP_1)
	v_lshl_add_u32 v67, v66, 2, v67
	s_waitcnt lgkmcnt(0)
	v_dual_add_f32 v82, v82, v89 :: v_dual_add_nc_u32 v67, 0x4000, v67
	ds_store_2addr_b32 v67, v68, v82 offset1:136
.LBB1393_12:
	s_or_b32 exec_lo, exec_lo, s3
	v_lshlrev_b32_e32 v67, 2, v66
	s_waitcnt lgkmcnt(0)
	s_barrier
	buffer_gl0_inv
	v_cmp_eq_u32_e32 vcc_lo, 1, v65
	v_add_nc_u32_e32 v82, 0x4000, v67
	v_cmp_eq_u32_e64 s3, 2, v65
	v_cmp_eq_u32_e64 s5, 7, v65
	ds_load_2addr_b32 v[89:90], v82 offset1:17
	ds_load_2addr_b32 v[91:92], v82 offset0:34 offset1:51
	ds_load_2addr_b32 v[93:94], v82 offset0:68 offset1:85
	;; [unrolled: 1-line block ×4, first 2 shown]
	s_waitcnt lgkmcnt(4)
	v_max3_f32 v67, v89, 0xff7fffff, v90
	s_waitcnt lgkmcnt(3)
	s_delay_alu instid0(VALU_DEP_1) | instskip(SKIP_1) | instid1(VALU_DEP_1)
	v_max3_f32 v67, v67, v91, v92
	s_waitcnt lgkmcnt(2)
	v_max3_f32 v67, v67, v93, v94
	s_waitcnt lgkmcnt(1)
	s_delay_alu instid0(VALU_DEP_1) | instskip(NEXT) | instid1(VALU_DEP_1)
	v_max3_f32 v67, v67, v95, v96
	v_sub_f32_e32 v93, v93, v67
	s_delay_alu instid0(VALU_DEP_1) | instskip(NEXT) | instid1(VALU_DEP_1)
	v_dual_sub_f32 v68, v89, v67 :: v_dual_mul_f32 v103, 0x3fb8aa3b, v93
	v_mul_f32_e32 v68, 0x3fb8aa3b, v68
	s_delay_alu instid0(VALU_DEP_1)
	v_exp_f32_e32 v100, v68
	v_sub_f32_e32 v68, v92, v67
	v_sub_f32_e32 v99, v90, v67
	ds_load_2addr_b32 v[89:90], v82 offset0:170 offset1:187
	v_dual_mul_f32 v102, 0x3fb8aa3b, v68 :: v_dual_mul_f32 v99, 0x3fb8aa3b, v99
	s_waitcnt lgkmcnt(1)
	v_fma_f32 v68, v100, v97, 0
	s_delay_alu instid0(VALU_DEP_2) | instskip(NEXT) | instid1(VALU_DEP_2)
	v_exp_f32_e32 v102, v102
	v_exp_f32_e32 v99, v99
	s_waitcnt_depctr 0xfff
	v_fmac_f32_e32 v68, v99, v98
	v_sub_f32_e32 v91, v91, v67
	s_delay_alu instid0(VALU_DEP_1)
	v_mul_f32_e32 v101, 0x3fb8aa3b, v91
	ds_load_2addr_b32 v[91:92], v82 offset0:204 offset1:221
	v_sub_f32_e32 v97, v94, v67
	ds_load_2addr_b32 v[93:94], v82 offset0:238 offset1:255
	s_waitcnt lgkmcnt(0)
	v_exp_f32_e32 v101, v101
	s_barrier
	buffer_gl0_inv
	v_dual_fmac_f32 v68, v101, v89 :: v_dual_sub_f32 v89, v96, v67
	v_dual_sub_f32 v82, v95, v67 :: v_dual_mul_f32 v95, 0x3fb8aa3b, v97
	v_exp_f32_e32 v97, v103
	s_delay_alu instid0(VALU_DEP_2) | instskip(NEXT) | instid1(VALU_DEP_2)
	v_dual_fmac_f32 v68, v102, v90 :: v_dual_mul_f32 v89, 0x3fb8aa3b, v89
	v_mul_f32_e32 v82, 0x3fb8aa3b, v82
	s_delay_alu instid0(VALU_DEP_3) | instskip(NEXT) | instid1(VALU_DEP_2)
	v_exp_f32_e32 v95, v95
	v_exp_f32_e32 v89, v89
	s_delay_alu instid0(VALU_DEP_1)
	v_exp_f32_e32 v82, v82
	v_fmac_f32_e32 v68, v97, v91
	s_delay_alu instid0(TRANS32_DEP_3) | instid1(VALU_DEP_1)
	v_fmac_f32_e32 v68, v95, v92
	s_waitcnt_depctr 0xfff
	v_fmac_f32_e32 v68, v82, v93
	s_delay_alu instid0(VALU_DEP_1) | instskip(NEXT) | instid1(VALU_DEP_1)
	v_fmac_f32_e32 v68, v89, v94
	v_add_f32_e32 v90, 0x358637bd, v68
	s_delay_alu instid0(VALU_DEP_1) | instskip(NEXT) | instid1(VALU_DEP_1)
	v_div_scale_f32 v91, null, v90, v90, 1.0
	v_rcp_f32_e32 v92, v91
	s_waitcnt_depctr 0xfff
	v_fma_f32 v93, -v91, v92, 1.0
	s_delay_alu instid0(VALU_DEP_1) | instskip(SKIP_1) | instid1(VALU_DEP_2)
	v_dual_fmac_f32 v92, v93, v92 :: v_dual_cndmask_b32 v93, v100, v99
	v_cmp_eq_u32_e32 vcc_lo, 3, v65
	v_cndmask_b32_e64 v93, v93, v101, s3
	v_cmp_eq_u32_e64 s3, 4, v65
	s_delay_alu instid0(VALU_DEP_2) | instskip(SKIP_1) | instid1(VALU_DEP_2)
	v_cndmask_b32_e32 v93, v93, v102, vcc_lo
	v_cmp_eq_u32_e32 vcc_lo, 5, v65
	v_cndmask_b32_e64 v93, v93, v97, s3
	v_cmp_eq_u32_e64 s3, 6, v65
	s_delay_alu instid0(VALU_DEP_2) | instskip(SKIP_1) | instid1(VALU_DEP_1)
	v_cndmask_b32_e32 v93, v93, v95, vcc_lo
	v_div_scale_f32 v94, s4, 1.0, v90, 1.0
	s_mov_b32 vcc_lo, s4
	s_delay_alu instid0(VALU_DEP_2) | instskip(NEXT) | instid1(VALU_DEP_2)
	v_cndmask_b32_e64 v82, v93, v82, s3
	v_mul_f32_e32 v96, v94, v92
	s_mov_b32 s3, exec_lo
	s_delay_alu instid0(VALU_DEP_2) | instskip(NEXT) | instid1(VALU_DEP_2)
	v_cndmask_b32_e64 v82, v82, v89, s5
	v_fma_f32 v98, -v91, v96, v94
	s_delay_alu instid0(VALU_DEP_1) | instskip(NEXT) | instid1(VALU_DEP_1)
	v_fmac_f32_e32 v96, v98, v92
	v_fma_f32 v91, -v91, v96, v94
	s_delay_alu instid0(VALU_DEP_1) | instskip(NEXT) | instid1(VALU_DEP_1)
	v_div_fmas_f32 v91, v91, v92, v96
	v_div_fixup_f32 v90, v91, v90, 1.0
	s_delay_alu instid0(VALU_DEP_1) | instskip(NEXT) | instid1(VALU_DEP_1)
	v_mul_f32_e32 v82, v82, v90
	v_mul_f32_e32 v87, v82, v87
	;; [unrolled: 1-line block ×7, first 2 shown]
	v_dual_mul_f32 v86, v82, v83 :: v_dual_and_b32 v91, 0x7f800000, v90
	v_mul_f32_e32 v85, v82, v76
                                        ; implicit-def: $vgpr76
	s_delay_alu instid0(VALU_DEP_2)
	v_cmpx_ne_u32_e32 0x7f800000, v91
	s_xor_b32 s3, exec_lo, s3
; %bb.13:
	v_bfe_u32 v76, v90, 16, 1
	s_delay_alu instid0(VALU_DEP_1)
	v_add3_u32 v76, v90, v76, 0x7fff
                                        ; implicit-def: $vgpr90
; %bb.14:
	s_and_not1_saveexec_b32 s3, s3
; %bb.15:
	v_and_b32_e32 v76, 0xffff, v90
	v_or_b32_e32 v83, 0x10000, v90
	s_delay_alu instid0(VALU_DEP_2) | instskip(NEXT) | instid1(VALU_DEP_2)
	v_cmp_eq_u32_e32 vcc_lo, 0, v76
	v_cndmask_b32_e32 v76, v83, v90, vcc_lo
; %bb.16:
	s_or_b32 exec_lo, exec_lo, s3
	v_and_b32_e32 v83, 0x7f800000, v85
	s_delay_alu instid0(VALU_DEP_1) | instskip(SKIP_1) | instid1(SALU_CYCLE_1)
	v_cmp_ne_u32_e32 vcc_lo, 0x7f800000, v83
                                        ; implicit-def: $vgpr83
	s_and_saveexec_b32 s3, vcc_lo
	s_xor_b32 s3, exec_lo, s3
; %bb.17:
	v_bfe_u32 v83, v85, 16, 1
	s_delay_alu instid0(VALU_DEP_1)
	v_add3_u32 v83, v85, v83, 0x7fff
                                        ; implicit-def: $vgpr85
; %bb.18:
	s_and_not1_saveexec_b32 s3, s3
; %bb.19:
	v_and_b32_e32 v83, 0xffff, v85
	v_or_b32_e32 v90, 0x10000, v85
	s_delay_alu instid0(VALU_DEP_2) | instskip(NEXT) | instid1(VALU_DEP_2)
	v_cmp_eq_u32_e32 vcc_lo, 0, v83
	v_cndmask_b32_e32 v83, v90, v85, vcc_lo
; %bb.20:
	s_or_b32 exec_lo, exec_lo, s3
	v_and_b32_e32 v85, 0x7f800000, v86
	s_delay_alu instid0(VALU_DEP_1) | instskip(SKIP_1) | instid1(SALU_CYCLE_1)
	v_cmp_ne_u32_e32 vcc_lo, 0x7f800000, v85
                                        ; implicit-def: $vgpr85
	s_and_saveexec_b32 s3, vcc_lo
	s_xor_b32 s3, exec_lo, s3
; %bb.21:
	v_bfe_u32 v85, v86, 16, 1
	s_delay_alu instid0(VALU_DEP_1)
	v_add3_u32 v85, v86, v85, 0x7fff
                                        ; implicit-def: $vgpr86
; %bb.22:
	s_and_not1_saveexec_b32 s3, s3
; %bb.23:
	v_and_b32_e32 v85, 0xffff, v86
	v_or_b32_e32 v90, 0x10000, v86
	s_delay_alu instid0(VALU_DEP_2) | instskip(NEXT) | instid1(VALU_DEP_2)
	v_cmp_eq_u32_e32 vcc_lo, 0, v85
	v_cndmask_b32_e32 v85, v90, v86, vcc_lo
; %bb.24:
	s_or_b32 exec_lo, exec_lo, s3
	v_and_b32_e32 v86, 0x7f800000, v89
	s_delay_alu instid0(VALU_DEP_1) | instskip(SKIP_1) | instid1(SALU_CYCLE_1)
	v_cmp_ne_u32_e32 vcc_lo, 0x7f800000, v86
                                        ; implicit-def: $vgpr86
	s_and_saveexec_b32 s3, vcc_lo
	s_xor_b32 s3, exec_lo, s3
; %bb.25:
	v_bfe_u32 v86, v89, 16, 1
	s_delay_alu instid0(VALU_DEP_1)
	v_add3_u32 v86, v89, v86, 0x7fff
                                        ; implicit-def: $vgpr89
; %bb.26:
	s_and_not1_saveexec_b32 s3, s3
; %bb.27:
	v_and_b32_e32 v86, 0xffff, v89
	v_or_b32_e32 v90, 0x10000, v89
	s_delay_alu instid0(VALU_DEP_2) | instskip(NEXT) | instid1(VALU_DEP_2)
	v_cmp_eq_u32_e32 vcc_lo, 0, v86
	v_cndmask_b32_e32 v86, v90, v89, vcc_lo
; %bb.28:
	s_or_b32 exec_lo, exec_lo, s3
	v_and_b32_e32 v89, 0x7f800000, v88
	s_delay_alu instid0(VALU_DEP_1) | instskip(SKIP_1) | instid1(SALU_CYCLE_1)
	v_cmp_ne_u32_e32 vcc_lo, 0x7f800000, v89
                                        ; implicit-def: $vgpr89
	s_and_saveexec_b32 s3, vcc_lo
	s_xor_b32 s3, exec_lo, s3
; %bb.29:
	v_bfe_u32 v89, v88, 16, 1
	s_delay_alu instid0(VALU_DEP_1)
	v_add3_u32 v89, v88, v89, 0x7fff
                                        ; implicit-def: $vgpr88
; %bb.30:
	s_and_not1_saveexec_b32 s3, s3
; %bb.31:
	v_and_b32_e32 v89, 0xffff, v88
	v_or_b32_e32 v90, 0x10000, v88
	s_delay_alu instid0(VALU_DEP_2) | instskip(NEXT) | instid1(VALU_DEP_2)
	v_cmp_eq_u32_e32 vcc_lo, 0, v89
	v_cndmask_b32_e32 v89, v90, v88, vcc_lo
; %bb.32:
	s_or_b32 exec_lo, exec_lo, s3
	v_and_b32_e32 v88, 0x7f800000, v87
	s_delay_alu instid0(VALU_DEP_1) | instskip(SKIP_1) | instid1(SALU_CYCLE_1)
	v_cmp_ne_u32_e32 vcc_lo, 0x7f800000, v88
                                        ; implicit-def: $vgpr88
	s_and_saveexec_b32 s3, vcc_lo
	s_xor_b32 s3, exec_lo, s3
; %bb.33:
	v_bfe_u32 v88, v87, 16, 1
	s_delay_alu instid0(VALU_DEP_1)
	v_add3_u32 v88, v87, v88, 0x7fff
                                        ; implicit-def: $vgpr87
; %bb.34:
	s_and_not1_saveexec_b32 s3, s3
; %bb.35:
	v_and_b32_e32 v88, 0xffff, v87
	v_or_b32_e32 v90, 0x10000, v87
	s_delay_alu instid0(VALU_DEP_2) | instskip(NEXT) | instid1(VALU_DEP_2)
	v_cmp_eq_u32_e32 vcc_lo, 0, v88
	v_cndmask_b32_e32 v88, v90, v87, vcc_lo
; %bb.36:
	s_or_b32 exec_lo, exec_lo, s3
	v_and_b32_e32 v87, 0x7f800000, v84
	s_delay_alu instid0(VALU_DEP_1) | instskip(SKIP_1) | instid1(SALU_CYCLE_1)
	v_cmp_ne_u32_e32 vcc_lo, 0x7f800000, v87
                                        ; implicit-def: $vgpr87
	s_and_saveexec_b32 s3, vcc_lo
	s_xor_b32 s3, exec_lo, s3
; %bb.37:
	v_bfe_u32 v87, v84, 16, 1
	s_delay_alu instid0(VALU_DEP_1)
	v_add3_u32 v87, v84, v87, 0x7fff
                                        ; implicit-def: $vgpr84
; %bb.38:
	s_and_not1_saveexec_b32 s3, s3
; %bb.39:
	v_and_b32_e32 v87, 0xffff, v84
	v_or_b32_e32 v90, 0x10000, v84
	s_delay_alu instid0(VALU_DEP_2) | instskip(NEXT) | instid1(VALU_DEP_2)
	v_cmp_eq_u32_e32 vcc_lo, 0, v87
	v_cndmask_b32_e32 v87, v90, v84, vcc_lo
; %bb.40:
	s_or_b32 exec_lo, exec_lo, s3
	v_and_b32_e32 v84, 0x7f800000, v80
	s_delay_alu instid0(VALU_DEP_1) | instskip(SKIP_1) | instid1(SALU_CYCLE_1)
	v_cmp_ne_u32_e32 vcc_lo, 0x7f800000, v84
                                        ; implicit-def: $vgpr84
	s_and_saveexec_b32 s3, vcc_lo
	s_xor_b32 s3, exec_lo, s3
; %bb.41:
	v_bfe_u32 v84, v80, 16, 1
	s_delay_alu instid0(VALU_DEP_1)
	v_add3_u32 v84, v80, v84, 0x7fff
                                        ; implicit-def: $vgpr80
; %bb.42:
	s_and_not1_saveexec_b32 s3, s3
; %bb.43:
	v_and_b32_e32 v84, 0xffff, v80
	v_or_b32_e32 v90, 0x10000, v80
	s_delay_alu instid0(VALU_DEP_2) | instskip(NEXT) | instid1(VALU_DEP_2)
	v_cmp_eq_u32_e32 vcc_lo, 0, v84
	v_cndmask_b32_e32 v84, v90, v80, vcc_lo
; %bb.44:
	s_or_b32 exec_lo, exec_lo, s3
	s_load_b64 s[34:35], s[0:1], 0x94
	v_lshlrev_b32_e32 v91, 4, v75
	s_delay_alu instid0(VALU_DEP_2)
	v_perm_b32 v90, v84, v87, 0x7060302
	v_dual_mul_f32 v77, v82, v77 :: v_dual_lshlrev_b32 v80, 6, v66
	v_lshlrev_b32_e32 v66, 11, v65
	v_perm_b32 v87, v83, v76, 0x7060302
	v_mul_f32_e32 v83, v82, v70
	v_perm_b32 v89, v88, v89, 0x7060302
	v_perm_b32 v88, v86, v85, 0x7060302
	v_or3_b32 v76, v91, v66, v80
	v_mul_f32_e32 v66, v82, v81
	v_mul_f32_e32 v70, v82, v79
	;; [unrolled: 1-line block ×3, first 2 shown]
	v_dual_mul_f32 v81, v82, v72 :: v_dual_and_b32 v84, 0x7f800000, v83
	v_mul_f32_e32 v79, v82, v71
	v_mul_f32_e32 v72, v82, v69
	s_mov_b32 s3, exec_lo
	ds_store_b128 v76, v[87:90]
                                        ; implicit-def: $vgpr69
	v_cmpx_ne_u32_e32 0x7f800000, v84
	s_xor_b32 s3, exec_lo, s3
; %bb.45:
	v_bfe_u32 v69, v83, 16, 1
	s_delay_alu instid0(VALU_DEP_1)
	v_add3_u32 v69, v83, v69, 0x7fff
                                        ; implicit-def: $vgpr83
; %bb.46:
	s_and_not1_saveexec_b32 s3, s3
; %bb.47:
	v_and_b32_e32 v69, 0xffff, v83
	v_or_b32_e32 v71, 0x10000, v83
	s_delay_alu instid0(VALU_DEP_2) | instskip(NEXT) | instid1(VALU_DEP_2)
	v_cmp_eq_u32_e32 vcc_lo, 0, v69
	v_cndmask_b32_e32 v69, v71, v83, vcc_lo
; %bb.48:
	s_or_b32 exec_lo, exec_lo, s3
	v_and_b32_e32 v71, 0x7f800000, v72
	s_delay_alu instid0(VALU_DEP_1) | instskip(SKIP_1) | instid1(SALU_CYCLE_1)
	v_cmp_ne_u32_e32 vcc_lo, 0x7f800000, v71
                                        ; implicit-def: $vgpr71
	s_and_saveexec_b32 s3, vcc_lo
	s_xor_b32 s3, exec_lo, s3
; %bb.49:
	v_bfe_u32 v71, v72, 16, 1
	s_delay_alu instid0(VALU_DEP_1)
	v_add3_u32 v71, v72, v71, 0x7fff
                                        ; implicit-def: $vgpr72
; %bb.50:
	s_and_not1_saveexec_b32 s3, s3
; %bb.51:
	v_and_b32_e32 v71, 0xffff, v72
	v_or_b32_e32 v82, 0x10000, v72
	s_delay_alu instid0(VALU_DEP_2) | instskip(NEXT) | instid1(VALU_DEP_2)
	v_cmp_eq_u32_e32 vcc_lo, 0, v71
	v_cndmask_b32_e32 v71, v82, v72, vcc_lo
; %bb.52:
	s_or_b32 exec_lo, exec_lo, s3
	v_and_b32_e32 v72, 0x7f800000, v79
	s_delay_alu instid0(VALU_DEP_1) | instskip(SKIP_1) | instid1(SALU_CYCLE_1)
	v_cmp_ne_u32_e32 vcc_lo, 0x7f800000, v72
                                        ; implicit-def: $vgpr72
	s_and_saveexec_b32 s3, vcc_lo
	s_xor_b32 s3, exec_lo, s3
; %bb.53:
	v_bfe_u32 v72, v79, 16, 1
	s_delay_alu instid0(VALU_DEP_1)
	v_add3_u32 v72, v79, v72, 0x7fff
                                        ; implicit-def: $vgpr79
; %bb.54:
	s_and_not1_saveexec_b32 s3, s3
; %bb.55:
	v_and_b32_e32 v72, 0xffff, v79
	v_or_b32_e32 v82, 0x10000, v79
	s_delay_alu instid0(VALU_DEP_2) | instskip(NEXT) | instid1(VALU_DEP_2)
	v_cmp_eq_u32_e32 vcc_lo, 0, v72
	v_cndmask_b32_e32 v72, v82, v79, vcc_lo
; %bb.56:
	s_or_b32 exec_lo, exec_lo, s3
	v_and_b32_e32 v79, 0x7f800000, v81
	s_delay_alu instid0(VALU_DEP_1) | instskip(SKIP_1) | instid1(SALU_CYCLE_1)
	v_cmp_ne_u32_e32 vcc_lo, 0x7f800000, v79
                                        ; implicit-def: $vgpr79
	s_and_saveexec_b32 s3, vcc_lo
	s_xor_b32 s3, exec_lo, s3
; %bb.57:
	v_bfe_u32 v79, v81, 16, 1
	s_delay_alu instid0(VALU_DEP_1)
	v_add3_u32 v79, v81, v79, 0x7fff
                                        ; implicit-def: $vgpr81
; %bb.58:
	s_and_not1_saveexec_b32 s3, s3
; %bb.59:
	v_and_b32_e32 v79, 0xffff, v81
	v_or_b32_e32 v82, 0x10000, v81
	s_delay_alu instid0(VALU_DEP_2) | instskip(NEXT) | instid1(VALU_DEP_2)
	v_cmp_eq_u32_e32 vcc_lo, 0, v79
	v_cndmask_b32_e32 v79, v82, v81, vcc_lo
; %bb.60:
	s_or_b32 exec_lo, exec_lo, s3
	v_and_b32_e32 v81, 0x7f800000, v77
	s_delay_alu instid0(VALU_DEP_1) | instskip(SKIP_1) | instid1(SALU_CYCLE_1)
	v_cmp_ne_u32_e32 vcc_lo, 0x7f800000, v81
                                        ; implicit-def: $vgpr81
	s_and_saveexec_b32 s3, vcc_lo
	s_xor_b32 s3, exec_lo, s3
; %bb.61:
	v_bfe_u32 v81, v77, 16, 1
	s_delay_alu instid0(VALU_DEP_1)
	v_add3_u32 v81, v77, v81, 0x7fff
                                        ; implicit-def: $vgpr77
; %bb.62:
	s_and_not1_saveexec_b32 s3, s3
; %bb.63:
	v_and_b32_e32 v81, 0xffff, v77
	v_or_b32_e32 v82, 0x10000, v77
	s_delay_alu instid0(VALU_DEP_2) | instskip(NEXT) | instid1(VALU_DEP_2)
	v_cmp_eq_u32_e32 vcc_lo, 0, v81
	v_cndmask_b32_e32 v81, v82, v77, vcc_lo
; %bb.64:
	s_or_b32 exec_lo, exec_lo, s3
	v_and_b32_e32 v77, 0x7f800000, v78
	s_delay_alu instid0(VALU_DEP_1) | instskip(SKIP_1) | instid1(SALU_CYCLE_1)
	v_cmp_ne_u32_e32 vcc_lo, 0x7f800000, v77
                                        ; implicit-def: $vgpr77
	s_and_saveexec_b32 s3, vcc_lo
	s_xor_b32 s3, exec_lo, s3
; %bb.65:
	v_bfe_u32 v77, v78, 16, 1
	s_delay_alu instid0(VALU_DEP_1)
	v_add3_u32 v77, v78, v77, 0x7fff
                                        ; implicit-def: $vgpr78
; %bb.66:
	s_and_not1_saveexec_b32 s3, s3
; %bb.67:
	v_and_b32_e32 v77, 0xffff, v78
	v_or_b32_e32 v82, 0x10000, v78
	s_delay_alu instid0(VALU_DEP_2) | instskip(NEXT) | instid1(VALU_DEP_2)
	v_cmp_eq_u32_e32 vcc_lo, 0, v77
	v_cndmask_b32_e32 v77, v82, v78, vcc_lo
; %bb.68:
	s_or_b32 exec_lo, exec_lo, s3
	v_and_b32_e32 v78, 0x7f800000, v70
	s_delay_alu instid0(VALU_DEP_1) | instskip(SKIP_1) | instid1(SALU_CYCLE_1)
	v_cmp_ne_u32_e32 vcc_lo, 0x7f800000, v78
                                        ; implicit-def: $vgpr78
	s_and_saveexec_b32 s3, vcc_lo
	s_xor_b32 s3, exec_lo, s3
; %bb.69:
	v_bfe_u32 v78, v70, 16, 1
	s_delay_alu instid0(VALU_DEP_1)
	v_add3_u32 v78, v70, v78, 0x7fff
                                        ; implicit-def: $vgpr70
; %bb.70:
	s_and_not1_saveexec_b32 s3, s3
; %bb.71:
	v_and_b32_e32 v78, 0xffff, v70
	v_or_b32_e32 v82, 0x10000, v70
	s_delay_alu instid0(VALU_DEP_2) | instskip(NEXT) | instid1(VALU_DEP_2)
	v_cmp_eq_u32_e32 vcc_lo, 0, v78
	v_cndmask_b32_e32 v78, v82, v70, vcc_lo
; %bb.72:
	s_or_b32 exec_lo, exec_lo, s3
	v_and_b32_e32 v70, 0x7f800000, v66
	s_delay_alu instid0(VALU_DEP_1) | instskip(SKIP_1) | instid1(SALU_CYCLE_1)
	v_cmp_ne_u32_e32 vcc_lo, 0x7f800000, v70
                                        ; implicit-def: $vgpr70
	s_and_saveexec_b32 s3, vcc_lo
	s_xor_b32 s3, exec_lo, s3
; %bb.73:
	v_bfe_u32 v70, v66, 16, 1
	s_delay_alu instid0(VALU_DEP_1)
	v_add3_u32 v70, v66, v70, 0x7fff
                                        ; implicit-def: $vgpr66
; %bb.74:
	s_and_not1_saveexec_b32 s3, s3
; %bb.75:
	v_and_b32_e32 v70, 0xffff, v66
	v_or_b32_e32 v82, 0x10000, v66
	s_delay_alu instid0(VALU_DEP_2) | instskip(NEXT) | instid1(VALU_DEP_2)
	v_cmp_eq_u32_e32 vcc_lo, 0, v70
	v_cndmask_b32_e32 v70, v82, v66, vcc_lo
; %bb.76:
	s_or_b32 exec_lo, exec_lo, s3
	s_delay_alu instid0(VALU_DEP_1)
	v_perm_b32 v86, v70, v78, 0x7060302
	v_perm_b32 v85, v77, v81, 0x7060302
	;; [unrolled: 1-line block ×4, first 2 shown]
	v_lshl_or_b32 v82, v65, 11, v80
	ds_store_b128 v76, v[83:86] offset:1024
	s_waitcnt lgkmcnt(0)
	s_barrier
	buffer_gl0_inv
	ds_load_b128 v[69:72], v82
	ds_load_b128 v[83:86], v82 offset:16
	s_waitcnt lgkmcnt(1)
	v_lshrrev_b32_e32 v65, 16, v69
	v_lshlrev_b32_e32 v78, 2, v75
	s_waitcnt lgkmcnt(0)
	v_lshrrev_b32_e32 v91, 16, v83
	v_lshrrev_b32_e32 v66, 16, v70
	;; [unrolled: 1-line block ×4, first 2 shown]
	v_cmp_eq_u32_e32 vcc_lo, 1, v78
	v_lshrrev_b32_e32 v98, 16, v85
	v_lshrrev_b32_e32 v96, 16, v72
	;; [unrolled: 1-line block ×3, first 2 shown]
	v_cndmask_b32_e32 v81, v69, v65, vcc_lo
	v_or_b32_e32 v79, 1, v78
	v_cmp_eq_u32_e64 s4, 2, v78
	v_cndmask_b32_e32 v87, v83, v91, vcc_lo
	v_cmp_eq_u32_e64 s7, 3, v78
	v_cmp_eq_u32_e64 s9, 4, v78
	;; [unrolled: 1-line block ×3, first 2 shown]
	v_cndmask_b32_e64 v81, v81, v70, s4
	v_cmp_eq_u32_e64 s6, 2, v79
	v_cndmask_b32_e64 v87, v87, v84, s4
	v_cmp_eq_u32_e64 s8, 3, v79
	v_cndmask_b32_e64 v88, v69, v65, s3
	v_cndmask_b32_e64 v81, v81, v66, s7
	v_or_b32_e32 v77, 2, v78
	v_cndmask_b32_e64 v87, v87, v97, s7
	v_cndmask_b32_e64 v89, v83, v91, s3
	;; [unrolled: 1-line block ×4, first 2 shown]
	v_cmp_eq_u32_e64 s10, 5, v78
	v_cndmask_b32_e64 v87, v87, v85, s9
	v_cmp_eq_u32_e64 s11, 4, v79
	v_cndmask_b32_e64 v88, v88, v66, s8
	;; [unrolled: 2-line block ×3, first 2 shown]
	v_cndmask_b32_e64 v81, v81, v95, s10
	v_cmp_eq_u32_e64 s12, 6, v78
	v_cndmask_b32_e64 v88, v88, v71, s11
	v_cndmask_b32_e64 v87, v87, v98, s10
	v_cmp_eq_u32_e64 s13, 5, v79
	v_cndmask_b32_e64 v90, v69, v65, s5
	v_cndmask_b32_e64 v89, v89, v97, s8
	;; [unrolled: 1-line block ×3, first 2 shown]
	v_cmp_eq_u32_e64 s15, 7, v78
	v_cndmask_b32_e64 v88, v88, v95, s13
	v_cndmask_b32_e64 v87, v87, v86, s12
	v_cmp_eq_u32_e64 s16, 6, v79
	v_cmp_eq_u32_e64 s17, 2, v77
	v_cndmask_b32_e64 v89, v89, v85, s11
	v_cndmask_b32_e64 v100, v81, v96, s15
	;; [unrolled: 1-line block ×6, first 2 shown]
	v_cmp_eq_u32_e64 s18, 7, v79
	v_cmp_eq_u32_e64 s19, 3, v77
	;; [unrolled: 1-line block ×4, first 2 shown]
	v_cndmask_b32_e64 v87, v87, v84, s17
	v_cndmask_b32_e64 v102, v88, v96, s18
	;; [unrolled: 1-line block ×4, first 2 shown]
	v_or_b32_e32 v81, 3, v78
	v_cndmask_b32_e64 v93, v87, v97, s19
	v_cmp_eq_u32_e64 s24, 6, v77
	v_cndmask_b32_e64 v103, v88, v86, s16
	v_cndmask_b32_e64 v92, v89, v71, s20
	v_cmp_eq_u32_e64 s21, 1, v81
	ds_load_b128 v[87:90], v82 offset:1024
	v_cmp_eq_u32_e64 s23, 2, v81
	v_cmp_eq_u32_e64 s25, 3, v81
	v_cndmask_b32_e64 v104, v92, v95, s22
	v_cndmask_b32_e64 v65, v69, v65, s21
	;; [unrolled: 1-line block ×4, first 2 shown]
	ds_load_b128 v[91:94], v82 offset:1040
	v_cmp_eq_u32_e64 s26, 4, v81
	v_cndmask_b32_e64 v65, v65, v70, s23
	v_cmp_eq_u32_e64 s28, 5, v81
	v_cndmask_b32_e64 v70, v83, v84, s23
	;; [unrolled: 2-line block ×3, first 2 shown]
	v_cndmask_b32_e64 v65, v65, v66, s25
	v_cndmask_b32_e64 v66, v104, v72, s24
	;; [unrolled: 1-line block ×3, first 2 shown]
	v_cmp_eq_u32_e64 s27, 7, v77
	v_cndmask_b32_e64 v69, v69, v86, s24
	v_cndmask_b32_e64 v65, v65, v71, s26
	s_waitcnt lgkmcnt(1)
	v_lshrrev_b32_e32 v84, 16, v87
	v_cndmask_b32_e64 v70, v70, v85, s26
	v_cndmask_b32_e64 v83, v103, v99, s18
	;; [unrolled: 1-line block ×4, first 2 shown]
	v_lshrrev_b32_e32 v95, 16, v88
	v_cndmask_b32_e64 v70, v70, v98, s28
	s_waitcnt lgkmcnt(0)
	v_lshrrev_b32_e32 v85, 16, v91
	v_cndmask_b32_e64 v97, v87, v84, s3
	v_cndmask_b32_e64 v65, v65, v72, s29
	v_cndmask_b32_e64 v69, v69, v99, s27
	v_cndmask_b32_e64 v70, v70, v86, s29
	v_cndmask_b32_e32 v71, v87, v84, vcc_lo
	v_cndmask_b32_e32 v98, v91, v85, vcc_lo
	v_cmp_eq_u32_e32 vcc_lo, 7, v81
	v_cndmask_b32_e64 v72, v97, v88, s6
	v_lshrrev_b32_e32 v97, 16, v92
	v_lshrrev_b32_e32 v103, 16, v90
	v_dual_cndmask_b32 v65, v65, v96 :: v_dual_cndmask_b32 v70, v70, v99
	v_cndmask_b32_e64 v71, v71, v88, s4
	v_cndmask_b32_e64 v86, v98, v92, s4
	;; [unrolled: 1-line block ×3, first 2 shown]
	v_lshrrev_b32_e32 v98, 16, v89
	v_lshrrev_b32_e32 v99, 16, v93
	v_cndmask_b32_e64 v71, v71, v95, s7
	v_cndmask_b32_e64 v86, v86, v97, s7
	v_cndmask_b32_e64 v96, v72, v89, s11
	v_perm_b32 v72, v70, v65, 0x5040100
	v_perm_b32 v70, v83, v102, 0x5040100
	v_cndmask_b32_e64 v71, v71, v89, s9
	v_cndmask_b32_e64 v86, v86, v93, s9
	;; [unrolled: 1-line block ×3, first 2 shown]
	v_lshrrev_b32_e32 v83, 16, v94
	s_delay_alu instid0(VALU_DEP_4) | instskip(NEXT) | instid1(VALU_DEP_4)
	v_cndmask_b32_e64 v71, v71, v98, s10
	v_cndmask_b32_e64 v86, v86, v99, s10
	s_delay_alu instid0(VALU_DEP_4) | instskip(NEXT) | instid1(VALU_DEP_3)
	v_cndmask_b32_e64 v65, v65, v90, s16
	v_cndmask_b32_e64 v96, v71, v90, s12
	v_perm_b32 v71, v69, v66, 0x5040100
	s_delay_alu instid0(VALU_DEP_4)
	v_cndmask_b32_e64 v69, v86, v94, s12
	v_cndmask_b32_e64 v86, v87, v84, s5
	v_cndmask_b32_e64 v84, v87, v84, s21
	v_cndmask_b32_e64 v66, v96, v103, s15
	v_cndmask_b32_e64 v87, v91, v85, s21
	v_cndmask_b32_e64 v96, v91, v85, s5
	v_cndmask_b32_e64 v85, v91, v85, s3
	v_cndmask_b32_e64 v86, v86, v88, s17
	v_cndmask_b32_e64 v84, v84, v88, s23
	v_cndmask_b32_e64 v87, v87, v92, s23
	v_cndmask_b32_e64 v88, v96, v92, s17
	v_cndmask_b32_e64 v85, v85, v92, s6
	v_cndmask_b32_e64 v86, v86, v95, s19
	v_cndmask_b32_e64 v84, v84, v95, s25
	v_cndmask_b32_e64 v87, v87, v97, s25
	v_cndmask_b32_e64 v88, v88, v97, s19
	v_cndmask_b32_e64 v85, v85, v97, s8
	v_cndmask_b32_e64 v86, v86, v89, s20
	v_cndmask_b32_e64 v84, v84, v89, s26
	v_cndmask_b32_e64 v87, v87, v93, s26
	v_cndmask_b32_e64 v88, v88, v93, s20
	v_cndmask_b32_e64 v85, v85, v93, s11
	v_cndmask_b32_e64 v86, v86, v98, s22
	v_cndmask_b32_e64 v84, v84, v98, s28
	v_cndmask_b32_e64 v87, v87, v99, s28
	v_cndmask_b32_e64 v88, v88, v99, s22
	v_cndmask_b32_e64 v85, v85, v99, s13
	v_cndmask_b32_e64 v86, v86, v90, s24
	v_cndmask_b32_e64 v84, v84, v90, s29
	v_cndmask_b32_e64 v87, v87, v94, s29
	v_cndmask_b32_e64 v88, v88, v94, s24
	v_cndmask_b32_e64 v85, v85, v94, s16
	v_cndmask_b32_e64 v65, v65, v103, s18
	v_cndmask_b32_e64 v89, v86, v103, s27
	v_cndmask_b32_e32 v84, v84, v103, vcc_lo
	v_cndmask_b32_e32 v86, v87, v83, vcc_lo
	v_cndmask_b32_e64 v87, v88, v83, s27
	v_cndmask_b32_e64 v88, v85, v83, s18
	v_cndmask_b32_e64 v83, v69, v83, s15
	v_perm_b32 v69, v101, v100, 0x5040100
	v_perm_b32 v86, v86, v84, 0x5040100
	;; [unrolled: 1-line block ×5, first 2 shown]
	s_lshl_b32 s8, s35, 3
	s_mov_b32 s3, exec_lo
	ds_store_b128 v76, v[69:72]
	ds_store_b128 v76, v[83:86] offset:1024
	v_cmpx_gt_u32_e32 8, v0
	s_cbranch_execz .LBB1393_78
; %bb.77:
	v_or_b32_e32 v65, s31, v0
	s_load_b128 s[4:7], s[0:1], 0x58
	s_delay_alu instid0(VALU_DEP_1) | instskip(NEXT) | instid1(VALU_DEP_1)
	v_mad_u64_u32 v[69:70], null, s8, s30, v[65:66]
	v_mad_u64_u32 v[65:66], null, v69, s34, s[14:15]
	s_delay_alu instid0(VALU_DEP_1) | instskip(NEXT) | instid1(VALU_DEP_1)
	v_ashrrev_i32_e32 v66, 31, v65
	v_lshlrev_b64 v[65:66], 2, v[65:66]
	s_waitcnt lgkmcnt(0)
	s_delay_alu instid0(VALU_DEP_1) | instskip(NEXT) | instid1(VALU_DEP_2)
	v_add_co_u32 v69, vcc_lo, s6, v65
	v_add_co_ci_u32_e32 v70, vcc_lo, s7, v66, vcc_lo
	v_add_co_u32 v65, vcc_lo, s4, v65
	v_add_co_ci_u32_e32 v66, vcc_lo, s5, v66, vcc_lo
	global_store_b32 v[69:70], v67, off
	global_store_b32 v[65:66], v68, off
.LBB1393_78:
	s_or_b32 exec_lo, exec_lo, s3
	s_waitcnt lgkmcnt(0)
	s_waitcnt_vscnt null, 0x0
	s_barrier
	buffer_gl0_inv
	ds_load_b128 v[83:86], v80
	ds_load_b128 v[87:90], v80 offset:16
	ds_load_b128 v[95:98], v80 offset:2064
	;; [unrolled: 1-line block ×3, first 2 shown]
	v_mov_b32_e32 v65, 0
	ds_load_b128 v[103:106], v80 offset:4112
	ds_load_b128 v[99:102], v80 offset:4096
	;; [unrolled: 1-line block ×4, first 2 shown]
	v_mov_b32_e32 v66, v65
	v_mov_b32_e32 v67, v65
	v_mov_b32_e32 v68, v65
	v_mov_b32_e32 v69, v65
	v_mov_b32_e32 v70, v65
	v_mov_b32_e32 v71, v65
	v_mov_b32_e32 v72, v65
	s_waitcnt lgkmcnt(6)
	s_delay_alu instid0(VALU_DEP_1)
	v_wmma_f32_16x16x16_bf16 v[65:72], v[57:64], v[83:90], v[65:72]
	ds_load_b128 v[61:64], v80 offset:8208
	ds_load_b128 v[57:60], v80 offset:8192
	s_waitcnt lgkmcnt(6)
	v_wmma_f32_16x16x16_bf16 v[65:72], v[41:48], v[91:98], v[65:72]
	ds_load_b128 v[45:48], v80 offset:10256
	ds_load_b128 v[41:44], v80 offset:10240
	s_waitcnt lgkmcnt(6)
	;; [unrolled: 4-line block ×4, first 2 shown]
	v_wmma_f32_16x16x16_bf16 v[65:72], v[1:8], v[57:64], v[65:72]
	s_waitcnt lgkmcnt(4)
	s_delay_alu instid0(VALU_DEP_1) | instskip(SKIP_1) | instid1(VALU_DEP_1)
	v_wmma_f32_16x16x16_bf16 v[65:72], v[9:16], v[41:48], v[65:72]
	s_waitcnt lgkmcnt(2)
	v_wmma_f32_16x16x16_bf16 v[65:72], v[17:24], v[33:40], v[65:72]
	s_waitcnt lgkmcnt(0)
	s_delay_alu instid0(VALU_DEP_1) | instskip(NEXT) | instid1(VALU_DEP_1)
	v_wmma_f32_16x16x16_bf16 v[65:72], v[49:56], v[25:32], v[65:72]
	v_and_b32_e32 v1, 0x7f800000, v65
	s_delay_alu instid0(VALU_DEP_1) | instskip(SKIP_1) | instid1(SALU_CYCLE_1)
	v_cmp_ne_u32_e32 vcc_lo, 0x7f800000, v1
                                        ; implicit-def: $vgpr1
	s_and_saveexec_b32 s3, vcc_lo
	s_xor_b32 s3, exec_lo, s3
; %bb.79:
	v_bfe_u32 v1, v65, 16, 1
	s_delay_alu instid0(VALU_DEP_1)
	v_add3_u32 v1, v65, v1, 0x7fff
; %bb.80:
	s_and_not1_saveexec_b32 s3, s3
; %bb.81:
	v_and_b32_e32 v1, 0xffff, v65
	v_or_b32_e32 v2, 0x10000, v65
	s_delay_alu instid0(VALU_DEP_2) | instskip(NEXT) | instid1(VALU_DEP_2)
	v_cmp_eq_u32_e32 vcc_lo, 0, v1
	v_cndmask_b32_e32 v1, v2, v65, vcc_lo
; %bb.82:
	s_or_b32 exec_lo, exec_lo, s3
	v_and_b32_e32 v2, 0x7f800000, v66
	s_delay_alu instid0(VALU_DEP_1) | instskip(SKIP_1) | instid1(SALU_CYCLE_1)
	v_cmp_ne_u32_e32 vcc_lo, 0x7f800000, v2
                                        ; implicit-def: $vgpr2
	s_and_saveexec_b32 s3, vcc_lo
	s_xor_b32 s3, exec_lo, s3
; %bb.83:
	v_bfe_u32 v2, v66, 16, 1
	s_delay_alu instid0(VALU_DEP_1)
	v_add3_u32 v2, v66, v2, 0x7fff
; %bb.84:
	s_and_not1_saveexec_b32 s3, s3
; %bb.85:
	v_and_b32_e32 v2, 0xffff, v66
	v_or_b32_e32 v3, 0x10000, v66
	s_delay_alu instid0(VALU_DEP_2) | instskip(NEXT) | instid1(VALU_DEP_2)
	v_cmp_eq_u32_e32 vcc_lo, 0, v2
	v_cndmask_b32_e32 v2, v3, v66, vcc_lo
; %bb.86:
	s_or_b32 exec_lo, exec_lo, s3
	v_and_b32_e32 v3, 0x7f800000, v67
	s_delay_alu instid0(VALU_DEP_1) | instskip(SKIP_1) | instid1(SALU_CYCLE_1)
	v_cmp_ne_u32_e32 vcc_lo, 0x7f800000, v3
                                        ; implicit-def: $vgpr3
	s_and_saveexec_b32 s3, vcc_lo
	s_xor_b32 s3, exec_lo, s3
; %bb.87:
	v_bfe_u32 v3, v67, 16, 1
	s_delay_alu instid0(VALU_DEP_1)
	v_add3_u32 v3, v67, v3, 0x7fff
; %bb.88:
	s_and_not1_saveexec_b32 s3, s3
; %bb.89:
	v_and_b32_e32 v3, 0xffff, v67
	v_or_b32_e32 v4, 0x10000, v67
	s_delay_alu instid0(VALU_DEP_2) | instskip(NEXT) | instid1(VALU_DEP_2)
	v_cmp_eq_u32_e32 vcc_lo, 0, v3
	v_cndmask_b32_e32 v3, v4, v67, vcc_lo
; %bb.90:
	s_or_b32 exec_lo, exec_lo, s3
	v_and_b32_e32 v4, 0x7f800000, v68
	s_delay_alu instid0(VALU_DEP_1) | instskip(SKIP_1) | instid1(SALU_CYCLE_1)
	v_cmp_ne_u32_e32 vcc_lo, 0x7f800000, v4
                                        ; implicit-def: $vgpr4
	s_and_saveexec_b32 s3, vcc_lo
	s_xor_b32 s3, exec_lo, s3
; %bb.91:
	v_bfe_u32 v4, v68, 16, 1
	s_delay_alu instid0(VALU_DEP_1)
	v_add3_u32 v4, v68, v4, 0x7fff
; %bb.92:
	s_and_not1_saveexec_b32 s3, s3
; %bb.93:
	v_and_b32_e32 v4, 0xffff, v68
	v_or_b32_e32 v5, 0x10000, v68
	s_delay_alu instid0(VALU_DEP_2) | instskip(NEXT) | instid1(VALU_DEP_2)
	v_cmp_eq_u32_e32 vcc_lo, 0, v4
	v_cndmask_b32_e32 v4, v5, v68, vcc_lo
; %bb.94:
	s_or_b32 exec_lo, exec_lo, s3
	v_and_b32_e32 v5, 0x7f800000, v69
	s_delay_alu instid0(VALU_DEP_1) | instskip(SKIP_1) | instid1(SALU_CYCLE_1)
	v_cmp_ne_u32_e32 vcc_lo, 0x7f800000, v5
                                        ; implicit-def: $vgpr5
	s_and_saveexec_b32 s3, vcc_lo
	s_xor_b32 s3, exec_lo, s3
; %bb.95:
	v_bfe_u32 v5, v69, 16, 1
	s_delay_alu instid0(VALU_DEP_1)
	v_add3_u32 v5, v69, v5, 0x7fff
; %bb.96:
	s_and_not1_saveexec_b32 s3, s3
; %bb.97:
	v_and_b32_e32 v5, 0xffff, v69
	v_or_b32_e32 v6, 0x10000, v69
	s_delay_alu instid0(VALU_DEP_2) | instskip(NEXT) | instid1(VALU_DEP_2)
	v_cmp_eq_u32_e32 vcc_lo, 0, v5
	v_cndmask_b32_e32 v5, v6, v69, vcc_lo
; %bb.98:
	s_or_b32 exec_lo, exec_lo, s3
	v_and_b32_e32 v6, 0x7f800000, v70
	s_delay_alu instid0(VALU_DEP_1) | instskip(SKIP_1) | instid1(SALU_CYCLE_1)
	v_cmp_ne_u32_e32 vcc_lo, 0x7f800000, v6
                                        ; implicit-def: $vgpr6
	s_and_saveexec_b32 s3, vcc_lo
	s_xor_b32 s3, exec_lo, s3
; %bb.99:
	v_bfe_u32 v6, v70, 16, 1
	s_delay_alu instid0(VALU_DEP_1)
	v_add3_u32 v6, v70, v6, 0x7fff
; %bb.100:
	s_and_not1_saveexec_b32 s3, s3
; %bb.101:
	v_and_b32_e32 v6, 0xffff, v70
	v_or_b32_e32 v7, 0x10000, v70
	s_delay_alu instid0(VALU_DEP_2) | instskip(NEXT) | instid1(VALU_DEP_2)
	v_cmp_eq_u32_e32 vcc_lo, 0, v6
	v_cndmask_b32_e32 v6, v7, v70, vcc_lo
; %bb.102:
	s_or_b32 exec_lo, exec_lo, s3
	v_and_b32_e32 v7, 0x7f800000, v71
	s_delay_alu instid0(VALU_DEP_1) | instskip(SKIP_1) | instid1(SALU_CYCLE_1)
	v_cmp_ne_u32_e32 vcc_lo, 0x7f800000, v7
                                        ; implicit-def: $vgpr7
	s_and_saveexec_b32 s3, vcc_lo
	s_xor_b32 s3, exec_lo, s3
; %bb.103:
	v_bfe_u32 v7, v71, 16, 1
	s_delay_alu instid0(VALU_DEP_1)
	v_add3_u32 v7, v71, v7, 0x7fff
; %bb.104:
	s_and_not1_saveexec_b32 s3, s3
; %bb.105:
	v_and_b32_e32 v7, 0xffff, v71
	v_or_b32_e32 v8, 0x10000, v71
	s_delay_alu instid0(VALU_DEP_2) | instskip(NEXT) | instid1(VALU_DEP_2)
	v_cmp_eq_u32_e32 vcc_lo, 0, v7
	v_cndmask_b32_e32 v7, v8, v71, vcc_lo
; %bb.106:
	s_or_b32 exec_lo, exec_lo, s3
	v_and_b32_e32 v8, 0x7f800000, v72
	s_delay_alu instid0(VALU_DEP_1) | instskip(SKIP_1) | instid1(SALU_CYCLE_1)
	v_cmp_ne_u32_e32 vcc_lo, 0x7f800000, v8
                                        ; implicit-def: $vgpr8
	s_and_saveexec_b32 s3, vcc_lo
	s_xor_b32 s3, exec_lo, s3
; %bb.107:
	v_bfe_u32 v8, v72, 16, 1
	s_delay_alu instid0(VALU_DEP_1)
	v_add3_u32 v8, v72, v8, 0x7fff
                                        ; implicit-def: $vgpr65_vgpr66_vgpr67_vgpr68_vgpr69_vgpr70_vgpr71_vgpr72
; %bb.108:
	s_and_not1_saveexec_b32 s3, s3
; %bb.109:
	v_and_b32_e32 v8, 0xffff, v72
	v_or_b32_e32 v9, 0x10000, v72
	s_delay_alu instid0(VALU_DEP_2) | instskip(NEXT) | instid1(VALU_DEP_2)
	v_cmp_eq_u32_e32 vcc_lo, 0, v8
	v_cndmask_b32_e32 v8, v9, v72, vcc_lo
; %bb.110:
	s_or_b32 exec_lo, exec_lo, s3
	s_delay_alu instid0(VALU_DEP_1)
	v_perm_b32 v7, v8, v7, 0x7060302
	v_perm_b32 v6, v6, v5, 0x7060302
	;; [unrolled: 1-line block ×4, first 2 shown]
	s_barrier
	buffer_gl0_inv
	v_cmp_eq_u32_e32 vcc_lo, 1, v78
	ds_store_b128 v76, v[4:7]
	s_waitcnt lgkmcnt(0)
	s_barrier
	buffer_gl0_inv
	ds_load_b128 v[1:4], v82
	ds_load_b128 v[5:8], v82 offset:16
	v_cmp_eq_u32_e64 s3, 1, v79
	v_cmp_eq_u32_e64 s4, 2, v78
	;; [unrolled: 1-line block ×5, first 2 shown]
	s_waitcnt lgkmcnt(1)
	v_lshrrev_b32_e32 v9, 16, v1
	s_waitcnt lgkmcnt(0)
	v_lshrrev_b32_e32 v13, 16, v5
	v_lshrrev_b32_e32 v10, 16, v2
	;; [unrolled: 1-line block ×4, first 2 shown]
	v_cndmask_b32_e64 v19, v1, v9, s3
	v_cndmask_b32_e32 v18, v5, v13, vcc_lo
	v_cndmask_b32_e64 v20, v5, v13, s3
	v_cndmask_b32_e32 v17, v1, v9, vcc_lo
	v_cmp_eq_u32_e32 vcc_lo, 2, v79
	v_lshrrev_b32_e32 v15, 16, v7
	v_cmp_eq_u32_e64 s3, 1, v77
	v_lshrrev_b32_e32 v12, 16, v4
	v_lshrrev_b32_e32 v16, 16, v8
	v_cndmask_b32_e32 v20, v20, v6, vcc_lo
	v_cndmask_b32_e64 v17, v17, v2, s4
	v_cndmask_b32_e32 v19, v19, v2, vcc_lo
	v_cndmask_b32_e64 v18, v18, v6, s4
	v_cmp_eq_u32_e32 vcc_lo, 4, v78
	v_cmp_eq_u32_e64 s4, 3, v79
	v_cndmask_b32_e64 v17, v17, v10, s5
	v_cndmask_b32_e64 v21, v1, v9, s3
	;; [unrolled: 1-line block ×5, first 2 shown]
	v_cndmask_b32_e32 v17, v17, v3, vcc_lo
	v_cndmask_b32_e64 v20, v20, v14, s4
	v_cndmask_b32_e32 v18, v18, v7, vcc_lo
	v_cmp_eq_u32_e32 vcc_lo, 4, v79
	v_cmp_eq_u32_e64 s4, 5, v79
	v_cmp_eq_u32_e64 s3, 2, v81
	v_cndmask_b32_e64 v21, v21, v2, s7
	v_cmp_eq_u32_e64 s5, 5, v78
	v_cndmask_b32_e32 v19, v19, v3, vcc_lo
	v_cndmask_b32_e32 v20, v20, v7, vcc_lo
	v_cmp_eq_u32_e32 vcc_lo, 6, v79
	s_delay_alu instid0(VALU_DEP_4) | instskip(NEXT) | instid1(VALU_DEP_4)
	v_cndmask_b32_e64 v17, v17, v11, s5
	v_cndmask_b32_e64 v19, v19, v11, s4
	s_delay_alu instid0(VALU_DEP_4) | instskip(SKIP_1) | instid1(VALU_DEP_3)
	v_cndmask_b32_e64 v20, v20, v15, s4
	v_cmp_eq_u32_e64 s4, 1, v81
	v_cndmask_b32_e32 v19, v19, v4, vcc_lo
	v_cndmask_b32_e64 v18, v18, v15, s5
	s_delay_alu instid0(VALU_DEP_3)
	v_cndmask_b32_e64 v1, v1, v9, s4
	v_cndmask_b32_e64 v5, v5, v13, s4
	v_cmp_eq_u32_e64 s4, 3, v77
	v_cndmask_b32_e64 v13, v22, v6, s7
	v_cmp_eq_u32_e64 s7, 3, v81
	v_cndmask_b32_e64 v1, v1, v2, s3
	v_cndmask_b32_e64 v2, v5, v6, s3
	v_cndmask_b32_e64 v9, v21, v10, s4
	v_cmp_eq_u32_e64 s3, 4, v77
	v_cndmask_b32_e64 v6, v13, v14, s4
	v_cndmask_b32_e64 v1, v1, v10, s7
	v_cmp_eq_u32_e64 s4, 4, v81
	v_cndmask_b32_e64 v2, v2, v14, s7
	v_cndmask_b32_e64 v5, v9, v3, s3
	;; [unrolled: 3-line block ×3, first 2 shown]
	v_cndmask_b32_e64 v2, v2, v7, s4
	v_cmp_eq_u32_e64 s3, 5, v81
	v_cmp_eq_u32_e64 s5, 6, v78
	v_cndmask_b32_e64 v5, v5, v11, s7
	v_cmp_eq_u32_e64 s4, 6, v77
	v_cndmask_b32_e64 v3, v6, v15, s7
	v_cndmask_b32_e64 v1, v1, v11, s3
	v_cmp_eq_u32_e64 s7, 6, v81
	v_cndmask_b32_e64 v2, v2, v15, s3
	v_cndmask_b32_e64 v17, v17, v4, s5
	v_cndmask_b32_e64 v18, v18, v8, s5
	v_cmp_eq_u32_e64 s5, 7, v78
	v_cndmask_b32_e64 v5, v5, v4, s4
	;; [unrolled: 4-line block ×3, first 2 shown]
	v_cmp_eq_u32_e64 s4, 7, v77
	v_cndmask_b32_e32 v4, v20, v8, vcc_lo
	v_cndmask_b32_e64 v17, v17, v12, s5
	v_cndmask_b32_e64 v19, v19, v12, s6
	;; [unrolled: 1-line block ×8, first 2 shown]
	v_cmp_gt_u32_e32 vcc_lo, 32, v0
	v_perm_b32 v4, v2, v1, 0x5040100
	v_perm_b32 v3, v3, v5, 0x5040100
	;; [unrolled: 1-line block ×4, first 2 shown]
	s_and_b32 s2, vcc_lo, s2
	ds_store_b128 v76, v[1:4]
	s_waitcnt lgkmcnt(0)
	s_barrier
	buffer_gl0_inv
	s_and_saveexec_b32 s3, s2
	s_cbranch_execz .LBB1393_2
; %bb.111:
	s_load_b64 s[0:1], s[0:1], 0x68
	s_lshl_b32 s4, s34, 6
	v_or_b32_e32 v2, s31, v75
	s_mul_i32 s2, s4, s30
	v_lshlrev_b32_e32 v1, 10, v0
	s_mul_i32 s2, s2, s8
	v_lshlrev_b32_e32 v3, 4, v74
	v_mul_lo_u32 v0, v2, s4
	s_ashr_i32 s3, s2, 31
	v_lshlrev_b32_e32 v4, 6, v75
	v_and_b32_e32 v1, 0x3800, v1
	v_or_b32_e32 v5, 2, v2
	s_lshl_b64 s[2:3], s[2:3], 1
	v_or_b32_e32 v6, 4, v2
	v_or_b32_e32 v7, 6, v2
	v_or3_b32 v12, v1, v3, v4
	v_ashrrev_i32_e32 v1, 31, v0
	v_mul_lo_u32 v2, v5, s4
	v_mul_lo_u32 v16, v6, s4
	;; [unrolled: 1-line block ×3, first 2 shown]
	s_waitcnt lgkmcnt(0)
	s_add_u32 s2, s0, s2
	s_addc_u32 s3, s1, s3
	s_lshl_b32 s0, s14, 6
	v_lshlrev_b64 v[0:1], 1, v[0:1]
	s_ashr_i32 s1, s0, 31
	v_ashrrev_i32_e32 v3, 31, v2
	s_lshl_b64 s[0:1], s[0:1], 1
	v_ashrrev_i32_e32 v17, 31, v16
	s_add_u32 s0, s2, s0
	s_addc_u32 s1, s3, s1
	v_add_co_u32 v24, s0, s0, v73
	s_delay_alu instid0(VALU_DEP_1) | instskip(SKIP_1) | instid1(VALU_DEP_3)
	v_add_co_ci_u32_e64 v25, null, s1, 0, s0
	v_lshlrev_b64 v[22:23], 1, v[2:3]
	v_add_co_u32 v18, vcc_lo, v24, v0
	s_delay_alu instid0(VALU_DEP_3)
	v_add_co_ci_u32_e32 v19, vcc_lo, v25, v1, vcc_lo
	ds_load_b128 v[0:3], v12
	ds_load_b128 v[4:7], v12 offset:128
	ds_load_b128 v[8:11], v12 offset:256
	;; [unrolled: 1-line block ×3, first 2 shown]
	v_ashrrev_i32_e32 v21, 31, v20
	v_lshlrev_b64 v[16:17], 1, v[16:17]
	v_add_co_u32 v22, vcc_lo, v24, v22
	v_add_co_ci_u32_e32 v23, vcc_lo, v25, v23, vcc_lo
	s_delay_alu instid0(VALU_DEP_4) | instskip(NEXT) | instid1(VALU_DEP_4)
	v_lshlrev_b64 v[20:21], 1, v[20:21]
	v_add_co_u32 v16, vcc_lo, v24, v16
	v_add_co_ci_u32_e32 v17, vcc_lo, v25, v17, vcc_lo
	s_delay_alu instid0(VALU_DEP_3) | instskip(NEXT) | instid1(VALU_DEP_4)
	v_add_co_u32 v20, vcc_lo, v24, v20
	v_add_co_ci_u32_e32 v21, vcc_lo, v25, v21, vcc_lo
	s_waitcnt lgkmcnt(3)
	global_store_b128 v[18:19], v[0:3], off
	s_waitcnt lgkmcnt(2)
	global_store_b128 v[22:23], v[4:7], off
	;; [unrolled: 2-line block ×4, first 2 shown]
	s_nop 0
	s_sendmsg sendmsg(MSG_DEALLOC_VGPRS)
	s_endpgm
	.section	.rodata,"a",@progbits
	.p2align	6, 0x0
	.amdhsa_kernel _Z39paged_attention_ll4mi_QKV_mfma16_kernelI14__hip_bfloat16hLN4vllm18Fp8KVCacheDataTypeE1ES0_Li16ELi64ELi256ELb1ELi8EL8MFMAType1EEvPKT_PKT0_S9_ifPKiSB_SB_iPKfiiiPfSE_PS4_PT2_iSD_SD_
		.amdhsa_group_segment_fixed_size 17472
		.amdhsa_private_segment_fixed_size 0
		.amdhsa_kernarg_size 400
		.amdhsa_user_sgpr_count 13
		.amdhsa_user_sgpr_dispatch_ptr 0
		.amdhsa_user_sgpr_queue_ptr 0
		.amdhsa_user_sgpr_kernarg_segment_ptr 1
		.amdhsa_user_sgpr_dispatch_id 0
		.amdhsa_user_sgpr_private_segment_size 0
		.amdhsa_wavefront_size32 1
		.amdhsa_uses_dynamic_stack 0
		.amdhsa_enable_private_segment 0
		.amdhsa_system_sgpr_workgroup_id_x 1
		.amdhsa_system_sgpr_workgroup_id_y 1
		.amdhsa_system_sgpr_workgroup_id_z 1
		.amdhsa_system_sgpr_workgroup_info 0
		.amdhsa_system_vgpr_workitem_id 0
		.amdhsa_next_free_vgpr 124
		.amdhsa_next_free_sgpr 38
		.amdhsa_reserve_vcc 1
		.amdhsa_float_round_mode_32 0
		.amdhsa_float_round_mode_16_64 0
		.amdhsa_float_denorm_mode_32 3
		.amdhsa_float_denorm_mode_16_64 3
		.amdhsa_dx10_clamp 1
		.amdhsa_ieee_mode 1
		.amdhsa_fp16_overflow 0
		.amdhsa_workgroup_processor_mode 1
		.amdhsa_memory_ordered 1
		.amdhsa_forward_progress 0
		.amdhsa_shared_vgpr_count 0
		.amdhsa_exception_fp_ieee_invalid_op 0
		.amdhsa_exception_fp_denorm_src 0
		.amdhsa_exception_fp_ieee_div_zero 0
		.amdhsa_exception_fp_ieee_overflow 0
		.amdhsa_exception_fp_ieee_underflow 0
		.amdhsa_exception_fp_ieee_inexact 0
		.amdhsa_exception_int_div_zero 0
	.end_amdhsa_kernel
	.section	.text._Z39paged_attention_ll4mi_QKV_mfma16_kernelI14__hip_bfloat16hLN4vllm18Fp8KVCacheDataTypeE1ES0_Li16ELi64ELi256ELb1ELi8EL8MFMAType1EEvPKT_PKT0_S9_ifPKiSB_SB_iPKfiiiPfSE_PS4_PT2_iSD_SD_,"axG",@progbits,_Z39paged_attention_ll4mi_QKV_mfma16_kernelI14__hip_bfloat16hLN4vllm18Fp8KVCacheDataTypeE1ES0_Li16ELi64ELi256ELb1ELi8EL8MFMAType1EEvPKT_PKT0_S9_ifPKiSB_SB_iPKfiiiPfSE_PS4_PT2_iSD_SD_,comdat
.Lfunc_end1393:
	.size	_Z39paged_attention_ll4mi_QKV_mfma16_kernelI14__hip_bfloat16hLN4vllm18Fp8KVCacheDataTypeE1ES0_Li16ELi64ELi256ELb1ELi8EL8MFMAType1EEvPKT_PKT0_S9_ifPKiSB_SB_iPKfiiiPfSE_PS4_PT2_iSD_SD_, .Lfunc_end1393-_Z39paged_attention_ll4mi_QKV_mfma16_kernelI14__hip_bfloat16hLN4vllm18Fp8KVCacheDataTypeE1ES0_Li16ELi64ELi256ELb1ELi8EL8MFMAType1EEvPKT_PKT0_S9_ifPKiSB_SB_iPKfiiiPfSE_PS4_PT2_iSD_SD_
                                        ; -- End function
	.section	.AMDGPU.csdata,"",@progbits
; Kernel info:
; codeLenInByte = 8724
; NumSgprs: 40
; NumVgprs: 124
; ScratchSize: 0
; MemoryBound: 0
; FloatMode: 240
; IeeeMode: 1
; LDSByteSize: 17472 bytes/workgroup (compile time only)
; SGPRBlocks: 4
; VGPRBlocks: 15
; NumSGPRsForWavesPerEU: 40
; NumVGPRsForWavesPerEU: 124
; Occupancy: 10
; WaveLimiterHint : 1
; COMPUTE_PGM_RSRC2:SCRATCH_EN: 0
; COMPUTE_PGM_RSRC2:USER_SGPR: 13
; COMPUTE_PGM_RSRC2:TRAP_HANDLER: 0
; COMPUTE_PGM_RSRC2:TGID_X_EN: 1
; COMPUTE_PGM_RSRC2:TGID_Y_EN: 1
; COMPUTE_PGM_RSRC2:TGID_Z_EN: 1
; COMPUTE_PGM_RSRC2:TIDIG_COMP_CNT: 0
	.section	.text._Z39paged_attention_ll4mi_QKV_mfma16_kernelI14__hip_bfloat16hLN4vllm18Fp8KVCacheDataTypeE1ES0_Li16ELi64ELi256ELb1ELi9EL8MFMAType1EEvPKT_PKT0_S9_ifPKiSB_SB_iPKfiiiPfSE_PS4_PT2_iSD_SD_,"axG",@progbits,_Z39paged_attention_ll4mi_QKV_mfma16_kernelI14__hip_bfloat16hLN4vllm18Fp8KVCacheDataTypeE1ES0_Li16ELi64ELi256ELb1ELi9EL8MFMAType1EEvPKT_PKT0_S9_ifPKiSB_SB_iPKfiiiPfSE_PS4_PT2_iSD_SD_,comdat
	.protected	_Z39paged_attention_ll4mi_QKV_mfma16_kernelI14__hip_bfloat16hLN4vllm18Fp8KVCacheDataTypeE1ES0_Li16ELi64ELi256ELb1ELi9EL8MFMAType1EEvPKT_PKT0_S9_ifPKiSB_SB_iPKfiiiPfSE_PS4_PT2_iSD_SD_ ; -- Begin function _Z39paged_attention_ll4mi_QKV_mfma16_kernelI14__hip_bfloat16hLN4vllm18Fp8KVCacheDataTypeE1ES0_Li16ELi64ELi256ELb1ELi9EL8MFMAType1EEvPKT_PKT0_S9_ifPKiSB_SB_iPKfiiiPfSE_PS4_PT2_iSD_SD_
	.globl	_Z39paged_attention_ll4mi_QKV_mfma16_kernelI14__hip_bfloat16hLN4vllm18Fp8KVCacheDataTypeE1ES0_Li16ELi64ELi256ELb1ELi9EL8MFMAType1EEvPKT_PKT0_S9_ifPKiSB_SB_iPKfiiiPfSE_PS4_PT2_iSD_SD_
	.p2align	8
	.type	_Z39paged_attention_ll4mi_QKV_mfma16_kernelI14__hip_bfloat16hLN4vllm18Fp8KVCacheDataTypeE1ES0_Li16ELi64ELi256ELb1ELi9EL8MFMAType1EEvPKT_PKT0_S9_ifPKiSB_SB_iPKfiiiPfSE_PS4_PT2_iSD_SD_,@function
_Z39paged_attention_ll4mi_QKV_mfma16_kernelI14__hip_bfloat16hLN4vllm18Fp8KVCacheDataTypeE1ES0_Li16ELi64ELi256ELb1ELi9EL8MFMAType1EEvPKT_PKT0_S9_ifPKiSB_SB_iPKfiiiPfSE_PS4_PT2_iSD_SD_: ; @_Z39paged_attention_ll4mi_QKV_mfma16_kernelI14__hip_bfloat16hLN4vllm18Fp8KVCacheDataTypeE1ES0_Li16ELi64ELi256ELb1ELi9EL8MFMAType1EEvPKT_PKT0_S9_ifPKiSB_SB_iPKfiiiPfSE_PS4_PT2_iSD_SD_
; %bb.0:
	s_load_b64 s[2:3], s[0:1], 0x30
	s_mov_b32 s34, s13
	s_waitcnt lgkmcnt(0)
	s_cmp_lg_u64 s[2:3], 0
	s_cselect_b32 s8, -1, 0
	s_ashr_i32 s35, s13, 31
	s_cmp_eq_u64 s[2:3], 0
	s_cbranch_scc1 .LBB1394_3
; %bb.1:
	s_lshl_b64 s[4:5], s[34:35], 2
	s_delay_alu instid0(SALU_CYCLE_1) | instskip(SKIP_4) | instid1(SALU_CYCLE_1)
	s_add_u32 s4, s2, s4
	s_addc_u32 s5, s3, s5
	s_load_b64 s[4:5], s[4:5], 0x0
	s_waitcnt lgkmcnt(0)
	s_sub_i32 s4, s5, s4
	s_cmp_eq_u32 s4, 1
	s_cselect_b32 s4, -1, 0
	s_delay_alu instid0(SALU_CYCLE_1)
	s_and_not1_b32 vcc_lo, exec_lo, s4
	s_cbranch_vccz .LBB1394_4
.LBB1394_2:
	s_nop 0
	s_sendmsg sendmsg(MSG_DEALLOC_VGPRS)
	s_endpgm
.LBB1394_3:
.LBB1394_4:
	s_load_b64 s[4:5], s[0:1], 0x28
	s_lshl_b64 s[6:7], s[34:35], 2
	s_waitcnt lgkmcnt(0)
	s_add_u32 s4, s4, s6
	s_addc_u32 s5, s5, s7
	s_lshl_b32 s12, s14, 8
	s_load_b32 s24, s[4:5], 0x0
	s_waitcnt lgkmcnt(0)
	s_cmp_ge_i32 s12, s24
	s_cbranch_scc1 .LBB1394_2
; %bb.5:
	s_clause 0x1
	s_load_b128 s[20:23], s[0:1], 0x8
	s_load_b64 s[4:5], s[0:1], 0x20
	s_and_not1_b32 vcc_lo, exec_lo, s8
	s_cbranch_vccnz .LBB1394_7
; %bb.6:
	s_add_u32 s2, s2, s6
	s_addc_u32 s3, s3, s7
	s_load_b32 s3, s[2:3], 0x0
	s_branch .LBB1394_8
.LBB1394_7:
	s_mov_b32 s3, s34
.LBB1394_8:
	s_load_b128 s[16:19], s[0:1], 0x48
	v_lshrrev_b32_e32 v66, 5, v0
	v_bfe_u32 v74, v0, 4, 1
	v_and_b32_e32 v65, 15, v0
	v_and_b32_e32 v67, 31, v0
	;; [unrolled: 1-line block ×3, first 2 shown]
	s_mul_i32 s31, s15, 9
	v_lshl_or_b32 v1, v66, 1, v74
	v_lshlrev_b32_e32 v2, 3, v65
	v_cmp_gt_u32_e64 s2, 8, v65
	s_delay_alu instid0(VALU_DEP_3) | instskip(NEXT) | instid1(VALU_DEP_3)
	v_cmp_gt_u32_e32 vcc_lo, 9, v1
	v_lshlrev_b32_e32 v73, 1, v2
	s_delay_alu instid0(VALU_DEP_3) | instskip(NEXT) | instid1(SALU_CYCLE_1)
	s_and_b32 s7, s2, vcc_lo
	s_and_saveexec_b32 s6, s7
	s_cbranch_execz .LBB1394_10
; %bb.9:
	s_load_b64 s[8:9], s[0:1], 0x0
	v_add_lshl_u32 v2, v1, s31, 6
	s_waitcnt lgkmcnt(0)
	s_mul_hi_i32 s11, s3, s16
	s_mul_i32 s10, s3, s16
	v_lshlrev_b32_e32 v6, 10, v65
	s_lshl_b64 s[10:11], s[10:11], 1
	v_ashrrev_i32_e32 v3, 31, v2
	v_lshlrev_b32_e32 v1, 6, v1
	v_lshlrev_b32_e32 v7, 10, v75
	v_and_b32_e32 v6, 0x3800, v6
	s_delay_alu instid0(VALU_DEP_4) | instskip(NEXT) | instid1(VALU_DEP_2)
	v_lshlrev_b64 v[2:3], 1, v[2:3]
	v_or3_b32 v1, v6, v7, v1
	s_add_u32 s3, s8, s10
	s_addc_u32 s7, s9, s11
	s_delay_alu instid0(VALU_DEP_2) | instskip(NEXT) | instid1(VALU_DEP_3)
	v_add_co_u32 v2, vcc_lo, s3, v2
	v_add_co_ci_u32_e32 v3, vcc_lo, s7, v3, vcc_lo
	s_delay_alu instid0(VALU_DEP_2) | instskip(NEXT) | instid1(VALU_DEP_2)
	v_add_co_u32 v2, vcc_lo, v2, v73
	v_add_co_ci_u32_e32 v3, vcc_lo, 0, v3, vcc_lo
	global_load_b128 v[2:5], v[2:3], off
	s_waitcnt vmcnt(0)
	ds_store_b128 v1, v[2:5]
.LBB1394_10:
	s_or_b32 exec_lo, exec_lo, s6
	v_and_b32_e32 v1, 0xef, v0
	s_waitcnt lgkmcnt(0)
	s_add_i32 s3, s24, 15
	s_clause 0x1
	s_load_b32 s6, s[0:1], 0x38
	s_load_b32 s19, s[0:1], 0x1c
	s_ashr_i32 s7, s3, 31
	v_add_nc_u32_e32 v1, s12, v1
	s_lshr_b32 s7, s7, 28
	s_waitcnt lgkmcnt(0)
	s_add_i32 s3, s3, s7
	s_barrier
	v_ashrrev_i32_e32 v2, 31, v1
	v_or_b32_e32 v3, 16, v1
	s_ashr_i32 s3, s3, 4
	v_cmp_gt_i32_e32 vcc_lo, s24, v1
	s_add_i32 s3, s3, -1
	v_lshrrev_b32_e32 v2, 28, v2
	buffer_gl0_inv
	s_mul_i32 s27, s15, s18
	v_add_nc_u32_e32 v4, v1, v2
	s_mul_i32 s6, s34, s6
	s_delay_alu instid0(SALU_CYCLE_1) | instskip(NEXT) | instid1(VALU_DEP_1)
	s_ashr_i32 s7, s6, 31
	v_ashrrev_i32_e32 v4, 4, v4
	v_add_nc_u32_e32 v2, v3, v2
	s_lshl_b64 s[6:7], s[6:7], 2
	s_delay_alu instid0(SALU_CYCLE_1) | instskip(NEXT) | instid1(VALU_DEP_2)
	s_add_u32 s26, s4, s6
	v_cndmask_b32_e32 v1, s3, v4, vcc_lo
	s_delay_alu instid0(VALU_DEP_2)
	v_ashrrev_i32_e32 v2, 4, v2
	v_cmp_gt_i32_e32 vcc_lo, s24, v3
	s_addc_u32 s25, s5, s7
	s_ashr_i32 s28, s27, 31
	s_add_u32 s13, s20, s27
	s_addc_u32 s15, s21, s28
	v_cndmask_b32_e32 v3, s3, v2, vcc_lo
	v_ashrrev_i32_e32 v2, 31, v1
	s_lshl_b32 s4, s14, 4
	s_delay_alu instid0(SALU_CYCLE_1) | instskip(NEXT) | instid1(VALU_DEP_2)
	s_ashr_i32 s5, s4, 31
	v_ashrrev_i32_e32 v4, 31, v3
	s_delay_alu instid0(VALU_DEP_2) | instskip(SKIP_1) | instid1(SALU_CYCLE_1)
	v_lshlrev_b64 v[1:2], 2, v[1:2]
	s_lshl_b64 s[4:5], s[4:5], 2
	s_add_u32 s4, s26, s4
	s_delay_alu instid0(VALU_DEP_2) | instskip(SKIP_1) | instid1(VALU_DEP_2)
	v_lshlrev_b64 v[3:4], 2, v[3:4]
	s_addc_u32 s5, s25, s5
	v_add_co_u32 v1, vcc_lo, s26, v1
	v_add_co_ci_u32_e32 v2, vcc_lo, s25, v2, vcc_lo
	s_delay_alu instid0(VALU_DEP_3) | instskip(NEXT) | instid1(VALU_DEP_4)
	v_add_co_u32 v3, vcc_lo, s26, v3
	v_add_co_ci_u32_e32 v4, vcc_lo, s25, v4, vcc_lo
	s_clause 0x1
	global_load_b32 v5, v[1:2], off
	global_load_b32 v7, v[3:4], off
	s_or_b32 s6, s12, 32
	v_lshlrev_b32_e32 v1, 4, v0
	s_ashr_i32 s7, s6, 4
	s_cmp_lt_i32 s6, s24
	v_cmp_gt_u32_e32 vcc_lo, 9, v65
	s_cselect_b32 s6, s7, s3
	v_and_b32_e32 v1, 0xf0, v1
	s_ashr_i32 s7, s6, 31
	s_delay_alu instid0(SALU_CYCLE_1) | instskip(NEXT) | instid1(SALU_CYCLE_1)
	s_lshl_b64 s[6:7], s[6:7], 2
	s_add_u32 s6, s26, s6
	s_addc_u32 s7, s25, s7
	s_or_b32 s8, s12, 64
	v_add_co_u32 v1, s13, s13, v1
	s_ashr_i32 s9, s8, 4
	s_cmp_lt_i32 s8, s24
	v_add_co_ci_u32_e64 v2, null, s15, 0, s13
	s_cselect_b32 s8, s9, s3
	s_delay_alu instid0(SALU_CYCLE_1) | instskip(NEXT) | instid1(SALU_CYCLE_1)
	s_ashr_i32 s9, s8, 31
	s_lshl_b64 s[8:9], s[8:9], 2
	s_delay_alu instid0(SALU_CYCLE_1) | instskip(SKIP_2) | instid1(SALU_CYCLE_1)
	s_add_u32 s8, s26, s8
	s_addc_u32 s9, s25, s9
	s_or_b32 s10, s12, 0x60
	s_ashr_i32 s11, s10, 4
	s_cmp_lt_i32 s10, s24
	s_cselect_b32 s10, s11, s3
	s_delay_alu instid0(SALU_CYCLE_1) | instskip(NEXT) | instid1(SALU_CYCLE_1)
	s_ashr_i32 s11, s10, 31
	s_lshl_b64 s[10:11], s[10:11], 2
	s_delay_alu instid0(SALU_CYCLE_1) | instskip(SKIP_2) | instid1(SALU_CYCLE_1)
	s_add_u32 s10, s26, s10
	s_addc_u32 s11, s25, s11
	s_or_b32 s16, s12, 0x80
	s_ashr_i32 s18, s16, 4
	s_cmp_lt_i32 s16, s24
	;; [unrolled: 10-line block ×3, first 2 shown]
	s_cselect_b32 s20, s18, s3
	s_delay_alu instid0(SALU_CYCLE_1) | instskip(NEXT) | instid1(SALU_CYCLE_1)
	s_ashr_i32 s21, s20, 31
	s_lshl_b64 s[20:21], s[20:21], 2
	s_delay_alu instid0(SALU_CYCLE_1)
	s_add_u32 s38, s26, s20
	s_addc_u32 s39, s25, s21
	s_clause 0x5
	s_load_b32 s21, s[4:5], 0x0
	s_load_b32 s13, s[6:7], 0x0
	;; [unrolled: 1-line block ×6, first 2 shown]
	s_or_b32 s8, s12, 0xc0
	s_mov_b32 s4, 0
	s_ashr_i32 s9, s8, 4
	s_cmp_lt_i32 s8, s24
	s_mov_b32 s11, s4
	s_cselect_b32 s36, s9, s3
	s_mov_b32 s5, s4
	s_ashr_i32 s37, s36, 31
	s_mov_b32 s6, s4
	s_lshl_b64 s[36:37], s[36:37], 2
	s_mov_b32 s7, s4
	s_add_u32 s36, s26, s36
	s_addc_u32 s37, s25, s37
	s_or_b32 s29, s12, 0xe0
	s_mov_b32 s8, s4
	s_ashr_i32 s30, s29, 4
	s_mov_b32 s9, s4
	s_mov_b32 s10, s4
	s_cmp_lt_i32 s29, s24
	v_dual_mov_b32 v107, s11 :: v_dual_mov_b32 v100, s4
	v_mov_b32_e32 v106, s10
	v_dual_mov_b32 v104, s8 :: v_dual_mov_b32 v103, s7
	v_dual_mov_b32 v102, s6 :: v_dual_mov_b32 v101, s5
	s_waitcnt vmcnt(1)
	v_mad_i64_i32 v[3:4], null, v5, s17, v[1:2]
	s_waitcnt vmcnt(0)
	v_mad_i64_i32 v[5:6], null, v7, s17, v[1:2]
	v_add_nc_u32_e32 v1, -9, v65
	v_lshlrev_b32_e32 v2, 4, v65
	s_clause 0x7
	global_load_b128 v[49:52], v[3:4], off
	global_load_b128 v[53:56], v[3:4], off offset:256
	global_load_b128 v[76:79], v[5:6], off
	global_load_b128 v[80:83], v[5:6], off offset:256
	global_load_b128 v[84:87], v[3:4], off offset:512
	;; [unrolled: 1-line block ×5, first 2 shown]
	v_cndmask_b32_e32 v1, v1, v65, vcc_lo
	v_mov_b32_e32 v105, s9
	s_cselect_b32 s4, s30, s3
	v_lshl_or_b32 v2, v66, 8, v2
	s_ashr_i32 s5, s4, 31
	v_lshlrev_b32_e32 v70, 6, v1
	s_lshl_b64 s[4:5], s[4:5], 2
	s_load_b32 s3, s[36:37], 0x0
	s_add_u32 s4, s26, s4
	s_addc_u32 s5, s25, s5
	ds_load_b128 v[108:111], v70
	ds_load_b128 v[112:115], v70 offset:1024
	s_load_b32 s4, s[4:5], 0x0
	s_add_u32 s6, s22, s27
	s_addc_u32 s7, s23, s28
	v_add_co_u32 v9, s6, s6, v2
	s_delay_alu instid0(VALU_DEP_1) | instskip(SKIP_1) | instid1(VALU_DEP_1)
	v_add_co_ci_u32_e64 v10, null, s7, 0, s6
	s_waitcnt lgkmcnt(0)
	v_mad_i64_i32 v[1:2], null, s21, s17, v[9:10]
	v_mad_i64_i32 v[3:4], null, s13, s17, v[9:10]
	;; [unrolled: 1-line block ×7, first 2 shown]
	s_clause 0x9
	global_load_b128 v[57:60], v[1:2], off
	global_load_b128 v[61:64], v[1:2], off offset:16
	global_load_b128 v[41:44], v[3:4], off
	global_load_b128 v[45:48], v[3:4], off offset:16
	;; [unrolled: 2-line block ×5, first 2 shown]
	v_mad_i64_i32 v[68:69], null, s4, s17, v[9:10]
	s_clause 0x3
	global_load_b128 v[9:12], v[13:14], off
	global_load_b128 v[13:16], v[13:14], off offset:16
	global_load_b128 v[17:20], v[21:22], off
	global_load_b128 v[21:24], v[21:22], off offset:16
	s_waitcnt vmcnt(20)
	v_wmma_f32_16x16x16_bf16 v[116:123], v[49:56], v[108:115], v[100:107]
	s_clause 0x1
	global_load_b128 v[49:52], v[68:69], off
	global_load_b128 v[53:56], v[68:69], off offset:16
	v_and_b32_e32 v68, 0xe0, v0
	v_mbcnt_lo_u32_b32 v69, -1, 0
	s_delay_alu instid0(VALU_DEP_2)
	v_add_nc_u32_e32 v68, s12, v68
	s_waitcnt vmcnt(20)
	v_wmma_f32_16x16x16_bf16 v[100:107], v[76:83], v[108:115], v[100:107]
	ds_load_b128 v[76:79], v70 offset:2048
	ds_load_b128 v[80:83], v70 offset:3072
	v_xor_b32_e32 v70, 16, v69
	s_waitcnt vmcnt(0) lgkmcnt(0)
	v_or_b32_e32 v68, v68, v74
	s_barrier
	buffer_gl0_inv
	v_cmp_gt_i32_e32 vcc_lo, 32, v70
	v_or_b32_e32 v71, 4, v68
	v_or_b32_e32 v72, 6, v68
	v_cmp_gt_i32_e64 s3, s24, v68
	v_or_b32_e32 v108, 8, v68
	v_or_b32_e32 v109, 10, v68
	v_cmp_gt_i32_e64 s4, s24, v71
	v_cmp_gt_i32_e64 s5, s24, v72
	s_delay_alu instid0(VALU_DEP_4) | instskip(NEXT) | instid1(VALU_DEP_4)
	v_cmp_gt_i32_e64 s6, s24, v108
	v_cmp_gt_i32_e64 s7, s24, v109
	v_wmma_f32_16x16x16_bf16 v[116:123], v[84:91], v[76:83], v[116:123]
	v_cndmask_b32_e32 v69, v69, v70, vcc_lo
	v_or_b32_e32 v70, 2, v68
	v_wmma_f32_16x16x16_bf16 v[100:107], v[92:99], v[76:83], v[100:107]
	v_or_b32_e32 v89, 22, v68
	v_dual_mul_f32 v82, s19, v119 :: v_dual_mul_f32 v79, s19, v122
	v_dual_mul_f32 v92, s19, v117 :: v_dual_mul_f32 v93, s19, v116
	s_delay_alu instid0(VALU_DEP_4) | instskip(SKIP_2) | instid1(VALU_DEP_4)
	v_mul_f32_e32 v98, s19, v103
	v_cmp_gt_i32_e32 vcc_lo, s24, v70
	v_dual_mul_f32 v83, s19, v118 :: v_dual_mul_f32 v96, s19, v105
	v_cndmask_b32_e64 v93, 0xff7fffff, v93, s3
	v_or_b32_e32 v84, 12, v68
	v_cndmask_b32_e32 v92, 0xff7fffff, v92, vcc_lo
	v_or_b32_e32 v85, 14, v68
	v_dual_mul_f32 v80, s19, v121 :: v_dual_mul_f32 v81, s19, v120
	v_mul_f32_e32 v94, s19, v107
	v_cndmask_b32_e64 v71, 0xff7fffff, v83, s4
	v_cndmask_b32_e64 v72, 0xff7fffff, v82, s5
	v_cmp_gt_i32_e64 s13, s24, v89
	v_lshlrev_b32_e32 v89, 2, v69
	v_max3_f32 v82, v93, 0xff7fffff, v92
	v_or_b32_e32 v86, 16, v68
	v_or_b32_e32 v87, 18, v68
	v_mul_f32_e32 v78, s19, v123
	v_cndmask_b32_e64 v81, 0xff7fffff, v81, s6
	v_cndmask_b32_e64 v80, 0xff7fffff, v80, s7
	v_max3_f32 v71, v82, v71, v72
	v_cmp_gt_i32_e64 s8, s24, v84
	v_cmp_gt_i32_e64 s9, s24, v85
	v_or_b32_e32 v88, 20, v68
	v_or_b32_e32 v90, 24, v68
	;; [unrolled: 1-line block ×5, first 2 shown]
	v_dual_mul_f32 v95, s19, v106 :: v_dual_mul_f32 v70, s19, v101
	v_dual_mul_f32 v99, s19, v102 :: v_dual_mul_f32 v68, s19, v100
	v_cndmask_b32_e64 v72, 0xff7fffff, v79, s8
	v_cndmask_b32_e64 v78, 0xff7fffff, v78, s9
	v_max3_f32 v71, v71, v81, v80
	v_cmp_gt_i32_e64 s10, s24, v86
	v_cmp_gt_i32_e64 s11, s24, v87
	v_cmp_gt_i32_e64 s12, s24, v88
	v_mul_f32_e32 v97, s19, v104
	v_max3_f32 v71, v71, v72, v78
	v_cndmask_b32_e64 v68, 0xff7fffff, v68, s10
	v_cndmask_b32_e64 v70, 0xff7fffff, v70, s11
	;; [unrolled: 1-line block ×4, first 2 shown]
	v_cmp_gt_i32_e64 s15, s24, v90
	v_cmp_gt_i32_e64 s16, s24, v91
	v_max3_f32 v68, v71, v68, v70
	v_cmp_gt_i32_e64 s17, s24, v76
	v_cmp_gt_i32_e64 s18, s24, v77
	v_cndmask_b32_e64 v70, 0xff7fffff, v97, s15
	v_cndmask_b32_e64 v71, 0xff7fffff, v96, s16
	v_max3_f32 v68, v68, v72, v78
	v_cndmask_b32_e64 v72, 0xff7fffff, v95, s17
	v_cndmask_b32_e64 v76, 0xff7fffff, v94, s18
	s_delay_alu instid0(VALU_DEP_3) | instskip(NEXT) | instid1(VALU_DEP_1)
	v_max3_f32 v68, v68, v70, v71
	v_max3_f32 v68, v68, v72, v76
	ds_bpermute_b32 v69, v89, v68
	s_waitcnt lgkmcnt(0)
	v_max_f32_e32 v69, v69, v69
	s_delay_alu instid0(VALU_DEP_1) | instskip(NEXT) | instid1(VALU_DEP_1)
	v_max_f32_e32 v68, v68, v69
	v_fma_f32 v69, s19, v116, -v68
	v_fma_f32 v70, s19, v117, -v68
	;; [unrolled: 1-line block ×5, first 2 shown]
	s_delay_alu instid0(VALU_DEP_4) | instskip(NEXT) | instid1(VALU_DEP_4)
	v_dual_mul_f32 v69, 0x3fb8aa3b, v69 :: v_dual_mul_f32 v70, 0x3fb8aa3b, v70
	v_mul_f32_e32 v72, 0x3fb8aa3b, v72
	v_fma_f32 v78, s19, v122, -v68
	s_delay_alu instid0(VALU_DEP_4) | instskip(NEXT) | instid1(VALU_DEP_4)
	v_mul_f32_e32 v77, 0x3fb8aa3b, v76
	v_exp_f32_e32 v69, v69
	v_exp_f32_e32 v70, v70
	v_mul_f32_e32 v71, 0x3fb8aa3b, v71
	v_exp_f32_e32 v72, v72
	v_mul_f32_e32 v78, 0x3fb8aa3b, v78
	v_exp_f32_e32 v77, v77
	v_fma_f32 v81, s19, v105, -v68
	s_delay_alu instid0(VALU_DEP_2)
	v_exp_f32_e32 v78, v78
	v_cndmask_b32_e64 v80, 0, v69, s3
	v_cndmask_b32_e32 v76, 0, v70, vcc_lo
	v_exp_f32_e32 v71, v71
	v_fma_f32 v69, s19, v121, -v68
	v_cndmask_b32_e64 v85, 0, v72, s5
	v_add_f32_e32 v70, 0, v80
	s_delay_alu instid0(TRANS32_DEP_3)
	v_cndmask_b32_e64 v86, 0, v77, s6
	v_fma_f32 v77, s19, v101, -v68
	v_mul_f32_e32 v69, 0x3fb8aa3b, v69
	v_fma_f32 v72, s19, v100, -v68
	v_cndmask_b32_e64 v84, 0, v78, s8
	v_fma_f32 v78, s19, v103, -v68
	v_cndmask_b32_e64 v83, 0, v71, s4
	v_fma_f32 v71, s19, v123, -v68
	v_add_f32_e32 v70, v70, v76
	v_exp_f32_e32 v69, v69
	v_mul_f32_e32 v77, 0x3fb8aa3b, v77
	v_mul_f32_e32 v81, 0x3fb8aa3b, v81
	;; [unrolled: 1-line block ×3, first 2 shown]
	v_add_f32_e32 v70, v70, v83
	v_cmp_gt_u32_e64 s3, 16, v67
	v_exp_f32_e32 v77, v77
	v_exp_f32_e32 v81, v81
	;; [unrolled: 1-line block ×3, first 2 shown]
	v_cndmask_b32_e64 v87, 0, v69, s7
	v_add_f32_e32 v70, v70, v85
	s_delay_alu instid0(VALU_DEP_1) | instskip(SKIP_1) | instid1(VALU_DEP_2)
	v_dual_mul_f32 v72, 0x3fb8aa3b, v72 :: v_dual_add_f32 v69, v70, v86
	v_fma_f32 v70, s19, v102, -v68
	v_exp_f32_e32 v72, v72
	s_waitcnt_depctr 0xfff
	v_cndmask_b32_e64 v88, 0, v71, s9
	v_fma_f32 v71, s19, v104, -v68
	v_dual_add_f32 v69, v69, v87 :: v_dual_mul_f32 v70, 0x3fb8aa3b, v70
	s_delay_alu instid0(VALU_DEP_2) | instskip(NEXT) | instid1(VALU_DEP_2)
	v_dual_mul_f32 v78, 0x3fb8aa3b, v78 :: v_dual_mul_f32 v71, 0x3fb8aa3b, v71
	v_add_f32_e32 v69, v69, v84
	s_delay_alu instid0(VALU_DEP_3) | instskip(SKIP_1) | instid1(VALU_DEP_3)
	v_exp_f32_e32 v79, v70
	v_cndmask_b32_e64 v70, 0, v72, s10
	v_exp_f32_e32 v78, v78
	v_exp_f32_e32 v82, v71
	v_add_f32_e32 v72, v69, v88
	v_cndmask_b32_e64 v69, 0, v77, s11
	v_fma_f32 v77, s19, v106, -v68
	s_delay_alu instid0(VALU_DEP_3) | instskip(NEXT) | instid1(TRANS32_DEP_3)
	v_add_f32_e32 v72, v72, v70
	v_cndmask_b32_e64 v71, 0, v79, s12
	s_delay_alu instid0(VALU_DEP_3) | instskip(NEXT) | instid1(VALU_DEP_3)
	v_mul_f32_e32 v77, 0x3fb8aa3b, v77
	v_add_f32_e32 v79, v72, v69
	s_delay_alu instid0(TRANS32_DEP_2) | instskip(NEXT) | instid1(VALU_DEP_3)
	v_cndmask_b32_e64 v72, 0, v78, s13
	v_exp_f32_e32 v90, v77
	v_cndmask_b32_e64 v77, 0, v82, s15
	s_delay_alu instid0(VALU_DEP_3) | instskip(SKIP_1) | instid1(VALU_DEP_1)
	v_add_f32_e32 v78, v79, v71
	v_fma_f32 v79, s19, v107, -v68
	v_dual_add_f32 v82, v78, v72 :: v_dual_mul_f32 v79, 0x3fb8aa3b, v79
	v_cndmask_b32_e64 v78, 0, v81, s16
	s_delay_alu instid0(VALU_DEP_2) | instskip(NEXT) | instid1(VALU_DEP_3)
	v_add_f32_e32 v81, v82, v77
	v_exp_f32_e32 v82, v79
	s_delay_alu instid0(TRANS32_DEP_2) | instskip(NEXT) | instid1(VALU_DEP_2)
	v_cndmask_b32_e64 v79, 0, v90, s17
	v_add_f32_e32 v81, v81, v78
	s_delay_alu instid0(VALU_DEP_1) | instskip(SKIP_2) | instid1(VALU_DEP_1)
	v_add_f32_e32 v90, v81, v79
	s_waitcnt_depctr 0xfff
	v_cndmask_b32_e64 v81, 0, v82, s18
	v_add_f32_e32 v82, v90, v81
	ds_bpermute_b32 v89, v89, v82
	s_and_saveexec_b32 s4, s3
	s_cbranch_execz .LBB1394_12
; %bb.11:
	v_mul_u32_u24_e32 v67, 0x44, v66
	s_delay_alu instid0(VALU_DEP_1) | instskip(SKIP_1) | instid1(VALU_DEP_1)
	v_lshl_add_u32 v67, v65, 2, v67
	s_waitcnt lgkmcnt(0)
	v_dual_add_f32 v82, v82, v89 :: v_dual_add_nc_u32 v67, 0x4000, v67
	ds_store_2addr_b32 v67, v68, v82 offset1:136
.LBB1394_12:
	s_or_b32 exec_lo, exec_lo, s4
	v_lshlrev_b32_e32 v67, 2, v65
	s_waitcnt lgkmcnt(0)
	s_barrier
	buffer_gl0_inv
	v_cmp_eq_u32_e32 vcc_lo, 1, v66
	v_add_nc_u32_e32 v82, 0x4000, v67
	v_cmp_eq_u32_e64 s4, 2, v66
	v_cmp_eq_u32_e64 s6, 7, v66
	ds_load_2addr_b32 v[89:90], v82 offset1:17
	ds_load_2addr_b32 v[91:92], v82 offset0:34 offset1:51
	ds_load_2addr_b32 v[93:94], v82 offset0:68 offset1:85
	;; [unrolled: 1-line block ×4, first 2 shown]
	s_waitcnt lgkmcnt(4)
	v_max3_f32 v67, v89, 0xff7fffff, v90
	s_waitcnt lgkmcnt(3)
	s_delay_alu instid0(VALU_DEP_1) | instskip(SKIP_1) | instid1(VALU_DEP_1)
	v_max3_f32 v67, v67, v91, v92
	s_waitcnt lgkmcnt(2)
	v_max3_f32 v67, v67, v93, v94
	s_waitcnt lgkmcnt(1)
	s_delay_alu instid0(VALU_DEP_1) | instskip(NEXT) | instid1(VALU_DEP_1)
	v_max3_f32 v67, v67, v95, v96
	v_sub_f32_e32 v93, v93, v67
	s_delay_alu instid0(VALU_DEP_1) | instskip(NEXT) | instid1(VALU_DEP_1)
	v_dual_sub_f32 v68, v89, v67 :: v_dual_mul_f32 v103, 0x3fb8aa3b, v93
	v_mul_f32_e32 v68, 0x3fb8aa3b, v68
	s_delay_alu instid0(VALU_DEP_1)
	v_exp_f32_e32 v100, v68
	v_sub_f32_e32 v68, v92, v67
	v_sub_f32_e32 v99, v90, v67
	ds_load_2addr_b32 v[89:90], v82 offset0:170 offset1:187
	v_dual_mul_f32 v102, 0x3fb8aa3b, v68 :: v_dual_mul_f32 v99, 0x3fb8aa3b, v99
	s_waitcnt lgkmcnt(1)
	v_fma_f32 v68, v100, v97, 0
	s_delay_alu instid0(VALU_DEP_2) | instskip(NEXT) | instid1(VALU_DEP_2)
	v_exp_f32_e32 v102, v102
	v_exp_f32_e32 v99, v99
	s_waitcnt_depctr 0xfff
	v_fmac_f32_e32 v68, v99, v98
	v_sub_f32_e32 v91, v91, v67
	s_delay_alu instid0(VALU_DEP_1)
	v_mul_f32_e32 v101, 0x3fb8aa3b, v91
	ds_load_2addr_b32 v[91:92], v82 offset0:204 offset1:221
	v_sub_f32_e32 v97, v94, v67
	ds_load_2addr_b32 v[93:94], v82 offset0:238 offset1:255
	s_waitcnt lgkmcnt(0)
	v_exp_f32_e32 v101, v101
	s_barrier
	buffer_gl0_inv
	v_dual_fmac_f32 v68, v101, v89 :: v_dual_sub_f32 v89, v96, v67
	v_dual_sub_f32 v82, v95, v67 :: v_dual_mul_f32 v95, 0x3fb8aa3b, v97
	v_exp_f32_e32 v97, v103
	s_delay_alu instid0(VALU_DEP_2) | instskip(NEXT) | instid1(VALU_DEP_2)
	v_dual_fmac_f32 v68, v102, v90 :: v_dual_mul_f32 v89, 0x3fb8aa3b, v89
	v_mul_f32_e32 v82, 0x3fb8aa3b, v82
	s_delay_alu instid0(VALU_DEP_3) | instskip(NEXT) | instid1(VALU_DEP_2)
	v_exp_f32_e32 v95, v95
	v_exp_f32_e32 v89, v89
	s_delay_alu instid0(VALU_DEP_1)
	v_exp_f32_e32 v82, v82
	v_fmac_f32_e32 v68, v97, v91
	s_delay_alu instid0(TRANS32_DEP_3) | instid1(VALU_DEP_1)
	v_fmac_f32_e32 v68, v95, v92
	s_waitcnt_depctr 0xfff
	v_fmac_f32_e32 v68, v82, v93
	s_delay_alu instid0(VALU_DEP_1) | instskip(NEXT) | instid1(VALU_DEP_1)
	v_fmac_f32_e32 v68, v89, v94
	v_add_f32_e32 v90, 0x358637bd, v68
	s_delay_alu instid0(VALU_DEP_1) | instskip(NEXT) | instid1(VALU_DEP_1)
	v_div_scale_f32 v91, null, v90, v90, 1.0
	v_rcp_f32_e32 v92, v91
	s_waitcnt_depctr 0xfff
	v_fma_f32 v93, -v91, v92, 1.0
	s_delay_alu instid0(VALU_DEP_1) | instskip(SKIP_1) | instid1(VALU_DEP_2)
	v_dual_fmac_f32 v92, v93, v92 :: v_dual_cndmask_b32 v93, v100, v99
	v_cmp_eq_u32_e32 vcc_lo, 3, v66
	v_cndmask_b32_e64 v93, v93, v101, s4
	v_cmp_eq_u32_e64 s4, 4, v66
	s_delay_alu instid0(VALU_DEP_2) | instskip(SKIP_1) | instid1(VALU_DEP_2)
	v_cndmask_b32_e32 v93, v93, v102, vcc_lo
	v_cmp_eq_u32_e32 vcc_lo, 5, v66
	v_cndmask_b32_e64 v93, v93, v97, s4
	v_cmp_eq_u32_e64 s4, 6, v66
	s_delay_alu instid0(VALU_DEP_2) | instskip(SKIP_1) | instid1(VALU_DEP_1)
	v_cndmask_b32_e32 v93, v93, v95, vcc_lo
	v_div_scale_f32 v94, s5, 1.0, v90, 1.0
	s_mov_b32 vcc_lo, s5
	s_delay_alu instid0(VALU_DEP_2) | instskip(NEXT) | instid1(VALU_DEP_2)
	v_cndmask_b32_e64 v82, v93, v82, s4
	v_mul_f32_e32 v96, v94, v92
	s_mov_b32 s4, exec_lo
	s_delay_alu instid0(VALU_DEP_2) | instskip(NEXT) | instid1(VALU_DEP_2)
	v_cndmask_b32_e64 v82, v82, v89, s6
	v_fma_f32 v98, -v91, v96, v94
	s_delay_alu instid0(VALU_DEP_1) | instskip(NEXT) | instid1(VALU_DEP_1)
	v_fmac_f32_e32 v96, v98, v92
	v_fma_f32 v91, -v91, v96, v94
	s_delay_alu instid0(VALU_DEP_1) | instskip(NEXT) | instid1(VALU_DEP_1)
	v_div_fmas_f32 v91, v91, v92, v96
	v_div_fixup_f32 v90, v91, v90, 1.0
	s_delay_alu instid0(VALU_DEP_1) | instskip(NEXT) | instid1(VALU_DEP_1)
	v_mul_f32_e32 v82, v82, v90
	v_mul_f32_e32 v87, v82, v87
	;; [unrolled: 1-line block ×7, first 2 shown]
	v_dual_mul_f32 v86, v82, v83 :: v_dual_and_b32 v91, 0x7f800000, v90
	v_mul_f32_e32 v85, v82, v76
                                        ; implicit-def: $vgpr76
	s_delay_alu instid0(VALU_DEP_2)
	v_cmpx_ne_u32_e32 0x7f800000, v91
	s_xor_b32 s4, exec_lo, s4
; %bb.13:
	v_bfe_u32 v76, v90, 16, 1
	s_delay_alu instid0(VALU_DEP_1)
	v_add3_u32 v76, v90, v76, 0x7fff
                                        ; implicit-def: $vgpr90
; %bb.14:
	s_and_not1_saveexec_b32 s4, s4
; %bb.15:
	v_and_b32_e32 v76, 0xffff, v90
	v_or_b32_e32 v83, 0x10000, v90
	s_delay_alu instid0(VALU_DEP_2) | instskip(NEXT) | instid1(VALU_DEP_2)
	v_cmp_eq_u32_e32 vcc_lo, 0, v76
	v_cndmask_b32_e32 v76, v83, v90, vcc_lo
; %bb.16:
	s_or_b32 exec_lo, exec_lo, s4
	v_and_b32_e32 v83, 0x7f800000, v85
	s_delay_alu instid0(VALU_DEP_1) | instskip(SKIP_1) | instid1(SALU_CYCLE_1)
	v_cmp_ne_u32_e32 vcc_lo, 0x7f800000, v83
                                        ; implicit-def: $vgpr83
	s_and_saveexec_b32 s4, vcc_lo
	s_xor_b32 s4, exec_lo, s4
; %bb.17:
	v_bfe_u32 v83, v85, 16, 1
	s_delay_alu instid0(VALU_DEP_1)
	v_add3_u32 v83, v85, v83, 0x7fff
                                        ; implicit-def: $vgpr85
; %bb.18:
	s_and_not1_saveexec_b32 s4, s4
; %bb.19:
	v_and_b32_e32 v83, 0xffff, v85
	v_or_b32_e32 v90, 0x10000, v85
	s_delay_alu instid0(VALU_DEP_2) | instskip(NEXT) | instid1(VALU_DEP_2)
	v_cmp_eq_u32_e32 vcc_lo, 0, v83
	v_cndmask_b32_e32 v83, v90, v85, vcc_lo
; %bb.20:
	s_or_b32 exec_lo, exec_lo, s4
	v_and_b32_e32 v85, 0x7f800000, v86
	s_delay_alu instid0(VALU_DEP_1) | instskip(SKIP_1) | instid1(SALU_CYCLE_1)
	v_cmp_ne_u32_e32 vcc_lo, 0x7f800000, v85
                                        ; implicit-def: $vgpr85
	s_and_saveexec_b32 s4, vcc_lo
	s_xor_b32 s4, exec_lo, s4
; %bb.21:
	v_bfe_u32 v85, v86, 16, 1
	s_delay_alu instid0(VALU_DEP_1)
	v_add3_u32 v85, v86, v85, 0x7fff
                                        ; implicit-def: $vgpr86
; %bb.22:
	s_and_not1_saveexec_b32 s4, s4
; %bb.23:
	v_and_b32_e32 v85, 0xffff, v86
	v_or_b32_e32 v90, 0x10000, v86
	s_delay_alu instid0(VALU_DEP_2) | instskip(NEXT) | instid1(VALU_DEP_2)
	v_cmp_eq_u32_e32 vcc_lo, 0, v85
	v_cndmask_b32_e32 v85, v90, v86, vcc_lo
; %bb.24:
	s_or_b32 exec_lo, exec_lo, s4
	v_and_b32_e32 v86, 0x7f800000, v89
	s_delay_alu instid0(VALU_DEP_1) | instskip(SKIP_1) | instid1(SALU_CYCLE_1)
	v_cmp_ne_u32_e32 vcc_lo, 0x7f800000, v86
                                        ; implicit-def: $vgpr86
	s_and_saveexec_b32 s4, vcc_lo
	s_xor_b32 s4, exec_lo, s4
; %bb.25:
	v_bfe_u32 v86, v89, 16, 1
	s_delay_alu instid0(VALU_DEP_1)
	v_add3_u32 v86, v89, v86, 0x7fff
                                        ; implicit-def: $vgpr89
; %bb.26:
	s_and_not1_saveexec_b32 s4, s4
; %bb.27:
	v_and_b32_e32 v86, 0xffff, v89
	v_or_b32_e32 v90, 0x10000, v89
	s_delay_alu instid0(VALU_DEP_2) | instskip(NEXT) | instid1(VALU_DEP_2)
	v_cmp_eq_u32_e32 vcc_lo, 0, v86
	v_cndmask_b32_e32 v86, v90, v89, vcc_lo
; %bb.28:
	s_or_b32 exec_lo, exec_lo, s4
	v_and_b32_e32 v89, 0x7f800000, v88
	s_delay_alu instid0(VALU_DEP_1) | instskip(SKIP_1) | instid1(SALU_CYCLE_1)
	v_cmp_ne_u32_e32 vcc_lo, 0x7f800000, v89
                                        ; implicit-def: $vgpr89
	s_and_saveexec_b32 s4, vcc_lo
	s_xor_b32 s4, exec_lo, s4
; %bb.29:
	v_bfe_u32 v89, v88, 16, 1
	s_delay_alu instid0(VALU_DEP_1)
	v_add3_u32 v89, v88, v89, 0x7fff
                                        ; implicit-def: $vgpr88
; %bb.30:
	s_and_not1_saveexec_b32 s4, s4
; %bb.31:
	v_and_b32_e32 v89, 0xffff, v88
	v_or_b32_e32 v90, 0x10000, v88
	s_delay_alu instid0(VALU_DEP_2) | instskip(NEXT) | instid1(VALU_DEP_2)
	v_cmp_eq_u32_e32 vcc_lo, 0, v89
	v_cndmask_b32_e32 v89, v90, v88, vcc_lo
; %bb.32:
	s_or_b32 exec_lo, exec_lo, s4
	v_and_b32_e32 v88, 0x7f800000, v87
	s_delay_alu instid0(VALU_DEP_1) | instskip(SKIP_1) | instid1(SALU_CYCLE_1)
	v_cmp_ne_u32_e32 vcc_lo, 0x7f800000, v88
                                        ; implicit-def: $vgpr88
	s_and_saveexec_b32 s4, vcc_lo
	s_xor_b32 s4, exec_lo, s4
; %bb.33:
	v_bfe_u32 v88, v87, 16, 1
	s_delay_alu instid0(VALU_DEP_1)
	v_add3_u32 v88, v87, v88, 0x7fff
                                        ; implicit-def: $vgpr87
; %bb.34:
	s_and_not1_saveexec_b32 s4, s4
; %bb.35:
	v_and_b32_e32 v88, 0xffff, v87
	v_or_b32_e32 v90, 0x10000, v87
	s_delay_alu instid0(VALU_DEP_2) | instskip(NEXT) | instid1(VALU_DEP_2)
	v_cmp_eq_u32_e32 vcc_lo, 0, v88
	v_cndmask_b32_e32 v88, v90, v87, vcc_lo
; %bb.36:
	s_or_b32 exec_lo, exec_lo, s4
	v_and_b32_e32 v87, 0x7f800000, v84
	s_delay_alu instid0(VALU_DEP_1) | instskip(SKIP_1) | instid1(SALU_CYCLE_1)
	v_cmp_ne_u32_e32 vcc_lo, 0x7f800000, v87
                                        ; implicit-def: $vgpr87
	s_and_saveexec_b32 s4, vcc_lo
	s_xor_b32 s4, exec_lo, s4
; %bb.37:
	v_bfe_u32 v87, v84, 16, 1
	s_delay_alu instid0(VALU_DEP_1)
	v_add3_u32 v87, v84, v87, 0x7fff
                                        ; implicit-def: $vgpr84
; %bb.38:
	s_and_not1_saveexec_b32 s4, s4
; %bb.39:
	v_and_b32_e32 v87, 0xffff, v84
	v_or_b32_e32 v90, 0x10000, v84
	s_delay_alu instid0(VALU_DEP_2) | instskip(NEXT) | instid1(VALU_DEP_2)
	v_cmp_eq_u32_e32 vcc_lo, 0, v87
	v_cndmask_b32_e32 v87, v90, v84, vcc_lo
; %bb.40:
	s_or_b32 exec_lo, exec_lo, s4
	v_and_b32_e32 v84, 0x7f800000, v80
	s_delay_alu instid0(VALU_DEP_1) | instskip(SKIP_1) | instid1(SALU_CYCLE_1)
	v_cmp_ne_u32_e32 vcc_lo, 0x7f800000, v84
                                        ; implicit-def: $vgpr84
	s_and_saveexec_b32 s4, vcc_lo
	s_xor_b32 s4, exec_lo, s4
; %bb.41:
	v_bfe_u32 v84, v80, 16, 1
	s_delay_alu instid0(VALU_DEP_1)
	v_add3_u32 v84, v80, v84, 0x7fff
                                        ; implicit-def: $vgpr80
; %bb.42:
	s_and_not1_saveexec_b32 s4, s4
; %bb.43:
	v_and_b32_e32 v84, 0xffff, v80
	v_or_b32_e32 v90, 0x10000, v80
	s_delay_alu instid0(VALU_DEP_2) | instskip(NEXT) | instid1(VALU_DEP_2)
	v_cmp_eq_u32_e32 vcc_lo, 0, v84
	v_cndmask_b32_e32 v84, v90, v80, vcc_lo
; %bb.44:
	s_or_b32 exec_lo, exec_lo, s4
	s_load_b64 s[36:37], s[0:1], 0x94
	v_lshlrev_b32_e32 v91, 4, v74
	s_delay_alu instid0(VALU_DEP_2)
	v_perm_b32 v90, v84, v87, 0x7060302
	v_dual_mul_f32 v79, v82, v79 :: v_dual_lshlrev_b32 v80, 6, v65
	v_dual_mul_f32 v77, v82, v77 :: v_dual_lshlrev_b32 v92, 11, v66
	v_mul_f32_e32 v84, v82, v70
	v_perm_b32 v89, v88, v89, 0x7060302
	v_perm_b32 v88, v86, v85, 0x7060302
	;; [unrolled: 1-line block ×3, first 2 shown]
	v_mul_f32_e32 v70, v82, v81
	v_or3_b32 v76, v91, v92, v80
	v_dual_mul_f32 v78, v82, v78 :: v_dual_and_b32 v85, 0x7f800000, v84
	v_mul_f32_e32 v83, v82, v72
	v_mul_f32_e32 v81, v82, v71
	;; [unrolled: 1-line block ×3, first 2 shown]
	s_mov_b32 s4, exec_lo
	ds_store_b128 v76, v[87:90]
                                        ; implicit-def: $vgpr69
	v_cmpx_ne_u32_e32 0x7f800000, v85
	s_xor_b32 s4, exec_lo, s4
; %bb.45:
	v_bfe_u32 v69, v84, 16, 1
	s_delay_alu instid0(VALU_DEP_1)
	v_add3_u32 v69, v84, v69, 0x7fff
                                        ; implicit-def: $vgpr84
; %bb.46:
	s_and_not1_saveexec_b32 s4, s4
; %bb.47:
	v_and_b32_e32 v69, 0xffff, v84
	v_or_b32_e32 v71, 0x10000, v84
	s_delay_alu instid0(VALU_DEP_2) | instskip(NEXT) | instid1(VALU_DEP_2)
	v_cmp_eq_u32_e32 vcc_lo, 0, v69
	v_cndmask_b32_e32 v69, v71, v84, vcc_lo
; %bb.48:
	s_or_b32 exec_lo, exec_lo, s4
	v_and_b32_e32 v71, 0x7f800000, v72
	s_delay_alu instid0(VALU_DEP_1) | instskip(SKIP_1) | instid1(SALU_CYCLE_1)
	v_cmp_ne_u32_e32 vcc_lo, 0x7f800000, v71
                                        ; implicit-def: $vgpr71
	s_and_saveexec_b32 s4, vcc_lo
	s_xor_b32 s4, exec_lo, s4
; %bb.49:
	v_bfe_u32 v71, v72, 16, 1
	s_delay_alu instid0(VALU_DEP_1)
	v_add3_u32 v71, v72, v71, 0x7fff
                                        ; implicit-def: $vgpr72
; %bb.50:
	s_and_not1_saveexec_b32 s4, s4
; %bb.51:
	v_and_b32_e32 v71, 0xffff, v72
	v_or_b32_e32 v82, 0x10000, v72
	s_delay_alu instid0(VALU_DEP_2) | instskip(NEXT) | instid1(VALU_DEP_2)
	v_cmp_eq_u32_e32 vcc_lo, 0, v71
	v_cndmask_b32_e32 v71, v82, v72, vcc_lo
; %bb.52:
	s_or_b32 exec_lo, exec_lo, s4
	v_and_b32_e32 v72, 0x7f800000, v81
	s_delay_alu instid0(VALU_DEP_1) | instskip(SKIP_1) | instid1(SALU_CYCLE_1)
	v_cmp_ne_u32_e32 vcc_lo, 0x7f800000, v72
                                        ; implicit-def: $vgpr72
	s_and_saveexec_b32 s4, vcc_lo
	s_xor_b32 s4, exec_lo, s4
; %bb.53:
	v_bfe_u32 v72, v81, 16, 1
	s_delay_alu instid0(VALU_DEP_1)
	v_add3_u32 v72, v81, v72, 0x7fff
                                        ; implicit-def: $vgpr81
; %bb.54:
	s_and_not1_saveexec_b32 s4, s4
; %bb.55:
	v_and_b32_e32 v72, 0xffff, v81
	v_or_b32_e32 v82, 0x10000, v81
	s_delay_alu instid0(VALU_DEP_2) | instskip(NEXT) | instid1(VALU_DEP_2)
	v_cmp_eq_u32_e32 vcc_lo, 0, v72
	v_cndmask_b32_e32 v72, v82, v81, vcc_lo
; %bb.56:
	s_or_b32 exec_lo, exec_lo, s4
	v_and_b32_e32 v81, 0x7f800000, v83
	s_delay_alu instid0(VALU_DEP_1) | instskip(SKIP_1) | instid1(SALU_CYCLE_1)
	v_cmp_ne_u32_e32 vcc_lo, 0x7f800000, v81
                                        ; implicit-def: $vgpr81
	s_and_saveexec_b32 s4, vcc_lo
	s_xor_b32 s4, exec_lo, s4
; %bb.57:
	v_bfe_u32 v81, v83, 16, 1
	s_delay_alu instid0(VALU_DEP_1)
	v_add3_u32 v81, v83, v81, 0x7fff
                                        ; implicit-def: $vgpr83
; %bb.58:
	s_and_not1_saveexec_b32 s4, s4
; %bb.59:
	v_and_b32_e32 v81, 0xffff, v83
	v_or_b32_e32 v82, 0x10000, v83
	s_delay_alu instid0(VALU_DEP_2) | instskip(NEXT) | instid1(VALU_DEP_2)
	v_cmp_eq_u32_e32 vcc_lo, 0, v81
	v_cndmask_b32_e32 v81, v82, v83, vcc_lo
; %bb.60:
	s_or_b32 exec_lo, exec_lo, s4
	v_and_b32_e32 v82, 0x7f800000, v77
	s_delay_alu instid0(VALU_DEP_1) | instskip(SKIP_1) | instid1(SALU_CYCLE_1)
	v_cmp_ne_u32_e32 vcc_lo, 0x7f800000, v82
                                        ; implicit-def: $vgpr82
	s_and_saveexec_b32 s4, vcc_lo
	s_xor_b32 s4, exec_lo, s4
; %bb.61:
	v_bfe_u32 v82, v77, 16, 1
	s_delay_alu instid0(VALU_DEP_1)
	v_add3_u32 v82, v77, v82, 0x7fff
                                        ; implicit-def: $vgpr77
; %bb.62:
	s_and_not1_saveexec_b32 s4, s4
; %bb.63:
	v_and_b32_e32 v82, 0xffff, v77
	v_or_b32_e32 v83, 0x10000, v77
	s_delay_alu instid0(VALU_DEP_2) | instskip(NEXT) | instid1(VALU_DEP_2)
	v_cmp_eq_u32_e32 vcc_lo, 0, v82
	v_cndmask_b32_e32 v82, v83, v77, vcc_lo
; %bb.64:
	s_or_b32 exec_lo, exec_lo, s4
	v_and_b32_e32 v77, 0x7f800000, v78
	s_delay_alu instid0(VALU_DEP_1) | instskip(SKIP_1) | instid1(SALU_CYCLE_1)
	v_cmp_ne_u32_e32 vcc_lo, 0x7f800000, v77
                                        ; implicit-def: $vgpr77
	s_and_saveexec_b32 s4, vcc_lo
	s_xor_b32 s4, exec_lo, s4
; %bb.65:
	v_bfe_u32 v77, v78, 16, 1
	s_delay_alu instid0(VALU_DEP_1)
	v_add3_u32 v77, v78, v77, 0x7fff
                                        ; implicit-def: $vgpr78
; %bb.66:
	s_and_not1_saveexec_b32 s4, s4
; %bb.67:
	v_and_b32_e32 v77, 0xffff, v78
	v_or_b32_e32 v83, 0x10000, v78
	s_delay_alu instid0(VALU_DEP_2) | instskip(NEXT) | instid1(VALU_DEP_2)
	v_cmp_eq_u32_e32 vcc_lo, 0, v77
	v_cndmask_b32_e32 v77, v83, v78, vcc_lo
; %bb.68:
	s_or_b32 exec_lo, exec_lo, s4
	v_and_b32_e32 v78, 0x7f800000, v79
	s_delay_alu instid0(VALU_DEP_1) | instskip(SKIP_1) | instid1(SALU_CYCLE_1)
	v_cmp_ne_u32_e32 vcc_lo, 0x7f800000, v78
                                        ; implicit-def: $vgpr78
	s_and_saveexec_b32 s4, vcc_lo
	s_xor_b32 s4, exec_lo, s4
; %bb.69:
	v_bfe_u32 v78, v79, 16, 1
	s_delay_alu instid0(VALU_DEP_1)
	v_add3_u32 v78, v79, v78, 0x7fff
                                        ; implicit-def: $vgpr79
; %bb.70:
	s_and_not1_saveexec_b32 s4, s4
; %bb.71:
	v_and_b32_e32 v78, 0xffff, v79
	v_or_b32_e32 v83, 0x10000, v79
	s_delay_alu instid0(VALU_DEP_2) | instskip(NEXT) | instid1(VALU_DEP_2)
	v_cmp_eq_u32_e32 vcc_lo, 0, v78
	v_cndmask_b32_e32 v78, v83, v79, vcc_lo
; %bb.72:
	s_or_b32 exec_lo, exec_lo, s4
	v_and_b32_e32 v79, 0x7f800000, v70
	s_delay_alu instid0(VALU_DEP_1) | instskip(SKIP_1) | instid1(SALU_CYCLE_1)
	v_cmp_ne_u32_e32 vcc_lo, 0x7f800000, v79
                                        ; implicit-def: $vgpr79
	s_and_saveexec_b32 s4, vcc_lo
	s_xor_b32 s4, exec_lo, s4
; %bb.73:
	v_bfe_u32 v79, v70, 16, 1
	s_delay_alu instid0(VALU_DEP_1)
	v_add3_u32 v79, v70, v79, 0x7fff
                                        ; implicit-def: $vgpr70
; %bb.74:
	s_and_not1_saveexec_b32 s4, s4
; %bb.75:
	v_and_b32_e32 v79, 0xffff, v70
	v_or_b32_e32 v83, 0x10000, v70
	s_delay_alu instid0(VALU_DEP_2) | instskip(NEXT) | instid1(VALU_DEP_2)
	v_cmp_eq_u32_e32 vcc_lo, 0, v79
	v_cndmask_b32_e32 v79, v83, v70, vcc_lo
; %bb.76:
	s_or_b32 exec_lo, exec_lo, s4
	s_delay_alu instid0(VALU_DEP_1)
	v_perm_b32 v86, v79, v78, 0x7060302
	v_perm_b32 v85, v77, v82, 0x7060302
	;; [unrolled: 1-line block ×4, first 2 shown]
	v_lshl_or_b32 v82, v66, 11, v80
	ds_store_b128 v76, v[83:86] offset:1024
	s_waitcnt lgkmcnt(0)
	s_barrier
	buffer_gl0_inv
	ds_load_b128 v[69:72], v82
	ds_load_b128 v[83:86], v82 offset:16
	s_waitcnt lgkmcnt(1)
	v_lshrrev_b32_e32 v66, 16, v69
	s_waitcnt lgkmcnt(0)
	v_lshrrev_b32_e32 v91, 16, v83
	v_lshlrev_b32_e32 v78, 2, v74
	v_lshrrev_b32_e32 v95, 16, v70
	v_lshrrev_b32_e32 v98, 16, v84
	;; [unrolled: 1-line block ×4, first 2 shown]
	v_cmp_eq_u32_e32 vcc_lo, 1, v78
	v_lshrrev_b32_e32 v97, 16, v72
	v_lshrrev_b32_e32 v100, 16, v86
	v_cndmask_b32_e32 v87, v83, v91, vcc_lo
	v_or_b32_e32 v79, 1, v78
	v_cndmask_b32_e32 v81, v69, v66, vcc_lo
	v_cmp_eq_u32_e64 s5, 2, v78
	v_cmp_eq_u32_e64 s8, 3, v78
	;; [unrolled: 1-line block ×5, first 2 shown]
	v_cndmask_b32_e64 v81, v81, v70, s5
	v_cndmask_b32_e64 v87, v87, v84, s5
	v_cmp_eq_u32_e64 s9, 3, v79
	v_cndmask_b32_e64 v88, v69, v66, s4
	v_or_b32_e32 v77, 2, v78
	v_cndmask_b32_e64 v81, v81, v95, s8
	v_cndmask_b32_e64 v87, v87, v98, s8
	;; [unrolled: 1-line block ×4, first 2 shown]
	v_cmp_eq_u32_e64 s11, 5, v78
	v_cndmask_b32_e64 v81, v81, v71, s10
	v_cndmask_b32_e64 v87, v87, v85, s10
	v_cmp_eq_u32_e64 s12, 4, v79
	v_cndmask_b32_e64 v88, v88, v95, s9
	v_cmp_eq_u32_e64 s6, 1, v77
	v_cndmask_b32_e64 v89, v89, v84, s7
	v_cndmask_b32_e64 v81, v81, v96, s11
	v_cmp_eq_u32_e64 s13, 6, v78
	v_cndmask_b32_e64 v88, v88, v71, s12
	;; [unrolled: 3-line block ×3, first 2 shown]
	v_cndmask_b32_e64 v89, v89, v98, s9
	v_cndmask_b32_e64 v81, v81, v72, s13
	v_cmp_eq_u32_e64 s16, 7, v78
	v_cndmask_b32_e64 v88, v88, v96, s15
	v_cndmask_b32_e64 v87, v87, v86, s13
	v_cmp_eq_u32_e64 s17, 6, v79
	v_cmp_eq_u32_e64 s18, 2, v77
	v_cndmask_b32_e64 v89, v89, v85, s12
	v_cndmask_b32_e64 v101, v81, v97, s16
	;; [unrolled: 1-line block ×6, first 2 shown]
	v_cmp_eq_u32_e64 s19, 7, v79
	v_cmp_eq_u32_e64 s20, 3, v77
	;; [unrolled: 1-line block ×4, first 2 shown]
	v_cndmask_b32_e64 v87, v87, v84, s18
	v_cndmask_b32_e64 v103, v88, v97, s19
	;; [unrolled: 1-line block ×4, first 2 shown]
	v_or_b32_e32 v81, 3, v78
	v_cndmask_b32_e64 v93, v87, v98, s20
	v_cmp_eq_u32_e64 s25, 6, v77
	v_cndmask_b32_e64 v104, v88, v86, s17
	v_cndmask_b32_e64 v92, v89, v71, s21
	v_cmp_eq_u32_e64 s22, 1, v81
	ds_load_b128 v[87:90], v82 offset:1024
	v_cmp_eq_u32_e64 s24, 2, v81
	v_cmp_eq_u32_e64 s26, 3, v81
	v_cndmask_b32_e64 v105, v92, v96, s23
	v_cndmask_b32_e64 v66, v69, v66, s22
	;; [unrolled: 1-line block ×4, first 2 shown]
	ds_load_b128 v[91:94], v82 offset:1040
	v_cmp_eq_u32_e64 s27, 4, v81
	v_cndmask_b32_e64 v66, v66, v70, s24
	v_cmp_eq_u32_e64 s28, 7, v77
	v_cndmask_b32_e64 v70, v83, v84, s24
	v_cndmask_b32_e64 v84, v105, v72, s25
	v_cmp_eq_u32_e64 s29, 5, v81
	v_cndmask_b32_e64 v66, v66, v95, s26
	v_cmp_eq_u32_e64 s30, 6, v81
	v_cndmask_b32_e64 v70, v70, v98, s26
	v_cndmask_b32_e64 v69, v69, v99, s23
	;; [unrolled: 1-line block ×4, first 2 shown]
	s_waitcnt lgkmcnt(1)
	v_lshrrev_b32_e32 v95, 16, v87
	v_cndmask_b32_e64 v70, v70, v85, s27
	v_cndmask_b32_e64 v71, v84, v97, s28
	;; [unrolled: 1-line block ×4, first 2 shown]
	v_cndmask_b32_e32 v84, v87, v95, vcc_lo
	v_cndmask_b32_e64 v70, v70, v99, s29
	s_waitcnt lgkmcnt(0)
	v_lshrrev_b32_e32 v85, 16, v91
	v_lshrrev_b32_e32 v96, 16, v88
	v_cndmask_b32_e64 v98, v87, v95, s4
	v_cndmask_b32_e64 v84, v84, v88, s5
	v_cndmask_b32_e64 v70, v70, v86, s30
	v_cndmask_b32_e32 v99, v91, v85, vcc_lo
	v_cmp_eq_u32_e32 vcc_lo, 7, v81
	v_cndmask_b32_e64 v66, v66, v72, s30
	v_cndmask_b32_e64 v72, v84, v96, s8
	;; [unrolled: 1-line block ×3, first 2 shown]
	v_lshrrev_b32_e32 v98, 16, v92
	v_cndmask_b32_e32 v70, v70, v100, vcc_lo
	v_cndmask_b32_e64 v86, v99, v92, s5
	v_cndmask_b32_e64 v69, v69, v100, s28
	v_lshrrev_b32_e32 v100, 16, v93
	v_cndmask_b32_e64 v72, v72, v89, s10
	v_lshrrev_b32_e32 v99, 16, v89
	v_cndmask_b32_e64 v86, v86, v98, s8
	v_perm_b32 v71, v69, v71, 0x5040100
	v_cndmask_b32_e64 v84, v84, v96, s9
	s_delay_alu instid0(VALU_DEP_3) | instskip(NEXT) | instid1(VALU_DEP_2)
	v_cndmask_b32_e64 v86, v86, v93, s10
	v_cndmask_b32_e64 v84, v84, v89, s12
	s_delay_alu instid0(VALU_DEP_2) | instskip(NEXT) | instid1(VALU_DEP_1)
	v_cndmask_b32_e64 v86, v86, v100, s11
	v_cndmask_b32_e64 v69, v86, v94, s13
	;; [unrolled: 1-line block ×5, first 2 shown]
	s_delay_alu instid0(VALU_DEP_3) | instskip(NEXT) | instid1(VALU_DEP_3)
	v_cndmask_b32_e64 v86, v86, v88, s18
	v_cndmask_b32_e64 v87, v87, v88, s24
	s_delay_alu instid0(VALU_DEP_3) | instskip(NEXT) | instid1(VALU_DEP_3)
	v_cndmask_b32_e64 v88, v95, v92, s24
	v_cndmask_b32_e64 v86, v86, v96, s20
	;; [unrolled: 3-line block ×7, first 2 shown]
	s_delay_alu instid0(VALU_DEP_3) | instskip(SKIP_2) | instid1(VALU_DEP_2)
	v_cndmask_b32_e64 v88, v88, v94, s30
	v_cndmask_b32_e32 v66, v66, v97, vcc_lo
	v_cndmask_b32_e64 v97, v72, v99, s11
	v_perm_b32 v72, v70, v66, 0x5040100
	v_perm_b32 v70, v83, v103, 0x5040100
	v_cndmask_b32_e64 v103, v91, v85, s6
	v_cndmask_b32_e64 v85, v91, v85, s4
	;; [unrolled: 1-line block ×4, first 2 shown]
	v_lshrrev_b32_e32 v97, 16, v90
	v_cndmask_b32_e64 v91, v103, v92, s18
	v_cndmask_b32_e64 v85, v85, v92, s7
	;; [unrolled: 1-line block ×3, first 2 shown]
	s_mov_b32 s4, exec_lo
	v_cndmask_b32_e64 v83, v84, v97, s16
	v_cndmask_b32_e64 v91, v91, v98, s20
	;; [unrolled: 1-line block ×3, first 2 shown]
	v_lshrrev_b32_e32 v84, 16, v94
	v_cndmask_b32_e64 v66, v66, v97, s19
	v_cndmask_b32_e64 v90, v86, v97, s28
	;; [unrolled: 1-line block ×4, first 2 shown]
	v_dual_cndmask_b32 v86, v87, v97 :: v_dual_cndmask_b32 v87, v88, v84
	v_cndmask_b32_e64 v91, v69, v84, s16
	s_delay_alu instid0(VALU_DEP_4) | instskip(NEXT) | instid1(VALU_DEP_4)
	v_cndmask_b32_e64 v89, v89, v100, s23
	v_cndmask_b32_e64 v85, v85, v100, s15
	v_perm_b32 v69, v102, v101, 0x5040100
	v_perm_b32 v86, v87, v86, 0x5040100
	;; [unrolled: 1-line block ×3, first 2 shown]
	v_cndmask_b32_e64 v89, v89, v94, s25
	v_cndmask_b32_e64 v85, v85, v94, s17
	s_mul_i32 s9, s37, 9
	s_delay_alu instid0(VALU_DEP_2) | instskip(NEXT) | instid1(VALU_DEP_2)
	v_cndmask_b32_e64 v88, v89, v84, s28
	v_cndmask_b32_e64 v89, v85, v84, s19
	s_delay_alu instid0(VALU_DEP_2) | instskip(NEXT) | instid1(VALU_DEP_2)
	v_perm_b32 v85, v88, v90, 0x5040100
	v_perm_b32 v84, v89, v66, 0x5040100
	ds_store_b128 v76, v[69:72]
	ds_store_b128 v76, v[83:86] offset:1024
	v_cmpx_gt_u32_e32 9, v0
	s_cbranch_execz .LBB1394_78
; %bb.77:
	s_mul_i32 s5, s9, s34
	s_load_b128 s[16:19], s[0:1], 0x58
	v_add3_u32 v69, s5, s31, v65
	s_delay_alu instid0(VALU_DEP_1) | instskip(NEXT) | instid1(VALU_DEP_1)
	v_mad_u64_u32 v[65:66], null, v69, s36, s[14:15]
	v_ashrrev_i32_e32 v66, 31, v65
	s_delay_alu instid0(VALU_DEP_1) | instskip(SKIP_1) | instid1(VALU_DEP_1)
	v_lshlrev_b64 v[65:66], 2, v[65:66]
	s_waitcnt lgkmcnt(0)
	v_add_co_u32 v69, vcc_lo, s18, v65
	s_delay_alu instid0(VALU_DEP_2)
	v_add_co_ci_u32_e32 v70, vcc_lo, s19, v66, vcc_lo
	v_add_co_u32 v65, vcc_lo, s16, v65
	v_add_co_ci_u32_e32 v66, vcc_lo, s17, v66, vcc_lo
	global_store_b32 v[69:70], v67, off
	global_store_b32 v[65:66], v68, off
.LBB1394_78:
	s_or_b32 exec_lo, exec_lo, s4
	s_waitcnt lgkmcnt(0)
	s_waitcnt_vscnt null, 0x0
	s_barrier
	buffer_gl0_inv
	ds_load_b128 v[83:86], v80
	ds_load_b128 v[87:90], v80 offset:16
	ds_load_b128 v[95:98], v80 offset:2064
	;; [unrolled: 1-line block ×3, first 2 shown]
	v_mov_b32_e32 v65, 0
	ds_load_b128 v[103:106], v80 offset:4112
	ds_load_b128 v[99:102], v80 offset:4096
	;; [unrolled: 1-line block ×4, first 2 shown]
	v_mov_b32_e32 v66, v65
	v_mov_b32_e32 v67, v65
	;; [unrolled: 1-line block ×7, first 2 shown]
	s_waitcnt lgkmcnt(6)
	s_delay_alu instid0(VALU_DEP_1)
	v_wmma_f32_16x16x16_bf16 v[65:72], v[57:64], v[83:90], v[65:72]
	ds_load_b128 v[61:64], v80 offset:8208
	ds_load_b128 v[57:60], v80 offset:8192
	s_waitcnt lgkmcnt(6)
	v_wmma_f32_16x16x16_bf16 v[65:72], v[41:48], v[91:98], v[65:72]
	ds_load_b128 v[45:48], v80 offset:10256
	ds_load_b128 v[41:44], v80 offset:10240
	s_waitcnt lgkmcnt(6)
	;; [unrolled: 4-line block ×4, first 2 shown]
	v_wmma_f32_16x16x16_bf16 v[65:72], v[1:8], v[57:64], v[65:72]
	s_waitcnt lgkmcnt(4)
	s_delay_alu instid0(VALU_DEP_1) | instskip(SKIP_1) | instid1(VALU_DEP_1)
	v_wmma_f32_16x16x16_bf16 v[65:72], v[9:16], v[41:48], v[65:72]
	s_waitcnt lgkmcnt(2)
	v_wmma_f32_16x16x16_bf16 v[65:72], v[17:24], v[33:40], v[65:72]
	s_waitcnt lgkmcnt(0)
	s_delay_alu instid0(VALU_DEP_1) | instskip(NEXT) | instid1(VALU_DEP_1)
	v_wmma_f32_16x16x16_bf16 v[65:72], v[49:56], v[25:32], v[65:72]
	v_and_b32_e32 v1, 0x7f800000, v65
	s_delay_alu instid0(VALU_DEP_1) | instskip(SKIP_1) | instid1(SALU_CYCLE_1)
	v_cmp_ne_u32_e32 vcc_lo, 0x7f800000, v1
                                        ; implicit-def: $vgpr1
	s_and_saveexec_b32 s4, vcc_lo
	s_xor_b32 s4, exec_lo, s4
; %bb.79:
	v_bfe_u32 v1, v65, 16, 1
	s_delay_alu instid0(VALU_DEP_1)
	v_add3_u32 v1, v65, v1, 0x7fff
; %bb.80:
	s_and_not1_saveexec_b32 s4, s4
; %bb.81:
	v_and_b32_e32 v1, 0xffff, v65
	v_or_b32_e32 v2, 0x10000, v65
	s_delay_alu instid0(VALU_DEP_2) | instskip(NEXT) | instid1(VALU_DEP_2)
	v_cmp_eq_u32_e32 vcc_lo, 0, v1
	v_cndmask_b32_e32 v1, v2, v65, vcc_lo
; %bb.82:
	s_or_b32 exec_lo, exec_lo, s4
	v_and_b32_e32 v2, 0x7f800000, v66
	s_delay_alu instid0(VALU_DEP_1) | instskip(SKIP_1) | instid1(SALU_CYCLE_1)
	v_cmp_ne_u32_e32 vcc_lo, 0x7f800000, v2
                                        ; implicit-def: $vgpr2
	s_and_saveexec_b32 s4, vcc_lo
	s_xor_b32 s4, exec_lo, s4
; %bb.83:
	v_bfe_u32 v2, v66, 16, 1
	s_delay_alu instid0(VALU_DEP_1)
	v_add3_u32 v2, v66, v2, 0x7fff
; %bb.84:
	s_and_not1_saveexec_b32 s4, s4
; %bb.85:
	v_and_b32_e32 v2, 0xffff, v66
	v_or_b32_e32 v3, 0x10000, v66
	s_delay_alu instid0(VALU_DEP_2) | instskip(NEXT) | instid1(VALU_DEP_2)
	v_cmp_eq_u32_e32 vcc_lo, 0, v2
	v_cndmask_b32_e32 v2, v3, v66, vcc_lo
; %bb.86:
	s_or_b32 exec_lo, exec_lo, s4
	v_and_b32_e32 v3, 0x7f800000, v67
	s_delay_alu instid0(VALU_DEP_1) | instskip(SKIP_1) | instid1(SALU_CYCLE_1)
	v_cmp_ne_u32_e32 vcc_lo, 0x7f800000, v3
                                        ; implicit-def: $vgpr3
	s_and_saveexec_b32 s4, vcc_lo
	s_xor_b32 s4, exec_lo, s4
; %bb.87:
	v_bfe_u32 v3, v67, 16, 1
	s_delay_alu instid0(VALU_DEP_1)
	v_add3_u32 v3, v67, v3, 0x7fff
; %bb.88:
	s_and_not1_saveexec_b32 s4, s4
; %bb.89:
	v_and_b32_e32 v3, 0xffff, v67
	v_or_b32_e32 v4, 0x10000, v67
	s_delay_alu instid0(VALU_DEP_2) | instskip(NEXT) | instid1(VALU_DEP_2)
	v_cmp_eq_u32_e32 vcc_lo, 0, v3
	v_cndmask_b32_e32 v3, v4, v67, vcc_lo
; %bb.90:
	s_or_b32 exec_lo, exec_lo, s4
	v_and_b32_e32 v4, 0x7f800000, v68
	s_delay_alu instid0(VALU_DEP_1) | instskip(SKIP_1) | instid1(SALU_CYCLE_1)
	v_cmp_ne_u32_e32 vcc_lo, 0x7f800000, v4
                                        ; implicit-def: $vgpr4
	s_and_saveexec_b32 s4, vcc_lo
	s_xor_b32 s4, exec_lo, s4
; %bb.91:
	v_bfe_u32 v4, v68, 16, 1
	s_delay_alu instid0(VALU_DEP_1)
	v_add3_u32 v4, v68, v4, 0x7fff
; %bb.92:
	s_and_not1_saveexec_b32 s4, s4
; %bb.93:
	v_and_b32_e32 v4, 0xffff, v68
	v_or_b32_e32 v5, 0x10000, v68
	s_delay_alu instid0(VALU_DEP_2) | instskip(NEXT) | instid1(VALU_DEP_2)
	v_cmp_eq_u32_e32 vcc_lo, 0, v4
	v_cndmask_b32_e32 v4, v5, v68, vcc_lo
; %bb.94:
	s_or_b32 exec_lo, exec_lo, s4
	v_and_b32_e32 v5, 0x7f800000, v69
	s_delay_alu instid0(VALU_DEP_1) | instskip(SKIP_1) | instid1(SALU_CYCLE_1)
	v_cmp_ne_u32_e32 vcc_lo, 0x7f800000, v5
                                        ; implicit-def: $vgpr5
	s_and_saveexec_b32 s4, vcc_lo
	s_xor_b32 s4, exec_lo, s4
; %bb.95:
	v_bfe_u32 v5, v69, 16, 1
	s_delay_alu instid0(VALU_DEP_1)
	v_add3_u32 v5, v69, v5, 0x7fff
; %bb.96:
	s_and_not1_saveexec_b32 s4, s4
; %bb.97:
	v_and_b32_e32 v5, 0xffff, v69
	v_or_b32_e32 v6, 0x10000, v69
	s_delay_alu instid0(VALU_DEP_2) | instskip(NEXT) | instid1(VALU_DEP_2)
	v_cmp_eq_u32_e32 vcc_lo, 0, v5
	v_cndmask_b32_e32 v5, v6, v69, vcc_lo
; %bb.98:
	s_or_b32 exec_lo, exec_lo, s4
	v_and_b32_e32 v6, 0x7f800000, v70
	s_delay_alu instid0(VALU_DEP_1) | instskip(SKIP_1) | instid1(SALU_CYCLE_1)
	v_cmp_ne_u32_e32 vcc_lo, 0x7f800000, v6
                                        ; implicit-def: $vgpr6
	s_and_saveexec_b32 s4, vcc_lo
	s_xor_b32 s4, exec_lo, s4
; %bb.99:
	v_bfe_u32 v6, v70, 16, 1
	s_delay_alu instid0(VALU_DEP_1)
	v_add3_u32 v6, v70, v6, 0x7fff
; %bb.100:
	s_and_not1_saveexec_b32 s4, s4
; %bb.101:
	v_and_b32_e32 v6, 0xffff, v70
	v_or_b32_e32 v7, 0x10000, v70
	s_delay_alu instid0(VALU_DEP_2) | instskip(NEXT) | instid1(VALU_DEP_2)
	v_cmp_eq_u32_e32 vcc_lo, 0, v6
	v_cndmask_b32_e32 v6, v7, v70, vcc_lo
; %bb.102:
	s_or_b32 exec_lo, exec_lo, s4
	v_and_b32_e32 v7, 0x7f800000, v71
	s_delay_alu instid0(VALU_DEP_1) | instskip(SKIP_1) | instid1(SALU_CYCLE_1)
	v_cmp_ne_u32_e32 vcc_lo, 0x7f800000, v7
                                        ; implicit-def: $vgpr7
	s_and_saveexec_b32 s4, vcc_lo
	s_xor_b32 s4, exec_lo, s4
; %bb.103:
	v_bfe_u32 v7, v71, 16, 1
	s_delay_alu instid0(VALU_DEP_1)
	v_add3_u32 v7, v71, v7, 0x7fff
; %bb.104:
	s_and_not1_saveexec_b32 s4, s4
; %bb.105:
	v_and_b32_e32 v7, 0xffff, v71
	v_or_b32_e32 v8, 0x10000, v71
	s_delay_alu instid0(VALU_DEP_2) | instskip(NEXT) | instid1(VALU_DEP_2)
	v_cmp_eq_u32_e32 vcc_lo, 0, v7
	v_cndmask_b32_e32 v7, v8, v71, vcc_lo
; %bb.106:
	s_or_b32 exec_lo, exec_lo, s4
	v_and_b32_e32 v8, 0x7f800000, v72
	s_delay_alu instid0(VALU_DEP_1) | instskip(SKIP_1) | instid1(SALU_CYCLE_1)
	v_cmp_ne_u32_e32 vcc_lo, 0x7f800000, v8
                                        ; implicit-def: $vgpr8
	s_and_saveexec_b32 s4, vcc_lo
	s_xor_b32 s4, exec_lo, s4
; %bb.107:
	v_bfe_u32 v8, v72, 16, 1
	s_delay_alu instid0(VALU_DEP_1)
	v_add3_u32 v8, v72, v8, 0x7fff
                                        ; implicit-def: $vgpr65_vgpr66_vgpr67_vgpr68_vgpr69_vgpr70_vgpr71_vgpr72
; %bb.108:
	s_and_not1_saveexec_b32 s4, s4
; %bb.109:
	v_and_b32_e32 v8, 0xffff, v72
	v_or_b32_e32 v9, 0x10000, v72
	s_delay_alu instid0(VALU_DEP_2) | instskip(NEXT) | instid1(VALU_DEP_2)
	v_cmp_eq_u32_e32 vcc_lo, 0, v8
	v_cndmask_b32_e32 v8, v9, v72, vcc_lo
; %bb.110:
	s_or_b32 exec_lo, exec_lo, s4
	s_delay_alu instid0(VALU_DEP_1)
	v_perm_b32 v7, v8, v7, 0x7060302
	v_perm_b32 v6, v6, v5, 0x7060302
	;; [unrolled: 1-line block ×4, first 2 shown]
	s_barrier
	buffer_gl0_inv
	v_cmp_eq_u32_e32 vcc_lo, 1, v78
	ds_store_b128 v76, v[4:7]
	s_waitcnt lgkmcnt(0)
	s_barrier
	buffer_gl0_inv
	ds_load_b128 v[1:4], v82
	ds_load_b128 v[5:8], v82 offset:16
	v_cmp_eq_u32_e64 s4, 1, v79
	v_cmp_eq_u32_e64 s5, 2, v78
	;; [unrolled: 1-line block ×5, first 2 shown]
	s_waitcnt lgkmcnt(1)
	v_lshrrev_b32_e32 v9, 16, v1
	s_waitcnt lgkmcnt(0)
	v_lshrrev_b32_e32 v13, 16, v5
	v_lshrrev_b32_e32 v10, 16, v2
	;; [unrolled: 1-line block ×4, first 2 shown]
	v_cndmask_b32_e64 v19, v1, v9, s4
	v_cndmask_b32_e32 v18, v5, v13, vcc_lo
	v_cndmask_b32_e64 v20, v5, v13, s4
	v_cndmask_b32_e32 v17, v1, v9, vcc_lo
	v_cmp_eq_u32_e32 vcc_lo, 2, v79
	v_lshrrev_b32_e32 v15, 16, v7
	v_cmp_eq_u32_e64 s4, 1, v77
	v_lshrrev_b32_e32 v12, 16, v4
	v_lshrrev_b32_e32 v16, 16, v8
	v_cndmask_b32_e32 v20, v20, v6, vcc_lo
	v_cndmask_b32_e64 v17, v17, v2, s5
	v_cndmask_b32_e32 v19, v19, v2, vcc_lo
	v_cndmask_b32_e64 v18, v18, v6, s5
	v_cmp_eq_u32_e32 vcc_lo, 4, v78
	v_cmp_eq_u32_e64 s5, 3, v79
	v_cndmask_b32_e64 v17, v17, v10, s6
	v_cndmask_b32_e64 v21, v1, v9, s4
	;; [unrolled: 1-line block ×5, first 2 shown]
	v_cndmask_b32_e32 v17, v17, v3, vcc_lo
	v_cndmask_b32_e64 v20, v20, v14, s5
	v_cndmask_b32_e32 v18, v18, v7, vcc_lo
	v_cmp_eq_u32_e32 vcc_lo, 4, v79
	v_cmp_eq_u32_e64 s5, 5, v79
	v_cmp_eq_u32_e64 s4, 2, v81
	v_cndmask_b32_e64 v21, v21, v2, s8
	v_cmp_eq_u32_e64 s6, 5, v78
	v_cndmask_b32_e32 v19, v19, v3, vcc_lo
	v_cndmask_b32_e32 v20, v20, v7, vcc_lo
	v_cmp_eq_u32_e32 vcc_lo, 6, v79
	s_delay_alu instid0(VALU_DEP_4) | instskip(NEXT) | instid1(VALU_DEP_4)
	v_cndmask_b32_e64 v17, v17, v11, s6
	v_cndmask_b32_e64 v19, v19, v11, s5
	s_delay_alu instid0(VALU_DEP_4) | instskip(SKIP_1) | instid1(VALU_DEP_3)
	v_cndmask_b32_e64 v20, v20, v15, s5
	v_cmp_eq_u32_e64 s5, 1, v81
	v_cndmask_b32_e32 v19, v19, v4, vcc_lo
	v_cndmask_b32_e64 v18, v18, v15, s6
	s_delay_alu instid0(VALU_DEP_3)
	v_cndmask_b32_e64 v1, v1, v9, s5
	v_cndmask_b32_e64 v5, v5, v13, s5
	v_cmp_eq_u32_e64 s5, 3, v77
	v_cndmask_b32_e64 v13, v22, v6, s8
	v_cmp_eq_u32_e64 s8, 3, v81
	v_cndmask_b32_e64 v1, v1, v2, s4
	v_cndmask_b32_e64 v2, v5, v6, s4
	;; [unrolled: 1-line block ×3, first 2 shown]
	v_cmp_eq_u32_e64 s4, 4, v77
	v_cndmask_b32_e64 v6, v13, v14, s5
	v_cndmask_b32_e64 v1, v1, v10, s8
	v_cmp_eq_u32_e64 s5, 4, v81
	v_cndmask_b32_e64 v2, v2, v14, s8
	v_cndmask_b32_e64 v5, v9, v3, s4
	;; [unrolled: 3-line block ×3, first 2 shown]
	v_cndmask_b32_e64 v2, v2, v7, s5
	v_cmp_eq_u32_e64 s4, 5, v81
	v_cmp_eq_u32_e64 s6, 6, v78
	v_cndmask_b32_e64 v5, v5, v11, s8
	v_cmp_eq_u32_e64 s5, 6, v77
	v_cndmask_b32_e64 v3, v6, v15, s8
	v_cndmask_b32_e64 v1, v1, v11, s4
	v_cmp_eq_u32_e64 s8, 6, v81
	v_cndmask_b32_e64 v2, v2, v15, s4
	v_cndmask_b32_e64 v17, v17, v4, s6
	v_cndmask_b32_e64 v18, v18, v8, s6
	v_cmp_eq_u32_e64 s6, 7, v78
	v_cndmask_b32_e64 v5, v5, v4, s5
	;; [unrolled: 4-line block ×3, first 2 shown]
	v_cmp_eq_u32_e64 s5, 7, v77
	v_cndmask_b32_e32 v4, v20, v8, vcc_lo
	v_cndmask_b32_e64 v17, v17, v12, s6
	v_cndmask_b32_e64 v19, v19, v12, s7
	;; [unrolled: 1-line block ×8, first 2 shown]
	v_cmp_gt_u32_e32 vcc_lo, 32, v0
	v_perm_b32 v4, v2, v1, 0x5040100
	v_perm_b32 v3, v3, v5, 0x5040100
	v_perm_b32 v2, v6, v19, 0x5040100
	v_perm_b32 v1, v7, v17, 0x5040100
	s_and_b32 s2, vcc_lo, s2
	ds_store_b128 v76, v[1:4]
	s_waitcnt lgkmcnt(0)
	s_barrier
	buffer_gl0_inv
	s_and_saveexec_b32 s4, s2
	s_cbranch_execz .LBB1394_2
; %bb.111:
	s_load_b64 s[4:5], s[0:1], 0x68
	v_lshlrev_b32_e32 v0, 10, v0
	v_lshlrev_b32_e32 v1, 4, v75
	s_lshl_b32 s0, s36, 6
	v_add_nc_u32_e32 v2, s31, v74
	s_mul_i32 s1, s0, s34
	s_delay_alu instid0(SALU_CYCLE_1) | instskip(SKIP_1) | instid1(VALU_DEP_2)
	s_mul_i32 s6, s1, s9
	v_and_or_b32 v0, 0x3800, v0, v1
	v_mul_lo_u32 v1, v2, s0
	s_ashr_i32 s7, s6, 31
	v_add_nc_u32_e32 v3, 2, v2
	s_lshl_b64 s[6:7], s[6:7], 1
	v_add_nc_u32_e32 v4, 4, v2
	v_add_nc_u32_e32 v5, 6, v2
	v_lshl_or_b32 v15, v74, 6, v0
	v_mul_lo_u32 v3, v3, s0
	v_ashrrev_i32_e32 v2, 31, v1
	v_mul_lo_u32 v19, v4, s0
	v_mul_lo_u32 v21, v5, s0
	s_waitcnt lgkmcnt(0)
	s_add_u32 s1, s4, s6
	s_addc_u32 s2, s5, s7
	s_lshl_b32 s4, s14, 6
	v_lshlrev_b64 v[5:6], 1, v[1:2]
	s_ashr_i32 s5, s4, 31
	v_ashrrev_i32_e32 v4, 31, v3
	s_lshl_b64 s[4:5], s[4:5], 1
	v_ashrrev_i32_e32 v20, 31, v19
	s_add_u32 s1, s1, s4
	s_addc_u32 s2, s2, s5
	v_add_co_u32 v1, s1, s1, v73
	s_delay_alu instid0(VALU_DEP_1) | instskip(SKIP_1) | instid1(VALU_DEP_3)
	v_add_co_ci_u32_e64 v2, null, s2, 0, s1
	v_lshlrev_b64 v[25:26], 1, v[3:4]
	v_add_co_u32 v23, vcc_lo, v1, v5
	s_delay_alu instid0(VALU_DEP_3)
	v_add_co_ci_u32_e32 v24, vcc_lo, v2, v6, vcc_lo
	ds_load_b128 v[3:6], v15
	ds_load_b128 v[7:10], v15 offset:128
	ds_load_b128 v[11:14], v15 offset:256
	;; [unrolled: 1-line block ×3, first 2 shown]
	v_ashrrev_i32_e32 v22, 31, v21
	v_lshlrev_b64 v[19:20], 1, v[19:20]
	v_add_co_u32 v25, vcc_lo, v1, v25
	v_add_co_ci_u32_e32 v26, vcc_lo, v2, v26, vcc_lo
	s_delay_alu instid0(VALU_DEP_4) | instskip(NEXT) | instid1(VALU_DEP_4)
	v_lshlrev_b64 v[21:22], 1, v[21:22]
	v_add_co_u32 v19, vcc_lo, v1, v19
	v_add_co_ci_u32_e32 v20, vcc_lo, v2, v20, vcc_lo
	s_delay_alu instid0(VALU_DEP_3) | instskip(NEXT) | instid1(VALU_DEP_4)
	v_add_co_u32 v21, vcc_lo, v1, v21
	v_add_co_ci_u32_e32 v22, vcc_lo, v2, v22, vcc_lo
	s_waitcnt lgkmcnt(3)
	global_store_b128 v[23:24], v[3:6], off
	s_waitcnt lgkmcnt(2)
	global_store_b128 v[25:26], v[7:10], off
	;; [unrolled: 2-line block ×4, first 2 shown]
	s_and_b32 exec_lo, exec_lo, s3
	s_cbranch_execz .LBB1394_2
; %bb.112:
	ds_load_b128 v[3:6], v0 offset:512
	s_add_i32 s1, s31, 8
	s_delay_alu instid0(SALU_CYCLE_1) | instskip(NEXT) | instid1(SALU_CYCLE_1)
	s_mul_i32 s0, s1, s0
	s_ashr_i32 s1, s0, 31
	s_delay_alu instid0(SALU_CYCLE_1) | instskip(NEXT) | instid1(SALU_CYCLE_1)
	s_lshl_b64 s[0:1], s[0:1], 1
	v_add_co_u32 v0, vcc_lo, v1, s0
	v_add_co_ci_u32_e32 v1, vcc_lo, s1, v2, vcc_lo
	s_waitcnt lgkmcnt(0)
	global_store_b128 v[0:1], v[3:6], off
	s_nop 0
	s_sendmsg sendmsg(MSG_DEALLOC_VGPRS)
	s_endpgm
	.section	.rodata,"a",@progbits
	.p2align	6, 0x0
	.amdhsa_kernel _Z39paged_attention_ll4mi_QKV_mfma16_kernelI14__hip_bfloat16hLN4vllm18Fp8KVCacheDataTypeE1ES0_Li16ELi64ELi256ELb1ELi9EL8MFMAType1EEvPKT_PKT0_S9_ifPKiSB_SB_iPKfiiiPfSE_PS4_PT2_iSD_SD_
		.amdhsa_group_segment_fixed_size 17472
		.amdhsa_private_segment_fixed_size 0
		.amdhsa_kernarg_size 400
		.amdhsa_user_sgpr_count 13
		.amdhsa_user_sgpr_dispatch_ptr 0
		.amdhsa_user_sgpr_queue_ptr 0
		.amdhsa_user_sgpr_kernarg_segment_ptr 1
		.amdhsa_user_sgpr_dispatch_id 0
		.amdhsa_user_sgpr_private_segment_size 0
		.amdhsa_wavefront_size32 1
		.amdhsa_uses_dynamic_stack 0
		.amdhsa_enable_private_segment 0
		.amdhsa_system_sgpr_workgroup_id_x 1
		.amdhsa_system_sgpr_workgroup_id_y 1
		.amdhsa_system_sgpr_workgroup_id_z 1
		.amdhsa_system_sgpr_workgroup_info 0
		.amdhsa_system_vgpr_workitem_id 0
		.amdhsa_next_free_vgpr 124
		.amdhsa_next_free_sgpr 40
		.amdhsa_reserve_vcc 1
		.amdhsa_float_round_mode_32 0
		.amdhsa_float_round_mode_16_64 0
		.amdhsa_float_denorm_mode_32 3
		.amdhsa_float_denorm_mode_16_64 3
		.amdhsa_dx10_clamp 1
		.amdhsa_ieee_mode 1
		.amdhsa_fp16_overflow 0
		.amdhsa_workgroup_processor_mode 1
		.amdhsa_memory_ordered 1
		.amdhsa_forward_progress 0
		.amdhsa_shared_vgpr_count 0
		.amdhsa_exception_fp_ieee_invalid_op 0
		.amdhsa_exception_fp_denorm_src 0
		.amdhsa_exception_fp_ieee_div_zero 0
		.amdhsa_exception_fp_ieee_overflow 0
		.amdhsa_exception_fp_ieee_underflow 0
		.amdhsa_exception_fp_ieee_inexact 0
		.amdhsa_exception_int_div_zero 0
	.end_amdhsa_kernel
	.section	.text._Z39paged_attention_ll4mi_QKV_mfma16_kernelI14__hip_bfloat16hLN4vllm18Fp8KVCacheDataTypeE1ES0_Li16ELi64ELi256ELb1ELi9EL8MFMAType1EEvPKT_PKT0_S9_ifPKiSB_SB_iPKfiiiPfSE_PS4_PT2_iSD_SD_,"axG",@progbits,_Z39paged_attention_ll4mi_QKV_mfma16_kernelI14__hip_bfloat16hLN4vllm18Fp8KVCacheDataTypeE1ES0_Li16ELi64ELi256ELb1ELi9EL8MFMAType1EEvPKT_PKT0_S9_ifPKiSB_SB_iPKfiiiPfSE_PS4_PT2_iSD_SD_,comdat
.Lfunc_end1394:
	.size	_Z39paged_attention_ll4mi_QKV_mfma16_kernelI14__hip_bfloat16hLN4vllm18Fp8KVCacheDataTypeE1ES0_Li16ELi64ELi256ELb1ELi9EL8MFMAType1EEvPKT_PKT0_S9_ifPKiSB_SB_iPKfiiiPfSE_PS4_PT2_iSD_SD_, .Lfunc_end1394-_Z39paged_attention_ll4mi_QKV_mfma16_kernelI14__hip_bfloat16hLN4vllm18Fp8KVCacheDataTypeE1ES0_Li16ELi64ELi256ELb1ELi9EL8MFMAType1EEvPKT_PKT0_S9_ifPKiSB_SB_iPKfiiiPfSE_PS4_PT2_iSD_SD_
                                        ; -- End function
	.section	.AMDGPU.csdata,"",@progbits
; Kernel info:
; codeLenInByte = 8792
; NumSgprs: 42
; NumVgprs: 124
; ScratchSize: 0
; MemoryBound: 0
; FloatMode: 240
; IeeeMode: 1
; LDSByteSize: 17472 bytes/workgroup (compile time only)
; SGPRBlocks: 5
; VGPRBlocks: 15
; NumSGPRsForWavesPerEU: 42
; NumVGPRsForWavesPerEU: 124
; Occupancy: 10
; WaveLimiterHint : 1
; COMPUTE_PGM_RSRC2:SCRATCH_EN: 0
; COMPUTE_PGM_RSRC2:USER_SGPR: 13
; COMPUTE_PGM_RSRC2:TRAP_HANDLER: 0
; COMPUTE_PGM_RSRC2:TGID_X_EN: 1
; COMPUTE_PGM_RSRC2:TGID_Y_EN: 1
; COMPUTE_PGM_RSRC2:TGID_Z_EN: 1
; COMPUTE_PGM_RSRC2:TIDIG_COMP_CNT: 0
	.section	.text._Z39paged_attention_ll4mi_QKV_mfma16_kernelI14__hip_bfloat16hLN4vllm18Fp8KVCacheDataTypeE1ES0_Li16ELi64ELi256ELb1ELi10EL8MFMAType1EEvPKT_PKT0_S9_ifPKiSB_SB_iPKfiiiPfSE_PS4_PT2_iSD_SD_,"axG",@progbits,_Z39paged_attention_ll4mi_QKV_mfma16_kernelI14__hip_bfloat16hLN4vllm18Fp8KVCacheDataTypeE1ES0_Li16ELi64ELi256ELb1ELi10EL8MFMAType1EEvPKT_PKT0_S9_ifPKiSB_SB_iPKfiiiPfSE_PS4_PT2_iSD_SD_,comdat
	.protected	_Z39paged_attention_ll4mi_QKV_mfma16_kernelI14__hip_bfloat16hLN4vllm18Fp8KVCacheDataTypeE1ES0_Li16ELi64ELi256ELb1ELi10EL8MFMAType1EEvPKT_PKT0_S9_ifPKiSB_SB_iPKfiiiPfSE_PS4_PT2_iSD_SD_ ; -- Begin function _Z39paged_attention_ll4mi_QKV_mfma16_kernelI14__hip_bfloat16hLN4vllm18Fp8KVCacheDataTypeE1ES0_Li16ELi64ELi256ELb1ELi10EL8MFMAType1EEvPKT_PKT0_S9_ifPKiSB_SB_iPKfiiiPfSE_PS4_PT2_iSD_SD_
	.globl	_Z39paged_attention_ll4mi_QKV_mfma16_kernelI14__hip_bfloat16hLN4vllm18Fp8KVCacheDataTypeE1ES0_Li16ELi64ELi256ELb1ELi10EL8MFMAType1EEvPKT_PKT0_S9_ifPKiSB_SB_iPKfiiiPfSE_PS4_PT2_iSD_SD_
	.p2align	8
	.type	_Z39paged_attention_ll4mi_QKV_mfma16_kernelI14__hip_bfloat16hLN4vllm18Fp8KVCacheDataTypeE1ES0_Li16ELi64ELi256ELb1ELi10EL8MFMAType1EEvPKT_PKT0_S9_ifPKiSB_SB_iPKfiiiPfSE_PS4_PT2_iSD_SD_,@function
_Z39paged_attention_ll4mi_QKV_mfma16_kernelI14__hip_bfloat16hLN4vllm18Fp8KVCacheDataTypeE1ES0_Li16ELi64ELi256ELb1ELi10EL8MFMAType1EEvPKT_PKT0_S9_ifPKiSB_SB_iPKfiiiPfSE_PS4_PT2_iSD_SD_: ; @_Z39paged_attention_ll4mi_QKV_mfma16_kernelI14__hip_bfloat16hLN4vllm18Fp8KVCacheDataTypeE1ES0_Li16ELi64ELi256ELb1ELi10EL8MFMAType1EEvPKT_PKT0_S9_ifPKiSB_SB_iPKfiiiPfSE_PS4_PT2_iSD_SD_
; %bb.0:
	s_load_b64 s[2:3], s[0:1], 0x30
	s_mov_b32 s30, s13
	s_waitcnt lgkmcnt(0)
	s_cmp_lg_u64 s[2:3], 0
	s_cselect_b32 s8, -1, 0
	s_ashr_i32 s31, s13, 31
	s_cmp_eq_u64 s[2:3], 0
	s_cbranch_scc1 .LBB1395_3
; %bb.1:
	s_lshl_b64 s[4:5], s[30:31], 2
	s_delay_alu instid0(SALU_CYCLE_1) | instskip(SKIP_4) | instid1(SALU_CYCLE_1)
	s_add_u32 s4, s2, s4
	s_addc_u32 s5, s3, s5
	s_load_b64 s[4:5], s[4:5], 0x0
	s_waitcnt lgkmcnt(0)
	s_sub_i32 s4, s5, s4
	s_cmp_eq_u32 s4, 1
	s_cselect_b32 s4, -1, 0
	s_delay_alu instid0(SALU_CYCLE_1)
	s_and_not1_b32 vcc_lo, exec_lo, s4
	s_cbranch_vccz .LBB1395_4
.LBB1395_2:
	s_endpgm
.LBB1395_3:
.LBB1395_4:
	s_load_b64 s[4:5], s[0:1], 0x28
	s_lshl_b64 s[6:7], s[30:31], 2
	s_waitcnt lgkmcnt(0)
	s_add_u32 s4, s4, s6
	s_addc_u32 s5, s5, s7
	s_lshl_b32 s12, s14, 8
	s_load_b32 s24, s[4:5], 0x0
	s_waitcnt lgkmcnt(0)
	s_cmp_ge_i32 s12, s24
	s_cbranch_scc1 .LBB1395_2
; %bb.5:
	s_clause 0x1
	s_load_b128 s[20:23], s[0:1], 0x8
	s_load_b64 s[4:5], s[0:1], 0x20
	s_and_not1_b32 vcc_lo, exec_lo, s8
	s_cbranch_vccnz .LBB1395_7
; %bb.6:
	s_add_u32 s2, s2, s6
	s_addc_u32 s3, s3, s7
	s_load_b32 s3, s[2:3], 0x0
	s_branch .LBB1395_8
.LBB1395_7:
	s_mov_b32 s3, s30
.LBB1395_8:
	s_load_b128 s[16:19], s[0:1], 0x48
	v_and_b32_e32 v65, 15, v0
	v_cmp_gt_u32_e32 vcc_lo, 0xa0, v0
	v_lshrrev_b32_e32 v66, 5, v0
	v_and_b32_e32 v67, 31, v0
	v_and_b32_e32 v75, 1, v0
	v_lshlrev_b32_e32 v1, 3, v65
	v_cmp_gt_u32_e64 s2, 8, v65
	v_bfe_u32 v74, v0, 4, 1
	s_mul_i32 s31, s15, 10
	s_delay_alu instid0(VALU_DEP_3) | instskip(NEXT) | instid1(VALU_DEP_3)
	v_lshlrev_b32_e32 v73, 1, v1
	s_and_b32 s7, vcc_lo, s2
	s_delay_alu instid0(SALU_CYCLE_1)
	s_and_saveexec_b32 s6, s7
	s_cbranch_execz .LBB1395_10
; %bb.9:
	s_load_b64 s[8:9], s[0:1], 0x0
	v_lshl_or_b32 v5, v66, 1, v74
	s_waitcnt lgkmcnt(0)
	s_mul_hi_i32 s11, s3, s16
	s_mul_i32 s10, s3, s16
	v_lshlrev_b32_e32 v6, 10, v65
	s_lshl_b64 s[10:11], s[10:11], 1
	v_add_lshl_u32 v1, v5, s31, 6
	v_lshlrev_b32_e32 v5, 6, v5
	v_lshlrev_b32_e32 v7, 10, v75
	v_and_b32_e32 v6, 0x3800, v6
	s_delay_alu instid0(VALU_DEP_4) | instskip(NEXT) | instid1(VALU_DEP_2)
	v_ashrrev_i32_e32 v2, 31, v1
	v_or3_b32 v5, v6, v7, v5
	s_delay_alu instid0(VALU_DEP_2) | instskip(SKIP_2) | instid1(VALU_DEP_1)
	v_lshlrev_b64 v[1:2], 1, v[1:2]
	s_add_u32 s3, s8, s10
	s_addc_u32 s7, s9, s11
	v_add_co_u32 v1, vcc_lo, s3, v1
	s_delay_alu instid0(VALU_DEP_2) | instskip(NEXT) | instid1(VALU_DEP_2)
	v_add_co_ci_u32_e32 v2, vcc_lo, s7, v2, vcc_lo
	v_add_co_u32 v1, vcc_lo, v1, v73
	s_delay_alu instid0(VALU_DEP_2)
	v_add_co_ci_u32_e32 v2, vcc_lo, 0, v2, vcc_lo
	global_load_b128 v[1:4], v[1:2], off
	s_waitcnt vmcnt(0)
	ds_store_b128 v5, v[1:4]
.LBB1395_10:
	s_or_b32 exec_lo, exec_lo, s6
	v_and_b32_e32 v1, 0xef, v0
	s_waitcnt lgkmcnt(0)
	s_add_i32 s3, s24, 15
	s_clause 0x1
	s_load_b32 s6, s[0:1], 0x38
	s_load_b32 s19, s[0:1], 0x1c
	s_ashr_i32 s7, s3, 31
	v_add_nc_u32_e32 v1, s12, v1
	s_lshr_b32 s7, s7, 28
	s_waitcnt lgkmcnt(0)
	s_add_i32 s3, s3, s7
	s_barrier
	v_ashrrev_i32_e32 v2, 31, v1
	v_or_b32_e32 v3, 16, v1
	s_ashr_i32 s3, s3, 4
	v_cmp_gt_i32_e32 vcc_lo, s24, v1
	s_add_i32 s3, s3, -1
	v_lshrrev_b32_e32 v2, 28, v2
	buffer_gl0_inv
	s_mul_i32 s27, s15, s18
	v_add_nc_u32_e32 v4, v1, v2
	s_mul_i32 s6, s30, s6
	s_delay_alu instid0(SALU_CYCLE_1) | instskip(NEXT) | instid1(VALU_DEP_1)
	s_ashr_i32 s7, s6, 31
	v_ashrrev_i32_e32 v4, 4, v4
	v_add_nc_u32_e32 v2, v3, v2
	s_lshl_b64 s[6:7], s[6:7], 2
	s_delay_alu instid0(SALU_CYCLE_1) | instskip(NEXT) | instid1(VALU_DEP_2)
	s_add_u32 s26, s4, s6
	v_cndmask_b32_e32 v1, s3, v4, vcc_lo
	s_delay_alu instid0(VALU_DEP_2)
	v_ashrrev_i32_e32 v2, 4, v2
	v_cmp_gt_i32_e32 vcc_lo, s24, v3
	s_addc_u32 s25, s5, s7
	s_ashr_i32 s28, s27, 31
	s_add_u32 s13, s20, s27
	s_addc_u32 s15, s21, s28
	v_cndmask_b32_e32 v3, s3, v2, vcc_lo
	v_ashrrev_i32_e32 v2, 31, v1
	s_lshl_b32 s4, s14, 4
	s_delay_alu instid0(SALU_CYCLE_1) | instskip(NEXT) | instid1(VALU_DEP_2)
	s_ashr_i32 s5, s4, 31
	v_ashrrev_i32_e32 v4, 31, v3
	s_delay_alu instid0(VALU_DEP_2) | instskip(SKIP_1) | instid1(SALU_CYCLE_1)
	v_lshlrev_b64 v[1:2], 2, v[1:2]
	s_lshl_b64 s[4:5], s[4:5], 2
	s_add_u32 s4, s26, s4
	s_delay_alu instid0(VALU_DEP_2) | instskip(SKIP_1) | instid1(VALU_DEP_2)
	v_lshlrev_b64 v[3:4], 2, v[3:4]
	s_addc_u32 s5, s25, s5
	v_add_co_u32 v1, vcc_lo, s26, v1
	v_add_co_ci_u32_e32 v2, vcc_lo, s25, v2, vcc_lo
	s_delay_alu instid0(VALU_DEP_3) | instskip(NEXT) | instid1(VALU_DEP_4)
	v_add_co_u32 v3, vcc_lo, s26, v3
	v_add_co_ci_u32_e32 v4, vcc_lo, s25, v4, vcc_lo
	s_clause 0x1
	global_load_b32 v5, v[1:2], off
	global_load_b32 v7, v[3:4], off
	s_or_b32 s6, s12, 32
	v_lshlrev_b32_e32 v1, 4, v0
	s_ashr_i32 s7, s6, 4
	s_cmp_lt_i32 s6, s24
	v_cmp_gt_u32_e32 vcc_lo, 10, v65
	s_cselect_b32 s6, s7, s3
	v_and_b32_e32 v1, 0xf0, v1
	s_ashr_i32 s7, s6, 31
	s_delay_alu instid0(SALU_CYCLE_1) | instskip(NEXT) | instid1(SALU_CYCLE_1)
	s_lshl_b64 s[6:7], s[6:7], 2
	s_add_u32 s6, s26, s6
	s_addc_u32 s7, s25, s7
	s_or_b32 s8, s12, 64
	v_add_co_u32 v1, s13, s13, v1
	s_ashr_i32 s9, s8, 4
	s_cmp_lt_i32 s8, s24
	v_add_co_ci_u32_e64 v2, null, s15, 0, s13
	s_cselect_b32 s8, s9, s3
	s_delay_alu instid0(SALU_CYCLE_1) | instskip(NEXT) | instid1(SALU_CYCLE_1)
	s_ashr_i32 s9, s8, 31
	s_lshl_b64 s[8:9], s[8:9], 2
	s_delay_alu instid0(SALU_CYCLE_1) | instskip(SKIP_2) | instid1(SALU_CYCLE_1)
	s_add_u32 s8, s26, s8
	s_addc_u32 s9, s25, s9
	s_or_b32 s10, s12, 0x60
	s_ashr_i32 s11, s10, 4
	s_cmp_lt_i32 s10, s24
	s_cselect_b32 s10, s11, s3
	s_delay_alu instid0(SALU_CYCLE_1) | instskip(NEXT) | instid1(SALU_CYCLE_1)
	s_ashr_i32 s11, s10, 31
	s_lshl_b64 s[10:11], s[10:11], 2
	s_delay_alu instid0(SALU_CYCLE_1) | instskip(SKIP_2) | instid1(SALU_CYCLE_1)
	s_add_u32 s10, s26, s10
	s_addc_u32 s11, s25, s11
	s_or_b32 s16, s12, 0x80
	s_ashr_i32 s18, s16, 4
	s_cmp_lt_i32 s16, s24
	;; [unrolled: 10-line block ×3, first 2 shown]
	s_cselect_b32 s20, s18, s3
	s_delay_alu instid0(SALU_CYCLE_1) | instskip(NEXT) | instid1(SALU_CYCLE_1)
	s_ashr_i32 s21, s20, 31
	s_lshl_b64 s[20:21], s[20:21], 2
	s_delay_alu instid0(SALU_CYCLE_1)
	s_add_u32 s36, s26, s20
	s_addc_u32 s37, s25, s21
	s_clause 0x5
	s_load_b32 s21, s[4:5], 0x0
	s_load_b32 s13, s[6:7], 0x0
	;; [unrolled: 1-line block ×6, first 2 shown]
	s_or_b32 s8, s12, 0xc0
	s_mov_b32 s4, 0
	s_ashr_i32 s9, s8, 4
	s_cmp_lt_i32 s8, s24
	s_mov_b32 s11, s4
	s_cselect_b32 s34, s9, s3
	s_mov_b32 s5, s4
	s_ashr_i32 s35, s34, 31
	s_mov_b32 s6, s4
	s_lshl_b64 s[34:35], s[34:35], 2
	s_mov_b32 s7, s4
	s_add_u32 s34, s26, s34
	s_addc_u32 s35, s25, s35
	s_or_b32 s29, s12, 0xe0
	s_mov_b32 s8, s4
	s_ashr_i32 s33, s29, 4
	s_mov_b32 s9, s4
	s_mov_b32 s10, s4
	s_cmp_lt_i32 s29, s24
	v_dual_mov_b32 v107, s11 :: v_dual_mov_b32 v100, s4
	v_mov_b32_e32 v106, s10
	v_dual_mov_b32 v104, s8 :: v_dual_mov_b32 v103, s7
	v_dual_mov_b32 v102, s6 :: v_dual_mov_b32 v101, s5
	s_waitcnt vmcnt(1)
	v_mad_i64_i32 v[3:4], null, v5, s17, v[1:2]
	s_waitcnt vmcnt(0)
	v_mad_i64_i32 v[5:6], null, v7, s17, v[1:2]
	v_add_nc_u32_e32 v1, -10, v65
	v_lshlrev_b32_e32 v2, 4, v65
	s_clause 0x7
	global_load_b128 v[49:52], v[3:4], off
	global_load_b128 v[53:56], v[3:4], off offset:256
	global_load_b128 v[76:79], v[5:6], off
	global_load_b128 v[80:83], v[5:6], off offset:256
	global_load_b128 v[84:87], v[3:4], off offset:512
	;; [unrolled: 1-line block ×5, first 2 shown]
	v_cndmask_b32_e32 v1, v1, v65, vcc_lo
	v_mov_b32_e32 v105, s9
	s_cselect_b32 s4, s33, s3
	v_lshl_or_b32 v2, v66, 8, v2
	s_ashr_i32 s5, s4, 31
	v_lshlrev_b32_e32 v70, 6, v1
	s_lshl_b64 s[4:5], s[4:5], 2
	s_load_b32 s3, s[34:35], 0x0
	s_add_u32 s4, s26, s4
	s_addc_u32 s5, s25, s5
	ds_load_b128 v[108:111], v70
	ds_load_b128 v[112:115], v70 offset:1024
	s_load_b32 s4, s[4:5], 0x0
	s_add_u32 s6, s22, s27
	s_addc_u32 s7, s23, s28
	v_add_co_u32 v9, s6, s6, v2
	s_delay_alu instid0(VALU_DEP_1) | instskip(SKIP_1) | instid1(VALU_DEP_1)
	v_add_co_ci_u32_e64 v10, null, s7, 0, s6
	s_waitcnt lgkmcnt(0)
	v_mad_i64_i32 v[1:2], null, s21, s17, v[9:10]
	v_mad_i64_i32 v[3:4], null, s13, s17, v[9:10]
	;; [unrolled: 1-line block ×7, first 2 shown]
	s_clause 0x9
	global_load_b128 v[57:60], v[1:2], off
	global_load_b128 v[61:64], v[1:2], off offset:16
	global_load_b128 v[41:44], v[3:4], off
	global_load_b128 v[45:48], v[3:4], off offset:16
	;; [unrolled: 2-line block ×5, first 2 shown]
	v_mad_i64_i32 v[68:69], null, s4, s17, v[9:10]
	s_clause 0x3
	global_load_b128 v[9:12], v[13:14], off
	global_load_b128 v[13:16], v[13:14], off offset:16
	global_load_b128 v[17:20], v[21:22], off
	global_load_b128 v[21:24], v[21:22], off offset:16
	s_waitcnt vmcnt(20)
	v_wmma_f32_16x16x16_bf16 v[116:123], v[49:56], v[108:115], v[100:107]
	s_clause 0x1
	global_load_b128 v[49:52], v[68:69], off
	global_load_b128 v[53:56], v[68:69], off offset:16
	v_and_b32_e32 v68, 0xe0, v0
	v_mbcnt_lo_u32_b32 v69, -1, 0
	s_delay_alu instid0(VALU_DEP_2)
	v_add_nc_u32_e32 v68, s12, v68
	s_waitcnt vmcnt(20)
	v_wmma_f32_16x16x16_bf16 v[100:107], v[76:83], v[108:115], v[100:107]
	ds_load_b128 v[76:79], v70 offset:2048
	ds_load_b128 v[80:83], v70 offset:3072
	v_xor_b32_e32 v70, 16, v69
	s_waitcnt vmcnt(0) lgkmcnt(0)
	v_or_b32_e32 v68, v68, v74
	s_barrier
	buffer_gl0_inv
	v_cmp_gt_i32_e32 vcc_lo, 32, v70
	v_or_b32_e32 v71, 4, v68
	v_or_b32_e32 v72, 6, v68
	v_cmp_gt_i32_e64 s3, s24, v68
	v_or_b32_e32 v108, 8, v68
	v_or_b32_e32 v109, 10, v68
	v_cmp_gt_i32_e64 s4, s24, v71
	v_cmp_gt_i32_e64 s5, s24, v72
	s_delay_alu instid0(VALU_DEP_4) | instskip(NEXT) | instid1(VALU_DEP_4)
	v_cmp_gt_i32_e64 s6, s24, v108
	v_cmp_gt_i32_e64 s7, s24, v109
	v_wmma_f32_16x16x16_bf16 v[116:123], v[84:91], v[76:83], v[116:123]
	v_cndmask_b32_e32 v69, v69, v70, vcc_lo
	v_or_b32_e32 v70, 2, v68
	v_wmma_f32_16x16x16_bf16 v[100:107], v[92:99], v[76:83], v[100:107]
	v_or_b32_e32 v89, 22, v68
	v_dual_mul_f32 v82, s19, v119 :: v_dual_mul_f32 v79, s19, v122
	v_dual_mul_f32 v92, s19, v117 :: v_dual_mul_f32 v93, s19, v116
	s_delay_alu instid0(VALU_DEP_4) | instskip(SKIP_2) | instid1(VALU_DEP_4)
	v_mul_f32_e32 v98, s19, v103
	v_cmp_gt_i32_e32 vcc_lo, s24, v70
	v_dual_mul_f32 v83, s19, v118 :: v_dual_mul_f32 v96, s19, v105
	v_cndmask_b32_e64 v93, 0xff7fffff, v93, s3
	v_or_b32_e32 v84, 12, v68
	v_cndmask_b32_e32 v92, 0xff7fffff, v92, vcc_lo
	v_or_b32_e32 v85, 14, v68
	v_dual_mul_f32 v80, s19, v121 :: v_dual_mul_f32 v81, s19, v120
	v_mul_f32_e32 v94, s19, v107
	v_cndmask_b32_e64 v71, 0xff7fffff, v83, s4
	v_cndmask_b32_e64 v72, 0xff7fffff, v82, s5
	v_cmp_gt_i32_e64 s13, s24, v89
	v_lshlrev_b32_e32 v89, 2, v69
	v_max3_f32 v82, v93, 0xff7fffff, v92
	v_or_b32_e32 v86, 16, v68
	v_or_b32_e32 v87, 18, v68
	v_mul_f32_e32 v78, s19, v123
	v_cndmask_b32_e64 v81, 0xff7fffff, v81, s6
	v_cndmask_b32_e64 v80, 0xff7fffff, v80, s7
	v_max3_f32 v71, v82, v71, v72
	v_cmp_gt_i32_e64 s8, s24, v84
	v_cmp_gt_i32_e64 s9, s24, v85
	v_or_b32_e32 v88, 20, v68
	v_or_b32_e32 v90, 24, v68
	v_or_b32_e32 v91, 26, v68
	v_or_b32_e32 v76, 28, v68
	v_or_b32_e32 v77, 30, v68
	v_dual_mul_f32 v95, s19, v106 :: v_dual_mul_f32 v70, s19, v101
	v_dual_mul_f32 v99, s19, v102 :: v_dual_mul_f32 v68, s19, v100
	v_cndmask_b32_e64 v72, 0xff7fffff, v79, s8
	v_cndmask_b32_e64 v78, 0xff7fffff, v78, s9
	v_max3_f32 v71, v71, v81, v80
	v_cmp_gt_i32_e64 s10, s24, v86
	v_cmp_gt_i32_e64 s11, s24, v87
	;; [unrolled: 1-line block ×3, first 2 shown]
	v_mul_f32_e32 v97, s19, v104
	v_max3_f32 v71, v71, v72, v78
	v_cndmask_b32_e64 v68, 0xff7fffff, v68, s10
	v_cndmask_b32_e64 v70, 0xff7fffff, v70, s11
	;; [unrolled: 1-line block ×4, first 2 shown]
	v_cmp_gt_i32_e64 s15, s24, v90
	v_cmp_gt_i32_e64 s16, s24, v91
	v_max3_f32 v68, v71, v68, v70
	v_cmp_gt_i32_e64 s17, s24, v76
	v_cmp_gt_i32_e64 s18, s24, v77
	v_cndmask_b32_e64 v70, 0xff7fffff, v97, s15
	v_cndmask_b32_e64 v71, 0xff7fffff, v96, s16
	v_max3_f32 v68, v68, v72, v78
	v_cndmask_b32_e64 v72, 0xff7fffff, v95, s17
	v_cndmask_b32_e64 v76, 0xff7fffff, v94, s18
	s_delay_alu instid0(VALU_DEP_3) | instskip(NEXT) | instid1(VALU_DEP_1)
	v_max3_f32 v68, v68, v70, v71
	v_max3_f32 v68, v68, v72, v76
	ds_bpermute_b32 v69, v89, v68
	s_waitcnt lgkmcnt(0)
	v_max_f32_e32 v69, v69, v69
	s_delay_alu instid0(VALU_DEP_1) | instskip(NEXT) | instid1(VALU_DEP_1)
	v_max_f32_e32 v68, v68, v69
	v_fma_f32 v69, s19, v116, -v68
	v_fma_f32 v70, s19, v117, -v68
	;; [unrolled: 1-line block ×5, first 2 shown]
	s_delay_alu instid0(VALU_DEP_4) | instskip(NEXT) | instid1(VALU_DEP_4)
	v_dual_mul_f32 v69, 0x3fb8aa3b, v69 :: v_dual_mul_f32 v70, 0x3fb8aa3b, v70
	v_mul_f32_e32 v72, 0x3fb8aa3b, v72
	v_fma_f32 v78, s19, v122, -v68
	s_delay_alu instid0(VALU_DEP_4) | instskip(NEXT) | instid1(VALU_DEP_4)
	v_mul_f32_e32 v77, 0x3fb8aa3b, v76
	v_exp_f32_e32 v69, v69
	v_exp_f32_e32 v70, v70
	v_mul_f32_e32 v71, 0x3fb8aa3b, v71
	v_exp_f32_e32 v72, v72
	v_mul_f32_e32 v78, 0x3fb8aa3b, v78
	v_exp_f32_e32 v77, v77
	v_fma_f32 v81, s19, v105, -v68
	s_delay_alu instid0(VALU_DEP_2)
	v_exp_f32_e32 v78, v78
	v_cndmask_b32_e64 v80, 0, v69, s3
	v_cndmask_b32_e32 v76, 0, v70, vcc_lo
	v_exp_f32_e32 v71, v71
	v_fma_f32 v69, s19, v121, -v68
	v_cndmask_b32_e64 v85, 0, v72, s5
	v_add_f32_e32 v70, 0, v80
	s_delay_alu instid0(TRANS32_DEP_3)
	v_cndmask_b32_e64 v86, 0, v77, s6
	v_fma_f32 v77, s19, v101, -v68
	v_mul_f32_e32 v69, 0x3fb8aa3b, v69
	v_fma_f32 v72, s19, v100, -v68
	v_cndmask_b32_e64 v84, 0, v78, s8
	v_fma_f32 v78, s19, v103, -v68
	v_cndmask_b32_e64 v83, 0, v71, s4
	v_fma_f32 v71, s19, v123, -v68
	v_add_f32_e32 v70, v70, v76
	v_exp_f32_e32 v69, v69
	v_mul_f32_e32 v77, 0x3fb8aa3b, v77
	v_mul_f32_e32 v81, 0x3fb8aa3b, v81
	;; [unrolled: 1-line block ×3, first 2 shown]
	v_add_f32_e32 v70, v70, v83
	s_mov_b32 s3, exec_lo
	v_exp_f32_e32 v77, v77
	v_exp_f32_e32 v81, v81
	;; [unrolled: 1-line block ×3, first 2 shown]
	v_cndmask_b32_e64 v87, 0, v69, s7
	v_add_f32_e32 v70, v70, v85
	s_delay_alu instid0(VALU_DEP_1) | instskip(SKIP_1) | instid1(VALU_DEP_2)
	v_dual_mul_f32 v72, 0x3fb8aa3b, v72 :: v_dual_add_f32 v69, v70, v86
	v_fma_f32 v70, s19, v102, -v68
	v_exp_f32_e32 v72, v72
	s_waitcnt_depctr 0xfff
	v_cndmask_b32_e64 v88, 0, v71, s9
	v_fma_f32 v71, s19, v104, -v68
	v_dual_add_f32 v69, v69, v87 :: v_dual_mul_f32 v70, 0x3fb8aa3b, v70
	s_delay_alu instid0(VALU_DEP_2) | instskip(NEXT) | instid1(VALU_DEP_2)
	v_dual_mul_f32 v78, 0x3fb8aa3b, v78 :: v_dual_mul_f32 v71, 0x3fb8aa3b, v71
	v_add_f32_e32 v69, v69, v84
	s_delay_alu instid0(VALU_DEP_3) | instskip(SKIP_1) | instid1(VALU_DEP_3)
	v_exp_f32_e32 v79, v70
	v_cndmask_b32_e64 v70, 0, v72, s10
	v_exp_f32_e32 v78, v78
	v_exp_f32_e32 v82, v71
	v_add_f32_e32 v72, v69, v88
	v_cndmask_b32_e64 v69, 0, v77, s11
	v_fma_f32 v77, s19, v106, -v68
	s_delay_alu instid0(VALU_DEP_3) | instskip(NEXT) | instid1(TRANS32_DEP_3)
	v_add_f32_e32 v72, v72, v70
	v_cndmask_b32_e64 v71, 0, v79, s12
	s_delay_alu instid0(VALU_DEP_3) | instskip(NEXT) | instid1(VALU_DEP_3)
	v_mul_f32_e32 v77, 0x3fb8aa3b, v77
	v_add_f32_e32 v79, v72, v69
	s_delay_alu instid0(TRANS32_DEP_2) | instskip(NEXT) | instid1(VALU_DEP_3)
	v_cndmask_b32_e64 v72, 0, v78, s13
	v_exp_f32_e32 v90, v77
	v_cndmask_b32_e64 v77, 0, v82, s15
	s_delay_alu instid0(VALU_DEP_3) | instskip(SKIP_1) | instid1(VALU_DEP_1)
	v_add_f32_e32 v78, v79, v71
	v_fma_f32 v79, s19, v107, -v68
	v_dual_add_f32 v82, v78, v72 :: v_dual_mul_f32 v79, 0x3fb8aa3b, v79
	v_cndmask_b32_e64 v78, 0, v81, s16
	s_delay_alu instid0(VALU_DEP_2) | instskip(NEXT) | instid1(VALU_DEP_3)
	v_add_f32_e32 v81, v82, v77
	v_exp_f32_e32 v82, v79
	s_delay_alu instid0(TRANS32_DEP_2) | instskip(NEXT) | instid1(VALU_DEP_2)
	v_cndmask_b32_e64 v79, 0, v90, s17
	v_add_f32_e32 v81, v81, v78
	s_delay_alu instid0(VALU_DEP_1) | instskip(SKIP_2) | instid1(VALU_DEP_1)
	v_add_f32_e32 v90, v81, v79
	s_waitcnt_depctr 0xfff
	v_cndmask_b32_e64 v81, 0, v82, s18
	v_add_f32_e32 v82, v90, v81
	ds_bpermute_b32 v89, v89, v82
	v_cmpx_gt_u32_e32 16, v67
	s_cbranch_execz .LBB1395_12
; %bb.11:
	v_mul_u32_u24_e32 v67, 0x44, v66
	s_delay_alu instid0(VALU_DEP_1) | instskip(SKIP_1) | instid1(VALU_DEP_1)
	v_lshl_add_u32 v67, v65, 2, v67
	s_waitcnt lgkmcnt(0)
	v_dual_add_f32 v82, v82, v89 :: v_dual_add_nc_u32 v67, 0x4000, v67
	ds_store_2addr_b32 v67, v68, v82 offset1:136
.LBB1395_12:
	s_or_b32 exec_lo, exec_lo, s3
	v_lshlrev_b32_e32 v67, 2, v65
	s_waitcnt lgkmcnt(0)
	s_barrier
	buffer_gl0_inv
	v_cmp_eq_u32_e32 vcc_lo, 1, v66
	v_add_nc_u32_e32 v82, 0x4000, v67
	v_cmp_eq_u32_e64 s3, 2, v66
	v_cmp_eq_u32_e64 s5, 7, v66
	ds_load_2addr_b32 v[89:90], v82 offset1:17
	ds_load_2addr_b32 v[91:92], v82 offset0:34 offset1:51
	ds_load_2addr_b32 v[93:94], v82 offset0:68 offset1:85
	;; [unrolled: 1-line block ×4, first 2 shown]
	s_waitcnt lgkmcnt(4)
	v_max3_f32 v67, v89, 0xff7fffff, v90
	s_waitcnt lgkmcnt(3)
	s_delay_alu instid0(VALU_DEP_1) | instskip(SKIP_1) | instid1(VALU_DEP_1)
	v_max3_f32 v67, v67, v91, v92
	s_waitcnt lgkmcnt(2)
	v_max3_f32 v67, v67, v93, v94
	s_waitcnt lgkmcnt(1)
	s_delay_alu instid0(VALU_DEP_1) | instskip(NEXT) | instid1(VALU_DEP_1)
	v_max3_f32 v67, v67, v95, v96
	v_sub_f32_e32 v93, v93, v67
	s_delay_alu instid0(VALU_DEP_1) | instskip(NEXT) | instid1(VALU_DEP_1)
	v_dual_sub_f32 v68, v89, v67 :: v_dual_mul_f32 v103, 0x3fb8aa3b, v93
	v_mul_f32_e32 v68, 0x3fb8aa3b, v68
	s_delay_alu instid0(VALU_DEP_1)
	v_exp_f32_e32 v100, v68
	v_sub_f32_e32 v68, v92, v67
	v_sub_f32_e32 v99, v90, v67
	ds_load_2addr_b32 v[89:90], v82 offset0:170 offset1:187
	v_dual_mul_f32 v102, 0x3fb8aa3b, v68 :: v_dual_mul_f32 v99, 0x3fb8aa3b, v99
	s_waitcnt lgkmcnt(1)
	v_fma_f32 v68, v100, v97, 0
	s_delay_alu instid0(VALU_DEP_2) | instskip(NEXT) | instid1(VALU_DEP_2)
	v_exp_f32_e32 v102, v102
	v_exp_f32_e32 v99, v99
	s_waitcnt_depctr 0xfff
	v_fmac_f32_e32 v68, v99, v98
	v_sub_f32_e32 v91, v91, v67
	s_delay_alu instid0(VALU_DEP_1)
	v_mul_f32_e32 v101, 0x3fb8aa3b, v91
	ds_load_2addr_b32 v[91:92], v82 offset0:204 offset1:221
	v_sub_f32_e32 v97, v94, v67
	ds_load_2addr_b32 v[93:94], v82 offset0:238 offset1:255
	s_waitcnt lgkmcnt(0)
	v_exp_f32_e32 v101, v101
	s_barrier
	buffer_gl0_inv
	v_dual_fmac_f32 v68, v101, v89 :: v_dual_sub_f32 v89, v96, v67
	v_dual_sub_f32 v82, v95, v67 :: v_dual_mul_f32 v95, 0x3fb8aa3b, v97
	v_exp_f32_e32 v97, v103
	s_delay_alu instid0(VALU_DEP_2) | instskip(NEXT) | instid1(VALU_DEP_2)
	v_dual_fmac_f32 v68, v102, v90 :: v_dual_mul_f32 v89, 0x3fb8aa3b, v89
	v_mul_f32_e32 v82, 0x3fb8aa3b, v82
	s_delay_alu instid0(VALU_DEP_3) | instskip(NEXT) | instid1(VALU_DEP_2)
	v_exp_f32_e32 v95, v95
	v_exp_f32_e32 v89, v89
	s_delay_alu instid0(VALU_DEP_1)
	v_exp_f32_e32 v82, v82
	v_fmac_f32_e32 v68, v97, v91
	s_delay_alu instid0(TRANS32_DEP_3) | instid1(VALU_DEP_1)
	v_fmac_f32_e32 v68, v95, v92
	s_waitcnt_depctr 0xfff
	v_fmac_f32_e32 v68, v82, v93
	s_delay_alu instid0(VALU_DEP_1) | instskip(NEXT) | instid1(VALU_DEP_1)
	v_fmac_f32_e32 v68, v89, v94
	v_add_f32_e32 v90, 0x358637bd, v68
	s_delay_alu instid0(VALU_DEP_1) | instskip(NEXT) | instid1(VALU_DEP_1)
	v_div_scale_f32 v91, null, v90, v90, 1.0
	v_rcp_f32_e32 v92, v91
	s_waitcnt_depctr 0xfff
	v_fma_f32 v93, -v91, v92, 1.0
	s_delay_alu instid0(VALU_DEP_1) | instskip(SKIP_1) | instid1(VALU_DEP_2)
	v_dual_fmac_f32 v92, v93, v92 :: v_dual_cndmask_b32 v93, v100, v99
	v_cmp_eq_u32_e32 vcc_lo, 3, v66
	v_cndmask_b32_e64 v93, v93, v101, s3
	v_cmp_eq_u32_e64 s3, 4, v66
	s_delay_alu instid0(VALU_DEP_2) | instskip(SKIP_1) | instid1(VALU_DEP_2)
	v_cndmask_b32_e32 v93, v93, v102, vcc_lo
	v_cmp_eq_u32_e32 vcc_lo, 5, v66
	v_cndmask_b32_e64 v93, v93, v97, s3
	v_cmp_eq_u32_e64 s3, 6, v66
	s_delay_alu instid0(VALU_DEP_2) | instskip(SKIP_1) | instid1(VALU_DEP_1)
	v_cndmask_b32_e32 v93, v93, v95, vcc_lo
	v_div_scale_f32 v94, s4, 1.0, v90, 1.0
	s_mov_b32 vcc_lo, s4
	s_delay_alu instid0(VALU_DEP_2) | instskip(NEXT) | instid1(VALU_DEP_2)
	v_cndmask_b32_e64 v82, v93, v82, s3
	v_mul_f32_e32 v96, v94, v92
	s_mov_b32 s3, exec_lo
	s_delay_alu instid0(VALU_DEP_2) | instskip(NEXT) | instid1(VALU_DEP_2)
	v_cndmask_b32_e64 v82, v82, v89, s5
	v_fma_f32 v98, -v91, v96, v94
	s_delay_alu instid0(VALU_DEP_1) | instskip(NEXT) | instid1(VALU_DEP_1)
	v_fmac_f32_e32 v96, v98, v92
	v_fma_f32 v91, -v91, v96, v94
	s_delay_alu instid0(VALU_DEP_1) | instskip(NEXT) | instid1(VALU_DEP_1)
	v_div_fmas_f32 v91, v91, v92, v96
	v_div_fixup_f32 v90, v91, v90, 1.0
	s_delay_alu instid0(VALU_DEP_1) | instskip(NEXT) | instid1(VALU_DEP_1)
	v_mul_f32_e32 v82, v82, v90
	v_mul_f32_e32 v87, v82, v87
	;; [unrolled: 1-line block ×7, first 2 shown]
	v_dual_mul_f32 v86, v82, v83 :: v_dual_and_b32 v91, 0x7f800000, v90
	v_mul_f32_e32 v85, v82, v76
                                        ; implicit-def: $vgpr76
	s_delay_alu instid0(VALU_DEP_2)
	v_cmpx_ne_u32_e32 0x7f800000, v91
	s_xor_b32 s3, exec_lo, s3
; %bb.13:
	v_bfe_u32 v76, v90, 16, 1
	s_delay_alu instid0(VALU_DEP_1)
	v_add3_u32 v76, v90, v76, 0x7fff
                                        ; implicit-def: $vgpr90
; %bb.14:
	s_and_not1_saveexec_b32 s3, s3
; %bb.15:
	v_and_b32_e32 v76, 0xffff, v90
	v_or_b32_e32 v83, 0x10000, v90
	s_delay_alu instid0(VALU_DEP_2) | instskip(NEXT) | instid1(VALU_DEP_2)
	v_cmp_eq_u32_e32 vcc_lo, 0, v76
	v_cndmask_b32_e32 v76, v83, v90, vcc_lo
; %bb.16:
	s_or_b32 exec_lo, exec_lo, s3
	v_and_b32_e32 v83, 0x7f800000, v85
	s_delay_alu instid0(VALU_DEP_1) | instskip(SKIP_1) | instid1(SALU_CYCLE_1)
	v_cmp_ne_u32_e32 vcc_lo, 0x7f800000, v83
                                        ; implicit-def: $vgpr83
	s_and_saveexec_b32 s3, vcc_lo
	s_xor_b32 s3, exec_lo, s3
; %bb.17:
	v_bfe_u32 v83, v85, 16, 1
	s_delay_alu instid0(VALU_DEP_1)
	v_add3_u32 v83, v85, v83, 0x7fff
                                        ; implicit-def: $vgpr85
; %bb.18:
	s_and_not1_saveexec_b32 s3, s3
; %bb.19:
	v_and_b32_e32 v83, 0xffff, v85
	v_or_b32_e32 v90, 0x10000, v85
	s_delay_alu instid0(VALU_DEP_2) | instskip(NEXT) | instid1(VALU_DEP_2)
	v_cmp_eq_u32_e32 vcc_lo, 0, v83
	v_cndmask_b32_e32 v83, v90, v85, vcc_lo
; %bb.20:
	s_or_b32 exec_lo, exec_lo, s3
	v_and_b32_e32 v85, 0x7f800000, v86
	s_delay_alu instid0(VALU_DEP_1) | instskip(SKIP_1) | instid1(SALU_CYCLE_1)
	v_cmp_ne_u32_e32 vcc_lo, 0x7f800000, v85
                                        ; implicit-def: $vgpr85
	s_and_saveexec_b32 s3, vcc_lo
	s_xor_b32 s3, exec_lo, s3
; %bb.21:
	v_bfe_u32 v85, v86, 16, 1
	s_delay_alu instid0(VALU_DEP_1)
	v_add3_u32 v85, v86, v85, 0x7fff
                                        ; implicit-def: $vgpr86
; %bb.22:
	s_and_not1_saveexec_b32 s3, s3
; %bb.23:
	v_and_b32_e32 v85, 0xffff, v86
	v_or_b32_e32 v90, 0x10000, v86
	s_delay_alu instid0(VALU_DEP_2) | instskip(NEXT) | instid1(VALU_DEP_2)
	v_cmp_eq_u32_e32 vcc_lo, 0, v85
	v_cndmask_b32_e32 v85, v90, v86, vcc_lo
; %bb.24:
	s_or_b32 exec_lo, exec_lo, s3
	v_and_b32_e32 v86, 0x7f800000, v89
	s_delay_alu instid0(VALU_DEP_1) | instskip(SKIP_1) | instid1(SALU_CYCLE_1)
	v_cmp_ne_u32_e32 vcc_lo, 0x7f800000, v86
                                        ; implicit-def: $vgpr86
	s_and_saveexec_b32 s3, vcc_lo
	s_xor_b32 s3, exec_lo, s3
; %bb.25:
	v_bfe_u32 v86, v89, 16, 1
	s_delay_alu instid0(VALU_DEP_1)
	v_add3_u32 v86, v89, v86, 0x7fff
                                        ; implicit-def: $vgpr89
; %bb.26:
	s_and_not1_saveexec_b32 s3, s3
; %bb.27:
	v_and_b32_e32 v86, 0xffff, v89
	v_or_b32_e32 v90, 0x10000, v89
	s_delay_alu instid0(VALU_DEP_2) | instskip(NEXT) | instid1(VALU_DEP_2)
	v_cmp_eq_u32_e32 vcc_lo, 0, v86
	v_cndmask_b32_e32 v86, v90, v89, vcc_lo
; %bb.28:
	s_or_b32 exec_lo, exec_lo, s3
	v_and_b32_e32 v89, 0x7f800000, v88
	s_delay_alu instid0(VALU_DEP_1) | instskip(SKIP_1) | instid1(SALU_CYCLE_1)
	v_cmp_ne_u32_e32 vcc_lo, 0x7f800000, v89
                                        ; implicit-def: $vgpr89
	s_and_saveexec_b32 s3, vcc_lo
	s_xor_b32 s3, exec_lo, s3
; %bb.29:
	v_bfe_u32 v89, v88, 16, 1
	s_delay_alu instid0(VALU_DEP_1)
	v_add3_u32 v89, v88, v89, 0x7fff
                                        ; implicit-def: $vgpr88
; %bb.30:
	s_and_not1_saveexec_b32 s3, s3
; %bb.31:
	v_and_b32_e32 v89, 0xffff, v88
	v_or_b32_e32 v90, 0x10000, v88
	s_delay_alu instid0(VALU_DEP_2) | instskip(NEXT) | instid1(VALU_DEP_2)
	v_cmp_eq_u32_e32 vcc_lo, 0, v89
	v_cndmask_b32_e32 v89, v90, v88, vcc_lo
; %bb.32:
	s_or_b32 exec_lo, exec_lo, s3
	v_and_b32_e32 v88, 0x7f800000, v87
	s_delay_alu instid0(VALU_DEP_1) | instskip(SKIP_1) | instid1(SALU_CYCLE_1)
	v_cmp_ne_u32_e32 vcc_lo, 0x7f800000, v88
                                        ; implicit-def: $vgpr88
	s_and_saveexec_b32 s3, vcc_lo
	s_xor_b32 s3, exec_lo, s3
; %bb.33:
	v_bfe_u32 v88, v87, 16, 1
	s_delay_alu instid0(VALU_DEP_1)
	v_add3_u32 v88, v87, v88, 0x7fff
                                        ; implicit-def: $vgpr87
; %bb.34:
	s_and_not1_saveexec_b32 s3, s3
; %bb.35:
	v_and_b32_e32 v88, 0xffff, v87
	v_or_b32_e32 v90, 0x10000, v87
	s_delay_alu instid0(VALU_DEP_2) | instskip(NEXT) | instid1(VALU_DEP_2)
	v_cmp_eq_u32_e32 vcc_lo, 0, v88
	v_cndmask_b32_e32 v88, v90, v87, vcc_lo
; %bb.36:
	s_or_b32 exec_lo, exec_lo, s3
	v_and_b32_e32 v87, 0x7f800000, v84
	s_delay_alu instid0(VALU_DEP_1) | instskip(SKIP_1) | instid1(SALU_CYCLE_1)
	v_cmp_ne_u32_e32 vcc_lo, 0x7f800000, v87
                                        ; implicit-def: $vgpr87
	s_and_saveexec_b32 s3, vcc_lo
	s_xor_b32 s3, exec_lo, s3
; %bb.37:
	v_bfe_u32 v87, v84, 16, 1
	s_delay_alu instid0(VALU_DEP_1)
	v_add3_u32 v87, v84, v87, 0x7fff
                                        ; implicit-def: $vgpr84
; %bb.38:
	s_and_not1_saveexec_b32 s3, s3
; %bb.39:
	v_and_b32_e32 v87, 0xffff, v84
	v_or_b32_e32 v90, 0x10000, v84
	s_delay_alu instid0(VALU_DEP_2) | instskip(NEXT) | instid1(VALU_DEP_2)
	v_cmp_eq_u32_e32 vcc_lo, 0, v87
	v_cndmask_b32_e32 v87, v90, v84, vcc_lo
; %bb.40:
	s_or_b32 exec_lo, exec_lo, s3
	v_and_b32_e32 v84, 0x7f800000, v80
	s_delay_alu instid0(VALU_DEP_1) | instskip(SKIP_1) | instid1(SALU_CYCLE_1)
	v_cmp_ne_u32_e32 vcc_lo, 0x7f800000, v84
                                        ; implicit-def: $vgpr84
	s_and_saveexec_b32 s3, vcc_lo
	s_xor_b32 s3, exec_lo, s3
; %bb.41:
	v_bfe_u32 v84, v80, 16, 1
	s_delay_alu instid0(VALU_DEP_1)
	v_add3_u32 v84, v80, v84, 0x7fff
                                        ; implicit-def: $vgpr80
; %bb.42:
	s_and_not1_saveexec_b32 s3, s3
; %bb.43:
	v_and_b32_e32 v84, 0xffff, v80
	v_or_b32_e32 v90, 0x10000, v80
	s_delay_alu instid0(VALU_DEP_2) | instskip(NEXT) | instid1(VALU_DEP_2)
	v_cmp_eq_u32_e32 vcc_lo, 0, v84
	v_cndmask_b32_e32 v84, v90, v80, vcc_lo
; %bb.44:
	s_or_b32 exec_lo, exec_lo, s3
	s_load_b64 s[34:35], s[0:1], 0x94
	v_lshlrev_b32_e32 v91, 4, v74
	s_delay_alu instid0(VALU_DEP_2)
	v_perm_b32 v90, v84, v87, 0x7060302
	v_dual_mul_f32 v79, v82, v79 :: v_dual_lshlrev_b32 v80, 6, v65
	v_dual_mul_f32 v77, v82, v77 :: v_dual_lshlrev_b32 v92, 11, v66
	v_mul_f32_e32 v84, v82, v70
	v_perm_b32 v89, v88, v89, 0x7060302
	v_perm_b32 v88, v86, v85, 0x7060302
	v_perm_b32 v87, v83, v76, 0x7060302
	v_mul_f32_e32 v70, v82, v81
	v_or3_b32 v76, v91, v92, v80
	v_dual_mul_f32 v78, v82, v78 :: v_dual_and_b32 v85, 0x7f800000, v84
	v_mul_f32_e32 v83, v82, v72
	v_mul_f32_e32 v81, v82, v71
	;; [unrolled: 1-line block ×3, first 2 shown]
	s_mov_b32 s3, exec_lo
	ds_store_b128 v76, v[87:90]
                                        ; implicit-def: $vgpr69
	v_cmpx_ne_u32_e32 0x7f800000, v85
	s_xor_b32 s3, exec_lo, s3
; %bb.45:
	v_bfe_u32 v69, v84, 16, 1
	s_delay_alu instid0(VALU_DEP_1)
	v_add3_u32 v69, v84, v69, 0x7fff
                                        ; implicit-def: $vgpr84
; %bb.46:
	s_and_not1_saveexec_b32 s3, s3
; %bb.47:
	v_and_b32_e32 v69, 0xffff, v84
	v_or_b32_e32 v71, 0x10000, v84
	s_delay_alu instid0(VALU_DEP_2) | instskip(NEXT) | instid1(VALU_DEP_2)
	v_cmp_eq_u32_e32 vcc_lo, 0, v69
	v_cndmask_b32_e32 v69, v71, v84, vcc_lo
; %bb.48:
	s_or_b32 exec_lo, exec_lo, s3
	v_and_b32_e32 v71, 0x7f800000, v72
	s_delay_alu instid0(VALU_DEP_1) | instskip(SKIP_1) | instid1(SALU_CYCLE_1)
	v_cmp_ne_u32_e32 vcc_lo, 0x7f800000, v71
                                        ; implicit-def: $vgpr71
	s_and_saveexec_b32 s3, vcc_lo
	s_xor_b32 s3, exec_lo, s3
; %bb.49:
	v_bfe_u32 v71, v72, 16, 1
	s_delay_alu instid0(VALU_DEP_1)
	v_add3_u32 v71, v72, v71, 0x7fff
                                        ; implicit-def: $vgpr72
; %bb.50:
	s_and_not1_saveexec_b32 s3, s3
; %bb.51:
	v_and_b32_e32 v71, 0xffff, v72
	v_or_b32_e32 v82, 0x10000, v72
	s_delay_alu instid0(VALU_DEP_2) | instskip(NEXT) | instid1(VALU_DEP_2)
	v_cmp_eq_u32_e32 vcc_lo, 0, v71
	v_cndmask_b32_e32 v71, v82, v72, vcc_lo
; %bb.52:
	s_or_b32 exec_lo, exec_lo, s3
	v_and_b32_e32 v72, 0x7f800000, v81
	s_delay_alu instid0(VALU_DEP_1) | instskip(SKIP_1) | instid1(SALU_CYCLE_1)
	v_cmp_ne_u32_e32 vcc_lo, 0x7f800000, v72
                                        ; implicit-def: $vgpr72
	s_and_saveexec_b32 s3, vcc_lo
	s_xor_b32 s3, exec_lo, s3
; %bb.53:
	v_bfe_u32 v72, v81, 16, 1
	s_delay_alu instid0(VALU_DEP_1)
	v_add3_u32 v72, v81, v72, 0x7fff
                                        ; implicit-def: $vgpr81
; %bb.54:
	s_and_not1_saveexec_b32 s3, s3
; %bb.55:
	v_and_b32_e32 v72, 0xffff, v81
	v_or_b32_e32 v82, 0x10000, v81
	s_delay_alu instid0(VALU_DEP_2) | instskip(NEXT) | instid1(VALU_DEP_2)
	v_cmp_eq_u32_e32 vcc_lo, 0, v72
	v_cndmask_b32_e32 v72, v82, v81, vcc_lo
; %bb.56:
	s_or_b32 exec_lo, exec_lo, s3
	v_and_b32_e32 v81, 0x7f800000, v83
	s_delay_alu instid0(VALU_DEP_1) | instskip(SKIP_1) | instid1(SALU_CYCLE_1)
	v_cmp_ne_u32_e32 vcc_lo, 0x7f800000, v81
                                        ; implicit-def: $vgpr81
	s_and_saveexec_b32 s3, vcc_lo
	s_xor_b32 s3, exec_lo, s3
; %bb.57:
	v_bfe_u32 v81, v83, 16, 1
	s_delay_alu instid0(VALU_DEP_1)
	v_add3_u32 v81, v83, v81, 0x7fff
                                        ; implicit-def: $vgpr83
; %bb.58:
	s_and_not1_saveexec_b32 s3, s3
; %bb.59:
	v_and_b32_e32 v81, 0xffff, v83
	v_or_b32_e32 v82, 0x10000, v83
	s_delay_alu instid0(VALU_DEP_2) | instskip(NEXT) | instid1(VALU_DEP_2)
	v_cmp_eq_u32_e32 vcc_lo, 0, v81
	v_cndmask_b32_e32 v81, v82, v83, vcc_lo
; %bb.60:
	s_or_b32 exec_lo, exec_lo, s3
	v_and_b32_e32 v82, 0x7f800000, v77
	s_delay_alu instid0(VALU_DEP_1) | instskip(SKIP_1) | instid1(SALU_CYCLE_1)
	v_cmp_ne_u32_e32 vcc_lo, 0x7f800000, v82
                                        ; implicit-def: $vgpr82
	s_and_saveexec_b32 s3, vcc_lo
	s_xor_b32 s3, exec_lo, s3
; %bb.61:
	v_bfe_u32 v82, v77, 16, 1
	s_delay_alu instid0(VALU_DEP_1)
	v_add3_u32 v82, v77, v82, 0x7fff
                                        ; implicit-def: $vgpr77
; %bb.62:
	s_and_not1_saveexec_b32 s3, s3
; %bb.63:
	v_and_b32_e32 v82, 0xffff, v77
	v_or_b32_e32 v83, 0x10000, v77
	s_delay_alu instid0(VALU_DEP_2) | instskip(NEXT) | instid1(VALU_DEP_2)
	v_cmp_eq_u32_e32 vcc_lo, 0, v82
	v_cndmask_b32_e32 v82, v83, v77, vcc_lo
; %bb.64:
	s_or_b32 exec_lo, exec_lo, s3
	v_and_b32_e32 v77, 0x7f800000, v78
	s_delay_alu instid0(VALU_DEP_1) | instskip(SKIP_1) | instid1(SALU_CYCLE_1)
	v_cmp_ne_u32_e32 vcc_lo, 0x7f800000, v77
                                        ; implicit-def: $vgpr77
	s_and_saveexec_b32 s3, vcc_lo
	s_xor_b32 s3, exec_lo, s3
; %bb.65:
	v_bfe_u32 v77, v78, 16, 1
	s_delay_alu instid0(VALU_DEP_1)
	v_add3_u32 v77, v78, v77, 0x7fff
                                        ; implicit-def: $vgpr78
; %bb.66:
	s_and_not1_saveexec_b32 s3, s3
; %bb.67:
	v_and_b32_e32 v77, 0xffff, v78
	v_or_b32_e32 v83, 0x10000, v78
	s_delay_alu instid0(VALU_DEP_2) | instskip(NEXT) | instid1(VALU_DEP_2)
	v_cmp_eq_u32_e32 vcc_lo, 0, v77
	v_cndmask_b32_e32 v77, v83, v78, vcc_lo
; %bb.68:
	s_or_b32 exec_lo, exec_lo, s3
	v_and_b32_e32 v78, 0x7f800000, v79
	s_delay_alu instid0(VALU_DEP_1) | instskip(SKIP_1) | instid1(SALU_CYCLE_1)
	v_cmp_ne_u32_e32 vcc_lo, 0x7f800000, v78
                                        ; implicit-def: $vgpr78
	s_and_saveexec_b32 s3, vcc_lo
	s_xor_b32 s3, exec_lo, s3
; %bb.69:
	v_bfe_u32 v78, v79, 16, 1
	s_delay_alu instid0(VALU_DEP_1)
	v_add3_u32 v78, v79, v78, 0x7fff
                                        ; implicit-def: $vgpr79
; %bb.70:
	s_and_not1_saveexec_b32 s3, s3
; %bb.71:
	v_and_b32_e32 v78, 0xffff, v79
	v_or_b32_e32 v83, 0x10000, v79
	s_delay_alu instid0(VALU_DEP_2) | instskip(NEXT) | instid1(VALU_DEP_2)
	v_cmp_eq_u32_e32 vcc_lo, 0, v78
	v_cndmask_b32_e32 v78, v83, v79, vcc_lo
; %bb.72:
	s_or_b32 exec_lo, exec_lo, s3
	v_and_b32_e32 v79, 0x7f800000, v70
	s_delay_alu instid0(VALU_DEP_1) | instskip(SKIP_1) | instid1(SALU_CYCLE_1)
	v_cmp_ne_u32_e32 vcc_lo, 0x7f800000, v79
                                        ; implicit-def: $vgpr79
	s_and_saveexec_b32 s3, vcc_lo
	s_xor_b32 s3, exec_lo, s3
; %bb.73:
	v_bfe_u32 v79, v70, 16, 1
	s_delay_alu instid0(VALU_DEP_1)
	v_add3_u32 v79, v70, v79, 0x7fff
                                        ; implicit-def: $vgpr70
; %bb.74:
	s_and_not1_saveexec_b32 s3, s3
; %bb.75:
	v_and_b32_e32 v79, 0xffff, v70
	v_or_b32_e32 v83, 0x10000, v70
	s_delay_alu instid0(VALU_DEP_2) | instskip(NEXT) | instid1(VALU_DEP_2)
	v_cmp_eq_u32_e32 vcc_lo, 0, v79
	v_cndmask_b32_e32 v79, v83, v70, vcc_lo
; %bb.76:
	s_or_b32 exec_lo, exec_lo, s3
	s_delay_alu instid0(VALU_DEP_1)
	v_perm_b32 v86, v79, v78, 0x7060302
	v_perm_b32 v85, v77, v82, 0x7060302
	;; [unrolled: 1-line block ×4, first 2 shown]
	v_lshl_or_b32 v82, v66, 11, v80
	ds_store_b128 v76, v[83:86] offset:1024
	s_waitcnt lgkmcnt(0)
	s_barrier
	buffer_gl0_inv
	ds_load_b128 v[69:72], v82
	ds_load_b128 v[83:86], v82 offset:16
	s_waitcnt lgkmcnt(1)
	v_lshrrev_b32_e32 v66, 16, v69
	s_waitcnt lgkmcnt(0)
	v_lshrrev_b32_e32 v91, 16, v83
	v_lshlrev_b32_e32 v78, 2, v74
	v_lshrrev_b32_e32 v95, 16, v70
	v_lshrrev_b32_e32 v98, 16, v84
	;; [unrolled: 1-line block ×4, first 2 shown]
	v_cmp_eq_u32_e32 vcc_lo, 1, v78
	v_lshrrev_b32_e32 v97, 16, v72
	v_lshrrev_b32_e32 v100, 16, v86
	v_cndmask_b32_e32 v87, v83, v91, vcc_lo
	v_or_b32_e32 v79, 1, v78
	v_cndmask_b32_e32 v81, v69, v66, vcc_lo
	v_cmp_eq_u32_e64 s4, 2, v78
	v_cmp_eq_u32_e64 s7, 3, v78
	v_cmp_eq_u32_e64 s9, 4, v78
	v_cmp_eq_u32_e64 s3, 1, v79
	v_cmp_eq_u32_e64 s6, 2, v79
	v_cndmask_b32_e64 v81, v81, v70, s4
	v_cndmask_b32_e64 v87, v87, v84, s4
	v_cmp_eq_u32_e64 s8, 3, v79
	v_cndmask_b32_e64 v88, v69, v66, s3
	v_or_b32_e32 v77, 2, v78
	v_cndmask_b32_e64 v81, v81, v95, s7
	v_cndmask_b32_e64 v87, v87, v98, s7
	;; [unrolled: 1-line block ×4, first 2 shown]
	v_cmp_eq_u32_e64 s10, 5, v78
	v_cndmask_b32_e64 v81, v81, v71, s9
	v_cndmask_b32_e64 v87, v87, v85, s9
	v_cmp_eq_u32_e64 s11, 4, v79
	v_cndmask_b32_e64 v88, v88, v95, s8
	v_cmp_eq_u32_e64 s5, 1, v77
	v_cndmask_b32_e64 v89, v89, v84, s6
	v_cndmask_b32_e64 v81, v81, v96, s10
	v_cmp_eq_u32_e64 s12, 6, v78
	v_cndmask_b32_e64 v88, v88, v71, s11
	;; [unrolled: 3-line block ×3, first 2 shown]
	v_cndmask_b32_e64 v89, v89, v98, s8
	v_cndmask_b32_e64 v81, v81, v72, s12
	v_cmp_eq_u32_e64 s15, 7, v78
	v_cndmask_b32_e64 v88, v88, v96, s13
	v_cndmask_b32_e64 v87, v87, v86, s12
	v_cmp_eq_u32_e64 s16, 6, v79
	v_cmp_eq_u32_e64 s17, 2, v77
	v_cndmask_b32_e64 v89, v89, v85, s11
	v_cndmask_b32_e64 v101, v81, v97, s15
	;; [unrolled: 1-line block ×6, first 2 shown]
	v_cmp_eq_u32_e64 s18, 7, v79
	v_cmp_eq_u32_e64 s19, 3, v77
	;; [unrolled: 1-line block ×4, first 2 shown]
	v_cndmask_b32_e64 v87, v87, v84, s17
	v_cndmask_b32_e64 v103, v88, v97, s18
	v_cndmask_b32_e64 v88, v89, v99, s13
	v_cndmask_b32_e64 v89, v81, v95, s19
	v_or_b32_e32 v81, 3, v78
	v_cndmask_b32_e64 v93, v87, v98, s19
	v_cmp_eq_u32_e64 s24, 6, v77
	v_cndmask_b32_e64 v104, v88, v86, s16
	v_cndmask_b32_e64 v92, v89, v71, s20
	v_cmp_eq_u32_e64 s21, 1, v81
	ds_load_b128 v[87:90], v82 offset:1024
	v_cmp_eq_u32_e64 s23, 2, v81
	v_cmp_eq_u32_e64 s25, 3, v81
	v_cndmask_b32_e64 v105, v92, v96, s22
	v_cndmask_b32_e64 v66, v69, v66, s21
	;; [unrolled: 1-line block ×4, first 2 shown]
	ds_load_b128 v[91:94], v82 offset:1040
	v_cmp_eq_u32_e64 s26, 4, v81
	v_cndmask_b32_e64 v66, v66, v70, s23
	v_cmp_eq_u32_e64 s27, 7, v77
	v_cndmask_b32_e64 v70, v83, v84, s23
	v_cndmask_b32_e64 v84, v105, v72, s24
	v_cmp_eq_u32_e64 s28, 5, v81
	v_cndmask_b32_e64 v66, v66, v95, s25
	v_cmp_eq_u32_e64 s29, 6, v81
	v_cndmask_b32_e64 v70, v70, v98, s25
	v_cndmask_b32_e64 v69, v69, v99, s22
	;; [unrolled: 1-line block ×4, first 2 shown]
	s_waitcnt lgkmcnt(1)
	v_lshrrev_b32_e32 v95, 16, v87
	v_cndmask_b32_e64 v70, v70, v85, s26
	v_cndmask_b32_e64 v71, v84, v97, s27
	v_cndmask_b32_e64 v69, v69, v86, s24
	v_cndmask_b32_e64 v66, v66, v96, s28
	v_cndmask_b32_e32 v84, v87, v95, vcc_lo
	v_cndmask_b32_e64 v70, v70, v99, s28
	s_waitcnt lgkmcnt(0)
	v_lshrrev_b32_e32 v85, 16, v91
	v_lshrrev_b32_e32 v96, 16, v88
	v_cndmask_b32_e64 v98, v87, v95, s3
	v_cndmask_b32_e64 v84, v84, v88, s4
	;; [unrolled: 1-line block ×3, first 2 shown]
	v_cndmask_b32_e32 v99, v91, v85, vcc_lo
	v_cmp_eq_u32_e32 vcc_lo, 7, v81
	v_cndmask_b32_e64 v66, v66, v72, s29
	v_cndmask_b32_e64 v72, v84, v96, s7
	;; [unrolled: 1-line block ×3, first 2 shown]
	v_lshrrev_b32_e32 v98, 16, v92
	v_cndmask_b32_e32 v70, v70, v100, vcc_lo
	v_cndmask_b32_e64 v86, v99, v92, s4
	v_cndmask_b32_e64 v69, v69, v100, s27
	v_lshrrev_b32_e32 v100, 16, v93
	v_cndmask_b32_e64 v72, v72, v89, s9
	v_lshrrev_b32_e32 v99, 16, v89
	v_cndmask_b32_e64 v86, v86, v98, s7
	v_perm_b32 v71, v69, v71, 0x5040100
	v_cndmask_b32_e64 v84, v84, v96, s8
	s_delay_alu instid0(VALU_DEP_3) | instskip(NEXT) | instid1(VALU_DEP_2)
	v_cndmask_b32_e64 v86, v86, v93, s9
	v_cndmask_b32_e64 v84, v84, v89, s11
	s_delay_alu instid0(VALU_DEP_2) | instskip(NEXT) | instid1(VALU_DEP_1)
	v_cndmask_b32_e64 v86, v86, v100, s10
	v_cndmask_b32_e64 v69, v86, v94, s12
	;; [unrolled: 1-line block ×5, first 2 shown]
	s_delay_alu instid0(VALU_DEP_3) | instskip(NEXT) | instid1(VALU_DEP_3)
	v_cndmask_b32_e64 v86, v86, v88, s17
	v_cndmask_b32_e64 v87, v87, v88, s23
	s_delay_alu instid0(VALU_DEP_3) | instskip(NEXT) | instid1(VALU_DEP_3)
	v_cndmask_b32_e64 v88, v95, v92, s23
	v_cndmask_b32_e64 v86, v86, v96, s19
	;; [unrolled: 3-line block ×7, first 2 shown]
	s_delay_alu instid0(VALU_DEP_3) | instskip(SKIP_2) | instid1(VALU_DEP_2)
	v_cndmask_b32_e64 v88, v88, v94, s29
	v_cndmask_b32_e32 v66, v66, v97, vcc_lo
	v_cndmask_b32_e64 v97, v72, v99, s10
	v_perm_b32 v72, v70, v66, 0x5040100
	v_perm_b32 v70, v83, v103, 0x5040100
	v_cndmask_b32_e64 v103, v91, v85, s5
	v_cndmask_b32_e64 v85, v91, v85, s3
	;; [unrolled: 1-line block ×4, first 2 shown]
	v_lshrrev_b32_e32 v97, 16, v90
	v_cndmask_b32_e64 v91, v103, v92, s17
	v_cndmask_b32_e64 v85, v85, v92, s6
	;; [unrolled: 1-line block ×3, first 2 shown]
	s_mov_b32 s3, exec_lo
	v_cndmask_b32_e64 v83, v84, v97, s15
	v_cndmask_b32_e64 v91, v91, v98, s19
	;; [unrolled: 1-line block ×3, first 2 shown]
	v_lshrrev_b32_e32 v84, 16, v94
	v_cndmask_b32_e64 v66, v66, v97, s18
	v_cndmask_b32_e64 v90, v86, v97, s27
	v_cndmask_b32_e64 v89, v91, v93, s20
	v_cndmask_b32_e64 v85, v85, v93, s11
	v_dual_cndmask_b32 v86, v87, v97 :: v_dual_cndmask_b32 v87, v88, v84
	v_cndmask_b32_e64 v91, v69, v84, s15
	s_delay_alu instid0(VALU_DEP_4) | instskip(NEXT) | instid1(VALU_DEP_4)
	v_cndmask_b32_e64 v89, v89, v100, s22
	v_cndmask_b32_e64 v85, v85, v100, s13
	v_perm_b32 v69, v102, v101, 0x5040100
	v_perm_b32 v86, v87, v86, 0x5040100
	;; [unrolled: 1-line block ×3, first 2 shown]
	v_cndmask_b32_e64 v89, v89, v94, s24
	v_cndmask_b32_e64 v85, v85, v94, s16
	s_mul_i32 s8, s35, 10
	s_delay_alu instid0(VALU_DEP_2) | instskip(NEXT) | instid1(VALU_DEP_2)
	v_cndmask_b32_e64 v88, v89, v84, s27
	v_cndmask_b32_e64 v89, v85, v84, s18
	s_delay_alu instid0(VALU_DEP_2) | instskip(NEXT) | instid1(VALU_DEP_2)
	v_perm_b32 v85, v88, v90, 0x5040100
	v_perm_b32 v84, v89, v66, 0x5040100
	ds_store_b128 v76, v[69:72]
	ds_store_b128 v76, v[83:86] offset:1024
	v_cmpx_gt_u32_e32 10, v0
	s_cbranch_execz .LBB1395_78
; %bb.77:
	s_mul_i32 s4, s8, s30
	s_delay_alu instid0(SALU_CYCLE_1) | instskip(SKIP_1) | instid1(VALU_DEP_1)
	v_add3_u32 v69, s4, s31, v65
	s_load_b128 s[4:7], s[0:1], 0x58
	v_mad_u64_u32 v[65:66], null, v69, s34, s[14:15]
	s_delay_alu instid0(VALU_DEP_1) | instskip(NEXT) | instid1(VALU_DEP_1)
	v_ashrrev_i32_e32 v66, 31, v65
	v_lshlrev_b64 v[65:66], 2, v[65:66]
	s_waitcnt lgkmcnt(0)
	s_delay_alu instid0(VALU_DEP_1) | instskip(NEXT) | instid1(VALU_DEP_2)
	v_add_co_u32 v69, vcc_lo, s6, v65
	v_add_co_ci_u32_e32 v70, vcc_lo, s7, v66, vcc_lo
	v_add_co_u32 v65, vcc_lo, s4, v65
	v_add_co_ci_u32_e32 v66, vcc_lo, s5, v66, vcc_lo
	global_store_b32 v[69:70], v67, off
	global_store_b32 v[65:66], v68, off
.LBB1395_78:
	s_or_b32 exec_lo, exec_lo, s3
	s_waitcnt lgkmcnt(0)
	s_waitcnt_vscnt null, 0x0
	s_barrier
	buffer_gl0_inv
	ds_load_b128 v[83:86], v80
	ds_load_b128 v[87:90], v80 offset:16
	ds_load_b128 v[95:98], v80 offset:2064
	;; [unrolled: 1-line block ×3, first 2 shown]
	v_mov_b32_e32 v65, 0
	ds_load_b128 v[103:106], v80 offset:4112
	ds_load_b128 v[99:102], v80 offset:4096
	;; [unrolled: 1-line block ×4, first 2 shown]
	v_mov_b32_e32 v66, v65
	v_mov_b32_e32 v67, v65
	;; [unrolled: 1-line block ×7, first 2 shown]
	s_waitcnt lgkmcnt(6)
	s_delay_alu instid0(VALU_DEP_1)
	v_wmma_f32_16x16x16_bf16 v[65:72], v[57:64], v[83:90], v[65:72]
	ds_load_b128 v[61:64], v80 offset:8208
	ds_load_b128 v[57:60], v80 offset:8192
	s_waitcnt lgkmcnt(6)
	v_wmma_f32_16x16x16_bf16 v[65:72], v[41:48], v[91:98], v[65:72]
	ds_load_b128 v[45:48], v80 offset:10256
	ds_load_b128 v[41:44], v80 offset:10240
	s_waitcnt lgkmcnt(6)
	;; [unrolled: 4-line block ×4, first 2 shown]
	v_wmma_f32_16x16x16_bf16 v[65:72], v[1:8], v[57:64], v[65:72]
	s_waitcnt lgkmcnt(4)
	s_delay_alu instid0(VALU_DEP_1) | instskip(SKIP_1) | instid1(VALU_DEP_1)
	v_wmma_f32_16x16x16_bf16 v[65:72], v[9:16], v[41:48], v[65:72]
	s_waitcnt lgkmcnt(2)
	v_wmma_f32_16x16x16_bf16 v[65:72], v[17:24], v[33:40], v[65:72]
	s_waitcnt lgkmcnt(0)
	s_delay_alu instid0(VALU_DEP_1) | instskip(NEXT) | instid1(VALU_DEP_1)
	v_wmma_f32_16x16x16_bf16 v[65:72], v[49:56], v[25:32], v[65:72]
	v_and_b32_e32 v1, 0x7f800000, v65
	s_delay_alu instid0(VALU_DEP_1) | instskip(SKIP_1) | instid1(SALU_CYCLE_1)
	v_cmp_ne_u32_e32 vcc_lo, 0x7f800000, v1
                                        ; implicit-def: $vgpr1
	s_and_saveexec_b32 s3, vcc_lo
	s_xor_b32 s3, exec_lo, s3
; %bb.79:
	v_bfe_u32 v1, v65, 16, 1
	s_delay_alu instid0(VALU_DEP_1)
	v_add3_u32 v1, v65, v1, 0x7fff
; %bb.80:
	s_and_not1_saveexec_b32 s3, s3
; %bb.81:
	v_and_b32_e32 v1, 0xffff, v65
	v_or_b32_e32 v2, 0x10000, v65
	s_delay_alu instid0(VALU_DEP_2) | instskip(NEXT) | instid1(VALU_DEP_2)
	v_cmp_eq_u32_e32 vcc_lo, 0, v1
	v_cndmask_b32_e32 v1, v2, v65, vcc_lo
; %bb.82:
	s_or_b32 exec_lo, exec_lo, s3
	v_and_b32_e32 v2, 0x7f800000, v66
	s_delay_alu instid0(VALU_DEP_1) | instskip(SKIP_1) | instid1(SALU_CYCLE_1)
	v_cmp_ne_u32_e32 vcc_lo, 0x7f800000, v2
                                        ; implicit-def: $vgpr2
	s_and_saveexec_b32 s3, vcc_lo
	s_xor_b32 s3, exec_lo, s3
; %bb.83:
	v_bfe_u32 v2, v66, 16, 1
	s_delay_alu instid0(VALU_DEP_1)
	v_add3_u32 v2, v66, v2, 0x7fff
; %bb.84:
	s_and_not1_saveexec_b32 s3, s3
; %bb.85:
	v_and_b32_e32 v2, 0xffff, v66
	v_or_b32_e32 v3, 0x10000, v66
	s_delay_alu instid0(VALU_DEP_2) | instskip(NEXT) | instid1(VALU_DEP_2)
	v_cmp_eq_u32_e32 vcc_lo, 0, v2
	v_cndmask_b32_e32 v2, v3, v66, vcc_lo
; %bb.86:
	s_or_b32 exec_lo, exec_lo, s3
	v_and_b32_e32 v3, 0x7f800000, v67
	s_delay_alu instid0(VALU_DEP_1) | instskip(SKIP_1) | instid1(SALU_CYCLE_1)
	v_cmp_ne_u32_e32 vcc_lo, 0x7f800000, v3
                                        ; implicit-def: $vgpr3
	s_and_saveexec_b32 s3, vcc_lo
	s_xor_b32 s3, exec_lo, s3
; %bb.87:
	v_bfe_u32 v3, v67, 16, 1
	s_delay_alu instid0(VALU_DEP_1)
	v_add3_u32 v3, v67, v3, 0x7fff
; %bb.88:
	s_and_not1_saveexec_b32 s3, s3
; %bb.89:
	v_and_b32_e32 v3, 0xffff, v67
	v_or_b32_e32 v4, 0x10000, v67
	s_delay_alu instid0(VALU_DEP_2) | instskip(NEXT) | instid1(VALU_DEP_2)
	v_cmp_eq_u32_e32 vcc_lo, 0, v3
	v_cndmask_b32_e32 v3, v4, v67, vcc_lo
; %bb.90:
	s_or_b32 exec_lo, exec_lo, s3
	v_and_b32_e32 v4, 0x7f800000, v68
	s_delay_alu instid0(VALU_DEP_1) | instskip(SKIP_1) | instid1(SALU_CYCLE_1)
	v_cmp_ne_u32_e32 vcc_lo, 0x7f800000, v4
                                        ; implicit-def: $vgpr4
	s_and_saveexec_b32 s3, vcc_lo
	s_xor_b32 s3, exec_lo, s3
; %bb.91:
	v_bfe_u32 v4, v68, 16, 1
	s_delay_alu instid0(VALU_DEP_1)
	v_add3_u32 v4, v68, v4, 0x7fff
; %bb.92:
	s_and_not1_saveexec_b32 s3, s3
; %bb.93:
	v_and_b32_e32 v4, 0xffff, v68
	v_or_b32_e32 v5, 0x10000, v68
	s_delay_alu instid0(VALU_DEP_2) | instskip(NEXT) | instid1(VALU_DEP_2)
	v_cmp_eq_u32_e32 vcc_lo, 0, v4
	v_cndmask_b32_e32 v4, v5, v68, vcc_lo
; %bb.94:
	s_or_b32 exec_lo, exec_lo, s3
	v_and_b32_e32 v5, 0x7f800000, v69
	s_delay_alu instid0(VALU_DEP_1) | instskip(SKIP_1) | instid1(SALU_CYCLE_1)
	v_cmp_ne_u32_e32 vcc_lo, 0x7f800000, v5
                                        ; implicit-def: $vgpr5
	s_and_saveexec_b32 s3, vcc_lo
	s_xor_b32 s3, exec_lo, s3
; %bb.95:
	v_bfe_u32 v5, v69, 16, 1
	s_delay_alu instid0(VALU_DEP_1)
	v_add3_u32 v5, v69, v5, 0x7fff
; %bb.96:
	s_and_not1_saveexec_b32 s3, s3
; %bb.97:
	v_and_b32_e32 v5, 0xffff, v69
	v_or_b32_e32 v6, 0x10000, v69
	s_delay_alu instid0(VALU_DEP_2) | instskip(NEXT) | instid1(VALU_DEP_2)
	v_cmp_eq_u32_e32 vcc_lo, 0, v5
	v_cndmask_b32_e32 v5, v6, v69, vcc_lo
; %bb.98:
	s_or_b32 exec_lo, exec_lo, s3
	v_and_b32_e32 v6, 0x7f800000, v70
	s_delay_alu instid0(VALU_DEP_1) | instskip(SKIP_1) | instid1(SALU_CYCLE_1)
	v_cmp_ne_u32_e32 vcc_lo, 0x7f800000, v6
                                        ; implicit-def: $vgpr6
	s_and_saveexec_b32 s3, vcc_lo
	s_xor_b32 s3, exec_lo, s3
; %bb.99:
	v_bfe_u32 v6, v70, 16, 1
	s_delay_alu instid0(VALU_DEP_1)
	v_add3_u32 v6, v70, v6, 0x7fff
; %bb.100:
	s_and_not1_saveexec_b32 s3, s3
; %bb.101:
	v_and_b32_e32 v6, 0xffff, v70
	v_or_b32_e32 v7, 0x10000, v70
	s_delay_alu instid0(VALU_DEP_2) | instskip(NEXT) | instid1(VALU_DEP_2)
	v_cmp_eq_u32_e32 vcc_lo, 0, v6
	v_cndmask_b32_e32 v6, v7, v70, vcc_lo
; %bb.102:
	s_or_b32 exec_lo, exec_lo, s3
	v_and_b32_e32 v7, 0x7f800000, v71
	s_delay_alu instid0(VALU_DEP_1) | instskip(SKIP_1) | instid1(SALU_CYCLE_1)
	v_cmp_ne_u32_e32 vcc_lo, 0x7f800000, v7
                                        ; implicit-def: $vgpr7
	s_and_saveexec_b32 s3, vcc_lo
	s_xor_b32 s3, exec_lo, s3
; %bb.103:
	v_bfe_u32 v7, v71, 16, 1
	s_delay_alu instid0(VALU_DEP_1)
	v_add3_u32 v7, v71, v7, 0x7fff
; %bb.104:
	s_and_not1_saveexec_b32 s3, s3
; %bb.105:
	v_and_b32_e32 v7, 0xffff, v71
	v_or_b32_e32 v8, 0x10000, v71
	s_delay_alu instid0(VALU_DEP_2) | instskip(NEXT) | instid1(VALU_DEP_2)
	v_cmp_eq_u32_e32 vcc_lo, 0, v7
	v_cndmask_b32_e32 v7, v8, v71, vcc_lo
; %bb.106:
	s_or_b32 exec_lo, exec_lo, s3
	v_and_b32_e32 v8, 0x7f800000, v72
	s_delay_alu instid0(VALU_DEP_1) | instskip(SKIP_1) | instid1(SALU_CYCLE_1)
	v_cmp_ne_u32_e32 vcc_lo, 0x7f800000, v8
                                        ; implicit-def: $vgpr8
	s_and_saveexec_b32 s3, vcc_lo
	s_xor_b32 s3, exec_lo, s3
; %bb.107:
	v_bfe_u32 v8, v72, 16, 1
	s_delay_alu instid0(VALU_DEP_1)
	v_add3_u32 v8, v72, v8, 0x7fff
                                        ; implicit-def: $vgpr65_vgpr66_vgpr67_vgpr68_vgpr69_vgpr70_vgpr71_vgpr72
; %bb.108:
	s_and_not1_saveexec_b32 s3, s3
; %bb.109:
	v_and_b32_e32 v8, 0xffff, v72
	v_or_b32_e32 v9, 0x10000, v72
	s_delay_alu instid0(VALU_DEP_2) | instskip(NEXT) | instid1(VALU_DEP_2)
	v_cmp_eq_u32_e32 vcc_lo, 0, v8
	v_cndmask_b32_e32 v8, v9, v72, vcc_lo
; %bb.110:
	s_or_b32 exec_lo, exec_lo, s3
	s_delay_alu instid0(VALU_DEP_1)
	v_perm_b32 v7, v8, v7, 0x7060302
	v_perm_b32 v6, v6, v5, 0x7060302
	;; [unrolled: 1-line block ×4, first 2 shown]
	s_barrier
	buffer_gl0_inv
	v_cmp_eq_u32_e32 vcc_lo, 1, v78
	ds_store_b128 v76, v[4:7]
	s_waitcnt lgkmcnt(0)
	s_barrier
	buffer_gl0_inv
	ds_load_b128 v[1:4], v82
	ds_load_b128 v[5:8], v82 offset:16
	v_cmp_eq_u32_e64 s3, 1, v79
	v_cmp_eq_u32_e64 s4, 2, v78
	;; [unrolled: 1-line block ×5, first 2 shown]
	s_waitcnt lgkmcnt(1)
	v_lshrrev_b32_e32 v9, 16, v1
	s_waitcnt lgkmcnt(0)
	v_lshrrev_b32_e32 v13, 16, v5
	v_lshrrev_b32_e32 v10, 16, v2
	;; [unrolled: 1-line block ×4, first 2 shown]
	v_cndmask_b32_e64 v19, v1, v9, s3
	v_cndmask_b32_e32 v18, v5, v13, vcc_lo
	v_cndmask_b32_e64 v20, v5, v13, s3
	v_cndmask_b32_e32 v17, v1, v9, vcc_lo
	v_cmp_eq_u32_e32 vcc_lo, 2, v79
	v_lshrrev_b32_e32 v15, 16, v7
	v_cmp_eq_u32_e64 s3, 1, v77
	v_lshrrev_b32_e32 v12, 16, v4
	v_lshrrev_b32_e32 v16, 16, v8
	v_cndmask_b32_e32 v20, v20, v6, vcc_lo
	v_cndmask_b32_e64 v17, v17, v2, s4
	v_cndmask_b32_e32 v19, v19, v2, vcc_lo
	v_cndmask_b32_e64 v18, v18, v6, s4
	v_cmp_eq_u32_e32 vcc_lo, 4, v78
	v_cmp_eq_u32_e64 s4, 3, v79
	v_cndmask_b32_e64 v17, v17, v10, s5
	v_cndmask_b32_e64 v21, v1, v9, s3
	;; [unrolled: 1-line block ×5, first 2 shown]
	v_cndmask_b32_e32 v17, v17, v3, vcc_lo
	v_cndmask_b32_e64 v20, v20, v14, s4
	v_cndmask_b32_e32 v18, v18, v7, vcc_lo
	v_cmp_eq_u32_e32 vcc_lo, 4, v79
	v_cmp_eq_u32_e64 s4, 5, v79
	v_cmp_eq_u32_e64 s3, 2, v81
	v_cndmask_b32_e64 v21, v21, v2, s7
	v_cmp_eq_u32_e64 s5, 5, v78
	v_cndmask_b32_e32 v19, v19, v3, vcc_lo
	v_cndmask_b32_e32 v20, v20, v7, vcc_lo
	v_cmp_eq_u32_e32 vcc_lo, 6, v79
	s_delay_alu instid0(VALU_DEP_4) | instskip(NEXT) | instid1(VALU_DEP_4)
	v_cndmask_b32_e64 v17, v17, v11, s5
	v_cndmask_b32_e64 v19, v19, v11, s4
	s_delay_alu instid0(VALU_DEP_4) | instskip(SKIP_1) | instid1(VALU_DEP_3)
	v_cndmask_b32_e64 v20, v20, v15, s4
	v_cmp_eq_u32_e64 s4, 1, v81
	v_cndmask_b32_e32 v19, v19, v4, vcc_lo
	v_cndmask_b32_e64 v18, v18, v15, s5
	s_delay_alu instid0(VALU_DEP_3)
	v_cndmask_b32_e64 v1, v1, v9, s4
	v_cndmask_b32_e64 v5, v5, v13, s4
	v_cmp_eq_u32_e64 s4, 3, v77
	v_cndmask_b32_e64 v13, v22, v6, s7
	v_cmp_eq_u32_e64 s7, 3, v81
	v_cndmask_b32_e64 v1, v1, v2, s3
	v_cndmask_b32_e64 v2, v5, v6, s3
	;; [unrolled: 1-line block ×3, first 2 shown]
	v_cmp_eq_u32_e64 s3, 4, v77
	v_cndmask_b32_e64 v6, v13, v14, s4
	v_cndmask_b32_e64 v1, v1, v10, s7
	v_cmp_eq_u32_e64 s4, 4, v81
	v_cndmask_b32_e64 v2, v2, v14, s7
	v_cndmask_b32_e64 v5, v9, v3, s3
	;; [unrolled: 3-line block ×3, first 2 shown]
	v_cndmask_b32_e64 v2, v2, v7, s4
	v_cmp_eq_u32_e64 s3, 5, v81
	v_cmp_eq_u32_e64 s5, 6, v78
	v_cndmask_b32_e64 v5, v5, v11, s7
	v_cmp_eq_u32_e64 s4, 6, v77
	v_cndmask_b32_e64 v3, v6, v15, s7
	v_cndmask_b32_e64 v1, v1, v11, s3
	v_cmp_eq_u32_e64 s7, 6, v81
	v_cndmask_b32_e64 v2, v2, v15, s3
	v_cndmask_b32_e64 v17, v17, v4, s5
	v_cndmask_b32_e64 v18, v18, v8, s5
	v_cmp_eq_u32_e64 s5, 7, v78
	v_cndmask_b32_e64 v5, v5, v4, s4
	;; [unrolled: 4-line block ×3, first 2 shown]
	v_cmp_eq_u32_e64 s4, 7, v77
	v_cndmask_b32_e32 v4, v20, v8, vcc_lo
	v_cndmask_b32_e64 v17, v17, v12, s5
	v_cndmask_b32_e64 v19, v19, v12, s6
	;; [unrolled: 1-line block ×8, first 2 shown]
	v_cmp_gt_u32_e32 vcc_lo, 32, v0
	v_perm_b32 v4, v2, v1, 0x5040100
	v_perm_b32 v3, v3, v5, 0x5040100
	;; [unrolled: 1-line block ×4, first 2 shown]
	s_and_b32 s2, vcc_lo, s2
	ds_store_b128 v76, v[1:4]
	s_waitcnt lgkmcnt(0)
	s_barrier
	buffer_gl0_inv
	s_and_saveexec_b32 s3, s2
	s_cbranch_execz .LBB1395_2
; %bb.111:
	s_load_b64 s[0:1], s[0:1], 0x68
	s_lshl_b32 s4, s34, 6
	v_or_b32_e32 v2, s31, v74
	s_mul_i32 s2, s4, s30
	v_lshlrev_b32_e32 v0, 10, v0
	s_mul_i32 s2, s2, s8
	v_lshlrev_b32_e32 v1, 4, v75
	s_ashr_i32 s3, s2, 31
	v_mul_lo_u32 v20, v2, s4
	s_lshl_b64 s[2:3], s[2:3], 1
	v_lshlrev_b32_e32 v3, 6, v74
	v_and_b32_e32 v0, 0x3800, v0
	s_delay_alu instid0(VALU_DEP_1) | instskip(NEXT) | instid1(VALU_DEP_4)
	v_or3_b32 v16, v0, v1, v3
	v_ashrrev_i32_e32 v21, 31, v20
	ds_load_b128 v[0:3], v16
	ds_load_b128 v[4:7], v16 offset:128
	s_waitcnt lgkmcnt(0)
	s_add_u32 s2, s0, s2
	s_addc_u32 s3, s1, s3
	s_lshl_b32 s0, s14, 6
	ds_load_b128 v[8:11], v16 offset:256
	ds_load_b128 v[12:15], v16 offset:384
	;; [unrolled: 1-line block ×3, first 2 shown]
	s_ashr_i32 s1, s0, 31
	s_delay_alu instid0(SALU_CYCLE_1) | instskip(NEXT) | instid1(SALU_CYCLE_1)
	s_lshl_b64 s[0:1], s[0:1], 1
	s_add_u32 s0, s2, s0
	s_addc_u32 s1, s3, s1
	s_lshl_b32 s2, s34, 7
	v_add_co_u32 v30, s0, s0, v73
	v_add_nc_u32_e32 v22, s2, v20
	v_lshlrev_b64 v[20:21], 1, v[20:21]
	v_add_co_ci_u32_e64 v31, null, s1, 0, s0
	s_delay_alu instid0(VALU_DEP_3) | instskip(SKIP_1) | instid1(VALU_DEP_4)
	v_add_nc_u32_e32 v24, s2, v22
	v_ashrrev_i32_e32 v23, 31, v22
	v_add_co_u32 v20, vcc_lo, v30, v20
	s_delay_alu instid0(VALU_DEP_4) | instskip(NEXT) | instid1(VALU_DEP_4)
	v_add_co_ci_u32_e32 v21, vcc_lo, v31, v21, vcc_lo
	v_add_nc_u32_e32 v26, s2, v24
	v_ashrrev_i32_e32 v25, 31, v24
	v_lshlrev_b64 v[22:23], 1, v[22:23]
	s_delay_alu instid0(VALU_DEP_3) | instskip(SKIP_1) | instid1(VALU_DEP_4)
	v_add_nc_u32_e32 v28, s2, v26
	v_ashrrev_i32_e32 v27, 31, v26
	v_lshlrev_b64 v[24:25], 1, v[24:25]
	s_delay_alu instid0(VALU_DEP_4) | instskip(NEXT) | instid1(VALU_DEP_4)
	v_add_co_u32 v22, vcc_lo, v30, v22
	v_ashrrev_i32_e32 v29, 31, v28
	s_delay_alu instid0(VALU_DEP_4) | instskip(SKIP_2) | instid1(VALU_DEP_4)
	v_lshlrev_b64 v[26:27], 1, v[26:27]
	v_add_co_ci_u32_e32 v23, vcc_lo, v31, v23, vcc_lo
	v_add_co_u32 v24, vcc_lo, v30, v24
	v_lshlrev_b64 v[28:29], 1, v[28:29]
	v_add_co_ci_u32_e32 v25, vcc_lo, v31, v25, vcc_lo
	v_add_co_u32 v26, vcc_lo, v30, v26
	v_add_co_ci_u32_e32 v27, vcc_lo, v31, v27, vcc_lo
	s_delay_alu instid0(VALU_DEP_4)
	v_add_co_u32 v28, vcc_lo, v30, v28
	v_add_co_ci_u32_e32 v29, vcc_lo, v31, v29, vcc_lo
	s_clause 0x1
	global_store_b128 v[20:21], v[0:3], off
	global_store_b128 v[22:23], v[4:7], off
	s_waitcnt lgkmcnt(2)
	global_store_b128 v[24:25], v[8:11], off
	s_waitcnt lgkmcnt(1)
	;; [unrolled: 2-line block ×3, first 2 shown]
	global_store_b128 v[28:29], v[16:19], off
	s_nop 0
	s_sendmsg sendmsg(MSG_DEALLOC_VGPRS)
	s_endpgm
	.section	.rodata,"a",@progbits
	.p2align	6, 0x0
	.amdhsa_kernel _Z39paged_attention_ll4mi_QKV_mfma16_kernelI14__hip_bfloat16hLN4vllm18Fp8KVCacheDataTypeE1ES0_Li16ELi64ELi256ELb1ELi10EL8MFMAType1EEvPKT_PKT0_S9_ifPKiSB_SB_iPKfiiiPfSE_PS4_PT2_iSD_SD_
		.amdhsa_group_segment_fixed_size 17472
		.amdhsa_private_segment_fixed_size 0
		.amdhsa_kernarg_size 400
		.amdhsa_user_sgpr_count 13
		.amdhsa_user_sgpr_dispatch_ptr 0
		.amdhsa_user_sgpr_queue_ptr 0
		.amdhsa_user_sgpr_kernarg_segment_ptr 1
		.amdhsa_user_sgpr_dispatch_id 0
		.amdhsa_user_sgpr_private_segment_size 0
		.amdhsa_wavefront_size32 1
		.amdhsa_uses_dynamic_stack 0
		.amdhsa_enable_private_segment 0
		.amdhsa_system_sgpr_workgroup_id_x 1
		.amdhsa_system_sgpr_workgroup_id_y 1
		.amdhsa_system_sgpr_workgroup_id_z 1
		.amdhsa_system_sgpr_workgroup_info 0
		.amdhsa_system_vgpr_workitem_id 0
		.amdhsa_next_free_vgpr 124
		.amdhsa_next_free_sgpr 38
		.amdhsa_reserve_vcc 1
		.amdhsa_float_round_mode_32 0
		.amdhsa_float_round_mode_16_64 0
		.amdhsa_float_denorm_mode_32 3
		.amdhsa_float_denorm_mode_16_64 3
		.amdhsa_dx10_clamp 1
		.amdhsa_ieee_mode 1
		.amdhsa_fp16_overflow 0
		.amdhsa_workgroup_processor_mode 1
		.amdhsa_memory_ordered 1
		.amdhsa_forward_progress 0
		.amdhsa_shared_vgpr_count 0
		.amdhsa_exception_fp_ieee_invalid_op 0
		.amdhsa_exception_fp_denorm_src 0
		.amdhsa_exception_fp_ieee_div_zero 0
		.amdhsa_exception_fp_ieee_overflow 0
		.amdhsa_exception_fp_ieee_underflow 0
		.amdhsa_exception_fp_ieee_inexact 0
		.amdhsa_exception_int_div_zero 0
	.end_amdhsa_kernel
	.section	.text._Z39paged_attention_ll4mi_QKV_mfma16_kernelI14__hip_bfloat16hLN4vllm18Fp8KVCacheDataTypeE1ES0_Li16ELi64ELi256ELb1ELi10EL8MFMAType1EEvPKT_PKT0_S9_ifPKiSB_SB_iPKfiiiPfSE_PS4_PT2_iSD_SD_,"axG",@progbits,_Z39paged_attention_ll4mi_QKV_mfma16_kernelI14__hip_bfloat16hLN4vllm18Fp8KVCacheDataTypeE1ES0_Li16ELi64ELi256ELb1ELi10EL8MFMAType1EEvPKT_PKT0_S9_ifPKiSB_SB_iPKfiiiPfSE_PS4_PT2_iSD_SD_,comdat
.Lfunc_end1395:
	.size	_Z39paged_attention_ll4mi_QKV_mfma16_kernelI14__hip_bfloat16hLN4vllm18Fp8KVCacheDataTypeE1ES0_Li16ELi64ELi256ELb1ELi10EL8MFMAType1EEvPKT_PKT0_S9_ifPKiSB_SB_iPKfiiiPfSE_PS4_PT2_iSD_SD_, .Lfunc_end1395-_Z39paged_attention_ll4mi_QKV_mfma16_kernelI14__hip_bfloat16hLN4vllm18Fp8KVCacheDataTypeE1ES0_Li16ELi64ELi256ELb1ELi10EL8MFMAType1EEvPKT_PKT0_S9_ifPKiSB_SB_iPKfiiiPfSE_PS4_PT2_iSD_SD_
                                        ; -- End function
	.section	.AMDGPU.csdata,"",@progbits
; Kernel info:
; codeLenInByte = 8760
; NumSgprs: 40
; NumVgprs: 124
; ScratchSize: 0
; MemoryBound: 0
; FloatMode: 240
; IeeeMode: 1
; LDSByteSize: 17472 bytes/workgroup (compile time only)
; SGPRBlocks: 4
; VGPRBlocks: 15
; NumSGPRsForWavesPerEU: 40
; NumVGPRsForWavesPerEU: 124
; Occupancy: 10
; WaveLimiterHint : 1
; COMPUTE_PGM_RSRC2:SCRATCH_EN: 0
; COMPUTE_PGM_RSRC2:USER_SGPR: 13
; COMPUTE_PGM_RSRC2:TRAP_HANDLER: 0
; COMPUTE_PGM_RSRC2:TGID_X_EN: 1
; COMPUTE_PGM_RSRC2:TGID_Y_EN: 1
; COMPUTE_PGM_RSRC2:TGID_Z_EN: 1
; COMPUTE_PGM_RSRC2:TIDIG_COMP_CNT: 0
	.section	.text._Z39paged_attention_ll4mi_QKV_mfma16_kernelI14__hip_bfloat16hLN4vllm18Fp8KVCacheDataTypeE1ES0_Li16ELi64ELi256ELb1ELi11EL8MFMAType1EEvPKT_PKT0_S9_ifPKiSB_SB_iPKfiiiPfSE_PS4_PT2_iSD_SD_,"axG",@progbits,_Z39paged_attention_ll4mi_QKV_mfma16_kernelI14__hip_bfloat16hLN4vllm18Fp8KVCacheDataTypeE1ES0_Li16ELi64ELi256ELb1ELi11EL8MFMAType1EEvPKT_PKT0_S9_ifPKiSB_SB_iPKfiiiPfSE_PS4_PT2_iSD_SD_,comdat
	.protected	_Z39paged_attention_ll4mi_QKV_mfma16_kernelI14__hip_bfloat16hLN4vllm18Fp8KVCacheDataTypeE1ES0_Li16ELi64ELi256ELb1ELi11EL8MFMAType1EEvPKT_PKT0_S9_ifPKiSB_SB_iPKfiiiPfSE_PS4_PT2_iSD_SD_ ; -- Begin function _Z39paged_attention_ll4mi_QKV_mfma16_kernelI14__hip_bfloat16hLN4vllm18Fp8KVCacheDataTypeE1ES0_Li16ELi64ELi256ELb1ELi11EL8MFMAType1EEvPKT_PKT0_S9_ifPKiSB_SB_iPKfiiiPfSE_PS4_PT2_iSD_SD_
	.globl	_Z39paged_attention_ll4mi_QKV_mfma16_kernelI14__hip_bfloat16hLN4vllm18Fp8KVCacheDataTypeE1ES0_Li16ELi64ELi256ELb1ELi11EL8MFMAType1EEvPKT_PKT0_S9_ifPKiSB_SB_iPKfiiiPfSE_PS4_PT2_iSD_SD_
	.p2align	8
	.type	_Z39paged_attention_ll4mi_QKV_mfma16_kernelI14__hip_bfloat16hLN4vllm18Fp8KVCacheDataTypeE1ES0_Li16ELi64ELi256ELb1ELi11EL8MFMAType1EEvPKT_PKT0_S9_ifPKiSB_SB_iPKfiiiPfSE_PS4_PT2_iSD_SD_,@function
_Z39paged_attention_ll4mi_QKV_mfma16_kernelI14__hip_bfloat16hLN4vllm18Fp8KVCacheDataTypeE1ES0_Li16ELi64ELi256ELb1ELi11EL8MFMAType1EEvPKT_PKT0_S9_ifPKiSB_SB_iPKfiiiPfSE_PS4_PT2_iSD_SD_: ; @_Z39paged_attention_ll4mi_QKV_mfma16_kernelI14__hip_bfloat16hLN4vllm18Fp8KVCacheDataTypeE1ES0_Li16ELi64ELi256ELb1ELi11EL8MFMAType1EEvPKT_PKT0_S9_ifPKiSB_SB_iPKfiiiPfSE_PS4_PT2_iSD_SD_
; %bb.0:
	s_load_b64 s[2:3], s[0:1], 0x30
	s_mov_b32 s34, s13
	s_waitcnt lgkmcnt(0)
	s_cmp_lg_u64 s[2:3], 0
	s_cselect_b32 s8, -1, 0
	s_ashr_i32 s35, s13, 31
	s_cmp_eq_u64 s[2:3], 0
	s_cbranch_scc1 .LBB1396_3
; %bb.1:
	s_lshl_b64 s[4:5], s[34:35], 2
	s_delay_alu instid0(SALU_CYCLE_1) | instskip(SKIP_4) | instid1(SALU_CYCLE_1)
	s_add_u32 s4, s2, s4
	s_addc_u32 s5, s3, s5
	s_load_b64 s[4:5], s[4:5], 0x0
	s_waitcnt lgkmcnt(0)
	s_sub_i32 s4, s5, s4
	s_cmp_eq_u32 s4, 1
	s_cselect_b32 s4, -1, 0
	s_delay_alu instid0(SALU_CYCLE_1)
	s_and_not1_b32 vcc_lo, exec_lo, s4
	s_cbranch_vccz .LBB1396_4
.LBB1396_2:
	s_nop 0
	s_sendmsg sendmsg(MSG_DEALLOC_VGPRS)
	s_endpgm
.LBB1396_3:
.LBB1396_4:
	s_load_b64 s[4:5], s[0:1], 0x28
	s_lshl_b64 s[6:7], s[34:35], 2
	s_waitcnt lgkmcnt(0)
	s_add_u32 s4, s4, s6
	s_addc_u32 s5, s5, s7
	s_lshl_b32 s12, s14, 8
	s_load_b32 s24, s[4:5], 0x0
	s_waitcnt lgkmcnt(0)
	s_cmp_ge_i32 s12, s24
	s_cbranch_scc1 .LBB1396_2
; %bb.5:
	s_clause 0x1
	s_load_b128 s[20:23], s[0:1], 0x8
	s_load_b64 s[4:5], s[0:1], 0x20
	s_and_not1_b32 vcc_lo, exec_lo, s8
	s_cbranch_vccnz .LBB1396_7
; %bb.6:
	s_add_u32 s2, s2, s6
	s_addc_u32 s3, s3, s7
	s_load_b32 s3, s[2:3], 0x0
	s_branch .LBB1396_8
.LBB1396_7:
	s_mov_b32 s3, s34
.LBB1396_8:
	s_load_b128 s[16:19], s[0:1], 0x48
	v_lshrrev_b32_e32 v66, 5, v0
	v_bfe_u32 v74, v0, 4, 1
	v_and_b32_e32 v65, 15, v0
	v_and_b32_e32 v67, 31, v0
	;; [unrolled: 1-line block ×3, first 2 shown]
	s_mul_i32 s31, s15, 11
	v_lshl_or_b32 v1, v66, 1, v74
	v_lshlrev_b32_e32 v2, 3, v65
	v_cmp_gt_u32_e64 s2, 8, v65
	s_delay_alu instid0(VALU_DEP_3) | instskip(NEXT) | instid1(VALU_DEP_3)
	v_cmp_gt_u32_e32 vcc_lo, 11, v1
	v_lshlrev_b32_e32 v73, 1, v2
	s_delay_alu instid0(VALU_DEP_3) | instskip(NEXT) | instid1(SALU_CYCLE_1)
	s_and_b32 s7, s2, vcc_lo
	s_and_saveexec_b32 s6, s7
	s_cbranch_execz .LBB1396_10
; %bb.9:
	s_load_b64 s[8:9], s[0:1], 0x0
	v_add_lshl_u32 v2, v1, s31, 6
	s_waitcnt lgkmcnt(0)
	s_mul_hi_i32 s11, s3, s16
	s_mul_i32 s10, s3, s16
	v_lshlrev_b32_e32 v6, 10, v65
	s_lshl_b64 s[10:11], s[10:11], 1
	v_ashrrev_i32_e32 v3, 31, v2
	v_lshlrev_b32_e32 v1, 6, v1
	v_lshlrev_b32_e32 v7, 10, v75
	v_and_b32_e32 v6, 0x3800, v6
	s_delay_alu instid0(VALU_DEP_4) | instskip(NEXT) | instid1(VALU_DEP_2)
	v_lshlrev_b64 v[2:3], 1, v[2:3]
	v_or3_b32 v1, v6, v7, v1
	s_add_u32 s3, s8, s10
	s_addc_u32 s7, s9, s11
	s_delay_alu instid0(VALU_DEP_2) | instskip(NEXT) | instid1(VALU_DEP_3)
	v_add_co_u32 v2, vcc_lo, s3, v2
	v_add_co_ci_u32_e32 v3, vcc_lo, s7, v3, vcc_lo
	s_delay_alu instid0(VALU_DEP_2) | instskip(NEXT) | instid1(VALU_DEP_2)
	v_add_co_u32 v2, vcc_lo, v2, v73
	v_add_co_ci_u32_e32 v3, vcc_lo, 0, v3, vcc_lo
	global_load_b128 v[2:5], v[2:3], off
	s_waitcnt vmcnt(0)
	ds_store_b128 v1, v[2:5]
.LBB1396_10:
	s_or_b32 exec_lo, exec_lo, s6
	v_and_b32_e32 v1, 0xef, v0
	s_waitcnt lgkmcnt(0)
	s_add_i32 s3, s24, 15
	s_clause 0x1
	s_load_b32 s6, s[0:1], 0x38
	s_load_b32 s19, s[0:1], 0x1c
	s_ashr_i32 s7, s3, 31
	v_add_nc_u32_e32 v1, s12, v1
	s_lshr_b32 s7, s7, 28
	s_waitcnt lgkmcnt(0)
	s_add_i32 s3, s3, s7
	s_barrier
	v_ashrrev_i32_e32 v2, 31, v1
	v_or_b32_e32 v3, 16, v1
	s_ashr_i32 s3, s3, 4
	v_cmp_gt_i32_e32 vcc_lo, s24, v1
	s_add_i32 s3, s3, -1
	v_lshrrev_b32_e32 v2, 28, v2
	buffer_gl0_inv
	s_mul_i32 s27, s15, s18
	v_add_nc_u32_e32 v4, v1, v2
	s_mul_i32 s6, s34, s6
	s_delay_alu instid0(SALU_CYCLE_1) | instskip(NEXT) | instid1(VALU_DEP_1)
	s_ashr_i32 s7, s6, 31
	v_ashrrev_i32_e32 v4, 4, v4
	v_add_nc_u32_e32 v2, v3, v2
	s_lshl_b64 s[6:7], s[6:7], 2
	s_delay_alu instid0(SALU_CYCLE_1) | instskip(NEXT) | instid1(VALU_DEP_2)
	s_add_u32 s26, s4, s6
	v_cndmask_b32_e32 v1, s3, v4, vcc_lo
	s_delay_alu instid0(VALU_DEP_2)
	v_ashrrev_i32_e32 v2, 4, v2
	v_cmp_gt_i32_e32 vcc_lo, s24, v3
	s_addc_u32 s25, s5, s7
	s_ashr_i32 s28, s27, 31
	s_add_u32 s13, s20, s27
	s_addc_u32 s15, s21, s28
	v_cndmask_b32_e32 v3, s3, v2, vcc_lo
	v_ashrrev_i32_e32 v2, 31, v1
	s_lshl_b32 s4, s14, 4
	s_delay_alu instid0(SALU_CYCLE_1) | instskip(NEXT) | instid1(VALU_DEP_2)
	s_ashr_i32 s5, s4, 31
	v_ashrrev_i32_e32 v4, 31, v3
	s_delay_alu instid0(VALU_DEP_2) | instskip(SKIP_1) | instid1(SALU_CYCLE_1)
	v_lshlrev_b64 v[1:2], 2, v[1:2]
	s_lshl_b64 s[4:5], s[4:5], 2
	s_add_u32 s4, s26, s4
	s_delay_alu instid0(VALU_DEP_2) | instskip(SKIP_1) | instid1(VALU_DEP_2)
	v_lshlrev_b64 v[3:4], 2, v[3:4]
	s_addc_u32 s5, s25, s5
	v_add_co_u32 v1, vcc_lo, s26, v1
	v_add_co_ci_u32_e32 v2, vcc_lo, s25, v2, vcc_lo
	s_delay_alu instid0(VALU_DEP_3) | instskip(NEXT) | instid1(VALU_DEP_4)
	v_add_co_u32 v3, vcc_lo, s26, v3
	v_add_co_ci_u32_e32 v4, vcc_lo, s25, v4, vcc_lo
	s_clause 0x1
	global_load_b32 v5, v[1:2], off
	global_load_b32 v7, v[3:4], off
	s_or_b32 s6, s12, 32
	v_lshlrev_b32_e32 v1, 4, v0
	s_ashr_i32 s7, s6, 4
	s_cmp_lt_i32 s6, s24
	v_cmp_gt_u32_e32 vcc_lo, 11, v65
	s_cselect_b32 s6, s7, s3
	v_and_b32_e32 v1, 0xf0, v1
	s_ashr_i32 s7, s6, 31
	s_delay_alu instid0(SALU_CYCLE_1) | instskip(NEXT) | instid1(SALU_CYCLE_1)
	s_lshl_b64 s[6:7], s[6:7], 2
	s_add_u32 s6, s26, s6
	s_addc_u32 s7, s25, s7
	s_or_b32 s8, s12, 64
	v_add_co_u32 v1, s13, s13, v1
	s_ashr_i32 s9, s8, 4
	s_cmp_lt_i32 s8, s24
	v_add_co_ci_u32_e64 v2, null, s15, 0, s13
	s_cselect_b32 s8, s9, s3
	s_delay_alu instid0(SALU_CYCLE_1) | instskip(NEXT) | instid1(SALU_CYCLE_1)
	s_ashr_i32 s9, s8, 31
	s_lshl_b64 s[8:9], s[8:9], 2
	s_delay_alu instid0(SALU_CYCLE_1) | instskip(SKIP_2) | instid1(SALU_CYCLE_1)
	s_add_u32 s8, s26, s8
	s_addc_u32 s9, s25, s9
	s_or_b32 s10, s12, 0x60
	s_ashr_i32 s11, s10, 4
	s_cmp_lt_i32 s10, s24
	s_cselect_b32 s10, s11, s3
	s_delay_alu instid0(SALU_CYCLE_1) | instskip(NEXT) | instid1(SALU_CYCLE_1)
	s_ashr_i32 s11, s10, 31
	s_lshl_b64 s[10:11], s[10:11], 2
	s_delay_alu instid0(SALU_CYCLE_1) | instskip(SKIP_2) | instid1(SALU_CYCLE_1)
	s_add_u32 s10, s26, s10
	s_addc_u32 s11, s25, s11
	s_or_b32 s16, s12, 0x80
	s_ashr_i32 s18, s16, 4
	s_cmp_lt_i32 s16, s24
	s_cselect_b32 s20, s18, s3
	s_delay_alu instid0(SALU_CYCLE_1) | instskip(NEXT) | instid1(SALU_CYCLE_1)
	s_ashr_i32 s21, s20, 31
	s_lshl_b64 s[20:21], s[20:21], 2
	s_delay_alu instid0(SALU_CYCLE_1) | instskip(SKIP_2) | instid1(SALU_CYCLE_1)
	s_add_u32 s36, s26, s20
	s_addc_u32 s37, s25, s21
	s_or_b32 s16, s12, 0xa0
	s_ashr_i32 s18, s16, 4
	s_cmp_lt_i32 s16, s24
	s_cselect_b32 s20, s18, s3
	s_delay_alu instid0(SALU_CYCLE_1) | instskip(NEXT) | instid1(SALU_CYCLE_1)
	s_ashr_i32 s21, s20, 31
	s_lshl_b64 s[20:21], s[20:21], 2
	s_delay_alu instid0(SALU_CYCLE_1)
	s_add_u32 s38, s26, s20
	s_addc_u32 s39, s25, s21
	s_clause 0x5
	s_load_b32 s21, s[4:5], 0x0
	s_load_b32 s13, s[6:7], 0x0
	;; [unrolled: 1-line block ×6, first 2 shown]
	s_or_b32 s8, s12, 0xc0
	s_mov_b32 s4, 0
	s_ashr_i32 s9, s8, 4
	s_cmp_lt_i32 s8, s24
	s_mov_b32 s11, s4
	s_cselect_b32 s36, s9, s3
	s_mov_b32 s5, s4
	s_ashr_i32 s37, s36, 31
	s_mov_b32 s6, s4
	s_lshl_b64 s[36:37], s[36:37], 2
	s_mov_b32 s7, s4
	s_add_u32 s36, s26, s36
	s_addc_u32 s37, s25, s37
	s_or_b32 s29, s12, 0xe0
	s_mov_b32 s8, s4
	s_ashr_i32 s30, s29, 4
	s_mov_b32 s9, s4
	s_mov_b32 s10, s4
	s_cmp_lt_i32 s29, s24
	v_dual_mov_b32 v107, s11 :: v_dual_mov_b32 v100, s4
	v_mov_b32_e32 v106, s10
	v_dual_mov_b32 v104, s8 :: v_dual_mov_b32 v103, s7
	v_dual_mov_b32 v102, s6 :: v_dual_mov_b32 v101, s5
	s_waitcnt vmcnt(1)
	v_mad_i64_i32 v[3:4], null, v5, s17, v[1:2]
	s_waitcnt vmcnt(0)
	v_mad_i64_i32 v[5:6], null, v7, s17, v[1:2]
	v_add_nc_u32_e32 v1, -11, v65
	v_lshlrev_b32_e32 v2, 4, v65
	s_clause 0x7
	global_load_b128 v[49:52], v[3:4], off
	global_load_b128 v[53:56], v[3:4], off offset:256
	global_load_b128 v[76:79], v[5:6], off
	global_load_b128 v[80:83], v[5:6], off offset:256
	global_load_b128 v[84:87], v[3:4], off offset:512
	;; [unrolled: 1-line block ×5, first 2 shown]
	v_cndmask_b32_e32 v1, v1, v65, vcc_lo
	v_mov_b32_e32 v105, s9
	s_cselect_b32 s4, s30, s3
	v_lshl_or_b32 v2, v66, 8, v2
	s_ashr_i32 s5, s4, 31
	v_lshlrev_b32_e32 v70, 6, v1
	s_lshl_b64 s[4:5], s[4:5], 2
	s_load_b32 s3, s[36:37], 0x0
	s_add_u32 s4, s26, s4
	s_addc_u32 s5, s25, s5
	ds_load_b128 v[108:111], v70
	ds_load_b128 v[112:115], v70 offset:1024
	s_load_b32 s4, s[4:5], 0x0
	s_add_u32 s6, s22, s27
	s_addc_u32 s7, s23, s28
	v_add_co_u32 v9, s6, s6, v2
	s_delay_alu instid0(VALU_DEP_1) | instskip(SKIP_1) | instid1(VALU_DEP_1)
	v_add_co_ci_u32_e64 v10, null, s7, 0, s6
	s_waitcnt lgkmcnt(0)
	v_mad_i64_i32 v[1:2], null, s21, s17, v[9:10]
	v_mad_i64_i32 v[3:4], null, s13, s17, v[9:10]
	v_mad_i64_i32 v[5:6], null, s15, s17, v[9:10]
	v_mad_i64_i32 v[7:8], null, s16, s17, v[9:10]
	v_mad_i64_i32 v[13:14], null, s20, s17, v[9:10]
	v_mad_i64_i32 v[11:12], null, s18, s17, v[9:10]
	v_mad_i64_i32 v[21:22], null, s3, s17, v[9:10]
	s_clause 0x9
	global_load_b128 v[57:60], v[1:2], off
	global_load_b128 v[61:64], v[1:2], off offset:16
	global_load_b128 v[41:44], v[3:4], off
	global_load_b128 v[45:48], v[3:4], off offset:16
	;; [unrolled: 2-line block ×5, first 2 shown]
	v_mad_i64_i32 v[68:69], null, s4, s17, v[9:10]
	s_clause 0x3
	global_load_b128 v[9:12], v[13:14], off
	global_load_b128 v[13:16], v[13:14], off offset:16
	global_load_b128 v[17:20], v[21:22], off
	global_load_b128 v[21:24], v[21:22], off offset:16
	s_waitcnt vmcnt(20)
	v_wmma_f32_16x16x16_bf16 v[116:123], v[49:56], v[108:115], v[100:107]
	s_clause 0x1
	global_load_b128 v[49:52], v[68:69], off
	global_load_b128 v[53:56], v[68:69], off offset:16
	v_and_b32_e32 v68, 0xe0, v0
	v_mbcnt_lo_u32_b32 v69, -1, 0
	s_delay_alu instid0(VALU_DEP_2)
	v_add_nc_u32_e32 v68, s12, v68
	s_waitcnt vmcnt(20)
	v_wmma_f32_16x16x16_bf16 v[100:107], v[76:83], v[108:115], v[100:107]
	ds_load_b128 v[76:79], v70 offset:2048
	ds_load_b128 v[80:83], v70 offset:3072
	v_xor_b32_e32 v70, 16, v69
	s_waitcnt vmcnt(0) lgkmcnt(0)
	v_or_b32_e32 v68, v68, v74
	s_barrier
	buffer_gl0_inv
	v_cmp_gt_i32_e32 vcc_lo, 32, v70
	v_or_b32_e32 v71, 4, v68
	v_or_b32_e32 v72, 6, v68
	v_cmp_gt_i32_e64 s3, s24, v68
	v_or_b32_e32 v108, 8, v68
	v_or_b32_e32 v109, 10, v68
	v_cmp_gt_i32_e64 s4, s24, v71
	v_cmp_gt_i32_e64 s5, s24, v72
	s_delay_alu instid0(VALU_DEP_4) | instskip(NEXT) | instid1(VALU_DEP_4)
	v_cmp_gt_i32_e64 s6, s24, v108
	v_cmp_gt_i32_e64 s7, s24, v109
	v_wmma_f32_16x16x16_bf16 v[116:123], v[84:91], v[76:83], v[116:123]
	v_cndmask_b32_e32 v69, v69, v70, vcc_lo
	v_or_b32_e32 v70, 2, v68
	v_wmma_f32_16x16x16_bf16 v[100:107], v[92:99], v[76:83], v[100:107]
	v_or_b32_e32 v89, 22, v68
	v_dual_mul_f32 v82, s19, v119 :: v_dual_mul_f32 v79, s19, v122
	v_dual_mul_f32 v92, s19, v117 :: v_dual_mul_f32 v93, s19, v116
	s_delay_alu instid0(VALU_DEP_4) | instskip(SKIP_2) | instid1(VALU_DEP_4)
	v_mul_f32_e32 v98, s19, v103
	v_cmp_gt_i32_e32 vcc_lo, s24, v70
	v_dual_mul_f32 v83, s19, v118 :: v_dual_mul_f32 v96, s19, v105
	v_cndmask_b32_e64 v93, 0xff7fffff, v93, s3
	v_or_b32_e32 v84, 12, v68
	v_cndmask_b32_e32 v92, 0xff7fffff, v92, vcc_lo
	v_or_b32_e32 v85, 14, v68
	v_dual_mul_f32 v80, s19, v121 :: v_dual_mul_f32 v81, s19, v120
	v_mul_f32_e32 v94, s19, v107
	v_cndmask_b32_e64 v71, 0xff7fffff, v83, s4
	v_cndmask_b32_e64 v72, 0xff7fffff, v82, s5
	v_cmp_gt_i32_e64 s13, s24, v89
	v_lshlrev_b32_e32 v89, 2, v69
	v_max3_f32 v82, v93, 0xff7fffff, v92
	v_or_b32_e32 v86, 16, v68
	v_or_b32_e32 v87, 18, v68
	v_mul_f32_e32 v78, s19, v123
	v_cndmask_b32_e64 v81, 0xff7fffff, v81, s6
	v_cndmask_b32_e64 v80, 0xff7fffff, v80, s7
	v_max3_f32 v71, v82, v71, v72
	v_cmp_gt_i32_e64 s8, s24, v84
	v_cmp_gt_i32_e64 s9, s24, v85
	v_or_b32_e32 v88, 20, v68
	v_or_b32_e32 v90, 24, v68
	v_or_b32_e32 v91, 26, v68
	v_or_b32_e32 v76, 28, v68
	v_or_b32_e32 v77, 30, v68
	v_dual_mul_f32 v95, s19, v106 :: v_dual_mul_f32 v70, s19, v101
	v_dual_mul_f32 v99, s19, v102 :: v_dual_mul_f32 v68, s19, v100
	v_cndmask_b32_e64 v72, 0xff7fffff, v79, s8
	v_cndmask_b32_e64 v78, 0xff7fffff, v78, s9
	v_max3_f32 v71, v71, v81, v80
	v_cmp_gt_i32_e64 s10, s24, v86
	v_cmp_gt_i32_e64 s11, s24, v87
	v_cmp_gt_i32_e64 s12, s24, v88
	v_mul_f32_e32 v97, s19, v104
	v_max3_f32 v71, v71, v72, v78
	v_cndmask_b32_e64 v68, 0xff7fffff, v68, s10
	v_cndmask_b32_e64 v70, 0xff7fffff, v70, s11
	;; [unrolled: 1-line block ×4, first 2 shown]
	v_cmp_gt_i32_e64 s15, s24, v90
	v_cmp_gt_i32_e64 s16, s24, v91
	v_max3_f32 v68, v71, v68, v70
	v_cmp_gt_i32_e64 s17, s24, v76
	v_cmp_gt_i32_e64 s18, s24, v77
	v_cndmask_b32_e64 v70, 0xff7fffff, v97, s15
	v_cndmask_b32_e64 v71, 0xff7fffff, v96, s16
	v_max3_f32 v68, v68, v72, v78
	v_cndmask_b32_e64 v72, 0xff7fffff, v95, s17
	v_cndmask_b32_e64 v76, 0xff7fffff, v94, s18
	s_delay_alu instid0(VALU_DEP_3) | instskip(NEXT) | instid1(VALU_DEP_1)
	v_max3_f32 v68, v68, v70, v71
	v_max3_f32 v68, v68, v72, v76
	ds_bpermute_b32 v69, v89, v68
	s_waitcnt lgkmcnt(0)
	v_max_f32_e32 v69, v69, v69
	s_delay_alu instid0(VALU_DEP_1) | instskip(NEXT) | instid1(VALU_DEP_1)
	v_max_f32_e32 v68, v68, v69
	v_fma_f32 v69, s19, v116, -v68
	v_fma_f32 v70, s19, v117, -v68
	;; [unrolled: 1-line block ×5, first 2 shown]
	s_delay_alu instid0(VALU_DEP_4) | instskip(NEXT) | instid1(VALU_DEP_4)
	v_dual_mul_f32 v69, 0x3fb8aa3b, v69 :: v_dual_mul_f32 v70, 0x3fb8aa3b, v70
	v_mul_f32_e32 v72, 0x3fb8aa3b, v72
	v_fma_f32 v78, s19, v122, -v68
	s_delay_alu instid0(VALU_DEP_4) | instskip(NEXT) | instid1(VALU_DEP_4)
	v_mul_f32_e32 v77, 0x3fb8aa3b, v76
	v_exp_f32_e32 v69, v69
	v_exp_f32_e32 v70, v70
	v_mul_f32_e32 v71, 0x3fb8aa3b, v71
	v_exp_f32_e32 v72, v72
	v_mul_f32_e32 v78, 0x3fb8aa3b, v78
	v_exp_f32_e32 v77, v77
	v_fma_f32 v81, s19, v105, -v68
	s_delay_alu instid0(VALU_DEP_2)
	v_exp_f32_e32 v78, v78
	v_cndmask_b32_e64 v80, 0, v69, s3
	v_cndmask_b32_e32 v76, 0, v70, vcc_lo
	v_exp_f32_e32 v71, v71
	v_fma_f32 v69, s19, v121, -v68
	v_cndmask_b32_e64 v85, 0, v72, s5
	v_add_f32_e32 v70, 0, v80
	s_delay_alu instid0(TRANS32_DEP_3)
	v_cndmask_b32_e64 v86, 0, v77, s6
	v_fma_f32 v77, s19, v101, -v68
	v_mul_f32_e32 v69, 0x3fb8aa3b, v69
	v_fma_f32 v72, s19, v100, -v68
	v_cndmask_b32_e64 v84, 0, v78, s8
	v_fma_f32 v78, s19, v103, -v68
	v_cndmask_b32_e64 v83, 0, v71, s4
	v_fma_f32 v71, s19, v123, -v68
	v_add_f32_e32 v70, v70, v76
	v_exp_f32_e32 v69, v69
	v_mul_f32_e32 v77, 0x3fb8aa3b, v77
	v_mul_f32_e32 v81, 0x3fb8aa3b, v81
	;; [unrolled: 1-line block ×3, first 2 shown]
	v_add_f32_e32 v70, v70, v83
	v_cmp_gt_u32_e64 s3, 16, v67
	v_exp_f32_e32 v77, v77
	v_exp_f32_e32 v81, v81
	;; [unrolled: 1-line block ×3, first 2 shown]
	v_cndmask_b32_e64 v87, 0, v69, s7
	v_add_f32_e32 v70, v70, v85
	s_delay_alu instid0(VALU_DEP_1) | instskip(SKIP_1) | instid1(VALU_DEP_2)
	v_dual_mul_f32 v72, 0x3fb8aa3b, v72 :: v_dual_add_f32 v69, v70, v86
	v_fma_f32 v70, s19, v102, -v68
	v_exp_f32_e32 v72, v72
	s_waitcnt_depctr 0xfff
	v_cndmask_b32_e64 v88, 0, v71, s9
	v_fma_f32 v71, s19, v104, -v68
	v_dual_add_f32 v69, v69, v87 :: v_dual_mul_f32 v70, 0x3fb8aa3b, v70
	s_delay_alu instid0(VALU_DEP_2) | instskip(NEXT) | instid1(VALU_DEP_2)
	v_dual_mul_f32 v78, 0x3fb8aa3b, v78 :: v_dual_mul_f32 v71, 0x3fb8aa3b, v71
	v_add_f32_e32 v69, v69, v84
	s_delay_alu instid0(VALU_DEP_3) | instskip(SKIP_1) | instid1(VALU_DEP_3)
	v_exp_f32_e32 v79, v70
	v_cndmask_b32_e64 v70, 0, v72, s10
	v_exp_f32_e32 v78, v78
	v_exp_f32_e32 v82, v71
	v_add_f32_e32 v72, v69, v88
	v_cndmask_b32_e64 v69, 0, v77, s11
	v_fma_f32 v77, s19, v106, -v68
	s_delay_alu instid0(VALU_DEP_3) | instskip(NEXT) | instid1(TRANS32_DEP_3)
	v_add_f32_e32 v72, v72, v70
	v_cndmask_b32_e64 v71, 0, v79, s12
	s_delay_alu instid0(VALU_DEP_3) | instskip(NEXT) | instid1(VALU_DEP_3)
	v_mul_f32_e32 v77, 0x3fb8aa3b, v77
	v_add_f32_e32 v79, v72, v69
	s_delay_alu instid0(TRANS32_DEP_2) | instskip(NEXT) | instid1(VALU_DEP_3)
	v_cndmask_b32_e64 v72, 0, v78, s13
	v_exp_f32_e32 v90, v77
	v_cndmask_b32_e64 v77, 0, v82, s15
	s_delay_alu instid0(VALU_DEP_3) | instskip(SKIP_1) | instid1(VALU_DEP_1)
	v_add_f32_e32 v78, v79, v71
	v_fma_f32 v79, s19, v107, -v68
	v_dual_add_f32 v82, v78, v72 :: v_dual_mul_f32 v79, 0x3fb8aa3b, v79
	v_cndmask_b32_e64 v78, 0, v81, s16
	s_delay_alu instid0(VALU_DEP_2) | instskip(NEXT) | instid1(VALU_DEP_3)
	v_add_f32_e32 v81, v82, v77
	v_exp_f32_e32 v82, v79
	s_delay_alu instid0(TRANS32_DEP_2) | instskip(NEXT) | instid1(VALU_DEP_2)
	v_cndmask_b32_e64 v79, 0, v90, s17
	v_add_f32_e32 v81, v81, v78
	s_delay_alu instid0(VALU_DEP_1) | instskip(SKIP_2) | instid1(VALU_DEP_1)
	v_add_f32_e32 v90, v81, v79
	s_waitcnt_depctr 0xfff
	v_cndmask_b32_e64 v81, 0, v82, s18
	v_add_f32_e32 v82, v90, v81
	ds_bpermute_b32 v89, v89, v82
	s_and_saveexec_b32 s4, s3
	s_cbranch_execz .LBB1396_12
; %bb.11:
	v_mul_u32_u24_e32 v67, 0x44, v66
	s_delay_alu instid0(VALU_DEP_1) | instskip(SKIP_1) | instid1(VALU_DEP_1)
	v_lshl_add_u32 v67, v65, 2, v67
	s_waitcnt lgkmcnt(0)
	v_dual_add_f32 v82, v82, v89 :: v_dual_add_nc_u32 v67, 0x4000, v67
	ds_store_2addr_b32 v67, v68, v82 offset1:136
.LBB1396_12:
	s_or_b32 exec_lo, exec_lo, s4
	v_lshlrev_b32_e32 v67, 2, v65
	s_waitcnt lgkmcnt(0)
	s_barrier
	buffer_gl0_inv
	v_cmp_eq_u32_e32 vcc_lo, 1, v66
	v_add_nc_u32_e32 v82, 0x4000, v67
	v_cmp_eq_u32_e64 s4, 2, v66
	v_cmp_eq_u32_e64 s6, 7, v66
	ds_load_2addr_b32 v[89:90], v82 offset1:17
	ds_load_2addr_b32 v[91:92], v82 offset0:34 offset1:51
	ds_load_2addr_b32 v[93:94], v82 offset0:68 offset1:85
	;; [unrolled: 1-line block ×4, first 2 shown]
	s_waitcnt lgkmcnt(4)
	v_max3_f32 v67, v89, 0xff7fffff, v90
	s_waitcnt lgkmcnt(3)
	s_delay_alu instid0(VALU_DEP_1) | instskip(SKIP_1) | instid1(VALU_DEP_1)
	v_max3_f32 v67, v67, v91, v92
	s_waitcnt lgkmcnt(2)
	v_max3_f32 v67, v67, v93, v94
	s_waitcnt lgkmcnt(1)
	s_delay_alu instid0(VALU_DEP_1) | instskip(NEXT) | instid1(VALU_DEP_1)
	v_max3_f32 v67, v67, v95, v96
	v_sub_f32_e32 v93, v93, v67
	s_delay_alu instid0(VALU_DEP_1) | instskip(NEXT) | instid1(VALU_DEP_1)
	v_dual_sub_f32 v68, v89, v67 :: v_dual_mul_f32 v103, 0x3fb8aa3b, v93
	v_mul_f32_e32 v68, 0x3fb8aa3b, v68
	s_delay_alu instid0(VALU_DEP_1)
	v_exp_f32_e32 v100, v68
	v_sub_f32_e32 v68, v92, v67
	v_sub_f32_e32 v99, v90, v67
	ds_load_2addr_b32 v[89:90], v82 offset0:170 offset1:187
	v_dual_mul_f32 v102, 0x3fb8aa3b, v68 :: v_dual_mul_f32 v99, 0x3fb8aa3b, v99
	s_waitcnt lgkmcnt(1)
	v_fma_f32 v68, v100, v97, 0
	s_delay_alu instid0(VALU_DEP_2) | instskip(NEXT) | instid1(VALU_DEP_2)
	v_exp_f32_e32 v102, v102
	v_exp_f32_e32 v99, v99
	s_waitcnt_depctr 0xfff
	v_fmac_f32_e32 v68, v99, v98
	v_sub_f32_e32 v91, v91, v67
	s_delay_alu instid0(VALU_DEP_1)
	v_mul_f32_e32 v101, 0x3fb8aa3b, v91
	ds_load_2addr_b32 v[91:92], v82 offset0:204 offset1:221
	v_sub_f32_e32 v97, v94, v67
	ds_load_2addr_b32 v[93:94], v82 offset0:238 offset1:255
	s_waitcnt lgkmcnt(0)
	v_exp_f32_e32 v101, v101
	s_barrier
	buffer_gl0_inv
	v_dual_fmac_f32 v68, v101, v89 :: v_dual_sub_f32 v89, v96, v67
	v_dual_sub_f32 v82, v95, v67 :: v_dual_mul_f32 v95, 0x3fb8aa3b, v97
	v_exp_f32_e32 v97, v103
	s_delay_alu instid0(VALU_DEP_2) | instskip(NEXT) | instid1(VALU_DEP_2)
	v_dual_fmac_f32 v68, v102, v90 :: v_dual_mul_f32 v89, 0x3fb8aa3b, v89
	v_mul_f32_e32 v82, 0x3fb8aa3b, v82
	s_delay_alu instid0(VALU_DEP_3) | instskip(NEXT) | instid1(VALU_DEP_2)
	v_exp_f32_e32 v95, v95
	v_exp_f32_e32 v89, v89
	s_delay_alu instid0(VALU_DEP_1)
	v_exp_f32_e32 v82, v82
	v_fmac_f32_e32 v68, v97, v91
	s_delay_alu instid0(TRANS32_DEP_3) | instid1(VALU_DEP_1)
	v_fmac_f32_e32 v68, v95, v92
	s_waitcnt_depctr 0xfff
	v_fmac_f32_e32 v68, v82, v93
	s_delay_alu instid0(VALU_DEP_1) | instskip(NEXT) | instid1(VALU_DEP_1)
	v_fmac_f32_e32 v68, v89, v94
	v_add_f32_e32 v90, 0x358637bd, v68
	s_delay_alu instid0(VALU_DEP_1) | instskip(NEXT) | instid1(VALU_DEP_1)
	v_div_scale_f32 v91, null, v90, v90, 1.0
	v_rcp_f32_e32 v92, v91
	s_waitcnt_depctr 0xfff
	v_fma_f32 v93, -v91, v92, 1.0
	s_delay_alu instid0(VALU_DEP_1) | instskip(SKIP_1) | instid1(VALU_DEP_2)
	v_dual_fmac_f32 v92, v93, v92 :: v_dual_cndmask_b32 v93, v100, v99
	v_cmp_eq_u32_e32 vcc_lo, 3, v66
	v_cndmask_b32_e64 v93, v93, v101, s4
	v_cmp_eq_u32_e64 s4, 4, v66
	s_delay_alu instid0(VALU_DEP_2) | instskip(SKIP_1) | instid1(VALU_DEP_2)
	v_cndmask_b32_e32 v93, v93, v102, vcc_lo
	v_cmp_eq_u32_e32 vcc_lo, 5, v66
	v_cndmask_b32_e64 v93, v93, v97, s4
	v_cmp_eq_u32_e64 s4, 6, v66
	s_delay_alu instid0(VALU_DEP_2) | instskip(SKIP_1) | instid1(VALU_DEP_1)
	v_cndmask_b32_e32 v93, v93, v95, vcc_lo
	v_div_scale_f32 v94, s5, 1.0, v90, 1.0
	s_mov_b32 vcc_lo, s5
	s_delay_alu instid0(VALU_DEP_2) | instskip(NEXT) | instid1(VALU_DEP_2)
	v_cndmask_b32_e64 v82, v93, v82, s4
	v_mul_f32_e32 v96, v94, v92
	s_mov_b32 s4, exec_lo
	s_delay_alu instid0(VALU_DEP_2) | instskip(NEXT) | instid1(VALU_DEP_2)
	v_cndmask_b32_e64 v82, v82, v89, s6
	v_fma_f32 v98, -v91, v96, v94
	s_delay_alu instid0(VALU_DEP_1) | instskip(NEXT) | instid1(VALU_DEP_1)
	v_fmac_f32_e32 v96, v98, v92
	v_fma_f32 v91, -v91, v96, v94
	s_delay_alu instid0(VALU_DEP_1) | instskip(NEXT) | instid1(VALU_DEP_1)
	v_div_fmas_f32 v91, v91, v92, v96
	v_div_fixup_f32 v90, v91, v90, 1.0
	s_delay_alu instid0(VALU_DEP_1) | instskip(NEXT) | instid1(VALU_DEP_1)
	v_mul_f32_e32 v82, v82, v90
	v_mul_f32_e32 v87, v82, v87
	;; [unrolled: 1-line block ×7, first 2 shown]
	v_dual_mul_f32 v86, v82, v83 :: v_dual_and_b32 v91, 0x7f800000, v90
	v_mul_f32_e32 v85, v82, v76
                                        ; implicit-def: $vgpr76
	s_delay_alu instid0(VALU_DEP_2)
	v_cmpx_ne_u32_e32 0x7f800000, v91
	s_xor_b32 s4, exec_lo, s4
; %bb.13:
	v_bfe_u32 v76, v90, 16, 1
	s_delay_alu instid0(VALU_DEP_1)
	v_add3_u32 v76, v90, v76, 0x7fff
                                        ; implicit-def: $vgpr90
; %bb.14:
	s_and_not1_saveexec_b32 s4, s4
; %bb.15:
	v_and_b32_e32 v76, 0xffff, v90
	v_or_b32_e32 v83, 0x10000, v90
	s_delay_alu instid0(VALU_DEP_2) | instskip(NEXT) | instid1(VALU_DEP_2)
	v_cmp_eq_u32_e32 vcc_lo, 0, v76
	v_cndmask_b32_e32 v76, v83, v90, vcc_lo
; %bb.16:
	s_or_b32 exec_lo, exec_lo, s4
	v_and_b32_e32 v83, 0x7f800000, v85
	s_delay_alu instid0(VALU_DEP_1) | instskip(SKIP_1) | instid1(SALU_CYCLE_1)
	v_cmp_ne_u32_e32 vcc_lo, 0x7f800000, v83
                                        ; implicit-def: $vgpr83
	s_and_saveexec_b32 s4, vcc_lo
	s_xor_b32 s4, exec_lo, s4
; %bb.17:
	v_bfe_u32 v83, v85, 16, 1
	s_delay_alu instid0(VALU_DEP_1)
	v_add3_u32 v83, v85, v83, 0x7fff
                                        ; implicit-def: $vgpr85
; %bb.18:
	s_and_not1_saveexec_b32 s4, s4
; %bb.19:
	v_and_b32_e32 v83, 0xffff, v85
	v_or_b32_e32 v90, 0x10000, v85
	s_delay_alu instid0(VALU_DEP_2) | instskip(NEXT) | instid1(VALU_DEP_2)
	v_cmp_eq_u32_e32 vcc_lo, 0, v83
	v_cndmask_b32_e32 v83, v90, v85, vcc_lo
; %bb.20:
	s_or_b32 exec_lo, exec_lo, s4
	v_and_b32_e32 v85, 0x7f800000, v86
	s_delay_alu instid0(VALU_DEP_1) | instskip(SKIP_1) | instid1(SALU_CYCLE_1)
	v_cmp_ne_u32_e32 vcc_lo, 0x7f800000, v85
                                        ; implicit-def: $vgpr85
	s_and_saveexec_b32 s4, vcc_lo
	s_xor_b32 s4, exec_lo, s4
; %bb.21:
	v_bfe_u32 v85, v86, 16, 1
	s_delay_alu instid0(VALU_DEP_1)
	v_add3_u32 v85, v86, v85, 0x7fff
                                        ; implicit-def: $vgpr86
; %bb.22:
	s_and_not1_saveexec_b32 s4, s4
; %bb.23:
	v_and_b32_e32 v85, 0xffff, v86
	v_or_b32_e32 v90, 0x10000, v86
	s_delay_alu instid0(VALU_DEP_2) | instskip(NEXT) | instid1(VALU_DEP_2)
	v_cmp_eq_u32_e32 vcc_lo, 0, v85
	v_cndmask_b32_e32 v85, v90, v86, vcc_lo
; %bb.24:
	s_or_b32 exec_lo, exec_lo, s4
	v_and_b32_e32 v86, 0x7f800000, v89
	s_delay_alu instid0(VALU_DEP_1) | instskip(SKIP_1) | instid1(SALU_CYCLE_1)
	v_cmp_ne_u32_e32 vcc_lo, 0x7f800000, v86
                                        ; implicit-def: $vgpr86
	s_and_saveexec_b32 s4, vcc_lo
	s_xor_b32 s4, exec_lo, s4
; %bb.25:
	v_bfe_u32 v86, v89, 16, 1
	s_delay_alu instid0(VALU_DEP_1)
	v_add3_u32 v86, v89, v86, 0x7fff
                                        ; implicit-def: $vgpr89
; %bb.26:
	s_and_not1_saveexec_b32 s4, s4
; %bb.27:
	v_and_b32_e32 v86, 0xffff, v89
	v_or_b32_e32 v90, 0x10000, v89
	s_delay_alu instid0(VALU_DEP_2) | instskip(NEXT) | instid1(VALU_DEP_2)
	v_cmp_eq_u32_e32 vcc_lo, 0, v86
	v_cndmask_b32_e32 v86, v90, v89, vcc_lo
; %bb.28:
	s_or_b32 exec_lo, exec_lo, s4
	v_and_b32_e32 v89, 0x7f800000, v88
	s_delay_alu instid0(VALU_DEP_1) | instskip(SKIP_1) | instid1(SALU_CYCLE_1)
	v_cmp_ne_u32_e32 vcc_lo, 0x7f800000, v89
                                        ; implicit-def: $vgpr89
	s_and_saveexec_b32 s4, vcc_lo
	s_xor_b32 s4, exec_lo, s4
; %bb.29:
	v_bfe_u32 v89, v88, 16, 1
	s_delay_alu instid0(VALU_DEP_1)
	v_add3_u32 v89, v88, v89, 0x7fff
                                        ; implicit-def: $vgpr88
; %bb.30:
	s_and_not1_saveexec_b32 s4, s4
; %bb.31:
	v_and_b32_e32 v89, 0xffff, v88
	v_or_b32_e32 v90, 0x10000, v88
	s_delay_alu instid0(VALU_DEP_2) | instskip(NEXT) | instid1(VALU_DEP_2)
	v_cmp_eq_u32_e32 vcc_lo, 0, v89
	v_cndmask_b32_e32 v89, v90, v88, vcc_lo
; %bb.32:
	s_or_b32 exec_lo, exec_lo, s4
	v_and_b32_e32 v88, 0x7f800000, v87
	s_delay_alu instid0(VALU_DEP_1) | instskip(SKIP_1) | instid1(SALU_CYCLE_1)
	v_cmp_ne_u32_e32 vcc_lo, 0x7f800000, v88
                                        ; implicit-def: $vgpr88
	s_and_saveexec_b32 s4, vcc_lo
	s_xor_b32 s4, exec_lo, s4
; %bb.33:
	v_bfe_u32 v88, v87, 16, 1
	s_delay_alu instid0(VALU_DEP_1)
	v_add3_u32 v88, v87, v88, 0x7fff
                                        ; implicit-def: $vgpr87
; %bb.34:
	s_and_not1_saveexec_b32 s4, s4
; %bb.35:
	v_and_b32_e32 v88, 0xffff, v87
	v_or_b32_e32 v90, 0x10000, v87
	s_delay_alu instid0(VALU_DEP_2) | instskip(NEXT) | instid1(VALU_DEP_2)
	v_cmp_eq_u32_e32 vcc_lo, 0, v88
	v_cndmask_b32_e32 v88, v90, v87, vcc_lo
; %bb.36:
	s_or_b32 exec_lo, exec_lo, s4
	v_and_b32_e32 v87, 0x7f800000, v84
	s_delay_alu instid0(VALU_DEP_1) | instskip(SKIP_1) | instid1(SALU_CYCLE_1)
	v_cmp_ne_u32_e32 vcc_lo, 0x7f800000, v87
                                        ; implicit-def: $vgpr87
	s_and_saveexec_b32 s4, vcc_lo
	s_xor_b32 s4, exec_lo, s4
; %bb.37:
	v_bfe_u32 v87, v84, 16, 1
	s_delay_alu instid0(VALU_DEP_1)
	v_add3_u32 v87, v84, v87, 0x7fff
                                        ; implicit-def: $vgpr84
; %bb.38:
	s_and_not1_saveexec_b32 s4, s4
; %bb.39:
	v_and_b32_e32 v87, 0xffff, v84
	v_or_b32_e32 v90, 0x10000, v84
	s_delay_alu instid0(VALU_DEP_2) | instskip(NEXT) | instid1(VALU_DEP_2)
	v_cmp_eq_u32_e32 vcc_lo, 0, v87
	v_cndmask_b32_e32 v87, v90, v84, vcc_lo
; %bb.40:
	s_or_b32 exec_lo, exec_lo, s4
	v_and_b32_e32 v84, 0x7f800000, v80
	s_delay_alu instid0(VALU_DEP_1) | instskip(SKIP_1) | instid1(SALU_CYCLE_1)
	v_cmp_ne_u32_e32 vcc_lo, 0x7f800000, v84
                                        ; implicit-def: $vgpr84
	s_and_saveexec_b32 s4, vcc_lo
	s_xor_b32 s4, exec_lo, s4
; %bb.41:
	v_bfe_u32 v84, v80, 16, 1
	s_delay_alu instid0(VALU_DEP_1)
	v_add3_u32 v84, v80, v84, 0x7fff
                                        ; implicit-def: $vgpr80
; %bb.42:
	s_and_not1_saveexec_b32 s4, s4
; %bb.43:
	v_and_b32_e32 v84, 0xffff, v80
	v_or_b32_e32 v90, 0x10000, v80
	s_delay_alu instid0(VALU_DEP_2) | instskip(NEXT) | instid1(VALU_DEP_2)
	v_cmp_eq_u32_e32 vcc_lo, 0, v84
	v_cndmask_b32_e32 v84, v90, v80, vcc_lo
; %bb.44:
	s_or_b32 exec_lo, exec_lo, s4
	s_load_b64 s[36:37], s[0:1], 0x94
	v_lshlrev_b32_e32 v91, 4, v74
	s_delay_alu instid0(VALU_DEP_2)
	v_perm_b32 v90, v84, v87, 0x7060302
	v_dual_mul_f32 v79, v82, v79 :: v_dual_lshlrev_b32 v80, 6, v65
	v_dual_mul_f32 v77, v82, v77 :: v_dual_lshlrev_b32 v92, 11, v66
	v_mul_f32_e32 v84, v82, v70
	v_perm_b32 v89, v88, v89, 0x7060302
	v_perm_b32 v88, v86, v85, 0x7060302
	;; [unrolled: 1-line block ×3, first 2 shown]
	v_mul_f32_e32 v70, v82, v81
	v_or3_b32 v76, v91, v92, v80
	v_dual_mul_f32 v78, v82, v78 :: v_dual_and_b32 v85, 0x7f800000, v84
	v_mul_f32_e32 v83, v82, v72
	v_mul_f32_e32 v81, v82, v71
	;; [unrolled: 1-line block ×3, first 2 shown]
	s_mov_b32 s4, exec_lo
	ds_store_b128 v76, v[87:90]
                                        ; implicit-def: $vgpr69
	v_cmpx_ne_u32_e32 0x7f800000, v85
	s_xor_b32 s4, exec_lo, s4
; %bb.45:
	v_bfe_u32 v69, v84, 16, 1
	s_delay_alu instid0(VALU_DEP_1)
	v_add3_u32 v69, v84, v69, 0x7fff
                                        ; implicit-def: $vgpr84
; %bb.46:
	s_and_not1_saveexec_b32 s4, s4
; %bb.47:
	v_and_b32_e32 v69, 0xffff, v84
	v_or_b32_e32 v71, 0x10000, v84
	s_delay_alu instid0(VALU_DEP_2) | instskip(NEXT) | instid1(VALU_DEP_2)
	v_cmp_eq_u32_e32 vcc_lo, 0, v69
	v_cndmask_b32_e32 v69, v71, v84, vcc_lo
; %bb.48:
	s_or_b32 exec_lo, exec_lo, s4
	v_and_b32_e32 v71, 0x7f800000, v72
	s_delay_alu instid0(VALU_DEP_1) | instskip(SKIP_1) | instid1(SALU_CYCLE_1)
	v_cmp_ne_u32_e32 vcc_lo, 0x7f800000, v71
                                        ; implicit-def: $vgpr71
	s_and_saveexec_b32 s4, vcc_lo
	s_xor_b32 s4, exec_lo, s4
; %bb.49:
	v_bfe_u32 v71, v72, 16, 1
	s_delay_alu instid0(VALU_DEP_1)
	v_add3_u32 v71, v72, v71, 0x7fff
                                        ; implicit-def: $vgpr72
; %bb.50:
	s_and_not1_saveexec_b32 s4, s4
; %bb.51:
	v_and_b32_e32 v71, 0xffff, v72
	v_or_b32_e32 v82, 0x10000, v72
	s_delay_alu instid0(VALU_DEP_2) | instskip(NEXT) | instid1(VALU_DEP_2)
	v_cmp_eq_u32_e32 vcc_lo, 0, v71
	v_cndmask_b32_e32 v71, v82, v72, vcc_lo
; %bb.52:
	s_or_b32 exec_lo, exec_lo, s4
	v_and_b32_e32 v72, 0x7f800000, v81
	s_delay_alu instid0(VALU_DEP_1) | instskip(SKIP_1) | instid1(SALU_CYCLE_1)
	v_cmp_ne_u32_e32 vcc_lo, 0x7f800000, v72
                                        ; implicit-def: $vgpr72
	s_and_saveexec_b32 s4, vcc_lo
	s_xor_b32 s4, exec_lo, s4
; %bb.53:
	v_bfe_u32 v72, v81, 16, 1
	s_delay_alu instid0(VALU_DEP_1)
	v_add3_u32 v72, v81, v72, 0x7fff
                                        ; implicit-def: $vgpr81
; %bb.54:
	s_and_not1_saveexec_b32 s4, s4
; %bb.55:
	v_and_b32_e32 v72, 0xffff, v81
	v_or_b32_e32 v82, 0x10000, v81
	s_delay_alu instid0(VALU_DEP_2) | instskip(NEXT) | instid1(VALU_DEP_2)
	v_cmp_eq_u32_e32 vcc_lo, 0, v72
	v_cndmask_b32_e32 v72, v82, v81, vcc_lo
; %bb.56:
	s_or_b32 exec_lo, exec_lo, s4
	v_and_b32_e32 v81, 0x7f800000, v83
	s_delay_alu instid0(VALU_DEP_1) | instskip(SKIP_1) | instid1(SALU_CYCLE_1)
	v_cmp_ne_u32_e32 vcc_lo, 0x7f800000, v81
                                        ; implicit-def: $vgpr81
	s_and_saveexec_b32 s4, vcc_lo
	s_xor_b32 s4, exec_lo, s4
; %bb.57:
	v_bfe_u32 v81, v83, 16, 1
	s_delay_alu instid0(VALU_DEP_1)
	v_add3_u32 v81, v83, v81, 0x7fff
                                        ; implicit-def: $vgpr83
; %bb.58:
	s_and_not1_saveexec_b32 s4, s4
; %bb.59:
	v_and_b32_e32 v81, 0xffff, v83
	v_or_b32_e32 v82, 0x10000, v83
	s_delay_alu instid0(VALU_DEP_2) | instskip(NEXT) | instid1(VALU_DEP_2)
	v_cmp_eq_u32_e32 vcc_lo, 0, v81
	v_cndmask_b32_e32 v81, v82, v83, vcc_lo
; %bb.60:
	s_or_b32 exec_lo, exec_lo, s4
	v_and_b32_e32 v82, 0x7f800000, v77
	s_delay_alu instid0(VALU_DEP_1) | instskip(SKIP_1) | instid1(SALU_CYCLE_1)
	v_cmp_ne_u32_e32 vcc_lo, 0x7f800000, v82
                                        ; implicit-def: $vgpr82
	s_and_saveexec_b32 s4, vcc_lo
	s_xor_b32 s4, exec_lo, s4
; %bb.61:
	v_bfe_u32 v82, v77, 16, 1
	s_delay_alu instid0(VALU_DEP_1)
	v_add3_u32 v82, v77, v82, 0x7fff
                                        ; implicit-def: $vgpr77
; %bb.62:
	s_and_not1_saveexec_b32 s4, s4
; %bb.63:
	v_and_b32_e32 v82, 0xffff, v77
	v_or_b32_e32 v83, 0x10000, v77
	s_delay_alu instid0(VALU_DEP_2) | instskip(NEXT) | instid1(VALU_DEP_2)
	v_cmp_eq_u32_e32 vcc_lo, 0, v82
	v_cndmask_b32_e32 v82, v83, v77, vcc_lo
; %bb.64:
	s_or_b32 exec_lo, exec_lo, s4
	v_and_b32_e32 v77, 0x7f800000, v78
	s_delay_alu instid0(VALU_DEP_1) | instskip(SKIP_1) | instid1(SALU_CYCLE_1)
	v_cmp_ne_u32_e32 vcc_lo, 0x7f800000, v77
                                        ; implicit-def: $vgpr77
	s_and_saveexec_b32 s4, vcc_lo
	s_xor_b32 s4, exec_lo, s4
; %bb.65:
	v_bfe_u32 v77, v78, 16, 1
	s_delay_alu instid0(VALU_DEP_1)
	v_add3_u32 v77, v78, v77, 0x7fff
                                        ; implicit-def: $vgpr78
; %bb.66:
	s_and_not1_saveexec_b32 s4, s4
; %bb.67:
	v_and_b32_e32 v77, 0xffff, v78
	v_or_b32_e32 v83, 0x10000, v78
	s_delay_alu instid0(VALU_DEP_2) | instskip(NEXT) | instid1(VALU_DEP_2)
	v_cmp_eq_u32_e32 vcc_lo, 0, v77
	v_cndmask_b32_e32 v77, v83, v78, vcc_lo
; %bb.68:
	s_or_b32 exec_lo, exec_lo, s4
	v_and_b32_e32 v78, 0x7f800000, v79
	s_delay_alu instid0(VALU_DEP_1) | instskip(SKIP_1) | instid1(SALU_CYCLE_1)
	v_cmp_ne_u32_e32 vcc_lo, 0x7f800000, v78
                                        ; implicit-def: $vgpr78
	s_and_saveexec_b32 s4, vcc_lo
	s_xor_b32 s4, exec_lo, s4
; %bb.69:
	v_bfe_u32 v78, v79, 16, 1
	s_delay_alu instid0(VALU_DEP_1)
	v_add3_u32 v78, v79, v78, 0x7fff
                                        ; implicit-def: $vgpr79
; %bb.70:
	s_and_not1_saveexec_b32 s4, s4
; %bb.71:
	v_and_b32_e32 v78, 0xffff, v79
	v_or_b32_e32 v83, 0x10000, v79
	s_delay_alu instid0(VALU_DEP_2) | instskip(NEXT) | instid1(VALU_DEP_2)
	v_cmp_eq_u32_e32 vcc_lo, 0, v78
	v_cndmask_b32_e32 v78, v83, v79, vcc_lo
; %bb.72:
	s_or_b32 exec_lo, exec_lo, s4
	v_and_b32_e32 v79, 0x7f800000, v70
	s_delay_alu instid0(VALU_DEP_1) | instskip(SKIP_1) | instid1(SALU_CYCLE_1)
	v_cmp_ne_u32_e32 vcc_lo, 0x7f800000, v79
                                        ; implicit-def: $vgpr79
	s_and_saveexec_b32 s4, vcc_lo
	s_xor_b32 s4, exec_lo, s4
; %bb.73:
	v_bfe_u32 v79, v70, 16, 1
	s_delay_alu instid0(VALU_DEP_1)
	v_add3_u32 v79, v70, v79, 0x7fff
                                        ; implicit-def: $vgpr70
; %bb.74:
	s_and_not1_saveexec_b32 s4, s4
; %bb.75:
	v_and_b32_e32 v79, 0xffff, v70
	v_or_b32_e32 v83, 0x10000, v70
	s_delay_alu instid0(VALU_DEP_2) | instskip(NEXT) | instid1(VALU_DEP_2)
	v_cmp_eq_u32_e32 vcc_lo, 0, v79
	v_cndmask_b32_e32 v79, v83, v70, vcc_lo
; %bb.76:
	s_or_b32 exec_lo, exec_lo, s4
	s_delay_alu instid0(VALU_DEP_1)
	v_perm_b32 v86, v79, v78, 0x7060302
	v_perm_b32 v85, v77, v82, 0x7060302
	;; [unrolled: 1-line block ×4, first 2 shown]
	v_lshl_or_b32 v82, v66, 11, v80
	ds_store_b128 v76, v[83:86] offset:1024
	s_waitcnt lgkmcnt(0)
	s_barrier
	buffer_gl0_inv
	ds_load_b128 v[69:72], v82
	ds_load_b128 v[83:86], v82 offset:16
	s_waitcnt lgkmcnt(1)
	v_lshrrev_b32_e32 v66, 16, v69
	s_waitcnt lgkmcnt(0)
	v_lshrrev_b32_e32 v91, 16, v83
	v_lshlrev_b32_e32 v78, 2, v74
	v_lshrrev_b32_e32 v95, 16, v70
	v_lshrrev_b32_e32 v98, 16, v84
	;; [unrolled: 1-line block ×4, first 2 shown]
	v_cmp_eq_u32_e32 vcc_lo, 1, v78
	v_lshrrev_b32_e32 v97, 16, v72
	v_lshrrev_b32_e32 v100, 16, v86
	v_cndmask_b32_e32 v87, v83, v91, vcc_lo
	v_or_b32_e32 v79, 1, v78
	v_cndmask_b32_e32 v81, v69, v66, vcc_lo
	v_cmp_eq_u32_e64 s5, 2, v78
	v_cmp_eq_u32_e64 s8, 3, v78
	;; [unrolled: 1-line block ×5, first 2 shown]
	v_cndmask_b32_e64 v81, v81, v70, s5
	v_cndmask_b32_e64 v87, v87, v84, s5
	v_cmp_eq_u32_e64 s9, 3, v79
	v_cndmask_b32_e64 v88, v69, v66, s4
	v_or_b32_e32 v77, 2, v78
	v_cndmask_b32_e64 v81, v81, v95, s8
	v_cndmask_b32_e64 v87, v87, v98, s8
	;; [unrolled: 1-line block ×4, first 2 shown]
	v_cmp_eq_u32_e64 s11, 5, v78
	v_cndmask_b32_e64 v81, v81, v71, s10
	v_cndmask_b32_e64 v87, v87, v85, s10
	v_cmp_eq_u32_e64 s12, 4, v79
	v_cndmask_b32_e64 v88, v88, v95, s9
	v_cmp_eq_u32_e64 s6, 1, v77
	v_cndmask_b32_e64 v89, v89, v84, s7
	v_cndmask_b32_e64 v81, v81, v96, s11
	v_cmp_eq_u32_e64 s13, 6, v78
	v_cndmask_b32_e64 v88, v88, v71, s12
	;; [unrolled: 3-line block ×3, first 2 shown]
	v_cndmask_b32_e64 v89, v89, v98, s9
	v_cndmask_b32_e64 v81, v81, v72, s13
	v_cmp_eq_u32_e64 s16, 7, v78
	v_cndmask_b32_e64 v88, v88, v96, s15
	v_cndmask_b32_e64 v87, v87, v86, s13
	v_cmp_eq_u32_e64 s17, 6, v79
	v_cmp_eq_u32_e64 s18, 2, v77
	v_cndmask_b32_e64 v89, v89, v85, s12
	v_cndmask_b32_e64 v101, v81, v97, s16
	;; [unrolled: 1-line block ×6, first 2 shown]
	v_cmp_eq_u32_e64 s19, 7, v79
	v_cmp_eq_u32_e64 s20, 3, v77
	;; [unrolled: 1-line block ×4, first 2 shown]
	v_cndmask_b32_e64 v87, v87, v84, s18
	v_cndmask_b32_e64 v103, v88, v97, s19
	;; [unrolled: 1-line block ×4, first 2 shown]
	v_or_b32_e32 v81, 3, v78
	v_cndmask_b32_e64 v93, v87, v98, s20
	v_cmp_eq_u32_e64 s25, 6, v77
	v_cndmask_b32_e64 v104, v88, v86, s17
	v_cndmask_b32_e64 v92, v89, v71, s21
	v_cmp_eq_u32_e64 s22, 1, v81
	ds_load_b128 v[87:90], v82 offset:1024
	v_cmp_eq_u32_e64 s24, 2, v81
	v_cmp_eq_u32_e64 s26, 3, v81
	v_cndmask_b32_e64 v105, v92, v96, s23
	v_cndmask_b32_e64 v66, v69, v66, s22
	;; [unrolled: 1-line block ×4, first 2 shown]
	ds_load_b128 v[91:94], v82 offset:1040
	v_cmp_eq_u32_e64 s27, 4, v81
	v_cndmask_b32_e64 v66, v66, v70, s24
	v_cmp_eq_u32_e64 s28, 7, v77
	v_cndmask_b32_e64 v70, v83, v84, s24
	v_cndmask_b32_e64 v84, v105, v72, s25
	v_cmp_eq_u32_e64 s29, 5, v81
	v_cndmask_b32_e64 v66, v66, v95, s26
	v_cmp_eq_u32_e64 s30, 6, v81
	v_cndmask_b32_e64 v70, v70, v98, s26
	v_cndmask_b32_e64 v69, v69, v99, s23
	;; [unrolled: 1-line block ×4, first 2 shown]
	s_waitcnt lgkmcnt(1)
	v_lshrrev_b32_e32 v95, 16, v87
	v_cndmask_b32_e64 v70, v70, v85, s27
	v_cndmask_b32_e64 v71, v84, v97, s28
	;; [unrolled: 1-line block ×4, first 2 shown]
	v_cndmask_b32_e32 v84, v87, v95, vcc_lo
	v_cndmask_b32_e64 v70, v70, v99, s29
	s_waitcnt lgkmcnt(0)
	v_lshrrev_b32_e32 v85, 16, v91
	v_lshrrev_b32_e32 v96, 16, v88
	v_cndmask_b32_e64 v98, v87, v95, s4
	v_cndmask_b32_e64 v84, v84, v88, s5
	v_cndmask_b32_e64 v70, v70, v86, s30
	v_cndmask_b32_e32 v99, v91, v85, vcc_lo
	v_cmp_eq_u32_e32 vcc_lo, 7, v81
	v_cndmask_b32_e64 v66, v66, v72, s30
	v_cndmask_b32_e64 v72, v84, v96, s8
	;; [unrolled: 1-line block ×3, first 2 shown]
	v_lshrrev_b32_e32 v98, 16, v92
	v_cndmask_b32_e32 v70, v70, v100, vcc_lo
	v_cndmask_b32_e64 v86, v99, v92, s5
	v_cndmask_b32_e64 v69, v69, v100, s28
	v_lshrrev_b32_e32 v100, 16, v93
	v_cndmask_b32_e64 v72, v72, v89, s10
	v_lshrrev_b32_e32 v99, 16, v89
	v_cndmask_b32_e64 v86, v86, v98, s8
	v_perm_b32 v71, v69, v71, 0x5040100
	v_cndmask_b32_e64 v84, v84, v96, s9
	s_delay_alu instid0(VALU_DEP_3) | instskip(NEXT) | instid1(VALU_DEP_2)
	v_cndmask_b32_e64 v86, v86, v93, s10
	v_cndmask_b32_e64 v84, v84, v89, s12
	s_delay_alu instid0(VALU_DEP_2) | instskip(NEXT) | instid1(VALU_DEP_1)
	v_cndmask_b32_e64 v86, v86, v100, s11
	v_cndmask_b32_e64 v69, v86, v94, s13
	;; [unrolled: 1-line block ×5, first 2 shown]
	s_delay_alu instid0(VALU_DEP_3) | instskip(NEXT) | instid1(VALU_DEP_3)
	v_cndmask_b32_e64 v86, v86, v88, s18
	v_cndmask_b32_e64 v87, v87, v88, s24
	s_delay_alu instid0(VALU_DEP_3) | instskip(NEXT) | instid1(VALU_DEP_3)
	v_cndmask_b32_e64 v88, v95, v92, s24
	v_cndmask_b32_e64 v86, v86, v96, s20
	;; [unrolled: 3-line block ×7, first 2 shown]
	s_delay_alu instid0(VALU_DEP_3) | instskip(SKIP_2) | instid1(VALU_DEP_2)
	v_cndmask_b32_e64 v88, v88, v94, s30
	v_cndmask_b32_e32 v66, v66, v97, vcc_lo
	v_cndmask_b32_e64 v97, v72, v99, s11
	v_perm_b32 v72, v70, v66, 0x5040100
	v_perm_b32 v70, v83, v103, 0x5040100
	v_cndmask_b32_e64 v103, v91, v85, s6
	v_cndmask_b32_e64 v85, v91, v85, s4
	;; [unrolled: 1-line block ×4, first 2 shown]
	v_lshrrev_b32_e32 v97, 16, v90
	v_cndmask_b32_e64 v91, v103, v92, s18
	v_cndmask_b32_e64 v85, v85, v92, s7
	;; [unrolled: 1-line block ×3, first 2 shown]
	s_mov_b32 s4, exec_lo
	v_cndmask_b32_e64 v83, v84, v97, s16
	v_cndmask_b32_e64 v91, v91, v98, s20
	;; [unrolled: 1-line block ×3, first 2 shown]
	v_lshrrev_b32_e32 v84, 16, v94
	v_cndmask_b32_e64 v66, v66, v97, s19
	v_cndmask_b32_e64 v90, v86, v97, s28
	;; [unrolled: 1-line block ×4, first 2 shown]
	v_dual_cndmask_b32 v86, v87, v97 :: v_dual_cndmask_b32 v87, v88, v84
	v_cndmask_b32_e64 v91, v69, v84, s16
	s_delay_alu instid0(VALU_DEP_4) | instskip(NEXT) | instid1(VALU_DEP_4)
	v_cndmask_b32_e64 v89, v89, v100, s23
	v_cndmask_b32_e64 v85, v85, v100, s15
	v_perm_b32 v69, v102, v101, 0x5040100
	v_perm_b32 v86, v87, v86, 0x5040100
	;; [unrolled: 1-line block ×3, first 2 shown]
	v_cndmask_b32_e64 v89, v89, v94, s25
	v_cndmask_b32_e64 v85, v85, v94, s17
	s_mul_i32 s9, s37, 11
	s_delay_alu instid0(VALU_DEP_2) | instskip(NEXT) | instid1(VALU_DEP_2)
	v_cndmask_b32_e64 v88, v89, v84, s28
	v_cndmask_b32_e64 v89, v85, v84, s19
	s_delay_alu instid0(VALU_DEP_2) | instskip(NEXT) | instid1(VALU_DEP_2)
	v_perm_b32 v85, v88, v90, 0x5040100
	v_perm_b32 v84, v89, v66, 0x5040100
	ds_store_b128 v76, v[69:72]
	ds_store_b128 v76, v[83:86] offset:1024
	v_cmpx_gt_u32_e32 11, v0
	s_cbranch_execz .LBB1396_78
; %bb.77:
	s_mul_i32 s5, s9, s34
	s_load_b128 s[16:19], s[0:1], 0x58
	v_add3_u32 v69, s5, s31, v65
	s_delay_alu instid0(VALU_DEP_1) | instskip(NEXT) | instid1(VALU_DEP_1)
	v_mad_u64_u32 v[65:66], null, v69, s36, s[14:15]
	v_ashrrev_i32_e32 v66, 31, v65
	s_delay_alu instid0(VALU_DEP_1) | instskip(SKIP_1) | instid1(VALU_DEP_1)
	v_lshlrev_b64 v[65:66], 2, v[65:66]
	s_waitcnt lgkmcnt(0)
	v_add_co_u32 v69, vcc_lo, s18, v65
	s_delay_alu instid0(VALU_DEP_2)
	v_add_co_ci_u32_e32 v70, vcc_lo, s19, v66, vcc_lo
	v_add_co_u32 v65, vcc_lo, s16, v65
	v_add_co_ci_u32_e32 v66, vcc_lo, s17, v66, vcc_lo
	global_store_b32 v[69:70], v67, off
	global_store_b32 v[65:66], v68, off
.LBB1396_78:
	s_or_b32 exec_lo, exec_lo, s4
	s_waitcnt lgkmcnt(0)
	s_waitcnt_vscnt null, 0x0
	s_barrier
	buffer_gl0_inv
	ds_load_b128 v[83:86], v80
	ds_load_b128 v[87:90], v80 offset:16
	ds_load_b128 v[95:98], v80 offset:2064
	ds_load_b128 v[91:94], v80 offset:2048
	v_mov_b32_e32 v65, 0
	ds_load_b128 v[103:106], v80 offset:4112
	ds_load_b128 v[99:102], v80 offset:4096
	;; [unrolled: 1-line block ×4, first 2 shown]
	v_mov_b32_e32 v66, v65
	v_mov_b32_e32 v67, v65
	;; [unrolled: 1-line block ×7, first 2 shown]
	s_waitcnt lgkmcnt(6)
	s_delay_alu instid0(VALU_DEP_1)
	v_wmma_f32_16x16x16_bf16 v[65:72], v[57:64], v[83:90], v[65:72]
	ds_load_b128 v[61:64], v80 offset:8208
	ds_load_b128 v[57:60], v80 offset:8192
	s_waitcnt lgkmcnt(6)
	v_wmma_f32_16x16x16_bf16 v[65:72], v[41:48], v[91:98], v[65:72]
	ds_load_b128 v[45:48], v80 offset:10256
	ds_load_b128 v[41:44], v80 offset:10240
	s_waitcnt lgkmcnt(6)
	;; [unrolled: 4-line block ×4, first 2 shown]
	v_wmma_f32_16x16x16_bf16 v[65:72], v[1:8], v[57:64], v[65:72]
	s_waitcnt lgkmcnt(4)
	s_delay_alu instid0(VALU_DEP_1) | instskip(SKIP_1) | instid1(VALU_DEP_1)
	v_wmma_f32_16x16x16_bf16 v[65:72], v[9:16], v[41:48], v[65:72]
	s_waitcnt lgkmcnt(2)
	v_wmma_f32_16x16x16_bf16 v[65:72], v[17:24], v[33:40], v[65:72]
	s_waitcnt lgkmcnt(0)
	s_delay_alu instid0(VALU_DEP_1) | instskip(NEXT) | instid1(VALU_DEP_1)
	v_wmma_f32_16x16x16_bf16 v[65:72], v[49:56], v[25:32], v[65:72]
	v_and_b32_e32 v1, 0x7f800000, v65
	s_delay_alu instid0(VALU_DEP_1) | instskip(SKIP_1) | instid1(SALU_CYCLE_1)
	v_cmp_ne_u32_e32 vcc_lo, 0x7f800000, v1
                                        ; implicit-def: $vgpr1
	s_and_saveexec_b32 s4, vcc_lo
	s_xor_b32 s4, exec_lo, s4
; %bb.79:
	v_bfe_u32 v1, v65, 16, 1
	s_delay_alu instid0(VALU_DEP_1)
	v_add3_u32 v1, v65, v1, 0x7fff
; %bb.80:
	s_and_not1_saveexec_b32 s4, s4
; %bb.81:
	v_and_b32_e32 v1, 0xffff, v65
	v_or_b32_e32 v2, 0x10000, v65
	s_delay_alu instid0(VALU_DEP_2) | instskip(NEXT) | instid1(VALU_DEP_2)
	v_cmp_eq_u32_e32 vcc_lo, 0, v1
	v_cndmask_b32_e32 v1, v2, v65, vcc_lo
; %bb.82:
	s_or_b32 exec_lo, exec_lo, s4
	v_and_b32_e32 v2, 0x7f800000, v66
	s_delay_alu instid0(VALU_DEP_1) | instskip(SKIP_1) | instid1(SALU_CYCLE_1)
	v_cmp_ne_u32_e32 vcc_lo, 0x7f800000, v2
                                        ; implicit-def: $vgpr2
	s_and_saveexec_b32 s4, vcc_lo
	s_xor_b32 s4, exec_lo, s4
; %bb.83:
	v_bfe_u32 v2, v66, 16, 1
	s_delay_alu instid0(VALU_DEP_1)
	v_add3_u32 v2, v66, v2, 0x7fff
; %bb.84:
	s_and_not1_saveexec_b32 s4, s4
; %bb.85:
	v_and_b32_e32 v2, 0xffff, v66
	v_or_b32_e32 v3, 0x10000, v66
	s_delay_alu instid0(VALU_DEP_2) | instskip(NEXT) | instid1(VALU_DEP_2)
	v_cmp_eq_u32_e32 vcc_lo, 0, v2
	v_cndmask_b32_e32 v2, v3, v66, vcc_lo
; %bb.86:
	s_or_b32 exec_lo, exec_lo, s4
	v_and_b32_e32 v3, 0x7f800000, v67
	s_delay_alu instid0(VALU_DEP_1) | instskip(SKIP_1) | instid1(SALU_CYCLE_1)
	v_cmp_ne_u32_e32 vcc_lo, 0x7f800000, v3
                                        ; implicit-def: $vgpr3
	s_and_saveexec_b32 s4, vcc_lo
	s_xor_b32 s4, exec_lo, s4
; %bb.87:
	v_bfe_u32 v3, v67, 16, 1
	s_delay_alu instid0(VALU_DEP_1)
	v_add3_u32 v3, v67, v3, 0x7fff
; %bb.88:
	s_and_not1_saveexec_b32 s4, s4
; %bb.89:
	v_and_b32_e32 v3, 0xffff, v67
	v_or_b32_e32 v4, 0x10000, v67
	s_delay_alu instid0(VALU_DEP_2) | instskip(NEXT) | instid1(VALU_DEP_2)
	v_cmp_eq_u32_e32 vcc_lo, 0, v3
	v_cndmask_b32_e32 v3, v4, v67, vcc_lo
; %bb.90:
	s_or_b32 exec_lo, exec_lo, s4
	v_and_b32_e32 v4, 0x7f800000, v68
	s_delay_alu instid0(VALU_DEP_1) | instskip(SKIP_1) | instid1(SALU_CYCLE_1)
	v_cmp_ne_u32_e32 vcc_lo, 0x7f800000, v4
                                        ; implicit-def: $vgpr4
	s_and_saveexec_b32 s4, vcc_lo
	s_xor_b32 s4, exec_lo, s4
; %bb.91:
	v_bfe_u32 v4, v68, 16, 1
	s_delay_alu instid0(VALU_DEP_1)
	v_add3_u32 v4, v68, v4, 0x7fff
; %bb.92:
	s_and_not1_saveexec_b32 s4, s4
; %bb.93:
	v_and_b32_e32 v4, 0xffff, v68
	v_or_b32_e32 v5, 0x10000, v68
	s_delay_alu instid0(VALU_DEP_2) | instskip(NEXT) | instid1(VALU_DEP_2)
	v_cmp_eq_u32_e32 vcc_lo, 0, v4
	v_cndmask_b32_e32 v4, v5, v68, vcc_lo
; %bb.94:
	s_or_b32 exec_lo, exec_lo, s4
	v_and_b32_e32 v5, 0x7f800000, v69
	s_delay_alu instid0(VALU_DEP_1) | instskip(SKIP_1) | instid1(SALU_CYCLE_1)
	v_cmp_ne_u32_e32 vcc_lo, 0x7f800000, v5
                                        ; implicit-def: $vgpr5
	s_and_saveexec_b32 s4, vcc_lo
	s_xor_b32 s4, exec_lo, s4
; %bb.95:
	v_bfe_u32 v5, v69, 16, 1
	s_delay_alu instid0(VALU_DEP_1)
	v_add3_u32 v5, v69, v5, 0x7fff
; %bb.96:
	s_and_not1_saveexec_b32 s4, s4
; %bb.97:
	v_and_b32_e32 v5, 0xffff, v69
	v_or_b32_e32 v6, 0x10000, v69
	s_delay_alu instid0(VALU_DEP_2) | instskip(NEXT) | instid1(VALU_DEP_2)
	v_cmp_eq_u32_e32 vcc_lo, 0, v5
	v_cndmask_b32_e32 v5, v6, v69, vcc_lo
; %bb.98:
	s_or_b32 exec_lo, exec_lo, s4
	v_and_b32_e32 v6, 0x7f800000, v70
	s_delay_alu instid0(VALU_DEP_1) | instskip(SKIP_1) | instid1(SALU_CYCLE_1)
	v_cmp_ne_u32_e32 vcc_lo, 0x7f800000, v6
                                        ; implicit-def: $vgpr6
	s_and_saveexec_b32 s4, vcc_lo
	s_xor_b32 s4, exec_lo, s4
; %bb.99:
	v_bfe_u32 v6, v70, 16, 1
	s_delay_alu instid0(VALU_DEP_1)
	v_add3_u32 v6, v70, v6, 0x7fff
; %bb.100:
	s_and_not1_saveexec_b32 s4, s4
; %bb.101:
	v_and_b32_e32 v6, 0xffff, v70
	v_or_b32_e32 v7, 0x10000, v70
	s_delay_alu instid0(VALU_DEP_2) | instskip(NEXT) | instid1(VALU_DEP_2)
	v_cmp_eq_u32_e32 vcc_lo, 0, v6
	v_cndmask_b32_e32 v6, v7, v70, vcc_lo
; %bb.102:
	s_or_b32 exec_lo, exec_lo, s4
	v_and_b32_e32 v7, 0x7f800000, v71
	s_delay_alu instid0(VALU_DEP_1) | instskip(SKIP_1) | instid1(SALU_CYCLE_1)
	v_cmp_ne_u32_e32 vcc_lo, 0x7f800000, v7
                                        ; implicit-def: $vgpr7
	s_and_saveexec_b32 s4, vcc_lo
	s_xor_b32 s4, exec_lo, s4
; %bb.103:
	v_bfe_u32 v7, v71, 16, 1
	s_delay_alu instid0(VALU_DEP_1)
	v_add3_u32 v7, v71, v7, 0x7fff
; %bb.104:
	s_and_not1_saveexec_b32 s4, s4
; %bb.105:
	v_and_b32_e32 v7, 0xffff, v71
	v_or_b32_e32 v8, 0x10000, v71
	s_delay_alu instid0(VALU_DEP_2) | instskip(NEXT) | instid1(VALU_DEP_2)
	v_cmp_eq_u32_e32 vcc_lo, 0, v7
	v_cndmask_b32_e32 v7, v8, v71, vcc_lo
; %bb.106:
	s_or_b32 exec_lo, exec_lo, s4
	v_and_b32_e32 v8, 0x7f800000, v72
	s_delay_alu instid0(VALU_DEP_1) | instskip(SKIP_1) | instid1(SALU_CYCLE_1)
	v_cmp_ne_u32_e32 vcc_lo, 0x7f800000, v8
                                        ; implicit-def: $vgpr8
	s_and_saveexec_b32 s4, vcc_lo
	s_xor_b32 s4, exec_lo, s4
; %bb.107:
	v_bfe_u32 v8, v72, 16, 1
	s_delay_alu instid0(VALU_DEP_1)
	v_add3_u32 v8, v72, v8, 0x7fff
                                        ; implicit-def: $vgpr65_vgpr66_vgpr67_vgpr68_vgpr69_vgpr70_vgpr71_vgpr72
; %bb.108:
	s_and_not1_saveexec_b32 s4, s4
; %bb.109:
	v_and_b32_e32 v8, 0xffff, v72
	v_or_b32_e32 v9, 0x10000, v72
	s_delay_alu instid0(VALU_DEP_2) | instskip(NEXT) | instid1(VALU_DEP_2)
	v_cmp_eq_u32_e32 vcc_lo, 0, v8
	v_cndmask_b32_e32 v8, v9, v72, vcc_lo
; %bb.110:
	s_or_b32 exec_lo, exec_lo, s4
	s_delay_alu instid0(VALU_DEP_1)
	v_perm_b32 v7, v8, v7, 0x7060302
	v_perm_b32 v6, v6, v5, 0x7060302
	v_perm_b32 v5, v4, v3, 0x7060302
	v_perm_b32 v4, v2, v1, 0x7060302
	s_barrier
	buffer_gl0_inv
	v_cmp_eq_u32_e32 vcc_lo, 1, v78
	ds_store_b128 v76, v[4:7]
	s_waitcnt lgkmcnt(0)
	s_barrier
	buffer_gl0_inv
	ds_load_b128 v[1:4], v82
	ds_load_b128 v[5:8], v82 offset:16
	v_cmp_eq_u32_e64 s4, 1, v79
	v_cmp_eq_u32_e64 s5, 2, v78
	;; [unrolled: 1-line block ×5, first 2 shown]
	s_waitcnt lgkmcnt(1)
	v_lshrrev_b32_e32 v9, 16, v1
	s_waitcnt lgkmcnt(0)
	v_lshrrev_b32_e32 v13, 16, v5
	v_lshrrev_b32_e32 v10, 16, v2
	;; [unrolled: 1-line block ×4, first 2 shown]
	v_cndmask_b32_e64 v19, v1, v9, s4
	v_cndmask_b32_e32 v18, v5, v13, vcc_lo
	v_cndmask_b32_e64 v20, v5, v13, s4
	v_cndmask_b32_e32 v17, v1, v9, vcc_lo
	v_cmp_eq_u32_e32 vcc_lo, 2, v79
	v_lshrrev_b32_e32 v15, 16, v7
	v_cmp_eq_u32_e64 s4, 1, v77
	v_lshrrev_b32_e32 v12, 16, v4
	v_lshrrev_b32_e32 v16, 16, v8
	v_cndmask_b32_e32 v20, v20, v6, vcc_lo
	v_cndmask_b32_e64 v17, v17, v2, s5
	v_cndmask_b32_e32 v19, v19, v2, vcc_lo
	v_cndmask_b32_e64 v18, v18, v6, s5
	v_cmp_eq_u32_e32 vcc_lo, 4, v78
	v_cmp_eq_u32_e64 s5, 3, v79
	v_cndmask_b32_e64 v17, v17, v10, s6
	v_cndmask_b32_e64 v21, v1, v9, s4
	;; [unrolled: 1-line block ×5, first 2 shown]
	v_cndmask_b32_e32 v17, v17, v3, vcc_lo
	v_cndmask_b32_e64 v20, v20, v14, s5
	v_cndmask_b32_e32 v18, v18, v7, vcc_lo
	v_cmp_eq_u32_e32 vcc_lo, 4, v79
	v_cmp_eq_u32_e64 s5, 5, v79
	v_cmp_eq_u32_e64 s4, 2, v81
	v_cndmask_b32_e64 v21, v21, v2, s8
	v_cmp_eq_u32_e64 s6, 5, v78
	v_cndmask_b32_e32 v19, v19, v3, vcc_lo
	v_cndmask_b32_e32 v20, v20, v7, vcc_lo
	v_cmp_eq_u32_e32 vcc_lo, 6, v79
	s_delay_alu instid0(VALU_DEP_4) | instskip(NEXT) | instid1(VALU_DEP_4)
	v_cndmask_b32_e64 v17, v17, v11, s6
	v_cndmask_b32_e64 v19, v19, v11, s5
	s_delay_alu instid0(VALU_DEP_4) | instskip(SKIP_1) | instid1(VALU_DEP_3)
	v_cndmask_b32_e64 v20, v20, v15, s5
	v_cmp_eq_u32_e64 s5, 1, v81
	v_cndmask_b32_e32 v19, v19, v4, vcc_lo
	v_cndmask_b32_e64 v18, v18, v15, s6
	s_delay_alu instid0(VALU_DEP_3)
	v_cndmask_b32_e64 v1, v1, v9, s5
	v_cndmask_b32_e64 v5, v5, v13, s5
	v_cmp_eq_u32_e64 s5, 3, v77
	v_cndmask_b32_e64 v13, v22, v6, s8
	v_cmp_eq_u32_e64 s8, 3, v81
	v_cndmask_b32_e64 v1, v1, v2, s4
	v_cndmask_b32_e64 v2, v5, v6, s4
	;; [unrolled: 1-line block ×3, first 2 shown]
	v_cmp_eq_u32_e64 s4, 4, v77
	v_cndmask_b32_e64 v6, v13, v14, s5
	v_cndmask_b32_e64 v1, v1, v10, s8
	v_cmp_eq_u32_e64 s5, 4, v81
	v_cndmask_b32_e64 v2, v2, v14, s8
	v_cndmask_b32_e64 v5, v9, v3, s4
	;; [unrolled: 3-line block ×3, first 2 shown]
	v_cndmask_b32_e64 v2, v2, v7, s5
	v_cmp_eq_u32_e64 s4, 5, v81
	v_cmp_eq_u32_e64 s6, 6, v78
	v_cndmask_b32_e64 v5, v5, v11, s8
	v_cmp_eq_u32_e64 s5, 6, v77
	v_cndmask_b32_e64 v3, v6, v15, s8
	v_cndmask_b32_e64 v1, v1, v11, s4
	v_cmp_eq_u32_e64 s8, 6, v81
	v_cndmask_b32_e64 v2, v2, v15, s4
	v_cndmask_b32_e64 v17, v17, v4, s6
	v_cndmask_b32_e64 v18, v18, v8, s6
	v_cmp_eq_u32_e64 s6, 7, v78
	v_cndmask_b32_e64 v5, v5, v4, s5
	;; [unrolled: 4-line block ×3, first 2 shown]
	v_cmp_eq_u32_e64 s5, 7, v77
	v_cndmask_b32_e32 v4, v20, v8, vcc_lo
	v_cndmask_b32_e64 v17, v17, v12, s6
	v_cndmask_b32_e64 v19, v19, v12, s7
	v_cndmask_b32_e64 v1, v1, v12, s4
	v_cndmask_b32_e64 v5, v5, v12, s5
	v_cndmask_b32_e64 v2, v2, v16, s4
	v_cndmask_b32_e64 v3, v3, v16, s5
	v_cndmask_b32_e64 v6, v4, v16, s7
	v_cndmask_b32_e64 v7, v18, v16, s6
	v_cmp_gt_u32_e32 vcc_lo, 32, v0
	v_perm_b32 v4, v2, v1, 0x5040100
	v_perm_b32 v3, v3, v5, 0x5040100
	;; [unrolled: 1-line block ×4, first 2 shown]
	s_and_b32 s2, vcc_lo, s2
	ds_store_b128 v76, v[1:4]
	s_waitcnt lgkmcnt(0)
	s_barrier
	buffer_gl0_inv
	s_and_saveexec_b32 s4, s2
	s_cbranch_execz .LBB1396_2
; %bb.111:
	s_load_b64 s[4:5], s[0:1], 0x68
	v_lshlrev_b32_e32 v0, 10, v0
	v_lshlrev_b32_e32 v1, 4, v75
	s_lshl_b32 s0, s36, 6
	v_add_nc_u32_e32 v7, s31, v74
	s_mul_i32 s1, s0, s34
	s_delay_alu instid0(SALU_CYCLE_1) | instskip(SKIP_1) | instid1(VALU_DEP_2)
	s_mul_i32 s6, s1, s9
	v_and_or_b32 v0, 0x3800, v0, v1
	v_mul_lo_u32 v1, v7, s0
	v_add_nc_u32_e32 v2, 2, v7
	s_ashr_i32 s7, s6, 31
	v_add_nc_u32_e32 v4, 4, v7
	s_lshl_b64 s[6:7], s[6:7], 1
	v_add_nc_u32_e32 v8, 6, v7
	v_mul_lo_u32 v3, v2, s0
	v_lshl_or_b32 v19, v74, 6, v0
	v_ashrrev_i32_e32 v2, 31, v1
	v_mul_lo_u32 v11, v4, s0
	v_mul_lo_u32 v25, v8, s0
	s_waitcnt lgkmcnt(0)
	s_add_u32 s1, s4, s6
	s_addc_u32 s2, s5, s7
	s_lshl_b32 s4, s14, 6
	v_lshlrev_b64 v[5:6], 1, v[1:2]
	s_ashr_i32 s5, s4, 31
	v_ashrrev_i32_e32 v4, 31, v3
	s_lshl_b64 s[4:5], s[4:5], 1
	v_ashrrev_i32_e32 v12, 31, v11
	s_add_u32 s1, s1, s4
	s_addc_u32 s2, s2, s5
	v_add_co_u32 v1, s1, s1, v73
	s_delay_alu instid0(VALU_DEP_1) | instskip(SKIP_1) | instid1(VALU_DEP_3)
	v_add_co_ci_u32_e64 v2, null, s2, 0, s1
	v_lshlrev_b64 v[3:4], 1, v[3:4]
	v_add_co_u32 v23, vcc_lo, v1, v5
	v_add_nc_u32_e32 v5, 8, v7
	s_delay_alu instid0(VALU_DEP_4) | instskip(NEXT) | instid1(VALU_DEP_4)
	v_add_co_ci_u32_e32 v24, vcc_lo, v2, v6, vcc_lo
	v_add_co_u32 v27, vcc_lo, v1, v3
	s_delay_alu instid0(VALU_DEP_3)
	v_mul_lo_u32 v29, v5, s0
	v_add_co_ci_u32_e32 v28, vcc_lo, v2, v4, vcc_lo
	ds_load_b128 v[3:6], v19
	ds_load_b128 v[7:10], v19 offset:128
	v_lshlrev_b64 v[31:32], 1, v[11:12]
	ds_load_b128 v[11:14], v19 offset:256
	ds_load_b128 v[15:18], v19 offset:384
	;; [unrolled: 1-line block ×3, first 2 shown]
	v_ashrrev_i32_e32 v26, 31, v25
	v_ashrrev_i32_e32 v30, 31, v29
	v_add_co_u32 v31, vcc_lo, v1, v31
	s_delay_alu instid0(VALU_DEP_3) | instskip(NEXT) | instid1(VALU_DEP_3)
	v_lshlrev_b64 v[25:26], 1, v[25:26]
	v_lshlrev_b64 v[29:30], 1, v[29:30]
	v_add_co_ci_u32_e32 v32, vcc_lo, v2, v32, vcc_lo
	s_delay_alu instid0(VALU_DEP_3) | instskip(NEXT) | instid1(VALU_DEP_4)
	v_add_co_u32 v25, vcc_lo, v1, v25
	v_add_co_ci_u32_e32 v26, vcc_lo, v2, v26, vcc_lo
	s_delay_alu instid0(VALU_DEP_4)
	v_add_co_u32 v29, vcc_lo, v1, v29
	v_add_co_ci_u32_e32 v30, vcc_lo, v2, v30, vcc_lo
	s_waitcnt lgkmcnt(4)
	global_store_b128 v[23:24], v[3:6], off
	s_waitcnt lgkmcnt(3)
	global_store_b128 v[27:28], v[7:10], off
	;; [unrolled: 2-line block ×5, first 2 shown]
	s_and_b32 exec_lo, exec_lo, s3
	s_cbranch_execz .LBB1396_2
; %bb.112:
	ds_load_b128 v[3:6], v0 offset:640
	s_add_i32 s1, s31, 10
	s_delay_alu instid0(SALU_CYCLE_1) | instskip(NEXT) | instid1(SALU_CYCLE_1)
	s_mul_i32 s0, s1, s0
	s_ashr_i32 s1, s0, 31
	s_delay_alu instid0(SALU_CYCLE_1) | instskip(NEXT) | instid1(SALU_CYCLE_1)
	s_lshl_b64 s[0:1], s[0:1], 1
	v_add_co_u32 v0, vcc_lo, v1, s0
	v_add_co_ci_u32_e32 v1, vcc_lo, s1, v2, vcc_lo
	s_waitcnt lgkmcnt(0)
	global_store_b128 v[0:1], v[3:6], off
	s_nop 0
	s_sendmsg sendmsg(MSG_DEALLOC_VGPRS)
	s_endpgm
	.section	.rodata,"a",@progbits
	.p2align	6, 0x0
	.amdhsa_kernel _Z39paged_attention_ll4mi_QKV_mfma16_kernelI14__hip_bfloat16hLN4vllm18Fp8KVCacheDataTypeE1ES0_Li16ELi64ELi256ELb1ELi11EL8MFMAType1EEvPKT_PKT0_S9_ifPKiSB_SB_iPKfiiiPfSE_PS4_PT2_iSD_SD_
		.amdhsa_group_segment_fixed_size 17472
		.amdhsa_private_segment_fixed_size 0
		.amdhsa_kernarg_size 400
		.amdhsa_user_sgpr_count 13
		.amdhsa_user_sgpr_dispatch_ptr 0
		.amdhsa_user_sgpr_queue_ptr 0
		.amdhsa_user_sgpr_kernarg_segment_ptr 1
		.amdhsa_user_sgpr_dispatch_id 0
		.amdhsa_user_sgpr_private_segment_size 0
		.amdhsa_wavefront_size32 1
		.amdhsa_uses_dynamic_stack 0
		.amdhsa_enable_private_segment 0
		.amdhsa_system_sgpr_workgroup_id_x 1
		.amdhsa_system_sgpr_workgroup_id_y 1
		.amdhsa_system_sgpr_workgroup_id_z 1
		.amdhsa_system_sgpr_workgroup_info 0
		.amdhsa_system_vgpr_workitem_id 0
		.amdhsa_next_free_vgpr 124
		.amdhsa_next_free_sgpr 40
		.amdhsa_reserve_vcc 1
		.amdhsa_float_round_mode_32 0
		.amdhsa_float_round_mode_16_64 0
		.amdhsa_float_denorm_mode_32 3
		.amdhsa_float_denorm_mode_16_64 3
		.amdhsa_dx10_clamp 1
		.amdhsa_ieee_mode 1
		.amdhsa_fp16_overflow 0
		.amdhsa_workgroup_processor_mode 1
		.amdhsa_memory_ordered 1
		.amdhsa_forward_progress 0
		.amdhsa_shared_vgpr_count 0
		.amdhsa_exception_fp_ieee_invalid_op 0
		.amdhsa_exception_fp_denorm_src 0
		.amdhsa_exception_fp_ieee_div_zero 0
		.amdhsa_exception_fp_ieee_overflow 0
		.amdhsa_exception_fp_ieee_underflow 0
		.amdhsa_exception_fp_ieee_inexact 0
		.amdhsa_exception_int_div_zero 0
	.end_amdhsa_kernel
	.section	.text._Z39paged_attention_ll4mi_QKV_mfma16_kernelI14__hip_bfloat16hLN4vllm18Fp8KVCacheDataTypeE1ES0_Li16ELi64ELi256ELb1ELi11EL8MFMAType1EEvPKT_PKT0_S9_ifPKiSB_SB_iPKfiiiPfSE_PS4_PT2_iSD_SD_,"axG",@progbits,_Z39paged_attention_ll4mi_QKV_mfma16_kernelI14__hip_bfloat16hLN4vllm18Fp8KVCacheDataTypeE1ES0_Li16ELi64ELi256ELb1ELi11EL8MFMAType1EEvPKT_PKT0_S9_ifPKiSB_SB_iPKfiiiPfSE_PS4_PT2_iSD_SD_,comdat
.Lfunc_end1396:
	.size	_Z39paged_attention_ll4mi_QKV_mfma16_kernelI14__hip_bfloat16hLN4vllm18Fp8KVCacheDataTypeE1ES0_Li16ELi64ELi256ELb1ELi11EL8MFMAType1EEvPKT_PKT0_S9_ifPKiSB_SB_iPKfiiiPfSE_PS4_PT2_iSD_SD_, .Lfunc_end1396-_Z39paged_attention_ll4mi_QKV_mfma16_kernelI14__hip_bfloat16hLN4vllm18Fp8KVCacheDataTypeE1ES0_Li16ELi64ELi256ELb1ELi11EL8MFMAType1EEvPKT_PKT0_S9_ifPKiSB_SB_iPKfiiiPfSE_PS4_PT2_iSD_SD_
                                        ; -- End function
	.section	.AMDGPU.csdata,"",@progbits
; Kernel info:
; codeLenInByte = 8856
; NumSgprs: 42
; NumVgprs: 124
; ScratchSize: 0
; MemoryBound: 0
; FloatMode: 240
; IeeeMode: 1
; LDSByteSize: 17472 bytes/workgroup (compile time only)
; SGPRBlocks: 5
; VGPRBlocks: 15
; NumSGPRsForWavesPerEU: 42
; NumVGPRsForWavesPerEU: 124
; Occupancy: 10
; WaveLimiterHint : 1
; COMPUTE_PGM_RSRC2:SCRATCH_EN: 0
; COMPUTE_PGM_RSRC2:USER_SGPR: 13
; COMPUTE_PGM_RSRC2:TRAP_HANDLER: 0
; COMPUTE_PGM_RSRC2:TGID_X_EN: 1
; COMPUTE_PGM_RSRC2:TGID_Y_EN: 1
; COMPUTE_PGM_RSRC2:TGID_Z_EN: 1
; COMPUTE_PGM_RSRC2:TIDIG_COMP_CNT: 0
	.section	.text._Z39paged_attention_ll4mi_QKV_mfma16_kernelI14__hip_bfloat16hLN4vllm18Fp8KVCacheDataTypeE1ES0_Li16ELi64ELi256ELb1ELi12EL8MFMAType1EEvPKT_PKT0_S9_ifPKiSB_SB_iPKfiiiPfSE_PS4_PT2_iSD_SD_,"axG",@progbits,_Z39paged_attention_ll4mi_QKV_mfma16_kernelI14__hip_bfloat16hLN4vllm18Fp8KVCacheDataTypeE1ES0_Li16ELi64ELi256ELb1ELi12EL8MFMAType1EEvPKT_PKT0_S9_ifPKiSB_SB_iPKfiiiPfSE_PS4_PT2_iSD_SD_,comdat
	.protected	_Z39paged_attention_ll4mi_QKV_mfma16_kernelI14__hip_bfloat16hLN4vllm18Fp8KVCacheDataTypeE1ES0_Li16ELi64ELi256ELb1ELi12EL8MFMAType1EEvPKT_PKT0_S9_ifPKiSB_SB_iPKfiiiPfSE_PS4_PT2_iSD_SD_ ; -- Begin function _Z39paged_attention_ll4mi_QKV_mfma16_kernelI14__hip_bfloat16hLN4vllm18Fp8KVCacheDataTypeE1ES0_Li16ELi64ELi256ELb1ELi12EL8MFMAType1EEvPKT_PKT0_S9_ifPKiSB_SB_iPKfiiiPfSE_PS4_PT2_iSD_SD_
	.globl	_Z39paged_attention_ll4mi_QKV_mfma16_kernelI14__hip_bfloat16hLN4vllm18Fp8KVCacheDataTypeE1ES0_Li16ELi64ELi256ELb1ELi12EL8MFMAType1EEvPKT_PKT0_S9_ifPKiSB_SB_iPKfiiiPfSE_PS4_PT2_iSD_SD_
	.p2align	8
	.type	_Z39paged_attention_ll4mi_QKV_mfma16_kernelI14__hip_bfloat16hLN4vllm18Fp8KVCacheDataTypeE1ES0_Li16ELi64ELi256ELb1ELi12EL8MFMAType1EEvPKT_PKT0_S9_ifPKiSB_SB_iPKfiiiPfSE_PS4_PT2_iSD_SD_,@function
_Z39paged_attention_ll4mi_QKV_mfma16_kernelI14__hip_bfloat16hLN4vllm18Fp8KVCacheDataTypeE1ES0_Li16ELi64ELi256ELb1ELi12EL8MFMAType1EEvPKT_PKT0_S9_ifPKiSB_SB_iPKfiiiPfSE_PS4_PT2_iSD_SD_: ; @_Z39paged_attention_ll4mi_QKV_mfma16_kernelI14__hip_bfloat16hLN4vllm18Fp8KVCacheDataTypeE1ES0_Li16ELi64ELi256ELb1ELi12EL8MFMAType1EEvPKT_PKT0_S9_ifPKiSB_SB_iPKfiiiPfSE_PS4_PT2_iSD_SD_
; %bb.0:
	s_load_b64 s[2:3], s[0:1], 0x30
	s_mov_b32 s30, s13
	s_waitcnt lgkmcnt(0)
	s_cmp_lg_u64 s[2:3], 0
	s_cselect_b32 s8, -1, 0
	s_ashr_i32 s31, s13, 31
	s_cmp_eq_u64 s[2:3], 0
	s_cbranch_scc1 .LBB1397_3
; %bb.1:
	s_lshl_b64 s[4:5], s[30:31], 2
	s_delay_alu instid0(SALU_CYCLE_1) | instskip(SKIP_4) | instid1(SALU_CYCLE_1)
	s_add_u32 s4, s2, s4
	s_addc_u32 s5, s3, s5
	s_load_b64 s[4:5], s[4:5], 0x0
	s_waitcnt lgkmcnt(0)
	s_sub_i32 s4, s5, s4
	s_cmp_eq_u32 s4, 1
	s_cselect_b32 s4, -1, 0
	s_delay_alu instid0(SALU_CYCLE_1)
	s_and_not1_b32 vcc_lo, exec_lo, s4
	s_cbranch_vccz .LBB1397_4
.LBB1397_2:
	s_endpgm
.LBB1397_3:
.LBB1397_4:
	s_load_b64 s[4:5], s[0:1], 0x28
	s_lshl_b64 s[6:7], s[30:31], 2
	s_waitcnt lgkmcnt(0)
	s_add_u32 s4, s4, s6
	s_addc_u32 s5, s5, s7
	s_lshl_b32 s12, s14, 8
	s_load_b32 s24, s[4:5], 0x0
	s_waitcnt lgkmcnt(0)
	s_cmp_ge_i32 s12, s24
	s_cbranch_scc1 .LBB1397_2
; %bb.5:
	s_clause 0x1
	s_load_b128 s[20:23], s[0:1], 0x8
	s_load_b64 s[4:5], s[0:1], 0x20
	s_and_not1_b32 vcc_lo, exec_lo, s8
	s_cbranch_vccnz .LBB1397_7
; %bb.6:
	s_add_u32 s2, s2, s6
	s_addc_u32 s3, s3, s7
	s_load_b32 s3, s[2:3], 0x0
	s_branch .LBB1397_8
.LBB1397_7:
	s_mov_b32 s3, s30
.LBB1397_8:
	s_load_b128 s[16:19], s[0:1], 0x48
	v_and_b32_e32 v65, 15, v0
	v_cmp_gt_u32_e32 vcc_lo, 0xc0, v0
	v_lshrrev_b32_e32 v66, 5, v0
	v_and_b32_e32 v67, 31, v0
	v_and_b32_e32 v75, 1, v0
	v_lshlrev_b32_e32 v1, 3, v65
	v_cmp_gt_u32_e64 s2, 8, v65
	v_bfe_u32 v74, v0, 4, 1
	s_mul_i32 s31, s15, 12
	s_delay_alu instid0(VALU_DEP_3) | instskip(NEXT) | instid1(VALU_DEP_3)
	v_lshlrev_b32_e32 v73, 1, v1
	s_and_b32 s7, vcc_lo, s2
	s_delay_alu instid0(SALU_CYCLE_1)
	s_and_saveexec_b32 s6, s7
	s_cbranch_execz .LBB1397_10
; %bb.9:
	s_load_b64 s[8:9], s[0:1], 0x0
	v_lshl_or_b32 v5, v66, 1, v74
	s_waitcnt lgkmcnt(0)
	s_mul_hi_i32 s11, s3, s16
	s_mul_i32 s10, s3, s16
	v_lshlrev_b32_e32 v6, 10, v65
	s_lshl_b64 s[10:11], s[10:11], 1
	v_add_lshl_u32 v1, v5, s31, 6
	v_lshlrev_b32_e32 v5, 6, v5
	v_lshlrev_b32_e32 v7, 10, v75
	v_and_b32_e32 v6, 0x3800, v6
	s_delay_alu instid0(VALU_DEP_4) | instskip(NEXT) | instid1(VALU_DEP_2)
	v_ashrrev_i32_e32 v2, 31, v1
	v_or3_b32 v5, v6, v7, v5
	s_delay_alu instid0(VALU_DEP_2) | instskip(SKIP_2) | instid1(VALU_DEP_1)
	v_lshlrev_b64 v[1:2], 1, v[1:2]
	s_add_u32 s3, s8, s10
	s_addc_u32 s7, s9, s11
	v_add_co_u32 v1, vcc_lo, s3, v1
	s_delay_alu instid0(VALU_DEP_2) | instskip(NEXT) | instid1(VALU_DEP_2)
	v_add_co_ci_u32_e32 v2, vcc_lo, s7, v2, vcc_lo
	v_add_co_u32 v1, vcc_lo, v1, v73
	s_delay_alu instid0(VALU_DEP_2)
	v_add_co_ci_u32_e32 v2, vcc_lo, 0, v2, vcc_lo
	global_load_b128 v[1:4], v[1:2], off
	s_waitcnt vmcnt(0)
	ds_store_b128 v5, v[1:4]
.LBB1397_10:
	s_or_b32 exec_lo, exec_lo, s6
	v_and_b32_e32 v1, 0xef, v0
	s_waitcnt lgkmcnt(0)
	s_add_i32 s3, s24, 15
	s_clause 0x1
	s_load_b32 s6, s[0:1], 0x38
	s_load_b32 s19, s[0:1], 0x1c
	s_ashr_i32 s7, s3, 31
	v_add_nc_u32_e32 v1, s12, v1
	s_lshr_b32 s7, s7, 28
	s_waitcnt lgkmcnt(0)
	s_add_i32 s3, s3, s7
	s_barrier
	v_ashrrev_i32_e32 v2, 31, v1
	v_or_b32_e32 v3, 16, v1
	s_ashr_i32 s3, s3, 4
	v_cmp_gt_i32_e32 vcc_lo, s24, v1
	s_add_i32 s3, s3, -1
	v_lshrrev_b32_e32 v2, 28, v2
	buffer_gl0_inv
	s_mul_i32 s27, s15, s18
	v_add_nc_u32_e32 v4, v1, v2
	s_mul_i32 s6, s30, s6
	s_delay_alu instid0(SALU_CYCLE_1) | instskip(NEXT) | instid1(VALU_DEP_1)
	s_ashr_i32 s7, s6, 31
	v_ashrrev_i32_e32 v4, 4, v4
	v_add_nc_u32_e32 v2, v3, v2
	s_lshl_b64 s[6:7], s[6:7], 2
	s_delay_alu instid0(SALU_CYCLE_1) | instskip(NEXT) | instid1(VALU_DEP_2)
	s_add_u32 s26, s4, s6
	v_cndmask_b32_e32 v1, s3, v4, vcc_lo
	s_delay_alu instid0(VALU_DEP_2)
	v_ashrrev_i32_e32 v2, 4, v2
	v_cmp_gt_i32_e32 vcc_lo, s24, v3
	s_addc_u32 s25, s5, s7
	s_ashr_i32 s28, s27, 31
	s_add_u32 s13, s20, s27
	s_addc_u32 s15, s21, s28
	v_cndmask_b32_e32 v3, s3, v2, vcc_lo
	v_ashrrev_i32_e32 v2, 31, v1
	s_lshl_b32 s4, s14, 4
	s_delay_alu instid0(SALU_CYCLE_1) | instskip(NEXT) | instid1(VALU_DEP_2)
	s_ashr_i32 s5, s4, 31
	v_ashrrev_i32_e32 v4, 31, v3
	s_delay_alu instid0(VALU_DEP_2) | instskip(SKIP_1) | instid1(SALU_CYCLE_1)
	v_lshlrev_b64 v[1:2], 2, v[1:2]
	s_lshl_b64 s[4:5], s[4:5], 2
	s_add_u32 s4, s26, s4
	s_delay_alu instid0(VALU_DEP_2) | instskip(SKIP_1) | instid1(VALU_DEP_2)
	v_lshlrev_b64 v[3:4], 2, v[3:4]
	s_addc_u32 s5, s25, s5
	v_add_co_u32 v1, vcc_lo, s26, v1
	v_add_co_ci_u32_e32 v2, vcc_lo, s25, v2, vcc_lo
	s_delay_alu instid0(VALU_DEP_3) | instskip(NEXT) | instid1(VALU_DEP_4)
	v_add_co_u32 v3, vcc_lo, s26, v3
	v_add_co_ci_u32_e32 v4, vcc_lo, s25, v4, vcc_lo
	s_clause 0x1
	global_load_b32 v5, v[1:2], off
	global_load_b32 v7, v[3:4], off
	s_or_b32 s6, s12, 32
	v_lshlrev_b32_e32 v1, 4, v0
	s_ashr_i32 s7, s6, 4
	s_cmp_lt_i32 s6, s24
	v_cmp_gt_u32_e32 vcc_lo, 12, v65
	s_cselect_b32 s6, s7, s3
	v_and_b32_e32 v1, 0xf0, v1
	s_ashr_i32 s7, s6, 31
	s_delay_alu instid0(SALU_CYCLE_1) | instskip(NEXT) | instid1(SALU_CYCLE_1)
	s_lshl_b64 s[6:7], s[6:7], 2
	s_add_u32 s6, s26, s6
	s_addc_u32 s7, s25, s7
	s_or_b32 s8, s12, 64
	v_add_co_u32 v1, s13, s13, v1
	s_ashr_i32 s9, s8, 4
	s_cmp_lt_i32 s8, s24
	v_add_co_ci_u32_e64 v2, null, s15, 0, s13
	s_cselect_b32 s8, s9, s3
	s_delay_alu instid0(SALU_CYCLE_1) | instskip(NEXT) | instid1(SALU_CYCLE_1)
	s_ashr_i32 s9, s8, 31
	s_lshl_b64 s[8:9], s[8:9], 2
	s_delay_alu instid0(SALU_CYCLE_1) | instskip(SKIP_2) | instid1(SALU_CYCLE_1)
	s_add_u32 s8, s26, s8
	s_addc_u32 s9, s25, s9
	s_or_b32 s10, s12, 0x60
	s_ashr_i32 s11, s10, 4
	s_cmp_lt_i32 s10, s24
	s_cselect_b32 s10, s11, s3
	s_delay_alu instid0(SALU_CYCLE_1) | instskip(NEXT) | instid1(SALU_CYCLE_1)
	s_ashr_i32 s11, s10, 31
	s_lshl_b64 s[10:11], s[10:11], 2
	s_delay_alu instid0(SALU_CYCLE_1) | instskip(SKIP_2) | instid1(SALU_CYCLE_1)
	s_add_u32 s10, s26, s10
	s_addc_u32 s11, s25, s11
	s_or_b32 s16, s12, 0x80
	s_ashr_i32 s18, s16, 4
	s_cmp_lt_i32 s16, s24
	s_cselect_b32 s20, s18, s3
	s_delay_alu instid0(SALU_CYCLE_1) | instskip(NEXT) | instid1(SALU_CYCLE_1)
	s_ashr_i32 s21, s20, 31
	s_lshl_b64 s[20:21], s[20:21], 2
	s_delay_alu instid0(SALU_CYCLE_1) | instskip(SKIP_2) | instid1(SALU_CYCLE_1)
	s_add_u32 s34, s26, s20
	s_addc_u32 s35, s25, s21
	s_or_b32 s16, s12, 0xa0
	s_ashr_i32 s18, s16, 4
	s_cmp_lt_i32 s16, s24
	s_cselect_b32 s20, s18, s3
	s_delay_alu instid0(SALU_CYCLE_1) | instskip(NEXT) | instid1(SALU_CYCLE_1)
	s_ashr_i32 s21, s20, 31
	s_lshl_b64 s[20:21], s[20:21], 2
	s_delay_alu instid0(SALU_CYCLE_1)
	s_add_u32 s36, s26, s20
	s_addc_u32 s37, s25, s21
	s_clause 0x5
	s_load_b32 s21, s[4:5], 0x0
	s_load_b32 s13, s[6:7], 0x0
	;; [unrolled: 1-line block ×6, first 2 shown]
	s_or_b32 s8, s12, 0xc0
	s_mov_b32 s4, 0
	s_ashr_i32 s9, s8, 4
	s_cmp_lt_i32 s8, s24
	s_mov_b32 s11, s4
	s_cselect_b32 s34, s9, s3
	s_mov_b32 s5, s4
	s_ashr_i32 s35, s34, 31
	s_mov_b32 s6, s4
	s_lshl_b64 s[34:35], s[34:35], 2
	s_mov_b32 s7, s4
	s_add_u32 s34, s26, s34
	s_addc_u32 s35, s25, s35
	s_or_b32 s29, s12, 0xe0
	s_mov_b32 s8, s4
	s_ashr_i32 s33, s29, 4
	s_mov_b32 s9, s4
	s_mov_b32 s10, s4
	s_cmp_lt_i32 s29, s24
	v_dual_mov_b32 v107, s11 :: v_dual_mov_b32 v100, s4
	v_mov_b32_e32 v106, s10
	v_dual_mov_b32 v104, s8 :: v_dual_mov_b32 v103, s7
	v_dual_mov_b32 v102, s6 :: v_dual_mov_b32 v101, s5
	s_waitcnt vmcnt(1)
	v_mad_i64_i32 v[3:4], null, v5, s17, v[1:2]
	s_waitcnt vmcnt(0)
	v_mad_i64_i32 v[5:6], null, v7, s17, v[1:2]
	v_add_nc_u32_e32 v1, -12, v65
	v_lshlrev_b32_e32 v2, 4, v65
	s_clause 0x7
	global_load_b128 v[49:52], v[3:4], off
	global_load_b128 v[53:56], v[3:4], off offset:256
	global_load_b128 v[76:79], v[5:6], off
	global_load_b128 v[80:83], v[5:6], off offset:256
	global_load_b128 v[84:87], v[3:4], off offset:512
	;; [unrolled: 1-line block ×5, first 2 shown]
	v_cndmask_b32_e32 v1, v1, v65, vcc_lo
	v_mov_b32_e32 v105, s9
	s_cselect_b32 s4, s33, s3
	v_lshl_or_b32 v2, v66, 8, v2
	s_ashr_i32 s5, s4, 31
	v_lshlrev_b32_e32 v70, 6, v1
	s_lshl_b64 s[4:5], s[4:5], 2
	s_load_b32 s3, s[34:35], 0x0
	s_add_u32 s4, s26, s4
	s_addc_u32 s5, s25, s5
	ds_load_b128 v[108:111], v70
	ds_load_b128 v[112:115], v70 offset:1024
	s_load_b32 s4, s[4:5], 0x0
	s_add_u32 s6, s22, s27
	s_addc_u32 s7, s23, s28
	v_add_co_u32 v9, s6, s6, v2
	s_delay_alu instid0(VALU_DEP_1) | instskip(SKIP_1) | instid1(VALU_DEP_1)
	v_add_co_ci_u32_e64 v10, null, s7, 0, s6
	s_waitcnt lgkmcnt(0)
	v_mad_i64_i32 v[1:2], null, s21, s17, v[9:10]
	v_mad_i64_i32 v[3:4], null, s13, s17, v[9:10]
	;; [unrolled: 1-line block ×7, first 2 shown]
	s_clause 0x9
	global_load_b128 v[57:60], v[1:2], off
	global_load_b128 v[61:64], v[1:2], off offset:16
	global_load_b128 v[41:44], v[3:4], off
	global_load_b128 v[45:48], v[3:4], off offset:16
	;; [unrolled: 2-line block ×5, first 2 shown]
	v_mad_i64_i32 v[68:69], null, s4, s17, v[9:10]
	s_clause 0x3
	global_load_b128 v[9:12], v[13:14], off
	global_load_b128 v[13:16], v[13:14], off offset:16
	global_load_b128 v[17:20], v[21:22], off
	global_load_b128 v[21:24], v[21:22], off offset:16
	s_waitcnt vmcnt(20)
	v_wmma_f32_16x16x16_bf16 v[116:123], v[49:56], v[108:115], v[100:107]
	s_clause 0x1
	global_load_b128 v[49:52], v[68:69], off
	global_load_b128 v[53:56], v[68:69], off offset:16
	v_and_b32_e32 v68, 0xe0, v0
	v_mbcnt_lo_u32_b32 v69, -1, 0
	s_delay_alu instid0(VALU_DEP_2)
	v_add_nc_u32_e32 v68, s12, v68
	s_waitcnt vmcnt(20)
	v_wmma_f32_16x16x16_bf16 v[100:107], v[76:83], v[108:115], v[100:107]
	ds_load_b128 v[76:79], v70 offset:2048
	ds_load_b128 v[80:83], v70 offset:3072
	v_xor_b32_e32 v70, 16, v69
	s_waitcnt vmcnt(0) lgkmcnt(0)
	v_or_b32_e32 v68, v68, v74
	s_barrier
	buffer_gl0_inv
	v_cmp_gt_i32_e32 vcc_lo, 32, v70
	v_or_b32_e32 v71, 4, v68
	v_or_b32_e32 v72, 6, v68
	v_cmp_gt_i32_e64 s3, s24, v68
	v_or_b32_e32 v108, 8, v68
	v_or_b32_e32 v109, 10, v68
	v_cmp_gt_i32_e64 s4, s24, v71
	v_cmp_gt_i32_e64 s5, s24, v72
	s_delay_alu instid0(VALU_DEP_4) | instskip(NEXT) | instid1(VALU_DEP_4)
	v_cmp_gt_i32_e64 s6, s24, v108
	v_cmp_gt_i32_e64 s7, s24, v109
	v_wmma_f32_16x16x16_bf16 v[116:123], v[84:91], v[76:83], v[116:123]
	v_cndmask_b32_e32 v69, v69, v70, vcc_lo
	v_or_b32_e32 v70, 2, v68
	v_wmma_f32_16x16x16_bf16 v[100:107], v[92:99], v[76:83], v[100:107]
	v_or_b32_e32 v89, 22, v68
	v_dual_mul_f32 v82, s19, v119 :: v_dual_mul_f32 v79, s19, v122
	v_dual_mul_f32 v92, s19, v117 :: v_dual_mul_f32 v93, s19, v116
	s_delay_alu instid0(VALU_DEP_4) | instskip(SKIP_2) | instid1(VALU_DEP_4)
	v_mul_f32_e32 v98, s19, v103
	v_cmp_gt_i32_e32 vcc_lo, s24, v70
	v_dual_mul_f32 v83, s19, v118 :: v_dual_mul_f32 v96, s19, v105
	v_cndmask_b32_e64 v93, 0xff7fffff, v93, s3
	v_or_b32_e32 v84, 12, v68
	v_cndmask_b32_e32 v92, 0xff7fffff, v92, vcc_lo
	v_or_b32_e32 v85, 14, v68
	v_dual_mul_f32 v80, s19, v121 :: v_dual_mul_f32 v81, s19, v120
	v_mul_f32_e32 v94, s19, v107
	v_cndmask_b32_e64 v71, 0xff7fffff, v83, s4
	v_cndmask_b32_e64 v72, 0xff7fffff, v82, s5
	v_cmp_gt_i32_e64 s13, s24, v89
	v_lshlrev_b32_e32 v89, 2, v69
	v_max3_f32 v82, v93, 0xff7fffff, v92
	v_or_b32_e32 v86, 16, v68
	v_or_b32_e32 v87, 18, v68
	v_mul_f32_e32 v78, s19, v123
	v_cndmask_b32_e64 v81, 0xff7fffff, v81, s6
	v_cndmask_b32_e64 v80, 0xff7fffff, v80, s7
	v_max3_f32 v71, v82, v71, v72
	v_cmp_gt_i32_e64 s8, s24, v84
	v_cmp_gt_i32_e64 s9, s24, v85
	v_or_b32_e32 v88, 20, v68
	v_or_b32_e32 v90, 24, v68
	;; [unrolled: 1-line block ×5, first 2 shown]
	v_dual_mul_f32 v95, s19, v106 :: v_dual_mul_f32 v70, s19, v101
	v_dual_mul_f32 v99, s19, v102 :: v_dual_mul_f32 v68, s19, v100
	v_cndmask_b32_e64 v72, 0xff7fffff, v79, s8
	v_cndmask_b32_e64 v78, 0xff7fffff, v78, s9
	v_max3_f32 v71, v71, v81, v80
	v_cmp_gt_i32_e64 s10, s24, v86
	v_cmp_gt_i32_e64 s11, s24, v87
	;; [unrolled: 1-line block ×3, first 2 shown]
	v_mul_f32_e32 v97, s19, v104
	v_max3_f32 v71, v71, v72, v78
	v_cndmask_b32_e64 v68, 0xff7fffff, v68, s10
	v_cndmask_b32_e64 v70, 0xff7fffff, v70, s11
	;; [unrolled: 1-line block ×4, first 2 shown]
	v_cmp_gt_i32_e64 s15, s24, v90
	v_cmp_gt_i32_e64 s16, s24, v91
	v_max3_f32 v68, v71, v68, v70
	v_cmp_gt_i32_e64 s17, s24, v76
	v_cmp_gt_i32_e64 s18, s24, v77
	v_cndmask_b32_e64 v70, 0xff7fffff, v97, s15
	v_cndmask_b32_e64 v71, 0xff7fffff, v96, s16
	v_max3_f32 v68, v68, v72, v78
	v_cndmask_b32_e64 v72, 0xff7fffff, v95, s17
	v_cndmask_b32_e64 v76, 0xff7fffff, v94, s18
	s_delay_alu instid0(VALU_DEP_3) | instskip(NEXT) | instid1(VALU_DEP_1)
	v_max3_f32 v68, v68, v70, v71
	v_max3_f32 v68, v68, v72, v76
	ds_bpermute_b32 v69, v89, v68
	s_waitcnt lgkmcnt(0)
	v_max_f32_e32 v69, v69, v69
	s_delay_alu instid0(VALU_DEP_1) | instskip(NEXT) | instid1(VALU_DEP_1)
	v_max_f32_e32 v68, v68, v69
	v_fma_f32 v69, s19, v116, -v68
	v_fma_f32 v70, s19, v117, -v68
	;; [unrolled: 1-line block ×5, first 2 shown]
	s_delay_alu instid0(VALU_DEP_4) | instskip(NEXT) | instid1(VALU_DEP_4)
	v_dual_mul_f32 v69, 0x3fb8aa3b, v69 :: v_dual_mul_f32 v70, 0x3fb8aa3b, v70
	v_mul_f32_e32 v72, 0x3fb8aa3b, v72
	v_fma_f32 v78, s19, v122, -v68
	s_delay_alu instid0(VALU_DEP_4) | instskip(NEXT) | instid1(VALU_DEP_4)
	v_mul_f32_e32 v77, 0x3fb8aa3b, v76
	v_exp_f32_e32 v69, v69
	v_exp_f32_e32 v70, v70
	v_mul_f32_e32 v71, 0x3fb8aa3b, v71
	v_exp_f32_e32 v72, v72
	v_mul_f32_e32 v78, 0x3fb8aa3b, v78
	v_exp_f32_e32 v77, v77
	v_fma_f32 v81, s19, v105, -v68
	s_delay_alu instid0(VALU_DEP_2)
	v_exp_f32_e32 v78, v78
	v_cndmask_b32_e64 v80, 0, v69, s3
	v_cndmask_b32_e32 v76, 0, v70, vcc_lo
	v_exp_f32_e32 v71, v71
	v_fma_f32 v69, s19, v121, -v68
	v_cndmask_b32_e64 v85, 0, v72, s5
	v_add_f32_e32 v70, 0, v80
	s_delay_alu instid0(TRANS32_DEP_3)
	v_cndmask_b32_e64 v86, 0, v77, s6
	v_fma_f32 v77, s19, v101, -v68
	v_mul_f32_e32 v69, 0x3fb8aa3b, v69
	v_fma_f32 v72, s19, v100, -v68
	v_cndmask_b32_e64 v84, 0, v78, s8
	v_fma_f32 v78, s19, v103, -v68
	v_cndmask_b32_e64 v83, 0, v71, s4
	v_fma_f32 v71, s19, v123, -v68
	v_add_f32_e32 v70, v70, v76
	v_exp_f32_e32 v69, v69
	v_mul_f32_e32 v77, 0x3fb8aa3b, v77
	v_mul_f32_e32 v81, 0x3fb8aa3b, v81
	;; [unrolled: 1-line block ×3, first 2 shown]
	v_add_f32_e32 v70, v70, v83
	s_mov_b32 s3, exec_lo
	v_exp_f32_e32 v77, v77
	v_exp_f32_e32 v81, v81
	;; [unrolled: 1-line block ×3, first 2 shown]
	v_cndmask_b32_e64 v87, 0, v69, s7
	v_add_f32_e32 v70, v70, v85
	s_delay_alu instid0(VALU_DEP_1) | instskip(SKIP_1) | instid1(VALU_DEP_2)
	v_dual_mul_f32 v72, 0x3fb8aa3b, v72 :: v_dual_add_f32 v69, v70, v86
	v_fma_f32 v70, s19, v102, -v68
	v_exp_f32_e32 v72, v72
	s_waitcnt_depctr 0xfff
	v_cndmask_b32_e64 v88, 0, v71, s9
	v_fma_f32 v71, s19, v104, -v68
	v_dual_add_f32 v69, v69, v87 :: v_dual_mul_f32 v70, 0x3fb8aa3b, v70
	s_delay_alu instid0(VALU_DEP_2) | instskip(NEXT) | instid1(VALU_DEP_2)
	v_dual_mul_f32 v78, 0x3fb8aa3b, v78 :: v_dual_mul_f32 v71, 0x3fb8aa3b, v71
	v_add_f32_e32 v69, v69, v84
	s_delay_alu instid0(VALU_DEP_3) | instskip(SKIP_1) | instid1(VALU_DEP_3)
	v_exp_f32_e32 v79, v70
	v_cndmask_b32_e64 v70, 0, v72, s10
	v_exp_f32_e32 v78, v78
	v_exp_f32_e32 v82, v71
	v_add_f32_e32 v72, v69, v88
	v_cndmask_b32_e64 v69, 0, v77, s11
	v_fma_f32 v77, s19, v106, -v68
	s_delay_alu instid0(VALU_DEP_3) | instskip(NEXT) | instid1(TRANS32_DEP_3)
	v_add_f32_e32 v72, v72, v70
	v_cndmask_b32_e64 v71, 0, v79, s12
	s_delay_alu instid0(VALU_DEP_3) | instskip(NEXT) | instid1(VALU_DEP_3)
	v_mul_f32_e32 v77, 0x3fb8aa3b, v77
	v_add_f32_e32 v79, v72, v69
	s_delay_alu instid0(TRANS32_DEP_2) | instskip(NEXT) | instid1(VALU_DEP_3)
	v_cndmask_b32_e64 v72, 0, v78, s13
	v_exp_f32_e32 v90, v77
	v_cndmask_b32_e64 v77, 0, v82, s15
	s_delay_alu instid0(VALU_DEP_3) | instskip(SKIP_1) | instid1(VALU_DEP_1)
	v_add_f32_e32 v78, v79, v71
	v_fma_f32 v79, s19, v107, -v68
	v_dual_add_f32 v82, v78, v72 :: v_dual_mul_f32 v79, 0x3fb8aa3b, v79
	v_cndmask_b32_e64 v78, 0, v81, s16
	s_delay_alu instid0(VALU_DEP_2) | instskip(NEXT) | instid1(VALU_DEP_3)
	v_add_f32_e32 v81, v82, v77
	v_exp_f32_e32 v82, v79
	s_delay_alu instid0(TRANS32_DEP_2) | instskip(NEXT) | instid1(VALU_DEP_2)
	v_cndmask_b32_e64 v79, 0, v90, s17
	v_add_f32_e32 v81, v81, v78
	s_delay_alu instid0(VALU_DEP_1) | instskip(SKIP_2) | instid1(VALU_DEP_1)
	v_add_f32_e32 v90, v81, v79
	s_waitcnt_depctr 0xfff
	v_cndmask_b32_e64 v81, 0, v82, s18
	v_add_f32_e32 v82, v90, v81
	ds_bpermute_b32 v89, v89, v82
	v_cmpx_gt_u32_e32 16, v67
	s_cbranch_execz .LBB1397_12
; %bb.11:
	v_mul_u32_u24_e32 v67, 0x44, v66
	s_delay_alu instid0(VALU_DEP_1) | instskip(SKIP_1) | instid1(VALU_DEP_1)
	v_lshl_add_u32 v67, v65, 2, v67
	s_waitcnt lgkmcnt(0)
	v_dual_add_f32 v82, v82, v89 :: v_dual_add_nc_u32 v67, 0x4000, v67
	ds_store_2addr_b32 v67, v68, v82 offset1:136
.LBB1397_12:
	s_or_b32 exec_lo, exec_lo, s3
	v_lshlrev_b32_e32 v67, 2, v65
	s_waitcnt lgkmcnt(0)
	s_barrier
	buffer_gl0_inv
	v_cmp_eq_u32_e32 vcc_lo, 1, v66
	v_add_nc_u32_e32 v82, 0x4000, v67
	v_cmp_eq_u32_e64 s3, 2, v66
	v_cmp_eq_u32_e64 s5, 7, v66
	ds_load_2addr_b32 v[89:90], v82 offset1:17
	ds_load_2addr_b32 v[91:92], v82 offset0:34 offset1:51
	ds_load_2addr_b32 v[93:94], v82 offset0:68 offset1:85
	;; [unrolled: 1-line block ×4, first 2 shown]
	s_waitcnt lgkmcnt(4)
	v_max3_f32 v67, v89, 0xff7fffff, v90
	s_waitcnt lgkmcnt(3)
	s_delay_alu instid0(VALU_DEP_1) | instskip(SKIP_1) | instid1(VALU_DEP_1)
	v_max3_f32 v67, v67, v91, v92
	s_waitcnt lgkmcnt(2)
	v_max3_f32 v67, v67, v93, v94
	s_waitcnt lgkmcnt(1)
	s_delay_alu instid0(VALU_DEP_1) | instskip(NEXT) | instid1(VALU_DEP_1)
	v_max3_f32 v67, v67, v95, v96
	v_sub_f32_e32 v93, v93, v67
	s_delay_alu instid0(VALU_DEP_1) | instskip(NEXT) | instid1(VALU_DEP_1)
	v_dual_sub_f32 v68, v89, v67 :: v_dual_mul_f32 v103, 0x3fb8aa3b, v93
	v_mul_f32_e32 v68, 0x3fb8aa3b, v68
	s_delay_alu instid0(VALU_DEP_1)
	v_exp_f32_e32 v100, v68
	v_sub_f32_e32 v68, v92, v67
	v_sub_f32_e32 v99, v90, v67
	ds_load_2addr_b32 v[89:90], v82 offset0:170 offset1:187
	v_dual_mul_f32 v102, 0x3fb8aa3b, v68 :: v_dual_mul_f32 v99, 0x3fb8aa3b, v99
	s_waitcnt lgkmcnt(1)
	v_fma_f32 v68, v100, v97, 0
	s_delay_alu instid0(VALU_DEP_2) | instskip(NEXT) | instid1(VALU_DEP_2)
	v_exp_f32_e32 v102, v102
	v_exp_f32_e32 v99, v99
	s_waitcnt_depctr 0xfff
	v_fmac_f32_e32 v68, v99, v98
	v_sub_f32_e32 v91, v91, v67
	s_delay_alu instid0(VALU_DEP_1)
	v_mul_f32_e32 v101, 0x3fb8aa3b, v91
	ds_load_2addr_b32 v[91:92], v82 offset0:204 offset1:221
	v_sub_f32_e32 v97, v94, v67
	ds_load_2addr_b32 v[93:94], v82 offset0:238 offset1:255
	s_waitcnt lgkmcnt(0)
	v_exp_f32_e32 v101, v101
	s_barrier
	buffer_gl0_inv
	v_dual_fmac_f32 v68, v101, v89 :: v_dual_sub_f32 v89, v96, v67
	v_dual_sub_f32 v82, v95, v67 :: v_dual_mul_f32 v95, 0x3fb8aa3b, v97
	v_exp_f32_e32 v97, v103
	s_delay_alu instid0(VALU_DEP_2) | instskip(NEXT) | instid1(VALU_DEP_2)
	v_dual_fmac_f32 v68, v102, v90 :: v_dual_mul_f32 v89, 0x3fb8aa3b, v89
	v_mul_f32_e32 v82, 0x3fb8aa3b, v82
	s_delay_alu instid0(VALU_DEP_3) | instskip(NEXT) | instid1(VALU_DEP_2)
	v_exp_f32_e32 v95, v95
	v_exp_f32_e32 v89, v89
	s_delay_alu instid0(VALU_DEP_1)
	v_exp_f32_e32 v82, v82
	v_fmac_f32_e32 v68, v97, v91
	s_delay_alu instid0(TRANS32_DEP_3) | instid1(VALU_DEP_1)
	v_fmac_f32_e32 v68, v95, v92
	s_waitcnt_depctr 0xfff
	v_fmac_f32_e32 v68, v82, v93
	s_delay_alu instid0(VALU_DEP_1) | instskip(NEXT) | instid1(VALU_DEP_1)
	v_fmac_f32_e32 v68, v89, v94
	v_add_f32_e32 v90, 0x358637bd, v68
	s_delay_alu instid0(VALU_DEP_1) | instskip(NEXT) | instid1(VALU_DEP_1)
	v_div_scale_f32 v91, null, v90, v90, 1.0
	v_rcp_f32_e32 v92, v91
	s_waitcnt_depctr 0xfff
	v_fma_f32 v93, -v91, v92, 1.0
	s_delay_alu instid0(VALU_DEP_1) | instskip(SKIP_1) | instid1(VALU_DEP_2)
	v_dual_fmac_f32 v92, v93, v92 :: v_dual_cndmask_b32 v93, v100, v99
	v_cmp_eq_u32_e32 vcc_lo, 3, v66
	v_cndmask_b32_e64 v93, v93, v101, s3
	v_cmp_eq_u32_e64 s3, 4, v66
	s_delay_alu instid0(VALU_DEP_2) | instskip(SKIP_1) | instid1(VALU_DEP_2)
	v_cndmask_b32_e32 v93, v93, v102, vcc_lo
	v_cmp_eq_u32_e32 vcc_lo, 5, v66
	v_cndmask_b32_e64 v93, v93, v97, s3
	v_cmp_eq_u32_e64 s3, 6, v66
	s_delay_alu instid0(VALU_DEP_2) | instskip(SKIP_1) | instid1(VALU_DEP_1)
	v_cndmask_b32_e32 v93, v93, v95, vcc_lo
	v_div_scale_f32 v94, s4, 1.0, v90, 1.0
	s_mov_b32 vcc_lo, s4
	s_delay_alu instid0(VALU_DEP_2) | instskip(NEXT) | instid1(VALU_DEP_2)
	v_cndmask_b32_e64 v82, v93, v82, s3
	v_mul_f32_e32 v96, v94, v92
	s_mov_b32 s3, exec_lo
	s_delay_alu instid0(VALU_DEP_2) | instskip(NEXT) | instid1(VALU_DEP_2)
	v_cndmask_b32_e64 v82, v82, v89, s5
	v_fma_f32 v98, -v91, v96, v94
	s_delay_alu instid0(VALU_DEP_1) | instskip(NEXT) | instid1(VALU_DEP_1)
	v_fmac_f32_e32 v96, v98, v92
	v_fma_f32 v91, -v91, v96, v94
	s_delay_alu instid0(VALU_DEP_1) | instskip(NEXT) | instid1(VALU_DEP_1)
	v_div_fmas_f32 v91, v91, v92, v96
	v_div_fixup_f32 v90, v91, v90, 1.0
	s_delay_alu instid0(VALU_DEP_1) | instskip(NEXT) | instid1(VALU_DEP_1)
	v_mul_f32_e32 v82, v82, v90
	v_mul_f32_e32 v87, v82, v87
	;; [unrolled: 1-line block ×7, first 2 shown]
	v_dual_mul_f32 v86, v82, v83 :: v_dual_and_b32 v91, 0x7f800000, v90
	v_mul_f32_e32 v85, v82, v76
                                        ; implicit-def: $vgpr76
	s_delay_alu instid0(VALU_DEP_2)
	v_cmpx_ne_u32_e32 0x7f800000, v91
	s_xor_b32 s3, exec_lo, s3
; %bb.13:
	v_bfe_u32 v76, v90, 16, 1
	s_delay_alu instid0(VALU_DEP_1)
	v_add3_u32 v76, v90, v76, 0x7fff
                                        ; implicit-def: $vgpr90
; %bb.14:
	s_and_not1_saveexec_b32 s3, s3
; %bb.15:
	v_and_b32_e32 v76, 0xffff, v90
	v_or_b32_e32 v83, 0x10000, v90
	s_delay_alu instid0(VALU_DEP_2) | instskip(NEXT) | instid1(VALU_DEP_2)
	v_cmp_eq_u32_e32 vcc_lo, 0, v76
	v_cndmask_b32_e32 v76, v83, v90, vcc_lo
; %bb.16:
	s_or_b32 exec_lo, exec_lo, s3
	v_and_b32_e32 v83, 0x7f800000, v85
	s_delay_alu instid0(VALU_DEP_1) | instskip(SKIP_1) | instid1(SALU_CYCLE_1)
	v_cmp_ne_u32_e32 vcc_lo, 0x7f800000, v83
                                        ; implicit-def: $vgpr83
	s_and_saveexec_b32 s3, vcc_lo
	s_xor_b32 s3, exec_lo, s3
; %bb.17:
	v_bfe_u32 v83, v85, 16, 1
	s_delay_alu instid0(VALU_DEP_1)
	v_add3_u32 v83, v85, v83, 0x7fff
                                        ; implicit-def: $vgpr85
; %bb.18:
	s_and_not1_saveexec_b32 s3, s3
; %bb.19:
	v_and_b32_e32 v83, 0xffff, v85
	v_or_b32_e32 v90, 0x10000, v85
	s_delay_alu instid0(VALU_DEP_2) | instskip(NEXT) | instid1(VALU_DEP_2)
	v_cmp_eq_u32_e32 vcc_lo, 0, v83
	v_cndmask_b32_e32 v83, v90, v85, vcc_lo
; %bb.20:
	s_or_b32 exec_lo, exec_lo, s3
	v_and_b32_e32 v85, 0x7f800000, v86
	s_delay_alu instid0(VALU_DEP_1) | instskip(SKIP_1) | instid1(SALU_CYCLE_1)
	v_cmp_ne_u32_e32 vcc_lo, 0x7f800000, v85
                                        ; implicit-def: $vgpr85
	s_and_saveexec_b32 s3, vcc_lo
	s_xor_b32 s3, exec_lo, s3
; %bb.21:
	v_bfe_u32 v85, v86, 16, 1
	s_delay_alu instid0(VALU_DEP_1)
	v_add3_u32 v85, v86, v85, 0x7fff
                                        ; implicit-def: $vgpr86
; %bb.22:
	s_and_not1_saveexec_b32 s3, s3
; %bb.23:
	v_and_b32_e32 v85, 0xffff, v86
	v_or_b32_e32 v90, 0x10000, v86
	s_delay_alu instid0(VALU_DEP_2) | instskip(NEXT) | instid1(VALU_DEP_2)
	v_cmp_eq_u32_e32 vcc_lo, 0, v85
	v_cndmask_b32_e32 v85, v90, v86, vcc_lo
; %bb.24:
	s_or_b32 exec_lo, exec_lo, s3
	v_and_b32_e32 v86, 0x7f800000, v89
	s_delay_alu instid0(VALU_DEP_1) | instskip(SKIP_1) | instid1(SALU_CYCLE_1)
	v_cmp_ne_u32_e32 vcc_lo, 0x7f800000, v86
                                        ; implicit-def: $vgpr86
	s_and_saveexec_b32 s3, vcc_lo
	s_xor_b32 s3, exec_lo, s3
; %bb.25:
	v_bfe_u32 v86, v89, 16, 1
	s_delay_alu instid0(VALU_DEP_1)
	v_add3_u32 v86, v89, v86, 0x7fff
                                        ; implicit-def: $vgpr89
; %bb.26:
	s_and_not1_saveexec_b32 s3, s3
; %bb.27:
	v_and_b32_e32 v86, 0xffff, v89
	v_or_b32_e32 v90, 0x10000, v89
	s_delay_alu instid0(VALU_DEP_2) | instskip(NEXT) | instid1(VALU_DEP_2)
	v_cmp_eq_u32_e32 vcc_lo, 0, v86
	v_cndmask_b32_e32 v86, v90, v89, vcc_lo
; %bb.28:
	s_or_b32 exec_lo, exec_lo, s3
	v_and_b32_e32 v89, 0x7f800000, v88
	s_delay_alu instid0(VALU_DEP_1) | instskip(SKIP_1) | instid1(SALU_CYCLE_1)
	v_cmp_ne_u32_e32 vcc_lo, 0x7f800000, v89
                                        ; implicit-def: $vgpr89
	s_and_saveexec_b32 s3, vcc_lo
	s_xor_b32 s3, exec_lo, s3
; %bb.29:
	v_bfe_u32 v89, v88, 16, 1
	s_delay_alu instid0(VALU_DEP_1)
	v_add3_u32 v89, v88, v89, 0x7fff
                                        ; implicit-def: $vgpr88
; %bb.30:
	s_and_not1_saveexec_b32 s3, s3
; %bb.31:
	v_and_b32_e32 v89, 0xffff, v88
	v_or_b32_e32 v90, 0x10000, v88
	s_delay_alu instid0(VALU_DEP_2) | instskip(NEXT) | instid1(VALU_DEP_2)
	v_cmp_eq_u32_e32 vcc_lo, 0, v89
	v_cndmask_b32_e32 v89, v90, v88, vcc_lo
; %bb.32:
	s_or_b32 exec_lo, exec_lo, s3
	v_and_b32_e32 v88, 0x7f800000, v87
	s_delay_alu instid0(VALU_DEP_1) | instskip(SKIP_1) | instid1(SALU_CYCLE_1)
	v_cmp_ne_u32_e32 vcc_lo, 0x7f800000, v88
                                        ; implicit-def: $vgpr88
	s_and_saveexec_b32 s3, vcc_lo
	s_xor_b32 s3, exec_lo, s3
; %bb.33:
	v_bfe_u32 v88, v87, 16, 1
	s_delay_alu instid0(VALU_DEP_1)
	v_add3_u32 v88, v87, v88, 0x7fff
                                        ; implicit-def: $vgpr87
; %bb.34:
	s_and_not1_saveexec_b32 s3, s3
; %bb.35:
	v_and_b32_e32 v88, 0xffff, v87
	v_or_b32_e32 v90, 0x10000, v87
	s_delay_alu instid0(VALU_DEP_2) | instskip(NEXT) | instid1(VALU_DEP_2)
	v_cmp_eq_u32_e32 vcc_lo, 0, v88
	v_cndmask_b32_e32 v88, v90, v87, vcc_lo
; %bb.36:
	s_or_b32 exec_lo, exec_lo, s3
	v_and_b32_e32 v87, 0x7f800000, v84
	s_delay_alu instid0(VALU_DEP_1) | instskip(SKIP_1) | instid1(SALU_CYCLE_1)
	v_cmp_ne_u32_e32 vcc_lo, 0x7f800000, v87
                                        ; implicit-def: $vgpr87
	s_and_saveexec_b32 s3, vcc_lo
	s_xor_b32 s3, exec_lo, s3
; %bb.37:
	v_bfe_u32 v87, v84, 16, 1
	s_delay_alu instid0(VALU_DEP_1)
	v_add3_u32 v87, v84, v87, 0x7fff
                                        ; implicit-def: $vgpr84
; %bb.38:
	s_and_not1_saveexec_b32 s3, s3
; %bb.39:
	v_and_b32_e32 v87, 0xffff, v84
	v_or_b32_e32 v90, 0x10000, v84
	s_delay_alu instid0(VALU_DEP_2) | instskip(NEXT) | instid1(VALU_DEP_2)
	v_cmp_eq_u32_e32 vcc_lo, 0, v87
	v_cndmask_b32_e32 v87, v90, v84, vcc_lo
; %bb.40:
	s_or_b32 exec_lo, exec_lo, s3
	v_and_b32_e32 v84, 0x7f800000, v80
	s_delay_alu instid0(VALU_DEP_1) | instskip(SKIP_1) | instid1(SALU_CYCLE_1)
	v_cmp_ne_u32_e32 vcc_lo, 0x7f800000, v84
                                        ; implicit-def: $vgpr84
	s_and_saveexec_b32 s3, vcc_lo
	s_xor_b32 s3, exec_lo, s3
; %bb.41:
	v_bfe_u32 v84, v80, 16, 1
	s_delay_alu instid0(VALU_DEP_1)
	v_add3_u32 v84, v80, v84, 0x7fff
                                        ; implicit-def: $vgpr80
; %bb.42:
	s_and_not1_saveexec_b32 s3, s3
; %bb.43:
	v_and_b32_e32 v84, 0xffff, v80
	v_or_b32_e32 v90, 0x10000, v80
	s_delay_alu instid0(VALU_DEP_2) | instskip(NEXT) | instid1(VALU_DEP_2)
	v_cmp_eq_u32_e32 vcc_lo, 0, v84
	v_cndmask_b32_e32 v84, v90, v80, vcc_lo
; %bb.44:
	s_or_b32 exec_lo, exec_lo, s3
	s_load_b64 s[34:35], s[0:1], 0x94
	v_lshlrev_b32_e32 v91, 4, v74
	s_delay_alu instid0(VALU_DEP_2)
	v_perm_b32 v90, v84, v87, 0x7060302
	v_dual_mul_f32 v79, v82, v79 :: v_dual_lshlrev_b32 v80, 6, v65
	v_dual_mul_f32 v77, v82, v77 :: v_dual_lshlrev_b32 v92, 11, v66
	v_mul_f32_e32 v84, v82, v70
	v_perm_b32 v89, v88, v89, 0x7060302
	v_perm_b32 v88, v86, v85, 0x7060302
	;; [unrolled: 1-line block ×3, first 2 shown]
	v_mul_f32_e32 v70, v82, v81
	v_or3_b32 v76, v91, v92, v80
	v_dual_mul_f32 v78, v82, v78 :: v_dual_and_b32 v85, 0x7f800000, v84
	v_mul_f32_e32 v83, v82, v72
	v_mul_f32_e32 v81, v82, v71
	;; [unrolled: 1-line block ×3, first 2 shown]
	s_mov_b32 s3, exec_lo
	ds_store_b128 v76, v[87:90]
                                        ; implicit-def: $vgpr69
	v_cmpx_ne_u32_e32 0x7f800000, v85
	s_xor_b32 s3, exec_lo, s3
; %bb.45:
	v_bfe_u32 v69, v84, 16, 1
	s_delay_alu instid0(VALU_DEP_1)
	v_add3_u32 v69, v84, v69, 0x7fff
                                        ; implicit-def: $vgpr84
; %bb.46:
	s_and_not1_saveexec_b32 s3, s3
; %bb.47:
	v_and_b32_e32 v69, 0xffff, v84
	v_or_b32_e32 v71, 0x10000, v84
	s_delay_alu instid0(VALU_DEP_2) | instskip(NEXT) | instid1(VALU_DEP_2)
	v_cmp_eq_u32_e32 vcc_lo, 0, v69
	v_cndmask_b32_e32 v69, v71, v84, vcc_lo
; %bb.48:
	s_or_b32 exec_lo, exec_lo, s3
	v_and_b32_e32 v71, 0x7f800000, v72
	s_delay_alu instid0(VALU_DEP_1) | instskip(SKIP_1) | instid1(SALU_CYCLE_1)
	v_cmp_ne_u32_e32 vcc_lo, 0x7f800000, v71
                                        ; implicit-def: $vgpr71
	s_and_saveexec_b32 s3, vcc_lo
	s_xor_b32 s3, exec_lo, s3
; %bb.49:
	v_bfe_u32 v71, v72, 16, 1
	s_delay_alu instid0(VALU_DEP_1)
	v_add3_u32 v71, v72, v71, 0x7fff
                                        ; implicit-def: $vgpr72
; %bb.50:
	s_and_not1_saveexec_b32 s3, s3
; %bb.51:
	v_and_b32_e32 v71, 0xffff, v72
	v_or_b32_e32 v82, 0x10000, v72
	s_delay_alu instid0(VALU_DEP_2) | instskip(NEXT) | instid1(VALU_DEP_2)
	v_cmp_eq_u32_e32 vcc_lo, 0, v71
	v_cndmask_b32_e32 v71, v82, v72, vcc_lo
; %bb.52:
	s_or_b32 exec_lo, exec_lo, s3
	v_and_b32_e32 v72, 0x7f800000, v81
	s_delay_alu instid0(VALU_DEP_1) | instskip(SKIP_1) | instid1(SALU_CYCLE_1)
	v_cmp_ne_u32_e32 vcc_lo, 0x7f800000, v72
                                        ; implicit-def: $vgpr72
	s_and_saveexec_b32 s3, vcc_lo
	s_xor_b32 s3, exec_lo, s3
; %bb.53:
	v_bfe_u32 v72, v81, 16, 1
	s_delay_alu instid0(VALU_DEP_1)
	v_add3_u32 v72, v81, v72, 0x7fff
                                        ; implicit-def: $vgpr81
; %bb.54:
	s_and_not1_saveexec_b32 s3, s3
; %bb.55:
	v_and_b32_e32 v72, 0xffff, v81
	v_or_b32_e32 v82, 0x10000, v81
	s_delay_alu instid0(VALU_DEP_2) | instskip(NEXT) | instid1(VALU_DEP_2)
	v_cmp_eq_u32_e32 vcc_lo, 0, v72
	v_cndmask_b32_e32 v72, v82, v81, vcc_lo
; %bb.56:
	s_or_b32 exec_lo, exec_lo, s3
	v_and_b32_e32 v81, 0x7f800000, v83
	s_delay_alu instid0(VALU_DEP_1) | instskip(SKIP_1) | instid1(SALU_CYCLE_1)
	v_cmp_ne_u32_e32 vcc_lo, 0x7f800000, v81
                                        ; implicit-def: $vgpr81
	s_and_saveexec_b32 s3, vcc_lo
	s_xor_b32 s3, exec_lo, s3
; %bb.57:
	v_bfe_u32 v81, v83, 16, 1
	s_delay_alu instid0(VALU_DEP_1)
	v_add3_u32 v81, v83, v81, 0x7fff
                                        ; implicit-def: $vgpr83
; %bb.58:
	s_and_not1_saveexec_b32 s3, s3
; %bb.59:
	v_and_b32_e32 v81, 0xffff, v83
	v_or_b32_e32 v82, 0x10000, v83
	s_delay_alu instid0(VALU_DEP_2) | instskip(NEXT) | instid1(VALU_DEP_2)
	v_cmp_eq_u32_e32 vcc_lo, 0, v81
	v_cndmask_b32_e32 v81, v82, v83, vcc_lo
; %bb.60:
	s_or_b32 exec_lo, exec_lo, s3
	v_and_b32_e32 v82, 0x7f800000, v77
	s_delay_alu instid0(VALU_DEP_1) | instskip(SKIP_1) | instid1(SALU_CYCLE_1)
	v_cmp_ne_u32_e32 vcc_lo, 0x7f800000, v82
                                        ; implicit-def: $vgpr82
	s_and_saveexec_b32 s3, vcc_lo
	s_xor_b32 s3, exec_lo, s3
; %bb.61:
	v_bfe_u32 v82, v77, 16, 1
	s_delay_alu instid0(VALU_DEP_1)
	v_add3_u32 v82, v77, v82, 0x7fff
                                        ; implicit-def: $vgpr77
; %bb.62:
	s_and_not1_saveexec_b32 s3, s3
; %bb.63:
	v_and_b32_e32 v82, 0xffff, v77
	v_or_b32_e32 v83, 0x10000, v77
	s_delay_alu instid0(VALU_DEP_2) | instskip(NEXT) | instid1(VALU_DEP_2)
	v_cmp_eq_u32_e32 vcc_lo, 0, v82
	v_cndmask_b32_e32 v82, v83, v77, vcc_lo
; %bb.64:
	s_or_b32 exec_lo, exec_lo, s3
	v_and_b32_e32 v77, 0x7f800000, v78
	s_delay_alu instid0(VALU_DEP_1) | instskip(SKIP_1) | instid1(SALU_CYCLE_1)
	v_cmp_ne_u32_e32 vcc_lo, 0x7f800000, v77
                                        ; implicit-def: $vgpr77
	s_and_saveexec_b32 s3, vcc_lo
	s_xor_b32 s3, exec_lo, s3
; %bb.65:
	v_bfe_u32 v77, v78, 16, 1
	s_delay_alu instid0(VALU_DEP_1)
	v_add3_u32 v77, v78, v77, 0x7fff
                                        ; implicit-def: $vgpr78
; %bb.66:
	s_and_not1_saveexec_b32 s3, s3
; %bb.67:
	v_and_b32_e32 v77, 0xffff, v78
	v_or_b32_e32 v83, 0x10000, v78
	s_delay_alu instid0(VALU_DEP_2) | instskip(NEXT) | instid1(VALU_DEP_2)
	v_cmp_eq_u32_e32 vcc_lo, 0, v77
	v_cndmask_b32_e32 v77, v83, v78, vcc_lo
; %bb.68:
	s_or_b32 exec_lo, exec_lo, s3
	v_and_b32_e32 v78, 0x7f800000, v79
	s_delay_alu instid0(VALU_DEP_1) | instskip(SKIP_1) | instid1(SALU_CYCLE_1)
	v_cmp_ne_u32_e32 vcc_lo, 0x7f800000, v78
                                        ; implicit-def: $vgpr78
	s_and_saveexec_b32 s3, vcc_lo
	s_xor_b32 s3, exec_lo, s3
; %bb.69:
	v_bfe_u32 v78, v79, 16, 1
	s_delay_alu instid0(VALU_DEP_1)
	v_add3_u32 v78, v79, v78, 0x7fff
                                        ; implicit-def: $vgpr79
; %bb.70:
	s_and_not1_saveexec_b32 s3, s3
; %bb.71:
	v_and_b32_e32 v78, 0xffff, v79
	v_or_b32_e32 v83, 0x10000, v79
	s_delay_alu instid0(VALU_DEP_2) | instskip(NEXT) | instid1(VALU_DEP_2)
	v_cmp_eq_u32_e32 vcc_lo, 0, v78
	v_cndmask_b32_e32 v78, v83, v79, vcc_lo
; %bb.72:
	s_or_b32 exec_lo, exec_lo, s3
	v_and_b32_e32 v79, 0x7f800000, v70
	s_delay_alu instid0(VALU_DEP_1) | instskip(SKIP_1) | instid1(SALU_CYCLE_1)
	v_cmp_ne_u32_e32 vcc_lo, 0x7f800000, v79
                                        ; implicit-def: $vgpr79
	s_and_saveexec_b32 s3, vcc_lo
	s_xor_b32 s3, exec_lo, s3
; %bb.73:
	v_bfe_u32 v79, v70, 16, 1
	s_delay_alu instid0(VALU_DEP_1)
	v_add3_u32 v79, v70, v79, 0x7fff
                                        ; implicit-def: $vgpr70
; %bb.74:
	s_and_not1_saveexec_b32 s3, s3
; %bb.75:
	v_and_b32_e32 v79, 0xffff, v70
	v_or_b32_e32 v83, 0x10000, v70
	s_delay_alu instid0(VALU_DEP_2) | instskip(NEXT) | instid1(VALU_DEP_2)
	v_cmp_eq_u32_e32 vcc_lo, 0, v79
	v_cndmask_b32_e32 v79, v83, v70, vcc_lo
; %bb.76:
	s_or_b32 exec_lo, exec_lo, s3
	s_delay_alu instid0(VALU_DEP_1)
	v_perm_b32 v86, v79, v78, 0x7060302
	v_perm_b32 v85, v77, v82, 0x7060302
	;; [unrolled: 1-line block ×4, first 2 shown]
	v_lshl_or_b32 v82, v66, 11, v80
	ds_store_b128 v76, v[83:86] offset:1024
	s_waitcnt lgkmcnt(0)
	s_barrier
	buffer_gl0_inv
	ds_load_b128 v[69:72], v82
	ds_load_b128 v[83:86], v82 offset:16
	s_waitcnt lgkmcnt(1)
	v_lshrrev_b32_e32 v66, 16, v69
	s_waitcnt lgkmcnt(0)
	v_lshrrev_b32_e32 v91, 16, v83
	v_lshlrev_b32_e32 v78, 2, v74
	v_lshrrev_b32_e32 v95, 16, v70
	v_lshrrev_b32_e32 v98, 16, v84
	;; [unrolled: 1-line block ×4, first 2 shown]
	v_cmp_eq_u32_e32 vcc_lo, 1, v78
	v_lshrrev_b32_e32 v97, 16, v72
	v_lshrrev_b32_e32 v100, 16, v86
	v_cndmask_b32_e32 v87, v83, v91, vcc_lo
	v_or_b32_e32 v79, 1, v78
	v_cndmask_b32_e32 v81, v69, v66, vcc_lo
	v_cmp_eq_u32_e64 s4, 2, v78
	v_cmp_eq_u32_e64 s7, 3, v78
	;; [unrolled: 1-line block ×5, first 2 shown]
	v_cndmask_b32_e64 v81, v81, v70, s4
	v_cndmask_b32_e64 v87, v87, v84, s4
	v_cmp_eq_u32_e64 s8, 3, v79
	v_cndmask_b32_e64 v88, v69, v66, s3
	v_or_b32_e32 v77, 2, v78
	v_cndmask_b32_e64 v81, v81, v95, s7
	v_cndmask_b32_e64 v87, v87, v98, s7
	v_cndmask_b32_e64 v89, v83, v91, s3
	v_cndmask_b32_e64 v88, v88, v70, s6
	v_cmp_eq_u32_e64 s10, 5, v78
	v_cndmask_b32_e64 v81, v81, v71, s9
	v_cndmask_b32_e64 v87, v87, v85, s9
	v_cmp_eq_u32_e64 s11, 4, v79
	v_cndmask_b32_e64 v88, v88, v95, s8
	v_cmp_eq_u32_e64 s5, 1, v77
	v_cndmask_b32_e64 v89, v89, v84, s6
	v_cndmask_b32_e64 v81, v81, v96, s10
	v_cmp_eq_u32_e64 s12, 6, v78
	v_cndmask_b32_e64 v88, v88, v71, s11
	;; [unrolled: 3-line block ×3, first 2 shown]
	v_cndmask_b32_e64 v89, v89, v98, s8
	v_cndmask_b32_e64 v81, v81, v72, s12
	v_cmp_eq_u32_e64 s15, 7, v78
	v_cndmask_b32_e64 v88, v88, v96, s13
	v_cndmask_b32_e64 v87, v87, v86, s12
	v_cmp_eq_u32_e64 s16, 6, v79
	v_cmp_eq_u32_e64 s17, 2, v77
	v_cndmask_b32_e64 v89, v89, v85, s11
	v_cndmask_b32_e64 v101, v81, v97, s15
	;; [unrolled: 1-line block ×6, first 2 shown]
	v_cmp_eq_u32_e64 s18, 7, v79
	v_cmp_eq_u32_e64 s19, 3, v77
	;; [unrolled: 1-line block ×4, first 2 shown]
	v_cndmask_b32_e64 v87, v87, v84, s17
	v_cndmask_b32_e64 v103, v88, v97, s18
	;; [unrolled: 1-line block ×4, first 2 shown]
	v_or_b32_e32 v81, 3, v78
	v_cndmask_b32_e64 v93, v87, v98, s19
	v_cmp_eq_u32_e64 s24, 6, v77
	v_cndmask_b32_e64 v104, v88, v86, s16
	v_cndmask_b32_e64 v92, v89, v71, s20
	v_cmp_eq_u32_e64 s21, 1, v81
	ds_load_b128 v[87:90], v82 offset:1024
	v_cmp_eq_u32_e64 s23, 2, v81
	v_cmp_eq_u32_e64 s25, 3, v81
	v_cndmask_b32_e64 v105, v92, v96, s22
	v_cndmask_b32_e64 v66, v69, v66, s21
	v_cndmask_b32_e64 v69, v93, v85, s20
	v_cndmask_b32_e64 v83, v83, v91, s21
	ds_load_b128 v[91:94], v82 offset:1040
	v_cmp_eq_u32_e64 s26, 4, v81
	v_cndmask_b32_e64 v66, v66, v70, s23
	v_cmp_eq_u32_e64 s27, 7, v77
	v_cndmask_b32_e64 v70, v83, v84, s23
	v_cndmask_b32_e64 v84, v105, v72, s24
	v_cmp_eq_u32_e64 s28, 5, v81
	v_cndmask_b32_e64 v66, v66, v95, s25
	v_cmp_eq_u32_e64 s29, 6, v81
	v_cndmask_b32_e64 v70, v70, v98, s25
	v_cndmask_b32_e64 v69, v69, v99, s22
	;; [unrolled: 1-line block ×4, first 2 shown]
	s_waitcnt lgkmcnt(1)
	v_lshrrev_b32_e32 v95, 16, v87
	v_cndmask_b32_e64 v70, v70, v85, s26
	v_cndmask_b32_e64 v71, v84, v97, s27
	;; [unrolled: 1-line block ×4, first 2 shown]
	v_cndmask_b32_e32 v84, v87, v95, vcc_lo
	v_cndmask_b32_e64 v70, v70, v99, s28
	s_waitcnt lgkmcnt(0)
	v_lshrrev_b32_e32 v85, 16, v91
	v_lshrrev_b32_e32 v96, 16, v88
	v_cndmask_b32_e64 v98, v87, v95, s3
	v_cndmask_b32_e64 v84, v84, v88, s4
	;; [unrolled: 1-line block ×3, first 2 shown]
	v_cndmask_b32_e32 v99, v91, v85, vcc_lo
	v_cmp_eq_u32_e32 vcc_lo, 7, v81
	v_cndmask_b32_e64 v66, v66, v72, s29
	v_cndmask_b32_e64 v72, v84, v96, s7
	;; [unrolled: 1-line block ×3, first 2 shown]
	v_lshrrev_b32_e32 v98, 16, v92
	v_cndmask_b32_e32 v70, v70, v100, vcc_lo
	v_cndmask_b32_e64 v86, v99, v92, s4
	v_cndmask_b32_e64 v69, v69, v100, s27
	v_lshrrev_b32_e32 v100, 16, v93
	v_cndmask_b32_e64 v72, v72, v89, s9
	v_lshrrev_b32_e32 v99, 16, v89
	v_cndmask_b32_e64 v86, v86, v98, s7
	v_perm_b32 v71, v69, v71, 0x5040100
	v_cndmask_b32_e64 v84, v84, v96, s8
	s_delay_alu instid0(VALU_DEP_3) | instskip(NEXT) | instid1(VALU_DEP_2)
	v_cndmask_b32_e64 v86, v86, v93, s9
	v_cndmask_b32_e64 v84, v84, v89, s11
	s_delay_alu instid0(VALU_DEP_2) | instskip(NEXT) | instid1(VALU_DEP_1)
	v_cndmask_b32_e64 v86, v86, v100, s10
	v_cndmask_b32_e64 v69, v86, v94, s12
	;; [unrolled: 1-line block ×5, first 2 shown]
	s_delay_alu instid0(VALU_DEP_3) | instskip(NEXT) | instid1(VALU_DEP_3)
	v_cndmask_b32_e64 v86, v86, v88, s17
	v_cndmask_b32_e64 v87, v87, v88, s23
	s_delay_alu instid0(VALU_DEP_3) | instskip(NEXT) | instid1(VALU_DEP_3)
	v_cndmask_b32_e64 v88, v95, v92, s23
	v_cndmask_b32_e64 v86, v86, v96, s19
	;; [unrolled: 3-line block ×7, first 2 shown]
	s_delay_alu instid0(VALU_DEP_3) | instskip(SKIP_2) | instid1(VALU_DEP_2)
	v_cndmask_b32_e64 v88, v88, v94, s29
	v_cndmask_b32_e32 v66, v66, v97, vcc_lo
	v_cndmask_b32_e64 v97, v72, v99, s10
	v_perm_b32 v72, v70, v66, 0x5040100
	v_perm_b32 v70, v83, v103, 0x5040100
	v_cndmask_b32_e64 v103, v91, v85, s5
	v_cndmask_b32_e64 v85, v91, v85, s3
	;; [unrolled: 1-line block ×4, first 2 shown]
	v_lshrrev_b32_e32 v97, 16, v90
	v_cndmask_b32_e64 v91, v103, v92, s17
	v_cndmask_b32_e64 v85, v85, v92, s6
	;; [unrolled: 1-line block ×3, first 2 shown]
	s_mov_b32 s3, exec_lo
	v_cndmask_b32_e64 v83, v84, v97, s15
	v_cndmask_b32_e64 v91, v91, v98, s19
	;; [unrolled: 1-line block ×3, first 2 shown]
	v_lshrrev_b32_e32 v84, 16, v94
	v_cndmask_b32_e64 v66, v66, v97, s18
	v_cndmask_b32_e64 v90, v86, v97, s27
	;; [unrolled: 1-line block ×4, first 2 shown]
	v_dual_cndmask_b32 v86, v87, v97 :: v_dual_cndmask_b32 v87, v88, v84
	v_cndmask_b32_e64 v91, v69, v84, s15
	s_delay_alu instid0(VALU_DEP_4) | instskip(NEXT) | instid1(VALU_DEP_4)
	v_cndmask_b32_e64 v89, v89, v100, s22
	v_cndmask_b32_e64 v85, v85, v100, s13
	v_perm_b32 v69, v102, v101, 0x5040100
	v_perm_b32 v86, v87, v86, 0x5040100
	;; [unrolled: 1-line block ×3, first 2 shown]
	v_cndmask_b32_e64 v89, v89, v94, s24
	v_cndmask_b32_e64 v85, v85, v94, s16
	s_mul_i32 s8, s35, 12
	s_delay_alu instid0(VALU_DEP_2) | instskip(NEXT) | instid1(VALU_DEP_2)
	v_cndmask_b32_e64 v88, v89, v84, s27
	v_cndmask_b32_e64 v89, v85, v84, s18
	s_delay_alu instid0(VALU_DEP_2) | instskip(NEXT) | instid1(VALU_DEP_2)
	v_perm_b32 v85, v88, v90, 0x5040100
	v_perm_b32 v84, v89, v66, 0x5040100
	ds_store_b128 v76, v[69:72]
	ds_store_b128 v76, v[83:86] offset:1024
	v_cmpx_gt_u32_e32 12, v0
	s_cbranch_execz .LBB1397_78
; %bb.77:
	s_mul_i32 s4, s8, s30
	s_delay_alu instid0(SALU_CYCLE_1) | instskip(SKIP_1) | instid1(VALU_DEP_1)
	v_add3_u32 v69, s4, s31, v65
	s_load_b128 s[4:7], s[0:1], 0x58
	v_mad_u64_u32 v[65:66], null, v69, s34, s[14:15]
	s_delay_alu instid0(VALU_DEP_1) | instskip(NEXT) | instid1(VALU_DEP_1)
	v_ashrrev_i32_e32 v66, 31, v65
	v_lshlrev_b64 v[65:66], 2, v[65:66]
	s_waitcnt lgkmcnt(0)
	s_delay_alu instid0(VALU_DEP_1) | instskip(NEXT) | instid1(VALU_DEP_2)
	v_add_co_u32 v69, vcc_lo, s6, v65
	v_add_co_ci_u32_e32 v70, vcc_lo, s7, v66, vcc_lo
	v_add_co_u32 v65, vcc_lo, s4, v65
	v_add_co_ci_u32_e32 v66, vcc_lo, s5, v66, vcc_lo
	global_store_b32 v[69:70], v67, off
	global_store_b32 v[65:66], v68, off
.LBB1397_78:
	s_or_b32 exec_lo, exec_lo, s3
	s_waitcnt lgkmcnt(0)
	s_waitcnt_vscnt null, 0x0
	s_barrier
	buffer_gl0_inv
	ds_load_b128 v[83:86], v80
	ds_load_b128 v[87:90], v80 offset:16
	ds_load_b128 v[95:98], v80 offset:2064
	ds_load_b128 v[91:94], v80 offset:2048
	v_mov_b32_e32 v65, 0
	ds_load_b128 v[103:106], v80 offset:4112
	ds_load_b128 v[99:102], v80 offset:4096
	;; [unrolled: 1-line block ×4, first 2 shown]
	v_mov_b32_e32 v66, v65
	v_mov_b32_e32 v67, v65
	;; [unrolled: 1-line block ×7, first 2 shown]
	s_waitcnt lgkmcnt(6)
	s_delay_alu instid0(VALU_DEP_1)
	v_wmma_f32_16x16x16_bf16 v[65:72], v[57:64], v[83:90], v[65:72]
	ds_load_b128 v[61:64], v80 offset:8208
	ds_load_b128 v[57:60], v80 offset:8192
	s_waitcnt lgkmcnt(6)
	v_wmma_f32_16x16x16_bf16 v[65:72], v[41:48], v[91:98], v[65:72]
	ds_load_b128 v[45:48], v80 offset:10256
	ds_load_b128 v[41:44], v80 offset:10240
	s_waitcnt lgkmcnt(6)
	;; [unrolled: 4-line block ×4, first 2 shown]
	v_wmma_f32_16x16x16_bf16 v[65:72], v[1:8], v[57:64], v[65:72]
	s_waitcnt lgkmcnt(4)
	s_delay_alu instid0(VALU_DEP_1) | instskip(SKIP_1) | instid1(VALU_DEP_1)
	v_wmma_f32_16x16x16_bf16 v[65:72], v[9:16], v[41:48], v[65:72]
	s_waitcnt lgkmcnt(2)
	v_wmma_f32_16x16x16_bf16 v[65:72], v[17:24], v[33:40], v[65:72]
	s_waitcnt lgkmcnt(0)
	s_delay_alu instid0(VALU_DEP_1) | instskip(NEXT) | instid1(VALU_DEP_1)
	v_wmma_f32_16x16x16_bf16 v[65:72], v[49:56], v[25:32], v[65:72]
	v_and_b32_e32 v1, 0x7f800000, v65
	s_delay_alu instid0(VALU_DEP_1) | instskip(SKIP_1) | instid1(SALU_CYCLE_1)
	v_cmp_ne_u32_e32 vcc_lo, 0x7f800000, v1
                                        ; implicit-def: $vgpr1
	s_and_saveexec_b32 s3, vcc_lo
	s_xor_b32 s3, exec_lo, s3
; %bb.79:
	v_bfe_u32 v1, v65, 16, 1
	s_delay_alu instid0(VALU_DEP_1)
	v_add3_u32 v1, v65, v1, 0x7fff
; %bb.80:
	s_and_not1_saveexec_b32 s3, s3
; %bb.81:
	v_and_b32_e32 v1, 0xffff, v65
	v_or_b32_e32 v2, 0x10000, v65
	s_delay_alu instid0(VALU_DEP_2) | instskip(NEXT) | instid1(VALU_DEP_2)
	v_cmp_eq_u32_e32 vcc_lo, 0, v1
	v_cndmask_b32_e32 v1, v2, v65, vcc_lo
; %bb.82:
	s_or_b32 exec_lo, exec_lo, s3
	v_and_b32_e32 v2, 0x7f800000, v66
	s_delay_alu instid0(VALU_DEP_1) | instskip(SKIP_1) | instid1(SALU_CYCLE_1)
	v_cmp_ne_u32_e32 vcc_lo, 0x7f800000, v2
                                        ; implicit-def: $vgpr2
	s_and_saveexec_b32 s3, vcc_lo
	s_xor_b32 s3, exec_lo, s3
; %bb.83:
	v_bfe_u32 v2, v66, 16, 1
	s_delay_alu instid0(VALU_DEP_1)
	v_add3_u32 v2, v66, v2, 0x7fff
; %bb.84:
	s_and_not1_saveexec_b32 s3, s3
; %bb.85:
	v_and_b32_e32 v2, 0xffff, v66
	v_or_b32_e32 v3, 0x10000, v66
	s_delay_alu instid0(VALU_DEP_2) | instskip(NEXT) | instid1(VALU_DEP_2)
	v_cmp_eq_u32_e32 vcc_lo, 0, v2
	v_cndmask_b32_e32 v2, v3, v66, vcc_lo
; %bb.86:
	s_or_b32 exec_lo, exec_lo, s3
	v_and_b32_e32 v3, 0x7f800000, v67
	s_delay_alu instid0(VALU_DEP_1) | instskip(SKIP_1) | instid1(SALU_CYCLE_1)
	v_cmp_ne_u32_e32 vcc_lo, 0x7f800000, v3
                                        ; implicit-def: $vgpr3
	s_and_saveexec_b32 s3, vcc_lo
	s_xor_b32 s3, exec_lo, s3
; %bb.87:
	v_bfe_u32 v3, v67, 16, 1
	s_delay_alu instid0(VALU_DEP_1)
	v_add3_u32 v3, v67, v3, 0x7fff
; %bb.88:
	s_and_not1_saveexec_b32 s3, s3
; %bb.89:
	v_and_b32_e32 v3, 0xffff, v67
	v_or_b32_e32 v4, 0x10000, v67
	s_delay_alu instid0(VALU_DEP_2) | instskip(NEXT) | instid1(VALU_DEP_2)
	v_cmp_eq_u32_e32 vcc_lo, 0, v3
	v_cndmask_b32_e32 v3, v4, v67, vcc_lo
; %bb.90:
	s_or_b32 exec_lo, exec_lo, s3
	v_and_b32_e32 v4, 0x7f800000, v68
	s_delay_alu instid0(VALU_DEP_1) | instskip(SKIP_1) | instid1(SALU_CYCLE_1)
	v_cmp_ne_u32_e32 vcc_lo, 0x7f800000, v4
                                        ; implicit-def: $vgpr4
	s_and_saveexec_b32 s3, vcc_lo
	s_xor_b32 s3, exec_lo, s3
; %bb.91:
	v_bfe_u32 v4, v68, 16, 1
	s_delay_alu instid0(VALU_DEP_1)
	v_add3_u32 v4, v68, v4, 0x7fff
; %bb.92:
	s_and_not1_saveexec_b32 s3, s3
; %bb.93:
	v_and_b32_e32 v4, 0xffff, v68
	v_or_b32_e32 v5, 0x10000, v68
	s_delay_alu instid0(VALU_DEP_2) | instskip(NEXT) | instid1(VALU_DEP_2)
	v_cmp_eq_u32_e32 vcc_lo, 0, v4
	v_cndmask_b32_e32 v4, v5, v68, vcc_lo
; %bb.94:
	s_or_b32 exec_lo, exec_lo, s3
	v_and_b32_e32 v5, 0x7f800000, v69
	s_delay_alu instid0(VALU_DEP_1) | instskip(SKIP_1) | instid1(SALU_CYCLE_1)
	v_cmp_ne_u32_e32 vcc_lo, 0x7f800000, v5
                                        ; implicit-def: $vgpr5
	s_and_saveexec_b32 s3, vcc_lo
	s_xor_b32 s3, exec_lo, s3
; %bb.95:
	v_bfe_u32 v5, v69, 16, 1
	s_delay_alu instid0(VALU_DEP_1)
	v_add3_u32 v5, v69, v5, 0x7fff
; %bb.96:
	s_and_not1_saveexec_b32 s3, s3
; %bb.97:
	v_and_b32_e32 v5, 0xffff, v69
	v_or_b32_e32 v6, 0x10000, v69
	s_delay_alu instid0(VALU_DEP_2) | instskip(NEXT) | instid1(VALU_DEP_2)
	v_cmp_eq_u32_e32 vcc_lo, 0, v5
	v_cndmask_b32_e32 v5, v6, v69, vcc_lo
; %bb.98:
	s_or_b32 exec_lo, exec_lo, s3
	v_and_b32_e32 v6, 0x7f800000, v70
	s_delay_alu instid0(VALU_DEP_1) | instskip(SKIP_1) | instid1(SALU_CYCLE_1)
	v_cmp_ne_u32_e32 vcc_lo, 0x7f800000, v6
                                        ; implicit-def: $vgpr6
	s_and_saveexec_b32 s3, vcc_lo
	s_xor_b32 s3, exec_lo, s3
; %bb.99:
	v_bfe_u32 v6, v70, 16, 1
	s_delay_alu instid0(VALU_DEP_1)
	v_add3_u32 v6, v70, v6, 0x7fff
; %bb.100:
	s_and_not1_saveexec_b32 s3, s3
; %bb.101:
	v_and_b32_e32 v6, 0xffff, v70
	v_or_b32_e32 v7, 0x10000, v70
	s_delay_alu instid0(VALU_DEP_2) | instskip(NEXT) | instid1(VALU_DEP_2)
	v_cmp_eq_u32_e32 vcc_lo, 0, v6
	v_cndmask_b32_e32 v6, v7, v70, vcc_lo
; %bb.102:
	s_or_b32 exec_lo, exec_lo, s3
	v_and_b32_e32 v7, 0x7f800000, v71
	s_delay_alu instid0(VALU_DEP_1) | instskip(SKIP_1) | instid1(SALU_CYCLE_1)
	v_cmp_ne_u32_e32 vcc_lo, 0x7f800000, v7
                                        ; implicit-def: $vgpr7
	s_and_saveexec_b32 s3, vcc_lo
	s_xor_b32 s3, exec_lo, s3
; %bb.103:
	v_bfe_u32 v7, v71, 16, 1
	s_delay_alu instid0(VALU_DEP_1)
	v_add3_u32 v7, v71, v7, 0x7fff
; %bb.104:
	s_and_not1_saveexec_b32 s3, s3
; %bb.105:
	v_and_b32_e32 v7, 0xffff, v71
	v_or_b32_e32 v8, 0x10000, v71
	s_delay_alu instid0(VALU_DEP_2) | instskip(NEXT) | instid1(VALU_DEP_2)
	v_cmp_eq_u32_e32 vcc_lo, 0, v7
	v_cndmask_b32_e32 v7, v8, v71, vcc_lo
; %bb.106:
	s_or_b32 exec_lo, exec_lo, s3
	v_and_b32_e32 v8, 0x7f800000, v72
	s_delay_alu instid0(VALU_DEP_1) | instskip(SKIP_1) | instid1(SALU_CYCLE_1)
	v_cmp_ne_u32_e32 vcc_lo, 0x7f800000, v8
                                        ; implicit-def: $vgpr8
	s_and_saveexec_b32 s3, vcc_lo
	s_xor_b32 s3, exec_lo, s3
; %bb.107:
	v_bfe_u32 v8, v72, 16, 1
	s_delay_alu instid0(VALU_DEP_1)
	v_add3_u32 v8, v72, v8, 0x7fff
                                        ; implicit-def: $vgpr65_vgpr66_vgpr67_vgpr68_vgpr69_vgpr70_vgpr71_vgpr72
; %bb.108:
	s_and_not1_saveexec_b32 s3, s3
; %bb.109:
	v_and_b32_e32 v8, 0xffff, v72
	v_or_b32_e32 v9, 0x10000, v72
	s_delay_alu instid0(VALU_DEP_2) | instskip(NEXT) | instid1(VALU_DEP_2)
	v_cmp_eq_u32_e32 vcc_lo, 0, v8
	v_cndmask_b32_e32 v8, v9, v72, vcc_lo
; %bb.110:
	s_or_b32 exec_lo, exec_lo, s3
	s_delay_alu instid0(VALU_DEP_1)
	v_perm_b32 v7, v8, v7, 0x7060302
	v_perm_b32 v6, v6, v5, 0x7060302
	;; [unrolled: 1-line block ×4, first 2 shown]
	s_barrier
	buffer_gl0_inv
	v_cmp_eq_u32_e32 vcc_lo, 1, v78
	ds_store_b128 v76, v[4:7]
	s_waitcnt lgkmcnt(0)
	s_barrier
	buffer_gl0_inv
	ds_load_b128 v[1:4], v82
	ds_load_b128 v[5:8], v82 offset:16
	v_cmp_eq_u32_e64 s3, 1, v79
	v_cmp_eq_u32_e64 s4, 2, v78
	;; [unrolled: 1-line block ×5, first 2 shown]
	s_waitcnt lgkmcnt(1)
	v_lshrrev_b32_e32 v9, 16, v1
	s_waitcnt lgkmcnt(0)
	v_lshrrev_b32_e32 v13, 16, v5
	v_lshrrev_b32_e32 v10, 16, v2
	;; [unrolled: 1-line block ×4, first 2 shown]
	v_cndmask_b32_e64 v19, v1, v9, s3
	v_cndmask_b32_e32 v18, v5, v13, vcc_lo
	v_cndmask_b32_e64 v20, v5, v13, s3
	v_cndmask_b32_e32 v17, v1, v9, vcc_lo
	v_cmp_eq_u32_e32 vcc_lo, 2, v79
	v_lshrrev_b32_e32 v15, 16, v7
	v_cmp_eq_u32_e64 s3, 1, v77
	v_lshrrev_b32_e32 v12, 16, v4
	v_lshrrev_b32_e32 v16, 16, v8
	v_cndmask_b32_e32 v20, v20, v6, vcc_lo
	v_cndmask_b32_e64 v17, v17, v2, s4
	v_cndmask_b32_e32 v19, v19, v2, vcc_lo
	v_cndmask_b32_e64 v18, v18, v6, s4
	v_cmp_eq_u32_e32 vcc_lo, 4, v78
	v_cmp_eq_u32_e64 s4, 3, v79
	v_cndmask_b32_e64 v17, v17, v10, s5
	v_cndmask_b32_e64 v21, v1, v9, s3
	;; [unrolled: 1-line block ×5, first 2 shown]
	v_cndmask_b32_e32 v17, v17, v3, vcc_lo
	v_cndmask_b32_e64 v20, v20, v14, s4
	v_cndmask_b32_e32 v18, v18, v7, vcc_lo
	v_cmp_eq_u32_e32 vcc_lo, 4, v79
	v_cmp_eq_u32_e64 s4, 5, v79
	v_cmp_eq_u32_e64 s3, 2, v81
	v_cndmask_b32_e64 v21, v21, v2, s7
	v_cmp_eq_u32_e64 s5, 5, v78
	v_cndmask_b32_e32 v19, v19, v3, vcc_lo
	v_cndmask_b32_e32 v20, v20, v7, vcc_lo
	v_cmp_eq_u32_e32 vcc_lo, 6, v79
	s_delay_alu instid0(VALU_DEP_4) | instskip(NEXT) | instid1(VALU_DEP_4)
	v_cndmask_b32_e64 v17, v17, v11, s5
	v_cndmask_b32_e64 v19, v19, v11, s4
	s_delay_alu instid0(VALU_DEP_4) | instskip(SKIP_1) | instid1(VALU_DEP_3)
	v_cndmask_b32_e64 v20, v20, v15, s4
	v_cmp_eq_u32_e64 s4, 1, v81
	v_cndmask_b32_e32 v19, v19, v4, vcc_lo
	v_cndmask_b32_e64 v18, v18, v15, s5
	s_delay_alu instid0(VALU_DEP_3)
	v_cndmask_b32_e64 v1, v1, v9, s4
	v_cndmask_b32_e64 v5, v5, v13, s4
	v_cmp_eq_u32_e64 s4, 3, v77
	v_cndmask_b32_e64 v13, v22, v6, s7
	v_cmp_eq_u32_e64 s7, 3, v81
	v_cndmask_b32_e64 v1, v1, v2, s3
	v_cndmask_b32_e64 v2, v5, v6, s3
	;; [unrolled: 1-line block ×3, first 2 shown]
	v_cmp_eq_u32_e64 s3, 4, v77
	v_cndmask_b32_e64 v6, v13, v14, s4
	v_cndmask_b32_e64 v1, v1, v10, s7
	v_cmp_eq_u32_e64 s4, 4, v81
	v_cndmask_b32_e64 v2, v2, v14, s7
	v_cndmask_b32_e64 v5, v9, v3, s3
	v_cmp_eq_u32_e64 s7, 5, v77
	v_cndmask_b32_e64 v6, v6, v7, s3
	v_cndmask_b32_e64 v1, v1, v3, s4
	v_cndmask_b32_e64 v2, v2, v7, s4
	v_cmp_eq_u32_e64 s3, 5, v81
	v_cmp_eq_u32_e64 s5, 6, v78
	v_cndmask_b32_e64 v5, v5, v11, s7
	v_cmp_eq_u32_e64 s4, 6, v77
	v_cndmask_b32_e64 v3, v6, v15, s7
	v_cndmask_b32_e64 v1, v1, v11, s3
	v_cmp_eq_u32_e64 s7, 6, v81
	v_cndmask_b32_e64 v2, v2, v15, s3
	v_cndmask_b32_e64 v17, v17, v4, s5
	v_cndmask_b32_e64 v18, v18, v8, s5
	v_cmp_eq_u32_e64 s5, 7, v78
	v_cndmask_b32_e64 v5, v5, v4, s4
	;; [unrolled: 4-line block ×3, first 2 shown]
	v_cmp_eq_u32_e64 s4, 7, v77
	v_cndmask_b32_e32 v4, v20, v8, vcc_lo
	v_cndmask_b32_e64 v17, v17, v12, s5
	v_cndmask_b32_e64 v19, v19, v12, s6
	;; [unrolled: 1-line block ×8, first 2 shown]
	v_cmp_gt_u32_e32 vcc_lo, 32, v0
	v_perm_b32 v4, v2, v1, 0x5040100
	v_perm_b32 v3, v3, v5, 0x5040100
	v_perm_b32 v2, v6, v19, 0x5040100
	v_perm_b32 v1, v7, v17, 0x5040100
	s_and_b32 s2, vcc_lo, s2
	ds_store_b128 v76, v[1:4]
	s_waitcnt lgkmcnt(0)
	s_barrier
	buffer_gl0_inv
	s_and_saveexec_b32 s3, s2
	s_cbranch_execz .LBB1397_2
; %bb.111:
	s_load_b64 s[0:1], s[0:1], 0x68
	v_lshlrev_b32_e32 v0, 10, v0
	s_lshl_b32 s4, s34, 6
	v_or_b32_e32 v3, s31, v74
	s_mul_i32 s2, s4, s30
	v_lshlrev_b32_e32 v1, 4, v75
	s_mul_i32 s2, s2, s8
	v_lshlrev_b32_e32 v2, 6, v74
	v_and_b32_e32 v0, 0x3800, v0
	s_ashr_i32 s3, s2, 31
	v_mul_lo_u32 v4, v3, s4
	s_lshl_b64 s[2:3], s[2:3], 1
	s_delay_alu instid0(VALU_DEP_2) | instskip(NEXT) | instid1(VALU_DEP_2)
	v_or3_b32 v16, v0, v1, v2
	v_ashrrev_i32_e32 v5, 31, v4
	ds_load_b128 v[0:3], v16
	s_waitcnt lgkmcnt(0)
	s_add_u32 s2, s0, s2
	s_addc_u32 s3, s1, s3
	s_lshl_b32 s0, s14, 6
	v_lshlrev_b64 v[5:6], 1, v[4:5]
	s_ashr_i32 s1, s0, 31
	s_delay_alu instid0(SALU_CYCLE_1) | instskip(NEXT) | instid1(SALU_CYCLE_1)
	s_lshl_b64 s[0:1], s[0:1], 1
	s_add_u32 s0, s2, s0
	s_addc_u32 s1, s3, s1
	s_lshl_b32 s2, s34, 7
	v_add_co_u32 v30, s0, s0, v73
	v_add_nc_u32_e32 v8, s2, v4
	v_add_co_ci_u32_e64 v31, null, s1, 0, s0
	s_delay_alu instid0(VALU_DEP_3) | instskip(NEXT) | instid1(VALU_DEP_3)
	v_add_co_u32 v12, vcc_lo, v30, v5
	v_add_nc_u32_e32 v10, s2, v8
	v_ashrrev_i32_e32 v9, 31, v8
	s_delay_alu instid0(VALU_DEP_4)
	v_add_co_ci_u32_e32 v13, vcc_lo, v31, v6, vcc_lo
	ds_load_b128 v[4:7], v16 offset:128
	v_ashrrev_i32_e32 v11, 31, v10
	v_lshlrev_b64 v[8:9], 1, v[8:9]
	v_add_nc_u32_e32 v14, s2, v10
	global_store_b128 v[12:13], v[0:3], off
	v_lshlrev_b64 v[0:1], 1, v[10:11]
	v_ashrrev_i32_e32 v15, 31, v14
	v_add_co_u32 v22, vcc_lo, v30, v8
	v_add_nc_u32_e32 v20, s2, v14
	v_add_co_ci_u32_e32 v23, vcc_lo, v31, v9, vcc_lo
	v_add_co_u32 v26, vcc_lo, v30, v0
	v_lshlrev_b64 v[24:25], 1, v[14:15]
	v_add_co_ci_u32_e32 v27, vcc_lo, v31, v1, vcc_lo
	ds_load_b128 v[0:3], v16 offset:256
	ds_load_b128 v[8:11], v16 offset:384
	;; [unrolled: 1-line block ×4, first 2 shown]
	v_add_nc_u32_e32 v28, s2, v20
	v_ashrrev_i32_e32 v21, 31, v20
	v_add_co_u32 v24, vcc_lo, v30, v24
	v_add_co_ci_u32_e32 v25, vcc_lo, v31, v25, vcc_lo
	s_delay_alu instid0(VALU_DEP_4) | instskip(NEXT) | instid1(VALU_DEP_4)
	v_ashrrev_i32_e32 v29, 31, v28
	v_lshlrev_b64 v[20:21], 1, v[20:21]
	s_delay_alu instid0(VALU_DEP_2) | instskip(NEXT) | instid1(VALU_DEP_2)
	v_lshlrev_b64 v[28:29], 1, v[28:29]
	v_add_co_u32 v20, vcc_lo, v30, v20
	s_delay_alu instid0(VALU_DEP_3) | instskip(NEXT) | instid1(VALU_DEP_3)
	v_add_co_ci_u32_e32 v21, vcc_lo, v31, v21, vcc_lo
	v_add_co_u32 v28, vcc_lo, v30, v28
	s_delay_alu instid0(VALU_DEP_4)
	v_add_co_ci_u32_e32 v29, vcc_lo, v31, v29, vcc_lo
	s_waitcnt lgkmcnt(4)
	global_store_b128 v[22:23], v[4:7], off
	s_waitcnt lgkmcnt(3)
	global_store_b128 v[26:27], v[0:3], off
	;; [unrolled: 2-line block ×5, first 2 shown]
	s_nop 0
	s_sendmsg sendmsg(MSG_DEALLOC_VGPRS)
	s_endpgm
	.section	.rodata,"a",@progbits
	.p2align	6, 0x0
	.amdhsa_kernel _Z39paged_attention_ll4mi_QKV_mfma16_kernelI14__hip_bfloat16hLN4vllm18Fp8KVCacheDataTypeE1ES0_Li16ELi64ELi256ELb1ELi12EL8MFMAType1EEvPKT_PKT0_S9_ifPKiSB_SB_iPKfiiiPfSE_PS4_PT2_iSD_SD_
		.amdhsa_group_segment_fixed_size 17472
		.amdhsa_private_segment_fixed_size 0
		.amdhsa_kernarg_size 400
		.amdhsa_user_sgpr_count 13
		.amdhsa_user_sgpr_dispatch_ptr 0
		.amdhsa_user_sgpr_queue_ptr 0
		.amdhsa_user_sgpr_kernarg_segment_ptr 1
		.amdhsa_user_sgpr_dispatch_id 0
		.amdhsa_user_sgpr_private_segment_size 0
		.amdhsa_wavefront_size32 1
		.amdhsa_uses_dynamic_stack 0
		.amdhsa_enable_private_segment 0
		.amdhsa_system_sgpr_workgroup_id_x 1
		.amdhsa_system_sgpr_workgroup_id_y 1
		.amdhsa_system_sgpr_workgroup_id_z 1
		.amdhsa_system_sgpr_workgroup_info 0
		.amdhsa_system_vgpr_workitem_id 0
		.amdhsa_next_free_vgpr 124
		.amdhsa_next_free_sgpr 38
		.amdhsa_reserve_vcc 1
		.amdhsa_float_round_mode_32 0
		.amdhsa_float_round_mode_16_64 0
		.amdhsa_float_denorm_mode_32 3
		.amdhsa_float_denorm_mode_16_64 3
		.amdhsa_dx10_clamp 1
		.amdhsa_ieee_mode 1
		.amdhsa_fp16_overflow 0
		.amdhsa_workgroup_processor_mode 1
		.amdhsa_memory_ordered 1
		.amdhsa_forward_progress 0
		.amdhsa_shared_vgpr_count 0
		.amdhsa_exception_fp_ieee_invalid_op 0
		.amdhsa_exception_fp_denorm_src 0
		.amdhsa_exception_fp_ieee_div_zero 0
		.amdhsa_exception_fp_ieee_overflow 0
		.amdhsa_exception_fp_ieee_underflow 0
		.amdhsa_exception_fp_ieee_inexact 0
		.amdhsa_exception_int_div_zero 0
	.end_amdhsa_kernel
	.section	.text._Z39paged_attention_ll4mi_QKV_mfma16_kernelI14__hip_bfloat16hLN4vllm18Fp8KVCacheDataTypeE1ES0_Li16ELi64ELi256ELb1ELi12EL8MFMAType1EEvPKT_PKT0_S9_ifPKiSB_SB_iPKfiiiPfSE_PS4_PT2_iSD_SD_,"axG",@progbits,_Z39paged_attention_ll4mi_QKV_mfma16_kernelI14__hip_bfloat16hLN4vllm18Fp8KVCacheDataTypeE1ES0_Li16ELi64ELi256ELb1ELi12EL8MFMAType1EEvPKT_PKT0_S9_ifPKiSB_SB_iPKfiiiPfSE_PS4_PT2_iSD_SD_,comdat
.Lfunc_end1397:
	.size	_Z39paged_attention_ll4mi_QKV_mfma16_kernelI14__hip_bfloat16hLN4vllm18Fp8KVCacheDataTypeE1ES0_Li16ELi64ELi256ELb1ELi12EL8MFMAType1EEvPKT_PKT0_S9_ifPKiSB_SB_iPKfiiiPfSE_PS4_PT2_iSD_SD_, .Lfunc_end1397-_Z39paged_attention_ll4mi_QKV_mfma16_kernelI14__hip_bfloat16hLN4vllm18Fp8KVCacheDataTypeE1ES0_Li16ELi64ELi256ELb1ELi12EL8MFMAType1EEvPKT_PKT0_S9_ifPKiSB_SB_iPKfiiiPfSE_PS4_PT2_iSD_SD_
                                        ; -- End function
	.section	.AMDGPU.csdata,"",@progbits
; Kernel info:
; codeLenInByte = 8808
; NumSgprs: 40
; NumVgprs: 124
; ScratchSize: 0
; MemoryBound: 0
; FloatMode: 240
; IeeeMode: 1
; LDSByteSize: 17472 bytes/workgroup (compile time only)
; SGPRBlocks: 4
; VGPRBlocks: 15
; NumSGPRsForWavesPerEU: 40
; NumVGPRsForWavesPerEU: 124
; Occupancy: 10
; WaveLimiterHint : 1
; COMPUTE_PGM_RSRC2:SCRATCH_EN: 0
; COMPUTE_PGM_RSRC2:USER_SGPR: 13
; COMPUTE_PGM_RSRC2:TRAP_HANDLER: 0
; COMPUTE_PGM_RSRC2:TGID_X_EN: 1
; COMPUTE_PGM_RSRC2:TGID_Y_EN: 1
; COMPUTE_PGM_RSRC2:TGID_Z_EN: 1
; COMPUTE_PGM_RSRC2:TIDIG_COMP_CNT: 0
	.section	.text._Z39paged_attention_ll4mi_QKV_mfma16_kernelI14__hip_bfloat16hLN4vllm18Fp8KVCacheDataTypeE1ES0_Li16ELi64ELi256ELb1ELi13EL8MFMAType1EEvPKT_PKT0_S9_ifPKiSB_SB_iPKfiiiPfSE_PS4_PT2_iSD_SD_,"axG",@progbits,_Z39paged_attention_ll4mi_QKV_mfma16_kernelI14__hip_bfloat16hLN4vllm18Fp8KVCacheDataTypeE1ES0_Li16ELi64ELi256ELb1ELi13EL8MFMAType1EEvPKT_PKT0_S9_ifPKiSB_SB_iPKfiiiPfSE_PS4_PT2_iSD_SD_,comdat
	.protected	_Z39paged_attention_ll4mi_QKV_mfma16_kernelI14__hip_bfloat16hLN4vllm18Fp8KVCacheDataTypeE1ES0_Li16ELi64ELi256ELb1ELi13EL8MFMAType1EEvPKT_PKT0_S9_ifPKiSB_SB_iPKfiiiPfSE_PS4_PT2_iSD_SD_ ; -- Begin function _Z39paged_attention_ll4mi_QKV_mfma16_kernelI14__hip_bfloat16hLN4vllm18Fp8KVCacheDataTypeE1ES0_Li16ELi64ELi256ELb1ELi13EL8MFMAType1EEvPKT_PKT0_S9_ifPKiSB_SB_iPKfiiiPfSE_PS4_PT2_iSD_SD_
	.globl	_Z39paged_attention_ll4mi_QKV_mfma16_kernelI14__hip_bfloat16hLN4vllm18Fp8KVCacheDataTypeE1ES0_Li16ELi64ELi256ELb1ELi13EL8MFMAType1EEvPKT_PKT0_S9_ifPKiSB_SB_iPKfiiiPfSE_PS4_PT2_iSD_SD_
	.p2align	8
	.type	_Z39paged_attention_ll4mi_QKV_mfma16_kernelI14__hip_bfloat16hLN4vllm18Fp8KVCacheDataTypeE1ES0_Li16ELi64ELi256ELb1ELi13EL8MFMAType1EEvPKT_PKT0_S9_ifPKiSB_SB_iPKfiiiPfSE_PS4_PT2_iSD_SD_,@function
_Z39paged_attention_ll4mi_QKV_mfma16_kernelI14__hip_bfloat16hLN4vllm18Fp8KVCacheDataTypeE1ES0_Li16ELi64ELi256ELb1ELi13EL8MFMAType1EEvPKT_PKT0_S9_ifPKiSB_SB_iPKfiiiPfSE_PS4_PT2_iSD_SD_: ; @_Z39paged_attention_ll4mi_QKV_mfma16_kernelI14__hip_bfloat16hLN4vllm18Fp8KVCacheDataTypeE1ES0_Li16ELi64ELi256ELb1ELi13EL8MFMAType1EEvPKT_PKT0_S9_ifPKiSB_SB_iPKfiiiPfSE_PS4_PT2_iSD_SD_
; %bb.0:
	s_load_b64 s[2:3], s[0:1], 0x30
	s_mov_b32 s34, s13
	s_waitcnt lgkmcnt(0)
	s_cmp_lg_u64 s[2:3], 0
	s_cselect_b32 s8, -1, 0
	s_ashr_i32 s35, s13, 31
	s_cmp_eq_u64 s[2:3], 0
	s_cbranch_scc1 .LBB1398_3
; %bb.1:
	s_lshl_b64 s[4:5], s[34:35], 2
	s_delay_alu instid0(SALU_CYCLE_1) | instskip(SKIP_4) | instid1(SALU_CYCLE_1)
	s_add_u32 s4, s2, s4
	s_addc_u32 s5, s3, s5
	s_load_b64 s[4:5], s[4:5], 0x0
	s_waitcnt lgkmcnt(0)
	s_sub_i32 s4, s5, s4
	s_cmp_eq_u32 s4, 1
	s_cselect_b32 s4, -1, 0
	s_delay_alu instid0(SALU_CYCLE_1)
	s_and_not1_b32 vcc_lo, exec_lo, s4
	s_cbranch_vccz .LBB1398_4
.LBB1398_2:
	s_nop 0
	s_sendmsg sendmsg(MSG_DEALLOC_VGPRS)
	s_endpgm
.LBB1398_3:
.LBB1398_4:
	s_load_b64 s[4:5], s[0:1], 0x28
	s_lshl_b64 s[6:7], s[34:35], 2
	s_waitcnt lgkmcnt(0)
	s_add_u32 s4, s4, s6
	s_addc_u32 s5, s5, s7
	s_lshl_b32 s12, s14, 8
	s_load_b32 s24, s[4:5], 0x0
	s_waitcnt lgkmcnt(0)
	s_cmp_ge_i32 s12, s24
	s_cbranch_scc1 .LBB1398_2
; %bb.5:
	s_clause 0x1
	s_load_b128 s[20:23], s[0:1], 0x8
	s_load_b64 s[4:5], s[0:1], 0x20
	s_and_not1_b32 vcc_lo, exec_lo, s8
	s_cbranch_vccnz .LBB1398_7
; %bb.6:
	s_add_u32 s2, s2, s6
	s_addc_u32 s3, s3, s7
	s_load_b32 s3, s[2:3], 0x0
	s_branch .LBB1398_8
.LBB1398_7:
	s_mov_b32 s3, s34
.LBB1398_8:
	s_load_b128 s[16:19], s[0:1], 0x48
	v_lshrrev_b32_e32 v66, 5, v0
	v_bfe_u32 v74, v0, 4, 1
	v_and_b32_e32 v65, 15, v0
	v_and_b32_e32 v67, 31, v0
	;; [unrolled: 1-line block ×3, first 2 shown]
	s_mul_i32 s31, s15, 13
	v_lshl_or_b32 v1, v66, 1, v74
	v_lshlrev_b32_e32 v2, 3, v65
	v_cmp_gt_u32_e64 s2, 8, v65
	s_delay_alu instid0(VALU_DEP_3) | instskip(NEXT) | instid1(VALU_DEP_3)
	v_cmp_gt_u32_e32 vcc_lo, 13, v1
	v_lshlrev_b32_e32 v73, 1, v2
	s_delay_alu instid0(VALU_DEP_3) | instskip(NEXT) | instid1(SALU_CYCLE_1)
	s_and_b32 s7, s2, vcc_lo
	s_and_saveexec_b32 s6, s7
	s_cbranch_execz .LBB1398_10
; %bb.9:
	s_load_b64 s[8:9], s[0:1], 0x0
	v_add_lshl_u32 v2, v1, s31, 6
	s_waitcnt lgkmcnt(0)
	s_mul_hi_i32 s11, s3, s16
	s_mul_i32 s10, s3, s16
	v_lshlrev_b32_e32 v6, 10, v65
	s_lshl_b64 s[10:11], s[10:11], 1
	v_ashrrev_i32_e32 v3, 31, v2
	v_lshlrev_b32_e32 v1, 6, v1
	v_lshlrev_b32_e32 v7, 10, v75
	v_and_b32_e32 v6, 0x3800, v6
	s_delay_alu instid0(VALU_DEP_4) | instskip(NEXT) | instid1(VALU_DEP_2)
	v_lshlrev_b64 v[2:3], 1, v[2:3]
	v_or3_b32 v1, v6, v7, v1
	s_add_u32 s3, s8, s10
	s_addc_u32 s7, s9, s11
	s_delay_alu instid0(VALU_DEP_2) | instskip(NEXT) | instid1(VALU_DEP_3)
	v_add_co_u32 v2, vcc_lo, s3, v2
	v_add_co_ci_u32_e32 v3, vcc_lo, s7, v3, vcc_lo
	s_delay_alu instid0(VALU_DEP_2) | instskip(NEXT) | instid1(VALU_DEP_2)
	v_add_co_u32 v2, vcc_lo, v2, v73
	v_add_co_ci_u32_e32 v3, vcc_lo, 0, v3, vcc_lo
	global_load_b128 v[2:5], v[2:3], off
	s_waitcnt vmcnt(0)
	ds_store_b128 v1, v[2:5]
.LBB1398_10:
	s_or_b32 exec_lo, exec_lo, s6
	v_and_b32_e32 v1, 0xef, v0
	s_waitcnt lgkmcnt(0)
	s_add_i32 s3, s24, 15
	s_clause 0x1
	s_load_b32 s6, s[0:1], 0x38
	s_load_b32 s19, s[0:1], 0x1c
	s_ashr_i32 s7, s3, 31
	v_add_nc_u32_e32 v1, s12, v1
	s_lshr_b32 s7, s7, 28
	s_waitcnt lgkmcnt(0)
	s_add_i32 s3, s3, s7
	s_barrier
	v_ashrrev_i32_e32 v2, 31, v1
	v_or_b32_e32 v3, 16, v1
	s_ashr_i32 s3, s3, 4
	v_cmp_gt_i32_e32 vcc_lo, s24, v1
	s_add_i32 s3, s3, -1
	v_lshrrev_b32_e32 v2, 28, v2
	buffer_gl0_inv
	s_mul_i32 s27, s15, s18
	v_add_nc_u32_e32 v4, v1, v2
	s_mul_i32 s6, s34, s6
	s_delay_alu instid0(SALU_CYCLE_1) | instskip(NEXT) | instid1(VALU_DEP_1)
	s_ashr_i32 s7, s6, 31
	v_ashrrev_i32_e32 v4, 4, v4
	v_add_nc_u32_e32 v2, v3, v2
	s_lshl_b64 s[6:7], s[6:7], 2
	s_delay_alu instid0(SALU_CYCLE_1) | instskip(NEXT) | instid1(VALU_DEP_2)
	s_add_u32 s26, s4, s6
	v_cndmask_b32_e32 v1, s3, v4, vcc_lo
	s_delay_alu instid0(VALU_DEP_2)
	v_ashrrev_i32_e32 v2, 4, v2
	v_cmp_gt_i32_e32 vcc_lo, s24, v3
	s_addc_u32 s25, s5, s7
	s_ashr_i32 s28, s27, 31
	s_add_u32 s13, s20, s27
	s_addc_u32 s15, s21, s28
	v_cndmask_b32_e32 v3, s3, v2, vcc_lo
	v_ashrrev_i32_e32 v2, 31, v1
	s_lshl_b32 s4, s14, 4
	s_delay_alu instid0(SALU_CYCLE_1) | instskip(NEXT) | instid1(VALU_DEP_2)
	s_ashr_i32 s5, s4, 31
	v_ashrrev_i32_e32 v4, 31, v3
	s_delay_alu instid0(VALU_DEP_2) | instskip(SKIP_1) | instid1(SALU_CYCLE_1)
	v_lshlrev_b64 v[1:2], 2, v[1:2]
	s_lshl_b64 s[4:5], s[4:5], 2
	s_add_u32 s4, s26, s4
	s_delay_alu instid0(VALU_DEP_2) | instskip(SKIP_1) | instid1(VALU_DEP_2)
	v_lshlrev_b64 v[3:4], 2, v[3:4]
	s_addc_u32 s5, s25, s5
	v_add_co_u32 v1, vcc_lo, s26, v1
	v_add_co_ci_u32_e32 v2, vcc_lo, s25, v2, vcc_lo
	s_delay_alu instid0(VALU_DEP_3) | instskip(NEXT) | instid1(VALU_DEP_4)
	v_add_co_u32 v3, vcc_lo, s26, v3
	v_add_co_ci_u32_e32 v4, vcc_lo, s25, v4, vcc_lo
	s_clause 0x1
	global_load_b32 v5, v[1:2], off
	global_load_b32 v7, v[3:4], off
	s_or_b32 s6, s12, 32
	v_lshlrev_b32_e32 v1, 4, v0
	s_ashr_i32 s7, s6, 4
	s_cmp_lt_i32 s6, s24
	v_cmp_gt_u32_e32 vcc_lo, 13, v65
	s_cselect_b32 s6, s7, s3
	v_and_b32_e32 v1, 0xf0, v1
	s_ashr_i32 s7, s6, 31
	s_delay_alu instid0(SALU_CYCLE_1) | instskip(NEXT) | instid1(SALU_CYCLE_1)
	s_lshl_b64 s[6:7], s[6:7], 2
	s_add_u32 s6, s26, s6
	s_addc_u32 s7, s25, s7
	s_or_b32 s8, s12, 64
	v_add_co_u32 v1, s13, s13, v1
	s_ashr_i32 s9, s8, 4
	s_cmp_lt_i32 s8, s24
	v_add_co_ci_u32_e64 v2, null, s15, 0, s13
	s_cselect_b32 s8, s9, s3
	s_delay_alu instid0(SALU_CYCLE_1) | instskip(NEXT) | instid1(SALU_CYCLE_1)
	s_ashr_i32 s9, s8, 31
	s_lshl_b64 s[8:9], s[8:9], 2
	s_delay_alu instid0(SALU_CYCLE_1) | instskip(SKIP_2) | instid1(SALU_CYCLE_1)
	s_add_u32 s8, s26, s8
	s_addc_u32 s9, s25, s9
	s_or_b32 s10, s12, 0x60
	s_ashr_i32 s11, s10, 4
	s_cmp_lt_i32 s10, s24
	s_cselect_b32 s10, s11, s3
	s_delay_alu instid0(SALU_CYCLE_1) | instskip(NEXT) | instid1(SALU_CYCLE_1)
	s_ashr_i32 s11, s10, 31
	s_lshl_b64 s[10:11], s[10:11], 2
	s_delay_alu instid0(SALU_CYCLE_1) | instskip(SKIP_2) | instid1(SALU_CYCLE_1)
	s_add_u32 s10, s26, s10
	s_addc_u32 s11, s25, s11
	s_or_b32 s16, s12, 0x80
	s_ashr_i32 s18, s16, 4
	s_cmp_lt_i32 s16, s24
	;; [unrolled: 10-line block ×3, first 2 shown]
	s_cselect_b32 s20, s18, s3
	s_delay_alu instid0(SALU_CYCLE_1) | instskip(NEXT) | instid1(SALU_CYCLE_1)
	s_ashr_i32 s21, s20, 31
	s_lshl_b64 s[20:21], s[20:21], 2
	s_delay_alu instid0(SALU_CYCLE_1)
	s_add_u32 s38, s26, s20
	s_addc_u32 s39, s25, s21
	s_clause 0x5
	s_load_b32 s21, s[4:5], 0x0
	s_load_b32 s13, s[6:7], 0x0
	;; [unrolled: 1-line block ×6, first 2 shown]
	s_or_b32 s8, s12, 0xc0
	s_mov_b32 s4, 0
	s_ashr_i32 s9, s8, 4
	s_cmp_lt_i32 s8, s24
	s_mov_b32 s11, s4
	s_cselect_b32 s36, s9, s3
	s_mov_b32 s5, s4
	s_ashr_i32 s37, s36, 31
	s_mov_b32 s6, s4
	s_lshl_b64 s[36:37], s[36:37], 2
	s_mov_b32 s7, s4
	s_add_u32 s36, s26, s36
	s_addc_u32 s37, s25, s37
	s_or_b32 s29, s12, 0xe0
	s_mov_b32 s8, s4
	s_ashr_i32 s30, s29, 4
	s_mov_b32 s9, s4
	s_mov_b32 s10, s4
	s_cmp_lt_i32 s29, s24
	v_dual_mov_b32 v107, s11 :: v_dual_mov_b32 v100, s4
	v_mov_b32_e32 v106, s10
	v_dual_mov_b32 v104, s8 :: v_dual_mov_b32 v103, s7
	v_dual_mov_b32 v102, s6 :: v_dual_mov_b32 v101, s5
	s_waitcnt vmcnt(1)
	v_mad_i64_i32 v[3:4], null, v5, s17, v[1:2]
	s_waitcnt vmcnt(0)
	v_mad_i64_i32 v[5:6], null, v7, s17, v[1:2]
	v_add_nc_u32_e32 v1, -13, v65
	v_lshlrev_b32_e32 v2, 4, v65
	s_clause 0x7
	global_load_b128 v[49:52], v[3:4], off
	global_load_b128 v[53:56], v[3:4], off offset:256
	global_load_b128 v[76:79], v[5:6], off
	global_load_b128 v[80:83], v[5:6], off offset:256
	global_load_b128 v[84:87], v[3:4], off offset:512
	;; [unrolled: 1-line block ×5, first 2 shown]
	v_cndmask_b32_e32 v1, v1, v65, vcc_lo
	v_mov_b32_e32 v105, s9
	s_cselect_b32 s4, s30, s3
	v_lshl_or_b32 v2, v66, 8, v2
	s_ashr_i32 s5, s4, 31
	v_lshlrev_b32_e32 v70, 6, v1
	s_lshl_b64 s[4:5], s[4:5], 2
	s_load_b32 s3, s[36:37], 0x0
	s_add_u32 s4, s26, s4
	s_addc_u32 s5, s25, s5
	ds_load_b128 v[108:111], v70
	ds_load_b128 v[112:115], v70 offset:1024
	s_load_b32 s4, s[4:5], 0x0
	s_add_u32 s6, s22, s27
	s_addc_u32 s7, s23, s28
	v_add_co_u32 v9, s6, s6, v2
	s_delay_alu instid0(VALU_DEP_1) | instskip(SKIP_1) | instid1(VALU_DEP_1)
	v_add_co_ci_u32_e64 v10, null, s7, 0, s6
	s_waitcnt lgkmcnt(0)
	v_mad_i64_i32 v[1:2], null, s21, s17, v[9:10]
	v_mad_i64_i32 v[3:4], null, s13, s17, v[9:10]
	;; [unrolled: 1-line block ×7, first 2 shown]
	s_clause 0x9
	global_load_b128 v[57:60], v[1:2], off
	global_load_b128 v[61:64], v[1:2], off offset:16
	global_load_b128 v[41:44], v[3:4], off
	global_load_b128 v[45:48], v[3:4], off offset:16
	;; [unrolled: 2-line block ×5, first 2 shown]
	v_mad_i64_i32 v[68:69], null, s4, s17, v[9:10]
	s_clause 0x3
	global_load_b128 v[9:12], v[13:14], off
	global_load_b128 v[13:16], v[13:14], off offset:16
	global_load_b128 v[17:20], v[21:22], off
	global_load_b128 v[21:24], v[21:22], off offset:16
	s_waitcnt vmcnt(20)
	v_wmma_f32_16x16x16_bf16 v[116:123], v[49:56], v[108:115], v[100:107]
	s_clause 0x1
	global_load_b128 v[49:52], v[68:69], off
	global_load_b128 v[53:56], v[68:69], off offset:16
	v_and_b32_e32 v68, 0xe0, v0
	v_mbcnt_lo_u32_b32 v69, -1, 0
	s_delay_alu instid0(VALU_DEP_2)
	v_add_nc_u32_e32 v68, s12, v68
	s_waitcnt vmcnt(20)
	v_wmma_f32_16x16x16_bf16 v[100:107], v[76:83], v[108:115], v[100:107]
	ds_load_b128 v[76:79], v70 offset:2048
	ds_load_b128 v[80:83], v70 offset:3072
	v_xor_b32_e32 v70, 16, v69
	s_waitcnt vmcnt(0) lgkmcnt(0)
	v_or_b32_e32 v68, v68, v74
	s_barrier
	buffer_gl0_inv
	v_cmp_gt_i32_e32 vcc_lo, 32, v70
	v_or_b32_e32 v71, 4, v68
	v_or_b32_e32 v72, 6, v68
	v_cmp_gt_i32_e64 s3, s24, v68
	v_or_b32_e32 v108, 8, v68
	v_or_b32_e32 v109, 10, v68
	v_cmp_gt_i32_e64 s4, s24, v71
	v_cmp_gt_i32_e64 s5, s24, v72
	s_delay_alu instid0(VALU_DEP_4) | instskip(NEXT) | instid1(VALU_DEP_4)
	v_cmp_gt_i32_e64 s6, s24, v108
	v_cmp_gt_i32_e64 s7, s24, v109
	v_wmma_f32_16x16x16_bf16 v[116:123], v[84:91], v[76:83], v[116:123]
	v_cndmask_b32_e32 v69, v69, v70, vcc_lo
	v_or_b32_e32 v70, 2, v68
	v_wmma_f32_16x16x16_bf16 v[100:107], v[92:99], v[76:83], v[100:107]
	v_or_b32_e32 v89, 22, v68
	v_dual_mul_f32 v82, s19, v119 :: v_dual_mul_f32 v79, s19, v122
	v_dual_mul_f32 v92, s19, v117 :: v_dual_mul_f32 v93, s19, v116
	s_delay_alu instid0(VALU_DEP_4) | instskip(SKIP_2) | instid1(VALU_DEP_4)
	v_mul_f32_e32 v98, s19, v103
	v_cmp_gt_i32_e32 vcc_lo, s24, v70
	v_dual_mul_f32 v83, s19, v118 :: v_dual_mul_f32 v96, s19, v105
	v_cndmask_b32_e64 v93, 0xff7fffff, v93, s3
	v_or_b32_e32 v84, 12, v68
	v_cndmask_b32_e32 v92, 0xff7fffff, v92, vcc_lo
	v_or_b32_e32 v85, 14, v68
	v_dual_mul_f32 v80, s19, v121 :: v_dual_mul_f32 v81, s19, v120
	v_mul_f32_e32 v94, s19, v107
	v_cndmask_b32_e64 v71, 0xff7fffff, v83, s4
	v_cndmask_b32_e64 v72, 0xff7fffff, v82, s5
	v_cmp_gt_i32_e64 s13, s24, v89
	v_lshlrev_b32_e32 v89, 2, v69
	v_max3_f32 v82, v93, 0xff7fffff, v92
	v_or_b32_e32 v86, 16, v68
	v_or_b32_e32 v87, 18, v68
	v_mul_f32_e32 v78, s19, v123
	v_cndmask_b32_e64 v81, 0xff7fffff, v81, s6
	v_cndmask_b32_e64 v80, 0xff7fffff, v80, s7
	v_max3_f32 v71, v82, v71, v72
	v_cmp_gt_i32_e64 s8, s24, v84
	v_cmp_gt_i32_e64 s9, s24, v85
	v_or_b32_e32 v88, 20, v68
	v_or_b32_e32 v90, 24, v68
	;; [unrolled: 1-line block ×5, first 2 shown]
	v_dual_mul_f32 v95, s19, v106 :: v_dual_mul_f32 v70, s19, v101
	v_dual_mul_f32 v99, s19, v102 :: v_dual_mul_f32 v68, s19, v100
	v_cndmask_b32_e64 v72, 0xff7fffff, v79, s8
	v_cndmask_b32_e64 v78, 0xff7fffff, v78, s9
	v_max3_f32 v71, v71, v81, v80
	v_cmp_gt_i32_e64 s10, s24, v86
	v_cmp_gt_i32_e64 s11, s24, v87
	;; [unrolled: 1-line block ×3, first 2 shown]
	v_mul_f32_e32 v97, s19, v104
	v_max3_f32 v71, v71, v72, v78
	v_cndmask_b32_e64 v68, 0xff7fffff, v68, s10
	v_cndmask_b32_e64 v70, 0xff7fffff, v70, s11
	;; [unrolled: 1-line block ×4, first 2 shown]
	v_cmp_gt_i32_e64 s15, s24, v90
	v_cmp_gt_i32_e64 s16, s24, v91
	v_max3_f32 v68, v71, v68, v70
	v_cmp_gt_i32_e64 s17, s24, v76
	v_cmp_gt_i32_e64 s18, s24, v77
	v_cndmask_b32_e64 v70, 0xff7fffff, v97, s15
	v_cndmask_b32_e64 v71, 0xff7fffff, v96, s16
	v_max3_f32 v68, v68, v72, v78
	v_cndmask_b32_e64 v72, 0xff7fffff, v95, s17
	v_cndmask_b32_e64 v76, 0xff7fffff, v94, s18
	s_delay_alu instid0(VALU_DEP_3) | instskip(NEXT) | instid1(VALU_DEP_1)
	v_max3_f32 v68, v68, v70, v71
	v_max3_f32 v68, v68, v72, v76
	ds_bpermute_b32 v69, v89, v68
	s_waitcnt lgkmcnt(0)
	v_max_f32_e32 v69, v69, v69
	s_delay_alu instid0(VALU_DEP_1) | instskip(NEXT) | instid1(VALU_DEP_1)
	v_max_f32_e32 v68, v68, v69
	v_fma_f32 v69, s19, v116, -v68
	v_fma_f32 v70, s19, v117, -v68
	;; [unrolled: 1-line block ×5, first 2 shown]
	s_delay_alu instid0(VALU_DEP_4) | instskip(NEXT) | instid1(VALU_DEP_4)
	v_dual_mul_f32 v69, 0x3fb8aa3b, v69 :: v_dual_mul_f32 v70, 0x3fb8aa3b, v70
	v_mul_f32_e32 v72, 0x3fb8aa3b, v72
	v_fma_f32 v78, s19, v122, -v68
	s_delay_alu instid0(VALU_DEP_4) | instskip(NEXT) | instid1(VALU_DEP_4)
	v_mul_f32_e32 v77, 0x3fb8aa3b, v76
	v_exp_f32_e32 v69, v69
	v_exp_f32_e32 v70, v70
	v_mul_f32_e32 v71, 0x3fb8aa3b, v71
	v_exp_f32_e32 v72, v72
	v_mul_f32_e32 v78, 0x3fb8aa3b, v78
	v_exp_f32_e32 v77, v77
	v_fma_f32 v81, s19, v105, -v68
	s_delay_alu instid0(VALU_DEP_2)
	v_exp_f32_e32 v78, v78
	v_cndmask_b32_e64 v80, 0, v69, s3
	v_cndmask_b32_e32 v76, 0, v70, vcc_lo
	v_exp_f32_e32 v71, v71
	v_fma_f32 v69, s19, v121, -v68
	v_cndmask_b32_e64 v85, 0, v72, s5
	v_add_f32_e32 v70, 0, v80
	s_delay_alu instid0(TRANS32_DEP_3)
	v_cndmask_b32_e64 v86, 0, v77, s6
	v_fma_f32 v77, s19, v101, -v68
	v_mul_f32_e32 v69, 0x3fb8aa3b, v69
	v_fma_f32 v72, s19, v100, -v68
	v_cndmask_b32_e64 v84, 0, v78, s8
	v_fma_f32 v78, s19, v103, -v68
	v_cndmask_b32_e64 v83, 0, v71, s4
	v_fma_f32 v71, s19, v123, -v68
	v_add_f32_e32 v70, v70, v76
	v_exp_f32_e32 v69, v69
	v_mul_f32_e32 v77, 0x3fb8aa3b, v77
	v_mul_f32_e32 v81, 0x3fb8aa3b, v81
	;; [unrolled: 1-line block ×3, first 2 shown]
	v_add_f32_e32 v70, v70, v83
	v_cmp_gt_u32_e64 s3, 16, v67
	v_exp_f32_e32 v77, v77
	v_exp_f32_e32 v81, v81
	;; [unrolled: 1-line block ×3, first 2 shown]
	v_cndmask_b32_e64 v87, 0, v69, s7
	v_add_f32_e32 v70, v70, v85
	s_delay_alu instid0(VALU_DEP_1) | instskip(SKIP_1) | instid1(VALU_DEP_2)
	v_dual_mul_f32 v72, 0x3fb8aa3b, v72 :: v_dual_add_f32 v69, v70, v86
	v_fma_f32 v70, s19, v102, -v68
	v_exp_f32_e32 v72, v72
	s_waitcnt_depctr 0xfff
	v_cndmask_b32_e64 v88, 0, v71, s9
	v_fma_f32 v71, s19, v104, -v68
	v_dual_add_f32 v69, v69, v87 :: v_dual_mul_f32 v70, 0x3fb8aa3b, v70
	s_delay_alu instid0(VALU_DEP_2) | instskip(NEXT) | instid1(VALU_DEP_2)
	v_dual_mul_f32 v78, 0x3fb8aa3b, v78 :: v_dual_mul_f32 v71, 0x3fb8aa3b, v71
	v_add_f32_e32 v69, v69, v84
	s_delay_alu instid0(VALU_DEP_3) | instskip(SKIP_1) | instid1(VALU_DEP_3)
	v_exp_f32_e32 v79, v70
	v_cndmask_b32_e64 v70, 0, v72, s10
	v_exp_f32_e32 v78, v78
	v_exp_f32_e32 v82, v71
	v_add_f32_e32 v72, v69, v88
	v_cndmask_b32_e64 v69, 0, v77, s11
	v_fma_f32 v77, s19, v106, -v68
	s_delay_alu instid0(VALU_DEP_3) | instskip(NEXT) | instid1(TRANS32_DEP_3)
	v_add_f32_e32 v72, v72, v70
	v_cndmask_b32_e64 v71, 0, v79, s12
	s_delay_alu instid0(VALU_DEP_3) | instskip(NEXT) | instid1(VALU_DEP_3)
	v_mul_f32_e32 v77, 0x3fb8aa3b, v77
	v_add_f32_e32 v79, v72, v69
	s_delay_alu instid0(TRANS32_DEP_2) | instskip(NEXT) | instid1(VALU_DEP_3)
	v_cndmask_b32_e64 v72, 0, v78, s13
	v_exp_f32_e32 v90, v77
	v_cndmask_b32_e64 v77, 0, v82, s15
	s_delay_alu instid0(VALU_DEP_3) | instskip(SKIP_1) | instid1(VALU_DEP_1)
	v_add_f32_e32 v78, v79, v71
	v_fma_f32 v79, s19, v107, -v68
	v_dual_add_f32 v82, v78, v72 :: v_dual_mul_f32 v79, 0x3fb8aa3b, v79
	v_cndmask_b32_e64 v78, 0, v81, s16
	s_delay_alu instid0(VALU_DEP_2) | instskip(NEXT) | instid1(VALU_DEP_3)
	v_add_f32_e32 v81, v82, v77
	v_exp_f32_e32 v82, v79
	s_delay_alu instid0(TRANS32_DEP_2) | instskip(NEXT) | instid1(VALU_DEP_2)
	v_cndmask_b32_e64 v79, 0, v90, s17
	v_add_f32_e32 v81, v81, v78
	s_delay_alu instid0(VALU_DEP_1) | instskip(SKIP_2) | instid1(VALU_DEP_1)
	v_add_f32_e32 v90, v81, v79
	s_waitcnt_depctr 0xfff
	v_cndmask_b32_e64 v81, 0, v82, s18
	v_add_f32_e32 v82, v90, v81
	ds_bpermute_b32 v89, v89, v82
	s_and_saveexec_b32 s4, s3
	s_cbranch_execz .LBB1398_12
; %bb.11:
	v_mul_u32_u24_e32 v67, 0x44, v66
	s_delay_alu instid0(VALU_DEP_1) | instskip(SKIP_1) | instid1(VALU_DEP_1)
	v_lshl_add_u32 v67, v65, 2, v67
	s_waitcnt lgkmcnt(0)
	v_dual_add_f32 v82, v82, v89 :: v_dual_add_nc_u32 v67, 0x4000, v67
	ds_store_2addr_b32 v67, v68, v82 offset1:136
.LBB1398_12:
	s_or_b32 exec_lo, exec_lo, s4
	v_lshlrev_b32_e32 v67, 2, v65
	s_waitcnt lgkmcnt(0)
	s_barrier
	buffer_gl0_inv
	v_cmp_eq_u32_e32 vcc_lo, 1, v66
	v_add_nc_u32_e32 v82, 0x4000, v67
	v_cmp_eq_u32_e64 s4, 2, v66
	v_cmp_eq_u32_e64 s6, 7, v66
	ds_load_2addr_b32 v[89:90], v82 offset1:17
	ds_load_2addr_b32 v[91:92], v82 offset0:34 offset1:51
	ds_load_2addr_b32 v[93:94], v82 offset0:68 offset1:85
	ds_load_2addr_b32 v[95:96], v82 offset0:102 offset1:119
	ds_load_2addr_b32 v[97:98], v82 offset0:136 offset1:153
	s_waitcnt lgkmcnt(4)
	v_max3_f32 v67, v89, 0xff7fffff, v90
	s_waitcnt lgkmcnt(3)
	s_delay_alu instid0(VALU_DEP_1) | instskip(SKIP_1) | instid1(VALU_DEP_1)
	v_max3_f32 v67, v67, v91, v92
	s_waitcnt lgkmcnt(2)
	v_max3_f32 v67, v67, v93, v94
	s_waitcnt lgkmcnt(1)
	s_delay_alu instid0(VALU_DEP_1) | instskip(NEXT) | instid1(VALU_DEP_1)
	v_max3_f32 v67, v67, v95, v96
	v_sub_f32_e32 v93, v93, v67
	s_delay_alu instid0(VALU_DEP_1) | instskip(NEXT) | instid1(VALU_DEP_1)
	v_dual_sub_f32 v68, v89, v67 :: v_dual_mul_f32 v103, 0x3fb8aa3b, v93
	v_mul_f32_e32 v68, 0x3fb8aa3b, v68
	s_delay_alu instid0(VALU_DEP_1)
	v_exp_f32_e32 v100, v68
	v_sub_f32_e32 v68, v92, v67
	v_sub_f32_e32 v99, v90, v67
	ds_load_2addr_b32 v[89:90], v82 offset0:170 offset1:187
	v_dual_mul_f32 v102, 0x3fb8aa3b, v68 :: v_dual_mul_f32 v99, 0x3fb8aa3b, v99
	s_waitcnt lgkmcnt(1)
	v_fma_f32 v68, v100, v97, 0
	s_delay_alu instid0(VALU_DEP_2) | instskip(NEXT) | instid1(VALU_DEP_2)
	v_exp_f32_e32 v102, v102
	v_exp_f32_e32 v99, v99
	s_waitcnt_depctr 0xfff
	v_fmac_f32_e32 v68, v99, v98
	v_sub_f32_e32 v91, v91, v67
	s_delay_alu instid0(VALU_DEP_1)
	v_mul_f32_e32 v101, 0x3fb8aa3b, v91
	ds_load_2addr_b32 v[91:92], v82 offset0:204 offset1:221
	v_sub_f32_e32 v97, v94, v67
	ds_load_2addr_b32 v[93:94], v82 offset0:238 offset1:255
	s_waitcnt lgkmcnt(0)
	v_exp_f32_e32 v101, v101
	s_barrier
	buffer_gl0_inv
	v_dual_fmac_f32 v68, v101, v89 :: v_dual_sub_f32 v89, v96, v67
	v_dual_sub_f32 v82, v95, v67 :: v_dual_mul_f32 v95, 0x3fb8aa3b, v97
	v_exp_f32_e32 v97, v103
	s_delay_alu instid0(VALU_DEP_2) | instskip(NEXT) | instid1(VALU_DEP_2)
	v_dual_fmac_f32 v68, v102, v90 :: v_dual_mul_f32 v89, 0x3fb8aa3b, v89
	v_mul_f32_e32 v82, 0x3fb8aa3b, v82
	s_delay_alu instid0(VALU_DEP_3) | instskip(NEXT) | instid1(VALU_DEP_2)
	v_exp_f32_e32 v95, v95
	v_exp_f32_e32 v89, v89
	s_delay_alu instid0(VALU_DEP_1)
	v_exp_f32_e32 v82, v82
	v_fmac_f32_e32 v68, v97, v91
	s_delay_alu instid0(TRANS32_DEP_3) | instid1(VALU_DEP_1)
	v_fmac_f32_e32 v68, v95, v92
	s_waitcnt_depctr 0xfff
	v_fmac_f32_e32 v68, v82, v93
	s_delay_alu instid0(VALU_DEP_1) | instskip(NEXT) | instid1(VALU_DEP_1)
	v_fmac_f32_e32 v68, v89, v94
	v_add_f32_e32 v90, 0x358637bd, v68
	s_delay_alu instid0(VALU_DEP_1) | instskip(NEXT) | instid1(VALU_DEP_1)
	v_div_scale_f32 v91, null, v90, v90, 1.0
	v_rcp_f32_e32 v92, v91
	s_waitcnt_depctr 0xfff
	v_fma_f32 v93, -v91, v92, 1.0
	s_delay_alu instid0(VALU_DEP_1) | instskip(SKIP_1) | instid1(VALU_DEP_2)
	v_dual_fmac_f32 v92, v93, v92 :: v_dual_cndmask_b32 v93, v100, v99
	v_cmp_eq_u32_e32 vcc_lo, 3, v66
	v_cndmask_b32_e64 v93, v93, v101, s4
	v_cmp_eq_u32_e64 s4, 4, v66
	s_delay_alu instid0(VALU_DEP_2) | instskip(SKIP_1) | instid1(VALU_DEP_2)
	v_cndmask_b32_e32 v93, v93, v102, vcc_lo
	v_cmp_eq_u32_e32 vcc_lo, 5, v66
	v_cndmask_b32_e64 v93, v93, v97, s4
	v_cmp_eq_u32_e64 s4, 6, v66
	s_delay_alu instid0(VALU_DEP_2) | instskip(SKIP_1) | instid1(VALU_DEP_1)
	v_cndmask_b32_e32 v93, v93, v95, vcc_lo
	v_div_scale_f32 v94, s5, 1.0, v90, 1.0
	s_mov_b32 vcc_lo, s5
	s_delay_alu instid0(VALU_DEP_2) | instskip(NEXT) | instid1(VALU_DEP_2)
	v_cndmask_b32_e64 v82, v93, v82, s4
	v_mul_f32_e32 v96, v94, v92
	s_mov_b32 s4, exec_lo
	s_delay_alu instid0(VALU_DEP_2) | instskip(NEXT) | instid1(VALU_DEP_2)
	v_cndmask_b32_e64 v82, v82, v89, s6
	v_fma_f32 v98, -v91, v96, v94
	s_delay_alu instid0(VALU_DEP_1) | instskip(NEXT) | instid1(VALU_DEP_1)
	v_fmac_f32_e32 v96, v98, v92
	v_fma_f32 v91, -v91, v96, v94
	s_delay_alu instid0(VALU_DEP_1) | instskip(NEXT) | instid1(VALU_DEP_1)
	v_div_fmas_f32 v91, v91, v92, v96
	v_div_fixup_f32 v90, v91, v90, 1.0
	s_delay_alu instid0(VALU_DEP_1) | instskip(NEXT) | instid1(VALU_DEP_1)
	v_mul_f32_e32 v82, v82, v90
	v_mul_f32_e32 v87, v82, v87
	;; [unrolled: 1-line block ×7, first 2 shown]
	v_dual_mul_f32 v86, v82, v83 :: v_dual_and_b32 v91, 0x7f800000, v90
	v_mul_f32_e32 v85, v82, v76
                                        ; implicit-def: $vgpr76
	s_delay_alu instid0(VALU_DEP_2)
	v_cmpx_ne_u32_e32 0x7f800000, v91
	s_xor_b32 s4, exec_lo, s4
; %bb.13:
	v_bfe_u32 v76, v90, 16, 1
	s_delay_alu instid0(VALU_DEP_1)
	v_add3_u32 v76, v90, v76, 0x7fff
                                        ; implicit-def: $vgpr90
; %bb.14:
	s_and_not1_saveexec_b32 s4, s4
; %bb.15:
	v_and_b32_e32 v76, 0xffff, v90
	v_or_b32_e32 v83, 0x10000, v90
	s_delay_alu instid0(VALU_DEP_2) | instskip(NEXT) | instid1(VALU_DEP_2)
	v_cmp_eq_u32_e32 vcc_lo, 0, v76
	v_cndmask_b32_e32 v76, v83, v90, vcc_lo
; %bb.16:
	s_or_b32 exec_lo, exec_lo, s4
	v_and_b32_e32 v83, 0x7f800000, v85
	s_delay_alu instid0(VALU_DEP_1) | instskip(SKIP_1) | instid1(SALU_CYCLE_1)
	v_cmp_ne_u32_e32 vcc_lo, 0x7f800000, v83
                                        ; implicit-def: $vgpr83
	s_and_saveexec_b32 s4, vcc_lo
	s_xor_b32 s4, exec_lo, s4
; %bb.17:
	v_bfe_u32 v83, v85, 16, 1
	s_delay_alu instid0(VALU_DEP_1)
	v_add3_u32 v83, v85, v83, 0x7fff
                                        ; implicit-def: $vgpr85
; %bb.18:
	s_and_not1_saveexec_b32 s4, s4
; %bb.19:
	v_and_b32_e32 v83, 0xffff, v85
	v_or_b32_e32 v90, 0x10000, v85
	s_delay_alu instid0(VALU_DEP_2) | instskip(NEXT) | instid1(VALU_DEP_2)
	v_cmp_eq_u32_e32 vcc_lo, 0, v83
	v_cndmask_b32_e32 v83, v90, v85, vcc_lo
; %bb.20:
	s_or_b32 exec_lo, exec_lo, s4
	v_and_b32_e32 v85, 0x7f800000, v86
	s_delay_alu instid0(VALU_DEP_1) | instskip(SKIP_1) | instid1(SALU_CYCLE_1)
	v_cmp_ne_u32_e32 vcc_lo, 0x7f800000, v85
                                        ; implicit-def: $vgpr85
	s_and_saveexec_b32 s4, vcc_lo
	s_xor_b32 s4, exec_lo, s4
; %bb.21:
	v_bfe_u32 v85, v86, 16, 1
	s_delay_alu instid0(VALU_DEP_1)
	v_add3_u32 v85, v86, v85, 0x7fff
                                        ; implicit-def: $vgpr86
; %bb.22:
	s_and_not1_saveexec_b32 s4, s4
; %bb.23:
	v_and_b32_e32 v85, 0xffff, v86
	v_or_b32_e32 v90, 0x10000, v86
	s_delay_alu instid0(VALU_DEP_2) | instskip(NEXT) | instid1(VALU_DEP_2)
	v_cmp_eq_u32_e32 vcc_lo, 0, v85
	v_cndmask_b32_e32 v85, v90, v86, vcc_lo
; %bb.24:
	s_or_b32 exec_lo, exec_lo, s4
	v_and_b32_e32 v86, 0x7f800000, v89
	s_delay_alu instid0(VALU_DEP_1) | instskip(SKIP_1) | instid1(SALU_CYCLE_1)
	v_cmp_ne_u32_e32 vcc_lo, 0x7f800000, v86
                                        ; implicit-def: $vgpr86
	s_and_saveexec_b32 s4, vcc_lo
	s_xor_b32 s4, exec_lo, s4
; %bb.25:
	v_bfe_u32 v86, v89, 16, 1
	s_delay_alu instid0(VALU_DEP_1)
	v_add3_u32 v86, v89, v86, 0x7fff
                                        ; implicit-def: $vgpr89
; %bb.26:
	s_and_not1_saveexec_b32 s4, s4
; %bb.27:
	v_and_b32_e32 v86, 0xffff, v89
	v_or_b32_e32 v90, 0x10000, v89
	s_delay_alu instid0(VALU_DEP_2) | instskip(NEXT) | instid1(VALU_DEP_2)
	v_cmp_eq_u32_e32 vcc_lo, 0, v86
	v_cndmask_b32_e32 v86, v90, v89, vcc_lo
; %bb.28:
	s_or_b32 exec_lo, exec_lo, s4
	v_and_b32_e32 v89, 0x7f800000, v88
	s_delay_alu instid0(VALU_DEP_1) | instskip(SKIP_1) | instid1(SALU_CYCLE_1)
	v_cmp_ne_u32_e32 vcc_lo, 0x7f800000, v89
                                        ; implicit-def: $vgpr89
	s_and_saveexec_b32 s4, vcc_lo
	s_xor_b32 s4, exec_lo, s4
; %bb.29:
	v_bfe_u32 v89, v88, 16, 1
	s_delay_alu instid0(VALU_DEP_1)
	v_add3_u32 v89, v88, v89, 0x7fff
                                        ; implicit-def: $vgpr88
; %bb.30:
	s_and_not1_saveexec_b32 s4, s4
; %bb.31:
	v_and_b32_e32 v89, 0xffff, v88
	v_or_b32_e32 v90, 0x10000, v88
	s_delay_alu instid0(VALU_DEP_2) | instskip(NEXT) | instid1(VALU_DEP_2)
	v_cmp_eq_u32_e32 vcc_lo, 0, v89
	v_cndmask_b32_e32 v89, v90, v88, vcc_lo
; %bb.32:
	s_or_b32 exec_lo, exec_lo, s4
	v_and_b32_e32 v88, 0x7f800000, v87
	s_delay_alu instid0(VALU_DEP_1) | instskip(SKIP_1) | instid1(SALU_CYCLE_1)
	v_cmp_ne_u32_e32 vcc_lo, 0x7f800000, v88
                                        ; implicit-def: $vgpr88
	s_and_saveexec_b32 s4, vcc_lo
	s_xor_b32 s4, exec_lo, s4
; %bb.33:
	v_bfe_u32 v88, v87, 16, 1
	s_delay_alu instid0(VALU_DEP_1)
	v_add3_u32 v88, v87, v88, 0x7fff
                                        ; implicit-def: $vgpr87
; %bb.34:
	s_and_not1_saveexec_b32 s4, s4
; %bb.35:
	v_and_b32_e32 v88, 0xffff, v87
	v_or_b32_e32 v90, 0x10000, v87
	s_delay_alu instid0(VALU_DEP_2) | instskip(NEXT) | instid1(VALU_DEP_2)
	v_cmp_eq_u32_e32 vcc_lo, 0, v88
	v_cndmask_b32_e32 v88, v90, v87, vcc_lo
; %bb.36:
	s_or_b32 exec_lo, exec_lo, s4
	v_and_b32_e32 v87, 0x7f800000, v84
	s_delay_alu instid0(VALU_DEP_1) | instskip(SKIP_1) | instid1(SALU_CYCLE_1)
	v_cmp_ne_u32_e32 vcc_lo, 0x7f800000, v87
                                        ; implicit-def: $vgpr87
	s_and_saveexec_b32 s4, vcc_lo
	s_xor_b32 s4, exec_lo, s4
; %bb.37:
	v_bfe_u32 v87, v84, 16, 1
	s_delay_alu instid0(VALU_DEP_1)
	v_add3_u32 v87, v84, v87, 0x7fff
                                        ; implicit-def: $vgpr84
; %bb.38:
	s_and_not1_saveexec_b32 s4, s4
; %bb.39:
	v_and_b32_e32 v87, 0xffff, v84
	v_or_b32_e32 v90, 0x10000, v84
	s_delay_alu instid0(VALU_DEP_2) | instskip(NEXT) | instid1(VALU_DEP_2)
	v_cmp_eq_u32_e32 vcc_lo, 0, v87
	v_cndmask_b32_e32 v87, v90, v84, vcc_lo
; %bb.40:
	s_or_b32 exec_lo, exec_lo, s4
	v_and_b32_e32 v84, 0x7f800000, v80
	s_delay_alu instid0(VALU_DEP_1) | instskip(SKIP_1) | instid1(SALU_CYCLE_1)
	v_cmp_ne_u32_e32 vcc_lo, 0x7f800000, v84
                                        ; implicit-def: $vgpr84
	s_and_saveexec_b32 s4, vcc_lo
	s_xor_b32 s4, exec_lo, s4
; %bb.41:
	v_bfe_u32 v84, v80, 16, 1
	s_delay_alu instid0(VALU_DEP_1)
	v_add3_u32 v84, v80, v84, 0x7fff
                                        ; implicit-def: $vgpr80
; %bb.42:
	s_and_not1_saveexec_b32 s4, s4
; %bb.43:
	v_and_b32_e32 v84, 0xffff, v80
	v_or_b32_e32 v90, 0x10000, v80
	s_delay_alu instid0(VALU_DEP_2) | instskip(NEXT) | instid1(VALU_DEP_2)
	v_cmp_eq_u32_e32 vcc_lo, 0, v84
	v_cndmask_b32_e32 v84, v90, v80, vcc_lo
; %bb.44:
	s_or_b32 exec_lo, exec_lo, s4
	s_load_b64 s[36:37], s[0:1], 0x94
	v_lshlrev_b32_e32 v91, 4, v74
	s_delay_alu instid0(VALU_DEP_2)
	v_perm_b32 v90, v84, v87, 0x7060302
	v_dual_mul_f32 v79, v82, v79 :: v_dual_lshlrev_b32 v80, 6, v65
	v_dual_mul_f32 v77, v82, v77 :: v_dual_lshlrev_b32 v92, 11, v66
	v_mul_f32_e32 v84, v82, v70
	v_perm_b32 v89, v88, v89, 0x7060302
	v_perm_b32 v88, v86, v85, 0x7060302
	v_perm_b32 v87, v83, v76, 0x7060302
	v_mul_f32_e32 v70, v82, v81
	v_or3_b32 v76, v91, v92, v80
	v_dual_mul_f32 v78, v82, v78 :: v_dual_and_b32 v85, 0x7f800000, v84
	v_mul_f32_e32 v83, v82, v72
	v_mul_f32_e32 v81, v82, v71
	;; [unrolled: 1-line block ×3, first 2 shown]
	s_mov_b32 s4, exec_lo
	ds_store_b128 v76, v[87:90]
                                        ; implicit-def: $vgpr69
	v_cmpx_ne_u32_e32 0x7f800000, v85
	s_xor_b32 s4, exec_lo, s4
; %bb.45:
	v_bfe_u32 v69, v84, 16, 1
	s_delay_alu instid0(VALU_DEP_1)
	v_add3_u32 v69, v84, v69, 0x7fff
                                        ; implicit-def: $vgpr84
; %bb.46:
	s_and_not1_saveexec_b32 s4, s4
; %bb.47:
	v_and_b32_e32 v69, 0xffff, v84
	v_or_b32_e32 v71, 0x10000, v84
	s_delay_alu instid0(VALU_DEP_2) | instskip(NEXT) | instid1(VALU_DEP_2)
	v_cmp_eq_u32_e32 vcc_lo, 0, v69
	v_cndmask_b32_e32 v69, v71, v84, vcc_lo
; %bb.48:
	s_or_b32 exec_lo, exec_lo, s4
	v_and_b32_e32 v71, 0x7f800000, v72
	s_delay_alu instid0(VALU_DEP_1) | instskip(SKIP_1) | instid1(SALU_CYCLE_1)
	v_cmp_ne_u32_e32 vcc_lo, 0x7f800000, v71
                                        ; implicit-def: $vgpr71
	s_and_saveexec_b32 s4, vcc_lo
	s_xor_b32 s4, exec_lo, s4
; %bb.49:
	v_bfe_u32 v71, v72, 16, 1
	s_delay_alu instid0(VALU_DEP_1)
	v_add3_u32 v71, v72, v71, 0x7fff
                                        ; implicit-def: $vgpr72
; %bb.50:
	s_and_not1_saveexec_b32 s4, s4
; %bb.51:
	v_and_b32_e32 v71, 0xffff, v72
	v_or_b32_e32 v82, 0x10000, v72
	s_delay_alu instid0(VALU_DEP_2) | instskip(NEXT) | instid1(VALU_DEP_2)
	v_cmp_eq_u32_e32 vcc_lo, 0, v71
	v_cndmask_b32_e32 v71, v82, v72, vcc_lo
; %bb.52:
	s_or_b32 exec_lo, exec_lo, s4
	v_and_b32_e32 v72, 0x7f800000, v81
	s_delay_alu instid0(VALU_DEP_1) | instskip(SKIP_1) | instid1(SALU_CYCLE_1)
	v_cmp_ne_u32_e32 vcc_lo, 0x7f800000, v72
                                        ; implicit-def: $vgpr72
	s_and_saveexec_b32 s4, vcc_lo
	s_xor_b32 s4, exec_lo, s4
; %bb.53:
	v_bfe_u32 v72, v81, 16, 1
	s_delay_alu instid0(VALU_DEP_1)
	v_add3_u32 v72, v81, v72, 0x7fff
                                        ; implicit-def: $vgpr81
; %bb.54:
	s_and_not1_saveexec_b32 s4, s4
; %bb.55:
	v_and_b32_e32 v72, 0xffff, v81
	v_or_b32_e32 v82, 0x10000, v81
	s_delay_alu instid0(VALU_DEP_2) | instskip(NEXT) | instid1(VALU_DEP_2)
	v_cmp_eq_u32_e32 vcc_lo, 0, v72
	v_cndmask_b32_e32 v72, v82, v81, vcc_lo
; %bb.56:
	s_or_b32 exec_lo, exec_lo, s4
	v_and_b32_e32 v81, 0x7f800000, v83
	s_delay_alu instid0(VALU_DEP_1) | instskip(SKIP_1) | instid1(SALU_CYCLE_1)
	v_cmp_ne_u32_e32 vcc_lo, 0x7f800000, v81
                                        ; implicit-def: $vgpr81
	s_and_saveexec_b32 s4, vcc_lo
	s_xor_b32 s4, exec_lo, s4
; %bb.57:
	v_bfe_u32 v81, v83, 16, 1
	s_delay_alu instid0(VALU_DEP_1)
	v_add3_u32 v81, v83, v81, 0x7fff
                                        ; implicit-def: $vgpr83
; %bb.58:
	s_and_not1_saveexec_b32 s4, s4
; %bb.59:
	v_and_b32_e32 v81, 0xffff, v83
	v_or_b32_e32 v82, 0x10000, v83
	s_delay_alu instid0(VALU_DEP_2) | instskip(NEXT) | instid1(VALU_DEP_2)
	v_cmp_eq_u32_e32 vcc_lo, 0, v81
	v_cndmask_b32_e32 v81, v82, v83, vcc_lo
; %bb.60:
	s_or_b32 exec_lo, exec_lo, s4
	v_and_b32_e32 v82, 0x7f800000, v77
	s_delay_alu instid0(VALU_DEP_1) | instskip(SKIP_1) | instid1(SALU_CYCLE_1)
	v_cmp_ne_u32_e32 vcc_lo, 0x7f800000, v82
                                        ; implicit-def: $vgpr82
	s_and_saveexec_b32 s4, vcc_lo
	s_xor_b32 s4, exec_lo, s4
; %bb.61:
	v_bfe_u32 v82, v77, 16, 1
	s_delay_alu instid0(VALU_DEP_1)
	v_add3_u32 v82, v77, v82, 0x7fff
                                        ; implicit-def: $vgpr77
; %bb.62:
	s_and_not1_saveexec_b32 s4, s4
; %bb.63:
	v_and_b32_e32 v82, 0xffff, v77
	v_or_b32_e32 v83, 0x10000, v77
	s_delay_alu instid0(VALU_DEP_2) | instskip(NEXT) | instid1(VALU_DEP_2)
	v_cmp_eq_u32_e32 vcc_lo, 0, v82
	v_cndmask_b32_e32 v82, v83, v77, vcc_lo
; %bb.64:
	s_or_b32 exec_lo, exec_lo, s4
	v_and_b32_e32 v77, 0x7f800000, v78
	s_delay_alu instid0(VALU_DEP_1) | instskip(SKIP_1) | instid1(SALU_CYCLE_1)
	v_cmp_ne_u32_e32 vcc_lo, 0x7f800000, v77
                                        ; implicit-def: $vgpr77
	s_and_saveexec_b32 s4, vcc_lo
	s_xor_b32 s4, exec_lo, s4
; %bb.65:
	v_bfe_u32 v77, v78, 16, 1
	s_delay_alu instid0(VALU_DEP_1)
	v_add3_u32 v77, v78, v77, 0x7fff
                                        ; implicit-def: $vgpr78
; %bb.66:
	s_and_not1_saveexec_b32 s4, s4
; %bb.67:
	v_and_b32_e32 v77, 0xffff, v78
	v_or_b32_e32 v83, 0x10000, v78
	s_delay_alu instid0(VALU_DEP_2) | instskip(NEXT) | instid1(VALU_DEP_2)
	v_cmp_eq_u32_e32 vcc_lo, 0, v77
	v_cndmask_b32_e32 v77, v83, v78, vcc_lo
; %bb.68:
	s_or_b32 exec_lo, exec_lo, s4
	v_and_b32_e32 v78, 0x7f800000, v79
	s_delay_alu instid0(VALU_DEP_1) | instskip(SKIP_1) | instid1(SALU_CYCLE_1)
	v_cmp_ne_u32_e32 vcc_lo, 0x7f800000, v78
                                        ; implicit-def: $vgpr78
	s_and_saveexec_b32 s4, vcc_lo
	s_xor_b32 s4, exec_lo, s4
; %bb.69:
	v_bfe_u32 v78, v79, 16, 1
	s_delay_alu instid0(VALU_DEP_1)
	v_add3_u32 v78, v79, v78, 0x7fff
                                        ; implicit-def: $vgpr79
; %bb.70:
	s_and_not1_saveexec_b32 s4, s4
; %bb.71:
	v_and_b32_e32 v78, 0xffff, v79
	v_or_b32_e32 v83, 0x10000, v79
	s_delay_alu instid0(VALU_DEP_2) | instskip(NEXT) | instid1(VALU_DEP_2)
	v_cmp_eq_u32_e32 vcc_lo, 0, v78
	v_cndmask_b32_e32 v78, v83, v79, vcc_lo
; %bb.72:
	s_or_b32 exec_lo, exec_lo, s4
	v_and_b32_e32 v79, 0x7f800000, v70
	s_delay_alu instid0(VALU_DEP_1) | instskip(SKIP_1) | instid1(SALU_CYCLE_1)
	v_cmp_ne_u32_e32 vcc_lo, 0x7f800000, v79
                                        ; implicit-def: $vgpr79
	s_and_saveexec_b32 s4, vcc_lo
	s_xor_b32 s4, exec_lo, s4
; %bb.73:
	v_bfe_u32 v79, v70, 16, 1
	s_delay_alu instid0(VALU_DEP_1)
	v_add3_u32 v79, v70, v79, 0x7fff
                                        ; implicit-def: $vgpr70
; %bb.74:
	s_and_not1_saveexec_b32 s4, s4
; %bb.75:
	v_and_b32_e32 v79, 0xffff, v70
	v_or_b32_e32 v83, 0x10000, v70
	s_delay_alu instid0(VALU_DEP_2) | instskip(NEXT) | instid1(VALU_DEP_2)
	v_cmp_eq_u32_e32 vcc_lo, 0, v79
	v_cndmask_b32_e32 v79, v83, v70, vcc_lo
; %bb.76:
	s_or_b32 exec_lo, exec_lo, s4
	s_delay_alu instid0(VALU_DEP_1)
	v_perm_b32 v86, v79, v78, 0x7060302
	v_perm_b32 v85, v77, v82, 0x7060302
	;; [unrolled: 1-line block ×4, first 2 shown]
	v_lshl_or_b32 v82, v66, 11, v80
	ds_store_b128 v76, v[83:86] offset:1024
	s_waitcnt lgkmcnt(0)
	s_barrier
	buffer_gl0_inv
	ds_load_b128 v[69:72], v82
	ds_load_b128 v[83:86], v82 offset:16
	s_waitcnt lgkmcnt(1)
	v_lshrrev_b32_e32 v66, 16, v69
	s_waitcnt lgkmcnt(0)
	v_lshrrev_b32_e32 v91, 16, v83
	v_lshlrev_b32_e32 v78, 2, v74
	v_lshrrev_b32_e32 v95, 16, v70
	v_lshrrev_b32_e32 v98, 16, v84
	;; [unrolled: 1-line block ×4, first 2 shown]
	v_cmp_eq_u32_e32 vcc_lo, 1, v78
	v_lshrrev_b32_e32 v97, 16, v72
	v_lshrrev_b32_e32 v100, 16, v86
	v_cndmask_b32_e32 v87, v83, v91, vcc_lo
	v_or_b32_e32 v79, 1, v78
	v_cndmask_b32_e32 v81, v69, v66, vcc_lo
	v_cmp_eq_u32_e64 s5, 2, v78
	v_cmp_eq_u32_e64 s8, 3, v78
	;; [unrolled: 1-line block ×5, first 2 shown]
	v_cndmask_b32_e64 v81, v81, v70, s5
	v_cndmask_b32_e64 v87, v87, v84, s5
	v_cmp_eq_u32_e64 s9, 3, v79
	v_cndmask_b32_e64 v88, v69, v66, s4
	v_or_b32_e32 v77, 2, v78
	v_cndmask_b32_e64 v81, v81, v95, s8
	v_cndmask_b32_e64 v87, v87, v98, s8
	;; [unrolled: 1-line block ×4, first 2 shown]
	v_cmp_eq_u32_e64 s11, 5, v78
	v_cndmask_b32_e64 v81, v81, v71, s10
	v_cndmask_b32_e64 v87, v87, v85, s10
	v_cmp_eq_u32_e64 s12, 4, v79
	v_cndmask_b32_e64 v88, v88, v95, s9
	v_cmp_eq_u32_e64 s6, 1, v77
	v_cndmask_b32_e64 v89, v89, v84, s7
	v_cndmask_b32_e64 v81, v81, v96, s11
	v_cmp_eq_u32_e64 s13, 6, v78
	v_cndmask_b32_e64 v88, v88, v71, s12
	;; [unrolled: 3-line block ×3, first 2 shown]
	v_cndmask_b32_e64 v89, v89, v98, s9
	v_cndmask_b32_e64 v81, v81, v72, s13
	v_cmp_eq_u32_e64 s16, 7, v78
	v_cndmask_b32_e64 v88, v88, v96, s15
	v_cndmask_b32_e64 v87, v87, v86, s13
	v_cmp_eq_u32_e64 s17, 6, v79
	v_cmp_eq_u32_e64 s18, 2, v77
	v_cndmask_b32_e64 v89, v89, v85, s12
	v_cndmask_b32_e64 v101, v81, v97, s16
	;; [unrolled: 1-line block ×6, first 2 shown]
	v_cmp_eq_u32_e64 s19, 7, v79
	v_cmp_eq_u32_e64 s20, 3, v77
	v_cmp_eq_u32_e64 s21, 4, v77
	v_cmp_eq_u32_e64 s23, 5, v77
	v_cndmask_b32_e64 v87, v87, v84, s18
	v_cndmask_b32_e64 v103, v88, v97, s19
	;; [unrolled: 1-line block ×4, first 2 shown]
	v_or_b32_e32 v81, 3, v78
	v_cndmask_b32_e64 v93, v87, v98, s20
	v_cmp_eq_u32_e64 s25, 6, v77
	v_cndmask_b32_e64 v104, v88, v86, s17
	v_cndmask_b32_e64 v92, v89, v71, s21
	v_cmp_eq_u32_e64 s22, 1, v81
	ds_load_b128 v[87:90], v82 offset:1024
	v_cmp_eq_u32_e64 s24, 2, v81
	v_cmp_eq_u32_e64 s26, 3, v81
	v_cndmask_b32_e64 v105, v92, v96, s23
	v_cndmask_b32_e64 v66, v69, v66, s22
	;; [unrolled: 1-line block ×4, first 2 shown]
	ds_load_b128 v[91:94], v82 offset:1040
	v_cmp_eq_u32_e64 s27, 4, v81
	v_cndmask_b32_e64 v66, v66, v70, s24
	v_cmp_eq_u32_e64 s28, 7, v77
	v_cndmask_b32_e64 v70, v83, v84, s24
	v_cndmask_b32_e64 v84, v105, v72, s25
	v_cmp_eq_u32_e64 s29, 5, v81
	v_cndmask_b32_e64 v66, v66, v95, s26
	v_cmp_eq_u32_e64 s30, 6, v81
	v_cndmask_b32_e64 v70, v70, v98, s26
	v_cndmask_b32_e64 v69, v69, v99, s23
	;; [unrolled: 1-line block ×4, first 2 shown]
	s_waitcnt lgkmcnt(1)
	v_lshrrev_b32_e32 v95, 16, v87
	v_cndmask_b32_e64 v70, v70, v85, s27
	v_cndmask_b32_e64 v71, v84, v97, s28
	v_cndmask_b32_e64 v69, v69, v86, s25
	v_cndmask_b32_e64 v66, v66, v96, s29
	v_cndmask_b32_e32 v84, v87, v95, vcc_lo
	v_cndmask_b32_e64 v70, v70, v99, s29
	s_waitcnt lgkmcnt(0)
	v_lshrrev_b32_e32 v85, 16, v91
	v_lshrrev_b32_e32 v96, 16, v88
	v_cndmask_b32_e64 v98, v87, v95, s4
	v_cndmask_b32_e64 v84, v84, v88, s5
	;; [unrolled: 1-line block ×3, first 2 shown]
	v_cndmask_b32_e32 v99, v91, v85, vcc_lo
	v_cmp_eq_u32_e32 vcc_lo, 7, v81
	v_cndmask_b32_e64 v66, v66, v72, s30
	v_cndmask_b32_e64 v72, v84, v96, s8
	;; [unrolled: 1-line block ×3, first 2 shown]
	v_lshrrev_b32_e32 v98, 16, v92
	v_cndmask_b32_e32 v70, v70, v100, vcc_lo
	v_cndmask_b32_e64 v86, v99, v92, s5
	v_cndmask_b32_e64 v69, v69, v100, s28
	v_lshrrev_b32_e32 v100, 16, v93
	v_cndmask_b32_e64 v72, v72, v89, s10
	v_lshrrev_b32_e32 v99, 16, v89
	v_cndmask_b32_e64 v86, v86, v98, s8
	v_perm_b32 v71, v69, v71, 0x5040100
	v_cndmask_b32_e64 v84, v84, v96, s9
	s_delay_alu instid0(VALU_DEP_3) | instskip(NEXT) | instid1(VALU_DEP_2)
	v_cndmask_b32_e64 v86, v86, v93, s10
	v_cndmask_b32_e64 v84, v84, v89, s12
	s_delay_alu instid0(VALU_DEP_2) | instskip(NEXT) | instid1(VALU_DEP_1)
	v_cndmask_b32_e64 v86, v86, v100, s11
	v_cndmask_b32_e64 v69, v86, v94, s13
	;; [unrolled: 1-line block ×5, first 2 shown]
	s_delay_alu instid0(VALU_DEP_3) | instskip(NEXT) | instid1(VALU_DEP_3)
	v_cndmask_b32_e64 v86, v86, v88, s18
	v_cndmask_b32_e64 v87, v87, v88, s24
	s_delay_alu instid0(VALU_DEP_3) | instskip(NEXT) | instid1(VALU_DEP_3)
	v_cndmask_b32_e64 v88, v95, v92, s24
	v_cndmask_b32_e64 v86, v86, v96, s20
	;; [unrolled: 3-line block ×7, first 2 shown]
	s_delay_alu instid0(VALU_DEP_3) | instskip(SKIP_2) | instid1(VALU_DEP_2)
	v_cndmask_b32_e64 v88, v88, v94, s30
	v_cndmask_b32_e32 v66, v66, v97, vcc_lo
	v_cndmask_b32_e64 v97, v72, v99, s11
	v_perm_b32 v72, v70, v66, 0x5040100
	v_perm_b32 v70, v83, v103, 0x5040100
	v_cndmask_b32_e64 v103, v91, v85, s6
	v_cndmask_b32_e64 v85, v91, v85, s4
	;; [unrolled: 1-line block ×4, first 2 shown]
	v_lshrrev_b32_e32 v97, 16, v90
	v_cndmask_b32_e64 v91, v103, v92, s18
	v_cndmask_b32_e64 v85, v85, v92, s7
	;; [unrolled: 1-line block ×3, first 2 shown]
	s_mov_b32 s4, exec_lo
	v_cndmask_b32_e64 v83, v84, v97, s16
	v_cndmask_b32_e64 v91, v91, v98, s20
	;; [unrolled: 1-line block ×3, first 2 shown]
	v_lshrrev_b32_e32 v84, 16, v94
	v_cndmask_b32_e64 v66, v66, v97, s19
	v_cndmask_b32_e64 v90, v86, v97, s28
	v_cndmask_b32_e64 v89, v91, v93, s21
	v_cndmask_b32_e64 v85, v85, v93, s12
	v_dual_cndmask_b32 v86, v87, v97 :: v_dual_cndmask_b32 v87, v88, v84
	v_cndmask_b32_e64 v91, v69, v84, s16
	s_delay_alu instid0(VALU_DEP_4) | instskip(NEXT) | instid1(VALU_DEP_4)
	v_cndmask_b32_e64 v89, v89, v100, s23
	v_cndmask_b32_e64 v85, v85, v100, s15
	v_perm_b32 v69, v102, v101, 0x5040100
	v_perm_b32 v86, v87, v86, 0x5040100
	;; [unrolled: 1-line block ×3, first 2 shown]
	v_cndmask_b32_e64 v89, v89, v94, s25
	v_cndmask_b32_e64 v85, v85, v94, s17
	s_mul_i32 s9, s37, 13
	s_delay_alu instid0(VALU_DEP_2) | instskip(NEXT) | instid1(VALU_DEP_2)
	v_cndmask_b32_e64 v88, v89, v84, s28
	v_cndmask_b32_e64 v89, v85, v84, s19
	s_delay_alu instid0(VALU_DEP_2) | instskip(NEXT) | instid1(VALU_DEP_2)
	v_perm_b32 v85, v88, v90, 0x5040100
	v_perm_b32 v84, v89, v66, 0x5040100
	ds_store_b128 v76, v[69:72]
	ds_store_b128 v76, v[83:86] offset:1024
	v_cmpx_gt_u32_e32 13, v0
	s_cbranch_execz .LBB1398_78
; %bb.77:
	s_mul_i32 s5, s9, s34
	s_load_b128 s[16:19], s[0:1], 0x58
	v_add3_u32 v69, s5, s31, v65
	s_delay_alu instid0(VALU_DEP_1) | instskip(NEXT) | instid1(VALU_DEP_1)
	v_mad_u64_u32 v[65:66], null, v69, s36, s[14:15]
	v_ashrrev_i32_e32 v66, 31, v65
	s_delay_alu instid0(VALU_DEP_1) | instskip(SKIP_1) | instid1(VALU_DEP_1)
	v_lshlrev_b64 v[65:66], 2, v[65:66]
	s_waitcnt lgkmcnt(0)
	v_add_co_u32 v69, vcc_lo, s18, v65
	s_delay_alu instid0(VALU_DEP_2)
	v_add_co_ci_u32_e32 v70, vcc_lo, s19, v66, vcc_lo
	v_add_co_u32 v65, vcc_lo, s16, v65
	v_add_co_ci_u32_e32 v66, vcc_lo, s17, v66, vcc_lo
	global_store_b32 v[69:70], v67, off
	global_store_b32 v[65:66], v68, off
.LBB1398_78:
	s_or_b32 exec_lo, exec_lo, s4
	s_waitcnt lgkmcnt(0)
	s_waitcnt_vscnt null, 0x0
	s_barrier
	buffer_gl0_inv
	ds_load_b128 v[83:86], v80
	ds_load_b128 v[87:90], v80 offset:16
	ds_load_b128 v[95:98], v80 offset:2064
	;; [unrolled: 1-line block ×3, first 2 shown]
	v_mov_b32_e32 v65, 0
	ds_load_b128 v[103:106], v80 offset:4112
	ds_load_b128 v[99:102], v80 offset:4096
	;; [unrolled: 1-line block ×4, first 2 shown]
	v_mov_b32_e32 v66, v65
	v_mov_b32_e32 v67, v65
	;; [unrolled: 1-line block ×7, first 2 shown]
	s_waitcnt lgkmcnt(6)
	s_delay_alu instid0(VALU_DEP_1)
	v_wmma_f32_16x16x16_bf16 v[65:72], v[57:64], v[83:90], v[65:72]
	ds_load_b128 v[61:64], v80 offset:8208
	ds_load_b128 v[57:60], v80 offset:8192
	s_waitcnt lgkmcnt(6)
	v_wmma_f32_16x16x16_bf16 v[65:72], v[41:48], v[91:98], v[65:72]
	ds_load_b128 v[45:48], v80 offset:10256
	ds_load_b128 v[41:44], v80 offset:10240
	s_waitcnt lgkmcnt(6)
	;; [unrolled: 4-line block ×4, first 2 shown]
	v_wmma_f32_16x16x16_bf16 v[65:72], v[1:8], v[57:64], v[65:72]
	s_waitcnt lgkmcnt(4)
	s_delay_alu instid0(VALU_DEP_1) | instskip(SKIP_1) | instid1(VALU_DEP_1)
	v_wmma_f32_16x16x16_bf16 v[65:72], v[9:16], v[41:48], v[65:72]
	s_waitcnt lgkmcnt(2)
	v_wmma_f32_16x16x16_bf16 v[65:72], v[17:24], v[33:40], v[65:72]
	s_waitcnt lgkmcnt(0)
	s_delay_alu instid0(VALU_DEP_1) | instskip(NEXT) | instid1(VALU_DEP_1)
	v_wmma_f32_16x16x16_bf16 v[65:72], v[49:56], v[25:32], v[65:72]
	v_and_b32_e32 v1, 0x7f800000, v65
	s_delay_alu instid0(VALU_DEP_1) | instskip(SKIP_1) | instid1(SALU_CYCLE_1)
	v_cmp_ne_u32_e32 vcc_lo, 0x7f800000, v1
                                        ; implicit-def: $vgpr1
	s_and_saveexec_b32 s4, vcc_lo
	s_xor_b32 s4, exec_lo, s4
; %bb.79:
	v_bfe_u32 v1, v65, 16, 1
	s_delay_alu instid0(VALU_DEP_1)
	v_add3_u32 v1, v65, v1, 0x7fff
; %bb.80:
	s_and_not1_saveexec_b32 s4, s4
; %bb.81:
	v_and_b32_e32 v1, 0xffff, v65
	v_or_b32_e32 v2, 0x10000, v65
	s_delay_alu instid0(VALU_DEP_2) | instskip(NEXT) | instid1(VALU_DEP_2)
	v_cmp_eq_u32_e32 vcc_lo, 0, v1
	v_cndmask_b32_e32 v1, v2, v65, vcc_lo
; %bb.82:
	s_or_b32 exec_lo, exec_lo, s4
	v_and_b32_e32 v2, 0x7f800000, v66
	s_delay_alu instid0(VALU_DEP_1) | instskip(SKIP_1) | instid1(SALU_CYCLE_1)
	v_cmp_ne_u32_e32 vcc_lo, 0x7f800000, v2
                                        ; implicit-def: $vgpr2
	s_and_saveexec_b32 s4, vcc_lo
	s_xor_b32 s4, exec_lo, s4
; %bb.83:
	v_bfe_u32 v2, v66, 16, 1
	s_delay_alu instid0(VALU_DEP_1)
	v_add3_u32 v2, v66, v2, 0x7fff
; %bb.84:
	s_and_not1_saveexec_b32 s4, s4
; %bb.85:
	v_and_b32_e32 v2, 0xffff, v66
	v_or_b32_e32 v3, 0x10000, v66
	s_delay_alu instid0(VALU_DEP_2) | instskip(NEXT) | instid1(VALU_DEP_2)
	v_cmp_eq_u32_e32 vcc_lo, 0, v2
	v_cndmask_b32_e32 v2, v3, v66, vcc_lo
; %bb.86:
	s_or_b32 exec_lo, exec_lo, s4
	v_and_b32_e32 v3, 0x7f800000, v67
	s_delay_alu instid0(VALU_DEP_1) | instskip(SKIP_1) | instid1(SALU_CYCLE_1)
	v_cmp_ne_u32_e32 vcc_lo, 0x7f800000, v3
                                        ; implicit-def: $vgpr3
	s_and_saveexec_b32 s4, vcc_lo
	s_xor_b32 s4, exec_lo, s4
; %bb.87:
	v_bfe_u32 v3, v67, 16, 1
	s_delay_alu instid0(VALU_DEP_1)
	v_add3_u32 v3, v67, v3, 0x7fff
; %bb.88:
	s_and_not1_saveexec_b32 s4, s4
; %bb.89:
	v_and_b32_e32 v3, 0xffff, v67
	v_or_b32_e32 v4, 0x10000, v67
	s_delay_alu instid0(VALU_DEP_2) | instskip(NEXT) | instid1(VALU_DEP_2)
	v_cmp_eq_u32_e32 vcc_lo, 0, v3
	v_cndmask_b32_e32 v3, v4, v67, vcc_lo
; %bb.90:
	s_or_b32 exec_lo, exec_lo, s4
	v_and_b32_e32 v4, 0x7f800000, v68
	s_delay_alu instid0(VALU_DEP_1) | instskip(SKIP_1) | instid1(SALU_CYCLE_1)
	v_cmp_ne_u32_e32 vcc_lo, 0x7f800000, v4
                                        ; implicit-def: $vgpr4
	s_and_saveexec_b32 s4, vcc_lo
	s_xor_b32 s4, exec_lo, s4
; %bb.91:
	v_bfe_u32 v4, v68, 16, 1
	s_delay_alu instid0(VALU_DEP_1)
	v_add3_u32 v4, v68, v4, 0x7fff
; %bb.92:
	s_and_not1_saveexec_b32 s4, s4
; %bb.93:
	v_and_b32_e32 v4, 0xffff, v68
	v_or_b32_e32 v5, 0x10000, v68
	s_delay_alu instid0(VALU_DEP_2) | instskip(NEXT) | instid1(VALU_DEP_2)
	v_cmp_eq_u32_e32 vcc_lo, 0, v4
	v_cndmask_b32_e32 v4, v5, v68, vcc_lo
; %bb.94:
	s_or_b32 exec_lo, exec_lo, s4
	v_and_b32_e32 v5, 0x7f800000, v69
	s_delay_alu instid0(VALU_DEP_1) | instskip(SKIP_1) | instid1(SALU_CYCLE_1)
	v_cmp_ne_u32_e32 vcc_lo, 0x7f800000, v5
                                        ; implicit-def: $vgpr5
	s_and_saveexec_b32 s4, vcc_lo
	s_xor_b32 s4, exec_lo, s4
; %bb.95:
	v_bfe_u32 v5, v69, 16, 1
	s_delay_alu instid0(VALU_DEP_1)
	v_add3_u32 v5, v69, v5, 0x7fff
; %bb.96:
	s_and_not1_saveexec_b32 s4, s4
; %bb.97:
	v_and_b32_e32 v5, 0xffff, v69
	v_or_b32_e32 v6, 0x10000, v69
	s_delay_alu instid0(VALU_DEP_2) | instskip(NEXT) | instid1(VALU_DEP_2)
	v_cmp_eq_u32_e32 vcc_lo, 0, v5
	v_cndmask_b32_e32 v5, v6, v69, vcc_lo
; %bb.98:
	s_or_b32 exec_lo, exec_lo, s4
	v_and_b32_e32 v6, 0x7f800000, v70
	s_delay_alu instid0(VALU_DEP_1) | instskip(SKIP_1) | instid1(SALU_CYCLE_1)
	v_cmp_ne_u32_e32 vcc_lo, 0x7f800000, v6
                                        ; implicit-def: $vgpr6
	s_and_saveexec_b32 s4, vcc_lo
	s_xor_b32 s4, exec_lo, s4
; %bb.99:
	v_bfe_u32 v6, v70, 16, 1
	s_delay_alu instid0(VALU_DEP_1)
	v_add3_u32 v6, v70, v6, 0x7fff
; %bb.100:
	s_and_not1_saveexec_b32 s4, s4
; %bb.101:
	v_and_b32_e32 v6, 0xffff, v70
	v_or_b32_e32 v7, 0x10000, v70
	s_delay_alu instid0(VALU_DEP_2) | instskip(NEXT) | instid1(VALU_DEP_2)
	v_cmp_eq_u32_e32 vcc_lo, 0, v6
	v_cndmask_b32_e32 v6, v7, v70, vcc_lo
; %bb.102:
	s_or_b32 exec_lo, exec_lo, s4
	v_and_b32_e32 v7, 0x7f800000, v71
	s_delay_alu instid0(VALU_DEP_1) | instskip(SKIP_1) | instid1(SALU_CYCLE_1)
	v_cmp_ne_u32_e32 vcc_lo, 0x7f800000, v7
                                        ; implicit-def: $vgpr7
	s_and_saveexec_b32 s4, vcc_lo
	s_xor_b32 s4, exec_lo, s4
; %bb.103:
	v_bfe_u32 v7, v71, 16, 1
	s_delay_alu instid0(VALU_DEP_1)
	v_add3_u32 v7, v71, v7, 0x7fff
; %bb.104:
	s_and_not1_saveexec_b32 s4, s4
; %bb.105:
	v_and_b32_e32 v7, 0xffff, v71
	v_or_b32_e32 v8, 0x10000, v71
	s_delay_alu instid0(VALU_DEP_2) | instskip(NEXT) | instid1(VALU_DEP_2)
	v_cmp_eq_u32_e32 vcc_lo, 0, v7
	v_cndmask_b32_e32 v7, v8, v71, vcc_lo
; %bb.106:
	s_or_b32 exec_lo, exec_lo, s4
	v_and_b32_e32 v8, 0x7f800000, v72
	s_delay_alu instid0(VALU_DEP_1) | instskip(SKIP_1) | instid1(SALU_CYCLE_1)
	v_cmp_ne_u32_e32 vcc_lo, 0x7f800000, v8
                                        ; implicit-def: $vgpr8
	s_and_saveexec_b32 s4, vcc_lo
	s_xor_b32 s4, exec_lo, s4
; %bb.107:
	v_bfe_u32 v8, v72, 16, 1
	s_delay_alu instid0(VALU_DEP_1)
	v_add3_u32 v8, v72, v8, 0x7fff
                                        ; implicit-def: $vgpr65_vgpr66_vgpr67_vgpr68_vgpr69_vgpr70_vgpr71_vgpr72
; %bb.108:
	s_and_not1_saveexec_b32 s4, s4
; %bb.109:
	v_and_b32_e32 v8, 0xffff, v72
	v_or_b32_e32 v9, 0x10000, v72
	s_delay_alu instid0(VALU_DEP_2) | instskip(NEXT) | instid1(VALU_DEP_2)
	v_cmp_eq_u32_e32 vcc_lo, 0, v8
	v_cndmask_b32_e32 v8, v9, v72, vcc_lo
; %bb.110:
	s_or_b32 exec_lo, exec_lo, s4
	s_delay_alu instid0(VALU_DEP_1)
	v_perm_b32 v7, v8, v7, 0x7060302
	v_perm_b32 v6, v6, v5, 0x7060302
	;; [unrolled: 1-line block ×4, first 2 shown]
	s_barrier
	buffer_gl0_inv
	v_cmp_eq_u32_e32 vcc_lo, 1, v78
	ds_store_b128 v76, v[4:7]
	s_waitcnt lgkmcnt(0)
	s_barrier
	buffer_gl0_inv
	ds_load_b128 v[1:4], v82
	ds_load_b128 v[5:8], v82 offset:16
	v_cmp_eq_u32_e64 s4, 1, v79
	v_cmp_eq_u32_e64 s5, 2, v78
	;; [unrolled: 1-line block ×5, first 2 shown]
	s_waitcnt lgkmcnt(1)
	v_lshrrev_b32_e32 v9, 16, v1
	s_waitcnt lgkmcnt(0)
	v_lshrrev_b32_e32 v13, 16, v5
	v_lshrrev_b32_e32 v10, 16, v2
	;; [unrolled: 1-line block ×4, first 2 shown]
	v_cndmask_b32_e64 v19, v1, v9, s4
	v_cndmask_b32_e32 v18, v5, v13, vcc_lo
	v_cndmask_b32_e64 v20, v5, v13, s4
	v_cndmask_b32_e32 v17, v1, v9, vcc_lo
	v_cmp_eq_u32_e32 vcc_lo, 2, v79
	v_lshrrev_b32_e32 v15, 16, v7
	v_cmp_eq_u32_e64 s4, 1, v77
	v_lshrrev_b32_e32 v12, 16, v4
	v_lshrrev_b32_e32 v16, 16, v8
	v_cndmask_b32_e32 v20, v20, v6, vcc_lo
	v_cndmask_b32_e64 v17, v17, v2, s5
	v_cndmask_b32_e32 v19, v19, v2, vcc_lo
	v_cndmask_b32_e64 v18, v18, v6, s5
	v_cmp_eq_u32_e32 vcc_lo, 4, v78
	v_cmp_eq_u32_e64 s5, 3, v79
	v_cndmask_b32_e64 v17, v17, v10, s6
	v_cndmask_b32_e64 v21, v1, v9, s4
	;; [unrolled: 1-line block ×5, first 2 shown]
	v_cndmask_b32_e32 v17, v17, v3, vcc_lo
	v_cndmask_b32_e64 v20, v20, v14, s5
	v_cndmask_b32_e32 v18, v18, v7, vcc_lo
	v_cmp_eq_u32_e32 vcc_lo, 4, v79
	v_cmp_eq_u32_e64 s5, 5, v79
	v_cmp_eq_u32_e64 s4, 2, v81
	v_cndmask_b32_e64 v21, v21, v2, s8
	v_cmp_eq_u32_e64 s6, 5, v78
	v_cndmask_b32_e32 v19, v19, v3, vcc_lo
	v_cndmask_b32_e32 v20, v20, v7, vcc_lo
	v_cmp_eq_u32_e32 vcc_lo, 6, v79
	s_delay_alu instid0(VALU_DEP_4) | instskip(NEXT) | instid1(VALU_DEP_4)
	v_cndmask_b32_e64 v17, v17, v11, s6
	v_cndmask_b32_e64 v19, v19, v11, s5
	s_delay_alu instid0(VALU_DEP_4) | instskip(SKIP_1) | instid1(VALU_DEP_3)
	v_cndmask_b32_e64 v20, v20, v15, s5
	v_cmp_eq_u32_e64 s5, 1, v81
	v_cndmask_b32_e32 v19, v19, v4, vcc_lo
	v_cndmask_b32_e64 v18, v18, v15, s6
	s_delay_alu instid0(VALU_DEP_3)
	v_cndmask_b32_e64 v1, v1, v9, s5
	v_cndmask_b32_e64 v5, v5, v13, s5
	v_cmp_eq_u32_e64 s5, 3, v77
	v_cndmask_b32_e64 v13, v22, v6, s8
	v_cmp_eq_u32_e64 s8, 3, v81
	v_cndmask_b32_e64 v1, v1, v2, s4
	v_cndmask_b32_e64 v2, v5, v6, s4
	;; [unrolled: 1-line block ×3, first 2 shown]
	v_cmp_eq_u32_e64 s4, 4, v77
	v_cndmask_b32_e64 v6, v13, v14, s5
	v_cndmask_b32_e64 v1, v1, v10, s8
	v_cmp_eq_u32_e64 s5, 4, v81
	v_cndmask_b32_e64 v2, v2, v14, s8
	v_cndmask_b32_e64 v5, v9, v3, s4
	;; [unrolled: 3-line block ×3, first 2 shown]
	v_cndmask_b32_e64 v2, v2, v7, s5
	v_cmp_eq_u32_e64 s4, 5, v81
	v_cmp_eq_u32_e64 s6, 6, v78
	v_cndmask_b32_e64 v5, v5, v11, s8
	v_cmp_eq_u32_e64 s5, 6, v77
	v_cndmask_b32_e64 v3, v6, v15, s8
	v_cndmask_b32_e64 v1, v1, v11, s4
	v_cmp_eq_u32_e64 s8, 6, v81
	v_cndmask_b32_e64 v2, v2, v15, s4
	v_cndmask_b32_e64 v17, v17, v4, s6
	v_cndmask_b32_e64 v18, v18, v8, s6
	v_cmp_eq_u32_e64 s6, 7, v78
	v_cndmask_b32_e64 v5, v5, v4, s5
	;; [unrolled: 4-line block ×3, first 2 shown]
	v_cmp_eq_u32_e64 s5, 7, v77
	v_cndmask_b32_e32 v4, v20, v8, vcc_lo
	v_cndmask_b32_e64 v17, v17, v12, s6
	v_cndmask_b32_e64 v19, v19, v12, s7
	;; [unrolled: 1-line block ×8, first 2 shown]
	v_cmp_gt_u32_e32 vcc_lo, 32, v0
	v_perm_b32 v4, v2, v1, 0x5040100
	v_perm_b32 v3, v3, v5, 0x5040100
	;; [unrolled: 1-line block ×4, first 2 shown]
	s_and_b32 s2, vcc_lo, s2
	ds_store_b128 v76, v[1:4]
	s_waitcnt lgkmcnt(0)
	s_barrier
	buffer_gl0_inv
	s_and_saveexec_b32 s4, s2
	s_cbranch_execz .LBB1398_2
; %bb.111:
	s_load_b64 s[4:5], s[0:1], 0x68
	v_lshlrev_b32_e32 v0, 10, v0
	v_lshlrev_b32_e32 v1, 4, v75
	s_lshl_b32 s0, s36, 6
	v_add_nc_u32_e32 v18, s31, v74
	s_mul_i32 s1, s0, s34
	s_delay_alu instid0(VALU_DEP_2) | instskip(SKIP_1) | instid1(VALU_DEP_2)
	v_and_or_b32 v0, 0x3800, v0, v1
	s_mul_i32 s6, s1, s9
	v_mul_lo_u32 v1, v18, s0
	s_ashr_i32 s7, s6, 31
	v_add_nc_u32_e32 v2, 2, v18
	v_lshl_or_b32 v19, v74, 6, v0
	s_lshl_b64 s[6:7], s[6:7], 1
	v_add_nc_u32_e32 v8, 4, v18
	v_add_nc_u32_e32 v15, 6, v18
	v_mul_lo_u32 v7, v2, s0
	ds_load_b128 v[3:6], v19
	v_ashrrev_i32_e32 v2, 31, v1
	v_mul_lo_u32 v11, v8, s0
	s_waitcnt lgkmcnt(0)
	s_add_u32 s1, s4, s6
	s_addc_u32 s2, s5, s7
	s_lshl_b32 s4, s14, 6
	v_lshlrev_b64 v[9:10], 1, v[1:2]
	s_ashr_i32 s5, s4, 31
	v_ashrrev_i32_e32 v8, 31, v7
	s_lshl_b64 s[4:5], s[4:5], 1
	v_ashrrev_i32_e32 v12, 31, v11
	s_add_u32 s1, s1, s4
	s_addc_u32 s2, s2, s5
	v_add_co_u32 v1, s1, s1, v73
	s_delay_alu instid0(VALU_DEP_1) | instskip(SKIP_1) | instid1(VALU_DEP_3)
	v_add_co_ci_u32_e64 v2, null, s2, 0, s1
	v_mul_lo_u32 v15, v15, s0
	v_add_co_u32 v13, vcc_lo, v1, v9
	s_delay_alu instid0(VALU_DEP_3)
	v_add_co_ci_u32_e32 v14, vcc_lo, v2, v10, vcc_lo
	v_lshlrev_b64 v[16:17], 1, v[7:8]
	ds_load_b128 v[7:10], v19 offset:128
	global_store_b128 v[13:14], v[3:6], off
	v_add_nc_u32_e32 v5, 8, v18
	v_lshlrev_b64 v[3:4], 1, v[11:12]
	v_add_co_u32 v23, vcc_lo, v1, v16
	v_ashrrev_i32_e32 v16, 31, v15
	s_delay_alu instid0(VALU_DEP_4) | instskip(SKIP_3) | instid1(VALU_DEP_3)
	v_mul_lo_u32 v25, v5, s0
	v_add_nc_u32_e32 v5, 10, v18
	v_add_co_ci_u32_e32 v24, vcc_lo, v2, v17, vcc_lo
	v_add_co_u32 v27, vcc_lo, v1, v3
	v_mul_lo_u32 v29, v5, s0
	v_add_co_ci_u32_e32 v28, vcc_lo, v2, v4, vcc_lo
	v_lshlrev_b64 v[31:32], 1, v[15:16]
	ds_load_b128 v[3:6], v19 offset:256
	ds_load_b128 v[11:14], v19 offset:384
	ds_load_b128 v[15:18], v19 offset:512
	ds_load_b128 v[19:22], v19 offset:640
	v_ashrrev_i32_e32 v26, 31, v25
	v_ashrrev_i32_e32 v30, 31, v29
	v_add_co_u32 v31, vcc_lo, v1, v31
	s_delay_alu instid0(VALU_DEP_3) | instskip(SKIP_1) | instid1(VALU_DEP_4)
	v_lshlrev_b64 v[25:26], 1, v[25:26]
	v_add_co_ci_u32_e32 v32, vcc_lo, v2, v32, vcc_lo
	v_lshlrev_b64 v[29:30], 1, v[29:30]
	s_delay_alu instid0(VALU_DEP_3) | instskip(NEXT) | instid1(VALU_DEP_4)
	v_add_co_u32 v25, vcc_lo, v1, v25
	v_add_co_ci_u32_e32 v26, vcc_lo, v2, v26, vcc_lo
	s_delay_alu instid0(VALU_DEP_3) | instskip(NEXT) | instid1(VALU_DEP_4)
	v_add_co_u32 v29, vcc_lo, v1, v29
	v_add_co_ci_u32_e32 v30, vcc_lo, v2, v30, vcc_lo
	s_waitcnt lgkmcnt(4)
	global_store_b128 v[23:24], v[7:10], off
	s_waitcnt lgkmcnt(3)
	global_store_b128 v[27:28], v[3:6], off
	;; [unrolled: 2-line block ×5, first 2 shown]
	s_and_b32 exec_lo, exec_lo, s3
	s_cbranch_execz .LBB1398_2
; %bb.112:
	ds_load_b128 v[3:6], v0 offset:768
	s_add_i32 s1, s31, 12
	s_delay_alu instid0(SALU_CYCLE_1) | instskip(NEXT) | instid1(SALU_CYCLE_1)
	s_mul_i32 s0, s1, s0
	s_ashr_i32 s1, s0, 31
	s_delay_alu instid0(SALU_CYCLE_1) | instskip(NEXT) | instid1(SALU_CYCLE_1)
	s_lshl_b64 s[0:1], s[0:1], 1
	v_add_co_u32 v0, vcc_lo, v1, s0
	v_add_co_ci_u32_e32 v1, vcc_lo, s1, v2, vcc_lo
	s_waitcnt lgkmcnt(0)
	global_store_b128 v[0:1], v[3:6], off
	s_nop 0
	s_sendmsg sendmsg(MSG_DEALLOC_VGPRS)
	s_endpgm
	.section	.rodata,"a",@progbits
	.p2align	6, 0x0
	.amdhsa_kernel _Z39paged_attention_ll4mi_QKV_mfma16_kernelI14__hip_bfloat16hLN4vllm18Fp8KVCacheDataTypeE1ES0_Li16ELi64ELi256ELb1ELi13EL8MFMAType1EEvPKT_PKT0_S9_ifPKiSB_SB_iPKfiiiPfSE_PS4_PT2_iSD_SD_
		.amdhsa_group_segment_fixed_size 17472
		.amdhsa_private_segment_fixed_size 0
		.amdhsa_kernarg_size 400
		.amdhsa_user_sgpr_count 13
		.amdhsa_user_sgpr_dispatch_ptr 0
		.amdhsa_user_sgpr_queue_ptr 0
		.amdhsa_user_sgpr_kernarg_segment_ptr 1
		.amdhsa_user_sgpr_dispatch_id 0
		.amdhsa_user_sgpr_private_segment_size 0
		.amdhsa_wavefront_size32 1
		.amdhsa_uses_dynamic_stack 0
		.amdhsa_enable_private_segment 0
		.amdhsa_system_sgpr_workgroup_id_x 1
		.amdhsa_system_sgpr_workgroup_id_y 1
		.amdhsa_system_sgpr_workgroup_id_z 1
		.amdhsa_system_sgpr_workgroup_info 0
		.amdhsa_system_vgpr_workitem_id 0
		.amdhsa_next_free_vgpr 124
		.amdhsa_next_free_sgpr 40
		.amdhsa_reserve_vcc 1
		.amdhsa_float_round_mode_32 0
		.amdhsa_float_round_mode_16_64 0
		.amdhsa_float_denorm_mode_32 3
		.amdhsa_float_denorm_mode_16_64 3
		.amdhsa_dx10_clamp 1
		.amdhsa_ieee_mode 1
		.amdhsa_fp16_overflow 0
		.amdhsa_workgroup_processor_mode 1
		.amdhsa_memory_ordered 1
		.amdhsa_forward_progress 0
		.amdhsa_shared_vgpr_count 0
		.amdhsa_exception_fp_ieee_invalid_op 0
		.amdhsa_exception_fp_denorm_src 0
		.amdhsa_exception_fp_ieee_div_zero 0
		.amdhsa_exception_fp_ieee_overflow 0
		.amdhsa_exception_fp_ieee_underflow 0
		.amdhsa_exception_fp_ieee_inexact 0
		.amdhsa_exception_int_div_zero 0
	.end_amdhsa_kernel
	.section	.text._Z39paged_attention_ll4mi_QKV_mfma16_kernelI14__hip_bfloat16hLN4vllm18Fp8KVCacheDataTypeE1ES0_Li16ELi64ELi256ELb1ELi13EL8MFMAType1EEvPKT_PKT0_S9_ifPKiSB_SB_iPKfiiiPfSE_PS4_PT2_iSD_SD_,"axG",@progbits,_Z39paged_attention_ll4mi_QKV_mfma16_kernelI14__hip_bfloat16hLN4vllm18Fp8KVCacheDataTypeE1ES0_Li16ELi64ELi256ELb1ELi13EL8MFMAType1EEvPKT_PKT0_S9_ifPKiSB_SB_iPKfiiiPfSE_PS4_PT2_iSD_SD_,comdat
.Lfunc_end1398:
	.size	_Z39paged_attention_ll4mi_QKV_mfma16_kernelI14__hip_bfloat16hLN4vllm18Fp8KVCacheDataTypeE1ES0_Li16ELi64ELi256ELb1ELi13EL8MFMAType1EEvPKT_PKT0_S9_ifPKiSB_SB_iPKfiiiPfSE_PS4_PT2_iSD_SD_, .Lfunc_end1398-_Z39paged_attention_ll4mi_QKV_mfma16_kernelI14__hip_bfloat16hLN4vllm18Fp8KVCacheDataTypeE1ES0_Li16ELi64ELi256ELb1ELi13EL8MFMAType1EEvPKT_PKT0_S9_ifPKiSB_SB_iPKfiiiPfSE_PS4_PT2_iSD_SD_
                                        ; -- End function
	.section	.AMDGPU.csdata,"",@progbits
; Kernel info:
; codeLenInByte = 8908
; NumSgprs: 42
; NumVgprs: 124
; ScratchSize: 0
; MemoryBound: 0
; FloatMode: 240
; IeeeMode: 1
; LDSByteSize: 17472 bytes/workgroup (compile time only)
; SGPRBlocks: 5
; VGPRBlocks: 15
; NumSGPRsForWavesPerEU: 42
; NumVGPRsForWavesPerEU: 124
; Occupancy: 10
; WaveLimiterHint : 1
; COMPUTE_PGM_RSRC2:SCRATCH_EN: 0
; COMPUTE_PGM_RSRC2:USER_SGPR: 13
; COMPUTE_PGM_RSRC2:TRAP_HANDLER: 0
; COMPUTE_PGM_RSRC2:TGID_X_EN: 1
; COMPUTE_PGM_RSRC2:TGID_Y_EN: 1
; COMPUTE_PGM_RSRC2:TGID_Z_EN: 1
; COMPUTE_PGM_RSRC2:TIDIG_COMP_CNT: 0
	.section	.text._Z39paged_attention_ll4mi_QKV_mfma16_kernelI14__hip_bfloat16hLN4vllm18Fp8KVCacheDataTypeE1ES0_Li16ELi64ELi256ELb1ELi14EL8MFMAType1EEvPKT_PKT0_S9_ifPKiSB_SB_iPKfiiiPfSE_PS4_PT2_iSD_SD_,"axG",@progbits,_Z39paged_attention_ll4mi_QKV_mfma16_kernelI14__hip_bfloat16hLN4vllm18Fp8KVCacheDataTypeE1ES0_Li16ELi64ELi256ELb1ELi14EL8MFMAType1EEvPKT_PKT0_S9_ifPKiSB_SB_iPKfiiiPfSE_PS4_PT2_iSD_SD_,comdat
	.protected	_Z39paged_attention_ll4mi_QKV_mfma16_kernelI14__hip_bfloat16hLN4vllm18Fp8KVCacheDataTypeE1ES0_Li16ELi64ELi256ELb1ELi14EL8MFMAType1EEvPKT_PKT0_S9_ifPKiSB_SB_iPKfiiiPfSE_PS4_PT2_iSD_SD_ ; -- Begin function _Z39paged_attention_ll4mi_QKV_mfma16_kernelI14__hip_bfloat16hLN4vllm18Fp8KVCacheDataTypeE1ES0_Li16ELi64ELi256ELb1ELi14EL8MFMAType1EEvPKT_PKT0_S9_ifPKiSB_SB_iPKfiiiPfSE_PS4_PT2_iSD_SD_
	.globl	_Z39paged_attention_ll4mi_QKV_mfma16_kernelI14__hip_bfloat16hLN4vllm18Fp8KVCacheDataTypeE1ES0_Li16ELi64ELi256ELb1ELi14EL8MFMAType1EEvPKT_PKT0_S9_ifPKiSB_SB_iPKfiiiPfSE_PS4_PT2_iSD_SD_
	.p2align	8
	.type	_Z39paged_attention_ll4mi_QKV_mfma16_kernelI14__hip_bfloat16hLN4vllm18Fp8KVCacheDataTypeE1ES0_Li16ELi64ELi256ELb1ELi14EL8MFMAType1EEvPKT_PKT0_S9_ifPKiSB_SB_iPKfiiiPfSE_PS4_PT2_iSD_SD_,@function
_Z39paged_attention_ll4mi_QKV_mfma16_kernelI14__hip_bfloat16hLN4vllm18Fp8KVCacheDataTypeE1ES0_Li16ELi64ELi256ELb1ELi14EL8MFMAType1EEvPKT_PKT0_S9_ifPKiSB_SB_iPKfiiiPfSE_PS4_PT2_iSD_SD_: ; @_Z39paged_attention_ll4mi_QKV_mfma16_kernelI14__hip_bfloat16hLN4vllm18Fp8KVCacheDataTypeE1ES0_Li16ELi64ELi256ELb1ELi14EL8MFMAType1EEvPKT_PKT0_S9_ifPKiSB_SB_iPKfiiiPfSE_PS4_PT2_iSD_SD_
; %bb.0:
	s_load_b64 s[2:3], s[0:1], 0x30
	s_mov_b32 s30, s13
	s_waitcnt lgkmcnt(0)
	s_cmp_lg_u64 s[2:3], 0
	s_cselect_b32 s8, -1, 0
	s_ashr_i32 s31, s13, 31
	s_cmp_eq_u64 s[2:3], 0
	s_cbranch_scc1 .LBB1399_3
; %bb.1:
	s_lshl_b64 s[4:5], s[30:31], 2
	s_delay_alu instid0(SALU_CYCLE_1) | instskip(SKIP_4) | instid1(SALU_CYCLE_1)
	s_add_u32 s4, s2, s4
	s_addc_u32 s5, s3, s5
	s_load_b64 s[4:5], s[4:5], 0x0
	s_waitcnt lgkmcnt(0)
	s_sub_i32 s4, s5, s4
	s_cmp_eq_u32 s4, 1
	s_cselect_b32 s4, -1, 0
	s_delay_alu instid0(SALU_CYCLE_1)
	s_and_not1_b32 vcc_lo, exec_lo, s4
	s_cbranch_vccz .LBB1399_4
.LBB1399_2:
	s_endpgm
.LBB1399_3:
.LBB1399_4:
	s_load_b64 s[4:5], s[0:1], 0x28
	s_lshl_b64 s[6:7], s[30:31], 2
	s_waitcnt lgkmcnt(0)
	s_add_u32 s4, s4, s6
	s_addc_u32 s5, s5, s7
	s_lshl_b32 s12, s14, 8
	s_load_b32 s24, s[4:5], 0x0
	s_waitcnt lgkmcnt(0)
	s_cmp_ge_i32 s12, s24
	s_cbranch_scc1 .LBB1399_2
; %bb.5:
	s_clause 0x1
	s_load_b128 s[20:23], s[0:1], 0x8
	s_load_b64 s[4:5], s[0:1], 0x20
	s_and_not1_b32 vcc_lo, exec_lo, s8
	s_cbranch_vccnz .LBB1399_7
; %bb.6:
	s_add_u32 s2, s2, s6
	s_addc_u32 s3, s3, s7
	s_load_b32 s3, s[2:3], 0x0
	s_branch .LBB1399_8
.LBB1399_7:
	s_mov_b32 s3, s30
.LBB1399_8:
	s_load_b128 s[16:19], s[0:1], 0x48
	v_and_b32_e32 v65, 15, v0
	v_cmp_gt_u32_e32 vcc_lo, 0xe0, v0
	v_lshrrev_b32_e32 v66, 5, v0
	v_and_b32_e32 v67, 31, v0
	v_and_b32_e32 v75, 1, v0
	v_lshlrev_b32_e32 v1, 3, v65
	v_cmp_gt_u32_e64 s2, 8, v65
	v_bfe_u32 v74, v0, 4, 1
	s_mul_i32 s31, s15, 14
	s_delay_alu instid0(VALU_DEP_3) | instskip(NEXT) | instid1(VALU_DEP_3)
	v_lshlrev_b32_e32 v73, 1, v1
	s_and_b32 s7, vcc_lo, s2
	s_delay_alu instid0(SALU_CYCLE_1)
	s_and_saveexec_b32 s6, s7
	s_cbranch_execz .LBB1399_10
; %bb.9:
	s_load_b64 s[8:9], s[0:1], 0x0
	v_lshl_or_b32 v5, v66, 1, v74
	s_waitcnt lgkmcnt(0)
	s_mul_hi_i32 s11, s3, s16
	s_mul_i32 s10, s3, s16
	v_lshlrev_b32_e32 v6, 10, v65
	s_lshl_b64 s[10:11], s[10:11], 1
	v_add_lshl_u32 v1, v5, s31, 6
	v_lshlrev_b32_e32 v5, 6, v5
	v_lshlrev_b32_e32 v7, 10, v75
	v_and_b32_e32 v6, 0x3800, v6
	s_delay_alu instid0(VALU_DEP_4) | instskip(NEXT) | instid1(VALU_DEP_2)
	v_ashrrev_i32_e32 v2, 31, v1
	v_or3_b32 v5, v6, v7, v5
	s_delay_alu instid0(VALU_DEP_2) | instskip(SKIP_2) | instid1(VALU_DEP_1)
	v_lshlrev_b64 v[1:2], 1, v[1:2]
	s_add_u32 s3, s8, s10
	s_addc_u32 s7, s9, s11
	v_add_co_u32 v1, vcc_lo, s3, v1
	s_delay_alu instid0(VALU_DEP_2) | instskip(NEXT) | instid1(VALU_DEP_2)
	v_add_co_ci_u32_e32 v2, vcc_lo, s7, v2, vcc_lo
	v_add_co_u32 v1, vcc_lo, v1, v73
	s_delay_alu instid0(VALU_DEP_2)
	v_add_co_ci_u32_e32 v2, vcc_lo, 0, v2, vcc_lo
	global_load_b128 v[1:4], v[1:2], off
	s_waitcnt vmcnt(0)
	ds_store_b128 v5, v[1:4]
.LBB1399_10:
	s_or_b32 exec_lo, exec_lo, s6
	v_and_b32_e32 v1, 0xef, v0
	s_waitcnt lgkmcnt(0)
	s_add_i32 s3, s24, 15
	s_clause 0x1
	s_load_b32 s6, s[0:1], 0x38
	s_load_b32 s19, s[0:1], 0x1c
	s_ashr_i32 s7, s3, 31
	v_add_nc_u32_e32 v1, s12, v1
	s_lshr_b32 s7, s7, 28
	s_waitcnt lgkmcnt(0)
	s_add_i32 s3, s3, s7
	s_barrier
	v_ashrrev_i32_e32 v2, 31, v1
	v_or_b32_e32 v3, 16, v1
	s_ashr_i32 s3, s3, 4
	v_cmp_gt_i32_e32 vcc_lo, s24, v1
	s_add_i32 s3, s3, -1
	v_lshrrev_b32_e32 v2, 28, v2
	buffer_gl0_inv
	s_mul_i32 s27, s15, s18
	v_add_nc_u32_e32 v4, v1, v2
	s_mul_i32 s6, s30, s6
	s_delay_alu instid0(SALU_CYCLE_1) | instskip(NEXT) | instid1(VALU_DEP_1)
	s_ashr_i32 s7, s6, 31
	v_ashrrev_i32_e32 v4, 4, v4
	v_add_nc_u32_e32 v2, v3, v2
	s_lshl_b64 s[6:7], s[6:7], 2
	s_delay_alu instid0(SALU_CYCLE_1) | instskip(NEXT) | instid1(VALU_DEP_2)
	s_add_u32 s26, s4, s6
	v_cndmask_b32_e32 v1, s3, v4, vcc_lo
	s_delay_alu instid0(VALU_DEP_2)
	v_ashrrev_i32_e32 v2, 4, v2
	v_cmp_gt_i32_e32 vcc_lo, s24, v3
	s_addc_u32 s25, s5, s7
	s_ashr_i32 s28, s27, 31
	s_add_u32 s13, s20, s27
	s_addc_u32 s15, s21, s28
	v_cndmask_b32_e32 v3, s3, v2, vcc_lo
	v_ashrrev_i32_e32 v2, 31, v1
	s_lshl_b32 s4, s14, 4
	s_delay_alu instid0(SALU_CYCLE_1) | instskip(NEXT) | instid1(VALU_DEP_2)
	s_ashr_i32 s5, s4, 31
	v_ashrrev_i32_e32 v4, 31, v3
	s_delay_alu instid0(VALU_DEP_2) | instskip(SKIP_1) | instid1(SALU_CYCLE_1)
	v_lshlrev_b64 v[1:2], 2, v[1:2]
	s_lshl_b64 s[4:5], s[4:5], 2
	s_add_u32 s4, s26, s4
	s_delay_alu instid0(VALU_DEP_2) | instskip(SKIP_1) | instid1(VALU_DEP_2)
	v_lshlrev_b64 v[3:4], 2, v[3:4]
	s_addc_u32 s5, s25, s5
	v_add_co_u32 v1, vcc_lo, s26, v1
	v_add_co_ci_u32_e32 v2, vcc_lo, s25, v2, vcc_lo
	s_delay_alu instid0(VALU_DEP_3) | instskip(NEXT) | instid1(VALU_DEP_4)
	v_add_co_u32 v3, vcc_lo, s26, v3
	v_add_co_ci_u32_e32 v4, vcc_lo, s25, v4, vcc_lo
	s_clause 0x1
	global_load_b32 v5, v[1:2], off
	global_load_b32 v7, v[3:4], off
	s_or_b32 s6, s12, 32
	v_lshlrev_b32_e32 v1, 4, v0
	s_ashr_i32 s7, s6, 4
	s_cmp_lt_i32 s6, s24
	v_cmp_gt_u32_e32 vcc_lo, 14, v65
	s_cselect_b32 s6, s7, s3
	v_and_b32_e32 v1, 0xf0, v1
	s_ashr_i32 s7, s6, 31
	s_delay_alu instid0(SALU_CYCLE_1) | instskip(NEXT) | instid1(SALU_CYCLE_1)
	s_lshl_b64 s[6:7], s[6:7], 2
	s_add_u32 s6, s26, s6
	s_addc_u32 s7, s25, s7
	s_or_b32 s8, s12, 64
	v_add_co_u32 v1, s13, s13, v1
	s_ashr_i32 s9, s8, 4
	s_cmp_lt_i32 s8, s24
	v_add_co_ci_u32_e64 v2, null, s15, 0, s13
	s_cselect_b32 s8, s9, s3
	s_delay_alu instid0(SALU_CYCLE_1) | instskip(NEXT) | instid1(SALU_CYCLE_1)
	s_ashr_i32 s9, s8, 31
	s_lshl_b64 s[8:9], s[8:9], 2
	s_delay_alu instid0(SALU_CYCLE_1) | instskip(SKIP_2) | instid1(SALU_CYCLE_1)
	s_add_u32 s8, s26, s8
	s_addc_u32 s9, s25, s9
	s_or_b32 s10, s12, 0x60
	s_ashr_i32 s11, s10, 4
	s_cmp_lt_i32 s10, s24
	s_cselect_b32 s10, s11, s3
	s_delay_alu instid0(SALU_CYCLE_1) | instskip(NEXT) | instid1(SALU_CYCLE_1)
	s_ashr_i32 s11, s10, 31
	s_lshl_b64 s[10:11], s[10:11], 2
	s_delay_alu instid0(SALU_CYCLE_1) | instskip(SKIP_2) | instid1(SALU_CYCLE_1)
	s_add_u32 s10, s26, s10
	s_addc_u32 s11, s25, s11
	s_or_b32 s16, s12, 0x80
	s_ashr_i32 s18, s16, 4
	s_cmp_lt_i32 s16, s24
	;; [unrolled: 10-line block ×3, first 2 shown]
	s_cselect_b32 s20, s18, s3
	s_delay_alu instid0(SALU_CYCLE_1) | instskip(NEXT) | instid1(SALU_CYCLE_1)
	s_ashr_i32 s21, s20, 31
	s_lshl_b64 s[20:21], s[20:21], 2
	s_delay_alu instid0(SALU_CYCLE_1)
	s_add_u32 s36, s26, s20
	s_addc_u32 s37, s25, s21
	s_clause 0x5
	s_load_b32 s21, s[4:5], 0x0
	s_load_b32 s13, s[6:7], 0x0
	;; [unrolled: 1-line block ×6, first 2 shown]
	s_or_b32 s8, s12, 0xc0
	s_mov_b32 s4, 0
	s_ashr_i32 s9, s8, 4
	s_cmp_lt_i32 s8, s24
	s_mov_b32 s11, s4
	s_cselect_b32 s34, s9, s3
	s_mov_b32 s5, s4
	s_ashr_i32 s35, s34, 31
	s_mov_b32 s6, s4
	s_lshl_b64 s[34:35], s[34:35], 2
	s_mov_b32 s7, s4
	s_add_u32 s34, s26, s34
	s_addc_u32 s35, s25, s35
	s_or_b32 s29, s12, 0xe0
	s_mov_b32 s8, s4
	s_ashr_i32 s33, s29, 4
	s_mov_b32 s9, s4
	s_mov_b32 s10, s4
	s_cmp_lt_i32 s29, s24
	v_dual_mov_b32 v107, s11 :: v_dual_mov_b32 v100, s4
	v_mov_b32_e32 v106, s10
	v_dual_mov_b32 v104, s8 :: v_dual_mov_b32 v103, s7
	v_dual_mov_b32 v102, s6 :: v_dual_mov_b32 v101, s5
	s_waitcnt vmcnt(1)
	v_mad_i64_i32 v[3:4], null, v5, s17, v[1:2]
	s_waitcnt vmcnt(0)
	v_mad_i64_i32 v[5:6], null, v7, s17, v[1:2]
	v_add_nc_u32_e32 v1, -14, v65
	v_lshlrev_b32_e32 v2, 4, v65
	s_clause 0x7
	global_load_b128 v[49:52], v[3:4], off
	global_load_b128 v[53:56], v[3:4], off offset:256
	global_load_b128 v[76:79], v[5:6], off
	global_load_b128 v[80:83], v[5:6], off offset:256
	global_load_b128 v[84:87], v[3:4], off offset:512
	;; [unrolled: 1-line block ×5, first 2 shown]
	v_cndmask_b32_e32 v1, v1, v65, vcc_lo
	v_mov_b32_e32 v105, s9
	s_cselect_b32 s4, s33, s3
	v_lshl_or_b32 v2, v66, 8, v2
	s_ashr_i32 s5, s4, 31
	v_lshlrev_b32_e32 v70, 6, v1
	s_lshl_b64 s[4:5], s[4:5], 2
	s_load_b32 s3, s[34:35], 0x0
	s_add_u32 s4, s26, s4
	s_addc_u32 s5, s25, s5
	ds_load_b128 v[108:111], v70
	ds_load_b128 v[112:115], v70 offset:1024
	s_load_b32 s4, s[4:5], 0x0
	s_add_u32 s6, s22, s27
	s_addc_u32 s7, s23, s28
	v_add_co_u32 v9, s6, s6, v2
	s_delay_alu instid0(VALU_DEP_1) | instskip(SKIP_1) | instid1(VALU_DEP_1)
	v_add_co_ci_u32_e64 v10, null, s7, 0, s6
	s_waitcnt lgkmcnt(0)
	v_mad_i64_i32 v[1:2], null, s21, s17, v[9:10]
	v_mad_i64_i32 v[3:4], null, s13, s17, v[9:10]
	;; [unrolled: 1-line block ×7, first 2 shown]
	s_clause 0x9
	global_load_b128 v[57:60], v[1:2], off
	global_load_b128 v[61:64], v[1:2], off offset:16
	global_load_b128 v[41:44], v[3:4], off
	global_load_b128 v[45:48], v[3:4], off offset:16
	;; [unrolled: 2-line block ×5, first 2 shown]
	v_mad_i64_i32 v[68:69], null, s4, s17, v[9:10]
	s_clause 0x3
	global_load_b128 v[9:12], v[13:14], off
	global_load_b128 v[13:16], v[13:14], off offset:16
	global_load_b128 v[17:20], v[21:22], off
	global_load_b128 v[21:24], v[21:22], off offset:16
	s_waitcnt vmcnt(20)
	v_wmma_f32_16x16x16_bf16 v[116:123], v[49:56], v[108:115], v[100:107]
	s_clause 0x1
	global_load_b128 v[49:52], v[68:69], off
	global_load_b128 v[53:56], v[68:69], off offset:16
	v_and_b32_e32 v68, 0xe0, v0
	v_mbcnt_lo_u32_b32 v69, -1, 0
	s_delay_alu instid0(VALU_DEP_2)
	v_add_nc_u32_e32 v68, s12, v68
	s_waitcnt vmcnt(20)
	v_wmma_f32_16x16x16_bf16 v[100:107], v[76:83], v[108:115], v[100:107]
	ds_load_b128 v[76:79], v70 offset:2048
	ds_load_b128 v[80:83], v70 offset:3072
	v_xor_b32_e32 v70, 16, v69
	s_waitcnt vmcnt(0) lgkmcnt(0)
	v_or_b32_e32 v68, v68, v74
	s_barrier
	buffer_gl0_inv
	v_cmp_gt_i32_e32 vcc_lo, 32, v70
	v_or_b32_e32 v71, 4, v68
	v_or_b32_e32 v72, 6, v68
	v_cmp_gt_i32_e64 s3, s24, v68
	v_or_b32_e32 v108, 8, v68
	v_or_b32_e32 v109, 10, v68
	v_cmp_gt_i32_e64 s4, s24, v71
	v_cmp_gt_i32_e64 s5, s24, v72
	s_delay_alu instid0(VALU_DEP_4) | instskip(NEXT) | instid1(VALU_DEP_4)
	v_cmp_gt_i32_e64 s6, s24, v108
	v_cmp_gt_i32_e64 s7, s24, v109
	v_wmma_f32_16x16x16_bf16 v[116:123], v[84:91], v[76:83], v[116:123]
	v_cndmask_b32_e32 v69, v69, v70, vcc_lo
	v_or_b32_e32 v70, 2, v68
	v_wmma_f32_16x16x16_bf16 v[100:107], v[92:99], v[76:83], v[100:107]
	v_or_b32_e32 v89, 22, v68
	v_dual_mul_f32 v82, s19, v119 :: v_dual_mul_f32 v79, s19, v122
	v_dual_mul_f32 v92, s19, v117 :: v_dual_mul_f32 v93, s19, v116
	s_delay_alu instid0(VALU_DEP_4) | instskip(SKIP_2) | instid1(VALU_DEP_4)
	v_mul_f32_e32 v98, s19, v103
	v_cmp_gt_i32_e32 vcc_lo, s24, v70
	v_dual_mul_f32 v83, s19, v118 :: v_dual_mul_f32 v96, s19, v105
	v_cndmask_b32_e64 v93, 0xff7fffff, v93, s3
	v_or_b32_e32 v84, 12, v68
	v_cndmask_b32_e32 v92, 0xff7fffff, v92, vcc_lo
	v_or_b32_e32 v85, 14, v68
	v_dual_mul_f32 v80, s19, v121 :: v_dual_mul_f32 v81, s19, v120
	v_mul_f32_e32 v94, s19, v107
	v_cndmask_b32_e64 v71, 0xff7fffff, v83, s4
	v_cndmask_b32_e64 v72, 0xff7fffff, v82, s5
	v_cmp_gt_i32_e64 s13, s24, v89
	v_lshlrev_b32_e32 v89, 2, v69
	v_max3_f32 v82, v93, 0xff7fffff, v92
	v_or_b32_e32 v86, 16, v68
	v_or_b32_e32 v87, 18, v68
	v_mul_f32_e32 v78, s19, v123
	v_cndmask_b32_e64 v81, 0xff7fffff, v81, s6
	v_cndmask_b32_e64 v80, 0xff7fffff, v80, s7
	v_max3_f32 v71, v82, v71, v72
	v_cmp_gt_i32_e64 s8, s24, v84
	v_cmp_gt_i32_e64 s9, s24, v85
	v_or_b32_e32 v88, 20, v68
	v_or_b32_e32 v90, 24, v68
	;; [unrolled: 1-line block ×5, first 2 shown]
	v_dual_mul_f32 v95, s19, v106 :: v_dual_mul_f32 v70, s19, v101
	v_dual_mul_f32 v99, s19, v102 :: v_dual_mul_f32 v68, s19, v100
	v_cndmask_b32_e64 v72, 0xff7fffff, v79, s8
	v_cndmask_b32_e64 v78, 0xff7fffff, v78, s9
	v_max3_f32 v71, v71, v81, v80
	v_cmp_gt_i32_e64 s10, s24, v86
	v_cmp_gt_i32_e64 s11, s24, v87
	;; [unrolled: 1-line block ×3, first 2 shown]
	v_mul_f32_e32 v97, s19, v104
	v_max3_f32 v71, v71, v72, v78
	v_cndmask_b32_e64 v68, 0xff7fffff, v68, s10
	v_cndmask_b32_e64 v70, 0xff7fffff, v70, s11
	;; [unrolled: 1-line block ×4, first 2 shown]
	v_cmp_gt_i32_e64 s15, s24, v90
	v_cmp_gt_i32_e64 s16, s24, v91
	v_max3_f32 v68, v71, v68, v70
	v_cmp_gt_i32_e64 s17, s24, v76
	v_cmp_gt_i32_e64 s18, s24, v77
	v_cndmask_b32_e64 v70, 0xff7fffff, v97, s15
	v_cndmask_b32_e64 v71, 0xff7fffff, v96, s16
	v_max3_f32 v68, v68, v72, v78
	v_cndmask_b32_e64 v72, 0xff7fffff, v95, s17
	v_cndmask_b32_e64 v76, 0xff7fffff, v94, s18
	s_delay_alu instid0(VALU_DEP_3) | instskip(NEXT) | instid1(VALU_DEP_1)
	v_max3_f32 v68, v68, v70, v71
	v_max3_f32 v68, v68, v72, v76
	ds_bpermute_b32 v69, v89, v68
	s_waitcnt lgkmcnt(0)
	v_max_f32_e32 v69, v69, v69
	s_delay_alu instid0(VALU_DEP_1) | instskip(NEXT) | instid1(VALU_DEP_1)
	v_max_f32_e32 v68, v68, v69
	v_fma_f32 v69, s19, v116, -v68
	v_fma_f32 v70, s19, v117, -v68
	;; [unrolled: 1-line block ×5, first 2 shown]
	s_delay_alu instid0(VALU_DEP_4) | instskip(NEXT) | instid1(VALU_DEP_4)
	v_dual_mul_f32 v69, 0x3fb8aa3b, v69 :: v_dual_mul_f32 v70, 0x3fb8aa3b, v70
	v_mul_f32_e32 v72, 0x3fb8aa3b, v72
	v_fma_f32 v78, s19, v122, -v68
	s_delay_alu instid0(VALU_DEP_4) | instskip(NEXT) | instid1(VALU_DEP_4)
	v_mul_f32_e32 v77, 0x3fb8aa3b, v76
	v_exp_f32_e32 v69, v69
	v_exp_f32_e32 v70, v70
	v_mul_f32_e32 v71, 0x3fb8aa3b, v71
	v_exp_f32_e32 v72, v72
	v_mul_f32_e32 v78, 0x3fb8aa3b, v78
	v_exp_f32_e32 v77, v77
	v_fma_f32 v81, s19, v105, -v68
	s_delay_alu instid0(VALU_DEP_2)
	v_exp_f32_e32 v78, v78
	v_cndmask_b32_e64 v80, 0, v69, s3
	v_cndmask_b32_e32 v76, 0, v70, vcc_lo
	v_exp_f32_e32 v71, v71
	v_fma_f32 v69, s19, v121, -v68
	v_cndmask_b32_e64 v85, 0, v72, s5
	v_add_f32_e32 v70, 0, v80
	s_delay_alu instid0(TRANS32_DEP_3)
	v_cndmask_b32_e64 v86, 0, v77, s6
	v_fma_f32 v77, s19, v101, -v68
	v_mul_f32_e32 v69, 0x3fb8aa3b, v69
	v_fma_f32 v72, s19, v100, -v68
	v_cndmask_b32_e64 v84, 0, v78, s8
	v_fma_f32 v78, s19, v103, -v68
	v_cndmask_b32_e64 v83, 0, v71, s4
	v_fma_f32 v71, s19, v123, -v68
	v_add_f32_e32 v70, v70, v76
	v_exp_f32_e32 v69, v69
	v_mul_f32_e32 v77, 0x3fb8aa3b, v77
	v_mul_f32_e32 v81, 0x3fb8aa3b, v81
	;; [unrolled: 1-line block ×3, first 2 shown]
	v_add_f32_e32 v70, v70, v83
	s_mov_b32 s3, exec_lo
	v_exp_f32_e32 v77, v77
	v_exp_f32_e32 v81, v81
	;; [unrolled: 1-line block ×3, first 2 shown]
	v_cndmask_b32_e64 v87, 0, v69, s7
	v_add_f32_e32 v70, v70, v85
	s_delay_alu instid0(VALU_DEP_1) | instskip(SKIP_1) | instid1(VALU_DEP_2)
	v_dual_mul_f32 v72, 0x3fb8aa3b, v72 :: v_dual_add_f32 v69, v70, v86
	v_fma_f32 v70, s19, v102, -v68
	v_exp_f32_e32 v72, v72
	s_waitcnt_depctr 0xfff
	v_cndmask_b32_e64 v88, 0, v71, s9
	v_fma_f32 v71, s19, v104, -v68
	v_dual_add_f32 v69, v69, v87 :: v_dual_mul_f32 v70, 0x3fb8aa3b, v70
	s_delay_alu instid0(VALU_DEP_2) | instskip(NEXT) | instid1(VALU_DEP_2)
	v_dual_mul_f32 v78, 0x3fb8aa3b, v78 :: v_dual_mul_f32 v71, 0x3fb8aa3b, v71
	v_add_f32_e32 v69, v69, v84
	s_delay_alu instid0(VALU_DEP_3) | instskip(SKIP_1) | instid1(VALU_DEP_3)
	v_exp_f32_e32 v79, v70
	v_cndmask_b32_e64 v70, 0, v72, s10
	v_exp_f32_e32 v78, v78
	v_exp_f32_e32 v82, v71
	v_add_f32_e32 v72, v69, v88
	v_cndmask_b32_e64 v69, 0, v77, s11
	v_fma_f32 v77, s19, v106, -v68
	s_delay_alu instid0(VALU_DEP_3) | instskip(NEXT) | instid1(TRANS32_DEP_3)
	v_add_f32_e32 v72, v72, v70
	v_cndmask_b32_e64 v71, 0, v79, s12
	s_delay_alu instid0(VALU_DEP_3) | instskip(NEXT) | instid1(VALU_DEP_3)
	v_mul_f32_e32 v77, 0x3fb8aa3b, v77
	v_add_f32_e32 v79, v72, v69
	s_delay_alu instid0(TRANS32_DEP_2) | instskip(NEXT) | instid1(VALU_DEP_3)
	v_cndmask_b32_e64 v72, 0, v78, s13
	v_exp_f32_e32 v90, v77
	v_cndmask_b32_e64 v77, 0, v82, s15
	s_delay_alu instid0(VALU_DEP_3) | instskip(SKIP_1) | instid1(VALU_DEP_1)
	v_add_f32_e32 v78, v79, v71
	v_fma_f32 v79, s19, v107, -v68
	v_dual_add_f32 v82, v78, v72 :: v_dual_mul_f32 v79, 0x3fb8aa3b, v79
	v_cndmask_b32_e64 v78, 0, v81, s16
	s_delay_alu instid0(VALU_DEP_2) | instskip(NEXT) | instid1(VALU_DEP_3)
	v_add_f32_e32 v81, v82, v77
	v_exp_f32_e32 v82, v79
	s_delay_alu instid0(TRANS32_DEP_2) | instskip(NEXT) | instid1(VALU_DEP_2)
	v_cndmask_b32_e64 v79, 0, v90, s17
	v_add_f32_e32 v81, v81, v78
	s_delay_alu instid0(VALU_DEP_1) | instskip(SKIP_2) | instid1(VALU_DEP_1)
	v_add_f32_e32 v90, v81, v79
	s_waitcnt_depctr 0xfff
	v_cndmask_b32_e64 v81, 0, v82, s18
	v_add_f32_e32 v82, v90, v81
	ds_bpermute_b32 v89, v89, v82
	v_cmpx_gt_u32_e32 16, v67
	s_cbranch_execz .LBB1399_12
; %bb.11:
	v_mul_u32_u24_e32 v67, 0x44, v66
	s_delay_alu instid0(VALU_DEP_1) | instskip(SKIP_1) | instid1(VALU_DEP_1)
	v_lshl_add_u32 v67, v65, 2, v67
	s_waitcnt lgkmcnt(0)
	v_dual_add_f32 v82, v82, v89 :: v_dual_add_nc_u32 v67, 0x4000, v67
	ds_store_2addr_b32 v67, v68, v82 offset1:136
.LBB1399_12:
	s_or_b32 exec_lo, exec_lo, s3
	v_lshlrev_b32_e32 v67, 2, v65
	s_waitcnt lgkmcnt(0)
	s_barrier
	buffer_gl0_inv
	v_cmp_eq_u32_e32 vcc_lo, 1, v66
	v_add_nc_u32_e32 v82, 0x4000, v67
	v_cmp_eq_u32_e64 s3, 2, v66
	v_cmp_eq_u32_e64 s5, 7, v66
	ds_load_2addr_b32 v[89:90], v82 offset1:17
	ds_load_2addr_b32 v[91:92], v82 offset0:34 offset1:51
	ds_load_2addr_b32 v[93:94], v82 offset0:68 offset1:85
	;; [unrolled: 1-line block ×4, first 2 shown]
	s_waitcnt lgkmcnt(4)
	v_max3_f32 v67, v89, 0xff7fffff, v90
	s_waitcnt lgkmcnt(3)
	s_delay_alu instid0(VALU_DEP_1) | instskip(SKIP_1) | instid1(VALU_DEP_1)
	v_max3_f32 v67, v67, v91, v92
	s_waitcnt lgkmcnt(2)
	v_max3_f32 v67, v67, v93, v94
	s_waitcnt lgkmcnt(1)
	s_delay_alu instid0(VALU_DEP_1) | instskip(NEXT) | instid1(VALU_DEP_1)
	v_max3_f32 v67, v67, v95, v96
	v_sub_f32_e32 v93, v93, v67
	s_delay_alu instid0(VALU_DEP_1) | instskip(NEXT) | instid1(VALU_DEP_1)
	v_dual_sub_f32 v68, v89, v67 :: v_dual_mul_f32 v103, 0x3fb8aa3b, v93
	v_mul_f32_e32 v68, 0x3fb8aa3b, v68
	s_delay_alu instid0(VALU_DEP_1)
	v_exp_f32_e32 v100, v68
	v_sub_f32_e32 v68, v92, v67
	v_sub_f32_e32 v99, v90, v67
	ds_load_2addr_b32 v[89:90], v82 offset0:170 offset1:187
	v_dual_mul_f32 v102, 0x3fb8aa3b, v68 :: v_dual_mul_f32 v99, 0x3fb8aa3b, v99
	s_waitcnt lgkmcnt(1)
	v_fma_f32 v68, v100, v97, 0
	s_delay_alu instid0(VALU_DEP_2) | instskip(NEXT) | instid1(VALU_DEP_2)
	v_exp_f32_e32 v102, v102
	v_exp_f32_e32 v99, v99
	s_waitcnt_depctr 0xfff
	v_fmac_f32_e32 v68, v99, v98
	v_sub_f32_e32 v91, v91, v67
	s_delay_alu instid0(VALU_DEP_1)
	v_mul_f32_e32 v101, 0x3fb8aa3b, v91
	ds_load_2addr_b32 v[91:92], v82 offset0:204 offset1:221
	v_sub_f32_e32 v97, v94, v67
	ds_load_2addr_b32 v[93:94], v82 offset0:238 offset1:255
	s_waitcnt lgkmcnt(0)
	v_exp_f32_e32 v101, v101
	s_barrier
	buffer_gl0_inv
	v_dual_fmac_f32 v68, v101, v89 :: v_dual_sub_f32 v89, v96, v67
	v_dual_sub_f32 v82, v95, v67 :: v_dual_mul_f32 v95, 0x3fb8aa3b, v97
	v_exp_f32_e32 v97, v103
	s_delay_alu instid0(VALU_DEP_2) | instskip(NEXT) | instid1(VALU_DEP_2)
	v_dual_fmac_f32 v68, v102, v90 :: v_dual_mul_f32 v89, 0x3fb8aa3b, v89
	v_mul_f32_e32 v82, 0x3fb8aa3b, v82
	s_delay_alu instid0(VALU_DEP_3) | instskip(NEXT) | instid1(VALU_DEP_2)
	v_exp_f32_e32 v95, v95
	v_exp_f32_e32 v89, v89
	s_delay_alu instid0(VALU_DEP_1)
	v_exp_f32_e32 v82, v82
	v_fmac_f32_e32 v68, v97, v91
	s_delay_alu instid0(TRANS32_DEP_3) | instid1(VALU_DEP_1)
	v_fmac_f32_e32 v68, v95, v92
	s_waitcnt_depctr 0xfff
	v_fmac_f32_e32 v68, v82, v93
	s_delay_alu instid0(VALU_DEP_1) | instskip(NEXT) | instid1(VALU_DEP_1)
	v_fmac_f32_e32 v68, v89, v94
	v_add_f32_e32 v90, 0x358637bd, v68
	s_delay_alu instid0(VALU_DEP_1) | instskip(NEXT) | instid1(VALU_DEP_1)
	v_div_scale_f32 v91, null, v90, v90, 1.0
	v_rcp_f32_e32 v92, v91
	s_waitcnt_depctr 0xfff
	v_fma_f32 v93, -v91, v92, 1.0
	s_delay_alu instid0(VALU_DEP_1) | instskip(SKIP_1) | instid1(VALU_DEP_2)
	v_dual_fmac_f32 v92, v93, v92 :: v_dual_cndmask_b32 v93, v100, v99
	v_cmp_eq_u32_e32 vcc_lo, 3, v66
	v_cndmask_b32_e64 v93, v93, v101, s3
	v_cmp_eq_u32_e64 s3, 4, v66
	s_delay_alu instid0(VALU_DEP_2) | instskip(SKIP_1) | instid1(VALU_DEP_2)
	v_cndmask_b32_e32 v93, v93, v102, vcc_lo
	v_cmp_eq_u32_e32 vcc_lo, 5, v66
	v_cndmask_b32_e64 v93, v93, v97, s3
	v_cmp_eq_u32_e64 s3, 6, v66
	s_delay_alu instid0(VALU_DEP_2) | instskip(SKIP_1) | instid1(VALU_DEP_1)
	v_cndmask_b32_e32 v93, v93, v95, vcc_lo
	v_div_scale_f32 v94, s4, 1.0, v90, 1.0
	s_mov_b32 vcc_lo, s4
	s_delay_alu instid0(VALU_DEP_2) | instskip(NEXT) | instid1(VALU_DEP_2)
	v_cndmask_b32_e64 v82, v93, v82, s3
	v_mul_f32_e32 v96, v94, v92
	s_mov_b32 s3, exec_lo
	s_delay_alu instid0(VALU_DEP_2) | instskip(NEXT) | instid1(VALU_DEP_2)
	v_cndmask_b32_e64 v82, v82, v89, s5
	v_fma_f32 v98, -v91, v96, v94
	s_delay_alu instid0(VALU_DEP_1) | instskip(NEXT) | instid1(VALU_DEP_1)
	v_fmac_f32_e32 v96, v98, v92
	v_fma_f32 v91, -v91, v96, v94
	s_delay_alu instid0(VALU_DEP_1) | instskip(NEXT) | instid1(VALU_DEP_1)
	v_div_fmas_f32 v91, v91, v92, v96
	v_div_fixup_f32 v90, v91, v90, 1.0
	s_delay_alu instid0(VALU_DEP_1) | instskip(NEXT) | instid1(VALU_DEP_1)
	v_mul_f32_e32 v82, v82, v90
	v_mul_f32_e32 v87, v82, v87
	v_mul_f32_e32 v90, v82, v80
	v_mul_f32_e32 v80, v82, v88
	v_mul_f32_e32 v84, v82, v84
	v_mul_f32_e32 v88, v82, v86
	v_mul_f32_e32 v89, v82, v85
	v_dual_mul_f32 v86, v82, v83 :: v_dual_and_b32 v91, 0x7f800000, v90
	v_mul_f32_e32 v85, v82, v76
                                        ; implicit-def: $vgpr76
	s_delay_alu instid0(VALU_DEP_2)
	v_cmpx_ne_u32_e32 0x7f800000, v91
	s_xor_b32 s3, exec_lo, s3
; %bb.13:
	v_bfe_u32 v76, v90, 16, 1
	s_delay_alu instid0(VALU_DEP_1)
	v_add3_u32 v76, v90, v76, 0x7fff
                                        ; implicit-def: $vgpr90
; %bb.14:
	s_and_not1_saveexec_b32 s3, s3
; %bb.15:
	v_and_b32_e32 v76, 0xffff, v90
	v_or_b32_e32 v83, 0x10000, v90
	s_delay_alu instid0(VALU_DEP_2) | instskip(NEXT) | instid1(VALU_DEP_2)
	v_cmp_eq_u32_e32 vcc_lo, 0, v76
	v_cndmask_b32_e32 v76, v83, v90, vcc_lo
; %bb.16:
	s_or_b32 exec_lo, exec_lo, s3
	v_and_b32_e32 v83, 0x7f800000, v85
	s_delay_alu instid0(VALU_DEP_1) | instskip(SKIP_1) | instid1(SALU_CYCLE_1)
	v_cmp_ne_u32_e32 vcc_lo, 0x7f800000, v83
                                        ; implicit-def: $vgpr83
	s_and_saveexec_b32 s3, vcc_lo
	s_xor_b32 s3, exec_lo, s3
; %bb.17:
	v_bfe_u32 v83, v85, 16, 1
	s_delay_alu instid0(VALU_DEP_1)
	v_add3_u32 v83, v85, v83, 0x7fff
                                        ; implicit-def: $vgpr85
; %bb.18:
	s_and_not1_saveexec_b32 s3, s3
; %bb.19:
	v_and_b32_e32 v83, 0xffff, v85
	v_or_b32_e32 v90, 0x10000, v85
	s_delay_alu instid0(VALU_DEP_2) | instskip(NEXT) | instid1(VALU_DEP_2)
	v_cmp_eq_u32_e32 vcc_lo, 0, v83
	v_cndmask_b32_e32 v83, v90, v85, vcc_lo
; %bb.20:
	s_or_b32 exec_lo, exec_lo, s3
	v_and_b32_e32 v85, 0x7f800000, v86
	s_delay_alu instid0(VALU_DEP_1) | instskip(SKIP_1) | instid1(SALU_CYCLE_1)
	v_cmp_ne_u32_e32 vcc_lo, 0x7f800000, v85
                                        ; implicit-def: $vgpr85
	s_and_saveexec_b32 s3, vcc_lo
	s_xor_b32 s3, exec_lo, s3
; %bb.21:
	v_bfe_u32 v85, v86, 16, 1
	s_delay_alu instid0(VALU_DEP_1)
	v_add3_u32 v85, v86, v85, 0x7fff
                                        ; implicit-def: $vgpr86
; %bb.22:
	s_and_not1_saveexec_b32 s3, s3
; %bb.23:
	v_and_b32_e32 v85, 0xffff, v86
	v_or_b32_e32 v90, 0x10000, v86
	s_delay_alu instid0(VALU_DEP_2) | instskip(NEXT) | instid1(VALU_DEP_2)
	v_cmp_eq_u32_e32 vcc_lo, 0, v85
	v_cndmask_b32_e32 v85, v90, v86, vcc_lo
; %bb.24:
	s_or_b32 exec_lo, exec_lo, s3
	v_and_b32_e32 v86, 0x7f800000, v89
	s_delay_alu instid0(VALU_DEP_1) | instskip(SKIP_1) | instid1(SALU_CYCLE_1)
	v_cmp_ne_u32_e32 vcc_lo, 0x7f800000, v86
                                        ; implicit-def: $vgpr86
	s_and_saveexec_b32 s3, vcc_lo
	s_xor_b32 s3, exec_lo, s3
; %bb.25:
	v_bfe_u32 v86, v89, 16, 1
	s_delay_alu instid0(VALU_DEP_1)
	v_add3_u32 v86, v89, v86, 0x7fff
                                        ; implicit-def: $vgpr89
; %bb.26:
	s_and_not1_saveexec_b32 s3, s3
; %bb.27:
	v_and_b32_e32 v86, 0xffff, v89
	v_or_b32_e32 v90, 0x10000, v89
	s_delay_alu instid0(VALU_DEP_2) | instskip(NEXT) | instid1(VALU_DEP_2)
	v_cmp_eq_u32_e32 vcc_lo, 0, v86
	v_cndmask_b32_e32 v86, v90, v89, vcc_lo
; %bb.28:
	s_or_b32 exec_lo, exec_lo, s3
	v_and_b32_e32 v89, 0x7f800000, v88
	s_delay_alu instid0(VALU_DEP_1) | instskip(SKIP_1) | instid1(SALU_CYCLE_1)
	v_cmp_ne_u32_e32 vcc_lo, 0x7f800000, v89
                                        ; implicit-def: $vgpr89
	s_and_saveexec_b32 s3, vcc_lo
	s_xor_b32 s3, exec_lo, s3
; %bb.29:
	v_bfe_u32 v89, v88, 16, 1
	s_delay_alu instid0(VALU_DEP_1)
	v_add3_u32 v89, v88, v89, 0x7fff
                                        ; implicit-def: $vgpr88
; %bb.30:
	s_and_not1_saveexec_b32 s3, s3
; %bb.31:
	v_and_b32_e32 v89, 0xffff, v88
	v_or_b32_e32 v90, 0x10000, v88
	s_delay_alu instid0(VALU_DEP_2) | instskip(NEXT) | instid1(VALU_DEP_2)
	v_cmp_eq_u32_e32 vcc_lo, 0, v89
	v_cndmask_b32_e32 v89, v90, v88, vcc_lo
; %bb.32:
	s_or_b32 exec_lo, exec_lo, s3
	v_and_b32_e32 v88, 0x7f800000, v87
	s_delay_alu instid0(VALU_DEP_1) | instskip(SKIP_1) | instid1(SALU_CYCLE_1)
	v_cmp_ne_u32_e32 vcc_lo, 0x7f800000, v88
                                        ; implicit-def: $vgpr88
	s_and_saveexec_b32 s3, vcc_lo
	s_xor_b32 s3, exec_lo, s3
; %bb.33:
	v_bfe_u32 v88, v87, 16, 1
	s_delay_alu instid0(VALU_DEP_1)
	v_add3_u32 v88, v87, v88, 0x7fff
                                        ; implicit-def: $vgpr87
; %bb.34:
	s_and_not1_saveexec_b32 s3, s3
; %bb.35:
	v_and_b32_e32 v88, 0xffff, v87
	v_or_b32_e32 v90, 0x10000, v87
	s_delay_alu instid0(VALU_DEP_2) | instskip(NEXT) | instid1(VALU_DEP_2)
	v_cmp_eq_u32_e32 vcc_lo, 0, v88
	v_cndmask_b32_e32 v88, v90, v87, vcc_lo
; %bb.36:
	s_or_b32 exec_lo, exec_lo, s3
	v_and_b32_e32 v87, 0x7f800000, v84
	s_delay_alu instid0(VALU_DEP_1) | instskip(SKIP_1) | instid1(SALU_CYCLE_1)
	v_cmp_ne_u32_e32 vcc_lo, 0x7f800000, v87
                                        ; implicit-def: $vgpr87
	s_and_saveexec_b32 s3, vcc_lo
	s_xor_b32 s3, exec_lo, s3
; %bb.37:
	v_bfe_u32 v87, v84, 16, 1
	s_delay_alu instid0(VALU_DEP_1)
	v_add3_u32 v87, v84, v87, 0x7fff
                                        ; implicit-def: $vgpr84
; %bb.38:
	s_and_not1_saveexec_b32 s3, s3
; %bb.39:
	v_and_b32_e32 v87, 0xffff, v84
	v_or_b32_e32 v90, 0x10000, v84
	s_delay_alu instid0(VALU_DEP_2) | instskip(NEXT) | instid1(VALU_DEP_2)
	v_cmp_eq_u32_e32 vcc_lo, 0, v87
	v_cndmask_b32_e32 v87, v90, v84, vcc_lo
; %bb.40:
	s_or_b32 exec_lo, exec_lo, s3
	v_and_b32_e32 v84, 0x7f800000, v80
	s_delay_alu instid0(VALU_DEP_1) | instskip(SKIP_1) | instid1(SALU_CYCLE_1)
	v_cmp_ne_u32_e32 vcc_lo, 0x7f800000, v84
                                        ; implicit-def: $vgpr84
	s_and_saveexec_b32 s3, vcc_lo
	s_xor_b32 s3, exec_lo, s3
; %bb.41:
	v_bfe_u32 v84, v80, 16, 1
	s_delay_alu instid0(VALU_DEP_1)
	v_add3_u32 v84, v80, v84, 0x7fff
                                        ; implicit-def: $vgpr80
; %bb.42:
	s_and_not1_saveexec_b32 s3, s3
; %bb.43:
	v_and_b32_e32 v84, 0xffff, v80
	v_or_b32_e32 v90, 0x10000, v80
	s_delay_alu instid0(VALU_DEP_2) | instskip(NEXT) | instid1(VALU_DEP_2)
	v_cmp_eq_u32_e32 vcc_lo, 0, v84
	v_cndmask_b32_e32 v84, v90, v80, vcc_lo
; %bb.44:
	s_or_b32 exec_lo, exec_lo, s3
	s_load_b64 s[34:35], s[0:1], 0x94
	v_lshlrev_b32_e32 v91, 4, v74
	s_delay_alu instid0(VALU_DEP_2)
	v_perm_b32 v90, v84, v87, 0x7060302
	v_dual_mul_f32 v79, v82, v79 :: v_dual_lshlrev_b32 v80, 6, v65
	v_dual_mul_f32 v77, v82, v77 :: v_dual_lshlrev_b32 v92, 11, v66
	v_mul_f32_e32 v84, v82, v70
	v_perm_b32 v89, v88, v89, 0x7060302
	v_perm_b32 v88, v86, v85, 0x7060302
	;; [unrolled: 1-line block ×3, first 2 shown]
	v_mul_f32_e32 v70, v82, v81
	v_or3_b32 v76, v91, v92, v80
	v_dual_mul_f32 v78, v82, v78 :: v_dual_and_b32 v85, 0x7f800000, v84
	v_mul_f32_e32 v83, v82, v72
	v_mul_f32_e32 v81, v82, v71
	;; [unrolled: 1-line block ×3, first 2 shown]
	s_mov_b32 s3, exec_lo
	ds_store_b128 v76, v[87:90]
                                        ; implicit-def: $vgpr69
	v_cmpx_ne_u32_e32 0x7f800000, v85
	s_xor_b32 s3, exec_lo, s3
; %bb.45:
	v_bfe_u32 v69, v84, 16, 1
	s_delay_alu instid0(VALU_DEP_1)
	v_add3_u32 v69, v84, v69, 0x7fff
                                        ; implicit-def: $vgpr84
; %bb.46:
	s_and_not1_saveexec_b32 s3, s3
; %bb.47:
	v_and_b32_e32 v69, 0xffff, v84
	v_or_b32_e32 v71, 0x10000, v84
	s_delay_alu instid0(VALU_DEP_2) | instskip(NEXT) | instid1(VALU_DEP_2)
	v_cmp_eq_u32_e32 vcc_lo, 0, v69
	v_cndmask_b32_e32 v69, v71, v84, vcc_lo
; %bb.48:
	s_or_b32 exec_lo, exec_lo, s3
	v_and_b32_e32 v71, 0x7f800000, v72
	s_delay_alu instid0(VALU_DEP_1) | instskip(SKIP_1) | instid1(SALU_CYCLE_1)
	v_cmp_ne_u32_e32 vcc_lo, 0x7f800000, v71
                                        ; implicit-def: $vgpr71
	s_and_saveexec_b32 s3, vcc_lo
	s_xor_b32 s3, exec_lo, s3
; %bb.49:
	v_bfe_u32 v71, v72, 16, 1
	s_delay_alu instid0(VALU_DEP_1)
	v_add3_u32 v71, v72, v71, 0x7fff
                                        ; implicit-def: $vgpr72
; %bb.50:
	s_and_not1_saveexec_b32 s3, s3
; %bb.51:
	v_and_b32_e32 v71, 0xffff, v72
	v_or_b32_e32 v82, 0x10000, v72
	s_delay_alu instid0(VALU_DEP_2) | instskip(NEXT) | instid1(VALU_DEP_2)
	v_cmp_eq_u32_e32 vcc_lo, 0, v71
	v_cndmask_b32_e32 v71, v82, v72, vcc_lo
; %bb.52:
	s_or_b32 exec_lo, exec_lo, s3
	v_and_b32_e32 v72, 0x7f800000, v81
	s_delay_alu instid0(VALU_DEP_1) | instskip(SKIP_1) | instid1(SALU_CYCLE_1)
	v_cmp_ne_u32_e32 vcc_lo, 0x7f800000, v72
                                        ; implicit-def: $vgpr72
	s_and_saveexec_b32 s3, vcc_lo
	s_xor_b32 s3, exec_lo, s3
; %bb.53:
	v_bfe_u32 v72, v81, 16, 1
	s_delay_alu instid0(VALU_DEP_1)
	v_add3_u32 v72, v81, v72, 0x7fff
                                        ; implicit-def: $vgpr81
; %bb.54:
	s_and_not1_saveexec_b32 s3, s3
; %bb.55:
	v_and_b32_e32 v72, 0xffff, v81
	v_or_b32_e32 v82, 0x10000, v81
	s_delay_alu instid0(VALU_DEP_2) | instskip(NEXT) | instid1(VALU_DEP_2)
	v_cmp_eq_u32_e32 vcc_lo, 0, v72
	v_cndmask_b32_e32 v72, v82, v81, vcc_lo
; %bb.56:
	s_or_b32 exec_lo, exec_lo, s3
	v_and_b32_e32 v81, 0x7f800000, v83
	s_delay_alu instid0(VALU_DEP_1) | instskip(SKIP_1) | instid1(SALU_CYCLE_1)
	v_cmp_ne_u32_e32 vcc_lo, 0x7f800000, v81
                                        ; implicit-def: $vgpr81
	s_and_saveexec_b32 s3, vcc_lo
	s_xor_b32 s3, exec_lo, s3
; %bb.57:
	v_bfe_u32 v81, v83, 16, 1
	s_delay_alu instid0(VALU_DEP_1)
	v_add3_u32 v81, v83, v81, 0x7fff
                                        ; implicit-def: $vgpr83
; %bb.58:
	s_and_not1_saveexec_b32 s3, s3
; %bb.59:
	v_and_b32_e32 v81, 0xffff, v83
	v_or_b32_e32 v82, 0x10000, v83
	s_delay_alu instid0(VALU_DEP_2) | instskip(NEXT) | instid1(VALU_DEP_2)
	v_cmp_eq_u32_e32 vcc_lo, 0, v81
	v_cndmask_b32_e32 v81, v82, v83, vcc_lo
; %bb.60:
	s_or_b32 exec_lo, exec_lo, s3
	v_and_b32_e32 v82, 0x7f800000, v77
	s_delay_alu instid0(VALU_DEP_1) | instskip(SKIP_1) | instid1(SALU_CYCLE_1)
	v_cmp_ne_u32_e32 vcc_lo, 0x7f800000, v82
                                        ; implicit-def: $vgpr82
	s_and_saveexec_b32 s3, vcc_lo
	s_xor_b32 s3, exec_lo, s3
; %bb.61:
	v_bfe_u32 v82, v77, 16, 1
	s_delay_alu instid0(VALU_DEP_1)
	v_add3_u32 v82, v77, v82, 0x7fff
                                        ; implicit-def: $vgpr77
; %bb.62:
	s_and_not1_saveexec_b32 s3, s3
; %bb.63:
	v_and_b32_e32 v82, 0xffff, v77
	v_or_b32_e32 v83, 0x10000, v77
	s_delay_alu instid0(VALU_DEP_2) | instskip(NEXT) | instid1(VALU_DEP_2)
	v_cmp_eq_u32_e32 vcc_lo, 0, v82
	v_cndmask_b32_e32 v82, v83, v77, vcc_lo
; %bb.64:
	s_or_b32 exec_lo, exec_lo, s3
	v_and_b32_e32 v77, 0x7f800000, v78
	s_delay_alu instid0(VALU_DEP_1) | instskip(SKIP_1) | instid1(SALU_CYCLE_1)
	v_cmp_ne_u32_e32 vcc_lo, 0x7f800000, v77
                                        ; implicit-def: $vgpr77
	s_and_saveexec_b32 s3, vcc_lo
	s_xor_b32 s3, exec_lo, s3
; %bb.65:
	v_bfe_u32 v77, v78, 16, 1
	s_delay_alu instid0(VALU_DEP_1)
	v_add3_u32 v77, v78, v77, 0x7fff
                                        ; implicit-def: $vgpr78
; %bb.66:
	s_and_not1_saveexec_b32 s3, s3
; %bb.67:
	v_and_b32_e32 v77, 0xffff, v78
	v_or_b32_e32 v83, 0x10000, v78
	s_delay_alu instid0(VALU_DEP_2) | instskip(NEXT) | instid1(VALU_DEP_2)
	v_cmp_eq_u32_e32 vcc_lo, 0, v77
	v_cndmask_b32_e32 v77, v83, v78, vcc_lo
; %bb.68:
	s_or_b32 exec_lo, exec_lo, s3
	v_and_b32_e32 v78, 0x7f800000, v79
	s_delay_alu instid0(VALU_DEP_1) | instskip(SKIP_1) | instid1(SALU_CYCLE_1)
	v_cmp_ne_u32_e32 vcc_lo, 0x7f800000, v78
                                        ; implicit-def: $vgpr78
	s_and_saveexec_b32 s3, vcc_lo
	s_xor_b32 s3, exec_lo, s3
; %bb.69:
	v_bfe_u32 v78, v79, 16, 1
	s_delay_alu instid0(VALU_DEP_1)
	v_add3_u32 v78, v79, v78, 0x7fff
                                        ; implicit-def: $vgpr79
; %bb.70:
	s_and_not1_saveexec_b32 s3, s3
; %bb.71:
	v_and_b32_e32 v78, 0xffff, v79
	v_or_b32_e32 v83, 0x10000, v79
	s_delay_alu instid0(VALU_DEP_2) | instskip(NEXT) | instid1(VALU_DEP_2)
	v_cmp_eq_u32_e32 vcc_lo, 0, v78
	v_cndmask_b32_e32 v78, v83, v79, vcc_lo
; %bb.72:
	s_or_b32 exec_lo, exec_lo, s3
	v_and_b32_e32 v79, 0x7f800000, v70
	s_delay_alu instid0(VALU_DEP_1) | instskip(SKIP_1) | instid1(SALU_CYCLE_1)
	v_cmp_ne_u32_e32 vcc_lo, 0x7f800000, v79
                                        ; implicit-def: $vgpr79
	s_and_saveexec_b32 s3, vcc_lo
	s_xor_b32 s3, exec_lo, s3
; %bb.73:
	v_bfe_u32 v79, v70, 16, 1
	s_delay_alu instid0(VALU_DEP_1)
	v_add3_u32 v79, v70, v79, 0x7fff
                                        ; implicit-def: $vgpr70
; %bb.74:
	s_and_not1_saveexec_b32 s3, s3
; %bb.75:
	v_and_b32_e32 v79, 0xffff, v70
	v_or_b32_e32 v83, 0x10000, v70
	s_delay_alu instid0(VALU_DEP_2) | instskip(NEXT) | instid1(VALU_DEP_2)
	v_cmp_eq_u32_e32 vcc_lo, 0, v79
	v_cndmask_b32_e32 v79, v83, v70, vcc_lo
; %bb.76:
	s_or_b32 exec_lo, exec_lo, s3
	s_delay_alu instid0(VALU_DEP_1)
	v_perm_b32 v86, v79, v78, 0x7060302
	v_perm_b32 v85, v77, v82, 0x7060302
	;; [unrolled: 1-line block ×4, first 2 shown]
	v_lshl_or_b32 v82, v66, 11, v80
	ds_store_b128 v76, v[83:86] offset:1024
	s_waitcnt lgkmcnt(0)
	s_barrier
	buffer_gl0_inv
	ds_load_b128 v[69:72], v82
	ds_load_b128 v[83:86], v82 offset:16
	s_waitcnt lgkmcnt(1)
	v_lshrrev_b32_e32 v66, 16, v69
	s_waitcnt lgkmcnt(0)
	v_lshrrev_b32_e32 v91, 16, v83
	v_lshlrev_b32_e32 v78, 2, v74
	v_lshrrev_b32_e32 v95, 16, v70
	v_lshrrev_b32_e32 v98, 16, v84
	;; [unrolled: 1-line block ×4, first 2 shown]
	v_cmp_eq_u32_e32 vcc_lo, 1, v78
	v_lshrrev_b32_e32 v97, 16, v72
	v_lshrrev_b32_e32 v100, 16, v86
	v_cndmask_b32_e32 v87, v83, v91, vcc_lo
	v_or_b32_e32 v79, 1, v78
	v_cndmask_b32_e32 v81, v69, v66, vcc_lo
	v_cmp_eq_u32_e64 s4, 2, v78
	v_cmp_eq_u32_e64 s7, 3, v78
	;; [unrolled: 1-line block ×5, first 2 shown]
	v_cndmask_b32_e64 v81, v81, v70, s4
	v_cndmask_b32_e64 v87, v87, v84, s4
	v_cmp_eq_u32_e64 s8, 3, v79
	v_cndmask_b32_e64 v88, v69, v66, s3
	v_or_b32_e32 v77, 2, v78
	v_cndmask_b32_e64 v81, v81, v95, s7
	v_cndmask_b32_e64 v87, v87, v98, s7
	;; [unrolled: 1-line block ×4, first 2 shown]
	v_cmp_eq_u32_e64 s10, 5, v78
	v_cndmask_b32_e64 v81, v81, v71, s9
	v_cndmask_b32_e64 v87, v87, v85, s9
	v_cmp_eq_u32_e64 s11, 4, v79
	v_cndmask_b32_e64 v88, v88, v95, s8
	v_cmp_eq_u32_e64 s5, 1, v77
	v_cndmask_b32_e64 v89, v89, v84, s6
	v_cndmask_b32_e64 v81, v81, v96, s10
	v_cmp_eq_u32_e64 s12, 6, v78
	v_cndmask_b32_e64 v88, v88, v71, s11
	v_cndmask_b32_e64 v87, v87, v99, s10
	v_cmp_eq_u32_e64 s13, 5, v79
	v_cndmask_b32_e64 v90, v69, v66, s5
	v_cndmask_b32_e64 v89, v89, v98, s8
	v_cndmask_b32_e64 v81, v81, v72, s12
	v_cmp_eq_u32_e64 s15, 7, v78
	v_cndmask_b32_e64 v88, v88, v96, s13
	v_cndmask_b32_e64 v87, v87, v86, s12
	v_cmp_eq_u32_e64 s16, 6, v79
	v_cmp_eq_u32_e64 s17, 2, v77
	v_cndmask_b32_e64 v89, v89, v85, s11
	v_cndmask_b32_e64 v101, v81, v97, s15
	;; [unrolled: 1-line block ×6, first 2 shown]
	v_cmp_eq_u32_e64 s18, 7, v79
	v_cmp_eq_u32_e64 s19, 3, v77
	;; [unrolled: 1-line block ×4, first 2 shown]
	v_cndmask_b32_e64 v87, v87, v84, s17
	v_cndmask_b32_e64 v103, v88, v97, s18
	;; [unrolled: 1-line block ×4, first 2 shown]
	v_or_b32_e32 v81, 3, v78
	v_cndmask_b32_e64 v93, v87, v98, s19
	v_cmp_eq_u32_e64 s24, 6, v77
	v_cndmask_b32_e64 v104, v88, v86, s16
	v_cndmask_b32_e64 v92, v89, v71, s20
	v_cmp_eq_u32_e64 s21, 1, v81
	ds_load_b128 v[87:90], v82 offset:1024
	v_cmp_eq_u32_e64 s23, 2, v81
	v_cmp_eq_u32_e64 s25, 3, v81
	v_cndmask_b32_e64 v105, v92, v96, s22
	v_cndmask_b32_e64 v66, v69, v66, s21
	;; [unrolled: 1-line block ×4, first 2 shown]
	ds_load_b128 v[91:94], v82 offset:1040
	v_cmp_eq_u32_e64 s26, 4, v81
	v_cndmask_b32_e64 v66, v66, v70, s23
	v_cmp_eq_u32_e64 s27, 7, v77
	v_cndmask_b32_e64 v70, v83, v84, s23
	v_cndmask_b32_e64 v84, v105, v72, s24
	v_cmp_eq_u32_e64 s28, 5, v81
	v_cndmask_b32_e64 v66, v66, v95, s25
	v_cmp_eq_u32_e64 s29, 6, v81
	v_cndmask_b32_e64 v70, v70, v98, s25
	v_cndmask_b32_e64 v69, v69, v99, s22
	;; [unrolled: 1-line block ×4, first 2 shown]
	s_waitcnt lgkmcnt(1)
	v_lshrrev_b32_e32 v95, 16, v87
	v_cndmask_b32_e64 v70, v70, v85, s26
	v_cndmask_b32_e64 v71, v84, v97, s27
	;; [unrolled: 1-line block ×4, first 2 shown]
	v_cndmask_b32_e32 v84, v87, v95, vcc_lo
	v_cndmask_b32_e64 v70, v70, v99, s28
	s_waitcnt lgkmcnt(0)
	v_lshrrev_b32_e32 v85, 16, v91
	v_lshrrev_b32_e32 v96, 16, v88
	v_cndmask_b32_e64 v98, v87, v95, s3
	v_cndmask_b32_e64 v84, v84, v88, s4
	;; [unrolled: 1-line block ×3, first 2 shown]
	v_cndmask_b32_e32 v99, v91, v85, vcc_lo
	v_cmp_eq_u32_e32 vcc_lo, 7, v81
	v_cndmask_b32_e64 v66, v66, v72, s29
	v_cndmask_b32_e64 v72, v84, v96, s7
	;; [unrolled: 1-line block ×3, first 2 shown]
	v_lshrrev_b32_e32 v98, 16, v92
	v_cndmask_b32_e32 v70, v70, v100, vcc_lo
	v_cndmask_b32_e64 v86, v99, v92, s4
	v_cndmask_b32_e64 v69, v69, v100, s27
	v_lshrrev_b32_e32 v100, 16, v93
	v_cndmask_b32_e64 v72, v72, v89, s9
	v_lshrrev_b32_e32 v99, 16, v89
	v_cndmask_b32_e64 v86, v86, v98, s7
	v_perm_b32 v71, v69, v71, 0x5040100
	v_cndmask_b32_e64 v84, v84, v96, s8
	s_delay_alu instid0(VALU_DEP_3) | instskip(NEXT) | instid1(VALU_DEP_2)
	v_cndmask_b32_e64 v86, v86, v93, s9
	v_cndmask_b32_e64 v84, v84, v89, s11
	s_delay_alu instid0(VALU_DEP_2) | instskip(NEXT) | instid1(VALU_DEP_1)
	v_cndmask_b32_e64 v86, v86, v100, s10
	v_cndmask_b32_e64 v69, v86, v94, s12
	;; [unrolled: 1-line block ×5, first 2 shown]
	s_delay_alu instid0(VALU_DEP_3) | instskip(NEXT) | instid1(VALU_DEP_3)
	v_cndmask_b32_e64 v86, v86, v88, s17
	v_cndmask_b32_e64 v87, v87, v88, s23
	s_delay_alu instid0(VALU_DEP_3) | instskip(NEXT) | instid1(VALU_DEP_3)
	v_cndmask_b32_e64 v88, v95, v92, s23
	v_cndmask_b32_e64 v86, v86, v96, s19
	;; [unrolled: 3-line block ×7, first 2 shown]
	s_delay_alu instid0(VALU_DEP_3) | instskip(SKIP_2) | instid1(VALU_DEP_2)
	v_cndmask_b32_e64 v88, v88, v94, s29
	v_cndmask_b32_e32 v66, v66, v97, vcc_lo
	v_cndmask_b32_e64 v97, v72, v99, s10
	v_perm_b32 v72, v70, v66, 0x5040100
	v_perm_b32 v70, v83, v103, 0x5040100
	v_cndmask_b32_e64 v103, v91, v85, s5
	v_cndmask_b32_e64 v85, v91, v85, s3
	;; [unrolled: 1-line block ×4, first 2 shown]
	v_lshrrev_b32_e32 v97, 16, v90
	v_cndmask_b32_e64 v91, v103, v92, s17
	v_cndmask_b32_e64 v85, v85, v92, s6
	;; [unrolled: 1-line block ×3, first 2 shown]
	s_mov_b32 s3, exec_lo
	v_cndmask_b32_e64 v83, v84, v97, s15
	v_cndmask_b32_e64 v91, v91, v98, s19
	;; [unrolled: 1-line block ×3, first 2 shown]
	v_lshrrev_b32_e32 v84, 16, v94
	v_cndmask_b32_e64 v66, v66, v97, s18
	v_cndmask_b32_e64 v90, v86, v97, s27
	;; [unrolled: 1-line block ×4, first 2 shown]
	v_dual_cndmask_b32 v86, v87, v97 :: v_dual_cndmask_b32 v87, v88, v84
	v_cndmask_b32_e64 v91, v69, v84, s15
	s_delay_alu instid0(VALU_DEP_4) | instskip(NEXT) | instid1(VALU_DEP_4)
	v_cndmask_b32_e64 v89, v89, v100, s22
	v_cndmask_b32_e64 v85, v85, v100, s13
	v_perm_b32 v69, v102, v101, 0x5040100
	v_perm_b32 v86, v87, v86, 0x5040100
	;; [unrolled: 1-line block ×3, first 2 shown]
	v_cndmask_b32_e64 v89, v89, v94, s24
	v_cndmask_b32_e64 v85, v85, v94, s16
	s_mul_i32 s8, s35, 14
	s_delay_alu instid0(VALU_DEP_2) | instskip(NEXT) | instid1(VALU_DEP_2)
	v_cndmask_b32_e64 v88, v89, v84, s27
	v_cndmask_b32_e64 v89, v85, v84, s18
	s_delay_alu instid0(VALU_DEP_2) | instskip(NEXT) | instid1(VALU_DEP_2)
	v_perm_b32 v85, v88, v90, 0x5040100
	v_perm_b32 v84, v89, v66, 0x5040100
	ds_store_b128 v76, v[69:72]
	ds_store_b128 v76, v[83:86] offset:1024
	v_cmpx_gt_u32_e32 14, v0
	s_cbranch_execz .LBB1399_78
; %bb.77:
	s_mul_i32 s4, s8, s30
	s_delay_alu instid0(SALU_CYCLE_1) | instskip(SKIP_1) | instid1(VALU_DEP_1)
	v_add3_u32 v69, s4, s31, v65
	s_load_b128 s[4:7], s[0:1], 0x58
	v_mad_u64_u32 v[65:66], null, v69, s34, s[14:15]
	s_delay_alu instid0(VALU_DEP_1) | instskip(NEXT) | instid1(VALU_DEP_1)
	v_ashrrev_i32_e32 v66, 31, v65
	v_lshlrev_b64 v[65:66], 2, v[65:66]
	s_waitcnt lgkmcnt(0)
	s_delay_alu instid0(VALU_DEP_1) | instskip(NEXT) | instid1(VALU_DEP_2)
	v_add_co_u32 v69, vcc_lo, s6, v65
	v_add_co_ci_u32_e32 v70, vcc_lo, s7, v66, vcc_lo
	v_add_co_u32 v65, vcc_lo, s4, v65
	v_add_co_ci_u32_e32 v66, vcc_lo, s5, v66, vcc_lo
	global_store_b32 v[69:70], v67, off
	global_store_b32 v[65:66], v68, off
.LBB1399_78:
	s_or_b32 exec_lo, exec_lo, s3
	s_waitcnt lgkmcnt(0)
	s_waitcnt_vscnt null, 0x0
	s_barrier
	buffer_gl0_inv
	ds_load_b128 v[83:86], v80
	ds_load_b128 v[87:90], v80 offset:16
	ds_load_b128 v[95:98], v80 offset:2064
	;; [unrolled: 1-line block ×3, first 2 shown]
	v_mov_b32_e32 v65, 0
	ds_load_b128 v[103:106], v80 offset:4112
	ds_load_b128 v[99:102], v80 offset:4096
	ds_load_b128 v[111:114], v80 offset:6160
	ds_load_b128 v[107:110], v80 offset:6144
	v_mov_b32_e32 v66, v65
	v_mov_b32_e32 v67, v65
	;; [unrolled: 1-line block ×7, first 2 shown]
	s_waitcnt lgkmcnt(6)
	s_delay_alu instid0(VALU_DEP_1)
	v_wmma_f32_16x16x16_bf16 v[65:72], v[57:64], v[83:90], v[65:72]
	ds_load_b128 v[61:64], v80 offset:8208
	ds_load_b128 v[57:60], v80 offset:8192
	s_waitcnt lgkmcnt(6)
	v_wmma_f32_16x16x16_bf16 v[65:72], v[41:48], v[91:98], v[65:72]
	ds_load_b128 v[45:48], v80 offset:10256
	ds_load_b128 v[41:44], v80 offset:10240
	s_waitcnt lgkmcnt(6)
	;; [unrolled: 4-line block ×4, first 2 shown]
	v_wmma_f32_16x16x16_bf16 v[65:72], v[1:8], v[57:64], v[65:72]
	s_waitcnt lgkmcnt(4)
	s_delay_alu instid0(VALU_DEP_1) | instskip(SKIP_1) | instid1(VALU_DEP_1)
	v_wmma_f32_16x16x16_bf16 v[65:72], v[9:16], v[41:48], v[65:72]
	s_waitcnt lgkmcnt(2)
	v_wmma_f32_16x16x16_bf16 v[65:72], v[17:24], v[33:40], v[65:72]
	s_waitcnt lgkmcnt(0)
	s_delay_alu instid0(VALU_DEP_1) | instskip(NEXT) | instid1(VALU_DEP_1)
	v_wmma_f32_16x16x16_bf16 v[65:72], v[49:56], v[25:32], v[65:72]
	v_and_b32_e32 v1, 0x7f800000, v65
	s_delay_alu instid0(VALU_DEP_1) | instskip(SKIP_1) | instid1(SALU_CYCLE_1)
	v_cmp_ne_u32_e32 vcc_lo, 0x7f800000, v1
                                        ; implicit-def: $vgpr1
	s_and_saveexec_b32 s3, vcc_lo
	s_xor_b32 s3, exec_lo, s3
; %bb.79:
	v_bfe_u32 v1, v65, 16, 1
	s_delay_alu instid0(VALU_DEP_1)
	v_add3_u32 v1, v65, v1, 0x7fff
; %bb.80:
	s_and_not1_saveexec_b32 s3, s3
; %bb.81:
	v_and_b32_e32 v1, 0xffff, v65
	v_or_b32_e32 v2, 0x10000, v65
	s_delay_alu instid0(VALU_DEP_2) | instskip(NEXT) | instid1(VALU_DEP_2)
	v_cmp_eq_u32_e32 vcc_lo, 0, v1
	v_cndmask_b32_e32 v1, v2, v65, vcc_lo
; %bb.82:
	s_or_b32 exec_lo, exec_lo, s3
	v_and_b32_e32 v2, 0x7f800000, v66
	s_delay_alu instid0(VALU_DEP_1) | instskip(SKIP_1) | instid1(SALU_CYCLE_1)
	v_cmp_ne_u32_e32 vcc_lo, 0x7f800000, v2
                                        ; implicit-def: $vgpr2
	s_and_saveexec_b32 s3, vcc_lo
	s_xor_b32 s3, exec_lo, s3
; %bb.83:
	v_bfe_u32 v2, v66, 16, 1
	s_delay_alu instid0(VALU_DEP_1)
	v_add3_u32 v2, v66, v2, 0x7fff
; %bb.84:
	s_and_not1_saveexec_b32 s3, s3
; %bb.85:
	v_and_b32_e32 v2, 0xffff, v66
	v_or_b32_e32 v3, 0x10000, v66
	s_delay_alu instid0(VALU_DEP_2) | instskip(NEXT) | instid1(VALU_DEP_2)
	v_cmp_eq_u32_e32 vcc_lo, 0, v2
	v_cndmask_b32_e32 v2, v3, v66, vcc_lo
; %bb.86:
	s_or_b32 exec_lo, exec_lo, s3
	v_and_b32_e32 v3, 0x7f800000, v67
	s_delay_alu instid0(VALU_DEP_1) | instskip(SKIP_1) | instid1(SALU_CYCLE_1)
	v_cmp_ne_u32_e32 vcc_lo, 0x7f800000, v3
                                        ; implicit-def: $vgpr3
	s_and_saveexec_b32 s3, vcc_lo
	s_xor_b32 s3, exec_lo, s3
; %bb.87:
	v_bfe_u32 v3, v67, 16, 1
	s_delay_alu instid0(VALU_DEP_1)
	v_add3_u32 v3, v67, v3, 0x7fff
; %bb.88:
	s_and_not1_saveexec_b32 s3, s3
; %bb.89:
	v_and_b32_e32 v3, 0xffff, v67
	v_or_b32_e32 v4, 0x10000, v67
	s_delay_alu instid0(VALU_DEP_2) | instskip(NEXT) | instid1(VALU_DEP_2)
	v_cmp_eq_u32_e32 vcc_lo, 0, v3
	v_cndmask_b32_e32 v3, v4, v67, vcc_lo
; %bb.90:
	s_or_b32 exec_lo, exec_lo, s3
	v_and_b32_e32 v4, 0x7f800000, v68
	s_delay_alu instid0(VALU_DEP_1) | instskip(SKIP_1) | instid1(SALU_CYCLE_1)
	v_cmp_ne_u32_e32 vcc_lo, 0x7f800000, v4
                                        ; implicit-def: $vgpr4
	s_and_saveexec_b32 s3, vcc_lo
	s_xor_b32 s3, exec_lo, s3
; %bb.91:
	v_bfe_u32 v4, v68, 16, 1
	s_delay_alu instid0(VALU_DEP_1)
	v_add3_u32 v4, v68, v4, 0x7fff
; %bb.92:
	s_and_not1_saveexec_b32 s3, s3
; %bb.93:
	v_and_b32_e32 v4, 0xffff, v68
	v_or_b32_e32 v5, 0x10000, v68
	s_delay_alu instid0(VALU_DEP_2) | instskip(NEXT) | instid1(VALU_DEP_2)
	v_cmp_eq_u32_e32 vcc_lo, 0, v4
	v_cndmask_b32_e32 v4, v5, v68, vcc_lo
; %bb.94:
	s_or_b32 exec_lo, exec_lo, s3
	v_and_b32_e32 v5, 0x7f800000, v69
	s_delay_alu instid0(VALU_DEP_1) | instskip(SKIP_1) | instid1(SALU_CYCLE_1)
	v_cmp_ne_u32_e32 vcc_lo, 0x7f800000, v5
                                        ; implicit-def: $vgpr5
	s_and_saveexec_b32 s3, vcc_lo
	s_xor_b32 s3, exec_lo, s3
; %bb.95:
	v_bfe_u32 v5, v69, 16, 1
	s_delay_alu instid0(VALU_DEP_1)
	v_add3_u32 v5, v69, v5, 0x7fff
; %bb.96:
	s_and_not1_saveexec_b32 s3, s3
; %bb.97:
	v_and_b32_e32 v5, 0xffff, v69
	v_or_b32_e32 v6, 0x10000, v69
	s_delay_alu instid0(VALU_DEP_2) | instskip(NEXT) | instid1(VALU_DEP_2)
	v_cmp_eq_u32_e32 vcc_lo, 0, v5
	v_cndmask_b32_e32 v5, v6, v69, vcc_lo
; %bb.98:
	s_or_b32 exec_lo, exec_lo, s3
	v_and_b32_e32 v6, 0x7f800000, v70
	s_delay_alu instid0(VALU_DEP_1) | instskip(SKIP_1) | instid1(SALU_CYCLE_1)
	v_cmp_ne_u32_e32 vcc_lo, 0x7f800000, v6
                                        ; implicit-def: $vgpr6
	s_and_saveexec_b32 s3, vcc_lo
	s_xor_b32 s3, exec_lo, s3
; %bb.99:
	v_bfe_u32 v6, v70, 16, 1
	s_delay_alu instid0(VALU_DEP_1)
	v_add3_u32 v6, v70, v6, 0x7fff
; %bb.100:
	s_and_not1_saveexec_b32 s3, s3
; %bb.101:
	v_and_b32_e32 v6, 0xffff, v70
	v_or_b32_e32 v7, 0x10000, v70
	s_delay_alu instid0(VALU_DEP_2) | instskip(NEXT) | instid1(VALU_DEP_2)
	v_cmp_eq_u32_e32 vcc_lo, 0, v6
	v_cndmask_b32_e32 v6, v7, v70, vcc_lo
; %bb.102:
	s_or_b32 exec_lo, exec_lo, s3
	v_and_b32_e32 v7, 0x7f800000, v71
	s_delay_alu instid0(VALU_DEP_1) | instskip(SKIP_1) | instid1(SALU_CYCLE_1)
	v_cmp_ne_u32_e32 vcc_lo, 0x7f800000, v7
                                        ; implicit-def: $vgpr7
	s_and_saveexec_b32 s3, vcc_lo
	s_xor_b32 s3, exec_lo, s3
; %bb.103:
	v_bfe_u32 v7, v71, 16, 1
	s_delay_alu instid0(VALU_DEP_1)
	v_add3_u32 v7, v71, v7, 0x7fff
; %bb.104:
	s_and_not1_saveexec_b32 s3, s3
; %bb.105:
	v_and_b32_e32 v7, 0xffff, v71
	v_or_b32_e32 v8, 0x10000, v71
	s_delay_alu instid0(VALU_DEP_2) | instskip(NEXT) | instid1(VALU_DEP_2)
	v_cmp_eq_u32_e32 vcc_lo, 0, v7
	v_cndmask_b32_e32 v7, v8, v71, vcc_lo
; %bb.106:
	s_or_b32 exec_lo, exec_lo, s3
	v_and_b32_e32 v8, 0x7f800000, v72
	s_delay_alu instid0(VALU_DEP_1) | instskip(SKIP_1) | instid1(SALU_CYCLE_1)
	v_cmp_ne_u32_e32 vcc_lo, 0x7f800000, v8
                                        ; implicit-def: $vgpr8
	s_and_saveexec_b32 s3, vcc_lo
	s_xor_b32 s3, exec_lo, s3
; %bb.107:
	v_bfe_u32 v8, v72, 16, 1
	s_delay_alu instid0(VALU_DEP_1)
	v_add3_u32 v8, v72, v8, 0x7fff
                                        ; implicit-def: $vgpr65_vgpr66_vgpr67_vgpr68_vgpr69_vgpr70_vgpr71_vgpr72
; %bb.108:
	s_and_not1_saveexec_b32 s3, s3
; %bb.109:
	v_and_b32_e32 v8, 0xffff, v72
	v_or_b32_e32 v9, 0x10000, v72
	s_delay_alu instid0(VALU_DEP_2) | instskip(NEXT) | instid1(VALU_DEP_2)
	v_cmp_eq_u32_e32 vcc_lo, 0, v8
	v_cndmask_b32_e32 v8, v9, v72, vcc_lo
; %bb.110:
	s_or_b32 exec_lo, exec_lo, s3
	s_delay_alu instid0(VALU_DEP_1)
	v_perm_b32 v7, v8, v7, 0x7060302
	v_perm_b32 v6, v6, v5, 0x7060302
	;; [unrolled: 1-line block ×4, first 2 shown]
	s_barrier
	buffer_gl0_inv
	v_cmp_eq_u32_e32 vcc_lo, 1, v78
	ds_store_b128 v76, v[4:7]
	s_waitcnt lgkmcnt(0)
	s_barrier
	buffer_gl0_inv
	ds_load_b128 v[1:4], v82
	ds_load_b128 v[5:8], v82 offset:16
	v_cmp_eq_u32_e64 s3, 1, v79
	v_cmp_eq_u32_e64 s4, 2, v78
	;; [unrolled: 1-line block ×5, first 2 shown]
	s_waitcnt lgkmcnt(1)
	v_lshrrev_b32_e32 v9, 16, v1
	s_waitcnt lgkmcnt(0)
	v_lshrrev_b32_e32 v13, 16, v5
	v_lshrrev_b32_e32 v10, 16, v2
	;; [unrolled: 1-line block ×4, first 2 shown]
	v_cndmask_b32_e64 v19, v1, v9, s3
	v_cndmask_b32_e32 v18, v5, v13, vcc_lo
	v_cndmask_b32_e64 v20, v5, v13, s3
	v_cndmask_b32_e32 v17, v1, v9, vcc_lo
	v_cmp_eq_u32_e32 vcc_lo, 2, v79
	v_lshrrev_b32_e32 v15, 16, v7
	v_cmp_eq_u32_e64 s3, 1, v77
	v_lshrrev_b32_e32 v12, 16, v4
	v_lshrrev_b32_e32 v16, 16, v8
	v_cndmask_b32_e32 v20, v20, v6, vcc_lo
	v_cndmask_b32_e64 v17, v17, v2, s4
	v_cndmask_b32_e32 v19, v19, v2, vcc_lo
	v_cndmask_b32_e64 v18, v18, v6, s4
	v_cmp_eq_u32_e32 vcc_lo, 4, v78
	v_cmp_eq_u32_e64 s4, 3, v79
	v_cndmask_b32_e64 v17, v17, v10, s5
	v_cndmask_b32_e64 v21, v1, v9, s3
	;; [unrolled: 1-line block ×5, first 2 shown]
	v_cndmask_b32_e32 v17, v17, v3, vcc_lo
	v_cndmask_b32_e64 v20, v20, v14, s4
	v_cndmask_b32_e32 v18, v18, v7, vcc_lo
	v_cmp_eq_u32_e32 vcc_lo, 4, v79
	v_cmp_eq_u32_e64 s4, 5, v79
	v_cmp_eq_u32_e64 s3, 2, v81
	v_cndmask_b32_e64 v21, v21, v2, s7
	v_cmp_eq_u32_e64 s5, 5, v78
	v_cndmask_b32_e32 v19, v19, v3, vcc_lo
	v_cndmask_b32_e32 v20, v20, v7, vcc_lo
	v_cmp_eq_u32_e32 vcc_lo, 6, v79
	s_delay_alu instid0(VALU_DEP_4) | instskip(NEXT) | instid1(VALU_DEP_4)
	v_cndmask_b32_e64 v17, v17, v11, s5
	v_cndmask_b32_e64 v19, v19, v11, s4
	s_delay_alu instid0(VALU_DEP_4) | instskip(SKIP_1) | instid1(VALU_DEP_3)
	v_cndmask_b32_e64 v20, v20, v15, s4
	v_cmp_eq_u32_e64 s4, 1, v81
	v_cndmask_b32_e32 v19, v19, v4, vcc_lo
	v_cndmask_b32_e64 v18, v18, v15, s5
	s_delay_alu instid0(VALU_DEP_3)
	v_cndmask_b32_e64 v1, v1, v9, s4
	v_cndmask_b32_e64 v5, v5, v13, s4
	v_cmp_eq_u32_e64 s4, 3, v77
	v_cndmask_b32_e64 v13, v22, v6, s7
	v_cmp_eq_u32_e64 s7, 3, v81
	v_cndmask_b32_e64 v1, v1, v2, s3
	v_cndmask_b32_e64 v2, v5, v6, s3
	;; [unrolled: 1-line block ×3, first 2 shown]
	v_cmp_eq_u32_e64 s3, 4, v77
	v_cndmask_b32_e64 v6, v13, v14, s4
	v_cndmask_b32_e64 v1, v1, v10, s7
	v_cmp_eq_u32_e64 s4, 4, v81
	v_cndmask_b32_e64 v2, v2, v14, s7
	v_cndmask_b32_e64 v5, v9, v3, s3
	v_cmp_eq_u32_e64 s7, 5, v77
	v_cndmask_b32_e64 v6, v6, v7, s3
	v_cndmask_b32_e64 v1, v1, v3, s4
	v_cndmask_b32_e64 v2, v2, v7, s4
	v_cmp_eq_u32_e64 s3, 5, v81
	v_cmp_eq_u32_e64 s5, 6, v78
	v_cndmask_b32_e64 v5, v5, v11, s7
	v_cmp_eq_u32_e64 s4, 6, v77
	v_cndmask_b32_e64 v3, v6, v15, s7
	v_cndmask_b32_e64 v1, v1, v11, s3
	v_cmp_eq_u32_e64 s7, 6, v81
	v_cndmask_b32_e64 v2, v2, v15, s3
	v_cndmask_b32_e64 v17, v17, v4, s5
	v_cndmask_b32_e64 v18, v18, v8, s5
	v_cmp_eq_u32_e64 s5, 7, v78
	v_cndmask_b32_e64 v5, v5, v4, s4
	;; [unrolled: 4-line block ×3, first 2 shown]
	v_cmp_eq_u32_e64 s4, 7, v77
	v_cndmask_b32_e32 v4, v20, v8, vcc_lo
	v_cndmask_b32_e64 v17, v17, v12, s5
	v_cndmask_b32_e64 v19, v19, v12, s6
	;; [unrolled: 1-line block ×8, first 2 shown]
	v_cmp_gt_u32_e32 vcc_lo, 32, v0
	v_perm_b32 v4, v2, v1, 0x5040100
	v_perm_b32 v3, v3, v5, 0x5040100
	;; [unrolled: 1-line block ×4, first 2 shown]
	s_and_b32 s2, vcc_lo, s2
	ds_store_b128 v76, v[1:4]
	s_waitcnt lgkmcnt(0)
	s_barrier
	buffer_gl0_inv
	s_and_saveexec_b32 s3, s2
	s_cbranch_execz .LBB1399_2
; %bb.111:
	s_load_b64 s[0:1], s[0:1], 0x68
	v_lshlrev_b32_e32 v0, 10, v0
	s_lshl_b32 s4, s34, 6
	v_or_b32_e32 v3, s31, v74
	s_mul_i32 s2, s4, s30
	v_lshlrev_b32_e32 v1, 4, v75
	v_lshlrev_b32_e32 v2, 6, v74
	v_and_b32_e32 v0, 0x3800, v0
	s_mul_i32 s2, s2, s8
	v_mul_lo_u32 v8, v3, s4
	s_ashr_i32 s3, s2, 31
	s_delay_alu instid0(SALU_CYCLE_1)
	s_lshl_b64 s[2:3], s[2:3], 1
	v_or3_b32 v16, v0, v1, v2
	ds_load_b128 v[0:3], v16
	ds_load_b128 v[4:7], v16 offset:128
	v_ashrrev_i32_e32 v9, 31, v8
	s_waitcnt lgkmcnt(0)
	s_add_u32 s2, s0, s2
	s_addc_u32 s3, s1, s3
	s_lshl_b32 s0, s14, 6
	s_delay_alu instid0(SALU_CYCLE_1) | instskip(SKIP_2) | instid1(SALU_CYCLE_1)
	s_ashr_i32 s1, s0, 31
	v_lshlrev_b64 v[9:10], 1, v[8:9]
	s_lshl_b64 s[0:1], s[0:1], 1
	s_add_u32 s0, s2, s0
	s_addc_u32 s1, s3, s1
	s_lshl_b32 s2, s34, 7
	v_add_co_u32 v30, s0, s0, v73
	v_add_nc_u32_e32 v11, s2, v8
	v_add_co_ci_u32_e64 v31, null, s1, 0, s0
	s_delay_alu instid0(VALU_DEP_3) | instskip(NEXT) | instid1(VALU_DEP_3)
	v_add_co_u32 v9, vcc_lo, v30, v9
	v_add_nc_u32_e32 v8, s2, v11
	s_delay_alu instid0(VALU_DEP_3) | instskip(SKIP_1) | instid1(VALU_DEP_3)
	v_add_co_ci_u32_e32 v10, vcc_lo, v31, v10, vcc_lo
	v_ashrrev_i32_e32 v12, 31, v11
	v_add_nc_u32_e32 v13, s2, v8
	global_store_b128 v[9:10], v[0:3], off
	v_ashrrev_i32_e32 v9, 31, v8
	v_lshlrev_b64 v[11:12], 1, v[11:12]
	v_ashrrev_i32_e32 v14, 31, v13
	v_add_nc_u32_e32 v10, s2, v13
	s_delay_alu instid0(VALU_DEP_4) | instskip(NEXT) | instid1(VALU_DEP_4)
	v_lshlrev_b64 v[2:3], 1, v[8:9]
	v_add_co_u32 v0, vcc_lo, v30, v11
	s_delay_alu instid0(VALU_DEP_4)
	v_lshlrev_b64 v[8:9], 1, v[13:14]
	v_add_co_ci_u32_e32 v1, vcc_lo, v31, v12, vcc_lo
	v_ashrrev_i32_e32 v11, 31, v10
	v_add_co_u32 v22, vcc_lo, v30, v2
	v_add_nc_u32_e32 v20, s2, v10
	v_add_co_ci_u32_e32 v23, vcc_lo, v31, v3, vcc_lo
	v_add_co_u32 v24, vcc_lo, v30, v8
	global_store_b128 v[0:1], v[4:7], off
	v_add_co_ci_u32_e32 v25, vcc_lo, v31, v9, vcc_lo
	ds_load_b128 v[0:3], v16 offset:256
	ds_load_b128 v[4:7], v16 offset:384
	v_lshlrev_b64 v[26:27], 1, v[10:11]
	ds_load_b128 v[8:11], v16 offset:512
	ds_load_b128 v[12:15], v16 offset:640
	ds_load_b128 v[16:19], v16 offset:768
	v_add_nc_u32_e32 v28, s2, v20
	v_ashrrev_i32_e32 v21, 31, v20
	v_add_co_u32 v26, vcc_lo, v30, v26
	s_delay_alu instid0(VALU_DEP_3) | instskip(NEXT) | instid1(VALU_DEP_3)
	v_ashrrev_i32_e32 v29, 31, v28
	v_lshlrev_b64 v[20:21], 1, v[20:21]
	v_add_co_ci_u32_e32 v27, vcc_lo, v31, v27, vcc_lo
	s_delay_alu instid0(VALU_DEP_3) | instskip(NEXT) | instid1(VALU_DEP_3)
	v_lshlrev_b64 v[28:29], 1, v[28:29]
	v_add_co_u32 v20, vcc_lo, v30, v20
	s_delay_alu instid0(VALU_DEP_4) | instskip(NEXT) | instid1(VALU_DEP_3)
	v_add_co_ci_u32_e32 v21, vcc_lo, v31, v21, vcc_lo
	v_add_co_u32 v28, vcc_lo, v30, v28
	s_delay_alu instid0(VALU_DEP_4)
	v_add_co_ci_u32_e32 v29, vcc_lo, v31, v29, vcc_lo
	s_waitcnt lgkmcnt(4)
	global_store_b128 v[22:23], v[0:3], off
	s_waitcnt lgkmcnt(3)
	global_store_b128 v[24:25], v[4:7], off
	;; [unrolled: 2-line block ×5, first 2 shown]
	s_nop 0
	s_sendmsg sendmsg(MSG_DEALLOC_VGPRS)
	s_endpgm
	.section	.rodata,"a",@progbits
	.p2align	6, 0x0
	.amdhsa_kernel _Z39paged_attention_ll4mi_QKV_mfma16_kernelI14__hip_bfloat16hLN4vllm18Fp8KVCacheDataTypeE1ES0_Li16ELi64ELi256ELb1ELi14EL8MFMAType1EEvPKT_PKT0_S9_ifPKiSB_SB_iPKfiiiPfSE_PS4_PT2_iSD_SD_
		.amdhsa_group_segment_fixed_size 17472
		.amdhsa_private_segment_fixed_size 0
		.amdhsa_kernarg_size 400
		.amdhsa_user_sgpr_count 13
		.amdhsa_user_sgpr_dispatch_ptr 0
		.amdhsa_user_sgpr_queue_ptr 0
		.amdhsa_user_sgpr_kernarg_segment_ptr 1
		.amdhsa_user_sgpr_dispatch_id 0
		.amdhsa_user_sgpr_private_segment_size 0
		.amdhsa_wavefront_size32 1
		.amdhsa_uses_dynamic_stack 0
		.amdhsa_enable_private_segment 0
		.amdhsa_system_sgpr_workgroup_id_x 1
		.amdhsa_system_sgpr_workgroup_id_y 1
		.amdhsa_system_sgpr_workgroup_id_z 1
		.amdhsa_system_sgpr_workgroup_info 0
		.amdhsa_system_vgpr_workitem_id 0
		.amdhsa_next_free_vgpr 124
		.amdhsa_next_free_sgpr 38
		.amdhsa_reserve_vcc 1
		.amdhsa_float_round_mode_32 0
		.amdhsa_float_round_mode_16_64 0
		.amdhsa_float_denorm_mode_32 3
		.amdhsa_float_denorm_mode_16_64 3
		.amdhsa_dx10_clamp 1
		.amdhsa_ieee_mode 1
		.amdhsa_fp16_overflow 0
		.amdhsa_workgroup_processor_mode 1
		.amdhsa_memory_ordered 1
		.amdhsa_forward_progress 0
		.amdhsa_shared_vgpr_count 0
		.amdhsa_exception_fp_ieee_invalid_op 0
		.amdhsa_exception_fp_denorm_src 0
		.amdhsa_exception_fp_ieee_div_zero 0
		.amdhsa_exception_fp_ieee_overflow 0
		.amdhsa_exception_fp_ieee_underflow 0
		.amdhsa_exception_fp_ieee_inexact 0
		.amdhsa_exception_int_div_zero 0
	.end_amdhsa_kernel
	.section	.text._Z39paged_attention_ll4mi_QKV_mfma16_kernelI14__hip_bfloat16hLN4vllm18Fp8KVCacheDataTypeE1ES0_Li16ELi64ELi256ELb1ELi14EL8MFMAType1EEvPKT_PKT0_S9_ifPKiSB_SB_iPKfiiiPfSE_PS4_PT2_iSD_SD_,"axG",@progbits,_Z39paged_attention_ll4mi_QKV_mfma16_kernelI14__hip_bfloat16hLN4vllm18Fp8KVCacheDataTypeE1ES0_Li16ELi64ELi256ELb1ELi14EL8MFMAType1EEvPKT_PKT0_S9_ifPKiSB_SB_iPKfiiiPfSE_PS4_PT2_iSD_SD_,comdat
.Lfunc_end1399:
	.size	_Z39paged_attention_ll4mi_QKV_mfma16_kernelI14__hip_bfloat16hLN4vllm18Fp8KVCacheDataTypeE1ES0_Li16ELi64ELi256ELb1ELi14EL8MFMAType1EEvPKT_PKT0_S9_ifPKiSB_SB_iPKfiiiPfSE_PS4_PT2_iSD_SD_, .Lfunc_end1399-_Z39paged_attention_ll4mi_QKV_mfma16_kernelI14__hip_bfloat16hLN4vllm18Fp8KVCacheDataTypeE1ES0_Li16ELi64ELi256ELb1ELi14EL8MFMAType1EEvPKT_PKT0_S9_ifPKiSB_SB_iPKfiiiPfSE_PS4_PT2_iSD_SD_
                                        ; -- End function
	.section	.AMDGPU.csdata,"",@progbits
; Kernel info:
; codeLenInByte = 8860
; NumSgprs: 40
; NumVgprs: 124
; ScratchSize: 0
; MemoryBound: 0
; FloatMode: 240
; IeeeMode: 1
; LDSByteSize: 17472 bytes/workgroup (compile time only)
; SGPRBlocks: 4
; VGPRBlocks: 15
; NumSGPRsForWavesPerEU: 40
; NumVGPRsForWavesPerEU: 124
; Occupancy: 10
; WaveLimiterHint : 1
; COMPUTE_PGM_RSRC2:SCRATCH_EN: 0
; COMPUTE_PGM_RSRC2:USER_SGPR: 13
; COMPUTE_PGM_RSRC2:TRAP_HANDLER: 0
; COMPUTE_PGM_RSRC2:TGID_X_EN: 1
; COMPUTE_PGM_RSRC2:TGID_Y_EN: 1
; COMPUTE_PGM_RSRC2:TGID_Z_EN: 1
; COMPUTE_PGM_RSRC2:TIDIG_COMP_CNT: 0
	.section	.text._Z39paged_attention_ll4mi_QKV_mfma16_kernelI14__hip_bfloat16hLN4vllm18Fp8KVCacheDataTypeE1ES0_Li16ELi64ELi256ELb1ELi15EL8MFMAType1EEvPKT_PKT0_S9_ifPKiSB_SB_iPKfiiiPfSE_PS4_PT2_iSD_SD_,"axG",@progbits,_Z39paged_attention_ll4mi_QKV_mfma16_kernelI14__hip_bfloat16hLN4vllm18Fp8KVCacheDataTypeE1ES0_Li16ELi64ELi256ELb1ELi15EL8MFMAType1EEvPKT_PKT0_S9_ifPKiSB_SB_iPKfiiiPfSE_PS4_PT2_iSD_SD_,comdat
	.protected	_Z39paged_attention_ll4mi_QKV_mfma16_kernelI14__hip_bfloat16hLN4vllm18Fp8KVCacheDataTypeE1ES0_Li16ELi64ELi256ELb1ELi15EL8MFMAType1EEvPKT_PKT0_S9_ifPKiSB_SB_iPKfiiiPfSE_PS4_PT2_iSD_SD_ ; -- Begin function _Z39paged_attention_ll4mi_QKV_mfma16_kernelI14__hip_bfloat16hLN4vllm18Fp8KVCacheDataTypeE1ES0_Li16ELi64ELi256ELb1ELi15EL8MFMAType1EEvPKT_PKT0_S9_ifPKiSB_SB_iPKfiiiPfSE_PS4_PT2_iSD_SD_
	.globl	_Z39paged_attention_ll4mi_QKV_mfma16_kernelI14__hip_bfloat16hLN4vllm18Fp8KVCacheDataTypeE1ES0_Li16ELi64ELi256ELb1ELi15EL8MFMAType1EEvPKT_PKT0_S9_ifPKiSB_SB_iPKfiiiPfSE_PS4_PT2_iSD_SD_
	.p2align	8
	.type	_Z39paged_attention_ll4mi_QKV_mfma16_kernelI14__hip_bfloat16hLN4vllm18Fp8KVCacheDataTypeE1ES0_Li16ELi64ELi256ELb1ELi15EL8MFMAType1EEvPKT_PKT0_S9_ifPKiSB_SB_iPKfiiiPfSE_PS4_PT2_iSD_SD_,@function
_Z39paged_attention_ll4mi_QKV_mfma16_kernelI14__hip_bfloat16hLN4vllm18Fp8KVCacheDataTypeE1ES0_Li16ELi64ELi256ELb1ELi15EL8MFMAType1EEvPKT_PKT0_S9_ifPKiSB_SB_iPKfiiiPfSE_PS4_PT2_iSD_SD_: ; @_Z39paged_attention_ll4mi_QKV_mfma16_kernelI14__hip_bfloat16hLN4vllm18Fp8KVCacheDataTypeE1ES0_Li16ELi64ELi256ELb1ELi15EL8MFMAType1EEvPKT_PKT0_S9_ifPKiSB_SB_iPKfiiiPfSE_PS4_PT2_iSD_SD_
; %bb.0:
	s_load_b64 s[2:3], s[0:1], 0x30
	s_mov_b32 s34, s13
	s_waitcnt lgkmcnt(0)
	s_cmp_lg_u64 s[2:3], 0
	s_cselect_b32 s8, -1, 0
	s_ashr_i32 s35, s13, 31
	s_cmp_eq_u64 s[2:3], 0
	s_cbranch_scc1 .LBB1400_3
; %bb.1:
	s_lshl_b64 s[4:5], s[34:35], 2
	s_delay_alu instid0(SALU_CYCLE_1) | instskip(SKIP_4) | instid1(SALU_CYCLE_1)
	s_add_u32 s4, s2, s4
	s_addc_u32 s5, s3, s5
	s_load_b64 s[4:5], s[4:5], 0x0
	s_waitcnt lgkmcnt(0)
	s_sub_i32 s4, s5, s4
	s_cmp_eq_u32 s4, 1
	s_cselect_b32 s4, -1, 0
	s_delay_alu instid0(SALU_CYCLE_1)
	s_and_not1_b32 vcc_lo, exec_lo, s4
	s_cbranch_vccz .LBB1400_4
.LBB1400_2:
	s_nop 0
	s_sendmsg sendmsg(MSG_DEALLOC_VGPRS)
	s_endpgm
.LBB1400_3:
.LBB1400_4:
	s_load_b64 s[4:5], s[0:1], 0x28
	s_lshl_b64 s[6:7], s[34:35], 2
	s_waitcnt lgkmcnt(0)
	s_add_u32 s4, s4, s6
	s_addc_u32 s5, s5, s7
	s_lshl_b32 s12, s14, 8
	s_load_b32 s24, s[4:5], 0x0
	s_waitcnt lgkmcnt(0)
	s_cmp_ge_i32 s12, s24
	s_cbranch_scc1 .LBB1400_2
; %bb.5:
	s_clause 0x1
	s_load_b128 s[20:23], s[0:1], 0x8
	s_load_b64 s[4:5], s[0:1], 0x20
	s_and_not1_b32 vcc_lo, exec_lo, s8
	s_cbranch_vccnz .LBB1400_7
; %bb.6:
	s_add_u32 s2, s2, s6
	s_addc_u32 s3, s3, s7
	s_load_b32 s3, s[2:3], 0x0
	s_branch .LBB1400_8
.LBB1400_7:
	s_mov_b32 s3, s34
.LBB1400_8:
	s_load_b128 s[16:19], s[0:1], 0x48
	v_lshrrev_b32_e32 v66, 5, v0
	v_bfe_u32 v74, v0, 4, 1
	v_and_b32_e32 v65, 15, v0
	v_and_b32_e32 v67, 31, v0
	;; [unrolled: 1-line block ×3, first 2 shown]
	s_mul_i32 s31, s15, 15
	v_lshl_or_b32 v1, v66, 1, v74
	v_lshlrev_b32_e32 v2, 3, v65
	v_cmp_gt_u32_e64 s2, 8, v65
	s_delay_alu instid0(VALU_DEP_3) | instskip(NEXT) | instid1(VALU_DEP_3)
	v_cmp_gt_u32_e32 vcc_lo, 15, v1
	v_lshlrev_b32_e32 v73, 1, v2
	s_delay_alu instid0(VALU_DEP_3) | instskip(NEXT) | instid1(SALU_CYCLE_1)
	s_and_b32 s7, s2, vcc_lo
	s_and_saveexec_b32 s6, s7
	s_cbranch_execz .LBB1400_10
; %bb.9:
	s_load_b64 s[8:9], s[0:1], 0x0
	v_add_lshl_u32 v2, v1, s31, 6
	s_waitcnt lgkmcnt(0)
	s_mul_hi_i32 s11, s3, s16
	s_mul_i32 s10, s3, s16
	v_lshlrev_b32_e32 v6, 10, v65
	s_lshl_b64 s[10:11], s[10:11], 1
	v_ashrrev_i32_e32 v3, 31, v2
	v_lshlrev_b32_e32 v1, 6, v1
	v_lshlrev_b32_e32 v7, 10, v75
	v_and_b32_e32 v6, 0x3800, v6
	s_delay_alu instid0(VALU_DEP_4) | instskip(NEXT) | instid1(VALU_DEP_2)
	v_lshlrev_b64 v[2:3], 1, v[2:3]
	v_or3_b32 v1, v6, v7, v1
	s_add_u32 s3, s8, s10
	s_addc_u32 s7, s9, s11
	s_delay_alu instid0(VALU_DEP_2) | instskip(NEXT) | instid1(VALU_DEP_3)
	v_add_co_u32 v2, vcc_lo, s3, v2
	v_add_co_ci_u32_e32 v3, vcc_lo, s7, v3, vcc_lo
	s_delay_alu instid0(VALU_DEP_2) | instskip(NEXT) | instid1(VALU_DEP_2)
	v_add_co_u32 v2, vcc_lo, v2, v73
	v_add_co_ci_u32_e32 v3, vcc_lo, 0, v3, vcc_lo
	global_load_b128 v[2:5], v[2:3], off
	s_waitcnt vmcnt(0)
	ds_store_b128 v1, v[2:5]
.LBB1400_10:
	s_or_b32 exec_lo, exec_lo, s6
	v_and_b32_e32 v1, 0xef, v0
	s_waitcnt lgkmcnt(0)
	s_add_i32 s3, s24, 15
	s_clause 0x1
	s_load_b32 s6, s[0:1], 0x38
	s_load_b32 s19, s[0:1], 0x1c
	s_ashr_i32 s7, s3, 31
	v_add_nc_u32_e32 v1, s12, v1
	s_lshr_b32 s7, s7, 28
	s_waitcnt lgkmcnt(0)
	s_add_i32 s3, s3, s7
	s_barrier
	v_ashrrev_i32_e32 v2, 31, v1
	v_or_b32_e32 v3, 16, v1
	s_ashr_i32 s3, s3, 4
	v_cmp_gt_i32_e32 vcc_lo, s24, v1
	s_add_i32 s3, s3, -1
	v_lshrrev_b32_e32 v2, 28, v2
	buffer_gl0_inv
	s_mul_i32 s27, s15, s18
	v_add_nc_u32_e32 v4, v1, v2
	s_mul_i32 s6, s34, s6
	s_delay_alu instid0(SALU_CYCLE_1) | instskip(NEXT) | instid1(VALU_DEP_1)
	s_ashr_i32 s7, s6, 31
	v_ashrrev_i32_e32 v4, 4, v4
	v_add_nc_u32_e32 v2, v3, v2
	s_lshl_b64 s[6:7], s[6:7], 2
	s_delay_alu instid0(SALU_CYCLE_1) | instskip(NEXT) | instid1(VALU_DEP_2)
	s_add_u32 s26, s4, s6
	v_cndmask_b32_e32 v1, s3, v4, vcc_lo
	s_delay_alu instid0(VALU_DEP_2)
	v_ashrrev_i32_e32 v2, 4, v2
	v_cmp_gt_i32_e32 vcc_lo, s24, v3
	s_addc_u32 s25, s5, s7
	s_ashr_i32 s28, s27, 31
	s_add_u32 s13, s20, s27
	s_addc_u32 s15, s21, s28
	v_cndmask_b32_e32 v3, s3, v2, vcc_lo
	v_ashrrev_i32_e32 v2, 31, v1
	s_lshl_b32 s4, s14, 4
	s_delay_alu instid0(SALU_CYCLE_1) | instskip(NEXT) | instid1(VALU_DEP_2)
	s_ashr_i32 s5, s4, 31
	v_ashrrev_i32_e32 v4, 31, v3
	s_delay_alu instid0(VALU_DEP_2) | instskip(SKIP_1) | instid1(SALU_CYCLE_1)
	v_lshlrev_b64 v[1:2], 2, v[1:2]
	s_lshl_b64 s[4:5], s[4:5], 2
	s_add_u32 s4, s26, s4
	s_delay_alu instid0(VALU_DEP_2) | instskip(SKIP_1) | instid1(VALU_DEP_2)
	v_lshlrev_b64 v[3:4], 2, v[3:4]
	s_addc_u32 s5, s25, s5
	v_add_co_u32 v1, vcc_lo, s26, v1
	v_add_co_ci_u32_e32 v2, vcc_lo, s25, v2, vcc_lo
	s_delay_alu instid0(VALU_DEP_3) | instskip(NEXT) | instid1(VALU_DEP_4)
	v_add_co_u32 v3, vcc_lo, s26, v3
	v_add_co_ci_u32_e32 v4, vcc_lo, s25, v4, vcc_lo
	s_clause 0x1
	global_load_b32 v5, v[1:2], off
	global_load_b32 v7, v[3:4], off
	s_or_b32 s6, s12, 32
	v_lshlrev_b32_e32 v1, 4, v0
	s_ashr_i32 s7, s6, 4
	s_cmp_lt_i32 s6, s24
	v_cmp_ne_u32_e32 vcc_lo, 15, v65
	s_cselect_b32 s6, s7, s3
	v_and_b32_e32 v1, 0xf0, v1
	s_ashr_i32 s7, s6, 31
	s_delay_alu instid0(SALU_CYCLE_1) | instskip(NEXT) | instid1(SALU_CYCLE_1)
	s_lshl_b64 s[6:7], s[6:7], 2
	s_add_u32 s6, s26, s6
	s_addc_u32 s7, s25, s7
	s_or_b32 s8, s12, 64
	v_add_co_u32 v1, s13, s13, v1
	s_ashr_i32 s9, s8, 4
	s_cmp_lt_i32 s8, s24
	v_add_co_ci_u32_e64 v2, null, s15, 0, s13
	s_cselect_b32 s8, s9, s3
	s_delay_alu instid0(SALU_CYCLE_1) | instskip(NEXT) | instid1(SALU_CYCLE_1)
	s_ashr_i32 s9, s8, 31
	s_lshl_b64 s[8:9], s[8:9], 2
	s_delay_alu instid0(SALU_CYCLE_1) | instskip(SKIP_2) | instid1(SALU_CYCLE_1)
	s_add_u32 s8, s26, s8
	s_addc_u32 s9, s25, s9
	s_or_b32 s10, s12, 0x60
	s_ashr_i32 s11, s10, 4
	s_cmp_lt_i32 s10, s24
	s_cselect_b32 s10, s11, s3
	s_delay_alu instid0(SALU_CYCLE_1) | instskip(NEXT) | instid1(SALU_CYCLE_1)
	s_ashr_i32 s11, s10, 31
	s_lshl_b64 s[10:11], s[10:11], 2
	s_delay_alu instid0(SALU_CYCLE_1) | instskip(SKIP_2) | instid1(SALU_CYCLE_1)
	s_add_u32 s10, s26, s10
	s_addc_u32 s11, s25, s11
	s_or_b32 s16, s12, 0x80
	s_ashr_i32 s18, s16, 4
	s_cmp_lt_i32 s16, s24
	;; [unrolled: 10-line block ×3, first 2 shown]
	s_cselect_b32 s20, s18, s3
	s_delay_alu instid0(SALU_CYCLE_1) | instskip(NEXT) | instid1(SALU_CYCLE_1)
	s_ashr_i32 s21, s20, 31
	s_lshl_b64 s[20:21], s[20:21], 2
	s_delay_alu instid0(SALU_CYCLE_1)
	s_add_u32 s38, s26, s20
	s_addc_u32 s39, s25, s21
	s_clause 0x5
	s_load_b32 s21, s[4:5], 0x0
	s_load_b32 s13, s[6:7], 0x0
	;; [unrolled: 1-line block ×6, first 2 shown]
	s_or_b32 s7, s12, 0xc0
	s_mov_b32 s4, 0
	s_ashr_i32 s8, s7, 4
	s_cmp_lt_i32 s7, s24
	s_mov_b32 s5, s4
	s_cselect_b32 s10, s8, s3
	s_mov_b32 s6, s4
	s_ashr_i32 s11, s10, 31
	s_mov_b32 s7, s4
	s_lshl_b64 s[36:37], s[10:11], 2
	s_mov_b32 s11, s4
	s_add_u32 s36, s26, s36
	s_addc_u32 s37, s25, s37
	s_or_b32 s29, s12, 0xe0
	s_mov_b32 s8, s4
	s_ashr_i32 s30, s29, 4
	s_mov_b32 s9, s4
	s_mov_b32 s10, s4
	s_cmp_lt_i32 s29, s24
	s_waitcnt vmcnt(1)
	v_mad_i64_i32 v[3:4], null, v5, s17, v[1:2]
	s_waitcnt vmcnt(0)
	v_mad_i64_i32 v[5:6], null, v7, s17, v[1:2]
	v_cndmask_b32_e32 v1, 0, v65, vcc_lo
	v_mov_b32_e32 v107, s11
	s_clause 0x7
	global_load_b128 v[49:52], v[3:4], off
	global_load_b128 v[53:56], v[3:4], off offset:256
	global_load_b128 v[76:79], v[5:6], off
	global_load_b128 v[80:83], v[5:6], off offset:256
	global_load_b128 v[84:87], v[3:4], off offset:512
	;; [unrolled: 1-line block ×5, first 2 shown]
	v_lshlrev_b32_e32 v70, 6, v1
	v_dual_mov_b32 v106, s10 :: v_dual_mov_b32 v105, s9
	v_dual_mov_b32 v104, s8 :: v_dual_mov_b32 v103, s7
	;; [unrolled: 1-line block ×3, first 2 shown]
	v_mov_b32_e32 v100, s4
	s_cselect_b32 s4, s30, s3
	v_lshlrev_b32_e32 v2, 4, v65
	s_ashr_i32 s5, s4, 31
	s_load_b32 s3, s[36:37], 0x0
	s_lshl_b64 s[4:5], s[4:5], 2
	ds_load_b128 v[108:111], v70
	ds_load_b128 v[112:115], v70 offset:1024
	s_add_u32 s4, s26, s4
	s_addc_u32 s5, s25, s5
	v_lshl_or_b32 v1, v66, 8, v2
	s_load_b32 s4, s[4:5], 0x0
	s_add_u32 s6, s22, s27
	s_addc_u32 s7, s23, s28
	s_delay_alu instid0(VALU_DEP_1) | instskip(NEXT) | instid1(VALU_DEP_1)
	v_add_co_u32 v9, s6, s6, v1
	v_add_co_ci_u32_e64 v10, null, s7, 0, s6
	s_waitcnt lgkmcnt(0)
	s_delay_alu instid0(VALU_DEP_1)
	v_mad_i64_i32 v[1:2], null, s21, s17, v[9:10]
	v_mad_i64_i32 v[3:4], null, s13, s17, v[9:10]
	v_mad_i64_i32 v[5:6], null, s15, s17, v[9:10]
	v_mad_i64_i32 v[7:8], null, s16, s17, v[9:10]
	v_mad_i64_i32 v[13:14], null, s20, s17, v[9:10]
	v_mad_i64_i32 v[11:12], null, s18, s17, v[9:10]
	v_mad_i64_i32 v[21:22], null, s3, s17, v[9:10]
	s_clause 0x9
	global_load_b128 v[57:60], v[1:2], off
	global_load_b128 v[61:64], v[1:2], off offset:16
	global_load_b128 v[41:44], v[3:4], off
	global_load_b128 v[45:48], v[3:4], off offset:16
	;; [unrolled: 2-line block ×5, first 2 shown]
	v_mad_i64_i32 v[68:69], null, s4, s17, v[9:10]
	s_clause 0x3
	global_load_b128 v[9:12], v[13:14], off
	global_load_b128 v[13:16], v[13:14], off offset:16
	global_load_b128 v[17:20], v[21:22], off
	global_load_b128 v[21:24], v[21:22], off offset:16
	s_waitcnt vmcnt(20)
	v_wmma_f32_16x16x16_bf16 v[116:123], v[49:56], v[108:115], v[100:107]
	s_clause 0x1
	global_load_b128 v[49:52], v[68:69], off
	global_load_b128 v[53:56], v[68:69], off offset:16
	v_and_b32_e32 v68, 0xe0, v0
	v_mbcnt_lo_u32_b32 v69, -1, 0
	s_delay_alu instid0(VALU_DEP_2)
	v_add_nc_u32_e32 v68, s12, v68
	s_waitcnt vmcnt(20)
	v_wmma_f32_16x16x16_bf16 v[100:107], v[76:83], v[108:115], v[100:107]
	ds_load_b128 v[76:79], v70 offset:2048
	ds_load_b128 v[80:83], v70 offset:3072
	v_xor_b32_e32 v70, 16, v69
	s_waitcnt vmcnt(0) lgkmcnt(0)
	v_or_b32_e32 v68, v68, v74
	s_barrier
	buffer_gl0_inv
	v_cmp_gt_i32_e32 vcc_lo, 32, v70
	v_or_b32_e32 v71, 4, v68
	v_or_b32_e32 v72, 6, v68
	v_cmp_gt_i32_e64 s3, s24, v68
	v_or_b32_e32 v108, 8, v68
	v_or_b32_e32 v109, 10, v68
	v_cmp_gt_i32_e64 s4, s24, v71
	v_cmp_gt_i32_e64 s5, s24, v72
	s_delay_alu instid0(VALU_DEP_4) | instskip(NEXT) | instid1(VALU_DEP_4)
	v_cmp_gt_i32_e64 s6, s24, v108
	v_cmp_gt_i32_e64 s7, s24, v109
	v_wmma_f32_16x16x16_bf16 v[116:123], v[84:91], v[76:83], v[116:123]
	v_cndmask_b32_e32 v69, v69, v70, vcc_lo
	v_or_b32_e32 v70, 2, v68
	v_wmma_f32_16x16x16_bf16 v[100:107], v[92:99], v[76:83], v[100:107]
	v_or_b32_e32 v89, 22, v68
	v_dual_mul_f32 v80, s19, v121 :: v_dual_mul_f32 v81, s19, v120
	v_dual_mul_f32 v92, s19, v117 :: v_dual_mul_f32 v93, s19, v116
	s_delay_alu instid0(VALU_DEP_4)
	v_mul_f32_e32 v96, s19, v105
	v_cmp_gt_i32_e32 vcc_lo, s24, v70
	v_dual_mul_f32 v79, s19, v122 :: v_dual_mul_f32 v82, s19, v119
	v_dual_mul_f32 v83, s19, v118 :: v_dual_mul_f32 v94, s19, v107
	v_cndmask_b32_e64 v93, 0xff7fffff, v93, s3
	v_cndmask_b32_e32 v92, 0xff7fffff, v92, vcc_lo
	v_or_b32_e32 v84, 12, v68
	v_or_b32_e32 v85, 14, v68
	v_cndmask_b32_e64 v71, 0xff7fffff, v83, s4
	v_cndmask_b32_e64 v72, 0xff7fffff, v82, s5
	v_cmp_gt_i32_e64 s13, s24, v89
	v_lshlrev_b32_e32 v89, 2, v69
	v_max3_f32 v82, v93, 0xff7fffff, v92
	v_or_b32_e32 v86, 16, v68
	v_or_b32_e32 v87, 18, v68
	v_mul_f32_e32 v78, s19, v123
	v_cndmask_b32_e64 v81, 0xff7fffff, v81, s6
	v_cndmask_b32_e64 v80, 0xff7fffff, v80, s7
	v_max3_f32 v71, v82, v71, v72
	v_cmp_gt_i32_e64 s8, s24, v84
	v_cmp_gt_i32_e64 s9, s24, v85
	v_or_b32_e32 v88, 20, v68
	v_or_b32_e32 v90, 24, v68
	;; [unrolled: 1-line block ×5, first 2 shown]
	v_dual_mul_f32 v97, s19, v104 :: v_dual_mul_f32 v70, s19, v101
	v_dual_mul_f32 v99, s19, v102 :: v_dual_mul_f32 v68, s19, v100
	v_cndmask_b32_e64 v72, 0xff7fffff, v79, s8
	v_cndmask_b32_e64 v78, 0xff7fffff, v78, s9
	v_max3_f32 v71, v71, v81, v80
	v_cmp_gt_i32_e64 s10, s24, v86
	v_cmp_gt_i32_e64 s11, s24, v87
	v_dual_mul_f32 v95, s19, v106 :: v_dual_mul_f32 v98, s19, v103
	s_delay_alu instid0(VALU_DEP_4) | instskip(NEXT) | instid1(VALU_DEP_4)
	v_max3_f32 v71, v71, v72, v78
	v_cndmask_b32_e64 v68, 0xff7fffff, v68, s10
	s_delay_alu instid0(VALU_DEP_4)
	v_cndmask_b32_e64 v70, 0xff7fffff, v70, s11
	v_cmp_gt_i32_e64 s12, s24, v88
	v_cndmask_b32_e64 v78, 0xff7fffff, v98, s13
	v_cmp_gt_i32_e64 s15, s24, v90
	v_cmp_gt_i32_e64 s16, s24, v91
	v_max3_f32 v68, v71, v68, v70
	v_cndmask_b32_e64 v72, 0xff7fffff, v99, s12
	v_cmp_gt_i32_e64 s17, s24, v76
	v_cndmask_b32_e64 v70, 0xff7fffff, v97, s15
	v_cndmask_b32_e64 v71, 0xff7fffff, v96, s16
	v_cmp_gt_i32_e64 s18, s24, v77
	v_max3_f32 v68, v68, v72, v78
	v_cndmask_b32_e64 v72, 0xff7fffff, v95, s17
	s_delay_alu instid0(VALU_DEP_3) | instskip(NEXT) | instid1(VALU_DEP_3)
	v_cndmask_b32_e64 v76, 0xff7fffff, v94, s18
	v_max3_f32 v68, v68, v70, v71
	s_delay_alu instid0(VALU_DEP_1) | instskip(SKIP_3) | instid1(VALU_DEP_1)
	v_max3_f32 v68, v68, v72, v76
	ds_bpermute_b32 v69, v89, v68
	s_waitcnt lgkmcnt(0)
	v_max_f32_e32 v69, v69, v69
	v_max_f32_e32 v68, v68, v69
	s_delay_alu instid0(VALU_DEP_1) | instskip(NEXT) | instid1(VALU_DEP_1)
	v_fma_f32 v71, s19, v118, -v68
	v_mul_f32_e32 v71, 0x3fb8aa3b, v71
	v_fma_f32 v70, s19, v117, -v68
	v_fma_f32 v69, s19, v116, -v68
	v_fma_f32 v76, s19, v120, -v68
	v_fma_f32 v72, s19, v119, -v68
	v_fma_f32 v78, s19, v122, -v68
	s_delay_alu instid0(VALU_DEP_4) | instskip(SKIP_1) | instid1(VALU_DEP_3)
	v_dual_mul_f32 v70, 0x3fb8aa3b, v70 :: v_dual_mul_f32 v69, 0x3fb8aa3b, v69
	v_exp_f32_e32 v71, v71
	v_mul_f32_e32 v72, 0x3fb8aa3b, v72
	v_fma_f32 v81, s19, v105, -v68
	s_delay_alu instid0(VALU_DEP_3)
	v_exp_f32_e32 v70, v70
	v_mul_f32_e32 v77, 0x3fb8aa3b, v76
	v_exp_f32_e32 v69, v69
	v_exp_f32_e32 v72, v72
	v_mul_f32_e32 v81, 0x3fb8aa3b, v81
	v_cndmask_b32_e64 v83, 0, v71, s4
	v_fma_f32 v71, s19, v123, -v68
	s_delay_alu instid0(VALU_DEP_3) | instskip(SKIP_4) | instid1(TRANS32_DEP_3)
	v_exp_f32_e32 v81, v81
	v_cndmask_b32_e32 v76, 0, v70, vcc_lo
	v_exp_f32_e32 v77, v77
	v_cndmask_b32_e64 v80, 0, v69, s3
	v_fma_f32 v69, s19, v121, -v68
	v_cndmask_b32_e64 v85, 0, v72, s5
	v_mul_f32_e32 v71, 0x3fb8aa3b, v71
	v_fma_f32 v72, s19, v100, -v68
	s_delay_alu instid0(VALU_DEP_4) | instskip(SKIP_1) | instid1(VALU_DEP_4)
	v_dual_add_f32 v70, 0, v80 :: v_dual_mul_f32 v69, 0x3fb8aa3b, v69
	v_cmp_gt_u32_e64 s3, 16, v67
	v_exp_f32_e32 v71, v71
	s_delay_alu instid0(TRANS32_DEP_2) | instskip(SKIP_4) | instid1(VALU_DEP_3)
	v_cndmask_b32_e64 v86, 0, v77, s6
	v_fma_f32 v77, s19, v101, -v68
	v_mul_f32_e32 v78, 0x3fb8aa3b, v78
	v_add_f32_e32 v70, v70, v76
	v_exp_f32_e32 v69, v69
	v_mul_f32_e32 v77, 0x3fb8aa3b, v77
	s_delay_alu instid0(VALU_DEP_3) | instskip(NEXT) | instid1(TRANS32_DEP_3)
	v_exp_f32_e32 v78, v78
	v_cndmask_b32_e64 v88, 0, v71, s9
	v_fma_f32 v71, s19, v104, -v68
	s_delay_alu instid0(VALU_DEP_3) | instskip(NEXT) | instid1(TRANS32_DEP_3)
	v_exp_f32_e32 v77, v77
	v_cndmask_b32_e64 v87, 0, v69, s7
	s_delay_alu instid0(VALU_DEP_2)
	v_mul_f32_e32 v71, 0x3fb8aa3b, v71
	s_waitcnt_depctr 0xfff
	v_cndmask_b32_e64 v84, 0, v78, s8
	v_add_f32_e32 v70, v70, v83
	v_fma_f32 v78, s19, v103, -v68
	v_exp_f32_e32 v82, v71
	s_delay_alu instid0(VALU_DEP_2) | instskip(SKIP_1) | instid1(VALU_DEP_3)
	v_add_f32_e32 v70, v70, v85
	v_mul_f32_e32 v72, 0x3fb8aa3b, v72
	v_mul_f32_e32 v78, 0x3fb8aa3b, v78
	s_delay_alu instid0(VALU_DEP_3) | instskip(SKIP_1) | instid1(VALU_DEP_4)
	v_add_f32_e32 v69, v70, v86
	v_fma_f32 v70, s19, v102, -v68
	v_exp_f32_e32 v72, v72
	s_delay_alu instid0(VALU_DEP_3) | instskip(NEXT) | instid1(VALU_DEP_1)
	v_exp_f32_e32 v78, v78
	v_dual_add_f32 v69, v69, v87 :: v_dual_mul_f32 v70, 0x3fb8aa3b, v70
	s_delay_alu instid0(VALU_DEP_1) | instskip(NEXT) | instid1(VALU_DEP_2)
	v_add_f32_e32 v69, v69, v84
	v_exp_f32_e32 v79, v70
	s_delay_alu instid0(TRANS32_DEP_3) | instskip(NEXT) | instid1(VALU_DEP_2)
	v_cndmask_b32_e64 v70, 0, v72, s10
	v_add_f32_e32 v72, v69, v88
	v_cndmask_b32_e64 v69, 0, v77, s11
	v_fma_f32 v77, s19, v106, -v68
	s_waitcnt_depctr 0xfff
	v_cndmask_b32_e64 v71, 0, v79, s12
	v_dual_mul_f32 v77, 0x3fb8aa3b, v77 :: v_dual_add_f32 v72, v72, v70
	s_delay_alu instid0(VALU_DEP_1) | instskip(NEXT) | instid1(VALU_DEP_1)
	v_exp_f32_e32 v90, v77
	v_add_f32_e32 v79, v72, v69
	v_cndmask_b32_e64 v72, 0, v78, s13
	v_cndmask_b32_e64 v77, 0, v82, s15
	s_delay_alu instid0(VALU_DEP_3) | instskip(SKIP_1) | instid1(VALU_DEP_1)
	v_add_f32_e32 v78, v79, v71
	v_fma_f32 v79, s19, v107, -v68
	v_dual_add_f32 v82, v78, v72 :: v_dual_mul_f32 v79, 0x3fb8aa3b, v79
	v_cndmask_b32_e64 v78, 0, v81, s16
	s_delay_alu instid0(VALU_DEP_2) | instskip(NEXT) | instid1(VALU_DEP_3)
	v_add_f32_e32 v81, v82, v77
	v_exp_f32_e32 v82, v79
	v_cndmask_b32_e64 v79, 0, v90, s17
	s_delay_alu instid0(VALU_DEP_2) | instskip(NEXT) | instid1(VALU_DEP_1)
	v_add_f32_e32 v81, v81, v78
	v_add_f32_e32 v90, v81, v79
	s_waitcnt_depctr 0xfff
	v_cndmask_b32_e64 v81, 0, v82, s18
	s_delay_alu instid0(VALU_DEP_1)
	v_add_f32_e32 v82, v90, v81
	ds_bpermute_b32 v89, v89, v82
	s_and_saveexec_b32 s4, s3
	s_cbranch_execz .LBB1400_12
; %bb.11:
	v_mul_u32_u24_e32 v67, 0x44, v66
	s_delay_alu instid0(VALU_DEP_1) | instskip(SKIP_1) | instid1(VALU_DEP_1)
	v_lshl_add_u32 v67, v65, 2, v67
	s_waitcnt lgkmcnt(0)
	v_dual_add_f32 v82, v82, v89 :: v_dual_add_nc_u32 v67, 0x4000, v67
	ds_store_2addr_b32 v67, v68, v82 offset1:136
.LBB1400_12:
	s_or_b32 exec_lo, exec_lo, s4
	v_lshlrev_b32_e32 v67, 2, v65
	s_waitcnt lgkmcnt(0)
	s_barrier
	buffer_gl0_inv
	v_cmp_eq_u32_e32 vcc_lo, 1, v66
	v_add_nc_u32_e32 v82, 0x4000, v67
	v_cmp_eq_u32_e64 s4, 2, v66
	v_cmp_eq_u32_e64 s6, 7, v66
	ds_load_2addr_b32 v[89:90], v82 offset1:17
	ds_load_2addr_b32 v[91:92], v82 offset0:34 offset1:51
	ds_load_2addr_b32 v[93:94], v82 offset0:68 offset1:85
	;; [unrolled: 1-line block ×4, first 2 shown]
	s_waitcnt lgkmcnt(4)
	v_max3_f32 v67, v89, 0xff7fffff, v90
	s_waitcnt lgkmcnt(3)
	s_delay_alu instid0(VALU_DEP_1) | instskip(SKIP_1) | instid1(VALU_DEP_1)
	v_max3_f32 v67, v67, v91, v92
	s_waitcnt lgkmcnt(2)
	v_max3_f32 v67, v67, v93, v94
	s_waitcnt lgkmcnt(1)
	s_delay_alu instid0(VALU_DEP_1) | instskip(NEXT) | instid1(VALU_DEP_1)
	v_max3_f32 v67, v67, v95, v96
	v_sub_f32_e32 v93, v93, v67
	s_delay_alu instid0(VALU_DEP_1) | instskip(NEXT) | instid1(VALU_DEP_1)
	v_dual_sub_f32 v68, v89, v67 :: v_dual_mul_f32 v103, 0x3fb8aa3b, v93
	v_mul_f32_e32 v68, 0x3fb8aa3b, v68
	s_delay_alu instid0(VALU_DEP_1)
	v_exp_f32_e32 v100, v68
	v_sub_f32_e32 v68, v92, v67
	v_sub_f32_e32 v99, v90, v67
	ds_load_2addr_b32 v[89:90], v82 offset0:170 offset1:187
	v_dual_mul_f32 v102, 0x3fb8aa3b, v68 :: v_dual_mul_f32 v99, 0x3fb8aa3b, v99
	s_waitcnt lgkmcnt(1)
	v_fma_f32 v68, v100, v97, 0
	s_delay_alu instid0(VALU_DEP_2) | instskip(NEXT) | instid1(VALU_DEP_2)
	v_exp_f32_e32 v102, v102
	v_exp_f32_e32 v99, v99
	s_waitcnt_depctr 0xfff
	v_fmac_f32_e32 v68, v99, v98
	v_sub_f32_e32 v91, v91, v67
	s_delay_alu instid0(VALU_DEP_1)
	v_mul_f32_e32 v101, 0x3fb8aa3b, v91
	ds_load_2addr_b32 v[91:92], v82 offset0:204 offset1:221
	v_sub_f32_e32 v97, v94, v67
	ds_load_2addr_b32 v[93:94], v82 offset0:238 offset1:255
	s_waitcnt lgkmcnt(0)
	v_exp_f32_e32 v101, v101
	s_barrier
	buffer_gl0_inv
	v_dual_fmac_f32 v68, v101, v89 :: v_dual_sub_f32 v89, v96, v67
	v_dual_sub_f32 v82, v95, v67 :: v_dual_mul_f32 v95, 0x3fb8aa3b, v97
	v_exp_f32_e32 v97, v103
	s_delay_alu instid0(VALU_DEP_2) | instskip(NEXT) | instid1(VALU_DEP_2)
	v_dual_fmac_f32 v68, v102, v90 :: v_dual_mul_f32 v89, 0x3fb8aa3b, v89
	v_mul_f32_e32 v82, 0x3fb8aa3b, v82
	s_delay_alu instid0(VALU_DEP_3) | instskip(NEXT) | instid1(VALU_DEP_2)
	v_exp_f32_e32 v95, v95
	v_exp_f32_e32 v89, v89
	s_delay_alu instid0(VALU_DEP_1)
	v_exp_f32_e32 v82, v82
	v_fmac_f32_e32 v68, v97, v91
	s_delay_alu instid0(TRANS32_DEP_3) | instid1(VALU_DEP_1)
	v_fmac_f32_e32 v68, v95, v92
	s_waitcnt_depctr 0xfff
	v_fmac_f32_e32 v68, v82, v93
	s_delay_alu instid0(VALU_DEP_1) | instskip(NEXT) | instid1(VALU_DEP_1)
	v_fmac_f32_e32 v68, v89, v94
	v_add_f32_e32 v90, 0x358637bd, v68
	s_delay_alu instid0(VALU_DEP_1) | instskip(NEXT) | instid1(VALU_DEP_1)
	v_div_scale_f32 v91, null, v90, v90, 1.0
	v_rcp_f32_e32 v92, v91
	s_waitcnt_depctr 0xfff
	v_fma_f32 v93, -v91, v92, 1.0
	s_delay_alu instid0(VALU_DEP_1) | instskip(SKIP_1) | instid1(VALU_DEP_2)
	v_dual_fmac_f32 v92, v93, v92 :: v_dual_cndmask_b32 v93, v100, v99
	v_cmp_eq_u32_e32 vcc_lo, 3, v66
	v_cndmask_b32_e64 v93, v93, v101, s4
	v_cmp_eq_u32_e64 s4, 4, v66
	s_delay_alu instid0(VALU_DEP_2) | instskip(SKIP_1) | instid1(VALU_DEP_2)
	v_cndmask_b32_e32 v93, v93, v102, vcc_lo
	v_cmp_eq_u32_e32 vcc_lo, 5, v66
	v_cndmask_b32_e64 v93, v93, v97, s4
	v_cmp_eq_u32_e64 s4, 6, v66
	s_delay_alu instid0(VALU_DEP_2) | instskip(SKIP_1) | instid1(VALU_DEP_1)
	v_cndmask_b32_e32 v93, v93, v95, vcc_lo
	v_div_scale_f32 v94, s5, 1.0, v90, 1.0
	s_mov_b32 vcc_lo, s5
	s_delay_alu instid0(VALU_DEP_2) | instskip(NEXT) | instid1(VALU_DEP_2)
	v_cndmask_b32_e64 v82, v93, v82, s4
	v_mul_f32_e32 v96, v94, v92
	s_mov_b32 s4, exec_lo
	s_delay_alu instid0(VALU_DEP_2) | instskip(NEXT) | instid1(VALU_DEP_2)
	v_cndmask_b32_e64 v82, v82, v89, s6
	v_fma_f32 v98, -v91, v96, v94
	s_delay_alu instid0(VALU_DEP_1) | instskip(NEXT) | instid1(VALU_DEP_1)
	v_fmac_f32_e32 v96, v98, v92
	v_fma_f32 v91, -v91, v96, v94
	s_delay_alu instid0(VALU_DEP_1) | instskip(NEXT) | instid1(VALU_DEP_1)
	v_div_fmas_f32 v91, v91, v92, v96
	v_div_fixup_f32 v90, v91, v90, 1.0
	s_delay_alu instid0(VALU_DEP_1) | instskip(NEXT) | instid1(VALU_DEP_1)
	v_mul_f32_e32 v82, v82, v90
	v_mul_f32_e32 v87, v82, v87
	;; [unrolled: 1-line block ×7, first 2 shown]
	v_dual_mul_f32 v86, v82, v83 :: v_dual_and_b32 v91, 0x7f800000, v90
	v_mul_f32_e32 v85, v82, v76
                                        ; implicit-def: $vgpr76
	s_delay_alu instid0(VALU_DEP_2)
	v_cmpx_ne_u32_e32 0x7f800000, v91
	s_xor_b32 s4, exec_lo, s4
; %bb.13:
	v_bfe_u32 v76, v90, 16, 1
	s_delay_alu instid0(VALU_DEP_1)
	v_add3_u32 v76, v90, v76, 0x7fff
                                        ; implicit-def: $vgpr90
; %bb.14:
	s_and_not1_saveexec_b32 s4, s4
; %bb.15:
	v_and_b32_e32 v76, 0xffff, v90
	v_or_b32_e32 v83, 0x10000, v90
	s_delay_alu instid0(VALU_DEP_2) | instskip(NEXT) | instid1(VALU_DEP_2)
	v_cmp_eq_u32_e32 vcc_lo, 0, v76
	v_cndmask_b32_e32 v76, v83, v90, vcc_lo
; %bb.16:
	s_or_b32 exec_lo, exec_lo, s4
	v_and_b32_e32 v83, 0x7f800000, v85
	s_delay_alu instid0(VALU_DEP_1) | instskip(SKIP_1) | instid1(SALU_CYCLE_1)
	v_cmp_ne_u32_e32 vcc_lo, 0x7f800000, v83
                                        ; implicit-def: $vgpr83
	s_and_saveexec_b32 s4, vcc_lo
	s_xor_b32 s4, exec_lo, s4
; %bb.17:
	v_bfe_u32 v83, v85, 16, 1
	s_delay_alu instid0(VALU_DEP_1)
	v_add3_u32 v83, v85, v83, 0x7fff
                                        ; implicit-def: $vgpr85
; %bb.18:
	s_and_not1_saveexec_b32 s4, s4
; %bb.19:
	v_and_b32_e32 v83, 0xffff, v85
	v_or_b32_e32 v90, 0x10000, v85
	s_delay_alu instid0(VALU_DEP_2) | instskip(NEXT) | instid1(VALU_DEP_2)
	v_cmp_eq_u32_e32 vcc_lo, 0, v83
	v_cndmask_b32_e32 v83, v90, v85, vcc_lo
; %bb.20:
	s_or_b32 exec_lo, exec_lo, s4
	v_and_b32_e32 v85, 0x7f800000, v86
	s_delay_alu instid0(VALU_DEP_1) | instskip(SKIP_1) | instid1(SALU_CYCLE_1)
	v_cmp_ne_u32_e32 vcc_lo, 0x7f800000, v85
                                        ; implicit-def: $vgpr85
	s_and_saveexec_b32 s4, vcc_lo
	s_xor_b32 s4, exec_lo, s4
; %bb.21:
	v_bfe_u32 v85, v86, 16, 1
	s_delay_alu instid0(VALU_DEP_1)
	v_add3_u32 v85, v86, v85, 0x7fff
                                        ; implicit-def: $vgpr86
; %bb.22:
	s_and_not1_saveexec_b32 s4, s4
; %bb.23:
	v_and_b32_e32 v85, 0xffff, v86
	v_or_b32_e32 v90, 0x10000, v86
	s_delay_alu instid0(VALU_DEP_2) | instskip(NEXT) | instid1(VALU_DEP_2)
	v_cmp_eq_u32_e32 vcc_lo, 0, v85
	v_cndmask_b32_e32 v85, v90, v86, vcc_lo
; %bb.24:
	s_or_b32 exec_lo, exec_lo, s4
	v_and_b32_e32 v86, 0x7f800000, v89
	s_delay_alu instid0(VALU_DEP_1) | instskip(SKIP_1) | instid1(SALU_CYCLE_1)
	v_cmp_ne_u32_e32 vcc_lo, 0x7f800000, v86
                                        ; implicit-def: $vgpr86
	s_and_saveexec_b32 s4, vcc_lo
	s_xor_b32 s4, exec_lo, s4
; %bb.25:
	v_bfe_u32 v86, v89, 16, 1
	s_delay_alu instid0(VALU_DEP_1)
	v_add3_u32 v86, v89, v86, 0x7fff
                                        ; implicit-def: $vgpr89
; %bb.26:
	s_and_not1_saveexec_b32 s4, s4
; %bb.27:
	v_and_b32_e32 v86, 0xffff, v89
	v_or_b32_e32 v90, 0x10000, v89
	s_delay_alu instid0(VALU_DEP_2) | instskip(NEXT) | instid1(VALU_DEP_2)
	v_cmp_eq_u32_e32 vcc_lo, 0, v86
	v_cndmask_b32_e32 v86, v90, v89, vcc_lo
; %bb.28:
	s_or_b32 exec_lo, exec_lo, s4
	v_and_b32_e32 v89, 0x7f800000, v88
	s_delay_alu instid0(VALU_DEP_1) | instskip(SKIP_1) | instid1(SALU_CYCLE_1)
	v_cmp_ne_u32_e32 vcc_lo, 0x7f800000, v89
                                        ; implicit-def: $vgpr89
	s_and_saveexec_b32 s4, vcc_lo
	s_xor_b32 s4, exec_lo, s4
; %bb.29:
	v_bfe_u32 v89, v88, 16, 1
	s_delay_alu instid0(VALU_DEP_1)
	v_add3_u32 v89, v88, v89, 0x7fff
                                        ; implicit-def: $vgpr88
; %bb.30:
	s_and_not1_saveexec_b32 s4, s4
; %bb.31:
	v_and_b32_e32 v89, 0xffff, v88
	v_or_b32_e32 v90, 0x10000, v88
	s_delay_alu instid0(VALU_DEP_2) | instskip(NEXT) | instid1(VALU_DEP_2)
	v_cmp_eq_u32_e32 vcc_lo, 0, v89
	v_cndmask_b32_e32 v89, v90, v88, vcc_lo
; %bb.32:
	s_or_b32 exec_lo, exec_lo, s4
	v_and_b32_e32 v88, 0x7f800000, v87
	s_delay_alu instid0(VALU_DEP_1) | instskip(SKIP_1) | instid1(SALU_CYCLE_1)
	v_cmp_ne_u32_e32 vcc_lo, 0x7f800000, v88
                                        ; implicit-def: $vgpr88
	s_and_saveexec_b32 s4, vcc_lo
	s_xor_b32 s4, exec_lo, s4
; %bb.33:
	v_bfe_u32 v88, v87, 16, 1
	s_delay_alu instid0(VALU_DEP_1)
	v_add3_u32 v88, v87, v88, 0x7fff
                                        ; implicit-def: $vgpr87
; %bb.34:
	s_and_not1_saveexec_b32 s4, s4
; %bb.35:
	v_and_b32_e32 v88, 0xffff, v87
	v_or_b32_e32 v90, 0x10000, v87
	s_delay_alu instid0(VALU_DEP_2) | instskip(NEXT) | instid1(VALU_DEP_2)
	v_cmp_eq_u32_e32 vcc_lo, 0, v88
	v_cndmask_b32_e32 v88, v90, v87, vcc_lo
; %bb.36:
	s_or_b32 exec_lo, exec_lo, s4
	v_and_b32_e32 v87, 0x7f800000, v84
	s_delay_alu instid0(VALU_DEP_1) | instskip(SKIP_1) | instid1(SALU_CYCLE_1)
	v_cmp_ne_u32_e32 vcc_lo, 0x7f800000, v87
                                        ; implicit-def: $vgpr87
	s_and_saveexec_b32 s4, vcc_lo
	s_xor_b32 s4, exec_lo, s4
; %bb.37:
	v_bfe_u32 v87, v84, 16, 1
	s_delay_alu instid0(VALU_DEP_1)
	v_add3_u32 v87, v84, v87, 0x7fff
                                        ; implicit-def: $vgpr84
; %bb.38:
	s_and_not1_saveexec_b32 s4, s4
; %bb.39:
	v_and_b32_e32 v87, 0xffff, v84
	v_or_b32_e32 v90, 0x10000, v84
	s_delay_alu instid0(VALU_DEP_2) | instskip(NEXT) | instid1(VALU_DEP_2)
	v_cmp_eq_u32_e32 vcc_lo, 0, v87
	v_cndmask_b32_e32 v87, v90, v84, vcc_lo
; %bb.40:
	s_or_b32 exec_lo, exec_lo, s4
	v_and_b32_e32 v84, 0x7f800000, v80
	s_delay_alu instid0(VALU_DEP_1) | instskip(SKIP_1) | instid1(SALU_CYCLE_1)
	v_cmp_ne_u32_e32 vcc_lo, 0x7f800000, v84
                                        ; implicit-def: $vgpr84
	s_and_saveexec_b32 s4, vcc_lo
	s_xor_b32 s4, exec_lo, s4
; %bb.41:
	v_bfe_u32 v84, v80, 16, 1
	s_delay_alu instid0(VALU_DEP_1)
	v_add3_u32 v84, v80, v84, 0x7fff
                                        ; implicit-def: $vgpr80
; %bb.42:
	s_and_not1_saveexec_b32 s4, s4
; %bb.43:
	v_and_b32_e32 v84, 0xffff, v80
	v_or_b32_e32 v90, 0x10000, v80
	s_delay_alu instid0(VALU_DEP_2) | instskip(NEXT) | instid1(VALU_DEP_2)
	v_cmp_eq_u32_e32 vcc_lo, 0, v84
	v_cndmask_b32_e32 v84, v90, v80, vcc_lo
; %bb.44:
	s_or_b32 exec_lo, exec_lo, s4
	s_load_b64 s[36:37], s[0:1], 0x94
	v_lshlrev_b32_e32 v91, 4, v74
	s_delay_alu instid0(VALU_DEP_2)
	v_perm_b32 v90, v84, v87, 0x7060302
	v_dual_mul_f32 v79, v82, v79 :: v_dual_lshlrev_b32 v80, 6, v65
	v_dual_mul_f32 v77, v82, v77 :: v_dual_lshlrev_b32 v92, 11, v66
	v_mul_f32_e32 v84, v82, v70
	v_perm_b32 v89, v88, v89, 0x7060302
	v_perm_b32 v88, v86, v85, 0x7060302
	;; [unrolled: 1-line block ×3, first 2 shown]
	v_mul_f32_e32 v70, v82, v81
	v_or3_b32 v76, v91, v92, v80
	v_dual_mul_f32 v78, v82, v78 :: v_dual_and_b32 v85, 0x7f800000, v84
	v_mul_f32_e32 v83, v82, v72
	v_mul_f32_e32 v81, v82, v71
	;; [unrolled: 1-line block ×3, first 2 shown]
	s_mov_b32 s4, exec_lo
	ds_store_b128 v76, v[87:90]
                                        ; implicit-def: $vgpr69
	v_cmpx_ne_u32_e32 0x7f800000, v85
	s_xor_b32 s4, exec_lo, s4
; %bb.45:
	v_bfe_u32 v69, v84, 16, 1
	s_delay_alu instid0(VALU_DEP_1)
	v_add3_u32 v69, v84, v69, 0x7fff
                                        ; implicit-def: $vgpr84
; %bb.46:
	s_and_not1_saveexec_b32 s4, s4
; %bb.47:
	v_and_b32_e32 v69, 0xffff, v84
	v_or_b32_e32 v71, 0x10000, v84
	s_delay_alu instid0(VALU_DEP_2) | instskip(NEXT) | instid1(VALU_DEP_2)
	v_cmp_eq_u32_e32 vcc_lo, 0, v69
	v_cndmask_b32_e32 v69, v71, v84, vcc_lo
; %bb.48:
	s_or_b32 exec_lo, exec_lo, s4
	v_and_b32_e32 v71, 0x7f800000, v72
	s_delay_alu instid0(VALU_DEP_1) | instskip(SKIP_1) | instid1(SALU_CYCLE_1)
	v_cmp_ne_u32_e32 vcc_lo, 0x7f800000, v71
                                        ; implicit-def: $vgpr71
	s_and_saveexec_b32 s4, vcc_lo
	s_xor_b32 s4, exec_lo, s4
; %bb.49:
	v_bfe_u32 v71, v72, 16, 1
	s_delay_alu instid0(VALU_DEP_1)
	v_add3_u32 v71, v72, v71, 0x7fff
                                        ; implicit-def: $vgpr72
; %bb.50:
	s_and_not1_saveexec_b32 s4, s4
; %bb.51:
	v_and_b32_e32 v71, 0xffff, v72
	v_or_b32_e32 v82, 0x10000, v72
	s_delay_alu instid0(VALU_DEP_2) | instskip(NEXT) | instid1(VALU_DEP_2)
	v_cmp_eq_u32_e32 vcc_lo, 0, v71
	v_cndmask_b32_e32 v71, v82, v72, vcc_lo
; %bb.52:
	s_or_b32 exec_lo, exec_lo, s4
	v_and_b32_e32 v72, 0x7f800000, v81
	s_delay_alu instid0(VALU_DEP_1) | instskip(SKIP_1) | instid1(SALU_CYCLE_1)
	v_cmp_ne_u32_e32 vcc_lo, 0x7f800000, v72
                                        ; implicit-def: $vgpr72
	s_and_saveexec_b32 s4, vcc_lo
	s_xor_b32 s4, exec_lo, s4
; %bb.53:
	v_bfe_u32 v72, v81, 16, 1
	s_delay_alu instid0(VALU_DEP_1)
	v_add3_u32 v72, v81, v72, 0x7fff
                                        ; implicit-def: $vgpr81
; %bb.54:
	s_and_not1_saveexec_b32 s4, s4
; %bb.55:
	v_and_b32_e32 v72, 0xffff, v81
	v_or_b32_e32 v82, 0x10000, v81
	s_delay_alu instid0(VALU_DEP_2) | instskip(NEXT) | instid1(VALU_DEP_2)
	v_cmp_eq_u32_e32 vcc_lo, 0, v72
	v_cndmask_b32_e32 v72, v82, v81, vcc_lo
; %bb.56:
	s_or_b32 exec_lo, exec_lo, s4
	v_and_b32_e32 v81, 0x7f800000, v83
	s_delay_alu instid0(VALU_DEP_1) | instskip(SKIP_1) | instid1(SALU_CYCLE_1)
	v_cmp_ne_u32_e32 vcc_lo, 0x7f800000, v81
                                        ; implicit-def: $vgpr81
	s_and_saveexec_b32 s4, vcc_lo
	s_xor_b32 s4, exec_lo, s4
; %bb.57:
	v_bfe_u32 v81, v83, 16, 1
	s_delay_alu instid0(VALU_DEP_1)
	v_add3_u32 v81, v83, v81, 0x7fff
                                        ; implicit-def: $vgpr83
; %bb.58:
	s_and_not1_saveexec_b32 s4, s4
; %bb.59:
	v_and_b32_e32 v81, 0xffff, v83
	v_or_b32_e32 v82, 0x10000, v83
	s_delay_alu instid0(VALU_DEP_2) | instskip(NEXT) | instid1(VALU_DEP_2)
	v_cmp_eq_u32_e32 vcc_lo, 0, v81
	v_cndmask_b32_e32 v81, v82, v83, vcc_lo
; %bb.60:
	s_or_b32 exec_lo, exec_lo, s4
	v_and_b32_e32 v82, 0x7f800000, v77
	s_delay_alu instid0(VALU_DEP_1) | instskip(SKIP_1) | instid1(SALU_CYCLE_1)
	v_cmp_ne_u32_e32 vcc_lo, 0x7f800000, v82
                                        ; implicit-def: $vgpr82
	s_and_saveexec_b32 s4, vcc_lo
	s_xor_b32 s4, exec_lo, s4
; %bb.61:
	v_bfe_u32 v82, v77, 16, 1
	s_delay_alu instid0(VALU_DEP_1)
	v_add3_u32 v82, v77, v82, 0x7fff
                                        ; implicit-def: $vgpr77
; %bb.62:
	s_and_not1_saveexec_b32 s4, s4
; %bb.63:
	v_and_b32_e32 v82, 0xffff, v77
	v_or_b32_e32 v83, 0x10000, v77
	s_delay_alu instid0(VALU_DEP_2) | instskip(NEXT) | instid1(VALU_DEP_2)
	v_cmp_eq_u32_e32 vcc_lo, 0, v82
	v_cndmask_b32_e32 v82, v83, v77, vcc_lo
; %bb.64:
	s_or_b32 exec_lo, exec_lo, s4
	v_and_b32_e32 v77, 0x7f800000, v78
	s_delay_alu instid0(VALU_DEP_1) | instskip(SKIP_1) | instid1(SALU_CYCLE_1)
	v_cmp_ne_u32_e32 vcc_lo, 0x7f800000, v77
                                        ; implicit-def: $vgpr77
	s_and_saveexec_b32 s4, vcc_lo
	s_xor_b32 s4, exec_lo, s4
; %bb.65:
	v_bfe_u32 v77, v78, 16, 1
	s_delay_alu instid0(VALU_DEP_1)
	v_add3_u32 v77, v78, v77, 0x7fff
                                        ; implicit-def: $vgpr78
; %bb.66:
	s_and_not1_saveexec_b32 s4, s4
; %bb.67:
	v_and_b32_e32 v77, 0xffff, v78
	v_or_b32_e32 v83, 0x10000, v78
	s_delay_alu instid0(VALU_DEP_2) | instskip(NEXT) | instid1(VALU_DEP_2)
	v_cmp_eq_u32_e32 vcc_lo, 0, v77
	v_cndmask_b32_e32 v77, v83, v78, vcc_lo
; %bb.68:
	s_or_b32 exec_lo, exec_lo, s4
	v_and_b32_e32 v78, 0x7f800000, v79
	s_delay_alu instid0(VALU_DEP_1) | instskip(SKIP_1) | instid1(SALU_CYCLE_1)
	v_cmp_ne_u32_e32 vcc_lo, 0x7f800000, v78
                                        ; implicit-def: $vgpr78
	s_and_saveexec_b32 s4, vcc_lo
	s_xor_b32 s4, exec_lo, s4
; %bb.69:
	v_bfe_u32 v78, v79, 16, 1
	s_delay_alu instid0(VALU_DEP_1)
	v_add3_u32 v78, v79, v78, 0x7fff
                                        ; implicit-def: $vgpr79
; %bb.70:
	s_and_not1_saveexec_b32 s4, s4
; %bb.71:
	v_and_b32_e32 v78, 0xffff, v79
	v_or_b32_e32 v83, 0x10000, v79
	s_delay_alu instid0(VALU_DEP_2) | instskip(NEXT) | instid1(VALU_DEP_2)
	v_cmp_eq_u32_e32 vcc_lo, 0, v78
	v_cndmask_b32_e32 v78, v83, v79, vcc_lo
; %bb.72:
	s_or_b32 exec_lo, exec_lo, s4
	v_and_b32_e32 v79, 0x7f800000, v70
	s_delay_alu instid0(VALU_DEP_1) | instskip(SKIP_1) | instid1(SALU_CYCLE_1)
	v_cmp_ne_u32_e32 vcc_lo, 0x7f800000, v79
                                        ; implicit-def: $vgpr79
	s_and_saveexec_b32 s4, vcc_lo
	s_xor_b32 s4, exec_lo, s4
; %bb.73:
	v_bfe_u32 v79, v70, 16, 1
	s_delay_alu instid0(VALU_DEP_1)
	v_add3_u32 v79, v70, v79, 0x7fff
                                        ; implicit-def: $vgpr70
; %bb.74:
	s_and_not1_saveexec_b32 s4, s4
; %bb.75:
	v_and_b32_e32 v79, 0xffff, v70
	v_or_b32_e32 v83, 0x10000, v70
	s_delay_alu instid0(VALU_DEP_2) | instskip(NEXT) | instid1(VALU_DEP_2)
	v_cmp_eq_u32_e32 vcc_lo, 0, v79
	v_cndmask_b32_e32 v79, v83, v70, vcc_lo
; %bb.76:
	s_or_b32 exec_lo, exec_lo, s4
	s_delay_alu instid0(VALU_DEP_1)
	v_perm_b32 v86, v79, v78, 0x7060302
	v_perm_b32 v85, v77, v82, 0x7060302
	;; [unrolled: 1-line block ×4, first 2 shown]
	v_lshl_or_b32 v82, v66, 11, v80
	ds_store_b128 v76, v[83:86] offset:1024
	s_waitcnt lgkmcnt(0)
	s_barrier
	buffer_gl0_inv
	ds_load_b128 v[69:72], v82
	ds_load_b128 v[83:86], v82 offset:16
	s_waitcnt lgkmcnt(1)
	v_lshrrev_b32_e32 v66, 16, v69
	s_waitcnt lgkmcnt(0)
	v_lshrrev_b32_e32 v91, 16, v83
	v_lshlrev_b32_e32 v78, 2, v74
	v_lshrrev_b32_e32 v95, 16, v70
	v_lshrrev_b32_e32 v98, 16, v84
	;; [unrolled: 1-line block ×4, first 2 shown]
	v_cmp_eq_u32_e32 vcc_lo, 1, v78
	v_lshrrev_b32_e32 v97, 16, v72
	v_lshrrev_b32_e32 v100, 16, v86
	v_cndmask_b32_e32 v87, v83, v91, vcc_lo
	v_or_b32_e32 v79, 1, v78
	v_cndmask_b32_e32 v81, v69, v66, vcc_lo
	v_cmp_eq_u32_e64 s5, 2, v78
	v_cmp_eq_u32_e64 s8, 3, v78
	;; [unrolled: 1-line block ×5, first 2 shown]
	v_cndmask_b32_e64 v81, v81, v70, s5
	v_cndmask_b32_e64 v87, v87, v84, s5
	v_cmp_eq_u32_e64 s9, 3, v79
	v_cndmask_b32_e64 v88, v69, v66, s4
	v_or_b32_e32 v77, 2, v78
	v_cndmask_b32_e64 v81, v81, v95, s8
	v_cndmask_b32_e64 v87, v87, v98, s8
	;; [unrolled: 1-line block ×4, first 2 shown]
	v_cmp_eq_u32_e64 s11, 5, v78
	v_cndmask_b32_e64 v81, v81, v71, s10
	v_cndmask_b32_e64 v87, v87, v85, s10
	v_cmp_eq_u32_e64 s12, 4, v79
	v_cndmask_b32_e64 v88, v88, v95, s9
	v_cmp_eq_u32_e64 s6, 1, v77
	v_cndmask_b32_e64 v89, v89, v84, s7
	v_cndmask_b32_e64 v81, v81, v96, s11
	v_cmp_eq_u32_e64 s13, 6, v78
	v_cndmask_b32_e64 v88, v88, v71, s12
	;; [unrolled: 3-line block ×3, first 2 shown]
	v_cndmask_b32_e64 v89, v89, v98, s9
	v_cndmask_b32_e64 v81, v81, v72, s13
	v_cmp_eq_u32_e64 s16, 7, v78
	v_cndmask_b32_e64 v88, v88, v96, s15
	v_cndmask_b32_e64 v87, v87, v86, s13
	v_cmp_eq_u32_e64 s17, 6, v79
	v_cmp_eq_u32_e64 s18, 2, v77
	v_cndmask_b32_e64 v89, v89, v85, s12
	v_cndmask_b32_e64 v101, v81, v97, s16
	;; [unrolled: 1-line block ×6, first 2 shown]
	v_cmp_eq_u32_e64 s19, 7, v79
	v_cmp_eq_u32_e64 s20, 3, v77
	;; [unrolled: 1-line block ×4, first 2 shown]
	v_cndmask_b32_e64 v87, v87, v84, s18
	v_cndmask_b32_e64 v103, v88, v97, s19
	;; [unrolled: 1-line block ×4, first 2 shown]
	v_or_b32_e32 v81, 3, v78
	v_cndmask_b32_e64 v93, v87, v98, s20
	v_cmp_eq_u32_e64 s25, 6, v77
	v_cndmask_b32_e64 v104, v88, v86, s17
	v_cndmask_b32_e64 v92, v89, v71, s21
	v_cmp_eq_u32_e64 s22, 1, v81
	ds_load_b128 v[87:90], v82 offset:1024
	v_cmp_eq_u32_e64 s24, 2, v81
	v_cmp_eq_u32_e64 s26, 3, v81
	v_cndmask_b32_e64 v105, v92, v96, s23
	v_cndmask_b32_e64 v66, v69, v66, s22
	;; [unrolled: 1-line block ×4, first 2 shown]
	ds_load_b128 v[91:94], v82 offset:1040
	v_cmp_eq_u32_e64 s27, 4, v81
	v_cndmask_b32_e64 v66, v66, v70, s24
	v_cmp_eq_u32_e64 s28, 7, v77
	v_cndmask_b32_e64 v70, v83, v84, s24
	v_cndmask_b32_e64 v84, v105, v72, s25
	v_cmp_eq_u32_e64 s29, 5, v81
	v_cndmask_b32_e64 v66, v66, v95, s26
	v_cmp_eq_u32_e64 s30, 6, v81
	v_cndmask_b32_e64 v70, v70, v98, s26
	v_cndmask_b32_e64 v69, v69, v99, s23
	;; [unrolled: 1-line block ×4, first 2 shown]
	s_waitcnt lgkmcnt(1)
	v_lshrrev_b32_e32 v95, 16, v87
	v_cndmask_b32_e64 v70, v70, v85, s27
	v_cndmask_b32_e64 v71, v84, v97, s28
	;; [unrolled: 1-line block ×4, first 2 shown]
	v_cndmask_b32_e32 v84, v87, v95, vcc_lo
	v_cndmask_b32_e64 v70, v70, v99, s29
	s_waitcnt lgkmcnt(0)
	v_lshrrev_b32_e32 v85, 16, v91
	v_lshrrev_b32_e32 v96, 16, v88
	v_cndmask_b32_e64 v98, v87, v95, s4
	v_cndmask_b32_e64 v84, v84, v88, s5
	;; [unrolled: 1-line block ×3, first 2 shown]
	v_cndmask_b32_e32 v99, v91, v85, vcc_lo
	v_cmp_eq_u32_e32 vcc_lo, 7, v81
	v_cndmask_b32_e64 v66, v66, v72, s30
	v_cndmask_b32_e64 v72, v84, v96, s8
	;; [unrolled: 1-line block ×3, first 2 shown]
	v_lshrrev_b32_e32 v98, 16, v92
	v_cndmask_b32_e32 v70, v70, v100, vcc_lo
	v_cndmask_b32_e64 v86, v99, v92, s5
	v_cndmask_b32_e64 v69, v69, v100, s28
	v_lshrrev_b32_e32 v100, 16, v93
	v_cndmask_b32_e64 v72, v72, v89, s10
	v_lshrrev_b32_e32 v99, 16, v89
	v_cndmask_b32_e64 v86, v86, v98, s8
	v_perm_b32 v71, v69, v71, 0x5040100
	v_cndmask_b32_e64 v84, v84, v96, s9
	s_delay_alu instid0(VALU_DEP_3) | instskip(NEXT) | instid1(VALU_DEP_2)
	v_cndmask_b32_e64 v86, v86, v93, s10
	v_cndmask_b32_e64 v84, v84, v89, s12
	s_delay_alu instid0(VALU_DEP_2) | instskip(NEXT) | instid1(VALU_DEP_1)
	v_cndmask_b32_e64 v86, v86, v100, s11
	v_cndmask_b32_e64 v69, v86, v94, s13
	;; [unrolled: 1-line block ×5, first 2 shown]
	s_delay_alu instid0(VALU_DEP_3) | instskip(NEXT) | instid1(VALU_DEP_3)
	v_cndmask_b32_e64 v86, v86, v88, s18
	v_cndmask_b32_e64 v87, v87, v88, s24
	s_delay_alu instid0(VALU_DEP_3) | instskip(NEXT) | instid1(VALU_DEP_3)
	v_cndmask_b32_e64 v88, v95, v92, s24
	v_cndmask_b32_e64 v86, v86, v96, s20
	;; [unrolled: 3-line block ×7, first 2 shown]
	s_delay_alu instid0(VALU_DEP_3) | instskip(SKIP_2) | instid1(VALU_DEP_2)
	v_cndmask_b32_e64 v88, v88, v94, s30
	v_cndmask_b32_e32 v66, v66, v97, vcc_lo
	v_cndmask_b32_e64 v97, v72, v99, s11
	v_perm_b32 v72, v70, v66, 0x5040100
	v_perm_b32 v70, v83, v103, 0x5040100
	v_cndmask_b32_e64 v103, v91, v85, s6
	v_cndmask_b32_e64 v85, v91, v85, s4
	v_cndmask_b32_e64 v66, v84, v99, s15
	v_cndmask_b32_e64 v84, v97, v90, s13
	v_lshrrev_b32_e32 v97, 16, v90
	v_cndmask_b32_e64 v91, v103, v92, s18
	v_cndmask_b32_e64 v85, v85, v92, s7
	;; [unrolled: 1-line block ×3, first 2 shown]
	s_mov_b32 s4, exec_lo
	v_cndmask_b32_e64 v83, v84, v97, s16
	v_cndmask_b32_e64 v91, v91, v98, s20
	;; [unrolled: 1-line block ×3, first 2 shown]
	v_lshrrev_b32_e32 v84, 16, v94
	v_cndmask_b32_e64 v66, v66, v97, s19
	v_cndmask_b32_e64 v90, v86, v97, s28
	;; [unrolled: 1-line block ×4, first 2 shown]
	v_dual_cndmask_b32 v86, v87, v97 :: v_dual_cndmask_b32 v87, v88, v84
	v_cndmask_b32_e64 v91, v69, v84, s16
	s_delay_alu instid0(VALU_DEP_4) | instskip(NEXT) | instid1(VALU_DEP_4)
	v_cndmask_b32_e64 v89, v89, v100, s23
	v_cndmask_b32_e64 v85, v85, v100, s15
	v_perm_b32 v69, v102, v101, 0x5040100
	v_perm_b32 v86, v87, v86, 0x5040100
	v_perm_b32 v83, v91, v83, 0x5040100
	v_cndmask_b32_e64 v89, v89, v94, s25
	v_cndmask_b32_e64 v85, v85, v94, s17
	s_mul_i32 s9, s37, 15
	s_delay_alu instid0(VALU_DEP_2) | instskip(NEXT) | instid1(VALU_DEP_2)
	v_cndmask_b32_e64 v88, v89, v84, s28
	v_cndmask_b32_e64 v89, v85, v84, s19
	s_delay_alu instid0(VALU_DEP_2) | instskip(NEXT) | instid1(VALU_DEP_2)
	v_perm_b32 v85, v88, v90, 0x5040100
	v_perm_b32 v84, v89, v66, 0x5040100
	ds_store_b128 v76, v[69:72]
	ds_store_b128 v76, v[83:86] offset:1024
	v_cmpx_gt_u32_e32 15, v0
	s_cbranch_execz .LBB1400_78
; %bb.77:
	s_mul_i32 s5, s9, s34
	s_load_b128 s[16:19], s[0:1], 0x58
	v_add3_u32 v69, s5, s31, v65
	s_delay_alu instid0(VALU_DEP_1) | instskip(NEXT) | instid1(VALU_DEP_1)
	v_mad_u64_u32 v[65:66], null, v69, s36, s[14:15]
	v_ashrrev_i32_e32 v66, 31, v65
	s_delay_alu instid0(VALU_DEP_1) | instskip(SKIP_1) | instid1(VALU_DEP_1)
	v_lshlrev_b64 v[65:66], 2, v[65:66]
	s_waitcnt lgkmcnt(0)
	v_add_co_u32 v69, vcc_lo, s18, v65
	s_delay_alu instid0(VALU_DEP_2)
	v_add_co_ci_u32_e32 v70, vcc_lo, s19, v66, vcc_lo
	v_add_co_u32 v65, vcc_lo, s16, v65
	v_add_co_ci_u32_e32 v66, vcc_lo, s17, v66, vcc_lo
	global_store_b32 v[69:70], v67, off
	global_store_b32 v[65:66], v68, off
.LBB1400_78:
	s_or_b32 exec_lo, exec_lo, s4
	s_waitcnt lgkmcnt(0)
	s_waitcnt_vscnt null, 0x0
	s_barrier
	buffer_gl0_inv
	ds_load_b128 v[83:86], v80
	ds_load_b128 v[87:90], v80 offset:16
	ds_load_b128 v[95:98], v80 offset:2064
	;; [unrolled: 1-line block ×3, first 2 shown]
	v_mov_b32_e32 v65, 0
	ds_load_b128 v[103:106], v80 offset:4112
	ds_load_b128 v[99:102], v80 offset:4096
	;; [unrolled: 1-line block ×4, first 2 shown]
	v_mov_b32_e32 v66, v65
	v_mov_b32_e32 v67, v65
	;; [unrolled: 1-line block ×7, first 2 shown]
	s_waitcnt lgkmcnt(6)
	s_delay_alu instid0(VALU_DEP_1)
	v_wmma_f32_16x16x16_bf16 v[65:72], v[57:64], v[83:90], v[65:72]
	ds_load_b128 v[61:64], v80 offset:8208
	ds_load_b128 v[57:60], v80 offset:8192
	s_waitcnt lgkmcnt(6)
	v_wmma_f32_16x16x16_bf16 v[65:72], v[41:48], v[91:98], v[65:72]
	ds_load_b128 v[45:48], v80 offset:10256
	ds_load_b128 v[41:44], v80 offset:10240
	s_waitcnt lgkmcnt(6)
	;; [unrolled: 4-line block ×4, first 2 shown]
	v_wmma_f32_16x16x16_bf16 v[65:72], v[1:8], v[57:64], v[65:72]
	s_waitcnt lgkmcnt(4)
	s_delay_alu instid0(VALU_DEP_1) | instskip(SKIP_1) | instid1(VALU_DEP_1)
	v_wmma_f32_16x16x16_bf16 v[65:72], v[9:16], v[41:48], v[65:72]
	s_waitcnt lgkmcnt(2)
	v_wmma_f32_16x16x16_bf16 v[65:72], v[17:24], v[33:40], v[65:72]
	s_waitcnt lgkmcnt(0)
	s_delay_alu instid0(VALU_DEP_1) | instskip(NEXT) | instid1(VALU_DEP_1)
	v_wmma_f32_16x16x16_bf16 v[65:72], v[49:56], v[25:32], v[65:72]
	v_and_b32_e32 v1, 0x7f800000, v65
	s_delay_alu instid0(VALU_DEP_1) | instskip(SKIP_1) | instid1(SALU_CYCLE_1)
	v_cmp_ne_u32_e32 vcc_lo, 0x7f800000, v1
                                        ; implicit-def: $vgpr1
	s_and_saveexec_b32 s4, vcc_lo
	s_xor_b32 s4, exec_lo, s4
; %bb.79:
	v_bfe_u32 v1, v65, 16, 1
	s_delay_alu instid0(VALU_DEP_1)
	v_add3_u32 v1, v65, v1, 0x7fff
; %bb.80:
	s_and_not1_saveexec_b32 s4, s4
; %bb.81:
	v_and_b32_e32 v1, 0xffff, v65
	v_or_b32_e32 v2, 0x10000, v65
	s_delay_alu instid0(VALU_DEP_2) | instskip(NEXT) | instid1(VALU_DEP_2)
	v_cmp_eq_u32_e32 vcc_lo, 0, v1
	v_cndmask_b32_e32 v1, v2, v65, vcc_lo
; %bb.82:
	s_or_b32 exec_lo, exec_lo, s4
	v_and_b32_e32 v2, 0x7f800000, v66
	s_delay_alu instid0(VALU_DEP_1) | instskip(SKIP_1) | instid1(SALU_CYCLE_1)
	v_cmp_ne_u32_e32 vcc_lo, 0x7f800000, v2
                                        ; implicit-def: $vgpr2
	s_and_saveexec_b32 s4, vcc_lo
	s_xor_b32 s4, exec_lo, s4
; %bb.83:
	v_bfe_u32 v2, v66, 16, 1
	s_delay_alu instid0(VALU_DEP_1)
	v_add3_u32 v2, v66, v2, 0x7fff
; %bb.84:
	s_and_not1_saveexec_b32 s4, s4
; %bb.85:
	v_and_b32_e32 v2, 0xffff, v66
	v_or_b32_e32 v3, 0x10000, v66
	s_delay_alu instid0(VALU_DEP_2) | instskip(NEXT) | instid1(VALU_DEP_2)
	v_cmp_eq_u32_e32 vcc_lo, 0, v2
	v_cndmask_b32_e32 v2, v3, v66, vcc_lo
; %bb.86:
	s_or_b32 exec_lo, exec_lo, s4
	v_and_b32_e32 v3, 0x7f800000, v67
	s_delay_alu instid0(VALU_DEP_1) | instskip(SKIP_1) | instid1(SALU_CYCLE_1)
	v_cmp_ne_u32_e32 vcc_lo, 0x7f800000, v3
                                        ; implicit-def: $vgpr3
	s_and_saveexec_b32 s4, vcc_lo
	s_xor_b32 s4, exec_lo, s4
; %bb.87:
	v_bfe_u32 v3, v67, 16, 1
	s_delay_alu instid0(VALU_DEP_1)
	v_add3_u32 v3, v67, v3, 0x7fff
; %bb.88:
	s_and_not1_saveexec_b32 s4, s4
; %bb.89:
	v_and_b32_e32 v3, 0xffff, v67
	v_or_b32_e32 v4, 0x10000, v67
	s_delay_alu instid0(VALU_DEP_2) | instskip(NEXT) | instid1(VALU_DEP_2)
	v_cmp_eq_u32_e32 vcc_lo, 0, v3
	v_cndmask_b32_e32 v3, v4, v67, vcc_lo
; %bb.90:
	s_or_b32 exec_lo, exec_lo, s4
	v_and_b32_e32 v4, 0x7f800000, v68
	s_delay_alu instid0(VALU_DEP_1) | instskip(SKIP_1) | instid1(SALU_CYCLE_1)
	v_cmp_ne_u32_e32 vcc_lo, 0x7f800000, v4
                                        ; implicit-def: $vgpr4
	s_and_saveexec_b32 s4, vcc_lo
	s_xor_b32 s4, exec_lo, s4
; %bb.91:
	v_bfe_u32 v4, v68, 16, 1
	s_delay_alu instid0(VALU_DEP_1)
	v_add3_u32 v4, v68, v4, 0x7fff
; %bb.92:
	s_and_not1_saveexec_b32 s4, s4
; %bb.93:
	v_and_b32_e32 v4, 0xffff, v68
	v_or_b32_e32 v5, 0x10000, v68
	s_delay_alu instid0(VALU_DEP_2) | instskip(NEXT) | instid1(VALU_DEP_2)
	v_cmp_eq_u32_e32 vcc_lo, 0, v4
	v_cndmask_b32_e32 v4, v5, v68, vcc_lo
; %bb.94:
	s_or_b32 exec_lo, exec_lo, s4
	v_and_b32_e32 v5, 0x7f800000, v69
	s_delay_alu instid0(VALU_DEP_1) | instskip(SKIP_1) | instid1(SALU_CYCLE_1)
	v_cmp_ne_u32_e32 vcc_lo, 0x7f800000, v5
                                        ; implicit-def: $vgpr5
	s_and_saveexec_b32 s4, vcc_lo
	s_xor_b32 s4, exec_lo, s4
; %bb.95:
	v_bfe_u32 v5, v69, 16, 1
	s_delay_alu instid0(VALU_DEP_1)
	v_add3_u32 v5, v69, v5, 0x7fff
; %bb.96:
	s_and_not1_saveexec_b32 s4, s4
; %bb.97:
	v_and_b32_e32 v5, 0xffff, v69
	v_or_b32_e32 v6, 0x10000, v69
	s_delay_alu instid0(VALU_DEP_2) | instskip(NEXT) | instid1(VALU_DEP_2)
	v_cmp_eq_u32_e32 vcc_lo, 0, v5
	v_cndmask_b32_e32 v5, v6, v69, vcc_lo
; %bb.98:
	s_or_b32 exec_lo, exec_lo, s4
	v_and_b32_e32 v6, 0x7f800000, v70
	s_delay_alu instid0(VALU_DEP_1) | instskip(SKIP_1) | instid1(SALU_CYCLE_1)
	v_cmp_ne_u32_e32 vcc_lo, 0x7f800000, v6
                                        ; implicit-def: $vgpr6
	s_and_saveexec_b32 s4, vcc_lo
	s_xor_b32 s4, exec_lo, s4
; %bb.99:
	v_bfe_u32 v6, v70, 16, 1
	s_delay_alu instid0(VALU_DEP_1)
	v_add3_u32 v6, v70, v6, 0x7fff
; %bb.100:
	s_and_not1_saveexec_b32 s4, s4
; %bb.101:
	v_and_b32_e32 v6, 0xffff, v70
	v_or_b32_e32 v7, 0x10000, v70
	s_delay_alu instid0(VALU_DEP_2) | instskip(NEXT) | instid1(VALU_DEP_2)
	v_cmp_eq_u32_e32 vcc_lo, 0, v6
	v_cndmask_b32_e32 v6, v7, v70, vcc_lo
; %bb.102:
	s_or_b32 exec_lo, exec_lo, s4
	v_and_b32_e32 v7, 0x7f800000, v71
	s_delay_alu instid0(VALU_DEP_1) | instskip(SKIP_1) | instid1(SALU_CYCLE_1)
	v_cmp_ne_u32_e32 vcc_lo, 0x7f800000, v7
                                        ; implicit-def: $vgpr7
	s_and_saveexec_b32 s4, vcc_lo
	s_xor_b32 s4, exec_lo, s4
; %bb.103:
	v_bfe_u32 v7, v71, 16, 1
	s_delay_alu instid0(VALU_DEP_1)
	v_add3_u32 v7, v71, v7, 0x7fff
; %bb.104:
	s_and_not1_saveexec_b32 s4, s4
; %bb.105:
	v_and_b32_e32 v7, 0xffff, v71
	v_or_b32_e32 v8, 0x10000, v71
	s_delay_alu instid0(VALU_DEP_2) | instskip(NEXT) | instid1(VALU_DEP_2)
	v_cmp_eq_u32_e32 vcc_lo, 0, v7
	v_cndmask_b32_e32 v7, v8, v71, vcc_lo
; %bb.106:
	s_or_b32 exec_lo, exec_lo, s4
	v_and_b32_e32 v8, 0x7f800000, v72
	s_delay_alu instid0(VALU_DEP_1) | instskip(SKIP_1) | instid1(SALU_CYCLE_1)
	v_cmp_ne_u32_e32 vcc_lo, 0x7f800000, v8
                                        ; implicit-def: $vgpr8
	s_and_saveexec_b32 s4, vcc_lo
	s_xor_b32 s4, exec_lo, s4
; %bb.107:
	v_bfe_u32 v8, v72, 16, 1
	s_delay_alu instid0(VALU_DEP_1)
	v_add3_u32 v8, v72, v8, 0x7fff
                                        ; implicit-def: $vgpr65_vgpr66_vgpr67_vgpr68_vgpr69_vgpr70_vgpr71_vgpr72
; %bb.108:
	s_and_not1_saveexec_b32 s4, s4
; %bb.109:
	v_and_b32_e32 v8, 0xffff, v72
	v_or_b32_e32 v9, 0x10000, v72
	s_delay_alu instid0(VALU_DEP_2) | instskip(NEXT) | instid1(VALU_DEP_2)
	v_cmp_eq_u32_e32 vcc_lo, 0, v8
	v_cndmask_b32_e32 v8, v9, v72, vcc_lo
; %bb.110:
	s_or_b32 exec_lo, exec_lo, s4
	s_delay_alu instid0(VALU_DEP_1)
	v_perm_b32 v7, v8, v7, 0x7060302
	v_perm_b32 v6, v6, v5, 0x7060302
	;; [unrolled: 1-line block ×4, first 2 shown]
	s_barrier
	buffer_gl0_inv
	v_cmp_eq_u32_e32 vcc_lo, 1, v78
	ds_store_b128 v76, v[4:7]
	s_waitcnt lgkmcnt(0)
	s_barrier
	buffer_gl0_inv
	ds_load_b128 v[1:4], v82
	ds_load_b128 v[5:8], v82 offset:16
	v_cmp_eq_u32_e64 s4, 1, v79
	v_cmp_eq_u32_e64 s5, 2, v78
	;; [unrolled: 1-line block ×5, first 2 shown]
	s_waitcnt lgkmcnt(1)
	v_lshrrev_b32_e32 v9, 16, v1
	s_waitcnt lgkmcnt(0)
	v_lshrrev_b32_e32 v13, 16, v5
	v_lshrrev_b32_e32 v10, 16, v2
	;; [unrolled: 1-line block ×4, first 2 shown]
	v_cndmask_b32_e64 v19, v1, v9, s4
	v_cndmask_b32_e32 v18, v5, v13, vcc_lo
	v_cndmask_b32_e64 v20, v5, v13, s4
	v_cndmask_b32_e32 v17, v1, v9, vcc_lo
	v_cmp_eq_u32_e32 vcc_lo, 2, v79
	v_lshrrev_b32_e32 v15, 16, v7
	v_cmp_eq_u32_e64 s4, 1, v77
	v_lshrrev_b32_e32 v12, 16, v4
	v_lshrrev_b32_e32 v16, 16, v8
	v_cndmask_b32_e32 v20, v20, v6, vcc_lo
	v_cndmask_b32_e64 v17, v17, v2, s5
	v_cndmask_b32_e32 v19, v19, v2, vcc_lo
	v_cndmask_b32_e64 v18, v18, v6, s5
	v_cmp_eq_u32_e32 vcc_lo, 4, v78
	v_cmp_eq_u32_e64 s5, 3, v79
	v_cndmask_b32_e64 v17, v17, v10, s6
	v_cndmask_b32_e64 v21, v1, v9, s4
	;; [unrolled: 1-line block ×5, first 2 shown]
	v_cndmask_b32_e32 v17, v17, v3, vcc_lo
	v_cndmask_b32_e64 v20, v20, v14, s5
	v_cndmask_b32_e32 v18, v18, v7, vcc_lo
	v_cmp_eq_u32_e32 vcc_lo, 4, v79
	v_cmp_eq_u32_e64 s5, 5, v79
	v_cmp_eq_u32_e64 s4, 2, v81
	v_cndmask_b32_e64 v21, v21, v2, s8
	v_cmp_eq_u32_e64 s6, 5, v78
	v_cndmask_b32_e32 v19, v19, v3, vcc_lo
	v_cndmask_b32_e32 v20, v20, v7, vcc_lo
	v_cmp_eq_u32_e32 vcc_lo, 6, v79
	s_delay_alu instid0(VALU_DEP_4) | instskip(NEXT) | instid1(VALU_DEP_4)
	v_cndmask_b32_e64 v17, v17, v11, s6
	v_cndmask_b32_e64 v19, v19, v11, s5
	s_delay_alu instid0(VALU_DEP_4) | instskip(SKIP_1) | instid1(VALU_DEP_3)
	v_cndmask_b32_e64 v20, v20, v15, s5
	v_cmp_eq_u32_e64 s5, 1, v81
	v_cndmask_b32_e32 v19, v19, v4, vcc_lo
	v_cndmask_b32_e64 v18, v18, v15, s6
	s_delay_alu instid0(VALU_DEP_3)
	v_cndmask_b32_e64 v1, v1, v9, s5
	v_cndmask_b32_e64 v5, v5, v13, s5
	v_cmp_eq_u32_e64 s5, 3, v77
	v_cndmask_b32_e64 v13, v22, v6, s8
	v_cmp_eq_u32_e64 s8, 3, v81
	v_cndmask_b32_e64 v1, v1, v2, s4
	v_cndmask_b32_e64 v2, v5, v6, s4
	;; [unrolled: 1-line block ×3, first 2 shown]
	v_cmp_eq_u32_e64 s4, 4, v77
	v_cndmask_b32_e64 v6, v13, v14, s5
	v_cndmask_b32_e64 v1, v1, v10, s8
	v_cmp_eq_u32_e64 s5, 4, v81
	v_cndmask_b32_e64 v2, v2, v14, s8
	v_cndmask_b32_e64 v5, v9, v3, s4
	;; [unrolled: 3-line block ×3, first 2 shown]
	v_cndmask_b32_e64 v2, v2, v7, s5
	v_cmp_eq_u32_e64 s4, 5, v81
	v_cmp_eq_u32_e64 s6, 6, v78
	v_cndmask_b32_e64 v5, v5, v11, s8
	v_cmp_eq_u32_e64 s5, 6, v77
	v_cndmask_b32_e64 v3, v6, v15, s8
	v_cndmask_b32_e64 v1, v1, v11, s4
	v_cmp_eq_u32_e64 s8, 6, v81
	v_cndmask_b32_e64 v2, v2, v15, s4
	v_cndmask_b32_e64 v17, v17, v4, s6
	v_cndmask_b32_e64 v18, v18, v8, s6
	v_cmp_eq_u32_e64 s6, 7, v78
	v_cndmask_b32_e64 v5, v5, v4, s5
	;; [unrolled: 4-line block ×3, first 2 shown]
	v_cmp_eq_u32_e64 s5, 7, v77
	v_cndmask_b32_e32 v4, v20, v8, vcc_lo
	v_cndmask_b32_e64 v17, v17, v12, s6
	v_cndmask_b32_e64 v19, v19, v12, s7
	;; [unrolled: 1-line block ×8, first 2 shown]
	v_cmp_gt_u32_e32 vcc_lo, 32, v0
	v_perm_b32 v4, v2, v1, 0x5040100
	v_perm_b32 v3, v3, v5, 0x5040100
	;; [unrolled: 1-line block ×4, first 2 shown]
	s_and_b32 s2, vcc_lo, s2
	ds_store_b128 v76, v[1:4]
	s_waitcnt lgkmcnt(0)
	s_barrier
	buffer_gl0_inv
	s_and_saveexec_b32 s4, s2
	s_cbranch_execz .LBB1400_2
; %bb.111:
	s_load_b64 s[4:5], s[0:1], 0x68
	v_add_nc_u32_e32 v20, s31, v74
	v_lshlrev_b32_e32 v0, 10, v0
	v_lshlrev_b32_e32 v1, 4, v75
	s_lshl_b32 s0, s36, 6
	s_delay_alu instid0(SALU_CYCLE_1)
	s_mul_i32 s1, s0, s34
	v_add_nc_u32_e32 v2, 2, v20
	s_mul_i32 s6, s1, s9
	v_and_or_b32 v0, 0x3800, v0, v1
	v_mul_lo_u32 v1, v20, s0
	s_ashr_i32 s7, s6, 31
	v_mul_lo_u32 v11, v2, s0
	s_lshl_b64 s[6:7], s[6:7], 1
	v_add_nc_u32_e32 v3, 4, v20
	v_lshl_or_b32 v21, v74, 6, v0
	v_add_nc_u32_e32 v16, 6, v20
	v_ashrrev_i32_e32 v2, 31, v1
	s_delay_alu instid0(VALU_DEP_4)
	v_mul_lo_u32 v13, v3, s0
	s_waitcnt lgkmcnt(0)
	s_add_u32 s1, s4, s6
	s_addc_u32 s2, s5, s7
	s_lshl_b32 s4, s14, 6
	ds_load_b128 v[3:6], v21
	ds_load_b128 v[7:10], v21 offset:128
	s_ashr_i32 s5, s4, 31
	v_ashrrev_i32_e32 v12, 31, v11
	s_lshl_b64 s[4:5], s[4:5], 1
	v_lshlrev_b64 v[14:15], 1, v[1:2]
	s_add_u32 s1, s1, s4
	s_addc_u32 s2, s2, s5
	v_add_co_u32 v1, s1, s1, v73
	s_delay_alu instid0(VALU_DEP_1) | instskip(SKIP_1) | instid1(VALU_DEP_3)
	v_add_co_ci_u32_e64 v2, null, s2, 0, s1
	v_lshlrev_b64 v[11:12], 1, v[11:12]
	v_add_co_u32 v18, vcc_lo, v1, v14
	v_mul_lo_u32 v16, v16, s0
	s_delay_alu instid0(VALU_DEP_4) | instskip(NEXT) | instid1(VALU_DEP_4)
	v_add_co_ci_u32_e32 v19, vcc_lo, v2, v15, vcc_lo
	v_add_co_u32 v11, vcc_lo, v1, v11
	v_ashrrev_i32_e32 v14, 31, v13
	v_add_co_ci_u32_e32 v12, vcc_lo, v2, v12, vcc_lo
	v_add_nc_u32_e32 v15, 8, v20
	v_ashrrev_i32_e32 v17, 31, v16
	s_waitcnt lgkmcnt(1)
	global_store_b128 v[18:19], v[3:6], off
	v_lshlrev_b64 v[3:4], 1, v[13:14]
	s_waitcnt lgkmcnt(0)
	global_store_b128 v[11:12], v[7:10], off
	v_mul_lo_u32 v11, v15, s0
	v_add_nc_u32_e32 v7, 10, v20
	v_lshlrev_b64 v[5:6], 1, v[16:17]
	v_add_co_u32 v23, vcc_lo, v1, v3
	v_add_nc_u32_e32 v3, 12, v20
	s_delay_alu instid0(VALU_DEP_4)
	v_mul_lo_u32 v25, v7, s0
	v_ashrrev_i32_e32 v12, 31, v11
	v_add_co_ci_u32_e32 v24, vcc_lo, v2, v4, vcc_lo
	v_add_co_u32 v27, vcc_lo, v1, v5
	v_mul_lo_u32 v29, v3, s0
	v_add_co_ci_u32_e32 v28, vcc_lo, v2, v6, vcc_lo
	ds_load_b128 v[3:6], v21 offset:256
	ds_load_b128 v[7:10], v21 offset:384
	v_lshlrev_b64 v[31:32], 1, v[11:12]
	ds_load_b128 v[11:14], v21 offset:512
	ds_load_b128 v[15:18], v21 offset:640
	;; [unrolled: 1-line block ×3, first 2 shown]
	v_ashrrev_i32_e32 v26, 31, v25
	v_ashrrev_i32_e32 v30, 31, v29
	v_add_co_u32 v31, vcc_lo, v1, v31
	s_delay_alu instid0(VALU_DEP_3) | instskip(NEXT) | instid1(VALU_DEP_3)
	v_lshlrev_b64 v[25:26], 1, v[25:26]
	v_lshlrev_b64 v[29:30], 1, v[29:30]
	v_add_co_ci_u32_e32 v32, vcc_lo, v2, v32, vcc_lo
	s_delay_alu instid0(VALU_DEP_3) | instskip(NEXT) | instid1(VALU_DEP_4)
	v_add_co_u32 v25, vcc_lo, v1, v25
	v_add_co_ci_u32_e32 v26, vcc_lo, v2, v26, vcc_lo
	s_delay_alu instid0(VALU_DEP_4)
	v_add_co_u32 v29, vcc_lo, v1, v29
	v_add_co_ci_u32_e32 v30, vcc_lo, v2, v30, vcc_lo
	s_waitcnt lgkmcnt(4)
	global_store_b128 v[23:24], v[3:6], off
	s_waitcnt lgkmcnt(3)
	global_store_b128 v[27:28], v[7:10], off
	;; [unrolled: 2-line block ×5, first 2 shown]
	s_and_b32 exec_lo, exec_lo, s3
	s_cbranch_execz .LBB1400_2
; %bb.112:
	ds_load_b128 v[3:6], v0 offset:896
	s_add_i32 s1, s31, 14
	s_delay_alu instid0(SALU_CYCLE_1) | instskip(NEXT) | instid1(SALU_CYCLE_1)
	s_mul_i32 s0, s1, s0
	s_ashr_i32 s1, s0, 31
	s_delay_alu instid0(SALU_CYCLE_1) | instskip(NEXT) | instid1(SALU_CYCLE_1)
	s_lshl_b64 s[0:1], s[0:1], 1
	v_add_co_u32 v0, vcc_lo, v1, s0
	v_add_co_ci_u32_e32 v1, vcc_lo, s1, v2, vcc_lo
	s_waitcnt lgkmcnt(0)
	global_store_b128 v[0:1], v[3:6], off
	s_nop 0
	s_sendmsg sendmsg(MSG_DEALLOC_VGPRS)
	s_endpgm
	.section	.rodata,"a",@progbits
	.p2align	6, 0x0
	.amdhsa_kernel _Z39paged_attention_ll4mi_QKV_mfma16_kernelI14__hip_bfloat16hLN4vllm18Fp8KVCacheDataTypeE1ES0_Li16ELi64ELi256ELb1ELi15EL8MFMAType1EEvPKT_PKT0_S9_ifPKiSB_SB_iPKfiiiPfSE_PS4_PT2_iSD_SD_
		.amdhsa_group_segment_fixed_size 17472
		.amdhsa_private_segment_fixed_size 0
		.amdhsa_kernarg_size 400
		.amdhsa_user_sgpr_count 13
		.amdhsa_user_sgpr_dispatch_ptr 0
		.amdhsa_user_sgpr_queue_ptr 0
		.amdhsa_user_sgpr_kernarg_segment_ptr 1
		.amdhsa_user_sgpr_dispatch_id 0
		.amdhsa_user_sgpr_private_segment_size 0
		.amdhsa_wavefront_size32 1
		.amdhsa_uses_dynamic_stack 0
		.amdhsa_enable_private_segment 0
		.amdhsa_system_sgpr_workgroup_id_x 1
		.amdhsa_system_sgpr_workgroup_id_y 1
		.amdhsa_system_sgpr_workgroup_id_z 1
		.amdhsa_system_sgpr_workgroup_info 0
		.amdhsa_system_vgpr_workitem_id 0
		.amdhsa_next_free_vgpr 124
		.amdhsa_next_free_sgpr 40
		.amdhsa_reserve_vcc 1
		.amdhsa_float_round_mode_32 0
		.amdhsa_float_round_mode_16_64 0
		.amdhsa_float_denorm_mode_32 3
		.amdhsa_float_denorm_mode_16_64 3
		.amdhsa_dx10_clamp 1
		.amdhsa_ieee_mode 1
		.amdhsa_fp16_overflow 0
		.amdhsa_workgroup_processor_mode 1
		.amdhsa_memory_ordered 1
		.amdhsa_forward_progress 0
		.amdhsa_shared_vgpr_count 0
		.amdhsa_exception_fp_ieee_invalid_op 0
		.amdhsa_exception_fp_denorm_src 0
		.amdhsa_exception_fp_ieee_div_zero 0
		.amdhsa_exception_fp_ieee_overflow 0
		.amdhsa_exception_fp_ieee_underflow 0
		.amdhsa_exception_fp_ieee_inexact 0
		.amdhsa_exception_int_div_zero 0
	.end_amdhsa_kernel
	.section	.text._Z39paged_attention_ll4mi_QKV_mfma16_kernelI14__hip_bfloat16hLN4vllm18Fp8KVCacheDataTypeE1ES0_Li16ELi64ELi256ELb1ELi15EL8MFMAType1EEvPKT_PKT0_S9_ifPKiSB_SB_iPKfiiiPfSE_PS4_PT2_iSD_SD_,"axG",@progbits,_Z39paged_attention_ll4mi_QKV_mfma16_kernelI14__hip_bfloat16hLN4vllm18Fp8KVCacheDataTypeE1ES0_Li16ELi64ELi256ELb1ELi15EL8MFMAType1EEvPKT_PKT0_S9_ifPKiSB_SB_iPKfiiiPfSE_PS4_PT2_iSD_SD_,comdat
.Lfunc_end1400:
	.size	_Z39paged_attention_ll4mi_QKV_mfma16_kernelI14__hip_bfloat16hLN4vllm18Fp8KVCacheDataTypeE1ES0_Li16ELi64ELi256ELb1ELi15EL8MFMAType1EEvPKT_PKT0_S9_ifPKiSB_SB_iPKfiiiPfSE_PS4_PT2_iSD_SD_, .Lfunc_end1400-_Z39paged_attention_ll4mi_QKV_mfma16_kernelI14__hip_bfloat16hLN4vllm18Fp8KVCacheDataTypeE1ES0_Li16ELi64ELi256ELb1ELi15EL8MFMAType1EEvPKT_PKT0_S9_ifPKiSB_SB_iPKfiiiPfSE_PS4_PT2_iSD_SD_
                                        ; -- End function
	.section	.AMDGPU.csdata,"",@progbits
; Kernel info:
; codeLenInByte = 9008
; NumSgprs: 42
; NumVgprs: 124
; ScratchSize: 0
; MemoryBound: 0
; FloatMode: 240
; IeeeMode: 1
; LDSByteSize: 17472 bytes/workgroup (compile time only)
; SGPRBlocks: 5
; VGPRBlocks: 15
; NumSGPRsForWavesPerEU: 42
; NumVGPRsForWavesPerEU: 124
; Occupancy: 10
; WaveLimiterHint : 1
; COMPUTE_PGM_RSRC2:SCRATCH_EN: 0
; COMPUTE_PGM_RSRC2:USER_SGPR: 13
; COMPUTE_PGM_RSRC2:TRAP_HANDLER: 0
; COMPUTE_PGM_RSRC2:TGID_X_EN: 1
; COMPUTE_PGM_RSRC2:TGID_Y_EN: 1
; COMPUTE_PGM_RSRC2:TGID_Z_EN: 1
; COMPUTE_PGM_RSRC2:TIDIG_COMP_CNT: 0
	.section	.text._Z39paged_attention_ll4mi_QKV_mfma16_kernelI14__hip_bfloat16hLN4vllm18Fp8KVCacheDataTypeE1ES0_Li16ELi64ELi256ELb1ELi16EL8MFMAType1EEvPKT_PKT0_S9_ifPKiSB_SB_iPKfiiiPfSE_PS4_PT2_iSD_SD_,"axG",@progbits,_Z39paged_attention_ll4mi_QKV_mfma16_kernelI14__hip_bfloat16hLN4vllm18Fp8KVCacheDataTypeE1ES0_Li16ELi64ELi256ELb1ELi16EL8MFMAType1EEvPKT_PKT0_S9_ifPKiSB_SB_iPKfiiiPfSE_PS4_PT2_iSD_SD_,comdat
	.protected	_Z39paged_attention_ll4mi_QKV_mfma16_kernelI14__hip_bfloat16hLN4vllm18Fp8KVCacheDataTypeE1ES0_Li16ELi64ELi256ELb1ELi16EL8MFMAType1EEvPKT_PKT0_S9_ifPKiSB_SB_iPKfiiiPfSE_PS4_PT2_iSD_SD_ ; -- Begin function _Z39paged_attention_ll4mi_QKV_mfma16_kernelI14__hip_bfloat16hLN4vllm18Fp8KVCacheDataTypeE1ES0_Li16ELi64ELi256ELb1ELi16EL8MFMAType1EEvPKT_PKT0_S9_ifPKiSB_SB_iPKfiiiPfSE_PS4_PT2_iSD_SD_
	.globl	_Z39paged_attention_ll4mi_QKV_mfma16_kernelI14__hip_bfloat16hLN4vllm18Fp8KVCacheDataTypeE1ES0_Li16ELi64ELi256ELb1ELi16EL8MFMAType1EEvPKT_PKT0_S9_ifPKiSB_SB_iPKfiiiPfSE_PS4_PT2_iSD_SD_
	.p2align	8
	.type	_Z39paged_attention_ll4mi_QKV_mfma16_kernelI14__hip_bfloat16hLN4vllm18Fp8KVCacheDataTypeE1ES0_Li16ELi64ELi256ELb1ELi16EL8MFMAType1EEvPKT_PKT0_S9_ifPKiSB_SB_iPKfiiiPfSE_PS4_PT2_iSD_SD_,@function
_Z39paged_attention_ll4mi_QKV_mfma16_kernelI14__hip_bfloat16hLN4vllm18Fp8KVCacheDataTypeE1ES0_Li16ELi64ELi256ELb1ELi16EL8MFMAType1EEvPKT_PKT0_S9_ifPKiSB_SB_iPKfiiiPfSE_PS4_PT2_iSD_SD_: ; @_Z39paged_attention_ll4mi_QKV_mfma16_kernelI14__hip_bfloat16hLN4vllm18Fp8KVCacheDataTypeE1ES0_Li16ELi64ELi256ELb1ELi16EL8MFMAType1EEvPKT_PKT0_S9_ifPKiSB_SB_iPKfiiiPfSE_PS4_PT2_iSD_SD_
; %bb.0:
	s_load_b64 s[2:3], s[0:1], 0x30
	s_mov_b32 s30, s13
	s_waitcnt lgkmcnt(0)
	s_cmp_lg_u64 s[2:3], 0
	s_cselect_b32 s8, -1, 0
	s_ashr_i32 s31, s13, 31
	s_cmp_eq_u64 s[2:3], 0
	s_cbranch_scc1 .LBB1401_3
; %bb.1:
	s_lshl_b64 s[4:5], s[30:31], 2
	s_delay_alu instid0(SALU_CYCLE_1) | instskip(SKIP_4) | instid1(SALU_CYCLE_1)
	s_add_u32 s4, s2, s4
	s_addc_u32 s5, s3, s5
	s_load_b64 s[4:5], s[4:5], 0x0
	s_waitcnt lgkmcnt(0)
	s_sub_i32 s4, s5, s4
	s_cmp_eq_u32 s4, 1
	s_cselect_b32 s4, -1, 0
	s_delay_alu instid0(SALU_CYCLE_1)
	s_and_not1_b32 vcc_lo, exec_lo, s4
	s_cbranch_vccz .LBB1401_4
.LBB1401_2:
	s_endpgm
.LBB1401_3:
.LBB1401_4:
	s_load_b64 s[4:5], s[0:1], 0x28
	s_lshl_b64 s[6:7], s[30:31], 2
	s_waitcnt lgkmcnt(0)
	s_add_u32 s4, s4, s6
	s_addc_u32 s5, s5, s7
	s_lshl_b32 s12, s14, 8
	s_load_b32 s24, s[4:5], 0x0
	s_waitcnt lgkmcnt(0)
	s_cmp_ge_i32 s12, s24
	s_cbranch_scc1 .LBB1401_2
; %bb.5:
	s_clause 0x1
	s_load_b128 s[20:23], s[0:1], 0x8
	s_load_b64 s[4:5], s[0:1], 0x20
	s_and_not1_b32 vcc_lo, exec_lo, s8
	s_cbranch_vccnz .LBB1401_7
; %bb.6:
	s_add_u32 s2, s2, s6
	s_addc_u32 s3, s3, s7
	s_load_b32 s3, s[2:3], 0x0
	s_branch .LBB1401_8
.LBB1401_7:
	s_mov_b32 s3, s30
.LBB1401_8:
	s_load_b128 s[16:19], s[0:1], 0x48
	v_and_b32_e32 v66, 15, v0
	v_cmp_gt_u32_e32 vcc_lo, 0x100, v0
	v_lshrrev_b32_e32 v65, 5, v0
	v_and_b32_e32 v67, 31, v0
	v_and_b32_e32 v75, 1, v0
	v_lshlrev_b32_e32 v1, 3, v66
	v_cmp_gt_u32_e64 s2, 8, v66
	v_bfe_u32 v74, v0, 4, 1
	s_lshl_b32 s31, s15, 4
	s_delay_alu instid0(VALU_DEP_3) | instskip(NEXT) | instid1(VALU_DEP_3)
	v_lshlrev_b32_e32 v73, 1, v1
	s_and_b32 s7, vcc_lo, s2
	s_delay_alu instid0(SALU_CYCLE_1)
	s_and_saveexec_b32 s6, s7
	s_cbranch_execz .LBB1401_10
; %bb.9:
	v_lshl_or_b32 v5, v65, 1, v74
	s_load_b64 s[8:9], s[0:1], 0x0
	s_waitcnt lgkmcnt(0)
	s_mul_hi_i32 s11, s3, s16
	s_mul_i32 s10, s3, s16
	v_lshlrev_b32_e32 v6, 10, v66
	v_or_b32_e32 v1, s31, v5
	s_lshl_b64 s[10:11], s[10:11], 1
	v_lshlrev_b32_e32 v5, 6, v5
	v_lshlrev_b32_e32 v7, 10, v75
	v_and_b32_e32 v6, 0x3800, v6
	v_lshlrev_b32_e32 v1, 6, v1
	s_delay_alu instid0(VALU_DEP_2) | instskip(NEXT) | instid1(VALU_DEP_2)
	v_or3_b32 v5, v6, v7, v5
	v_ashrrev_i32_e32 v2, 31, v1
	s_delay_alu instid0(VALU_DEP_1) | instskip(SKIP_2) | instid1(VALU_DEP_1)
	v_lshlrev_b64 v[1:2], 1, v[1:2]
	s_add_u32 s3, s8, s10
	s_addc_u32 s7, s9, s11
	v_add_co_u32 v1, vcc_lo, s3, v1
	s_delay_alu instid0(VALU_DEP_2) | instskip(NEXT) | instid1(VALU_DEP_2)
	v_add_co_ci_u32_e32 v2, vcc_lo, s7, v2, vcc_lo
	v_add_co_u32 v1, vcc_lo, v1, v73
	s_delay_alu instid0(VALU_DEP_2)
	v_add_co_ci_u32_e32 v2, vcc_lo, 0, v2, vcc_lo
	global_load_b128 v[1:4], v[1:2], off
	s_waitcnt vmcnt(0)
	ds_store_b128 v5, v[1:4]
.LBB1401_10:
	s_or_b32 exec_lo, exec_lo, s6
	v_and_b32_e32 v1, 0xef, v0
	s_waitcnt lgkmcnt(0)
	s_add_i32 s3, s24, 15
	s_clause 0x1
	s_load_b32 s6, s[0:1], 0x38
	s_load_b32 s19, s[0:1], 0x1c
	s_ashr_i32 s7, s3, 31
	v_add_nc_u32_e32 v1, s12, v1
	s_lshr_b32 s7, s7, 28
	s_waitcnt lgkmcnt(0)
	s_add_i32 s3, s3, s7
	s_barrier
	v_ashrrev_i32_e32 v2, 31, v1
	v_or_b32_e32 v3, 16, v1
	s_ashr_i32 s3, s3, 4
	v_cmp_gt_i32_e32 vcc_lo, s24, v1
	s_add_i32 s3, s3, -1
	v_lshrrev_b32_e32 v2, 28, v2
	buffer_gl0_inv
	s_mul_i32 s27, s15, s18
	v_add_nc_u32_e32 v4, v1, v2
	s_mul_i32 s6, s30, s6
	s_delay_alu instid0(SALU_CYCLE_1) | instskip(NEXT) | instid1(VALU_DEP_1)
	s_ashr_i32 s7, s6, 31
	v_ashrrev_i32_e32 v4, 4, v4
	v_add_nc_u32_e32 v2, v3, v2
	s_lshl_b64 s[6:7], s[6:7], 2
	s_delay_alu instid0(SALU_CYCLE_1) | instskip(NEXT) | instid1(VALU_DEP_2)
	s_add_u32 s26, s4, s6
	v_cndmask_b32_e32 v1, s3, v4, vcc_lo
	s_delay_alu instid0(VALU_DEP_2)
	v_ashrrev_i32_e32 v2, 4, v2
	v_cmp_gt_i32_e32 vcc_lo, s24, v3
	s_addc_u32 s25, s5, s7
	s_ashr_i32 s28, s27, 31
	s_add_u32 s13, s20, s27
	s_addc_u32 s15, s21, s28
	v_cndmask_b32_e32 v3, s3, v2, vcc_lo
	v_ashrrev_i32_e32 v2, 31, v1
	s_lshl_b32 s4, s14, 4
	s_delay_alu instid0(SALU_CYCLE_1) | instskip(NEXT) | instid1(VALU_DEP_2)
	s_ashr_i32 s5, s4, 31
	v_ashrrev_i32_e32 v4, 31, v3
	s_delay_alu instid0(VALU_DEP_2) | instskip(SKIP_1) | instid1(SALU_CYCLE_1)
	v_lshlrev_b64 v[1:2], 2, v[1:2]
	s_lshl_b64 s[4:5], s[4:5], 2
	s_add_u32 s4, s26, s4
	s_delay_alu instid0(VALU_DEP_2) | instskip(SKIP_1) | instid1(VALU_DEP_2)
	v_lshlrev_b64 v[3:4], 2, v[3:4]
	s_addc_u32 s5, s25, s5
	v_add_co_u32 v1, vcc_lo, s26, v1
	v_add_co_ci_u32_e32 v2, vcc_lo, s25, v2, vcc_lo
	s_delay_alu instid0(VALU_DEP_3) | instskip(NEXT) | instid1(VALU_DEP_4)
	v_add_co_u32 v3, vcc_lo, s26, v3
	v_add_co_ci_u32_e32 v4, vcc_lo, s25, v4, vcc_lo
	s_clause 0x1
	global_load_b32 v5, v[1:2], off
	global_load_b32 v7, v[3:4], off
	s_or_b32 s6, s12, 32
	v_lshlrev_b32_e32 v1, 4, v0
	s_ashr_i32 s7, s6, 4
	s_cmp_lt_i32 s6, s24
	s_cselect_b32 s6, s7, s3
	s_delay_alu instid0(VALU_DEP_1) | instskip(SKIP_1) | instid1(SALU_CYCLE_1)
	v_and_b32_e32 v1, 0xf0, v1
	s_ashr_i32 s7, s6, 31
	s_lshl_b64 s[6:7], s[6:7], 2
	s_delay_alu instid0(SALU_CYCLE_1)
	s_add_u32 s6, s26, s6
	s_addc_u32 s7, s25, s7
	s_or_b32 s8, s12, 64
	v_add_co_u32 v1, s13, s13, v1
	s_ashr_i32 s9, s8, 4
	s_cmp_lt_i32 s8, s24
	v_add_co_ci_u32_e64 v2, null, s15, 0, s13
	s_cselect_b32 s8, s9, s3
	s_delay_alu instid0(SALU_CYCLE_1) | instskip(NEXT) | instid1(SALU_CYCLE_1)
	s_ashr_i32 s9, s8, 31
	s_lshl_b64 s[8:9], s[8:9], 2
	s_delay_alu instid0(SALU_CYCLE_1) | instskip(SKIP_2) | instid1(SALU_CYCLE_1)
	s_add_u32 s8, s26, s8
	s_addc_u32 s9, s25, s9
	s_or_b32 s10, s12, 0x60
	s_ashr_i32 s11, s10, 4
	s_cmp_lt_i32 s10, s24
	s_cselect_b32 s10, s11, s3
	s_delay_alu instid0(SALU_CYCLE_1) | instskip(NEXT) | instid1(SALU_CYCLE_1)
	s_ashr_i32 s11, s10, 31
	s_lshl_b64 s[10:11], s[10:11], 2
	s_delay_alu instid0(SALU_CYCLE_1) | instskip(SKIP_2) | instid1(SALU_CYCLE_1)
	s_add_u32 s10, s26, s10
	s_addc_u32 s11, s25, s11
	s_or_b32 s16, s12, 0x80
	s_ashr_i32 s18, s16, 4
	s_cmp_lt_i32 s16, s24
	;; [unrolled: 10-line block ×3, first 2 shown]
	s_cselect_b32 s20, s18, s3
	s_delay_alu instid0(SALU_CYCLE_1) | instskip(NEXT) | instid1(SALU_CYCLE_1)
	s_ashr_i32 s21, s20, 31
	s_lshl_b64 s[20:21], s[20:21], 2
	s_delay_alu instid0(SALU_CYCLE_1)
	s_add_u32 s36, s26, s20
	s_addc_u32 s37, s25, s21
	s_clause 0x5
	s_load_b32 s21, s[4:5], 0x0
	s_load_b32 s13, s[6:7], 0x0
	;; [unrolled: 1-line block ×6, first 2 shown]
	s_or_b32 s6, s12, 0xc0
	s_mov_b32 s4, 0
	s_ashr_i32 s7, s6, 4
	s_cmp_lt_i32 s6, s24
	s_mov_b32 s5, s4
	s_cselect_b32 s10, s7, s3
	s_mov_b32 s6, s4
	s_ashr_i32 s11, s10, 31
	s_mov_b32 s7, s4
	s_lshl_b64 s[10:11], s[10:11], 2
	s_mov_b32 s8, s4
	s_add_u32 s34, s26, s10
	s_addc_u32 s35, s25, s11
	s_or_b32 s11, s12, 0xe0
	s_mov_b32 s9, s4
	s_ashr_i32 s29, s11, 4
	s_cmp_lt_i32 s11, s24
	s_mov_b32 s11, s4
	s_cselect_b32 s36, s29, s3
	s_mov_b32 s10, s4
	s_ashr_i32 s37, s36, 31
	v_mov_b32_e32 v108, s11
	v_mov_b32_e32 v102, s5
	v_dual_mov_b32 v105, s8 :: v_dual_lshlrev_b32 v76, 6, v66
	v_dual_mov_b32 v107, s10 :: v_dual_mov_b32 v106, s9
	v_dual_mov_b32 v104, s7 :: v_dual_mov_b32 v103, s6
	v_mov_b32_e32 v101, s4
	s_lshl_b64 s[4:5], s[36:37], 2
	s_delay_alu instid0(SALU_CYCLE_1)
	s_add_u32 s4, s26, s4
	s_addc_u32 s5, s25, s5
	s_add_u32 s6, s22, s27
	s_addc_u32 s7, s23, s28
	s_waitcnt vmcnt(1)
	v_mad_i64_i32 v[3:4], null, v5, s17, v[1:2]
	s_waitcnt vmcnt(0)
	v_mad_i64_i32 v[5:6], null, v7, s17, v[1:2]
	v_lshlrev_b32_e32 v1, 4, v66
	s_clause 0x7
	global_load_b128 v[49:52], v[3:4], off
	global_load_b128 v[53:56], v[3:4], off offset:256
	global_load_b128 v[77:80], v[5:6], off
	global_load_b128 v[81:84], v[5:6], off offset:256
	global_load_b128 v[85:88], v[3:4], off offset:512
	;; [unrolled: 1-line block ×5, first 2 shown]
	v_lshl_or_b32 v1, v65, 8, v1
	s_load_b32 s3, s[34:35], 0x0
	ds_load_b128 v[109:112], v76
	ds_load_b128 v[113:116], v76 offset:1024
	s_load_b32 s4, s[4:5], 0x0
	v_add_co_u32 v9, s6, s6, v1
	s_delay_alu instid0(VALU_DEP_1) | instskip(SKIP_1) | instid1(VALU_DEP_1)
	v_add_co_ci_u32_e64 v10, null, s7, 0, s6
	s_waitcnt lgkmcnt(0)
	v_mad_i64_i32 v[1:2], null, s21, s17, v[9:10]
	v_mad_i64_i32 v[3:4], null, s13, s17, v[9:10]
	v_mad_i64_i32 v[5:6], null, s15, s17, v[9:10]
	v_mad_i64_i32 v[7:8], null, s16, s17, v[9:10]
	v_mad_i64_i32 v[13:14], null, s20, s17, v[9:10]
	v_mad_i64_i32 v[11:12], null, s18, s17, v[9:10]
	v_mad_i64_i32 v[21:22], null, s3, s17, v[9:10]
	s_clause 0x9
	global_load_b128 v[57:60], v[1:2], off
	global_load_b128 v[61:64], v[1:2], off offset:16
	global_load_b128 v[41:44], v[3:4], off
	global_load_b128 v[45:48], v[3:4], off offset:16
	;; [unrolled: 2-line block ×5, first 2 shown]
	v_mad_i64_i32 v[68:69], null, s4, s17, v[9:10]
	s_clause 0x3
	global_load_b128 v[9:12], v[13:14], off
	global_load_b128 v[13:16], v[13:14], off offset:16
	global_load_b128 v[17:20], v[21:22], off
	global_load_b128 v[21:24], v[21:22], off offset:16
	s_waitcnt vmcnt(20)
	v_wmma_f32_16x16x16_bf16 v[117:124], v[49:56], v[109:116], v[101:108]
	s_clause 0x1
	global_load_b128 v[49:52], v[68:69], off
	global_load_b128 v[53:56], v[68:69], off offset:16
	v_and_b32_e32 v68, 0xe0, v0
	v_mbcnt_lo_u32_b32 v69, -1, 0
	s_delay_alu instid0(VALU_DEP_2)
	v_add_nc_u32_e32 v68, s12, v68
	s_waitcnt vmcnt(20)
	v_wmma_f32_16x16x16_bf16 v[101:108], v[77:84], v[109:116], v[101:108]
	ds_load_b128 v[77:80], v76 offset:2048
	ds_load_b128 v[81:84], v76 offset:3072
	v_xor_b32_e32 v70, 16, v69
	s_waitcnt vmcnt(0) lgkmcnt(0)
	v_or_b32_e32 v68, v68, v74
	s_barrier
	buffer_gl0_inv
	v_cmp_gt_i32_e32 vcc_lo, 32, v70
	v_or_b32_e32 v71, 4, v68
	v_or_b32_e32 v72, 6, v68
	v_cmp_gt_i32_e64 s3, s24, v68
	v_or_b32_e32 v109, 8, v68
	s_delay_alu instid0(VALU_DEP_4) | instskip(NEXT) | instid1(VALU_DEP_4)
	v_cmp_gt_i32_e64 s4, s24, v71
	v_cmp_gt_i32_e64 s5, s24, v72
	s_delay_alu instid0(VALU_DEP_3)
	v_cmp_gt_i32_e64 s6, s24, v109
	v_wmma_f32_16x16x16_bf16 v[117:124], v[85:92], v[77:84], v[117:124]
	v_cndmask_b32_e32 v69, v69, v70, vcc_lo
	v_or_b32_e32 v70, 2, v68
	v_wmma_f32_16x16x16_bf16 v[101:108], v[93:100], v[77:84], v[101:108]
	v_or_b32_e32 v85, 10, v68
	v_dual_mul_f32 v84, s19, v120 :: v_dual_mul_f32 v83, s19, v121
	v_dual_mul_f32 v94, s19, v118 :: v_dual_mul_f32 v95, s19, v117
	s_delay_alu instid0(VALU_DEP_4) | instskip(SKIP_2) | instid1(VALU_DEP_4)
	v_mul_f32_e32 v98, s19, v106
	v_cmp_gt_i32_e32 vcc_lo, s24, v70
	v_dual_mul_f32 v93, s19, v119 :: v_dual_mul_f32 v96, s19, v108
	v_cndmask_b32_e64 v95, 0xff7fffff, v95, s3
	v_or_b32_e32 v86, 12, v68
	v_cndmask_b32_e32 v94, 0xff7fffff, v94, vcc_lo
	v_or_b32_e32 v87, 14, v68
	v_dual_mul_f32 v81, s19, v123 :: v_dual_mul_f32 v82, s19, v122
	v_cndmask_b32_e64 v93, 0xff7fffff, v93, s4
	v_cndmask_b32_e64 v72, 0xff7fffff, v84, s5
	v_max3_f32 v84, v95, 0xff7fffff, v94
	v_cmp_gt_i32_e64 s7, s24, v85
	v_or_b32_e32 v88, 16, v68
	v_or_b32_e32 v89, 18, v68
	v_mul_f32_e32 v80, s19, v124
	v_cndmask_b32_e64 v83, 0xff7fffff, v83, s6
	v_cndmask_b32_e64 v82, 0xff7fffff, v82, s7
	v_max3_f32 v72, v84, v93, v72
	v_cmp_gt_i32_e64 s8, s24, v86
	v_cmp_gt_i32_e64 s9, s24, v87
	v_or_b32_e32 v90, 20, v68
	v_or_b32_e32 v91, 22, v68
	;; [unrolled: 1-line block ×6, first 2 shown]
	v_dual_mul_f32 v68, s19, v102 :: v_dual_mul_f32 v71, s19, v101
	v_cndmask_b32_e64 v81, 0xff7fffff, v81, s8
	v_cndmask_b32_e64 v80, 0xff7fffff, v80, s9
	v_max3_f32 v72, v72, v83, v82
	v_cmp_gt_i32_e64 s10, s24, v88
	v_cmp_gt_i32_e64 s11, s24, v89
	v_dual_mul_f32 v97, s19, v107 :: v_dual_mul_f32 v100, s19, v104
	v_dual_mul_f32 v99, s19, v105 :: v_dual_mul_f32 v70, s19, v103
	s_delay_alu instid0(VALU_DEP_4) | instskip(NEXT) | instid1(VALU_DEP_4)
	v_cndmask_b32_e64 v71, 0xff7fffff, v71, s10
	v_cndmask_b32_e64 v68, 0xff7fffff, v68, s11
	v_max3_f32 v72, v72, v81, v80
	v_cmp_gt_i32_e64 s12, s24, v90
	v_cmp_gt_i32_e64 s13, s24, v91
	;; [unrolled: 1-line block ×4, first 2 shown]
	v_max3_f32 v68, v72, v71, v68
	v_cndmask_b32_e64 v70, 0xff7fffff, v70, s12
	v_cndmask_b32_e64 v80, 0xff7fffff, v100, s13
	;; [unrolled: 1-line block ×4, first 2 shown]
	v_cmp_gt_i32_e64 s17, s24, v78
	v_cmp_gt_i32_e64 s18, s24, v79
	v_max3_f32 v68, v68, v70, v80
	v_lshlrev_b32_e32 v90, 2, v69
	s_delay_alu instid0(VALU_DEP_4) | instskip(NEXT) | instid1(VALU_DEP_4)
	v_cndmask_b32_e64 v70, 0xff7fffff, v97, s17
	v_cndmask_b32_e64 v77, 0xff7fffff, v96, s18
	s_delay_alu instid0(VALU_DEP_4) | instskip(NEXT) | instid1(VALU_DEP_1)
	v_max3_f32 v68, v68, v71, v72
	v_max3_f32 v68, v68, v70, v77
	ds_bpermute_b32 v69, v90, v68
	s_waitcnt lgkmcnt(0)
	v_max_f32_e32 v69, v69, v69
	s_delay_alu instid0(VALU_DEP_1) | instskip(NEXT) | instid1(VALU_DEP_1)
	v_max_f32_e32 v81, v68, v69
	v_fma_f32 v68, s19, v117, -v81
	s_delay_alu instid0(VALU_DEP_1)
	v_mul_f32_e32 v68, 0x3fb8aa3b, v68
	v_fma_f32 v69, s19, v118, -v81
	v_fma_f32 v71, s19, v120, -v81
	;; [unrolled: 1-line block ×4, first 2 shown]
	v_exp_f32_e32 v68, v68
	v_mul_f32_e32 v69, 0x3fb8aa3b, v69
	s_delay_alu instid0(VALU_DEP_3) | instskip(NEXT) | instid1(VALU_DEP_3)
	v_dual_mul_f32 v71, 0x3fb8aa3b, v71 :: v_dual_mul_f32 v72, 0x3fb8aa3b, v72
	v_mul_f32_e32 v70, 0x3fb8aa3b, v70
	v_fma_f32 v78, s19, v123, -v81
	s_delay_alu instid0(VALU_DEP_4) | instskip(NEXT) | instid1(VALU_DEP_3)
	v_exp_f32_e32 v69, v69
	v_exp_f32_e32 v71, v71
	;; [unrolled: 1-line block ×4, first 2 shown]
	v_cndmask_b32_e64 v82, 0, v68, s3
	v_fma_f32 v68, s19, v122, -v81
	v_mul_f32_e32 v78, 0x3fb8aa3b, v78
	v_fma_f32 v80, s19, v106, -v81
	s_mov_b32 s3, exec_lo
	s_delay_alu instid0(VALU_DEP_3) | instskip(NEXT) | instid1(TRANS32_DEP_2)
	v_dual_cndmask_b32 v77, 0, v69 :: v_dual_mul_f32 v68, 0x3fb8aa3b, v68
	v_cndmask_b32_e64 v86, 0, v72, s6
	v_fma_f32 v72, s19, v102, -v81
	v_add_f32_e32 v69, 0, v82
	v_cndmask_b32_e64 v83, 0, v70, s4
	v_exp_f32_e32 v68, v68
	v_fma_f32 v70, s19, v124, -v81
	s_delay_alu instid0(VALU_DEP_3) | instskip(SKIP_2) | instid1(VALU_DEP_4)
	v_dual_mul_f32 v72, 0x3fb8aa3b, v72 :: v_dual_add_f32 v69, v69, v77
	v_cndmask_b32_e64 v85, 0, v71, s5
	v_fma_f32 v71, s19, v101, -v81
	v_mul_f32_e32 v70, 0x3fb8aa3b, v70
	v_exp_f32_e32 v78, v78
	v_add_f32_e32 v69, v69, v83
	v_exp_f32_e32 v72, v72
	s_delay_alu instid0(TRANS32_DEP_3) | instskip(SKIP_1) | instid1(VALU_DEP_2)
	v_cndmask_b32_e64 v87, 0, v68, s7
	v_exp_f32_e32 v70, v70
	v_add_f32_e32 v69, v69, v85
	v_mul_f32_e32 v71, 0x3fb8aa3b, v71
	s_delay_alu instid0(TRANS32_DEP_3) | instskip(NEXT) | instid1(VALU_DEP_3)
	v_cndmask_b32_e64 v84, 0, v78, s8
	v_add_f32_e32 v68, v69, v86
	v_fma_f32 v69, s19, v103, -v81
	s_delay_alu instid0(VALU_DEP_4) | instskip(SKIP_1) | instid1(TRANS32_DEP_2)
	v_exp_f32_e32 v71, v71
	v_fma_f32 v78, s19, v104, -v81
	v_cndmask_b32_e64 v88, 0, v70, s9
	s_delay_alu instid0(VALU_DEP_3) | instskip(SKIP_1) | instid1(VALU_DEP_2)
	v_dual_add_f32 v68, v68, v87 :: v_dual_mul_f32 v69, 0x3fb8aa3b, v69
	v_fma_f32 v70, s19, v105, -v81
	v_add_f32_e32 v68, v68, v84
	v_mul_f32_e32 v78, 0x3fb8aa3b, v78
	s_delay_alu instid0(VALU_DEP_4) | instskip(NEXT) | instid1(TRANS32_DEP_2)
	v_exp_f32_e32 v79, v69
	v_cndmask_b32_e64 v69, 0, v71, s10
	s_delay_alu instid0(VALU_DEP_3) | instskip(NEXT) | instid1(VALU_DEP_3)
	v_dual_add_f32 v71, v68, v88 :: v_dual_mul_f32 v70, 0x3fb8aa3b, v70
	v_exp_f32_e32 v78, v78
	v_cndmask_b32_e64 v68, 0, v72, s11
	v_fma_f32 v72, s19, v107, -v81
	s_delay_alu instid0(VALU_DEP_3) | instskip(SKIP_1) | instid1(TRANS32_DEP_3)
	v_add_f32_e32 v71, v71, v69
	v_exp_f32_e32 v89, v70
	v_cndmask_b32_e64 v70, 0, v79, s12
	s_delay_alu instid0(VALU_DEP_2) | instskip(NEXT) | instid1(TRANS32_DEP_2)
	v_add_f32_e32 v79, v71, v68
	v_cndmask_b32_e64 v71, 0, v78, s13
	s_delay_alu instid0(VALU_DEP_2) | instskip(SKIP_2) | instid1(VALU_DEP_1)
	v_add_f32_e32 v78, v79, v70
	v_mul_f32_e32 v80, 0x3fb8aa3b, v80
	v_fma_f32 v79, s19, v108, -v81
	v_dual_mul_f32 v72, 0x3fb8aa3b, v72 :: v_dual_mul_f32 v79, 0x3fb8aa3b, v79
	s_delay_alu instid0(VALU_DEP_1) | instskip(NEXT) | instid1(TRANS32_DEP_2)
	v_exp_f32_e32 v91, v72
	v_cndmask_b32_e64 v72, 0, v89, s15
	v_add_f32_e32 v89, v78, v71
	v_exp_f32_e32 v80, v80
	s_waitcnt_depctr 0xfff
	v_cndmask_b32_e64 v78, 0, v80, s16
	v_add_f32_e32 v80, v89, v72
	v_exp_f32_e32 v89, v79
	v_cndmask_b32_e64 v79, 0, v91, s17
	s_delay_alu instid0(VALU_DEP_2) | instskip(NEXT) | instid1(VALU_DEP_1)
	v_add_f32_e32 v80, v80, v78
	v_add_f32_e32 v91, v80, v79
	s_waitcnt_depctr 0xfff
	v_cndmask_b32_e64 v80, 0, v89, s18
	s_delay_alu instid0(VALU_DEP_1)
	v_add_f32_e32 v89, v91, v80
	ds_bpermute_b32 v90, v90, v89
	v_cmpx_gt_u32_e32 16, v67
	s_cbranch_execz .LBB1401_12
; %bb.11:
	v_mul_u32_u24_e32 v67, 0x44, v65
	s_waitcnt lgkmcnt(0)
	v_add_f32_e32 v89, v89, v90
	s_delay_alu instid0(VALU_DEP_2) | instskip(NEXT) | instid1(VALU_DEP_1)
	v_lshl_add_u32 v67, v66, 2, v67
	v_add_nc_u32_e32 v67, 0x4000, v67
	ds_store_2addr_b32 v67, v81, v89 offset1:136
.LBB1401_12:
	s_or_b32 exec_lo, exec_lo, s3
	v_lshlrev_b32_e32 v66, 2, v66
	s_waitcnt lgkmcnt(0)
	s_barrier
	buffer_gl0_inv
	v_cmp_eq_u32_e32 vcc_lo, 1, v65
	v_add_nc_u32_e32 v81, 0x4000, v66
	v_cmp_eq_u32_e64 s3, 2, v65
	v_cmp_eq_u32_e64 s5, 7, v65
	ds_load_2addr_b32 v[89:90], v81 offset1:17
	ds_load_2addr_b32 v[91:92], v81 offset0:34 offset1:51
	ds_load_2addr_b32 v[93:94], v81 offset0:68 offset1:85
	;; [unrolled: 1-line block ×4, first 2 shown]
	s_waitcnt lgkmcnt(4)
	v_max3_f32 v66, v89, 0xff7fffff, v90
	s_waitcnt lgkmcnt(3)
	s_delay_alu instid0(VALU_DEP_1) | instskip(SKIP_1) | instid1(VALU_DEP_1)
	v_max3_f32 v66, v66, v91, v92
	s_waitcnt lgkmcnt(2)
	v_max3_f32 v66, v66, v93, v94
	s_waitcnt lgkmcnt(1)
	s_delay_alu instid0(VALU_DEP_1) | instskip(NEXT) | instid1(VALU_DEP_1)
	v_max3_f32 v66, v66, v95, v96
	v_sub_f32_e32 v67, v89, v66
	v_sub_f32_e32 v91, v91, v66
	;; [unrolled: 1-line block ×3, first 2 shown]
	s_delay_alu instid0(VALU_DEP_3) | instskip(NEXT) | instid1(VALU_DEP_3)
	v_mul_f32_e32 v67, 0x3fb8aa3b, v67
	v_mul_f32_e32 v101, 0x3fb8aa3b, v91
	s_delay_alu instid0(VALU_DEP_3) | instskip(NEXT) | instid1(VALU_DEP_3)
	v_mul_f32_e32 v103, 0x3fb8aa3b, v93
	v_exp_f32_e32 v100, v67
	v_sub_f32_e32 v67, v92, v66
	v_sub_f32_e32 v99, v90, v66
	ds_load_2addr_b32 v[89:90], v81 offset0:170 offset1:187
	ds_load_2addr_b32 v[91:92], v81 offset0:204 offset1:221
	v_exp_f32_e32 v101, v101
	v_mul_f32_e32 v102, 0x3fb8aa3b, v67
	v_mul_f32_e32 v99, 0x3fb8aa3b, v99
	s_waitcnt lgkmcnt(2)
	v_fma_f32 v67, v100, v97, 0
	v_sub_f32_e32 v97, v94, v66
	s_delay_alu instid0(VALU_DEP_3)
	v_exp_f32_e32 v99, v99
	v_exp_f32_e32 v102, v102
	ds_load_2addr_b32 v[93:94], v81 offset0:238 offset1:255
	v_sub_f32_e32 v81, v95, v66
	v_mul_f32_e32 v95, 0x3fb8aa3b, v97
	v_exp_f32_e32 v97, v103
	s_waitcnt lgkmcnt(0)
	s_barrier
	v_mul_f32_e32 v81, 0x3fb8aa3b, v81
	v_exp_f32_e32 v95, v95
	v_fmac_f32_e32 v67, v99, v98
	buffer_gl0_inv
	v_exp_f32_e32 v81, v81
	v_fmac_f32_e32 v67, v101, v89
	v_sub_f32_e32 v89, v96, v66
	s_delay_alu instid0(VALU_DEP_2) | instskip(NEXT) | instid1(VALU_DEP_2)
	v_fmac_f32_e32 v67, v102, v90
	v_mul_f32_e32 v89, 0x3fb8aa3b, v89
	s_delay_alu instid0(VALU_DEP_2) | instskip(NEXT) | instid1(VALU_DEP_2)
	v_fmac_f32_e32 v67, v97, v91
	v_exp_f32_e32 v89, v89
	s_delay_alu instid0(VALU_DEP_1)
	v_fmac_f32_e32 v67, v95, v92
	s_delay_alu instid0(TRANS32_DEP_2) | instid1(VALU_DEP_1)
	v_fmac_f32_e32 v67, v81, v93
	s_waitcnt_depctr 0xfff
	v_fmac_f32_e32 v67, v89, v94
	s_delay_alu instid0(VALU_DEP_1) | instskip(NEXT) | instid1(VALU_DEP_1)
	v_add_f32_e32 v90, 0x358637bd, v67
	v_div_scale_f32 v91, null, v90, v90, 1.0
	v_div_scale_f32 v94, s4, 1.0, v90, 1.0
	s_delay_alu instid0(VALU_DEP_2) | instskip(SKIP_2) | instid1(VALU_DEP_1)
	v_rcp_f32_e32 v92, v91
	s_waitcnt_depctr 0xfff
	v_fma_f32 v93, -v91, v92, 1.0
	v_dual_fmac_f32 v92, v93, v92 :: v_dual_cndmask_b32 v93, v100, v99
	v_cmp_eq_u32_e32 vcc_lo, 3, v65
	s_delay_alu instid0(VALU_DEP_2) | instskip(NEXT) | instid1(VALU_DEP_3)
	v_mul_f32_e32 v96, v94, v92
	v_cndmask_b32_e64 v93, v93, v101, s3
	v_cmp_eq_u32_e64 s3, 4, v65
	s_delay_alu instid0(VALU_DEP_3) | instskip(NEXT) | instid1(VALU_DEP_3)
	v_fma_f32 v98, -v91, v96, v94
	v_cndmask_b32_e32 v93, v93, v102, vcc_lo
	v_cmp_eq_u32_e32 vcc_lo, 5, v65
	s_delay_alu instid0(VALU_DEP_3) | instskip(NEXT) | instid1(VALU_DEP_3)
	v_fmac_f32_e32 v96, v98, v92
	v_cndmask_b32_e64 v93, v93, v97, s3
	v_cmp_eq_u32_e64 s3, 6, v65
	s_delay_alu instid0(VALU_DEP_3) | instskip(NEXT) | instid1(VALU_DEP_3)
	v_fma_f32 v91, -v91, v96, v94
	v_cndmask_b32_e32 v93, v93, v95, vcc_lo
	s_mov_b32 vcc_lo, s4
	s_delay_alu instid0(VALU_DEP_2) | instskip(NEXT) | instid1(VALU_DEP_2)
	v_div_fmas_f32 v91, v91, v92, v96
	v_cndmask_b32_e64 v81, v93, v81, s3
	s_mov_b32 s3, exec_lo
	s_delay_alu instid0(VALU_DEP_2) | instskip(NEXT) | instid1(VALU_DEP_2)
	v_div_fixup_f32 v90, v91, v90, 1.0
	v_cndmask_b32_e64 v81, v81, v89, s5
	s_delay_alu instid0(VALU_DEP_1) | instskip(NEXT) | instid1(VALU_DEP_1)
	v_mul_f32_e32 v81, v81, v90
	v_mul_f32_e32 v90, v81, v82
	;; [unrolled: 1-line block ×6, first 2 shown]
	v_dual_mul_f32 v86, v81, v83 :: v_dual_and_b32 v91, 0x7f800000, v90
	v_mul_f32_e32 v89, v81, v85
	v_mul_f32_e32 v85, v81, v77
                                        ; implicit-def: $vgpr77
	s_delay_alu instid0(VALU_DEP_3)
	v_cmpx_ne_u32_e32 0x7f800000, v91
	s_xor_b32 s3, exec_lo, s3
; %bb.13:
	v_bfe_u32 v77, v90, 16, 1
	s_delay_alu instid0(VALU_DEP_1)
	v_add3_u32 v77, v90, v77, 0x7fff
                                        ; implicit-def: $vgpr90
; %bb.14:
	s_and_not1_saveexec_b32 s3, s3
; %bb.15:
	v_and_b32_e32 v77, 0xffff, v90
	v_or_b32_e32 v83, 0x10000, v90
	s_delay_alu instid0(VALU_DEP_2) | instskip(NEXT) | instid1(VALU_DEP_2)
	v_cmp_eq_u32_e32 vcc_lo, 0, v77
	v_cndmask_b32_e32 v77, v83, v90, vcc_lo
; %bb.16:
	s_or_b32 exec_lo, exec_lo, s3
	v_and_b32_e32 v83, 0x7f800000, v85
	s_delay_alu instid0(VALU_DEP_1) | instskip(SKIP_1) | instid1(SALU_CYCLE_1)
	v_cmp_ne_u32_e32 vcc_lo, 0x7f800000, v83
                                        ; implicit-def: $vgpr83
	s_and_saveexec_b32 s3, vcc_lo
	s_xor_b32 s3, exec_lo, s3
; %bb.17:
	v_bfe_u32 v83, v85, 16, 1
	s_delay_alu instid0(VALU_DEP_1)
	v_add3_u32 v83, v85, v83, 0x7fff
                                        ; implicit-def: $vgpr85
; %bb.18:
	s_and_not1_saveexec_b32 s3, s3
; %bb.19:
	v_and_b32_e32 v83, 0xffff, v85
	v_or_b32_e32 v90, 0x10000, v85
	s_delay_alu instid0(VALU_DEP_2) | instskip(NEXT) | instid1(VALU_DEP_2)
	v_cmp_eq_u32_e32 vcc_lo, 0, v83
	v_cndmask_b32_e32 v83, v90, v85, vcc_lo
; %bb.20:
	s_or_b32 exec_lo, exec_lo, s3
	v_and_b32_e32 v85, 0x7f800000, v86
	s_delay_alu instid0(VALU_DEP_1) | instskip(SKIP_1) | instid1(SALU_CYCLE_1)
	v_cmp_ne_u32_e32 vcc_lo, 0x7f800000, v85
                                        ; implicit-def: $vgpr85
	s_and_saveexec_b32 s3, vcc_lo
	s_xor_b32 s3, exec_lo, s3
; %bb.21:
	v_bfe_u32 v85, v86, 16, 1
	s_delay_alu instid0(VALU_DEP_1)
	v_add3_u32 v85, v86, v85, 0x7fff
                                        ; implicit-def: $vgpr86
; %bb.22:
	s_and_not1_saveexec_b32 s3, s3
; %bb.23:
	v_and_b32_e32 v85, 0xffff, v86
	v_or_b32_e32 v90, 0x10000, v86
	s_delay_alu instid0(VALU_DEP_2) | instskip(NEXT) | instid1(VALU_DEP_2)
	v_cmp_eq_u32_e32 vcc_lo, 0, v85
	v_cndmask_b32_e32 v85, v90, v86, vcc_lo
; %bb.24:
	s_or_b32 exec_lo, exec_lo, s3
	v_and_b32_e32 v86, 0x7f800000, v89
	s_delay_alu instid0(VALU_DEP_1) | instskip(SKIP_1) | instid1(SALU_CYCLE_1)
	v_cmp_ne_u32_e32 vcc_lo, 0x7f800000, v86
                                        ; implicit-def: $vgpr86
	s_and_saveexec_b32 s3, vcc_lo
	s_xor_b32 s3, exec_lo, s3
; %bb.25:
	v_bfe_u32 v86, v89, 16, 1
	s_delay_alu instid0(VALU_DEP_1)
	v_add3_u32 v86, v89, v86, 0x7fff
                                        ; implicit-def: $vgpr89
; %bb.26:
	s_and_not1_saveexec_b32 s3, s3
; %bb.27:
	v_and_b32_e32 v86, 0xffff, v89
	v_or_b32_e32 v90, 0x10000, v89
	s_delay_alu instid0(VALU_DEP_2) | instskip(NEXT) | instid1(VALU_DEP_2)
	v_cmp_eq_u32_e32 vcc_lo, 0, v86
	v_cndmask_b32_e32 v86, v90, v89, vcc_lo
; %bb.28:
	s_or_b32 exec_lo, exec_lo, s3
	v_and_b32_e32 v89, 0x7f800000, v88
	s_delay_alu instid0(VALU_DEP_1) | instskip(SKIP_1) | instid1(SALU_CYCLE_1)
	v_cmp_ne_u32_e32 vcc_lo, 0x7f800000, v89
                                        ; implicit-def: $vgpr89
	s_and_saveexec_b32 s3, vcc_lo
	s_xor_b32 s3, exec_lo, s3
; %bb.29:
	v_bfe_u32 v89, v88, 16, 1
	s_delay_alu instid0(VALU_DEP_1)
	v_add3_u32 v89, v88, v89, 0x7fff
                                        ; implicit-def: $vgpr88
; %bb.30:
	s_and_not1_saveexec_b32 s3, s3
; %bb.31:
	v_and_b32_e32 v89, 0xffff, v88
	v_or_b32_e32 v90, 0x10000, v88
	s_delay_alu instid0(VALU_DEP_2) | instskip(NEXT) | instid1(VALU_DEP_2)
	v_cmp_eq_u32_e32 vcc_lo, 0, v89
	v_cndmask_b32_e32 v89, v90, v88, vcc_lo
; %bb.32:
	s_or_b32 exec_lo, exec_lo, s3
	v_and_b32_e32 v88, 0x7f800000, v87
	s_delay_alu instid0(VALU_DEP_1) | instskip(SKIP_1) | instid1(SALU_CYCLE_1)
	v_cmp_ne_u32_e32 vcc_lo, 0x7f800000, v88
                                        ; implicit-def: $vgpr88
	s_and_saveexec_b32 s3, vcc_lo
	s_xor_b32 s3, exec_lo, s3
; %bb.33:
	v_bfe_u32 v88, v87, 16, 1
	s_delay_alu instid0(VALU_DEP_1)
	v_add3_u32 v88, v87, v88, 0x7fff
                                        ; implicit-def: $vgpr87
; %bb.34:
	s_and_not1_saveexec_b32 s3, s3
; %bb.35:
	v_and_b32_e32 v88, 0xffff, v87
	v_or_b32_e32 v90, 0x10000, v87
	s_delay_alu instid0(VALU_DEP_2) | instskip(NEXT) | instid1(VALU_DEP_2)
	v_cmp_eq_u32_e32 vcc_lo, 0, v88
	v_cndmask_b32_e32 v88, v90, v87, vcc_lo
; %bb.36:
	s_or_b32 exec_lo, exec_lo, s3
	v_and_b32_e32 v87, 0x7f800000, v84
	s_delay_alu instid0(VALU_DEP_1) | instskip(SKIP_1) | instid1(SALU_CYCLE_1)
	v_cmp_ne_u32_e32 vcc_lo, 0x7f800000, v87
                                        ; implicit-def: $vgpr87
	s_and_saveexec_b32 s3, vcc_lo
	s_xor_b32 s3, exec_lo, s3
; %bb.37:
	v_bfe_u32 v87, v84, 16, 1
	s_delay_alu instid0(VALU_DEP_1)
	v_add3_u32 v87, v84, v87, 0x7fff
                                        ; implicit-def: $vgpr84
; %bb.38:
	s_and_not1_saveexec_b32 s3, s3
; %bb.39:
	v_and_b32_e32 v87, 0xffff, v84
	v_or_b32_e32 v90, 0x10000, v84
	s_delay_alu instid0(VALU_DEP_2) | instskip(NEXT) | instid1(VALU_DEP_2)
	v_cmp_eq_u32_e32 vcc_lo, 0, v87
	v_cndmask_b32_e32 v87, v90, v84, vcc_lo
; %bb.40:
	s_or_b32 exec_lo, exec_lo, s3
	v_and_b32_e32 v84, 0x7f800000, v82
	s_delay_alu instid0(VALU_DEP_1) | instskip(SKIP_1) | instid1(SALU_CYCLE_1)
	v_cmp_ne_u32_e32 vcc_lo, 0x7f800000, v84
                                        ; implicit-def: $vgpr84
	s_and_saveexec_b32 s3, vcc_lo
	s_xor_b32 s3, exec_lo, s3
; %bb.41:
	v_bfe_u32 v84, v82, 16, 1
	s_delay_alu instid0(VALU_DEP_1)
	v_add3_u32 v84, v82, v84, 0x7fff
                                        ; implicit-def: $vgpr82
; %bb.42:
	s_and_not1_saveexec_b32 s3, s3
; %bb.43:
	v_and_b32_e32 v84, 0xffff, v82
	v_or_b32_e32 v90, 0x10000, v82
	s_delay_alu instid0(VALU_DEP_2) | instskip(NEXT) | instid1(VALU_DEP_2)
	v_cmp_eq_u32_e32 vcc_lo, 0, v84
	v_cndmask_b32_e32 v84, v90, v82, vcc_lo
; %bb.44:
	s_or_b32 exec_lo, exec_lo, s3
	s_load_b64 s[34:35], s[0:1], 0x94
	v_lshlrev_b32_e32 v82, 4, v74
	s_delay_alu instid0(VALU_DEP_2)
	v_perm_b32 v90, v84, v87, 0x7060302
	v_lshlrev_b32_e32 v84, 11, v65
	v_perm_b32 v87, v83, v77, 0x7060302
	v_mul_f32_e32 v83, v81, v69
	v_mul_f32_e32 v69, v81, v80
	v_perm_b32 v89, v88, v89, 0x7060302
	v_perm_b32 v88, v86, v85, 0x7060302
	v_or3_b32 v77, v82, v84, v76
	v_mul_f32_e32 v79, v81, v79
	v_mul_f32_e32 v78, v81, v78
	v_and_b32_e32 v84, 0x7f800000, v83
	v_mul_f32_e32 v72, v81, v72
	v_mul_f32_e32 v82, v81, v71
	;; [unrolled: 1-line block ×4, first 2 shown]
	s_mov_b32 s3, exec_lo
	ds_store_b128 v77, v[87:90]
                                        ; implicit-def: $vgpr68
	v_cmpx_ne_u32_e32 0x7f800000, v84
	s_xor_b32 s3, exec_lo, s3
; %bb.45:
	v_bfe_u32 v68, v83, 16, 1
	s_delay_alu instid0(VALU_DEP_1)
	v_add3_u32 v68, v83, v68, 0x7fff
                                        ; implicit-def: $vgpr83
; %bb.46:
	s_and_not1_saveexec_b32 s3, s3
; %bb.47:
	v_and_b32_e32 v68, 0xffff, v83
	v_or_b32_e32 v70, 0x10000, v83
	s_delay_alu instid0(VALU_DEP_2) | instskip(NEXT) | instid1(VALU_DEP_2)
	v_cmp_eq_u32_e32 vcc_lo, 0, v68
	v_cndmask_b32_e32 v68, v70, v83, vcc_lo
; %bb.48:
	s_or_b32 exec_lo, exec_lo, s3
	v_and_b32_e32 v70, 0x7f800000, v71
	s_delay_alu instid0(VALU_DEP_1) | instskip(SKIP_1) | instid1(SALU_CYCLE_1)
	v_cmp_ne_u32_e32 vcc_lo, 0x7f800000, v70
                                        ; implicit-def: $vgpr70
	s_and_saveexec_b32 s3, vcc_lo
	s_xor_b32 s3, exec_lo, s3
; %bb.49:
	v_bfe_u32 v70, v71, 16, 1
	s_delay_alu instid0(VALU_DEP_1)
	v_add3_u32 v70, v71, v70, 0x7fff
                                        ; implicit-def: $vgpr71
; %bb.50:
	s_and_not1_saveexec_b32 s3, s3
; %bb.51:
	v_and_b32_e32 v70, 0xffff, v71
	v_or_b32_e32 v81, 0x10000, v71
	s_delay_alu instid0(VALU_DEP_2) | instskip(NEXT) | instid1(VALU_DEP_2)
	v_cmp_eq_u32_e32 vcc_lo, 0, v70
	v_cndmask_b32_e32 v70, v81, v71, vcc_lo
; %bb.52:
	s_or_b32 exec_lo, exec_lo, s3
	v_and_b32_e32 v71, 0x7f800000, v80
	s_delay_alu instid0(VALU_DEP_1) | instskip(SKIP_1) | instid1(SALU_CYCLE_1)
	v_cmp_ne_u32_e32 vcc_lo, 0x7f800000, v71
                                        ; implicit-def: $vgpr71
	s_and_saveexec_b32 s3, vcc_lo
	s_xor_b32 s3, exec_lo, s3
; %bb.53:
	v_bfe_u32 v71, v80, 16, 1
	s_delay_alu instid0(VALU_DEP_1)
	v_add3_u32 v71, v80, v71, 0x7fff
                                        ; implicit-def: $vgpr80
; %bb.54:
	s_and_not1_saveexec_b32 s3, s3
; %bb.55:
	v_and_b32_e32 v71, 0xffff, v80
	v_or_b32_e32 v81, 0x10000, v80
	s_delay_alu instid0(VALU_DEP_2) | instskip(NEXT) | instid1(VALU_DEP_2)
	v_cmp_eq_u32_e32 vcc_lo, 0, v71
	v_cndmask_b32_e32 v71, v81, v80, vcc_lo
; %bb.56:
	s_or_b32 exec_lo, exec_lo, s3
	v_and_b32_e32 v80, 0x7f800000, v82
	s_delay_alu instid0(VALU_DEP_1) | instskip(SKIP_1) | instid1(SALU_CYCLE_1)
	v_cmp_ne_u32_e32 vcc_lo, 0x7f800000, v80
                                        ; implicit-def: $vgpr80
	s_and_saveexec_b32 s3, vcc_lo
	s_xor_b32 s3, exec_lo, s3
; %bb.57:
	v_bfe_u32 v80, v82, 16, 1
	s_delay_alu instid0(VALU_DEP_1)
	v_add3_u32 v80, v82, v80, 0x7fff
                                        ; implicit-def: $vgpr82
; %bb.58:
	s_and_not1_saveexec_b32 s3, s3
; %bb.59:
	v_and_b32_e32 v80, 0xffff, v82
	v_or_b32_e32 v81, 0x10000, v82
	s_delay_alu instid0(VALU_DEP_2) | instskip(NEXT) | instid1(VALU_DEP_2)
	v_cmp_eq_u32_e32 vcc_lo, 0, v80
	v_cndmask_b32_e32 v80, v81, v82, vcc_lo
; %bb.60:
	s_or_b32 exec_lo, exec_lo, s3
	v_and_b32_e32 v81, 0x7f800000, v72
	s_delay_alu instid0(VALU_DEP_1) | instskip(SKIP_1) | instid1(SALU_CYCLE_1)
	v_cmp_ne_u32_e32 vcc_lo, 0x7f800000, v81
                                        ; implicit-def: $vgpr81
	s_and_saveexec_b32 s3, vcc_lo
	s_xor_b32 s3, exec_lo, s3
; %bb.61:
	v_bfe_u32 v81, v72, 16, 1
	s_delay_alu instid0(VALU_DEP_1)
	v_add3_u32 v81, v72, v81, 0x7fff
                                        ; implicit-def: $vgpr72
; %bb.62:
	s_and_not1_saveexec_b32 s3, s3
; %bb.63:
	v_and_b32_e32 v81, 0xffff, v72
	v_or_b32_e32 v82, 0x10000, v72
	s_delay_alu instid0(VALU_DEP_2) | instskip(NEXT) | instid1(VALU_DEP_2)
	v_cmp_eq_u32_e32 vcc_lo, 0, v81
	v_cndmask_b32_e32 v81, v82, v72, vcc_lo
; %bb.64:
	s_or_b32 exec_lo, exec_lo, s3
	v_and_b32_e32 v72, 0x7f800000, v78
	s_delay_alu instid0(VALU_DEP_1) | instskip(SKIP_1) | instid1(SALU_CYCLE_1)
	v_cmp_ne_u32_e32 vcc_lo, 0x7f800000, v72
                                        ; implicit-def: $vgpr72
	s_and_saveexec_b32 s3, vcc_lo
	s_xor_b32 s3, exec_lo, s3
; %bb.65:
	v_bfe_u32 v72, v78, 16, 1
	s_delay_alu instid0(VALU_DEP_1)
	v_add3_u32 v72, v78, v72, 0x7fff
                                        ; implicit-def: $vgpr78
; %bb.66:
	s_and_not1_saveexec_b32 s3, s3
; %bb.67:
	v_and_b32_e32 v72, 0xffff, v78
	v_or_b32_e32 v82, 0x10000, v78
	s_delay_alu instid0(VALU_DEP_2) | instskip(NEXT) | instid1(VALU_DEP_2)
	v_cmp_eq_u32_e32 vcc_lo, 0, v72
	v_cndmask_b32_e32 v72, v82, v78, vcc_lo
; %bb.68:
	s_or_b32 exec_lo, exec_lo, s3
	v_and_b32_e32 v78, 0x7f800000, v79
	s_delay_alu instid0(VALU_DEP_1) | instskip(SKIP_1) | instid1(SALU_CYCLE_1)
	v_cmp_ne_u32_e32 vcc_lo, 0x7f800000, v78
                                        ; implicit-def: $vgpr78
	s_and_saveexec_b32 s3, vcc_lo
	s_xor_b32 s3, exec_lo, s3
; %bb.69:
	v_bfe_u32 v78, v79, 16, 1
	s_delay_alu instid0(VALU_DEP_1)
	v_add3_u32 v78, v79, v78, 0x7fff
                                        ; implicit-def: $vgpr79
; %bb.70:
	s_and_not1_saveexec_b32 s3, s3
; %bb.71:
	v_and_b32_e32 v78, 0xffff, v79
	v_or_b32_e32 v82, 0x10000, v79
	s_delay_alu instid0(VALU_DEP_2) | instskip(NEXT) | instid1(VALU_DEP_2)
	v_cmp_eq_u32_e32 vcc_lo, 0, v78
	v_cndmask_b32_e32 v78, v82, v79, vcc_lo
; %bb.72:
	s_or_b32 exec_lo, exec_lo, s3
	v_and_b32_e32 v79, 0x7f800000, v69
	s_delay_alu instid0(VALU_DEP_1) | instskip(SKIP_1) | instid1(SALU_CYCLE_1)
	v_cmp_ne_u32_e32 vcc_lo, 0x7f800000, v79
                                        ; implicit-def: $vgpr79
	s_and_saveexec_b32 s3, vcc_lo
	s_xor_b32 s3, exec_lo, s3
; %bb.73:
	v_bfe_u32 v79, v69, 16, 1
	s_delay_alu instid0(VALU_DEP_1)
	v_add3_u32 v79, v69, v79, 0x7fff
                                        ; implicit-def: $vgpr69
; %bb.74:
	s_and_not1_saveexec_b32 s3, s3
; %bb.75:
	v_and_b32_e32 v79, 0xffff, v69
	v_or_b32_e32 v82, 0x10000, v69
	s_delay_alu instid0(VALU_DEP_2) | instskip(NEXT) | instid1(VALU_DEP_2)
	v_cmp_eq_u32_e32 vcc_lo, 0, v79
	v_cndmask_b32_e32 v79, v82, v69, vcc_lo
; %bb.76:
	s_or_b32 exec_lo, exec_lo, s3
	s_delay_alu instid0(VALU_DEP_1)
	v_perm_b32 v86, v79, v78, 0x7060302
	v_perm_b32 v85, v72, v81, 0x7060302
	;; [unrolled: 1-line block ×4, first 2 shown]
	v_lshl_or_b32 v82, v65, 11, v76
	v_lshlrev_b32_e32 v79, 2, v74
	ds_store_b128 v77, v[83:86] offset:1024
	s_waitcnt lgkmcnt(0)
	s_barrier
	buffer_gl0_inv
	ds_load_b128 v[68:71], v82
	ds_load_b128 v[83:86], v82 offset:16
	v_or_b32_e32 v80, 1, v79
	v_cmp_eq_u32_e32 vcc_lo, 1, v79
	v_cmp_eq_u32_e64 s4, 2, v79
	v_cmp_eq_u32_e64 s7, 3, v79
	;; [unrolled: 1-line block ×6, first 2 shown]
	v_or_b32_e32 v78, 2, v79
	v_cmp_eq_u32_e64 s10, 5, v79
	v_cmp_eq_u32_e64 s11, 4, v80
	;; [unrolled: 1-line block ×9, first 2 shown]
	s_waitcnt lgkmcnt(1)
	v_lshrrev_b32_e32 v65, 16, v68
	s_waitcnt lgkmcnt(0)
	v_lshrrev_b32_e32 v91, 16, v83
	v_lshrrev_b32_e32 v72, 16, v69
	;; [unrolled: 1-line block ×4, first 2 shown]
	v_cndmask_b32_e32 v81, v68, v65, vcc_lo
	v_cndmask_b32_e32 v87, v83, v91, vcc_lo
	v_cndmask_b32_e64 v88, v68, v65, s3
	v_lshrrev_b32_e32 v98, 16, v85
	v_cndmask_b32_e64 v89, v83, v91, s3
	v_cndmask_b32_e64 v81, v81, v69, s4
	v_cndmask_b32_e64 v87, v87, v84, s4
	v_cndmask_b32_e64 v88, v88, v69, s6
	v_lshrrev_b32_e32 v96, 16, v71
	v_cndmask_b32_e64 v89, v89, v84, s6
	v_cndmask_b32_e64 v81, v81, v72, s7
	v_cndmask_b32_e64 v87, v87, v97, s7
	;; [unrolled: 5-line block ×3, first 2 shown]
	v_cndmask_b32_e64 v88, v88, v70, s11
	v_cndmask_b32_e64 v89, v89, v97, s8
	v_cmp_eq_u32_e64 s19, 3, v78
	v_cndmask_b32_e64 v81, v81, v95, s10
	v_cndmask_b32_e64 v87, v87, v98, s10
	;; [unrolled: 1-line block ×4, first 2 shown]
	v_cmp_eq_u32_e64 s20, 4, v78
	v_cndmask_b32_e64 v81, v81, v71, s12
	v_cndmask_b32_e64 v87, v87, v86, s12
	;; [unrolled: 1-line block ×3, first 2 shown]
	v_cmp_eq_u32_e64 s22, 5, v78
	v_cmp_eq_u32_e64 s24, 6, v78
	v_cndmask_b32_e64 v100, v81, v96, s15
	v_cndmask_b32_e64 v101, v87, v99, s15
	;; [unrolled: 1-line block ×6, first 2 shown]
	v_cmp_eq_u32_e64 s27, 7, v78
	v_cndmask_b32_e64 v89, v81, v72, s19
	v_cndmask_b32_e64 v87, v87, v84, s17
	v_or_b32_e32 v81, 3, v79
	v_cndmask_b32_e64 v103, v88, v86, s16
	s_delay_alu instid0(VALU_DEP_4) | instskip(NEXT) | instid1(VALU_DEP_4)
	v_cndmask_b32_e64 v92, v89, v70, s20
	v_cndmask_b32_e64 v93, v87, v97, s19
	s_delay_alu instid0(VALU_DEP_4)
	v_cmp_eq_u32_e64 s21, 1, v81
	ds_load_b128 v[87:90], v82 offset:1024
	v_cmp_eq_u32_e64 s23, 2, v81
	v_cndmask_b32_e64 v104, v92, v95, s22
	v_cmp_eq_u32_e64 s25, 3, v81
	v_cndmask_b32_e64 v65, v68, v65, s21
	v_cndmask_b32_e64 v68, v93, v85, s20
	;; [unrolled: 1-line block ×3, first 2 shown]
	ds_load_b128 v[91:94], v82 offset:1040
	v_cmp_eq_u32_e64 s26, 4, v81
	v_cndmask_b32_e64 v65, v65, v69, s23
	v_cmp_eq_u32_e64 s28, 5, v81
	v_cndmask_b32_e64 v69, v83, v84, s23
	;; [unrolled: 2-line block ×3, first 2 shown]
	v_cndmask_b32_e64 v65, v65, v72, s25
	v_cndmask_b32_e64 v72, v104, v71, s24
	;; [unrolled: 1-line block ×6, first 2 shown]
	s_waitcnt lgkmcnt(1)
	v_lshrrev_b32_e32 v84, 16, v87
	v_cndmask_b32_e64 v69, v69, v85, s26
	v_cndmask_b32_e64 v70, v72, v96, s27
	;; [unrolled: 1-line block ×4, first 2 shown]
	v_cndmask_b32_e32 v72, v87, v84, vcc_lo
	v_cndmask_b32_e64 v69, v69, v98, s28
	s_waitcnt lgkmcnt(0)
	v_lshrrev_b32_e32 v85, 16, v91
	v_lshrrev_b32_e32 v95, 16, v88
	v_cndmask_b32_e64 v97, v87, v84, s3
	v_cndmask_b32_e64 v72, v72, v88, s4
	;; [unrolled: 1-line block ×3, first 2 shown]
	v_cndmask_b32_e32 v98, v91, v85, vcc_lo
	v_cmp_eq_u32_e32 vcc_lo, 7, v81
	v_cndmask_b32_e64 v69, v69, v86, s29
	v_cndmask_b32_e64 v71, v72, v95, s7
	;; [unrolled: 1-line block ×3, first 2 shown]
	v_lshrrev_b32_e32 v97, 16, v92
	v_cndmask_b32_e32 v65, v65, v96, vcc_lo
	v_cndmask_b32_e64 v86, v98, v92, s4
	v_cndmask_b32_e32 v69, v69, v99, vcc_lo
	v_lshrrev_b32_e32 v99, 16, v93
	v_cndmask_b32_e64 v71, v71, v89, s9
	v_lshrrev_b32_e32 v98, 16, v89
	v_cndmask_b32_e64 v86, v86, v97, s7
	v_perm_b32 v70, v68, v70, 0x5040100
	v_cndmask_b32_e64 v72, v72, v95, s8
	s_delay_alu instid0(VALU_DEP_4) | instskip(NEXT) | instid1(VALU_DEP_4)
	v_cndmask_b32_e64 v96, v71, v98, s10
	v_cndmask_b32_e64 v86, v86, v93, s9
	v_perm_b32 v71, v69, v65, 0x5040100
	v_perm_b32 v69, v83, v102, 0x5040100
	v_cndmask_b32_e64 v102, v91, v85, s5
	v_cndmask_b32_e64 v72, v72, v89, s11
	;; [unrolled: 1-line block ×3, first 2 shown]
	v_lshrrev_b32_e32 v83, 16, v94
	s_delay_alu instid0(VALU_DEP_3) | instskip(NEXT) | instid1(VALU_DEP_3)
	v_cndmask_b32_e64 v65, v72, v98, s13
	v_cndmask_b32_e64 v68, v86, v94, s12
	;; [unrolled: 1-line block ×27, first 2 shown]
	v_lshrrev_b32_e32 v96, 16, v90
	v_cndmask_b32_e64 v65, v65, v90, s16
	v_cndmask_b32_e64 v86, v86, v90, s24
	v_cndmask_b32_e64 v84, v84, v90, s29
	v_cndmask_b32_e64 v87, v87, v94, s29
	v_cndmask_b32_e64 v88, v88, v94, s24
	v_cndmask_b32_e64 v85, v85, v94, s16
	v_cndmask_b32_e64 v72, v72, v96, s15
	v_cndmask_b32_e64 v65, v65, v96, s18
	v_cndmask_b32_e64 v89, v86, v96, s27
	v_cndmask_b32_e32 v84, v84, v96, vcc_lo
	v_cndmask_b32_e32 v86, v87, v83, vcc_lo
	v_cndmask_b32_e64 v87, v88, v83, s27
	v_cndmask_b32_e64 v88, v85, v83, s18
	;; [unrolled: 1-line block ×3, first 2 shown]
	v_perm_b32 v68, v101, v100, 0x5040100
	v_perm_b32 v86, v86, v84, 0x5040100
	;; [unrolled: 1-line block ×5, first 2 shown]
	s_lshl_b32 s8, s35, 4
	s_mov_b32 s3, exec_lo
	ds_store_b128 v77, v[68:71]
	ds_store_b128 v77, v[83:86] offset:1024
	v_cmpx_gt_u32_e32 16, v0
	s_cbranch_execz .LBB1401_78
; %bb.77:
	v_or_b32_e32 v65, s31, v0
	s_load_b128 s[4:7], s[0:1], 0x58
	s_delay_alu instid0(VALU_DEP_1) | instskip(NEXT) | instid1(VALU_DEP_1)
	v_mad_u64_u32 v[68:69], null, s8, s30, v[65:66]
	v_mad_u64_u32 v[69:70], null, v68, s34, s[14:15]
	s_delay_alu instid0(VALU_DEP_1) | instskip(NEXT) | instid1(VALU_DEP_1)
	v_ashrrev_i32_e32 v70, 31, v69
	v_lshlrev_b64 v[68:69], 2, v[69:70]
	s_waitcnt lgkmcnt(0)
	s_delay_alu instid0(VALU_DEP_1) | instskip(NEXT) | instid1(VALU_DEP_2)
	v_add_co_u32 v70, vcc_lo, s6, v68
	v_add_co_ci_u32_e32 v71, vcc_lo, s7, v69, vcc_lo
	v_add_co_u32 v68, vcc_lo, s4, v68
	v_add_co_ci_u32_e32 v69, vcc_lo, s5, v69, vcc_lo
	global_store_b32 v[70:71], v66, off
	global_store_b32 v[68:69], v67, off
.LBB1401_78:
	s_or_b32 exec_lo, exec_lo, s3
	s_waitcnt lgkmcnt(0)
	s_waitcnt_vscnt null, 0x0
	s_barrier
	buffer_gl0_inv
	ds_load_b128 v[83:86], v76
	ds_load_b128 v[87:90], v76 offset:16
	ds_load_b128 v[95:98], v76 offset:2064
	;; [unrolled: 1-line block ×3, first 2 shown]
	v_mov_b32_e32 v65, 0
	ds_load_b128 v[103:106], v76 offset:4112
	ds_load_b128 v[99:102], v76 offset:4096
	;; [unrolled: 1-line block ×4, first 2 shown]
	v_mov_b32_e32 v66, v65
	v_mov_b32_e32 v67, v65
	;; [unrolled: 1-line block ×7, first 2 shown]
	s_waitcnt lgkmcnt(6)
	s_delay_alu instid0(VALU_DEP_1)
	v_wmma_f32_16x16x16_bf16 v[65:72], v[57:64], v[83:90], v[65:72]
	ds_load_b128 v[61:64], v76 offset:8208
	ds_load_b128 v[57:60], v76 offset:8192
	s_waitcnt lgkmcnt(6)
	v_wmma_f32_16x16x16_bf16 v[65:72], v[41:48], v[91:98], v[65:72]
	ds_load_b128 v[45:48], v76 offset:10256
	ds_load_b128 v[41:44], v76 offset:10240
	s_waitcnt lgkmcnt(6)
	v_wmma_f32_16x16x16_bf16 v[65:72], v[33:40], v[99:106], v[65:72]
	ds_load_b128 v[37:40], v76 offset:12304
	ds_load_b128 v[33:36], v76 offset:12288
	s_waitcnt lgkmcnt(6)
	v_wmma_f32_16x16x16_bf16 v[65:72], v[25:32], v[107:114], v[65:72]
	ds_load_b128 v[29:32], v76 offset:14352
	ds_load_b128 v[25:28], v76 offset:14336
	s_waitcnt lgkmcnt(6)
	v_wmma_f32_16x16x16_bf16 v[65:72], v[1:8], v[57:64], v[65:72]
	s_waitcnt lgkmcnt(4)
	s_delay_alu instid0(VALU_DEP_1) | instskip(SKIP_1) | instid1(VALU_DEP_1)
	v_wmma_f32_16x16x16_bf16 v[65:72], v[9:16], v[41:48], v[65:72]
	s_waitcnt lgkmcnt(2)
	v_wmma_f32_16x16x16_bf16 v[65:72], v[17:24], v[33:40], v[65:72]
	s_waitcnt lgkmcnt(0)
	s_delay_alu instid0(VALU_DEP_1) | instskip(NEXT) | instid1(VALU_DEP_1)
	v_wmma_f32_16x16x16_bf16 v[65:72], v[49:56], v[25:32], v[65:72]
	v_and_b32_e32 v1, 0x7f800000, v65
	s_delay_alu instid0(VALU_DEP_1) | instskip(SKIP_1) | instid1(SALU_CYCLE_1)
	v_cmp_ne_u32_e32 vcc_lo, 0x7f800000, v1
                                        ; implicit-def: $vgpr1
	s_and_saveexec_b32 s3, vcc_lo
	s_xor_b32 s3, exec_lo, s3
; %bb.79:
	v_bfe_u32 v1, v65, 16, 1
	s_delay_alu instid0(VALU_DEP_1)
	v_add3_u32 v1, v65, v1, 0x7fff
; %bb.80:
	s_and_not1_saveexec_b32 s3, s3
; %bb.81:
	v_and_b32_e32 v1, 0xffff, v65
	v_or_b32_e32 v2, 0x10000, v65
	s_delay_alu instid0(VALU_DEP_2) | instskip(NEXT) | instid1(VALU_DEP_2)
	v_cmp_eq_u32_e32 vcc_lo, 0, v1
	v_cndmask_b32_e32 v1, v2, v65, vcc_lo
; %bb.82:
	s_or_b32 exec_lo, exec_lo, s3
	v_and_b32_e32 v2, 0x7f800000, v66
	s_delay_alu instid0(VALU_DEP_1) | instskip(SKIP_1) | instid1(SALU_CYCLE_1)
	v_cmp_ne_u32_e32 vcc_lo, 0x7f800000, v2
                                        ; implicit-def: $vgpr2
	s_and_saveexec_b32 s3, vcc_lo
	s_xor_b32 s3, exec_lo, s3
; %bb.83:
	v_bfe_u32 v2, v66, 16, 1
	s_delay_alu instid0(VALU_DEP_1)
	v_add3_u32 v2, v66, v2, 0x7fff
; %bb.84:
	s_and_not1_saveexec_b32 s3, s3
; %bb.85:
	v_and_b32_e32 v2, 0xffff, v66
	v_or_b32_e32 v3, 0x10000, v66
	s_delay_alu instid0(VALU_DEP_2) | instskip(NEXT) | instid1(VALU_DEP_2)
	v_cmp_eq_u32_e32 vcc_lo, 0, v2
	v_cndmask_b32_e32 v2, v3, v66, vcc_lo
; %bb.86:
	s_or_b32 exec_lo, exec_lo, s3
	v_and_b32_e32 v3, 0x7f800000, v67
	s_delay_alu instid0(VALU_DEP_1) | instskip(SKIP_1) | instid1(SALU_CYCLE_1)
	v_cmp_ne_u32_e32 vcc_lo, 0x7f800000, v3
                                        ; implicit-def: $vgpr3
	s_and_saveexec_b32 s3, vcc_lo
	s_xor_b32 s3, exec_lo, s3
; %bb.87:
	v_bfe_u32 v3, v67, 16, 1
	s_delay_alu instid0(VALU_DEP_1)
	v_add3_u32 v3, v67, v3, 0x7fff
; %bb.88:
	s_and_not1_saveexec_b32 s3, s3
; %bb.89:
	v_and_b32_e32 v3, 0xffff, v67
	v_or_b32_e32 v4, 0x10000, v67
	s_delay_alu instid0(VALU_DEP_2) | instskip(NEXT) | instid1(VALU_DEP_2)
	v_cmp_eq_u32_e32 vcc_lo, 0, v3
	v_cndmask_b32_e32 v3, v4, v67, vcc_lo
; %bb.90:
	s_or_b32 exec_lo, exec_lo, s3
	v_and_b32_e32 v4, 0x7f800000, v68
	s_delay_alu instid0(VALU_DEP_1) | instskip(SKIP_1) | instid1(SALU_CYCLE_1)
	v_cmp_ne_u32_e32 vcc_lo, 0x7f800000, v4
                                        ; implicit-def: $vgpr4
	s_and_saveexec_b32 s3, vcc_lo
	s_xor_b32 s3, exec_lo, s3
; %bb.91:
	v_bfe_u32 v4, v68, 16, 1
	s_delay_alu instid0(VALU_DEP_1)
	v_add3_u32 v4, v68, v4, 0x7fff
; %bb.92:
	s_and_not1_saveexec_b32 s3, s3
; %bb.93:
	v_and_b32_e32 v4, 0xffff, v68
	v_or_b32_e32 v5, 0x10000, v68
	s_delay_alu instid0(VALU_DEP_2) | instskip(NEXT) | instid1(VALU_DEP_2)
	v_cmp_eq_u32_e32 vcc_lo, 0, v4
	v_cndmask_b32_e32 v4, v5, v68, vcc_lo
; %bb.94:
	s_or_b32 exec_lo, exec_lo, s3
	v_and_b32_e32 v5, 0x7f800000, v69
	s_delay_alu instid0(VALU_DEP_1) | instskip(SKIP_1) | instid1(SALU_CYCLE_1)
	v_cmp_ne_u32_e32 vcc_lo, 0x7f800000, v5
                                        ; implicit-def: $vgpr5
	s_and_saveexec_b32 s3, vcc_lo
	s_xor_b32 s3, exec_lo, s3
; %bb.95:
	v_bfe_u32 v5, v69, 16, 1
	s_delay_alu instid0(VALU_DEP_1)
	v_add3_u32 v5, v69, v5, 0x7fff
; %bb.96:
	s_and_not1_saveexec_b32 s3, s3
; %bb.97:
	v_and_b32_e32 v5, 0xffff, v69
	v_or_b32_e32 v6, 0x10000, v69
	s_delay_alu instid0(VALU_DEP_2) | instskip(NEXT) | instid1(VALU_DEP_2)
	v_cmp_eq_u32_e32 vcc_lo, 0, v5
	v_cndmask_b32_e32 v5, v6, v69, vcc_lo
; %bb.98:
	s_or_b32 exec_lo, exec_lo, s3
	v_and_b32_e32 v6, 0x7f800000, v70
	s_delay_alu instid0(VALU_DEP_1) | instskip(SKIP_1) | instid1(SALU_CYCLE_1)
	v_cmp_ne_u32_e32 vcc_lo, 0x7f800000, v6
                                        ; implicit-def: $vgpr6
	s_and_saveexec_b32 s3, vcc_lo
	s_xor_b32 s3, exec_lo, s3
; %bb.99:
	v_bfe_u32 v6, v70, 16, 1
	s_delay_alu instid0(VALU_DEP_1)
	v_add3_u32 v6, v70, v6, 0x7fff
; %bb.100:
	s_and_not1_saveexec_b32 s3, s3
; %bb.101:
	v_and_b32_e32 v6, 0xffff, v70
	v_or_b32_e32 v7, 0x10000, v70
	s_delay_alu instid0(VALU_DEP_2) | instskip(NEXT) | instid1(VALU_DEP_2)
	v_cmp_eq_u32_e32 vcc_lo, 0, v6
	v_cndmask_b32_e32 v6, v7, v70, vcc_lo
; %bb.102:
	s_or_b32 exec_lo, exec_lo, s3
	v_and_b32_e32 v7, 0x7f800000, v71
	s_delay_alu instid0(VALU_DEP_1) | instskip(SKIP_1) | instid1(SALU_CYCLE_1)
	v_cmp_ne_u32_e32 vcc_lo, 0x7f800000, v7
                                        ; implicit-def: $vgpr7
	s_and_saveexec_b32 s3, vcc_lo
	s_xor_b32 s3, exec_lo, s3
; %bb.103:
	v_bfe_u32 v7, v71, 16, 1
	s_delay_alu instid0(VALU_DEP_1)
	v_add3_u32 v7, v71, v7, 0x7fff
; %bb.104:
	s_and_not1_saveexec_b32 s3, s3
; %bb.105:
	v_and_b32_e32 v7, 0xffff, v71
	v_or_b32_e32 v8, 0x10000, v71
	s_delay_alu instid0(VALU_DEP_2) | instskip(NEXT) | instid1(VALU_DEP_2)
	v_cmp_eq_u32_e32 vcc_lo, 0, v7
	v_cndmask_b32_e32 v7, v8, v71, vcc_lo
; %bb.106:
	s_or_b32 exec_lo, exec_lo, s3
	v_and_b32_e32 v8, 0x7f800000, v72
	s_delay_alu instid0(VALU_DEP_1) | instskip(SKIP_1) | instid1(SALU_CYCLE_1)
	v_cmp_ne_u32_e32 vcc_lo, 0x7f800000, v8
                                        ; implicit-def: $vgpr8
	s_and_saveexec_b32 s3, vcc_lo
	s_xor_b32 s3, exec_lo, s3
; %bb.107:
	v_bfe_u32 v8, v72, 16, 1
	s_delay_alu instid0(VALU_DEP_1)
	v_add3_u32 v8, v72, v8, 0x7fff
                                        ; implicit-def: $vgpr65_vgpr66_vgpr67_vgpr68_vgpr69_vgpr70_vgpr71_vgpr72
; %bb.108:
	s_and_not1_saveexec_b32 s3, s3
; %bb.109:
	v_and_b32_e32 v8, 0xffff, v72
	v_or_b32_e32 v9, 0x10000, v72
	s_delay_alu instid0(VALU_DEP_2) | instskip(NEXT) | instid1(VALU_DEP_2)
	v_cmp_eq_u32_e32 vcc_lo, 0, v8
	v_cndmask_b32_e32 v8, v9, v72, vcc_lo
; %bb.110:
	s_or_b32 exec_lo, exec_lo, s3
	s_delay_alu instid0(VALU_DEP_1)
	v_perm_b32 v7, v8, v7, 0x7060302
	v_perm_b32 v6, v6, v5, 0x7060302
	;; [unrolled: 1-line block ×4, first 2 shown]
	s_barrier
	buffer_gl0_inv
	v_cmp_eq_u32_e32 vcc_lo, 1, v79
	ds_store_b128 v77, v[4:7]
	s_waitcnt lgkmcnt(0)
	s_barrier
	buffer_gl0_inv
	ds_load_b128 v[1:4], v82
	ds_load_b128 v[5:8], v82 offset:16
	v_cmp_eq_u32_e64 s3, 1, v80
	v_cmp_eq_u32_e64 s4, 2, v79
	;; [unrolled: 1-line block ×5, first 2 shown]
	s_waitcnt lgkmcnt(1)
	v_lshrrev_b32_e32 v9, 16, v1
	s_waitcnt lgkmcnt(0)
	v_lshrrev_b32_e32 v13, 16, v5
	v_lshrrev_b32_e32 v10, 16, v2
	;; [unrolled: 1-line block ×4, first 2 shown]
	v_cndmask_b32_e64 v19, v1, v9, s3
	v_cndmask_b32_e32 v18, v5, v13, vcc_lo
	v_cndmask_b32_e64 v20, v5, v13, s3
	v_cndmask_b32_e32 v17, v1, v9, vcc_lo
	v_cmp_eq_u32_e32 vcc_lo, 2, v80
	v_lshrrev_b32_e32 v15, 16, v7
	v_cmp_eq_u32_e64 s3, 1, v78
	v_lshrrev_b32_e32 v12, 16, v4
	v_lshrrev_b32_e32 v16, 16, v8
	v_cndmask_b32_e32 v20, v20, v6, vcc_lo
	v_cndmask_b32_e64 v17, v17, v2, s4
	v_cndmask_b32_e32 v19, v19, v2, vcc_lo
	v_cndmask_b32_e64 v18, v18, v6, s4
	v_cmp_eq_u32_e32 vcc_lo, 4, v79
	v_cmp_eq_u32_e64 s4, 3, v80
	v_cndmask_b32_e64 v17, v17, v10, s5
	v_cndmask_b32_e64 v21, v1, v9, s3
	;; [unrolled: 1-line block ×5, first 2 shown]
	v_cndmask_b32_e32 v17, v17, v3, vcc_lo
	v_cndmask_b32_e64 v20, v20, v14, s4
	v_cndmask_b32_e32 v18, v18, v7, vcc_lo
	v_cmp_eq_u32_e32 vcc_lo, 4, v80
	v_cmp_eq_u32_e64 s4, 5, v80
	v_cmp_eq_u32_e64 s3, 2, v81
	v_cndmask_b32_e64 v21, v21, v2, s7
	v_cmp_eq_u32_e64 s5, 5, v79
	v_cndmask_b32_e32 v19, v19, v3, vcc_lo
	v_cndmask_b32_e32 v20, v20, v7, vcc_lo
	v_cmp_eq_u32_e32 vcc_lo, 6, v80
	s_delay_alu instid0(VALU_DEP_4) | instskip(NEXT) | instid1(VALU_DEP_4)
	v_cndmask_b32_e64 v17, v17, v11, s5
	v_cndmask_b32_e64 v19, v19, v11, s4
	s_delay_alu instid0(VALU_DEP_4) | instskip(SKIP_1) | instid1(VALU_DEP_3)
	v_cndmask_b32_e64 v20, v20, v15, s4
	v_cmp_eq_u32_e64 s4, 1, v81
	v_cndmask_b32_e32 v19, v19, v4, vcc_lo
	v_cndmask_b32_e64 v18, v18, v15, s5
	s_delay_alu instid0(VALU_DEP_3)
	v_cndmask_b32_e64 v1, v1, v9, s4
	v_cndmask_b32_e64 v5, v5, v13, s4
	v_cmp_eq_u32_e64 s4, 3, v78
	v_cndmask_b32_e64 v13, v22, v6, s7
	v_cmp_eq_u32_e64 s7, 3, v81
	v_cndmask_b32_e64 v1, v1, v2, s3
	v_cndmask_b32_e64 v2, v5, v6, s3
	v_cndmask_b32_e64 v9, v21, v10, s4
	v_cmp_eq_u32_e64 s3, 4, v78
	v_cndmask_b32_e64 v6, v13, v14, s4
	v_cndmask_b32_e64 v1, v1, v10, s7
	v_cmp_eq_u32_e64 s4, 4, v81
	v_cndmask_b32_e64 v2, v2, v14, s7
	v_cndmask_b32_e64 v5, v9, v3, s3
	;; [unrolled: 3-line block ×3, first 2 shown]
	v_cndmask_b32_e64 v2, v2, v7, s4
	v_cmp_eq_u32_e64 s3, 5, v81
	v_cmp_eq_u32_e64 s5, 6, v79
	v_cndmask_b32_e64 v5, v5, v11, s7
	v_cmp_eq_u32_e64 s4, 6, v78
	v_cndmask_b32_e64 v3, v6, v15, s7
	v_cndmask_b32_e64 v1, v1, v11, s3
	v_cmp_eq_u32_e64 s7, 6, v81
	v_cndmask_b32_e64 v2, v2, v15, s3
	v_cndmask_b32_e64 v17, v17, v4, s5
	v_cndmask_b32_e64 v18, v18, v8, s5
	v_cmp_eq_u32_e64 s5, 7, v79
	v_cndmask_b32_e64 v5, v5, v4, s4
	;; [unrolled: 4-line block ×3, first 2 shown]
	v_cmp_eq_u32_e64 s4, 7, v78
	v_cndmask_b32_e32 v4, v20, v8, vcc_lo
	v_cndmask_b32_e64 v17, v17, v12, s5
	v_cndmask_b32_e64 v19, v19, v12, s6
	;; [unrolled: 1-line block ×8, first 2 shown]
	v_cmp_gt_u32_e32 vcc_lo, 32, v0
	v_perm_b32 v4, v2, v1, 0x5040100
	v_perm_b32 v3, v3, v5, 0x5040100
	;; [unrolled: 1-line block ×4, first 2 shown]
	s_and_b32 s2, vcc_lo, s2
	ds_store_b128 v77, v[1:4]
	s_waitcnt lgkmcnt(0)
	s_barrier
	buffer_gl0_inv
	s_and_saveexec_b32 s3, s2
	s_cbranch_execz .LBB1401_2
; %bb.111:
	s_load_b64 s[0:1], s[0:1], 0x68
	v_lshlrev_b32_e32 v0, 10, v0
	s_lshl_b32 s4, s34, 6
	v_or_b32_e32 v23, s31, v74
	s_mul_i32 s2, s4, s30
	v_lshlrev_b32_e32 v1, 4, v75
	v_lshlrev_b32_e32 v2, 6, v74
	s_mul_i32 s2, s2, s8
	v_and_b32_e32 v0, 0x3800, v0
	v_mul_lo_u32 v8, v23, s4
	s_ashr_i32 s3, s2, 31
	v_or_b32_e32 v3, 2, v23
	s_lshl_b64 s[2:3], s[2:3], 1
	v_or3_b32 v27, v0, v1, v2
	v_or_b32_e32 v11, 4, v23
	v_or_b32_e32 v18, 6, v23
	v_mul_lo_u32 v10, v3, s4
	v_ashrrev_i32_e32 v9, 31, v8
	ds_load_b128 v[0:3], v27
	ds_load_b128 v[4:7], v27 offset:128
	v_mul_lo_u32 v12, v11, s4
	s_waitcnt lgkmcnt(0)
	s_add_u32 s2, s0, s2
	s_addc_u32 s3, s1, s3
	s_lshl_b32 s0, s14, 6
	v_lshlrev_b64 v[8:9], 1, v[8:9]
	s_ashr_i32 s1, s0, 31
	v_ashrrev_i32_e32 v11, 31, v10
	s_lshl_b64 s[0:1], s[0:1], 1
	v_ashrrev_i32_e32 v13, 31, v12
	s_add_u32 s0, s2, s0
	s_addc_u32 s1, s3, s1
	v_add_co_u32 v30, s0, s0, v73
	s_delay_alu instid0(VALU_DEP_1) | instskip(SKIP_1) | instid1(VALU_DEP_3)
	v_add_co_ci_u32_e64 v31, null, s1, 0, s0
	v_lshlrev_b64 v[16:17], 1, v[10:11]
	v_add_co_u32 v14, vcc_lo, v30, v8
	s_delay_alu instid0(VALU_DEP_3)
	v_add_co_ci_u32_e32 v15, vcc_lo, v31, v9, vcc_lo
	ds_load_b128 v[8:11], v27 offset:256
	v_mul_lo_u32 v18, v18, s4
	v_or_b32_e32 v19, 8, v23
	v_add_co_u32 v16, vcc_lo, v30, v16
	global_store_b128 v[14:15], v[0:3], off
	v_lshlrev_b64 v[0:1], 1, v[12:13]
	v_add_co_ci_u32_e32 v17, vcc_lo, v31, v17, vcc_lo
	v_mul_lo_u32 v12, v19, s4
	v_ashrrev_i32_e32 v19, 31, v18
	v_or_b32_e32 v14, 10, v23
	global_store_b128 v[16:17], v[4:7], off
	v_add_co_u32 v4, vcc_lo, v30, v0
	v_add_co_ci_u32_e32 v5, vcc_lo, v31, v1, vcc_lo
	ds_load_b128 v[0:3], v27 offset:384
	v_ashrrev_i32_e32 v13, 31, v12
	v_lshlrev_b64 v[6:7], 1, v[18:19]
	v_mul_lo_u32 v14, v14, s4
	s_waitcnt lgkmcnt(1)
	global_store_b128 v[4:5], v[8:11], off
	v_or_b32_e32 v8, 12, v23
	v_lshlrev_b64 v[4:5], 1, v[12:13]
	v_add_co_u32 v20, vcc_lo, v30, v6
	v_or_b32_e32 v6, 14, v23
	v_ashrrev_i32_e32 v15, 31, v14
	v_mul_lo_u32 v22, v8, s4
	v_add_co_ci_u32_e32 v21, vcc_lo, v31, v7, vcc_lo
	v_add_co_u32 v24, vcc_lo, v30, v4
	v_mul_lo_u32 v26, v6, s4
	v_add_co_ci_u32_e32 v25, vcc_lo, v31, v5, vcc_lo
	v_lshlrev_b64 v[28:29], 1, v[14:15]
	ds_load_b128 v[4:7], v27 offset:512
	ds_load_b128 v[8:11], v27 offset:640
	;; [unrolled: 1-line block ×4, first 2 shown]
	v_ashrrev_i32_e32 v23, 31, v22
	v_ashrrev_i32_e32 v27, 31, v26
	v_add_co_u32 v28, vcc_lo, v30, v28
	s_delay_alu instid0(VALU_DEP_3) | instskip(SKIP_1) | instid1(VALU_DEP_4)
	v_lshlrev_b64 v[22:23], 1, v[22:23]
	v_add_co_ci_u32_e32 v29, vcc_lo, v31, v29, vcc_lo
	v_lshlrev_b64 v[26:27], 1, v[26:27]
	s_delay_alu instid0(VALU_DEP_3) | instskip(NEXT) | instid1(VALU_DEP_4)
	v_add_co_u32 v22, vcc_lo, v30, v22
	v_add_co_ci_u32_e32 v23, vcc_lo, v31, v23, vcc_lo
	s_delay_alu instid0(VALU_DEP_3) | instskip(NEXT) | instid1(VALU_DEP_4)
	v_add_co_u32 v26, vcc_lo, v30, v26
	v_add_co_ci_u32_e32 v27, vcc_lo, v31, v27, vcc_lo
	s_waitcnt lgkmcnt(4)
	global_store_b128 v[20:21], v[0:3], off
	s_waitcnt lgkmcnt(3)
	global_store_b128 v[24:25], v[4:7], off
	;; [unrolled: 2-line block ×5, first 2 shown]
	s_nop 0
	s_sendmsg sendmsg(MSG_DEALLOC_VGPRS)
	s_endpgm
	.section	.rodata,"a",@progbits
	.p2align	6, 0x0
	.amdhsa_kernel _Z39paged_attention_ll4mi_QKV_mfma16_kernelI14__hip_bfloat16hLN4vllm18Fp8KVCacheDataTypeE1ES0_Li16ELi64ELi256ELb1ELi16EL8MFMAType1EEvPKT_PKT0_S9_ifPKiSB_SB_iPKfiiiPfSE_PS4_PT2_iSD_SD_
		.amdhsa_group_segment_fixed_size 17472
		.amdhsa_private_segment_fixed_size 0
		.amdhsa_kernarg_size 400
		.amdhsa_user_sgpr_count 13
		.amdhsa_user_sgpr_dispatch_ptr 0
		.amdhsa_user_sgpr_queue_ptr 0
		.amdhsa_user_sgpr_kernarg_segment_ptr 1
		.amdhsa_user_sgpr_dispatch_id 0
		.amdhsa_user_sgpr_private_segment_size 0
		.amdhsa_wavefront_size32 1
		.amdhsa_uses_dynamic_stack 0
		.amdhsa_enable_private_segment 0
		.amdhsa_system_sgpr_workgroup_id_x 1
		.amdhsa_system_sgpr_workgroup_id_y 1
		.amdhsa_system_sgpr_workgroup_id_z 1
		.amdhsa_system_sgpr_workgroup_info 0
		.amdhsa_system_vgpr_workitem_id 0
		.amdhsa_next_free_vgpr 125
		.amdhsa_next_free_sgpr 38
		.amdhsa_reserve_vcc 1
		.amdhsa_float_round_mode_32 0
		.amdhsa_float_round_mode_16_64 0
		.amdhsa_float_denorm_mode_32 3
		.amdhsa_float_denorm_mode_16_64 3
		.amdhsa_dx10_clamp 1
		.amdhsa_ieee_mode 1
		.amdhsa_fp16_overflow 0
		.amdhsa_workgroup_processor_mode 1
		.amdhsa_memory_ordered 1
		.amdhsa_forward_progress 0
		.amdhsa_shared_vgpr_count 0
		.amdhsa_exception_fp_ieee_invalid_op 0
		.amdhsa_exception_fp_denorm_src 0
		.amdhsa_exception_fp_ieee_div_zero 0
		.amdhsa_exception_fp_ieee_overflow 0
		.amdhsa_exception_fp_ieee_underflow 0
		.amdhsa_exception_fp_ieee_inexact 0
		.amdhsa_exception_int_div_zero 0
	.end_amdhsa_kernel
	.section	.text._Z39paged_attention_ll4mi_QKV_mfma16_kernelI14__hip_bfloat16hLN4vllm18Fp8KVCacheDataTypeE1ES0_Li16ELi64ELi256ELb1ELi16EL8MFMAType1EEvPKT_PKT0_S9_ifPKiSB_SB_iPKfiiiPfSE_PS4_PT2_iSD_SD_,"axG",@progbits,_Z39paged_attention_ll4mi_QKV_mfma16_kernelI14__hip_bfloat16hLN4vllm18Fp8KVCacheDataTypeE1ES0_Li16ELi64ELi256ELb1ELi16EL8MFMAType1EEvPKT_PKT0_S9_ifPKiSB_SB_iPKfiiiPfSE_PS4_PT2_iSD_SD_,comdat
.Lfunc_end1401:
	.size	_Z39paged_attention_ll4mi_QKV_mfma16_kernelI14__hip_bfloat16hLN4vllm18Fp8KVCacheDataTypeE1ES0_Li16ELi64ELi256ELb1ELi16EL8MFMAType1EEvPKT_PKT0_S9_ifPKiSB_SB_iPKfiiiPfSE_PS4_PT2_iSD_SD_, .Lfunc_end1401-_Z39paged_attention_ll4mi_QKV_mfma16_kernelI14__hip_bfloat16hLN4vllm18Fp8KVCacheDataTypeE1ES0_Li16ELi64ELi256ELb1ELi16EL8MFMAType1EEvPKT_PKT0_S9_ifPKiSB_SB_iPKfiiiPfSE_PS4_PT2_iSD_SD_
                                        ; -- End function
	.section	.AMDGPU.csdata,"",@progbits
; Kernel info:
; codeLenInByte = 8912
; NumSgprs: 40
; NumVgprs: 125
; ScratchSize: 0
; MemoryBound: 0
; FloatMode: 240
; IeeeMode: 1
; LDSByteSize: 17472 bytes/workgroup (compile time only)
; SGPRBlocks: 4
; VGPRBlocks: 15
; NumSGPRsForWavesPerEU: 40
; NumVGPRsForWavesPerEU: 125
; Occupancy: 10
; WaveLimiterHint : 1
; COMPUTE_PGM_RSRC2:SCRATCH_EN: 0
; COMPUTE_PGM_RSRC2:USER_SGPR: 13
; COMPUTE_PGM_RSRC2:TRAP_HANDLER: 0
; COMPUTE_PGM_RSRC2:TGID_X_EN: 1
; COMPUTE_PGM_RSRC2:TGID_Y_EN: 1
; COMPUTE_PGM_RSRC2:TGID_Z_EN: 1
; COMPUTE_PGM_RSRC2:TIDIG_COMP_CNT: 0
	.section	.text._Z39paged_attention_ll4mi_QKV_mfma16_kernelI14__hip_bfloat16hLN4vllm18Fp8KVCacheDataTypeE1ES0_Li16ELi64ELi256ELb1ELi1EL8MFMAType1EEvPKT_PKT0_S9_ifPKiSB_SB_iPKfiiiPfSE_PS4_PT2_iSD_SD_,"axG",@progbits,_Z39paged_attention_ll4mi_QKV_mfma16_kernelI14__hip_bfloat16hLN4vllm18Fp8KVCacheDataTypeE1ES0_Li16ELi64ELi256ELb1ELi1EL8MFMAType1EEvPKT_PKT0_S9_ifPKiSB_SB_iPKfiiiPfSE_PS4_PT2_iSD_SD_,comdat
	.protected	_Z39paged_attention_ll4mi_QKV_mfma16_kernelI14__hip_bfloat16hLN4vllm18Fp8KVCacheDataTypeE1ES0_Li16ELi64ELi256ELb1ELi1EL8MFMAType1EEvPKT_PKT0_S9_ifPKiSB_SB_iPKfiiiPfSE_PS4_PT2_iSD_SD_ ; -- Begin function _Z39paged_attention_ll4mi_QKV_mfma16_kernelI14__hip_bfloat16hLN4vllm18Fp8KVCacheDataTypeE1ES0_Li16ELi64ELi256ELb1ELi1EL8MFMAType1EEvPKT_PKT0_S9_ifPKiSB_SB_iPKfiiiPfSE_PS4_PT2_iSD_SD_
	.globl	_Z39paged_attention_ll4mi_QKV_mfma16_kernelI14__hip_bfloat16hLN4vllm18Fp8KVCacheDataTypeE1ES0_Li16ELi64ELi256ELb1ELi1EL8MFMAType1EEvPKT_PKT0_S9_ifPKiSB_SB_iPKfiiiPfSE_PS4_PT2_iSD_SD_
	.p2align	8
	.type	_Z39paged_attention_ll4mi_QKV_mfma16_kernelI14__hip_bfloat16hLN4vllm18Fp8KVCacheDataTypeE1ES0_Li16ELi64ELi256ELb1ELi1EL8MFMAType1EEvPKT_PKT0_S9_ifPKiSB_SB_iPKfiiiPfSE_PS4_PT2_iSD_SD_,@function
_Z39paged_attention_ll4mi_QKV_mfma16_kernelI14__hip_bfloat16hLN4vllm18Fp8KVCacheDataTypeE1ES0_Li16ELi64ELi256ELb1ELi1EL8MFMAType1EEvPKT_PKT0_S9_ifPKiSB_SB_iPKfiiiPfSE_PS4_PT2_iSD_SD_: ; @_Z39paged_attention_ll4mi_QKV_mfma16_kernelI14__hip_bfloat16hLN4vllm18Fp8KVCacheDataTypeE1ES0_Li16ELi64ELi256ELb1ELi1EL8MFMAType1EEvPKT_PKT0_S9_ifPKiSB_SB_iPKfiiiPfSE_PS4_PT2_iSD_SD_
; %bb.0:
	s_load_b64 s[4:5], s[0:1], 0x30
	s_mov_b32 s34, s13
	s_waitcnt lgkmcnt(0)
	s_cmp_lg_u64 s[4:5], 0
	s_cselect_b32 s6, -1, 0
	s_ashr_i32 s35, s13, 31
	s_cmp_eq_u64 s[4:5], 0
	s_cbranch_scc1 .LBB1402_3
; %bb.1:
	s_lshl_b64 s[2:3], s[34:35], 2
	s_delay_alu instid0(SALU_CYCLE_1) | instskip(SKIP_4) | instid1(SALU_CYCLE_1)
	s_add_u32 s2, s4, s2
	s_addc_u32 s3, s5, s3
	s_load_b64 s[2:3], s[2:3], 0x0
	s_waitcnt lgkmcnt(0)
	s_sub_i32 s2, s3, s2
	s_cmp_eq_u32 s2, 1
	s_cselect_b32 s2, -1, 0
	s_delay_alu instid0(SALU_CYCLE_1)
	s_and_not1_b32 vcc_lo, exec_lo, s2
	s_cbranch_vccz .LBB1402_4
.LBB1402_2:
	s_endpgm
.LBB1402_3:
.LBB1402_4:
	s_load_b64 s[2:3], s[0:1], 0x28
	s_lshl_b64 s[8:9], s[34:35], 2
	s_waitcnt lgkmcnt(0)
	s_add_u32 s2, s2, s8
	s_addc_u32 s3, s3, s9
	s_lshl_b32 s12, s14, 8
	s_load_b32 s33, s[2:3], 0x0
	s_waitcnt lgkmcnt(0)
	s_cmp_ge_i32 s12, s33
	s_cbranch_scc1 .LBB1402_2
; %bb.5:
	s_clause 0x1
	s_load_b128 s[28:31], s[0:1], 0x8
	s_load_b64 s[2:3], s[0:1], 0x20
	s_and_not1_b32 vcc_lo, exec_lo, s6
	s_mov_b64 s[6:7], s[34:35]
	s_cbranch_vccnz .LBB1402_7
; %bb.6:
	s_add_u32 s4, s4, s8
	s_addc_u32 s5, s5, s9
	s_load_b32 s6, s[4:5], 0x0
.LBB1402_7:
	s_load_b128 s[24:27], s[0:1], 0x48
	v_and_b32_e32 v73, 15, v0
	s_mov_b32 s13, exec_lo
                                        ; implicit-def: $sgpr16
                                        ; implicit-def: $sgpr4
	s_delay_alu instid0(VALU_DEP_1)
	v_cmpx_eq_u32_e32 0, v73
	s_cbranch_execz .LBB1402_9
; %bb.8:
	s_load_b64 s[4:5], s[0:1], 0x0
	s_waitcnt lgkmcnt(0)
	s_mul_hi_i32 s7, s6, s24
	s_mul_i32 s6, s6, s24
	s_delay_alu instid0(SALU_CYCLE_1) | instskip(NEXT) | instid1(SALU_CYCLE_1)
	s_lshl_b64 s[6:7], s[6:7], 1
	s_add_u32 s6, s4, s6
	s_addc_u32 s7, s5, s7
	s_lshl_b32 s4, s15, 6
	s_delay_alu instid0(SALU_CYCLE_1) | instskip(NEXT) | instid1(SALU_CYCLE_1)
	s_ashr_i32 s5, s4, 31
	s_lshl_b64 s[4:5], s[4:5], 1
	s_delay_alu instid0(SALU_CYCLE_1)
	s_add_u32 s4, s6, s4
	s_addc_u32 s5, s7, s5
	s_clause 0x1
	s_load_b256 s[16:23], s[4:5], 0x0
	s_load_b256 s[4:11], s[4:5], 0x40
.LBB1402_9:
	s_or_b32 exec_lo, exec_lo, s13
	s_waitcnt lgkmcnt(0)
	v_dual_mov_b32 v114, s23 :: v_dual_and_b32 v1, 0xef, v0
	s_add_i32 s13, s33, 15
	s_load_b32 s27, s[0:1], 0x38
	s_ashr_i32 s24, s13, 31
	s_delay_alu instid0(VALU_DEP_1) | instskip(SKIP_3) | instid1(VALU_DEP_2)
	v_dual_mov_b32 v112, s21 :: v_dual_add_nc_u32 v1, s12, v1
	s_lshr_b32 s24, s24, 28
	v_lshrrev_b32_e32 v65, 5, v0
	s_add_i32 s13, s13, s24
	v_ashrrev_i32_e32 v2, 31, v1
	v_or_b32_e32 v3, 16, v1
	s_ashr_i32 s13, s13, 4
	v_cmp_gt_i32_e32 vcc_lo, s33, v1
	s_add_i32 s13, s13, -1
	v_lshrrev_b32_e32 v2, 28, v2
	s_load_b32 s24, s[0:1], 0x1c
	v_mbcnt_lo_u32_b32 v67, -1, 0
	v_dual_mov_b32 v113, s22 :: v_dual_lshlrev_b32 v74, 4, v73
	s_delay_alu instid0(VALU_DEP_3) | instskip(SKIP_1) | instid1(VALU_DEP_4)
	v_add_nc_u32_e32 v4, v1, v2
	v_mov_b32_e32 v110, s19
	v_xor_b32_e32 v68, 16, v67
	s_waitcnt lgkmcnt(0)
	s_mul_i32 s36, s34, s27
	v_mov_b32_e32 v108, s17
	v_ashrrev_i32_e32 v4, 4, v4
	v_add_nc_u32_e32 v2, v3, v2
	s_ashr_i32 s37, s36, 31
	v_and_b32_e32 v66, 0xe0, v0
	s_lshl_b64 s[36:37], s[36:37], 2
	v_cndmask_b32_e32 v1, s13, v4, vcc_lo
	v_ashrrev_i32_e32 v2, 4, v2
	v_cmp_gt_i32_e32 vcc_lo, s33, v3
	s_add_u32 s36, s2, s36
	s_addc_u32 s35, s3, s37
	s_mul_i32 s37, s15, s26
	v_add_nc_u32_e32 v66, s12, v66
	v_cndmask_b32_e32 v3, s13, v2, vcc_lo
	v_ashrrev_i32_e32 v2, 31, v1
	s_ashr_i32 s38, s37, 31
	s_add_u32 s39, s28, s37
	s_addc_u32 s46, s29, s38
	v_ashrrev_i32_e32 v4, 31, v3
	v_lshlrev_b64 v[1:2], 2, v[1:2]
	s_lshl_b32 s2, s14, 4
	s_delay_alu instid0(SALU_CYCLE_1) | instskip(NEXT) | instid1(VALU_DEP_2)
	s_ashr_i32 s3, s2, 31
	v_lshlrev_b64 v[3:4], 2, v[3:4]
	s_lshl_b64 s[2:3], s[2:3], 2
	s_delay_alu instid0(VALU_DEP_2) | instskip(SKIP_1) | instid1(VALU_DEP_3)
	v_add_co_u32 v1, vcc_lo, s36, v1
	v_add_co_ci_u32_e32 v2, vcc_lo, s35, v2, vcc_lo
	v_add_co_u32 v3, vcc_lo, s36, v3
	s_delay_alu instid0(VALU_DEP_4)
	v_add_co_ci_u32_e32 v4, vcc_lo, s35, v4, vcc_lo
	s_clause 0x1
	global_load_b32 v5, v[1:2], off
	global_load_b32 v7, v[3:4], off
	s_add_u32 s2, s36, s2
	s_addc_u32 s3, s35, s3
	s_or_b32 s26, s12, 32
	v_lshlrev_b32_e32 v1, 4, v0
	s_ashr_i32 s27, s26, 4
	s_cmp_lt_i32 s26, s33
	v_cmp_gt_i32_e32 vcc_lo, 32, v68
	s_cselect_b32 s26, s27, s13
	v_and_b32_e32 v1, 0xf0, v1
	s_ashr_i32 s27, s26, 31
	s_delay_alu instid0(SALU_CYCLE_1) | instskip(NEXT) | instid1(SALU_CYCLE_1)
	s_lshl_b64 s[26:27], s[26:27], 2
	s_add_u32 s26, s36, s26
	s_addc_u32 s27, s35, s27
	s_or_b32 s28, s12, 64
	v_add_co_u32 v1, s39, s39, v1
	s_ashr_i32 s29, s28, 4
	s_cmp_lt_i32 s28, s33
	v_add_co_ci_u32_e64 v2, null, s46, 0, s39
	s_cselect_b32 s28, s29, s13
	s_delay_alu instid0(SALU_CYCLE_1) | instskip(NEXT) | instid1(SALU_CYCLE_1)
	s_ashr_i32 s29, s28, 31
	s_lshl_b64 s[28:29], s[28:29], 2
	s_delay_alu instid0(SALU_CYCLE_1) | instskip(SKIP_2) | instid1(SALU_CYCLE_1)
	s_add_u32 s40, s36, s28
	s_addc_u32 s41, s35, s29
	s_or_b32 s28, s12, 0x60
	s_ashr_i32 s29, s28, 4
	s_cmp_lt_i32 s28, s33
	s_cselect_b32 s28, s29, s13
	s_delay_alu instid0(SALU_CYCLE_1) | instskip(NEXT) | instid1(SALU_CYCLE_1)
	s_ashr_i32 s29, s28, 31
	s_lshl_b64 s[28:29], s[28:29], 2
	s_delay_alu instid0(SALU_CYCLE_1) | instskip(SKIP_2) | instid1(SALU_CYCLE_1)
	s_add_u32 s42, s36, s28
	s_addc_u32 s43, s35, s29
	s_or_b32 s28, s12, 0x80
	s_ashr_i32 s29, s28, 4
	s_cmp_lt_i32 s28, s33
	;; [unrolled: 10-line block ×3, first 2 shown]
	s_cselect_b32 s28, s29, s13
	s_delay_alu instid0(SALU_CYCLE_1) | instskip(NEXT) | instid1(SALU_CYCLE_1)
	s_ashr_i32 s29, s28, 31
	s_lshl_b64 s[28:29], s[28:29], 2
	s_delay_alu instid0(SALU_CYCLE_1)
	s_add_u32 s46, s36, s28
	s_addc_u32 s47, s35, s29
	s_clause 0x5
	s_load_b32 s29, s[2:3], 0x0
	s_load_b32 s2, s[26:27], 0x0
	;; [unrolled: 1-line block ×6, first 2 shown]
	s_or_b32 s39, s12, 0xc0
	s_delay_alu instid0(SALU_CYCLE_1) | instskip(SKIP_2) | instid1(SALU_CYCLE_1)
	s_ashr_i32 s40, s39, 4
	s_cmp_lt_i32 s39, s33
	s_cselect_b32 s40, s40, s13
	s_ashr_i32 s41, s40, 31
	s_delay_alu instid0(SALU_CYCLE_1) | instskip(NEXT) | instid1(SALU_CYCLE_1)
	s_lshl_b64 s[40:41], s[40:41], 2
	s_add_u32 s40, s36, s40
	s_addc_u32 s41, s35, s41
	s_or_b32 s39, s12, 0xe0
	s_delay_alu instid0(SALU_CYCLE_1) | instskip(SKIP_2) | instid1(SALU_CYCLE_1)
	s_ashr_i32 s42, s39, 4
	s_cmp_lt_i32 s39, s33
	s_cselect_b32 s42, s42, s13
	s_ashr_i32 s43, s42, 31
	s_delay_alu instid0(SALU_CYCLE_1)
	s_lshl_b64 s[42:43], s[42:43], 2
	s_waitcnt vmcnt(1)
	v_mad_i64_i32 v[3:4], null, v5, s25, v[1:2]
	s_waitcnt vmcnt(0)
	v_mad_i64_i32 v[5:6], null, v7, s25, v[1:2]
	s_clause 0x7
	global_load_b128 v[75:78], v[3:4], off
	global_load_b128 v[79:82], v[3:4], off offset:256
	global_load_b128 v[83:86], v[5:6], off
	global_load_b128 v[87:90], v[5:6], off offset:256
	global_load_b128 v[91:94], v[3:4], off offset:512
	;; [unrolled: 1-line block ×5, first 2 shown]
	v_lshl_or_b32 v1, v65, 8, v74
	s_load_b32 s13, s[40:41], 0x0
	s_add_u32 s40, s36, s42
	s_addc_u32 s41, s35, s43
	s_add_u32 s30, s30, s37
	s_addc_u32 s31, s31, s38
	v_add_co_u32 v1, s30, s30, v1
	s_delay_alu instid0(VALU_DEP_1) | instskip(SKIP_3) | instid1(VALU_DEP_1)
	v_add_co_ci_u32_e64 v2, null, s31, 0, s30
	s_load_b32 s30, s[40:41], 0x0
	s_mov_b32 s36, 0
	s_waitcnt lgkmcnt(0)
	v_mad_i64_i32 v[3:4], null, s29, s25, v[1:2]
	v_mad_i64_i32 v[9:10], null, s26, s25, v[1:2]
	;; [unrolled: 1-line block ×7, first 2 shown]
	s_clause 0x5
	global_load_b128 v[49:52], v[3:4], off
	global_load_b128 v[53:56], v[3:4], off offset:16
	global_load_b128 v[41:44], v[5:6], off
	global_load_b128 v[45:48], v[5:6], off offset:16
	;; [unrolled: 2-line block ×3, first 2 shown]
	s_mov_b32 s43, s36
	s_mov_b32 s37, s36
	v_mad_i64_i32 v[61:62], null, s30, s25, v[1:2]
	s_clause 0x9
	global_load_b128 v[25:28], v[9:10], off
	global_load_b128 v[29:32], v[9:10], off offset:16
	global_load_b128 v[1:4], v[11:12], off
	global_load_b128 v[5:8], v[11:12], off offset:16
	global_load_b128 v[9:12], v[13:14], off
	global_load_b128 v[13:16], v[13:14], off offset:16
	global_load_b128 v[17:20], v[21:22], off
	global_load_b128 v[21:24], v[21:22], off offset:16
	global_load_b128 v[57:60], v[61:62], off
	global_load_b128 v[61:64], v[61:62], off offset:16
	s_mov_b32 s38, s36
	s_mov_b32 s39, s36
	;; [unrolled: 1-line block ×5, first 2 shown]
	v_dual_mov_b32 v111, s20 :: v_dual_mov_b32 v122, s43
	v_dual_mov_b32 v109, s18 :: v_dual_mov_b32 v120, s41
	;; [unrolled: 1-line block ×4, first 2 shown]
	v_mov_b32_e32 v119, s40
	v_mov_b32_e32 v117, s38
	;; [unrolled: 1-line block ×3, first 2 shown]
	s_waitcnt vmcnt(0)
	s_barrier
	buffer_gl0_inv
	v_wmma_f32_16x16x16_bf16 v[123:130], v[75:82], v[107:114], v[115:122]
	v_bfe_u32 v75, v0, 4, 1
	v_wmma_f32_16x16x16_bf16 v[115:122], v[83:90], v[107:114], v[115:122]
	v_dual_mov_b32 v83, s11 :: v_dual_mov_b32 v80, s8
	v_mov_b32_e32 v82, s10
	s_delay_alu instid0(VALU_DEP_4) | instskip(SKIP_3) | instid1(VALU_DEP_4)
	v_or_b32_e32 v66, v66, v75
	v_dual_mov_b32 v81, s9 :: v_dual_mov_b32 v78, s6
	v_dual_mov_b32 v79, s7 :: v_dual_mov_b32 v76, s4
	v_mov_b32_e32 v77, s5
	v_or_b32_e32 v69, 4, v66
	v_or_b32_e32 v70, 6, v66
	;; [unrolled: 1-line block ×3, first 2 shown]
	v_cmp_gt_i32_e64 s2, s33, v66
	v_wmma_f32_16x16x16_bf16 v[123:130], v[91:98], v[76:83], v[123:130]
	v_cndmask_b32_e32 v67, v67, v68, vcc_lo
	v_or_b32_e32 v68, 2, v66
	v_wmma_f32_16x16x16_bf16 v[115:122], v[99:106], v[76:83], v[115:122]
	v_or_b32_e32 v72, 10, v66
	v_dual_mul_f32 v82, s24, v126 :: v_dual_mul_f32 v81, s24, v127
	v_dual_mul_f32 v92, s24, v124 :: v_dual_mul_f32 v93, s24, v123
	s_delay_alu instid0(VALU_DEP_4) | instskip(SKIP_2) | instid1(VALU_DEP_4)
	v_mul_f32_e32 v96, s24, v120
	v_cmp_gt_i32_e32 vcc_lo, s33, v68
	v_dual_mul_f32 v83, s24, v125 :: v_dual_mul_f32 v94, s24, v122
	v_cndmask_b32_e64 v93, 0xff7fffff, v93, s2
	v_cmp_gt_i32_e64 s3, s33, v69
	v_cndmask_b32_e32 v92, 0xff7fffff, v92, vcc_lo
	v_cmp_gt_i32_e64 s4, s33, v70
	v_cmp_gt_i32_e64 s5, s33, v71
	v_or_b32_e32 v84, 12, v66
	v_or_b32_e32 v85, 14, v66
	v_dual_mul_f32 v79, s24, v129 :: v_dual_mul_f32 v80, s24, v128
	v_cndmask_b32_e64 v69, 0xff7fffff, v83, s3
	v_cndmask_b32_e64 v70, 0xff7fffff, v82, s4
	;; [unrolled: 1-line block ×3, first 2 shown]
	v_cmp_gt_i32_e64 s6, s33, v72
	v_lshlrev_b32_e32 v81, 2, v67
	v_max3_f32 v82, v93, 0xff7fffff, v92
	v_or_b32_e32 v86, 16, v66
	v_or_b32_e32 v87, 18, v66
	v_mul_f32_e32 v78, s24, v130
	v_cndmask_b32_e64 v72, 0xff7fffff, v80, s6
	v_max3_f32 v69, v82, v69, v70
	v_cmp_gt_i32_e64 s7, s33, v84
	v_cmp_gt_i32_e64 s8, s33, v85
	v_or_b32_e32 v88, 20, v66
	v_or_b32_e32 v89, 22, v66
	;; [unrolled: 1-line block ×6, first 2 shown]
	v_dual_mul_f32 v97, s24, v119 :: v_dual_mul_f32 v68, s24, v116
	v_dual_mul_f32 v99, s24, v117 :: v_dual_mul_f32 v66, s24, v115
	v_cndmask_b32_e64 v70, 0xff7fffff, v79, s7
	v_cndmask_b32_e64 v78, 0xff7fffff, v78, s8
	v_max3_f32 v69, v69, v71, v72
	v_cmp_gt_i32_e64 s9, s33, v86
	v_cmp_gt_i32_e64 s10, s33, v87
	v_dual_mul_f32 v95, s24, v121 :: v_dual_mul_f32 v98, s24, v118
	s_delay_alu instid0(VALU_DEP_4) | instskip(NEXT) | instid1(VALU_DEP_4)
	v_max3_f32 v69, v69, v70, v78
	v_cndmask_b32_e64 v66, 0xff7fffff, v66, s9
	s_delay_alu instid0(VALU_DEP_4)
	v_cndmask_b32_e64 v68, 0xff7fffff, v68, s10
	v_cmp_gt_i32_e64 s11, s33, v88
	v_cmp_gt_i32_e64 s12, s33, v89
	;; [unrolled: 1-line block ×4, first 2 shown]
	v_max3_f32 v66, v69, v66, v68
	v_cndmask_b32_e64 v70, 0xff7fffff, v99, s11
	v_cndmask_b32_e64 v71, 0xff7fffff, v98, s12
	;; [unrolled: 1-line block ×4, first 2 shown]
	v_cmp_gt_i32_e64 s17, s33, v76
	v_cmp_gt_i32_e64 s18, s33, v77
	v_max3_f32 v66, v66, v70, v71
	s_delay_alu instid0(VALU_DEP_3) | instskip(NEXT) | instid1(VALU_DEP_3)
	v_cndmask_b32_e64 v70, 0xff7fffff, v95, s17
	v_cndmask_b32_e64 v71, 0xff7fffff, v94, s18
	s_delay_alu instid0(VALU_DEP_3) | instskip(NEXT) | instid1(VALU_DEP_1)
	v_max3_f32 v66, v66, v68, v69
	v_max3_f32 v66, v66, v70, v71
	ds_bpermute_b32 v67, v81, v66
	s_waitcnt lgkmcnt(0)
	v_max_f32_e32 v67, v67, v67
	s_delay_alu instid0(VALU_DEP_1) | instskip(NEXT) | instid1(VALU_DEP_1)
	v_max_f32_e32 v66, v66, v67
	v_fma_f32 v69, s24, v125, -v66
	s_delay_alu instid0(VALU_DEP_1)
	v_mul_f32_e32 v69, 0x3fb8aa3b, v69
	v_fma_f32 v67, s24, v123, -v66
	v_fma_f32 v68, s24, v124, -v66
	;; [unrolled: 1-line block ×4, first 2 shown]
	v_exp_f32_e32 v69, v69
	s_delay_alu instid0(VALU_DEP_3) | instskip(NEXT) | instid1(VALU_DEP_3)
	v_dual_mul_f32 v67, 0x3fb8aa3b, v67 :: v_dual_mul_f32 v68, 0x3fb8aa3b, v68
	v_mul_f32_e32 v70, 0x3fb8aa3b, v70
	v_fma_f32 v72, s24, v129, -v66
	v_fma_f32 v77, s24, v119, -v66
	s_delay_alu instid0(VALU_DEP_4)
	v_exp_f32_e32 v67, v67
	v_exp_f32_e32 v68, v68
	v_mul_f32_e32 v71, 0x3fb8aa3b, v71
	v_exp_f32_e32 v70, v70
	v_cndmask_b32_e64 v82, 0, v69, s3
	v_fma_f32 v69, s24, v130, -v66
	v_fma_f32 v88, s24, v122, -v66
	s_mov_b32 s3, exec_lo
	v_mul_f32_e32 v77, 0x3fb8aa3b, v77
	s_delay_alu instid0(TRANS32_DEP_3) | instskip(NEXT) | instid1(TRANS32_DEP_2)
	v_cndmask_b32_e64 v80, 0, v67, s2
	v_cndmask_b32_e32 v76, 0, v68, vcc_lo
	v_fma_f32 v67, s24, v128, -v66
	v_exp_f32_e32 v71, v71
	v_cndmask_b32_e64 v84, 0, v70, s4
	v_dual_add_f32 v68, 0, v80 :: v_dual_mul_f32 v69, 0x3fb8aa3b, v69
	s_delay_alu instid0(VALU_DEP_3) | instskip(SKIP_2) | instid1(VALU_DEP_3)
	v_mul_f32_e32 v67, 0x3fb8aa3b, v67
	v_fma_f32 v70, s24, v115, -v66
	v_exp_f32_e32 v77, v77
	v_add_f32_e32 v68, v68, v76
	v_exp_f32_e32 v69, v69
	v_exp_f32_e32 v67, v67
	v_cndmask_b32_e64 v85, 0, v71, s5
	v_fma_f32 v71, s24, v116, -v66
	v_add_f32_e32 v68, v68, v82
	s_delay_alu instid0(VALU_DEP_2)
	v_dual_mul_f32 v88, 0x3fb8aa3b, v88 :: v_dual_mul_f32 v71, 0x3fb8aa3b, v71
	s_waitcnt_depctr 0xfff
	v_cndmask_b32_e64 v87, 0, v69, s8
	v_cndmask_b32_e64 v86, 0, v67, s6
	v_add_f32_e32 v68, v68, v84
	v_mul_f32_e32 v72, 0x3fb8aa3b, v72
	v_exp_f32_e32 v71, v71
	s_delay_alu instid0(VALU_DEP_2) | instskip(NEXT) | instid1(VALU_DEP_2)
	v_add_f32_e32 v67, v68, v85
	v_exp_f32_e32 v72, v72
	v_fma_f32 v68, s24, v117, -v66
	s_delay_alu instid0(VALU_DEP_2) | instskip(SKIP_4) | instid1(VALU_DEP_3)
	v_add_f32_e32 v67, v67, v86
	s_waitcnt_depctr 0xfff
	v_cndmask_b32_e64 v83, 0, v72, s7
	v_mul_f32_e32 v70, 0x3fb8aa3b, v70
	v_fma_f32 v72, s24, v118, -v66
	v_add_f32_e32 v67, v67, v83
	s_delay_alu instid0(VALU_DEP_3) | instskip(SKIP_1) | instid1(VALU_DEP_2)
	v_exp_f32_e32 v70, v70
	v_mul_f32_e32 v68, 0x3fb8aa3b, v68
	v_dual_mul_f32 v72, 0x3fb8aa3b, v72 :: v_dual_add_f32 v67, v67, v87
	s_delay_alu instid0(VALU_DEP_2) | instskip(NEXT) | instid1(VALU_DEP_1)
	v_exp_f32_e32 v78, v68
	v_exp_f32_e32 v72, v72
	v_cndmask_b32_e64 v68, 0, v71, s10
	v_fma_f32 v71, s24, v121, -v66
	s_delay_alu instid0(TRANS32_DEP_3) | instskip(SKIP_1) | instid1(VALU_DEP_2)
	v_cndmask_b32_e64 v69, 0, v70, s9
	v_fma_f32 v70, s24, v120, -v66
	v_add_f32_e32 v67, v67, v69
	s_delay_alu instid0(VALU_DEP_2) | instskip(NEXT) | instid1(TRANS32_DEP_2)
	v_mul_f32_e32 v79, 0x3fb8aa3b, v70
	v_cndmask_b32_e64 v70, 0, v78, s11
	v_mul_f32_e32 v78, 0x3fb8aa3b, v71
	s_delay_alu instid0(TRANS32_DEP_1) | instskip(SKIP_4) | instid1(VALU_DEP_2)
	v_cndmask_b32_e64 v71, 0, v72, s12
	v_add_f32_e32 v67, v67, v68
	v_exp_f32_e32 v79, v79
	v_cndmask_b32_e64 v72, 0, v77, s13
	v_exp_f32_e32 v78, v78
	v_add_f32_e32 v67, v67, v70
	s_waitcnt_depctr 0xfff
	v_cndmask_b32_e64 v77, 0, v79, s16
	v_exp_f32_e32 v79, v88
	v_dual_add_f32 v67, v67, v71 :: v_dual_and_b32 v88, 31, v0
	v_cndmask_b32_e64 v78, 0, v78, s17
	s_delay_alu instid0(VALU_DEP_2) | instskip(NEXT) | instid1(VALU_DEP_3)
	v_cmp_lt_u32_e64 s2, 15, v88
	v_add_f32_e32 v67, v67, v72
	s_waitcnt_depctr 0xfff
	v_cndmask_b32_e64 v79, 0, v79, s18
	v_add_f32_e32 v67, v67, v77
	s_delay_alu instid0(VALU_DEP_1) | instskip(NEXT) | instid1(VALU_DEP_1)
	v_add_f32_e32 v67, v67, v78
	v_add_f32_e32 v67, v67, v79
	ds_bpermute_b32 v81, v81, v67
	v_cmpx_gt_u32_e32 16, v88
	s_cbranch_execz .LBB1402_11
; %bb.10:
	v_mul_u32_u24_e32 v88, 0x44, v65
	s_waitcnt lgkmcnt(0)
	v_add_f32_e32 v67, v67, v81
	s_delay_alu instid0(VALU_DEP_2) | instskip(NEXT) | instid1(VALU_DEP_1)
	v_lshl_add_u32 v88, v73, 2, v88
	v_add_nc_u32_e32 v81, 0x4000, v88
	ds_store_2addr_b32 v81, v66, v67 offset1:136
.LBB1402_11:
	s_or_b32 exec_lo, exec_lo, s3
	v_lshlrev_b32_e32 v66, 2, v73
	s_waitcnt lgkmcnt(0)
	s_barrier
	buffer_gl0_inv
	v_cmp_eq_u32_e32 vcc_lo, 1, v65
	v_add_nc_u32_e32 v81, 0x4000, v66
	v_cmp_eq_u32_e64 s3, 2, v65
	v_cmp_eq_u32_e64 s5, 7, v65
	ds_load_2addr_b32 v[88:89], v81 offset1:17
	ds_load_2addr_b32 v[90:91], v81 offset0:34 offset1:51
	ds_load_2addr_b32 v[92:93], v81 offset0:68 offset1:85
	;; [unrolled: 1-line block ×4, first 2 shown]
	s_waitcnt lgkmcnt(4)
	v_max3_f32 v66, v88, 0xff7fffff, v89
	s_waitcnt lgkmcnt(3)
	s_delay_alu instid0(VALU_DEP_1) | instskip(SKIP_1) | instid1(VALU_DEP_1)
	v_max3_f32 v66, v66, v90, v91
	s_waitcnt lgkmcnt(2)
	v_max3_f32 v66, v66, v92, v93
	s_waitcnt lgkmcnt(1)
	s_delay_alu instid0(VALU_DEP_1) | instskip(NEXT) | instid1(VALU_DEP_1)
	v_max3_f32 v66, v66, v94, v95
	v_sub_f32_e32 v92, v92, v66
	s_delay_alu instid0(VALU_DEP_1) | instskip(NEXT) | instid1(VALU_DEP_1)
	v_dual_sub_f32 v67, v88, v66 :: v_dual_mul_f32 v102, 0x3fb8aa3b, v92
	v_mul_f32_e32 v67, 0x3fb8aa3b, v67
	s_delay_alu instid0(VALU_DEP_1)
	v_exp_f32_e32 v99, v67
	v_sub_f32_e32 v67, v91, v66
	v_sub_f32_e32 v98, v89, v66
	ds_load_2addr_b32 v[88:89], v81 offset0:170 offset1:187
	v_dual_mul_f32 v101, 0x3fb8aa3b, v67 :: v_dual_mul_f32 v98, 0x3fb8aa3b, v98
	s_waitcnt lgkmcnt(1)
	v_fma_f32 v67, v99, v96, 0
	s_delay_alu instid0(VALU_DEP_2) | instskip(NEXT) | instid1(VALU_DEP_2)
	v_exp_f32_e32 v101, v101
	v_exp_f32_e32 v98, v98
	s_waitcnt_depctr 0xfff
	v_fmac_f32_e32 v67, v98, v97
	v_sub_f32_e32 v90, v90, v66
	s_delay_alu instid0(VALU_DEP_1)
	v_mul_f32_e32 v100, 0x3fb8aa3b, v90
	ds_load_2addr_b32 v[90:91], v81 offset0:204 offset1:221
	v_sub_f32_e32 v96, v93, v66
	ds_load_2addr_b32 v[92:93], v81 offset0:238 offset1:255
	s_waitcnt lgkmcnt(0)
	v_exp_f32_e32 v100, v100
	s_barrier
	buffer_gl0_inv
	v_dual_fmac_f32 v67, v100, v88 :: v_dual_sub_f32 v88, v95, v66
	v_dual_sub_f32 v81, v94, v66 :: v_dual_mul_f32 v94, 0x3fb8aa3b, v96
	v_exp_f32_e32 v96, v102
	s_delay_alu instid0(VALU_DEP_2) | instskip(NEXT) | instid1(VALU_DEP_2)
	v_dual_fmac_f32 v67, v101, v89 :: v_dual_mul_f32 v88, 0x3fb8aa3b, v88
	v_mul_f32_e32 v81, 0x3fb8aa3b, v81
	s_delay_alu instid0(VALU_DEP_3) | instskip(NEXT) | instid1(VALU_DEP_2)
	v_exp_f32_e32 v94, v94
	v_exp_f32_e32 v88, v88
	s_delay_alu instid0(VALU_DEP_1)
	v_exp_f32_e32 v81, v81
	v_fmac_f32_e32 v67, v96, v90
	s_delay_alu instid0(TRANS32_DEP_3) | instid1(VALU_DEP_1)
	v_fmac_f32_e32 v67, v94, v91
	s_waitcnt_depctr 0xfff
	v_fmac_f32_e32 v67, v81, v92
	s_delay_alu instid0(VALU_DEP_1) | instskip(NEXT) | instid1(VALU_DEP_1)
	v_fmac_f32_e32 v67, v88, v93
	v_add_f32_e32 v89, 0x358637bd, v67
	s_delay_alu instid0(VALU_DEP_1) | instskip(NEXT) | instid1(VALU_DEP_1)
	v_div_scale_f32 v90, null, v89, v89, 1.0
	v_rcp_f32_e32 v91, v90
	s_waitcnt_depctr 0xfff
	v_fma_f32 v92, -v90, v91, 1.0
	s_delay_alu instid0(VALU_DEP_1) | instskip(SKIP_1) | instid1(VALU_DEP_2)
	v_dual_fmac_f32 v91, v92, v91 :: v_dual_cndmask_b32 v92, v99, v98
	v_cmp_eq_u32_e32 vcc_lo, 3, v65
	v_cndmask_b32_e64 v92, v92, v100, s3
	v_cmp_eq_u32_e64 s3, 4, v65
	s_delay_alu instid0(VALU_DEP_2) | instskip(SKIP_1) | instid1(VALU_DEP_2)
	v_cndmask_b32_e32 v92, v92, v101, vcc_lo
	v_cmp_eq_u32_e32 vcc_lo, 5, v65
	v_cndmask_b32_e64 v92, v92, v96, s3
	v_cmp_eq_u32_e64 s3, 6, v65
	s_delay_alu instid0(VALU_DEP_2) | instskip(SKIP_1) | instid1(VALU_DEP_1)
	v_cndmask_b32_e32 v92, v92, v94, vcc_lo
	v_div_scale_f32 v93, s4, 1.0, v89, 1.0
	s_mov_b32 vcc_lo, s4
	s_delay_alu instid0(VALU_DEP_2) | instskip(NEXT) | instid1(VALU_DEP_2)
	v_cndmask_b32_e64 v81, v92, v81, s3
	v_mul_f32_e32 v95, v93, v91
	s_mov_b32 s3, exec_lo
	s_delay_alu instid0(VALU_DEP_2) | instskip(NEXT) | instid1(VALU_DEP_2)
	v_cndmask_b32_e64 v81, v81, v88, s5
	v_fma_f32 v97, -v90, v95, v93
	s_delay_alu instid0(VALU_DEP_1) | instskip(NEXT) | instid1(VALU_DEP_1)
	v_fmac_f32_e32 v95, v97, v91
	v_fma_f32 v90, -v90, v95, v93
	s_delay_alu instid0(VALU_DEP_1) | instskip(NEXT) | instid1(VALU_DEP_1)
	v_div_fmas_f32 v90, v90, v91, v95
	v_div_fixup_f32 v89, v90, v89, 1.0
	s_delay_alu instid0(VALU_DEP_1) | instskip(NEXT) | instid1(VALU_DEP_1)
	v_mul_f32_e32 v81, v81, v89
	v_mul_f32_e32 v89, v81, v80
	;; [unrolled: 1-line block ×6, first 2 shown]
	v_and_b32_e32 v90, 0x7f800000, v89
	v_mul_f32_e32 v88, v81, v84
	v_mul_f32_e32 v85, v81, v82
	;; [unrolled: 1-line block ×3, first 2 shown]
                                        ; implicit-def: $vgpr76
	s_delay_alu instid0(VALU_DEP_4)
	v_cmpx_ne_u32_e32 0x7f800000, v90
	s_xor_b32 s3, exec_lo, s3
; %bb.12:
	v_bfe_u32 v76, v89, 16, 1
	s_delay_alu instid0(VALU_DEP_1)
	v_add3_u32 v76, v89, v76, 0x7fff
                                        ; implicit-def: $vgpr89
; %bb.13:
	s_and_not1_saveexec_b32 s3, s3
; %bb.14:
	v_and_b32_e32 v76, 0xffff, v89
	v_or_b32_e32 v82, 0x10000, v89
	s_delay_alu instid0(VALU_DEP_2) | instskip(NEXT) | instid1(VALU_DEP_2)
	v_cmp_eq_u32_e32 vcc_lo, 0, v76
	v_cndmask_b32_e32 v76, v82, v89, vcc_lo
; %bb.15:
	s_or_b32 exec_lo, exec_lo, s3
	v_and_b32_e32 v82, 0x7f800000, v84
	s_delay_alu instid0(VALU_DEP_1) | instskip(SKIP_1) | instid1(SALU_CYCLE_1)
	v_cmp_ne_u32_e32 vcc_lo, 0x7f800000, v82
                                        ; implicit-def: $vgpr82
	s_and_saveexec_b32 s3, vcc_lo
	s_xor_b32 s3, exec_lo, s3
; %bb.16:
	v_bfe_u32 v82, v84, 16, 1
	s_delay_alu instid0(VALU_DEP_1)
	v_add3_u32 v82, v84, v82, 0x7fff
                                        ; implicit-def: $vgpr84
; %bb.17:
	s_and_not1_saveexec_b32 s3, s3
; %bb.18:
	v_and_b32_e32 v82, 0xffff, v84
	v_or_b32_e32 v89, 0x10000, v84
	s_delay_alu instid0(VALU_DEP_2) | instskip(NEXT) | instid1(VALU_DEP_2)
	v_cmp_eq_u32_e32 vcc_lo, 0, v82
	v_cndmask_b32_e32 v82, v89, v84, vcc_lo
; %bb.19:
	s_or_b32 exec_lo, exec_lo, s3
	v_and_b32_e32 v84, 0x7f800000, v85
	s_delay_alu instid0(VALU_DEP_1) | instskip(SKIP_1) | instid1(SALU_CYCLE_1)
	v_cmp_ne_u32_e32 vcc_lo, 0x7f800000, v84
                                        ; implicit-def: $vgpr84
	s_and_saveexec_b32 s3, vcc_lo
	s_xor_b32 s3, exec_lo, s3
; %bb.20:
	v_bfe_u32 v84, v85, 16, 1
	s_delay_alu instid0(VALU_DEP_1)
	v_add3_u32 v84, v85, v84, 0x7fff
                                        ; implicit-def: $vgpr85
; %bb.21:
	s_and_not1_saveexec_b32 s3, s3
; %bb.22:
	v_and_b32_e32 v84, 0xffff, v85
	v_or_b32_e32 v89, 0x10000, v85
	s_delay_alu instid0(VALU_DEP_2) | instskip(NEXT) | instid1(VALU_DEP_2)
	v_cmp_eq_u32_e32 vcc_lo, 0, v84
	v_cndmask_b32_e32 v84, v89, v85, vcc_lo
; %bb.23:
	s_or_b32 exec_lo, exec_lo, s3
	v_and_b32_e32 v85, 0x7f800000, v88
	s_delay_alu instid0(VALU_DEP_1) | instskip(SKIP_1) | instid1(SALU_CYCLE_1)
	v_cmp_ne_u32_e32 vcc_lo, 0x7f800000, v85
                                        ; implicit-def: $vgpr85
	s_and_saveexec_b32 s3, vcc_lo
	s_xor_b32 s3, exec_lo, s3
; %bb.24:
	v_bfe_u32 v85, v88, 16, 1
	s_delay_alu instid0(VALU_DEP_1)
	v_add3_u32 v85, v88, v85, 0x7fff
                                        ; implicit-def: $vgpr88
; %bb.25:
	s_and_not1_saveexec_b32 s3, s3
; %bb.26:
	v_and_b32_e32 v85, 0xffff, v88
	v_or_b32_e32 v89, 0x10000, v88
	s_delay_alu instid0(VALU_DEP_2) | instskip(NEXT) | instid1(VALU_DEP_2)
	v_cmp_eq_u32_e32 vcc_lo, 0, v85
	v_cndmask_b32_e32 v85, v89, v88, vcc_lo
; %bb.27:
	s_or_b32 exec_lo, exec_lo, s3
	v_and_b32_e32 v88, 0x7f800000, v87
	s_delay_alu instid0(VALU_DEP_1) | instskip(SKIP_1) | instid1(SALU_CYCLE_1)
	v_cmp_ne_u32_e32 vcc_lo, 0x7f800000, v88
                                        ; implicit-def: $vgpr88
	s_and_saveexec_b32 s3, vcc_lo
	s_xor_b32 s3, exec_lo, s3
; %bb.28:
	v_bfe_u32 v88, v87, 16, 1
	s_delay_alu instid0(VALU_DEP_1)
	v_add3_u32 v88, v87, v88, 0x7fff
                                        ; implicit-def: $vgpr87
; %bb.29:
	s_and_not1_saveexec_b32 s3, s3
; %bb.30:
	v_and_b32_e32 v88, 0xffff, v87
	v_or_b32_e32 v89, 0x10000, v87
	s_delay_alu instid0(VALU_DEP_2) | instskip(NEXT) | instid1(VALU_DEP_2)
	v_cmp_eq_u32_e32 vcc_lo, 0, v88
	v_cndmask_b32_e32 v88, v89, v87, vcc_lo
; %bb.31:
	s_or_b32 exec_lo, exec_lo, s3
	v_and_b32_e32 v87, 0x7f800000, v86
	s_delay_alu instid0(VALU_DEP_1) | instskip(SKIP_1) | instid1(SALU_CYCLE_1)
	v_cmp_ne_u32_e32 vcc_lo, 0x7f800000, v87
                                        ; implicit-def: $vgpr87
	s_and_saveexec_b32 s3, vcc_lo
	s_xor_b32 s3, exec_lo, s3
; %bb.32:
	v_bfe_u32 v87, v86, 16, 1
	s_delay_alu instid0(VALU_DEP_1)
	v_add3_u32 v87, v86, v87, 0x7fff
                                        ; implicit-def: $vgpr86
; %bb.33:
	s_and_not1_saveexec_b32 s3, s3
; %bb.34:
	v_and_b32_e32 v87, 0xffff, v86
	v_or_b32_e32 v89, 0x10000, v86
	s_delay_alu instid0(VALU_DEP_2) | instskip(NEXT) | instid1(VALU_DEP_2)
	v_cmp_eq_u32_e32 vcc_lo, 0, v87
	v_cndmask_b32_e32 v87, v89, v86, vcc_lo
; %bb.35:
	s_or_b32 exec_lo, exec_lo, s3
	v_and_b32_e32 v86, 0x7f800000, v83
	s_delay_alu instid0(VALU_DEP_1) | instskip(SKIP_1) | instid1(SALU_CYCLE_1)
	v_cmp_ne_u32_e32 vcc_lo, 0x7f800000, v86
                                        ; implicit-def: $vgpr86
	s_and_saveexec_b32 s3, vcc_lo
	s_xor_b32 s3, exec_lo, s3
; %bb.36:
	v_bfe_u32 v86, v83, 16, 1
	s_delay_alu instid0(VALU_DEP_1)
	v_add3_u32 v86, v83, v86, 0x7fff
                                        ; implicit-def: $vgpr83
; %bb.37:
	s_and_not1_saveexec_b32 s3, s3
; %bb.38:
	v_and_b32_e32 v86, 0xffff, v83
	v_or_b32_e32 v89, 0x10000, v83
	s_delay_alu instid0(VALU_DEP_2) | instskip(NEXT) | instid1(VALU_DEP_2)
	v_cmp_eq_u32_e32 vcc_lo, 0, v86
	v_cndmask_b32_e32 v86, v89, v83, vcc_lo
; %bb.39:
	s_or_b32 exec_lo, exec_lo, s3
	v_and_b32_e32 v83, 0x7f800000, v80
	s_delay_alu instid0(VALU_DEP_1) | instskip(SKIP_1) | instid1(SALU_CYCLE_1)
	v_cmp_ne_u32_e32 vcc_lo, 0x7f800000, v83
                                        ; implicit-def: $vgpr83
	s_and_saveexec_b32 s3, vcc_lo
	s_xor_b32 s3, exec_lo, s3
; %bb.40:
	v_bfe_u32 v83, v80, 16, 1
	s_delay_alu instid0(VALU_DEP_1)
	v_add3_u32 v83, v80, v83, 0x7fff
                                        ; implicit-def: $vgpr80
; %bb.41:
	s_and_not1_saveexec_b32 s3, s3
; %bb.42:
	v_and_b32_e32 v83, 0xffff, v80
	v_or_b32_e32 v89, 0x10000, v80
	s_delay_alu instid0(VALU_DEP_2) | instskip(NEXT) | instid1(VALU_DEP_2)
	v_cmp_eq_u32_e32 vcc_lo, 0, v83
	v_cndmask_b32_e32 v83, v89, v80, vcc_lo
; %bb.43:
	s_or_b32 exec_lo, exec_lo, s3
	s_load_b64 s[36:37], s[0:1], 0x94
	v_lshlrev_b32_e32 v90, 4, v75
	s_delay_alu instid0(VALU_DEP_2)
	v_perm_b32 v89, v83, v86, 0x7060302
	v_mul_f32_e32 v83, v81, v69
	v_dual_mul_f32 v69, v81, v79 :: v_dual_lshlrev_b32 v80, 6, v73
	v_dual_mul_f32 v78, v81, v78 :: v_dual_lshlrev_b32 v91, 11, v65
	v_perm_b32 v88, v87, v88, 0x7060302
	v_perm_b32 v87, v85, v84, 0x7060302
	;; [unrolled: 1-line block ×3, first 2 shown]
	s_delay_alu instid0(VALU_DEP_4)
	v_or3_b32 v76, v90, v91, v80
	v_dual_mul_f32 v77, v81, v77 :: v_dual_and_b32 v84, 0x7f800000, v83
	v_mul_f32_e32 v72, v81, v72
	v_mul_f32_e32 v82, v81, v71
	v_mul_f32_e32 v79, v81, v70
	v_mul_f32_e32 v71, v81, v68
	s_mov_b32 s3, exec_lo
	ds_store_b128 v76, v[86:89]
                                        ; implicit-def: $vgpr68
	v_cmpx_ne_u32_e32 0x7f800000, v84
	s_xor_b32 s3, exec_lo, s3
; %bb.44:
	v_bfe_u32 v68, v83, 16, 1
	s_delay_alu instid0(VALU_DEP_1)
	v_add3_u32 v68, v83, v68, 0x7fff
                                        ; implicit-def: $vgpr83
; %bb.45:
	s_and_not1_saveexec_b32 s3, s3
; %bb.46:
	v_and_b32_e32 v68, 0xffff, v83
	v_or_b32_e32 v70, 0x10000, v83
	s_delay_alu instid0(VALU_DEP_2) | instskip(NEXT) | instid1(VALU_DEP_2)
	v_cmp_eq_u32_e32 vcc_lo, 0, v68
	v_cndmask_b32_e32 v68, v70, v83, vcc_lo
; %bb.47:
	s_or_b32 exec_lo, exec_lo, s3
	v_and_b32_e32 v70, 0x7f800000, v71
	s_delay_alu instid0(VALU_DEP_1) | instskip(SKIP_1) | instid1(SALU_CYCLE_1)
	v_cmp_ne_u32_e32 vcc_lo, 0x7f800000, v70
                                        ; implicit-def: $vgpr70
	s_and_saveexec_b32 s3, vcc_lo
	s_xor_b32 s3, exec_lo, s3
; %bb.48:
	v_bfe_u32 v70, v71, 16, 1
	s_delay_alu instid0(VALU_DEP_1)
	v_add3_u32 v70, v71, v70, 0x7fff
                                        ; implicit-def: $vgpr71
; %bb.49:
	s_and_not1_saveexec_b32 s3, s3
; %bb.50:
	v_and_b32_e32 v70, 0xffff, v71
	v_or_b32_e32 v81, 0x10000, v71
	s_delay_alu instid0(VALU_DEP_2) | instskip(NEXT) | instid1(VALU_DEP_2)
	v_cmp_eq_u32_e32 vcc_lo, 0, v70
	v_cndmask_b32_e32 v70, v81, v71, vcc_lo
; %bb.51:
	s_or_b32 exec_lo, exec_lo, s3
	v_and_b32_e32 v71, 0x7f800000, v79
	s_delay_alu instid0(VALU_DEP_1) | instskip(SKIP_1) | instid1(SALU_CYCLE_1)
	v_cmp_ne_u32_e32 vcc_lo, 0x7f800000, v71
                                        ; implicit-def: $vgpr71
	s_and_saveexec_b32 s3, vcc_lo
	s_xor_b32 s3, exec_lo, s3
; %bb.52:
	v_bfe_u32 v71, v79, 16, 1
	s_delay_alu instid0(VALU_DEP_1)
	v_add3_u32 v71, v79, v71, 0x7fff
                                        ; implicit-def: $vgpr79
; %bb.53:
	s_and_not1_saveexec_b32 s3, s3
; %bb.54:
	v_and_b32_e32 v71, 0xffff, v79
	v_or_b32_e32 v81, 0x10000, v79
	s_delay_alu instid0(VALU_DEP_2) | instskip(NEXT) | instid1(VALU_DEP_2)
	v_cmp_eq_u32_e32 vcc_lo, 0, v71
	v_cndmask_b32_e32 v71, v81, v79, vcc_lo
; %bb.55:
	s_or_b32 exec_lo, exec_lo, s3
	v_and_b32_e32 v79, 0x7f800000, v82
	s_delay_alu instid0(VALU_DEP_1) | instskip(SKIP_1) | instid1(SALU_CYCLE_1)
	v_cmp_ne_u32_e32 vcc_lo, 0x7f800000, v79
                                        ; implicit-def: $vgpr79
	s_and_saveexec_b32 s3, vcc_lo
	s_xor_b32 s3, exec_lo, s3
; %bb.56:
	v_bfe_u32 v79, v82, 16, 1
	s_delay_alu instid0(VALU_DEP_1)
	v_add3_u32 v79, v82, v79, 0x7fff
                                        ; implicit-def: $vgpr82
; %bb.57:
	s_and_not1_saveexec_b32 s3, s3
; %bb.58:
	v_and_b32_e32 v79, 0xffff, v82
	v_or_b32_e32 v81, 0x10000, v82
	s_delay_alu instid0(VALU_DEP_2) | instskip(NEXT) | instid1(VALU_DEP_2)
	v_cmp_eq_u32_e32 vcc_lo, 0, v79
	v_cndmask_b32_e32 v79, v81, v82, vcc_lo
; %bb.59:
	s_or_b32 exec_lo, exec_lo, s3
	v_and_b32_e32 v81, 0x7f800000, v72
	s_delay_alu instid0(VALU_DEP_1) | instskip(SKIP_1) | instid1(SALU_CYCLE_1)
	v_cmp_ne_u32_e32 vcc_lo, 0x7f800000, v81
                                        ; implicit-def: $vgpr81
	s_and_saveexec_b32 s3, vcc_lo
	s_xor_b32 s3, exec_lo, s3
; %bb.60:
	v_bfe_u32 v81, v72, 16, 1
	s_delay_alu instid0(VALU_DEP_1)
	v_add3_u32 v81, v72, v81, 0x7fff
                                        ; implicit-def: $vgpr72
; %bb.61:
	s_and_not1_saveexec_b32 s3, s3
; %bb.62:
	v_and_b32_e32 v81, 0xffff, v72
	v_or_b32_e32 v82, 0x10000, v72
	s_delay_alu instid0(VALU_DEP_2) | instskip(NEXT) | instid1(VALU_DEP_2)
	v_cmp_eq_u32_e32 vcc_lo, 0, v81
	v_cndmask_b32_e32 v81, v82, v72, vcc_lo
; %bb.63:
	s_or_b32 exec_lo, exec_lo, s3
	v_and_b32_e32 v72, 0x7f800000, v77
	s_delay_alu instid0(VALU_DEP_1) | instskip(SKIP_1) | instid1(SALU_CYCLE_1)
	v_cmp_ne_u32_e32 vcc_lo, 0x7f800000, v72
                                        ; implicit-def: $vgpr72
	s_and_saveexec_b32 s3, vcc_lo
	s_xor_b32 s3, exec_lo, s3
; %bb.64:
	v_bfe_u32 v72, v77, 16, 1
	s_delay_alu instid0(VALU_DEP_1)
	v_add3_u32 v72, v77, v72, 0x7fff
                                        ; implicit-def: $vgpr77
; %bb.65:
	s_and_not1_saveexec_b32 s3, s3
; %bb.66:
	v_and_b32_e32 v72, 0xffff, v77
	v_or_b32_e32 v82, 0x10000, v77
	s_delay_alu instid0(VALU_DEP_2) | instskip(NEXT) | instid1(VALU_DEP_2)
	v_cmp_eq_u32_e32 vcc_lo, 0, v72
	v_cndmask_b32_e32 v72, v82, v77, vcc_lo
; %bb.67:
	s_or_b32 exec_lo, exec_lo, s3
	v_and_b32_e32 v77, 0x7f800000, v78
	s_delay_alu instid0(VALU_DEP_1) | instskip(SKIP_1) | instid1(SALU_CYCLE_1)
	v_cmp_ne_u32_e32 vcc_lo, 0x7f800000, v77
                                        ; implicit-def: $vgpr77
	s_and_saveexec_b32 s3, vcc_lo
	s_xor_b32 s3, exec_lo, s3
; %bb.68:
	v_bfe_u32 v77, v78, 16, 1
	s_delay_alu instid0(VALU_DEP_1)
	v_add3_u32 v77, v78, v77, 0x7fff
                                        ; implicit-def: $vgpr78
; %bb.69:
	s_and_not1_saveexec_b32 s3, s3
; %bb.70:
	v_and_b32_e32 v77, 0xffff, v78
	v_or_b32_e32 v82, 0x10000, v78
	s_delay_alu instid0(VALU_DEP_2) | instskip(NEXT) | instid1(VALU_DEP_2)
	v_cmp_eq_u32_e32 vcc_lo, 0, v77
	v_cndmask_b32_e32 v77, v82, v78, vcc_lo
; %bb.71:
	s_or_b32 exec_lo, exec_lo, s3
	v_and_b32_e32 v78, 0x7f800000, v69
	s_delay_alu instid0(VALU_DEP_1) | instskip(SKIP_1) | instid1(SALU_CYCLE_1)
	v_cmp_ne_u32_e32 vcc_lo, 0x7f800000, v78
                                        ; implicit-def: $vgpr78
	s_and_saveexec_b32 s3, vcc_lo
	s_xor_b32 s3, exec_lo, s3
; %bb.72:
	v_bfe_u32 v78, v69, 16, 1
	s_delay_alu instid0(VALU_DEP_1)
	v_add3_u32 v78, v69, v78, 0x7fff
                                        ; implicit-def: $vgpr69
; %bb.73:
	s_and_not1_saveexec_b32 s3, s3
; %bb.74:
	v_and_b32_e32 v78, 0xffff, v69
	v_or_b32_e32 v82, 0x10000, v69
	s_delay_alu instid0(VALU_DEP_2) | instskip(NEXT) | instid1(VALU_DEP_2)
	v_cmp_eq_u32_e32 vcc_lo, 0, v78
	v_cndmask_b32_e32 v78, v82, v69, vcc_lo
; %bb.75:
	s_or_b32 exec_lo, exec_lo, s3
	s_delay_alu instid0(VALU_DEP_1)
	v_perm_b32 v86, v78, v77, 0x7060302
	v_perm_b32 v85, v72, v81, 0x7060302
	;; [unrolled: 1-line block ×4, first 2 shown]
	v_lshl_or_b32 v82, v65, 11, v80
	ds_store_b128 v76, v[83:86] offset:1024
	s_waitcnt lgkmcnt(0)
	s_barrier
	buffer_gl0_inv
	ds_load_b128 v[68:71], v82
	ds_load_b128 v[83:86], v82 offset:16
	s_waitcnt lgkmcnt(1)
	v_lshrrev_b32_e32 v65, 16, v68
	v_lshlrev_b32_e32 v78, 2, v75
	s_waitcnt lgkmcnt(0)
	v_lshrrev_b32_e32 v91, 16, v83
	v_lshrrev_b32_e32 v72, 16, v69
	;; [unrolled: 1-line block ×4, first 2 shown]
	v_cmp_eq_u32_e32 vcc_lo, 1, v78
	v_lshrrev_b32_e32 v98, 16, v85
	v_lshrrev_b32_e32 v96, 16, v71
	;; [unrolled: 1-line block ×3, first 2 shown]
	v_cndmask_b32_e32 v81, v68, v65, vcc_lo
	v_or_b32_e32 v79, 1, v78
	v_cmp_eq_u32_e64 s4, 2, v78
	v_cndmask_b32_e32 v87, v83, v91, vcc_lo
	v_cmp_eq_u32_e64 s7, 3, v78
	v_cmp_eq_u32_e64 s9, 4, v78
	;; [unrolled: 1-line block ×3, first 2 shown]
	v_cndmask_b32_e64 v81, v81, v69, s4
	v_cmp_eq_u32_e64 s6, 2, v79
	v_cndmask_b32_e64 v87, v87, v84, s4
	v_cmp_eq_u32_e64 s8, 3, v79
	v_cndmask_b32_e64 v88, v68, v65, s3
	v_cndmask_b32_e64 v81, v81, v72, s7
	v_or_b32_e32 v77, 2, v78
	v_cndmask_b32_e64 v87, v87, v97, s7
	v_cndmask_b32_e64 v89, v83, v91, s3
	;; [unrolled: 1-line block ×4, first 2 shown]
	v_cmp_eq_u32_e64 s10, 5, v78
	v_cndmask_b32_e64 v87, v87, v85, s9
	v_cmp_eq_u32_e64 s11, 4, v79
	v_cndmask_b32_e64 v88, v88, v72, s8
	;; [unrolled: 2-line block ×3, first 2 shown]
	v_cndmask_b32_e64 v81, v81, v95, s10
	v_cmp_eq_u32_e64 s12, 6, v78
	v_cndmask_b32_e64 v88, v88, v70, s11
	v_cndmask_b32_e64 v87, v87, v98, s10
	v_cmp_eq_u32_e64 s13, 5, v79
	v_cndmask_b32_e64 v90, v68, v65, s5
	v_cndmask_b32_e64 v89, v89, v97, s8
	;; [unrolled: 1-line block ×3, first 2 shown]
	v_cmp_eq_u32_e64 s16, 7, v78
	v_cndmask_b32_e64 v88, v88, v95, s13
	v_cndmask_b32_e64 v87, v87, v86, s12
	v_cmp_eq_u32_e64 s17, 6, v79
	v_cmp_eq_u32_e64 s18, 2, v77
	v_cndmask_b32_e64 v89, v89, v85, s11
	v_cndmask_b32_e64 v100, v81, v96, s16
	;; [unrolled: 1-line block ×6, first 2 shown]
	v_cmp_eq_u32_e64 s19, 7, v79
	v_cmp_eq_u32_e64 s20, 3, v77
	v_cmp_eq_u32_e64 s21, 4, v77
	v_cmp_eq_u32_e64 s23, 5, v77
	v_cndmask_b32_e64 v87, v87, v84, s18
	v_cndmask_b32_e64 v102, v88, v96, s19
	;; [unrolled: 1-line block ×4, first 2 shown]
	v_or_b32_e32 v81, 3, v78
	v_cndmask_b32_e64 v93, v87, v97, s20
	v_cmp_eq_u32_e64 s25, 6, v77
	v_cndmask_b32_e64 v103, v88, v86, s17
	v_cndmask_b32_e64 v92, v89, v70, s21
	v_cmp_eq_u32_e64 s22, 1, v81
	ds_load_b128 v[87:90], v82 offset:1024
	v_cmp_eq_u32_e64 s24, 2, v81
	v_cmp_eq_u32_e64 s26, 3, v81
	v_cndmask_b32_e64 v104, v92, v95, s23
	v_cndmask_b32_e64 v65, v68, v65, s22
	;; [unrolled: 1-line block ×4, first 2 shown]
	ds_load_b128 v[91:94], v82 offset:1040
	v_cmp_eq_u32_e64 s27, 4, v81
	v_cndmask_b32_e64 v65, v65, v69, s24
	v_cmp_eq_u32_e64 s29, 5, v81
	v_cndmask_b32_e64 v69, v83, v84, s24
	v_cmp_eq_u32_e64 s28, 7, v77
	v_cmp_eq_u32_e64 s30, 6, v81
	v_cndmask_b32_e64 v65, v65, v72, s26
	v_cndmask_b32_e64 v72, v104, v71, s25
	;; [unrolled: 1-line block ×6, first 2 shown]
	s_waitcnt lgkmcnt(1)
	v_lshrrev_b32_e32 v84, 16, v87
	v_cndmask_b32_e64 v69, v69, v85, s27
	v_cndmask_b32_e64 v70, v72, v96, s28
	v_cndmask_b32_e64 v68, v68, v86, s25
	v_cndmask_b32_e64 v65, v65, v95, s29
	v_lshrrev_b32_e32 v95, 16, v88
	v_cndmask_b32_e64 v69, v69, v98, s29
	s_waitcnt lgkmcnt(0)
	v_lshrrev_b32_e32 v85, 16, v91
	v_cndmask_b32_e64 v97, v87, v84, s3
	v_cndmask_b32_e64 v65, v65, v71, s30
	;; [unrolled: 1-line block ×4, first 2 shown]
	v_cndmask_b32_e32 v72, v87, v84, vcc_lo
	v_cndmask_b32_e32 v98, v91, v85, vcc_lo
	v_cmp_eq_u32_e32 vcc_lo, 7, v81
	v_perm_b32 v70, v68, v70, 0x5040100
	v_cndmask_b32_e32 v65, v65, v96, vcc_lo
	v_cndmask_b32_e32 v69, v69, v99, vcc_lo
	v_cndmask_b32_e64 v72, v72, v88, s4
	v_cndmask_b32_e64 v86, v98, v92, s4
	v_lshrrev_b32_e32 v99, 16, v93
	v_lshrrev_b32_e32 v98, 16, v89
	s_delay_alu instid0(VALU_DEP_4) | instskip(SKIP_2) | instid1(VALU_DEP_3)
	v_cndmask_b32_e64 v71, v72, v95, s7
	v_cndmask_b32_e64 v72, v97, v88, s6
	v_lshrrev_b32_e32 v97, 16, v92
	v_cndmask_b32_e64 v71, v71, v89, s9
	s_delay_alu instid0(VALU_DEP_3) | instskip(NEXT) | instid1(VALU_DEP_3)
	v_cndmask_b32_e64 v72, v72, v95, s8
	v_cndmask_b32_e64 v86, v86, v97, s7
	s_delay_alu instid0(VALU_DEP_3) | instskip(SKIP_1) | instid1(VALU_DEP_3)
	v_cndmask_b32_e64 v96, v71, v98, s10
	v_perm_b32 v71, v69, v65, 0x5040100
	v_cndmask_b32_e64 v86, v86, v93, s9
	v_perm_b32 v69, v83, v102, 0x5040100
	v_cndmask_b32_e64 v102, v91, v85, s5
	v_cndmask_b32_e64 v72, v72, v89, s11
	v_lshrrev_b32_e32 v83, 16, v94
	v_cndmask_b32_e64 v86, v86, v99, s10
	s_delay_alu instid0(VALU_DEP_3) | instskip(SKIP_1) | instid1(VALU_DEP_3)
	v_cndmask_b32_e64 v65, v72, v98, s13
	v_cndmask_b32_e64 v72, v96, v90, s12
	;; [unrolled: 1-line block ×7, first 2 shown]
	v_lshrrev_b32_e32 v96, 16, v90
	v_cndmask_b32_e64 v86, v86, v88, s18
	v_cndmask_b32_e64 v84, v84, v88, s24
	;; [unrolled: 1-line block ×29, first 2 shown]
	v_cndmask_b32_e32 v84, v84, v96, vcc_lo
	v_cndmask_b32_e32 v86, v87, v83, vcc_lo
	v_cndmask_b32_e64 v87, v88, v83, s28
	v_cndmask_b32_e64 v88, v85, v83, s19
	;; [unrolled: 1-line block ×3, first 2 shown]
	v_perm_b32 v68, v101, v100, 0x5040100
	v_perm_b32 v86, v86, v84, 0x5040100
	;; [unrolled: 1-line block ×5, first 2 shown]
	s_mov_b32 s3, exec_lo
	ds_store_b128 v76, v[68:71]
	ds_store_b128 v76, v[83:86] offset:1024
	v_cmpx_eq_u32_e32 0, v0
	s_cbranch_execz .LBB1402_77
; %bb.76:
	s_load_b128 s[4:7], s[0:1], 0x58
	s_mul_i32 s8, s37, s34
	v_mov_b32_e32 v65, 0
	s_add_i32 s8, s8, s15
	s_delay_alu instid0(SALU_CYCLE_1) | instskip(NEXT) | instid1(SALU_CYCLE_1)
	s_mul_i32 s8, s8, s36
	s_add_i32 s8, s8, s14
	s_delay_alu instid0(SALU_CYCLE_1) | instskip(NEXT) | instid1(SALU_CYCLE_1)
	s_ashr_i32 s9, s8, 31
	s_lshl_b64 s[8:9], s[8:9], 2
	s_waitcnt lgkmcnt(0)
	s_add_u32 s6, s6, s8
	s_addc_u32 s7, s7, s9
	s_add_u32 s4, s4, s8
	s_addc_u32 s5, s5, s9
	s_clause 0x1
	global_store_b32 v65, v66, s[6:7]
	global_store_b32 v65, v67, s[4:5]
.LBB1402_77:
	s_or_b32 exec_lo, exec_lo, s3
	s_waitcnt lgkmcnt(0)
	s_waitcnt_vscnt null, 0x0
	s_barrier
	buffer_gl0_inv
	ds_load_b128 v[83:86], v80
	ds_load_b128 v[87:90], v80 offset:16
	ds_load_b128 v[95:98], v80 offset:2064
	;; [unrolled: 1-line block ×3, first 2 shown]
	v_mov_b32_e32 v65, 0
	ds_load_b128 v[103:106], v80 offset:4112
	ds_load_b128 v[99:102], v80 offset:4096
	;; [unrolled: 1-line block ×4, first 2 shown]
	v_mov_b32_e32 v66, v65
	v_mov_b32_e32 v67, v65
	;; [unrolled: 1-line block ×7, first 2 shown]
	s_waitcnt lgkmcnt(6)
	s_delay_alu instid0(VALU_DEP_1)
	v_wmma_f32_16x16x16_bf16 v[65:72], v[49:56], v[83:90], v[65:72]
	ds_load_b128 v[53:56], v80 offset:8208
	ds_load_b128 v[49:52], v80 offset:8192
	s_waitcnt lgkmcnt(6)
	v_wmma_f32_16x16x16_bf16 v[65:72], v[41:48], v[91:98], v[65:72]
	ds_load_b128 v[45:48], v80 offset:10256
	ds_load_b128 v[41:44], v80 offset:10240
	s_waitcnt lgkmcnt(6)
	;; [unrolled: 4-line block ×4, first 2 shown]
	v_wmma_f32_16x16x16_bf16 v[65:72], v[1:8], v[49:56], v[65:72]
	s_waitcnt lgkmcnt(4)
	s_delay_alu instid0(VALU_DEP_1) | instskip(SKIP_1) | instid1(VALU_DEP_1)
	v_wmma_f32_16x16x16_bf16 v[65:72], v[9:16], v[41:48], v[65:72]
	s_waitcnt lgkmcnt(2)
	v_wmma_f32_16x16x16_bf16 v[65:72], v[17:24], v[33:40], v[65:72]
	s_waitcnt lgkmcnt(0)
	s_delay_alu instid0(VALU_DEP_1) | instskip(NEXT) | instid1(VALU_DEP_1)
	v_wmma_f32_16x16x16_bf16 v[65:72], v[57:64], v[25:32], v[65:72]
	v_and_b32_e32 v1, 0x7f800000, v65
	s_delay_alu instid0(VALU_DEP_1) | instskip(SKIP_1) | instid1(SALU_CYCLE_1)
	v_cmp_ne_u32_e32 vcc_lo, 0x7f800000, v1
                                        ; implicit-def: $vgpr1
	s_and_saveexec_b32 s3, vcc_lo
	s_xor_b32 s3, exec_lo, s3
; %bb.78:
	v_bfe_u32 v1, v65, 16, 1
	s_delay_alu instid0(VALU_DEP_1)
	v_add3_u32 v1, v65, v1, 0x7fff
; %bb.79:
	s_and_not1_saveexec_b32 s3, s3
; %bb.80:
	v_and_b32_e32 v1, 0xffff, v65
	v_or_b32_e32 v2, 0x10000, v65
	s_delay_alu instid0(VALU_DEP_2) | instskip(NEXT) | instid1(VALU_DEP_2)
	v_cmp_eq_u32_e32 vcc_lo, 0, v1
	v_cndmask_b32_e32 v1, v2, v65, vcc_lo
; %bb.81:
	s_or_b32 exec_lo, exec_lo, s3
	v_and_b32_e32 v2, 0x7f800000, v66
	s_delay_alu instid0(VALU_DEP_1) | instskip(SKIP_1) | instid1(SALU_CYCLE_1)
	v_cmp_ne_u32_e32 vcc_lo, 0x7f800000, v2
                                        ; implicit-def: $vgpr2
	s_and_saveexec_b32 s3, vcc_lo
	s_xor_b32 s3, exec_lo, s3
; %bb.82:
	v_bfe_u32 v2, v66, 16, 1
	s_delay_alu instid0(VALU_DEP_1)
	v_add3_u32 v2, v66, v2, 0x7fff
; %bb.83:
	s_and_not1_saveexec_b32 s3, s3
; %bb.84:
	v_and_b32_e32 v2, 0xffff, v66
	v_or_b32_e32 v3, 0x10000, v66
	s_delay_alu instid0(VALU_DEP_2) | instskip(NEXT) | instid1(VALU_DEP_2)
	v_cmp_eq_u32_e32 vcc_lo, 0, v2
	v_cndmask_b32_e32 v2, v3, v66, vcc_lo
; %bb.85:
	s_or_b32 exec_lo, exec_lo, s3
	v_and_b32_e32 v3, 0x7f800000, v67
	s_delay_alu instid0(VALU_DEP_1) | instskip(SKIP_1) | instid1(SALU_CYCLE_1)
	v_cmp_ne_u32_e32 vcc_lo, 0x7f800000, v3
                                        ; implicit-def: $vgpr3
	s_and_saveexec_b32 s3, vcc_lo
	s_xor_b32 s3, exec_lo, s3
; %bb.86:
	v_bfe_u32 v3, v67, 16, 1
	s_delay_alu instid0(VALU_DEP_1)
	v_add3_u32 v3, v67, v3, 0x7fff
; %bb.87:
	s_and_not1_saveexec_b32 s3, s3
; %bb.88:
	v_and_b32_e32 v3, 0xffff, v67
	v_or_b32_e32 v4, 0x10000, v67
	s_delay_alu instid0(VALU_DEP_2) | instskip(NEXT) | instid1(VALU_DEP_2)
	v_cmp_eq_u32_e32 vcc_lo, 0, v3
	v_cndmask_b32_e32 v3, v4, v67, vcc_lo
; %bb.89:
	s_or_b32 exec_lo, exec_lo, s3
	v_and_b32_e32 v4, 0x7f800000, v68
	s_delay_alu instid0(VALU_DEP_1) | instskip(SKIP_1) | instid1(SALU_CYCLE_1)
	v_cmp_ne_u32_e32 vcc_lo, 0x7f800000, v4
                                        ; implicit-def: $vgpr4
	s_and_saveexec_b32 s3, vcc_lo
	s_xor_b32 s3, exec_lo, s3
; %bb.90:
	v_bfe_u32 v4, v68, 16, 1
	s_delay_alu instid0(VALU_DEP_1)
	v_add3_u32 v4, v68, v4, 0x7fff
; %bb.91:
	s_and_not1_saveexec_b32 s3, s3
; %bb.92:
	v_and_b32_e32 v4, 0xffff, v68
	v_or_b32_e32 v5, 0x10000, v68
	s_delay_alu instid0(VALU_DEP_2) | instskip(NEXT) | instid1(VALU_DEP_2)
	v_cmp_eq_u32_e32 vcc_lo, 0, v4
	v_cndmask_b32_e32 v4, v5, v68, vcc_lo
; %bb.93:
	s_or_b32 exec_lo, exec_lo, s3
	v_and_b32_e32 v5, 0x7f800000, v69
	s_delay_alu instid0(VALU_DEP_1) | instskip(SKIP_1) | instid1(SALU_CYCLE_1)
	v_cmp_ne_u32_e32 vcc_lo, 0x7f800000, v5
                                        ; implicit-def: $vgpr5
	s_and_saveexec_b32 s3, vcc_lo
	s_xor_b32 s3, exec_lo, s3
; %bb.94:
	v_bfe_u32 v5, v69, 16, 1
	s_delay_alu instid0(VALU_DEP_1)
	v_add3_u32 v5, v69, v5, 0x7fff
; %bb.95:
	s_and_not1_saveexec_b32 s3, s3
; %bb.96:
	v_and_b32_e32 v5, 0xffff, v69
	v_or_b32_e32 v6, 0x10000, v69
	s_delay_alu instid0(VALU_DEP_2) | instskip(NEXT) | instid1(VALU_DEP_2)
	v_cmp_eq_u32_e32 vcc_lo, 0, v5
	v_cndmask_b32_e32 v5, v6, v69, vcc_lo
; %bb.97:
	s_or_b32 exec_lo, exec_lo, s3
	v_and_b32_e32 v6, 0x7f800000, v70
	s_delay_alu instid0(VALU_DEP_1) | instskip(SKIP_1) | instid1(SALU_CYCLE_1)
	v_cmp_ne_u32_e32 vcc_lo, 0x7f800000, v6
                                        ; implicit-def: $vgpr6
	s_and_saveexec_b32 s3, vcc_lo
	s_xor_b32 s3, exec_lo, s3
; %bb.98:
	v_bfe_u32 v6, v70, 16, 1
	s_delay_alu instid0(VALU_DEP_1)
	v_add3_u32 v6, v70, v6, 0x7fff
; %bb.99:
	s_and_not1_saveexec_b32 s3, s3
; %bb.100:
	v_and_b32_e32 v6, 0xffff, v70
	v_or_b32_e32 v7, 0x10000, v70
	s_delay_alu instid0(VALU_DEP_2) | instskip(NEXT) | instid1(VALU_DEP_2)
	v_cmp_eq_u32_e32 vcc_lo, 0, v6
	v_cndmask_b32_e32 v6, v7, v70, vcc_lo
; %bb.101:
	s_or_b32 exec_lo, exec_lo, s3
	v_and_b32_e32 v7, 0x7f800000, v71
	s_delay_alu instid0(VALU_DEP_1) | instskip(SKIP_1) | instid1(SALU_CYCLE_1)
	v_cmp_ne_u32_e32 vcc_lo, 0x7f800000, v7
                                        ; implicit-def: $vgpr7
	s_and_saveexec_b32 s3, vcc_lo
	s_xor_b32 s3, exec_lo, s3
; %bb.102:
	v_bfe_u32 v7, v71, 16, 1
	s_delay_alu instid0(VALU_DEP_1)
	v_add3_u32 v7, v71, v7, 0x7fff
; %bb.103:
	s_and_not1_saveexec_b32 s3, s3
; %bb.104:
	v_and_b32_e32 v7, 0xffff, v71
	v_or_b32_e32 v8, 0x10000, v71
	s_delay_alu instid0(VALU_DEP_2) | instskip(NEXT) | instid1(VALU_DEP_2)
	v_cmp_eq_u32_e32 vcc_lo, 0, v7
	v_cndmask_b32_e32 v7, v8, v71, vcc_lo
; %bb.105:
	s_or_b32 exec_lo, exec_lo, s3
	v_and_b32_e32 v8, 0x7f800000, v72
	s_delay_alu instid0(VALU_DEP_1) | instskip(SKIP_1) | instid1(SALU_CYCLE_1)
	v_cmp_ne_u32_e32 vcc_lo, 0x7f800000, v8
                                        ; implicit-def: $vgpr8
	s_and_saveexec_b32 s3, vcc_lo
	s_xor_b32 s3, exec_lo, s3
; %bb.106:
	v_bfe_u32 v8, v72, 16, 1
	s_delay_alu instid0(VALU_DEP_1)
	v_add3_u32 v8, v72, v8, 0x7fff
                                        ; implicit-def: $vgpr65_vgpr66_vgpr67_vgpr68_vgpr69_vgpr70_vgpr71_vgpr72
; %bb.107:
	s_and_not1_saveexec_b32 s3, s3
; %bb.108:
	v_and_b32_e32 v8, 0xffff, v72
	v_or_b32_e32 v9, 0x10000, v72
	s_delay_alu instid0(VALU_DEP_2) | instskip(NEXT) | instid1(VALU_DEP_2)
	v_cmp_eq_u32_e32 vcc_lo, 0, v8
	v_cndmask_b32_e32 v8, v9, v72, vcc_lo
; %bb.109:
	s_or_b32 exec_lo, exec_lo, s3
	s_delay_alu instid0(VALU_DEP_1)
	v_perm_b32 v7, v8, v7, 0x7060302
	v_perm_b32 v6, v6, v5, 0x7060302
	;; [unrolled: 1-line block ×4, first 2 shown]
	s_barrier
	buffer_gl0_inv
	v_cmp_eq_u32_e32 vcc_lo, 1, v78
	ds_store_b128 v76, v[4:7]
	s_waitcnt lgkmcnt(0)
	s_barrier
	buffer_gl0_inv
	ds_load_b128 v[1:4], v82
	ds_load_b128 v[5:8], v82 offset:16
	v_cmp_eq_u32_e64 s3, 1, v79
	v_cmp_eq_u32_e64 s4, 2, v78
	v_cmp_eq_u32_e64 s5, 3, v78
	v_cmp_eq_u32_e64 s7, 2, v77
	v_cmp_eq_u32_e64 s6, 7, v79
	s_waitcnt lgkmcnt(1)
	v_lshrrev_b32_e32 v9, 16, v1
	s_waitcnt lgkmcnt(0)
	v_lshrrev_b32_e32 v13, 16, v5
	v_lshrrev_b32_e32 v10, 16, v2
	;; [unrolled: 1-line block ×4, first 2 shown]
	v_cndmask_b32_e64 v19, v1, v9, s3
	v_cndmask_b32_e32 v18, v5, v13, vcc_lo
	v_cndmask_b32_e64 v20, v5, v13, s3
	v_cndmask_b32_e32 v17, v1, v9, vcc_lo
	v_cmp_eq_u32_e32 vcc_lo, 2, v79
	v_lshrrev_b32_e32 v15, 16, v7
	v_cmp_eq_u32_e64 s3, 1, v77
	v_lshrrev_b32_e32 v12, 16, v4
	v_lshrrev_b32_e32 v16, 16, v8
	v_cndmask_b32_e32 v20, v20, v6, vcc_lo
	v_cndmask_b32_e64 v17, v17, v2, s4
	v_cndmask_b32_e32 v19, v19, v2, vcc_lo
	v_cndmask_b32_e64 v18, v18, v6, s4
	v_cmp_eq_u32_e32 vcc_lo, 4, v78
	v_cmp_eq_u32_e64 s4, 3, v79
	v_cndmask_b32_e64 v17, v17, v10, s5
	v_cndmask_b32_e64 v21, v1, v9, s3
	;; [unrolled: 1-line block ×5, first 2 shown]
	v_cndmask_b32_e32 v17, v17, v3, vcc_lo
	v_cndmask_b32_e64 v20, v20, v14, s4
	v_cndmask_b32_e32 v18, v18, v7, vcc_lo
	v_cmp_eq_u32_e32 vcc_lo, 4, v79
	v_cmp_eq_u32_e64 s4, 5, v79
	v_cmp_eq_u32_e64 s3, 2, v81
	v_cndmask_b32_e64 v21, v21, v2, s7
	v_cmp_eq_u32_e64 s5, 5, v78
	v_cndmask_b32_e32 v19, v19, v3, vcc_lo
	v_cndmask_b32_e32 v20, v20, v7, vcc_lo
	v_cmp_eq_u32_e32 vcc_lo, 6, v79
	s_delay_alu instid0(VALU_DEP_4) | instskip(NEXT) | instid1(VALU_DEP_4)
	v_cndmask_b32_e64 v17, v17, v11, s5
	v_cndmask_b32_e64 v19, v19, v11, s4
	s_delay_alu instid0(VALU_DEP_4) | instskip(SKIP_1) | instid1(VALU_DEP_3)
	v_cndmask_b32_e64 v20, v20, v15, s4
	v_cmp_eq_u32_e64 s4, 1, v81
	v_cndmask_b32_e32 v19, v19, v4, vcc_lo
	v_cndmask_b32_e64 v18, v18, v15, s5
	s_delay_alu instid0(VALU_DEP_3)
	v_cndmask_b32_e64 v1, v1, v9, s4
	v_cndmask_b32_e64 v5, v5, v13, s4
	v_cmp_eq_u32_e64 s4, 3, v77
	v_cndmask_b32_e64 v13, v22, v6, s7
	v_cmp_eq_u32_e64 s7, 3, v81
	v_cndmask_b32_e64 v1, v1, v2, s3
	v_cndmask_b32_e64 v2, v5, v6, s3
	;; [unrolled: 1-line block ×3, first 2 shown]
	v_cmp_eq_u32_e64 s3, 4, v77
	v_cndmask_b32_e64 v6, v13, v14, s4
	v_cndmask_b32_e64 v1, v1, v10, s7
	v_cmp_eq_u32_e64 s4, 4, v81
	v_cndmask_b32_e64 v2, v2, v14, s7
	v_cndmask_b32_e64 v5, v9, v3, s3
	;; [unrolled: 3-line block ×3, first 2 shown]
	v_cndmask_b32_e64 v2, v2, v7, s4
	v_cmp_eq_u32_e64 s3, 5, v81
	v_cndmask_b32_e64 v5, v5, v11, s7
	v_cndmask_b32_e64 v3, v6, v15, s7
	v_cmp_eq_u32_e64 s7, 6, v81
	v_cmp_eq_u32_e64 s5, 6, v78
	v_cndmask_b32_e64 v1, v1, v11, s3
	v_cndmask_b32_e64 v2, v2, v15, s3
	v_cmp_eq_u32_e64 s4, 6, v77
	v_cmp_eq_u32_e64 s3, 7, v81
	v_cndmask_b32_e64 v17, v17, v4, s5
	v_cndmask_b32_e64 v1, v1, v4, s7
	v_cndmask_b32_e64 v2, v2, v8, s7
	v_cndmask_b32_e64 v18, v18, v8, s5
	v_cmp_eq_u32_e64 s5, 7, v78
	v_cndmask_b32_e64 v5, v5, v4, s4
	v_cndmask_b32_e64 v3, v3, v8, s4
	v_cmp_eq_u32_e64 s4, 7, v77
	v_cndmask_b32_e32 v4, v20, v8, vcc_lo
	v_cndmask_b32_e64 v1, v1, v12, s3
	v_cndmask_b32_e64 v2, v2, v16, s3
	v_cmp_lt_u32_e32 vcc_lo, 31, v0
	v_cmp_lt_u32_e64 s3, 7, v73
	v_cndmask_b32_e64 v17, v17, v12, s5
	v_cndmask_b32_e64 v19, v19, v12, s6
	;; [unrolled: 1-line block ×6, first 2 shown]
	s_or_b32 s3, vcc_lo, s3
	v_perm_b32 v4, v2, v1, 0x5040100
	v_perm_b32 v3, v3, v5, 0x5040100
	;; [unrolled: 1-line block ×4, first 2 shown]
	s_or_b32 s2, s2, s3
	s_delay_alu instid0(SALU_CYCLE_1)
	s_xor_b32 s2, s2, -1
	ds_store_b128 v76, v[1:4]
	s_waitcnt lgkmcnt(0)
	s_barrier
	buffer_gl0_inv
	s_and_saveexec_b32 s3, s2
	s_cbranch_execz .LBB1402_2
; %bb.110:
	s_load_b64 s[0:1], s[0:1], 0x68
	v_lshlrev_b32_e32 v1, 10, v0
	v_and_b32_e32 v0, 1, v0
	v_lshlrev_b32_e32 v2, 6, v75
	s_lshl_b32 s4, s36, 6
	s_delay_alu instid0(VALU_DEP_3) | instskip(NEXT) | instid1(VALU_DEP_3)
	v_and_b32_e32 v1, 0x3800, v1
	v_lshlrev_b32_e32 v0, 4, v0
	s_mul_i32 s2, s4, s34
	s_delay_alu instid0(SALU_CYCLE_1) | instskip(NEXT) | instid1(VALU_DEP_1)
	s_mul_i32 s2, s2, s37
	v_or3_b32 v0, v1, v2, v0
	s_ashr_i32 s3, s2, 31
	s_delay_alu instid0(SALU_CYCLE_1)
	s_lshl_b64 s[2:3], s[2:3], 1
	ds_load_b128 v[0:3], v0
	s_waitcnt lgkmcnt(0)
	s_add_u32 s5, s0, s2
	s_addc_u32 s3, s1, s3
	s_lshl_b32 s0, s14, 6
	s_mul_i32 s2, s4, s15
	s_ashr_i32 s1, s0, 31
	s_delay_alu instid0(SALU_CYCLE_1) | instskip(NEXT) | instid1(SALU_CYCLE_1)
	s_lshl_b64 s[0:1], s[0:1], 1
	s_add_u32 s4, s5, s0
	s_addc_u32 s5, s3, s1
	s_ashr_i32 s3, s2, 31
	s_delay_alu instid0(SALU_CYCLE_1) | instskip(NEXT) | instid1(SALU_CYCLE_1)
	s_lshl_b64 s[0:1], s[2:3], 1
	s_add_u32 s0, s4, s0
	s_addc_u32 s1, s5, s1
	global_store_b128 v74, v[0:3], s[0:1]
	s_nop 0
	s_sendmsg sendmsg(MSG_DEALLOC_VGPRS)
	s_endpgm
	.section	.rodata,"a",@progbits
	.p2align	6, 0x0
	.amdhsa_kernel _Z39paged_attention_ll4mi_QKV_mfma16_kernelI14__hip_bfloat16hLN4vllm18Fp8KVCacheDataTypeE1ES0_Li16ELi64ELi256ELb1ELi1EL8MFMAType1EEvPKT_PKT0_S9_ifPKiSB_SB_iPKfiiiPfSE_PS4_PT2_iSD_SD_
		.amdhsa_group_segment_fixed_size 17472
		.amdhsa_private_segment_fixed_size 0
		.amdhsa_kernarg_size 400
		.amdhsa_user_sgpr_count 13
		.amdhsa_user_sgpr_dispatch_ptr 0
		.amdhsa_user_sgpr_queue_ptr 0
		.amdhsa_user_sgpr_kernarg_segment_ptr 1
		.amdhsa_user_sgpr_dispatch_id 0
		.amdhsa_user_sgpr_private_segment_size 0
		.amdhsa_wavefront_size32 1
		.amdhsa_uses_dynamic_stack 0
		.amdhsa_enable_private_segment 0
		.amdhsa_system_sgpr_workgroup_id_x 1
		.amdhsa_system_sgpr_workgroup_id_y 1
		.amdhsa_system_sgpr_workgroup_id_z 1
		.amdhsa_system_sgpr_workgroup_info 0
		.amdhsa_system_vgpr_workitem_id 0
		.amdhsa_next_free_vgpr 131
		.amdhsa_next_free_sgpr 48
		.amdhsa_reserve_vcc 1
		.amdhsa_float_round_mode_32 0
		.amdhsa_float_round_mode_16_64 0
		.amdhsa_float_denorm_mode_32 3
		.amdhsa_float_denorm_mode_16_64 3
		.amdhsa_dx10_clamp 1
		.amdhsa_ieee_mode 1
		.amdhsa_fp16_overflow 0
		.amdhsa_workgroup_processor_mode 1
		.amdhsa_memory_ordered 1
		.amdhsa_forward_progress 0
		.amdhsa_shared_vgpr_count 0
		.amdhsa_exception_fp_ieee_invalid_op 0
		.amdhsa_exception_fp_denorm_src 0
		.amdhsa_exception_fp_ieee_div_zero 0
		.amdhsa_exception_fp_ieee_overflow 0
		.amdhsa_exception_fp_ieee_underflow 0
		.amdhsa_exception_fp_ieee_inexact 0
		.amdhsa_exception_int_div_zero 0
	.end_amdhsa_kernel
	.section	.text._Z39paged_attention_ll4mi_QKV_mfma16_kernelI14__hip_bfloat16hLN4vllm18Fp8KVCacheDataTypeE1ES0_Li16ELi64ELi256ELb1ELi1EL8MFMAType1EEvPKT_PKT0_S9_ifPKiSB_SB_iPKfiiiPfSE_PS4_PT2_iSD_SD_,"axG",@progbits,_Z39paged_attention_ll4mi_QKV_mfma16_kernelI14__hip_bfloat16hLN4vllm18Fp8KVCacheDataTypeE1ES0_Li16ELi64ELi256ELb1ELi1EL8MFMAType1EEvPKT_PKT0_S9_ifPKiSB_SB_iPKfiiiPfSE_PS4_PT2_iSD_SD_,comdat
.Lfunc_end1402:
	.size	_Z39paged_attention_ll4mi_QKV_mfma16_kernelI14__hip_bfloat16hLN4vllm18Fp8KVCacheDataTypeE1ES0_Li16ELi64ELi256ELb1ELi1EL8MFMAType1EEvPKT_PKT0_S9_ifPKiSB_SB_iPKfiiiPfSE_PS4_PT2_iSD_SD_, .Lfunc_end1402-_Z39paged_attention_ll4mi_QKV_mfma16_kernelI14__hip_bfloat16hLN4vllm18Fp8KVCacheDataTypeE1ES0_Li16ELi64ELi256ELb1ELi1EL8MFMAType1EEvPKT_PKT0_S9_ifPKiSB_SB_iPKfiiiPfSE_PS4_PT2_iSD_SD_
                                        ; -- End function
	.section	.AMDGPU.csdata,"",@progbits
; Kernel info:
; codeLenInByte = 8416
; NumSgprs: 50
; NumVgprs: 131
; ScratchSize: 0
; MemoryBound: 1
; FloatMode: 240
; IeeeMode: 1
; LDSByteSize: 17472 bytes/workgroup (compile time only)
; SGPRBlocks: 6
; VGPRBlocks: 16
; NumSGPRsForWavesPerEU: 50
; NumVGPRsForWavesPerEU: 131
; Occupancy: 10
; WaveLimiterHint : 1
; COMPUTE_PGM_RSRC2:SCRATCH_EN: 0
; COMPUTE_PGM_RSRC2:USER_SGPR: 13
; COMPUTE_PGM_RSRC2:TRAP_HANDLER: 0
; COMPUTE_PGM_RSRC2:TGID_X_EN: 1
; COMPUTE_PGM_RSRC2:TGID_Y_EN: 1
; COMPUTE_PGM_RSRC2:TGID_Z_EN: 1
; COMPUTE_PGM_RSRC2:TIDIG_COMP_CNT: 0
	.section	.text._Z39paged_attention_ll4mi_QKV_mfma16_kernelI14__hip_bfloat16hLN4vllm18Fp8KVCacheDataTypeE1ES0_Li16ELi64ELi256ELb1ELi2EL8MFMAType1EEvPKT_PKT0_S9_ifPKiSB_SB_iPKfiiiPfSE_PS4_PT2_iSD_SD_,"axG",@progbits,_Z39paged_attention_ll4mi_QKV_mfma16_kernelI14__hip_bfloat16hLN4vllm18Fp8KVCacheDataTypeE1ES0_Li16ELi64ELi256ELb1ELi2EL8MFMAType1EEvPKT_PKT0_S9_ifPKiSB_SB_iPKfiiiPfSE_PS4_PT2_iSD_SD_,comdat
	.protected	_Z39paged_attention_ll4mi_QKV_mfma16_kernelI14__hip_bfloat16hLN4vllm18Fp8KVCacheDataTypeE1ES0_Li16ELi64ELi256ELb1ELi2EL8MFMAType1EEvPKT_PKT0_S9_ifPKiSB_SB_iPKfiiiPfSE_PS4_PT2_iSD_SD_ ; -- Begin function _Z39paged_attention_ll4mi_QKV_mfma16_kernelI14__hip_bfloat16hLN4vllm18Fp8KVCacheDataTypeE1ES0_Li16ELi64ELi256ELb1ELi2EL8MFMAType1EEvPKT_PKT0_S9_ifPKiSB_SB_iPKfiiiPfSE_PS4_PT2_iSD_SD_
	.globl	_Z39paged_attention_ll4mi_QKV_mfma16_kernelI14__hip_bfloat16hLN4vllm18Fp8KVCacheDataTypeE1ES0_Li16ELi64ELi256ELb1ELi2EL8MFMAType1EEvPKT_PKT0_S9_ifPKiSB_SB_iPKfiiiPfSE_PS4_PT2_iSD_SD_
	.p2align	8
	.type	_Z39paged_attention_ll4mi_QKV_mfma16_kernelI14__hip_bfloat16hLN4vllm18Fp8KVCacheDataTypeE1ES0_Li16ELi64ELi256ELb1ELi2EL8MFMAType1EEvPKT_PKT0_S9_ifPKiSB_SB_iPKfiiiPfSE_PS4_PT2_iSD_SD_,@function
_Z39paged_attention_ll4mi_QKV_mfma16_kernelI14__hip_bfloat16hLN4vllm18Fp8KVCacheDataTypeE1ES0_Li16ELi64ELi256ELb1ELi2EL8MFMAType1EEvPKT_PKT0_S9_ifPKiSB_SB_iPKfiiiPfSE_PS4_PT2_iSD_SD_: ; @_Z39paged_attention_ll4mi_QKV_mfma16_kernelI14__hip_bfloat16hLN4vllm18Fp8KVCacheDataTypeE1ES0_Li16ELi64ELi256ELb1ELi2EL8MFMAType1EEvPKT_PKT0_S9_ifPKiSB_SB_iPKfiiiPfSE_PS4_PT2_iSD_SD_
; %bb.0:
	s_load_b64 s[2:3], s[0:1], 0x30
	s_mov_b32 s30, s13
	s_waitcnt lgkmcnt(0)
	s_cmp_lg_u64 s[2:3], 0
	s_cselect_b32 s8, -1, 0
	s_ashr_i32 s31, s13, 31
	s_cmp_eq_u64 s[2:3], 0
	s_cbranch_scc1 .LBB1403_3
; %bb.1:
	s_lshl_b64 s[4:5], s[30:31], 2
	s_delay_alu instid0(SALU_CYCLE_1) | instskip(SKIP_4) | instid1(SALU_CYCLE_1)
	s_add_u32 s4, s2, s4
	s_addc_u32 s5, s3, s5
	s_load_b64 s[4:5], s[4:5], 0x0
	s_waitcnt lgkmcnt(0)
	s_sub_i32 s4, s5, s4
	s_cmp_eq_u32 s4, 1
	s_cselect_b32 s4, -1, 0
	s_delay_alu instid0(SALU_CYCLE_1)
	s_and_not1_b32 vcc_lo, exec_lo, s4
	s_cbranch_vccz .LBB1403_4
.LBB1403_2:
	s_endpgm
.LBB1403_3:
.LBB1403_4:
	s_load_b64 s[4:5], s[0:1], 0x28
	s_lshl_b64 s[6:7], s[30:31], 2
	s_waitcnt lgkmcnt(0)
	s_add_u32 s4, s4, s6
	s_addc_u32 s5, s5, s7
	s_lshl_b32 s12, s14, 8
	s_load_b32 s24, s[4:5], 0x0
	s_waitcnt lgkmcnt(0)
	s_cmp_ge_i32 s12, s24
	s_cbranch_scc1 .LBB1403_2
; %bb.5:
	s_clause 0x1
	s_load_b128 s[20:23], s[0:1], 0x8
	s_load_b64 s[4:5], s[0:1], 0x20
	s_and_not1_b32 vcc_lo, exec_lo, s8
	s_cbranch_vccnz .LBB1403_7
; %bb.6:
	s_add_u32 s2, s2, s6
	s_addc_u32 s3, s3, s7
	s_load_b32 s3, s[2:3], 0x0
	s_branch .LBB1403_8
.LBB1403_7:
	s_mov_b32 s3, s30
.LBB1403_8:
	s_load_b128 s[16:19], s[0:1], 0x48
	v_and_b32_e32 v66, 15, v0
	v_bfe_u32 v65, v0, 4, 1
	s_lshl_b32 s31, s15, 1
	v_cmp_gt_u32_e32 vcc_lo, 32, v0
	v_and_b32_e32 v68, 31, v0
	v_lshlrev_b32_e32 v1, 3, v66
	v_cmp_gt_u32_e64 s2, 8, v66
	v_and_b32_e32 v76, 1, v0
	v_or_b32_e32 v75, s31, v65
	v_lshlrev_b32_e32 v74, 6, v65
	v_lshlrev_b32_e32 v73, 1, v1
	s_and_b32 s29, vcc_lo, s2
	s_delay_alu instid0(SALU_CYCLE_1)
	s_and_saveexec_b32 s2, s29
	s_cbranch_execz .LBB1403_10
; %bb.9:
	s_load_b64 s[6:7], s[0:1], 0x0
	v_lshlrev_b32_e32 v1, 6, v75
	s_waitcnt lgkmcnt(0)
	s_mul_hi_i32 s9, s3, s16
	s_mul_i32 s8, s3, s16
	v_lshlrev_b32_e32 v5, 10, v66
	s_lshl_b64 s[8:9], s[8:9], 1
	v_ashrrev_i32_e32 v2, 31, v1
	v_lshlrev_b32_e32 v6, 10, v76
	s_delay_alu instid0(VALU_DEP_3) | instskip(NEXT) | instid1(VALU_DEP_3)
	v_and_b32_e32 v5, 0x3800, v5
	v_lshlrev_b64 v[1:2], 1, v[1:2]
	s_delay_alu instid0(VALU_DEP_2) | instskip(SKIP_2) | instid1(VALU_DEP_2)
	v_or3_b32 v5, v5, v6, v74
	s_add_u32 s3, s6, s8
	s_addc_u32 s6, s7, s9
	v_add_co_u32 v1, vcc_lo, s3, v1
	s_delay_alu instid0(VALU_DEP_3) | instskip(NEXT) | instid1(VALU_DEP_2)
	v_add_co_ci_u32_e32 v2, vcc_lo, s6, v2, vcc_lo
	v_add_co_u32 v1, vcc_lo, v1, v73
	s_delay_alu instid0(VALU_DEP_2)
	v_add_co_ci_u32_e32 v2, vcc_lo, 0, v2, vcc_lo
	global_load_b128 v[1:4], v[1:2], off
	s_waitcnt vmcnt(0)
	ds_store_b128 v5, v[1:4]
.LBB1403_10:
	s_or_b32 exec_lo, exec_lo, s2
	v_and_b32_e32 v1, 0xef, v0
	s_add_i32 s2, s24, 15
	s_waitcnt lgkmcnt(0)
	s_clause 0x1
	s_load_b32 s3, s[0:1], 0x38
	s_load_b32 s19, s[0:1], 0x1c
	s_ashr_i32 s6, s2, 31
	v_add_nc_u32_e32 v1, s12, v1
	s_lshr_b32 s6, s6, 28
	s_waitcnt lgkmcnt(0)
	s_add_i32 s2, s2, s6
	s_barrier
	v_ashrrev_i32_e32 v2, 31, v1
	v_or_b32_e32 v3, 16, v1
	s_ashr_i32 s2, s2, 4
	v_cmp_gt_i32_e32 vcc_lo, s24, v1
	s_add_i32 s2, s2, -1
	v_lshrrev_b32_e32 v2, 28, v2
	buffer_gl0_inv
	s_mul_i32 s27, s15, s18
	v_lshrrev_b32_e32 v67, 5, v0
	v_lshlrev_b32_e32 v71, 6, v76
	v_add_nc_u32_e32 v4, v1, v2
	s_mul_i32 s6, s30, s3
	s_delay_alu instid0(SALU_CYCLE_1) | instskip(NEXT) | instid1(VALU_DEP_1)
	s_ashr_i32 s7, s6, 31
	v_ashrrev_i32_e32 v4, 4, v4
	v_add_nc_u32_e32 v2, v3, v2
	s_lshl_b64 s[6:7], s[6:7], 2
	s_delay_alu instid0(SALU_CYCLE_1) | instskip(NEXT) | instid1(VALU_DEP_2)
	s_add_u32 s26, s4, s6
	v_cndmask_b32_e32 v1, s2, v4, vcc_lo
	s_delay_alu instid0(VALU_DEP_2)
	v_ashrrev_i32_e32 v2, 4, v2
	v_cmp_gt_i32_e32 vcc_lo, s24, v3
	s_addc_u32 s25, s5, s7
	s_ashr_i32 s28, s27, 31
	s_add_u32 s3, s20, s27
	s_addc_u32 s13, s21, s28
	v_cndmask_b32_e32 v3, s2, v2, vcc_lo
	v_ashrrev_i32_e32 v2, 31, v1
	s_lshl_b32 s4, s14, 4
	s_delay_alu instid0(SALU_CYCLE_1) | instskip(NEXT) | instid1(VALU_DEP_2)
	s_ashr_i32 s5, s4, 31
	v_ashrrev_i32_e32 v4, 31, v3
	s_delay_alu instid0(VALU_DEP_2) | instskip(SKIP_1) | instid1(SALU_CYCLE_1)
	v_lshlrev_b64 v[1:2], 2, v[1:2]
	s_lshl_b64 s[4:5], s[4:5], 2
	s_add_u32 s4, s26, s4
	s_delay_alu instid0(VALU_DEP_2) | instskip(SKIP_1) | instid1(VALU_DEP_2)
	v_lshlrev_b64 v[3:4], 2, v[3:4]
	s_addc_u32 s5, s25, s5
	v_add_co_u32 v1, vcc_lo, s26, v1
	v_add_co_ci_u32_e32 v2, vcc_lo, s25, v2, vcc_lo
	s_delay_alu instid0(VALU_DEP_3) | instskip(NEXT) | instid1(VALU_DEP_4)
	v_add_co_u32 v3, vcc_lo, s26, v3
	v_add_co_ci_u32_e32 v4, vcc_lo, s25, v4, vcc_lo
	s_clause 0x1
	global_load_b32 v5, v[1:2], off
	global_load_b32 v7, v[3:4], off
	s_or_b32 s6, s12, 32
	v_lshlrev_b32_e32 v1, 4, v0
	s_ashr_i32 s7, s6, 4
	s_cmp_lt_i32 s6, s24
	s_cselect_b32 s6, s7, s2
	s_delay_alu instid0(VALU_DEP_1) | instskip(SKIP_1) | instid1(SALU_CYCLE_1)
	v_and_b32_e32 v1, 0xf0, v1
	s_ashr_i32 s7, s6, 31
	s_lshl_b64 s[6:7], s[6:7], 2
	s_delay_alu instid0(SALU_CYCLE_1)
	s_add_u32 s6, s26, s6
	s_addc_u32 s7, s25, s7
	s_or_b32 s8, s12, 64
	v_add_co_u32 v1, s3, s3, v1
	s_ashr_i32 s9, s8, 4
	s_cmp_lt_i32 s8, s24
	v_add_co_ci_u32_e64 v2, null, s13, 0, s3
	s_cselect_b32 s8, s9, s2
	s_delay_alu instid0(SALU_CYCLE_1) | instskip(NEXT) | instid1(SALU_CYCLE_1)
	s_ashr_i32 s9, s8, 31
	s_lshl_b64 s[8:9], s[8:9], 2
	s_delay_alu instid0(SALU_CYCLE_1) | instskip(SKIP_2) | instid1(SALU_CYCLE_1)
	s_add_u32 s8, s26, s8
	s_addc_u32 s9, s25, s9
	s_or_b32 s10, s12, 0x60
	s_ashr_i32 s11, s10, 4
	s_cmp_lt_i32 s10, s24
	s_cselect_b32 s10, s11, s2
	s_delay_alu instid0(SALU_CYCLE_1) | instskip(NEXT) | instid1(SALU_CYCLE_1)
	s_ashr_i32 s11, s10, 31
	s_lshl_b64 s[10:11], s[10:11], 2
	s_delay_alu instid0(SALU_CYCLE_1) | instskip(SKIP_2) | instid1(SALU_CYCLE_1)
	s_add_u32 s10, s26, s10
	s_addc_u32 s11, s25, s11
	s_or_b32 s15, s12, 0x80
	s_ashr_i32 s16, s15, 4
	s_cmp_lt_i32 s15, s24
	;; [unrolled: 10-line block ×3, first 2 shown]
	s_cselect_b32 s20, s16, s2
	s_delay_alu instid0(SALU_CYCLE_1) | instskip(NEXT) | instid1(SALU_CYCLE_1)
	s_ashr_i32 s21, s20, 31
	s_lshl_b64 s[20:21], s[20:21], 2
	s_delay_alu instid0(SALU_CYCLE_1)
	s_add_u32 s36, s26, s20
	s_addc_u32 s37, s25, s21
	s_clause 0x5
	s_load_b32 s20, s[4:5], 0x0
	s_load_b32 s3, s[6:7], 0x0
	;; [unrolled: 1-line block ×6, first 2 shown]
	s_or_b32 s6, s12, 0xc0
	s_mov_b32 s4, 0
	s_ashr_i32 s7, s6, 4
	s_cmp_lt_i32 s6, s24
	s_mov_b32 s5, s4
	s_cselect_b32 s10, s7, s2
	s_mov_b32 s6, s4
	s_ashr_i32 s11, s10, 31
	s_mov_b32 s7, s4
	s_lshl_b64 s[10:11], s[10:11], 2
	s_mov_b32 s8, s4
	s_add_u32 s34, s26, s10
	s_addc_u32 s35, s25, s11
	s_or_b32 s11, s12, 0xe0
	s_mov_b32 s9, s4
	s_ashr_i32 s21, s11, 4
	s_cmp_lt_i32 s11, s24
	s_mov_b32 s11, s4
	s_cselect_b32 s36, s21, s2
	s_mov_b32 s10, s4
	s_ashr_i32 s37, s36, 31
	v_mov_b32_e32 v108, s11
	v_dual_mov_b32 v102, s5 :: v_dual_mov_b32 v107, s10
	v_dual_mov_b32 v106, s9 :: v_dual_mov_b32 v105, s8
	v_dual_mov_b32 v104, s7 :: v_dual_mov_b32 v103, s6
	v_mov_b32_e32 v101, s4
	s_lshl_b64 s[4:5], s[36:37], 2
	s_delay_alu instid0(SALU_CYCLE_1)
	s_add_u32 s4, s26, s4
	s_addc_u32 s5, s25, s5
	s_add_u32 s6, s22, s27
	s_addc_u32 s7, s23, s28
	s_waitcnt vmcnt(1)
	v_mad_i64_i32 v[3:4], null, v5, s17, v[1:2]
	s_waitcnt vmcnt(0)
	v_mad_i64_i32 v[5:6], null, v7, s17, v[1:2]
	v_lshlrev_b32_e32 v1, 4, v66
	s_clause 0x7
	global_load_b128 v[49:52], v[3:4], off
	global_load_b128 v[53:56], v[3:4], off offset:256
	global_load_b128 v[77:80], v[5:6], off
	global_load_b128 v[81:84], v[5:6], off offset:256
	global_load_b128 v[85:88], v[3:4], off offset:512
	;; [unrolled: 1-line block ×5, first 2 shown]
	v_lshl_or_b32 v1, v67, 8, v1
	s_load_b32 s2, s[34:35], 0x0
	ds_load_b128 v[109:112], v71
	ds_load_b128 v[113:116], v71 offset:1024
	s_load_b32 s4, s[4:5], 0x0
	v_add_co_u32 v9, s6, s6, v1
	s_delay_alu instid0(VALU_DEP_1) | instskip(SKIP_1) | instid1(VALU_DEP_1)
	v_add_co_ci_u32_e64 v10, null, s7, 0, s6
	s_waitcnt lgkmcnt(0)
	v_mad_i64_i32 v[1:2], null, s20, s17, v[9:10]
	v_mad_i64_i32 v[3:4], null, s3, s17, v[9:10]
	;; [unrolled: 1-line block ×7, first 2 shown]
	s_clause 0x9
	global_load_b128 v[57:60], v[1:2], off
	global_load_b128 v[61:64], v[1:2], off offset:16
	global_load_b128 v[41:44], v[3:4], off
	global_load_b128 v[45:48], v[3:4], off offset:16
	;; [unrolled: 2-line block ×5, first 2 shown]
	v_mad_i64_i32 v[69:70], null, s4, s17, v[9:10]
	s_clause 0x3
	global_load_b128 v[9:12], v[13:14], off
	global_load_b128 v[13:16], v[13:14], off offset:16
	global_load_b128 v[17:20], v[21:22], off
	global_load_b128 v[21:24], v[21:22], off offset:16
	s_waitcnt vmcnt(20)
	v_wmma_f32_16x16x16_bf16 v[117:124], v[49:56], v[109:116], v[101:108]
	s_clause 0x1
	global_load_b128 v[49:52], v[69:70], off
	global_load_b128 v[53:56], v[69:70], off offset:16
	s_waitcnt vmcnt(20)
	v_wmma_f32_16x16x16_bf16 v[101:108], v[77:84], v[109:116], v[101:108]
	ds_load_b128 v[77:80], v71 offset:2048
	ds_load_b128 v[81:84], v71 offset:3072
	v_mbcnt_lo_u32_b32 v70, -1, 0
	s_waitcnt vmcnt(0) lgkmcnt(0)
	s_barrier
	buffer_gl0_inv
	v_xor_b32_e32 v71, 16, v70
	s_delay_alu instid0(VALU_DEP_1) | instskip(SKIP_4) | instid1(VALU_DEP_2)
	v_cmp_gt_i32_e32 vcc_lo, 32, v71
	v_cndmask_b32_e32 v70, v70, v71, vcc_lo
	v_wmma_f32_16x16x16_bf16 v[101:108], v[93:100], v[77:84], v[101:108]
	v_and_b32_e32 v69, 0xe0, v0
	v_wmma_f32_16x16x16_bf16 v[117:124], v[85:92], v[77:84], v[117:124]
	v_dual_mul_f32 v98, s19, v106 :: v_dual_add_nc_u32 v69, s12, v69
	s_delay_alu instid0(VALU_DEP_4) | instskip(NEXT) | instid1(VALU_DEP_3)
	v_mul_f32_e32 v96, s19, v108
	v_dual_mul_f32 v94, s19, v118 :: v_dual_mul_f32 v95, s19, v117
	s_delay_alu instid0(VALU_DEP_4) | instskip(NEXT) | instid1(VALU_DEP_4)
	v_mul_f32_e32 v84, s19, v120
	v_or_b32_e32 v69, v69, v65
	v_dual_mul_f32 v93, s19, v119 :: v_dual_mul_f32 v82, s19, v122
	v_dual_mul_f32 v83, s19, v121 :: v_dual_mul_f32 v80, s19, v124
	s_delay_alu instid0(VALU_DEP_3)
	v_or_b32_e32 v71, 2, v69
	v_or_b32_e32 v72, 4, v69
	;; [unrolled: 1-line block ×3, first 2 shown]
	v_cmp_gt_i32_e64 s2, s24, v69
	v_or_b32_e32 v110, 8, v69
	v_cmp_gt_i32_e32 vcc_lo, s24, v71
	v_or_b32_e32 v85, 10, v69
	v_cmp_gt_i32_e64 s3, s24, v72
	v_cndmask_b32_e64 v95, 0xff7fffff, v95, s2
	v_cmp_gt_i32_e64 s4, s24, v109
	v_cndmask_b32_e32 v94, 0xff7fffff, v94, vcc_lo
	v_or_b32_e32 v86, 12, v69
	v_or_b32_e32 v87, 14, v69
	v_mul_f32_e32 v72, s19, v101
	v_cndmask_b32_e64 v93, 0xff7fffff, v93, s3
	v_cndmask_b32_e64 v84, 0xff7fffff, v84, s4
	v_max3_f32 v94, v95, 0xff7fffff, v94
	v_cmp_gt_i32_e64 s5, s24, v110
	v_cmp_gt_i32_e64 s6, s24, v85
	v_or_b32_e32 v88, 16, v69
	v_or_b32_e32 v89, 18, v69
	v_dual_mul_f32 v81, s19, v123 :: v_dual_mul_f32 v100, s19, v104
	v_cndmask_b32_e64 v83, 0xff7fffff, v83, s5
	v_cndmask_b32_e64 v82, 0xff7fffff, v82, s6
	v_max3_f32 v84, v94, v93, v84
	v_cmp_gt_i32_e64 s7, s24, v86
	v_cmp_gt_i32_e64 s8, s24, v87
	v_or_b32_e32 v90, 20, v69
	v_or_b32_e32 v91, 22, v69
	;; [unrolled: 1-line block ×6, first 2 shown]
	v_mul_f32_e32 v69, s19, v102
	v_cndmask_b32_e64 v81, 0xff7fffff, v81, s7
	v_cndmask_b32_e64 v80, 0xff7fffff, v80, s8
	v_max3_f32 v82, v84, v83, v82
	v_cmp_gt_i32_e64 s9, s24, v88
	v_cmp_gt_i32_e64 s10, s24, v89
	v_mul_f32_e32 v71, s19, v103
	v_cmp_gt_i32_e64 s11, s24, v90
	v_max3_f32 v80, v82, v81, v80
	v_cndmask_b32_e64 v72, 0xff7fffff, v72, s9
	v_cndmask_b32_e64 v69, 0xff7fffff, v69, s10
	v_cmp_gt_i32_e64 s12, s24, v91
	v_mul_f32_e32 v99, s19, v105
	v_cndmask_b32_e64 v71, 0xff7fffff, v71, s11
	v_cmp_gt_i32_e64 s13, s24, v92
	v_max3_f32 v69, v80, v72, v69
	v_cndmask_b32_e64 v81, 0xff7fffff, v100, s12
	v_cmp_gt_i32_e64 s15, s24, v77
	v_mul_f32_e32 v97, s19, v107
	v_cndmask_b32_e64 v72, 0xff7fffff, v99, s13
	v_cmp_gt_i32_e64 s16, s24, v78
	v_max3_f32 v69, v69, v71, v81
	v_cndmask_b32_e64 v77, 0xff7fffff, v98, s15
	v_cmp_gt_i32_e64 s17, s24, v79
	v_lshlrev_b32_e32 v91, 2, v70
	v_cndmask_b32_e64 v71, 0xff7fffff, v97, s16
	s_delay_alu instid0(VALU_DEP_4) | instskip(NEXT) | instid1(VALU_DEP_4)
	v_max3_f32 v69, v69, v72, v77
	v_cndmask_b32_e64 v78, 0xff7fffff, v96, s17
	s_delay_alu instid0(VALU_DEP_1) | instskip(SKIP_3) | instid1(VALU_DEP_1)
	v_max3_f32 v69, v69, v71, v78
	ds_bpermute_b32 v70, v91, v69
	s_waitcnt lgkmcnt(0)
	v_max_f32_e32 v70, v70, v70
	v_max_f32_e32 v69, v69, v70
	s_delay_alu instid0(VALU_DEP_1) | instskip(SKIP_4) | instid1(VALU_DEP_4)
	v_fma_f32 v70, s19, v117, -v69
	v_fma_f32 v71, s19, v118, -v69
	;; [unrolled: 1-line block ×5, first 2 shown]
	v_dual_mul_f32 v70, 0x3fb8aa3b, v70 :: v_dual_mul_f32 v71, 0x3fb8aa3b, v71
	s_delay_alu instid0(VALU_DEP_3) | instskip(NEXT) | instid1(VALU_DEP_3)
	v_dual_mul_f32 v72, 0x3fb8aa3b, v72 :: v_dual_mul_f32 v77, 0x3fb8aa3b, v77
	v_mul_f32_e32 v78, 0x3fb8aa3b, v78
	s_delay_alu instid0(VALU_DEP_3) | instskip(NEXT) | instid1(VALU_DEP_3)
	v_exp_f32_e32 v70, v70
	v_exp_f32_e32 v71, v71
	s_delay_alu instid0(VALU_DEP_2)
	v_exp_f32_e32 v72, v72
	v_exp_f32_e32 v79, v77
	;; [unrolled: 1-line block ×3, first 2 shown]
	v_cndmask_b32_e64 v81, 0, v70, s2
	v_fma_f32 v70, s19, v122, -v69
	v_cndmask_b32_e32 v77, 0, v71, vcc_lo
	s_delay_alu instid0(TRANS32_DEP_3)
	v_cndmask_b32_e64 v85, 0, v72, s3
	s_waitcnt_depctr 0xfff
	v_cndmask_b32_e64 v87, 0, v79, s4
	v_dual_add_f32 v71, 0, v81 :: v_dual_mul_f32 v70, 0x3fb8aa3b, v70
	v_cndmask_b32_e64 v88, 0, v78, s5
	s_mov_b32 s2, exec_lo
	s_delay_alu instid0(VALU_DEP_2) | instskip(NEXT) | instid1(VALU_DEP_3)
	v_add_f32_e32 v71, v71, v77
	v_exp_f32_e32 v70, v70
	s_delay_alu instid0(VALU_DEP_1) | instskip(NEXT) | instid1(VALU_DEP_1)
	v_add_f32_e32 v71, v71, v85
	v_add_f32_e32 v71, v71, v87
	s_waitcnt_depctr 0xfff
	v_cndmask_b32_e64 v89, 0, v70, s6
	v_add_f32_e32 v70, v71, v88
	s_delay_alu instid0(VALU_DEP_1)
	v_add_f32_e32 v70, v70, v89
	v_fma_f32 v80, s19, v123, -v69
	v_fma_f32 v72, s19, v124, -v69
	;; [unrolled: 1-line block ×5, first 2 shown]
	v_mul_f32_e32 v80, 0x3fb8aa3b, v80
	s_delay_alu instid0(VALU_DEP_4) | instskip(NEXT) | instid1(VALU_DEP_3)
	v_dual_mul_f32 v72, 0x3fb8aa3b, v72 :: v_dual_mul_f32 v79, 0x3fb8aa3b, v79
	v_dual_mul_f32 v78, 0x3fb8aa3b, v78 :: v_dual_mul_f32 v71, 0x3fb8aa3b, v71
	s_delay_alu instid0(VALU_DEP_3) | instskip(NEXT) | instid1(VALU_DEP_2)
	v_exp_f32_e32 v80, v80
	v_exp_f32_e32 v72, v72
	s_delay_alu instid0(VALU_DEP_2) | instskip(NEXT) | instid1(VALU_DEP_1)
	v_exp_f32_e32 v79, v79
	v_exp_f32_e32 v78, v78
	;; [unrolled: 1-line block ×3, first 2 shown]
	v_fma_f32 v83, s19, v106, -v69
	v_cndmask_b32_e64 v86, 0, v80, s7
	v_fma_f32 v80, s19, v104, -v69
	v_cndmask_b32_e64 v90, 0, v72, s8
	v_fma_f32 v72, s19, v105, -v69
	s_delay_alu instid0(TRANS32_DEP_3) | instskip(SKIP_2) | instid1(VALU_DEP_2)
	v_cndmask_b32_e64 v71, 0, v79, s9
	v_add_f32_e32 v70, v70, v86
	v_dual_mul_f32 v80, 0x3fb8aa3b, v80 :: v_dual_mul_f32 v83, 0x3fb8aa3b, v83
	v_dual_mul_f32 v72, 0x3fb8aa3b, v72 :: v_dual_add_f32 v79, v70, v90
	s_delay_alu instid0(VALU_DEP_2) | instskip(SKIP_1) | instid1(VALU_DEP_2)
	v_exp_f32_e32 v80, v80
	v_cndmask_b32_e64 v70, 0, v78, s10
	v_exp_f32_e32 v84, v72
	v_cndmask_b32_e64 v72, 0, v82, s11
	v_add_f32_e32 v78, v79, v71
	v_fma_f32 v79, s19, v107, -v69
	v_exp_f32_e32 v83, v83
	s_delay_alu instid0(VALU_DEP_1) | instskip(NEXT) | instid1(TRANS32_DEP_3)
	v_dual_add_f32 v82, v78, v70 :: v_dual_mul_f32 v79, 0x3fb8aa3b, v79
	v_cndmask_b32_e64 v78, 0, v80, s12
	s_delay_alu instid0(VALU_DEP_2) | instskip(SKIP_1) | instid1(VALU_DEP_4)
	v_add_f32_e32 v80, v82, v72
	v_fma_f32 v82, s19, v108, -v69
	v_exp_f32_e32 v92, v79
	v_cndmask_b32_e64 v79, 0, v84, s13
	s_delay_alu instid0(VALU_DEP_3) | instskip(NEXT) | instid1(VALU_DEP_3)
	v_add_f32_e32 v84, v80, v78
	v_mul_f32_e32 v82, 0x3fb8aa3b, v82
	s_delay_alu instid0(TRANS32_DEP_2) | instskip(NEXT) | instid1(VALU_DEP_3)
	v_cndmask_b32_e64 v80, 0, v83, s15
	v_add_f32_e32 v83, v84, v79
	s_delay_alu instid0(VALU_DEP_3) | instskip(NEXT) | instid1(TRANS32_DEP_2)
	v_exp_f32_e32 v84, v82
	v_cndmask_b32_e64 v82, 0, v92, s16
	s_delay_alu instid0(VALU_DEP_2) | instskip(NEXT) | instid1(VALU_DEP_1)
	v_add_f32_e32 v83, v83, v80
	v_add_f32_e32 v92, v83, v82
	s_waitcnt_depctr 0xfff
	v_cndmask_b32_e64 v83, 0, v84, s17
	s_delay_alu instid0(VALU_DEP_1)
	v_add_f32_e32 v84, v92, v83
	ds_bpermute_b32 v91, v91, v84
	v_cmpx_gt_u32_e32 16, v68
	s_cbranch_execz .LBB1403_12
; %bb.11:
	v_mul_u32_u24_e32 v68, 0x44, v67
	s_waitcnt lgkmcnt(0)
	v_add_f32_e32 v84, v84, v91
	s_delay_alu instid0(VALU_DEP_2) | instskip(NEXT) | instid1(VALU_DEP_1)
	v_lshl_add_u32 v68, v66, 2, v68
	v_add_nc_u32_e32 v68, 0x4000, v68
	ds_store_2addr_b32 v68, v69, v84 offset1:136
.LBB1403_12:
	s_or_b32 exec_lo, exec_lo, s2
	v_lshlrev_b32_e32 v68, 2, v66
	s_waitcnt lgkmcnt(0)
	s_barrier
	buffer_gl0_inv
	v_cmp_eq_u32_e32 vcc_lo, 1, v67
	v_add_nc_u32_e32 v84, 0x4000, v68
	v_cmp_eq_u32_e64 s2, 2, v67
	v_cmp_eq_u32_e64 s4, 7, v67
	ds_load_2addr_b32 v[91:92], v84 offset1:17
	ds_load_2addr_b32 v[93:94], v84 offset0:34 offset1:51
	ds_load_2addr_b32 v[95:96], v84 offset0:68 offset1:85
	;; [unrolled: 1-line block ×4, first 2 shown]
	s_waitcnt lgkmcnt(4)
	v_max3_f32 v68, v91, 0xff7fffff, v92
	s_waitcnt lgkmcnt(3)
	s_delay_alu instid0(VALU_DEP_1) | instskip(SKIP_1) | instid1(VALU_DEP_1)
	v_max3_f32 v68, v68, v93, v94
	s_waitcnt lgkmcnt(2)
	v_max3_f32 v68, v68, v95, v96
	s_waitcnt lgkmcnt(1)
	s_delay_alu instid0(VALU_DEP_1) | instskip(NEXT) | instid1(VALU_DEP_1)
	v_max3_f32 v68, v68, v97, v98
	v_sub_f32_e32 v69, v91, v68
	v_sub_f32_e32 v93, v93, v68
	;; [unrolled: 1-line block ×3, first 2 shown]
	s_delay_alu instid0(VALU_DEP_3) | instskip(NEXT) | instid1(VALU_DEP_3)
	v_mul_f32_e32 v69, 0x3fb8aa3b, v69
	v_mul_f32_e32 v103, 0x3fb8aa3b, v93
	s_delay_alu instid0(VALU_DEP_3) | instskip(NEXT) | instid1(VALU_DEP_3)
	v_mul_f32_e32 v105, 0x3fb8aa3b, v95
	v_exp_f32_e32 v102, v69
	v_sub_f32_e32 v69, v94, v68
	v_sub_f32_e32 v101, v92, v68
	ds_load_2addr_b32 v[91:92], v84 offset0:170 offset1:187
	v_exp_f32_e32 v103, v103
	v_mul_f32_e32 v104, 0x3fb8aa3b, v69
	v_mul_f32_e32 v101, 0x3fb8aa3b, v101
	s_waitcnt lgkmcnt(1)
	v_fma_f32 v69, v102, v99, 0
	v_sub_f32_e32 v99, v96, v68
	s_delay_alu instid0(VALU_DEP_3) | instskip(SKIP_4) | instid1(VALU_DEP_1)
	v_exp_f32_e32 v101, v101
	v_exp_f32_e32 v104, v104
	s_waitcnt_depctr 0xfff
	v_fmac_f32_e32 v69, v101, v100
	s_waitcnt lgkmcnt(0)
	v_fmac_f32_e32 v69, v103, v91
	ds_load_2addr_b32 v[93:94], v84 offset0:204 offset1:221
	ds_load_2addr_b32 v[95:96], v84 offset0:238 offset1:255
	v_dual_sub_f32 v84, v97, v68 :: v_dual_mul_f32 v97, 0x3fb8aa3b, v99
	v_exp_f32_e32 v99, v105
	v_sub_f32_e32 v91, v98, v68
	v_fmac_f32_e32 v69, v104, v92
	s_delay_alu instid0(VALU_DEP_3)
	v_mul_f32_e32 v84, 0x3fb8aa3b, v84
	v_exp_f32_e32 v97, v97
	s_waitcnt lgkmcnt(0)
	v_mul_f32_e32 v91, 0x3fb8aa3b, v91
	s_barrier
	v_exp_f32_e32 v84, v84
	buffer_gl0_inv
	v_exp_f32_e32 v91, v91
	v_fmac_f32_e32 v69, v99, v93
	s_delay_alu instid0(VALU_DEP_1) | instskip(NEXT) | instid1(VALU_DEP_1)
	v_fmac_f32_e32 v69, v97, v94
	v_fmac_f32_e32 v69, v84, v95
	s_waitcnt_depctr 0xfff
	v_fmac_f32_e32 v69, v91, v96
	s_delay_alu instid0(VALU_DEP_1) | instskip(NEXT) | instid1(VALU_DEP_1)
	v_add_f32_e32 v92, 0x358637bd, v69
	v_div_scale_f32 v93, null, v92, v92, 1.0
	v_div_scale_f32 v96, s3, 1.0, v92, 1.0
	s_delay_alu instid0(VALU_DEP_2) | instskip(SKIP_2) | instid1(VALU_DEP_1)
	v_rcp_f32_e32 v94, v93
	s_waitcnt_depctr 0xfff
	v_fma_f32 v95, -v93, v94, 1.0
	v_dual_fmac_f32 v94, v95, v94 :: v_dual_cndmask_b32 v95, v102, v101
	v_cmp_eq_u32_e32 vcc_lo, 3, v67
	s_delay_alu instid0(VALU_DEP_2) | instskip(NEXT) | instid1(VALU_DEP_3)
	v_mul_f32_e32 v98, v96, v94
	v_cndmask_b32_e64 v95, v95, v103, s2
	v_cmp_eq_u32_e64 s2, 4, v67
	s_delay_alu instid0(VALU_DEP_3) | instskip(NEXT) | instid1(VALU_DEP_3)
	v_fma_f32 v100, -v93, v98, v96
	v_cndmask_b32_e32 v95, v95, v104, vcc_lo
	v_cmp_eq_u32_e32 vcc_lo, 5, v67
	s_delay_alu instid0(VALU_DEP_3) | instskip(NEXT) | instid1(VALU_DEP_3)
	v_fmac_f32_e32 v98, v100, v94
	v_cndmask_b32_e64 v95, v95, v99, s2
	v_cmp_eq_u32_e64 s2, 6, v67
	s_delay_alu instid0(VALU_DEP_3) | instskip(NEXT) | instid1(VALU_DEP_3)
	v_fma_f32 v93, -v93, v98, v96
	v_cndmask_b32_e32 v95, v95, v97, vcc_lo
	s_mov_b32 vcc_lo, s3
	s_delay_alu instid0(VALU_DEP_2) | instskip(NEXT) | instid1(VALU_DEP_2)
	v_div_fmas_f32 v93, v93, v94, v98
	v_cndmask_b32_e64 v84, v95, v84, s2
	s_mov_b32 s2, exec_lo
	s_delay_alu instid0(VALU_DEP_2) | instskip(NEXT) | instid1(VALU_DEP_2)
	v_div_fixup_f32 v92, v93, v92, 1.0
	v_cndmask_b32_e64 v84, v84, v91, s4
	s_delay_alu instid0(VALU_DEP_1) | instskip(NEXT) | instid1(VALU_DEP_1)
	v_mul_f32_e32 v84, v84, v92
	v_mul_f32_e32 v92, v84, v81
	;; [unrolled: 1-line block ×6, first 2 shown]
	v_and_b32_e32 v93, 0x7f800000, v92
	v_mul_f32_e32 v91, v84, v87
	v_mul_f32_e32 v88, v84, v85
	;; [unrolled: 1-line block ×3, first 2 shown]
                                        ; implicit-def: $vgpr77
	s_delay_alu instid0(VALU_DEP_4)
	v_cmpx_ne_u32_e32 0x7f800000, v93
	s_xor_b32 s2, exec_lo, s2
; %bb.13:
	v_bfe_u32 v77, v92, 16, 1
	s_delay_alu instid0(VALU_DEP_1)
	v_add3_u32 v77, v92, v77, 0x7fff
                                        ; implicit-def: $vgpr92
; %bb.14:
	s_and_not1_saveexec_b32 s2, s2
; %bb.15:
	v_and_b32_e32 v77, 0xffff, v92
	v_or_b32_e32 v85, 0x10000, v92
	s_delay_alu instid0(VALU_DEP_2) | instskip(NEXT) | instid1(VALU_DEP_2)
	v_cmp_eq_u32_e32 vcc_lo, 0, v77
	v_cndmask_b32_e32 v77, v85, v92, vcc_lo
; %bb.16:
	s_or_b32 exec_lo, exec_lo, s2
	v_and_b32_e32 v85, 0x7f800000, v87
	s_delay_alu instid0(VALU_DEP_1) | instskip(SKIP_1) | instid1(SALU_CYCLE_1)
	v_cmp_ne_u32_e32 vcc_lo, 0x7f800000, v85
                                        ; implicit-def: $vgpr85
	s_and_saveexec_b32 s2, vcc_lo
	s_xor_b32 s2, exec_lo, s2
; %bb.17:
	v_bfe_u32 v85, v87, 16, 1
	s_delay_alu instid0(VALU_DEP_1)
	v_add3_u32 v85, v87, v85, 0x7fff
                                        ; implicit-def: $vgpr87
; %bb.18:
	s_and_not1_saveexec_b32 s2, s2
; %bb.19:
	v_and_b32_e32 v85, 0xffff, v87
	v_or_b32_e32 v92, 0x10000, v87
	s_delay_alu instid0(VALU_DEP_2) | instskip(NEXT) | instid1(VALU_DEP_2)
	v_cmp_eq_u32_e32 vcc_lo, 0, v85
	v_cndmask_b32_e32 v85, v92, v87, vcc_lo
; %bb.20:
	s_or_b32 exec_lo, exec_lo, s2
	v_and_b32_e32 v87, 0x7f800000, v88
	s_delay_alu instid0(VALU_DEP_1) | instskip(SKIP_1) | instid1(SALU_CYCLE_1)
	v_cmp_ne_u32_e32 vcc_lo, 0x7f800000, v87
                                        ; implicit-def: $vgpr87
	s_and_saveexec_b32 s2, vcc_lo
	s_xor_b32 s2, exec_lo, s2
; %bb.21:
	v_bfe_u32 v87, v88, 16, 1
	s_delay_alu instid0(VALU_DEP_1)
	v_add3_u32 v87, v88, v87, 0x7fff
                                        ; implicit-def: $vgpr88
; %bb.22:
	s_and_not1_saveexec_b32 s2, s2
; %bb.23:
	v_and_b32_e32 v87, 0xffff, v88
	v_or_b32_e32 v92, 0x10000, v88
	s_delay_alu instid0(VALU_DEP_2) | instskip(NEXT) | instid1(VALU_DEP_2)
	v_cmp_eq_u32_e32 vcc_lo, 0, v87
	v_cndmask_b32_e32 v87, v92, v88, vcc_lo
; %bb.24:
	s_or_b32 exec_lo, exec_lo, s2
	v_and_b32_e32 v88, 0x7f800000, v91
	s_delay_alu instid0(VALU_DEP_1) | instskip(SKIP_1) | instid1(SALU_CYCLE_1)
	v_cmp_ne_u32_e32 vcc_lo, 0x7f800000, v88
                                        ; implicit-def: $vgpr88
	s_and_saveexec_b32 s2, vcc_lo
	s_xor_b32 s2, exec_lo, s2
; %bb.25:
	v_bfe_u32 v88, v91, 16, 1
	s_delay_alu instid0(VALU_DEP_1)
	v_add3_u32 v88, v91, v88, 0x7fff
                                        ; implicit-def: $vgpr91
; %bb.26:
	s_and_not1_saveexec_b32 s2, s2
; %bb.27:
	v_and_b32_e32 v88, 0xffff, v91
	v_or_b32_e32 v92, 0x10000, v91
	s_delay_alu instid0(VALU_DEP_2) | instskip(NEXT) | instid1(VALU_DEP_2)
	v_cmp_eq_u32_e32 vcc_lo, 0, v88
	v_cndmask_b32_e32 v88, v92, v91, vcc_lo
; %bb.28:
	s_or_b32 exec_lo, exec_lo, s2
	v_and_b32_e32 v91, 0x7f800000, v90
	s_delay_alu instid0(VALU_DEP_1) | instskip(SKIP_1) | instid1(SALU_CYCLE_1)
	v_cmp_ne_u32_e32 vcc_lo, 0x7f800000, v91
                                        ; implicit-def: $vgpr91
	s_and_saveexec_b32 s2, vcc_lo
	s_xor_b32 s2, exec_lo, s2
; %bb.29:
	v_bfe_u32 v91, v90, 16, 1
	s_delay_alu instid0(VALU_DEP_1)
	v_add3_u32 v91, v90, v91, 0x7fff
                                        ; implicit-def: $vgpr90
; %bb.30:
	s_and_not1_saveexec_b32 s2, s2
; %bb.31:
	v_and_b32_e32 v91, 0xffff, v90
	v_or_b32_e32 v92, 0x10000, v90
	s_delay_alu instid0(VALU_DEP_2) | instskip(NEXT) | instid1(VALU_DEP_2)
	v_cmp_eq_u32_e32 vcc_lo, 0, v91
	v_cndmask_b32_e32 v91, v92, v90, vcc_lo
; %bb.32:
	s_or_b32 exec_lo, exec_lo, s2
	v_and_b32_e32 v90, 0x7f800000, v89
	s_delay_alu instid0(VALU_DEP_1) | instskip(SKIP_1) | instid1(SALU_CYCLE_1)
	v_cmp_ne_u32_e32 vcc_lo, 0x7f800000, v90
                                        ; implicit-def: $vgpr90
	s_and_saveexec_b32 s2, vcc_lo
	s_xor_b32 s2, exec_lo, s2
; %bb.33:
	v_bfe_u32 v90, v89, 16, 1
	s_delay_alu instid0(VALU_DEP_1)
	v_add3_u32 v90, v89, v90, 0x7fff
                                        ; implicit-def: $vgpr89
; %bb.34:
	s_and_not1_saveexec_b32 s2, s2
; %bb.35:
	v_and_b32_e32 v90, 0xffff, v89
	v_or_b32_e32 v92, 0x10000, v89
	s_delay_alu instid0(VALU_DEP_2) | instskip(NEXT) | instid1(VALU_DEP_2)
	v_cmp_eq_u32_e32 vcc_lo, 0, v90
	v_cndmask_b32_e32 v90, v92, v89, vcc_lo
; %bb.36:
	s_or_b32 exec_lo, exec_lo, s2
	v_and_b32_e32 v89, 0x7f800000, v86
	s_delay_alu instid0(VALU_DEP_1) | instskip(SKIP_1) | instid1(SALU_CYCLE_1)
	v_cmp_ne_u32_e32 vcc_lo, 0x7f800000, v89
                                        ; implicit-def: $vgpr89
	s_and_saveexec_b32 s2, vcc_lo
	s_xor_b32 s2, exec_lo, s2
; %bb.37:
	v_bfe_u32 v89, v86, 16, 1
	s_delay_alu instid0(VALU_DEP_1)
	v_add3_u32 v89, v86, v89, 0x7fff
                                        ; implicit-def: $vgpr86
; %bb.38:
	s_and_not1_saveexec_b32 s2, s2
; %bb.39:
	v_and_b32_e32 v89, 0xffff, v86
	v_or_b32_e32 v92, 0x10000, v86
	s_delay_alu instid0(VALU_DEP_2) | instskip(NEXT) | instid1(VALU_DEP_2)
	v_cmp_eq_u32_e32 vcc_lo, 0, v89
	v_cndmask_b32_e32 v89, v92, v86, vcc_lo
; %bb.40:
	s_or_b32 exec_lo, exec_lo, s2
	v_and_b32_e32 v86, 0x7f800000, v81
	s_delay_alu instid0(VALU_DEP_1) | instskip(SKIP_1) | instid1(SALU_CYCLE_1)
	v_cmp_ne_u32_e32 vcc_lo, 0x7f800000, v86
                                        ; implicit-def: $vgpr86
	s_and_saveexec_b32 s2, vcc_lo
	s_xor_b32 s2, exec_lo, s2
; %bb.41:
	v_bfe_u32 v86, v81, 16, 1
	s_delay_alu instid0(VALU_DEP_1)
	v_add3_u32 v86, v81, v86, 0x7fff
                                        ; implicit-def: $vgpr81
; %bb.42:
	s_and_not1_saveexec_b32 s2, s2
; %bb.43:
	v_and_b32_e32 v86, 0xffff, v81
	v_or_b32_e32 v92, 0x10000, v81
	s_delay_alu instid0(VALU_DEP_2) | instskip(NEXT) | instid1(VALU_DEP_2)
	v_cmp_eq_u32_e32 vcc_lo, 0, v86
	v_cndmask_b32_e32 v86, v92, v81, vcc_lo
; %bb.44:
	s_or_b32 exec_lo, exec_lo, s2
	s_load_b64 s[34:35], s[0:1], 0x94
	v_lshlrev_b32_e32 v93, 4, v65
	s_delay_alu instid0(VALU_DEP_2)
	v_perm_b32 v92, v86, v89, 0x7060302
	v_dual_mul_f32 v80, v84, v80 :: v_dual_lshlrev_b32 v81, 6, v66
	v_lshlrev_b32_e32 v66, 11, v67
	v_perm_b32 v89, v85, v77, 0x7060302
	v_mul_f32_e32 v85, v84, v71
	v_mul_f32_e32 v71, v84, v82
	v_perm_b32 v91, v90, v91, 0x7060302
	v_perm_b32 v90, v88, v87, 0x7060302
	v_or3_b32 v77, v93, v66, v81
	v_mul_f32_e32 v66, v84, v83
	v_dual_mul_f32 v79, v84, v79 :: v_dual_and_b32 v86, 0x7f800000, v85
	v_mul_f32_e32 v83, v84, v78
	v_mul_f32_e32 v82, v84, v72
	;; [unrolled: 1-line block ×3, first 2 shown]
	s_mov_b32 s2, exec_lo
	ds_store_b128 v77, v[89:92]
                                        ; implicit-def: $vgpr70
	v_cmpx_ne_u32_e32 0x7f800000, v86
	s_xor_b32 s2, exec_lo, s2
; %bb.45:
	v_bfe_u32 v70, v85, 16, 1
	s_delay_alu instid0(VALU_DEP_1)
	v_add3_u32 v70, v85, v70, 0x7fff
                                        ; implicit-def: $vgpr85
; %bb.46:
	s_and_not1_saveexec_b32 s2, s2
; %bb.47:
	v_and_b32_e32 v70, 0xffff, v85
	v_or_b32_e32 v72, 0x10000, v85
	s_delay_alu instid0(VALU_DEP_2) | instskip(NEXT) | instid1(VALU_DEP_2)
	v_cmp_eq_u32_e32 vcc_lo, 0, v70
	v_cndmask_b32_e32 v70, v72, v85, vcc_lo
; %bb.48:
	s_or_b32 exec_lo, exec_lo, s2
	v_and_b32_e32 v72, 0x7f800000, v78
	s_delay_alu instid0(VALU_DEP_1) | instskip(SKIP_1) | instid1(SALU_CYCLE_1)
	v_cmp_ne_u32_e32 vcc_lo, 0x7f800000, v72
                                        ; implicit-def: $vgpr72
	s_and_saveexec_b32 s2, vcc_lo
	s_xor_b32 s2, exec_lo, s2
; %bb.49:
	v_bfe_u32 v72, v78, 16, 1
	s_delay_alu instid0(VALU_DEP_1)
	v_add3_u32 v72, v78, v72, 0x7fff
                                        ; implicit-def: $vgpr78
; %bb.50:
	s_and_not1_saveexec_b32 s2, s2
; %bb.51:
	v_and_b32_e32 v72, 0xffff, v78
	v_or_b32_e32 v84, 0x10000, v78
	s_delay_alu instid0(VALU_DEP_2) | instskip(NEXT) | instid1(VALU_DEP_2)
	v_cmp_eq_u32_e32 vcc_lo, 0, v72
	v_cndmask_b32_e32 v72, v84, v78, vcc_lo
; %bb.52:
	s_or_b32 exec_lo, exec_lo, s2
	v_and_b32_e32 v78, 0x7f800000, v82
	s_delay_alu instid0(VALU_DEP_1) | instskip(SKIP_1) | instid1(SALU_CYCLE_1)
	v_cmp_ne_u32_e32 vcc_lo, 0x7f800000, v78
                                        ; implicit-def: $vgpr78
	s_and_saveexec_b32 s2, vcc_lo
	s_xor_b32 s2, exec_lo, s2
; %bb.53:
	v_bfe_u32 v78, v82, 16, 1
	s_delay_alu instid0(VALU_DEP_1)
	v_add3_u32 v78, v82, v78, 0x7fff
                                        ; implicit-def: $vgpr82
; %bb.54:
	s_and_not1_saveexec_b32 s2, s2
; %bb.55:
	v_and_b32_e32 v78, 0xffff, v82
	v_or_b32_e32 v84, 0x10000, v82
	s_delay_alu instid0(VALU_DEP_2) | instskip(NEXT) | instid1(VALU_DEP_2)
	v_cmp_eq_u32_e32 vcc_lo, 0, v78
	v_cndmask_b32_e32 v78, v84, v82, vcc_lo
; %bb.56:
	s_or_b32 exec_lo, exec_lo, s2
	v_and_b32_e32 v82, 0x7f800000, v83
	s_delay_alu instid0(VALU_DEP_1) | instskip(SKIP_1) | instid1(SALU_CYCLE_1)
	v_cmp_ne_u32_e32 vcc_lo, 0x7f800000, v82
                                        ; implicit-def: $vgpr82
	s_and_saveexec_b32 s2, vcc_lo
	s_xor_b32 s2, exec_lo, s2
; %bb.57:
	v_bfe_u32 v82, v83, 16, 1
	s_delay_alu instid0(VALU_DEP_1)
	v_add3_u32 v82, v83, v82, 0x7fff
                                        ; implicit-def: $vgpr83
; %bb.58:
	s_and_not1_saveexec_b32 s2, s2
; %bb.59:
	v_and_b32_e32 v82, 0xffff, v83
	v_or_b32_e32 v84, 0x10000, v83
	s_delay_alu instid0(VALU_DEP_2) | instskip(NEXT) | instid1(VALU_DEP_2)
	v_cmp_eq_u32_e32 vcc_lo, 0, v82
	v_cndmask_b32_e32 v82, v84, v83, vcc_lo
; %bb.60:
	s_or_b32 exec_lo, exec_lo, s2
	v_and_b32_e32 v83, 0x7f800000, v79
	s_delay_alu instid0(VALU_DEP_1) | instskip(SKIP_1) | instid1(SALU_CYCLE_1)
	v_cmp_ne_u32_e32 vcc_lo, 0x7f800000, v83
                                        ; implicit-def: $vgpr83
	s_and_saveexec_b32 s2, vcc_lo
	s_xor_b32 s2, exec_lo, s2
; %bb.61:
	v_bfe_u32 v83, v79, 16, 1
	s_delay_alu instid0(VALU_DEP_1)
	v_add3_u32 v83, v79, v83, 0x7fff
                                        ; implicit-def: $vgpr79
; %bb.62:
	s_and_not1_saveexec_b32 s2, s2
; %bb.63:
	v_and_b32_e32 v83, 0xffff, v79
	v_or_b32_e32 v84, 0x10000, v79
	s_delay_alu instid0(VALU_DEP_2) | instskip(NEXT) | instid1(VALU_DEP_2)
	v_cmp_eq_u32_e32 vcc_lo, 0, v83
	v_cndmask_b32_e32 v83, v84, v79, vcc_lo
; %bb.64:
	s_or_b32 exec_lo, exec_lo, s2
	v_and_b32_e32 v79, 0x7f800000, v80
	s_delay_alu instid0(VALU_DEP_1) | instskip(SKIP_1) | instid1(SALU_CYCLE_1)
	v_cmp_ne_u32_e32 vcc_lo, 0x7f800000, v79
                                        ; implicit-def: $vgpr79
	s_and_saveexec_b32 s2, vcc_lo
	s_xor_b32 s2, exec_lo, s2
; %bb.65:
	v_bfe_u32 v79, v80, 16, 1
	s_delay_alu instid0(VALU_DEP_1)
	v_add3_u32 v79, v80, v79, 0x7fff
                                        ; implicit-def: $vgpr80
; %bb.66:
	s_and_not1_saveexec_b32 s2, s2
; %bb.67:
	v_and_b32_e32 v79, 0xffff, v80
	v_or_b32_e32 v84, 0x10000, v80
	s_delay_alu instid0(VALU_DEP_2) | instskip(NEXT) | instid1(VALU_DEP_2)
	v_cmp_eq_u32_e32 vcc_lo, 0, v79
	v_cndmask_b32_e32 v79, v84, v80, vcc_lo
; %bb.68:
	s_or_b32 exec_lo, exec_lo, s2
	v_and_b32_e32 v80, 0x7f800000, v71
	s_delay_alu instid0(VALU_DEP_1) | instskip(SKIP_1) | instid1(SALU_CYCLE_1)
	v_cmp_ne_u32_e32 vcc_lo, 0x7f800000, v80
                                        ; implicit-def: $vgpr80
	s_and_saveexec_b32 s2, vcc_lo
	s_xor_b32 s2, exec_lo, s2
; %bb.69:
	v_bfe_u32 v80, v71, 16, 1
	s_delay_alu instid0(VALU_DEP_1)
	v_add3_u32 v80, v71, v80, 0x7fff
                                        ; implicit-def: $vgpr71
; %bb.70:
	s_and_not1_saveexec_b32 s2, s2
; %bb.71:
	v_and_b32_e32 v80, 0xffff, v71
	v_or_b32_e32 v84, 0x10000, v71
	s_delay_alu instid0(VALU_DEP_2) | instskip(NEXT) | instid1(VALU_DEP_2)
	v_cmp_eq_u32_e32 vcc_lo, 0, v80
	v_cndmask_b32_e32 v80, v84, v71, vcc_lo
; %bb.72:
	s_or_b32 exec_lo, exec_lo, s2
	v_and_b32_e32 v71, 0x7f800000, v66
	s_delay_alu instid0(VALU_DEP_1) | instskip(SKIP_1) | instid1(SALU_CYCLE_1)
	v_cmp_ne_u32_e32 vcc_lo, 0x7f800000, v71
                                        ; implicit-def: $vgpr71
	s_and_saveexec_b32 s2, vcc_lo
	s_xor_b32 s2, exec_lo, s2
; %bb.73:
	v_bfe_u32 v71, v66, 16, 1
	s_delay_alu instid0(VALU_DEP_1)
	v_add3_u32 v71, v66, v71, 0x7fff
                                        ; implicit-def: $vgpr66
; %bb.74:
	s_and_not1_saveexec_b32 s2, s2
; %bb.75:
	v_and_b32_e32 v71, 0xffff, v66
	v_or_b32_e32 v84, 0x10000, v66
	s_delay_alu instid0(VALU_DEP_2) | instskip(NEXT) | instid1(VALU_DEP_2)
	v_cmp_eq_u32_e32 vcc_lo, 0, v71
	v_cndmask_b32_e32 v71, v84, v66, vcc_lo
; %bb.76:
	s_or_b32 exec_lo, exec_lo, s2
	s_delay_alu instid0(VALU_DEP_1)
	v_perm_b32 v87, v71, v80, 0x7060302
	v_perm_b32 v86, v79, v83, 0x7060302
	;; [unrolled: 1-line block ×4, first 2 shown]
	v_lshl_or_b32 v83, v67, 11, v81
	ds_store_b128 v77, v[84:87] offset:1024
	s_waitcnt lgkmcnt(0)
	s_barrier
	buffer_gl0_inv
	ds_load_b128 v[84:87], v83
	ds_load_b128 v[88:91], v83 offset:16
	s_waitcnt lgkmcnt(1)
	v_lshrrev_b32_e32 v70, 16, v87
	s_waitcnt lgkmcnt(0)
	v_lshrrev_b32_e32 v71, 16, v88
	v_lshlrev_b32_e32 v79, 2, v65
	v_lshrrev_b32_e32 v65, 16, v84
	v_lshrrev_b32_e32 v66, 16, v85
	;; [unrolled: 1-line block ×4, first 2 shown]
	v_cmp_eq_u32_e32 vcc_lo, 1, v79
	v_lshrrev_b32_e32 v100, 16, v90
	v_lshrrev_b32_e32 v101, 16, v91
	v_cndmask_b32_e32 v92, v88, v71, vcc_lo
	v_or_b32_e32 v80, 1, v79
	v_cndmask_b32_e32 v82, v84, v65, vcc_lo
	v_cmp_eq_u32_e64 s3, 2, v79
	v_cmp_eq_u32_e64 s6, 3, v79
	;; [unrolled: 1-line block ×5, first 2 shown]
	v_cndmask_b32_e64 v82, v82, v85, s3
	v_cndmask_b32_e64 v92, v92, v89, s3
	v_cmp_eq_u32_e64 s7, 3, v80
	v_cndmask_b32_e64 v93, v84, v65, s2
	v_or_b32_e32 v78, 2, v79
	v_cndmask_b32_e64 v82, v82, v66, s6
	v_cndmask_b32_e64 v92, v92, v72, s6
	v_cndmask_b32_e64 v94, v88, v71, s2
	v_cndmask_b32_e64 v93, v93, v85, s5
	v_cmp_eq_u32_e64 s9, 5, v79
	v_cndmask_b32_e64 v82, v82, v86, s8
	v_cndmask_b32_e64 v92, v92, v90, s8
	v_cmp_eq_u32_e64 s10, 4, v80
	v_cndmask_b32_e64 v93, v93, v66, s7
	v_cmp_eq_u32_e64 s4, 1, v78
	v_cndmask_b32_e64 v94, v94, v89, s5
	v_cndmask_b32_e64 v82, v82, v67, s9
	v_cmp_eq_u32_e64 s11, 6, v79
	v_cndmask_b32_e64 v93, v93, v86, s10
	;; [unrolled: 3-line block ×3, first 2 shown]
	v_cndmask_b32_e64 v94, v94, v72, s7
	v_cndmask_b32_e64 v82, v82, v87, s11
	v_cmp_eq_u32_e64 s13, 7, v79
	v_cndmask_b32_e64 v93, v93, v67, s12
	v_cndmask_b32_e64 v92, v92, v91, s11
	v_cmp_eq_u32_e64 s15, 6, v80
	v_cmp_eq_u32_e64 s16, 2, v78
	v_cndmask_b32_e64 v94, v94, v90, s10
	v_cndmask_b32_e64 v102, v82, v70, s13
	;; [unrolled: 1-line block ×6, first 2 shown]
	v_cmp_eq_u32_e64 s17, 7, v80
	v_cmp_eq_u32_e64 s18, 3, v78
	;; [unrolled: 1-line block ×4, first 2 shown]
	v_cndmask_b32_e64 v92, v92, v89, s16
	v_cndmask_b32_e64 v104, v93, v70, s17
	;; [unrolled: 1-line block ×4, first 2 shown]
	v_or_b32_e32 v82, 3, v79
	v_cndmask_b32_e64 v97, v92, v72, s18
	v_cmp_eq_u32_e64 s23, 6, v78
	v_cndmask_b32_e64 v105, v93, v91, s15
	v_cndmask_b32_e64 v96, v94, v86, s19
	v_cmp_eq_u32_e64 s20, 1, v82
	ds_load_b128 v[92:95], v83 offset:1024
	v_cmp_eq_u32_e64 s22, 2, v82
	v_cmp_eq_u32_e64 s24, 3, v82
	v_cndmask_b32_e64 v106, v96, v67, s21
	v_cndmask_b32_e64 v65, v84, v65, s20
	;; [unrolled: 1-line block ×3, first 2 shown]
	ds_load_b128 v[96:99], v83 offset:1040
	v_cndmask_b32_e64 v71, v88, v71, s20
	v_cmp_eq_u32_e64 s25, 4, v82
	v_cndmask_b32_e64 v65, v65, v85, s22
	v_cmp_eq_u32_e64 s27, 5, v82
	v_cmp_eq_u32_e64 s28, 6, v82
	v_cndmask_b32_e64 v71, v71, v89, s22
	v_cndmask_b32_e64 v84, v84, v100, s21
	;; [unrolled: 1-line block ×4, first 2 shown]
	v_cmp_eq_u32_e64 s26, 7, v78
	v_cndmask_b32_e64 v71, v71, v72, s24
	v_cndmask_b32_e64 v84, v84, v91, s23
	;; [unrolled: 1-line block ×3, first 2 shown]
	s_waitcnt lgkmcnt(1)
	v_lshrrev_b32_e32 v72, 16, v92
	v_lshrrev_b32_e32 v88, 16, v93
	v_cndmask_b32_e64 v71, v71, v90, s25
	v_cndmask_b32_e64 v66, v66, v70, s26
	;; [unrolled: 1-line block ×6, first 2 shown]
	s_waitcnt lgkmcnt(0)
	v_lshrrev_b32_e32 v71, 16, v96
	v_cndmask_b32_e64 v65, v65, v87, s28
	v_cndmask_b32_e64 v87, v89, v93, s5
	v_lshrrev_b32_e32 v100, 16, v98
	v_cndmask_b32_e64 v67, v67, v91, s28
	v_cndmask_b32_e32 v86, v92, v72, vcc_lo
	v_cndmask_b32_e32 v90, v96, v71, vcc_lo
	v_cmp_eq_u32_e32 vcc_lo, 7, v82
	v_cndmask_b32_e64 v87, v87, v88, s7
	v_lshrrev_b32_e32 v91, 16, v94
	v_cndmask_b32_e64 v85, v105, v101, s17
	v_cndmask_b32_e64 v89, v90, v97, s3
	v_cndmask_b32_e32 v67, v67, v101, vcc_lo
	v_cndmask_b32_e64 v86, v86, v93, s3
	v_lshrrev_b32_e32 v90, 16, v97
	v_cndmask_b32_e32 v65, v65, v70, vcc_lo
	v_cndmask_b32_e64 v70, v87, v94, s10
	v_cndmask_b32_e64 v101, v96, v71, s4
	;; [unrolled: 1-line block ×4, first 2 shown]
	v_perm_b32 v87, v67, v65, 0x5040100
	v_cndmask_b32_e64 v65, v70, v91, s12
	v_lshrrev_b32_e32 v70, 16, v95
	v_cndmask_b32_e64 v86, v86, v94, s8
	v_cndmask_b32_e64 v89, v89, v98, s8
	v_perm_b32 v85, v85, v104, 0x5040100
	v_cndmask_b32_e64 v65, v65, v95, s15
	s_delay_alu instid0(VALU_DEP_4) | instskip(NEXT) | instid1(VALU_DEP_4)
	v_cndmask_b32_e64 v86, v86, v91, s9
	v_cndmask_b32_e64 v89, v89, v100, s9
	s_delay_alu instid0(VALU_DEP_3) | instskip(NEXT) | instid1(VALU_DEP_3)
	v_cndmask_b32_e64 v65, v65, v70, s17
	v_cndmask_b32_e64 v67, v86, v95, s11
	v_perm_b32 v86, v84, v66, 0x5040100
	v_lshrrev_b32_e32 v84, 16, v99
	s_delay_alu instid0(VALU_DEP_3)
	v_cndmask_b32_e64 v66, v67, v70, s13
	v_cndmask_b32_e64 v67, v89, v99, s11
	;; [unrolled: 1-line block ×33, first 2 shown]
	v_cndmask_b32_e32 v70, v72, v70, vcc_lo
	v_cndmask_b32_e32 v72, v88, v84, vcc_lo
	v_cndmask_b32_e64 v88, v90, v84, s26
	v_cndmask_b32_e64 v71, v71, v84, s17
	v_perm_b32 v84, v103, v102, 0x5040100
	s_lshl_b32 s7, s35, 1
	v_perm_b32 v91, v72, v70, 0x5040100
	v_perm_b32 v90, v88, v89, 0x5040100
	;; [unrolled: 1-line block ×4, first 2 shown]
	s_mov_b32 s2, exec_lo
	ds_store_b128 v77, v[84:87]
	ds_store_b128 v77, v[88:91] offset:1024
	v_cmpx_gt_u32_e32 2, v0
	s_cbranch_execz .LBB1403_78
; %bb.77:
	v_or_b32_e32 v65, s31, v0
	s_load_b128 s[8:11], s[0:1], 0x58
	s_delay_alu instid0(VALU_DEP_1) | instskip(NEXT) | instid1(VALU_DEP_1)
	v_mad_u64_u32 v[66:67], null, s7, s30, v[65:66]
	v_mad_u64_u32 v[70:71], null, v66, s34, s[14:15]
	s_delay_alu instid0(VALU_DEP_1) | instskip(NEXT) | instid1(VALU_DEP_1)
	v_ashrrev_i32_e32 v71, 31, v70
	v_lshlrev_b64 v[65:66], 2, v[70:71]
	s_waitcnt lgkmcnt(0)
	s_delay_alu instid0(VALU_DEP_1) | instskip(NEXT) | instid1(VALU_DEP_2)
	v_add_co_u32 v70, vcc_lo, s10, v65
	v_add_co_ci_u32_e32 v71, vcc_lo, s11, v66, vcc_lo
	v_add_co_u32 v65, vcc_lo, s8, v65
	v_add_co_ci_u32_e32 v66, vcc_lo, s9, v66, vcc_lo
	global_store_b32 v[70:71], v68, off
	global_store_b32 v[65:66], v69, off
.LBB1403_78:
	s_or_b32 exec_lo, exec_lo, s2
	s_waitcnt lgkmcnt(0)
	s_waitcnt_vscnt null, 0x0
	s_barrier
	buffer_gl0_inv
	ds_load_b128 v[84:87], v81
	ds_load_b128 v[88:91], v81 offset:16
	ds_load_b128 v[96:99], v81 offset:2064
	;; [unrolled: 1-line block ×3, first 2 shown]
	v_mov_b32_e32 v65, 0
	ds_load_b128 v[104:107], v81 offset:4112
	ds_load_b128 v[100:103], v81 offset:4096
	;; [unrolled: 1-line block ×4, first 2 shown]
	v_mov_b32_e32 v66, v65
	v_mov_b32_e32 v67, v65
	;; [unrolled: 1-line block ×7, first 2 shown]
	s_waitcnt lgkmcnt(6)
	s_delay_alu instid0(VALU_DEP_1)
	v_wmma_f32_16x16x16_bf16 v[65:72], v[57:64], v[84:91], v[65:72]
	ds_load_b128 v[61:64], v81 offset:8208
	ds_load_b128 v[57:60], v81 offset:8192
	s_waitcnt lgkmcnt(6)
	v_wmma_f32_16x16x16_bf16 v[65:72], v[41:48], v[92:99], v[65:72]
	ds_load_b128 v[45:48], v81 offset:10256
	ds_load_b128 v[41:44], v81 offset:10240
	s_waitcnt lgkmcnt(6)
	;; [unrolled: 4-line block ×4, first 2 shown]
	v_wmma_f32_16x16x16_bf16 v[65:72], v[1:8], v[57:64], v[65:72]
	s_waitcnt lgkmcnt(4)
	s_delay_alu instid0(VALU_DEP_1) | instskip(SKIP_1) | instid1(VALU_DEP_1)
	v_wmma_f32_16x16x16_bf16 v[65:72], v[9:16], v[41:48], v[65:72]
	s_waitcnt lgkmcnt(2)
	v_wmma_f32_16x16x16_bf16 v[65:72], v[17:24], v[33:40], v[65:72]
	s_waitcnt lgkmcnt(0)
	s_delay_alu instid0(VALU_DEP_1) | instskip(NEXT) | instid1(VALU_DEP_1)
	v_wmma_f32_16x16x16_bf16 v[65:72], v[49:56], v[25:32], v[65:72]
	v_and_b32_e32 v1, 0x7f800000, v65
	s_delay_alu instid0(VALU_DEP_1) | instskip(SKIP_1) | instid1(SALU_CYCLE_1)
	v_cmp_ne_u32_e32 vcc_lo, 0x7f800000, v1
                                        ; implicit-def: $vgpr1
	s_and_saveexec_b32 s2, vcc_lo
	s_xor_b32 s2, exec_lo, s2
; %bb.79:
	v_bfe_u32 v1, v65, 16, 1
	s_delay_alu instid0(VALU_DEP_1)
	v_add3_u32 v1, v65, v1, 0x7fff
; %bb.80:
	s_and_not1_saveexec_b32 s2, s2
; %bb.81:
	v_and_b32_e32 v1, 0xffff, v65
	v_or_b32_e32 v2, 0x10000, v65
	s_delay_alu instid0(VALU_DEP_2) | instskip(NEXT) | instid1(VALU_DEP_2)
	v_cmp_eq_u32_e32 vcc_lo, 0, v1
	v_cndmask_b32_e32 v1, v2, v65, vcc_lo
; %bb.82:
	s_or_b32 exec_lo, exec_lo, s2
	v_and_b32_e32 v2, 0x7f800000, v66
	s_delay_alu instid0(VALU_DEP_1) | instskip(SKIP_1) | instid1(SALU_CYCLE_1)
	v_cmp_ne_u32_e32 vcc_lo, 0x7f800000, v2
                                        ; implicit-def: $vgpr2
	s_and_saveexec_b32 s2, vcc_lo
	s_xor_b32 s2, exec_lo, s2
; %bb.83:
	v_bfe_u32 v2, v66, 16, 1
	s_delay_alu instid0(VALU_DEP_1)
	v_add3_u32 v2, v66, v2, 0x7fff
; %bb.84:
	s_and_not1_saveexec_b32 s2, s2
; %bb.85:
	v_and_b32_e32 v2, 0xffff, v66
	v_or_b32_e32 v3, 0x10000, v66
	s_delay_alu instid0(VALU_DEP_2) | instskip(NEXT) | instid1(VALU_DEP_2)
	v_cmp_eq_u32_e32 vcc_lo, 0, v2
	v_cndmask_b32_e32 v2, v3, v66, vcc_lo
; %bb.86:
	s_or_b32 exec_lo, exec_lo, s2
	v_and_b32_e32 v3, 0x7f800000, v67
	s_delay_alu instid0(VALU_DEP_1) | instskip(SKIP_1) | instid1(SALU_CYCLE_1)
	v_cmp_ne_u32_e32 vcc_lo, 0x7f800000, v3
                                        ; implicit-def: $vgpr3
	s_and_saveexec_b32 s2, vcc_lo
	s_xor_b32 s2, exec_lo, s2
; %bb.87:
	v_bfe_u32 v3, v67, 16, 1
	s_delay_alu instid0(VALU_DEP_1)
	v_add3_u32 v3, v67, v3, 0x7fff
; %bb.88:
	s_and_not1_saveexec_b32 s2, s2
; %bb.89:
	v_and_b32_e32 v3, 0xffff, v67
	v_or_b32_e32 v4, 0x10000, v67
	s_delay_alu instid0(VALU_DEP_2) | instskip(NEXT) | instid1(VALU_DEP_2)
	v_cmp_eq_u32_e32 vcc_lo, 0, v3
	v_cndmask_b32_e32 v3, v4, v67, vcc_lo
; %bb.90:
	s_or_b32 exec_lo, exec_lo, s2
	v_and_b32_e32 v4, 0x7f800000, v68
	s_delay_alu instid0(VALU_DEP_1) | instskip(SKIP_1) | instid1(SALU_CYCLE_1)
	v_cmp_ne_u32_e32 vcc_lo, 0x7f800000, v4
                                        ; implicit-def: $vgpr4
	s_and_saveexec_b32 s2, vcc_lo
	s_xor_b32 s2, exec_lo, s2
; %bb.91:
	v_bfe_u32 v4, v68, 16, 1
	s_delay_alu instid0(VALU_DEP_1)
	v_add3_u32 v4, v68, v4, 0x7fff
; %bb.92:
	s_and_not1_saveexec_b32 s2, s2
; %bb.93:
	v_and_b32_e32 v4, 0xffff, v68
	v_or_b32_e32 v5, 0x10000, v68
	s_delay_alu instid0(VALU_DEP_2) | instskip(NEXT) | instid1(VALU_DEP_2)
	v_cmp_eq_u32_e32 vcc_lo, 0, v4
	v_cndmask_b32_e32 v4, v5, v68, vcc_lo
; %bb.94:
	s_or_b32 exec_lo, exec_lo, s2
	v_and_b32_e32 v5, 0x7f800000, v69
	s_delay_alu instid0(VALU_DEP_1) | instskip(SKIP_1) | instid1(SALU_CYCLE_1)
	v_cmp_ne_u32_e32 vcc_lo, 0x7f800000, v5
                                        ; implicit-def: $vgpr5
	s_and_saveexec_b32 s2, vcc_lo
	s_xor_b32 s2, exec_lo, s2
; %bb.95:
	v_bfe_u32 v5, v69, 16, 1
	s_delay_alu instid0(VALU_DEP_1)
	v_add3_u32 v5, v69, v5, 0x7fff
; %bb.96:
	s_and_not1_saveexec_b32 s2, s2
; %bb.97:
	v_and_b32_e32 v5, 0xffff, v69
	v_or_b32_e32 v6, 0x10000, v69
	s_delay_alu instid0(VALU_DEP_2) | instskip(NEXT) | instid1(VALU_DEP_2)
	v_cmp_eq_u32_e32 vcc_lo, 0, v5
	v_cndmask_b32_e32 v5, v6, v69, vcc_lo
; %bb.98:
	s_or_b32 exec_lo, exec_lo, s2
	v_and_b32_e32 v6, 0x7f800000, v70
	s_delay_alu instid0(VALU_DEP_1) | instskip(SKIP_1) | instid1(SALU_CYCLE_1)
	v_cmp_ne_u32_e32 vcc_lo, 0x7f800000, v6
                                        ; implicit-def: $vgpr6
	s_and_saveexec_b32 s2, vcc_lo
	s_xor_b32 s2, exec_lo, s2
; %bb.99:
	v_bfe_u32 v6, v70, 16, 1
	s_delay_alu instid0(VALU_DEP_1)
	v_add3_u32 v6, v70, v6, 0x7fff
; %bb.100:
	s_and_not1_saveexec_b32 s2, s2
; %bb.101:
	v_and_b32_e32 v6, 0xffff, v70
	v_or_b32_e32 v7, 0x10000, v70
	s_delay_alu instid0(VALU_DEP_2) | instskip(NEXT) | instid1(VALU_DEP_2)
	v_cmp_eq_u32_e32 vcc_lo, 0, v6
	v_cndmask_b32_e32 v6, v7, v70, vcc_lo
; %bb.102:
	s_or_b32 exec_lo, exec_lo, s2
	v_and_b32_e32 v7, 0x7f800000, v71
	s_delay_alu instid0(VALU_DEP_1) | instskip(SKIP_1) | instid1(SALU_CYCLE_1)
	v_cmp_ne_u32_e32 vcc_lo, 0x7f800000, v7
                                        ; implicit-def: $vgpr7
	s_and_saveexec_b32 s2, vcc_lo
	s_xor_b32 s2, exec_lo, s2
; %bb.103:
	v_bfe_u32 v7, v71, 16, 1
	s_delay_alu instid0(VALU_DEP_1)
	v_add3_u32 v7, v71, v7, 0x7fff
; %bb.104:
	s_and_not1_saveexec_b32 s2, s2
; %bb.105:
	v_and_b32_e32 v7, 0xffff, v71
	v_or_b32_e32 v8, 0x10000, v71
	s_delay_alu instid0(VALU_DEP_2) | instskip(NEXT) | instid1(VALU_DEP_2)
	v_cmp_eq_u32_e32 vcc_lo, 0, v7
	v_cndmask_b32_e32 v7, v8, v71, vcc_lo
; %bb.106:
	s_or_b32 exec_lo, exec_lo, s2
	v_and_b32_e32 v8, 0x7f800000, v72
	s_delay_alu instid0(VALU_DEP_1) | instskip(SKIP_1) | instid1(SALU_CYCLE_1)
	v_cmp_ne_u32_e32 vcc_lo, 0x7f800000, v8
                                        ; implicit-def: $vgpr8
	s_and_saveexec_b32 s2, vcc_lo
	s_xor_b32 s2, exec_lo, s2
; %bb.107:
	v_bfe_u32 v8, v72, 16, 1
	s_delay_alu instid0(VALU_DEP_1)
	v_add3_u32 v8, v72, v8, 0x7fff
                                        ; implicit-def: $vgpr65_vgpr66_vgpr67_vgpr68_vgpr69_vgpr70_vgpr71_vgpr72
; %bb.108:
	s_and_not1_saveexec_b32 s2, s2
; %bb.109:
	v_and_b32_e32 v8, 0xffff, v72
	v_or_b32_e32 v9, 0x10000, v72
	s_delay_alu instid0(VALU_DEP_2) | instskip(NEXT) | instid1(VALU_DEP_2)
	v_cmp_eq_u32_e32 vcc_lo, 0, v8
	v_cndmask_b32_e32 v8, v9, v72, vcc_lo
; %bb.110:
	s_or_b32 exec_lo, exec_lo, s2
	s_delay_alu instid0(VALU_DEP_1)
	v_perm_b32 v7, v8, v7, 0x7060302
	v_perm_b32 v6, v6, v5, 0x7060302
	;; [unrolled: 1-line block ×4, first 2 shown]
	s_barrier
	buffer_gl0_inv
	v_cmp_eq_u32_e32 vcc_lo, 1, v79
	ds_store_b128 v77, v[4:7]
	s_waitcnt lgkmcnt(0)
	s_barrier
	buffer_gl0_inv
	ds_load_b128 v[1:4], v83
	ds_load_b128 v[5:8], v83 offset:16
	v_cmp_eq_u32_e64 s2, 1, v80
	v_cmp_eq_u32_e64 s3, 2, v79
	;; [unrolled: 1-line block ×5, first 2 shown]
	s_waitcnt lgkmcnt(1)
	v_lshrrev_b32_e32 v9, 16, v1
	s_waitcnt lgkmcnt(0)
	v_lshrrev_b32_e32 v13, 16, v5
	v_lshrrev_b32_e32 v10, 16, v2
	;; [unrolled: 1-line block ×4, first 2 shown]
	v_cndmask_b32_e64 v19, v1, v9, s2
	v_cndmask_b32_e32 v18, v5, v13, vcc_lo
	v_cndmask_b32_e64 v20, v5, v13, s2
	v_cndmask_b32_e32 v17, v1, v9, vcc_lo
	v_cmp_eq_u32_e32 vcc_lo, 2, v80
	v_lshrrev_b32_e32 v15, 16, v7
	v_cmp_eq_u32_e64 s2, 1, v78
	v_lshrrev_b32_e32 v12, 16, v4
	v_lshrrev_b32_e32 v16, 16, v8
	v_cndmask_b32_e32 v20, v20, v6, vcc_lo
	v_cndmask_b32_e64 v17, v17, v2, s3
	v_cndmask_b32_e32 v19, v19, v2, vcc_lo
	v_cndmask_b32_e64 v18, v18, v6, s3
	v_cmp_eq_u32_e32 vcc_lo, 4, v79
	v_cmp_eq_u32_e64 s3, 3, v80
	v_cndmask_b32_e64 v17, v17, v10, s4
	v_cndmask_b32_e64 v21, v1, v9, s2
	;; [unrolled: 1-line block ×5, first 2 shown]
	v_cndmask_b32_e32 v17, v17, v3, vcc_lo
	v_cndmask_b32_e64 v20, v20, v14, s3
	v_cndmask_b32_e32 v18, v18, v7, vcc_lo
	v_cmp_eq_u32_e32 vcc_lo, 4, v80
	v_cmp_eq_u32_e64 s3, 5, v80
	v_cmp_eq_u32_e64 s2, 2, v82
	v_cndmask_b32_e64 v21, v21, v2, s6
	v_cmp_eq_u32_e64 s4, 5, v79
	v_cndmask_b32_e32 v19, v19, v3, vcc_lo
	v_cndmask_b32_e32 v20, v20, v7, vcc_lo
	v_cmp_eq_u32_e32 vcc_lo, 6, v80
	s_delay_alu instid0(VALU_DEP_4) | instskip(NEXT) | instid1(VALU_DEP_4)
	v_cndmask_b32_e64 v17, v17, v11, s4
	v_cndmask_b32_e64 v19, v19, v11, s3
	s_delay_alu instid0(VALU_DEP_4) | instskip(SKIP_1) | instid1(VALU_DEP_3)
	v_cndmask_b32_e64 v20, v20, v15, s3
	v_cmp_eq_u32_e64 s3, 1, v82
	v_cndmask_b32_e32 v19, v19, v4, vcc_lo
	v_cndmask_b32_e64 v18, v18, v15, s4
	s_delay_alu instid0(VALU_DEP_3)
	v_cndmask_b32_e64 v1, v1, v9, s3
	v_cndmask_b32_e64 v5, v5, v13, s3
	v_cmp_eq_u32_e64 s3, 3, v78
	v_cndmask_b32_e64 v13, v22, v6, s6
	v_cmp_eq_u32_e64 s6, 3, v82
	v_cndmask_b32_e64 v1, v1, v2, s2
	v_cndmask_b32_e64 v2, v5, v6, s2
	;; [unrolled: 1-line block ×3, first 2 shown]
	v_cmp_eq_u32_e64 s2, 4, v78
	v_cndmask_b32_e64 v6, v13, v14, s3
	v_cndmask_b32_e64 v1, v1, v10, s6
	v_cmp_eq_u32_e64 s3, 4, v82
	v_cndmask_b32_e64 v2, v2, v14, s6
	v_cndmask_b32_e64 v5, v9, v3, s2
	;; [unrolled: 3-line block ×3, first 2 shown]
	v_cndmask_b32_e64 v2, v2, v7, s3
	v_cmp_eq_u32_e64 s2, 5, v82
	v_cmp_eq_u32_e64 s4, 6, v79
	v_cndmask_b32_e64 v5, v5, v11, s6
	v_cmp_eq_u32_e64 s3, 6, v78
	v_cndmask_b32_e64 v3, v6, v15, s6
	v_cndmask_b32_e64 v1, v1, v11, s2
	v_cmp_eq_u32_e64 s6, 6, v82
	v_cndmask_b32_e64 v2, v2, v15, s2
	v_cndmask_b32_e64 v17, v17, v4, s4
	v_cndmask_b32_e64 v18, v18, v8, s4
	v_cmp_eq_u32_e64 s4, 7, v79
	v_cndmask_b32_e64 v5, v5, v4, s3
	;; [unrolled: 4-line block ×3, first 2 shown]
	v_cmp_eq_u32_e64 s3, 7, v78
	v_cndmask_b32_e32 v4, v20, v8, vcc_lo
	v_cndmask_b32_e64 v17, v17, v12, s4
	v_cndmask_b32_e64 v19, v19, v12, s5
	;; [unrolled: 1-line block ×8, first 2 shown]
	s_delay_alu instid0(VALU_DEP_4) | instskip(NEXT) | instid1(VALU_DEP_4)
	v_perm_b32 v4, v2, v1, 0x5040100
	v_perm_b32 v3, v3, v5, 0x5040100
	s_delay_alu instid0(VALU_DEP_4) | instskip(NEXT) | instid1(VALU_DEP_4)
	v_perm_b32 v2, v6, v19, 0x5040100
	v_perm_b32 v1, v7, v17, 0x5040100
	ds_store_b128 v77, v[1:4]
	s_waitcnt lgkmcnt(0)
	s_barrier
	buffer_gl0_inv
	s_and_saveexec_b32 s2, s29
	s_cbranch_execz .LBB1403_2
; %bb.111:
	s_load_b64 s[0:1], s[0:1], 0x68
	v_lshlrev_b32_e32 v0, 10, v0
	s_lshl_b32 s2, s34, 6
	v_lshlrev_b32_e32 v1, 4, v76
	v_mul_lo_u32 v4, s2, v75
	s_mul_i32 s3, s2, s30
	v_and_b32_e32 v0, 0x3800, v0
	s_mul_i32 s2, s3, s7
	s_delay_alu instid0(SALU_CYCLE_1) | instskip(NEXT) | instid1(VALU_DEP_1)
	s_ashr_i32 s3, s2, 31
	v_or3_b32 v0, v0, v74, v1
	s_lshl_b64 s[2:3], s[2:3], 1
	s_delay_alu instid0(VALU_DEP_3)
	v_ashrrev_i32_e32 v5, 31, v4
	ds_load_b128 v[0:3], v0
	v_lshlrev_b64 v[4:5], 1, v[4:5]
	s_waitcnt lgkmcnt(0)
	s_add_u32 s2, s0, s2
	s_addc_u32 s3, s1, s3
	s_lshl_b32 s0, s14, 6
	s_delay_alu instid0(SALU_CYCLE_1) | instskip(NEXT) | instid1(SALU_CYCLE_1)
	s_ashr_i32 s1, s0, 31
	s_lshl_b64 s[0:1], s[0:1], 1
	s_delay_alu instid0(SALU_CYCLE_1) | instskip(SKIP_3) | instid1(VALU_DEP_2)
	s_add_u32 s0, s2, s0
	s_addc_u32 s1, s3, s1
	v_add_co_u32 v4, vcc_lo, s0, v4
	v_add_co_ci_u32_e32 v5, vcc_lo, s1, v5, vcc_lo
	v_add_co_u32 v4, vcc_lo, v4, v73
	s_delay_alu instid0(VALU_DEP_2)
	v_add_co_ci_u32_e32 v5, vcc_lo, 0, v5, vcc_lo
	global_store_b128 v[4:5], v[0:3], off
	s_nop 0
	s_sendmsg sendmsg(MSG_DEALLOC_VGPRS)
	s_endpgm
	.section	.rodata,"a",@progbits
	.p2align	6, 0x0
	.amdhsa_kernel _Z39paged_attention_ll4mi_QKV_mfma16_kernelI14__hip_bfloat16hLN4vllm18Fp8KVCacheDataTypeE1ES0_Li16ELi64ELi256ELb1ELi2EL8MFMAType1EEvPKT_PKT0_S9_ifPKiSB_SB_iPKfiiiPfSE_PS4_PT2_iSD_SD_
		.amdhsa_group_segment_fixed_size 17472
		.amdhsa_private_segment_fixed_size 0
		.amdhsa_kernarg_size 400
		.amdhsa_user_sgpr_count 13
		.amdhsa_user_sgpr_dispatch_ptr 0
		.amdhsa_user_sgpr_queue_ptr 0
		.amdhsa_user_sgpr_kernarg_segment_ptr 1
		.amdhsa_user_sgpr_dispatch_id 0
		.amdhsa_user_sgpr_private_segment_size 0
		.amdhsa_wavefront_size32 1
		.amdhsa_uses_dynamic_stack 0
		.amdhsa_enable_private_segment 0
		.amdhsa_system_sgpr_workgroup_id_x 1
		.amdhsa_system_sgpr_workgroup_id_y 1
		.amdhsa_system_sgpr_workgroup_id_z 1
		.amdhsa_system_sgpr_workgroup_info 0
		.amdhsa_system_vgpr_workitem_id 0
		.amdhsa_next_free_vgpr 125
		.amdhsa_next_free_sgpr 38
		.amdhsa_reserve_vcc 1
		.amdhsa_float_round_mode_32 0
		.amdhsa_float_round_mode_16_64 0
		.amdhsa_float_denorm_mode_32 3
		.amdhsa_float_denorm_mode_16_64 3
		.amdhsa_dx10_clamp 1
		.amdhsa_ieee_mode 1
		.amdhsa_fp16_overflow 0
		.amdhsa_workgroup_processor_mode 1
		.amdhsa_memory_ordered 1
		.amdhsa_forward_progress 0
		.amdhsa_shared_vgpr_count 0
		.amdhsa_exception_fp_ieee_invalid_op 0
		.amdhsa_exception_fp_denorm_src 0
		.amdhsa_exception_fp_ieee_div_zero 0
		.amdhsa_exception_fp_ieee_overflow 0
		.amdhsa_exception_fp_ieee_underflow 0
		.amdhsa_exception_fp_ieee_inexact 0
		.amdhsa_exception_int_div_zero 0
	.end_amdhsa_kernel
	.section	.text._Z39paged_attention_ll4mi_QKV_mfma16_kernelI14__hip_bfloat16hLN4vllm18Fp8KVCacheDataTypeE1ES0_Li16ELi64ELi256ELb1ELi2EL8MFMAType1EEvPKT_PKT0_S9_ifPKiSB_SB_iPKfiiiPfSE_PS4_PT2_iSD_SD_,"axG",@progbits,_Z39paged_attention_ll4mi_QKV_mfma16_kernelI14__hip_bfloat16hLN4vllm18Fp8KVCacheDataTypeE1ES0_Li16ELi64ELi256ELb1ELi2EL8MFMAType1EEvPKT_PKT0_S9_ifPKiSB_SB_iPKfiiiPfSE_PS4_PT2_iSD_SD_,comdat
.Lfunc_end1403:
	.size	_Z39paged_attention_ll4mi_QKV_mfma16_kernelI14__hip_bfloat16hLN4vllm18Fp8KVCacheDataTypeE1ES0_Li16ELi64ELi256ELb1ELi2EL8MFMAType1EEvPKT_PKT0_S9_ifPKiSB_SB_iPKfiiiPfSE_PS4_PT2_iSD_SD_, .Lfunc_end1403-_Z39paged_attention_ll4mi_QKV_mfma16_kernelI14__hip_bfloat16hLN4vllm18Fp8KVCacheDataTypeE1ES0_Li16ELi64ELi256ELb1ELi2EL8MFMAType1EEvPKT_PKT0_S9_ifPKiSB_SB_iPKfiiiPfSE_PS4_PT2_iSD_SD_
                                        ; -- End function
	.section	.AMDGPU.csdata,"",@progbits
; Kernel info:
; codeLenInByte = 8492
; NumSgprs: 40
; NumVgprs: 125
; ScratchSize: 0
; MemoryBound: 0
; FloatMode: 240
; IeeeMode: 1
; LDSByteSize: 17472 bytes/workgroup (compile time only)
; SGPRBlocks: 4
; VGPRBlocks: 15
; NumSGPRsForWavesPerEU: 40
; NumVGPRsForWavesPerEU: 125
; Occupancy: 10
; WaveLimiterHint : 1
; COMPUTE_PGM_RSRC2:SCRATCH_EN: 0
; COMPUTE_PGM_RSRC2:USER_SGPR: 13
; COMPUTE_PGM_RSRC2:TRAP_HANDLER: 0
; COMPUTE_PGM_RSRC2:TGID_X_EN: 1
; COMPUTE_PGM_RSRC2:TGID_Y_EN: 1
; COMPUTE_PGM_RSRC2:TGID_Z_EN: 1
; COMPUTE_PGM_RSRC2:TIDIG_COMP_CNT: 0
	.section	.text._Z39paged_attention_ll4mi_QKV_mfma16_kernelI14__hip_bfloat16hLN4vllm18Fp8KVCacheDataTypeE1ES0_Li16ELi64ELi256ELb1ELi3EL8MFMAType1EEvPKT_PKT0_S9_ifPKiSB_SB_iPKfiiiPfSE_PS4_PT2_iSD_SD_,"axG",@progbits,_Z39paged_attention_ll4mi_QKV_mfma16_kernelI14__hip_bfloat16hLN4vllm18Fp8KVCacheDataTypeE1ES0_Li16ELi64ELi256ELb1ELi3EL8MFMAType1EEvPKT_PKT0_S9_ifPKiSB_SB_iPKfiiiPfSE_PS4_PT2_iSD_SD_,comdat
	.protected	_Z39paged_attention_ll4mi_QKV_mfma16_kernelI14__hip_bfloat16hLN4vllm18Fp8KVCacheDataTypeE1ES0_Li16ELi64ELi256ELb1ELi3EL8MFMAType1EEvPKT_PKT0_S9_ifPKiSB_SB_iPKfiiiPfSE_PS4_PT2_iSD_SD_ ; -- Begin function _Z39paged_attention_ll4mi_QKV_mfma16_kernelI14__hip_bfloat16hLN4vllm18Fp8KVCacheDataTypeE1ES0_Li16ELi64ELi256ELb1ELi3EL8MFMAType1EEvPKT_PKT0_S9_ifPKiSB_SB_iPKfiiiPfSE_PS4_PT2_iSD_SD_
	.globl	_Z39paged_attention_ll4mi_QKV_mfma16_kernelI14__hip_bfloat16hLN4vllm18Fp8KVCacheDataTypeE1ES0_Li16ELi64ELi256ELb1ELi3EL8MFMAType1EEvPKT_PKT0_S9_ifPKiSB_SB_iPKfiiiPfSE_PS4_PT2_iSD_SD_
	.p2align	8
	.type	_Z39paged_attention_ll4mi_QKV_mfma16_kernelI14__hip_bfloat16hLN4vllm18Fp8KVCacheDataTypeE1ES0_Li16ELi64ELi256ELb1ELi3EL8MFMAType1EEvPKT_PKT0_S9_ifPKiSB_SB_iPKfiiiPfSE_PS4_PT2_iSD_SD_,@function
_Z39paged_attention_ll4mi_QKV_mfma16_kernelI14__hip_bfloat16hLN4vllm18Fp8KVCacheDataTypeE1ES0_Li16ELi64ELi256ELb1ELi3EL8MFMAType1EEvPKT_PKT0_S9_ifPKiSB_SB_iPKfiiiPfSE_PS4_PT2_iSD_SD_: ; @_Z39paged_attention_ll4mi_QKV_mfma16_kernelI14__hip_bfloat16hLN4vllm18Fp8KVCacheDataTypeE1ES0_Li16ELi64ELi256ELb1ELi3EL8MFMAType1EEvPKT_PKT0_S9_ifPKiSB_SB_iPKfiiiPfSE_PS4_PT2_iSD_SD_
; %bb.0:
	s_load_b64 s[2:3], s[0:1], 0x30
	s_mov_b32 s34, s13
	s_waitcnt lgkmcnt(0)
	s_cmp_lg_u64 s[2:3], 0
	s_cselect_b32 s8, -1, 0
	s_ashr_i32 s35, s13, 31
	s_cmp_eq_u64 s[2:3], 0
	s_cbranch_scc1 .LBB1404_3
; %bb.1:
	s_lshl_b64 s[4:5], s[34:35], 2
	s_delay_alu instid0(SALU_CYCLE_1) | instskip(SKIP_4) | instid1(SALU_CYCLE_1)
	s_add_u32 s4, s2, s4
	s_addc_u32 s5, s3, s5
	s_load_b64 s[4:5], s[4:5], 0x0
	s_waitcnt lgkmcnt(0)
	s_sub_i32 s4, s5, s4
	s_cmp_eq_u32 s4, 1
	s_cselect_b32 s4, -1, 0
	s_delay_alu instid0(SALU_CYCLE_1)
	s_and_not1_b32 vcc_lo, exec_lo, s4
	s_cbranch_vccz .LBB1404_4
.LBB1404_2:
	s_nop 0
	s_sendmsg sendmsg(MSG_DEALLOC_VGPRS)
	s_endpgm
.LBB1404_3:
.LBB1404_4:
	s_load_b64 s[4:5], s[0:1], 0x28
	s_lshl_b64 s[6:7], s[34:35], 2
	s_waitcnt lgkmcnt(0)
	s_add_u32 s4, s4, s6
	s_addc_u32 s5, s5, s7
	s_lshl_b32 s12, s14, 8
	s_load_b32 s24, s[4:5], 0x0
	s_waitcnt lgkmcnt(0)
	s_cmp_ge_i32 s12, s24
	s_cbranch_scc1 .LBB1404_2
; %bb.5:
	s_clause 0x1
	s_load_b128 s[20:23], s[0:1], 0x8
	s_load_b64 s[4:5], s[0:1], 0x20
	s_and_not1_b32 vcc_lo, exec_lo, s8
	s_cbranch_vccnz .LBB1404_7
; %bb.6:
	s_add_u32 s2, s2, s6
	s_addc_u32 s3, s3, s7
	s_load_b32 s3, s[2:3], 0x0
	s_branch .LBB1404_8
.LBB1404_7:
	s_mov_b32 s3, s34
.LBB1404_8:
	s_load_b128 s[16:19], s[0:1], 0x48
	v_lshrrev_b32_e32 v66, 5, v0
	v_bfe_u32 v74, v0, 4, 1
	v_and_b32_e32 v65, 15, v0
	v_and_b32_e32 v67, 31, v0
	;; [unrolled: 1-line block ×3, first 2 shown]
	s_mul_i32 s31, s15, 3
	v_lshl_or_b32 v1, v66, 1, v74
	v_lshlrev_b32_e32 v2, 3, v65
	v_cmp_gt_u32_e64 s2, 8, v65
	s_delay_alu instid0(VALU_DEP_3) | instskip(NEXT) | instid1(VALU_DEP_3)
	v_cmp_gt_u32_e32 vcc_lo, 3, v1
	v_lshlrev_b32_e32 v73, 1, v2
	s_delay_alu instid0(VALU_DEP_3) | instskip(NEXT) | instid1(SALU_CYCLE_1)
	s_and_b32 s7, s2, vcc_lo
	s_and_saveexec_b32 s6, s7
	s_cbranch_execz .LBB1404_10
; %bb.9:
	s_load_b64 s[8:9], s[0:1], 0x0
	v_add_lshl_u32 v2, v1, s31, 6
	s_waitcnt lgkmcnt(0)
	s_mul_hi_i32 s11, s3, s16
	s_mul_i32 s10, s3, s16
	v_lshlrev_b32_e32 v6, 10, v65
	s_lshl_b64 s[10:11], s[10:11], 1
	v_ashrrev_i32_e32 v3, 31, v2
	v_lshlrev_b32_e32 v1, 6, v1
	v_lshlrev_b32_e32 v7, 10, v75
	v_and_b32_e32 v6, 0x3800, v6
	s_delay_alu instid0(VALU_DEP_4) | instskip(NEXT) | instid1(VALU_DEP_2)
	v_lshlrev_b64 v[2:3], 1, v[2:3]
	v_or3_b32 v1, v6, v7, v1
	s_add_u32 s3, s8, s10
	s_addc_u32 s7, s9, s11
	s_delay_alu instid0(VALU_DEP_2) | instskip(NEXT) | instid1(VALU_DEP_3)
	v_add_co_u32 v2, vcc_lo, s3, v2
	v_add_co_ci_u32_e32 v3, vcc_lo, s7, v3, vcc_lo
	s_delay_alu instid0(VALU_DEP_2) | instskip(NEXT) | instid1(VALU_DEP_2)
	v_add_co_u32 v2, vcc_lo, v2, v73
	v_add_co_ci_u32_e32 v3, vcc_lo, 0, v3, vcc_lo
	global_load_b128 v[2:5], v[2:3], off
	s_waitcnt vmcnt(0)
	ds_store_b128 v1, v[2:5]
.LBB1404_10:
	s_or_b32 exec_lo, exec_lo, s6
	v_and_b32_e32 v1, 0xef, v0
	s_waitcnt lgkmcnt(0)
	s_add_i32 s3, s24, 15
	s_clause 0x1
	s_load_b32 s6, s[0:1], 0x38
	s_load_b32 s19, s[0:1], 0x1c
	s_ashr_i32 s7, s3, 31
	v_add_nc_u32_e32 v1, s12, v1
	s_lshr_b32 s7, s7, 28
	s_waitcnt lgkmcnt(0)
	s_add_i32 s3, s3, s7
	s_barrier
	v_ashrrev_i32_e32 v2, 31, v1
	v_or_b32_e32 v3, 16, v1
	s_ashr_i32 s3, s3, 4
	v_cmp_gt_i32_e32 vcc_lo, s24, v1
	s_add_i32 s3, s3, -1
	v_lshrrev_b32_e32 v2, 28, v2
	buffer_gl0_inv
	s_mul_i32 s27, s15, s18
	v_add_nc_u32_e32 v4, v1, v2
	s_mul_i32 s6, s34, s6
	s_delay_alu instid0(SALU_CYCLE_1) | instskip(NEXT) | instid1(VALU_DEP_1)
	s_ashr_i32 s7, s6, 31
	v_ashrrev_i32_e32 v4, 4, v4
	v_add_nc_u32_e32 v2, v3, v2
	s_lshl_b64 s[6:7], s[6:7], 2
	s_delay_alu instid0(SALU_CYCLE_1) | instskip(NEXT) | instid1(VALU_DEP_2)
	s_add_u32 s26, s4, s6
	v_cndmask_b32_e32 v1, s3, v4, vcc_lo
	s_delay_alu instid0(VALU_DEP_2)
	v_ashrrev_i32_e32 v2, 4, v2
	v_cmp_gt_i32_e32 vcc_lo, s24, v3
	s_addc_u32 s25, s5, s7
	s_ashr_i32 s28, s27, 31
	s_add_u32 s13, s20, s27
	s_addc_u32 s15, s21, s28
	v_cndmask_b32_e32 v3, s3, v2, vcc_lo
	v_ashrrev_i32_e32 v2, 31, v1
	s_lshl_b32 s4, s14, 4
	s_delay_alu instid0(SALU_CYCLE_1) | instskip(NEXT) | instid1(VALU_DEP_2)
	s_ashr_i32 s5, s4, 31
	v_ashrrev_i32_e32 v4, 31, v3
	s_delay_alu instid0(VALU_DEP_2) | instskip(SKIP_1) | instid1(SALU_CYCLE_1)
	v_lshlrev_b64 v[1:2], 2, v[1:2]
	s_lshl_b64 s[4:5], s[4:5], 2
	s_add_u32 s4, s26, s4
	s_delay_alu instid0(VALU_DEP_2) | instskip(SKIP_1) | instid1(VALU_DEP_2)
	v_lshlrev_b64 v[3:4], 2, v[3:4]
	s_addc_u32 s5, s25, s5
	v_add_co_u32 v1, vcc_lo, s26, v1
	v_add_co_ci_u32_e32 v2, vcc_lo, s25, v2, vcc_lo
	s_delay_alu instid0(VALU_DEP_3) | instskip(NEXT) | instid1(VALU_DEP_4)
	v_add_co_u32 v3, vcc_lo, s26, v3
	v_add_co_ci_u32_e32 v4, vcc_lo, s25, v4, vcc_lo
	s_clause 0x1
	global_load_b32 v5, v[1:2], off
	global_load_b32 v7, v[3:4], off
	s_or_b32 s6, s12, 32
	v_lshlrev_b32_e32 v1, 4, v0
	s_ashr_i32 s7, s6, 4
	s_cmp_lt_i32 s6, s24
	s_cselect_b32 s6, s7, s3
	s_delay_alu instid0(VALU_DEP_1) | instskip(SKIP_1) | instid1(SALU_CYCLE_1)
	v_and_b32_e32 v1, 0xf0, v1
	s_ashr_i32 s7, s6, 31
	s_lshl_b64 s[6:7], s[6:7], 2
	s_delay_alu instid0(SALU_CYCLE_1)
	s_add_u32 s6, s26, s6
	s_addc_u32 s7, s25, s7
	s_or_b32 s8, s12, 64
	v_add_co_u32 v1, s13, s13, v1
	s_ashr_i32 s9, s8, 4
	s_cmp_lt_i32 s8, s24
	v_add_co_ci_u32_e64 v2, null, s15, 0, s13
	s_cselect_b32 s8, s9, s3
	s_delay_alu instid0(SALU_CYCLE_1) | instskip(NEXT) | instid1(SALU_CYCLE_1)
	s_ashr_i32 s9, s8, 31
	s_lshl_b64 s[8:9], s[8:9], 2
	s_delay_alu instid0(SALU_CYCLE_1) | instskip(SKIP_2) | instid1(SALU_CYCLE_1)
	s_add_u32 s8, s26, s8
	s_addc_u32 s9, s25, s9
	s_or_b32 s10, s12, 0x60
	s_ashr_i32 s11, s10, 4
	s_cmp_lt_i32 s10, s24
	s_cselect_b32 s10, s11, s3
	s_delay_alu instid0(SALU_CYCLE_1) | instskip(NEXT) | instid1(SALU_CYCLE_1)
	s_ashr_i32 s11, s10, 31
	s_lshl_b64 s[10:11], s[10:11], 2
	s_delay_alu instid0(SALU_CYCLE_1) | instskip(SKIP_2) | instid1(SALU_CYCLE_1)
	s_add_u32 s10, s26, s10
	s_addc_u32 s11, s25, s11
	s_or_b32 s16, s12, 0x80
	s_ashr_i32 s18, s16, 4
	s_cmp_lt_i32 s16, s24
	;; [unrolled: 10-line block ×3, first 2 shown]
	s_cselect_b32 s20, s18, s3
	s_delay_alu instid0(SALU_CYCLE_1) | instskip(NEXT) | instid1(SALU_CYCLE_1)
	s_ashr_i32 s21, s20, 31
	s_lshl_b64 s[20:21], s[20:21], 2
	s_delay_alu instid0(SALU_CYCLE_1)
	s_add_u32 s38, s26, s20
	s_addc_u32 s39, s25, s21
	s_clause 0x5
	s_load_b32 s21, s[4:5], 0x0
	s_load_b32 s13, s[6:7], 0x0
	;; [unrolled: 1-line block ×6, first 2 shown]
	s_or_b32 s9, s12, 0xc0
	s_mov_b32 s4, 0
	s_ashr_i32 s10, s9, 4
	s_cmp_lt_i32 s9, s24
	s_mov_b32 s11, s4
	s_cselect_b32 s36, s10, s3
	s_mov_b32 s5, s4
	s_ashr_i32 s37, s36, 31
	s_mov_b32 s6, s4
	s_lshl_b64 s[36:37], s[36:37], 2
	s_mov_b32 s7, s4
	s_add_u32 s36, s26, s36
	s_addc_u32 s37, s25, s37
	s_or_b32 s29, s12, 0xe0
	s_mov_b32 s8, s4
	s_ashr_i32 s30, s29, 4
	s_mov_b32 s9, s4
	s_mov_b32 s10, s4
	s_cmp_lt_i32 s29, s24
	v_dual_mov_b32 v107, s11 :: v_dual_mov_b32 v100, s4
	v_mov_b32_e32 v106, s10
	v_dual_mov_b32 v104, s8 :: v_dual_mov_b32 v103, s7
	v_dual_mov_b32 v102, s6 :: v_dual_mov_b32 v101, s5
	s_waitcnt vmcnt(1)
	v_mad_i64_i32 v[3:4], null, v5, s17, v[1:2]
	s_waitcnt vmcnt(0)
	v_mad_i64_i32 v[5:6], null, v7, s17, v[1:2]
	v_mul_lo_u16 v1, 0x56, v65
	v_lshlrev_b32_e32 v2, 4, v65
	s_clause 0x7
	global_load_b128 v[49:52], v[3:4], off
	global_load_b128 v[53:56], v[3:4], off offset:256
	global_load_b128 v[76:79], v[5:6], off
	global_load_b128 v[80:83], v[5:6], off offset:256
	global_load_b128 v[84:87], v[3:4], off offset:512
	;; [unrolled: 1-line block ×5, first 2 shown]
	v_lshrrev_b16 v1, 8, v1
	v_lshl_or_b32 v2, v66, 8, v2
	s_delay_alu instid0(VALU_DEP_2) | instskip(NEXT) | instid1(VALU_DEP_1)
	v_mul_lo_u16 v1, v1, 3
	v_sub_nc_u16 v1, v65, v1
	s_delay_alu instid0(VALU_DEP_1)
	v_and_b32_e32 v1, 0xff, v1
	v_mov_b32_e32 v105, s9
	s_cselect_b32 s4, s30, s3
	s_load_b32 s3, s[36:37], 0x0
	s_ashr_i32 s5, s4, 31
	v_lshlrev_b32_e32 v70, 6, v1
	s_lshl_b64 s[4:5], s[4:5], 2
	ds_load_b128 v[108:111], v70
	ds_load_b128 v[112:115], v70 offset:1024
	s_add_u32 s4, s26, s4
	s_addc_u32 s5, s25, s5
	s_add_u32 s6, s22, s27
	s_load_b32 s4, s[4:5], 0x0
	s_addc_u32 s7, s23, s28
	v_add_co_u32 v9, s6, s6, v2
	s_delay_alu instid0(VALU_DEP_1) | instskip(SKIP_1) | instid1(VALU_DEP_1)
	v_add_co_ci_u32_e64 v10, null, s7, 0, s6
	s_waitcnt lgkmcnt(0)
	v_mad_i64_i32 v[1:2], null, s21, s17, v[9:10]
	v_mad_i64_i32 v[3:4], null, s13, s17, v[9:10]
	;; [unrolled: 1-line block ×7, first 2 shown]
	s_clause 0x9
	global_load_b128 v[57:60], v[1:2], off
	global_load_b128 v[61:64], v[1:2], off offset:16
	global_load_b128 v[41:44], v[3:4], off
	global_load_b128 v[45:48], v[3:4], off offset:16
	;; [unrolled: 2-line block ×5, first 2 shown]
	v_mad_i64_i32 v[68:69], null, s4, s17, v[9:10]
	s_clause 0x3
	global_load_b128 v[9:12], v[13:14], off
	global_load_b128 v[13:16], v[13:14], off offset:16
	global_load_b128 v[17:20], v[21:22], off
	global_load_b128 v[21:24], v[21:22], off offset:16
	s_waitcnt vmcnt(20)
	v_wmma_f32_16x16x16_bf16 v[116:123], v[49:56], v[108:115], v[100:107]
	s_clause 0x1
	global_load_b128 v[49:52], v[68:69], off
	global_load_b128 v[53:56], v[68:69], off offset:16
	v_and_b32_e32 v68, 0xe0, v0
	v_mbcnt_lo_u32_b32 v69, -1, 0
	s_delay_alu instid0(VALU_DEP_2)
	v_add_nc_u32_e32 v68, s12, v68
	s_waitcnt vmcnt(20)
	v_wmma_f32_16x16x16_bf16 v[100:107], v[76:83], v[108:115], v[100:107]
	ds_load_b128 v[76:79], v70 offset:2048
	ds_load_b128 v[80:83], v70 offset:3072
	v_xor_b32_e32 v70, 16, v69
	s_waitcnt vmcnt(0) lgkmcnt(0)
	v_or_b32_e32 v68, v68, v74
	s_barrier
	buffer_gl0_inv
	v_cmp_gt_i32_e32 vcc_lo, 32, v70
	v_or_b32_e32 v71, 4, v68
	v_or_b32_e32 v72, 6, v68
	v_cmp_gt_i32_e64 s3, s24, v68
	v_or_b32_e32 v108, 8, v68
	v_or_b32_e32 v109, 10, v68
	v_cmp_gt_i32_e64 s4, s24, v71
	v_cmp_gt_i32_e64 s5, s24, v72
	s_delay_alu instid0(VALU_DEP_4) | instskip(NEXT) | instid1(VALU_DEP_4)
	v_cmp_gt_i32_e64 s6, s24, v108
	v_cmp_gt_i32_e64 s7, s24, v109
	v_wmma_f32_16x16x16_bf16 v[116:123], v[84:91], v[76:83], v[116:123]
	v_cndmask_b32_e32 v69, v69, v70, vcc_lo
	v_or_b32_e32 v70, 2, v68
	v_wmma_f32_16x16x16_bf16 v[100:107], v[92:99], v[76:83], v[100:107]
	v_or_b32_e32 v89, 22, v68
	v_dual_mul_f32 v80, s19, v121 :: v_dual_mul_f32 v81, s19, v120
	v_dual_mul_f32 v92, s19, v117 :: v_dual_mul_f32 v93, s19, v116
	s_delay_alu instid0(VALU_DEP_4)
	v_mul_f32_e32 v96, s19, v105
	v_cmp_gt_i32_e32 vcc_lo, s24, v70
	v_dual_mul_f32 v79, s19, v122 :: v_dual_mul_f32 v82, s19, v119
	v_dual_mul_f32 v83, s19, v118 :: v_dual_mul_f32 v94, s19, v107
	v_cndmask_b32_e64 v93, 0xff7fffff, v93, s3
	v_cndmask_b32_e32 v92, 0xff7fffff, v92, vcc_lo
	v_or_b32_e32 v84, 12, v68
	v_or_b32_e32 v85, 14, v68
	v_cndmask_b32_e64 v71, 0xff7fffff, v83, s4
	v_cndmask_b32_e64 v72, 0xff7fffff, v82, s5
	v_cmp_gt_i32_e64 s13, s24, v89
	v_lshlrev_b32_e32 v89, 2, v69
	v_max3_f32 v82, v93, 0xff7fffff, v92
	v_or_b32_e32 v86, 16, v68
	v_or_b32_e32 v87, 18, v68
	v_mul_f32_e32 v78, s19, v123
	v_cndmask_b32_e64 v81, 0xff7fffff, v81, s6
	v_cndmask_b32_e64 v80, 0xff7fffff, v80, s7
	v_max3_f32 v71, v82, v71, v72
	v_cmp_gt_i32_e64 s8, s24, v84
	v_cmp_gt_i32_e64 s9, s24, v85
	v_or_b32_e32 v88, 20, v68
	v_or_b32_e32 v90, 24, v68
	;; [unrolled: 1-line block ×5, first 2 shown]
	v_dual_mul_f32 v97, s19, v104 :: v_dual_mul_f32 v70, s19, v101
	v_dual_mul_f32 v99, s19, v102 :: v_dual_mul_f32 v68, s19, v100
	v_cndmask_b32_e64 v72, 0xff7fffff, v79, s8
	v_cndmask_b32_e64 v78, 0xff7fffff, v78, s9
	v_max3_f32 v71, v71, v81, v80
	v_cmp_gt_i32_e64 s10, s24, v86
	v_cmp_gt_i32_e64 s11, s24, v87
	v_dual_mul_f32 v95, s19, v106 :: v_dual_mul_f32 v98, s19, v103
	s_delay_alu instid0(VALU_DEP_4) | instskip(NEXT) | instid1(VALU_DEP_4)
	v_max3_f32 v71, v71, v72, v78
	v_cndmask_b32_e64 v68, 0xff7fffff, v68, s10
	s_delay_alu instid0(VALU_DEP_4)
	v_cndmask_b32_e64 v70, 0xff7fffff, v70, s11
	v_cmp_gt_i32_e64 s12, s24, v88
	v_cndmask_b32_e64 v78, 0xff7fffff, v98, s13
	v_cmp_gt_i32_e64 s15, s24, v90
	v_cmp_gt_i32_e64 s16, s24, v91
	v_max3_f32 v68, v71, v68, v70
	v_cndmask_b32_e64 v72, 0xff7fffff, v99, s12
	v_cmp_gt_i32_e64 s17, s24, v76
	v_cndmask_b32_e64 v70, 0xff7fffff, v97, s15
	v_cndmask_b32_e64 v71, 0xff7fffff, v96, s16
	v_cmp_gt_i32_e64 s18, s24, v77
	v_max3_f32 v68, v68, v72, v78
	v_cndmask_b32_e64 v72, 0xff7fffff, v95, s17
	s_delay_alu instid0(VALU_DEP_3) | instskip(NEXT) | instid1(VALU_DEP_3)
	v_cndmask_b32_e64 v76, 0xff7fffff, v94, s18
	v_max3_f32 v68, v68, v70, v71
	s_delay_alu instid0(VALU_DEP_1) | instskip(SKIP_3) | instid1(VALU_DEP_1)
	v_max3_f32 v68, v68, v72, v76
	ds_bpermute_b32 v69, v89, v68
	s_waitcnt lgkmcnt(0)
	v_max_f32_e32 v69, v69, v69
	v_max_f32_e32 v68, v68, v69
	s_delay_alu instid0(VALU_DEP_1) | instskip(NEXT) | instid1(VALU_DEP_1)
	v_fma_f32 v71, s19, v118, -v68
	v_mul_f32_e32 v71, 0x3fb8aa3b, v71
	v_fma_f32 v70, s19, v117, -v68
	v_fma_f32 v69, s19, v116, -v68
	;; [unrolled: 1-line block ×5, first 2 shown]
	s_delay_alu instid0(VALU_DEP_4) | instskip(SKIP_1) | instid1(VALU_DEP_3)
	v_dual_mul_f32 v70, 0x3fb8aa3b, v70 :: v_dual_mul_f32 v69, 0x3fb8aa3b, v69
	v_exp_f32_e32 v71, v71
	v_mul_f32_e32 v72, 0x3fb8aa3b, v72
	v_fma_f32 v81, s19, v105, -v68
	s_delay_alu instid0(VALU_DEP_3)
	v_exp_f32_e32 v70, v70
	v_mul_f32_e32 v77, 0x3fb8aa3b, v76
	v_exp_f32_e32 v69, v69
	v_exp_f32_e32 v72, v72
	v_mul_f32_e32 v81, 0x3fb8aa3b, v81
	v_cndmask_b32_e64 v83, 0, v71, s4
	v_fma_f32 v71, s19, v123, -v68
	s_delay_alu instid0(VALU_DEP_3) | instskip(SKIP_4) | instid1(TRANS32_DEP_3)
	v_exp_f32_e32 v81, v81
	v_cndmask_b32_e32 v76, 0, v70, vcc_lo
	v_exp_f32_e32 v77, v77
	v_cndmask_b32_e64 v80, 0, v69, s3
	v_fma_f32 v69, s19, v121, -v68
	v_cndmask_b32_e64 v85, 0, v72, s5
	v_mul_f32_e32 v71, 0x3fb8aa3b, v71
	v_fma_f32 v72, s19, v100, -v68
	s_delay_alu instid0(VALU_DEP_4) | instskip(SKIP_1) | instid1(VALU_DEP_4)
	v_dual_add_f32 v70, 0, v80 :: v_dual_mul_f32 v69, 0x3fb8aa3b, v69
	v_cmp_gt_u32_e64 s3, 16, v67
	v_exp_f32_e32 v71, v71
	s_delay_alu instid0(TRANS32_DEP_2) | instskip(SKIP_4) | instid1(VALU_DEP_3)
	v_cndmask_b32_e64 v86, 0, v77, s6
	v_fma_f32 v77, s19, v101, -v68
	v_mul_f32_e32 v78, 0x3fb8aa3b, v78
	v_add_f32_e32 v70, v70, v76
	v_exp_f32_e32 v69, v69
	v_mul_f32_e32 v77, 0x3fb8aa3b, v77
	s_delay_alu instid0(VALU_DEP_3) | instskip(NEXT) | instid1(TRANS32_DEP_3)
	v_exp_f32_e32 v78, v78
	v_cndmask_b32_e64 v88, 0, v71, s9
	v_fma_f32 v71, s19, v104, -v68
	s_delay_alu instid0(VALU_DEP_3) | instskip(NEXT) | instid1(TRANS32_DEP_3)
	v_exp_f32_e32 v77, v77
	v_cndmask_b32_e64 v87, 0, v69, s7
	s_delay_alu instid0(VALU_DEP_2)
	v_mul_f32_e32 v71, 0x3fb8aa3b, v71
	s_waitcnt_depctr 0xfff
	v_cndmask_b32_e64 v84, 0, v78, s8
	v_add_f32_e32 v70, v70, v83
	v_fma_f32 v78, s19, v103, -v68
	v_exp_f32_e32 v82, v71
	s_delay_alu instid0(VALU_DEP_2) | instskip(SKIP_1) | instid1(VALU_DEP_3)
	v_add_f32_e32 v70, v70, v85
	v_mul_f32_e32 v72, 0x3fb8aa3b, v72
	v_mul_f32_e32 v78, 0x3fb8aa3b, v78
	s_delay_alu instid0(VALU_DEP_3) | instskip(SKIP_1) | instid1(VALU_DEP_4)
	v_add_f32_e32 v69, v70, v86
	v_fma_f32 v70, s19, v102, -v68
	v_exp_f32_e32 v72, v72
	s_delay_alu instid0(VALU_DEP_3) | instskip(NEXT) | instid1(VALU_DEP_1)
	v_exp_f32_e32 v78, v78
	v_dual_add_f32 v69, v69, v87 :: v_dual_mul_f32 v70, 0x3fb8aa3b, v70
	s_delay_alu instid0(VALU_DEP_1) | instskip(NEXT) | instid1(VALU_DEP_2)
	v_add_f32_e32 v69, v69, v84
	v_exp_f32_e32 v79, v70
	s_delay_alu instid0(TRANS32_DEP_3) | instskip(NEXT) | instid1(VALU_DEP_2)
	v_cndmask_b32_e64 v70, 0, v72, s10
	v_add_f32_e32 v72, v69, v88
	v_cndmask_b32_e64 v69, 0, v77, s11
	v_fma_f32 v77, s19, v106, -v68
	s_waitcnt_depctr 0xfff
	v_cndmask_b32_e64 v71, 0, v79, s12
	v_dual_mul_f32 v77, 0x3fb8aa3b, v77 :: v_dual_add_f32 v72, v72, v70
	s_delay_alu instid0(VALU_DEP_1) | instskip(NEXT) | instid1(VALU_DEP_1)
	v_exp_f32_e32 v90, v77
	v_add_f32_e32 v79, v72, v69
	v_cndmask_b32_e64 v72, 0, v78, s13
	v_cndmask_b32_e64 v77, 0, v82, s15
	s_delay_alu instid0(VALU_DEP_3) | instskip(SKIP_1) | instid1(VALU_DEP_1)
	v_add_f32_e32 v78, v79, v71
	v_fma_f32 v79, s19, v107, -v68
	v_dual_add_f32 v82, v78, v72 :: v_dual_mul_f32 v79, 0x3fb8aa3b, v79
	v_cndmask_b32_e64 v78, 0, v81, s16
	s_delay_alu instid0(VALU_DEP_2) | instskip(NEXT) | instid1(VALU_DEP_3)
	v_add_f32_e32 v81, v82, v77
	v_exp_f32_e32 v82, v79
	v_cndmask_b32_e64 v79, 0, v90, s17
	s_delay_alu instid0(VALU_DEP_2) | instskip(NEXT) | instid1(VALU_DEP_1)
	v_add_f32_e32 v81, v81, v78
	v_add_f32_e32 v90, v81, v79
	s_waitcnt_depctr 0xfff
	v_cndmask_b32_e64 v81, 0, v82, s18
	s_delay_alu instid0(VALU_DEP_1)
	v_add_f32_e32 v82, v90, v81
	ds_bpermute_b32 v89, v89, v82
	s_and_saveexec_b32 s4, s3
	s_cbranch_execz .LBB1404_12
; %bb.11:
	v_mul_u32_u24_e32 v67, 0x44, v66
	s_delay_alu instid0(VALU_DEP_1) | instskip(SKIP_1) | instid1(VALU_DEP_1)
	v_lshl_add_u32 v67, v65, 2, v67
	s_waitcnt lgkmcnt(0)
	v_dual_add_f32 v82, v82, v89 :: v_dual_add_nc_u32 v67, 0x4000, v67
	ds_store_2addr_b32 v67, v68, v82 offset1:136
.LBB1404_12:
	s_or_b32 exec_lo, exec_lo, s4
	v_lshlrev_b32_e32 v67, 2, v65
	s_waitcnt lgkmcnt(0)
	s_barrier
	buffer_gl0_inv
	v_cmp_eq_u32_e32 vcc_lo, 1, v66
	v_add_nc_u32_e32 v82, 0x4000, v67
	v_cmp_eq_u32_e64 s4, 2, v66
	v_cmp_eq_u32_e64 s6, 7, v66
	ds_load_2addr_b32 v[89:90], v82 offset1:17
	ds_load_2addr_b32 v[91:92], v82 offset0:34 offset1:51
	ds_load_2addr_b32 v[93:94], v82 offset0:68 offset1:85
	ds_load_2addr_b32 v[95:96], v82 offset0:102 offset1:119
	ds_load_2addr_b32 v[97:98], v82 offset0:136 offset1:153
	s_waitcnt lgkmcnt(4)
	v_max3_f32 v67, v89, 0xff7fffff, v90
	s_waitcnt lgkmcnt(3)
	s_delay_alu instid0(VALU_DEP_1) | instskip(SKIP_1) | instid1(VALU_DEP_1)
	v_max3_f32 v67, v67, v91, v92
	s_waitcnt lgkmcnt(2)
	v_max3_f32 v67, v67, v93, v94
	s_waitcnt lgkmcnt(1)
	s_delay_alu instid0(VALU_DEP_1) | instskip(NEXT) | instid1(VALU_DEP_1)
	v_max3_f32 v67, v67, v95, v96
	v_sub_f32_e32 v93, v93, v67
	s_delay_alu instid0(VALU_DEP_1) | instskip(NEXT) | instid1(VALU_DEP_1)
	v_dual_sub_f32 v68, v89, v67 :: v_dual_mul_f32 v103, 0x3fb8aa3b, v93
	v_mul_f32_e32 v68, 0x3fb8aa3b, v68
	s_delay_alu instid0(VALU_DEP_1)
	v_exp_f32_e32 v100, v68
	v_sub_f32_e32 v68, v92, v67
	v_sub_f32_e32 v99, v90, v67
	ds_load_2addr_b32 v[89:90], v82 offset0:170 offset1:187
	v_dual_mul_f32 v102, 0x3fb8aa3b, v68 :: v_dual_mul_f32 v99, 0x3fb8aa3b, v99
	s_waitcnt lgkmcnt(1)
	v_fma_f32 v68, v100, v97, 0
	s_delay_alu instid0(VALU_DEP_2) | instskip(NEXT) | instid1(VALU_DEP_2)
	v_exp_f32_e32 v102, v102
	v_exp_f32_e32 v99, v99
	s_waitcnt_depctr 0xfff
	v_fmac_f32_e32 v68, v99, v98
	v_sub_f32_e32 v91, v91, v67
	s_delay_alu instid0(VALU_DEP_1)
	v_mul_f32_e32 v101, 0x3fb8aa3b, v91
	ds_load_2addr_b32 v[91:92], v82 offset0:204 offset1:221
	v_sub_f32_e32 v97, v94, v67
	ds_load_2addr_b32 v[93:94], v82 offset0:238 offset1:255
	s_waitcnt lgkmcnt(0)
	v_exp_f32_e32 v101, v101
	s_barrier
	buffer_gl0_inv
	v_dual_fmac_f32 v68, v101, v89 :: v_dual_sub_f32 v89, v96, v67
	v_dual_sub_f32 v82, v95, v67 :: v_dual_mul_f32 v95, 0x3fb8aa3b, v97
	v_exp_f32_e32 v97, v103
	s_delay_alu instid0(VALU_DEP_2) | instskip(NEXT) | instid1(VALU_DEP_2)
	v_dual_fmac_f32 v68, v102, v90 :: v_dual_mul_f32 v89, 0x3fb8aa3b, v89
	v_mul_f32_e32 v82, 0x3fb8aa3b, v82
	s_delay_alu instid0(VALU_DEP_3) | instskip(NEXT) | instid1(VALU_DEP_2)
	v_exp_f32_e32 v95, v95
	v_exp_f32_e32 v89, v89
	s_delay_alu instid0(VALU_DEP_1)
	v_exp_f32_e32 v82, v82
	v_fmac_f32_e32 v68, v97, v91
	s_delay_alu instid0(TRANS32_DEP_3) | instid1(VALU_DEP_1)
	v_fmac_f32_e32 v68, v95, v92
	s_waitcnt_depctr 0xfff
	v_fmac_f32_e32 v68, v82, v93
	s_delay_alu instid0(VALU_DEP_1) | instskip(NEXT) | instid1(VALU_DEP_1)
	v_fmac_f32_e32 v68, v89, v94
	v_add_f32_e32 v90, 0x358637bd, v68
	s_delay_alu instid0(VALU_DEP_1) | instskip(NEXT) | instid1(VALU_DEP_1)
	v_div_scale_f32 v91, null, v90, v90, 1.0
	v_rcp_f32_e32 v92, v91
	s_waitcnt_depctr 0xfff
	v_fma_f32 v93, -v91, v92, 1.0
	s_delay_alu instid0(VALU_DEP_1) | instskip(SKIP_1) | instid1(VALU_DEP_2)
	v_dual_fmac_f32 v92, v93, v92 :: v_dual_cndmask_b32 v93, v100, v99
	v_cmp_eq_u32_e32 vcc_lo, 3, v66
	v_cndmask_b32_e64 v93, v93, v101, s4
	v_cmp_eq_u32_e64 s4, 4, v66
	s_delay_alu instid0(VALU_DEP_2) | instskip(SKIP_1) | instid1(VALU_DEP_2)
	v_cndmask_b32_e32 v93, v93, v102, vcc_lo
	v_cmp_eq_u32_e32 vcc_lo, 5, v66
	v_cndmask_b32_e64 v93, v93, v97, s4
	v_cmp_eq_u32_e64 s4, 6, v66
	s_delay_alu instid0(VALU_DEP_2) | instskip(SKIP_1) | instid1(VALU_DEP_1)
	v_cndmask_b32_e32 v93, v93, v95, vcc_lo
	v_div_scale_f32 v94, s5, 1.0, v90, 1.0
	s_mov_b32 vcc_lo, s5
	s_delay_alu instid0(VALU_DEP_2) | instskip(NEXT) | instid1(VALU_DEP_2)
	v_cndmask_b32_e64 v82, v93, v82, s4
	v_mul_f32_e32 v96, v94, v92
	s_mov_b32 s4, exec_lo
	s_delay_alu instid0(VALU_DEP_2) | instskip(NEXT) | instid1(VALU_DEP_2)
	v_cndmask_b32_e64 v82, v82, v89, s6
	v_fma_f32 v98, -v91, v96, v94
	s_delay_alu instid0(VALU_DEP_1) | instskip(NEXT) | instid1(VALU_DEP_1)
	v_fmac_f32_e32 v96, v98, v92
	v_fma_f32 v91, -v91, v96, v94
	s_delay_alu instid0(VALU_DEP_1) | instskip(NEXT) | instid1(VALU_DEP_1)
	v_div_fmas_f32 v91, v91, v92, v96
	v_div_fixup_f32 v90, v91, v90, 1.0
	s_delay_alu instid0(VALU_DEP_1) | instskip(NEXT) | instid1(VALU_DEP_1)
	v_mul_f32_e32 v82, v82, v90
	v_mul_f32_e32 v87, v82, v87
	;; [unrolled: 1-line block ×7, first 2 shown]
	v_dual_mul_f32 v86, v82, v83 :: v_dual_and_b32 v91, 0x7f800000, v90
	v_mul_f32_e32 v85, v82, v76
                                        ; implicit-def: $vgpr76
	s_delay_alu instid0(VALU_DEP_2)
	v_cmpx_ne_u32_e32 0x7f800000, v91
	s_xor_b32 s4, exec_lo, s4
; %bb.13:
	v_bfe_u32 v76, v90, 16, 1
	s_delay_alu instid0(VALU_DEP_1)
	v_add3_u32 v76, v90, v76, 0x7fff
                                        ; implicit-def: $vgpr90
; %bb.14:
	s_and_not1_saveexec_b32 s4, s4
; %bb.15:
	v_and_b32_e32 v76, 0xffff, v90
	v_or_b32_e32 v83, 0x10000, v90
	s_delay_alu instid0(VALU_DEP_2) | instskip(NEXT) | instid1(VALU_DEP_2)
	v_cmp_eq_u32_e32 vcc_lo, 0, v76
	v_cndmask_b32_e32 v76, v83, v90, vcc_lo
; %bb.16:
	s_or_b32 exec_lo, exec_lo, s4
	v_and_b32_e32 v83, 0x7f800000, v85
	s_delay_alu instid0(VALU_DEP_1) | instskip(SKIP_1) | instid1(SALU_CYCLE_1)
	v_cmp_ne_u32_e32 vcc_lo, 0x7f800000, v83
                                        ; implicit-def: $vgpr83
	s_and_saveexec_b32 s4, vcc_lo
	s_xor_b32 s4, exec_lo, s4
; %bb.17:
	v_bfe_u32 v83, v85, 16, 1
	s_delay_alu instid0(VALU_DEP_1)
	v_add3_u32 v83, v85, v83, 0x7fff
                                        ; implicit-def: $vgpr85
; %bb.18:
	s_and_not1_saveexec_b32 s4, s4
; %bb.19:
	v_and_b32_e32 v83, 0xffff, v85
	v_or_b32_e32 v90, 0x10000, v85
	s_delay_alu instid0(VALU_DEP_2) | instskip(NEXT) | instid1(VALU_DEP_2)
	v_cmp_eq_u32_e32 vcc_lo, 0, v83
	v_cndmask_b32_e32 v83, v90, v85, vcc_lo
; %bb.20:
	s_or_b32 exec_lo, exec_lo, s4
	v_and_b32_e32 v85, 0x7f800000, v86
	s_delay_alu instid0(VALU_DEP_1) | instskip(SKIP_1) | instid1(SALU_CYCLE_1)
	v_cmp_ne_u32_e32 vcc_lo, 0x7f800000, v85
                                        ; implicit-def: $vgpr85
	s_and_saveexec_b32 s4, vcc_lo
	s_xor_b32 s4, exec_lo, s4
; %bb.21:
	v_bfe_u32 v85, v86, 16, 1
	s_delay_alu instid0(VALU_DEP_1)
	v_add3_u32 v85, v86, v85, 0x7fff
                                        ; implicit-def: $vgpr86
; %bb.22:
	s_and_not1_saveexec_b32 s4, s4
; %bb.23:
	v_and_b32_e32 v85, 0xffff, v86
	v_or_b32_e32 v90, 0x10000, v86
	s_delay_alu instid0(VALU_DEP_2) | instskip(NEXT) | instid1(VALU_DEP_2)
	v_cmp_eq_u32_e32 vcc_lo, 0, v85
	v_cndmask_b32_e32 v85, v90, v86, vcc_lo
; %bb.24:
	s_or_b32 exec_lo, exec_lo, s4
	v_and_b32_e32 v86, 0x7f800000, v89
	s_delay_alu instid0(VALU_DEP_1) | instskip(SKIP_1) | instid1(SALU_CYCLE_1)
	v_cmp_ne_u32_e32 vcc_lo, 0x7f800000, v86
                                        ; implicit-def: $vgpr86
	s_and_saveexec_b32 s4, vcc_lo
	s_xor_b32 s4, exec_lo, s4
; %bb.25:
	v_bfe_u32 v86, v89, 16, 1
	s_delay_alu instid0(VALU_DEP_1)
	v_add3_u32 v86, v89, v86, 0x7fff
                                        ; implicit-def: $vgpr89
; %bb.26:
	s_and_not1_saveexec_b32 s4, s4
; %bb.27:
	v_and_b32_e32 v86, 0xffff, v89
	v_or_b32_e32 v90, 0x10000, v89
	s_delay_alu instid0(VALU_DEP_2) | instskip(NEXT) | instid1(VALU_DEP_2)
	v_cmp_eq_u32_e32 vcc_lo, 0, v86
	v_cndmask_b32_e32 v86, v90, v89, vcc_lo
; %bb.28:
	s_or_b32 exec_lo, exec_lo, s4
	v_and_b32_e32 v89, 0x7f800000, v88
	s_delay_alu instid0(VALU_DEP_1) | instskip(SKIP_1) | instid1(SALU_CYCLE_1)
	v_cmp_ne_u32_e32 vcc_lo, 0x7f800000, v89
                                        ; implicit-def: $vgpr89
	s_and_saveexec_b32 s4, vcc_lo
	s_xor_b32 s4, exec_lo, s4
; %bb.29:
	v_bfe_u32 v89, v88, 16, 1
	s_delay_alu instid0(VALU_DEP_1)
	v_add3_u32 v89, v88, v89, 0x7fff
                                        ; implicit-def: $vgpr88
; %bb.30:
	s_and_not1_saveexec_b32 s4, s4
; %bb.31:
	v_and_b32_e32 v89, 0xffff, v88
	v_or_b32_e32 v90, 0x10000, v88
	s_delay_alu instid0(VALU_DEP_2) | instskip(NEXT) | instid1(VALU_DEP_2)
	v_cmp_eq_u32_e32 vcc_lo, 0, v89
	v_cndmask_b32_e32 v89, v90, v88, vcc_lo
; %bb.32:
	s_or_b32 exec_lo, exec_lo, s4
	v_and_b32_e32 v88, 0x7f800000, v87
	s_delay_alu instid0(VALU_DEP_1) | instskip(SKIP_1) | instid1(SALU_CYCLE_1)
	v_cmp_ne_u32_e32 vcc_lo, 0x7f800000, v88
                                        ; implicit-def: $vgpr88
	s_and_saveexec_b32 s4, vcc_lo
	s_xor_b32 s4, exec_lo, s4
; %bb.33:
	v_bfe_u32 v88, v87, 16, 1
	s_delay_alu instid0(VALU_DEP_1)
	v_add3_u32 v88, v87, v88, 0x7fff
                                        ; implicit-def: $vgpr87
; %bb.34:
	s_and_not1_saveexec_b32 s4, s4
; %bb.35:
	v_and_b32_e32 v88, 0xffff, v87
	v_or_b32_e32 v90, 0x10000, v87
	s_delay_alu instid0(VALU_DEP_2) | instskip(NEXT) | instid1(VALU_DEP_2)
	v_cmp_eq_u32_e32 vcc_lo, 0, v88
	v_cndmask_b32_e32 v88, v90, v87, vcc_lo
; %bb.36:
	s_or_b32 exec_lo, exec_lo, s4
	v_and_b32_e32 v87, 0x7f800000, v84
	s_delay_alu instid0(VALU_DEP_1) | instskip(SKIP_1) | instid1(SALU_CYCLE_1)
	v_cmp_ne_u32_e32 vcc_lo, 0x7f800000, v87
                                        ; implicit-def: $vgpr87
	s_and_saveexec_b32 s4, vcc_lo
	s_xor_b32 s4, exec_lo, s4
; %bb.37:
	v_bfe_u32 v87, v84, 16, 1
	s_delay_alu instid0(VALU_DEP_1)
	v_add3_u32 v87, v84, v87, 0x7fff
                                        ; implicit-def: $vgpr84
; %bb.38:
	s_and_not1_saveexec_b32 s4, s4
; %bb.39:
	v_and_b32_e32 v87, 0xffff, v84
	v_or_b32_e32 v90, 0x10000, v84
	s_delay_alu instid0(VALU_DEP_2) | instskip(NEXT) | instid1(VALU_DEP_2)
	v_cmp_eq_u32_e32 vcc_lo, 0, v87
	v_cndmask_b32_e32 v87, v90, v84, vcc_lo
; %bb.40:
	s_or_b32 exec_lo, exec_lo, s4
	v_and_b32_e32 v84, 0x7f800000, v80
	s_delay_alu instid0(VALU_DEP_1) | instskip(SKIP_1) | instid1(SALU_CYCLE_1)
	v_cmp_ne_u32_e32 vcc_lo, 0x7f800000, v84
                                        ; implicit-def: $vgpr84
	s_and_saveexec_b32 s4, vcc_lo
	s_xor_b32 s4, exec_lo, s4
; %bb.41:
	v_bfe_u32 v84, v80, 16, 1
	s_delay_alu instid0(VALU_DEP_1)
	v_add3_u32 v84, v80, v84, 0x7fff
                                        ; implicit-def: $vgpr80
; %bb.42:
	s_and_not1_saveexec_b32 s4, s4
; %bb.43:
	v_and_b32_e32 v84, 0xffff, v80
	v_or_b32_e32 v90, 0x10000, v80
	s_delay_alu instid0(VALU_DEP_2) | instskip(NEXT) | instid1(VALU_DEP_2)
	v_cmp_eq_u32_e32 vcc_lo, 0, v84
	v_cndmask_b32_e32 v84, v90, v80, vcc_lo
; %bb.44:
	s_or_b32 exec_lo, exec_lo, s4
	s_load_b64 s[36:37], s[0:1], 0x94
	v_lshlrev_b32_e32 v91, 4, v74
	s_delay_alu instid0(VALU_DEP_2)
	v_perm_b32 v90, v84, v87, 0x7060302
	v_dual_mul_f32 v79, v82, v79 :: v_dual_lshlrev_b32 v80, 6, v65
	v_dual_mul_f32 v77, v82, v77 :: v_dual_lshlrev_b32 v92, 11, v66
	v_mul_f32_e32 v84, v82, v70
	v_perm_b32 v89, v88, v89, 0x7060302
	v_perm_b32 v88, v86, v85, 0x7060302
	;; [unrolled: 1-line block ×3, first 2 shown]
	v_mul_f32_e32 v70, v82, v81
	v_or3_b32 v76, v91, v92, v80
	v_dual_mul_f32 v78, v82, v78 :: v_dual_and_b32 v85, 0x7f800000, v84
	v_mul_f32_e32 v83, v82, v72
	v_mul_f32_e32 v81, v82, v71
	;; [unrolled: 1-line block ×3, first 2 shown]
	s_mov_b32 s4, exec_lo
	ds_store_b128 v76, v[87:90]
                                        ; implicit-def: $vgpr69
	v_cmpx_ne_u32_e32 0x7f800000, v85
	s_xor_b32 s4, exec_lo, s4
; %bb.45:
	v_bfe_u32 v69, v84, 16, 1
	s_delay_alu instid0(VALU_DEP_1)
	v_add3_u32 v69, v84, v69, 0x7fff
                                        ; implicit-def: $vgpr84
; %bb.46:
	s_and_not1_saveexec_b32 s4, s4
; %bb.47:
	v_and_b32_e32 v69, 0xffff, v84
	v_or_b32_e32 v71, 0x10000, v84
	s_delay_alu instid0(VALU_DEP_2) | instskip(NEXT) | instid1(VALU_DEP_2)
	v_cmp_eq_u32_e32 vcc_lo, 0, v69
	v_cndmask_b32_e32 v69, v71, v84, vcc_lo
; %bb.48:
	s_or_b32 exec_lo, exec_lo, s4
	v_and_b32_e32 v71, 0x7f800000, v72
	s_delay_alu instid0(VALU_DEP_1) | instskip(SKIP_1) | instid1(SALU_CYCLE_1)
	v_cmp_ne_u32_e32 vcc_lo, 0x7f800000, v71
                                        ; implicit-def: $vgpr71
	s_and_saveexec_b32 s4, vcc_lo
	s_xor_b32 s4, exec_lo, s4
; %bb.49:
	v_bfe_u32 v71, v72, 16, 1
	s_delay_alu instid0(VALU_DEP_1)
	v_add3_u32 v71, v72, v71, 0x7fff
                                        ; implicit-def: $vgpr72
; %bb.50:
	s_and_not1_saveexec_b32 s4, s4
; %bb.51:
	v_and_b32_e32 v71, 0xffff, v72
	v_or_b32_e32 v82, 0x10000, v72
	s_delay_alu instid0(VALU_DEP_2) | instskip(NEXT) | instid1(VALU_DEP_2)
	v_cmp_eq_u32_e32 vcc_lo, 0, v71
	v_cndmask_b32_e32 v71, v82, v72, vcc_lo
; %bb.52:
	s_or_b32 exec_lo, exec_lo, s4
	v_and_b32_e32 v72, 0x7f800000, v81
	s_delay_alu instid0(VALU_DEP_1) | instskip(SKIP_1) | instid1(SALU_CYCLE_1)
	v_cmp_ne_u32_e32 vcc_lo, 0x7f800000, v72
                                        ; implicit-def: $vgpr72
	s_and_saveexec_b32 s4, vcc_lo
	s_xor_b32 s4, exec_lo, s4
; %bb.53:
	v_bfe_u32 v72, v81, 16, 1
	s_delay_alu instid0(VALU_DEP_1)
	v_add3_u32 v72, v81, v72, 0x7fff
                                        ; implicit-def: $vgpr81
; %bb.54:
	s_and_not1_saveexec_b32 s4, s4
; %bb.55:
	v_and_b32_e32 v72, 0xffff, v81
	v_or_b32_e32 v82, 0x10000, v81
	s_delay_alu instid0(VALU_DEP_2) | instskip(NEXT) | instid1(VALU_DEP_2)
	v_cmp_eq_u32_e32 vcc_lo, 0, v72
	v_cndmask_b32_e32 v72, v82, v81, vcc_lo
; %bb.56:
	s_or_b32 exec_lo, exec_lo, s4
	v_and_b32_e32 v81, 0x7f800000, v83
	s_delay_alu instid0(VALU_DEP_1) | instskip(SKIP_1) | instid1(SALU_CYCLE_1)
	v_cmp_ne_u32_e32 vcc_lo, 0x7f800000, v81
                                        ; implicit-def: $vgpr81
	s_and_saveexec_b32 s4, vcc_lo
	s_xor_b32 s4, exec_lo, s4
; %bb.57:
	v_bfe_u32 v81, v83, 16, 1
	s_delay_alu instid0(VALU_DEP_1)
	v_add3_u32 v81, v83, v81, 0x7fff
                                        ; implicit-def: $vgpr83
; %bb.58:
	s_and_not1_saveexec_b32 s4, s4
; %bb.59:
	v_and_b32_e32 v81, 0xffff, v83
	v_or_b32_e32 v82, 0x10000, v83
	s_delay_alu instid0(VALU_DEP_2) | instskip(NEXT) | instid1(VALU_DEP_2)
	v_cmp_eq_u32_e32 vcc_lo, 0, v81
	v_cndmask_b32_e32 v81, v82, v83, vcc_lo
; %bb.60:
	s_or_b32 exec_lo, exec_lo, s4
	v_and_b32_e32 v82, 0x7f800000, v77
	s_delay_alu instid0(VALU_DEP_1) | instskip(SKIP_1) | instid1(SALU_CYCLE_1)
	v_cmp_ne_u32_e32 vcc_lo, 0x7f800000, v82
                                        ; implicit-def: $vgpr82
	s_and_saveexec_b32 s4, vcc_lo
	s_xor_b32 s4, exec_lo, s4
; %bb.61:
	v_bfe_u32 v82, v77, 16, 1
	s_delay_alu instid0(VALU_DEP_1)
	v_add3_u32 v82, v77, v82, 0x7fff
                                        ; implicit-def: $vgpr77
; %bb.62:
	s_and_not1_saveexec_b32 s4, s4
; %bb.63:
	v_and_b32_e32 v82, 0xffff, v77
	v_or_b32_e32 v83, 0x10000, v77
	s_delay_alu instid0(VALU_DEP_2) | instskip(NEXT) | instid1(VALU_DEP_2)
	v_cmp_eq_u32_e32 vcc_lo, 0, v82
	v_cndmask_b32_e32 v82, v83, v77, vcc_lo
; %bb.64:
	s_or_b32 exec_lo, exec_lo, s4
	v_and_b32_e32 v77, 0x7f800000, v78
	s_delay_alu instid0(VALU_DEP_1) | instskip(SKIP_1) | instid1(SALU_CYCLE_1)
	v_cmp_ne_u32_e32 vcc_lo, 0x7f800000, v77
                                        ; implicit-def: $vgpr77
	s_and_saveexec_b32 s4, vcc_lo
	s_xor_b32 s4, exec_lo, s4
; %bb.65:
	v_bfe_u32 v77, v78, 16, 1
	s_delay_alu instid0(VALU_DEP_1)
	v_add3_u32 v77, v78, v77, 0x7fff
                                        ; implicit-def: $vgpr78
; %bb.66:
	s_and_not1_saveexec_b32 s4, s4
; %bb.67:
	v_and_b32_e32 v77, 0xffff, v78
	v_or_b32_e32 v83, 0x10000, v78
	s_delay_alu instid0(VALU_DEP_2) | instskip(NEXT) | instid1(VALU_DEP_2)
	v_cmp_eq_u32_e32 vcc_lo, 0, v77
	v_cndmask_b32_e32 v77, v83, v78, vcc_lo
; %bb.68:
	s_or_b32 exec_lo, exec_lo, s4
	v_and_b32_e32 v78, 0x7f800000, v79
	s_delay_alu instid0(VALU_DEP_1) | instskip(SKIP_1) | instid1(SALU_CYCLE_1)
	v_cmp_ne_u32_e32 vcc_lo, 0x7f800000, v78
                                        ; implicit-def: $vgpr78
	s_and_saveexec_b32 s4, vcc_lo
	s_xor_b32 s4, exec_lo, s4
; %bb.69:
	v_bfe_u32 v78, v79, 16, 1
	s_delay_alu instid0(VALU_DEP_1)
	v_add3_u32 v78, v79, v78, 0x7fff
                                        ; implicit-def: $vgpr79
; %bb.70:
	s_and_not1_saveexec_b32 s4, s4
; %bb.71:
	v_and_b32_e32 v78, 0xffff, v79
	v_or_b32_e32 v83, 0x10000, v79
	s_delay_alu instid0(VALU_DEP_2) | instskip(NEXT) | instid1(VALU_DEP_2)
	v_cmp_eq_u32_e32 vcc_lo, 0, v78
	v_cndmask_b32_e32 v78, v83, v79, vcc_lo
; %bb.72:
	s_or_b32 exec_lo, exec_lo, s4
	v_and_b32_e32 v79, 0x7f800000, v70
	s_delay_alu instid0(VALU_DEP_1) | instskip(SKIP_1) | instid1(SALU_CYCLE_1)
	v_cmp_ne_u32_e32 vcc_lo, 0x7f800000, v79
                                        ; implicit-def: $vgpr79
	s_and_saveexec_b32 s4, vcc_lo
	s_xor_b32 s4, exec_lo, s4
; %bb.73:
	v_bfe_u32 v79, v70, 16, 1
	s_delay_alu instid0(VALU_DEP_1)
	v_add3_u32 v79, v70, v79, 0x7fff
                                        ; implicit-def: $vgpr70
; %bb.74:
	s_and_not1_saveexec_b32 s4, s4
; %bb.75:
	v_and_b32_e32 v79, 0xffff, v70
	v_or_b32_e32 v83, 0x10000, v70
	s_delay_alu instid0(VALU_DEP_2) | instskip(NEXT) | instid1(VALU_DEP_2)
	v_cmp_eq_u32_e32 vcc_lo, 0, v79
	v_cndmask_b32_e32 v79, v83, v70, vcc_lo
; %bb.76:
	s_or_b32 exec_lo, exec_lo, s4
	s_delay_alu instid0(VALU_DEP_1)
	v_perm_b32 v86, v79, v78, 0x7060302
	v_perm_b32 v85, v77, v82, 0x7060302
	;; [unrolled: 1-line block ×4, first 2 shown]
	v_lshl_or_b32 v82, v66, 11, v80
	ds_store_b128 v76, v[83:86] offset:1024
	s_waitcnt lgkmcnt(0)
	s_barrier
	buffer_gl0_inv
	ds_load_b128 v[69:72], v82
	ds_load_b128 v[83:86], v82 offset:16
	s_waitcnt lgkmcnt(1)
	v_lshrrev_b32_e32 v66, 16, v69
	s_waitcnt lgkmcnt(0)
	v_lshrrev_b32_e32 v91, 16, v83
	v_lshlrev_b32_e32 v78, 2, v74
	v_lshrrev_b32_e32 v95, 16, v70
	v_lshrrev_b32_e32 v98, 16, v84
	;; [unrolled: 1-line block ×4, first 2 shown]
	v_cmp_eq_u32_e32 vcc_lo, 1, v78
	v_lshrrev_b32_e32 v97, 16, v72
	v_lshrrev_b32_e32 v100, 16, v86
	v_cndmask_b32_e32 v87, v83, v91, vcc_lo
	v_or_b32_e32 v79, 1, v78
	v_cndmask_b32_e32 v81, v69, v66, vcc_lo
	v_cmp_eq_u32_e64 s5, 2, v78
	v_cmp_eq_u32_e64 s8, 3, v78
	v_cmp_eq_u32_e64 s10, 4, v78
	v_cmp_eq_u32_e64 s4, 1, v79
	v_cmp_eq_u32_e64 s7, 2, v79
	v_cndmask_b32_e64 v81, v81, v70, s5
	v_cndmask_b32_e64 v87, v87, v84, s5
	v_cmp_eq_u32_e64 s9, 3, v79
	v_cndmask_b32_e64 v88, v69, v66, s4
	v_or_b32_e32 v77, 2, v78
	v_cndmask_b32_e64 v81, v81, v95, s8
	v_cndmask_b32_e64 v87, v87, v98, s8
	;; [unrolled: 1-line block ×4, first 2 shown]
	v_cmp_eq_u32_e64 s11, 5, v78
	v_cndmask_b32_e64 v81, v81, v71, s10
	v_cndmask_b32_e64 v87, v87, v85, s10
	v_cmp_eq_u32_e64 s12, 4, v79
	v_cndmask_b32_e64 v88, v88, v95, s9
	v_cmp_eq_u32_e64 s6, 1, v77
	v_cndmask_b32_e64 v89, v89, v84, s7
	v_cndmask_b32_e64 v81, v81, v96, s11
	v_cmp_eq_u32_e64 s13, 6, v78
	v_cndmask_b32_e64 v88, v88, v71, s12
	;; [unrolled: 3-line block ×3, first 2 shown]
	v_cndmask_b32_e64 v89, v89, v98, s9
	v_cndmask_b32_e64 v81, v81, v72, s13
	v_cmp_eq_u32_e64 s16, 7, v78
	v_cndmask_b32_e64 v88, v88, v96, s15
	v_cndmask_b32_e64 v87, v87, v86, s13
	v_cmp_eq_u32_e64 s17, 6, v79
	v_cmp_eq_u32_e64 s18, 2, v77
	v_cndmask_b32_e64 v89, v89, v85, s12
	v_cndmask_b32_e64 v101, v81, v97, s16
	;; [unrolled: 1-line block ×6, first 2 shown]
	v_cmp_eq_u32_e64 s19, 7, v79
	v_cmp_eq_u32_e64 s20, 3, v77
	;; [unrolled: 1-line block ×4, first 2 shown]
	v_cndmask_b32_e64 v87, v87, v84, s18
	v_cndmask_b32_e64 v103, v88, v97, s19
	;; [unrolled: 1-line block ×4, first 2 shown]
	v_or_b32_e32 v81, 3, v78
	v_cndmask_b32_e64 v93, v87, v98, s20
	v_cmp_eq_u32_e64 s25, 6, v77
	v_cndmask_b32_e64 v104, v88, v86, s17
	v_cndmask_b32_e64 v92, v89, v71, s21
	v_cmp_eq_u32_e64 s22, 1, v81
	ds_load_b128 v[87:90], v82 offset:1024
	v_cmp_eq_u32_e64 s24, 2, v81
	v_cmp_eq_u32_e64 s26, 3, v81
	v_cndmask_b32_e64 v105, v92, v96, s23
	v_cndmask_b32_e64 v66, v69, v66, s22
	;; [unrolled: 1-line block ×4, first 2 shown]
	ds_load_b128 v[91:94], v82 offset:1040
	v_cmp_eq_u32_e64 s27, 4, v81
	v_cndmask_b32_e64 v66, v66, v70, s24
	v_cmp_eq_u32_e64 s28, 7, v77
	v_cndmask_b32_e64 v70, v83, v84, s24
	v_cndmask_b32_e64 v84, v105, v72, s25
	v_cmp_eq_u32_e64 s29, 5, v81
	v_cndmask_b32_e64 v66, v66, v95, s26
	v_cmp_eq_u32_e64 s30, 6, v81
	v_cndmask_b32_e64 v70, v70, v98, s26
	v_cndmask_b32_e64 v69, v69, v99, s23
	;; [unrolled: 1-line block ×4, first 2 shown]
	s_waitcnt lgkmcnt(1)
	v_lshrrev_b32_e32 v95, 16, v87
	v_cndmask_b32_e64 v70, v70, v85, s27
	v_cndmask_b32_e64 v71, v84, v97, s28
	;; [unrolled: 1-line block ×4, first 2 shown]
	v_cndmask_b32_e32 v84, v87, v95, vcc_lo
	v_cndmask_b32_e64 v70, v70, v99, s29
	s_waitcnt lgkmcnt(0)
	v_lshrrev_b32_e32 v85, 16, v91
	v_lshrrev_b32_e32 v96, 16, v88
	v_cndmask_b32_e64 v98, v87, v95, s4
	v_cndmask_b32_e64 v84, v84, v88, s5
	;; [unrolled: 1-line block ×3, first 2 shown]
	v_cndmask_b32_e32 v99, v91, v85, vcc_lo
	v_cmp_eq_u32_e32 vcc_lo, 7, v81
	v_cndmask_b32_e64 v66, v66, v72, s30
	v_cndmask_b32_e64 v72, v84, v96, s8
	;; [unrolled: 1-line block ×3, first 2 shown]
	v_lshrrev_b32_e32 v98, 16, v92
	v_cndmask_b32_e32 v70, v70, v100, vcc_lo
	v_cndmask_b32_e64 v86, v99, v92, s5
	v_cndmask_b32_e64 v69, v69, v100, s28
	v_lshrrev_b32_e32 v100, 16, v93
	v_cndmask_b32_e64 v72, v72, v89, s10
	v_lshrrev_b32_e32 v99, 16, v89
	v_cndmask_b32_e64 v86, v86, v98, s8
	v_perm_b32 v71, v69, v71, 0x5040100
	v_cndmask_b32_e64 v84, v84, v96, s9
	s_delay_alu instid0(VALU_DEP_3) | instskip(NEXT) | instid1(VALU_DEP_2)
	v_cndmask_b32_e64 v86, v86, v93, s10
	v_cndmask_b32_e64 v84, v84, v89, s12
	s_delay_alu instid0(VALU_DEP_2) | instskip(NEXT) | instid1(VALU_DEP_1)
	v_cndmask_b32_e64 v86, v86, v100, s11
	v_cndmask_b32_e64 v69, v86, v94, s13
	;; [unrolled: 1-line block ×5, first 2 shown]
	s_delay_alu instid0(VALU_DEP_3) | instskip(NEXT) | instid1(VALU_DEP_3)
	v_cndmask_b32_e64 v86, v86, v88, s18
	v_cndmask_b32_e64 v87, v87, v88, s24
	s_delay_alu instid0(VALU_DEP_3) | instskip(NEXT) | instid1(VALU_DEP_3)
	v_cndmask_b32_e64 v88, v95, v92, s24
	v_cndmask_b32_e64 v86, v86, v96, s20
	;; [unrolled: 3-line block ×7, first 2 shown]
	s_delay_alu instid0(VALU_DEP_3) | instskip(SKIP_2) | instid1(VALU_DEP_2)
	v_cndmask_b32_e64 v88, v88, v94, s30
	v_cndmask_b32_e32 v66, v66, v97, vcc_lo
	v_cndmask_b32_e64 v97, v72, v99, s11
	v_perm_b32 v72, v70, v66, 0x5040100
	v_perm_b32 v70, v83, v103, 0x5040100
	v_cndmask_b32_e64 v103, v91, v85, s6
	v_cndmask_b32_e64 v85, v91, v85, s4
	;; [unrolled: 1-line block ×4, first 2 shown]
	v_lshrrev_b32_e32 v97, 16, v90
	v_cndmask_b32_e64 v91, v103, v92, s18
	v_cndmask_b32_e64 v85, v85, v92, s7
	;; [unrolled: 1-line block ×3, first 2 shown]
	s_mov_b32 s4, exec_lo
	v_cndmask_b32_e64 v83, v84, v97, s16
	v_cndmask_b32_e64 v91, v91, v98, s20
	;; [unrolled: 1-line block ×3, first 2 shown]
	v_lshrrev_b32_e32 v84, 16, v94
	v_cndmask_b32_e64 v66, v66, v97, s19
	v_cndmask_b32_e64 v90, v86, v97, s28
	;; [unrolled: 1-line block ×4, first 2 shown]
	v_dual_cndmask_b32 v86, v87, v97 :: v_dual_cndmask_b32 v87, v88, v84
	v_cndmask_b32_e64 v91, v69, v84, s16
	s_delay_alu instid0(VALU_DEP_4) | instskip(NEXT) | instid1(VALU_DEP_4)
	v_cndmask_b32_e64 v89, v89, v100, s23
	v_cndmask_b32_e64 v85, v85, v100, s15
	v_perm_b32 v69, v102, v101, 0x5040100
	v_perm_b32 v86, v87, v86, 0x5040100
	;; [unrolled: 1-line block ×3, first 2 shown]
	v_cndmask_b32_e64 v89, v89, v94, s25
	v_cndmask_b32_e64 v85, v85, v94, s17
	s_mul_i32 s9, s37, 3
	s_delay_alu instid0(VALU_DEP_2) | instskip(NEXT) | instid1(VALU_DEP_2)
	v_cndmask_b32_e64 v88, v89, v84, s28
	v_cndmask_b32_e64 v89, v85, v84, s19
	s_delay_alu instid0(VALU_DEP_2) | instskip(NEXT) | instid1(VALU_DEP_2)
	v_perm_b32 v85, v88, v90, 0x5040100
	v_perm_b32 v84, v89, v66, 0x5040100
	ds_store_b128 v76, v[69:72]
	ds_store_b128 v76, v[83:86] offset:1024
	v_cmpx_gt_u32_e32 3, v0
	s_cbranch_execz .LBB1404_78
; %bb.77:
	s_mul_i32 s5, s9, s34
	s_load_b128 s[16:19], s[0:1], 0x58
	v_add3_u32 v69, s5, s31, v65
	s_delay_alu instid0(VALU_DEP_1) | instskip(NEXT) | instid1(VALU_DEP_1)
	v_mad_u64_u32 v[65:66], null, v69, s36, s[14:15]
	v_ashrrev_i32_e32 v66, 31, v65
	s_delay_alu instid0(VALU_DEP_1) | instskip(SKIP_1) | instid1(VALU_DEP_1)
	v_lshlrev_b64 v[65:66], 2, v[65:66]
	s_waitcnt lgkmcnt(0)
	v_add_co_u32 v69, vcc_lo, s18, v65
	s_delay_alu instid0(VALU_DEP_2)
	v_add_co_ci_u32_e32 v70, vcc_lo, s19, v66, vcc_lo
	v_add_co_u32 v65, vcc_lo, s16, v65
	v_add_co_ci_u32_e32 v66, vcc_lo, s17, v66, vcc_lo
	global_store_b32 v[69:70], v67, off
	global_store_b32 v[65:66], v68, off
.LBB1404_78:
	s_or_b32 exec_lo, exec_lo, s4
	s_waitcnt lgkmcnt(0)
	s_waitcnt_vscnt null, 0x0
	s_barrier
	buffer_gl0_inv
	ds_load_b128 v[83:86], v80
	ds_load_b128 v[87:90], v80 offset:16
	ds_load_b128 v[95:98], v80 offset:2064
	;; [unrolled: 1-line block ×3, first 2 shown]
	v_mov_b32_e32 v65, 0
	ds_load_b128 v[103:106], v80 offset:4112
	ds_load_b128 v[99:102], v80 offset:4096
	;; [unrolled: 1-line block ×4, first 2 shown]
	v_mov_b32_e32 v66, v65
	v_mov_b32_e32 v67, v65
	;; [unrolled: 1-line block ×7, first 2 shown]
	s_waitcnt lgkmcnt(6)
	s_delay_alu instid0(VALU_DEP_1)
	v_wmma_f32_16x16x16_bf16 v[65:72], v[57:64], v[83:90], v[65:72]
	ds_load_b128 v[61:64], v80 offset:8208
	ds_load_b128 v[57:60], v80 offset:8192
	s_waitcnt lgkmcnt(6)
	v_wmma_f32_16x16x16_bf16 v[65:72], v[41:48], v[91:98], v[65:72]
	ds_load_b128 v[45:48], v80 offset:10256
	ds_load_b128 v[41:44], v80 offset:10240
	s_waitcnt lgkmcnt(6)
	;; [unrolled: 4-line block ×4, first 2 shown]
	v_wmma_f32_16x16x16_bf16 v[65:72], v[1:8], v[57:64], v[65:72]
	s_waitcnt lgkmcnt(4)
	s_delay_alu instid0(VALU_DEP_1) | instskip(SKIP_1) | instid1(VALU_DEP_1)
	v_wmma_f32_16x16x16_bf16 v[65:72], v[9:16], v[41:48], v[65:72]
	s_waitcnt lgkmcnt(2)
	v_wmma_f32_16x16x16_bf16 v[65:72], v[17:24], v[33:40], v[65:72]
	s_waitcnt lgkmcnt(0)
	s_delay_alu instid0(VALU_DEP_1) | instskip(NEXT) | instid1(VALU_DEP_1)
	v_wmma_f32_16x16x16_bf16 v[65:72], v[49:56], v[25:32], v[65:72]
	v_and_b32_e32 v1, 0x7f800000, v65
	s_delay_alu instid0(VALU_DEP_1) | instskip(SKIP_1) | instid1(SALU_CYCLE_1)
	v_cmp_ne_u32_e32 vcc_lo, 0x7f800000, v1
                                        ; implicit-def: $vgpr1
	s_and_saveexec_b32 s4, vcc_lo
	s_xor_b32 s4, exec_lo, s4
; %bb.79:
	v_bfe_u32 v1, v65, 16, 1
	s_delay_alu instid0(VALU_DEP_1)
	v_add3_u32 v1, v65, v1, 0x7fff
; %bb.80:
	s_and_not1_saveexec_b32 s4, s4
; %bb.81:
	v_and_b32_e32 v1, 0xffff, v65
	v_or_b32_e32 v2, 0x10000, v65
	s_delay_alu instid0(VALU_DEP_2) | instskip(NEXT) | instid1(VALU_DEP_2)
	v_cmp_eq_u32_e32 vcc_lo, 0, v1
	v_cndmask_b32_e32 v1, v2, v65, vcc_lo
; %bb.82:
	s_or_b32 exec_lo, exec_lo, s4
	v_and_b32_e32 v2, 0x7f800000, v66
	s_delay_alu instid0(VALU_DEP_1) | instskip(SKIP_1) | instid1(SALU_CYCLE_1)
	v_cmp_ne_u32_e32 vcc_lo, 0x7f800000, v2
                                        ; implicit-def: $vgpr2
	s_and_saveexec_b32 s4, vcc_lo
	s_xor_b32 s4, exec_lo, s4
; %bb.83:
	v_bfe_u32 v2, v66, 16, 1
	s_delay_alu instid0(VALU_DEP_1)
	v_add3_u32 v2, v66, v2, 0x7fff
; %bb.84:
	s_and_not1_saveexec_b32 s4, s4
; %bb.85:
	v_and_b32_e32 v2, 0xffff, v66
	v_or_b32_e32 v3, 0x10000, v66
	s_delay_alu instid0(VALU_DEP_2) | instskip(NEXT) | instid1(VALU_DEP_2)
	v_cmp_eq_u32_e32 vcc_lo, 0, v2
	v_cndmask_b32_e32 v2, v3, v66, vcc_lo
; %bb.86:
	s_or_b32 exec_lo, exec_lo, s4
	v_and_b32_e32 v3, 0x7f800000, v67
	s_delay_alu instid0(VALU_DEP_1) | instskip(SKIP_1) | instid1(SALU_CYCLE_1)
	v_cmp_ne_u32_e32 vcc_lo, 0x7f800000, v3
                                        ; implicit-def: $vgpr3
	s_and_saveexec_b32 s4, vcc_lo
	s_xor_b32 s4, exec_lo, s4
; %bb.87:
	v_bfe_u32 v3, v67, 16, 1
	s_delay_alu instid0(VALU_DEP_1)
	v_add3_u32 v3, v67, v3, 0x7fff
; %bb.88:
	s_and_not1_saveexec_b32 s4, s4
; %bb.89:
	v_and_b32_e32 v3, 0xffff, v67
	v_or_b32_e32 v4, 0x10000, v67
	s_delay_alu instid0(VALU_DEP_2) | instskip(NEXT) | instid1(VALU_DEP_2)
	v_cmp_eq_u32_e32 vcc_lo, 0, v3
	v_cndmask_b32_e32 v3, v4, v67, vcc_lo
; %bb.90:
	s_or_b32 exec_lo, exec_lo, s4
	v_and_b32_e32 v4, 0x7f800000, v68
	s_delay_alu instid0(VALU_DEP_1) | instskip(SKIP_1) | instid1(SALU_CYCLE_1)
	v_cmp_ne_u32_e32 vcc_lo, 0x7f800000, v4
                                        ; implicit-def: $vgpr4
	s_and_saveexec_b32 s4, vcc_lo
	s_xor_b32 s4, exec_lo, s4
; %bb.91:
	v_bfe_u32 v4, v68, 16, 1
	s_delay_alu instid0(VALU_DEP_1)
	v_add3_u32 v4, v68, v4, 0x7fff
; %bb.92:
	s_and_not1_saveexec_b32 s4, s4
; %bb.93:
	v_and_b32_e32 v4, 0xffff, v68
	v_or_b32_e32 v5, 0x10000, v68
	s_delay_alu instid0(VALU_DEP_2) | instskip(NEXT) | instid1(VALU_DEP_2)
	v_cmp_eq_u32_e32 vcc_lo, 0, v4
	v_cndmask_b32_e32 v4, v5, v68, vcc_lo
; %bb.94:
	s_or_b32 exec_lo, exec_lo, s4
	v_and_b32_e32 v5, 0x7f800000, v69
	s_delay_alu instid0(VALU_DEP_1) | instskip(SKIP_1) | instid1(SALU_CYCLE_1)
	v_cmp_ne_u32_e32 vcc_lo, 0x7f800000, v5
                                        ; implicit-def: $vgpr5
	s_and_saveexec_b32 s4, vcc_lo
	s_xor_b32 s4, exec_lo, s4
; %bb.95:
	v_bfe_u32 v5, v69, 16, 1
	s_delay_alu instid0(VALU_DEP_1)
	v_add3_u32 v5, v69, v5, 0x7fff
; %bb.96:
	s_and_not1_saveexec_b32 s4, s4
; %bb.97:
	v_and_b32_e32 v5, 0xffff, v69
	v_or_b32_e32 v6, 0x10000, v69
	s_delay_alu instid0(VALU_DEP_2) | instskip(NEXT) | instid1(VALU_DEP_2)
	v_cmp_eq_u32_e32 vcc_lo, 0, v5
	v_cndmask_b32_e32 v5, v6, v69, vcc_lo
; %bb.98:
	s_or_b32 exec_lo, exec_lo, s4
	v_and_b32_e32 v6, 0x7f800000, v70
	s_delay_alu instid0(VALU_DEP_1) | instskip(SKIP_1) | instid1(SALU_CYCLE_1)
	v_cmp_ne_u32_e32 vcc_lo, 0x7f800000, v6
                                        ; implicit-def: $vgpr6
	s_and_saveexec_b32 s4, vcc_lo
	s_xor_b32 s4, exec_lo, s4
; %bb.99:
	v_bfe_u32 v6, v70, 16, 1
	s_delay_alu instid0(VALU_DEP_1)
	v_add3_u32 v6, v70, v6, 0x7fff
; %bb.100:
	s_and_not1_saveexec_b32 s4, s4
; %bb.101:
	v_and_b32_e32 v6, 0xffff, v70
	v_or_b32_e32 v7, 0x10000, v70
	s_delay_alu instid0(VALU_DEP_2) | instskip(NEXT) | instid1(VALU_DEP_2)
	v_cmp_eq_u32_e32 vcc_lo, 0, v6
	v_cndmask_b32_e32 v6, v7, v70, vcc_lo
; %bb.102:
	s_or_b32 exec_lo, exec_lo, s4
	v_and_b32_e32 v7, 0x7f800000, v71
	s_delay_alu instid0(VALU_DEP_1) | instskip(SKIP_1) | instid1(SALU_CYCLE_1)
	v_cmp_ne_u32_e32 vcc_lo, 0x7f800000, v7
                                        ; implicit-def: $vgpr7
	s_and_saveexec_b32 s4, vcc_lo
	s_xor_b32 s4, exec_lo, s4
; %bb.103:
	v_bfe_u32 v7, v71, 16, 1
	s_delay_alu instid0(VALU_DEP_1)
	v_add3_u32 v7, v71, v7, 0x7fff
; %bb.104:
	s_and_not1_saveexec_b32 s4, s4
; %bb.105:
	v_and_b32_e32 v7, 0xffff, v71
	v_or_b32_e32 v8, 0x10000, v71
	s_delay_alu instid0(VALU_DEP_2) | instskip(NEXT) | instid1(VALU_DEP_2)
	v_cmp_eq_u32_e32 vcc_lo, 0, v7
	v_cndmask_b32_e32 v7, v8, v71, vcc_lo
; %bb.106:
	s_or_b32 exec_lo, exec_lo, s4
	v_and_b32_e32 v8, 0x7f800000, v72
	s_delay_alu instid0(VALU_DEP_1) | instskip(SKIP_1) | instid1(SALU_CYCLE_1)
	v_cmp_ne_u32_e32 vcc_lo, 0x7f800000, v8
                                        ; implicit-def: $vgpr8
	s_and_saveexec_b32 s4, vcc_lo
	s_xor_b32 s4, exec_lo, s4
; %bb.107:
	v_bfe_u32 v8, v72, 16, 1
	s_delay_alu instid0(VALU_DEP_1)
	v_add3_u32 v8, v72, v8, 0x7fff
                                        ; implicit-def: $vgpr65_vgpr66_vgpr67_vgpr68_vgpr69_vgpr70_vgpr71_vgpr72
; %bb.108:
	s_and_not1_saveexec_b32 s4, s4
; %bb.109:
	v_and_b32_e32 v8, 0xffff, v72
	v_or_b32_e32 v9, 0x10000, v72
	s_delay_alu instid0(VALU_DEP_2) | instskip(NEXT) | instid1(VALU_DEP_2)
	v_cmp_eq_u32_e32 vcc_lo, 0, v8
	v_cndmask_b32_e32 v8, v9, v72, vcc_lo
; %bb.110:
	s_or_b32 exec_lo, exec_lo, s4
	s_delay_alu instid0(VALU_DEP_1)
	v_perm_b32 v7, v8, v7, 0x7060302
	v_perm_b32 v6, v6, v5, 0x7060302
	;; [unrolled: 1-line block ×4, first 2 shown]
	s_barrier
	buffer_gl0_inv
	v_cmp_eq_u32_e32 vcc_lo, 1, v78
	ds_store_b128 v76, v[4:7]
	s_waitcnt lgkmcnt(0)
	s_barrier
	buffer_gl0_inv
	ds_load_b128 v[1:4], v82
	ds_load_b128 v[5:8], v82 offset:16
	v_cmp_eq_u32_e64 s4, 1, v79
	v_cmp_eq_u32_e64 s5, 2, v78
	;; [unrolled: 1-line block ×5, first 2 shown]
	s_waitcnt lgkmcnt(1)
	v_lshrrev_b32_e32 v9, 16, v1
	s_waitcnt lgkmcnt(0)
	v_lshrrev_b32_e32 v13, 16, v5
	v_lshrrev_b32_e32 v10, 16, v2
	;; [unrolled: 1-line block ×4, first 2 shown]
	v_cndmask_b32_e64 v19, v1, v9, s4
	v_cndmask_b32_e32 v18, v5, v13, vcc_lo
	v_cndmask_b32_e64 v20, v5, v13, s4
	v_cndmask_b32_e32 v17, v1, v9, vcc_lo
	v_cmp_eq_u32_e32 vcc_lo, 2, v79
	v_lshrrev_b32_e32 v15, 16, v7
	v_cmp_eq_u32_e64 s4, 1, v77
	v_lshrrev_b32_e32 v12, 16, v4
	v_lshrrev_b32_e32 v16, 16, v8
	v_cndmask_b32_e32 v20, v20, v6, vcc_lo
	v_cndmask_b32_e64 v17, v17, v2, s5
	v_cndmask_b32_e32 v19, v19, v2, vcc_lo
	v_cndmask_b32_e64 v18, v18, v6, s5
	v_cmp_eq_u32_e32 vcc_lo, 4, v78
	v_cmp_eq_u32_e64 s5, 3, v79
	v_cndmask_b32_e64 v17, v17, v10, s6
	v_cndmask_b32_e64 v21, v1, v9, s4
	v_cndmask_b32_e64 v18, v18, v14, s6
	v_cndmask_b32_e64 v22, v5, v13, s4
	v_cndmask_b32_e64 v19, v19, v10, s5
	v_cndmask_b32_e32 v17, v17, v3, vcc_lo
	v_cndmask_b32_e64 v20, v20, v14, s5
	v_cndmask_b32_e32 v18, v18, v7, vcc_lo
	v_cmp_eq_u32_e32 vcc_lo, 4, v79
	v_cmp_eq_u32_e64 s5, 5, v79
	v_cmp_eq_u32_e64 s4, 2, v81
	v_cndmask_b32_e64 v21, v21, v2, s8
	v_cmp_eq_u32_e64 s6, 5, v78
	v_cndmask_b32_e32 v19, v19, v3, vcc_lo
	v_cndmask_b32_e32 v20, v20, v7, vcc_lo
	v_cmp_eq_u32_e32 vcc_lo, 6, v79
	s_delay_alu instid0(VALU_DEP_4) | instskip(NEXT) | instid1(VALU_DEP_4)
	v_cndmask_b32_e64 v17, v17, v11, s6
	v_cndmask_b32_e64 v19, v19, v11, s5
	s_delay_alu instid0(VALU_DEP_4) | instskip(SKIP_1) | instid1(VALU_DEP_3)
	v_cndmask_b32_e64 v20, v20, v15, s5
	v_cmp_eq_u32_e64 s5, 1, v81
	v_cndmask_b32_e32 v19, v19, v4, vcc_lo
	v_cndmask_b32_e64 v18, v18, v15, s6
	s_delay_alu instid0(VALU_DEP_3)
	v_cndmask_b32_e64 v1, v1, v9, s5
	v_cndmask_b32_e64 v5, v5, v13, s5
	v_cmp_eq_u32_e64 s5, 3, v77
	v_cndmask_b32_e64 v13, v22, v6, s8
	v_cmp_eq_u32_e64 s8, 3, v81
	v_cndmask_b32_e64 v1, v1, v2, s4
	v_cndmask_b32_e64 v2, v5, v6, s4
	;; [unrolled: 1-line block ×3, first 2 shown]
	v_cmp_eq_u32_e64 s4, 4, v77
	v_cndmask_b32_e64 v6, v13, v14, s5
	v_cndmask_b32_e64 v1, v1, v10, s8
	v_cmp_eq_u32_e64 s5, 4, v81
	v_cndmask_b32_e64 v2, v2, v14, s8
	v_cndmask_b32_e64 v5, v9, v3, s4
	v_cmp_eq_u32_e64 s8, 5, v77
	v_cndmask_b32_e64 v6, v6, v7, s4
	v_cndmask_b32_e64 v1, v1, v3, s5
	v_cndmask_b32_e64 v2, v2, v7, s5
	v_cmp_eq_u32_e64 s4, 5, v81
	v_cmp_eq_u32_e64 s6, 6, v78
	v_cndmask_b32_e64 v5, v5, v11, s8
	v_cmp_eq_u32_e64 s5, 6, v77
	v_cndmask_b32_e64 v3, v6, v15, s8
	v_cndmask_b32_e64 v1, v1, v11, s4
	v_cmp_eq_u32_e64 s8, 6, v81
	v_cndmask_b32_e64 v2, v2, v15, s4
	v_cndmask_b32_e64 v17, v17, v4, s6
	v_cndmask_b32_e64 v18, v18, v8, s6
	v_cmp_eq_u32_e64 s6, 7, v78
	v_cndmask_b32_e64 v5, v5, v4, s5
	;; [unrolled: 4-line block ×3, first 2 shown]
	v_cmp_eq_u32_e64 s5, 7, v77
	v_cndmask_b32_e32 v4, v20, v8, vcc_lo
	v_cndmask_b32_e64 v17, v17, v12, s6
	v_cndmask_b32_e64 v19, v19, v12, s7
	;; [unrolled: 1-line block ×8, first 2 shown]
	v_cmp_gt_u32_e32 vcc_lo, 32, v0
	v_perm_b32 v4, v2, v1, 0x5040100
	v_perm_b32 v3, v3, v5, 0x5040100
	;; [unrolled: 1-line block ×4, first 2 shown]
	s_and_b32 s2, vcc_lo, s2
	ds_store_b128 v76, v[1:4]
	s_waitcnt lgkmcnt(0)
	s_barrier
	buffer_gl0_inv
	s_and_saveexec_b32 s4, s2
	s_cbranch_execz .LBB1404_2
; %bb.111:
	s_load_b64 s[4:5], s[0:1], 0x68
	v_lshlrev_b32_e32 v0, 10, v0
	v_lshlrev_b32_e32 v2, 4, v75
	v_add_nc_u32_e32 v1, s31, v74
	s_lshl_b32 s0, s36, 6
	s_delay_alu instid0(SALU_CYCLE_1) | instskip(NEXT) | instid1(VALU_DEP_2)
	s_mul_i32 s1, s0, s34
	v_and_or_b32 v0, 0x3800, v0, v2
	s_mul_i32 s6, s1, s9
	v_mul_lo_u32 v1, v1, s0
	s_ashr_i32 s7, s6, 31
	s_delay_alu instid0(VALU_DEP_2) | instskip(SKIP_1) | instid1(VALU_DEP_2)
	v_lshl_or_b32 v3, v74, 6, v0
	s_lshl_b64 s[6:7], s[6:7], 1
	v_ashrrev_i32_e32 v2, 31, v1
	ds_load_b128 v[3:6], v3
	s_waitcnt lgkmcnt(0)
	s_add_u32 s1, s4, s6
	s_addc_u32 s2, s5, s7
	s_lshl_b32 s4, s14, 6
	v_lshlrev_b64 v[7:8], 1, v[1:2]
	s_ashr_i32 s5, s4, 31
	s_delay_alu instid0(SALU_CYCLE_1) | instskip(NEXT) | instid1(SALU_CYCLE_1)
	s_lshl_b64 s[4:5], s[4:5], 1
	s_add_u32 s1, s1, s4
	s_addc_u32 s2, s2, s5
	v_add_co_u32 v1, s1, s1, v73
	s_delay_alu instid0(VALU_DEP_1) | instskip(NEXT) | instid1(VALU_DEP_2)
	v_add_co_ci_u32_e64 v2, null, s2, 0, s1
	v_add_co_u32 v7, vcc_lo, v1, v7
	s_delay_alu instid0(VALU_DEP_2)
	v_add_co_ci_u32_e32 v8, vcc_lo, v2, v8, vcc_lo
	global_store_b128 v[7:8], v[3:6], off
	s_and_b32 exec_lo, exec_lo, s3
	s_cbranch_execz .LBB1404_2
; %bb.112:
	ds_load_b128 v[3:6], v0 offset:128
	s_add_i32 s1, s31, 2
	s_delay_alu instid0(SALU_CYCLE_1) | instskip(NEXT) | instid1(SALU_CYCLE_1)
	s_mul_i32 s0, s1, s0
	s_ashr_i32 s1, s0, 31
	s_delay_alu instid0(SALU_CYCLE_1) | instskip(NEXT) | instid1(SALU_CYCLE_1)
	s_lshl_b64 s[0:1], s[0:1], 1
	v_add_co_u32 v0, vcc_lo, v1, s0
	v_add_co_ci_u32_e32 v1, vcc_lo, s1, v2, vcc_lo
	s_waitcnt lgkmcnt(0)
	global_store_b128 v[0:1], v[3:6], off
	s_nop 0
	s_sendmsg sendmsg(MSG_DEALLOC_VGPRS)
	s_endpgm
	.section	.rodata,"a",@progbits
	.p2align	6, 0x0
	.amdhsa_kernel _Z39paged_attention_ll4mi_QKV_mfma16_kernelI14__hip_bfloat16hLN4vllm18Fp8KVCacheDataTypeE1ES0_Li16ELi64ELi256ELb1ELi3EL8MFMAType1EEvPKT_PKT0_S9_ifPKiSB_SB_iPKfiiiPfSE_PS4_PT2_iSD_SD_
		.amdhsa_group_segment_fixed_size 17472
		.amdhsa_private_segment_fixed_size 0
		.amdhsa_kernarg_size 400
		.amdhsa_user_sgpr_count 13
		.amdhsa_user_sgpr_dispatch_ptr 0
		.amdhsa_user_sgpr_queue_ptr 0
		.amdhsa_user_sgpr_kernarg_segment_ptr 1
		.amdhsa_user_sgpr_dispatch_id 0
		.amdhsa_user_sgpr_private_segment_size 0
		.amdhsa_wavefront_size32 1
		.amdhsa_uses_dynamic_stack 0
		.amdhsa_enable_private_segment 0
		.amdhsa_system_sgpr_workgroup_id_x 1
		.amdhsa_system_sgpr_workgroup_id_y 1
		.amdhsa_system_sgpr_workgroup_id_z 1
		.amdhsa_system_sgpr_workgroup_info 0
		.amdhsa_system_vgpr_workitem_id 0
		.amdhsa_next_free_vgpr 124
		.amdhsa_next_free_sgpr 40
		.amdhsa_reserve_vcc 1
		.amdhsa_float_round_mode_32 0
		.amdhsa_float_round_mode_16_64 0
		.amdhsa_float_denorm_mode_32 3
		.amdhsa_float_denorm_mode_16_64 3
		.amdhsa_dx10_clamp 1
		.amdhsa_ieee_mode 1
		.amdhsa_fp16_overflow 0
		.amdhsa_workgroup_processor_mode 1
		.amdhsa_memory_ordered 1
		.amdhsa_forward_progress 0
		.amdhsa_shared_vgpr_count 0
		.amdhsa_exception_fp_ieee_invalid_op 0
		.amdhsa_exception_fp_denorm_src 0
		.amdhsa_exception_fp_ieee_div_zero 0
		.amdhsa_exception_fp_ieee_overflow 0
		.amdhsa_exception_fp_ieee_underflow 0
		.amdhsa_exception_fp_ieee_inexact 0
		.amdhsa_exception_int_div_zero 0
	.end_amdhsa_kernel
	.section	.text._Z39paged_attention_ll4mi_QKV_mfma16_kernelI14__hip_bfloat16hLN4vllm18Fp8KVCacheDataTypeE1ES0_Li16ELi64ELi256ELb1ELi3EL8MFMAType1EEvPKT_PKT0_S9_ifPKiSB_SB_iPKfiiiPfSE_PS4_PT2_iSD_SD_,"axG",@progbits,_Z39paged_attention_ll4mi_QKV_mfma16_kernelI14__hip_bfloat16hLN4vllm18Fp8KVCacheDataTypeE1ES0_Li16ELi64ELi256ELb1ELi3EL8MFMAType1EEvPKT_PKT0_S9_ifPKiSB_SB_iPKfiiiPfSE_PS4_PT2_iSD_SD_,comdat
.Lfunc_end1404:
	.size	_Z39paged_attention_ll4mi_QKV_mfma16_kernelI14__hip_bfloat16hLN4vllm18Fp8KVCacheDataTypeE1ES0_Li16ELi64ELi256ELb1ELi3EL8MFMAType1EEvPKT_PKT0_S9_ifPKiSB_SB_iPKfiiiPfSE_PS4_PT2_iSD_SD_, .Lfunc_end1404-_Z39paged_attention_ll4mi_QKV_mfma16_kernelI14__hip_bfloat16hLN4vllm18Fp8KVCacheDataTypeE1ES0_Li16ELi64ELi256ELb1ELi3EL8MFMAType1EEvPKT_PKT0_S9_ifPKiSB_SB_iPKfiiiPfSE_PS4_PT2_iSD_SD_
                                        ; -- End function
	.section	.AMDGPU.csdata,"",@progbits
; Kernel info:
; codeLenInByte = 8700
; NumSgprs: 42
; NumVgprs: 124
; ScratchSize: 0
; MemoryBound: 0
; FloatMode: 240
; IeeeMode: 1
; LDSByteSize: 17472 bytes/workgroup (compile time only)
; SGPRBlocks: 5
; VGPRBlocks: 15
; NumSGPRsForWavesPerEU: 42
; NumVGPRsForWavesPerEU: 124
; Occupancy: 10
; WaveLimiterHint : 1
; COMPUTE_PGM_RSRC2:SCRATCH_EN: 0
; COMPUTE_PGM_RSRC2:USER_SGPR: 13
; COMPUTE_PGM_RSRC2:TRAP_HANDLER: 0
; COMPUTE_PGM_RSRC2:TGID_X_EN: 1
; COMPUTE_PGM_RSRC2:TGID_Y_EN: 1
; COMPUTE_PGM_RSRC2:TGID_Z_EN: 1
; COMPUTE_PGM_RSRC2:TIDIG_COMP_CNT: 0
	.section	.text._Z39paged_attention_ll4mi_QKV_mfma16_kernelI14__hip_bfloat16hLN4vllm18Fp8KVCacheDataTypeE1ES0_Li16ELi64ELi256ELb1ELi4EL8MFMAType1EEvPKT_PKT0_S9_ifPKiSB_SB_iPKfiiiPfSE_PS4_PT2_iSD_SD_,"axG",@progbits,_Z39paged_attention_ll4mi_QKV_mfma16_kernelI14__hip_bfloat16hLN4vllm18Fp8KVCacheDataTypeE1ES0_Li16ELi64ELi256ELb1ELi4EL8MFMAType1EEvPKT_PKT0_S9_ifPKiSB_SB_iPKfiiiPfSE_PS4_PT2_iSD_SD_,comdat
	.protected	_Z39paged_attention_ll4mi_QKV_mfma16_kernelI14__hip_bfloat16hLN4vllm18Fp8KVCacheDataTypeE1ES0_Li16ELi64ELi256ELb1ELi4EL8MFMAType1EEvPKT_PKT0_S9_ifPKiSB_SB_iPKfiiiPfSE_PS4_PT2_iSD_SD_ ; -- Begin function _Z39paged_attention_ll4mi_QKV_mfma16_kernelI14__hip_bfloat16hLN4vllm18Fp8KVCacheDataTypeE1ES0_Li16ELi64ELi256ELb1ELi4EL8MFMAType1EEvPKT_PKT0_S9_ifPKiSB_SB_iPKfiiiPfSE_PS4_PT2_iSD_SD_
	.globl	_Z39paged_attention_ll4mi_QKV_mfma16_kernelI14__hip_bfloat16hLN4vllm18Fp8KVCacheDataTypeE1ES0_Li16ELi64ELi256ELb1ELi4EL8MFMAType1EEvPKT_PKT0_S9_ifPKiSB_SB_iPKfiiiPfSE_PS4_PT2_iSD_SD_
	.p2align	8
	.type	_Z39paged_attention_ll4mi_QKV_mfma16_kernelI14__hip_bfloat16hLN4vllm18Fp8KVCacheDataTypeE1ES0_Li16ELi64ELi256ELb1ELi4EL8MFMAType1EEvPKT_PKT0_S9_ifPKiSB_SB_iPKfiiiPfSE_PS4_PT2_iSD_SD_,@function
_Z39paged_attention_ll4mi_QKV_mfma16_kernelI14__hip_bfloat16hLN4vllm18Fp8KVCacheDataTypeE1ES0_Li16ELi64ELi256ELb1ELi4EL8MFMAType1EEvPKT_PKT0_S9_ifPKiSB_SB_iPKfiiiPfSE_PS4_PT2_iSD_SD_: ; @_Z39paged_attention_ll4mi_QKV_mfma16_kernelI14__hip_bfloat16hLN4vllm18Fp8KVCacheDataTypeE1ES0_Li16ELi64ELi256ELb1ELi4EL8MFMAType1EEvPKT_PKT0_S9_ifPKiSB_SB_iPKfiiiPfSE_PS4_PT2_iSD_SD_
; %bb.0:
	s_load_b64 s[2:3], s[0:1], 0x30
	s_mov_b32 s30, s13
	s_waitcnt lgkmcnt(0)
	s_cmp_lg_u64 s[2:3], 0
	s_cselect_b32 s8, -1, 0
	s_ashr_i32 s31, s13, 31
	s_cmp_eq_u64 s[2:3], 0
	s_cbranch_scc1 .LBB1405_3
; %bb.1:
	s_lshl_b64 s[4:5], s[30:31], 2
	s_delay_alu instid0(SALU_CYCLE_1) | instskip(SKIP_4) | instid1(SALU_CYCLE_1)
	s_add_u32 s4, s2, s4
	s_addc_u32 s5, s3, s5
	s_load_b64 s[4:5], s[4:5], 0x0
	s_waitcnt lgkmcnt(0)
	s_sub_i32 s4, s5, s4
	s_cmp_eq_u32 s4, 1
	s_cselect_b32 s4, -1, 0
	s_delay_alu instid0(SALU_CYCLE_1)
	s_and_not1_b32 vcc_lo, exec_lo, s4
	s_cbranch_vccz .LBB1405_4
.LBB1405_2:
	s_endpgm
.LBB1405_3:
.LBB1405_4:
	s_load_b64 s[4:5], s[0:1], 0x28
	s_lshl_b64 s[6:7], s[30:31], 2
	s_waitcnt lgkmcnt(0)
	s_add_u32 s4, s4, s6
	s_addc_u32 s5, s5, s7
	s_lshl_b32 s12, s14, 8
	s_load_b32 s24, s[4:5], 0x0
	s_waitcnt lgkmcnt(0)
	s_cmp_ge_i32 s12, s24
	s_cbranch_scc1 .LBB1405_2
; %bb.5:
	s_clause 0x1
	s_load_b128 s[20:23], s[0:1], 0x8
	s_load_b64 s[4:5], s[0:1], 0x20
	s_and_not1_b32 vcc_lo, exec_lo, s8
	s_cbranch_vccnz .LBB1405_7
; %bb.6:
	s_add_u32 s2, s2, s6
	s_addc_u32 s3, s3, s7
	s_load_b32 s3, s[2:3], 0x0
	s_branch .LBB1405_8
.LBB1405_7:
	s_mov_b32 s3, s30
.LBB1405_8:
	s_load_b128 s[16:19], s[0:1], 0x48
	v_and_b32_e32 v66, 15, v0
	v_cmp_gt_u32_e32 vcc_lo, 64, v0
	v_lshrrev_b32_e32 v65, 5, v0
	v_and_b32_e32 v67, 31, v0
	v_and_b32_e32 v74, 1, v0
	v_lshlrev_b32_e32 v1, 3, v66
	v_cmp_gt_u32_e64 s2, 8, v66
	v_bfe_u32 v75, v0, 4, 1
	s_lshl_b32 s31, s15, 2
	s_delay_alu instid0(VALU_DEP_3) | instskip(NEXT) | instid1(VALU_DEP_3)
	v_lshlrev_b32_e32 v73, 1, v1
	s_and_b32 s7, vcc_lo, s2
	s_delay_alu instid0(SALU_CYCLE_1)
	s_and_saveexec_b32 s6, s7
	s_cbranch_execz .LBB1405_10
; %bb.9:
	v_lshl_or_b32 v5, v65, 1, v75
	s_load_b64 s[8:9], s[0:1], 0x0
	s_waitcnt lgkmcnt(0)
	s_mul_hi_i32 s11, s3, s16
	s_mul_i32 s10, s3, s16
	v_lshlrev_b32_e32 v6, 10, v66
	v_or_b32_e32 v1, s31, v5
	s_lshl_b64 s[10:11], s[10:11], 1
	v_lshlrev_b32_e32 v5, 6, v5
	v_lshlrev_b32_e32 v7, 10, v74
	v_and_b32_e32 v6, 0x3800, v6
	v_lshlrev_b32_e32 v1, 6, v1
	s_delay_alu instid0(VALU_DEP_2) | instskip(NEXT) | instid1(VALU_DEP_2)
	v_or3_b32 v5, v6, v7, v5
	v_ashrrev_i32_e32 v2, 31, v1
	s_delay_alu instid0(VALU_DEP_1) | instskip(SKIP_2) | instid1(VALU_DEP_1)
	v_lshlrev_b64 v[1:2], 1, v[1:2]
	s_add_u32 s3, s8, s10
	s_addc_u32 s7, s9, s11
	v_add_co_u32 v1, vcc_lo, s3, v1
	s_delay_alu instid0(VALU_DEP_2) | instskip(NEXT) | instid1(VALU_DEP_2)
	v_add_co_ci_u32_e32 v2, vcc_lo, s7, v2, vcc_lo
	v_add_co_u32 v1, vcc_lo, v1, v73
	s_delay_alu instid0(VALU_DEP_2)
	v_add_co_ci_u32_e32 v2, vcc_lo, 0, v2, vcc_lo
	global_load_b128 v[1:4], v[1:2], off
	s_waitcnt vmcnt(0)
	ds_store_b128 v5, v[1:4]
.LBB1405_10:
	s_or_b32 exec_lo, exec_lo, s6
	v_and_b32_e32 v1, 0xef, v0
	s_waitcnt lgkmcnt(0)
	s_add_i32 s3, s24, 15
	s_clause 0x1
	s_load_b32 s6, s[0:1], 0x38
	s_load_b32 s19, s[0:1], 0x1c
	s_ashr_i32 s7, s3, 31
	v_add_nc_u32_e32 v1, s12, v1
	s_lshr_b32 s7, s7, 28
	s_waitcnt lgkmcnt(0)
	s_add_i32 s3, s3, s7
	s_barrier
	v_ashrrev_i32_e32 v2, 31, v1
	v_or_b32_e32 v3, 16, v1
	s_ashr_i32 s3, s3, 4
	v_cmp_gt_i32_e32 vcc_lo, s24, v1
	s_add_i32 s3, s3, -1
	v_lshrrev_b32_e32 v2, 28, v2
	buffer_gl0_inv
	s_mul_i32 s27, s15, s18
	v_add_nc_u32_e32 v4, v1, v2
	s_mul_i32 s6, s30, s6
	s_delay_alu instid0(SALU_CYCLE_1) | instskip(NEXT) | instid1(VALU_DEP_1)
	s_ashr_i32 s7, s6, 31
	v_ashrrev_i32_e32 v4, 4, v4
	v_add_nc_u32_e32 v2, v3, v2
	s_lshl_b64 s[6:7], s[6:7], 2
	s_delay_alu instid0(SALU_CYCLE_1) | instskip(NEXT) | instid1(VALU_DEP_2)
	s_add_u32 s26, s4, s6
	v_cndmask_b32_e32 v1, s3, v4, vcc_lo
	s_delay_alu instid0(VALU_DEP_2)
	v_ashrrev_i32_e32 v2, 4, v2
	v_cmp_gt_i32_e32 vcc_lo, s24, v3
	s_addc_u32 s25, s5, s7
	s_ashr_i32 s28, s27, 31
	s_add_u32 s13, s20, s27
	s_addc_u32 s15, s21, s28
	v_cndmask_b32_e32 v3, s3, v2, vcc_lo
	v_ashrrev_i32_e32 v2, 31, v1
	s_lshl_b32 s4, s14, 4
	s_delay_alu instid0(SALU_CYCLE_1) | instskip(NEXT) | instid1(VALU_DEP_2)
	s_ashr_i32 s5, s4, 31
	v_ashrrev_i32_e32 v4, 31, v3
	s_delay_alu instid0(VALU_DEP_2) | instskip(SKIP_1) | instid1(SALU_CYCLE_1)
	v_lshlrev_b64 v[1:2], 2, v[1:2]
	s_lshl_b64 s[4:5], s[4:5], 2
	s_add_u32 s4, s26, s4
	s_delay_alu instid0(VALU_DEP_2) | instskip(SKIP_1) | instid1(VALU_DEP_2)
	v_lshlrev_b64 v[3:4], 2, v[3:4]
	s_addc_u32 s5, s25, s5
	v_add_co_u32 v1, vcc_lo, s26, v1
	v_add_co_ci_u32_e32 v2, vcc_lo, s25, v2, vcc_lo
	s_delay_alu instid0(VALU_DEP_3) | instskip(NEXT) | instid1(VALU_DEP_4)
	v_add_co_u32 v3, vcc_lo, s26, v3
	v_add_co_ci_u32_e32 v4, vcc_lo, s25, v4, vcc_lo
	s_clause 0x1
	global_load_b32 v5, v[1:2], off
	global_load_b32 v7, v[3:4], off
	s_or_b32 s6, s12, 32
	v_lshlrev_b32_e32 v1, 4, v0
	s_ashr_i32 s7, s6, 4
	s_cmp_lt_i32 s6, s24
	s_cselect_b32 s6, s7, s3
	s_delay_alu instid0(VALU_DEP_1) | instskip(SKIP_1) | instid1(SALU_CYCLE_1)
	v_and_b32_e32 v1, 0xf0, v1
	s_ashr_i32 s7, s6, 31
	s_lshl_b64 s[6:7], s[6:7], 2
	s_delay_alu instid0(SALU_CYCLE_1)
	s_add_u32 s6, s26, s6
	s_addc_u32 s7, s25, s7
	s_or_b32 s8, s12, 64
	v_add_co_u32 v1, s13, s13, v1
	s_ashr_i32 s9, s8, 4
	s_cmp_lt_i32 s8, s24
	v_add_co_ci_u32_e64 v2, null, s15, 0, s13
	s_cselect_b32 s8, s9, s3
	s_delay_alu instid0(SALU_CYCLE_1) | instskip(NEXT) | instid1(SALU_CYCLE_1)
	s_ashr_i32 s9, s8, 31
	s_lshl_b64 s[8:9], s[8:9], 2
	s_delay_alu instid0(SALU_CYCLE_1) | instskip(SKIP_2) | instid1(SALU_CYCLE_1)
	s_add_u32 s8, s26, s8
	s_addc_u32 s9, s25, s9
	s_or_b32 s10, s12, 0x60
	s_ashr_i32 s11, s10, 4
	s_cmp_lt_i32 s10, s24
	s_cselect_b32 s10, s11, s3
	s_delay_alu instid0(SALU_CYCLE_1) | instskip(NEXT) | instid1(SALU_CYCLE_1)
	s_ashr_i32 s11, s10, 31
	s_lshl_b64 s[10:11], s[10:11], 2
	s_delay_alu instid0(SALU_CYCLE_1) | instskip(SKIP_2) | instid1(SALU_CYCLE_1)
	s_add_u32 s10, s26, s10
	s_addc_u32 s11, s25, s11
	s_or_b32 s16, s12, 0x80
	s_ashr_i32 s18, s16, 4
	s_cmp_lt_i32 s16, s24
	;; [unrolled: 10-line block ×3, first 2 shown]
	s_cselect_b32 s20, s18, s3
	s_delay_alu instid0(SALU_CYCLE_1) | instskip(NEXT) | instid1(SALU_CYCLE_1)
	s_ashr_i32 s21, s20, 31
	s_lshl_b64 s[20:21], s[20:21], 2
	s_delay_alu instid0(SALU_CYCLE_1)
	s_add_u32 s36, s26, s20
	s_addc_u32 s37, s25, s21
	s_clause 0x5
	s_load_b32 s21, s[4:5], 0x0
	s_load_b32 s13, s[6:7], 0x0
	;; [unrolled: 1-line block ×6, first 2 shown]
	s_or_b32 s7, s12, 0xc0
	s_mov_b32 s4, 0
	s_ashr_i32 s8, s7, 4
	s_cmp_lt_i32 s7, s24
	s_mov_b32 s5, s4
	s_cselect_b32 s10, s8, s3
	s_mov_b32 s6, s4
	s_ashr_i32 s11, s10, 31
	s_mov_b32 s7, s4
	s_lshl_b64 s[34:35], s[10:11], 2
	s_mov_b32 s11, s4
	s_add_u32 s34, s26, s34
	s_addc_u32 s35, s25, s35
	s_or_b32 s29, s12, 0xe0
	s_mov_b32 s8, s4
	s_ashr_i32 s33, s29, 4
	s_mov_b32 s9, s4
	s_mov_b32 s10, s4
	s_cmp_lt_i32 s29, s24
	v_dual_mov_b32 v107, s11 :: v_dual_mov_b32 v100, s4
	v_mov_b32_e32 v106, s10
	v_dual_mov_b32 v104, s8 :: v_dual_mov_b32 v103, s7
	v_dual_mov_b32 v102, s6 :: v_dual_mov_b32 v101, s5
	v_mov_b32_e32 v105, s9
	s_cselect_b32 s4, s33, s3
	s_delay_alu instid0(SALU_CYCLE_1) | instskip(NEXT) | instid1(SALU_CYCLE_1)
	s_ashr_i32 s5, s4, 31
	s_lshl_b64 s[4:5], s[4:5], 2
	s_delay_alu instid0(SALU_CYCLE_1)
	s_add_u32 s4, s26, s4
	s_addc_u32 s5, s25, s5
	s_add_u32 s6, s22, s27
	s_addc_u32 s7, s23, s28
	s_waitcnt vmcnt(1)
	v_mad_i64_i32 v[3:4], null, v5, s17, v[1:2]
	s_waitcnt vmcnt(0)
	v_mad_i64_i32 v[5:6], null, v7, s17, v[1:2]
	s_clause 0x7
	global_load_b128 v[49:52], v[3:4], off
	global_load_b128 v[53:56], v[3:4], off offset:256
	global_load_b128 v[76:79], v[5:6], off
	global_load_b128 v[80:83], v[5:6], off offset:256
	global_load_b128 v[84:87], v[3:4], off offset:512
	;; [unrolled: 1-line block ×5, first 2 shown]
	v_and_b32_e32 v1, 3, v0
	v_lshlrev_b32_e32 v2, 4, v66
	s_load_b32 s3, s[34:35], 0x0
	s_delay_alu instid0(VALU_DEP_2) | instskip(NEXT) | instid1(VALU_DEP_2)
	v_lshlrev_b32_e32 v70, 6, v1
	v_lshl_or_b32 v1, v65, 8, v2
	ds_load_b128 v[108:111], v70
	ds_load_b128 v[112:115], v70 offset:1024
	s_load_b32 s4, s[4:5], 0x0
	v_add_co_u32 v9, s6, s6, v1
	s_delay_alu instid0(VALU_DEP_1) | instskip(SKIP_1) | instid1(VALU_DEP_1)
	v_add_co_ci_u32_e64 v10, null, s7, 0, s6
	s_waitcnt lgkmcnt(0)
	v_mad_i64_i32 v[1:2], null, s21, s17, v[9:10]
	v_mad_i64_i32 v[3:4], null, s13, s17, v[9:10]
	v_mad_i64_i32 v[5:6], null, s15, s17, v[9:10]
	v_mad_i64_i32 v[7:8], null, s16, s17, v[9:10]
	v_mad_i64_i32 v[13:14], null, s20, s17, v[9:10]
	v_mad_i64_i32 v[11:12], null, s18, s17, v[9:10]
	v_mad_i64_i32 v[21:22], null, s3, s17, v[9:10]
	s_clause 0x9
	global_load_b128 v[57:60], v[1:2], off
	global_load_b128 v[61:64], v[1:2], off offset:16
	global_load_b128 v[41:44], v[3:4], off
	global_load_b128 v[45:48], v[3:4], off offset:16
	;; [unrolled: 2-line block ×5, first 2 shown]
	v_mad_i64_i32 v[68:69], null, s4, s17, v[9:10]
	s_clause 0x3
	global_load_b128 v[9:12], v[13:14], off
	global_load_b128 v[13:16], v[13:14], off offset:16
	global_load_b128 v[17:20], v[21:22], off
	global_load_b128 v[21:24], v[21:22], off offset:16
	s_waitcnt vmcnt(20)
	v_wmma_f32_16x16x16_bf16 v[116:123], v[49:56], v[108:115], v[100:107]
	s_clause 0x1
	global_load_b128 v[49:52], v[68:69], off
	global_load_b128 v[53:56], v[68:69], off offset:16
	v_and_b32_e32 v68, 0xe0, v0
	v_mbcnt_lo_u32_b32 v69, -1, 0
	s_delay_alu instid0(VALU_DEP_2)
	v_add_nc_u32_e32 v68, s12, v68
	s_waitcnt vmcnt(20)
	v_wmma_f32_16x16x16_bf16 v[100:107], v[76:83], v[108:115], v[100:107]
	ds_load_b128 v[76:79], v70 offset:2048
	ds_load_b128 v[80:83], v70 offset:3072
	v_xor_b32_e32 v70, 16, v69
	s_waitcnt vmcnt(0) lgkmcnt(0)
	v_or_b32_e32 v68, v68, v75
	s_barrier
	buffer_gl0_inv
	v_cmp_gt_i32_e32 vcc_lo, 32, v70
	v_or_b32_e32 v71, 4, v68
	v_or_b32_e32 v72, 6, v68
	v_cmp_gt_i32_e64 s3, s24, v68
	v_or_b32_e32 v108, 8, v68
	v_or_b32_e32 v109, 10, v68
	v_cmp_gt_i32_e64 s4, s24, v71
	v_cmp_gt_i32_e64 s5, s24, v72
	s_delay_alu instid0(VALU_DEP_4) | instskip(NEXT) | instid1(VALU_DEP_4)
	v_cmp_gt_i32_e64 s6, s24, v108
	v_cmp_gt_i32_e64 s7, s24, v109
	v_wmma_f32_16x16x16_bf16 v[116:123], v[84:91], v[76:83], v[116:123]
	v_cndmask_b32_e32 v69, v69, v70, vcc_lo
	v_or_b32_e32 v70, 2, v68
	v_wmma_f32_16x16x16_bf16 v[100:107], v[92:99], v[76:83], v[100:107]
	v_or_b32_e32 v89, 22, v68
	v_dual_mul_f32 v80, s19, v121 :: v_dual_mul_f32 v81, s19, v120
	v_dual_mul_f32 v92, s19, v117 :: v_dual_mul_f32 v93, s19, v116
	s_delay_alu instid0(VALU_DEP_4)
	v_mul_f32_e32 v96, s19, v105
	v_cmp_gt_i32_e32 vcc_lo, s24, v70
	v_dual_mul_f32 v79, s19, v122 :: v_dual_mul_f32 v82, s19, v119
	v_dual_mul_f32 v83, s19, v118 :: v_dual_mul_f32 v94, s19, v107
	v_cndmask_b32_e64 v93, 0xff7fffff, v93, s3
	v_cndmask_b32_e32 v92, 0xff7fffff, v92, vcc_lo
	v_or_b32_e32 v84, 12, v68
	v_or_b32_e32 v85, 14, v68
	v_cndmask_b32_e64 v71, 0xff7fffff, v83, s4
	v_cndmask_b32_e64 v72, 0xff7fffff, v82, s5
	v_cmp_gt_i32_e64 s13, s24, v89
	v_lshlrev_b32_e32 v89, 2, v69
	v_max3_f32 v82, v93, 0xff7fffff, v92
	v_or_b32_e32 v86, 16, v68
	v_or_b32_e32 v87, 18, v68
	v_mul_f32_e32 v78, s19, v123
	v_cndmask_b32_e64 v81, 0xff7fffff, v81, s6
	v_cndmask_b32_e64 v80, 0xff7fffff, v80, s7
	v_max3_f32 v71, v82, v71, v72
	v_cmp_gt_i32_e64 s8, s24, v84
	v_cmp_gt_i32_e64 s9, s24, v85
	v_or_b32_e32 v88, 20, v68
	v_or_b32_e32 v90, 24, v68
	;; [unrolled: 1-line block ×5, first 2 shown]
	v_dual_mul_f32 v97, s19, v104 :: v_dual_mul_f32 v70, s19, v101
	v_dual_mul_f32 v99, s19, v102 :: v_dual_mul_f32 v68, s19, v100
	v_cndmask_b32_e64 v72, 0xff7fffff, v79, s8
	v_cndmask_b32_e64 v78, 0xff7fffff, v78, s9
	v_max3_f32 v71, v71, v81, v80
	v_cmp_gt_i32_e64 s10, s24, v86
	v_cmp_gt_i32_e64 s11, s24, v87
	v_dual_mul_f32 v95, s19, v106 :: v_dual_mul_f32 v98, s19, v103
	s_delay_alu instid0(VALU_DEP_4) | instskip(NEXT) | instid1(VALU_DEP_4)
	v_max3_f32 v71, v71, v72, v78
	v_cndmask_b32_e64 v68, 0xff7fffff, v68, s10
	s_delay_alu instid0(VALU_DEP_4)
	v_cndmask_b32_e64 v70, 0xff7fffff, v70, s11
	v_cmp_gt_i32_e64 s12, s24, v88
	v_cndmask_b32_e64 v78, 0xff7fffff, v98, s13
	v_cmp_gt_i32_e64 s15, s24, v90
	v_cmp_gt_i32_e64 s16, s24, v91
	v_max3_f32 v68, v71, v68, v70
	v_cndmask_b32_e64 v72, 0xff7fffff, v99, s12
	v_cmp_gt_i32_e64 s17, s24, v76
	v_cndmask_b32_e64 v70, 0xff7fffff, v97, s15
	v_cndmask_b32_e64 v71, 0xff7fffff, v96, s16
	v_cmp_gt_i32_e64 s18, s24, v77
	v_max3_f32 v68, v68, v72, v78
	v_cndmask_b32_e64 v72, 0xff7fffff, v95, s17
	s_delay_alu instid0(VALU_DEP_3) | instskip(NEXT) | instid1(VALU_DEP_3)
	v_cndmask_b32_e64 v76, 0xff7fffff, v94, s18
	v_max3_f32 v68, v68, v70, v71
	s_delay_alu instid0(VALU_DEP_1) | instskip(SKIP_3) | instid1(VALU_DEP_1)
	v_max3_f32 v68, v68, v72, v76
	ds_bpermute_b32 v69, v89, v68
	s_waitcnt lgkmcnt(0)
	v_max_f32_e32 v69, v69, v69
	v_max_f32_e32 v68, v68, v69
	s_delay_alu instid0(VALU_DEP_1) | instskip(NEXT) | instid1(VALU_DEP_1)
	v_fma_f32 v71, s19, v118, -v68
	v_mul_f32_e32 v71, 0x3fb8aa3b, v71
	v_fma_f32 v70, s19, v117, -v68
	v_fma_f32 v69, s19, v116, -v68
	;; [unrolled: 1-line block ×5, first 2 shown]
	s_delay_alu instid0(VALU_DEP_4) | instskip(SKIP_1) | instid1(VALU_DEP_3)
	v_dual_mul_f32 v70, 0x3fb8aa3b, v70 :: v_dual_mul_f32 v69, 0x3fb8aa3b, v69
	v_exp_f32_e32 v71, v71
	v_mul_f32_e32 v72, 0x3fb8aa3b, v72
	v_fma_f32 v81, s19, v105, -v68
	s_delay_alu instid0(VALU_DEP_3)
	v_exp_f32_e32 v70, v70
	v_mul_f32_e32 v77, 0x3fb8aa3b, v76
	v_exp_f32_e32 v69, v69
	v_exp_f32_e32 v72, v72
	v_mul_f32_e32 v81, 0x3fb8aa3b, v81
	v_cndmask_b32_e64 v83, 0, v71, s4
	v_fma_f32 v71, s19, v123, -v68
	s_delay_alu instid0(VALU_DEP_3) | instskip(SKIP_4) | instid1(TRANS32_DEP_3)
	v_exp_f32_e32 v81, v81
	v_cndmask_b32_e32 v76, 0, v70, vcc_lo
	v_exp_f32_e32 v77, v77
	v_cndmask_b32_e64 v80, 0, v69, s3
	v_fma_f32 v69, s19, v121, -v68
	v_cndmask_b32_e64 v85, 0, v72, s5
	v_mul_f32_e32 v71, 0x3fb8aa3b, v71
	v_fma_f32 v72, s19, v100, -v68
	s_delay_alu instid0(VALU_DEP_4) | instskip(SKIP_1) | instid1(VALU_DEP_3)
	v_dual_add_f32 v70, 0, v80 :: v_dual_mul_f32 v69, 0x3fb8aa3b, v69
	s_mov_b32 s3, exec_lo
	v_exp_f32_e32 v71, v71
	s_delay_alu instid0(TRANS32_DEP_2) | instskip(SKIP_4) | instid1(VALU_DEP_3)
	v_cndmask_b32_e64 v86, 0, v77, s6
	v_fma_f32 v77, s19, v101, -v68
	v_mul_f32_e32 v78, 0x3fb8aa3b, v78
	v_add_f32_e32 v70, v70, v76
	v_exp_f32_e32 v69, v69
	v_mul_f32_e32 v77, 0x3fb8aa3b, v77
	s_delay_alu instid0(VALU_DEP_3) | instskip(NEXT) | instid1(TRANS32_DEP_3)
	v_exp_f32_e32 v78, v78
	v_cndmask_b32_e64 v88, 0, v71, s9
	v_fma_f32 v71, s19, v104, -v68
	s_delay_alu instid0(VALU_DEP_3) | instskip(NEXT) | instid1(TRANS32_DEP_3)
	v_exp_f32_e32 v77, v77
	v_cndmask_b32_e64 v87, 0, v69, s7
	s_delay_alu instid0(VALU_DEP_2)
	v_mul_f32_e32 v71, 0x3fb8aa3b, v71
	s_waitcnt_depctr 0xfff
	v_cndmask_b32_e64 v84, 0, v78, s8
	v_add_f32_e32 v70, v70, v83
	v_fma_f32 v78, s19, v103, -v68
	v_exp_f32_e32 v82, v71
	s_delay_alu instid0(VALU_DEP_2) | instskip(SKIP_1) | instid1(VALU_DEP_3)
	v_add_f32_e32 v70, v70, v85
	v_mul_f32_e32 v72, 0x3fb8aa3b, v72
	v_mul_f32_e32 v78, 0x3fb8aa3b, v78
	s_delay_alu instid0(VALU_DEP_3) | instskip(SKIP_1) | instid1(VALU_DEP_4)
	v_add_f32_e32 v69, v70, v86
	v_fma_f32 v70, s19, v102, -v68
	v_exp_f32_e32 v72, v72
	s_delay_alu instid0(VALU_DEP_3) | instskip(NEXT) | instid1(VALU_DEP_1)
	v_exp_f32_e32 v78, v78
	v_dual_add_f32 v69, v69, v87 :: v_dual_mul_f32 v70, 0x3fb8aa3b, v70
	s_delay_alu instid0(VALU_DEP_1) | instskip(NEXT) | instid1(VALU_DEP_2)
	v_add_f32_e32 v69, v69, v84
	v_exp_f32_e32 v79, v70
	s_delay_alu instid0(TRANS32_DEP_3) | instskip(NEXT) | instid1(VALU_DEP_2)
	v_cndmask_b32_e64 v70, 0, v72, s10
	v_add_f32_e32 v72, v69, v88
	v_cndmask_b32_e64 v69, 0, v77, s11
	v_fma_f32 v77, s19, v106, -v68
	s_waitcnt_depctr 0xfff
	v_cndmask_b32_e64 v71, 0, v79, s12
	v_dual_mul_f32 v77, 0x3fb8aa3b, v77 :: v_dual_add_f32 v72, v72, v70
	s_delay_alu instid0(VALU_DEP_1) | instskip(NEXT) | instid1(VALU_DEP_1)
	v_exp_f32_e32 v90, v77
	v_add_f32_e32 v79, v72, v69
	v_cndmask_b32_e64 v72, 0, v78, s13
	v_cndmask_b32_e64 v77, 0, v82, s15
	s_delay_alu instid0(VALU_DEP_3) | instskip(SKIP_1) | instid1(VALU_DEP_1)
	v_add_f32_e32 v78, v79, v71
	v_fma_f32 v79, s19, v107, -v68
	v_dual_add_f32 v82, v78, v72 :: v_dual_mul_f32 v79, 0x3fb8aa3b, v79
	v_cndmask_b32_e64 v78, 0, v81, s16
	s_delay_alu instid0(VALU_DEP_2) | instskip(NEXT) | instid1(VALU_DEP_3)
	v_add_f32_e32 v81, v82, v77
	v_exp_f32_e32 v82, v79
	v_cndmask_b32_e64 v79, 0, v90, s17
	s_delay_alu instid0(VALU_DEP_2) | instskip(NEXT) | instid1(VALU_DEP_1)
	v_add_f32_e32 v81, v81, v78
	v_add_f32_e32 v90, v81, v79
	s_waitcnt_depctr 0xfff
	v_cndmask_b32_e64 v81, 0, v82, s18
	s_delay_alu instid0(VALU_DEP_1)
	v_add_f32_e32 v82, v90, v81
	ds_bpermute_b32 v89, v89, v82
	v_cmpx_gt_u32_e32 16, v67
	s_cbranch_execz .LBB1405_12
; %bb.11:
	v_mul_u32_u24_e32 v67, 0x44, v65
	s_delay_alu instid0(VALU_DEP_1) | instskip(SKIP_1) | instid1(VALU_DEP_1)
	v_lshl_add_u32 v67, v66, 2, v67
	s_waitcnt lgkmcnt(0)
	v_dual_add_f32 v82, v82, v89 :: v_dual_add_nc_u32 v67, 0x4000, v67
	ds_store_2addr_b32 v67, v68, v82 offset1:136
.LBB1405_12:
	s_or_b32 exec_lo, exec_lo, s3
	v_lshlrev_b32_e32 v67, 2, v66
	s_waitcnt lgkmcnt(0)
	s_barrier
	buffer_gl0_inv
	v_cmp_eq_u32_e32 vcc_lo, 1, v65
	v_add_nc_u32_e32 v82, 0x4000, v67
	v_cmp_eq_u32_e64 s3, 2, v65
	v_cmp_eq_u32_e64 s5, 7, v65
	ds_load_2addr_b32 v[89:90], v82 offset1:17
	ds_load_2addr_b32 v[91:92], v82 offset0:34 offset1:51
	ds_load_2addr_b32 v[93:94], v82 offset0:68 offset1:85
	;; [unrolled: 1-line block ×4, first 2 shown]
	s_waitcnt lgkmcnt(4)
	v_max3_f32 v67, v89, 0xff7fffff, v90
	s_waitcnt lgkmcnt(3)
	s_delay_alu instid0(VALU_DEP_1) | instskip(SKIP_1) | instid1(VALU_DEP_1)
	v_max3_f32 v67, v67, v91, v92
	s_waitcnt lgkmcnt(2)
	v_max3_f32 v67, v67, v93, v94
	s_waitcnt lgkmcnt(1)
	s_delay_alu instid0(VALU_DEP_1) | instskip(NEXT) | instid1(VALU_DEP_1)
	v_max3_f32 v67, v67, v95, v96
	v_sub_f32_e32 v93, v93, v67
	s_delay_alu instid0(VALU_DEP_1) | instskip(NEXT) | instid1(VALU_DEP_1)
	v_dual_sub_f32 v68, v89, v67 :: v_dual_mul_f32 v103, 0x3fb8aa3b, v93
	v_mul_f32_e32 v68, 0x3fb8aa3b, v68
	s_delay_alu instid0(VALU_DEP_1)
	v_exp_f32_e32 v100, v68
	v_sub_f32_e32 v68, v92, v67
	v_sub_f32_e32 v99, v90, v67
	ds_load_2addr_b32 v[89:90], v82 offset0:170 offset1:187
	v_dual_mul_f32 v102, 0x3fb8aa3b, v68 :: v_dual_mul_f32 v99, 0x3fb8aa3b, v99
	s_waitcnt lgkmcnt(1)
	v_fma_f32 v68, v100, v97, 0
	s_delay_alu instid0(VALU_DEP_2) | instskip(NEXT) | instid1(VALU_DEP_2)
	v_exp_f32_e32 v102, v102
	v_exp_f32_e32 v99, v99
	s_waitcnt_depctr 0xfff
	v_fmac_f32_e32 v68, v99, v98
	v_sub_f32_e32 v91, v91, v67
	s_delay_alu instid0(VALU_DEP_1)
	v_mul_f32_e32 v101, 0x3fb8aa3b, v91
	ds_load_2addr_b32 v[91:92], v82 offset0:204 offset1:221
	v_sub_f32_e32 v97, v94, v67
	ds_load_2addr_b32 v[93:94], v82 offset0:238 offset1:255
	s_waitcnt lgkmcnt(0)
	v_exp_f32_e32 v101, v101
	s_barrier
	buffer_gl0_inv
	v_dual_fmac_f32 v68, v101, v89 :: v_dual_sub_f32 v89, v96, v67
	v_dual_sub_f32 v82, v95, v67 :: v_dual_mul_f32 v95, 0x3fb8aa3b, v97
	v_exp_f32_e32 v97, v103
	s_delay_alu instid0(VALU_DEP_2) | instskip(NEXT) | instid1(VALU_DEP_2)
	v_dual_fmac_f32 v68, v102, v90 :: v_dual_mul_f32 v89, 0x3fb8aa3b, v89
	v_mul_f32_e32 v82, 0x3fb8aa3b, v82
	s_delay_alu instid0(VALU_DEP_3) | instskip(NEXT) | instid1(VALU_DEP_2)
	v_exp_f32_e32 v95, v95
	v_exp_f32_e32 v89, v89
	s_delay_alu instid0(VALU_DEP_1)
	v_exp_f32_e32 v82, v82
	v_fmac_f32_e32 v68, v97, v91
	s_delay_alu instid0(TRANS32_DEP_3) | instid1(VALU_DEP_1)
	v_fmac_f32_e32 v68, v95, v92
	s_waitcnt_depctr 0xfff
	v_fmac_f32_e32 v68, v82, v93
	s_delay_alu instid0(VALU_DEP_1) | instskip(NEXT) | instid1(VALU_DEP_1)
	v_fmac_f32_e32 v68, v89, v94
	v_add_f32_e32 v90, 0x358637bd, v68
	s_delay_alu instid0(VALU_DEP_1) | instskip(NEXT) | instid1(VALU_DEP_1)
	v_div_scale_f32 v91, null, v90, v90, 1.0
	v_rcp_f32_e32 v92, v91
	s_waitcnt_depctr 0xfff
	v_fma_f32 v93, -v91, v92, 1.0
	s_delay_alu instid0(VALU_DEP_1) | instskip(SKIP_1) | instid1(VALU_DEP_2)
	v_dual_fmac_f32 v92, v93, v92 :: v_dual_cndmask_b32 v93, v100, v99
	v_cmp_eq_u32_e32 vcc_lo, 3, v65
	v_cndmask_b32_e64 v93, v93, v101, s3
	v_cmp_eq_u32_e64 s3, 4, v65
	s_delay_alu instid0(VALU_DEP_2) | instskip(SKIP_1) | instid1(VALU_DEP_2)
	v_cndmask_b32_e32 v93, v93, v102, vcc_lo
	v_cmp_eq_u32_e32 vcc_lo, 5, v65
	v_cndmask_b32_e64 v93, v93, v97, s3
	v_cmp_eq_u32_e64 s3, 6, v65
	s_delay_alu instid0(VALU_DEP_2) | instskip(SKIP_1) | instid1(VALU_DEP_1)
	v_cndmask_b32_e32 v93, v93, v95, vcc_lo
	v_div_scale_f32 v94, s4, 1.0, v90, 1.0
	s_mov_b32 vcc_lo, s4
	s_delay_alu instid0(VALU_DEP_2) | instskip(NEXT) | instid1(VALU_DEP_2)
	v_cndmask_b32_e64 v82, v93, v82, s3
	v_mul_f32_e32 v96, v94, v92
	s_mov_b32 s3, exec_lo
	s_delay_alu instid0(VALU_DEP_2) | instskip(NEXT) | instid1(VALU_DEP_2)
	v_cndmask_b32_e64 v82, v82, v89, s5
	v_fma_f32 v98, -v91, v96, v94
	s_delay_alu instid0(VALU_DEP_1) | instskip(NEXT) | instid1(VALU_DEP_1)
	v_fmac_f32_e32 v96, v98, v92
	v_fma_f32 v91, -v91, v96, v94
	s_delay_alu instid0(VALU_DEP_1) | instskip(NEXT) | instid1(VALU_DEP_1)
	v_div_fmas_f32 v91, v91, v92, v96
	v_div_fixup_f32 v90, v91, v90, 1.0
	s_delay_alu instid0(VALU_DEP_1) | instskip(NEXT) | instid1(VALU_DEP_1)
	v_mul_f32_e32 v82, v82, v90
	v_mul_f32_e32 v87, v82, v87
	;; [unrolled: 1-line block ×7, first 2 shown]
	v_dual_mul_f32 v86, v82, v83 :: v_dual_and_b32 v91, 0x7f800000, v90
	v_mul_f32_e32 v85, v82, v76
                                        ; implicit-def: $vgpr76
	s_delay_alu instid0(VALU_DEP_2)
	v_cmpx_ne_u32_e32 0x7f800000, v91
	s_xor_b32 s3, exec_lo, s3
; %bb.13:
	v_bfe_u32 v76, v90, 16, 1
	s_delay_alu instid0(VALU_DEP_1)
	v_add3_u32 v76, v90, v76, 0x7fff
                                        ; implicit-def: $vgpr90
; %bb.14:
	s_and_not1_saveexec_b32 s3, s3
; %bb.15:
	v_and_b32_e32 v76, 0xffff, v90
	v_or_b32_e32 v83, 0x10000, v90
	s_delay_alu instid0(VALU_DEP_2) | instskip(NEXT) | instid1(VALU_DEP_2)
	v_cmp_eq_u32_e32 vcc_lo, 0, v76
	v_cndmask_b32_e32 v76, v83, v90, vcc_lo
; %bb.16:
	s_or_b32 exec_lo, exec_lo, s3
	v_and_b32_e32 v83, 0x7f800000, v85
	s_delay_alu instid0(VALU_DEP_1) | instskip(SKIP_1) | instid1(SALU_CYCLE_1)
	v_cmp_ne_u32_e32 vcc_lo, 0x7f800000, v83
                                        ; implicit-def: $vgpr83
	s_and_saveexec_b32 s3, vcc_lo
	s_xor_b32 s3, exec_lo, s3
; %bb.17:
	v_bfe_u32 v83, v85, 16, 1
	s_delay_alu instid0(VALU_DEP_1)
	v_add3_u32 v83, v85, v83, 0x7fff
                                        ; implicit-def: $vgpr85
; %bb.18:
	s_and_not1_saveexec_b32 s3, s3
; %bb.19:
	v_and_b32_e32 v83, 0xffff, v85
	v_or_b32_e32 v90, 0x10000, v85
	s_delay_alu instid0(VALU_DEP_2) | instskip(NEXT) | instid1(VALU_DEP_2)
	v_cmp_eq_u32_e32 vcc_lo, 0, v83
	v_cndmask_b32_e32 v83, v90, v85, vcc_lo
; %bb.20:
	s_or_b32 exec_lo, exec_lo, s3
	v_and_b32_e32 v85, 0x7f800000, v86
	s_delay_alu instid0(VALU_DEP_1) | instskip(SKIP_1) | instid1(SALU_CYCLE_1)
	v_cmp_ne_u32_e32 vcc_lo, 0x7f800000, v85
                                        ; implicit-def: $vgpr85
	s_and_saveexec_b32 s3, vcc_lo
	s_xor_b32 s3, exec_lo, s3
; %bb.21:
	v_bfe_u32 v85, v86, 16, 1
	s_delay_alu instid0(VALU_DEP_1)
	v_add3_u32 v85, v86, v85, 0x7fff
                                        ; implicit-def: $vgpr86
; %bb.22:
	s_and_not1_saveexec_b32 s3, s3
; %bb.23:
	v_and_b32_e32 v85, 0xffff, v86
	v_or_b32_e32 v90, 0x10000, v86
	s_delay_alu instid0(VALU_DEP_2) | instskip(NEXT) | instid1(VALU_DEP_2)
	v_cmp_eq_u32_e32 vcc_lo, 0, v85
	v_cndmask_b32_e32 v85, v90, v86, vcc_lo
; %bb.24:
	s_or_b32 exec_lo, exec_lo, s3
	v_and_b32_e32 v86, 0x7f800000, v89
	s_delay_alu instid0(VALU_DEP_1) | instskip(SKIP_1) | instid1(SALU_CYCLE_1)
	v_cmp_ne_u32_e32 vcc_lo, 0x7f800000, v86
                                        ; implicit-def: $vgpr86
	s_and_saveexec_b32 s3, vcc_lo
	s_xor_b32 s3, exec_lo, s3
; %bb.25:
	v_bfe_u32 v86, v89, 16, 1
	s_delay_alu instid0(VALU_DEP_1)
	v_add3_u32 v86, v89, v86, 0x7fff
                                        ; implicit-def: $vgpr89
; %bb.26:
	s_and_not1_saveexec_b32 s3, s3
; %bb.27:
	v_and_b32_e32 v86, 0xffff, v89
	v_or_b32_e32 v90, 0x10000, v89
	s_delay_alu instid0(VALU_DEP_2) | instskip(NEXT) | instid1(VALU_DEP_2)
	v_cmp_eq_u32_e32 vcc_lo, 0, v86
	v_cndmask_b32_e32 v86, v90, v89, vcc_lo
; %bb.28:
	s_or_b32 exec_lo, exec_lo, s3
	v_and_b32_e32 v89, 0x7f800000, v88
	s_delay_alu instid0(VALU_DEP_1) | instskip(SKIP_1) | instid1(SALU_CYCLE_1)
	v_cmp_ne_u32_e32 vcc_lo, 0x7f800000, v89
                                        ; implicit-def: $vgpr89
	s_and_saveexec_b32 s3, vcc_lo
	s_xor_b32 s3, exec_lo, s3
; %bb.29:
	v_bfe_u32 v89, v88, 16, 1
	s_delay_alu instid0(VALU_DEP_1)
	v_add3_u32 v89, v88, v89, 0x7fff
                                        ; implicit-def: $vgpr88
; %bb.30:
	s_and_not1_saveexec_b32 s3, s3
; %bb.31:
	v_and_b32_e32 v89, 0xffff, v88
	v_or_b32_e32 v90, 0x10000, v88
	s_delay_alu instid0(VALU_DEP_2) | instskip(NEXT) | instid1(VALU_DEP_2)
	v_cmp_eq_u32_e32 vcc_lo, 0, v89
	v_cndmask_b32_e32 v89, v90, v88, vcc_lo
; %bb.32:
	s_or_b32 exec_lo, exec_lo, s3
	v_and_b32_e32 v88, 0x7f800000, v87
	s_delay_alu instid0(VALU_DEP_1) | instskip(SKIP_1) | instid1(SALU_CYCLE_1)
	v_cmp_ne_u32_e32 vcc_lo, 0x7f800000, v88
                                        ; implicit-def: $vgpr88
	s_and_saveexec_b32 s3, vcc_lo
	s_xor_b32 s3, exec_lo, s3
; %bb.33:
	v_bfe_u32 v88, v87, 16, 1
	s_delay_alu instid0(VALU_DEP_1)
	v_add3_u32 v88, v87, v88, 0x7fff
                                        ; implicit-def: $vgpr87
; %bb.34:
	s_and_not1_saveexec_b32 s3, s3
; %bb.35:
	v_and_b32_e32 v88, 0xffff, v87
	v_or_b32_e32 v90, 0x10000, v87
	s_delay_alu instid0(VALU_DEP_2) | instskip(NEXT) | instid1(VALU_DEP_2)
	v_cmp_eq_u32_e32 vcc_lo, 0, v88
	v_cndmask_b32_e32 v88, v90, v87, vcc_lo
; %bb.36:
	s_or_b32 exec_lo, exec_lo, s3
	v_and_b32_e32 v87, 0x7f800000, v84
	s_delay_alu instid0(VALU_DEP_1) | instskip(SKIP_1) | instid1(SALU_CYCLE_1)
	v_cmp_ne_u32_e32 vcc_lo, 0x7f800000, v87
                                        ; implicit-def: $vgpr87
	s_and_saveexec_b32 s3, vcc_lo
	s_xor_b32 s3, exec_lo, s3
; %bb.37:
	v_bfe_u32 v87, v84, 16, 1
	s_delay_alu instid0(VALU_DEP_1)
	v_add3_u32 v87, v84, v87, 0x7fff
                                        ; implicit-def: $vgpr84
; %bb.38:
	s_and_not1_saveexec_b32 s3, s3
; %bb.39:
	v_and_b32_e32 v87, 0xffff, v84
	v_or_b32_e32 v90, 0x10000, v84
	s_delay_alu instid0(VALU_DEP_2) | instskip(NEXT) | instid1(VALU_DEP_2)
	v_cmp_eq_u32_e32 vcc_lo, 0, v87
	v_cndmask_b32_e32 v87, v90, v84, vcc_lo
; %bb.40:
	s_or_b32 exec_lo, exec_lo, s3
	v_and_b32_e32 v84, 0x7f800000, v80
	s_delay_alu instid0(VALU_DEP_1) | instskip(SKIP_1) | instid1(SALU_CYCLE_1)
	v_cmp_ne_u32_e32 vcc_lo, 0x7f800000, v84
                                        ; implicit-def: $vgpr84
	s_and_saveexec_b32 s3, vcc_lo
	s_xor_b32 s3, exec_lo, s3
; %bb.41:
	v_bfe_u32 v84, v80, 16, 1
	s_delay_alu instid0(VALU_DEP_1)
	v_add3_u32 v84, v80, v84, 0x7fff
                                        ; implicit-def: $vgpr80
; %bb.42:
	s_and_not1_saveexec_b32 s3, s3
; %bb.43:
	v_and_b32_e32 v84, 0xffff, v80
	v_or_b32_e32 v90, 0x10000, v80
	s_delay_alu instid0(VALU_DEP_2) | instskip(NEXT) | instid1(VALU_DEP_2)
	v_cmp_eq_u32_e32 vcc_lo, 0, v84
	v_cndmask_b32_e32 v84, v90, v80, vcc_lo
; %bb.44:
	s_or_b32 exec_lo, exec_lo, s3
	s_load_b64 s[34:35], s[0:1], 0x94
	v_lshlrev_b32_e32 v91, 4, v75
	s_delay_alu instid0(VALU_DEP_2)
	v_perm_b32 v90, v84, v87, 0x7060302
	v_dual_mul_f32 v77, v82, v77 :: v_dual_lshlrev_b32 v80, 6, v66
	v_lshlrev_b32_e32 v66, 11, v65
	v_perm_b32 v87, v83, v76, 0x7060302
	v_mul_f32_e32 v83, v82, v70
	v_perm_b32 v89, v88, v89, 0x7060302
	v_perm_b32 v88, v86, v85, 0x7060302
	v_or3_b32 v76, v91, v66, v80
	v_mul_f32_e32 v66, v82, v81
	v_mul_f32_e32 v70, v82, v79
	;; [unrolled: 1-line block ×3, first 2 shown]
	v_dual_mul_f32 v81, v82, v72 :: v_dual_and_b32 v84, 0x7f800000, v83
	v_mul_f32_e32 v79, v82, v71
	v_mul_f32_e32 v72, v82, v69
	s_mov_b32 s3, exec_lo
	ds_store_b128 v76, v[87:90]
                                        ; implicit-def: $vgpr69
	v_cmpx_ne_u32_e32 0x7f800000, v84
	s_xor_b32 s3, exec_lo, s3
; %bb.45:
	v_bfe_u32 v69, v83, 16, 1
	s_delay_alu instid0(VALU_DEP_1)
	v_add3_u32 v69, v83, v69, 0x7fff
                                        ; implicit-def: $vgpr83
; %bb.46:
	s_and_not1_saveexec_b32 s3, s3
; %bb.47:
	v_and_b32_e32 v69, 0xffff, v83
	v_or_b32_e32 v71, 0x10000, v83
	s_delay_alu instid0(VALU_DEP_2) | instskip(NEXT) | instid1(VALU_DEP_2)
	v_cmp_eq_u32_e32 vcc_lo, 0, v69
	v_cndmask_b32_e32 v69, v71, v83, vcc_lo
; %bb.48:
	s_or_b32 exec_lo, exec_lo, s3
	v_and_b32_e32 v71, 0x7f800000, v72
	s_delay_alu instid0(VALU_DEP_1) | instskip(SKIP_1) | instid1(SALU_CYCLE_1)
	v_cmp_ne_u32_e32 vcc_lo, 0x7f800000, v71
                                        ; implicit-def: $vgpr71
	s_and_saveexec_b32 s3, vcc_lo
	s_xor_b32 s3, exec_lo, s3
; %bb.49:
	v_bfe_u32 v71, v72, 16, 1
	s_delay_alu instid0(VALU_DEP_1)
	v_add3_u32 v71, v72, v71, 0x7fff
                                        ; implicit-def: $vgpr72
; %bb.50:
	s_and_not1_saveexec_b32 s3, s3
; %bb.51:
	v_and_b32_e32 v71, 0xffff, v72
	v_or_b32_e32 v82, 0x10000, v72
	s_delay_alu instid0(VALU_DEP_2) | instskip(NEXT) | instid1(VALU_DEP_2)
	v_cmp_eq_u32_e32 vcc_lo, 0, v71
	v_cndmask_b32_e32 v71, v82, v72, vcc_lo
; %bb.52:
	s_or_b32 exec_lo, exec_lo, s3
	v_and_b32_e32 v72, 0x7f800000, v79
	s_delay_alu instid0(VALU_DEP_1) | instskip(SKIP_1) | instid1(SALU_CYCLE_1)
	v_cmp_ne_u32_e32 vcc_lo, 0x7f800000, v72
                                        ; implicit-def: $vgpr72
	s_and_saveexec_b32 s3, vcc_lo
	s_xor_b32 s3, exec_lo, s3
; %bb.53:
	v_bfe_u32 v72, v79, 16, 1
	s_delay_alu instid0(VALU_DEP_1)
	v_add3_u32 v72, v79, v72, 0x7fff
                                        ; implicit-def: $vgpr79
; %bb.54:
	s_and_not1_saveexec_b32 s3, s3
; %bb.55:
	v_and_b32_e32 v72, 0xffff, v79
	v_or_b32_e32 v82, 0x10000, v79
	s_delay_alu instid0(VALU_DEP_2) | instskip(NEXT) | instid1(VALU_DEP_2)
	v_cmp_eq_u32_e32 vcc_lo, 0, v72
	v_cndmask_b32_e32 v72, v82, v79, vcc_lo
; %bb.56:
	s_or_b32 exec_lo, exec_lo, s3
	v_and_b32_e32 v79, 0x7f800000, v81
	s_delay_alu instid0(VALU_DEP_1) | instskip(SKIP_1) | instid1(SALU_CYCLE_1)
	v_cmp_ne_u32_e32 vcc_lo, 0x7f800000, v79
                                        ; implicit-def: $vgpr79
	s_and_saveexec_b32 s3, vcc_lo
	s_xor_b32 s3, exec_lo, s3
; %bb.57:
	v_bfe_u32 v79, v81, 16, 1
	s_delay_alu instid0(VALU_DEP_1)
	v_add3_u32 v79, v81, v79, 0x7fff
                                        ; implicit-def: $vgpr81
; %bb.58:
	s_and_not1_saveexec_b32 s3, s3
; %bb.59:
	v_and_b32_e32 v79, 0xffff, v81
	v_or_b32_e32 v82, 0x10000, v81
	s_delay_alu instid0(VALU_DEP_2) | instskip(NEXT) | instid1(VALU_DEP_2)
	v_cmp_eq_u32_e32 vcc_lo, 0, v79
	v_cndmask_b32_e32 v79, v82, v81, vcc_lo
; %bb.60:
	s_or_b32 exec_lo, exec_lo, s3
	v_and_b32_e32 v81, 0x7f800000, v77
	s_delay_alu instid0(VALU_DEP_1) | instskip(SKIP_1) | instid1(SALU_CYCLE_1)
	v_cmp_ne_u32_e32 vcc_lo, 0x7f800000, v81
                                        ; implicit-def: $vgpr81
	s_and_saveexec_b32 s3, vcc_lo
	s_xor_b32 s3, exec_lo, s3
; %bb.61:
	v_bfe_u32 v81, v77, 16, 1
	s_delay_alu instid0(VALU_DEP_1)
	v_add3_u32 v81, v77, v81, 0x7fff
                                        ; implicit-def: $vgpr77
; %bb.62:
	s_and_not1_saveexec_b32 s3, s3
; %bb.63:
	v_and_b32_e32 v81, 0xffff, v77
	v_or_b32_e32 v82, 0x10000, v77
	s_delay_alu instid0(VALU_DEP_2) | instskip(NEXT) | instid1(VALU_DEP_2)
	v_cmp_eq_u32_e32 vcc_lo, 0, v81
	v_cndmask_b32_e32 v81, v82, v77, vcc_lo
; %bb.64:
	s_or_b32 exec_lo, exec_lo, s3
	v_and_b32_e32 v77, 0x7f800000, v78
	s_delay_alu instid0(VALU_DEP_1) | instskip(SKIP_1) | instid1(SALU_CYCLE_1)
	v_cmp_ne_u32_e32 vcc_lo, 0x7f800000, v77
                                        ; implicit-def: $vgpr77
	s_and_saveexec_b32 s3, vcc_lo
	s_xor_b32 s3, exec_lo, s3
; %bb.65:
	v_bfe_u32 v77, v78, 16, 1
	s_delay_alu instid0(VALU_DEP_1)
	v_add3_u32 v77, v78, v77, 0x7fff
                                        ; implicit-def: $vgpr78
; %bb.66:
	s_and_not1_saveexec_b32 s3, s3
; %bb.67:
	v_and_b32_e32 v77, 0xffff, v78
	v_or_b32_e32 v82, 0x10000, v78
	s_delay_alu instid0(VALU_DEP_2) | instskip(NEXT) | instid1(VALU_DEP_2)
	v_cmp_eq_u32_e32 vcc_lo, 0, v77
	v_cndmask_b32_e32 v77, v82, v78, vcc_lo
; %bb.68:
	s_or_b32 exec_lo, exec_lo, s3
	v_and_b32_e32 v78, 0x7f800000, v70
	s_delay_alu instid0(VALU_DEP_1) | instskip(SKIP_1) | instid1(SALU_CYCLE_1)
	v_cmp_ne_u32_e32 vcc_lo, 0x7f800000, v78
                                        ; implicit-def: $vgpr78
	s_and_saveexec_b32 s3, vcc_lo
	s_xor_b32 s3, exec_lo, s3
; %bb.69:
	v_bfe_u32 v78, v70, 16, 1
	s_delay_alu instid0(VALU_DEP_1)
	v_add3_u32 v78, v70, v78, 0x7fff
                                        ; implicit-def: $vgpr70
; %bb.70:
	s_and_not1_saveexec_b32 s3, s3
; %bb.71:
	v_and_b32_e32 v78, 0xffff, v70
	v_or_b32_e32 v82, 0x10000, v70
	s_delay_alu instid0(VALU_DEP_2) | instskip(NEXT) | instid1(VALU_DEP_2)
	v_cmp_eq_u32_e32 vcc_lo, 0, v78
	v_cndmask_b32_e32 v78, v82, v70, vcc_lo
; %bb.72:
	s_or_b32 exec_lo, exec_lo, s3
	v_and_b32_e32 v70, 0x7f800000, v66
	s_delay_alu instid0(VALU_DEP_1) | instskip(SKIP_1) | instid1(SALU_CYCLE_1)
	v_cmp_ne_u32_e32 vcc_lo, 0x7f800000, v70
                                        ; implicit-def: $vgpr70
	s_and_saveexec_b32 s3, vcc_lo
	s_xor_b32 s3, exec_lo, s3
; %bb.73:
	v_bfe_u32 v70, v66, 16, 1
	s_delay_alu instid0(VALU_DEP_1)
	v_add3_u32 v70, v66, v70, 0x7fff
                                        ; implicit-def: $vgpr66
; %bb.74:
	s_and_not1_saveexec_b32 s3, s3
; %bb.75:
	v_and_b32_e32 v70, 0xffff, v66
	v_or_b32_e32 v82, 0x10000, v66
	s_delay_alu instid0(VALU_DEP_2) | instskip(NEXT) | instid1(VALU_DEP_2)
	v_cmp_eq_u32_e32 vcc_lo, 0, v70
	v_cndmask_b32_e32 v70, v82, v66, vcc_lo
; %bb.76:
	s_or_b32 exec_lo, exec_lo, s3
	s_delay_alu instid0(VALU_DEP_1)
	v_perm_b32 v86, v70, v78, 0x7060302
	v_perm_b32 v85, v77, v81, 0x7060302
	;; [unrolled: 1-line block ×4, first 2 shown]
	v_lshl_or_b32 v82, v65, 11, v80
	ds_store_b128 v76, v[83:86] offset:1024
	s_waitcnt lgkmcnt(0)
	s_barrier
	buffer_gl0_inv
	ds_load_b128 v[69:72], v82
	ds_load_b128 v[83:86], v82 offset:16
	s_waitcnt lgkmcnt(1)
	v_lshrrev_b32_e32 v65, 16, v69
	v_lshlrev_b32_e32 v78, 2, v75
	s_waitcnt lgkmcnt(0)
	v_lshrrev_b32_e32 v91, 16, v83
	v_lshrrev_b32_e32 v66, 16, v70
	;; [unrolled: 1-line block ×4, first 2 shown]
	v_cmp_eq_u32_e32 vcc_lo, 1, v78
	v_lshrrev_b32_e32 v98, 16, v85
	v_lshrrev_b32_e32 v96, 16, v72
	;; [unrolled: 1-line block ×3, first 2 shown]
	v_cndmask_b32_e32 v81, v69, v65, vcc_lo
	v_or_b32_e32 v79, 1, v78
	v_cmp_eq_u32_e64 s4, 2, v78
	v_cndmask_b32_e32 v87, v83, v91, vcc_lo
	v_cmp_eq_u32_e64 s7, 3, v78
	v_cmp_eq_u32_e64 s9, 4, v78
	;; [unrolled: 1-line block ×3, first 2 shown]
	v_cndmask_b32_e64 v81, v81, v70, s4
	v_cmp_eq_u32_e64 s6, 2, v79
	v_cndmask_b32_e64 v87, v87, v84, s4
	v_cmp_eq_u32_e64 s8, 3, v79
	v_cndmask_b32_e64 v88, v69, v65, s3
	v_cndmask_b32_e64 v81, v81, v66, s7
	v_or_b32_e32 v77, 2, v78
	v_cndmask_b32_e64 v87, v87, v97, s7
	v_cndmask_b32_e64 v89, v83, v91, s3
	;; [unrolled: 1-line block ×4, first 2 shown]
	v_cmp_eq_u32_e64 s10, 5, v78
	v_cndmask_b32_e64 v87, v87, v85, s9
	v_cmp_eq_u32_e64 s11, 4, v79
	v_cndmask_b32_e64 v88, v88, v66, s8
	;; [unrolled: 2-line block ×3, first 2 shown]
	v_cndmask_b32_e64 v81, v81, v95, s10
	v_cmp_eq_u32_e64 s12, 6, v78
	v_cndmask_b32_e64 v88, v88, v71, s11
	v_cndmask_b32_e64 v87, v87, v98, s10
	v_cmp_eq_u32_e64 s13, 5, v79
	v_cndmask_b32_e64 v90, v69, v65, s5
	v_cndmask_b32_e64 v89, v89, v97, s8
	;; [unrolled: 1-line block ×3, first 2 shown]
	v_cmp_eq_u32_e64 s15, 7, v78
	v_cndmask_b32_e64 v88, v88, v95, s13
	v_cndmask_b32_e64 v87, v87, v86, s12
	v_cmp_eq_u32_e64 s16, 6, v79
	v_cmp_eq_u32_e64 s17, 2, v77
	v_cndmask_b32_e64 v89, v89, v85, s11
	v_cndmask_b32_e64 v100, v81, v96, s15
	;; [unrolled: 1-line block ×6, first 2 shown]
	v_cmp_eq_u32_e64 s18, 7, v79
	v_cmp_eq_u32_e64 s19, 3, v77
	;; [unrolled: 1-line block ×4, first 2 shown]
	v_cndmask_b32_e64 v87, v87, v84, s17
	v_cndmask_b32_e64 v102, v88, v96, s18
	v_cndmask_b32_e64 v88, v89, v98, s13
	v_cndmask_b32_e64 v89, v81, v66, s19
	v_or_b32_e32 v81, 3, v78
	v_cndmask_b32_e64 v93, v87, v97, s19
	v_cmp_eq_u32_e64 s24, 6, v77
	v_cndmask_b32_e64 v103, v88, v86, s16
	v_cndmask_b32_e64 v92, v89, v71, s20
	v_cmp_eq_u32_e64 s21, 1, v81
	ds_load_b128 v[87:90], v82 offset:1024
	v_cmp_eq_u32_e64 s23, 2, v81
	v_cmp_eq_u32_e64 s25, 3, v81
	v_cndmask_b32_e64 v104, v92, v95, s22
	v_cndmask_b32_e64 v65, v69, v65, s21
	;; [unrolled: 1-line block ×4, first 2 shown]
	ds_load_b128 v[91:94], v82 offset:1040
	v_cmp_eq_u32_e64 s26, 4, v81
	v_cndmask_b32_e64 v65, v65, v70, s23
	v_cmp_eq_u32_e64 s28, 5, v81
	v_cndmask_b32_e64 v70, v83, v84, s23
	;; [unrolled: 2-line block ×3, first 2 shown]
	v_cndmask_b32_e64 v65, v65, v66, s25
	v_cndmask_b32_e64 v66, v104, v72, s24
	;; [unrolled: 1-line block ×3, first 2 shown]
	v_cmp_eq_u32_e64 s27, 7, v77
	v_cndmask_b32_e64 v69, v69, v86, s24
	v_cndmask_b32_e64 v65, v65, v71, s26
	s_waitcnt lgkmcnt(1)
	v_lshrrev_b32_e32 v84, 16, v87
	v_cndmask_b32_e64 v70, v70, v85, s26
	v_cndmask_b32_e64 v83, v103, v99, s18
	;; [unrolled: 1-line block ×4, first 2 shown]
	v_lshrrev_b32_e32 v95, 16, v88
	v_cndmask_b32_e64 v70, v70, v98, s28
	s_waitcnt lgkmcnt(0)
	v_lshrrev_b32_e32 v85, 16, v91
	v_cndmask_b32_e64 v97, v87, v84, s3
	v_cndmask_b32_e64 v65, v65, v72, s29
	v_cndmask_b32_e64 v69, v69, v99, s27
	v_cndmask_b32_e64 v70, v70, v86, s29
	v_cndmask_b32_e32 v71, v87, v84, vcc_lo
	v_cndmask_b32_e32 v98, v91, v85, vcc_lo
	v_cmp_eq_u32_e32 vcc_lo, 7, v81
	v_cndmask_b32_e64 v72, v97, v88, s6
	v_lshrrev_b32_e32 v97, 16, v92
	v_lshrrev_b32_e32 v103, 16, v90
	v_dual_cndmask_b32 v65, v65, v96 :: v_dual_cndmask_b32 v70, v70, v99
	v_cndmask_b32_e64 v71, v71, v88, s4
	v_cndmask_b32_e64 v86, v98, v92, s4
	;; [unrolled: 1-line block ×3, first 2 shown]
	v_lshrrev_b32_e32 v98, 16, v89
	v_lshrrev_b32_e32 v99, 16, v93
	v_cndmask_b32_e64 v71, v71, v95, s7
	v_cndmask_b32_e64 v86, v86, v97, s7
	;; [unrolled: 1-line block ×3, first 2 shown]
	v_perm_b32 v72, v70, v65, 0x5040100
	v_perm_b32 v70, v83, v102, 0x5040100
	v_cndmask_b32_e64 v71, v71, v89, s9
	v_cndmask_b32_e64 v86, v86, v93, s9
	;; [unrolled: 1-line block ×3, first 2 shown]
	v_lshrrev_b32_e32 v83, 16, v94
	s_delay_alu instid0(VALU_DEP_4) | instskip(NEXT) | instid1(VALU_DEP_4)
	v_cndmask_b32_e64 v71, v71, v98, s10
	v_cndmask_b32_e64 v86, v86, v99, s10
	s_delay_alu instid0(VALU_DEP_4) | instskip(NEXT) | instid1(VALU_DEP_3)
	v_cndmask_b32_e64 v65, v65, v90, s16
	v_cndmask_b32_e64 v96, v71, v90, s12
	v_perm_b32 v71, v69, v66, 0x5040100
	s_delay_alu instid0(VALU_DEP_4)
	v_cndmask_b32_e64 v69, v86, v94, s12
	v_cndmask_b32_e64 v86, v87, v84, s5
	;; [unrolled: 1-line block ×34, first 2 shown]
	v_cndmask_b32_e32 v84, v84, v103, vcc_lo
	v_cndmask_b32_e32 v86, v87, v83, vcc_lo
	v_cndmask_b32_e64 v87, v88, v83, s27
	v_cndmask_b32_e64 v88, v85, v83, s18
	;; [unrolled: 1-line block ×3, first 2 shown]
	v_perm_b32 v69, v101, v100, 0x5040100
	v_perm_b32 v86, v86, v84, 0x5040100
	;; [unrolled: 1-line block ×5, first 2 shown]
	s_lshl_b32 s8, s35, 2
	s_mov_b32 s3, exec_lo
	ds_store_b128 v76, v[69:72]
	ds_store_b128 v76, v[83:86] offset:1024
	v_cmpx_gt_u32_e32 4, v0
	s_cbranch_execz .LBB1405_78
; %bb.77:
	v_or_b32_e32 v65, s31, v0
	s_load_b128 s[4:7], s[0:1], 0x58
	s_delay_alu instid0(VALU_DEP_1) | instskip(NEXT) | instid1(VALU_DEP_1)
	v_mad_u64_u32 v[69:70], null, s8, s30, v[65:66]
	v_mad_u64_u32 v[65:66], null, v69, s34, s[14:15]
	s_delay_alu instid0(VALU_DEP_1) | instskip(NEXT) | instid1(VALU_DEP_1)
	v_ashrrev_i32_e32 v66, 31, v65
	v_lshlrev_b64 v[65:66], 2, v[65:66]
	s_waitcnt lgkmcnt(0)
	s_delay_alu instid0(VALU_DEP_1) | instskip(NEXT) | instid1(VALU_DEP_2)
	v_add_co_u32 v69, vcc_lo, s6, v65
	v_add_co_ci_u32_e32 v70, vcc_lo, s7, v66, vcc_lo
	v_add_co_u32 v65, vcc_lo, s4, v65
	v_add_co_ci_u32_e32 v66, vcc_lo, s5, v66, vcc_lo
	global_store_b32 v[69:70], v67, off
	global_store_b32 v[65:66], v68, off
.LBB1405_78:
	s_or_b32 exec_lo, exec_lo, s3
	s_waitcnt lgkmcnt(0)
	s_waitcnt_vscnt null, 0x0
	s_barrier
	buffer_gl0_inv
	ds_load_b128 v[83:86], v80
	ds_load_b128 v[87:90], v80 offset:16
	ds_load_b128 v[95:98], v80 offset:2064
	;; [unrolled: 1-line block ×3, first 2 shown]
	v_mov_b32_e32 v65, 0
	ds_load_b128 v[103:106], v80 offset:4112
	ds_load_b128 v[99:102], v80 offset:4096
	;; [unrolled: 1-line block ×4, first 2 shown]
	v_mov_b32_e32 v66, v65
	v_mov_b32_e32 v67, v65
	;; [unrolled: 1-line block ×7, first 2 shown]
	s_waitcnt lgkmcnt(6)
	s_delay_alu instid0(VALU_DEP_1)
	v_wmma_f32_16x16x16_bf16 v[65:72], v[57:64], v[83:90], v[65:72]
	ds_load_b128 v[61:64], v80 offset:8208
	ds_load_b128 v[57:60], v80 offset:8192
	s_waitcnt lgkmcnt(6)
	v_wmma_f32_16x16x16_bf16 v[65:72], v[41:48], v[91:98], v[65:72]
	ds_load_b128 v[45:48], v80 offset:10256
	ds_load_b128 v[41:44], v80 offset:10240
	s_waitcnt lgkmcnt(6)
	;; [unrolled: 4-line block ×4, first 2 shown]
	v_wmma_f32_16x16x16_bf16 v[65:72], v[1:8], v[57:64], v[65:72]
	s_waitcnt lgkmcnt(4)
	s_delay_alu instid0(VALU_DEP_1) | instskip(SKIP_1) | instid1(VALU_DEP_1)
	v_wmma_f32_16x16x16_bf16 v[65:72], v[9:16], v[41:48], v[65:72]
	s_waitcnt lgkmcnt(2)
	v_wmma_f32_16x16x16_bf16 v[65:72], v[17:24], v[33:40], v[65:72]
	s_waitcnt lgkmcnt(0)
	s_delay_alu instid0(VALU_DEP_1) | instskip(NEXT) | instid1(VALU_DEP_1)
	v_wmma_f32_16x16x16_bf16 v[65:72], v[49:56], v[25:32], v[65:72]
	v_and_b32_e32 v1, 0x7f800000, v65
	s_delay_alu instid0(VALU_DEP_1) | instskip(SKIP_1) | instid1(SALU_CYCLE_1)
	v_cmp_ne_u32_e32 vcc_lo, 0x7f800000, v1
                                        ; implicit-def: $vgpr1
	s_and_saveexec_b32 s3, vcc_lo
	s_xor_b32 s3, exec_lo, s3
; %bb.79:
	v_bfe_u32 v1, v65, 16, 1
	s_delay_alu instid0(VALU_DEP_1)
	v_add3_u32 v1, v65, v1, 0x7fff
; %bb.80:
	s_and_not1_saveexec_b32 s3, s3
; %bb.81:
	v_and_b32_e32 v1, 0xffff, v65
	v_or_b32_e32 v2, 0x10000, v65
	s_delay_alu instid0(VALU_DEP_2) | instskip(NEXT) | instid1(VALU_DEP_2)
	v_cmp_eq_u32_e32 vcc_lo, 0, v1
	v_cndmask_b32_e32 v1, v2, v65, vcc_lo
; %bb.82:
	s_or_b32 exec_lo, exec_lo, s3
	v_and_b32_e32 v2, 0x7f800000, v66
	s_delay_alu instid0(VALU_DEP_1) | instskip(SKIP_1) | instid1(SALU_CYCLE_1)
	v_cmp_ne_u32_e32 vcc_lo, 0x7f800000, v2
                                        ; implicit-def: $vgpr2
	s_and_saveexec_b32 s3, vcc_lo
	s_xor_b32 s3, exec_lo, s3
; %bb.83:
	v_bfe_u32 v2, v66, 16, 1
	s_delay_alu instid0(VALU_DEP_1)
	v_add3_u32 v2, v66, v2, 0x7fff
; %bb.84:
	s_and_not1_saveexec_b32 s3, s3
; %bb.85:
	v_and_b32_e32 v2, 0xffff, v66
	v_or_b32_e32 v3, 0x10000, v66
	s_delay_alu instid0(VALU_DEP_2) | instskip(NEXT) | instid1(VALU_DEP_2)
	v_cmp_eq_u32_e32 vcc_lo, 0, v2
	v_cndmask_b32_e32 v2, v3, v66, vcc_lo
; %bb.86:
	s_or_b32 exec_lo, exec_lo, s3
	v_and_b32_e32 v3, 0x7f800000, v67
	s_delay_alu instid0(VALU_DEP_1) | instskip(SKIP_1) | instid1(SALU_CYCLE_1)
	v_cmp_ne_u32_e32 vcc_lo, 0x7f800000, v3
                                        ; implicit-def: $vgpr3
	s_and_saveexec_b32 s3, vcc_lo
	s_xor_b32 s3, exec_lo, s3
; %bb.87:
	v_bfe_u32 v3, v67, 16, 1
	s_delay_alu instid0(VALU_DEP_1)
	v_add3_u32 v3, v67, v3, 0x7fff
; %bb.88:
	s_and_not1_saveexec_b32 s3, s3
; %bb.89:
	v_and_b32_e32 v3, 0xffff, v67
	v_or_b32_e32 v4, 0x10000, v67
	s_delay_alu instid0(VALU_DEP_2) | instskip(NEXT) | instid1(VALU_DEP_2)
	v_cmp_eq_u32_e32 vcc_lo, 0, v3
	v_cndmask_b32_e32 v3, v4, v67, vcc_lo
; %bb.90:
	s_or_b32 exec_lo, exec_lo, s3
	v_and_b32_e32 v4, 0x7f800000, v68
	s_delay_alu instid0(VALU_DEP_1) | instskip(SKIP_1) | instid1(SALU_CYCLE_1)
	v_cmp_ne_u32_e32 vcc_lo, 0x7f800000, v4
                                        ; implicit-def: $vgpr4
	s_and_saveexec_b32 s3, vcc_lo
	s_xor_b32 s3, exec_lo, s3
; %bb.91:
	v_bfe_u32 v4, v68, 16, 1
	s_delay_alu instid0(VALU_DEP_1)
	v_add3_u32 v4, v68, v4, 0x7fff
; %bb.92:
	s_and_not1_saveexec_b32 s3, s3
; %bb.93:
	v_and_b32_e32 v4, 0xffff, v68
	v_or_b32_e32 v5, 0x10000, v68
	s_delay_alu instid0(VALU_DEP_2) | instskip(NEXT) | instid1(VALU_DEP_2)
	v_cmp_eq_u32_e32 vcc_lo, 0, v4
	v_cndmask_b32_e32 v4, v5, v68, vcc_lo
; %bb.94:
	s_or_b32 exec_lo, exec_lo, s3
	v_and_b32_e32 v5, 0x7f800000, v69
	s_delay_alu instid0(VALU_DEP_1) | instskip(SKIP_1) | instid1(SALU_CYCLE_1)
	v_cmp_ne_u32_e32 vcc_lo, 0x7f800000, v5
                                        ; implicit-def: $vgpr5
	s_and_saveexec_b32 s3, vcc_lo
	s_xor_b32 s3, exec_lo, s3
; %bb.95:
	v_bfe_u32 v5, v69, 16, 1
	s_delay_alu instid0(VALU_DEP_1)
	v_add3_u32 v5, v69, v5, 0x7fff
; %bb.96:
	s_and_not1_saveexec_b32 s3, s3
; %bb.97:
	v_and_b32_e32 v5, 0xffff, v69
	v_or_b32_e32 v6, 0x10000, v69
	s_delay_alu instid0(VALU_DEP_2) | instskip(NEXT) | instid1(VALU_DEP_2)
	v_cmp_eq_u32_e32 vcc_lo, 0, v5
	v_cndmask_b32_e32 v5, v6, v69, vcc_lo
; %bb.98:
	s_or_b32 exec_lo, exec_lo, s3
	v_and_b32_e32 v6, 0x7f800000, v70
	s_delay_alu instid0(VALU_DEP_1) | instskip(SKIP_1) | instid1(SALU_CYCLE_1)
	v_cmp_ne_u32_e32 vcc_lo, 0x7f800000, v6
                                        ; implicit-def: $vgpr6
	s_and_saveexec_b32 s3, vcc_lo
	s_xor_b32 s3, exec_lo, s3
; %bb.99:
	v_bfe_u32 v6, v70, 16, 1
	s_delay_alu instid0(VALU_DEP_1)
	v_add3_u32 v6, v70, v6, 0x7fff
; %bb.100:
	s_and_not1_saveexec_b32 s3, s3
; %bb.101:
	v_and_b32_e32 v6, 0xffff, v70
	v_or_b32_e32 v7, 0x10000, v70
	s_delay_alu instid0(VALU_DEP_2) | instskip(NEXT) | instid1(VALU_DEP_2)
	v_cmp_eq_u32_e32 vcc_lo, 0, v6
	v_cndmask_b32_e32 v6, v7, v70, vcc_lo
; %bb.102:
	s_or_b32 exec_lo, exec_lo, s3
	v_and_b32_e32 v7, 0x7f800000, v71
	s_delay_alu instid0(VALU_DEP_1) | instskip(SKIP_1) | instid1(SALU_CYCLE_1)
	v_cmp_ne_u32_e32 vcc_lo, 0x7f800000, v7
                                        ; implicit-def: $vgpr7
	s_and_saveexec_b32 s3, vcc_lo
	s_xor_b32 s3, exec_lo, s3
; %bb.103:
	v_bfe_u32 v7, v71, 16, 1
	s_delay_alu instid0(VALU_DEP_1)
	v_add3_u32 v7, v71, v7, 0x7fff
; %bb.104:
	s_and_not1_saveexec_b32 s3, s3
; %bb.105:
	v_and_b32_e32 v7, 0xffff, v71
	v_or_b32_e32 v8, 0x10000, v71
	s_delay_alu instid0(VALU_DEP_2) | instskip(NEXT) | instid1(VALU_DEP_2)
	v_cmp_eq_u32_e32 vcc_lo, 0, v7
	v_cndmask_b32_e32 v7, v8, v71, vcc_lo
; %bb.106:
	s_or_b32 exec_lo, exec_lo, s3
	v_and_b32_e32 v8, 0x7f800000, v72
	s_delay_alu instid0(VALU_DEP_1) | instskip(SKIP_1) | instid1(SALU_CYCLE_1)
	v_cmp_ne_u32_e32 vcc_lo, 0x7f800000, v8
                                        ; implicit-def: $vgpr8
	s_and_saveexec_b32 s3, vcc_lo
	s_xor_b32 s3, exec_lo, s3
; %bb.107:
	v_bfe_u32 v8, v72, 16, 1
	s_delay_alu instid0(VALU_DEP_1)
	v_add3_u32 v8, v72, v8, 0x7fff
                                        ; implicit-def: $vgpr65_vgpr66_vgpr67_vgpr68_vgpr69_vgpr70_vgpr71_vgpr72
; %bb.108:
	s_and_not1_saveexec_b32 s3, s3
; %bb.109:
	v_and_b32_e32 v8, 0xffff, v72
	v_or_b32_e32 v9, 0x10000, v72
	s_delay_alu instid0(VALU_DEP_2) | instskip(NEXT) | instid1(VALU_DEP_2)
	v_cmp_eq_u32_e32 vcc_lo, 0, v8
	v_cndmask_b32_e32 v8, v9, v72, vcc_lo
; %bb.110:
	s_or_b32 exec_lo, exec_lo, s3
	s_delay_alu instid0(VALU_DEP_1)
	v_perm_b32 v7, v8, v7, 0x7060302
	v_perm_b32 v6, v6, v5, 0x7060302
	;; [unrolled: 1-line block ×4, first 2 shown]
	s_barrier
	buffer_gl0_inv
	v_cmp_eq_u32_e32 vcc_lo, 1, v78
	ds_store_b128 v76, v[4:7]
	s_waitcnt lgkmcnt(0)
	s_barrier
	buffer_gl0_inv
	ds_load_b128 v[1:4], v82
	ds_load_b128 v[5:8], v82 offset:16
	v_cmp_eq_u32_e64 s3, 1, v79
	v_cmp_eq_u32_e64 s4, 2, v78
	;; [unrolled: 1-line block ×5, first 2 shown]
	s_waitcnt lgkmcnt(1)
	v_lshrrev_b32_e32 v9, 16, v1
	s_waitcnt lgkmcnt(0)
	v_lshrrev_b32_e32 v13, 16, v5
	v_lshrrev_b32_e32 v10, 16, v2
	;; [unrolled: 1-line block ×4, first 2 shown]
	v_cndmask_b32_e64 v19, v1, v9, s3
	v_cndmask_b32_e32 v18, v5, v13, vcc_lo
	v_cndmask_b32_e64 v20, v5, v13, s3
	v_cndmask_b32_e32 v17, v1, v9, vcc_lo
	v_cmp_eq_u32_e32 vcc_lo, 2, v79
	v_lshrrev_b32_e32 v15, 16, v7
	v_cmp_eq_u32_e64 s3, 1, v77
	v_lshrrev_b32_e32 v12, 16, v4
	v_lshrrev_b32_e32 v16, 16, v8
	v_cndmask_b32_e32 v20, v20, v6, vcc_lo
	v_cndmask_b32_e64 v17, v17, v2, s4
	v_cndmask_b32_e32 v19, v19, v2, vcc_lo
	v_cndmask_b32_e64 v18, v18, v6, s4
	v_cmp_eq_u32_e32 vcc_lo, 4, v78
	v_cmp_eq_u32_e64 s4, 3, v79
	v_cndmask_b32_e64 v17, v17, v10, s5
	v_cndmask_b32_e64 v21, v1, v9, s3
	;; [unrolled: 1-line block ×5, first 2 shown]
	v_cndmask_b32_e32 v17, v17, v3, vcc_lo
	v_cndmask_b32_e64 v20, v20, v14, s4
	v_cndmask_b32_e32 v18, v18, v7, vcc_lo
	v_cmp_eq_u32_e32 vcc_lo, 4, v79
	v_cmp_eq_u32_e64 s4, 5, v79
	v_cmp_eq_u32_e64 s3, 2, v81
	v_cndmask_b32_e64 v21, v21, v2, s7
	v_cmp_eq_u32_e64 s5, 5, v78
	v_cndmask_b32_e32 v19, v19, v3, vcc_lo
	v_cndmask_b32_e32 v20, v20, v7, vcc_lo
	v_cmp_eq_u32_e32 vcc_lo, 6, v79
	s_delay_alu instid0(VALU_DEP_4) | instskip(NEXT) | instid1(VALU_DEP_4)
	v_cndmask_b32_e64 v17, v17, v11, s5
	v_cndmask_b32_e64 v19, v19, v11, s4
	s_delay_alu instid0(VALU_DEP_4) | instskip(SKIP_1) | instid1(VALU_DEP_3)
	v_cndmask_b32_e64 v20, v20, v15, s4
	v_cmp_eq_u32_e64 s4, 1, v81
	v_cndmask_b32_e32 v19, v19, v4, vcc_lo
	v_cndmask_b32_e64 v18, v18, v15, s5
	s_delay_alu instid0(VALU_DEP_3)
	v_cndmask_b32_e64 v1, v1, v9, s4
	v_cndmask_b32_e64 v5, v5, v13, s4
	v_cmp_eq_u32_e64 s4, 3, v77
	v_cndmask_b32_e64 v13, v22, v6, s7
	v_cmp_eq_u32_e64 s7, 3, v81
	v_cndmask_b32_e64 v1, v1, v2, s3
	v_cndmask_b32_e64 v2, v5, v6, s3
	;; [unrolled: 1-line block ×3, first 2 shown]
	v_cmp_eq_u32_e64 s3, 4, v77
	v_cndmask_b32_e64 v6, v13, v14, s4
	v_cndmask_b32_e64 v1, v1, v10, s7
	v_cmp_eq_u32_e64 s4, 4, v81
	v_cndmask_b32_e64 v2, v2, v14, s7
	v_cndmask_b32_e64 v5, v9, v3, s3
	;; [unrolled: 3-line block ×3, first 2 shown]
	v_cndmask_b32_e64 v2, v2, v7, s4
	v_cmp_eq_u32_e64 s3, 5, v81
	v_cmp_eq_u32_e64 s5, 6, v78
	v_cndmask_b32_e64 v5, v5, v11, s7
	v_cmp_eq_u32_e64 s4, 6, v77
	v_cndmask_b32_e64 v3, v6, v15, s7
	v_cndmask_b32_e64 v1, v1, v11, s3
	v_cmp_eq_u32_e64 s7, 6, v81
	v_cndmask_b32_e64 v2, v2, v15, s3
	v_cndmask_b32_e64 v17, v17, v4, s5
	v_cndmask_b32_e64 v18, v18, v8, s5
	v_cmp_eq_u32_e64 s5, 7, v78
	v_cndmask_b32_e64 v5, v5, v4, s4
	v_cndmask_b32_e64 v3, v3, v8, s4
	v_cndmask_b32_e64 v1, v1, v4, s7
	v_cmp_eq_u32_e64 s3, 7, v81
	v_cndmask_b32_e64 v2, v2, v8, s7
	v_cmp_eq_u32_e64 s4, 7, v77
	v_cndmask_b32_e32 v4, v20, v8, vcc_lo
	v_cndmask_b32_e64 v17, v17, v12, s5
	v_cndmask_b32_e64 v19, v19, v12, s6
	;; [unrolled: 1-line block ×8, first 2 shown]
	v_cmp_gt_u32_e32 vcc_lo, 32, v0
	v_perm_b32 v4, v2, v1, 0x5040100
	v_perm_b32 v3, v3, v5, 0x5040100
	;; [unrolled: 1-line block ×4, first 2 shown]
	s_and_b32 s2, vcc_lo, s2
	ds_store_b128 v76, v[1:4]
	s_waitcnt lgkmcnt(0)
	s_barrier
	buffer_gl0_inv
	s_and_saveexec_b32 s3, s2
	s_cbranch_execz .LBB1405_2
; %bb.111:
	s_load_b64 s[0:1], s[0:1], 0x68
	v_lshlrev_b32_e32 v0, 10, v0
	v_or_b32_e32 v1, s31, v75
	s_lshl_b32 s4, s34, 6
	v_lshlrev_b32_e32 v2, 4, v74
	s_mul_i32 s2, s4, s30
	v_lshlrev_b32_e32 v3, 6, v75
	v_mul_lo_u32 v8, v1, s4
	v_and_b32_e32 v0, 0x3800, v0
	v_or_b32_e32 v1, 2, v1
	s_mul_i32 s2, s2, s8
	s_delay_alu instid0(SALU_CYCLE_1) | instskip(NEXT) | instid1(VALU_DEP_2)
	s_ashr_i32 s3, s2, 31
	v_or3_b32 v4, v0, v2, v3
	s_lshl_b64 s[2:3], s[2:3], 1
	v_mul_lo_u32 v10, v1, s4
	v_ashrrev_i32_e32 v9, 31, v8
	ds_load_b128 v[0:3], v4
	ds_load_b128 v[4:7], v4 offset:128
	s_waitcnt lgkmcnt(0)
	s_add_u32 s2, s0, s2
	s_addc_u32 s3, s1, s3
	s_lshl_b32 s0, s14, 6
	v_ashrrev_i32_e32 v11, 31, v10
	s_ashr_i32 s1, s0, 31
	v_lshlrev_b64 v[8:9], 1, v[8:9]
	s_lshl_b64 s[0:1], s[0:1], 1
	s_delay_alu instid0(SALU_CYCLE_1) | instskip(SKIP_2) | instid1(VALU_DEP_1)
	s_add_u32 s0, s2, s0
	s_addc_u32 s1, s3, s1
	v_add_co_u32 v12, s0, s0, v73
	v_add_co_ci_u32_e64 v13, null, s1, 0, s0
	v_lshlrev_b64 v[10:11], 1, v[10:11]
	s_delay_alu instid0(VALU_DEP_3) | instskip(NEXT) | instid1(VALU_DEP_3)
	v_add_co_u32 v8, vcc_lo, v12, v8
	v_add_co_ci_u32_e32 v9, vcc_lo, v13, v9, vcc_lo
	s_delay_alu instid0(VALU_DEP_3) | instskip(NEXT) | instid1(VALU_DEP_4)
	v_add_co_u32 v10, vcc_lo, v12, v10
	v_add_co_ci_u32_e32 v11, vcc_lo, v13, v11, vcc_lo
	s_clause 0x1
	global_store_b128 v[8:9], v[0:3], off
	global_store_b128 v[10:11], v[4:7], off
	s_nop 0
	s_sendmsg sendmsg(MSG_DEALLOC_VGPRS)
	s_endpgm
	.section	.rodata,"a",@progbits
	.p2align	6, 0x0
	.amdhsa_kernel _Z39paged_attention_ll4mi_QKV_mfma16_kernelI14__hip_bfloat16hLN4vllm18Fp8KVCacheDataTypeE1ES0_Li16ELi64ELi256ELb1ELi4EL8MFMAType1EEvPKT_PKT0_S9_ifPKiSB_SB_iPKfiiiPfSE_PS4_PT2_iSD_SD_
		.amdhsa_group_segment_fixed_size 17472
		.amdhsa_private_segment_fixed_size 0
		.amdhsa_kernarg_size 400
		.amdhsa_user_sgpr_count 13
		.amdhsa_user_sgpr_dispatch_ptr 0
		.amdhsa_user_sgpr_queue_ptr 0
		.amdhsa_user_sgpr_kernarg_segment_ptr 1
		.amdhsa_user_sgpr_dispatch_id 0
		.amdhsa_user_sgpr_private_segment_size 0
		.amdhsa_wavefront_size32 1
		.amdhsa_uses_dynamic_stack 0
		.amdhsa_enable_private_segment 0
		.amdhsa_system_sgpr_workgroup_id_x 1
		.amdhsa_system_sgpr_workgroup_id_y 1
		.amdhsa_system_sgpr_workgroup_id_z 1
		.amdhsa_system_sgpr_workgroup_info 0
		.amdhsa_system_vgpr_workitem_id 0
		.amdhsa_next_free_vgpr 124
		.amdhsa_next_free_sgpr 38
		.amdhsa_reserve_vcc 1
		.amdhsa_float_round_mode_32 0
		.amdhsa_float_round_mode_16_64 0
		.amdhsa_float_denorm_mode_32 3
		.amdhsa_float_denorm_mode_16_64 3
		.amdhsa_dx10_clamp 1
		.amdhsa_ieee_mode 1
		.amdhsa_fp16_overflow 0
		.amdhsa_workgroup_processor_mode 1
		.amdhsa_memory_ordered 1
		.amdhsa_forward_progress 0
		.amdhsa_shared_vgpr_count 0
		.amdhsa_exception_fp_ieee_invalid_op 0
		.amdhsa_exception_fp_denorm_src 0
		.amdhsa_exception_fp_ieee_div_zero 0
		.amdhsa_exception_fp_ieee_overflow 0
		.amdhsa_exception_fp_ieee_underflow 0
		.amdhsa_exception_fp_ieee_inexact 0
		.amdhsa_exception_int_div_zero 0
	.end_amdhsa_kernel
	.section	.text._Z39paged_attention_ll4mi_QKV_mfma16_kernelI14__hip_bfloat16hLN4vllm18Fp8KVCacheDataTypeE1ES0_Li16ELi64ELi256ELb1ELi4EL8MFMAType1EEvPKT_PKT0_S9_ifPKiSB_SB_iPKfiiiPfSE_PS4_PT2_iSD_SD_,"axG",@progbits,_Z39paged_attention_ll4mi_QKV_mfma16_kernelI14__hip_bfloat16hLN4vllm18Fp8KVCacheDataTypeE1ES0_Li16ELi64ELi256ELb1ELi4EL8MFMAType1EEvPKT_PKT0_S9_ifPKiSB_SB_iPKfiiiPfSE_PS4_PT2_iSD_SD_,comdat
.Lfunc_end1405:
	.size	_Z39paged_attention_ll4mi_QKV_mfma16_kernelI14__hip_bfloat16hLN4vllm18Fp8KVCacheDataTypeE1ES0_Li16ELi64ELi256ELb1ELi4EL8MFMAType1EEvPKT_PKT0_S9_ifPKiSB_SB_iPKfiiiPfSE_PS4_PT2_iSD_SD_, .Lfunc_end1405-_Z39paged_attention_ll4mi_QKV_mfma16_kernelI14__hip_bfloat16hLN4vllm18Fp8KVCacheDataTypeE1ES0_Li16ELi64ELi256ELb1ELi4EL8MFMAType1EEvPKT_PKT0_S9_ifPKiSB_SB_iPKfiiiPfSE_PS4_PT2_iSD_SD_
                                        ; -- End function
	.section	.AMDGPU.csdata,"",@progbits
; Kernel info:
; codeLenInByte = 8604
; NumSgprs: 40
; NumVgprs: 124
; ScratchSize: 0
; MemoryBound: 0
; FloatMode: 240
; IeeeMode: 1
; LDSByteSize: 17472 bytes/workgroup (compile time only)
; SGPRBlocks: 4
; VGPRBlocks: 15
; NumSGPRsForWavesPerEU: 40
; NumVGPRsForWavesPerEU: 124
; Occupancy: 10
; WaveLimiterHint : 1
; COMPUTE_PGM_RSRC2:SCRATCH_EN: 0
; COMPUTE_PGM_RSRC2:USER_SGPR: 13
; COMPUTE_PGM_RSRC2:TRAP_HANDLER: 0
; COMPUTE_PGM_RSRC2:TGID_X_EN: 1
; COMPUTE_PGM_RSRC2:TGID_Y_EN: 1
; COMPUTE_PGM_RSRC2:TGID_Z_EN: 1
; COMPUTE_PGM_RSRC2:TIDIG_COMP_CNT: 0
	.section	.text._Z38paged_attention_ll4mi_QKV_mfma4_kernelI14__hip_bfloat16hLN4vllm18Fp8KVCacheDataTypeE1ES0_Li16ELi64ELi256ELb0ELi1EEvPKT_PKT0_S8_ifPKiSA_SA_iPKfiiiPfSD_PS3_PT2_iSC_SC_,"axG",@progbits,_Z38paged_attention_ll4mi_QKV_mfma4_kernelI14__hip_bfloat16hLN4vllm18Fp8KVCacheDataTypeE1ES0_Li16ELi64ELi256ELb0ELi1EEvPKT_PKT0_S8_ifPKiSA_SA_iPKfiiiPfSD_PS3_PT2_iSC_SC_,comdat
	.protected	_Z38paged_attention_ll4mi_QKV_mfma4_kernelI14__hip_bfloat16hLN4vllm18Fp8KVCacheDataTypeE1ES0_Li16ELi64ELi256ELb0ELi1EEvPKT_PKT0_S8_ifPKiSA_SA_iPKfiiiPfSD_PS3_PT2_iSC_SC_ ; -- Begin function _Z38paged_attention_ll4mi_QKV_mfma4_kernelI14__hip_bfloat16hLN4vllm18Fp8KVCacheDataTypeE1ES0_Li16ELi64ELi256ELb0ELi1EEvPKT_PKT0_S8_ifPKiSA_SA_iPKfiiiPfSD_PS3_PT2_iSC_SC_
	.globl	_Z38paged_attention_ll4mi_QKV_mfma4_kernelI14__hip_bfloat16hLN4vllm18Fp8KVCacheDataTypeE1ES0_Li16ELi64ELi256ELb0ELi1EEvPKT_PKT0_S8_ifPKiSA_SA_iPKfiiiPfSD_PS3_PT2_iSC_SC_
	.p2align	8
	.type	_Z38paged_attention_ll4mi_QKV_mfma4_kernelI14__hip_bfloat16hLN4vllm18Fp8KVCacheDataTypeE1ES0_Li16ELi64ELi256ELb0ELi1EEvPKT_PKT0_S8_ifPKiSA_SA_iPKfiiiPfSD_PS3_PT2_iSC_SC_,@function
_Z38paged_attention_ll4mi_QKV_mfma4_kernelI14__hip_bfloat16hLN4vllm18Fp8KVCacheDataTypeE1ES0_Li16ELi64ELi256ELb0ELi1EEvPKT_PKT0_S8_ifPKiSA_SA_iPKfiiiPfSD_PS3_PT2_iSC_SC_: ; @_Z38paged_attention_ll4mi_QKV_mfma4_kernelI14__hip_bfloat16hLN4vllm18Fp8KVCacheDataTypeE1ES0_Li16ELi64ELi256ELb0ELi1EEvPKT_PKT0_S8_ifPKiSA_SA_iPKfiiiPfSD_PS3_PT2_iSC_SC_
; %bb.0:
	s_add_u32 s8, s0, 0x90
	s_addc_u32 s9, s1, 0
	s_getpc_b64 s[0:1]
	s_add_u32 s0, s0, __PRETTY_FUNCTION__._Z38paged_attention_ll4mi_QKV_mfma4_kernelI14__hip_bfloat16hLN4vllm18Fp8KVCacheDataTypeE1ES0_Li16ELi64ELi256ELb0ELi1EEvPKT_PKT0_S8_ifPKiSA_SA_iPKfiiiPfSD_PS3_PT2_iSC_SC_@rel32@lo+4
	s_addc_u32 s1, s1, __PRETTY_FUNCTION__._Z38paged_attention_ll4mi_QKV_mfma4_kernelI14__hip_bfloat16hLN4vllm18Fp8KVCacheDataTypeE1ES0_Li16ELi64ELi256ELb0ELi1EEvPKT_PKT0_S8_ifPKiSA_SA_iPKfiiiPfSD_PS3_PT2_iSC_SC_@rel32@hi+12
	s_delay_alu instid0(SALU_CYCLE_1) | instskip(SKIP_4) | instid1(SALU_CYCLE_1)
	v_dual_mov_b32 v0, s0 :: v_dual_mov_b32 v1, s1
	s_mov_b32 s32, 0
	s_getpc_b64 s[2:3]
	s_add_u32 s2, s2, __assert_fail@rel32@lo+4
	s_addc_u32 s3, s3, __assert_fail@rel32@hi+12
	s_swappc_b64 s[30:31], s[2:3]
	.section	.rodata,"a",@progbits
	.p2align	6, 0x0
	.amdhsa_kernel _Z38paged_attention_ll4mi_QKV_mfma4_kernelI14__hip_bfloat16hLN4vllm18Fp8KVCacheDataTypeE1ES0_Li16ELi64ELi256ELb0ELi1EEvPKT_PKT0_S8_ifPKiSA_SA_iPKfiiiPfSD_PS3_PT2_iSC_SC_
		.amdhsa_group_segment_fixed_size 0
		.amdhsa_private_segment_fixed_size 64
		.amdhsa_kernarg_size 400
		.amdhsa_user_sgpr_count 15
		.amdhsa_user_sgpr_dispatch_ptr 0
		.amdhsa_user_sgpr_queue_ptr 0
		.amdhsa_user_sgpr_kernarg_segment_ptr 1
		.amdhsa_user_sgpr_dispatch_id 0
		.amdhsa_user_sgpr_private_segment_size 0
		.amdhsa_wavefront_size32 1
		.amdhsa_uses_dynamic_stack 0
		.amdhsa_enable_private_segment 1
		.amdhsa_system_sgpr_workgroup_id_x 1
		.amdhsa_system_sgpr_workgroup_id_y 0
		.amdhsa_system_sgpr_workgroup_id_z 0
		.amdhsa_system_sgpr_workgroup_info 0
		.amdhsa_system_vgpr_workitem_id 0
		.amdhsa_next_free_vgpr 41
		.amdhsa_next_free_sgpr 34
		.amdhsa_reserve_vcc 1
		.amdhsa_float_round_mode_32 0
		.amdhsa_float_round_mode_16_64 0
		.amdhsa_float_denorm_mode_32 3
		.amdhsa_float_denorm_mode_16_64 3
		.amdhsa_dx10_clamp 1
		.amdhsa_ieee_mode 1
		.amdhsa_fp16_overflow 0
		.amdhsa_workgroup_processor_mode 1
		.amdhsa_memory_ordered 1
		.amdhsa_forward_progress 0
		.amdhsa_shared_vgpr_count 0
		.amdhsa_exception_fp_ieee_invalid_op 0
		.amdhsa_exception_fp_denorm_src 0
		.amdhsa_exception_fp_ieee_div_zero 0
		.amdhsa_exception_fp_ieee_overflow 0
		.amdhsa_exception_fp_ieee_underflow 0
		.amdhsa_exception_fp_ieee_inexact 0
		.amdhsa_exception_int_div_zero 0
	.end_amdhsa_kernel
	.section	.text._Z38paged_attention_ll4mi_QKV_mfma4_kernelI14__hip_bfloat16hLN4vllm18Fp8KVCacheDataTypeE1ES0_Li16ELi64ELi256ELb0ELi1EEvPKT_PKT0_S8_ifPKiSA_SA_iPKfiiiPfSD_PS3_PT2_iSC_SC_,"axG",@progbits,_Z38paged_attention_ll4mi_QKV_mfma4_kernelI14__hip_bfloat16hLN4vllm18Fp8KVCacheDataTypeE1ES0_Li16ELi64ELi256ELb0ELi1EEvPKT_PKT0_S8_ifPKiSA_SA_iPKfiiiPfSD_PS3_PT2_iSC_SC_,comdat
.Lfunc_end1406:
	.size	_Z38paged_attention_ll4mi_QKV_mfma4_kernelI14__hip_bfloat16hLN4vllm18Fp8KVCacheDataTypeE1ES0_Li16ELi64ELi256ELb0ELi1EEvPKT_PKT0_S8_ifPKiSA_SA_iPKfiiiPfSD_PS3_PT2_iSC_SC_, .Lfunc_end1406-_Z38paged_attention_ll4mi_QKV_mfma4_kernelI14__hip_bfloat16hLN4vllm18Fp8KVCacheDataTypeE1ES0_Li16ELi64ELi256ELb0ELi1EEvPKT_PKT0_S8_ifPKiSA_SA_iPKfiiiPfSD_PS3_PT2_iSC_SC_
                                        ; -- End function
	.section	.AMDGPU.csdata,"",@progbits
; Kernel info:
; codeLenInByte = 72
; NumSgprs: 36
; NumVgprs: 41
; ScratchSize: 64
; MemoryBound: 0
; FloatMode: 240
; IeeeMode: 1
; LDSByteSize: 0 bytes/workgroup (compile time only)
; SGPRBlocks: 4
; VGPRBlocks: 5
; NumSGPRsForWavesPerEU: 36
; NumVGPRsForWavesPerEU: 41
; Occupancy: 16
; WaveLimiterHint : 1
; COMPUTE_PGM_RSRC2:SCRATCH_EN: 1
; COMPUTE_PGM_RSRC2:USER_SGPR: 15
; COMPUTE_PGM_RSRC2:TRAP_HANDLER: 0
; COMPUTE_PGM_RSRC2:TGID_X_EN: 1
; COMPUTE_PGM_RSRC2:TGID_Y_EN: 0
; COMPUTE_PGM_RSRC2:TGID_Z_EN: 0
; COMPUTE_PGM_RSRC2:TIDIG_COMP_CNT: 0
	.section	.text._Z38paged_attention_ll4mi_QKV_mfma4_kernelI14__hip_bfloat16hLN4vllm18Fp8KVCacheDataTypeE1ES0_Li16ELi64ELi256ELb0ELi2EEvPKT_PKT0_S8_ifPKiSA_SA_iPKfiiiPfSD_PS3_PT2_iSC_SC_,"axG",@progbits,_Z38paged_attention_ll4mi_QKV_mfma4_kernelI14__hip_bfloat16hLN4vllm18Fp8KVCacheDataTypeE1ES0_Li16ELi64ELi256ELb0ELi2EEvPKT_PKT0_S8_ifPKiSA_SA_iPKfiiiPfSD_PS3_PT2_iSC_SC_,comdat
	.protected	_Z38paged_attention_ll4mi_QKV_mfma4_kernelI14__hip_bfloat16hLN4vllm18Fp8KVCacheDataTypeE1ES0_Li16ELi64ELi256ELb0ELi2EEvPKT_PKT0_S8_ifPKiSA_SA_iPKfiiiPfSD_PS3_PT2_iSC_SC_ ; -- Begin function _Z38paged_attention_ll4mi_QKV_mfma4_kernelI14__hip_bfloat16hLN4vllm18Fp8KVCacheDataTypeE1ES0_Li16ELi64ELi256ELb0ELi2EEvPKT_PKT0_S8_ifPKiSA_SA_iPKfiiiPfSD_PS3_PT2_iSC_SC_
	.globl	_Z38paged_attention_ll4mi_QKV_mfma4_kernelI14__hip_bfloat16hLN4vllm18Fp8KVCacheDataTypeE1ES0_Li16ELi64ELi256ELb0ELi2EEvPKT_PKT0_S8_ifPKiSA_SA_iPKfiiiPfSD_PS3_PT2_iSC_SC_
	.p2align	8
	.type	_Z38paged_attention_ll4mi_QKV_mfma4_kernelI14__hip_bfloat16hLN4vllm18Fp8KVCacheDataTypeE1ES0_Li16ELi64ELi256ELb0ELi2EEvPKT_PKT0_S8_ifPKiSA_SA_iPKfiiiPfSD_PS3_PT2_iSC_SC_,@function
_Z38paged_attention_ll4mi_QKV_mfma4_kernelI14__hip_bfloat16hLN4vllm18Fp8KVCacheDataTypeE1ES0_Li16ELi64ELi256ELb0ELi2EEvPKT_PKT0_S8_ifPKiSA_SA_iPKfiiiPfSD_PS3_PT2_iSC_SC_: ; @_Z38paged_attention_ll4mi_QKV_mfma4_kernelI14__hip_bfloat16hLN4vllm18Fp8KVCacheDataTypeE1ES0_Li16ELi64ELi256ELb0ELi2EEvPKT_PKT0_S8_ifPKiSA_SA_iPKfiiiPfSD_PS3_PT2_iSC_SC_
; %bb.0:
	s_add_u32 s8, s0, 0x90
	s_addc_u32 s9, s1, 0
	s_getpc_b64 s[0:1]
	s_add_u32 s0, s0, __PRETTY_FUNCTION__._Z38paged_attention_ll4mi_QKV_mfma4_kernelI14__hip_bfloat16hLN4vllm18Fp8KVCacheDataTypeE1ES0_Li16ELi64ELi256ELb0ELi2EEvPKT_PKT0_S8_ifPKiSA_SA_iPKfiiiPfSD_PS3_PT2_iSC_SC_@rel32@lo+4
	s_addc_u32 s1, s1, __PRETTY_FUNCTION__._Z38paged_attention_ll4mi_QKV_mfma4_kernelI14__hip_bfloat16hLN4vllm18Fp8KVCacheDataTypeE1ES0_Li16ELi64ELi256ELb0ELi2EEvPKT_PKT0_S8_ifPKiSA_SA_iPKfiiiPfSD_PS3_PT2_iSC_SC_@rel32@hi+12
	s_delay_alu instid0(SALU_CYCLE_1) | instskip(SKIP_4) | instid1(SALU_CYCLE_1)
	v_dual_mov_b32 v0, s0 :: v_dual_mov_b32 v1, s1
	s_mov_b32 s32, 0
	s_getpc_b64 s[2:3]
	s_add_u32 s2, s2, __assert_fail@rel32@lo+4
	s_addc_u32 s3, s3, __assert_fail@rel32@hi+12
	s_swappc_b64 s[30:31], s[2:3]
	.section	.rodata,"a",@progbits
	.p2align	6, 0x0
	.amdhsa_kernel _Z38paged_attention_ll4mi_QKV_mfma4_kernelI14__hip_bfloat16hLN4vllm18Fp8KVCacheDataTypeE1ES0_Li16ELi64ELi256ELb0ELi2EEvPKT_PKT0_S8_ifPKiSA_SA_iPKfiiiPfSD_PS3_PT2_iSC_SC_
		.amdhsa_group_segment_fixed_size 0
		.amdhsa_private_segment_fixed_size 64
		.amdhsa_kernarg_size 400
		.amdhsa_user_sgpr_count 15
		.amdhsa_user_sgpr_dispatch_ptr 0
		.amdhsa_user_sgpr_queue_ptr 0
		.amdhsa_user_sgpr_kernarg_segment_ptr 1
		.amdhsa_user_sgpr_dispatch_id 0
		.amdhsa_user_sgpr_private_segment_size 0
		.amdhsa_wavefront_size32 1
		.amdhsa_uses_dynamic_stack 0
		.amdhsa_enable_private_segment 1
		.amdhsa_system_sgpr_workgroup_id_x 1
		.amdhsa_system_sgpr_workgroup_id_y 0
		.amdhsa_system_sgpr_workgroup_id_z 0
		.amdhsa_system_sgpr_workgroup_info 0
		.amdhsa_system_vgpr_workitem_id 0
		.amdhsa_next_free_vgpr 41
		.amdhsa_next_free_sgpr 34
		.amdhsa_reserve_vcc 1
		.amdhsa_float_round_mode_32 0
		.amdhsa_float_round_mode_16_64 0
		.amdhsa_float_denorm_mode_32 3
		.amdhsa_float_denorm_mode_16_64 3
		.amdhsa_dx10_clamp 1
		.amdhsa_ieee_mode 1
		.amdhsa_fp16_overflow 0
		.amdhsa_workgroup_processor_mode 1
		.amdhsa_memory_ordered 1
		.amdhsa_forward_progress 0
		.amdhsa_shared_vgpr_count 0
		.amdhsa_exception_fp_ieee_invalid_op 0
		.amdhsa_exception_fp_denorm_src 0
		.amdhsa_exception_fp_ieee_div_zero 0
		.amdhsa_exception_fp_ieee_overflow 0
		.amdhsa_exception_fp_ieee_underflow 0
		.amdhsa_exception_fp_ieee_inexact 0
		.amdhsa_exception_int_div_zero 0
	.end_amdhsa_kernel
	.section	.text._Z38paged_attention_ll4mi_QKV_mfma4_kernelI14__hip_bfloat16hLN4vllm18Fp8KVCacheDataTypeE1ES0_Li16ELi64ELi256ELb0ELi2EEvPKT_PKT0_S8_ifPKiSA_SA_iPKfiiiPfSD_PS3_PT2_iSC_SC_,"axG",@progbits,_Z38paged_attention_ll4mi_QKV_mfma4_kernelI14__hip_bfloat16hLN4vllm18Fp8KVCacheDataTypeE1ES0_Li16ELi64ELi256ELb0ELi2EEvPKT_PKT0_S8_ifPKiSA_SA_iPKfiiiPfSD_PS3_PT2_iSC_SC_,comdat
.Lfunc_end1407:
	.size	_Z38paged_attention_ll4mi_QKV_mfma4_kernelI14__hip_bfloat16hLN4vllm18Fp8KVCacheDataTypeE1ES0_Li16ELi64ELi256ELb0ELi2EEvPKT_PKT0_S8_ifPKiSA_SA_iPKfiiiPfSD_PS3_PT2_iSC_SC_, .Lfunc_end1407-_Z38paged_attention_ll4mi_QKV_mfma4_kernelI14__hip_bfloat16hLN4vllm18Fp8KVCacheDataTypeE1ES0_Li16ELi64ELi256ELb0ELi2EEvPKT_PKT0_S8_ifPKiSA_SA_iPKfiiiPfSD_PS3_PT2_iSC_SC_
                                        ; -- End function
	.section	.AMDGPU.csdata,"",@progbits
; Kernel info:
; codeLenInByte = 72
; NumSgprs: 36
; NumVgprs: 41
; ScratchSize: 64
; MemoryBound: 0
; FloatMode: 240
; IeeeMode: 1
; LDSByteSize: 0 bytes/workgroup (compile time only)
; SGPRBlocks: 4
; VGPRBlocks: 5
; NumSGPRsForWavesPerEU: 36
; NumVGPRsForWavesPerEU: 41
; Occupancy: 16
; WaveLimiterHint : 1
; COMPUTE_PGM_RSRC2:SCRATCH_EN: 1
; COMPUTE_PGM_RSRC2:USER_SGPR: 15
; COMPUTE_PGM_RSRC2:TRAP_HANDLER: 0
; COMPUTE_PGM_RSRC2:TGID_X_EN: 1
; COMPUTE_PGM_RSRC2:TGID_Y_EN: 0
; COMPUTE_PGM_RSRC2:TGID_Z_EN: 0
; COMPUTE_PGM_RSRC2:TIDIG_COMP_CNT: 0
	.section	.text._Z38paged_attention_ll4mi_QKV_mfma4_kernelI14__hip_bfloat16hLN4vllm18Fp8KVCacheDataTypeE1ES0_Li16ELi64ELi256ELb0ELi3EEvPKT_PKT0_S8_ifPKiSA_SA_iPKfiiiPfSD_PS3_PT2_iSC_SC_,"axG",@progbits,_Z38paged_attention_ll4mi_QKV_mfma4_kernelI14__hip_bfloat16hLN4vllm18Fp8KVCacheDataTypeE1ES0_Li16ELi64ELi256ELb0ELi3EEvPKT_PKT0_S8_ifPKiSA_SA_iPKfiiiPfSD_PS3_PT2_iSC_SC_,comdat
	.protected	_Z38paged_attention_ll4mi_QKV_mfma4_kernelI14__hip_bfloat16hLN4vllm18Fp8KVCacheDataTypeE1ES0_Li16ELi64ELi256ELb0ELi3EEvPKT_PKT0_S8_ifPKiSA_SA_iPKfiiiPfSD_PS3_PT2_iSC_SC_ ; -- Begin function _Z38paged_attention_ll4mi_QKV_mfma4_kernelI14__hip_bfloat16hLN4vllm18Fp8KVCacheDataTypeE1ES0_Li16ELi64ELi256ELb0ELi3EEvPKT_PKT0_S8_ifPKiSA_SA_iPKfiiiPfSD_PS3_PT2_iSC_SC_
	.globl	_Z38paged_attention_ll4mi_QKV_mfma4_kernelI14__hip_bfloat16hLN4vllm18Fp8KVCacheDataTypeE1ES0_Li16ELi64ELi256ELb0ELi3EEvPKT_PKT0_S8_ifPKiSA_SA_iPKfiiiPfSD_PS3_PT2_iSC_SC_
	.p2align	8
	.type	_Z38paged_attention_ll4mi_QKV_mfma4_kernelI14__hip_bfloat16hLN4vllm18Fp8KVCacheDataTypeE1ES0_Li16ELi64ELi256ELb0ELi3EEvPKT_PKT0_S8_ifPKiSA_SA_iPKfiiiPfSD_PS3_PT2_iSC_SC_,@function
_Z38paged_attention_ll4mi_QKV_mfma4_kernelI14__hip_bfloat16hLN4vllm18Fp8KVCacheDataTypeE1ES0_Li16ELi64ELi256ELb0ELi3EEvPKT_PKT0_S8_ifPKiSA_SA_iPKfiiiPfSD_PS3_PT2_iSC_SC_: ; @_Z38paged_attention_ll4mi_QKV_mfma4_kernelI14__hip_bfloat16hLN4vllm18Fp8KVCacheDataTypeE1ES0_Li16ELi64ELi256ELb0ELi3EEvPKT_PKT0_S8_ifPKiSA_SA_iPKfiiiPfSD_PS3_PT2_iSC_SC_
; %bb.0:
	s_add_u32 s8, s0, 0x90
	s_addc_u32 s9, s1, 0
	s_getpc_b64 s[0:1]
	s_add_u32 s0, s0, __PRETTY_FUNCTION__._Z38paged_attention_ll4mi_QKV_mfma4_kernelI14__hip_bfloat16hLN4vllm18Fp8KVCacheDataTypeE1ES0_Li16ELi64ELi256ELb0ELi3EEvPKT_PKT0_S8_ifPKiSA_SA_iPKfiiiPfSD_PS3_PT2_iSC_SC_@rel32@lo+4
	s_addc_u32 s1, s1, __PRETTY_FUNCTION__._Z38paged_attention_ll4mi_QKV_mfma4_kernelI14__hip_bfloat16hLN4vllm18Fp8KVCacheDataTypeE1ES0_Li16ELi64ELi256ELb0ELi3EEvPKT_PKT0_S8_ifPKiSA_SA_iPKfiiiPfSD_PS3_PT2_iSC_SC_@rel32@hi+12
	s_delay_alu instid0(SALU_CYCLE_1) | instskip(SKIP_4) | instid1(SALU_CYCLE_1)
	v_dual_mov_b32 v0, s0 :: v_dual_mov_b32 v1, s1
	s_mov_b32 s32, 0
	s_getpc_b64 s[2:3]
	s_add_u32 s2, s2, __assert_fail@rel32@lo+4
	s_addc_u32 s3, s3, __assert_fail@rel32@hi+12
	s_swappc_b64 s[30:31], s[2:3]
	.section	.rodata,"a",@progbits
	.p2align	6, 0x0
	.amdhsa_kernel _Z38paged_attention_ll4mi_QKV_mfma4_kernelI14__hip_bfloat16hLN4vllm18Fp8KVCacheDataTypeE1ES0_Li16ELi64ELi256ELb0ELi3EEvPKT_PKT0_S8_ifPKiSA_SA_iPKfiiiPfSD_PS3_PT2_iSC_SC_
		.amdhsa_group_segment_fixed_size 0
		.amdhsa_private_segment_fixed_size 64
		.amdhsa_kernarg_size 400
		.amdhsa_user_sgpr_count 15
		.amdhsa_user_sgpr_dispatch_ptr 0
		.amdhsa_user_sgpr_queue_ptr 0
		.amdhsa_user_sgpr_kernarg_segment_ptr 1
		.amdhsa_user_sgpr_dispatch_id 0
		.amdhsa_user_sgpr_private_segment_size 0
		.amdhsa_wavefront_size32 1
		.amdhsa_uses_dynamic_stack 0
		.amdhsa_enable_private_segment 1
		.amdhsa_system_sgpr_workgroup_id_x 1
		.amdhsa_system_sgpr_workgroup_id_y 0
		.amdhsa_system_sgpr_workgroup_id_z 0
		.amdhsa_system_sgpr_workgroup_info 0
		.amdhsa_system_vgpr_workitem_id 0
		.amdhsa_next_free_vgpr 41
		.amdhsa_next_free_sgpr 34
		.amdhsa_reserve_vcc 1
		.amdhsa_float_round_mode_32 0
		.amdhsa_float_round_mode_16_64 0
		.amdhsa_float_denorm_mode_32 3
		.amdhsa_float_denorm_mode_16_64 3
		.amdhsa_dx10_clamp 1
		.amdhsa_ieee_mode 1
		.amdhsa_fp16_overflow 0
		.amdhsa_workgroup_processor_mode 1
		.amdhsa_memory_ordered 1
		.amdhsa_forward_progress 0
		.amdhsa_shared_vgpr_count 0
		.amdhsa_exception_fp_ieee_invalid_op 0
		.amdhsa_exception_fp_denorm_src 0
		.amdhsa_exception_fp_ieee_div_zero 0
		.amdhsa_exception_fp_ieee_overflow 0
		.amdhsa_exception_fp_ieee_underflow 0
		.amdhsa_exception_fp_ieee_inexact 0
		.amdhsa_exception_int_div_zero 0
	.end_amdhsa_kernel
	.section	.text._Z38paged_attention_ll4mi_QKV_mfma4_kernelI14__hip_bfloat16hLN4vllm18Fp8KVCacheDataTypeE1ES0_Li16ELi64ELi256ELb0ELi3EEvPKT_PKT0_S8_ifPKiSA_SA_iPKfiiiPfSD_PS3_PT2_iSC_SC_,"axG",@progbits,_Z38paged_attention_ll4mi_QKV_mfma4_kernelI14__hip_bfloat16hLN4vllm18Fp8KVCacheDataTypeE1ES0_Li16ELi64ELi256ELb0ELi3EEvPKT_PKT0_S8_ifPKiSA_SA_iPKfiiiPfSD_PS3_PT2_iSC_SC_,comdat
.Lfunc_end1408:
	.size	_Z38paged_attention_ll4mi_QKV_mfma4_kernelI14__hip_bfloat16hLN4vllm18Fp8KVCacheDataTypeE1ES0_Li16ELi64ELi256ELb0ELi3EEvPKT_PKT0_S8_ifPKiSA_SA_iPKfiiiPfSD_PS3_PT2_iSC_SC_, .Lfunc_end1408-_Z38paged_attention_ll4mi_QKV_mfma4_kernelI14__hip_bfloat16hLN4vllm18Fp8KVCacheDataTypeE1ES0_Li16ELi64ELi256ELb0ELi3EEvPKT_PKT0_S8_ifPKiSA_SA_iPKfiiiPfSD_PS3_PT2_iSC_SC_
                                        ; -- End function
	.section	.AMDGPU.csdata,"",@progbits
; Kernel info:
; codeLenInByte = 72
; NumSgprs: 36
; NumVgprs: 41
; ScratchSize: 64
; MemoryBound: 0
; FloatMode: 240
; IeeeMode: 1
; LDSByteSize: 0 bytes/workgroup (compile time only)
; SGPRBlocks: 4
; VGPRBlocks: 5
; NumSGPRsForWavesPerEU: 36
; NumVGPRsForWavesPerEU: 41
; Occupancy: 16
; WaveLimiterHint : 1
; COMPUTE_PGM_RSRC2:SCRATCH_EN: 1
; COMPUTE_PGM_RSRC2:USER_SGPR: 15
; COMPUTE_PGM_RSRC2:TRAP_HANDLER: 0
; COMPUTE_PGM_RSRC2:TGID_X_EN: 1
; COMPUTE_PGM_RSRC2:TGID_Y_EN: 0
; COMPUTE_PGM_RSRC2:TGID_Z_EN: 0
; COMPUTE_PGM_RSRC2:TIDIG_COMP_CNT: 0
	.section	.text._Z38paged_attention_ll4mi_QKV_mfma4_kernelI14__hip_bfloat16hLN4vllm18Fp8KVCacheDataTypeE1ES0_Li16ELi64ELi256ELb0ELi4EEvPKT_PKT0_S8_ifPKiSA_SA_iPKfiiiPfSD_PS3_PT2_iSC_SC_,"axG",@progbits,_Z38paged_attention_ll4mi_QKV_mfma4_kernelI14__hip_bfloat16hLN4vllm18Fp8KVCacheDataTypeE1ES0_Li16ELi64ELi256ELb0ELi4EEvPKT_PKT0_S8_ifPKiSA_SA_iPKfiiiPfSD_PS3_PT2_iSC_SC_,comdat
	.protected	_Z38paged_attention_ll4mi_QKV_mfma4_kernelI14__hip_bfloat16hLN4vllm18Fp8KVCacheDataTypeE1ES0_Li16ELi64ELi256ELb0ELi4EEvPKT_PKT0_S8_ifPKiSA_SA_iPKfiiiPfSD_PS3_PT2_iSC_SC_ ; -- Begin function _Z38paged_attention_ll4mi_QKV_mfma4_kernelI14__hip_bfloat16hLN4vllm18Fp8KVCacheDataTypeE1ES0_Li16ELi64ELi256ELb0ELi4EEvPKT_PKT0_S8_ifPKiSA_SA_iPKfiiiPfSD_PS3_PT2_iSC_SC_
	.globl	_Z38paged_attention_ll4mi_QKV_mfma4_kernelI14__hip_bfloat16hLN4vllm18Fp8KVCacheDataTypeE1ES0_Li16ELi64ELi256ELb0ELi4EEvPKT_PKT0_S8_ifPKiSA_SA_iPKfiiiPfSD_PS3_PT2_iSC_SC_
	.p2align	8
	.type	_Z38paged_attention_ll4mi_QKV_mfma4_kernelI14__hip_bfloat16hLN4vllm18Fp8KVCacheDataTypeE1ES0_Li16ELi64ELi256ELb0ELi4EEvPKT_PKT0_S8_ifPKiSA_SA_iPKfiiiPfSD_PS3_PT2_iSC_SC_,@function
_Z38paged_attention_ll4mi_QKV_mfma4_kernelI14__hip_bfloat16hLN4vllm18Fp8KVCacheDataTypeE1ES0_Li16ELi64ELi256ELb0ELi4EEvPKT_PKT0_S8_ifPKiSA_SA_iPKfiiiPfSD_PS3_PT2_iSC_SC_: ; @_Z38paged_attention_ll4mi_QKV_mfma4_kernelI14__hip_bfloat16hLN4vllm18Fp8KVCacheDataTypeE1ES0_Li16ELi64ELi256ELb0ELi4EEvPKT_PKT0_S8_ifPKiSA_SA_iPKfiiiPfSD_PS3_PT2_iSC_SC_
; %bb.0:
	s_add_u32 s8, s0, 0x90
	s_addc_u32 s9, s1, 0
	s_getpc_b64 s[0:1]
	s_add_u32 s0, s0, __PRETTY_FUNCTION__._Z38paged_attention_ll4mi_QKV_mfma4_kernelI14__hip_bfloat16hLN4vllm18Fp8KVCacheDataTypeE1ES0_Li16ELi64ELi256ELb0ELi4EEvPKT_PKT0_S8_ifPKiSA_SA_iPKfiiiPfSD_PS3_PT2_iSC_SC_@rel32@lo+4
	s_addc_u32 s1, s1, __PRETTY_FUNCTION__._Z38paged_attention_ll4mi_QKV_mfma4_kernelI14__hip_bfloat16hLN4vllm18Fp8KVCacheDataTypeE1ES0_Li16ELi64ELi256ELb0ELi4EEvPKT_PKT0_S8_ifPKiSA_SA_iPKfiiiPfSD_PS3_PT2_iSC_SC_@rel32@hi+12
	s_delay_alu instid0(SALU_CYCLE_1) | instskip(SKIP_4) | instid1(SALU_CYCLE_1)
	v_dual_mov_b32 v0, s0 :: v_dual_mov_b32 v1, s1
	s_mov_b32 s32, 0
	s_getpc_b64 s[2:3]
	s_add_u32 s2, s2, __assert_fail@rel32@lo+4
	s_addc_u32 s3, s3, __assert_fail@rel32@hi+12
	s_swappc_b64 s[30:31], s[2:3]
	.section	.rodata,"a",@progbits
	.p2align	6, 0x0
	.amdhsa_kernel _Z38paged_attention_ll4mi_QKV_mfma4_kernelI14__hip_bfloat16hLN4vllm18Fp8KVCacheDataTypeE1ES0_Li16ELi64ELi256ELb0ELi4EEvPKT_PKT0_S8_ifPKiSA_SA_iPKfiiiPfSD_PS3_PT2_iSC_SC_
		.amdhsa_group_segment_fixed_size 0
		.amdhsa_private_segment_fixed_size 64
		.amdhsa_kernarg_size 400
		.amdhsa_user_sgpr_count 15
		.amdhsa_user_sgpr_dispatch_ptr 0
		.amdhsa_user_sgpr_queue_ptr 0
		.amdhsa_user_sgpr_kernarg_segment_ptr 1
		.amdhsa_user_sgpr_dispatch_id 0
		.amdhsa_user_sgpr_private_segment_size 0
		.amdhsa_wavefront_size32 1
		.amdhsa_uses_dynamic_stack 0
		.amdhsa_enable_private_segment 1
		.amdhsa_system_sgpr_workgroup_id_x 1
		.amdhsa_system_sgpr_workgroup_id_y 0
		.amdhsa_system_sgpr_workgroup_id_z 0
		.amdhsa_system_sgpr_workgroup_info 0
		.amdhsa_system_vgpr_workitem_id 0
		.amdhsa_next_free_vgpr 41
		.amdhsa_next_free_sgpr 34
		.amdhsa_reserve_vcc 1
		.amdhsa_float_round_mode_32 0
		.amdhsa_float_round_mode_16_64 0
		.amdhsa_float_denorm_mode_32 3
		.amdhsa_float_denorm_mode_16_64 3
		.amdhsa_dx10_clamp 1
		.amdhsa_ieee_mode 1
		.amdhsa_fp16_overflow 0
		.amdhsa_workgroup_processor_mode 1
		.amdhsa_memory_ordered 1
		.amdhsa_forward_progress 0
		.amdhsa_shared_vgpr_count 0
		.amdhsa_exception_fp_ieee_invalid_op 0
		.amdhsa_exception_fp_denorm_src 0
		.amdhsa_exception_fp_ieee_div_zero 0
		.amdhsa_exception_fp_ieee_overflow 0
		.amdhsa_exception_fp_ieee_underflow 0
		.amdhsa_exception_fp_ieee_inexact 0
		.amdhsa_exception_int_div_zero 0
	.end_amdhsa_kernel
	.section	.text._Z38paged_attention_ll4mi_QKV_mfma4_kernelI14__hip_bfloat16hLN4vllm18Fp8KVCacheDataTypeE1ES0_Li16ELi64ELi256ELb0ELi4EEvPKT_PKT0_S8_ifPKiSA_SA_iPKfiiiPfSD_PS3_PT2_iSC_SC_,"axG",@progbits,_Z38paged_attention_ll4mi_QKV_mfma4_kernelI14__hip_bfloat16hLN4vllm18Fp8KVCacheDataTypeE1ES0_Li16ELi64ELi256ELb0ELi4EEvPKT_PKT0_S8_ifPKiSA_SA_iPKfiiiPfSD_PS3_PT2_iSC_SC_,comdat
.Lfunc_end1409:
	.size	_Z38paged_attention_ll4mi_QKV_mfma4_kernelI14__hip_bfloat16hLN4vllm18Fp8KVCacheDataTypeE1ES0_Li16ELi64ELi256ELb0ELi4EEvPKT_PKT0_S8_ifPKiSA_SA_iPKfiiiPfSD_PS3_PT2_iSC_SC_, .Lfunc_end1409-_Z38paged_attention_ll4mi_QKV_mfma4_kernelI14__hip_bfloat16hLN4vllm18Fp8KVCacheDataTypeE1ES0_Li16ELi64ELi256ELb0ELi4EEvPKT_PKT0_S8_ifPKiSA_SA_iPKfiiiPfSD_PS3_PT2_iSC_SC_
                                        ; -- End function
	.section	.AMDGPU.csdata,"",@progbits
; Kernel info:
; codeLenInByte = 72
; NumSgprs: 36
; NumVgprs: 41
; ScratchSize: 64
; MemoryBound: 0
; FloatMode: 240
; IeeeMode: 1
; LDSByteSize: 0 bytes/workgroup (compile time only)
; SGPRBlocks: 4
; VGPRBlocks: 5
; NumSGPRsForWavesPerEU: 36
; NumVGPRsForWavesPerEU: 41
; Occupancy: 16
; WaveLimiterHint : 1
; COMPUTE_PGM_RSRC2:SCRATCH_EN: 1
; COMPUTE_PGM_RSRC2:USER_SGPR: 15
; COMPUTE_PGM_RSRC2:TRAP_HANDLER: 0
; COMPUTE_PGM_RSRC2:TGID_X_EN: 1
; COMPUTE_PGM_RSRC2:TGID_Y_EN: 0
; COMPUTE_PGM_RSRC2:TGID_Z_EN: 0
; COMPUTE_PGM_RSRC2:TIDIG_COMP_CNT: 0
	.section	.text._Z39paged_attention_ll4mi_QKV_mfma16_kernelI14__hip_bfloat16hLN4vllm18Fp8KVCacheDataTypeE1ES0_Li16ELi64ELi256ELb0ELi5EL8MFMAType1EEvPKT_PKT0_S9_ifPKiSB_SB_iPKfiiiPfSE_PS4_PT2_iSD_SD_,"axG",@progbits,_Z39paged_attention_ll4mi_QKV_mfma16_kernelI14__hip_bfloat16hLN4vllm18Fp8KVCacheDataTypeE1ES0_Li16ELi64ELi256ELb0ELi5EL8MFMAType1EEvPKT_PKT0_S9_ifPKiSB_SB_iPKfiiiPfSE_PS4_PT2_iSD_SD_,comdat
	.protected	_Z39paged_attention_ll4mi_QKV_mfma16_kernelI14__hip_bfloat16hLN4vllm18Fp8KVCacheDataTypeE1ES0_Li16ELi64ELi256ELb0ELi5EL8MFMAType1EEvPKT_PKT0_S9_ifPKiSB_SB_iPKfiiiPfSE_PS4_PT2_iSD_SD_ ; -- Begin function _Z39paged_attention_ll4mi_QKV_mfma16_kernelI14__hip_bfloat16hLN4vllm18Fp8KVCacheDataTypeE1ES0_Li16ELi64ELi256ELb0ELi5EL8MFMAType1EEvPKT_PKT0_S9_ifPKiSB_SB_iPKfiiiPfSE_PS4_PT2_iSD_SD_
	.globl	_Z39paged_attention_ll4mi_QKV_mfma16_kernelI14__hip_bfloat16hLN4vllm18Fp8KVCacheDataTypeE1ES0_Li16ELi64ELi256ELb0ELi5EL8MFMAType1EEvPKT_PKT0_S9_ifPKiSB_SB_iPKfiiiPfSE_PS4_PT2_iSD_SD_
	.p2align	8
	.type	_Z39paged_attention_ll4mi_QKV_mfma16_kernelI14__hip_bfloat16hLN4vllm18Fp8KVCacheDataTypeE1ES0_Li16ELi64ELi256ELb0ELi5EL8MFMAType1EEvPKT_PKT0_S9_ifPKiSB_SB_iPKfiiiPfSE_PS4_PT2_iSD_SD_,@function
_Z39paged_attention_ll4mi_QKV_mfma16_kernelI14__hip_bfloat16hLN4vllm18Fp8KVCacheDataTypeE1ES0_Li16ELi64ELi256ELb0ELi5EL8MFMAType1EEvPKT_PKT0_S9_ifPKiSB_SB_iPKfiiiPfSE_PS4_PT2_iSD_SD_: ; @_Z39paged_attention_ll4mi_QKV_mfma16_kernelI14__hip_bfloat16hLN4vllm18Fp8KVCacheDataTypeE1ES0_Li16ELi64ELi256ELb0ELi5EL8MFMAType1EEvPKT_PKT0_S9_ifPKiSB_SB_iPKfiiiPfSE_PS4_PT2_iSD_SD_
; %bb.0:
	s_load_b64 s[2:3], s[0:1], 0x30
	s_mov_b32 s34, s13
	s_waitcnt lgkmcnt(0)
	s_cmp_lg_u64 s[2:3], 0
	s_cselect_b32 s8, -1, 0
	s_ashr_i32 s35, s13, 31
	s_cmp_eq_u64 s[2:3], 0
	s_cbranch_scc1 .LBB1410_3
; %bb.1:
	s_lshl_b64 s[4:5], s[34:35], 2
	s_delay_alu instid0(SALU_CYCLE_1) | instskip(SKIP_4) | instid1(SALU_CYCLE_1)
	s_add_u32 s4, s2, s4
	s_addc_u32 s5, s3, s5
	s_load_b64 s[4:5], s[4:5], 0x0
	s_waitcnt lgkmcnt(0)
	s_sub_i32 s4, s5, s4
	s_cmp_eq_u32 s4, 1
	s_cselect_b32 s4, -1, 0
	s_delay_alu instid0(SALU_CYCLE_1)
	s_and_not1_b32 vcc_lo, exec_lo, s4
	s_cbranch_vccz .LBB1410_4
.LBB1410_2:
	s_nop 0
	s_sendmsg sendmsg(MSG_DEALLOC_VGPRS)
	s_endpgm
.LBB1410_3:
.LBB1410_4:
	s_load_b64 s[4:5], s[0:1], 0x28
	s_lshl_b64 s[6:7], s[34:35], 2
	s_waitcnt lgkmcnt(0)
	s_add_u32 s4, s4, s6
	s_addc_u32 s5, s5, s7
	s_lshl_b32 s12, s14, 8
	s_load_b32 s24, s[4:5], 0x0
	s_waitcnt lgkmcnt(0)
	s_cmp_ge_i32 s12, s24
	s_cbranch_scc1 .LBB1410_2
; %bb.5:
	s_clause 0x1
	s_load_b128 s[20:23], s[0:1], 0x8
	s_load_b64 s[4:5], s[0:1], 0x20
	s_and_not1_b32 vcc_lo, exec_lo, s8
	s_cbranch_vccnz .LBB1410_7
; %bb.6:
	s_add_u32 s2, s2, s6
	s_addc_u32 s3, s3, s7
	s_load_b32 s3, s[2:3], 0x0
	s_branch .LBB1410_8
.LBB1410_7:
	s_mov_b32 s3, s34
.LBB1410_8:
	s_load_b128 s[16:19], s[0:1], 0x48
	v_lshrrev_b32_e32 v66, 5, v0
	v_bfe_u32 v74, v0, 4, 1
	v_and_b32_e32 v65, 15, v0
	v_and_b32_e32 v67, 31, v0
	;; [unrolled: 1-line block ×3, first 2 shown]
	s_mul_i32 s31, s15, 5
	v_lshl_or_b32 v1, v66, 1, v74
	v_lshlrev_b32_e32 v2, 3, v65
	v_cmp_gt_u32_e64 s2, 8, v65
	s_delay_alu instid0(VALU_DEP_3) | instskip(NEXT) | instid1(VALU_DEP_3)
	v_cmp_gt_u32_e32 vcc_lo, 5, v1
	v_lshlrev_b32_e32 v73, 1, v2
	s_delay_alu instid0(VALU_DEP_3) | instskip(NEXT) | instid1(SALU_CYCLE_1)
	s_and_b32 s7, s2, vcc_lo
	s_and_saveexec_b32 s6, s7
	s_cbranch_execz .LBB1410_10
; %bb.9:
	s_load_b64 s[8:9], s[0:1], 0x0
	v_add_lshl_u32 v2, v1, s31, 6
	s_waitcnt lgkmcnt(0)
	s_mul_hi_i32 s11, s3, s16
	s_mul_i32 s10, s3, s16
	v_lshlrev_b32_e32 v6, 10, v65
	s_lshl_b64 s[10:11], s[10:11], 1
	v_ashrrev_i32_e32 v3, 31, v2
	v_lshlrev_b32_e32 v1, 6, v1
	v_lshlrev_b32_e32 v7, 10, v75
	v_and_b32_e32 v6, 0x3800, v6
	s_delay_alu instid0(VALU_DEP_4) | instskip(NEXT) | instid1(VALU_DEP_2)
	v_lshlrev_b64 v[2:3], 1, v[2:3]
	v_or3_b32 v1, v6, v7, v1
	s_add_u32 s3, s8, s10
	s_addc_u32 s7, s9, s11
	s_delay_alu instid0(VALU_DEP_2) | instskip(NEXT) | instid1(VALU_DEP_3)
	v_add_co_u32 v2, vcc_lo, s3, v2
	v_add_co_ci_u32_e32 v3, vcc_lo, s7, v3, vcc_lo
	s_delay_alu instid0(VALU_DEP_2) | instskip(NEXT) | instid1(VALU_DEP_2)
	v_add_co_u32 v2, vcc_lo, v2, v73
	v_add_co_ci_u32_e32 v3, vcc_lo, 0, v3, vcc_lo
	global_load_b128 v[2:5], v[2:3], off
	s_waitcnt vmcnt(0)
	ds_store_b128 v1, v[2:5]
.LBB1410_10:
	s_or_b32 exec_lo, exec_lo, s6
	v_and_b32_e32 v1, 0xef, v0
	s_waitcnt lgkmcnt(0)
	s_add_i32 s3, s24, 15
	s_clause 0x1
	s_load_b32 s6, s[0:1], 0x38
	s_load_b32 s19, s[0:1], 0x1c
	s_ashr_i32 s7, s3, 31
	v_add_nc_u32_e32 v1, s12, v1
	s_lshr_b32 s7, s7, 28
	s_waitcnt lgkmcnt(0)
	s_add_i32 s3, s3, s7
	s_barrier
	v_ashrrev_i32_e32 v2, 31, v1
	v_or_b32_e32 v3, 16, v1
	s_ashr_i32 s3, s3, 4
	v_cmp_gt_i32_e32 vcc_lo, s24, v1
	s_add_i32 s3, s3, -1
	v_lshrrev_b32_e32 v2, 28, v2
	buffer_gl0_inv
	s_mul_i32 s27, s15, s18
	v_add_nc_u32_e32 v4, v1, v2
	s_mul_i32 s6, s34, s6
	s_delay_alu instid0(SALU_CYCLE_1) | instskip(NEXT) | instid1(VALU_DEP_1)
	s_ashr_i32 s7, s6, 31
	v_ashrrev_i32_e32 v4, 4, v4
	v_add_nc_u32_e32 v2, v3, v2
	s_lshl_b64 s[6:7], s[6:7], 2
	s_delay_alu instid0(SALU_CYCLE_1) | instskip(NEXT) | instid1(VALU_DEP_2)
	s_add_u32 s26, s4, s6
	v_cndmask_b32_e32 v1, s3, v4, vcc_lo
	s_delay_alu instid0(VALU_DEP_2)
	v_ashrrev_i32_e32 v2, 4, v2
	v_cmp_gt_i32_e32 vcc_lo, s24, v3
	s_addc_u32 s25, s5, s7
	s_ashr_i32 s28, s27, 31
	s_add_u32 s13, s20, s27
	s_addc_u32 s15, s21, s28
	v_cndmask_b32_e32 v3, s3, v2, vcc_lo
	v_ashrrev_i32_e32 v2, 31, v1
	s_lshl_b32 s4, s14, 4
	s_delay_alu instid0(SALU_CYCLE_1) | instskip(NEXT) | instid1(VALU_DEP_2)
	s_ashr_i32 s5, s4, 31
	v_ashrrev_i32_e32 v4, 31, v3
	s_delay_alu instid0(VALU_DEP_2) | instskip(SKIP_1) | instid1(SALU_CYCLE_1)
	v_lshlrev_b64 v[1:2], 2, v[1:2]
	s_lshl_b64 s[4:5], s[4:5], 2
	s_add_u32 s4, s26, s4
	s_delay_alu instid0(VALU_DEP_2) | instskip(SKIP_1) | instid1(VALU_DEP_2)
	v_lshlrev_b64 v[3:4], 2, v[3:4]
	s_addc_u32 s5, s25, s5
	v_add_co_u32 v1, vcc_lo, s26, v1
	v_add_co_ci_u32_e32 v2, vcc_lo, s25, v2, vcc_lo
	s_delay_alu instid0(VALU_DEP_3) | instskip(NEXT) | instid1(VALU_DEP_4)
	v_add_co_u32 v3, vcc_lo, s26, v3
	v_add_co_ci_u32_e32 v4, vcc_lo, s25, v4, vcc_lo
	s_clause 0x1
	global_load_b32 v5, v[1:2], off
	global_load_b32 v7, v[3:4], off
	s_or_b32 s6, s12, 32
	v_lshlrev_b32_e32 v1, 4, v0
	s_ashr_i32 s7, s6, 4
	s_cmp_lt_i32 s6, s24
	s_cselect_b32 s6, s7, s3
	s_delay_alu instid0(VALU_DEP_1) | instskip(SKIP_1) | instid1(SALU_CYCLE_1)
	v_and_b32_e32 v1, 0xf0, v1
	s_ashr_i32 s7, s6, 31
	s_lshl_b64 s[6:7], s[6:7], 2
	s_delay_alu instid0(SALU_CYCLE_1)
	s_add_u32 s6, s26, s6
	s_addc_u32 s7, s25, s7
	s_or_b32 s8, s12, 64
	v_add_co_u32 v1, s13, s13, v1
	s_ashr_i32 s9, s8, 4
	s_cmp_lt_i32 s8, s24
	v_add_co_ci_u32_e64 v2, null, s15, 0, s13
	s_cselect_b32 s8, s9, s3
	s_delay_alu instid0(SALU_CYCLE_1) | instskip(NEXT) | instid1(SALU_CYCLE_1)
	s_ashr_i32 s9, s8, 31
	s_lshl_b64 s[8:9], s[8:9], 2
	s_delay_alu instid0(SALU_CYCLE_1) | instskip(SKIP_2) | instid1(SALU_CYCLE_1)
	s_add_u32 s8, s26, s8
	s_addc_u32 s9, s25, s9
	s_or_b32 s10, s12, 0x60
	s_ashr_i32 s11, s10, 4
	s_cmp_lt_i32 s10, s24
	s_cselect_b32 s10, s11, s3
	s_delay_alu instid0(SALU_CYCLE_1) | instskip(NEXT) | instid1(SALU_CYCLE_1)
	s_ashr_i32 s11, s10, 31
	s_lshl_b64 s[10:11], s[10:11], 2
	s_delay_alu instid0(SALU_CYCLE_1) | instskip(SKIP_2) | instid1(SALU_CYCLE_1)
	s_add_u32 s10, s26, s10
	s_addc_u32 s11, s25, s11
	s_or_b32 s16, s12, 0x80
	s_ashr_i32 s18, s16, 4
	s_cmp_lt_i32 s16, s24
	;; [unrolled: 10-line block ×3, first 2 shown]
	s_cselect_b32 s20, s18, s3
	s_delay_alu instid0(SALU_CYCLE_1) | instskip(NEXT) | instid1(SALU_CYCLE_1)
	s_ashr_i32 s21, s20, 31
	s_lshl_b64 s[20:21], s[20:21], 2
	s_delay_alu instid0(SALU_CYCLE_1)
	s_add_u32 s38, s26, s20
	s_addc_u32 s39, s25, s21
	s_clause 0x5
	s_load_b32 s21, s[4:5], 0x0
	s_load_b32 s13, s[6:7], 0x0
	;; [unrolled: 1-line block ×6, first 2 shown]
	s_or_b32 s9, s12, 0xc0
	s_mov_b32 s4, 0
	s_ashr_i32 s10, s9, 4
	s_cmp_lt_i32 s9, s24
	s_mov_b32 s11, s4
	s_cselect_b32 s36, s10, s3
	s_mov_b32 s5, s4
	s_ashr_i32 s37, s36, 31
	s_mov_b32 s6, s4
	s_lshl_b64 s[36:37], s[36:37], 2
	s_mov_b32 s7, s4
	s_add_u32 s36, s26, s36
	s_addc_u32 s37, s25, s37
	s_or_b32 s29, s12, 0xe0
	s_mov_b32 s8, s4
	s_ashr_i32 s30, s29, 4
	s_mov_b32 s9, s4
	s_mov_b32 s10, s4
	s_cmp_lt_i32 s29, s24
	v_dual_mov_b32 v107, s11 :: v_dual_mov_b32 v100, s4
	v_mov_b32_e32 v106, s10
	v_dual_mov_b32 v104, s8 :: v_dual_mov_b32 v103, s7
	v_dual_mov_b32 v102, s6 :: v_dual_mov_b32 v101, s5
	s_waitcnt vmcnt(1)
	v_mad_i64_i32 v[3:4], null, v5, s17, v[1:2]
	s_waitcnt vmcnt(0)
	v_mad_i64_i32 v[5:6], null, v7, s17, v[1:2]
	v_mul_lo_u16 v1, v65, 52
	v_lshlrev_b32_e32 v2, 4, v65
	s_clause 0x7
	global_load_b128 v[49:52], v[3:4], off
	global_load_b128 v[53:56], v[3:4], off offset:256
	global_load_b128 v[76:79], v[5:6], off
	global_load_b128 v[80:83], v[5:6], off offset:256
	global_load_b128 v[84:87], v[3:4], off offset:512
	;; [unrolled: 1-line block ×5, first 2 shown]
	v_lshrrev_b16 v1, 8, v1
	v_lshl_or_b32 v2, v66, 8, v2
	s_delay_alu instid0(VALU_DEP_2) | instskip(NEXT) | instid1(VALU_DEP_1)
	v_mul_lo_u16 v1, v1, 5
	v_sub_nc_u16 v1, v65, v1
	s_delay_alu instid0(VALU_DEP_1)
	v_and_b32_e32 v1, 0xff, v1
	v_mov_b32_e32 v105, s9
	s_cselect_b32 s4, s30, s3
	s_load_b32 s3, s[36:37], 0x0
	s_ashr_i32 s5, s4, 31
	v_lshlrev_b32_e32 v70, 6, v1
	s_lshl_b64 s[4:5], s[4:5], 2
	ds_load_b128 v[108:111], v70
	ds_load_b128 v[112:115], v70 offset:1024
	s_add_u32 s4, s26, s4
	s_addc_u32 s5, s25, s5
	s_add_u32 s6, s22, s27
	s_load_b32 s4, s[4:5], 0x0
	s_addc_u32 s7, s23, s28
	v_add_co_u32 v9, s6, s6, v2
	s_delay_alu instid0(VALU_DEP_1) | instskip(SKIP_1) | instid1(VALU_DEP_1)
	v_add_co_ci_u32_e64 v10, null, s7, 0, s6
	s_waitcnt lgkmcnt(0)
	v_mad_i64_i32 v[1:2], null, s21, s17, v[9:10]
	v_mad_i64_i32 v[3:4], null, s13, s17, v[9:10]
	v_mad_i64_i32 v[5:6], null, s15, s17, v[9:10]
	v_mad_i64_i32 v[7:8], null, s16, s17, v[9:10]
	v_mad_i64_i32 v[13:14], null, s20, s17, v[9:10]
	v_mad_i64_i32 v[11:12], null, s18, s17, v[9:10]
	v_mad_i64_i32 v[21:22], null, s3, s17, v[9:10]
	s_clause 0x9
	global_load_b128 v[57:60], v[1:2], off
	global_load_b128 v[61:64], v[1:2], off offset:16
	global_load_b128 v[41:44], v[3:4], off
	global_load_b128 v[45:48], v[3:4], off offset:16
	global_load_b128 v[33:36], v[5:6], off
	global_load_b128 v[37:40], v[5:6], off offset:16
	global_load_b128 v[25:28], v[7:8], off
	global_load_b128 v[29:32], v[7:8], off offset:16
	global_load_b128 v[1:4], v[11:12], off
	global_load_b128 v[5:8], v[11:12], off offset:16
	v_mad_i64_i32 v[68:69], null, s4, s17, v[9:10]
	s_clause 0x3
	global_load_b128 v[9:12], v[13:14], off
	global_load_b128 v[13:16], v[13:14], off offset:16
	global_load_b128 v[17:20], v[21:22], off
	global_load_b128 v[21:24], v[21:22], off offset:16
	s_waitcnt vmcnt(20)
	v_wmma_f32_16x16x16_bf16 v[116:123], v[49:56], v[108:115], v[100:107]
	s_clause 0x1
	global_load_b128 v[49:52], v[68:69], off
	global_load_b128 v[53:56], v[68:69], off offset:16
	v_and_b32_e32 v68, 0xe0, v0
	v_mbcnt_lo_u32_b32 v69, -1, 0
	s_delay_alu instid0(VALU_DEP_2)
	v_add_nc_u32_e32 v68, s12, v68
	s_waitcnt vmcnt(20)
	v_wmma_f32_16x16x16_bf16 v[100:107], v[76:83], v[108:115], v[100:107]
	ds_load_b128 v[76:79], v70 offset:2048
	ds_load_b128 v[80:83], v70 offset:3072
	v_xor_b32_e32 v70, 16, v69
	s_waitcnt vmcnt(0) lgkmcnt(0)
	v_or_b32_e32 v68, v68, v74
	s_barrier
	buffer_gl0_inv
	v_cmp_gt_i32_e32 vcc_lo, 32, v70
	v_or_b32_e32 v71, 4, v68
	v_or_b32_e32 v72, 6, v68
	v_cmp_gt_i32_e64 s3, s24, v68
	v_or_b32_e32 v108, 8, v68
	v_or_b32_e32 v109, 10, v68
	v_cmp_gt_i32_e64 s4, s24, v71
	v_cmp_gt_i32_e64 s5, s24, v72
	s_delay_alu instid0(VALU_DEP_4) | instskip(NEXT) | instid1(VALU_DEP_4)
	v_cmp_gt_i32_e64 s6, s24, v108
	v_cmp_gt_i32_e64 s7, s24, v109
	v_wmma_f32_16x16x16_bf16 v[116:123], v[84:91], v[76:83], v[116:123]
	v_cndmask_b32_e32 v69, v69, v70, vcc_lo
	v_or_b32_e32 v70, 2, v68
	v_wmma_f32_16x16x16_bf16 v[100:107], v[92:99], v[76:83], v[100:107]
	v_or_b32_e32 v89, 22, v68
	v_dual_mul_f32 v80, s19, v121 :: v_dual_mul_f32 v81, s19, v120
	v_dual_mul_f32 v92, s19, v117 :: v_dual_mul_f32 v93, s19, v116
	s_delay_alu instid0(VALU_DEP_4)
	v_mul_f32_e32 v96, s19, v105
	v_cmp_gt_i32_e32 vcc_lo, s24, v70
	v_dual_mul_f32 v79, s19, v122 :: v_dual_mul_f32 v82, s19, v119
	v_dual_mul_f32 v83, s19, v118 :: v_dual_mul_f32 v94, s19, v107
	v_cndmask_b32_e64 v93, 0xff7fffff, v93, s3
	v_cndmask_b32_e32 v92, 0xff7fffff, v92, vcc_lo
	v_or_b32_e32 v84, 12, v68
	v_or_b32_e32 v85, 14, v68
	v_cndmask_b32_e64 v71, 0xff7fffff, v83, s4
	v_cndmask_b32_e64 v72, 0xff7fffff, v82, s5
	v_cmp_gt_i32_e64 s13, s24, v89
	v_lshlrev_b32_e32 v89, 2, v69
	v_max3_f32 v82, v93, 0xff7fffff, v92
	v_or_b32_e32 v86, 16, v68
	v_or_b32_e32 v87, 18, v68
	v_mul_f32_e32 v78, s19, v123
	v_cndmask_b32_e64 v81, 0xff7fffff, v81, s6
	v_cndmask_b32_e64 v80, 0xff7fffff, v80, s7
	v_max3_f32 v71, v82, v71, v72
	v_cmp_gt_i32_e64 s8, s24, v84
	v_cmp_gt_i32_e64 s9, s24, v85
	v_or_b32_e32 v88, 20, v68
	v_or_b32_e32 v90, 24, v68
	;; [unrolled: 1-line block ×5, first 2 shown]
	v_dual_mul_f32 v97, s19, v104 :: v_dual_mul_f32 v70, s19, v101
	v_dual_mul_f32 v99, s19, v102 :: v_dual_mul_f32 v68, s19, v100
	v_cndmask_b32_e64 v72, 0xff7fffff, v79, s8
	v_cndmask_b32_e64 v78, 0xff7fffff, v78, s9
	v_max3_f32 v71, v71, v81, v80
	v_cmp_gt_i32_e64 s10, s24, v86
	v_cmp_gt_i32_e64 s11, s24, v87
	v_dual_mul_f32 v95, s19, v106 :: v_dual_mul_f32 v98, s19, v103
	s_delay_alu instid0(VALU_DEP_4) | instskip(NEXT) | instid1(VALU_DEP_4)
	v_max3_f32 v71, v71, v72, v78
	v_cndmask_b32_e64 v68, 0xff7fffff, v68, s10
	s_delay_alu instid0(VALU_DEP_4)
	v_cndmask_b32_e64 v70, 0xff7fffff, v70, s11
	v_cmp_gt_i32_e64 s12, s24, v88
	v_cndmask_b32_e64 v78, 0xff7fffff, v98, s13
	v_cmp_gt_i32_e64 s15, s24, v90
	v_cmp_gt_i32_e64 s16, s24, v91
	v_max3_f32 v68, v71, v68, v70
	v_cndmask_b32_e64 v72, 0xff7fffff, v99, s12
	v_cmp_gt_i32_e64 s17, s24, v76
	v_cndmask_b32_e64 v70, 0xff7fffff, v97, s15
	v_cndmask_b32_e64 v71, 0xff7fffff, v96, s16
	v_cmp_gt_i32_e64 s18, s24, v77
	v_max3_f32 v68, v68, v72, v78
	v_cndmask_b32_e64 v72, 0xff7fffff, v95, s17
	s_delay_alu instid0(VALU_DEP_3) | instskip(NEXT) | instid1(VALU_DEP_3)
	v_cndmask_b32_e64 v76, 0xff7fffff, v94, s18
	v_max3_f32 v68, v68, v70, v71
	s_delay_alu instid0(VALU_DEP_1) | instskip(SKIP_3) | instid1(VALU_DEP_1)
	v_max3_f32 v68, v68, v72, v76
	ds_bpermute_b32 v69, v89, v68
	s_waitcnt lgkmcnt(0)
	v_max_f32_e32 v69, v69, v69
	v_max_f32_e32 v68, v68, v69
	s_delay_alu instid0(VALU_DEP_1) | instskip(NEXT) | instid1(VALU_DEP_1)
	v_fma_f32 v71, s19, v118, -v68
	v_mul_f32_e32 v71, 0x3fb8aa3b, v71
	v_fma_f32 v70, s19, v117, -v68
	v_fma_f32 v69, s19, v116, -v68
	;; [unrolled: 1-line block ×5, first 2 shown]
	s_delay_alu instid0(VALU_DEP_4) | instskip(SKIP_1) | instid1(VALU_DEP_3)
	v_dual_mul_f32 v70, 0x3fb8aa3b, v70 :: v_dual_mul_f32 v69, 0x3fb8aa3b, v69
	v_exp_f32_e32 v71, v71
	v_mul_f32_e32 v72, 0x3fb8aa3b, v72
	v_fma_f32 v81, s19, v105, -v68
	s_delay_alu instid0(VALU_DEP_3)
	v_exp_f32_e32 v70, v70
	v_mul_f32_e32 v77, 0x3fb8aa3b, v76
	v_exp_f32_e32 v69, v69
	v_exp_f32_e32 v72, v72
	v_mul_f32_e32 v81, 0x3fb8aa3b, v81
	v_cndmask_b32_e64 v83, 0, v71, s4
	v_fma_f32 v71, s19, v123, -v68
	s_delay_alu instid0(VALU_DEP_3) | instskip(SKIP_4) | instid1(TRANS32_DEP_3)
	v_exp_f32_e32 v81, v81
	v_cndmask_b32_e32 v76, 0, v70, vcc_lo
	v_exp_f32_e32 v77, v77
	v_cndmask_b32_e64 v80, 0, v69, s3
	v_fma_f32 v69, s19, v121, -v68
	v_cndmask_b32_e64 v85, 0, v72, s5
	v_mul_f32_e32 v71, 0x3fb8aa3b, v71
	v_fma_f32 v72, s19, v100, -v68
	s_delay_alu instid0(VALU_DEP_4) | instskip(SKIP_1) | instid1(VALU_DEP_4)
	v_dual_add_f32 v70, 0, v80 :: v_dual_mul_f32 v69, 0x3fb8aa3b, v69
	v_cmp_gt_u32_e64 s3, 16, v67
	v_exp_f32_e32 v71, v71
	s_delay_alu instid0(TRANS32_DEP_2) | instskip(SKIP_4) | instid1(VALU_DEP_3)
	v_cndmask_b32_e64 v86, 0, v77, s6
	v_fma_f32 v77, s19, v101, -v68
	v_mul_f32_e32 v78, 0x3fb8aa3b, v78
	v_add_f32_e32 v70, v70, v76
	v_exp_f32_e32 v69, v69
	v_mul_f32_e32 v77, 0x3fb8aa3b, v77
	s_delay_alu instid0(VALU_DEP_3) | instskip(NEXT) | instid1(TRANS32_DEP_3)
	v_exp_f32_e32 v78, v78
	v_cndmask_b32_e64 v88, 0, v71, s9
	v_fma_f32 v71, s19, v104, -v68
	s_delay_alu instid0(VALU_DEP_3) | instskip(NEXT) | instid1(TRANS32_DEP_3)
	v_exp_f32_e32 v77, v77
	v_cndmask_b32_e64 v87, 0, v69, s7
	s_delay_alu instid0(VALU_DEP_2)
	v_mul_f32_e32 v71, 0x3fb8aa3b, v71
	s_waitcnt_depctr 0xfff
	v_cndmask_b32_e64 v84, 0, v78, s8
	v_add_f32_e32 v70, v70, v83
	v_fma_f32 v78, s19, v103, -v68
	v_exp_f32_e32 v82, v71
	s_delay_alu instid0(VALU_DEP_2) | instskip(SKIP_1) | instid1(VALU_DEP_3)
	v_add_f32_e32 v70, v70, v85
	v_mul_f32_e32 v72, 0x3fb8aa3b, v72
	v_mul_f32_e32 v78, 0x3fb8aa3b, v78
	s_delay_alu instid0(VALU_DEP_3) | instskip(SKIP_1) | instid1(VALU_DEP_4)
	v_add_f32_e32 v69, v70, v86
	v_fma_f32 v70, s19, v102, -v68
	v_exp_f32_e32 v72, v72
	s_delay_alu instid0(VALU_DEP_3) | instskip(NEXT) | instid1(VALU_DEP_1)
	v_exp_f32_e32 v78, v78
	v_dual_add_f32 v69, v69, v87 :: v_dual_mul_f32 v70, 0x3fb8aa3b, v70
	s_delay_alu instid0(VALU_DEP_1) | instskip(NEXT) | instid1(VALU_DEP_2)
	v_add_f32_e32 v69, v69, v84
	v_exp_f32_e32 v79, v70
	s_delay_alu instid0(TRANS32_DEP_3) | instskip(NEXT) | instid1(VALU_DEP_2)
	v_cndmask_b32_e64 v70, 0, v72, s10
	v_add_f32_e32 v72, v69, v88
	v_cndmask_b32_e64 v69, 0, v77, s11
	v_fma_f32 v77, s19, v106, -v68
	s_waitcnt_depctr 0xfff
	v_cndmask_b32_e64 v71, 0, v79, s12
	v_dual_mul_f32 v77, 0x3fb8aa3b, v77 :: v_dual_add_f32 v72, v72, v70
	s_delay_alu instid0(VALU_DEP_1) | instskip(NEXT) | instid1(VALU_DEP_1)
	v_exp_f32_e32 v90, v77
	v_add_f32_e32 v79, v72, v69
	v_cndmask_b32_e64 v72, 0, v78, s13
	v_cndmask_b32_e64 v77, 0, v82, s15
	s_delay_alu instid0(VALU_DEP_3) | instskip(SKIP_1) | instid1(VALU_DEP_1)
	v_add_f32_e32 v78, v79, v71
	v_fma_f32 v79, s19, v107, -v68
	v_dual_add_f32 v82, v78, v72 :: v_dual_mul_f32 v79, 0x3fb8aa3b, v79
	v_cndmask_b32_e64 v78, 0, v81, s16
	s_delay_alu instid0(VALU_DEP_2) | instskip(NEXT) | instid1(VALU_DEP_3)
	v_add_f32_e32 v81, v82, v77
	v_exp_f32_e32 v82, v79
	v_cndmask_b32_e64 v79, 0, v90, s17
	s_delay_alu instid0(VALU_DEP_2) | instskip(NEXT) | instid1(VALU_DEP_1)
	v_add_f32_e32 v81, v81, v78
	v_add_f32_e32 v90, v81, v79
	s_waitcnt_depctr 0xfff
	v_cndmask_b32_e64 v81, 0, v82, s18
	s_delay_alu instid0(VALU_DEP_1)
	v_add_f32_e32 v82, v90, v81
	ds_bpermute_b32 v89, v89, v82
	s_and_saveexec_b32 s4, s3
	s_cbranch_execz .LBB1410_12
; %bb.11:
	v_mul_u32_u24_e32 v67, 0x44, v66
	s_delay_alu instid0(VALU_DEP_1) | instskip(SKIP_1) | instid1(VALU_DEP_1)
	v_lshl_add_u32 v67, v65, 2, v67
	s_waitcnt lgkmcnt(0)
	v_dual_add_f32 v82, v82, v89 :: v_dual_add_nc_u32 v67, 0x4000, v67
	ds_store_2addr_b32 v67, v68, v82 offset1:136
.LBB1410_12:
	s_or_b32 exec_lo, exec_lo, s4
	v_lshlrev_b32_e32 v67, 2, v65
	s_waitcnt lgkmcnt(0)
	s_barrier
	buffer_gl0_inv
	v_cmp_eq_u32_e32 vcc_lo, 1, v66
	v_add_nc_u32_e32 v82, 0x4000, v67
	v_cmp_eq_u32_e64 s4, 2, v66
	v_cmp_eq_u32_e64 s6, 7, v66
	ds_load_2addr_b32 v[89:90], v82 offset1:17
	ds_load_2addr_b32 v[91:92], v82 offset0:34 offset1:51
	ds_load_2addr_b32 v[93:94], v82 offset0:68 offset1:85
	;; [unrolled: 1-line block ×4, first 2 shown]
	s_waitcnt lgkmcnt(4)
	v_max3_f32 v67, v89, 0xff7fffff, v90
	s_waitcnt lgkmcnt(3)
	s_delay_alu instid0(VALU_DEP_1) | instskip(SKIP_1) | instid1(VALU_DEP_1)
	v_max3_f32 v67, v67, v91, v92
	s_waitcnt lgkmcnt(2)
	v_max3_f32 v67, v67, v93, v94
	s_waitcnt lgkmcnt(1)
	s_delay_alu instid0(VALU_DEP_1) | instskip(NEXT) | instid1(VALU_DEP_1)
	v_max3_f32 v67, v67, v95, v96
	v_sub_f32_e32 v93, v93, v67
	s_delay_alu instid0(VALU_DEP_1) | instskip(NEXT) | instid1(VALU_DEP_1)
	v_dual_sub_f32 v68, v89, v67 :: v_dual_mul_f32 v103, 0x3fb8aa3b, v93
	v_mul_f32_e32 v68, 0x3fb8aa3b, v68
	s_delay_alu instid0(VALU_DEP_1)
	v_exp_f32_e32 v100, v68
	v_sub_f32_e32 v68, v92, v67
	v_sub_f32_e32 v99, v90, v67
	ds_load_2addr_b32 v[89:90], v82 offset0:170 offset1:187
	v_dual_mul_f32 v102, 0x3fb8aa3b, v68 :: v_dual_mul_f32 v99, 0x3fb8aa3b, v99
	s_waitcnt lgkmcnt(1)
	v_fma_f32 v68, v100, v97, 0
	s_delay_alu instid0(VALU_DEP_2) | instskip(NEXT) | instid1(VALU_DEP_2)
	v_exp_f32_e32 v102, v102
	v_exp_f32_e32 v99, v99
	s_waitcnt_depctr 0xfff
	v_fmac_f32_e32 v68, v99, v98
	v_sub_f32_e32 v91, v91, v67
	s_delay_alu instid0(VALU_DEP_1)
	v_mul_f32_e32 v101, 0x3fb8aa3b, v91
	ds_load_2addr_b32 v[91:92], v82 offset0:204 offset1:221
	v_sub_f32_e32 v97, v94, v67
	ds_load_2addr_b32 v[93:94], v82 offset0:238 offset1:255
	s_waitcnt lgkmcnt(0)
	v_exp_f32_e32 v101, v101
	s_barrier
	buffer_gl0_inv
	v_dual_fmac_f32 v68, v101, v89 :: v_dual_sub_f32 v89, v96, v67
	v_dual_sub_f32 v82, v95, v67 :: v_dual_mul_f32 v95, 0x3fb8aa3b, v97
	v_exp_f32_e32 v97, v103
	s_delay_alu instid0(VALU_DEP_2) | instskip(NEXT) | instid1(VALU_DEP_2)
	v_dual_fmac_f32 v68, v102, v90 :: v_dual_mul_f32 v89, 0x3fb8aa3b, v89
	v_mul_f32_e32 v82, 0x3fb8aa3b, v82
	s_delay_alu instid0(VALU_DEP_3) | instskip(NEXT) | instid1(VALU_DEP_2)
	v_exp_f32_e32 v95, v95
	v_exp_f32_e32 v89, v89
	s_delay_alu instid0(VALU_DEP_1)
	v_exp_f32_e32 v82, v82
	v_fmac_f32_e32 v68, v97, v91
	s_delay_alu instid0(TRANS32_DEP_3) | instid1(VALU_DEP_1)
	v_fmac_f32_e32 v68, v95, v92
	s_waitcnt_depctr 0xfff
	v_fmac_f32_e32 v68, v82, v93
	s_delay_alu instid0(VALU_DEP_1) | instskip(NEXT) | instid1(VALU_DEP_1)
	v_fmac_f32_e32 v68, v89, v94
	v_add_f32_e32 v90, 0x358637bd, v68
	s_delay_alu instid0(VALU_DEP_1) | instskip(NEXT) | instid1(VALU_DEP_1)
	v_div_scale_f32 v91, null, v90, v90, 1.0
	v_rcp_f32_e32 v92, v91
	s_waitcnt_depctr 0xfff
	v_fma_f32 v93, -v91, v92, 1.0
	s_delay_alu instid0(VALU_DEP_1) | instskip(SKIP_1) | instid1(VALU_DEP_2)
	v_dual_fmac_f32 v92, v93, v92 :: v_dual_cndmask_b32 v93, v100, v99
	v_cmp_eq_u32_e32 vcc_lo, 3, v66
	v_cndmask_b32_e64 v93, v93, v101, s4
	v_cmp_eq_u32_e64 s4, 4, v66
	s_delay_alu instid0(VALU_DEP_2) | instskip(SKIP_1) | instid1(VALU_DEP_2)
	v_cndmask_b32_e32 v93, v93, v102, vcc_lo
	v_cmp_eq_u32_e32 vcc_lo, 5, v66
	v_cndmask_b32_e64 v93, v93, v97, s4
	v_cmp_eq_u32_e64 s4, 6, v66
	s_delay_alu instid0(VALU_DEP_2) | instskip(SKIP_1) | instid1(VALU_DEP_1)
	v_cndmask_b32_e32 v93, v93, v95, vcc_lo
	v_div_scale_f32 v94, s5, 1.0, v90, 1.0
	s_mov_b32 vcc_lo, s5
	s_delay_alu instid0(VALU_DEP_2) | instskip(NEXT) | instid1(VALU_DEP_2)
	v_cndmask_b32_e64 v82, v93, v82, s4
	v_mul_f32_e32 v96, v94, v92
	s_mov_b32 s4, exec_lo
	s_delay_alu instid0(VALU_DEP_2) | instskip(NEXT) | instid1(VALU_DEP_2)
	v_cndmask_b32_e64 v82, v82, v89, s6
	v_fma_f32 v98, -v91, v96, v94
	s_delay_alu instid0(VALU_DEP_1) | instskip(NEXT) | instid1(VALU_DEP_1)
	v_fmac_f32_e32 v96, v98, v92
	v_fma_f32 v91, -v91, v96, v94
	s_delay_alu instid0(VALU_DEP_1) | instskip(NEXT) | instid1(VALU_DEP_1)
	v_div_fmas_f32 v91, v91, v92, v96
	v_div_fixup_f32 v90, v91, v90, 1.0
	s_delay_alu instid0(VALU_DEP_1) | instskip(NEXT) | instid1(VALU_DEP_1)
	v_mul_f32_e32 v82, v82, v90
	v_mul_f32_e32 v87, v82, v87
	;; [unrolled: 1-line block ×7, first 2 shown]
	v_dual_mul_f32 v86, v82, v83 :: v_dual_and_b32 v91, 0x7f800000, v90
	v_mul_f32_e32 v85, v82, v76
                                        ; implicit-def: $vgpr76
	s_delay_alu instid0(VALU_DEP_2)
	v_cmpx_ne_u32_e32 0x7f800000, v91
	s_xor_b32 s4, exec_lo, s4
; %bb.13:
	v_bfe_u32 v76, v90, 16, 1
	s_delay_alu instid0(VALU_DEP_1)
	v_add3_u32 v76, v90, v76, 0x7fff
                                        ; implicit-def: $vgpr90
; %bb.14:
	s_and_not1_saveexec_b32 s4, s4
; %bb.15:
	v_and_b32_e32 v76, 0xffff, v90
	v_or_b32_e32 v83, 0x10000, v90
	s_delay_alu instid0(VALU_DEP_2) | instskip(NEXT) | instid1(VALU_DEP_2)
	v_cmp_eq_u32_e32 vcc_lo, 0, v76
	v_cndmask_b32_e32 v76, v83, v90, vcc_lo
; %bb.16:
	s_or_b32 exec_lo, exec_lo, s4
	v_and_b32_e32 v83, 0x7f800000, v85
	s_delay_alu instid0(VALU_DEP_1) | instskip(SKIP_1) | instid1(SALU_CYCLE_1)
	v_cmp_ne_u32_e32 vcc_lo, 0x7f800000, v83
                                        ; implicit-def: $vgpr83
	s_and_saveexec_b32 s4, vcc_lo
	s_xor_b32 s4, exec_lo, s4
; %bb.17:
	v_bfe_u32 v83, v85, 16, 1
	s_delay_alu instid0(VALU_DEP_1)
	v_add3_u32 v83, v85, v83, 0x7fff
                                        ; implicit-def: $vgpr85
; %bb.18:
	s_and_not1_saveexec_b32 s4, s4
; %bb.19:
	v_and_b32_e32 v83, 0xffff, v85
	v_or_b32_e32 v90, 0x10000, v85
	s_delay_alu instid0(VALU_DEP_2) | instskip(NEXT) | instid1(VALU_DEP_2)
	v_cmp_eq_u32_e32 vcc_lo, 0, v83
	v_cndmask_b32_e32 v83, v90, v85, vcc_lo
; %bb.20:
	s_or_b32 exec_lo, exec_lo, s4
	v_and_b32_e32 v85, 0x7f800000, v86
	s_delay_alu instid0(VALU_DEP_1) | instskip(SKIP_1) | instid1(SALU_CYCLE_1)
	v_cmp_ne_u32_e32 vcc_lo, 0x7f800000, v85
                                        ; implicit-def: $vgpr85
	s_and_saveexec_b32 s4, vcc_lo
	s_xor_b32 s4, exec_lo, s4
; %bb.21:
	v_bfe_u32 v85, v86, 16, 1
	s_delay_alu instid0(VALU_DEP_1)
	v_add3_u32 v85, v86, v85, 0x7fff
                                        ; implicit-def: $vgpr86
; %bb.22:
	s_and_not1_saveexec_b32 s4, s4
; %bb.23:
	v_and_b32_e32 v85, 0xffff, v86
	v_or_b32_e32 v90, 0x10000, v86
	s_delay_alu instid0(VALU_DEP_2) | instskip(NEXT) | instid1(VALU_DEP_2)
	v_cmp_eq_u32_e32 vcc_lo, 0, v85
	v_cndmask_b32_e32 v85, v90, v86, vcc_lo
; %bb.24:
	s_or_b32 exec_lo, exec_lo, s4
	v_and_b32_e32 v86, 0x7f800000, v89
	s_delay_alu instid0(VALU_DEP_1) | instskip(SKIP_1) | instid1(SALU_CYCLE_1)
	v_cmp_ne_u32_e32 vcc_lo, 0x7f800000, v86
                                        ; implicit-def: $vgpr86
	s_and_saveexec_b32 s4, vcc_lo
	s_xor_b32 s4, exec_lo, s4
; %bb.25:
	v_bfe_u32 v86, v89, 16, 1
	s_delay_alu instid0(VALU_DEP_1)
	v_add3_u32 v86, v89, v86, 0x7fff
                                        ; implicit-def: $vgpr89
; %bb.26:
	s_and_not1_saveexec_b32 s4, s4
; %bb.27:
	v_and_b32_e32 v86, 0xffff, v89
	v_or_b32_e32 v90, 0x10000, v89
	s_delay_alu instid0(VALU_DEP_2) | instskip(NEXT) | instid1(VALU_DEP_2)
	v_cmp_eq_u32_e32 vcc_lo, 0, v86
	v_cndmask_b32_e32 v86, v90, v89, vcc_lo
; %bb.28:
	s_or_b32 exec_lo, exec_lo, s4
	v_and_b32_e32 v89, 0x7f800000, v88
	s_delay_alu instid0(VALU_DEP_1) | instskip(SKIP_1) | instid1(SALU_CYCLE_1)
	v_cmp_ne_u32_e32 vcc_lo, 0x7f800000, v89
                                        ; implicit-def: $vgpr89
	s_and_saveexec_b32 s4, vcc_lo
	s_xor_b32 s4, exec_lo, s4
; %bb.29:
	v_bfe_u32 v89, v88, 16, 1
	s_delay_alu instid0(VALU_DEP_1)
	v_add3_u32 v89, v88, v89, 0x7fff
                                        ; implicit-def: $vgpr88
; %bb.30:
	s_and_not1_saveexec_b32 s4, s4
; %bb.31:
	v_and_b32_e32 v89, 0xffff, v88
	v_or_b32_e32 v90, 0x10000, v88
	s_delay_alu instid0(VALU_DEP_2) | instskip(NEXT) | instid1(VALU_DEP_2)
	v_cmp_eq_u32_e32 vcc_lo, 0, v89
	v_cndmask_b32_e32 v89, v90, v88, vcc_lo
; %bb.32:
	s_or_b32 exec_lo, exec_lo, s4
	v_and_b32_e32 v88, 0x7f800000, v87
	s_delay_alu instid0(VALU_DEP_1) | instskip(SKIP_1) | instid1(SALU_CYCLE_1)
	v_cmp_ne_u32_e32 vcc_lo, 0x7f800000, v88
                                        ; implicit-def: $vgpr88
	s_and_saveexec_b32 s4, vcc_lo
	s_xor_b32 s4, exec_lo, s4
; %bb.33:
	v_bfe_u32 v88, v87, 16, 1
	s_delay_alu instid0(VALU_DEP_1)
	v_add3_u32 v88, v87, v88, 0x7fff
                                        ; implicit-def: $vgpr87
; %bb.34:
	s_and_not1_saveexec_b32 s4, s4
; %bb.35:
	v_and_b32_e32 v88, 0xffff, v87
	v_or_b32_e32 v90, 0x10000, v87
	s_delay_alu instid0(VALU_DEP_2) | instskip(NEXT) | instid1(VALU_DEP_2)
	v_cmp_eq_u32_e32 vcc_lo, 0, v88
	v_cndmask_b32_e32 v88, v90, v87, vcc_lo
; %bb.36:
	s_or_b32 exec_lo, exec_lo, s4
	v_and_b32_e32 v87, 0x7f800000, v84
	s_delay_alu instid0(VALU_DEP_1) | instskip(SKIP_1) | instid1(SALU_CYCLE_1)
	v_cmp_ne_u32_e32 vcc_lo, 0x7f800000, v87
                                        ; implicit-def: $vgpr87
	s_and_saveexec_b32 s4, vcc_lo
	s_xor_b32 s4, exec_lo, s4
; %bb.37:
	v_bfe_u32 v87, v84, 16, 1
	s_delay_alu instid0(VALU_DEP_1)
	v_add3_u32 v87, v84, v87, 0x7fff
                                        ; implicit-def: $vgpr84
; %bb.38:
	s_and_not1_saveexec_b32 s4, s4
; %bb.39:
	v_and_b32_e32 v87, 0xffff, v84
	v_or_b32_e32 v90, 0x10000, v84
	s_delay_alu instid0(VALU_DEP_2) | instskip(NEXT) | instid1(VALU_DEP_2)
	v_cmp_eq_u32_e32 vcc_lo, 0, v87
	v_cndmask_b32_e32 v87, v90, v84, vcc_lo
; %bb.40:
	s_or_b32 exec_lo, exec_lo, s4
	v_and_b32_e32 v84, 0x7f800000, v80
	s_delay_alu instid0(VALU_DEP_1) | instskip(SKIP_1) | instid1(SALU_CYCLE_1)
	v_cmp_ne_u32_e32 vcc_lo, 0x7f800000, v84
                                        ; implicit-def: $vgpr84
	s_and_saveexec_b32 s4, vcc_lo
	s_xor_b32 s4, exec_lo, s4
; %bb.41:
	v_bfe_u32 v84, v80, 16, 1
	s_delay_alu instid0(VALU_DEP_1)
	v_add3_u32 v84, v80, v84, 0x7fff
                                        ; implicit-def: $vgpr80
; %bb.42:
	s_and_not1_saveexec_b32 s4, s4
; %bb.43:
	v_and_b32_e32 v84, 0xffff, v80
	v_or_b32_e32 v90, 0x10000, v80
	s_delay_alu instid0(VALU_DEP_2) | instskip(NEXT) | instid1(VALU_DEP_2)
	v_cmp_eq_u32_e32 vcc_lo, 0, v84
	v_cndmask_b32_e32 v84, v90, v80, vcc_lo
; %bb.44:
	s_or_b32 exec_lo, exec_lo, s4
	s_load_b64 s[36:37], s[0:1], 0x94
	v_lshlrev_b32_e32 v91, 4, v74
	s_delay_alu instid0(VALU_DEP_2)
	v_perm_b32 v90, v84, v87, 0x7060302
	v_dual_mul_f32 v79, v82, v79 :: v_dual_lshlrev_b32 v80, 6, v65
	v_dual_mul_f32 v77, v82, v77 :: v_dual_lshlrev_b32 v92, 11, v66
	v_mul_f32_e32 v84, v82, v70
	v_perm_b32 v89, v88, v89, 0x7060302
	v_perm_b32 v88, v86, v85, 0x7060302
	;; [unrolled: 1-line block ×3, first 2 shown]
	v_mul_f32_e32 v70, v82, v81
	v_or3_b32 v76, v91, v92, v80
	v_dual_mul_f32 v78, v82, v78 :: v_dual_and_b32 v85, 0x7f800000, v84
	v_mul_f32_e32 v83, v82, v72
	v_mul_f32_e32 v81, v82, v71
	;; [unrolled: 1-line block ×3, first 2 shown]
	s_mov_b32 s4, exec_lo
	ds_store_b128 v76, v[87:90]
                                        ; implicit-def: $vgpr69
	v_cmpx_ne_u32_e32 0x7f800000, v85
	s_xor_b32 s4, exec_lo, s4
; %bb.45:
	v_bfe_u32 v69, v84, 16, 1
	s_delay_alu instid0(VALU_DEP_1)
	v_add3_u32 v69, v84, v69, 0x7fff
                                        ; implicit-def: $vgpr84
; %bb.46:
	s_and_not1_saveexec_b32 s4, s4
; %bb.47:
	v_and_b32_e32 v69, 0xffff, v84
	v_or_b32_e32 v71, 0x10000, v84
	s_delay_alu instid0(VALU_DEP_2) | instskip(NEXT) | instid1(VALU_DEP_2)
	v_cmp_eq_u32_e32 vcc_lo, 0, v69
	v_cndmask_b32_e32 v69, v71, v84, vcc_lo
; %bb.48:
	s_or_b32 exec_lo, exec_lo, s4
	v_and_b32_e32 v71, 0x7f800000, v72
	s_delay_alu instid0(VALU_DEP_1) | instskip(SKIP_1) | instid1(SALU_CYCLE_1)
	v_cmp_ne_u32_e32 vcc_lo, 0x7f800000, v71
                                        ; implicit-def: $vgpr71
	s_and_saveexec_b32 s4, vcc_lo
	s_xor_b32 s4, exec_lo, s4
; %bb.49:
	v_bfe_u32 v71, v72, 16, 1
	s_delay_alu instid0(VALU_DEP_1)
	v_add3_u32 v71, v72, v71, 0x7fff
                                        ; implicit-def: $vgpr72
; %bb.50:
	s_and_not1_saveexec_b32 s4, s4
; %bb.51:
	v_and_b32_e32 v71, 0xffff, v72
	v_or_b32_e32 v82, 0x10000, v72
	s_delay_alu instid0(VALU_DEP_2) | instskip(NEXT) | instid1(VALU_DEP_2)
	v_cmp_eq_u32_e32 vcc_lo, 0, v71
	v_cndmask_b32_e32 v71, v82, v72, vcc_lo
; %bb.52:
	s_or_b32 exec_lo, exec_lo, s4
	v_and_b32_e32 v72, 0x7f800000, v81
	s_delay_alu instid0(VALU_DEP_1) | instskip(SKIP_1) | instid1(SALU_CYCLE_1)
	v_cmp_ne_u32_e32 vcc_lo, 0x7f800000, v72
                                        ; implicit-def: $vgpr72
	s_and_saveexec_b32 s4, vcc_lo
	s_xor_b32 s4, exec_lo, s4
; %bb.53:
	v_bfe_u32 v72, v81, 16, 1
	s_delay_alu instid0(VALU_DEP_1)
	v_add3_u32 v72, v81, v72, 0x7fff
                                        ; implicit-def: $vgpr81
; %bb.54:
	s_and_not1_saveexec_b32 s4, s4
; %bb.55:
	v_and_b32_e32 v72, 0xffff, v81
	v_or_b32_e32 v82, 0x10000, v81
	s_delay_alu instid0(VALU_DEP_2) | instskip(NEXT) | instid1(VALU_DEP_2)
	v_cmp_eq_u32_e32 vcc_lo, 0, v72
	v_cndmask_b32_e32 v72, v82, v81, vcc_lo
; %bb.56:
	s_or_b32 exec_lo, exec_lo, s4
	v_and_b32_e32 v81, 0x7f800000, v83
	s_delay_alu instid0(VALU_DEP_1) | instskip(SKIP_1) | instid1(SALU_CYCLE_1)
	v_cmp_ne_u32_e32 vcc_lo, 0x7f800000, v81
                                        ; implicit-def: $vgpr81
	s_and_saveexec_b32 s4, vcc_lo
	s_xor_b32 s4, exec_lo, s4
; %bb.57:
	v_bfe_u32 v81, v83, 16, 1
	s_delay_alu instid0(VALU_DEP_1)
	v_add3_u32 v81, v83, v81, 0x7fff
                                        ; implicit-def: $vgpr83
; %bb.58:
	s_and_not1_saveexec_b32 s4, s4
; %bb.59:
	v_and_b32_e32 v81, 0xffff, v83
	v_or_b32_e32 v82, 0x10000, v83
	s_delay_alu instid0(VALU_DEP_2) | instskip(NEXT) | instid1(VALU_DEP_2)
	v_cmp_eq_u32_e32 vcc_lo, 0, v81
	v_cndmask_b32_e32 v81, v82, v83, vcc_lo
; %bb.60:
	s_or_b32 exec_lo, exec_lo, s4
	v_and_b32_e32 v82, 0x7f800000, v77
	s_delay_alu instid0(VALU_DEP_1) | instskip(SKIP_1) | instid1(SALU_CYCLE_1)
	v_cmp_ne_u32_e32 vcc_lo, 0x7f800000, v82
                                        ; implicit-def: $vgpr82
	s_and_saveexec_b32 s4, vcc_lo
	s_xor_b32 s4, exec_lo, s4
; %bb.61:
	v_bfe_u32 v82, v77, 16, 1
	s_delay_alu instid0(VALU_DEP_1)
	v_add3_u32 v82, v77, v82, 0x7fff
                                        ; implicit-def: $vgpr77
; %bb.62:
	s_and_not1_saveexec_b32 s4, s4
; %bb.63:
	v_and_b32_e32 v82, 0xffff, v77
	v_or_b32_e32 v83, 0x10000, v77
	s_delay_alu instid0(VALU_DEP_2) | instskip(NEXT) | instid1(VALU_DEP_2)
	v_cmp_eq_u32_e32 vcc_lo, 0, v82
	v_cndmask_b32_e32 v82, v83, v77, vcc_lo
; %bb.64:
	s_or_b32 exec_lo, exec_lo, s4
	v_and_b32_e32 v77, 0x7f800000, v78
	s_delay_alu instid0(VALU_DEP_1) | instskip(SKIP_1) | instid1(SALU_CYCLE_1)
	v_cmp_ne_u32_e32 vcc_lo, 0x7f800000, v77
                                        ; implicit-def: $vgpr77
	s_and_saveexec_b32 s4, vcc_lo
	s_xor_b32 s4, exec_lo, s4
; %bb.65:
	v_bfe_u32 v77, v78, 16, 1
	s_delay_alu instid0(VALU_DEP_1)
	v_add3_u32 v77, v78, v77, 0x7fff
                                        ; implicit-def: $vgpr78
; %bb.66:
	s_and_not1_saveexec_b32 s4, s4
; %bb.67:
	v_and_b32_e32 v77, 0xffff, v78
	v_or_b32_e32 v83, 0x10000, v78
	s_delay_alu instid0(VALU_DEP_2) | instskip(NEXT) | instid1(VALU_DEP_2)
	v_cmp_eq_u32_e32 vcc_lo, 0, v77
	v_cndmask_b32_e32 v77, v83, v78, vcc_lo
; %bb.68:
	s_or_b32 exec_lo, exec_lo, s4
	v_and_b32_e32 v78, 0x7f800000, v79
	s_delay_alu instid0(VALU_DEP_1) | instskip(SKIP_1) | instid1(SALU_CYCLE_1)
	v_cmp_ne_u32_e32 vcc_lo, 0x7f800000, v78
                                        ; implicit-def: $vgpr78
	s_and_saveexec_b32 s4, vcc_lo
	s_xor_b32 s4, exec_lo, s4
; %bb.69:
	v_bfe_u32 v78, v79, 16, 1
	s_delay_alu instid0(VALU_DEP_1)
	v_add3_u32 v78, v79, v78, 0x7fff
                                        ; implicit-def: $vgpr79
; %bb.70:
	s_and_not1_saveexec_b32 s4, s4
; %bb.71:
	v_and_b32_e32 v78, 0xffff, v79
	v_or_b32_e32 v83, 0x10000, v79
	s_delay_alu instid0(VALU_DEP_2) | instskip(NEXT) | instid1(VALU_DEP_2)
	v_cmp_eq_u32_e32 vcc_lo, 0, v78
	v_cndmask_b32_e32 v78, v83, v79, vcc_lo
; %bb.72:
	s_or_b32 exec_lo, exec_lo, s4
	v_and_b32_e32 v79, 0x7f800000, v70
	s_delay_alu instid0(VALU_DEP_1) | instskip(SKIP_1) | instid1(SALU_CYCLE_1)
	v_cmp_ne_u32_e32 vcc_lo, 0x7f800000, v79
                                        ; implicit-def: $vgpr79
	s_and_saveexec_b32 s4, vcc_lo
	s_xor_b32 s4, exec_lo, s4
; %bb.73:
	v_bfe_u32 v79, v70, 16, 1
	s_delay_alu instid0(VALU_DEP_1)
	v_add3_u32 v79, v70, v79, 0x7fff
                                        ; implicit-def: $vgpr70
; %bb.74:
	s_and_not1_saveexec_b32 s4, s4
; %bb.75:
	v_and_b32_e32 v79, 0xffff, v70
	v_or_b32_e32 v83, 0x10000, v70
	s_delay_alu instid0(VALU_DEP_2) | instskip(NEXT) | instid1(VALU_DEP_2)
	v_cmp_eq_u32_e32 vcc_lo, 0, v79
	v_cndmask_b32_e32 v79, v83, v70, vcc_lo
; %bb.76:
	s_or_b32 exec_lo, exec_lo, s4
	s_delay_alu instid0(VALU_DEP_1)
	v_perm_b32 v86, v79, v78, 0x7060302
	v_perm_b32 v85, v77, v82, 0x7060302
	;; [unrolled: 1-line block ×4, first 2 shown]
	v_lshl_or_b32 v82, v66, 11, v80
	ds_store_b128 v76, v[83:86] offset:1024
	s_waitcnt lgkmcnt(0)
	s_barrier
	buffer_gl0_inv
	ds_load_b128 v[69:72], v82
	ds_load_b128 v[83:86], v82 offset:16
	s_waitcnt lgkmcnt(1)
	v_lshrrev_b32_e32 v66, 16, v69
	s_waitcnt lgkmcnt(0)
	v_lshrrev_b32_e32 v91, 16, v83
	v_lshlrev_b32_e32 v78, 2, v74
	v_lshrrev_b32_e32 v95, 16, v70
	v_lshrrev_b32_e32 v98, 16, v84
	;; [unrolled: 1-line block ×4, first 2 shown]
	v_cmp_eq_u32_e32 vcc_lo, 1, v78
	v_lshrrev_b32_e32 v97, 16, v72
	v_lshrrev_b32_e32 v100, 16, v86
	v_cndmask_b32_e32 v87, v83, v91, vcc_lo
	v_or_b32_e32 v79, 1, v78
	v_cndmask_b32_e32 v81, v69, v66, vcc_lo
	v_cmp_eq_u32_e64 s5, 2, v78
	v_cmp_eq_u32_e64 s8, 3, v78
	;; [unrolled: 1-line block ×5, first 2 shown]
	v_cndmask_b32_e64 v81, v81, v70, s5
	v_cndmask_b32_e64 v87, v87, v84, s5
	v_cmp_eq_u32_e64 s9, 3, v79
	v_cndmask_b32_e64 v88, v69, v66, s4
	v_or_b32_e32 v77, 2, v78
	v_cndmask_b32_e64 v81, v81, v95, s8
	v_cndmask_b32_e64 v87, v87, v98, s8
	;; [unrolled: 1-line block ×4, first 2 shown]
	v_cmp_eq_u32_e64 s11, 5, v78
	v_cndmask_b32_e64 v81, v81, v71, s10
	v_cndmask_b32_e64 v87, v87, v85, s10
	v_cmp_eq_u32_e64 s12, 4, v79
	v_cndmask_b32_e64 v88, v88, v95, s9
	v_cmp_eq_u32_e64 s6, 1, v77
	v_cndmask_b32_e64 v89, v89, v84, s7
	v_cndmask_b32_e64 v81, v81, v96, s11
	v_cmp_eq_u32_e64 s13, 6, v78
	v_cndmask_b32_e64 v88, v88, v71, s12
	v_cndmask_b32_e64 v87, v87, v99, s11
	v_cmp_eq_u32_e64 s15, 5, v79
	v_cndmask_b32_e64 v90, v69, v66, s6
	v_cndmask_b32_e64 v89, v89, v98, s9
	v_cndmask_b32_e64 v81, v81, v72, s13
	v_cmp_eq_u32_e64 s16, 7, v78
	v_cndmask_b32_e64 v88, v88, v96, s15
	v_cndmask_b32_e64 v87, v87, v86, s13
	v_cmp_eq_u32_e64 s17, 6, v79
	v_cmp_eq_u32_e64 s18, 2, v77
	v_cndmask_b32_e64 v89, v89, v85, s12
	v_cndmask_b32_e64 v101, v81, v97, s16
	;; [unrolled: 1-line block ×6, first 2 shown]
	v_cmp_eq_u32_e64 s19, 7, v79
	v_cmp_eq_u32_e64 s20, 3, v77
	;; [unrolled: 1-line block ×4, first 2 shown]
	v_cndmask_b32_e64 v87, v87, v84, s18
	v_cndmask_b32_e64 v103, v88, v97, s19
	;; [unrolled: 1-line block ×4, first 2 shown]
	v_or_b32_e32 v81, 3, v78
	v_cndmask_b32_e64 v93, v87, v98, s20
	v_cmp_eq_u32_e64 s25, 6, v77
	v_cndmask_b32_e64 v104, v88, v86, s17
	v_cndmask_b32_e64 v92, v89, v71, s21
	v_cmp_eq_u32_e64 s22, 1, v81
	ds_load_b128 v[87:90], v82 offset:1024
	v_cmp_eq_u32_e64 s24, 2, v81
	v_cmp_eq_u32_e64 s26, 3, v81
	v_cndmask_b32_e64 v105, v92, v96, s23
	v_cndmask_b32_e64 v66, v69, v66, s22
	;; [unrolled: 1-line block ×4, first 2 shown]
	ds_load_b128 v[91:94], v82 offset:1040
	v_cmp_eq_u32_e64 s27, 4, v81
	v_cndmask_b32_e64 v66, v66, v70, s24
	v_cmp_eq_u32_e64 s28, 7, v77
	v_cndmask_b32_e64 v70, v83, v84, s24
	v_cndmask_b32_e64 v84, v105, v72, s25
	v_cmp_eq_u32_e64 s29, 5, v81
	v_cndmask_b32_e64 v66, v66, v95, s26
	v_cmp_eq_u32_e64 s30, 6, v81
	v_cndmask_b32_e64 v70, v70, v98, s26
	v_cndmask_b32_e64 v69, v69, v99, s23
	;; [unrolled: 1-line block ×4, first 2 shown]
	s_waitcnt lgkmcnt(1)
	v_lshrrev_b32_e32 v95, 16, v87
	v_cndmask_b32_e64 v70, v70, v85, s27
	v_cndmask_b32_e64 v71, v84, v97, s28
	v_cndmask_b32_e64 v69, v69, v86, s25
	v_cndmask_b32_e64 v66, v66, v96, s29
	v_cndmask_b32_e32 v84, v87, v95, vcc_lo
	v_cndmask_b32_e64 v70, v70, v99, s29
	s_waitcnt lgkmcnt(0)
	v_lshrrev_b32_e32 v85, 16, v91
	v_lshrrev_b32_e32 v96, 16, v88
	v_cndmask_b32_e64 v98, v87, v95, s4
	v_cndmask_b32_e64 v84, v84, v88, s5
	v_cndmask_b32_e64 v70, v70, v86, s30
	v_cndmask_b32_e32 v99, v91, v85, vcc_lo
	v_cmp_eq_u32_e32 vcc_lo, 7, v81
	v_cndmask_b32_e64 v66, v66, v72, s30
	v_cndmask_b32_e64 v72, v84, v96, s8
	;; [unrolled: 1-line block ×3, first 2 shown]
	v_lshrrev_b32_e32 v98, 16, v92
	v_cndmask_b32_e32 v70, v70, v100, vcc_lo
	v_cndmask_b32_e64 v86, v99, v92, s5
	v_cndmask_b32_e64 v69, v69, v100, s28
	v_lshrrev_b32_e32 v100, 16, v93
	v_cndmask_b32_e64 v72, v72, v89, s10
	v_lshrrev_b32_e32 v99, 16, v89
	v_cndmask_b32_e64 v86, v86, v98, s8
	v_perm_b32 v71, v69, v71, 0x5040100
	v_cndmask_b32_e64 v84, v84, v96, s9
	s_delay_alu instid0(VALU_DEP_3) | instskip(NEXT) | instid1(VALU_DEP_2)
	v_cndmask_b32_e64 v86, v86, v93, s10
	v_cndmask_b32_e64 v84, v84, v89, s12
	s_delay_alu instid0(VALU_DEP_2) | instskip(NEXT) | instid1(VALU_DEP_1)
	v_cndmask_b32_e64 v86, v86, v100, s11
	v_cndmask_b32_e64 v69, v86, v94, s13
	;; [unrolled: 1-line block ×5, first 2 shown]
	s_delay_alu instid0(VALU_DEP_3) | instskip(NEXT) | instid1(VALU_DEP_3)
	v_cndmask_b32_e64 v86, v86, v88, s18
	v_cndmask_b32_e64 v87, v87, v88, s24
	s_delay_alu instid0(VALU_DEP_3) | instskip(NEXT) | instid1(VALU_DEP_3)
	v_cndmask_b32_e64 v88, v95, v92, s24
	v_cndmask_b32_e64 v86, v86, v96, s20
	;; [unrolled: 3-line block ×7, first 2 shown]
	s_delay_alu instid0(VALU_DEP_3) | instskip(SKIP_2) | instid1(VALU_DEP_2)
	v_cndmask_b32_e64 v88, v88, v94, s30
	v_cndmask_b32_e32 v66, v66, v97, vcc_lo
	v_cndmask_b32_e64 v97, v72, v99, s11
	v_perm_b32 v72, v70, v66, 0x5040100
	v_perm_b32 v70, v83, v103, 0x5040100
	v_cndmask_b32_e64 v103, v91, v85, s6
	v_cndmask_b32_e64 v85, v91, v85, s4
	;; [unrolled: 1-line block ×4, first 2 shown]
	v_lshrrev_b32_e32 v97, 16, v90
	v_cndmask_b32_e64 v91, v103, v92, s18
	v_cndmask_b32_e64 v85, v85, v92, s7
	;; [unrolled: 1-line block ×3, first 2 shown]
	s_mov_b32 s4, exec_lo
	v_cndmask_b32_e64 v83, v84, v97, s16
	v_cndmask_b32_e64 v91, v91, v98, s20
	;; [unrolled: 1-line block ×3, first 2 shown]
	v_lshrrev_b32_e32 v84, 16, v94
	v_cndmask_b32_e64 v66, v66, v97, s19
	v_cndmask_b32_e64 v90, v86, v97, s28
	;; [unrolled: 1-line block ×4, first 2 shown]
	v_dual_cndmask_b32 v86, v87, v97 :: v_dual_cndmask_b32 v87, v88, v84
	v_cndmask_b32_e64 v91, v69, v84, s16
	s_delay_alu instid0(VALU_DEP_4) | instskip(NEXT) | instid1(VALU_DEP_4)
	v_cndmask_b32_e64 v89, v89, v100, s23
	v_cndmask_b32_e64 v85, v85, v100, s15
	v_perm_b32 v69, v102, v101, 0x5040100
	v_perm_b32 v86, v87, v86, 0x5040100
	;; [unrolled: 1-line block ×3, first 2 shown]
	v_cndmask_b32_e64 v89, v89, v94, s25
	v_cndmask_b32_e64 v85, v85, v94, s17
	s_mul_i32 s9, s37, 5
	s_delay_alu instid0(VALU_DEP_2) | instskip(NEXT) | instid1(VALU_DEP_2)
	v_cndmask_b32_e64 v88, v89, v84, s28
	v_cndmask_b32_e64 v89, v85, v84, s19
	s_delay_alu instid0(VALU_DEP_2) | instskip(NEXT) | instid1(VALU_DEP_2)
	v_perm_b32 v85, v88, v90, 0x5040100
	v_perm_b32 v84, v89, v66, 0x5040100
	ds_store_b128 v76, v[69:72]
	ds_store_b128 v76, v[83:86] offset:1024
	v_cmpx_gt_u32_e32 5, v0
	s_cbranch_execz .LBB1410_78
; %bb.77:
	s_mul_i32 s5, s9, s34
	s_load_b128 s[16:19], s[0:1], 0x58
	v_add3_u32 v69, s5, s31, v65
	s_delay_alu instid0(VALU_DEP_1) | instskip(NEXT) | instid1(VALU_DEP_1)
	v_mad_u64_u32 v[65:66], null, v69, s36, s[14:15]
	v_ashrrev_i32_e32 v66, 31, v65
	s_delay_alu instid0(VALU_DEP_1) | instskip(SKIP_1) | instid1(VALU_DEP_1)
	v_lshlrev_b64 v[65:66], 2, v[65:66]
	s_waitcnt lgkmcnt(0)
	v_add_co_u32 v69, vcc_lo, s18, v65
	s_delay_alu instid0(VALU_DEP_2)
	v_add_co_ci_u32_e32 v70, vcc_lo, s19, v66, vcc_lo
	v_add_co_u32 v65, vcc_lo, s16, v65
	v_add_co_ci_u32_e32 v66, vcc_lo, s17, v66, vcc_lo
	global_store_b32 v[69:70], v67, off
	global_store_b32 v[65:66], v68, off
.LBB1410_78:
	s_or_b32 exec_lo, exec_lo, s4
	s_waitcnt lgkmcnt(0)
	s_waitcnt_vscnt null, 0x0
	s_barrier
	buffer_gl0_inv
	ds_load_b128 v[83:86], v80
	ds_load_b128 v[87:90], v80 offset:16
	ds_load_b128 v[95:98], v80 offset:2064
	;; [unrolled: 1-line block ×3, first 2 shown]
	v_mov_b32_e32 v65, 0
	ds_load_b128 v[103:106], v80 offset:4112
	ds_load_b128 v[99:102], v80 offset:4096
	;; [unrolled: 1-line block ×4, first 2 shown]
	v_mov_b32_e32 v66, v65
	v_mov_b32_e32 v67, v65
	v_mov_b32_e32 v68, v65
	v_mov_b32_e32 v69, v65
	v_mov_b32_e32 v70, v65
	v_mov_b32_e32 v71, v65
	v_mov_b32_e32 v72, v65
	s_waitcnt lgkmcnt(6)
	s_delay_alu instid0(VALU_DEP_1)
	v_wmma_f32_16x16x16_bf16 v[65:72], v[57:64], v[83:90], v[65:72]
	ds_load_b128 v[61:64], v80 offset:8208
	ds_load_b128 v[57:60], v80 offset:8192
	s_waitcnt lgkmcnt(6)
	v_wmma_f32_16x16x16_bf16 v[65:72], v[41:48], v[91:98], v[65:72]
	ds_load_b128 v[45:48], v80 offset:10256
	ds_load_b128 v[41:44], v80 offset:10240
	s_waitcnt lgkmcnt(6)
	;; [unrolled: 4-line block ×4, first 2 shown]
	v_wmma_f32_16x16x16_bf16 v[65:72], v[1:8], v[57:64], v[65:72]
	s_waitcnt lgkmcnt(4)
	s_delay_alu instid0(VALU_DEP_1) | instskip(SKIP_1) | instid1(VALU_DEP_1)
	v_wmma_f32_16x16x16_bf16 v[65:72], v[9:16], v[41:48], v[65:72]
	s_waitcnt lgkmcnt(2)
	v_wmma_f32_16x16x16_bf16 v[65:72], v[17:24], v[33:40], v[65:72]
	s_waitcnt lgkmcnt(0)
	s_delay_alu instid0(VALU_DEP_1) | instskip(NEXT) | instid1(VALU_DEP_1)
	v_wmma_f32_16x16x16_bf16 v[65:72], v[49:56], v[25:32], v[65:72]
	v_and_b32_e32 v1, 0x7f800000, v65
	s_delay_alu instid0(VALU_DEP_1) | instskip(SKIP_1) | instid1(SALU_CYCLE_1)
	v_cmp_ne_u32_e32 vcc_lo, 0x7f800000, v1
                                        ; implicit-def: $vgpr1
	s_and_saveexec_b32 s4, vcc_lo
	s_xor_b32 s4, exec_lo, s4
; %bb.79:
	v_bfe_u32 v1, v65, 16, 1
	s_delay_alu instid0(VALU_DEP_1)
	v_add3_u32 v1, v65, v1, 0x7fff
; %bb.80:
	s_and_not1_saveexec_b32 s4, s4
; %bb.81:
	v_and_b32_e32 v1, 0xffff, v65
	v_or_b32_e32 v2, 0x10000, v65
	s_delay_alu instid0(VALU_DEP_2) | instskip(NEXT) | instid1(VALU_DEP_2)
	v_cmp_eq_u32_e32 vcc_lo, 0, v1
	v_cndmask_b32_e32 v1, v2, v65, vcc_lo
; %bb.82:
	s_or_b32 exec_lo, exec_lo, s4
	v_and_b32_e32 v2, 0x7f800000, v66
	s_delay_alu instid0(VALU_DEP_1) | instskip(SKIP_1) | instid1(SALU_CYCLE_1)
	v_cmp_ne_u32_e32 vcc_lo, 0x7f800000, v2
                                        ; implicit-def: $vgpr2
	s_and_saveexec_b32 s4, vcc_lo
	s_xor_b32 s4, exec_lo, s4
; %bb.83:
	v_bfe_u32 v2, v66, 16, 1
	s_delay_alu instid0(VALU_DEP_1)
	v_add3_u32 v2, v66, v2, 0x7fff
; %bb.84:
	s_and_not1_saveexec_b32 s4, s4
; %bb.85:
	v_and_b32_e32 v2, 0xffff, v66
	v_or_b32_e32 v3, 0x10000, v66
	s_delay_alu instid0(VALU_DEP_2) | instskip(NEXT) | instid1(VALU_DEP_2)
	v_cmp_eq_u32_e32 vcc_lo, 0, v2
	v_cndmask_b32_e32 v2, v3, v66, vcc_lo
; %bb.86:
	s_or_b32 exec_lo, exec_lo, s4
	v_and_b32_e32 v3, 0x7f800000, v67
	s_delay_alu instid0(VALU_DEP_1) | instskip(SKIP_1) | instid1(SALU_CYCLE_1)
	v_cmp_ne_u32_e32 vcc_lo, 0x7f800000, v3
                                        ; implicit-def: $vgpr3
	s_and_saveexec_b32 s4, vcc_lo
	s_xor_b32 s4, exec_lo, s4
; %bb.87:
	v_bfe_u32 v3, v67, 16, 1
	s_delay_alu instid0(VALU_DEP_1)
	v_add3_u32 v3, v67, v3, 0x7fff
; %bb.88:
	s_and_not1_saveexec_b32 s4, s4
; %bb.89:
	v_and_b32_e32 v3, 0xffff, v67
	v_or_b32_e32 v4, 0x10000, v67
	s_delay_alu instid0(VALU_DEP_2) | instskip(NEXT) | instid1(VALU_DEP_2)
	v_cmp_eq_u32_e32 vcc_lo, 0, v3
	v_cndmask_b32_e32 v3, v4, v67, vcc_lo
; %bb.90:
	s_or_b32 exec_lo, exec_lo, s4
	v_and_b32_e32 v4, 0x7f800000, v68
	s_delay_alu instid0(VALU_DEP_1) | instskip(SKIP_1) | instid1(SALU_CYCLE_1)
	v_cmp_ne_u32_e32 vcc_lo, 0x7f800000, v4
                                        ; implicit-def: $vgpr4
	s_and_saveexec_b32 s4, vcc_lo
	s_xor_b32 s4, exec_lo, s4
; %bb.91:
	v_bfe_u32 v4, v68, 16, 1
	s_delay_alu instid0(VALU_DEP_1)
	v_add3_u32 v4, v68, v4, 0x7fff
; %bb.92:
	s_and_not1_saveexec_b32 s4, s4
; %bb.93:
	v_and_b32_e32 v4, 0xffff, v68
	v_or_b32_e32 v5, 0x10000, v68
	s_delay_alu instid0(VALU_DEP_2) | instskip(NEXT) | instid1(VALU_DEP_2)
	v_cmp_eq_u32_e32 vcc_lo, 0, v4
	v_cndmask_b32_e32 v4, v5, v68, vcc_lo
; %bb.94:
	s_or_b32 exec_lo, exec_lo, s4
	v_and_b32_e32 v5, 0x7f800000, v69
	s_delay_alu instid0(VALU_DEP_1) | instskip(SKIP_1) | instid1(SALU_CYCLE_1)
	v_cmp_ne_u32_e32 vcc_lo, 0x7f800000, v5
                                        ; implicit-def: $vgpr5
	s_and_saveexec_b32 s4, vcc_lo
	s_xor_b32 s4, exec_lo, s4
; %bb.95:
	v_bfe_u32 v5, v69, 16, 1
	s_delay_alu instid0(VALU_DEP_1)
	v_add3_u32 v5, v69, v5, 0x7fff
; %bb.96:
	s_and_not1_saveexec_b32 s4, s4
; %bb.97:
	v_and_b32_e32 v5, 0xffff, v69
	v_or_b32_e32 v6, 0x10000, v69
	s_delay_alu instid0(VALU_DEP_2) | instskip(NEXT) | instid1(VALU_DEP_2)
	v_cmp_eq_u32_e32 vcc_lo, 0, v5
	v_cndmask_b32_e32 v5, v6, v69, vcc_lo
; %bb.98:
	s_or_b32 exec_lo, exec_lo, s4
	v_and_b32_e32 v6, 0x7f800000, v70
	s_delay_alu instid0(VALU_DEP_1) | instskip(SKIP_1) | instid1(SALU_CYCLE_1)
	v_cmp_ne_u32_e32 vcc_lo, 0x7f800000, v6
                                        ; implicit-def: $vgpr6
	s_and_saveexec_b32 s4, vcc_lo
	s_xor_b32 s4, exec_lo, s4
; %bb.99:
	v_bfe_u32 v6, v70, 16, 1
	s_delay_alu instid0(VALU_DEP_1)
	v_add3_u32 v6, v70, v6, 0x7fff
; %bb.100:
	s_and_not1_saveexec_b32 s4, s4
; %bb.101:
	v_and_b32_e32 v6, 0xffff, v70
	v_or_b32_e32 v7, 0x10000, v70
	s_delay_alu instid0(VALU_DEP_2) | instskip(NEXT) | instid1(VALU_DEP_2)
	v_cmp_eq_u32_e32 vcc_lo, 0, v6
	v_cndmask_b32_e32 v6, v7, v70, vcc_lo
; %bb.102:
	s_or_b32 exec_lo, exec_lo, s4
	v_and_b32_e32 v7, 0x7f800000, v71
	s_delay_alu instid0(VALU_DEP_1) | instskip(SKIP_1) | instid1(SALU_CYCLE_1)
	v_cmp_ne_u32_e32 vcc_lo, 0x7f800000, v7
                                        ; implicit-def: $vgpr7
	s_and_saveexec_b32 s4, vcc_lo
	s_xor_b32 s4, exec_lo, s4
; %bb.103:
	v_bfe_u32 v7, v71, 16, 1
	s_delay_alu instid0(VALU_DEP_1)
	v_add3_u32 v7, v71, v7, 0x7fff
; %bb.104:
	s_and_not1_saveexec_b32 s4, s4
; %bb.105:
	v_and_b32_e32 v7, 0xffff, v71
	v_or_b32_e32 v8, 0x10000, v71
	s_delay_alu instid0(VALU_DEP_2) | instskip(NEXT) | instid1(VALU_DEP_2)
	v_cmp_eq_u32_e32 vcc_lo, 0, v7
	v_cndmask_b32_e32 v7, v8, v71, vcc_lo
; %bb.106:
	s_or_b32 exec_lo, exec_lo, s4
	v_and_b32_e32 v8, 0x7f800000, v72
	s_delay_alu instid0(VALU_DEP_1) | instskip(SKIP_1) | instid1(SALU_CYCLE_1)
	v_cmp_ne_u32_e32 vcc_lo, 0x7f800000, v8
                                        ; implicit-def: $vgpr8
	s_and_saveexec_b32 s4, vcc_lo
	s_xor_b32 s4, exec_lo, s4
; %bb.107:
	v_bfe_u32 v8, v72, 16, 1
	s_delay_alu instid0(VALU_DEP_1)
	v_add3_u32 v8, v72, v8, 0x7fff
                                        ; implicit-def: $vgpr65_vgpr66_vgpr67_vgpr68_vgpr69_vgpr70_vgpr71_vgpr72
; %bb.108:
	s_and_not1_saveexec_b32 s4, s4
; %bb.109:
	v_and_b32_e32 v8, 0xffff, v72
	v_or_b32_e32 v9, 0x10000, v72
	s_delay_alu instid0(VALU_DEP_2) | instskip(NEXT) | instid1(VALU_DEP_2)
	v_cmp_eq_u32_e32 vcc_lo, 0, v8
	v_cndmask_b32_e32 v8, v9, v72, vcc_lo
; %bb.110:
	s_or_b32 exec_lo, exec_lo, s4
	s_delay_alu instid0(VALU_DEP_1)
	v_perm_b32 v7, v8, v7, 0x7060302
	v_perm_b32 v6, v6, v5, 0x7060302
	v_perm_b32 v5, v4, v3, 0x7060302
	v_perm_b32 v4, v2, v1, 0x7060302
	s_barrier
	buffer_gl0_inv
	v_cmp_eq_u32_e32 vcc_lo, 1, v78
	ds_store_b128 v76, v[4:7]
	s_waitcnt lgkmcnt(0)
	s_barrier
	buffer_gl0_inv
	ds_load_b128 v[1:4], v82
	ds_load_b128 v[5:8], v82 offset:16
	v_cmp_eq_u32_e64 s4, 1, v79
	v_cmp_eq_u32_e64 s5, 2, v78
	;; [unrolled: 1-line block ×5, first 2 shown]
	s_waitcnt lgkmcnt(1)
	v_lshrrev_b32_e32 v9, 16, v1
	s_waitcnt lgkmcnt(0)
	v_lshrrev_b32_e32 v13, 16, v5
	v_lshrrev_b32_e32 v10, 16, v2
	;; [unrolled: 1-line block ×4, first 2 shown]
	v_cndmask_b32_e64 v19, v1, v9, s4
	v_cndmask_b32_e32 v18, v5, v13, vcc_lo
	v_cndmask_b32_e64 v20, v5, v13, s4
	v_cndmask_b32_e32 v17, v1, v9, vcc_lo
	v_cmp_eq_u32_e32 vcc_lo, 2, v79
	v_lshrrev_b32_e32 v15, 16, v7
	v_cmp_eq_u32_e64 s4, 1, v77
	v_lshrrev_b32_e32 v12, 16, v4
	v_lshrrev_b32_e32 v16, 16, v8
	v_cndmask_b32_e32 v20, v20, v6, vcc_lo
	v_cndmask_b32_e64 v17, v17, v2, s5
	v_cndmask_b32_e32 v19, v19, v2, vcc_lo
	v_cndmask_b32_e64 v18, v18, v6, s5
	v_cmp_eq_u32_e32 vcc_lo, 4, v78
	v_cmp_eq_u32_e64 s5, 3, v79
	v_cndmask_b32_e64 v17, v17, v10, s6
	v_cndmask_b32_e64 v21, v1, v9, s4
	;; [unrolled: 1-line block ×5, first 2 shown]
	v_cndmask_b32_e32 v17, v17, v3, vcc_lo
	v_cndmask_b32_e64 v20, v20, v14, s5
	v_cndmask_b32_e32 v18, v18, v7, vcc_lo
	v_cmp_eq_u32_e32 vcc_lo, 4, v79
	v_cmp_eq_u32_e64 s5, 5, v79
	v_cmp_eq_u32_e64 s4, 2, v81
	v_cndmask_b32_e64 v21, v21, v2, s8
	v_cmp_eq_u32_e64 s6, 5, v78
	v_cndmask_b32_e32 v19, v19, v3, vcc_lo
	v_cndmask_b32_e32 v20, v20, v7, vcc_lo
	v_cmp_eq_u32_e32 vcc_lo, 6, v79
	s_delay_alu instid0(VALU_DEP_4) | instskip(NEXT) | instid1(VALU_DEP_4)
	v_cndmask_b32_e64 v17, v17, v11, s6
	v_cndmask_b32_e64 v19, v19, v11, s5
	s_delay_alu instid0(VALU_DEP_4) | instskip(SKIP_1) | instid1(VALU_DEP_3)
	v_cndmask_b32_e64 v20, v20, v15, s5
	v_cmp_eq_u32_e64 s5, 1, v81
	v_cndmask_b32_e32 v19, v19, v4, vcc_lo
	v_cndmask_b32_e64 v18, v18, v15, s6
	s_delay_alu instid0(VALU_DEP_3)
	v_cndmask_b32_e64 v1, v1, v9, s5
	v_cndmask_b32_e64 v5, v5, v13, s5
	v_cmp_eq_u32_e64 s5, 3, v77
	v_cndmask_b32_e64 v13, v22, v6, s8
	v_cmp_eq_u32_e64 s8, 3, v81
	v_cndmask_b32_e64 v1, v1, v2, s4
	v_cndmask_b32_e64 v2, v5, v6, s4
	;; [unrolled: 1-line block ×3, first 2 shown]
	v_cmp_eq_u32_e64 s4, 4, v77
	v_cndmask_b32_e64 v6, v13, v14, s5
	v_cndmask_b32_e64 v1, v1, v10, s8
	v_cmp_eq_u32_e64 s5, 4, v81
	v_cndmask_b32_e64 v2, v2, v14, s8
	v_cndmask_b32_e64 v5, v9, v3, s4
	;; [unrolled: 3-line block ×3, first 2 shown]
	v_cndmask_b32_e64 v2, v2, v7, s5
	v_cmp_eq_u32_e64 s4, 5, v81
	v_cmp_eq_u32_e64 s6, 6, v78
	v_cndmask_b32_e64 v5, v5, v11, s8
	v_cmp_eq_u32_e64 s5, 6, v77
	v_cndmask_b32_e64 v3, v6, v15, s8
	v_cndmask_b32_e64 v1, v1, v11, s4
	v_cmp_eq_u32_e64 s8, 6, v81
	v_cndmask_b32_e64 v2, v2, v15, s4
	v_cndmask_b32_e64 v17, v17, v4, s6
	v_cndmask_b32_e64 v18, v18, v8, s6
	v_cmp_eq_u32_e64 s6, 7, v78
	v_cndmask_b32_e64 v5, v5, v4, s5
	;; [unrolled: 4-line block ×3, first 2 shown]
	v_cmp_eq_u32_e64 s5, 7, v77
	v_cndmask_b32_e32 v4, v20, v8, vcc_lo
	v_cndmask_b32_e64 v17, v17, v12, s6
	v_cndmask_b32_e64 v19, v19, v12, s7
	;; [unrolled: 1-line block ×8, first 2 shown]
	v_cmp_gt_u32_e32 vcc_lo, 32, v0
	v_perm_b32 v4, v2, v1, 0x5040100
	v_perm_b32 v3, v3, v5, 0x5040100
	v_perm_b32 v2, v6, v19, 0x5040100
	v_perm_b32 v1, v7, v17, 0x5040100
	s_and_b32 s2, vcc_lo, s2
	ds_store_b128 v76, v[1:4]
	s_waitcnt lgkmcnt(0)
	s_barrier
	buffer_gl0_inv
	s_and_saveexec_b32 s4, s2
	s_cbranch_execz .LBB1410_2
; %bb.111:
	s_load_b64 s[4:5], s[0:1], 0x68
	v_lshlrev_b32_e32 v0, 10, v0
	v_add_nc_u32_e32 v2, s31, v74
	v_lshlrev_b32_e32 v3, 4, v75
	s_lshl_b32 s0, s36, 6
	s_delay_alu instid0(SALU_CYCLE_1) | instskip(NEXT) | instid1(VALU_DEP_2)
	s_mul_i32 s1, s0, s34
	v_mul_lo_u32 v1, v2, s0
	s_delay_alu instid0(VALU_DEP_2) | instskip(SKIP_2) | instid1(SALU_CYCLE_1)
	v_and_or_b32 v0, 0x3800, v0, v3
	v_add_nc_u32_e32 v2, 2, v2
	s_mul_i32 s6, s1, s9
	s_ashr_i32 s7, s6, 31
	s_delay_alu instid0(VALU_DEP_2)
	v_lshl_or_b32 v7, v74, 6, v0
	s_lshl_b64 s[6:7], s[6:7], 1
	v_mul_lo_u32 v11, v2, s0
	v_ashrrev_i32_e32 v2, 31, v1
	ds_load_b128 v[3:6], v7
	ds_load_b128 v[7:10], v7 offset:128
	s_waitcnt lgkmcnt(0)
	s_add_u32 s1, s4, s6
	s_addc_u32 s2, s5, s7
	s_lshl_b32 s4, s14, 6
	v_ashrrev_i32_e32 v12, 31, v11
	s_ashr_i32 s5, s4, 31
	v_lshlrev_b64 v[13:14], 1, v[1:2]
	s_lshl_b64 s[4:5], s[4:5], 1
	s_delay_alu instid0(SALU_CYCLE_1) | instskip(SKIP_2) | instid1(VALU_DEP_1)
	s_add_u32 s1, s1, s4
	s_addc_u32 s2, s2, s5
	v_add_co_u32 v1, s1, s1, v73
	v_add_co_ci_u32_e64 v2, null, s2, 0, s1
	v_lshlrev_b64 v[11:12], 1, v[11:12]
	s_delay_alu instid0(VALU_DEP_3) | instskip(NEXT) | instid1(VALU_DEP_3)
	v_add_co_u32 v13, vcc_lo, v1, v13
	v_add_co_ci_u32_e32 v14, vcc_lo, v2, v14, vcc_lo
	s_delay_alu instid0(VALU_DEP_3) | instskip(NEXT) | instid1(VALU_DEP_4)
	v_add_co_u32 v11, vcc_lo, v1, v11
	v_add_co_ci_u32_e32 v12, vcc_lo, v2, v12, vcc_lo
	s_clause 0x1
	global_store_b128 v[13:14], v[3:6], off
	global_store_b128 v[11:12], v[7:10], off
	s_and_b32 exec_lo, exec_lo, s3
	s_cbranch_execz .LBB1410_2
; %bb.112:
	ds_load_b128 v[3:6], v0 offset:256
	s_add_i32 s1, s31, 4
	s_delay_alu instid0(SALU_CYCLE_1) | instskip(NEXT) | instid1(SALU_CYCLE_1)
	s_mul_i32 s0, s1, s0
	s_ashr_i32 s1, s0, 31
	s_delay_alu instid0(SALU_CYCLE_1) | instskip(NEXT) | instid1(SALU_CYCLE_1)
	s_lshl_b64 s[0:1], s[0:1], 1
	v_add_co_u32 v0, vcc_lo, v1, s0
	v_add_co_ci_u32_e32 v1, vcc_lo, s1, v2, vcc_lo
	s_waitcnt lgkmcnt(0)
	global_store_b128 v[0:1], v[3:6], off
	s_nop 0
	s_sendmsg sendmsg(MSG_DEALLOC_VGPRS)
	s_endpgm
	.section	.rodata,"a",@progbits
	.p2align	6, 0x0
	.amdhsa_kernel _Z39paged_attention_ll4mi_QKV_mfma16_kernelI14__hip_bfloat16hLN4vllm18Fp8KVCacheDataTypeE1ES0_Li16ELi64ELi256ELb0ELi5EL8MFMAType1EEvPKT_PKT0_S9_ifPKiSB_SB_iPKfiiiPfSE_PS4_PT2_iSD_SD_
		.amdhsa_group_segment_fixed_size 17472
		.amdhsa_private_segment_fixed_size 0
		.amdhsa_kernarg_size 400
		.amdhsa_user_sgpr_count 13
		.amdhsa_user_sgpr_dispatch_ptr 0
		.amdhsa_user_sgpr_queue_ptr 0
		.amdhsa_user_sgpr_kernarg_segment_ptr 1
		.amdhsa_user_sgpr_dispatch_id 0
		.amdhsa_user_sgpr_private_segment_size 0
		.amdhsa_wavefront_size32 1
		.amdhsa_uses_dynamic_stack 0
		.amdhsa_enable_private_segment 0
		.amdhsa_system_sgpr_workgroup_id_x 1
		.amdhsa_system_sgpr_workgroup_id_y 1
		.amdhsa_system_sgpr_workgroup_id_z 1
		.amdhsa_system_sgpr_workgroup_info 0
		.amdhsa_system_vgpr_workitem_id 0
		.amdhsa_next_free_vgpr 124
		.amdhsa_next_free_sgpr 40
		.amdhsa_reserve_vcc 1
		.amdhsa_float_round_mode_32 0
		.amdhsa_float_round_mode_16_64 0
		.amdhsa_float_denorm_mode_32 3
		.amdhsa_float_denorm_mode_16_64 3
		.amdhsa_dx10_clamp 1
		.amdhsa_ieee_mode 1
		.amdhsa_fp16_overflow 0
		.amdhsa_workgroup_processor_mode 1
		.amdhsa_memory_ordered 1
		.amdhsa_forward_progress 0
		.amdhsa_shared_vgpr_count 0
		.amdhsa_exception_fp_ieee_invalid_op 0
		.amdhsa_exception_fp_denorm_src 0
		.amdhsa_exception_fp_ieee_div_zero 0
		.amdhsa_exception_fp_ieee_overflow 0
		.amdhsa_exception_fp_ieee_underflow 0
		.amdhsa_exception_fp_ieee_inexact 0
		.amdhsa_exception_int_div_zero 0
	.end_amdhsa_kernel
	.section	.text._Z39paged_attention_ll4mi_QKV_mfma16_kernelI14__hip_bfloat16hLN4vllm18Fp8KVCacheDataTypeE1ES0_Li16ELi64ELi256ELb0ELi5EL8MFMAType1EEvPKT_PKT0_S9_ifPKiSB_SB_iPKfiiiPfSE_PS4_PT2_iSD_SD_,"axG",@progbits,_Z39paged_attention_ll4mi_QKV_mfma16_kernelI14__hip_bfloat16hLN4vllm18Fp8KVCacheDataTypeE1ES0_Li16ELi64ELi256ELb0ELi5EL8MFMAType1EEvPKT_PKT0_S9_ifPKiSB_SB_iPKfiiiPfSE_PS4_PT2_iSD_SD_,comdat
.Lfunc_end1410:
	.size	_Z39paged_attention_ll4mi_QKV_mfma16_kernelI14__hip_bfloat16hLN4vllm18Fp8KVCacheDataTypeE1ES0_Li16ELi64ELi256ELb0ELi5EL8MFMAType1EEvPKT_PKT0_S9_ifPKiSB_SB_iPKfiiiPfSE_PS4_PT2_iSD_SD_, .Lfunc_end1410-_Z39paged_attention_ll4mi_QKV_mfma16_kernelI14__hip_bfloat16hLN4vllm18Fp8KVCacheDataTypeE1ES0_Li16ELi64ELi256ELb0ELi5EL8MFMAType1EEvPKT_PKT0_S9_ifPKiSB_SB_iPKfiiiPfSE_PS4_PT2_iSD_SD_
                                        ; -- End function
	.section	.AMDGPU.csdata,"",@progbits
; Kernel info:
; codeLenInByte = 8756
; NumSgprs: 42
; NumVgprs: 124
; ScratchSize: 0
; MemoryBound: 0
; FloatMode: 240
; IeeeMode: 1
; LDSByteSize: 17472 bytes/workgroup (compile time only)
; SGPRBlocks: 5
; VGPRBlocks: 15
; NumSGPRsForWavesPerEU: 42
; NumVGPRsForWavesPerEU: 124
; Occupancy: 10
; WaveLimiterHint : 1
; COMPUTE_PGM_RSRC2:SCRATCH_EN: 0
; COMPUTE_PGM_RSRC2:USER_SGPR: 13
; COMPUTE_PGM_RSRC2:TRAP_HANDLER: 0
; COMPUTE_PGM_RSRC2:TGID_X_EN: 1
; COMPUTE_PGM_RSRC2:TGID_Y_EN: 1
; COMPUTE_PGM_RSRC2:TGID_Z_EN: 1
; COMPUTE_PGM_RSRC2:TIDIG_COMP_CNT: 0
	.section	.text._Z39paged_attention_ll4mi_QKV_mfma16_kernelI14__hip_bfloat16hLN4vllm18Fp8KVCacheDataTypeE1ES0_Li16ELi64ELi256ELb0ELi6EL8MFMAType1EEvPKT_PKT0_S9_ifPKiSB_SB_iPKfiiiPfSE_PS4_PT2_iSD_SD_,"axG",@progbits,_Z39paged_attention_ll4mi_QKV_mfma16_kernelI14__hip_bfloat16hLN4vllm18Fp8KVCacheDataTypeE1ES0_Li16ELi64ELi256ELb0ELi6EL8MFMAType1EEvPKT_PKT0_S9_ifPKiSB_SB_iPKfiiiPfSE_PS4_PT2_iSD_SD_,comdat
	.protected	_Z39paged_attention_ll4mi_QKV_mfma16_kernelI14__hip_bfloat16hLN4vllm18Fp8KVCacheDataTypeE1ES0_Li16ELi64ELi256ELb0ELi6EL8MFMAType1EEvPKT_PKT0_S9_ifPKiSB_SB_iPKfiiiPfSE_PS4_PT2_iSD_SD_ ; -- Begin function _Z39paged_attention_ll4mi_QKV_mfma16_kernelI14__hip_bfloat16hLN4vllm18Fp8KVCacheDataTypeE1ES0_Li16ELi64ELi256ELb0ELi6EL8MFMAType1EEvPKT_PKT0_S9_ifPKiSB_SB_iPKfiiiPfSE_PS4_PT2_iSD_SD_
	.globl	_Z39paged_attention_ll4mi_QKV_mfma16_kernelI14__hip_bfloat16hLN4vllm18Fp8KVCacheDataTypeE1ES0_Li16ELi64ELi256ELb0ELi6EL8MFMAType1EEvPKT_PKT0_S9_ifPKiSB_SB_iPKfiiiPfSE_PS4_PT2_iSD_SD_
	.p2align	8
	.type	_Z39paged_attention_ll4mi_QKV_mfma16_kernelI14__hip_bfloat16hLN4vllm18Fp8KVCacheDataTypeE1ES0_Li16ELi64ELi256ELb0ELi6EL8MFMAType1EEvPKT_PKT0_S9_ifPKiSB_SB_iPKfiiiPfSE_PS4_PT2_iSD_SD_,@function
_Z39paged_attention_ll4mi_QKV_mfma16_kernelI14__hip_bfloat16hLN4vllm18Fp8KVCacheDataTypeE1ES0_Li16ELi64ELi256ELb0ELi6EL8MFMAType1EEvPKT_PKT0_S9_ifPKiSB_SB_iPKfiiiPfSE_PS4_PT2_iSD_SD_: ; @_Z39paged_attention_ll4mi_QKV_mfma16_kernelI14__hip_bfloat16hLN4vllm18Fp8KVCacheDataTypeE1ES0_Li16ELi64ELi256ELb0ELi6EL8MFMAType1EEvPKT_PKT0_S9_ifPKiSB_SB_iPKfiiiPfSE_PS4_PT2_iSD_SD_
; %bb.0:
	s_load_b64 s[2:3], s[0:1], 0x30
	s_mov_b32 s30, s13
	s_waitcnt lgkmcnt(0)
	s_cmp_lg_u64 s[2:3], 0
	s_cselect_b32 s8, -1, 0
	s_ashr_i32 s31, s13, 31
	s_cmp_eq_u64 s[2:3], 0
	s_cbranch_scc1 .LBB1411_3
; %bb.1:
	s_lshl_b64 s[4:5], s[30:31], 2
	s_delay_alu instid0(SALU_CYCLE_1) | instskip(SKIP_4) | instid1(SALU_CYCLE_1)
	s_add_u32 s4, s2, s4
	s_addc_u32 s5, s3, s5
	s_load_b64 s[4:5], s[4:5], 0x0
	s_waitcnt lgkmcnt(0)
	s_sub_i32 s4, s5, s4
	s_cmp_eq_u32 s4, 1
	s_cselect_b32 s4, -1, 0
	s_delay_alu instid0(SALU_CYCLE_1)
	s_and_not1_b32 vcc_lo, exec_lo, s4
	s_cbranch_vccz .LBB1411_4
.LBB1411_2:
	s_endpgm
.LBB1411_3:
.LBB1411_4:
	s_load_b64 s[4:5], s[0:1], 0x28
	s_lshl_b64 s[6:7], s[30:31], 2
	s_waitcnt lgkmcnt(0)
	s_add_u32 s4, s4, s6
	s_addc_u32 s5, s5, s7
	s_lshl_b32 s12, s14, 8
	s_load_b32 s24, s[4:5], 0x0
	s_waitcnt lgkmcnt(0)
	s_cmp_ge_i32 s12, s24
	s_cbranch_scc1 .LBB1411_2
; %bb.5:
	s_clause 0x1
	s_load_b128 s[20:23], s[0:1], 0x8
	s_load_b64 s[4:5], s[0:1], 0x20
	s_and_not1_b32 vcc_lo, exec_lo, s8
	s_cbranch_vccnz .LBB1411_7
; %bb.6:
	s_add_u32 s2, s2, s6
	s_addc_u32 s3, s3, s7
	s_load_b32 s3, s[2:3], 0x0
	s_branch .LBB1411_8
.LBB1411_7:
	s_mov_b32 s3, s30
.LBB1411_8:
	s_load_b128 s[16:19], s[0:1], 0x48
	v_and_b32_e32 v65, 15, v0
	v_cmp_gt_u32_e32 vcc_lo, 0x60, v0
	v_lshrrev_b32_e32 v66, 5, v0
	v_and_b32_e32 v67, 31, v0
	v_and_b32_e32 v75, 1, v0
	v_lshlrev_b32_e32 v1, 3, v65
	v_cmp_gt_u32_e64 s2, 8, v65
	v_bfe_u32 v74, v0, 4, 1
	s_mul_i32 s31, s15, 6
	s_delay_alu instid0(VALU_DEP_3) | instskip(NEXT) | instid1(VALU_DEP_3)
	v_lshlrev_b32_e32 v73, 1, v1
	s_and_b32 s7, vcc_lo, s2
	s_delay_alu instid0(SALU_CYCLE_1)
	s_and_saveexec_b32 s6, s7
	s_cbranch_execz .LBB1411_10
; %bb.9:
	s_load_b64 s[8:9], s[0:1], 0x0
	v_lshl_or_b32 v5, v66, 1, v74
	s_waitcnt lgkmcnt(0)
	s_mul_hi_i32 s11, s3, s16
	s_mul_i32 s10, s3, s16
	v_lshlrev_b32_e32 v6, 10, v65
	s_lshl_b64 s[10:11], s[10:11], 1
	v_add_lshl_u32 v1, v5, s31, 6
	v_lshlrev_b32_e32 v5, 6, v5
	v_lshlrev_b32_e32 v7, 10, v75
	v_and_b32_e32 v6, 0x3800, v6
	s_delay_alu instid0(VALU_DEP_4) | instskip(NEXT) | instid1(VALU_DEP_2)
	v_ashrrev_i32_e32 v2, 31, v1
	v_or3_b32 v5, v6, v7, v5
	s_delay_alu instid0(VALU_DEP_2) | instskip(SKIP_2) | instid1(VALU_DEP_1)
	v_lshlrev_b64 v[1:2], 1, v[1:2]
	s_add_u32 s3, s8, s10
	s_addc_u32 s7, s9, s11
	v_add_co_u32 v1, vcc_lo, s3, v1
	s_delay_alu instid0(VALU_DEP_2) | instskip(NEXT) | instid1(VALU_DEP_2)
	v_add_co_ci_u32_e32 v2, vcc_lo, s7, v2, vcc_lo
	v_add_co_u32 v1, vcc_lo, v1, v73
	s_delay_alu instid0(VALU_DEP_2)
	v_add_co_ci_u32_e32 v2, vcc_lo, 0, v2, vcc_lo
	global_load_b128 v[1:4], v[1:2], off
	s_waitcnt vmcnt(0)
	ds_store_b128 v5, v[1:4]
.LBB1411_10:
	s_or_b32 exec_lo, exec_lo, s6
	v_and_b32_e32 v1, 0xef, v0
	s_waitcnt lgkmcnt(0)
	s_add_i32 s3, s24, 15
	s_clause 0x1
	s_load_b32 s6, s[0:1], 0x38
	s_load_b32 s19, s[0:1], 0x1c
	s_ashr_i32 s7, s3, 31
	v_add_nc_u32_e32 v1, s12, v1
	s_lshr_b32 s7, s7, 28
	s_waitcnt lgkmcnt(0)
	s_add_i32 s3, s3, s7
	s_barrier
	v_ashrrev_i32_e32 v2, 31, v1
	v_or_b32_e32 v3, 16, v1
	s_ashr_i32 s3, s3, 4
	v_cmp_gt_i32_e32 vcc_lo, s24, v1
	s_add_i32 s3, s3, -1
	v_lshrrev_b32_e32 v2, 28, v2
	buffer_gl0_inv
	s_mul_i32 s27, s15, s18
	v_add_nc_u32_e32 v4, v1, v2
	s_mul_i32 s6, s30, s6
	s_delay_alu instid0(SALU_CYCLE_1) | instskip(NEXT) | instid1(VALU_DEP_1)
	s_ashr_i32 s7, s6, 31
	v_ashrrev_i32_e32 v4, 4, v4
	v_add_nc_u32_e32 v2, v3, v2
	s_lshl_b64 s[6:7], s[6:7], 2
	s_delay_alu instid0(SALU_CYCLE_1) | instskip(NEXT) | instid1(VALU_DEP_2)
	s_add_u32 s26, s4, s6
	v_cndmask_b32_e32 v1, s3, v4, vcc_lo
	s_delay_alu instid0(VALU_DEP_2)
	v_ashrrev_i32_e32 v2, 4, v2
	v_cmp_gt_i32_e32 vcc_lo, s24, v3
	s_addc_u32 s25, s5, s7
	s_ashr_i32 s28, s27, 31
	s_add_u32 s13, s20, s27
	s_addc_u32 s15, s21, s28
	v_cndmask_b32_e32 v3, s3, v2, vcc_lo
	v_ashrrev_i32_e32 v2, 31, v1
	s_lshl_b32 s4, s14, 4
	s_delay_alu instid0(SALU_CYCLE_1) | instskip(NEXT) | instid1(VALU_DEP_2)
	s_ashr_i32 s5, s4, 31
	v_ashrrev_i32_e32 v4, 31, v3
	s_delay_alu instid0(VALU_DEP_2) | instskip(SKIP_1) | instid1(SALU_CYCLE_1)
	v_lshlrev_b64 v[1:2], 2, v[1:2]
	s_lshl_b64 s[4:5], s[4:5], 2
	s_add_u32 s4, s26, s4
	s_delay_alu instid0(VALU_DEP_2) | instskip(SKIP_1) | instid1(VALU_DEP_2)
	v_lshlrev_b64 v[3:4], 2, v[3:4]
	s_addc_u32 s5, s25, s5
	v_add_co_u32 v1, vcc_lo, s26, v1
	v_add_co_ci_u32_e32 v2, vcc_lo, s25, v2, vcc_lo
	s_delay_alu instid0(VALU_DEP_3) | instskip(NEXT) | instid1(VALU_DEP_4)
	v_add_co_u32 v3, vcc_lo, s26, v3
	v_add_co_ci_u32_e32 v4, vcc_lo, s25, v4, vcc_lo
	s_clause 0x1
	global_load_b32 v5, v[1:2], off
	global_load_b32 v7, v[3:4], off
	s_or_b32 s6, s12, 32
	v_lshlrev_b32_e32 v1, 4, v0
	s_ashr_i32 s7, s6, 4
	s_cmp_lt_i32 s6, s24
	s_cselect_b32 s6, s7, s3
	s_delay_alu instid0(VALU_DEP_1) | instskip(SKIP_1) | instid1(SALU_CYCLE_1)
	v_and_b32_e32 v1, 0xf0, v1
	s_ashr_i32 s7, s6, 31
	s_lshl_b64 s[6:7], s[6:7], 2
	s_delay_alu instid0(SALU_CYCLE_1)
	s_add_u32 s6, s26, s6
	s_addc_u32 s7, s25, s7
	s_or_b32 s8, s12, 64
	v_add_co_u32 v1, s13, s13, v1
	s_ashr_i32 s9, s8, 4
	s_cmp_lt_i32 s8, s24
	v_add_co_ci_u32_e64 v2, null, s15, 0, s13
	s_cselect_b32 s8, s9, s3
	s_delay_alu instid0(SALU_CYCLE_1) | instskip(NEXT) | instid1(SALU_CYCLE_1)
	s_ashr_i32 s9, s8, 31
	s_lshl_b64 s[8:9], s[8:9], 2
	s_delay_alu instid0(SALU_CYCLE_1) | instskip(SKIP_2) | instid1(SALU_CYCLE_1)
	s_add_u32 s8, s26, s8
	s_addc_u32 s9, s25, s9
	s_or_b32 s10, s12, 0x60
	s_ashr_i32 s11, s10, 4
	s_cmp_lt_i32 s10, s24
	s_cselect_b32 s10, s11, s3
	s_delay_alu instid0(SALU_CYCLE_1) | instskip(NEXT) | instid1(SALU_CYCLE_1)
	s_ashr_i32 s11, s10, 31
	s_lshl_b64 s[10:11], s[10:11], 2
	s_delay_alu instid0(SALU_CYCLE_1) | instskip(SKIP_2) | instid1(SALU_CYCLE_1)
	s_add_u32 s10, s26, s10
	s_addc_u32 s11, s25, s11
	s_or_b32 s16, s12, 0x80
	s_ashr_i32 s18, s16, 4
	s_cmp_lt_i32 s16, s24
	;; [unrolled: 10-line block ×3, first 2 shown]
	s_cselect_b32 s20, s18, s3
	s_delay_alu instid0(SALU_CYCLE_1) | instskip(NEXT) | instid1(SALU_CYCLE_1)
	s_ashr_i32 s21, s20, 31
	s_lshl_b64 s[20:21], s[20:21], 2
	s_delay_alu instid0(SALU_CYCLE_1)
	s_add_u32 s36, s26, s20
	s_addc_u32 s37, s25, s21
	s_clause 0x5
	s_load_b32 s21, s[4:5], 0x0
	s_load_b32 s13, s[6:7], 0x0
	;; [unrolled: 1-line block ×6, first 2 shown]
	s_or_b32 s9, s12, 0xc0
	s_mov_b32 s4, 0
	s_ashr_i32 s10, s9, 4
	s_cmp_lt_i32 s9, s24
	s_mov_b32 s11, s4
	s_cselect_b32 s34, s10, s3
	s_mov_b32 s5, s4
	s_ashr_i32 s35, s34, 31
	s_mov_b32 s6, s4
	s_lshl_b64 s[34:35], s[34:35], 2
	s_mov_b32 s7, s4
	s_add_u32 s34, s26, s34
	s_addc_u32 s35, s25, s35
	s_or_b32 s29, s12, 0xe0
	s_mov_b32 s8, s4
	s_ashr_i32 s33, s29, 4
	s_mov_b32 s9, s4
	s_mov_b32 s10, s4
	s_cmp_lt_i32 s29, s24
	v_dual_mov_b32 v107, s11 :: v_dual_mov_b32 v100, s4
	v_mov_b32_e32 v106, s10
	v_dual_mov_b32 v104, s8 :: v_dual_mov_b32 v103, s7
	v_dual_mov_b32 v102, s6 :: v_dual_mov_b32 v101, s5
	s_waitcnt vmcnt(1)
	v_mad_i64_i32 v[3:4], null, v5, s17, v[1:2]
	s_waitcnt vmcnt(0)
	v_mad_i64_i32 v[5:6], null, v7, s17, v[1:2]
	v_mul_lo_u16 v1, v65, 43
	v_lshlrev_b32_e32 v2, 4, v65
	s_clause 0x7
	global_load_b128 v[49:52], v[3:4], off
	global_load_b128 v[53:56], v[3:4], off offset:256
	global_load_b128 v[76:79], v[5:6], off
	global_load_b128 v[80:83], v[5:6], off offset:256
	global_load_b128 v[84:87], v[3:4], off offset:512
	;; [unrolled: 1-line block ×5, first 2 shown]
	v_lshrrev_b16 v1, 8, v1
	v_lshl_or_b32 v2, v66, 8, v2
	s_delay_alu instid0(VALU_DEP_2) | instskip(NEXT) | instid1(VALU_DEP_1)
	v_mul_lo_u16 v1, v1, 6
	v_sub_nc_u16 v1, v65, v1
	s_delay_alu instid0(VALU_DEP_1)
	v_and_b32_e32 v1, 0xff, v1
	v_mov_b32_e32 v105, s9
	s_cselect_b32 s4, s33, s3
	s_load_b32 s3, s[34:35], 0x0
	s_ashr_i32 s5, s4, 31
	v_lshlrev_b32_e32 v70, 6, v1
	s_lshl_b64 s[4:5], s[4:5], 2
	ds_load_b128 v[108:111], v70
	ds_load_b128 v[112:115], v70 offset:1024
	s_add_u32 s4, s26, s4
	s_addc_u32 s5, s25, s5
	s_add_u32 s6, s22, s27
	s_load_b32 s4, s[4:5], 0x0
	s_addc_u32 s7, s23, s28
	v_add_co_u32 v9, s6, s6, v2
	s_delay_alu instid0(VALU_DEP_1) | instskip(SKIP_1) | instid1(VALU_DEP_1)
	v_add_co_ci_u32_e64 v10, null, s7, 0, s6
	s_waitcnt lgkmcnt(0)
	v_mad_i64_i32 v[1:2], null, s21, s17, v[9:10]
	v_mad_i64_i32 v[3:4], null, s13, s17, v[9:10]
	;; [unrolled: 1-line block ×7, first 2 shown]
	s_clause 0x9
	global_load_b128 v[57:60], v[1:2], off
	global_load_b128 v[61:64], v[1:2], off offset:16
	global_load_b128 v[41:44], v[3:4], off
	global_load_b128 v[45:48], v[3:4], off offset:16
	;; [unrolled: 2-line block ×5, first 2 shown]
	v_mad_i64_i32 v[68:69], null, s4, s17, v[9:10]
	s_clause 0x3
	global_load_b128 v[9:12], v[13:14], off
	global_load_b128 v[13:16], v[13:14], off offset:16
	global_load_b128 v[17:20], v[21:22], off
	global_load_b128 v[21:24], v[21:22], off offset:16
	s_waitcnt vmcnt(20)
	v_wmma_f32_16x16x16_bf16 v[116:123], v[49:56], v[108:115], v[100:107]
	s_clause 0x1
	global_load_b128 v[49:52], v[68:69], off
	global_load_b128 v[53:56], v[68:69], off offset:16
	v_and_b32_e32 v68, 0xe0, v0
	v_mbcnt_lo_u32_b32 v69, -1, 0
	s_delay_alu instid0(VALU_DEP_2)
	v_add_nc_u32_e32 v68, s12, v68
	s_waitcnt vmcnt(20)
	v_wmma_f32_16x16x16_bf16 v[100:107], v[76:83], v[108:115], v[100:107]
	ds_load_b128 v[76:79], v70 offset:2048
	ds_load_b128 v[80:83], v70 offset:3072
	v_xor_b32_e32 v70, 16, v69
	s_waitcnt vmcnt(0) lgkmcnt(0)
	v_or_b32_e32 v68, v68, v74
	s_barrier
	buffer_gl0_inv
	v_cmp_gt_i32_e32 vcc_lo, 32, v70
	v_or_b32_e32 v71, 4, v68
	v_or_b32_e32 v72, 6, v68
	v_cmp_gt_i32_e64 s3, s24, v68
	v_or_b32_e32 v108, 8, v68
	v_or_b32_e32 v109, 10, v68
	v_cmp_gt_i32_e64 s4, s24, v71
	v_cmp_gt_i32_e64 s5, s24, v72
	s_delay_alu instid0(VALU_DEP_4) | instskip(NEXT) | instid1(VALU_DEP_4)
	v_cmp_gt_i32_e64 s6, s24, v108
	v_cmp_gt_i32_e64 s7, s24, v109
	v_wmma_f32_16x16x16_bf16 v[116:123], v[84:91], v[76:83], v[116:123]
	v_cndmask_b32_e32 v69, v69, v70, vcc_lo
	v_or_b32_e32 v70, 2, v68
	v_wmma_f32_16x16x16_bf16 v[100:107], v[92:99], v[76:83], v[100:107]
	v_or_b32_e32 v89, 22, v68
	v_dual_mul_f32 v80, s19, v121 :: v_dual_mul_f32 v81, s19, v120
	v_dual_mul_f32 v92, s19, v117 :: v_dual_mul_f32 v93, s19, v116
	s_delay_alu instid0(VALU_DEP_4)
	v_mul_f32_e32 v96, s19, v105
	v_cmp_gt_i32_e32 vcc_lo, s24, v70
	v_dual_mul_f32 v79, s19, v122 :: v_dual_mul_f32 v82, s19, v119
	v_dual_mul_f32 v83, s19, v118 :: v_dual_mul_f32 v94, s19, v107
	v_cndmask_b32_e64 v93, 0xff7fffff, v93, s3
	v_cndmask_b32_e32 v92, 0xff7fffff, v92, vcc_lo
	v_or_b32_e32 v84, 12, v68
	v_or_b32_e32 v85, 14, v68
	v_cndmask_b32_e64 v71, 0xff7fffff, v83, s4
	v_cndmask_b32_e64 v72, 0xff7fffff, v82, s5
	v_cmp_gt_i32_e64 s13, s24, v89
	v_lshlrev_b32_e32 v89, 2, v69
	v_max3_f32 v82, v93, 0xff7fffff, v92
	v_or_b32_e32 v86, 16, v68
	v_or_b32_e32 v87, 18, v68
	v_mul_f32_e32 v78, s19, v123
	v_cndmask_b32_e64 v81, 0xff7fffff, v81, s6
	v_cndmask_b32_e64 v80, 0xff7fffff, v80, s7
	v_max3_f32 v71, v82, v71, v72
	v_cmp_gt_i32_e64 s8, s24, v84
	v_cmp_gt_i32_e64 s9, s24, v85
	v_or_b32_e32 v88, 20, v68
	v_or_b32_e32 v90, 24, v68
	;; [unrolled: 1-line block ×5, first 2 shown]
	v_dual_mul_f32 v97, s19, v104 :: v_dual_mul_f32 v70, s19, v101
	v_dual_mul_f32 v99, s19, v102 :: v_dual_mul_f32 v68, s19, v100
	v_cndmask_b32_e64 v72, 0xff7fffff, v79, s8
	v_cndmask_b32_e64 v78, 0xff7fffff, v78, s9
	v_max3_f32 v71, v71, v81, v80
	v_cmp_gt_i32_e64 s10, s24, v86
	v_cmp_gt_i32_e64 s11, s24, v87
	v_dual_mul_f32 v95, s19, v106 :: v_dual_mul_f32 v98, s19, v103
	s_delay_alu instid0(VALU_DEP_4) | instskip(NEXT) | instid1(VALU_DEP_4)
	v_max3_f32 v71, v71, v72, v78
	v_cndmask_b32_e64 v68, 0xff7fffff, v68, s10
	s_delay_alu instid0(VALU_DEP_4)
	v_cndmask_b32_e64 v70, 0xff7fffff, v70, s11
	v_cmp_gt_i32_e64 s12, s24, v88
	v_cndmask_b32_e64 v78, 0xff7fffff, v98, s13
	v_cmp_gt_i32_e64 s15, s24, v90
	v_cmp_gt_i32_e64 s16, s24, v91
	v_max3_f32 v68, v71, v68, v70
	v_cndmask_b32_e64 v72, 0xff7fffff, v99, s12
	v_cmp_gt_i32_e64 s17, s24, v76
	v_cndmask_b32_e64 v70, 0xff7fffff, v97, s15
	v_cndmask_b32_e64 v71, 0xff7fffff, v96, s16
	v_cmp_gt_i32_e64 s18, s24, v77
	v_max3_f32 v68, v68, v72, v78
	v_cndmask_b32_e64 v72, 0xff7fffff, v95, s17
	s_delay_alu instid0(VALU_DEP_3) | instskip(NEXT) | instid1(VALU_DEP_3)
	v_cndmask_b32_e64 v76, 0xff7fffff, v94, s18
	v_max3_f32 v68, v68, v70, v71
	s_delay_alu instid0(VALU_DEP_1) | instskip(SKIP_3) | instid1(VALU_DEP_1)
	v_max3_f32 v68, v68, v72, v76
	ds_bpermute_b32 v69, v89, v68
	s_waitcnt lgkmcnt(0)
	v_max_f32_e32 v69, v69, v69
	v_max_f32_e32 v68, v68, v69
	s_delay_alu instid0(VALU_DEP_1) | instskip(NEXT) | instid1(VALU_DEP_1)
	v_fma_f32 v71, s19, v118, -v68
	v_mul_f32_e32 v71, 0x3fb8aa3b, v71
	v_fma_f32 v70, s19, v117, -v68
	v_fma_f32 v69, s19, v116, -v68
	v_fma_f32 v76, s19, v120, -v68
	v_fma_f32 v72, s19, v119, -v68
	v_fma_f32 v78, s19, v122, -v68
	s_delay_alu instid0(VALU_DEP_4) | instskip(SKIP_1) | instid1(VALU_DEP_3)
	v_dual_mul_f32 v70, 0x3fb8aa3b, v70 :: v_dual_mul_f32 v69, 0x3fb8aa3b, v69
	v_exp_f32_e32 v71, v71
	v_mul_f32_e32 v72, 0x3fb8aa3b, v72
	v_fma_f32 v81, s19, v105, -v68
	s_delay_alu instid0(VALU_DEP_3)
	v_exp_f32_e32 v70, v70
	v_mul_f32_e32 v77, 0x3fb8aa3b, v76
	v_exp_f32_e32 v69, v69
	v_exp_f32_e32 v72, v72
	v_mul_f32_e32 v81, 0x3fb8aa3b, v81
	v_cndmask_b32_e64 v83, 0, v71, s4
	v_fma_f32 v71, s19, v123, -v68
	s_delay_alu instid0(VALU_DEP_3) | instskip(SKIP_4) | instid1(TRANS32_DEP_3)
	v_exp_f32_e32 v81, v81
	v_cndmask_b32_e32 v76, 0, v70, vcc_lo
	v_exp_f32_e32 v77, v77
	v_cndmask_b32_e64 v80, 0, v69, s3
	v_fma_f32 v69, s19, v121, -v68
	v_cndmask_b32_e64 v85, 0, v72, s5
	v_mul_f32_e32 v71, 0x3fb8aa3b, v71
	v_fma_f32 v72, s19, v100, -v68
	s_delay_alu instid0(VALU_DEP_4) | instskip(SKIP_1) | instid1(VALU_DEP_3)
	v_dual_add_f32 v70, 0, v80 :: v_dual_mul_f32 v69, 0x3fb8aa3b, v69
	s_mov_b32 s3, exec_lo
	v_exp_f32_e32 v71, v71
	s_delay_alu instid0(TRANS32_DEP_2) | instskip(SKIP_4) | instid1(VALU_DEP_3)
	v_cndmask_b32_e64 v86, 0, v77, s6
	v_fma_f32 v77, s19, v101, -v68
	v_mul_f32_e32 v78, 0x3fb8aa3b, v78
	v_add_f32_e32 v70, v70, v76
	v_exp_f32_e32 v69, v69
	v_mul_f32_e32 v77, 0x3fb8aa3b, v77
	s_delay_alu instid0(VALU_DEP_3) | instskip(NEXT) | instid1(TRANS32_DEP_3)
	v_exp_f32_e32 v78, v78
	v_cndmask_b32_e64 v88, 0, v71, s9
	v_fma_f32 v71, s19, v104, -v68
	s_delay_alu instid0(VALU_DEP_3) | instskip(NEXT) | instid1(TRANS32_DEP_3)
	v_exp_f32_e32 v77, v77
	v_cndmask_b32_e64 v87, 0, v69, s7
	s_delay_alu instid0(VALU_DEP_2)
	v_mul_f32_e32 v71, 0x3fb8aa3b, v71
	s_waitcnt_depctr 0xfff
	v_cndmask_b32_e64 v84, 0, v78, s8
	v_add_f32_e32 v70, v70, v83
	v_fma_f32 v78, s19, v103, -v68
	v_exp_f32_e32 v82, v71
	s_delay_alu instid0(VALU_DEP_2) | instskip(SKIP_1) | instid1(VALU_DEP_3)
	v_add_f32_e32 v70, v70, v85
	v_mul_f32_e32 v72, 0x3fb8aa3b, v72
	v_mul_f32_e32 v78, 0x3fb8aa3b, v78
	s_delay_alu instid0(VALU_DEP_3) | instskip(SKIP_1) | instid1(VALU_DEP_4)
	v_add_f32_e32 v69, v70, v86
	v_fma_f32 v70, s19, v102, -v68
	v_exp_f32_e32 v72, v72
	s_delay_alu instid0(VALU_DEP_3) | instskip(NEXT) | instid1(VALU_DEP_1)
	v_exp_f32_e32 v78, v78
	v_dual_add_f32 v69, v69, v87 :: v_dual_mul_f32 v70, 0x3fb8aa3b, v70
	s_delay_alu instid0(VALU_DEP_1) | instskip(NEXT) | instid1(VALU_DEP_2)
	v_add_f32_e32 v69, v69, v84
	v_exp_f32_e32 v79, v70
	s_delay_alu instid0(TRANS32_DEP_3) | instskip(NEXT) | instid1(VALU_DEP_2)
	v_cndmask_b32_e64 v70, 0, v72, s10
	v_add_f32_e32 v72, v69, v88
	v_cndmask_b32_e64 v69, 0, v77, s11
	v_fma_f32 v77, s19, v106, -v68
	s_waitcnt_depctr 0xfff
	v_cndmask_b32_e64 v71, 0, v79, s12
	v_dual_mul_f32 v77, 0x3fb8aa3b, v77 :: v_dual_add_f32 v72, v72, v70
	s_delay_alu instid0(VALU_DEP_1) | instskip(NEXT) | instid1(VALU_DEP_1)
	v_exp_f32_e32 v90, v77
	v_add_f32_e32 v79, v72, v69
	v_cndmask_b32_e64 v72, 0, v78, s13
	v_cndmask_b32_e64 v77, 0, v82, s15
	s_delay_alu instid0(VALU_DEP_3) | instskip(SKIP_1) | instid1(VALU_DEP_1)
	v_add_f32_e32 v78, v79, v71
	v_fma_f32 v79, s19, v107, -v68
	v_dual_add_f32 v82, v78, v72 :: v_dual_mul_f32 v79, 0x3fb8aa3b, v79
	v_cndmask_b32_e64 v78, 0, v81, s16
	s_delay_alu instid0(VALU_DEP_2) | instskip(NEXT) | instid1(VALU_DEP_3)
	v_add_f32_e32 v81, v82, v77
	v_exp_f32_e32 v82, v79
	v_cndmask_b32_e64 v79, 0, v90, s17
	s_delay_alu instid0(VALU_DEP_2) | instskip(NEXT) | instid1(VALU_DEP_1)
	v_add_f32_e32 v81, v81, v78
	v_add_f32_e32 v90, v81, v79
	s_waitcnt_depctr 0xfff
	v_cndmask_b32_e64 v81, 0, v82, s18
	s_delay_alu instid0(VALU_DEP_1)
	v_add_f32_e32 v82, v90, v81
	ds_bpermute_b32 v89, v89, v82
	v_cmpx_gt_u32_e32 16, v67
	s_cbranch_execz .LBB1411_12
; %bb.11:
	v_mul_u32_u24_e32 v67, 0x44, v66
	s_delay_alu instid0(VALU_DEP_1) | instskip(SKIP_1) | instid1(VALU_DEP_1)
	v_lshl_add_u32 v67, v65, 2, v67
	s_waitcnt lgkmcnt(0)
	v_dual_add_f32 v82, v82, v89 :: v_dual_add_nc_u32 v67, 0x4000, v67
	ds_store_2addr_b32 v67, v68, v82 offset1:136
.LBB1411_12:
	s_or_b32 exec_lo, exec_lo, s3
	v_lshlrev_b32_e32 v67, 2, v65
	s_waitcnt lgkmcnt(0)
	s_barrier
	buffer_gl0_inv
	v_cmp_eq_u32_e32 vcc_lo, 1, v66
	v_add_nc_u32_e32 v82, 0x4000, v67
	v_cmp_eq_u32_e64 s3, 2, v66
	v_cmp_eq_u32_e64 s5, 7, v66
	ds_load_2addr_b32 v[89:90], v82 offset1:17
	ds_load_2addr_b32 v[91:92], v82 offset0:34 offset1:51
	ds_load_2addr_b32 v[93:94], v82 offset0:68 offset1:85
	;; [unrolled: 1-line block ×4, first 2 shown]
	s_waitcnt lgkmcnt(4)
	v_max3_f32 v67, v89, 0xff7fffff, v90
	s_waitcnt lgkmcnt(3)
	s_delay_alu instid0(VALU_DEP_1) | instskip(SKIP_1) | instid1(VALU_DEP_1)
	v_max3_f32 v67, v67, v91, v92
	s_waitcnt lgkmcnt(2)
	v_max3_f32 v67, v67, v93, v94
	s_waitcnt lgkmcnt(1)
	s_delay_alu instid0(VALU_DEP_1) | instskip(NEXT) | instid1(VALU_DEP_1)
	v_max3_f32 v67, v67, v95, v96
	v_sub_f32_e32 v93, v93, v67
	s_delay_alu instid0(VALU_DEP_1) | instskip(NEXT) | instid1(VALU_DEP_1)
	v_dual_sub_f32 v68, v89, v67 :: v_dual_mul_f32 v103, 0x3fb8aa3b, v93
	v_mul_f32_e32 v68, 0x3fb8aa3b, v68
	s_delay_alu instid0(VALU_DEP_1)
	v_exp_f32_e32 v100, v68
	v_sub_f32_e32 v68, v92, v67
	v_sub_f32_e32 v99, v90, v67
	ds_load_2addr_b32 v[89:90], v82 offset0:170 offset1:187
	v_dual_mul_f32 v102, 0x3fb8aa3b, v68 :: v_dual_mul_f32 v99, 0x3fb8aa3b, v99
	s_waitcnt lgkmcnt(1)
	v_fma_f32 v68, v100, v97, 0
	s_delay_alu instid0(VALU_DEP_2) | instskip(NEXT) | instid1(VALU_DEP_2)
	v_exp_f32_e32 v102, v102
	v_exp_f32_e32 v99, v99
	s_waitcnt_depctr 0xfff
	v_fmac_f32_e32 v68, v99, v98
	v_sub_f32_e32 v91, v91, v67
	s_delay_alu instid0(VALU_DEP_1)
	v_mul_f32_e32 v101, 0x3fb8aa3b, v91
	ds_load_2addr_b32 v[91:92], v82 offset0:204 offset1:221
	v_sub_f32_e32 v97, v94, v67
	ds_load_2addr_b32 v[93:94], v82 offset0:238 offset1:255
	s_waitcnt lgkmcnt(0)
	v_exp_f32_e32 v101, v101
	s_barrier
	buffer_gl0_inv
	v_dual_fmac_f32 v68, v101, v89 :: v_dual_sub_f32 v89, v96, v67
	v_dual_sub_f32 v82, v95, v67 :: v_dual_mul_f32 v95, 0x3fb8aa3b, v97
	v_exp_f32_e32 v97, v103
	s_delay_alu instid0(VALU_DEP_2) | instskip(NEXT) | instid1(VALU_DEP_2)
	v_dual_fmac_f32 v68, v102, v90 :: v_dual_mul_f32 v89, 0x3fb8aa3b, v89
	v_mul_f32_e32 v82, 0x3fb8aa3b, v82
	s_delay_alu instid0(VALU_DEP_3) | instskip(NEXT) | instid1(VALU_DEP_2)
	v_exp_f32_e32 v95, v95
	v_exp_f32_e32 v89, v89
	s_delay_alu instid0(VALU_DEP_1)
	v_exp_f32_e32 v82, v82
	v_fmac_f32_e32 v68, v97, v91
	s_delay_alu instid0(TRANS32_DEP_3) | instid1(VALU_DEP_1)
	v_fmac_f32_e32 v68, v95, v92
	s_waitcnt_depctr 0xfff
	v_fmac_f32_e32 v68, v82, v93
	s_delay_alu instid0(VALU_DEP_1) | instskip(NEXT) | instid1(VALU_DEP_1)
	v_fmac_f32_e32 v68, v89, v94
	v_add_f32_e32 v90, 0x358637bd, v68
	s_delay_alu instid0(VALU_DEP_1) | instskip(NEXT) | instid1(VALU_DEP_1)
	v_div_scale_f32 v91, null, v90, v90, 1.0
	v_rcp_f32_e32 v92, v91
	s_waitcnt_depctr 0xfff
	v_fma_f32 v93, -v91, v92, 1.0
	s_delay_alu instid0(VALU_DEP_1) | instskip(SKIP_1) | instid1(VALU_DEP_2)
	v_dual_fmac_f32 v92, v93, v92 :: v_dual_cndmask_b32 v93, v100, v99
	v_cmp_eq_u32_e32 vcc_lo, 3, v66
	v_cndmask_b32_e64 v93, v93, v101, s3
	v_cmp_eq_u32_e64 s3, 4, v66
	s_delay_alu instid0(VALU_DEP_2) | instskip(SKIP_1) | instid1(VALU_DEP_2)
	v_cndmask_b32_e32 v93, v93, v102, vcc_lo
	v_cmp_eq_u32_e32 vcc_lo, 5, v66
	v_cndmask_b32_e64 v93, v93, v97, s3
	v_cmp_eq_u32_e64 s3, 6, v66
	s_delay_alu instid0(VALU_DEP_2) | instskip(SKIP_1) | instid1(VALU_DEP_1)
	v_cndmask_b32_e32 v93, v93, v95, vcc_lo
	v_div_scale_f32 v94, s4, 1.0, v90, 1.0
	s_mov_b32 vcc_lo, s4
	s_delay_alu instid0(VALU_DEP_2) | instskip(NEXT) | instid1(VALU_DEP_2)
	v_cndmask_b32_e64 v82, v93, v82, s3
	v_mul_f32_e32 v96, v94, v92
	s_mov_b32 s3, exec_lo
	s_delay_alu instid0(VALU_DEP_2) | instskip(NEXT) | instid1(VALU_DEP_2)
	v_cndmask_b32_e64 v82, v82, v89, s5
	v_fma_f32 v98, -v91, v96, v94
	s_delay_alu instid0(VALU_DEP_1) | instskip(NEXT) | instid1(VALU_DEP_1)
	v_fmac_f32_e32 v96, v98, v92
	v_fma_f32 v91, -v91, v96, v94
	s_delay_alu instid0(VALU_DEP_1) | instskip(NEXT) | instid1(VALU_DEP_1)
	v_div_fmas_f32 v91, v91, v92, v96
	v_div_fixup_f32 v90, v91, v90, 1.0
	s_delay_alu instid0(VALU_DEP_1) | instskip(NEXT) | instid1(VALU_DEP_1)
	v_mul_f32_e32 v82, v82, v90
	v_mul_f32_e32 v87, v82, v87
	;; [unrolled: 1-line block ×7, first 2 shown]
	v_dual_mul_f32 v86, v82, v83 :: v_dual_and_b32 v91, 0x7f800000, v90
	v_mul_f32_e32 v85, v82, v76
                                        ; implicit-def: $vgpr76
	s_delay_alu instid0(VALU_DEP_2)
	v_cmpx_ne_u32_e32 0x7f800000, v91
	s_xor_b32 s3, exec_lo, s3
; %bb.13:
	v_bfe_u32 v76, v90, 16, 1
	s_delay_alu instid0(VALU_DEP_1)
	v_add3_u32 v76, v90, v76, 0x7fff
                                        ; implicit-def: $vgpr90
; %bb.14:
	s_and_not1_saveexec_b32 s3, s3
; %bb.15:
	v_and_b32_e32 v76, 0xffff, v90
	v_or_b32_e32 v83, 0x10000, v90
	s_delay_alu instid0(VALU_DEP_2) | instskip(NEXT) | instid1(VALU_DEP_2)
	v_cmp_eq_u32_e32 vcc_lo, 0, v76
	v_cndmask_b32_e32 v76, v83, v90, vcc_lo
; %bb.16:
	s_or_b32 exec_lo, exec_lo, s3
	v_and_b32_e32 v83, 0x7f800000, v85
	s_delay_alu instid0(VALU_DEP_1) | instskip(SKIP_1) | instid1(SALU_CYCLE_1)
	v_cmp_ne_u32_e32 vcc_lo, 0x7f800000, v83
                                        ; implicit-def: $vgpr83
	s_and_saveexec_b32 s3, vcc_lo
	s_xor_b32 s3, exec_lo, s3
; %bb.17:
	v_bfe_u32 v83, v85, 16, 1
	s_delay_alu instid0(VALU_DEP_1)
	v_add3_u32 v83, v85, v83, 0x7fff
                                        ; implicit-def: $vgpr85
; %bb.18:
	s_and_not1_saveexec_b32 s3, s3
; %bb.19:
	v_and_b32_e32 v83, 0xffff, v85
	v_or_b32_e32 v90, 0x10000, v85
	s_delay_alu instid0(VALU_DEP_2) | instskip(NEXT) | instid1(VALU_DEP_2)
	v_cmp_eq_u32_e32 vcc_lo, 0, v83
	v_cndmask_b32_e32 v83, v90, v85, vcc_lo
; %bb.20:
	s_or_b32 exec_lo, exec_lo, s3
	v_and_b32_e32 v85, 0x7f800000, v86
	s_delay_alu instid0(VALU_DEP_1) | instskip(SKIP_1) | instid1(SALU_CYCLE_1)
	v_cmp_ne_u32_e32 vcc_lo, 0x7f800000, v85
                                        ; implicit-def: $vgpr85
	s_and_saveexec_b32 s3, vcc_lo
	s_xor_b32 s3, exec_lo, s3
; %bb.21:
	v_bfe_u32 v85, v86, 16, 1
	s_delay_alu instid0(VALU_DEP_1)
	v_add3_u32 v85, v86, v85, 0x7fff
                                        ; implicit-def: $vgpr86
; %bb.22:
	s_and_not1_saveexec_b32 s3, s3
; %bb.23:
	v_and_b32_e32 v85, 0xffff, v86
	v_or_b32_e32 v90, 0x10000, v86
	s_delay_alu instid0(VALU_DEP_2) | instskip(NEXT) | instid1(VALU_DEP_2)
	v_cmp_eq_u32_e32 vcc_lo, 0, v85
	v_cndmask_b32_e32 v85, v90, v86, vcc_lo
; %bb.24:
	s_or_b32 exec_lo, exec_lo, s3
	v_and_b32_e32 v86, 0x7f800000, v89
	s_delay_alu instid0(VALU_DEP_1) | instskip(SKIP_1) | instid1(SALU_CYCLE_1)
	v_cmp_ne_u32_e32 vcc_lo, 0x7f800000, v86
                                        ; implicit-def: $vgpr86
	s_and_saveexec_b32 s3, vcc_lo
	s_xor_b32 s3, exec_lo, s3
; %bb.25:
	v_bfe_u32 v86, v89, 16, 1
	s_delay_alu instid0(VALU_DEP_1)
	v_add3_u32 v86, v89, v86, 0x7fff
                                        ; implicit-def: $vgpr89
; %bb.26:
	s_and_not1_saveexec_b32 s3, s3
; %bb.27:
	v_and_b32_e32 v86, 0xffff, v89
	v_or_b32_e32 v90, 0x10000, v89
	s_delay_alu instid0(VALU_DEP_2) | instskip(NEXT) | instid1(VALU_DEP_2)
	v_cmp_eq_u32_e32 vcc_lo, 0, v86
	v_cndmask_b32_e32 v86, v90, v89, vcc_lo
; %bb.28:
	s_or_b32 exec_lo, exec_lo, s3
	v_and_b32_e32 v89, 0x7f800000, v88
	s_delay_alu instid0(VALU_DEP_1) | instskip(SKIP_1) | instid1(SALU_CYCLE_1)
	v_cmp_ne_u32_e32 vcc_lo, 0x7f800000, v89
                                        ; implicit-def: $vgpr89
	s_and_saveexec_b32 s3, vcc_lo
	s_xor_b32 s3, exec_lo, s3
; %bb.29:
	v_bfe_u32 v89, v88, 16, 1
	s_delay_alu instid0(VALU_DEP_1)
	v_add3_u32 v89, v88, v89, 0x7fff
                                        ; implicit-def: $vgpr88
; %bb.30:
	s_and_not1_saveexec_b32 s3, s3
; %bb.31:
	v_and_b32_e32 v89, 0xffff, v88
	v_or_b32_e32 v90, 0x10000, v88
	s_delay_alu instid0(VALU_DEP_2) | instskip(NEXT) | instid1(VALU_DEP_2)
	v_cmp_eq_u32_e32 vcc_lo, 0, v89
	v_cndmask_b32_e32 v89, v90, v88, vcc_lo
; %bb.32:
	s_or_b32 exec_lo, exec_lo, s3
	v_and_b32_e32 v88, 0x7f800000, v87
	s_delay_alu instid0(VALU_DEP_1) | instskip(SKIP_1) | instid1(SALU_CYCLE_1)
	v_cmp_ne_u32_e32 vcc_lo, 0x7f800000, v88
                                        ; implicit-def: $vgpr88
	s_and_saveexec_b32 s3, vcc_lo
	s_xor_b32 s3, exec_lo, s3
; %bb.33:
	v_bfe_u32 v88, v87, 16, 1
	s_delay_alu instid0(VALU_DEP_1)
	v_add3_u32 v88, v87, v88, 0x7fff
                                        ; implicit-def: $vgpr87
; %bb.34:
	s_and_not1_saveexec_b32 s3, s3
; %bb.35:
	v_and_b32_e32 v88, 0xffff, v87
	v_or_b32_e32 v90, 0x10000, v87
	s_delay_alu instid0(VALU_DEP_2) | instskip(NEXT) | instid1(VALU_DEP_2)
	v_cmp_eq_u32_e32 vcc_lo, 0, v88
	v_cndmask_b32_e32 v88, v90, v87, vcc_lo
; %bb.36:
	s_or_b32 exec_lo, exec_lo, s3
	v_and_b32_e32 v87, 0x7f800000, v84
	s_delay_alu instid0(VALU_DEP_1) | instskip(SKIP_1) | instid1(SALU_CYCLE_1)
	v_cmp_ne_u32_e32 vcc_lo, 0x7f800000, v87
                                        ; implicit-def: $vgpr87
	s_and_saveexec_b32 s3, vcc_lo
	s_xor_b32 s3, exec_lo, s3
; %bb.37:
	v_bfe_u32 v87, v84, 16, 1
	s_delay_alu instid0(VALU_DEP_1)
	v_add3_u32 v87, v84, v87, 0x7fff
                                        ; implicit-def: $vgpr84
; %bb.38:
	s_and_not1_saveexec_b32 s3, s3
; %bb.39:
	v_and_b32_e32 v87, 0xffff, v84
	v_or_b32_e32 v90, 0x10000, v84
	s_delay_alu instid0(VALU_DEP_2) | instskip(NEXT) | instid1(VALU_DEP_2)
	v_cmp_eq_u32_e32 vcc_lo, 0, v87
	v_cndmask_b32_e32 v87, v90, v84, vcc_lo
; %bb.40:
	s_or_b32 exec_lo, exec_lo, s3
	v_and_b32_e32 v84, 0x7f800000, v80
	s_delay_alu instid0(VALU_DEP_1) | instskip(SKIP_1) | instid1(SALU_CYCLE_1)
	v_cmp_ne_u32_e32 vcc_lo, 0x7f800000, v84
                                        ; implicit-def: $vgpr84
	s_and_saveexec_b32 s3, vcc_lo
	s_xor_b32 s3, exec_lo, s3
; %bb.41:
	v_bfe_u32 v84, v80, 16, 1
	s_delay_alu instid0(VALU_DEP_1)
	v_add3_u32 v84, v80, v84, 0x7fff
                                        ; implicit-def: $vgpr80
; %bb.42:
	s_and_not1_saveexec_b32 s3, s3
; %bb.43:
	v_and_b32_e32 v84, 0xffff, v80
	v_or_b32_e32 v90, 0x10000, v80
	s_delay_alu instid0(VALU_DEP_2) | instskip(NEXT) | instid1(VALU_DEP_2)
	v_cmp_eq_u32_e32 vcc_lo, 0, v84
	v_cndmask_b32_e32 v84, v90, v80, vcc_lo
; %bb.44:
	s_or_b32 exec_lo, exec_lo, s3
	s_load_b64 s[34:35], s[0:1], 0x94
	v_lshlrev_b32_e32 v91, 4, v74
	s_delay_alu instid0(VALU_DEP_2)
	v_perm_b32 v90, v84, v87, 0x7060302
	v_dual_mul_f32 v79, v82, v79 :: v_dual_lshlrev_b32 v80, 6, v65
	v_dual_mul_f32 v77, v82, v77 :: v_dual_lshlrev_b32 v92, 11, v66
	v_mul_f32_e32 v84, v82, v70
	v_perm_b32 v89, v88, v89, 0x7060302
	v_perm_b32 v88, v86, v85, 0x7060302
	;; [unrolled: 1-line block ×3, first 2 shown]
	v_mul_f32_e32 v70, v82, v81
	v_or3_b32 v76, v91, v92, v80
	v_dual_mul_f32 v78, v82, v78 :: v_dual_and_b32 v85, 0x7f800000, v84
	v_mul_f32_e32 v83, v82, v72
	v_mul_f32_e32 v81, v82, v71
	;; [unrolled: 1-line block ×3, first 2 shown]
	s_mov_b32 s3, exec_lo
	ds_store_b128 v76, v[87:90]
                                        ; implicit-def: $vgpr69
	v_cmpx_ne_u32_e32 0x7f800000, v85
	s_xor_b32 s3, exec_lo, s3
; %bb.45:
	v_bfe_u32 v69, v84, 16, 1
	s_delay_alu instid0(VALU_DEP_1)
	v_add3_u32 v69, v84, v69, 0x7fff
                                        ; implicit-def: $vgpr84
; %bb.46:
	s_and_not1_saveexec_b32 s3, s3
; %bb.47:
	v_and_b32_e32 v69, 0xffff, v84
	v_or_b32_e32 v71, 0x10000, v84
	s_delay_alu instid0(VALU_DEP_2) | instskip(NEXT) | instid1(VALU_DEP_2)
	v_cmp_eq_u32_e32 vcc_lo, 0, v69
	v_cndmask_b32_e32 v69, v71, v84, vcc_lo
; %bb.48:
	s_or_b32 exec_lo, exec_lo, s3
	v_and_b32_e32 v71, 0x7f800000, v72
	s_delay_alu instid0(VALU_DEP_1) | instskip(SKIP_1) | instid1(SALU_CYCLE_1)
	v_cmp_ne_u32_e32 vcc_lo, 0x7f800000, v71
                                        ; implicit-def: $vgpr71
	s_and_saveexec_b32 s3, vcc_lo
	s_xor_b32 s3, exec_lo, s3
; %bb.49:
	v_bfe_u32 v71, v72, 16, 1
	s_delay_alu instid0(VALU_DEP_1)
	v_add3_u32 v71, v72, v71, 0x7fff
                                        ; implicit-def: $vgpr72
; %bb.50:
	s_and_not1_saveexec_b32 s3, s3
; %bb.51:
	v_and_b32_e32 v71, 0xffff, v72
	v_or_b32_e32 v82, 0x10000, v72
	s_delay_alu instid0(VALU_DEP_2) | instskip(NEXT) | instid1(VALU_DEP_2)
	v_cmp_eq_u32_e32 vcc_lo, 0, v71
	v_cndmask_b32_e32 v71, v82, v72, vcc_lo
; %bb.52:
	s_or_b32 exec_lo, exec_lo, s3
	v_and_b32_e32 v72, 0x7f800000, v81
	s_delay_alu instid0(VALU_DEP_1) | instskip(SKIP_1) | instid1(SALU_CYCLE_1)
	v_cmp_ne_u32_e32 vcc_lo, 0x7f800000, v72
                                        ; implicit-def: $vgpr72
	s_and_saveexec_b32 s3, vcc_lo
	s_xor_b32 s3, exec_lo, s3
; %bb.53:
	v_bfe_u32 v72, v81, 16, 1
	s_delay_alu instid0(VALU_DEP_1)
	v_add3_u32 v72, v81, v72, 0x7fff
                                        ; implicit-def: $vgpr81
; %bb.54:
	s_and_not1_saveexec_b32 s3, s3
; %bb.55:
	v_and_b32_e32 v72, 0xffff, v81
	v_or_b32_e32 v82, 0x10000, v81
	s_delay_alu instid0(VALU_DEP_2) | instskip(NEXT) | instid1(VALU_DEP_2)
	v_cmp_eq_u32_e32 vcc_lo, 0, v72
	v_cndmask_b32_e32 v72, v82, v81, vcc_lo
; %bb.56:
	s_or_b32 exec_lo, exec_lo, s3
	v_and_b32_e32 v81, 0x7f800000, v83
	s_delay_alu instid0(VALU_DEP_1) | instskip(SKIP_1) | instid1(SALU_CYCLE_1)
	v_cmp_ne_u32_e32 vcc_lo, 0x7f800000, v81
                                        ; implicit-def: $vgpr81
	s_and_saveexec_b32 s3, vcc_lo
	s_xor_b32 s3, exec_lo, s3
; %bb.57:
	v_bfe_u32 v81, v83, 16, 1
	s_delay_alu instid0(VALU_DEP_1)
	v_add3_u32 v81, v83, v81, 0x7fff
                                        ; implicit-def: $vgpr83
; %bb.58:
	s_and_not1_saveexec_b32 s3, s3
; %bb.59:
	v_and_b32_e32 v81, 0xffff, v83
	v_or_b32_e32 v82, 0x10000, v83
	s_delay_alu instid0(VALU_DEP_2) | instskip(NEXT) | instid1(VALU_DEP_2)
	v_cmp_eq_u32_e32 vcc_lo, 0, v81
	v_cndmask_b32_e32 v81, v82, v83, vcc_lo
; %bb.60:
	s_or_b32 exec_lo, exec_lo, s3
	v_and_b32_e32 v82, 0x7f800000, v77
	s_delay_alu instid0(VALU_DEP_1) | instskip(SKIP_1) | instid1(SALU_CYCLE_1)
	v_cmp_ne_u32_e32 vcc_lo, 0x7f800000, v82
                                        ; implicit-def: $vgpr82
	s_and_saveexec_b32 s3, vcc_lo
	s_xor_b32 s3, exec_lo, s3
; %bb.61:
	v_bfe_u32 v82, v77, 16, 1
	s_delay_alu instid0(VALU_DEP_1)
	v_add3_u32 v82, v77, v82, 0x7fff
                                        ; implicit-def: $vgpr77
; %bb.62:
	s_and_not1_saveexec_b32 s3, s3
; %bb.63:
	v_and_b32_e32 v82, 0xffff, v77
	v_or_b32_e32 v83, 0x10000, v77
	s_delay_alu instid0(VALU_DEP_2) | instskip(NEXT) | instid1(VALU_DEP_2)
	v_cmp_eq_u32_e32 vcc_lo, 0, v82
	v_cndmask_b32_e32 v82, v83, v77, vcc_lo
; %bb.64:
	s_or_b32 exec_lo, exec_lo, s3
	v_and_b32_e32 v77, 0x7f800000, v78
	s_delay_alu instid0(VALU_DEP_1) | instskip(SKIP_1) | instid1(SALU_CYCLE_1)
	v_cmp_ne_u32_e32 vcc_lo, 0x7f800000, v77
                                        ; implicit-def: $vgpr77
	s_and_saveexec_b32 s3, vcc_lo
	s_xor_b32 s3, exec_lo, s3
; %bb.65:
	v_bfe_u32 v77, v78, 16, 1
	s_delay_alu instid0(VALU_DEP_1)
	v_add3_u32 v77, v78, v77, 0x7fff
                                        ; implicit-def: $vgpr78
; %bb.66:
	s_and_not1_saveexec_b32 s3, s3
; %bb.67:
	v_and_b32_e32 v77, 0xffff, v78
	v_or_b32_e32 v83, 0x10000, v78
	s_delay_alu instid0(VALU_DEP_2) | instskip(NEXT) | instid1(VALU_DEP_2)
	v_cmp_eq_u32_e32 vcc_lo, 0, v77
	v_cndmask_b32_e32 v77, v83, v78, vcc_lo
; %bb.68:
	s_or_b32 exec_lo, exec_lo, s3
	v_and_b32_e32 v78, 0x7f800000, v79
	s_delay_alu instid0(VALU_DEP_1) | instskip(SKIP_1) | instid1(SALU_CYCLE_1)
	v_cmp_ne_u32_e32 vcc_lo, 0x7f800000, v78
                                        ; implicit-def: $vgpr78
	s_and_saveexec_b32 s3, vcc_lo
	s_xor_b32 s3, exec_lo, s3
; %bb.69:
	v_bfe_u32 v78, v79, 16, 1
	s_delay_alu instid0(VALU_DEP_1)
	v_add3_u32 v78, v79, v78, 0x7fff
                                        ; implicit-def: $vgpr79
; %bb.70:
	s_and_not1_saveexec_b32 s3, s3
; %bb.71:
	v_and_b32_e32 v78, 0xffff, v79
	v_or_b32_e32 v83, 0x10000, v79
	s_delay_alu instid0(VALU_DEP_2) | instskip(NEXT) | instid1(VALU_DEP_2)
	v_cmp_eq_u32_e32 vcc_lo, 0, v78
	v_cndmask_b32_e32 v78, v83, v79, vcc_lo
; %bb.72:
	s_or_b32 exec_lo, exec_lo, s3
	v_and_b32_e32 v79, 0x7f800000, v70
	s_delay_alu instid0(VALU_DEP_1) | instskip(SKIP_1) | instid1(SALU_CYCLE_1)
	v_cmp_ne_u32_e32 vcc_lo, 0x7f800000, v79
                                        ; implicit-def: $vgpr79
	s_and_saveexec_b32 s3, vcc_lo
	s_xor_b32 s3, exec_lo, s3
; %bb.73:
	v_bfe_u32 v79, v70, 16, 1
	s_delay_alu instid0(VALU_DEP_1)
	v_add3_u32 v79, v70, v79, 0x7fff
                                        ; implicit-def: $vgpr70
; %bb.74:
	s_and_not1_saveexec_b32 s3, s3
; %bb.75:
	v_and_b32_e32 v79, 0xffff, v70
	v_or_b32_e32 v83, 0x10000, v70
	s_delay_alu instid0(VALU_DEP_2) | instskip(NEXT) | instid1(VALU_DEP_2)
	v_cmp_eq_u32_e32 vcc_lo, 0, v79
	v_cndmask_b32_e32 v79, v83, v70, vcc_lo
; %bb.76:
	s_or_b32 exec_lo, exec_lo, s3
	s_delay_alu instid0(VALU_DEP_1)
	v_perm_b32 v86, v79, v78, 0x7060302
	v_perm_b32 v85, v77, v82, 0x7060302
	v_perm_b32 v84, v81, v72, 0x7060302
	v_perm_b32 v83, v71, v69, 0x7060302
	v_lshl_or_b32 v82, v66, 11, v80
	ds_store_b128 v76, v[83:86] offset:1024
	s_waitcnt lgkmcnt(0)
	s_barrier
	buffer_gl0_inv
	ds_load_b128 v[69:72], v82
	ds_load_b128 v[83:86], v82 offset:16
	s_waitcnt lgkmcnt(1)
	v_lshrrev_b32_e32 v66, 16, v69
	s_waitcnt lgkmcnt(0)
	v_lshrrev_b32_e32 v91, 16, v83
	v_lshlrev_b32_e32 v78, 2, v74
	v_lshrrev_b32_e32 v95, 16, v70
	v_lshrrev_b32_e32 v98, 16, v84
	;; [unrolled: 1-line block ×4, first 2 shown]
	v_cmp_eq_u32_e32 vcc_lo, 1, v78
	v_lshrrev_b32_e32 v97, 16, v72
	v_lshrrev_b32_e32 v100, 16, v86
	v_cndmask_b32_e32 v87, v83, v91, vcc_lo
	v_or_b32_e32 v79, 1, v78
	v_cndmask_b32_e32 v81, v69, v66, vcc_lo
	v_cmp_eq_u32_e64 s4, 2, v78
	v_cmp_eq_u32_e64 s7, 3, v78
	;; [unrolled: 1-line block ×5, first 2 shown]
	v_cndmask_b32_e64 v81, v81, v70, s4
	v_cndmask_b32_e64 v87, v87, v84, s4
	v_cmp_eq_u32_e64 s8, 3, v79
	v_cndmask_b32_e64 v88, v69, v66, s3
	v_or_b32_e32 v77, 2, v78
	v_cndmask_b32_e64 v81, v81, v95, s7
	v_cndmask_b32_e64 v87, v87, v98, s7
	;; [unrolled: 1-line block ×4, first 2 shown]
	v_cmp_eq_u32_e64 s10, 5, v78
	v_cndmask_b32_e64 v81, v81, v71, s9
	v_cndmask_b32_e64 v87, v87, v85, s9
	v_cmp_eq_u32_e64 s11, 4, v79
	v_cndmask_b32_e64 v88, v88, v95, s8
	v_cmp_eq_u32_e64 s5, 1, v77
	v_cndmask_b32_e64 v89, v89, v84, s6
	v_cndmask_b32_e64 v81, v81, v96, s10
	v_cmp_eq_u32_e64 s12, 6, v78
	v_cndmask_b32_e64 v88, v88, v71, s11
	;; [unrolled: 3-line block ×3, first 2 shown]
	v_cndmask_b32_e64 v89, v89, v98, s8
	v_cndmask_b32_e64 v81, v81, v72, s12
	v_cmp_eq_u32_e64 s15, 7, v78
	v_cndmask_b32_e64 v88, v88, v96, s13
	v_cndmask_b32_e64 v87, v87, v86, s12
	v_cmp_eq_u32_e64 s16, 6, v79
	v_cmp_eq_u32_e64 s17, 2, v77
	v_cndmask_b32_e64 v89, v89, v85, s11
	v_cndmask_b32_e64 v101, v81, v97, s15
	;; [unrolled: 1-line block ×6, first 2 shown]
	v_cmp_eq_u32_e64 s18, 7, v79
	v_cmp_eq_u32_e64 s19, 3, v77
	;; [unrolled: 1-line block ×4, first 2 shown]
	v_cndmask_b32_e64 v87, v87, v84, s17
	v_cndmask_b32_e64 v103, v88, v97, s18
	;; [unrolled: 1-line block ×4, first 2 shown]
	v_or_b32_e32 v81, 3, v78
	v_cndmask_b32_e64 v93, v87, v98, s19
	v_cmp_eq_u32_e64 s24, 6, v77
	v_cndmask_b32_e64 v104, v88, v86, s16
	v_cndmask_b32_e64 v92, v89, v71, s20
	v_cmp_eq_u32_e64 s21, 1, v81
	ds_load_b128 v[87:90], v82 offset:1024
	v_cmp_eq_u32_e64 s23, 2, v81
	v_cmp_eq_u32_e64 s25, 3, v81
	v_cndmask_b32_e64 v105, v92, v96, s22
	v_cndmask_b32_e64 v66, v69, v66, s21
	;; [unrolled: 1-line block ×4, first 2 shown]
	ds_load_b128 v[91:94], v82 offset:1040
	v_cmp_eq_u32_e64 s26, 4, v81
	v_cndmask_b32_e64 v66, v66, v70, s23
	v_cmp_eq_u32_e64 s27, 7, v77
	v_cndmask_b32_e64 v70, v83, v84, s23
	v_cndmask_b32_e64 v84, v105, v72, s24
	v_cmp_eq_u32_e64 s28, 5, v81
	v_cndmask_b32_e64 v66, v66, v95, s25
	v_cmp_eq_u32_e64 s29, 6, v81
	v_cndmask_b32_e64 v70, v70, v98, s25
	v_cndmask_b32_e64 v69, v69, v99, s22
	;; [unrolled: 1-line block ×4, first 2 shown]
	s_waitcnt lgkmcnt(1)
	v_lshrrev_b32_e32 v95, 16, v87
	v_cndmask_b32_e64 v70, v70, v85, s26
	v_cndmask_b32_e64 v71, v84, v97, s27
	;; [unrolled: 1-line block ×4, first 2 shown]
	v_cndmask_b32_e32 v84, v87, v95, vcc_lo
	v_cndmask_b32_e64 v70, v70, v99, s28
	s_waitcnt lgkmcnt(0)
	v_lshrrev_b32_e32 v85, 16, v91
	v_lshrrev_b32_e32 v96, 16, v88
	v_cndmask_b32_e64 v98, v87, v95, s3
	v_cndmask_b32_e64 v84, v84, v88, s4
	;; [unrolled: 1-line block ×3, first 2 shown]
	v_cndmask_b32_e32 v99, v91, v85, vcc_lo
	v_cmp_eq_u32_e32 vcc_lo, 7, v81
	v_cndmask_b32_e64 v66, v66, v72, s29
	v_cndmask_b32_e64 v72, v84, v96, s7
	;; [unrolled: 1-line block ×3, first 2 shown]
	v_lshrrev_b32_e32 v98, 16, v92
	v_cndmask_b32_e32 v70, v70, v100, vcc_lo
	v_cndmask_b32_e64 v86, v99, v92, s4
	v_cndmask_b32_e64 v69, v69, v100, s27
	v_lshrrev_b32_e32 v100, 16, v93
	v_cndmask_b32_e64 v72, v72, v89, s9
	v_lshrrev_b32_e32 v99, 16, v89
	v_cndmask_b32_e64 v86, v86, v98, s7
	v_perm_b32 v71, v69, v71, 0x5040100
	v_cndmask_b32_e64 v84, v84, v96, s8
	s_delay_alu instid0(VALU_DEP_3) | instskip(NEXT) | instid1(VALU_DEP_2)
	v_cndmask_b32_e64 v86, v86, v93, s9
	v_cndmask_b32_e64 v84, v84, v89, s11
	s_delay_alu instid0(VALU_DEP_2) | instskip(NEXT) | instid1(VALU_DEP_1)
	v_cndmask_b32_e64 v86, v86, v100, s10
	v_cndmask_b32_e64 v69, v86, v94, s12
	;; [unrolled: 1-line block ×5, first 2 shown]
	s_delay_alu instid0(VALU_DEP_3) | instskip(NEXT) | instid1(VALU_DEP_3)
	v_cndmask_b32_e64 v86, v86, v88, s17
	v_cndmask_b32_e64 v87, v87, v88, s23
	s_delay_alu instid0(VALU_DEP_3) | instskip(NEXT) | instid1(VALU_DEP_3)
	v_cndmask_b32_e64 v88, v95, v92, s23
	v_cndmask_b32_e64 v86, v86, v96, s19
	;; [unrolled: 3-line block ×7, first 2 shown]
	s_delay_alu instid0(VALU_DEP_3) | instskip(SKIP_2) | instid1(VALU_DEP_2)
	v_cndmask_b32_e64 v88, v88, v94, s29
	v_cndmask_b32_e32 v66, v66, v97, vcc_lo
	v_cndmask_b32_e64 v97, v72, v99, s10
	v_perm_b32 v72, v70, v66, 0x5040100
	v_perm_b32 v70, v83, v103, 0x5040100
	v_cndmask_b32_e64 v103, v91, v85, s5
	v_cndmask_b32_e64 v85, v91, v85, s3
	;; [unrolled: 1-line block ×4, first 2 shown]
	v_lshrrev_b32_e32 v97, 16, v90
	v_cndmask_b32_e64 v91, v103, v92, s17
	v_cndmask_b32_e64 v85, v85, v92, s6
	;; [unrolled: 1-line block ×3, first 2 shown]
	s_mov_b32 s3, exec_lo
	v_cndmask_b32_e64 v83, v84, v97, s15
	v_cndmask_b32_e64 v91, v91, v98, s19
	;; [unrolled: 1-line block ×3, first 2 shown]
	v_lshrrev_b32_e32 v84, 16, v94
	v_cndmask_b32_e64 v66, v66, v97, s18
	v_cndmask_b32_e64 v90, v86, v97, s27
	;; [unrolled: 1-line block ×4, first 2 shown]
	v_dual_cndmask_b32 v86, v87, v97 :: v_dual_cndmask_b32 v87, v88, v84
	v_cndmask_b32_e64 v91, v69, v84, s15
	s_delay_alu instid0(VALU_DEP_4) | instskip(NEXT) | instid1(VALU_DEP_4)
	v_cndmask_b32_e64 v89, v89, v100, s22
	v_cndmask_b32_e64 v85, v85, v100, s13
	v_perm_b32 v69, v102, v101, 0x5040100
	v_perm_b32 v86, v87, v86, 0x5040100
	;; [unrolled: 1-line block ×3, first 2 shown]
	v_cndmask_b32_e64 v89, v89, v94, s24
	v_cndmask_b32_e64 v85, v85, v94, s16
	s_mul_i32 s8, s35, 6
	s_delay_alu instid0(VALU_DEP_2) | instskip(NEXT) | instid1(VALU_DEP_2)
	v_cndmask_b32_e64 v88, v89, v84, s27
	v_cndmask_b32_e64 v89, v85, v84, s18
	s_delay_alu instid0(VALU_DEP_2) | instskip(NEXT) | instid1(VALU_DEP_2)
	v_perm_b32 v85, v88, v90, 0x5040100
	v_perm_b32 v84, v89, v66, 0x5040100
	ds_store_b128 v76, v[69:72]
	ds_store_b128 v76, v[83:86] offset:1024
	v_cmpx_gt_u32_e32 6, v0
	s_cbranch_execz .LBB1411_78
; %bb.77:
	s_mul_i32 s4, s8, s30
	s_delay_alu instid0(SALU_CYCLE_1) | instskip(SKIP_1) | instid1(VALU_DEP_1)
	v_add3_u32 v69, s4, s31, v65
	s_load_b128 s[4:7], s[0:1], 0x58
	v_mad_u64_u32 v[65:66], null, v69, s34, s[14:15]
	s_delay_alu instid0(VALU_DEP_1) | instskip(NEXT) | instid1(VALU_DEP_1)
	v_ashrrev_i32_e32 v66, 31, v65
	v_lshlrev_b64 v[65:66], 2, v[65:66]
	s_waitcnt lgkmcnt(0)
	s_delay_alu instid0(VALU_DEP_1) | instskip(NEXT) | instid1(VALU_DEP_2)
	v_add_co_u32 v69, vcc_lo, s6, v65
	v_add_co_ci_u32_e32 v70, vcc_lo, s7, v66, vcc_lo
	v_add_co_u32 v65, vcc_lo, s4, v65
	v_add_co_ci_u32_e32 v66, vcc_lo, s5, v66, vcc_lo
	global_store_b32 v[69:70], v67, off
	global_store_b32 v[65:66], v68, off
.LBB1411_78:
	s_or_b32 exec_lo, exec_lo, s3
	s_waitcnt lgkmcnt(0)
	s_waitcnt_vscnt null, 0x0
	s_barrier
	buffer_gl0_inv
	ds_load_b128 v[83:86], v80
	ds_load_b128 v[87:90], v80 offset:16
	ds_load_b128 v[95:98], v80 offset:2064
	;; [unrolled: 1-line block ×3, first 2 shown]
	v_mov_b32_e32 v65, 0
	ds_load_b128 v[103:106], v80 offset:4112
	ds_load_b128 v[99:102], v80 offset:4096
	;; [unrolled: 1-line block ×4, first 2 shown]
	v_mov_b32_e32 v66, v65
	v_mov_b32_e32 v67, v65
	;; [unrolled: 1-line block ×7, first 2 shown]
	s_waitcnt lgkmcnt(6)
	s_delay_alu instid0(VALU_DEP_1)
	v_wmma_f32_16x16x16_bf16 v[65:72], v[57:64], v[83:90], v[65:72]
	ds_load_b128 v[61:64], v80 offset:8208
	ds_load_b128 v[57:60], v80 offset:8192
	s_waitcnt lgkmcnt(6)
	v_wmma_f32_16x16x16_bf16 v[65:72], v[41:48], v[91:98], v[65:72]
	ds_load_b128 v[45:48], v80 offset:10256
	ds_load_b128 v[41:44], v80 offset:10240
	s_waitcnt lgkmcnt(6)
	;; [unrolled: 4-line block ×4, first 2 shown]
	v_wmma_f32_16x16x16_bf16 v[65:72], v[1:8], v[57:64], v[65:72]
	s_waitcnt lgkmcnt(4)
	s_delay_alu instid0(VALU_DEP_1) | instskip(SKIP_1) | instid1(VALU_DEP_1)
	v_wmma_f32_16x16x16_bf16 v[65:72], v[9:16], v[41:48], v[65:72]
	s_waitcnt lgkmcnt(2)
	v_wmma_f32_16x16x16_bf16 v[65:72], v[17:24], v[33:40], v[65:72]
	s_waitcnt lgkmcnt(0)
	s_delay_alu instid0(VALU_DEP_1) | instskip(NEXT) | instid1(VALU_DEP_1)
	v_wmma_f32_16x16x16_bf16 v[65:72], v[49:56], v[25:32], v[65:72]
	v_and_b32_e32 v1, 0x7f800000, v65
	s_delay_alu instid0(VALU_DEP_1) | instskip(SKIP_1) | instid1(SALU_CYCLE_1)
	v_cmp_ne_u32_e32 vcc_lo, 0x7f800000, v1
                                        ; implicit-def: $vgpr1
	s_and_saveexec_b32 s3, vcc_lo
	s_xor_b32 s3, exec_lo, s3
; %bb.79:
	v_bfe_u32 v1, v65, 16, 1
	s_delay_alu instid0(VALU_DEP_1)
	v_add3_u32 v1, v65, v1, 0x7fff
; %bb.80:
	s_and_not1_saveexec_b32 s3, s3
; %bb.81:
	v_and_b32_e32 v1, 0xffff, v65
	v_or_b32_e32 v2, 0x10000, v65
	s_delay_alu instid0(VALU_DEP_2) | instskip(NEXT) | instid1(VALU_DEP_2)
	v_cmp_eq_u32_e32 vcc_lo, 0, v1
	v_cndmask_b32_e32 v1, v2, v65, vcc_lo
; %bb.82:
	s_or_b32 exec_lo, exec_lo, s3
	v_and_b32_e32 v2, 0x7f800000, v66
	s_delay_alu instid0(VALU_DEP_1) | instskip(SKIP_1) | instid1(SALU_CYCLE_1)
	v_cmp_ne_u32_e32 vcc_lo, 0x7f800000, v2
                                        ; implicit-def: $vgpr2
	s_and_saveexec_b32 s3, vcc_lo
	s_xor_b32 s3, exec_lo, s3
; %bb.83:
	v_bfe_u32 v2, v66, 16, 1
	s_delay_alu instid0(VALU_DEP_1)
	v_add3_u32 v2, v66, v2, 0x7fff
; %bb.84:
	s_and_not1_saveexec_b32 s3, s3
; %bb.85:
	v_and_b32_e32 v2, 0xffff, v66
	v_or_b32_e32 v3, 0x10000, v66
	s_delay_alu instid0(VALU_DEP_2) | instskip(NEXT) | instid1(VALU_DEP_2)
	v_cmp_eq_u32_e32 vcc_lo, 0, v2
	v_cndmask_b32_e32 v2, v3, v66, vcc_lo
; %bb.86:
	s_or_b32 exec_lo, exec_lo, s3
	v_and_b32_e32 v3, 0x7f800000, v67
	s_delay_alu instid0(VALU_DEP_1) | instskip(SKIP_1) | instid1(SALU_CYCLE_1)
	v_cmp_ne_u32_e32 vcc_lo, 0x7f800000, v3
                                        ; implicit-def: $vgpr3
	s_and_saveexec_b32 s3, vcc_lo
	s_xor_b32 s3, exec_lo, s3
; %bb.87:
	v_bfe_u32 v3, v67, 16, 1
	s_delay_alu instid0(VALU_DEP_1)
	v_add3_u32 v3, v67, v3, 0x7fff
; %bb.88:
	s_and_not1_saveexec_b32 s3, s3
; %bb.89:
	v_and_b32_e32 v3, 0xffff, v67
	v_or_b32_e32 v4, 0x10000, v67
	s_delay_alu instid0(VALU_DEP_2) | instskip(NEXT) | instid1(VALU_DEP_2)
	v_cmp_eq_u32_e32 vcc_lo, 0, v3
	v_cndmask_b32_e32 v3, v4, v67, vcc_lo
; %bb.90:
	s_or_b32 exec_lo, exec_lo, s3
	v_and_b32_e32 v4, 0x7f800000, v68
	s_delay_alu instid0(VALU_DEP_1) | instskip(SKIP_1) | instid1(SALU_CYCLE_1)
	v_cmp_ne_u32_e32 vcc_lo, 0x7f800000, v4
                                        ; implicit-def: $vgpr4
	s_and_saveexec_b32 s3, vcc_lo
	s_xor_b32 s3, exec_lo, s3
; %bb.91:
	v_bfe_u32 v4, v68, 16, 1
	s_delay_alu instid0(VALU_DEP_1)
	v_add3_u32 v4, v68, v4, 0x7fff
; %bb.92:
	s_and_not1_saveexec_b32 s3, s3
; %bb.93:
	v_and_b32_e32 v4, 0xffff, v68
	v_or_b32_e32 v5, 0x10000, v68
	s_delay_alu instid0(VALU_DEP_2) | instskip(NEXT) | instid1(VALU_DEP_2)
	v_cmp_eq_u32_e32 vcc_lo, 0, v4
	v_cndmask_b32_e32 v4, v5, v68, vcc_lo
; %bb.94:
	s_or_b32 exec_lo, exec_lo, s3
	v_and_b32_e32 v5, 0x7f800000, v69
	s_delay_alu instid0(VALU_DEP_1) | instskip(SKIP_1) | instid1(SALU_CYCLE_1)
	v_cmp_ne_u32_e32 vcc_lo, 0x7f800000, v5
                                        ; implicit-def: $vgpr5
	s_and_saveexec_b32 s3, vcc_lo
	s_xor_b32 s3, exec_lo, s3
; %bb.95:
	v_bfe_u32 v5, v69, 16, 1
	s_delay_alu instid0(VALU_DEP_1)
	v_add3_u32 v5, v69, v5, 0x7fff
; %bb.96:
	s_and_not1_saveexec_b32 s3, s3
; %bb.97:
	v_and_b32_e32 v5, 0xffff, v69
	v_or_b32_e32 v6, 0x10000, v69
	s_delay_alu instid0(VALU_DEP_2) | instskip(NEXT) | instid1(VALU_DEP_2)
	v_cmp_eq_u32_e32 vcc_lo, 0, v5
	v_cndmask_b32_e32 v5, v6, v69, vcc_lo
; %bb.98:
	s_or_b32 exec_lo, exec_lo, s3
	v_and_b32_e32 v6, 0x7f800000, v70
	s_delay_alu instid0(VALU_DEP_1) | instskip(SKIP_1) | instid1(SALU_CYCLE_1)
	v_cmp_ne_u32_e32 vcc_lo, 0x7f800000, v6
                                        ; implicit-def: $vgpr6
	s_and_saveexec_b32 s3, vcc_lo
	s_xor_b32 s3, exec_lo, s3
; %bb.99:
	v_bfe_u32 v6, v70, 16, 1
	s_delay_alu instid0(VALU_DEP_1)
	v_add3_u32 v6, v70, v6, 0x7fff
; %bb.100:
	s_and_not1_saveexec_b32 s3, s3
; %bb.101:
	v_and_b32_e32 v6, 0xffff, v70
	v_or_b32_e32 v7, 0x10000, v70
	s_delay_alu instid0(VALU_DEP_2) | instskip(NEXT) | instid1(VALU_DEP_2)
	v_cmp_eq_u32_e32 vcc_lo, 0, v6
	v_cndmask_b32_e32 v6, v7, v70, vcc_lo
; %bb.102:
	s_or_b32 exec_lo, exec_lo, s3
	v_and_b32_e32 v7, 0x7f800000, v71
	s_delay_alu instid0(VALU_DEP_1) | instskip(SKIP_1) | instid1(SALU_CYCLE_1)
	v_cmp_ne_u32_e32 vcc_lo, 0x7f800000, v7
                                        ; implicit-def: $vgpr7
	s_and_saveexec_b32 s3, vcc_lo
	s_xor_b32 s3, exec_lo, s3
; %bb.103:
	v_bfe_u32 v7, v71, 16, 1
	s_delay_alu instid0(VALU_DEP_1)
	v_add3_u32 v7, v71, v7, 0x7fff
; %bb.104:
	s_and_not1_saveexec_b32 s3, s3
; %bb.105:
	v_and_b32_e32 v7, 0xffff, v71
	v_or_b32_e32 v8, 0x10000, v71
	s_delay_alu instid0(VALU_DEP_2) | instskip(NEXT) | instid1(VALU_DEP_2)
	v_cmp_eq_u32_e32 vcc_lo, 0, v7
	v_cndmask_b32_e32 v7, v8, v71, vcc_lo
; %bb.106:
	s_or_b32 exec_lo, exec_lo, s3
	v_and_b32_e32 v8, 0x7f800000, v72
	s_delay_alu instid0(VALU_DEP_1) | instskip(SKIP_1) | instid1(SALU_CYCLE_1)
	v_cmp_ne_u32_e32 vcc_lo, 0x7f800000, v8
                                        ; implicit-def: $vgpr8
	s_and_saveexec_b32 s3, vcc_lo
	s_xor_b32 s3, exec_lo, s3
; %bb.107:
	v_bfe_u32 v8, v72, 16, 1
	s_delay_alu instid0(VALU_DEP_1)
	v_add3_u32 v8, v72, v8, 0x7fff
                                        ; implicit-def: $vgpr65_vgpr66_vgpr67_vgpr68_vgpr69_vgpr70_vgpr71_vgpr72
; %bb.108:
	s_and_not1_saveexec_b32 s3, s3
; %bb.109:
	v_and_b32_e32 v8, 0xffff, v72
	v_or_b32_e32 v9, 0x10000, v72
	s_delay_alu instid0(VALU_DEP_2) | instskip(NEXT) | instid1(VALU_DEP_2)
	v_cmp_eq_u32_e32 vcc_lo, 0, v8
	v_cndmask_b32_e32 v8, v9, v72, vcc_lo
; %bb.110:
	s_or_b32 exec_lo, exec_lo, s3
	s_delay_alu instid0(VALU_DEP_1)
	v_perm_b32 v7, v8, v7, 0x7060302
	v_perm_b32 v6, v6, v5, 0x7060302
	;; [unrolled: 1-line block ×4, first 2 shown]
	s_barrier
	buffer_gl0_inv
	v_cmp_eq_u32_e32 vcc_lo, 1, v78
	ds_store_b128 v76, v[4:7]
	s_waitcnt lgkmcnt(0)
	s_barrier
	buffer_gl0_inv
	ds_load_b128 v[1:4], v82
	ds_load_b128 v[5:8], v82 offset:16
	v_cmp_eq_u32_e64 s3, 1, v79
	v_cmp_eq_u32_e64 s4, 2, v78
	;; [unrolled: 1-line block ×5, first 2 shown]
	s_waitcnt lgkmcnt(1)
	v_lshrrev_b32_e32 v9, 16, v1
	s_waitcnt lgkmcnt(0)
	v_lshrrev_b32_e32 v13, 16, v5
	v_lshrrev_b32_e32 v10, 16, v2
	;; [unrolled: 1-line block ×4, first 2 shown]
	v_cndmask_b32_e64 v19, v1, v9, s3
	v_cndmask_b32_e32 v18, v5, v13, vcc_lo
	v_cndmask_b32_e64 v20, v5, v13, s3
	v_cndmask_b32_e32 v17, v1, v9, vcc_lo
	v_cmp_eq_u32_e32 vcc_lo, 2, v79
	v_lshrrev_b32_e32 v15, 16, v7
	v_cmp_eq_u32_e64 s3, 1, v77
	v_lshrrev_b32_e32 v12, 16, v4
	v_lshrrev_b32_e32 v16, 16, v8
	v_cndmask_b32_e32 v20, v20, v6, vcc_lo
	v_cndmask_b32_e64 v17, v17, v2, s4
	v_cndmask_b32_e32 v19, v19, v2, vcc_lo
	v_cndmask_b32_e64 v18, v18, v6, s4
	v_cmp_eq_u32_e32 vcc_lo, 4, v78
	v_cmp_eq_u32_e64 s4, 3, v79
	v_cndmask_b32_e64 v17, v17, v10, s5
	v_cndmask_b32_e64 v21, v1, v9, s3
	;; [unrolled: 1-line block ×5, first 2 shown]
	v_cndmask_b32_e32 v17, v17, v3, vcc_lo
	v_cndmask_b32_e64 v20, v20, v14, s4
	v_cndmask_b32_e32 v18, v18, v7, vcc_lo
	v_cmp_eq_u32_e32 vcc_lo, 4, v79
	v_cmp_eq_u32_e64 s4, 5, v79
	v_cmp_eq_u32_e64 s3, 2, v81
	v_cndmask_b32_e64 v21, v21, v2, s7
	v_cmp_eq_u32_e64 s5, 5, v78
	v_cndmask_b32_e32 v19, v19, v3, vcc_lo
	v_cndmask_b32_e32 v20, v20, v7, vcc_lo
	v_cmp_eq_u32_e32 vcc_lo, 6, v79
	s_delay_alu instid0(VALU_DEP_4) | instskip(NEXT) | instid1(VALU_DEP_4)
	v_cndmask_b32_e64 v17, v17, v11, s5
	v_cndmask_b32_e64 v19, v19, v11, s4
	s_delay_alu instid0(VALU_DEP_4) | instskip(SKIP_1) | instid1(VALU_DEP_3)
	v_cndmask_b32_e64 v20, v20, v15, s4
	v_cmp_eq_u32_e64 s4, 1, v81
	v_cndmask_b32_e32 v19, v19, v4, vcc_lo
	v_cndmask_b32_e64 v18, v18, v15, s5
	s_delay_alu instid0(VALU_DEP_3)
	v_cndmask_b32_e64 v1, v1, v9, s4
	v_cndmask_b32_e64 v5, v5, v13, s4
	v_cmp_eq_u32_e64 s4, 3, v77
	v_cndmask_b32_e64 v13, v22, v6, s7
	v_cmp_eq_u32_e64 s7, 3, v81
	v_cndmask_b32_e64 v1, v1, v2, s3
	v_cndmask_b32_e64 v2, v5, v6, s3
	;; [unrolled: 1-line block ×3, first 2 shown]
	v_cmp_eq_u32_e64 s3, 4, v77
	v_cndmask_b32_e64 v6, v13, v14, s4
	v_cndmask_b32_e64 v1, v1, v10, s7
	v_cmp_eq_u32_e64 s4, 4, v81
	v_cndmask_b32_e64 v2, v2, v14, s7
	v_cndmask_b32_e64 v5, v9, v3, s3
	;; [unrolled: 3-line block ×3, first 2 shown]
	v_cndmask_b32_e64 v2, v2, v7, s4
	v_cmp_eq_u32_e64 s3, 5, v81
	v_cmp_eq_u32_e64 s5, 6, v78
	v_cndmask_b32_e64 v5, v5, v11, s7
	v_cmp_eq_u32_e64 s4, 6, v77
	v_cndmask_b32_e64 v3, v6, v15, s7
	v_cndmask_b32_e64 v1, v1, v11, s3
	v_cmp_eq_u32_e64 s7, 6, v81
	v_cndmask_b32_e64 v2, v2, v15, s3
	v_cndmask_b32_e64 v17, v17, v4, s5
	v_cndmask_b32_e64 v18, v18, v8, s5
	v_cmp_eq_u32_e64 s5, 7, v78
	v_cndmask_b32_e64 v5, v5, v4, s4
	v_cndmask_b32_e64 v3, v3, v8, s4
	v_cndmask_b32_e64 v1, v1, v4, s7
	v_cmp_eq_u32_e64 s3, 7, v81
	v_cndmask_b32_e64 v2, v2, v8, s7
	v_cmp_eq_u32_e64 s4, 7, v77
	v_cndmask_b32_e32 v4, v20, v8, vcc_lo
	v_cndmask_b32_e64 v17, v17, v12, s5
	v_cndmask_b32_e64 v19, v19, v12, s6
	;; [unrolled: 1-line block ×8, first 2 shown]
	v_cmp_gt_u32_e32 vcc_lo, 32, v0
	v_perm_b32 v4, v2, v1, 0x5040100
	v_perm_b32 v3, v3, v5, 0x5040100
	;; [unrolled: 1-line block ×4, first 2 shown]
	s_and_b32 s2, vcc_lo, s2
	ds_store_b128 v76, v[1:4]
	s_waitcnt lgkmcnt(0)
	s_barrier
	buffer_gl0_inv
	s_and_saveexec_b32 s3, s2
	s_cbranch_execz .LBB1411_2
; %bb.111:
	s_load_b64 s[0:1], s[0:1], 0x68
	s_lshl_b32 s4, s34, 6
	v_or_b32_e32 v3, s31, v74
	s_mul_i32 s2, s4, s30
	v_lshlrev_b32_e32 v0, 10, v0
	s_mul_i32 s2, s2, s8
	v_lshlrev_b32_e32 v1, 4, v75
	s_ashr_i32 s3, s2, 31
	v_mul_lo_u32 v12, v3, s4
	s_lshl_b64 s[2:3], s[2:3], 1
	v_lshlrev_b32_e32 v2, 6, v74
	v_and_b32_e32 v0, 0x3800, v0
	s_delay_alu instid0(VALU_DEP_1) | instskip(NEXT) | instid1(VALU_DEP_4)
	v_or3_b32 v8, v0, v1, v2
	v_ashrrev_i32_e32 v13, 31, v12
	ds_load_b128 v[0:3], v8
	ds_load_b128 v[4:7], v8 offset:128
	ds_load_b128 v[8:11], v8 offset:256
	s_waitcnt lgkmcnt(0)
	s_add_u32 s2, s0, s2
	s_addc_u32 s3, s1, s3
	s_lshl_b32 s0, s14, 6
	s_delay_alu instid0(SALU_CYCLE_1) | instskip(NEXT) | instid1(SALU_CYCLE_1)
	s_ashr_i32 s1, s0, 31
	s_lshl_b64 s[0:1], s[0:1], 1
	s_delay_alu instid0(SALU_CYCLE_1)
	s_add_u32 s0, s2, s0
	s_addc_u32 s1, s3, s1
	s_lshl_b32 s2, s34, 7
	v_add_co_u32 v18, s0, s0, v73
	v_add_nc_u32_e32 v14, s2, v12
	v_lshlrev_b64 v[12:13], 1, v[12:13]
	v_add_co_ci_u32_e64 v19, null, s1, 0, s0
	s_delay_alu instid0(VALU_DEP_3) | instskip(SKIP_1) | instid1(VALU_DEP_4)
	v_add_nc_u32_e32 v16, s2, v14
	v_ashrrev_i32_e32 v15, 31, v14
	v_add_co_u32 v12, vcc_lo, v18, v12
	s_delay_alu instid0(VALU_DEP_4) | instskip(NEXT) | instid1(VALU_DEP_4)
	v_add_co_ci_u32_e32 v13, vcc_lo, v19, v13, vcc_lo
	v_ashrrev_i32_e32 v17, 31, v16
	s_delay_alu instid0(VALU_DEP_4) | instskip(NEXT) | instid1(VALU_DEP_2)
	v_lshlrev_b64 v[14:15], 1, v[14:15]
	v_lshlrev_b64 v[16:17], 1, v[16:17]
	s_delay_alu instid0(VALU_DEP_2) | instskip(NEXT) | instid1(VALU_DEP_3)
	v_add_co_u32 v14, vcc_lo, v18, v14
	v_add_co_ci_u32_e32 v15, vcc_lo, v19, v15, vcc_lo
	s_delay_alu instid0(VALU_DEP_3) | instskip(NEXT) | instid1(VALU_DEP_4)
	v_add_co_u32 v16, vcc_lo, v18, v16
	v_add_co_ci_u32_e32 v17, vcc_lo, v19, v17, vcc_lo
	s_clause 0x2
	global_store_b128 v[12:13], v[0:3], off
	global_store_b128 v[14:15], v[4:7], off
	;; [unrolled: 1-line block ×3, first 2 shown]
	s_nop 0
	s_sendmsg sendmsg(MSG_DEALLOC_VGPRS)
	s_endpgm
	.section	.rodata,"a",@progbits
	.p2align	6, 0x0
	.amdhsa_kernel _Z39paged_attention_ll4mi_QKV_mfma16_kernelI14__hip_bfloat16hLN4vllm18Fp8KVCacheDataTypeE1ES0_Li16ELi64ELi256ELb0ELi6EL8MFMAType1EEvPKT_PKT0_S9_ifPKiSB_SB_iPKfiiiPfSE_PS4_PT2_iSD_SD_
		.amdhsa_group_segment_fixed_size 17472
		.amdhsa_private_segment_fixed_size 0
		.amdhsa_kernarg_size 400
		.amdhsa_user_sgpr_count 13
		.amdhsa_user_sgpr_dispatch_ptr 0
		.amdhsa_user_sgpr_queue_ptr 0
		.amdhsa_user_sgpr_kernarg_segment_ptr 1
		.amdhsa_user_sgpr_dispatch_id 0
		.amdhsa_user_sgpr_private_segment_size 0
		.amdhsa_wavefront_size32 1
		.amdhsa_uses_dynamic_stack 0
		.amdhsa_enable_private_segment 0
		.amdhsa_system_sgpr_workgroup_id_x 1
		.amdhsa_system_sgpr_workgroup_id_y 1
		.amdhsa_system_sgpr_workgroup_id_z 1
		.amdhsa_system_sgpr_workgroup_info 0
		.amdhsa_system_vgpr_workitem_id 0
		.amdhsa_next_free_vgpr 124
		.amdhsa_next_free_sgpr 38
		.amdhsa_reserve_vcc 1
		.amdhsa_float_round_mode_32 0
		.amdhsa_float_round_mode_16_64 0
		.amdhsa_float_denorm_mode_32 3
		.amdhsa_float_denorm_mode_16_64 3
		.amdhsa_dx10_clamp 1
		.amdhsa_ieee_mode 1
		.amdhsa_fp16_overflow 0
		.amdhsa_workgroup_processor_mode 1
		.amdhsa_memory_ordered 1
		.amdhsa_forward_progress 0
		.amdhsa_shared_vgpr_count 0
		.amdhsa_exception_fp_ieee_invalid_op 0
		.amdhsa_exception_fp_denorm_src 0
		.amdhsa_exception_fp_ieee_div_zero 0
		.amdhsa_exception_fp_ieee_overflow 0
		.amdhsa_exception_fp_ieee_underflow 0
		.amdhsa_exception_fp_ieee_inexact 0
		.amdhsa_exception_int_div_zero 0
	.end_amdhsa_kernel
	.section	.text._Z39paged_attention_ll4mi_QKV_mfma16_kernelI14__hip_bfloat16hLN4vllm18Fp8KVCacheDataTypeE1ES0_Li16ELi64ELi256ELb0ELi6EL8MFMAType1EEvPKT_PKT0_S9_ifPKiSB_SB_iPKfiiiPfSE_PS4_PT2_iSD_SD_,"axG",@progbits,_Z39paged_attention_ll4mi_QKV_mfma16_kernelI14__hip_bfloat16hLN4vllm18Fp8KVCacheDataTypeE1ES0_Li16ELi64ELi256ELb0ELi6EL8MFMAType1EEvPKT_PKT0_S9_ifPKiSB_SB_iPKfiiiPfSE_PS4_PT2_iSD_SD_,comdat
.Lfunc_end1411:
	.size	_Z39paged_attention_ll4mi_QKV_mfma16_kernelI14__hip_bfloat16hLN4vllm18Fp8KVCacheDataTypeE1ES0_Li16ELi64ELi256ELb0ELi6EL8MFMAType1EEvPKT_PKT0_S9_ifPKiSB_SB_iPKfiiiPfSE_PS4_PT2_iSD_SD_, .Lfunc_end1411-_Z39paged_attention_ll4mi_QKV_mfma16_kernelI14__hip_bfloat16hLN4vllm18Fp8KVCacheDataTypeE1ES0_Li16ELi64ELi256ELb0ELi6EL8MFMAType1EEvPKT_PKT0_S9_ifPKiSB_SB_iPKfiiiPfSE_PS4_PT2_iSD_SD_
                                        ; -- End function
	.section	.AMDGPU.csdata,"",@progbits
; Kernel info:
; codeLenInByte = 8736
; NumSgprs: 40
; NumVgprs: 124
; ScratchSize: 0
; MemoryBound: 0
; FloatMode: 240
; IeeeMode: 1
; LDSByteSize: 17472 bytes/workgroup (compile time only)
; SGPRBlocks: 4
; VGPRBlocks: 15
; NumSGPRsForWavesPerEU: 40
; NumVGPRsForWavesPerEU: 124
; Occupancy: 10
; WaveLimiterHint : 1
; COMPUTE_PGM_RSRC2:SCRATCH_EN: 0
; COMPUTE_PGM_RSRC2:USER_SGPR: 13
; COMPUTE_PGM_RSRC2:TRAP_HANDLER: 0
; COMPUTE_PGM_RSRC2:TGID_X_EN: 1
; COMPUTE_PGM_RSRC2:TGID_Y_EN: 1
; COMPUTE_PGM_RSRC2:TGID_Z_EN: 1
; COMPUTE_PGM_RSRC2:TIDIG_COMP_CNT: 0
	.section	.text._Z39paged_attention_ll4mi_QKV_mfma16_kernelI14__hip_bfloat16hLN4vllm18Fp8KVCacheDataTypeE1ES0_Li16ELi64ELi256ELb0ELi7EL8MFMAType1EEvPKT_PKT0_S9_ifPKiSB_SB_iPKfiiiPfSE_PS4_PT2_iSD_SD_,"axG",@progbits,_Z39paged_attention_ll4mi_QKV_mfma16_kernelI14__hip_bfloat16hLN4vllm18Fp8KVCacheDataTypeE1ES0_Li16ELi64ELi256ELb0ELi7EL8MFMAType1EEvPKT_PKT0_S9_ifPKiSB_SB_iPKfiiiPfSE_PS4_PT2_iSD_SD_,comdat
	.protected	_Z39paged_attention_ll4mi_QKV_mfma16_kernelI14__hip_bfloat16hLN4vllm18Fp8KVCacheDataTypeE1ES0_Li16ELi64ELi256ELb0ELi7EL8MFMAType1EEvPKT_PKT0_S9_ifPKiSB_SB_iPKfiiiPfSE_PS4_PT2_iSD_SD_ ; -- Begin function _Z39paged_attention_ll4mi_QKV_mfma16_kernelI14__hip_bfloat16hLN4vllm18Fp8KVCacheDataTypeE1ES0_Li16ELi64ELi256ELb0ELi7EL8MFMAType1EEvPKT_PKT0_S9_ifPKiSB_SB_iPKfiiiPfSE_PS4_PT2_iSD_SD_
	.globl	_Z39paged_attention_ll4mi_QKV_mfma16_kernelI14__hip_bfloat16hLN4vllm18Fp8KVCacheDataTypeE1ES0_Li16ELi64ELi256ELb0ELi7EL8MFMAType1EEvPKT_PKT0_S9_ifPKiSB_SB_iPKfiiiPfSE_PS4_PT2_iSD_SD_
	.p2align	8
	.type	_Z39paged_attention_ll4mi_QKV_mfma16_kernelI14__hip_bfloat16hLN4vllm18Fp8KVCacheDataTypeE1ES0_Li16ELi64ELi256ELb0ELi7EL8MFMAType1EEvPKT_PKT0_S9_ifPKiSB_SB_iPKfiiiPfSE_PS4_PT2_iSD_SD_,@function
_Z39paged_attention_ll4mi_QKV_mfma16_kernelI14__hip_bfloat16hLN4vllm18Fp8KVCacheDataTypeE1ES0_Li16ELi64ELi256ELb0ELi7EL8MFMAType1EEvPKT_PKT0_S9_ifPKiSB_SB_iPKfiiiPfSE_PS4_PT2_iSD_SD_: ; @_Z39paged_attention_ll4mi_QKV_mfma16_kernelI14__hip_bfloat16hLN4vllm18Fp8KVCacheDataTypeE1ES0_Li16ELi64ELi256ELb0ELi7EL8MFMAType1EEvPKT_PKT0_S9_ifPKiSB_SB_iPKfiiiPfSE_PS4_PT2_iSD_SD_
; %bb.0:
	s_load_b64 s[2:3], s[0:1], 0x30
	s_mov_b32 s34, s13
	s_waitcnt lgkmcnt(0)
	s_cmp_lg_u64 s[2:3], 0
	s_cselect_b32 s8, -1, 0
	s_ashr_i32 s35, s13, 31
	s_cmp_eq_u64 s[2:3], 0
	s_cbranch_scc1 .LBB1412_3
; %bb.1:
	s_lshl_b64 s[4:5], s[34:35], 2
	s_delay_alu instid0(SALU_CYCLE_1) | instskip(SKIP_4) | instid1(SALU_CYCLE_1)
	s_add_u32 s4, s2, s4
	s_addc_u32 s5, s3, s5
	s_load_b64 s[4:5], s[4:5], 0x0
	s_waitcnt lgkmcnt(0)
	s_sub_i32 s4, s5, s4
	s_cmp_eq_u32 s4, 1
	s_cselect_b32 s4, -1, 0
	s_delay_alu instid0(SALU_CYCLE_1)
	s_and_not1_b32 vcc_lo, exec_lo, s4
	s_cbranch_vccz .LBB1412_4
.LBB1412_2:
	s_nop 0
	s_sendmsg sendmsg(MSG_DEALLOC_VGPRS)
	s_endpgm
.LBB1412_3:
.LBB1412_4:
	s_load_b64 s[4:5], s[0:1], 0x28
	s_lshl_b64 s[6:7], s[34:35], 2
	s_waitcnt lgkmcnt(0)
	s_add_u32 s4, s4, s6
	s_addc_u32 s5, s5, s7
	s_lshl_b32 s12, s14, 8
	s_load_b32 s24, s[4:5], 0x0
	s_waitcnt lgkmcnt(0)
	s_cmp_ge_i32 s12, s24
	s_cbranch_scc1 .LBB1412_2
; %bb.5:
	s_clause 0x1
	s_load_b128 s[20:23], s[0:1], 0x8
	s_load_b64 s[4:5], s[0:1], 0x20
	s_and_not1_b32 vcc_lo, exec_lo, s8
	s_cbranch_vccnz .LBB1412_7
; %bb.6:
	s_add_u32 s2, s2, s6
	s_addc_u32 s3, s3, s7
	s_load_b32 s3, s[2:3], 0x0
	s_branch .LBB1412_8
.LBB1412_7:
	s_mov_b32 s3, s34
.LBB1412_8:
	s_load_b128 s[16:19], s[0:1], 0x48
	v_lshrrev_b32_e32 v66, 5, v0
	v_bfe_u32 v74, v0, 4, 1
	v_and_b32_e32 v65, 15, v0
	v_and_b32_e32 v67, 31, v0
	;; [unrolled: 1-line block ×3, first 2 shown]
	s_mul_i32 s31, s15, 7
	v_lshl_or_b32 v1, v66, 1, v74
	v_lshlrev_b32_e32 v2, 3, v65
	v_cmp_gt_u32_e64 s2, 8, v65
	s_delay_alu instid0(VALU_DEP_3) | instskip(NEXT) | instid1(VALU_DEP_3)
	v_cmp_gt_u32_e32 vcc_lo, 7, v1
	v_lshlrev_b32_e32 v73, 1, v2
	s_delay_alu instid0(VALU_DEP_3) | instskip(NEXT) | instid1(SALU_CYCLE_1)
	s_and_b32 s7, s2, vcc_lo
	s_and_saveexec_b32 s6, s7
	s_cbranch_execz .LBB1412_10
; %bb.9:
	s_load_b64 s[8:9], s[0:1], 0x0
	v_add_lshl_u32 v2, v1, s31, 6
	s_waitcnt lgkmcnt(0)
	s_mul_hi_i32 s11, s3, s16
	s_mul_i32 s10, s3, s16
	v_lshlrev_b32_e32 v6, 10, v65
	s_lshl_b64 s[10:11], s[10:11], 1
	v_ashrrev_i32_e32 v3, 31, v2
	v_lshlrev_b32_e32 v1, 6, v1
	v_lshlrev_b32_e32 v7, 10, v75
	v_and_b32_e32 v6, 0x3800, v6
	s_delay_alu instid0(VALU_DEP_4) | instskip(NEXT) | instid1(VALU_DEP_2)
	v_lshlrev_b64 v[2:3], 1, v[2:3]
	v_or3_b32 v1, v6, v7, v1
	s_add_u32 s3, s8, s10
	s_addc_u32 s7, s9, s11
	s_delay_alu instid0(VALU_DEP_2) | instskip(NEXT) | instid1(VALU_DEP_3)
	v_add_co_u32 v2, vcc_lo, s3, v2
	v_add_co_ci_u32_e32 v3, vcc_lo, s7, v3, vcc_lo
	s_delay_alu instid0(VALU_DEP_2) | instskip(NEXT) | instid1(VALU_DEP_2)
	v_add_co_u32 v2, vcc_lo, v2, v73
	v_add_co_ci_u32_e32 v3, vcc_lo, 0, v3, vcc_lo
	global_load_b128 v[2:5], v[2:3], off
	s_waitcnt vmcnt(0)
	ds_store_b128 v1, v[2:5]
.LBB1412_10:
	s_or_b32 exec_lo, exec_lo, s6
	v_and_b32_e32 v1, 0xef, v0
	s_waitcnt lgkmcnt(0)
	s_add_i32 s3, s24, 15
	s_clause 0x1
	s_load_b32 s6, s[0:1], 0x38
	s_load_b32 s19, s[0:1], 0x1c
	s_ashr_i32 s7, s3, 31
	v_add_nc_u32_e32 v1, s12, v1
	s_lshr_b32 s7, s7, 28
	s_waitcnt lgkmcnt(0)
	s_add_i32 s3, s3, s7
	s_barrier
	v_ashrrev_i32_e32 v2, 31, v1
	v_or_b32_e32 v3, 16, v1
	s_ashr_i32 s3, s3, 4
	v_cmp_gt_i32_e32 vcc_lo, s24, v1
	s_add_i32 s3, s3, -1
	v_lshrrev_b32_e32 v2, 28, v2
	buffer_gl0_inv
	s_mul_i32 s27, s15, s18
	v_add_nc_u32_e32 v4, v1, v2
	s_mul_i32 s6, s34, s6
	s_delay_alu instid0(SALU_CYCLE_1) | instskip(NEXT) | instid1(VALU_DEP_1)
	s_ashr_i32 s7, s6, 31
	v_ashrrev_i32_e32 v4, 4, v4
	v_add_nc_u32_e32 v2, v3, v2
	s_lshl_b64 s[6:7], s[6:7], 2
	s_delay_alu instid0(SALU_CYCLE_1) | instskip(NEXT) | instid1(VALU_DEP_2)
	s_add_u32 s26, s4, s6
	v_cndmask_b32_e32 v1, s3, v4, vcc_lo
	s_delay_alu instid0(VALU_DEP_2)
	v_ashrrev_i32_e32 v2, 4, v2
	v_cmp_gt_i32_e32 vcc_lo, s24, v3
	s_addc_u32 s25, s5, s7
	s_ashr_i32 s28, s27, 31
	s_add_u32 s13, s20, s27
	s_addc_u32 s15, s21, s28
	v_cndmask_b32_e32 v3, s3, v2, vcc_lo
	v_ashrrev_i32_e32 v2, 31, v1
	s_lshl_b32 s4, s14, 4
	s_delay_alu instid0(SALU_CYCLE_1) | instskip(NEXT) | instid1(VALU_DEP_2)
	s_ashr_i32 s5, s4, 31
	v_ashrrev_i32_e32 v4, 31, v3
	s_delay_alu instid0(VALU_DEP_2) | instskip(SKIP_1) | instid1(SALU_CYCLE_1)
	v_lshlrev_b64 v[1:2], 2, v[1:2]
	s_lshl_b64 s[4:5], s[4:5], 2
	s_add_u32 s4, s26, s4
	s_delay_alu instid0(VALU_DEP_2) | instskip(SKIP_1) | instid1(VALU_DEP_2)
	v_lshlrev_b64 v[3:4], 2, v[3:4]
	s_addc_u32 s5, s25, s5
	v_add_co_u32 v1, vcc_lo, s26, v1
	v_add_co_ci_u32_e32 v2, vcc_lo, s25, v2, vcc_lo
	s_delay_alu instid0(VALU_DEP_3) | instskip(NEXT) | instid1(VALU_DEP_4)
	v_add_co_u32 v3, vcc_lo, s26, v3
	v_add_co_ci_u32_e32 v4, vcc_lo, s25, v4, vcc_lo
	s_clause 0x1
	global_load_b32 v5, v[1:2], off
	global_load_b32 v7, v[3:4], off
	s_or_b32 s6, s12, 32
	v_lshlrev_b32_e32 v1, 4, v0
	s_ashr_i32 s7, s6, 4
	s_cmp_lt_i32 s6, s24
	s_cselect_b32 s6, s7, s3
	s_delay_alu instid0(VALU_DEP_1) | instskip(SKIP_1) | instid1(SALU_CYCLE_1)
	v_and_b32_e32 v1, 0xf0, v1
	s_ashr_i32 s7, s6, 31
	s_lshl_b64 s[6:7], s[6:7], 2
	s_delay_alu instid0(SALU_CYCLE_1)
	s_add_u32 s6, s26, s6
	s_addc_u32 s7, s25, s7
	s_or_b32 s8, s12, 64
	v_add_co_u32 v1, s13, s13, v1
	s_ashr_i32 s9, s8, 4
	s_cmp_lt_i32 s8, s24
	v_add_co_ci_u32_e64 v2, null, s15, 0, s13
	s_cselect_b32 s8, s9, s3
	s_delay_alu instid0(SALU_CYCLE_1) | instskip(NEXT) | instid1(SALU_CYCLE_1)
	s_ashr_i32 s9, s8, 31
	s_lshl_b64 s[8:9], s[8:9], 2
	s_delay_alu instid0(SALU_CYCLE_1) | instskip(SKIP_2) | instid1(SALU_CYCLE_1)
	s_add_u32 s8, s26, s8
	s_addc_u32 s9, s25, s9
	s_or_b32 s10, s12, 0x60
	s_ashr_i32 s11, s10, 4
	s_cmp_lt_i32 s10, s24
	s_cselect_b32 s10, s11, s3
	s_delay_alu instid0(SALU_CYCLE_1) | instskip(NEXT) | instid1(SALU_CYCLE_1)
	s_ashr_i32 s11, s10, 31
	s_lshl_b64 s[10:11], s[10:11], 2
	s_delay_alu instid0(SALU_CYCLE_1) | instskip(SKIP_2) | instid1(SALU_CYCLE_1)
	s_add_u32 s10, s26, s10
	s_addc_u32 s11, s25, s11
	s_or_b32 s16, s12, 0x80
	s_ashr_i32 s18, s16, 4
	s_cmp_lt_i32 s16, s24
	;; [unrolled: 10-line block ×3, first 2 shown]
	s_cselect_b32 s20, s18, s3
	s_delay_alu instid0(SALU_CYCLE_1) | instskip(NEXT) | instid1(SALU_CYCLE_1)
	s_ashr_i32 s21, s20, 31
	s_lshl_b64 s[20:21], s[20:21], 2
	s_delay_alu instid0(SALU_CYCLE_1)
	s_add_u32 s38, s26, s20
	s_addc_u32 s39, s25, s21
	s_clause 0x5
	s_load_b32 s21, s[4:5], 0x0
	s_load_b32 s13, s[6:7], 0x0
	;; [unrolled: 1-line block ×6, first 2 shown]
	s_or_b32 s9, s12, 0xc0
	s_mov_b32 s4, 0
	s_ashr_i32 s10, s9, 4
	s_cmp_lt_i32 s9, s24
	s_mov_b32 s11, s4
	s_cselect_b32 s36, s10, s3
	s_mov_b32 s5, s4
	s_ashr_i32 s37, s36, 31
	s_mov_b32 s6, s4
	s_lshl_b64 s[36:37], s[36:37], 2
	s_mov_b32 s7, s4
	s_add_u32 s36, s26, s36
	s_addc_u32 s37, s25, s37
	s_or_b32 s29, s12, 0xe0
	s_mov_b32 s8, s4
	s_ashr_i32 s30, s29, 4
	s_mov_b32 s9, s4
	s_mov_b32 s10, s4
	s_cmp_lt_i32 s29, s24
	v_dual_mov_b32 v107, s11 :: v_dual_mov_b32 v100, s4
	v_mov_b32_e32 v106, s10
	v_dual_mov_b32 v104, s8 :: v_dual_mov_b32 v103, s7
	v_dual_mov_b32 v102, s6 :: v_dual_mov_b32 v101, s5
	s_waitcnt vmcnt(1)
	v_mad_i64_i32 v[3:4], null, v5, s17, v[1:2]
	s_waitcnt vmcnt(0)
	v_mad_i64_i32 v[5:6], null, v7, s17, v[1:2]
	v_mul_lo_u16 v1, v65, 37
	v_lshlrev_b32_e32 v2, 4, v65
	s_clause 0x7
	global_load_b128 v[49:52], v[3:4], off
	global_load_b128 v[53:56], v[3:4], off offset:256
	global_load_b128 v[76:79], v[5:6], off
	global_load_b128 v[80:83], v[5:6], off offset:256
	global_load_b128 v[84:87], v[3:4], off offset:512
	;; [unrolled: 1-line block ×5, first 2 shown]
	v_lshrrev_b16 v1, 8, v1
	v_lshl_or_b32 v2, v66, 8, v2
	s_delay_alu instid0(VALU_DEP_2) | instskip(NEXT) | instid1(VALU_DEP_1)
	v_mul_lo_u16 v1, v1, 7
	v_sub_nc_u16 v1, v65, v1
	s_delay_alu instid0(VALU_DEP_1)
	v_and_b32_e32 v1, 0xff, v1
	v_mov_b32_e32 v105, s9
	s_cselect_b32 s4, s30, s3
	s_load_b32 s3, s[36:37], 0x0
	s_ashr_i32 s5, s4, 31
	v_lshlrev_b32_e32 v70, 6, v1
	s_lshl_b64 s[4:5], s[4:5], 2
	ds_load_b128 v[108:111], v70
	ds_load_b128 v[112:115], v70 offset:1024
	s_add_u32 s4, s26, s4
	s_addc_u32 s5, s25, s5
	s_add_u32 s6, s22, s27
	s_load_b32 s4, s[4:5], 0x0
	s_addc_u32 s7, s23, s28
	v_add_co_u32 v9, s6, s6, v2
	s_delay_alu instid0(VALU_DEP_1) | instskip(SKIP_1) | instid1(VALU_DEP_1)
	v_add_co_ci_u32_e64 v10, null, s7, 0, s6
	s_waitcnt lgkmcnt(0)
	v_mad_i64_i32 v[1:2], null, s21, s17, v[9:10]
	v_mad_i64_i32 v[3:4], null, s13, s17, v[9:10]
	;; [unrolled: 1-line block ×7, first 2 shown]
	s_clause 0x9
	global_load_b128 v[57:60], v[1:2], off
	global_load_b128 v[61:64], v[1:2], off offset:16
	global_load_b128 v[41:44], v[3:4], off
	global_load_b128 v[45:48], v[3:4], off offset:16
	;; [unrolled: 2-line block ×5, first 2 shown]
	v_mad_i64_i32 v[68:69], null, s4, s17, v[9:10]
	s_clause 0x3
	global_load_b128 v[9:12], v[13:14], off
	global_load_b128 v[13:16], v[13:14], off offset:16
	global_load_b128 v[17:20], v[21:22], off
	global_load_b128 v[21:24], v[21:22], off offset:16
	s_waitcnt vmcnt(20)
	v_wmma_f32_16x16x16_bf16 v[116:123], v[49:56], v[108:115], v[100:107]
	s_clause 0x1
	global_load_b128 v[49:52], v[68:69], off
	global_load_b128 v[53:56], v[68:69], off offset:16
	v_and_b32_e32 v68, 0xe0, v0
	v_mbcnt_lo_u32_b32 v69, -1, 0
	s_delay_alu instid0(VALU_DEP_2)
	v_add_nc_u32_e32 v68, s12, v68
	s_waitcnt vmcnt(20)
	v_wmma_f32_16x16x16_bf16 v[100:107], v[76:83], v[108:115], v[100:107]
	ds_load_b128 v[76:79], v70 offset:2048
	ds_load_b128 v[80:83], v70 offset:3072
	v_xor_b32_e32 v70, 16, v69
	s_waitcnt vmcnt(0) lgkmcnt(0)
	v_or_b32_e32 v68, v68, v74
	s_barrier
	buffer_gl0_inv
	v_cmp_gt_i32_e32 vcc_lo, 32, v70
	v_or_b32_e32 v71, 4, v68
	v_or_b32_e32 v72, 6, v68
	v_cmp_gt_i32_e64 s3, s24, v68
	v_or_b32_e32 v108, 8, v68
	v_or_b32_e32 v109, 10, v68
	v_cmp_gt_i32_e64 s4, s24, v71
	v_cmp_gt_i32_e64 s5, s24, v72
	s_delay_alu instid0(VALU_DEP_4) | instskip(NEXT) | instid1(VALU_DEP_4)
	v_cmp_gt_i32_e64 s6, s24, v108
	v_cmp_gt_i32_e64 s7, s24, v109
	v_wmma_f32_16x16x16_bf16 v[116:123], v[84:91], v[76:83], v[116:123]
	v_cndmask_b32_e32 v69, v69, v70, vcc_lo
	v_or_b32_e32 v70, 2, v68
	v_wmma_f32_16x16x16_bf16 v[100:107], v[92:99], v[76:83], v[100:107]
	v_or_b32_e32 v89, 22, v68
	v_dual_mul_f32 v80, s19, v121 :: v_dual_mul_f32 v81, s19, v120
	v_dual_mul_f32 v92, s19, v117 :: v_dual_mul_f32 v93, s19, v116
	s_delay_alu instid0(VALU_DEP_4)
	v_mul_f32_e32 v96, s19, v105
	v_cmp_gt_i32_e32 vcc_lo, s24, v70
	v_dual_mul_f32 v79, s19, v122 :: v_dual_mul_f32 v82, s19, v119
	v_dual_mul_f32 v83, s19, v118 :: v_dual_mul_f32 v94, s19, v107
	v_cndmask_b32_e64 v93, 0xff7fffff, v93, s3
	v_cndmask_b32_e32 v92, 0xff7fffff, v92, vcc_lo
	v_or_b32_e32 v84, 12, v68
	v_or_b32_e32 v85, 14, v68
	v_cndmask_b32_e64 v71, 0xff7fffff, v83, s4
	v_cndmask_b32_e64 v72, 0xff7fffff, v82, s5
	v_cmp_gt_i32_e64 s13, s24, v89
	v_lshlrev_b32_e32 v89, 2, v69
	v_max3_f32 v82, v93, 0xff7fffff, v92
	v_or_b32_e32 v86, 16, v68
	v_or_b32_e32 v87, 18, v68
	v_mul_f32_e32 v78, s19, v123
	v_cndmask_b32_e64 v81, 0xff7fffff, v81, s6
	v_cndmask_b32_e64 v80, 0xff7fffff, v80, s7
	v_max3_f32 v71, v82, v71, v72
	v_cmp_gt_i32_e64 s8, s24, v84
	v_cmp_gt_i32_e64 s9, s24, v85
	v_or_b32_e32 v88, 20, v68
	v_or_b32_e32 v90, 24, v68
	;; [unrolled: 1-line block ×5, first 2 shown]
	v_dual_mul_f32 v97, s19, v104 :: v_dual_mul_f32 v70, s19, v101
	v_dual_mul_f32 v99, s19, v102 :: v_dual_mul_f32 v68, s19, v100
	v_cndmask_b32_e64 v72, 0xff7fffff, v79, s8
	v_cndmask_b32_e64 v78, 0xff7fffff, v78, s9
	v_max3_f32 v71, v71, v81, v80
	v_cmp_gt_i32_e64 s10, s24, v86
	v_cmp_gt_i32_e64 s11, s24, v87
	v_dual_mul_f32 v95, s19, v106 :: v_dual_mul_f32 v98, s19, v103
	s_delay_alu instid0(VALU_DEP_4) | instskip(NEXT) | instid1(VALU_DEP_4)
	v_max3_f32 v71, v71, v72, v78
	v_cndmask_b32_e64 v68, 0xff7fffff, v68, s10
	s_delay_alu instid0(VALU_DEP_4)
	v_cndmask_b32_e64 v70, 0xff7fffff, v70, s11
	v_cmp_gt_i32_e64 s12, s24, v88
	v_cndmask_b32_e64 v78, 0xff7fffff, v98, s13
	v_cmp_gt_i32_e64 s15, s24, v90
	v_cmp_gt_i32_e64 s16, s24, v91
	v_max3_f32 v68, v71, v68, v70
	v_cndmask_b32_e64 v72, 0xff7fffff, v99, s12
	v_cmp_gt_i32_e64 s17, s24, v76
	v_cndmask_b32_e64 v70, 0xff7fffff, v97, s15
	v_cndmask_b32_e64 v71, 0xff7fffff, v96, s16
	v_cmp_gt_i32_e64 s18, s24, v77
	v_max3_f32 v68, v68, v72, v78
	v_cndmask_b32_e64 v72, 0xff7fffff, v95, s17
	s_delay_alu instid0(VALU_DEP_3) | instskip(NEXT) | instid1(VALU_DEP_3)
	v_cndmask_b32_e64 v76, 0xff7fffff, v94, s18
	v_max3_f32 v68, v68, v70, v71
	s_delay_alu instid0(VALU_DEP_1) | instskip(SKIP_3) | instid1(VALU_DEP_1)
	v_max3_f32 v68, v68, v72, v76
	ds_bpermute_b32 v69, v89, v68
	s_waitcnt lgkmcnt(0)
	v_max_f32_e32 v69, v69, v69
	v_max_f32_e32 v68, v68, v69
	s_delay_alu instid0(VALU_DEP_1) | instskip(NEXT) | instid1(VALU_DEP_1)
	v_fma_f32 v71, s19, v118, -v68
	v_mul_f32_e32 v71, 0x3fb8aa3b, v71
	v_fma_f32 v70, s19, v117, -v68
	v_fma_f32 v69, s19, v116, -v68
	;; [unrolled: 1-line block ×5, first 2 shown]
	s_delay_alu instid0(VALU_DEP_4) | instskip(SKIP_1) | instid1(VALU_DEP_3)
	v_dual_mul_f32 v70, 0x3fb8aa3b, v70 :: v_dual_mul_f32 v69, 0x3fb8aa3b, v69
	v_exp_f32_e32 v71, v71
	v_mul_f32_e32 v72, 0x3fb8aa3b, v72
	v_fma_f32 v81, s19, v105, -v68
	s_delay_alu instid0(VALU_DEP_3)
	v_exp_f32_e32 v70, v70
	v_mul_f32_e32 v77, 0x3fb8aa3b, v76
	v_exp_f32_e32 v69, v69
	v_exp_f32_e32 v72, v72
	v_mul_f32_e32 v81, 0x3fb8aa3b, v81
	v_cndmask_b32_e64 v83, 0, v71, s4
	v_fma_f32 v71, s19, v123, -v68
	s_delay_alu instid0(VALU_DEP_3) | instskip(SKIP_4) | instid1(TRANS32_DEP_3)
	v_exp_f32_e32 v81, v81
	v_cndmask_b32_e32 v76, 0, v70, vcc_lo
	v_exp_f32_e32 v77, v77
	v_cndmask_b32_e64 v80, 0, v69, s3
	v_fma_f32 v69, s19, v121, -v68
	v_cndmask_b32_e64 v85, 0, v72, s5
	v_mul_f32_e32 v71, 0x3fb8aa3b, v71
	v_fma_f32 v72, s19, v100, -v68
	s_delay_alu instid0(VALU_DEP_4) | instskip(SKIP_1) | instid1(VALU_DEP_4)
	v_dual_add_f32 v70, 0, v80 :: v_dual_mul_f32 v69, 0x3fb8aa3b, v69
	v_cmp_gt_u32_e64 s3, 16, v67
	v_exp_f32_e32 v71, v71
	s_delay_alu instid0(TRANS32_DEP_2) | instskip(SKIP_4) | instid1(VALU_DEP_3)
	v_cndmask_b32_e64 v86, 0, v77, s6
	v_fma_f32 v77, s19, v101, -v68
	v_mul_f32_e32 v78, 0x3fb8aa3b, v78
	v_add_f32_e32 v70, v70, v76
	v_exp_f32_e32 v69, v69
	v_mul_f32_e32 v77, 0x3fb8aa3b, v77
	s_delay_alu instid0(VALU_DEP_3) | instskip(NEXT) | instid1(TRANS32_DEP_3)
	v_exp_f32_e32 v78, v78
	v_cndmask_b32_e64 v88, 0, v71, s9
	v_fma_f32 v71, s19, v104, -v68
	s_delay_alu instid0(VALU_DEP_3) | instskip(NEXT) | instid1(TRANS32_DEP_3)
	v_exp_f32_e32 v77, v77
	v_cndmask_b32_e64 v87, 0, v69, s7
	s_delay_alu instid0(VALU_DEP_2)
	v_mul_f32_e32 v71, 0x3fb8aa3b, v71
	s_waitcnt_depctr 0xfff
	v_cndmask_b32_e64 v84, 0, v78, s8
	v_add_f32_e32 v70, v70, v83
	v_fma_f32 v78, s19, v103, -v68
	v_exp_f32_e32 v82, v71
	s_delay_alu instid0(VALU_DEP_2) | instskip(SKIP_1) | instid1(VALU_DEP_3)
	v_add_f32_e32 v70, v70, v85
	v_mul_f32_e32 v72, 0x3fb8aa3b, v72
	v_mul_f32_e32 v78, 0x3fb8aa3b, v78
	s_delay_alu instid0(VALU_DEP_3) | instskip(SKIP_1) | instid1(VALU_DEP_4)
	v_add_f32_e32 v69, v70, v86
	v_fma_f32 v70, s19, v102, -v68
	v_exp_f32_e32 v72, v72
	s_delay_alu instid0(VALU_DEP_3) | instskip(NEXT) | instid1(VALU_DEP_1)
	v_exp_f32_e32 v78, v78
	v_dual_add_f32 v69, v69, v87 :: v_dual_mul_f32 v70, 0x3fb8aa3b, v70
	s_delay_alu instid0(VALU_DEP_1) | instskip(NEXT) | instid1(VALU_DEP_2)
	v_add_f32_e32 v69, v69, v84
	v_exp_f32_e32 v79, v70
	s_delay_alu instid0(TRANS32_DEP_3) | instskip(NEXT) | instid1(VALU_DEP_2)
	v_cndmask_b32_e64 v70, 0, v72, s10
	v_add_f32_e32 v72, v69, v88
	v_cndmask_b32_e64 v69, 0, v77, s11
	v_fma_f32 v77, s19, v106, -v68
	s_waitcnt_depctr 0xfff
	v_cndmask_b32_e64 v71, 0, v79, s12
	v_dual_mul_f32 v77, 0x3fb8aa3b, v77 :: v_dual_add_f32 v72, v72, v70
	s_delay_alu instid0(VALU_DEP_1) | instskip(NEXT) | instid1(VALU_DEP_1)
	v_exp_f32_e32 v90, v77
	v_add_f32_e32 v79, v72, v69
	v_cndmask_b32_e64 v72, 0, v78, s13
	v_cndmask_b32_e64 v77, 0, v82, s15
	s_delay_alu instid0(VALU_DEP_3) | instskip(SKIP_1) | instid1(VALU_DEP_1)
	v_add_f32_e32 v78, v79, v71
	v_fma_f32 v79, s19, v107, -v68
	v_dual_add_f32 v82, v78, v72 :: v_dual_mul_f32 v79, 0x3fb8aa3b, v79
	v_cndmask_b32_e64 v78, 0, v81, s16
	s_delay_alu instid0(VALU_DEP_2) | instskip(NEXT) | instid1(VALU_DEP_3)
	v_add_f32_e32 v81, v82, v77
	v_exp_f32_e32 v82, v79
	v_cndmask_b32_e64 v79, 0, v90, s17
	s_delay_alu instid0(VALU_DEP_2) | instskip(NEXT) | instid1(VALU_DEP_1)
	v_add_f32_e32 v81, v81, v78
	v_add_f32_e32 v90, v81, v79
	s_waitcnt_depctr 0xfff
	v_cndmask_b32_e64 v81, 0, v82, s18
	s_delay_alu instid0(VALU_DEP_1)
	v_add_f32_e32 v82, v90, v81
	ds_bpermute_b32 v89, v89, v82
	s_and_saveexec_b32 s4, s3
	s_cbranch_execz .LBB1412_12
; %bb.11:
	v_mul_u32_u24_e32 v67, 0x44, v66
	s_delay_alu instid0(VALU_DEP_1) | instskip(SKIP_1) | instid1(VALU_DEP_1)
	v_lshl_add_u32 v67, v65, 2, v67
	s_waitcnt lgkmcnt(0)
	v_dual_add_f32 v82, v82, v89 :: v_dual_add_nc_u32 v67, 0x4000, v67
	ds_store_2addr_b32 v67, v68, v82 offset1:136
.LBB1412_12:
	s_or_b32 exec_lo, exec_lo, s4
	v_lshlrev_b32_e32 v67, 2, v65
	s_waitcnt lgkmcnt(0)
	s_barrier
	buffer_gl0_inv
	v_cmp_eq_u32_e32 vcc_lo, 1, v66
	v_add_nc_u32_e32 v82, 0x4000, v67
	v_cmp_eq_u32_e64 s4, 2, v66
	v_cmp_eq_u32_e64 s6, 7, v66
	ds_load_2addr_b32 v[89:90], v82 offset1:17
	ds_load_2addr_b32 v[91:92], v82 offset0:34 offset1:51
	ds_load_2addr_b32 v[93:94], v82 offset0:68 offset1:85
	;; [unrolled: 1-line block ×4, first 2 shown]
	s_waitcnt lgkmcnt(4)
	v_max3_f32 v67, v89, 0xff7fffff, v90
	s_waitcnt lgkmcnt(3)
	s_delay_alu instid0(VALU_DEP_1) | instskip(SKIP_1) | instid1(VALU_DEP_1)
	v_max3_f32 v67, v67, v91, v92
	s_waitcnt lgkmcnt(2)
	v_max3_f32 v67, v67, v93, v94
	s_waitcnt lgkmcnt(1)
	s_delay_alu instid0(VALU_DEP_1) | instskip(NEXT) | instid1(VALU_DEP_1)
	v_max3_f32 v67, v67, v95, v96
	v_sub_f32_e32 v93, v93, v67
	s_delay_alu instid0(VALU_DEP_1) | instskip(NEXT) | instid1(VALU_DEP_1)
	v_dual_sub_f32 v68, v89, v67 :: v_dual_mul_f32 v103, 0x3fb8aa3b, v93
	v_mul_f32_e32 v68, 0x3fb8aa3b, v68
	s_delay_alu instid0(VALU_DEP_1)
	v_exp_f32_e32 v100, v68
	v_sub_f32_e32 v68, v92, v67
	v_sub_f32_e32 v99, v90, v67
	ds_load_2addr_b32 v[89:90], v82 offset0:170 offset1:187
	v_dual_mul_f32 v102, 0x3fb8aa3b, v68 :: v_dual_mul_f32 v99, 0x3fb8aa3b, v99
	s_waitcnt lgkmcnt(1)
	v_fma_f32 v68, v100, v97, 0
	s_delay_alu instid0(VALU_DEP_2) | instskip(NEXT) | instid1(VALU_DEP_2)
	v_exp_f32_e32 v102, v102
	v_exp_f32_e32 v99, v99
	s_waitcnt_depctr 0xfff
	v_fmac_f32_e32 v68, v99, v98
	v_sub_f32_e32 v91, v91, v67
	s_delay_alu instid0(VALU_DEP_1)
	v_mul_f32_e32 v101, 0x3fb8aa3b, v91
	ds_load_2addr_b32 v[91:92], v82 offset0:204 offset1:221
	v_sub_f32_e32 v97, v94, v67
	ds_load_2addr_b32 v[93:94], v82 offset0:238 offset1:255
	s_waitcnt lgkmcnt(0)
	v_exp_f32_e32 v101, v101
	s_barrier
	buffer_gl0_inv
	v_dual_fmac_f32 v68, v101, v89 :: v_dual_sub_f32 v89, v96, v67
	v_dual_sub_f32 v82, v95, v67 :: v_dual_mul_f32 v95, 0x3fb8aa3b, v97
	v_exp_f32_e32 v97, v103
	s_delay_alu instid0(VALU_DEP_2) | instskip(NEXT) | instid1(VALU_DEP_2)
	v_dual_fmac_f32 v68, v102, v90 :: v_dual_mul_f32 v89, 0x3fb8aa3b, v89
	v_mul_f32_e32 v82, 0x3fb8aa3b, v82
	s_delay_alu instid0(VALU_DEP_3) | instskip(NEXT) | instid1(VALU_DEP_2)
	v_exp_f32_e32 v95, v95
	v_exp_f32_e32 v89, v89
	s_delay_alu instid0(VALU_DEP_1)
	v_exp_f32_e32 v82, v82
	v_fmac_f32_e32 v68, v97, v91
	s_delay_alu instid0(TRANS32_DEP_3) | instid1(VALU_DEP_1)
	v_fmac_f32_e32 v68, v95, v92
	s_waitcnt_depctr 0xfff
	v_fmac_f32_e32 v68, v82, v93
	s_delay_alu instid0(VALU_DEP_1) | instskip(NEXT) | instid1(VALU_DEP_1)
	v_fmac_f32_e32 v68, v89, v94
	v_add_f32_e32 v90, 0x358637bd, v68
	s_delay_alu instid0(VALU_DEP_1) | instskip(NEXT) | instid1(VALU_DEP_1)
	v_div_scale_f32 v91, null, v90, v90, 1.0
	v_rcp_f32_e32 v92, v91
	s_waitcnt_depctr 0xfff
	v_fma_f32 v93, -v91, v92, 1.0
	s_delay_alu instid0(VALU_DEP_1) | instskip(SKIP_1) | instid1(VALU_DEP_2)
	v_dual_fmac_f32 v92, v93, v92 :: v_dual_cndmask_b32 v93, v100, v99
	v_cmp_eq_u32_e32 vcc_lo, 3, v66
	v_cndmask_b32_e64 v93, v93, v101, s4
	v_cmp_eq_u32_e64 s4, 4, v66
	s_delay_alu instid0(VALU_DEP_2) | instskip(SKIP_1) | instid1(VALU_DEP_2)
	v_cndmask_b32_e32 v93, v93, v102, vcc_lo
	v_cmp_eq_u32_e32 vcc_lo, 5, v66
	v_cndmask_b32_e64 v93, v93, v97, s4
	v_cmp_eq_u32_e64 s4, 6, v66
	s_delay_alu instid0(VALU_DEP_2) | instskip(SKIP_1) | instid1(VALU_DEP_1)
	v_cndmask_b32_e32 v93, v93, v95, vcc_lo
	v_div_scale_f32 v94, s5, 1.0, v90, 1.0
	s_mov_b32 vcc_lo, s5
	s_delay_alu instid0(VALU_DEP_2) | instskip(NEXT) | instid1(VALU_DEP_2)
	v_cndmask_b32_e64 v82, v93, v82, s4
	v_mul_f32_e32 v96, v94, v92
	s_mov_b32 s4, exec_lo
	s_delay_alu instid0(VALU_DEP_2) | instskip(NEXT) | instid1(VALU_DEP_2)
	v_cndmask_b32_e64 v82, v82, v89, s6
	v_fma_f32 v98, -v91, v96, v94
	s_delay_alu instid0(VALU_DEP_1) | instskip(NEXT) | instid1(VALU_DEP_1)
	v_fmac_f32_e32 v96, v98, v92
	v_fma_f32 v91, -v91, v96, v94
	s_delay_alu instid0(VALU_DEP_1) | instskip(NEXT) | instid1(VALU_DEP_1)
	v_div_fmas_f32 v91, v91, v92, v96
	v_div_fixup_f32 v90, v91, v90, 1.0
	s_delay_alu instid0(VALU_DEP_1) | instskip(NEXT) | instid1(VALU_DEP_1)
	v_mul_f32_e32 v82, v82, v90
	v_mul_f32_e32 v87, v82, v87
	;; [unrolled: 1-line block ×7, first 2 shown]
	v_dual_mul_f32 v86, v82, v83 :: v_dual_and_b32 v91, 0x7f800000, v90
	v_mul_f32_e32 v85, v82, v76
                                        ; implicit-def: $vgpr76
	s_delay_alu instid0(VALU_DEP_2)
	v_cmpx_ne_u32_e32 0x7f800000, v91
	s_xor_b32 s4, exec_lo, s4
; %bb.13:
	v_bfe_u32 v76, v90, 16, 1
	s_delay_alu instid0(VALU_DEP_1)
	v_add3_u32 v76, v90, v76, 0x7fff
                                        ; implicit-def: $vgpr90
; %bb.14:
	s_and_not1_saveexec_b32 s4, s4
; %bb.15:
	v_and_b32_e32 v76, 0xffff, v90
	v_or_b32_e32 v83, 0x10000, v90
	s_delay_alu instid0(VALU_DEP_2) | instskip(NEXT) | instid1(VALU_DEP_2)
	v_cmp_eq_u32_e32 vcc_lo, 0, v76
	v_cndmask_b32_e32 v76, v83, v90, vcc_lo
; %bb.16:
	s_or_b32 exec_lo, exec_lo, s4
	v_and_b32_e32 v83, 0x7f800000, v85
	s_delay_alu instid0(VALU_DEP_1) | instskip(SKIP_1) | instid1(SALU_CYCLE_1)
	v_cmp_ne_u32_e32 vcc_lo, 0x7f800000, v83
                                        ; implicit-def: $vgpr83
	s_and_saveexec_b32 s4, vcc_lo
	s_xor_b32 s4, exec_lo, s4
; %bb.17:
	v_bfe_u32 v83, v85, 16, 1
	s_delay_alu instid0(VALU_DEP_1)
	v_add3_u32 v83, v85, v83, 0x7fff
                                        ; implicit-def: $vgpr85
; %bb.18:
	s_and_not1_saveexec_b32 s4, s4
; %bb.19:
	v_and_b32_e32 v83, 0xffff, v85
	v_or_b32_e32 v90, 0x10000, v85
	s_delay_alu instid0(VALU_DEP_2) | instskip(NEXT) | instid1(VALU_DEP_2)
	v_cmp_eq_u32_e32 vcc_lo, 0, v83
	v_cndmask_b32_e32 v83, v90, v85, vcc_lo
; %bb.20:
	s_or_b32 exec_lo, exec_lo, s4
	v_and_b32_e32 v85, 0x7f800000, v86
	s_delay_alu instid0(VALU_DEP_1) | instskip(SKIP_1) | instid1(SALU_CYCLE_1)
	v_cmp_ne_u32_e32 vcc_lo, 0x7f800000, v85
                                        ; implicit-def: $vgpr85
	s_and_saveexec_b32 s4, vcc_lo
	s_xor_b32 s4, exec_lo, s4
; %bb.21:
	v_bfe_u32 v85, v86, 16, 1
	s_delay_alu instid0(VALU_DEP_1)
	v_add3_u32 v85, v86, v85, 0x7fff
                                        ; implicit-def: $vgpr86
; %bb.22:
	s_and_not1_saveexec_b32 s4, s4
; %bb.23:
	v_and_b32_e32 v85, 0xffff, v86
	v_or_b32_e32 v90, 0x10000, v86
	s_delay_alu instid0(VALU_DEP_2) | instskip(NEXT) | instid1(VALU_DEP_2)
	v_cmp_eq_u32_e32 vcc_lo, 0, v85
	v_cndmask_b32_e32 v85, v90, v86, vcc_lo
; %bb.24:
	s_or_b32 exec_lo, exec_lo, s4
	v_and_b32_e32 v86, 0x7f800000, v89
	s_delay_alu instid0(VALU_DEP_1) | instskip(SKIP_1) | instid1(SALU_CYCLE_1)
	v_cmp_ne_u32_e32 vcc_lo, 0x7f800000, v86
                                        ; implicit-def: $vgpr86
	s_and_saveexec_b32 s4, vcc_lo
	s_xor_b32 s4, exec_lo, s4
; %bb.25:
	v_bfe_u32 v86, v89, 16, 1
	s_delay_alu instid0(VALU_DEP_1)
	v_add3_u32 v86, v89, v86, 0x7fff
                                        ; implicit-def: $vgpr89
; %bb.26:
	s_and_not1_saveexec_b32 s4, s4
; %bb.27:
	v_and_b32_e32 v86, 0xffff, v89
	v_or_b32_e32 v90, 0x10000, v89
	s_delay_alu instid0(VALU_DEP_2) | instskip(NEXT) | instid1(VALU_DEP_2)
	v_cmp_eq_u32_e32 vcc_lo, 0, v86
	v_cndmask_b32_e32 v86, v90, v89, vcc_lo
; %bb.28:
	s_or_b32 exec_lo, exec_lo, s4
	v_and_b32_e32 v89, 0x7f800000, v88
	s_delay_alu instid0(VALU_DEP_1) | instskip(SKIP_1) | instid1(SALU_CYCLE_1)
	v_cmp_ne_u32_e32 vcc_lo, 0x7f800000, v89
                                        ; implicit-def: $vgpr89
	s_and_saveexec_b32 s4, vcc_lo
	s_xor_b32 s4, exec_lo, s4
; %bb.29:
	v_bfe_u32 v89, v88, 16, 1
	s_delay_alu instid0(VALU_DEP_1)
	v_add3_u32 v89, v88, v89, 0x7fff
                                        ; implicit-def: $vgpr88
; %bb.30:
	s_and_not1_saveexec_b32 s4, s4
; %bb.31:
	v_and_b32_e32 v89, 0xffff, v88
	v_or_b32_e32 v90, 0x10000, v88
	s_delay_alu instid0(VALU_DEP_2) | instskip(NEXT) | instid1(VALU_DEP_2)
	v_cmp_eq_u32_e32 vcc_lo, 0, v89
	v_cndmask_b32_e32 v89, v90, v88, vcc_lo
; %bb.32:
	s_or_b32 exec_lo, exec_lo, s4
	v_and_b32_e32 v88, 0x7f800000, v87
	s_delay_alu instid0(VALU_DEP_1) | instskip(SKIP_1) | instid1(SALU_CYCLE_1)
	v_cmp_ne_u32_e32 vcc_lo, 0x7f800000, v88
                                        ; implicit-def: $vgpr88
	s_and_saveexec_b32 s4, vcc_lo
	s_xor_b32 s4, exec_lo, s4
; %bb.33:
	v_bfe_u32 v88, v87, 16, 1
	s_delay_alu instid0(VALU_DEP_1)
	v_add3_u32 v88, v87, v88, 0x7fff
                                        ; implicit-def: $vgpr87
; %bb.34:
	s_and_not1_saveexec_b32 s4, s4
; %bb.35:
	v_and_b32_e32 v88, 0xffff, v87
	v_or_b32_e32 v90, 0x10000, v87
	s_delay_alu instid0(VALU_DEP_2) | instskip(NEXT) | instid1(VALU_DEP_2)
	v_cmp_eq_u32_e32 vcc_lo, 0, v88
	v_cndmask_b32_e32 v88, v90, v87, vcc_lo
; %bb.36:
	s_or_b32 exec_lo, exec_lo, s4
	v_and_b32_e32 v87, 0x7f800000, v84
	s_delay_alu instid0(VALU_DEP_1) | instskip(SKIP_1) | instid1(SALU_CYCLE_1)
	v_cmp_ne_u32_e32 vcc_lo, 0x7f800000, v87
                                        ; implicit-def: $vgpr87
	s_and_saveexec_b32 s4, vcc_lo
	s_xor_b32 s4, exec_lo, s4
; %bb.37:
	v_bfe_u32 v87, v84, 16, 1
	s_delay_alu instid0(VALU_DEP_1)
	v_add3_u32 v87, v84, v87, 0x7fff
                                        ; implicit-def: $vgpr84
; %bb.38:
	s_and_not1_saveexec_b32 s4, s4
; %bb.39:
	v_and_b32_e32 v87, 0xffff, v84
	v_or_b32_e32 v90, 0x10000, v84
	s_delay_alu instid0(VALU_DEP_2) | instskip(NEXT) | instid1(VALU_DEP_2)
	v_cmp_eq_u32_e32 vcc_lo, 0, v87
	v_cndmask_b32_e32 v87, v90, v84, vcc_lo
; %bb.40:
	s_or_b32 exec_lo, exec_lo, s4
	v_and_b32_e32 v84, 0x7f800000, v80
	s_delay_alu instid0(VALU_DEP_1) | instskip(SKIP_1) | instid1(SALU_CYCLE_1)
	v_cmp_ne_u32_e32 vcc_lo, 0x7f800000, v84
                                        ; implicit-def: $vgpr84
	s_and_saveexec_b32 s4, vcc_lo
	s_xor_b32 s4, exec_lo, s4
; %bb.41:
	v_bfe_u32 v84, v80, 16, 1
	s_delay_alu instid0(VALU_DEP_1)
	v_add3_u32 v84, v80, v84, 0x7fff
                                        ; implicit-def: $vgpr80
; %bb.42:
	s_and_not1_saveexec_b32 s4, s4
; %bb.43:
	v_and_b32_e32 v84, 0xffff, v80
	v_or_b32_e32 v90, 0x10000, v80
	s_delay_alu instid0(VALU_DEP_2) | instskip(NEXT) | instid1(VALU_DEP_2)
	v_cmp_eq_u32_e32 vcc_lo, 0, v84
	v_cndmask_b32_e32 v84, v90, v80, vcc_lo
; %bb.44:
	s_or_b32 exec_lo, exec_lo, s4
	s_load_b64 s[36:37], s[0:1], 0x94
	v_lshlrev_b32_e32 v91, 4, v74
	s_delay_alu instid0(VALU_DEP_2)
	v_perm_b32 v90, v84, v87, 0x7060302
	v_dual_mul_f32 v79, v82, v79 :: v_dual_lshlrev_b32 v80, 6, v65
	v_dual_mul_f32 v77, v82, v77 :: v_dual_lshlrev_b32 v92, 11, v66
	v_mul_f32_e32 v84, v82, v70
	v_perm_b32 v89, v88, v89, 0x7060302
	v_perm_b32 v88, v86, v85, 0x7060302
	;; [unrolled: 1-line block ×3, first 2 shown]
	v_mul_f32_e32 v70, v82, v81
	v_or3_b32 v76, v91, v92, v80
	v_dual_mul_f32 v78, v82, v78 :: v_dual_and_b32 v85, 0x7f800000, v84
	v_mul_f32_e32 v83, v82, v72
	v_mul_f32_e32 v81, v82, v71
	;; [unrolled: 1-line block ×3, first 2 shown]
	s_mov_b32 s4, exec_lo
	ds_store_b128 v76, v[87:90]
                                        ; implicit-def: $vgpr69
	v_cmpx_ne_u32_e32 0x7f800000, v85
	s_xor_b32 s4, exec_lo, s4
; %bb.45:
	v_bfe_u32 v69, v84, 16, 1
	s_delay_alu instid0(VALU_DEP_1)
	v_add3_u32 v69, v84, v69, 0x7fff
                                        ; implicit-def: $vgpr84
; %bb.46:
	s_and_not1_saveexec_b32 s4, s4
; %bb.47:
	v_and_b32_e32 v69, 0xffff, v84
	v_or_b32_e32 v71, 0x10000, v84
	s_delay_alu instid0(VALU_DEP_2) | instskip(NEXT) | instid1(VALU_DEP_2)
	v_cmp_eq_u32_e32 vcc_lo, 0, v69
	v_cndmask_b32_e32 v69, v71, v84, vcc_lo
; %bb.48:
	s_or_b32 exec_lo, exec_lo, s4
	v_and_b32_e32 v71, 0x7f800000, v72
	s_delay_alu instid0(VALU_DEP_1) | instskip(SKIP_1) | instid1(SALU_CYCLE_1)
	v_cmp_ne_u32_e32 vcc_lo, 0x7f800000, v71
                                        ; implicit-def: $vgpr71
	s_and_saveexec_b32 s4, vcc_lo
	s_xor_b32 s4, exec_lo, s4
; %bb.49:
	v_bfe_u32 v71, v72, 16, 1
	s_delay_alu instid0(VALU_DEP_1)
	v_add3_u32 v71, v72, v71, 0x7fff
                                        ; implicit-def: $vgpr72
; %bb.50:
	s_and_not1_saveexec_b32 s4, s4
; %bb.51:
	v_and_b32_e32 v71, 0xffff, v72
	v_or_b32_e32 v82, 0x10000, v72
	s_delay_alu instid0(VALU_DEP_2) | instskip(NEXT) | instid1(VALU_DEP_2)
	v_cmp_eq_u32_e32 vcc_lo, 0, v71
	v_cndmask_b32_e32 v71, v82, v72, vcc_lo
; %bb.52:
	s_or_b32 exec_lo, exec_lo, s4
	v_and_b32_e32 v72, 0x7f800000, v81
	s_delay_alu instid0(VALU_DEP_1) | instskip(SKIP_1) | instid1(SALU_CYCLE_1)
	v_cmp_ne_u32_e32 vcc_lo, 0x7f800000, v72
                                        ; implicit-def: $vgpr72
	s_and_saveexec_b32 s4, vcc_lo
	s_xor_b32 s4, exec_lo, s4
; %bb.53:
	v_bfe_u32 v72, v81, 16, 1
	s_delay_alu instid0(VALU_DEP_1)
	v_add3_u32 v72, v81, v72, 0x7fff
                                        ; implicit-def: $vgpr81
; %bb.54:
	s_and_not1_saveexec_b32 s4, s4
; %bb.55:
	v_and_b32_e32 v72, 0xffff, v81
	v_or_b32_e32 v82, 0x10000, v81
	s_delay_alu instid0(VALU_DEP_2) | instskip(NEXT) | instid1(VALU_DEP_2)
	v_cmp_eq_u32_e32 vcc_lo, 0, v72
	v_cndmask_b32_e32 v72, v82, v81, vcc_lo
; %bb.56:
	s_or_b32 exec_lo, exec_lo, s4
	v_and_b32_e32 v81, 0x7f800000, v83
	s_delay_alu instid0(VALU_DEP_1) | instskip(SKIP_1) | instid1(SALU_CYCLE_1)
	v_cmp_ne_u32_e32 vcc_lo, 0x7f800000, v81
                                        ; implicit-def: $vgpr81
	s_and_saveexec_b32 s4, vcc_lo
	s_xor_b32 s4, exec_lo, s4
; %bb.57:
	v_bfe_u32 v81, v83, 16, 1
	s_delay_alu instid0(VALU_DEP_1)
	v_add3_u32 v81, v83, v81, 0x7fff
                                        ; implicit-def: $vgpr83
; %bb.58:
	s_and_not1_saveexec_b32 s4, s4
; %bb.59:
	v_and_b32_e32 v81, 0xffff, v83
	v_or_b32_e32 v82, 0x10000, v83
	s_delay_alu instid0(VALU_DEP_2) | instskip(NEXT) | instid1(VALU_DEP_2)
	v_cmp_eq_u32_e32 vcc_lo, 0, v81
	v_cndmask_b32_e32 v81, v82, v83, vcc_lo
; %bb.60:
	s_or_b32 exec_lo, exec_lo, s4
	v_and_b32_e32 v82, 0x7f800000, v77
	s_delay_alu instid0(VALU_DEP_1) | instskip(SKIP_1) | instid1(SALU_CYCLE_1)
	v_cmp_ne_u32_e32 vcc_lo, 0x7f800000, v82
                                        ; implicit-def: $vgpr82
	s_and_saveexec_b32 s4, vcc_lo
	s_xor_b32 s4, exec_lo, s4
; %bb.61:
	v_bfe_u32 v82, v77, 16, 1
	s_delay_alu instid0(VALU_DEP_1)
	v_add3_u32 v82, v77, v82, 0x7fff
                                        ; implicit-def: $vgpr77
; %bb.62:
	s_and_not1_saveexec_b32 s4, s4
; %bb.63:
	v_and_b32_e32 v82, 0xffff, v77
	v_or_b32_e32 v83, 0x10000, v77
	s_delay_alu instid0(VALU_DEP_2) | instskip(NEXT) | instid1(VALU_DEP_2)
	v_cmp_eq_u32_e32 vcc_lo, 0, v82
	v_cndmask_b32_e32 v82, v83, v77, vcc_lo
; %bb.64:
	s_or_b32 exec_lo, exec_lo, s4
	v_and_b32_e32 v77, 0x7f800000, v78
	s_delay_alu instid0(VALU_DEP_1) | instskip(SKIP_1) | instid1(SALU_CYCLE_1)
	v_cmp_ne_u32_e32 vcc_lo, 0x7f800000, v77
                                        ; implicit-def: $vgpr77
	s_and_saveexec_b32 s4, vcc_lo
	s_xor_b32 s4, exec_lo, s4
; %bb.65:
	v_bfe_u32 v77, v78, 16, 1
	s_delay_alu instid0(VALU_DEP_1)
	v_add3_u32 v77, v78, v77, 0x7fff
                                        ; implicit-def: $vgpr78
; %bb.66:
	s_and_not1_saveexec_b32 s4, s4
; %bb.67:
	v_and_b32_e32 v77, 0xffff, v78
	v_or_b32_e32 v83, 0x10000, v78
	s_delay_alu instid0(VALU_DEP_2) | instskip(NEXT) | instid1(VALU_DEP_2)
	v_cmp_eq_u32_e32 vcc_lo, 0, v77
	v_cndmask_b32_e32 v77, v83, v78, vcc_lo
; %bb.68:
	s_or_b32 exec_lo, exec_lo, s4
	v_and_b32_e32 v78, 0x7f800000, v79
	s_delay_alu instid0(VALU_DEP_1) | instskip(SKIP_1) | instid1(SALU_CYCLE_1)
	v_cmp_ne_u32_e32 vcc_lo, 0x7f800000, v78
                                        ; implicit-def: $vgpr78
	s_and_saveexec_b32 s4, vcc_lo
	s_xor_b32 s4, exec_lo, s4
; %bb.69:
	v_bfe_u32 v78, v79, 16, 1
	s_delay_alu instid0(VALU_DEP_1)
	v_add3_u32 v78, v79, v78, 0x7fff
                                        ; implicit-def: $vgpr79
; %bb.70:
	s_and_not1_saveexec_b32 s4, s4
; %bb.71:
	v_and_b32_e32 v78, 0xffff, v79
	v_or_b32_e32 v83, 0x10000, v79
	s_delay_alu instid0(VALU_DEP_2) | instskip(NEXT) | instid1(VALU_DEP_2)
	v_cmp_eq_u32_e32 vcc_lo, 0, v78
	v_cndmask_b32_e32 v78, v83, v79, vcc_lo
; %bb.72:
	s_or_b32 exec_lo, exec_lo, s4
	v_and_b32_e32 v79, 0x7f800000, v70
	s_delay_alu instid0(VALU_DEP_1) | instskip(SKIP_1) | instid1(SALU_CYCLE_1)
	v_cmp_ne_u32_e32 vcc_lo, 0x7f800000, v79
                                        ; implicit-def: $vgpr79
	s_and_saveexec_b32 s4, vcc_lo
	s_xor_b32 s4, exec_lo, s4
; %bb.73:
	v_bfe_u32 v79, v70, 16, 1
	s_delay_alu instid0(VALU_DEP_1)
	v_add3_u32 v79, v70, v79, 0x7fff
                                        ; implicit-def: $vgpr70
; %bb.74:
	s_and_not1_saveexec_b32 s4, s4
; %bb.75:
	v_and_b32_e32 v79, 0xffff, v70
	v_or_b32_e32 v83, 0x10000, v70
	s_delay_alu instid0(VALU_DEP_2) | instskip(NEXT) | instid1(VALU_DEP_2)
	v_cmp_eq_u32_e32 vcc_lo, 0, v79
	v_cndmask_b32_e32 v79, v83, v70, vcc_lo
; %bb.76:
	s_or_b32 exec_lo, exec_lo, s4
	s_delay_alu instid0(VALU_DEP_1)
	v_perm_b32 v86, v79, v78, 0x7060302
	v_perm_b32 v85, v77, v82, 0x7060302
	;; [unrolled: 1-line block ×4, first 2 shown]
	v_lshl_or_b32 v82, v66, 11, v80
	ds_store_b128 v76, v[83:86] offset:1024
	s_waitcnt lgkmcnt(0)
	s_barrier
	buffer_gl0_inv
	ds_load_b128 v[69:72], v82
	ds_load_b128 v[83:86], v82 offset:16
	s_waitcnt lgkmcnt(1)
	v_lshrrev_b32_e32 v66, 16, v69
	s_waitcnt lgkmcnt(0)
	v_lshrrev_b32_e32 v91, 16, v83
	v_lshlrev_b32_e32 v78, 2, v74
	v_lshrrev_b32_e32 v95, 16, v70
	v_lshrrev_b32_e32 v98, 16, v84
	;; [unrolled: 1-line block ×4, first 2 shown]
	v_cmp_eq_u32_e32 vcc_lo, 1, v78
	v_lshrrev_b32_e32 v97, 16, v72
	v_lshrrev_b32_e32 v100, 16, v86
	v_cndmask_b32_e32 v87, v83, v91, vcc_lo
	v_or_b32_e32 v79, 1, v78
	v_cndmask_b32_e32 v81, v69, v66, vcc_lo
	v_cmp_eq_u32_e64 s5, 2, v78
	v_cmp_eq_u32_e64 s8, 3, v78
	;; [unrolled: 1-line block ×5, first 2 shown]
	v_cndmask_b32_e64 v81, v81, v70, s5
	v_cndmask_b32_e64 v87, v87, v84, s5
	v_cmp_eq_u32_e64 s9, 3, v79
	v_cndmask_b32_e64 v88, v69, v66, s4
	v_or_b32_e32 v77, 2, v78
	v_cndmask_b32_e64 v81, v81, v95, s8
	v_cndmask_b32_e64 v87, v87, v98, s8
	;; [unrolled: 1-line block ×4, first 2 shown]
	v_cmp_eq_u32_e64 s11, 5, v78
	v_cndmask_b32_e64 v81, v81, v71, s10
	v_cndmask_b32_e64 v87, v87, v85, s10
	v_cmp_eq_u32_e64 s12, 4, v79
	v_cndmask_b32_e64 v88, v88, v95, s9
	v_cmp_eq_u32_e64 s6, 1, v77
	v_cndmask_b32_e64 v89, v89, v84, s7
	v_cndmask_b32_e64 v81, v81, v96, s11
	v_cmp_eq_u32_e64 s13, 6, v78
	v_cndmask_b32_e64 v88, v88, v71, s12
	;; [unrolled: 3-line block ×3, first 2 shown]
	v_cndmask_b32_e64 v89, v89, v98, s9
	v_cndmask_b32_e64 v81, v81, v72, s13
	v_cmp_eq_u32_e64 s16, 7, v78
	v_cndmask_b32_e64 v88, v88, v96, s15
	v_cndmask_b32_e64 v87, v87, v86, s13
	v_cmp_eq_u32_e64 s17, 6, v79
	v_cmp_eq_u32_e64 s18, 2, v77
	v_cndmask_b32_e64 v89, v89, v85, s12
	v_cndmask_b32_e64 v101, v81, v97, s16
	;; [unrolled: 1-line block ×6, first 2 shown]
	v_cmp_eq_u32_e64 s19, 7, v79
	v_cmp_eq_u32_e64 s20, 3, v77
	;; [unrolled: 1-line block ×4, first 2 shown]
	v_cndmask_b32_e64 v87, v87, v84, s18
	v_cndmask_b32_e64 v103, v88, v97, s19
	;; [unrolled: 1-line block ×4, first 2 shown]
	v_or_b32_e32 v81, 3, v78
	v_cndmask_b32_e64 v93, v87, v98, s20
	v_cmp_eq_u32_e64 s25, 6, v77
	v_cndmask_b32_e64 v104, v88, v86, s17
	v_cndmask_b32_e64 v92, v89, v71, s21
	v_cmp_eq_u32_e64 s22, 1, v81
	ds_load_b128 v[87:90], v82 offset:1024
	v_cmp_eq_u32_e64 s24, 2, v81
	v_cmp_eq_u32_e64 s26, 3, v81
	v_cndmask_b32_e64 v105, v92, v96, s23
	v_cndmask_b32_e64 v66, v69, v66, s22
	;; [unrolled: 1-line block ×4, first 2 shown]
	ds_load_b128 v[91:94], v82 offset:1040
	v_cmp_eq_u32_e64 s27, 4, v81
	v_cndmask_b32_e64 v66, v66, v70, s24
	v_cmp_eq_u32_e64 s28, 7, v77
	v_cndmask_b32_e64 v70, v83, v84, s24
	v_cndmask_b32_e64 v84, v105, v72, s25
	v_cmp_eq_u32_e64 s29, 5, v81
	v_cndmask_b32_e64 v66, v66, v95, s26
	v_cmp_eq_u32_e64 s30, 6, v81
	v_cndmask_b32_e64 v70, v70, v98, s26
	v_cndmask_b32_e64 v69, v69, v99, s23
	;; [unrolled: 1-line block ×4, first 2 shown]
	s_waitcnt lgkmcnt(1)
	v_lshrrev_b32_e32 v95, 16, v87
	v_cndmask_b32_e64 v70, v70, v85, s27
	v_cndmask_b32_e64 v71, v84, v97, s28
	;; [unrolled: 1-line block ×4, first 2 shown]
	v_cndmask_b32_e32 v84, v87, v95, vcc_lo
	v_cndmask_b32_e64 v70, v70, v99, s29
	s_waitcnt lgkmcnt(0)
	v_lshrrev_b32_e32 v85, 16, v91
	v_lshrrev_b32_e32 v96, 16, v88
	v_cndmask_b32_e64 v98, v87, v95, s4
	v_cndmask_b32_e64 v84, v84, v88, s5
	;; [unrolled: 1-line block ×3, first 2 shown]
	v_cndmask_b32_e32 v99, v91, v85, vcc_lo
	v_cmp_eq_u32_e32 vcc_lo, 7, v81
	v_cndmask_b32_e64 v66, v66, v72, s30
	v_cndmask_b32_e64 v72, v84, v96, s8
	;; [unrolled: 1-line block ×3, first 2 shown]
	v_lshrrev_b32_e32 v98, 16, v92
	v_cndmask_b32_e32 v70, v70, v100, vcc_lo
	v_cndmask_b32_e64 v86, v99, v92, s5
	v_cndmask_b32_e64 v69, v69, v100, s28
	v_lshrrev_b32_e32 v100, 16, v93
	v_cndmask_b32_e64 v72, v72, v89, s10
	v_lshrrev_b32_e32 v99, 16, v89
	v_cndmask_b32_e64 v86, v86, v98, s8
	v_perm_b32 v71, v69, v71, 0x5040100
	v_cndmask_b32_e64 v84, v84, v96, s9
	s_delay_alu instid0(VALU_DEP_3) | instskip(NEXT) | instid1(VALU_DEP_2)
	v_cndmask_b32_e64 v86, v86, v93, s10
	v_cndmask_b32_e64 v84, v84, v89, s12
	s_delay_alu instid0(VALU_DEP_2) | instskip(NEXT) | instid1(VALU_DEP_1)
	v_cndmask_b32_e64 v86, v86, v100, s11
	v_cndmask_b32_e64 v69, v86, v94, s13
	;; [unrolled: 1-line block ×5, first 2 shown]
	s_delay_alu instid0(VALU_DEP_3) | instskip(NEXT) | instid1(VALU_DEP_3)
	v_cndmask_b32_e64 v86, v86, v88, s18
	v_cndmask_b32_e64 v87, v87, v88, s24
	s_delay_alu instid0(VALU_DEP_3) | instskip(NEXT) | instid1(VALU_DEP_3)
	v_cndmask_b32_e64 v88, v95, v92, s24
	v_cndmask_b32_e64 v86, v86, v96, s20
	;; [unrolled: 3-line block ×7, first 2 shown]
	s_delay_alu instid0(VALU_DEP_3) | instskip(SKIP_2) | instid1(VALU_DEP_2)
	v_cndmask_b32_e64 v88, v88, v94, s30
	v_cndmask_b32_e32 v66, v66, v97, vcc_lo
	v_cndmask_b32_e64 v97, v72, v99, s11
	v_perm_b32 v72, v70, v66, 0x5040100
	v_perm_b32 v70, v83, v103, 0x5040100
	v_cndmask_b32_e64 v103, v91, v85, s6
	v_cndmask_b32_e64 v85, v91, v85, s4
	v_cndmask_b32_e64 v66, v84, v99, s15
	v_cndmask_b32_e64 v84, v97, v90, s13
	v_lshrrev_b32_e32 v97, 16, v90
	v_cndmask_b32_e64 v91, v103, v92, s18
	v_cndmask_b32_e64 v85, v85, v92, s7
	;; [unrolled: 1-line block ×3, first 2 shown]
	s_mov_b32 s4, exec_lo
	v_cndmask_b32_e64 v83, v84, v97, s16
	v_cndmask_b32_e64 v91, v91, v98, s20
	;; [unrolled: 1-line block ×3, first 2 shown]
	v_lshrrev_b32_e32 v84, 16, v94
	v_cndmask_b32_e64 v66, v66, v97, s19
	v_cndmask_b32_e64 v90, v86, v97, s28
	;; [unrolled: 1-line block ×4, first 2 shown]
	v_dual_cndmask_b32 v86, v87, v97 :: v_dual_cndmask_b32 v87, v88, v84
	v_cndmask_b32_e64 v91, v69, v84, s16
	s_delay_alu instid0(VALU_DEP_4) | instskip(NEXT) | instid1(VALU_DEP_4)
	v_cndmask_b32_e64 v89, v89, v100, s23
	v_cndmask_b32_e64 v85, v85, v100, s15
	v_perm_b32 v69, v102, v101, 0x5040100
	v_perm_b32 v86, v87, v86, 0x5040100
	;; [unrolled: 1-line block ×3, first 2 shown]
	v_cndmask_b32_e64 v89, v89, v94, s25
	v_cndmask_b32_e64 v85, v85, v94, s17
	s_mul_i32 s9, s37, 7
	s_delay_alu instid0(VALU_DEP_2) | instskip(NEXT) | instid1(VALU_DEP_2)
	v_cndmask_b32_e64 v88, v89, v84, s28
	v_cndmask_b32_e64 v89, v85, v84, s19
	s_delay_alu instid0(VALU_DEP_2) | instskip(NEXT) | instid1(VALU_DEP_2)
	v_perm_b32 v85, v88, v90, 0x5040100
	v_perm_b32 v84, v89, v66, 0x5040100
	ds_store_b128 v76, v[69:72]
	ds_store_b128 v76, v[83:86] offset:1024
	v_cmpx_gt_u32_e32 7, v0
	s_cbranch_execz .LBB1412_78
; %bb.77:
	s_mul_i32 s5, s9, s34
	s_load_b128 s[16:19], s[0:1], 0x58
	v_add3_u32 v69, s5, s31, v65
	s_delay_alu instid0(VALU_DEP_1) | instskip(NEXT) | instid1(VALU_DEP_1)
	v_mad_u64_u32 v[65:66], null, v69, s36, s[14:15]
	v_ashrrev_i32_e32 v66, 31, v65
	s_delay_alu instid0(VALU_DEP_1) | instskip(SKIP_1) | instid1(VALU_DEP_1)
	v_lshlrev_b64 v[65:66], 2, v[65:66]
	s_waitcnt lgkmcnt(0)
	v_add_co_u32 v69, vcc_lo, s18, v65
	s_delay_alu instid0(VALU_DEP_2)
	v_add_co_ci_u32_e32 v70, vcc_lo, s19, v66, vcc_lo
	v_add_co_u32 v65, vcc_lo, s16, v65
	v_add_co_ci_u32_e32 v66, vcc_lo, s17, v66, vcc_lo
	global_store_b32 v[69:70], v67, off
	global_store_b32 v[65:66], v68, off
.LBB1412_78:
	s_or_b32 exec_lo, exec_lo, s4
	s_waitcnt lgkmcnt(0)
	s_waitcnt_vscnt null, 0x0
	s_barrier
	buffer_gl0_inv
	ds_load_b128 v[83:86], v80
	ds_load_b128 v[87:90], v80 offset:16
	ds_load_b128 v[95:98], v80 offset:2064
	;; [unrolled: 1-line block ×3, first 2 shown]
	v_mov_b32_e32 v65, 0
	ds_load_b128 v[103:106], v80 offset:4112
	ds_load_b128 v[99:102], v80 offset:4096
	;; [unrolled: 1-line block ×4, first 2 shown]
	v_mov_b32_e32 v66, v65
	v_mov_b32_e32 v67, v65
	v_mov_b32_e32 v68, v65
	v_mov_b32_e32 v69, v65
	v_mov_b32_e32 v70, v65
	v_mov_b32_e32 v71, v65
	v_mov_b32_e32 v72, v65
	s_waitcnt lgkmcnt(6)
	s_delay_alu instid0(VALU_DEP_1)
	v_wmma_f32_16x16x16_bf16 v[65:72], v[57:64], v[83:90], v[65:72]
	ds_load_b128 v[61:64], v80 offset:8208
	ds_load_b128 v[57:60], v80 offset:8192
	s_waitcnt lgkmcnt(6)
	v_wmma_f32_16x16x16_bf16 v[65:72], v[41:48], v[91:98], v[65:72]
	ds_load_b128 v[45:48], v80 offset:10256
	ds_load_b128 v[41:44], v80 offset:10240
	s_waitcnt lgkmcnt(6)
	;; [unrolled: 4-line block ×4, first 2 shown]
	v_wmma_f32_16x16x16_bf16 v[65:72], v[1:8], v[57:64], v[65:72]
	s_waitcnt lgkmcnt(4)
	s_delay_alu instid0(VALU_DEP_1) | instskip(SKIP_1) | instid1(VALU_DEP_1)
	v_wmma_f32_16x16x16_bf16 v[65:72], v[9:16], v[41:48], v[65:72]
	s_waitcnt lgkmcnt(2)
	v_wmma_f32_16x16x16_bf16 v[65:72], v[17:24], v[33:40], v[65:72]
	s_waitcnt lgkmcnt(0)
	s_delay_alu instid0(VALU_DEP_1) | instskip(NEXT) | instid1(VALU_DEP_1)
	v_wmma_f32_16x16x16_bf16 v[65:72], v[49:56], v[25:32], v[65:72]
	v_and_b32_e32 v1, 0x7f800000, v65
	s_delay_alu instid0(VALU_DEP_1) | instskip(SKIP_1) | instid1(SALU_CYCLE_1)
	v_cmp_ne_u32_e32 vcc_lo, 0x7f800000, v1
                                        ; implicit-def: $vgpr1
	s_and_saveexec_b32 s4, vcc_lo
	s_xor_b32 s4, exec_lo, s4
; %bb.79:
	v_bfe_u32 v1, v65, 16, 1
	s_delay_alu instid0(VALU_DEP_1)
	v_add3_u32 v1, v65, v1, 0x7fff
; %bb.80:
	s_and_not1_saveexec_b32 s4, s4
; %bb.81:
	v_and_b32_e32 v1, 0xffff, v65
	v_or_b32_e32 v2, 0x10000, v65
	s_delay_alu instid0(VALU_DEP_2) | instskip(NEXT) | instid1(VALU_DEP_2)
	v_cmp_eq_u32_e32 vcc_lo, 0, v1
	v_cndmask_b32_e32 v1, v2, v65, vcc_lo
; %bb.82:
	s_or_b32 exec_lo, exec_lo, s4
	v_and_b32_e32 v2, 0x7f800000, v66
	s_delay_alu instid0(VALU_DEP_1) | instskip(SKIP_1) | instid1(SALU_CYCLE_1)
	v_cmp_ne_u32_e32 vcc_lo, 0x7f800000, v2
                                        ; implicit-def: $vgpr2
	s_and_saveexec_b32 s4, vcc_lo
	s_xor_b32 s4, exec_lo, s4
; %bb.83:
	v_bfe_u32 v2, v66, 16, 1
	s_delay_alu instid0(VALU_DEP_1)
	v_add3_u32 v2, v66, v2, 0x7fff
; %bb.84:
	s_and_not1_saveexec_b32 s4, s4
; %bb.85:
	v_and_b32_e32 v2, 0xffff, v66
	v_or_b32_e32 v3, 0x10000, v66
	s_delay_alu instid0(VALU_DEP_2) | instskip(NEXT) | instid1(VALU_DEP_2)
	v_cmp_eq_u32_e32 vcc_lo, 0, v2
	v_cndmask_b32_e32 v2, v3, v66, vcc_lo
; %bb.86:
	s_or_b32 exec_lo, exec_lo, s4
	v_and_b32_e32 v3, 0x7f800000, v67
	s_delay_alu instid0(VALU_DEP_1) | instskip(SKIP_1) | instid1(SALU_CYCLE_1)
	v_cmp_ne_u32_e32 vcc_lo, 0x7f800000, v3
                                        ; implicit-def: $vgpr3
	s_and_saveexec_b32 s4, vcc_lo
	s_xor_b32 s4, exec_lo, s4
; %bb.87:
	v_bfe_u32 v3, v67, 16, 1
	s_delay_alu instid0(VALU_DEP_1)
	v_add3_u32 v3, v67, v3, 0x7fff
; %bb.88:
	s_and_not1_saveexec_b32 s4, s4
; %bb.89:
	v_and_b32_e32 v3, 0xffff, v67
	v_or_b32_e32 v4, 0x10000, v67
	s_delay_alu instid0(VALU_DEP_2) | instskip(NEXT) | instid1(VALU_DEP_2)
	v_cmp_eq_u32_e32 vcc_lo, 0, v3
	v_cndmask_b32_e32 v3, v4, v67, vcc_lo
; %bb.90:
	s_or_b32 exec_lo, exec_lo, s4
	v_and_b32_e32 v4, 0x7f800000, v68
	s_delay_alu instid0(VALU_DEP_1) | instskip(SKIP_1) | instid1(SALU_CYCLE_1)
	v_cmp_ne_u32_e32 vcc_lo, 0x7f800000, v4
                                        ; implicit-def: $vgpr4
	s_and_saveexec_b32 s4, vcc_lo
	s_xor_b32 s4, exec_lo, s4
; %bb.91:
	v_bfe_u32 v4, v68, 16, 1
	s_delay_alu instid0(VALU_DEP_1)
	v_add3_u32 v4, v68, v4, 0x7fff
; %bb.92:
	s_and_not1_saveexec_b32 s4, s4
; %bb.93:
	v_and_b32_e32 v4, 0xffff, v68
	v_or_b32_e32 v5, 0x10000, v68
	s_delay_alu instid0(VALU_DEP_2) | instskip(NEXT) | instid1(VALU_DEP_2)
	v_cmp_eq_u32_e32 vcc_lo, 0, v4
	v_cndmask_b32_e32 v4, v5, v68, vcc_lo
; %bb.94:
	s_or_b32 exec_lo, exec_lo, s4
	v_and_b32_e32 v5, 0x7f800000, v69
	s_delay_alu instid0(VALU_DEP_1) | instskip(SKIP_1) | instid1(SALU_CYCLE_1)
	v_cmp_ne_u32_e32 vcc_lo, 0x7f800000, v5
                                        ; implicit-def: $vgpr5
	s_and_saveexec_b32 s4, vcc_lo
	s_xor_b32 s4, exec_lo, s4
; %bb.95:
	v_bfe_u32 v5, v69, 16, 1
	s_delay_alu instid0(VALU_DEP_1)
	v_add3_u32 v5, v69, v5, 0x7fff
; %bb.96:
	s_and_not1_saveexec_b32 s4, s4
; %bb.97:
	v_and_b32_e32 v5, 0xffff, v69
	v_or_b32_e32 v6, 0x10000, v69
	s_delay_alu instid0(VALU_DEP_2) | instskip(NEXT) | instid1(VALU_DEP_2)
	v_cmp_eq_u32_e32 vcc_lo, 0, v5
	v_cndmask_b32_e32 v5, v6, v69, vcc_lo
; %bb.98:
	s_or_b32 exec_lo, exec_lo, s4
	v_and_b32_e32 v6, 0x7f800000, v70
	s_delay_alu instid0(VALU_DEP_1) | instskip(SKIP_1) | instid1(SALU_CYCLE_1)
	v_cmp_ne_u32_e32 vcc_lo, 0x7f800000, v6
                                        ; implicit-def: $vgpr6
	s_and_saveexec_b32 s4, vcc_lo
	s_xor_b32 s4, exec_lo, s4
; %bb.99:
	v_bfe_u32 v6, v70, 16, 1
	s_delay_alu instid0(VALU_DEP_1)
	v_add3_u32 v6, v70, v6, 0x7fff
; %bb.100:
	s_and_not1_saveexec_b32 s4, s4
; %bb.101:
	v_and_b32_e32 v6, 0xffff, v70
	v_or_b32_e32 v7, 0x10000, v70
	s_delay_alu instid0(VALU_DEP_2) | instskip(NEXT) | instid1(VALU_DEP_2)
	v_cmp_eq_u32_e32 vcc_lo, 0, v6
	v_cndmask_b32_e32 v6, v7, v70, vcc_lo
; %bb.102:
	s_or_b32 exec_lo, exec_lo, s4
	v_and_b32_e32 v7, 0x7f800000, v71
	s_delay_alu instid0(VALU_DEP_1) | instskip(SKIP_1) | instid1(SALU_CYCLE_1)
	v_cmp_ne_u32_e32 vcc_lo, 0x7f800000, v7
                                        ; implicit-def: $vgpr7
	s_and_saveexec_b32 s4, vcc_lo
	s_xor_b32 s4, exec_lo, s4
; %bb.103:
	v_bfe_u32 v7, v71, 16, 1
	s_delay_alu instid0(VALU_DEP_1)
	v_add3_u32 v7, v71, v7, 0x7fff
; %bb.104:
	s_and_not1_saveexec_b32 s4, s4
; %bb.105:
	v_and_b32_e32 v7, 0xffff, v71
	v_or_b32_e32 v8, 0x10000, v71
	s_delay_alu instid0(VALU_DEP_2) | instskip(NEXT) | instid1(VALU_DEP_2)
	v_cmp_eq_u32_e32 vcc_lo, 0, v7
	v_cndmask_b32_e32 v7, v8, v71, vcc_lo
; %bb.106:
	s_or_b32 exec_lo, exec_lo, s4
	v_and_b32_e32 v8, 0x7f800000, v72
	s_delay_alu instid0(VALU_DEP_1) | instskip(SKIP_1) | instid1(SALU_CYCLE_1)
	v_cmp_ne_u32_e32 vcc_lo, 0x7f800000, v8
                                        ; implicit-def: $vgpr8
	s_and_saveexec_b32 s4, vcc_lo
	s_xor_b32 s4, exec_lo, s4
; %bb.107:
	v_bfe_u32 v8, v72, 16, 1
	s_delay_alu instid0(VALU_DEP_1)
	v_add3_u32 v8, v72, v8, 0x7fff
                                        ; implicit-def: $vgpr65_vgpr66_vgpr67_vgpr68_vgpr69_vgpr70_vgpr71_vgpr72
; %bb.108:
	s_and_not1_saveexec_b32 s4, s4
; %bb.109:
	v_and_b32_e32 v8, 0xffff, v72
	v_or_b32_e32 v9, 0x10000, v72
	s_delay_alu instid0(VALU_DEP_2) | instskip(NEXT) | instid1(VALU_DEP_2)
	v_cmp_eq_u32_e32 vcc_lo, 0, v8
	v_cndmask_b32_e32 v8, v9, v72, vcc_lo
; %bb.110:
	s_or_b32 exec_lo, exec_lo, s4
	s_delay_alu instid0(VALU_DEP_1)
	v_perm_b32 v7, v8, v7, 0x7060302
	v_perm_b32 v6, v6, v5, 0x7060302
	;; [unrolled: 1-line block ×4, first 2 shown]
	s_barrier
	buffer_gl0_inv
	v_cmp_eq_u32_e32 vcc_lo, 1, v78
	ds_store_b128 v76, v[4:7]
	s_waitcnt lgkmcnt(0)
	s_barrier
	buffer_gl0_inv
	ds_load_b128 v[1:4], v82
	ds_load_b128 v[5:8], v82 offset:16
	v_cmp_eq_u32_e64 s4, 1, v79
	v_cmp_eq_u32_e64 s5, 2, v78
	;; [unrolled: 1-line block ×5, first 2 shown]
	s_waitcnt lgkmcnt(1)
	v_lshrrev_b32_e32 v9, 16, v1
	s_waitcnt lgkmcnt(0)
	v_lshrrev_b32_e32 v13, 16, v5
	v_lshrrev_b32_e32 v10, 16, v2
	;; [unrolled: 1-line block ×4, first 2 shown]
	v_cndmask_b32_e64 v19, v1, v9, s4
	v_cndmask_b32_e32 v18, v5, v13, vcc_lo
	v_cndmask_b32_e64 v20, v5, v13, s4
	v_cndmask_b32_e32 v17, v1, v9, vcc_lo
	v_cmp_eq_u32_e32 vcc_lo, 2, v79
	v_lshrrev_b32_e32 v15, 16, v7
	v_cmp_eq_u32_e64 s4, 1, v77
	v_lshrrev_b32_e32 v12, 16, v4
	v_lshrrev_b32_e32 v16, 16, v8
	v_cndmask_b32_e32 v20, v20, v6, vcc_lo
	v_cndmask_b32_e64 v17, v17, v2, s5
	v_cndmask_b32_e32 v19, v19, v2, vcc_lo
	v_cndmask_b32_e64 v18, v18, v6, s5
	v_cmp_eq_u32_e32 vcc_lo, 4, v78
	v_cmp_eq_u32_e64 s5, 3, v79
	v_cndmask_b32_e64 v17, v17, v10, s6
	v_cndmask_b32_e64 v21, v1, v9, s4
	;; [unrolled: 1-line block ×5, first 2 shown]
	v_cndmask_b32_e32 v17, v17, v3, vcc_lo
	v_cndmask_b32_e64 v20, v20, v14, s5
	v_cndmask_b32_e32 v18, v18, v7, vcc_lo
	v_cmp_eq_u32_e32 vcc_lo, 4, v79
	v_cmp_eq_u32_e64 s5, 5, v79
	v_cmp_eq_u32_e64 s4, 2, v81
	v_cndmask_b32_e64 v21, v21, v2, s8
	v_cmp_eq_u32_e64 s6, 5, v78
	v_cndmask_b32_e32 v19, v19, v3, vcc_lo
	v_cndmask_b32_e32 v20, v20, v7, vcc_lo
	v_cmp_eq_u32_e32 vcc_lo, 6, v79
	s_delay_alu instid0(VALU_DEP_4) | instskip(NEXT) | instid1(VALU_DEP_4)
	v_cndmask_b32_e64 v17, v17, v11, s6
	v_cndmask_b32_e64 v19, v19, v11, s5
	s_delay_alu instid0(VALU_DEP_4) | instskip(SKIP_1) | instid1(VALU_DEP_3)
	v_cndmask_b32_e64 v20, v20, v15, s5
	v_cmp_eq_u32_e64 s5, 1, v81
	v_cndmask_b32_e32 v19, v19, v4, vcc_lo
	v_cndmask_b32_e64 v18, v18, v15, s6
	s_delay_alu instid0(VALU_DEP_3)
	v_cndmask_b32_e64 v1, v1, v9, s5
	v_cndmask_b32_e64 v5, v5, v13, s5
	v_cmp_eq_u32_e64 s5, 3, v77
	v_cndmask_b32_e64 v13, v22, v6, s8
	v_cmp_eq_u32_e64 s8, 3, v81
	v_cndmask_b32_e64 v1, v1, v2, s4
	v_cndmask_b32_e64 v2, v5, v6, s4
	;; [unrolled: 1-line block ×3, first 2 shown]
	v_cmp_eq_u32_e64 s4, 4, v77
	v_cndmask_b32_e64 v6, v13, v14, s5
	v_cndmask_b32_e64 v1, v1, v10, s8
	v_cmp_eq_u32_e64 s5, 4, v81
	v_cndmask_b32_e64 v2, v2, v14, s8
	v_cndmask_b32_e64 v5, v9, v3, s4
	;; [unrolled: 3-line block ×3, first 2 shown]
	v_cndmask_b32_e64 v2, v2, v7, s5
	v_cmp_eq_u32_e64 s4, 5, v81
	v_cmp_eq_u32_e64 s6, 6, v78
	v_cndmask_b32_e64 v5, v5, v11, s8
	v_cmp_eq_u32_e64 s5, 6, v77
	v_cndmask_b32_e64 v3, v6, v15, s8
	v_cndmask_b32_e64 v1, v1, v11, s4
	v_cmp_eq_u32_e64 s8, 6, v81
	v_cndmask_b32_e64 v2, v2, v15, s4
	v_cndmask_b32_e64 v17, v17, v4, s6
	v_cndmask_b32_e64 v18, v18, v8, s6
	v_cmp_eq_u32_e64 s6, 7, v78
	v_cndmask_b32_e64 v5, v5, v4, s5
	;; [unrolled: 4-line block ×3, first 2 shown]
	v_cmp_eq_u32_e64 s5, 7, v77
	v_cndmask_b32_e32 v4, v20, v8, vcc_lo
	v_cndmask_b32_e64 v17, v17, v12, s6
	v_cndmask_b32_e64 v19, v19, v12, s7
	v_cndmask_b32_e64 v1, v1, v12, s4
	v_cndmask_b32_e64 v5, v5, v12, s5
	v_cndmask_b32_e64 v2, v2, v16, s4
	v_cndmask_b32_e64 v3, v3, v16, s5
	v_cndmask_b32_e64 v6, v4, v16, s7
	v_cndmask_b32_e64 v7, v18, v16, s6
	v_cmp_gt_u32_e32 vcc_lo, 32, v0
	v_perm_b32 v4, v2, v1, 0x5040100
	v_perm_b32 v3, v3, v5, 0x5040100
	;; [unrolled: 1-line block ×4, first 2 shown]
	s_and_b32 s2, vcc_lo, s2
	ds_store_b128 v76, v[1:4]
	s_waitcnt lgkmcnt(0)
	s_barrier
	buffer_gl0_inv
	s_and_saveexec_b32 s4, s2
	s_cbranch_execz .LBB1412_2
; %bb.111:
	s_load_b64 s[4:5], s[0:1], 0x68
	v_lshlrev_b32_e32 v0, 10, v0
	v_add_nc_u32_e32 v2, s31, v74
	v_lshlrev_b32_e32 v3, 4, v75
	s_lshl_b32 s0, s36, 6
	s_delay_alu instid0(SALU_CYCLE_1) | instskip(NEXT) | instid1(VALU_DEP_2)
	s_mul_i32 s1, s0, s34
	v_mul_lo_u32 v1, v2, s0
	s_delay_alu instid0(VALU_DEP_2)
	v_and_or_b32 v0, 0x3800, v0, v3
	v_add_nc_u32_e32 v3, 2, v2
	s_mul_i32 s6, s1, s9
	v_add_nc_u32_e32 v4, 4, v2
	s_ashr_i32 s7, s6, 31
	v_lshl_or_b32 v11, v74, 6, v0
	s_lshl_b64 s[6:7], s[6:7], 1
	v_mul_lo_u32 v15, v3, s0
	v_mul_lo_u32 v17, v4, s0
	v_ashrrev_i32_e32 v2, 31, v1
	ds_load_b128 v[3:6], v11
	ds_load_b128 v[7:10], v11 offset:128
	ds_load_b128 v[11:14], v11 offset:256
	s_waitcnt lgkmcnt(0)
	s_add_u32 s1, s4, s6
	s_addc_u32 s2, s5, s7
	s_lshl_b32 s4, s14, 6
	v_ashrrev_i32_e32 v16, 31, v15
	s_ashr_i32 s5, s4, 31
	v_lshlrev_b64 v[19:20], 1, v[1:2]
	s_lshl_b64 s[4:5], s[4:5], 1
	v_ashrrev_i32_e32 v18, 31, v17
	s_add_u32 s1, s1, s4
	s_addc_u32 s2, s2, s5
	v_add_co_u32 v1, s1, s1, v73
	s_delay_alu instid0(VALU_DEP_1) | instskip(SKIP_1) | instid1(VALU_DEP_3)
	v_add_co_ci_u32_e64 v2, null, s2, 0, s1
	v_lshlrev_b64 v[15:16], 1, v[15:16]
	v_add_co_u32 v19, vcc_lo, v1, v19
	v_lshlrev_b64 v[17:18], 1, v[17:18]
	s_delay_alu instid0(VALU_DEP_4) | instskip(NEXT) | instid1(VALU_DEP_4)
	v_add_co_ci_u32_e32 v20, vcc_lo, v2, v20, vcc_lo
	v_add_co_u32 v15, vcc_lo, v1, v15
	v_add_co_ci_u32_e32 v16, vcc_lo, v2, v16, vcc_lo
	s_delay_alu instid0(VALU_DEP_4)
	v_add_co_u32 v17, vcc_lo, v1, v17
	v_add_co_ci_u32_e32 v18, vcc_lo, v2, v18, vcc_lo
	s_clause 0x2
	global_store_b128 v[19:20], v[3:6], off
	global_store_b128 v[15:16], v[7:10], off
	;; [unrolled: 1-line block ×3, first 2 shown]
	s_and_b32 exec_lo, exec_lo, s3
	s_cbranch_execz .LBB1412_2
; %bb.112:
	ds_load_b128 v[3:6], v0 offset:384
	s_add_i32 s1, s31, 6
	s_delay_alu instid0(SALU_CYCLE_1) | instskip(NEXT) | instid1(SALU_CYCLE_1)
	s_mul_i32 s0, s1, s0
	s_ashr_i32 s1, s0, 31
	s_delay_alu instid0(SALU_CYCLE_1) | instskip(NEXT) | instid1(SALU_CYCLE_1)
	s_lshl_b64 s[0:1], s[0:1], 1
	v_add_co_u32 v0, vcc_lo, v1, s0
	v_add_co_ci_u32_e32 v1, vcc_lo, s1, v2, vcc_lo
	s_waitcnt lgkmcnt(0)
	global_store_b128 v[0:1], v[3:6], off
	s_nop 0
	s_sendmsg sendmsg(MSG_DEALLOC_VGPRS)
	s_endpgm
	.section	.rodata,"a",@progbits
	.p2align	6, 0x0
	.amdhsa_kernel _Z39paged_attention_ll4mi_QKV_mfma16_kernelI14__hip_bfloat16hLN4vllm18Fp8KVCacheDataTypeE1ES0_Li16ELi64ELi256ELb0ELi7EL8MFMAType1EEvPKT_PKT0_S9_ifPKiSB_SB_iPKfiiiPfSE_PS4_PT2_iSD_SD_
		.amdhsa_group_segment_fixed_size 17472
		.amdhsa_private_segment_fixed_size 0
		.amdhsa_kernarg_size 400
		.amdhsa_user_sgpr_count 13
		.amdhsa_user_sgpr_dispatch_ptr 0
		.amdhsa_user_sgpr_queue_ptr 0
		.amdhsa_user_sgpr_kernarg_segment_ptr 1
		.amdhsa_user_sgpr_dispatch_id 0
		.amdhsa_user_sgpr_private_segment_size 0
		.amdhsa_wavefront_size32 1
		.amdhsa_uses_dynamic_stack 0
		.amdhsa_enable_private_segment 0
		.amdhsa_system_sgpr_workgroup_id_x 1
		.amdhsa_system_sgpr_workgroup_id_y 1
		.amdhsa_system_sgpr_workgroup_id_z 1
		.amdhsa_system_sgpr_workgroup_info 0
		.amdhsa_system_vgpr_workitem_id 0
		.amdhsa_next_free_vgpr 124
		.amdhsa_next_free_sgpr 40
		.amdhsa_reserve_vcc 1
		.amdhsa_float_round_mode_32 0
		.amdhsa_float_round_mode_16_64 0
		.amdhsa_float_denorm_mode_32 3
		.amdhsa_float_denorm_mode_16_64 3
		.amdhsa_dx10_clamp 1
		.amdhsa_ieee_mode 1
		.amdhsa_fp16_overflow 0
		.amdhsa_workgroup_processor_mode 1
		.amdhsa_memory_ordered 1
		.amdhsa_forward_progress 0
		.amdhsa_shared_vgpr_count 0
		.amdhsa_exception_fp_ieee_invalid_op 0
		.amdhsa_exception_fp_denorm_src 0
		.amdhsa_exception_fp_ieee_div_zero 0
		.amdhsa_exception_fp_ieee_overflow 0
		.amdhsa_exception_fp_ieee_underflow 0
		.amdhsa_exception_fp_ieee_inexact 0
		.amdhsa_exception_int_div_zero 0
	.end_amdhsa_kernel
	.section	.text._Z39paged_attention_ll4mi_QKV_mfma16_kernelI14__hip_bfloat16hLN4vllm18Fp8KVCacheDataTypeE1ES0_Li16ELi64ELi256ELb0ELi7EL8MFMAType1EEvPKT_PKT0_S9_ifPKiSB_SB_iPKfiiiPfSE_PS4_PT2_iSD_SD_,"axG",@progbits,_Z39paged_attention_ll4mi_QKV_mfma16_kernelI14__hip_bfloat16hLN4vllm18Fp8KVCacheDataTypeE1ES0_Li16ELi64ELi256ELb0ELi7EL8MFMAType1EEvPKT_PKT0_S9_ifPKiSB_SB_iPKfiiiPfSE_PS4_PT2_iSD_SD_,comdat
.Lfunc_end1412:
	.size	_Z39paged_attention_ll4mi_QKV_mfma16_kernelI14__hip_bfloat16hLN4vllm18Fp8KVCacheDataTypeE1ES0_Li16ELi64ELi256ELb0ELi7EL8MFMAType1EEvPKT_PKT0_S9_ifPKiSB_SB_iPKfiiiPfSE_PS4_PT2_iSD_SD_, .Lfunc_end1412-_Z39paged_attention_ll4mi_QKV_mfma16_kernelI14__hip_bfloat16hLN4vllm18Fp8KVCacheDataTypeE1ES0_Li16ELi64ELi256ELb0ELi7EL8MFMAType1EEvPKT_PKT0_S9_ifPKiSB_SB_iPKfiiiPfSE_PS4_PT2_iSD_SD_
                                        ; -- End function
	.section	.AMDGPU.csdata,"",@progbits
; Kernel info:
; codeLenInByte = 8804
; NumSgprs: 42
; NumVgprs: 124
; ScratchSize: 0
; MemoryBound: 0
; FloatMode: 240
; IeeeMode: 1
; LDSByteSize: 17472 bytes/workgroup (compile time only)
; SGPRBlocks: 5
; VGPRBlocks: 15
; NumSGPRsForWavesPerEU: 42
; NumVGPRsForWavesPerEU: 124
; Occupancy: 10
; WaveLimiterHint : 1
; COMPUTE_PGM_RSRC2:SCRATCH_EN: 0
; COMPUTE_PGM_RSRC2:USER_SGPR: 13
; COMPUTE_PGM_RSRC2:TRAP_HANDLER: 0
; COMPUTE_PGM_RSRC2:TGID_X_EN: 1
; COMPUTE_PGM_RSRC2:TGID_Y_EN: 1
; COMPUTE_PGM_RSRC2:TGID_Z_EN: 1
; COMPUTE_PGM_RSRC2:TIDIG_COMP_CNT: 0
	.section	.text._Z39paged_attention_ll4mi_QKV_mfma16_kernelI14__hip_bfloat16hLN4vllm18Fp8KVCacheDataTypeE1ES0_Li16ELi64ELi256ELb0ELi8EL8MFMAType1EEvPKT_PKT0_S9_ifPKiSB_SB_iPKfiiiPfSE_PS4_PT2_iSD_SD_,"axG",@progbits,_Z39paged_attention_ll4mi_QKV_mfma16_kernelI14__hip_bfloat16hLN4vllm18Fp8KVCacheDataTypeE1ES0_Li16ELi64ELi256ELb0ELi8EL8MFMAType1EEvPKT_PKT0_S9_ifPKiSB_SB_iPKfiiiPfSE_PS4_PT2_iSD_SD_,comdat
	.protected	_Z39paged_attention_ll4mi_QKV_mfma16_kernelI14__hip_bfloat16hLN4vllm18Fp8KVCacheDataTypeE1ES0_Li16ELi64ELi256ELb0ELi8EL8MFMAType1EEvPKT_PKT0_S9_ifPKiSB_SB_iPKfiiiPfSE_PS4_PT2_iSD_SD_ ; -- Begin function _Z39paged_attention_ll4mi_QKV_mfma16_kernelI14__hip_bfloat16hLN4vllm18Fp8KVCacheDataTypeE1ES0_Li16ELi64ELi256ELb0ELi8EL8MFMAType1EEvPKT_PKT0_S9_ifPKiSB_SB_iPKfiiiPfSE_PS4_PT2_iSD_SD_
	.globl	_Z39paged_attention_ll4mi_QKV_mfma16_kernelI14__hip_bfloat16hLN4vllm18Fp8KVCacheDataTypeE1ES0_Li16ELi64ELi256ELb0ELi8EL8MFMAType1EEvPKT_PKT0_S9_ifPKiSB_SB_iPKfiiiPfSE_PS4_PT2_iSD_SD_
	.p2align	8
	.type	_Z39paged_attention_ll4mi_QKV_mfma16_kernelI14__hip_bfloat16hLN4vllm18Fp8KVCacheDataTypeE1ES0_Li16ELi64ELi256ELb0ELi8EL8MFMAType1EEvPKT_PKT0_S9_ifPKiSB_SB_iPKfiiiPfSE_PS4_PT2_iSD_SD_,@function
_Z39paged_attention_ll4mi_QKV_mfma16_kernelI14__hip_bfloat16hLN4vllm18Fp8KVCacheDataTypeE1ES0_Li16ELi64ELi256ELb0ELi8EL8MFMAType1EEvPKT_PKT0_S9_ifPKiSB_SB_iPKfiiiPfSE_PS4_PT2_iSD_SD_: ; @_Z39paged_attention_ll4mi_QKV_mfma16_kernelI14__hip_bfloat16hLN4vllm18Fp8KVCacheDataTypeE1ES0_Li16ELi64ELi256ELb0ELi8EL8MFMAType1EEvPKT_PKT0_S9_ifPKiSB_SB_iPKfiiiPfSE_PS4_PT2_iSD_SD_
; %bb.0:
	s_load_b64 s[2:3], s[0:1], 0x30
	s_mov_b32 s30, s13
	s_waitcnt lgkmcnt(0)
	s_cmp_lg_u64 s[2:3], 0
	s_cselect_b32 s8, -1, 0
	s_ashr_i32 s31, s13, 31
	s_cmp_eq_u64 s[2:3], 0
	s_cbranch_scc1 .LBB1413_3
; %bb.1:
	s_lshl_b64 s[4:5], s[30:31], 2
	s_delay_alu instid0(SALU_CYCLE_1) | instskip(SKIP_4) | instid1(SALU_CYCLE_1)
	s_add_u32 s4, s2, s4
	s_addc_u32 s5, s3, s5
	s_load_b64 s[4:5], s[4:5], 0x0
	s_waitcnt lgkmcnt(0)
	s_sub_i32 s4, s5, s4
	s_cmp_eq_u32 s4, 1
	s_cselect_b32 s4, -1, 0
	s_delay_alu instid0(SALU_CYCLE_1)
	s_and_not1_b32 vcc_lo, exec_lo, s4
	s_cbranch_vccz .LBB1413_4
.LBB1413_2:
	s_endpgm
.LBB1413_3:
.LBB1413_4:
	s_load_b64 s[4:5], s[0:1], 0x28
	s_lshl_b64 s[6:7], s[30:31], 2
	s_waitcnt lgkmcnt(0)
	s_add_u32 s4, s4, s6
	s_addc_u32 s5, s5, s7
	s_lshl_b32 s12, s14, 8
	s_load_b32 s24, s[4:5], 0x0
	s_waitcnt lgkmcnt(0)
	s_cmp_ge_i32 s12, s24
	s_cbranch_scc1 .LBB1413_2
; %bb.5:
	s_clause 0x1
	s_load_b128 s[20:23], s[0:1], 0x8
	s_load_b64 s[4:5], s[0:1], 0x20
	s_and_not1_b32 vcc_lo, exec_lo, s8
	s_cbranch_vccnz .LBB1413_7
; %bb.6:
	s_add_u32 s2, s2, s6
	s_addc_u32 s3, s3, s7
	s_load_b32 s3, s[2:3], 0x0
	s_branch .LBB1413_8
.LBB1413_7:
	s_mov_b32 s3, s30
.LBB1413_8:
	s_load_b128 s[16:19], s[0:1], 0x48
	v_and_b32_e32 v66, 15, v0
	v_cmp_gt_u32_e32 vcc_lo, 0x80, v0
	v_lshrrev_b32_e32 v65, 5, v0
	v_and_b32_e32 v67, 31, v0
	v_and_b32_e32 v74, 1, v0
	v_lshlrev_b32_e32 v1, 3, v66
	v_cmp_gt_u32_e64 s2, 8, v66
	v_bfe_u32 v75, v0, 4, 1
	s_lshl_b32 s31, s15, 3
	s_delay_alu instid0(VALU_DEP_3) | instskip(NEXT) | instid1(VALU_DEP_3)
	v_lshlrev_b32_e32 v73, 1, v1
	s_and_b32 s7, vcc_lo, s2
	s_delay_alu instid0(SALU_CYCLE_1)
	s_and_saveexec_b32 s6, s7
	s_cbranch_execz .LBB1413_10
; %bb.9:
	v_lshl_or_b32 v5, v65, 1, v75
	s_load_b64 s[8:9], s[0:1], 0x0
	s_waitcnt lgkmcnt(0)
	s_mul_hi_i32 s11, s3, s16
	s_mul_i32 s10, s3, s16
	v_lshlrev_b32_e32 v6, 10, v66
	v_or_b32_e32 v1, s31, v5
	s_lshl_b64 s[10:11], s[10:11], 1
	v_lshlrev_b32_e32 v5, 6, v5
	v_lshlrev_b32_e32 v7, 10, v74
	v_and_b32_e32 v6, 0x3800, v6
	v_lshlrev_b32_e32 v1, 6, v1
	s_delay_alu instid0(VALU_DEP_2) | instskip(NEXT) | instid1(VALU_DEP_2)
	v_or3_b32 v5, v6, v7, v5
	v_ashrrev_i32_e32 v2, 31, v1
	s_delay_alu instid0(VALU_DEP_1) | instskip(SKIP_2) | instid1(VALU_DEP_1)
	v_lshlrev_b64 v[1:2], 1, v[1:2]
	s_add_u32 s3, s8, s10
	s_addc_u32 s7, s9, s11
	v_add_co_u32 v1, vcc_lo, s3, v1
	s_delay_alu instid0(VALU_DEP_2) | instskip(NEXT) | instid1(VALU_DEP_2)
	v_add_co_ci_u32_e32 v2, vcc_lo, s7, v2, vcc_lo
	v_add_co_u32 v1, vcc_lo, v1, v73
	s_delay_alu instid0(VALU_DEP_2)
	v_add_co_ci_u32_e32 v2, vcc_lo, 0, v2, vcc_lo
	global_load_b128 v[1:4], v[1:2], off
	s_waitcnt vmcnt(0)
	ds_store_b128 v5, v[1:4]
.LBB1413_10:
	s_or_b32 exec_lo, exec_lo, s6
	v_and_b32_e32 v1, 0xef, v0
	s_waitcnt lgkmcnt(0)
	s_add_i32 s3, s24, 15
	s_clause 0x1
	s_load_b32 s6, s[0:1], 0x38
	s_load_b32 s19, s[0:1], 0x1c
	s_ashr_i32 s7, s3, 31
	v_add_nc_u32_e32 v1, s12, v1
	s_lshr_b32 s7, s7, 28
	s_waitcnt lgkmcnt(0)
	s_add_i32 s3, s3, s7
	s_barrier
	v_ashrrev_i32_e32 v2, 31, v1
	v_or_b32_e32 v3, 16, v1
	s_ashr_i32 s3, s3, 4
	v_cmp_gt_i32_e32 vcc_lo, s24, v1
	s_add_i32 s3, s3, -1
	v_lshrrev_b32_e32 v2, 28, v2
	buffer_gl0_inv
	s_mul_i32 s27, s15, s18
	v_add_nc_u32_e32 v4, v1, v2
	s_mul_i32 s6, s30, s6
	s_delay_alu instid0(SALU_CYCLE_1) | instskip(NEXT) | instid1(VALU_DEP_1)
	s_ashr_i32 s7, s6, 31
	v_ashrrev_i32_e32 v4, 4, v4
	v_add_nc_u32_e32 v2, v3, v2
	s_lshl_b64 s[6:7], s[6:7], 2
	s_delay_alu instid0(SALU_CYCLE_1) | instskip(NEXT) | instid1(VALU_DEP_2)
	s_add_u32 s26, s4, s6
	v_cndmask_b32_e32 v1, s3, v4, vcc_lo
	s_delay_alu instid0(VALU_DEP_2)
	v_ashrrev_i32_e32 v2, 4, v2
	v_cmp_gt_i32_e32 vcc_lo, s24, v3
	s_addc_u32 s25, s5, s7
	s_ashr_i32 s28, s27, 31
	s_add_u32 s13, s20, s27
	s_addc_u32 s15, s21, s28
	v_cndmask_b32_e32 v3, s3, v2, vcc_lo
	v_ashrrev_i32_e32 v2, 31, v1
	s_lshl_b32 s4, s14, 4
	s_delay_alu instid0(SALU_CYCLE_1) | instskip(NEXT) | instid1(VALU_DEP_2)
	s_ashr_i32 s5, s4, 31
	v_ashrrev_i32_e32 v4, 31, v3
	s_delay_alu instid0(VALU_DEP_2) | instskip(SKIP_1) | instid1(SALU_CYCLE_1)
	v_lshlrev_b64 v[1:2], 2, v[1:2]
	s_lshl_b64 s[4:5], s[4:5], 2
	s_add_u32 s4, s26, s4
	s_delay_alu instid0(VALU_DEP_2) | instskip(SKIP_1) | instid1(VALU_DEP_2)
	v_lshlrev_b64 v[3:4], 2, v[3:4]
	s_addc_u32 s5, s25, s5
	v_add_co_u32 v1, vcc_lo, s26, v1
	v_add_co_ci_u32_e32 v2, vcc_lo, s25, v2, vcc_lo
	s_delay_alu instid0(VALU_DEP_3) | instskip(NEXT) | instid1(VALU_DEP_4)
	v_add_co_u32 v3, vcc_lo, s26, v3
	v_add_co_ci_u32_e32 v4, vcc_lo, s25, v4, vcc_lo
	s_clause 0x1
	global_load_b32 v5, v[1:2], off
	global_load_b32 v7, v[3:4], off
	s_or_b32 s6, s12, 32
	v_lshlrev_b32_e32 v1, 4, v0
	s_ashr_i32 s7, s6, 4
	s_cmp_lt_i32 s6, s24
	s_cselect_b32 s6, s7, s3
	s_delay_alu instid0(VALU_DEP_1) | instskip(SKIP_1) | instid1(SALU_CYCLE_1)
	v_and_b32_e32 v1, 0xf0, v1
	s_ashr_i32 s7, s6, 31
	s_lshl_b64 s[6:7], s[6:7], 2
	s_delay_alu instid0(SALU_CYCLE_1)
	s_add_u32 s6, s26, s6
	s_addc_u32 s7, s25, s7
	s_or_b32 s8, s12, 64
	v_add_co_u32 v1, s13, s13, v1
	s_ashr_i32 s9, s8, 4
	s_cmp_lt_i32 s8, s24
	v_add_co_ci_u32_e64 v2, null, s15, 0, s13
	s_cselect_b32 s8, s9, s3
	s_delay_alu instid0(SALU_CYCLE_1) | instskip(NEXT) | instid1(SALU_CYCLE_1)
	s_ashr_i32 s9, s8, 31
	s_lshl_b64 s[8:9], s[8:9], 2
	s_delay_alu instid0(SALU_CYCLE_1) | instskip(SKIP_2) | instid1(SALU_CYCLE_1)
	s_add_u32 s8, s26, s8
	s_addc_u32 s9, s25, s9
	s_or_b32 s10, s12, 0x60
	s_ashr_i32 s11, s10, 4
	s_cmp_lt_i32 s10, s24
	s_cselect_b32 s10, s11, s3
	s_delay_alu instid0(SALU_CYCLE_1) | instskip(NEXT) | instid1(SALU_CYCLE_1)
	s_ashr_i32 s11, s10, 31
	s_lshl_b64 s[10:11], s[10:11], 2
	s_delay_alu instid0(SALU_CYCLE_1) | instskip(SKIP_2) | instid1(SALU_CYCLE_1)
	s_add_u32 s10, s26, s10
	s_addc_u32 s11, s25, s11
	s_or_b32 s16, s12, 0x80
	s_ashr_i32 s18, s16, 4
	s_cmp_lt_i32 s16, s24
	;; [unrolled: 10-line block ×3, first 2 shown]
	s_cselect_b32 s20, s18, s3
	s_delay_alu instid0(SALU_CYCLE_1) | instskip(NEXT) | instid1(SALU_CYCLE_1)
	s_ashr_i32 s21, s20, 31
	s_lshl_b64 s[20:21], s[20:21], 2
	s_delay_alu instid0(SALU_CYCLE_1)
	s_add_u32 s36, s26, s20
	s_addc_u32 s37, s25, s21
	s_clause 0x5
	s_load_b32 s21, s[4:5], 0x0
	s_load_b32 s13, s[6:7], 0x0
	;; [unrolled: 1-line block ×6, first 2 shown]
	s_or_b32 s7, s12, 0xc0
	s_mov_b32 s4, 0
	s_ashr_i32 s8, s7, 4
	s_cmp_lt_i32 s7, s24
	s_mov_b32 s5, s4
	s_cselect_b32 s10, s8, s3
	s_mov_b32 s6, s4
	s_ashr_i32 s11, s10, 31
	s_mov_b32 s7, s4
	s_lshl_b64 s[34:35], s[10:11], 2
	s_mov_b32 s11, s4
	s_add_u32 s34, s26, s34
	s_addc_u32 s35, s25, s35
	s_or_b32 s29, s12, 0xe0
	s_mov_b32 s8, s4
	s_ashr_i32 s33, s29, 4
	s_mov_b32 s9, s4
	s_mov_b32 s10, s4
	s_cmp_lt_i32 s29, s24
	v_dual_mov_b32 v107, s11 :: v_dual_mov_b32 v100, s4
	v_mov_b32_e32 v106, s10
	v_dual_mov_b32 v104, s8 :: v_dual_mov_b32 v103, s7
	v_dual_mov_b32 v102, s6 :: v_dual_mov_b32 v101, s5
	v_mov_b32_e32 v105, s9
	s_cselect_b32 s4, s33, s3
	s_delay_alu instid0(SALU_CYCLE_1) | instskip(NEXT) | instid1(SALU_CYCLE_1)
	s_ashr_i32 s5, s4, 31
	s_lshl_b64 s[4:5], s[4:5], 2
	s_delay_alu instid0(SALU_CYCLE_1)
	s_add_u32 s4, s26, s4
	s_addc_u32 s5, s25, s5
	s_add_u32 s6, s22, s27
	s_addc_u32 s7, s23, s28
	s_waitcnt vmcnt(1)
	v_mad_i64_i32 v[3:4], null, v5, s17, v[1:2]
	s_waitcnt vmcnt(0)
	v_mad_i64_i32 v[5:6], null, v7, s17, v[1:2]
	s_clause 0x7
	global_load_b128 v[49:52], v[3:4], off
	global_load_b128 v[53:56], v[3:4], off offset:256
	global_load_b128 v[76:79], v[5:6], off
	global_load_b128 v[80:83], v[5:6], off offset:256
	global_load_b128 v[84:87], v[3:4], off offset:512
	;; [unrolled: 1-line block ×5, first 2 shown]
	v_and_b32_e32 v1, 7, v0
	v_lshlrev_b32_e32 v2, 4, v66
	s_load_b32 s3, s[34:35], 0x0
	s_delay_alu instid0(VALU_DEP_2) | instskip(NEXT) | instid1(VALU_DEP_2)
	v_lshlrev_b32_e32 v70, 6, v1
	v_lshl_or_b32 v1, v65, 8, v2
	ds_load_b128 v[108:111], v70
	ds_load_b128 v[112:115], v70 offset:1024
	s_load_b32 s4, s[4:5], 0x0
	v_add_co_u32 v9, s6, s6, v1
	s_delay_alu instid0(VALU_DEP_1) | instskip(SKIP_1) | instid1(VALU_DEP_1)
	v_add_co_ci_u32_e64 v10, null, s7, 0, s6
	s_waitcnt lgkmcnt(0)
	v_mad_i64_i32 v[1:2], null, s21, s17, v[9:10]
	v_mad_i64_i32 v[3:4], null, s13, s17, v[9:10]
	v_mad_i64_i32 v[5:6], null, s15, s17, v[9:10]
	v_mad_i64_i32 v[7:8], null, s16, s17, v[9:10]
	v_mad_i64_i32 v[13:14], null, s20, s17, v[9:10]
	v_mad_i64_i32 v[11:12], null, s18, s17, v[9:10]
	v_mad_i64_i32 v[21:22], null, s3, s17, v[9:10]
	s_clause 0x9
	global_load_b128 v[57:60], v[1:2], off
	global_load_b128 v[61:64], v[1:2], off offset:16
	global_load_b128 v[41:44], v[3:4], off
	global_load_b128 v[45:48], v[3:4], off offset:16
	;; [unrolled: 2-line block ×5, first 2 shown]
	v_mad_i64_i32 v[68:69], null, s4, s17, v[9:10]
	s_clause 0x3
	global_load_b128 v[9:12], v[13:14], off
	global_load_b128 v[13:16], v[13:14], off offset:16
	global_load_b128 v[17:20], v[21:22], off
	global_load_b128 v[21:24], v[21:22], off offset:16
	s_waitcnt vmcnt(20)
	v_wmma_f32_16x16x16_bf16 v[116:123], v[49:56], v[108:115], v[100:107]
	s_clause 0x1
	global_load_b128 v[49:52], v[68:69], off
	global_load_b128 v[53:56], v[68:69], off offset:16
	v_and_b32_e32 v68, 0xe0, v0
	v_mbcnt_lo_u32_b32 v69, -1, 0
	s_delay_alu instid0(VALU_DEP_2)
	v_add_nc_u32_e32 v68, s12, v68
	s_waitcnt vmcnt(20)
	v_wmma_f32_16x16x16_bf16 v[100:107], v[76:83], v[108:115], v[100:107]
	ds_load_b128 v[76:79], v70 offset:2048
	ds_load_b128 v[80:83], v70 offset:3072
	v_xor_b32_e32 v70, 16, v69
	s_waitcnt vmcnt(0) lgkmcnt(0)
	v_or_b32_e32 v68, v68, v75
	s_barrier
	buffer_gl0_inv
	v_cmp_gt_i32_e32 vcc_lo, 32, v70
	v_or_b32_e32 v71, 4, v68
	v_or_b32_e32 v72, 6, v68
	v_cmp_gt_i32_e64 s3, s24, v68
	v_or_b32_e32 v108, 8, v68
	v_or_b32_e32 v109, 10, v68
	v_cmp_gt_i32_e64 s4, s24, v71
	v_cmp_gt_i32_e64 s5, s24, v72
	s_delay_alu instid0(VALU_DEP_4) | instskip(NEXT) | instid1(VALU_DEP_4)
	v_cmp_gt_i32_e64 s6, s24, v108
	v_cmp_gt_i32_e64 s7, s24, v109
	v_wmma_f32_16x16x16_bf16 v[116:123], v[84:91], v[76:83], v[116:123]
	v_cndmask_b32_e32 v69, v69, v70, vcc_lo
	v_or_b32_e32 v70, 2, v68
	v_wmma_f32_16x16x16_bf16 v[100:107], v[92:99], v[76:83], v[100:107]
	v_or_b32_e32 v89, 22, v68
	v_dual_mul_f32 v80, s19, v121 :: v_dual_mul_f32 v81, s19, v120
	v_dual_mul_f32 v92, s19, v117 :: v_dual_mul_f32 v93, s19, v116
	s_delay_alu instid0(VALU_DEP_4)
	v_mul_f32_e32 v96, s19, v105
	v_cmp_gt_i32_e32 vcc_lo, s24, v70
	v_dual_mul_f32 v79, s19, v122 :: v_dual_mul_f32 v82, s19, v119
	v_dual_mul_f32 v83, s19, v118 :: v_dual_mul_f32 v94, s19, v107
	v_cndmask_b32_e64 v93, 0xff7fffff, v93, s3
	v_cndmask_b32_e32 v92, 0xff7fffff, v92, vcc_lo
	v_or_b32_e32 v84, 12, v68
	v_or_b32_e32 v85, 14, v68
	v_cndmask_b32_e64 v71, 0xff7fffff, v83, s4
	v_cndmask_b32_e64 v72, 0xff7fffff, v82, s5
	v_cmp_gt_i32_e64 s13, s24, v89
	v_lshlrev_b32_e32 v89, 2, v69
	v_max3_f32 v82, v93, 0xff7fffff, v92
	v_or_b32_e32 v86, 16, v68
	v_or_b32_e32 v87, 18, v68
	v_mul_f32_e32 v78, s19, v123
	v_cndmask_b32_e64 v81, 0xff7fffff, v81, s6
	v_cndmask_b32_e64 v80, 0xff7fffff, v80, s7
	v_max3_f32 v71, v82, v71, v72
	v_cmp_gt_i32_e64 s8, s24, v84
	v_cmp_gt_i32_e64 s9, s24, v85
	v_or_b32_e32 v88, 20, v68
	v_or_b32_e32 v90, 24, v68
	;; [unrolled: 1-line block ×5, first 2 shown]
	v_dual_mul_f32 v97, s19, v104 :: v_dual_mul_f32 v70, s19, v101
	v_dual_mul_f32 v99, s19, v102 :: v_dual_mul_f32 v68, s19, v100
	v_cndmask_b32_e64 v72, 0xff7fffff, v79, s8
	v_cndmask_b32_e64 v78, 0xff7fffff, v78, s9
	v_max3_f32 v71, v71, v81, v80
	v_cmp_gt_i32_e64 s10, s24, v86
	v_cmp_gt_i32_e64 s11, s24, v87
	v_dual_mul_f32 v95, s19, v106 :: v_dual_mul_f32 v98, s19, v103
	s_delay_alu instid0(VALU_DEP_4) | instskip(NEXT) | instid1(VALU_DEP_4)
	v_max3_f32 v71, v71, v72, v78
	v_cndmask_b32_e64 v68, 0xff7fffff, v68, s10
	s_delay_alu instid0(VALU_DEP_4)
	v_cndmask_b32_e64 v70, 0xff7fffff, v70, s11
	v_cmp_gt_i32_e64 s12, s24, v88
	v_cndmask_b32_e64 v78, 0xff7fffff, v98, s13
	v_cmp_gt_i32_e64 s15, s24, v90
	v_cmp_gt_i32_e64 s16, s24, v91
	v_max3_f32 v68, v71, v68, v70
	v_cndmask_b32_e64 v72, 0xff7fffff, v99, s12
	v_cmp_gt_i32_e64 s17, s24, v76
	v_cndmask_b32_e64 v70, 0xff7fffff, v97, s15
	v_cndmask_b32_e64 v71, 0xff7fffff, v96, s16
	v_cmp_gt_i32_e64 s18, s24, v77
	v_max3_f32 v68, v68, v72, v78
	v_cndmask_b32_e64 v72, 0xff7fffff, v95, s17
	s_delay_alu instid0(VALU_DEP_3) | instskip(NEXT) | instid1(VALU_DEP_3)
	v_cndmask_b32_e64 v76, 0xff7fffff, v94, s18
	v_max3_f32 v68, v68, v70, v71
	s_delay_alu instid0(VALU_DEP_1) | instskip(SKIP_3) | instid1(VALU_DEP_1)
	v_max3_f32 v68, v68, v72, v76
	ds_bpermute_b32 v69, v89, v68
	s_waitcnt lgkmcnt(0)
	v_max_f32_e32 v69, v69, v69
	v_max_f32_e32 v68, v68, v69
	s_delay_alu instid0(VALU_DEP_1) | instskip(NEXT) | instid1(VALU_DEP_1)
	v_fma_f32 v71, s19, v118, -v68
	v_mul_f32_e32 v71, 0x3fb8aa3b, v71
	v_fma_f32 v70, s19, v117, -v68
	v_fma_f32 v69, s19, v116, -v68
	;; [unrolled: 1-line block ×5, first 2 shown]
	s_delay_alu instid0(VALU_DEP_4) | instskip(SKIP_1) | instid1(VALU_DEP_3)
	v_dual_mul_f32 v70, 0x3fb8aa3b, v70 :: v_dual_mul_f32 v69, 0x3fb8aa3b, v69
	v_exp_f32_e32 v71, v71
	v_mul_f32_e32 v72, 0x3fb8aa3b, v72
	v_fma_f32 v81, s19, v105, -v68
	s_delay_alu instid0(VALU_DEP_3)
	v_exp_f32_e32 v70, v70
	v_mul_f32_e32 v77, 0x3fb8aa3b, v76
	v_exp_f32_e32 v69, v69
	v_exp_f32_e32 v72, v72
	v_mul_f32_e32 v81, 0x3fb8aa3b, v81
	v_cndmask_b32_e64 v83, 0, v71, s4
	v_fma_f32 v71, s19, v123, -v68
	s_delay_alu instid0(VALU_DEP_3) | instskip(SKIP_4) | instid1(TRANS32_DEP_3)
	v_exp_f32_e32 v81, v81
	v_cndmask_b32_e32 v76, 0, v70, vcc_lo
	v_exp_f32_e32 v77, v77
	v_cndmask_b32_e64 v80, 0, v69, s3
	v_fma_f32 v69, s19, v121, -v68
	v_cndmask_b32_e64 v85, 0, v72, s5
	v_mul_f32_e32 v71, 0x3fb8aa3b, v71
	v_fma_f32 v72, s19, v100, -v68
	s_delay_alu instid0(VALU_DEP_4) | instskip(SKIP_1) | instid1(VALU_DEP_3)
	v_dual_add_f32 v70, 0, v80 :: v_dual_mul_f32 v69, 0x3fb8aa3b, v69
	s_mov_b32 s3, exec_lo
	v_exp_f32_e32 v71, v71
	s_delay_alu instid0(TRANS32_DEP_2) | instskip(SKIP_4) | instid1(VALU_DEP_3)
	v_cndmask_b32_e64 v86, 0, v77, s6
	v_fma_f32 v77, s19, v101, -v68
	v_mul_f32_e32 v78, 0x3fb8aa3b, v78
	v_add_f32_e32 v70, v70, v76
	v_exp_f32_e32 v69, v69
	v_mul_f32_e32 v77, 0x3fb8aa3b, v77
	s_delay_alu instid0(VALU_DEP_3) | instskip(NEXT) | instid1(TRANS32_DEP_3)
	v_exp_f32_e32 v78, v78
	v_cndmask_b32_e64 v88, 0, v71, s9
	v_fma_f32 v71, s19, v104, -v68
	s_delay_alu instid0(VALU_DEP_3) | instskip(NEXT) | instid1(TRANS32_DEP_3)
	v_exp_f32_e32 v77, v77
	v_cndmask_b32_e64 v87, 0, v69, s7
	s_delay_alu instid0(VALU_DEP_2)
	v_mul_f32_e32 v71, 0x3fb8aa3b, v71
	s_waitcnt_depctr 0xfff
	v_cndmask_b32_e64 v84, 0, v78, s8
	v_add_f32_e32 v70, v70, v83
	v_fma_f32 v78, s19, v103, -v68
	v_exp_f32_e32 v82, v71
	s_delay_alu instid0(VALU_DEP_2) | instskip(SKIP_1) | instid1(VALU_DEP_3)
	v_add_f32_e32 v70, v70, v85
	v_mul_f32_e32 v72, 0x3fb8aa3b, v72
	v_mul_f32_e32 v78, 0x3fb8aa3b, v78
	s_delay_alu instid0(VALU_DEP_3) | instskip(SKIP_1) | instid1(VALU_DEP_4)
	v_add_f32_e32 v69, v70, v86
	v_fma_f32 v70, s19, v102, -v68
	v_exp_f32_e32 v72, v72
	s_delay_alu instid0(VALU_DEP_3) | instskip(NEXT) | instid1(VALU_DEP_1)
	v_exp_f32_e32 v78, v78
	v_dual_add_f32 v69, v69, v87 :: v_dual_mul_f32 v70, 0x3fb8aa3b, v70
	s_delay_alu instid0(VALU_DEP_1) | instskip(NEXT) | instid1(VALU_DEP_2)
	v_add_f32_e32 v69, v69, v84
	v_exp_f32_e32 v79, v70
	s_delay_alu instid0(TRANS32_DEP_3) | instskip(NEXT) | instid1(VALU_DEP_2)
	v_cndmask_b32_e64 v70, 0, v72, s10
	v_add_f32_e32 v72, v69, v88
	v_cndmask_b32_e64 v69, 0, v77, s11
	v_fma_f32 v77, s19, v106, -v68
	s_waitcnt_depctr 0xfff
	v_cndmask_b32_e64 v71, 0, v79, s12
	v_dual_mul_f32 v77, 0x3fb8aa3b, v77 :: v_dual_add_f32 v72, v72, v70
	s_delay_alu instid0(VALU_DEP_1) | instskip(NEXT) | instid1(VALU_DEP_1)
	v_exp_f32_e32 v90, v77
	v_add_f32_e32 v79, v72, v69
	v_cndmask_b32_e64 v72, 0, v78, s13
	v_cndmask_b32_e64 v77, 0, v82, s15
	s_delay_alu instid0(VALU_DEP_3) | instskip(SKIP_1) | instid1(VALU_DEP_1)
	v_add_f32_e32 v78, v79, v71
	v_fma_f32 v79, s19, v107, -v68
	v_dual_add_f32 v82, v78, v72 :: v_dual_mul_f32 v79, 0x3fb8aa3b, v79
	v_cndmask_b32_e64 v78, 0, v81, s16
	s_delay_alu instid0(VALU_DEP_2) | instskip(NEXT) | instid1(VALU_DEP_3)
	v_add_f32_e32 v81, v82, v77
	v_exp_f32_e32 v82, v79
	v_cndmask_b32_e64 v79, 0, v90, s17
	s_delay_alu instid0(VALU_DEP_2) | instskip(NEXT) | instid1(VALU_DEP_1)
	v_add_f32_e32 v81, v81, v78
	v_add_f32_e32 v90, v81, v79
	s_waitcnt_depctr 0xfff
	v_cndmask_b32_e64 v81, 0, v82, s18
	s_delay_alu instid0(VALU_DEP_1)
	v_add_f32_e32 v82, v90, v81
	ds_bpermute_b32 v89, v89, v82
	v_cmpx_gt_u32_e32 16, v67
	s_cbranch_execz .LBB1413_12
; %bb.11:
	v_mul_u32_u24_e32 v67, 0x44, v65
	s_delay_alu instid0(VALU_DEP_1) | instskip(SKIP_1) | instid1(VALU_DEP_1)
	v_lshl_add_u32 v67, v66, 2, v67
	s_waitcnt lgkmcnt(0)
	v_dual_add_f32 v82, v82, v89 :: v_dual_add_nc_u32 v67, 0x4000, v67
	ds_store_2addr_b32 v67, v68, v82 offset1:136
.LBB1413_12:
	s_or_b32 exec_lo, exec_lo, s3
	v_lshlrev_b32_e32 v67, 2, v66
	s_waitcnt lgkmcnt(0)
	s_barrier
	buffer_gl0_inv
	v_cmp_eq_u32_e32 vcc_lo, 1, v65
	v_add_nc_u32_e32 v82, 0x4000, v67
	v_cmp_eq_u32_e64 s3, 2, v65
	v_cmp_eq_u32_e64 s5, 7, v65
	ds_load_2addr_b32 v[89:90], v82 offset1:17
	ds_load_2addr_b32 v[91:92], v82 offset0:34 offset1:51
	ds_load_2addr_b32 v[93:94], v82 offset0:68 offset1:85
	;; [unrolled: 1-line block ×4, first 2 shown]
	s_waitcnt lgkmcnt(4)
	v_max3_f32 v67, v89, 0xff7fffff, v90
	s_waitcnt lgkmcnt(3)
	s_delay_alu instid0(VALU_DEP_1) | instskip(SKIP_1) | instid1(VALU_DEP_1)
	v_max3_f32 v67, v67, v91, v92
	s_waitcnt lgkmcnt(2)
	v_max3_f32 v67, v67, v93, v94
	s_waitcnt lgkmcnt(1)
	s_delay_alu instid0(VALU_DEP_1) | instskip(NEXT) | instid1(VALU_DEP_1)
	v_max3_f32 v67, v67, v95, v96
	v_sub_f32_e32 v93, v93, v67
	s_delay_alu instid0(VALU_DEP_1) | instskip(NEXT) | instid1(VALU_DEP_1)
	v_dual_sub_f32 v68, v89, v67 :: v_dual_mul_f32 v103, 0x3fb8aa3b, v93
	v_mul_f32_e32 v68, 0x3fb8aa3b, v68
	s_delay_alu instid0(VALU_DEP_1)
	v_exp_f32_e32 v100, v68
	v_sub_f32_e32 v68, v92, v67
	v_sub_f32_e32 v99, v90, v67
	ds_load_2addr_b32 v[89:90], v82 offset0:170 offset1:187
	v_dual_mul_f32 v102, 0x3fb8aa3b, v68 :: v_dual_mul_f32 v99, 0x3fb8aa3b, v99
	s_waitcnt lgkmcnt(1)
	v_fma_f32 v68, v100, v97, 0
	s_delay_alu instid0(VALU_DEP_2) | instskip(NEXT) | instid1(VALU_DEP_2)
	v_exp_f32_e32 v102, v102
	v_exp_f32_e32 v99, v99
	s_waitcnt_depctr 0xfff
	v_fmac_f32_e32 v68, v99, v98
	v_sub_f32_e32 v91, v91, v67
	s_delay_alu instid0(VALU_DEP_1)
	v_mul_f32_e32 v101, 0x3fb8aa3b, v91
	ds_load_2addr_b32 v[91:92], v82 offset0:204 offset1:221
	v_sub_f32_e32 v97, v94, v67
	ds_load_2addr_b32 v[93:94], v82 offset0:238 offset1:255
	s_waitcnt lgkmcnt(0)
	v_exp_f32_e32 v101, v101
	s_barrier
	buffer_gl0_inv
	v_dual_fmac_f32 v68, v101, v89 :: v_dual_sub_f32 v89, v96, v67
	v_dual_sub_f32 v82, v95, v67 :: v_dual_mul_f32 v95, 0x3fb8aa3b, v97
	v_exp_f32_e32 v97, v103
	s_delay_alu instid0(VALU_DEP_2) | instskip(NEXT) | instid1(VALU_DEP_2)
	v_dual_fmac_f32 v68, v102, v90 :: v_dual_mul_f32 v89, 0x3fb8aa3b, v89
	v_mul_f32_e32 v82, 0x3fb8aa3b, v82
	s_delay_alu instid0(VALU_DEP_3) | instskip(NEXT) | instid1(VALU_DEP_2)
	v_exp_f32_e32 v95, v95
	v_exp_f32_e32 v89, v89
	s_delay_alu instid0(VALU_DEP_1)
	v_exp_f32_e32 v82, v82
	v_fmac_f32_e32 v68, v97, v91
	s_delay_alu instid0(TRANS32_DEP_3) | instid1(VALU_DEP_1)
	v_fmac_f32_e32 v68, v95, v92
	s_waitcnt_depctr 0xfff
	v_fmac_f32_e32 v68, v82, v93
	s_delay_alu instid0(VALU_DEP_1) | instskip(NEXT) | instid1(VALU_DEP_1)
	v_fmac_f32_e32 v68, v89, v94
	v_add_f32_e32 v90, 0x358637bd, v68
	s_delay_alu instid0(VALU_DEP_1) | instskip(NEXT) | instid1(VALU_DEP_1)
	v_div_scale_f32 v91, null, v90, v90, 1.0
	v_rcp_f32_e32 v92, v91
	s_waitcnt_depctr 0xfff
	v_fma_f32 v93, -v91, v92, 1.0
	s_delay_alu instid0(VALU_DEP_1) | instskip(SKIP_1) | instid1(VALU_DEP_2)
	v_dual_fmac_f32 v92, v93, v92 :: v_dual_cndmask_b32 v93, v100, v99
	v_cmp_eq_u32_e32 vcc_lo, 3, v65
	v_cndmask_b32_e64 v93, v93, v101, s3
	v_cmp_eq_u32_e64 s3, 4, v65
	s_delay_alu instid0(VALU_DEP_2) | instskip(SKIP_1) | instid1(VALU_DEP_2)
	v_cndmask_b32_e32 v93, v93, v102, vcc_lo
	v_cmp_eq_u32_e32 vcc_lo, 5, v65
	v_cndmask_b32_e64 v93, v93, v97, s3
	v_cmp_eq_u32_e64 s3, 6, v65
	s_delay_alu instid0(VALU_DEP_2) | instskip(SKIP_1) | instid1(VALU_DEP_1)
	v_cndmask_b32_e32 v93, v93, v95, vcc_lo
	v_div_scale_f32 v94, s4, 1.0, v90, 1.0
	s_mov_b32 vcc_lo, s4
	s_delay_alu instid0(VALU_DEP_2) | instskip(NEXT) | instid1(VALU_DEP_2)
	v_cndmask_b32_e64 v82, v93, v82, s3
	v_mul_f32_e32 v96, v94, v92
	s_mov_b32 s3, exec_lo
	s_delay_alu instid0(VALU_DEP_2) | instskip(NEXT) | instid1(VALU_DEP_2)
	v_cndmask_b32_e64 v82, v82, v89, s5
	v_fma_f32 v98, -v91, v96, v94
	s_delay_alu instid0(VALU_DEP_1) | instskip(NEXT) | instid1(VALU_DEP_1)
	v_fmac_f32_e32 v96, v98, v92
	v_fma_f32 v91, -v91, v96, v94
	s_delay_alu instid0(VALU_DEP_1) | instskip(NEXT) | instid1(VALU_DEP_1)
	v_div_fmas_f32 v91, v91, v92, v96
	v_div_fixup_f32 v90, v91, v90, 1.0
	s_delay_alu instid0(VALU_DEP_1) | instskip(NEXT) | instid1(VALU_DEP_1)
	v_mul_f32_e32 v82, v82, v90
	v_mul_f32_e32 v87, v82, v87
	;; [unrolled: 1-line block ×7, first 2 shown]
	v_dual_mul_f32 v86, v82, v83 :: v_dual_and_b32 v91, 0x7f800000, v90
	v_mul_f32_e32 v85, v82, v76
                                        ; implicit-def: $vgpr76
	s_delay_alu instid0(VALU_DEP_2)
	v_cmpx_ne_u32_e32 0x7f800000, v91
	s_xor_b32 s3, exec_lo, s3
; %bb.13:
	v_bfe_u32 v76, v90, 16, 1
	s_delay_alu instid0(VALU_DEP_1)
	v_add3_u32 v76, v90, v76, 0x7fff
                                        ; implicit-def: $vgpr90
; %bb.14:
	s_and_not1_saveexec_b32 s3, s3
; %bb.15:
	v_and_b32_e32 v76, 0xffff, v90
	v_or_b32_e32 v83, 0x10000, v90
	s_delay_alu instid0(VALU_DEP_2) | instskip(NEXT) | instid1(VALU_DEP_2)
	v_cmp_eq_u32_e32 vcc_lo, 0, v76
	v_cndmask_b32_e32 v76, v83, v90, vcc_lo
; %bb.16:
	s_or_b32 exec_lo, exec_lo, s3
	v_and_b32_e32 v83, 0x7f800000, v85
	s_delay_alu instid0(VALU_DEP_1) | instskip(SKIP_1) | instid1(SALU_CYCLE_1)
	v_cmp_ne_u32_e32 vcc_lo, 0x7f800000, v83
                                        ; implicit-def: $vgpr83
	s_and_saveexec_b32 s3, vcc_lo
	s_xor_b32 s3, exec_lo, s3
; %bb.17:
	v_bfe_u32 v83, v85, 16, 1
	s_delay_alu instid0(VALU_DEP_1)
	v_add3_u32 v83, v85, v83, 0x7fff
                                        ; implicit-def: $vgpr85
; %bb.18:
	s_and_not1_saveexec_b32 s3, s3
; %bb.19:
	v_and_b32_e32 v83, 0xffff, v85
	v_or_b32_e32 v90, 0x10000, v85
	s_delay_alu instid0(VALU_DEP_2) | instskip(NEXT) | instid1(VALU_DEP_2)
	v_cmp_eq_u32_e32 vcc_lo, 0, v83
	v_cndmask_b32_e32 v83, v90, v85, vcc_lo
; %bb.20:
	s_or_b32 exec_lo, exec_lo, s3
	v_and_b32_e32 v85, 0x7f800000, v86
	s_delay_alu instid0(VALU_DEP_1) | instskip(SKIP_1) | instid1(SALU_CYCLE_1)
	v_cmp_ne_u32_e32 vcc_lo, 0x7f800000, v85
                                        ; implicit-def: $vgpr85
	s_and_saveexec_b32 s3, vcc_lo
	s_xor_b32 s3, exec_lo, s3
; %bb.21:
	v_bfe_u32 v85, v86, 16, 1
	s_delay_alu instid0(VALU_DEP_1)
	v_add3_u32 v85, v86, v85, 0x7fff
                                        ; implicit-def: $vgpr86
; %bb.22:
	s_and_not1_saveexec_b32 s3, s3
; %bb.23:
	v_and_b32_e32 v85, 0xffff, v86
	v_or_b32_e32 v90, 0x10000, v86
	s_delay_alu instid0(VALU_DEP_2) | instskip(NEXT) | instid1(VALU_DEP_2)
	v_cmp_eq_u32_e32 vcc_lo, 0, v85
	v_cndmask_b32_e32 v85, v90, v86, vcc_lo
; %bb.24:
	s_or_b32 exec_lo, exec_lo, s3
	v_and_b32_e32 v86, 0x7f800000, v89
	s_delay_alu instid0(VALU_DEP_1) | instskip(SKIP_1) | instid1(SALU_CYCLE_1)
	v_cmp_ne_u32_e32 vcc_lo, 0x7f800000, v86
                                        ; implicit-def: $vgpr86
	s_and_saveexec_b32 s3, vcc_lo
	s_xor_b32 s3, exec_lo, s3
; %bb.25:
	v_bfe_u32 v86, v89, 16, 1
	s_delay_alu instid0(VALU_DEP_1)
	v_add3_u32 v86, v89, v86, 0x7fff
                                        ; implicit-def: $vgpr89
; %bb.26:
	s_and_not1_saveexec_b32 s3, s3
; %bb.27:
	v_and_b32_e32 v86, 0xffff, v89
	v_or_b32_e32 v90, 0x10000, v89
	s_delay_alu instid0(VALU_DEP_2) | instskip(NEXT) | instid1(VALU_DEP_2)
	v_cmp_eq_u32_e32 vcc_lo, 0, v86
	v_cndmask_b32_e32 v86, v90, v89, vcc_lo
; %bb.28:
	s_or_b32 exec_lo, exec_lo, s3
	v_and_b32_e32 v89, 0x7f800000, v88
	s_delay_alu instid0(VALU_DEP_1) | instskip(SKIP_1) | instid1(SALU_CYCLE_1)
	v_cmp_ne_u32_e32 vcc_lo, 0x7f800000, v89
                                        ; implicit-def: $vgpr89
	s_and_saveexec_b32 s3, vcc_lo
	s_xor_b32 s3, exec_lo, s3
; %bb.29:
	v_bfe_u32 v89, v88, 16, 1
	s_delay_alu instid0(VALU_DEP_1)
	v_add3_u32 v89, v88, v89, 0x7fff
                                        ; implicit-def: $vgpr88
; %bb.30:
	s_and_not1_saveexec_b32 s3, s3
; %bb.31:
	v_and_b32_e32 v89, 0xffff, v88
	v_or_b32_e32 v90, 0x10000, v88
	s_delay_alu instid0(VALU_DEP_2) | instskip(NEXT) | instid1(VALU_DEP_2)
	v_cmp_eq_u32_e32 vcc_lo, 0, v89
	v_cndmask_b32_e32 v89, v90, v88, vcc_lo
; %bb.32:
	s_or_b32 exec_lo, exec_lo, s3
	v_and_b32_e32 v88, 0x7f800000, v87
	s_delay_alu instid0(VALU_DEP_1) | instskip(SKIP_1) | instid1(SALU_CYCLE_1)
	v_cmp_ne_u32_e32 vcc_lo, 0x7f800000, v88
                                        ; implicit-def: $vgpr88
	s_and_saveexec_b32 s3, vcc_lo
	s_xor_b32 s3, exec_lo, s3
; %bb.33:
	v_bfe_u32 v88, v87, 16, 1
	s_delay_alu instid0(VALU_DEP_1)
	v_add3_u32 v88, v87, v88, 0x7fff
                                        ; implicit-def: $vgpr87
; %bb.34:
	s_and_not1_saveexec_b32 s3, s3
; %bb.35:
	v_and_b32_e32 v88, 0xffff, v87
	v_or_b32_e32 v90, 0x10000, v87
	s_delay_alu instid0(VALU_DEP_2) | instskip(NEXT) | instid1(VALU_DEP_2)
	v_cmp_eq_u32_e32 vcc_lo, 0, v88
	v_cndmask_b32_e32 v88, v90, v87, vcc_lo
; %bb.36:
	s_or_b32 exec_lo, exec_lo, s3
	v_and_b32_e32 v87, 0x7f800000, v84
	s_delay_alu instid0(VALU_DEP_1) | instskip(SKIP_1) | instid1(SALU_CYCLE_1)
	v_cmp_ne_u32_e32 vcc_lo, 0x7f800000, v87
                                        ; implicit-def: $vgpr87
	s_and_saveexec_b32 s3, vcc_lo
	s_xor_b32 s3, exec_lo, s3
; %bb.37:
	v_bfe_u32 v87, v84, 16, 1
	s_delay_alu instid0(VALU_DEP_1)
	v_add3_u32 v87, v84, v87, 0x7fff
                                        ; implicit-def: $vgpr84
; %bb.38:
	s_and_not1_saveexec_b32 s3, s3
; %bb.39:
	v_and_b32_e32 v87, 0xffff, v84
	v_or_b32_e32 v90, 0x10000, v84
	s_delay_alu instid0(VALU_DEP_2) | instskip(NEXT) | instid1(VALU_DEP_2)
	v_cmp_eq_u32_e32 vcc_lo, 0, v87
	v_cndmask_b32_e32 v87, v90, v84, vcc_lo
; %bb.40:
	s_or_b32 exec_lo, exec_lo, s3
	v_and_b32_e32 v84, 0x7f800000, v80
	s_delay_alu instid0(VALU_DEP_1) | instskip(SKIP_1) | instid1(SALU_CYCLE_1)
	v_cmp_ne_u32_e32 vcc_lo, 0x7f800000, v84
                                        ; implicit-def: $vgpr84
	s_and_saveexec_b32 s3, vcc_lo
	s_xor_b32 s3, exec_lo, s3
; %bb.41:
	v_bfe_u32 v84, v80, 16, 1
	s_delay_alu instid0(VALU_DEP_1)
	v_add3_u32 v84, v80, v84, 0x7fff
                                        ; implicit-def: $vgpr80
; %bb.42:
	s_and_not1_saveexec_b32 s3, s3
; %bb.43:
	v_and_b32_e32 v84, 0xffff, v80
	v_or_b32_e32 v90, 0x10000, v80
	s_delay_alu instid0(VALU_DEP_2) | instskip(NEXT) | instid1(VALU_DEP_2)
	v_cmp_eq_u32_e32 vcc_lo, 0, v84
	v_cndmask_b32_e32 v84, v90, v80, vcc_lo
; %bb.44:
	s_or_b32 exec_lo, exec_lo, s3
	s_load_b64 s[34:35], s[0:1], 0x94
	v_lshlrev_b32_e32 v91, 4, v75
	s_delay_alu instid0(VALU_DEP_2)
	v_perm_b32 v90, v84, v87, 0x7060302
	v_dual_mul_f32 v77, v82, v77 :: v_dual_lshlrev_b32 v80, 6, v66
	v_lshlrev_b32_e32 v66, 11, v65
	v_perm_b32 v87, v83, v76, 0x7060302
	v_mul_f32_e32 v83, v82, v70
	v_perm_b32 v89, v88, v89, 0x7060302
	v_perm_b32 v88, v86, v85, 0x7060302
	v_or3_b32 v76, v91, v66, v80
	v_mul_f32_e32 v66, v82, v81
	v_mul_f32_e32 v70, v82, v79
	;; [unrolled: 1-line block ×3, first 2 shown]
	v_dual_mul_f32 v81, v82, v72 :: v_dual_and_b32 v84, 0x7f800000, v83
	v_mul_f32_e32 v79, v82, v71
	v_mul_f32_e32 v72, v82, v69
	s_mov_b32 s3, exec_lo
	ds_store_b128 v76, v[87:90]
                                        ; implicit-def: $vgpr69
	v_cmpx_ne_u32_e32 0x7f800000, v84
	s_xor_b32 s3, exec_lo, s3
; %bb.45:
	v_bfe_u32 v69, v83, 16, 1
	s_delay_alu instid0(VALU_DEP_1)
	v_add3_u32 v69, v83, v69, 0x7fff
                                        ; implicit-def: $vgpr83
; %bb.46:
	s_and_not1_saveexec_b32 s3, s3
; %bb.47:
	v_and_b32_e32 v69, 0xffff, v83
	v_or_b32_e32 v71, 0x10000, v83
	s_delay_alu instid0(VALU_DEP_2) | instskip(NEXT) | instid1(VALU_DEP_2)
	v_cmp_eq_u32_e32 vcc_lo, 0, v69
	v_cndmask_b32_e32 v69, v71, v83, vcc_lo
; %bb.48:
	s_or_b32 exec_lo, exec_lo, s3
	v_and_b32_e32 v71, 0x7f800000, v72
	s_delay_alu instid0(VALU_DEP_1) | instskip(SKIP_1) | instid1(SALU_CYCLE_1)
	v_cmp_ne_u32_e32 vcc_lo, 0x7f800000, v71
                                        ; implicit-def: $vgpr71
	s_and_saveexec_b32 s3, vcc_lo
	s_xor_b32 s3, exec_lo, s3
; %bb.49:
	v_bfe_u32 v71, v72, 16, 1
	s_delay_alu instid0(VALU_DEP_1)
	v_add3_u32 v71, v72, v71, 0x7fff
                                        ; implicit-def: $vgpr72
; %bb.50:
	s_and_not1_saveexec_b32 s3, s3
; %bb.51:
	v_and_b32_e32 v71, 0xffff, v72
	v_or_b32_e32 v82, 0x10000, v72
	s_delay_alu instid0(VALU_DEP_2) | instskip(NEXT) | instid1(VALU_DEP_2)
	v_cmp_eq_u32_e32 vcc_lo, 0, v71
	v_cndmask_b32_e32 v71, v82, v72, vcc_lo
; %bb.52:
	s_or_b32 exec_lo, exec_lo, s3
	v_and_b32_e32 v72, 0x7f800000, v79
	s_delay_alu instid0(VALU_DEP_1) | instskip(SKIP_1) | instid1(SALU_CYCLE_1)
	v_cmp_ne_u32_e32 vcc_lo, 0x7f800000, v72
                                        ; implicit-def: $vgpr72
	s_and_saveexec_b32 s3, vcc_lo
	s_xor_b32 s3, exec_lo, s3
; %bb.53:
	v_bfe_u32 v72, v79, 16, 1
	s_delay_alu instid0(VALU_DEP_1)
	v_add3_u32 v72, v79, v72, 0x7fff
                                        ; implicit-def: $vgpr79
; %bb.54:
	s_and_not1_saveexec_b32 s3, s3
; %bb.55:
	v_and_b32_e32 v72, 0xffff, v79
	v_or_b32_e32 v82, 0x10000, v79
	s_delay_alu instid0(VALU_DEP_2) | instskip(NEXT) | instid1(VALU_DEP_2)
	v_cmp_eq_u32_e32 vcc_lo, 0, v72
	v_cndmask_b32_e32 v72, v82, v79, vcc_lo
; %bb.56:
	s_or_b32 exec_lo, exec_lo, s3
	v_and_b32_e32 v79, 0x7f800000, v81
	s_delay_alu instid0(VALU_DEP_1) | instskip(SKIP_1) | instid1(SALU_CYCLE_1)
	v_cmp_ne_u32_e32 vcc_lo, 0x7f800000, v79
                                        ; implicit-def: $vgpr79
	s_and_saveexec_b32 s3, vcc_lo
	s_xor_b32 s3, exec_lo, s3
; %bb.57:
	v_bfe_u32 v79, v81, 16, 1
	s_delay_alu instid0(VALU_DEP_1)
	v_add3_u32 v79, v81, v79, 0x7fff
                                        ; implicit-def: $vgpr81
; %bb.58:
	s_and_not1_saveexec_b32 s3, s3
; %bb.59:
	v_and_b32_e32 v79, 0xffff, v81
	v_or_b32_e32 v82, 0x10000, v81
	s_delay_alu instid0(VALU_DEP_2) | instskip(NEXT) | instid1(VALU_DEP_2)
	v_cmp_eq_u32_e32 vcc_lo, 0, v79
	v_cndmask_b32_e32 v79, v82, v81, vcc_lo
; %bb.60:
	s_or_b32 exec_lo, exec_lo, s3
	v_and_b32_e32 v81, 0x7f800000, v77
	s_delay_alu instid0(VALU_DEP_1) | instskip(SKIP_1) | instid1(SALU_CYCLE_1)
	v_cmp_ne_u32_e32 vcc_lo, 0x7f800000, v81
                                        ; implicit-def: $vgpr81
	s_and_saveexec_b32 s3, vcc_lo
	s_xor_b32 s3, exec_lo, s3
; %bb.61:
	v_bfe_u32 v81, v77, 16, 1
	s_delay_alu instid0(VALU_DEP_1)
	v_add3_u32 v81, v77, v81, 0x7fff
                                        ; implicit-def: $vgpr77
; %bb.62:
	s_and_not1_saveexec_b32 s3, s3
; %bb.63:
	v_and_b32_e32 v81, 0xffff, v77
	v_or_b32_e32 v82, 0x10000, v77
	s_delay_alu instid0(VALU_DEP_2) | instskip(NEXT) | instid1(VALU_DEP_2)
	v_cmp_eq_u32_e32 vcc_lo, 0, v81
	v_cndmask_b32_e32 v81, v82, v77, vcc_lo
; %bb.64:
	s_or_b32 exec_lo, exec_lo, s3
	v_and_b32_e32 v77, 0x7f800000, v78
	s_delay_alu instid0(VALU_DEP_1) | instskip(SKIP_1) | instid1(SALU_CYCLE_1)
	v_cmp_ne_u32_e32 vcc_lo, 0x7f800000, v77
                                        ; implicit-def: $vgpr77
	s_and_saveexec_b32 s3, vcc_lo
	s_xor_b32 s3, exec_lo, s3
; %bb.65:
	v_bfe_u32 v77, v78, 16, 1
	s_delay_alu instid0(VALU_DEP_1)
	v_add3_u32 v77, v78, v77, 0x7fff
                                        ; implicit-def: $vgpr78
; %bb.66:
	s_and_not1_saveexec_b32 s3, s3
; %bb.67:
	v_and_b32_e32 v77, 0xffff, v78
	v_or_b32_e32 v82, 0x10000, v78
	s_delay_alu instid0(VALU_DEP_2) | instskip(NEXT) | instid1(VALU_DEP_2)
	v_cmp_eq_u32_e32 vcc_lo, 0, v77
	v_cndmask_b32_e32 v77, v82, v78, vcc_lo
; %bb.68:
	s_or_b32 exec_lo, exec_lo, s3
	v_and_b32_e32 v78, 0x7f800000, v70
	s_delay_alu instid0(VALU_DEP_1) | instskip(SKIP_1) | instid1(SALU_CYCLE_1)
	v_cmp_ne_u32_e32 vcc_lo, 0x7f800000, v78
                                        ; implicit-def: $vgpr78
	s_and_saveexec_b32 s3, vcc_lo
	s_xor_b32 s3, exec_lo, s3
; %bb.69:
	v_bfe_u32 v78, v70, 16, 1
	s_delay_alu instid0(VALU_DEP_1)
	v_add3_u32 v78, v70, v78, 0x7fff
                                        ; implicit-def: $vgpr70
; %bb.70:
	s_and_not1_saveexec_b32 s3, s3
; %bb.71:
	v_and_b32_e32 v78, 0xffff, v70
	v_or_b32_e32 v82, 0x10000, v70
	s_delay_alu instid0(VALU_DEP_2) | instskip(NEXT) | instid1(VALU_DEP_2)
	v_cmp_eq_u32_e32 vcc_lo, 0, v78
	v_cndmask_b32_e32 v78, v82, v70, vcc_lo
; %bb.72:
	s_or_b32 exec_lo, exec_lo, s3
	v_and_b32_e32 v70, 0x7f800000, v66
	s_delay_alu instid0(VALU_DEP_1) | instskip(SKIP_1) | instid1(SALU_CYCLE_1)
	v_cmp_ne_u32_e32 vcc_lo, 0x7f800000, v70
                                        ; implicit-def: $vgpr70
	s_and_saveexec_b32 s3, vcc_lo
	s_xor_b32 s3, exec_lo, s3
; %bb.73:
	v_bfe_u32 v70, v66, 16, 1
	s_delay_alu instid0(VALU_DEP_1)
	v_add3_u32 v70, v66, v70, 0x7fff
                                        ; implicit-def: $vgpr66
; %bb.74:
	s_and_not1_saveexec_b32 s3, s3
; %bb.75:
	v_and_b32_e32 v70, 0xffff, v66
	v_or_b32_e32 v82, 0x10000, v66
	s_delay_alu instid0(VALU_DEP_2) | instskip(NEXT) | instid1(VALU_DEP_2)
	v_cmp_eq_u32_e32 vcc_lo, 0, v70
	v_cndmask_b32_e32 v70, v82, v66, vcc_lo
; %bb.76:
	s_or_b32 exec_lo, exec_lo, s3
	s_delay_alu instid0(VALU_DEP_1)
	v_perm_b32 v86, v70, v78, 0x7060302
	v_perm_b32 v85, v77, v81, 0x7060302
	;; [unrolled: 1-line block ×4, first 2 shown]
	v_lshl_or_b32 v82, v65, 11, v80
	ds_store_b128 v76, v[83:86] offset:1024
	s_waitcnt lgkmcnt(0)
	s_barrier
	buffer_gl0_inv
	ds_load_b128 v[69:72], v82
	ds_load_b128 v[83:86], v82 offset:16
	s_waitcnt lgkmcnt(1)
	v_lshrrev_b32_e32 v65, 16, v69
	v_lshlrev_b32_e32 v78, 2, v75
	s_waitcnt lgkmcnt(0)
	v_lshrrev_b32_e32 v91, 16, v83
	v_lshrrev_b32_e32 v66, 16, v70
	;; [unrolled: 1-line block ×4, first 2 shown]
	v_cmp_eq_u32_e32 vcc_lo, 1, v78
	v_lshrrev_b32_e32 v98, 16, v85
	v_lshrrev_b32_e32 v96, 16, v72
	;; [unrolled: 1-line block ×3, first 2 shown]
	v_cndmask_b32_e32 v81, v69, v65, vcc_lo
	v_or_b32_e32 v79, 1, v78
	v_cmp_eq_u32_e64 s4, 2, v78
	v_cndmask_b32_e32 v87, v83, v91, vcc_lo
	v_cmp_eq_u32_e64 s7, 3, v78
	v_cmp_eq_u32_e64 s9, 4, v78
	v_cmp_eq_u32_e64 s3, 1, v79
	v_cndmask_b32_e64 v81, v81, v70, s4
	v_cmp_eq_u32_e64 s6, 2, v79
	v_cndmask_b32_e64 v87, v87, v84, s4
	v_cmp_eq_u32_e64 s8, 3, v79
	v_cndmask_b32_e64 v88, v69, v65, s3
	v_cndmask_b32_e64 v81, v81, v66, s7
	v_or_b32_e32 v77, 2, v78
	v_cndmask_b32_e64 v87, v87, v97, s7
	v_cndmask_b32_e64 v89, v83, v91, s3
	;; [unrolled: 1-line block ×4, first 2 shown]
	v_cmp_eq_u32_e64 s10, 5, v78
	v_cndmask_b32_e64 v87, v87, v85, s9
	v_cmp_eq_u32_e64 s11, 4, v79
	v_cndmask_b32_e64 v88, v88, v66, s8
	;; [unrolled: 2-line block ×3, first 2 shown]
	v_cndmask_b32_e64 v81, v81, v95, s10
	v_cmp_eq_u32_e64 s12, 6, v78
	v_cndmask_b32_e64 v88, v88, v71, s11
	v_cndmask_b32_e64 v87, v87, v98, s10
	v_cmp_eq_u32_e64 s13, 5, v79
	v_cndmask_b32_e64 v90, v69, v65, s5
	v_cndmask_b32_e64 v89, v89, v97, s8
	;; [unrolled: 1-line block ×3, first 2 shown]
	v_cmp_eq_u32_e64 s15, 7, v78
	v_cndmask_b32_e64 v88, v88, v95, s13
	v_cndmask_b32_e64 v87, v87, v86, s12
	v_cmp_eq_u32_e64 s16, 6, v79
	v_cmp_eq_u32_e64 s17, 2, v77
	v_cndmask_b32_e64 v89, v89, v85, s11
	v_cndmask_b32_e64 v100, v81, v96, s15
	;; [unrolled: 1-line block ×6, first 2 shown]
	v_cmp_eq_u32_e64 s18, 7, v79
	v_cmp_eq_u32_e64 s19, 3, v77
	;; [unrolled: 1-line block ×4, first 2 shown]
	v_cndmask_b32_e64 v87, v87, v84, s17
	v_cndmask_b32_e64 v102, v88, v96, s18
	;; [unrolled: 1-line block ×4, first 2 shown]
	v_or_b32_e32 v81, 3, v78
	v_cndmask_b32_e64 v93, v87, v97, s19
	v_cmp_eq_u32_e64 s24, 6, v77
	v_cndmask_b32_e64 v103, v88, v86, s16
	v_cndmask_b32_e64 v92, v89, v71, s20
	v_cmp_eq_u32_e64 s21, 1, v81
	ds_load_b128 v[87:90], v82 offset:1024
	v_cmp_eq_u32_e64 s23, 2, v81
	v_cmp_eq_u32_e64 s25, 3, v81
	v_cndmask_b32_e64 v104, v92, v95, s22
	v_cndmask_b32_e64 v65, v69, v65, s21
	;; [unrolled: 1-line block ×4, first 2 shown]
	ds_load_b128 v[91:94], v82 offset:1040
	v_cmp_eq_u32_e64 s26, 4, v81
	v_cndmask_b32_e64 v65, v65, v70, s23
	v_cmp_eq_u32_e64 s28, 5, v81
	v_cndmask_b32_e64 v70, v83, v84, s23
	;; [unrolled: 2-line block ×3, first 2 shown]
	v_cndmask_b32_e64 v65, v65, v66, s25
	v_cndmask_b32_e64 v66, v104, v72, s24
	;; [unrolled: 1-line block ×3, first 2 shown]
	v_cmp_eq_u32_e64 s27, 7, v77
	v_cndmask_b32_e64 v69, v69, v86, s24
	v_cndmask_b32_e64 v65, v65, v71, s26
	s_waitcnt lgkmcnt(1)
	v_lshrrev_b32_e32 v84, 16, v87
	v_cndmask_b32_e64 v70, v70, v85, s26
	v_cndmask_b32_e64 v83, v103, v99, s18
	;; [unrolled: 1-line block ×4, first 2 shown]
	v_lshrrev_b32_e32 v95, 16, v88
	v_cndmask_b32_e64 v70, v70, v98, s28
	s_waitcnt lgkmcnt(0)
	v_lshrrev_b32_e32 v85, 16, v91
	v_cndmask_b32_e64 v97, v87, v84, s3
	v_cndmask_b32_e64 v65, v65, v72, s29
	;; [unrolled: 1-line block ×4, first 2 shown]
	v_cndmask_b32_e32 v71, v87, v84, vcc_lo
	v_cndmask_b32_e32 v98, v91, v85, vcc_lo
	v_cmp_eq_u32_e32 vcc_lo, 7, v81
	v_cndmask_b32_e64 v72, v97, v88, s6
	v_lshrrev_b32_e32 v97, 16, v92
	v_lshrrev_b32_e32 v103, 16, v90
	v_dual_cndmask_b32 v65, v65, v96 :: v_dual_cndmask_b32 v70, v70, v99
	v_cndmask_b32_e64 v71, v71, v88, s4
	v_cndmask_b32_e64 v86, v98, v92, s4
	;; [unrolled: 1-line block ×3, first 2 shown]
	v_lshrrev_b32_e32 v98, 16, v89
	v_lshrrev_b32_e32 v99, 16, v93
	v_cndmask_b32_e64 v71, v71, v95, s7
	v_cndmask_b32_e64 v86, v86, v97, s7
	;; [unrolled: 1-line block ×3, first 2 shown]
	v_perm_b32 v72, v70, v65, 0x5040100
	v_perm_b32 v70, v83, v102, 0x5040100
	v_cndmask_b32_e64 v71, v71, v89, s9
	v_cndmask_b32_e64 v86, v86, v93, s9
	;; [unrolled: 1-line block ×3, first 2 shown]
	v_lshrrev_b32_e32 v83, 16, v94
	s_delay_alu instid0(VALU_DEP_4) | instskip(NEXT) | instid1(VALU_DEP_4)
	v_cndmask_b32_e64 v71, v71, v98, s10
	v_cndmask_b32_e64 v86, v86, v99, s10
	s_delay_alu instid0(VALU_DEP_4) | instskip(NEXT) | instid1(VALU_DEP_3)
	v_cndmask_b32_e64 v65, v65, v90, s16
	v_cndmask_b32_e64 v96, v71, v90, s12
	v_perm_b32 v71, v69, v66, 0x5040100
	s_delay_alu instid0(VALU_DEP_4)
	v_cndmask_b32_e64 v69, v86, v94, s12
	v_cndmask_b32_e64 v86, v87, v84, s5
	;; [unrolled: 1-line block ×34, first 2 shown]
	v_cndmask_b32_e32 v84, v84, v103, vcc_lo
	v_cndmask_b32_e32 v86, v87, v83, vcc_lo
	v_cndmask_b32_e64 v87, v88, v83, s27
	v_cndmask_b32_e64 v88, v85, v83, s18
	;; [unrolled: 1-line block ×3, first 2 shown]
	v_perm_b32 v69, v101, v100, 0x5040100
	v_perm_b32 v86, v86, v84, 0x5040100
	v_perm_b32 v85, v87, v89, 0x5040100
	v_perm_b32 v84, v88, v65, 0x5040100
	v_perm_b32 v83, v83, v66, 0x5040100
	s_lshl_b32 s8, s35, 3
	s_mov_b32 s3, exec_lo
	ds_store_b128 v76, v[69:72]
	ds_store_b128 v76, v[83:86] offset:1024
	v_cmpx_gt_u32_e32 8, v0
	s_cbranch_execz .LBB1413_78
; %bb.77:
	v_or_b32_e32 v65, s31, v0
	s_load_b128 s[4:7], s[0:1], 0x58
	s_delay_alu instid0(VALU_DEP_1) | instskip(NEXT) | instid1(VALU_DEP_1)
	v_mad_u64_u32 v[69:70], null, s8, s30, v[65:66]
	v_mad_u64_u32 v[65:66], null, v69, s34, s[14:15]
	s_delay_alu instid0(VALU_DEP_1) | instskip(NEXT) | instid1(VALU_DEP_1)
	v_ashrrev_i32_e32 v66, 31, v65
	v_lshlrev_b64 v[65:66], 2, v[65:66]
	s_waitcnt lgkmcnt(0)
	s_delay_alu instid0(VALU_DEP_1) | instskip(NEXT) | instid1(VALU_DEP_2)
	v_add_co_u32 v69, vcc_lo, s6, v65
	v_add_co_ci_u32_e32 v70, vcc_lo, s7, v66, vcc_lo
	v_add_co_u32 v65, vcc_lo, s4, v65
	v_add_co_ci_u32_e32 v66, vcc_lo, s5, v66, vcc_lo
	global_store_b32 v[69:70], v67, off
	global_store_b32 v[65:66], v68, off
.LBB1413_78:
	s_or_b32 exec_lo, exec_lo, s3
	s_waitcnt lgkmcnt(0)
	s_waitcnt_vscnt null, 0x0
	s_barrier
	buffer_gl0_inv
	ds_load_b128 v[83:86], v80
	ds_load_b128 v[87:90], v80 offset:16
	ds_load_b128 v[95:98], v80 offset:2064
	;; [unrolled: 1-line block ×3, first 2 shown]
	v_mov_b32_e32 v65, 0
	ds_load_b128 v[103:106], v80 offset:4112
	ds_load_b128 v[99:102], v80 offset:4096
	;; [unrolled: 1-line block ×4, first 2 shown]
	v_mov_b32_e32 v66, v65
	v_mov_b32_e32 v67, v65
	;; [unrolled: 1-line block ×7, first 2 shown]
	s_waitcnt lgkmcnt(6)
	s_delay_alu instid0(VALU_DEP_1)
	v_wmma_f32_16x16x16_bf16 v[65:72], v[57:64], v[83:90], v[65:72]
	ds_load_b128 v[61:64], v80 offset:8208
	ds_load_b128 v[57:60], v80 offset:8192
	s_waitcnt lgkmcnt(6)
	v_wmma_f32_16x16x16_bf16 v[65:72], v[41:48], v[91:98], v[65:72]
	ds_load_b128 v[45:48], v80 offset:10256
	ds_load_b128 v[41:44], v80 offset:10240
	s_waitcnt lgkmcnt(6)
	;; [unrolled: 4-line block ×4, first 2 shown]
	v_wmma_f32_16x16x16_bf16 v[65:72], v[1:8], v[57:64], v[65:72]
	s_waitcnt lgkmcnt(4)
	s_delay_alu instid0(VALU_DEP_1) | instskip(SKIP_1) | instid1(VALU_DEP_1)
	v_wmma_f32_16x16x16_bf16 v[65:72], v[9:16], v[41:48], v[65:72]
	s_waitcnt lgkmcnt(2)
	v_wmma_f32_16x16x16_bf16 v[65:72], v[17:24], v[33:40], v[65:72]
	s_waitcnt lgkmcnt(0)
	s_delay_alu instid0(VALU_DEP_1) | instskip(NEXT) | instid1(VALU_DEP_1)
	v_wmma_f32_16x16x16_bf16 v[65:72], v[49:56], v[25:32], v[65:72]
	v_and_b32_e32 v1, 0x7f800000, v65
	s_delay_alu instid0(VALU_DEP_1) | instskip(SKIP_1) | instid1(SALU_CYCLE_1)
	v_cmp_ne_u32_e32 vcc_lo, 0x7f800000, v1
                                        ; implicit-def: $vgpr1
	s_and_saveexec_b32 s3, vcc_lo
	s_xor_b32 s3, exec_lo, s3
; %bb.79:
	v_bfe_u32 v1, v65, 16, 1
	s_delay_alu instid0(VALU_DEP_1)
	v_add3_u32 v1, v65, v1, 0x7fff
; %bb.80:
	s_and_not1_saveexec_b32 s3, s3
; %bb.81:
	v_and_b32_e32 v1, 0xffff, v65
	v_or_b32_e32 v2, 0x10000, v65
	s_delay_alu instid0(VALU_DEP_2) | instskip(NEXT) | instid1(VALU_DEP_2)
	v_cmp_eq_u32_e32 vcc_lo, 0, v1
	v_cndmask_b32_e32 v1, v2, v65, vcc_lo
; %bb.82:
	s_or_b32 exec_lo, exec_lo, s3
	v_and_b32_e32 v2, 0x7f800000, v66
	s_delay_alu instid0(VALU_DEP_1) | instskip(SKIP_1) | instid1(SALU_CYCLE_1)
	v_cmp_ne_u32_e32 vcc_lo, 0x7f800000, v2
                                        ; implicit-def: $vgpr2
	s_and_saveexec_b32 s3, vcc_lo
	s_xor_b32 s3, exec_lo, s3
; %bb.83:
	v_bfe_u32 v2, v66, 16, 1
	s_delay_alu instid0(VALU_DEP_1)
	v_add3_u32 v2, v66, v2, 0x7fff
; %bb.84:
	s_and_not1_saveexec_b32 s3, s3
; %bb.85:
	v_and_b32_e32 v2, 0xffff, v66
	v_or_b32_e32 v3, 0x10000, v66
	s_delay_alu instid0(VALU_DEP_2) | instskip(NEXT) | instid1(VALU_DEP_2)
	v_cmp_eq_u32_e32 vcc_lo, 0, v2
	v_cndmask_b32_e32 v2, v3, v66, vcc_lo
; %bb.86:
	s_or_b32 exec_lo, exec_lo, s3
	v_and_b32_e32 v3, 0x7f800000, v67
	s_delay_alu instid0(VALU_DEP_1) | instskip(SKIP_1) | instid1(SALU_CYCLE_1)
	v_cmp_ne_u32_e32 vcc_lo, 0x7f800000, v3
                                        ; implicit-def: $vgpr3
	s_and_saveexec_b32 s3, vcc_lo
	s_xor_b32 s3, exec_lo, s3
; %bb.87:
	v_bfe_u32 v3, v67, 16, 1
	s_delay_alu instid0(VALU_DEP_1)
	v_add3_u32 v3, v67, v3, 0x7fff
; %bb.88:
	s_and_not1_saveexec_b32 s3, s3
; %bb.89:
	v_and_b32_e32 v3, 0xffff, v67
	v_or_b32_e32 v4, 0x10000, v67
	s_delay_alu instid0(VALU_DEP_2) | instskip(NEXT) | instid1(VALU_DEP_2)
	v_cmp_eq_u32_e32 vcc_lo, 0, v3
	v_cndmask_b32_e32 v3, v4, v67, vcc_lo
; %bb.90:
	s_or_b32 exec_lo, exec_lo, s3
	v_and_b32_e32 v4, 0x7f800000, v68
	s_delay_alu instid0(VALU_DEP_1) | instskip(SKIP_1) | instid1(SALU_CYCLE_1)
	v_cmp_ne_u32_e32 vcc_lo, 0x7f800000, v4
                                        ; implicit-def: $vgpr4
	s_and_saveexec_b32 s3, vcc_lo
	s_xor_b32 s3, exec_lo, s3
; %bb.91:
	v_bfe_u32 v4, v68, 16, 1
	s_delay_alu instid0(VALU_DEP_1)
	v_add3_u32 v4, v68, v4, 0x7fff
; %bb.92:
	s_and_not1_saveexec_b32 s3, s3
; %bb.93:
	v_and_b32_e32 v4, 0xffff, v68
	v_or_b32_e32 v5, 0x10000, v68
	s_delay_alu instid0(VALU_DEP_2) | instskip(NEXT) | instid1(VALU_DEP_2)
	v_cmp_eq_u32_e32 vcc_lo, 0, v4
	v_cndmask_b32_e32 v4, v5, v68, vcc_lo
; %bb.94:
	s_or_b32 exec_lo, exec_lo, s3
	v_and_b32_e32 v5, 0x7f800000, v69
	s_delay_alu instid0(VALU_DEP_1) | instskip(SKIP_1) | instid1(SALU_CYCLE_1)
	v_cmp_ne_u32_e32 vcc_lo, 0x7f800000, v5
                                        ; implicit-def: $vgpr5
	s_and_saveexec_b32 s3, vcc_lo
	s_xor_b32 s3, exec_lo, s3
; %bb.95:
	v_bfe_u32 v5, v69, 16, 1
	s_delay_alu instid0(VALU_DEP_1)
	v_add3_u32 v5, v69, v5, 0x7fff
; %bb.96:
	s_and_not1_saveexec_b32 s3, s3
; %bb.97:
	v_and_b32_e32 v5, 0xffff, v69
	v_or_b32_e32 v6, 0x10000, v69
	s_delay_alu instid0(VALU_DEP_2) | instskip(NEXT) | instid1(VALU_DEP_2)
	v_cmp_eq_u32_e32 vcc_lo, 0, v5
	v_cndmask_b32_e32 v5, v6, v69, vcc_lo
; %bb.98:
	s_or_b32 exec_lo, exec_lo, s3
	v_and_b32_e32 v6, 0x7f800000, v70
	s_delay_alu instid0(VALU_DEP_1) | instskip(SKIP_1) | instid1(SALU_CYCLE_1)
	v_cmp_ne_u32_e32 vcc_lo, 0x7f800000, v6
                                        ; implicit-def: $vgpr6
	s_and_saveexec_b32 s3, vcc_lo
	s_xor_b32 s3, exec_lo, s3
; %bb.99:
	v_bfe_u32 v6, v70, 16, 1
	s_delay_alu instid0(VALU_DEP_1)
	v_add3_u32 v6, v70, v6, 0x7fff
; %bb.100:
	s_and_not1_saveexec_b32 s3, s3
; %bb.101:
	v_and_b32_e32 v6, 0xffff, v70
	v_or_b32_e32 v7, 0x10000, v70
	s_delay_alu instid0(VALU_DEP_2) | instskip(NEXT) | instid1(VALU_DEP_2)
	v_cmp_eq_u32_e32 vcc_lo, 0, v6
	v_cndmask_b32_e32 v6, v7, v70, vcc_lo
; %bb.102:
	s_or_b32 exec_lo, exec_lo, s3
	v_and_b32_e32 v7, 0x7f800000, v71
	s_delay_alu instid0(VALU_DEP_1) | instskip(SKIP_1) | instid1(SALU_CYCLE_1)
	v_cmp_ne_u32_e32 vcc_lo, 0x7f800000, v7
                                        ; implicit-def: $vgpr7
	s_and_saveexec_b32 s3, vcc_lo
	s_xor_b32 s3, exec_lo, s3
; %bb.103:
	v_bfe_u32 v7, v71, 16, 1
	s_delay_alu instid0(VALU_DEP_1)
	v_add3_u32 v7, v71, v7, 0x7fff
; %bb.104:
	s_and_not1_saveexec_b32 s3, s3
; %bb.105:
	v_and_b32_e32 v7, 0xffff, v71
	v_or_b32_e32 v8, 0x10000, v71
	s_delay_alu instid0(VALU_DEP_2) | instskip(NEXT) | instid1(VALU_DEP_2)
	v_cmp_eq_u32_e32 vcc_lo, 0, v7
	v_cndmask_b32_e32 v7, v8, v71, vcc_lo
; %bb.106:
	s_or_b32 exec_lo, exec_lo, s3
	v_and_b32_e32 v8, 0x7f800000, v72
	s_delay_alu instid0(VALU_DEP_1) | instskip(SKIP_1) | instid1(SALU_CYCLE_1)
	v_cmp_ne_u32_e32 vcc_lo, 0x7f800000, v8
                                        ; implicit-def: $vgpr8
	s_and_saveexec_b32 s3, vcc_lo
	s_xor_b32 s3, exec_lo, s3
; %bb.107:
	v_bfe_u32 v8, v72, 16, 1
	s_delay_alu instid0(VALU_DEP_1)
	v_add3_u32 v8, v72, v8, 0x7fff
                                        ; implicit-def: $vgpr65_vgpr66_vgpr67_vgpr68_vgpr69_vgpr70_vgpr71_vgpr72
; %bb.108:
	s_and_not1_saveexec_b32 s3, s3
; %bb.109:
	v_and_b32_e32 v8, 0xffff, v72
	v_or_b32_e32 v9, 0x10000, v72
	s_delay_alu instid0(VALU_DEP_2) | instskip(NEXT) | instid1(VALU_DEP_2)
	v_cmp_eq_u32_e32 vcc_lo, 0, v8
	v_cndmask_b32_e32 v8, v9, v72, vcc_lo
; %bb.110:
	s_or_b32 exec_lo, exec_lo, s3
	s_delay_alu instid0(VALU_DEP_1)
	v_perm_b32 v7, v8, v7, 0x7060302
	v_perm_b32 v6, v6, v5, 0x7060302
	;; [unrolled: 1-line block ×4, first 2 shown]
	s_barrier
	buffer_gl0_inv
	v_cmp_eq_u32_e32 vcc_lo, 1, v78
	ds_store_b128 v76, v[4:7]
	s_waitcnt lgkmcnt(0)
	s_barrier
	buffer_gl0_inv
	ds_load_b128 v[1:4], v82
	ds_load_b128 v[5:8], v82 offset:16
	v_cmp_eq_u32_e64 s3, 1, v79
	v_cmp_eq_u32_e64 s4, 2, v78
	;; [unrolled: 1-line block ×5, first 2 shown]
	s_waitcnt lgkmcnt(1)
	v_lshrrev_b32_e32 v9, 16, v1
	s_waitcnt lgkmcnt(0)
	v_lshrrev_b32_e32 v13, 16, v5
	v_lshrrev_b32_e32 v10, 16, v2
	;; [unrolled: 1-line block ×4, first 2 shown]
	v_cndmask_b32_e64 v19, v1, v9, s3
	v_cndmask_b32_e32 v18, v5, v13, vcc_lo
	v_cndmask_b32_e64 v20, v5, v13, s3
	v_cndmask_b32_e32 v17, v1, v9, vcc_lo
	v_cmp_eq_u32_e32 vcc_lo, 2, v79
	v_lshrrev_b32_e32 v15, 16, v7
	v_cmp_eq_u32_e64 s3, 1, v77
	v_lshrrev_b32_e32 v12, 16, v4
	v_lshrrev_b32_e32 v16, 16, v8
	v_cndmask_b32_e32 v20, v20, v6, vcc_lo
	v_cndmask_b32_e64 v17, v17, v2, s4
	v_cndmask_b32_e32 v19, v19, v2, vcc_lo
	v_cndmask_b32_e64 v18, v18, v6, s4
	v_cmp_eq_u32_e32 vcc_lo, 4, v78
	v_cmp_eq_u32_e64 s4, 3, v79
	v_cndmask_b32_e64 v17, v17, v10, s5
	v_cndmask_b32_e64 v21, v1, v9, s3
	;; [unrolled: 1-line block ×5, first 2 shown]
	v_cndmask_b32_e32 v17, v17, v3, vcc_lo
	v_cndmask_b32_e64 v20, v20, v14, s4
	v_cndmask_b32_e32 v18, v18, v7, vcc_lo
	v_cmp_eq_u32_e32 vcc_lo, 4, v79
	v_cmp_eq_u32_e64 s4, 5, v79
	v_cmp_eq_u32_e64 s3, 2, v81
	v_cndmask_b32_e64 v21, v21, v2, s7
	v_cmp_eq_u32_e64 s5, 5, v78
	v_cndmask_b32_e32 v19, v19, v3, vcc_lo
	v_cndmask_b32_e32 v20, v20, v7, vcc_lo
	v_cmp_eq_u32_e32 vcc_lo, 6, v79
	s_delay_alu instid0(VALU_DEP_4) | instskip(NEXT) | instid1(VALU_DEP_4)
	v_cndmask_b32_e64 v17, v17, v11, s5
	v_cndmask_b32_e64 v19, v19, v11, s4
	s_delay_alu instid0(VALU_DEP_4) | instskip(SKIP_1) | instid1(VALU_DEP_3)
	v_cndmask_b32_e64 v20, v20, v15, s4
	v_cmp_eq_u32_e64 s4, 1, v81
	v_cndmask_b32_e32 v19, v19, v4, vcc_lo
	v_cndmask_b32_e64 v18, v18, v15, s5
	s_delay_alu instid0(VALU_DEP_3)
	v_cndmask_b32_e64 v1, v1, v9, s4
	v_cndmask_b32_e64 v5, v5, v13, s4
	v_cmp_eq_u32_e64 s4, 3, v77
	v_cndmask_b32_e64 v13, v22, v6, s7
	v_cmp_eq_u32_e64 s7, 3, v81
	v_cndmask_b32_e64 v1, v1, v2, s3
	v_cndmask_b32_e64 v2, v5, v6, s3
	;; [unrolled: 1-line block ×3, first 2 shown]
	v_cmp_eq_u32_e64 s3, 4, v77
	v_cndmask_b32_e64 v6, v13, v14, s4
	v_cndmask_b32_e64 v1, v1, v10, s7
	v_cmp_eq_u32_e64 s4, 4, v81
	v_cndmask_b32_e64 v2, v2, v14, s7
	v_cndmask_b32_e64 v5, v9, v3, s3
	;; [unrolled: 3-line block ×3, first 2 shown]
	v_cndmask_b32_e64 v2, v2, v7, s4
	v_cmp_eq_u32_e64 s3, 5, v81
	v_cmp_eq_u32_e64 s5, 6, v78
	v_cndmask_b32_e64 v5, v5, v11, s7
	v_cmp_eq_u32_e64 s4, 6, v77
	v_cndmask_b32_e64 v3, v6, v15, s7
	v_cndmask_b32_e64 v1, v1, v11, s3
	v_cmp_eq_u32_e64 s7, 6, v81
	v_cndmask_b32_e64 v2, v2, v15, s3
	v_cndmask_b32_e64 v17, v17, v4, s5
	v_cndmask_b32_e64 v18, v18, v8, s5
	v_cmp_eq_u32_e64 s5, 7, v78
	v_cndmask_b32_e64 v5, v5, v4, s4
	;; [unrolled: 4-line block ×3, first 2 shown]
	v_cmp_eq_u32_e64 s4, 7, v77
	v_cndmask_b32_e32 v4, v20, v8, vcc_lo
	v_cndmask_b32_e64 v17, v17, v12, s5
	v_cndmask_b32_e64 v19, v19, v12, s6
	;; [unrolled: 1-line block ×8, first 2 shown]
	v_cmp_gt_u32_e32 vcc_lo, 32, v0
	v_perm_b32 v4, v2, v1, 0x5040100
	v_perm_b32 v3, v3, v5, 0x5040100
	;; [unrolled: 1-line block ×4, first 2 shown]
	s_and_b32 s2, vcc_lo, s2
	ds_store_b128 v76, v[1:4]
	s_waitcnt lgkmcnt(0)
	s_barrier
	buffer_gl0_inv
	s_and_saveexec_b32 s3, s2
	s_cbranch_execz .LBB1413_2
; %bb.111:
	s_load_b64 s[0:1], s[0:1], 0x68
	s_lshl_b32 s4, s34, 6
	v_or_b32_e32 v2, s31, v75
	s_mul_i32 s2, s4, s30
	v_lshlrev_b32_e32 v1, 10, v0
	s_mul_i32 s2, s2, s8
	v_lshlrev_b32_e32 v3, 4, v74
	v_mul_lo_u32 v0, v2, s4
	s_ashr_i32 s3, s2, 31
	v_lshlrev_b32_e32 v4, 6, v75
	v_and_b32_e32 v1, 0x3800, v1
	v_or_b32_e32 v5, 2, v2
	s_lshl_b64 s[2:3], s[2:3], 1
	v_or_b32_e32 v6, 4, v2
	v_or_b32_e32 v7, 6, v2
	v_or3_b32 v12, v1, v3, v4
	v_ashrrev_i32_e32 v1, 31, v0
	v_mul_lo_u32 v2, v5, s4
	v_mul_lo_u32 v16, v6, s4
	;; [unrolled: 1-line block ×3, first 2 shown]
	s_waitcnt lgkmcnt(0)
	s_add_u32 s2, s0, s2
	s_addc_u32 s3, s1, s3
	s_lshl_b32 s0, s14, 6
	v_lshlrev_b64 v[0:1], 1, v[0:1]
	s_ashr_i32 s1, s0, 31
	v_ashrrev_i32_e32 v3, 31, v2
	s_lshl_b64 s[0:1], s[0:1], 1
	v_ashrrev_i32_e32 v17, 31, v16
	s_add_u32 s0, s2, s0
	s_addc_u32 s1, s3, s1
	v_add_co_u32 v24, s0, s0, v73
	s_delay_alu instid0(VALU_DEP_1) | instskip(SKIP_1) | instid1(VALU_DEP_3)
	v_add_co_ci_u32_e64 v25, null, s1, 0, s0
	v_lshlrev_b64 v[22:23], 1, v[2:3]
	v_add_co_u32 v18, vcc_lo, v24, v0
	s_delay_alu instid0(VALU_DEP_3)
	v_add_co_ci_u32_e32 v19, vcc_lo, v25, v1, vcc_lo
	ds_load_b128 v[0:3], v12
	ds_load_b128 v[4:7], v12 offset:128
	ds_load_b128 v[8:11], v12 offset:256
	;; [unrolled: 1-line block ×3, first 2 shown]
	v_ashrrev_i32_e32 v21, 31, v20
	v_lshlrev_b64 v[16:17], 1, v[16:17]
	v_add_co_u32 v22, vcc_lo, v24, v22
	v_add_co_ci_u32_e32 v23, vcc_lo, v25, v23, vcc_lo
	s_delay_alu instid0(VALU_DEP_4) | instskip(NEXT) | instid1(VALU_DEP_4)
	v_lshlrev_b64 v[20:21], 1, v[20:21]
	v_add_co_u32 v16, vcc_lo, v24, v16
	v_add_co_ci_u32_e32 v17, vcc_lo, v25, v17, vcc_lo
	s_delay_alu instid0(VALU_DEP_3) | instskip(NEXT) | instid1(VALU_DEP_4)
	v_add_co_u32 v20, vcc_lo, v24, v20
	v_add_co_ci_u32_e32 v21, vcc_lo, v25, v21, vcc_lo
	s_waitcnt lgkmcnt(3)
	global_store_b128 v[18:19], v[0:3], off
	s_waitcnt lgkmcnt(2)
	global_store_b128 v[22:23], v[4:7], off
	;; [unrolled: 2-line block ×4, first 2 shown]
	s_nop 0
	s_sendmsg sendmsg(MSG_DEALLOC_VGPRS)
	s_endpgm
	.section	.rodata,"a",@progbits
	.p2align	6, 0x0
	.amdhsa_kernel _Z39paged_attention_ll4mi_QKV_mfma16_kernelI14__hip_bfloat16hLN4vllm18Fp8KVCacheDataTypeE1ES0_Li16ELi64ELi256ELb0ELi8EL8MFMAType1EEvPKT_PKT0_S9_ifPKiSB_SB_iPKfiiiPfSE_PS4_PT2_iSD_SD_
		.amdhsa_group_segment_fixed_size 17472
		.amdhsa_private_segment_fixed_size 0
		.amdhsa_kernarg_size 400
		.amdhsa_user_sgpr_count 13
		.amdhsa_user_sgpr_dispatch_ptr 0
		.amdhsa_user_sgpr_queue_ptr 0
		.amdhsa_user_sgpr_kernarg_segment_ptr 1
		.amdhsa_user_sgpr_dispatch_id 0
		.amdhsa_user_sgpr_private_segment_size 0
		.amdhsa_wavefront_size32 1
		.amdhsa_uses_dynamic_stack 0
		.amdhsa_enable_private_segment 0
		.amdhsa_system_sgpr_workgroup_id_x 1
		.amdhsa_system_sgpr_workgroup_id_y 1
		.amdhsa_system_sgpr_workgroup_id_z 1
		.amdhsa_system_sgpr_workgroup_info 0
		.amdhsa_system_vgpr_workitem_id 0
		.amdhsa_next_free_vgpr 124
		.amdhsa_next_free_sgpr 38
		.amdhsa_reserve_vcc 1
		.amdhsa_float_round_mode_32 0
		.amdhsa_float_round_mode_16_64 0
		.amdhsa_float_denorm_mode_32 3
		.amdhsa_float_denorm_mode_16_64 3
		.amdhsa_dx10_clamp 1
		.amdhsa_ieee_mode 1
		.amdhsa_fp16_overflow 0
		.amdhsa_workgroup_processor_mode 1
		.amdhsa_memory_ordered 1
		.amdhsa_forward_progress 0
		.amdhsa_shared_vgpr_count 0
		.amdhsa_exception_fp_ieee_invalid_op 0
		.amdhsa_exception_fp_denorm_src 0
		.amdhsa_exception_fp_ieee_div_zero 0
		.amdhsa_exception_fp_ieee_overflow 0
		.amdhsa_exception_fp_ieee_underflow 0
		.amdhsa_exception_fp_ieee_inexact 0
		.amdhsa_exception_int_div_zero 0
	.end_amdhsa_kernel
	.section	.text._Z39paged_attention_ll4mi_QKV_mfma16_kernelI14__hip_bfloat16hLN4vllm18Fp8KVCacheDataTypeE1ES0_Li16ELi64ELi256ELb0ELi8EL8MFMAType1EEvPKT_PKT0_S9_ifPKiSB_SB_iPKfiiiPfSE_PS4_PT2_iSD_SD_,"axG",@progbits,_Z39paged_attention_ll4mi_QKV_mfma16_kernelI14__hip_bfloat16hLN4vllm18Fp8KVCacheDataTypeE1ES0_Li16ELi64ELi256ELb0ELi8EL8MFMAType1EEvPKT_PKT0_S9_ifPKiSB_SB_iPKfiiiPfSE_PS4_PT2_iSD_SD_,comdat
.Lfunc_end1413:
	.size	_Z39paged_attention_ll4mi_QKV_mfma16_kernelI14__hip_bfloat16hLN4vllm18Fp8KVCacheDataTypeE1ES0_Li16ELi64ELi256ELb0ELi8EL8MFMAType1EEvPKT_PKT0_S9_ifPKiSB_SB_iPKfiiiPfSE_PS4_PT2_iSD_SD_, .Lfunc_end1413-_Z39paged_attention_ll4mi_QKV_mfma16_kernelI14__hip_bfloat16hLN4vllm18Fp8KVCacheDataTypeE1ES0_Li16ELi64ELi256ELb0ELi8EL8MFMAType1EEvPKT_PKT0_S9_ifPKiSB_SB_iPKfiiiPfSE_PS4_PT2_iSD_SD_
                                        ; -- End function
	.section	.AMDGPU.csdata,"",@progbits
; Kernel info:
; codeLenInByte = 8724
; NumSgprs: 40
; NumVgprs: 124
; ScratchSize: 0
; MemoryBound: 0
; FloatMode: 240
; IeeeMode: 1
; LDSByteSize: 17472 bytes/workgroup (compile time only)
; SGPRBlocks: 4
; VGPRBlocks: 15
; NumSGPRsForWavesPerEU: 40
; NumVGPRsForWavesPerEU: 124
; Occupancy: 10
; WaveLimiterHint : 1
; COMPUTE_PGM_RSRC2:SCRATCH_EN: 0
; COMPUTE_PGM_RSRC2:USER_SGPR: 13
; COMPUTE_PGM_RSRC2:TRAP_HANDLER: 0
; COMPUTE_PGM_RSRC2:TGID_X_EN: 1
; COMPUTE_PGM_RSRC2:TGID_Y_EN: 1
; COMPUTE_PGM_RSRC2:TGID_Z_EN: 1
; COMPUTE_PGM_RSRC2:TIDIG_COMP_CNT: 0
	.section	.text._Z39paged_attention_ll4mi_QKV_mfma16_kernelI14__hip_bfloat16hLN4vllm18Fp8KVCacheDataTypeE1ES0_Li16ELi64ELi256ELb0ELi9EL8MFMAType1EEvPKT_PKT0_S9_ifPKiSB_SB_iPKfiiiPfSE_PS4_PT2_iSD_SD_,"axG",@progbits,_Z39paged_attention_ll4mi_QKV_mfma16_kernelI14__hip_bfloat16hLN4vllm18Fp8KVCacheDataTypeE1ES0_Li16ELi64ELi256ELb0ELi9EL8MFMAType1EEvPKT_PKT0_S9_ifPKiSB_SB_iPKfiiiPfSE_PS4_PT2_iSD_SD_,comdat
	.protected	_Z39paged_attention_ll4mi_QKV_mfma16_kernelI14__hip_bfloat16hLN4vllm18Fp8KVCacheDataTypeE1ES0_Li16ELi64ELi256ELb0ELi9EL8MFMAType1EEvPKT_PKT0_S9_ifPKiSB_SB_iPKfiiiPfSE_PS4_PT2_iSD_SD_ ; -- Begin function _Z39paged_attention_ll4mi_QKV_mfma16_kernelI14__hip_bfloat16hLN4vllm18Fp8KVCacheDataTypeE1ES0_Li16ELi64ELi256ELb0ELi9EL8MFMAType1EEvPKT_PKT0_S9_ifPKiSB_SB_iPKfiiiPfSE_PS4_PT2_iSD_SD_
	.globl	_Z39paged_attention_ll4mi_QKV_mfma16_kernelI14__hip_bfloat16hLN4vllm18Fp8KVCacheDataTypeE1ES0_Li16ELi64ELi256ELb0ELi9EL8MFMAType1EEvPKT_PKT0_S9_ifPKiSB_SB_iPKfiiiPfSE_PS4_PT2_iSD_SD_
	.p2align	8
	.type	_Z39paged_attention_ll4mi_QKV_mfma16_kernelI14__hip_bfloat16hLN4vllm18Fp8KVCacheDataTypeE1ES0_Li16ELi64ELi256ELb0ELi9EL8MFMAType1EEvPKT_PKT0_S9_ifPKiSB_SB_iPKfiiiPfSE_PS4_PT2_iSD_SD_,@function
_Z39paged_attention_ll4mi_QKV_mfma16_kernelI14__hip_bfloat16hLN4vllm18Fp8KVCacheDataTypeE1ES0_Li16ELi64ELi256ELb0ELi9EL8MFMAType1EEvPKT_PKT0_S9_ifPKiSB_SB_iPKfiiiPfSE_PS4_PT2_iSD_SD_: ; @_Z39paged_attention_ll4mi_QKV_mfma16_kernelI14__hip_bfloat16hLN4vllm18Fp8KVCacheDataTypeE1ES0_Li16ELi64ELi256ELb0ELi9EL8MFMAType1EEvPKT_PKT0_S9_ifPKiSB_SB_iPKfiiiPfSE_PS4_PT2_iSD_SD_
; %bb.0:
	s_load_b64 s[2:3], s[0:1], 0x30
	s_mov_b32 s34, s13
	s_waitcnt lgkmcnt(0)
	s_cmp_lg_u64 s[2:3], 0
	s_cselect_b32 s8, -1, 0
	s_ashr_i32 s35, s13, 31
	s_cmp_eq_u64 s[2:3], 0
	s_cbranch_scc1 .LBB1414_3
; %bb.1:
	s_lshl_b64 s[4:5], s[34:35], 2
	s_delay_alu instid0(SALU_CYCLE_1) | instskip(SKIP_4) | instid1(SALU_CYCLE_1)
	s_add_u32 s4, s2, s4
	s_addc_u32 s5, s3, s5
	s_load_b64 s[4:5], s[4:5], 0x0
	s_waitcnt lgkmcnt(0)
	s_sub_i32 s4, s5, s4
	s_cmp_eq_u32 s4, 1
	s_cselect_b32 s4, -1, 0
	s_delay_alu instid0(SALU_CYCLE_1)
	s_and_not1_b32 vcc_lo, exec_lo, s4
	s_cbranch_vccz .LBB1414_4
.LBB1414_2:
	s_nop 0
	s_sendmsg sendmsg(MSG_DEALLOC_VGPRS)
	s_endpgm
.LBB1414_3:
.LBB1414_4:
	s_load_b64 s[4:5], s[0:1], 0x28
	s_lshl_b64 s[6:7], s[34:35], 2
	s_waitcnt lgkmcnt(0)
	s_add_u32 s4, s4, s6
	s_addc_u32 s5, s5, s7
	s_lshl_b32 s12, s14, 8
	s_load_b32 s24, s[4:5], 0x0
	s_waitcnt lgkmcnt(0)
	s_cmp_ge_i32 s12, s24
	s_cbranch_scc1 .LBB1414_2
; %bb.5:
	s_clause 0x1
	s_load_b128 s[20:23], s[0:1], 0x8
	s_load_b64 s[4:5], s[0:1], 0x20
	s_and_not1_b32 vcc_lo, exec_lo, s8
	s_cbranch_vccnz .LBB1414_7
; %bb.6:
	s_add_u32 s2, s2, s6
	s_addc_u32 s3, s3, s7
	s_load_b32 s3, s[2:3], 0x0
	s_branch .LBB1414_8
.LBB1414_7:
	s_mov_b32 s3, s34
.LBB1414_8:
	s_load_b128 s[16:19], s[0:1], 0x48
	v_lshrrev_b32_e32 v66, 5, v0
	v_bfe_u32 v74, v0, 4, 1
	v_and_b32_e32 v65, 15, v0
	v_and_b32_e32 v67, 31, v0
	;; [unrolled: 1-line block ×3, first 2 shown]
	s_mul_i32 s31, s15, 9
	v_lshl_or_b32 v1, v66, 1, v74
	v_lshlrev_b32_e32 v2, 3, v65
	v_cmp_gt_u32_e64 s2, 8, v65
	s_delay_alu instid0(VALU_DEP_3) | instskip(NEXT) | instid1(VALU_DEP_3)
	v_cmp_gt_u32_e32 vcc_lo, 9, v1
	v_lshlrev_b32_e32 v73, 1, v2
	s_delay_alu instid0(VALU_DEP_3) | instskip(NEXT) | instid1(SALU_CYCLE_1)
	s_and_b32 s7, s2, vcc_lo
	s_and_saveexec_b32 s6, s7
	s_cbranch_execz .LBB1414_10
; %bb.9:
	s_load_b64 s[8:9], s[0:1], 0x0
	v_add_lshl_u32 v2, v1, s31, 6
	s_waitcnt lgkmcnt(0)
	s_mul_hi_i32 s11, s3, s16
	s_mul_i32 s10, s3, s16
	v_lshlrev_b32_e32 v6, 10, v65
	s_lshl_b64 s[10:11], s[10:11], 1
	v_ashrrev_i32_e32 v3, 31, v2
	v_lshlrev_b32_e32 v1, 6, v1
	v_lshlrev_b32_e32 v7, 10, v75
	v_and_b32_e32 v6, 0x3800, v6
	s_delay_alu instid0(VALU_DEP_4) | instskip(NEXT) | instid1(VALU_DEP_2)
	v_lshlrev_b64 v[2:3], 1, v[2:3]
	v_or3_b32 v1, v6, v7, v1
	s_add_u32 s3, s8, s10
	s_addc_u32 s7, s9, s11
	s_delay_alu instid0(VALU_DEP_2) | instskip(NEXT) | instid1(VALU_DEP_3)
	v_add_co_u32 v2, vcc_lo, s3, v2
	v_add_co_ci_u32_e32 v3, vcc_lo, s7, v3, vcc_lo
	s_delay_alu instid0(VALU_DEP_2) | instskip(NEXT) | instid1(VALU_DEP_2)
	v_add_co_u32 v2, vcc_lo, v2, v73
	v_add_co_ci_u32_e32 v3, vcc_lo, 0, v3, vcc_lo
	global_load_b128 v[2:5], v[2:3], off
	s_waitcnt vmcnt(0)
	ds_store_b128 v1, v[2:5]
.LBB1414_10:
	s_or_b32 exec_lo, exec_lo, s6
	v_and_b32_e32 v1, 0xef, v0
	s_waitcnt lgkmcnt(0)
	s_add_i32 s3, s24, 15
	s_clause 0x1
	s_load_b32 s6, s[0:1], 0x38
	s_load_b32 s19, s[0:1], 0x1c
	s_ashr_i32 s7, s3, 31
	v_add_nc_u32_e32 v1, s12, v1
	s_lshr_b32 s7, s7, 28
	s_waitcnt lgkmcnt(0)
	s_add_i32 s3, s3, s7
	s_barrier
	v_ashrrev_i32_e32 v2, 31, v1
	v_or_b32_e32 v3, 16, v1
	s_ashr_i32 s3, s3, 4
	v_cmp_gt_i32_e32 vcc_lo, s24, v1
	s_add_i32 s3, s3, -1
	v_lshrrev_b32_e32 v2, 28, v2
	buffer_gl0_inv
	s_mul_i32 s27, s15, s18
	v_add_nc_u32_e32 v4, v1, v2
	s_mul_i32 s6, s34, s6
	s_delay_alu instid0(SALU_CYCLE_1) | instskip(NEXT) | instid1(VALU_DEP_1)
	s_ashr_i32 s7, s6, 31
	v_ashrrev_i32_e32 v4, 4, v4
	v_add_nc_u32_e32 v2, v3, v2
	s_lshl_b64 s[6:7], s[6:7], 2
	s_delay_alu instid0(SALU_CYCLE_1) | instskip(NEXT) | instid1(VALU_DEP_2)
	s_add_u32 s26, s4, s6
	v_cndmask_b32_e32 v1, s3, v4, vcc_lo
	s_delay_alu instid0(VALU_DEP_2)
	v_ashrrev_i32_e32 v2, 4, v2
	v_cmp_gt_i32_e32 vcc_lo, s24, v3
	s_addc_u32 s25, s5, s7
	s_ashr_i32 s28, s27, 31
	s_add_u32 s13, s20, s27
	s_addc_u32 s15, s21, s28
	v_cndmask_b32_e32 v3, s3, v2, vcc_lo
	v_ashrrev_i32_e32 v2, 31, v1
	s_lshl_b32 s4, s14, 4
	s_delay_alu instid0(SALU_CYCLE_1) | instskip(NEXT) | instid1(VALU_DEP_2)
	s_ashr_i32 s5, s4, 31
	v_ashrrev_i32_e32 v4, 31, v3
	s_delay_alu instid0(VALU_DEP_2) | instskip(SKIP_1) | instid1(SALU_CYCLE_1)
	v_lshlrev_b64 v[1:2], 2, v[1:2]
	s_lshl_b64 s[4:5], s[4:5], 2
	s_add_u32 s4, s26, s4
	s_delay_alu instid0(VALU_DEP_2) | instskip(SKIP_1) | instid1(VALU_DEP_2)
	v_lshlrev_b64 v[3:4], 2, v[3:4]
	s_addc_u32 s5, s25, s5
	v_add_co_u32 v1, vcc_lo, s26, v1
	v_add_co_ci_u32_e32 v2, vcc_lo, s25, v2, vcc_lo
	s_delay_alu instid0(VALU_DEP_3) | instskip(NEXT) | instid1(VALU_DEP_4)
	v_add_co_u32 v3, vcc_lo, s26, v3
	v_add_co_ci_u32_e32 v4, vcc_lo, s25, v4, vcc_lo
	s_clause 0x1
	global_load_b32 v5, v[1:2], off
	global_load_b32 v7, v[3:4], off
	s_or_b32 s6, s12, 32
	v_lshlrev_b32_e32 v1, 4, v0
	s_ashr_i32 s7, s6, 4
	s_cmp_lt_i32 s6, s24
	v_cmp_gt_u32_e32 vcc_lo, 9, v65
	s_cselect_b32 s6, s7, s3
	v_and_b32_e32 v1, 0xf0, v1
	s_ashr_i32 s7, s6, 31
	s_delay_alu instid0(SALU_CYCLE_1) | instskip(NEXT) | instid1(SALU_CYCLE_1)
	s_lshl_b64 s[6:7], s[6:7], 2
	s_add_u32 s6, s26, s6
	s_addc_u32 s7, s25, s7
	s_or_b32 s8, s12, 64
	v_add_co_u32 v1, s13, s13, v1
	s_ashr_i32 s9, s8, 4
	s_cmp_lt_i32 s8, s24
	v_add_co_ci_u32_e64 v2, null, s15, 0, s13
	s_cselect_b32 s8, s9, s3
	s_delay_alu instid0(SALU_CYCLE_1) | instskip(NEXT) | instid1(SALU_CYCLE_1)
	s_ashr_i32 s9, s8, 31
	s_lshl_b64 s[8:9], s[8:9], 2
	s_delay_alu instid0(SALU_CYCLE_1) | instskip(SKIP_2) | instid1(SALU_CYCLE_1)
	s_add_u32 s8, s26, s8
	s_addc_u32 s9, s25, s9
	s_or_b32 s10, s12, 0x60
	s_ashr_i32 s11, s10, 4
	s_cmp_lt_i32 s10, s24
	s_cselect_b32 s10, s11, s3
	s_delay_alu instid0(SALU_CYCLE_1) | instskip(NEXT) | instid1(SALU_CYCLE_1)
	s_ashr_i32 s11, s10, 31
	s_lshl_b64 s[10:11], s[10:11], 2
	s_delay_alu instid0(SALU_CYCLE_1) | instskip(SKIP_2) | instid1(SALU_CYCLE_1)
	s_add_u32 s10, s26, s10
	s_addc_u32 s11, s25, s11
	s_or_b32 s16, s12, 0x80
	s_ashr_i32 s18, s16, 4
	s_cmp_lt_i32 s16, s24
	;; [unrolled: 10-line block ×3, first 2 shown]
	s_cselect_b32 s20, s18, s3
	s_delay_alu instid0(SALU_CYCLE_1) | instskip(NEXT) | instid1(SALU_CYCLE_1)
	s_ashr_i32 s21, s20, 31
	s_lshl_b64 s[20:21], s[20:21], 2
	s_delay_alu instid0(SALU_CYCLE_1)
	s_add_u32 s38, s26, s20
	s_addc_u32 s39, s25, s21
	s_clause 0x5
	s_load_b32 s21, s[4:5], 0x0
	s_load_b32 s13, s[6:7], 0x0
	;; [unrolled: 1-line block ×6, first 2 shown]
	s_or_b32 s8, s12, 0xc0
	s_mov_b32 s4, 0
	s_ashr_i32 s9, s8, 4
	s_cmp_lt_i32 s8, s24
	s_mov_b32 s11, s4
	s_cselect_b32 s36, s9, s3
	s_mov_b32 s5, s4
	s_ashr_i32 s37, s36, 31
	s_mov_b32 s6, s4
	s_lshl_b64 s[36:37], s[36:37], 2
	s_mov_b32 s7, s4
	s_add_u32 s36, s26, s36
	s_addc_u32 s37, s25, s37
	s_or_b32 s29, s12, 0xe0
	s_mov_b32 s8, s4
	s_ashr_i32 s30, s29, 4
	s_mov_b32 s9, s4
	s_mov_b32 s10, s4
	s_cmp_lt_i32 s29, s24
	v_dual_mov_b32 v107, s11 :: v_dual_mov_b32 v100, s4
	v_mov_b32_e32 v106, s10
	v_dual_mov_b32 v104, s8 :: v_dual_mov_b32 v103, s7
	v_dual_mov_b32 v102, s6 :: v_dual_mov_b32 v101, s5
	s_waitcnt vmcnt(1)
	v_mad_i64_i32 v[3:4], null, v5, s17, v[1:2]
	s_waitcnt vmcnt(0)
	v_mad_i64_i32 v[5:6], null, v7, s17, v[1:2]
	v_add_nc_u32_e32 v1, -9, v65
	v_lshlrev_b32_e32 v2, 4, v65
	s_clause 0x7
	global_load_b128 v[49:52], v[3:4], off
	global_load_b128 v[53:56], v[3:4], off offset:256
	global_load_b128 v[76:79], v[5:6], off
	global_load_b128 v[80:83], v[5:6], off offset:256
	global_load_b128 v[84:87], v[3:4], off offset:512
	;; [unrolled: 1-line block ×5, first 2 shown]
	v_cndmask_b32_e32 v1, v1, v65, vcc_lo
	v_mov_b32_e32 v105, s9
	s_cselect_b32 s4, s30, s3
	v_lshl_or_b32 v2, v66, 8, v2
	s_ashr_i32 s5, s4, 31
	v_lshlrev_b32_e32 v70, 6, v1
	s_lshl_b64 s[4:5], s[4:5], 2
	s_load_b32 s3, s[36:37], 0x0
	s_add_u32 s4, s26, s4
	s_addc_u32 s5, s25, s5
	ds_load_b128 v[108:111], v70
	ds_load_b128 v[112:115], v70 offset:1024
	s_load_b32 s4, s[4:5], 0x0
	s_add_u32 s6, s22, s27
	s_addc_u32 s7, s23, s28
	v_add_co_u32 v9, s6, s6, v2
	s_delay_alu instid0(VALU_DEP_1) | instskip(SKIP_1) | instid1(VALU_DEP_1)
	v_add_co_ci_u32_e64 v10, null, s7, 0, s6
	s_waitcnt lgkmcnt(0)
	v_mad_i64_i32 v[1:2], null, s21, s17, v[9:10]
	v_mad_i64_i32 v[3:4], null, s13, s17, v[9:10]
	;; [unrolled: 1-line block ×7, first 2 shown]
	s_clause 0x9
	global_load_b128 v[57:60], v[1:2], off
	global_load_b128 v[61:64], v[1:2], off offset:16
	global_load_b128 v[41:44], v[3:4], off
	global_load_b128 v[45:48], v[3:4], off offset:16
	;; [unrolled: 2-line block ×5, first 2 shown]
	v_mad_i64_i32 v[68:69], null, s4, s17, v[9:10]
	s_clause 0x3
	global_load_b128 v[9:12], v[13:14], off
	global_load_b128 v[13:16], v[13:14], off offset:16
	global_load_b128 v[17:20], v[21:22], off
	global_load_b128 v[21:24], v[21:22], off offset:16
	s_waitcnt vmcnt(20)
	v_wmma_f32_16x16x16_bf16 v[116:123], v[49:56], v[108:115], v[100:107]
	s_clause 0x1
	global_load_b128 v[49:52], v[68:69], off
	global_load_b128 v[53:56], v[68:69], off offset:16
	v_and_b32_e32 v68, 0xe0, v0
	v_mbcnt_lo_u32_b32 v69, -1, 0
	s_delay_alu instid0(VALU_DEP_2)
	v_add_nc_u32_e32 v68, s12, v68
	s_waitcnt vmcnt(20)
	v_wmma_f32_16x16x16_bf16 v[100:107], v[76:83], v[108:115], v[100:107]
	ds_load_b128 v[76:79], v70 offset:2048
	ds_load_b128 v[80:83], v70 offset:3072
	v_xor_b32_e32 v70, 16, v69
	s_waitcnt vmcnt(0) lgkmcnt(0)
	v_or_b32_e32 v68, v68, v74
	s_barrier
	buffer_gl0_inv
	v_cmp_gt_i32_e32 vcc_lo, 32, v70
	v_or_b32_e32 v71, 4, v68
	v_or_b32_e32 v72, 6, v68
	v_cmp_gt_i32_e64 s3, s24, v68
	v_or_b32_e32 v108, 8, v68
	v_or_b32_e32 v109, 10, v68
	v_cmp_gt_i32_e64 s4, s24, v71
	v_cmp_gt_i32_e64 s5, s24, v72
	s_delay_alu instid0(VALU_DEP_4) | instskip(NEXT) | instid1(VALU_DEP_4)
	v_cmp_gt_i32_e64 s6, s24, v108
	v_cmp_gt_i32_e64 s7, s24, v109
	v_wmma_f32_16x16x16_bf16 v[116:123], v[84:91], v[76:83], v[116:123]
	v_cndmask_b32_e32 v69, v69, v70, vcc_lo
	v_or_b32_e32 v70, 2, v68
	v_wmma_f32_16x16x16_bf16 v[100:107], v[92:99], v[76:83], v[100:107]
	v_or_b32_e32 v89, 22, v68
	v_dual_mul_f32 v82, s19, v119 :: v_dual_mul_f32 v79, s19, v122
	v_dual_mul_f32 v92, s19, v117 :: v_dual_mul_f32 v93, s19, v116
	s_delay_alu instid0(VALU_DEP_4) | instskip(SKIP_2) | instid1(VALU_DEP_4)
	v_mul_f32_e32 v98, s19, v103
	v_cmp_gt_i32_e32 vcc_lo, s24, v70
	v_dual_mul_f32 v83, s19, v118 :: v_dual_mul_f32 v96, s19, v105
	v_cndmask_b32_e64 v93, 0xff7fffff, v93, s3
	v_or_b32_e32 v84, 12, v68
	v_cndmask_b32_e32 v92, 0xff7fffff, v92, vcc_lo
	v_or_b32_e32 v85, 14, v68
	v_dual_mul_f32 v80, s19, v121 :: v_dual_mul_f32 v81, s19, v120
	v_mul_f32_e32 v94, s19, v107
	v_cndmask_b32_e64 v71, 0xff7fffff, v83, s4
	v_cndmask_b32_e64 v72, 0xff7fffff, v82, s5
	v_cmp_gt_i32_e64 s13, s24, v89
	v_lshlrev_b32_e32 v89, 2, v69
	v_max3_f32 v82, v93, 0xff7fffff, v92
	v_or_b32_e32 v86, 16, v68
	v_or_b32_e32 v87, 18, v68
	v_mul_f32_e32 v78, s19, v123
	v_cndmask_b32_e64 v81, 0xff7fffff, v81, s6
	v_cndmask_b32_e64 v80, 0xff7fffff, v80, s7
	v_max3_f32 v71, v82, v71, v72
	v_cmp_gt_i32_e64 s8, s24, v84
	v_cmp_gt_i32_e64 s9, s24, v85
	v_or_b32_e32 v88, 20, v68
	v_or_b32_e32 v90, 24, v68
	;; [unrolled: 1-line block ×5, first 2 shown]
	v_dual_mul_f32 v95, s19, v106 :: v_dual_mul_f32 v70, s19, v101
	v_dual_mul_f32 v99, s19, v102 :: v_dual_mul_f32 v68, s19, v100
	v_cndmask_b32_e64 v72, 0xff7fffff, v79, s8
	v_cndmask_b32_e64 v78, 0xff7fffff, v78, s9
	v_max3_f32 v71, v71, v81, v80
	v_cmp_gt_i32_e64 s10, s24, v86
	v_cmp_gt_i32_e64 s11, s24, v87
	;; [unrolled: 1-line block ×3, first 2 shown]
	v_mul_f32_e32 v97, s19, v104
	v_max3_f32 v71, v71, v72, v78
	v_cndmask_b32_e64 v68, 0xff7fffff, v68, s10
	v_cndmask_b32_e64 v70, 0xff7fffff, v70, s11
	;; [unrolled: 1-line block ×4, first 2 shown]
	v_cmp_gt_i32_e64 s15, s24, v90
	v_cmp_gt_i32_e64 s16, s24, v91
	v_max3_f32 v68, v71, v68, v70
	v_cmp_gt_i32_e64 s17, s24, v76
	v_cmp_gt_i32_e64 s18, s24, v77
	v_cndmask_b32_e64 v70, 0xff7fffff, v97, s15
	v_cndmask_b32_e64 v71, 0xff7fffff, v96, s16
	v_max3_f32 v68, v68, v72, v78
	v_cndmask_b32_e64 v72, 0xff7fffff, v95, s17
	v_cndmask_b32_e64 v76, 0xff7fffff, v94, s18
	s_delay_alu instid0(VALU_DEP_3) | instskip(NEXT) | instid1(VALU_DEP_1)
	v_max3_f32 v68, v68, v70, v71
	v_max3_f32 v68, v68, v72, v76
	ds_bpermute_b32 v69, v89, v68
	s_waitcnt lgkmcnt(0)
	v_max_f32_e32 v69, v69, v69
	s_delay_alu instid0(VALU_DEP_1) | instskip(NEXT) | instid1(VALU_DEP_1)
	v_max_f32_e32 v68, v68, v69
	v_fma_f32 v69, s19, v116, -v68
	v_fma_f32 v70, s19, v117, -v68
	;; [unrolled: 1-line block ×5, first 2 shown]
	s_delay_alu instid0(VALU_DEP_4) | instskip(NEXT) | instid1(VALU_DEP_4)
	v_dual_mul_f32 v69, 0x3fb8aa3b, v69 :: v_dual_mul_f32 v70, 0x3fb8aa3b, v70
	v_mul_f32_e32 v72, 0x3fb8aa3b, v72
	v_fma_f32 v78, s19, v122, -v68
	s_delay_alu instid0(VALU_DEP_4) | instskip(NEXT) | instid1(VALU_DEP_4)
	v_mul_f32_e32 v77, 0x3fb8aa3b, v76
	v_exp_f32_e32 v69, v69
	v_exp_f32_e32 v70, v70
	v_mul_f32_e32 v71, 0x3fb8aa3b, v71
	v_exp_f32_e32 v72, v72
	v_mul_f32_e32 v78, 0x3fb8aa3b, v78
	v_exp_f32_e32 v77, v77
	v_fma_f32 v81, s19, v105, -v68
	s_delay_alu instid0(VALU_DEP_2)
	v_exp_f32_e32 v78, v78
	v_cndmask_b32_e64 v80, 0, v69, s3
	v_cndmask_b32_e32 v76, 0, v70, vcc_lo
	v_exp_f32_e32 v71, v71
	v_fma_f32 v69, s19, v121, -v68
	v_cndmask_b32_e64 v85, 0, v72, s5
	v_add_f32_e32 v70, 0, v80
	s_delay_alu instid0(TRANS32_DEP_3)
	v_cndmask_b32_e64 v86, 0, v77, s6
	v_fma_f32 v77, s19, v101, -v68
	v_mul_f32_e32 v69, 0x3fb8aa3b, v69
	v_fma_f32 v72, s19, v100, -v68
	v_cndmask_b32_e64 v84, 0, v78, s8
	v_fma_f32 v78, s19, v103, -v68
	v_cndmask_b32_e64 v83, 0, v71, s4
	v_fma_f32 v71, s19, v123, -v68
	v_add_f32_e32 v70, v70, v76
	v_exp_f32_e32 v69, v69
	v_mul_f32_e32 v77, 0x3fb8aa3b, v77
	v_mul_f32_e32 v81, 0x3fb8aa3b, v81
	;; [unrolled: 1-line block ×3, first 2 shown]
	v_add_f32_e32 v70, v70, v83
	v_cmp_gt_u32_e64 s3, 16, v67
	v_exp_f32_e32 v77, v77
	v_exp_f32_e32 v81, v81
	;; [unrolled: 1-line block ×3, first 2 shown]
	v_cndmask_b32_e64 v87, 0, v69, s7
	v_add_f32_e32 v70, v70, v85
	s_delay_alu instid0(VALU_DEP_1) | instskip(SKIP_1) | instid1(VALU_DEP_2)
	v_dual_mul_f32 v72, 0x3fb8aa3b, v72 :: v_dual_add_f32 v69, v70, v86
	v_fma_f32 v70, s19, v102, -v68
	v_exp_f32_e32 v72, v72
	s_waitcnt_depctr 0xfff
	v_cndmask_b32_e64 v88, 0, v71, s9
	v_fma_f32 v71, s19, v104, -v68
	v_dual_add_f32 v69, v69, v87 :: v_dual_mul_f32 v70, 0x3fb8aa3b, v70
	s_delay_alu instid0(VALU_DEP_2) | instskip(NEXT) | instid1(VALU_DEP_2)
	v_dual_mul_f32 v78, 0x3fb8aa3b, v78 :: v_dual_mul_f32 v71, 0x3fb8aa3b, v71
	v_add_f32_e32 v69, v69, v84
	s_delay_alu instid0(VALU_DEP_3) | instskip(SKIP_1) | instid1(VALU_DEP_3)
	v_exp_f32_e32 v79, v70
	v_cndmask_b32_e64 v70, 0, v72, s10
	v_exp_f32_e32 v78, v78
	v_exp_f32_e32 v82, v71
	v_add_f32_e32 v72, v69, v88
	v_cndmask_b32_e64 v69, 0, v77, s11
	v_fma_f32 v77, s19, v106, -v68
	s_delay_alu instid0(VALU_DEP_3) | instskip(NEXT) | instid1(TRANS32_DEP_3)
	v_add_f32_e32 v72, v72, v70
	v_cndmask_b32_e64 v71, 0, v79, s12
	s_delay_alu instid0(VALU_DEP_3) | instskip(NEXT) | instid1(VALU_DEP_3)
	v_mul_f32_e32 v77, 0x3fb8aa3b, v77
	v_add_f32_e32 v79, v72, v69
	s_delay_alu instid0(TRANS32_DEP_2) | instskip(NEXT) | instid1(VALU_DEP_3)
	v_cndmask_b32_e64 v72, 0, v78, s13
	v_exp_f32_e32 v90, v77
	v_cndmask_b32_e64 v77, 0, v82, s15
	s_delay_alu instid0(VALU_DEP_3) | instskip(SKIP_1) | instid1(VALU_DEP_1)
	v_add_f32_e32 v78, v79, v71
	v_fma_f32 v79, s19, v107, -v68
	v_dual_add_f32 v82, v78, v72 :: v_dual_mul_f32 v79, 0x3fb8aa3b, v79
	v_cndmask_b32_e64 v78, 0, v81, s16
	s_delay_alu instid0(VALU_DEP_2) | instskip(NEXT) | instid1(VALU_DEP_3)
	v_add_f32_e32 v81, v82, v77
	v_exp_f32_e32 v82, v79
	s_delay_alu instid0(TRANS32_DEP_2) | instskip(NEXT) | instid1(VALU_DEP_2)
	v_cndmask_b32_e64 v79, 0, v90, s17
	v_add_f32_e32 v81, v81, v78
	s_delay_alu instid0(VALU_DEP_1) | instskip(SKIP_2) | instid1(VALU_DEP_1)
	v_add_f32_e32 v90, v81, v79
	s_waitcnt_depctr 0xfff
	v_cndmask_b32_e64 v81, 0, v82, s18
	v_add_f32_e32 v82, v90, v81
	ds_bpermute_b32 v89, v89, v82
	s_and_saveexec_b32 s4, s3
	s_cbranch_execz .LBB1414_12
; %bb.11:
	v_mul_u32_u24_e32 v67, 0x44, v66
	s_delay_alu instid0(VALU_DEP_1) | instskip(SKIP_1) | instid1(VALU_DEP_1)
	v_lshl_add_u32 v67, v65, 2, v67
	s_waitcnt lgkmcnt(0)
	v_dual_add_f32 v82, v82, v89 :: v_dual_add_nc_u32 v67, 0x4000, v67
	ds_store_2addr_b32 v67, v68, v82 offset1:136
.LBB1414_12:
	s_or_b32 exec_lo, exec_lo, s4
	v_lshlrev_b32_e32 v67, 2, v65
	s_waitcnt lgkmcnt(0)
	s_barrier
	buffer_gl0_inv
	v_cmp_eq_u32_e32 vcc_lo, 1, v66
	v_add_nc_u32_e32 v82, 0x4000, v67
	v_cmp_eq_u32_e64 s4, 2, v66
	v_cmp_eq_u32_e64 s6, 7, v66
	ds_load_2addr_b32 v[89:90], v82 offset1:17
	ds_load_2addr_b32 v[91:92], v82 offset0:34 offset1:51
	ds_load_2addr_b32 v[93:94], v82 offset0:68 offset1:85
	ds_load_2addr_b32 v[95:96], v82 offset0:102 offset1:119
	ds_load_2addr_b32 v[97:98], v82 offset0:136 offset1:153
	s_waitcnt lgkmcnt(4)
	v_max3_f32 v67, v89, 0xff7fffff, v90
	s_waitcnt lgkmcnt(3)
	s_delay_alu instid0(VALU_DEP_1) | instskip(SKIP_1) | instid1(VALU_DEP_1)
	v_max3_f32 v67, v67, v91, v92
	s_waitcnt lgkmcnt(2)
	v_max3_f32 v67, v67, v93, v94
	s_waitcnt lgkmcnt(1)
	s_delay_alu instid0(VALU_DEP_1) | instskip(NEXT) | instid1(VALU_DEP_1)
	v_max3_f32 v67, v67, v95, v96
	v_sub_f32_e32 v93, v93, v67
	s_delay_alu instid0(VALU_DEP_1) | instskip(NEXT) | instid1(VALU_DEP_1)
	v_dual_sub_f32 v68, v89, v67 :: v_dual_mul_f32 v103, 0x3fb8aa3b, v93
	v_mul_f32_e32 v68, 0x3fb8aa3b, v68
	s_delay_alu instid0(VALU_DEP_1)
	v_exp_f32_e32 v100, v68
	v_sub_f32_e32 v68, v92, v67
	v_sub_f32_e32 v99, v90, v67
	ds_load_2addr_b32 v[89:90], v82 offset0:170 offset1:187
	v_dual_mul_f32 v102, 0x3fb8aa3b, v68 :: v_dual_mul_f32 v99, 0x3fb8aa3b, v99
	s_waitcnt lgkmcnt(1)
	v_fma_f32 v68, v100, v97, 0
	s_delay_alu instid0(VALU_DEP_2) | instskip(NEXT) | instid1(VALU_DEP_2)
	v_exp_f32_e32 v102, v102
	v_exp_f32_e32 v99, v99
	s_waitcnt_depctr 0xfff
	v_fmac_f32_e32 v68, v99, v98
	v_sub_f32_e32 v91, v91, v67
	s_delay_alu instid0(VALU_DEP_1)
	v_mul_f32_e32 v101, 0x3fb8aa3b, v91
	ds_load_2addr_b32 v[91:92], v82 offset0:204 offset1:221
	v_sub_f32_e32 v97, v94, v67
	ds_load_2addr_b32 v[93:94], v82 offset0:238 offset1:255
	s_waitcnt lgkmcnt(0)
	v_exp_f32_e32 v101, v101
	s_barrier
	buffer_gl0_inv
	v_dual_fmac_f32 v68, v101, v89 :: v_dual_sub_f32 v89, v96, v67
	v_dual_sub_f32 v82, v95, v67 :: v_dual_mul_f32 v95, 0x3fb8aa3b, v97
	v_exp_f32_e32 v97, v103
	s_delay_alu instid0(VALU_DEP_2) | instskip(NEXT) | instid1(VALU_DEP_2)
	v_dual_fmac_f32 v68, v102, v90 :: v_dual_mul_f32 v89, 0x3fb8aa3b, v89
	v_mul_f32_e32 v82, 0x3fb8aa3b, v82
	s_delay_alu instid0(VALU_DEP_3) | instskip(NEXT) | instid1(VALU_DEP_2)
	v_exp_f32_e32 v95, v95
	v_exp_f32_e32 v89, v89
	s_delay_alu instid0(VALU_DEP_1)
	v_exp_f32_e32 v82, v82
	v_fmac_f32_e32 v68, v97, v91
	s_delay_alu instid0(TRANS32_DEP_3) | instid1(VALU_DEP_1)
	v_fmac_f32_e32 v68, v95, v92
	s_waitcnt_depctr 0xfff
	v_fmac_f32_e32 v68, v82, v93
	s_delay_alu instid0(VALU_DEP_1) | instskip(NEXT) | instid1(VALU_DEP_1)
	v_fmac_f32_e32 v68, v89, v94
	v_add_f32_e32 v90, 0x358637bd, v68
	s_delay_alu instid0(VALU_DEP_1) | instskip(NEXT) | instid1(VALU_DEP_1)
	v_div_scale_f32 v91, null, v90, v90, 1.0
	v_rcp_f32_e32 v92, v91
	s_waitcnt_depctr 0xfff
	v_fma_f32 v93, -v91, v92, 1.0
	s_delay_alu instid0(VALU_DEP_1) | instskip(SKIP_1) | instid1(VALU_DEP_2)
	v_dual_fmac_f32 v92, v93, v92 :: v_dual_cndmask_b32 v93, v100, v99
	v_cmp_eq_u32_e32 vcc_lo, 3, v66
	v_cndmask_b32_e64 v93, v93, v101, s4
	v_cmp_eq_u32_e64 s4, 4, v66
	s_delay_alu instid0(VALU_DEP_2) | instskip(SKIP_1) | instid1(VALU_DEP_2)
	v_cndmask_b32_e32 v93, v93, v102, vcc_lo
	v_cmp_eq_u32_e32 vcc_lo, 5, v66
	v_cndmask_b32_e64 v93, v93, v97, s4
	v_cmp_eq_u32_e64 s4, 6, v66
	s_delay_alu instid0(VALU_DEP_2) | instskip(SKIP_1) | instid1(VALU_DEP_1)
	v_cndmask_b32_e32 v93, v93, v95, vcc_lo
	v_div_scale_f32 v94, s5, 1.0, v90, 1.0
	s_mov_b32 vcc_lo, s5
	s_delay_alu instid0(VALU_DEP_2) | instskip(NEXT) | instid1(VALU_DEP_2)
	v_cndmask_b32_e64 v82, v93, v82, s4
	v_mul_f32_e32 v96, v94, v92
	s_mov_b32 s4, exec_lo
	s_delay_alu instid0(VALU_DEP_2) | instskip(NEXT) | instid1(VALU_DEP_2)
	v_cndmask_b32_e64 v82, v82, v89, s6
	v_fma_f32 v98, -v91, v96, v94
	s_delay_alu instid0(VALU_DEP_1) | instskip(NEXT) | instid1(VALU_DEP_1)
	v_fmac_f32_e32 v96, v98, v92
	v_fma_f32 v91, -v91, v96, v94
	s_delay_alu instid0(VALU_DEP_1) | instskip(NEXT) | instid1(VALU_DEP_1)
	v_div_fmas_f32 v91, v91, v92, v96
	v_div_fixup_f32 v90, v91, v90, 1.0
	s_delay_alu instid0(VALU_DEP_1) | instskip(NEXT) | instid1(VALU_DEP_1)
	v_mul_f32_e32 v82, v82, v90
	v_mul_f32_e32 v87, v82, v87
	;; [unrolled: 1-line block ×7, first 2 shown]
	v_dual_mul_f32 v86, v82, v83 :: v_dual_and_b32 v91, 0x7f800000, v90
	v_mul_f32_e32 v85, v82, v76
                                        ; implicit-def: $vgpr76
	s_delay_alu instid0(VALU_DEP_2)
	v_cmpx_ne_u32_e32 0x7f800000, v91
	s_xor_b32 s4, exec_lo, s4
; %bb.13:
	v_bfe_u32 v76, v90, 16, 1
	s_delay_alu instid0(VALU_DEP_1)
	v_add3_u32 v76, v90, v76, 0x7fff
                                        ; implicit-def: $vgpr90
; %bb.14:
	s_and_not1_saveexec_b32 s4, s4
; %bb.15:
	v_and_b32_e32 v76, 0xffff, v90
	v_or_b32_e32 v83, 0x10000, v90
	s_delay_alu instid0(VALU_DEP_2) | instskip(NEXT) | instid1(VALU_DEP_2)
	v_cmp_eq_u32_e32 vcc_lo, 0, v76
	v_cndmask_b32_e32 v76, v83, v90, vcc_lo
; %bb.16:
	s_or_b32 exec_lo, exec_lo, s4
	v_and_b32_e32 v83, 0x7f800000, v85
	s_delay_alu instid0(VALU_DEP_1) | instskip(SKIP_1) | instid1(SALU_CYCLE_1)
	v_cmp_ne_u32_e32 vcc_lo, 0x7f800000, v83
                                        ; implicit-def: $vgpr83
	s_and_saveexec_b32 s4, vcc_lo
	s_xor_b32 s4, exec_lo, s4
; %bb.17:
	v_bfe_u32 v83, v85, 16, 1
	s_delay_alu instid0(VALU_DEP_1)
	v_add3_u32 v83, v85, v83, 0x7fff
                                        ; implicit-def: $vgpr85
; %bb.18:
	s_and_not1_saveexec_b32 s4, s4
; %bb.19:
	v_and_b32_e32 v83, 0xffff, v85
	v_or_b32_e32 v90, 0x10000, v85
	s_delay_alu instid0(VALU_DEP_2) | instskip(NEXT) | instid1(VALU_DEP_2)
	v_cmp_eq_u32_e32 vcc_lo, 0, v83
	v_cndmask_b32_e32 v83, v90, v85, vcc_lo
; %bb.20:
	s_or_b32 exec_lo, exec_lo, s4
	v_and_b32_e32 v85, 0x7f800000, v86
	s_delay_alu instid0(VALU_DEP_1) | instskip(SKIP_1) | instid1(SALU_CYCLE_1)
	v_cmp_ne_u32_e32 vcc_lo, 0x7f800000, v85
                                        ; implicit-def: $vgpr85
	s_and_saveexec_b32 s4, vcc_lo
	s_xor_b32 s4, exec_lo, s4
; %bb.21:
	v_bfe_u32 v85, v86, 16, 1
	s_delay_alu instid0(VALU_DEP_1)
	v_add3_u32 v85, v86, v85, 0x7fff
                                        ; implicit-def: $vgpr86
; %bb.22:
	s_and_not1_saveexec_b32 s4, s4
; %bb.23:
	v_and_b32_e32 v85, 0xffff, v86
	v_or_b32_e32 v90, 0x10000, v86
	s_delay_alu instid0(VALU_DEP_2) | instskip(NEXT) | instid1(VALU_DEP_2)
	v_cmp_eq_u32_e32 vcc_lo, 0, v85
	v_cndmask_b32_e32 v85, v90, v86, vcc_lo
; %bb.24:
	s_or_b32 exec_lo, exec_lo, s4
	v_and_b32_e32 v86, 0x7f800000, v89
	s_delay_alu instid0(VALU_DEP_1) | instskip(SKIP_1) | instid1(SALU_CYCLE_1)
	v_cmp_ne_u32_e32 vcc_lo, 0x7f800000, v86
                                        ; implicit-def: $vgpr86
	s_and_saveexec_b32 s4, vcc_lo
	s_xor_b32 s4, exec_lo, s4
; %bb.25:
	v_bfe_u32 v86, v89, 16, 1
	s_delay_alu instid0(VALU_DEP_1)
	v_add3_u32 v86, v89, v86, 0x7fff
                                        ; implicit-def: $vgpr89
; %bb.26:
	s_and_not1_saveexec_b32 s4, s4
; %bb.27:
	v_and_b32_e32 v86, 0xffff, v89
	v_or_b32_e32 v90, 0x10000, v89
	s_delay_alu instid0(VALU_DEP_2) | instskip(NEXT) | instid1(VALU_DEP_2)
	v_cmp_eq_u32_e32 vcc_lo, 0, v86
	v_cndmask_b32_e32 v86, v90, v89, vcc_lo
; %bb.28:
	s_or_b32 exec_lo, exec_lo, s4
	v_and_b32_e32 v89, 0x7f800000, v88
	s_delay_alu instid0(VALU_DEP_1) | instskip(SKIP_1) | instid1(SALU_CYCLE_1)
	v_cmp_ne_u32_e32 vcc_lo, 0x7f800000, v89
                                        ; implicit-def: $vgpr89
	s_and_saveexec_b32 s4, vcc_lo
	s_xor_b32 s4, exec_lo, s4
; %bb.29:
	v_bfe_u32 v89, v88, 16, 1
	s_delay_alu instid0(VALU_DEP_1)
	v_add3_u32 v89, v88, v89, 0x7fff
                                        ; implicit-def: $vgpr88
; %bb.30:
	s_and_not1_saveexec_b32 s4, s4
; %bb.31:
	v_and_b32_e32 v89, 0xffff, v88
	v_or_b32_e32 v90, 0x10000, v88
	s_delay_alu instid0(VALU_DEP_2) | instskip(NEXT) | instid1(VALU_DEP_2)
	v_cmp_eq_u32_e32 vcc_lo, 0, v89
	v_cndmask_b32_e32 v89, v90, v88, vcc_lo
; %bb.32:
	s_or_b32 exec_lo, exec_lo, s4
	v_and_b32_e32 v88, 0x7f800000, v87
	s_delay_alu instid0(VALU_DEP_1) | instskip(SKIP_1) | instid1(SALU_CYCLE_1)
	v_cmp_ne_u32_e32 vcc_lo, 0x7f800000, v88
                                        ; implicit-def: $vgpr88
	s_and_saveexec_b32 s4, vcc_lo
	s_xor_b32 s4, exec_lo, s4
; %bb.33:
	v_bfe_u32 v88, v87, 16, 1
	s_delay_alu instid0(VALU_DEP_1)
	v_add3_u32 v88, v87, v88, 0x7fff
                                        ; implicit-def: $vgpr87
; %bb.34:
	s_and_not1_saveexec_b32 s4, s4
; %bb.35:
	v_and_b32_e32 v88, 0xffff, v87
	v_or_b32_e32 v90, 0x10000, v87
	s_delay_alu instid0(VALU_DEP_2) | instskip(NEXT) | instid1(VALU_DEP_2)
	v_cmp_eq_u32_e32 vcc_lo, 0, v88
	v_cndmask_b32_e32 v88, v90, v87, vcc_lo
; %bb.36:
	s_or_b32 exec_lo, exec_lo, s4
	v_and_b32_e32 v87, 0x7f800000, v84
	s_delay_alu instid0(VALU_DEP_1) | instskip(SKIP_1) | instid1(SALU_CYCLE_1)
	v_cmp_ne_u32_e32 vcc_lo, 0x7f800000, v87
                                        ; implicit-def: $vgpr87
	s_and_saveexec_b32 s4, vcc_lo
	s_xor_b32 s4, exec_lo, s4
; %bb.37:
	v_bfe_u32 v87, v84, 16, 1
	s_delay_alu instid0(VALU_DEP_1)
	v_add3_u32 v87, v84, v87, 0x7fff
                                        ; implicit-def: $vgpr84
; %bb.38:
	s_and_not1_saveexec_b32 s4, s4
; %bb.39:
	v_and_b32_e32 v87, 0xffff, v84
	v_or_b32_e32 v90, 0x10000, v84
	s_delay_alu instid0(VALU_DEP_2) | instskip(NEXT) | instid1(VALU_DEP_2)
	v_cmp_eq_u32_e32 vcc_lo, 0, v87
	v_cndmask_b32_e32 v87, v90, v84, vcc_lo
; %bb.40:
	s_or_b32 exec_lo, exec_lo, s4
	v_and_b32_e32 v84, 0x7f800000, v80
	s_delay_alu instid0(VALU_DEP_1) | instskip(SKIP_1) | instid1(SALU_CYCLE_1)
	v_cmp_ne_u32_e32 vcc_lo, 0x7f800000, v84
                                        ; implicit-def: $vgpr84
	s_and_saveexec_b32 s4, vcc_lo
	s_xor_b32 s4, exec_lo, s4
; %bb.41:
	v_bfe_u32 v84, v80, 16, 1
	s_delay_alu instid0(VALU_DEP_1)
	v_add3_u32 v84, v80, v84, 0x7fff
                                        ; implicit-def: $vgpr80
; %bb.42:
	s_and_not1_saveexec_b32 s4, s4
; %bb.43:
	v_and_b32_e32 v84, 0xffff, v80
	v_or_b32_e32 v90, 0x10000, v80
	s_delay_alu instid0(VALU_DEP_2) | instskip(NEXT) | instid1(VALU_DEP_2)
	v_cmp_eq_u32_e32 vcc_lo, 0, v84
	v_cndmask_b32_e32 v84, v90, v80, vcc_lo
; %bb.44:
	s_or_b32 exec_lo, exec_lo, s4
	s_load_b64 s[36:37], s[0:1], 0x94
	v_lshlrev_b32_e32 v91, 4, v74
	s_delay_alu instid0(VALU_DEP_2)
	v_perm_b32 v90, v84, v87, 0x7060302
	v_dual_mul_f32 v79, v82, v79 :: v_dual_lshlrev_b32 v80, 6, v65
	v_dual_mul_f32 v77, v82, v77 :: v_dual_lshlrev_b32 v92, 11, v66
	v_mul_f32_e32 v84, v82, v70
	v_perm_b32 v89, v88, v89, 0x7060302
	v_perm_b32 v88, v86, v85, 0x7060302
	;; [unrolled: 1-line block ×3, first 2 shown]
	v_mul_f32_e32 v70, v82, v81
	v_or3_b32 v76, v91, v92, v80
	v_dual_mul_f32 v78, v82, v78 :: v_dual_and_b32 v85, 0x7f800000, v84
	v_mul_f32_e32 v83, v82, v72
	v_mul_f32_e32 v81, v82, v71
	;; [unrolled: 1-line block ×3, first 2 shown]
	s_mov_b32 s4, exec_lo
	ds_store_b128 v76, v[87:90]
                                        ; implicit-def: $vgpr69
	v_cmpx_ne_u32_e32 0x7f800000, v85
	s_xor_b32 s4, exec_lo, s4
; %bb.45:
	v_bfe_u32 v69, v84, 16, 1
	s_delay_alu instid0(VALU_DEP_1)
	v_add3_u32 v69, v84, v69, 0x7fff
                                        ; implicit-def: $vgpr84
; %bb.46:
	s_and_not1_saveexec_b32 s4, s4
; %bb.47:
	v_and_b32_e32 v69, 0xffff, v84
	v_or_b32_e32 v71, 0x10000, v84
	s_delay_alu instid0(VALU_DEP_2) | instskip(NEXT) | instid1(VALU_DEP_2)
	v_cmp_eq_u32_e32 vcc_lo, 0, v69
	v_cndmask_b32_e32 v69, v71, v84, vcc_lo
; %bb.48:
	s_or_b32 exec_lo, exec_lo, s4
	v_and_b32_e32 v71, 0x7f800000, v72
	s_delay_alu instid0(VALU_DEP_1) | instskip(SKIP_1) | instid1(SALU_CYCLE_1)
	v_cmp_ne_u32_e32 vcc_lo, 0x7f800000, v71
                                        ; implicit-def: $vgpr71
	s_and_saveexec_b32 s4, vcc_lo
	s_xor_b32 s4, exec_lo, s4
; %bb.49:
	v_bfe_u32 v71, v72, 16, 1
	s_delay_alu instid0(VALU_DEP_1)
	v_add3_u32 v71, v72, v71, 0x7fff
                                        ; implicit-def: $vgpr72
; %bb.50:
	s_and_not1_saveexec_b32 s4, s4
; %bb.51:
	v_and_b32_e32 v71, 0xffff, v72
	v_or_b32_e32 v82, 0x10000, v72
	s_delay_alu instid0(VALU_DEP_2) | instskip(NEXT) | instid1(VALU_DEP_2)
	v_cmp_eq_u32_e32 vcc_lo, 0, v71
	v_cndmask_b32_e32 v71, v82, v72, vcc_lo
; %bb.52:
	s_or_b32 exec_lo, exec_lo, s4
	v_and_b32_e32 v72, 0x7f800000, v81
	s_delay_alu instid0(VALU_DEP_1) | instskip(SKIP_1) | instid1(SALU_CYCLE_1)
	v_cmp_ne_u32_e32 vcc_lo, 0x7f800000, v72
                                        ; implicit-def: $vgpr72
	s_and_saveexec_b32 s4, vcc_lo
	s_xor_b32 s4, exec_lo, s4
; %bb.53:
	v_bfe_u32 v72, v81, 16, 1
	s_delay_alu instid0(VALU_DEP_1)
	v_add3_u32 v72, v81, v72, 0x7fff
                                        ; implicit-def: $vgpr81
; %bb.54:
	s_and_not1_saveexec_b32 s4, s4
; %bb.55:
	v_and_b32_e32 v72, 0xffff, v81
	v_or_b32_e32 v82, 0x10000, v81
	s_delay_alu instid0(VALU_DEP_2) | instskip(NEXT) | instid1(VALU_DEP_2)
	v_cmp_eq_u32_e32 vcc_lo, 0, v72
	v_cndmask_b32_e32 v72, v82, v81, vcc_lo
; %bb.56:
	s_or_b32 exec_lo, exec_lo, s4
	v_and_b32_e32 v81, 0x7f800000, v83
	s_delay_alu instid0(VALU_DEP_1) | instskip(SKIP_1) | instid1(SALU_CYCLE_1)
	v_cmp_ne_u32_e32 vcc_lo, 0x7f800000, v81
                                        ; implicit-def: $vgpr81
	s_and_saveexec_b32 s4, vcc_lo
	s_xor_b32 s4, exec_lo, s4
; %bb.57:
	v_bfe_u32 v81, v83, 16, 1
	s_delay_alu instid0(VALU_DEP_1)
	v_add3_u32 v81, v83, v81, 0x7fff
                                        ; implicit-def: $vgpr83
; %bb.58:
	s_and_not1_saveexec_b32 s4, s4
; %bb.59:
	v_and_b32_e32 v81, 0xffff, v83
	v_or_b32_e32 v82, 0x10000, v83
	s_delay_alu instid0(VALU_DEP_2) | instskip(NEXT) | instid1(VALU_DEP_2)
	v_cmp_eq_u32_e32 vcc_lo, 0, v81
	v_cndmask_b32_e32 v81, v82, v83, vcc_lo
; %bb.60:
	s_or_b32 exec_lo, exec_lo, s4
	v_and_b32_e32 v82, 0x7f800000, v77
	s_delay_alu instid0(VALU_DEP_1) | instskip(SKIP_1) | instid1(SALU_CYCLE_1)
	v_cmp_ne_u32_e32 vcc_lo, 0x7f800000, v82
                                        ; implicit-def: $vgpr82
	s_and_saveexec_b32 s4, vcc_lo
	s_xor_b32 s4, exec_lo, s4
; %bb.61:
	v_bfe_u32 v82, v77, 16, 1
	s_delay_alu instid0(VALU_DEP_1)
	v_add3_u32 v82, v77, v82, 0x7fff
                                        ; implicit-def: $vgpr77
; %bb.62:
	s_and_not1_saveexec_b32 s4, s4
; %bb.63:
	v_and_b32_e32 v82, 0xffff, v77
	v_or_b32_e32 v83, 0x10000, v77
	s_delay_alu instid0(VALU_DEP_2) | instskip(NEXT) | instid1(VALU_DEP_2)
	v_cmp_eq_u32_e32 vcc_lo, 0, v82
	v_cndmask_b32_e32 v82, v83, v77, vcc_lo
; %bb.64:
	s_or_b32 exec_lo, exec_lo, s4
	v_and_b32_e32 v77, 0x7f800000, v78
	s_delay_alu instid0(VALU_DEP_1) | instskip(SKIP_1) | instid1(SALU_CYCLE_1)
	v_cmp_ne_u32_e32 vcc_lo, 0x7f800000, v77
                                        ; implicit-def: $vgpr77
	s_and_saveexec_b32 s4, vcc_lo
	s_xor_b32 s4, exec_lo, s4
; %bb.65:
	v_bfe_u32 v77, v78, 16, 1
	s_delay_alu instid0(VALU_DEP_1)
	v_add3_u32 v77, v78, v77, 0x7fff
                                        ; implicit-def: $vgpr78
; %bb.66:
	s_and_not1_saveexec_b32 s4, s4
; %bb.67:
	v_and_b32_e32 v77, 0xffff, v78
	v_or_b32_e32 v83, 0x10000, v78
	s_delay_alu instid0(VALU_DEP_2) | instskip(NEXT) | instid1(VALU_DEP_2)
	v_cmp_eq_u32_e32 vcc_lo, 0, v77
	v_cndmask_b32_e32 v77, v83, v78, vcc_lo
; %bb.68:
	s_or_b32 exec_lo, exec_lo, s4
	v_and_b32_e32 v78, 0x7f800000, v79
	s_delay_alu instid0(VALU_DEP_1) | instskip(SKIP_1) | instid1(SALU_CYCLE_1)
	v_cmp_ne_u32_e32 vcc_lo, 0x7f800000, v78
                                        ; implicit-def: $vgpr78
	s_and_saveexec_b32 s4, vcc_lo
	s_xor_b32 s4, exec_lo, s4
; %bb.69:
	v_bfe_u32 v78, v79, 16, 1
	s_delay_alu instid0(VALU_DEP_1)
	v_add3_u32 v78, v79, v78, 0x7fff
                                        ; implicit-def: $vgpr79
; %bb.70:
	s_and_not1_saveexec_b32 s4, s4
; %bb.71:
	v_and_b32_e32 v78, 0xffff, v79
	v_or_b32_e32 v83, 0x10000, v79
	s_delay_alu instid0(VALU_DEP_2) | instskip(NEXT) | instid1(VALU_DEP_2)
	v_cmp_eq_u32_e32 vcc_lo, 0, v78
	v_cndmask_b32_e32 v78, v83, v79, vcc_lo
; %bb.72:
	s_or_b32 exec_lo, exec_lo, s4
	v_and_b32_e32 v79, 0x7f800000, v70
	s_delay_alu instid0(VALU_DEP_1) | instskip(SKIP_1) | instid1(SALU_CYCLE_1)
	v_cmp_ne_u32_e32 vcc_lo, 0x7f800000, v79
                                        ; implicit-def: $vgpr79
	s_and_saveexec_b32 s4, vcc_lo
	s_xor_b32 s4, exec_lo, s4
; %bb.73:
	v_bfe_u32 v79, v70, 16, 1
	s_delay_alu instid0(VALU_DEP_1)
	v_add3_u32 v79, v70, v79, 0x7fff
                                        ; implicit-def: $vgpr70
; %bb.74:
	s_and_not1_saveexec_b32 s4, s4
; %bb.75:
	v_and_b32_e32 v79, 0xffff, v70
	v_or_b32_e32 v83, 0x10000, v70
	s_delay_alu instid0(VALU_DEP_2) | instskip(NEXT) | instid1(VALU_DEP_2)
	v_cmp_eq_u32_e32 vcc_lo, 0, v79
	v_cndmask_b32_e32 v79, v83, v70, vcc_lo
; %bb.76:
	s_or_b32 exec_lo, exec_lo, s4
	s_delay_alu instid0(VALU_DEP_1)
	v_perm_b32 v86, v79, v78, 0x7060302
	v_perm_b32 v85, v77, v82, 0x7060302
	;; [unrolled: 1-line block ×4, first 2 shown]
	v_lshl_or_b32 v82, v66, 11, v80
	ds_store_b128 v76, v[83:86] offset:1024
	s_waitcnt lgkmcnt(0)
	s_barrier
	buffer_gl0_inv
	ds_load_b128 v[69:72], v82
	ds_load_b128 v[83:86], v82 offset:16
	s_waitcnt lgkmcnt(1)
	v_lshrrev_b32_e32 v66, 16, v69
	s_waitcnt lgkmcnt(0)
	v_lshrrev_b32_e32 v91, 16, v83
	v_lshlrev_b32_e32 v78, 2, v74
	v_lshrrev_b32_e32 v95, 16, v70
	v_lshrrev_b32_e32 v98, 16, v84
	;; [unrolled: 1-line block ×4, first 2 shown]
	v_cmp_eq_u32_e32 vcc_lo, 1, v78
	v_lshrrev_b32_e32 v97, 16, v72
	v_lshrrev_b32_e32 v100, 16, v86
	v_cndmask_b32_e32 v87, v83, v91, vcc_lo
	v_or_b32_e32 v79, 1, v78
	v_cndmask_b32_e32 v81, v69, v66, vcc_lo
	v_cmp_eq_u32_e64 s5, 2, v78
	v_cmp_eq_u32_e64 s8, 3, v78
	;; [unrolled: 1-line block ×5, first 2 shown]
	v_cndmask_b32_e64 v81, v81, v70, s5
	v_cndmask_b32_e64 v87, v87, v84, s5
	v_cmp_eq_u32_e64 s9, 3, v79
	v_cndmask_b32_e64 v88, v69, v66, s4
	v_or_b32_e32 v77, 2, v78
	v_cndmask_b32_e64 v81, v81, v95, s8
	v_cndmask_b32_e64 v87, v87, v98, s8
	;; [unrolled: 1-line block ×4, first 2 shown]
	v_cmp_eq_u32_e64 s11, 5, v78
	v_cndmask_b32_e64 v81, v81, v71, s10
	v_cndmask_b32_e64 v87, v87, v85, s10
	v_cmp_eq_u32_e64 s12, 4, v79
	v_cndmask_b32_e64 v88, v88, v95, s9
	v_cmp_eq_u32_e64 s6, 1, v77
	v_cndmask_b32_e64 v89, v89, v84, s7
	v_cndmask_b32_e64 v81, v81, v96, s11
	v_cmp_eq_u32_e64 s13, 6, v78
	v_cndmask_b32_e64 v88, v88, v71, s12
	;; [unrolled: 3-line block ×3, first 2 shown]
	v_cndmask_b32_e64 v89, v89, v98, s9
	v_cndmask_b32_e64 v81, v81, v72, s13
	v_cmp_eq_u32_e64 s16, 7, v78
	v_cndmask_b32_e64 v88, v88, v96, s15
	v_cndmask_b32_e64 v87, v87, v86, s13
	v_cmp_eq_u32_e64 s17, 6, v79
	v_cmp_eq_u32_e64 s18, 2, v77
	v_cndmask_b32_e64 v89, v89, v85, s12
	v_cndmask_b32_e64 v101, v81, v97, s16
	;; [unrolled: 1-line block ×6, first 2 shown]
	v_cmp_eq_u32_e64 s19, 7, v79
	v_cmp_eq_u32_e64 s20, 3, v77
	;; [unrolled: 1-line block ×4, first 2 shown]
	v_cndmask_b32_e64 v87, v87, v84, s18
	v_cndmask_b32_e64 v103, v88, v97, s19
	;; [unrolled: 1-line block ×4, first 2 shown]
	v_or_b32_e32 v81, 3, v78
	v_cndmask_b32_e64 v93, v87, v98, s20
	v_cmp_eq_u32_e64 s25, 6, v77
	v_cndmask_b32_e64 v104, v88, v86, s17
	v_cndmask_b32_e64 v92, v89, v71, s21
	v_cmp_eq_u32_e64 s22, 1, v81
	ds_load_b128 v[87:90], v82 offset:1024
	v_cmp_eq_u32_e64 s24, 2, v81
	v_cmp_eq_u32_e64 s26, 3, v81
	v_cndmask_b32_e64 v105, v92, v96, s23
	v_cndmask_b32_e64 v66, v69, v66, s22
	;; [unrolled: 1-line block ×4, first 2 shown]
	ds_load_b128 v[91:94], v82 offset:1040
	v_cmp_eq_u32_e64 s27, 4, v81
	v_cndmask_b32_e64 v66, v66, v70, s24
	v_cmp_eq_u32_e64 s28, 7, v77
	v_cndmask_b32_e64 v70, v83, v84, s24
	v_cndmask_b32_e64 v84, v105, v72, s25
	v_cmp_eq_u32_e64 s29, 5, v81
	v_cndmask_b32_e64 v66, v66, v95, s26
	v_cmp_eq_u32_e64 s30, 6, v81
	v_cndmask_b32_e64 v70, v70, v98, s26
	v_cndmask_b32_e64 v69, v69, v99, s23
	;; [unrolled: 1-line block ×4, first 2 shown]
	s_waitcnt lgkmcnt(1)
	v_lshrrev_b32_e32 v95, 16, v87
	v_cndmask_b32_e64 v70, v70, v85, s27
	v_cndmask_b32_e64 v71, v84, v97, s28
	;; [unrolled: 1-line block ×4, first 2 shown]
	v_cndmask_b32_e32 v84, v87, v95, vcc_lo
	v_cndmask_b32_e64 v70, v70, v99, s29
	s_waitcnt lgkmcnt(0)
	v_lshrrev_b32_e32 v85, 16, v91
	v_lshrrev_b32_e32 v96, 16, v88
	v_cndmask_b32_e64 v98, v87, v95, s4
	v_cndmask_b32_e64 v84, v84, v88, s5
	;; [unrolled: 1-line block ×3, first 2 shown]
	v_cndmask_b32_e32 v99, v91, v85, vcc_lo
	v_cmp_eq_u32_e32 vcc_lo, 7, v81
	v_cndmask_b32_e64 v66, v66, v72, s30
	v_cndmask_b32_e64 v72, v84, v96, s8
	;; [unrolled: 1-line block ×3, first 2 shown]
	v_lshrrev_b32_e32 v98, 16, v92
	v_cndmask_b32_e32 v70, v70, v100, vcc_lo
	v_cndmask_b32_e64 v86, v99, v92, s5
	v_cndmask_b32_e64 v69, v69, v100, s28
	v_lshrrev_b32_e32 v100, 16, v93
	v_cndmask_b32_e64 v72, v72, v89, s10
	v_lshrrev_b32_e32 v99, 16, v89
	v_cndmask_b32_e64 v86, v86, v98, s8
	v_perm_b32 v71, v69, v71, 0x5040100
	v_cndmask_b32_e64 v84, v84, v96, s9
	s_delay_alu instid0(VALU_DEP_3) | instskip(NEXT) | instid1(VALU_DEP_2)
	v_cndmask_b32_e64 v86, v86, v93, s10
	v_cndmask_b32_e64 v84, v84, v89, s12
	s_delay_alu instid0(VALU_DEP_2) | instskip(NEXT) | instid1(VALU_DEP_1)
	v_cndmask_b32_e64 v86, v86, v100, s11
	v_cndmask_b32_e64 v69, v86, v94, s13
	;; [unrolled: 1-line block ×5, first 2 shown]
	s_delay_alu instid0(VALU_DEP_3) | instskip(NEXT) | instid1(VALU_DEP_3)
	v_cndmask_b32_e64 v86, v86, v88, s18
	v_cndmask_b32_e64 v87, v87, v88, s24
	s_delay_alu instid0(VALU_DEP_3) | instskip(NEXT) | instid1(VALU_DEP_3)
	v_cndmask_b32_e64 v88, v95, v92, s24
	v_cndmask_b32_e64 v86, v86, v96, s20
	;; [unrolled: 3-line block ×7, first 2 shown]
	s_delay_alu instid0(VALU_DEP_3) | instskip(SKIP_2) | instid1(VALU_DEP_2)
	v_cndmask_b32_e64 v88, v88, v94, s30
	v_cndmask_b32_e32 v66, v66, v97, vcc_lo
	v_cndmask_b32_e64 v97, v72, v99, s11
	v_perm_b32 v72, v70, v66, 0x5040100
	v_perm_b32 v70, v83, v103, 0x5040100
	v_cndmask_b32_e64 v103, v91, v85, s6
	v_cndmask_b32_e64 v85, v91, v85, s4
	v_cndmask_b32_e64 v66, v84, v99, s15
	v_cndmask_b32_e64 v84, v97, v90, s13
	v_lshrrev_b32_e32 v97, 16, v90
	v_cndmask_b32_e64 v91, v103, v92, s18
	v_cndmask_b32_e64 v85, v85, v92, s7
	;; [unrolled: 1-line block ×3, first 2 shown]
	s_mov_b32 s4, exec_lo
	v_cndmask_b32_e64 v83, v84, v97, s16
	v_cndmask_b32_e64 v91, v91, v98, s20
	;; [unrolled: 1-line block ×3, first 2 shown]
	v_lshrrev_b32_e32 v84, 16, v94
	v_cndmask_b32_e64 v66, v66, v97, s19
	v_cndmask_b32_e64 v90, v86, v97, s28
	;; [unrolled: 1-line block ×4, first 2 shown]
	v_dual_cndmask_b32 v86, v87, v97 :: v_dual_cndmask_b32 v87, v88, v84
	v_cndmask_b32_e64 v91, v69, v84, s16
	s_delay_alu instid0(VALU_DEP_4) | instskip(NEXT) | instid1(VALU_DEP_4)
	v_cndmask_b32_e64 v89, v89, v100, s23
	v_cndmask_b32_e64 v85, v85, v100, s15
	v_perm_b32 v69, v102, v101, 0x5040100
	v_perm_b32 v86, v87, v86, 0x5040100
	v_perm_b32 v83, v91, v83, 0x5040100
	v_cndmask_b32_e64 v89, v89, v94, s25
	v_cndmask_b32_e64 v85, v85, v94, s17
	s_mul_i32 s9, s37, 9
	s_delay_alu instid0(VALU_DEP_2) | instskip(NEXT) | instid1(VALU_DEP_2)
	v_cndmask_b32_e64 v88, v89, v84, s28
	v_cndmask_b32_e64 v89, v85, v84, s19
	s_delay_alu instid0(VALU_DEP_2) | instskip(NEXT) | instid1(VALU_DEP_2)
	v_perm_b32 v85, v88, v90, 0x5040100
	v_perm_b32 v84, v89, v66, 0x5040100
	ds_store_b128 v76, v[69:72]
	ds_store_b128 v76, v[83:86] offset:1024
	v_cmpx_gt_u32_e32 9, v0
	s_cbranch_execz .LBB1414_78
; %bb.77:
	s_mul_i32 s5, s9, s34
	s_load_b128 s[16:19], s[0:1], 0x58
	v_add3_u32 v69, s5, s31, v65
	s_delay_alu instid0(VALU_DEP_1) | instskip(NEXT) | instid1(VALU_DEP_1)
	v_mad_u64_u32 v[65:66], null, v69, s36, s[14:15]
	v_ashrrev_i32_e32 v66, 31, v65
	s_delay_alu instid0(VALU_DEP_1) | instskip(SKIP_1) | instid1(VALU_DEP_1)
	v_lshlrev_b64 v[65:66], 2, v[65:66]
	s_waitcnt lgkmcnt(0)
	v_add_co_u32 v69, vcc_lo, s18, v65
	s_delay_alu instid0(VALU_DEP_2)
	v_add_co_ci_u32_e32 v70, vcc_lo, s19, v66, vcc_lo
	v_add_co_u32 v65, vcc_lo, s16, v65
	v_add_co_ci_u32_e32 v66, vcc_lo, s17, v66, vcc_lo
	global_store_b32 v[69:70], v67, off
	global_store_b32 v[65:66], v68, off
.LBB1414_78:
	s_or_b32 exec_lo, exec_lo, s4
	s_waitcnt lgkmcnt(0)
	s_waitcnt_vscnt null, 0x0
	s_barrier
	buffer_gl0_inv
	ds_load_b128 v[83:86], v80
	ds_load_b128 v[87:90], v80 offset:16
	ds_load_b128 v[95:98], v80 offset:2064
	ds_load_b128 v[91:94], v80 offset:2048
	v_mov_b32_e32 v65, 0
	ds_load_b128 v[103:106], v80 offset:4112
	ds_load_b128 v[99:102], v80 offset:4096
	;; [unrolled: 1-line block ×4, first 2 shown]
	v_mov_b32_e32 v66, v65
	v_mov_b32_e32 v67, v65
	v_mov_b32_e32 v68, v65
	v_mov_b32_e32 v69, v65
	v_mov_b32_e32 v70, v65
	v_mov_b32_e32 v71, v65
	v_mov_b32_e32 v72, v65
	s_waitcnt lgkmcnt(6)
	s_delay_alu instid0(VALU_DEP_1)
	v_wmma_f32_16x16x16_bf16 v[65:72], v[57:64], v[83:90], v[65:72]
	ds_load_b128 v[61:64], v80 offset:8208
	ds_load_b128 v[57:60], v80 offset:8192
	s_waitcnt lgkmcnt(6)
	v_wmma_f32_16x16x16_bf16 v[65:72], v[41:48], v[91:98], v[65:72]
	ds_load_b128 v[45:48], v80 offset:10256
	ds_load_b128 v[41:44], v80 offset:10240
	s_waitcnt lgkmcnt(6)
	;; [unrolled: 4-line block ×4, first 2 shown]
	v_wmma_f32_16x16x16_bf16 v[65:72], v[1:8], v[57:64], v[65:72]
	s_waitcnt lgkmcnt(4)
	s_delay_alu instid0(VALU_DEP_1) | instskip(SKIP_1) | instid1(VALU_DEP_1)
	v_wmma_f32_16x16x16_bf16 v[65:72], v[9:16], v[41:48], v[65:72]
	s_waitcnt lgkmcnt(2)
	v_wmma_f32_16x16x16_bf16 v[65:72], v[17:24], v[33:40], v[65:72]
	s_waitcnt lgkmcnt(0)
	s_delay_alu instid0(VALU_DEP_1) | instskip(NEXT) | instid1(VALU_DEP_1)
	v_wmma_f32_16x16x16_bf16 v[65:72], v[49:56], v[25:32], v[65:72]
	v_and_b32_e32 v1, 0x7f800000, v65
	s_delay_alu instid0(VALU_DEP_1) | instskip(SKIP_1) | instid1(SALU_CYCLE_1)
	v_cmp_ne_u32_e32 vcc_lo, 0x7f800000, v1
                                        ; implicit-def: $vgpr1
	s_and_saveexec_b32 s4, vcc_lo
	s_xor_b32 s4, exec_lo, s4
; %bb.79:
	v_bfe_u32 v1, v65, 16, 1
	s_delay_alu instid0(VALU_DEP_1)
	v_add3_u32 v1, v65, v1, 0x7fff
; %bb.80:
	s_and_not1_saveexec_b32 s4, s4
; %bb.81:
	v_and_b32_e32 v1, 0xffff, v65
	v_or_b32_e32 v2, 0x10000, v65
	s_delay_alu instid0(VALU_DEP_2) | instskip(NEXT) | instid1(VALU_DEP_2)
	v_cmp_eq_u32_e32 vcc_lo, 0, v1
	v_cndmask_b32_e32 v1, v2, v65, vcc_lo
; %bb.82:
	s_or_b32 exec_lo, exec_lo, s4
	v_and_b32_e32 v2, 0x7f800000, v66
	s_delay_alu instid0(VALU_DEP_1) | instskip(SKIP_1) | instid1(SALU_CYCLE_1)
	v_cmp_ne_u32_e32 vcc_lo, 0x7f800000, v2
                                        ; implicit-def: $vgpr2
	s_and_saveexec_b32 s4, vcc_lo
	s_xor_b32 s4, exec_lo, s4
; %bb.83:
	v_bfe_u32 v2, v66, 16, 1
	s_delay_alu instid0(VALU_DEP_1)
	v_add3_u32 v2, v66, v2, 0x7fff
; %bb.84:
	s_and_not1_saveexec_b32 s4, s4
; %bb.85:
	v_and_b32_e32 v2, 0xffff, v66
	v_or_b32_e32 v3, 0x10000, v66
	s_delay_alu instid0(VALU_DEP_2) | instskip(NEXT) | instid1(VALU_DEP_2)
	v_cmp_eq_u32_e32 vcc_lo, 0, v2
	v_cndmask_b32_e32 v2, v3, v66, vcc_lo
; %bb.86:
	s_or_b32 exec_lo, exec_lo, s4
	v_and_b32_e32 v3, 0x7f800000, v67
	s_delay_alu instid0(VALU_DEP_1) | instskip(SKIP_1) | instid1(SALU_CYCLE_1)
	v_cmp_ne_u32_e32 vcc_lo, 0x7f800000, v3
                                        ; implicit-def: $vgpr3
	s_and_saveexec_b32 s4, vcc_lo
	s_xor_b32 s4, exec_lo, s4
; %bb.87:
	v_bfe_u32 v3, v67, 16, 1
	s_delay_alu instid0(VALU_DEP_1)
	v_add3_u32 v3, v67, v3, 0x7fff
; %bb.88:
	s_and_not1_saveexec_b32 s4, s4
; %bb.89:
	v_and_b32_e32 v3, 0xffff, v67
	v_or_b32_e32 v4, 0x10000, v67
	s_delay_alu instid0(VALU_DEP_2) | instskip(NEXT) | instid1(VALU_DEP_2)
	v_cmp_eq_u32_e32 vcc_lo, 0, v3
	v_cndmask_b32_e32 v3, v4, v67, vcc_lo
; %bb.90:
	s_or_b32 exec_lo, exec_lo, s4
	v_and_b32_e32 v4, 0x7f800000, v68
	s_delay_alu instid0(VALU_DEP_1) | instskip(SKIP_1) | instid1(SALU_CYCLE_1)
	v_cmp_ne_u32_e32 vcc_lo, 0x7f800000, v4
                                        ; implicit-def: $vgpr4
	s_and_saveexec_b32 s4, vcc_lo
	s_xor_b32 s4, exec_lo, s4
; %bb.91:
	v_bfe_u32 v4, v68, 16, 1
	s_delay_alu instid0(VALU_DEP_1)
	v_add3_u32 v4, v68, v4, 0x7fff
; %bb.92:
	s_and_not1_saveexec_b32 s4, s4
; %bb.93:
	v_and_b32_e32 v4, 0xffff, v68
	v_or_b32_e32 v5, 0x10000, v68
	s_delay_alu instid0(VALU_DEP_2) | instskip(NEXT) | instid1(VALU_DEP_2)
	v_cmp_eq_u32_e32 vcc_lo, 0, v4
	v_cndmask_b32_e32 v4, v5, v68, vcc_lo
; %bb.94:
	s_or_b32 exec_lo, exec_lo, s4
	v_and_b32_e32 v5, 0x7f800000, v69
	s_delay_alu instid0(VALU_DEP_1) | instskip(SKIP_1) | instid1(SALU_CYCLE_1)
	v_cmp_ne_u32_e32 vcc_lo, 0x7f800000, v5
                                        ; implicit-def: $vgpr5
	s_and_saveexec_b32 s4, vcc_lo
	s_xor_b32 s4, exec_lo, s4
; %bb.95:
	v_bfe_u32 v5, v69, 16, 1
	s_delay_alu instid0(VALU_DEP_1)
	v_add3_u32 v5, v69, v5, 0x7fff
; %bb.96:
	s_and_not1_saveexec_b32 s4, s4
; %bb.97:
	v_and_b32_e32 v5, 0xffff, v69
	v_or_b32_e32 v6, 0x10000, v69
	s_delay_alu instid0(VALU_DEP_2) | instskip(NEXT) | instid1(VALU_DEP_2)
	v_cmp_eq_u32_e32 vcc_lo, 0, v5
	v_cndmask_b32_e32 v5, v6, v69, vcc_lo
; %bb.98:
	s_or_b32 exec_lo, exec_lo, s4
	v_and_b32_e32 v6, 0x7f800000, v70
	s_delay_alu instid0(VALU_DEP_1) | instskip(SKIP_1) | instid1(SALU_CYCLE_1)
	v_cmp_ne_u32_e32 vcc_lo, 0x7f800000, v6
                                        ; implicit-def: $vgpr6
	s_and_saveexec_b32 s4, vcc_lo
	s_xor_b32 s4, exec_lo, s4
; %bb.99:
	v_bfe_u32 v6, v70, 16, 1
	s_delay_alu instid0(VALU_DEP_1)
	v_add3_u32 v6, v70, v6, 0x7fff
; %bb.100:
	s_and_not1_saveexec_b32 s4, s4
; %bb.101:
	v_and_b32_e32 v6, 0xffff, v70
	v_or_b32_e32 v7, 0x10000, v70
	s_delay_alu instid0(VALU_DEP_2) | instskip(NEXT) | instid1(VALU_DEP_2)
	v_cmp_eq_u32_e32 vcc_lo, 0, v6
	v_cndmask_b32_e32 v6, v7, v70, vcc_lo
; %bb.102:
	s_or_b32 exec_lo, exec_lo, s4
	v_and_b32_e32 v7, 0x7f800000, v71
	s_delay_alu instid0(VALU_DEP_1) | instskip(SKIP_1) | instid1(SALU_CYCLE_1)
	v_cmp_ne_u32_e32 vcc_lo, 0x7f800000, v7
                                        ; implicit-def: $vgpr7
	s_and_saveexec_b32 s4, vcc_lo
	s_xor_b32 s4, exec_lo, s4
; %bb.103:
	v_bfe_u32 v7, v71, 16, 1
	s_delay_alu instid0(VALU_DEP_1)
	v_add3_u32 v7, v71, v7, 0x7fff
; %bb.104:
	s_and_not1_saveexec_b32 s4, s4
; %bb.105:
	v_and_b32_e32 v7, 0xffff, v71
	v_or_b32_e32 v8, 0x10000, v71
	s_delay_alu instid0(VALU_DEP_2) | instskip(NEXT) | instid1(VALU_DEP_2)
	v_cmp_eq_u32_e32 vcc_lo, 0, v7
	v_cndmask_b32_e32 v7, v8, v71, vcc_lo
; %bb.106:
	s_or_b32 exec_lo, exec_lo, s4
	v_and_b32_e32 v8, 0x7f800000, v72
	s_delay_alu instid0(VALU_DEP_1) | instskip(SKIP_1) | instid1(SALU_CYCLE_1)
	v_cmp_ne_u32_e32 vcc_lo, 0x7f800000, v8
                                        ; implicit-def: $vgpr8
	s_and_saveexec_b32 s4, vcc_lo
	s_xor_b32 s4, exec_lo, s4
; %bb.107:
	v_bfe_u32 v8, v72, 16, 1
	s_delay_alu instid0(VALU_DEP_1)
	v_add3_u32 v8, v72, v8, 0x7fff
                                        ; implicit-def: $vgpr65_vgpr66_vgpr67_vgpr68_vgpr69_vgpr70_vgpr71_vgpr72
; %bb.108:
	s_and_not1_saveexec_b32 s4, s4
; %bb.109:
	v_and_b32_e32 v8, 0xffff, v72
	v_or_b32_e32 v9, 0x10000, v72
	s_delay_alu instid0(VALU_DEP_2) | instskip(NEXT) | instid1(VALU_DEP_2)
	v_cmp_eq_u32_e32 vcc_lo, 0, v8
	v_cndmask_b32_e32 v8, v9, v72, vcc_lo
; %bb.110:
	s_or_b32 exec_lo, exec_lo, s4
	s_delay_alu instid0(VALU_DEP_1)
	v_perm_b32 v7, v8, v7, 0x7060302
	v_perm_b32 v6, v6, v5, 0x7060302
	;; [unrolled: 1-line block ×4, first 2 shown]
	s_barrier
	buffer_gl0_inv
	v_cmp_eq_u32_e32 vcc_lo, 1, v78
	ds_store_b128 v76, v[4:7]
	s_waitcnt lgkmcnt(0)
	s_barrier
	buffer_gl0_inv
	ds_load_b128 v[1:4], v82
	ds_load_b128 v[5:8], v82 offset:16
	v_cmp_eq_u32_e64 s4, 1, v79
	v_cmp_eq_u32_e64 s5, 2, v78
	;; [unrolled: 1-line block ×5, first 2 shown]
	s_waitcnt lgkmcnt(1)
	v_lshrrev_b32_e32 v9, 16, v1
	s_waitcnt lgkmcnt(0)
	v_lshrrev_b32_e32 v13, 16, v5
	v_lshrrev_b32_e32 v10, 16, v2
	;; [unrolled: 1-line block ×4, first 2 shown]
	v_cndmask_b32_e64 v19, v1, v9, s4
	v_cndmask_b32_e32 v18, v5, v13, vcc_lo
	v_cndmask_b32_e64 v20, v5, v13, s4
	v_cndmask_b32_e32 v17, v1, v9, vcc_lo
	v_cmp_eq_u32_e32 vcc_lo, 2, v79
	v_lshrrev_b32_e32 v15, 16, v7
	v_cmp_eq_u32_e64 s4, 1, v77
	v_lshrrev_b32_e32 v12, 16, v4
	v_lshrrev_b32_e32 v16, 16, v8
	v_cndmask_b32_e32 v20, v20, v6, vcc_lo
	v_cndmask_b32_e64 v17, v17, v2, s5
	v_cndmask_b32_e32 v19, v19, v2, vcc_lo
	v_cndmask_b32_e64 v18, v18, v6, s5
	v_cmp_eq_u32_e32 vcc_lo, 4, v78
	v_cmp_eq_u32_e64 s5, 3, v79
	v_cndmask_b32_e64 v17, v17, v10, s6
	v_cndmask_b32_e64 v21, v1, v9, s4
	;; [unrolled: 1-line block ×5, first 2 shown]
	v_cndmask_b32_e32 v17, v17, v3, vcc_lo
	v_cndmask_b32_e64 v20, v20, v14, s5
	v_cndmask_b32_e32 v18, v18, v7, vcc_lo
	v_cmp_eq_u32_e32 vcc_lo, 4, v79
	v_cmp_eq_u32_e64 s5, 5, v79
	v_cmp_eq_u32_e64 s4, 2, v81
	v_cndmask_b32_e64 v21, v21, v2, s8
	v_cmp_eq_u32_e64 s6, 5, v78
	v_cndmask_b32_e32 v19, v19, v3, vcc_lo
	v_cndmask_b32_e32 v20, v20, v7, vcc_lo
	v_cmp_eq_u32_e32 vcc_lo, 6, v79
	s_delay_alu instid0(VALU_DEP_4) | instskip(NEXT) | instid1(VALU_DEP_4)
	v_cndmask_b32_e64 v17, v17, v11, s6
	v_cndmask_b32_e64 v19, v19, v11, s5
	s_delay_alu instid0(VALU_DEP_4) | instskip(SKIP_1) | instid1(VALU_DEP_3)
	v_cndmask_b32_e64 v20, v20, v15, s5
	v_cmp_eq_u32_e64 s5, 1, v81
	v_cndmask_b32_e32 v19, v19, v4, vcc_lo
	v_cndmask_b32_e64 v18, v18, v15, s6
	s_delay_alu instid0(VALU_DEP_3)
	v_cndmask_b32_e64 v1, v1, v9, s5
	v_cndmask_b32_e64 v5, v5, v13, s5
	v_cmp_eq_u32_e64 s5, 3, v77
	v_cndmask_b32_e64 v13, v22, v6, s8
	v_cmp_eq_u32_e64 s8, 3, v81
	v_cndmask_b32_e64 v1, v1, v2, s4
	v_cndmask_b32_e64 v2, v5, v6, s4
	;; [unrolled: 1-line block ×3, first 2 shown]
	v_cmp_eq_u32_e64 s4, 4, v77
	v_cndmask_b32_e64 v6, v13, v14, s5
	v_cndmask_b32_e64 v1, v1, v10, s8
	v_cmp_eq_u32_e64 s5, 4, v81
	v_cndmask_b32_e64 v2, v2, v14, s8
	v_cndmask_b32_e64 v5, v9, v3, s4
	;; [unrolled: 3-line block ×3, first 2 shown]
	v_cndmask_b32_e64 v2, v2, v7, s5
	v_cmp_eq_u32_e64 s4, 5, v81
	v_cmp_eq_u32_e64 s6, 6, v78
	v_cndmask_b32_e64 v5, v5, v11, s8
	v_cmp_eq_u32_e64 s5, 6, v77
	v_cndmask_b32_e64 v3, v6, v15, s8
	v_cndmask_b32_e64 v1, v1, v11, s4
	v_cmp_eq_u32_e64 s8, 6, v81
	v_cndmask_b32_e64 v2, v2, v15, s4
	v_cndmask_b32_e64 v17, v17, v4, s6
	v_cndmask_b32_e64 v18, v18, v8, s6
	v_cmp_eq_u32_e64 s6, 7, v78
	v_cndmask_b32_e64 v5, v5, v4, s5
	;; [unrolled: 4-line block ×3, first 2 shown]
	v_cmp_eq_u32_e64 s5, 7, v77
	v_cndmask_b32_e32 v4, v20, v8, vcc_lo
	v_cndmask_b32_e64 v17, v17, v12, s6
	v_cndmask_b32_e64 v19, v19, v12, s7
	;; [unrolled: 1-line block ×8, first 2 shown]
	v_cmp_gt_u32_e32 vcc_lo, 32, v0
	v_perm_b32 v4, v2, v1, 0x5040100
	v_perm_b32 v3, v3, v5, 0x5040100
	;; [unrolled: 1-line block ×4, first 2 shown]
	s_and_b32 s2, vcc_lo, s2
	ds_store_b128 v76, v[1:4]
	s_waitcnt lgkmcnt(0)
	s_barrier
	buffer_gl0_inv
	s_and_saveexec_b32 s4, s2
	s_cbranch_execz .LBB1414_2
; %bb.111:
	s_load_b64 s[4:5], s[0:1], 0x68
	v_lshlrev_b32_e32 v0, 10, v0
	v_lshlrev_b32_e32 v1, 4, v75
	s_lshl_b32 s0, s36, 6
	v_add_nc_u32_e32 v2, s31, v74
	s_mul_i32 s1, s0, s34
	s_delay_alu instid0(SALU_CYCLE_1) | instskip(SKIP_1) | instid1(VALU_DEP_2)
	s_mul_i32 s6, s1, s9
	v_and_or_b32 v0, 0x3800, v0, v1
	v_mul_lo_u32 v1, v2, s0
	s_ashr_i32 s7, s6, 31
	v_add_nc_u32_e32 v3, 2, v2
	s_lshl_b64 s[6:7], s[6:7], 1
	v_add_nc_u32_e32 v4, 4, v2
	v_add_nc_u32_e32 v5, 6, v2
	v_lshl_or_b32 v15, v74, 6, v0
	v_mul_lo_u32 v3, v3, s0
	v_ashrrev_i32_e32 v2, 31, v1
	v_mul_lo_u32 v19, v4, s0
	v_mul_lo_u32 v21, v5, s0
	s_waitcnt lgkmcnt(0)
	s_add_u32 s1, s4, s6
	s_addc_u32 s2, s5, s7
	s_lshl_b32 s4, s14, 6
	v_lshlrev_b64 v[5:6], 1, v[1:2]
	s_ashr_i32 s5, s4, 31
	v_ashrrev_i32_e32 v4, 31, v3
	s_lshl_b64 s[4:5], s[4:5], 1
	v_ashrrev_i32_e32 v20, 31, v19
	s_add_u32 s1, s1, s4
	s_addc_u32 s2, s2, s5
	v_add_co_u32 v1, s1, s1, v73
	s_delay_alu instid0(VALU_DEP_1) | instskip(SKIP_1) | instid1(VALU_DEP_3)
	v_add_co_ci_u32_e64 v2, null, s2, 0, s1
	v_lshlrev_b64 v[25:26], 1, v[3:4]
	v_add_co_u32 v23, vcc_lo, v1, v5
	s_delay_alu instid0(VALU_DEP_3)
	v_add_co_ci_u32_e32 v24, vcc_lo, v2, v6, vcc_lo
	ds_load_b128 v[3:6], v15
	ds_load_b128 v[7:10], v15 offset:128
	ds_load_b128 v[11:14], v15 offset:256
	;; [unrolled: 1-line block ×3, first 2 shown]
	v_ashrrev_i32_e32 v22, 31, v21
	v_lshlrev_b64 v[19:20], 1, v[19:20]
	v_add_co_u32 v25, vcc_lo, v1, v25
	v_add_co_ci_u32_e32 v26, vcc_lo, v2, v26, vcc_lo
	s_delay_alu instid0(VALU_DEP_4) | instskip(NEXT) | instid1(VALU_DEP_4)
	v_lshlrev_b64 v[21:22], 1, v[21:22]
	v_add_co_u32 v19, vcc_lo, v1, v19
	v_add_co_ci_u32_e32 v20, vcc_lo, v2, v20, vcc_lo
	s_delay_alu instid0(VALU_DEP_3) | instskip(NEXT) | instid1(VALU_DEP_4)
	v_add_co_u32 v21, vcc_lo, v1, v21
	v_add_co_ci_u32_e32 v22, vcc_lo, v2, v22, vcc_lo
	s_waitcnt lgkmcnt(3)
	global_store_b128 v[23:24], v[3:6], off
	s_waitcnt lgkmcnt(2)
	global_store_b128 v[25:26], v[7:10], off
	s_waitcnt lgkmcnt(1)
	global_store_b128 v[19:20], v[11:14], off
	s_waitcnt lgkmcnt(0)
	global_store_b128 v[21:22], v[15:18], off
	s_and_b32 exec_lo, exec_lo, s3
	s_cbranch_execz .LBB1414_2
; %bb.112:
	ds_load_b128 v[3:6], v0 offset:512
	s_add_i32 s1, s31, 8
	s_delay_alu instid0(SALU_CYCLE_1) | instskip(NEXT) | instid1(SALU_CYCLE_1)
	s_mul_i32 s0, s1, s0
	s_ashr_i32 s1, s0, 31
	s_delay_alu instid0(SALU_CYCLE_1) | instskip(NEXT) | instid1(SALU_CYCLE_1)
	s_lshl_b64 s[0:1], s[0:1], 1
	v_add_co_u32 v0, vcc_lo, v1, s0
	v_add_co_ci_u32_e32 v1, vcc_lo, s1, v2, vcc_lo
	s_waitcnt lgkmcnt(0)
	global_store_b128 v[0:1], v[3:6], off
	s_nop 0
	s_sendmsg sendmsg(MSG_DEALLOC_VGPRS)
	s_endpgm
	.section	.rodata,"a",@progbits
	.p2align	6, 0x0
	.amdhsa_kernel _Z39paged_attention_ll4mi_QKV_mfma16_kernelI14__hip_bfloat16hLN4vllm18Fp8KVCacheDataTypeE1ES0_Li16ELi64ELi256ELb0ELi9EL8MFMAType1EEvPKT_PKT0_S9_ifPKiSB_SB_iPKfiiiPfSE_PS4_PT2_iSD_SD_
		.amdhsa_group_segment_fixed_size 17472
		.amdhsa_private_segment_fixed_size 0
		.amdhsa_kernarg_size 400
		.amdhsa_user_sgpr_count 13
		.amdhsa_user_sgpr_dispatch_ptr 0
		.amdhsa_user_sgpr_queue_ptr 0
		.amdhsa_user_sgpr_kernarg_segment_ptr 1
		.amdhsa_user_sgpr_dispatch_id 0
		.amdhsa_user_sgpr_private_segment_size 0
		.amdhsa_wavefront_size32 1
		.amdhsa_uses_dynamic_stack 0
		.amdhsa_enable_private_segment 0
		.amdhsa_system_sgpr_workgroup_id_x 1
		.amdhsa_system_sgpr_workgroup_id_y 1
		.amdhsa_system_sgpr_workgroup_id_z 1
		.amdhsa_system_sgpr_workgroup_info 0
		.amdhsa_system_vgpr_workitem_id 0
		.amdhsa_next_free_vgpr 124
		.amdhsa_next_free_sgpr 40
		.amdhsa_reserve_vcc 1
		.amdhsa_float_round_mode_32 0
		.amdhsa_float_round_mode_16_64 0
		.amdhsa_float_denorm_mode_32 3
		.amdhsa_float_denorm_mode_16_64 3
		.amdhsa_dx10_clamp 1
		.amdhsa_ieee_mode 1
		.amdhsa_fp16_overflow 0
		.amdhsa_workgroup_processor_mode 1
		.amdhsa_memory_ordered 1
		.amdhsa_forward_progress 0
		.amdhsa_shared_vgpr_count 0
		.amdhsa_exception_fp_ieee_invalid_op 0
		.amdhsa_exception_fp_denorm_src 0
		.amdhsa_exception_fp_ieee_div_zero 0
		.amdhsa_exception_fp_ieee_overflow 0
		.amdhsa_exception_fp_ieee_underflow 0
		.amdhsa_exception_fp_ieee_inexact 0
		.amdhsa_exception_int_div_zero 0
	.end_amdhsa_kernel
	.section	.text._Z39paged_attention_ll4mi_QKV_mfma16_kernelI14__hip_bfloat16hLN4vllm18Fp8KVCacheDataTypeE1ES0_Li16ELi64ELi256ELb0ELi9EL8MFMAType1EEvPKT_PKT0_S9_ifPKiSB_SB_iPKfiiiPfSE_PS4_PT2_iSD_SD_,"axG",@progbits,_Z39paged_attention_ll4mi_QKV_mfma16_kernelI14__hip_bfloat16hLN4vllm18Fp8KVCacheDataTypeE1ES0_Li16ELi64ELi256ELb0ELi9EL8MFMAType1EEvPKT_PKT0_S9_ifPKiSB_SB_iPKfiiiPfSE_PS4_PT2_iSD_SD_,comdat
.Lfunc_end1414:
	.size	_Z39paged_attention_ll4mi_QKV_mfma16_kernelI14__hip_bfloat16hLN4vllm18Fp8KVCacheDataTypeE1ES0_Li16ELi64ELi256ELb0ELi9EL8MFMAType1EEvPKT_PKT0_S9_ifPKiSB_SB_iPKfiiiPfSE_PS4_PT2_iSD_SD_, .Lfunc_end1414-_Z39paged_attention_ll4mi_QKV_mfma16_kernelI14__hip_bfloat16hLN4vllm18Fp8KVCacheDataTypeE1ES0_Li16ELi64ELi256ELb0ELi9EL8MFMAType1EEvPKT_PKT0_S9_ifPKiSB_SB_iPKfiiiPfSE_PS4_PT2_iSD_SD_
                                        ; -- End function
	.section	.AMDGPU.csdata,"",@progbits
; Kernel info:
; codeLenInByte = 8792
; NumSgprs: 42
; NumVgprs: 124
; ScratchSize: 0
; MemoryBound: 0
; FloatMode: 240
; IeeeMode: 1
; LDSByteSize: 17472 bytes/workgroup (compile time only)
; SGPRBlocks: 5
; VGPRBlocks: 15
; NumSGPRsForWavesPerEU: 42
; NumVGPRsForWavesPerEU: 124
; Occupancy: 10
; WaveLimiterHint : 1
; COMPUTE_PGM_RSRC2:SCRATCH_EN: 0
; COMPUTE_PGM_RSRC2:USER_SGPR: 13
; COMPUTE_PGM_RSRC2:TRAP_HANDLER: 0
; COMPUTE_PGM_RSRC2:TGID_X_EN: 1
; COMPUTE_PGM_RSRC2:TGID_Y_EN: 1
; COMPUTE_PGM_RSRC2:TGID_Z_EN: 1
; COMPUTE_PGM_RSRC2:TIDIG_COMP_CNT: 0
	.section	.text._Z39paged_attention_ll4mi_QKV_mfma16_kernelI14__hip_bfloat16hLN4vllm18Fp8KVCacheDataTypeE1ES0_Li16ELi64ELi256ELb0ELi10EL8MFMAType1EEvPKT_PKT0_S9_ifPKiSB_SB_iPKfiiiPfSE_PS4_PT2_iSD_SD_,"axG",@progbits,_Z39paged_attention_ll4mi_QKV_mfma16_kernelI14__hip_bfloat16hLN4vllm18Fp8KVCacheDataTypeE1ES0_Li16ELi64ELi256ELb0ELi10EL8MFMAType1EEvPKT_PKT0_S9_ifPKiSB_SB_iPKfiiiPfSE_PS4_PT2_iSD_SD_,comdat
	.protected	_Z39paged_attention_ll4mi_QKV_mfma16_kernelI14__hip_bfloat16hLN4vllm18Fp8KVCacheDataTypeE1ES0_Li16ELi64ELi256ELb0ELi10EL8MFMAType1EEvPKT_PKT0_S9_ifPKiSB_SB_iPKfiiiPfSE_PS4_PT2_iSD_SD_ ; -- Begin function _Z39paged_attention_ll4mi_QKV_mfma16_kernelI14__hip_bfloat16hLN4vllm18Fp8KVCacheDataTypeE1ES0_Li16ELi64ELi256ELb0ELi10EL8MFMAType1EEvPKT_PKT0_S9_ifPKiSB_SB_iPKfiiiPfSE_PS4_PT2_iSD_SD_
	.globl	_Z39paged_attention_ll4mi_QKV_mfma16_kernelI14__hip_bfloat16hLN4vllm18Fp8KVCacheDataTypeE1ES0_Li16ELi64ELi256ELb0ELi10EL8MFMAType1EEvPKT_PKT0_S9_ifPKiSB_SB_iPKfiiiPfSE_PS4_PT2_iSD_SD_
	.p2align	8
	.type	_Z39paged_attention_ll4mi_QKV_mfma16_kernelI14__hip_bfloat16hLN4vllm18Fp8KVCacheDataTypeE1ES0_Li16ELi64ELi256ELb0ELi10EL8MFMAType1EEvPKT_PKT0_S9_ifPKiSB_SB_iPKfiiiPfSE_PS4_PT2_iSD_SD_,@function
_Z39paged_attention_ll4mi_QKV_mfma16_kernelI14__hip_bfloat16hLN4vllm18Fp8KVCacheDataTypeE1ES0_Li16ELi64ELi256ELb0ELi10EL8MFMAType1EEvPKT_PKT0_S9_ifPKiSB_SB_iPKfiiiPfSE_PS4_PT2_iSD_SD_: ; @_Z39paged_attention_ll4mi_QKV_mfma16_kernelI14__hip_bfloat16hLN4vllm18Fp8KVCacheDataTypeE1ES0_Li16ELi64ELi256ELb0ELi10EL8MFMAType1EEvPKT_PKT0_S9_ifPKiSB_SB_iPKfiiiPfSE_PS4_PT2_iSD_SD_
; %bb.0:
	s_load_b64 s[2:3], s[0:1], 0x30
	s_mov_b32 s30, s13
	s_waitcnt lgkmcnt(0)
	s_cmp_lg_u64 s[2:3], 0
	s_cselect_b32 s8, -1, 0
	s_ashr_i32 s31, s13, 31
	s_cmp_eq_u64 s[2:3], 0
	s_cbranch_scc1 .LBB1415_3
; %bb.1:
	s_lshl_b64 s[4:5], s[30:31], 2
	s_delay_alu instid0(SALU_CYCLE_1) | instskip(SKIP_4) | instid1(SALU_CYCLE_1)
	s_add_u32 s4, s2, s4
	s_addc_u32 s5, s3, s5
	s_load_b64 s[4:5], s[4:5], 0x0
	s_waitcnt lgkmcnt(0)
	s_sub_i32 s4, s5, s4
	s_cmp_eq_u32 s4, 1
	s_cselect_b32 s4, -1, 0
	s_delay_alu instid0(SALU_CYCLE_1)
	s_and_not1_b32 vcc_lo, exec_lo, s4
	s_cbranch_vccz .LBB1415_4
.LBB1415_2:
	s_endpgm
.LBB1415_3:
.LBB1415_4:
	s_load_b64 s[4:5], s[0:1], 0x28
	s_lshl_b64 s[6:7], s[30:31], 2
	s_waitcnt lgkmcnt(0)
	s_add_u32 s4, s4, s6
	s_addc_u32 s5, s5, s7
	s_lshl_b32 s12, s14, 8
	s_load_b32 s24, s[4:5], 0x0
	s_waitcnt lgkmcnt(0)
	s_cmp_ge_i32 s12, s24
	s_cbranch_scc1 .LBB1415_2
; %bb.5:
	s_clause 0x1
	s_load_b128 s[20:23], s[0:1], 0x8
	s_load_b64 s[4:5], s[0:1], 0x20
	s_and_not1_b32 vcc_lo, exec_lo, s8
	s_cbranch_vccnz .LBB1415_7
; %bb.6:
	s_add_u32 s2, s2, s6
	s_addc_u32 s3, s3, s7
	s_load_b32 s3, s[2:3], 0x0
	s_branch .LBB1415_8
.LBB1415_7:
	s_mov_b32 s3, s30
.LBB1415_8:
	s_load_b128 s[16:19], s[0:1], 0x48
	v_and_b32_e32 v65, 15, v0
	v_cmp_gt_u32_e32 vcc_lo, 0xa0, v0
	v_lshrrev_b32_e32 v66, 5, v0
	v_and_b32_e32 v67, 31, v0
	v_and_b32_e32 v75, 1, v0
	v_lshlrev_b32_e32 v1, 3, v65
	v_cmp_gt_u32_e64 s2, 8, v65
	v_bfe_u32 v74, v0, 4, 1
	s_mul_i32 s31, s15, 10
	s_delay_alu instid0(VALU_DEP_3) | instskip(NEXT) | instid1(VALU_DEP_3)
	v_lshlrev_b32_e32 v73, 1, v1
	s_and_b32 s7, vcc_lo, s2
	s_delay_alu instid0(SALU_CYCLE_1)
	s_and_saveexec_b32 s6, s7
	s_cbranch_execz .LBB1415_10
; %bb.9:
	s_load_b64 s[8:9], s[0:1], 0x0
	v_lshl_or_b32 v5, v66, 1, v74
	s_waitcnt lgkmcnt(0)
	s_mul_hi_i32 s11, s3, s16
	s_mul_i32 s10, s3, s16
	v_lshlrev_b32_e32 v6, 10, v65
	s_lshl_b64 s[10:11], s[10:11], 1
	v_add_lshl_u32 v1, v5, s31, 6
	v_lshlrev_b32_e32 v5, 6, v5
	v_lshlrev_b32_e32 v7, 10, v75
	v_and_b32_e32 v6, 0x3800, v6
	s_delay_alu instid0(VALU_DEP_4) | instskip(NEXT) | instid1(VALU_DEP_2)
	v_ashrrev_i32_e32 v2, 31, v1
	v_or3_b32 v5, v6, v7, v5
	s_delay_alu instid0(VALU_DEP_2) | instskip(SKIP_2) | instid1(VALU_DEP_1)
	v_lshlrev_b64 v[1:2], 1, v[1:2]
	s_add_u32 s3, s8, s10
	s_addc_u32 s7, s9, s11
	v_add_co_u32 v1, vcc_lo, s3, v1
	s_delay_alu instid0(VALU_DEP_2) | instskip(NEXT) | instid1(VALU_DEP_2)
	v_add_co_ci_u32_e32 v2, vcc_lo, s7, v2, vcc_lo
	v_add_co_u32 v1, vcc_lo, v1, v73
	s_delay_alu instid0(VALU_DEP_2)
	v_add_co_ci_u32_e32 v2, vcc_lo, 0, v2, vcc_lo
	global_load_b128 v[1:4], v[1:2], off
	s_waitcnt vmcnt(0)
	ds_store_b128 v5, v[1:4]
.LBB1415_10:
	s_or_b32 exec_lo, exec_lo, s6
	v_and_b32_e32 v1, 0xef, v0
	s_waitcnt lgkmcnt(0)
	s_add_i32 s3, s24, 15
	s_clause 0x1
	s_load_b32 s6, s[0:1], 0x38
	s_load_b32 s19, s[0:1], 0x1c
	s_ashr_i32 s7, s3, 31
	v_add_nc_u32_e32 v1, s12, v1
	s_lshr_b32 s7, s7, 28
	s_waitcnt lgkmcnt(0)
	s_add_i32 s3, s3, s7
	s_barrier
	v_ashrrev_i32_e32 v2, 31, v1
	v_or_b32_e32 v3, 16, v1
	s_ashr_i32 s3, s3, 4
	v_cmp_gt_i32_e32 vcc_lo, s24, v1
	s_add_i32 s3, s3, -1
	v_lshrrev_b32_e32 v2, 28, v2
	buffer_gl0_inv
	s_mul_i32 s27, s15, s18
	v_add_nc_u32_e32 v4, v1, v2
	s_mul_i32 s6, s30, s6
	s_delay_alu instid0(SALU_CYCLE_1) | instskip(NEXT) | instid1(VALU_DEP_1)
	s_ashr_i32 s7, s6, 31
	v_ashrrev_i32_e32 v4, 4, v4
	v_add_nc_u32_e32 v2, v3, v2
	s_lshl_b64 s[6:7], s[6:7], 2
	s_delay_alu instid0(SALU_CYCLE_1) | instskip(NEXT) | instid1(VALU_DEP_2)
	s_add_u32 s26, s4, s6
	v_cndmask_b32_e32 v1, s3, v4, vcc_lo
	s_delay_alu instid0(VALU_DEP_2)
	v_ashrrev_i32_e32 v2, 4, v2
	v_cmp_gt_i32_e32 vcc_lo, s24, v3
	s_addc_u32 s25, s5, s7
	s_ashr_i32 s28, s27, 31
	s_add_u32 s13, s20, s27
	s_addc_u32 s15, s21, s28
	v_cndmask_b32_e32 v3, s3, v2, vcc_lo
	v_ashrrev_i32_e32 v2, 31, v1
	s_lshl_b32 s4, s14, 4
	s_delay_alu instid0(SALU_CYCLE_1) | instskip(NEXT) | instid1(VALU_DEP_2)
	s_ashr_i32 s5, s4, 31
	v_ashrrev_i32_e32 v4, 31, v3
	s_delay_alu instid0(VALU_DEP_2) | instskip(SKIP_1) | instid1(SALU_CYCLE_1)
	v_lshlrev_b64 v[1:2], 2, v[1:2]
	s_lshl_b64 s[4:5], s[4:5], 2
	s_add_u32 s4, s26, s4
	s_delay_alu instid0(VALU_DEP_2) | instskip(SKIP_1) | instid1(VALU_DEP_2)
	v_lshlrev_b64 v[3:4], 2, v[3:4]
	s_addc_u32 s5, s25, s5
	v_add_co_u32 v1, vcc_lo, s26, v1
	v_add_co_ci_u32_e32 v2, vcc_lo, s25, v2, vcc_lo
	s_delay_alu instid0(VALU_DEP_3) | instskip(NEXT) | instid1(VALU_DEP_4)
	v_add_co_u32 v3, vcc_lo, s26, v3
	v_add_co_ci_u32_e32 v4, vcc_lo, s25, v4, vcc_lo
	s_clause 0x1
	global_load_b32 v5, v[1:2], off
	global_load_b32 v7, v[3:4], off
	s_or_b32 s6, s12, 32
	v_lshlrev_b32_e32 v1, 4, v0
	s_ashr_i32 s7, s6, 4
	s_cmp_lt_i32 s6, s24
	v_cmp_gt_u32_e32 vcc_lo, 10, v65
	s_cselect_b32 s6, s7, s3
	v_and_b32_e32 v1, 0xf0, v1
	s_ashr_i32 s7, s6, 31
	s_delay_alu instid0(SALU_CYCLE_1) | instskip(NEXT) | instid1(SALU_CYCLE_1)
	s_lshl_b64 s[6:7], s[6:7], 2
	s_add_u32 s6, s26, s6
	s_addc_u32 s7, s25, s7
	s_or_b32 s8, s12, 64
	v_add_co_u32 v1, s13, s13, v1
	s_ashr_i32 s9, s8, 4
	s_cmp_lt_i32 s8, s24
	v_add_co_ci_u32_e64 v2, null, s15, 0, s13
	s_cselect_b32 s8, s9, s3
	s_delay_alu instid0(SALU_CYCLE_1) | instskip(NEXT) | instid1(SALU_CYCLE_1)
	s_ashr_i32 s9, s8, 31
	s_lshl_b64 s[8:9], s[8:9], 2
	s_delay_alu instid0(SALU_CYCLE_1) | instskip(SKIP_2) | instid1(SALU_CYCLE_1)
	s_add_u32 s8, s26, s8
	s_addc_u32 s9, s25, s9
	s_or_b32 s10, s12, 0x60
	s_ashr_i32 s11, s10, 4
	s_cmp_lt_i32 s10, s24
	s_cselect_b32 s10, s11, s3
	s_delay_alu instid0(SALU_CYCLE_1) | instskip(NEXT) | instid1(SALU_CYCLE_1)
	s_ashr_i32 s11, s10, 31
	s_lshl_b64 s[10:11], s[10:11], 2
	s_delay_alu instid0(SALU_CYCLE_1) | instskip(SKIP_2) | instid1(SALU_CYCLE_1)
	s_add_u32 s10, s26, s10
	s_addc_u32 s11, s25, s11
	s_or_b32 s16, s12, 0x80
	s_ashr_i32 s18, s16, 4
	s_cmp_lt_i32 s16, s24
	;; [unrolled: 10-line block ×3, first 2 shown]
	s_cselect_b32 s20, s18, s3
	s_delay_alu instid0(SALU_CYCLE_1) | instskip(NEXT) | instid1(SALU_CYCLE_1)
	s_ashr_i32 s21, s20, 31
	s_lshl_b64 s[20:21], s[20:21], 2
	s_delay_alu instid0(SALU_CYCLE_1)
	s_add_u32 s36, s26, s20
	s_addc_u32 s37, s25, s21
	s_clause 0x5
	s_load_b32 s21, s[4:5], 0x0
	s_load_b32 s13, s[6:7], 0x0
	s_load_b32 s15, s[8:9], 0x0
	s_load_b32 s16, s[10:11], 0x0
	s_load_b32 s18, s[34:35], 0x0
	s_load_b32 s20, s[36:37], 0x0
	s_or_b32 s8, s12, 0xc0
	s_mov_b32 s4, 0
	s_ashr_i32 s9, s8, 4
	s_cmp_lt_i32 s8, s24
	s_mov_b32 s11, s4
	s_cselect_b32 s34, s9, s3
	s_mov_b32 s5, s4
	s_ashr_i32 s35, s34, 31
	s_mov_b32 s6, s4
	s_lshl_b64 s[34:35], s[34:35], 2
	s_mov_b32 s7, s4
	s_add_u32 s34, s26, s34
	s_addc_u32 s35, s25, s35
	s_or_b32 s29, s12, 0xe0
	s_mov_b32 s8, s4
	s_ashr_i32 s33, s29, 4
	s_mov_b32 s9, s4
	s_mov_b32 s10, s4
	s_cmp_lt_i32 s29, s24
	v_dual_mov_b32 v107, s11 :: v_dual_mov_b32 v100, s4
	v_mov_b32_e32 v106, s10
	v_dual_mov_b32 v104, s8 :: v_dual_mov_b32 v103, s7
	v_dual_mov_b32 v102, s6 :: v_dual_mov_b32 v101, s5
	s_waitcnt vmcnt(1)
	v_mad_i64_i32 v[3:4], null, v5, s17, v[1:2]
	s_waitcnt vmcnt(0)
	v_mad_i64_i32 v[5:6], null, v7, s17, v[1:2]
	v_add_nc_u32_e32 v1, -10, v65
	v_lshlrev_b32_e32 v2, 4, v65
	s_clause 0x7
	global_load_b128 v[49:52], v[3:4], off
	global_load_b128 v[53:56], v[3:4], off offset:256
	global_load_b128 v[76:79], v[5:6], off
	global_load_b128 v[80:83], v[5:6], off offset:256
	global_load_b128 v[84:87], v[3:4], off offset:512
	;; [unrolled: 1-line block ×5, first 2 shown]
	v_cndmask_b32_e32 v1, v1, v65, vcc_lo
	v_mov_b32_e32 v105, s9
	s_cselect_b32 s4, s33, s3
	v_lshl_or_b32 v2, v66, 8, v2
	s_ashr_i32 s5, s4, 31
	v_lshlrev_b32_e32 v70, 6, v1
	s_lshl_b64 s[4:5], s[4:5], 2
	s_load_b32 s3, s[34:35], 0x0
	s_add_u32 s4, s26, s4
	s_addc_u32 s5, s25, s5
	ds_load_b128 v[108:111], v70
	ds_load_b128 v[112:115], v70 offset:1024
	s_load_b32 s4, s[4:5], 0x0
	s_add_u32 s6, s22, s27
	s_addc_u32 s7, s23, s28
	v_add_co_u32 v9, s6, s6, v2
	s_delay_alu instid0(VALU_DEP_1) | instskip(SKIP_1) | instid1(VALU_DEP_1)
	v_add_co_ci_u32_e64 v10, null, s7, 0, s6
	s_waitcnt lgkmcnt(0)
	v_mad_i64_i32 v[1:2], null, s21, s17, v[9:10]
	v_mad_i64_i32 v[3:4], null, s13, s17, v[9:10]
	;; [unrolled: 1-line block ×7, first 2 shown]
	s_clause 0x9
	global_load_b128 v[57:60], v[1:2], off
	global_load_b128 v[61:64], v[1:2], off offset:16
	global_load_b128 v[41:44], v[3:4], off
	global_load_b128 v[45:48], v[3:4], off offset:16
	;; [unrolled: 2-line block ×5, first 2 shown]
	v_mad_i64_i32 v[68:69], null, s4, s17, v[9:10]
	s_clause 0x3
	global_load_b128 v[9:12], v[13:14], off
	global_load_b128 v[13:16], v[13:14], off offset:16
	global_load_b128 v[17:20], v[21:22], off
	global_load_b128 v[21:24], v[21:22], off offset:16
	s_waitcnt vmcnt(20)
	v_wmma_f32_16x16x16_bf16 v[116:123], v[49:56], v[108:115], v[100:107]
	s_clause 0x1
	global_load_b128 v[49:52], v[68:69], off
	global_load_b128 v[53:56], v[68:69], off offset:16
	v_and_b32_e32 v68, 0xe0, v0
	v_mbcnt_lo_u32_b32 v69, -1, 0
	s_delay_alu instid0(VALU_DEP_2)
	v_add_nc_u32_e32 v68, s12, v68
	s_waitcnt vmcnt(20)
	v_wmma_f32_16x16x16_bf16 v[100:107], v[76:83], v[108:115], v[100:107]
	ds_load_b128 v[76:79], v70 offset:2048
	ds_load_b128 v[80:83], v70 offset:3072
	v_xor_b32_e32 v70, 16, v69
	s_waitcnt vmcnt(0) lgkmcnt(0)
	v_or_b32_e32 v68, v68, v74
	s_barrier
	buffer_gl0_inv
	v_cmp_gt_i32_e32 vcc_lo, 32, v70
	v_or_b32_e32 v71, 4, v68
	v_or_b32_e32 v72, 6, v68
	v_cmp_gt_i32_e64 s3, s24, v68
	v_or_b32_e32 v108, 8, v68
	v_or_b32_e32 v109, 10, v68
	v_cmp_gt_i32_e64 s4, s24, v71
	v_cmp_gt_i32_e64 s5, s24, v72
	s_delay_alu instid0(VALU_DEP_4) | instskip(NEXT) | instid1(VALU_DEP_4)
	v_cmp_gt_i32_e64 s6, s24, v108
	v_cmp_gt_i32_e64 s7, s24, v109
	v_wmma_f32_16x16x16_bf16 v[116:123], v[84:91], v[76:83], v[116:123]
	v_cndmask_b32_e32 v69, v69, v70, vcc_lo
	v_or_b32_e32 v70, 2, v68
	v_wmma_f32_16x16x16_bf16 v[100:107], v[92:99], v[76:83], v[100:107]
	v_or_b32_e32 v89, 22, v68
	v_dual_mul_f32 v82, s19, v119 :: v_dual_mul_f32 v79, s19, v122
	v_dual_mul_f32 v92, s19, v117 :: v_dual_mul_f32 v93, s19, v116
	s_delay_alu instid0(VALU_DEP_4) | instskip(SKIP_2) | instid1(VALU_DEP_4)
	v_mul_f32_e32 v98, s19, v103
	v_cmp_gt_i32_e32 vcc_lo, s24, v70
	v_dual_mul_f32 v83, s19, v118 :: v_dual_mul_f32 v96, s19, v105
	v_cndmask_b32_e64 v93, 0xff7fffff, v93, s3
	v_or_b32_e32 v84, 12, v68
	v_cndmask_b32_e32 v92, 0xff7fffff, v92, vcc_lo
	v_or_b32_e32 v85, 14, v68
	v_dual_mul_f32 v80, s19, v121 :: v_dual_mul_f32 v81, s19, v120
	v_mul_f32_e32 v94, s19, v107
	v_cndmask_b32_e64 v71, 0xff7fffff, v83, s4
	v_cndmask_b32_e64 v72, 0xff7fffff, v82, s5
	v_cmp_gt_i32_e64 s13, s24, v89
	v_lshlrev_b32_e32 v89, 2, v69
	v_max3_f32 v82, v93, 0xff7fffff, v92
	v_or_b32_e32 v86, 16, v68
	v_or_b32_e32 v87, 18, v68
	v_mul_f32_e32 v78, s19, v123
	v_cndmask_b32_e64 v81, 0xff7fffff, v81, s6
	v_cndmask_b32_e64 v80, 0xff7fffff, v80, s7
	v_max3_f32 v71, v82, v71, v72
	v_cmp_gt_i32_e64 s8, s24, v84
	v_cmp_gt_i32_e64 s9, s24, v85
	v_or_b32_e32 v88, 20, v68
	v_or_b32_e32 v90, 24, v68
	;; [unrolled: 1-line block ×5, first 2 shown]
	v_dual_mul_f32 v95, s19, v106 :: v_dual_mul_f32 v70, s19, v101
	v_dual_mul_f32 v99, s19, v102 :: v_dual_mul_f32 v68, s19, v100
	v_cndmask_b32_e64 v72, 0xff7fffff, v79, s8
	v_cndmask_b32_e64 v78, 0xff7fffff, v78, s9
	v_max3_f32 v71, v71, v81, v80
	v_cmp_gt_i32_e64 s10, s24, v86
	v_cmp_gt_i32_e64 s11, s24, v87
	;; [unrolled: 1-line block ×3, first 2 shown]
	v_mul_f32_e32 v97, s19, v104
	v_max3_f32 v71, v71, v72, v78
	v_cndmask_b32_e64 v68, 0xff7fffff, v68, s10
	v_cndmask_b32_e64 v70, 0xff7fffff, v70, s11
	;; [unrolled: 1-line block ×4, first 2 shown]
	v_cmp_gt_i32_e64 s15, s24, v90
	v_cmp_gt_i32_e64 s16, s24, v91
	v_max3_f32 v68, v71, v68, v70
	v_cmp_gt_i32_e64 s17, s24, v76
	v_cmp_gt_i32_e64 s18, s24, v77
	v_cndmask_b32_e64 v70, 0xff7fffff, v97, s15
	v_cndmask_b32_e64 v71, 0xff7fffff, v96, s16
	v_max3_f32 v68, v68, v72, v78
	v_cndmask_b32_e64 v72, 0xff7fffff, v95, s17
	v_cndmask_b32_e64 v76, 0xff7fffff, v94, s18
	s_delay_alu instid0(VALU_DEP_3) | instskip(NEXT) | instid1(VALU_DEP_1)
	v_max3_f32 v68, v68, v70, v71
	v_max3_f32 v68, v68, v72, v76
	ds_bpermute_b32 v69, v89, v68
	s_waitcnt lgkmcnt(0)
	v_max_f32_e32 v69, v69, v69
	s_delay_alu instid0(VALU_DEP_1) | instskip(NEXT) | instid1(VALU_DEP_1)
	v_max_f32_e32 v68, v68, v69
	v_fma_f32 v69, s19, v116, -v68
	v_fma_f32 v70, s19, v117, -v68
	;; [unrolled: 1-line block ×5, first 2 shown]
	s_delay_alu instid0(VALU_DEP_4) | instskip(NEXT) | instid1(VALU_DEP_4)
	v_dual_mul_f32 v69, 0x3fb8aa3b, v69 :: v_dual_mul_f32 v70, 0x3fb8aa3b, v70
	v_mul_f32_e32 v72, 0x3fb8aa3b, v72
	v_fma_f32 v78, s19, v122, -v68
	s_delay_alu instid0(VALU_DEP_4) | instskip(NEXT) | instid1(VALU_DEP_4)
	v_mul_f32_e32 v77, 0x3fb8aa3b, v76
	v_exp_f32_e32 v69, v69
	v_exp_f32_e32 v70, v70
	v_mul_f32_e32 v71, 0x3fb8aa3b, v71
	v_exp_f32_e32 v72, v72
	v_mul_f32_e32 v78, 0x3fb8aa3b, v78
	v_exp_f32_e32 v77, v77
	v_fma_f32 v81, s19, v105, -v68
	s_delay_alu instid0(VALU_DEP_2)
	v_exp_f32_e32 v78, v78
	v_cndmask_b32_e64 v80, 0, v69, s3
	v_cndmask_b32_e32 v76, 0, v70, vcc_lo
	v_exp_f32_e32 v71, v71
	v_fma_f32 v69, s19, v121, -v68
	v_cndmask_b32_e64 v85, 0, v72, s5
	v_add_f32_e32 v70, 0, v80
	s_delay_alu instid0(TRANS32_DEP_3)
	v_cndmask_b32_e64 v86, 0, v77, s6
	v_fma_f32 v77, s19, v101, -v68
	v_mul_f32_e32 v69, 0x3fb8aa3b, v69
	v_fma_f32 v72, s19, v100, -v68
	v_cndmask_b32_e64 v84, 0, v78, s8
	v_fma_f32 v78, s19, v103, -v68
	v_cndmask_b32_e64 v83, 0, v71, s4
	v_fma_f32 v71, s19, v123, -v68
	v_add_f32_e32 v70, v70, v76
	v_exp_f32_e32 v69, v69
	v_mul_f32_e32 v77, 0x3fb8aa3b, v77
	v_mul_f32_e32 v81, 0x3fb8aa3b, v81
	;; [unrolled: 1-line block ×3, first 2 shown]
	v_add_f32_e32 v70, v70, v83
	s_mov_b32 s3, exec_lo
	v_exp_f32_e32 v77, v77
	v_exp_f32_e32 v81, v81
	;; [unrolled: 1-line block ×3, first 2 shown]
	v_cndmask_b32_e64 v87, 0, v69, s7
	v_add_f32_e32 v70, v70, v85
	s_delay_alu instid0(VALU_DEP_1) | instskip(SKIP_1) | instid1(VALU_DEP_2)
	v_dual_mul_f32 v72, 0x3fb8aa3b, v72 :: v_dual_add_f32 v69, v70, v86
	v_fma_f32 v70, s19, v102, -v68
	v_exp_f32_e32 v72, v72
	s_waitcnt_depctr 0xfff
	v_cndmask_b32_e64 v88, 0, v71, s9
	v_fma_f32 v71, s19, v104, -v68
	v_dual_add_f32 v69, v69, v87 :: v_dual_mul_f32 v70, 0x3fb8aa3b, v70
	s_delay_alu instid0(VALU_DEP_2) | instskip(NEXT) | instid1(VALU_DEP_2)
	v_dual_mul_f32 v78, 0x3fb8aa3b, v78 :: v_dual_mul_f32 v71, 0x3fb8aa3b, v71
	v_add_f32_e32 v69, v69, v84
	s_delay_alu instid0(VALU_DEP_3) | instskip(SKIP_1) | instid1(VALU_DEP_3)
	v_exp_f32_e32 v79, v70
	v_cndmask_b32_e64 v70, 0, v72, s10
	v_exp_f32_e32 v78, v78
	v_exp_f32_e32 v82, v71
	v_add_f32_e32 v72, v69, v88
	v_cndmask_b32_e64 v69, 0, v77, s11
	v_fma_f32 v77, s19, v106, -v68
	s_delay_alu instid0(VALU_DEP_3) | instskip(NEXT) | instid1(TRANS32_DEP_3)
	v_add_f32_e32 v72, v72, v70
	v_cndmask_b32_e64 v71, 0, v79, s12
	s_delay_alu instid0(VALU_DEP_3) | instskip(NEXT) | instid1(VALU_DEP_3)
	v_mul_f32_e32 v77, 0x3fb8aa3b, v77
	v_add_f32_e32 v79, v72, v69
	s_delay_alu instid0(TRANS32_DEP_2) | instskip(NEXT) | instid1(VALU_DEP_3)
	v_cndmask_b32_e64 v72, 0, v78, s13
	v_exp_f32_e32 v90, v77
	v_cndmask_b32_e64 v77, 0, v82, s15
	s_delay_alu instid0(VALU_DEP_3) | instskip(SKIP_1) | instid1(VALU_DEP_1)
	v_add_f32_e32 v78, v79, v71
	v_fma_f32 v79, s19, v107, -v68
	v_dual_add_f32 v82, v78, v72 :: v_dual_mul_f32 v79, 0x3fb8aa3b, v79
	v_cndmask_b32_e64 v78, 0, v81, s16
	s_delay_alu instid0(VALU_DEP_2) | instskip(NEXT) | instid1(VALU_DEP_3)
	v_add_f32_e32 v81, v82, v77
	v_exp_f32_e32 v82, v79
	s_delay_alu instid0(TRANS32_DEP_2) | instskip(NEXT) | instid1(VALU_DEP_2)
	v_cndmask_b32_e64 v79, 0, v90, s17
	v_add_f32_e32 v81, v81, v78
	s_delay_alu instid0(VALU_DEP_1) | instskip(SKIP_2) | instid1(VALU_DEP_1)
	v_add_f32_e32 v90, v81, v79
	s_waitcnt_depctr 0xfff
	v_cndmask_b32_e64 v81, 0, v82, s18
	v_add_f32_e32 v82, v90, v81
	ds_bpermute_b32 v89, v89, v82
	v_cmpx_gt_u32_e32 16, v67
	s_cbranch_execz .LBB1415_12
; %bb.11:
	v_mul_u32_u24_e32 v67, 0x44, v66
	s_delay_alu instid0(VALU_DEP_1) | instskip(SKIP_1) | instid1(VALU_DEP_1)
	v_lshl_add_u32 v67, v65, 2, v67
	s_waitcnt lgkmcnt(0)
	v_dual_add_f32 v82, v82, v89 :: v_dual_add_nc_u32 v67, 0x4000, v67
	ds_store_2addr_b32 v67, v68, v82 offset1:136
.LBB1415_12:
	s_or_b32 exec_lo, exec_lo, s3
	v_lshlrev_b32_e32 v67, 2, v65
	s_waitcnt lgkmcnt(0)
	s_barrier
	buffer_gl0_inv
	v_cmp_eq_u32_e32 vcc_lo, 1, v66
	v_add_nc_u32_e32 v82, 0x4000, v67
	v_cmp_eq_u32_e64 s3, 2, v66
	v_cmp_eq_u32_e64 s5, 7, v66
	ds_load_2addr_b32 v[89:90], v82 offset1:17
	ds_load_2addr_b32 v[91:92], v82 offset0:34 offset1:51
	ds_load_2addr_b32 v[93:94], v82 offset0:68 offset1:85
	;; [unrolled: 1-line block ×4, first 2 shown]
	s_waitcnt lgkmcnt(4)
	v_max3_f32 v67, v89, 0xff7fffff, v90
	s_waitcnt lgkmcnt(3)
	s_delay_alu instid0(VALU_DEP_1) | instskip(SKIP_1) | instid1(VALU_DEP_1)
	v_max3_f32 v67, v67, v91, v92
	s_waitcnt lgkmcnt(2)
	v_max3_f32 v67, v67, v93, v94
	s_waitcnt lgkmcnt(1)
	s_delay_alu instid0(VALU_DEP_1) | instskip(NEXT) | instid1(VALU_DEP_1)
	v_max3_f32 v67, v67, v95, v96
	v_sub_f32_e32 v93, v93, v67
	s_delay_alu instid0(VALU_DEP_1) | instskip(NEXT) | instid1(VALU_DEP_1)
	v_dual_sub_f32 v68, v89, v67 :: v_dual_mul_f32 v103, 0x3fb8aa3b, v93
	v_mul_f32_e32 v68, 0x3fb8aa3b, v68
	s_delay_alu instid0(VALU_DEP_1)
	v_exp_f32_e32 v100, v68
	v_sub_f32_e32 v68, v92, v67
	v_sub_f32_e32 v99, v90, v67
	ds_load_2addr_b32 v[89:90], v82 offset0:170 offset1:187
	v_dual_mul_f32 v102, 0x3fb8aa3b, v68 :: v_dual_mul_f32 v99, 0x3fb8aa3b, v99
	s_waitcnt lgkmcnt(1)
	v_fma_f32 v68, v100, v97, 0
	s_delay_alu instid0(VALU_DEP_2) | instskip(NEXT) | instid1(VALU_DEP_2)
	v_exp_f32_e32 v102, v102
	v_exp_f32_e32 v99, v99
	s_waitcnt_depctr 0xfff
	v_fmac_f32_e32 v68, v99, v98
	v_sub_f32_e32 v91, v91, v67
	s_delay_alu instid0(VALU_DEP_1)
	v_mul_f32_e32 v101, 0x3fb8aa3b, v91
	ds_load_2addr_b32 v[91:92], v82 offset0:204 offset1:221
	v_sub_f32_e32 v97, v94, v67
	ds_load_2addr_b32 v[93:94], v82 offset0:238 offset1:255
	s_waitcnt lgkmcnt(0)
	v_exp_f32_e32 v101, v101
	s_barrier
	buffer_gl0_inv
	v_dual_fmac_f32 v68, v101, v89 :: v_dual_sub_f32 v89, v96, v67
	v_dual_sub_f32 v82, v95, v67 :: v_dual_mul_f32 v95, 0x3fb8aa3b, v97
	v_exp_f32_e32 v97, v103
	s_delay_alu instid0(VALU_DEP_2) | instskip(NEXT) | instid1(VALU_DEP_2)
	v_dual_fmac_f32 v68, v102, v90 :: v_dual_mul_f32 v89, 0x3fb8aa3b, v89
	v_mul_f32_e32 v82, 0x3fb8aa3b, v82
	s_delay_alu instid0(VALU_DEP_3) | instskip(NEXT) | instid1(VALU_DEP_2)
	v_exp_f32_e32 v95, v95
	v_exp_f32_e32 v89, v89
	s_delay_alu instid0(VALU_DEP_1)
	v_exp_f32_e32 v82, v82
	v_fmac_f32_e32 v68, v97, v91
	s_delay_alu instid0(TRANS32_DEP_3) | instid1(VALU_DEP_1)
	v_fmac_f32_e32 v68, v95, v92
	s_waitcnt_depctr 0xfff
	v_fmac_f32_e32 v68, v82, v93
	s_delay_alu instid0(VALU_DEP_1) | instskip(NEXT) | instid1(VALU_DEP_1)
	v_fmac_f32_e32 v68, v89, v94
	v_add_f32_e32 v90, 0x358637bd, v68
	s_delay_alu instid0(VALU_DEP_1) | instskip(NEXT) | instid1(VALU_DEP_1)
	v_div_scale_f32 v91, null, v90, v90, 1.0
	v_rcp_f32_e32 v92, v91
	s_waitcnt_depctr 0xfff
	v_fma_f32 v93, -v91, v92, 1.0
	s_delay_alu instid0(VALU_DEP_1) | instskip(SKIP_1) | instid1(VALU_DEP_2)
	v_dual_fmac_f32 v92, v93, v92 :: v_dual_cndmask_b32 v93, v100, v99
	v_cmp_eq_u32_e32 vcc_lo, 3, v66
	v_cndmask_b32_e64 v93, v93, v101, s3
	v_cmp_eq_u32_e64 s3, 4, v66
	s_delay_alu instid0(VALU_DEP_2) | instskip(SKIP_1) | instid1(VALU_DEP_2)
	v_cndmask_b32_e32 v93, v93, v102, vcc_lo
	v_cmp_eq_u32_e32 vcc_lo, 5, v66
	v_cndmask_b32_e64 v93, v93, v97, s3
	v_cmp_eq_u32_e64 s3, 6, v66
	s_delay_alu instid0(VALU_DEP_2) | instskip(SKIP_1) | instid1(VALU_DEP_1)
	v_cndmask_b32_e32 v93, v93, v95, vcc_lo
	v_div_scale_f32 v94, s4, 1.0, v90, 1.0
	s_mov_b32 vcc_lo, s4
	s_delay_alu instid0(VALU_DEP_2) | instskip(NEXT) | instid1(VALU_DEP_2)
	v_cndmask_b32_e64 v82, v93, v82, s3
	v_mul_f32_e32 v96, v94, v92
	s_mov_b32 s3, exec_lo
	s_delay_alu instid0(VALU_DEP_2) | instskip(NEXT) | instid1(VALU_DEP_2)
	v_cndmask_b32_e64 v82, v82, v89, s5
	v_fma_f32 v98, -v91, v96, v94
	s_delay_alu instid0(VALU_DEP_1) | instskip(NEXT) | instid1(VALU_DEP_1)
	v_fmac_f32_e32 v96, v98, v92
	v_fma_f32 v91, -v91, v96, v94
	s_delay_alu instid0(VALU_DEP_1) | instskip(NEXT) | instid1(VALU_DEP_1)
	v_div_fmas_f32 v91, v91, v92, v96
	v_div_fixup_f32 v90, v91, v90, 1.0
	s_delay_alu instid0(VALU_DEP_1) | instskip(NEXT) | instid1(VALU_DEP_1)
	v_mul_f32_e32 v82, v82, v90
	v_mul_f32_e32 v87, v82, v87
	;; [unrolled: 1-line block ×7, first 2 shown]
	v_dual_mul_f32 v86, v82, v83 :: v_dual_and_b32 v91, 0x7f800000, v90
	v_mul_f32_e32 v85, v82, v76
                                        ; implicit-def: $vgpr76
	s_delay_alu instid0(VALU_DEP_2)
	v_cmpx_ne_u32_e32 0x7f800000, v91
	s_xor_b32 s3, exec_lo, s3
; %bb.13:
	v_bfe_u32 v76, v90, 16, 1
	s_delay_alu instid0(VALU_DEP_1)
	v_add3_u32 v76, v90, v76, 0x7fff
                                        ; implicit-def: $vgpr90
; %bb.14:
	s_and_not1_saveexec_b32 s3, s3
; %bb.15:
	v_and_b32_e32 v76, 0xffff, v90
	v_or_b32_e32 v83, 0x10000, v90
	s_delay_alu instid0(VALU_DEP_2) | instskip(NEXT) | instid1(VALU_DEP_2)
	v_cmp_eq_u32_e32 vcc_lo, 0, v76
	v_cndmask_b32_e32 v76, v83, v90, vcc_lo
; %bb.16:
	s_or_b32 exec_lo, exec_lo, s3
	v_and_b32_e32 v83, 0x7f800000, v85
	s_delay_alu instid0(VALU_DEP_1) | instskip(SKIP_1) | instid1(SALU_CYCLE_1)
	v_cmp_ne_u32_e32 vcc_lo, 0x7f800000, v83
                                        ; implicit-def: $vgpr83
	s_and_saveexec_b32 s3, vcc_lo
	s_xor_b32 s3, exec_lo, s3
; %bb.17:
	v_bfe_u32 v83, v85, 16, 1
	s_delay_alu instid0(VALU_DEP_1)
	v_add3_u32 v83, v85, v83, 0x7fff
                                        ; implicit-def: $vgpr85
; %bb.18:
	s_and_not1_saveexec_b32 s3, s3
; %bb.19:
	v_and_b32_e32 v83, 0xffff, v85
	v_or_b32_e32 v90, 0x10000, v85
	s_delay_alu instid0(VALU_DEP_2) | instskip(NEXT) | instid1(VALU_DEP_2)
	v_cmp_eq_u32_e32 vcc_lo, 0, v83
	v_cndmask_b32_e32 v83, v90, v85, vcc_lo
; %bb.20:
	s_or_b32 exec_lo, exec_lo, s3
	v_and_b32_e32 v85, 0x7f800000, v86
	s_delay_alu instid0(VALU_DEP_1) | instskip(SKIP_1) | instid1(SALU_CYCLE_1)
	v_cmp_ne_u32_e32 vcc_lo, 0x7f800000, v85
                                        ; implicit-def: $vgpr85
	s_and_saveexec_b32 s3, vcc_lo
	s_xor_b32 s3, exec_lo, s3
; %bb.21:
	v_bfe_u32 v85, v86, 16, 1
	s_delay_alu instid0(VALU_DEP_1)
	v_add3_u32 v85, v86, v85, 0x7fff
                                        ; implicit-def: $vgpr86
; %bb.22:
	s_and_not1_saveexec_b32 s3, s3
; %bb.23:
	v_and_b32_e32 v85, 0xffff, v86
	v_or_b32_e32 v90, 0x10000, v86
	s_delay_alu instid0(VALU_DEP_2) | instskip(NEXT) | instid1(VALU_DEP_2)
	v_cmp_eq_u32_e32 vcc_lo, 0, v85
	v_cndmask_b32_e32 v85, v90, v86, vcc_lo
; %bb.24:
	s_or_b32 exec_lo, exec_lo, s3
	v_and_b32_e32 v86, 0x7f800000, v89
	s_delay_alu instid0(VALU_DEP_1) | instskip(SKIP_1) | instid1(SALU_CYCLE_1)
	v_cmp_ne_u32_e32 vcc_lo, 0x7f800000, v86
                                        ; implicit-def: $vgpr86
	s_and_saveexec_b32 s3, vcc_lo
	s_xor_b32 s3, exec_lo, s3
; %bb.25:
	v_bfe_u32 v86, v89, 16, 1
	s_delay_alu instid0(VALU_DEP_1)
	v_add3_u32 v86, v89, v86, 0x7fff
                                        ; implicit-def: $vgpr89
; %bb.26:
	s_and_not1_saveexec_b32 s3, s3
; %bb.27:
	v_and_b32_e32 v86, 0xffff, v89
	v_or_b32_e32 v90, 0x10000, v89
	s_delay_alu instid0(VALU_DEP_2) | instskip(NEXT) | instid1(VALU_DEP_2)
	v_cmp_eq_u32_e32 vcc_lo, 0, v86
	v_cndmask_b32_e32 v86, v90, v89, vcc_lo
; %bb.28:
	s_or_b32 exec_lo, exec_lo, s3
	v_and_b32_e32 v89, 0x7f800000, v88
	s_delay_alu instid0(VALU_DEP_1) | instskip(SKIP_1) | instid1(SALU_CYCLE_1)
	v_cmp_ne_u32_e32 vcc_lo, 0x7f800000, v89
                                        ; implicit-def: $vgpr89
	s_and_saveexec_b32 s3, vcc_lo
	s_xor_b32 s3, exec_lo, s3
; %bb.29:
	v_bfe_u32 v89, v88, 16, 1
	s_delay_alu instid0(VALU_DEP_1)
	v_add3_u32 v89, v88, v89, 0x7fff
                                        ; implicit-def: $vgpr88
; %bb.30:
	s_and_not1_saveexec_b32 s3, s3
; %bb.31:
	v_and_b32_e32 v89, 0xffff, v88
	v_or_b32_e32 v90, 0x10000, v88
	s_delay_alu instid0(VALU_DEP_2) | instskip(NEXT) | instid1(VALU_DEP_2)
	v_cmp_eq_u32_e32 vcc_lo, 0, v89
	v_cndmask_b32_e32 v89, v90, v88, vcc_lo
; %bb.32:
	s_or_b32 exec_lo, exec_lo, s3
	v_and_b32_e32 v88, 0x7f800000, v87
	s_delay_alu instid0(VALU_DEP_1) | instskip(SKIP_1) | instid1(SALU_CYCLE_1)
	v_cmp_ne_u32_e32 vcc_lo, 0x7f800000, v88
                                        ; implicit-def: $vgpr88
	s_and_saveexec_b32 s3, vcc_lo
	s_xor_b32 s3, exec_lo, s3
; %bb.33:
	v_bfe_u32 v88, v87, 16, 1
	s_delay_alu instid0(VALU_DEP_1)
	v_add3_u32 v88, v87, v88, 0x7fff
                                        ; implicit-def: $vgpr87
; %bb.34:
	s_and_not1_saveexec_b32 s3, s3
; %bb.35:
	v_and_b32_e32 v88, 0xffff, v87
	v_or_b32_e32 v90, 0x10000, v87
	s_delay_alu instid0(VALU_DEP_2) | instskip(NEXT) | instid1(VALU_DEP_2)
	v_cmp_eq_u32_e32 vcc_lo, 0, v88
	v_cndmask_b32_e32 v88, v90, v87, vcc_lo
; %bb.36:
	s_or_b32 exec_lo, exec_lo, s3
	v_and_b32_e32 v87, 0x7f800000, v84
	s_delay_alu instid0(VALU_DEP_1) | instskip(SKIP_1) | instid1(SALU_CYCLE_1)
	v_cmp_ne_u32_e32 vcc_lo, 0x7f800000, v87
                                        ; implicit-def: $vgpr87
	s_and_saveexec_b32 s3, vcc_lo
	s_xor_b32 s3, exec_lo, s3
; %bb.37:
	v_bfe_u32 v87, v84, 16, 1
	s_delay_alu instid0(VALU_DEP_1)
	v_add3_u32 v87, v84, v87, 0x7fff
                                        ; implicit-def: $vgpr84
; %bb.38:
	s_and_not1_saveexec_b32 s3, s3
; %bb.39:
	v_and_b32_e32 v87, 0xffff, v84
	v_or_b32_e32 v90, 0x10000, v84
	s_delay_alu instid0(VALU_DEP_2) | instskip(NEXT) | instid1(VALU_DEP_2)
	v_cmp_eq_u32_e32 vcc_lo, 0, v87
	v_cndmask_b32_e32 v87, v90, v84, vcc_lo
; %bb.40:
	s_or_b32 exec_lo, exec_lo, s3
	v_and_b32_e32 v84, 0x7f800000, v80
	s_delay_alu instid0(VALU_DEP_1) | instskip(SKIP_1) | instid1(SALU_CYCLE_1)
	v_cmp_ne_u32_e32 vcc_lo, 0x7f800000, v84
                                        ; implicit-def: $vgpr84
	s_and_saveexec_b32 s3, vcc_lo
	s_xor_b32 s3, exec_lo, s3
; %bb.41:
	v_bfe_u32 v84, v80, 16, 1
	s_delay_alu instid0(VALU_DEP_1)
	v_add3_u32 v84, v80, v84, 0x7fff
                                        ; implicit-def: $vgpr80
; %bb.42:
	s_and_not1_saveexec_b32 s3, s3
; %bb.43:
	v_and_b32_e32 v84, 0xffff, v80
	v_or_b32_e32 v90, 0x10000, v80
	s_delay_alu instid0(VALU_DEP_2) | instskip(NEXT) | instid1(VALU_DEP_2)
	v_cmp_eq_u32_e32 vcc_lo, 0, v84
	v_cndmask_b32_e32 v84, v90, v80, vcc_lo
; %bb.44:
	s_or_b32 exec_lo, exec_lo, s3
	s_load_b64 s[34:35], s[0:1], 0x94
	v_lshlrev_b32_e32 v91, 4, v74
	s_delay_alu instid0(VALU_DEP_2)
	v_perm_b32 v90, v84, v87, 0x7060302
	v_dual_mul_f32 v79, v82, v79 :: v_dual_lshlrev_b32 v80, 6, v65
	v_dual_mul_f32 v77, v82, v77 :: v_dual_lshlrev_b32 v92, 11, v66
	v_mul_f32_e32 v84, v82, v70
	v_perm_b32 v89, v88, v89, 0x7060302
	v_perm_b32 v88, v86, v85, 0x7060302
	;; [unrolled: 1-line block ×3, first 2 shown]
	v_mul_f32_e32 v70, v82, v81
	v_or3_b32 v76, v91, v92, v80
	v_dual_mul_f32 v78, v82, v78 :: v_dual_and_b32 v85, 0x7f800000, v84
	v_mul_f32_e32 v83, v82, v72
	v_mul_f32_e32 v81, v82, v71
	;; [unrolled: 1-line block ×3, first 2 shown]
	s_mov_b32 s3, exec_lo
	ds_store_b128 v76, v[87:90]
                                        ; implicit-def: $vgpr69
	v_cmpx_ne_u32_e32 0x7f800000, v85
	s_xor_b32 s3, exec_lo, s3
; %bb.45:
	v_bfe_u32 v69, v84, 16, 1
	s_delay_alu instid0(VALU_DEP_1)
	v_add3_u32 v69, v84, v69, 0x7fff
                                        ; implicit-def: $vgpr84
; %bb.46:
	s_and_not1_saveexec_b32 s3, s3
; %bb.47:
	v_and_b32_e32 v69, 0xffff, v84
	v_or_b32_e32 v71, 0x10000, v84
	s_delay_alu instid0(VALU_DEP_2) | instskip(NEXT) | instid1(VALU_DEP_2)
	v_cmp_eq_u32_e32 vcc_lo, 0, v69
	v_cndmask_b32_e32 v69, v71, v84, vcc_lo
; %bb.48:
	s_or_b32 exec_lo, exec_lo, s3
	v_and_b32_e32 v71, 0x7f800000, v72
	s_delay_alu instid0(VALU_DEP_1) | instskip(SKIP_1) | instid1(SALU_CYCLE_1)
	v_cmp_ne_u32_e32 vcc_lo, 0x7f800000, v71
                                        ; implicit-def: $vgpr71
	s_and_saveexec_b32 s3, vcc_lo
	s_xor_b32 s3, exec_lo, s3
; %bb.49:
	v_bfe_u32 v71, v72, 16, 1
	s_delay_alu instid0(VALU_DEP_1)
	v_add3_u32 v71, v72, v71, 0x7fff
                                        ; implicit-def: $vgpr72
; %bb.50:
	s_and_not1_saveexec_b32 s3, s3
; %bb.51:
	v_and_b32_e32 v71, 0xffff, v72
	v_or_b32_e32 v82, 0x10000, v72
	s_delay_alu instid0(VALU_DEP_2) | instskip(NEXT) | instid1(VALU_DEP_2)
	v_cmp_eq_u32_e32 vcc_lo, 0, v71
	v_cndmask_b32_e32 v71, v82, v72, vcc_lo
; %bb.52:
	s_or_b32 exec_lo, exec_lo, s3
	v_and_b32_e32 v72, 0x7f800000, v81
	s_delay_alu instid0(VALU_DEP_1) | instskip(SKIP_1) | instid1(SALU_CYCLE_1)
	v_cmp_ne_u32_e32 vcc_lo, 0x7f800000, v72
                                        ; implicit-def: $vgpr72
	s_and_saveexec_b32 s3, vcc_lo
	s_xor_b32 s3, exec_lo, s3
; %bb.53:
	v_bfe_u32 v72, v81, 16, 1
	s_delay_alu instid0(VALU_DEP_1)
	v_add3_u32 v72, v81, v72, 0x7fff
                                        ; implicit-def: $vgpr81
; %bb.54:
	s_and_not1_saveexec_b32 s3, s3
; %bb.55:
	v_and_b32_e32 v72, 0xffff, v81
	v_or_b32_e32 v82, 0x10000, v81
	s_delay_alu instid0(VALU_DEP_2) | instskip(NEXT) | instid1(VALU_DEP_2)
	v_cmp_eq_u32_e32 vcc_lo, 0, v72
	v_cndmask_b32_e32 v72, v82, v81, vcc_lo
; %bb.56:
	s_or_b32 exec_lo, exec_lo, s3
	v_and_b32_e32 v81, 0x7f800000, v83
	s_delay_alu instid0(VALU_DEP_1) | instskip(SKIP_1) | instid1(SALU_CYCLE_1)
	v_cmp_ne_u32_e32 vcc_lo, 0x7f800000, v81
                                        ; implicit-def: $vgpr81
	s_and_saveexec_b32 s3, vcc_lo
	s_xor_b32 s3, exec_lo, s3
; %bb.57:
	v_bfe_u32 v81, v83, 16, 1
	s_delay_alu instid0(VALU_DEP_1)
	v_add3_u32 v81, v83, v81, 0x7fff
                                        ; implicit-def: $vgpr83
; %bb.58:
	s_and_not1_saveexec_b32 s3, s3
; %bb.59:
	v_and_b32_e32 v81, 0xffff, v83
	v_or_b32_e32 v82, 0x10000, v83
	s_delay_alu instid0(VALU_DEP_2) | instskip(NEXT) | instid1(VALU_DEP_2)
	v_cmp_eq_u32_e32 vcc_lo, 0, v81
	v_cndmask_b32_e32 v81, v82, v83, vcc_lo
; %bb.60:
	s_or_b32 exec_lo, exec_lo, s3
	v_and_b32_e32 v82, 0x7f800000, v77
	s_delay_alu instid0(VALU_DEP_1) | instskip(SKIP_1) | instid1(SALU_CYCLE_1)
	v_cmp_ne_u32_e32 vcc_lo, 0x7f800000, v82
                                        ; implicit-def: $vgpr82
	s_and_saveexec_b32 s3, vcc_lo
	s_xor_b32 s3, exec_lo, s3
; %bb.61:
	v_bfe_u32 v82, v77, 16, 1
	s_delay_alu instid0(VALU_DEP_1)
	v_add3_u32 v82, v77, v82, 0x7fff
                                        ; implicit-def: $vgpr77
; %bb.62:
	s_and_not1_saveexec_b32 s3, s3
; %bb.63:
	v_and_b32_e32 v82, 0xffff, v77
	v_or_b32_e32 v83, 0x10000, v77
	s_delay_alu instid0(VALU_DEP_2) | instskip(NEXT) | instid1(VALU_DEP_2)
	v_cmp_eq_u32_e32 vcc_lo, 0, v82
	v_cndmask_b32_e32 v82, v83, v77, vcc_lo
; %bb.64:
	s_or_b32 exec_lo, exec_lo, s3
	v_and_b32_e32 v77, 0x7f800000, v78
	s_delay_alu instid0(VALU_DEP_1) | instskip(SKIP_1) | instid1(SALU_CYCLE_1)
	v_cmp_ne_u32_e32 vcc_lo, 0x7f800000, v77
                                        ; implicit-def: $vgpr77
	s_and_saveexec_b32 s3, vcc_lo
	s_xor_b32 s3, exec_lo, s3
; %bb.65:
	v_bfe_u32 v77, v78, 16, 1
	s_delay_alu instid0(VALU_DEP_1)
	v_add3_u32 v77, v78, v77, 0x7fff
                                        ; implicit-def: $vgpr78
; %bb.66:
	s_and_not1_saveexec_b32 s3, s3
; %bb.67:
	v_and_b32_e32 v77, 0xffff, v78
	v_or_b32_e32 v83, 0x10000, v78
	s_delay_alu instid0(VALU_DEP_2) | instskip(NEXT) | instid1(VALU_DEP_2)
	v_cmp_eq_u32_e32 vcc_lo, 0, v77
	v_cndmask_b32_e32 v77, v83, v78, vcc_lo
; %bb.68:
	s_or_b32 exec_lo, exec_lo, s3
	v_and_b32_e32 v78, 0x7f800000, v79
	s_delay_alu instid0(VALU_DEP_1) | instskip(SKIP_1) | instid1(SALU_CYCLE_1)
	v_cmp_ne_u32_e32 vcc_lo, 0x7f800000, v78
                                        ; implicit-def: $vgpr78
	s_and_saveexec_b32 s3, vcc_lo
	s_xor_b32 s3, exec_lo, s3
; %bb.69:
	v_bfe_u32 v78, v79, 16, 1
	s_delay_alu instid0(VALU_DEP_1)
	v_add3_u32 v78, v79, v78, 0x7fff
                                        ; implicit-def: $vgpr79
; %bb.70:
	s_and_not1_saveexec_b32 s3, s3
; %bb.71:
	v_and_b32_e32 v78, 0xffff, v79
	v_or_b32_e32 v83, 0x10000, v79
	s_delay_alu instid0(VALU_DEP_2) | instskip(NEXT) | instid1(VALU_DEP_2)
	v_cmp_eq_u32_e32 vcc_lo, 0, v78
	v_cndmask_b32_e32 v78, v83, v79, vcc_lo
; %bb.72:
	s_or_b32 exec_lo, exec_lo, s3
	v_and_b32_e32 v79, 0x7f800000, v70
	s_delay_alu instid0(VALU_DEP_1) | instskip(SKIP_1) | instid1(SALU_CYCLE_1)
	v_cmp_ne_u32_e32 vcc_lo, 0x7f800000, v79
                                        ; implicit-def: $vgpr79
	s_and_saveexec_b32 s3, vcc_lo
	s_xor_b32 s3, exec_lo, s3
; %bb.73:
	v_bfe_u32 v79, v70, 16, 1
	s_delay_alu instid0(VALU_DEP_1)
	v_add3_u32 v79, v70, v79, 0x7fff
                                        ; implicit-def: $vgpr70
; %bb.74:
	s_and_not1_saveexec_b32 s3, s3
; %bb.75:
	v_and_b32_e32 v79, 0xffff, v70
	v_or_b32_e32 v83, 0x10000, v70
	s_delay_alu instid0(VALU_DEP_2) | instskip(NEXT) | instid1(VALU_DEP_2)
	v_cmp_eq_u32_e32 vcc_lo, 0, v79
	v_cndmask_b32_e32 v79, v83, v70, vcc_lo
; %bb.76:
	s_or_b32 exec_lo, exec_lo, s3
	s_delay_alu instid0(VALU_DEP_1)
	v_perm_b32 v86, v79, v78, 0x7060302
	v_perm_b32 v85, v77, v82, 0x7060302
	;; [unrolled: 1-line block ×4, first 2 shown]
	v_lshl_or_b32 v82, v66, 11, v80
	ds_store_b128 v76, v[83:86] offset:1024
	s_waitcnt lgkmcnt(0)
	s_barrier
	buffer_gl0_inv
	ds_load_b128 v[69:72], v82
	ds_load_b128 v[83:86], v82 offset:16
	s_waitcnt lgkmcnt(1)
	v_lshrrev_b32_e32 v66, 16, v69
	s_waitcnt lgkmcnt(0)
	v_lshrrev_b32_e32 v91, 16, v83
	v_lshlrev_b32_e32 v78, 2, v74
	v_lshrrev_b32_e32 v95, 16, v70
	v_lshrrev_b32_e32 v98, 16, v84
	;; [unrolled: 1-line block ×4, first 2 shown]
	v_cmp_eq_u32_e32 vcc_lo, 1, v78
	v_lshrrev_b32_e32 v97, 16, v72
	v_lshrrev_b32_e32 v100, 16, v86
	v_cndmask_b32_e32 v87, v83, v91, vcc_lo
	v_or_b32_e32 v79, 1, v78
	v_cndmask_b32_e32 v81, v69, v66, vcc_lo
	v_cmp_eq_u32_e64 s4, 2, v78
	v_cmp_eq_u32_e64 s7, 3, v78
	;; [unrolled: 1-line block ×5, first 2 shown]
	v_cndmask_b32_e64 v81, v81, v70, s4
	v_cndmask_b32_e64 v87, v87, v84, s4
	v_cmp_eq_u32_e64 s8, 3, v79
	v_cndmask_b32_e64 v88, v69, v66, s3
	v_or_b32_e32 v77, 2, v78
	v_cndmask_b32_e64 v81, v81, v95, s7
	v_cndmask_b32_e64 v87, v87, v98, s7
	;; [unrolled: 1-line block ×4, first 2 shown]
	v_cmp_eq_u32_e64 s10, 5, v78
	v_cndmask_b32_e64 v81, v81, v71, s9
	v_cndmask_b32_e64 v87, v87, v85, s9
	v_cmp_eq_u32_e64 s11, 4, v79
	v_cndmask_b32_e64 v88, v88, v95, s8
	v_cmp_eq_u32_e64 s5, 1, v77
	v_cndmask_b32_e64 v89, v89, v84, s6
	v_cndmask_b32_e64 v81, v81, v96, s10
	v_cmp_eq_u32_e64 s12, 6, v78
	v_cndmask_b32_e64 v88, v88, v71, s11
	;; [unrolled: 3-line block ×3, first 2 shown]
	v_cndmask_b32_e64 v89, v89, v98, s8
	v_cndmask_b32_e64 v81, v81, v72, s12
	v_cmp_eq_u32_e64 s15, 7, v78
	v_cndmask_b32_e64 v88, v88, v96, s13
	v_cndmask_b32_e64 v87, v87, v86, s12
	v_cmp_eq_u32_e64 s16, 6, v79
	v_cmp_eq_u32_e64 s17, 2, v77
	v_cndmask_b32_e64 v89, v89, v85, s11
	v_cndmask_b32_e64 v101, v81, v97, s15
	;; [unrolled: 1-line block ×6, first 2 shown]
	v_cmp_eq_u32_e64 s18, 7, v79
	v_cmp_eq_u32_e64 s19, 3, v77
	;; [unrolled: 1-line block ×4, first 2 shown]
	v_cndmask_b32_e64 v87, v87, v84, s17
	v_cndmask_b32_e64 v103, v88, v97, s18
	;; [unrolled: 1-line block ×4, first 2 shown]
	v_or_b32_e32 v81, 3, v78
	v_cndmask_b32_e64 v93, v87, v98, s19
	v_cmp_eq_u32_e64 s24, 6, v77
	v_cndmask_b32_e64 v104, v88, v86, s16
	v_cndmask_b32_e64 v92, v89, v71, s20
	v_cmp_eq_u32_e64 s21, 1, v81
	ds_load_b128 v[87:90], v82 offset:1024
	v_cmp_eq_u32_e64 s23, 2, v81
	v_cmp_eq_u32_e64 s25, 3, v81
	v_cndmask_b32_e64 v105, v92, v96, s22
	v_cndmask_b32_e64 v66, v69, v66, s21
	;; [unrolled: 1-line block ×4, first 2 shown]
	ds_load_b128 v[91:94], v82 offset:1040
	v_cmp_eq_u32_e64 s26, 4, v81
	v_cndmask_b32_e64 v66, v66, v70, s23
	v_cmp_eq_u32_e64 s27, 7, v77
	v_cndmask_b32_e64 v70, v83, v84, s23
	v_cndmask_b32_e64 v84, v105, v72, s24
	v_cmp_eq_u32_e64 s28, 5, v81
	v_cndmask_b32_e64 v66, v66, v95, s25
	v_cmp_eq_u32_e64 s29, 6, v81
	v_cndmask_b32_e64 v70, v70, v98, s25
	v_cndmask_b32_e64 v69, v69, v99, s22
	;; [unrolled: 1-line block ×4, first 2 shown]
	s_waitcnt lgkmcnt(1)
	v_lshrrev_b32_e32 v95, 16, v87
	v_cndmask_b32_e64 v70, v70, v85, s26
	v_cndmask_b32_e64 v71, v84, v97, s27
	;; [unrolled: 1-line block ×4, first 2 shown]
	v_cndmask_b32_e32 v84, v87, v95, vcc_lo
	v_cndmask_b32_e64 v70, v70, v99, s28
	s_waitcnt lgkmcnt(0)
	v_lshrrev_b32_e32 v85, 16, v91
	v_lshrrev_b32_e32 v96, 16, v88
	v_cndmask_b32_e64 v98, v87, v95, s3
	v_cndmask_b32_e64 v84, v84, v88, s4
	v_cndmask_b32_e64 v70, v70, v86, s29
	v_cndmask_b32_e32 v99, v91, v85, vcc_lo
	v_cmp_eq_u32_e32 vcc_lo, 7, v81
	v_cndmask_b32_e64 v66, v66, v72, s29
	v_cndmask_b32_e64 v72, v84, v96, s7
	;; [unrolled: 1-line block ×3, first 2 shown]
	v_lshrrev_b32_e32 v98, 16, v92
	v_cndmask_b32_e32 v70, v70, v100, vcc_lo
	v_cndmask_b32_e64 v86, v99, v92, s4
	v_cndmask_b32_e64 v69, v69, v100, s27
	v_lshrrev_b32_e32 v100, 16, v93
	v_cndmask_b32_e64 v72, v72, v89, s9
	v_lshrrev_b32_e32 v99, 16, v89
	v_cndmask_b32_e64 v86, v86, v98, s7
	v_perm_b32 v71, v69, v71, 0x5040100
	v_cndmask_b32_e64 v84, v84, v96, s8
	s_delay_alu instid0(VALU_DEP_3) | instskip(NEXT) | instid1(VALU_DEP_2)
	v_cndmask_b32_e64 v86, v86, v93, s9
	v_cndmask_b32_e64 v84, v84, v89, s11
	s_delay_alu instid0(VALU_DEP_2) | instskip(NEXT) | instid1(VALU_DEP_1)
	v_cndmask_b32_e64 v86, v86, v100, s10
	v_cndmask_b32_e64 v69, v86, v94, s12
	;; [unrolled: 1-line block ×5, first 2 shown]
	s_delay_alu instid0(VALU_DEP_3) | instskip(NEXT) | instid1(VALU_DEP_3)
	v_cndmask_b32_e64 v86, v86, v88, s17
	v_cndmask_b32_e64 v87, v87, v88, s23
	s_delay_alu instid0(VALU_DEP_3) | instskip(NEXT) | instid1(VALU_DEP_3)
	v_cndmask_b32_e64 v88, v95, v92, s23
	v_cndmask_b32_e64 v86, v86, v96, s19
	s_delay_alu instid0(VALU_DEP_3) | instskip(NEXT) | instid1(VALU_DEP_3)
	v_cndmask_b32_e64 v87, v87, v96, s25
	v_cndmask_b32_e64 v88, v88, v98, s25
	s_delay_alu instid0(VALU_DEP_3) | instskip(NEXT) | instid1(VALU_DEP_3)
	v_cndmask_b32_e64 v86, v86, v89, s20
	v_cndmask_b32_e64 v87, v87, v89, s26
	s_delay_alu instid0(VALU_DEP_3) | instskip(NEXT) | instid1(VALU_DEP_3)
	v_cndmask_b32_e64 v88, v88, v93, s26
	v_cndmask_b32_e64 v86, v86, v99, s22
	s_delay_alu instid0(VALU_DEP_3) | instskip(NEXT) | instid1(VALU_DEP_3)
	v_cndmask_b32_e64 v87, v87, v99, s28
	v_cndmask_b32_e64 v88, v88, v100, s28
	s_delay_alu instid0(VALU_DEP_3) | instskip(NEXT) | instid1(VALU_DEP_3)
	v_cndmask_b32_e64 v86, v86, v90, s24
	v_cndmask_b32_e64 v87, v87, v90, s29
	s_delay_alu instid0(VALU_DEP_3) | instskip(SKIP_2) | instid1(VALU_DEP_2)
	v_cndmask_b32_e64 v88, v88, v94, s29
	v_cndmask_b32_e32 v66, v66, v97, vcc_lo
	v_cndmask_b32_e64 v97, v72, v99, s10
	v_perm_b32 v72, v70, v66, 0x5040100
	v_perm_b32 v70, v83, v103, 0x5040100
	v_cndmask_b32_e64 v103, v91, v85, s5
	v_cndmask_b32_e64 v85, v91, v85, s3
	;; [unrolled: 1-line block ×4, first 2 shown]
	v_lshrrev_b32_e32 v97, 16, v90
	v_cndmask_b32_e64 v91, v103, v92, s17
	v_cndmask_b32_e64 v85, v85, v92, s6
	;; [unrolled: 1-line block ×3, first 2 shown]
	s_mov_b32 s3, exec_lo
	v_cndmask_b32_e64 v83, v84, v97, s15
	v_cndmask_b32_e64 v91, v91, v98, s19
	;; [unrolled: 1-line block ×3, first 2 shown]
	v_lshrrev_b32_e32 v84, 16, v94
	v_cndmask_b32_e64 v66, v66, v97, s18
	v_cndmask_b32_e64 v90, v86, v97, s27
	v_cndmask_b32_e64 v89, v91, v93, s20
	v_cndmask_b32_e64 v85, v85, v93, s11
	v_dual_cndmask_b32 v86, v87, v97 :: v_dual_cndmask_b32 v87, v88, v84
	v_cndmask_b32_e64 v91, v69, v84, s15
	s_delay_alu instid0(VALU_DEP_4) | instskip(NEXT) | instid1(VALU_DEP_4)
	v_cndmask_b32_e64 v89, v89, v100, s22
	v_cndmask_b32_e64 v85, v85, v100, s13
	v_perm_b32 v69, v102, v101, 0x5040100
	v_perm_b32 v86, v87, v86, 0x5040100
	;; [unrolled: 1-line block ×3, first 2 shown]
	v_cndmask_b32_e64 v89, v89, v94, s24
	v_cndmask_b32_e64 v85, v85, v94, s16
	s_mul_i32 s8, s35, 10
	s_delay_alu instid0(VALU_DEP_2) | instskip(NEXT) | instid1(VALU_DEP_2)
	v_cndmask_b32_e64 v88, v89, v84, s27
	v_cndmask_b32_e64 v89, v85, v84, s18
	s_delay_alu instid0(VALU_DEP_2) | instskip(NEXT) | instid1(VALU_DEP_2)
	v_perm_b32 v85, v88, v90, 0x5040100
	v_perm_b32 v84, v89, v66, 0x5040100
	ds_store_b128 v76, v[69:72]
	ds_store_b128 v76, v[83:86] offset:1024
	v_cmpx_gt_u32_e32 10, v0
	s_cbranch_execz .LBB1415_78
; %bb.77:
	s_mul_i32 s4, s8, s30
	s_delay_alu instid0(SALU_CYCLE_1) | instskip(SKIP_1) | instid1(VALU_DEP_1)
	v_add3_u32 v69, s4, s31, v65
	s_load_b128 s[4:7], s[0:1], 0x58
	v_mad_u64_u32 v[65:66], null, v69, s34, s[14:15]
	s_delay_alu instid0(VALU_DEP_1) | instskip(NEXT) | instid1(VALU_DEP_1)
	v_ashrrev_i32_e32 v66, 31, v65
	v_lshlrev_b64 v[65:66], 2, v[65:66]
	s_waitcnt lgkmcnt(0)
	s_delay_alu instid0(VALU_DEP_1) | instskip(NEXT) | instid1(VALU_DEP_2)
	v_add_co_u32 v69, vcc_lo, s6, v65
	v_add_co_ci_u32_e32 v70, vcc_lo, s7, v66, vcc_lo
	v_add_co_u32 v65, vcc_lo, s4, v65
	v_add_co_ci_u32_e32 v66, vcc_lo, s5, v66, vcc_lo
	global_store_b32 v[69:70], v67, off
	global_store_b32 v[65:66], v68, off
.LBB1415_78:
	s_or_b32 exec_lo, exec_lo, s3
	s_waitcnt lgkmcnt(0)
	s_waitcnt_vscnt null, 0x0
	s_barrier
	buffer_gl0_inv
	ds_load_b128 v[83:86], v80
	ds_load_b128 v[87:90], v80 offset:16
	ds_load_b128 v[95:98], v80 offset:2064
	;; [unrolled: 1-line block ×3, first 2 shown]
	v_mov_b32_e32 v65, 0
	ds_load_b128 v[103:106], v80 offset:4112
	ds_load_b128 v[99:102], v80 offset:4096
	;; [unrolled: 1-line block ×4, first 2 shown]
	v_mov_b32_e32 v66, v65
	v_mov_b32_e32 v67, v65
	;; [unrolled: 1-line block ×7, first 2 shown]
	s_waitcnt lgkmcnt(6)
	s_delay_alu instid0(VALU_DEP_1)
	v_wmma_f32_16x16x16_bf16 v[65:72], v[57:64], v[83:90], v[65:72]
	ds_load_b128 v[61:64], v80 offset:8208
	ds_load_b128 v[57:60], v80 offset:8192
	s_waitcnt lgkmcnt(6)
	v_wmma_f32_16x16x16_bf16 v[65:72], v[41:48], v[91:98], v[65:72]
	ds_load_b128 v[45:48], v80 offset:10256
	ds_load_b128 v[41:44], v80 offset:10240
	s_waitcnt lgkmcnt(6)
	;; [unrolled: 4-line block ×4, first 2 shown]
	v_wmma_f32_16x16x16_bf16 v[65:72], v[1:8], v[57:64], v[65:72]
	s_waitcnt lgkmcnt(4)
	s_delay_alu instid0(VALU_DEP_1) | instskip(SKIP_1) | instid1(VALU_DEP_1)
	v_wmma_f32_16x16x16_bf16 v[65:72], v[9:16], v[41:48], v[65:72]
	s_waitcnt lgkmcnt(2)
	v_wmma_f32_16x16x16_bf16 v[65:72], v[17:24], v[33:40], v[65:72]
	s_waitcnt lgkmcnt(0)
	s_delay_alu instid0(VALU_DEP_1) | instskip(NEXT) | instid1(VALU_DEP_1)
	v_wmma_f32_16x16x16_bf16 v[65:72], v[49:56], v[25:32], v[65:72]
	v_and_b32_e32 v1, 0x7f800000, v65
	s_delay_alu instid0(VALU_DEP_1) | instskip(SKIP_1) | instid1(SALU_CYCLE_1)
	v_cmp_ne_u32_e32 vcc_lo, 0x7f800000, v1
                                        ; implicit-def: $vgpr1
	s_and_saveexec_b32 s3, vcc_lo
	s_xor_b32 s3, exec_lo, s3
; %bb.79:
	v_bfe_u32 v1, v65, 16, 1
	s_delay_alu instid0(VALU_DEP_1)
	v_add3_u32 v1, v65, v1, 0x7fff
; %bb.80:
	s_and_not1_saveexec_b32 s3, s3
; %bb.81:
	v_and_b32_e32 v1, 0xffff, v65
	v_or_b32_e32 v2, 0x10000, v65
	s_delay_alu instid0(VALU_DEP_2) | instskip(NEXT) | instid1(VALU_DEP_2)
	v_cmp_eq_u32_e32 vcc_lo, 0, v1
	v_cndmask_b32_e32 v1, v2, v65, vcc_lo
; %bb.82:
	s_or_b32 exec_lo, exec_lo, s3
	v_and_b32_e32 v2, 0x7f800000, v66
	s_delay_alu instid0(VALU_DEP_1) | instskip(SKIP_1) | instid1(SALU_CYCLE_1)
	v_cmp_ne_u32_e32 vcc_lo, 0x7f800000, v2
                                        ; implicit-def: $vgpr2
	s_and_saveexec_b32 s3, vcc_lo
	s_xor_b32 s3, exec_lo, s3
; %bb.83:
	v_bfe_u32 v2, v66, 16, 1
	s_delay_alu instid0(VALU_DEP_1)
	v_add3_u32 v2, v66, v2, 0x7fff
; %bb.84:
	s_and_not1_saveexec_b32 s3, s3
; %bb.85:
	v_and_b32_e32 v2, 0xffff, v66
	v_or_b32_e32 v3, 0x10000, v66
	s_delay_alu instid0(VALU_DEP_2) | instskip(NEXT) | instid1(VALU_DEP_2)
	v_cmp_eq_u32_e32 vcc_lo, 0, v2
	v_cndmask_b32_e32 v2, v3, v66, vcc_lo
; %bb.86:
	s_or_b32 exec_lo, exec_lo, s3
	v_and_b32_e32 v3, 0x7f800000, v67
	s_delay_alu instid0(VALU_DEP_1) | instskip(SKIP_1) | instid1(SALU_CYCLE_1)
	v_cmp_ne_u32_e32 vcc_lo, 0x7f800000, v3
                                        ; implicit-def: $vgpr3
	s_and_saveexec_b32 s3, vcc_lo
	s_xor_b32 s3, exec_lo, s3
; %bb.87:
	v_bfe_u32 v3, v67, 16, 1
	s_delay_alu instid0(VALU_DEP_1)
	v_add3_u32 v3, v67, v3, 0x7fff
; %bb.88:
	s_and_not1_saveexec_b32 s3, s3
; %bb.89:
	v_and_b32_e32 v3, 0xffff, v67
	v_or_b32_e32 v4, 0x10000, v67
	s_delay_alu instid0(VALU_DEP_2) | instskip(NEXT) | instid1(VALU_DEP_2)
	v_cmp_eq_u32_e32 vcc_lo, 0, v3
	v_cndmask_b32_e32 v3, v4, v67, vcc_lo
; %bb.90:
	s_or_b32 exec_lo, exec_lo, s3
	v_and_b32_e32 v4, 0x7f800000, v68
	s_delay_alu instid0(VALU_DEP_1) | instskip(SKIP_1) | instid1(SALU_CYCLE_1)
	v_cmp_ne_u32_e32 vcc_lo, 0x7f800000, v4
                                        ; implicit-def: $vgpr4
	s_and_saveexec_b32 s3, vcc_lo
	s_xor_b32 s3, exec_lo, s3
; %bb.91:
	v_bfe_u32 v4, v68, 16, 1
	s_delay_alu instid0(VALU_DEP_1)
	v_add3_u32 v4, v68, v4, 0x7fff
; %bb.92:
	s_and_not1_saveexec_b32 s3, s3
; %bb.93:
	v_and_b32_e32 v4, 0xffff, v68
	v_or_b32_e32 v5, 0x10000, v68
	s_delay_alu instid0(VALU_DEP_2) | instskip(NEXT) | instid1(VALU_DEP_2)
	v_cmp_eq_u32_e32 vcc_lo, 0, v4
	v_cndmask_b32_e32 v4, v5, v68, vcc_lo
; %bb.94:
	s_or_b32 exec_lo, exec_lo, s3
	v_and_b32_e32 v5, 0x7f800000, v69
	s_delay_alu instid0(VALU_DEP_1) | instskip(SKIP_1) | instid1(SALU_CYCLE_1)
	v_cmp_ne_u32_e32 vcc_lo, 0x7f800000, v5
                                        ; implicit-def: $vgpr5
	s_and_saveexec_b32 s3, vcc_lo
	s_xor_b32 s3, exec_lo, s3
; %bb.95:
	v_bfe_u32 v5, v69, 16, 1
	s_delay_alu instid0(VALU_DEP_1)
	v_add3_u32 v5, v69, v5, 0x7fff
; %bb.96:
	s_and_not1_saveexec_b32 s3, s3
; %bb.97:
	v_and_b32_e32 v5, 0xffff, v69
	v_or_b32_e32 v6, 0x10000, v69
	s_delay_alu instid0(VALU_DEP_2) | instskip(NEXT) | instid1(VALU_DEP_2)
	v_cmp_eq_u32_e32 vcc_lo, 0, v5
	v_cndmask_b32_e32 v5, v6, v69, vcc_lo
; %bb.98:
	s_or_b32 exec_lo, exec_lo, s3
	v_and_b32_e32 v6, 0x7f800000, v70
	s_delay_alu instid0(VALU_DEP_1) | instskip(SKIP_1) | instid1(SALU_CYCLE_1)
	v_cmp_ne_u32_e32 vcc_lo, 0x7f800000, v6
                                        ; implicit-def: $vgpr6
	s_and_saveexec_b32 s3, vcc_lo
	s_xor_b32 s3, exec_lo, s3
; %bb.99:
	v_bfe_u32 v6, v70, 16, 1
	s_delay_alu instid0(VALU_DEP_1)
	v_add3_u32 v6, v70, v6, 0x7fff
; %bb.100:
	s_and_not1_saveexec_b32 s3, s3
; %bb.101:
	v_and_b32_e32 v6, 0xffff, v70
	v_or_b32_e32 v7, 0x10000, v70
	s_delay_alu instid0(VALU_DEP_2) | instskip(NEXT) | instid1(VALU_DEP_2)
	v_cmp_eq_u32_e32 vcc_lo, 0, v6
	v_cndmask_b32_e32 v6, v7, v70, vcc_lo
; %bb.102:
	s_or_b32 exec_lo, exec_lo, s3
	v_and_b32_e32 v7, 0x7f800000, v71
	s_delay_alu instid0(VALU_DEP_1) | instskip(SKIP_1) | instid1(SALU_CYCLE_1)
	v_cmp_ne_u32_e32 vcc_lo, 0x7f800000, v7
                                        ; implicit-def: $vgpr7
	s_and_saveexec_b32 s3, vcc_lo
	s_xor_b32 s3, exec_lo, s3
; %bb.103:
	v_bfe_u32 v7, v71, 16, 1
	s_delay_alu instid0(VALU_DEP_1)
	v_add3_u32 v7, v71, v7, 0x7fff
; %bb.104:
	s_and_not1_saveexec_b32 s3, s3
; %bb.105:
	v_and_b32_e32 v7, 0xffff, v71
	v_or_b32_e32 v8, 0x10000, v71
	s_delay_alu instid0(VALU_DEP_2) | instskip(NEXT) | instid1(VALU_DEP_2)
	v_cmp_eq_u32_e32 vcc_lo, 0, v7
	v_cndmask_b32_e32 v7, v8, v71, vcc_lo
; %bb.106:
	s_or_b32 exec_lo, exec_lo, s3
	v_and_b32_e32 v8, 0x7f800000, v72
	s_delay_alu instid0(VALU_DEP_1) | instskip(SKIP_1) | instid1(SALU_CYCLE_1)
	v_cmp_ne_u32_e32 vcc_lo, 0x7f800000, v8
                                        ; implicit-def: $vgpr8
	s_and_saveexec_b32 s3, vcc_lo
	s_xor_b32 s3, exec_lo, s3
; %bb.107:
	v_bfe_u32 v8, v72, 16, 1
	s_delay_alu instid0(VALU_DEP_1)
	v_add3_u32 v8, v72, v8, 0x7fff
                                        ; implicit-def: $vgpr65_vgpr66_vgpr67_vgpr68_vgpr69_vgpr70_vgpr71_vgpr72
; %bb.108:
	s_and_not1_saveexec_b32 s3, s3
; %bb.109:
	v_and_b32_e32 v8, 0xffff, v72
	v_or_b32_e32 v9, 0x10000, v72
	s_delay_alu instid0(VALU_DEP_2) | instskip(NEXT) | instid1(VALU_DEP_2)
	v_cmp_eq_u32_e32 vcc_lo, 0, v8
	v_cndmask_b32_e32 v8, v9, v72, vcc_lo
; %bb.110:
	s_or_b32 exec_lo, exec_lo, s3
	s_delay_alu instid0(VALU_DEP_1)
	v_perm_b32 v7, v8, v7, 0x7060302
	v_perm_b32 v6, v6, v5, 0x7060302
	;; [unrolled: 1-line block ×4, first 2 shown]
	s_barrier
	buffer_gl0_inv
	v_cmp_eq_u32_e32 vcc_lo, 1, v78
	ds_store_b128 v76, v[4:7]
	s_waitcnt lgkmcnt(0)
	s_barrier
	buffer_gl0_inv
	ds_load_b128 v[1:4], v82
	ds_load_b128 v[5:8], v82 offset:16
	v_cmp_eq_u32_e64 s3, 1, v79
	v_cmp_eq_u32_e64 s4, 2, v78
	;; [unrolled: 1-line block ×5, first 2 shown]
	s_waitcnt lgkmcnt(1)
	v_lshrrev_b32_e32 v9, 16, v1
	s_waitcnt lgkmcnt(0)
	v_lshrrev_b32_e32 v13, 16, v5
	v_lshrrev_b32_e32 v10, 16, v2
	;; [unrolled: 1-line block ×4, first 2 shown]
	v_cndmask_b32_e64 v19, v1, v9, s3
	v_cndmask_b32_e32 v18, v5, v13, vcc_lo
	v_cndmask_b32_e64 v20, v5, v13, s3
	v_cndmask_b32_e32 v17, v1, v9, vcc_lo
	v_cmp_eq_u32_e32 vcc_lo, 2, v79
	v_lshrrev_b32_e32 v15, 16, v7
	v_cmp_eq_u32_e64 s3, 1, v77
	v_lshrrev_b32_e32 v12, 16, v4
	v_lshrrev_b32_e32 v16, 16, v8
	v_cndmask_b32_e32 v20, v20, v6, vcc_lo
	v_cndmask_b32_e64 v17, v17, v2, s4
	v_cndmask_b32_e32 v19, v19, v2, vcc_lo
	v_cndmask_b32_e64 v18, v18, v6, s4
	v_cmp_eq_u32_e32 vcc_lo, 4, v78
	v_cmp_eq_u32_e64 s4, 3, v79
	v_cndmask_b32_e64 v17, v17, v10, s5
	v_cndmask_b32_e64 v21, v1, v9, s3
	;; [unrolled: 1-line block ×5, first 2 shown]
	v_cndmask_b32_e32 v17, v17, v3, vcc_lo
	v_cndmask_b32_e64 v20, v20, v14, s4
	v_cndmask_b32_e32 v18, v18, v7, vcc_lo
	v_cmp_eq_u32_e32 vcc_lo, 4, v79
	v_cmp_eq_u32_e64 s4, 5, v79
	v_cmp_eq_u32_e64 s3, 2, v81
	v_cndmask_b32_e64 v21, v21, v2, s7
	v_cmp_eq_u32_e64 s5, 5, v78
	v_cndmask_b32_e32 v19, v19, v3, vcc_lo
	v_cndmask_b32_e32 v20, v20, v7, vcc_lo
	v_cmp_eq_u32_e32 vcc_lo, 6, v79
	s_delay_alu instid0(VALU_DEP_4) | instskip(NEXT) | instid1(VALU_DEP_4)
	v_cndmask_b32_e64 v17, v17, v11, s5
	v_cndmask_b32_e64 v19, v19, v11, s4
	s_delay_alu instid0(VALU_DEP_4) | instskip(SKIP_1) | instid1(VALU_DEP_3)
	v_cndmask_b32_e64 v20, v20, v15, s4
	v_cmp_eq_u32_e64 s4, 1, v81
	v_cndmask_b32_e32 v19, v19, v4, vcc_lo
	v_cndmask_b32_e64 v18, v18, v15, s5
	s_delay_alu instid0(VALU_DEP_3)
	v_cndmask_b32_e64 v1, v1, v9, s4
	v_cndmask_b32_e64 v5, v5, v13, s4
	v_cmp_eq_u32_e64 s4, 3, v77
	v_cndmask_b32_e64 v13, v22, v6, s7
	v_cmp_eq_u32_e64 s7, 3, v81
	v_cndmask_b32_e64 v1, v1, v2, s3
	v_cndmask_b32_e64 v2, v5, v6, s3
	;; [unrolled: 1-line block ×3, first 2 shown]
	v_cmp_eq_u32_e64 s3, 4, v77
	v_cndmask_b32_e64 v6, v13, v14, s4
	v_cndmask_b32_e64 v1, v1, v10, s7
	v_cmp_eq_u32_e64 s4, 4, v81
	v_cndmask_b32_e64 v2, v2, v14, s7
	v_cndmask_b32_e64 v5, v9, v3, s3
	;; [unrolled: 3-line block ×3, first 2 shown]
	v_cndmask_b32_e64 v2, v2, v7, s4
	v_cmp_eq_u32_e64 s3, 5, v81
	v_cmp_eq_u32_e64 s5, 6, v78
	v_cndmask_b32_e64 v5, v5, v11, s7
	v_cmp_eq_u32_e64 s4, 6, v77
	v_cndmask_b32_e64 v3, v6, v15, s7
	v_cndmask_b32_e64 v1, v1, v11, s3
	v_cmp_eq_u32_e64 s7, 6, v81
	v_cndmask_b32_e64 v2, v2, v15, s3
	v_cndmask_b32_e64 v17, v17, v4, s5
	v_cndmask_b32_e64 v18, v18, v8, s5
	v_cmp_eq_u32_e64 s5, 7, v78
	v_cndmask_b32_e64 v5, v5, v4, s4
	;; [unrolled: 4-line block ×3, first 2 shown]
	v_cmp_eq_u32_e64 s4, 7, v77
	v_cndmask_b32_e32 v4, v20, v8, vcc_lo
	v_cndmask_b32_e64 v17, v17, v12, s5
	v_cndmask_b32_e64 v19, v19, v12, s6
	;; [unrolled: 1-line block ×8, first 2 shown]
	v_cmp_gt_u32_e32 vcc_lo, 32, v0
	v_perm_b32 v4, v2, v1, 0x5040100
	v_perm_b32 v3, v3, v5, 0x5040100
	v_perm_b32 v2, v6, v19, 0x5040100
	v_perm_b32 v1, v7, v17, 0x5040100
	s_and_b32 s2, vcc_lo, s2
	ds_store_b128 v76, v[1:4]
	s_waitcnt lgkmcnt(0)
	s_barrier
	buffer_gl0_inv
	s_and_saveexec_b32 s3, s2
	s_cbranch_execz .LBB1415_2
; %bb.111:
	s_load_b64 s[0:1], s[0:1], 0x68
	s_lshl_b32 s4, s34, 6
	v_or_b32_e32 v2, s31, v74
	s_mul_i32 s2, s4, s30
	v_lshlrev_b32_e32 v0, 10, v0
	s_mul_i32 s2, s2, s8
	v_lshlrev_b32_e32 v1, 4, v75
	s_ashr_i32 s3, s2, 31
	v_mul_lo_u32 v20, v2, s4
	s_lshl_b64 s[2:3], s[2:3], 1
	v_lshlrev_b32_e32 v3, 6, v74
	v_and_b32_e32 v0, 0x3800, v0
	s_delay_alu instid0(VALU_DEP_1) | instskip(NEXT) | instid1(VALU_DEP_4)
	v_or3_b32 v16, v0, v1, v3
	v_ashrrev_i32_e32 v21, 31, v20
	ds_load_b128 v[0:3], v16
	ds_load_b128 v[4:7], v16 offset:128
	s_waitcnt lgkmcnt(0)
	s_add_u32 s2, s0, s2
	s_addc_u32 s3, s1, s3
	s_lshl_b32 s0, s14, 6
	ds_load_b128 v[8:11], v16 offset:256
	ds_load_b128 v[12:15], v16 offset:384
	;; [unrolled: 1-line block ×3, first 2 shown]
	s_ashr_i32 s1, s0, 31
	s_delay_alu instid0(SALU_CYCLE_1) | instskip(NEXT) | instid1(SALU_CYCLE_1)
	s_lshl_b64 s[0:1], s[0:1], 1
	s_add_u32 s0, s2, s0
	s_addc_u32 s1, s3, s1
	s_lshl_b32 s2, s34, 7
	v_add_co_u32 v30, s0, s0, v73
	v_add_nc_u32_e32 v22, s2, v20
	v_lshlrev_b64 v[20:21], 1, v[20:21]
	v_add_co_ci_u32_e64 v31, null, s1, 0, s0
	s_delay_alu instid0(VALU_DEP_3) | instskip(SKIP_1) | instid1(VALU_DEP_4)
	v_add_nc_u32_e32 v24, s2, v22
	v_ashrrev_i32_e32 v23, 31, v22
	v_add_co_u32 v20, vcc_lo, v30, v20
	s_delay_alu instid0(VALU_DEP_4) | instskip(NEXT) | instid1(VALU_DEP_4)
	v_add_co_ci_u32_e32 v21, vcc_lo, v31, v21, vcc_lo
	v_add_nc_u32_e32 v26, s2, v24
	v_ashrrev_i32_e32 v25, 31, v24
	v_lshlrev_b64 v[22:23], 1, v[22:23]
	s_delay_alu instid0(VALU_DEP_3) | instskip(SKIP_1) | instid1(VALU_DEP_4)
	v_add_nc_u32_e32 v28, s2, v26
	v_ashrrev_i32_e32 v27, 31, v26
	v_lshlrev_b64 v[24:25], 1, v[24:25]
	s_delay_alu instid0(VALU_DEP_4) | instskip(NEXT) | instid1(VALU_DEP_4)
	v_add_co_u32 v22, vcc_lo, v30, v22
	v_ashrrev_i32_e32 v29, 31, v28
	s_delay_alu instid0(VALU_DEP_4) | instskip(SKIP_2) | instid1(VALU_DEP_4)
	v_lshlrev_b64 v[26:27], 1, v[26:27]
	v_add_co_ci_u32_e32 v23, vcc_lo, v31, v23, vcc_lo
	v_add_co_u32 v24, vcc_lo, v30, v24
	v_lshlrev_b64 v[28:29], 1, v[28:29]
	v_add_co_ci_u32_e32 v25, vcc_lo, v31, v25, vcc_lo
	v_add_co_u32 v26, vcc_lo, v30, v26
	v_add_co_ci_u32_e32 v27, vcc_lo, v31, v27, vcc_lo
	s_delay_alu instid0(VALU_DEP_4)
	v_add_co_u32 v28, vcc_lo, v30, v28
	v_add_co_ci_u32_e32 v29, vcc_lo, v31, v29, vcc_lo
	s_clause 0x1
	global_store_b128 v[20:21], v[0:3], off
	global_store_b128 v[22:23], v[4:7], off
	s_waitcnt lgkmcnt(2)
	global_store_b128 v[24:25], v[8:11], off
	s_waitcnt lgkmcnt(1)
	;; [unrolled: 2-line block ×3, first 2 shown]
	global_store_b128 v[28:29], v[16:19], off
	s_nop 0
	s_sendmsg sendmsg(MSG_DEALLOC_VGPRS)
	s_endpgm
	.section	.rodata,"a",@progbits
	.p2align	6, 0x0
	.amdhsa_kernel _Z39paged_attention_ll4mi_QKV_mfma16_kernelI14__hip_bfloat16hLN4vllm18Fp8KVCacheDataTypeE1ES0_Li16ELi64ELi256ELb0ELi10EL8MFMAType1EEvPKT_PKT0_S9_ifPKiSB_SB_iPKfiiiPfSE_PS4_PT2_iSD_SD_
		.amdhsa_group_segment_fixed_size 17472
		.amdhsa_private_segment_fixed_size 0
		.amdhsa_kernarg_size 400
		.amdhsa_user_sgpr_count 13
		.amdhsa_user_sgpr_dispatch_ptr 0
		.amdhsa_user_sgpr_queue_ptr 0
		.amdhsa_user_sgpr_kernarg_segment_ptr 1
		.amdhsa_user_sgpr_dispatch_id 0
		.amdhsa_user_sgpr_private_segment_size 0
		.amdhsa_wavefront_size32 1
		.amdhsa_uses_dynamic_stack 0
		.amdhsa_enable_private_segment 0
		.amdhsa_system_sgpr_workgroup_id_x 1
		.amdhsa_system_sgpr_workgroup_id_y 1
		.amdhsa_system_sgpr_workgroup_id_z 1
		.amdhsa_system_sgpr_workgroup_info 0
		.amdhsa_system_vgpr_workitem_id 0
		.amdhsa_next_free_vgpr 124
		.amdhsa_next_free_sgpr 38
		.amdhsa_reserve_vcc 1
		.amdhsa_float_round_mode_32 0
		.amdhsa_float_round_mode_16_64 0
		.amdhsa_float_denorm_mode_32 3
		.amdhsa_float_denorm_mode_16_64 3
		.amdhsa_dx10_clamp 1
		.amdhsa_ieee_mode 1
		.amdhsa_fp16_overflow 0
		.amdhsa_workgroup_processor_mode 1
		.amdhsa_memory_ordered 1
		.amdhsa_forward_progress 0
		.amdhsa_shared_vgpr_count 0
		.amdhsa_exception_fp_ieee_invalid_op 0
		.amdhsa_exception_fp_denorm_src 0
		.amdhsa_exception_fp_ieee_div_zero 0
		.amdhsa_exception_fp_ieee_overflow 0
		.amdhsa_exception_fp_ieee_underflow 0
		.amdhsa_exception_fp_ieee_inexact 0
		.amdhsa_exception_int_div_zero 0
	.end_amdhsa_kernel
	.section	.text._Z39paged_attention_ll4mi_QKV_mfma16_kernelI14__hip_bfloat16hLN4vllm18Fp8KVCacheDataTypeE1ES0_Li16ELi64ELi256ELb0ELi10EL8MFMAType1EEvPKT_PKT0_S9_ifPKiSB_SB_iPKfiiiPfSE_PS4_PT2_iSD_SD_,"axG",@progbits,_Z39paged_attention_ll4mi_QKV_mfma16_kernelI14__hip_bfloat16hLN4vllm18Fp8KVCacheDataTypeE1ES0_Li16ELi64ELi256ELb0ELi10EL8MFMAType1EEvPKT_PKT0_S9_ifPKiSB_SB_iPKfiiiPfSE_PS4_PT2_iSD_SD_,comdat
.Lfunc_end1415:
	.size	_Z39paged_attention_ll4mi_QKV_mfma16_kernelI14__hip_bfloat16hLN4vllm18Fp8KVCacheDataTypeE1ES0_Li16ELi64ELi256ELb0ELi10EL8MFMAType1EEvPKT_PKT0_S9_ifPKiSB_SB_iPKfiiiPfSE_PS4_PT2_iSD_SD_, .Lfunc_end1415-_Z39paged_attention_ll4mi_QKV_mfma16_kernelI14__hip_bfloat16hLN4vllm18Fp8KVCacheDataTypeE1ES0_Li16ELi64ELi256ELb0ELi10EL8MFMAType1EEvPKT_PKT0_S9_ifPKiSB_SB_iPKfiiiPfSE_PS4_PT2_iSD_SD_
                                        ; -- End function
	.section	.AMDGPU.csdata,"",@progbits
; Kernel info:
; codeLenInByte = 8760
; NumSgprs: 40
; NumVgprs: 124
; ScratchSize: 0
; MemoryBound: 0
; FloatMode: 240
; IeeeMode: 1
; LDSByteSize: 17472 bytes/workgroup (compile time only)
; SGPRBlocks: 4
; VGPRBlocks: 15
; NumSGPRsForWavesPerEU: 40
; NumVGPRsForWavesPerEU: 124
; Occupancy: 10
; WaveLimiterHint : 1
; COMPUTE_PGM_RSRC2:SCRATCH_EN: 0
; COMPUTE_PGM_RSRC2:USER_SGPR: 13
; COMPUTE_PGM_RSRC2:TRAP_HANDLER: 0
; COMPUTE_PGM_RSRC2:TGID_X_EN: 1
; COMPUTE_PGM_RSRC2:TGID_Y_EN: 1
; COMPUTE_PGM_RSRC2:TGID_Z_EN: 1
; COMPUTE_PGM_RSRC2:TIDIG_COMP_CNT: 0
	.section	.text._Z39paged_attention_ll4mi_QKV_mfma16_kernelI14__hip_bfloat16hLN4vllm18Fp8KVCacheDataTypeE1ES0_Li16ELi64ELi256ELb0ELi11EL8MFMAType1EEvPKT_PKT0_S9_ifPKiSB_SB_iPKfiiiPfSE_PS4_PT2_iSD_SD_,"axG",@progbits,_Z39paged_attention_ll4mi_QKV_mfma16_kernelI14__hip_bfloat16hLN4vllm18Fp8KVCacheDataTypeE1ES0_Li16ELi64ELi256ELb0ELi11EL8MFMAType1EEvPKT_PKT0_S9_ifPKiSB_SB_iPKfiiiPfSE_PS4_PT2_iSD_SD_,comdat
	.protected	_Z39paged_attention_ll4mi_QKV_mfma16_kernelI14__hip_bfloat16hLN4vllm18Fp8KVCacheDataTypeE1ES0_Li16ELi64ELi256ELb0ELi11EL8MFMAType1EEvPKT_PKT0_S9_ifPKiSB_SB_iPKfiiiPfSE_PS4_PT2_iSD_SD_ ; -- Begin function _Z39paged_attention_ll4mi_QKV_mfma16_kernelI14__hip_bfloat16hLN4vllm18Fp8KVCacheDataTypeE1ES0_Li16ELi64ELi256ELb0ELi11EL8MFMAType1EEvPKT_PKT0_S9_ifPKiSB_SB_iPKfiiiPfSE_PS4_PT2_iSD_SD_
	.globl	_Z39paged_attention_ll4mi_QKV_mfma16_kernelI14__hip_bfloat16hLN4vllm18Fp8KVCacheDataTypeE1ES0_Li16ELi64ELi256ELb0ELi11EL8MFMAType1EEvPKT_PKT0_S9_ifPKiSB_SB_iPKfiiiPfSE_PS4_PT2_iSD_SD_
	.p2align	8
	.type	_Z39paged_attention_ll4mi_QKV_mfma16_kernelI14__hip_bfloat16hLN4vllm18Fp8KVCacheDataTypeE1ES0_Li16ELi64ELi256ELb0ELi11EL8MFMAType1EEvPKT_PKT0_S9_ifPKiSB_SB_iPKfiiiPfSE_PS4_PT2_iSD_SD_,@function
_Z39paged_attention_ll4mi_QKV_mfma16_kernelI14__hip_bfloat16hLN4vllm18Fp8KVCacheDataTypeE1ES0_Li16ELi64ELi256ELb0ELi11EL8MFMAType1EEvPKT_PKT0_S9_ifPKiSB_SB_iPKfiiiPfSE_PS4_PT2_iSD_SD_: ; @_Z39paged_attention_ll4mi_QKV_mfma16_kernelI14__hip_bfloat16hLN4vllm18Fp8KVCacheDataTypeE1ES0_Li16ELi64ELi256ELb0ELi11EL8MFMAType1EEvPKT_PKT0_S9_ifPKiSB_SB_iPKfiiiPfSE_PS4_PT2_iSD_SD_
; %bb.0:
	s_load_b64 s[2:3], s[0:1], 0x30
	s_mov_b32 s34, s13
	s_waitcnt lgkmcnt(0)
	s_cmp_lg_u64 s[2:3], 0
	s_cselect_b32 s8, -1, 0
	s_ashr_i32 s35, s13, 31
	s_cmp_eq_u64 s[2:3], 0
	s_cbranch_scc1 .LBB1416_3
; %bb.1:
	s_lshl_b64 s[4:5], s[34:35], 2
	s_delay_alu instid0(SALU_CYCLE_1) | instskip(SKIP_4) | instid1(SALU_CYCLE_1)
	s_add_u32 s4, s2, s4
	s_addc_u32 s5, s3, s5
	s_load_b64 s[4:5], s[4:5], 0x0
	s_waitcnt lgkmcnt(0)
	s_sub_i32 s4, s5, s4
	s_cmp_eq_u32 s4, 1
	s_cselect_b32 s4, -1, 0
	s_delay_alu instid0(SALU_CYCLE_1)
	s_and_not1_b32 vcc_lo, exec_lo, s4
	s_cbranch_vccz .LBB1416_4
.LBB1416_2:
	s_nop 0
	s_sendmsg sendmsg(MSG_DEALLOC_VGPRS)
	s_endpgm
.LBB1416_3:
.LBB1416_4:
	s_load_b64 s[4:5], s[0:1], 0x28
	s_lshl_b64 s[6:7], s[34:35], 2
	s_waitcnt lgkmcnt(0)
	s_add_u32 s4, s4, s6
	s_addc_u32 s5, s5, s7
	s_lshl_b32 s12, s14, 8
	s_load_b32 s24, s[4:5], 0x0
	s_waitcnt lgkmcnt(0)
	s_cmp_ge_i32 s12, s24
	s_cbranch_scc1 .LBB1416_2
; %bb.5:
	s_clause 0x1
	s_load_b128 s[20:23], s[0:1], 0x8
	s_load_b64 s[4:5], s[0:1], 0x20
	s_and_not1_b32 vcc_lo, exec_lo, s8
	s_cbranch_vccnz .LBB1416_7
; %bb.6:
	s_add_u32 s2, s2, s6
	s_addc_u32 s3, s3, s7
	s_load_b32 s3, s[2:3], 0x0
	s_branch .LBB1416_8
.LBB1416_7:
	s_mov_b32 s3, s34
.LBB1416_8:
	s_load_b128 s[16:19], s[0:1], 0x48
	v_lshrrev_b32_e32 v66, 5, v0
	v_bfe_u32 v74, v0, 4, 1
	v_and_b32_e32 v65, 15, v0
	v_and_b32_e32 v67, 31, v0
	;; [unrolled: 1-line block ×3, first 2 shown]
	s_mul_i32 s31, s15, 11
	v_lshl_or_b32 v1, v66, 1, v74
	v_lshlrev_b32_e32 v2, 3, v65
	v_cmp_gt_u32_e64 s2, 8, v65
	s_delay_alu instid0(VALU_DEP_3) | instskip(NEXT) | instid1(VALU_DEP_3)
	v_cmp_gt_u32_e32 vcc_lo, 11, v1
	v_lshlrev_b32_e32 v73, 1, v2
	s_delay_alu instid0(VALU_DEP_3) | instskip(NEXT) | instid1(SALU_CYCLE_1)
	s_and_b32 s7, s2, vcc_lo
	s_and_saveexec_b32 s6, s7
	s_cbranch_execz .LBB1416_10
; %bb.9:
	s_load_b64 s[8:9], s[0:1], 0x0
	v_add_lshl_u32 v2, v1, s31, 6
	s_waitcnt lgkmcnt(0)
	s_mul_hi_i32 s11, s3, s16
	s_mul_i32 s10, s3, s16
	v_lshlrev_b32_e32 v6, 10, v65
	s_lshl_b64 s[10:11], s[10:11], 1
	v_ashrrev_i32_e32 v3, 31, v2
	v_lshlrev_b32_e32 v1, 6, v1
	v_lshlrev_b32_e32 v7, 10, v75
	v_and_b32_e32 v6, 0x3800, v6
	s_delay_alu instid0(VALU_DEP_4) | instskip(NEXT) | instid1(VALU_DEP_2)
	v_lshlrev_b64 v[2:3], 1, v[2:3]
	v_or3_b32 v1, v6, v7, v1
	s_add_u32 s3, s8, s10
	s_addc_u32 s7, s9, s11
	s_delay_alu instid0(VALU_DEP_2) | instskip(NEXT) | instid1(VALU_DEP_3)
	v_add_co_u32 v2, vcc_lo, s3, v2
	v_add_co_ci_u32_e32 v3, vcc_lo, s7, v3, vcc_lo
	s_delay_alu instid0(VALU_DEP_2) | instskip(NEXT) | instid1(VALU_DEP_2)
	v_add_co_u32 v2, vcc_lo, v2, v73
	v_add_co_ci_u32_e32 v3, vcc_lo, 0, v3, vcc_lo
	global_load_b128 v[2:5], v[2:3], off
	s_waitcnt vmcnt(0)
	ds_store_b128 v1, v[2:5]
.LBB1416_10:
	s_or_b32 exec_lo, exec_lo, s6
	v_and_b32_e32 v1, 0xef, v0
	s_waitcnt lgkmcnt(0)
	s_add_i32 s3, s24, 15
	s_clause 0x1
	s_load_b32 s6, s[0:1], 0x38
	s_load_b32 s19, s[0:1], 0x1c
	s_ashr_i32 s7, s3, 31
	v_add_nc_u32_e32 v1, s12, v1
	s_lshr_b32 s7, s7, 28
	s_waitcnt lgkmcnt(0)
	s_add_i32 s3, s3, s7
	s_barrier
	v_ashrrev_i32_e32 v2, 31, v1
	v_or_b32_e32 v3, 16, v1
	s_ashr_i32 s3, s3, 4
	v_cmp_gt_i32_e32 vcc_lo, s24, v1
	s_add_i32 s3, s3, -1
	v_lshrrev_b32_e32 v2, 28, v2
	buffer_gl0_inv
	s_mul_i32 s27, s15, s18
	v_add_nc_u32_e32 v4, v1, v2
	s_mul_i32 s6, s34, s6
	s_delay_alu instid0(SALU_CYCLE_1) | instskip(NEXT) | instid1(VALU_DEP_1)
	s_ashr_i32 s7, s6, 31
	v_ashrrev_i32_e32 v4, 4, v4
	v_add_nc_u32_e32 v2, v3, v2
	s_lshl_b64 s[6:7], s[6:7], 2
	s_delay_alu instid0(SALU_CYCLE_1) | instskip(NEXT) | instid1(VALU_DEP_2)
	s_add_u32 s26, s4, s6
	v_cndmask_b32_e32 v1, s3, v4, vcc_lo
	s_delay_alu instid0(VALU_DEP_2)
	v_ashrrev_i32_e32 v2, 4, v2
	v_cmp_gt_i32_e32 vcc_lo, s24, v3
	s_addc_u32 s25, s5, s7
	s_ashr_i32 s28, s27, 31
	s_add_u32 s13, s20, s27
	s_addc_u32 s15, s21, s28
	v_cndmask_b32_e32 v3, s3, v2, vcc_lo
	v_ashrrev_i32_e32 v2, 31, v1
	s_lshl_b32 s4, s14, 4
	s_delay_alu instid0(SALU_CYCLE_1) | instskip(NEXT) | instid1(VALU_DEP_2)
	s_ashr_i32 s5, s4, 31
	v_ashrrev_i32_e32 v4, 31, v3
	s_delay_alu instid0(VALU_DEP_2) | instskip(SKIP_1) | instid1(SALU_CYCLE_1)
	v_lshlrev_b64 v[1:2], 2, v[1:2]
	s_lshl_b64 s[4:5], s[4:5], 2
	s_add_u32 s4, s26, s4
	s_delay_alu instid0(VALU_DEP_2) | instskip(SKIP_1) | instid1(VALU_DEP_2)
	v_lshlrev_b64 v[3:4], 2, v[3:4]
	s_addc_u32 s5, s25, s5
	v_add_co_u32 v1, vcc_lo, s26, v1
	v_add_co_ci_u32_e32 v2, vcc_lo, s25, v2, vcc_lo
	s_delay_alu instid0(VALU_DEP_3) | instskip(NEXT) | instid1(VALU_DEP_4)
	v_add_co_u32 v3, vcc_lo, s26, v3
	v_add_co_ci_u32_e32 v4, vcc_lo, s25, v4, vcc_lo
	s_clause 0x1
	global_load_b32 v5, v[1:2], off
	global_load_b32 v7, v[3:4], off
	s_or_b32 s6, s12, 32
	v_lshlrev_b32_e32 v1, 4, v0
	s_ashr_i32 s7, s6, 4
	s_cmp_lt_i32 s6, s24
	v_cmp_gt_u32_e32 vcc_lo, 11, v65
	s_cselect_b32 s6, s7, s3
	v_and_b32_e32 v1, 0xf0, v1
	s_ashr_i32 s7, s6, 31
	s_delay_alu instid0(SALU_CYCLE_1) | instskip(NEXT) | instid1(SALU_CYCLE_1)
	s_lshl_b64 s[6:7], s[6:7], 2
	s_add_u32 s6, s26, s6
	s_addc_u32 s7, s25, s7
	s_or_b32 s8, s12, 64
	v_add_co_u32 v1, s13, s13, v1
	s_ashr_i32 s9, s8, 4
	s_cmp_lt_i32 s8, s24
	v_add_co_ci_u32_e64 v2, null, s15, 0, s13
	s_cselect_b32 s8, s9, s3
	s_delay_alu instid0(SALU_CYCLE_1) | instskip(NEXT) | instid1(SALU_CYCLE_1)
	s_ashr_i32 s9, s8, 31
	s_lshl_b64 s[8:9], s[8:9], 2
	s_delay_alu instid0(SALU_CYCLE_1) | instskip(SKIP_2) | instid1(SALU_CYCLE_1)
	s_add_u32 s8, s26, s8
	s_addc_u32 s9, s25, s9
	s_or_b32 s10, s12, 0x60
	s_ashr_i32 s11, s10, 4
	s_cmp_lt_i32 s10, s24
	s_cselect_b32 s10, s11, s3
	s_delay_alu instid0(SALU_CYCLE_1) | instskip(NEXT) | instid1(SALU_CYCLE_1)
	s_ashr_i32 s11, s10, 31
	s_lshl_b64 s[10:11], s[10:11], 2
	s_delay_alu instid0(SALU_CYCLE_1) | instskip(SKIP_2) | instid1(SALU_CYCLE_1)
	s_add_u32 s10, s26, s10
	s_addc_u32 s11, s25, s11
	s_or_b32 s16, s12, 0x80
	s_ashr_i32 s18, s16, 4
	s_cmp_lt_i32 s16, s24
	;; [unrolled: 10-line block ×3, first 2 shown]
	s_cselect_b32 s20, s18, s3
	s_delay_alu instid0(SALU_CYCLE_1) | instskip(NEXT) | instid1(SALU_CYCLE_1)
	s_ashr_i32 s21, s20, 31
	s_lshl_b64 s[20:21], s[20:21], 2
	s_delay_alu instid0(SALU_CYCLE_1)
	s_add_u32 s38, s26, s20
	s_addc_u32 s39, s25, s21
	s_clause 0x5
	s_load_b32 s21, s[4:5], 0x0
	s_load_b32 s13, s[6:7], 0x0
	;; [unrolled: 1-line block ×6, first 2 shown]
	s_or_b32 s8, s12, 0xc0
	s_mov_b32 s4, 0
	s_ashr_i32 s9, s8, 4
	s_cmp_lt_i32 s8, s24
	s_mov_b32 s11, s4
	s_cselect_b32 s36, s9, s3
	s_mov_b32 s5, s4
	s_ashr_i32 s37, s36, 31
	s_mov_b32 s6, s4
	s_lshl_b64 s[36:37], s[36:37], 2
	s_mov_b32 s7, s4
	s_add_u32 s36, s26, s36
	s_addc_u32 s37, s25, s37
	s_or_b32 s29, s12, 0xe0
	s_mov_b32 s8, s4
	s_ashr_i32 s30, s29, 4
	s_mov_b32 s9, s4
	s_mov_b32 s10, s4
	s_cmp_lt_i32 s29, s24
	v_dual_mov_b32 v107, s11 :: v_dual_mov_b32 v100, s4
	v_mov_b32_e32 v106, s10
	v_dual_mov_b32 v104, s8 :: v_dual_mov_b32 v103, s7
	v_dual_mov_b32 v102, s6 :: v_dual_mov_b32 v101, s5
	s_waitcnt vmcnt(1)
	v_mad_i64_i32 v[3:4], null, v5, s17, v[1:2]
	s_waitcnt vmcnt(0)
	v_mad_i64_i32 v[5:6], null, v7, s17, v[1:2]
	v_add_nc_u32_e32 v1, -11, v65
	v_lshlrev_b32_e32 v2, 4, v65
	s_clause 0x7
	global_load_b128 v[49:52], v[3:4], off
	global_load_b128 v[53:56], v[3:4], off offset:256
	global_load_b128 v[76:79], v[5:6], off
	global_load_b128 v[80:83], v[5:6], off offset:256
	global_load_b128 v[84:87], v[3:4], off offset:512
	;; [unrolled: 1-line block ×5, first 2 shown]
	v_cndmask_b32_e32 v1, v1, v65, vcc_lo
	v_mov_b32_e32 v105, s9
	s_cselect_b32 s4, s30, s3
	v_lshl_or_b32 v2, v66, 8, v2
	s_ashr_i32 s5, s4, 31
	v_lshlrev_b32_e32 v70, 6, v1
	s_lshl_b64 s[4:5], s[4:5], 2
	s_load_b32 s3, s[36:37], 0x0
	s_add_u32 s4, s26, s4
	s_addc_u32 s5, s25, s5
	ds_load_b128 v[108:111], v70
	ds_load_b128 v[112:115], v70 offset:1024
	s_load_b32 s4, s[4:5], 0x0
	s_add_u32 s6, s22, s27
	s_addc_u32 s7, s23, s28
	v_add_co_u32 v9, s6, s6, v2
	s_delay_alu instid0(VALU_DEP_1) | instskip(SKIP_1) | instid1(VALU_DEP_1)
	v_add_co_ci_u32_e64 v10, null, s7, 0, s6
	s_waitcnt lgkmcnt(0)
	v_mad_i64_i32 v[1:2], null, s21, s17, v[9:10]
	v_mad_i64_i32 v[3:4], null, s13, s17, v[9:10]
	v_mad_i64_i32 v[5:6], null, s15, s17, v[9:10]
	v_mad_i64_i32 v[7:8], null, s16, s17, v[9:10]
	v_mad_i64_i32 v[13:14], null, s20, s17, v[9:10]
	v_mad_i64_i32 v[11:12], null, s18, s17, v[9:10]
	v_mad_i64_i32 v[21:22], null, s3, s17, v[9:10]
	s_clause 0x9
	global_load_b128 v[57:60], v[1:2], off
	global_load_b128 v[61:64], v[1:2], off offset:16
	global_load_b128 v[41:44], v[3:4], off
	global_load_b128 v[45:48], v[3:4], off offset:16
	;; [unrolled: 2-line block ×5, first 2 shown]
	v_mad_i64_i32 v[68:69], null, s4, s17, v[9:10]
	s_clause 0x3
	global_load_b128 v[9:12], v[13:14], off
	global_load_b128 v[13:16], v[13:14], off offset:16
	global_load_b128 v[17:20], v[21:22], off
	global_load_b128 v[21:24], v[21:22], off offset:16
	s_waitcnt vmcnt(20)
	v_wmma_f32_16x16x16_bf16 v[116:123], v[49:56], v[108:115], v[100:107]
	s_clause 0x1
	global_load_b128 v[49:52], v[68:69], off
	global_load_b128 v[53:56], v[68:69], off offset:16
	v_and_b32_e32 v68, 0xe0, v0
	v_mbcnt_lo_u32_b32 v69, -1, 0
	s_delay_alu instid0(VALU_DEP_2)
	v_add_nc_u32_e32 v68, s12, v68
	s_waitcnt vmcnt(20)
	v_wmma_f32_16x16x16_bf16 v[100:107], v[76:83], v[108:115], v[100:107]
	ds_load_b128 v[76:79], v70 offset:2048
	ds_load_b128 v[80:83], v70 offset:3072
	v_xor_b32_e32 v70, 16, v69
	s_waitcnt vmcnt(0) lgkmcnt(0)
	v_or_b32_e32 v68, v68, v74
	s_barrier
	buffer_gl0_inv
	v_cmp_gt_i32_e32 vcc_lo, 32, v70
	v_or_b32_e32 v71, 4, v68
	v_or_b32_e32 v72, 6, v68
	v_cmp_gt_i32_e64 s3, s24, v68
	v_or_b32_e32 v108, 8, v68
	v_or_b32_e32 v109, 10, v68
	v_cmp_gt_i32_e64 s4, s24, v71
	v_cmp_gt_i32_e64 s5, s24, v72
	s_delay_alu instid0(VALU_DEP_4) | instskip(NEXT) | instid1(VALU_DEP_4)
	v_cmp_gt_i32_e64 s6, s24, v108
	v_cmp_gt_i32_e64 s7, s24, v109
	v_wmma_f32_16x16x16_bf16 v[116:123], v[84:91], v[76:83], v[116:123]
	v_cndmask_b32_e32 v69, v69, v70, vcc_lo
	v_or_b32_e32 v70, 2, v68
	v_wmma_f32_16x16x16_bf16 v[100:107], v[92:99], v[76:83], v[100:107]
	v_or_b32_e32 v89, 22, v68
	v_dual_mul_f32 v82, s19, v119 :: v_dual_mul_f32 v79, s19, v122
	v_dual_mul_f32 v92, s19, v117 :: v_dual_mul_f32 v93, s19, v116
	s_delay_alu instid0(VALU_DEP_4) | instskip(SKIP_2) | instid1(VALU_DEP_4)
	v_mul_f32_e32 v98, s19, v103
	v_cmp_gt_i32_e32 vcc_lo, s24, v70
	v_dual_mul_f32 v83, s19, v118 :: v_dual_mul_f32 v96, s19, v105
	v_cndmask_b32_e64 v93, 0xff7fffff, v93, s3
	v_or_b32_e32 v84, 12, v68
	v_cndmask_b32_e32 v92, 0xff7fffff, v92, vcc_lo
	v_or_b32_e32 v85, 14, v68
	v_dual_mul_f32 v80, s19, v121 :: v_dual_mul_f32 v81, s19, v120
	v_mul_f32_e32 v94, s19, v107
	v_cndmask_b32_e64 v71, 0xff7fffff, v83, s4
	v_cndmask_b32_e64 v72, 0xff7fffff, v82, s5
	v_cmp_gt_i32_e64 s13, s24, v89
	v_lshlrev_b32_e32 v89, 2, v69
	v_max3_f32 v82, v93, 0xff7fffff, v92
	v_or_b32_e32 v86, 16, v68
	v_or_b32_e32 v87, 18, v68
	v_mul_f32_e32 v78, s19, v123
	v_cndmask_b32_e64 v81, 0xff7fffff, v81, s6
	v_cndmask_b32_e64 v80, 0xff7fffff, v80, s7
	v_max3_f32 v71, v82, v71, v72
	v_cmp_gt_i32_e64 s8, s24, v84
	v_cmp_gt_i32_e64 s9, s24, v85
	v_or_b32_e32 v88, 20, v68
	v_or_b32_e32 v90, 24, v68
	;; [unrolled: 1-line block ×5, first 2 shown]
	v_dual_mul_f32 v95, s19, v106 :: v_dual_mul_f32 v70, s19, v101
	v_dual_mul_f32 v99, s19, v102 :: v_dual_mul_f32 v68, s19, v100
	v_cndmask_b32_e64 v72, 0xff7fffff, v79, s8
	v_cndmask_b32_e64 v78, 0xff7fffff, v78, s9
	v_max3_f32 v71, v71, v81, v80
	v_cmp_gt_i32_e64 s10, s24, v86
	v_cmp_gt_i32_e64 s11, s24, v87
	;; [unrolled: 1-line block ×3, first 2 shown]
	v_mul_f32_e32 v97, s19, v104
	v_max3_f32 v71, v71, v72, v78
	v_cndmask_b32_e64 v68, 0xff7fffff, v68, s10
	v_cndmask_b32_e64 v70, 0xff7fffff, v70, s11
	;; [unrolled: 1-line block ×4, first 2 shown]
	v_cmp_gt_i32_e64 s15, s24, v90
	v_cmp_gt_i32_e64 s16, s24, v91
	v_max3_f32 v68, v71, v68, v70
	v_cmp_gt_i32_e64 s17, s24, v76
	v_cmp_gt_i32_e64 s18, s24, v77
	v_cndmask_b32_e64 v70, 0xff7fffff, v97, s15
	v_cndmask_b32_e64 v71, 0xff7fffff, v96, s16
	v_max3_f32 v68, v68, v72, v78
	v_cndmask_b32_e64 v72, 0xff7fffff, v95, s17
	v_cndmask_b32_e64 v76, 0xff7fffff, v94, s18
	s_delay_alu instid0(VALU_DEP_3) | instskip(NEXT) | instid1(VALU_DEP_1)
	v_max3_f32 v68, v68, v70, v71
	v_max3_f32 v68, v68, v72, v76
	ds_bpermute_b32 v69, v89, v68
	s_waitcnt lgkmcnt(0)
	v_max_f32_e32 v69, v69, v69
	s_delay_alu instid0(VALU_DEP_1) | instskip(NEXT) | instid1(VALU_DEP_1)
	v_max_f32_e32 v68, v68, v69
	v_fma_f32 v69, s19, v116, -v68
	v_fma_f32 v70, s19, v117, -v68
	;; [unrolled: 1-line block ×5, first 2 shown]
	s_delay_alu instid0(VALU_DEP_4) | instskip(NEXT) | instid1(VALU_DEP_4)
	v_dual_mul_f32 v69, 0x3fb8aa3b, v69 :: v_dual_mul_f32 v70, 0x3fb8aa3b, v70
	v_mul_f32_e32 v72, 0x3fb8aa3b, v72
	v_fma_f32 v78, s19, v122, -v68
	s_delay_alu instid0(VALU_DEP_4) | instskip(NEXT) | instid1(VALU_DEP_4)
	v_mul_f32_e32 v77, 0x3fb8aa3b, v76
	v_exp_f32_e32 v69, v69
	v_exp_f32_e32 v70, v70
	v_mul_f32_e32 v71, 0x3fb8aa3b, v71
	v_exp_f32_e32 v72, v72
	v_mul_f32_e32 v78, 0x3fb8aa3b, v78
	v_exp_f32_e32 v77, v77
	v_fma_f32 v81, s19, v105, -v68
	s_delay_alu instid0(VALU_DEP_2)
	v_exp_f32_e32 v78, v78
	v_cndmask_b32_e64 v80, 0, v69, s3
	v_cndmask_b32_e32 v76, 0, v70, vcc_lo
	v_exp_f32_e32 v71, v71
	v_fma_f32 v69, s19, v121, -v68
	v_cndmask_b32_e64 v85, 0, v72, s5
	v_add_f32_e32 v70, 0, v80
	s_delay_alu instid0(TRANS32_DEP_3)
	v_cndmask_b32_e64 v86, 0, v77, s6
	v_fma_f32 v77, s19, v101, -v68
	v_mul_f32_e32 v69, 0x3fb8aa3b, v69
	v_fma_f32 v72, s19, v100, -v68
	v_cndmask_b32_e64 v84, 0, v78, s8
	v_fma_f32 v78, s19, v103, -v68
	v_cndmask_b32_e64 v83, 0, v71, s4
	v_fma_f32 v71, s19, v123, -v68
	v_add_f32_e32 v70, v70, v76
	v_exp_f32_e32 v69, v69
	v_mul_f32_e32 v77, 0x3fb8aa3b, v77
	v_mul_f32_e32 v81, 0x3fb8aa3b, v81
	;; [unrolled: 1-line block ×3, first 2 shown]
	v_add_f32_e32 v70, v70, v83
	v_cmp_gt_u32_e64 s3, 16, v67
	v_exp_f32_e32 v77, v77
	v_exp_f32_e32 v81, v81
	;; [unrolled: 1-line block ×3, first 2 shown]
	v_cndmask_b32_e64 v87, 0, v69, s7
	v_add_f32_e32 v70, v70, v85
	s_delay_alu instid0(VALU_DEP_1) | instskip(SKIP_1) | instid1(VALU_DEP_2)
	v_dual_mul_f32 v72, 0x3fb8aa3b, v72 :: v_dual_add_f32 v69, v70, v86
	v_fma_f32 v70, s19, v102, -v68
	v_exp_f32_e32 v72, v72
	s_waitcnt_depctr 0xfff
	v_cndmask_b32_e64 v88, 0, v71, s9
	v_fma_f32 v71, s19, v104, -v68
	v_dual_add_f32 v69, v69, v87 :: v_dual_mul_f32 v70, 0x3fb8aa3b, v70
	s_delay_alu instid0(VALU_DEP_2) | instskip(NEXT) | instid1(VALU_DEP_2)
	v_dual_mul_f32 v78, 0x3fb8aa3b, v78 :: v_dual_mul_f32 v71, 0x3fb8aa3b, v71
	v_add_f32_e32 v69, v69, v84
	s_delay_alu instid0(VALU_DEP_3) | instskip(SKIP_1) | instid1(VALU_DEP_3)
	v_exp_f32_e32 v79, v70
	v_cndmask_b32_e64 v70, 0, v72, s10
	v_exp_f32_e32 v78, v78
	v_exp_f32_e32 v82, v71
	v_add_f32_e32 v72, v69, v88
	v_cndmask_b32_e64 v69, 0, v77, s11
	v_fma_f32 v77, s19, v106, -v68
	s_delay_alu instid0(VALU_DEP_3) | instskip(NEXT) | instid1(TRANS32_DEP_3)
	v_add_f32_e32 v72, v72, v70
	v_cndmask_b32_e64 v71, 0, v79, s12
	s_delay_alu instid0(VALU_DEP_3) | instskip(NEXT) | instid1(VALU_DEP_3)
	v_mul_f32_e32 v77, 0x3fb8aa3b, v77
	v_add_f32_e32 v79, v72, v69
	s_delay_alu instid0(TRANS32_DEP_2) | instskip(NEXT) | instid1(VALU_DEP_3)
	v_cndmask_b32_e64 v72, 0, v78, s13
	v_exp_f32_e32 v90, v77
	v_cndmask_b32_e64 v77, 0, v82, s15
	s_delay_alu instid0(VALU_DEP_3) | instskip(SKIP_1) | instid1(VALU_DEP_1)
	v_add_f32_e32 v78, v79, v71
	v_fma_f32 v79, s19, v107, -v68
	v_dual_add_f32 v82, v78, v72 :: v_dual_mul_f32 v79, 0x3fb8aa3b, v79
	v_cndmask_b32_e64 v78, 0, v81, s16
	s_delay_alu instid0(VALU_DEP_2) | instskip(NEXT) | instid1(VALU_DEP_3)
	v_add_f32_e32 v81, v82, v77
	v_exp_f32_e32 v82, v79
	s_delay_alu instid0(TRANS32_DEP_2) | instskip(NEXT) | instid1(VALU_DEP_2)
	v_cndmask_b32_e64 v79, 0, v90, s17
	v_add_f32_e32 v81, v81, v78
	s_delay_alu instid0(VALU_DEP_1) | instskip(SKIP_2) | instid1(VALU_DEP_1)
	v_add_f32_e32 v90, v81, v79
	s_waitcnt_depctr 0xfff
	v_cndmask_b32_e64 v81, 0, v82, s18
	v_add_f32_e32 v82, v90, v81
	ds_bpermute_b32 v89, v89, v82
	s_and_saveexec_b32 s4, s3
	s_cbranch_execz .LBB1416_12
; %bb.11:
	v_mul_u32_u24_e32 v67, 0x44, v66
	s_delay_alu instid0(VALU_DEP_1) | instskip(SKIP_1) | instid1(VALU_DEP_1)
	v_lshl_add_u32 v67, v65, 2, v67
	s_waitcnt lgkmcnt(0)
	v_dual_add_f32 v82, v82, v89 :: v_dual_add_nc_u32 v67, 0x4000, v67
	ds_store_2addr_b32 v67, v68, v82 offset1:136
.LBB1416_12:
	s_or_b32 exec_lo, exec_lo, s4
	v_lshlrev_b32_e32 v67, 2, v65
	s_waitcnt lgkmcnt(0)
	s_barrier
	buffer_gl0_inv
	v_cmp_eq_u32_e32 vcc_lo, 1, v66
	v_add_nc_u32_e32 v82, 0x4000, v67
	v_cmp_eq_u32_e64 s4, 2, v66
	v_cmp_eq_u32_e64 s6, 7, v66
	ds_load_2addr_b32 v[89:90], v82 offset1:17
	ds_load_2addr_b32 v[91:92], v82 offset0:34 offset1:51
	ds_load_2addr_b32 v[93:94], v82 offset0:68 offset1:85
	;; [unrolled: 1-line block ×4, first 2 shown]
	s_waitcnt lgkmcnt(4)
	v_max3_f32 v67, v89, 0xff7fffff, v90
	s_waitcnt lgkmcnt(3)
	s_delay_alu instid0(VALU_DEP_1) | instskip(SKIP_1) | instid1(VALU_DEP_1)
	v_max3_f32 v67, v67, v91, v92
	s_waitcnt lgkmcnt(2)
	v_max3_f32 v67, v67, v93, v94
	s_waitcnt lgkmcnt(1)
	s_delay_alu instid0(VALU_DEP_1) | instskip(NEXT) | instid1(VALU_DEP_1)
	v_max3_f32 v67, v67, v95, v96
	v_sub_f32_e32 v93, v93, v67
	s_delay_alu instid0(VALU_DEP_1) | instskip(NEXT) | instid1(VALU_DEP_1)
	v_dual_sub_f32 v68, v89, v67 :: v_dual_mul_f32 v103, 0x3fb8aa3b, v93
	v_mul_f32_e32 v68, 0x3fb8aa3b, v68
	s_delay_alu instid0(VALU_DEP_1)
	v_exp_f32_e32 v100, v68
	v_sub_f32_e32 v68, v92, v67
	v_sub_f32_e32 v99, v90, v67
	ds_load_2addr_b32 v[89:90], v82 offset0:170 offset1:187
	v_dual_mul_f32 v102, 0x3fb8aa3b, v68 :: v_dual_mul_f32 v99, 0x3fb8aa3b, v99
	s_waitcnt lgkmcnt(1)
	v_fma_f32 v68, v100, v97, 0
	s_delay_alu instid0(VALU_DEP_2) | instskip(NEXT) | instid1(VALU_DEP_2)
	v_exp_f32_e32 v102, v102
	v_exp_f32_e32 v99, v99
	s_waitcnt_depctr 0xfff
	v_fmac_f32_e32 v68, v99, v98
	v_sub_f32_e32 v91, v91, v67
	s_delay_alu instid0(VALU_DEP_1)
	v_mul_f32_e32 v101, 0x3fb8aa3b, v91
	ds_load_2addr_b32 v[91:92], v82 offset0:204 offset1:221
	v_sub_f32_e32 v97, v94, v67
	ds_load_2addr_b32 v[93:94], v82 offset0:238 offset1:255
	s_waitcnt lgkmcnt(0)
	v_exp_f32_e32 v101, v101
	s_barrier
	buffer_gl0_inv
	v_dual_fmac_f32 v68, v101, v89 :: v_dual_sub_f32 v89, v96, v67
	v_dual_sub_f32 v82, v95, v67 :: v_dual_mul_f32 v95, 0x3fb8aa3b, v97
	v_exp_f32_e32 v97, v103
	s_delay_alu instid0(VALU_DEP_2) | instskip(NEXT) | instid1(VALU_DEP_2)
	v_dual_fmac_f32 v68, v102, v90 :: v_dual_mul_f32 v89, 0x3fb8aa3b, v89
	v_mul_f32_e32 v82, 0x3fb8aa3b, v82
	s_delay_alu instid0(VALU_DEP_3) | instskip(NEXT) | instid1(VALU_DEP_2)
	v_exp_f32_e32 v95, v95
	v_exp_f32_e32 v89, v89
	s_delay_alu instid0(VALU_DEP_1)
	v_exp_f32_e32 v82, v82
	v_fmac_f32_e32 v68, v97, v91
	s_delay_alu instid0(TRANS32_DEP_3) | instid1(VALU_DEP_1)
	v_fmac_f32_e32 v68, v95, v92
	s_waitcnt_depctr 0xfff
	v_fmac_f32_e32 v68, v82, v93
	s_delay_alu instid0(VALU_DEP_1) | instskip(NEXT) | instid1(VALU_DEP_1)
	v_fmac_f32_e32 v68, v89, v94
	v_add_f32_e32 v90, 0x358637bd, v68
	s_delay_alu instid0(VALU_DEP_1) | instskip(NEXT) | instid1(VALU_DEP_1)
	v_div_scale_f32 v91, null, v90, v90, 1.0
	v_rcp_f32_e32 v92, v91
	s_waitcnt_depctr 0xfff
	v_fma_f32 v93, -v91, v92, 1.0
	s_delay_alu instid0(VALU_DEP_1) | instskip(SKIP_1) | instid1(VALU_DEP_2)
	v_dual_fmac_f32 v92, v93, v92 :: v_dual_cndmask_b32 v93, v100, v99
	v_cmp_eq_u32_e32 vcc_lo, 3, v66
	v_cndmask_b32_e64 v93, v93, v101, s4
	v_cmp_eq_u32_e64 s4, 4, v66
	s_delay_alu instid0(VALU_DEP_2) | instskip(SKIP_1) | instid1(VALU_DEP_2)
	v_cndmask_b32_e32 v93, v93, v102, vcc_lo
	v_cmp_eq_u32_e32 vcc_lo, 5, v66
	v_cndmask_b32_e64 v93, v93, v97, s4
	v_cmp_eq_u32_e64 s4, 6, v66
	s_delay_alu instid0(VALU_DEP_2) | instskip(SKIP_1) | instid1(VALU_DEP_1)
	v_cndmask_b32_e32 v93, v93, v95, vcc_lo
	v_div_scale_f32 v94, s5, 1.0, v90, 1.0
	s_mov_b32 vcc_lo, s5
	s_delay_alu instid0(VALU_DEP_2) | instskip(NEXT) | instid1(VALU_DEP_2)
	v_cndmask_b32_e64 v82, v93, v82, s4
	v_mul_f32_e32 v96, v94, v92
	s_mov_b32 s4, exec_lo
	s_delay_alu instid0(VALU_DEP_2) | instskip(NEXT) | instid1(VALU_DEP_2)
	v_cndmask_b32_e64 v82, v82, v89, s6
	v_fma_f32 v98, -v91, v96, v94
	s_delay_alu instid0(VALU_DEP_1) | instskip(NEXT) | instid1(VALU_DEP_1)
	v_fmac_f32_e32 v96, v98, v92
	v_fma_f32 v91, -v91, v96, v94
	s_delay_alu instid0(VALU_DEP_1) | instskip(NEXT) | instid1(VALU_DEP_1)
	v_div_fmas_f32 v91, v91, v92, v96
	v_div_fixup_f32 v90, v91, v90, 1.0
	s_delay_alu instid0(VALU_DEP_1) | instskip(NEXT) | instid1(VALU_DEP_1)
	v_mul_f32_e32 v82, v82, v90
	v_mul_f32_e32 v87, v82, v87
	;; [unrolled: 1-line block ×7, first 2 shown]
	v_dual_mul_f32 v86, v82, v83 :: v_dual_and_b32 v91, 0x7f800000, v90
	v_mul_f32_e32 v85, v82, v76
                                        ; implicit-def: $vgpr76
	s_delay_alu instid0(VALU_DEP_2)
	v_cmpx_ne_u32_e32 0x7f800000, v91
	s_xor_b32 s4, exec_lo, s4
; %bb.13:
	v_bfe_u32 v76, v90, 16, 1
	s_delay_alu instid0(VALU_DEP_1)
	v_add3_u32 v76, v90, v76, 0x7fff
                                        ; implicit-def: $vgpr90
; %bb.14:
	s_and_not1_saveexec_b32 s4, s4
; %bb.15:
	v_and_b32_e32 v76, 0xffff, v90
	v_or_b32_e32 v83, 0x10000, v90
	s_delay_alu instid0(VALU_DEP_2) | instskip(NEXT) | instid1(VALU_DEP_2)
	v_cmp_eq_u32_e32 vcc_lo, 0, v76
	v_cndmask_b32_e32 v76, v83, v90, vcc_lo
; %bb.16:
	s_or_b32 exec_lo, exec_lo, s4
	v_and_b32_e32 v83, 0x7f800000, v85
	s_delay_alu instid0(VALU_DEP_1) | instskip(SKIP_1) | instid1(SALU_CYCLE_1)
	v_cmp_ne_u32_e32 vcc_lo, 0x7f800000, v83
                                        ; implicit-def: $vgpr83
	s_and_saveexec_b32 s4, vcc_lo
	s_xor_b32 s4, exec_lo, s4
; %bb.17:
	v_bfe_u32 v83, v85, 16, 1
	s_delay_alu instid0(VALU_DEP_1)
	v_add3_u32 v83, v85, v83, 0x7fff
                                        ; implicit-def: $vgpr85
; %bb.18:
	s_and_not1_saveexec_b32 s4, s4
; %bb.19:
	v_and_b32_e32 v83, 0xffff, v85
	v_or_b32_e32 v90, 0x10000, v85
	s_delay_alu instid0(VALU_DEP_2) | instskip(NEXT) | instid1(VALU_DEP_2)
	v_cmp_eq_u32_e32 vcc_lo, 0, v83
	v_cndmask_b32_e32 v83, v90, v85, vcc_lo
; %bb.20:
	s_or_b32 exec_lo, exec_lo, s4
	v_and_b32_e32 v85, 0x7f800000, v86
	s_delay_alu instid0(VALU_DEP_1) | instskip(SKIP_1) | instid1(SALU_CYCLE_1)
	v_cmp_ne_u32_e32 vcc_lo, 0x7f800000, v85
                                        ; implicit-def: $vgpr85
	s_and_saveexec_b32 s4, vcc_lo
	s_xor_b32 s4, exec_lo, s4
; %bb.21:
	v_bfe_u32 v85, v86, 16, 1
	s_delay_alu instid0(VALU_DEP_1)
	v_add3_u32 v85, v86, v85, 0x7fff
                                        ; implicit-def: $vgpr86
; %bb.22:
	s_and_not1_saveexec_b32 s4, s4
; %bb.23:
	v_and_b32_e32 v85, 0xffff, v86
	v_or_b32_e32 v90, 0x10000, v86
	s_delay_alu instid0(VALU_DEP_2) | instskip(NEXT) | instid1(VALU_DEP_2)
	v_cmp_eq_u32_e32 vcc_lo, 0, v85
	v_cndmask_b32_e32 v85, v90, v86, vcc_lo
; %bb.24:
	s_or_b32 exec_lo, exec_lo, s4
	v_and_b32_e32 v86, 0x7f800000, v89
	s_delay_alu instid0(VALU_DEP_1) | instskip(SKIP_1) | instid1(SALU_CYCLE_1)
	v_cmp_ne_u32_e32 vcc_lo, 0x7f800000, v86
                                        ; implicit-def: $vgpr86
	s_and_saveexec_b32 s4, vcc_lo
	s_xor_b32 s4, exec_lo, s4
; %bb.25:
	v_bfe_u32 v86, v89, 16, 1
	s_delay_alu instid0(VALU_DEP_1)
	v_add3_u32 v86, v89, v86, 0x7fff
                                        ; implicit-def: $vgpr89
; %bb.26:
	s_and_not1_saveexec_b32 s4, s4
; %bb.27:
	v_and_b32_e32 v86, 0xffff, v89
	v_or_b32_e32 v90, 0x10000, v89
	s_delay_alu instid0(VALU_DEP_2) | instskip(NEXT) | instid1(VALU_DEP_2)
	v_cmp_eq_u32_e32 vcc_lo, 0, v86
	v_cndmask_b32_e32 v86, v90, v89, vcc_lo
; %bb.28:
	s_or_b32 exec_lo, exec_lo, s4
	v_and_b32_e32 v89, 0x7f800000, v88
	s_delay_alu instid0(VALU_DEP_1) | instskip(SKIP_1) | instid1(SALU_CYCLE_1)
	v_cmp_ne_u32_e32 vcc_lo, 0x7f800000, v89
                                        ; implicit-def: $vgpr89
	s_and_saveexec_b32 s4, vcc_lo
	s_xor_b32 s4, exec_lo, s4
; %bb.29:
	v_bfe_u32 v89, v88, 16, 1
	s_delay_alu instid0(VALU_DEP_1)
	v_add3_u32 v89, v88, v89, 0x7fff
                                        ; implicit-def: $vgpr88
; %bb.30:
	s_and_not1_saveexec_b32 s4, s4
; %bb.31:
	v_and_b32_e32 v89, 0xffff, v88
	v_or_b32_e32 v90, 0x10000, v88
	s_delay_alu instid0(VALU_DEP_2) | instskip(NEXT) | instid1(VALU_DEP_2)
	v_cmp_eq_u32_e32 vcc_lo, 0, v89
	v_cndmask_b32_e32 v89, v90, v88, vcc_lo
; %bb.32:
	s_or_b32 exec_lo, exec_lo, s4
	v_and_b32_e32 v88, 0x7f800000, v87
	s_delay_alu instid0(VALU_DEP_1) | instskip(SKIP_1) | instid1(SALU_CYCLE_1)
	v_cmp_ne_u32_e32 vcc_lo, 0x7f800000, v88
                                        ; implicit-def: $vgpr88
	s_and_saveexec_b32 s4, vcc_lo
	s_xor_b32 s4, exec_lo, s4
; %bb.33:
	v_bfe_u32 v88, v87, 16, 1
	s_delay_alu instid0(VALU_DEP_1)
	v_add3_u32 v88, v87, v88, 0x7fff
                                        ; implicit-def: $vgpr87
; %bb.34:
	s_and_not1_saveexec_b32 s4, s4
; %bb.35:
	v_and_b32_e32 v88, 0xffff, v87
	v_or_b32_e32 v90, 0x10000, v87
	s_delay_alu instid0(VALU_DEP_2) | instskip(NEXT) | instid1(VALU_DEP_2)
	v_cmp_eq_u32_e32 vcc_lo, 0, v88
	v_cndmask_b32_e32 v88, v90, v87, vcc_lo
; %bb.36:
	s_or_b32 exec_lo, exec_lo, s4
	v_and_b32_e32 v87, 0x7f800000, v84
	s_delay_alu instid0(VALU_DEP_1) | instskip(SKIP_1) | instid1(SALU_CYCLE_1)
	v_cmp_ne_u32_e32 vcc_lo, 0x7f800000, v87
                                        ; implicit-def: $vgpr87
	s_and_saveexec_b32 s4, vcc_lo
	s_xor_b32 s4, exec_lo, s4
; %bb.37:
	v_bfe_u32 v87, v84, 16, 1
	s_delay_alu instid0(VALU_DEP_1)
	v_add3_u32 v87, v84, v87, 0x7fff
                                        ; implicit-def: $vgpr84
; %bb.38:
	s_and_not1_saveexec_b32 s4, s4
; %bb.39:
	v_and_b32_e32 v87, 0xffff, v84
	v_or_b32_e32 v90, 0x10000, v84
	s_delay_alu instid0(VALU_DEP_2) | instskip(NEXT) | instid1(VALU_DEP_2)
	v_cmp_eq_u32_e32 vcc_lo, 0, v87
	v_cndmask_b32_e32 v87, v90, v84, vcc_lo
; %bb.40:
	s_or_b32 exec_lo, exec_lo, s4
	v_and_b32_e32 v84, 0x7f800000, v80
	s_delay_alu instid0(VALU_DEP_1) | instskip(SKIP_1) | instid1(SALU_CYCLE_1)
	v_cmp_ne_u32_e32 vcc_lo, 0x7f800000, v84
                                        ; implicit-def: $vgpr84
	s_and_saveexec_b32 s4, vcc_lo
	s_xor_b32 s4, exec_lo, s4
; %bb.41:
	v_bfe_u32 v84, v80, 16, 1
	s_delay_alu instid0(VALU_DEP_1)
	v_add3_u32 v84, v80, v84, 0x7fff
                                        ; implicit-def: $vgpr80
; %bb.42:
	s_and_not1_saveexec_b32 s4, s4
; %bb.43:
	v_and_b32_e32 v84, 0xffff, v80
	v_or_b32_e32 v90, 0x10000, v80
	s_delay_alu instid0(VALU_DEP_2) | instskip(NEXT) | instid1(VALU_DEP_2)
	v_cmp_eq_u32_e32 vcc_lo, 0, v84
	v_cndmask_b32_e32 v84, v90, v80, vcc_lo
; %bb.44:
	s_or_b32 exec_lo, exec_lo, s4
	s_load_b64 s[36:37], s[0:1], 0x94
	v_lshlrev_b32_e32 v91, 4, v74
	s_delay_alu instid0(VALU_DEP_2)
	v_perm_b32 v90, v84, v87, 0x7060302
	v_dual_mul_f32 v79, v82, v79 :: v_dual_lshlrev_b32 v80, 6, v65
	v_dual_mul_f32 v77, v82, v77 :: v_dual_lshlrev_b32 v92, 11, v66
	v_mul_f32_e32 v84, v82, v70
	v_perm_b32 v89, v88, v89, 0x7060302
	v_perm_b32 v88, v86, v85, 0x7060302
	;; [unrolled: 1-line block ×3, first 2 shown]
	v_mul_f32_e32 v70, v82, v81
	v_or3_b32 v76, v91, v92, v80
	v_dual_mul_f32 v78, v82, v78 :: v_dual_and_b32 v85, 0x7f800000, v84
	v_mul_f32_e32 v83, v82, v72
	v_mul_f32_e32 v81, v82, v71
	v_mul_f32_e32 v72, v82, v69
	s_mov_b32 s4, exec_lo
	ds_store_b128 v76, v[87:90]
                                        ; implicit-def: $vgpr69
	v_cmpx_ne_u32_e32 0x7f800000, v85
	s_xor_b32 s4, exec_lo, s4
; %bb.45:
	v_bfe_u32 v69, v84, 16, 1
	s_delay_alu instid0(VALU_DEP_1)
	v_add3_u32 v69, v84, v69, 0x7fff
                                        ; implicit-def: $vgpr84
; %bb.46:
	s_and_not1_saveexec_b32 s4, s4
; %bb.47:
	v_and_b32_e32 v69, 0xffff, v84
	v_or_b32_e32 v71, 0x10000, v84
	s_delay_alu instid0(VALU_DEP_2) | instskip(NEXT) | instid1(VALU_DEP_2)
	v_cmp_eq_u32_e32 vcc_lo, 0, v69
	v_cndmask_b32_e32 v69, v71, v84, vcc_lo
; %bb.48:
	s_or_b32 exec_lo, exec_lo, s4
	v_and_b32_e32 v71, 0x7f800000, v72
	s_delay_alu instid0(VALU_DEP_1) | instskip(SKIP_1) | instid1(SALU_CYCLE_1)
	v_cmp_ne_u32_e32 vcc_lo, 0x7f800000, v71
                                        ; implicit-def: $vgpr71
	s_and_saveexec_b32 s4, vcc_lo
	s_xor_b32 s4, exec_lo, s4
; %bb.49:
	v_bfe_u32 v71, v72, 16, 1
	s_delay_alu instid0(VALU_DEP_1)
	v_add3_u32 v71, v72, v71, 0x7fff
                                        ; implicit-def: $vgpr72
; %bb.50:
	s_and_not1_saveexec_b32 s4, s4
; %bb.51:
	v_and_b32_e32 v71, 0xffff, v72
	v_or_b32_e32 v82, 0x10000, v72
	s_delay_alu instid0(VALU_DEP_2) | instskip(NEXT) | instid1(VALU_DEP_2)
	v_cmp_eq_u32_e32 vcc_lo, 0, v71
	v_cndmask_b32_e32 v71, v82, v72, vcc_lo
; %bb.52:
	s_or_b32 exec_lo, exec_lo, s4
	v_and_b32_e32 v72, 0x7f800000, v81
	s_delay_alu instid0(VALU_DEP_1) | instskip(SKIP_1) | instid1(SALU_CYCLE_1)
	v_cmp_ne_u32_e32 vcc_lo, 0x7f800000, v72
                                        ; implicit-def: $vgpr72
	s_and_saveexec_b32 s4, vcc_lo
	s_xor_b32 s4, exec_lo, s4
; %bb.53:
	v_bfe_u32 v72, v81, 16, 1
	s_delay_alu instid0(VALU_DEP_1)
	v_add3_u32 v72, v81, v72, 0x7fff
                                        ; implicit-def: $vgpr81
; %bb.54:
	s_and_not1_saveexec_b32 s4, s4
; %bb.55:
	v_and_b32_e32 v72, 0xffff, v81
	v_or_b32_e32 v82, 0x10000, v81
	s_delay_alu instid0(VALU_DEP_2) | instskip(NEXT) | instid1(VALU_DEP_2)
	v_cmp_eq_u32_e32 vcc_lo, 0, v72
	v_cndmask_b32_e32 v72, v82, v81, vcc_lo
; %bb.56:
	s_or_b32 exec_lo, exec_lo, s4
	v_and_b32_e32 v81, 0x7f800000, v83
	s_delay_alu instid0(VALU_DEP_1) | instskip(SKIP_1) | instid1(SALU_CYCLE_1)
	v_cmp_ne_u32_e32 vcc_lo, 0x7f800000, v81
                                        ; implicit-def: $vgpr81
	s_and_saveexec_b32 s4, vcc_lo
	s_xor_b32 s4, exec_lo, s4
; %bb.57:
	v_bfe_u32 v81, v83, 16, 1
	s_delay_alu instid0(VALU_DEP_1)
	v_add3_u32 v81, v83, v81, 0x7fff
                                        ; implicit-def: $vgpr83
; %bb.58:
	s_and_not1_saveexec_b32 s4, s4
; %bb.59:
	v_and_b32_e32 v81, 0xffff, v83
	v_or_b32_e32 v82, 0x10000, v83
	s_delay_alu instid0(VALU_DEP_2) | instskip(NEXT) | instid1(VALU_DEP_2)
	v_cmp_eq_u32_e32 vcc_lo, 0, v81
	v_cndmask_b32_e32 v81, v82, v83, vcc_lo
; %bb.60:
	s_or_b32 exec_lo, exec_lo, s4
	v_and_b32_e32 v82, 0x7f800000, v77
	s_delay_alu instid0(VALU_DEP_1) | instskip(SKIP_1) | instid1(SALU_CYCLE_1)
	v_cmp_ne_u32_e32 vcc_lo, 0x7f800000, v82
                                        ; implicit-def: $vgpr82
	s_and_saveexec_b32 s4, vcc_lo
	s_xor_b32 s4, exec_lo, s4
; %bb.61:
	v_bfe_u32 v82, v77, 16, 1
	s_delay_alu instid0(VALU_DEP_1)
	v_add3_u32 v82, v77, v82, 0x7fff
                                        ; implicit-def: $vgpr77
; %bb.62:
	s_and_not1_saveexec_b32 s4, s4
; %bb.63:
	v_and_b32_e32 v82, 0xffff, v77
	v_or_b32_e32 v83, 0x10000, v77
	s_delay_alu instid0(VALU_DEP_2) | instskip(NEXT) | instid1(VALU_DEP_2)
	v_cmp_eq_u32_e32 vcc_lo, 0, v82
	v_cndmask_b32_e32 v82, v83, v77, vcc_lo
; %bb.64:
	s_or_b32 exec_lo, exec_lo, s4
	v_and_b32_e32 v77, 0x7f800000, v78
	s_delay_alu instid0(VALU_DEP_1) | instskip(SKIP_1) | instid1(SALU_CYCLE_1)
	v_cmp_ne_u32_e32 vcc_lo, 0x7f800000, v77
                                        ; implicit-def: $vgpr77
	s_and_saveexec_b32 s4, vcc_lo
	s_xor_b32 s4, exec_lo, s4
; %bb.65:
	v_bfe_u32 v77, v78, 16, 1
	s_delay_alu instid0(VALU_DEP_1)
	v_add3_u32 v77, v78, v77, 0x7fff
                                        ; implicit-def: $vgpr78
; %bb.66:
	s_and_not1_saveexec_b32 s4, s4
; %bb.67:
	v_and_b32_e32 v77, 0xffff, v78
	v_or_b32_e32 v83, 0x10000, v78
	s_delay_alu instid0(VALU_DEP_2) | instskip(NEXT) | instid1(VALU_DEP_2)
	v_cmp_eq_u32_e32 vcc_lo, 0, v77
	v_cndmask_b32_e32 v77, v83, v78, vcc_lo
; %bb.68:
	s_or_b32 exec_lo, exec_lo, s4
	v_and_b32_e32 v78, 0x7f800000, v79
	s_delay_alu instid0(VALU_DEP_1) | instskip(SKIP_1) | instid1(SALU_CYCLE_1)
	v_cmp_ne_u32_e32 vcc_lo, 0x7f800000, v78
                                        ; implicit-def: $vgpr78
	s_and_saveexec_b32 s4, vcc_lo
	s_xor_b32 s4, exec_lo, s4
; %bb.69:
	v_bfe_u32 v78, v79, 16, 1
	s_delay_alu instid0(VALU_DEP_1)
	v_add3_u32 v78, v79, v78, 0x7fff
                                        ; implicit-def: $vgpr79
; %bb.70:
	s_and_not1_saveexec_b32 s4, s4
; %bb.71:
	v_and_b32_e32 v78, 0xffff, v79
	v_or_b32_e32 v83, 0x10000, v79
	s_delay_alu instid0(VALU_DEP_2) | instskip(NEXT) | instid1(VALU_DEP_2)
	v_cmp_eq_u32_e32 vcc_lo, 0, v78
	v_cndmask_b32_e32 v78, v83, v79, vcc_lo
; %bb.72:
	s_or_b32 exec_lo, exec_lo, s4
	v_and_b32_e32 v79, 0x7f800000, v70
	s_delay_alu instid0(VALU_DEP_1) | instskip(SKIP_1) | instid1(SALU_CYCLE_1)
	v_cmp_ne_u32_e32 vcc_lo, 0x7f800000, v79
                                        ; implicit-def: $vgpr79
	s_and_saveexec_b32 s4, vcc_lo
	s_xor_b32 s4, exec_lo, s4
; %bb.73:
	v_bfe_u32 v79, v70, 16, 1
	s_delay_alu instid0(VALU_DEP_1)
	v_add3_u32 v79, v70, v79, 0x7fff
                                        ; implicit-def: $vgpr70
; %bb.74:
	s_and_not1_saveexec_b32 s4, s4
; %bb.75:
	v_and_b32_e32 v79, 0xffff, v70
	v_or_b32_e32 v83, 0x10000, v70
	s_delay_alu instid0(VALU_DEP_2) | instskip(NEXT) | instid1(VALU_DEP_2)
	v_cmp_eq_u32_e32 vcc_lo, 0, v79
	v_cndmask_b32_e32 v79, v83, v70, vcc_lo
; %bb.76:
	s_or_b32 exec_lo, exec_lo, s4
	s_delay_alu instid0(VALU_DEP_1)
	v_perm_b32 v86, v79, v78, 0x7060302
	v_perm_b32 v85, v77, v82, 0x7060302
	;; [unrolled: 1-line block ×4, first 2 shown]
	v_lshl_or_b32 v82, v66, 11, v80
	ds_store_b128 v76, v[83:86] offset:1024
	s_waitcnt lgkmcnt(0)
	s_barrier
	buffer_gl0_inv
	ds_load_b128 v[69:72], v82
	ds_load_b128 v[83:86], v82 offset:16
	s_waitcnt lgkmcnt(1)
	v_lshrrev_b32_e32 v66, 16, v69
	s_waitcnt lgkmcnt(0)
	v_lshrrev_b32_e32 v91, 16, v83
	v_lshlrev_b32_e32 v78, 2, v74
	v_lshrrev_b32_e32 v95, 16, v70
	v_lshrrev_b32_e32 v98, 16, v84
	;; [unrolled: 1-line block ×4, first 2 shown]
	v_cmp_eq_u32_e32 vcc_lo, 1, v78
	v_lshrrev_b32_e32 v97, 16, v72
	v_lshrrev_b32_e32 v100, 16, v86
	v_cndmask_b32_e32 v87, v83, v91, vcc_lo
	v_or_b32_e32 v79, 1, v78
	v_cndmask_b32_e32 v81, v69, v66, vcc_lo
	v_cmp_eq_u32_e64 s5, 2, v78
	v_cmp_eq_u32_e64 s8, 3, v78
	;; [unrolled: 1-line block ×5, first 2 shown]
	v_cndmask_b32_e64 v81, v81, v70, s5
	v_cndmask_b32_e64 v87, v87, v84, s5
	v_cmp_eq_u32_e64 s9, 3, v79
	v_cndmask_b32_e64 v88, v69, v66, s4
	v_or_b32_e32 v77, 2, v78
	v_cndmask_b32_e64 v81, v81, v95, s8
	v_cndmask_b32_e64 v87, v87, v98, s8
	;; [unrolled: 1-line block ×4, first 2 shown]
	v_cmp_eq_u32_e64 s11, 5, v78
	v_cndmask_b32_e64 v81, v81, v71, s10
	v_cndmask_b32_e64 v87, v87, v85, s10
	v_cmp_eq_u32_e64 s12, 4, v79
	v_cndmask_b32_e64 v88, v88, v95, s9
	v_cmp_eq_u32_e64 s6, 1, v77
	v_cndmask_b32_e64 v89, v89, v84, s7
	v_cndmask_b32_e64 v81, v81, v96, s11
	v_cmp_eq_u32_e64 s13, 6, v78
	v_cndmask_b32_e64 v88, v88, v71, s12
	;; [unrolled: 3-line block ×3, first 2 shown]
	v_cndmask_b32_e64 v89, v89, v98, s9
	v_cndmask_b32_e64 v81, v81, v72, s13
	v_cmp_eq_u32_e64 s16, 7, v78
	v_cndmask_b32_e64 v88, v88, v96, s15
	v_cndmask_b32_e64 v87, v87, v86, s13
	v_cmp_eq_u32_e64 s17, 6, v79
	v_cmp_eq_u32_e64 s18, 2, v77
	v_cndmask_b32_e64 v89, v89, v85, s12
	v_cndmask_b32_e64 v101, v81, v97, s16
	;; [unrolled: 1-line block ×6, first 2 shown]
	v_cmp_eq_u32_e64 s19, 7, v79
	v_cmp_eq_u32_e64 s20, 3, v77
	;; [unrolled: 1-line block ×4, first 2 shown]
	v_cndmask_b32_e64 v87, v87, v84, s18
	v_cndmask_b32_e64 v103, v88, v97, s19
	v_cndmask_b32_e64 v88, v89, v99, s15
	v_cndmask_b32_e64 v89, v81, v95, s20
	v_or_b32_e32 v81, 3, v78
	v_cndmask_b32_e64 v93, v87, v98, s20
	v_cmp_eq_u32_e64 s25, 6, v77
	v_cndmask_b32_e64 v104, v88, v86, s17
	v_cndmask_b32_e64 v92, v89, v71, s21
	v_cmp_eq_u32_e64 s22, 1, v81
	ds_load_b128 v[87:90], v82 offset:1024
	v_cmp_eq_u32_e64 s24, 2, v81
	v_cmp_eq_u32_e64 s26, 3, v81
	v_cndmask_b32_e64 v105, v92, v96, s23
	v_cndmask_b32_e64 v66, v69, v66, s22
	;; [unrolled: 1-line block ×4, first 2 shown]
	ds_load_b128 v[91:94], v82 offset:1040
	v_cmp_eq_u32_e64 s27, 4, v81
	v_cndmask_b32_e64 v66, v66, v70, s24
	v_cmp_eq_u32_e64 s28, 7, v77
	v_cndmask_b32_e64 v70, v83, v84, s24
	v_cndmask_b32_e64 v84, v105, v72, s25
	v_cmp_eq_u32_e64 s29, 5, v81
	v_cndmask_b32_e64 v66, v66, v95, s26
	v_cmp_eq_u32_e64 s30, 6, v81
	v_cndmask_b32_e64 v70, v70, v98, s26
	v_cndmask_b32_e64 v69, v69, v99, s23
	;; [unrolled: 1-line block ×4, first 2 shown]
	s_waitcnt lgkmcnt(1)
	v_lshrrev_b32_e32 v95, 16, v87
	v_cndmask_b32_e64 v70, v70, v85, s27
	v_cndmask_b32_e64 v71, v84, v97, s28
	v_cndmask_b32_e64 v69, v69, v86, s25
	v_cndmask_b32_e64 v66, v66, v96, s29
	v_cndmask_b32_e32 v84, v87, v95, vcc_lo
	v_cndmask_b32_e64 v70, v70, v99, s29
	s_waitcnt lgkmcnt(0)
	v_lshrrev_b32_e32 v85, 16, v91
	v_lshrrev_b32_e32 v96, 16, v88
	v_cndmask_b32_e64 v98, v87, v95, s4
	v_cndmask_b32_e64 v84, v84, v88, s5
	;; [unrolled: 1-line block ×3, first 2 shown]
	v_cndmask_b32_e32 v99, v91, v85, vcc_lo
	v_cmp_eq_u32_e32 vcc_lo, 7, v81
	v_cndmask_b32_e64 v66, v66, v72, s30
	v_cndmask_b32_e64 v72, v84, v96, s8
	;; [unrolled: 1-line block ×3, first 2 shown]
	v_lshrrev_b32_e32 v98, 16, v92
	v_cndmask_b32_e32 v70, v70, v100, vcc_lo
	v_cndmask_b32_e64 v86, v99, v92, s5
	v_cndmask_b32_e64 v69, v69, v100, s28
	v_lshrrev_b32_e32 v100, 16, v93
	v_cndmask_b32_e64 v72, v72, v89, s10
	v_lshrrev_b32_e32 v99, 16, v89
	v_cndmask_b32_e64 v86, v86, v98, s8
	v_perm_b32 v71, v69, v71, 0x5040100
	v_cndmask_b32_e64 v84, v84, v96, s9
	s_delay_alu instid0(VALU_DEP_3) | instskip(NEXT) | instid1(VALU_DEP_2)
	v_cndmask_b32_e64 v86, v86, v93, s10
	v_cndmask_b32_e64 v84, v84, v89, s12
	s_delay_alu instid0(VALU_DEP_2) | instskip(NEXT) | instid1(VALU_DEP_1)
	v_cndmask_b32_e64 v86, v86, v100, s11
	v_cndmask_b32_e64 v69, v86, v94, s13
	;; [unrolled: 1-line block ×5, first 2 shown]
	s_delay_alu instid0(VALU_DEP_3) | instskip(NEXT) | instid1(VALU_DEP_3)
	v_cndmask_b32_e64 v86, v86, v88, s18
	v_cndmask_b32_e64 v87, v87, v88, s24
	s_delay_alu instid0(VALU_DEP_3) | instskip(NEXT) | instid1(VALU_DEP_3)
	v_cndmask_b32_e64 v88, v95, v92, s24
	v_cndmask_b32_e64 v86, v86, v96, s20
	;; [unrolled: 3-line block ×7, first 2 shown]
	s_delay_alu instid0(VALU_DEP_3) | instskip(SKIP_2) | instid1(VALU_DEP_2)
	v_cndmask_b32_e64 v88, v88, v94, s30
	v_cndmask_b32_e32 v66, v66, v97, vcc_lo
	v_cndmask_b32_e64 v97, v72, v99, s11
	v_perm_b32 v72, v70, v66, 0x5040100
	v_perm_b32 v70, v83, v103, 0x5040100
	v_cndmask_b32_e64 v103, v91, v85, s6
	v_cndmask_b32_e64 v85, v91, v85, s4
	;; [unrolled: 1-line block ×4, first 2 shown]
	v_lshrrev_b32_e32 v97, 16, v90
	v_cndmask_b32_e64 v91, v103, v92, s18
	v_cndmask_b32_e64 v85, v85, v92, s7
	;; [unrolled: 1-line block ×3, first 2 shown]
	s_mov_b32 s4, exec_lo
	v_cndmask_b32_e64 v83, v84, v97, s16
	v_cndmask_b32_e64 v91, v91, v98, s20
	;; [unrolled: 1-line block ×3, first 2 shown]
	v_lshrrev_b32_e32 v84, 16, v94
	v_cndmask_b32_e64 v66, v66, v97, s19
	v_cndmask_b32_e64 v90, v86, v97, s28
	;; [unrolled: 1-line block ×4, first 2 shown]
	v_dual_cndmask_b32 v86, v87, v97 :: v_dual_cndmask_b32 v87, v88, v84
	v_cndmask_b32_e64 v91, v69, v84, s16
	s_delay_alu instid0(VALU_DEP_4) | instskip(NEXT) | instid1(VALU_DEP_4)
	v_cndmask_b32_e64 v89, v89, v100, s23
	v_cndmask_b32_e64 v85, v85, v100, s15
	v_perm_b32 v69, v102, v101, 0x5040100
	v_perm_b32 v86, v87, v86, 0x5040100
	;; [unrolled: 1-line block ×3, first 2 shown]
	v_cndmask_b32_e64 v89, v89, v94, s25
	v_cndmask_b32_e64 v85, v85, v94, s17
	s_mul_i32 s9, s37, 11
	s_delay_alu instid0(VALU_DEP_2) | instskip(NEXT) | instid1(VALU_DEP_2)
	v_cndmask_b32_e64 v88, v89, v84, s28
	v_cndmask_b32_e64 v89, v85, v84, s19
	s_delay_alu instid0(VALU_DEP_2) | instskip(NEXT) | instid1(VALU_DEP_2)
	v_perm_b32 v85, v88, v90, 0x5040100
	v_perm_b32 v84, v89, v66, 0x5040100
	ds_store_b128 v76, v[69:72]
	ds_store_b128 v76, v[83:86] offset:1024
	v_cmpx_gt_u32_e32 11, v0
	s_cbranch_execz .LBB1416_78
; %bb.77:
	s_mul_i32 s5, s9, s34
	s_load_b128 s[16:19], s[0:1], 0x58
	v_add3_u32 v69, s5, s31, v65
	s_delay_alu instid0(VALU_DEP_1) | instskip(NEXT) | instid1(VALU_DEP_1)
	v_mad_u64_u32 v[65:66], null, v69, s36, s[14:15]
	v_ashrrev_i32_e32 v66, 31, v65
	s_delay_alu instid0(VALU_DEP_1) | instskip(SKIP_1) | instid1(VALU_DEP_1)
	v_lshlrev_b64 v[65:66], 2, v[65:66]
	s_waitcnt lgkmcnt(0)
	v_add_co_u32 v69, vcc_lo, s18, v65
	s_delay_alu instid0(VALU_DEP_2)
	v_add_co_ci_u32_e32 v70, vcc_lo, s19, v66, vcc_lo
	v_add_co_u32 v65, vcc_lo, s16, v65
	v_add_co_ci_u32_e32 v66, vcc_lo, s17, v66, vcc_lo
	global_store_b32 v[69:70], v67, off
	global_store_b32 v[65:66], v68, off
.LBB1416_78:
	s_or_b32 exec_lo, exec_lo, s4
	s_waitcnt lgkmcnt(0)
	s_waitcnt_vscnt null, 0x0
	s_barrier
	buffer_gl0_inv
	ds_load_b128 v[83:86], v80
	ds_load_b128 v[87:90], v80 offset:16
	ds_load_b128 v[95:98], v80 offset:2064
	;; [unrolled: 1-line block ×3, first 2 shown]
	v_mov_b32_e32 v65, 0
	ds_load_b128 v[103:106], v80 offset:4112
	ds_load_b128 v[99:102], v80 offset:4096
	ds_load_b128 v[111:114], v80 offset:6160
	ds_load_b128 v[107:110], v80 offset:6144
	v_mov_b32_e32 v66, v65
	v_mov_b32_e32 v67, v65
	;; [unrolled: 1-line block ×7, first 2 shown]
	s_waitcnt lgkmcnt(6)
	s_delay_alu instid0(VALU_DEP_1)
	v_wmma_f32_16x16x16_bf16 v[65:72], v[57:64], v[83:90], v[65:72]
	ds_load_b128 v[61:64], v80 offset:8208
	ds_load_b128 v[57:60], v80 offset:8192
	s_waitcnt lgkmcnt(6)
	v_wmma_f32_16x16x16_bf16 v[65:72], v[41:48], v[91:98], v[65:72]
	ds_load_b128 v[45:48], v80 offset:10256
	ds_load_b128 v[41:44], v80 offset:10240
	s_waitcnt lgkmcnt(6)
	;; [unrolled: 4-line block ×4, first 2 shown]
	v_wmma_f32_16x16x16_bf16 v[65:72], v[1:8], v[57:64], v[65:72]
	s_waitcnt lgkmcnt(4)
	s_delay_alu instid0(VALU_DEP_1) | instskip(SKIP_1) | instid1(VALU_DEP_1)
	v_wmma_f32_16x16x16_bf16 v[65:72], v[9:16], v[41:48], v[65:72]
	s_waitcnt lgkmcnt(2)
	v_wmma_f32_16x16x16_bf16 v[65:72], v[17:24], v[33:40], v[65:72]
	s_waitcnt lgkmcnt(0)
	s_delay_alu instid0(VALU_DEP_1) | instskip(NEXT) | instid1(VALU_DEP_1)
	v_wmma_f32_16x16x16_bf16 v[65:72], v[49:56], v[25:32], v[65:72]
	v_and_b32_e32 v1, 0x7f800000, v65
	s_delay_alu instid0(VALU_DEP_1) | instskip(SKIP_1) | instid1(SALU_CYCLE_1)
	v_cmp_ne_u32_e32 vcc_lo, 0x7f800000, v1
                                        ; implicit-def: $vgpr1
	s_and_saveexec_b32 s4, vcc_lo
	s_xor_b32 s4, exec_lo, s4
; %bb.79:
	v_bfe_u32 v1, v65, 16, 1
	s_delay_alu instid0(VALU_DEP_1)
	v_add3_u32 v1, v65, v1, 0x7fff
; %bb.80:
	s_and_not1_saveexec_b32 s4, s4
; %bb.81:
	v_and_b32_e32 v1, 0xffff, v65
	v_or_b32_e32 v2, 0x10000, v65
	s_delay_alu instid0(VALU_DEP_2) | instskip(NEXT) | instid1(VALU_DEP_2)
	v_cmp_eq_u32_e32 vcc_lo, 0, v1
	v_cndmask_b32_e32 v1, v2, v65, vcc_lo
; %bb.82:
	s_or_b32 exec_lo, exec_lo, s4
	v_and_b32_e32 v2, 0x7f800000, v66
	s_delay_alu instid0(VALU_DEP_1) | instskip(SKIP_1) | instid1(SALU_CYCLE_1)
	v_cmp_ne_u32_e32 vcc_lo, 0x7f800000, v2
                                        ; implicit-def: $vgpr2
	s_and_saveexec_b32 s4, vcc_lo
	s_xor_b32 s4, exec_lo, s4
; %bb.83:
	v_bfe_u32 v2, v66, 16, 1
	s_delay_alu instid0(VALU_DEP_1)
	v_add3_u32 v2, v66, v2, 0x7fff
; %bb.84:
	s_and_not1_saveexec_b32 s4, s4
; %bb.85:
	v_and_b32_e32 v2, 0xffff, v66
	v_or_b32_e32 v3, 0x10000, v66
	s_delay_alu instid0(VALU_DEP_2) | instskip(NEXT) | instid1(VALU_DEP_2)
	v_cmp_eq_u32_e32 vcc_lo, 0, v2
	v_cndmask_b32_e32 v2, v3, v66, vcc_lo
; %bb.86:
	s_or_b32 exec_lo, exec_lo, s4
	v_and_b32_e32 v3, 0x7f800000, v67
	s_delay_alu instid0(VALU_DEP_1) | instskip(SKIP_1) | instid1(SALU_CYCLE_1)
	v_cmp_ne_u32_e32 vcc_lo, 0x7f800000, v3
                                        ; implicit-def: $vgpr3
	s_and_saveexec_b32 s4, vcc_lo
	s_xor_b32 s4, exec_lo, s4
; %bb.87:
	v_bfe_u32 v3, v67, 16, 1
	s_delay_alu instid0(VALU_DEP_1)
	v_add3_u32 v3, v67, v3, 0x7fff
; %bb.88:
	s_and_not1_saveexec_b32 s4, s4
; %bb.89:
	v_and_b32_e32 v3, 0xffff, v67
	v_or_b32_e32 v4, 0x10000, v67
	s_delay_alu instid0(VALU_DEP_2) | instskip(NEXT) | instid1(VALU_DEP_2)
	v_cmp_eq_u32_e32 vcc_lo, 0, v3
	v_cndmask_b32_e32 v3, v4, v67, vcc_lo
; %bb.90:
	s_or_b32 exec_lo, exec_lo, s4
	v_and_b32_e32 v4, 0x7f800000, v68
	s_delay_alu instid0(VALU_DEP_1) | instskip(SKIP_1) | instid1(SALU_CYCLE_1)
	v_cmp_ne_u32_e32 vcc_lo, 0x7f800000, v4
                                        ; implicit-def: $vgpr4
	s_and_saveexec_b32 s4, vcc_lo
	s_xor_b32 s4, exec_lo, s4
; %bb.91:
	v_bfe_u32 v4, v68, 16, 1
	s_delay_alu instid0(VALU_DEP_1)
	v_add3_u32 v4, v68, v4, 0x7fff
; %bb.92:
	s_and_not1_saveexec_b32 s4, s4
; %bb.93:
	v_and_b32_e32 v4, 0xffff, v68
	v_or_b32_e32 v5, 0x10000, v68
	s_delay_alu instid0(VALU_DEP_2) | instskip(NEXT) | instid1(VALU_DEP_2)
	v_cmp_eq_u32_e32 vcc_lo, 0, v4
	v_cndmask_b32_e32 v4, v5, v68, vcc_lo
; %bb.94:
	s_or_b32 exec_lo, exec_lo, s4
	v_and_b32_e32 v5, 0x7f800000, v69
	s_delay_alu instid0(VALU_DEP_1) | instskip(SKIP_1) | instid1(SALU_CYCLE_1)
	v_cmp_ne_u32_e32 vcc_lo, 0x7f800000, v5
                                        ; implicit-def: $vgpr5
	s_and_saveexec_b32 s4, vcc_lo
	s_xor_b32 s4, exec_lo, s4
; %bb.95:
	v_bfe_u32 v5, v69, 16, 1
	s_delay_alu instid0(VALU_DEP_1)
	v_add3_u32 v5, v69, v5, 0x7fff
; %bb.96:
	s_and_not1_saveexec_b32 s4, s4
; %bb.97:
	v_and_b32_e32 v5, 0xffff, v69
	v_or_b32_e32 v6, 0x10000, v69
	s_delay_alu instid0(VALU_DEP_2) | instskip(NEXT) | instid1(VALU_DEP_2)
	v_cmp_eq_u32_e32 vcc_lo, 0, v5
	v_cndmask_b32_e32 v5, v6, v69, vcc_lo
; %bb.98:
	s_or_b32 exec_lo, exec_lo, s4
	v_and_b32_e32 v6, 0x7f800000, v70
	s_delay_alu instid0(VALU_DEP_1) | instskip(SKIP_1) | instid1(SALU_CYCLE_1)
	v_cmp_ne_u32_e32 vcc_lo, 0x7f800000, v6
                                        ; implicit-def: $vgpr6
	s_and_saveexec_b32 s4, vcc_lo
	s_xor_b32 s4, exec_lo, s4
; %bb.99:
	v_bfe_u32 v6, v70, 16, 1
	s_delay_alu instid0(VALU_DEP_1)
	v_add3_u32 v6, v70, v6, 0x7fff
; %bb.100:
	s_and_not1_saveexec_b32 s4, s4
; %bb.101:
	v_and_b32_e32 v6, 0xffff, v70
	v_or_b32_e32 v7, 0x10000, v70
	s_delay_alu instid0(VALU_DEP_2) | instskip(NEXT) | instid1(VALU_DEP_2)
	v_cmp_eq_u32_e32 vcc_lo, 0, v6
	v_cndmask_b32_e32 v6, v7, v70, vcc_lo
; %bb.102:
	s_or_b32 exec_lo, exec_lo, s4
	v_and_b32_e32 v7, 0x7f800000, v71
	s_delay_alu instid0(VALU_DEP_1) | instskip(SKIP_1) | instid1(SALU_CYCLE_1)
	v_cmp_ne_u32_e32 vcc_lo, 0x7f800000, v7
                                        ; implicit-def: $vgpr7
	s_and_saveexec_b32 s4, vcc_lo
	s_xor_b32 s4, exec_lo, s4
; %bb.103:
	v_bfe_u32 v7, v71, 16, 1
	s_delay_alu instid0(VALU_DEP_1)
	v_add3_u32 v7, v71, v7, 0x7fff
; %bb.104:
	s_and_not1_saveexec_b32 s4, s4
; %bb.105:
	v_and_b32_e32 v7, 0xffff, v71
	v_or_b32_e32 v8, 0x10000, v71
	s_delay_alu instid0(VALU_DEP_2) | instskip(NEXT) | instid1(VALU_DEP_2)
	v_cmp_eq_u32_e32 vcc_lo, 0, v7
	v_cndmask_b32_e32 v7, v8, v71, vcc_lo
; %bb.106:
	s_or_b32 exec_lo, exec_lo, s4
	v_and_b32_e32 v8, 0x7f800000, v72
	s_delay_alu instid0(VALU_DEP_1) | instskip(SKIP_1) | instid1(SALU_CYCLE_1)
	v_cmp_ne_u32_e32 vcc_lo, 0x7f800000, v8
                                        ; implicit-def: $vgpr8
	s_and_saveexec_b32 s4, vcc_lo
	s_xor_b32 s4, exec_lo, s4
; %bb.107:
	v_bfe_u32 v8, v72, 16, 1
	s_delay_alu instid0(VALU_DEP_1)
	v_add3_u32 v8, v72, v8, 0x7fff
                                        ; implicit-def: $vgpr65_vgpr66_vgpr67_vgpr68_vgpr69_vgpr70_vgpr71_vgpr72
; %bb.108:
	s_and_not1_saveexec_b32 s4, s4
; %bb.109:
	v_and_b32_e32 v8, 0xffff, v72
	v_or_b32_e32 v9, 0x10000, v72
	s_delay_alu instid0(VALU_DEP_2) | instskip(NEXT) | instid1(VALU_DEP_2)
	v_cmp_eq_u32_e32 vcc_lo, 0, v8
	v_cndmask_b32_e32 v8, v9, v72, vcc_lo
; %bb.110:
	s_or_b32 exec_lo, exec_lo, s4
	s_delay_alu instid0(VALU_DEP_1)
	v_perm_b32 v7, v8, v7, 0x7060302
	v_perm_b32 v6, v6, v5, 0x7060302
	v_perm_b32 v5, v4, v3, 0x7060302
	v_perm_b32 v4, v2, v1, 0x7060302
	s_barrier
	buffer_gl0_inv
	v_cmp_eq_u32_e32 vcc_lo, 1, v78
	ds_store_b128 v76, v[4:7]
	s_waitcnt lgkmcnt(0)
	s_barrier
	buffer_gl0_inv
	ds_load_b128 v[1:4], v82
	ds_load_b128 v[5:8], v82 offset:16
	v_cmp_eq_u32_e64 s4, 1, v79
	v_cmp_eq_u32_e64 s5, 2, v78
	;; [unrolled: 1-line block ×5, first 2 shown]
	s_waitcnt lgkmcnt(1)
	v_lshrrev_b32_e32 v9, 16, v1
	s_waitcnt lgkmcnt(0)
	v_lshrrev_b32_e32 v13, 16, v5
	v_lshrrev_b32_e32 v10, 16, v2
	;; [unrolled: 1-line block ×4, first 2 shown]
	v_cndmask_b32_e64 v19, v1, v9, s4
	v_cndmask_b32_e32 v18, v5, v13, vcc_lo
	v_cndmask_b32_e64 v20, v5, v13, s4
	v_cndmask_b32_e32 v17, v1, v9, vcc_lo
	v_cmp_eq_u32_e32 vcc_lo, 2, v79
	v_lshrrev_b32_e32 v15, 16, v7
	v_cmp_eq_u32_e64 s4, 1, v77
	v_lshrrev_b32_e32 v12, 16, v4
	v_lshrrev_b32_e32 v16, 16, v8
	v_cndmask_b32_e32 v20, v20, v6, vcc_lo
	v_cndmask_b32_e64 v17, v17, v2, s5
	v_cndmask_b32_e32 v19, v19, v2, vcc_lo
	v_cndmask_b32_e64 v18, v18, v6, s5
	v_cmp_eq_u32_e32 vcc_lo, 4, v78
	v_cmp_eq_u32_e64 s5, 3, v79
	v_cndmask_b32_e64 v17, v17, v10, s6
	v_cndmask_b32_e64 v21, v1, v9, s4
	;; [unrolled: 1-line block ×5, first 2 shown]
	v_cndmask_b32_e32 v17, v17, v3, vcc_lo
	v_cndmask_b32_e64 v20, v20, v14, s5
	v_cndmask_b32_e32 v18, v18, v7, vcc_lo
	v_cmp_eq_u32_e32 vcc_lo, 4, v79
	v_cmp_eq_u32_e64 s5, 5, v79
	v_cmp_eq_u32_e64 s4, 2, v81
	v_cndmask_b32_e64 v21, v21, v2, s8
	v_cmp_eq_u32_e64 s6, 5, v78
	v_cndmask_b32_e32 v19, v19, v3, vcc_lo
	v_cndmask_b32_e32 v20, v20, v7, vcc_lo
	v_cmp_eq_u32_e32 vcc_lo, 6, v79
	s_delay_alu instid0(VALU_DEP_4) | instskip(NEXT) | instid1(VALU_DEP_4)
	v_cndmask_b32_e64 v17, v17, v11, s6
	v_cndmask_b32_e64 v19, v19, v11, s5
	s_delay_alu instid0(VALU_DEP_4) | instskip(SKIP_1) | instid1(VALU_DEP_3)
	v_cndmask_b32_e64 v20, v20, v15, s5
	v_cmp_eq_u32_e64 s5, 1, v81
	v_cndmask_b32_e32 v19, v19, v4, vcc_lo
	v_cndmask_b32_e64 v18, v18, v15, s6
	s_delay_alu instid0(VALU_DEP_3)
	v_cndmask_b32_e64 v1, v1, v9, s5
	v_cndmask_b32_e64 v5, v5, v13, s5
	v_cmp_eq_u32_e64 s5, 3, v77
	v_cndmask_b32_e64 v13, v22, v6, s8
	v_cmp_eq_u32_e64 s8, 3, v81
	v_cndmask_b32_e64 v1, v1, v2, s4
	v_cndmask_b32_e64 v2, v5, v6, s4
	v_cndmask_b32_e64 v9, v21, v10, s5
	v_cmp_eq_u32_e64 s4, 4, v77
	v_cndmask_b32_e64 v6, v13, v14, s5
	v_cndmask_b32_e64 v1, v1, v10, s8
	v_cmp_eq_u32_e64 s5, 4, v81
	v_cndmask_b32_e64 v2, v2, v14, s8
	v_cndmask_b32_e64 v5, v9, v3, s4
	;; [unrolled: 3-line block ×3, first 2 shown]
	v_cndmask_b32_e64 v2, v2, v7, s5
	v_cmp_eq_u32_e64 s4, 5, v81
	v_cmp_eq_u32_e64 s6, 6, v78
	v_cndmask_b32_e64 v5, v5, v11, s8
	v_cmp_eq_u32_e64 s5, 6, v77
	v_cndmask_b32_e64 v3, v6, v15, s8
	v_cndmask_b32_e64 v1, v1, v11, s4
	v_cmp_eq_u32_e64 s8, 6, v81
	v_cndmask_b32_e64 v2, v2, v15, s4
	v_cndmask_b32_e64 v17, v17, v4, s6
	v_cndmask_b32_e64 v18, v18, v8, s6
	v_cmp_eq_u32_e64 s6, 7, v78
	v_cndmask_b32_e64 v5, v5, v4, s5
	;; [unrolled: 4-line block ×3, first 2 shown]
	v_cmp_eq_u32_e64 s5, 7, v77
	v_cndmask_b32_e32 v4, v20, v8, vcc_lo
	v_cndmask_b32_e64 v17, v17, v12, s6
	v_cndmask_b32_e64 v19, v19, v12, s7
	;; [unrolled: 1-line block ×8, first 2 shown]
	v_cmp_gt_u32_e32 vcc_lo, 32, v0
	v_perm_b32 v4, v2, v1, 0x5040100
	v_perm_b32 v3, v3, v5, 0x5040100
	;; [unrolled: 1-line block ×4, first 2 shown]
	s_and_b32 s2, vcc_lo, s2
	ds_store_b128 v76, v[1:4]
	s_waitcnt lgkmcnt(0)
	s_barrier
	buffer_gl0_inv
	s_and_saveexec_b32 s4, s2
	s_cbranch_execz .LBB1416_2
; %bb.111:
	s_load_b64 s[4:5], s[0:1], 0x68
	v_lshlrev_b32_e32 v0, 10, v0
	v_lshlrev_b32_e32 v1, 4, v75
	s_lshl_b32 s0, s36, 6
	v_add_nc_u32_e32 v7, s31, v74
	s_mul_i32 s1, s0, s34
	s_delay_alu instid0(SALU_CYCLE_1) | instskip(SKIP_1) | instid1(VALU_DEP_2)
	s_mul_i32 s6, s1, s9
	v_and_or_b32 v0, 0x3800, v0, v1
	v_mul_lo_u32 v1, v7, s0
	v_add_nc_u32_e32 v2, 2, v7
	s_ashr_i32 s7, s6, 31
	v_add_nc_u32_e32 v4, 4, v7
	s_lshl_b64 s[6:7], s[6:7], 1
	v_add_nc_u32_e32 v8, 6, v7
	v_mul_lo_u32 v3, v2, s0
	v_lshl_or_b32 v19, v74, 6, v0
	v_ashrrev_i32_e32 v2, 31, v1
	v_mul_lo_u32 v11, v4, s0
	v_mul_lo_u32 v25, v8, s0
	s_waitcnt lgkmcnt(0)
	s_add_u32 s1, s4, s6
	s_addc_u32 s2, s5, s7
	s_lshl_b32 s4, s14, 6
	v_lshlrev_b64 v[5:6], 1, v[1:2]
	s_ashr_i32 s5, s4, 31
	v_ashrrev_i32_e32 v4, 31, v3
	s_lshl_b64 s[4:5], s[4:5], 1
	v_ashrrev_i32_e32 v12, 31, v11
	s_add_u32 s1, s1, s4
	s_addc_u32 s2, s2, s5
	v_add_co_u32 v1, s1, s1, v73
	s_delay_alu instid0(VALU_DEP_1) | instskip(SKIP_1) | instid1(VALU_DEP_3)
	v_add_co_ci_u32_e64 v2, null, s2, 0, s1
	v_lshlrev_b64 v[3:4], 1, v[3:4]
	v_add_co_u32 v23, vcc_lo, v1, v5
	v_add_nc_u32_e32 v5, 8, v7
	s_delay_alu instid0(VALU_DEP_4) | instskip(NEXT) | instid1(VALU_DEP_4)
	v_add_co_ci_u32_e32 v24, vcc_lo, v2, v6, vcc_lo
	v_add_co_u32 v27, vcc_lo, v1, v3
	s_delay_alu instid0(VALU_DEP_3)
	v_mul_lo_u32 v29, v5, s0
	v_add_co_ci_u32_e32 v28, vcc_lo, v2, v4, vcc_lo
	ds_load_b128 v[3:6], v19
	ds_load_b128 v[7:10], v19 offset:128
	v_lshlrev_b64 v[31:32], 1, v[11:12]
	ds_load_b128 v[11:14], v19 offset:256
	ds_load_b128 v[15:18], v19 offset:384
	;; [unrolled: 1-line block ×3, first 2 shown]
	v_ashrrev_i32_e32 v26, 31, v25
	v_ashrrev_i32_e32 v30, 31, v29
	v_add_co_u32 v31, vcc_lo, v1, v31
	s_delay_alu instid0(VALU_DEP_3) | instskip(NEXT) | instid1(VALU_DEP_3)
	v_lshlrev_b64 v[25:26], 1, v[25:26]
	v_lshlrev_b64 v[29:30], 1, v[29:30]
	v_add_co_ci_u32_e32 v32, vcc_lo, v2, v32, vcc_lo
	s_delay_alu instid0(VALU_DEP_3) | instskip(NEXT) | instid1(VALU_DEP_4)
	v_add_co_u32 v25, vcc_lo, v1, v25
	v_add_co_ci_u32_e32 v26, vcc_lo, v2, v26, vcc_lo
	s_delay_alu instid0(VALU_DEP_4)
	v_add_co_u32 v29, vcc_lo, v1, v29
	v_add_co_ci_u32_e32 v30, vcc_lo, v2, v30, vcc_lo
	s_waitcnt lgkmcnt(4)
	global_store_b128 v[23:24], v[3:6], off
	s_waitcnt lgkmcnt(3)
	global_store_b128 v[27:28], v[7:10], off
	;; [unrolled: 2-line block ×5, first 2 shown]
	s_and_b32 exec_lo, exec_lo, s3
	s_cbranch_execz .LBB1416_2
; %bb.112:
	ds_load_b128 v[3:6], v0 offset:640
	s_add_i32 s1, s31, 10
	s_delay_alu instid0(SALU_CYCLE_1) | instskip(NEXT) | instid1(SALU_CYCLE_1)
	s_mul_i32 s0, s1, s0
	s_ashr_i32 s1, s0, 31
	s_delay_alu instid0(SALU_CYCLE_1) | instskip(NEXT) | instid1(SALU_CYCLE_1)
	s_lshl_b64 s[0:1], s[0:1], 1
	v_add_co_u32 v0, vcc_lo, v1, s0
	v_add_co_ci_u32_e32 v1, vcc_lo, s1, v2, vcc_lo
	s_waitcnt lgkmcnt(0)
	global_store_b128 v[0:1], v[3:6], off
	s_nop 0
	s_sendmsg sendmsg(MSG_DEALLOC_VGPRS)
	s_endpgm
	.section	.rodata,"a",@progbits
	.p2align	6, 0x0
	.amdhsa_kernel _Z39paged_attention_ll4mi_QKV_mfma16_kernelI14__hip_bfloat16hLN4vllm18Fp8KVCacheDataTypeE1ES0_Li16ELi64ELi256ELb0ELi11EL8MFMAType1EEvPKT_PKT0_S9_ifPKiSB_SB_iPKfiiiPfSE_PS4_PT2_iSD_SD_
		.amdhsa_group_segment_fixed_size 17472
		.amdhsa_private_segment_fixed_size 0
		.amdhsa_kernarg_size 400
		.amdhsa_user_sgpr_count 13
		.amdhsa_user_sgpr_dispatch_ptr 0
		.amdhsa_user_sgpr_queue_ptr 0
		.amdhsa_user_sgpr_kernarg_segment_ptr 1
		.amdhsa_user_sgpr_dispatch_id 0
		.amdhsa_user_sgpr_private_segment_size 0
		.amdhsa_wavefront_size32 1
		.amdhsa_uses_dynamic_stack 0
		.amdhsa_enable_private_segment 0
		.amdhsa_system_sgpr_workgroup_id_x 1
		.amdhsa_system_sgpr_workgroup_id_y 1
		.amdhsa_system_sgpr_workgroup_id_z 1
		.amdhsa_system_sgpr_workgroup_info 0
		.amdhsa_system_vgpr_workitem_id 0
		.amdhsa_next_free_vgpr 124
		.amdhsa_next_free_sgpr 40
		.amdhsa_reserve_vcc 1
		.amdhsa_float_round_mode_32 0
		.amdhsa_float_round_mode_16_64 0
		.amdhsa_float_denorm_mode_32 3
		.amdhsa_float_denorm_mode_16_64 3
		.amdhsa_dx10_clamp 1
		.amdhsa_ieee_mode 1
		.amdhsa_fp16_overflow 0
		.amdhsa_workgroup_processor_mode 1
		.amdhsa_memory_ordered 1
		.amdhsa_forward_progress 0
		.amdhsa_shared_vgpr_count 0
		.amdhsa_exception_fp_ieee_invalid_op 0
		.amdhsa_exception_fp_denorm_src 0
		.amdhsa_exception_fp_ieee_div_zero 0
		.amdhsa_exception_fp_ieee_overflow 0
		.amdhsa_exception_fp_ieee_underflow 0
		.amdhsa_exception_fp_ieee_inexact 0
		.amdhsa_exception_int_div_zero 0
	.end_amdhsa_kernel
	.section	.text._Z39paged_attention_ll4mi_QKV_mfma16_kernelI14__hip_bfloat16hLN4vllm18Fp8KVCacheDataTypeE1ES0_Li16ELi64ELi256ELb0ELi11EL8MFMAType1EEvPKT_PKT0_S9_ifPKiSB_SB_iPKfiiiPfSE_PS4_PT2_iSD_SD_,"axG",@progbits,_Z39paged_attention_ll4mi_QKV_mfma16_kernelI14__hip_bfloat16hLN4vllm18Fp8KVCacheDataTypeE1ES0_Li16ELi64ELi256ELb0ELi11EL8MFMAType1EEvPKT_PKT0_S9_ifPKiSB_SB_iPKfiiiPfSE_PS4_PT2_iSD_SD_,comdat
.Lfunc_end1416:
	.size	_Z39paged_attention_ll4mi_QKV_mfma16_kernelI14__hip_bfloat16hLN4vllm18Fp8KVCacheDataTypeE1ES0_Li16ELi64ELi256ELb0ELi11EL8MFMAType1EEvPKT_PKT0_S9_ifPKiSB_SB_iPKfiiiPfSE_PS4_PT2_iSD_SD_, .Lfunc_end1416-_Z39paged_attention_ll4mi_QKV_mfma16_kernelI14__hip_bfloat16hLN4vllm18Fp8KVCacheDataTypeE1ES0_Li16ELi64ELi256ELb0ELi11EL8MFMAType1EEvPKT_PKT0_S9_ifPKiSB_SB_iPKfiiiPfSE_PS4_PT2_iSD_SD_
                                        ; -- End function
	.section	.AMDGPU.csdata,"",@progbits
; Kernel info:
; codeLenInByte = 8856
; NumSgprs: 42
; NumVgprs: 124
; ScratchSize: 0
; MemoryBound: 0
; FloatMode: 240
; IeeeMode: 1
; LDSByteSize: 17472 bytes/workgroup (compile time only)
; SGPRBlocks: 5
; VGPRBlocks: 15
; NumSGPRsForWavesPerEU: 42
; NumVGPRsForWavesPerEU: 124
; Occupancy: 10
; WaveLimiterHint : 1
; COMPUTE_PGM_RSRC2:SCRATCH_EN: 0
; COMPUTE_PGM_RSRC2:USER_SGPR: 13
; COMPUTE_PGM_RSRC2:TRAP_HANDLER: 0
; COMPUTE_PGM_RSRC2:TGID_X_EN: 1
; COMPUTE_PGM_RSRC2:TGID_Y_EN: 1
; COMPUTE_PGM_RSRC2:TGID_Z_EN: 1
; COMPUTE_PGM_RSRC2:TIDIG_COMP_CNT: 0
	.section	.text._Z39paged_attention_ll4mi_QKV_mfma16_kernelI14__hip_bfloat16hLN4vllm18Fp8KVCacheDataTypeE1ES0_Li16ELi64ELi256ELb0ELi12EL8MFMAType1EEvPKT_PKT0_S9_ifPKiSB_SB_iPKfiiiPfSE_PS4_PT2_iSD_SD_,"axG",@progbits,_Z39paged_attention_ll4mi_QKV_mfma16_kernelI14__hip_bfloat16hLN4vllm18Fp8KVCacheDataTypeE1ES0_Li16ELi64ELi256ELb0ELi12EL8MFMAType1EEvPKT_PKT0_S9_ifPKiSB_SB_iPKfiiiPfSE_PS4_PT2_iSD_SD_,comdat
	.protected	_Z39paged_attention_ll4mi_QKV_mfma16_kernelI14__hip_bfloat16hLN4vllm18Fp8KVCacheDataTypeE1ES0_Li16ELi64ELi256ELb0ELi12EL8MFMAType1EEvPKT_PKT0_S9_ifPKiSB_SB_iPKfiiiPfSE_PS4_PT2_iSD_SD_ ; -- Begin function _Z39paged_attention_ll4mi_QKV_mfma16_kernelI14__hip_bfloat16hLN4vllm18Fp8KVCacheDataTypeE1ES0_Li16ELi64ELi256ELb0ELi12EL8MFMAType1EEvPKT_PKT0_S9_ifPKiSB_SB_iPKfiiiPfSE_PS4_PT2_iSD_SD_
	.globl	_Z39paged_attention_ll4mi_QKV_mfma16_kernelI14__hip_bfloat16hLN4vllm18Fp8KVCacheDataTypeE1ES0_Li16ELi64ELi256ELb0ELi12EL8MFMAType1EEvPKT_PKT0_S9_ifPKiSB_SB_iPKfiiiPfSE_PS4_PT2_iSD_SD_
	.p2align	8
	.type	_Z39paged_attention_ll4mi_QKV_mfma16_kernelI14__hip_bfloat16hLN4vllm18Fp8KVCacheDataTypeE1ES0_Li16ELi64ELi256ELb0ELi12EL8MFMAType1EEvPKT_PKT0_S9_ifPKiSB_SB_iPKfiiiPfSE_PS4_PT2_iSD_SD_,@function
_Z39paged_attention_ll4mi_QKV_mfma16_kernelI14__hip_bfloat16hLN4vllm18Fp8KVCacheDataTypeE1ES0_Li16ELi64ELi256ELb0ELi12EL8MFMAType1EEvPKT_PKT0_S9_ifPKiSB_SB_iPKfiiiPfSE_PS4_PT2_iSD_SD_: ; @_Z39paged_attention_ll4mi_QKV_mfma16_kernelI14__hip_bfloat16hLN4vllm18Fp8KVCacheDataTypeE1ES0_Li16ELi64ELi256ELb0ELi12EL8MFMAType1EEvPKT_PKT0_S9_ifPKiSB_SB_iPKfiiiPfSE_PS4_PT2_iSD_SD_
; %bb.0:
	s_load_b64 s[2:3], s[0:1], 0x30
	s_mov_b32 s30, s13
	s_waitcnt lgkmcnt(0)
	s_cmp_lg_u64 s[2:3], 0
	s_cselect_b32 s8, -1, 0
	s_ashr_i32 s31, s13, 31
	s_cmp_eq_u64 s[2:3], 0
	s_cbranch_scc1 .LBB1417_3
; %bb.1:
	s_lshl_b64 s[4:5], s[30:31], 2
	s_delay_alu instid0(SALU_CYCLE_1) | instskip(SKIP_4) | instid1(SALU_CYCLE_1)
	s_add_u32 s4, s2, s4
	s_addc_u32 s5, s3, s5
	s_load_b64 s[4:5], s[4:5], 0x0
	s_waitcnt lgkmcnt(0)
	s_sub_i32 s4, s5, s4
	s_cmp_eq_u32 s4, 1
	s_cselect_b32 s4, -1, 0
	s_delay_alu instid0(SALU_CYCLE_1)
	s_and_not1_b32 vcc_lo, exec_lo, s4
	s_cbranch_vccz .LBB1417_4
.LBB1417_2:
	s_endpgm
.LBB1417_3:
.LBB1417_4:
	s_load_b64 s[4:5], s[0:1], 0x28
	s_lshl_b64 s[6:7], s[30:31], 2
	s_waitcnt lgkmcnt(0)
	s_add_u32 s4, s4, s6
	s_addc_u32 s5, s5, s7
	s_lshl_b32 s12, s14, 8
	s_load_b32 s24, s[4:5], 0x0
	s_waitcnt lgkmcnt(0)
	s_cmp_ge_i32 s12, s24
	s_cbranch_scc1 .LBB1417_2
; %bb.5:
	s_clause 0x1
	s_load_b128 s[20:23], s[0:1], 0x8
	s_load_b64 s[4:5], s[0:1], 0x20
	s_and_not1_b32 vcc_lo, exec_lo, s8
	s_cbranch_vccnz .LBB1417_7
; %bb.6:
	s_add_u32 s2, s2, s6
	s_addc_u32 s3, s3, s7
	s_load_b32 s3, s[2:3], 0x0
	s_branch .LBB1417_8
.LBB1417_7:
	s_mov_b32 s3, s30
.LBB1417_8:
	s_load_b128 s[16:19], s[0:1], 0x48
	v_and_b32_e32 v65, 15, v0
	v_cmp_gt_u32_e32 vcc_lo, 0xc0, v0
	v_lshrrev_b32_e32 v66, 5, v0
	v_and_b32_e32 v67, 31, v0
	v_and_b32_e32 v75, 1, v0
	v_lshlrev_b32_e32 v1, 3, v65
	v_cmp_gt_u32_e64 s2, 8, v65
	v_bfe_u32 v74, v0, 4, 1
	s_mul_i32 s31, s15, 12
	s_delay_alu instid0(VALU_DEP_3) | instskip(NEXT) | instid1(VALU_DEP_3)
	v_lshlrev_b32_e32 v73, 1, v1
	s_and_b32 s7, vcc_lo, s2
	s_delay_alu instid0(SALU_CYCLE_1)
	s_and_saveexec_b32 s6, s7
	s_cbranch_execz .LBB1417_10
; %bb.9:
	s_load_b64 s[8:9], s[0:1], 0x0
	v_lshl_or_b32 v5, v66, 1, v74
	s_waitcnt lgkmcnt(0)
	s_mul_hi_i32 s11, s3, s16
	s_mul_i32 s10, s3, s16
	v_lshlrev_b32_e32 v6, 10, v65
	s_lshl_b64 s[10:11], s[10:11], 1
	v_add_lshl_u32 v1, v5, s31, 6
	v_lshlrev_b32_e32 v5, 6, v5
	v_lshlrev_b32_e32 v7, 10, v75
	v_and_b32_e32 v6, 0x3800, v6
	s_delay_alu instid0(VALU_DEP_4) | instskip(NEXT) | instid1(VALU_DEP_2)
	v_ashrrev_i32_e32 v2, 31, v1
	v_or3_b32 v5, v6, v7, v5
	s_delay_alu instid0(VALU_DEP_2) | instskip(SKIP_2) | instid1(VALU_DEP_1)
	v_lshlrev_b64 v[1:2], 1, v[1:2]
	s_add_u32 s3, s8, s10
	s_addc_u32 s7, s9, s11
	v_add_co_u32 v1, vcc_lo, s3, v1
	s_delay_alu instid0(VALU_DEP_2) | instskip(NEXT) | instid1(VALU_DEP_2)
	v_add_co_ci_u32_e32 v2, vcc_lo, s7, v2, vcc_lo
	v_add_co_u32 v1, vcc_lo, v1, v73
	s_delay_alu instid0(VALU_DEP_2)
	v_add_co_ci_u32_e32 v2, vcc_lo, 0, v2, vcc_lo
	global_load_b128 v[1:4], v[1:2], off
	s_waitcnt vmcnt(0)
	ds_store_b128 v5, v[1:4]
.LBB1417_10:
	s_or_b32 exec_lo, exec_lo, s6
	v_and_b32_e32 v1, 0xef, v0
	s_waitcnt lgkmcnt(0)
	s_add_i32 s3, s24, 15
	s_clause 0x1
	s_load_b32 s6, s[0:1], 0x38
	s_load_b32 s19, s[0:1], 0x1c
	s_ashr_i32 s7, s3, 31
	v_add_nc_u32_e32 v1, s12, v1
	s_lshr_b32 s7, s7, 28
	s_waitcnt lgkmcnt(0)
	s_add_i32 s3, s3, s7
	s_barrier
	v_ashrrev_i32_e32 v2, 31, v1
	v_or_b32_e32 v3, 16, v1
	s_ashr_i32 s3, s3, 4
	v_cmp_gt_i32_e32 vcc_lo, s24, v1
	s_add_i32 s3, s3, -1
	v_lshrrev_b32_e32 v2, 28, v2
	buffer_gl0_inv
	s_mul_i32 s27, s15, s18
	v_add_nc_u32_e32 v4, v1, v2
	s_mul_i32 s6, s30, s6
	s_delay_alu instid0(SALU_CYCLE_1) | instskip(NEXT) | instid1(VALU_DEP_1)
	s_ashr_i32 s7, s6, 31
	v_ashrrev_i32_e32 v4, 4, v4
	v_add_nc_u32_e32 v2, v3, v2
	s_lshl_b64 s[6:7], s[6:7], 2
	s_delay_alu instid0(SALU_CYCLE_1) | instskip(NEXT) | instid1(VALU_DEP_2)
	s_add_u32 s26, s4, s6
	v_cndmask_b32_e32 v1, s3, v4, vcc_lo
	s_delay_alu instid0(VALU_DEP_2)
	v_ashrrev_i32_e32 v2, 4, v2
	v_cmp_gt_i32_e32 vcc_lo, s24, v3
	s_addc_u32 s25, s5, s7
	s_ashr_i32 s28, s27, 31
	s_add_u32 s13, s20, s27
	s_addc_u32 s15, s21, s28
	v_cndmask_b32_e32 v3, s3, v2, vcc_lo
	v_ashrrev_i32_e32 v2, 31, v1
	s_lshl_b32 s4, s14, 4
	s_delay_alu instid0(SALU_CYCLE_1) | instskip(NEXT) | instid1(VALU_DEP_2)
	s_ashr_i32 s5, s4, 31
	v_ashrrev_i32_e32 v4, 31, v3
	s_delay_alu instid0(VALU_DEP_2) | instskip(SKIP_1) | instid1(SALU_CYCLE_1)
	v_lshlrev_b64 v[1:2], 2, v[1:2]
	s_lshl_b64 s[4:5], s[4:5], 2
	s_add_u32 s4, s26, s4
	s_delay_alu instid0(VALU_DEP_2) | instskip(SKIP_1) | instid1(VALU_DEP_2)
	v_lshlrev_b64 v[3:4], 2, v[3:4]
	s_addc_u32 s5, s25, s5
	v_add_co_u32 v1, vcc_lo, s26, v1
	v_add_co_ci_u32_e32 v2, vcc_lo, s25, v2, vcc_lo
	s_delay_alu instid0(VALU_DEP_3) | instskip(NEXT) | instid1(VALU_DEP_4)
	v_add_co_u32 v3, vcc_lo, s26, v3
	v_add_co_ci_u32_e32 v4, vcc_lo, s25, v4, vcc_lo
	s_clause 0x1
	global_load_b32 v5, v[1:2], off
	global_load_b32 v7, v[3:4], off
	s_or_b32 s6, s12, 32
	v_lshlrev_b32_e32 v1, 4, v0
	s_ashr_i32 s7, s6, 4
	s_cmp_lt_i32 s6, s24
	v_cmp_gt_u32_e32 vcc_lo, 12, v65
	s_cselect_b32 s6, s7, s3
	v_and_b32_e32 v1, 0xf0, v1
	s_ashr_i32 s7, s6, 31
	s_delay_alu instid0(SALU_CYCLE_1) | instskip(NEXT) | instid1(SALU_CYCLE_1)
	s_lshl_b64 s[6:7], s[6:7], 2
	s_add_u32 s6, s26, s6
	s_addc_u32 s7, s25, s7
	s_or_b32 s8, s12, 64
	v_add_co_u32 v1, s13, s13, v1
	s_ashr_i32 s9, s8, 4
	s_cmp_lt_i32 s8, s24
	v_add_co_ci_u32_e64 v2, null, s15, 0, s13
	s_cselect_b32 s8, s9, s3
	s_delay_alu instid0(SALU_CYCLE_1) | instskip(NEXT) | instid1(SALU_CYCLE_1)
	s_ashr_i32 s9, s8, 31
	s_lshl_b64 s[8:9], s[8:9], 2
	s_delay_alu instid0(SALU_CYCLE_1) | instskip(SKIP_2) | instid1(SALU_CYCLE_1)
	s_add_u32 s8, s26, s8
	s_addc_u32 s9, s25, s9
	s_or_b32 s10, s12, 0x60
	s_ashr_i32 s11, s10, 4
	s_cmp_lt_i32 s10, s24
	s_cselect_b32 s10, s11, s3
	s_delay_alu instid0(SALU_CYCLE_1) | instskip(NEXT) | instid1(SALU_CYCLE_1)
	s_ashr_i32 s11, s10, 31
	s_lshl_b64 s[10:11], s[10:11], 2
	s_delay_alu instid0(SALU_CYCLE_1) | instskip(SKIP_2) | instid1(SALU_CYCLE_1)
	s_add_u32 s10, s26, s10
	s_addc_u32 s11, s25, s11
	s_or_b32 s16, s12, 0x80
	s_ashr_i32 s18, s16, 4
	s_cmp_lt_i32 s16, s24
	;; [unrolled: 10-line block ×3, first 2 shown]
	s_cselect_b32 s20, s18, s3
	s_delay_alu instid0(SALU_CYCLE_1) | instskip(NEXT) | instid1(SALU_CYCLE_1)
	s_ashr_i32 s21, s20, 31
	s_lshl_b64 s[20:21], s[20:21], 2
	s_delay_alu instid0(SALU_CYCLE_1)
	s_add_u32 s36, s26, s20
	s_addc_u32 s37, s25, s21
	s_clause 0x5
	s_load_b32 s21, s[4:5], 0x0
	s_load_b32 s13, s[6:7], 0x0
	;; [unrolled: 1-line block ×6, first 2 shown]
	s_or_b32 s8, s12, 0xc0
	s_mov_b32 s4, 0
	s_ashr_i32 s9, s8, 4
	s_cmp_lt_i32 s8, s24
	s_mov_b32 s11, s4
	s_cselect_b32 s34, s9, s3
	s_mov_b32 s5, s4
	s_ashr_i32 s35, s34, 31
	s_mov_b32 s6, s4
	s_lshl_b64 s[34:35], s[34:35], 2
	s_mov_b32 s7, s4
	s_add_u32 s34, s26, s34
	s_addc_u32 s35, s25, s35
	s_or_b32 s29, s12, 0xe0
	s_mov_b32 s8, s4
	s_ashr_i32 s33, s29, 4
	s_mov_b32 s9, s4
	s_mov_b32 s10, s4
	s_cmp_lt_i32 s29, s24
	v_dual_mov_b32 v107, s11 :: v_dual_mov_b32 v100, s4
	v_mov_b32_e32 v106, s10
	v_dual_mov_b32 v104, s8 :: v_dual_mov_b32 v103, s7
	v_dual_mov_b32 v102, s6 :: v_dual_mov_b32 v101, s5
	s_waitcnt vmcnt(1)
	v_mad_i64_i32 v[3:4], null, v5, s17, v[1:2]
	s_waitcnt vmcnt(0)
	v_mad_i64_i32 v[5:6], null, v7, s17, v[1:2]
	v_add_nc_u32_e32 v1, -12, v65
	v_lshlrev_b32_e32 v2, 4, v65
	s_clause 0x7
	global_load_b128 v[49:52], v[3:4], off
	global_load_b128 v[53:56], v[3:4], off offset:256
	global_load_b128 v[76:79], v[5:6], off
	global_load_b128 v[80:83], v[5:6], off offset:256
	global_load_b128 v[84:87], v[3:4], off offset:512
	;; [unrolled: 1-line block ×5, first 2 shown]
	v_cndmask_b32_e32 v1, v1, v65, vcc_lo
	v_mov_b32_e32 v105, s9
	s_cselect_b32 s4, s33, s3
	v_lshl_or_b32 v2, v66, 8, v2
	s_ashr_i32 s5, s4, 31
	v_lshlrev_b32_e32 v70, 6, v1
	s_lshl_b64 s[4:5], s[4:5], 2
	s_load_b32 s3, s[34:35], 0x0
	s_add_u32 s4, s26, s4
	s_addc_u32 s5, s25, s5
	ds_load_b128 v[108:111], v70
	ds_load_b128 v[112:115], v70 offset:1024
	s_load_b32 s4, s[4:5], 0x0
	s_add_u32 s6, s22, s27
	s_addc_u32 s7, s23, s28
	v_add_co_u32 v9, s6, s6, v2
	s_delay_alu instid0(VALU_DEP_1) | instskip(SKIP_1) | instid1(VALU_DEP_1)
	v_add_co_ci_u32_e64 v10, null, s7, 0, s6
	s_waitcnt lgkmcnt(0)
	v_mad_i64_i32 v[1:2], null, s21, s17, v[9:10]
	v_mad_i64_i32 v[3:4], null, s13, s17, v[9:10]
	;; [unrolled: 1-line block ×7, first 2 shown]
	s_clause 0x9
	global_load_b128 v[57:60], v[1:2], off
	global_load_b128 v[61:64], v[1:2], off offset:16
	global_load_b128 v[41:44], v[3:4], off
	global_load_b128 v[45:48], v[3:4], off offset:16
	;; [unrolled: 2-line block ×5, first 2 shown]
	v_mad_i64_i32 v[68:69], null, s4, s17, v[9:10]
	s_clause 0x3
	global_load_b128 v[9:12], v[13:14], off
	global_load_b128 v[13:16], v[13:14], off offset:16
	global_load_b128 v[17:20], v[21:22], off
	global_load_b128 v[21:24], v[21:22], off offset:16
	s_waitcnt vmcnt(20)
	v_wmma_f32_16x16x16_bf16 v[116:123], v[49:56], v[108:115], v[100:107]
	s_clause 0x1
	global_load_b128 v[49:52], v[68:69], off
	global_load_b128 v[53:56], v[68:69], off offset:16
	v_and_b32_e32 v68, 0xe0, v0
	v_mbcnt_lo_u32_b32 v69, -1, 0
	s_delay_alu instid0(VALU_DEP_2)
	v_add_nc_u32_e32 v68, s12, v68
	s_waitcnt vmcnt(20)
	v_wmma_f32_16x16x16_bf16 v[100:107], v[76:83], v[108:115], v[100:107]
	ds_load_b128 v[76:79], v70 offset:2048
	ds_load_b128 v[80:83], v70 offset:3072
	v_xor_b32_e32 v70, 16, v69
	s_waitcnt vmcnt(0) lgkmcnt(0)
	v_or_b32_e32 v68, v68, v74
	s_barrier
	buffer_gl0_inv
	v_cmp_gt_i32_e32 vcc_lo, 32, v70
	v_or_b32_e32 v71, 4, v68
	v_or_b32_e32 v72, 6, v68
	v_cmp_gt_i32_e64 s3, s24, v68
	v_or_b32_e32 v108, 8, v68
	v_or_b32_e32 v109, 10, v68
	v_cmp_gt_i32_e64 s4, s24, v71
	v_cmp_gt_i32_e64 s5, s24, v72
	s_delay_alu instid0(VALU_DEP_4) | instskip(NEXT) | instid1(VALU_DEP_4)
	v_cmp_gt_i32_e64 s6, s24, v108
	v_cmp_gt_i32_e64 s7, s24, v109
	v_wmma_f32_16x16x16_bf16 v[116:123], v[84:91], v[76:83], v[116:123]
	v_cndmask_b32_e32 v69, v69, v70, vcc_lo
	v_or_b32_e32 v70, 2, v68
	v_wmma_f32_16x16x16_bf16 v[100:107], v[92:99], v[76:83], v[100:107]
	v_or_b32_e32 v89, 22, v68
	v_dual_mul_f32 v82, s19, v119 :: v_dual_mul_f32 v79, s19, v122
	v_dual_mul_f32 v92, s19, v117 :: v_dual_mul_f32 v93, s19, v116
	s_delay_alu instid0(VALU_DEP_4) | instskip(SKIP_2) | instid1(VALU_DEP_4)
	v_mul_f32_e32 v98, s19, v103
	v_cmp_gt_i32_e32 vcc_lo, s24, v70
	v_dual_mul_f32 v83, s19, v118 :: v_dual_mul_f32 v96, s19, v105
	v_cndmask_b32_e64 v93, 0xff7fffff, v93, s3
	v_or_b32_e32 v84, 12, v68
	v_cndmask_b32_e32 v92, 0xff7fffff, v92, vcc_lo
	v_or_b32_e32 v85, 14, v68
	v_dual_mul_f32 v80, s19, v121 :: v_dual_mul_f32 v81, s19, v120
	v_mul_f32_e32 v94, s19, v107
	v_cndmask_b32_e64 v71, 0xff7fffff, v83, s4
	v_cndmask_b32_e64 v72, 0xff7fffff, v82, s5
	v_cmp_gt_i32_e64 s13, s24, v89
	v_lshlrev_b32_e32 v89, 2, v69
	v_max3_f32 v82, v93, 0xff7fffff, v92
	v_or_b32_e32 v86, 16, v68
	v_or_b32_e32 v87, 18, v68
	v_mul_f32_e32 v78, s19, v123
	v_cndmask_b32_e64 v81, 0xff7fffff, v81, s6
	v_cndmask_b32_e64 v80, 0xff7fffff, v80, s7
	v_max3_f32 v71, v82, v71, v72
	v_cmp_gt_i32_e64 s8, s24, v84
	v_cmp_gt_i32_e64 s9, s24, v85
	v_or_b32_e32 v88, 20, v68
	v_or_b32_e32 v90, 24, v68
	;; [unrolled: 1-line block ×5, first 2 shown]
	v_dual_mul_f32 v95, s19, v106 :: v_dual_mul_f32 v70, s19, v101
	v_dual_mul_f32 v99, s19, v102 :: v_dual_mul_f32 v68, s19, v100
	v_cndmask_b32_e64 v72, 0xff7fffff, v79, s8
	v_cndmask_b32_e64 v78, 0xff7fffff, v78, s9
	v_max3_f32 v71, v71, v81, v80
	v_cmp_gt_i32_e64 s10, s24, v86
	v_cmp_gt_i32_e64 s11, s24, v87
	;; [unrolled: 1-line block ×3, first 2 shown]
	v_mul_f32_e32 v97, s19, v104
	v_max3_f32 v71, v71, v72, v78
	v_cndmask_b32_e64 v68, 0xff7fffff, v68, s10
	v_cndmask_b32_e64 v70, 0xff7fffff, v70, s11
	v_cndmask_b32_e64 v72, 0xff7fffff, v99, s12
	v_cndmask_b32_e64 v78, 0xff7fffff, v98, s13
	v_cmp_gt_i32_e64 s15, s24, v90
	v_cmp_gt_i32_e64 s16, s24, v91
	v_max3_f32 v68, v71, v68, v70
	v_cmp_gt_i32_e64 s17, s24, v76
	v_cmp_gt_i32_e64 s18, s24, v77
	v_cndmask_b32_e64 v70, 0xff7fffff, v97, s15
	v_cndmask_b32_e64 v71, 0xff7fffff, v96, s16
	v_max3_f32 v68, v68, v72, v78
	v_cndmask_b32_e64 v72, 0xff7fffff, v95, s17
	v_cndmask_b32_e64 v76, 0xff7fffff, v94, s18
	s_delay_alu instid0(VALU_DEP_3) | instskip(NEXT) | instid1(VALU_DEP_1)
	v_max3_f32 v68, v68, v70, v71
	v_max3_f32 v68, v68, v72, v76
	ds_bpermute_b32 v69, v89, v68
	s_waitcnt lgkmcnt(0)
	v_max_f32_e32 v69, v69, v69
	s_delay_alu instid0(VALU_DEP_1) | instskip(NEXT) | instid1(VALU_DEP_1)
	v_max_f32_e32 v68, v68, v69
	v_fma_f32 v69, s19, v116, -v68
	v_fma_f32 v70, s19, v117, -v68
	;; [unrolled: 1-line block ×5, first 2 shown]
	s_delay_alu instid0(VALU_DEP_4) | instskip(NEXT) | instid1(VALU_DEP_4)
	v_dual_mul_f32 v69, 0x3fb8aa3b, v69 :: v_dual_mul_f32 v70, 0x3fb8aa3b, v70
	v_mul_f32_e32 v72, 0x3fb8aa3b, v72
	v_fma_f32 v78, s19, v122, -v68
	s_delay_alu instid0(VALU_DEP_4) | instskip(NEXT) | instid1(VALU_DEP_4)
	v_mul_f32_e32 v77, 0x3fb8aa3b, v76
	v_exp_f32_e32 v69, v69
	v_exp_f32_e32 v70, v70
	v_mul_f32_e32 v71, 0x3fb8aa3b, v71
	v_exp_f32_e32 v72, v72
	v_mul_f32_e32 v78, 0x3fb8aa3b, v78
	v_exp_f32_e32 v77, v77
	v_fma_f32 v81, s19, v105, -v68
	s_delay_alu instid0(VALU_DEP_2)
	v_exp_f32_e32 v78, v78
	v_cndmask_b32_e64 v80, 0, v69, s3
	v_cndmask_b32_e32 v76, 0, v70, vcc_lo
	v_exp_f32_e32 v71, v71
	v_fma_f32 v69, s19, v121, -v68
	v_cndmask_b32_e64 v85, 0, v72, s5
	v_add_f32_e32 v70, 0, v80
	s_delay_alu instid0(TRANS32_DEP_3)
	v_cndmask_b32_e64 v86, 0, v77, s6
	v_fma_f32 v77, s19, v101, -v68
	v_mul_f32_e32 v69, 0x3fb8aa3b, v69
	v_fma_f32 v72, s19, v100, -v68
	v_cndmask_b32_e64 v84, 0, v78, s8
	v_fma_f32 v78, s19, v103, -v68
	v_cndmask_b32_e64 v83, 0, v71, s4
	v_fma_f32 v71, s19, v123, -v68
	v_add_f32_e32 v70, v70, v76
	v_exp_f32_e32 v69, v69
	v_mul_f32_e32 v77, 0x3fb8aa3b, v77
	v_mul_f32_e32 v81, 0x3fb8aa3b, v81
	;; [unrolled: 1-line block ×3, first 2 shown]
	v_add_f32_e32 v70, v70, v83
	s_mov_b32 s3, exec_lo
	v_exp_f32_e32 v77, v77
	v_exp_f32_e32 v81, v81
	;; [unrolled: 1-line block ×3, first 2 shown]
	v_cndmask_b32_e64 v87, 0, v69, s7
	v_add_f32_e32 v70, v70, v85
	s_delay_alu instid0(VALU_DEP_1) | instskip(SKIP_1) | instid1(VALU_DEP_2)
	v_dual_mul_f32 v72, 0x3fb8aa3b, v72 :: v_dual_add_f32 v69, v70, v86
	v_fma_f32 v70, s19, v102, -v68
	v_exp_f32_e32 v72, v72
	s_waitcnt_depctr 0xfff
	v_cndmask_b32_e64 v88, 0, v71, s9
	v_fma_f32 v71, s19, v104, -v68
	v_dual_add_f32 v69, v69, v87 :: v_dual_mul_f32 v70, 0x3fb8aa3b, v70
	s_delay_alu instid0(VALU_DEP_2) | instskip(NEXT) | instid1(VALU_DEP_2)
	v_dual_mul_f32 v78, 0x3fb8aa3b, v78 :: v_dual_mul_f32 v71, 0x3fb8aa3b, v71
	v_add_f32_e32 v69, v69, v84
	s_delay_alu instid0(VALU_DEP_3) | instskip(SKIP_1) | instid1(VALU_DEP_3)
	v_exp_f32_e32 v79, v70
	v_cndmask_b32_e64 v70, 0, v72, s10
	v_exp_f32_e32 v78, v78
	v_exp_f32_e32 v82, v71
	v_add_f32_e32 v72, v69, v88
	v_cndmask_b32_e64 v69, 0, v77, s11
	v_fma_f32 v77, s19, v106, -v68
	s_delay_alu instid0(VALU_DEP_3) | instskip(NEXT) | instid1(TRANS32_DEP_3)
	v_add_f32_e32 v72, v72, v70
	v_cndmask_b32_e64 v71, 0, v79, s12
	s_delay_alu instid0(VALU_DEP_3) | instskip(NEXT) | instid1(VALU_DEP_3)
	v_mul_f32_e32 v77, 0x3fb8aa3b, v77
	v_add_f32_e32 v79, v72, v69
	s_delay_alu instid0(TRANS32_DEP_2) | instskip(NEXT) | instid1(VALU_DEP_3)
	v_cndmask_b32_e64 v72, 0, v78, s13
	v_exp_f32_e32 v90, v77
	v_cndmask_b32_e64 v77, 0, v82, s15
	s_delay_alu instid0(VALU_DEP_3) | instskip(SKIP_1) | instid1(VALU_DEP_1)
	v_add_f32_e32 v78, v79, v71
	v_fma_f32 v79, s19, v107, -v68
	v_dual_add_f32 v82, v78, v72 :: v_dual_mul_f32 v79, 0x3fb8aa3b, v79
	v_cndmask_b32_e64 v78, 0, v81, s16
	s_delay_alu instid0(VALU_DEP_2) | instskip(NEXT) | instid1(VALU_DEP_3)
	v_add_f32_e32 v81, v82, v77
	v_exp_f32_e32 v82, v79
	s_delay_alu instid0(TRANS32_DEP_2) | instskip(NEXT) | instid1(VALU_DEP_2)
	v_cndmask_b32_e64 v79, 0, v90, s17
	v_add_f32_e32 v81, v81, v78
	s_delay_alu instid0(VALU_DEP_1) | instskip(SKIP_2) | instid1(VALU_DEP_1)
	v_add_f32_e32 v90, v81, v79
	s_waitcnt_depctr 0xfff
	v_cndmask_b32_e64 v81, 0, v82, s18
	v_add_f32_e32 v82, v90, v81
	ds_bpermute_b32 v89, v89, v82
	v_cmpx_gt_u32_e32 16, v67
	s_cbranch_execz .LBB1417_12
; %bb.11:
	v_mul_u32_u24_e32 v67, 0x44, v66
	s_delay_alu instid0(VALU_DEP_1) | instskip(SKIP_1) | instid1(VALU_DEP_1)
	v_lshl_add_u32 v67, v65, 2, v67
	s_waitcnt lgkmcnt(0)
	v_dual_add_f32 v82, v82, v89 :: v_dual_add_nc_u32 v67, 0x4000, v67
	ds_store_2addr_b32 v67, v68, v82 offset1:136
.LBB1417_12:
	s_or_b32 exec_lo, exec_lo, s3
	v_lshlrev_b32_e32 v67, 2, v65
	s_waitcnt lgkmcnt(0)
	s_barrier
	buffer_gl0_inv
	v_cmp_eq_u32_e32 vcc_lo, 1, v66
	v_add_nc_u32_e32 v82, 0x4000, v67
	v_cmp_eq_u32_e64 s3, 2, v66
	v_cmp_eq_u32_e64 s5, 7, v66
	ds_load_2addr_b32 v[89:90], v82 offset1:17
	ds_load_2addr_b32 v[91:92], v82 offset0:34 offset1:51
	ds_load_2addr_b32 v[93:94], v82 offset0:68 offset1:85
	ds_load_2addr_b32 v[95:96], v82 offset0:102 offset1:119
	ds_load_2addr_b32 v[97:98], v82 offset0:136 offset1:153
	s_waitcnt lgkmcnt(4)
	v_max3_f32 v67, v89, 0xff7fffff, v90
	s_waitcnt lgkmcnt(3)
	s_delay_alu instid0(VALU_DEP_1) | instskip(SKIP_1) | instid1(VALU_DEP_1)
	v_max3_f32 v67, v67, v91, v92
	s_waitcnt lgkmcnt(2)
	v_max3_f32 v67, v67, v93, v94
	s_waitcnt lgkmcnt(1)
	s_delay_alu instid0(VALU_DEP_1) | instskip(NEXT) | instid1(VALU_DEP_1)
	v_max3_f32 v67, v67, v95, v96
	v_sub_f32_e32 v93, v93, v67
	s_delay_alu instid0(VALU_DEP_1) | instskip(NEXT) | instid1(VALU_DEP_1)
	v_dual_sub_f32 v68, v89, v67 :: v_dual_mul_f32 v103, 0x3fb8aa3b, v93
	v_mul_f32_e32 v68, 0x3fb8aa3b, v68
	s_delay_alu instid0(VALU_DEP_1)
	v_exp_f32_e32 v100, v68
	v_sub_f32_e32 v68, v92, v67
	v_sub_f32_e32 v99, v90, v67
	ds_load_2addr_b32 v[89:90], v82 offset0:170 offset1:187
	v_dual_mul_f32 v102, 0x3fb8aa3b, v68 :: v_dual_mul_f32 v99, 0x3fb8aa3b, v99
	s_waitcnt lgkmcnt(1)
	v_fma_f32 v68, v100, v97, 0
	s_delay_alu instid0(VALU_DEP_2) | instskip(NEXT) | instid1(VALU_DEP_2)
	v_exp_f32_e32 v102, v102
	v_exp_f32_e32 v99, v99
	s_waitcnt_depctr 0xfff
	v_fmac_f32_e32 v68, v99, v98
	v_sub_f32_e32 v91, v91, v67
	s_delay_alu instid0(VALU_DEP_1)
	v_mul_f32_e32 v101, 0x3fb8aa3b, v91
	ds_load_2addr_b32 v[91:92], v82 offset0:204 offset1:221
	v_sub_f32_e32 v97, v94, v67
	ds_load_2addr_b32 v[93:94], v82 offset0:238 offset1:255
	s_waitcnt lgkmcnt(0)
	v_exp_f32_e32 v101, v101
	s_barrier
	buffer_gl0_inv
	v_dual_fmac_f32 v68, v101, v89 :: v_dual_sub_f32 v89, v96, v67
	v_dual_sub_f32 v82, v95, v67 :: v_dual_mul_f32 v95, 0x3fb8aa3b, v97
	v_exp_f32_e32 v97, v103
	s_delay_alu instid0(VALU_DEP_2) | instskip(NEXT) | instid1(VALU_DEP_2)
	v_dual_fmac_f32 v68, v102, v90 :: v_dual_mul_f32 v89, 0x3fb8aa3b, v89
	v_mul_f32_e32 v82, 0x3fb8aa3b, v82
	s_delay_alu instid0(VALU_DEP_3) | instskip(NEXT) | instid1(VALU_DEP_2)
	v_exp_f32_e32 v95, v95
	v_exp_f32_e32 v89, v89
	s_delay_alu instid0(VALU_DEP_1)
	v_exp_f32_e32 v82, v82
	v_fmac_f32_e32 v68, v97, v91
	s_delay_alu instid0(TRANS32_DEP_3) | instid1(VALU_DEP_1)
	v_fmac_f32_e32 v68, v95, v92
	s_waitcnt_depctr 0xfff
	v_fmac_f32_e32 v68, v82, v93
	s_delay_alu instid0(VALU_DEP_1) | instskip(NEXT) | instid1(VALU_DEP_1)
	v_fmac_f32_e32 v68, v89, v94
	v_add_f32_e32 v90, 0x358637bd, v68
	s_delay_alu instid0(VALU_DEP_1) | instskip(NEXT) | instid1(VALU_DEP_1)
	v_div_scale_f32 v91, null, v90, v90, 1.0
	v_rcp_f32_e32 v92, v91
	s_waitcnt_depctr 0xfff
	v_fma_f32 v93, -v91, v92, 1.0
	s_delay_alu instid0(VALU_DEP_1) | instskip(SKIP_1) | instid1(VALU_DEP_2)
	v_dual_fmac_f32 v92, v93, v92 :: v_dual_cndmask_b32 v93, v100, v99
	v_cmp_eq_u32_e32 vcc_lo, 3, v66
	v_cndmask_b32_e64 v93, v93, v101, s3
	v_cmp_eq_u32_e64 s3, 4, v66
	s_delay_alu instid0(VALU_DEP_2) | instskip(SKIP_1) | instid1(VALU_DEP_2)
	v_cndmask_b32_e32 v93, v93, v102, vcc_lo
	v_cmp_eq_u32_e32 vcc_lo, 5, v66
	v_cndmask_b32_e64 v93, v93, v97, s3
	v_cmp_eq_u32_e64 s3, 6, v66
	s_delay_alu instid0(VALU_DEP_2) | instskip(SKIP_1) | instid1(VALU_DEP_1)
	v_cndmask_b32_e32 v93, v93, v95, vcc_lo
	v_div_scale_f32 v94, s4, 1.0, v90, 1.0
	s_mov_b32 vcc_lo, s4
	s_delay_alu instid0(VALU_DEP_2) | instskip(NEXT) | instid1(VALU_DEP_2)
	v_cndmask_b32_e64 v82, v93, v82, s3
	v_mul_f32_e32 v96, v94, v92
	s_mov_b32 s3, exec_lo
	s_delay_alu instid0(VALU_DEP_2) | instskip(NEXT) | instid1(VALU_DEP_2)
	v_cndmask_b32_e64 v82, v82, v89, s5
	v_fma_f32 v98, -v91, v96, v94
	s_delay_alu instid0(VALU_DEP_1) | instskip(NEXT) | instid1(VALU_DEP_1)
	v_fmac_f32_e32 v96, v98, v92
	v_fma_f32 v91, -v91, v96, v94
	s_delay_alu instid0(VALU_DEP_1) | instskip(NEXT) | instid1(VALU_DEP_1)
	v_div_fmas_f32 v91, v91, v92, v96
	v_div_fixup_f32 v90, v91, v90, 1.0
	s_delay_alu instid0(VALU_DEP_1) | instskip(NEXT) | instid1(VALU_DEP_1)
	v_mul_f32_e32 v82, v82, v90
	v_mul_f32_e32 v87, v82, v87
	;; [unrolled: 1-line block ×7, first 2 shown]
	v_dual_mul_f32 v86, v82, v83 :: v_dual_and_b32 v91, 0x7f800000, v90
	v_mul_f32_e32 v85, v82, v76
                                        ; implicit-def: $vgpr76
	s_delay_alu instid0(VALU_DEP_2)
	v_cmpx_ne_u32_e32 0x7f800000, v91
	s_xor_b32 s3, exec_lo, s3
; %bb.13:
	v_bfe_u32 v76, v90, 16, 1
	s_delay_alu instid0(VALU_DEP_1)
	v_add3_u32 v76, v90, v76, 0x7fff
                                        ; implicit-def: $vgpr90
; %bb.14:
	s_and_not1_saveexec_b32 s3, s3
; %bb.15:
	v_and_b32_e32 v76, 0xffff, v90
	v_or_b32_e32 v83, 0x10000, v90
	s_delay_alu instid0(VALU_DEP_2) | instskip(NEXT) | instid1(VALU_DEP_2)
	v_cmp_eq_u32_e32 vcc_lo, 0, v76
	v_cndmask_b32_e32 v76, v83, v90, vcc_lo
; %bb.16:
	s_or_b32 exec_lo, exec_lo, s3
	v_and_b32_e32 v83, 0x7f800000, v85
	s_delay_alu instid0(VALU_DEP_1) | instskip(SKIP_1) | instid1(SALU_CYCLE_1)
	v_cmp_ne_u32_e32 vcc_lo, 0x7f800000, v83
                                        ; implicit-def: $vgpr83
	s_and_saveexec_b32 s3, vcc_lo
	s_xor_b32 s3, exec_lo, s3
; %bb.17:
	v_bfe_u32 v83, v85, 16, 1
	s_delay_alu instid0(VALU_DEP_1)
	v_add3_u32 v83, v85, v83, 0x7fff
                                        ; implicit-def: $vgpr85
; %bb.18:
	s_and_not1_saveexec_b32 s3, s3
; %bb.19:
	v_and_b32_e32 v83, 0xffff, v85
	v_or_b32_e32 v90, 0x10000, v85
	s_delay_alu instid0(VALU_DEP_2) | instskip(NEXT) | instid1(VALU_DEP_2)
	v_cmp_eq_u32_e32 vcc_lo, 0, v83
	v_cndmask_b32_e32 v83, v90, v85, vcc_lo
; %bb.20:
	s_or_b32 exec_lo, exec_lo, s3
	v_and_b32_e32 v85, 0x7f800000, v86
	s_delay_alu instid0(VALU_DEP_1) | instskip(SKIP_1) | instid1(SALU_CYCLE_1)
	v_cmp_ne_u32_e32 vcc_lo, 0x7f800000, v85
                                        ; implicit-def: $vgpr85
	s_and_saveexec_b32 s3, vcc_lo
	s_xor_b32 s3, exec_lo, s3
; %bb.21:
	v_bfe_u32 v85, v86, 16, 1
	s_delay_alu instid0(VALU_DEP_1)
	v_add3_u32 v85, v86, v85, 0x7fff
                                        ; implicit-def: $vgpr86
; %bb.22:
	s_and_not1_saveexec_b32 s3, s3
; %bb.23:
	v_and_b32_e32 v85, 0xffff, v86
	v_or_b32_e32 v90, 0x10000, v86
	s_delay_alu instid0(VALU_DEP_2) | instskip(NEXT) | instid1(VALU_DEP_2)
	v_cmp_eq_u32_e32 vcc_lo, 0, v85
	v_cndmask_b32_e32 v85, v90, v86, vcc_lo
; %bb.24:
	s_or_b32 exec_lo, exec_lo, s3
	v_and_b32_e32 v86, 0x7f800000, v89
	s_delay_alu instid0(VALU_DEP_1) | instskip(SKIP_1) | instid1(SALU_CYCLE_1)
	v_cmp_ne_u32_e32 vcc_lo, 0x7f800000, v86
                                        ; implicit-def: $vgpr86
	s_and_saveexec_b32 s3, vcc_lo
	s_xor_b32 s3, exec_lo, s3
; %bb.25:
	v_bfe_u32 v86, v89, 16, 1
	s_delay_alu instid0(VALU_DEP_1)
	v_add3_u32 v86, v89, v86, 0x7fff
                                        ; implicit-def: $vgpr89
; %bb.26:
	s_and_not1_saveexec_b32 s3, s3
; %bb.27:
	v_and_b32_e32 v86, 0xffff, v89
	v_or_b32_e32 v90, 0x10000, v89
	s_delay_alu instid0(VALU_DEP_2) | instskip(NEXT) | instid1(VALU_DEP_2)
	v_cmp_eq_u32_e32 vcc_lo, 0, v86
	v_cndmask_b32_e32 v86, v90, v89, vcc_lo
; %bb.28:
	s_or_b32 exec_lo, exec_lo, s3
	v_and_b32_e32 v89, 0x7f800000, v88
	s_delay_alu instid0(VALU_DEP_1) | instskip(SKIP_1) | instid1(SALU_CYCLE_1)
	v_cmp_ne_u32_e32 vcc_lo, 0x7f800000, v89
                                        ; implicit-def: $vgpr89
	s_and_saveexec_b32 s3, vcc_lo
	s_xor_b32 s3, exec_lo, s3
; %bb.29:
	v_bfe_u32 v89, v88, 16, 1
	s_delay_alu instid0(VALU_DEP_1)
	v_add3_u32 v89, v88, v89, 0x7fff
                                        ; implicit-def: $vgpr88
; %bb.30:
	s_and_not1_saveexec_b32 s3, s3
; %bb.31:
	v_and_b32_e32 v89, 0xffff, v88
	v_or_b32_e32 v90, 0x10000, v88
	s_delay_alu instid0(VALU_DEP_2) | instskip(NEXT) | instid1(VALU_DEP_2)
	v_cmp_eq_u32_e32 vcc_lo, 0, v89
	v_cndmask_b32_e32 v89, v90, v88, vcc_lo
; %bb.32:
	s_or_b32 exec_lo, exec_lo, s3
	v_and_b32_e32 v88, 0x7f800000, v87
	s_delay_alu instid0(VALU_DEP_1) | instskip(SKIP_1) | instid1(SALU_CYCLE_1)
	v_cmp_ne_u32_e32 vcc_lo, 0x7f800000, v88
                                        ; implicit-def: $vgpr88
	s_and_saveexec_b32 s3, vcc_lo
	s_xor_b32 s3, exec_lo, s3
; %bb.33:
	v_bfe_u32 v88, v87, 16, 1
	s_delay_alu instid0(VALU_DEP_1)
	v_add3_u32 v88, v87, v88, 0x7fff
                                        ; implicit-def: $vgpr87
; %bb.34:
	s_and_not1_saveexec_b32 s3, s3
; %bb.35:
	v_and_b32_e32 v88, 0xffff, v87
	v_or_b32_e32 v90, 0x10000, v87
	s_delay_alu instid0(VALU_DEP_2) | instskip(NEXT) | instid1(VALU_DEP_2)
	v_cmp_eq_u32_e32 vcc_lo, 0, v88
	v_cndmask_b32_e32 v88, v90, v87, vcc_lo
; %bb.36:
	s_or_b32 exec_lo, exec_lo, s3
	v_and_b32_e32 v87, 0x7f800000, v84
	s_delay_alu instid0(VALU_DEP_1) | instskip(SKIP_1) | instid1(SALU_CYCLE_1)
	v_cmp_ne_u32_e32 vcc_lo, 0x7f800000, v87
                                        ; implicit-def: $vgpr87
	s_and_saveexec_b32 s3, vcc_lo
	s_xor_b32 s3, exec_lo, s3
; %bb.37:
	v_bfe_u32 v87, v84, 16, 1
	s_delay_alu instid0(VALU_DEP_1)
	v_add3_u32 v87, v84, v87, 0x7fff
                                        ; implicit-def: $vgpr84
; %bb.38:
	s_and_not1_saveexec_b32 s3, s3
; %bb.39:
	v_and_b32_e32 v87, 0xffff, v84
	v_or_b32_e32 v90, 0x10000, v84
	s_delay_alu instid0(VALU_DEP_2) | instskip(NEXT) | instid1(VALU_DEP_2)
	v_cmp_eq_u32_e32 vcc_lo, 0, v87
	v_cndmask_b32_e32 v87, v90, v84, vcc_lo
; %bb.40:
	s_or_b32 exec_lo, exec_lo, s3
	v_and_b32_e32 v84, 0x7f800000, v80
	s_delay_alu instid0(VALU_DEP_1) | instskip(SKIP_1) | instid1(SALU_CYCLE_1)
	v_cmp_ne_u32_e32 vcc_lo, 0x7f800000, v84
                                        ; implicit-def: $vgpr84
	s_and_saveexec_b32 s3, vcc_lo
	s_xor_b32 s3, exec_lo, s3
; %bb.41:
	v_bfe_u32 v84, v80, 16, 1
	s_delay_alu instid0(VALU_DEP_1)
	v_add3_u32 v84, v80, v84, 0x7fff
                                        ; implicit-def: $vgpr80
; %bb.42:
	s_and_not1_saveexec_b32 s3, s3
; %bb.43:
	v_and_b32_e32 v84, 0xffff, v80
	v_or_b32_e32 v90, 0x10000, v80
	s_delay_alu instid0(VALU_DEP_2) | instskip(NEXT) | instid1(VALU_DEP_2)
	v_cmp_eq_u32_e32 vcc_lo, 0, v84
	v_cndmask_b32_e32 v84, v90, v80, vcc_lo
; %bb.44:
	s_or_b32 exec_lo, exec_lo, s3
	s_load_b64 s[34:35], s[0:1], 0x94
	v_lshlrev_b32_e32 v91, 4, v74
	s_delay_alu instid0(VALU_DEP_2)
	v_perm_b32 v90, v84, v87, 0x7060302
	v_dual_mul_f32 v79, v82, v79 :: v_dual_lshlrev_b32 v80, 6, v65
	v_dual_mul_f32 v77, v82, v77 :: v_dual_lshlrev_b32 v92, 11, v66
	v_mul_f32_e32 v84, v82, v70
	v_perm_b32 v89, v88, v89, 0x7060302
	v_perm_b32 v88, v86, v85, 0x7060302
	;; [unrolled: 1-line block ×3, first 2 shown]
	v_mul_f32_e32 v70, v82, v81
	v_or3_b32 v76, v91, v92, v80
	v_dual_mul_f32 v78, v82, v78 :: v_dual_and_b32 v85, 0x7f800000, v84
	v_mul_f32_e32 v83, v82, v72
	v_mul_f32_e32 v81, v82, v71
	;; [unrolled: 1-line block ×3, first 2 shown]
	s_mov_b32 s3, exec_lo
	ds_store_b128 v76, v[87:90]
                                        ; implicit-def: $vgpr69
	v_cmpx_ne_u32_e32 0x7f800000, v85
	s_xor_b32 s3, exec_lo, s3
; %bb.45:
	v_bfe_u32 v69, v84, 16, 1
	s_delay_alu instid0(VALU_DEP_1)
	v_add3_u32 v69, v84, v69, 0x7fff
                                        ; implicit-def: $vgpr84
; %bb.46:
	s_and_not1_saveexec_b32 s3, s3
; %bb.47:
	v_and_b32_e32 v69, 0xffff, v84
	v_or_b32_e32 v71, 0x10000, v84
	s_delay_alu instid0(VALU_DEP_2) | instskip(NEXT) | instid1(VALU_DEP_2)
	v_cmp_eq_u32_e32 vcc_lo, 0, v69
	v_cndmask_b32_e32 v69, v71, v84, vcc_lo
; %bb.48:
	s_or_b32 exec_lo, exec_lo, s3
	v_and_b32_e32 v71, 0x7f800000, v72
	s_delay_alu instid0(VALU_DEP_1) | instskip(SKIP_1) | instid1(SALU_CYCLE_1)
	v_cmp_ne_u32_e32 vcc_lo, 0x7f800000, v71
                                        ; implicit-def: $vgpr71
	s_and_saveexec_b32 s3, vcc_lo
	s_xor_b32 s3, exec_lo, s3
; %bb.49:
	v_bfe_u32 v71, v72, 16, 1
	s_delay_alu instid0(VALU_DEP_1)
	v_add3_u32 v71, v72, v71, 0x7fff
                                        ; implicit-def: $vgpr72
; %bb.50:
	s_and_not1_saveexec_b32 s3, s3
; %bb.51:
	v_and_b32_e32 v71, 0xffff, v72
	v_or_b32_e32 v82, 0x10000, v72
	s_delay_alu instid0(VALU_DEP_2) | instskip(NEXT) | instid1(VALU_DEP_2)
	v_cmp_eq_u32_e32 vcc_lo, 0, v71
	v_cndmask_b32_e32 v71, v82, v72, vcc_lo
; %bb.52:
	s_or_b32 exec_lo, exec_lo, s3
	v_and_b32_e32 v72, 0x7f800000, v81
	s_delay_alu instid0(VALU_DEP_1) | instskip(SKIP_1) | instid1(SALU_CYCLE_1)
	v_cmp_ne_u32_e32 vcc_lo, 0x7f800000, v72
                                        ; implicit-def: $vgpr72
	s_and_saveexec_b32 s3, vcc_lo
	s_xor_b32 s3, exec_lo, s3
; %bb.53:
	v_bfe_u32 v72, v81, 16, 1
	s_delay_alu instid0(VALU_DEP_1)
	v_add3_u32 v72, v81, v72, 0x7fff
                                        ; implicit-def: $vgpr81
; %bb.54:
	s_and_not1_saveexec_b32 s3, s3
; %bb.55:
	v_and_b32_e32 v72, 0xffff, v81
	v_or_b32_e32 v82, 0x10000, v81
	s_delay_alu instid0(VALU_DEP_2) | instskip(NEXT) | instid1(VALU_DEP_2)
	v_cmp_eq_u32_e32 vcc_lo, 0, v72
	v_cndmask_b32_e32 v72, v82, v81, vcc_lo
; %bb.56:
	s_or_b32 exec_lo, exec_lo, s3
	v_and_b32_e32 v81, 0x7f800000, v83
	s_delay_alu instid0(VALU_DEP_1) | instskip(SKIP_1) | instid1(SALU_CYCLE_1)
	v_cmp_ne_u32_e32 vcc_lo, 0x7f800000, v81
                                        ; implicit-def: $vgpr81
	s_and_saveexec_b32 s3, vcc_lo
	s_xor_b32 s3, exec_lo, s3
; %bb.57:
	v_bfe_u32 v81, v83, 16, 1
	s_delay_alu instid0(VALU_DEP_1)
	v_add3_u32 v81, v83, v81, 0x7fff
                                        ; implicit-def: $vgpr83
; %bb.58:
	s_and_not1_saveexec_b32 s3, s3
; %bb.59:
	v_and_b32_e32 v81, 0xffff, v83
	v_or_b32_e32 v82, 0x10000, v83
	s_delay_alu instid0(VALU_DEP_2) | instskip(NEXT) | instid1(VALU_DEP_2)
	v_cmp_eq_u32_e32 vcc_lo, 0, v81
	v_cndmask_b32_e32 v81, v82, v83, vcc_lo
; %bb.60:
	s_or_b32 exec_lo, exec_lo, s3
	v_and_b32_e32 v82, 0x7f800000, v77
	s_delay_alu instid0(VALU_DEP_1) | instskip(SKIP_1) | instid1(SALU_CYCLE_1)
	v_cmp_ne_u32_e32 vcc_lo, 0x7f800000, v82
                                        ; implicit-def: $vgpr82
	s_and_saveexec_b32 s3, vcc_lo
	s_xor_b32 s3, exec_lo, s3
; %bb.61:
	v_bfe_u32 v82, v77, 16, 1
	s_delay_alu instid0(VALU_DEP_1)
	v_add3_u32 v82, v77, v82, 0x7fff
                                        ; implicit-def: $vgpr77
; %bb.62:
	s_and_not1_saveexec_b32 s3, s3
; %bb.63:
	v_and_b32_e32 v82, 0xffff, v77
	v_or_b32_e32 v83, 0x10000, v77
	s_delay_alu instid0(VALU_DEP_2) | instskip(NEXT) | instid1(VALU_DEP_2)
	v_cmp_eq_u32_e32 vcc_lo, 0, v82
	v_cndmask_b32_e32 v82, v83, v77, vcc_lo
; %bb.64:
	s_or_b32 exec_lo, exec_lo, s3
	v_and_b32_e32 v77, 0x7f800000, v78
	s_delay_alu instid0(VALU_DEP_1) | instskip(SKIP_1) | instid1(SALU_CYCLE_1)
	v_cmp_ne_u32_e32 vcc_lo, 0x7f800000, v77
                                        ; implicit-def: $vgpr77
	s_and_saveexec_b32 s3, vcc_lo
	s_xor_b32 s3, exec_lo, s3
; %bb.65:
	v_bfe_u32 v77, v78, 16, 1
	s_delay_alu instid0(VALU_DEP_1)
	v_add3_u32 v77, v78, v77, 0x7fff
                                        ; implicit-def: $vgpr78
; %bb.66:
	s_and_not1_saveexec_b32 s3, s3
; %bb.67:
	v_and_b32_e32 v77, 0xffff, v78
	v_or_b32_e32 v83, 0x10000, v78
	s_delay_alu instid0(VALU_DEP_2) | instskip(NEXT) | instid1(VALU_DEP_2)
	v_cmp_eq_u32_e32 vcc_lo, 0, v77
	v_cndmask_b32_e32 v77, v83, v78, vcc_lo
; %bb.68:
	s_or_b32 exec_lo, exec_lo, s3
	v_and_b32_e32 v78, 0x7f800000, v79
	s_delay_alu instid0(VALU_DEP_1) | instskip(SKIP_1) | instid1(SALU_CYCLE_1)
	v_cmp_ne_u32_e32 vcc_lo, 0x7f800000, v78
                                        ; implicit-def: $vgpr78
	s_and_saveexec_b32 s3, vcc_lo
	s_xor_b32 s3, exec_lo, s3
; %bb.69:
	v_bfe_u32 v78, v79, 16, 1
	s_delay_alu instid0(VALU_DEP_1)
	v_add3_u32 v78, v79, v78, 0x7fff
                                        ; implicit-def: $vgpr79
; %bb.70:
	s_and_not1_saveexec_b32 s3, s3
; %bb.71:
	v_and_b32_e32 v78, 0xffff, v79
	v_or_b32_e32 v83, 0x10000, v79
	s_delay_alu instid0(VALU_DEP_2) | instskip(NEXT) | instid1(VALU_DEP_2)
	v_cmp_eq_u32_e32 vcc_lo, 0, v78
	v_cndmask_b32_e32 v78, v83, v79, vcc_lo
; %bb.72:
	s_or_b32 exec_lo, exec_lo, s3
	v_and_b32_e32 v79, 0x7f800000, v70
	s_delay_alu instid0(VALU_DEP_1) | instskip(SKIP_1) | instid1(SALU_CYCLE_1)
	v_cmp_ne_u32_e32 vcc_lo, 0x7f800000, v79
                                        ; implicit-def: $vgpr79
	s_and_saveexec_b32 s3, vcc_lo
	s_xor_b32 s3, exec_lo, s3
; %bb.73:
	v_bfe_u32 v79, v70, 16, 1
	s_delay_alu instid0(VALU_DEP_1)
	v_add3_u32 v79, v70, v79, 0x7fff
                                        ; implicit-def: $vgpr70
; %bb.74:
	s_and_not1_saveexec_b32 s3, s3
; %bb.75:
	v_and_b32_e32 v79, 0xffff, v70
	v_or_b32_e32 v83, 0x10000, v70
	s_delay_alu instid0(VALU_DEP_2) | instskip(NEXT) | instid1(VALU_DEP_2)
	v_cmp_eq_u32_e32 vcc_lo, 0, v79
	v_cndmask_b32_e32 v79, v83, v70, vcc_lo
; %bb.76:
	s_or_b32 exec_lo, exec_lo, s3
	s_delay_alu instid0(VALU_DEP_1)
	v_perm_b32 v86, v79, v78, 0x7060302
	v_perm_b32 v85, v77, v82, 0x7060302
	;; [unrolled: 1-line block ×4, first 2 shown]
	v_lshl_or_b32 v82, v66, 11, v80
	ds_store_b128 v76, v[83:86] offset:1024
	s_waitcnt lgkmcnt(0)
	s_barrier
	buffer_gl0_inv
	ds_load_b128 v[69:72], v82
	ds_load_b128 v[83:86], v82 offset:16
	s_waitcnt lgkmcnt(1)
	v_lshrrev_b32_e32 v66, 16, v69
	s_waitcnt lgkmcnt(0)
	v_lshrrev_b32_e32 v91, 16, v83
	v_lshlrev_b32_e32 v78, 2, v74
	v_lshrrev_b32_e32 v95, 16, v70
	v_lshrrev_b32_e32 v98, 16, v84
	;; [unrolled: 1-line block ×4, first 2 shown]
	v_cmp_eq_u32_e32 vcc_lo, 1, v78
	v_lshrrev_b32_e32 v97, 16, v72
	v_lshrrev_b32_e32 v100, 16, v86
	v_cndmask_b32_e32 v87, v83, v91, vcc_lo
	v_or_b32_e32 v79, 1, v78
	v_cndmask_b32_e32 v81, v69, v66, vcc_lo
	v_cmp_eq_u32_e64 s4, 2, v78
	v_cmp_eq_u32_e64 s7, 3, v78
	;; [unrolled: 1-line block ×5, first 2 shown]
	v_cndmask_b32_e64 v81, v81, v70, s4
	v_cndmask_b32_e64 v87, v87, v84, s4
	v_cmp_eq_u32_e64 s8, 3, v79
	v_cndmask_b32_e64 v88, v69, v66, s3
	v_or_b32_e32 v77, 2, v78
	v_cndmask_b32_e64 v81, v81, v95, s7
	v_cndmask_b32_e64 v87, v87, v98, s7
	;; [unrolled: 1-line block ×4, first 2 shown]
	v_cmp_eq_u32_e64 s10, 5, v78
	v_cndmask_b32_e64 v81, v81, v71, s9
	v_cndmask_b32_e64 v87, v87, v85, s9
	v_cmp_eq_u32_e64 s11, 4, v79
	v_cndmask_b32_e64 v88, v88, v95, s8
	v_cmp_eq_u32_e64 s5, 1, v77
	v_cndmask_b32_e64 v89, v89, v84, s6
	v_cndmask_b32_e64 v81, v81, v96, s10
	v_cmp_eq_u32_e64 s12, 6, v78
	v_cndmask_b32_e64 v88, v88, v71, s11
	;; [unrolled: 3-line block ×3, first 2 shown]
	v_cndmask_b32_e64 v89, v89, v98, s8
	v_cndmask_b32_e64 v81, v81, v72, s12
	v_cmp_eq_u32_e64 s15, 7, v78
	v_cndmask_b32_e64 v88, v88, v96, s13
	v_cndmask_b32_e64 v87, v87, v86, s12
	v_cmp_eq_u32_e64 s16, 6, v79
	v_cmp_eq_u32_e64 s17, 2, v77
	v_cndmask_b32_e64 v89, v89, v85, s11
	v_cndmask_b32_e64 v101, v81, v97, s15
	;; [unrolled: 1-line block ×6, first 2 shown]
	v_cmp_eq_u32_e64 s18, 7, v79
	v_cmp_eq_u32_e64 s19, 3, v77
	;; [unrolled: 1-line block ×4, first 2 shown]
	v_cndmask_b32_e64 v87, v87, v84, s17
	v_cndmask_b32_e64 v103, v88, v97, s18
	v_cndmask_b32_e64 v88, v89, v99, s13
	v_cndmask_b32_e64 v89, v81, v95, s19
	v_or_b32_e32 v81, 3, v78
	v_cndmask_b32_e64 v93, v87, v98, s19
	v_cmp_eq_u32_e64 s24, 6, v77
	v_cndmask_b32_e64 v104, v88, v86, s16
	v_cndmask_b32_e64 v92, v89, v71, s20
	v_cmp_eq_u32_e64 s21, 1, v81
	ds_load_b128 v[87:90], v82 offset:1024
	v_cmp_eq_u32_e64 s23, 2, v81
	v_cmp_eq_u32_e64 s25, 3, v81
	v_cndmask_b32_e64 v105, v92, v96, s22
	v_cndmask_b32_e64 v66, v69, v66, s21
	;; [unrolled: 1-line block ×4, first 2 shown]
	ds_load_b128 v[91:94], v82 offset:1040
	v_cmp_eq_u32_e64 s26, 4, v81
	v_cndmask_b32_e64 v66, v66, v70, s23
	v_cmp_eq_u32_e64 s27, 7, v77
	v_cndmask_b32_e64 v70, v83, v84, s23
	v_cndmask_b32_e64 v84, v105, v72, s24
	v_cmp_eq_u32_e64 s28, 5, v81
	v_cndmask_b32_e64 v66, v66, v95, s25
	v_cmp_eq_u32_e64 s29, 6, v81
	v_cndmask_b32_e64 v70, v70, v98, s25
	v_cndmask_b32_e64 v69, v69, v99, s22
	;; [unrolled: 1-line block ×4, first 2 shown]
	s_waitcnt lgkmcnt(1)
	v_lshrrev_b32_e32 v95, 16, v87
	v_cndmask_b32_e64 v70, v70, v85, s26
	v_cndmask_b32_e64 v71, v84, v97, s27
	;; [unrolled: 1-line block ×4, first 2 shown]
	v_cndmask_b32_e32 v84, v87, v95, vcc_lo
	v_cndmask_b32_e64 v70, v70, v99, s28
	s_waitcnt lgkmcnt(0)
	v_lshrrev_b32_e32 v85, 16, v91
	v_lshrrev_b32_e32 v96, 16, v88
	v_cndmask_b32_e64 v98, v87, v95, s3
	v_cndmask_b32_e64 v84, v84, v88, s4
	;; [unrolled: 1-line block ×3, first 2 shown]
	v_cndmask_b32_e32 v99, v91, v85, vcc_lo
	v_cmp_eq_u32_e32 vcc_lo, 7, v81
	v_cndmask_b32_e64 v66, v66, v72, s29
	v_cndmask_b32_e64 v72, v84, v96, s7
	;; [unrolled: 1-line block ×3, first 2 shown]
	v_lshrrev_b32_e32 v98, 16, v92
	v_cndmask_b32_e32 v70, v70, v100, vcc_lo
	v_cndmask_b32_e64 v86, v99, v92, s4
	v_cndmask_b32_e64 v69, v69, v100, s27
	v_lshrrev_b32_e32 v100, 16, v93
	v_cndmask_b32_e64 v72, v72, v89, s9
	v_lshrrev_b32_e32 v99, 16, v89
	v_cndmask_b32_e64 v86, v86, v98, s7
	v_perm_b32 v71, v69, v71, 0x5040100
	v_cndmask_b32_e64 v84, v84, v96, s8
	s_delay_alu instid0(VALU_DEP_3) | instskip(NEXT) | instid1(VALU_DEP_2)
	v_cndmask_b32_e64 v86, v86, v93, s9
	v_cndmask_b32_e64 v84, v84, v89, s11
	s_delay_alu instid0(VALU_DEP_2) | instskip(NEXT) | instid1(VALU_DEP_1)
	v_cndmask_b32_e64 v86, v86, v100, s10
	v_cndmask_b32_e64 v69, v86, v94, s12
	;; [unrolled: 1-line block ×5, first 2 shown]
	s_delay_alu instid0(VALU_DEP_3) | instskip(NEXT) | instid1(VALU_DEP_3)
	v_cndmask_b32_e64 v86, v86, v88, s17
	v_cndmask_b32_e64 v87, v87, v88, s23
	s_delay_alu instid0(VALU_DEP_3) | instskip(NEXT) | instid1(VALU_DEP_3)
	v_cndmask_b32_e64 v88, v95, v92, s23
	v_cndmask_b32_e64 v86, v86, v96, s19
	s_delay_alu instid0(VALU_DEP_3) | instskip(NEXT) | instid1(VALU_DEP_3)
	v_cndmask_b32_e64 v87, v87, v96, s25
	v_cndmask_b32_e64 v88, v88, v98, s25
	s_delay_alu instid0(VALU_DEP_3) | instskip(NEXT) | instid1(VALU_DEP_3)
	v_cndmask_b32_e64 v86, v86, v89, s20
	v_cndmask_b32_e64 v87, v87, v89, s26
	s_delay_alu instid0(VALU_DEP_3) | instskip(NEXT) | instid1(VALU_DEP_3)
	v_cndmask_b32_e64 v88, v88, v93, s26
	v_cndmask_b32_e64 v86, v86, v99, s22
	s_delay_alu instid0(VALU_DEP_3) | instskip(NEXT) | instid1(VALU_DEP_3)
	v_cndmask_b32_e64 v87, v87, v99, s28
	v_cndmask_b32_e64 v88, v88, v100, s28
	s_delay_alu instid0(VALU_DEP_3) | instskip(NEXT) | instid1(VALU_DEP_3)
	v_cndmask_b32_e64 v86, v86, v90, s24
	v_cndmask_b32_e64 v87, v87, v90, s29
	s_delay_alu instid0(VALU_DEP_3) | instskip(SKIP_2) | instid1(VALU_DEP_2)
	v_cndmask_b32_e64 v88, v88, v94, s29
	v_cndmask_b32_e32 v66, v66, v97, vcc_lo
	v_cndmask_b32_e64 v97, v72, v99, s10
	v_perm_b32 v72, v70, v66, 0x5040100
	v_perm_b32 v70, v83, v103, 0x5040100
	v_cndmask_b32_e64 v103, v91, v85, s5
	v_cndmask_b32_e64 v85, v91, v85, s3
	;; [unrolled: 1-line block ×4, first 2 shown]
	v_lshrrev_b32_e32 v97, 16, v90
	v_cndmask_b32_e64 v91, v103, v92, s17
	v_cndmask_b32_e64 v85, v85, v92, s6
	;; [unrolled: 1-line block ×3, first 2 shown]
	s_mov_b32 s3, exec_lo
	v_cndmask_b32_e64 v83, v84, v97, s15
	v_cndmask_b32_e64 v91, v91, v98, s19
	;; [unrolled: 1-line block ×3, first 2 shown]
	v_lshrrev_b32_e32 v84, 16, v94
	v_cndmask_b32_e64 v66, v66, v97, s18
	v_cndmask_b32_e64 v90, v86, v97, s27
	;; [unrolled: 1-line block ×4, first 2 shown]
	v_dual_cndmask_b32 v86, v87, v97 :: v_dual_cndmask_b32 v87, v88, v84
	v_cndmask_b32_e64 v91, v69, v84, s15
	s_delay_alu instid0(VALU_DEP_4) | instskip(NEXT) | instid1(VALU_DEP_4)
	v_cndmask_b32_e64 v89, v89, v100, s22
	v_cndmask_b32_e64 v85, v85, v100, s13
	v_perm_b32 v69, v102, v101, 0x5040100
	v_perm_b32 v86, v87, v86, 0x5040100
	v_perm_b32 v83, v91, v83, 0x5040100
	v_cndmask_b32_e64 v89, v89, v94, s24
	v_cndmask_b32_e64 v85, v85, v94, s16
	s_mul_i32 s8, s35, 12
	s_delay_alu instid0(VALU_DEP_2) | instskip(NEXT) | instid1(VALU_DEP_2)
	v_cndmask_b32_e64 v88, v89, v84, s27
	v_cndmask_b32_e64 v89, v85, v84, s18
	s_delay_alu instid0(VALU_DEP_2) | instskip(NEXT) | instid1(VALU_DEP_2)
	v_perm_b32 v85, v88, v90, 0x5040100
	v_perm_b32 v84, v89, v66, 0x5040100
	ds_store_b128 v76, v[69:72]
	ds_store_b128 v76, v[83:86] offset:1024
	v_cmpx_gt_u32_e32 12, v0
	s_cbranch_execz .LBB1417_78
; %bb.77:
	s_mul_i32 s4, s8, s30
	s_delay_alu instid0(SALU_CYCLE_1) | instskip(SKIP_1) | instid1(VALU_DEP_1)
	v_add3_u32 v69, s4, s31, v65
	s_load_b128 s[4:7], s[0:1], 0x58
	v_mad_u64_u32 v[65:66], null, v69, s34, s[14:15]
	s_delay_alu instid0(VALU_DEP_1) | instskip(NEXT) | instid1(VALU_DEP_1)
	v_ashrrev_i32_e32 v66, 31, v65
	v_lshlrev_b64 v[65:66], 2, v[65:66]
	s_waitcnt lgkmcnt(0)
	s_delay_alu instid0(VALU_DEP_1) | instskip(NEXT) | instid1(VALU_DEP_2)
	v_add_co_u32 v69, vcc_lo, s6, v65
	v_add_co_ci_u32_e32 v70, vcc_lo, s7, v66, vcc_lo
	v_add_co_u32 v65, vcc_lo, s4, v65
	v_add_co_ci_u32_e32 v66, vcc_lo, s5, v66, vcc_lo
	global_store_b32 v[69:70], v67, off
	global_store_b32 v[65:66], v68, off
.LBB1417_78:
	s_or_b32 exec_lo, exec_lo, s3
	s_waitcnt lgkmcnt(0)
	s_waitcnt_vscnt null, 0x0
	s_barrier
	buffer_gl0_inv
	ds_load_b128 v[83:86], v80
	ds_load_b128 v[87:90], v80 offset:16
	ds_load_b128 v[95:98], v80 offset:2064
	;; [unrolled: 1-line block ×3, first 2 shown]
	v_mov_b32_e32 v65, 0
	ds_load_b128 v[103:106], v80 offset:4112
	ds_load_b128 v[99:102], v80 offset:4096
	;; [unrolled: 1-line block ×4, first 2 shown]
	v_mov_b32_e32 v66, v65
	v_mov_b32_e32 v67, v65
	;; [unrolled: 1-line block ×7, first 2 shown]
	s_waitcnt lgkmcnt(6)
	s_delay_alu instid0(VALU_DEP_1)
	v_wmma_f32_16x16x16_bf16 v[65:72], v[57:64], v[83:90], v[65:72]
	ds_load_b128 v[61:64], v80 offset:8208
	ds_load_b128 v[57:60], v80 offset:8192
	s_waitcnt lgkmcnt(6)
	v_wmma_f32_16x16x16_bf16 v[65:72], v[41:48], v[91:98], v[65:72]
	ds_load_b128 v[45:48], v80 offset:10256
	ds_load_b128 v[41:44], v80 offset:10240
	s_waitcnt lgkmcnt(6)
	;; [unrolled: 4-line block ×4, first 2 shown]
	v_wmma_f32_16x16x16_bf16 v[65:72], v[1:8], v[57:64], v[65:72]
	s_waitcnt lgkmcnt(4)
	s_delay_alu instid0(VALU_DEP_1) | instskip(SKIP_1) | instid1(VALU_DEP_1)
	v_wmma_f32_16x16x16_bf16 v[65:72], v[9:16], v[41:48], v[65:72]
	s_waitcnt lgkmcnt(2)
	v_wmma_f32_16x16x16_bf16 v[65:72], v[17:24], v[33:40], v[65:72]
	s_waitcnt lgkmcnt(0)
	s_delay_alu instid0(VALU_DEP_1) | instskip(NEXT) | instid1(VALU_DEP_1)
	v_wmma_f32_16x16x16_bf16 v[65:72], v[49:56], v[25:32], v[65:72]
	v_and_b32_e32 v1, 0x7f800000, v65
	s_delay_alu instid0(VALU_DEP_1) | instskip(SKIP_1) | instid1(SALU_CYCLE_1)
	v_cmp_ne_u32_e32 vcc_lo, 0x7f800000, v1
                                        ; implicit-def: $vgpr1
	s_and_saveexec_b32 s3, vcc_lo
	s_xor_b32 s3, exec_lo, s3
; %bb.79:
	v_bfe_u32 v1, v65, 16, 1
	s_delay_alu instid0(VALU_DEP_1)
	v_add3_u32 v1, v65, v1, 0x7fff
; %bb.80:
	s_and_not1_saveexec_b32 s3, s3
; %bb.81:
	v_and_b32_e32 v1, 0xffff, v65
	v_or_b32_e32 v2, 0x10000, v65
	s_delay_alu instid0(VALU_DEP_2) | instskip(NEXT) | instid1(VALU_DEP_2)
	v_cmp_eq_u32_e32 vcc_lo, 0, v1
	v_cndmask_b32_e32 v1, v2, v65, vcc_lo
; %bb.82:
	s_or_b32 exec_lo, exec_lo, s3
	v_and_b32_e32 v2, 0x7f800000, v66
	s_delay_alu instid0(VALU_DEP_1) | instskip(SKIP_1) | instid1(SALU_CYCLE_1)
	v_cmp_ne_u32_e32 vcc_lo, 0x7f800000, v2
                                        ; implicit-def: $vgpr2
	s_and_saveexec_b32 s3, vcc_lo
	s_xor_b32 s3, exec_lo, s3
; %bb.83:
	v_bfe_u32 v2, v66, 16, 1
	s_delay_alu instid0(VALU_DEP_1)
	v_add3_u32 v2, v66, v2, 0x7fff
; %bb.84:
	s_and_not1_saveexec_b32 s3, s3
; %bb.85:
	v_and_b32_e32 v2, 0xffff, v66
	v_or_b32_e32 v3, 0x10000, v66
	s_delay_alu instid0(VALU_DEP_2) | instskip(NEXT) | instid1(VALU_DEP_2)
	v_cmp_eq_u32_e32 vcc_lo, 0, v2
	v_cndmask_b32_e32 v2, v3, v66, vcc_lo
; %bb.86:
	s_or_b32 exec_lo, exec_lo, s3
	v_and_b32_e32 v3, 0x7f800000, v67
	s_delay_alu instid0(VALU_DEP_1) | instskip(SKIP_1) | instid1(SALU_CYCLE_1)
	v_cmp_ne_u32_e32 vcc_lo, 0x7f800000, v3
                                        ; implicit-def: $vgpr3
	s_and_saveexec_b32 s3, vcc_lo
	s_xor_b32 s3, exec_lo, s3
; %bb.87:
	v_bfe_u32 v3, v67, 16, 1
	s_delay_alu instid0(VALU_DEP_1)
	v_add3_u32 v3, v67, v3, 0x7fff
; %bb.88:
	s_and_not1_saveexec_b32 s3, s3
; %bb.89:
	v_and_b32_e32 v3, 0xffff, v67
	v_or_b32_e32 v4, 0x10000, v67
	s_delay_alu instid0(VALU_DEP_2) | instskip(NEXT) | instid1(VALU_DEP_2)
	v_cmp_eq_u32_e32 vcc_lo, 0, v3
	v_cndmask_b32_e32 v3, v4, v67, vcc_lo
; %bb.90:
	s_or_b32 exec_lo, exec_lo, s3
	v_and_b32_e32 v4, 0x7f800000, v68
	s_delay_alu instid0(VALU_DEP_1) | instskip(SKIP_1) | instid1(SALU_CYCLE_1)
	v_cmp_ne_u32_e32 vcc_lo, 0x7f800000, v4
                                        ; implicit-def: $vgpr4
	s_and_saveexec_b32 s3, vcc_lo
	s_xor_b32 s3, exec_lo, s3
; %bb.91:
	v_bfe_u32 v4, v68, 16, 1
	s_delay_alu instid0(VALU_DEP_1)
	v_add3_u32 v4, v68, v4, 0x7fff
; %bb.92:
	s_and_not1_saveexec_b32 s3, s3
; %bb.93:
	v_and_b32_e32 v4, 0xffff, v68
	v_or_b32_e32 v5, 0x10000, v68
	s_delay_alu instid0(VALU_DEP_2) | instskip(NEXT) | instid1(VALU_DEP_2)
	v_cmp_eq_u32_e32 vcc_lo, 0, v4
	v_cndmask_b32_e32 v4, v5, v68, vcc_lo
; %bb.94:
	s_or_b32 exec_lo, exec_lo, s3
	v_and_b32_e32 v5, 0x7f800000, v69
	s_delay_alu instid0(VALU_DEP_1) | instskip(SKIP_1) | instid1(SALU_CYCLE_1)
	v_cmp_ne_u32_e32 vcc_lo, 0x7f800000, v5
                                        ; implicit-def: $vgpr5
	s_and_saveexec_b32 s3, vcc_lo
	s_xor_b32 s3, exec_lo, s3
; %bb.95:
	v_bfe_u32 v5, v69, 16, 1
	s_delay_alu instid0(VALU_DEP_1)
	v_add3_u32 v5, v69, v5, 0x7fff
; %bb.96:
	s_and_not1_saveexec_b32 s3, s3
; %bb.97:
	v_and_b32_e32 v5, 0xffff, v69
	v_or_b32_e32 v6, 0x10000, v69
	s_delay_alu instid0(VALU_DEP_2) | instskip(NEXT) | instid1(VALU_DEP_2)
	v_cmp_eq_u32_e32 vcc_lo, 0, v5
	v_cndmask_b32_e32 v5, v6, v69, vcc_lo
; %bb.98:
	s_or_b32 exec_lo, exec_lo, s3
	v_and_b32_e32 v6, 0x7f800000, v70
	s_delay_alu instid0(VALU_DEP_1) | instskip(SKIP_1) | instid1(SALU_CYCLE_1)
	v_cmp_ne_u32_e32 vcc_lo, 0x7f800000, v6
                                        ; implicit-def: $vgpr6
	s_and_saveexec_b32 s3, vcc_lo
	s_xor_b32 s3, exec_lo, s3
; %bb.99:
	v_bfe_u32 v6, v70, 16, 1
	s_delay_alu instid0(VALU_DEP_1)
	v_add3_u32 v6, v70, v6, 0x7fff
; %bb.100:
	s_and_not1_saveexec_b32 s3, s3
; %bb.101:
	v_and_b32_e32 v6, 0xffff, v70
	v_or_b32_e32 v7, 0x10000, v70
	s_delay_alu instid0(VALU_DEP_2) | instskip(NEXT) | instid1(VALU_DEP_2)
	v_cmp_eq_u32_e32 vcc_lo, 0, v6
	v_cndmask_b32_e32 v6, v7, v70, vcc_lo
; %bb.102:
	s_or_b32 exec_lo, exec_lo, s3
	v_and_b32_e32 v7, 0x7f800000, v71
	s_delay_alu instid0(VALU_DEP_1) | instskip(SKIP_1) | instid1(SALU_CYCLE_1)
	v_cmp_ne_u32_e32 vcc_lo, 0x7f800000, v7
                                        ; implicit-def: $vgpr7
	s_and_saveexec_b32 s3, vcc_lo
	s_xor_b32 s3, exec_lo, s3
; %bb.103:
	v_bfe_u32 v7, v71, 16, 1
	s_delay_alu instid0(VALU_DEP_1)
	v_add3_u32 v7, v71, v7, 0x7fff
; %bb.104:
	s_and_not1_saveexec_b32 s3, s3
; %bb.105:
	v_and_b32_e32 v7, 0xffff, v71
	v_or_b32_e32 v8, 0x10000, v71
	s_delay_alu instid0(VALU_DEP_2) | instskip(NEXT) | instid1(VALU_DEP_2)
	v_cmp_eq_u32_e32 vcc_lo, 0, v7
	v_cndmask_b32_e32 v7, v8, v71, vcc_lo
; %bb.106:
	s_or_b32 exec_lo, exec_lo, s3
	v_and_b32_e32 v8, 0x7f800000, v72
	s_delay_alu instid0(VALU_DEP_1) | instskip(SKIP_1) | instid1(SALU_CYCLE_1)
	v_cmp_ne_u32_e32 vcc_lo, 0x7f800000, v8
                                        ; implicit-def: $vgpr8
	s_and_saveexec_b32 s3, vcc_lo
	s_xor_b32 s3, exec_lo, s3
; %bb.107:
	v_bfe_u32 v8, v72, 16, 1
	s_delay_alu instid0(VALU_DEP_1)
	v_add3_u32 v8, v72, v8, 0x7fff
                                        ; implicit-def: $vgpr65_vgpr66_vgpr67_vgpr68_vgpr69_vgpr70_vgpr71_vgpr72
; %bb.108:
	s_and_not1_saveexec_b32 s3, s3
; %bb.109:
	v_and_b32_e32 v8, 0xffff, v72
	v_or_b32_e32 v9, 0x10000, v72
	s_delay_alu instid0(VALU_DEP_2) | instskip(NEXT) | instid1(VALU_DEP_2)
	v_cmp_eq_u32_e32 vcc_lo, 0, v8
	v_cndmask_b32_e32 v8, v9, v72, vcc_lo
; %bb.110:
	s_or_b32 exec_lo, exec_lo, s3
	s_delay_alu instid0(VALU_DEP_1)
	v_perm_b32 v7, v8, v7, 0x7060302
	v_perm_b32 v6, v6, v5, 0x7060302
	;; [unrolled: 1-line block ×4, first 2 shown]
	s_barrier
	buffer_gl0_inv
	v_cmp_eq_u32_e32 vcc_lo, 1, v78
	ds_store_b128 v76, v[4:7]
	s_waitcnt lgkmcnt(0)
	s_barrier
	buffer_gl0_inv
	ds_load_b128 v[1:4], v82
	ds_load_b128 v[5:8], v82 offset:16
	v_cmp_eq_u32_e64 s3, 1, v79
	v_cmp_eq_u32_e64 s4, 2, v78
	;; [unrolled: 1-line block ×5, first 2 shown]
	s_waitcnt lgkmcnt(1)
	v_lshrrev_b32_e32 v9, 16, v1
	s_waitcnt lgkmcnt(0)
	v_lshrrev_b32_e32 v13, 16, v5
	v_lshrrev_b32_e32 v10, 16, v2
	;; [unrolled: 1-line block ×4, first 2 shown]
	v_cndmask_b32_e64 v19, v1, v9, s3
	v_cndmask_b32_e32 v18, v5, v13, vcc_lo
	v_cndmask_b32_e64 v20, v5, v13, s3
	v_cndmask_b32_e32 v17, v1, v9, vcc_lo
	v_cmp_eq_u32_e32 vcc_lo, 2, v79
	v_lshrrev_b32_e32 v15, 16, v7
	v_cmp_eq_u32_e64 s3, 1, v77
	v_lshrrev_b32_e32 v12, 16, v4
	v_lshrrev_b32_e32 v16, 16, v8
	v_cndmask_b32_e32 v20, v20, v6, vcc_lo
	v_cndmask_b32_e64 v17, v17, v2, s4
	v_cndmask_b32_e32 v19, v19, v2, vcc_lo
	v_cndmask_b32_e64 v18, v18, v6, s4
	v_cmp_eq_u32_e32 vcc_lo, 4, v78
	v_cmp_eq_u32_e64 s4, 3, v79
	v_cndmask_b32_e64 v17, v17, v10, s5
	v_cndmask_b32_e64 v21, v1, v9, s3
	;; [unrolled: 1-line block ×5, first 2 shown]
	v_cndmask_b32_e32 v17, v17, v3, vcc_lo
	v_cndmask_b32_e64 v20, v20, v14, s4
	v_cndmask_b32_e32 v18, v18, v7, vcc_lo
	v_cmp_eq_u32_e32 vcc_lo, 4, v79
	v_cmp_eq_u32_e64 s4, 5, v79
	v_cmp_eq_u32_e64 s3, 2, v81
	v_cndmask_b32_e64 v21, v21, v2, s7
	v_cmp_eq_u32_e64 s5, 5, v78
	v_cndmask_b32_e32 v19, v19, v3, vcc_lo
	v_cndmask_b32_e32 v20, v20, v7, vcc_lo
	v_cmp_eq_u32_e32 vcc_lo, 6, v79
	s_delay_alu instid0(VALU_DEP_4) | instskip(NEXT) | instid1(VALU_DEP_4)
	v_cndmask_b32_e64 v17, v17, v11, s5
	v_cndmask_b32_e64 v19, v19, v11, s4
	s_delay_alu instid0(VALU_DEP_4) | instskip(SKIP_1) | instid1(VALU_DEP_3)
	v_cndmask_b32_e64 v20, v20, v15, s4
	v_cmp_eq_u32_e64 s4, 1, v81
	v_cndmask_b32_e32 v19, v19, v4, vcc_lo
	v_cndmask_b32_e64 v18, v18, v15, s5
	s_delay_alu instid0(VALU_DEP_3)
	v_cndmask_b32_e64 v1, v1, v9, s4
	v_cndmask_b32_e64 v5, v5, v13, s4
	v_cmp_eq_u32_e64 s4, 3, v77
	v_cndmask_b32_e64 v13, v22, v6, s7
	v_cmp_eq_u32_e64 s7, 3, v81
	v_cndmask_b32_e64 v1, v1, v2, s3
	v_cndmask_b32_e64 v2, v5, v6, s3
	;; [unrolled: 1-line block ×3, first 2 shown]
	v_cmp_eq_u32_e64 s3, 4, v77
	v_cndmask_b32_e64 v6, v13, v14, s4
	v_cndmask_b32_e64 v1, v1, v10, s7
	v_cmp_eq_u32_e64 s4, 4, v81
	v_cndmask_b32_e64 v2, v2, v14, s7
	v_cndmask_b32_e64 v5, v9, v3, s3
	;; [unrolled: 3-line block ×3, first 2 shown]
	v_cndmask_b32_e64 v2, v2, v7, s4
	v_cmp_eq_u32_e64 s3, 5, v81
	v_cmp_eq_u32_e64 s5, 6, v78
	v_cndmask_b32_e64 v5, v5, v11, s7
	v_cmp_eq_u32_e64 s4, 6, v77
	v_cndmask_b32_e64 v3, v6, v15, s7
	v_cndmask_b32_e64 v1, v1, v11, s3
	v_cmp_eq_u32_e64 s7, 6, v81
	v_cndmask_b32_e64 v2, v2, v15, s3
	v_cndmask_b32_e64 v17, v17, v4, s5
	v_cndmask_b32_e64 v18, v18, v8, s5
	v_cmp_eq_u32_e64 s5, 7, v78
	v_cndmask_b32_e64 v5, v5, v4, s4
	;; [unrolled: 4-line block ×3, first 2 shown]
	v_cmp_eq_u32_e64 s4, 7, v77
	v_cndmask_b32_e32 v4, v20, v8, vcc_lo
	v_cndmask_b32_e64 v17, v17, v12, s5
	v_cndmask_b32_e64 v19, v19, v12, s6
	;; [unrolled: 1-line block ×8, first 2 shown]
	v_cmp_gt_u32_e32 vcc_lo, 32, v0
	v_perm_b32 v4, v2, v1, 0x5040100
	v_perm_b32 v3, v3, v5, 0x5040100
	;; [unrolled: 1-line block ×4, first 2 shown]
	s_and_b32 s2, vcc_lo, s2
	ds_store_b128 v76, v[1:4]
	s_waitcnt lgkmcnt(0)
	s_barrier
	buffer_gl0_inv
	s_and_saveexec_b32 s3, s2
	s_cbranch_execz .LBB1417_2
; %bb.111:
	s_load_b64 s[0:1], s[0:1], 0x68
	v_lshlrev_b32_e32 v0, 10, v0
	s_lshl_b32 s4, s34, 6
	v_or_b32_e32 v3, s31, v74
	s_mul_i32 s2, s4, s30
	v_lshlrev_b32_e32 v1, 4, v75
	s_mul_i32 s2, s2, s8
	v_lshlrev_b32_e32 v2, 6, v74
	v_and_b32_e32 v0, 0x3800, v0
	s_ashr_i32 s3, s2, 31
	v_mul_lo_u32 v4, v3, s4
	s_lshl_b64 s[2:3], s[2:3], 1
	s_delay_alu instid0(VALU_DEP_2) | instskip(NEXT) | instid1(VALU_DEP_2)
	v_or3_b32 v16, v0, v1, v2
	v_ashrrev_i32_e32 v5, 31, v4
	ds_load_b128 v[0:3], v16
	s_waitcnt lgkmcnt(0)
	s_add_u32 s2, s0, s2
	s_addc_u32 s3, s1, s3
	s_lshl_b32 s0, s14, 6
	v_lshlrev_b64 v[5:6], 1, v[4:5]
	s_ashr_i32 s1, s0, 31
	s_delay_alu instid0(SALU_CYCLE_1) | instskip(NEXT) | instid1(SALU_CYCLE_1)
	s_lshl_b64 s[0:1], s[0:1], 1
	s_add_u32 s0, s2, s0
	s_addc_u32 s1, s3, s1
	s_lshl_b32 s2, s34, 7
	v_add_co_u32 v30, s0, s0, v73
	v_add_nc_u32_e32 v8, s2, v4
	v_add_co_ci_u32_e64 v31, null, s1, 0, s0
	s_delay_alu instid0(VALU_DEP_3) | instskip(NEXT) | instid1(VALU_DEP_3)
	v_add_co_u32 v12, vcc_lo, v30, v5
	v_add_nc_u32_e32 v10, s2, v8
	v_ashrrev_i32_e32 v9, 31, v8
	s_delay_alu instid0(VALU_DEP_4)
	v_add_co_ci_u32_e32 v13, vcc_lo, v31, v6, vcc_lo
	ds_load_b128 v[4:7], v16 offset:128
	v_ashrrev_i32_e32 v11, 31, v10
	v_lshlrev_b64 v[8:9], 1, v[8:9]
	v_add_nc_u32_e32 v14, s2, v10
	global_store_b128 v[12:13], v[0:3], off
	v_lshlrev_b64 v[0:1], 1, v[10:11]
	v_ashrrev_i32_e32 v15, 31, v14
	v_add_co_u32 v22, vcc_lo, v30, v8
	v_add_nc_u32_e32 v20, s2, v14
	v_add_co_ci_u32_e32 v23, vcc_lo, v31, v9, vcc_lo
	v_add_co_u32 v26, vcc_lo, v30, v0
	v_lshlrev_b64 v[24:25], 1, v[14:15]
	v_add_co_ci_u32_e32 v27, vcc_lo, v31, v1, vcc_lo
	ds_load_b128 v[0:3], v16 offset:256
	ds_load_b128 v[8:11], v16 offset:384
	;; [unrolled: 1-line block ×4, first 2 shown]
	v_add_nc_u32_e32 v28, s2, v20
	v_ashrrev_i32_e32 v21, 31, v20
	v_add_co_u32 v24, vcc_lo, v30, v24
	v_add_co_ci_u32_e32 v25, vcc_lo, v31, v25, vcc_lo
	s_delay_alu instid0(VALU_DEP_4) | instskip(NEXT) | instid1(VALU_DEP_4)
	v_ashrrev_i32_e32 v29, 31, v28
	v_lshlrev_b64 v[20:21], 1, v[20:21]
	s_delay_alu instid0(VALU_DEP_2) | instskip(NEXT) | instid1(VALU_DEP_2)
	v_lshlrev_b64 v[28:29], 1, v[28:29]
	v_add_co_u32 v20, vcc_lo, v30, v20
	s_delay_alu instid0(VALU_DEP_3) | instskip(NEXT) | instid1(VALU_DEP_3)
	v_add_co_ci_u32_e32 v21, vcc_lo, v31, v21, vcc_lo
	v_add_co_u32 v28, vcc_lo, v30, v28
	s_delay_alu instid0(VALU_DEP_4)
	v_add_co_ci_u32_e32 v29, vcc_lo, v31, v29, vcc_lo
	s_waitcnt lgkmcnt(4)
	global_store_b128 v[22:23], v[4:7], off
	s_waitcnt lgkmcnt(3)
	global_store_b128 v[26:27], v[0:3], off
	;; [unrolled: 2-line block ×5, first 2 shown]
	s_nop 0
	s_sendmsg sendmsg(MSG_DEALLOC_VGPRS)
	s_endpgm
	.section	.rodata,"a",@progbits
	.p2align	6, 0x0
	.amdhsa_kernel _Z39paged_attention_ll4mi_QKV_mfma16_kernelI14__hip_bfloat16hLN4vllm18Fp8KVCacheDataTypeE1ES0_Li16ELi64ELi256ELb0ELi12EL8MFMAType1EEvPKT_PKT0_S9_ifPKiSB_SB_iPKfiiiPfSE_PS4_PT2_iSD_SD_
		.amdhsa_group_segment_fixed_size 17472
		.amdhsa_private_segment_fixed_size 0
		.amdhsa_kernarg_size 400
		.amdhsa_user_sgpr_count 13
		.amdhsa_user_sgpr_dispatch_ptr 0
		.amdhsa_user_sgpr_queue_ptr 0
		.amdhsa_user_sgpr_kernarg_segment_ptr 1
		.amdhsa_user_sgpr_dispatch_id 0
		.amdhsa_user_sgpr_private_segment_size 0
		.amdhsa_wavefront_size32 1
		.amdhsa_uses_dynamic_stack 0
		.amdhsa_enable_private_segment 0
		.amdhsa_system_sgpr_workgroup_id_x 1
		.amdhsa_system_sgpr_workgroup_id_y 1
		.amdhsa_system_sgpr_workgroup_id_z 1
		.amdhsa_system_sgpr_workgroup_info 0
		.amdhsa_system_vgpr_workitem_id 0
		.amdhsa_next_free_vgpr 124
		.amdhsa_next_free_sgpr 38
		.amdhsa_reserve_vcc 1
		.amdhsa_float_round_mode_32 0
		.amdhsa_float_round_mode_16_64 0
		.amdhsa_float_denorm_mode_32 3
		.amdhsa_float_denorm_mode_16_64 3
		.amdhsa_dx10_clamp 1
		.amdhsa_ieee_mode 1
		.amdhsa_fp16_overflow 0
		.amdhsa_workgroup_processor_mode 1
		.amdhsa_memory_ordered 1
		.amdhsa_forward_progress 0
		.amdhsa_shared_vgpr_count 0
		.amdhsa_exception_fp_ieee_invalid_op 0
		.amdhsa_exception_fp_denorm_src 0
		.amdhsa_exception_fp_ieee_div_zero 0
		.amdhsa_exception_fp_ieee_overflow 0
		.amdhsa_exception_fp_ieee_underflow 0
		.amdhsa_exception_fp_ieee_inexact 0
		.amdhsa_exception_int_div_zero 0
	.end_amdhsa_kernel
	.section	.text._Z39paged_attention_ll4mi_QKV_mfma16_kernelI14__hip_bfloat16hLN4vllm18Fp8KVCacheDataTypeE1ES0_Li16ELi64ELi256ELb0ELi12EL8MFMAType1EEvPKT_PKT0_S9_ifPKiSB_SB_iPKfiiiPfSE_PS4_PT2_iSD_SD_,"axG",@progbits,_Z39paged_attention_ll4mi_QKV_mfma16_kernelI14__hip_bfloat16hLN4vllm18Fp8KVCacheDataTypeE1ES0_Li16ELi64ELi256ELb0ELi12EL8MFMAType1EEvPKT_PKT0_S9_ifPKiSB_SB_iPKfiiiPfSE_PS4_PT2_iSD_SD_,comdat
.Lfunc_end1417:
	.size	_Z39paged_attention_ll4mi_QKV_mfma16_kernelI14__hip_bfloat16hLN4vllm18Fp8KVCacheDataTypeE1ES0_Li16ELi64ELi256ELb0ELi12EL8MFMAType1EEvPKT_PKT0_S9_ifPKiSB_SB_iPKfiiiPfSE_PS4_PT2_iSD_SD_, .Lfunc_end1417-_Z39paged_attention_ll4mi_QKV_mfma16_kernelI14__hip_bfloat16hLN4vllm18Fp8KVCacheDataTypeE1ES0_Li16ELi64ELi256ELb0ELi12EL8MFMAType1EEvPKT_PKT0_S9_ifPKiSB_SB_iPKfiiiPfSE_PS4_PT2_iSD_SD_
                                        ; -- End function
	.section	.AMDGPU.csdata,"",@progbits
; Kernel info:
; codeLenInByte = 8808
; NumSgprs: 40
; NumVgprs: 124
; ScratchSize: 0
; MemoryBound: 0
; FloatMode: 240
; IeeeMode: 1
; LDSByteSize: 17472 bytes/workgroup (compile time only)
; SGPRBlocks: 4
; VGPRBlocks: 15
; NumSGPRsForWavesPerEU: 40
; NumVGPRsForWavesPerEU: 124
; Occupancy: 10
; WaveLimiterHint : 1
; COMPUTE_PGM_RSRC2:SCRATCH_EN: 0
; COMPUTE_PGM_RSRC2:USER_SGPR: 13
; COMPUTE_PGM_RSRC2:TRAP_HANDLER: 0
; COMPUTE_PGM_RSRC2:TGID_X_EN: 1
; COMPUTE_PGM_RSRC2:TGID_Y_EN: 1
; COMPUTE_PGM_RSRC2:TGID_Z_EN: 1
; COMPUTE_PGM_RSRC2:TIDIG_COMP_CNT: 0
	.section	.text._Z39paged_attention_ll4mi_QKV_mfma16_kernelI14__hip_bfloat16hLN4vllm18Fp8KVCacheDataTypeE1ES0_Li16ELi64ELi256ELb0ELi13EL8MFMAType1EEvPKT_PKT0_S9_ifPKiSB_SB_iPKfiiiPfSE_PS4_PT2_iSD_SD_,"axG",@progbits,_Z39paged_attention_ll4mi_QKV_mfma16_kernelI14__hip_bfloat16hLN4vllm18Fp8KVCacheDataTypeE1ES0_Li16ELi64ELi256ELb0ELi13EL8MFMAType1EEvPKT_PKT0_S9_ifPKiSB_SB_iPKfiiiPfSE_PS4_PT2_iSD_SD_,comdat
	.protected	_Z39paged_attention_ll4mi_QKV_mfma16_kernelI14__hip_bfloat16hLN4vllm18Fp8KVCacheDataTypeE1ES0_Li16ELi64ELi256ELb0ELi13EL8MFMAType1EEvPKT_PKT0_S9_ifPKiSB_SB_iPKfiiiPfSE_PS4_PT2_iSD_SD_ ; -- Begin function _Z39paged_attention_ll4mi_QKV_mfma16_kernelI14__hip_bfloat16hLN4vllm18Fp8KVCacheDataTypeE1ES0_Li16ELi64ELi256ELb0ELi13EL8MFMAType1EEvPKT_PKT0_S9_ifPKiSB_SB_iPKfiiiPfSE_PS4_PT2_iSD_SD_
	.globl	_Z39paged_attention_ll4mi_QKV_mfma16_kernelI14__hip_bfloat16hLN4vllm18Fp8KVCacheDataTypeE1ES0_Li16ELi64ELi256ELb0ELi13EL8MFMAType1EEvPKT_PKT0_S9_ifPKiSB_SB_iPKfiiiPfSE_PS4_PT2_iSD_SD_
	.p2align	8
	.type	_Z39paged_attention_ll4mi_QKV_mfma16_kernelI14__hip_bfloat16hLN4vllm18Fp8KVCacheDataTypeE1ES0_Li16ELi64ELi256ELb0ELi13EL8MFMAType1EEvPKT_PKT0_S9_ifPKiSB_SB_iPKfiiiPfSE_PS4_PT2_iSD_SD_,@function
_Z39paged_attention_ll4mi_QKV_mfma16_kernelI14__hip_bfloat16hLN4vllm18Fp8KVCacheDataTypeE1ES0_Li16ELi64ELi256ELb0ELi13EL8MFMAType1EEvPKT_PKT0_S9_ifPKiSB_SB_iPKfiiiPfSE_PS4_PT2_iSD_SD_: ; @_Z39paged_attention_ll4mi_QKV_mfma16_kernelI14__hip_bfloat16hLN4vllm18Fp8KVCacheDataTypeE1ES0_Li16ELi64ELi256ELb0ELi13EL8MFMAType1EEvPKT_PKT0_S9_ifPKiSB_SB_iPKfiiiPfSE_PS4_PT2_iSD_SD_
; %bb.0:
	s_load_b64 s[2:3], s[0:1], 0x30
	s_mov_b32 s34, s13
	s_waitcnt lgkmcnt(0)
	s_cmp_lg_u64 s[2:3], 0
	s_cselect_b32 s8, -1, 0
	s_ashr_i32 s35, s13, 31
	s_cmp_eq_u64 s[2:3], 0
	s_cbranch_scc1 .LBB1418_3
; %bb.1:
	s_lshl_b64 s[4:5], s[34:35], 2
	s_delay_alu instid0(SALU_CYCLE_1) | instskip(SKIP_4) | instid1(SALU_CYCLE_1)
	s_add_u32 s4, s2, s4
	s_addc_u32 s5, s3, s5
	s_load_b64 s[4:5], s[4:5], 0x0
	s_waitcnt lgkmcnt(0)
	s_sub_i32 s4, s5, s4
	s_cmp_eq_u32 s4, 1
	s_cselect_b32 s4, -1, 0
	s_delay_alu instid0(SALU_CYCLE_1)
	s_and_not1_b32 vcc_lo, exec_lo, s4
	s_cbranch_vccz .LBB1418_4
.LBB1418_2:
	s_nop 0
	s_sendmsg sendmsg(MSG_DEALLOC_VGPRS)
	s_endpgm
.LBB1418_3:
.LBB1418_4:
	s_load_b64 s[4:5], s[0:1], 0x28
	s_lshl_b64 s[6:7], s[34:35], 2
	s_waitcnt lgkmcnt(0)
	s_add_u32 s4, s4, s6
	s_addc_u32 s5, s5, s7
	s_lshl_b32 s12, s14, 8
	s_load_b32 s24, s[4:5], 0x0
	s_waitcnt lgkmcnt(0)
	s_cmp_ge_i32 s12, s24
	s_cbranch_scc1 .LBB1418_2
; %bb.5:
	s_clause 0x1
	s_load_b128 s[20:23], s[0:1], 0x8
	s_load_b64 s[4:5], s[0:1], 0x20
	s_and_not1_b32 vcc_lo, exec_lo, s8
	s_cbranch_vccnz .LBB1418_7
; %bb.6:
	s_add_u32 s2, s2, s6
	s_addc_u32 s3, s3, s7
	s_load_b32 s3, s[2:3], 0x0
	s_branch .LBB1418_8
.LBB1418_7:
	s_mov_b32 s3, s34
.LBB1418_8:
	s_load_b128 s[16:19], s[0:1], 0x48
	v_lshrrev_b32_e32 v66, 5, v0
	v_bfe_u32 v74, v0, 4, 1
	v_and_b32_e32 v65, 15, v0
	v_and_b32_e32 v67, 31, v0
	v_and_b32_e32 v75, 1, v0
	s_mul_i32 s31, s15, 13
	v_lshl_or_b32 v1, v66, 1, v74
	v_lshlrev_b32_e32 v2, 3, v65
	v_cmp_gt_u32_e64 s2, 8, v65
	s_delay_alu instid0(VALU_DEP_3) | instskip(NEXT) | instid1(VALU_DEP_3)
	v_cmp_gt_u32_e32 vcc_lo, 13, v1
	v_lshlrev_b32_e32 v73, 1, v2
	s_delay_alu instid0(VALU_DEP_3) | instskip(NEXT) | instid1(SALU_CYCLE_1)
	s_and_b32 s7, s2, vcc_lo
	s_and_saveexec_b32 s6, s7
	s_cbranch_execz .LBB1418_10
; %bb.9:
	s_load_b64 s[8:9], s[0:1], 0x0
	v_add_lshl_u32 v2, v1, s31, 6
	s_waitcnt lgkmcnt(0)
	s_mul_hi_i32 s11, s3, s16
	s_mul_i32 s10, s3, s16
	v_lshlrev_b32_e32 v6, 10, v65
	s_lshl_b64 s[10:11], s[10:11], 1
	v_ashrrev_i32_e32 v3, 31, v2
	v_lshlrev_b32_e32 v1, 6, v1
	v_lshlrev_b32_e32 v7, 10, v75
	v_and_b32_e32 v6, 0x3800, v6
	s_delay_alu instid0(VALU_DEP_4) | instskip(NEXT) | instid1(VALU_DEP_2)
	v_lshlrev_b64 v[2:3], 1, v[2:3]
	v_or3_b32 v1, v6, v7, v1
	s_add_u32 s3, s8, s10
	s_addc_u32 s7, s9, s11
	s_delay_alu instid0(VALU_DEP_2) | instskip(NEXT) | instid1(VALU_DEP_3)
	v_add_co_u32 v2, vcc_lo, s3, v2
	v_add_co_ci_u32_e32 v3, vcc_lo, s7, v3, vcc_lo
	s_delay_alu instid0(VALU_DEP_2) | instskip(NEXT) | instid1(VALU_DEP_2)
	v_add_co_u32 v2, vcc_lo, v2, v73
	v_add_co_ci_u32_e32 v3, vcc_lo, 0, v3, vcc_lo
	global_load_b128 v[2:5], v[2:3], off
	s_waitcnt vmcnt(0)
	ds_store_b128 v1, v[2:5]
.LBB1418_10:
	s_or_b32 exec_lo, exec_lo, s6
	v_and_b32_e32 v1, 0xef, v0
	s_waitcnt lgkmcnt(0)
	s_add_i32 s3, s24, 15
	s_clause 0x1
	s_load_b32 s6, s[0:1], 0x38
	s_load_b32 s19, s[0:1], 0x1c
	s_ashr_i32 s7, s3, 31
	v_add_nc_u32_e32 v1, s12, v1
	s_lshr_b32 s7, s7, 28
	s_waitcnt lgkmcnt(0)
	s_add_i32 s3, s3, s7
	s_barrier
	v_ashrrev_i32_e32 v2, 31, v1
	v_or_b32_e32 v3, 16, v1
	s_ashr_i32 s3, s3, 4
	v_cmp_gt_i32_e32 vcc_lo, s24, v1
	s_add_i32 s3, s3, -1
	v_lshrrev_b32_e32 v2, 28, v2
	buffer_gl0_inv
	s_mul_i32 s27, s15, s18
	v_add_nc_u32_e32 v4, v1, v2
	s_mul_i32 s6, s34, s6
	s_delay_alu instid0(SALU_CYCLE_1) | instskip(NEXT) | instid1(VALU_DEP_1)
	s_ashr_i32 s7, s6, 31
	v_ashrrev_i32_e32 v4, 4, v4
	v_add_nc_u32_e32 v2, v3, v2
	s_lshl_b64 s[6:7], s[6:7], 2
	s_delay_alu instid0(SALU_CYCLE_1) | instskip(NEXT) | instid1(VALU_DEP_2)
	s_add_u32 s26, s4, s6
	v_cndmask_b32_e32 v1, s3, v4, vcc_lo
	s_delay_alu instid0(VALU_DEP_2)
	v_ashrrev_i32_e32 v2, 4, v2
	v_cmp_gt_i32_e32 vcc_lo, s24, v3
	s_addc_u32 s25, s5, s7
	s_ashr_i32 s28, s27, 31
	s_add_u32 s13, s20, s27
	s_addc_u32 s15, s21, s28
	v_cndmask_b32_e32 v3, s3, v2, vcc_lo
	v_ashrrev_i32_e32 v2, 31, v1
	s_lshl_b32 s4, s14, 4
	s_delay_alu instid0(SALU_CYCLE_1) | instskip(NEXT) | instid1(VALU_DEP_2)
	s_ashr_i32 s5, s4, 31
	v_ashrrev_i32_e32 v4, 31, v3
	s_delay_alu instid0(VALU_DEP_2) | instskip(SKIP_1) | instid1(SALU_CYCLE_1)
	v_lshlrev_b64 v[1:2], 2, v[1:2]
	s_lshl_b64 s[4:5], s[4:5], 2
	s_add_u32 s4, s26, s4
	s_delay_alu instid0(VALU_DEP_2) | instskip(SKIP_1) | instid1(VALU_DEP_2)
	v_lshlrev_b64 v[3:4], 2, v[3:4]
	s_addc_u32 s5, s25, s5
	v_add_co_u32 v1, vcc_lo, s26, v1
	v_add_co_ci_u32_e32 v2, vcc_lo, s25, v2, vcc_lo
	s_delay_alu instid0(VALU_DEP_3) | instskip(NEXT) | instid1(VALU_DEP_4)
	v_add_co_u32 v3, vcc_lo, s26, v3
	v_add_co_ci_u32_e32 v4, vcc_lo, s25, v4, vcc_lo
	s_clause 0x1
	global_load_b32 v5, v[1:2], off
	global_load_b32 v7, v[3:4], off
	s_or_b32 s6, s12, 32
	v_lshlrev_b32_e32 v1, 4, v0
	s_ashr_i32 s7, s6, 4
	s_cmp_lt_i32 s6, s24
	v_cmp_gt_u32_e32 vcc_lo, 13, v65
	s_cselect_b32 s6, s7, s3
	v_and_b32_e32 v1, 0xf0, v1
	s_ashr_i32 s7, s6, 31
	s_delay_alu instid0(SALU_CYCLE_1) | instskip(NEXT) | instid1(SALU_CYCLE_1)
	s_lshl_b64 s[6:7], s[6:7], 2
	s_add_u32 s6, s26, s6
	s_addc_u32 s7, s25, s7
	s_or_b32 s8, s12, 64
	v_add_co_u32 v1, s13, s13, v1
	s_ashr_i32 s9, s8, 4
	s_cmp_lt_i32 s8, s24
	v_add_co_ci_u32_e64 v2, null, s15, 0, s13
	s_cselect_b32 s8, s9, s3
	s_delay_alu instid0(SALU_CYCLE_1) | instskip(NEXT) | instid1(SALU_CYCLE_1)
	s_ashr_i32 s9, s8, 31
	s_lshl_b64 s[8:9], s[8:9], 2
	s_delay_alu instid0(SALU_CYCLE_1) | instskip(SKIP_2) | instid1(SALU_CYCLE_1)
	s_add_u32 s8, s26, s8
	s_addc_u32 s9, s25, s9
	s_or_b32 s10, s12, 0x60
	s_ashr_i32 s11, s10, 4
	s_cmp_lt_i32 s10, s24
	s_cselect_b32 s10, s11, s3
	s_delay_alu instid0(SALU_CYCLE_1) | instskip(NEXT) | instid1(SALU_CYCLE_1)
	s_ashr_i32 s11, s10, 31
	s_lshl_b64 s[10:11], s[10:11], 2
	s_delay_alu instid0(SALU_CYCLE_1) | instskip(SKIP_2) | instid1(SALU_CYCLE_1)
	s_add_u32 s10, s26, s10
	s_addc_u32 s11, s25, s11
	s_or_b32 s16, s12, 0x80
	s_ashr_i32 s18, s16, 4
	s_cmp_lt_i32 s16, s24
	s_cselect_b32 s20, s18, s3
	s_delay_alu instid0(SALU_CYCLE_1) | instskip(NEXT) | instid1(SALU_CYCLE_1)
	s_ashr_i32 s21, s20, 31
	s_lshl_b64 s[20:21], s[20:21], 2
	s_delay_alu instid0(SALU_CYCLE_1) | instskip(SKIP_2) | instid1(SALU_CYCLE_1)
	s_add_u32 s36, s26, s20
	s_addc_u32 s37, s25, s21
	s_or_b32 s16, s12, 0xa0
	s_ashr_i32 s18, s16, 4
	s_cmp_lt_i32 s16, s24
	s_cselect_b32 s20, s18, s3
	s_delay_alu instid0(SALU_CYCLE_1) | instskip(NEXT) | instid1(SALU_CYCLE_1)
	s_ashr_i32 s21, s20, 31
	s_lshl_b64 s[20:21], s[20:21], 2
	s_delay_alu instid0(SALU_CYCLE_1)
	s_add_u32 s38, s26, s20
	s_addc_u32 s39, s25, s21
	s_clause 0x5
	s_load_b32 s21, s[4:5], 0x0
	s_load_b32 s13, s[6:7], 0x0
	;; [unrolled: 1-line block ×6, first 2 shown]
	s_or_b32 s8, s12, 0xc0
	s_mov_b32 s4, 0
	s_ashr_i32 s9, s8, 4
	s_cmp_lt_i32 s8, s24
	s_mov_b32 s11, s4
	s_cselect_b32 s36, s9, s3
	s_mov_b32 s5, s4
	s_ashr_i32 s37, s36, 31
	s_mov_b32 s6, s4
	s_lshl_b64 s[36:37], s[36:37], 2
	s_mov_b32 s7, s4
	s_add_u32 s36, s26, s36
	s_addc_u32 s37, s25, s37
	s_or_b32 s29, s12, 0xe0
	s_mov_b32 s8, s4
	s_ashr_i32 s30, s29, 4
	s_mov_b32 s9, s4
	s_mov_b32 s10, s4
	s_cmp_lt_i32 s29, s24
	v_dual_mov_b32 v107, s11 :: v_dual_mov_b32 v100, s4
	v_mov_b32_e32 v106, s10
	v_dual_mov_b32 v104, s8 :: v_dual_mov_b32 v103, s7
	v_dual_mov_b32 v102, s6 :: v_dual_mov_b32 v101, s5
	s_waitcnt vmcnt(1)
	v_mad_i64_i32 v[3:4], null, v5, s17, v[1:2]
	s_waitcnt vmcnt(0)
	v_mad_i64_i32 v[5:6], null, v7, s17, v[1:2]
	v_add_nc_u32_e32 v1, -13, v65
	v_lshlrev_b32_e32 v2, 4, v65
	s_clause 0x7
	global_load_b128 v[49:52], v[3:4], off
	global_load_b128 v[53:56], v[3:4], off offset:256
	global_load_b128 v[76:79], v[5:6], off
	global_load_b128 v[80:83], v[5:6], off offset:256
	global_load_b128 v[84:87], v[3:4], off offset:512
	;; [unrolled: 1-line block ×5, first 2 shown]
	v_cndmask_b32_e32 v1, v1, v65, vcc_lo
	v_mov_b32_e32 v105, s9
	s_cselect_b32 s4, s30, s3
	v_lshl_or_b32 v2, v66, 8, v2
	s_ashr_i32 s5, s4, 31
	v_lshlrev_b32_e32 v70, 6, v1
	s_lshl_b64 s[4:5], s[4:5], 2
	s_load_b32 s3, s[36:37], 0x0
	s_add_u32 s4, s26, s4
	s_addc_u32 s5, s25, s5
	ds_load_b128 v[108:111], v70
	ds_load_b128 v[112:115], v70 offset:1024
	s_load_b32 s4, s[4:5], 0x0
	s_add_u32 s6, s22, s27
	s_addc_u32 s7, s23, s28
	v_add_co_u32 v9, s6, s6, v2
	s_delay_alu instid0(VALU_DEP_1) | instskip(SKIP_1) | instid1(VALU_DEP_1)
	v_add_co_ci_u32_e64 v10, null, s7, 0, s6
	s_waitcnt lgkmcnt(0)
	v_mad_i64_i32 v[1:2], null, s21, s17, v[9:10]
	v_mad_i64_i32 v[3:4], null, s13, s17, v[9:10]
	v_mad_i64_i32 v[5:6], null, s15, s17, v[9:10]
	v_mad_i64_i32 v[7:8], null, s16, s17, v[9:10]
	v_mad_i64_i32 v[13:14], null, s20, s17, v[9:10]
	v_mad_i64_i32 v[11:12], null, s18, s17, v[9:10]
	v_mad_i64_i32 v[21:22], null, s3, s17, v[9:10]
	s_clause 0x9
	global_load_b128 v[57:60], v[1:2], off
	global_load_b128 v[61:64], v[1:2], off offset:16
	global_load_b128 v[41:44], v[3:4], off
	global_load_b128 v[45:48], v[3:4], off offset:16
	;; [unrolled: 2-line block ×5, first 2 shown]
	v_mad_i64_i32 v[68:69], null, s4, s17, v[9:10]
	s_clause 0x3
	global_load_b128 v[9:12], v[13:14], off
	global_load_b128 v[13:16], v[13:14], off offset:16
	global_load_b128 v[17:20], v[21:22], off
	global_load_b128 v[21:24], v[21:22], off offset:16
	s_waitcnt vmcnt(20)
	v_wmma_f32_16x16x16_bf16 v[116:123], v[49:56], v[108:115], v[100:107]
	s_clause 0x1
	global_load_b128 v[49:52], v[68:69], off
	global_load_b128 v[53:56], v[68:69], off offset:16
	v_and_b32_e32 v68, 0xe0, v0
	v_mbcnt_lo_u32_b32 v69, -1, 0
	s_delay_alu instid0(VALU_DEP_2)
	v_add_nc_u32_e32 v68, s12, v68
	s_waitcnt vmcnt(20)
	v_wmma_f32_16x16x16_bf16 v[100:107], v[76:83], v[108:115], v[100:107]
	ds_load_b128 v[76:79], v70 offset:2048
	ds_load_b128 v[80:83], v70 offset:3072
	v_xor_b32_e32 v70, 16, v69
	s_waitcnt vmcnt(0) lgkmcnt(0)
	v_or_b32_e32 v68, v68, v74
	s_barrier
	buffer_gl0_inv
	v_cmp_gt_i32_e32 vcc_lo, 32, v70
	v_or_b32_e32 v71, 4, v68
	v_or_b32_e32 v72, 6, v68
	v_cmp_gt_i32_e64 s3, s24, v68
	v_or_b32_e32 v108, 8, v68
	v_or_b32_e32 v109, 10, v68
	v_cmp_gt_i32_e64 s4, s24, v71
	v_cmp_gt_i32_e64 s5, s24, v72
	s_delay_alu instid0(VALU_DEP_4) | instskip(NEXT) | instid1(VALU_DEP_4)
	v_cmp_gt_i32_e64 s6, s24, v108
	v_cmp_gt_i32_e64 s7, s24, v109
	v_wmma_f32_16x16x16_bf16 v[116:123], v[84:91], v[76:83], v[116:123]
	v_cndmask_b32_e32 v69, v69, v70, vcc_lo
	v_or_b32_e32 v70, 2, v68
	v_wmma_f32_16x16x16_bf16 v[100:107], v[92:99], v[76:83], v[100:107]
	v_or_b32_e32 v89, 22, v68
	v_dual_mul_f32 v82, s19, v119 :: v_dual_mul_f32 v79, s19, v122
	v_dual_mul_f32 v92, s19, v117 :: v_dual_mul_f32 v93, s19, v116
	s_delay_alu instid0(VALU_DEP_4) | instskip(SKIP_2) | instid1(VALU_DEP_4)
	v_mul_f32_e32 v98, s19, v103
	v_cmp_gt_i32_e32 vcc_lo, s24, v70
	v_dual_mul_f32 v83, s19, v118 :: v_dual_mul_f32 v96, s19, v105
	v_cndmask_b32_e64 v93, 0xff7fffff, v93, s3
	v_or_b32_e32 v84, 12, v68
	v_cndmask_b32_e32 v92, 0xff7fffff, v92, vcc_lo
	v_or_b32_e32 v85, 14, v68
	v_dual_mul_f32 v80, s19, v121 :: v_dual_mul_f32 v81, s19, v120
	v_mul_f32_e32 v94, s19, v107
	v_cndmask_b32_e64 v71, 0xff7fffff, v83, s4
	v_cndmask_b32_e64 v72, 0xff7fffff, v82, s5
	v_cmp_gt_i32_e64 s13, s24, v89
	v_lshlrev_b32_e32 v89, 2, v69
	v_max3_f32 v82, v93, 0xff7fffff, v92
	v_or_b32_e32 v86, 16, v68
	v_or_b32_e32 v87, 18, v68
	v_mul_f32_e32 v78, s19, v123
	v_cndmask_b32_e64 v81, 0xff7fffff, v81, s6
	v_cndmask_b32_e64 v80, 0xff7fffff, v80, s7
	v_max3_f32 v71, v82, v71, v72
	v_cmp_gt_i32_e64 s8, s24, v84
	v_cmp_gt_i32_e64 s9, s24, v85
	v_or_b32_e32 v88, 20, v68
	v_or_b32_e32 v90, 24, v68
	;; [unrolled: 1-line block ×5, first 2 shown]
	v_dual_mul_f32 v95, s19, v106 :: v_dual_mul_f32 v70, s19, v101
	v_dual_mul_f32 v99, s19, v102 :: v_dual_mul_f32 v68, s19, v100
	v_cndmask_b32_e64 v72, 0xff7fffff, v79, s8
	v_cndmask_b32_e64 v78, 0xff7fffff, v78, s9
	v_max3_f32 v71, v71, v81, v80
	v_cmp_gt_i32_e64 s10, s24, v86
	v_cmp_gt_i32_e64 s11, s24, v87
	;; [unrolled: 1-line block ×3, first 2 shown]
	v_mul_f32_e32 v97, s19, v104
	v_max3_f32 v71, v71, v72, v78
	v_cndmask_b32_e64 v68, 0xff7fffff, v68, s10
	v_cndmask_b32_e64 v70, 0xff7fffff, v70, s11
	;; [unrolled: 1-line block ×4, first 2 shown]
	v_cmp_gt_i32_e64 s15, s24, v90
	v_cmp_gt_i32_e64 s16, s24, v91
	v_max3_f32 v68, v71, v68, v70
	v_cmp_gt_i32_e64 s17, s24, v76
	v_cmp_gt_i32_e64 s18, s24, v77
	v_cndmask_b32_e64 v70, 0xff7fffff, v97, s15
	v_cndmask_b32_e64 v71, 0xff7fffff, v96, s16
	v_max3_f32 v68, v68, v72, v78
	v_cndmask_b32_e64 v72, 0xff7fffff, v95, s17
	v_cndmask_b32_e64 v76, 0xff7fffff, v94, s18
	s_delay_alu instid0(VALU_DEP_3) | instskip(NEXT) | instid1(VALU_DEP_1)
	v_max3_f32 v68, v68, v70, v71
	v_max3_f32 v68, v68, v72, v76
	ds_bpermute_b32 v69, v89, v68
	s_waitcnt lgkmcnt(0)
	v_max_f32_e32 v69, v69, v69
	s_delay_alu instid0(VALU_DEP_1) | instskip(NEXT) | instid1(VALU_DEP_1)
	v_max_f32_e32 v68, v68, v69
	v_fma_f32 v69, s19, v116, -v68
	v_fma_f32 v70, s19, v117, -v68
	;; [unrolled: 1-line block ×5, first 2 shown]
	s_delay_alu instid0(VALU_DEP_4) | instskip(NEXT) | instid1(VALU_DEP_4)
	v_dual_mul_f32 v69, 0x3fb8aa3b, v69 :: v_dual_mul_f32 v70, 0x3fb8aa3b, v70
	v_mul_f32_e32 v72, 0x3fb8aa3b, v72
	v_fma_f32 v78, s19, v122, -v68
	s_delay_alu instid0(VALU_DEP_4) | instskip(NEXT) | instid1(VALU_DEP_4)
	v_mul_f32_e32 v77, 0x3fb8aa3b, v76
	v_exp_f32_e32 v69, v69
	v_exp_f32_e32 v70, v70
	v_mul_f32_e32 v71, 0x3fb8aa3b, v71
	v_exp_f32_e32 v72, v72
	v_mul_f32_e32 v78, 0x3fb8aa3b, v78
	v_exp_f32_e32 v77, v77
	v_fma_f32 v81, s19, v105, -v68
	s_delay_alu instid0(VALU_DEP_2)
	v_exp_f32_e32 v78, v78
	v_cndmask_b32_e64 v80, 0, v69, s3
	v_cndmask_b32_e32 v76, 0, v70, vcc_lo
	v_exp_f32_e32 v71, v71
	v_fma_f32 v69, s19, v121, -v68
	v_cndmask_b32_e64 v85, 0, v72, s5
	v_add_f32_e32 v70, 0, v80
	s_delay_alu instid0(TRANS32_DEP_3)
	v_cndmask_b32_e64 v86, 0, v77, s6
	v_fma_f32 v77, s19, v101, -v68
	v_mul_f32_e32 v69, 0x3fb8aa3b, v69
	v_fma_f32 v72, s19, v100, -v68
	v_cndmask_b32_e64 v84, 0, v78, s8
	v_fma_f32 v78, s19, v103, -v68
	v_cndmask_b32_e64 v83, 0, v71, s4
	v_fma_f32 v71, s19, v123, -v68
	v_add_f32_e32 v70, v70, v76
	v_exp_f32_e32 v69, v69
	v_mul_f32_e32 v77, 0x3fb8aa3b, v77
	v_mul_f32_e32 v81, 0x3fb8aa3b, v81
	;; [unrolled: 1-line block ×3, first 2 shown]
	v_add_f32_e32 v70, v70, v83
	v_cmp_gt_u32_e64 s3, 16, v67
	v_exp_f32_e32 v77, v77
	v_exp_f32_e32 v81, v81
	;; [unrolled: 1-line block ×3, first 2 shown]
	v_cndmask_b32_e64 v87, 0, v69, s7
	v_add_f32_e32 v70, v70, v85
	s_delay_alu instid0(VALU_DEP_1) | instskip(SKIP_1) | instid1(VALU_DEP_2)
	v_dual_mul_f32 v72, 0x3fb8aa3b, v72 :: v_dual_add_f32 v69, v70, v86
	v_fma_f32 v70, s19, v102, -v68
	v_exp_f32_e32 v72, v72
	s_waitcnt_depctr 0xfff
	v_cndmask_b32_e64 v88, 0, v71, s9
	v_fma_f32 v71, s19, v104, -v68
	v_dual_add_f32 v69, v69, v87 :: v_dual_mul_f32 v70, 0x3fb8aa3b, v70
	s_delay_alu instid0(VALU_DEP_2) | instskip(NEXT) | instid1(VALU_DEP_2)
	v_dual_mul_f32 v78, 0x3fb8aa3b, v78 :: v_dual_mul_f32 v71, 0x3fb8aa3b, v71
	v_add_f32_e32 v69, v69, v84
	s_delay_alu instid0(VALU_DEP_3) | instskip(SKIP_1) | instid1(VALU_DEP_3)
	v_exp_f32_e32 v79, v70
	v_cndmask_b32_e64 v70, 0, v72, s10
	v_exp_f32_e32 v78, v78
	v_exp_f32_e32 v82, v71
	v_add_f32_e32 v72, v69, v88
	v_cndmask_b32_e64 v69, 0, v77, s11
	v_fma_f32 v77, s19, v106, -v68
	s_delay_alu instid0(VALU_DEP_3) | instskip(NEXT) | instid1(TRANS32_DEP_3)
	v_add_f32_e32 v72, v72, v70
	v_cndmask_b32_e64 v71, 0, v79, s12
	s_delay_alu instid0(VALU_DEP_3) | instskip(NEXT) | instid1(VALU_DEP_3)
	v_mul_f32_e32 v77, 0x3fb8aa3b, v77
	v_add_f32_e32 v79, v72, v69
	s_delay_alu instid0(TRANS32_DEP_2) | instskip(NEXT) | instid1(VALU_DEP_3)
	v_cndmask_b32_e64 v72, 0, v78, s13
	v_exp_f32_e32 v90, v77
	v_cndmask_b32_e64 v77, 0, v82, s15
	s_delay_alu instid0(VALU_DEP_3) | instskip(SKIP_1) | instid1(VALU_DEP_1)
	v_add_f32_e32 v78, v79, v71
	v_fma_f32 v79, s19, v107, -v68
	v_dual_add_f32 v82, v78, v72 :: v_dual_mul_f32 v79, 0x3fb8aa3b, v79
	v_cndmask_b32_e64 v78, 0, v81, s16
	s_delay_alu instid0(VALU_DEP_2) | instskip(NEXT) | instid1(VALU_DEP_3)
	v_add_f32_e32 v81, v82, v77
	v_exp_f32_e32 v82, v79
	s_delay_alu instid0(TRANS32_DEP_2) | instskip(NEXT) | instid1(VALU_DEP_2)
	v_cndmask_b32_e64 v79, 0, v90, s17
	v_add_f32_e32 v81, v81, v78
	s_delay_alu instid0(VALU_DEP_1) | instskip(SKIP_2) | instid1(VALU_DEP_1)
	v_add_f32_e32 v90, v81, v79
	s_waitcnt_depctr 0xfff
	v_cndmask_b32_e64 v81, 0, v82, s18
	v_add_f32_e32 v82, v90, v81
	ds_bpermute_b32 v89, v89, v82
	s_and_saveexec_b32 s4, s3
	s_cbranch_execz .LBB1418_12
; %bb.11:
	v_mul_u32_u24_e32 v67, 0x44, v66
	s_delay_alu instid0(VALU_DEP_1) | instskip(SKIP_1) | instid1(VALU_DEP_1)
	v_lshl_add_u32 v67, v65, 2, v67
	s_waitcnt lgkmcnt(0)
	v_dual_add_f32 v82, v82, v89 :: v_dual_add_nc_u32 v67, 0x4000, v67
	ds_store_2addr_b32 v67, v68, v82 offset1:136
.LBB1418_12:
	s_or_b32 exec_lo, exec_lo, s4
	v_lshlrev_b32_e32 v67, 2, v65
	s_waitcnt lgkmcnt(0)
	s_barrier
	buffer_gl0_inv
	v_cmp_eq_u32_e32 vcc_lo, 1, v66
	v_add_nc_u32_e32 v82, 0x4000, v67
	v_cmp_eq_u32_e64 s4, 2, v66
	v_cmp_eq_u32_e64 s6, 7, v66
	ds_load_2addr_b32 v[89:90], v82 offset1:17
	ds_load_2addr_b32 v[91:92], v82 offset0:34 offset1:51
	ds_load_2addr_b32 v[93:94], v82 offset0:68 offset1:85
	;; [unrolled: 1-line block ×4, first 2 shown]
	s_waitcnt lgkmcnt(4)
	v_max3_f32 v67, v89, 0xff7fffff, v90
	s_waitcnt lgkmcnt(3)
	s_delay_alu instid0(VALU_DEP_1) | instskip(SKIP_1) | instid1(VALU_DEP_1)
	v_max3_f32 v67, v67, v91, v92
	s_waitcnt lgkmcnt(2)
	v_max3_f32 v67, v67, v93, v94
	s_waitcnt lgkmcnt(1)
	s_delay_alu instid0(VALU_DEP_1) | instskip(NEXT) | instid1(VALU_DEP_1)
	v_max3_f32 v67, v67, v95, v96
	v_sub_f32_e32 v93, v93, v67
	s_delay_alu instid0(VALU_DEP_1) | instskip(NEXT) | instid1(VALU_DEP_1)
	v_dual_sub_f32 v68, v89, v67 :: v_dual_mul_f32 v103, 0x3fb8aa3b, v93
	v_mul_f32_e32 v68, 0x3fb8aa3b, v68
	s_delay_alu instid0(VALU_DEP_1)
	v_exp_f32_e32 v100, v68
	v_sub_f32_e32 v68, v92, v67
	v_sub_f32_e32 v99, v90, v67
	ds_load_2addr_b32 v[89:90], v82 offset0:170 offset1:187
	v_dual_mul_f32 v102, 0x3fb8aa3b, v68 :: v_dual_mul_f32 v99, 0x3fb8aa3b, v99
	s_waitcnt lgkmcnt(1)
	v_fma_f32 v68, v100, v97, 0
	s_delay_alu instid0(VALU_DEP_2) | instskip(NEXT) | instid1(VALU_DEP_2)
	v_exp_f32_e32 v102, v102
	v_exp_f32_e32 v99, v99
	s_waitcnt_depctr 0xfff
	v_fmac_f32_e32 v68, v99, v98
	v_sub_f32_e32 v91, v91, v67
	s_delay_alu instid0(VALU_DEP_1)
	v_mul_f32_e32 v101, 0x3fb8aa3b, v91
	ds_load_2addr_b32 v[91:92], v82 offset0:204 offset1:221
	v_sub_f32_e32 v97, v94, v67
	ds_load_2addr_b32 v[93:94], v82 offset0:238 offset1:255
	s_waitcnt lgkmcnt(0)
	v_exp_f32_e32 v101, v101
	s_barrier
	buffer_gl0_inv
	v_dual_fmac_f32 v68, v101, v89 :: v_dual_sub_f32 v89, v96, v67
	v_dual_sub_f32 v82, v95, v67 :: v_dual_mul_f32 v95, 0x3fb8aa3b, v97
	v_exp_f32_e32 v97, v103
	s_delay_alu instid0(VALU_DEP_2) | instskip(NEXT) | instid1(VALU_DEP_2)
	v_dual_fmac_f32 v68, v102, v90 :: v_dual_mul_f32 v89, 0x3fb8aa3b, v89
	v_mul_f32_e32 v82, 0x3fb8aa3b, v82
	s_delay_alu instid0(VALU_DEP_3) | instskip(NEXT) | instid1(VALU_DEP_2)
	v_exp_f32_e32 v95, v95
	v_exp_f32_e32 v89, v89
	s_delay_alu instid0(VALU_DEP_1)
	v_exp_f32_e32 v82, v82
	v_fmac_f32_e32 v68, v97, v91
	s_delay_alu instid0(TRANS32_DEP_3) | instid1(VALU_DEP_1)
	v_fmac_f32_e32 v68, v95, v92
	s_waitcnt_depctr 0xfff
	v_fmac_f32_e32 v68, v82, v93
	s_delay_alu instid0(VALU_DEP_1) | instskip(NEXT) | instid1(VALU_DEP_1)
	v_fmac_f32_e32 v68, v89, v94
	v_add_f32_e32 v90, 0x358637bd, v68
	s_delay_alu instid0(VALU_DEP_1) | instskip(NEXT) | instid1(VALU_DEP_1)
	v_div_scale_f32 v91, null, v90, v90, 1.0
	v_rcp_f32_e32 v92, v91
	s_waitcnt_depctr 0xfff
	v_fma_f32 v93, -v91, v92, 1.0
	s_delay_alu instid0(VALU_DEP_1) | instskip(SKIP_1) | instid1(VALU_DEP_2)
	v_dual_fmac_f32 v92, v93, v92 :: v_dual_cndmask_b32 v93, v100, v99
	v_cmp_eq_u32_e32 vcc_lo, 3, v66
	v_cndmask_b32_e64 v93, v93, v101, s4
	v_cmp_eq_u32_e64 s4, 4, v66
	s_delay_alu instid0(VALU_DEP_2) | instskip(SKIP_1) | instid1(VALU_DEP_2)
	v_cndmask_b32_e32 v93, v93, v102, vcc_lo
	v_cmp_eq_u32_e32 vcc_lo, 5, v66
	v_cndmask_b32_e64 v93, v93, v97, s4
	v_cmp_eq_u32_e64 s4, 6, v66
	s_delay_alu instid0(VALU_DEP_2) | instskip(SKIP_1) | instid1(VALU_DEP_1)
	v_cndmask_b32_e32 v93, v93, v95, vcc_lo
	v_div_scale_f32 v94, s5, 1.0, v90, 1.0
	s_mov_b32 vcc_lo, s5
	s_delay_alu instid0(VALU_DEP_2) | instskip(NEXT) | instid1(VALU_DEP_2)
	v_cndmask_b32_e64 v82, v93, v82, s4
	v_mul_f32_e32 v96, v94, v92
	s_mov_b32 s4, exec_lo
	s_delay_alu instid0(VALU_DEP_2) | instskip(NEXT) | instid1(VALU_DEP_2)
	v_cndmask_b32_e64 v82, v82, v89, s6
	v_fma_f32 v98, -v91, v96, v94
	s_delay_alu instid0(VALU_DEP_1) | instskip(NEXT) | instid1(VALU_DEP_1)
	v_fmac_f32_e32 v96, v98, v92
	v_fma_f32 v91, -v91, v96, v94
	s_delay_alu instid0(VALU_DEP_1) | instskip(NEXT) | instid1(VALU_DEP_1)
	v_div_fmas_f32 v91, v91, v92, v96
	v_div_fixup_f32 v90, v91, v90, 1.0
	s_delay_alu instid0(VALU_DEP_1) | instskip(NEXT) | instid1(VALU_DEP_1)
	v_mul_f32_e32 v82, v82, v90
	v_mul_f32_e32 v87, v82, v87
	;; [unrolled: 1-line block ×7, first 2 shown]
	v_dual_mul_f32 v86, v82, v83 :: v_dual_and_b32 v91, 0x7f800000, v90
	v_mul_f32_e32 v85, v82, v76
                                        ; implicit-def: $vgpr76
	s_delay_alu instid0(VALU_DEP_2)
	v_cmpx_ne_u32_e32 0x7f800000, v91
	s_xor_b32 s4, exec_lo, s4
; %bb.13:
	v_bfe_u32 v76, v90, 16, 1
	s_delay_alu instid0(VALU_DEP_1)
	v_add3_u32 v76, v90, v76, 0x7fff
                                        ; implicit-def: $vgpr90
; %bb.14:
	s_and_not1_saveexec_b32 s4, s4
; %bb.15:
	v_and_b32_e32 v76, 0xffff, v90
	v_or_b32_e32 v83, 0x10000, v90
	s_delay_alu instid0(VALU_DEP_2) | instskip(NEXT) | instid1(VALU_DEP_2)
	v_cmp_eq_u32_e32 vcc_lo, 0, v76
	v_cndmask_b32_e32 v76, v83, v90, vcc_lo
; %bb.16:
	s_or_b32 exec_lo, exec_lo, s4
	v_and_b32_e32 v83, 0x7f800000, v85
	s_delay_alu instid0(VALU_DEP_1) | instskip(SKIP_1) | instid1(SALU_CYCLE_1)
	v_cmp_ne_u32_e32 vcc_lo, 0x7f800000, v83
                                        ; implicit-def: $vgpr83
	s_and_saveexec_b32 s4, vcc_lo
	s_xor_b32 s4, exec_lo, s4
; %bb.17:
	v_bfe_u32 v83, v85, 16, 1
	s_delay_alu instid0(VALU_DEP_1)
	v_add3_u32 v83, v85, v83, 0x7fff
                                        ; implicit-def: $vgpr85
; %bb.18:
	s_and_not1_saveexec_b32 s4, s4
; %bb.19:
	v_and_b32_e32 v83, 0xffff, v85
	v_or_b32_e32 v90, 0x10000, v85
	s_delay_alu instid0(VALU_DEP_2) | instskip(NEXT) | instid1(VALU_DEP_2)
	v_cmp_eq_u32_e32 vcc_lo, 0, v83
	v_cndmask_b32_e32 v83, v90, v85, vcc_lo
; %bb.20:
	s_or_b32 exec_lo, exec_lo, s4
	v_and_b32_e32 v85, 0x7f800000, v86
	s_delay_alu instid0(VALU_DEP_1) | instskip(SKIP_1) | instid1(SALU_CYCLE_1)
	v_cmp_ne_u32_e32 vcc_lo, 0x7f800000, v85
                                        ; implicit-def: $vgpr85
	s_and_saveexec_b32 s4, vcc_lo
	s_xor_b32 s4, exec_lo, s4
; %bb.21:
	v_bfe_u32 v85, v86, 16, 1
	s_delay_alu instid0(VALU_DEP_1)
	v_add3_u32 v85, v86, v85, 0x7fff
                                        ; implicit-def: $vgpr86
; %bb.22:
	s_and_not1_saveexec_b32 s4, s4
; %bb.23:
	v_and_b32_e32 v85, 0xffff, v86
	v_or_b32_e32 v90, 0x10000, v86
	s_delay_alu instid0(VALU_DEP_2) | instskip(NEXT) | instid1(VALU_DEP_2)
	v_cmp_eq_u32_e32 vcc_lo, 0, v85
	v_cndmask_b32_e32 v85, v90, v86, vcc_lo
; %bb.24:
	s_or_b32 exec_lo, exec_lo, s4
	v_and_b32_e32 v86, 0x7f800000, v89
	s_delay_alu instid0(VALU_DEP_1) | instskip(SKIP_1) | instid1(SALU_CYCLE_1)
	v_cmp_ne_u32_e32 vcc_lo, 0x7f800000, v86
                                        ; implicit-def: $vgpr86
	s_and_saveexec_b32 s4, vcc_lo
	s_xor_b32 s4, exec_lo, s4
; %bb.25:
	v_bfe_u32 v86, v89, 16, 1
	s_delay_alu instid0(VALU_DEP_1)
	v_add3_u32 v86, v89, v86, 0x7fff
                                        ; implicit-def: $vgpr89
; %bb.26:
	s_and_not1_saveexec_b32 s4, s4
; %bb.27:
	v_and_b32_e32 v86, 0xffff, v89
	v_or_b32_e32 v90, 0x10000, v89
	s_delay_alu instid0(VALU_DEP_2) | instskip(NEXT) | instid1(VALU_DEP_2)
	v_cmp_eq_u32_e32 vcc_lo, 0, v86
	v_cndmask_b32_e32 v86, v90, v89, vcc_lo
; %bb.28:
	s_or_b32 exec_lo, exec_lo, s4
	v_and_b32_e32 v89, 0x7f800000, v88
	s_delay_alu instid0(VALU_DEP_1) | instskip(SKIP_1) | instid1(SALU_CYCLE_1)
	v_cmp_ne_u32_e32 vcc_lo, 0x7f800000, v89
                                        ; implicit-def: $vgpr89
	s_and_saveexec_b32 s4, vcc_lo
	s_xor_b32 s4, exec_lo, s4
; %bb.29:
	v_bfe_u32 v89, v88, 16, 1
	s_delay_alu instid0(VALU_DEP_1)
	v_add3_u32 v89, v88, v89, 0x7fff
                                        ; implicit-def: $vgpr88
; %bb.30:
	s_and_not1_saveexec_b32 s4, s4
; %bb.31:
	v_and_b32_e32 v89, 0xffff, v88
	v_or_b32_e32 v90, 0x10000, v88
	s_delay_alu instid0(VALU_DEP_2) | instskip(NEXT) | instid1(VALU_DEP_2)
	v_cmp_eq_u32_e32 vcc_lo, 0, v89
	v_cndmask_b32_e32 v89, v90, v88, vcc_lo
; %bb.32:
	s_or_b32 exec_lo, exec_lo, s4
	v_and_b32_e32 v88, 0x7f800000, v87
	s_delay_alu instid0(VALU_DEP_1) | instskip(SKIP_1) | instid1(SALU_CYCLE_1)
	v_cmp_ne_u32_e32 vcc_lo, 0x7f800000, v88
                                        ; implicit-def: $vgpr88
	s_and_saveexec_b32 s4, vcc_lo
	s_xor_b32 s4, exec_lo, s4
; %bb.33:
	v_bfe_u32 v88, v87, 16, 1
	s_delay_alu instid0(VALU_DEP_1)
	v_add3_u32 v88, v87, v88, 0x7fff
                                        ; implicit-def: $vgpr87
; %bb.34:
	s_and_not1_saveexec_b32 s4, s4
; %bb.35:
	v_and_b32_e32 v88, 0xffff, v87
	v_or_b32_e32 v90, 0x10000, v87
	s_delay_alu instid0(VALU_DEP_2) | instskip(NEXT) | instid1(VALU_DEP_2)
	v_cmp_eq_u32_e32 vcc_lo, 0, v88
	v_cndmask_b32_e32 v88, v90, v87, vcc_lo
; %bb.36:
	s_or_b32 exec_lo, exec_lo, s4
	v_and_b32_e32 v87, 0x7f800000, v84
	s_delay_alu instid0(VALU_DEP_1) | instskip(SKIP_1) | instid1(SALU_CYCLE_1)
	v_cmp_ne_u32_e32 vcc_lo, 0x7f800000, v87
                                        ; implicit-def: $vgpr87
	s_and_saveexec_b32 s4, vcc_lo
	s_xor_b32 s4, exec_lo, s4
; %bb.37:
	v_bfe_u32 v87, v84, 16, 1
	s_delay_alu instid0(VALU_DEP_1)
	v_add3_u32 v87, v84, v87, 0x7fff
                                        ; implicit-def: $vgpr84
; %bb.38:
	s_and_not1_saveexec_b32 s4, s4
; %bb.39:
	v_and_b32_e32 v87, 0xffff, v84
	v_or_b32_e32 v90, 0x10000, v84
	s_delay_alu instid0(VALU_DEP_2) | instskip(NEXT) | instid1(VALU_DEP_2)
	v_cmp_eq_u32_e32 vcc_lo, 0, v87
	v_cndmask_b32_e32 v87, v90, v84, vcc_lo
; %bb.40:
	s_or_b32 exec_lo, exec_lo, s4
	v_and_b32_e32 v84, 0x7f800000, v80
	s_delay_alu instid0(VALU_DEP_1) | instskip(SKIP_1) | instid1(SALU_CYCLE_1)
	v_cmp_ne_u32_e32 vcc_lo, 0x7f800000, v84
                                        ; implicit-def: $vgpr84
	s_and_saveexec_b32 s4, vcc_lo
	s_xor_b32 s4, exec_lo, s4
; %bb.41:
	v_bfe_u32 v84, v80, 16, 1
	s_delay_alu instid0(VALU_DEP_1)
	v_add3_u32 v84, v80, v84, 0x7fff
                                        ; implicit-def: $vgpr80
; %bb.42:
	s_and_not1_saveexec_b32 s4, s4
; %bb.43:
	v_and_b32_e32 v84, 0xffff, v80
	v_or_b32_e32 v90, 0x10000, v80
	s_delay_alu instid0(VALU_DEP_2) | instskip(NEXT) | instid1(VALU_DEP_2)
	v_cmp_eq_u32_e32 vcc_lo, 0, v84
	v_cndmask_b32_e32 v84, v90, v80, vcc_lo
; %bb.44:
	s_or_b32 exec_lo, exec_lo, s4
	s_load_b64 s[36:37], s[0:1], 0x94
	v_lshlrev_b32_e32 v91, 4, v74
	s_delay_alu instid0(VALU_DEP_2)
	v_perm_b32 v90, v84, v87, 0x7060302
	v_dual_mul_f32 v79, v82, v79 :: v_dual_lshlrev_b32 v80, 6, v65
	v_dual_mul_f32 v77, v82, v77 :: v_dual_lshlrev_b32 v92, 11, v66
	v_mul_f32_e32 v84, v82, v70
	v_perm_b32 v89, v88, v89, 0x7060302
	v_perm_b32 v88, v86, v85, 0x7060302
	;; [unrolled: 1-line block ×3, first 2 shown]
	v_mul_f32_e32 v70, v82, v81
	v_or3_b32 v76, v91, v92, v80
	v_dual_mul_f32 v78, v82, v78 :: v_dual_and_b32 v85, 0x7f800000, v84
	v_mul_f32_e32 v83, v82, v72
	v_mul_f32_e32 v81, v82, v71
	;; [unrolled: 1-line block ×3, first 2 shown]
	s_mov_b32 s4, exec_lo
	ds_store_b128 v76, v[87:90]
                                        ; implicit-def: $vgpr69
	v_cmpx_ne_u32_e32 0x7f800000, v85
	s_xor_b32 s4, exec_lo, s4
; %bb.45:
	v_bfe_u32 v69, v84, 16, 1
	s_delay_alu instid0(VALU_DEP_1)
	v_add3_u32 v69, v84, v69, 0x7fff
                                        ; implicit-def: $vgpr84
; %bb.46:
	s_and_not1_saveexec_b32 s4, s4
; %bb.47:
	v_and_b32_e32 v69, 0xffff, v84
	v_or_b32_e32 v71, 0x10000, v84
	s_delay_alu instid0(VALU_DEP_2) | instskip(NEXT) | instid1(VALU_DEP_2)
	v_cmp_eq_u32_e32 vcc_lo, 0, v69
	v_cndmask_b32_e32 v69, v71, v84, vcc_lo
; %bb.48:
	s_or_b32 exec_lo, exec_lo, s4
	v_and_b32_e32 v71, 0x7f800000, v72
	s_delay_alu instid0(VALU_DEP_1) | instskip(SKIP_1) | instid1(SALU_CYCLE_1)
	v_cmp_ne_u32_e32 vcc_lo, 0x7f800000, v71
                                        ; implicit-def: $vgpr71
	s_and_saveexec_b32 s4, vcc_lo
	s_xor_b32 s4, exec_lo, s4
; %bb.49:
	v_bfe_u32 v71, v72, 16, 1
	s_delay_alu instid0(VALU_DEP_1)
	v_add3_u32 v71, v72, v71, 0x7fff
                                        ; implicit-def: $vgpr72
; %bb.50:
	s_and_not1_saveexec_b32 s4, s4
; %bb.51:
	v_and_b32_e32 v71, 0xffff, v72
	v_or_b32_e32 v82, 0x10000, v72
	s_delay_alu instid0(VALU_DEP_2) | instskip(NEXT) | instid1(VALU_DEP_2)
	v_cmp_eq_u32_e32 vcc_lo, 0, v71
	v_cndmask_b32_e32 v71, v82, v72, vcc_lo
; %bb.52:
	s_or_b32 exec_lo, exec_lo, s4
	v_and_b32_e32 v72, 0x7f800000, v81
	s_delay_alu instid0(VALU_DEP_1) | instskip(SKIP_1) | instid1(SALU_CYCLE_1)
	v_cmp_ne_u32_e32 vcc_lo, 0x7f800000, v72
                                        ; implicit-def: $vgpr72
	s_and_saveexec_b32 s4, vcc_lo
	s_xor_b32 s4, exec_lo, s4
; %bb.53:
	v_bfe_u32 v72, v81, 16, 1
	s_delay_alu instid0(VALU_DEP_1)
	v_add3_u32 v72, v81, v72, 0x7fff
                                        ; implicit-def: $vgpr81
; %bb.54:
	s_and_not1_saveexec_b32 s4, s4
; %bb.55:
	v_and_b32_e32 v72, 0xffff, v81
	v_or_b32_e32 v82, 0x10000, v81
	s_delay_alu instid0(VALU_DEP_2) | instskip(NEXT) | instid1(VALU_DEP_2)
	v_cmp_eq_u32_e32 vcc_lo, 0, v72
	v_cndmask_b32_e32 v72, v82, v81, vcc_lo
; %bb.56:
	s_or_b32 exec_lo, exec_lo, s4
	v_and_b32_e32 v81, 0x7f800000, v83
	s_delay_alu instid0(VALU_DEP_1) | instskip(SKIP_1) | instid1(SALU_CYCLE_1)
	v_cmp_ne_u32_e32 vcc_lo, 0x7f800000, v81
                                        ; implicit-def: $vgpr81
	s_and_saveexec_b32 s4, vcc_lo
	s_xor_b32 s4, exec_lo, s4
; %bb.57:
	v_bfe_u32 v81, v83, 16, 1
	s_delay_alu instid0(VALU_DEP_1)
	v_add3_u32 v81, v83, v81, 0x7fff
                                        ; implicit-def: $vgpr83
; %bb.58:
	s_and_not1_saveexec_b32 s4, s4
; %bb.59:
	v_and_b32_e32 v81, 0xffff, v83
	v_or_b32_e32 v82, 0x10000, v83
	s_delay_alu instid0(VALU_DEP_2) | instskip(NEXT) | instid1(VALU_DEP_2)
	v_cmp_eq_u32_e32 vcc_lo, 0, v81
	v_cndmask_b32_e32 v81, v82, v83, vcc_lo
; %bb.60:
	s_or_b32 exec_lo, exec_lo, s4
	v_and_b32_e32 v82, 0x7f800000, v77
	s_delay_alu instid0(VALU_DEP_1) | instskip(SKIP_1) | instid1(SALU_CYCLE_1)
	v_cmp_ne_u32_e32 vcc_lo, 0x7f800000, v82
                                        ; implicit-def: $vgpr82
	s_and_saveexec_b32 s4, vcc_lo
	s_xor_b32 s4, exec_lo, s4
; %bb.61:
	v_bfe_u32 v82, v77, 16, 1
	s_delay_alu instid0(VALU_DEP_1)
	v_add3_u32 v82, v77, v82, 0x7fff
                                        ; implicit-def: $vgpr77
; %bb.62:
	s_and_not1_saveexec_b32 s4, s4
; %bb.63:
	v_and_b32_e32 v82, 0xffff, v77
	v_or_b32_e32 v83, 0x10000, v77
	s_delay_alu instid0(VALU_DEP_2) | instskip(NEXT) | instid1(VALU_DEP_2)
	v_cmp_eq_u32_e32 vcc_lo, 0, v82
	v_cndmask_b32_e32 v82, v83, v77, vcc_lo
; %bb.64:
	s_or_b32 exec_lo, exec_lo, s4
	v_and_b32_e32 v77, 0x7f800000, v78
	s_delay_alu instid0(VALU_DEP_1) | instskip(SKIP_1) | instid1(SALU_CYCLE_1)
	v_cmp_ne_u32_e32 vcc_lo, 0x7f800000, v77
                                        ; implicit-def: $vgpr77
	s_and_saveexec_b32 s4, vcc_lo
	s_xor_b32 s4, exec_lo, s4
; %bb.65:
	v_bfe_u32 v77, v78, 16, 1
	s_delay_alu instid0(VALU_DEP_1)
	v_add3_u32 v77, v78, v77, 0x7fff
                                        ; implicit-def: $vgpr78
; %bb.66:
	s_and_not1_saveexec_b32 s4, s4
; %bb.67:
	v_and_b32_e32 v77, 0xffff, v78
	v_or_b32_e32 v83, 0x10000, v78
	s_delay_alu instid0(VALU_DEP_2) | instskip(NEXT) | instid1(VALU_DEP_2)
	v_cmp_eq_u32_e32 vcc_lo, 0, v77
	v_cndmask_b32_e32 v77, v83, v78, vcc_lo
; %bb.68:
	s_or_b32 exec_lo, exec_lo, s4
	v_and_b32_e32 v78, 0x7f800000, v79
	s_delay_alu instid0(VALU_DEP_1) | instskip(SKIP_1) | instid1(SALU_CYCLE_1)
	v_cmp_ne_u32_e32 vcc_lo, 0x7f800000, v78
                                        ; implicit-def: $vgpr78
	s_and_saveexec_b32 s4, vcc_lo
	s_xor_b32 s4, exec_lo, s4
; %bb.69:
	v_bfe_u32 v78, v79, 16, 1
	s_delay_alu instid0(VALU_DEP_1)
	v_add3_u32 v78, v79, v78, 0x7fff
                                        ; implicit-def: $vgpr79
; %bb.70:
	s_and_not1_saveexec_b32 s4, s4
; %bb.71:
	v_and_b32_e32 v78, 0xffff, v79
	v_or_b32_e32 v83, 0x10000, v79
	s_delay_alu instid0(VALU_DEP_2) | instskip(NEXT) | instid1(VALU_DEP_2)
	v_cmp_eq_u32_e32 vcc_lo, 0, v78
	v_cndmask_b32_e32 v78, v83, v79, vcc_lo
; %bb.72:
	s_or_b32 exec_lo, exec_lo, s4
	v_and_b32_e32 v79, 0x7f800000, v70
	s_delay_alu instid0(VALU_DEP_1) | instskip(SKIP_1) | instid1(SALU_CYCLE_1)
	v_cmp_ne_u32_e32 vcc_lo, 0x7f800000, v79
                                        ; implicit-def: $vgpr79
	s_and_saveexec_b32 s4, vcc_lo
	s_xor_b32 s4, exec_lo, s4
; %bb.73:
	v_bfe_u32 v79, v70, 16, 1
	s_delay_alu instid0(VALU_DEP_1)
	v_add3_u32 v79, v70, v79, 0x7fff
                                        ; implicit-def: $vgpr70
; %bb.74:
	s_and_not1_saveexec_b32 s4, s4
; %bb.75:
	v_and_b32_e32 v79, 0xffff, v70
	v_or_b32_e32 v83, 0x10000, v70
	s_delay_alu instid0(VALU_DEP_2) | instskip(NEXT) | instid1(VALU_DEP_2)
	v_cmp_eq_u32_e32 vcc_lo, 0, v79
	v_cndmask_b32_e32 v79, v83, v70, vcc_lo
; %bb.76:
	s_or_b32 exec_lo, exec_lo, s4
	s_delay_alu instid0(VALU_DEP_1)
	v_perm_b32 v86, v79, v78, 0x7060302
	v_perm_b32 v85, v77, v82, 0x7060302
	;; [unrolled: 1-line block ×4, first 2 shown]
	v_lshl_or_b32 v82, v66, 11, v80
	ds_store_b128 v76, v[83:86] offset:1024
	s_waitcnt lgkmcnt(0)
	s_barrier
	buffer_gl0_inv
	ds_load_b128 v[69:72], v82
	ds_load_b128 v[83:86], v82 offset:16
	s_waitcnt lgkmcnt(1)
	v_lshrrev_b32_e32 v66, 16, v69
	s_waitcnt lgkmcnt(0)
	v_lshrrev_b32_e32 v91, 16, v83
	v_lshlrev_b32_e32 v78, 2, v74
	v_lshrrev_b32_e32 v95, 16, v70
	v_lshrrev_b32_e32 v98, 16, v84
	;; [unrolled: 1-line block ×4, first 2 shown]
	v_cmp_eq_u32_e32 vcc_lo, 1, v78
	v_lshrrev_b32_e32 v97, 16, v72
	v_lshrrev_b32_e32 v100, 16, v86
	v_cndmask_b32_e32 v87, v83, v91, vcc_lo
	v_or_b32_e32 v79, 1, v78
	v_cndmask_b32_e32 v81, v69, v66, vcc_lo
	v_cmp_eq_u32_e64 s5, 2, v78
	v_cmp_eq_u32_e64 s8, 3, v78
	;; [unrolled: 1-line block ×5, first 2 shown]
	v_cndmask_b32_e64 v81, v81, v70, s5
	v_cndmask_b32_e64 v87, v87, v84, s5
	v_cmp_eq_u32_e64 s9, 3, v79
	v_cndmask_b32_e64 v88, v69, v66, s4
	v_or_b32_e32 v77, 2, v78
	v_cndmask_b32_e64 v81, v81, v95, s8
	v_cndmask_b32_e64 v87, v87, v98, s8
	;; [unrolled: 1-line block ×4, first 2 shown]
	v_cmp_eq_u32_e64 s11, 5, v78
	v_cndmask_b32_e64 v81, v81, v71, s10
	v_cndmask_b32_e64 v87, v87, v85, s10
	v_cmp_eq_u32_e64 s12, 4, v79
	v_cndmask_b32_e64 v88, v88, v95, s9
	v_cmp_eq_u32_e64 s6, 1, v77
	v_cndmask_b32_e64 v89, v89, v84, s7
	v_cndmask_b32_e64 v81, v81, v96, s11
	v_cmp_eq_u32_e64 s13, 6, v78
	v_cndmask_b32_e64 v88, v88, v71, s12
	v_cndmask_b32_e64 v87, v87, v99, s11
	v_cmp_eq_u32_e64 s15, 5, v79
	v_cndmask_b32_e64 v90, v69, v66, s6
	v_cndmask_b32_e64 v89, v89, v98, s9
	v_cndmask_b32_e64 v81, v81, v72, s13
	v_cmp_eq_u32_e64 s16, 7, v78
	v_cndmask_b32_e64 v88, v88, v96, s15
	v_cndmask_b32_e64 v87, v87, v86, s13
	v_cmp_eq_u32_e64 s17, 6, v79
	v_cmp_eq_u32_e64 s18, 2, v77
	v_cndmask_b32_e64 v89, v89, v85, s12
	v_cndmask_b32_e64 v101, v81, v97, s16
	;; [unrolled: 1-line block ×6, first 2 shown]
	v_cmp_eq_u32_e64 s19, 7, v79
	v_cmp_eq_u32_e64 s20, 3, v77
	;; [unrolled: 1-line block ×4, first 2 shown]
	v_cndmask_b32_e64 v87, v87, v84, s18
	v_cndmask_b32_e64 v103, v88, v97, s19
	;; [unrolled: 1-line block ×4, first 2 shown]
	v_or_b32_e32 v81, 3, v78
	v_cndmask_b32_e64 v93, v87, v98, s20
	v_cmp_eq_u32_e64 s25, 6, v77
	v_cndmask_b32_e64 v104, v88, v86, s17
	v_cndmask_b32_e64 v92, v89, v71, s21
	v_cmp_eq_u32_e64 s22, 1, v81
	ds_load_b128 v[87:90], v82 offset:1024
	v_cmp_eq_u32_e64 s24, 2, v81
	v_cmp_eq_u32_e64 s26, 3, v81
	v_cndmask_b32_e64 v105, v92, v96, s23
	v_cndmask_b32_e64 v66, v69, v66, s22
	;; [unrolled: 1-line block ×4, first 2 shown]
	ds_load_b128 v[91:94], v82 offset:1040
	v_cmp_eq_u32_e64 s27, 4, v81
	v_cndmask_b32_e64 v66, v66, v70, s24
	v_cmp_eq_u32_e64 s28, 7, v77
	v_cndmask_b32_e64 v70, v83, v84, s24
	v_cndmask_b32_e64 v84, v105, v72, s25
	v_cmp_eq_u32_e64 s29, 5, v81
	v_cndmask_b32_e64 v66, v66, v95, s26
	v_cmp_eq_u32_e64 s30, 6, v81
	v_cndmask_b32_e64 v70, v70, v98, s26
	v_cndmask_b32_e64 v69, v69, v99, s23
	;; [unrolled: 1-line block ×4, first 2 shown]
	s_waitcnt lgkmcnt(1)
	v_lshrrev_b32_e32 v95, 16, v87
	v_cndmask_b32_e64 v70, v70, v85, s27
	v_cndmask_b32_e64 v71, v84, v97, s28
	;; [unrolled: 1-line block ×4, first 2 shown]
	v_cndmask_b32_e32 v84, v87, v95, vcc_lo
	v_cndmask_b32_e64 v70, v70, v99, s29
	s_waitcnt lgkmcnt(0)
	v_lshrrev_b32_e32 v85, 16, v91
	v_lshrrev_b32_e32 v96, 16, v88
	v_cndmask_b32_e64 v98, v87, v95, s4
	v_cndmask_b32_e64 v84, v84, v88, s5
	;; [unrolled: 1-line block ×3, first 2 shown]
	v_cndmask_b32_e32 v99, v91, v85, vcc_lo
	v_cmp_eq_u32_e32 vcc_lo, 7, v81
	v_cndmask_b32_e64 v66, v66, v72, s30
	v_cndmask_b32_e64 v72, v84, v96, s8
	;; [unrolled: 1-line block ×3, first 2 shown]
	v_lshrrev_b32_e32 v98, 16, v92
	v_cndmask_b32_e32 v70, v70, v100, vcc_lo
	v_cndmask_b32_e64 v86, v99, v92, s5
	v_cndmask_b32_e64 v69, v69, v100, s28
	v_lshrrev_b32_e32 v100, 16, v93
	v_cndmask_b32_e64 v72, v72, v89, s10
	v_lshrrev_b32_e32 v99, 16, v89
	v_cndmask_b32_e64 v86, v86, v98, s8
	v_perm_b32 v71, v69, v71, 0x5040100
	v_cndmask_b32_e64 v84, v84, v96, s9
	s_delay_alu instid0(VALU_DEP_3) | instskip(NEXT) | instid1(VALU_DEP_2)
	v_cndmask_b32_e64 v86, v86, v93, s10
	v_cndmask_b32_e64 v84, v84, v89, s12
	s_delay_alu instid0(VALU_DEP_2) | instskip(NEXT) | instid1(VALU_DEP_1)
	v_cndmask_b32_e64 v86, v86, v100, s11
	v_cndmask_b32_e64 v69, v86, v94, s13
	;; [unrolled: 1-line block ×5, first 2 shown]
	s_delay_alu instid0(VALU_DEP_3) | instskip(NEXT) | instid1(VALU_DEP_3)
	v_cndmask_b32_e64 v86, v86, v88, s18
	v_cndmask_b32_e64 v87, v87, v88, s24
	s_delay_alu instid0(VALU_DEP_3) | instskip(NEXT) | instid1(VALU_DEP_3)
	v_cndmask_b32_e64 v88, v95, v92, s24
	v_cndmask_b32_e64 v86, v86, v96, s20
	s_delay_alu instid0(VALU_DEP_3) | instskip(NEXT) | instid1(VALU_DEP_3)
	v_cndmask_b32_e64 v87, v87, v96, s26
	v_cndmask_b32_e64 v88, v88, v98, s26
	s_delay_alu instid0(VALU_DEP_3) | instskip(NEXT) | instid1(VALU_DEP_3)
	v_cndmask_b32_e64 v86, v86, v89, s21
	v_cndmask_b32_e64 v87, v87, v89, s27
	s_delay_alu instid0(VALU_DEP_3) | instskip(NEXT) | instid1(VALU_DEP_3)
	v_cndmask_b32_e64 v88, v88, v93, s27
	v_cndmask_b32_e64 v86, v86, v99, s23
	s_delay_alu instid0(VALU_DEP_3) | instskip(NEXT) | instid1(VALU_DEP_3)
	v_cndmask_b32_e64 v87, v87, v99, s29
	v_cndmask_b32_e64 v88, v88, v100, s29
	s_delay_alu instid0(VALU_DEP_3) | instskip(NEXT) | instid1(VALU_DEP_3)
	v_cndmask_b32_e64 v86, v86, v90, s25
	v_cndmask_b32_e64 v87, v87, v90, s30
	s_delay_alu instid0(VALU_DEP_3) | instskip(SKIP_2) | instid1(VALU_DEP_2)
	v_cndmask_b32_e64 v88, v88, v94, s30
	v_cndmask_b32_e32 v66, v66, v97, vcc_lo
	v_cndmask_b32_e64 v97, v72, v99, s11
	v_perm_b32 v72, v70, v66, 0x5040100
	v_perm_b32 v70, v83, v103, 0x5040100
	v_cndmask_b32_e64 v103, v91, v85, s6
	v_cndmask_b32_e64 v85, v91, v85, s4
	;; [unrolled: 1-line block ×4, first 2 shown]
	v_lshrrev_b32_e32 v97, 16, v90
	v_cndmask_b32_e64 v91, v103, v92, s18
	v_cndmask_b32_e64 v85, v85, v92, s7
	;; [unrolled: 1-line block ×3, first 2 shown]
	s_mov_b32 s4, exec_lo
	v_cndmask_b32_e64 v83, v84, v97, s16
	v_cndmask_b32_e64 v91, v91, v98, s20
	;; [unrolled: 1-line block ×3, first 2 shown]
	v_lshrrev_b32_e32 v84, 16, v94
	v_cndmask_b32_e64 v66, v66, v97, s19
	v_cndmask_b32_e64 v90, v86, v97, s28
	;; [unrolled: 1-line block ×4, first 2 shown]
	v_dual_cndmask_b32 v86, v87, v97 :: v_dual_cndmask_b32 v87, v88, v84
	v_cndmask_b32_e64 v91, v69, v84, s16
	s_delay_alu instid0(VALU_DEP_4) | instskip(NEXT) | instid1(VALU_DEP_4)
	v_cndmask_b32_e64 v89, v89, v100, s23
	v_cndmask_b32_e64 v85, v85, v100, s15
	v_perm_b32 v69, v102, v101, 0x5040100
	v_perm_b32 v86, v87, v86, 0x5040100
	;; [unrolled: 1-line block ×3, first 2 shown]
	v_cndmask_b32_e64 v89, v89, v94, s25
	v_cndmask_b32_e64 v85, v85, v94, s17
	s_mul_i32 s9, s37, 13
	s_delay_alu instid0(VALU_DEP_2) | instskip(NEXT) | instid1(VALU_DEP_2)
	v_cndmask_b32_e64 v88, v89, v84, s28
	v_cndmask_b32_e64 v89, v85, v84, s19
	s_delay_alu instid0(VALU_DEP_2) | instskip(NEXT) | instid1(VALU_DEP_2)
	v_perm_b32 v85, v88, v90, 0x5040100
	v_perm_b32 v84, v89, v66, 0x5040100
	ds_store_b128 v76, v[69:72]
	ds_store_b128 v76, v[83:86] offset:1024
	v_cmpx_gt_u32_e32 13, v0
	s_cbranch_execz .LBB1418_78
; %bb.77:
	s_mul_i32 s5, s9, s34
	s_load_b128 s[16:19], s[0:1], 0x58
	v_add3_u32 v69, s5, s31, v65
	s_delay_alu instid0(VALU_DEP_1) | instskip(NEXT) | instid1(VALU_DEP_1)
	v_mad_u64_u32 v[65:66], null, v69, s36, s[14:15]
	v_ashrrev_i32_e32 v66, 31, v65
	s_delay_alu instid0(VALU_DEP_1) | instskip(SKIP_1) | instid1(VALU_DEP_1)
	v_lshlrev_b64 v[65:66], 2, v[65:66]
	s_waitcnt lgkmcnt(0)
	v_add_co_u32 v69, vcc_lo, s18, v65
	s_delay_alu instid0(VALU_DEP_2)
	v_add_co_ci_u32_e32 v70, vcc_lo, s19, v66, vcc_lo
	v_add_co_u32 v65, vcc_lo, s16, v65
	v_add_co_ci_u32_e32 v66, vcc_lo, s17, v66, vcc_lo
	global_store_b32 v[69:70], v67, off
	global_store_b32 v[65:66], v68, off
.LBB1418_78:
	s_or_b32 exec_lo, exec_lo, s4
	s_waitcnt lgkmcnt(0)
	s_waitcnt_vscnt null, 0x0
	s_barrier
	buffer_gl0_inv
	ds_load_b128 v[83:86], v80
	ds_load_b128 v[87:90], v80 offset:16
	ds_load_b128 v[95:98], v80 offset:2064
	;; [unrolled: 1-line block ×3, first 2 shown]
	v_mov_b32_e32 v65, 0
	ds_load_b128 v[103:106], v80 offset:4112
	ds_load_b128 v[99:102], v80 offset:4096
	;; [unrolled: 1-line block ×4, first 2 shown]
	v_mov_b32_e32 v66, v65
	v_mov_b32_e32 v67, v65
	;; [unrolled: 1-line block ×7, first 2 shown]
	s_waitcnt lgkmcnt(6)
	s_delay_alu instid0(VALU_DEP_1)
	v_wmma_f32_16x16x16_bf16 v[65:72], v[57:64], v[83:90], v[65:72]
	ds_load_b128 v[61:64], v80 offset:8208
	ds_load_b128 v[57:60], v80 offset:8192
	s_waitcnt lgkmcnt(6)
	v_wmma_f32_16x16x16_bf16 v[65:72], v[41:48], v[91:98], v[65:72]
	ds_load_b128 v[45:48], v80 offset:10256
	ds_load_b128 v[41:44], v80 offset:10240
	s_waitcnt lgkmcnt(6)
	;; [unrolled: 4-line block ×4, first 2 shown]
	v_wmma_f32_16x16x16_bf16 v[65:72], v[1:8], v[57:64], v[65:72]
	s_waitcnt lgkmcnt(4)
	s_delay_alu instid0(VALU_DEP_1) | instskip(SKIP_1) | instid1(VALU_DEP_1)
	v_wmma_f32_16x16x16_bf16 v[65:72], v[9:16], v[41:48], v[65:72]
	s_waitcnt lgkmcnt(2)
	v_wmma_f32_16x16x16_bf16 v[65:72], v[17:24], v[33:40], v[65:72]
	s_waitcnt lgkmcnt(0)
	s_delay_alu instid0(VALU_DEP_1) | instskip(NEXT) | instid1(VALU_DEP_1)
	v_wmma_f32_16x16x16_bf16 v[65:72], v[49:56], v[25:32], v[65:72]
	v_and_b32_e32 v1, 0x7f800000, v65
	s_delay_alu instid0(VALU_DEP_1) | instskip(SKIP_1) | instid1(SALU_CYCLE_1)
	v_cmp_ne_u32_e32 vcc_lo, 0x7f800000, v1
                                        ; implicit-def: $vgpr1
	s_and_saveexec_b32 s4, vcc_lo
	s_xor_b32 s4, exec_lo, s4
; %bb.79:
	v_bfe_u32 v1, v65, 16, 1
	s_delay_alu instid0(VALU_DEP_1)
	v_add3_u32 v1, v65, v1, 0x7fff
; %bb.80:
	s_and_not1_saveexec_b32 s4, s4
; %bb.81:
	v_and_b32_e32 v1, 0xffff, v65
	v_or_b32_e32 v2, 0x10000, v65
	s_delay_alu instid0(VALU_DEP_2) | instskip(NEXT) | instid1(VALU_DEP_2)
	v_cmp_eq_u32_e32 vcc_lo, 0, v1
	v_cndmask_b32_e32 v1, v2, v65, vcc_lo
; %bb.82:
	s_or_b32 exec_lo, exec_lo, s4
	v_and_b32_e32 v2, 0x7f800000, v66
	s_delay_alu instid0(VALU_DEP_1) | instskip(SKIP_1) | instid1(SALU_CYCLE_1)
	v_cmp_ne_u32_e32 vcc_lo, 0x7f800000, v2
                                        ; implicit-def: $vgpr2
	s_and_saveexec_b32 s4, vcc_lo
	s_xor_b32 s4, exec_lo, s4
; %bb.83:
	v_bfe_u32 v2, v66, 16, 1
	s_delay_alu instid0(VALU_DEP_1)
	v_add3_u32 v2, v66, v2, 0x7fff
; %bb.84:
	s_and_not1_saveexec_b32 s4, s4
; %bb.85:
	v_and_b32_e32 v2, 0xffff, v66
	v_or_b32_e32 v3, 0x10000, v66
	s_delay_alu instid0(VALU_DEP_2) | instskip(NEXT) | instid1(VALU_DEP_2)
	v_cmp_eq_u32_e32 vcc_lo, 0, v2
	v_cndmask_b32_e32 v2, v3, v66, vcc_lo
; %bb.86:
	s_or_b32 exec_lo, exec_lo, s4
	v_and_b32_e32 v3, 0x7f800000, v67
	s_delay_alu instid0(VALU_DEP_1) | instskip(SKIP_1) | instid1(SALU_CYCLE_1)
	v_cmp_ne_u32_e32 vcc_lo, 0x7f800000, v3
                                        ; implicit-def: $vgpr3
	s_and_saveexec_b32 s4, vcc_lo
	s_xor_b32 s4, exec_lo, s4
; %bb.87:
	v_bfe_u32 v3, v67, 16, 1
	s_delay_alu instid0(VALU_DEP_1)
	v_add3_u32 v3, v67, v3, 0x7fff
; %bb.88:
	s_and_not1_saveexec_b32 s4, s4
; %bb.89:
	v_and_b32_e32 v3, 0xffff, v67
	v_or_b32_e32 v4, 0x10000, v67
	s_delay_alu instid0(VALU_DEP_2) | instskip(NEXT) | instid1(VALU_DEP_2)
	v_cmp_eq_u32_e32 vcc_lo, 0, v3
	v_cndmask_b32_e32 v3, v4, v67, vcc_lo
; %bb.90:
	s_or_b32 exec_lo, exec_lo, s4
	v_and_b32_e32 v4, 0x7f800000, v68
	s_delay_alu instid0(VALU_DEP_1) | instskip(SKIP_1) | instid1(SALU_CYCLE_1)
	v_cmp_ne_u32_e32 vcc_lo, 0x7f800000, v4
                                        ; implicit-def: $vgpr4
	s_and_saveexec_b32 s4, vcc_lo
	s_xor_b32 s4, exec_lo, s4
; %bb.91:
	v_bfe_u32 v4, v68, 16, 1
	s_delay_alu instid0(VALU_DEP_1)
	v_add3_u32 v4, v68, v4, 0x7fff
; %bb.92:
	s_and_not1_saveexec_b32 s4, s4
; %bb.93:
	v_and_b32_e32 v4, 0xffff, v68
	v_or_b32_e32 v5, 0x10000, v68
	s_delay_alu instid0(VALU_DEP_2) | instskip(NEXT) | instid1(VALU_DEP_2)
	v_cmp_eq_u32_e32 vcc_lo, 0, v4
	v_cndmask_b32_e32 v4, v5, v68, vcc_lo
; %bb.94:
	s_or_b32 exec_lo, exec_lo, s4
	v_and_b32_e32 v5, 0x7f800000, v69
	s_delay_alu instid0(VALU_DEP_1) | instskip(SKIP_1) | instid1(SALU_CYCLE_1)
	v_cmp_ne_u32_e32 vcc_lo, 0x7f800000, v5
                                        ; implicit-def: $vgpr5
	s_and_saveexec_b32 s4, vcc_lo
	s_xor_b32 s4, exec_lo, s4
; %bb.95:
	v_bfe_u32 v5, v69, 16, 1
	s_delay_alu instid0(VALU_DEP_1)
	v_add3_u32 v5, v69, v5, 0x7fff
; %bb.96:
	s_and_not1_saveexec_b32 s4, s4
; %bb.97:
	v_and_b32_e32 v5, 0xffff, v69
	v_or_b32_e32 v6, 0x10000, v69
	s_delay_alu instid0(VALU_DEP_2) | instskip(NEXT) | instid1(VALU_DEP_2)
	v_cmp_eq_u32_e32 vcc_lo, 0, v5
	v_cndmask_b32_e32 v5, v6, v69, vcc_lo
; %bb.98:
	s_or_b32 exec_lo, exec_lo, s4
	v_and_b32_e32 v6, 0x7f800000, v70
	s_delay_alu instid0(VALU_DEP_1) | instskip(SKIP_1) | instid1(SALU_CYCLE_1)
	v_cmp_ne_u32_e32 vcc_lo, 0x7f800000, v6
                                        ; implicit-def: $vgpr6
	s_and_saveexec_b32 s4, vcc_lo
	s_xor_b32 s4, exec_lo, s4
; %bb.99:
	v_bfe_u32 v6, v70, 16, 1
	s_delay_alu instid0(VALU_DEP_1)
	v_add3_u32 v6, v70, v6, 0x7fff
; %bb.100:
	s_and_not1_saveexec_b32 s4, s4
; %bb.101:
	v_and_b32_e32 v6, 0xffff, v70
	v_or_b32_e32 v7, 0x10000, v70
	s_delay_alu instid0(VALU_DEP_2) | instskip(NEXT) | instid1(VALU_DEP_2)
	v_cmp_eq_u32_e32 vcc_lo, 0, v6
	v_cndmask_b32_e32 v6, v7, v70, vcc_lo
; %bb.102:
	s_or_b32 exec_lo, exec_lo, s4
	v_and_b32_e32 v7, 0x7f800000, v71
	s_delay_alu instid0(VALU_DEP_1) | instskip(SKIP_1) | instid1(SALU_CYCLE_1)
	v_cmp_ne_u32_e32 vcc_lo, 0x7f800000, v7
                                        ; implicit-def: $vgpr7
	s_and_saveexec_b32 s4, vcc_lo
	s_xor_b32 s4, exec_lo, s4
; %bb.103:
	v_bfe_u32 v7, v71, 16, 1
	s_delay_alu instid0(VALU_DEP_1)
	v_add3_u32 v7, v71, v7, 0x7fff
; %bb.104:
	s_and_not1_saveexec_b32 s4, s4
; %bb.105:
	v_and_b32_e32 v7, 0xffff, v71
	v_or_b32_e32 v8, 0x10000, v71
	s_delay_alu instid0(VALU_DEP_2) | instskip(NEXT) | instid1(VALU_DEP_2)
	v_cmp_eq_u32_e32 vcc_lo, 0, v7
	v_cndmask_b32_e32 v7, v8, v71, vcc_lo
; %bb.106:
	s_or_b32 exec_lo, exec_lo, s4
	v_and_b32_e32 v8, 0x7f800000, v72
	s_delay_alu instid0(VALU_DEP_1) | instskip(SKIP_1) | instid1(SALU_CYCLE_1)
	v_cmp_ne_u32_e32 vcc_lo, 0x7f800000, v8
                                        ; implicit-def: $vgpr8
	s_and_saveexec_b32 s4, vcc_lo
	s_xor_b32 s4, exec_lo, s4
; %bb.107:
	v_bfe_u32 v8, v72, 16, 1
	s_delay_alu instid0(VALU_DEP_1)
	v_add3_u32 v8, v72, v8, 0x7fff
                                        ; implicit-def: $vgpr65_vgpr66_vgpr67_vgpr68_vgpr69_vgpr70_vgpr71_vgpr72
; %bb.108:
	s_and_not1_saveexec_b32 s4, s4
; %bb.109:
	v_and_b32_e32 v8, 0xffff, v72
	v_or_b32_e32 v9, 0x10000, v72
	s_delay_alu instid0(VALU_DEP_2) | instskip(NEXT) | instid1(VALU_DEP_2)
	v_cmp_eq_u32_e32 vcc_lo, 0, v8
	v_cndmask_b32_e32 v8, v9, v72, vcc_lo
; %bb.110:
	s_or_b32 exec_lo, exec_lo, s4
	s_delay_alu instid0(VALU_DEP_1)
	v_perm_b32 v7, v8, v7, 0x7060302
	v_perm_b32 v6, v6, v5, 0x7060302
	v_perm_b32 v5, v4, v3, 0x7060302
	v_perm_b32 v4, v2, v1, 0x7060302
	s_barrier
	buffer_gl0_inv
	v_cmp_eq_u32_e32 vcc_lo, 1, v78
	ds_store_b128 v76, v[4:7]
	s_waitcnt lgkmcnt(0)
	s_barrier
	buffer_gl0_inv
	ds_load_b128 v[1:4], v82
	ds_load_b128 v[5:8], v82 offset:16
	v_cmp_eq_u32_e64 s4, 1, v79
	v_cmp_eq_u32_e64 s5, 2, v78
	;; [unrolled: 1-line block ×5, first 2 shown]
	s_waitcnt lgkmcnt(1)
	v_lshrrev_b32_e32 v9, 16, v1
	s_waitcnt lgkmcnt(0)
	v_lshrrev_b32_e32 v13, 16, v5
	v_lshrrev_b32_e32 v10, 16, v2
	;; [unrolled: 1-line block ×4, first 2 shown]
	v_cndmask_b32_e64 v19, v1, v9, s4
	v_cndmask_b32_e32 v18, v5, v13, vcc_lo
	v_cndmask_b32_e64 v20, v5, v13, s4
	v_cndmask_b32_e32 v17, v1, v9, vcc_lo
	v_cmp_eq_u32_e32 vcc_lo, 2, v79
	v_lshrrev_b32_e32 v15, 16, v7
	v_cmp_eq_u32_e64 s4, 1, v77
	v_lshrrev_b32_e32 v12, 16, v4
	v_lshrrev_b32_e32 v16, 16, v8
	v_cndmask_b32_e32 v20, v20, v6, vcc_lo
	v_cndmask_b32_e64 v17, v17, v2, s5
	v_cndmask_b32_e32 v19, v19, v2, vcc_lo
	v_cndmask_b32_e64 v18, v18, v6, s5
	v_cmp_eq_u32_e32 vcc_lo, 4, v78
	v_cmp_eq_u32_e64 s5, 3, v79
	v_cndmask_b32_e64 v17, v17, v10, s6
	v_cndmask_b32_e64 v21, v1, v9, s4
	;; [unrolled: 1-line block ×5, first 2 shown]
	v_cndmask_b32_e32 v17, v17, v3, vcc_lo
	v_cndmask_b32_e64 v20, v20, v14, s5
	v_cndmask_b32_e32 v18, v18, v7, vcc_lo
	v_cmp_eq_u32_e32 vcc_lo, 4, v79
	v_cmp_eq_u32_e64 s5, 5, v79
	v_cmp_eq_u32_e64 s4, 2, v81
	v_cndmask_b32_e64 v21, v21, v2, s8
	v_cmp_eq_u32_e64 s6, 5, v78
	v_cndmask_b32_e32 v19, v19, v3, vcc_lo
	v_cndmask_b32_e32 v20, v20, v7, vcc_lo
	v_cmp_eq_u32_e32 vcc_lo, 6, v79
	s_delay_alu instid0(VALU_DEP_4) | instskip(NEXT) | instid1(VALU_DEP_4)
	v_cndmask_b32_e64 v17, v17, v11, s6
	v_cndmask_b32_e64 v19, v19, v11, s5
	s_delay_alu instid0(VALU_DEP_4) | instskip(SKIP_1) | instid1(VALU_DEP_3)
	v_cndmask_b32_e64 v20, v20, v15, s5
	v_cmp_eq_u32_e64 s5, 1, v81
	v_cndmask_b32_e32 v19, v19, v4, vcc_lo
	v_cndmask_b32_e64 v18, v18, v15, s6
	s_delay_alu instid0(VALU_DEP_3)
	v_cndmask_b32_e64 v1, v1, v9, s5
	v_cndmask_b32_e64 v5, v5, v13, s5
	v_cmp_eq_u32_e64 s5, 3, v77
	v_cndmask_b32_e64 v13, v22, v6, s8
	v_cmp_eq_u32_e64 s8, 3, v81
	v_cndmask_b32_e64 v1, v1, v2, s4
	v_cndmask_b32_e64 v2, v5, v6, s4
	;; [unrolled: 1-line block ×3, first 2 shown]
	v_cmp_eq_u32_e64 s4, 4, v77
	v_cndmask_b32_e64 v6, v13, v14, s5
	v_cndmask_b32_e64 v1, v1, v10, s8
	v_cmp_eq_u32_e64 s5, 4, v81
	v_cndmask_b32_e64 v2, v2, v14, s8
	v_cndmask_b32_e64 v5, v9, v3, s4
	;; [unrolled: 3-line block ×3, first 2 shown]
	v_cndmask_b32_e64 v2, v2, v7, s5
	v_cmp_eq_u32_e64 s4, 5, v81
	v_cmp_eq_u32_e64 s6, 6, v78
	v_cndmask_b32_e64 v5, v5, v11, s8
	v_cmp_eq_u32_e64 s5, 6, v77
	v_cndmask_b32_e64 v3, v6, v15, s8
	v_cndmask_b32_e64 v1, v1, v11, s4
	v_cmp_eq_u32_e64 s8, 6, v81
	v_cndmask_b32_e64 v2, v2, v15, s4
	v_cndmask_b32_e64 v17, v17, v4, s6
	v_cndmask_b32_e64 v18, v18, v8, s6
	v_cmp_eq_u32_e64 s6, 7, v78
	v_cndmask_b32_e64 v5, v5, v4, s5
	;; [unrolled: 4-line block ×3, first 2 shown]
	v_cmp_eq_u32_e64 s5, 7, v77
	v_cndmask_b32_e32 v4, v20, v8, vcc_lo
	v_cndmask_b32_e64 v17, v17, v12, s6
	v_cndmask_b32_e64 v19, v19, v12, s7
	;; [unrolled: 1-line block ×8, first 2 shown]
	v_cmp_gt_u32_e32 vcc_lo, 32, v0
	v_perm_b32 v4, v2, v1, 0x5040100
	v_perm_b32 v3, v3, v5, 0x5040100
	;; [unrolled: 1-line block ×4, first 2 shown]
	s_and_b32 s2, vcc_lo, s2
	ds_store_b128 v76, v[1:4]
	s_waitcnt lgkmcnt(0)
	s_barrier
	buffer_gl0_inv
	s_and_saveexec_b32 s4, s2
	s_cbranch_execz .LBB1418_2
; %bb.111:
	s_load_b64 s[4:5], s[0:1], 0x68
	v_lshlrev_b32_e32 v0, 10, v0
	v_lshlrev_b32_e32 v1, 4, v75
	s_lshl_b32 s0, s36, 6
	v_add_nc_u32_e32 v18, s31, v74
	s_mul_i32 s1, s0, s34
	s_delay_alu instid0(VALU_DEP_2) | instskip(SKIP_1) | instid1(VALU_DEP_2)
	v_and_or_b32 v0, 0x3800, v0, v1
	s_mul_i32 s6, s1, s9
	v_mul_lo_u32 v1, v18, s0
	s_ashr_i32 s7, s6, 31
	v_add_nc_u32_e32 v2, 2, v18
	v_lshl_or_b32 v19, v74, 6, v0
	s_lshl_b64 s[6:7], s[6:7], 1
	v_add_nc_u32_e32 v8, 4, v18
	v_add_nc_u32_e32 v15, 6, v18
	v_mul_lo_u32 v7, v2, s0
	ds_load_b128 v[3:6], v19
	v_ashrrev_i32_e32 v2, 31, v1
	v_mul_lo_u32 v11, v8, s0
	s_waitcnt lgkmcnt(0)
	s_add_u32 s1, s4, s6
	s_addc_u32 s2, s5, s7
	s_lshl_b32 s4, s14, 6
	v_lshlrev_b64 v[9:10], 1, v[1:2]
	s_ashr_i32 s5, s4, 31
	v_ashrrev_i32_e32 v8, 31, v7
	s_lshl_b64 s[4:5], s[4:5], 1
	v_ashrrev_i32_e32 v12, 31, v11
	s_add_u32 s1, s1, s4
	s_addc_u32 s2, s2, s5
	v_add_co_u32 v1, s1, s1, v73
	s_delay_alu instid0(VALU_DEP_1) | instskip(SKIP_1) | instid1(VALU_DEP_3)
	v_add_co_ci_u32_e64 v2, null, s2, 0, s1
	v_mul_lo_u32 v15, v15, s0
	v_add_co_u32 v13, vcc_lo, v1, v9
	s_delay_alu instid0(VALU_DEP_3)
	v_add_co_ci_u32_e32 v14, vcc_lo, v2, v10, vcc_lo
	v_lshlrev_b64 v[16:17], 1, v[7:8]
	ds_load_b128 v[7:10], v19 offset:128
	global_store_b128 v[13:14], v[3:6], off
	v_add_nc_u32_e32 v5, 8, v18
	v_lshlrev_b64 v[3:4], 1, v[11:12]
	v_add_co_u32 v23, vcc_lo, v1, v16
	v_ashrrev_i32_e32 v16, 31, v15
	s_delay_alu instid0(VALU_DEP_4) | instskip(SKIP_3) | instid1(VALU_DEP_3)
	v_mul_lo_u32 v25, v5, s0
	v_add_nc_u32_e32 v5, 10, v18
	v_add_co_ci_u32_e32 v24, vcc_lo, v2, v17, vcc_lo
	v_add_co_u32 v27, vcc_lo, v1, v3
	v_mul_lo_u32 v29, v5, s0
	v_add_co_ci_u32_e32 v28, vcc_lo, v2, v4, vcc_lo
	v_lshlrev_b64 v[31:32], 1, v[15:16]
	ds_load_b128 v[3:6], v19 offset:256
	ds_load_b128 v[11:14], v19 offset:384
	;; [unrolled: 1-line block ×4, first 2 shown]
	v_ashrrev_i32_e32 v26, 31, v25
	v_ashrrev_i32_e32 v30, 31, v29
	v_add_co_u32 v31, vcc_lo, v1, v31
	s_delay_alu instid0(VALU_DEP_3) | instskip(SKIP_1) | instid1(VALU_DEP_4)
	v_lshlrev_b64 v[25:26], 1, v[25:26]
	v_add_co_ci_u32_e32 v32, vcc_lo, v2, v32, vcc_lo
	v_lshlrev_b64 v[29:30], 1, v[29:30]
	s_delay_alu instid0(VALU_DEP_3) | instskip(NEXT) | instid1(VALU_DEP_4)
	v_add_co_u32 v25, vcc_lo, v1, v25
	v_add_co_ci_u32_e32 v26, vcc_lo, v2, v26, vcc_lo
	s_delay_alu instid0(VALU_DEP_3) | instskip(NEXT) | instid1(VALU_DEP_4)
	v_add_co_u32 v29, vcc_lo, v1, v29
	v_add_co_ci_u32_e32 v30, vcc_lo, v2, v30, vcc_lo
	s_waitcnt lgkmcnt(4)
	global_store_b128 v[23:24], v[7:10], off
	s_waitcnt lgkmcnt(3)
	global_store_b128 v[27:28], v[3:6], off
	;; [unrolled: 2-line block ×5, first 2 shown]
	s_and_b32 exec_lo, exec_lo, s3
	s_cbranch_execz .LBB1418_2
; %bb.112:
	ds_load_b128 v[3:6], v0 offset:768
	s_add_i32 s1, s31, 12
	s_delay_alu instid0(SALU_CYCLE_1) | instskip(NEXT) | instid1(SALU_CYCLE_1)
	s_mul_i32 s0, s1, s0
	s_ashr_i32 s1, s0, 31
	s_delay_alu instid0(SALU_CYCLE_1) | instskip(NEXT) | instid1(SALU_CYCLE_1)
	s_lshl_b64 s[0:1], s[0:1], 1
	v_add_co_u32 v0, vcc_lo, v1, s0
	v_add_co_ci_u32_e32 v1, vcc_lo, s1, v2, vcc_lo
	s_waitcnt lgkmcnt(0)
	global_store_b128 v[0:1], v[3:6], off
	s_nop 0
	s_sendmsg sendmsg(MSG_DEALLOC_VGPRS)
	s_endpgm
	.section	.rodata,"a",@progbits
	.p2align	6, 0x0
	.amdhsa_kernel _Z39paged_attention_ll4mi_QKV_mfma16_kernelI14__hip_bfloat16hLN4vllm18Fp8KVCacheDataTypeE1ES0_Li16ELi64ELi256ELb0ELi13EL8MFMAType1EEvPKT_PKT0_S9_ifPKiSB_SB_iPKfiiiPfSE_PS4_PT2_iSD_SD_
		.amdhsa_group_segment_fixed_size 17472
		.amdhsa_private_segment_fixed_size 0
		.amdhsa_kernarg_size 400
		.amdhsa_user_sgpr_count 13
		.amdhsa_user_sgpr_dispatch_ptr 0
		.amdhsa_user_sgpr_queue_ptr 0
		.amdhsa_user_sgpr_kernarg_segment_ptr 1
		.amdhsa_user_sgpr_dispatch_id 0
		.amdhsa_user_sgpr_private_segment_size 0
		.amdhsa_wavefront_size32 1
		.amdhsa_uses_dynamic_stack 0
		.amdhsa_enable_private_segment 0
		.amdhsa_system_sgpr_workgroup_id_x 1
		.amdhsa_system_sgpr_workgroup_id_y 1
		.amdhsa_system_sgpr_workgroup_id_z 1
		.amdhsa_system_sgpr_workgroup_info 0
		.amdhsa_system_vgpr_workitem_id 0
		.amdhsa_next_free_vgpr 124
		.amdhsa_next_free_sgpr 40
		.amdhsa_reserve_vcc 1
		.amdhsa_float_round_mode_32 0
		.amdhsa_float_round_mode_16_64 0
		.amdhsa_float_denorm_mode_32 3
		.amdhsa_float_denorm_mode_16_64 3
		.amdhsa_dx10_clamp 1
		.amdhsa_ieee_mode 1
		.amdhsa_fp16_overflow 0
		.amdhsa_workgroup_processor_mode 1
		.amdhsa_memory_ordered 1
		.amdhsa_forward_progress 0
		.amdhsa_shared_vgpr_count 0
		.amdhsa_exception_fp_ieee_invalid_op 0
		.amdhsa_exception_fp_denorm_src 0
		.amdhsa_exception_fp_ieee_div_zero 0
		.amdhsa_exception_fp_ieee_overflow 0
		.amdhsa_exception_fp_ieee_underflow 0
		.amdhsa_exception_fp_ieee_inexact 0
		.amdhsa_exception_int_div_zero 0
	.end_amdhsa_kernel
	.section	.text._Z39paged_attention_ll4mi_QKV_mfma16_kernelI14__hip_bfloat16hLN4vllm18Fp8KVCacheDataTypeE1ES0_Li16ELi64ELi256ELb0ELi13EL8MFMAType1EEvPKT_PKT0_S9_ifPKiSB_SB_iPKfiiiPfSE_PS4_PT2_iSD_SD_,"axG",@progbits,_Z39paged_attention_ll4mi_QKV_mfma16_kernelI14__hip_bfloat16hLN4vllm18Fp8KVCacheDataTypeE1ES0_Li16ELi64ELi256ELb0ELi13EL8MFMAType1EEvPKT_PKT0_S9_ifPKiSB_SB_iPKfiiiPfSE_PS4_PT2_iSD_SD_,comdat
.Lfunc_end1418:
	.size	_Z39paged_attention_ll4mi_QKV_mfma16_kernelI14__hip_bfloat16hLN4vllm18Fp8KVCacheDataTypeE1ES0_Li16ELi64ELi256ELb0ELi13EL8MFMAType1EEvPKT_PKT0_S9_ifPKiSB_SB_iPKfiiiPfSE_PS4_PT2_iSD_SD_, .Lfunc_end1418-_Z39paged_attention_ll4mi_QKV_mfma16_kernelI14__hip_bfloat16hLN4vllm18Fp8KVCacheDataTypeE1ES0_Li16ELi64ELi256ELb0ELi13EL8MFMAType1EEvPKT_PKT0_S9_ifPKiSB_SB_iPKfiiiPfSE_PS4_PT2_iSD_SD_
                                        ; -- End function
	.section	.AMDGPU.csdata,"",@progbits
; Kernel info:
; codeLenInByte = 8908
; NumSgprs: 42
; NumVgprs: 124
; ScratchSize: 0
; MemoryBound: 0
; FloatMode: 240
; IeeeMode: 1
; LDSByteSize: 17472 bytes/workgroup (compile time only)
; SGPRBlocks: 5
; VGPRBlocks: 15
; NumSGPRsForWavesPerEU: 42
; NumVGPRsForWavesPerEU: 124
; Occupancy: 10
; WaveLimiterHint : 1
; COMPUTE_PGM_RSRC2:SCRATCH_EN: 0
; COMPUTE_PGM_RSRC2:USER_SGPR: 13
; COMPUTE_PGM_RSRC2:TRAP_HANDLER: 0
; COMPUTE_PGM_RSRC2:TGID_X_EN: 1
; COMPUTE_PGM_RSRC2:TGID_Y_EN: 1
; COMPUTE_PGM_RSRC2:TGID_Z_EN: 1
; COMPUTE_PGM_RSRC2:TIDIG_COMP_CNT: 0
	.section	.text._Z39paged_attention_ll4mi_QKV_mfma16_kernelI14__hip_bfloat16hLN4vllm18Fp8KVCacheDataTypeE1ES0_Li16ELi64ELi256ELb0ELi14EL8MFMAType1EEvPKT_PKT0_S9_ifPKiSB_SB_iPKfiiiPfSE_PS4_PT2_iSD_SD_,"axG",@progbits,_Z39paged_attention_ll4mi_QKV_mfma16_kernelI14__hip_bfloat16hLN4vllm18Fp8KVCacheDataTypeE1ES0_Li16ELi64ELi256ELb0ELi14EL8MFMAType1EEvPKT_PKT0_S9_ifPKiSB_SB_iPKfiiiPfSE_PS4_PT2_iSD_SD_,comdat
	.protected	_Z39paged_attention_ll4mi_QKV_mfma16_kernelI14__hip_bfloat16hLN4vllm18Fp8KVCacheDataTypeE1ES0_Li16ELi64ELi256ELb0ELi14EL8MFMAType1EEvPKT_PKT0_S9_ifPKiSB_SB_iPKfiiiPfSE_PS4_PT2_iSD_SD_ ; -- Begin function _Z39paged_attention_ll4mi_QKV_mfma16_kernelI14__hip_bfloat16hLN4vllm18Fp8KVCacheDataTypeE1ES0_Li16ELi64ELi256ELb0ELi14EL8MFMAType1EEvPKT_PKT0_S9_ifPKiSB_SB_iPKfiiiPfSE_PS4_PT2_iSD_SD_
	.globl	_Z39paged_attention_ll4mi_QKV_mfma16_kernelI14__hip_bfloat16hLN4vllm18Fp8KVCacheDataTypeE1ES0_Li16ELi64ELi256ELb0ELi14EL8MFMAType1EEvPKT_PKT0_S9_ifPKiSB_SB_iPKfiiiPfSE_PS4_PT2_iSD_SD_
	.p2align	8
	.type	_Z39paged_attention_ll4mi_QKV_mfma16_kernelI14__hip_bfloat16hLN4vllm18Fp8KVCacheDataTypeE1ES0_Li16ELi64ELi256ELb0ELi14EL8MFMAType1EEvPKT_PKT0_S9_ifPKiSB_SB_iPKfiiiPfSE_PS4_PT2_iSD_SD_,@function
_Z39paged_attention_ll4mi_QKV_mfma16_kernelI14__hip_bfloat16hLN4vllm18Fp8KVCacheDataTypeE1ES0_Li16ELi64ELi256ELb0ELi14EL8MFMAType1EEvPKT_PKT0_S9_ifPKiSB_SB_iPKfiiiPfSE_PS4_PT2_iSD_SD_: ; @_Z39paged_attention_ll4mi_QKV_mfma16_kernelI14__hip_bfloat16hLN4vllm18Fp8KVCacheDataTypeE1ES0_Li16ELi64ELi256ELb0ELi14EL8MFMAType1EEvPKT_PKT0_S9_ifPKiSB_SB_iPKfiiiPfSE_PS4_PT2_iSD_SD_
; %bb.0:
	s_load_b64 s[2:3], s[0:1], 0x30
	s_mov_b32 s30, s13
	s_waitcnt lgkmcnt(0)
	s_cmp_lg_u64 s[2:3], 0
	s_cselect_b32 s8, -1, 0
	s_ashr_i32 s31, s13, 31
	s_cmp_eq_u64 s[2:3], 0
	s_cbranch_scc1 .LBB1419_3
; %bb.1:
	s_lshl_b64 s[4:5], s[30:31], 2
	s_delay_alu instid0(SALU_CYCLE_1) | instskip(SKIP_4) | instid1(SALU_CYCLE_1)
	s_add_u32 s4, s2, s4
	s_addc_u32 s5, s3, s5
	s_load_b64 s[4:5], s[4:5], 0x0
	s_waitcnt lgkmcnt(0)
	s_sub_i32 s4, s5, s4
	s_cmp_eq_u32 s4, 1
	s_cselect_b32 s4, -1, 0
	s_delay_alu instid0(SALU_CYCLE_1)
	s_and_not1_b32 vcc_lo, exec_lo, s4
	s_cbranch_vccz .LBB1419_4
.LBB1419_2:
	s_endpgm
.LBB1419_3:
.LBB1419_4:
	s_load_b64 s[4:5], s[0:1], 0x28
	s_lshl_b64 s[6:7], s[30:31], 2
	s_waitcnt lgkmcnt(0)
	s_add_u32 s4, s4, s6
	s_addc_u32 s5, s5, s7
	s_lshl_b32 s12, s14, 8
	s_load_b32 s24, s[4:5], 0x0
	s_waitcnt lgkmcnt(0)
	s_cmp_ge_i32 s12, s24
	s_cbranch_scc1 .LBB1419_2
; %bb.5:
	s_clause 0x1
	s_load_b128 s[20:23], s[0:1], 0x8
	s_load_b64 s[4:5], s[0:1], 0x20
	s_and_not1_b32 vcc_lo, exec_lo, s8
	s_cbranch_vccnz .LBB1419_7
; %bb.6:
	s_add_u32 s2, s2, s6
	s_addc_u32 s3, s3, s7
	s_load_b32 s3, s[2:3], 0x0
	s_branch .LBB1419_8
.LBB1419_7:
	s_mov_b32 s3, s30
.LBB1419_8:
	s_load_b128 s[16:19], s[0:1], 0x48
	v_and_b32_e32 v65, 15, v0
	v_cmp_gt_u32_e32 vcc_lo, 0xe0, v0
	v_lshrrev_b32_e32 v66, 5, v0
	v_and_b32_e32 v67, 31, v0
	v_and_b32_e32 v75, 1, v0
	v_lshlrev_b32_e32 v1, 3, v65
	v_cmp_gt_u32_e64 s2, 8, v65
	v_bfe_u32 v74, v0, 4, 1
	s_mul_i32 s31, s15, 14
	s_delay_alu instid0(VALU_DEP_3) | instskip(NEXT) | instid1(VALU_DEP_3)
	v_lshlrev_b32_e32 v73, 1, v1
	s_and_b32 s7, vcc_lo, s2
	s_delay_alu instid0(SALU_CYCLE_1)
	s_and_saveexec_b32 s6, s7
	s_cbranch_execz .LBB1419_10
; %bb.9:
	s_load_b64 s[8:9], s[0:1], 0x0
	v_lshl_or_b32 v5, v66, 1, v74
	s_waitcnt lgkmcnt(0)
	s_mul_hi_i32 s11, s3, s16
	s_mul_i32 s10, s3, s16
	v_lshlrev_b32_e32 v6, 10, v65
	s_lshl_b64 s[10:11], s[10:11], 1
	v_add_lshl_u32 v1, v5, s31, 6
	v_lshlrev_b32_e32 v5, 6, v5
	v_lshlrev_b32_e32 v7, 10, v75
	v_and_b32_e32 v6, 0x3800, v6
	s_delay_alu instid0(VALU_DEP_4) | instskip(NEXT) | instid1(VALU_DEP_2)
	v_ashrrev_i32_e32 v2, 31, v1
	v_or3_b32 v5, v6, v7, v5
	s_delay_alu instid0(VALU_DEP_2) | instskip(SKIP_2) | instid1(VALU_DEP_1)
	v_lshlrev_b64 v[1:2], 1, v[1:2]
	s_add_u32 s3, s8, s10
	s_addc_u32 s7, s9, s11
	v_add_co_u32 v1, vcc_lo, s3, v1
	s_delay_alu instid0(VALU_DEP_2) | instskip(NEXT) | instid1(VALU_DEP_2)
	v_add_co_ci_u32_e32 v2, vcc_lo, s7, v2, vcc_lo
	v_add_co_u32 v1, vcc_lo, v1, v73
	s_delay_alu instid0(VALU_DEP_2)
	v_add_co_ci_u32_e32 v2, vcc_lo, 0, v2, vcc_lo
	global_load_b128 v[1:4], v[1:2], off
	s_waitcnt vmcnt(0)
	ds_store_b128 v5, v[1:4]
.LBB1419_10:
	s_or_b32 exec_lo, exec_lo, s6
	v_and_b32_e32 v1, 0xef, v0
	s_waitcnt lgkmcnt(0)
	s_add_i32 s3, s24, 15
	s_clause 0x1
	s_load_b32 s6, s[0:1], 0x38
	s_load_b32 s19, s[0:1], 0x1c
	s_ashr_i32 s7, s3, 31
	v_add_nc_u32_e32 v1, s12, v1
	s_lshr_b32 s7, s7, 28
	s_waitcnt lgkmcnt(0)
	s_add_i32 s3, s3, s7
	s_barrier
	v_ashrrev_i32_e32 v2, 31, v1
	v_or_b32_e32 v3, 16, v1
	s_ashr_i32 s3, s3, 4
	v_cmp_gt_i32_e32 vcc_lo, s24, v1
	s_add_i32 s3, s3, -1
	v_lshrrev_b32_e32 v2, 28, v2
	buffer_gl0_inv
	s_mul_i32 s27, s15, s18
	v_add_nc_u32_e32 v4, v1, v2
	s_mul_i32 s6, s30, s6
	s_delay_alu instid0(SALU_CYCLE_1) | instskip(NEXT) | instid1(VALU_DEP_1)
	s_ashr_i32 s7, s6, 31
	v_ashrrev_i32_e32 v4, 4, v4
	v_add_nc_u32_e32 v2, v3, v2
	s_lshl_b64 s[6:7], s[6:7], 2
	s_delay_alu instid0(SALU_CYCLE_1) | instskip(NEXT) | instid1(VALU_DEP_2)
	s_add_u32 s26, s4, s6
	v_cndmask_b32_e32 v1, s3, v4, vcc_lo
	s_delay_alu instid0(VALU_DEP_2)
	v_ashrrev_i32_e32 v2, 4, v2
	v_cmp_gt_i32_e32 vcc_lo, s24, v3
	s_addc_u32 s25, s5, s7
	s_ashr_i32 s28, s27, 31
	s_add_u32 s13, s20, s27
	s_addc_u32 s15, s21, s28
	v_cndmask_b32_e32 v3, s3, v2, vcc_lo
	v_ashrrev_i32_e32 v2, 31, v1
	s_lshl_b32 s4, s14, 4
	s_delay_alu instid0(SALU_CYCLE_1) | instskip(NEXT) | instid1(VALU_DEP_2)
	s_ashr_i32 s5, s4, 31
	v_ashrrev_i32_e32 v4, 31, v3
	s_delay_alu instid0(VALU_DEP_2) | instskip(SKIP_1) | instid1(SALU_CYCLE_1)
	v_lshlrev_b64 v[1:2], 2, v[1:2]
	s_lshl_b64 s[4:5], s[4:5], 2
	s_add_u32 s4, s26, s4
	s_delay_alu instid0(VALU_DEP_2) | instskip(SKIP_1) | instid1(VALU_DEP_2)
	v_lshlrev_b64 v[3:4], 2, v[3:4]
	s_addc_u32 s5, s25, s5
	v_add_co_u32 v1, vcc_lo, s26, v1
	v_add_co_ci_u32_e32 v2, vcc_lo, s25, v2, vcc_lo
	s_delay_alu instid0(VALU_DEP_3) | instskip(NEXT) | instid1(VALU_DEP_4)
	v_add_co_u32 v3, vcc_lo, s26, v3
	v_add_co_ci_u32_e32 v4, vcc_lo, s25, v4, vcc_lo
	s_clause 0x1
	global_load_b32 v5, v[1:2], off
	global_load_b32 v7, v[3:4], off
	s_or_b32 s6, s12, 32
	v_lshlrev_b32_e32 v1, 4, v0
	s_ashr_i32 s7, s6, 4
	s_cmp_lt_i32 s6, s24
	v_cmp_gt_u32_e32 vcc_lo, 14, v65
	s_cselect_b32 s6, s7, s3
	v_and_b32_e32 v1, 0xf0, v1
	s_ashr_i32 s7, s6, 31
	s_delay_alu instid0(SALU_CYCLE_1) | instskip(NEXT) | instid1(SALU_CYCLE_1)
	s_lshl_b64 s[6:7], s[6:7], 2
	s_add_u32 s6, s26, s6
	s_addc_u32 s7, s25, s7
	s_or_b32 s8, s12, 64
	v_add_co_u32 v1, s13, s13, v1
	s_ashr_i32 s9, s8, 4
	s_cmp_lt_i32 s8, s24
	v_add_co_ci_u32_e64 v2, null, s15, 0, s13
	s_cselect_b32 s8, s9, s3
	s_delay_alu instid0(SALU_CYCLE_1) | instskip(NEXT) | instid1(SALU_CYCLE_1)
	s_ashr_i32 s9, s8, 31
	s_lshl_b64 s[8:9], s[8:9], 2
	s_delay_alu instid0(SALU_CYCLE_1) | instskip(SKIP_2) | instid1(SALU_CYCLE_1)
	s_add_u32 s8, s26, s8
	s_addc_u32 s9, s25, s9
	s_or_b32 s10, s12, 0x60
	s_ashr_i32 s11, s10, 4
	s_cmp_lt_i32 s10, s24
	s_cselect_b32 s10, s11, s3
	s_delay_alu instid0(SALU_CYCLE_1) | instskip(NEXT) | instid1(SALU_CYCLE_1)
	s_ashr_i32 s11, s10, 31
	s_lshl_b64 s[10:11], s[10:11], 2
	s_delay_alu instid0(SALU_CYCLE_1) | instskip(SKIP_2) | instid1(SALU_CYCLE_1)
	s_add_u32 s10, s26, s10
	s_addc_u32 s11, s25, s11
	s_or_b32 s16, s12, 0x80
	s_ashr_i32 s18, s16, 4
	s_cmp_lt_i32 s16, s24
	;; [unrolled: 10-line block ×3, first 2 shown]
	s_cselect_b32 s20, s18, s3
	s_delay_alu instid0(SALU_CYCLE_1) | instskip(NEXT) | instid1(SALU_CYCLE_1)
	s_ashr_i32 s21, s20, 31
	s_lshl_b64 s[20:21], s[20:21], 2
	s_delay_alu instid0(SALU_CYCLE_1)
	s_add_u32 s36, s26, s20
	s_addc_u32 s37, s25, s21
	s_clause 0x5
	s_load_b32 s21, s[4:5], 0x0
	s_load_b32 s13, s[6:7], 0x0
	;; [unrolled: 1-line block ×6, first 2 shown]
	s_or_b32 s8, s12, 0xc0
	s_mov_b32 s4, 0
	s_ashr_i32 s9, s8, 4
	s_cmp_lt_i32 s8, s24
	s_mov_b32 s11, s4
	s_cselect_b32 s34, s9, s3
	s_mov_b32 s5, s4
	s_ashr_i32 s35, s34, 31
	s_mov_b32 s6, s4
	s_lshl_b64 s[34:35], s[34:35], 2
	s_mov_b32 s7, s4
	s_add_u32 s34, s26, s34
	s_addc_u32 s35, s25, s35
	s_or_b32 s29, s12, 0xe0
	s_mov_b32 s8, s4
	s_ashr_i32 s33, s29, 4
	s_mov_b32 s9, s4
	s_mov_b32 s10, s4
	s_cmp_lt_i32 s29, s24
	v_dual_mov_b32 v107, s11 :: v_dual_mov_b32 v100, s4
	v_mov_b32_e32 v106, s10
	v_dual_mov_b32 v104, s8 :: v_dual_mov_b32 v103, s7
	v_dual_mov_b32 v102, s6 :: v_dual_mov_b32 v101, s5
	s_waitcnt vmcnt(1)
	v_mad_i64_i32 v[3:4], null, v5, s17, v[1:2]
	s_waitcnt vmcnt(0)
	v_mad_i64_i32 v[5:6], null, v7, s17, v[1:2]
	v_add_nc_u32_e32 v1, -14, v65
	v_lshlrev_b32_e32 v2, 4, v65
	s_clause 0x7
	global_load_b128 v[49:52], v[3:4], off
	global_load_b128 v[53:56], v[3:4], off offset:256
	global_load_b128 v[76:79], v[5:6], off
	global_load_b128 v[80:83], v[5:6], off offset:256
	global_load_b128 v[84:87], v[3:4], off offset:512
	;; [unrolled: 1-line block ×5, first 2 shown]
	v_cndmask_b32_e32 v1, v1, v65, vcc_lo
	v_mov_b32_e32 v105, s9
	s_cselect_b32 s4, s33, s3
	v_lshl_or_b32 v2, v66, 8, v2
	s_ashr_i32 s5, s4, 31
	v_lshlrev_b32_e32 v70, 6, v1
	s_lshl_b64 s[4:5], s[4:5], 2
	s_load_b32 s3, s[34:35], 0x0
	s_add_u32 s4, s26, s4
	s_addc_u32 s5, s25, s5
	ds_load_b128 v[108:111], v70
	ds_load_b128 v[112:115], v70 offset:1024
	s_load_b32 s4, s[4:5], 0x0
	s_add_u32 s6, s22, s27
	s_addc_u32 s7, s23, s28
	v_add_co_u32 v9, s6, s6, v2
	s_delay_alu instid0(VALU_DEP_1) | instskip(SKIP_1) | instid1(VALU_DEP_1)
	v_add_co_ci_u32_e64 v10, null, s7, 0, s6
	s_waitcnt lgkmcnt(0)
	v_mad_i64_i32 v[1:2], null, s21, s17, v[9:10]
	v_mad_i64_i32 v[3:4], null, s13, s17, v[9:10]
	;; [unrolled: 1-line block ×7, first 2 shown]
	s_clause 0x9
	global_load_b128 v[57:60], v[1:2], off
	global_load_b128 v[61:64], v[1:2], off offset:16
	global_load_b128 v[41:44], v[3:4], off
	global_load_b128 v[45:48], v[3:4], off offset:16
	;; [unrolled: 2-line block ×5, first 2 shown]
	v_mad_i64_i32 v[68:69], null, s4, s17, v[9:10]
	s_clause 0x3
	global_load_b128 v[9:12], v[13:14], off
	global_load_b128 v[13:16], v[13:14], off offset:16
	global_load_b128 v[17:20], v[21:22], off
	global_load_b128 v[21:24], v[21:22], off offset:16
	s_waitcnt vmcnt(20)
	v_wmma_f32_16x16x16_bf16 v[116:123], v[49:56], v[108:115], v[100:107]
	s_clause 0x1
	global_load_b128 v[49:52], v[68:69], off
	global_load_b128 v[53:56], v[68:69], off offset:16
	v_and_b32_e32 v68, 0xe0, v0
	v_mbcnt_lo_u32_b32 v69, -1, 0
	s_delay_alu instid0(VALU_DEP_2)
	v_add_nc_u32_e32 v68, s12, v68
	s_waitcnt vmcnt(20)
	v_wmma_f32_16x16x16_bf16 v[100:107], v[76:83], v[108:115], v[100:107]
	ds_load_b128 v[76:79], v70 offset:2048
	ds_load_b128 v[80:83], v70 offset:3072
	v_xor_b32_e32 v70, 16, v69
	s_waitcnt vmcnt(0) lgkmcnt(0)
	v_or_b32_e32 v68, v68, v74
	s_barrier
	buffer_gl0_inv
	v_cmp_gt_i32_e32 vcc_lo, 32, v70
	v_or_b32_e32 v71, 4, v68
	v_or_b32_e32 v72, 6, v68
	v_cmp_gt_i32_e64 s3, s24, v68
	v_or_b32_e32 v108, 8, v68
	v_or_b32_e32 v109, 10, v68
	v_cmp_gt_i32_e64 s4, s24, v71
	v_cmp_gt_i32_e64 s5, s24, v72
	s_delay_alu instid0(VALU_DEP_4) | instskip(NEXT) | instid1(VALU_DEP_4)
	v_cmp_gt_i32_e64 s6, s24, v108
	v_cmp_gt_i32_e64 s7, s24, v109
	v_wmma_f32_16x16x16_bf16 v[116:123], v[84:91], v[76:83], v[116:123]
	v_cndmask_b32_e32 v69, v69, v70, vcc_lo
	v_or_b32_e32 v70, 2, v68
	v_wmma_f32_16x16x16_bf16 v[100:107], v[92:99], v[76:83], v[100:107]
	v_or_b32_e32 v89, 22, v68
	v_dual_mul_f32 v82, s19, v119 :: v_dual_mul_f32 v79, s19, v122
	v_dual_mul_f32 v92, s19, v117 :: v_dual_mul_f32 v93, s19, v116
	s_delay_alu instid0(VALU_DEP_4) | instskip(SKIP_2) | instid1(VALU_DEP_4)
	v_mul_f32_e32 v98, s19, v103
	v_cmp_gt_i32_e32 vcc_lo, s24, v70
	v_dual_mul_f32 v83, s19, v118 :: v_dual_mul_f32 v96, s19, v105
	v_cndmask_b32_e64 v93, 0xff7fffff, v93, s3
	v_or_b32_e32 v84, 12, v68
	v_cndmask_b32_e32 v92, 0xff7fffff, v92, vcc_lo
	v_or_b32_e32 v85, 14, v68
	v_dual_mul_f32 v80, s19, v121 :: v_dual_mul_f32 v81, s19, v120
	v_mul_f32_e32 v94, s19, v107
	v_cndmask_b32_e64 v71, 0xff7fffff, v83, s4
	v_cndmask_b32_e64 v72, 0xff7fffff, v82, s5
	v_cmp_gt_i32_e64 s13, s24, v89
	v_lshlrev_b32_e32 v89, 2, v69
	v_max3_f32 v82, v93, 0xff7fffff, v92
	v_or_b32_e32 v86, 16, v68
	v_or_b32_e32 v87, 18, v68
	v_mul_f32_e32 v78, s19, v123
	v_cndmask_b32_e64 v81, 0xff7fffff, v81, s6
	v_cndmask_b32_e64 v80, 0xff7fffff, v80, s7
	v_max3_f32 v71, v82, v71, v72
	v_cmp_gt_i32_e64 s8, s24, v84
	v_cmp_gt_i32_e64 s9, s24, v85
	v_or_b32_e32 v88, 20, v68
	v_or_b32_e32 v90, 24, v68
	;; [unrolled: 1-line block ×5, first 2 shown]
	v_dual_mul_f32 v95, s19, v106 :: v_dual_mul_f32 v70, s19, v101
	v_dual_mul_f32 v99, s19, v102 :: v_dual_mul_f32 v68, s19, v100
	v_cndmask_b32_e64 v72, 0xff7fffff, v79, s8
	v_cndmask_b32_e64 v78, 0xff7fffff, v78, s9
	v_max3_f32 v71, v71, v81, v80
	v_cmp_gt_i32_e64 s10, s24, v86
	v_cmp_gt_i32_e64 s11, s24, v87
	;; [unrolled: 1-line block ×3, first 2 shown]
	v_mul_f32_e32 v97, s19, v104
	v_max3_f32 v71, v71, v72, v78
	v_cndmask_b32_e64 v68, 0xff7fffff, v68, s10
	v_cndmask_b32_e64 v70, 0xff7fffff, v70, s11
	;; [unrolled: 1-line block ×4, first 2 shown]
	v_cmp_gt_i32_e64 s15, s24, v90
	v_cmp_gt_i32_e64 s16, s24, v91
	v_max3_f32 v68, v71, v68, v70
	v_cmp_gt_i32_e64 s17, s24, v76
	v_cmp_gt_i32_e64 s18, s24, v77
	v_cndmask_b32_e64 v70, 0xff7fffff, v97, s15
	v_cndmask_b32_e64 v71, 0xff7fffff, v96, s16
	v_max3_f32 v68, v68, v72, v78
	v_cndmask_b32_e64 v72, 0xff7fffff, v95, s17
	v_cndmask_b32_e64 v76, 0xff7fffff, v94, s18
	s_delay_alu instid0(VALU_DEP_3) | instskip(NEXT) | instid1(VALU_DEP_1)
	v_max3_f32 v68, v68, v70, v71
	v_max3_f32 v68, v68, v72, v76
	ds_bpermute_b32 v69, v89, v68
	s_waitcnt lgkmcnt(0)
	v_max_f32_e32 v69, v69, v69
	s_delay_alu instid0(VALU_DEP_1) | instskip(NEXT) | instid1(VALU_DEP_1)
	v_max_f32_e32 v68, v68, v69
	v_fma_f32 v69, s19, v116, -v68
	v_fma_f32 v70, s19, v117, -v68
	;; [unrolled: 1-line block ×5, first 2 shown]
	s_delay_alu instid0(VALU_DEP_4) | instskip(NEXT) | instid1(VALU_DEP_4)
	v_dual_mul_f32 v69, 0x3fb8aa3b, v69 :: v_dual_mul_f32 v70, 0x3fb8aa3b, v70
	v_mul_f32_e32 v72, 0x3fb8aa3b, v72
	v_fma_f32 v78, s19, v122, -v68
	s_delay_alu instid0(VALU_DEP_4) | instskip(NEXT) | instid1(VALU_DEP_4)
	v_mul_f32_e32 v77, 0x3fb8aa3b, v76
	v_exp_f32_e32 v69, v69
	v_exp_f32_e32 v70, v70
	v_mul_f32_e32 v71, 0x3fb8aa3b, v71
	v_exp_f32_e32 v72, v72
	v_mul_f32_e32 v78, 0x3fb8aa3b, v78
	v_exp_f32_e32 v77, v77
	v_fma_f32 v81, s19, v105, -v68
	s_delay_alu instid0(VALU_DEP_2)
	v_exp_f32_e32 v78, v78
	v_cndmask_b32_e64 v80, 0, v69, s3
	v_cndmask_b32_e32 v76, 0, v70, vcc_lo
	v_exp_f32_e32 v71, v71
	v_fma_f32 v69, s19, v121, -v68
	v_cndmask_b32_e64 v85, 0, v72, s5
	v_add_f32_e32 v70, 0, v80
	s_delay_alu instid0(TRANS32_DEP_3)
	v_cndmask_b32_e64 v86, 0, v77, s6
	v_fma_f32 v77, s19, v101, -v68
	v_mul_f32_e32 v69, 0x3fb8aa3b, v69
	v_fma_f32 v72, s19, v100, -v68
	v_cndmask_b32_e64 v84, 0, v78, s8
	v_fma_f32 v78, s19, v103, -v68
	v_cndmask_b32_e64 v83, 0, v71, s4
	v_fma_f32 v71, s19, v123, -v68
	v_add_f32_e32 v70, v70, v76
	v_exp_f32_e32 v69, v69
	v_mul_f32_e32 v77, 0x3fb8aa3b, v77
	v_mul_f32_e32 v81, 0x3fb8aa3b, v81
	;; [unrolled: 1-line block ×3, first 2 shown]
	v_add_f32_e32 v70, v70, v83
	s_mov_b32 s3, exec_lo
	v_exp_f32_e32 v77, v77
	v_exp_f32_e32 v81, v81
	;; [unrolled: 1-line block ×3, first 2 shown]
	v_cndmask_b32_e64 v87, 0, v69, s7
	v_add_f32_e32 v70, v70, v85
	s_delay_alu instid0(VALU_DEP_1) | instskip(SKIP_1) | instid1(VALU_DEP_2)
	v_dual_mul_f32 v72, 0x3fb8aa3b, v72 :: v_dual_add_f32 v69, v70, v86
	v_fma_f32 v70, s19, v102, -v68
	v_exp_f32_e32 v72, v72
	s_waitcnt_depctr 0xfff
	v_cndmask_b32_e64 v88, 0, v71, s9
	v_fma_f32 v71, s19, v104, -v68
	v_dual_add_f32 v69, v69, v87 :: v_dual_mul_f32 v70, 0x3fb8aa3b, v70
	s_delay_alu instid0(VALU_DEP_2) | instskip(NEXT) | instid1(VALU_DEP_2)
	v_dual_mul_f32 v78, 0x3fb8aa3b, v78 :: v_dual_mul_f32 v71, 0x3fb8aa3b, v71
	v_add_f32_e32 v69, v69, v84
	s_delay_alu instid0(VALU_DEP_3) | instskip(SKIP_1) | instid1(VALU_DEP_3)
	v_exp_f32_e32 v79, v70
	v_cndmask_b32_e64 v70, 0, v72, s10
	v_exp_f32_e32 v78, v78
	v_exp_f32_e32 v82, v71
	v_add_f32_e32 v72, v69, v88
	v_cndmask_b32_e64 v69, 0, v77, s11
	v_fma_f32 v77, s19, v106, -v68
	s_delay_alu instid0(VALU_DEP_3) | instskip(NEXT) | instid1(TRANS32_DEP_3)
	v_add_f32_e32 v72, v72, v70
	v_cndmask_b32_e64 v71, 0, v79, s12
	s_delay_alu instid0(VALU_DEP_3) | instskip(NEXT) | instid1(VALU_DEP_3)
	v_mul_f32_e32 v77, 0x3fb8aa3b, v77
	v_add_f32_e32 v79, v72, v69
	s_delay_alu instid0(TRANS32_DEP_2) | instskip(NEXT) | instid1(VALU_DEP_3)
	v_cndmask_b32_e64 v72, 0, v78, s13
	v_exp_f32_e32 v90, v77
	v_cndmask_b32_e64 v77, 0, v82, s15
	s_delay_alu instid0(VALU_DEP_3) | instskip(SKIP_1) | instid1(VALU_DEP_1)
	v_add_f32_e32 v78, v79, v71
	v_fma_f32 v79, s19, v107, -v68
	v_dual_add_f32 v82, v78, v72 :: v_dual_mul_f32 v79, 0x3fb8aa3b, v79
	v_cndmask_b32_e64 v78, 0, v81, s16
	s_delay_alu instid0(VALU_DEP_2) | instskip(NEXT) | instid1(VALU_DEP_3)
	v_add_f32_e32 v81, v82, v77
	v_exp_f32_e32 v82, v79
	s_delay_alu instid0(TRANS32_DEP_2) | instskip(NEXT) | instid1(VALU_DEP_2)
	v_cndmask_b32_e64 v79, 0, v90, s17
	v_add_f32_e32 v81, v81, v78
	s_delay_alu instid0(VALU_DEP_1) | instskip(SKIP_2) | instid1(VALU_DEP_1)
	v_add_f32_e32 v90, v81, v79
	s_waitcnt_depctr 0xfff
	v_cndmask_b32_e64 v81, 0, v82, s18
	v_add_f32_e32 v82, v90, v81
	ds_bpermute_b32 v89, v89, v82
	v_cmpx_gt_u32_e32 16, v67
	s_cbranch_execz .LBB1419_12
; %bb.11:
	v_mul_u32_u24_e32 v67, 0x44, v66
	s_delay_alu instid0(VALU_DEP_1) | instskip(SKIP_1) | instid1(VALU_DEP_1)
	v_lshl_add_u32 v67, v65, 2, v67
	s_waitcnt lgkmcnt(0)
	v_dual_add_f32 v82, v82, v89 :: v_dual_add_nc_u32 v67, 0x4000, v67
	ds_store_2addr_b32 v67, v68, v82 offset1:136
.LBB1419_12:
	s_or_b32 exec_lo, exec_lo, s3
	v_lshlrev_b32_e32 v67, 2, v65
	s_waitcnt lgkmcnt(0)
	s_barrier
	buffer_gl0_inv
	v_cmp_eq_u32_e32 vcc_lo, 1, v66
	v_add_nc_u32_e32 v82, 0x4000, v67
	v_cmp_eq_u32_e64 s3, 2, v66
	v_cmp_eq_u32_e64 s5, 7, v66
	ds_load_2addr_b32 v[89:90], v82 offset1:17
	ds_load_2addr_b32 v[91:92], v82 offset0:34 offset1:51
	ds_load_2addr_b32 v[93:94], v82 offset0:68 offset1:85
	;; [unrolled: 1-line block ×4, first 2 shown]
	s_waitcnt lgkmcnt(4)
	v_max3_f32 v67, v89, 0xff7fffff, v90
	s_waitcnt lgkmcnt(3)
	s_delay_alu instid0(VALU_DEP_1) | instskip(SKIP_1) | instid1(VALU_DEP_1)
	v_max3_f32 v67, v67, v91, v92
	s_waitcnt lgkmcnt(2)
	v_max3_f32 v67, v67, v93, v94
	s_waitcnt lgkmcnt(1)
	s_delay_alu instid0(VALU_DEP_1) | instskip(NEXT) | instid1(VALU_DEP_1)
	v_max3_f32 v67, v67, v95, v96
	v_sub_f32_e32 v93, v93, v67
	s_delay_alu instid0(VALU_DEP_1) | instskip(NEXT) | instid1(VALU_DEP_1)
	v_dual_sub_f32 v68, v89, v67 :: v_dual_mul_f32 v103, 0x3fb8aa3b, v93
	v_mul_f32_e32 v68, 0x3fb8aa3b, v68
	s_delay_alu instid0(VALU_DEP_1)
	v_exp_f32_e32 v100, v68
	v_sub_f32_e32 v68, v92, v67
	v_sub_f32_e32 v99, v90, v67
	ds_load_2addr_b32 v[89:90], v82 offset0:170 offset1:187
	v_dual_mul_f32 v102, 0x3fb8aa3b, v68 :: v_dual_mul_f32 v99, 0x3fb8aa3b, v99
	s_waitcnt lgkmcnt(1)
	v_fma_f32 v68, v100, v97, 0
	s_delay_alu instid0(VALU_DEP_2) | instskip(NEXT) | instid1(VALU_DEP_2)
	v_exp_f32_e32 v102, v102
	v_exp_f32_e32 v99, v99
	s_waitcnt_depctr 0xfff
	v_fmac_f32_e32 v68, v99, v98
	v_sub_f32_e32 v91, v91, v67
	s_delay_alu instid0(VALU_DEP_1)
	v_mul_f32_e32 v101, 0x3fb8aa3b, v91
	ds_load_2addr_b32 v[91:92], v82 offset0:204 offset1:221
	v_sub_f32_e32 v97, v94, v67
	ds_load_2addr_b32 v[93:94], v82 offset0:238 offset1:255
	s_waitcnt lgkmcnt(0)
	v_exp_f32_e32 v101, v101
	s_barrier
	buffer_gl0_inv
	v_dual_fmac_f32 v68, v101, v89 :: v_dual_sub_f32 v89, v96, v67
	v_dual_sub_f32 v82, v95, v67 :: v_dual_mul_f32 v95, 0x3fb8aa3b, v97
	v_exp_f32_e32 v97, v103
	s_delay_alu instid0(VALU_DEP_2) | instskip(NEXT) | instid1(VALU_DEP_2)
	v_dual_fmac_f32 v68, v102, v90 :: v_dual_mul_f32 v89, 0x3fb8aa3b, v89
	v_mul_f32_e32 v82, 0x3fb8aa3b, v82
	s_delay_alu instid0(VALU_DEP_3) | instskip(NEXT) | instid1(VALU_DEP_2)
	v_exp_f32_e32 v95, v95
	v_exp_f32_e32 v89, v89
	s_delay_alu instid0(VALU_DEP_1)
	v_exp_f32_e32 v82, v82
	v_fmac_f32_e32 v68, v97, v91
	s_delay_alu instid0(TRANS32_DEP_3) | instid1(VALU_DEP_1)
	v_fmac_f32_e32 v68, v95, v92
	s_waitcnt_depctr 0xfff
	v_fmac_f32_e32 v68, v82, v93
	s_delay_alu instid0(VALU_DEP_1) | instskip(NEXT) | instid1(VALU_DEP_1)
	v_fmac_f32_e32 v68, v89, v94
	v_add_f32_e32 v90, 0x358637bd, v68
	s_delay_alu instid0(VALU_DEP_1) | instskip(NEXT) | instid1(VALU_DEP_1)
	v_div_scale_f32 v91, null, v90, v90, 1.0
	v_rcp_f32_e32 v92, v91
	s_waitcnt_depctr 0xfff
	v_fma_f32 v93, -v91, v92, 1.0
	s_delay_alu instid0(VALU_DEP_1) | instskip(SKIP_1) | instid1(VALU_DEP_2)
	v_dual_fmac_f32 v92, v93, v92 :: v_dual_cndmask_b32 v93, v100, v99
	v_cmp_eq_u32_e32 vcc_lo, 3, v66
	v_cndmask_b32_e64 v93, v93, v101, s3
	v_cmp_eq_u32_e64 s3, 4, v66
	s_delay_alu instid0(VALU_DEP_2) | instskip(SKIP_1) | instid1(VALU_DEP_2)
	v_cndmask_b32_e32 v93, v93, v102, vcc_lo
	v_cmp_eq_u32_e32 vcc_lo, 5, v66
	v_cndmask_b32_e64 v93, v93, v97, s3
	v_cmp_eq_u32_e64 s3, 6, v66
	s_delay_alu instid0(VALU_DEP_2) | instskip(SKIP_1) | instid1(VALU_DEP_1)
	v_cndmask_b32_e32 v93, v93, v95, vcc_lo
	v_div_scale_f32 v94, s4, 1.0, v90, 1.0
	s_mov_b32 vcc_lo, s4
	s_delay_alu instid0(VALU_DEP_2) | instskip(NEXT) | instid1(VALU_DEP_2)
	v_cndmask_b32_e64 v82, v93, v82, s3
	v_mul_f32_e32 v96, v94, v92
	s_mov_b32 s3, exec_lo
	s_delay_alu instid0(VALU_DEP_2) | instskip(NEXT) | instid1(VALU_DEP_2)
	v_cndmask_b32_e64 v82, v82, v89, s5
	v_fma_f32 v98, -v91, v96, v94
	s_delay_alu instid0(VALU_DEP_1) | instskip(NEXT) | instid1(VALU_DEP_1)
	v_fmac_f32_e32 v96, v98, v92
	v_fma_f32 v91, -v91, v96, v94
	s_delay_alu instid0(VALU_DEP_1) | instskip(NEXT) | instid1(VALU_DEP_1)
	v_div_fmas_f32 v91, v91, v92, v96
	v_div_fixup_f32 v90, v91, v90, 1.0
	s_delay_alu instid0(VALU_DEP_1) | instskip(NEXT) | instid1(VALU_DEP_1)
	v_mul_f32_e32 v82, v82, v90
	v_mul_f32_e32 v87, v82, v87
	v_mul_f32_e32 v90, v82, v80
	v_mul_f32_e32 v80, v82, v88
	v_mul_f32_e32 v84, v82, v84
	v_mul_f32_e32 v88, v82, v86
	v_mul_f32_e32 v89, v82, v85
	v_dual_mul_f32 v86, v82, v83 :: v_dual_and_b32 v91, 0x7f800000, v90
	v_mul_f32_e32 v85, v82, v76
                                        ; implicit-def: $vgpr76
	s_delay_alu instid0(VALU_DEP_2)
	v_cmpx_ne_u32_e32 0x7f800000, v91
	s_xor_b32 s3, exec_lo, s3
; %bb.13:
	v_bfe_u32 v76, v90, 16, 1
	s_delay_alu instid0(VALU_DEP_1)
	v_add3_u32 v76, v90, v76, 0x7fff
                                        ; implicit-def: $vgpr90
; %bb.14:
	s_and_not1_saveexec_b32 s3, s3
; %bb.15:
	v_and_b32_e32 v76, 0xffff, v90
	v_or_b32_e32 v83, 0x10000, v90
	s_delay_alu instid0(VALU_DEP_2) | instskip(NEXT) | instid1(VALU_DEP_2)
	v_cmp_eq_u32_e32 vcc_lo, 0, v76
	v_cndmask_b32_e32 v76, v83, v90, vcc_lo
; %bb.16:
	s_or_b32 exec_lo, exec_lo, s3
	v_and_b32_e32 v83, 0x7f800000, v85
	s_delay_alu instid0(VALU_DEP_1) | instskip(SKIP_1) | instid1(SALU_CYCLE_1)
	v_cmp_ne_u32_e32 vcc_lo, 0x7f800000, v83
                                        ; implicit-def: $vgpr83
	s_and_saveexec_b32 s3, vcc_lo
	s_xor_b32 s3, exec_lo, s3
; %bb.17:
	v_bfe_u32 v83, v85, 16, 1
	s_delay_alu instid0(VALU_DEP_1)
	v_add3_u32 v83, v85, v83, 0x7fff
                                        ; implicit-def: $vgpr85
; %bb.18:
	s_and_not1_saveexec_b32 s3, s3
; %bb.19:
	v_and_b32_e32 v83, 0xffff, v85
	v_or_b32_e32 v90, 0x10000, v85
	s_delay_alu instid0(VALU_DEP_2) | instskip(NEXT) | instid1(VALU_DEP_2)
	v_cmp_eq_u32_e32 vcc_lo, 0, v83
	v_cndmask_b32_e32 v83, v90, v85, vcc_lo
; %bb.20:
	s_or_b32 exec_lo, exec_lo, s3
	v_and_b32_e32 v85, 0x7f800000, v86
	s_delay_alu instid0(VALU_DEP_1) | instskip(SKIP_1) | instid1(SALU_CYCLE_1)
	v_cmp_ne_u32_e32 vcc_lo, 0x7f800000, v85
                                        ; implicit-def: $vgpr85
	s_and_saveexec_b32 s3, vcc_lo
	s_xor_b32 s3, exec_lo, s3
; %bb.21:
	v_bfe_u32 v85, v86, 16, 1
	s_delay_alu instid0(VALU_DEP_1)
	v_add3_u32 v85, v86, v85, 0x7fff
                                        ; implicit-def: $vgpr86
; %bb.22:
	s_and_not1_saveexec_b32 s3, s3
; %bb.23:
	v_and_b32_e32 v85, 0xffff, v86
	v_or_b32_e32 v90, 0x10000, v86
	s_delay_alu instid0(VALU_DEP_2) | instskip(NEXT) | instid1(VALU_DEP_2)
	v_cmp_eq_u32_e32 vcc_lo, 0, v85
	v_cndmask_b32_e32 v85, v90, v86, vcc_lo
; %bb.24:
	s_or_b32 exec_lo, exec_lo, s3
	v_and_b32_e32 v86, 0x7f800000, v89
	s_delay_alu instid0(VALU_DEP_1) | instskip(SKIP_1) | instid1(SALU_CYCLE_1)
	v_cmp_ne_u32_e32 vcc_lo, 0x7f800000, v86
                                        ; implicit-def: $vgpr86
	s_and_saveexec_b32 s3, vcc_lo
	s_xor_b32 s3, exec_lo, s3
; %bb.25:
	v_bfe_u32 v86, v89, 16, 1
	s_delay_alu instid0(VALU_DEP_1)
	v_add3_u32 v86, v89, v86, 0x7fff
                                        ; implicit-def: $vgpr89
; %bb.26:
	s_and_not1_saveexec_b32 s3, s3
; %bb.27:
	v_and_b32_e32 v86, 0xffff, v89
	v_or_b32_e32 v90, 0x10000, v89
	s_delay_alu instid0(VALU_DEP_2) | instskip(NEXT) | instid1(VALU_DEP_2)
	v_cmp_eq_u32_e32 vcc_lo, 0, v86
	v_cndmask_b32_e32 v86, v90, v89, vcc_lo
; %bb.28:
	s_or_b32 exec_lo, exec_lo, s3
	v_and_b32_e32 v89, 0x7f800000, v88
	s_delay_alu instid0(VALU_DEP_1) | instskip(SKIP_1) | instid1(SALU_CYCLE_1)
	v_cmp_ne_u32_e32 vcc_lo, 0x7f800000, v89
                                        ; implicit-def: $vgpr89
	s_and_saveexec_b32 s3, vcc_lo
	s_xor_b32 s3, exec_lo, s3
; %bb.29:
	v_bfe_u32 v89, v88, 16, 1
	s_delay_alu instid0(VALU_DEP_1)
	v_add3_u32 v89, v88, v89, 0x7fff
                                        ; implicit-def: $vgpr88
; %bb.30:
	s_and_not1_saveexec_b32 s3, s3
; %bb.31:
	v_and_b32_e32 v89, 0xffff, v88
	v_or_b32_e32 v90, 0x10000, v88
	s_delay_alu instid0(VALU_DEP_2) | instskip(NEXT) | instid1(VALU_DEP_2)
	v_cmp_eq_u32_e32 vcc_lo, 0, v89
	v_cndmask_b32_e32 v89, v90, v88, vcc_lo
; %bb.32:
	s_or_b32 exec_lo, exec_lo, s3
	v_and_b32_e32 v88, 0x7f800000, v87
	s_delay_alu instid0(VALU_DEP_1) | instskip(SKIP_1) | instid1(SALU_CYCLE_1)
	v_cmp_ne_u32_e32 vcc_lo, 0x7f800000, v88
                                        ; implicit-def: $vgpr88
	s_and_saveexec_b32 s3, vcc_lo
	s_xor_b32 s3, exec_lo, s3
; %bb.33:
	v_bfe_u32 v88, v87, 16, 1
	s_delay_alu instid0(VALU_DEP_1)
	v_add3_u32 v88, v87, v88, 0x7fff
                                        ; implicit-def: $vgpr87
; %bb.34:
	s_and_not1_saveexec_b32 s3, s3
; %bb.35:
	v_and_b32_e32 v88, 0xffff, v87
	v_or_b32_e32 v90, 0x10000, v87
	s_delay_alu instid0(VALU_DEP_2) | instskip(NEXT) | instid1(VALU_DEP_2)
	v_cmp_eq_u32_e32 vcc_lo, 0, v88
	v_cndmask_b32_e32 v88, v90, v87, vcc_lo
; %bb.36:
	s_or_b32 exec_lo, exec_lo, s3
	v_and_b32_e32 v87, 0x7f800000, v84
	s_delay_alu instid0(VALU_DEP_1) | instskip(SKIP_1) | instid1(SALU_CYCLE_1)
	v_cmp_ne_u32_e32 vcc_lo, 0x7f800000, v87
                                        ; implicit-def: $vgpr87
	s_and_saveexec_b32 s3, vcc_lo
	s_xor_b32 s3, exec_lo, s3
; %bb.37:
	v_bfe_u32 v87, v84, 16, 1
	s_delay_alu instid0(VALU_DEP_1)
	v_add3_u32 v87, v84, v87, 0x7fff
                                        ; implicit-def: $vgpr84
; %bb.38:
	s_and_not1_saveexec_b32 s3, s3
; %bb.39:
	v_and_b32_e32 v87, 0xffff, v84
	v_or_b32_e32 v90, 0x10000, v84
	s_delay_alu instid0(VALU_DEP_2) | instskip(NEXT) | instid1(VALU_DEP_2)
	v_cmp_eq_u32_e32 vcc_lo, 0, v87
	v_cndmask_b32_e32 v87, v90, v84, vcc_lo
; %bb.40:
	s_or_b32 exec_lo, exec_lo, s3
	v_and_b32_e32 v84, 0x7f800000, v80
	s_delay_alu instid0(VALU_DEP_1) | instskip(SKIP_1) | instid1(SALU_CYCLE_1)
	v_cmp_ne_u32_e32 vcc_lo, 0x7f800000, v84
                                        ; implicit-def: $vgpr84
	s_and_saveexec_b32 s3, vcc_lo
	s_xor_b32 s3, exec_lo, s3
; %bb.41:
	v_bfe_u32 v84, v80, 16, 1
	s_delay_alu instid0(VALU_DEP_1)
	v_add3_u32 v84, v80, v84, 0x7fff
                                        ; implicit-def: $vgpr80
; %bb.42:
	s_and_not1_saveexec_b32 s3, s3
; %bb.43:
	v_and_b32_e32 v84, 0xffff, v80
	v_or_b32_e32 v90, 0x10000, v80
	s_delay_alu instid0(VALU_DEP_2) | instskip(NEXT) | instid1(VALU_DEP_2)
	v_cmp_eq_u32_e32 vcc_lo, 0, v84
	v_cndmask_b32_e32 v84, v90, v80, vcc_lo
; %bb.44:
	s_or_b32 exec_lo, exec_lo, s3
	s_load_b64 s[34:35], s[0:1], 0x94
	v_lshlrev_b32_e32 v91, 4, v74
	s_delay_alu instid0(VALU_DEP_2)
	v_perm_b32 v90, v84, v87, 0x7060302
	v_dual_mul_f32 v79, v82, v79 :: v_dual_lshlrev_b32 v80, 6, v65
	v_dual_mul_f32 v77, v82, v77 :: v_dual_lshlrev_b32 v92, 11, v66
	v_mul_f32_e32 v84, v82, v70
	v_perm_b32 v89, v88, v89, 0x7060302
	v_perm_b32 v88, v86, v85, 0x7060302
	;; [unrolled: 1-line block ×3, first 2 shown]
	v_mul_f32_e32 v70, v82, v81
	v_or3_b32 v76, v91, v92, v80
	v_dual_mul_f32 v78, v82, v78 :: v_dual_and_b32 v85, 0x7f800000, v84
	v_mul_f32_e32 v83, v82, v72
	v_mul_f32_e32 v81, v82, v71
	;; [unrolled: 1-line block ×3, first 2 shown]
	s_mov_b32 s3, exec_lo
	ds_store_b128 v76, v[87:90]
                                        ; implicit-def: $vgpr69
	v_cmpx_ne_u32_e32 0x7f800000, v85
	s_xor_b32 s3, exec_lo, s3
; %bb.45:
	v_bfe_u32 v69, v84, 16, 1
	s_delay_alu instid0(VALU_DEP_1)
	v_add3_u32 v69, v84, v69, 0x7fff
                                        ; implicit-def: $vgpr84
; %bb.46:
	s_and_not1_saveexec_b32 s3, s3
; %bb.47:
	v_and_b32_e32 v69, 0xffff, v84
	v_or_b32_e32 v71, 0x10000, v84
	s_delay_alu instid0(VALU_DEP_2) | instskip(NEXT) | instid1(VALU_DEP_2)
	v_cmp_eq_u32_e32 vcc_lo, 0, v69
	v_cndmask_b32_e32 v69, v71, v84, vcc_lo
; %bb.48:
	s_or_b32 exec_lo, exec_lo, s3
	v_and_b32_e32 v71, 0x7f800000, v72
	s_delay_alu instid0(VALU_DEP_1) | instskip(SKIP_1) | instid1(SALU_CYCLE_1)
	v_cmp_ne_u32_e32 vcc_lo, 0x7f800000, v71
                                        ; implicit-def: $vgpr71
	s_and_saveexec_b32 s3, vcc_lo
	s_xor_b32 s3, exec_lo, s3
; %bb.49:
	v_bfe_u32 v71, v72, 16, 1
	s_delay_alu instid0(VALU_DEP_1)
	v_add3_u32 v71, v72, v71, 0x7fff
                                        ; implicit-def: $vgpr72
; %bb.50:
	s_and_not1_saveexec_b32 s3, s3
; %bb.51:
	v_and_b32_e32 v71, 0xffff, v72
	v_or_b32_e32 v82, 0x10000, v72
	s_delay_alu instid0(VALU_DEP_2) | instskip(NEXT) | instid1(VALU_DEP_2)
	v_cmp_eq_u32_e32 vcc_lo, 0, v71
	v_cndmask_b32_e32 v71, v82, v72, vcc_lo
; %bb.52:
	s_or_b32 exec_lo, exec_lo, s3
	v_and_b32_e32 v72, 0x7f800000, v81
	s_delay_alu instid0(VALU_DEP_1) | instskip(SKIP_1) | instid1(SALU_CYCLE_1)
	v_cmp_ne_u32_e32 vcc_lo, 0x7f800000, v72
                                        ; implicit-def: $vgpr72
	s_and_saveexec_b32 s3, vcc_lo
	s_xor_b32 s3, exec_lo, s3
; %bb.53:
	v_bfe_u32 v72, v81, 16, 1
	s_delay_alu instid0(VALU_DEP_1)
	v_add3_u32 v72, v81, v72, 0x7fff
                                        ; implicit-def: $vgpr81
; %bb.54:
	s_and_not1_saveexec_b32 s3, s3
; %bb.55:
	v_and_b32_e32 v72, 0xffff, v81
	v_or_b32_e32 v82, 0x10000, v81
	s_delay_alu instid0(VALU_DEP_2) | instskip(NEXT) | instid1(VALU_DEP_2)
	v_cmp_eq_u32_e32 vcc_lo, 0, v72
	v_cndmask_b32_e32 v72, v82, v81, vcc_lo
; %bb.56:
	s_or_b32 exec_lo, exec_lo, s3
	v_and_b32_e32 v81, 0x7f800000, v83
	s_delay_alu instid0(VALU_DEP_1) | instskip(SKIP_1) | instid1(SALU_CYCLE_1)
	v_cmp_ne_u32_e32 vcc_lo, 0x7f800000, v81
                                        ; implicit-def: $vgpr81
	s_and_saveexec_b32 s3, vcc_lo
	s_xor_b32 s3, exec_lo, s3
; %bb.57:
	v_bfe_u32 v81, v83, 16, 1
	s_delay_alu instid0(VALU_DEP_1)
	v_add3_u32 v81, v83, v81, 0x7fff
                                        ; implicit-def: $vgpr83
; %bb.58:
	s_and_not1_saveexec_b32 s3, s3
; %bb.59:
	v_and_b32_e32 v81, 0xffff, v83
	v_or_b32_e32 v82, 0x10000, v83
	s_delay_alu instid0(VALU_DEP_2) | instskip(NEXT) | instid1(VALU_DEP_2)
	v_cmp_eq_u32_e32 vcc_lo, 0, v81
	v_cndmask_b32_e32 v81, v82, v83, vcc_lo
; %bb.60:
	s_or_b32 exec_lo, exec_lo, s3
	v_and_b32_e32 v82, 0x7f800000, v77
	s_delay_alu instid0(VALU_DEP_1) | instskip(SKIP_1) | instid1(SALU_CYCLE_1)
	v_cmp_ne_u32_e32 vcc_lo, 0x7f800000, v82
                                        ; implicit-def: $vgpr82
	s_and_saveexec_b32 s3, vcc_lo
	s_xor_b32 s3, exec_lo, s3
; %bb.61:
	v_bfe_u32 v82, v77, 16, 1
	s_delay_alu instid0(VALU_DEP_1)
	v_add3_u32 v82, v77, v82, 0x7fff
                                        ; implicit-def: $vgpr77
; %bb.62:
	s_and_not1_saveexec_b32 s3, s3
; %bb.63:
	v_and_b32_e32 v82, 0xffff, v77
	v_or_b32_e32 v83, 0x10000, v77
	s_delay_alu instid0(VALU_DEP_2) | instskip(NEXT) | instid1(VALU_DEP_2)
	v_cmp_eq_u32_e32 vcc_lo, 0, v82
	v_cndmask_b32_e32 v82, v83, v77, vcc_lo
; %bb.64:
	s_or_b32 exec_lo, exec_lo, s3
	v_and_b32_e32 v77, 0x7f800000, v78
	s_delay_alu instid0(VALU_DEP_1) | instskip(SKIP_1) | instid1(SALU_CYCLE_1)
	v_cmp_ne_u32_e32 vcc_lo, 0x7f800000, v77
                                        ; implicit-def: $vgpr77
	s_and_saveexec_b32 s3, vcc_lo
	s_xor_b32 s3, exec_lo, s3
; %bb.65:
	v_bfe_u32 v77, v78, 16, 1
	s_delay_alu instid0(VALU_DEP_1)
	v_add3_u32 v77, v78, v77, 0x7fff
                                        ; implicit-def: $vgpr78
; %bb.66:
	s_and_not1_saveexec_b32 s3, s3
; %bb.67:
	v_and_b32_e32 v77, 0xffff, v78
	v_or_b32_e32 v83, 0x10000, v78
	s_delay_alu instid0(VALU_DEP_2) | instskip(NEXT) | instid1(VALU_DEP_2)
	v_cmp_eq_u32_e32 vcc_lo, 0, v77
	v_cndmask_b32_e32 v77, v83, v78, vcc_lo
; %bb.68:
	s_or_b32 exec_lo, exec_lo, s3
	v_and_b32_e32 v78, 0x7f800000, v79
	s_delay_alu instid0(VALU_DEP_1) | instskip(SKIP_1) | instid1(SALU_CYCLE_1)
	v_cmp_ne_u32_e32 vcc_lo, 0x7f800000, v78
                                        ; implicit-def: $vgpr78
	s_and_saveexec_b32 s3, vcc_lo
	s_xor_b32 s3, exec_lo, s3
; %bb.69:
	v_bfe_u32 v78, v79, 16, 1
	s_delay_alu instid0(VALU_DEP_1)
	v_add3_u32 v78, v79, v78, 0x7fff
                                        ; implicit-def: $vgpr79
; %bb.70:
	s_and_not1_saveexec_b32 s3, s3
; %bb.71:
	v_and_b32_e32 v78, 0xffff, v79
	v_or_b32_e32 v83, 0x10000, v79
	s_delay_alu instid0(VALU_DEP_2) | instskip(NEXT) | instid1(VALU_DEP_2)
	v_cmp_eq_u32_e32 vcc_lo, 0, v78
	v_cndmask_b32_e32 v78, v83, v79, vcc_lo
; %bb.72:
	s_or_b32 exec_lo, exec_lo, s3
	v_and_b32_e32 v79, 0x7f800000, v70
	s_delay_alu instid0(VALU_DEP_1) | instskip(SKIP_1) | instid1(SALU_CYCLE_1)
	v_cmp_ne_u32_e32 vcc_lo, 0x7f800000, v79
                                        ; implicit-def: $vgpr79
	s_and_saveexec_b32 s3, vcc_lo
	s_xor_b32 s3, exec_lo, s3
; %bb.73:
	v_bfe_u32 v79, v70, 16, 1
	s_delay_alu instid0(VALU_DEP_1)
	v_add3_u32 v79, v70, v79, 0x7fff
                                        ; implicit-def: $vgpr70
; %bb.74:
	s_and_not1_saveexec_b32 s3, s3
; %bb.75:
	v_and_b32_e32 v79, 0xffff, v70
	v_or_b32_e32 v83, 0x10000, v70
	s_delay_alu instid0(VALU_DEP_2) | instskip(NEXT) | instid1(VALU_DEP_2)
	v_cmp_eq_u32_e32 vcc_lo, 0, v79
	v_cndmask_b32_e32 v79, v83, v70, vcc_lo
; %bb.76:
	s_or_b32 exec_lo, exec_lo, s3
	s_delay_alu instid0(VALU_DEP_1)
	v_perm_b32 v86, v79, v78, 0x7060302
	v_perm_b32 v85, v77, v82, 0x7060302
	v_perm_b32 v84, v81, v72, 0x7060302
	v_perm_b32 v83, v71, v69, 0x7060302
	v_lshl_or_b32 v82, v66, 11, v80
	ds_store_b128 v76, v[83:86] offset:1024
	s_waitcnt lgkmcnt(0)
	s_barrier
	buffer_gl0_inv
	ds_load_b128 v[69:72], v82
	ds_load_b128 v[83:86], v82 offset:16
	s_waitcnt lgkmcnt(1)
	v_lshrrev_b32_e32 v66, 16, v69
	s_waitcnt lgkmcnt(0)
	v_lshrrev_b32_e32 v91, 16, v83
	v_lshlrev_b32_e32 v78, 2, v74
	v_lshrrev_b32_e32 v95, 16, v70
	v_lshrrev_b32_e32 v98, 16, v84
	;; [unrolled: 1-line block ×4, first 2 shown]
	v_cmp_eq_u32_e32 vcc_lo, 1, v78
	v_lshrrev_b32_e32 v97, 16, v72
	v_lshrrev_b32_e32 v100, 16, v86
	v_cndmask_b32_e32 v87, v83, v91, vcc_lo
	v_or_b32_e32 v79, 1, v78
	v_cndmask_b32_e32 v81, v69, v66, vcc_lo
	v_cmp_eq_u32_e64 s4, 2, v78
	v_cmp_eq_u32_e64 s7, 3, v78
	;; [unrolled: 1-line block ×5, first 2 shown]
	v_cndmask_b32_e64 v81, v81, v70, s4
	v_cndmask_b32_e64 v87, v87, v84, s4
	v_cmp_eq_u32_e64 s8, 3, v79
	v_cndmask_b32_e64 v88, v69, v66, s3
	v_or_b32_e32 v77, 2, v78
	v_cndmask_b32_e64 v81, v81, v95, s7
	v_cndmask_b32_e64 v87, v87, v98, s7
	;; [unrolled: 1-line block ×4, first 2 shown]
	v_cmp_eq_u32_e64 s10, 5, v78
	v_cndmask_b32_e64 v81, v81, v71, s9
	v_cndmask_b32_e64 v87, v87, v85, s9
	v_cmp_eq_u32_e64 s11, 4, v79
	v_cndmask_b32_e64 v88, v88, v95, s8
	v_cmp_eq_u32_e64 s5, 1, v77
	v_cndmask_b32_e64 v89, v89, v84, s6
	v_cndmask_b32_e64 v81, v81, v96, s10
	v_cmp_eq_u32_e64 s12, 6, v78
	v_cndmask_b32_e64 v88, v88, v71, s11
	;; [unrolled: 3-line block ×3, first 2 shown]
	v_cndmask_b32_e64 v89, v89, v98, s8
	v_cndmask_b32_e64 v81, v81, v72, s12
	v_cmp_eq_u32_e64 s15, 7, v78
	v_cndmask_b32_e64 v88, v88, v96, s13
	v_cndmask_b32_e64 v87, v87, v86, s12
	v_cmp_eq_u32_e64 s16, 6, v79
	v_cmp_eq_u32_e64 s17, 2, v77
	v_cndmask_b32_e64 v89, v89, v85, s11
	v_cndmask_b32_e64 v101, v81, v97, s15
	;; [unrolled: 1-line block ×6, first 2 shown]
	v_cmp_eq_u32_e64 s18, 7, v79
	v_cmp_eq_u32_e64 s19, 3, v77
	;; [unrolled: 1-line block ×4, first 2 shown]
	v_cndmask_b32_e64 v87, v87, v84, s17
	v_cndmask_b32_e64 v103, v88, v97, s18
	v_cndmask_b32_e64 v88, v89, v99, s13
	v_cndmask_b32_e64 v89, v81, v95, s19
	v_or_b32_e32 v81, 3, v78
	v_cndmask_b32_e64 v93, v87, v98, s19
	v_cmp_eq_u32_e64 s24, 6, v77
	v_cndmask_b32_e64 v104, v88, v86, s16
	v_cndmask_b32_e64 v92, v89, v71, s20
	v_cmp_eq_u32_e64 s21, 1, v81
	ds_load_b128 v[87:90], v82 offset:1024
	v_cmp_eq_u32_e64 s23, 2, v81
	v_cmp_eq_u32_e64 s25, 3, v81
	v_cndmask_b32_e64 v105, v92, v96, s22
	v_cndmask_b32_e64 v66, v69, v66, s21
	;; [unrolled: 1-line block ×4, first 2 shown]
	ds_load_b128 v[91:94], v82 offset:1040
	v_cmp_eq_u32_e64 s26, 4, v81
	v_cndmask_b32_e64 v66, v66, v70, s23
	v_cmp_eq_u32_e64 s27, 7, v77
	v_cndmask_b32_e64 v70, v83, v84, s23
	v_cndmask_b32_e64 v84, v105, v72, s24
	v_cmp_eq_u32_e64 s28, 5, v81
	v_cndmask_b32_e64 v66, v66, v95, s25
	v_cmp_eq_u32_e64 s29, 6, v81
	v_cndmask_b32_e64 v70, v70, v98, s25
	v_cndmask_b32_e64 v69, v69, v99, s22
	;; [unrolled: 1-line block ×4, first 2 shown]
	s_waitcnt lgkmcnt(1)
	v_lshrrev_b32_e32 v95, 16, v87
	v_cndmask_b32_e64 v70, v70, v85, s26
	v_cndmask_b32_e64 v71, v84, v97, s27
	;; [unrolled: 1-line block ×4, first 2 shown]
	v_cndmask_b32_e32 v84, v87, v95, vcc_lo
	v_cndmask_b32_e64 v70, v70, v99, s28
	s_waitcnt lgkmcnt(0)
	v_lshrrev_b32_e32 v85, 16, v91
	v_lshrrev_b32_e32 v96, 16, v88
	v_cndmask_b32_e64 v98, v87, v95, s3
	v_cndmask_b32_e64 v84, v84, v88, s4
	;; [unrolled: 1-line block ×3, first 2 shown]
	v_cndmask_b32_e32 v99, v91, v85, vcc_lo
	v_cmp_eq_u32_e32 vcc_lo, 7, v81
	v_cndmask_b32_e64 v66, v66, v72, s29
	v_cndmask_b32_e64 v72, v84, v96, s7
	;; [unrolled: 1-line block ×3, first 2 shown]
	v_lshrrev_b32_e32 v98, 16, v92
	v_cndmask_b32_e32 v70, v70, v100, vcc_lo
	v_cndmask_b32_e64 v86, v99, v92, s4
	v_cndmask_b32_e64 v69, v69, v100, s27
	v_lshrrev_b32_e32 v100, 16, v93
	v_cndmask_b32_e64 v72, v72, v89, s9
	v_lshrrev_b32_e32 v99, 16, v89
	v_cndmask_b32_e64 v86, v86, v98, s7
	v_perm_b32 v71, v69, v71, 0x5040100
	v_cndmask_b32_e64 v84, v84, v96, s8
	s_delay_alu instid0(VALU_DEP_3) | instskip(NEXT) | instid1(VALU_DEP_2)
	v_cndmask_b32_e64 v86, v86, v93, s9
	v_cndmask_b32_e64 v84, v84, v89, s11
	s_delay_alu instid0(VALU_DEP_2) | instskip(NEXT) | instid1(VALU_DEP_1)
	v_cndmask_b32_e64 v86, v86, v100, s10
	v_cndmask_b32_e64 v69, v86, v94, s12
	;; [unrolled: 1-line block ×5, first 2 shown]
	s_delay_alu instid0(VALU_DEP_3) | instskip(NEXT) | instid1(VALU_DEP_3)
	v_cndmask_b32_e64 v86, v86, v88, s17
	v_cndmask_b32_e64 v87, v87, v88, s23
	s_delay_alu instid0(VALU_DEP_3) | instskip(NEXT) | instid1(VALU_DEP_3)
	v_cndmask_b32_e64 v88, v95, v92, s23
	v_cndmask_b32_e64 v86, v86, v96, s19
	;; [unrolled: 3-line block ×7, first 2 shown]
	s_delay_alu instid0(VALU_DEP_3) | instskip(SKIP_2) | instid1(VALU_DEP_2)
	v_cndmask_b32_e64 v88, v88, v94, s29
	v_cndmask_b32_e32 v66, v66, v97, vcc_lo
	v_cndmask_b32_e64 v97, v72, v99, s10
	v_perm_b32 v72, v70, v66, 0x5040100
	v_perm_b32 v70, v83, v103, 0x5040100
	v_cndmask_b32_e64 v103, v91, v85, s5
	v_cndmask_b32_e64 v85, v91, v85, s3
	;; [unrolled: 1-line block ×4, first 2 shown]
	v_lshrrev_b32_e32 v97, 16, v90
	v_cndmask_b32_e64 v91, v103, v92, s17
	v_cndmask_b32_e64 v85, v85, v92, s6
	;; [unrolled: 1-line block ×3, first 2 shown]
	s_mov_b32 s3, exec_lo
	v_cndmask_b32_e64 v83, v84, v97, s15
	v_cndmask_b32_e64 v91, v91, v98, s19
	;; [unrolled: 1-line block ×3, first 2 shown]
	v_lshrrev_b32_e32 v84, 16, v94
	v_cndmask_b32_e64 v66, v66, v97, s18
	v_cndmask_b32_e64 v90, v86, v97, s27
	;; [unrolled: 1-line block ×4, first 2 shown]
	v_dual_cndmask_b32 v86, v87, v97 :: v_dual_cndmask_b32 v87, v88, v84
	v_cndmask_b32_e64 v91, v69, v84, s15
	s_delay_alu instid0(VALU_DEP_4) | instskip(NEXT) | instid1(VALU_DEP_4)
	v_cndmask_b32_e64 v89, v89, v100, s22
	v_cndmask_b32_e64 v85, v85, v100, s13
	v_perm_b32 v69, v102, v101, 0x5040100
	v_perm_b32 v86, v87, v86, 0x5040100
	;; [unrolled: 1-line block ×3, first 2 shown]
	v_cndmask_b32_e64 v89, v89, v94, s24
	v_cndmask_b32_e64 v85, v85, v94, s16
	s_mul_i32 s8, s35, 14
	s_delay_alu instid0(VALU_DEP_2) | instskip(NEXT) | instid1(VALU_DEP_2)
	v_cndmask_b32_e64 v88, v89, v84, s27
	v_cndmask_b32_e64 v89, v85, v84, s18
	s_delay_alu instid0(VALU_DEP_2) | instskip(NEXT) | instid1(VALU_DEP_2)
	v_perm_b32 v85, v88, v90, 0x5040100
	v_perm_b32 v84, v89, v66, 0x5040100
	ds_store_b128 v76, v[69:72]
	ds_store_b128 v76, v[83:86] offset:1024
	v_cmpx_gt_u32_e32 14, v0
	s_cbranch_execz .LBB1419_78
; %bb.77:
	s_mul_i32 s4, s8, s30
	s_delay_alu instid0(SALU_CYCLE_1) | instskip(SKIP_1) | instid1(VALU_DEP_1)
	v_add3_u32 v69, s4, s31, v65
	s_load_b128 s[4:7], s[0:1], 0x58
	v_mad_u64_u32 v[65:66], null, v69, s34, s[14:15]
	s_delay_alu instid0(VALU_DEP_1) | instskip(NEXT) | instid1(VALU_DEP_1)
	v_ashrrev_i32_e32 v66, 31, v65
	v_lshlrev_b64 v[65:66], 2, v[65:66]
	s_waitcnt lgkmcnt(0)
	s_delay_alu instid0(VALU_DEP_1) | instskip(NEXT) | instid1(VALU_DEP_2)
	v_add_co_u32 v69, vcc_lo, s6, v65
	v_add_co_ci_u32_e32 v70, vcc_lo, s7, v66, vcc_lo
	v_add_co_u32 v65, vcc_lo, s4, v65
	v_add_co_ci_u32_e32 v66, vcc_lo, s5, v66, vcc_lo
	global_store_b32 v[69:70], v67, off
	global_store_b32 v[65:66], v68, off
.LBB1419_78:
	s_or_b32 exec_lo, exec_lo, s3
	s_waitcnt lgkmcnt(0)
	s_waitcnt_vscnt null, 0x0
	s_barrier
	buffer_gl0_inv
	ds_load_b128 v[83:86], v80
	ds_load_b128 v[87:90], v80 offset:16
	ds_load_b128 v[95:98], v80 offset:2064
	;; [unrolled: 1-line block ×3, first 2 shown]
	v_mov_b32_e32 v65, 0
	ds_load_b128 v[103:106], v80 offset:4112
	ds_load_b128 v[99:102], v80 offset:4096
	;; [unrolled: 1-line block ×4, first 2 shown]
	v_mov_b32_e32 v66, v65
	v_mov_b32_e32 v67, v65
	;; [unrolled: 1-line block ×7, first 2 shown]
	s_waitcnt lgkmcnt(6)
	s_delay_alu instid0(VALU_DEP_1)
	v_wmma_f32_16x16x16_bf16 v[65:72], v[57:64], v[83:90], v[65:72]
	ds_load_b128 v[61:64], v80 offset:8208
	ds_load_b128 v[57:60], v80 offset:8192
	s_waitcnt lgkmcnt(6)
	v_wmma_f32_16x16x16_bf16 v[65:72], v[41:48], v[91:98], v[65:72]
	ds_load_b128 v[45:48], v80 offset:10256
	ds_load_b128 v[41:44], v80 offset:10240
	s_waitcnt lgkmcnt(6)
	v_wmma_f32_16x16x16_bf16 v[65:72], v[33:40], v[99:106], v[65:72]
	ds_load_b128 v[37:40], v80 offset:12304
	ds_load_b128 v[33:36], v80 offset:12288
	s_waitcnt lgkmcnt(6)
	v_wmma_f32_16x16x16_bf16 v[65:72], v[25:32], v[107:114], v[65:72]
	ds_load_b128 v[29:32], v80 offset:14352
	ds_load_b128 v[25:28], v80 offset:14336
	s_waitcnt lgkmcnt(6)
	v_wmma_f32_16x16x16_bf16 v[65:72], v[1:8], v[57:64], v[65:72]
	s_waitcnt lgkmcnt(4)
	s_delay_alu instid0(VALU_DEP_1) | instskip(SKIP_1) | instid1(VALU_DEP_1)
	v_wmma_f32_16x16x16_bf16 v[65:72], v[9:16], v[41:48], v[65:72]
	s_waitcnt lgkmcnt(2)
	v_wmma_f32_16x16x16_bf16 v[65:72], v[17:24], v[33:40], v[65:72]
	s_waitcnt lgkmcnt(0)
	s_delay_alu instid0(VALU_DEP_1) | instskip(NEXT) | instid1(VALU_DEP_1)
	v_wmma_f32_16x16x16_bf16 v[65:72], v[49:56], v[25:32], v[65:72]
	v_and_b32_e32 v1, 0x7f800000, v65
	s_delay_alu instid0(VALU_DEP_1) | instskip(SKIP_1) | instid1(SALU_CYCLE_1)
	v_cmp_ne_u32_e32 vcc_lo, 0x7f800000, v1
                                        ; implicit-def: $vgpr1
	s_and_saveexec_b32 s3, vcc_lo
	s_xor_b32 s3, exec_lo, s3
; %bb.79:
	v_bfe_u32 v1, v65, 16, 1
	s_delay_alu instid0(VALU_DEP_1)
	v_add3_u32 v1, v65, v1, 0x7fff
; %bb.80:
	s_and_not1_saveexec_b32 s3, s3
; %bb.81:
	v_and_b32_e32 v1, 0xffff, v65
	v_or_b32_e32 v2, 0x10000, v65
	s_delay_alu instid0(VALU_DEP_2) | instskip(NEXT) | instid1(VALU_DEP_2)
	v_cmp_eq_u32_e32 vcc_lo, 0, v1
	v_cndmask_b32_e32 v1, v2, v65, vcc_lo
; %bb.82:
	s_or_b32 exec_lo, exec_lo, s3
	v_and_b32_e32 v2, 0x7f800000, v66
	s_delay_alu instid0(VALU_DEP_1) | instskip(SKIP_1) | instid1(SALU_CYCLE_1)
	v_cmp_ne_u32_e32 vcc_lo, 0x7f800000, v2
                                        ; implicit-def: $vgpr2
	s_and_saveexec_b32 s3, vcc_lo
	s_xor_b32 s3, exec_lo, s3
; %bb.83:
	v_bfe_u32 v2, v66, 16, 1
	s_delay_alu instid0(VALU_DEP_1)
	v_add3_u32 v2, v66, v2, 0x7fff
; %bb.84:
	s_and_not1_saveexec_b32 s3, s3
; %bb.85:
	v_and_b32_e32 v2, 0xffff, v66
	v_or_b32_e32 v3, 0x10000, v66
	s_delay_alu instid0(VALU_DEP_2) | instskip(NEXT) | instid1(VALU_DEP_2)
	v_cmp_eq_u32_e32 vcc_lo, 0, v2
	v_cndmask_b32_e32 v2, v3, v66, vcc_lo
; %bb.86:
	s_or_b32 exec_lo, exec_lo, s3
	v_and_b32_e32 v3, 0x7f800000, v67
	s_delay_alu instid0(VALU_DEP_1) | instskip(SKIP_1) | instid1(SALU_CYCLE_1)
	v_cmp_ne_u32_e32 vcc_lo, 0x7f800000, v3
                                        ; implicit-def: $vgpr3
	s_and_saveexec_b32 s3, vcc_lo
	s_xor_b32 s3, exec_lo, s3
; %bb.87:
	v_bfe_u32 v3, v67, 16, 1
	s_delay_alu instid0(VALU_DEP_1)
	v_add3_u32 v3, v67, v3, 0x7fff
; %bb.88:
	s_and_not1_saveexec_b32 s3, s3
; %bb.89:
	v_and_b32_e32 v3, 0xffff, v67
	v_or_b32_e32 v4, 0x10000, v67
	s_delay_alu instid0(VALU_DEP_2) | instskip(NEXT) | instid1(VALU_DEP_2)
	v_cmp_eq_u32_e32 vcc_lo, 0, v3
	v_cndmask_b32_e32 v3, v4, v67, vcc_lo
; %bb.90:
	s_or_b32 exec_lo, exec_lo, s3
	v_and_b32_e32 v4, 0x7f800000, v68
	s_delay_alu instid0(VALU_DEP_1) | instskip(SKIP_1) | instid1(SALU_CYCLE_1)
	v_cmp_ne_u32_e32 vcc_lo, 0x7f800000, v4
                                        ; implicit-def: $vgpr4
	s_and_saveexec_b32 s3, vcc_lo
	s_xor_b32 s3, exec_lo, s3
; %bb.91:
	v_bfe_u32 v4, v68, 16, 1
	s_delay_alu instid0(VALU_DEP_1)
	v_add3_u32 v4, v68, v4, 0x7fff
; %bb.92:
	s_and_not1_saveexec_b32 s3, s3
; %bb.93:
	v_and_b32_e32 v4, 0xffff, v68
	v_or_b32_e32 v5, 0x10000, v68
	s_delay_alu instid0(VALU_DEP_2) | instskip(NEXT) | instid1(VALU_DEP_2)
	v_cmp_eq_u32_e32 vcc_lo, 0, v4
	v_cndmask_b32_e32 v4, v5, v68, vcc_lo
; %bb.94:
	s_or_b32 exec_lo, exec_lo, s3
	v_and_b32_e32 v5, 0x7f800000, v69
	s_delay_alu instid0(VALU_DEP_1) | instskip(SKIP_1) | instid1(SALU_CYCLE_1)
	v_cmp_ne_u32_e32 vcc_lo, 0x7f800000, v5
                                        ; implicit-def: $vgpr5
	s_and_saveexec_b32 s3, vcc_lo
	s_xor_b32 s3, exec_lo, s3
; %bb.95:
	v_bfe_u32 v5, v69, 16, 1
	s_delay_alu instid0(VALU_DEP_1)
	v_add3_u32 v5, v69, v5, 0x7fff
; %bb.96:
	s_and_not1_saveexec_b32 s3, s3
; %bb.97:
	v_and_b32_e32 v5, 0xffff, v69
	v_or_b32_e32 v6, 0x10000, v69
	s_delay_alu instid0(VALU_DEP_2) | instskip(NEXT) | instid1(VALU_DEP_2)
	v_cmp_eq_u32_e32 vcc_lo, 0, v5
	v_cndmask_b32_e32 v5, v6, v69, vcc_lo
; %bb.98:
	s_or_b32 exec_lo, exec_lo, s3
	v_and_b32_e32 v6, 0x7f800000, v70
	s_delay_alu instid0(VALU_DEP_1) | instskip(SKIP_1) | instid1(SALU_CYCLE_1)
	v_cmp_ne_u32_e32 vcc_lo, 0x7f800000, v6
                                        ; implicit-def: $vgpr6
	s_and_saveexec_b32 s3, vcc_lo
	s_xor_b32 s3, exec_lo, s3
; %bb.99:
	v_bfe_u32 v6, v70, 16, 1
	s_delay_alu instid0(VALU_DEP_1)
	v_add3_u32 v6, v70, v6, 0x7fff
; %bb.100:
	s_and_not1_saveexec_b32 s3, s3
; %bb.101:
	v_and_b32_e32 v6, 0xffff, v70
	v_or_b32_e32 v7, 0x10000, v70
	s_delay_alu instid0(VALU_DEP_2) | instskip(NEXT) | instid1(VALU_DEP_2)
	v_cmp_eq_u32_e32 vcc_lo, 0, v6
	v_cndmask_b32_e32 v6, v7, v70, vcc_lo
; %bb.102:
	s_or_b32 exec_lo, exec_lo, s3
	v_and_b32_e32 v7, 0x7f800000, v71
	s_delay_alu instid0(VALU_DEP_1) | instskip(SKIP_1) | instid1(SALU_CYCLE_1)
	v_cmp_ne_u32_e32 vcc_lo, 0x7f800000, v7
                                        ; implicit-def: $vgpr7
	s_and_saveexec_b32 s3, vcc_lo
	s_xor_b32 s3, exec_lo, s3
; %bb.103:
	v_bfe_u32 v7, v71, 16, 1
	s_delay_alu instid0(VALU_DEP_1)
	v_add3_u32 v7, v71, v7, 0x7fff
; %bb.104:
	s_and_not1_saveexec_b32 s3, s3
; %bb.105:
	v_and_b32_e32 v7, 0xffff, v71
	v_or_b32_e32 v8, 0x10000, v71
	s_delay_alu instid0(VALU_DEP_2) | instskip(NEXT) | instid1(VALU_DEP_2)
	v_cmp_eq_u32_e32 vcc_lo, 0, v7
	v_cndmask_b32_e32 v7, v8, v71, vcc_lo
; %bb.106:
	s_or_b32 exec_lo, exec_lo, s3
	v_and_b32_e32 v8, 0x7f800000, v72
	s_delay_alu instid0(VALU_DEP_1) | instskip(SKIP_1) | instid1(SALU_CYCLE_1)
	v_cmp_ne_u32_e32 vcc_lo, 0x7f800000, v8
                                        ; implicit-def: $vgpr8
	s_and_saveexec_b32 s3, vcc_lo
	s_xor_b32 s3, exec_lo, s3
; %bb.107:
	v_bfe_u32 v8, v72, 16, 1
	s_delay_alu instid0(VALU_DEP_1)
	v_add3_u32 v8, v72, v8, 0x7fff
                                        ; implicit-def: $vgpr65_vgpr66_vgpr67_vgpr68_vgpr69_vgpr70_vgpr71_vgpr72
; %bb.108:
	s_and_not1_saveexec_b32 s3, s3
; %bb.109:
	v_and_b32_e32 v8, 0xffff, v72
	v_or_b32_e32 v9, 0x10000, v72
	s_delay_alu instid0(VALU_DEP_2) | instskip(NEXT) | instid1(VALU_DEP_2)
	v_cmp_eq_u32_e32 vcc_lo, 0, v8
	v_cndmask_b32_e32 v8, v9, v72, vcc_lo
; %bb.110:
	s_or_b32 exec_lo, exec_lo, s3
	s_delay_alu instid0(VALU_DEP_1)
	v_perm_b32 v7, v8, v7, 0x7060302
	v_perm_b32 v6, v6, v5, 0x7060302
	v_perm_b32 v5, v4, v3, 0x7060302
	v_perm_b32 v4, v2, v1, 0x7060302
	s_barrier
	buffer_gl0_inv
	v_cmp_eq_u32_e32 vcc_lo, 1, v78
	ds_store_b128 v76, v[4:7]
	s_waitcnt lgkmcnt(0)
	s_barrier
	buffer_gl0_inv
	ds_load_b128 v[1:4], v82
	ds_load_b128 v[5:8], v82 offset:16
	v_cmp_eq_u32_e64 s3, 1, v79
	v_cmp_eq_u32_e64 s4, 2, v78
	;; [unrolled: 1-line block ×5, first 2 shown]
	s_waitcnt lgkmcnt(1)
	v_lshrrev_b32_e32 v9, 16, v1
	s_waitcnt lgkmcnt(0)
	v_lshrrev_b32_e32 v13, 16, v5
	v_lshrrev_b32_e32 v10, 16, v2
	;; [unrolled: 1-line block ×4, first 2 shown]
	v_cndmask_b32_e64 v19, v1, v9, s3
	v_cndmask_b32_e32 v18, v5, v13, vcc_lo
	v_cndmask_b32_e64 v20, v5, v13, s3
	v_cndmask_b32_e32 v17, v1, v9, vcc_lo
	v_cmp_eq_u32_e32 vcc_lo, 2, v79
	v_lshrrev_b32_e32 v15, 16, v7
	v_cmp_eq_u32_e64 s3, 1, v77
	v_lshrrev_b32_e32 v12, 16, v4
	v_lshrrev_b32_e32 v16, 16, v8
	v_cndmask_b32_e32 v20, v20, v6, vcc_lo
	v_cndmask_b32_e64 v17, v17, v2, s4
	v_cndmask_b32_e32 v19, v19, v2, vcc_lo
	v_cndmask_b32_e64 v18, v18, v6, s4
	v_cmp_eq_u32_e32 vcc_lo, 4, v78
	v_cmp_eq_u32_e64 s4, 3, v79
	v_cndmask_b32_e64 v17, v17, v10, s5
	v_cndmask_b32_e64 v21, v1, v9, s3
	;; [unrolled: 1-line block ×5, first 2 shown]
	v_cndmask_b32_e32 v17, v17, v3, vcc_lo
	v_cndmask_b32_e64 v20, v20, v14, s4
	v_cndmask_b32_e32 v18, v18, v7, vcc_lo
	v_cmp_eq_u32_e32 vcc_lo, 4, v79
	v_cmp_eq_u32_e64 s4, 5, v79
	v_cmp_eq_u32_e64 s3, 2, v81
	v_cndmask_b32_e64 v21, v21, v2, s7
	v_cmp_eq_u32_e64 s5, 5, v78
	v_cndmask_b32_e32 v19, v19, v3, vcc_lo
	v_cndmask_b32_e32 v20, v20, v7, vcc_lo
	v_cmp_eq_u32_e32 vcc_lo, 6, v79
	s_delay_alu instid0(VALU_DEP_4) | instskip(NEXT) | instid1(VALU_DEP_4)
	v_cndmask_b32_e64 v17, v17, v11, s5
	v_cndmask_b32_e64 v19, v19, v11, s4
	s_delay_alu instid0(VALU_DEP_4) | instskip(SKIP_1) | instid1(VALU_DEP_3)
	v_cndmask_b32_e64 v20, v20, v15, s4
	v_cmp_eq_u32_e64 s4, 1, v81
	v_cndmask_b32_e32 v19, v19, v4, vcc_lo
	v_cndmask_b32_e64 v18, v18, v15, s5
	s_delay_alu instid0(VALU_DEP_3)
	v_cndmask_b32_e64 v1, v1, v9, s4
	v_cndmask_b32_e64 v5, v5, v13, s4
	v_cmp_eq_u32_e64 s4, 3, v77
	v_cndmask_b32_e64 v13, v22, v6, s7
	v_cmp_eq_u32_e64 s7, 3, v81
	v_cndmask_b32_e64 v1, v1, v2, s3
	v_cndmask_b32_e64 v2, v5, v6, s3
	;; [unrolled: 1-line block ×3, first 2 shown]
	v_cmp_eq_u32_e64 s3, 4, v77
	v_cndmask_b32_e64 v6, v13, v14, s4
	v_cndmask_b32_e64 v1, v1, v10, s7
	v_cmp_eq_u32_e64 s4, 4, v81
	v_cndmask_b32_e64 v2, v2, v14, s7
	v_cndmask_b32_e64 v5, v9, v3, s3
	;; [unrolled: 3-line block ×3, first 2 shown]
	v_cndmask_b32_e64 v2, v2, v7, s4
	v_cmp_eq_u32_e64 s3, 5, v81
	v_cmp_eq_u32_e64 s5, 6, v78
	v_cndmask_b32_e64 v5, v5, v11, s7
	v_cmp_eq_u32_e64 s4, 6, v77
	v_cndmask_b32_e64 v3, v6, v15, s7
	v_cndmask_b32_e64 v1, v1, v11, s3
	v_cmp_eq_u32_e64 s7, 6, v81
	v_cndmask_b32_e64 v2, v2, v15, s3
	v_cndmask_b32_e64 v17, v17, v4, s5
	v_cndmask_b32_e64 v18, v18, v8, s5
	v_cmp_eq_u32_e64 s5, 7, v78
	v_cndmask_b32_e64 v5, v5, v4, s4
	;; [unrolled: 4-line block ×3, first 2 shown]
	v_cmp_eq_u32_e64 s4, 7, v77
	v_cndmask_b32_e32 v4, v20, v8, vcc_lo
	v_cndmask_b32_e64 v17, v17, v12, s5
	v_cndmask_b32_e64 v19, v19, v12, s6
	;; [unrolled: 1-line block ×8, first 2 shown]
	v_cmp_gt_u32_e32 vcc_lo, 32, v0
	v_perm_b32 v4, v2, v1, 0x5040100
	v_perm_b32 v3, v3, v5, 0x5040100
	;; [unrolled: 1-line block ×4, first 2 shown]
	s_and_b32 s2, vcc_lo, s2
	ds_store_b128 v76, v[1:4]
	s_waitcnt lgkmcnt(0)
	s_barrier
	buffer_gl0_inv
	s_and_saveexec_b32 s3, s2
	s_cbranch_execz .LBB1419_2
; %bb.111:
	s_load_b64 s[0:1], s[0:1], 0x68
	v_lshlrev_b32_e32 v0, 10, v0
	s_lshl_b32 s4, s34, 6
	v_or_b32_e32 v3, s31, v74
	s_mul_i32 s2, s4, s30
	v_lshlrev_b32_e32 v1, 4, v75
	v_lshlrev_b32_e32 v2, 6, v74
	v_and_b32_e32 v0, 0x3800, v0
	s_mul_i32 s2, s2, s8
	v_mul_lo_u32 v8, v3, s4
	s_ashr_i32 s3, s2, 31
	s_delay_alu instid0(SALU_CYCLE_1)
	s_lshl_b64 s[2:3], s[2:3], 1
	v_or3_b32 v16, v0, v1, v2
	ds_load_b128 v[0:3], v16
	ds_load_b128 v[4:7], v16 offset:128
	v_ashrrev_i32_e32 v9, 31, v8
	s_waitcnt lgkmcnt(0)
	s_add_u32 s2, s0, s2
	s_addc_u32 s3, s1, s3
	s_lshl_b32 s0, s14, 6
	s_delay_alu instid0(SALU_CYCLE_1) | instskip(SKIP_2) | instid1(SALU_CYCLE_1)
	s_ashr_i32 s1, s0, 31
	v_lshlrev_b64 v[9:10], 1, v[8:9]
	s_lshl_b64 s[0:1], s[0:1], 1
	s_add_u32 s0, s2, s0
	s_addc_u32 s1, s3, s1
	s_lshl_b32 s2, s34, 7
	v_add_co_u32 v30, s0, s0, v73
	v_add_nc_u32_e32 v11, s2, v8
	v_add_co_ci_u32_e64 v31, null, s1, 0, s0
	s_delay_alu instid0(VALU_DEP_3) | instskip(NEXT) | instid1(VALU_DEP_3)
	v_add_co_u32 v9, vcc_lo, v30, v9
	v_add_nc_u32_e32 v8, s2, v11
	s_delay_alu instid0(VALU_DEP_3) | instskip(SKIP_1) | instid1(VALU_DEP_3)
	v_add_co_ci_u32_e32 v10, vcc_lo, v31, v10, vcc_lo
	v_ashrrev_i32_e32 v12, 31, v11
	v_add_nc_u32_e32 v13, s2, v8
	global_store_b128 v[9:10], v[0:3], off
	v_ashrrev_i32_e32 v9, 31, v8
	v_lshlrev_b64 v[11:12], 1, v[11:12]
	v_ashrrev_i32_e32 v14, 31, v13
	v_add_nc_u32_e32 v10, s2, v13
	s_delay_alu instid0(VALU_DEP_4) | instskip(NEXT) | instid1(VALU_DEP_4)
	v_lshlrev_b64 v[2:3], 1, v[8:9]
	v_add_co_u32 v0, vcc_lo, v30, v11
	s_delay_alu instid0(VALU_DEP_4)
	v_lshlrev_b64 v[8:9], 1, v[13:14]
	v_add_co_ci_u32_e32 v1, vcc_lo, v31, v12, vcc_lo
	v_ashrrev_i32_e32 v11, 31, v10
	v_add_co_u32 v22, vcc_lo, v30, v2
	v_add_nc_u32_e32 v20, s2, v10
	v_add_co_ci_u32_e32 v23, vcc_lo, v31, v3, vcc_lo
	v_add_co_u32 v24, vcc_lo, v30, v8
	global_store_b128 v[0:1], v[4:7], off
	v_add_co_ci_u32_e32 v25, vcc_lo, v31, v9, vcc_lo
	ds_load_b128 v[0:3], v16 offset:256
	ds_load_b128 v[4:7], v16 offset:384
	v_lshlrev_b64 v[26:27], 1, v[10:11]
	ds_load_b128 v[8:11], v16 offset:512
	ds_load_b128 v[12:15], v16 offset:640
	;; [unrolled: 1-line block ×3, first 2 shown]
	v_add_nc_u32_e32 v28, s2, v20
	v_ashrrev_i32_e32 v21, 31, v20
	v_add_co_u32 v26, vcc_lo, v30, v26
	s_delay_alu instid0(VALU_DEP_3) | instskip(NEXT) | instid1(VALU_DEP_3)
	v_ashrrev_i32_e32 v29, 31, v28
	v_lshlrev_b64 v[20:21], 1, v[20:21]
	v_add_co_ci_u32_e32 v27, vcc_lo, v31, v27, vcc_lo
	s_delay_alu instid0(VALU_DEP_3) | instskip(NEXT) | instid1(VALU_DEP_3)
	v_lshlrev_b64 v[28:29], 1, v[28:29]
	v_add_co_u32 v20, vcc_lo, v30, v20
	s_delay_alu instid0(VALU_DEP_4) | instskip(NEXT) | instid1(VALU_DEP_3)
	v_add_co_ci_u32_e32 v21, vcc_lo, v31, v21, vcc_lo
	v_add_co_u32 v28, vcc_lo, v30, v28
	s_delay_alu instid0(VALU_DEP_4)
	v_add_co_ci_u32_e32 v29, vcc_lo, v31, v29, vcc_lo
	s_waitcnt lgkmcnt(4)
	global_store_b128 v[22:23], v[0:3], off
	s_waitcnt lgkmcnt(3)
	global_store_b128 v[24:25], v[4:7], off
	;; [unrolled: 2-line block ×5, first 2 shown]
	s_nop 0
	s_sendmsg sendmsg(MSG_DEALLOC_VGPRS)
	s_endpgm
	.section	.rodata,"a",@progbits
	.p2align	6, 0x0
	.amdhsa_kernel _Z39paged_attention_ll4mi_QKV_mfma16_kernelI14__hip_bfloat16hLN4vllm18Fp8KVCacheDataTypeE1ES0_Li16ELi64ELi256ELb0ELi14EL8MFMAType1EEvPKT_PKT0_S9_ifPKiSB_SB_iPKfiiiPfSE_PS4_PT2_iSD_SD_
		.amdhsa_group_segment_fixed_size 17472
		.amdhsa_private_segment_fixed_size 0
		.amdhsa_kernarg_size 400
		.amdhsa_user_sgpr_count 13
		.amdhsa_user_sgpr_dispatch_ptr 0
		.amdhsa_user_sgpr_queue_ptr 0
		.amdhsa_user_sgpr_kernarg_segment_ptr 1
		.amdhsa_user_sgpr_dispatch_id 0
		.amdhsa_user_sgpr_private_segment_size 0
		.amdhsa_wavefront_size32 1
		.amdhsa_uses_dynamic_stack 0
		.amdhsa_enable_private_segment 0
		.amdhsa_system_sgpr_workgroup_id_x 1
		.amdhsa_system_sgpr_workgroup_id_y 1
		.amdhsa_system_sgpr_workgroup_id_z 1
		.amdhsa_system_sgpr_workgroup_info 0
		.amdhsa_system_vgpr_workitem_id 0
		.amdhsa_next_free_vgpr 124
		.amdhsa_next_free_sgpr 38
		.amdhsa_reserve_vcc 1
		.amdhsa_float_round_mode_32 0
		.amdhsa_float_round_mode_16_64 0
		.amdhsa_float_denorm_mode_32 3
		.amdhsa_float_denorm_mode_16_64 3
		.amdhsa_dx10_clamp 1
		.amdhsa_ieee_mode 1
		.amdhsa_fp16_overflow 0
		.amdhsa_workgroup_processor_mode 1
		.amdhsa_memory_ordered 1
		.amdhsa_forward_progress 0
		.amdhsa_shared_vgpr_count 0
		.amdhsa_exception_fp_ieee_invalid_op 0
		.amdhsa_exception_fp_denorm_src 0
		.amdhsa_exception_fp_ieee_div_zero 0
		.amdhsa_exception_fp_ieee_overflow 0
		.amdhsa_exception_fp_ieee_underflow 0
		.amdhsa_exception_fp_ieee_inexact 0
		.amdhsa_exception_int_div_zero 0
	.end_amdhsa_kernel
	.section	.text._Z39paged_attention_ll4mi_QKV_mfma16_kernelI14__hip_bfloat16hLN4vllm18Fp8KVCacheDataTypeE1ES0_Li16ELi64ELi256ELb0ELi14EL8MFMAType1EEvPKT_PKT0_S9_ifPKiSB_SB_iPKfiiiPfSE_PS4_PT2_iSD_SD_,"axG",@progbits,_Z39paged_attention_ll4mi_QKV_mfma16_kernelI14__hip_bfloat16hLN4vllm18Fp8KVCacheDataTypeE1ES0_Li16ELi64ELi256ELb0ELi14EL8MFMAType1EEvPKT_PKT0_S9_ifPKiSB_SB_iPKfiiiPfSE_PS4_PT2_iSD_SD_,comdat
.Lfunc_end1419:
	.size	_Z39paged_attention_ll4mi_QKV_mfma16_kernelI14__hip_bfloat16hLN4vllm18Fp8KVCacheDataTypeE1ES0_Li16ELi64ELi256ELb0ELi14EL8MFMAType1EEvPKT_PKT0_S9_ifPKiSB_SB_iPKfiiiPfSE_PS4_PT2_iSD_SD_, .Lfunc_end1419-_Z39paged_attention_ll4mi_QKV_mfma16_kernelI14__hip_bfloat16hLN4vllm18Fp8KVCacheDataTypeE1ES0_Li16ELi64ELi256ELb0ELi14EL8MFMAType1EEvPKT_PKT0_S9_ifPKiSB_SB_iPKfiiiPfSE_PS4_PT2_iSD_SD_
                                        ; -- End function
	.section	.AMDGPU.csdata,"",@progbits
; Kernel info:
; codeLenInByte = 8860
; NumSgprs: 40
; NumVgprs: 124
; ScratchSize: 0
; MemoryBound: 0
; FloatMode: 240
; IeeeMode: 1
; LDSByteSize: 17472 bytes/workgroup (compile time only)
; SGPRBlocks: 4
; VGPRBlocks: 15
; NumSGPRsForWavesPerEU: 40
; NumVGPRsForWavesPerEU: 124
; Occupancy: 10
; WaveLimiterHint : 1
; COMPUTE_PGM_RSRC2:SCRATCH_EN: 0
; COMPUTE_PGM_RSRC2:USER_SGPR: 13
; COMPUTE_PGM_RSRC2:TRAP_HANDLER: 0
; COMPUTE_PGM_RSRC2:TGID_X_EN: 1
; COMPUTE_PGM_RSRC2:TGID_Y_EN: 1
; COMPUTE_PGM_RSRC2:TGID_Z_EN: 1
; COMPUTE_PGM_RSRC2:TIDIG_COMP_CNT: 0
	.section	.text._Z39paged_attention_ll4mi_QKV_mfma16_kernelI14__hip_bfloat16hLN4vllm18Fp8KVCacheDataTypeE1ES0_Li16ELi64ELi256ELb0ELi15EL8MFMAType1EEvPKT_PKT0_S9_ifPKiSB_SB_iPKfiiiPfSE_PS4_PT2_iSD_SD_,"axG",@progbits,_Z39paged_attention_ll4mi_QKV_mfma16_kernelI14__hip_bfloat16hLN4vllm18Fp8KVCacheDataTypeE1ES0_Li16ELi64ELi256ELb0ELi15EL8MFMAType1EEvPKT_PKT0_S9_ifPKiSB_SB_iPKfiiiPfSE_PS4_PT2_iSD_SD_,comdat
	.protected	_Z39paged_attention_ll4mi_QKV_mfma16_kernelI14__hip_bfloat16hLN4vllm18Fp8KVCacheDataTypeE1ES0_Li16ELi64ELi256ELb0ELi15EL8MFMAType1EEvPKT_PKT0_S9_ifPKiSB_SB_iPKfiiiPfSE_PS4_PT2_iSD_SD_ ; -- Begin function _Z39paged_attention_ll4mi_QKV_mfma16_kernelI14__hip_bfloat16hLN4vllm18Fp8KVCacheDataTypeE1ES0_Li16ELi64ELi256ELb0ELi15EL8MFMAType1EEvPKT_PKT0_S9_ifPKiSB_SB_iPKfiiiPfSE_PS4_PT2_iSD_SD_
	.globl	_Z39paged_attention_ll4mi_QKV_mfma16_kernelI14__hip_bfloat16hLN4vllm18Fp8KVCacheDataTypeE1ES0_Li16ELi64ELi256ELb0ELi15EL8MFMAType1EEvPKT_PKT0_S9_ifPKiSB_SB_iPKfiiiPfSE_PS4_PT2_iSD_SD_
	.p2align	8
	.type	_Z39paged_attention_ll4mi_QKV_mfma16_kernelI14__hip_bfloat16hLN4vllm18Fp8KVCacheDataTypeE1ES0_Li16ELi64ELi256ELb0ELi15EL8MFMAType1EEvPKT_PKT0_S9_ifPKiSB_SB_iPKfiiiPfSE_PS4_PT2_iSD_SD_,@function
_Z39paged_attention_ll4mi_QKV_mfma16_kernelI14__hip_bfloat16hLN4vllm18Fp8KVCacheDataTypeE1ES0_Li16ELi64ELi256ELb0ELi15EL8MFMAType1EEvPKT_PKT0_S9_ifPKiSB_SB_iPKfiiiPfSE_PS4_PT2_iSD_SD_: ; @_Z39paged_attention_ll4mi_QKV_mfma16_kernelI14__hip_bfloat16hLN4vllm18Fp8KVCacheDataTypeE1ES0_Li16ELi64ELi256ELb0ELi15EL8MFMAType1EEvPKT_PKT0_S9_ifPKiSB_SB_iPKfiiiPfSE_PS4_PT2_iSD_SD_
; %bb.0:
	s_load_b64 s[2:3], s[0:1], 0x30
	s_mov_b32 s34, s13
	s_waitcnt lgkmcnt(0)
	s_cmp_lg_u64 s[2:3], 0
	s_cselect_b32 s8, -1, 0
	s_ashr_i32 s35, s13, 31
	s_cmp_eq_u64 s[2:3], 0
	s_cbranch_scc1 .LBB1420_3
; %bb.1:
	s_lshl_b64 s[4:5], s[34:35], 2
	s_delay_alu instid0(SALU_CYCLE_1) | instskip(SKIP_4) | instid1(SALU_CYCLE_1)
	s_add_u32 s4, s2, s4
	s_addc_u32 s5, s3, s5
	s_load_b64 s[4:5], s[4:5], 0x0
	s_waitcnt lgkmcnt(0)
	s_sub_i32 s4, s5, s4
	s_cmp_eq_u32 s4, 1
	s_cselect_b32 s4, -1, 0
	s_delay_alu instid0(SALU_CYCLE_1)
	s_and_not1_b32 vcc_lo, exec_lo, s4
	s_cbranch_vccz .LBB1420_4
.LBB1420_2:
	s_nop 0
	s_sendmsg sendmsg(MSG_DEALLOC_VGPRS)
	s_endpgm
.LBB1420_3:
.LBB1420_4:
	s_load_b64 s[4:5], s[0:1], 0x28
	s_lshl_b64 s[6:7], s[34:35], 2
	s_waitcnt lgkmcnt(0)
	s_add_u32 s4, s4, s6
	s_addc_u32 s5, s5, s7
	s_lshl_b32 s12, s14, 8
	s_load_b32 s24, s[4:5], 0x0
	s_waitcnt lgkmcnt(0)
	s_cmp_ge_i32 s12, s24
	s_cbranch_scc1 .LBB1420_2
; %bb.5:
	s_clause 0x1
	s_load_b128 s[20:23], s[0:1], 0x8
	s_load_b64 s[4:5], s[0:1], 0x20
	s_and_not1_b32 vcc_lo, exec_lo, s8
	s_cbranch_vccnz .LBB1420_7
; %bb.6:
	s_add_u32 s2, s2, s6
	s_addc_u32 s3, s3, s7
	s_load_b32 s3, s[2:3], 0x0
	s_branch .LBB1420_8
.LBB1420_7:
	s_mov_b32 s3, s34
.LBB1420_8:
	s_load_b128 s[16:19], s[0:1], 0x48
	v_lshrrev_b32_e32 v66, 5, v0
	v_bfe_u32 v74, v0, 4, 1
	v_and_b32_e32 v65, 15, v0
	v_and_b32_e32 v67, 31, v0
	;; [unrolled: 1-line block ×3, first 2 shown]
	s_mul_i32 s31, s15, 15
	v_lshl_or_b32 v1, v66, 1, v74
	v_lshlrev_b32_e32 v2, 3, v65
	v_cmp_gt_u32_e64 s2, 8, v65
	s_delay_alu instid0(VALU_DEP_3) | instskip(NEXT) | instid1(VALU_DEP_3)
	v_cmp_gt_u32_e32 vcc_lo, 15, v1
	v_lshlrev_b32_e32 v73, 1, v2
	s_delay_alu instid0(VALU_DEP_3) | instskip(NEXT) | instid1(SALU_CYCLE_1)
	s_and_b32 s7, s2, vcc_lo
	s_and_saveexec_b32 s6, s7
	s_cbranch_execz .LBB1420_10
; %bb.9:
	s_load_b64 s[8:9], s[0:1], 0x0
	v_add_lshl_u32 v2, v1, s31, 6
	s_waitcnt lgkmcnt(0)
	s_mul_hi_i32 s11, s3, s16
	s_mul_i32 s10, s3, s16
	v_lshlrev_b32_e32 v6, 10, v65
	s_lshl_b64 s[10:11], s[10:11], 1
	v_ashrrev_i32_e32 v3, 31, v2
	v_lshlrev_b32_e32 v1, 6, v1
	v_lshlrev_b32_e32 v7, 10, v75
	v_and_b32_e32 v6, 0x3800, v6
	s_delay_alu instid0(VALU_DEP_4) | instskip(NEXT) | instid1(VALU_DEP_2)
	v_lshlrev_b64 v[2:3], 1, v[2:3]
	v_or3_b32 v1, v6, v7, v1
	s_add_u32 s3, s8, s10
	s_addc_u32 s7, s9, s11
	s_delay_alu instid0(VALU_DEP_2) | instskip(NEXT) | instid1(VALU_DEP_3)
	v_add_co_u32 v2, vcc_lo, s3, v2
	v_add_co_ci_u32_e32 v3, vcc_lo, s7, v3, vcc_lo
	s_delay_alu instid0(VALU_DEP_2) | instskip(NEXT) | instid1(VALU_DEP_2)
	v_add_co_u32 v2, vcc_lo, v2, v73
	v_add_co_ci_u32_e32 v3, vcc_lo, 0, v3, vcc_lo
	global_load_b128 v[2:5], v[2:3], off
	s_waitcnt vmcnt(0)
	ds_store_b128 v1, v[2:5]
.LBB1420_10:
	s_or_b32 exec_lo, exec_lo, s6
	v_and_b32_e32 v1, 0xef, v0
	s_waitcnt lgkmcnt(0)
	s_add_i32 s3, s24, 15
	s_clause 0x1
	s_load_b32 s6, s[0:1], 0x38
	s_load_b32 s19, s[0:1], 0x1c
	s_ashr_i32 s7, s3, 31
	v_add_nc_u32_e32 v1, s12, v1
	s_lshr_b32 s7, s7, 28
	s_waitcnt lgkmcnt(0)
	s_add_i32 s3, s3, s7
	s_barrier
	v_ashrrev_i32_e32 v2, 31, v1
	v_or_b32_e32 v3, 16, v1
	s_ashr_i32 s3, s3, 4
	v_cmp_gt_i32_e32 vcc_lo, s24, v1
	s_add_i32 s3, s3, -1
	v_lshrrev_b32_e32 v2, 28, v2
	buffer_gl0_inv
	s_mul_i32 s27, s15, s18
	v_add_nc_u32_e32 v4, v1, v2
	s_mul_i32 s6, s34, s6
	s_delay_alu instid0(SALU_CYCLE_1) | instskip(NEXT) | instid1(VALU_DEP_1)
	s_ashr_i32 s7, s6, 31
	v_ashrrev_i32_e32 v4, 4, v4
	v_add_nc_u32_e32 v2, v3, v2
	s_lshl_b64 s[6:7], s[6:7], 2
	s_delay_alu instid0(SALU_CYCLE_1) | instskip(NEXT) | instid1(VALU_DEP_2)
	s_add_u32 s26, s4, s6
	v_cndmask_b32_e32 v1, s3, v4, vcc_lo
	s_delay_alu instid0(VALU_DEP_2)
	v_ashrrev_i32_e32 v2, 4, v2
	v_cmp_gt_i32_e32 vcc_lo, s24, v3
	s_addc_u32 s25, s5, s7
	s_ashr_i32 s28, s27, 31
	s_add_u32 s13, s20, s27
	s_addc_u32 s15, s21, s28
	v_cndmask_b32_e32 v3, s3, v2, vcc_lo
	v_ashrrev_i32_e32 v2, 31, v1
	s_lshl_b32 s4, s14, 4
	s_delay_alu instid0(SALU_CYCLE_1) | instskip(NEXT) | instid1(VALU_DEP_2)
	s_ashr_i32 s5, s4, 31
	v_ashrrev_i32_e32 v4, 31, v3
	s_delay_alu instid0(VALU_DEP_2) | instskip(SKIP_1) | instid1(SALU_CYCLE_1)
	v_lshlrev_b64 v[1:2], 2, v[1:2]
	s_lshl_b64 s[4:5], s[4:5], 2
	s_add_u32 s4, s26, s4
	s_delay_alu instid0(VALU_DEP_2) | instskip(SKIP_1) | instid1(VALU_DEP_2)
	v_lshlrev_b64 v[3:4], 2, v[3:4]
	s_addc_u32 s5, s25, s5
	v_add_co_u32 v1, vcc_lo, s26, v1
	v_add_co_ci_u32_e32 v2, vcc_lo, s25, v2, vcc_lo
	s_delay_alu instid0(VALU_DEP_3) | instskip(NEXT) | instid1(VALU_DEP_4)
	v_add_co_u32 v3, vcc_lo, s26, v3
	v_add_co_ci_u32_e32 v4, vcc_lo, s25, v4, vcc_lo
	s_clause 0x1
	global_load_b32 v5, v[1:2], off
	global_load_b32 v7, v[3:4], off
	s_or_b32 s6, s12, 32
	v_lshlrev_b32_e32 v1, 4, v0
	s_ashr_i32 s7, s6, 4
	s_cmp_lt_i32 s6, s24
	v_cmp_ne_u32_e32 vcc_lo, 15, v65
	s_cselect_b32 s6, s7, s3
	v_and_b32_e32 v1, 0xf0, v1
	s_ashr_i32 s7, s6, 31
	s_delay_alu instid0(SALU_CYCLE_1) | instskip(NEXT) | instid1(SALU_CYCLE_1)
	s_lshl_b64 s[6:7], s[6:7], 2
	s_add_u32 s6, s26, s6
	s_addc_u32 s7, s25, s7
	s_or_b32 s8, s12, 64
	v_add_co_u32 v1, s13, s13, v1
	s_ashr_i32 s9, s8, 4
	s_cmp_lt_i32 s8, s24
	v_add_co_ci_u32_e64 v2, null, s15, 0, s13
	s_cselect_b32 s8, s9, s3
	s_delay_alu instid0(SALU_CYCLE_1) | instskip(NEXT) | instid1(SALU_CYCLE_1)
	s_ashr_i32 s9, s8, 31
	s_lshl_b64 s[8:9], s[8:9], 2
	s_delay_alu instid0(SALU_CYCLE_1) | instskip(SKIP_2) | instid1(SALU_CYCLE_1)
	s_add_u32 s8, s26, s8
	s_addc_u32 s9, s25, s9
	s_or_b32 s10, s12, 0x60
	s_ashr_i32 s11, s10, 4
	s_cmp_lt_i32 s10, s24
	s_cselect_b32 s10, s11, s3
	s_delay_alu instid0(SALU_CYCLE_1) | instskip(NEXT) | instid1(SALU_CYCLE_1)
	s_ashr_i32 s11, s10, 31
	s_lshl_b64 s[10:11], s[10:11], 2
	s_delay_alu instid0(SALU_CYCLE_1) | instskip(SKIP_2) | instid1(SALU_CYCLE_1)
	s_add_u32 s10, s26, s10
	s_addc_u32 s11, s25, s11
	s_or_b32 s16, s12, 0x80
	s_ashr_i32 s18, s16, 4
	s_cmp_lt_i32 s16, s24
	;; [unrolled: 10-line block ×3, first 2 shown]
	s_cselect_b32 s20, s18, s3
	s_delay_alu instid0(SALU_CYCLE_1) | instskip(NEXT) | instid1(SALU_CYCLE_1)
	s_ashr_i32 s21, s20, 31
	s_lshl_b64 s[20:21], s[20:21], 2
	s_delay_alu instid0(SALU_CYCLE_1)
	s_add_u32 s38, s26, s20
	s_addc_u32 s39, s25, s21
	s_clause 0x5
	s_load_b32 s21, s[4:5], 0x0
	s_load_b32 s13, s[6:7], 0x0
	;; [unrolled: 1-line block ×6, first 2 shown]
	s_or_b32 s7, s12, 0xc0
	s_mov_b32 s4, 0
	s_ashr_i32 s8, s7, 4
	s_cmp_lt_i32 s7, s24
	s_mov_b32 s5, s4
	s_cselect_b32 s10, s8, s3
	s_mov_b32 s6, s4
	s_ashr_i32 s11, s10, 31
	s_mov_b32 s7, s4
	s_lshl_b64 s[36:37], s[10:11], 2
	s_mov_b32 s11, s4
	s_add_u32 s36, s26, s36
	s_addc_u32 s37, s25, s37
	s_or_b32 s29, s12, 0xe0
	s_mov_b32 s8, s4
	s_ashr_i32 s30, s29, 4
	s_mov_b32 s9, s4
	s_mov_b32 s10, s4
	s_cmp_lt_i32 s29, s24
	s_waitcnt vmcnt(1)
	v_mad_i64_i32 v[3:4], null, v5, s17, v[1:2]
	s_waitcnt vmcnt(0)
	v_mad_i64_i32 v[5:6], null, v7, s17, v[1:2]
	v_cndmask_b32_e32 v1, 0, v65, vcc_lo
	v_mov_b32_e32 v107, s11
	s_clause 0x7
	global_load_b128 v[49:52], v[3:4], off
	global_load_b128 v[53:56], v[3:4], off offset:256
	global_load_b128 v[76:79], v[5:6], off
	global_load_b128 v[80:83], v[5:6], off offset:256
	global_load_b128 v[84:87], v[3:4], off offset:512
	;; [unrolled: 1-line block ×5, first 2 shown]
	v_lshlrev_b32_e32 v70, 6, v1
	v_dual_mov_b32 v106, s10 :: v_dual_mov_b32 v105, s9
	v_dual_mov_b32 v104, s8 :: v_dual_mov_b32 v103, s7
	;; [unrolled: 1-line block ×3, first 2 shown]
	v_mov_b32_e32 v100, s4
	s_cselect_b32 s4, s30, s3
	v_lshlrev_b32_e32 v2, 4, v65
	s_ashr_i32 s5, s4, 31
	s_load_b32 s3, s[36:37], 0x0
	s_lshl_b64 s[4:5], s[4:5], 2
	ds_load_b128 v[108:111], v70
	ds_load_b128 v[112:115], v70 offset:1024
	s_add_u32 s4, s26, s4
	s_addc_u32 s5, s25, s5
	v_lshl_or_b32 v1, v66, 8, v2
	s_load_b32 s4, s[4:5], 0x0
	s_add_u32 s6, s22, s27
	s_addc_u32 s7, s23, s28
	s_delay_alu instid0(VALU_DEP_1) | instskip(NEXT) | instid1(VALU_DEP_1)
	v_add_co_u32 v9, s6, s6, v1
	v_add_co_ci_u32_e64 v10, null, s7, 0, s6
	s_waitcnt lgkmcnt(0)
	s_delay_alu instid0(VALU_DEP_1)
	v_mad_i64_i32 v[1:2], null, s21, s17, v[9:10]
	v_mad_i64_i32 v[3:4], null, s13, s17, v[9:10]
	;; [unrolled: 1-line block ×7, first 2 shown]
	s_clause 0x9
	global_load_b128 v[57:60], v[1:2], off
	global_load_b128 v[61:64], v[1:2], off offset:16
	global_load_b128 v[41:44], v[3:4], off
	global_load_b128 v[45:48], v[3:4], off offset:16
	global_load_b128 v[33:36], v[5:6], off
	global_load_b128 v[37:40], v[5:6], off offset:16
	global_load_b128 v[25:28], v[7:8], off
	global_load_b128 v[29:32], v[7:8], off offset:16
	global_load_b128 v[1:4], v[11:12], off
	global_load_b128 v[5:8], v[11:12], off offset:16
	v_mad_i64_i32 v[68:69], null, s4, s17, v[9:10]
	s_clause 0x3
	global_load_b128 v[9:12], v[13:14], off
	global_load_b128 v[13:16], v[13:14], off offset:16
	global_load_b128 v[17:20], v[21:22], off
	global_load_b128 v[21:24], v[21:22], off offset:16
	s_waitcnt vmcnt(20)
	v_wmma_f32_16x16x16_bf16 v[116:123], v[49:56], v[108:115], v[100:107]
	s_clause 0x1
	global_load_b128 v[49:52], v[68:69], off
	global_load_b128 v[53:56], v[68:69], off offset:16
	v_and_b32_e32 v68, 0xe0, v0
	v_mbcnt_lo_u32_b32 v69, -1, 0
	s_delay_alu instid0(VALU_DEP_2)
	v_add_nc_u32_e32 v68, s12, v68
	s_waitcnt vmcnt(20)
	v_wmma_f32_16x16x16_bf16 v[100:107], v[76:83], v[108:115], v[100:107]
	ds_load_b128 v[76:79], v70 offset:2048
	ds_load_b128 v[80:83], v70 offset:3072
	v_xor_b32_e32 v70, 16, v69
	s_waitcnt vmcnt(0) lgkmcnt(0)
	v_or_b32_e32 v68, v68, v74
	s_barrier
	buffer_gl0_inv
	v_cmp_gt_i32_e32 vcc_lo, 32, v70
	v_or_b32_e32 v71, 4, v68
	v_or_b32_e32 v72, 6, v68
	v_cmp_gt_i32_e64 s3, s24, v68
	v_or_b32_e32 v108, 8, v68
	v_or_b32_e32 v109, 10, v68
	v_cmp_gt_i32_e64 s4, s24, v71
	v_cmp_gt_i32_e64 s5, s24, v72
	s_delay_alu instid0(VALU_DEP_4) | instskip(NEXT) | instid1(VALU_DEP_4)
	v_cmp_gt_i32_e64 s6, s24, v108
	v_cmp_gt_i32_e64 s7, s24, v109
	v_wmma_f32_16x16x16_bf16 v[116:123], v[84:91], v[76:83], v[116:123]
	v_cndmask_b32_e32 v69, v69, v70, vcc_lo
	v_or_b32_e32 v70, 2, v68
	v_wmma_f32_16x16x16_bf16 v[100:107], v[92:99], v[76:83], v[100:107]
	v_or_b32_e32 v89, 22, v68
	v_dual_mul_f32 v80, s19, v121 :: v_dual_mul_f32 v81, s19, v120
	v_dual_mul_f32 v92, s19, v117 :: v_dual_mul_f32 v93, s19, v116
	s_delay_alu instid0(VALU_DEP_4)
	v_mul_f32_e32 v96, s19, v105
	v_cmp_gt_i32_e32 vcc_lo, s24, v70
	v_dual_mul_f32 v79, s19, v122 :: v_dual_mul_f32 v82, s19, v119
	v_dual_mul_f32 v83, s19, v118 :: v_dual_mul_f32 v94, s19, v107
	v_cndmask_b32_e64 v93, 0xff7fffff, v93, s3
	v_cndmask_b32_e32 v92, 0xff7fffff, v92, vcc_lo
	v_or_b32_e32 v84, 12, v68
	v_or_b32_e32 v85, 14, v68
	v_cndmask_b32_e64 v71, 0xff7fffff, v83, s4
	v_cndmask_b32_e64 v72, 0xff7fffff, v82, s5
	v_cmp_gt_i32_e64 s13, s24, v89
	v_lshlrev_b32_e32 v89, 2, v69
	v_max3_f32 v82, v93, 0xff7fffff, v92
	v_or_b32_e32 v86, 16, v68
	v_or_b32_e32 v87, 18, v68
	v_mul_f32_e32 v78, s19, v123
	v_cndmask_b32_e64 v81, 0xff7fffff, v81, s6
	v_cndmask_b32_e64 v80, 0xff7fffff, v80, s7
	v_max3_f32 v71, v82, v71, v72
	v_cmp_gt_i32_e64 s8, s24, v84
	v_cmp_gt_i32_e64 s9, s24, v85
	v_or_b32_e32 v88, 20, v68
	v_or_b32_e32 v90, 24, v68
	;; [unrolled: 1-line block ×5, first 2 shown]
	v_dual_mul_f32 v97, s19, v104 :: v_dual_mul_f32 v70, s19, v101
	v_dual_mul_f32 v99, s19, v102 :: v_dual_mul_f32 v68, s19, v100
	v_cndmask_b32_e64 v72, 0xff7fffff, v79, s8
	v_cndmask_b32_e64 v78, 0xff7fffff, v78, s9
	v_max3_f32 v71, v71, v81, v80
	v_cmp_gt_i32_e64 s10, s24, v86
	v_cmp_gt_i32_e64 s11, s24, v87
	v_dual_mul_f32 v95, s19, v106 :: v_dual_mul_f32 v98, s19, v103
	s_delay_alu instid0(VALU_DEP_4) | instskip(NEXT) | instid1(VALU_DEP_4)
	v_max3_f32 v71, v71, v72, v78
	v_cndmask_b32_e64 v68, 0xff7fffff, v68, s10
	s_delay_alu instid0(VALU_DEP_4)
	v_cndmask_b32_e64 v70, 0xff7fffff, v70, s11
	v_cmp_gt_i32_e64 s12, s24, v88
	v_cndmask_b32_e64 v78, 0xff7fffff, v98, s13
	v_cmp_gt_i32_e64 s15, s24, v90
	v_cmp_gt_i32_e64 s16, s24, v91
	v_max3_f32 v68, v71, v68, v70
	v_cndmask_b32_e64 v72, 0xff7fffff, v99, s12
	v_cmp_gt_i32_e64 s17, s24, v76
	v_cndmask_b32_e64 v70, 0xff7fffff, v97, s15
	v_cndmask_b32_e64 v71, 0xff7fffff, v96, s16
	v_cmp_gt_i32_e64 s18, s24, v77
	v_max3_f32 v68, v68, v72, v78
	v_cndmask_b32_e64 v72, 0xff7fffff, v95, s17
	s_delay_alu instid0(VALU_DEP_3) | instskip(NEXT) | instid1(VALU_DEP_3)
	v_cndmask_b32_e64 v76, 0xff7fffff, v94, s18
	v_max3_f32 v68, v68, v70, v71
	s_delay_alu instid0(VALU_DEP_1) | instskip(SKIP_3) | instid1(VALU_DEP_1)
	v_max3_f32 v68, v68, v72, v76
	ds_bpermute_b32 v69, v89, v68
	s_waitcnt lgkmcnt(0)
	v_max_f32_e32 v69, v69, v69
	v_max_f32_e32 v68, v68, v69
	s_delay_alu instid0(VALU_DEP_1) | instskip(NEXT) | instid1(VALU_DEP_1)
	v_fma_f32 v71, s19, v118, -v68
	v_mul_f32_e32 v71, 0x3fb8aa3b, v71
	v_fma_f32 v70, s19, v117, -v68
	v_fma_f32 v69, s19, v116, -v68
	;; [unrolled: 1-line block ×5, first 2 shown]
	s_delay_alu instid0(VALU_DEP_4) | instskip(SKIP_1) | instid1(VALU_DEP_3)
	v_dual_mul_f32 v70, 0x3fb8aa3b, v70 :: v_dual_mul_f32 v69, 0x3fb8aa3b, v69
	v_exp_f32_e32 v71, v71
	v_mul_f32_e32 v72, 0x3fb8aa3b, v72
	v_fma_f32 v81, s19, v105, -v68
	s_delay_alu instid0(VALU_DEP_3)
	v_exp_f32_e32 v70, v70
	v_mul_f32_e32 v77, 0x3fb8aa3b, v76
	v_exp_f32_e32 v69, v69
	v_exp_f32_e32 v72, v72
	v_mul_f32_e32 v81, 0x3fb8aa3b, v81
	v_cndmask_b32_e64 v83, 0, v71, s4
	v_fma_f32 v71, s19, v123, -v68
	s_delay_alu instid0(VALU_DEP_3) | instskip(SKIP_4) | instid1(TRANS32_DEP_3)
	v_exp_f32_e32 v81, v81
	v_cndmask_b32_e32 v76, 0, v70, vcc_lo
	v_exp_f32_e32 v77, v77
	v_cndmask_b32_e64 v80, 0, v69, s3
	v_fma_f32 v69, s19, v121, -v68
	v_cndmask_b32_e64 v85, 0, v72, s5
	v_mul_f32_e32 v71, 0x3fb8aa3b, v71
	v_fma_f32 v72, s19, v100, -v68
	s_delay_alu instid0(VALU_DEP_4) | instskip(SKIP_1) | instid1(VALU_DEP_4)
	v_dual_add_f32 v70, 0, v80 :: v_dual_mul_f32 v69, 0x3fb8aa3b, v69
	v_cmp_gt_u32_e64 s3, 16, v67
	v_exp_f32_e32 v71, v71
	s_delay_alu instid0(TRANS32_DEP_2) | instskip(SKIP_4) | instid1(VALU_DEP_3)
	v_cndmask_b32_e64 v86, 0, v77, s6
	v_fma_f32 v77, s19, v101, -v68
	v_mul_f32_e32 v78, 0x3fb8aa3b, v78
	v_add_f32_e32 v70, v70, v76
	v_exp_f32_e32 v69, v69
	v_mul_f32_e32 v77, 0x3fb8aa3b, v77
	s_delay_alu instid0(VALU_DEP_3) | instskip(NEXT) | instid1(TRANS32_DEP_3)
	v_exp_f32_e32 v78, v78
	v_cndmask_b32_e64 v88, 0, v71, s9
	v_fma_f32 v71, s19, v104, -v68
	s_delay_alu instid0(VALU_DEP_3) | instskip(NEXT) | instid1(TRANS32_DEP_3)
	v_exp_f32_e32 v77, v77
	v_cndmask_b32_e64 v87, 0, v69, s7
	s_delay_alu instid0(VALU_DEP_2)
	v_mul_f32_e32 v71, 0x3fb8aa3b, v71
	s_waitcnt_depctr 0xfff
	v_cndmask_b32_e64 v84, 0, v78, s8
	v_add_f32_e32 v70, v70, v83
	v_fma_f32 v78, s19, v103, -v68
	v_exp_f32_e32 v82, v71
	s_delay_alu instid0(VALU_DEP_2) | instskip(SKIP_1) | instid1(VALU_DEP_3)
	v_add_f32_e32 v70, v70, v85
	v_mul_f32_e32 v72, 0x3fb8aa3b, v72
	v_mul_f32_e32 v78, 0x3fb8aa3b, v78
	s_delay_alu instid0(VALU_DEP_3) | instskip(SKIP_1) | instid1(VALU_DEP_4)
	v_add_f32_e32 v69, v70, v86
	v_fma_f32 v70, s19, v102, -v68
	v_exp_f32_e32 v72, v72
	s_delay_alu instid0(VALU_DEP_3) | instskip(NEXT) | instid1(VALU_DEP_1)
	v_exp_f32_e32 v78, v78
	v_dual_add_f32 v69, v69, v87 :: v_dual_mul_f32 v70, 0x3fb8aa3b, v70
	s_delay_alu instid0(VALU_DEP_1) | instskip(NEXT) | instid1(VALU_DEP_2)
	v_add_f32_e32 v69, v69, v84
	v_exp_f32_e32 v79, v70
	s_delay_alu instid0(TRANS32_DEP_3) | instskip(NEXT) | instid1(VALU_DEP_2)
	v_cndmask_b32_e64 v70, 0, v72, s10
	v_add_f32_e32 v72, v69, v88
	v_cndmask_b32_e64 v69, 0, v77, s11
	v_fma_f32 v77, s19, v106, -v68
	s_waitcnt_depctr 0xfff
	v_cndmask_b32_e64 v71, 0, v79, s12
	v_dual_mul_f32 v77, 0x3fb8aa3b, v77 :: v_dual_add_f32 v72, v72, v70
	s_delay_alu instid0(VALU_DEP_1) | instskip(NEXT) | instid1(VALU_DEP_1)
	v_exp_f32_e32 v90, v77
	v_add_f32_e32 v79, v72, v69
	v_cndmask_b32_e64 v72, 0, v78, s13
	v_cndmask_b32_e64 v77, 0, v82, s15
	s_delay_alu instid0(VALU_DEP_3) | instskip(SKIP_1) | instid1(VALU_DEP_1)
	v_add_f32_e32 v78, v79, v71
	v_fma_f32 v79, s19, v107, -v68
	v_dual_add_f32 v82, v78, v72 :: v_dual_mul_f32 v79, 0x3fb8aa3b, v79
	v_cndmask_b32_e64 v78, 0, v81, s16
	s_delay_alu instid0(VALU_DEP_2) | instskip(NEXT) | instid1(VALU_DEP_3)
	v_add_f32_e32 v81, v82, v77
	v_exp_f32_e32 v82, v79
	v_cndmask_b32_e64 v79, 0, v90, s17
	s_delay_alu instid0(VALU_DEP_2) | instskip(NEXT) | instid1(VALU_DEP_1)
	v_add_f32_e32 v81, v81, v78
	v_add_f32_e32 v90, v81, v79
	s_waitcnt_depctr 0xfff
	v_cndmask_b32_e64 v81, 0, v82, s18
	s_delay_alu instid0(VALU_DEP_1)
	v_add_f32_e32 v82, v90, v81
	ds_bpermute_b32 v89, v89, v82
	s_and_saveexec_b32 s4, s3
	s_cbranch_execz .LBB1420_12
; %bb.11:
	v_mul_u32_u24_e32 v67, 0x44, v66
	s_delay_alu instid0(VALU_DEP_1) | instskip(SKIP_1) | instid1(VALU_DEP_1)
	v_lshl_add_u32 v67, v65, 2, v67
	s_waitcnt lgkmcnt(0)
	v_dual_add_f32 v82, v82, v89 :: v_dual_add_nc_u32 v67, 0x4000, v67
	ds_store_2addr_b32 v67, v68, v82 offset1:136
.LBB1420_12:
	s_or_b32 exec_lo, exec_lo, s4
	v_lshlrev_b32_e32 v67, 2, v65
	s_waitcnt lgkmcnt(0)
	s_barrier
	buffer_gl0_inv
	v_cmp_eq_u32_e32 vcc_lo, 1, v66
	v_add_nc_u32_e32 v82, 0x4000, v67
	v_cmp_eq_u32_e64 s4, 2, v66
	v_cmp_eq_u32_e64 s6, 7, v66
	ds_load_2addr_b32 v[89:90], v82 offset1:17
	ds_load_2addr_b32 v[91:92], v82 offset0:34 offset1:51
	ds_load_2addr_b32 v[93:94], v82 offset0:68 offset1:85
	;; [unrolled: 1-line block ×4, first 2 shown]
	s_waitcnt lgkmcnt(4)
	v_max3_f32 v67, v89, 0xff7fffff, v90
	s_waitcnt lgkmcnt(3)
	s_delay_alu instid0(VALU_DEP_1) | instskip(SKIP_1) | instid1(VALU_DEP_1)
	v_max3_f32 v67, v67, v91, v92
	s_waitcnt lgkmcnt(2)
	v_max3_f32 v67, v67, v93, v94
	s_waitcnt lgkmcnt(1)
	s_delay_alu instid0(VALU_DEP_1) | instskip(NEXT) | instid1(VALU_DEP_1)
	v_max3_f32 v67, v67, v95, v96
	v_sub_f32_e32 v93, v93, v67
	s_delay_alu instid0(VALU_DEP_1) | instskip(NEXT) | instid1(VALU_DEP_1)
	v_dual_sub_f32 v68, v89, v67 :: v_dual_mul_f32 v103, 0x3fb8aa3b, v93
	v_mul_f32_e32 v68, 0x3fb8aa3b, v68
	s_delay_alu instid0(VALU_DEP_1)
	v_exp_f32_e32 v100, v68
	v_sub_f32_e32 v68, v92, v67
	v_sub_f32_e32 v99, v90, v67
	ds_load_2addr_b32 v[89:90], v82 offset0:170 offset1:187
	v_dual_mul_f32 v102, 0x3fb8aa3b, v68 :: v_dual_mul_f32 v99, 0x3fb8aa3b, v99
	s_waitcnt lgkmcnt(1)
	v_fma_f32 v68, v100, v97, 0
	s_delay_alu instid0(VALU_DEP_2) | instskip(NEXT) | instid1(VALU_DEP_2)
	v_exp_f32_e32 v102, v102
	v_exp_f32_e32 v99, v99
	s_waitcnt_depctr 0xfff
	v_fmac_f32_e32 v68, v99, v98
	v_sub_f32_e32 v91, v91, v67
	s_delay_alu instid0(VALU_DEP_1)
	v_mul_f32_e32 v101, 0x3fb8aa3b, v91
	ds_load_2addr_b32 v[91:92], v82 offset0:204 offset1:221
	v_sub_f32_e32 v97, v94, v67
	ds_load_2addr_b32 v[93:94], v82 offset0:238 offset1:255
	s_waitcnt lgkmcnt(0)
	v_exp_f32_e32 v101, v101
	s_barrier
	buffer_gl0_inv
	v_dual_fmac_f32 v68, v101, v89 :: v_dual_sub_f32 v89, v96, v67
	v_dual_sub_f32 v82, v95, v67 :: v_dual_mul_f32 v95, 0x3fb8aa3b, v97
	v_exp_f32_e32 v97, v103
	s_delay_alu instid0(VALU_DEP_2) | instskip(NEXT) | instid1(VALU_DEP_2)
	v_dual_fmac_f32 v68, v102, v90 :: v_dual_mul_f32 v89, 0x3fb8aa3b, v89
	v_mul_f32_e32 v82, 0x3fb8aa3b, v82
	s_delay_alu instid0(VALU_DEP_3) | instskip(NEXT) | instid1(VALU_DEP_2)
	v_exp_f32_e32 v95, v95
	v_exp_f32_e32 v89, v89
	s_delay_alu instid0(VALU_DEP_1)
	v_exp_f32_e32 v82, v82
	v_fmac_f32_e32 v68, v97, v91
	s_delay_alu instid0(TRANS32_DEP_3) | instid1(VALU_DEP_1)
	v_fmac_f32_e32 v68, v95, v92
	s_waitcnt_depctr 0xfff
	v_fmac_f32_e32 v68, v82, v93
	s_delay_alu instid0(VALU_DEP_1) | instskip(NEXT) | instid1(VALU_DEP_1)
	v_fmac_f32_e32 v68, v89, v94
	v_add_f32_e32 v90, 0x358637bd, v68
	s_delay_alu instid0(VALU_DEP_1) | instskip(NEXT) | instid1(VALU_DEP_1)
	v_div_scale_f32 v91, null, v90, v90, 1.0
	v_rcp_f32_e32 v92, v91
	s_waitcnt_depctr 0xfff
	v_fma_f32 v93, -v91, v92, 1.0
	s_delay_alu instid0(VALU_DEP_1) | instskip(SKIP_1) | instid1(VALU_DEP_2)
	v_dual_fmac_f32 v92, v93, v92 :: v_dual_cndmask_b32 v93, v100, v99
	v_cmp_eq_u32_e32 vcc_lo, 3, v66
	v_cndmask_b32_e64 v93, v93, v101, s4
	v_cmp_eq_u32_e64 s4, 4, v66
	s_delay_alu instid0(VALU_DEP_2) | instskip(SKIP_1) | instid1(VALU_DEP_2)
	v_cndmask_b32_e32 v93, v93, v102, vcc_lo
	v_cmp_eq_u32_e32 vcc_lo, 5, v66
	v_cndmask_b32_e64 v93, v93, v97, s4
	v_cmp_eq_u32_e64 s4, 6, v66
	s_delay_alu instid0(VALU_DEP_2) | instskip(SKIP_1) | instid1(VALU_DEP_1)
	v_cndmask_b32_e32 v93, v93, v95, vcc_lo
	v_div_scale_f32 v94, s5, 1.0, v90, 1.0
	s_mov_b32 vcc_lo, s5
	s_delay_alu instid0(VALU_DEP_2) | instskip(NEXT) | instid1(VALU_DEP_2)
	v_cndmask_b32_e64 v82, v93, v82, s4
	v_mul_f32_e32 v96, v94, v92
	s_mov_b32 s4, exec_lo
	s_delay_alu instid0(VALU_DEP_2) | instskip(NEXT) | instid1(VALU_DEP_2)
	v_cndmask_b32_e64 v82, v82, v89, s6
	v_fma_f32 v98, -v91, v96, v94
	s_delay_alu instid0(VALU_DEP_1) | instskip(NEXT) | instid1(VALU_DEP_1)
	v_fmac_f32_e32 v96, v98, v92
	v_fma_f32 v91, -v91, v96, v94
	s_delay_alu instid0(VALU_DEP_1) | instskip(NEXT) | instid1(VALU_DEP_1)
	v_div_fmas_f32 v91, v91, v92, v96
	v_div_fixup_f32 v90, v91, v90, 1.0
	s_delay_alu instid0(VALU_DEP_1) | instskip(NEXT) | instid1(VALU_DEP_1)
	v_mul_f32_e32 v82, v82, v90
	v_mul_f32_e32 v87, v82, v87
	;; [unrolled: 1-line block ×7, first 2 shown]
	v_dual_mul_f32 v86, v82, v83 :: v_dual_and_b32 v91, 0x7f800000, v90
	v_mul_f32_e32 v85, v82, v76
                                        ; implicit-def: $vgpr76
	s_delay_alu instid0(VALU_DEP_2)
	v_cmpx_ne_u32_e32 0x7f800000, v91
	s_xor_b32 s4, exec_lo, s4
; %bb.13:
	v_bfe_u32 v76, v90, 16, 1
	s_delay_alu instid0(VALU_DEP_1)
	v_add3_u32 v76, v90, v76, 0x7fff
                                        ; implicit-def: $vgpr90
; %bb.14:
	s_and_not1_saveexec_b32 s4, s4
; %bb.15:
	v_and_b32_e32 v76, 0xffff, v90
	v_or_b32_e32 v83, 0x10000, v90
	s_delay_alu instid0(VALU_DEP_2) | instskip(NEXT) | instid1(VALU_DEP_2)
	v_cmp_eq_u32_e32 vcc_lo, 0, v76
	v_cndmask_b32_e32 v76, v83, v90, vcc_lo
; %bb.16:
	s_or_b32 exec_lo, exec_lo, s4
	v_and_b32_e32 v83, 0x7f800000, v85
	s_delay_alu instid0(VALU_DEP_1) | instskip(SKIP_1) | instid1(SALU_CYCLE_1)
	v_cmp_ne_u32_e32 vcc_lo, 0x7f800000, v83
                                        ; implicit-def: $vgpr83
	s_and_saveexec_b32 s4, vcc_lo
	s_xor_b32 s4, exec_lo, s4
; %bb.17:
	v_bfe_u32 v83, v85, 16, 1
	s_delay_alu instid0(VALU_DEP_1)
	v_add3_u32 v83, v85, v83, 0x7fff
                                        ; implicit-def: $vgpr85
; %bb.18:
	s_and_not1_saveexec_b32 s4, s4
; %bb.19:
	v_and_b32_e32 v83, 0xffff, v85
	v_or_b32_e32 v90, 0x10000, v85
	s_delay_alu instid0(VALU_DEP_2) | instskip(NEXT) | instid1(VALU_DEP_2)
	v_cmp_eq_u32_e32 vcc_lo, 0, v83
	v_cndmask_b32_e32 v83, v90, v85, vcc_lo
; %bb.20:
	s_or_b32 exec_lo, exec_lo, s4
	v_and_b32_e32 v85, 0x7f800000, v86
	s_delay_alu instid0(VALU_DEP_1) | instskip(SKIP_1) | instid1(SALU_CYCLE_1)
	v_cmp_ne_u32_e32 vcc_lo, 0x7f800000, v85
                                        ; implicit-def: $vgpr85
	s_and_saveexec_b32 s4, vcc_lo
	s_xor_b32 s4, exec_lo, s4
; %bb.21:
	v_bfe_u32 v85, v86, 16, 1
	s_delay_alu instid0(VALU_DEP_1)
	v_add3_u32 v85, v86, v85, 0x7fff
                                        ; implicit-def: $vgpr86
; %bb.22:
	s_and_not1_saveexec_b32 s4, s4
; %bb.23:
	v_and_b32_e32 v85, 0xffff, v86
	v_or_b32_e32 v90, 0x10000, v86
	s_delay_alu instid0(VALU_DEP_2) | instskip(NEXT) | instid1(VALU_DEP_2)
	v_cmp_eq_u32_e32 vcc_lo, 0, v85
	v_cndmask_b32_e32 v85, v90, v86, vcc_lo
; %bb.24:
	s_or_b32 exec_lo, exec_lo, s4
	v_and_b32_e32 v86, 0x7f800000, v89
	s_delay_alu instid0(VALU_DEP_1) | instskip(SKIP_1) | instid1(SALU_CYCLE_1)
	v_cmp_ne_u32_e32 vcc_lo, 0x7f800000, v86
                                        ; implicit-def: $vgpr86
	s_and_saveexec_b32 s4, vcc_lo
	s_xor_b32 s4, exec_lo, s4
; %bb.25:
	v_bfe_u32 v86, v89, 16, 1
	s_delay_alu instid0(VALU_DEP_1)
	v_add3_u32 v86, v89, v86, 0x7fff
                                        ; implicit-def: $vgpr89
; %bb.26:
	s_and_not1_saveexec_b32 s4, s4
; %bb.27:
	v_and_b32_e32 v86, 0xffff, v89
	v_or_b32_e32 v90, 0x10000, v89
	s_delay_alu instid0(VALU_DEP_2) | instskip(NEXT) | instid1(VALU_DEP_2)
	v_cmp_eq_u32_e32 vcc_lo, 0, v86
	v_cndmask_b32_e32 v86, v90, v89, vcc_lo
; %bb.28:
	s_or_b32 exec_lo, exec_lo, s4
	v_and_b32_e32 v89, 0x7f800000, v88
	s_delay_alu instid0(VALU_DEP_1) | instskip(SKIP_1) | instid1(SALU_CYCLE_1)
	v_cmp_ne_u32_e32 vcc_lo, 0x7f800000, v89
                                        ; implicit-def: $vgpr89
	s_and_saveexec_b32 s4, vcc_lo
	s_xor_b32 s4, exec_lo, s4
; %bb.29:
	v_bfe_u32 v89, v88, 16, 1
	s_delay_alu instid0(VALU_DEP_1)
	v_add3_u32 v89, v88, v89, 0x7fff
                                        ; implicit-def: $vgpr88
; %bb.30:
	s_and_not1_saveexec_b32 s4, s4
; %bb.31:
	v_and_b32_e32 v89, 0xffff, v88
	v_or_b32_e32 v90, 0x10000, v88
	s_delay_alu instid0(VALU_DEP_2) | instskip(NEXT) | instid1(VALU_DEP_2)
	v_cmp_eq_u32_e32 vcc_lo, 0, v89
	v_cndmask_b32_e32 v89, v90, v88, vcc_lo
; %bb.32:
	s_or_b32 exec_lo, exec_lo, s4
	v_and_b32_e32 v88, 0x7f800000, v87
	s_delay_alu instid0(VALU_DEP_1) | instskip(SKIP_1) | instid1(SALU_CYCLE_1)
	v_cmp_ne_u32_e32 vcc_lo, 0x7f800000, v88
                                        ; implicit-def: $vgpr88
	s_and_saveexec_b32 s4, vcc_lo
	s_xor_b32 s4, exec_lo, s4
; %bb.33:
	v_bfe_u32 v88, v87, 16, 1
	s_delay_alu instid0(VALU_DEP_1)
	v_add3_u32 v88, v87, v88, 0x7fff
                                        ; implicit-def: $vgpr87
; %bb.34:
	s_and_not1_saveexec_b32 s4, s4
; %bb.35:
	v_and_b32_e32 v88, 0xffff, v87
	v_or_b32_e32 v90, 0x10000, v87
	s_delay_alu instid0(VALU_DEP_2) | instskip(NEXT) | instid1(VALU_DEP_2)
	v_cmp_eq_u32_e32 vcc_lo, 0, v88
	v_cndmask_b32_e32 v88, v90, v87, vcc_lo
; %bb.36:
	s_or_b32 exec_lo, exec_lo, s4
	v_and_b32_e32 v87, 0x7f800000, v84
	s_delay_alu instid0(VALU_DEP_1) | instskip(SKIP_1) | instid1(SALU_CYCLE_1)
	v_cmp_ne_u32_e32 vcc_lo, 0x7f800000, v87
                                        ; implicit-def: $vgpr87
	s_and_saveexec_b32 s4, vcc_lo
	s_xor_b32 s4, exec_lo, s4
; %bb.37:
	v_bfe_u32 v87, v84, 16, 1
	s_delay_alu instid0(VALU_DEP_1)
	v_add3_u32 v87, v84, v87, 0x7fff
                                        ; implicit-def: $vgpr84
; %bb.38:
	s_and_not1_saveexec_b32 s4, s4
; %bb.39:
	v_and_b32_e32 v87, 0xffff, v84
	v_or_b32_e32 v90, 0x10000, v84
	s_delay_alu instid0(VALU_DEP_2) | instskip(NEXT) | instid1(VALU_DEP_2)
	v_cmp_eq_u32_e32 vcc_lo, 0, v87
	v_cndmask_b32_e32 v87, v90, v84, vcc_lo
; %bb.40:
	s_or_b32 exec_lo, exec_lo, s4
	v_and_b32_e32 v84, 0x7f800000, v80
	s_delay_alu instid0(VALU_DEP_1) | instskip(SKIP_1) | instid1(SALU_CYCLE_1)
	v_cmp_ne_u32_e32 vcc_lo, 0x7f800000, v84
                                        ; implicit-def: $vgpr84
	s_and_saveexec_b32 s4, vcc_lo
	s_xor_b32 s4, exec_lo, s4
; %bb.41:
	v_bfe_u32 v84, v80, 16, 1
	s_delay_alu instid0(VALU_DEP_1)
	v_add3_u32 v84, v80, v84, 0x7fff
                                        ; implicit-def: $vgpr80
; %bb.42:
	s_and_not1_saveexec_b32 s4, s4
; %bb.43:
	v_and_b32_e32 v84, 0xffff, v80
	v_or_b32_e32 v90, 0x10000, v80
	s_delay_alu instid0(VALU_DEP_2) | instskip(NEXT) | instid1(VALU_DEP_2)
	v_cmp_eq_u32_e32 vcc_lo, 0, v84
	v_cndmask_b32_e32 v84, v90, v80, vcc_lo
; %bb.44:
	s_or_b32 exec_lo, exec_lo, s4
	s_load_b64 s[36:37], s[0:1], 0x94
	v_lshlrev_b32_e32 v91, 4, v74
	s_delay_alu instid0(VALU_DEP_2)
	v_perm_b32 v90, v84, v87, 0x7060302
	v_dual_mul_f32 v79, v82, v79 :: v_dual_lshlrev_b32 v80, 6, v65
	v_dual_mul_f32 v77, v82, v77 :: v_dual_lshlrev_b32 v92, 11, v66
	v_mul_f32_e32 v84, v82, v70
	v_perm_b32 v89, v88, v89, 0x7060302
	v_perm_b32 v88, v86, v85, 0x7060302
	;; [unrolled: 1-line block ×3, first 2 shown]
	v_mul_f32_e32 v70, v82, v81
	v_or3_b32 v76, v91, v92, v80
	v_dual_mul_f32 v78, v82, v78 :: v_dual_and_b32 v85, 0x7f800000, v84
	v_mul_f32_e32 v83, v82, v72
	v_mul_f32_e32 v81, v82, v71
	;; [unrolled: 1-line block ×3, first 2 shown]
	s_mov_b32 s4, exec_lo
	ds_store_b128 v76, v[87:90]
                                        ; implicit-def: $vgpr69
	v_cmpx_ne_u32_e32 0x7f800000, v85
	s_xor_b32 s4, exec_lo, s4
; %bb.45:
	v_bfe_u32 v69, v84, 16, 1
	s_delay_alu instid0(VALU_DEP_1)
	v_add3_u32 v69, v84, v69, 0x7fff
                                        ; implicit-def: $vgpr84
; %bb.46:
	s_and_not1_saveexec_b32 s4, s4
; %bb.47:
	v_and_b32_e32 v69, 0xffff, v84
	v_or_b32_e32 v71, 0x10000, v84
	s_delay_alu instid0(VALU_DEP_2) | instskip(NEXT) | instid1(VALU_DEP_2)
	v_cmp_eq_u32_e32 vcc_lo, 0, v69
	v_cndmask_b32_e32 v69, v71, v84, vcc_lo
; %bb.48:
	s_or_b32 exec_lo, exec_lo, s4
	v_and_b32_e32 v71, 0x7f800000, v72
	s_delay_alu instid0(VALU_DEP_1) | instskip(SKIP_1) | instid1(SALU_CYCLE_1)
	v_cmp_ne_u32_e32 vcc_lo, 0x7f800000, v71
                                        ; implicit-def: $vgpr71
	s_and_saveexec_b32 s4, vcc_lo
	s_xor_b32 s4, exec_lo, s4
; %bb.49:
	v_bfe_u32 v71, v72, 16, 1
	s_delay_alu instid0(VALU_DEP_1)
	v_add3_u32 v71, v72, v71, 0x7fff
                                        ; implicit-def: $vgpr72
; %bb.50:
	s_and_not1_saveexec_b32 s4, s4
; %bb.51:
	v_and_b32_e32 v71, 0xffff, v72
	v_or_b32_e32 v82, 0x10000, v72
	s_delay_alu instid0(VALU_DEP_2) | instskip(NEXT) | instid1(VALU_DEP_2)
	v_cmp_eq_u32_e32 vcc_lo, 0, v71
	v_cndmask_b32_e32 v71, v82, v72, vcc_lo
; %bb.52:
	s_or_b32 exec_lo, exec_lo, s4
	v_and_b32_e32 v72, 0x7f800000, v81
	s_delay_alu instid0(VALU_DEP_1) | instskip(SKIP_1) | instid1(SALU_CYCLE_1)
	v_cmp_ne_u32_e32 vcc_lo, 0x7f800000, v72
                                        ; implicit-def: $vgpr72
	s_and_saveexec_b32 s4, vcc_lo
	s_xor_b32 s4, exec_lo, s4
; %bb.53:
	v_bfe_u32 v72, v81, 16, 1
	s_delay_alu instid0(VALU_DEP_1)
	v_add3_u32 v72, v81, v72, 0x7fff
                                        ; implicit-def: $vgpr81
; %bb.54:
	s_and_not1_saveexec_b32 s4, s4
; %bb.55:
	v_and_b32_e32 v72, 0xffff, v81
	v_or_b32_e32 v82, 0x10000, v81
	s_delay_alu instid0(VALU_DEP_2) | instskip(NEXT) | instid1(VALU_DEP_2)
	v_cmp_eq_u32_e32 vcc_lo, 0, v72
	v_cndmask_b32_e32 v72, v82, v81, vcc_lo
; %bb.56:
	s_or_b32 exec_lo, exec_lo, s4
	v_and_b32_e32 v81, 0x7f800000, v83
	s_delay_alu instid0(VALU_DEP_1) | instskip(SKIP_1) | instid1(SALU_CYCLE_1)
	v_cmp_ne_u32_e32 vcc_lo, 0x7f800000, v81
                                        ; implicit-def: $vgpr81
	s_and_saveexec_b32 s4, vcc_lo
	s_xor_b32 s4, exec_lo, s4
; %bb.57:
	v_bfe_u32 v81, v83, 16, 1
	s_delay_alu instid0(VALU_DEP_1)
	v_add3_u32 v81, v83, v81, 0x7fff
                                        ; implicit-def: $vgpr83
; %bb.58:
	s_and_not1_saveexec_b32 s4, s4
; %bb.59:
	v_and_b32_e32 v81, 0xffff, v83
	v_or_b32_e32 v82, 0x10000, v83
	s_delay_alu instid0(VALU_DEP_2) | instskip(NEXT) | instid1(VALU_DEP_2)
	v_cmp_eq_u32_e32 vcc_lo, 0, v81
	v_cndmask_b32_e32 v81, v82, v83, vcc_lo
; %bb.60:
	s_or_b32 exec_lo, exec_lo, s4
	v_and_b32_e32 v82, 0x7f800000, v77
	s_delay_alu instid0(VALU_DEP_1) | instskip(SKIP_1) | instid1(SALU_CYCLE_1)
	v_cmp_ne_u32_e32 vcc_lo, 0x7f800000, v82
                                        ; implicit-def: $vgpr82
	s_and_saveexec_b32 s4, vcc_lo
	s_xor_b32 s4, exec_lo, s4
; %bb.61:
	v_bfe_u32 v82, v77, 16, 1
	s_delay_alu instid0(VALU_DEP_1)
	v_add3_u32 v82, v77, v82, 0x7fff
                                        ; implicit-def: $vgpr77
; %bb.62:
	s_and_not1_saveexec_b32 s4, s4
; %bb.63:
	v_and_b32_e32 v82, 0xffff, v77
	v_or_b32_e32 v83, 0x10000, v77
	s_delay_alu instid0(VALU_DEP_2) | instskip(NEXT) | instid1(VALU_DEP_2)
	v_cmp_eq_u32_e32 vcc_lo, 0, v82
	v_cndmask_b32_e32 v82, v83, v77, vcc_lo
; %bb.64:
	s_or_b32 exec_lo, exec_lo, s4
	v_and_b32_e32 v77, 0x7f800000, v78
	s_delay_alu instid0(VALU_DEP_1) | instskip(SKIP_1) | instid1(SALU_CYCLE_1)
	v_cmp_ne_u32_e32 vcc_lo, 0x7f800000, v77
                                        ; implicit-def: $vgpr77
	s_and_saveexec_b32 s4, vcc_lo
	s_xor_b32 s4, exec_lo, s4
; %bb.65:
	v_bfe_u32 v77, v78, 16, 1
	s_delay_alu instid0(VALU_DEP_1)
	v_add3_u32 v77, v78, v77, 0x7fff
                                        ; implicit-def: $vgpr78
; %bb.66:
	s_and_not1_saveexec_b32 s4, s4
; %bb.67:
	v_and_b32_e32 v77, 0xffff, v78
	v_or_b32_e32 v83, 0x10000, v78
	s_delay_alu instid0(VALU_DEP_2) | instskip(NEXT) | instid1(VALU_DEP_2)
	v_cmp_eq_u32_e32 vcc_lo, 0, v77
	v_cndmask_b32_e32 v77, v83, v78, vcc_lo
; %bb.68:
	s_or_b32 exec_lo, exec_lo, s4
	v_and_b32_e32 v78, 0x7f800000, v79
	s_delay_alu instid0(VALU_DEP_1) | instskip(SKIP_1) | instid1(SALU_CYCLE_1)
	v_cmp_ne_u32_e32 vcc_lo, 0x7f800000, v78
                                        ; implicit-def: $vgpr78
	s_and_saveexec_b32 s4, vcc_lo
	s_xor_b32 s4, exec_lo, s4
; %bb.69:
	v_bfe_u32 v78, v79, 16, 1
	s_delay_alu instid0(VALU_DEP_1)
	v_add3_u32 v78, v79, v78, 0x7fff
                                        ; implicit-def: $vgpr79
; %bb.70:
	s_and_not1_saveexec_b32 s4, s4
; %bb.71:
	v_and_b32_e32 v78, 0xffff, v79
	v_or_b32_e32 v83, 0x10000, v79
	s_delay_alu instid0(VALU_DEP_2) | instskip(NEXT) | instid1(VALU_DEP_2)
	v_cmp_eq_u32_e32 vcc_lo, 0, v78
	v_cndmask_b32_e32 v78, v83, v79, vcc_lo
; %bb.72:
	s_or_b32 exec_lo, exec_lo, s4
	v_and_b32_e32 v79, 0x7f800000, v70
	s_delay_alu instid0(VALU_DEP_1) | instskip(SKIP_1) | instid1(SALU_CYCLE_1)
	v_cmp_ne_u32_e32 vcc_lo, 0x7f800000, v79
                                        ; implicit-def: $vgpr79
	s_and_saveexec_b32 s4, vcc_lo
	s_xor_b32 s4, exec_lo, s4
; %bb.73:
	v_bfe_u32 v79, v70, 16, 1
	s_delay_alu instid0(VALU_DEP_1)
	v_add3_u32 v79, v70, v79, 0x7fff
                                        ; implicit-def: $vgpr70
; %bb.74:
	s_and_not1_saveexec_b32 s4, s4
; %bb.75:
	v_and_b32_e32 v79, 0xffff, v70
	v_or_b32_e32 v83, 0x10000, v70
	s_delay_alu instid0(VALU_DEP_2) | instskip(NEXT) | instid1(VALU_DEP_2)
	v_cmp_eq_u32_e32 vcc_lo, 0, v79
	v_cndmask_b32_e32 v79, v83, v70, vcc_lo
; %bb.76:
	s_or_b32 exec_lo, exec_lo, s4
	s_delay_alu instid0(VALU_DEP_1)
	v_perm_b32 v86, v79, v78, 0x7060302
	v_perm_b32 v85, v77, v82, 0x7060302
	;; [unrolled: 1-line block ×4, first 2 shown]
	v_lshl_or_b32 v82, v66, 11, v80
	ds_store_b128 v76, v[83:86] offset:1024
	s_waitcnt lgkmcnt(0)
	s_barrier
	buffer_gl0_inv
	ds_load_b128 v[69:72], v82
	ds_load_b128 v[83:86], v82 offset:16
	s_waitcnt lgkmcnt(1)
	v_lshrrev_b32_e32 v66, 16, v69
	s_waitcnt lgkmcnt(0)
	v_lshrrev_b32_e32 v91, 16, v83
	v_lshlrev_b32_e32 v78, 2, v74
	v_lshrrev_b32_e32 v95, 16, v70
	v_lshrrev_b32_e32 v98, 16, v84
	;; [unrolled: 1-line block ×4, first 2 shown]
	v_cmp_eq_u32_e32 vcc_lo, 1, v78
	v_lshrrev_b32_e32 v97, 16, v72
	v_lshrrev_b32_e32 v100, 16, v86
	v_cndmask_b32_e32 v87, v83, v91, vcc_lo
	v_or_b32_e32 v79, 1, v78
	v_cndmask_b32_e32 v81, v69, v66, vcc_lo
	v_cmp_eq_u32_e64 s5, 2, v78
	v_cmp_eq_u32_e64 s8, 3, v78
	;; [unrolled: 1-line block ×5, first 2 shown]
	v_cndmask_b32_e64 v81, v81, v70, s5
	v_cndmask_b32_e64 v87, v87, v84, s5
	v_cmp_eq_u32_e64 s9, 3, v79
	v_cndmask_b32_e64 v88, v69, v66, s4
	v_or_b32_e32 v77, 2, v78
	v_cndmask_b32_e64 v81, v81, v95, s8
	v_cndmask_b32_e64 v87, v87, v98, s8
	;; [unrolled: 1-line block ×4, first 2 shown]
	v_cmp_eq_u32_e64 s11, 5, v78
	v_cndmask_b32_e64 v81, v81, v71, s10
	v_cndmask_b32_e64 v87, v87, v85, s10
	v_cmp_eq_u32_e64 s12, 4, v79
	v_cndmask_b32_e64 v88, v88, v95, s9
	v_cmp_eq_u32_e64 s6, 1, v77
	v_cndmask_b32_e64 v89, v89, v84, s7
	v_cndmask_b32_e64 v81, v81, v96, s11
	v_cmp_eq_u32_e64 s13, 6, v78
	v_cndmask_b32_e64 v88, v88, v71, s12
	v_cndmask_b32_e64 v87, v87, v99, s11
	v_cmp_eq_u32_e64 s15, 5, v79
	v_cndmask_b32_e64 v90, v69, v66, s6
	v_cndmask_b32_e64 v89, v89, v98, s9
	v_cndmask_b32_e64 v81, v81, v72, s13
	v_cmp_eq_u32_e64 s16, 7, v78
	v_cndmask_b32_e64 v88, v88, v96, s15
	v_cndmask_b32_e64 v87, v87, v86, s13
	v_cmp_eq_u32_e64 s17, 6, v79
	v_cmp_eq_u32_e64 s18, 2, v77
	v_cndmask_b32_e64 v89, v89, v85, s12
	v_cndmask_b32_e64 v101, v81, v97, s16
	;; [unrolled: 1-line block ×6, first 2 shown]
	v_cmp_eq_u32_e64 s19, 7, v79
	v_cmp_eq_u32_e64 s20, 3, v77
	;; [unrolled: 1-line block ×4, first 2 shown]
	v_cndmask_b32_e64 v87, v87, v84, s18
	v_cndmask_b32_e64 v103, v88, v97, s19
	;; [unrolled: 1-line block ×4, first 2 shown]
	v_or_b32_e32 v81, 3, v78
	v_cndmask_b32_e64 v93, v87, v98, s20
	v_cmp_eq_u32_e64 s25, 6, v77
	v_cndmask_b32_e64 v104, v88, v86, s17
	v_cndmask_b32_e64 v92, v89, v71, s21
	v_cmp_eq_u32_e64 s22, 1, v81
	ds_load_b128 v[87:90], v82 offset:1024
	v_cmp_eq_u32_e64 s24, 2, v81
	v_cmp_eq_u32_e64 s26, 3, v81
	v_cndmask_b32_e64 v105, v92, v96, s23
	v_cndmask_b32_e64 v66, v69, v66, s22
	;; [unrolled: 1-line block ×4, first 2 shown]
	ds_load_b128 v[91:94], v82 offset:1040
	v_cmp_eq_u32_e64 s27, 4, v81
	v_cndmask_b32_e64 v66, v66, v70, s24
	v_cmp_eq_u32_e64 s28, 7, v77
	v_cndmask_b32_e64 v70, v83, v84, s24
	v_cndmask_b32_e64 v84, v105, v72, s25
	v_cmp_eq_u32_e64 s29, 5, v81
	v_cndmask_b32_e64 v66, v66, v95, s26
	v_cmp_eq_u32_e64 s30, 6, v81
	v_cndmask_b32_e64 v70, v70, v98, s26
	v_cndmask_b32_e64 v69, v69, v99, s23
	;; [unrolled: 1-line block ×4, first 2 shown]
	s_waitcnt lgkmcnt(1)
	v_lshrrev_b32_e32 v95, 16, v87
	v_cndmask_b32_e64 v70, v70, v85, s27
	v_cndmask_b32_e64 v71, v84, v97, s28
	;; [unrolled: 1-line block ×4, first 2 shown]
	v_cndmask_b32_e32 v84, v87, v95, vcc_lo
	v_cndmask_b32_e64 v70, v70, v99, s29
	s_waitcnt lgkmcnt(0)
	v_lshrrev_b32_e32 v85, 16, v91
	v_lshrrev_b32_e32 v96, 16, v88
	v_cndmask_b32_e64 v98, v87, v95, s4
	v_cndmask_b32_e64 v84, v84, v88, s5
	;; [unrolled: 1-line block ×3, first 2 shown]
	v_cndmask_b32_e32 v99, v91, v85, vcc_lo
	v_cmp_eq_u32_e32 vcc_lo, 7, v81
	v_cndmask_b32_e64 v66, v66, v72, s30
	v_cndmask_b32_e64 v72, v84, v96, s8
	;; [unrolled: 1-line block ×3, first 2 shown]
	v_lshrrev_b32_e32 v98, 16, v92
	v_cndmask_b32_e32 v70, v70, v100, vcc_lo
	v_cndmask_b32_e64 v86, v99, v92, s5
	v_cndmask_b32_e64 v69, v69, v100, s28
	v_lshrrev_b32_e32 v100, 16, v93
	v_cndmask_b32_e64 v72, v72, v89, s10
	v_lshrrev_b32_e32 v99, 16, v89
	v_cndmask_b32_e64 v86, v86, v98, s8
	v_perm_b32 v71, v69, v71, 0x5040100
	v_cndmask_b32_e64 v84, v84, v96, s9
	s_delay_alu instid0(VALU_DEP_3) | instskip(NEXT) | instid1(VALU_DEP_2)
	v_cndmask_b32_e64 v86, v86, v93, s10
	v_cndmask_b32_e64 v84, v84, v89, s12
	s_delay_alu instid0(VALU_DEP_2) | instskip(NEXT) | instid1(VALU_DEP_1)
	v_cndmask_b32_e64 v86, v86, v100, s11
	v_cndmask_b32_e64 v69, v86, v94, s13
	;; [unrolled: 1-line block ×5, first 2 shown]
	s_delay_alu instid0(VALU_DEP_3) | instskip(NEXT) | instid1(VALU_DEP_3)
	v_cndmask_b32_e64 v86, v86, v88, s18
	v_cndmask_b32_e64 v87, v87, v88, s24
	s_delay_alu instid0(VALU_DEP_3) | instskip(NEXT) | instid1(VALU_DEP_3)
	v_cndmask_b32_e64 v88, v95, v92, s24
	v_cndmask_b32_e64 v86, v86, v96, s20
	;; [unrolled: 3-line block ×7, first 2 shown]
	s_delay_alu instid0(VALU_DEP_3) | instskip(SKIP_2) | instid1(VALU_DEP_2)
	v_cndmask_b32_e64 v88, v88, v94, s30
	v_cndmask_b32_e32 v66, v66, v97, vcc_lo
	v_cndmask_b32_e64 v97, v72, v99, s11
	v_perm_b32 v72, v70, v66, 0x5040100
	v_perm_b32 v70, v83, v103, 0x5040100
	v_cndmask_b32_e64 v103, v91, v85, s6
	v_cndmask_b32_e64 v85, v91, v85, s4
	v_cndmask_b32_e64 v66, v84, v99, s15
	v_cndmask_b32_e64 v84, v97, v90, s13
	v_lshrrev_b32_e32 v97, 16, v90
	v_cndmask_b32_e64 v91, v103, v92, s18
	v_cndmask_b32_e64 v85, v85, v92, s7
	;; [unrolled: 1-line block ×3, first 2 shown]
	s_mov_b32 s4, exec_lo
	v_cndmask_b32_e64 v83, v84, v97, s16
	v_cndmask_b32_e64 v91, v91, v98, s20
	;; [unrolled: 1-line block ×3, first 2 shown]
	v_lshrrev_b32_e32 v84, 16, v94
	v_cndmask_b32_e64 v66, v66, v97, s19
	v_cndmask_b32_e64 v90, v86, v97, s28
	;; [unrolled: 1-line block ×4, first 2 shown]
	v_dual_cndmask_b32 v86, v87, v97 :: v_dual_cndmask_b32 v87, v88, v84
	v_cndmask_b32_e64 v91, v69, v84, s16
	s_delay_alu instid0(VALU_DEP_4) | instskip(NEXT) | instid1(VALU_DEP_4)
	v_cndmask_b32_e64 v89, v89, v100, s23
	v_cndmask_b32_e64 v85, v85, v100, s15
	v_perm_b32 v69, v102, v101, 0x5040100
	v_perm_b32 v86, v87, v86, 0x5040100
	;; [unrolled: 1-line block ×3, first 2 shown]
	v_cndmask_b32_e64 v89, v89, v94, s25
	v_cndmask_b32_e64 v85, v85, v94, s17
	s_mul_i32 s9, s37, 15
	s_delay_alu instid0(VALU_DEP_2) | instskip(NEXT) | instid1(VALU_DEP_2)
	v_cndmask_b32_e64 v88, v89, v84, s28
	v_cndmask_b32_e64 v89, v85, v84, s19
	s_delay_alu instid0(VALU_DEP_2) | instskip(NEXT) | instid1(VALU_DEP_2)
	v_perm_b32 v85, v88, v90, 0x5040100
	v_perm_b32 v84, v89, v66, 0x5040100
	ds_store_b128 v76, v[69:72]
	ds_store_b128 v76, v[83:86] offset:1024
	v_cmpx_gt_u32_e32 15, v0
	s_cbranch_execz .LBB1420_78
; %bb.77:
	s_mul_i32 s5, s9, s34
	s_load_b128 s[16:19], s[0:1], 0x58
	v_add3_u32 v69, s5, s31, v65
	s_delay_alu instid0(VALU_DEP_1) | instskip(NEXT) | instid1(VALU_DEP_1)
	v_mad_u64_u32 v[65:66], null, v69, s36, s[14:15]
	v_ashrrev_i32_e32 v66, 31, v65
	s_delay_alu instid0(VALU_DEP_1) | instskip(SKIP_1) | instid1(VALU_DEP_1)
	v_lshlrev_b64 v[65:66], 2, v[65:66]
	s_waitcnt lgkmcnt(0)
	v_add_co_u32 v69, vcc_lo, s18, v65
	s_delay_alu instid0(VALU_DEP_2)
	v_add_co_ci_u32_e32 v70, vcc_lo, s19, v66, vcc_lo
	v_add_co_u32 v65, vcc_lo, s16, v65
	v_add_co_ci_u32_e32 v66, vcc_lo, s17, v66, vcc_lo
	global_store_b32 v[69:70], v67, off
	global_store_b32 v[65:66], v68, off
.LBB1420_78:
	s_or_b32 exec_lo, exec_lo, s4
	s_waitcnt lgkmcnt(0)
	s_waitcnt_vscnt null, 0x0
	s_barrier
	buffer_gl0_inv
	ds_load_b128 v[83:86], v80
	ds_load_b128 v[87:90], v80 offset:16
	ds_load_b128 v[95:98], v80 offset:2064
	;; [unrolled: 1-line block ×3, first 2 shown]
	v_mov_b32_e32 v65, 0
	ds_load_b128 v[103:106], v80 offset:4112
	ds_load_b128 v[99:102], v80 offset:4096
	;; [unrolled: 1-line block ×4, first 2 shown]
	v_mov_b32_e32 v66, v65
	v_mov_b32_e32 v67, v65
	;; [unrolled: 1-line block ×7, first 2 shown]
	s_waitcnt lgkmcnt(6)
	s_delay_alu instid0(VALU_DEP_1)
	v_wmma_f32_16x16x16_bf16 v[65:72], v[57:64], v[83:90], v[65:72]
	ds_load_b128 v[61:64], v80 offset:8208
	ds_load_b128 v[57:60], v80 offset:8192
	s_waitcnt lgkmcnt(6)
	v_wmma_f32_16x16x16_bf16 v[65:72], v[41:48], v[91:98], v[65:72]
	ds_load_b128 v[45:48], v80 offset:10256
	ds_load_b128 v[41:44], v80 offset:10240
	s_waitcnt lgkmcnt(6)
	;; [unrolled: 4-line block ×4, first 2 shown]
	v_wmma_f32_16x16x16_bf16 v[65:72], v[1:8], v[57:64], v[65:72]
	s_waitcnt lgkmcnt(4)
	s_delay_alu instid0(VALU_DEP_1) | instskip(SKIP_1) | instid1(VALU_DEP_1)
	v_wmma_f32_16x16x16_bf16 v[65:72], v[9:16], v[41:48], v[65:72]
	s_waitcnt lgkmcnt(2)
	v_wmma_f32_16x16x16_bf16 v[65:72], v[17:24], v[33:40], v[65:72]
	s_waitcnt lgkmcnt(0)
	s_delay_alu instid0(VALU_DEP_1) | instskip(NEXT) | instid1(VALU_DEP_1)
	v_wmma_f32_16x16x16_bf16 v[65:72], v[49:56], v[25:32], v[65:72]
	v_and_b32_e32 v1, 0x7f800000, v65
	s_delay_alu instid0(VALU_DEP_1) | instskip(SKIP_1) | instid1(SALU_CYCLE_1)
	v_cmp_ne_u32_e32 vcc_lo, 0x7f800000, v1
                                        ; implicit-def: $vgpr1
	s_and_saveexec_b32 s4, vcc_lo
	s_xor_b32 s4, exec_lo, s4
; %bb.79:
	v_bfe_u32 v1, v65, 16, 1
	s_delay_alu instid0(VALU_DEP_1)
	v_add3_u32 v1, v65, v1, 0x7fff
; %bb.80:
	s_and_not1_saveexec_b32 s4, s4
; %bb.81:
	v_and_b32_e32 v1, 0xffff, v65
	v_or_b32_e32 v2, 0x10000, v65
	s_delay_alu instid0(VALU_DEP_2) | instskip(NEXT) | instid1(VALU_DEP_2)
	v_cmp_eq_u32_e32 vcc_lo, 0, v1
	v_cndmask_b32_e32 v1, v2, v65, vcc_lo
; %bb.82:
	s_or_b32 exec_lo, exec_lo, s4
	v_and_b32_e32 v2, 0x7f800000, v66
	s_delay_alu instid0(VALU_DEP_1) | instskip(SKIP_1) | instid1(SALU_CYCLE_1)
	v_cmp_ne_u32_e32 vcc_lo, 0x7f800000, v2
                                        ; implicit-def: $vgpr2
	s_and_saveexec_b32 s4, vcc_lo
	s_xor_b32 s4, exec_lo, s4
; %bb.83:
	v_bfe_u32 v2, v66, 16, 1
	s_delay_alu instid0(VALU_DEP_1)
	v_add3_u32 v2, v66, v2, 0x7fff
; %bb.84:
	s_and_not1_saveexec_b32 s4, s4
; %bb.85:
	v_and_b32_e32 v2, 0xffff, v66
	v_or_b32_e32 v3, 0x10000, v66
	s_delay_alu instid0(VALU_DEP_2) | instskip(NEXT) | instid1(VALU_DEP_2)
	v_cmp_eq_u32_e32 vcc_lo, 0, v2
	v_cndmask_b32_e32 v2, v3, v66, vcc_lo
; %bb.86:
	s_or_b32 exec_lo, exec_lo, s4
	v_and_b32_e32 v3, 0x7f800000, v67
	s_delay_alu instid0(VALU_DEP_1) | instskip(SKIP_1) | instid1(SALU_CYCLE_1)
	v_cmp_ne_u32_e32 vcc_lo, 0x7f800000, v3
                                        ; implicit-def: $vgpr3
	s_and_saveexec_b32 s4, vcc_lo
	s_xor_b32 s4, exec_lo, s4
; %bb.87:
	v_bfe_u32 v3, v67, 16, 1
	s_delay_alu instid0(VALU_DEP_1)
	v_add3_u32 v3, v67, v3, 0x7fff
; %bb.88:
	s_and_not1_saveexec_b32 s4, s4
; %bb.89:
	v_and_b32_e32 v3, 0xffff, v67
	v_or_b32_e32 v4, 0x10000, v67
	s_delay_alu instid0(VALU_DEP_2) | instskip(NEXT) | instid1(VALU_DEP_2)
	v_cmp_eq_u32_e32 vcc_lo, 0, v3
	v_cndmask_b32_e32 v3, v4, v67, vcc_lo
; %bb.90:
	s_or_b32 exec_lo, exec_lo, s4
	v_and_b32_e32 v4, 0x7f800000, v68
	s_delay_alu instid0(VALU_DEP_1) | instskip(SKIP_1) | instid1(SALU_CYCLE_1)
	v_cmp_ne_u32_e32 vcc_lo, 0x7f800000, v4
                                        ; implicit-def: $vgpr4
	s_and_saveexec_b32 s4, vcc_lo
	s_xor_b32 s4, exec_lo, s4
; %bb.91:
	v_bfe_u32 v4, v68, 16, 1
	s_delay_alu instid0(VALU_DEP_1)
	v_add3_u32 v4, v68, v4, 0x7fff
; %bb.92:
	s_and_not1_saveexec_b32 s4, s4
; %bb.93:
	v_and_b32_e32 v4, 0xffff, v68
	v_or_b32_e32 v5, 0x10000, v68
	s_delay_alu instid0(VALU_DEP_2) | instskip(NEXT) | instid1(VALU_DEP_2)
	v_cmp_eq_u32_e32 vcc_lo, 0, v4
	v_cndmask_b32_e32 v4, v5, v68, vcc_lo
; %bb.94:
	s_or_b32 exec_lo, exec_lo, s4
	v_and_b32_e32 v5, 0x7f800000, v69
	s_delay_alu instid0(VALU_DEP_1) | instskip(SKIP_1) | instid1(SALU_CYCLE_1)
	v_cmp_ne_u32_e32 vcc_lo, 0x7f800000, v5
                                        ; implicit-def: $vgpr5
	s_and_saveexec_b32 s4, vcc_lo
	s_xor_b32 s4, exec_lo, s4
; %bb.95:
	v_bfe_u32 v5, v69, 16, 1
	s_delay_alu instid0(VALU_DEP_1)
	v_add3_u32 v5, v69, v5, 0x7fff
; %bb.96:
	s_and_not1_saveexec_b32 s4, s4
; %bb.97:
	v_and_b32_e32 v5, 0xffff, v69
	v_or_b32_e32 v6, 0x10000, v69
	s_delay_alu instid0(VALU_DEP_2) | instskip(NEXT) | instid1(VALU_DEP_2)
	v_cmp_eq_u32_e32 vcc_lo, 0, v5
	v_cndmask_b32_e32 v5, v6, v69, vcc_lo
; %bb.98:
	s_or_b32 exec_lo, exec_lo, s4
	v_and_b32_e32 v6, 0x7f800000, v70
	s_delay_alu instid0(VALU_DEP_1) | instskip(SKIP_1) | instid1(SALU_CYCLE_1)
	v_cmp_ne_u32_e32 vcc_lo, 0x7f800000, v6
                                        ; implicit-def: $vgpr6
	s_and_saveexec_b32 s4, vcc_lo
	s_xor_b32 s4, exec_lo, s4
; %bb.99:
	v_bfe_u32 v6, v70, 16, 1
	s_delay_alu instid0(VALU_DEP_1)
	v_add3_u32 v6, v70, v6, 0x7fff
; %bb.100:
	s_and_not1_saveexec_b32 s4, s4
; %bb.101:
	v_and_b32_e32 v6, 0xffff, v70
	v_or_b32_e32 v7, 0x10000, v70
	s_delay_alu instid0(VALU_DEP_2) | instskip(NEXT) | instid1(VALU_DEP_2)
	v_cmp_eq_u32_e32 vcc_lo, 0, v6
	v_cndmask_b32_e32 v6, v7, v70, vcc_lo
; %bb.102:
	s_or_b32 exec_lo, exec_lo, s4
	v_and_b32_e32 v7, 0x7f800000, v71
	s_delay_alu instid0(VALU_DEP_1) | instskip(SKIP_1) | instid1(SALU_CYCLE_1)
	v_cmp_ne_u32_e32 vcc_lo, 0x7f800000, v7
                                        ; implicit-def: $vgpr7
	s_and_saveexec_b32 s4, vcc_lo
	s_xor_b32 s4, exec_lo, s4
; %bb.103:
	v_bfe_u32 v7, v71, 16, 1
	s_delay_alu instid0(VALU_DEP_1)
	v_add3_u32 v7, v71, v7, 0x7fff
; %bb.104:
	s_and_not1_saveexec_b32 s4, s4
; %bb.105:
	v_and_b32_e32 v7, 0xffff, v71
	v_or_b32_e32 v8, 0x10000, v71
	s_delay_alu instid0(VALU_DEP_2) | instskip(NEXT) | instid1(VALU_DEP_2)
	v_cmp_eq_u32_e32 vcc_lo, 0, v7
	v_cndmask_b32_e32 v7, v8, v71, vcc_lo
; %bb.106:
	s_or_b32 exec_lo, exec_lo, s4
	v_and_b32_e32 v8, 0x7f800000, v72
	s_delay_alu instid0(VALU_DEP_1) | instskip(SKIP_1) | instid1(SALU_CYCLE_1)
	v_cmp_ne_u32_e32 vcc_lo, 0x7f800000, v8
                                        ; implicit-def: $vgpr8
	s_and_saveexec_b32 s4, vcc_lo
	s_xor_b32 s4, exec_lo, s4
; %bb.107:
	v_bfe_u32 v8, v72, 16, 1
	s_delay_alu instid0(VALU_DEP_1)
	v_add3_u32 v8, v72, v8, 0x7fff
                                        ; implicit-def: $vgpr65_vgpr66_vgpr67_vgpr68_vgpr69_vgpr70_vgpr71_vgpr72
; %bb.108:
	s_and_not1_saveexec_b32 s4, s4
; %bb.109:
	v_and_b32_e32 v8, 0xffff, v72
	v_or_b32_e32 v9, 0x10000, v72
	s_delay_alu instid0(VALU_DEP_2) | instskip(NEXT) | instid1(VALU_DEP_2)
	v_cmp_eq_u32_e32 vcc_lo, 0, v8
	v_cndmask_b32_e32 v8, v9, v72, vcc_lo
; %bb.110:
	s_or_b32 exec_lo, exec_lo, s4
	s_delay_alu instid0(VALU_DEP_1)
	v_perm_b32 v7, v8, v7, 0x7060302
	v_perm_b32 v6, v6, v5, 0x7060302
	;; [unrolled: 1-line block ×4, first 2 shown]
	s_barrier
	buffer_gl0_inv
	v_cmp_eq_u32_e32 vcc_lo, 1, v78
	ds_store_b128 v76, v[4:7]
	s_waitcnt lgkmcnt(0)
	s_barrier
	buffer_gl0_inv
	ds_load_b128 v[1:4], v82
	ds_load_b128 v[5:8], v82 offset:16
	v_cmp_eq_u32_e64 s4, 1, v79
	v_cmp_eq_u32_e64 s5, 2, v78
	;; [unrolled: 1-line block ×5, first 2 shown]
	s_waitcnt lgkmcnt(1)
	v_lshrrev_b32_e32 v9, 16, v1
	s_waitcnt lgkmcnt(0)
	v_lshrrev_b32_e32 v13, 16, v5
	v_lshrrev_b32_e32 v10, 16, v2
	;; [unrolled: 1-line block ×4, first 2 shown]
	v_cndmask_b32_e64 v19, v1, v9, s4
	v_cndmask_b32_e32 v18, v5, v13, vcc_lo
	v_cndmask_b32_e64 v20, v5, v13, s4
	v_cndmask_b32_e32 v17, v1, v9, vcc_lo
	v_cmp_eq_u32_e32 vcc_lo, 2, v79
	v_lshrrev_b32_e32 v15, 16, v7
	v_cmp_eq_u32_e64 s4, 1, v77
	v_lshrrev_b32_e32 v12, 16, v4
	v_lshrrev_b32_e32 v16, 16, v8
	v_cndmask_b32_e32 v20, v20, v6, vcc_lo
	v_cndmask_b32_e64 v17, v17, v2, s5
	v_cndmask_b32_e32 v19, v19, v2, vcc_lo
	v_cndmask_b32_e64 v18, v18, v6, s5
	v_cmp_eq_u32_e32 vcc_lo, 4, v78
	v_cmp_eq_u32_e64 s5, 3, v79
	v_cndmask_b32_e64 v17, v17, v10, s6
	v_cndmask_b32_e64 v21, v1, v9, s4
	;; [unrolled: 1-line block ×5, first 2 shown]
	v_cndmask_b32_e32 v17, v17, v3, vcc_lo
	v_cndmask_b32_e64 v20, v20, v14, s5
	v_cndmask_b32_e32 v18, v18, v7, vcc_lo
	v_cmp_eq_u32_e32 vcc_lo, 4, v79
	v_cmp_eq_u32_e64 s5, 5, v79
	v_cmp_eq_u32_e64 s4, 2, v81
	v_cndmask_b32_e64 v21, v21, v2, s8
	v_cmp_eq_u32_e64 s6, 5, v78
	v_cndmask_b32_e32 v19, v19, v3, vcc_lo
	v_cndmask_b32_e32 v20, v20, v7, vcc_lo
	v_cmp_eq_u32_e32 vcc_lo, 6, v79
	s_delay_alu instid0(VALU_DEP_4) | instskip(NEXT) | instid1(VALU_DEP_4)
	v_cndmask_b32_e64 v17, v17, v11, s6
	v_cndmask_b32_e64 v19, v19, v11, s5
	s_delay_alu instid0(VALU_DEP_4) | instskip(SKIP_1) | instid1(VALU_DEP_3)
	v_cndmask_b32_e64 v20, v20, v15, s5
	v_cmp_eq_u32_e64 s5, 1, v81
	v_cndmask_b32_e32 v19, v19, v4, vcc_lo
	v_cndmask_b32_e64 v18, v18, v15, s6
	s_delay_alu instid0(VALU_DEP_3)
	v_cndmask_b32_e64 v1, v1, v9, s5
	v_cndmask_b32_e64 v5, v5, v13, s5
	v_cmp_eq_u32_e64 s5, 3, v77
	v_cndmask_b32_e64 v13, v22, v6, s8
	v_cmp_eq_u32_e64 s8, 3, v81
	v_cndmask_b32_e64 v1, v1, v2, s4
	v_cndmask_b32_e64 v2, v5, v6, s4
	;; [unrolled: 1-line block ×3, first 2 shown]
	v_cmp_eq_u32_e64 s4, 4, v77
	v_cndmask_b32_e64 v6, v13, v14, s5
	v_cndmask_b32_e64 v1, v1, v10, s8
	v_cmp_eq_u32_e64 s5, 4, v81
	v_cndmask_b32_e64 v2, v2, v14, s8
	v_cndmask_b32_e64 v5, v9, v3, s4
	;; [unrolled: 3-line block ×3, first 2 shown]
	v_cndmask_b32_e64 v2, v2, v7, s5
	v_cmp_eq_u32_e64 s4, 5, v81
	v_cmp_eq_u32_e64 s6, 6, v78
	v_cndmask_b32_e64 v5, v5, v11, s8
	v_cmp_eq_u32_e64 s5, 6, v77
	v_cndmask_b32_e64 v3, v6, v15, s8
	v_cndmask_b32_e64 v1, v1, v11, s4
	v_cmp_eq_u32_e64 s8, 6, v81
	v_cndmask_b32_e64 v2, v2, v15, s4
	v_cndmask_b32_e64 v17, v17, v4, s6
	v_cndmask_b32_e64 v18, v18, v8, s6
	v_cmp_eq_u32_e64 s6, 7, v78
	v_cndmask_b32_e64 v5, v5, v4, s5
	v_cndmask_b32_e64 v3, v3, v8, s5
	v_cndmask_b32_e64 v1, v1, v4, s8
	v_cmp_eq_u32_e64 s4, 7, v81
	v_cndmask_b32_e64 v2, v2, v8, s8
	v_cmp_eq_u32_e64 s5, 7, v77
	v_cndmask_b32_e32 v4, v20, v8, vcc_lo
	v_cndmask_b32_e64 v17, v17, v12, s6
	v_cndmask_b32_e64 v19, v19, v12, s7
	;; [unrolled: 1-line block ×8, first 2 shown]
	v_cmp_gt_u32_e32 vcc_lo, 32, v0
	v_perm_b32 v4, v2, v1, 0x5040100
	v_perm_b32 v3, v3, v5, 0x5040100
	;; [unrolled: 1-line block ×4, first 2 shown]
	s_and_b32 s2, vcc_lo, s2
	ds_store_b128 v76, v[1:4]
	s_waitcnt lgkmcnt(0)
	s_barrier
	buffer_gl0_inv
	s_and_saveexec_b32 s4, s2
	s_cbranch_execz .LBB1420_2
; %bb.111:
	s_load_b64 s[4:5], s[0:1], 0x68
	v_add_nc_u32_e32 v20, s31, v74
	v_lshlrev_b32_e32 v0, 10, v0
	v_lshlrev_b32_e32 v1, 4, v75
	s_lshl_b32 s0, s36, 6
	s_delay_alu instid0(SALU_CYCLE_1)
	s_mul_i32 s1, s0, s34
	v_add_nc_u32_e32 v2, 2, v20
	s_mul_i32 s6, s1, s9
	v_and_or_b32 v0, 0x3800, v0, v1
	v_mul_lo_u32 v1, v20, s0
	s_ashr_i32 s7, s6, 31
	v_mul_lo_u32 v11, v2, s0
	s_lshl_b64 s[6:7], s[6:7], 1
	v_add_nc_u32_e32 v3, 4, v20
	v_lshl_or_b32 v21, v74, 6, v0
	v_add_nc_u32_e32 v16, 6, v20
	v_ashrrev_i32_e32 v2, 31, v1
	s_delay_alu instid0(VALU_DEP_4)
	v_mul_lo_u32 v13, v3, s0
	s_waitcnt lgkmcnt(0)
	s_add_u32 s1, s4, s6
	s_addc_u32 s2, s5, s7
	s_lshl_b32 s4, s14, 6
	ds_load_b128 v[3:6], v21
	ds_load_b128 v[7:10], v21 offset:128
	s_ashr_i32 s5, s4, 31
	v_ashrrev_i32_e32 v12, 31, v11
	s_lshl_b64 s[4:5], s[4:5], 1
	v_lshlrev_b64 v[14:15], 1, v[1:2]
	s_add_u32 s1, s1, s4
	s_addc_u32 s2, s2, s5
	v_add_co_u32 v1, s1, s1, v73
	s_delay_alu instid0(VALU_DEP_1) | instskip(SKIP_1) | instid1(VALU_DEP_3)
	v_add_co_ci_u32_e64 v2, null, s2, 0, s1
	v_lshlrev_b64 v[11:12], 1, v[11:12]
	v_add_co_u32 v18, vcc_lo, v1, v14
	v_mul_lo_u32 v16, v16, s0
	s_delay_alu instid0(VALU_DEP_4) | instskip(NEXT) | instid1(VALU_DEP_4)
	v_add_co_ci_u32_e32 v19, vcc_lo, v2, v15, vcc_lo
	v_add_co_u32 v11, vcc_lo, v1, v11
	v_ashrrev_i32_e32 v14, 31, v13
	v_add_co_ci_u32_e32 v12, vcc_lo, v2, v12, vcc_lo
	v_add_nc_u32_e32 v15, 8, v20
	v_ashrrev_i32_e32 v17, 31, v16
	s_waitcnt lgkmcnt(1)
	global_store_b128 v[18:19], v[3:6], off
	v_lshlrev_b64 v[3:4], 1, v[13:14]
	s_waitcnt lgkmcnt(0)
	global_store_b128 v[11:12], v[7:10], off
	v_mul_lo_u32 v11, v15, s0
	v_add_nc_u32_e32 v7, 10, v20
	v_lshlrev_b64 v[5:6], 1, v[16:17]
	v_add_co_u32 v23, vcc_lo, v1, v3
	v_add_nc_u32_e32 v3, 12, v20
	s_delay_alu instid0(VALU_DEP_4)
	v_mul_lo_u32 v25, v7, s0
	v_ashrrev_i32_e32 v12, 31, v11
	v_add_co_ci_u32_e32 v24, vcc_lo, v2, v4, vcc_lo
	v_add_co_u32 v27, vcc_lo, v1, v5
	v_mul_lo_u32 v29, v3, s0
	v_add_co_ci_u32_e32 v28, vcc_lo, v2, v6, vcc_lo
	ds_load_b128 v[3:6], v21 offset:256
	ds_load_b128 v[7:10], v21 offset:384
	v_lshlrev_b64 v[31:32], 1, v[11:12]
	ds_load_b128 v[11:14], v21 offset:512
	ds_load_b128 v[15:18], v21 offset:640
	ds_load_b128 v[19:22], v21 offset:768
	v_ashrrev_i32_e32 v26, 31, v25
	v_ashrrev_i32_e32 v30, 31, v29
	v_add_co_u32 v31, vcc_lo, v1, v31
	s_delay_alu instid0(VALU_DEP_3) | instskip(NEXT) | instid1(VALU_DEP_3)
	v_lshlrev_b64 v[25:26], 1, v[25:26]
	v_lshlrev_b64 v[29:30], 1, v[29:30]
	v_add_co_ci_u32_e32 v32, vcc_lo, v2, v32, vcc_lo
	s_delay_alu instid0(VALU_DEP_3) | instskip(NEXT) | instid1(VALU_DEP_4)
	v_add_co_u32 v25, vcc_lo, v1, v25
	v_add_co_ci_u32_e32 v26, vcc_lo, v2, v26, vcc_lo
	s_delay_alu instid0(VALU_DEP_4)
	v_add_co_u32 v29, vcc_lo, v1, v29
	v_add_co_ci_u32_e32 v30, vcc_lo, v2, v30, vcc_lo
	s_waitcnt lgkmcnt(4)
	global_store_b128 v[23:24], v[3:6], off
	s_waitcnt lgkmcnt(3)
	global_store_b128 v[27:28], v[7:10], off
	;; [unrolled: 2-line block ×5, first 2 shown]
	s_and_b32 exec_lo, exec_lo, s3
	s_cbranch_execz .LBB1420_2
; %bb.112:
	ds_load_b128 v[3:6], v0 offset:896
	s_add_i32 s1, s31, 14
	s_delay_alu instid0(SALU_CYCLE_1) | instskip(NEXT) | instid1(SALU_CYCLE_1)
	s_mul_i32 s0, s1, s0
	s_ashr_i32 s1, s0, 31
	s_delay_alu instid0(SALU_CYCLE_1) | instskip(NEXT) | instid1(SALU_CYCLE_1)
	s_lshl_b64 s[0:1], s[0:1], 1
	v_add_co_u32 v0, vcc_lo, v1, s0
	v_add_co_ci_u32_e32 v1, vcc_lo, s1, v2, vcc_lo
	s_waitcnt lgkmcnt(0)
	global_store_b128 v[0:1], v[3:6], off
	s_nop 0
	s_sendmsg sendmsg(MSG_DEALLOC_VGPRS)
	s_endpgm
	.section	.rodata,"a",@progbits
	.p2align	6, 0x0
	.amdhsa_kernel _Z39paged_attention_ll4mi_QKV_mfma16_kernelI14__hip_bfloat16hLN4vllm18Fp8KVCacheDataTypeE1ES0_Li16ELi64ELi256ELb0ELi15EL8MFMAType1EEvPKT_PKT0_S9_ifPKiSB_SB_iPKfiiiPfSE_PS4_PT2_iSD_SD_
		.amdhsa_group_segment_fixed_size 17472
		.amdhsa_private_segment_fixed_size 0
		.amdhsa_kernarg_size 400
		.amdhsa_user_sgpr_count 13
		.amdhsa_user_sgpr_dispatch_ptr 0
		.amdhsa_user_sgpr_queue_ptr 0
		.amdhsa_user_sgpr_kernarg_segment_ptr 1
		.amdhsa_user_sgpr_dispatch_id 0
		.amdhsa_user_sgpr_private_segment_size 0
		.amdhsa_wavefront_size32 1
		.amdhsa_uses_dynamic_stack 0
		.amdhsa_enable_private_segment 0
		.amdhsa_system_sgpr_workgroup_id_x 1
		.amdhsa_system_sgpr_workgroup_id_y 1
		.amdhsa_system_sgpr_workgroup_id_z 1
		.amdhsa_system_sgpr_workgroup_info 0
		.amdhsa_system_vgpr_workitem_id 0
		.amdhsa_next_free_vgpr 124
		.amdhsa_next_free_sgpr 40
		.amdhsa_reserve_vcc 1
		.amdhsa_float_round_mode_32 0
		.amdhsa_float_round_mode_16_64 0
		.amdhsa_float_denorm_mode_32 3
		.amdhsa_float_denorm_mode_16_64 3
		.amdhsa_dx10_clamp 1
		.amdhsa_ieee_mode 1
		.amdhsa_fp16_overflow 0
		.amdhsa_workgroup_processor_mode 1
		.amdhsa_memory_ordered 1
		.amdhsa_forward_progress 0
		.amdhsa_shared_vgpr_count 0
		.amdhsa_exception_fp_ieee_invalid_op 0
		.amdhsa_exception_fp_denorm_src 0
		.amdhsa_exception_fp_ieee_div_zero 0
		.amdhsa_exception_fp_ieee_overflow 0
		.amdhsa_exception_fp_ieee_underflow 0
		.amdhsa_exception_fp_ieee_inexact 0
		.amdhsa_exception_int_div_zero 0
	.end_amdhsa_kernel
	.section	.text._Z39paged_attention_ll4mi_QKV_mfma16_kernelI14__hip_bfloat16hLN4vllm18Fp8KVCacheDataTypeE1ES0_Li16ELi64ELi256ELb0ELi15EL8MFMAType1EEvPKT_PKT0_S9_ifPKiSB_SB_iPKfiiiPfSE_PS4_PT2_iSD_SD_,"axG",@progbits,_Z39paged_attention_ll4mi_QKV_mfma16_kernelI14__hip_bfloat16hLN4vllm18Fp8KVCacheDataTypeE1ES0_Li16ELi64ELi256ELb0ELi15EL8MFMAType1EEvPKT_PKT0_S9_ifPKiSB_SB_iPKfiiiPfSE_PS4_PT2_iSD_SD_,comdat
.Lfunc_end1420:
	.size	_Z39paged_attention_ll4mi_QKV_mfma16_kernelI14__hip_bfloat16hLN4vllm18Fp8KVCacheDataTypeE1ES0_Li16ELi64ELi256ELb0ELi15EL8MFMAType1EEvPKT_PKT0_S9_ifPKiSB_SB_iPKfiiiPfSE_PS4_PT2_iSD_SD_, .Lfunc_end1420-_Z39paged_attention_ll4mi_QKV_mfma16_kernelI14__hip_bfloat16hLN4vllm18Fp8KVCacheDataTypeE1ES0_Li16ELi64ELi256ELb0ELi15EL8MFMAType1EEvPKT_PKT0_S9_ifPKiSB_SB_iPKfiiiPfSE_PS4_PT2_iSD_SD_
                                        ; -- End function
	.section	.AMDGPU.csdata,"",@progbits
; Kernel info:
; codeLenInByte = 9008
; NumSgprs: 42
; NumVgprs: 124
; ScratchSize: 0
; MemoryBound: 0
; FloatMode: 240
; IeeeMode: 1
; LDSByteSize: 17472 bytes/workgroup (compile time only)
; SGPRBlocks: 5
; VGPRBlocks: 15
; NumSGPRsForWavesPerEU: 42
; NumVGPRsForWavesPerEU: 124
; Occupancy: 10
; WaveLimiterHint : 1
; COMPUTE_PGM_RSRC2:SCRATCH_EN: 0
; COMPUTE_PGM_RSRC2:USER_SGPR: 13
; COMPUTE_PGM_RSRC2:TRAP_HANDLER: 0
; COMPUTE_PGM_RSRC2:TGID_X_EN: 1
; COMPUTE_PGM_RSRC2:TGID_Y_EN: 1
; COMPUTE_PGM_RSRC2:TGID_Z_EN: 1
; COMPUTE_PGM_RSRC2:TIDIG_COMP_CNT: 0
	.section	.text._Z39paged_attention_ll4mi_QKV_mfma16_kernelI14__hip_bfloat16hLN4vllm18Fp8KVCacheDataTypeE1ES0_Li16ELi64ELi256ELb0ELi16EL8MFMAType1EEvPKT_PKT0_S9_ifPKiSB_SB_iPKfiiiPfSE_PS4_PT2_iSD_SD_,"axG",@progbits,_Z39paged_attention_ll4mi_QKV_mfma16_kernelI14__hip_bfloat16hLN4vllm18Fp8KVCacheDataTypeE1ES0_Li16ELi64ELi256ELb0ELi16EL8MFMAType1EEvPKT_PKT0_S9_ifPKiSB_SB_iPKfiiiPfSE_PS4_PT2_iSD_SD_,comdat
	.protected	_Z39paged_attention_ll4mi_QKV_mfma16_kernelI14__hip_bfloat16hLN4vllm18Fp8KVCacheDataTypeE1ES0_Li16ELi64ELi256ELb0ELi16EL8MFMAType1EEvPKT_PKT0_S9_ifPKiSB_SB_iPKfiiiPfSE_PS4_PT2_iSD_SD_ ; -- Begin function _Z39paged_attention_ll4mi_QKV_mfma16_kernelI14__hip_bfloat16hLN4vllm18Fp8KVCacheDataTypeE1ES0_Li16ELi64ELi256ELb0ELi16EL8MFMAType1EEvPKT_PKT0_S9_ifPKiSB_SB_iPKfiiiPfSE_PS4_PT2_iSD_SD_
	.globl	_Z39paged_attention_ll4mi_QKV_mfma16_kernelI14__hip_bfloat16hLN4vllm18Fp8KVCacheDataTypeE1ES0_Li16ELi64ELi256ELb0ELi16EL8MFMAType1EEvPKT_PKT0_S9_ifPKiSB_SB_iPKfiiiPfSE_PS4_PT2_iSD_SD_
	.p2align	8
	.type	_Z39paged_attention_ll4mi_QKV_mfma16_kernelI14__hip_bfloat16hLN4vllm18Fp8KVCacheDataTypeE1ES0_Li16ELi64ELi256ELb0ELi16EL8MFMAType1EEvPKT_PKT0_S9_ifPKiSB_SB_iPKfiiiPfSE_PS4_PT2_iSD_SD_,@function
_Z39paged_attention_ll4mi_QKV_mfma16_kernelI14__hip_bfloat16hLN4vllm18Fp8KVCacheDataTypeE1ES0_Li16ELi64ELi256ELb0ELi16EL8MFMAType1EEvPKT_PKT0_S9_ifPKiSB_SB_iPKfiiiPfSE_PS4_PT2_iSD_SD_: ; @_Z39paged_attention_ll4mi_QKV_mfma16_kernelI14__hip_bfloat16hLN4vllm18Fp8KVCacheDataTypeE1ES0_Li16ELi64ELi256ELb0ELi16EL8MFMAType1EEvPKT_PKT0_S9_ifPKiSB_SB_iPKfiiiPfSE_PS4_PT2_iSD_SD_
; %bb.0:
	s_load_b64 s[2:3], s[0:1], 0x30
	s_mov_b32 s30, s13
	s_waitcnt lgkmcnt(0)
	s_cmp_lg_u64 s[2:3], 0
	s_cselect_b32 s8, -1, 0
	s_ashr_i32 s31, s13, 31
	s_cmp_eq_u64 s[2:3], 0
	s_cbranch_scc1 .LBB1421_3
; %bb.1:
	s_lshl_b64 s[4:5], s[30:31], 2
	s_delay_alu instid0(SALU_CYCLE_1) | instskip(SKIP_4) | instid1(SALU_CYCLE_1)
	s_add_u32 s4, s2, s4
	s_addc_u32 s5, s3, s5
	s_load_b64 s[4:5], s[4:5], 0x0
	s_waitcnt lgkmcnt(0)
	s_sub_i32 s4, s5, s4
	s_cmp_eq_u32 s4, 1
	s_cselect_b32 s4, -1, 0
	s_delay_alu instid0(SALU_CYCLE_1)
	s_and_not1_b32 vcc_lo, exec_lo, s4
	s_cbranch_vccz .LBB1421_4
.LBB1421_2:
	s_endpgm
.LBB1421_3:
.LBB1421_4:
	s_load_b64 s[4:5], s[0:1], 0x28
	s_lshl_b64 s[6:7], s[30:31], 2
	s_waitcnt lgkmcnt(0)
	s_add_u32 s4, s4, s6
	s_addc_u32 s5, s5, s7
	s_lshl_b32 s12, s14, 8
	s_load_b32 s24, s[4:5], 0x0
	s_waitcnt lgkmcnt(0)
	s_cmp_ge_i32 s12, s24
	s_cbranch_scc1 .LBB1421_2
; %bb.5:
	s_clause 0x1
	s_load_b128 s[20:23], s[0:1], 0x8
	s_load_b64 s[4:5], s[0:1], 0x20
	s_and_not1_b32 vcc_lo, exec_lo, s8
	s_cbranch_vccnz .LBB1421_7
; %bb.6:
	s_add_u32 s2, s2, s6
	s_addc_u32 s3, s3, s7
	s_load_b32 s3, s[2:3], 0x0
	s_branch .LBB1421_8
.LBB1421_7:
	s_mov_b32 s3, s30
.LBB1421_8:
	s_load_b128 s[16:19], s[0:1], 0x48
	v_and_b32_e32 v66, 15, v0
	v_cmp_gt_u32_e32 vcc_lo, 0x100, v0
	v_lshrrev_b32_e32 v65, 5, v0
	v_and_b32_e32 v67, 31, v0
	v_and_b32_e32 v75, 1, v0
	v_lshlrev_b32_e32 v1, 3, v66
	v_cmp_gt_u32_e64 s2, 8, v66
	v_bfe_u32 v74, v0, 4, 1
	s_lshl_b32 s31, s15, 4
	s_delay_alu instid0(VALU_DEP_3) | instskip(NEXT) | instid1(VALU_DEP_3)
	v_lshlrev_b32_e32 v73, 1, v1
	s_and_b32 s7, vcc_lo, s2
	s_delay_alu instid0(SALU_CYCLE_1)
	s_and_saveexec_b32 s6, s7
	s_cbranch_execz .LBB1421_10
; %bb.9:
	v_lshl_or_b32 v5, v65, 1, v74
	s_load_b64 s[8:9], s[0:1], 0x0
	s_waitcnt lgkmcnt(0)
	s_mul_hi_i32 s11, s3, s16
	s_mul_i32 s10, s3, s16
	v_lshlrev_b32_e32 v6, 10, v66
	v_or_b32_e32 v1, s31, v5
	s_lshl_b64 s[10:11], s[10:11], 1
	v_lshlrev_b32_e32 v5, 6, v5
	v_lshlrev_b32_e32 v7, 10, v75
	v_and_b32_e32 v6, 0x3800, v6
	v_lshlrev_b32_e32 v1, 6, v1
	s_delay_alu instid0(VALU_DEP_2) | instskip(NEXT) | instid1(VALU_DEP_2)
	v_or3_b32 v5, v6, v7, v5
	v_ashrrev_i32_e32 v2, 31, v1
	s_delay_alu instid0(VALU_DEP_1) | instskip(SKIP_2) | instid1(VALU_DEP_1)
	v_lshlrev_b64 v[1:2], 1, v[1:2]
	s_add_u32 s3, s8, s10
	s_addc_u32 s7, s9, s11
	v_add_co_u32 v1, vcc_lo, s3, v1
	s_delay_alu instid0(VALU_DEP_2) | instskip(NEXT) | instid1(VALU_DEP_2)
	v_add_co_ci_u32_e32 v2, vcc_lo, s7, v2, vcc_lo
	v_add_co_u32 v1, vcc_lo, v1, v73
	s_delay_alu instid0(VALU_DEP_2)
	v_add_co_ci_u32_e32 v2, vcc_lo, 0, v2, vcc_lo
	global_load_b128 v[1:4], v[1:2], off
	s_waitcnt vmcnt(0)
	ds_store_b128 v5, v[1:4]
.LBB1421_10:
	s_or_b32 exec_lo, exec_lo, s6
	v_and_b32_e32 v1, 0xef, v0
	s_waitcnt lgkmcnt(0)
	s_add_i32 s3, s24, 15
	s_clause 0x1
	s_load_b32 s6, s[0:1], 0x38
	s_load_b32 s19, s[0:1], 0x1c
	s_ashr_i32 s7, s3, 31
	v_add_nc_u32_e32 v1, s12, v1
	s_lshr_b32 s7, s7, 28
	s_waitcnt lgkmcnt(0)
	s_add_i32 s3, s3, s7
	s_barrier
	v_ashrrev_i32_e32 v2, 31, v1
	v_or_b32_e32 v3, 16, v1
	s_ashr_i32 s3, s3, 4
	v_cmp_gt_i32_e32 vcc_lo, s24, v1
	s_add_i32 s3, s3, -1
	v_lshrrev_b32_e32 v2, 28, v2
	buffer_gl0_inv
	s_mul_i32 s27, s15, s18
	v_add_nc_u32_e32 v4, v1, v2
	s_mul_i32 s6, s30, s6
	s_delay_alu instid0(SALU_CYCLE_1) | instskip(NEXT) | instid1(VALU_DEP_1)
	s_ashr_i32 s7, s6, 31
	v_ashrrev_i32_e32 v4, 4, v4
	v_add_nc_u32_e32 v2, v3, v2
	s_lshl_b64 s[6:7], s[6:7], 2
	s_delay_alu instid0(SALU_CYCLE_1) | instskip(NEXT) | instid1(VALU_DEP_2)
	s_add_u32 s26, s4, s6
	v_cndmask_b32_e32 v1, s3, v4, vcc_lo
	s_delay_alu instid0(VALU_DEP_2)
	v_ashrrev_i32_e32 v2, 4, v2
	v_cmp_gt_i32_e32 vcc_lo, s24, v3
	s_addc_u32 s25, s5, s7
	s_ashr_i32 s28, s27, 31
	s_add_u32 s13, s20, s27
	s_addc_u32 s15, s21, s28
	v_cndmask_b32_e32 v3, s3, v2, vcc_lo
	v_ashrrev_i32_e32 v2, 31, v1
	s_lshl_b32 s4, s14, 4
	s_delay_alu instid0(SALU_CYCLE_1) | instskip(NEXT) | instid1(VALU_DEP_2)
	s_ashr_i32 s5, s4, 31
	v_ashrrev_i32_e32 v4, 31, v3
	s_delay_alu instid0(VALU_DEP_2) | instskip(SKIP_1) | instid1(SALU_CYCLE_1)
	v_lshlrev_b64 v[1:2], 2, v[1:2]
	s_lshl_b64 s[4:5], s[4:5], 2
	s_add_u32 s4, s26, s4
	s_delay_alu instid0(VALU_DEP_2) | instskip(SKIP_1) | instid1(VALU_DEP_2)
	v_lshlrev_b64 v[3:4], 2, v[3:4]
	s_addc_u32 s5, s25, s5
	v_add_co_u32 v1, vcc_lo, s26, v1
	v_add_co_ci_u32_e32 v2, vcc_lo, s25, v2, vcc_lo
	s_delay_alu instid0(VALU_DEP_3) | instskip(NEXT) | instid1(VALU_DEP_4)
	v_add_co_u32 v3, vcc_lo, s26, v3
	v_add_co_ci_u32_e32 v4, vcc_lo, s25, v4, vcc_lo
	s_clause 0x1
	global_load_b32 v5, v[1:2], off
	global_load_b32 v7, v[3:4], off
	s_or_b32 s6, s12, 32
	v_lshlrev_b32_e32 v1, 4, v0
	s_ashr_i32 s7, s6, 4
	s_cmp_lt_i32 s6, s24
	s_cselect_b32 s6, s7, s3
	s_delay_alu instid0(VALU_DEP_1) | instskip(SKIP_1) | instid1(SALU_CYCLE_1)
	v_and_b32_e32 v1, 0xf0, v1
	s_ashr_i32 s7, s6, 31
	s_lshl_b64 s[6:7], s[6:7], 2
	s_delay_alu instid0(SALU_CYCLE_1)
	s_add_u32 s6, s26, s6
	s_addc_u32 s7, s25, s7
	s_or_b32 s8, s12, 64
	v_add_co_u32 v1, s13, s13, v1
	s_ashr_i32 s9, s8, 4
	s_cmp_lt_i32 s8, s24
	v_add_co_ci_u32_e64 v2, null, s15, 0, s13
	s_cselect_b32 s8, s9, s3
	s_delay_alu instid0(SALU_CYCLE_1) | instskip(NEXT) | instid1(SALU_CYCLE_1)
	s_ashr_i32 s9, s8, 31
	s_lshl_b64 s[8:9], s[8:9], 2
	s_delay_alu instid0(SALU_CYCLE_1) | instskip(SKIP_2) | instid1(SALU_CYCLE_1)
	s_add_u32 s8, s26, s8
	s_addc_u32 s9, s25, s9
	s_or_b32 s10, s12, 0x60
	s_ashr_i32 s11, s10, 4
	s_cmp_lt_i32 s10, s24
	s_cselect_b32 s10, s11, s3
	s_delay_alu instid0(SALU_CYCLE_1) | instskip(NEXT) | instid1(SALU_CYCLE_1)
	s_ashr_i32 s11, s10, 31
	s_lshl_b64 s[10:11], s[10:11], 2
	s_delay_alu instid0(SALU_CYCLE_1) | instskip(SKIP_2) | instid1(SALU_CYCLE_1)
	s_add_u32 s10, s26, s10
	s_addc_u32 s11, s25, s11
	s_or_b32 s16, s12, 0x80
	s_ashr_i32 s18, s16, 4
	s_cmp_lt_i32 s16, s24
	;; [unrolled: 10-line block ×3, first 2 shown]
	s_cselect_b32 s20, s18, s3
	s_delay_alu instid0(SALU_CYCLE_1) | instskip(NEXT) | instid1(SALU_CYCLE_1)
	s_ashr_i32 s21, s20, 31
	s_lshl_b64 s[20:21], s[20:21], 2
	s_delay_alu instid0(SALU_CYCLE_1)
	s_add_u32 s36, s26, s20
	s_addc_u32 s37, s25, s21
	s_clause 0x5
	s_load_b32 s21, s[4:5], 0x0
	s_load_b32 s13, s[6:7], 0x0
	;; [unrolled: 1-line block ×6, first 2 shown]
	s_or_b32 s6, s12, 0xc0
	s_mov_b32 s4, 0
	s_ashr_i32 s7, s6, 4
	s_cmp_lt_i32 s6, s24
	s_mov_b32 s5, s4
	s_cselect_b32 s10, s7, s3
	s_mov_b32 s6, s4
	s_ashr_i32 s11, s10, 31
	s_mov_b32 s7, s4
	s_lshl_b64 s[10:11], s[10:11], 2
	s_mov_b32 s8, s4
	s_add_u32 s34, s26, s10
	s_addc_u32 s35, s25, s11
	s_or_b32 s11, s12, 0xe0
	s_mov_b32 s9, s4
	s_ashr_i32 s29, s11, 4
	s_cmp_lt_i32 s11, s24
	s_mov_b32 s11, s4
	s_cselect_b32 s36, s29, s3
	s_mov_b32 s10, s4
	s_ashr_i32 s37, s36, 31
	v_mov_b32_e32 v108, s11
	v_mov_b32_e32 v102, s5
	v_dual_mov_b32 v105, s8 :: v_dual_lshlrev_b32 v76, 6, v66
	v_dual_mov_b32 v107, s10 :: v_dual_mov_b32 v106, s9
	v_dual_mov_b32 v104, s7 :: v_dual_mov_b32 v103, s6
	v_mov_b32_e32 v101, s4
	s_lshl_b64 s[4:5], s[36:37], 2
	s_delay_alu instid0(SALU_CYCLE_1)
	s_add_u32 s4, s26, s4
	s_addc_u32 s5, s25, s5
	s_add_u32 s6, s22, s27
	s_addc_u32 s7, s23, s28
	s_waitcnt vmcnt(1)
	v_mad_i64_i32 v[3:4], null, v5, s17, v[1:2]
	s_waitcnt vmcnt(0)
	v_mad_i64_i32 v[5:6], null, v7, s17, v[1:2]
	v_lshlrev_b32_e32 v1, 4, v66
	s_clause 0x7
	global_load_b128 v[49:52], v[3:4], off
	global_load_b128 v[53:56], v[3:4], off offset:256
	global_load_b128 v[77:80], v[5:6], off
	global_load_b128 v[81:84], v[5:6], off offset:256
	global_load_b128 v[85:88], v[3:4], off offset:512
	;; [unrolled: 1-line block ×5, first 2 shown]
	v_lshl_or_b32 v1, v65, 8, v1
	s_load_b32 s3, s[34:35], 0x0
	ds_load_b128 v[109:112], v76
	ds_load_b128 v[113:116], v76 offset:1024
	s_load_b32 s4, s[4:5], 0x0
	v_add_co_u32 v9, s6, s6, v1
	s_delay_alu instid0(VALU_DEP_1) | instskip(SKIP_1) | instid1(VALU_DEP_1)
	v_add_co_ci_u32_e64 v10, null, s7, 0, s6
	s_waitcnt lgkmcnt(0)
	v_mad_i64_i32 v[1:2], null, s21, s17, v[9:10]
	v_mad_i64_i32 v[3:4], null, s13, s17, v[9:10]
	;; [unrolled: 1-line block ×7, first 2 shown]
	s_clause 0x9
	global_load_b128 v[57:60], v[1:2], off
	global_load_b128 v[61:64], v[1:2], off offset:16
	global_load_b128 v[41:44], v[3:4], off
	global_load_b128 v[45:48], v[3:4], off offset:16
	;; [unrolled: 2-line block ×5, first 2 shown]
	v_mad_i64_i32 v[68:69], null, s4, s17, v[9:10]
	s_clause 0x3
	global_load_b128 v[9:12], v[13:14], off
	global_load_b128 v[13:16], v[13:14], off offset:16
	global_load_b128 v[17:20], v[21:22], off
	global_load_b128 v[21:24], v[21:22], off offset:16
	s_waitcnt vmcnt(20)
	v_wmma_f32_16x16x16_bf16 v[117:124], v[49:56], v[109:116], v[101:108]
	s_clause 0x1
	global_load_b128 v[49:52], v[68:69], off
	global_load_b128 v[53:56], v[68:69], off offset:16
	v_and_b32_e32 v68, 0xe0, v0
	v_mbcnt_lo_u32_b32 v69, -1, 0
	s_delay_alu instid0(VALU_DEP_2)
	v_add_nc_u32_e32 v68, s12, v68
	s_waitcnt vmcnt(20)
	v_wmma_f32_16x16x16_bf16 v[101:108], v[77:84], v[109:116], v[101:108]
	ds_load_b128 v[77:80], v76 offset:2048
	ds_load_b128 v[81:84], v76 offset:3072
	v_xor_b32_e32 v70, 16, v69
	s_waitcnt vmcnt(0) lgkmcnt(0)
	v_or_b32_e32 v68, v68, v74
	s_barrier
	buffer_gl0_inv
	v_cmp_gt_i32_e32 vcc_lo, 32, v70
	v_or_b32_e32 v71, 4, v68
	v_or_b32_e32 v72, 6, v68
	v_cmp_gt_i32_e64 s3, s24, v68
	v_or_b32_e32 v109, 8, v68
	s_delay_alu instid0(VALU_DEP_4) | instskip(NEXT) | instid1(VALU_DEP_4)
	v_cmp_gt_i32_e64 s4, s24, v71
	v_cmp_gt_i32_e64 s5, s24, v72
	s_delay_alu instid0(VALU_DEP_3)
	v_cmp_gt_i32_e64 s6, s24, v109
	v_wmma_f32_16x16x16_bf16 v[117:124], v[85:92], v[77:84], v[117:124]
	v_cndmask_b32_e32 v69, v69, v70, vcc_lo
	v_or_b32_e32 v70, 2, v68
	v_wmma_f32_16x16x16_bf16 v[101:108], v[93:100], v[77:84], v[101:108]
	v_or_b32_e32 v85, 10, v68
	v_dual_mul_f32 v84, s19, v120 :: v_dual_mul_f32 v83, s19, v121
	v_dual_mul_f32 v94, s19, v118 :: v_dual_mul_f32 v95, s19, v117
	s_delay_alu instid0(VALU_DEP_4) | instskip(SKIP_2) | instid1(VALU_DEP_4)
	v_mul_f32_e32 v98, s19, v106
	v_cmp_gt_i32_e32 vcc_lo, s24, v70
	v_dual_mul_f32 v93, s19, v119 :: v_dual_mul_f32 v96, s19, v108
	v_cndmask_b32_e64 v95, 0xff7fffff, v95, s3
	v_or_b32_e32 v86, 12, v68
	v_cndmask_b32_e32 v94, 0xff7fffff, v94, vcc_lo
	v_or_b32_e32 v87, 14, v68
	v_dual_mul_f32 v81, s19, v123 :: v_dual_mul_f32 v82, s19, v122
	v_cndmask_b32_e64 v93, 0xff7fffff, v93, s4
	v_cndmask_b32_e64 v72, 0xff7fffff, v84, s5
	v_max3_f32 v84, v95, 0xff7fffff, v94
	v_cmp_gt_i32_e64 s7, s24, v85
	v_or_b32_e32 v88, 16, v68
	v_or_b32_e32 v89, 18, v68
	v_mul_f32_e32 v80, s19, v124
	v_cndmask_b32_e64 v83, 0xff7fffff, v83, s6
	v_cndmask_b32_e64 v82, 0xff7fffff, v82, s7
	v_max3_f32 v72, v84, v93, v72
	v_cmp_gt_i32_e64 s8, s24, v86
	v_cmp_gt_i32_e64 s9, s24, v87
	v_or_b32_e32 v90, 20, v68
	v_or_b32_e32 v91, 22, v68
	;; [unrolled: 1-line block ×6, first 2 shown]
	v_dual_mul_f32 v68, s19, v102 :: v_dual_mul_f32 v71, s19, v101
	v_cndmask_b32_e64 v81, 0xff7fffff, v81, s8
	v_cndmask_b32_e64 v80, 0xff7fffff, v80, s9
	v_max3_f32 v72, v72, v83, v82
	v_cmp_gt_i32_e64 s10, s24, v88
	v_cmp_gt_i32_e64 s11, s24, v89
	v_dual_mul_f32 v97, s19, v107 :: v_dual_mul_f32 v100, s19, v104
	v_dual_mul_f32 v99, s19, v105 :: v_dual_mul_f32 v70, s19, v103
	s_delay_alu instid0(VALU_DEP_4) | instskip(NEXT) | instid1(VALU_DEP_4)
	v_cndmask_b32_e64 v71, 0xff7fffff, v71, s10
	v_cndmask_b32_e64 v68, 0xff7fffff, v68, s11
	v_max3_f32 v72, v72, v81, v80
	v_cmp_gt_i32_e64 s12, s24, v90
	v_cmp_gt_i32_e64 s13, s24, v91
	v_cmp_gt_i32_e64 s15, s24, v92
	v_cmp_gt_i32_e64 s16, s24, v77
	v_max3_f32 v68, v72, v71, v68
	v_cndmask_b32_e64 v70, 0xff7fffff, v70, s12
	v_cndmask_b32_e64 v80, 0xff7fffff, v100, s13
	v_cndmask_b32_e64 v71, 0xff7fffff, v99, s15
	v_cndmask_b32_e64 v72, 0xff7fffff, v98, s16
	v_cmp_gt_i32_e64 s17, s24, v78
	v_cmp_gt_i32_e64 s18, s24, v79
	v_max3_f32 v68, v68, v70, v80
	v_lshlrev_b32_e32 v90, 2, v69
	s_delay_alu instid0(VALU_DEP_4) | instskip(NEXT) | instid1(VALU_DEP_4)
	v_cndmask_b32_e64 v70, 0xff7fffff, v97, s17
	v_cndmask_b32_e64 v77, 0xff7fffff, v96, s18
	s_delay_alu instid0(VALU_DEP_4) | instskip(NEXT) | instid1(VALU_DEP_1)
	v_max3_f32 v68, v68, v71, v72
	v_max3_f32 v68, v68, v70, v77
	ds_bpermute_b32 v69, v90, v68
	s_waitcnt lgkmcnt(0)
	v_max_f32_e32 v69, v69, v69
	s_delay_alu instid0(VALU_DEP_1) | instskip(NEXT) | instid1(VALU_DEP_1)
	v_max_f32_e32 v81, v68, v69
	v_fma_f32 v68, s19, v117, -v81
	s_delay_alu instid0(VALU_DEP_1)
	v_mul_f32_e32 v68, 0x3fb8aa3b, v68
	v_fma_f32 v69, s19, v118, -v81
	v_fma_f32 v71, s19, v120, -v81
	;; [unrolled: 1-line block ×4, first 2 shown]
	v_exp_f32_e32 v68, v68
	v_mul_f32_e32 v69, 0x3fb8aa3b, v69
	s_delay_alu instid0(VALU_DEP_3) | instskip(NEXT) | instid1(VALU_DEP_3)
	v_dual_mul_f32 v71, 0x3fb8aa3b, v71 :: v_dual_mul_f32 v72, 0x3fb8aa3b, v72
	v_mul_f32_e32 v70, 0x3fb8aa3b, v70
	v_fma_f32 v78, s19, v123, -v81
	s_delay_alu instid0(VALU_DEP_4) | instskip(NEXT) | instid1(VALU_DEP_3)
	v_exp_f32_e32 v69, v69
	v_exp_f32_e32 v71, v71
	v_exp_f32_e32 v72, v72
	v_exp_f32_e32 v70, v70
	v_cndmask_b32_e64 v82, 0, v68, s3
	v_fma_f32 v68, s19, v122, -v81
	v_mul_f32_e32 v78, 0x3fb8aa3b, v78
	v_fma_f32 v80, s19, v106, -v81
	s_mov_b32 s3, exec_lo
	s_delay_alu instid0(VALU_DEP_3) | instskip(NEXT) | instid1(TRANS32_DEP_2)
	v_dual_cndmask_b32 v77, 0, v69 :: v_dual_mul_f32 v68, 0x3fb8aa3b, v68
	v_cndmask_b32_e64 v86, 0, v72, s6
	v_fma_f32 v72, s19, v102, -v81
	v_add_f32_e32 v69, 0, v82
	v_cndmask_b32_e64 v83, 0, v70, s4
	v_exp_f32_e32 v68, v68
	v_fma_f32 v70, s19, v124, -v81
	s_delay_alu instid0(VALU_DEP_3) | instskip(SKIP_2) | instid1(VALU_DEP_4)
	v_dual_mul_f32 v72, 0x3fb8aa3b, v72 :: v_dual_add_f32 v69, v69, v77
	v_cndmask_b32_e64 v85, 0, v71, s5
	v_fma_f32 v71, s19, v101, -v81
	v_mul_f32_e32 v70, 0x3fb8aa3b, v70
	v_exp_f32_e32 v78, v78
	v_add_f32_e32 v69, v69, v83
	v_exp_f32_e32 v72, v72
	s_delay_alu instid0(TRANS32_DEP_3) | instskip(SKIP_1) | instid1(VALU_DEP_2)
	v_cndmask_b32_e64 v87, 0, v68, s7
	v_exp_f32_e32 v70, v70
	v_add_f32_e32 v69, v69, v85
	v_mul_f32_e32 v71, 0x3fb8aa3b, v71
	s_delay_alu instid0(TRANS32_DEP_3) | instskip(NEXT) | instid1(VALU_DEP_3)
	v_cndmask_b32_e64 v84, 0, v78, s8
	v_add_f32_e32 v68, v69, v86
	v_fma_f32 v69, s19, v103, -v81
	s_delay_alu instid0(VALU_DEP_4) | instskip(SKIP_1) | instid1(TRANS32_DEP_2)
	v_exp_f32_e32 v71, v71
	v_fma_f32 v78, s19, v104, -v81
	v_cndmask_b32_e64 v88, 0, v70, s9
	s_delay_alu instid0(VALU_DEP_3) | instskip(SKIP_1) | instid1(VALU_DEP_2)
	v_dual_add_f32 v68, v68, v87 :: v_dual_mul_f32 v69, 0x3fb8aa3b, v69
	v_fma_f32 v70, s19, v105, -v81
	v_add_f32_e32 v68, v68, v84
	v_mul_f32_e32 v78, 0x3fb8aa3b, v78
	s_delay_alu instid0(VALU_DEP_4) | instskip(NEXT) | instid1(TRANS32_DEP_2)
	v_exp_f32_e32 v79, v69
	v_cndmask_b32_e64 v69, 0, v71, s10
	s_delay_alu instid0(VALU_DEP_3) | instskip(NEXT) | instid1(VALU_DEP_3)
	v_dual_add_f32 v71, v68, v88 :: v_dual_mul_f32 v70, 0x3fb8aa3b, v70
	v_exp_f32_e32 v78, v78
	v_cndmask_b32_e64 v68, 0, v72, s11
	v_fma_f32 v72, s19, v107, -v81
	s_delay_alu instid0(VALU_DEP_3) | instskip(SKIP_1) | instid1(TRANS32_DEP_3)
	v_add_f32_e32 v71, v71, v69
	v_exp_f32_e32 v89, v70
	v_cndmask_b32_e64 v70, 0, v79, s12
	s_delay_alu instid0(VALU_DEP_2) | instskip(NEXT) | instid1(TRANS32_DEP_2)
	v_add_f32_e32 v79, v71, v68
	v_cndmask_b32_e64 v71, 0, v78, s13
	s_delay_alu instid0(VALU_DEP_2) | instskip(SKIP_2) | instid1(VALU_DEP_1)
	v_add_f32_e32 v78, v79, v70
	v_mul_f32_e32 v80, 0x3fb8aa3b, v80
	v_fma_f32 v79, s19, v108, -v81
	v_dual_mul_f32 v72, 0x3fb8aa3b, v72 :: v_dual_mul_f32 v79, 0x3fb8aa3b, v79
	s_delay_alu instid0(VALU_DEP_1) | instskip(NEXT) | instid1(TRANS32_DEP_2)
	v_exp_f32_e32 v91, v72
	v_cndmask_b32_e64 v72, 0, v89, s15
	v_add_f32_e32 v89, v78, v71
	v_exp_f32_e32 v80, v80
	s_waitcnt_depctr 0xfff
	v_cndmask_b32_e64 v78, 0, v80, s16
	v_add_f32_e32 v80, v89, v72
	v_exp_f32_e32 v89, v79
	v_cndmask_b32_e64 v79, 0, v91, s17
	s_delay_alu instid0(VALU_DEP_2) | instskip(NEXT) | instid1(VALU_DEP_1)
	v_add_f32_e32 v80, v80, v78
	v_add_f32_e32 v91, v80, v79
	s_waitcnt_depctr 0xfff
	v_cndmask_b32_e64 v80, 0, v89, s18
	s_delay_alu instid0(VALU_DEP_1)
	v_add_f32_e32 v89, v91, v80
	ds_bpermute_b32 v90, v90, v89
	v_cmpx_gt_u32_e32 16, v67
	s_cbranch_execz .LBB1421_12
; %bb.11:
	v_mul_u32_u24_e32 v67, 0x44, v65
	s_waitcnt lgkmcnt(0)
	v_add_f32_e32 v89, v89, v90
	s_delay_alu instid0(VALU_DEP_2) | instskip(NEXT) | instid1(VALU_DEP_1)
	v_lshl_add_u32 v67, v66, 2, v67
	v_add_nc_u32_e32 v67, 0x4000, v67
	ds_store_2addr_b32 v67, v81, v89 offset1:136
.LBB1421_12:
	s_or_b32 exec_lo, exec_lo, s3
	v_lshlrev_b32_e32 v66, 2, v66
	s_waitcnt lgkmcnt(0)
	s_barrier
	buffer_gl0_inv
	v_cmp_eq_u32_e32 vcc_lo, 1, v65
	v_add_nc_u32_e32 v81, 0x4000, v66
	v_cmp_eq_u32_e64 s3, 2, v65
	v_cmp_eq_u32_e64 s5, 7, v65
	ds_load_2addr_b32 v[89:90], v81 offset1:17
	ds_load_2addr_b32 v[91:92], v81 offset0:34 offset1:51
	ds_load_2addr_b32 v[93:94], v81 offset0:68 offset1:85
	;; [unrolled: 1-line block ×4, first 2 shown]
	s_waitcnt lgkmcnt(4)
	v_max3_f32 v66, v89, 0xff7fffff, v90
	s_waitcnt lgkmcnt(3)
	s_delay_alu instid0(VALU_DEP_1) | instskip(SKIP_1) | instid1(VALU_DEP_1)
	v_max3_f32 v66, v66, v91, v92
	s_waitcnt lgkmcnt(2)
	v_max3_f32 v66, v66, v93, v94
	s_waitcnt lgkmcnt(1)
	s_delay_alu instid0(VALU_DEP_1) | instskip(NEXT) | instid1(VALU_DEP_1)
	v_max3_f32 v66, v66, v95, v96
	v_sub_f32_e32 v67, v89, v66
	v_sub_f32_e32 v91, v91, v66
	;; [unrolled: 1-line block ×3, first 2 shown]
	s_delay_alu instid0(VALU_DEP_3) | instskip(NEXT) | instid1(VALU_DEP_3)
	v_mul_f32_e32 v67, 0x3fb8aa3b, v67
	v_mul_f32_e32 v101, 0x3fb8aa3b, v91
	s_delay_alu instid0(VALU_DEP_3) | instskip(NEXT) | instid1(VALU_DEP_3)
	v_mul_f32_e32 v103, 0x3fb8aa3b, v93
	v_exp_f32_e32 v100, v67
	v_sub_f32_e32 v67, v92, v66
	v_sub_f32_e32 v99, v90, v66
	ds_load_2addr_b32 v[89:90], v81 offset0:170 offset1:187
	ds_load_2addr_b32 v[91:92], v81 offset0:204 offset1:221
	v_exp_f32_e32 v101, v101
	v_mul_f32_e32 v102, 0x3fb8aa3b, v67
	v_mul_f32_e32 v99, 0x3fb8aa3b, v99
	s_waitcnt lgkmcnt(2)
	v_fma_f32 v67, v100, v97, 0
	v_sub_f32_e32 v97, v94, v66
	s_delay_alu instid0(VALU_DEP_3)
	v_exp_f32_e32 v99, v99
	v_exp_f32_e32 v102, v102
	ds_load_2addr_b32 v[93:94], v81 offset0:238 offset1:255
	v_sub_f32_e32 v81, v95, v66
	v_mul_f32_e32 v95, 0x3fb8aa3b, v97
	v_exp_f32_e32 v97, v103
	s_waitcnt lgkmcnt(0)
	s_barrier
	v_mul_f32_e32 v81, 0x3fb8aa3b, v81
	v_exp_f32_e32 v95, v95
	v_fmac_f32_e32 v67, v99, v98
	buffer_gl0_inv
	v_exp_f32_e32 v81, v81
	v_fmac_f32_e32 v67, v101, v89
	v_sub_f32_e32 v89, v96, v66
	s_delay_alu instid0(VALU_DEP_2) | instskip(NEXT) | instid1(VALU_DEP_2)
	v_fmac_f32_e32 v67, v102, v90
	v_mul_f32_e32 v89, 0x3fb8aa3b, v89
	s_delay_alu instid0(VALU_DEP_2) | instskip(NEXT) | instid1(VALU_DEP_2)
	v_fmac_f32_e32 v67, v97, v91
	v_exp_f32_e32 v89, v89
	s_delay_alu instid0(VALU_DEP_1)
	v_fmac_f32_e32 v67, v95, v92
	s_delay_alu instid0(TRANS32_DEP_2) | instid1(VALU_DEP_1)
	v_fmac_f32_e32 v67, v81, v93
	s_waitcnt_depctr 0xfff
	v_fmac_f32_e32 v67, v89, v94
	s_delay_alu instid0(VALU_DEP_1) | instskip(NEXT) | instid1(VALU_DEP_1)
	v_add_f32_e32 v90, 0x358637bd, v67
	v_div_scale_f32 v91, null, v90, v90, 1.0
	v_div_scale_f32 v94, s4, 1.0, v90, 1.0
	s_delay_alu instid0(VALU_DEP_2) | instskip(SKIP_2) | instid1(VALU_DEP_1)
	v_rcp_f32_e32 v92, v91
	s_waitcnt_depctr 0xfff
	v_fma_f32 v93, -v91, v92, 1.0
	v_dual_fmac_f32 v92, v93, v92 :: v_dual_cndmask_b32 v93, v100, v99
	v_cmp_eq_u32_e32 vcc_lo, 3, v65
	s_delay_alu instid0(VALU_DEP_2) | instskip(NEXT) | instid1(VALU_DEP_3)
	v_mul_f32_e32 v96, v94, v92
	v_cndmask_b32_e64 v93, v93, v101, s3
	v_cmp_eq_u32_e64 s3, 4, v65
	s_delay_alu instid0(VALU_DEP_3) | instskip(NEXT) | instid1(VALU_DEP_3)
	v_fma_f32 v98, -v91, v96, v94
	v_cndmask_b32_e32 v93, v93, v102, vcc_lo
	v_cmp_eq_u32_e32 vcc_lo, 5, v65
	s_delay_alu instid0(VALU_DEP_3) | instskip(NEXT) | instid1(VALU_DEP_3)
	v_fmac_f32_e32 v96, v98, v92
	v_cndmask_b32_e64 v93, v93, v97, s3
	v_cmp_eq_u32_e64 s3, 6, v65
	s_delay_alu instid0(VALU_DEP_3) | instskip(NEXT) | instid1(VALU_DEP_3)
	v_fma_f32 v91, -v91, v96, v94
	v_cndmask_b32_e32 v93, v93, v95, vcc_lo
	s_mov_b32 vcc_lo, s4
	s_delay_alu instid0(VALU_DEP_2) | instskip(NEXT) | instid1(VALU_DEP_2)
	v_div_fmas_f32 v91, v91, v92, v96
	v_cndmask_b32_e64 v81, v93, v81, s3
	s_mov_b32 s3, exec_lo
	s_delay_alu instid0(VALU_DEP_2) | instskip(NEXT) | instid1(VALU_DEP_2)
	v_div_fixup_f32 v90, v91, v90, 1.0
	v_cndmask_b32_e64 v81, v81, v89, s5
	s_delay_alu instid0(VALU_DEP_1) | instskip(NEXT) | instid1(VALU_DEP_1)
	v_mul_f32_e32 v81, v81, v90
	v_mul_f32_e32 v90, v81, v82
	;; [unrolled: 1-line block ×6, first 2 shown]
	v_dual_mul_f32 v86, v81, v83 :: v_dual_and_b32 v91, 0x7f800000, v90
	v_mul_f32_e32 v89, v81, v85
	v_mul_f32_e32 v85, v81, v77
                                        ; implicit-def: $vgpr77
	s_delay_alu instid0(VALU_DEP_3)
	v_cmpx_ne_u32_e32 0x7f800000, v91
	s_xor_b32 s3, exec_lo, s3
; %bb.13:
	v_bfe_u32 v77, v90, 16, 1
	s_delay_alu instid0(VALU_DEP_1)
	v_add3_u32 v77, v90, v77, 0x7fff
                                        ; implicit-def: $vgpr90
; %bb.14:
	s_and_not1_saveexec_b32 s3, s3
; %bb.15:
	v_and_b32_e32 v77, 0xffff, v90
	v_or_b32_e32 v83, 0x10000, v90
	s_delay_alu instid0(VALU_DEP_2) | instskip(NEXT) | instid1(VALU_DEP_2)
	v_cmp_eq_u32_e32 vcc_lo, 0, v77
	v_cndmask_b32_e32 v77, v83, v90, vcc_lo
; %bb.16:
	s_or_b32 exec_lo, exec_lo, s3
	v_and_b32_e32 v83, 0x7f800000, v85
	s_delay_alu instid0(VALU_DEP_1) | instskip(SKIP_1) | instid1(SALU_CYCLE_1)
	v_cmp_ne_u32_e32 vcc_lo, 0x7f800000, v83
                                        ; implicit-def: $vgpr83
	s_and_saveexec_b32 s3, vcc_lo
	s_xor_b32 s3, exec_lo, s3
; %bb.17:
	v_bfe_u32 v83, v85, 16, 1
	s_delay_alu instid0(VALU_DEP_1)
	v_add3_u32 v83, v85, v83, 0x7fff
                                        ; implicit-def: $vgpr85
; %bb.18:
	s_and_not1_saveexec_b32 s3, s3
; %bb.19:
	v_and_b32_e32 v83, 0xffff, v85
	v_or_b32_e32 v90, 0x10000, v85
	s_delay_alu instid0(VALU_DEP_2) | instskip(NEXT) | instid1(VALU_DEP_2)
	v_cmp_eq_u32_e32 vcc_lo, 0, v83
	v_cndmask_b32_e32 v83, v90, v85, vcc_lo
; %bb.20:
	s_or_b32 exec_lo, exec_lo, s3
	v_and_b32_e32 v85, 0x7f800000, v86
	s_delay_alu instid0(VALU_DEP_1) | instskip(SKIP_1) | instid1(SALU_CYCLE_1)
	v_cmp_ne_u32_e32 vcc_lo, 0x7f800000, v85
                                        ; implicit-def: $vgpr85
	s_and_saveexec_b32 s3, vcc_lo
	s_xor_b32 s3, exec_lo, s3
; %bb.21:
	v_bfe_u32 v85, v86, 16, 1
	s_delay_alu instid0(VALU_DEP_1)
	v_add3_u32 v85, v86, v85, 0x7fff
                                        ; implicit-def: $vgpr86
; %bb.22:
	s_and_not1_saveexec_b32 s3, s3
; %bb.23:
	v_and_b32_e32 v85, 0xffff, v86
	v_or_b32_e32 v90, 0x10000, v86
	s_delay_alu instid0(VALU_DEP_2) | instskip(NEXT) | instid1(VALU_DEP_2)
	v_cmp_eq_u32_e32 vcc_lo, 0, v85
	v_cndmask_b32_e32 v85, v90, v86, vcc_lo
; %bb.24:
	s_or_b32 exec_lo, exec_lo, s3
	v_and_b32_e32 v86, 0x7f800000, v89
	s_delay_alu instid0(VALU_DEP_1) | instskip(SKIP_1) | instid1(SALU_CYCLE_1)
	v_cmp_ne_u32_e32 vcc_lo, 0x7f800000, v86
                                        ; implicit-def: $vgpr86
	s_and_saveexec_b32 s3, vcc_lo
	s_xor_b32 s3, exec_lo, s3
; %bb.25:
	v_bfe_u32 v86, v89, 16, 1
	s_delay_alu instid0(VALU_DEP_1)
	v_add3_u32 v86, v89, v86, 0x7fff
                                        ; implicit-def: $vgpr89
; %bb.26:
	s_and_not1_saveexec_b32 s3, s3
; %bb.27:
	v_and_b32_e32 v86, 0xffff, v89
	v_or_b32_e32 v90, 0x10000, v89
	s_delay_alu instid0(VALU_DEP_2) | instskip(NEXT) | instid1(VALU_DEP_2)
	v_cmp_eq_u32_e32 vcc_lo, 0, v86
	v_cndmask_b32_e32 v86, v90, v89, vcc_lo
; %bb.28:
	s_or_b32 exec_lo, exec_lo, s3
	v_and_b32_e32 v89, 0x7f800000, v88
	s_delay_alu instid0(VALU_DEP_1) | instskip(SKIP_1) | instid1(SALU_CYCLE_1)
	v_cmp_ne_u32_e32 vcc_lo, 0x7f800000, v89
                                        ; implicit-def: $vgpr89
	s_and_saveexec_b32 s3, vcc_lo
	s_xor_b32 s3, exec_lo, s3
; %bb.29:
	v_bfe_u32 v89, v88, 16, 1
	s_delay_alu instid0(VALU_DEP_1)
	v_add3_u32 v89, v88, v89, 0x7fff
                                        ; implicit-def: $vgpr88
; %bb.30:
	s_and_not1_saveexec_b32 s3, s3
; %bb.31:
	v_and_b32_e32 v89, 0xffff, v88
	v_or_b32_e32 v90, 0x10000, v88
	s_delay_alu instid0(VALU_DEP_2) | instskip(NEXT) | instid1(VALU_DEP_2)
	v_cmp_eq_u32_e32 vcc_lo, 0, v89
	v_cndmask_b32_e32 v89, v90, v88, vcc_lo
; %bb.32:
	s_or_b32 exec_lo, exec_lo, s3
	v_and_b32_e32 v88, 0x7f800000, v87
	s_delay_alu instid0(VALU_DEP_1) | instskip(SKIP_1) | instid1(SALU_CYCLE_1)
	v_cmp_ne_u32_e32 vcc_lo, 0x7f800000, v88
                                        ; implicit-def: $vgpr88
	s_and_saveexec_b32 s3, vcc_lo
	s_xor_b32 s3, exec_lo, s3
; %bb.33:
	v_bfe_u32 v88, v87, 16, 1
	s_delay_alu instid0(VALU_DEP_1)
	v_add3_u32 v88, v87, v88, 0x7fff
                                        ; implicit-def: $vgpr87
; %bb.34:
	s_and_not1_saveexec_b32 s3, s3
; %bb.35:
	v_and_b32_e32 v88, 0xffff, v87
	v_or_b32_e32 v90, 0x10000, v87
	s_delay_alu instid0(VALU_DEP_2) | instskip(NEXT) | instid1(VALU_DEP_2)
	v_cmp_eq_u32_e32 vcc_lo, 0, v88
	v_cndmask_b32_e32 v88, v90, v87, vcc_lo
; %bb.36:
	s_or_b32 exec_lo, exec_lo, s3
	v_and_b32_e32 v87, 0x7f800000, v84
	s_delay_alu instid0(VALU_DEP_1) | instskip(SKIP_1) | instid1(SALU_CYCLE_1)
	v_cmp_ne_u32_e32 vcc_lo, 0x7f800000, v87
                                        ; implicit-def: $vgpr87
	s_and_saveexec_b32 s3, vcc_lo
	s_xor_b32 s3, exec_lo, s3
; %bb.37:
	v_bfe_u32 v87, v84, 16, 1
	s_delay_alu instid0(VALU_DEP_1)
	v_add3_u32 v87, v84, v87, 0x7fff
                                        ; implicit-def: $vgpr84
; %bb.38:
	s_and_not1_saveexec_b32 s3, s3
; %bb.39:
	v_and_b32_e32 v87, 0xffff, v84
	v_or_b32_e32 v90, 0x10000, v84
	s_delay_alu instid0(VALU_DEP_2) | instskip(NEXT) | instid1(VALU_DEP_2)
	v_cmp_eq_u32_e32 vcc_lo, 0, v87
	v_cndmask_b32_e32 v87, v90, v84, vcc_lo
; %bb.40:
	s_or_b32 exec_lo, exec_lo, s3
	v_and_b32_e32 v84, 0x7f800000, v82
	s_delay_alu instid0(VALU_DEP_1) | instskip(SKIP_1) | instid1(SALU_CYCLE_1)
	v_cmp_ne_u32_e32 vcc_lo, 0x7f800000, v84
                                        ; implicit-def: $vgpr84
	s_and_saveexec_b32 s3, vcc_lo
	s_xor_b32 s3, exec_lo, s3
; %bb.41:
	v_bfe_u32 v84, v82, 16, 1
	s_delay_alu instid0(VALU_DEP_1)
	v_add3_u32 v84, v82, v84, 0x7fff
                                        ; implicit-def: $vgpr82
; %bb.42:
	s_and_not1_saveexec_b32 s3, s3
; %bb.43:
	v_and_b32_e32 v84, 0xffff, v82
	v_or_b32_e32 v90, 0x10000, v82
	s_delay_alu instid0(VALU_DEP_2) | instskip(NEXT) | instid1(VALU_DEP_2)
	v_cmp_eq_u32_e32 vcc_lo, 0, v84
	v_cndmask_b32_e32 v84, v90, v82, vcc_lo
; %bb.44:
	s_or_b32 exec_lo, exec_lo, s3
	s_load_b64 s[34:35], s[0:1], 0x94
	v_lshlrev_b32_e32 v82, 4, v74
	s_delay_alu instid0(VALU_DEP_2)
	v_perm_b32 v90, v84, v87, 0x7060302
	v_lshlrev_b32_e32 v84, 11, v65
	v_perm_b32 v87, v83, v77, 0x7060302
	v_mul_f32_e32 v83, v81, v69
	v_mul_f32_e32 v69, v81, v80
	v_perm_b32 v89, v88, v89, 0x7060302
	v_perm_b32 v88, v86, v85, 0x7060302
	v_or3_b32 v77, v82, v84, v76
	v_mul_f32_e32 v79, v81, v79
	v_mul_f32_e32 v78, v81, v78
	v_and_b32_e32 v84, 0x7f800000, v83
	v_mul_f32_e32 v72, v81, v72
	v_mul_f32_e32 v82, v81, v71
	;; [unrolled: 1-line block ×4, first 2 shown]
	s_mov_b32 s3, exec_lo
	ds_store_b128 v77, v[87:90]
                                        ; implicit-def: $vgpr68
	v_cmpx_ne_u32_e32 0x7f800000, v84
	s_xor_b32 s3, exec_lo, s3
; %bb.45:
	v_bfe_u32 v68, v83, 16, 1
	s_delay_alu instid0(VALU_DEP_1)
	v_add3_u32 v68, v83, v68, 0x7fff
                                        ; implicit-def: $vgpr83
; %bb.46:
	s_and_not1_saveexec_b32 s3, s3
; %bb.47:
	v_and_b32_e32 v68, 0xffff, v83
	v_or_b32_e32 v70, 0x10000, v83
	s_delay_alu instid0(VALU_DEP_2) | instskip(NEXT) | instid1(VALU_DEP_2)
	v_cmp_eq_u32_e32 vcc_lo, 0, v68
	v_cndmask_b32_e32 v68, v70, v83, vcc_lo
; %bb.48:
	s_or_b32 exec_lo, exec_lo, s3
	v_and_b32_e32 v70, 0x7f800000, v71
	s_delay_alu instid0(VALU_DEP_1) | instskip(SKIP_1) | instid1(SALU_CYCLE_1)
	v_cmp_ne_u32_e32 vcc_lo, 0x7f800000, v70
                                        ; implicit-def: $vgpr70
	s_and_saveexec_b32 s3, vcc_lo
	s_xor_b32 s3, exec_lo, s3
; %bb.49:
	v_bfe_u32 v70, v71, 16, 1
	s_delay_alu instid0(VALU_DEP_1)
	v_add3_u32 v70, v71, v70, 0x7fff
                                        ; implicit-def: $vgpr71
; %bb.50:
	s_and_not1_saveexec_b32 s3, s3
; %bb.51:
	v_and_b32_e32 v70, 0xffff, v71
	v_or_b32_e32 v81, 0x10000, v71
	s_delay_alu instid0(VALU_DEP_2) | instskip(NEXT) | instid1(VALU_DEP_2)
	v_cmp_eq_u32_e32 vcc_lo, 0, v70
	v_cndmask_b32_e32 v70, v81, v71, vcc_lo
; %bb.52:
	s_or_b32 exec_lo, exec_lo, s3
	v_and_b32_e32 v71, 0x7f800000, v80
	s_delay_alu instid0(VALU_DEP_1) | instskip(SKIP_1) | instid1(SALU_CYCLE_1)
	v_cmp_ne_u32_e32 vcc_lo, 0x7f800000, v71
                                        ; implicit-def: $vgpr71
	s_and_saveexec_b32 s3, vcc_lo
	s_xor_b32 s3, exec_lo, s3
; %bb.53:
	v_bfe_u32 v71, v80, 16, 1
	s_delay_alu instid0(VALU_DEP_1)
	v_add3_u32 v71, v80, v71, 0x7fff
                                        ; implicit-def: $vgpr80
; %bb.54:
	s_and_not1_saveexec_b32 s3, s3
; %bb.55:
	v_and_b32_e32 v71, 0xffff, v80
	v_or_b32_e32 v81, 0x10000, v80
	s_delay_alu instid0(VALU_DEP_2) | instskip(NEXT) | instid1(VALU_DEP_2)
	v_cmp_eq_u32_e32 vcc_lo, 0, v71
	v_cndmask_b32_e32 v71, v81, v80, vcc_lo
; %bb.56:
	s_or_b32 exec_lo, exec_lo, s3
	v_and_b32_e32 v80, 0x7f800000, v82
	s_delay_alu instid0(VALU_DEP_1) | instskip(SKIP_1) | instid1(SALU_CYCLE_1)
	v_cmp_ne_u32_e32 vcc_lo, 0x7f800000, v80
                                        ; implicit-def: $vgpr80
	s_and_saveexec_b32 s3, vcc_lo
	s_xor_b32 s3, exec_lo, s3
; %bb.57:
	v_bfe_u32 v80, v82, 16, 1
	s_delay_alu instid0(VALU_DEP_1)
	v_add3_u32 v80, v82, v80, 0x7fff
                                        ; implicit-def: $vgpr82
; %bb.58:
	s_and_not1_saveexec_b32 s3, s3
; %bb.59:
	v_and_b32_e32 v80, 0xffff, v82
	v_or_b32_e32 v81, 0x10000, v82
	s_delay_alu instid0(VALU_DEP_2) | instskip(NEXT) | instid1(VALU_DEP_2)
	v_cmp_eq_u32_e32 vcc_lo, 0, v80
	v_cndmask_b32_e32 v80, v81, v82, vcc_lo
; %bb.60:
	s_or_b32 exec_lo, exec_lo, s3
	v_and_b32_e32 v81, 0x7f800000, v72
	s_delay_alu instid0(VALU_DEP_1) | instskip(SKIP_1) | instid1(SALU_CYCLE_1)
	v_cmp_ne_u32_e32 vcc_lo, 0x7f800000, v81
                                        ; implicit-def: $vgpr81
	s_and_saveexec_b32 s3, vcc_lo
	s_xor_b32 s3, exec_lo, s3
; %bb.61:
	v_bfe_u32 v81, v72, 16, 1
	s_delay_alu instid0(VALU_DEP_1)
	v_add3_u32 v81, v72, v81, 0x7fff
                                        ; implicit-def: $vgpr72
; %bb.62:
	s_and_not1_saveexec_b32 s3, s3
; %bb.63:
	v_and_b32_e32 v81, 0xffff, v72
	v_or_b32_e32 v82, 0x10000, v72
	s_delay_alu instid0(VALU_DEP_2) | instskip(NEXT) | instid1(VALU_DEP_2)
	v_cmp_eq_u32_e32 vcc_lo, 0, v81
	v_cndmask_b32_e32 v81, v82, v72, vcc_lo
; %bb.64:
	s_or_b32 exec_lo, exec_lo, s3
	v_and_b32_e32 v72, 0x7f800000, v78
	s_delay_alu instid0(VALU_DEP_1) | instskip(SKIP_1) | instid1(SALU_CYCLE_1)
	v_cmp_ne_u32_e32 vcc_lo, 0x7f800000, v72
                                        ; implicit-def: $vgpr72
	s_and_saveexec_b32 s3, vcc_lo
	s_xor_b32 s3, exec_lo, s3
; %bb.65:
	v_bfe_u32 v72, v78, 16, 1
	s_delay_alu instid0(VALU_DEP_1)
	v_add3_u32 v72, v78, v72, 0x7fff
                                        ; implicit-def: $vgpr78
; %bb.66:
	s_and_not1_saveexec_b32 s3, s3
; %bb.67:
	v_and_b32_e32 v72, 0xffff, v78
	v_or_b32_e32 v82, 0x10000, v78
	s_delay_alu instid0(VALU_DEP_2) | instskip(NEXT) | instid1(VALU_DEP_2)
	v_cmp_eq_u32_e32 vcc_lo, 0, v72
	v_cndmask_b32_e32 v72, v82, v78, vcc_lo
; %bb.68:
	s_or_b32 exec_lo, exec_lo, s3
	v_and_b32_e32 v78, 0x7f800000, v79
	s_delay_alu instid0(VALU_DEP_1) | instskip(SKIP_1) | instid1(SALU_CYCLE_1)
	v_cmp_ne_u32_e32 vcc_lo, 0x7f800000, v78
                                        ; implicit-def: $vgpr78
	s_and_saveexec_b32 s3, vcc_lo
	s_xor_b32 s3, exec_lo, s3
; %bb.69:
	v_bfe_u32 v78, v79, 16, 1
	s_delay_alu instid0(VALU_DEP_1)
	v_add3_u32 v78, v79, v78, 0x7fff
                                        ; implicit-def: $vgpr79
; %bb.70:
	s_and_not1_saveexec_b32 s3, s3
; %bb.71:
	v_and_b32_e32 v78, 0xffff, v79
	v_or_b32_e32 v82, 0x10000, v79
	s_delay_alu instid0(VALU_DEP_2) | instskip(NEXT) | instid1(VALU_DEP_2)
	v_cmp_eq_u32_e32 vcc_lo, 0, v78
	v_cndmask_b32_e32 v78, v82, v79, vcc_lo
; %bb.72:
	s_or_b32 exec_lo, exec_lo, s3
	v_and_b32_e32 v79, 0x7f800000, v69
	s_delay_alu instid0(VALU_DEP_1) | instskip(SKIP_1) | instid1(SALU_CYCLE_1)
	v_cmp_ne_u32_e32 vcc_lo, 0x7f800000, v79
                                        ; implicit-def: $vgpr79
	s_and_saveexec_b32 s3, vcc_lo
	s_xor_b32 s3, exec_lo, s3
; %bb.73:
	v_bfe_u32 v79, v69, 16, 1
	s_delay_alu instid0(VALU_DEP_1)
	v_add3_u32 v79, v69, v79, 0x7fff
                                        ; implicit-def: $vgpr69
; %bb.74:
	s_and_not1_saveexec_b32 s3, s3
; %bb.75:
	v_and_b32_e32 v79, 0xffff, v69
	v_or_b32_e32 v82, 0x10000, v69
	s_delay_alu instid0(VALU_DEP_2) | instskip(NEXT) | instid1(VALU_DEP_2)
	v_cmp_eq_u32_e32 vcc_lo, 0, v79
	v_cndmask_b32_e32 v79, v82, v69, vcc_lo
; %bb.76:
	s_or_b32 exec_lo, exec_lo, s3
	s_delay_alu instid0(VALU_DEP_1)
	v_perm_b32 v86, v79, v78, 0x7060302
	v_perm_b32 v85, v72, v81, 0x7060302
	;; [unrolled: 1-line block ×4, first 2 shown]
	v_lshl_or_b32 v82, v65, 11, v76
	v_lshlrev_b32_e32 v79, 2, v74
	ds_store_b128 v77, v[83:86] offset:1024
	s_waitcnt lgkmcnt(0)
	s_barrier
	buffer_gl0_inv
	ds_load_b128 v[68:71], v82
	ds_load_b128 v[83:86], v82 offset:16
	v_or_b32_e32 v80, 1, v79
	v_cmp_eq_u32_e32 vcc_lo, 1, v79
	v_cmp_eq_u32_e64 s4, 2, v79
	v_cmp_eq_u32_e64 s7, 3, v79
	;; [unrolled: 1-line block ×6, first 2 shown]
	v_or_b32_e32 v78, 2, v79
	v_cmp_eq_u32_e64 s10, 5, v79
	v_cmp_eq_u32_e64 s11, 4, v80
	;; [unrolled: 1-line block ×9, first 2 shown]
	s_waitcnt lgkmcnt(1)
	v_lshrrev_b32_e32 v65, 16, v68
	s_waitcnt lgkmcnt(0)
	v_lshrrev_b32_e32 v91, 16, v83
	v_lshrrev_b32_e32 v72, 16, v69
	;; [unrolled: 1-line block ×4, first 2 shown]
	v_cndmask_b32_e32 v81, v68, v65, vcc_lo
	v_cndmask_b32_e32 v87, v83, v91, vcc_lo
	v_cndmask_b32_e64 v88, v68, v65, s3
	v_lshrrev_b32_e32 v98, 16, v85
	v_cndmask_b32_e64 v89, v83, v91, s3
	v_cndmask_b32_e64 v81, v81, v69, s4
	v_cndmask_b32_e64 v87, v87, v84, s4
	v_cndmask_b32_e64 v88, v88, v69, s6
	v_lshrrev_b32_e32 v96, 16, v71
	v_cndmask_b32_e64 v89, v89, v84, s6
	v_cndmask_b32_e64 v81, v81, v72, s7
	v_cndmask_b32_e64 v87, v87, v97, s7
	;; [unrolled: 5-line block ×3, first 2 shown]
	v_cndmask_b32_e64 v88, v88, v70, s11
	v_cndmask_b32_e64 v89, v89, v97, s8
	v_cmp_eq_u32_e64 s19, 3, v78
	v_cndmask_b32_e64 v81, v81, v95, s10
	v_cndmask_b32_e64 v87, v87, v98, s10
	;; [unrolled: 1-line block ×4, first 2 shown]
	v_cmp_eq_u32_e64 s20, 4, v78
	v_cndmask_b32_e64 v81, v81, v71, s12
	v_cndmask_b32_e64 v87, v87, v86, s12
	;; [unrolled: 1-line block ×3, first 2 shown]
	v_cmp_eq_u32_e64 s22, 5, v78
	v_cmp_eq_u32_e64 s24, 6, v78
	v_cndmask_b32_e64 v100, v81, v96, s15
	v_cndmask_b32_e64 v101, v87, v99, s15
	;; [unrolled: 1-line block ×6, first 2 shown]
	v_cmp_eq_u32_e64 s27, 7, v78
	v_cndmask_b32_e64 v89, v81, v72, s19
	v_cndmask_b32_e64 v87, v87, v84, s17
	v_or_b32_e32 v81, 3, v79
	v_cndmask_b32_e64 v103, v88, v86, s16
	s_delay_alu instid0(VALU_DEP_4) | instskip(NEXT) | instid1(VALU_DEP_4)
	v_cndmask_b32_e64 v92, v89, v70, s20
	v_cndmask_b32_e64 v93, v87, v97, s19
	s_delay_alu instid0(VALU_DEP_4)
	v_cmp_eq_u32_e64 s21, 1, v81
	ds_load_b128 v[87:90], v82 offset:1024
	v_cmp_eq_u32_e64 s23, 2, v81
	v_cndmask_b32_e64 v104, v92, v95, s22
	v_cmp_eq_u32_e64 s25, 3, v81
	v_cndmask_b32_e64 v65, v68, v65, s21
	v_cndmask_b32_e64 v68, v93, v85, s20
	;; [unrolled: 1-line block ×3, first 2 shown]
	ds_load_b128 v[91:94], v82 offset:1040
	v_cmp_eq_u32_e64 s26, 4, v81
	v_cndmask_b32_e64 v65, v65, v69, s23
	v_cmp_eq_u32_e64 s28, 5, v81
	v_cndmask_b32_e64 v69, v83, v84, s23
	v_cmp_eq_u32_e64 s29, 6, v81
	v_cndmask_b32_e64 v68, v68, v98, s22
	v_cndmask_b32_e64 v65, v65, v72, s25
	v_cndmask_b32_e64 v72, v104, v71, s24
	;; [unrolled: 1-line block ×6, first 2 shown]
	s_waitcnt lgkmcnt(1)
	v_lshrrev_b32_e32 v84, 16, v87
	v_cndmask_b32_e64 v69, v69, v85, s26
	v_cndmask_b32_e64 v70, v72, v96, s27
	;; [unrolled: 1-line block ×4, first 2 shown]
	v_cndmask_b32_e32 v72, v87, v84, vcc_lo
	v_cndmask_b32_e64 v69, v69, v98, s28
	s_waitcnt lgkmcnt(0)
	v_lshrrev_b32_e32 v85, 16, v91
	v_lshrrev_b32_e32 v95, 16, v88
	v_cndmask_b32_e64 v97, v87, v84, s3
	v_cndmask_b32_e64 v72, v72, v88, s4
	v_cndmask_b32_e64 v65, v65, v71, s29
	v_cndmask_b32_e32 v98, v91, v85, vcc_lo
	v_cmp_eq_u32_e32 vcc_lo, 7, v81
	v_cndmask_b32_e64 v69, v69, v86, s29
	v_cndmask_b32_e64 v71, v72, v95, s7
	;; [unrolled: 1-line block ×3, first 2 shown]
	v_lshrrev_b32_e32 v97, 16, v92
	v_cndmask_b32_e32 v65, v65, v96, vcc_lo
	v_cndmask_b32_e64 v86, v98, v92, s4
	v_cndmask_b32_e32 v69, v69, v99, vcc_lo
	v_lshrrev_b32_e32 v99, 16, v93
	v_cndmask_b32_e64 v71, v71, v89, s9
	v_lshrrev_b32_e32 v98, 16, v89
	v_cndmask_b32_e64 v86, v86, v97, s7
	v_perm_b32 v70, v68, v70, 0x5040100
	v_cndmask_b32_e64 v72, v72, v95, s8
	s_delay_alu instid0(VALU_DEP_4) | instskip(NEXT) | instid1(VALU_DEP_4)
	v_cndmask_b32_e64 v96, v71, v98, s10
	v_cndmask_b32_e64 v86, v86, v93, s9
	v_perm_b32 v71, v69, v65, 0x5040100
	v_perm_b32 v69, v83, v102, 0x5040100
	v_cndmask_b32_e64 v102, v91, v85, s5
	v_cndmask_b32_e64 v72, v72, v89, s11
	;; [unrolled: 1-line block ×3, first 2 shown]
	v_lshrrev_b32_e32 v83, 16, v94
	s_delay_alu instid0(VALU_DEP_3) | instskip(NEXT) | instid1(VALU_DEP_3)
	v_cndmask_b32_e64 v65, v72, v98, s13
	v_cndmask_b32_e64 v68, v86, v94, s12
	;; [unrolled: 1-line block ×27, first 2 shown]
	v_lshrrev_b32_e32 v96, 16, v90
	v_cndmask_b32_e64 v65, v65, v90, s16
	v_cndmask_b32_e64 v86, v86, v90, s24
	;; [unrolled: 1-line block ×9, first 2 shown]
	v_cndmask_b32_e32 v84, v84, v96, vcc_lo
	v_cndmask_b32_e32 v86, v87, v83, vcc_lo
	v_cndmask_b32_e64 v87, v88, v83, s27
	v_cndmask_b32_e64 v88, v85, v83, s18
	;; [unrolled: 1-line block ×3, first 2 shown]
	v_perm_b32 v68, v101, v100, 0x5040100
	v_perm_b32 v86, v86, v84, 0x5040100
	;; [unrolled: 1-line block ×5, first 2 shown]
	s_lshl_b32 s8, s35, 4
	s_mov_b32 s3, exec_lo
	ds_store_b128 v77, v[68:71]
	ds_store_b128 v77, v[83:86] offset:1024
	v_cmpx_gt_u32_e32 16, v0
	s_cbranch_execz .LBB1421_78
; %bb.77:
	v_or_b32_e32 v65, s31, v0
	s_load_b128 s[4:7], s[0:1], 0x58
	s_delay_alu instid0(VALU_DEP_1) | instskip(NEXT) | instid1(VALU_DEP_1)
	v_mad_u64_u32 v[68:69], null, s8, s30, v[65:66]
	v_mad_u64_u32 v[69:70], null, v68, s34, s[14:15]
	s_delay_alu instid0(VALU_DEP_1) | instskip(NEXT) | instid1(VALU_DEP_1)
	v_ashrrev_i32_e32 v70, 31, v69
	v_lshlrev_b64 v[68:69], 2, v[69:70]
	s_waitcnt lgkmcnt(0)
	s_delay_alu instid0(VALU_DEP_1) | instskip(NEXT) | instid1(VALU_DEP_2)
	v_add_co_u32 v70, vcc_lo, s6, v68
	v_add_co_ci_u32_e32 v71, vcc_lo, s7, v69, vcc_lo
	v_add_co_u32 v68, vcc_lo, s4, v68
	v_add_co_ci_u32_e32 v69, vcc_lo, s5, v69, vcc_lo
	global_store_b32 v[70:71], v66, off
	global_store_b32 v[68:69], v67, off
.LBB1421_78:
	s_or_b32 exec_lo, exec_lo, s3
	s_waitcnt lgkmcnt(0)
	s_waitcnt_vscnt null, 0x0
	s_barrier
	buffer_gl0_inv
	ds_load_b128 v[83:86], v76
	ds_load_b128 v[87:90], v76 offset:16
	ds_load_b128 v[95:98], v76 offset:2064
	ds_load_b128 v[91:94], v76 offset:2048
	v_mov_b32_e32 v65, 0
	ds_load_b128 v[103:106], v76 offset:4112
	ds_load_b128 v[99:102], v76 offset:4096
	;; [unrolled: 1-line block ×4, first 2 shown]
	v_mov_b32_e32 v66, v65
	v_mov_b32_e32 v67, v65
	;; [unrolled: 1-line block ×7, first 2 shown]
	s_waitcnt lgkmcnt(6)
	s_delay_alu instid0(VALU_DEP_1)
	v_wmma_f32_16x16x16_bf16 v[65:72], v[57:64], v[83:90], v[65:72]
	ds_load_b128 v[61:64], v76 offset:8208
	ds_load_b128 v[57:60], v76 offset:8192
	s_waitcnt lgkmcnt(6)
	v_wmma_f32_16x16x16_bf16 v[65:72], v[41:48], v[91:98], v[65:72]
	ds_load_b128 v[45:48], v76 offset:10256
	ds_load_b128 v[41:44], v76 offset:10240
	s_waitcnt lgkmcnt(6)
	v_wmma_f32_16x16x16_bf16 v[65:72], v[33:40], v[99:106], v[65:72]
	ds_load_b128 v[37:40], v76 offset:12304
	ds_load_b128 v[33:36], v76 offset:12288
	s_waitcnt lgkmcnt(6)
	v_wmma_f32_16x16x16_bf16 v[65:72], v[25:32], v[107:114], v[65:72]
	ds_load_b128 v[29:32], v76 offset:14352
	ds_load_b128 v[25:28], v76 offset:14336
	s_waitcnt lgkmcnt(6)
	v_wmma_f32_16x16x16_bf16 v[65:72], v[1:8], v[57:64], v[65:72]
	s_waitcnt lgkmcnt(4)
	s_delay_alu instid0(VALU_DEP_1) | instskip(SKIP_1) | instid1(VALU_DEP_1)
	v_wmma_f32_16x16x16_bf16 v[65:72], v[9:16], v[41:48], v[65:72]
	s_waitcnt lgkmcnt(2)
	v_wmma_f32_16x16x16_bf16 v[65:72], v[17:24], v[33:40], v[65:72]
	s_waitcnt lgkmcnt(0)
	s_delay_alu instid0(VALU_DEP_1) | instskip(NEXT) | instid1(VALU_DEP_1)
	v_wmma_f32_16x16x16_bf16 v[65:72], v[49:56], v[25:32], v[65:72]
	v_and_b32_e32 v1, 0x7f800000, v65
	s_delay_alu instid0(VALU_DEP_1) | instskip(SKIP_1) | instid1(SALU_CYCLE_1)
	v_cmp_ne_u32_e32 vcc_lo, 0x7f800000, v1
                                        ; implicit-def: $vgpr1
	s_and_saveexec_b32 s3, vcc_lo
	s_xor_b32 s3, exec_lo, s3
; %bb.79:
	v_bfe_u32 v1, v65, 16, 1
	s_delay_alu instid0(VALU_DEP_1)
	v_add3_u32 v1, v65, v1, 0x7fff
; %bb.80:
	s_and_not1_saveexec_b32 s3, s3
; %bb.81:
	v_and_b32_e32 v1, 0xffff, v65
	v_or_b32_e32 v2, 0x10000, v65
	s_delay_alu instid0(VALU_DEP_2) | instskip(NEXT) | instid1(VALU_DEP_2)
	v_cmp_eq_u32_e32 vcc_lo, 0, v1
	v_cndmask_b32_e32 v1, v2, v65, vcc_lo
; %bb.82:
	s_or_b32 exec_lo, exec_lo, s3
	v_and_b32_e32 v2, 0x7f800000, v66
	s_delay_alu instid0(VALU_DEP_1) | instskip(SKIP_1) | instid1(SALU_CYCLE_1)
	v_cmp_ne_u32_e32 vcc_lo, 0x7f800000, v2
                                        ; implicit-def: $vgpr2
	s_and_saveexec_b32 s3, vcc_lo
	s_xor_b32 s3, exec_lo, s3
; %bb.83:
	v_bfe_u32 v2, v66, 16, 1
	s_delay_alu instid0(VALU_DEP_1)
	v_add3_u32 v2, v66, v2, 0x7fff
; %bb.84:
	s_and_not1_saveexec_b32 s3, s3
; %bb.85:
	v_and_b32_e32 v2, 0xffff, v66
	v_or_b32_e32 v3, 0x10000, v66
	s_delay_alu instid0(VALU_DEP_2) | instskip(NEXT) | instid1(VALU_DEP_2)
	v_cmp_eq_u32_e32 vcc_lo, 0, v2
	v_cndmask_b32_e32 v2, v3, v66, vcc_lo
; %bb.86:
	s_or_b32 exec_lo, exec_lo, s3
	v_and_b32_e32 v3, 0x7f800000, v67
	s_delay_alu instid0(VALU_DEP_1) | instskip(SKIP_1) | instid1(SALU_CYCLE_1)
	v_cmp_ne_u32_e32 vcc_lo, 0x7f800000, v3
                                        ; implicit-def: $vgpr3
	s_and_saveexec_b32 s3, vcc_lo
	s_xor_b32 s3, exec_lo, s3
; %bb.87:
	v_bfe_u32 v3, v67, 16, 1
	s_delay_alu instid0(VALU_DEP_1)
	v_add3_u32 v3, v67, v3, 0x7fff
; %bb.88:
	s_and_not1_saveexec_b32 s3, s3
; %bb.89:
	v_and_b32_e32 v3, 0xffff, v67
	v_or_b32_e32 v4, 0x10000, v67
	s_delay_alu instid0(VALU_DEP_2) | instskip(NEXT) | instid1(VALU_DEP_2)
	v_cmp_eq_u32_e32 vcc_lo, 0, v3
	v_cndmask_b32_e32 v3, v4, v67, vcc_lo
; %bb.90:
	s_or_b32 exec_lo, exec_lo, s3
	v_and_b32_e32 v4, 0x7f800000, v68
	s_delay_alu instid0(VALU_DEP_1) | instskip(SKIP_1) | instid1(SALU_CYCLE_1)
	v_cmp_ne_u32_e32 vcc_lo, 0x7f800000, v4
                                        ; implicit-def: $vgpr4
	s_and_saveexec_b32 s3, vcc_lo
	s_xor_b32 s3, exec_lo, s3
; %bb.91:
	v_bfe_u32 v4, v68, 16, 1
	s_delay_alu instid0(VALU_DEP_1)
	v_add3_u32 v4, v68, v4, 0x7fff
; %bb.92:
	s_and_not1_saveexec_b32 s3, s3
; %bb.93:
	v_and_b32_e32 v4, 0xffff, v68
	v_or_b32_e32 v5, 0x10000, v68
	s_delay_alu instid0(VALU_DEP_2) | instskip(NEXT) | instid1(VALU_DEP_2)
	v_cmp_eq_u32_e32 vcc_lo, 0, v4
	v_cndmask_b32_e32 v4, v5, v68, vcc_lo
; %bb.94:
	s_or_b32 exec_lo, exec_lo, s3
	v_and_b32_e32 v5, 0x7f800000, v69
	s_delay_alu instid0(VALU_DEP_1) | instskip(SKIP_1) | instid1(SALU_CYCLE_1)
	v_cmp_ne_u32_e32 vcc_lo, 0x7f800000, v5
                                        ; implicit-def: $vgpr5
	s_and_saveexec_b32 s3, vcc_lo
	s_xor_b32 s3, exec_lo, s3
; %bb.95:
	v_bfe_u32 v5, v69, 16, 1
	s_delay_alu instid0(VALU_DEP_1)
	v_add3_u32 v5, v69, v5, 0x7fff
; %bb.96:
	s_and_not1_saveexec_b32 s3, s3
; %bb.97:
	v_and_b32_e32 v5, 0xffff, v69
	v_or_b32_e32 v6, 0x10000, v69
	s_delay_alu instid0(VALU_DEP_2) | instskip(NEXT) | instid1(VALU_DEP_2)
	v_cmp_eq_u32_e32 vcc_lo, 0, v5
	v_cndmask_b32_e32 v5, v6, v69, vcc_lo
; %bb.98:
	s_or_b32 exec_lo, exec_lo, s3
	v_and_b32_e32 v6, 0x7f800000, v70
	s_delay_alu instid0(VALU_DEP_1) | instskip(SKIP_1) | instid1(SALU_CYCLE_1)
	v_cmp_ne_u32_e32 vcc_lo, 0x7f800000, v6
                                        ; implicit-def: $vgpr6
	s_and_saveexec_b32 s3, vcc_lo
	s_xor_b32 s3, exec_lo, s3
; %bb.99:
	v_bfe_u32 v6, v70, 16, 1
	s_delay_alu instid0(VALU_DEP_1)
	v_add3_u32 v6, v70, v6, 0x7fff
; %bb.100:
	s_and_not1_saveexec_b32 s3, s3
; %bb.101:
	v_and_b32_e32 v6, 0xffff, v70
	v_or_b32_e32 v7, 0x10000, v70
	s_delay_alu instid0(VALU_DEP_2) | instskip(NEXT) | instid1(VALU_DEP_2)
	v_cmp_eq_u32_e32 vcc_lo, 0, v6
	v_cndmask_b32_e32 v6, v7, v70, vcc_lo
; %bb.102:
	s_or_b32 exec_lo, exec_lo, s3
	v_and_b32_e32 v7, 0x7f800000, v71
	s_delay_alu instid0(VALU_DEP_1) | instskip(SKIP_1) | instid1(SALU_CYCLE_1)
	v_cmp_ne_u32_e32 vcc_lo, 0x7f800000, v7
                                        ; implicit-def: $vgpr7
	s_and_saveexec_b32 s3, vcc_lo
	s_xor_b32 s3, exec_lo, s3
; %bb.103:
	v_bfe_u32 v7, v71, 16, 1
	s_delay_alu instid0(VALU_DEP_1)
	v_add3_u32 v7, v71, v7, 0x7fff
; %bb.104:
	s_and_not1_saveexec_b32 s3, s3
; %bb.105:
	v_and_b32_e32 v7, 0xffff, v71
	v_or_b32_e32 v8, 0x10000, v71
	s_delay_alu instid0(VALU_DEP_2) | instskip(NEXT) | instid1(VALU_DEP_2)
	v_cmp_eq_u32_e32 vcc_lo, 0, v7
	v_cndmask_b32_e32 v7, v8, v71, vcc_lo
; %bb.106:
	s_or_b32 exec_lo, exec_lo, s3
	v_and_b32_e32 v8, 0x7f800000, v72
	s_delay_alu instid0(VALU_DEP_1) | instskip(SKIP_1) | instid1(SALU_CYCLE_1)
	v_cmp_ne_u32_e32 vcc_lo, 0x7f800000, v8
                                        ; implicit-def: $vgpr8
	s_and_saveexec_b32 s3, vcc_lo
	s_xor_b32 s3, exec_lo, s3
; %bb.107:
	v_bfe_u32 v8, v72, 16, 1
	s_delay_alu instid0(VALU_DEP_1)
	v_add3_u32 v8, v72, v8, 0x7fff
                                        ; implicit-def: $vgpr65_vgpr66_vgpr67_vgpr68_vgpr69_vgpr70_vgpr71_vgpr72
; %bb.108:
	s_and_not1_saveexec_b32 s3, s3
; %bb.109:
	v_and_b32_e32 v8, 0xffff, v72
	v_or_b32_e32 v9, 0x10000, v72
	s_delay_alu instid0(VALU_DEP_2) | instskip(NEXT) | instid1(VALU_DEP_2)
	v_cmp_eq_u32_e32 vcc_lo, 0, v8
	v_cndmask_b32_e32 v8, v9, v72, vcc_lo
; %bb.110:
	s_or_b32 exec_lo, exec_lo, s3
	s_delay_alu instid0(VALU_DEP_1)
	v_perm_b32 v7, v8, v7, 0x7060302
	v_perm_b32 v6, v6, v5, 0x7060302
	;; [unrolled: 1-line block ×4, first 2 shown]
	s_barrier
	buffer_gl0_inv
	v_cmp_eq_u32_e32 vcc_lo, 1, v79
	ds_store_b128 v77, v[4:7]
	s_waitcnt lgkmcnt(0)
	s_barrier
	buffer_gl0_inv
	ds_load_b128 v[1:4], v82
	ds_load_b128 v[5:8], v82 offset:16
	v_cmp_eq_u32_e64 s3, 1, v80
	v_cmp_eq_u32_e64 s4, 2, v79
	;; [unrolled: 1-line block ×5, first 2 shown]
	s_waitcnt lgkmcnt(1)
	v_lshrrev_b32_e32 v9, 16, v1
	s_waitcnt lgkmcnt(0)
	v_lshrrev_b32_e32 v13, 16, v5
	v_lshrrev_b32_e32 v10, 16, v2
	;; [unrolled: 1-line block ×4, first 2 shown]
	v_cndmask_b32_e64 v19, v1, v9, s3
	v_cndmask_b32_e32 v18, v5, v13, vcc_lo
	v_cndmask_b32_e64 v20, v5, v13, s3
	v_cndmask_b32_e32 v17, v1, v9, vcc_lo
	v_cmp_eq_u32_e32 vcc_lo, 2, v80
	v_lshrrev_b32_e32 v15, 16, v7
	v_cmp_eq_u32_e64 s3, 1, v78
	v_lshrrev_b32_e32 v12, 16, v4
	v_lshrrev_b32_e32 v16, 16, v8
	v_cndmask_b32_e32 v20, v20, v6, vcc_lo
	v_cndmask_b32_e64 v17, v17, v2, s4
	v_cndmask_b32_e32 v19, v19, v2, vcc_lo
	v_cndmask_b32_e64 v18, v18, v6, s4
	v_cmp_eq_u32_e32 vcc_lo, 4, v79
	v_cmp_eq_u32_e64 s4, 3, v80
	v_cndmask_b32_e64 v17, v17, v10, s5
	v_cndmask_b32_e64 v21, v1, v9, s3
	;; [unrolled: 1-line block ×5, first 2 shown]
	v_cndmask_b32_e32 v17, v17, v3, vcc_lo
	v_cndmask_b32_e64 v20, v20, v14, s4
	v_cndmask_b32_e32 v18, v18, v7, vcc_lo
	v_cmp_eq_u32_e32 vcc_lo, 4, v80
	v_cmp_eq_u32_e64 s4, 5, v80
	v_cmp_eq_u32_e64 s3, 2, v81
	v_cndmask_b32_e64 v21, v21, v2, s7
	v_cmp_eq_u32_e64 s5, 5, v79
	v_cndmask_b32_e32 v19, v19, v3, vcc_lo
	v_cndmask_b32_e32 v20, v20, v7, vcc_lo
	v_cmp_eq_u32_e32 vcc_lo, 6, v80
	s_delay_alu instid0(VALU_DEP_4) | instskip(NEXT) | instid1(VALU_DEP_4)
	v_cndmask_b32_e64 v17, v17, v11, s5
	v_cndmask_b32_e64 v19, v19, v11, s4
	s_delay_alu instid0(VALU_DEP_4) | instskip(SKIP_1) | instid1(VALU_DEP_3)
	v_cndmask_b32_e64 v20, v20, v15, s4
	v_cmp_eq_u32_e64 s4, 1, v81
	v_cndmask_b32_e32 v19, v19, v4, vcc_lo
	v_cndmask_b32_e64 v18, v18, v15, s5
	s_delay_alu instid0(VALU_DEP_3)
	v_cndmask_b32_e64 v1, v1, v9, s4
	v_cndmask_b32_e64 v5, v5, v13, s4
	v_cmp_eq_u32_e64 s4, 3, v78
	v_cndmask_b32_e64 v13, v22, v6, s7
	v_cmp_eq_u32_e64 s7, 3, v81
	v_cndmask_b32_e64 v1, v1, v2, s3
	v_cndmask_b32_e64 v2, v5, v6, s3
	;; [unrolled: 1-line block ×3, first 2 shown]
	v_cmp_eq_u32_e64 s3, 4, v78
	v_cndmask_b32_e64 v6, v13, v14, s4
	v_cndmask_b32_e64 v1, v1, v10, s7
	v_cmp_eq_u32_e64 s4, 4, v81
	v_cndmask_b32_e64 v2, v2, v14, s7
	v_cndmask_b32_e64 v5, v9, v3, s3
	;; [unrolled: 3-line block ×3, first 2 shown]
	v_cndmask_b32_e64 v2, v2, v7, s4
	v_cmp_eq_u32_e64 s3, 5, v81
	v_cmp_eq_u32_e64 s5, 6, v79
	v_cndmask_b32_e64 v5, v5, v11, s7
	v_cmp_eq_u32_e64 s4, 6, v78
	v_cndmask_b32_e64 v3, v6, v15, s7
	v_cndmask_b32_e64 v1, v1, v11, s3
	v_cmp_eq_u32_e64 s7, 6, v81
	v_cndmask_b32_e64 v2, v2, v15, s3
	v_cndmask_b32_e64 v17, v17, v4, s5
	v_cndmask_b32_e64 v18, v18, v8, s5
	v_cmp_eq_u32_e64 s5, 7, v79
	v_cndmask_b32_e64 v5, v5, v4, s4
	;; [unrolled: 4-line block ×3, first 2 shown]
	v_cmp_eq_u32_e64 s4, 7, v78
	v_cndmask_b32_e32 v4, v20, v8, vcc_lo
	v_cndmask_b32_e64 v17, v17, v12, s5
	v_cndmask_b32_e64 v19, v19, v12, s6
	v_cndmask_b32_e64 v1, v1, v12, s3
	v_cndmask_b32_e64 v5, v5, v12, s4
	v_cndmask_b32_e64 v2, v2, v16, s3
	v_cndmask_b32_e64 v3, v3, v16, s4
	v_cndmask_b32_e64 v6, v4, v16, s6
	v_cndmask_b32_e64 v7, v18, v16, s5
	v_cmp_gt_u32_e32 vcc_lo, 32, v0
	v_perm_b32 v4, v2, v1, 0x5040100
	v_perm_b32 v3, v3, v5, 0x5040100
	;; [unrolled: 1-line block ×4, first 2 shown]
	s_and_b32 s2, vcc_lo, s2
	ds_store_b128 v77, v[1:4]
	s_waitcnt lgkmcnt(0)
	s_barrier
	buffer_gl0_inv
	s_and_saveexec_b32 s3, s2
	s_cbranch_execz .LBB1421_2
; %bb.111:
	s_load_b64 s[0:1], s[0:1], 0x68
	v_lshlrev_b32_e32 v0, 10, v0
	s_lshl_b32 s4, s34, 6
	v_or_b32_e32 v23, s31, v74
	s_mul_i32 s2, s4, s30
	v_lshlrev_b32_e32 v1, 4, v75
	v_lshlrev_b32_e32 v2, 6, v74
	s_mul_i32 s2, s2, s8
	v_and_b32_e32 v0, 0x3800, v0
	v_mul_lo_u32 v8, v23, s4
	s_ashr_i32 s3, s2, 31
	v_or_b32_e32 v3, 2, v23
	s_lshl_b64 s[2:3], s[2:3], 1
	v_or3_b32 v27, v0, v1, v2
	v_or_b32_e32 v11, 4, v23
	v_or_b32_e32 v18, 6, v23
	v_mul_lo_u32 v10, v3, s4
	v_ashrrev_i32_e32 v9, 31, v8
	ds_load_b128 v[0:3], v27
	ds_load_b128 v[4:7], v27 offset:128
	v_mul_lo_u32 v12, v11, s4
	s_waitcnt lgkmcnt(0)
	s_add_u32 s2, s0, s2
	s_addc_u32 s3, s1, s3
	s_lshl_b32 s0, s14, 6
	v_lshlrev_b64 v[8:9], 1, v[8:9]
	s_ashr_i32 s1, s0, 31
	v_ashrrev_i32_e32 v11, 31, v10
	s_lshl_b64 s[0:1], s[0:1], 1
	v_ashrrev_i32_e32 v13, 31, v12
	s_add_u32 s0, s2, s0
	s_addc_u32 s1, s3, s1
	v_add_co_u32 v30, s0, s0, v73
	s_delay_alu instid0(VALU_DEP_1) | instskip(SKIP_1) | instid1(VALU_DEP_3)
	v_add_co_ci_u32_e64 v31, null, s1, 0, s0
	v_lshlrev_b64 v[16:17], 1, v[10:11]
	v_add_co_u32 v14, vcc_lo, v30, v8
	s_delay_alu instid0(VALU_DEP_3)
	v_add_co_ci_u32_e32 v15, vcc_lo, v31, v9, vcc_lo
	ds_load_b128 v[8:11], v27 offset:256
	v_mul_lo_u32 v18, v18, s4
	v_or_b32_e32 v19, 8, v23
	v_add_co_u32 v16, vcc_lo, v30, v16
	global_store_b128 v[14:15], v[0:3], off
	v_lshlrev_b64 v[0:1], 1, v[12:13]
	v_add_co_ci_u32_e32 v17, vcc_lo, v31, v17, vcc_lo
	v_mul_lo_u32 v12, v19, s4
	v_ashrrev_i32_e32 v19, 31, v18
	v_or_b32_e32 v14, 10, v23
	global_store_b128 v[16:17], v[4:7], off
	v_add_co_u32 v4, vcc_lo, v30, v0
	v_add_co_ci_u32_e32 v5, vcc_lo, v31, v1, vcc_lo
	ds_load_b128 v[0:3], v27 offset:384
	v_ashrrev_i32_e32 v13, 31, v12
	v_lshlrev_b64 v[6:7], 1, v[18:19]
	v_mul_lo_u32 v14, v14, s4
	s_waitcnt lgkmcnt(1)
	global_store_b128 v[4:5], v[8:11], off
	v_or_b32_e32 v8, 12, v23
	v_lshlrev_b64 v[4:5], 1, v[12:13]
	v_add_co_u32 v20, vcc_lo, v30, v6
	v_or_b32_e32 v6, 14, v23
	v_ashrrev_i32_e32 v15, 31, v14
	v_mul_lo_u32 v22, v8, s4
	v_add_co_ci_u32_e32 v21, vcc_lo, v31, v7, vcc_lo
	v_add_co_u32 v24, vcc_lo, v30, v4
	v_mul_lo_u32 v26, v6, s4
	v_add_co_ci_u32_e32 v25, vcc_lo, v31, v5, vcc_lo
	v_lshlrev_b64 v[28:29], 1, v[14:15]
	ds_load_b128 v[4:7], v27 offset:512
	ds_load_b128 v[8:11], v27 offset:640
	;; [unrolled: 1-line block ×4, first 2 shown]
	v_ashrrev_i32_e32 v23, 31, v22
	v_ashrrev_i32_e32 v27, 31, v26
	v_add_co_u32 v28, vcc_lo, v30, v28
	s_delay_alu instid0(VALU_DEP_3) | instskip(SKIP_1) | instid1(VALU_DEP_4)
	v_lshlrev_b64 v[22:23], 1, v[22:23]
	v_add_co_ci_u32_e32 v29, vcc_lo, v31, v29, vcc_lo
	v_lshlrev_b64 v[26:27], 1, v[26:27]
	s_delay_alu instid0(VALU_DEP_3) | instskip(NEXT) | instid1(VALU_DEP_4)
	v_add_co_u32 v22, vcc_lo, v30, v22
	v_add_co_ci_u32_e32 v23, vcc_lo, v31, v23, vcc_lo
	s_delay_alu instid0(VALU_DEP_3) | instskip(NEXT) | instid1(VALU_DEP_4)
	v_add_co_u32 v26, vcc_lo, v30, v26
	v_add_co_ci_u32_e32 v27, vcc_lo, v31, v27, vcc_lo
	s_waitcnt lgkmcnt(4)
	global_store_b128 v[20:21], v[0:3], off
	s_waitcnt lgkmcnt(3)
	global_store_b128 v[24:25], v[4:7], off
	;; [unrolled: 2-line block ×5, first 2 shown]
	s_nop 0
	s_sendmsg sendmsg(MSG_DEALLOC_VGPRS)
	s_endpgm
	.section	.rodata,"a",@progbits
	.p2align	6, 0x0
	.amdhsa_kernel _Z39paged_attention_ll4mi_QKV_mfma16_kernelI14__hip_bfloat16hLN4vllm18Fp8KVCacheDataTypeE1ES0_Li16ELi64ELi256ELb0ELi16EL8MFMAType1EEvPKT_PKT0_S9_ifPKiSB_SB_iPKfiiiPfSE_PS4_PT2_iSD_SD_
		.amdhsa_group_segment_fixed_size 17472
		.amdhsa_private_segment_fixed_size 0
		.amdhsa_kernarg_size 400
		.amdhsa_user_sgpr_count 13
		.amdhsa_user_sgpr_dispatch_ptr 0
		.amdhsa_user_sgpr_queue_ptr 0
		.amdhsa_user_sgpr_kernarg_segment_ptr 1
		.amdhsa_user_sgpr_dispatch_id 0
		.amdhsa_user_sgpr_private_segment_size 0
		.amdhsa_wavefront_size32 1
		.amdhsa_uses_dynamic_stack 0
		.amdhsa_enable_private_segment 0
		.amdhsa_system_sgpr_workgroup_id_x 1
		.amdhsa_system_sgpr_workgroup_id_y 1
		.amdhsa_system_sgpr_workgroup_id_z 1
		.amdhsa_system_sgpr_workgroup_info 0
		.amdhsa_system_vgpr_workitem_id 0
		.amdhsa_next_free_vgpr 125
		.amdhsa_next_free_sgpr 38
		.amdhsa_reserve_vcc 1
		.amdhsa_float_round_mode_32 0
		.amdhsa_float_round_mode_16_64 0
		.amdhsa_float_denorm_mode_32 3
		.amdhsa_float_denorm_mode_16_64 3
		.amdhsa_dx10_clamp 1
		.amdhsa_ieee_mode 1
		.amdhsa_fp16_overflow 0
		.amdhsa_workgroup_processor_mode 1
		.amdhsa_memory_ordered 1
		.amdhsa_forward_progress 0
		.amdhsa_shared_vgpr_count 0
		.amdhsa_exception_fp_ieee_invalid_op 0
		.amdhsa_exception_fp_denorm_src 0
		.amdhsa_exception_fp_ieee_div_zero 0
		.amdhsa_exception_fp_ieee_overflow 0
		.amdhsa_exception_fp_ieee_underflow 0
		.amdhsa_exception_fp_ieee_inexact 0
		.amdhsa_exception_int_div_zero 0
	.end_amdhsa_kernel
	.section	.text._Z39paged_attention_ll4mi_QKV_mfma16_kernelI14__hip_bfloat16hLN4vllm18Fp8KVCacheDataTypeE1ES0_Li16ELi64ELi256ELb0ELi16EL8MFMAType1EEvPKT_PKT0_S9_ifPKiSB_SB_iPKfiiiPfSE_PS4_PT2_iSD_SD_,"axG",@progbits,_Z39paged_attention_ll4mi_QKV_mfma16_kernelI14__hip_bfloat16hLN4vllm18Fp8KVCacheDataTypeE1ES0_Li16ELi64ELi256ELb0ELi16EL8MFMAType1EEvPKT_PKT0_S9_ifPKiSB_SB_iPKfiiiPfSE_PS4_PT2_iSD_SD_,comdat
.Lfunc_end1421:
	.size	_Z39paged_attention_ll4mi_QKV_mfma16_kernelI14__hip_bfloat16hLN4vllm18Fp8KVCacheDataTypeE1ES0_Li16ELi64ELi256ELb0ELi16EL8MFMAType1EEvPKT_PKT0_S9_ifPKiSB_SB_iPKfiiiPfSE_PS4_PT2_iSD_SD_, .Lfunc_end1421-_Z39paged_attention_ll4mi_QKV_mfma16_kernelI14__hip_bfloat16hLN4vllm18Fp8KVCacheDataTypeE1ES0_Li16ELi64ELi256ELb0ELi16EL8MFMAType1EEvPKT_PKT0_S9_ifPKiSB_SB_iPKfiiiPfSE_PS4_PT2_iSD_SD_
                                        ; -- End function
	.section	.AMDGPU.csdata,"",@progbits
; Kernel info:
; codeLenInByte = 8912
; NumSgprs: 40
; NumVgprs: 125
; ScratchSize: 0
; MemoryBound: 0
; FloatMode: 240
; IeeeMode: 1
; LDSByteSize: 17472 bytes/workgroup (compile time only)
; SGPRBlocks: 4
; VGPRBlocks: 15
; NumSGPRsForWavesPerEU: 40
; NumVGPRsForWavesPerEU: 125
; Occupancy: 10
; WaveLimiterHint : 1
; COMPUTE_PGM_RSRC2:SCRATCH_EN: 0
; COMPUTE_PGM_RSRC2:USER_SGPR: 13
; COMPUTE_PGM_RSRC2:TRAP_HANDLER: 0
; COMPUTE_PGM_RSRC2:TGID_X_EN: 1
; COMPUTE_PGM_RSRC2:TGID_Y_EN: 1
; COMPUTE_PGM_RSRC2:TGID_Z_EN: 1
; COMPUTE_PGM_RSRC2:TIDIG_COMP_CNT: 0
	.section	.text._Z39paged_attention_ll4mi_QKV_mfma16_kernelI14__hip_bfloat16hLN4vllm18Fp8KVCacheDataTypeE1ES0_Li16ELi64ELi256ELb0ELi1EL8MFMAType1EEvPKT_PKT0_S9_ifPKiSB_SB_iPKfiiiPfSE_PS4_PT2_iSD_SD_,"axG",@progbits,_Z39paged_attention_ll4mi_QKV_mfma16_kernelI14__hip_bfloat16hLN4vllm18Fp8KVCacheDataTypeE1ES0_Li16ELi64ELi256ELb0ELi1EL8MFMAType1EEvPKT_PKT0_S9_ifPKiSB_SB_iPKfiiiPfSE_PS4_PT2_iSD_SD_,comdat
	.protected	_Z39paged_attention_ll4mi_QKV_mfma16_kernelI14__hip_bfloat16hLN4vllm18Fp8KVCacheDataTypeE1ES0_Li16ELi64ELi256ELb0ELi1EL8MFMAType1EEvPKT_PKT0_S9_ifPKiSB_SB_iPKfiiiPfSE_PS4_PT2_iSD_SD_ ; -- Begin function _Z39paged_attention_ll4mi_QKV_mfma16_kernelI14__hip_bfloat16hLN4vllm18Fp8KVCacheDataTypeE1ES0_Li16ELi64ELi256ELb0ELi1EL8MFMAType1EEvPKT_PKT0_S9_ifPKiSB_SB_iPKfiiiPfSE_PS4_PT2_iSD_SD_
	.globl	_Z39paged_attention_ll4mi_QKV_mfma16_kernelI14__hip_bfloat16hLN4vllm18Fp8KVCacheDataTypeE1ES0_Li16ELi64ELi256ELb0ELi1EL8MFMAType1EEvPKT_PKT0_S9_ifPKiSB_SB_iPKfiiiPfSE_PS4_PT2_iSD_SD_
	.p2align	8
	.type	_Z39paged_attention_ll4mi_QKV_mfma16_kernelI14__hip_bfloat16hLN4vllm18Fp8KVCacheDataTypeE1ES0_Li16ELi64ELi256ELb0ELi1EL8MFMAType1EEvPKT_PKT0_S9_ifPKiSB_SB_iPKfiiiPfSE_PS4_PT2_iSD_SD_,@function
_Z39paged_attention_ll4mi_QKV_mfma16_kernelI14__hip_bfloat16hLN4vllm18Fp8KVCacheDataTypeE1ES0_Li16ELi64ELi256ELb0ELi1EL8MFMAType1EEvPKT_PKT0_S9_ifPKiSB_SB_iPKfiiiPfSE_PS4_PT2_iSD_SD_: ; @_Z39paged_attention_ll4mi_QKV_mfma16_kernelI14__hip_bfloat16hLN4vllm18Fp8KVCacheDataTypeE1ES0_Li16ELi64ELi256ELb0ELi1EL8MFMAType1EEvPKT_PKT0_S9_ifPKiSB_SB_iPKfiiiPfSE_PS4_PT2_iSD_SD_
; %bb.0:
	s_load_b64 s[4:5], s[0:1], 0x30
	s_mov_b32 s34, s13
	s_waitcnt lgkmcnt(0)
	s_cmp_lg_u64 s[4:5], 0
	s_cselect_b32 s6, -1, 0
	s_ashr_i32 s35, s13, 31
	s_cmp_eq_u64 s[4:5], 0
	s_cbranch_scc1 .LBB1422_3
; %bb.1:
	s_lshl_b64 s[2:3], s[34:35], 2
	s_delay_alu instid0(SALU_CYCLE_1) | instskip(SKIP_4) | instid1(SALU_CYCLE_1)
	s_add_u32 s2, s4, s2
	s_addc_u32 s3, s5, s3
	s_load_b64 s[2:3], s[2:3], 0x0
	s_waitcnt lgkmcnt(0)
	s_sub_i32 s2, s3, s2
	s_cmp_eq_u32 s2, 1
	s_cselect_b32 s2, -1, 0
	s_delay_alu instid0(SALU_CYCLE_1)
	s_and_not1_b32 vcc_lo, exec_lo, s2
	s_cbranch_vccz .LBB1422_4
.LBB1422_2:
	s_endpgm
.LBB1422_3:
.LBB1422_4:
	s_load_b64 s[2:3], s[0:1], 0x28
	s_lshl_b64 s[8:9], s[34:35], 2
	s_waitcnt lgkmcnt(0)
	s_add_u32 s2, s2, s8
	s_addc_u32 s3, s3, s9
	s_lshl_b32 s12, s14, 8
	s_load_b32 s33, s[2:3], 0x0
	s_waitcnt lgkmcnt(0)
	s_cmp_ge_i32 s12, s33
	s_cbranch_scc1 .LBB1422_2
; %bb.5:
	s_clause 0x1
	s_load_b128 s[28:31], s[0:1], 0x8
	s_load_b64 s[2:3], s[0:1], 0x20
	s_and_not1_b32 vcc_lo, exec_lo, s6
	s_mov_b64 s[6:7], s[34:35]
	s_cbranch_vccnz .LBB1422_7
; %bb.6:
	s_add_u32 s4, s4, s8
	s_addc_u32 s5, s5, s9
	s_load_b32 s6, s[4:5], 0x0
.LBB1422_7:
	s_load_b128 s[24:27], s[0:1], 0x48
	v_and_b32_e32 v73, 15, v0
	s_mov_b32 s13, exec_lo
                                        ; implicit-def: $sgpr16
                                        ; implicit-def: $sgpr4
	s_delay_alu instid0(VALU_DEP_1)
	v_cmpx_eq_u32_e32 0, v73
	s_cbranch_execz .LBB1422_9
; %bb.8:
	s_load_b64 s[4:5], s[0:1], 0x0
	s_waitcnt lgkmcnt(0)
	s_mul_hi_i32 s7, s6, s24
	s_mul_i32 s6, s6, s24
	s_delay_alu instid0(SALU_CYCLE_1) | instskip(NEXT) | instid1(SALU_CYCLE_1)
	s_lshl_b64 s[6:7], s[6:7], 1
	s_add_u32 s6, s4, s6
	s_addc_u32 s7, s5, s7
	s_lshl_b32 s4, s15, 6
	s_delay_alu instid0(SALU_CYCLE_1) | instskip(NEXT) | instid1(SALU_CYCLE_1)
	s_ashr_i32 s5, s4, 31
	s_lshl_b64 s[4:5], s[4:5], 1
	s_delay_alu instid0(SALU_CYCLE_1)
	s_add_u32 s4, s6, s4
	s_addc_u32 s5, s7, s5
	s_clause 0x1
	s_load_b256 s[16:23], s[4:5], 0x0
	s_load_b256 s[4:11], s[4:5], 0x40
.LBB1422_9:
	s_or_b32 exec_lo, exec_lo, s13
	s_waitcnt lgkmcnt(0)
	v_dual_mov_b32 v114, s23 :: v_dual_and_b32 v1, 0xef, v0
	s_add_i32 s13, s33, 15
	s_load_b32 s27, s[0:1], 0x38
	s_ashr_i32 s24, s13, 31
	s_delay_alu instid0(VALU_DEP_1) | instskip(SKIP_3) | instid1(VALU_DEP_2)
	v_dual_mov_b32 v112, s21 :: v_dual_add_nc_u32 v1, s12, v1
	s_lshr_b32 s24, s24, 28
	v_lshrrev_b32_e32 v65, 5, v0
	s_add_i32 s13, s13, s24
	v_ashrrev_i32_e32 v2, 31, v1
	v_or_b32_e32 v3, 16, v1
	s_ashr_i32 s13, s13, 4
	v_cmp_gt_i32_e32 vcc_lo, s33, v1
	s_add_i32 s13, s13, -1
	v_lshrrev_b32_e32 v2, 28, v2
	s_load_b32 s24, s[0:1], 0x1c
	v_mbcnt_lo_u32_b32 v67, -1, 0
	v_dual_mov_b32 v113, s22 :: v_dual_lshlrev_b32 v74, 4, v73
	s_delay_alu instid0(VALU_DEP_3) | instskip(SKIP_1) | instid1(VALU_DEP_4)
	v_add_nc_u32_e32 v4, v1, v2
	v_mov_b32_e32 v110, s19
	v_xor_b32_e32 v68, 16, v67
	s_waitcnt lgkmcnt(0)
	s_mul_i32 s36, s34, s27
	v_mov_b32_e32 v108, s17
	v_ashrrev_i32_e32 v4, 4, v4
	v_add_nc_u32_e32 v2, v3, v2
	s_ashr_i32 s37, s36, 31
	v_and_b32_e32 v66, 0xe0, v0
	s_lshl_b64 s[36:37], s[36:37], 2
	v_cndmask_b32_e32 v1, s13, v4, vcc_lo
	v_ashrrev_i32_e32 v2, 4, v2
	v_cmp_gt_i32_e32 vcc_lo, s33, v3
	s_add_u32 s36, s2, s36
	s_addc_u32 s35, s3, s37
	s_mul_i32 s37, s15, s26
	v_add_nc_u32_e32 v66, s12, v66
	v_cndmask_b32_e32 v3, s13, v2, vcc_lo
	v_ashrrev_i32_e32 v2, 31, v1
	s_ashr_i32 s38, s37, 31
	s_add_u32 s39, s28, s37
	s_addc_u32 s46, s29, s38
	v_ashrrev_i32_e32 v4, 31, v3
	v_lshlrev_b64 v[1:2], 2, v[1:2]
	s_lshl_b32 s2, s14, 4
	s_delay_alu instid0(SALU_CYCLE_1) | instskip(NEXT) | instid1(VALU_DEP_2)
	s_ashr_i32 s3, s2, 31
	v_lshlrev_b64 v[3:4], 2, v[3:4]
	s_lshl_b64 s[2:3], s[2:3], 2
	s_delay_alu instid0(VALU_DEP_2) | instskip(SKIP_1) | instid1(VALU_DEP_3)
	v_add_co_u32 v1, vcc_lo, s36, v1
	v_add_co_ci_u32_e32 v2, vcc_lo, s35, v2, vcc_lo
	v_add_co_u32 v3, vcc_lo, s36, v3
	s_delay_alu instid0(VALU_DEP_4)
	v_add_co_ci_u32_e32 v4, vcc_lo, s35, v4, vcc_lo
	s_clause 0x1
	global_load_b32 v5, v[1:2], off
	global_load_b32 v7, v[3:4], off
	s_add_u32 s2, s36, s2
	s_addc_u32 s3, s35, s3
	s_or_b32 s26, s12, 32
	v_lshlrev_b32_e32 v1, 4, v0
	s_ashr_i32 s27, s26, 4
	s_cmp_lt_i32 s26, s33
	v_cmp_gt_i32_e32 vcc_lo, 32, v68
	s_cselect_b32 s26, s27, s13
	v_and_b32_e32 v1, 0xf0, v1
	s_ashr_i32 s27, s26, 31
	s_delay_alu instid0(SALU_CYCLE_1) | instskip(NEXT) | instid1(SALU_CYCLE_1)
	s_lshl_b64 s[26:27], s[26:27], 2
	s_add_u32 s26, s36, s26
	s_addc_u32 s27, s35, s27
	s_or_b32 s28, s12, 64
	v_add_co_u32 v1, s39, s39, v1
	s_ashr_i32 s29, s28, 4
	s_cmp_lt_i32 s28, s33
	v_add_co_ci_u32_e64 v2, null, s46, 0, s39
	s_cselect_b32 s28, s29, s13
	s_delay_alu instid0(SALU_CYCLE_1) | instskip(NEXT) | instid1(SALU_CYCLE_1)
	s_ashr_i32 s29, s28, 31
	s_lshl_b64 s[28:29], s[28:29], 2
	s_delay_alu instid0(SALU_CYCLE_1) | instskip(SKIP_2) | instid1(SALU_CYCLE_1)
	s_add_u32 s40, s36, s28
	s_addc_u32 s41, s35, s29
	s_or_b32 s28, s12, 0x60
	s_ashr_i32 s29, s28, 4
	s_cmp_lt_i32 s28, s33
	s_cselect_b32 s28, s29, s13
	s_delay_alu instid0(SALU_CYCLE_1) | instskip(NEXT) | instid1(SALU_CYCLE_1)
	s_ashr_i32 s29, s28, 31
	s_lshl_b64 s[28:29], s[28:29], 2
	s_delay_alu instid0(SALU_CYCLE_1) | instskip(SKIP_2) | instid1(SALU_CYCLE_1)
	s_add_u32 s42, s36, s28
	s_addc_u32 s43, s35, s29
	s_or_b32 s28, s12, 0x80
	s_ashr_i32 s29, s28, 4
	s_cmp_lt_i32 s28, s33
	;; [unrolled: 10-line block ×3, first 2 shown]
	s_cselect_b32 s28, s29, s13
	s_delay_alu instid0(SALU_CYCLE_1) | instskip(NEXT) | instid1(SALU_CYCLE_1)
	s_ashr_i32 s29, s28, 31
	s_lshl_b64 s[28:29], s[28:29], 2
	s_delay_alu instid0(SALU_CYCLE_1)
	s_add_u32 s46, s36, s28
	s_addc_u32 s47, s35, s29
	s_clause 0x5
	s_load_b32 s29, s[2:3], 0x0
	s_load_b32 s2, s[26:27], 0x0
	;; [unrolled: 1-line block ×6, first 2 shown]
	s_or_b32 s39, s12, 0xc0
	s_delay_alu instid0(SALU_CYCLE_1) | instskip(SKIP_2) | instid1(SALU_CYCLE_1)
	s_ashr_i32 s40, s39, 4
	s_cmp_lt_i32 s39, s33
	s_cselect_b32 s40, s40, s13
	s_ashr_i32 s41, s40, 31
	s_delay_alu instid0(SALU_CYCLE_1) | instskip(NEXT) | instid1(SALU_CYCLE_1)
	s_lshl_b64 s[40:41], s[40:41], 2
	s_add_u32 s40, s36, s40
	s_addc_u32 s41, s35, s41
	s_or_b32 s39, s12, 0xe0
	s_delay_alu instid0(SALU_CYCLE_1) | instskip(SKIP_2) | instid1(SALU_CYCLE_1)
	s_ashr_i32 s42, s39, 4
	s_cmp_lt_i32 s39, s33
	s_cselect_b32 s42, s42, s13
	s_ashr_i32 s43, s42, 31
	s_delay_alu instid0(SALU_CYCLE_1)
	s_lshl_b64 s[42:43], s[42:43], 2
	s_waitcnt vmcnt(1)
	v_mad_i64_i32 v[3:4], null, v5, s25, v[1:2]
	s_waitcnt vmcnt(0)
	v_mad_i64_i32 v[5:6], null, v7, s25, v[1:2]
	s_clause 0x7
	global_load_b128 v[75:78], v[3:4], off
	global_load_b128 v[79:82], v[3:4], off offset:256
	global_load_b128 v[83:86], v[5:6], off
	global_load_b128 v[87:90], v[5:6], off offset:256
	global_load_b128 v[91:94], v[3:4], off offset:512
	;; [unrolled: 1-line block ×5, first 2 shown]
	v_lshl_or_b32 v1, v65, 8, v74
	s_load_b32 s13, s[40:41], 0x0
	s_add_u32 s40, s36, s42
	s_addc_u32 s41, s35, s43
	s_add_u32 s30, s30, s37
	s_addc_u32 s31, s31, s38
	v_add_co_u32 v1, s30, s30, v1
	s_delay_alu instid0(VALU_DEP_1) | instskip(SKIP_3) | instid1(VALU_DEP_1)
	v_add_co_ci_u32_e64 v2, null, s31, 0, s30
	s_load_b32 s30, s[40:41], 0x0
	s_mov_b32 s36, 0
	s_waitcnt lgkmcnt(0)
	v_mad_i64_i32 v[3:4], null, s29, s25, v[1:2]
	v_mad_i64_i32 v[9:10], null, s26, s25, v[1:2]
	;; [unrolled: 1-line block ×7, first 2 shown]
	s_clause 0x5
	global_load_b128 v[49:52], v[3:4], off
	global_load_b128 v[53:56], v[3:4], off offset:16
	global_load_b128 v[41:44], v[5:6], off
	global_load_b128 v[45:48], v[5:6], off offset:16
	;; [unrolled: 2-line block ×3, first 2 shown]
	s_mov_b32 s43, s36
	s_mov_b32 s37, s36
	v_mad_i64_i32 v[61:62], null, s30, s25, v[1:2]
	s_clause 0x9
	global_load_b128 v[25:28], v[9:10], off
	global_load_b128 v[29:32], v[9:10], off offset:16
	global_load_b128 v[1:4], v[11:12], off
	global_load_b128 v[5:8], v[11:12], off offset:16
	;; [unrolled: 2-line block ×5, first 2 shown]
	s_mov_b32 s38, s36
	s_mov_b32 s39, s36
	;; [unrolled: 1-line block ×5, first 2 shown]
	v_dual_mov_b32 v111, s20 :: v_dual_mov_b32 v122, s43
	v_dual_mov_b32 v109, s18 :: v_dual_mov_b32 v120, s41
	;; [unrolled: 1-line block ×4, first 2 shown]
	v_mov_b32_e32 v119, s40
	v_mov_b32_e32 v117, s38
	;; [unrolled: 1-line block ×3, first 2 shown]
	s_waitcnt vmcnt(0)
	s_barrier
	buffer_gl0_inv
	v_wmma_f32_16x16x16_bf16 v[123:130], v[75:82], v[107:114], v[115:122]
	v_bfe_u32 v75, v0, 4, 1
	v_wmma_f32_16x16x16_bf16 v[115:122], v[83:90], v[107:114], v[115:122]
	v_dual_mov_b32 v83, s11 :: v_dual_mov_b32 v80, s8
	v_mov_b32_e32 v82, s10
	s_delay_alu instid0(VALU_DEP_4) | instskip(SKIP_3) | instid1(VALU_DEP_4)
	v_or_b32_e32 v66, v66, v75
	v_dual_mov_b32 v81, s9 :: v_dual_mov_b32 v78, s6
	v_dual_mov_b32 v79, s7 :: v_dual_mov_b32 v76, s4
	v_mov_b32_e32 v77, s5
	v_or_b32_e32 v69, 4, v66
	v_or_b32_e32 v70, 6, v66
	;; [unrolled: 1-line block ×3, first 2 shown]
	v_cmp_gt_i32_e64 s2, s33, v66
	v_wmma_f32_16x16x16_bf16 v[123:130], v[91:98], v[76:83], v[123:130]
	v_cndmask_b32_e32 v67, v67, v68, vcc_lo
	v_or_b32_e32 v68, 2, v66
	v_wmma_f32_16x16x16_bf16 v[115:122], v[99:106], v[76:83], v[115:122]
	v_or_b32_e32 v72, 10, v66
	v_dual_mul_f32 v82, s24, v126 :: v_dual_mul_f32 v81, s24, v127
	v_dual_mul_f32 v92, s24, v124 :: v_dual_mul_f32 v93, s24, v123
	s_delay_alu instid0(VALU_DEP_4) | instskip(SKIP_2) | instid1(VALU_DEP_4)
	v_mul_f32_e32 v96, s24, v120
	v_cmp_gt_i32_e32 vcc_lo, s33, v68
	v_dual_mul_f32 v83, s24, v125 :: v_dual_mul_f32 v94, s24, v122
	v_cndmask_b32_e64 v93, 0xff7fffff, v93, s2
	v_cmp_gt_i32_e64 s3, s33, v69
	v_cndmask_b32_e32 v92, 0xff7fffff, v92, vcc_lo
	v_cmp_gt_i32_e64 s4, s33, v70
	v_cmp_gt_i32_e64 s5, s33, v71
	v_or_b32_e32 v84, 12, v66
	v_or_b32_e32 v85, 14, v66
	v_dual_mul_f32 v79, s24, v129 :: v_dual_mul_f32 v80, s24, v128
	v_cndmask_b32_e64 v69, 0xff7fffff, v83, s3
	v_cndmask_b32_e64 v70, 0xff7fffff, v82, s4
	;; [unrolled: 1-line block ×3, first 2 shown]
	v_cmp_gt_i32_e64 s6, s33, v72
	v_lshlrev_b32_e32 v81, 2, v67
	v_max3_f32 v82, v93, 0xff7fffff, v92
	v_or_b32_e32 v86, 16, v66
	v_or_b32_e32 v87, 18, v66
	v_mul_f32_e32 v78, s24, v130
	v_cndmask_b32_e64 v72, 0xff7fffff, v80, s6
	v_max3_f32 v69, v82, v69, v70
	v_cmp_gt_i32_e64 s7, s33, v84
	v_cmp_gt_i32_e64 s8, s33, v85
	v_or_b32_e32 v88, 20, v66
	v_or_b32_e32 v89, 22, v66
	;; [unrolled: 1-line block ×6, first 2 shown]
	v_dual_mul_f32 v97, s24, v119 :: v_dual_mul_f32 v68, s24, v116
	v_dual_mul_f32 v99, s24, v117 :: v_dual_mul_f32 v66, s24, v115
	v_cndmask_b32_e64 v70, 0xff7fffff, v79, s7
	v_cndmask_b32_e64 v78, 0xff7fffff, v78, s8
	v_max3_f32 v69, v69, v71, v72
	v_cmp_gt_i32_e64 s9, s33, v86
	v_cmp_gt_i32_e64 s10, s33, v87
	v_dual_mul_f32 v95, s24, v121 :: v_dual_mul_f32 v98, s24, v118
	s_delay_alu instid0(VALU_DEP_4) | instskip(NEXT) | instid1(VALU_DEP_4)
	v_max3_f32 v69, v69, v70, v78
	v_cndmask_b32_e64 v66, 0xff7fffff, v66, s9
	s_delay_alu instid0(VALU_DEP_4)
	v_cndmask_b32_e64 v68, 0xff7fffff, v68, s10
	v_cmp_gt_i32_e64 s11, s33, v88
	v_cmp_gt_i32_e64 s12, s33, v89
	;; [unrolled: 1-line block ×4, first 2 shown]
	v_max3_f32 v66, v69, v66, v68
	v_cndmask_b32_e64 v70, 0xff7fffff, v99, s11
	v_cndmask_b32_e64 v71, 0xff7fffff, v98, s12
	;; [unrolled: 1-line block ×4, first 2 shown]
	v_cmp_gt_i32_e64 s17, s33, v76
	v_cmp_gt_i32_e64 s18, s33, v77
	v_max3_f32 v66, v66, v70, v71
	s_delay_alu instid0(VALU_DEP_3) | instskip(NEXT) | instid1(VALU_DEP_3)
	v_cndmask_b32_e64 v70, 0xff7fffff, v95, s17
	v_cndmask_b32_e64 v71, 0xff7fffff, v94, s18
	s_delay_alu instid0(VALU_DEP_3) | instskip(NEXT) | instid1(VALU_DEP_1)
	v_max3_f32 v66, v66, v68, v69
	v_max3_f32 v66, v66, v70, v71
	ds_bpermute_b32 v67, v81, v66
	s_waitcnt lgkmcnt(0)
	v_max_f32_e32 v67, v67, v67
	s_delay_alu instid0(VALU_DEP_1) | instskip(NEXT) | instid1(VALU_DEP_1)
	v_max_f32_e32 v66, v66, v67
	v_fma_f32 v69, s24, v125, -v66
	s_delay_alu instid0(VALU_DEP_1)
	v_mul_f32_e32 v69, 0x3fb8aa3b, v69
	v_fma_f32 v67, s24, v123, -v66
	v_fma_f32 v68, s24, v124, -v66
	v_fma_f32 v70, s24, v126, -v66
	v_fma_f32 v71, s24, v127, -v66
	v_exp_f32_e32 v69, v69
	s_delay_alu instid0(VALU_DEP_3) | instskip(NEXT) | instid1(VALU_DEP_3)
	v_dual_mul_f32 v67, 0x3fb8aa3b, v67 :: v_dual_mul_f32 v68, 0x3fb8aa3b, v68
	v_mul_f32_e32 v70, 0x3fb8aa3b, v70
	v_fma_f32 v72, s24, v129, -v66
	v_fma_f32 v77, s24, v119, -v66
	s_delay_alu instid0(VALU_DEP_4)
	v_exp_f32_e32 v67, v67
	v_exp_f32_e32 v68, v68
	v_mul_f32_e32 v71, 0x3fb8aa3b, v71
	v_exp_f32_e32 v70, v70
	v_cndmask_b32_e64 v82, 0, v69, s3
	v_fma_f32 v69, s24, v130, -v66
	v_fma_f32 v88, s24, v122, -v66
	s_mov_b32 s3, exec_lo
	v_mul_f32_e32 v77, 0x3fb8aa3b, v77
	s_delay_alu instid0(TRANS32_DEP_3) | instskip(NEXT) | instid1(TRANS32_DEP_2)
	v_cndmask_b32_e64 v80, 0, v67, s2
	v_cndmask_b32_e32 v76, 0, v68, vcc_lo
	v_fma_f32 v67, s24, v128, -v66
	v_exp_f32_e32 v71, v71
	v_cndmask_b32_e64 v84, 0, v70, s4
	v_dual_add_f32 v68, 0, v80 :: v_dual_mul_f32 v69, 0x3fb8aa3b, v69
	s_delay_alu instid0(VALU_DEP_3) | instskip(SKIP_2) | instid1(VALU_DEP_3)
	v_mul_f32_e32 v67, 0x3fb8aa3b, v67
	v_fma_f32 v70, s24, v115, -v66
	v_exp_f32_e32 v77, v77
	v_add_f32_e32 v68, v68, v76
	v_exp_f32_e32 v69, v69
	v_exp_f32_e32 v67, v67
	v_cndmask_b32_e64 v85, 0, v71, s5
	v_fma_f32 v71, s24, v116, -v66
	v_add_f32_e32 v68, v68, v82
	s_delay_alu instid0(VALU_DEP_2)
	v_dual_mul_f32 v88, 0x3fb8aa3b, v88 :: v_dual_mul_f32 v71, 0x3fb8aa3b, v71
	s_waitcnt_depctr 0xfff
	v_cndmask_b32_e64 v87, 0, v69, s8
	v_cndmask_b32_e64 v86, 0, v67, s6
	v_add_f32_e32 v68, v68, v84
	v_mul_f32_e32 v72, 0x3fb8aa3b, v72
	v_exp_f32_e32 v71, v71
	s_delay_alu instid0(VALU_DEP_2) | instskip(NEXT) | instid1(VALU_DEP_2)
	v_add_f32_e32 v67, v68, v85
	v_exp_f32_e32 v72, v72
	v_fma_f32 v68, s24, v117, -v66
	s_delay_alu instid0(VALU_DEP_2) | instskip(SKIP_4) | instid1(VALU_DEP_3)
	v_add_f32_e32 v67, v67, v86
	s_waitcnt_depctr 0xfff
	v_cndmask_b32_e64 v83, 0, v72, s7
	v_mul_f32_e32 v70, 0x3fb8aa3b, v70
	v_fma_f32 v72, s24, v118, -v66
	v_add_f32_e32 v67, v67, v83
	s_delay_alu instid0(VALU_DEP_3) | instskip(SKIP_1) | instid1(VALU_DEP_2)
	v_exp_f32_e32 v70, v70
	v_mul_f32_e32 v68, 0x3fb8aa3b, v68
	v_dual_mul_f32 v72, 0x3fb8aa3b, v72 :: v_dual_add_f32 v67, v67, v87
	s_delay_alu instid0(VALU_DEP_2) | instskip(NEXT) | instid1(VALU_DEP_1)
	v_exp_f32_e32 v78, v68
	v_exp_f32_e32 v72, v72
	v_cndmask_b32_e64 v68, 0, v71, s10
	v_fma_f32 v71, s24, v121, -v66
	s_delay_alu instid0(TRANS32_DEP_3) | instskip(SKIP_1) | instid1(VALU_DEP_2)
	v_cndmask_b32_e64 v69, 0, v70, s9
	v_fma_f32 v70, s24, v120, -v66
	v_add_f32_e32 v67, v67, v69
	s_delay_alu instid0(VALU_DEP_2) | instskip(NEXT) | instid1(TRANS32_DEP_2)
	v_mul_f32_e32 v79, 0x3fb8aa3b, v70
	v_cndmask_b32_e64 v70, 0, v78, s11
	v_mul_f32_e32 v78, 0x3fb8aa3b, v71
	s_delay_alu instid0(TRANS32_DEP_1) | instskip(SKIP_4) | instid1(VALU_DEP_2)
	v_cndmask_b32_e64 v71, 0, v72, s12
	v_add_f32_e32 v67, v67, v68
	v_exp_f32_e32 v79, v79
	v_cndmask_b32_e64 v72, 0, v77, s13
	v_exp_f32_e32 v78, v78
	v_add_f32_e32 v67, v67, v70
	s_waitcnt_depctr 0xfff
	v_cndmask_b32_e64 v77, 0, v79, s16
	v_exp_f32_e32 v79, v88
	v_dual_add_f32 v67, v67, v71 :: v_dual_and_b32 v88, 31, v0
	v_cndmask_b32_e64 v78, 0, v78, s17
	s_delay_alu instid0(VALU_DEP_2) | instskip(NEXT) | instid1(VALU_DEP_3)
	v_cmp_lt_u32_e64 s2, 15, v88
	v_add_f32_e32 v67, v67, v72
	s_waitcnt_depctr 0xfff
	v_cndmask_b32_e64 v79, 0, v79, s18
	v_add_f32_e32 v67, v67, v77
	s_delay_alu instid0(VALU_DEP_1) | instskip(NEXT) | instid1(VALU_DEP_1)
	v_add_f32_e32 v67, v67, v78
	v_add_f32_e32 v67, v67, v79
	ds_bpermute_b32 v81, v81, v67
	v_cmpx_gt_u32_e32 16, v88
	s_cbranch_execz .LBB1422_11
; %bb.10:
	v_mul_u32_u24_e32 v88, 0x44, v65
	s_waitcnt lgkmcnt(0)
	v_add_f32_e32 v67, v67, v81
	s_delay_alu instid0(VALU_DEP_2) | instskip(NEXT) | instid1(VALU_DEP_1)
	v_lshl_add_u32 v88, v73, 2, v88
	v_add_nc_u32_e32 v81, 0x4000, v88
	ds_store_2addr_b32 v81, v66, v67 offset1:136
.LBB1422_11:
	s_or_b32 exec_lo, exec_lo, s3
	v_lshlrev_b32_e32 v66, 2, v73
	s_waitcnt lgkmcnt(0)
	s_barrier
	buffer_gl0_inv
	v_cmp_eq_u32_e32 vcc_lo, 1, v65
	v_add_nc_u32_e32 v81, 0x4000, v66
	v_cmp_eq_u32_e64 s3, 2, v65
	v_cmp_eq_u32_e64 s5, 7, v65
	ds_load_2addr_b32 v[88:89], v81 offset1:17
	ds_load_2addr_b32 v[90:91], v81 offset0:34 offset1:51
	ds_load_2addr_b32 v[92:93], v81 offset0:68 offset1:85
	;; [unrolled: 1-line block ×4, first 2 shown]
	s_waitcnt lgkmcnt(4)
	v_max3_f32 v66, v88, 0xff7fffff, v89
	s_waitcnt lgkmcnt(3)
	s_delay_alu instid0(VALU_DEP_1) | instskip(SKIP_1) | instid1(VALU_DEP_1)
	v_max3_f32 v66, v66, v90, v91
	s_waitcnt lgkmcnt(2)
	v_max3_f32 v66, v66, v92, v93
	s_waitcnt lgkmcnt(1)
	s_delay_alu instid0(VALU_DEP_1) | instskip(NEXT) | instid1(VALU_DEP_1)
	v_max3_f32 v66, v66, v94, v95
	v_sub_f32_e32 v92, v92, v66
	s_delay_alu instid0(VALU_DEP_1) | instskip(NEXT) | instid1(VALU_DEP_1)
	v_dual_sub_f32 v67, v88, v66 :: v_dual_mul_f32 v102, 0x3fb8aa3b, v92
	v_mul_f32_e32 v67, 0x3fb8aa3b, v67
	s_delay_alu instid0(VALU_DEP_1)
	v_exp_f32_e32 v99, v67
	v_sub_f32_e32 v67, v91, v66
	v_sub_f32_e32 v98, v89, v66
	ds_load_2addr_b32 v[88:89], v81 offset0:170 offset1:187
	v_dual_mul_f32 v101, 0x3fb8aa3b, v67 :: v_dual_mul_f32 v98, 0x3fb8aa3b, v98
	s_waitcnt lgkmcnt(1)
	v_fma_f32 v67, v99, v96, 0
	s_delay_alu instid0(VALU_DEP_2) | instskip(NEXT) | instid1(VALU_DEP_2)
	v_exp_f32_e32 v101, v101
	v_exp_f32_e32 v98, v98
	s_waitcnt_depctr 0xfff
	v_fmac_f32_e32 v67, v98, v97
	v_sub_f32_e32 v90, v90, v66
	s_delay_alu instid0(VALU_DEP_1)
	v_mul_f32_e32 v100, 0x3fb8aa3b, v90
	ds_load_2addr_b32 v[90:91], v81 offset0:204 offset1:221
	v_sub_f32_e32 v96, v93, v66
	ds_load_2addr_b32 v[92:93], v81 offset0:238 offset1:255
	s_waitcnt lgkmcnt(0)
	v_exp_f32_e32 v100, v100
	s_barrier
	buffer_gl0_inv
	v_dual_fmac_f32 v67, v100, v88 :: v_dual_sub_f32 v88, v95, v66
	v_dual_sub_f32 v81, v94, v66 :: v_dual_mul_f32 v94, 0x3fb8aa3b, v96
	v_exp_f32_e32 v96, v102
	s_delay_alu instid0(VALU_DEP_2) | instskip(NEXT) | instid1(VALU_DEP_2)
	v_dual_fmac_f32 v67, v101, v89 :: v_dual_mul_f32 v88, 0x3fb8aa3b, v88
	v_mul_f32_e32 v81, 0x3fb8aa3b, v81
	s_delay_alu instid0(VALU_DEP_3) | instskip(NEXT) | instid1(VALU_DEP_2)
	v_exp_f32_e32 v94, v94
	v_exp_f32_e32 v88, v88
	s_delay_alu instid0(VALU_DEP_1)
	v_exp_f32_e32 v81, v81
	v_fmac_f32_e32 v67, v96, v90
	s_delay_alu instid0(TRANS32_DEP_3) | instid1(VALU_DEP_1)
	v_fmac_f32_e32 v67, v94, v91
	s_waitcnt_depctr 0xfff
	v_fmac_f32_e32 v67, v81, v92
	s_delay_alu instid0(VALU_DEP_1) | instskip(NEXT) | instid1(VALU_DEP_1)
	v_fmac_f32_e32 v67, v88, v93
	v_add_f32_e32 v89, 0x358637bd, v67
	s_delay_alu instid0(VALU_DEP_1) | instskip(NEXT) | instid1(VALU_DEP_1)
	v_div_scale_f32 v90, null, v89, v89, 1.0
	v_rcp_f32_e32 v91, v90
	s_waitcnt_depctr 0xfff
	v_fma_f32 v92, -v90, v91, 1.0
	s_delay_alu instid0(VALU_DEP_1) | instskip(SKIP_1) | instid1(VALU_DEP_2)
	v_dual_fmac_f32 v91, v92, v91 :: v_dual_cndmask_b32 v92, v99, v98
	v_cmp_eq_u32_e32 vcc_lo, 3, v65
	v_cndmask_b32_e64 v92, v92, v100, s3
	v_cmp_eq_u32_e64 s3, 4, v65
	s_delay_alu instid0(VALU_DEP_2) | instskip(SKIP_1) | instid1(VALU_DEP_2)
	v_cndmask_b32_e32 v92, v92, v101, vcc_lo
	v_cmp_eq_u32_e32 vcc_lo, 5, v65
	v_cndmask_b32_e64 v92, v92, v96, s3
	v_cmp_eq_u32_e64 s3, 6, v65
	s_delay_alu instid0(VALU_DEP_2) | instskip(SKIP_1) | instid1(VALU_DEP_1)
	v_cndmask_b32_e32 v92, v92, v94, vcc_lo
	v_div_scale_f32 v93, s4, 1.0, v89, 1.0
	s_mov_b32 vcc_lo, s4
	s_delay_alu instid0(VALU_DEP_2) | instskip(NEXT) | instid1(VALU_DEP_2)
	v_cndmask_b32_e64 v81, v92, v81, s3
	v_mul_f32_e32 v95, v93, v91
	s_mov_b32 s3, exec_lo
	s_delay_alu instid0(VALU_DEP_2) | instskip(NEXT) | instid1(VALU_DEP_2)
	v_cndmask_b32_e64 v81, v81, v88, s5
	v_fma_f32 v97, -v90, v95, v93
	s_delay_alu instid0(VALU_DEP_1) | instskip(NEXT) | instid1(VALU_DEP_1)
	v_fmac_f32_e32 v95, v97, v91
	v_fma_f32 v90, -v90, v95, v93
	s_delay_alu instid0(VALU_DEP_1) | instskip(NEXT) | instid1(VALU_DEP_1)
	v_div_fmas_f32 v90, v90, v91, v95
	v_div_fixup_f32 v89, v90, v89, 1.0
	s_delay_alu instid0(VALU_DEP_1) | instskip(NEXT) | instid1(VALU_DEP_1)
	v_mul_f32_e32 v81, v81, v89
	v_mul_f32_e32 v89, v81, v80
	;; [unrolled: 1-line block ×6, first 2 shown]
	v_and_b32_e32 v90, 0x7f800000, v89
	v_mul_f32_e32 v88, v81, v84
	v_mul_f32_e32 v85, v81, v82
	;; [unrolled: 1-line block ×3, first 2 shown]
                                        ; implicit-def: $vgpr76
	s_delay_alu instid0(VALU_DEP_4)
	v_cmpx_ne_u32_e32 0x7f800000, v90
	s_xor_b32 s3, exec_lo, s3
; %bb.12:
	v_bfe_u32 v76, v89, 16, 1
	s_delay_alu instid0(VALU_DEP_1)
	v_add3_u32 v76, v89, v76, 0x7fff
                                        ; implicit-def: $vgpr89
; %bb.13:
	s_and_not1_saveexec_b32 s3, s3
; %bb.14:
	v_and_b32_e32 v76, 0xffff, v89
	v_or_b32_e32 v82, 0x10000, v89
	s_delay_alu instid0(VALU_DEP_2) | instskip(NEXT) | instid1(VALU_DEP_2)
	v_cmp_eq_u32_e32 vcc_lo, 0, v76
	v_cndmask_b32_e32 v76, v82, v89, vcc_lo
; %bb.15:
	s_or_b32 exec_lo, exec_lo, s3
	v_and_b32_e32 v82, 0x7f800000, v84
	s_delay_alu instid0(VALU_DEP_1) | instskip(SKIP_1) | instid1(SALU_CYCLE_1)
	v_cmp_ne_u32_e32 vcc_lo, 0x7f800000, v82
                                        ; implicit-def: $vgpr82
	s_and_saveexec_b32 s3, vcc_lo
	s_xor_b32 s3, exec_lo, s3
; %bb.16:
	v_bfe_u32 v82, v84, 16, 1
	s_delay_alu instid0(VALU_DEP_1)
	v_add3_u32 v82, v84, v82, 0x7fff
                                        ; implicit-def: $vgpr84
; %bb.17:
	s_and_not1_saveexec_b32 s3, s3
; %bb.18:
	v_and_b32_e32 v82, 0xffff, v84
	v_or_b32_e32 v89, 0x10000, v84
	s_delay_alu instid0(VALU_DEP_2) | instskip(NEXT) | instid1(VALU_DEP_2)
	v_cmp_eq_u32_e32 vcc_lo, 0, v82
	v_cndmask_b32_e32 v82, v89, v84, vcc_lo
; %bb.19:
	s_or_b32 exec_lo, exec_lo, s3
	v_and_b32_e32 v84, 0x7f800000, v85
	s_delay_alu instid0(VALU_DEP_1) | instskip(SKIP_1) | instid1(SALU_CYCLE_1)
	v_cmp_ne_u32_e32 vcc_lo, 0x7f800000, v84
                                        ; implicit-def: $vgpr84
	s_and_saveexec_b32 s3, vcc_lo
	s_xor_b32 s3, exec_lo, s3
; %bb.20:
	v_bfe_u32 v84, v85, 16, 1
	s_delay_alu instid0(VALU_DEP_1)
	v_add3_u32 v84, v85, v84, 0x7fff
                                        ; implicit-def: $vgpr85
; %bb.21:
	s_and_not1_saveexec_b32 s3, s3
; %bb.22:
	v_and_b32_e32 v84, 0xffff, v85
	v_or_b32_e32 v89, 0x10000, v85
	s_delay_alu instid0(VALU_DEP_2) | instskip(NEXT) | instid1(VALU_DEP_2)
	v_cmp_eq_u32_e32 vcc_lo, 0, v84
	v_cndmask_b32_e32 v84, v89, v85, vcc_lo
; %bb.23:
	s_or_b32 exec_lo, exec_lo, s3
	v_and_b32_e32 v85, 0x7f800000, v88
	s_delay_alu instid0(VALU_DEP_1) | instskip(SKIP_1) | instid1(SALU_CYCLE_1)
	v_cmp_ne_u32_e32 vcc_lo, 0x7f800000, v85
                                        ; implicit-def: $vgpr85
	s_and_saveexec_b32 s3, vcc_lo
	s_xor_b32 s3, exec_lo, s3
; %bb.24:
	v_bfe_u32 v85, v88, 16, 1
	s_delay_alu instid0(VALU_DEP_1)
	v_add3_u32 v85, v88, v85, 0x7fff
                                        ; implicit-def: $vgpr88
; %bb.25:
	s_and_not1_saveexec_b32 s3, s3
; %bb.26:
	v_and_b32_e32 v85, 0xffff, v88
	v_or_b32_e32 v89, 0x10000, v88
	s_delay_alu instid0(VALU_DEP_2) | instskip(NEXT) | instid1(VALU_DEP_2)
	v_cmp_eq_u32_e32 vcc_lo, 0, v85
	v_cndmask_b32_e32 v85, v89, v88, vcc_lo
; %bb.27:
	s_or_b32 exec_lo, exec_lo, s3
	v_and_b32_e32 v88, 0x7f800000, v87
	s_delay_alu instid0(VALU_DEP_1) | instskip(SKIP_1) | instid1(SALU_CYCLE_1)
	v_cmp_ne_u32_e32 vcc_lo, 0x7f800000, v88
                                        ; implicit-def: $vgpr88
	s_and_saveexec_b32 s3, vcc_lo
	s_xor_b32 s3, exec_lo, s3
; %bb.28:
	v_bfe_u32 v88, v87, 16, 1
	s_delay_alu instid0(VALU_DEP_1)
	v_add3_u32 v88, v87, v88, 0x7fff
                                        ; implicit-def: $vgpr87
; %bb.29:
	s_and_not1_saveexec_b32 s3, s3
; %bb.30:
	v_and_b32_e32 v88, 0xffff, v87
	v_or_b32_e32 v89, 0x10000, v87
	s_delay_alu instid0(VALU_DEP_2) | instskip(NEXT) | instid1(VALU_DEP_2)
	v_cmp_eq_u32_e32 vcc_lo, 0, v88
	v_cndmask_b32_e32 v88, v89, v87, vcc_lo
; %bb.31:
	s_or_b32 exec_lo, exec_lo, s3
	v_and_b32_e32 v87, 0x7f800000, v86
	s_delay_alu instid0(VALU_DEP_1) | instskip(SKIP_1) | instid1(SALU_CYCLE_1)
	v_cmp_ne_u32_e32 vcc_lo, 0x7f800000, v87
                                        ; implicit-def: $vgpr87
	s_and_saveexec_b32 s3, vcc_lo
	s_xor_b32 s3, exec_lo, s3
; %bb.32:
	v_bfe_u32 v87, v86, 16, 1
	s_delay_alu instid0(VALU_DEP_1)
	v_add3_u32 v87, v86, v87, 0x7fff
                                        ; implicit-def: $vgpr86
; %bb.33:
	s_and_not1_saveexec_b32 s3, s3
; %bb.34:
	v_and_b32_e32 v87, 0xffff, v86
	v_or_b32_e32 v89, 0x10000, v86
	s_delay_alu instid0(VALU_DEP_2) | instskip(NEXT) | instid1(VALU_DEP_2)
	v_cmp_eq_u32_e32 vcc_lo, 0, v87
	v_cndmask_b32_e32 v87, v89, v86, vcc_lo
; %bb.35:
	s_or_b32 exec_lo, exec_lo, s3
	v_and_b32_e32 v86, 0x7f800000, v83
	s_delay_alu instid0(VALU_DEP_1) | instskip(SKIP_1) | instid1(SALU_CYCLE_1)
	v_cmp_ne_u32_e32 vcc_lo, 0x7f800000, v86
                                        ; implicit-def: $vgpr86
	s_and_saveexec_b32 s3, vcc_lo
	s_xor_b32 s3, exec_lo, s3
; %bb.36:
	v_bfe_u32 v86, v83, 16, 1
	s_delay_alu instid0(VALU_DEP_1)
	v_add3_u32 v86, v83, v86, 0x7fff
                                        ; implicit-def: $vgpr83
; %bb.37:
	s_and_not1_saveexec_b32 s3, s3
; %bb.38:
	v_and_b32_e32 v86, 0xffff, v83
	v_or_b32_e32 v89, 0x10000, v83
	s_delay_alu instid0(VALU_DEP_2) | instskip(NEXT) | instid1(VALU_DEP_2)
	v_cmp_eq_u32_e32 vcc_lo, 0, v86
	v_cndmask_b32_e32 v86, v89, v83, vcc_lo
; %bb.39:
	s_or_b32 exec_lo, exec_lo, s3
	v_and_b32_e32 v83, 0x7f800000, v80
	s_delay_alu instid0(VALU_DEP_1) | instskip(SKIP_1) | instid1(SALU_CYCLE_1)
	v_cmp_ne_u32_e32 vcc_lo, 0x7f800000, v83
                                        ; implicit-def: $vgpr83
	s_and_saveexec_b32 s3, vcc_lo
	s_xor_b32 s3, exec_lo, s3
; %bb.40:
	v_bfe_u32 v83, v80, 16, 1
	s_delay_alu instid0(VALU_DEP_1)
	v_add3_u32 v83, v80, v83, 0x7fff
                                        ; implicit-def: $vgpr80
; %bb.41:
	s_and_not1_saveexec_b32 s3, s3
; %bb.42:
	v_and_b32_e32 v83, 0xffff, v80
	v_or_b32_e32 v89, 0x10000, v80
	s_delay_alu instid0(VALU_DEP_2) | instskip(NEXT) | instid1(VALU_DEP_2)
	v_cmp_eq_u32_e32 vcc_lo, 0, v83
	v_cndmask_b32_e32 v83, v89, v80, vcc_lo
; %bb.43:
	s_or_b32 exec_lo, exec_lo, s3
	s_load_b64 s[36:37], s[0:1], 0x94
	v_lshlrev_b32_e32 v90, 4, v75
	s_delay_alu instid0(VALU_DEP_2)
	v_perm_b32 v89, v83, v86, 0x7060302
	v_mul_f32_e32 v83, v81, v69
	v_dual_mul_f32 v69, v81, v79 :: v_dual_lshlrev_b32 v80, 6, v73
	v_dual_mul_f32 v78, v81, v78 :: v_dual_lshlrev_b32 v91, 11, v65
	v_perm_b32 v88, v87, v88, 0x7060302
	v_perm_b32 v87, v85, v84, 0x7060302
	;; [unrolled: 1-line block ×3, first 2 shown]
	s_delay_alu instid0(VALU_DEP_4)
	v_or3_b32 v76, v90, v91, v80
	v_dual_mul_f32 v77, v81, v77 :: v_dual_and_b32 v84, 0x7f800000, v83
	v_mul_f32_e32 v72, v81, v72
	v_mul_f32_e32 v82, v81, v71
	;; [unrolled: 1-line block ×4, first 2 shown]
	s_mov_b32 s3, exec_lo
	ds_store_b128 v76, v[86:89]
                                        ; implicit-def: $vgpr68
	v_cmpx_ne_u32_e32 0x7f800000, v84
	s_xor_b32 s3, exec_lo, s3
; %bb.44:
	v_bfe_u32 v68, v83, 16, 1
	s_delay_alu instid0(VALU_DEP_1)
	v_add3_u32 v68, v83, v68, 0x7fff
                                        ; implicit-def: $vgpr83
; %bb.45:
	s_and_not1_saveexec_b32 s3, s3
; %bb.46:
	v_and_b32_e32 v68, 0xffff, v83
	v_or_b32_e32 v70, 0x10000, v83
	s_delay_alu instid0(VALU_DEP_2) | instskip(NEXT) | instid1(VALU_DEP_2)
	v_cmp_eq_u32_e32 vcc_lo, 0, v68
	v_cndmask_b32_e32 v68, v70, v83, vcc_lo
; %bb.47:
	s_or_b32 exec_lo, exec_lo, s3
	v_and_b32_e32 v70, 0x7f800000, v71
	s_delay_alu instid0(VALU_DEP_1) | instskip(SKIP_1) | instid1(SALU_CYCLE_1)
	v_cmp_ne_u32_e32 vcc_lo, 0x7f800000, v70
                                        ; implicit-def: $vgpr70
	s_and_saveexec_b32 s3, vcc_lo
	s_xor_b32 s3, exec_lo, s3
; %bb.48:
	v_bfe_u32 v70, v71, 16, 1
	s_delay_alu instid0(VALU_DEP_1)
	v_add3_u32 v70, v71, v70, 0x7fff
                                        ; implicit-def: $vgpr71
; %bb.49:
	s_and_not1_saveexec_b32 s3, s3
; %bb.50:
	v_and_b32_e32 v70, 0xffff, v71
	v_or_b32_e32 v81, 0x10000, v71
	s_delay_alu instid0(VALU_DEP_2) | instskip(NEXT) | instid1(VALU_DEP_2)
	v_cmp_eq_u32_e32 vcc_lo, 0, v70
	v_cndmask_b32_e32 v70, v81, v71, vcc_lo
; %bb.51:
	s_or_b32 exec_lo, exec_lo, s3
	v_and_b32_e32 v71, 0x7f800000, v79
	s_delay_alu instid0(VALU_DEP_1) | instskip(SKIP_1) | instid1(SALU_CYCLE_1)
	v_cmp_ne_u32_e32 vcc_lo, 0x7f800000, v71
                                        ; implicit-def: $vgpr71
	s_and_saveexec_b32 s3, vcc_lo
	s_xor_b32 s3, exec_lo, s3
; %bb.52:
	v_bfe_u32 v71, v79, 16, 1
	s_delay_alu instid0(VALU_DEP_1)
	v_add3_u32 v71, v79, v71, 0x7fff
                                        ; implicit-def: $vgpr79
; %bb.53:
	s_and_not1_saveexec_b32 s3, s3
; %bb.54:
	v_and_b32_e32 v71, 0xffff, v79
	v_or_b32_e32 v81, 0x10000, v79
	s_delay_alu instid0(VALU_DEP_2) | instskip(NEXT) | instid1(VALU_DEP_2)
	v_cmp_eq_u32_e32 vcc_lo, 0, v71
	v_cndmask_b32_e32 v71, v81, v79, vcc_lo
; %bb.55:
	s_or_b32 exec_lo, exec_lo, s3
	v_and_b32_e32 v79, 0x7f800000, v82
	s_delay_alu instid0(VALU_DEP_1) | instskip(SKIP_1) | instid1(SALU_CYCLE_1)
	v_cmp_ne_u32_e32 vcc_lo, 0x7f800000, v79
                                        ; implicit-def: $vgpr79
	s_and_saveexec_b32 s3, vcc_lo
	s_xor_b32 s3, exec_lo, s3
; %bb.56:
	v_bfe_u32 v79, v82, 16, 1
	s_delay_alu instid0(VALU_DEP_1)
	v_add3_u32 v79, v82, v79, 0x7fff
                                        ; implicit-def: $vgpr82
; %bb.57:
	s_and_not1_saveexec_b32 s3, s3
; %bb.58:
	v_and_b32_e32 v79, 0xffff, v82
	v_or_b32_e32 v81, 0x10000, v82
	s_delay_alu instid0(VALU_DEP_2) | instskip(NEXT) | instid1(VALU_DEP_2)
	v_cmp_eq_u32_e32 vcc_lo, 0, v79
	v_cndmask_b32_e32 v79, v81, v82, vcc_lo
; %bb.59:
	s_or_b32 exec_lo, exec_lo, s3
	v_and_b32_e32 v81, 0x7f800000, v72
	s_delay_alu instid0(VALU_DEP_1) | instskip(SKIP_1) | instid1(SALU_CYCLE_1)
	v_cmp_ne_u32_e32 vcc_lo, 0x7f800000, v81
                                        ; implicit-def: $vgpr81
	s_and_saveexec_b32 s3, vcc_lo
	s_xor_b32 s3, exec_lo, s3
; %bb.60:
	v_bfe_u32 v81, v72, 16, 1
	s_delay_alu instid0(VALU_DEP_1)
	v_add3_u32 v81, v72, v81, 0x7fff
                                        ; implicit-def: $vgpr72
; %bb.61:
	s_and_not1_saveexec_b32 s3, s3
; %bb.62:
	v_and_b32_e32 v81, 0xffff, v72
	v_or_b32_e32 v82, 0x10000, v72
	s_delay_alu instid0(VALU_DEP_2) | instskip(NEXT) | instid1(VALU_DEP_2)
	v_cmp_eq_u32_e32 vcc_lo, 0, v81
	v_cndmask_b32_e32 v81, v82, v72, vcc_lo
; %bb.63:
	s_or_b32 exec_lo, exec_lo, s3
	v_and_b32_e32 v72, 0x7f800000, v77
	s_delay_alu instid0(VALU_DEP_1) | instskip(SKIP_1) | instid1(SALU_CYCLE_1)
	v_cmp_ne_u32_e32 vcc_lo, 0x7f800000, v72
                                        ; implicit-def: $vgpr72
	s_and_saveexec_b32 s3, vcc_lo
	s_xor_b32 s3, exec_lo, s3
; %bb.64:
	v_bfe_u32 v72, v77, 16, 1
	s_delay_alu instid0(VALU_DEP_1)
	v_add3_u32 v72, v77, v72, 0x7fff
                                        ; implicit-def: $vgpr77
; %bb.65:
	s_and_not1_saveexec_b32 s3, s3
; %bb.66:
	v_and_b32_e32 v72, 0xffff, v77
	v_or_b32_e32 v82, 0x10000, v77
	s_delay_alu instid0(VALU_DEP_2) | instskip(NEXT) | instid1(VALU_DEP_2)
	v_cmp_eq_u32_e32 vcc_lo, 0, v72
	v_cndmask_b32_e32 v72, v82, v77, vcc_lo
; %bb.67:
	s_or_b32 exec_lo, exec_lo, s3
	v_and_b32_e32 v77, 0x7f800000, v78
	s_delay_alu instid0(VALU_DEP_1) | instskip(SKIP_1) | instid1(SALU_CYCLE_1)
	v_cmp_ne_u32_e32 vcc_lo, 0x7f800000, v77
                                        ; implicit-def: $vgpr77
	s_and_saveexec_b32 s3, vcc_lo
	s_xor_b32 s3, exec_lo, s3
; %bb.68:
	v_bfe_u32 v77, v78, 16, 1
	s_delay_alu instid0(VALU_DEP_1)
	v_add3_u32 v77, v78, v77, 0x7fff
                                        ; implicit-def: $vgpr78
; %bb.69:
	s_and_not1_saveexec_b32 s3, s3
; %bb.70:
	v_and_b32_e32 v77, 0xffff, v78
	v_or_b32_e32 v82, 0x10000, v78
	s_delay_alu instid0(VALU_DEP_2) | instskip(NEXT) | instid1(VALU_DEP_2)
	v_cmp_eq_u32_e32 vcc_lo, 0, v77
	v_cndmask_b32_e32 v77, v82, v78, vcc_lo
; %bb.71:
	s_or_b32 exec_lo, exec_lo, s3
	v_and_b32_e32 v78, 0x7f800000, v69
	s_delay_alu instid0(VALU_DEP_1) | instskip(SKIP_1) | instid1(SALU_CYCLE_1)
	v_cmp_ne_u32_e32 vcc_lo, 0x7f800000, v78
                                        ; implicit-def: $vgpr78
	s_and_saveexec_b32 s3, vcc_lo
	s_xor_b32 s3, exec_lo, s3
; %bb.72:
	v_bfe_u32 v78, v69, 16, 1
	s_delay_alu instid0(VALU_DEP_1)
	v_add3_u32 v78, v69, v78, 0x7fff
                                        ; implicit-def: $vgpr69
; %bb.73:
	s_and_not1_saveexec_b32 s3, s3
; %bb.74:
	v_and_b32_e32 v78, 0xffff, v69
	v_or_b32_e32 v82, 0x10000, v69
	s_delay_alu instid0(VALU_DEP_2) | instskip(NEXT) | instid1(VALU_DEP_2)
	v_cmp_eq_u32_e32 vcc_lo, 0, v78
	v_cndmask_b32_e32 v78, v82, v69, vcc_lo
; %bb.75:
	s_or_b32 exec_lo, exec_lo, s3
	s_delay_alu instid0(VALU_DEP_1)
	v_perm_b32 v86, v78, v77, 0x7060302
	v_perm_b32 v85, v72, v81, 0x7060302
	;; [unrolled: 1-line block ×4, first 2 shown]
	v_lshl_or_b32 v82, v65, 11, v80
	ds_store_b128 v76, v[83:86] offset:1024
	s_waitcnt lgkmcnt(0)
	s_barrier
	buffer_gl0_inv
	ds_load_b128 v[68:71], v82
	ds_load_b128 v[83:86], v82 offset:16
	s_waitcnt lgkmcnt(1)
	v_lshrrev_b32_e32 v65, 16, v68
	v_lshlrev_b32_e32 v78, 2, v75
	s_waitcnt lgkmcnt(0)
	v_lshrrev_b32_e32 v91, 16, v83
	v_lshrrev_b32_e32 v72, 16, v69
	;; [unrolled: 1-line block ×4, first 2 shown]
	v_cmp_eq_u32_e32 vcc_lo, 1, v78
	v_lshrrev_b32_e32 v98, 16, v85
	v_lshrrev_b32_e32 v96, 16, v71
	;; [unrolled: 1-line block ×3, first 2 shown]
	v_cndmask_b32_e32 v81, v68, v65, vcc_lo
	v_or_b32_e32 v79, 1, v78
	v_cmp_eq_u32_e64 s4, 2, v78
	v_cndmask_b32_e32 v87, v83, v91, vcc_lo
	v_cmp_eq_u32_e64 s7, 3, v78
	v_cmp_eq_u32_e64 s9, 4, v78
	v_cmp_eq_u32_e64 s3, 1, v79
	v_cndmask_b32_e64 v81, v81, v69, s4
	v_cmp_eq_u32_e64 s6, 2, v79
	v_cndmask_b32_e64 v87, v87, v84, s4
	v_cmp_eq_u32_e64 s8, 3, v79
	v_cndmask_b32_e64 v88, v68, v65, s3
	v_cndmask_b32_e64 v81, v81, v72, s7
	v_or_b32_e32 v77, 2, v78
	v_cndmask_b32_e64 v87, v87, v97, s7
	v_cndmask_b32_e64 v89, v83, v91, s3
	;; [unrolled: 1-line block ×4, first 2 shown]
	v_cmp_eq_u32_e64 s10, 5, v78
	v_cndmask_b32_e64 v87, v87, v85, s9
	v_cmp_eq_u32_e64 s11, 4, v79
	v_cndmask_b32_e64 v88, v88, v72, s8
	;; [unrolled: 2-line block ×3, first 2 shown]
	v_cndmask_b32_e64 v81, v81, v95, s10
	v_cmp_eq_u32_e64 s12, 6, v78
	v_cndmask_b32_e64 v88, v88, v70, s11
	v_cndmask_b32_e64 v87, v87, v98, s10
	v_cmp_eq_u32_e64 s13, 5, v79
	v_cndmask_b32_e64 v90, v68, v65, s5
	v_cndmask_b32_e64 v89, v89, v97, s8
	;; [unrolled: 1-line block ×3, first 2 shown]
	v_cmp_eq_u32_e64 s16, 7, v78
	v_cndmask_b32_e64 v88, v88, v95, s13
	v_cndmask_b32_e64 v87, v87, v86, s12
	v_cmp_eq_u32_e64 s17, 6, v79
	v_cmp_eq_u32_e64 s18, 2, v77
	v_cndmask_b32_e64 v89, v89, v85, s11
	v_cndmask_b32_e64 v100, v81, v96, s16
	;; [unrolled: 1-line block ×6, first 2 shown]
	v_cmp_eq_u32_e64 s19, 7, v79
	v_cmp_eq_u32_e64 s20, 3, v77
	;; [unrolled: 1-line block ×4, first 2 shown]
	v_cndmask_b32_e64 v87, v87, v84, s18
	v_cndmask_b32_e64 v102, v88, v96, s19
	;; [unrolled: 1-line block ×4, first 2 shown]
	v_or_b32_e32 v81, 3, v78
	v_cndmask_b32_e64 v93, v87, v97, s20
	v_cmp_eq_u32_e64 s25, 6, v77
	v_cndmask_b32_e64 v103, v88, v86, s17
	v_cndmask_b32_e64 v92, v89, v70, s21
	v_cmp_eq_u32_e64 s22, 1, v81
	ds_load_b128 v[87:90], v82 offset:1024
	v_cmp_eq_u32_e64 s24, 2, v81
	v_cmp_eq_u32_e64 s26, 3, v81
	v_cndmask_b32_e64 v104, v92, v95, s23
	v_cndmask_b32_e64 v65, v68, v65, s22
	;; [unrolled: 1-line block ×4, first 2 shown]
	ds_load_b128 v[91:94], v82 offset:1040
	v_cmp_eq_u32_e64 s27, 4, v81
	v_cndmask_b32_e64 v65, v65, v69, s24
	v_cmp_eq_u32_e64 s29, 5, v81
	v_cndmask_b32_e64 v69, v83, v84, s24
	v_cmp_eq_u32_e64 s28, 7, v77
	v_cmp_eq_u32_e64 s30, 6, v81
	v_cndmask_b32_e64 v65, v65, v72, s26
	v_cndmask_b32_e64 v72, v104, v71, s25
	;; [unrolled: 1-line block ×6, first 2 shown]
	s_waitcnt lgkmcnt(1)
	v_lshrrev_b32_e32 v84, 16, v87
	v_cndmask_b32_e64 v69, v69, v85, s27
	v_cndmask_b32_e64 v70, v72, v96, s28
	;; [unrolled: 1-line block ×4, first 2 shown]
	v_lshrrev_b32_e32 v95, 16, v88
	v_cndmask_b32_e64 v69, v69, v98, s29
	s_waitcnt lgkmcnt(0)
	v_lshrrev_b32_e32 v85, 16, v91
	v_cndmask_b32_e64 v97, v87, v84, s3
	v_cndmask_b32_e64 v65, v65, v71, s30
	;; [unrolled: 1-line block ×4, first 2 shown]
	v_cndmask_b32_e32 v72, v87, v84, vcc_lo
	v_cndmask_b32_e32 v98, v91, v85, vcc_lo
	v_cmp_eq_u32_e32 vcc_lo, 7, v81
	v_perm_b32 v70, v68, v70, 0x5040100
	v_cndmask_b32_e32 v65, v65, v96, vcc_lo
	v_cndmask_b32_e32 v69, v69, v99, vcc_lo
	v_cndmask_b32_e64 v72, v72, v88, s4
	v_cndmask_b32_e64 v86, v98, v92, s4
	v_lshrrev_b32_e32 v99, 16, v93
	v_lshrrev_b32_e32 v98, 16, v89
	s_delay_alu instid0(VALU_DEP_4) | instskip(SKIP_2) | instid1(VALU_DEP_3)
	v_cndmask_b32_e64 v71, v72, v95, s7
	v_cndmask_b32_e64 v72, v97, v88, s6
	v_lshrrev_b32_e32 v97, 16, v92
	v_cndmask_b32_e64 v71, v71, v89, s9
	s_delay_alu instid0(VALU_DEP_3) | instskip(NEXT) | instid1(VALU_DEP_3)
	v_cndmask_b32_e64 v72, v72, v95, s8
	v_cndmask_b32_e64 v86, v86, v97, s7
	s_delay_alu instid0(VALU_DEP_3) | instskip(SKIP_1) | instid1(VALU_DEP_3)
	v_cndmask_b32_e64 v96, v71, v98, s10
	v_perm_b32 v71, v69, v65, 0x5040100
	v_cndmask_b32_e64 v86, v86, v93, s9
	v_perm_b32 v69, v83, v102, 0x5040100
	v_cndmask_b32_e64 v102, v91, v85, s5
	v_cndmask_b32_e64 v72, v72, v89, s11
	v_lshrrev_b32_e32 v83, 16, v94
	v_cndmask_b32_e64 v86, v86, v99, s10
	s_delay_alu instid0(VALU_DEP_3) | instskip(SKIP_1) | instid1(VALU_DEP_3)
	v_cndmask_b32_e64 v65, v72, v98, s13
	v_cndmask_b32_e64 v72, v96, v90, s12
	;; [unrolled: 1-line block ×7, first 2 shown]
	v_lshrrev_b32_e32 v96, 16, v90
	v_cndmask_b32_e64 v86, v86, v88, s18
	v_cndmask_b32_e64 v84, v84, v88, s24
	;; [unrolled: 1-line block ×29, first 2 shown]
	v_cndmask_b32_e32 v84, v84, v96, vcc_lo
	v_cndmask_b32_e32 v86, v87, v83, vcc_lo
	v_cndmask_b32_e64 v87, v88, v83, s28
	v_cndmask_b32_e64 v88, v85, v83, s19
	;; [unrolled: 1-line block ×3, first 2 shown]
	v_perm_b32 v68, v101, v100, 0x5040100
	v_perm_b32 v86, v86, v84, 0x5040100
	v_perm_b32 v85, v87, v89, 0x5040100
	v_perm_b32 v84, v88, v65, 0x5040100
	v_perm_b32 v83, v83, v72, 0x5040100
	s_mov_b32 s3, exec_lo
	ds_store_b128 v76, v[68:71]
	ds_store_b128 v76, v[83:86] offset:1024
	v_cmpx_eq_u32_e32 0, v0
	s_cbranch_execz .LBB1422_77
; %bb.76:
	s_load_b128 s[4:7], s[0:1], 0x58
	s_mul_i32 s8, s37, s34
	v_mov_b32_e32 v65, 0
	s_add_i32 s8, s8, s15
	s_delay_alu instid0(SALU_CYCLE_1) | instskip(NEXT) | instid1(SALU_CYCLE_1)
	s_mul_i32 s8, s8, s36
	s_add_i32 s8, s8, s14
	s_delay_alu instid0(SALU_CYCLE_1) | instskip(NEXT) | instid1(SALU_CYCLE_1)
	s_ashr_i32 s9, s8, 31
	s_lshl_b64 s[8:9], s[8:9], 2
	s_waitcnt lgkmcnt(0)
	s_add_u32 s6, s6, s8
	s_addc_u32 s7, s7, s9
	s_add_u32 s4, s4, s8
	s_addc_u32 s5, s5, s9
	s_clause 0x1
	global_store_b32 v65, v66, s[6:7]
	global_store_b32 v65, v67, s[4:5]
.LBB1422_77:
	s_or_b32 exec_lo, exec_lo, s3
	s_waitcnt lgkmcnt(0)
	s_waitcnt_vscnt null, 0x0
	s_barrier
	buffer_gl0_inv
	ds_load_b128 v[83:86], v80
	ds_load_b128 v[87:90], v80 offset:16
	ds_load_b128 v[95:98], v80 offset:2064
	;; [unrolled: 1-line block ×3, first 2 shown]
	v_mov_b32_e32 v65, 0
	ds_load_b128 v[103:106], v80 offset:4112
	ds_load_b128 v[99:102], v80 offset:4096
	;; [unrolled: 1-line block ×4, first 2 shown]
	v_mov_b32_e32 v66, v65
	v_mov_b32_e32 v67, v65
	;; [unrolled: 1-line block ×7, first 2 shown]
	s_waitcnt lgkmcnt(6)
	s_delay_alu instid0(VALU_DEP_1)
	v_wmma_f32_16x16x16_bf16 v[65:72], v[49:56], v[83:90], v[65:72]
	ds_load_b128 v[53:56], v80 offset:8208
	ds_load_b128 v[49:52], v80 offset:8192
	s_waitcnt lgkmcnt(6)
	v_wmma_f32_16x16x16_bf16 v[65:72], v[41:48], v[91:98], v[65:72]
	ds_load_b128 v[45:48], v80 offset:10256
	ds_load_b128 v[41:44], v80 offset:10240
	s_waitcnt lgkmcnt(6)
	;; [unrolled: 4-line block ×4, first 2 shown]
	v_wmma_f32_16x16x16_bf16 v[65:72], v[1:8], v[49:56], v[65:72]
	s_waitcnt lgkmcnt(4)
	s_delay_alu instid0(VALU_DEP_1) | instskip(SKIP_1) | instid1(VALU_DEP_1)
	v_wmma_f32_16x16x16_bf16 v[65:72], v[9:16], v[41:48], v[65:72]
	s_waitcnt lgkmcnt(2)
	v_wmma_f32_16x16x16_bf16 v[65:72], v[17:24], v[33:40], v[65:72]
	s_waitcnt lgkmcnt(0)
	s_delay_alu instid0(VALU_DEP_1) | instskip(NEXT) | instid1(VALU_DEP_1)
	v_wmma_f32_16x16x16_bf16 v[65:72], v[57:64], v[25:32], v[65:72]
	v_and_b32_e32 v1, 0x7f800000, v65
	s_delay_alu instid0(VALU_DEP_1) | instskip(SKIP_1) | instid1(SALU_CYCLE_1)
	v_cmp_ne_u32_e32 vcc_lo, 0x7f800000, v1
                                        ; implicit-def: $vgpr1
	s_and_saveexec_b32 s3, vcc_lo
	s_xor_b32 s3, exec_lo, s3
; %bb.78:
	v_bfe_u32 v1, v65, 16, 1
	s_delay_alu instid0(VALU_DEP_1)
	v_add3_u32 v1, v65, v1, 0x7fff
; %bb.79:
	s_and_not1_saveexec_b32 s3, s3
; %bb.80:
	v_and_b32_e32 v1, 0xffff, v65
	v_or_b32_e32 v2, 0x10000, v65
	s_delay_alu instid0(VALU_DEP_2) | instskip(NEXT) | instid1(VALU_DEP_2)
	v_cmp_eq_u32_e32 vcc_lo, 0, v1
	v_cndmask_b32_e32 v1, v2, v65, vcc_lo
; %bb.81:
	s_or_b32 exec_lo, exec_lo, s3
	v_and_b32_e32 v2, 0x7f800000, v66
	s_delay_alu instid0(VALU_DEP_1) | instskip(SKIP_1) | instid1(SALU_CYCLE_1)
	v_cmp_ne_u32_e32 vcc_lo, 0x7f800000, v2
                                        ; implicit-def: $vgpr2
	s_and_saveexec_b32 s3, vcc_lo
	s_xor_b32 s3, exec_lo, s3
; %bb.82:
	v_bfe_u32 v2, v66, 16, 1
	s_delay_alu instid0(VALU_DEP_1)
	v_add3_u32 v2, v66, v2, 0x7fff
; %bb.83:
	s_and_not1_saveexec_b32 s3, s3
; %bb.84:
	v_and_b32_e32 v2, 0xffff, v66
	v_or_b32_e32 v3, 0x10000, v66
	s_delay_alu instid0(VALU_DEP_2) | instskip(NEXT) | instid1(VALU_DEP_2)
	v_cmp_eq_u32_e32 vcc_lo, 0, v2
	v_cndmask_b32_e32 v2, v3, v66, vcc_lo
; %bb.85:
	s_or_b32 exec_lo, exec_lo, s3
	v_and_b32_e32 v3, 0x7f800000, v67
	s_delay_alu instid0(VALU_DEP_1) | instskip(SKIP_1) | instid1(SALU_CYCLE_1)
	v_cmp_ne_u32_e32 vcc_lo, 0x7f800000, v3
                                        ; implicit-def: $vgpr3
	s_and_saveexec_b32 s3, vcc_lo
	s_xor_b32 s3, exec_lo, s3
; %bb.86:
	v_bfe_u32 v3, v67, 16, 1
	s_delay_alu instid0(VALU_DEP_1)
	v_add3_u32 v3, v67, v3, 0x7fff
; %bb.87:
	s_and_not1_saveexec_b32 s3, s3
; %bb.88:
	v_and_b32_e32 v3, 0xffff, v67
	v_or_b32_e32 v4, 0x10000, v67
	s_delay_alu instid0(VALU_DEP_2) | instskip(NEXT) | instid1(VALU_DEP_2)
	v_cmp_eq_u32_e32 vcc_lo, 0, v3
	v_cndmask_b32_e32 v3, v4, v67, vcc_lo
; %bb.89:
	s_or_b32 exec_lo, exec_lo, s3
	v_and_b32_e32 v4, 0x7f800000, v68
	s_delay_alu instid0(VALU_DEP_1) | instskip(SKIP_1) | instid1(SALU_CYCLE_1)
	v_cmp_ne_u32_e32 vcc_lo, 0x7f800000, v4
                                        ; implicit-def: $vgpr4
	s_and_saveexec_b32 s3, vcc_lo
	s_xor_b32 s3, exec_lo, s3
; %bb.90:
	v_bfe_u32 v4, v68, 16, 1
	s_delay_alu instid0(VALU_DEP_1)
	v_add3_u32 v4, v68, v4, 0x7fff
; %bb.91:
	s_and_not1_saveexec_b32 s3, s3
; %bb.92:
	v_and_b32_e32 v4, 0xffff, v68
	v_or_b32_e32 v5, 0x10000, v68
	s_delay_alu instid0(VALU_DEP_2) | instskip(NEXT) | instid1(VALU_DEP_2)
	v_cmp_eq_u32_e32 vcc_lo, 0, v4
	v_cndmask_b32_e32 v4, v5, v68, vcc_lo
; %bb.93:
	s_or_b32 exec_lo, exec_lo, s3
	v_and_b32_e32 v5, 0x7f800000, v69
	s_delay_alu instid0(VALU_DEP_1) | instskip(SKIP_1) | instid1(SALU_CYCLE_1)
	v_cmp_ne_u32_e32 vcc_lo, 0x7f800000, v5
                                        ; implicit-def: $vgpr5
	s_and_saveexec_b32 s3, vcc_lo
	s_xor_b32 s3, exec_lo, s3
; %bb.94:
	v_bfe_u32 v5, v69, 16, 1
	s_delay_alu instid0(VALU_DEP_1)
	v_add3_u32 v5, v69, v5, 0x7fff
; %bb.95:
	s_and_not1_saveexec_b32 s3, s3
; %bb.96:
	v_and_b32_e32 v5, 0xffff, v69
	v_or_b32_e32 v6, 0x10000, v69
	s_delay_alu instid0(VALU_DEP_2) | instskip(NEXT) | instid1(VALU_DEP_2)
	v_cmp_eq_u32_e32 vcc_lo, 0, v5
	v_cndmask_b32_e32 v5, v6, v69, vcc_lo
; %bb.97:
	s_or_b32 exec_lo, exec_lo, s3
	v_and_b32_e32 v6, 0x7f800000, v70
	s_delay_alu instid0(VALU_DEP_1) | instskip(SKIP_1) | instid1(SALU_CYCLE_1)
	v_cmp_ne_u32_e32 vcc_lo, 0x7f800000, v6
                                        ; implicit-def: $vgpr6
	s_and_saveexec_b32 s3, vcc_lo
	s_xor_b32 s3, exec_lo, s3
; %bb.98:
	v_bfe_u32 v6, v70, 16, 1
	s_delay_alu instid0(VALU_DEP_1)
	v_add3_u32 v6, v70, v6, 0x7fff
; %bb.99:
	s_and_not1_saveexec_b32 s3, s3
; %bb.100:
	v_and_b32_e32 v6, 0xffff, v70
	v_or_b32_e32 v7, 0x10000, v70
	s_delay_alu instid0(VALU_DEP_2) | instskip(NEXT) | instid1(VALU_DEP_2)
	v_cmp_eq_u32_e32 vcc_lo, 0, v6
	v_cndmask_b32_e32 v6, v7, v70, vcc_lo
; %bb.101:
	s_or_b32 exec_lo, exec_lo, s3
	v_and_b32_e32 v7, 0x7f800000, v71
	s_delay_alu instid0(VALU_DEP_1) | instskip(SKIP_1) | instid1(SALU_CYCLE_1)
	v_cmp_ne_u32_e32 vcc_lo, 0x7f800000, v7
                                        ; implicit-def: $vgpr7
	s_and_saveexec_b32 s3, vcc_lo
	s_xor_b32 s3, exec_lo, s3
; %bb.102:
	v_bfe_u32 v7, v71, 16, 1
	s_delay_alu instid0(VALU_DEP_1)
	v_add3_u32 v7, v71, v7, 0x7fff
; %bb.103:
	s_and_not1_saveexec_b32 s3, s3
; %bb.104:
	v_and_b32_e32 v7, 0xffff, v71
	v_or_b32_e32 v8, 0x10000, v71
	s_delay_alu instid0(VALU_DEP_2) | instskip(NEXT) | instid1(VALU_DEP_2)
	v_cmp_eq_u32_e32 vcc_lo, 0, v7
	v_cndmask_b32_e32 v7, v8, v71, vcc_lo
; %bb.105:
	s_or_b32 exec_lo, exec_lo, s3
	v_and_b32_e32 v8, 0x7f800000, v72
	s_delay_alu instid0(VALU_DEP_1) | instskip(SKIP_1) | instid1(SALU_CYCLE_1)
	v_cmp_ne_u32_e32 vcc_lo, 0x7f800000, v8
                                        ; implicit-def: $vgpr8
	s_and_saveexec_b32 s3, vcc_lo
	s_xor_b32 s3, exec_lo, s3
; %bb.106:
	v_bfe_u32 v8, v72, 16, 1
	s_delay_alu instid0(VALU_DEP_1)
	v_add3_u32 v8, v72, v8, 0x7fff
                                        ; implicit-def: $vgpr65_vgpr66_vgpr67_vgpr68_vgpr69_vgpr70_vgpr71_vgpr72
; %bb.107:
	s_and_not1_saveexec_b32 s3, s3
; %bb.108:
	v_and_b32_e32 v8, 0xffff, v72
	v_or_b32_e32 v9, 0x10000, v72
	s_delay_alu instid0(VALU_DEP_2) | instskip(NEXT) | instid1(VALU_DEP_2)
	v_cmp_eq_u32_e32 vcc_lo, 0, v8
	v_cndmask_b32_e32 v8, v9, v72, vcc_lo
; %bb.109:
	s_or_b32 exec_lo, exec_lo, s3
	s_delay_alu instid0(VALU_DEP_1)
	v_perm_b32 v7, v8, v7, 0x7060302
	v_perm_b32 v6, v6, v5, 0x7060302
	;; [unrolled: 1-line block ×4, first 2 shown]
	s_barrier
	buffer_gl0_inv
	v_cmp_eq_u32_e32 vcc_lo, 1, v78
	ds_store_b128 v76, v[4:7]
	s_waitcnt lgkmcnt(0)
	s_barrier
	buffer_gl0_inv
	ds_load_b128 v[1:4], v82
	ds_load_b128 v[5:8], v82 offset:16
	v_cmp_eq_u32_e64 s3, 1, v79
	v_cmp_eq_u32_e64 s4, 2, v78
	;; [unrolled: 1-line block ×5, first 2 shown]
	s_waitcnt lgkmcnt(1)
	v_lshrrev_b32_e32 v9, 16, v1
	s_waitcnt lgkmcnt(0)
	v_lshrrev_b32_e32 v13, 16, v5
	v_lshrrev_b32_e32 v10, 16, v2
	;; [unrolled: 1-line block ×4, first 2 shown]
	v_cndmask_b32_e64 v19, v1, v9, s3
	v_cndmask_b32_e32 v18, v5, v13, vcc_lo
	v_cndmask_b32_e64 v20, v5, v13, s3
	v_cndmask_b32_e32 v17, v1, v9, vcc_lo
	v_cmp_eq_u32_e32 vcc_lo, 2, v79
	v_lshrrev_b32_e32 v15, 16, v7
	v_cmp_eq_u32_e64 s3, 1, v77
	v_lshrrev_b32_e32 v12, 16, v4
	v_lshrrev_b32_e32 v16, 16, v8
	v_cndmask_b32_e32 v20, v20, v6, vcc_lo
	v_cndmask_b32_e64 v17, v17, v2, s4
	v_cndmask_b32_e32 v19, v19, v2, vcc_lo
	v_cndmask_b32_e64 v18, v18, v6, s4
	v_cmp_eq_u32_e32 vcc_lo, 4, v78
	v_cmp_eq_u32_e64 s4, 3, v79
	v_cndmask_b32_e64 v17, v17, v10, s5
	v_cndmask_b32_e64 v21, v1, v9, s3
	;; [unrolled: 1-line block ×5, first 2 shown]
	v_cndmask_b32_e32 v17, v17, v3, vcc_lo
	v_cndmask_b32_e64 v20, v20, v14, s4
	v_cndmask_b32_e32 v18, v18, v7, vcc_lo
	v_cmp_eq_u32_e32 vcc_lo, 4, v79
	v_cmp_eq_u32_e64 s4, 5, v79
	v_cmp_eq_u32_e64 s3, 2, v81
	v_cndmask_b32_e64 v21, v21, v2, s7
	v_cmp_eq_u32_e64 s5, 5, v78
	v_cndmask_b32_e32 v19, v19, v3, vcc_lo
	v_cndmask_b32_e32 v20, v20, v7, vcc_lo
	v_cmp_eq_u32_e32 vcc_lo, 6, v79
	s_delay_alu instid0(VALU_DEP_4) | instskip(NEXT) | instid1(VALU_DEP_4)
	v_cndmask_b32_e64 v17, v17, v11, s5
	v_cndmask_b32_e64 v19, v19, v11, s4
	s_delay_alu instid0(VALU_DEP_4) | instskip(SKIP_1) | instid1(VALU_DEP_3)
	v_cndmask_b32_e64 v20, v20, v15, s4
	v_cmp_eq_u32_e64 s4, 1, v81
	v_cndmask_b32_e32 v19, v19, v4, vcc_lo
	v_cndmask_b32_e64 v18, v18, v15, s5
	s_delay_alu instid0(VALU_DEP_3)
	v_cndmask_b32_e64 v1, v1, v9, s4
	v_cndmask_b32_e64 v5, v5, v13, s4
	v_cmp_eq_u32_e64 s4, 3, v77
	v_cndmask_b32_e64 v13, v22, v6, s7
	v_cmp_eq_u32_e64 s7, 3, v81
	v_cndmask_b32_e64 v1, v1, v2, s3
	v_cndmask_b32_e64 v2, v5, v6, s3
	;; [unrolled: 1-line block ×3, first 2 shown]
	v_cmp_eq_u32_e64 s3, 4, v77
	v_cndmask_b32_e64 v6, v13, v14, s4
	v_cndmask_b32_e64 v1, v1, v10, s7
	v_cmp_eq_u32_e64 s4, 4, v81
	v_cndmask_b32_e64 v2, v2, v14, s7
	v_cndmask_b32_e64 v5, v9, v3, s3
	;; [unrolled: 3-line block ×3, first 2 shown]
	v_cndmask_b32_e64 v2, v2, v7, s4
	v_cmp_eq_u32_e64 s3, 5, v81
	v_cndmask_b32_e64 v5, v5, v11, s7
	v_cndmask_b32_e64 v3, v6, v15, s7
	v_cmp_eq_u32_e64 s7, 6, v81
	v_cmp_eq_u32_e64 s5, 6, v78
	v_cndmask_b32_e64 v1, v1, v11, s3
	v_cndmask_b32_e64 v2, v2, v15, s3
	v_cmp_eq_u32_e64 s4, 6, v77
	v_cmp_eq_u32_e64 s3, 7, v81
	v_cndmask_b32_e64 v17, v17, v4, s5
	v_cndmask_b32_e64 v1, v1, v4, s7
	;; [unrolled: 1-line block ×4, first 2 shown]
	v_cmp_eq_u32_e64 s5, 7, v78
	v_cndmask_b32_e64 v5, v5, v4, s4
	v_cndmask_b32_e64 v3, v3, v8, s4
	v_cmp_eq_u32_e64 s4, 7, v77
	v_cndmask_b32_e32 v4, v20, v8, vcc_lo
	v_cndmask_b32_e64 v1, v1, v12, s3
	v_cndmask_b32_e64 v2, v2, v16, s3
	v_cmp_lt_u32_e32 vcc_lo, 31, v0
	v_cmp_lt_u32_e64 s3, 7, v73
	v_cndmask_b32_e64 v17, v17, v12, s5
	v_cndmask_b32_e64 v19, v19, v12, s6
	;; [unrolled: 1-line block ×6, first 2 shown]
	s_or_b32 s3, vcc_lo, s3
	v_perm_b32 v4, v2, v1, 0x5040100
	v_perm_b32 v3, v3, v5, 0x5040100
	;; [unrolled: 1-line block ×4, first 2 shown]
	s_or_b32 s2, s2, s3
	s_delay_alu instid0(SALU_CYCLE_1)
	s_xor_b32 s2, s2, -1
	ds_store_b128 v76, v[1:4]
	s_waitcnt lgkmcnt(0)
	s_barrier
	buffer_gl0_inv
	s_and_saveexec_b32 s3, s2
	s_cbranch_execz .LBB1422_2
; %bb.110:
	s_load_b64 s[0:1], s[0:1], 0x68
	v_lshlrev_b32_e32 v1, 10, v0
	v_and_b32_e32 v0, 1, v0
	v_lshlrev_b32_e32 v2, 6, v75
	s_lshl_b32 s4, s36, 6
	s_delay_alu instid0(VALU_DEP_3) | instskip(NEXT) | instid1(VALU_DEP_3)
	v_and_b32_e32 v1, 0x3800, v1
	v_lshlrev_b32_e32 v0, 4, v0
	s_mul_i32 s2, s4, s34
	s_delay_alu instid0(SALU_CYCLE_1) | instskip(NEXT) | instid1(VALU_DEP_1)
	s_mul_i32 s2, s2, s37
	v_or3_b32 v0, v1, v2, v0
	s_ashr_i32 s3, s2, 31
	s_delay_alu instid0(SALU_CYCLE_1)
	s_lshl_b64 s[2:3], s[2:3], 1
	ds_load_b128 v[0:3], v0
	s_waitcnt lgkmcnt(0)
	s_add_u32 s5, s0, s2
	s_addc_u32 s3, s1, s3
	s_lshl_b32 s0, s14, 6
	s_mul_i32 s2, s4, s15
	s_ashr_i32 s1, s0, 31
	s_delay_alu instid0(SALU_CYCLE_1) | instskip(NEXT) | instid1(SALU_CYCLE_1)
	s_lshl_b64 s[0:1], s[0:1], 1
	s_add_u32 s4, s5, s0
	s_addc_u32 s5, s3, s1
	s_ashr_i32 s3, s2, 31
	s_delay_alu instid0(SALU_CYCLE_1) | instskip(NEXT) | instid1(SALU_CYCLE_1)
	s_lshl_b64 s[0:1], s[2:3], 1
	s_add_u32 s0, s4, s0
	s_addc_u32 s1, s5, s1
	global_store_b128 v74, v[0:3], s[0:1]
	s_nop 0
	s_sendmsg sendmsg(MSG_DEALLOC_VGPRS)
	s_endpgm
	.section	.rodata,"a",@progbits
	.p2align	6, 0x0
	.amdhsa_kernel _Z39paged_attention_ll4mi_QKV_mfma16_kernelI14__hip_bfloat16hLN4vllm18Fp8KVCacheDataTypeE1ES0_Li16ELi64ELi256ELb0ELi1EL8MFMAType1EEvPKT_PKT0_S9_ifPKiSB_SB_iPKfiiiPfSE_PS4_PT2_iSD_SD_
		.amdhsa_group_segment_fixed_size 17472
		.amdhsa_private_segment_fixed_size 0
		.amdhsa_kernarg_size 400
		.amdhsa_user_sgpr_count 13
		.amdhsa_user_sgpr_dispatch_ptr 0
		.amdhsa_user_sgpr_queue_ptr 0
		.amdhsa_user_sgpr_kernarg_segment_ptr 1
		.amdhsa_user_sgpr_dispatch_id 0
		.amdhsa_user_sgpr_private_segment_size 0
		.amdhsa_wavefront_size32 1
		.amdhsa_uses_dynamic_stack 0
		.amdhsa_enable_private_segment 0
		.amdhsa_system_sgpr_workgroup_id_x 1
		.amdhsa_system_sgpr_workgroup_id_y 1
		.amdhsa_system_sgpr_workgroup_id_z 1
		.amdhsa_system_sgpr_workgroup_info 0
		.amdhsa_system_vgpr_workitem_id 0
		.amdhsa_next_free_vgpr 131
		.amdhsa_next_free_sgpr 48
		.amdhsa_reserve_vcc 1
		.amdhsa_float_round_mode_32 0
		.amdhsa_float_round_mode_16_64 0
		.amdhsa_float_denorm_mode_32 3
		.amdhsa_float_denorm_mode_16_64 3
		.amdhsa_dx10_clamp 1
		.amdhsa_ieee_mode 1
		.amdhsa_fp16_overflow 0
		.amdhsa_workgroup_processor_mode 1
		.amdhsa_memory_ordered 1
		.amdhsa_forward_progress 0
		.amdhsa_shared_vgpr_count 0
		.amdhsa_exception_fp_ieee_invalid_op 0
		.amdhsa_exception_fp_denorm_src 0
		.amdhsa_exception_fp_ieee_div_zero 0
		.amdhsa_exception_fp_ieee_overflow 0
		.amdhsa_exception_fp_ieee_underflow 0
		.amdhsa_exception_fp_ieee_inexact 0
		.amdhsa_exception_int_div_zero 0
	.end_amdhsa_kernel
	.section	.text._Z39paged_attention_ll4mi_QKV_mfma16_kernelI14__hip_bfloat16hLN4vllm18Fp8KVCacheDataTypeE1ES0_Li16ELi64ELi256ELb0ELi1EL8MFMAType1EEvPKT_PKT0_S9_ifPKiSB_SB_iPKfiiiPfSE_PS4_PT2_iSD_SD_,"axG",@progbits,_Z39paged_attention_ll4mi_QKV_mfma16_kernelI14__hip_bfloat16hLN4vllm18Fp8KVCacheDataTypeE1ES0_Li16ELi64ELi256ELb0ELi1EL8MFMAType1EEvPKT_PKT0_S9_ifPKiSB_SB_iPKfiiiPfSE_PS4_PT2_iSD_SD_,comdat
.Lfunc_end1422:
	.size	_Z39paged_attention_ll4mi_QKV_mfma16_kernelI14__hip_bfloat16hLN4vllm18Fp8KVCacheDataTypeE1ES0_Li16ELi64ELi256ELb0ELi1EL8MFMAType1EEvPKT_PKT0_S9_ifPKiSB_SB_iPKfiiiPfSE_PS4_PT2_iSD_SD_, .Lfunc_end1422-_Z39paged_attention_ll4mi_QKV_mfma16_kernelI14__hip_bfloat16hLN4vllm18Fp8KVCacheDataTypeE1ES0_Li16ELi64ELi256ELb0ELi1EL8MFMAType1EEvPKT_PKT0_S9_ifPKiSB_SB_iPKfiiiPfSE_PS4_PT2_iSD_SD_
                                        ; -- End function
	.section	.AMDGPU.csdata,"",@progbits
; Kernel info:
; codeLenInByte = 8416
; NumSgprs: 50
; NumVgprs: 131
; ScratchSize: 0
; MemoryBound: 1
; FloatMode: 240
; IeeeMode: 1
; LDSByteSize: 17472 bytes/workgroup (compile time only)
; SGPRBlocks: 6
; VGPRBlocks: 16
; NumSGPRsForWavesPerEU: 50
; NumVGPRsForWavesPerEU: 131
; Occupancy: 10
; WaveLimiterHint : 1
; COMPUTE_PGM_RSRC2:SCRATCH_EN: 0
; COMPUTE_PGM_RSRC2:USER_SGPR: 13
; COMPUTE_PGM_RSRC2:TRAP_HANDLER: 0
; COMPUTE_PGM_RSRC2:TGID_X_EN: 1
; COMPUTE_PGM_RSRC2:TGID_Y_EN: 1
; COMPUTE_PGM_RSRC2:TGID_Z_EN: 1
; COMPUTE_PGM_RSRC2:TIDIG_COMP_CNT: 0
	.section	.text._Z39paged_attention_ll4mi_QKV_mfma16_kernelI14__hip_bfloat16hLN4vllm18Fp8KVCacheDataTypeE1ES0_Li16ELi64ELi256ELb0ELi2EL8MFMAType1EEvPKT_PKT0_S9_ifPKiSB_SB_iPKfiiiPfSE_PS4_PT2_iSD_SD_,"axG",@progbits,_Z39paged_attention_ll4mi_QKV_mfma16_kernelI14__hip_bfloat16hLN4vllm18Fp8KVCacheDataTypeE1ES0_Li16ELi64ELi256ELb0ELi2EL8MFMAType1EEvPKT_PKT0_S9_ifPKiSB_SB_iPKfiiiPfSE_PS4_PT2_iSD_SD_,comdat
	.protected	_Z39paged_attention_ll4mi_QKV_mfma16_kernelI14__hip_bfloat16hLN4vllm18Fp8KVCacheDataTypeE1ES0_Li16ELi64ELi256ELb0ELi2EL8MFMAType1EEvPKT_PKT0_S9_ifPKiSB_SB_iPKfiiiPfSE_PS4_PT2_iSD_SD_ ; -- Begin function _Z39paged_attention_ll4mi_QKV_mfma16_kernelI14__hip_bfloat16hLN4vllm18Fp8KVCacheDataTypeE1ES0_Li16ELi64ELi256ELb0ELi2EL8MFMAType1EEvPKT_PKT0_S9_ifPKiSB_SB_iPKfiiiPfSE_PS4_PT2_iSD_SD_
	.globl	_Z39paged_attention_ll4mi_QKV_mfma16_kernelI14__hip_bfloat16hLN4vllm18Fp8KVCacheDataTypeE1ES0_Li16ELi64ELi256ELb0ELi2EL8MFMAType1EEvPKT_PKT0_S9_ifPKiSB_SB_iPKfiiiPfSE_PS4_PT2_iSD_SD_
	.p2align	8
	.type	_Z39paged_attention_ll4mi_QKV_mfma16_kernelI14__hip_bfloat16hLN4vllm18Fp8KVCacheDataTypeE1ES0_Li16ELi64ELi256ELb0ELi2EL8MFMAType1EEvPKT_PKT0_S9_ifPKiSB_SB_iPKfiiiPfSE_PS4_PT2_iSD_SD_,@function
_Z39paged_attention_ll4mi_QKV_mfma16_kernelI14__hip_bfloat16hLN4vllm18Fp8KVCacheDataTypeE1ES0_Li16ELi64ELi256ELb0ELi2EL8MFMAType1EEvPKT_PKT0_S9_ifPKiSB_SB_iPKfiiiPfSE_PS4_PT2_iSD_SD_: ; @_Z39paged_attention_ll4mi_QKV_mfma16_kernelI14__hip_bfloat16hLN4vllm18Fp8KVCacheDataTypeE1ES0_Li16ELi64ELi256ELb0ELi2EL8MFMAType1EEvPKT_PKT0_S9_ifPKiSB_SB_iPKfiiiPfSE_PS4_PT2_iSD_SD_
; %bb.0:
	s_load_b64 s[2:3], s[0:1], 0x30
	s_mov_b32 s30, s13
	s_waitcnt lgkmcnt(0)
	s_cmp_lg_u64 s[2:3], 0
	s_cselect_b32 s8, -1, 0
	s_ashr_i32 s31, s13, 31
	s_cmp_eq_u64 s[2:3], 0
	s_cbranch_scc1 .LBB1423_3
; %bb.1:
	s_lshl_b64 s[4:5], s[30:31], 2
	s_delay_alu instid0(SALU_CYCLE_1) | instskip(SKIP_4) | instid1(SALU_CYCLE_1)
	s_add_u32 s4, s2, s4
	s_addc_u32 s5, s3, s5
	s_load_b64 s[4:5], s[4:5], 0x0
	s_waitcnt lgkmcnt(0)
	s_sub_i32 s4, s5, s4
	s_cmp_eq_u32 s4, 1
	s_cselect_b32 s4, -1, 0
	s_delay_alu instid0(SALU_CYCLE_1)
	s_and_not1_b32 vcc_lo, exec_lo, s4
	s_cbranch_vccz .LBB1423_4
.LBB1423_2:
	s_endpgm
.LBB1423_3:
.LBB1423_4:
	s_load_b64 s[4:5], s[0:1], 0x28
	s_lshl_b64 s[6:7], s[30:31], 2
	s_waitcnt lgkmcnt(0)
	s_add_u32 s4, s4, s6
	s_addc_u32 s5, s5, s7
	s_lshl_b32 s12, s14, 8
	s_load_b32 s24, s[4:5], 0x0
	s_waitcnt lgkmcnt(0)
	s_cmp_ge_i32 s12, s24
	s_cbranch_scc1 .LBB1423_2
; %bb.5:
	s_clause 0x1
	s_load_b128 s[20:23], s[0:1], 0x8
	s_load_b64 s[4:5], s[0:1], 0x20
	s_and_not1_b32 vcc_lo, exec_lo, s8
	s_cbranch_vccnz .LBB1423_7
; %bb.6:
	s_add_u32 s2, s2, s6
	s_addc_u32 s3, s3, s7
	s_load_b32 s3, s[2:3], 0x0
	s_branch .LBB1423_8
.LBB1423_7:
	s_mov_b32 s3, s30
.LBB1423_8:
	s_load_b128 s[16:19], s[0:1], 0x48
	v_and_b32_e32 v66, 15, v0
	v_bfe_u32 v65, v0, 4, 1
	s_lshl_b32 s31, s15, 1
	v_cmp_gt_u32_e32 vcc_lo, 32, v0
	v_and_b32_e32 v68, 31, v0
	v_lshlrev_b32_e32 v1, 3, v66
	v_cmp_gt_u32_e64 s2, 8, v66
	v_and_b32_e32 v76, 1, v0
	v_or_b32_e32 v75, s31, v65
	v_lshlrev_b32_e32 v74, 6, v65
	v_lshlrev_b32_e32 v73, 1, v1
	s_and_b32 s29, vcc_lo, s2
	s_delay_alu instid0(SALU_CYCLE_1)
	s_and_saveexec_b32 s2, s29
	s_cbranch_execz .LBB1423_10
; %bb.9:
	s_load_b64 s[6:7], s[0:1], 0x0
	v_lshlrev_b32_e32 v1, 6, v75
	s_waitcnt lgkmcnt(0)
	s_mul_hi_i32 s9, s3, s16
	s_mul_i32 s8, s3, s16
	v_lshlrev_b32_e32 v5, 10, v66
	s_lshl_b64 s[8:9], s[8:9], 1
	v_ashrrev_i32_e32 v2, 31, v1
	v_lshlrev_b32_e32 v6, 10, v76
	s_delay_alu instid0(VALU_DEP_3) | instskip(NEXT) | instid1(VALU_DEP_3)
	v_and_b32_e32 v5, 0x3800, v5
	v_lshlrev_b64 v[1:2], 1, v[1:2]
	s_delay_alu instid0(VALU_DEP_2) | instskip(SKIP_2) | instid1(VALU_DEP_2)
	v_or3_b32 v5, v5, v6, v74
	s_add_u32 s3, s6, s8
	s_addc_u32 s6, s7, s9
	v_add_co_u32 v1, vcc_lo, s3, v1
	s_delay_alu instid0(VALU_DEP_3) | instskip(NEXT) | instid1(VALU_DEP_2)
	v_add_co_ci_u32_e32 v2, vcc_lo, s6, v2, vcc_lo
	v_add_co_u32 v1, vcc_lo, v1, v73
	s_delay_alu instid0(VALU_DEP_2)
	v_add_co_ci_u32_e32 v2, vcc_lo, 0, v2, vcc_lo
	global_load_b128 v[1:4], v[1:2], off
	s_waitcnt vmcnt(0)
	ds_store_b128 v5, v[1:4]
.LBB1423_10:
	s_or_b32 exec_lo, exec_lo, s2
	v_and_b32_e32 v1, 0xef, v0
	s_add_i32 s2, s24, 15
	s_waitcnt lgkmcnt(0)
	s_clause 0x1
	s_load_b32 s3, s[0:1], 0x38
	s_load_b32 s19, s[0:1], 0x1c
	s_ashr_i32 s6, s2, 31
	v_add_nc_u32_e32 v1, s12, v1
	s_lshr_b32 s6, s6, 28
	s_waitcnt lgkmcnt(0)
	s_add_i32 s2, s2, s6
	s_barrier
	v_ashrrev_i32_e32 v2, 31, v1
	v_or_b32_e32 v3, 16, v1
	s_ashr_i32 s2, s2, 4
	v_cmp_gt_i32_e32 vcc_lo, s24, v1
	s_add_i32 s2, s2, -1
	v_lshrrev_b32_e32 v2, 28, v2
	buffer_gl0_inv
	s_mul_i32 s27, s15, s18
	v_lshrrev_b32_e32 v67, 5, v0
	v_lshlrev_b32_e32 v71, 6, v76
	v_add_nc_u32_e32 v4, v1, v2
	s_mul_i32 s6, s30, s3
	s_delay_alu instid0(SALU_CYCLE_1) | instskip(NEXT) | instid1(VALU_DEP_1)
	s_ashr_i32 s7, s6, 31
	v_ashrrev_i32_e32 v4, 4, v4
	v_add_nc_u32_e32 v2, v3, v2
	s_lshl_b64 s[6:7], s[6:7], 2
	s_delay_alu instid0(SALU_CYCLE_1) | instskip(NEXT) | instid1(VALU_DEP_2)
	s_add_u32 s26, s4, s6
	v_cndmask_b32_e32 v1, s2, v4, vcc_lo
	s_delay_alu instid0(VALU_DEP_2)
	v_ashrrev_i32_e32 v2, 4, v2
	v_cmp_gt_i32_e32 vcc_lo, s24, v3
	s_addc_u32 s25, s5, s7
	s_ashr_i32 s28, s27, 31
	s_add_u32 s3, s20, s27
	s_addc_u32 s13, s21, s28
	v_cndmask_b32_e32 v3, s2, v2, vcc_lo
	v_ashrrev_i32_e32 v2, 31, v1
	s_lshl_b32 s4, s14, 4
	s_delay_alu instid0(SALU_CYCLE_1) | instskip(NEXT) | instid1(VALU_DEP_2)
	s_ashr_i32 s5, s4, 31
	v_ashrrev_i32_e32 v4, 31, v3
	s_delay_alu instid0(VALU_DEP_2) | instskip(SKIP_1) | instid1(SALU_CYCLE_1)
	v_lshlrev_b64 v[1:2], 2, v[1:2]
	s_lshl_b64 s[4:5], s[4:5], 2
	s_add_u32 s4, s26, s4
	s_delay_alu instid0(VALU_DEP_2) | instskip(SKIP_1) | instid1(VALU_DEP_2)
	v_lshlrev_b64 v[3:4], 2, v[3:4]
	s_addc_u32 s5, s25, s5
	v_add_co_u32 v1, vcc_lo, s26, v1
	v_add_co_ci_u32_e32 v2, vcc_lo, s25, v2, vcc_lo
	s_delay_alu instid0(VALU_DEP_3) | instskip(NEXT) | instid1(VALU_DEP_4)
	v_add_co_u32 v3, vcc_lo, s26, v3
	v_add_co_ci_u32_e32 v4, vcc_lo, s25, v4, vcc_lo
	s_clause 0x1
	global_load_b32 v5, v[1:2], off
	global_load_b32 v7, v[3:4], off
	s_or_b32 s6, s12, 32
	v_lshlrev_b32_e32 v1, 4, v0
	s_ashr_i32 s7, s6, 4
	s_cmp_lt_i32 s6, s24
	s_cselect_b32 s6, s7, s2
	s_delay_alu instid0(VALU_DEP_1) | instskip(SKIP_1) | instid1(SALU_CYCLE_1)
	v_and_b32_e32 v1, 0xf0, v1
	s_ashr_i32 s7, s6, 31
	s_lshl_b64 s[6:7], s[6:7], 2
	s_delay_alu instid0(SALU_CYCLE_1)
	s_add_u32 s6, s26, s6
	s_addc_u32 s7, s25, s7
	s_or_b32 s8, s12, 64
	v_add_co_u32 v1, s3, s3, v1
	s_ashr_i32 s9, s8, 4
	s_cmp_lt_i32 s8, s24
	v_add_co_ci_u32_e64 v2, null, s13, 0, s3
	s_cselect_b32 s8, s9, s2
	s_delay_alu instid0(SALU_CYCLE_1) | instskip(NEXT) | instid1(SALU_CYCLE_1)
	s_ashr_i32 s9, s8, 31
	s_lshl_b64 s[8:9], s[8:9], 2
	s_delay_alu instid0(SALU_CYCLE_1) | instskip(SKIP_2) | instid1(SALU_CYCLE_1)
	s_add_u32 s8, s26, s8
	s_addc_u32 s9, s25, s9
	s_or_b32 s10, s12, 0x60
	s_ashr_i32 s11, s10, 4
	s_cmp_lt_i32 s10, s24
	s_cselect_b32 s10, s11, s2
	s_delay_alu instid0(SALU_CYCLE_1) | instskip(NEXT) | instid1(SALU_CYCLE_1)
	s_ashr_i32 s11, s10, 31
	s_lshl_b64 s[10:11], s[10:11], 2
	s_delay_alu instid0(SALU_CYCLE_1) | instskip(SKIP_2) | instid1(SALU_CYCLE_1)
	s_add_u32 s10, s26, s10
	s_addc_u32 s11, s25, s11
	s_or_b32 s15, s12, 0x80
	s_ashr_i32 s16, s15, 4
	s_cmp_lt_i32 s15, s24
	;; [unrolled: 10-line block ×3, first 2 shown]
	s_cselect_b32 s20, s16, s2
	s_delay_alu instid0(SALU_CYCLE_1) | instskip(NEXT) | instid1(SALU_CYCLE_1)
	s_ashr_i32 s21, s20, 31
	s_lshl_b64 s[20:21], s[20:21], 2
	s_delay_alu instid0(SALU_CYCLE_1)
	s_add_u32 s36, s26, s20
	s_addc_u32 s37, s25, s21
	s_clause 0x5
	s_load_b32 s20, s[4:5], 0x0
	s_load_b32 s3, s[6:7], 0x0
	;; [unrolled: 1-line block ×6, first 2 shown]
	s_or_b32 s6, s12, 0xc0
	s_mov_b32 s4, 0
	s_ashr_i32 s7, s6, 4
	s_cmp_lt_i32 s6, s24
	s_mov_b32 s5, s4
	s_cselect_b32 s10, s7, s2
	s_mov_b32 s6, s4
	s_ashr_i32 s11, s10, 31
	s_mov_b32 s7, s4
	s_lshl_b64 s[10:11], s[10:11], 2
	s_mov_b32 s8, s4
	s_add_u32 s34, s26, s10
	s_addc_u32 s35, s25, s11
	s_or_b32 s11, s12, 0xe0
	s_mov_b32 s9, s4
	s_ashr_i32 s21, s11, 4
	s_cmp_lt_i32 s11, s24
	s_mov_b32 s11, s4
	s_cselect_b32 s36, s21, s2
	s_mov_b32 s10, s4
	s_ashr_i32 s37, s36, 31
	v_mov_b32_e32 v108, s11
	v_dual_mov_b32 v102, s5 :: v_dual_mov_b32 v107, s10
	v_dual_mov_b32 v106, s9 :: v_dual_mov_b32 v105, s8
	v_dual_mov_b32 v104, s7 :: v_dual_mov_b32 v103, s6
	v_mov_b32_e32 v101, s4
	s_lshl_b64 s[4:5], s[36:37], 2
	s_delay_alu instid0(SALU_CYCLE_1)
	s_add_u32 s4, s26, s4
	s_addc_u32 s5, s25, s5
	s_add_u32 s6, s22, s27
	s_addc_u32 s7, s23, s28
	s_waitcnt vmcnt(1)
	v_mad_i64_i32 v[3:4], null, v5, s17, v[1:2]
	s_waitcnt vmcnt(0)
	v_mad_i64_i32 v[5:6], null, v7, s17, v[1:2]
	v_lshlrev_b32_e32 v1, 4, v66
	s_clause 0x7
	global_load_b128 v[49:52], v[3:4], off
	global_load_b128 v[53:56], v[3:4], off offset:256
	global_load_b128 v[77:80], v[5:6], off
	global_load_b128 v[81:84], v[5:6], off offset:256
	global_load_b128 v[85:88], v[3:4], off offset:512
	;; [unrolled: 1-line block ×5, first 2 shown]
	v_lshl_or_b32 v1, v67, 8, v1
	s_load_b32 s2, s[34:35], 0x0
	ds_load_b128 v[109:112], v71
	ds_load_b128 v[113:116], v71 offset:1024
	s_load_b32 s4, s[4:5], 0x0
	v_add_co_u32 v9, s6, s6, v1
	s_delay_alu instid0(VALU_DEP_1) | instskip(SKIP_1) | instid1(VALU_DEP_1)
	v_add_co_ci_u32_e64 v10, null, s7, 0, s6
	s_waitcnt lgkmcnt(0)
	v_mad_i64_i32 v[1:2], null, s20, s17, v[9:10]
	v_mad_i64_i32 v[3:4], null, s3, s17, v[9:10]
	;; [unrolled: 1-line block ×7, first 2 shown]
	s_clause 0x9
	global_load_b128 v[57:60], v[1:2], off
	global_load_b128 v[61:64], v[1:2], off offset:16
	global_load_b128 v[41:44], v[3:4], off
	global_load_b128 v[45:48], v[3:4], off offset:16
	;; [unrolled: 2-line block ×5, first 2 shown]
	v_mad_i64_i32 v[69:70], null, s4, s17, v[9:10]
	s_clause 0x3
	global_load_b128 v[9:12], v[13:14], off
	global_load_b128 v[13:16], v[13:14], off offset:16
	global_load_b128 v[17:20], v[21:22], off
	global_load_b128 v[21:24], v[21:22], off offset:16
	s_waitcnt vmcnt(20)
	v_wmma_f32_16x16x16_bf16 v[117:124], v[49:56], v[109:116], v[101:108]
	s_clause 0x1
	global_load_b128 v[49:52], v[69:70], off
	global_load_b128 v[53:56], v[69:70], off offset:16
	s_waitcnt vmcnt(20)
	v_wmma_f32_16x16x16_bf16 v[101:108], v[77:84], v[109:116], v[101:108]
	ds_load_b128 v[77:80], v71 offset:2048
	ds_load_b128 v[81:84], v71 offset:3072
	v_mbcnt_lo_u32_b32 v70, -1, 0
	s_waitcnt vmcnt(0) lgkmcnt(0)
	s_barrier
	buffer_gl0_inv
	v_xor_b32_e32 v71, 16, v70
	s_delay_alu instid0(VALU_DEP_1) | instskip(SKIP_4) | instid1(VALU_DEP_2)
	v_cmp_gt_i32_e32 vcc_lo, 32, v71
	v_cndmask_b32_e32 v70, v70, v71, vcc_lo
	v_wmma_f32_16x16x16_bf16 v[101:108], v[93:100], v[77:84], v[101:108]
	v_and_b32_e32 v69, 0xe0, v0
	v_wmma_f32_16x16x16_bf16 v[117:124], v[85:92], v[77:84], v[117:124]
	v_dual_mul_f32 v98, s19, v106 :: v_dual_add_nc_u32 v69, s12, v69
	s_delay_alu instid0(VALU_DEP_4) | instskip(NEXT) | instid1(VALU_DEP_3)
	v_mul_f32_e32 v96, s19, v108
	v_dual_mul_f32 v94, s19, v118 :: v_dual_mul_f32 v95, s19, v117
	s_delay_alu instid0(VALU_DEP_4) | instskip(NEXT) | instid1(VALU_DEP_4)
	v_mul_f32_e32 v84, s19, v120
	v_or_b32_e32 v69, v69, v65
	v_dual_mul_f32 v93, s19, v119 :: v_dual_mul_f32 v82, s19, v122
	v_dual_mul_f32 v83, s19, v121 :: v_dual_mul_f32 v80, s19, v124
	s_delay_alu instid0(VALU_DEP_3)
	v_or_b32_e32 v71, 2, v69
	v_or_b32_e32 v72, 4, v69
	;; [unrolled: 1-line block ×3, first 2 shown]
	v_cmp_gt_i32_e64 s2, s24, v69
	v_or_b32_e32 v110, 8, v69
	v_cmp_gt_i32_e32 vcc_lo, s24, v71
	v_or_b32_e32 v85, 10, v69
	v_cmp_gt_i32_e64 s3, s24, v72
	v_cndmask_b32_e64 v95, 0xff7fffff, v95, s2
	v_cmp_gt_i32_e64 s4, s24, v109
	v_cndmask_b32_e32 v94, 0xff7fffff, v94, vcc_lo
	v_or_b32_e32 v86, 12, v69
	v_or_b32_e32 v87, 14, v69
	v_mul_f32_e32 v72, s19, v101
	v_cndmask_b32_e64 v93, 0xff7fffff, v93, s3
	v_cndmask_b32_e64 v84, 0xff7fffff, v84, s4
	v_max3_f32 v94, v95, 0xff7fffff, v94
	v_cmp_gt_i32_e64 s5, s24, v110
	v_cmp_gt_i32_e64 s6, s24, v85
	v_or_b32_e32 v88, 16, v69
	v_or_b32_e32 v89, 18, v69
	v_dual_mul_f32 v81, s19, v123 :: v_dual_mul_f32 v100, s19, v104
	v_cndmask_b32_e64 v83, 0xff7fffff, v83, s5
	v_cndmask_b32_e64 v82, 0xff7fffff, v82, s6
	v_max3_f32 v84, v94, v93, v84
	v_cmp_gt_i32_e64 s7, s24, v86
	v_cmp_gt_i32_e64 s8, s24, v87
	v_or_b32_e32 v90, 20, v69
	v_or_b32_e32 v91, 22, v69
	;; [unrolled: 1-line block ×6, first 2 shown]
	v_mul_f32_e32 v69, s19, v102
	v_cndmask_b32_e64 v81, 0xff7fffff, v81, s7
	v_cndmask_b32_e64 v80, 0xff7fffff, v80, s8
	v_max3_f32 v82, v84, v83, v82
	v_cmp_gt_i32_e64 s9, s24, v88
	v_cmp_gt_i32_e64 s10, s24, v89
	v_mul_f32_e32 v71, s19, v103
	v_cmp_gt_i32_e64 s11, s24, v90
	v_max3_f32 v80, v82, v81, v80
	v_cndmask_b32_e64 v72, 0xff7fffff, v72, s9
	v_cndmask_b32_e64 v69, 0xff7fffff, v69, s10
	v_cmp_gt_i32_e64 s12, s24, v91
	v_mul_f32_e32 v99, s19, v105
	v_cndmask_b32_e64 v71, 0xff7fffff, v71, s11
	v_cmp_gt_i32_e64 s13, s24, v92
	v_max3_f32 v69, v80, v72, v69
	v_cndmask_b32_e64 v81, 0xff7fffff, v100, s12
	v_cmp_gt_i32_e64 s15, s24, v77
	v_mul_f32_e32 v97, s19, v107
	v_cndmask_b32_e64 v72, 0xff7fffff, v99, s13
	v_cmp_gt_i32_e64 s16, s24, v78
	v_max3_f32 v69, v69, v71, v81
	v_cndmask_b32_e64 v77, 0xff7fffff, v98, s15
	v_cmp_gt_i32_e64 s17, s24, v79
	v_lshlrev_b32_e32 v91, 2, v70
	v_cndmask_b32_e64 v71, 0xff7fffff, v97, s16
	s_delay_alu instid0(VALU_DEP_4) | instskip(NEXT) | instid1(VALU_DEP_4)
	v_max3_f32 v69, v69, v72, v77
	v_cndmask_b32_e64 v78, 0xff7fffff, v96, s17
	s_delay_alu instid0(VALU_DEP_1) | instskip(SKIP_3) | instid1(VALU_DEP_1)
	v_max3_f32 v69, v69, v71, v78
	ds_bpermute_b32 v70, v91, v69
	s_waitcnt lgkmcnt(0)
	v_max_f32_e32 v70, v70, v70
	v_max_f32_e32 v69, v69, v70
	s_delay_alu instid0(VALU_DEP_1) | instskip(SKIP_4) | instid1(VALU_DEP_4)
	v_fma_f32 v70, s19, v117, -v69
	v_fma_f32 v71, s19, v118, -v69
	;; [unrolled: 1-line block ×5, first 2 shown]
	v_dual_mul_f32 v70, 0x3fb8aa3b, v70 :: v_dual_mul_f32 v71, 0x3fb8aa3b, v71
	s_delay_alu instid0(VALU_DEP_3) | instskip(NEXT) | instid1(VALU_DEP_3)
	v_dual_mul_f32 v72, 0x3fb8aa3b, v72 :: v_dual_mul_f32 v77, 0x3fb8aa3b, v77
	v_mul_f32_e32 v78, 0x3fb8aa3b, v78
	s_delay_alu instid0(VALU_DEP_3) | instskip(NEXT) | instid1(VALU_DEP_3)
	v_exp_f32_e32 v70, v70
	v_exp_f32_e32 v71, v71
	s_delay_alu instid0(VALU_DEP_2)
	v_exp_f32_e32 v72, v72
	v_exp_f32_e32 v79, v77
	;; [unrolled: 1-line block ×3, first 2 shown]
	v_cndmask_b32_e64 v81, 0, v70, s2
	v_fma_f32 v70, s19, v122, -v69
	v_cndmask_b32_e32 v77, 0, v71, vcc_lo
	s_delay_alu instid0(TRANS32_DEP_3)
	v_cndmask_b32_e64 v85, 0, v72, s3
	s_waitcnt_depctr 0xfff
	v_cndmask_b32_e64 v87, 0, v79, s4
	v_dual_add_f32 v71, 0, v81 :: v_dual_mul_f32 v70, 0x3fb8aa3b, v70
	v_cndmask_b32_e64 v88, 0, v78, s5
	s_mov_b32 s2, exec_lo
	s_delay_alu instid0(VALU_DEP_2) | instskip(NEXT) | instid1(VALU_DEP_3)
	v_add_f32_e32 v71, v71, v77
	v_exp_f32_e32 v70, v70
	s_delay_alu instid0(VALU_DEP_1) | instskip(NEXT) | instid1(VALU_DEP_1)
	v_add_f32_e32 v71, v71, v85
	v_add_f32_e32 v71, v71, v87
	s_waitcnt_depctr 0xfff
	v_cndmask_b32_e64 v89, 0, v70, s6
	v_add_f32_e32 v70, v71, v88
	s_delay_alu instid0(VALU_DEP_1)
	v_add_f32_e32 v70, v70, v89
	v_fma_f32 v80, s19, v123, -v69
	v_fma_f32 v72, s19, v124, -v69
	;; [unrolled: 1-line block ×5, first 2 shown]
	v_mul_f32_e32 v80, 0x3fb8aa3b, v80
	s_delay_alu instid0(VALU_DEP_4) | instskip(NEXT) | instid1(VALU_DEP_3)
	v_dual_mul_f32 v72, 0x3fb8aa3b, v72 :: v_dual_mul_f32 v79, 0x3fb8aa3b, v79
	v_dual_mul_f32 v78, 0x3fb8aa3b, v78 :: v_dual_mul_f32 v71, 0x3fb8aa3b, v71
	s_delay_alu instid0(VALU_DEP_3) | instskip(NEXT) | instid1(VALU_DEP_2)
	v_exp_f32_e32 v80, v80
	v_exp_f32_e32 v72, v72
	s_delay_alu instid0(VALU_DEP_2) | instskip(NEXT) | instid1(VALU_DEP_1)
	v_exp_f32_e32 v79, v79
	v_exp_f32_e32 v78, v78
	v_exp_f32_e32 v82, v71
	v_fma_f32 v83, s19, v106, -v69
	v_cndmask_b32_e64 v86, 0, v80, s7
	v_fma_f32 v80, s19, v104, -v69
	v_cndmask_b32_e64 v90, 0, v72, s8
	v_fma_f32 v72, s19, v105, -v69
	s_delay_alu instid0(TRANS32_DEP_3) | instskip(SKIP_2) | instid1(VALU_DEP_2)
	v_cndmask_b32_e64 v71, 0, v79, s9
	v_add_f32_e32 v70, v70, v86
	v_dual_mul_f32 v80, 0x3fb8aa3b, v80 :: v_dual_mul_f32 v83, 0x3fb8aa3b, v83
	v_dual_mul_f32 v72, 0x3fb8aa3b, v72 :: v_dual_add_f32 v79, v70, v90
	s_delay_alu instid0(VALU_DEP_2) | instskip(SKIP_1) | instid1(VALU_DEP_2)
	v_exp_f32_e32 v80, v80
	v_cndmask_b32_e64 v70, 0, v78, s10
	v_exp_f32_e32 v84, v72
	v_cndmask_b32_e64 v72, 0, v82, s11
	v_add_f32_e32 v78, v79, v71
	v_fma_f32 v79, s19, v107, -v69
	v_exp_f32_e32 v83, v83
	s_delay_alu instid0(VALU_DEP_1) | instskip(NEXT) | instid1(TRANS32_DEP_3)
	v_dual_add_f32 v82, v78, v70 :: v_dual_mul_f32 v79, 0x3fb8aa3b, v79
	v_cndmask_b32_e64 v78, 0, v80, s12
	s_delay_alu instid0(VALU_DEP_2) | instskip(SKIP_1) | instid1(VALU_DEP_4)
	v_add_f32_e32 v80, v82, v72
	v_fma_f32 v82, s19, v108, -v69
	v_exp_f32_e32 v92, v79
	v_cndmask_b32_e64 v79, 0, v84, s13
	s_delay_alu instid0(VALU_DEP_3) | instskip(NEXT) | instid1(VALU_DEP_3)
	v_add_f32_e32 v84, v80, v78
	v_mul_f32_e32 v82, 0x3fb8aa3b, v82
	s_delay_alu instid0(TRANS32_DEP_2) | instskip(NEXT) | instid1(VALU_DEP_3)
	v_cndmask_b32_e64 v80, 0, v83, s15
	v_add_f32_e32 v83, v84, v79
	s_delay_alu instid0(VALU_DEP_3) | instskip(NEXT) | instid1(TRANS32_DEP_2)
	v_exp_f32_e32 v84, v82
	v_cndmask_b32_e64 v82, 0, v92, s16
	s_delay_alu instid0(VALU_DEP_2) | instskip(NEXT) | instid1(VALU_DEP_1)
	v_add_f32_e32 v83, v83, v80
	v_add_f32_e32 v92, v83, v82
	s_waitcnt_depctr 0xfff
	v_cndmask_b32_e64 v83, 0, v84, s17
	s_delay_alu instid0(VALU_DEP_1)
	v_add_f32_e32 v84, v92, v83
	ds_bpermute_b32 v91, v91, v84
	v_cmpx_gt_u32_e32 16, v68
	s_cbranch_execz .LBB1423_12
; %bb.11:
	v_mul_u32_u24_e32 v68, 0x44, v67
	s_waitcnt lgkmcnt(0)
	v_add_f32_e32 v84, v84, v91
	s_delay_alu instid0(VALU_DEP_2) | instskip(NEXT) | instid1(VALU_DEP_1)
	v_lshl_add_u32 v68, v66, 2, v68
	v_add_nc_u32_e32 v68, 0x4000, v68
	ds_store_2addr_b32 v68, v69, v84 offset1:136
.LBB1423_12:
	s_or_b32 exec_lo, exec_lo, s2
	v_lshlrev_b32_e32 v68, 2, v66
	s_waitcnt lgkmcnt(0)
	s_barrier
	buffer_gl0_inv
	v_cmp_eq_u32_e32 vcc_lo, 1, v67
	v_add_nc_u32_e32 v84, 0x4000, v68
	v_cmp_eq_u32_e64 s2, 2, v67
	v_cmp_eq_u32_e64 s4, 7, v67
	ds_load_2addr_b32 v[91:92], v84 offset1:17
	ds_load_2addr_b32 v[93:94], v84 offset0:34 offset1:51
	ds_load_2addr_b32 v[95:96], v84 offset0:68 offset1:85
	;; [unrolled: 1-line block ×4, first 2 shown]
	s_waitcnt lgkmcnt(4)
	v_max3_f32 v68, v91, 0xff7fffff, v92
	s_waitcnt lgkmcnt(3)
	s_delay_alu instid0(VALU_DEP_1) | instskip(SKIP_1) | instid1(VALU_DEP_1)
	v_max3_f32 v68, v68, v93, v94
	s_waitcnt lgkmcnt(2)
	v_max3_f32 v68, v68, v95, v96
	s_waitcnt lgkmcnt(1)
	s_delay_alu instid0(VALU_DEP_1) | instskip(NEXT) | instid1(VALU_DEP_1)
	v_max3_f32 v68, v68, v97, v98
	v_sub_f32_e32 v69, v91, v68
	v_sub_f32_e32 v93, v93, v68
	v_sub_f32_e32 v95, v95, v68
	s_delay_alu instid0(VALU_DEP_3) | instskip(NEXT) | instid1(VALU_DEP_3)
	v_mul_f32_e32 v69, 0x3fb8aa3b, v69
	v_mul_f32_e32 v103, 0x3fb8aa3b, v93
	s_delay_alu instid0(VALU_DEP_3) | instskip(NEXT) | instid1(VALU_DEP_3)
	v_mul_f32_e32 v105, 0x3fb8aa3b, v95
	v_exp_f32_e32 v102, v69
	v_sub_f32_e32 v69, v94, v68
	v_sub_f32_e32 v101, v92, v68
	ds_load_2addr_b32 v[91:92], v84 offset0:170 offset1:187
	v_exp_f32_e32 v103, v103
	v_mul_f32_e32 v104, 0x3fb8aa3b, v69
	v_mul_f32_e32 v101, 0x3fb8aa3b, v101
	s_waitcnt lgkmcnt(1)
	v_fma_f32 v69, v102, v99, 0
	v_sub_f32_e32 v99, v96, v68
	s_delay_alu instid0(VALU_DEP_3) | instskip(SKIP_4) | instid1(VALU_DEP_1)
	v_exp_f32_e32 v101, v101
	v_exp_f32_e32 v104, v104
	s_waitcnt_depctr 0xfff
	v_fmac_f32_e32 v69, v101, v100
	s_waitcnt lgkmcnt(0)
	v_fmac_f32_e32 v69, v103, v91
	ds_load_2addr_b32 v[93:94], v84 offset0:204 offset1:221
	ds_load_2addr_b32 v[95:96], v84 offset0:238 offset1:255
	v_dual_sub_f32 v84, v97, v68 :: v_dual_mul_f32 v97, 0x3fb8aa3b, v99
	v_exp_f32_e32 v99, v105
	v_sub_f32_e32 v91, v98, v68
	v_fmac_f32_e32 v69, v104, v92
	s_delay_alu instid0(VALU_DEP_3)
	v_mul_f32_e32 v84, 0x3fb8aa3b, v84
	v_exp_f32_e32 v97, v97
	s_waitcnt lgkmcnt(0)
	v_mul_f32_e32 v91, 0x3fb8aa3b, v91
	s_barrier
	v_exp_f32_e32 v84, v84
	buffer_gl0_inv
	v_exp_f32_e32 v91, v91
	v_fmac_f32_e32 v69, v99, v93
	s_delay_alu instid0(VALU_DEP_1) | instskip(NEXT) | instid1(VALU_DEP_1)
	v_fmac_f32_e32 v69, v97, v94
	v_fmac_f32_e32 v69, v84, v95
	s_waitcnt_depctr 0xfff
	v_fmac_f32_e32 v69, v91, v96
	s_delay_alu instid0(VALU_DEP_1) | instskip(NEXT) | instid1(VALU_DEP_1)
	v_add_f32_e32 v92, 0x358637bd, v69
	v_div_scale_f32 v93, null, v92, v92, 1.0
	v_div_scale_f32 v96, s3, 1.0, v92, 1.0
	s_delay_alu instid0(VALU_DEP_2) | instskip(SKIP_2) | instid1(VALU_DEP_1)
	v_rcp_f32_e32 v94, v93
	s_waitcnt_depctr 0xfff
	v_fma_f32 v95, -v93, v94, 1.0
	v_dual_fmac_f32 v94, v95, v94 :: v_dual_cndmask_b32 v95, v102, v101
	v_cmp_eq_u32_e32 vcc_lo, 3, v67
	s_delay_alu instid0(VALU_DEP_2) | instskip(NEXT) | instid1(VALU_DEP_3)
	v_mul_f32_e32 v98, v96, v94
	v_cndmask_b32_e64 v95, v95, v103, s2
	v_cmp_eq_u32_e64 s2, 4, v67
	s_delay_alu instid0(VALU_DEP_3) | instskip(NEXT) | instid1(VALU_DEP_3)
	v_fma_f32 v100, -v93, v98, v96
	v_cndmask_b32_e32 v95, v95, v104, vcc_lo
	v_cmp_eq_u32_e32 vcc_lo, 5, v67
	s_delay_alu instid0(VALU_DEP_3) | instskip(NEXT) | instid1(VALU_DEP_3)
	v_fmac_f32_e32 v98, v100, v94
	v_cndmask_b32_e64 v95, v95, v99, s2
	v_cmp_eq_u32_e64 s2, 6, v67
	s_delay_alu instid0(VALU_DEP_3) | instskip(NEXT) | instid1(VALU_DEP_3)
	v_fma_f32 v93, -v93, v98, v96
	v_cndmask_b32_e32 v95, v95, v97, vcc_lo
	s_mov_b32 vcc_lo, s3
	s_delay_alu instid0(VALU_DEP_2) | instskip(NEXT) | instid1(VALU_DEP_2)
	v_div_fmas_f32 v93, v93, v94, v98
	v_cndmask_b32_e64 v84, v95, v84, s2
	s_mov_b32 s2, exec_lo
	s_delay_alu instid0(VALU_DEP_2) | instskip(NEXT) | instid1(VALU_DEP_2)
	v_div_fixup_f32 v92, v93, v92, 1.0
	v_cndmask_b32_e64 v84, v84, v91, s4
	s_delay_alu instid0(VALU_DEP_1) | instskip(NEXT) | instid1(VALU_DEP_1)
	v_mul_f32_e32 v84, v84, v92
	v_mul_f32_e32 v92, v84, v81
	;; [unrolled: 1-line block ×6, first 2 shown]
	v_and_b32_e32 v93, 0x7f800000, v92
	v_mul_f32_e32 v91, v84, v87
	v_mul_f32_e32 v88, v84, v85
	;; [unrolled: 1-line block ×3, first 2 shown]
                                        ; implicit-def: $vgpr77
	s_delay_alu instid0(VALU_DEP_4)
	v_cmpx_ne_u32_e32 0x7f800000, v93
	s_xor_b32 s2, exec_lo, s2
; %bb.13:
	v_bfe_u32 v77, v92, 16, 1
	s_delay_alu instid0(VALU_DEP_1)
	v_add3_u32 v77, v92, v77, 0x7fff
                                        ; implicit-def: $vgpr92
; %bb.14:
	s_and_not1_saveexec_b32 s2, s2
; %bb.15:
	v_and_b32_e32 v77, 0xffff, v92
	v_or_b32_e32 v85, 0x10000, v92
	s_delay_alu instid0(VALU_DEP_2) | instskip(NEXT) | instid1(VALU_DEP_2)
	v_cmp_eq_u32_e32 vcc_lo, 0, v77
	v_cndmask_b32_e32 v77, v85, v92, vcc_lo
; %bb.16:
	s_or_b32 exec_lo, exec_lo, s2
	v_and_b32_e32 v85, 0x7f800000, v87
	s_delay_alu instid0(VALU_DEP_1) | instskip(SKIP_1) | instid1(SALU_CYCLE_1)
	v_cmp_ne_u32_e32 vcc_lo, 0x7f800000, v85
                                        ; implicit-def: $vgpr85
	s_and_saveexec_b32 s2, vcc_lo
	s_xor_b32 s2, exec_lo, s2
; %bb.17:
	v_bfe_u32 v85, v87, 16, 1
	s_delay_alu instid0(VALU_DEP_1)
	v_add3_u32 v85, v87, v85, 0x7fff
                                        ; implicit-def: $vgpr87
; %bb.18:
	s_and_not1_saveexec_b32 s2, s2
; %bb.19:
	v_and_b32_e32 v85, 0xffff, v87
	v_or_b32_e32 v92, 0x10000, v87
	s_delay_alu instid0(VALU_DEP_2) | instskip(NEXT) | instid1(VALU_DEP_2)
	v_cmp_eq_u32_e32 vcc_lo, 0, v85
	v_cndmask_b32_e32 v85, v92, v87, vcc_lo
; %bb.20:
	s_or_b32 exec_lo, exec_lo, s2
	v_and_b32_e32 v87, 0x7f800000, v88
	s_delay_alu instid0(VALU_DEP_1) | instskip(SKIP_1) | instid1(SALU_CYCLE_1)
	v_cmp_ne_u32_e32 vcc_lo, 0x7f800000, v87
                                        ; implicit-def: $vgpr87
	s_and_saveexec_b32 s2, vcc_lo
	s_xor_b32 s2, exec_lo, s2
; %bb.21:
	v_bfe_u32 v87, v88, 16, 1
	s_delay_alu instid0(VALU_DEP_1)
	v_add3_u32 v87, v88, v87, 0x7fff
                                        ; implicit-def: $vgpr88
; %bb.22:
	s_and_not1_saveexec_b32 s2, s2
; %bb.23:
	v_and_b32_e32 v87, 0xffff, v88
	v_or_b32_e32 v92, 0x10000, v88
	s_delay_alu instid0(VALU_DEP_2) | instskip(NEXT) | instid1(VALU_DEP_2)
	v_cmp_eq_u32_e32 vcc_lo, 0, v87
	v_cndmask_b32_e32 v87, v92, v88, vcc_lo
; %bb.24:
	s_or_b32 exec_lo, exec_lo, s2
	v_and_b32_e32 v88, 0x7f800000, v91
	s_delay_alu instid0(VALU_DEP_1) | instskip(SKIP_1) | instid1(SALU_CYCLE_1)
	v_cmp_ne_u32_e32 vcc_lo, 0x7f800000, v88
                                        ; implicit-def: $vgpr88
	s_and_saveexec_b32 s2, vcc_lo
	s_xor_b32 s2, exec_lo, s2
; %bb.25:
	v_bfe_u32 v88, v91, 16, 1
	s_delay_alu instid0(VALU_DEP_1)
	v_add3_u32 v88, v91, v88, 0x7fff
                                        ; implicit-def: $vgpr91
; %bb.26:
	s_and_not1_saveexec_b32 s2, s2
; %bb.27:
	v_and_b32_e32 v88, 0xffff, v91
	v_or_b32_e32 v92, 0x10000, v91
	s_delay_alu instid0(VALU_DEP_2) | instskip(NEXT) | instid1(VALU_DEP_2)
	v_cmp_eq_u32_e32 vcc_lo, 0, v88
	v_cndmask_b32_e32 v88, v92, v91, vcc_lo
; %bb.28:
	s_or_b32 exec_lo, exec_lo, s2
	v_and_b32_e32 v91, 0x7f800000, v90
	s_delay_alu instid0(VALU_DEP_1) | instskip(SKIP_1) | instid1(SALU_CYCLE_1)
	v_cmp_ne_u32_e32 vcc_lo, 0x7f800000, v91
                                        ; implicit-def: $vgpr91
	s_and_saveexec_b32 s2, vcc_lo
	s_xor_b32 s2, exec_lo, s2
; %bb.29:
	v_bfe_u32 v91, v90, 16, 1
	s_delay_alu instid0(VALU_DEP_1)
	v_add3_u32 v91, v90, v91, 0x7fff
                                        ; implicit-def: $vgpr90
; %bb.30:
	s_and_not1_saveexec_b32 s2, s2
; %bb.31:
	v_and_b32_e32 v91, 0xffff, v90
	v_or_b32_e32 v92, 0x10000, v90
	s_delay_alu instid0(VALU_DEP_2) | instskip(NEXT) | instid1(VALU_DEP_2)
	v_cmp_eq_u32_e32 vcc_lo, 0, v91
	v_cndmask_b32_e32 v91, v92, v90, vcc_lo
; %bb.32:
	s_or_b32 exec_lo, exec_lo, s2
	v_and_b32_e32 v90, 0x7f800000, v89
	s_delay_alu instid0(VALU_DEP_1) | instskip(SKIP_1) | instid1(SALU_CYCLE_1)
	v_cmp_ne_u32_e32 vcc_lo, 0x7f800000, v90
                                        ; implicit-def: $vgpr90
	s_and_saveexec_b32 s2, vcc_lo
	s_xor_b32 s2, exec_lo, s2
; %bb.33:
	v_bfe_u32 v90, v89, 16, 1
	s_delay_alu instid0(VALU_DEP_1)
	v_add3_u32 v90, v89, v90, 0x7fff
                                        ; implicit-def: $vgpr89
; %bb.34:
	s_and_not1_saveexec_b32 s2, s2
; %bb.35:
	v_and_b32_e32 v90, 0xffff, v89
	v_or_b32_e32 v92, 0x10000, v89
	s_delay_alu instid0(VALU_DEP_2) | instskip(NEXT) | instid1(VALU_DEP_2)
	v_cmp_eq_u32_e32 vcc_lo, 0, v90
	v_cndmask_b32_e32 v90, v92, v89, vcc_lo
; %bb.36:
	s_or_b32 exec_lo, exec_lo, s2
	v_and_b32_e32 v89, 0x7f800000, v86
	s_delay_alu instid0(VALU_DEP_1) | instskip(SKIP_1) | instid1(SALU_CYCLE_1)
	v_cmp_ne_u32_e32 vcc_lo, 0x7f800000, v89
                                        ; implicit-def: $vgpr89
	s_and_saveexec_b32 s2, vcc_lo
	s_xor_b32 s2, exec_lo, s2
; %bb.37:
	v_bfe_u32 v89, v86, 16, 1
	s_delay_alu instid0(VALU_DEP_1)
	v_add3_u32 v89, v86, v89, 0x7fff
                                        ; implicit-def: $vgpr86
; %bb.38:
	s_and_not1_saveexec_b32 s2, s2
; %bb.39:
	v_and_b32_e32 v89, 0xffff, v86
	v_or_b32_e32 v92, 0x10000, v86
	s_delay_alu instid0(VALU_DEP_2) | instskip(NEXT) | instid1(VALU_DEP_2)
	v_cmp_eq_u32_e32 vcc_lo, 0, v89
	v_cndmask_b32_e32 v89, v92, v86, vcc_lo
; %bb.40:
	s_or_b32 exec_lo, exec_lo, s2
	v_and_b32_e32 v86, 0x7f800000, v81
	s_delay_alu instid0(VALU_DEP_1) | instskip(SKIP_1) | instid1(SALU_CYCLE_1)
	v_cmp_ne_u32_e32 vcc_lo, 0x7f800000, v86
                                        ; implicit-def: $vgpr86
	s_and_saveexec_b32 s2, vcc_lo
	s_xor_b32 s2, exec_lo, s2
; %bb.41:
	v_bfe_u32 v86, v81, 16, 1
	s_delay_alu instid0(VALU_DEP_1)
	v_add3_u32 v86, v81, v86, 0x7fff
                                        ; implicit-def: $vgpr81
; %bb.42:
	s_and_not1_saveexec_b32 s2, s2
; %bb.43:
	v_and_b32_e32 v86, 0xffff, v81
	v_or_b32_e32 v92, 0x10000, v81
	s_delay_alu instid0(VALU_DEP_2) | instskip(NEXT) | instid1(VALU_DEP_2)
	v_cmp_eq_u32_e32 vcc_lo, 0, v86
	v_cndmask_b32_e32 v86, v92, v81, vcc_lo
; %bb.44:
	s_or_b32 exec_lo, exec_lo, s2
	s_load_b64 s[34:35], s[0:1], 0x94
	v_lshlrev_b32_e32 v93, 4, v65
	s_delay_alu instid0(VALU_DEP_2)
	v_perm_b32 v92, v86, v89, 0x7060302
	v_dual_mul_f32 v80, v84, v80 :: v_dual_lshlrev_b32 v81, 6, v66
	v_lshlrev_b32_e32 v66, 11, v67
	v_perm_b32 v89, v85, v77, 0x7060302
	v_mul_f32_e32 v85, v84, v71
	v_mul_f32_e32 v71, v84, v82
	v_perm_b32 v91, v90, v91, 0x7060302
	v_perm_b32 v90, v88, v87, 0x7060302
	v_or3_b32 v77, v93, v66, v81
	v_mul_f32_e32 v66, v84, v83
	v_dual_mul_f32 v79, v84, v79 :: v_dual_and_b32 v86, 0x7f800000, v85
	v_mul_f32_e32 v83, v84, v78
	v_mul_f32_e32 v82, v84, v72
	;; [unrolled: 1-line block ×3, first 2 shown]
	s_mov_b32 s2, exec_lo
	ds_store_b128 v77, v[89:92]
                                        ; implicit-def: $vgpr70
	v_cmpx_ne_u32_e32 0x7f800000, v86
	s_xor_b32 s2, exec_lo, s2
; %bb.45:
	v_bfe_u32 v70, v85, 16, 1
	s_delay_alu instid0(VALU_DEP_1)
	v_add3_u32 v70, v85, v70, 0x7fff
                                        ; implicit-def: $vgpr85
; %bb.46:
	s_and_not1_saveexec_b32 s2, s2
; %bb.47:
	v_and_b32_e32 v70, 0xffff, v85
	v_or_b32_e32 v72, 0x10000, v85
	s_delay_alu instid0(VALU_DEP_2) | instskip(NEXT) | instid1(VALU_DEP_2)
	v_cmp_eq_u32_e32 vcc_lo, 0, v70
	v_cndmask_b32_e32 v70, v72, v85, vcc_lo
; %bb.48:
	s_or_b32 exec_lo, exec_lo, s2
	v_and_b32_e32 v72, 0x7f800000, v78
	s_delay_alu instid0(VALU_DEP_1) | instskip(SKIP_1) | instid1(SALU_CYCLE_1)
	v_cmp_ne_u32_e32 vcc_lo, 0x7f800000, v72
                                        ; implicit-def: $vgpr72
	s_and_saveexec_b32 s2, vcc_lo
	s_xor_b32 s2, exec_lo, s2
; %bb.49:
	v_bfe_u32 v72, v78, 16, 1
	s_delay_alu instid0(VALU_DEP_1)
	v_add3_u32 v72, v78, v72, 0x7fff
                                        ; implicit-def: $vgpr78
; %bb.50:
	s_and_not1_saveexec_b32 s2, s2
; %bb.51:
	v_and_b32_e32 v72, 0xffff, v78
	v_or_b32_e32 v84, 0x10000, v78
	s_delay_alu instid0(VALU_DEP_2) | instskip(NEXT) | instid1(VALU_DEP_2)
	v_cmp_eq_u32_e32 vcc_lo, 0, v72
	v_cndmask_b32_e32 v72, v84, v78, vcc_lo
; %bb.52:
	s_or_b32 exec_lo, exec_lo, s2
	v_and_b32_e32 v78, 0x7f800000, v82
	s_delay_alu instid0(VALU_DEP_1) | instskip(SKIP_1) | instid1(SALU_CYCLE_1)
	v_cmp_ne_u32_e32 vcc_lo, 0x7f800000, v78
                                        ; implicit-def: $vgpr78
	s_and_saveexec_b32 s2, vcc_lo
	s_xor_b32 s2, exec_lo, s2
; %bb.53:
	v_bfe_u32 v78, v82, 16, 1
	s_delay_alu instid0(VALU_DEP_1)
	v_add3_u32 v78, v82, v78, 0x7fff
                                        ; implicit-def: $vgpr82
; %bb.54:
	s_and_not1_saveexec_b32 s2, s2
; %bb.55:
	v_and_b32_e32 v78, 0xffff, v82
	v_or_b32_e32 v84, 0x10000, v82
	s_delay_alu instid0(VALU_DEP_2) | instskip(NEXT) | instid1(VALU_DEP_2)
	v_cmp_eq_u32_e32 vcc_lo, 0, v78
	v_cndmask_b32_e32 v78, v84, v82, vcc_lo
; %bb.56:
	s_or_b32 exec_lo, exec_lo, s2
	v_and_b32_e32 v82, 0x7f800000, v83
	s_delay_alu instid0(VALU_DEP_1) | instskip(SKIP_1) | instid1(SALU_CYCLE_1)
	v_cmp_ne_u32_e32 vcc_lo, 0x7f800000, v82
                                        ; implicit-def: $vgpr82
	s_and_saveexec_b32 s2, vcc_lo
	s_xor_b32 s2, exec_lo, s2
; %bb.57:
	v_bfe_u32 v82, v83, 16, 1
	s_delay_alu instid0(VALU_DEP_1)
	v_add3_u32 v82, v83, v82, 0x7fff
                                        ; implicit-def: $vgpr83
; %bb.58:
	s_and_not1_saveexec_b32 s2, s2
; %bb.59:
	v_and_b32_e32 v82, 0xffff, v83
	v_or_b32_e32 v84, 0x10000, v83
	s_delay_alu instid0(VALU_DEP_2) | instskip(NEXT) | instid1(VALU_DEP_2)
	v_cmp_eq_u32_e32 vcc_lo, 0, v82
	v_cndmask_b32_e32 v82, v84, v83, vcc_lo
; %bb.60:
	s_or_b32 exec_lo, exec_lo, s2
	v_and_b32_e32 v83, 0x7f800000, v79
	s_delay_alu instid0(VALU_DEP_1) | instskip(SKIP_1) | instid1(SALU_CYCLE_1)
	v_cmp_ne_u32_e32 vcc_lo, 0x7f800000, v83
                                        ; implicit-def: $vgpr83
	s_and_saveexec_b32 s2, vcc_lo
	s_xor_b32 s2, exec_lo, s2
; %bb.61:
	v_bfe_u32 v83, v79, 16, 1
	s_delay_alu instid0(VALU_DEP_1)
	v_add3_u32 v83, v79, v83, 0x7fff
                                        ; implicit-def: $vgpr79
; %bb.62:
	s_and_not1_saveexec_b32 s2, s2
; %bb.63:
	v_and_b32_e32 v83, 0xffff, v79
	v_or_b32_e32 v84, 0x10000, v79
	s_delay_alu instid0(VALU_DEP_2) | instskip(NEXT) | instid1(VALU_DEP_2)
	v_cmp_eq_u32_e32 vcc_lo, 0, v83
	v_cndmask_b32_e32 v83, v84, v79, vcc_lo
; %bb.64:
	s_or_b32 exec_lo, exec_lo, s2
	v_and_b32_e32 v79, 0x7f800000, v80
	s_delay_alu instid0(VALU_DEP_1) | instskip(SKIP_1) | instid1(SALU_CYCLE_1)
	v_cmp_ne_u32_e32 vcc_lo, 0x7f800000, v79
                                        ; implicit-def: $vgpr79
	s_and_saveexec_b32 s2, vcc_lo
	s_xor_b32 s2, exec_lo, s2
; %bb.65:
	v_bfe_u32 v79, v80, 16, 1
	s_delay_alu instid0(VALU_DEP_1)
	v_add3_u32 v79, v80, v79, 0x7fff
                                        ; implicit-def: $vgpr80
; %bb.66:
	s_and_not1_saveexec_b32 s2, s2
; %bb.67:
	v_and_b32_e32 v79, 0xffff, v80
	v_or_b32_e32 v84, 0x10000, v80
	s_delay_alu instid0(VALU_DEP_2) | instskip(NEXT) | instid1(VALU_DEP_2)
	v_cmp_eq_u32_e32 vcc_lo, 0, v79
	v_cndmask_b32_e32 v79, v84, v80, vcc_lo
; %bb.68:
	s_or_b32 exec_lo, exec_lo, s2
	v_and_b32_e32 v80, 0x7f800000, v71
	s_delay_alu instid0(VALU_DEP_1) | instskip(SKIP_1) | instid1(SALU_CYCLE_1)
	v_cmp_ne_u32_e32 vcc_lo, 0x7f800000, v80
                                        ; implicit-def: $vgpr80
	s_and_saveexec_b32 s2, vcc_lo
	s_xor_b32 s2, exec_lo, s2
; %bb.69:
	v_bfe_u32 v80, v71, 16, 1
	s_delay_alu instid0(VALU_DEP_1)
	v_add3_u32 v80, v71, v80, 0x7fff
                                        ; implicit-def: $vgpr71
; %bb.70:
	s_and_not1_saveexec_b32 s2, s2
; %bb.71:
	v_and_b32_e32 v80, 0xffff, v71
	v_or_b32_e32 v84, 0x10000, v71
	s_delay_alu instid0(VALU_DEP_2) | instskip(NEXT) | instid1(VALU_DEP_2)
	v_cmp_eq_u32_e32 vcc_lo, 0, v80
	v_cndmask_b32_e32 v80, v84, v71, vcc_lo
; %bb.72:
	s_or_b32 exec_lo, exec_lo, s2
	v_and_b32_e32 v71, 0x7f800000, v66
	s_delay_alu instid0(VALU_DEP_1) | instskip(SKIP_1) | instid1(SALU_CYCLE_1)
	v_cmp_ne_u32_e32 vcc_lo, 0x7f800000, v71
                                        ; implicit-def: $vgpr71
	s_and_saveexec_b32 s2, vcc_lo
	s_xor_b32 s2, exec_lo, s2
; %bb.73:
	v_bfe_u32 v71, v66, 16, 1
	s_delay_alu instid0(VALU_DEP_1)
	v_add3_u32 v71, v66, v71, 0x7fff
                                        ; implicit-def: $vgpr66
; %bb.74:
	s_and_not1_saveexec_b32 s2, s2
; %bb.75:
	v_and_b32_e32 v71, 0xffff, v66
	v_or_b32_e32 v84, 0x10000, v66
	s_delay_alu instid0(VALU_DEP_2) | instskip(NEXT) | instid1(VALU_DEP_2)
	v_cmp_eq_u32_e32 vcc_lo, 0, v71
	v_cndmask_b32_e32 v71, v84, v66, vcc_lo
; %bb.76:
	s_or_b32 exec_lo, exec_lo, s2
	s_delay_alu instid0(VALU_DEP_1)
	v_perm_b32 v87, v71, v80, 0x7060302
	v_perm_b32 v86, v79, v83, 0x7060302
	;; [unrolled: 1-line block ×4, first 2 shown]
	v_lshl_or_b32 v83, v67, 11, v81
	ds_store_b128 v77, v[84:87] offset:1024
	s_waitcnt lgkmcnt(0)
	s_barrier
	buffer_gl0_inv
	ds_load_b128 v[84:87], v83
	ds_load_b128 v[88:91], v83 offset:16
	s_waitcnt lgkmcnt(1)
	v_lshrrev_b32_e32 v70, 16, v87
	s_waitcnt lgkmcnt(0)
	v_lshrrev_b32_e32 v71, 16, v88
	v_lshlrev_b32_e32 v79, 2, v65
	v_lshrrev_b32_e32 v65, 16, v84
	v_lshrrev_b32_e32 v66, 16, v85
	;; [unrolled: 1-line block ×4, first 2 shown]
	v_cmp_eq_u32_e32 vcc_lo, 1, v79
	v_lshrrev_b32_e32 v100, 16, v90
	v_lshrrev_b32_e32 v101, 16, v91
	v_cndmask_b32_e32 v92, v88, v71, vcc_lo
	v_or_b32_e32 v80, 1, v79
	v_cndmask_b32_e32 v82, v84, v65, vcc_lo
	v_cmp_eq_u32_e64 s3, 2, v79
	v_cmp_eq_u32_e64 s6, 3, v79
	;; [unrolled: 1-line block ×5, first 2 shown]
	v_cndmask_b32_e64 v82, v82, v85, s3
	v_cndmask_b32_e64 v92, v92, v89, s3
	v_cmp_eq_u32_e64 s7, 3, v80
	v_cndmask_b32_e64 v93, v84, v65, s2
	v_or_b32_e32 v78, 2, v79
	v_cndmask_b32_e64 v82, v82, v66, s6
	v_cndmask_b32_e64 v92, v92, v72, s6
	;; [unrolled: 1-line block ×4, first 2 shown]
	v_cmp_eq_u32_e64 s9, 5, v79
	v_cndmask_b32_e64 v82, v82, v86, s8
	v_cndmask_b32_e64 v92, v92, v90, s8
	v_cmp_eq_u32_e64 s10, 4, v80
	v_cndmask_b32_e64 v93, v93, v66, s7
	v_cmp_eq_u32_e64 s4, 1, v78
	v_cndmask_b32_e64 v94, v94, v89, s5
	v_cndmask_b32_e64 v82, v82, v67, s9
	v_cmp_eq_u32_e64 s11, 6, v79
	v_cndmask_b32_e64 v93, v93, v86, s10
	;; [unrolled: 3-line block ×3, first 2 shown]
	v_cndmask_b32_e64 v94, v94, v72, s7
	v_cndmask_b32_e64 v82, v82, v87, s11
	v_cmp_eq_u32_e64 s13, 7, v79
	v_cndmask_b32_e64 v93, v93, v67, s12
	v_cndmask_b32_e64 v92, v92, v91, s11
	v_cmp_eq_u32_e64 s15, 6, v80
	v_cmp_eq_u32_e64 s16, 2, v78
	v_cndmask_b32_e64 v94, v94, v90, s10
	v_cndmask_b32_e64 v102, v82, v70, s13
	;; [unrolled: 1-line block ×6, first 2 shown]
	v_cmp_eq_u32_e64 s17, 7, v80
	v_cmp_eq_u32_e64 s18, 3, v78
	;; [unrolled: 1-line block ×4, first 2 shown]
	v_cndmask_b32_e64 v92, v92, v89, s16
	v_cndmask_b32_e64 v104, v93, v70, s17
	;; [unrolled: 1-line block ×4, first 2 shown]
	v_or_b32_e32 v82, 3, v79
	v_cndmask_b32_e64 v97, v92, v72, s18
	v_cmp_eq_u32_e64 s23, 6, v78
	v_cndmask_b32_e64 v105, v93, v91, s15
	v_cndmask_b32_e64 v96, v94, v86, s19
	v_cmp_eq_u32_e64 s20, 1, v82
	ds_load_b128 v[92:95], v83 offset:1024
	v_cmp_eq_u32_e64 s22, 2, v82
	v_cmp_eq_u32_e64 s24, 3, v82
	v_cndmask_b32_e64 v106, v96, v67, s21
	v_cndmask_b32_e64 v65, v84, v65, s20
	v_cndmask_b32_e64 v84, v97, v90, s19
	ds_load_b128 v[96:99], v83 offset:1040
	v_cndmask_b32_e64 v71, v88, v71, s20
	v_cmp_eq_u32_e64 s25, 4, v82
	v_cndmask_b32_e64 v65, v65, v85, s22
	v_cmp_eq_u32_e64 s27, 5, v82
	v_cmp_eq_u32_e64 s28, 6, v82
	v_cndmask_b32_e64 v71, v71, v89, s22
	v_cndmask_b32_e64 v84, v84, v100, s21
	;; [unrolled: 1-line block ×4, first 2 shown]
	v_cmp_eq_u32_e64 s26, 7, v78
	v_cndmask_b32_e64 v71, v71, v72, s24
	v_cndmask_b32_e64 v84, v84, v91, s23
	;; [unrolled: 1-line block ×3, first 2 shown]
	s_waitcnt lgkmcnt(1)
	v_lshrrev_b32_e32 v72, 16, v92
	v_lshrrev_b32_e32 v88, 16, v93
	v_cndmask_b32_e64 v71, v71, v90, s25
	v_cndmask_b32_e64 v66, v66, v70, s26
	;; [unrolled: 1-line block ×6, first 2 shown]
	s_waitcnt lgkmcnt(0)
	v_lshrrev_b32_e32 v71, 16, v96
	v_cndmask_b32_e64 v65, v65, v87, s28
	v_cndmask_b32_e64 v87, v89, v93, s5
	v_lshrrev_b32_e32 v100, 16, v98
	v_cndmask_b32_e64 v67, v67, v91, s28
	v_cndmask_b32_e32 v86, v92, v72, vcc_lo
	v_cndmask_b32_e32 v90, v96, v71, vcc_lo
	v_cmp_eq_u32_e32 vcc_lo, 7, v82
	v_cndmask_b32_e64 v87, v87, v88, s7
	v_lshrrev_b32_e32 v91, 16, v94
	v_cndmask_b32_e64 v85, v105, v101, s17
	v_cndmask_b32_e64 v89, v90, v97, s3
	v_cndmask_b32_e32 v67, v67, v101, vcc_lo
	v_cndmask_b32_e64 v86, v86, v93, s3
	v_lshrrev_b32_e32 v90, 16, v97
	v_cndmask_b32_e32 v65, v65, v70, vcc_lo
	v_cndmask_b32_e64 v70, v87, v94, s10
	v_cndmask_b32_e64 v101, v96, v71, s4
	;; [unrolled: 1-line block ×4, first 2 shown]
	v_perm_b32 v87, v67, v65, 0x5040100
	v_cndmask_b32_e64 v65, v70, v91, s12
	v_lshrrev_b32_e32 v70, 16, v95
	v_cndmask_b32_e64 v86, v86, v94, s8
	v_cndmask_b32_e64 v89, v89, v98, s8
	v_perm_b32 v85, v85, v104, 0x5040100
	v_cndmask_b32_e64 v65, v65, v95, s15
	s_delay_alu instid0(VALU_DEP_4) | instskip(NEXT) | instid1(VALU_DEP_4)
	v_cndmask_b32_e64 v86, v86, v91, s9
	v_cndmask_b32_e64 v89, v89, v100, s9
	s_delay_alu instid0(VALU_DEP_3) | instskip(NEXT) | instid1(VALU_DEP_3)
	v_cndmask_b32_e64 v65, v65, v70, s17
	v_cndmask_b32_e64 v67, v86, v95, s11
	v_perm_b32 v86, v84, v66, 0x5040100
	v_lshrrev_b32_e32 v84, 16, v99
	s_delay_alu instid0(VALU_DEP_3)
	v_cndmask_b32_e64 v66, v67, v70, s13
	v_cndmask_b32_e64 v67, v89, v99, s11
	;; [unrolled: 1-line block ×33, first 2 shown]
	v_cndmask_b32_e32 v70, v72, v70, vcc_lo
	v_cndmask_b32_e32 v72, v88, v84, vcc_lo
	v_cndmask_b32_e64 v88, v90, v84, s26
	v_cndmask_b32_e64 v71, v71, v84, s17
	v_perm_b32 v84, v103, v102, 0x5040100
	s_lshl_b32 s7, s35, 1
	v_perm_b32 v91, v72, v70, 0x5040100
	v_perm_b32 v90, v88, v89, 0x5040100
	;; [unrolled: 1-line block ×4, first 2 shown]
	s_mov_b32 s2, exec_lo
	ds_store_b128 v77, v[84:87]
	ds_store_b128 v77, v[88:91] offset:1024
	v_cmpx_gt_u32_e32 2, v0
	s_cbranch_execz .LBB1423_78
; %bb.77:
	v_or_b32_e32 v65, s31, v0
	s_load_b128 s[8:11], s[0:1], 0x58
	s_delay_alu instid0(VALU_DEP_1) | instskip(NEXT) | instid1(VALU_DEP_1)
	v_mad_u64_u32 v[66:67], null, s7, s30, v[65:66]
	v_mad_u64_u32 v[70:71], null, v66, s34, s[14:15]
	s_delay_alu instid0(VALU_DEP_1) | instskip(NEXT) | instid1(VALU_DEP_1)
	v_ashrrev_i32_e32 v71, 31, v70
	v_lshlrev_b64 v[65:66], 2, v[70:71]
	s_waitcnt lgkmcnt(0)
	s_delay_alu instid0(VALU_DEP_1) | instskip(NEXT) | instid1(VALU_DEP_2)
	v_add_co_u32 v70, vcc_lo, s10, v65
	v_add_co_ci_u32_e32 v71, vcc_lo, s11, v66, vcc_lo
	v_add_co_u32 v65, vcc_lo, s8, v65
	v_add_co_ci_u32_e32 v66, vcc_lo, s9, v66, vcc_lo
	global_store_b32 v[70:71], v68, off
	global_store_b32 v[65:66], v69, off
.LBB1423_78:
	s_or_b32 exec_lo, exec_lo, s2
	s_waitcnt lgkmcnt(0)
	s_waitcnt_vscnt null, 0x0
	s_barrier
	buffer_gl0_inv
	ds_load_b128 v[84:87], v81
	ds_load_b128 v[88:91], v81 offset:16
	ds_load_b128 v[96:99], v81 offset:2064
	;; [unrolled: 1-line block ×3, first 2 shown]
	v_mov_b32_e32 v65, 0
	ds_load_b128 v[104:107], v81 offset:4112
	ds_load_b128 v[100:103], v81 offset:4096
	;; [unrolled: 1-line block ×4, first 2 shown]
	v_mov_b32_e32 v66, v65
	v_mov_b32_e32 v67, v65
	v_mov_b32_e32 v68, v65
	v_mov_b32_e32 v69, v65
	v_mov_b32_e32 v70, v65
	v_mov_b32_e32 v71, v65
	v_mov_b32_e32 v72, v65
	s_waitcnt lgkmcnt(6)
	s_delay_alu instid0(VALU_DEP_1)
	v_wmma_f32_16x16x16_bf16 v[65:72], v[57:64], v[84:91], v[65:72]
	ds_load_b128 v[61:64], v81 offset:8208
	ds_load_b128 v[57:60], v81 offset:8192
	s_waitcnt lgkmcnt(6)
	v_wmma_f32_16x16x16_bf16 v[65:72], v[41:48], v[92:99], v[65:72]
	ds_load_b128 v[45:48], v81 offset:10256
	ds_load_b128 v[41:44], v81 offset:10240
	s_waitcnt lgkmcnt(6)
	;; [unrolled: 4-line block ×4, first 2 shown]
	v_wmma_f32_16x16x16_bf16 v[65:72], v[1:8], v[57:64], v[65:72]
	s_waitcnt lgkmcnt(4)
	s_delay_alu instid0(VALU_DEP_1) | instskip(SKIP_1) | instid1(VALU_DEP_1)
	v_wmma_f32_16x16x16_bf16 v[65:72], v[9:16], v[41:48], v[65:72]
	s_waitcnt lgkmcnt(2)
	v_wmma_f32_16x16x16_bf16 v[65:72], v[17:24], v[33:40], v[65:72]
	s_waitcnt lgkmcnt(0)
	s_delay_alu instid0(VALU_DEP_1) | instskip(NEXT) | instid1(VALU_DEP_1)
	v_wmma_f32_16x16x16_bf16 v[65:72], v[49:56], v[25:32], v[65:72]
	v_and_b32_e32 v1, 0x7f800000, v65
	s_delay_alu instid0(VALU_DEP_1) | instskip(SKIP_1) | instid1(SALU_CYCLE_1)
	v_cmp_ne_u32_e32 vcc_lo, 0x7f800000, v1
                                        ; implicit-def: $vgpr1
	s_and_saveexec_b32 s2, vcc_lo
	s_xor_b32 s2, exec_lo, s2
; %bb.79:
	v_bfe_u32 v1, v65, 16, 1
	s_delay_alu instid0(VALU_DEP_1)
	v_add3_u32 v1, v65, v1, 0x7fff
; %bb.80:
	s_and_not1_saveexec_b32 s2, s2
; %bb.81:
	v_and_b32_e32 v1, 0xffff, v65
	v_or_b32_e32 v2, 0x10000, v65
	s_delay_alu instid0(VALU_DEP_2) | instskip(NEXT) | instid1(VALU_DEP_2)
	v_cmp_eq_u32_e32 vcc_lo, 0, v1
	v_cndmask_b32_e32 v1, v2, v65, vcc_lo
; %bb.82:
	s_or_b32 exec_lo, exec_lo, s2
	v_and_b32_e32 v2, 0x7f800000, v66
	s_delay_alu instid0(VALU_DEP_1) | instskip(SKIP_1) | instid1(SALU_CYCLE_1)
	v_cmp_ne_u32_e32 vcc_lo, 0x7f800000, v2
                                        ; implicit-def: $vgpr2
	s_and_saveexec_b32 s2, vcc_lo
	s_xor_b32 s2, exec_lo, s2
; %bb.83:
	v_bfe_u32 v2, v66, 16, 1
	s_delay_alu instid0(VALU_DEP_1)
	v_add3_u32 v2, v66, v2, 0x7fff
; %bb.84:
	s_and_not1_saveexec_b32 s2, s2
; %bb.85:
	v_and_b32_e32 v2, 0xffff, v66
	v_or_b32_e32 v3, 0x10000, v66
	s_delay_alu instid0(VALU_DEP_2) | instskip(NEXT) | instid1(VALU_DEP_2)
	v_cmp_eq_u32_e32 vcc_lo, 0, v2
	v_cndmask_b32_e32 v2, v3, v66, vcc_lo
; %bb.86:
	s_or_b32 exec_lo, exec_lo, s2
	v_and_b32_e32 v3, 0x7f800000, v67
	s_delay_alu instid0(VALU_DEP_1) | instskip(SKIP_1) | instid1(SALU_CYCLE_1)
	v_cmp_ne_u32_e32 vcc_lo, 0x7f800000, v3
                                        ; implicit-def: $vgpr3
	s_and_saveexec_b32 s2, vcc_lo
	s_xor_b32 s2, exec_lo, s2
; %bb.87:
	v_bfe_u32 v3, v67, 16, 1
	s_delay_alu instid0(VALU_DEP_1)
	v_add3_u32 v3, v67, v3, 0x7fff
; %bb.88:
	s_and_not1_saveexec_b32 s2, s2
; %bb.89:
	v_and_b32_e32 v3, 0xffff, v67
	v_or_b32_e32 v4, 0x10000, v67
	s_delay_alu instid0(VALU_DEP_2) | instskip(NEXT) | instid1(VALU_DEP_2)
	v_cmp_eq_u32_e32 vcc_lo, 0, v3
	v_cndmask_b32_e32 v3, v4, v67, vcc_lo
; %bb.90:
	s_or_b32 exec_lo, exec_lo, s2
	v_and_b32_e32 v4, 0x7f800000, v68
	s_delay_alu instid0(VALU_DEP_1) | instskip(SKIP_1) | instid1(SALU_CYCLE_1)
	v_cmp_ne_u32_e32 vcc_lo, 0x7f800000, v4
                                        ; implicit-def: $vgpr4
	s_and_saveexec_b32 s2, vcc_lo
	s_xor_b32 s2, exec_lo, s2
; %bb.91:
	v_bfe_u32 v4, v68, 16, 1
	s_delay_alu instid0(VALU_DEP_1)
	v_add3_u32 v4, v68, v4, 0x7fff
; %bb.92:
	s_and_not1_saveexec_b32 s2, s2
; %bb.93:
	v_and_b32_e32 v4, 0xffff, v68
	v_or_b32_e32 v5, 0x10000, v68
	s_delay_alu instid0(VALU_DEP_2) | instskip(NEXT) | instid1(VALU_DEP_2)
	v_cmp_eq_u32_e32 vcc_lo, 0, v4
	v_cndmask_b32_e32 v4, v5, v68, vcc_lo
; %bb.94:
	s_or_b32 exec_lo, exec_lo, s2
	v_and_b32_e32 v5, 0x7f800000, v69
	s_delay_alu instid0(VALU_DEP_1) | instskip(SKIP_1) | instid1(SALU_CYCLE_1)
	v_cmp_ne_u32_e32 vcc_lo, 0x7f800000, v5
                                        ; implicit-def: $vgpr5
	s_and_saveexec_b32 s2, vcc_lo
	s_xor_b32 s2, exec_lo, s2
; %bb.95:
	v_bfe_u32 v5, v69, 16, 1
	s_delay_alu instid0(VALU_DEP_1)
	v_add3_u32 v5, v69, v5, 0x7fff
; %bb.96:
	s_and_not1_saveexec_b32 s2, s2
; %bb.97:
	v_and_b32_e32 v5, 0xffff, v69
	v_or_b32_e32 v6, 0x10000, v69
	s_delay_alu instid0(VALU_DEP_2) | instskip(NEXT) | instid1(VALU_DEP_2)
	v_cmp_eq_u32_e32 vcc_lo, 0, v5
	v_cndmask_b32_e32 v5, v6, v69, vcc_lo
; %bb.98:
	s_or_b32 exec_lo, exec_lo, s2
	v_and_b32_e32 v6, 0x7f800000, v70
	s_delay_alu instid0(VALU_DEP_1) | instskip(SKIP_1) | instid1(SALU_CYCLE_1)
	v_cmp_ne_u32_e32 vcc_lo, 0x7f800000, v6
                                        ; implicit-def: $vgpr6
	s_and_saveexec_b32 s2, vcc_lo
	s_xor_b32 s2, exec_lo, s2
; %bb.99:
	v_bfe_u32 v6, v70, 16, 1
	s_delay_alu instid0(VALU_DEP_1)
	v_add3_u32 v6, v70, v6, 0x7fff
; %bb.100:
	s_and_not1_saveexec_b32 s2, s2
; %bb.101:
	v_and_b32_e32 v6, 0xffff, v70
	v_or_b32_e32 v7, 0x10000, v70
	s_delay_alu instid0(VALU_DEP_2) | instskip(NEXT) | instid1(VALU_DEP_2)
	v_cmp_eq_u32_e32 vcc_lo, 0, v6
	v_cndmask_b32_e32 v6, v7, v70, vcc_lo
; %bb.102:
	s_or_b32 exec_lo, exec_lo, s2
	v_and_b32_e32 v7, 0x7f800000, v71
	s_delay_alu instid0(VALU_DEP_1) | instskip(SKIP_1) | instid1(SALU_CYCLE_1)
	v_cmp_ne_u32_e32 vcc_lo, 0x7f800000, v7
                                        ; implicit-def: $vgpr7
	s_and_saveexec_b32 s2, vcc_lo
	s_xor_b32 s2, exec_lo, s2
; %bb.103:
	v_bfe_u32 v7, v71, 16, 1
	s_delay_alu instid0(VALU_DEP_1)
	v_add3_u32 v7, v71, v7, 0x7fff
; %bb.104:
	s_and_not1_saveexec_b32 s2, s2
; %bb.105:
	v_and_b32_e32 v7, 0xffff, v71
	v_or_b32_e32 v8, 0x10000, v71
	s_delay_alu instid0(VALU_DEP_2) | instskip(NEXT) | instid1(VALU_DEP_2)
	v_cmp_eq_u32_e32 vcc_lo, 0, v7
	v_cndmask_b32_e32 v7, v8, v71, vcc_lo
; %bb.106:
	s_or_b32 exec_lo, exec_lo, s2
	v_and_b32_e32 v8, 0x7f800000, v72
	s_delay_alu instid0(VALU_DEP_1) | instskip(SKIP_1) | instid1(SALU_CYCLE_1)
	v_cmp_ne_u32_e32 vcc_lo, 0x7f800000, v8
                                        ; implicit-def: $vgpr8
	s_and_saveexec_b32 s2, vcc_lo
	s_xor_b32 s2, exec_lo, s2
; %bb.107:
	v_bfe_u32 v8, v72, 16, 1
	s_delay_alu instid0(VALU_DEP_1)
	v_add3_u32 v8, v72, v8, 0x7fff
                                        ; implicit-def: $vgpr65_vgpr66_vgpr67_vgpr68_vgpr69_vgpr70_vgpr71_vgpr72
; %bb.108:
	s_and_not1_saveexec_b32 s2, s2
; %bb.109:
	v_and_b32_e32 v8, 0xffff, v72
	v_or_b32_e32 v9, 0x10000, v72
	s_delay_alu instid0(VALU_DEP_2) | instskip(NEXT) | instid1(VALU_DEP_2)
	v_cmp_eq_u32_e32 vcc_lo, 0, v8
	v_cndmask_b32_e32 v8, v9, v72, vcc_lo
; %bb.110:
	s_or_b32 exec_lo, exec_lo, s2
	s_delay_alu instid0(VALU_DEP_1)
	v_perm_b32 v7, v8, v7, 0x7060302
	v_perm_b32 v6, v6, v5, 0x7060302
	;; [unrolled: 1-line block ×4, first 2 shown]
	s_barrier
	buffer_gl0_inv
	v_cmp_eq_u32_e32 vcc_lo, 1, v79
	ds_store_b128 v77, v[4:7]
	s_waitcnt lgkmcnt(0)
	s_barrier
	buffer_gl0_inv
	ds_load_b128 v[1:4], v83
	ds_load_b128 v[5:8], v83 offset:16
	v_cmp_eq_u32_e64 s2, 1, v80
	v_cmp_eq_u32_e64 s3, 2, v79
	;; [unrolled: 1-line block ×5, first 2 shown]
	s_waitcnt lgkmcnt(1)
	v_lshrrev_b32_e32 v9, 16, v1
	s_waitcnt lgkmcnt(0)
	v_lshrrev_b32_e32 v13, 16, v5
	v_lshrrev_b32_e32 v10, 16, v2
	v_lshrrev_b32_e32 v14, 16, v6
	v_lshrrev_b32_e32 v11, 16, v3
	v_cndmask_b32_e64 v19, v1, v9, s2
	v_cndmask_b32_e32 v18, v5, v13, vcc_lo
	v_cndmask_b32_e64 v20, v5, v13, s2
	v_cndmask_b32_e32 v17, v1, v9, vcc_lo
	v_cmp_eq_u32_e32 vcc_lo, 2, v80
	v_lshrrev_b32_e32 v15, 16, v7
	v_cmp_eq_u32_e64 s2, 1, v78
	v_lshrrev_b32_e32 v12, 16, v4
	v_lshrrev_b32_e32 v16, 16, v8
	v_cndmask_b32_e32 v20, v20, v6, vcc_lo
	v_cndmask_b32_e64 v17, v17, v2, s3
	v_cndmask_b32_e32 v19, v19, v2, vcc_lo
	v_cndmask_b32_e64 v18, v18, v6, s3
	v_cmp_eq_u32_e32 vcc_lo, 4, v79
	v_cmp_eq_u32_e64 s3, 3, v80
	v_cndmask_b32_e64 v17, v17, v10, s4
	v_cndmask_b32_e64 v21, v1, v9, s2
	;; [unrolled: 1-line block ×5, first 2 shown]
	v_cndmask_b32_e32 v17, v17, v3, vcc_lo
	v_cndmask_b32_e64 v20, v20, v14, s3
	v_cndmask_b32_e32 v18, v18, v7, vcc_lo
	v_cmp_eq_u32_e32 vcc_lo, 4, v80
	v_cmp_eq_u32_e64 s3, 5, v80
	v_cmp_eq_u32_e64 s2, 2, v82
	v_cndmask_b32_e64 v21, v21, v2, s6
	v_cmp_eq_u32_e64 s4, 5, v79
	v_cndmask_b32_e32 v19, v19, v3, vcc_lo
	v_cndmask_b32_e32 v20, v20, v7, vcc_lo
	v_cmp_eq_u32_e32 vcc_lo, 6, v80
	s_delay_alu instid0(VALU_DEP_4) | instskip(NEXT) | instid1(VALU_DEP_4)
	v_cndmask_b32_e64 v17, v17, v11, s4
	v_cndmask_b32_e64 v19, v19, v11, s3
	s_delay_alu instid0(VALU_DEP_4) | instskip(SKIP_1) | instid1(VALU_DEP_3)
	v_cndmask_b32_e64 v20, v20, v15, s3
	v_cmp_eq_u32_e64 s3, 1, v82
	v_cndmask_b32_e32 v19, v19, v4, vcc_lo
	v_cndmask_b32_e64 v18, v18, v15, s4
	s_delay_alu instid0(VALU_DEP_3)
	v_cndmask_b32_e64 v1, v1, v9, s3
	v_cndmask_b32_e64 v5, v5, v13, s3
	v_cmp_eq_u32_e64 s3, 3, v78
	v_cndmask_b32_e64 v13, v22, v6, s6
	v_cmp_eq_u32_e64 s6, 3, v82
	v_cndmask_b32_e64 v1, v1, v2, s2
	v_cndmask_b32_e64 v2, v5, v6, s2
	;; [unrolled: 1-line block ×3, first 2 shown]
	v_cmp_eq_u32_e64 s2, 4, v78
	v_cndmask_b32_e64 v6, v13, v14, s3
	v_cndmask_b32_e64 v1, v1, v10, s6
	v_cmp_eq_u32_e64 s3, 4, v82
	v_cndmask_b32_e64 v2, v2, v14, s6
	v_cndmask_b32_e64 v5, v9, v3, s2
	;; [unrolled: 3-line block ×3, first 2 shown]
	v_cndmask_b32_e64 v2, v2, v7, s3
	v_cmp_eq_u32_e64 s2, 5, v82
	v_cmp_eq_u32_e64 s4, 6, v79
	v_cndmask_b32_e64 v5, v5, v11, s6
	v_cmp_eq_u32_e64 s3, 6, v78
	v_cndmask_b32_e64 v3, v6, v15, s6
	v_cndmask_b32_e64 v1, v1, v11, s2
	v_cmp_eq_u32_e64 s6, 6, v82
	v_cndmask_b32_e64 v2, v2, v15, s2
	v_cndmask_b32_e64 v17, v17, v4, s4
	v_cndmask_b32_e64 v18, v18, v8, s4
	v_cmp_eq_u32_e64 s4, 7, v79
	v_cndmask_b32_e64 v5, v5, v4, s3
	;; [unrolled: 4-line block ×3, first 2 shown]
	v_cmp_eq_u32_e64 s3, 7, v78
	v_cndmask_b32_e32 v4, v20, v8, vcc_lo
	v_cndmask_b32_e64 v17, v17, v12, s4
	v_cndmask_b32_e64 v19, v19, v12, s5
	v_cndmask_b32_e64 v1, v1, v12, s2
	v_cndmask_b32_e64 v5, v5, v12, s3
	v_cndmask_b32_e64 v2, v2, v16, s2
	v_cndmask_b32_e64 v3, v3, v16, s3
	v_cndmask_b32_e64 v6, v4, v16, s5
	v_cndmask_b32_e64 v7, v18, v16, s4
	s_delay_alu instid0(VALU_DEP_4) | instskip(NEXT) | instid1(VALU_DEP_4)
	v_perm_b32 v4, v2, v1, 0x5040100
	v_perm_b32 v3, v3, v5, 0x5040100
	s_delay_alu instid0(VALU_DEP_4) | instskip(NEXT) | instid1(VALU_DEP_4)
	v_perm_b32 v2, v6, v19, 0x5040100
	v_perm_b32 v1, v7, v17, 0x5040100
	ds_store_b128 v77, v[1:4]
	s_waitcnt lgkmcnt(0)
	s_barrier
	buffer_gl0_inv
	s_and_saveexec_b32 s2, s29
	s_cbranch_execz .LBB1423_2
; %bb.111:
	s_load_b64 s[0:1], s[0:1], 0x68
	v_lshlrev_b32_e32 v0, 10, v0
	s_lshl_b32 s2, s34, 6
	v_lshlrev_b32_e32 v1, 4, v76
	v_mul_lo_u32 v4, s2, v75
	s_mul_i32 s3, s2, s30
	v_and_b32_e32 v0, 0x3800, v0
	s_mul_i32 s2, s3, s7
	s_delay_alu instid0(SALU_CYCLE_1) | instskip(NEXT) | instid1(VALU_DEP_1)
	s_ashr_i32 s3, s2, 31
	v_or3_b32 v0, v0, v74, v1
	s_lshl_b64 s[2:3], s[2:3], 1
	s_delay_alu instid0(VALU_DEP_3)
	v_ashrrev_i32_e32 v5, 31, v4
	ds_load_b128 v[0:3], v0
	v_lshlrev_b64 v[4:5], 1, v[4:5]
	s_waitcnt lgkmcnt(0)
	s_add_u32 s2, s0, s2
	s_addc_u32 s3, s1, s3
	s_lshl_b32 s0, s14, 6
	s_delay_alu instid0(SALU_CYCLE_1) | instskip(NEXT) | instid1(SALU_CYCLE_1)
	s_ashr_i32 s1, s0, 31
	s_lshl_b64 s[0:1], s[0:1], 1
	s_delay_alu instid0(SALU_CYCLE_1) | instskip(SKIP_3) | instid1(VALU_DEP_2)
	s_add_u32 s0, s2, s0
	s_addc_u32 s1, s3, s1
	v_add_co_u32 v4, vcc_lo, s0, v4
	v_add_co_ci_u32_e32 v5, vcc_lo, s1, v5, vcc_lo
	v_add_co_u32 v4, vcc_lo, v4, v73
	s_delay_alu instid0(VALU_DEP_2)
	v_add_co_ci_u32_e32 v5, vcc_lo, 0, v5, vcc_lo
	global_store_b128 v[4:5], v[0:3], off
	s_nop 0
	s_sendmsg sendmsg(MSG_DEALLOC_VGPRS)
	s_endpgm
	.section	.rodata,"a",@progbits
	.p2align	6, 0x0
	.amdhsa_kernel _Z39paged_attention_ll4mi_QKV_mfma16_kernelI14__hip_bfloat16hLN4vllm18Fp8KVCacheDataTypeE1ES0_Li16ELi64ELi256ELb0ELi2EL8MFMAType1EEvPKT_PKT0_S9_ifPKiSB_SB_iPKfiiiPfSE_PS4_PT2_iSD_SD_
		.amdhsa_group_segment_fixed_size 17472
		.amdhsa_private_segment_fixed_size 0
		.amdhsa_kernarg_size 400
		.amdhsa_user_sgpr_count 13
		.amdhsa_user_sgpr_dispatch_ptr 0
		.amdhsa_user_sgpr_queue_ptr 0
		.amdhsa_user_sgpr_kernarg_segment_ptr 1
		.amdhsa_user_sgpr_dispatch_id 0
		.amdhsa_user_sgpr_private_segment_size 0
		.amdhsa_wavefront_size32 1
		.amdhsa_uses_dynamic_stack 0
		.amdhsa_enable_private_segment 0
		.amdhsa_system_sgpr_workgroup_id_x 1
		.amdhsa_system_sgpr_workgroup_id_y 1
		.amdhsa_system_sgpr_workgroup_id_z 1
		.amdhsa_system_sgpr_workgroup_info 0
		.amdhsa_system_vgpr_workitem_id 0
		.amdhsa_next_free_vgpr 125
		.amdhsa_next_free_sgpr 38
		.amdhsa_reserve_vcc 1
		.amdhsa_float_round_mode_32 0
		.amdhsa_float_round_mode_16_64 0
		.amdhsa_float_denorm_mode_32 3
		.amdhsa_float_denorm_mode_16_64 3
		.amdhsa_dx10_clamp 1
		.amdhsa_ieee_mode 1
		.amdhsa_fp16_overflow 0
		.amdhsa_workgroup_processor_mode 1
		.amdhsa_memory_ordered 1
		.amdhsa_forward_progress 0
		.amdhsa_shared_vgpr_count 0
		.amdhsa_exception_fp_ieee_invalid_op 0
		.amdhsa_exception_fp_denorm_src 0
		.amdhsa_exception_fp_ieee_div_zero 0
		.amdhsa_exception_fp_ieee_overflow 0
		.amdhsa_exception_fp_ieee_underflow 0
		.amdhsa_exception_fp_ieee_inexact 0
		.amdhsa_exception_int_div_zero 0
	.end_amdhsa_kernel
	.section	.text._Z39paged_attention_ll4mi_QKV_mfma16_kernelI14__hip_bfloat16hLN4vllm18Fp8KVCacheDataTypeE1ES0_Li16ELi64ELi256ELb0ELi2EL8MFMAType1EEvPKT_PKT0_S9_ifPKiSB_SB_iPKfiiiPfSE_PS4_PT2_iSD_SD_,"axG",@progbits,_Z39paged_attention_ll4mi_QKV_mfma16_kernelI14__hip_bfloat16hLN4vllm18Fp8KVCacheDataTypeE1ES0_Li16ELi64ELi256ELb0ELi2EL8MFMAType1EEvPKT_PKT0_S9_ifPKiSB_SB_iPKfiiiPfSE_PS4_PT2_iSD_SD_,comdat
.Lfunc_end1423:
	.size	_Z39paged_attention_ll4mi_QKV_mfma16_kernelI14__hip_bfloat16hLN4vllm18Fp8KVCacheDataTypeE1ES0_Li16ELi64ELi256ELb0ELi2EL8MFMAType1EEvPKT_PKT0_S9_ifPKiSB_SB_iPKfiiiPfSE_PS4_PT2_iSD_SD_, .Lfunc_end1423-_Z39paged_attention_ll4mi_QKV_mfma16_kernelI14__hip_bfloat16hLN4vllm18Fp8KVCacheDataTypeE1ES0_Li16ELi64ELi256ELb0ELi2EL8MFMAType1EEvPKT_PKT0_S9_ifPKiSB_SB_iPKfiiiPfSE_PS4_PT2_iSD_SD_
                                        ; -- End function
	.section	.AMDGPU.csdata,"",@progbits
; Kernel info:
; codeLenInByte = 8492
; NumSgprs: 40
; NumVgprs: 125
; ScratchSize: 0
; MemoryBound: 0
; FloatMode: 240
; IeeeMode: 1
; LDSByteSize: 17472 bytes/workgroup (compile time only)
; SGPRBlocks: 4
; VGPRBlocks: 15
; NumSGPRsForWavesPerEU: 40
; NumVGPRsForWavesPerEU: 125
; Occupancy: 10
; WaveLimiterHint : 1
; COMPUTE_PGM_RSRC2:SCRATCH_EN: 0
; COMPUTE_PGM_RSRC2:USER_SGPR: 13
; COMPUTE_PGM_RSRC2:TRAP_HANDLER: 0
; COMPUTE_PGM_RSRC2:TGID_X_EN: 1
; COMPUTE_PGM_RSRC2:TGID_Y_EN: 1
; COMPUTE_PGM_RSRC2:TGID_Z_EN: 1
; COMPUTE_PGM_RSRC2:TIDIG_COMP_CNT: 0
	.section	.text._Z39paged_attention_ll4mi_QKV_mfma16_kernelI14__hip_bfloat16hLN4vllm18Fp8KVCacheDataTypeE1ES0_Li16ELi64ELi256ELb0ELi3EL8MFMAType1EEvPKT_PKT0_S9_ifPKiSB_SB_iPKfiiiPfSE_PS4_PT2_iSD_SD_,"axG",@progbits,_Z39paged_attention_ll4mi_QKV_mfma16_kernelI14__hip_bfloat16hLN4vllm18Fp8KVCacheDataTypeE1ES0_Li16ELi64ELi256ELb0ELi3EL8MFMAType1EEvPKT_PKT0_S9_ifPKiSB_SB_iPKfiiiPfSE_PS4_PT2_iSD_SD_,comdat
	.protected	_Z39paged_attention_ll4mi_QKV_mfma16_kernelI14__hip_bfloat16hLN4vllm18Fp8KVCacheDataTypeE1ES0_Li16ELi64ELi256ELb0ELi3EL8MFMAType1EEvPKT_PKT0_S9_ifPKiSB_SB_iPKfiiiPfSE_PS4_PT2_iSD_SD_ ; -- Begin function _Z39paged_attention_ll4mi_QKV_mfma16_kernelI14__hip_bfloat16hLN4vllm18Fp8KVCacheDataTypeE1ES0_Li16ELi64ELi256ELb0ELi3EL8MFMAType1EEvPKT_PKT0_S9_ifPKiSB_SB_iPKfiiiPfSE_PS4_PT2_iSD_SD_
	.globl	_Z39paged_attention_ll4mi_QKV_mfma16_kernelI14__hip_bfloat16hLN4vllm18Fp8KVCacheDataTypeE1ES0_Li16ELi64ELi256ELb0ELi3EL8MFMAType1EEvPKT_PKT0_S9_ifPKiSB_SB_iPKfiiiPfSE_PS4_PT2_iSD_SD_
	.p2align	8
	.type	_Z39paged_attention_ll4mi_QKV_mfma16_kernelI14__hip_bfloat16hLN4vllm18Fp8KVCacheDataTypeE1ES0_Li16ELi64ELi256ELb0ELi3EL8MFMAType1EEvPKT_PKT0_S9_ifPKiSB_SB_iPKfiiiPfSE_PS4_PT2_iSD_SD_,@function
_Z39paged_attention_ll4mi_QKV_mfma16_kernelI14__hip_bfloat16hLN4vllm18Fp8KVCacheDataTypeE1ES0_Li16ELi64ELi256ELb0ELi3EL8MFMAType1EEvPKT_PKT0_S9_ifPKiSB_SB_iPKfiiiPfSE_PS4_PT2_iSD_SD_: ; @_Z39paged_attention_ll4mi_QKV_mfma16_kernelI14__hip_bfloat16hLN4vllm18Fp8KVCacheDataTypeE1ES0_Li16ELi64ELi256ELb0ELi3EL8MFMAType1EEvPKT_PKT0_S9_ifPKiSB_SB_iPKfiiiPfSE_PS4_PT2_iSD_SD_
; %bb.0:
	s_load_b64 s[2:3], s[0:1], 0x30
	s_mov_b32 s34, s13
	s_waitcnt lgkmcnt(0)
	s_cmp_lg_u64 s[2:3], 0
	s_cselect_b32 s8, -1, 0
	s_ashr_i32 s35, s13, 31
	s_cmp_eq_u64 s[2:3], 0
	s_cbranch_scc1 .LBB1424_3
; %bb.1:
	s_lshl_b64 s[4:5], s[34:35], 2
	s_delay_alu instid0(SALU_CYCLE_1) | instskip(SKIP_4) | instid1(SALU_CYCLE_1)
	s_add_u32 s4, s2, s4
	s_addc_u32 s5, s3, s5
	s_load_b64 s[4:5], s[4:5], 0x0
	s_waitcnt lgkmcnt(0)
	s_sub_i32 s4, s5, s4
	s_cmp_eq_u32 s4, 1
	s_cselect_b32 s4, -1, 0
	s_delay_alu instid0(SALU_CYCLE_1)
	s_and_not1_b32 vcc_lo, exec_lo, s4
	s_cbranch_vccz .LBB1424_4
.LBB1424_2:
	s_nop 0
	s_sendmsg sendmsg(MSG_DEALLOC_VGPRS)
	s_endpgm
.LBB1424_3:
.LBB1424_4:
	s_load_b64 s[4:5], s[0:1], 0x28
	s_lshl_b64 s[6:7], s[34:35], 2
	s_waitcnt lgkmcnt(0)
	s_add_u32 s4, s4, s6
	s_addc_u32 s5, s5, s7
	s_lshl_b32 s12, s14, 8
	s_load_b32 s24, s[4:5], 0x0
	s_waitcnt lgkmcnt(0)
	s_cmp_ge_i32 s12, s24
	s_cbranch_scc1 .LBB1424_2
; %bb.5:
	s_clause 0x1
	s_load_b128 s[20:23], s[0:1], 0x8
	s_load_b64 s[4:5], s[0:1], 0x20
	s_and_not1_b32 vcc_lo, exec_lo, s8
	s_cbranch_vccnz .LBB1424_7
; %bb.6:
	s_add_u32 s2, s2, s6
	s_addc_u32 s3, s3, s7
	s_load_b32 s3, s[2:3], 0x0
	s_branch .LBB1424_8
.LBB1424_7:
	s_mov_b32 s3, s34
.LBB1424_8:
	s_load_b128 s[16:19], s[0:1], 0x48
	v_lshrrev_b32_e32 v66, 5, v0
	v_bfe_u32 v74, v0, 4, 1
	v_and_b32_e32 v65, 15, v0
	v_and_b32_e32 v67, 31, v0
	;; [unrolled: 1-line block ×3, first 2 shown]
	s_mul_i32 s31, s15, 3
	v_lshl_or_b32 v1, v66, 1, v74
	v_lshlrev_b32_e32 v2, 3, v65
	v_cmp_gt_u32_e64 s2, 8, v65
	s_delay_alu instid0(VALU_DEP_3) | instskip(NEXT) | instid1(VALU_DEP_3)
	v_cmp_gt_u32_e32 vcc_lo, 3, v1
	v_lshlrev_b32_e32 v73, 1, v2
	s_delay_alu instid0(VALU_DEP_3) | instskip(NEXT) | instid1(SALU_CYCLE_1)
	s_and_b32 s7, s2, vcc_lo
	s_and_saveexec_b32 s6, s7
	s_cbranch_execz .LBB1424_10
; %bb.9:
	s_load_b64 s[8:9], s[0:1], 0x0
	v_add_lshl_u32 v2, v1, s31, 6
	s_waitcnt lgkmcnt(0)
	s_mul_hi_i32 s11, s3, s16
	s_mul_i32 s10, s3, s16
	v_lshlrev_b32_e32 v6, 10, v65
	s_lshl_b64 s[10:11], s[10:11], 1
	v_ashrrev_i32_e32 v3, 31, v2
	v_lshlrev_b32_e32 v1, 6, v1
	v_lshlrev_b32_e32 v7, 10, v75
	v_and_b32_e32 v6, 0x3800, v6
	s_delay_alu instid0(VALU_DEP_4) | instskip(NEXT) | instid1(VALU_DEP_2)
	v_lshlrev_b64 v[2:3], 1, v[2:3]
	v_or3_b32 v1, v6, v7, v1
	s_add_u32 s3, s8, s10
	s_addc_u32 s7, s9, s11
	s_delay_alu instid0(VALU_DEP_2) | instskip(NEXT) | instid1(VALU_DEP_3)
	v_add_co_u32 v2, vcc_lo, s3, v2
	v_add_co_ci_u32_e32 v3, vcc_lo, s7, v3, vcc_lo
	s_delay_alu instid0(VALU_DEP_2) | instskip(NEXT) | instid1(VALU_DEP_2)
	v_add_co_u32 v2, vcc_lo, v2, v73
	v_add_co_ci_u32_e32 v3, vcc_lo, 0, v3, vcc_lo
	global_load_b128 v[2:5], v[2:3], off
	s_waitcnt vmcnt(0)
	ds_store_b128 v1, v[2:5]
.LBB1424_10:
	s_or_b32 exec_lo, exec_lo, s6
	v_and_b32_e32 v1, 0xef, v0
	s_waitcnt lgkmcnt(0)
	s_add_i32 s3, s24, 15
	s_clause 0x1
	s_load_b32 s6, s[0:1], 0x38
	s_load_b32 s19, s[0:1], 0x1c
	s_ashr_i32 s7, s3, 31
	v_add_nc_u32_e32 v1, s12, v1
	s_lshr_b32 s7, s7, 28
	s_waitcnt lgkmcnt(0)
	s_add_i32 s3, s3, s7
	s_barrier
	v_ashrrev_i32_e32 v2, 31, v1
	v_or_b32_e32 v3, 16, v1
	s_ashr_i32 s3, s3, 4
	v_cmp_gt_i32_e32 vcc_lo, s24, v1
	s_add_i32 s3, s3, -1
	v_lshrrev_b32_e32 v2, 28, v2
	buffer_gl0_inv
	s_mul_i32 s27, s15, s18
	v_add_nc_u32_e32 v4, v1, v2
	s_mul_i32 s6, s34, s6
	s_delay_alu instid0(SALU_CYCLE_1) | instskip(NEXT) | instid1(VALU_DEP_1)
	s_ashr_i32 s7, s6, 31
	v_ashrrev_i32_e32 v4, 4, v4
	v_add_nc_u32_e32 v2, v3, v2
	s_lshl_b64 s[6:7], s[6:7], 2
	s_delay_alu instid0(SALU_CYCLE_1) | instskip(NEXT) | instid1(VALU_DEP_2)
	s_add_u32 s26, s4, s6
	v_cndmask_b32_e32 v1, s3, v4, vcc_lo
	s_delay_alu instid0(VALU_DEP_2)
	v_ashrrev_i32_e32 v2, 4, v2
	v_cmp_gt_i32_e32 vcc_lo, s24, v3
	s_addc_u32 s25, s5, s7
	s_ashr_i32 s28, s27, 31
	s_add_u32 s13, s20, s27
	s_addc_u32 s15, s21, s28
	v_cndmask_b32_e32 v3, s3, v2, vcc_lo
	v_ashrrev_i32_e32 v2, 31, v1
	s_lshl_b32 s4, s14, 4
	s_delay_alu instid0(SALU_CYCLE_1) | instskip(NEXT) | instid1(VALU_DEP_2)
	s_ashr_i32 s5, s4, 31
	v_ashrrev_i32_e32 v4, 31, v3
	s_delay_alu instid0(VALU_DEP_2) | instskip(SKIP_1) | instid1(SALU_CYCLE_1)
	v_lshlrev_b64 v[1:2], 2, v[1:2]
	s_lshl_b64 s[4:5], s[4:5], 2
	s_add_u32 s4, s26, s4
	s_delay_alu instid0(VALU_DEP_2) | instskip(SKIP_1) | instid1(VALU_DEP_2)
	v_lshlrev_b64 v[3:4], 2, v[3:4]
	s_addc_u32 s5, s25, s5
	v_add_co_u32 v1, vcc_lo, s26, v1
	v_add_co_ci_u32_e32 v2, vcc_lo, s25, v2, vcc_lo
	s_delay_alu instid0(VALU_DEP_3) | instskip(NEXT) | instid1(VALU_DEP_4)
	v_add_co_u32 v3, vcc_lo, s26, v3
	v_add_co_ci_u32_e32 v4, vcc_lo, s25, v4, vcc_lo
	s_clause 0x1
	global_load_b32 v5, v[1:2], off
	global_load_b32 v7, v[3:4], off
	s_or_b32 s6, s12, 32
	v_lshlrev_b32_e32 v1, 4, v0
	s_ashr_i32 s7, s6, 4
	s_cmp_lt_i32 s6, s24
	s_cselect_b32 s6, s7, s3
	s_delay_alu instid0(VALU_DEP_1) | instskip(SKIP_1) | instid1(SALU_CYCLE_1)
	v_and_b32_e32 v1, 0xf0, v1
	s_ashr_i32 s7, s6, 31
	s_lshl_b64 s[6:7], s[6:7], 2
	s_delay_alu instid0(SALU_CYCLE_1)
	s_add_u32 s6, s26, s6
	s_addc_u32 s7, s25, s7
	s_or_b32 s8, s12, 64
	v_add_co_u32 v1, s13, s13, v1
	s_ashr_i32 s9, s8, 4
	s_cmp_lt_i32 s8, s24
	v_add_co_ci_u32_e64 v2, null, s15, 0, s13
	s_cselect_b32 s8, s9, s3
	s_delay_alu instid0(SALU_CYCLE_1) | instskip(NEXT) | instid1(SALU_CYCLE_1)
	s_ashr_i32 s9, s8, 31
	s_lshl_b64 s[8:9], s[8:9], 2
	s_delay_alu instid0(SALU_CYCLE_1) | instskip(SKIP_2) | instid1(SALU_CYCLE_1)
	s_add_u32 s8, s26, s8
	s_addc_u32 s9, s25, s9
	s_or_b32 s10, s12, 0x60
	s_ashr_i32 s11, s10, 4
	s_cmp_lt_i32 s10, s24
	s_cselect_b32 s10, s11, s3
	s_delay_alu instid0(SALU_CYCLE_1) | instskip(NEXT) | instid1(SALU_CYCLE_1)
	s_ashr_i32 s11, s10, 31
	s_lshl_b64 s[10:11], s[10:11], 2
	s_delay_alu instid0(SALU_CYCLE_1) | instskip(SKIP_2) | instid1(SALU_CYCLE_1)
	s_add_u32 s10, s26, s10
	s_addc_u32 s11, s25, s11
	s_or_b32 s16, s12, 0x80
	s_ashr_i32 s18, s16, 4
	s_cmp_lt_i32 s16, s24
	s_cselect_b32 s20, s18, s3
	s_delay_alu instid0(SALU_CYCLE_1) | instskip(NEXT) | instid1(SALU_CYCLE_1)
	s_ashr_i32 s21, s20, 31
	s_lshl_b64 s[20:21], s[20:21], 2
	s_delay_alu instid0(SALU_CYCLE_1) | instskip(SKIP_2) | instid1(SALU_CYCLE_1)
	s_add_u32 s36, s26, s20
	s_addc_u32 s37, s25, s21
	s_or_b32 s16, s12, 0xa0
	s_ashr_i32 s18, s16, 4
	s_cmp_lt_i32 s16, s24
	s_cselect_b32 s20, s18, s3
	s_delay_alu instid0(SALU_CYCLE_1) | instskip(NEXT) | instid1(SALU_CYCLE_1)
	s_ashr_i32 s21, s20, 31
	s_lshl_b64 s[20:21], s[20:21], 2
	s_delay_alu instid0(SALU_CYCLE_1)
	s_add_u32 s38, s26, s20
	s_addc_u32 s39, s25, s21
	s_clause 0x5
	s_load_b32 s21, s[4:5], 0x0
	s_load_b32 s13, s[6:7], 0x0
	;; [unrolled: 1-line block ×6, first 2 shown]
	s_or_b32 s9, s12, 0xc0
	s_mov_b32 s4, 0
	s_ashr_i32 s10, s9, 4
	s_cmp_lt_i32 s9, s24
	s_mov_b32 s11, s4
	s_cselect_b32 s36, s10, s3
	s_mov_b32 s5, s4
	s_ashr_i32 s37, s36, 31
	s_mov_b32 s6, s4
	s_lshl_b64 s[36:37], s[36:37], 2
	s_mov_b32 s7, s4
	s_add_u32 s36, s26, s36
	s_addc_u32 s37, s25, s37
	s_or_b32 s29, s12, 0xe0
	s_mov_b32 s8, s4
	s_ashr_i32 s30, s29, 4
	s_mov_b32 s9, s4
	s_mov_b32 s10, s4
	s_cmp_lt_i32 s29, s24
	v_dual_mov_b32 v107, s11 :: v_dual_mov_b32 v100, s4
	v_mov_b32_e32 v106, s10
	v_dual_mov_b32 v104, s8 :: v_dual_mov_b32 v103, s7
	v_dual_mov_b32 v102, s6 :: v_dual_mov_b32 v101, s5
	s_waitcnt vmcnt(1)
	v_mad_i64_i32 v[3:4], null, v5, s17, v[1:2]
	s_waitcnt vmcnt(0)
	v_mad_i64_i32 v[5:6], null, v7, s17, v[1:2]
	v_mul_lo_u16 v1, 0x56, v65
	v_lshlrev_b32_e32 v2, 4, v65
	s_clause 0x7
	global_load_b128 v[49:52], v[3:4], off
	global_load_b128 v[53:56], v[3:4], off offset:256
	global_load_b128 v[76:79], v[5:6], off
	global_load_b128 v[80:83], v[5:6], off offset:256
	global_load_b128 v[84:87], v[3:4], off offset:512
	;; [unrolled: 1-line block ×5, first 2 shown]
	v_lshrrev_b16 v1, 8, v1
	v_lshl_or_b32 v2, v66, 8, v2
	s_delay_alu instid0(VALU_DEP_2) | instskip(NEXT) | instid1(VALU_DEP_1)
	v_mul_lo_u16 v1, v1, 3
	v_sub_nc_u16 v1, v65, v1
	s_delay_alu instid0(VALU_DEP_1)
	v_and_b32_e32 v1, 0xff, v1
	v_mov_b32_e32 v105, s9
	s_cselect_b32 s4, s30, s3
	s_load_b32 s3, s[36:37], 0x0
	s_ashr_i32 s5, s4, 31
	v_lshlrev_b32_e32 v70, 6, v1
	s_lshl_b64 s[4:5], s[4:5], 2
	ds_load_b128 v[108:111], v70
	ds_load_b128 v[112:115], v70 offset:1024
	s_add_u32 s4, s26, s4
	s_addc_u32 s5, s25, s5
	s_add_u32 s6, s22, s27
	s_load_b32 s4, s[4:5], 0x0
	s_addc_u32 s7, s23, s28
	v_add_co_u32 v9, s6, s6, v2
	s_delay_alu instid0(VALU_DEP_1) | instskip(SKIP_1) | instid1(VALU_DEP_1)
	v_add_co_ci_u32_e64 v10, null, s7, 0, s6
	s_waitcnt lgkmcnt(0)
	v_mad_i64_i32 v[1:2], null, s21, s17, v[9:10]
	v_mad_i64_i32 v[3:4], null, s13, s17, v[9:10]
	;; [unrolled: 1-line block ×7, first 2 shown]
	s_clause 0x9
	global_load_b128 v[57:60], v[1:2], off
	global_load_b128 v[61:64], v[1:2], off offset:16
	global_load_b128 v[41:44], v[3:4], off
	global_load_b128 v[45:48], v[3:4], off offset:16
	;; [unrolled: 2-line block ×5, first 2 shown]
	v_mad_i64_i32 v[68:69], null, s4, s17, v[9:10]
	s_clause 0x3
	global_load_b128 v[9:12], v[13:14], off
	global_load_b128 v[13:16], v[13:14], off offset:16
	global_load_b128 v[17:20], v[21:22], off
	global_load_b128 v[21:24], v[21:22], off offset:16
	s_waitcnt vmcnt(20)
	v_wmma_f32_16x16x16_bf16 v[116:123], v[49:56], v[108:115], v[100:107]
	s_clause 0x1
	global_load_b128 v[49:52], v[68:69], off
	global_load_b128 v[53:56], v[68:69], off offset:16
	v_and_b32_e32 v68, 0xe0, v0
	v_mbcnt_lo_u32_b32 v69, -1, 0
	s_delay_alu instid0(VALU_DEP_2)
	v_add_nc_u32_e32 v68, s12, v68
	s_waitcnt vmcnt(20)
	v_wmma_f32_16x16x16_bf16 v[100:107], v[76:83], v[108:115], v[100:107]
	ds_load_b128 v[76:79], v70 offset:2048
	ds_load_b128 v[80:83], v70 offset:3072
	v_xor_b32_e32 v70, 16, v69
	s_waitcnt vmcnt(0) lgkmcnt(0)
	v_or_b32_e32 v68, v68, v74
	s_barrier
	buffer_gl0_inv
	v_cmp_gt_i32_e32 vcc_lo, 32, v70
	v_or_b32_e32 v71, 4, v68
	v_or_b32_e32 v72, 6, v68
	v_cmp_gt_i32_e64 s3, s24, v68
	v_or_b32_e32 v108, 8, v68
	v_or_b32_e32 v109, 10, v68
	v_cmp_gt_i32_e64 s4, s24, v71
	v_cmp_gt_i32_e64 s5, s24, v72
	s_delay_alu instid0(VALU_DEP_4) | instskip(NEXT) | instid1(VALU_DEP_4)
	v_cmp_gt_i32_e64 s6, s24, v108
	v_cmp_gt_i32_e64 s7, s24, v109
	v_wmma_f32_16x16x16_bf16 v[116:123], v[84:91], v[76:83], v[116:123]
	v_cndmask_b32_e32 v69, v69, v70, vcc_lo
	v_or_b32_e32 v70, 2, v68
	v_wmma_f32_16x16x16_bf16 v[100:107], v[92:99], v[76:83], v[100:107]
	v_or_b32_e32 v89, 22, v68
	v_dual_mul_f32 v80, s19, v121 :: v_dual_mul_f32 v81, s19, v120
	v_dual_mul_f32 v92, s19, v117 :: v_dual_mul_f32 v93, s19, v116
	s_delay_alu instid0(VALU_DEP_4)
	v_mul_f32_e32 v96, s19, v105
	v_cmp_gt_i32_e32 vcc_lo, s24, v70
	v_dual_mul_f32 v79, s19, v122 :: v_dual_mul_f32 v82, s19, v119
	v_dual_mul_f32 v83, s19, v118 :: v_dual_mul_f32 v94, s19, v107
	v_cndmask_b32_e64 v93, 0xff7fffff, v93, s3
	v_cndmask_b32_e32 v92, 0xff7fffff, v92, vcc_lo
	v_or_b32_e32 v84, 12, v68
	v_or_b32_e32 v85, 14, v68
	v_cndmask_b32_e64 v71, 0xff7fffff, v83, s4
	v_cndmask_b32_e64 v72, 0xff7fffff, v82, s5
	v_cmp_gt_i32_e64 s13, s24, v89
	v_lshlrev_b32_e32 v89, 2, v69
	v_max3_f32 v82, v93, 0xff7fffff, v92
	v_or_b32_e32 v86, 16, v68
	v_or_b32_e32 v87, 18, v68
	v_mul_f32_e32 v78, s19, v123
	v_cndmask_b32_e64 v81, 0xff7fffff, v81, s6
	v_cndmask_b32_e64 v80, 0xff7fffff, v80, s7
	v_max3_f32 v71, v82, v71, v72
	v_cmp_gt_i32_e64 s8, s24, v84
	v_cmp_gt_i32_e64 s9, s24, v85
	v_or_b32_e32 v88, 20, v68
	v_or_b32_e32 v90, 24, v68
	;; [unrolled: 1-line block ×5, first 2 shown]
	v_dual_mul_f32 v97, s19, v104 :: v_dual_mul_f32 v70, s19, v101
	v_dual_mul_f32 v99, s19, v102 :: v_dual_mul_f32 v68, s19, v100
	v_cndmask_b32_e64 v72, 0xff7fffff, v79, s8
	v_cndmask_b32_e64 v78, 0xff7fffff, v78, s9
	v_max3_f32 v71, v71, v81, v80
	v_cmp_gt_i32_e64 s10, s24, v86
	v_cmp_gt_i32_e64 s11, s24, v87
	v_dual_mul_f32 v95, s19, v106 :: v_dual_mul_f32 v98, s19, v103
	s_delay_alu instid0(VALU_DEP_4) | instskip(NEXT) | instid1(VALU_DEP_4)
	v_max3_f32 v71, v71, v72, v78
	v_cndmask_b32_e64 v68, 0xff7fffff, v68, s10
	s_delay_alu instid0(VALU_DEP_4)
	v_cndmask_b32_e64 v70, 0xff7fffff, v70, s11
	v_cmp_gt_i32_e64 s12, s24, v88
	v_cndmask_b32_e64 v78, 0xff7fffff, v98, s13
	v_cmp_gt_i32_e64 s15, s24, v90
	v_cmp_gt_i32_e64 s16, s24, v91
	v_max3_f32 v68, v71, v68, v70
	v_cndmask_b32_e64 v72, 0xff7fffff, v99, s12
	v_cmp_gt_i32_e64 s17, s24, v76
	v_cndmask_b32_e64 v70, 0xff7fffff, v97, s15
	v_cndmask_b32_e64 v71, 0xff7fffff, v96, s16
	v_cmp_gt_i32_e64 s18, s24, v77
	v_max3_f32 v68, v68, v72, v78
	v_cndmask_b32_e64 v72, 0xff7fffff, v95, s17
	s_delay_alu instid0(VALU_DEP_3) | instskip(NEXT) | instid1(VALU_DEP_3)
	v_cndmask_b32_e64 v76, 0xff7fffff, v94, s18
	v_max3_f32 v68, v68, v70, v71
	s_delay_alu instid0(VALU_DEP_1) | instskip(SKIP_3) | instid1(VALU_DEP_1)
	v_max3_f32 v68, v68, v72, v76
	ds_bpermute_b32 v69, v89, v68
	s_waitcnt lgkmcnt(0)
	v_max_f32_e32 v69, v69, v69
	v_max_f32_e32 v68, v68, v69
	s_delay_alu instid0(VALU_DEP_1) | instskip(NEXT) | instid1(VALU_DEP_1)
	v_fma_f32 v71, s19, v118, -v68
	v_mul_f32_e32 v71, 0x3fb8aa3b, v71
	v_fma_f32 v70, s19, v117, -v68
	v_fma_f32 v69, s19, v116, -v68
	;; [unrolled: 1-line block ×5, first 2 shown]
	s_delay_alu instid0(VALU_DEP_4) | instskip(SKIP_1) | instid1(VALU_DEP_3)
	v_dual_mul_f32 v70, 0x3fb8aa3b, v70 :: v_dual_mul_f32 v69, 0x3fb8aa3b, v69
	v_exp_f32_e32 v71, v71
	v_mul_f32_e32 v72, 0x3fb8aa3b, v72
	v_fma_f32 v81, s19, v105, -v68
	s_delay_alu instid0(VALU_DEP_3)
	v_exp_f32_e32 v70, v70
	v_mul_f32_e32 v77, 0x3fb8aa3b, v76
	v_exp_f32_e32 v69, v69
	v_exp_f32_e32 v72, v72
	v_mul_f32_e32 v81, 0x3fb8aa3b, v81
	v_cndmask_b32_e64 v83, 0, v71, s4
	v_fma_f32 v71, s19, v123, -v68
	s_delay_alu instid0(VALU_DEP_3) | instskip(SKIP_4) | instid1(TRANS32_DEP_3)
	v_exp_f32_e32 v81, v81
	v_cndmask_b32_e32 v76, 0, v70, vcc_lo
	v_exp_f32_e32 v77, v77
	v_cndmask_b32_e64 v80, 0, v69, s3
	v_fma_f32 v69, s19, v121, -v68
	v_cndmask_b32_e64 v85, 0, v72, s5
	v_mul_f32_e32 v71, 0x3fb8aa3b, v71
	v_fma_f32 v72, s19, v100, -v68
	s_delay_alu instid0(VALU_DEP_4) | instskip(SKIP_1) | instid1(VALU_DEP_4)
	v_dual_add_f32 v70, 0, v80 :: v_dual_mul_f32 v69, 0x3fb8aa3b, v69
	v_cmp_gt_u32_e64 s3, 16, v67
	v_exp_f32_e32 v71, v71
	s_delay_alu instid0(TRANS32_DEP_2) | instskip(SKIP_4) | instid1(VALU_DEP_3)
	v_cndmask_b32_e64 v86, 0, v77, s6
	v_fma_f32 v77, s19, v101, -v68
	v_mul_f32_e32 v78, 0x3fb8aa3b, v78
	v_add_f32_e32 v70, v70, v76
	v_exp_f32_e32 v69, v69
	v_mul_f32_e32 v77, 0x3fb8aa3b, v77
	s_delay_alu instid0(VALU_DEP_3) | instskip(NEXT) | instid1(TRANS32_DEP_3)
	v_exp_f32_e32 v78, v78
	v_cndmask_b32_e64 v88, 0, v71, s9
	v_fma_f32 v71, s19, v104, -v68
	s_delay_alu instid0(VALU_DEP_3) | instskip(NEXT) | instid1(TRANS32_DEP_3)
	v_exp_f32_e32 v77, v77
	v_cndmask_b32_e64 v87, 0, v69, s7
	s_delay_alu instid0(VALU_DEP_2)
	v_mul_f32_e32 v71, 0x3fb8aa3b, v71
	s_waitcnt_depctr 0xfff
	v_cndmask_b32_e64 v84, 0, v78, s8
	v_add_f32_e32 v70, v70, v83
	v_fma_f32 v78, s19, v103, -v68
	v_exp_f32_e32 v82, v71
	s_delay_alu instid0(VALU_DEP_2) | instskip(SKIP_1) | instid1(VALU_DEP_3)
	v_add_f32_e32 v70, v70, v85
	v_mul_f32_e32 v72, 0x3fb8aa3b, v72
	v_mul_f32_e32 v78, 0x3fb8aa3b, v78
	s_delay_alu instid0(VALU_DEP_3) | instskip(SKIP_1) | instid1(VALU_DEP_4)
	v_add_f32_e32 v69, v70, v86
	v_fma_f32 v70, s19, v102, -v68
	v_exp_f32_e32 v72, v72
	s_delay_alu instid0(VALU_DEP_3) | instskip(NEXT) | instid1(VALU_DEP_1)
	v_exp_f32_e32 v78, v78
	v_dual_add_f32 v69, v69, v87 :: v_dual_mul_f32 v70, 0x3fb8aa3b, v70
	s_delay_alu instid0(VALU_DEP_1) | instskip(NEXT) | instid1(VALU_DEP_2)
	v_add_f32_e32 v69, v69, v84
	v_exp_f32_e32 v79, v70
	s_delay_alu instid0(TRANS32_DEP_3) | instskip(NEXT) | instid1(VALU_DEP_2)
	v_cndmask_b32_e64 v70, 0, v72, s10
	v_add_f32_e32 v72, v69, v88
	v_cndmask_b32_e64 v69, 0, v77, s11
	v_fma_f32 v77, s19, v106, -v68
	s_waitcnt_depctr 0xfff
	v_cndmask_b32_e64 v71, 0, v79, s12
	v_dual_mul_f32 v77, 0x3fb8aa3b, v77 :: v_dual_add_f32 v72, v72, v70
	s_delay_alu instid0(VALU_DEP_1) | instskip(NEXT) | instid1(VALU_DEP_1)
	v_exp_f32_e32 v90, v77
	v_add_f32_e32 v79, v72, v69
	v_cndmask_b32_e64 v72, 0, v78, s13
	v_cndmask_b32_e64 v77, 0, v82, s15
	s_delay_alu instid0(VALU_DEP_3) | instskip(SKIP_1) | instid1(VALU_DEP_1)
	v_add_f32_e32 v78, v79, v71
	v_fma_f32 v79, s19, v107, -v68
	v_dual_add_f32 v82, v78, v72 :: v_dual_mul_f32 v79, 0x3fb8aa3b, v79
	v_cndmask_b32_e64 v78, 0, v81, s16
	s_delay_alu instid0(VALU_DEP_2) | instskip(NEXT) | instid1(VALU_DEP_3)
	v_add_f32_e32 v81, v82, v77
	v_exp_f32_e32 v82, v79
	v_cndmask_b32_e64 v79, 0, v90, s17
	s_delay_alu instid0(VALU_DEP_2) | instskip(NEXT) | instid1(VALU_DEP_1)
	v_add_f32_e32 v81, v81, v78
	v_add_f32_e32 v90, v81, v79
	s_waitcnt_depctr 0xfff
	v_cndmask_b32_e64 v81, 0, v82, s18
	s_delay_alu instid0(VALU_DEP_1)
	v_add_f32_e32 v82, v90, v81
	ds_bpermute_b32 v89, v89, v82
	s_and_saveexec_b32 s4, s3
	s_cbranch_execz .LBB1424_12
; %bb.11:
	v_mul_u32_u24_e32 v67, 0x44, v66
	s_delay_alu instid0(VALU_DEP_1) | instskip(SKIP_1) | instid1(VALU_DEP_1)
	v_lshl_add_u32 v67, v65, 2, v67
	s_waitcnt lgkmcnt(0)
	v_dual_add_f32 v82, v82, v89 :: v_dual_add_nc_u32 v67, 0x4000, v67
	ds_store_2addr_b32 v67, v68, v82 offset1:136
.LBB1424_12:
	s_or_b32 exec_lo, exec_lo, s4
	v_lshlrev_b32_e32 v67, 2, v65
	s_waitcnt lgkmcnt(0)
	s_barrier
	buffer_gl0_inv
	v_cmp_eq_u32_e32 vcc_lo, 1, v66
	v_add_nc_u32_e32 v82, 0x4000, v67
	v_cmp_eq_u32_e64 s4, 2, v66
	v_cmp_eq_u32_e64 s6, 7, v66
	ds_load_2addr_b32 v[89:90], v82 offset1:17
	ds_load_2addr_b32 v[91:92], v82 offset0:34 offset1:51
	ds_load_2addr_b32 v[93:94], v82 offset0:68 offset1:85
	;; [unrolled: 1-line block ×4, first 2 shown]
	s_waitcnt lgkmcnt(4)
	v_max3_f32 v67, v89, 0xff7fffff, v90
	s_waitcnt lgkmcnt(3)
	s_delay_alu instid0(VALU_DEP_1) | instskip(SKIP_1) | instid1(VALU_DEP_1)
	v_max3_f32 v67, v67, v91, v92
	s_waitcnt lgkmcnt(2)
	v_max3_f32 v67, v67, v93, v94
	s_waitcnt lgkmcnt(1)
	s_delay_alu instid0(VALU_DEP_1) | instskip(NEXT) | instid1(VALU_DEP_1)
	v_max3_f32 v67, v67, v95, v96
	v_sub_f32_e32 v93, v93, v67
	s_delay_alu instid0(VALU_DEP_1) | instskip(NEXT) | instid1(VALU_DEP_1)
	v_dual_sub_f32 v68, v89, v67 :: v_dual_mul_f32 v103, 0x3fb8aa3b, v93
	v_mul_f32_e32 v68, 0x3fb8aa3b, v68
	s_delay_alu instid0(VALU_DEP_1)
	v_exp_f32_e32 v100, v68
	v_sub_f32_e32 v68, v92, v67
	v_sub_f32_e32 v99, v90, v67
	ds_load_2addr_b32 v[89:90], v82 offset0:170 offset1:187
	v_dual_mul_f32 v102, 0x3fb8aa3b, v68 :: v_dual_mul_f32 v99, 0x3fb8aa3b, v99
	s_waitcnt lgkmcnt(1)
	v_fma_f32 v68, v100, v97, 0
	s_delay_alu instid0(VALU_DEP_2) | instskip(NEXT) | instid1(VALU_DEP_2)
	v_exp_f32_e32 v102, v102
	v_exp_f32_e32 v99, v99
	s_waitcnt_depctr 0xfff
	v_fmac_f32_e32 v68, v99, v98
	v_sub_f32_e32 v91, v91, v67
	s_delay_alu instid0(VALU_DEP_1)
	v_mul_f32_e32 v101, 0x3fb8aa3b, v91
	ds_load_2addr_b32 v[91:92], v82 offset0:204 offset1:221
	v_sub_f32_e32 v97, v94, v67
	ds_load_2addr_b32 v[93:94], v82 offset0:238 offset1:255
	s_waitcnt lgkmcnt(0)
	v_exp_f32_e32 v101, v101
	s_barrier
	buffer_gl0_inv
	v_dual_fmac_f32 v68, v101, v89 :: v_dual_sub_f32 v89, v96, v67
	v_dual_sub_f32 v82, v95, v67 :: v_dual_mul_f32 v95, 0x3fb8aa3b, v97
	v_exp_f32_e32 v97, v103
	s_delay_alu instid0(VALU_DEP_2) | instskip(NEXT) | instid1(VALU_DEP_2)
	v_dual_fmac_f32 v68, v102, v90 :: v_dual_mul_f32 v89, 0x3fb8aa3b, v89
	v_mul_f32_e32 v82, 0x3fb8aa3b, v82
	s_delay_alu instid0(VALU_DEP_3) | instskip(NEXT) | instid1(VALU_DEP_2)
	v_exp_f32_e32 v95, v95
	v_exp_f32_e32 v89, v89
	s_delay_alu instid0(VALU_DEP_1)
	v_exp_f32_e32 v82, v82
	v_fmac_f32_e32 v68, v97, v91
	s_delay_alu instid0(TRANS32_DEP_3) | instid1(VALU_DEP_1)
	v_fmac_f32_e32 v68, v95, v92
	s_waitcnt_depctr 0xfff
	v_fmac_f32_e32 v68, v82, v93
	s_delay_alu instid0(VALU_DEP_1) | instskip(NEXT) | instid1(VALU_DEP_1)
	v_fmac_f32_e32 v68, v89, v94
	v_add_f32_e32 v90, 0x358637bd, v68
	s_delay_alu instid0(VALU_DEP_1) | instskip(NEXT) | instid1(VALU_DEP_1)
	v_div_scale_f32 v91, null, v90, v90, 1.0
	v_rcp_f32_e32 v92, v91
	s_waitcnt_depctr 0xfff
	v_fma_f32 v93, -v91, v92, 1.0
	s_delay_alu instid0(VALU_DEP_1) | instskip(SKIP_1) | instid1(VALU_DEP_2)
	v_dual_fmac_f32 v92, v93, v92 :: v_dual_cndmask_b32 v93, v100, v99
	v_cmp_eq_u32_e32 vcc_lo, 3, v66
	v_cndmask_b32_e64 v93, v93, v101, s4
	v_cmp_eq_u32_e64 s4, 4, v66
	s_delay_alu instid0(VALU_DEP_2) | instskip(SKIP_1) | instid1(VALU_DEP_2)
	v_cndmask_b32_e32 v93, v93, v102, vcc_lo
	v_cmp_eq_u32_e32 vcc_lo, 5, v66
	v_cndmask_b32_e64 v93, v93, v97, s4
	v_cmp_eq_u32_e64 s4, 6, v66
	s_delay_alu instid0(VALU_DEP_2) | instskip(SKIP_1) | instid1(VALU_DEP_1)
	v_cndmask_b32_e32 v93, v93, v95, vcc_lo
	v_div_scale_f32 v94, s5, 1.0, v90, 1.0
	s_mov_b32 vcc_lo, s5
	s_delay_alu instid0(VALU_DEP_2) | instskip(NEXT) | instid1(VALU_DEP_2)
	v_cndmask_b32_e64 v82, v93, v82, s4
	v_mul_f32_e32 v96, v94, v92
	s_mov_b32 s4, exec_lo
	s_delay_alu instid0(VALU_DEP_2) | instskip(NEXT) | instid1(VALU_DEP_2)
	v_cndmask_b32_e64 v82, v82, v89, s6
	v_fma_f32 v98, -v91, v96, v94
	s_delay_alu instid0(VALU_DEP_1) | instskip(NEXT) | instid1(VALU_DEP_1)
	v_fmac_f32_e32 v96, v98, v92
	v_fma_f32 v91, -v91, v96, v94
	s_delay_alu instid0(VALU_DEP_1) | instskip(NEXT) | instid1(VALU_DEP_1)
	v_div_fmas_f32 v91, v91, v92, v96
	v_div_fixup_f32 v90, v91, v90, 1.0
	s_delay_alu instid0(VALU_DEP_1) | instskip(NEXT) | instid1(VALU_DEP_1)
	v_mul_f32_e32 v82, v82, v90
	v_mul_f32_e32 v87, v82, v87
	;; [unrolled: 1-line block ×7, first 2 shown]
	v_dual_mul_f32 v86, v82, v83 :: v_dual_and_b32 v91, 0x7f800000, v90
	v_mul_f32_e32 v85, v82, v76
                                        ; implicit-def: $vgpr76
	s_delay_alu instid0(VALU_DEP_2)
	v_cmpx_ne_u32_e32 0x7f800000, v91
	s_xor_b32 s4, exec_lo, s4
; %bb.13:
	v_bfe_u32 v76, v90, 16, 1
	s_delay_alu instid0(VALU_DEP_1)
	v_add3_u32 v76, v90, v76, 0x7fff
                                        ; implicit-def: $vgpr90
; %bb.14:
	s_and_not1_saveexec_b32 s4, s4
; %bb.15:
	v_and_b32_e32 v76, 0xffff, v90
	v_or_b32_e32 v83, 0x10000, v90
	s_delay_alu instid0(VALU_DEP_2) | instskip(NEXT) | instid1(VALU_DEP_2)
	v_cmp_eq_u32_e32 vcc_lo, 0, v76
	v_cndmask_b32_e32 v76, v83, v90, vcc_lo
; %bb.16:
	s_or_b32 exec_lo, exec_lo, s4
	v_and_b32_e32 v83, 0x7f800000, v85
	s_delay_alu instid0(VALU_DEP_1) | instskip(SKIP_1) | instid1(SALU_CYCLE_1)
	v_cmp_ne_u32_e32 vcc_lo, 0x7f800000, v83
                                        ; implicit-def: $vgpr83
	s_and_saveexec_b32 s4, vcc_lo
	s_xor_b32 s4, exec_lo, s4
; %bb.17:
	v_bfe_u32 v83, v85, 16, 1
	s_delay_alu instid0(VALU_DEP_1)
	v_add3_u32 v83, v85, v83, 0x7fff
                                        ; implicit-def: $vgpr85
; %bb.18:
	s_and_not1_saveexec_b32 s4, s4
; %bb.19:
	v_and_b32_e32 v83, 0xffff, v85
	v_or_b32_e32 v90, 0x10000, v85
	s_delay_alu instid0(VALU_DEP_2) | instskip(NEXT) | instid1(VALU_DEP_2)
	v_cmp_eq_u32_e32 vcc_lo, 0, v83
	v_cndmask_b32_e32 v83, v90, v85, vcc_lo
; %bb.20:
	s_or_b32 exec_lo, exec_lo, s4
	v_and_b32_e32 v85, 0x7f800000, v86
	s_delay_alu instid0(VALU_DEP_1) | instskip(SKIP_1) | instid1(SALU_CYCLE_1)
	v_cmp_ne_u32_e32 vcc_lo, 0x7f800000, v85
                                        ; implicit-def: $vgpr85
	s_and_saveexec_b32 s4, vcc_lo
	s_xor_b32 s4, exec_lo, s4
; %bb.21:
	v_bfe_u32 v85, v86, 16, 1
	s_delay_alu instid0(VALU_DEP_1)
	v_add3_u32 v85, v86, v85, 0x7fff
                                        ; implicit-def: $vgpr86
; %bb.22:
	s_and_not1_saveexec_b32 s4, s4
; %bb.23:
	v_and_b32_e32 v85, 0xffff, v86
	v_or_b32_e32 v90, 0x10000, v86
	s_delay_alu instid0(VALU_DEP_2) | instskip(NEXT) | instid1(VALU_DEP_2)
	v_cmp_eq_u32_e32 vcc_lo, 0, v85
	v_cndmask_b32_e32 v85, v90, v86, vcc_lo
; %bb.24:
	s_or_b32 exec_lo, exec_lo, s4
	v_and_b32_e32 v86, 0x7f800000, v89
	s_delay_alu instid0(VALU_DEP_1) | instskip(SKIP_1) | instid1(SALU_CYCLE_1)
	v_cmp_ne_u32_e32 vcc_lo, 0x7f800000, v86
                                        ; implicit-def: $vgpr86
	s_and_saveexec_b32 s4, vcc_lo
	s_xor_b32 s4, exec_lo, s4
; %bb.25:
	v_bfe_u32 v86, v89, 16, 1
	s_delay_alu instid0(VALU_DEP_1)
	v_add3_u32 v86, v89, v86, 0x7fff
                                        ; implicit-def: $vgpr89
; %bb.26:
	s_and_not1_saveexec_b32 s4, s4
; %bb.27:
	v_and_b32_e32 v86, 0xffff, v89
	v_or_b32_e32 v90, 0x10000, v89
	s_delay_alu instid0(VALU_DEP_2) | instskip(NEXT) | instid1(VALU_DEP_2)
	v_cmp_eq_u32_e32 vcc_lo, 0, v86
	v_cndmask_b32_e32 v86, v90, v89, vcc_lo
; %bb.28:
	s_or_b32 exec_lo, exec_lo, s4
	v_and_b32_e32 v89, 0x7f800000, v88
	s_delay_alu instid0(VALU_DEP_1) | instskip(SKIP_1) | instid1(SALU_CYCLE_1)
	v_cmp_ne_u32_e32 vcc_lo, 0x7f800000, v89
                                        ; implicit-def: $vgpr89
	s_and_saveexec_b32 s4, vcc_lo
	s_xor_b32 s4, exec_lo, s4
; %bb.29:
	v_bfe_u32 v89, v88, 16, 1
	s_delay_alu instid0(VALU_DEP_1)
	v_add3_u32 v89, v88, v89, 0x7fff
                                        ; implicit-def: $vgpr88
; %bb.30:
	s_and_not1_saveexec_b32 s4, s4
; %bb.31:
	v_and_b32_e32 v89, 0xffff, v88
	v_or_b32_e32 v90, 0x10000, v88
	s_delay_alu instid0(VALU_DEP_2) | instskip(NEXT) | instid1(VALU_DEP_2)
	v_cmp_eq_u32_e32 vcc_lo, 0, v89
	v_cndmask_b32_e32 v89, v90, v88, vcc_lo
; %bb.32:
	s_or_b32 exec_lo, exec_lo, s4
	v_and_b32_e32 v88, 0x7f800000, v87
	s_delay_alu instid0(VALU_DEP_1) | instskip(SKIP_1) | instid1(SALU_CYCLE_1)
	v_cmp_ne_u32_e32 vcc_lo, 0x7f800000, v88
                                        ; implicit-def: $vgpr88
	s_and_saveexec_b32 s4, vcc_lo
	s_xor_b32 s4, exec_lo, s4
; %bb.33:
	v_bfe_u32 v88, v87, 16, 1
	s_delay_alu instid0(VALU_DEP_1)
	v_add3_u32 v88, v87, v88, 0x7fff
                                        ; implicit-def: $vgpr87
; %bb.34:
	s_and_not1_saveexec_b32 s4, s4
; %bb.35:
	v_and_b32_e32 v88, 0xffff, v87
	v_or_b32_e32 v90, 0x10000, v87
	s_delay_alu instid0(VALU_DEP_2) | instskip(NEXT) | instid1(VALU_DEP_2)
	v_cmp_eq_u32_e32 vcc_lo, 0, v88
	v_cndmask_b32_e32 v88, v90, v87, vcc_lo
; %bb.36:
	s_or_b32 exec_lo, exec_lo, s4
	v_and_b32_e32 v87, 0x7f800000, v84
	s_delay_alu instid0(VALU_DEP_1) | instskip(SKIP_1) | instid1(SALU_CYCLE_1)
	v_cmp_ne_u32_e32 vcc_lo, 0x7f800000, v87
                                        ; implicit-def: $vgpr87
	s_and_saveexec_b32 s4, vcc_lo
	s_xor_b32 s4, exec_lo, s4
; %bb.37:
	v_bfe_u32 v87, v84, 16, 1
	s_delay_alu instid0(VALU_DEP_1)
	v_add3_u32 v87, v84, v87, 0x7fff
                                        ; implicit-def: $vgpr84
; %bb.38:
	s_and_not1_saveexec_b32 s4, s4
; %bb.39:
	v_and_b32_e32 v87, 0xffff, v84
	v_or_b32_e32 v90, 0x10000, v84
	s_delay_alu instid0(VALU_DEP_2) | instskip(NEXT) | instid1(VALU_DEP_2)
	v_cmp_eq_u32_e32 vcc_lo, 0, v87
	v_cndmask_b32_e32 v87, v90, v84, vcc_lo
; %bb.40:
	s_or_b32 exec_lo, exec_lo, s4
	v_and_b32_e32 v84, 0x7f800000, v80
	s_delay_alu instid0(VALU_DEP_1) | instskip(SKIP_1) | instid1(SALU_CYCLE_1)
	v_cmp_ne_u32_e32 vcc_lo, 0x7f800000, v84
                                        ; implicit-def: $vgpr84
	s_and_saveexec_b32 s4, vcc_lo
	s_xor_b32 s4, exec_lo, s4
; %bb.41:
	v_bfe_u32 v84, v80, 16, 1
	s_delay_alu instid0(VALU_DEP_1)
	v_add3_u32 v84, v80, v84, 0x7fff
                                        ; implicit-def: $vgpr80
; %bb.42:
	s_and_not1_saveexec_b32 s4, s4
; %bb.43:
	v_and_b32_e32 v84, 0xffff, v80
	v_or_b32_e32 v90, 0x10000, v80
	s_delay_alu instid0(VALU_DEP_2) | instskip(NEXT) | instid1(VALU_DEP_2)
	v_cmp_eq_u32_e32 vcc_lo, 0, v84
	v_cndmask_b32_e32 v84, v90, v80, vcc_lo
; %bb.44:
	s_or_b32 exec_lo, exec_lo, s4
	s_load_b64 s[36:37], s[0:1], 0x94
	v_lshlrev_b32_e32 v91, 4, v74
	s_delay_alu instid0(VALU_DEP_2)
	v_perm_b32 v90, v84, v87, 0x7060302
	v_dual_mul_f32 v79, v82, v79 :: v_dual_lshlrev_b32 v80, 6, v65
	v_dual_mul_f32 v77, v82, v77 :: v_dual_lshlrev_b32 v92, 11, v66
	v_mul_f32_e32 v84, v82, v70
	v_perm_b32 v89, v88, v89, 0x7060302
	v_perm_b32 v88, v86, v85, 0x7060302
	;; [unrolled: 1-line block ×3, first 2 shown]
	v_mul_f32_e32 v70, v82, v81
	v_or3_b32 v76, v91, v92, v80
	v_dual_mul_f32 v78, v82, v78 :: v_dual_and_b32 v85, 0x7f800000, v84
	v_mul_f32_e32 v83, v82, v72
	v_mul_f32_e32 v81, v82, v71
	;; [unrolled: 1-line block ×3, first 2 shown]
	s_mov_b32 s4, exec_lo
	ds_store_b128 v76, v[87:90]
                                        ; implicit-def: $vgpr69
	v_cmpx_ne_u32_e32 0x7f800000, v85
	s_xor_b32 s4, exec_lo, s4
; %bb.45:
	v_bfe_u32 v69, v84, 16, 1
	s_delay_alu instid0(VALU_DEP_1)
	v_add3_u32 v69, v84, v69, 0x7fff
                                        ; implicit-def: $vgpr84
; %bb.46:
	s_and_not1_saveexec_b32 s4, s4
; %bb.47:
	v_and_b32_e32 v69, 0xffff, v84
	v_or_b32_e32 v71, 0x10000, v84
	s_delay_alu instid0(VALU_DEP_2) | instskip(NEXT) | instid1(VALU_DEP_2)
	v_cmp_eq_u32_e32 vcc_lo, 0, v69
	v_cndmask_b32_e32 v69, v71, v84, vcc_lo
; %bb.48:
	s_or_b32 exec_lo, exec_lo, s4
	v_and_b32_e32 v71, 0x7f800000, v72
	s_delay_alu instid0(VALU_DEP_1) | instskip(SKIP_1) | instid1(SALU_CYCLE_1)
	v_cmp_ne_u32_e32 vcc_lo, 0x7f800000, v71
                                        ; implicit-def: $vgpr71
	s_and_saveexec_b32 s4, vcc_lo
	s_xor_b32 s4, exec_lo, s4
; %bb.49:
	v_bfe_u32 v71, v72, 16, 1
	s_delay_alu instid0(VALU_DEP_1)
	v_add3_u32 v71, v72, v71, 0x7fff
                                        ; implicit-def: $vgpr72
; %bb.50:
	s_and_not1_saveexec_b32 s4, s4
; %bb.51:
	v_and_b32_e32 v71, 0xffff, v72
	v_or_b32_e32 v82, 0x10000, v72
	s_delay_alu instid0(VALU_DEP_2) | instskip(NEXT) | instid1(VALU_DEP_2)
	v_cmp_eq_u32_e32 vcc_lo, 0, v71
	v_cndmask_b32_e32 v71, v82, v72, vcc_lo
; %bb.52:
	s_or_b32 exec_lo, exec_lo, s4
	v_and_b32_e32 v72, 0x7f800000, v81
	s_delay_alu instid0(VALU_DEP_1) | instskip(SKIP_1) | instid1(SALU_CYCLE_1)
	v_cmp_ne_u32_e32 vcc_lo, 0x7f800000, v72
                                        ; implicit-def: $vgpr72
	s_and_saveexec_b32 s4, vcc_lo
	s_xor_b32 s4, exec_lo, s4
; %bb.53:
	v_bfe_u32 v72, v81, 16, 1
	s_delay_alu instid0(VALU_DEP_1)
	v_add3_u32 v72, v81, v72, 0x7fff
                                        ; implicit-def: $vgpr81
; %bb.54:
	s_and_not1_saveexec_b32 s4, s4
; %bb.55:
	v_and_b32_e32 v72, 0xffff, v81
	v_or_b32_e32 v82, 0x10000, v81
	s_delay_alu instid0(VALU_DEP_2) | instskip(NEXT) | instid1(VALU_DEP_2)
	v_cmp_eq_u32_e32 vcc_lo, 0, v72
	v_cndmask_b32_e32 v72, v82, v81, vcc_lo
; %bb.56:
	s_or_b32 exec_lo, exec_lo, s4
	v_and_b32_e32 v81, 0x7f800000, v83
	s_delay_alu instid0(VALU_DEP_1) | instskip(SKIP_1) | instid1(SALU_CYCLE_1)
	v_cmp_ne_u32_e32 vcc_lo, 0x7f800000, v81
                                        ; implicit-def: $vgpr81
	s_and_saveexec_b32 s4, vcc_lo
	s_xor_b32 s4, exec_lo, s4
; %bb.57:
	v_bfe_u32 v81, v83, 16, 1
	s_delay_alu instid0(VALU_DEP_1)
	v_add3_u32 v81, v83, v81, 0x7fff
                                        ; implicit-def: $vgpr83
; %bb.58:
	s_and_not1_saveexec_b32 s4, s4
; %bb.59:
	v_and_b32_e32 v81, 0xffff, v83
	v_or_b32_e32 v82, 0x10000, v83
	s_delay_alu instid0(VALU_DEP_2) | instskip(NEXT) | instid1(VALU_DEP_2)
	v_cmp_eq_u32_e32 vcc_lo, 0, v81
	v_cndmask_b32_e32 v81, v82, v83, vcc_lo
; %bb.60:
	s_or_b32 exec_lo, exec_lo, s4
	v_and_b32_e32 v82, 0x7f800000, v77
	s_delay_alu instid0(VALU_DEP_1) | instskip(SKIP_1) | instid1(SALU_CYCLE_1)
	v_cmp_ne_u32_e32 vcc_lo, 0x7f800000, v82
                                        ; implicit-def: $vgpr82
	s_and_saveexec_b32 s4, vcc_lo
	s_xor_b32 s4, exec_lo, s4
; %bb.61:
	v_bfe_u32 v82, v77, 16, 1
	s_delay_alu instid0(VALU_DEP_1)
	v_add3_u32 v82, v77, v82, 0x7fff
                                        ; implicit-def: $vgpr77
; %bb.62:
	s_and_not1_saveexec_b32 s4, s4
; %bb.63:
	v_and_b32_e32 v82, 0xffff, v77
	v_or_b32_e32 v83, 0x10000, v77
	s_delay_alu instid0(VALU_DEP_2) | instskip(NEXT) | instid1(VALU_DEP_2)
	v_cmp_eq_u32_e32 vcc_lo, 0, v82
	v_cndmask_b32_e32 v82, v83, v77, vcc_lo
; %bb.64:
	s_or_b32 exec_lo, exec_lo, s4
	v_and_b32_e32 v77, 0x7f800000, v78
	s_delay_alu instid0(VALU_DEP_1) | instskip(SKIP_1) | instid1(SALU_CYCLE_1)
	v_cmp_ne_u32_e32 vcc_lo, 0x7f800000, v77
                                        ; implicit-def: $vgpr77
	s_and_saveexec_b32 s4, vcc_lo
	s_xor_b32 s4, exec_lo, s4
; %bb.65:
	v_bfe_u32 v77, v78, 16, 1
	s_delay_alu instid0(VALU_DEP_1)
	v_add3_u32 v77, v78, v77, 0x7fff
                                        ; implicit-def: $vgpr78
; %bb.66:
	s_and_not1_saveexec_b32 s4, s4
; %bb.67:
	v_and_b32_e32 v77, 0xffff, v78
	v_or_b32_e32 v83, 0x10000, v78
	s_delay_alu instid0(VALU_DEP_2) | instskip(NEXT) | instid1(VALU_DEP_2)
	v_cmp_eq_u32_e32 vcc_lo, 0, v77
	v_cndmask_b32_e32 v77, v83, v78, vcc_lo
; %bb.68:
	s_or_b32 exec_lo, exec_lo, s4
	v_and_b32_e32 v78, 0x7f800000, v79
	s_delay_alu instid0(VALU_DEP_1) | instskip(SKIP_1) | instid1(SALU_CYCLE_1)
	v_cmp_ne_u32_e32 vcc_lo, 0x7f800000, v78
                                        ; implicit-def: $vgpr78
	s_and_saveexec_b32 s4, vcc_lo
	s_xor_b32 s4, exec_lo, s4
; %bb.69:
	v_bfe_u32 v78, v79, 16, 1
	s_delay_alu instid0(VALU_DEP_1)
	v_add3_u32 v78, v79, v78, 0x7fff
                                        ; implicit-def: $vgpr79
; %bb.70:
	s_and_not1_saveexec_b32 s4, s4
; %bb.71:
	v_and_b32_e32 v78, 0xffff, v79
	v_or_b32_e32 v83, 0x10000, v79
	s_delay_alu instid0(VALU_DEP_2) | instskip(NEXT) | instid1(VALU_DEP_2)
	v_cmp_eq_u32_e32 vcc_lo, 0, v78
	v_cndmask_b32_e32 v78, v83, v79, vcc_lo
; %bb.72:
	s_or_b32 exec_lo, exec_lo, s4
	v_and_b32_e32 v79, 0x7f800000, v70
	s_delay_alu instid0(VALU_DEP_1) | instskip(SKIP_1) | instid1(SALU_CYCLE_1)
	v_cmp_ne_u32_e32 vcc_lo, 0x7f800000, v79
                                        ; implicit-def: $vgpr79
	s_and_saveexec_b32 s4, vcc_lo
	s_xor_b32 s4, exec_lo, s4
; %bb.73:
	v_bfe_u32 v79, v70, 16, 1
	s_delay_alu instid0(VALU_DEP_1)
	v_add3_u32 v79, v70, v79, 0x7fff
                                        ; implicit-def: $vgpr70
; %bb.74:
	s_and_not1_saveexec_b32 s4, s4
; %bb.75:
	v_and_b32_e32 v79, 0xffff, v70
	v_or_b32_e32 v83, 0x10000, v70
	s_delay_alu instid0(VALU_DEP_2) | instskip(NEXT) | instid1(VALU_DEP_2)
	v_cmp_eq_u32_e32 vcc_lo, 0, v79
	v_cndmask_b32_e32 v79, v83, v70, vcc_lo
; %bb.76:
	s_or_b32 exec_lo, exec_lo, s4
	s_delay_alu instid0(VALU_DEP_1)
	v_perm_b32 v86, v79, v78, 0x7060302
	v_perm_b32 v85, v77, v82, 0x7060302
	;; [unrolled: 1-line block ×4, first 2 shown]
	v_lshl_or_b32 v82, v66, 11, v80
	ds_store_b128 v76, v[83:86] offset:1024
	s_waitcnt lgkmcnt(0)
	s_barrier
	buffer_gl0_inv
	ds_load_b128 v[69:72], v82
	ds_load_b128 v[83:86], v82 offset:16
	s_waitcnt lgkmcnt(1)
	v_lshrrev_b32_e32 v66, 16, v69
	s_waitcnt lgkmcnt(0)
	v_lshrrev_b32_e32 v91, 16, v83
	v_lshlrev_b32_e32 v78, 2, v74
	v_lshrrev_b32_e32 v95, 16, v70
	v_lshrrev_b32_e32 v98, 16, v84
	;; [unrolled: 1-line block ×4, first 2 shown]
	v_cmp_eq_u32_e32 vcc_lo, 1, v78
	v_lshrrev_b32_e32 v97, 16, v72
	v_lshrrev_b32_e32 v100, 16, v86
	v_cndmask_b32_e32 v87, v83, v91, vcc_lo
	v_or_b32_e32 v79, 1, v78
	v_cndmask_b32_e32 v81, v69, v66, vcc_lo
	v_cmp_eq_u32_e64 s5, 2, v78
	v_cmp_eq_u32_e64 s8, 3, v78
	;; [unrolled: 1-line block ×5, first 2 shown]
	v_cndmask_b32_e64 v81, v81, v70, s5
	v_cndmask_b32_e64 v87, v87, v84, s5
	v_cmp_eq_u32_e64 s9, 3, v79
	v_cndmask_b32_e64 v88, v69, v66, s4
	v_or_b32_e32 v77, 2, v78
	v_cndmask_b32_e64 v81, v81, v95, s8
	v_cndmask_b32_e64 v87, v87, v98, s8
	;; [unrolled: 1-line block ×4, first 2 shown]
	v_cmp_eq_u32_e64 s11, 5, v78
	v_cndmask_b32_e64 v81, v81, v71, s10
	v_cndmask_b32_e64 v87, v87, v85, s10
	v_cmp_eq_u32_e64 s12, 4, v79
	v_cndmask_b32_e64 v88, v88, v95, s9
	v_cmp_eq_u32_e64 s6, 1, v77
	v_cndmask_b32_e64 v89, v89, v84, s7
	v_cndmask_b32_e64 v81, v81, v96, s11
	v_cmp_eq_u32_e64 s13, 6, v78
	v_cndmask_b32_e64 v88, v88, v71, s12
	;; [unrolled: 3-line block ×3, first 2 shown]
	v_cndmask_b32_e64 v89, v89, v98, s9
	v_cndmask_b32_e64 v81, v81, v72, s13
	v_cmp_eq_u32_e64 s16, 7, v78
	v_cndmask_b32_e64 v88, v88, v96, s15
	v_cndmask_b32_e64 v87, v87, v86, s13
	v_cmp_eq_u32_e64 s17, 6, v79
	v_cmp_eq_u32_e64 s18, 2, v77
	v_cndmask_b32_e64 v89, v89, v85, s12
	v_cndmask_b32_e64 v101, v81, v97, s16
	;; [unrolled: 1-line block ×6, first 2 shown]
	v_cmp_eq_u32_e64 s19, 7, v79
	v_cmp_eq_u32_e64 s20, 3, v77
	;; [unrolled: 1-line block ×4, first 2 shown]
	v_cndmask_b32_e64 v87, v87, v84, s18
	v_cndmask_b32_e64 v103, v88, v97, s19
	;; [unrolled: 1-line block ×4, first 2 shown]
	v_or_b32_e32 v81, 3, v78
	v_cndmask_b32_e64 v93, v87, v98, s20
	v_cmp_eq_u32_e64 s25, 6, v77
	v_cndmask_b32_e64 v104, v88, v86, s17
	v_cndmask_b32_e64 v92, v89, v71, s21
	v_cmp_eq_u32_e64 s22, 1, v81
	ds_load_b128 v[87:90], v82 offset:1024
	v_cmp_eq_u32_e64 s24, 2, v81
	v_cmp_eq_u32_e64 s26, 3, v81
	v_cndmask_b32_e64 v105, v92, v96, s23
	v_cndmask_b32_e64 v66, v69, v66, s22
	;; [unrolled: 1-line block ×4, first 2 shown]
	ds_load_b128 v[91:94], v82 offset:1040
	v_cmp_eq_u32_e64 s27, 4, v81
	v_cndmask_b32_e64 v66, v66, v70, s24
	v_cmp_eq_u32_e64 s28, 7, v77
	v_cndmask_b32_e64 v70, v83, v84, s24
	v_cndmask_b32_e64 v84, v105, v72, s25
	v_cmp_eq_u32_e64 s29, 5, v81
	v_cndmask_b32_e64 v66, v66, v95, s26
	v_cmp_eq_u32_e64 s30, 6, v81
	v_cndmask_b32_e64 v70, v70, v98, s26
	v_cndmask_b32_e64 v69, v69, v99, s23
	;; [unrolled: 1-line block ×4, first 2 shown]
	s_waitcnt lgkmcnt(1)
	v_lshrrev_b32_e32 v95, 16, v87
	v_cndmask_b32_e64 v70, v70, v85, s27
	v_cndmask_b32_e64 v71, v84, v97, s28
	v_cndmask_b32_e64 v69, v69, v86, s25
	v_cndmask_b32_e64 v66, v66, v96, s29
	v_cndmask_b32_e32 v84, v87, v95, vcc_lo
	v_cndmask_b32_e64 v70, v70, v99, s29
	s_waitcnt lgkmcnt(0)
	v_lshrrev_b32_e32 v85, 16, v91
	v_lshrrev_b32_e32 v96, 16, v88
	v_cndmask_b32_e64 v98, v87, v95, s4
	v_cndmask_b32_e64 v84, v84, v88, s5
	;; [unrolled: 1-line block ×3, first 2 shown]
	v_cndmask_b32_e32 v99, v91, v85, vcc_lo
	v_cmp_eq_u32_e32 vcc_lo, 7, v81
	v_cndmask_b32_e64 v66, v66, v72, s30
	v_cndmask_b32_e64 v72, v84, v96, s8
	;; [unrolled: 1-line block ×3, first 2 shown]
	v_lshrrev_b32_e32 v98, 16, v92
	v_cndmask_b32_e32 v70, v70, v100, vcc_lo
	v_cndmask_b32_e64 v86, v99, v92, s5
	v_cndmask_b32_e64 v69, v69, v100, s28
	v_lshrrev_b32_e32 v100, 16, v93
	v_cndmask_b32_e64 v72, v72, v89, s10
	v_lshrrev_b32_e32 v99, 16, v89
	v_cndmask_b32_e64 v86, v86, v98, s8
	v_perm_b32 v71, v69, v71, 0x5040100
	v_cndmask_b32_e64 v84, v84, v96, s9
	s_delay_alu instid0(VALU_DEP_3) | instskip(NEXT) | instid1(VALU_DEP_2)
	v_cndmask_b32_e64 v86, v86, v93, s10
	v_cndmask_b32_e64 v84, v84, v89, s12
	s_delay_alu instid0(VALU_DEP_2) | instskip(NEXT) | instid1(VALU_DEP_1)
	v_cndmask_b32_e64 v86, v86, v100, s11
	v_cndmask_b32_e64 v69, v86, v94, s13
	v_cndmask_b32_e64 v86, v87, v95, s6
	v_cndmask_b32_e64 v87, v87, v95, s22
	v_cndmask_b32_e64 v95, v91, v85, s22
	s_delay_alu instid0(VALU_DEP_3) | instskip(NEXT) | instid1(VALU_DEP_3)
	v_cndmask_b32_e64 v86, v86, v88, s18
	v_cndmask_b32_e64 v87, v87, v88, s24
	s_delay_alu instid0(VALU_DEP_3) | instskip(NEXT) | instid1(VALU_DEP_3)
	v_cndmask_b32_e64 v88, v95, v92, s24
	v_cndmask_b32_e64 v86, v86, v96, s20
	;; [unrolled: 3-line block ×7, first 2 shown]
	s_delay_alu instid0(VALU_DEP_3) | instskip(SKIP_2) | instid1(VALU_DEP_2)
	v_cndmask_b32_e64 v88, v88, v94, s30
	v_cndmask_b32_e32 v66, v66, v97, vcc_lo
	v_cndmask_b32_e64 v97, v72, v99, s11
	v_perm_b32 v72, v70, v66, 0x5040100
	v_perm_b32 v70, v83, v103, 0x5040100
	v_cndmask_b32_e64 v103, v91, v85, s6
	v_cndmask_b32_e64 v85, v91, v85, s4
	;; [unrolled: 1-line block ×4, first 2 shown]
	v_lshrrev_b32_e32 v97, 16, v90
	v_cndmask_b32_e64 v91, v103, v92, s18
	v_cndmask_b32_e64 v85, v85, v92, s7
	;; [unrolled: 1-line block ×3, first 2 shown]
	s_mov_b32 s4, exec_lo
	v_cndmask_b32_e64 v83, v84, v97, s16
	v_cndmask_b32_e64 v91, v91, v98, s20
	;; [unrolled: 1-line block ×3, first 2 shown]
	v_lshrrev_b32_e32 v84, 16, v94
	v_cndmask_b32_e64 v66, v66, v97, s19
	v_cndmask_b32_e64 v90, v86, v97, s28
	;; [unrolled: 1-line block ×4, first 2 shown]
	v_dual_cndmask_b32 v86, v87, v97 :: v_dual_cndmask_b32 v87, v88, v84
	v_cndmask_b32_e64 v91, v69, v84, s16
	s_delay_alu instid0(VALU_DEP_4) | instskip(NEXT) | instid1(VALU_DEP_4)
	v_cndmask_b32_e64 v89, v89, v100, s23
	v_cndmask_b32_e64 v85, v85, v100, s15
	v_perm_b32 v69, v102, v101, 0x5040100
	v_perm_b32 v86, v87, v86, 0x5040100
	;; [unrolled: 1-line block ×3, first 2 shown]
	v_cndmask_b32_e64 v89, v89, v94, s25
	v_cndmask_b32_e64 v85, v85, v94, s17
	s_mul_i32 s9, s37, 3
	s_delay_alu instid0(VALU_DEP_2) | instskip(NEXT) | instid1(VALU_DEP_2)
	v_cndmask_b32_e64 v88, v89, v84, s28
	v_cndmask_b32_e64 v89, v85, v84, s19
	s_delay_alu instid0(VALU_DEP_2) | instskip(NEXT) | instid1(VALU_DEP_2)
	v_perm_b32 v85, v88, v90, 0x5040100
	v_perm_b32 v84, v89, v66, 0x5040100
	ds_store_b128 v76, v[69:72]
	ds_store_b128 v76, v[83:86] offset:1024
	v_cmpx_gt_u32_e32 3, v0
	s_cbranch_execz .LBB1424_78
; %bb.77:
	s_mul_i32 s5, s9, s34
	s_load_b128 s[16:19], s[0:1], 0x58
	v_add3_u32 v69, s5, s31, v65
	s_delay_alu instid0(VALU_DEP_1) | instskip(NEXT) | instid1(VALU_DEP_1)
	v_mad_u64_u32 v[65:66], null, v69, s36, s[14:15]
	v_ashrrev_i32_e32 v66, 31, v65
	s_delay_alu instid0(VALU_DEP_1) | instskip(SKIP_1) | instid1(VALU_DEP_1)
	v_lshlrev_b64 v[65:66], 2, v[65:66]
	s_waitcnt lgkmcnt(0)
	v_add_co_u32 v69, vcc_lo, s18, v65
	s_delay_alu instid0(VALU_DEP_2)
	v_add_co_ci_u32_e32 v70, vcc_lo, s19, v66, vcc_lo
	v_add_co_u32 v65, vcc_lo, s16, v65
	v_add_co_ci_u32_e32 v66, vcc_lo, s17, v66, vcc_lo
	global_store_b32 v[69:70], v67, off
	global_store_b32 v[65:66], v68, off
.LBB1424_78:
	s_or_b32 exec_lo, exec_lo, s4
	s_waitcnt lgkmcnt(0)
	s_waitcnt_vscnt null, 0x0
	s_barrier
	buffer_gl0_inv
	ds_load_b128 v[83:86], v80
	ds_load_b128 v[87:90], v80 offset:16
	ds_load_b128 v[95:98], v80 offset:2064
	;; [unrolled: 1-line block ×3, first 2 shown]
	v_mov_b32_e32 v65, 0
	ds_load_b128 v[103:106], v80 offset:4112
	ds_load_b128 v[99:102], v80 offset:4096
	;; [unrolled: 1-line block ×4, first 2 shown]
	v_mov_b32_e32 v66, v65
	v_mov_b32_e32 v67, v65
	v_mov_b32_e32 v68, v65
	v_mov_b32_e32 v69, v65
	v_mov_b32_e32 v70, v65
	v_mov_b32_e32 v71, v65
	v_mov_b32_e32 v72, v65
	s_waitcnt lgkmcnt(6)
	s_delay_alu instid0(VALU_DEP_1)
	v_wmma_f32_16x16x16_bf16 v[65:72], v[57:64], v[83:90], v[65:72]
	ds_load_b128 v[61:64], v80 offset:8208
	ds_load_b128 v[57:60], v80 offset:8192
	s_waitcnt lgkmcnt(6)
	v_wmma_f32_16x16x16_bf16 v[65:72], v[41:48], v[91:98], v[65:72]
	ds_load_b128 v[45:48], v80 offset:10256
	ds_load_b128 v[41:44], v80 offset:10240
	s_waitcnt lgkmcnt(6)
	;; [unrolled: 4-line block ×4, first 2 shown]
	v_wmma_f32_16x16x16_bf16 v[65:72], v[1:8], v[57:64], v[65:72]
	s_waitcnt lgkmcnt(4)
	s_delay_alu instid0(VALU_DEP_1) | instskip(SKIP_1) | instid1(VALU_DEP_1)
	v_wmma_f32_16x16x16_bf16 v[65:72], v[9:16], v[41:48], v[65:72]
	s_waitcnt lgkmcnt(2)
	v_wmma_f32_16x16x16_bf16 v[65:72], v[17:24], v[33:40], v[65:72]
	s_waitcnt lgkmcnt(0)
	s_delay_alu instid0(VALU_DEP_1) | instskip(NEXT) | instid1(VALU_DEP_1)
	v_wmma_f32_16x16x16_bf16 v[65:72], v[49:56], v[25:32], v[65:72]
	v_and_b32_e32 v1, 0x7f800000, v65
	s_delay_alu instid0(VALU_DEP_1) | instskip(SKIP_1) | instid1(SALU_CYCLE_1)
	v_cmp_ne_u32_e32 vcc_lo, 0x7f800000, v1
                                        ; implicit-def: $vgpr1
	s_and_saveexec_b32 s4, vcc_lo
	s_xor_b32 s4, exec_lo, s4
; %bb.79:
	v_bfe_u32 v1, v65, 16, 1
	s_delay_alu instid0(VALU_DEP_1)
	v_add3_u32 v1, v65, v1, 0x7fff
; %bb.80:
	s_and_not1_saveexec_b32 s4, s4
; %bb.81:
	v_and_b32_e32 v1, 0xffff, v65
	v_or_b32_e32 v2, 0x10000, v65
	s_delay_alu instid0(VALU_DEP_2) | instskip(NEXT) | instid1(VALU_DEP_2)
	v_cmp_eq_u32_e32 vcc_lo, 0, v1
	v_cndmask_b32_e32 v1, v2, v65, vcc_lo
; %bb.82:
	s_or_b32 exec_lo, exec_lo, s4
	v_and_b32_e32 v2, 0x7f800000, v66
	s_delay_alu instid0(VALU_DEP_1) | instskip(SKIP_1) | instid1(SALU_CYCLE_1)
	v_cmp_ne_u32_e32 vcc_lo, 0x7f800000, v2
                                        ; implicit-def: $vgpr2
	s_and_saveexec_b32 s4, vcc_lo
	s_xor_b32 s4, exec_lo, s4
; %bb.83:
	v_bfe_u32 v2, v66, 16, 1
	s_delay_alu instid0(VALU_DEP_1)
	v_add3_u32 v2, v66, v2, 0x7fff
; %bb.84:
	s_and_not1_saveexec_b32 s4, s4
; %bb.85:
	v_and_b32_e32 v2, 0xffff, v66
	v_or_b32_e32 v3, 0x10000, v66
	s_delay_alu instid0(VALU_DEP_2) | instskip(NEXT) | instid1(VALU_DEP_2)
	v_cmp_eq_u32_e32 vcc_lo, 0, v2
	v_cndmask_b32_e32 v2, v3, v66, vcc_lo
; %bb.86:
	s_or_b32 exec_lo, exec_lo, s4
	v_and_b32_e32 v3, 0x7f800000, v67
	s_delay_alu instid0(VALU_DEP_1) | instskip(SKIP_1) | instid1(SALU_CYCLE_1)
	v_cmp_ne_u32_e32 vcc_lo, 0x7f800000, v3
                                        ; implicit-def: $vgpr3
	s_and_saveexec_b32 s4, vcc_lo
	s_xor_b32 s4, exec_lo, s4
; %bb.87:
	v_bfe_u32 v3, v67, 16, 1
	s_delay_alu instid0(VALU_DEP_1)
	v_add3_u32 v3, v67, v3, 0x7fff
; %bb.88:
	s_and_not1_saveexec_b32 s4, s4
; %bb.89:
	v_and_b32_e32 v3, 0xffff, v67
	v_or_b32_e32 v4, 0x10000, v67
	s_delay_alu instid0(VALU_DEP_2) | instskip(NEXT) | instid1(VALU_DEP_2)
	v_cmp_eq_u32_e32 vcc_lo, 0, v3
	v_cndmask_b32_e32 v3, v4, v67, vcc_lo
; %bb.90:
	s_or_b32 exec_lo, exec_lo, s4
	v_and_b32_e32 v4, 0x7f800000, v68
	s_delay_alu instid0(VALU_DEP_1) | instskip(SKIP_1) | instid1(SALU_CYCLE_1)
	v_cmp_ne_u32_e32 vcc_lo, 0x7f800000, v4
                                        ; implicit-def: $vgpr4
	s_and_saveexec_b32 s4, vcc_lo
	s_xor_b32 s4, exec_lo, s4
; %bb.91:
	v_bfe_u32 v4, v68, 16, 1
	s_delay_alu instid0(VALU_DEP_1)
	v_add3_u32 v4, v68, v4, 0x7fff
; %bb.92:
	s_and_not1_saveexec_b32 s4, s4
; %bb.93:
	v_and_b32_e32 v4, 0xffff, v68
	v_or_b32_e32 v5, 0x10000, v68
	s_delay_alu instid0(VALU_DEP_2) | instskip(NEXT) | instid1(VALU_DEP_2)
	v_cmp_eq_u32_e32 vcc_lo, 0, v4
	v_cndmask_b32_e32 v4, v5, v68, vcc_lo
; %bb.94:
	s_or_b32 exec_lo, exec_lo, s4
	v_and_b32_e32 v5, 0x7f800000, v69
	s_delay_alu instid0(VALU_DEP_1) | instskip(SKIP_1) | instid1(SALU_CYCLE_1)
	v_cmp_ne_u32_e32 vcc_lo, 0x7f800000, v5
                                        ; implicit-def: $vgpr5
	s_and_saveexec_b32 s4, vcc_lo
	s_xor_b32 s4, exec_lo, s4
; %bb.95:
	v_bfe_u32 v5, v69, 16, 1
	s_delay_alu instid0(VALU_DEP_1)
	v_add3_u32 v5, v69, v5, 0x7fff
; %bb.96:
	s_and_not1_saveexec_b32 s4, s4
; %bb.97:
	v_and_b32_e32 v5, 0xffff, v69
	v_or_b32_e32 v6, 0x10000, v69
	s_delay_alu instid0(VALU_DEP_2) | instskip(NEXT) | instid1(VALU_DEP_2)
	v_cmp_eq_u32_e32 vcc_lo, 0, v5
	v_cndmask_b32_e32 v5, v6, v69, vcc_lo
; %bb.98:
	s_or_b32 exec_lo, exec_lo, s4
	v_and_b32_e32 v6, 0x7f800000, v70
	s_delay_alu instid0(VALU_DEP_1) | instskip(SKIP_1) | instid1(SALU_CYCLE_1)
	v_cmp_ne_u32_e32 vcc_lo, 0x7f800000, v6
                                        ; implicit-def: $vgpr6
	s_and_saveexec_b32 s4, vcc_lo
	s_xor_b32 s4, exec_lo, s4
; %bb.99:
	v_bfe_u32 v6, v70, 16, 1
	s_delay_alu instid0(VALU_DEP_1)
	v_add3_u32 v6, v70, v6, 0x7fff
; %bb.100:
	s_and_not1_saveexec_b32 s4, s4
; %bb.101:
	v_and_b32_e32 v6, 0xffff, v70
	v_or_b32_e32 v7, 0x10000, v70
	s_delay_alu instid0(VALU_DEP_2) | instskip(NEXT) | instid1(VALU_DEP_2)
	v_cmp_eq_u32_e32 vcc_lo, 0, v6
	v_cndmask_b32_e32 v6, v7, v70, vcc_lo
; %bb.102:
	s_or_b32 exec_lo, exec_lo, s4
	v_and_b32_e32 v7, 0x7f800000, v71
	s_delay_alu instid0(VALU_DEP_1) | instskip(SKIP_1) | instid1(SALU_CYCLE_1)
	v_cmp_ne_u32_e32 vcc_lo, 0x7f800000, v7
                                        ; implicit-def: $vgpr7
	s_and_saveexec_b32 s4, vcc_lo
	s_xor_b32 s4, exec_lo, s4
; %bb.103:
	v_bfe_u32 v7, v71, 16, 1
	s_delay_alu instid0(VALU_DEP_1)
	v_add3_u32 v7, v71, v7, 0x7fff
; %bb.104:
	s_and_not1_saveexec_b32 s4, s4
; %bb.105:
	v_and_b32_e32 v7, 0xffff, v71
	v_or_b32_e32 v8, 0x10000, v71
	s_delay_alu instid0(VALU_DEP_2) | instskip(NEXT) | instid1(VALU_DEP_2)
	v_cmp_eq_u32_e32 vcc_lo, 0, v7
	v_cndmask_b32_e32 v7, v8, v71, vcc_lo
; %bb.106:
	s_or_b32 exec_lo, exec_lo, s4
	v_and_b32_e32 v8, 0x7f800000, v72
	s_delay_alu instid0(VALU_DEP_1) | instskip(SKIP_1) | instid1(SALU_CYCLE_1)
	v_cmp_ne_u32_e32 vcc_lo, 0x7f800000, v8
                                        ; implicit-def: $vgpr8
	s_and_saveexec_b32 s4, vcc_lo
	s_xor_b32 s4, exec_lo, s4
; %bb.107:
	v_bfe_u32 v8, v72, 16, 1
	s_delay_alu instid0(VALU_DEP_1)
	v_add3_u32 v8, v72, v8, 0x7fff
                                        ; implicit-def: $vgpr65_vgpr66_vgpr67_vgpr68_vgpr69_vgpr70_vgpr71_vgpr72
; %bb.108:
	s_and_not1_saveexec_b32 s4, s4
; %bb.109:
	v_and_b32_e32 v8, 0xffff, v72
	v_or_b32_e32 v9, 0x10000, v72
	s_delay_alu instid0(VALU_DEP_2) | instskip(NEXT) | instid1(VALU_DEP_2)
	v_cmp_eq_u32_e32 vcc_lo, 0, v8
	v_cndmask_b32_e32 v8, v9, v72, vcc_lo
; %bb.110:
	s_or_b32 exec_lo, exec_lo, s4
	s_delay_alu instid0(VALU_DEP_1)
	v_perm_b32 v7, v8, v7, 0x7060302
	v_perm_b32 v6, v6, v5, 0x7060302
	;; [unrolled: 1-line block ×4, first 2 shown]
	s_barrier
	buffer_gl0_inv
	v_cmp_eq_u32_e32 vcc_lo, 1, v78
	ds_store_b128 v76, v[4:7]
	s_waitcnt lgkmcnt(0)
	s_barrier
	buffer_gl0_inv
	ds_load_b128 v[1:4], v82
	ds_load_b128 v[5:8], v82 offset:16
	v_cmp_eq_u32_e64 s4, 1, v79
	v_cmp_eq_u32_e64 s5, 2, v78
	;; [unrolled: 1-line block ×5, first 2 shown]
	s_waitcnt lgkmcnt(1)
	v_lshrrev_b32_e32 v9, 16, v1
	s_waitcnt lgkmcnt(0)
	v_lshrrev_b32_e32 v13, 16, v5
	v_lshrrev_b32_e32 v10, 16, v2
	;; [unrolled: 1-line block ×4, first 2 shown]
	v_cndmask_b32_e64 v19, v1, v9, s4
	v_cndmask_b32_e32 v18, v5, v13, vcc_lo
	v_cndmask_b32_e64 v20, v5, v13, s4
	v_cndmask_b32_e32 v17, v1, v9, vcc_lo
	v_cmp_eq_u32_e32 vcc_lo, 2, v79
	v_lshrrev_b32_e32 v15, 16, v7
	v_cmp_eq_u32_e64 s4, 1, v77
	v_lshrrev_b32_e32 v12, 16, v4
	v_lshrrev_b32_e32 v16, 16, v8
	v_cndmask_b32_e32 v20, v20, v6, vcc_lo
	v_cndmask_b32_e64 v17, v17, v2, s5
	v_cndmask_b32_e32 v19, v19, v2, vcc_lo
	v_cndmask_b32_e64 v18, v18, v6, s5
	v_cmp_eq_u32_e32 vcc_lo, 4, v78
	v_cmp_eq_u32_e64 s5, 3, v79
	v_cndmask_b32_e64 v17, v17, v10, s6
	v_cndmask_b32_e64 v21, v1, v9, s4
	;; [unrolled: 1-line block ×5, first 2 shown]
	v_cndmask_b32_e32 v17, v17, v3, vcc_lo
	v_cndmask_b32_e64 v20, v20, v14, s5
	v_cndmask_b32_e32 v18, v18, v7, vcc_lo
	v_cmp_eq_u32_e32 vcc_lo, 4, v79
	v_cmp_eq_u32_e64 s5, 5, v79
	v_cmp_eq_u32_e64 s4, 2, v81
	v_cndmask_b32_e64 v21, v21, v2, s8
	v_cmp_eq_u32_e64 s6, 5, v78
	v_cndmask_b32_e32 v19, v19, v3, vcc_lo
	v_cndmask_b32_e32 v20, v20, v7, vcc_lo
	v_cmp_eq_u32_e32 vcc_lo, 6, v79
	s_delay_alu instid0(VALU_DEP_4) | instskip(NEXT) | instid1(VALU_DEP_4)
	v_cndmask_b32_e64 v17, v17, v11, s6
	v_cndmask_b32_e64 v19, v19, v11, s5
	s_delay_alu instid0(VALU_DEP_4) | instskip(SKIP_1) | instid1(VALU_DEP_3)
	v_cndmask_b32_e64 v20, v20, v15, s5
	v_cmp_eq_u32_e64 s5, 1, v81
	v_cndmask_b32_e32 v19, v19, v4, vcc_lo
	v_cndmask_b32_e64 v18, v18, v15, s6
	s_delay_alu instid0(VALU_DEP_3)
	v_cndmask_b32_e64 v1, v1, v9, s5
	v_cndmask_b32_e64 v5, v5, v13, s5
	v_cmp_eq_u32_e64 s5, 3, v77
	v_cndmask_b32_e64 v13, v22, v6, s8
	v_cmp_eq_u32_e64 s8, 3, v81
	v_cndmask_b32_e64 v1, v1, v2, s4
	v_cndmask_b32_e64 v2, v5, v6, s4
	;; [unrolled: 1-line block ×3, first 2 shown]
	v_cmp_eq_u32_e64 s4, 4, v77
	v_cndmask_b32_e64 v6, v13, v14, s5
	v_cndmask_b32_e64 v1, v1, v10, s8
	v_cmp_eq_u32_e64 s5, 4, v81
	v_cndmask_b32_e64 v2, v2, v14, s8
	v_cndmask_b32_e64 v5, v9, v3, s4
	;; [unrolled: 3-line block ×3, first 2 shown]
	v_cndmask_b32_e64 v2, v2, v7, s5
	v_cmp_eq_u32_e64 s4, 5, v81
	v_cmp_eq_u32_e64 s6, 6, v78
	v_cndmask_b32_e64 v5, v5, v11, s8
	v_cmp_eq_u32_e64 s5, 6, v77
	v_cndmask_b32_e64 v3, v6, v15, s8
	v_cndmask_b32_e64 v1, v1, v11, s4
	v_cmp_eq_u32_e64 s8, 6, v81
	v_cndmask_b32_e64 v2, v2, v15, s4
	v_cndmask_b32_e64 v17, v17, v4, s6
	v_cndmask_b32_e64 v18, v18, v8, s6
	v_cmp_eq_u32_e64 s6, 7, v78
	v_cndmask_b32_e64 v5, v5, v4, s5
	;; [unrolled: 4-line block ×3, first 2 shown]
	v_cmp_eq_u32_e64 s5, 7, v77
	v_cndmask_b32_e32 v4, v20, v8, vcc_lo
	v_cndmask_b32_e64 v17, v17, v12, s6
	v_cndmask_b32_e64 v19, v19, v12, s7
	;; [unrolled: 1-line block ×8, first 2 shown]
	v_cmp_gt_u32_e32 vcc_lo, 32, v0
	v_perm_b32 v4, v2, v1, 0x5040100
	v_perm_b32 v3, v3, v5, 0x5040100
	;; [unrolled: 1-line block ×4, first 2 shown]
	s_and_b32 s2, vcc_lo, s2
	ds_store_b128 v76, v[1:4]
	s_waitcnt lgkmcnt(0)
	s_barrier
	buffer_gl0_inv
	s_and_saveexec_b32 s4, s2
	s_cbranch_execz .LBB1424_2
; %bb.111:
	s_load_b64 s[4:5], s[0:1], 0x68
	v_lshlrev_b32_e32 v0, 10, v0
	v_lshlrev_b32_e32 v2, 4, v75
	v_add_nc_u32_e32 v1, s31, v74
	s_lshl_b32 s0, s36, 6
	s_delay_alu instid0(SALU_CYCLE_1) | instskip(NEXT) | instid1(VALU_DEP_2)
	s_mul_i32 s1, s0, s34
	v_and_or_b32 v0, 0x3800, v0, v2
	s_mul_i32 s6, s1, s9
	v_mul_lo_u32 v1, v1, s0
	s_ashr_i32 s7, s6, 31
	s_delay_alu instid0(VALU_DEP_2) | instskip(SKIP_1) | instid1(VALU_DEP_2)
	v_lshl_or_b32 v3, v74, 6, v0
	s_lshl_b64 s[6:7], s[6:7], 1
	v_ashrrev_i32_e32 v2, 31, v1
	ds_load_b128 v[3:6], v3
	s_waitcnt lgkmcnt(0)
	s_add_u32 s1, s4, s6
	s_addc_u32 s2, s5, s7
	s_lshl_b32 s4, s14, 6
	v_lshlrev_b64 v[7:8], 1, v[1:2]
	s_ashr_i32 s5, s4, 31
	s_delay_alu instid0(SALU_CYCLE_1) | instskip(NEXT) | instid1(SALU_CYCLE_1)
	s_lshl_b64 s[4:5], s[4:5], 1
	s_add_u32 s1, s1, s4
	s_addc_u32 s2, s2, s5
	v_add_co_u32 v1, s1, s1, v73
	s_delay_alu instid0(VALU_DEP_1) | instskip(NEXT) | instid1(VALU_DEP_2)
	v_add_co_ci_u32_e64 v2, null, s2, 0, s1
	v_add_co_u32 v7, vcc_lo, v1, v7
	s_delay_alu instid0(VALU_DEP_2)
	v_add_co_ci_u32_e32 v8, vcc_lo, v2, v8, vcc_lo
	global_store_b128 v[7:8], v[3:6], off
	s_and_b32 exec_lo, exec_lo, s3
	s_cbranch_execz .LBB1424_2
; %bb.112:
	ds_load_b128 v[3:6], v0 offset:128
	s_add_i32 s1, s31, 2
	s_delay_alu instid0(SALU_CYCLE_1) | instskip(NEXT) | instid1(SALU_CYCLE_1)
	s_mul_i32 s0, s1, s0
	s_ashr_i32 s1, s0, 31
	s_delay_alu instid0(SALU_CYCLE_1) | instskip(NEXT) | instid1(SALU_CYCLE_1)
	s_lshl_b64 s[0:1], s[0:1], 1
	v_add_co_u32 v0, vcc_lo, v1, s0
	v_add_co_ci_u32_e32 v1, vcc_lo, s1, v2, vcc_lo
	s_waitcnt lgkmcnt(0)
	global_store_b128 v[0:1], v[3:6], off
	s_nop 0
	s_sendmsg sendmsg(MSG_DEALLOC_VGPRS)
	s_endpgm
	.section	.rodata,"a",@progbits
	.p2align	6, 0x0
	.amdhsa_kernel _Z39paged_attention_ll4mi_QKV_mfma16_kernelI14__hip_bfloat16hLN4vllm18Fp8KVCacheDataTypeE1ES0_Li16ELi64ELi256ELb0ELi3EL8MFMAType1EEvPKT_PKT0_S9_ifPKiSB_SB_iPKfiiiPfSE_PS4_PT2_iSD_SD_
		.amdhsa_group_segment_fixed_size 17472
		.amdhsa_private_segment_fixed_size 0
		.amdhsa_kernarg_size 400
		.amdhsa_user_sgpr_count 13
		.amdhsa_user_sgpr_dispatch_ptr 0
		.amdhsa_user_sgpr_queue_ptr 0
		.amdhsa_user_sgpr_kernarg_segment_ptr 1
		.amdhsa_user_sgpr_dispatch_id 0
		.amdhsa_user_sgpr_private_segment_size 0
		.amdhsa_wavefront_size32 1
		.amdhsa_uses_dynamic_stack 0
		.amdhsa_enable_private_segment 0
		.amdhsa_system_sgpr_workgroup_id_x 1
		.amdhsa_system_sgpr_workgroup_id_y 1
		.amdhsa_system_sgpr_workgroup_id_z 1
		.amdhsa_system_sgpr_workgroup_info 0
		.amdhsa_system_vgpr_workitem_id 0
		.amdhsa_next_free_vgpr 124
		.amdhsa_next_free_sgpr 40
		.amdhsa_reserve_vcc 1
		.amdhsa_float_round_mode_32 0
		.amdhsa_float_round_mode_16_64 0
		.amdhsa_float_denorm_mode_32 3
		.amdhsa_float_denorm_mode_16_64 3
		.amdhsa_dx10_clamp 1
		.amdhsa_ieee_mode 1
		.amdhsa_fp16_overflow 0
		.amdhsa_workgroup_processor_mode 1
		.amdhsa_memory_ordered 1
		.amdhsa_forward_progress 0
		.amdhsa_shared_vgpr_count 0
		.amdhsa_exception_fp_ieee_invalid_op 0
		.amdhsa_exception_fp_denorm_src 0
		.amdhsa_exception_fp_ieee_div_zero 0
		.amdhsa_exception_fp_ieee_overflow 0
		.amdhsa_exception_fp_ieee_underflow 0
		.amdhsa_exception_fp_ieee_inexact 0
		.amdhsa_exception_int_div_zero 0
	.end_amdhsa_kernel
	.section	.text._Z39paged_attention_ll4mi_QKV_mfma16_kernelI14__hip_bfloat16hLN4vllm18Fp8KVCacheDataTypeE1ES0_Li16ELi64ELi256ELb0ELi3EL8MFMAType1EEvPKT_PKT0_S9_ifPKiSB_SB_iPKfiiiPfSE_PS4_PT2_iSD_SD_,"axG",@progbits,_Z39paged_attention_ll4mi_QKV_mfma16_kernelI14__hip_bfloat16hLN4vllm18Fp8KVCacheDataTypeE1ES0_Li16ELi64ELi256ELb0ELi3EL8MFMAType1EEvPKT_PKT0_S9_ifPKiSB_SB_iPKfiiiPfSE_PS4_PT2_iSD_SD_,comdat
.Lfunc_end1424:
	.size	_Z39paged_attention_ll4mi_QKV_mfma16_kernelI14__hip_bfloat16hLN4vllm18Fp8KVCacheDataTypeE1ES0_Li16ELi64ELi256ELb0ELi3EL8MFMAType1EEvPKT_PKT0_S9_ifPKiSB_SB_iPKfiiiPfSE_PS4_PT2_iSD_SD_, .Lfunc_end1424-_Z39paged_attention_ll4mi_QKV_mfma16_kernelI14__hip_bfloat16hLN4vllm18Fp8KVCacheDataTypeE1ES0_Li16ELi64ELi256ELb0ELi3EL8MFMAType1EEvPKT_PKT0_S9_ifPKiSB_SB_iPKfiiiPfSE_PS4_PT2_iSD_SD_
                                        ; -- End function
	.section	.AMDGPU.csdata,"",@progbits
; Kernel info:
; codeLenInByte = 8700
; NumSgprs: 42
; NumVgprs: 124
; ScratchSize: 0
; MemoryBound: 0
; FloatMode: 240
; IeeeMode: 1
; LDSByteSize: 17472 bytes/workgroup (compile time only)
; SGPRBlocks: 5
; VGPRBlocks: 15
; NumSGPRsForWavesPerEU: 42
; NumVGPRsForWavesPerEU: 124
; Occupancy: 10
; WaveLimiterHint : 1
; COMPUTE_PGM_RSRC2:SCRATCH_EN: 0
; COMPUTE_PGM_RSRC2:USER_SGPR: 13
; COMPUTE_PGM_RSRC2:TRAP_HANDLER: 0
; COMPUTE_PGM_RSRC2:TGID_X_EN: 1
; COMPUTE_PGM_RSRC2:TGID_Y_EN: 1
; COMPUTE_PGM_RSRC2:TGID_Z_EN: 1
; COMPUTE_PGM_RSRC2:TIDIG_COMP_CNT: 0
	.section	.text._Z39paged_attention_ll4mi_QKV_mfma16_kernelI14__hip_bfloat16hLN4vllm18Fp8KVCacheDataTypeE1ES0_Li16ELi64ELi256ELb0ELi4EL8MFMAType1EEvPKT_PKT0_S9_ifPKiSB_SB_iPKfiiiPfSE_PS4_PT2_iSD_SD_,"axG",@progbits,_Z39paged_attention_ll4mi_QKV_mfma16_kernelI14__hip_bfloat16hLN4vllm18Fp8KVCacheDataTypeE1ES0_Li16ELi64ELi256ELb0ELi4EL8MFMAType1EEvPKT_PKT0_S9_ifPKiSB_SB_iPKfiiiPfSE_PS4_PT2_iSD_SD_,comdat
	.protected	_Z39paged_attention_ll4mi_QKV_mfma16_kernelI14__hip_bfloat16hLN4vllm18Fp8KVCacheDataTypeE1ES0_Li16ELi64ELi256ELb0ELi4EL8MFMAType1EEvPKT_PKT0_S9_ifPKiSB_SB_iPKfiiiPfSE_PS4_PT2_iSD_SD_ ; -- Begin function _Z39paged_attention_ll4mi_QKV_mfma16_kernelI14__hip_bfloat16hLN4vllm18Fp8KVCacheDataTypeE1ES0_Li16ELi64ELi256ELb0ELi4EL8MFMAType1EEvPKT_PKT0_S9_ifPKiSB_SB_iPKfiiiPfSE_PS4_PT2_iSD_SD_
	.globl	_Z39paged_attention_ll4mi_QKV_mfma16_kernelI14__hip_bfloat16hLN4vllm18Fp8KVCacheDataTypeE1ES0_Li16ELi64ELi256ELb0ELi4EL8MFMAType1EEvPKT_PKT0_S9_ifPKiSB_SB_iPKfiiiPfSE_PS4_PT2_iSD_SD_
	.p2align	8
	.type	_Z39paged_attention_ll4mi_QKV_mfma16_kernelI14__hip_bfloat16hLN4vllm18Fp8KVCacheDataTypeE1ES0_Li16ELi64ELi256ELb0ELi4EL8MFMAType1EEvPKT_PKT0_S9_ifPKiSB_SB_iPKfiiiPfSE_PS4_PT2_iSD_SD_,@function
_Z39paged_attention_ll4mi_QKV_mfma16_kernelI14__hip_bfloat16hLN4vllm18Fp8KVCacheDataTypeE1ES0_Li16ELi64ELi256ELb0ELi4EL8MFMAType1EEvPKT_PKT0_S9_ifPKiSB_SB_iPKfiiiPfSE_PS4_PT2_iSD_SD_: ; @_Z39paged_attention_ll4mi_QKV_mfma16_kernelI14__hip_bfloat16hLN4vllm18Fp8KVCacheDataTypeE1ES0_Li16ELi64ELi256ELb0ELi4EL8MFMAType1EEvPKT_PKT0_S9_ifPKiSB_SB_iPKfiiiPfSE_PS4_PT2_iSD_SD_
; %bb.0:
	s_load_b64 s[2:3], s[0:1], 0x30
	s_mov_b32 s30, s13
	s_waitcnt lgkmcnt(0)
	s_cmp_lg_u64 s[2:3], 0
	s_cselect_b32 s8, -1, 0
	s_ashr_i32 s31, s13, 31
	s_cmp_eq_u64 s[2:3], 0
	s_cbranch_scc1 .LBB1425_3
; %bb.1:
	s_lshl_b64 s[4:5], s[30:31], 2
	s_delay_alu instid0(SALU_CYCLE_1) | instskip(SKIP_4) | instid1(SALU_CYCLE_1)
	s_add_u32 s4, s2, s4
	s_addc_u32 s5, s3, s5
	s_load_b64 s[4:5], s[4:5], 0x0
	s_waitcnt lgkmcnt(0)
	s_sub_i32 s4, s5, s4
	s_cmp_eq_u32 s4, 1
	s_cselect_b32 s4, -1, 0
	s_delay_alu instid0(SALU_CYCLE_1)
	s_and_not1_b32 vcc_lo, exec_lo, s4
	s_cbranch_vccz .LBB1425_4
.LBB1425_2:
	s_endpgm
.LBB1425_3:
.LBB1425_4:
	s_load_b64 s[4:5], s[0:1], 0x28
	s_lshl_b64 s[6:7], s[30:31], 2
	s_waitcnt lgkmcnt(0)
	s_add_u32 s4, s4, s6
	s_addc_u32 s5, s5, s7
	s_lshl_b32 s12, s14, 8
	s_load_b32 s24, s[4:5], 0x0
	s_waitcnt lgkmcnt(0)
	s_cmp_ge_i32 s12, s24
	s_cbranch_scc1 .LBB1425_2
; %bb.5:
	s_clause 0x1
	s_load_b128 s[20:23], s[0:1], 0x8
	s_load_b64 s[4:5], s[0:1], 0x20
	s_and_not1_b32 vcc_lo, exec_lo, s8
	s_cbranch_vccnz .LBB1425_7
; %bb.6:
	s_add_u32 s2, s2, s6
	s_addc_u32 s3, s3, s7
	s_load_b32 s3, s[2:3], 0x0
	s_branch .LBB1425_8
.LBB1425_7:
	s_mov_b32 s3, s30
.LBB1425_8:
	s_load_b128 s[16:19], s[0:1], 0x48
	v_and_b32_e32 v66, 15, v0
	v_cmp_gt_u32_e32 vcc_lo, 64, v0
	v_lshrrev_b32_e32 v65, 5, v0
	v_and_b32_e32 v67, 31, v0
	v_and_b32_e32 v74, 1, v0
	v_lshlrev_b32_e32 v1, 3, v66
	v_cmp_gt_u32_e64 s2, 8, v66
	v_bfe_u32 v75, v0, 4, 1
	s_lshl_b32 s31, s15, 2
	s_delay_alu instid0(VALU_DEP_3) | instskip(NEXT) | instid1(VALU_DEP_3)
	v_lshlrev_b32_e32 v73, 1, v1
	s_and_b32 s7, vcc_lo, s2
	s_delay_alu instid0(SALU_CYCLE_1)
	s_and_saveexec_b32 s6, s7
	s_cbranch_execz .LBB1425_10
; %bb.9:
	v_lshl_or_b32 v5, v65, 1, v75
	s_load_b64 s[8:9], s[0:1], 0x0
	s_waitcnt lgkmcnt(0)
	s_mul_hi_i32 s11, s3, s16
	s_mul_i32 s10, s3, s16
	v_lshlrev_b32_e32 v6, 10, v66
	v_or_b32_e32 v1, s31, v5
	s_lshl_b64 s[10:11], s[10:11], 1
	v_lshlrev_b32_e32 v5, 6, v5
	v_lshlrev_b32_e32 v7, 10, v74
	v_and_b32_e32 v6, 0x3800, v6
	v_lshlrev_b32_e32 v1, 6, v1
	s_delay_alu instid0(VALU_DEP_2) | instskip(NEXT) | instid1(VALU_DEP_2)
	v_or3_b32 v5, v6, v7, v5
	v_ashrrev_i32_e32 v2, 31, v1
	s_delay_alu instid0(VALU_DEP_1) | instskip(SKIP_2) | instid1(VALU_DEP_1)
	v_lshlrev_b64 v[1:2], 1, v[1:2]
	s_add_u32 s3, s8, s10
	s_addc_u32 s7, s9, s11
	v_add_co_u32 v1, vcc_lo, s3, v1
	s_delay_alu instid0(VALU_DEP_2) | instskip(NEXT) | instid1(VALU_DEP_2)
	v_add_co_ci_u32_e32 v2, vcc_lo, s7, v2, vcc_lo
	v_add_co_u32 v1, vcc_lo, v1, v73
	s_delay_alu instid0(VALU_DEP_2)
	v_add_co_ci_u32_e32 v2, vcc_lo, 0, v2, vcc_lo
	global_load_b128 v[1:4], v[1:2], off
	s_waitcnt vmcnt(0)
	ds_store_b128 v5, v[1:4]
.LBB1425_10:
	s_or_b32 exec_lo, exec_lo, s6
	v_and_b32_e32 v1, 0xef, v0
	s_waitcnt lgkmcnt(0)
	s_add_i32 s3, s24, 15
	s_clause 0x1
	s_load_b32 s6, s[0:1], 0x38
	s_load_b32 s19, s[0:1], 0x1c
	s_ashr_i32 s7, s3, 31
	v_add_nc_u32_e32 v1, s12, v1
	s_lshr_b32 s7, s7, 28
	s_waitcnt lgkmcnt(0)
	s_add_i32 s3, s3, s7
	s_barrier
	v_ashrrev_i32_e32 v2, 31, v1
	v_or_b32_e32 v3, 16, v1
	s_ashr_i32 s3, s3, 4
	v_cmp_gt_i32_e32 vcc_lo, s24, v1
	s_add_i32 s3, s3, -1
	v_lshrrev_b32_e32 v2, 28, v2
	buffer_gl0_inv
	s_mul_i32 s27, s15, s18
	v_add_nc_u32_e32 v4, v1, v2
	s_mul_i32 s6, s30, s6
	s_delay_alu instid0(SALU_CYCLE_1) | instskip(NEXT) | instid1(VALU_DEP_1)
	s_ashr_i32 s7, s6, 31
	v_ashrrev_i32_e32 v4, 4, v4
	v_add_nc_u32_e32 v2, v3, v2
	s_lshl_b64 s[6:7], s[6:7], 2
	s_delay_alu instid0(SALU_CYCLE_1) | instskip(NEXT) | instid1(VALU_DEP_2)
	s_add_u32 s26, s4, s6
	v_cndmask_b32_e32 v1, s3, v4, vcc_lo
	s_delay_alu instid0(VALU_DEP_2)
	v_ashrrev_i32_e32 v2, 4, v2
	v_cmp_gt_i32_e32 vcc_lo, s24, v3
	s_addc_u32 s25, s5, s7
	s_ashr_i32 s28, s27, 31
	s_add_u32 s13, s20, s27
	s_addc_u32 s15, s21, s28
	v_cndmask_b32_e32 v3, s3, v2, vcc_lo
	v_ashrrev_i32_e32 v2, 31, v1
	s_lshl_b32 s4, s14, 4
	s_delay_alu instid0(SALU_CYCLE_1) | instskip(NEXT) | instid1(VALU_DEP_2)
	s_ashr_i32 s5, s4, 31
	v_ashrrev_i32_e32 v4, 31, v3
	s_delay_alu instid0(VALU_DEP_2) | instskip(SKIP_1) | instid1(SALU_CYCLE_1)
	v_lshlrev_b64 v[1:2], 2, v[1:2]
	s_lshl_b64 s[4:5], s[4:5], 2
	s_add_u32 s4, s26, s4
	s_delay_alu instid0(VALU_DEP_2) | instskip(SKIP_1) | instid1(VALU_DEP_2)
	v_lshlrev_b64 v[3:4], 2, v[3:4]
	s_addc_u32 s5, s25, s5
	v_add_co_u32 v1, vcc_lo, s26, v1
	v_add_co_ci_u32_e32 v2, vcc_lo, s25, v2, vcc_lo
	s_delay_alu instid0(VALU_DEP_3) | instskip(NEXT) | instid1(VALU_DEP_4)
	v_add_co_u32 v3, vcc_lo, s26, v3
	v_add_co_ci_u32_e32 v4, vcc_lo, s25, v4, vcc_lo
	s_clause 0x1
	global_load_b32 v5, v[1:2], off
	global_load_b32 v7, v[3:4], off
	s_or_b32 s6, s12, 32
	v_lshlrev_b32_e32 v1, 4, v0
	s_ashr_i32 s7, s6, 4
	s_cmp_lt_i32 s6, s24
	s_cselect_b32 s6, s7, s3
	s_delay_alu instid0(VALU_DEP_1) | instskip(SKIP_1) | instid1(SALU_CYCLE_1)
	v_and_b32_e32 v1, 0xf0, v1
	s_ashr_i32 s7, s6, 31
	s_lshl_b64 s[6:7], s[6:7], 2
	s_delay_alu instid0(SALU_CYCLE_1)
	s_add_u32 s6, s26, s6
	s_addc_u32 s7, s25, s7
	s_or_b32 s8, s12, 64
	v_add_co_u32 v1, s13, s13, v1
	s_ashr_i32 s9, s8, 4
	s_cmp_lt_i32 s8, s24
	v_add_co_ci_u32_e64 v2, null, s15, 0, s13
	s_cselect_b32 s8, s9, s3
	s_delay_alu instid0(SALU_CYCLE_1) | instskip(NEXT) | instid1(SALU_CYCLE_1)
	s_ashr_i32 s9, s8, 31
	s_lshl_b64 s[8:9], s[8:9], 2
	s_delay_alu instid0(SALU_CYCLE_1) | instskip(SKIP_2) | instid1(SALU_CYCLE_1)
	s_add_u32 s8, s26, s8
	s_addc_u32 s9, s25, s9
	s_or_b32 s10, s12, 0x60
	s_ashr_i32 s11, s10, 4
	s_cmp_lt_i32 s10, s24
	s_cselect_b32 s10, s11, s3
	s_delay_alu instid0(SALU_CYCLE_1) | instskip(NEXT) | instid1(SALU_CYCLE_1)
	s_ashr_i32 s11, s10, 31
	s_lshl_b64 s[10:11], s[10:11], 2
	s_delay_alu instid0(SALU_CYCLE_1) | instskip(SKIP_2) | instid1(SALU_CYCLE_1)
	s_add_u32 s10, s26, s10
	s_addc_u32 s11, s25, s11
	s_or_b32 s16, s12, 0x80
	s_ashr_i32 s18, s16, 4
	s_cmp_lt_i32 s16, s24
	;; [unrolled: 10-line block ×3, first 2 shown]
	s_cselect_b32 s20, s18, s3
	s_delay_alu instid0(SALU_CYCLE_1) | instskip(NEXT) | instid1(SALU_CYCLE_1)
	s_ashr_i32 s21, s20, 31
	s_lshl_b64 s[20:21], s[20:21], 2
	s_delay_alu instid0(SALU_CYCLE_1)
	s_add_u32 s36, s26, s20
	s_addc_u32 s37, s25, s21
	s_clause 0x5
	s_load_b32 s21, s[4:5], 0x0
	s_load_b32 s13, s[6:7], 0x0
	;; [unrolled: 1-line block ×6, first 2 shown]
	s_or_b32 s7, s12, 0xc0
	s_mov_b32 s4, 0
	s_ashr_i32 s8, s7, 4
	s_cmp_lt_i32 s7, s24
	s_mov_b32 s5, s4
	s_cselect_b32 s10, s8, s3
	s_mov_b32 s6, s4
	s_ashr_i32 s11, s10, 31
	s_mov_b32 s7, s4
	s_lshl_b64 s[34:35], s[10:11], 2
	s_mov_b32 s11, s4
	s_add_u32 s34, s26, s34
	s_addc_u32 s35, s25, s35
	s_or_b32 s29, s12, 0xe0
	s_mov_b32 s8, s4
	s_ashr_i32 s33, s29, 4
	s_mov_b32 s9, s4
	s_mov_b32 s10, s4
	s_cmp_lt_i32 s29, s24
	v_dual_mov_b32 v107, s11 :: v_dual_mov_b32 v100, s4
	v_mov_b32_e32 v106, s10
	v_dual_mov_b32 v104, s8 :: v_dual_mov_b32 v103, s7
	v_dual_mov_b32 v102, s6 :: v_dual_mov_b32 v101, s5
	v_mov_b32_e32 v105, s9
	s_cselect_b32 s4, s33, s3
	s_delay_alu instid0(SALU_CYCLE_1) | instskip(NEXT) | instid1(SALU_CYCLE_1)
	s_ashr_i32 s5, s4, 31
	s_lshl_b64 s[4:5], s[4:5], 2
	s_delay_alu instid0(SALU_CYCLE_1)
	s_add_u32 s4, s26, s4
	s_addc_u32 s5, s25, s5
	s_add_u32 s6, s22, s27
	s_addc_u32 s7, s23, s28
	s_waitcnt vmcnt(1)
	v_mad_i64_i32 v[3:4], null, v5, s17, v[1:2]
	s_waitcnt vmcnt(0)
	v_mad_i64_i32 v[5:6], null, v7, s17, v[1:2]
	s_clause 0x7
	global_load_b128 v[49:52], v[3:4], off
	global_load_b128 v[53:56], v[3:4], off offset:256
	global_load_b128 v[76:79], v[5:6], off
	global_load_b128 v[80:83], v[5:6], off offset:256
	global_load_b128 v[84:87], v[3:4], off offset:512
	;; [unrolled: 1-line block ×5, first 2 shown]
	v_and_b32_e32 v1, 3, v0
	v_lshlrev_b32_e32 v2, 4, v66
	s_load_b32 s3, s[34:35], 0x0
	s_delay_alu instid0(VALU_DEP_2) | instskip(NEXT) | instid1(VALU_DEP_2)
	v_lshlrev_b32_e32 v70, 6, v1
	v_lshl_or_b32 v1, v65, 8, v2
	ds_load_b128 v[108:111], v70
	ds_load_b128 v[112:115], v70 offset:1024
	s_load_b32 s4, s[4:5], 0x0
	v_add_co_u32 v9, s6, s6, v1
	s_delay_alu instid0(VALU_DEP_1) | instskip(SKIP_1) | instid1(VALU_DEP_1)
	v_add_co_ci_u32_e64 v10, null, s7, 0, s6
	s_waitcnt lgkmcnt(0)
	v_mad_i64_i32 v[1:2], null, s21, s17, v[9:10]
	v_mad_i64_i32 v[3:4], null, s13, s17, v[9:10]
	;; [unrolled: 1-line block ×7, first 2 shown]
	s_clause 0x9
	global_load_b128 v[57:60], v[1:2], off
	global_load_b128 v[61:64], v[1:2], off offset:16
	global_load_b128 v[41:44], v[3:4], off
	global_load_b128 v[45:48], v[3:4], off offset:16
	;; [unrolled: 2-line block ×5, first 2 shown]
	v_mad_i64_i32 v[68:69], null, s4, s17, v[9:10]
	s_clause 0x3
	global_load_b128 v[9:12], v[13:14], off
	global_load_b128 v[13:16], v[13:14], off offset:16
	global_load_b128 v[17:20], v[21:22], off
	global_load_b128 v[21:24], v[21:22], off offset:16
	s_waitcnt vmcnt(20)
	v_wmma_f32_16x16x16_bf16 v[116:123], v[49:56], v[108:115], v[100:107]
	s_clause 0x1
	global_load_b128 v[49:52], v[68:69], off
	global_load_b128 v[53:56], v[68:69], off offset:16
	v_and_b32_e32 v68, 0xe0, v0
	v_mbcnt_lo_u32_b32 v69, -1, 0
	s_delay_alu instid0(VALU_DEP_2)
	v_add_nc_u32_e32 v68, s12, v68
	s_waitcnt vmcnt(20)
	v_wmma_f32_16x16x16_bf16 v[100:107], v[76:83], v[108:115], v[100:107]
	ds_load_b128 v[76:79], v70 offset:2048
	ds_load_b128 v[80:83], v70 offset:3072
	v_xor_b32_e32 v70, 16, v69
	s_waitcnt vmcnt(0) lgkmcnt(0)
	v_or_b32_e32 v68, v68, v75
	s_barrier
	buffer_gl0_inv
	v_cmp_gt_i32_e32 vcc_lo, 32, v70
	v_or_b32_e32 v71, 4, v68
	v_or_b32_e32 v72, 6, v68
	v_cmp_gt_i32_e64 s3, s24, v68
	v_or_b32_e32 v108, 8, v68
	v_or_b32_e32 v109, 10, v68
	v_cmp_gt_i32_e64 s4, s24, v71
	v_cmp_gt_i32_e64 s5, s24, v72
	s_delay_alu instid0(VALU_DEP_4) | instskip(NEXT) | instid1(VALU_DEP_4)
	v_cmp_gt_i32_e64 s6, s24, v108
	v_cmp_gt_i32_e64 s7, s24, v109
	v_wmma_f32_16x16x16_bf16 v[116:123], v[84:91], v[76:83], v[116:123]
	v_cndmask_b32_e32 v69, v69, v70, vcc_lo
	v_or_b32_e32 v70, 2, v68
	v_wmma_f32_16x16x16_bf16 v[100:107], v[92:99], v[76:83], v[100:107]
	v_or_b32_e32 v89, 22, v68
	v_dual_mul_f32 v80, s19, v121 :: v_dual_mul_f32 v81, s19, v120
	v_dual_mul_f32 v92, s19, v117 :: v_dual_mul_f32 v93, s19, v116
	s_delay_alu instid0(VALU_DEP_4)
	v_mul_f32_e32 v96, s19, v105
	v_cmp_gt_i32_e32 vcc_lo, s24, v70
	v_dual_mul_f32 v79, s19, v122 :: v_dual_mul_f32 v82, s19, v119
	v_dual_mul_f32 v83, s19, v118 :: v_dual_mul_f32 v94, s19, v107
	v_cndmask_b32_e64 v93, 0xff7fffff, v93, s3
	v_cndmask_b32_e32 v92, 0xff7fffff, v92, vcc_lo
	v_or_b32_e32 v84, 12, v68
	v_or_b32_e32 v85, 14, v68
	v_cndmask_b32_e64 v71, 0xff7fffff, v83, s4
	v_cndmask_b32_e64 v72, 0xff7fffff, v82, s5
	v_cmp_gt_i32_e64 s13, s24, v89
	v_lshlrev_b32_e32 v89, 2, v69
	v_max3_f32 v82, v93, 0xff7fffff, v92
	v_or_b32_e32 v86, 16, v68
	v_or_b32_e32 v87, 18, v68
	v_mul_f32_e32 v78, s19, v123
	v_cndmask_b32_e64 v81, 0xff7fffff, v81, s6
	v_cndmask_b32_e64 v80, 0xff7fffff, v80, s7
	v_max3_f32 v71, v82, v71, v72
	v_cmp_gt_i32_e64 s8, s24, v84
	v_cmp_gt_i32_e64 s9, s24, v85
	v_or_b32_e32 v88, 20, v68
	v_or_b32_e32 v90, 24, v68
	;; [unrolled: 1-line block ×5, first 2 shown]
	v_dual_mul_f32 v97, s19, v104 :: v_dual_mul_f32 v70, s19, v101
	v_dual_mul_f32 v99, s19, v102 :: v_dual_mul_f32 v68, s19, v100
	v_cndmask_b32_e64 v72, 0xff7fffff, v79, s8
	v_cndmask_b32_e64 v78, 0xff7fffff, v78, s9
	v_max3_f32 v71, v71, v81, v80
	v_cmp_gt_i32_e64 s10, s24, v86
	v_cmp_gt_i32_e64 s11, s24, v87
	v_dual_mul_f32 v95, s19, v106 :: v_dual_mul_f32 v98, s19, v103
	s_delay_alu instid0(VALU_DEP_4) | instskip(NEXT) | instid1(VALU_DEP_4)
	v_max3_f32 v71, v71, v72, v78
	v_cndmask_b32_e64 v68, 0xff7fffff, v68, s10
	s_delay_alu instid0(VALU_DEP_4)
	v_cndmask_b32_e64 v70, 0xff7fffff, v70, s11
	v_cmp_gt_i32_e64 s12, s24, v88
	v_cndmask_b32_e64 v78, 0xff7fffff, v98, s13
	v_cmp_gt_i32_e64 s15, s24, v90
	v_cmp_gt_i32_e64 s16, s24, v91
	v_max3_f32 v68, v71, v68, v70
	v_cndmask_b32_e64 v72, 0xff7fffff, v99, s12
	v_cmp_gt_i32_e64 s17, s24, v76
	v_cndmask_b32_e64 v70, 0xff7fffff, v97, s15
	v_cndmask_b32_e64 v71, 0xff7fffff, v96, s16
	v_cmp_gt_i32_e64 s18, s24, v77
	v_max3_f32 v68, v68, v72, v78
	v_cndmask_b32_e64 v72, 0xff7fffff, v95, s17
	s_delay_alu instid0(VALU_DEP_3) | instskip(NEXT) | instid1(VALU_DEP_3)
	v_cndmask_b32_e64 v76, 0xff7fffff, v94, s18
	v_max3_f32 v68, v68, v70, v71
	s_delay_alu instid0(VALU_DEP_1) | instskip(SKIP_3) | instid1(VALU_DEP_1)
	v_max3_f32 v68, v68, v72, v76
	ds_bpermute_b32 v69, v89, v68
	s_waitcnt lgkmcnt(0)
	v_max_f32_e32 v69, v69, v69
	v_max_f32_e32 v68, v68, v69
	s_delay_alu instid0(VALU_DEP_1) | instskip(NEXT) | instid1(VALU_DEP_1)
	v_fma_f32 v71, s19, v118, -v68
	v_mul_f32_e32 v71, 0x3fb8aa3b, v71
	v_fma_f32 v70, s19, v117, -v68
	v_fma_f32 v69, s19, v116, -v68
	;; [unrolled: 1-line block ×5, first 2 shown]
	s_delay_alu instid0(VALU_DEP_4) | instskip(SKIP_1) | instid1(VALU_DEP_3)
	v_dual_mul_f32 v70, 0x3fb8aa3b, v70 :: v_dual_mul_f32 v69, 0x3fb8aa3b, v69
	v_exp_f32_e32 v71, v71
	v_mul_f32_e32 v72, 0x3fb8aa3b, v72
	v_fma_f32 v81, s19, v105, -v68
	s_delay_alu instid0(VALU_DEP_3)
	v_exp_f32_e32 v70, v70
	v_mul_f32_e32 v77, 0x3fb8aa3b, v76
	v_exp_f32_e32 v69, v69
	v_exp_f32_e32 v72, v72
	v_mul_f32_e32 v81, 0x3fb8aa3b, v81
	v_cndmask_b32_e64 v83, 0, v71, s4
	v_fma_f32 v71, s19, v123, -v68
	s_delay_alu instid0(VALU_DEP_3) | instskip(SKIP_4) | instid1(TRANS32_DEP_3)
	v_exp_f32_e32 v81, v81
	v_cndmask_b32_e32 v76, 0, v70, vcc_lo
	v_exp_f32_e32 v77, v77
	v_cndmask_b32_e64 v80, 0, v69, s3
	v_fma_f32 v69, s19, v121, -v68
	v_cndmask_b32_e64 v85, 0, v72, s5
	v_mul_f32_e32 v71, 0x3fb8aa3b, v71
	v_fma_f32 v72, s19, v100, -v68
	s_delay_alu instid0(VALU_DEP_4) | instskip(SKIP_1) | instid1(VALU_DEP_3)
	v_dual_add_f32 v70, 0, v80 :: v_dual_mul_f32 v69, 0x3fb8aa3b, v69
	s_mov_b32 s3, exec_lo
	v_exp_f32_e32 v71, v71
	s_delay_alu instid0(TRANS32_DEP_2) | instskip(SKIP_4) | instid1(VALU_DEP_3)
	v_cndmask_b32_e64 v86, 0, v77, s6
	v_fma_f32 v77, s19, v101, -v68
	v_mul_f32_e32 v78, 0x3fb8aa3b, v78
	v_add_f32_e32 v70, v70, v76
	v_exp_f32_e32 v69, v69
	v_mul_f32_e32 v77, 0x3fb8aa3b, v77
	s_delay_alu instid0(VALU_DEP_3) | instskip(NEXT) | instid1(TRANS32_DEP_3)
	v_exp_f32_e32 v78, v78
	v_cndmask_b32_e64 v88, 0, v71, s9
	v_fma_f32 v71, s19, v104, -v68
	s_delay_alu instid0(VALU_DEP_3) | instskip(NEXT) | instid1(TRANS32_DEP_3)
	v_exp_f32_e32 v77, v77
	v_cndmask_b32_e64 v87, 0, v69, s7
	s_delay_alu instid0(VALU_DEP_2)
	v_mul_f32_e32 v71, 0x3fb8aa3b, v71
	s_waitcnt_depctr 0xfff
	v_cndmask_b32_e64 v84, 0, v78, s8
	v_add_f32_e32 v70, v70, v83
	v_fma_f32 v78, s19, v103, -v68
	v_exp_f32_e32 v82, v71
	s_delay_alu instid0(VALU_DEP_2) | instskip(SKIP_1) | instid1(VALU_DEP_3)
	v_add_f32_e32 v70, v70, v85
	v_mul_f32_e32 v72, 0x3fb8aa3b, v72
	v_mul_f32_e32 v78, 0x3fb8aa3b, v78
	s_delay_alu instid0(VALU_DEP_3) | instskip(SKIP_1) | instid1(VALU_DEP_4)
	v_add_f32_e32 v69, v70, v86
	v_fma_f32 v70, s19, v102, -v68
	v_exp_f32_e32 v72, v72
	s_delay_alu instid0(VALU_DEP_3) | instskip(NEXT) | instid1(VALU_DEP_1)
	v_exp_f32_e32 v78, v78
	v_dual_add_f32 v69, v69, v87 :: v_dual_mul_f32 v70, 0x3fb8aa3b, v70
	s_delay_alu instid0(VALU_DEP_1) | instskip(NEXT) | instid1(VALU_DEP_2)
	v_add_f32_e32 v69, v69, v84
	v_exp_f32_e32 v79, v70
	s_delay_alu instid0(TRANS32_DEP_3) | instskip(NEXT) | instid1(VALU_DEP_2)
	v_cndmask_b32_e64 v70, 0, v72, s10
	v_add_f32_e32 v72, v69, v88
	v_cndmask_b32_e64 v69, 0, v77, s11
	v_fma_f32 v77, s19, v106, -v68
	s_waitcnt_depctr 0xfff
	v_cndmask_b32_e64 v71, 0, v79, s12
	v_dual_mul_f32 v77, 0x3fb8aa3b, v77 :: v_dual_add_f32 v72, v72, v70
	s_delay_alu instid0(VALU_DEP_1) | instskip(NEXT) | instid1(VALU_DEP_1)
	v_exp_f32_e32 v90, v77
	v_add_f32_e32 v79, v72, v69
	v_cndmask_b32_e64 v72, 0, v78, s13
	v_cndmask_b32_e64 v77, 0, v82, s15
	s_delay_alu instid0(VALU_DEP_3) | instskip(SKIP_1) | instid1(VALU_DEP_1)
	v_add_f32_e32 v78, v79, v71
	v_fma_f32 v79, s19, v107, -v68
	v_dual_add_f32 v82, v78, v72 :: v_dual_mul_f32 v79, 0x3fb8aa3b, v79
	v_cndmask_b32_e64 v78, 0, v81, s16
	s_delay_alu instid0(VALU_DEP_2) | instskip(NEXT) | instid1(VALU_DEP_3)
	v_add_f32_e32 v81, v82, v77
	v_exp_f32_e32 v82, v79
	v_cndmask_b32_e64 v79, 0, v90, s17
	s_delay_alu instid0(VALU_DEP_2) | instskip(NEXT) | instid1(VALU_DEP_1)
	v_add_f32_e32 v81, v81, v78
	v_add_f32_e32 v90, v81, v79
	s_waitcnt_depctr 0xfff
	v_cndmask_b32_e64 v81, 0, v82, s18
	s_delay_alu instid0(VALU_DEP_1)
	v_add_f32_e32 v82, v90, v81
	ds_bpermute_b32 v89, v89, v82
	v_cmpx_gt_u32_e32 16, v67
	s_cbranch_execz .LBB1425_12
; %bb.11:
	v_mul_u32_u24_e32 v67, 0x44, v65
	s_delay_alu instid0(VALU_DEP_1) | instskip(SKIP_1) | instid1(VALU_DEP_1)
	v_lshl_add_u32 v67, v66, 2, v67
	s_waitcnt lgkmcnt(0)
	v_dual_add_f32 v82, v82, v89 :: v_dual_add_nc_u32 v67, 0x4000, v67
	ds_store_2addr_b32 v67, v68, v82 offset1:136
.LBB1425_12:
	s_or_b32 exec_lo, exec_lo, s3
	v_lshlrev_b32_e32 v67, 2, v66
	s_waitcnt lgkmcnt(0)
	s_barrier
	buffer_gl0_inv
	v_cmp_eq_u32_e32 vcc_lo, 1, v65
	v_add_nc_u32_e32 v82, 0x4000, v67
	v_cmp_eq_u32_e64 s3, 2, v65
	v_cmp_eq_u32_e64 s5, 7, v65
	ds_load_2addr_b32 v[89:90], v82 offset1:17
	ds_load_2addr_b32 v[91:92], v82 offset0:34 offset1:51
	ds_load_2addr_b32 v[93:94], v82 offset0:68 offset1:85
	;; [unrolled: 1-line block ×4, first 2 shown]
	s_waitcnt lgkmcnt(4)
	v_max3_f32 v67, v89, 0xff7fffff, v90
	s_waitcnt lgkmcnt(3)
	s_delay_alu instid0(VALU_DEP_1) | instskip(SKIP_1) | instid1(VALU_DEP_1)
	v_max3_f32 v67, v67, v91, v92
	s_waitcnt lgkmcnt(2)
	v_max3_f32 v67, v67, v93, v94
	s_waitcnt lgkmcnt(1)
	s_delay_alu instid0(VALU_DEP_1) | instskip(NEXT) | instid1(VALU_DEP_1)
	v_max3_f32 v67, v67, v95, v96
	v_sub_f32_e32 v93, v93, v67
	s_delay_alu instid0(VALU_DEP_1) | instskip(NEXT) | instid1(VALU_DEP_1)
	v_dual_sub_f32 v68, v89, v67 :: v_dual_mul_f32 v103, 0x3fb8aa3b, v93
	v_mul_f32_e32 v68, 0x3fb8aa3b, v68
	s_delay_alu instid0(VALU_DEP_1)
	v_exp_f32_e32 v100, v68
	v_sub_f32_e32 v68, v92, v67
	v_sub_f32_e32 v99, v90, v67
	ds_load_2addr_b32 v[89:90], v82 offset0:170 offset1:187
	v_dual_mul_f32 v102, 0x3fb8aa3b, v68 :: v_dual_mul_f32 v99, 0x3fb8aa3b, v99
	s_waitcnt lgkmcnt(1)
	v_fma_f32 v68, v100, v97, 0
	s_delay_alu instid0(VALU_DEP_2) | instskip(NEXT) | instid1(VALU_DEP_2)
	v_exp_f32_e32 v102, v102
	v_exp_f32_e32 v99, v99
	s_waitcnt_depctr 0xfff
	v_fmac_f32_e32 v68, v99, v98
	v_sub_f32_e32 v91, v91, v67
	s_delay_alu instid0(VALU_DEP_1)
	v_mul_f32_e32 v101, 0x3fb8aa3b, v91
	ds_load_2addr_b32 v[91:92], v82 offset0:204 offset1:221
	v_sub_f32_e32 v97, v94, v67
	ds_load_2addr_b32 v[93:94], v82 offset0:238 offset1:255
	s_waitcnt lgkmcnt(0)
	v_exp_f32_e32 v101, v101
	s_barrier
	buffer_gl0_inv
	v_dual_fmac_f32 v68, v101, v89 :: v_dual_sub_f32 v89, v96, v67
	v_dual_sub_f32 v82, v95, v67 :: v_dual_mul_f32 v95, 0x3fb8aa3b, v97
	v_exp_f32_e32 v97, v103
	s_delay_alu instid0(VALU_DEP_2) | instskip(NEXT) | instid1(VALU_DEP_2)
	v_dual_fmac_f32 v68, v102, v90 :: v_dual_mul_f32 v89, 0x3fb8aa3b, v89
	v_mul_f32_e32 v82, 0x3fb8aa3b, v82
	s_delay_alu instid0(VALU_DEP_3) | instskip(NEXT) | instid1(VALU_DEP_2)
	v_exp_f32_e32 v95, v95
	v_exp_f32_e32 v89, v89
	s_delay_alu instid0(VALU_DEP_1)
	v_exp_f32_e32 v82, v82
	v_fmac_f32_e32 v68, v97, v91
	s_delay_alu instid0(TRANS32_DEP_3) | instid1(VALU_DEP_1)
	v_fmac_f32_e32 v68, v95, v92
	s_waitcnt_depctr 0xfff
	v_fmac_f32_e32 v68, v82, v93
	s_delay_alu instid0(VALU_DEP_1) | instskip(NEXT) | instid1(VALU_DEP_1)
	v_fmac_f32_e32 v68, v89, v94
	v_add_f32_e32 v90, 0x358637bd, v68
	s_delay_alu instid0(VALU_DEP_1) | instskip(NEXT) | instid1(VALU_DEP_1)
	v_div_scale_f32 v91, null, v90, v90, 1.0
	v_rcp_f32_e32 v92, v91
	s_waitcnt_depctr 0xfff
	v_fma_f32 v93, -v91, v92, 1.0
	s_delay_alu instid0(VALU_DEP_1) | instskip(SKIP_1) | instid1(VALU_DEP_2)
	v_dual_fmac_f32 v92, v93, v92 :: v_dual_cndmask_b32 v93, v100, v99
	v_cmp_eq_u32_e32 vcc_lo, 3, v65
	v_cndmask_b32_e64 v93, v93, v101, s3
	v_cmp_eq_u32_e64 s3, 4, v65
	s_delay_alu instid0(VALU_DEP_2) | instskip(SKIP_1) | instid1(VALU_DEP_2)
	v_cndmask_b32_e32 v93, v93, v102, vcc_lo
	v_cmp_eq_u32_e32 vcc_lo, 5, v65
	v_cndmask_b32_e64 v93, v93, v97, s3
	v_cmp_eq_u32_e64 s3, 6, v65
	s_delay_alu instid0(VALU_DEP_2) | instskip(SKIP_1) | instid1(VALU_DEP_1)
	v_cndmask_b32_e32 v93, v93, v95, vcc_lo
	v_div_scale_f32 v94, s4, 1.0, v90, 1.0
	s_mov_b32 vcc_lo, s4
	s_delay_alu instid0(VALU_DEP_2) | instskip(NEXT) | instid1(VALU_DEP_2)
	v_cndmask_b32_e64 v82, v93, v82, s3
	v_mul_f32_e32 v96, v94, v92
	s_mov_b32 s3, exec_lo
	s_delay_alu instid0(VALU_DEP_2) | instskip(NEXT) | instid1(VALU_DEP_2)
	v_cndmask_b32_e64 v82, v82, v89, s5
	v_fma_f32 v98, -v91, v96, v94
	s_delay_alu instid0(VALU_DEP_1) | instskip(NEXT) | instid1(VALU_DEP_1)
	v_fmac_f32_e32 v96, v98, v92
	v_fma_f32 v91, -v91, v96, v94
	s_delay_alu instid0(VALU_DEP_1) | instskip(NEXT) | instid1(VALU_DEP_1)
	v_div_fmas_f32 v91, v91, v92, v96
	v_div_fixup_f32 v90, v91, v90, 1.0
	s_delay_alu instid0(VALU_DEP_1) | instskip(NEXT) | instid1(VALU_DEP_1)
	v_mul_f32_e32 v82, v82, v90
	v_mul_f32_e32 v87, v82, v87
	;; [unrolled: 1-line block ×7, first 2 shown]
	v_dual_mul_f32 v86, v82, v83 :: v_dual_and_b32 v91, 0x7f800000, v90
	v_mul_f32_e32 v85, v82, v76
                                        ; implicit-def: $vgpr76
	s_delay_alu instid0(VALU_DEP_2)
	v_cmpx_ne_u32_e32 0x7f800000, v91
	s_xor_b32 s3, exec_lo, s3
; %bb.13:
	v_bfe_u32 v76, v90, 16, 1
	s_delay_alu instid0(VALU_DEP_1)
	v_add3_u32 v76, v90, v76, 0x7fff
                                        ; implicit-def: $vgpr90
; %bb.14:
	s_and_not1_saveexec_b32 s3, s3
; %bb.15:
	v_and_b32_e32 v76, 0xffff, v90
	v_or_b32_e32 v83, 0x10000, v90
	s_delay_alu instid0(VALU_DEP_2) | instskip(NEXT) | instid1(VALU_DEP_2)
	v_cmp_eq_u32_e32 vcc_lo, 0, v76
	v_cndmask_b32_e32 v76, v83, v90, vcc_lo
; %bb.16:
	s_or_b32 exec_lo, exec_lo, s3
	v_and_b32_e32 v83, 0x7f800000, v85
	s_delay_alu instid0(VALU_DEP_1) | instskip(SKIP_1) | instid1(SALU_CYCLE_1)
	v_cmp_ne_u32_e32 vcc_lo, 0x7f800000, v83
                                        ; implicit-def: $vgpr83
	s_and_saveexec_b32 s3, vcc_lo
	s_xor_b32 s3, exec_lo, s3
; %bb.17:
	v_bfe_u32 v83, v85, 16, 1
	s_delay_alu instid0(VALU_DEP_1)
	v_add3_u32 v83, v85, v83, 0x7fff
                                        ; implicit-def: $vgpr85
; %bb.18:
	s_and_not1_saveexec_b32 s3, s3
; %bb.19:
	v_and_b32_e32 v83, 0xffff, v85
	v_or_b32_e32 v90, 0x10000, v85
	s_delay_alu instid0(VALU_DEP_2) | instskip(NEXT) | instid1(VALU_DEP_2)
	v_cmp_eq_u32_e32 vcc_lo, 0, v83
	v_cndmask_b32_e32 v83, v90, v85, vcc_lo
; %bb.20:
	s_or_b32 exec_lo, exec_lo, s3
	v_and_b32_e32 v85, 0x7f800000, v86
	s_delay_alu instid0(VALU_DEP_1) | instskip(SKIP_1) | instid1(SALU_CYCLE_1)
	v_cmp_ne_u32_e32 vcc_lo, 0x7f800000, v85
                                        ; implicit-def: $vgpr85
	s_and_saveexec_b32 s3, vcc_lo
	s_xor_b32 s3, exec_lo, s3
; %bb.21:
	v_bfe_u32 v85, v86, 16, 1
	s_delay_alu instid0(VALU_DEP_1)
	v_add3_u32 v85, v86, v85, 0x7fff
                                        ; implicit-def: $vgpr86
; %bb.22:
	s_and_not1_saveexec_b32 s3, s3
; %bb.23:
	v_and_b32_e32 v85, 0xffff, v86
	v_or_b32_e32 v90, 0x10000, v86
	s_delay_alu instid0(VALU_DEP_2) | instskip(NEXT) | instid1(VALU_DEP_2)
	v_cmp_eq_u32_e32 vcc_lo, 0, v85
	v_cndmask_b32_e32 v85, v90, v86, vcc_lo
; %bb.24:
	s_or_b32 exec_lo, exec_lo, s3
	v_and_b32_e32 v86, 0x7f800000, v89
	s_delay_alu instid0(VALU_DEP_1) | instskip(SKIP_1) | instid1(SALU_CYCLE_1)
	v_cmp_ne_u32_e32 vcc_lo, 0x7f800000, v86
                                        ; implicit-def: $vgpr86
	s_and_saveexec_b32 s3, vcc_lo
	s_xor_b32 s3, exec_lo, s3
; %bb.25:
	v_bfe_u32 v86, v89, 16, 1
	s_delay_alu instid0(VALU_DEP_1)
	v_add3_u32 v86, v89, v86, 0x7fff
                                        ; implicit-def: $vgpr89
; %bb.26:
	s_and_not1_saveexec_b32 s3, s3
; %bb.27:
	v_and_b32_e32 v86, 0xffff, v89
	v_or_b32_e32 v90, 0x10000, v89
	s_delay_alu instid0(VALU_DEP_2) | instskip(NEXT) | instid1(VALU_DEP_2)
	v_cmp_eq_u32_e32 vcc_lo, 0, v86
	v_cndmask_b32_e32 v86, v90, v89, vcc_lo
; %bb.28:
	s_or_b32 exec_lo, exec_lo, s3
	v_and_b32_e32 v89, 0x7f800000, v88
	s_delay_alu instid0(VALU_DEP_1) | instskip(SKIP_1) | instid1(SALU_CYCLE_1)
	v_cmp_ne_u32_e32 vcc_lo, 0x7f800000, v89
                                        ; implicit-def: $vgpr89
	s_and_saveexec_b32 s3, vcc_lo
	s_xor_b32 s3, exec_lo, s3
; %bb.29:
	v_bfe_u32 v89, v88, 16, 1
	s_delay_alu instid0(VALU_DEP_1)
	v_add3_u32 v89, v88, v89, 0x7fff
                                        ; implicit-def: $vgpr88
; %bb.30:
	s_and_not1_saveexec_b32 s3, s3
; %bb.31:
	v_and_b32_e32 v89, 0xffff, v88
	v_or_b32_e32 v90, 0x10000, v88
	s_delay_alu instid0(VALU_DEP_2) | instskip(NEXT) | instid1(VALU_DEP_2)
	v_cmp_eq_u32_e32 vcc_lo, 0, v89
	v_cndmask_b32_e32 v89, v90, v88, vcc_lo
; %bb.32:
	s_or_b32 exec_lo, exec_lo, s3
	v_and_b32_e32 v88, 0x7f800000, v87
	s_delay_alu instid0(VALU_DEP_1) | instskip(SKIP_1) | instid1(SALU_CYCLE_1)
	v_cmp_ne_u32_e32 vcc_lo, 0x7f800000, v88
                                        ; implicit-def: $vgpr88
	s_and_saveexec_b32 s3, vcc_lo
	s_xor_b32 s3, exec_lo, s3
; %bb.33:
	v_bfe_u32 v88, v87, 16, 1
	s_delay_alu instid0(VALU_DEP_1)
	v_add3_u32 v88, v87, v88, 0x7fff
                                        ; implicit-def: $vgpr87
; %bb.34:
	s_and_not1_saveexec_b32 s3, s3
; %bb.35:
	v_and_b32_e32 v88, 0xffff, v87
	v_or_b32_e32 v90, 0x10000, v87
	s_delay_alu instid0(VALU_DEP_2) | instskip(NEXT) | instid1(VALU_DEP_2)
	v_cmp_eq_u32_e32 vcc_lo, 0, v88
	v_cndmask_b32_e32 v88, v90, v87, vcc_lo
; %bb.36:
	s_or_b32 exec_lo, exec_lo, s3
	v_and_b32_e32 v87, 0x7f800000, v84
	s_delay_alu instid0(VALU_DEP_1) | instskip(SKIP_1) | instid1(SALU_CYCLE_1)
	v_cmp_ne_u32_e32 vcc_lo, 0x7f800000, v87
                                        ; implicit-def: $vgpr87
	s_and_saveexec_b32 s3, vcc_lo
	s_xor_b32 s3, exec_lo, s3
; %bb.37:
	v_bfe_u32 v87, v84, 16, 1
	s_delay_alu instid0(VALU_DEP_1)
	v_add3_u32 v87, v84, v87, 0x7fff
                                        ; implicit-def: $vgpr84
; %bb.38:
	s_and_not1_saveexec_b32 s3, s3
; %bb.39:
	v_and_b32_e32 v87, 0xffff, v84
	v_or_b32_e32 v90, 0x10000, v84
	s_delay_alu instid0(VALU_DEP_2) | instskip(NEXT) | instid1(VALU_DEP_2)
	v_cmp_eq_u32_e32 vcc_lo, 0, v87
	v_cndmask_b32_e32 v87, v90, v84, vcc_lo
; %bb.40:
	s_or_b32 exec_lo, exec_lo, s3
	v_and_b32_e32 v84, 0x7f800000, v80
	s_delay_alu instid0(VALU_DEP_1) | instskip(SKIP_1) | instid1(SALU_CYCLE_1)
	v_cmp_ne_u32_e32 vcc_lo, 0x7f800000, v84
                                        ; implicit-def: $vgpr84
	s_and_saveexec_b32 s3, vcc_lo
	s_xor_b32 s3, exec_lo, s3
; %bb.41:
	v_bfe_u32 v84, v80, 16, 1
	s_delay_alu instid0(VALU_DEP_1)
	v_add3_u32 v84, v80, v84, 0x7fff
                                        ; implicit-def: $vgpr80
; %bb.42:
	s_and_not1_saveexec_b32 s3, s3
; %bb.43:
	v_and_b32_e32 v84, 0xffff, v80
	v_or_b32_e32 v90, 0x10000, v80
	s_delay_alu instid0(VALU_DEP_2) | instskip(NEXT) | instid1(VALU_DEP_2)
	v_cmp_eq_u32_e32 vcc_lo, 0, v84
	v_cndmask_b32_e32 v84, v90, v80, vcc_lo
; %bb.44:
	s_or_b32 exec_lo, exec_lo, s3
	s_load_b64 s[34:35], s[0:1], 0x94
	v_lshlrev_b32_e32 v91, 4, v75
	s_delay_alu instid0(VALU_DEP_2)
	v_perm_b32 v90, v84, v87, 0x7060302
	v_dual_mul_f32 v77, v82, v77 :: v_dual_lshlrev_b32 v80, 6, v66
	v_lshlrev_b32_e32 v66, 11, v65
	v_perm_b32 v87, v83, v76, 0x7060302
	v_mul_f32_e32 v83, v82, v70
	v_perm_b32 v89, v88, v89, 0x7060302
	v_perm_b32 v88, v86, v85, 0x7060302
	v_or3_b32 v76, v91, v66, v80
	v_mul_f32_e32 v66, v82, v81
	v_mul_f32_e32 v70, v82, v79
	;; [unrolled: 1-line block ×3, first 2 shown]
	v_dual_mul_f32 v81, v82, v72 :: v_dual_and_b32 v84, 0x7f800000, v83
	v_mul_f32_e32 v79, v82, v71
	v_mul_f32_e32 v72, v82, v69
	s_mov_b32 s3, exec_lo
	ds_store_b128 v76, v[87:90]
                                        ; implicit-def: $vgpr69
	v_cmpx_ne_u32_e32 0x7f800000, v84
	s_xor_b32 s3, exec_lo, s3
; %bb.45:
	v_bfe_u32 v69, v83, 16, 1
	s_delay_alu instid0(VALU_DEP_1)
	v_add3_u32 v69, v83, v69, 0x7fff
                                        ; implicit-def: $vgpr83
; %bb.46:
	s_and_not1_saveexec_b32 s3, s3
; %bb.47:
	v_and_b32_e32 v69, 0xffff, v83
	v_or_b32_e32 v71, 0x10000, v83
	s_delay_alu instid0(VALU_DEP_2) | instskip(NEXT) | instid1(VALU_DEP_2)
	v_cmp_eq_u32_e32 vcc_lo, 0, v69
	v_cndmask_b32_e32 v69, v71, v83, vcc_lo
; %bb.48:
	s_or_b32 exec_lo, exec_lo, s3
	v_and_b32_e32 v71, 0x7f800000, v72
	s_delay_alu instid0(VALU_DEP_1) | instskip(SKIP_1) | instid1(SALU_CYCLE_1)
	v_cmp_ne_u32_e32 vcc_lo, 0x7f800000, v71
                                        ; implicit-def: $vgpr71
	s_and_saveexec_b32 s3, vcc_lo
	s_xor_b32 s3, exec_lo, s3
; %bb.49:
	v_bfe_u32 v71, v72, 16, 1
	s_delay_alu instid0(VALU_DEP_1)
	v_add3_u32 v71, v72, v71, 0x7fff
                                        ; implicit-def: $vgpr72
; %bb.50:
	s_and_not1_saveexec_b32 s3, s3
; %bb.51:
	v_and_b32_e32 v71, 0xffff, v72
	v_or_b32_e32 v82, 0x10000, v72
	s_delay_alu instid0(VALU_DEP_2) | instskip(NEXT) | instid1(VALU_DEP_2)
	v_cmp_eq_u32_e32 vcc_lo, 0, v71
	v_cndmask_b32_e32 v71, v82, v72, vcc_lo
; %bb.52:
	s_or_b32 exec_lo, exec_lo, s3
	v_and_b32_e32 v72, 0x7f800000, v79
	s_delay_alu instid0(VALU_DEP_1) | instskip(SKIP_1) | instid1(SALU_CYCLE_1)
	v_cmp_ne_u32_e32 vcc_lo, 0x7f800000, v72
                                        ; implicit-def: $vgpr72
	s_and_saveexec_b32 s3, vcc_lo
	s_xor_b32 s3, exec_lo, s3
; %bb.53:
	v_bfe_u32 v72, v79, 16, 1
	s_delay_alu instid0(VALU_DEP_1)
	v_add3_u32 v72, v79, v72, 0x7fff
                                        ; implicit-def: $vgpr79
; %bb.54:
	s_and_not1_saveexec_b32 s3, s3
; %bb.55:
	v_and_b32_e32 v72, 0xffff, v79
	v_or_b32_e32 v82, 0x10000, v79
	s_delay_alu instid0(VALU_DEP_2) | instskip(NEXT) | instid1(VALU_DEP_2)
	v_cmp_eq_u32_e32 vcc_lo, 0, v72
	v_cndmask_b32_e32 v72, v82, v79, vcc_lo
; %bb.56:
	s_or_b32 exec_lo, exec_lo, s3
	v_and_b32_e32 v79, 0x7f800000, v81
	s_delay_alu instid0(VALU_DEP_1) | instskip(SKIP_1) | instid1(SALU_CYCLE_1)
	v_cmp_ne_u32_e32 vcc_lo, 0x7f800000, v79
                                        ; implicit-def: $vgpr79
	s_and_saveexec_b32 s3, vcc_lo
	s_xor_b32 s3, exec_lo, s3
; %bb.57:
	v_bfe_u32 v79, v81, 16, 1
	s_delay_alu instid0(VALU_DEP_1)
	v_add3_u32 v79, v81, v79, 0x7fff
                                        ; implicit-def: $vgpr81
; %bb.58:
	s_and_not1_saveexec_b32 s3, s3
; %bb.59:
	v_and_b32_e32 v79, 0xffff, v81
	v_or_b32_e32 v82, 0x10000, v81
	s_delay_alu instid0(VALU_DEP_2) | instskip(NEXT) | instid1(VALU_DEP_2)
	v_cmp_eq_u32_e32 vcc_lo, 0, v79
	v_cndmask_b32_e32 v79, v82, v81, vcc_lo
; %bb.60:
	s_or_b32 exec_lo, exec_lo, s3
	v_and_b32_e32 v81, 0x7f800000, v77
	s_delay_alu instid0(VALU_DEP_1) | instskip(SKIP_1) | instid1(SALU_CYCLE_1)
	v_cmp_ne_u32_e32 vcc_lo, 0x7f800000, v81
                                        ; implicit-def: $vgpr81
	s_and_saveexec_b32 s3, vcc_lo
	s_xor_b32 s3, exec_lo, s3
; %bb.61:
	v_bfe_u32 v81, v77, 16, 1
	s_delay_alu instid0(VALU_DEP_1)
	v_add3_u32 v81, v77, v81, 0x7fff
                                        ; implicit-def: $vgpr77
; %bb.62:
	s_and_not1_saveexec_b32 s3, s3
; %bb.63:
	v_and_b32_e32 v81, 0xffff, v77
	v_or_b32_e32 v82, 0x10000, v77
	s_delay_alu instid0(VALU_DEP_2) | instskip(NEXT) | instid1(VALU_DEP_2)
	v_cmp_eq_u32_e32 vcc_lo, 0, v81
	v_cndmask_b32_e32 v81, v82, v77, vcc_lo
; %bb.64:
	s_or_b32 exec_lo, exec_lo, s3
	v_and_b32_e32 v77, 0x7f800000, v78
	s_delay_alu instid0(VALU_DEP_1) | instskip(SKIP_1) | instid1(SALU_CYCLE_1)
	v_cmp_ne_u32_e32 vcc_lo, 0x7f800000, v77
                                        ; implicit-def: $vgpr77
	s_and_saveexec_b32 s3, vcc_lo
	s_xor_b32 s3, exec_lo, s3
; %bb.65:
	v_bfe_u32 v77, v78, 16, 1
	s_delay_alu instid0(VALU_DEP_1)
	v_add3_u32 v77, v78, v77, 0x7fff
                                        ; implicit-def: $vgpr78
; %bb.66:
	s_and_not1_saveexec_b32 s3, s3
; %bb.67:
	v_and_b32_e32 v77, 0xffff, v78
	v_or_b32_e32 v82, 0x10000, v78
	s_delay_alu instid0(VALU_DEP_2) | instskip(NEXT) | instid1(VALU_DEP_2)
	v_cmp_eq_u32_e32 vcc_lo, 0, v77
	v_cndmask_b32_e32 v77, v82, v78, vcc_lo
; %bb.68:
	s_or_b32 exec_lo, exec_lo, s3
	v_and_b32_e32 v78, 0x7f800000, v70
	s_delay_alu instid0(VALU_DEP_1) | instskip(SKIP_1) | instid1(SALU_CYCLE_1)
	v_cmp_ne_u32_e32 vcc_lo, 0x7f800000, v78
                                        ; implicit-def: $vgpr78
	s_and_saveexec_b32 s3, vcc_lo
	s_xor_b32 s3, exec_lo, s3
; %bb.69:
	v_bfe_u32 v78, v70, 16, 1
	s_delay_alu instid0(VALU_DEP_1)
	v_add3_u32 v78, v70, v78, 0x7fff
                                        ; implicit-def: $vgpr70
; %bb.70:
	s_and_not1_saveexec_b32 s3, s3
; %bb.71:
	v_and_b32_e32 v78, 0xffff, v70
	v_or_b32_e32 v82, 0x10000, v70
	s_delay_alu instid0(VALU_DEP_2) | instskip(NEXT) | instid1(VALU_DEP_2)
	v_cmp_eq_u32_e32 vcc_lo, 0, v78
	v_cndmask_b32_e32 v78, v82, v70, vcc_lo
; %bb.72:
	s_or_b32 exec_lo, exec_lo, s3
	v_and_b32_e32 v70, 0x7f800000, v66
	s_delay_alu instid0(VALU_DEP_1) | instskip(SKIP_1) | instid1(SALU_CYCLE_1)
	v_cmp_ne_u32_e32 vcc_lo, 0x7f800000, v70
                                        ; implicit-def: $vgpr70
	s_and_saveexec_b32 s3, vcc_lo
	s_xor_b32 s3, exec_lo, s3
; %bb.73:
	v_bfe_u32 v70, v66, 16, 1
	s_delay_alu instid0(VALU_DEP_1)
	v_add3_u32 v70, v66, v70, 0x7fff
                                        ; implicit-def: $vgpr66
; %bb.74:
	s_and_not1_saveexec_b32 s3, s3
; %bb.75:
	v_and_b32_e32 v70, 0xffff, v66
	v_or_b32_e32 v82, 0x10000, v66
	s_delay_alu instid0(VALU_DEP_2) | instskip(NEXT) | instid1(VALU_DEP_2)
	v_cmp_eq_u32_e32 vcc_lo, 0, v70
	v_cndmask_b32_e32 v70, v82, v66, vcc_lo
; %bb.76:
	s_or_b32 exec_lo, exec_lo, s3
	s_delay_alu instid0(VALU_DEP_1)
	v_perm_b32 v86, v70, v78, 0x7060302
	v_perm_b32 v85, v77, v81, 0x7060302
	v_perm_b32 v84, v79, v72, 0x7060302
	v_perm_b32 v83, v71, v69, 0x7060302
	v_lshl_or_b32 v82, v65, 11, v80
	ds_store_b128 v76, v[83:86] offset:1024
	s_waitcnt lgkmcnt(0)
	s_barrier
	buffer_gl0_inv
	ds_load_b128 v[69:72], v82
	ds_load_b128 v[83:86], v82 offset:16
	s_waitcnt lgkmcnt(1)
	v_lshrrev_b32_e32 v65, 16, v69
	v_lshlrev_b32_e32 v78, 2, v75
	s_waitcnt lgkmcnt(0)
	v_lshrrev_b32_e32 v91, 16, v83
	v_lshrrev_b32_e32 v66, 16, v70
	;; [unrolled: 1-line block ×4, first 2 shown]
	v_cmp_eq_u32_e32 vcc_lo, 1, v78
	v_lshrrev_b32_e32 v98, 16, v85
	v_lshrrev_b32_e32 v96, 16, v72
	;; [unrolled: 1-line block ×3, first 2 shown]
	v_cndmask_b32_e32 v81, v69, v65, vcc_lo
	v_or_b32_e32 v79, 1, v78
	v_cmp_eq_u32_e64 s4, 2, v78
	v_cndmask_b32_e32 v87, v83, v91, vcc_lo
	v_cmp_eq_u32_e64 s7, 3, v78
	v_cmp_eq_u32_e64 s9, 4, v78
	;; [unrolled: 1-line block ×3, first 2 shown]
	v_cndmask_b32_e64 v81, v81, v70, s4
	v_cmp_eq_u32_e64 s6, 2, v79
	v_cndmask_b32_e64 v87, v87, v84, s4
	v_cmp_eq_u32_e64 s8, 3, v79
	v_cndmask_b32_e64 v88, v69, v65, s3
	v_cndmask_b32_e64 v81, v81, v66, s7
	v_or_b32_e32 v77, 2, v78
	v_cndmask_b32_e64 v87, v87, v97, s7
	v_cndmask_b32_e64 v89, v83, v91, s3
	;; [unrolled: 1-line block ×4, first 2 shown]
	v_cmp_eq_u32_e64 s10, 5, v78
	v_cndmask_b32_e64 v87, v87, v85, s9
	v_cmp_eq_u32_e64 s11, 4, v79
	v_cndmask_b32_e64 v88, v88, v66, s8
	v_cmp_eq_u32_e64 s5, 1, v77
	v_cndmask_b32_e64 v89, v89, v84, s6
	v_cndmask_b32_e64 v81, v81, v95, s10
	v_cmp_eq_u32_e64 s12, 6, v78
	v_cndmask_b32_e64 v88, v88, v71, s11
	v_cndmask_b32_e64 v87, v87, v98, s10
	v_cmp_eq_u32_e64 s13, 5, v79
	v_cndmask_b32_e64 v90, v69, v65, s5
	v_cndmask_b32_e64 v89, v89, v97, s8
	v_cndmask_b32_e64 v81, v81, v72, s12
	v_cmp_eq_u32_e64 s15, 7, v78
	v_cndmask_b32_e64 v88, v88, v95, s13
	v_cndmask_b32_e64 v87, v87, v86, s12
	v_cmp_eq_u32_e64 s16, 6, v79
	v_cmp_eq_u32_e64 s17, 2, v77
	v_cndmask_b32_e64 v89, v89, v85, s11
	v_cndmask_b32_e64 v100, v81, v96, s15
	;; [unrolled: 1-line block ×6, first 2 shown]
	v_cmp_eq_u32_e64 s18, 7, v79
	v_cmp_eq_u32_e64 s19, 3, v77
	;; [unrolled: 1-line block ×4, first 2 shown]
	v_cndmask_b32_e64 v87, v87, v84, s17
	v_cndmask_b32_e64 v102, v88, v96, s18
	;; [unrolled: 1-line block ×4, first 2 shown]
	v_or_b32_e32 v81, 3, v78
	v_cndmask_b32_e64 v93, v87, v97, s19
	v_cmp_eq_u32_e64 s24, 6, v77
	v_cndmask_b32_e64 v103, v88, v86, s16
	v_cndmask_b32_e64 v92, v89, v71, s20
	v_cmp_eq_u32_e64 s21, 1, v81
	ds_load_b128 v[87:90], v82 offset:1024
	v_cmp_eq_u32_e64 s23, 2, v81
	v_cmp_eq_u32_e64 s25, 3, v81
	v_cndmask_b32_e64 v104, v92, v95, s22
	v_cndmask_b32_e64 v65, v69, v65, s21
	;; [unrolled: 1-line block ×4, first 2 shown]
	ds_load_b128 v[91:94], v82 offset:1040
	v_cmp_eq_u32_e64 s26, 4, v81
	v_cndmask_b32_e64 v65, v65, v70, s23
	v_cmp_eq_u32_e64 s28, 5, v81
	v_cndmask_b32_e64 v70, v83, v84, s23
	;; [unrolled: 2-line block ×3, first 2 shown]
	v_cndmask_b32_e64 v65, v65, v66, s25
	v_cndmask_b32_e64 v66, v104, v72, s24
	;; [unrolled: 1-line block ×3, first 2 shown]
	v_cmp_eq_u32_e64 s27, 7, v77
	v_cndmask_b32_e64 v69, v69, v86, s24
	v_cndmask_b32_e64 v65, v65, v71, s26
	s_waitcnt lgkmcnt(1)
	v_lshrrev_b32_e32 v84, 16, v87
	v_cndmask_b32_e64 v70, v70, v85, s26
	v_cndmask_b32_e64 v83, v103, v99, s18
	;; [unrolled: 1-line block ×4, first 2 shown]
	v_lshrrev_b32_e32 v95, 16, v88
	v_cndmask_b32_e64 v70, v70, v98, s28
	s_waitcnt lgkmcnt(0)
	v_lshrrev_b32_e32 v85, 16, v91
	v_cndmask_b32_e64 v97, v87, v84, s3
	v_cndmask_b32_e64 v65, v65, v72, s29
	v_cndmask_b32_e64 v69, v69, v99, s27
	v_cndmask_b32_e64 v70, v70, v86, s29
	v_cndmask_b32_e32 v71, v87, v84, vcc_lo
	v_cndmask_b32_e32 v98, v91, v85, vcc_lo
	v_cmp_eq_u32_e32 vcc_lo, 7, v81
	v_cndmask_b32_e64 v72, v97, v88, s6
	v_lshrrev_b32_e32 v97, 16, v92
	v_lshrrev_b32_e32 v103, 16, v90
	v_dual_cndmask_b32 v65, v65, v96 :: v_dual_cndmask_b32 v70, v70, v99
	v_cndmask_b32_e64 v71, v71, v88, s4
	v_cndmask_b32_e64 v86, v98, v92, s4
	;; [unrolled: 1-line block ×3, first 2 shown]
	v_lshrrev_b32_e32 v98, 16, v89
	v_lshrrev_b32_e32 v99, 16, v93
	v_cndmask_b32_e64 v71, v71, v95, s7
	v_cndmask_b32_e64 v86, v86, v97, s7
	;; [unrolled: 1-line block ×3, first 2 shown]
	v_perm_b32 v72, v70, v65, 0x5040100
	v_perm_b32 v70, v83, v102, 0x5040100
	v_cndmask_b32_e64 v71, v71, v89, s9
	v_cndmask_b32_e64 v86, v86, v93, s9
	;; [unrolled: 1-line block ×3, first 2 shown]
	v_lshrrev_b32_e32 v83, 16, v94
	s_delay_alu instid0(VALU_DEP_4) | instskip(NEXT) | instid1(VALU_DEP_4)
	v_cndmask_b32_e64 v71, v71, v98, s10
	v_cndmask_b32_e64 v86, v86, v99, s10
	s_delay_alu instid0(VALU_DEP_4) | instskip(NEXT) | instid1(VALU_DEP_3)
	v_cndmask_b32_e64 v65, v65, v90, s16
	v_cndmask_b32_e64 v96, v71, v90, s12
	v_perm_b32 v71, v69, v66, 0x5040100
	s_delay_alu instid0(VALU_DEP_4)
	v_cndmask_b32_e64 v69, v86, v94, s12
	v_cndmask_b32_e64 v86, v87, v84, s5
	v_cndmask_b32_e64 v84, v87, v84, s21
	v_cndmask_b32_e64 v66, v96, v103, s15
	v_cndmask_b32_e64 v87, v91, v85, s21
	v_cndmask_b32_e64 v96, v91, v85, s5
	v_cndmask_b32_e64 v85, v91, v85, s3
	v_cndmask_b32_e64 v86, v86, v88, s17
	v_cndmask_b32_e64 v84, v84, v88, s23
	v_cndmask_b32_e64 v87, v87, v92, s23
	v_cndmask_b32_e64 v88, v96, v92, s17
	v_cndmask_b32_e64 v85, v85, v92, s6
	v_cndmask_b32_e64 v86, v86, v95, s19
	v_cndmask_b32_e64 v84, v84, v95, s25
	v_cndmask_b32_e64 v87, v87, v97, s25
	v_cndmask_b32_e64 v88, v88, v97, s19
	v_cndmask_b32_e64 v85, v85, v97, s8
	v_cndmask_b32_e64 v86, v86, v89, s20
	v_cndmask_b32_e64 v84, v84, v89, s26
	v_cndmask_b32_e64 v87, v87, v93, s26
	v_cndmask_b32_e64 v88, v88, v93, s20
	v_cndmask_b32_e64 v85, v85, v93, s11
	v_cndmask_b32_e64 v86, v86, v98, s22
	v_cndmask_b32_e64 v84, v84, v98, s28
	v_cndmask_b32_e64 v87, v87, v99, s28
	v_cndmask_b32_e64 v88, v88, v99, s22
	v_cndmask_b32_e64 v85, v85, v99, s13
	v_cndmask_b32_e64 v86, v86, v90, s24
	v_cndmask_b32_e64 v84, v84, v90, s29
	v_cndmask_b32_e64 v87, v87, v94, s29
	v_cndmask_b32_e64 v88, v88, v94, s24
	v_cndmask_b32_e64 v85, v85, v94, s16
	v_cndmask_b32_e64 v65, v65, v103, s18
	v_cndmask_b32_e64 v89, v86, v103, s27
	v_cndmask_b32_e32 v84, v84, v103, vcc_lo
	v_cndmask_b32_e32 v86, v87, v83, vcc_lo
	v_cndmask_b32_e64 v87, v88, v83, s27
	v_cndmask_b32_e64 v88, v85, v83, s18
	;; [unrolled: 1-line block ×3, first 2 shown]
	v_perm_b32 v69, v101, v100, 0x5040100
	v_perm_b32 v86, v86, v84, 0x5040100
	;; [unrolled: 1-line block ×5, first 2 shown]
	s_lshl_b32 s8, s35, 2
	s_mov_b32 s3, exec_lo
	ds_store_b128 v76, v[69:72]
	ds_store_b128 v76, v[83:86] offset:1024
	v_cmpx_gt_u32_e32 4, v0
	s_cbranch_execz .LBB1425_78
; %bb.77:
	v_or_b32_e32 v65, s31, v0
	s_load_b128 s[4:7], s[0:1], 0x58
	s_delay_alu instid0(VALU_DEP_1) | instskip(NEXT) | instid1(VALU_DEP_1)
	v_mad_u64_u32 v[69:70], null, s8, s30, v[65:66]
	v_mad_u64_u32 v[65:66], null, v69, s34, s[14:15]
	s_delay_alu instid0(VALU_DEP_1) | instskip(NEXT) | instid1(VALU_DEP_1)
	v_ashrrev_i32_e32 v66, 31, v65
	v_lshlrev_b64 v[65:66], 2, v[65:66]
	s_waitcnt lgkmcnt(0)
	s_delay_alu instid0(VALU_DEP_1) | instskip(NEXT) | instid1(VALU_DEP_2)
	v_add_co_u32 v69, vcc_lo, s6, v65
	v_add_co_ci_u32_e32 v70, vcc_lo, s7, v66, vcc_lo
	v_add_co_u32 v65, vcc_lo, s4, v65
	v_add_co_ci_u32_e32 v66, vcc_lo, s5, v66, vcc_lo
	global_store_b32 v[69:70], v67, off
	global_store_b32 v[65:66], v68, off
.LBB1425_78:
	s_or_b32 exec_lo, exec_lo, s3
	s_waitcnt lgkmcnt(0)
	s_waitcnt_vscnt null, 0x0
	s_barrier
	buffer_gl0_inv
	ds_load_b128 v[83:86], v80
	ds_load_b128 v[87:90], v80 offset:16
	ds_load_b128 v[95:98], v80 offset:2064
	;; [unrolled: 1-line block ×3, first 2 shown]
	v_mov_b32_e32 v65, 0
	ds_load_b128 v[103:106], v80 offset:4112
	ds_load_b128 v[99:102], v80 offset:4096
	;; [unrolled: 1-line block ×4, first 2 shown]
	v_mov_b32_e32 v66, v65
	v_mov_b32_e32 v67, v65
	;; [unrolled: 1-line block ×7, first 2 shown]
	s_waitcnt lgkmcnt(6)
	s_delay_alu instid0(VALU_DEP_1)
	v_wmma_f32_16x16x16_bf16 v[65:72], v[57:64], v[83:90], v[65:72]
	ds_load_b128 v[61:64], v80 offset:8208
	ds_load_b128 v[57:60], v80 offset:8192
	s_waitcnt lgkmcnt(6)
	v_wmma_f32_16x16x16_bf16 v[65:72], v[41:48], v[91:98], v[65:72]
	ds_load_b128 v[45:48], v80 offset:10256
	ds_load_b128 v[41:44], v80 offset:10240
	s_waitcnt lgkmcnt(6)
	;; [unrolled: 4-line block ×4, first 2 shown]
	v_wmma_f32_16x16x16_bf16 v[65:72], v[1:8], v[57:64], v[65:72]
	s_waitcnt lgkmcnt(4)
	s_delay_alu instid0(VALU_DEP_1) | instskip(SKIP_1) | instid1(VALU_DEP_1)
	v_wmma_f32_16x16x16_bf16 v[65:72], v[9:16], v[41:48], v[65:72]
	s_waitcnt lgkmcnt(2)
	v_wmma_f32_16x16x16_bf16 v[65:72], v[17:24], v[33:40], v[65:72]
	s_waitcnt lgkmcnt(0)
	s_delay_alu instid0(VALU_DEP_1) | instskip(NEXT) | instid1(VALU_DEP_1)
	v_wmma_f32_16x16x16_bf16 v[65:72], v[49:56], v[25:32], v[65:72]
	v_and_b32_e32 v1, 0x7f800000, v65
	s_delay_alu instid0(VALU_DEP_1) | instskip(SKIP_1) | instid1(SALU_CYCLE_1)
	v_cmp_ne_u32_e32 vcc_lo, 0x7f800000, v1
                                        ; implicit-def: $vgpr1
	s_and_saveexec_b32 s3, vcc_lo
	s_xor_b32 s3, exec_lo, s3
; %bb.79:
	v_bfe_u32 v1, v65, 16, 1
	s_delay_alu instid0(VALU_DEP_1)
	v_add3_u32 v1, v65, v1, 0x7fff
; %bb.80:
	s_and_not1_saveexec_b32 s3, s3
; %bb.81:
	v_and_b32_e32 v1, 0xffff, v65
	v_or_b32_e32 v2, 0x10000, v65
	s_delay_alu instid0(VALU_DEP_2) | instskip(NEXT) | instid1(VALU_DEP_2)
	v_cmp_eq_u32_e32 vcc_lo, 0, v1
	v_cndmask_b32_e32 v1, v2, v65, vcc_lo
; %bb.82:
	s_or_b32 exec_lo, exec_lo, s3
	v_and_b32_e32 v2, 0x7f800000, v66
	s_delay_alu instid0(VALU_DEP_1) | instskip(SKIP_1) | instid1(SALU_CYCLE_1)
	v_cmp_ne_u32_e32 vcc_lo, 0x7f800000, v2
                                        ; implicit-def: $vgpr2
	s_and_saveexec_b32 s3, vcc_lo
	s_xor_b32 s3, exec_lo, s3
; %bb.83:
	v_bfe_u32 v2, v66, 16, 1
	s_delay_alu instid0(VALU_DEP_1)
	v_add3_u32 v2, v66, v2, 0x7fff
; %bb.84:
	s_and_not1_saveexec_b32 s3, s3
; %bb.85:
	v_and_b32_e32 v2, 0xffff, v66
	v_or_b32_e32 v3, 0x10000, v66
	s_delay_alu instid0(VALU_DEP_2) | instskip(NEXT) | instid1(VALU_DEP_2)
	v_cmp_eq_u32_e32 vcc_lo, 0, v2
	v_cndmask_b32_e32 v2, v3, v66, vcc_lo
; %bb.86:
	s_or_b32 exec_lo, exec_lo, s3
	v_and_b32_e32 v3, 0x7f800000, v67
	s_delay_alu instid0(VALU_DEP_1) | instskip(SKIP_1) | instid1(SALU_CYCLE_1)
	v_cmp_ne_u32_e32 vcc_lo, 0x7f800000, v3
                                        ; implicit-def: $vgpr3
	s_and_saveexec_b32 s3, vcc_lo
	s_xor_b32 s3, exec_lo, s3
; %bb.87:
	v_bfe_u32 v3, v67, 16, 1
	s_delay_alu instid0(VALU_DEP_1)
	v_add3_u32 v3, v67, v3, 0x7fff
; %bb.88:
	s_and_not1_saveexec_b32 s3, s3
; %bb.89:
	v_and_b32_e32 v3, 0xffff, v67
	v_or_b32_e32 v4, 0x10000, v67
	s_delay_alu instid0(VALU_DEP_2) | instskip(NEXT) | instid1(VALU_DEP_2)
	v_cmp_eq_u32_e32 vcc_lo, 0, v3
	v_cndmask_b32_e32 v3, v4, v67, vcc_lo
; %bb.90:
	s_or_b32 exec_lo, exec_lo, s3
	v_and_b32_e32 v4, 0x7f800000, v68
	s_delay_alu instid0(VALU_DEP_1) | instskip(SKIP_1) | instid1(SALU_CYCLE_1)
	v_cmp_ne_u32_e32 vcc_lo, 0x7f800000, v4
                                        ; implicit-def: $vgpr4
	s_and_saveexec_b32 s3, vcc_lo
	s_xor_b32 s3, exec_lo, s3
; %bb.91:
	v_bfe_u32 v4, v68, 16, 1
	s_delay_alu instid0(VALU_DEP_1)
	v_add3_u32 v4, v68, v4, 0x7fff
; %bb.92:
	s_and_not1_saveexec_b32 s3, s3
; %bb.93:
	v_and_b32_e32 v4, 0xffff, v68
	v_or_b32_e32 v5, 0x10000, v68
	s_delay_alu instid0(VALU_DEP_2) | instskip(NEXT) | instid1(VALU_DEP_2)
	v_cmp_eq_u32_e32 vcc_lo, 0, v4
	v_cndmask_b32_e32 v4, v5, v68, vcc_lo
; %bb.94:
	s_or_b32 exec_lo, exec_lo, s3
	v_and_b32_e32 v5, 0x7f800000, v69
	s_delay_alu instid0(VALU_DEP_1) | instskip(SKIP_1) | instid1(SALU_CYCLE_1)
	v_cmp_ne_u32_e32 vcc_lo, 0x7f800000, v5
                                        ; implicit-def: $vgpr5
	s_and_saveexec_b32 s3, vcc_lo
	s_xor_b32 s3, exec_lo, s3
; %bb.95:
	v_bfe_u32 v5, v69, 16, 1
	s_delay_alu instid0(VALU_DEP_1)
	v_add3_u32 v5, v69, v5, 0x7fff
; %bb.96:
	s_and_not1_saveexec_b32 s3, s3
; %bb.97:
	v_and_b32_e32 v5, 0xffff, v69
	v_or_b32_e32 v6, 0x10000, v69
	s_delay_alu instid0(VALU_DEP_2) | instskip(NEXT) | instid1(VALU_DEP_2)
	v_cmp_eq_u32_e32 vcc_lo, 0, v5
	v_cndmask_b32_e32 v5, v6, v69, vcc_lo
; %bb.98:
	s_or_b32 exec_lo, exec_lo, s3
	v_and_b32_e32 v6, 0x7f800000, v70
	s_delay_alu instid0(VALU_DEP_1) | instskip(SKIP_1) | instid1(SALU_CYCLE_1)
	v_cmp_ne_u32_e32 vcc_lo, 0x7f800000, v6
                                        ; implicit-def: $vgpr6
	s_and_saveexec_b32 s3, vcc_lo
	s_xor_b32 s3, exec_lo, s3
; %bb.99:
	v_bfe_u32 v6, v70, 16, 1
	s_delay_alu instid0(VALU_DEP_1)
	v_add3_u32 v6, v70, v6, 0x7fff
; %bb.100:
	s_and_not1_saveexec_b32 s3, s3
; %bb.101:
	v_and_b32_e32 v6, 0xffff, v70
	v_or_b32_e32 v7, 0x10000, v70
	s_delay_alu instid0(VALU_DEP_2) | instskip(NEXT) | instid1(VALU_DEP_2)
	v_cmp_eq_u32_e32 vcc_lo, 0, v6
	v_cndmask_b32_e32 v6, v7, v70, vcc_lo
; %bb.102:
	s_or_b32 exec_lo, exec_lo, s3
	v_and_b32_e32 v7, 0x7f800000, v71
	s_delay_alu instid0(VALU_DEP_1) | instskip(SKIP_1) | instid1(SALU_CYCLE_1)
	v_cmp_ne_u32_e32 vcc_lo, 0x7f800000, v7
                                        ; implicit-def: $vgpr7
	s_and_saveexec_b32 s3, vcc_lo
	s_xor_b32 s3, exec_lo, s3
; %bb.103:
	v_bfe_u32 v7, v71, 16, 1
	s_delay_alu instid0(VALU_DEP_1)
	v_add3_u32 v7, v71, v7, 0x7fff
; %bb.104:
	s_and_not1_saveexec_b32 s3, s3
; %bb.105:
	v_and_b32_e32 v7, 0xffff, v71
	v_or_b32_e32 v8, 0x10000, v71
	s_delay_alu instid0(VALU_DEP_2) | instskip(NEXT) | instid1(VALU_DEP_2)
	v_cmp_eq_u32_e32 vcc_lo, 0, v7
	v_cndmask_b32_e32 v7, v8, v71, vcc_lo
; %bb.106:
	s_or_b32 exec_lo, exec_lo, s3
	v_and_b32_e32 v8, 0x7f800000, v72
	s_delay_alu instid0(VALU_DEP_1) | instskip(SKIP_1) | instid1(SALU_CYCLE_1)
	v_cmp_ne_u32_e32 vcc_lo, 0x7f800000, v8
                                        ; implicit-def: $vgpr8
	s_and_saveexec_b32 s3, vcc_lo
	s_xor_b32 s3, exec_lo, s3
; %bb.107:
	v_bfe_u32 v8, v72, 16, 1
	s_delay_alu instid0(VALU_DEP_1)
	v_add3_u32 v8, v72, v8, 0x7fff
                                        ; implicit-def: $vgpr65_vgpr66_vgpr67_vgpr68_vgpr69_vgpr70_vgpr71_vgpr72
; %bb.108:
	s_and_not1_saveexec_b32 s3, s3
; %bb.109:
	v_and_b32_e32 v8, 0xffff, v72
	v_or_b32_e32 v9, 0x10000, v72
	s_delay_alu instid0(VALU_DEP_2) | instskip(NEXT) | instid1(VALU_DEP_2)
	v_cmp_eq_u32_e32 vcc_lo, 0, v8
	v_cndmask_b32_e32 v8, v9, v72, vcc_lo
; %bb.110:
	s_or_b32 exec_lo, exec_lo, s3
	s_delay_alu instid0(VALU_DEP_1)
	v_perm_b32 v7, v8, v7, 0x7060302
	v_perm_b32 v6, v6, v5, 0x7060302
	;; [unrolled: 1-line block ×4, first 2 shown]
	s_barrier
	buffer_gl0_inv
	v_cmp_eq_u32_e32 vcc_lo, 1, v78
	ds_store_b128 v76, v[4:7]
	s_waitcnt lgkmcnt(0)
	s_barrier
	buffer_gl0_inv
	ds_load_b128 v[1:4], v82
	ds_load_b128 v[5:8], v82 offset:16
	v_cmp_eq_u32_e64 s3, 1, v79
	v_cmp_eq_u32_e64 s4, 2, v78
	;; [unrolled: 1-line block ×5, first 2 shown]
	s_waitcnt lgkmcnt(1)
	v_lshrrev_b32_e32 v9, 16, v1
	s_waitcnt lgkmcnt(0)
	v_lshrrev_b32_e32 v13, 16, v5
	v_lshrrev_b32_e32 v10, 16, v2
	;; [unrolled: 1-line block ×4, first 2 shown]
	v_cndmask_b32_e64 v19, v1, v9, s3
	v_cndmask_b32_e32 v18, v5, v13, vcc_lo
	v_cndmask_b32_e64 v20, v5, v13, s3
	v_cndmask_b32_e32 v17, v1, v9, vcc_lo
	v_cmp_eq_u32_e32 vcc_lo, 2, v79
	v_lshrrev_b32_e32 v15, 16, v7
	v_cmp_eq_u32_e64 s3, 1, v77
	v_lshrrev_b32_e32 v12, 16, v4
	v_lshrrev_b32_e32 v16, 16, v8
	v_cndmask_b32_e32 v20, v20, v6, vcc_lo
	v_cndmask_b32_e64 v17, v17, v2, s4
	v_cndmask_b32_e32 v19, v19, v2, vcc_lo
	v_cndmask_b32_e64 v18, v18, v6, s4
	v_cmp_eq_u32_e32 vcc_lo, 4, v78
	v_cmp_eq_u32_e64 s4, 3, v79
	v_cndmask_b32_e64 v17, v17, v10, s5
	v_cndmask_b32_e64 v21, v1, v9, s3
	;; [unrolled: 1-line block ×5, first 2 shown]
	v_cndmask_b32_e32 v17, v17, v3, vcc_lo
	v_cndmask_b32_e64 v20, v20, v14, s4
	v_cndmask_b32_e32 v18, v18, v7, vcc_lo
	v_cmp_eq_u32_e32 vcc_lo, 4, v79
	v_cmp_eq_u32_e64 s4, 5, v79
	v_cmp_eq_u32_e64 s3, 2, v81
	v_cndmask_b32_e64 v21, v21, v2, s7
	v_cmp_eq_u32_e64 s5, 5, v78
	v_cndmask_b32_e32 v19, v19, v3, vcc_lo
	v_cndmask_b32_e32 v20, v20, v7, vcc_lo
	v_cmp_eq_u32_e32 vcc_lo, 6, v79
	s_delay_alu instid0(VALU_DEP_4) | instskip(NEXT) | instid1(VALU_DEP_4)
	v_cndmask_b32_e64 v17, v17, v11, s5
	v_cndmask_b32_e64 v19, v19, v11, s4
	s_delay_alu instid0(VALU_DEP_4) | instskip(SKIP_1) | instid1(VALU_DEP_3)
	v_cndmask_b32_e64 v20, v20, v15, s4
	v_cmp_eq_u32_e64 s4, 1, v81
	v_cndmask_b32_e32 v19, v19, v4, vcc_lo
	v_cndmask_b32_e64 v18, v18, v15, s5
	s_delay_alu instid0(VALU_DEP_3)
	v_cndmask_b32_e64 v1, v1, v9, s4
	v_cndmask_b32_e64 v5, v5, v13, s4
	v_cmp_eq_u32_e64 s4, 3, v77
	v_cndmask_b32_e64 v13, v22, v6, s7
	v_cmp_eq_u32_e64 s7, 3, v81
	v_cndmask_b32_e64 v1, v1, v2, s3
	v_cndmask_b32_e64 v2, v5, v6, s3
	;; [unrolled: 1-line block ×3, first 2 shown]
	v_cmp_eq_u32_e64 s3, 4, v77
	v_cndmask_b32_e64 v6, v13, v14, s4
	v_cndmask_b32_e64 v1, v1, v10, s7
	v_cmp_eq_u32_e64 s4, 4, v81
	v_cndmask_b32_e64 v2, v2, v14, s7
	v_cndmask_b32_e64 v5, v9, v3, s3
	;; [unrolled: 3-line block ×3, first 2 shown]
	v_cndmask_b32_e64 v2, v2, v7, s4
	v_cmp_eq_u32_e64 s3, 5, v81
	v_cmp_eq_u32_e64 s5, 6, v78
	v_cndmask_b32_e64 v5, v5, v11, s7
	v_cmp_eq_u32_e64 s4, 6, v77
	v_cndmask_b32_e64 v3, v6, v15, s7
	v_cndmask_b32_e64 v1, v1, v11, s3
	v_cmp_eq_u32_e64 s7, 6, v81
	v_cndmask_b32_e64 v2, v2, v15, s3
	v_cndmask_b32_e64 v17, v17, v4, s5
	v_cndmask_b32_e64 v18, v18, v8, s5
	v_cmp_eq_u32_e64 s5, 7, v78
	v_cndmask_b32_e64 v5, v5, v4, s4
	;; [unrolled: 4-line block ×3, first 2 shown]
	v_cmp_eq_u32_e64 s4, 7, v77
	v_cndmask_b32_e32 v4, v20, v8, vcc_lo
	v_cndmask_b32_e64 v17, v17, v12, s5
	v_cndmask_b32_e64 v19, v19, v12, s6
	;; [unrolled: 1-line block ×8, first 2 shown]
	v_cmp_gt_u32_e32 vcc_lo, 32, v0
	v_perm_b32 v4, v2, v1, 0x5040100
	v_perm_b32 v3, v3, v5, 0x5040100
	;; [unrolled: 1-line block ×4, first 2 shown]
	s_and_b32 s2, vcc_lo, s2
	ds_store_b128 v76, v[1:4]
	s_waitcnt lgkmcnt(0)
	s_barrier
	buffer_gl0_inv
	s_and_saveexec_b32 s3, s2
	s_cbranch_execz .LBB1425_2
; %bb.111:
	s_load_b64 s[0:1], s[0:1], 0x68
	v_lshlrev_b32_e32 v0, 10, v0
	v_or_b32_e32 v1, s31, v75
	s_lshl_b32 s4, s34, 6
	v_lshlrev_b32_e32 v2, 4, v74
	s_mul_i32 s2, s4, s30
	v_lshlrev_b32_e32 v3, 6, v75
	v_mul_lo_u32 v8, v1, s4
	v_and_b32_e32 v0, 0x3800, v0
	v_or_b32_e32 v1, 2, v1
	s_mul_i32 s2, s2, s8
	s_delay_alu instid0(SALU_CYCLE_1) | instskip(NEXT) | instid1(VALU_DEP_2)
	s_ashr_i32 s3, s2, 31
	v_or3_b32 v4, v0, v2, v3
	s_lshl_b64 s[2:3], s[2:3], 1
	v_mul_lo_u32 v10, v1, s4
	v_ashrrev_i32_e32 v9, 31, v8
	ds_load_b128 v[0:3], v4
	ds_load_b128 v[4:7], v4 offset:128
	s_waitcnt lgkmcnt(0)
	s_add_u32 s2, s0, s2
	s_addc_u32 s3, s1, s3
	s_lshl_b32 s0, s14, 6
	v_ashrrev_i32_e32 v11, 31, v10
	s_ashr_i32 s1, s0, 31
	v_lshlrev_b64 v[8:9], 1, v[8:9]
	s_lshl_b64 s[0:1], s[0:1], 1
	s_delay_alu instid0(SALU_CYCLE_1) | instskip(SKIP_2) | instid1(VALU_DEP_1)
	s_add_u32 s0, s2, s0
	s_addc_u32 s1, s3, s1
	v_add_co_u32 v12, s0, s0, v73
	v_add_co_ci_u32_e64 v13, null, s1, 0, s0
	v_lshlrev_b64 v[10:11], 1, v[10:11]
	s_delay_alu instid0(VALU_DEP_3) | instskip(NEXT) | instid1(VALU_DEP_3)
	v_add_co_u32 v8, vcc_lo, v12, v8
	v_add_co_ci_u32_e32 v9, vcc_lo, v13, v9, vcc_lo
	s_delay_alu instid0(VALU_DEP_3) | instskip(NEXT) | instid1(VALU_DEP_4)
	v_add_co_u32 v10, vcc_lo, v12, v10
	v_add_co_ci_u32_e32 v11, vcc_lo, v13, v11, vcc_lo
	s_clause 0x1
	global_store_b128 v[8:9], v[0:3], off
	global_store_b128 v[10:11], v[4:7], off
	s_nop 0
	s_sendmsg sendmsg(MSG_DEALLOC_VGPRS)
	s_endpgm
	.section	.rodata,"a",@progbits
	.p2align	6, 0x0
	.amdhsa_kernel _Z39paged_attention_ll4mi_QKV_mfma16_kernelI14__hip_bfloat16hLN4vllm18Fp8KVCacheDataTypeE1ES0_Li16ELi64ELi256ELb0ELi4EL8MFMAType1EEvPKT_PKT0_S9_ifPKiSB_SB_iPKfiiiPfSE_PS4_PT2_iSD_SD_
		.amdhsa_group_segment_fixed_size 17472
		.amdhsa_private_segment_fixed_size 0
		.amdhsa_kernarg_size 400
		.amdhsa_user_sgpr_count 13
		.amdhsa_user_sgpr_dispatch_ptr 0
		.amdhsa_user_sgpr_queue_ptr 0
		.amdhsa_user_sgpr_kernarg_segment_ptr 1
		.amdhsa_user_sgpr_dispatch_id 0
		.amdhsa_user_sgpr_private_segment_size 0
		.amdhsa_wavefront_size32 1
		.amdhsa_uses_dynamic_stack 0
		.amdhsa_enable_private_segment 0
		.amdhsa_system_sgpr_workgroup_id_x 1
		.amdhsa_system_sgpr_workgroup_id_y 1
		.amdhsa_system_sgpr_workgroup_id_z 1
		.amdhsa_system_sgpr_workgroup_info 0
		.amdhsa_system_vgpr_workitem_id 0
		.amdhsa_next_free_vgpr 124
		.amdhsa_next_free_sgpr 38
		.amdhsa_reserve_vcc 1
		.amdhsa_float_round_mode_32 0
		.amdhsa_float_round_mode_16_64 0
		.amdhsa_float_denorm_mode_32 3
		.amdhsa_float_denorm_mode_16_64 3
		.amdhsa_dx10_clamp 1
		.amdhsa_ieee_mode 1
		.amdhsa_fp16_overflow 0
		.amdhsa_workgroup_processor_mode 1
		.amdhsa_memory_ordered 1
		.amdhsa_forward_progress 0
		.amdhsa_shared_vgpr_count 0
		.amdhsa_exception_fp_ieee_invalid_op 0
		.amdhsa_exception_fp_denorm_src 0
		.amdhsa_exception_fp_ieee_div_zero 0
		.amdhsa_exception_fp_ieee_overflow 0
		.amdhsa_exception_fp_ieee_underflow 0
		.amdhsa_exception_fp_ieee_inexact 0
		.amdhsa_exception_int_div_zero 0
	.end_amdhsa_kernel
	.section	.text._Z39paged_attention_ll4mi_QKV_mfma16_kernelI14__hip_bfloat16hLN4vllm18Fp8KVCacheDataTypeE1ES0_Li16ELi64ELi256ELb0ELi4EL8MFMAType1EEvPKT_PKT0_S9_ifPKiSB_SB_iPKfiiiPfSE_PS4_PT2_iSD_SD_,"axG",@progbits,_Z39paged_attention_ll4mi_QKV_mfma16_kernelI14__hip_bfloat16hLN4vllm18Fp8KVCacheDataTypeE1ES0_Li16ELi64ELi256ELb0ELi4EL8MFMAType1EEvPKT_PKT0_S9_ifPKiSB_SB_iPKfiiiPfSE_PS4_PT2_iSD_SD_,comdat
.Lfunc_end1425:
	.size	_Z39paged_attention_ll4mi_QKV_mfma16_kernelI14__hip_bfloat16hLN4vllm18Fp8KVCacheDataTypeE1ES0_Li16ELi64ELi256ELb0ELi4EL8MFMAType1EEvPKT_PKT0_S9_ifPKiSB_SB_iPKfiiiPfSE_PS4_PT2_iSD_SD_, .Lfunc_end1425-_Z39paged_attention_ll4mi_QKV_mfma16_kernelI14__hip_bfloat16hLN4vllm18Fp8KVCacheDataTypeE1ES0_Li16ELi64ELi256ELb0ELi4EL8MFMAType1EEvPKT_PKT0_S9_ifPKiSB_SB_iPKfiiiPfSE_PS4_PT2_iSD_SD_
                                        ; -- End function
	.section	.AMDGPU.csdata,"",@progbits
; Kernel info:
; codeLenInByte = 8604
; NumSgprs: 40
; NumVgprs: 124
; ScratchSize: 0
; MemoryBound: 0
; FloatMode: 240
; IeeeMode: 1
; LDSByteSize: 17472 bytes/workgroup (compile time only)
; SGPRBlocks: 4
; VGPRBlocks: 15
; NumSGPRsForWavesPerEU: 40
; NumVGPRsForWavesPerEU: 124
; Occupancy: 10
; WaveLimiterHint : 1
; COMPUTE_PGM_RSRC2:SCRATCH_EN: 0
; COMPUTE_PGM_RSRC2:USER_SGPR: 13
; COMPUTE_PGM_RSRC2:TRAP_HANDLER: 0
; COMPUTE_PGM_RSRC2:TGID_X_EN: 1
; COMPUTE_PGM_RSRC2:TGID_Y_EN: 1
; COMPUTE_PGM_RSRC2:TGID_Z_EN: 1
; COMPUTE_PGM_RSRC2:TIDIG_COMP_CNT: 0
	.section	.text._Z38paged_attention_ll4mi_QKV_mfma4_kernelI14__hip_bfloat16hLN4vllm18Fp8KVCacheDataTypeE1EhLi32ELi64ELi256ELb1ELi1EEvPKT_PKT0_S8_ifPKiSA_SA_iPKfiiiPfSD_PS3_PT2_iSC_SC_,"axG",@progbits,_Z38paged_attention_ll4mi_QKV_mfma4_kernelI14__hip_bfloat16hLN4vllm18Fp8KVCacheDataTypeE1EhLi32ELi64ELi256ELb1ELi1EEvPKT_PKT0_S8_ifPKiSA_SA_iPKfiiiPfSD_PS3_PT2_iSC_SC_,comdat
	.protected	_Z38paged_attention_ll4mi_QKV_mfma4_kernelI14__hip_bfloat16hLN4vllm18Fp8KVCacheDataTypeE1EhLi32ELi64ELi256ELb1ELi1EEvPKT_PKT0_S8_ifPKiSA_SA_iPKfiiiPfSD_PS3_PT2_iSC_SC_ ; -- Begin function _Z38paged_attention_ll4mi_QKV_mfma4_kernelI14__hip_bfloat16hLN4vllm18Fp8KVCacheDataTypeE1EhLi32ELi64ELi256ELb1ELi1EEvPKT_PKT0_S8_ifPKiSA_SA_iPKfiiiPfSD_PS3_PT2_iSC_SC_
	.globl	_Z38paged_attention_ll4mi_QKV_mfma4_kernelI14__hip_bfloat16hLN4vllm18Fp8KVCacheDataTypeE1EhLi32ELi64ELi256ELb1ELi1EEvPKT_PKT0_S8_ifPKiSA_SA_iPKfiiiPfSD_PS3_PT2_iSC_SC_
	.p2align	8
	.type	_Z38paged_attention_ll4mi_QKV_mfma4_kernelI14__hip_bfloat16hLN4vllm18Fp8KVCacheDataTypeE1EhLi32ELi64ELi256ELb1ELi1EEvPKT_PKT0_S8_ifPKiSA_SA_iPKfiiiPfSD_PS3_PT2_iSC_SC_,@function
_Z38paged_attention_ll4mi_QKV_mfma4_kernelI14__hip_bfloat16hLN4vllm18Fp8KVCacheDataTypeE1EhLi32ELi64ELi256ELb1ELi1EEvPKT_PKT0_S8_ifPKiSA_SA_iPKfiiiPfSD_PS3_PT2_iSC_SC_: ; @_Z38paged_attention_ll4mi_QKV_mfma4_kernelI14__hip_bfloat16hLN4vllm18Fp8KVCacheDataTypeE1EhLi32ELi64ELi256ELb1ELi1EEvPKT_PKT0_S8_ifPKiSA_SA_iPKfiiiPfSD_PS3_PT2_iSC_SC_
; %bb.0:
	s_add_u32 s8, s0, 0x90
	s_addc_u32 s9, s1, 0
	s_getpc_b64 s[0:1]
	s_add_u32 s0, s0, __PRETTY_FUNCTION__._Z38paged_attention_ll4mi_QKV_mfma4_kernelI14__hip_bfloat16hLN4vllm18Fp8KVCacheDataTypeE1EhLi32ELi64ELi256ELb1ELi1EEvPKT_PKT0_S8_ifPKiSA_SA_iPKfiiiPfSD_PS3_PT2_iSC_SC_@rel32@lo+4
	s_addc_u32 s1, s1, __PRETTY_FUNCTION__._Z38paged_attention_ll4mi_QKV_mfma4_kernelI14__hip_bfloat16hLN4vllm18Fp8KVCacheDataTypeE1EhLi32ELi64ELi256ELb1ELi1EEvPKT_PKT0_S8_ifPKiSA_SA_iPKfiiiPfSD_PS3_PT2_iSC_SC_@rel32@hi+12
	s_delay_alu instid0(SALU_CYCLE_1) | instskip(SKIP_4) | instid1(SALU_CYCLE_1)
	v_dual_mov_b32 v0, s0 :: v_dual_mov_b32 v1, s1
	s_mov_b32 s32, 0
	s_getpc_b64 s[2:3]
	s_add_u32 s2, s2, __assert_fail@rel32@lo+4
	s_addc_u32 s3, s3, __assert_fail@rel32@hi+12
	s_swappc_b64 s[30:31], s[2:3]
	.section	.rodata,"a",@progbits
	.p2align	6, 0x0
	.amdhsa_kernel _Z38paged_attention_ll4mi_QKV_mfma4_kernelI14__hip_bfloat16hLN4vllm18Fp8KVCacheDataTypeE1EhLi32ELi64ELi256ELb1ELi1EEvPKT_PKT0_S8_ifPKiSA_SA_iPKfiiiPfSD_PS3_PT2_iSC_SC_
		.amdhsa_group_segment_fixed_size 0
		.amdhsa_private_segment_fixed_size 64
		.amdhsa_kernarg_size 400
		.amdhsa_user_sgpr_count 15
		.amdhsa_user_sgpr_dispatch_ptr 0
		.amdhsa_user_sgpr_queue_ptr 0
		.amdhsa_user_sgpr_kernarg_segment_ptr 1
		.amdhsa_user_sgpr_dispatch_id 0
		.amdhsa_user_sgpr_private_segment_size 0
		.amdhsa_wavefront_size32 1
		.amdhsa_uses_dynamic_stack 0
		.amdhsa_enable_private_segment 1
		.amdhsa_system_sgpr_workgroup_id_x 1
		.amdhsa_system_sgpr_workgroup_id_y 0
		.amdhsa_system_sgpr_workgroup_id_z 0
		.amdhsa_system_sgpr_workgroup_info 0
		.amdhsa_system_vgpr_workitem_id 0
		.amdhsa_next_free_vgpr 41
		.amdhsa_next_free_sgpr 34
		.amdhsa_reserve_vcc 1
		.amdhsa_float_round_mode_32 0
		.amdhsa_float_round_mode_16_64 0
		.amdhsa_float_denorm_mode_32 3
		.amdhsa_float_denorm_mode_16_64 3
		.amdhsa_dx10_clamp 1
		.amdhsa_ieee_mode 1
		.amdhsa_fp16_overflow 0
		.amdhsa_workgroup_processor_mode 1
		.amdhsa_memory_ordered 1
		.amdhsa_forward_progress 0
		.amdhsa_shared_vgpr_count 0
		.amdhsa_exception_fp_ieee_invalid_op 0
		.amdhsa_exception_fp_denorm_src 0
		.amdhsa_exception_fp_ieee_div_zero 0
		.amdhsa_exception_fp_ieee_overflow 0
		.amdhsa_exception_fp_ieee_underflow 0
		.amdhsa_exception_fp_ieee_inexact 0
		.amdhsa_exception_int_div_zero 0
	.end_amdhsa_kernel
	.section	.text._Z38paged_attention_ll4mi_QKV_mfma4_kernelI14__hip_bfloat16hLN4vllm18Fp8KVCacheDataTypeE1EhLi32ELi64ELi256ELb1ELi1EEvPKT_PKT0_S8_ifPKiSA_SA_iPKfiiiPfSD_PS3_PT2_iSC_SC_,"axG",@progbits,_Z38paged_attention_ll4mi_QKV_mfma4_kernelI14__hip_bfloat16hLN4vllm18Fp8KVCacheDataTypeE1EhLi32ELi64ELi256ELb1ELi1EEvPKT_PKT0_S8_ifPKiSA_SA_iPKfiiiPfSD_PS3_PT2_iSC_SC_,comdat
.Lfunc_end1426:
	.size	_Z38paged_attention_ll4mi_QKV_mfma4_kernelI14__hip_bfloat16hLN4vllm18Fp8KVCacheDataTypeE1EhLi32ELi64ELi256ELb1ELi1EEvPKT_PKT0_S8_ifPKiSA_SA_iPKfiiiPfSD_PS3_PT2_iSC_SC_, .Lfunc_end1426-_Z38paged_attention_ll4mi_QKV_mfma4_kernelI14__hip_bfloat16hLN4vllm18Fp8KVCacheDataTypeE1EhLi32ELi64ELi256ELb1ELi1EEvPKT_PKT0_S8_ifPKiSA_SA_iPKfiiiPfSD_PS3_PT2_iSC_SC_
                                        ; -- End function
	.section	.AMDGPU.csdata,"",@progbits
; Kernel info:
; codeLenInByte = 72
; NumSgprs: 36
; NumVgprs: 41
; ScratchSize: 64
; MemoryBound: 0
; FloatMode: 240
; IeeeMode: 1
; LDSByteSize: 0 bytes/workgroup (compile time only)
; SGPRBlocks: 4
; VGPRBlocks: 5
; NumSGPRsForWavesPerEU: 36
; NumVGPRsForWavesPerEU: 41
; Occupancy: 16
; WaveLimiterHint : 1
; COMPUTE_PGM_RSRC2:SCRATCH_EN: 1
; COMPUTE_PGM_RSRC2:USER_SGPR: 15
; COMPUTE_PGM_RSRC2:TRAP_HANDLER: 0
; COMPUTE_PGM_RSRC2:TGID_X_EN: 1
; COMPUTE_PGM_RSRC2:TGID_Y_EN: 0
; COMPUTE_PGM_RSRC2:TGID_Z_EN: 0
; COMPUTE_PGM_RSRC2:TIDIG_COMP_CNT: 0
	.section	.text._Z38paged_attention_ll4mi_QKV_mfma4_kernelI14__hip_bfloat16hLN4vllm18Fp8KVCacheDataTypeE1EhLi32ELi64ELi256ELb1ELi2EEvPKT_PKT0_S8_ifPKiSA_SA_iPKfiiiPfSD_PS3_PT2_iSC_SC_,"axG",@progbits,_Z38paged_attention_ll4mi_QKV_mfma4_kernelI14__hip_bfloat16hLN4vllm18Fp8KVCacheDataTypeE1EhLi32ELi64ELi256ELb1ELi2EEvPKT_PKT0_S8_ifPKiSA_SA_iPKfiiiPfSD_PS3_PT2_iSC_SC_,comdat
	.protected	_Z38paged_attention_ll4mi_QKV_mfma4_kernelI14__hip_bfloat16hLN4vllm18Fp8KVCacheDataTypeE1EhLi32ELi64ELi256ELb1ELi2EEvPKT_PKT0_S8_ifPKiSA_SA_iPKfiiiPfSD_PS3_PT2_iSC_SC_ ; -- Begin function _Z38paged_attention_ll4mi_QKV_mfma4_kernelI14__hip_bfloat16hLN4vllm18Fp8KVCacheDataTypeE1EhLi32ELi64ELi256ELb1ELi2EEvPKT_PKT0_S8_ifPKiSA_SA_iPKfiiiPfSD_PS3_PT2_iSC_SC_
	.globl	_Z38paged_attention_ll4mi_QKV_mfma4_kernelI14__hip_bfloat16hLN4vllm18Fp8KVCacheDataTypeE1EhLi32ELi64ELi256ELb1ELi2EEvPKT_PKT0_S8_ifPKiSA_SA_iPKfiiiPfSD_PS3_PT2_iSC_SC_
	.p2align	8
	.type	_Z38paged_attention_ll4mi_QKV_mfma4_kernelI14__hip_bfloat16hLN4vllm18Fp8KVCacheDataTypeE1EhLi32ELi64ELi256ELb1ELi2EEvPKT_PKT0_S8_ifPKiSA_SA_iPKfiiiPfSD_PS3_PT2_iSC_SC_,@function
_Z38paged_attention_ll4mi_QKV_mfma4_kernelI14__hip_bfloat16hLN4vllm18Fp8KVCacheDataTypeE1EhLi32ELi64ELi256ELb1ELi2EEvPKT_PKT0_S8_ifPKiSA_SA_iPKfiiiPfSD_PS3_PT2_iSC_SC_: ; @_Z38paged_attention_ll4mi_QKV_mfma4_kernelI14__hip_bfloat16hLN4vllm18Fp8KVCacheDataTypeE1EhLi32ELi64ELi256ELb1ELi2EEvPKT_PKT0_S8_ifPKiSA_SA_iPKfiiiPfSD_PS3_PT2_iSC_SC_
; %bb.0:
	s_add_u32 s8, s0, 0x90
	s_addc_u32 s9, s1, 0
	s_getpc_b64 s[0:1]
	s_add_u32 s0, s0, __PRETTY_FUNCTION__._Z38paged_attention_ll4mi_QKV_mfma4_kernelI14__hip_bfloat16hLN4vllm18Fp8KVCacheDataTypeE1EhLi32ELi64ELi256ELb1ELi2EEvPKT_PKT0_S8_ifPKiSA_SA_iPKfiiiPfSD_PS3_PT2_iSC_SC_@rel32@lo+4
	s_addc_u32 s1, s1, __PRETTY_FUNCTION__._Z38paged_attention_ll4mi_QKV_mfma4_kernelI14__hip_bfloat16hLN4vllm18Fp8KVCacheDataTypeE1EhLi32ELi64ELi256ELb1ELi2EEvPKT_PKT0_S8_ifPKiSA_SA_iPKfiiiPfSD_PS3_PT2_iSC_SC_@rel32@hi+12
	s_delay_alu instid0(SALU_CYCLE_1) | instskip(SKIP_4) | instid1(SALU_CYCLE_1)
	v_dual_mov_b32 v0, s0 :: v_dual_mov_b32 v1, s1
	s_mov_b32 s32, 0
	s_getpc_b64 s[2:3]
	s_add_u32 s2, s2, __assert_fail@rel32@lo+4
	s_addc_u32 s3, s3, __assert_fail@rel32@hi+12
	s_swappc_b64 s[30:31], s[2:3]
	.section	.rodata,"a",@progbits
	.p2align	6, 0x0
	.amdhsa_kernel _Z38paged_attention_ll4mi_QKV_mfma4_kernelI14__hip_bfloat16hLN4vllm18Fp8KVCacheDataTypeE1EhLi32ELi64ELi256ELb1ELi2EEvPKT_PKT0_S8_ifPKiSA_SA_iPKfiiiPfSD_PS3_PT2_iSC_SC_
		.amdhsa_group_segment_fixed_size 0
		.amdhsa_private_segment_fixed_size 64
		.amdhsa_kernarg_size 400
		.amdhsa_user_sgpr_count 15
		.amdhsa_user_sgpr_dispatch_ptr 0
		.amdhsa_user_sgpr_queue_ptr 0
		.amdhsa_user_sgpr_kernarg_segment_ptr 1
		.amdhsa_user_sgpr_dispatch_id 0
		.amdhsa_user_sgpr_private_segment_size 0
		.amdhsa_wavefront_size32 1
		.amdhsa_uses_dynamic_stack 0
		.amdhsa_enable_private_segment 1
		.amdhsa_system_sgpr_workgroup_id_x 1
		.amdhsa_system_sgpr_workgroup_id_y 0
		.amdhsa_system_sgpr_workgroup_id_z 0
		.amdhsa_system_sgpr_workgroup_info 0
		.amdhsa_system_vgpr_workitem_id 0
		.amdhsa_next_free_vgpr 41
		.amdhsa_next_free_sgpr 34
		.amdhsa_reserve_vcc 1
		.amdhsa_float_round_mode_32 0
		.amdhsa_float_round_mode_16_64 0
		.amdhsa_float_denorm_mode_32 3
		.amdhsa_float_denorm_mode_16_64 3
		.amdhsa_dx10_clamp 1
		.amdhsa_ieee_mode 1
		.amdhsa_fp16_overflow 0
		.amdhsa_workgroup_processor_mode 1
		.amdhsa_memory_ordered 1
		.amdhsa_forward_progress 0
		.amdhsa_shared_vgpr_count 0
		.amdhsa_exception_fp_ieee_invalid_op 0
		.amdhsa_exception_fp_denorm_src 0
		.amdhsa_exception_fp_ieee_div_zero 0
		.amdhsa_exception_fp_ieee_overflow 0
		.amdhsa_exception_fp_ieee_underflow 0
		.amdhsa_exception_fp_ieee_inexact 0
		.amdhsa_exception_int_div_zero 0
	.end_amdhsa_kernel
	.section	.text._Z38paged_attention_ll4mi_QKV_mfma4_kernelI14__hip_bfloat16hLN4vllm18Fp8KVCacheDataTypeE1EhLi32ELi64ELi256ELb1ELi2EEvPKT_PKT0_S8_ifPKiSA_SA_iPKfiiiPfSD_PS3_PT2_iSC_SC_,"axG",@progbits,_Z38paged_attention_ll4mi_QKV_mfma4_kernelI14__hip_bfloat16hLN4vllm18Fp8KVCacheDataTypeE1EhLi32ELi64ELi256ELb1ELi2EEvPKT_PKT0_S8_ifPKiSA_SA_iPKfiiiPfSD_PS3_PT2_iSC_SC_,comdat
.Lfunc_end1427:
	.size	_Z38paged_attention_ll4mi_QKV_mfma4_kernelI14__hip_bfloat16hLN4vllm18Fp8KVCacheDataTypeE1EhLi32ELi64ELi256ELb1ELi2EEvPKT_PKT0_S8_ifPKiSA_SA_iPKfiiiPfSD_PS3_PT2_iSC_SC_, .Lfunc_end1427-_Z38paged_attention_ll4mi_QKV_mfma4_kernelI14__hip_bfloat16hLN4vllm18Fp8KVCacheDataTypeE1EhLi32ELi64ELi256ELb1ELi2EEvPKT_PKT0_S8_ifPKiSA_SA_iPKfiiiPfSD_PS3_PT2_iSC_SC_
                                        ; -- End function
	.section	.AMDGPU.csdata,"",@progbits
; Kernel info:
; codeLenInByte = 72
; NumSgprs: 36
; NumVgprs: 41
; ScratchSize: 64
; MemoryBound: 0
; FloatMode: 240
; IeeeMode: 1
; LDSByteSize: 0 bytes/workgroup (compile time only)
; SGPRBlocks: 4
; VGPRBlocks: 5
; NumSGPRsForWavesPerEU: 36
; NumVGPRsForWavesPerEU: 41
; Occupancy: 16
; WaveLimiterHint : 1
; COMPUTE_PGM_RSRC2:SCRATCH_EN: 1
; COMPUTE_PGM_RSRC2:USER_SGPR: 15
; COMPUTE_PGM_RSRC2:TRAP_HANDLER: 0
; COMPUTE_PGM_RSRC2:TGID_X_EN: 1
; COMPUTE_PGM_RSRC2:TGID_Y_EN: 0
; COMPUTE_PGM_RSRC2:TGID_Z_EN: 0
; COMPUTE_PGM_RSRC2:TIDIG_COMP_CNT: 0
	.section	.text._Z38paged_attention_ll4mi_QKV_mfma4_kernelI14__hip_bfloat16hLN4vllm18Fp8KVCacheDataTypeE1EhLi32ELi64ELi256ELb1ELi3EEvPKT_PKT0_S8_ifPKiSA_SA_iPKfiiiPfSD_PS3_PT2_iSC_SC_,"axG",@progbits,_Z38paged_attention_ll4mi_QKV_mfma4_kernelI14__hip_bfloat16hLN4vllm18Fp8KVCacheDataTypeE1EhLi32ELi64ELi256ELb1ELi3EEvPKT_PKT0_S8_ifPKiSA_SA_iPKfiiiPfSD_PS3_PT2_iSC_SC_,comdat
	.protected	_Z38paged_attention_ll4mi_QKV_mfma4_kernelI14__hip_bfloat16hLN4vllm18Fp8KVCacheDataTypeE1EhLi32ELi64ELi256ELb1ELi3EEvPKT_PKT0_S8_ifPKiSA_SA_iPKfiiiPfSD_PS3_PT2_iSC_SC_ ; -- Begin function _Z38paged_attention_ll4mi_QKV_mfma4_kernelI14__hip_bfloat16hLN4vllm18Fp8KVCacheDataTypeE1EhLi32ELi64ELi256ELb1ELi3EEvPKT_PKT0_S8_ifPKiSA_SA_iPKfiiiPfSD_PS3_PT2_iSC_SC_
	.globl	_Z38paged_attention_ll4mi_QKV_mfma4_kernelI14__hip_bfloat16hLN4vllm18Fp8KVCacheDataTypeE1EhLi32ELi64ELi256ELb1ELi3EEvPKT_PKT0_S8_ifPKiSA_SA_iPKfiiiPfSD_PS3_PT2_iSC_SC_
	.p2align	8
	.type	_Z38paged_attention_ll4mi_QKV_mfma4_kernelI14__hip_bfloat16hLN4vllm18Fp8KVCacheDataTypeE1EhLi32ELi64ELi256ELb1ELi3EEvPKT_PKT0_S8_ifPKiSA_SA_iPKfiiiPfSD_PS3_PT2_iSC_SC_,@function
_Z38paged_attention_ll4mi_QKV_mfma4_kernelI14__hip_bfloat16hLN4vllm18Fp8KVCacheDataTypeE1EhLi32ELi64ELi256ELb1ELi3EEvPKT_PKT0_S8_ifPKiSA_SA_iPKfiiiPfSD_PS3_PT2_iSC_SC_: ; @_Z38paged_attention_ll4mi_QKV_mfma4_kernelI14__hip_bfloat16hLN4vllm18Fp8KVCacheDataTypeE1EhLi32ELi64ELi256ELb1ELi3EEvPKT_PKT0_S8_ifPKiSA_SA_iPKfiiiPfSD_PS3_PT2_iSC_SC_
; %bb.0:
	s_add_u32 s8, s0, 0x90
	s_addc_u32 s9, s1, 0
	s_getpc_b64 s[0:1]
	s_add_u32 s0, s0, __PRETTY_FUNCTION__._Z38paged_attention_ll4mi_QKV_mfma4_kernelI14__hip_bfloat16hLN4vllm18Fp8KVCacheDataTypeE1EhLi32ELi64ELi256ELb1ELi3EEvPKT_PKT0_S8_ifPKiSA_SA_iPKfiiiPfSD_PS3_PT2_iSC_SC_@rel32@lo+4
	s_addc_u32 s1, s1, __PRETTY_FUNCTION__._Z38paged_attention_ll4mi_QKV_mfma4_kernelI14__hip_bfloat16hLN4vllm18Fp8KVCacheDataTypeE1EhLi32ELi64ELi256ELb1ELi3EEvPKT_PKT0_S8_ifPKiSA_SA_iPKfiiiPfSD_PS3_PT2_iSC_SC_@rel32@hi+12
	s_delay_alu instid0(SALU_CYCLE_1) | instskip(SKIP_4) | instid1(SALU_CYCLE_1)
	v_dual_mov_b32 v0, s0 :: v_dual_mov_b32 v1, s1
	s_mov_b32 s32, 0
	s_getpc_b64 s[2:3]
	s_add_u32 s2, s2, __assert_fail@rel32@lo+4
	s_addc_u32 s3, s3, __assert_fail@rel32@hi+12
	s_swappc_b64 s[30:31], s[2:3]
	.section	.rodata,"a",@progbits
	.p2align	6, 0x0
	.amdhsa_kernel _Z38paged_attention_ll4mi_QKV_mfma4_kernelI14__hip_bfloat16hLN4vllm18Fp8KVCacheDataTypeE1EhLi32ELi64ELi256ELb1ELi3EEvPKT_PKT0_S8_ifPKiSA_SA_iPKfiiiPfSD_PS3_PT2_iSC_SC_
		.amdhsa_group_segment_fixed_size 0
		.amdhsa_private_segment_fixed_size 64
		.amdhsa_kernarg_size 400
		.amdhsa_user_sgpr_count 15
		.amdhsa_user_sgpr_dispatch_ptr 0
		.amdhsa_user_sgpr_queue_ptr 0
		.amdhsa_user_sgpr_kernarg_segment_ptr 1
		.amdhsa_user_sgpr_dispatch_id 0
		.amdhsa_user_sgpr_private_segment_size 0
		.amdhsa_wavefront_size32 1
		.amdhsa_uses_dynamic_stack 0
		.amdhsa_enable_private_segment 1
		.amdhsa_system_sgpr_workgroup_id_x 1
		.amdhsa_system_sgpr_workgroup_id_y 0
		.amdhsa_system_sgpr_workgroup_id_z 0
		.amdhsa_system_sgpr_workgroup_info 0
		.amdhsa_system_vgpr_workitem_id 0
		.amdhsa_next_free_vgpr 41
		.amdhsa_next_free_sgpr 34
		.amdhsa_reserve_vcc 1
		.amdhsa_float_round_mode_32 0
		.amdhsa_float_round_mode_16_64 0
		.amdhsa_float_denorm_mode_32 3
		.amdhsa_float_denorm_mode_16_64 3
		.amdhsa_dx10_clamp 1
		.amdhsa_ieee_mode 1
		.amdhsa_fp16_overflow 0
		.amdhsa_workgroup_processor_mode 1
		.amdhsa_memory_ordered 1
		.amdhsa_forward_progress 0
		.amdhsa_shared_vgpr_count 0
		.amdhsa_exception_fp_ieee_invalid_op 0
		.amdhsa_exception_fp_denorm_src 0
		.amdhsa_exception_fp_ieee_div_zero 0
		.amdhsa_exception_fp_ieee_overflow 0
		.amdhsa_exception_fp_ieee_underflow 0
		.amdhsa_exception_fp_ieee_inexact 0
		.amdhsa_exception_int_div_zero 0
	.end_amdhsa_kernel
	.section	.text._Z38paged_attention_ll4mi_QKV_mfma4_kernelI14__hip_bfloat16hLN4vllm18Fp8KVCacheDataTypeE1EhLi32ELi64ELi256ELb1ELi3EEvPKT_PKT0_S8_ifPKiSA_SA_iPKfiiiPfSD_PS3_PT2_iSC_SC_,"axG",@progbits,_Z38paged_attention_ll4mi_QKV_mfma4_kernelI14__hip_bfloat16hLN4vllm18Fp8KVCacheDataTypeE1EhLi32ELi64ELi256ELb1ELi3EEvPKT_PKT0_S8_ifPKiSA_SA_iPKfiiiPfSD_PS3_PT2_iSC_SC_,comdat
.Lfunc_end1428:
	.size	_Z38paged_attention_ll4mi_QKV_mfma4_kernelI14__hip_bfloat16hLN4vllm18Fp8KVCacheDataTypeE1EhLi32ELi64ELi256ELb1ELi3EEvPKT_PKT0_S8_ifPKiSA_SA_iPKfiiiPfSD_PS3_PT2_iSC_SC_, .Lfunc_end1428-_Z38paged_attention_ll4mi_QKV_mfma4_kernelI14__hip_bfloat16hLN4vllm18Fp8KVCacheDataTypeE1EhLi32ELi64ELi256ELb1ELi3EEvPKT_PKT0_S8_ifPKiSA_SA_iPKfiiiPfSD_PS3_PT2_iSC_SC_
                                        ; -- End function
	.section	.AMDGPU.csdata,"",@progbits
; Kernel info:
; codeLenInByte = 72
; NumSgprs: 36
; NumVgprs: 41
; ScratchSize: 64
; MemoryBound: 0
; FloatMode: 240
; IeeeMode: 1
; LDSByteSize: 0 bytes/workgroup (compile time only)
; SGPRBlocks: 4
; VGPRBlocks: 5
; NumSGPRsForWavesPerEU: 36
; NumVGPRsForWavesPerEU: 41
; Occupancy: 16
; WaveLimiterHint : 1
; COMPUTE_PGM_RSRC2:SCRATCH_EN: 1
; COMPUTE_PGM_RSRC2:USER_SGPR: 15
; COMPUTE_PGM_RSRC2:TRAP_HANDLER: 0
; COMPUTE_PGM_RSRC2:TGID_X_EN: 1
; COMPUTE_PGM_RSRC2:TGID_Y_EN: 0
; COMPUTE_PGM_RSRC2:TGID_Z_EN: 0
; COMPUTE_PGM_RSRC2:TIDIG_COMP_CNT: 0
	.section	.text._Z38paged_attention_ll4mi_QKV_mfma4_kernelI14__hip_bfloat16hLN4vllm18Fp8KVCacheDataTypeE1EhLi32ELi64ELi256ELb1ELi4EEvPKT_PKT0_S8_ifPKiSA_SA_iPKfiiiPfSD_PS3_PT2_iSC_SC_,"axG",@progbits,_Z38paged_attention_ll4mi_QKV_mfma4_kernelI14__hip_bfloat16hLN4vllm18Fp8KVCacheDataTypeE1EhLi32ELi64ELi256ELb1ELi4EEvPKT_PKT0_S8_ifPKiSA_SA_iPKfiiiPfSD_PS3_PT2_iSC_SC_,comdat
	.protected	_Z38paged_attention_ll4mi_QKV_mfma4_kernelI14__hip_bfloat16hLN4vllm18Fp8KVCacheDataTypeE1EhLi32ELi64ELi256ELb1ELi4EEvPKT_PKT0_S8_ifPKiSA_SA_iPKfiiiPfSD_PS3_PT2_iSC_SC_ ; -- Begin function _Z38paged_attention_ll4mi_QKV_mfma4_kernelI14__hip_bfloat16hLN4vllm18Fp8KVCacheDataTypeE1EhLi32ELi64ELi256ELb1ELi4EEvPKT_PKT0_S8_ifPKiSA_SA_iPKfiiiPfSD_PS3_PT2_iSC_SC_
	.globl	_Z38paged_attention_ll4mi_QKV_mfma4_kernelI14__hip_bfloat16hLN4vllm18Fp8KVCacheDataTypeE1EhLi32ELi64ELi256ELb1ELi4EEvPKT_PKT0_S8_ifPKiSA_SA_iPKfiiiPfSD_PS3_PT2_iSC_SC_
	.p2align	8
	.type	_Z38paged_attention_ll4mi_QKV_mfma4_kernelI14__hip_bfloat16hLN4vllm18Fp8KVCacheDataTypeE1EhLi32ELi64ELi256ELb1ELi4EEvPKT_PKT0_S8_ifPKiSA_SA_iPKfiiiPfSD_PS3_PT2_iSC_SC_,@function
_Z38paged_attention_ll4mi_QKV_mfma4_kernelI14__hip_bfloat16hLN4vllm18Fp8KVCacheDataTypeE1EhLi32ELi64ELi256ELb1ELi4EEvPKT_PKT0_S8_ifPKiSA_SA_iPKfiiiPfSD_PS3_PT2_iSC_SC_: ; @_Z38paged_attention_ll4mi_QKV_mfma4_kernelI14__hip_bfloat16hLN4vllm18Fp8KVCacheDataTypeE1EhLi32ELi64ELi256ELb1ELi4EEvPKT_PKT0_S8_ifPKiSA_SA_iPKfiiiPfSD_PS3_PT2_iSC_SC_
; %bb.0:
	s_add_u32 s8, s0, 0x90
	s_addc_u32 s9, s1, 0
	s_getpc_b64 s[0:1]
	s_add_u32 s0, s0, __PRETTY_FUNCTION__._Z38paged_attention_ll4mi_QKV_mfma4_kernelI14__hip_bfloat16hLN4vllm18Fp8KVCacheDataTypeE1EhLi32ELi64ELi256ELb1ELi4EEvPKT_PKT0_S8_ifPKiSA_SA_iPKfiiiPfSD_PS3_PT2_iSC_SC_@rel32@lo+4
	s_addc_u32 s1, s1, __PRETTY_FUNCTION__._Z38paged_attention_ll4mi_QKV_mfma4_kernelI14__hip_bfloat16hLN4vllm18Fp8KVCacheDataTypeE1EhLi32ELi64ELi256ELb1ELi4EEvPKT_PKT0_S8_ifPKiSA_SA_iPKfiiiPfSD_PS3_PT2_iSC_SC_@rel32@hi+12
	s_delay_alu instid0(SALU_CYCLE_1) | instskip(SKIP_4) | instid1(SALU_CYCLE_1)
	v_dual_mov_b32 v0, s0 :: v_dual_mov_b32 v1, s1
	s_mov_b32 s32, 0
	s_getpc_b64 s[2:3]
	s_add_u32 s2, s2, __assert_fail@rel32@lo+4
	s_addc_u32 s3, s3, __assert_fail@rel32@hi+12
	s_swappc_b64 s[30:31], s[2:3]
	.section	.rodata,"a",@progbits
	.p2align	6, 0x0
	.amdhsa_kernel _Z38paged_attention_ll4mi_QKV_mfma4_kernelI14__hip_bfloat16hLN4vllm18Fp8KVCacheDataTypeE1EhLi32ELi64ELi256ELb1ELi4EEvPKT_PKT0_S8_ifPKiSA_SA_iPKfiiiPfSD_PS3_PT2_iSC_SC_
		.amdhsa_group_segment_fixed_size 0
		.amdhsa_private_segment_fixed_size 64
		.amdhsa_kernarg_size 400
		.amdhsa_user_sgpr_count 15
		.amdhsa_user_sgpr_dispatch_ptr 0
		.amdhsa_user_sgpr_queue_ptr 0
		.amdhsa_user_sgpr_kernarg_segment_ptr 1
		.amdhsa_user_sgpr_dispatch_id 0
		.amdhsa_user_sgpr_private_segment_size 0
		.amdhsa_wavefront_size32 1
		.amdhsa_uses_dynamic_stack 0
		.amdhsa_enable_private_segment 1
		.amdhsa_system_sgpr_workgroup_id_x 1
		.amdhsa_system_sgpr_workgroup_id_y 0
		.amdhsa_system_sgpr_workgroup_id_z 0
		.amdhsa_system_sgpr_workgroup_info 0
		.amdhsa_system_vgpr_workitem_id 0
		.amdhsa_next_free_vgpr 41
		.amdhsa_next_free_sgpr 34
		.amdhsa_reserve_vcc 1
		.amdhsa_float_round_mode_32 0
		.amdhsa_float_round_mode_16_64 0
		.amdhsa_float_denorm_mode_32 3
		.amdhsa_float_denorm_mode_16_64 3
		.amdhsa_dx10_clamp 1
		.amdhsa_ieee_mode 1
		.amdhsa_fp16_overflow 0
		.amdhsa_workgroup_processor_mode 1
		.amdhsa_memory_ordered 1
		.amdhsa_forward_progress 0
		.amdhsa_shared_vgpr_count 0
		.amdhsa_exception_fp_ieee_invalid_op 0
		.amdhsa_exception_fp_denorm_src 0
		.amdhsa_exception_fp_ieee_div_zero 0
		.amdhsa_exception_fp_ieee_overflow 0
		.amdhsa_exception_fp_ieee_underflow 0
		.amdhsa_exception_fp_ieee_inexact 0
		.amdhsa_exception_int_div_zero 0
	.end_amdhsa_kernel
	.section	.text._Z38paged_attention_ll4mi_QKV_mfma4_kernelI14__hip_bfloat16hLN4vllm18Fp8KVCacheDataTypeE1EhLi32ELi64ELi256ELb1ELi4EEvPKT_PKT0_S8_ifPKiSA_SA_iPKfiiiPfSD_PS3_PT2_iSC_SC_,"axG",@progbits,_Z38paged_attention_ll4mi_QKV_mfma4_kernelI14__hip_bfloat16hLN4vllm18Fp8KVCacheDataTypeE1EhLi32ELi64ELi256ELb1ELi4EEvPKT_PKT0_S8_ifPKiSA_SA_iPKfiiiPfSD_PS3_PT2_iSC_SC_,comdat
.Lfunc_end1429:
	.size	_Z38paged_attention_ll4mi_QKV_mfma4_kernelI14__hip_bfloat16hLN4vllm18Fp8KVCacheDataTypeE1EhLi32ELi64ELi256ELb1ELi4EEvPKT_PKT0_S8_ifPKiSA_SA_iPKfiiiPfSD_PS3_PT2_iSC_SC_, .Lfunc_end1429-_Z38paged_attention_ll4mi_QKV_mfma4_kernelI14__hip_bfloat16hLN4vllm18Fp8KVCacheDataTypeE1EhLi32ELi64ELi256ELb1ELi4EEvPKT_PKT0_S8_ifPKiSA_SA_iPKfiiiPfSD_PS3_PT2_iSC_SC_
                                        ; -- End function
	.section	.AMDGPU.csdata,"",@progbits
; Kernel info:
; codeLenInByte = 72
; NumSgprs: 36
; NumVgprs: 41
; ScratchSize: 64
; MemoryBound: 0
; FloatMode: 240
; IeeeMode: 1
; LDSByteSize: 0 bytes/workgroup (compile time only)
; SGPRBlocks: 4
; VGPRBlocks: 5
; NumSGPRsForWavesPerEU: 36
; NumVGPRsForWavesPerEU: 41
; Occupancy: 16
; WaveLimiterHint : 1
; COMPUTE_PGM_RSRC2:SCRATCH_EN: 1
; COMPUTE_PGM_RSRC2:USER_SGPR: 15
; COMPUTE_PGM_RSRC2:TRAP_HANDLER: 0
; COMPUTE_PGM_RSRC2:TGID_X_EN: 1
; COMPUTE_PGM_RSRC2:TGID_Y_EN: 0
; COMPUTE_PGM_RSRC2:TGID_Z_EN: 0
; COMPUTE_PGM_RSRC2:TIDIG_COMP_CNT: 0
	.section	.text._Z39paged_attention_ll4mi_QKV_mfma16_kernelI14__hip_bfloat16hLN4vllm18Fp8KVCacheDataTypeE1EhLi32ELi64ELi256ELb1ELi5EL8MFMAType1EEvPKT_PKT0_S9_ifPKiSB_SB_iPKfiiiPfSE_PS4_PT2_iSD_SD_,"axG",@progbits,_Z39paged_attention_ll4mi_QKV_mfma16_kernelI14__hip_bfloat16hLN4vllm18Fp8KVCacheDataTypeE1EhLi32ELi64ELi256ELb1ELi5EL8MFMAType1EEvPKT_PKT0_S9_ifPKiSB_SB_iPKfiiiPfSE_PS4_PT2_iSD_SD_,comdat
	.protected	_Z39paged_attention_ll4mi_QKV_mfma16_kernelI14__hip_bfloat16hLN4vllm18Fp8KVCacheDataTypeE1EhLi32ELi64ELi256ELb1ELi5EL8MFMAType1EEvPKT_PKT0_S9_ifPKiSB_SB_iPKfiiiPfSE_PS4_PT2_iSD_SD_ ; -- Begin function _Z39paged_attention_ll4mi_QKV_mfma16_kernelI14__hip_bfloat16hLN4vllm18Fp8KVCacheDataTypeE1EhLi32ELi64ELi256ELb1ELi5EL8MFMAType1EEvPKT_PKT0_S9_ifPKiSB_SB_iPKfiiiPfSE_PS4_PT2_iSD_SD_
	.globl	_Z39paged_attention_ll4mi_QKV_mfma16_kernelI14__hip_bfloat16hLN4vllm18Fp8KVCacheDataTypeE1EhLi32ELi64ELi256ELb1ELi5EL8MFMAType1EEvPKT_PKT0_S9_ifPKiSB_SB_iPKfiiiPfSE_PS4_PT2_iSD_SD_
	.p2align	8
	.type	_Z39paged_attention_ll4mi_QKV_mfma16_kernelI14__hip_bfloat16hLN4vllm18Fp8KVCacheDataTypeE1EhLi32ELi64ELi256ELb1ELi5EL8MFMAType1EEvPKT_PKT0_S9_ifPKiSB_SB_iPKfiiiPfSE_PS4_PT2_iSD_SD_,@function
_Z39paged_attention_ll4mi_QKV_mfma16_kernelI14__hip_bfloat16hLN4vllm18Fp8KVCacheDataTypeE1EhLi32ELi64ELi256ELb1ELi5EL8MFMAType1EEvPKT_PKT0_S9_ifPKiSB_SB_iPKfiiiPfSE_PS4_PT2_iSD_SD_: ; @_Z39paged_attention_ll4mi_QKV_mfma16_kernelI14__hip_bfloat16hLN4vllm18Fp8KVCacheDataTypeE1EhLi32ELi64ELi256ELb1ELi5EL8MFMAType1EEvPKT_PKT0_S9_ifPKiSB_SB_iPKfiiiPfSE_PS4_PT2_iSD_SD_
; %bb.0:
	s_load_b64 s[2:3], s[0:1], 0x30
	s_mov_b32 s34, s13
	s_waitcnt lgkmcnt(0)
	s_cmp_lg_u64 s[2:3], 0
	s_cselect_b32 s8, -1, 0
	s_ashr_i32 s35, s13, 31
	s_cmp_eq_u64 s[2:3], 0
	s_cbranch_scc1 .LBB1430_3
; %bb.1:
	s_lshl_b64 s[4:5], s[34:35], 2
	s_delay_alu instid0(SALU_CYCLE_1) | instskip(SKIP_4) | instid1(SALU_CYCLE_1)
	s_add_u32 s4, s2, s4
	s_addc_u32 s5, s3, s5
	s_load_b64 s[4:5], s[4:5], 0x0
	s_waitcnt lgkmcnt(0)
	s_sub_i32 s4, s5, s4
	s_cmp_eq_u32 s4, 1
	s_cselect_b32 s4, -1, 0
	s_delay_alu instid0(SALU_CYCLE_1)
	s_and_not1_b32 vcc_lo, exec_lo, s4
	s_cbranch_vccz .LBB1430_4
.LBB1430_2:
	s_nop 0
	s_sendmsg sendmsg(MSG_DEALLOC_VGPRS)
	s_endpgm
.LBB1430_3:
.LBB1430_4:
	s_load_b64 s[4:5], s[0:1], 0x28
	s_lshl_b64 s[6:7], s[34:35], 2
	s_waitcnt lgkmcnt(0)
	s_add_u32 s4, s4, s6
	s_addc_u32 s5, s5, s7
	s_lshl_b32 s12, s14, 8
	s_load_b32 s24, s[4:5], 0x0
	s_waitcnt lgkmcnt(0)
	s_cmp_ge_i32 s12, s24
	s_cbranch_scc1 .LBB1430_2
; %bb.5:
	s_clause 0x1
	s_load_b128 s[20:23], s[0:1], 0x8
	s_load_b64 s[4:5], s[0:1], 0x20
	s_and_not1_b32 vcc_lo, exec_lo, s8
	s_cbranch_vccnz .LBB1430_7
; %bb.6:
	s_add_u32 s2, s2, s6
	s_addc_u32 s3, s3, s7
	s_load_b32 s3, s[2:3], 0x0
	s_branch .LBB1430_8
.LBB1430_7:
	s_mov_b32 s3, s34
.LBB1430_8:
	s_load_b128 s[16:19], s[0:1], 0x48
	v_lshrrev_b32_e32 v66, 5, v0
	v_bfe_u32 v74, v0, 4, 1
	v_and_b32_e32 v65, 15, v0
	v_and_b32_e32 v67, 31, v0
	;; [unrolled: 1-line block ×3, first 2 shown]
	s_mul_i32 s31, s15, 5
	v_lshl_or_b32 v1, v66, 1, v74
	v_lshlrev_b32_e32 v2, 3, v65
	v_cmp_gt_u32_e64 s2, 8, v65
	s_delay_alu instid0(VALU_DEP_3) | instskip(NEXT) | instid1(VALU_DEP_3)
	v_cmp_gt_u32_e32 vcc_lo, 5, v1
	v_lshlrev_b32_e32 v73, 1, v2
	s_delay_alu instid0(VALU_DEP_3) | instskip(NEXT) | instid1(SALU_CYCLE_1)
	s_and_b32 s7, s2, vcc_lo
	s_and_saveexec_b32 s6, s7
	s_cbranch_execz .LBB1430_10
; %bb.9:
	s_load_b64 s[8:9], s[0:1], 0x0
	v_add_lshl_u32 v2, v1, s31, 6
	s_waitcnt lgkmcnt(0)
	s_mul_hi_i32 s11, s3, s16
	s_mul_i32 s10, s3, s16
	v_lshlrev_b32_e32 v6, 10, v65
	s_lshl_b64 s[10:11], s[10:11], 1
	v_ashrrev_i32_e32 v3, 31, v2
	v_lshlrev_b32_e32 v1, 6, v1
	v_lshlrev_b32_e32 v7, 10, v75
	v_and_b32_e32 v6, 0x3800, v6
	s_delay_alu instid0(VALU_DEP_4) | instskip(NEXT) | instid1(VALU_DEP_2)
	v_lshlrev_b64 v[2:3], 1, v[2:3]
	v_or3_b32 v1, v6, v7, v1
	s_add_u32 s3, s8, s10
	s_addc_u32 s7, s9, s11
	s_delay_alu instid0(VALU_DEP_2) | instskip(NEXT) | instid1(VALU_DEP_3)
	v_add_co_u32 v2, vcc_lo, s3, v2
	v_add_co_ci_u32_e32 v3, vcc_lo, s7, v3, vcc_lo
	s_delay_alu instid0(VALU_DEP_2) | instskip(NEXT) | instid1(VALU_DEP_2)
	v_add_co_u32 v2, vcc_lo, v2, v73
	v_add_co_ci_u32_e32 v3, vcc_lo, 0, v3, vcc_lo
	global_load_b128 v[2:5], v[2:3], off
	s_waitcnt vmcnt(0)
	ds_store_b128 v1, v[2:5]
.LBB1430_10:
	s_or_b32 exec_lo, exec_lo, s6
	v_and_b32_e32 v1, 0xef, v0
	s_waitcnt lgkmcnt(0)
	s_add_i32 s3, s24, 31
	s_clause 0x1
	s_load_b32 s6, s[0:1], 0x38
	s_load_b32 s19, s[0:1], 0x1c
	s_ashr_i32 s7, s3, 31
	v_add_nc_u32_e32 v1, s12, v1
	s_lshr_b32 s7, s7, 27
	s_waitcnt lgkmcnt(0)
	s_add_i32 s3, s3, s7
	s_barrier
	v_ashrrev_i32_e32 v2, 31, v1
	v_or_b32_e32 v3, 16, v1
	s_ashr_i32 s3, s3, 5
	v_cmp_gt_i32_e32 vcc_lo, s24, v1
	s_add_i32 s3, s3, -1
	v_lshrrev_b32_e32 v2, 27, v2
	buffer_gl0_inv
	s_mul_i32 s27, s15, s18
	v_add_nc_u32_e32 v4, v1, v2
	s_mul_i32 s6, s34, s6
	s_delay_alu instid0(SALU_CYCLE_1) | instskip(NEXT) | instid1(VALU_DEP_1)
	s_ashr_i32 s7, s6, 31
	v_ashrrev_i32_e32 v4, 5, v4
	v_add_nc_u32_e32 v2, v3, v2
	s_lshl_b64 s[6:7], s[6:7], 2
	s_delay_alu instid0(SALU_CYCLE_1) | instskip(NEXT) | instid1(VALU_DEP_2)
	s_add_u32 s26, s4, s6
	v_cndmask_b32_e32 v1, s3, v4, vcc_lo
	s_delay_alu instid0(VALU_DEP_2)
	v_ashrrev_i32_e32 v2, 5, v2
	v_cmp_gt_i32_e32 vcc_lo, s24, v3
	s_addc_u32 s25, s5, s7
	s_ashr_i32 s28, s27, 31
	s_add_u32 s4, s20, s27
	s_addc_u32 s5, s21, s28
	v_cndmask_b32_e32 v3, s3, v2, vcc_lo
	v_ashrrev_i32_e32 v2, 31, v1
	s_lshl_b32 s6, s14, 3
	s_delay_alu instid0(SALU_CYCLE_1) | instskip(NEXT) | instid1(VALU_DEP_2)
	s_ashr_i32 s7, s6, 31
	v_ashrrev_i32_e32 v4, 31, v3
	s_delay_alu instid0(VALU_DEP_2) | instskip(SKIP_1) | instid1(SALU_CYCLE_1)
	v_lshlrev_b64 v[1:2], 2, v[1:2]
	s_lshl_b64 s[6:7], s[6:7], 2
	s_add_u32 s6, s26, s6
	s_delay_alu instid0(VALU_DEP_2) | instskip(SKIP_1) | instid1(VALU_DEP_2)
	v_lshlrev_b64 v[3:4], 2, v[3:4]
	s_addc_u32 s7, s25, s7
	v_add_co_u32 v1, vcc_lo, s26, v1
	v_add_co_ci_u32_e32 v2, vcc_lo, s25, v2, vcc_lo
	s_delay_alu instid0(VALU_DEP_3) | instskip(NEXT) | instid1(VALU_DEP_4)
	v_add_co_u32 v3, vcc_lo, s26, v3
	v_add_co_ci_u32_e32 v4, vcc_lo, s25, v4, vcc_lo
	s_clause 0x1
	global_load_b32 v5, v[1:2], off
	global_load_b32 v6, v[3:4], off
	s_or_b32 s8, s12, 32
	s_delay_alu instid0(SALU_CYCLE_1) | instskip(SKIP_2) | instid1(SALU_CYCLE_1)
	s_ashr_i32 s9, s8, 5
	s_cmp_lt_i32 s8, s24
	s_cselect_b32 s8, s9, s3
	s_ashr_i32 s9, s8, 31
	s_delay_alu instid0(SALU_CYCLE_1) | instskip(NEXT) | instid1(SALU_CYCLE_1)
	s_lshl_b64 s[8:9], s[8:9], 2
	s_add_u32 s8, s26, s8
	s_addc_u32 s9, s25, s9
	s_or_b32 s10, s12, 64
	s_delay_alu instid0(SALU_CYCLE_1) | instskip(SKIP_2) | instid1(SALU_CYCLE_1)
	s_ashr_i32 s11, s10, 5
	s_cmp_lt_i32 s10, s24
	s_cselect_b32 s10, s11, s3
	s_ashr_i32 s11, s10, 31
	s_delay_alu instid0(SALU_CYCLE_1) | instskip(NEXT) | instid1(SALU_CYCLE_1)
	s_lshl_b64 s[10:11], s[10:11], 2
	s_add_u32 s10, s26, s10
	s_addc_u32 s11, s25, s11
	;; [unrolled: 10-line block ×5, first 2 shown]
	s_clause 0x5
	s_load_b32 s21, s[6:7], 0x0
	s_load_b32 s13, s[8:9], 0x0
	;; [unrolled: 1-line block ×6, first 2 shown]
	s_or_b32 s9, s12, 0xc0
	s_delay_alu instid0(SALU_CYCLE_1) | instskip(SKIP_2) | instid1(SALU_CYCLE_1)
	s_ashr_i32 s10, s9, 5
	s_cmp_lt_i32 s9, s24
	s_cselect_b32 s36, s10, s3
	s_ashr_i32 s37, s36, 31
	s_delay_alu instid0(SALU_CYCLE_1) | instskip(NEXT) | instid1(SALU_CYCLE_1)
	s_lshl_b64 s[36:37], s[36:37], 2
	s_add_u32 s36, s26, s36
	s_addc_u32 s37, s25, s37
	s_or_b32 s29, s12, 0xe0
	s_delay_alu instid0(SALU_CYCLE_1)
	s_ashr_i32 s30, s29, 5
	s_cmp_lt_i32 s29, s24
	s_waitcnt vmcnt(1)
	v_mad_i64_i32 v[1:2], null, v5, s17, s[4:5]
	s_waitcnt vmcnt(0)
	v_mad_i64_i32 v[3:4], null, v6, s17, s[4:5]
	s_mov_b32 s4, 0
	s_delay_alu instid0(SALU_CYCLE_1)
	s_mov_b32 s5, s4
	s_mov_b32 s6, s4
	;; [unrolled: 1-line block ×7, first 2 shown]
	v_lshlrev_b32_e32 v5, 4, v65
	v_dual_mov_b32 v107, s11 :: v_dual_mov_b32 v102, s6
	v_mov_b32_e32 v106, s10
	v_mov_b32_e32 v104, s8
	s_delay_alu instid0(VALU_DEP_4)
	v_add_co_u32 v1, vcc_lo, v1, v5
	v_add_co_ci_u32_e32 v2, vcc_lo, 0, v2, vcc_lo
	v_add_co_u32 v3, vcc_lo, v3, v5
	v_add_co_ci_u32_e32 v4, vcc_lo, 0, v4, vcc_lo
	s_clause 0x7
	global_load_b128 v[49:52], v[1:2], off
	global_load_b128 v[53:56], v[1:2], off offset:512
	global_load_b128 v[76:79], v[3:4], off offset:256
	;; [unrolled: 1-line block ×7, first 2 shown]
	v_mul_lo_u16 v1, v65, 52
	v_mov_b32_e32 v103, s7
	v_dual_mov_b32 v101, s5 :: v_dual_lshlrev_b32 v2, 5, v65
	v_mov_b32_e32 v100, s4
	s_delay_alu instid0(VALU_DEP_4) | instskip(NEXT) | instid1(VALU_DEP_3)
	v_lshrrev_b16 v1, 8, v1
	v_lshl_or_b32 v2, v66, 9, v2
	s_delay_alu instid0(VALU_DEP_2) | instskip(NEXT) | instid1(VALU_DEP_1)
	v_mul_lo_u16 v1, v1, 5
	v_sub_nc_u16 v1, v65, v1
	s_delay_alu instid0(VALU_DEP_1)
	v_and_b32_e32 v1, 0xff, v1
	v_mov_b32_e32 v105, s9
	s_cselect_b32 s4, s30, s3
	s_load_b32 s3, s[36:37], 0x0
	s_ashr_i32 s5, s4, 31
	v_lshlrev_b32_e32 v70, 6, v1
	s_lshl_b64 s[4:5], s[4:5], 2
	ds_load_b128 v[108:111], v70
	ds_load_b128 v[112:115], v70 offset:1024
	s_add_u32 s4, s26, s4
	s_addc_u32 s5, s25, s5
	s_add_u32 s6, s22, s27
	s_load_b32 s4, s[4:5], 0x0
	s_addc_u32 s7, s23, s28
	v_add_co_u32 v9, s6, s6, v2
	s_delay_alu instid0(VALU_DEP_1) | instskip(SKIP_1) | instid1(VALU_DEP_1)
	v_add_co_ci_u32_e64 v10, null, s7, 0, s6
	s_waitcnt lgkmcnt(0)
	v_mad_i64_i32 v[1:2], null, s21, s17, v[9:10]
	v_mad_i64_i32 v[3:4], null, s13, s17, v[9:10]
	;; [unrolled: 1-line block ×7, first 2 shown]
	s_clause 0x9
	global_load_b128 v[57:60], v[1:2], off
	global_load_b128 v[61:64], v[1:2], off offset:16
	global_load_b128 v[41:44], v[3:4], off
	global_load_b128 v[45:48], v[3:4], off offset:16
	global_load_b128 v[33:36], v[5:6], off
	global_load_b128 v[37:40], v[5:6], off offset:16
	global_load_b128 v[25:28], v[7:8], off
	global_load_b128 v[29:32], v[7:8], off offset:16
	global_load_b128 v[1:4], v[11:12], off
	global_load_b128 v[5:8], v[11:12], off offset:16
	v_mad_i64_i32 v[68:69], null, s4, s17, v[9:10]
	s_clause 0x3
	global_load_b128 v[9:12], v[13:14], off
	global_load_b128 v[13:16], v[13:14], off offset:16
	global_load_b128 v[17:20], v[21:22], off
	global_load_b128 v[21:24], v[21:22], off offset:16
	s_waitcnt vmcnt(20)
	v_wmma_f32_16x16x16_bf16 v[116:123], v[49:56], v[108:115], v[100:107]
	s_clause 0x1
	global_load_b128 v[49:52], v[68:69], off
	global_load_b128 v[53:56], v[68:69], off offset:16
	v_and_b32_e32 v68, 0xe0, v0
	v_mbcnt_lo_u32_b32 v69, -1, 0
	s_delay_alu instid0(VALU_DEP_2)
	v_add_nc_u32_e32 v68, s12, v68
	s_waitcnt vmcnt(20)
	v_wmma_f32_16x16x16_bf16 v[100:107], v[76:83], v[108:115], v[100:107]
	ds_load_b128 v[76:79], v70 offset:2048
	ds_load_b128 v[80:83], v70 offset:3072
	v_xor_b32_e32 v70, 16, v69
	s_waitcnt vmcnt(0) lgkmcnt(0)
	v_or_b32_e32 v68, v68, v74
	s_barrier
	buffer_gl0_inv
	v_cmp_gt_i32_e32 vcc_lo, 32, v70
	v_or_b32_e32 v71, 4, v68
	v_or_b32_e32 v72, 6, v68
	v_cmp_gt_i32_e64 s3, s24, v68
	v_or_b32_e32 v108, 8, v68
	v_or_b32_e32 v109, 10, v68
	v_cmp_gt_i32_e64 s4, s24, v71
	v_cmp_gt_i32_e64 s5, s24, v72
	s_delay_alu instid0(VALU_DEP_4) | instskip(NEXT) | instid1(VALU_DEP_4)
	v_cmp_gt_i32_e64 s6, s24, v108
	v_cmp_gt_i32_e64 s7, s24, v109
	v_wmma_f32_16x16x16_bf16 v[116:123], v[84:91], v[76:83], v[116:123]
	v_cndmask_b32_e32 v69, v69, v70, vcc_lo
	v_or_b32_e32 v70, 2, v68
	v_wmma_f32_16x16x16_bf16 v[100:107], v[92:99], v[76:83], v[100:107]
	v_or_b32_e32 v84, 12, v68
	v_dual_mul_f32 v78, s19, v123 :: v_dual_mul_f32 v83, s19, v118
	v_dual_mul_f32 v92, s19, v117 :: v_dual_mul_f32 v93, s19, v116
	s_delay_alu instid0(VALU_DEP_4) | instskip(SKIP_2) | instid1(VALU_DEP_4)
	v_mul_f32_e32 v94, s19, v107
	v_cmp_gt_i32_e32 vcc_lo, s24, v70
	v_dual_mul_f32 v81, s19, v120 :: v_dual_mul_f32 v82, s19, v119
	v_cndmask_b32_e64 v93, 0xff7fffff, v93, s3
	v_or_b32_e32 v85, 14, v68
	v_cndmask_b32_e32 v92, 0xff7fffff, v92, vcc_lo
	v_dual_mul_f32 v79, s19, v122 :: v_dual_mul_f32 v80, s19, v121
	v_cndmask_b32_e64 v71, 0xff7fffff, v83, s4
	v_cndmask_b32_e64 v72, 0xff7fffff, v82, s5
	s_delay_alu instid0(VALU_DEP_4)
	v_max3_f32 v82, v93, 0xff7fffff, v92
	v_or_b32_e32 v86, 16, v68
	v_or_b32_e32 v87, 18, v68
	v_cndmask_b32_e64 v81, 0xff7fffff, v81, s6
	v_cndmask_b32_e64 v80, 0xff7fffff, v80, s7
	v_max3_f32 v71, v82, v71, v72
	v_cmp_gt_i32_e64 s8, s24, v84
	v_cmp_gt_i32_e64 s9, s24, v85
	v_or_b32_e32 v88, 20, v68
	v_or_b32_e32 v89, 22, v68
	;; [unrolled: 1-line block ×6, first 2 shown]
	v_dual_mul_f32 v99, s19, v102 :: v_dual_mul_f32 v70, s19, v101
	v_mul_f32_e32 v68, s19, v100
	v_cndmask_b32_e64 v72, 0xff7fffff, v79, s8
	v_cndmask_b32_e64 v78, 0xff7fffff, v78, s9
	v_max3_f32 v71, v71, v81, v80
	v_cmp_gt_i32_e64 s10, s24, v86
	v_cmp_gt_i32_e64 s11, s24, v87
	v_dual_mul_f32 v97, s19, v104 :: v_dual_mul_f32 v98, s19, v103
	s_delay_alu instid0(VALU_DEP_4) | instskip(SKIP_1) | instid1(VALU_DEP_4)
	v_max3_f32 v71, v71, v72, v78
	v_cmp_gt_i32_e64 s12, s24, v88
	v_cndmask_b32_e64 v70, 0xff7fffff, v70, s11
	v_cmp_gt_i32_e64 s13, s24, v89
	v_lshlrev_b32_e32 v89, 2, v69
	v_cndmask_b32_e64 v68, 0xff7fffff, v68, s10
	v_dual_mul_f32 v95, s19, v106 :: v_dual_mul_f32 v96, s19, v105
	v_cndmask_b32_e64 v72, 0xff7fffff, v99, s12
	v_cndmask_b32_e64 v78, 0xff7fffff, v98, s13
	s_delay_alu instid0(VALU_DEP_4)
	v_max3_f32 v68, v71, v68, v70
	v_cmp_gt_i32_e64 s15, s24, v90
	v_cmp_gt_i32_e64 s16, s24, v91
	;; [unrolled: 1-line block ×4, first 2 shown]
	v_max3_f32 v68, v68, v72, v78
	v_cndmask_b32_e64 v70, 0xff7fffff, v97, s15
	v_cndmask_b32_e64 v71, 0xff7fffff, v96, s16
	;; [unrolled: 1-line block ×4, first 2 shown]
	s_delay_alu instid0(VALU_DEP_3) | instskip(NEXT) | instid1(VALU_DEP_1)
	v_max3_f32 v68, v68, v70, v71
	v_max3_f32 v68, v68, v72, v76
	ds_bpermute_b32 v69, v89, v68
	s_waitcnt lgkmcnt(0)
	v_max_f32_e32 v69, v69, v69
	s_delay_alu instid0(VALU_DEP_1) | instskip(NEXT) | instid1(VALU_DEP_1)
	v_max_f32_e32 v68, v68, v69
	v_fma_f32 v71, s19, v118, -v68
	s_delay_alu instid0(VALU_DEP_1)
	v_mul_f32_e32 v71, 0x3fb8aa3b, v71
	v_fma_f32 v69, s19, v116, -v68
	v_fma_f32 v70, s19, v117, -v68
	;; [unrolled: 1-line block ×4, first 2 shown]
	v_exp_f32_e32 v71, v71
	s_delay_alu instid0(VALU_DEP_3) | instskip(SKIP_2) | instid1(VALU_DEP_3)
	v_dual_mul_f32 v69, 0x3fb8aa3b, v69 :: v_dual_mul_f32 v70, 0x3fb8aa3b, v70
	v_fma_f32 v78, s19, v122, -v68
	v_fma_f32 v81, s19, v105, -v68
	v_exp_f32_e32 v69, v69
	s_delay_alu instid0(VALU_DEP_3) | instskip(SKIP_1) | instid1(VALU_DEP_2)
	v_exp_f32_e32 v70, v70
	v_mul_f32_e32 v77, 0x3fb8aa3b, v76
	v_mul_f32_e32 v81, 0x3fb8aa3b, v81
	s_delay_alu instid0(TRANS32_DEP_3) | instskip(SKIP_1) | instid1(VALU_DEP_3)
	v_cndmask_b32_e64 v83, 0, v71, s4
	v_fma_f32 v71, s19, v123, -v68
	v_exp_f32_e32 v81, v81
	s_delay_alu instid0(TRANS32_DEP_3) | instskip(NEXT) | instid1(TRANS32_DEP_2)
	v_cndmask_b32_e64 v80, 0, v69, s3
	v_cndmask_b32_e32 v76, 0, v70, vcc_lo
	v_fma_f32 v69, s19, v121, -v68
	v_mul_f32_e32 v72, 0x3fb8aa3b, v72
	v_exp_f32_e32 v77, v77
	v_dual_add_f32 v70, 0, v80 :: v_dual_mul_f32 v71, 0x3fb8aa3b, v71
	s_delay_alu instid0(VALU_DEP_3) | instskip(NEXT) | instid1(VALU_DEP_3)
	v_mul_f32_e32 v69, 0x3fb8aa3b, v69
	v_exp_f32_e32 v72, v72
	v_cmp_gt_u32_e64 s3, 16, v67
	s_delay_alu instid0(VALU_DEP_3) | instskip(NEXT) | instid1(VALU_DEP_2)
	v_exp_f32_e32 v71, v71
	v_exp_f32_e32 v69, v69
	v_cndmask_b32_e64 v86, 0, v77, s6
	v_fma_f32 v77, s19, v101, -v68
	v_add_f32_e32 v70, v70, v76
	s_delay_alu instid0(TRANS32_DEP_3) | instskip(SKIP_1) | instid1(VALU_DEP_3)
	v_cndmask_b32_e64 v85, 0, v72, s5
	v_fma_f32 v72, s19, v100, -v68
	v_dual_mul_f32 v77, 0x3fb8aa3b, v77 :: v_dual_add_f32 v70, v70, v83
	s_delay_alu instid0(TRANS32_DEP_2) | instskip(SKIP_1) | instid1(TRANS32_DEP_1)
	v_cndmask_b32_e64 v88, 0, v71, s9
	v_fma_f32 v71, s19, v104, -v68
	v_cndmask_b32_e64 v87, 0, v69, s7
	s_delay_alu instid0(VALU_DEP_4) | instskip(NEXT) | instid1(VALU_DEP_2)
	v_exp_f32_e32 v77, v77
	v_dual_add_f32 v70, v70, v85 :: v_dual_mul_f32 v71, 0x3fb8aa3b, v71
	s_delay_alu instid0(VALU_DEP_1) | instskip(SKIP_2) | instid1(VALU_DEP_3)
	v_dual_mul_f32 v72, 0x3fb8aa3b, v72 :: v_dual_add_f32 v69, v70, v86
	v_mul_f32_e32 v78, 0x3fb8aa3b, v78
	v_fma_f32 v70, s19, v102, -v68
	v_exp_f32_e32 v72, v72
	v_exp_f32_e32 v82, v71
	v_add_f32_e32 v69, v69, v87
	v_exp_f32_e32 v78, v78
	v_mul_f32_e32 v70, 0x3fb8aa3b, v70
	s_delay_alu instid0(VALU_DEP_1) | instskip(SKIP_4) | instid1(VALU_DEP_2)
	v_exp_f32_e32 v79, v70
	v_cndmask_b32_e64 v70, 0, v72, s10
	s_waitcnt_depctr 0xfff
	v_cndmask_b32_e64 v84, 0, v78, s8
	v_fma_f32 v78, s19, v103, -v68
	v_add_f32_e32 v69, v69, v84
	v_cndmask_b32_e64 v71, 0, v79, s12
	s_delay_alu instid0(VALU_DEP_2) | instskip(SKIP_2) | instid1(VALU_DEP_1)
	v_add_f32_e32 v72, v69, v88
	v_cndmask_b32_e64 v69, 0, v77, s11
	v_fma_f32 v77, s19, v106, -v68
	v_dual_mul_f32 v77, 0x3fb8aa3b, v77 :: v_dual_add_f32 v72, v72, v70
	v_mul_f32_e32 v78, 0x3fb8aa3b, v78
	s_delay_alu instid0(VALU_DEP_2) | instskip(NEXT) | instid1(VALU_DEP_2)
	v_exp_f32_e32 v90, v77
	v_add_f32_e32 v79, v72, v69
	s_delay_alu instid0(VALU_DEP_2)
	v_exp_f32_e32 v78, v78
	v_cndmask_b32_e64 v77, 0, v82, s15
	s_waitcnt_depctr 0xfff
	v_cndmask_b32_e64 v72, 0, v78, s13
	v_add_f32_e32 v78, v79, v71
	v_fma_f32 v79, s19, v107, -v68
	s_delay_alu instid0(VALU_DEP_1) | instskip(SKIP_1) | instid1(VALU_DEP_2)
	v_dual_add_f32 v82, v78, v72 :: v_dual_mul_f32 v79, 0x3fb8aa3b, v79
	v_cndmask_b32_e64 v78, 0, v81, s16
	v_add_f32_e32 v81, v82, v77
	s_delay_alu instid0(VALU_DEP_3) | instskip(SKIP_1) | instid1(VALU_DEP_2)
	v_exp_f32_e32 v82, v79
	v_cndmask_b32_e64 v79, 0, v90, s17
	v_add_f32_e32 v81, v81, v78
	s_delay_alu instid0(VALU_DEP_1) | instskip(SKIP_2) | instid1(VALU_DEP_1)
	v_add_f32_e32 v90, v81, v79
	s_waitcnt_depctr 0xfff
	v_cndmask_b32_e64 v81, 0, v82, s18
	v_add_f32_e32 v82, v90, v81
	ds_bpermute_b32 v89, v89, v82
	s_and_saveexec_b32 s4, s3
	s_cbranch_execz .LBB1430_12
; %bb.11:
	v_mul_u32_u24_e32 v67, 0x44, v66
	s_delay_alu instid0(VALU_DEP_1) | instskip(SKIP_1) | instid1(VALU_DEP_1)
	v_lshl_add_u32 v67, v65, 2, v67
	s_waitcnt lgkmcnt(0)
	v_dual_add_f32 v82, v82, v89 :: v_dual_add_nc_u32 v67, 0x4000, v67
	ds_store_2addr_b32 v67, v68, v82 offset1:136
.LBB1430_12:
	s_or_b32 exec_lo, exec_lo, s4
	v_lshlrev_b32_e32 v67, 2, v65
	s_waitcnt lgkmcnt(0)
	s_barrier
	buffer_gl0_inv
	v_cmp_eq_u32_e32 vcc_lo, 1, v66
	v_add_nc_u32_e32 v82, 0x4000, v67
	v_cmp_eq_u32_e64 s4, 2, v66
	v_cmp_eq_u32_e64 s6, 7, v66
	ds_load_2addr_b32 v[89:90], v82 offset1:17
	ds_load_2addr_b32 v[91:92], v82 offset0:34 offset1:51
	ds_load_2addr_b32 v[93:94], v82 offset0:68 offset1:85
	;; [unrolled: 1-line block ×4, first 2 shown]
	s_waitcnt lgkmcnt(4)
	v_max3_f32 v67, v89, 0xff7fffff, v90
	s_waitcnt lgkmcnt(3)
	s_delay_alu instid0(VALU_DEP_1) | instskip(SKIP_1) | instid1(VALU_DEP_1)
	v_max3_f32 v67, v67, v91, v92
	s_waitcnt lgkmcnt(2)
	v_max3_f32 v67, v67, v93, v94
	s_waitcnt lgkmcnt(1)
	s_delay_alu instid0(VALU_DEP_1) | instskip(NEXT) | instid1(VALU_DEP_1)
	v_max3_f32 v67, v67, v95, v96
	v_sub_f32_e32 v93, v93, v67
	s_delay_alu instid0(VALU_DEP_1) | instskip(NEXT) | instid1(VALU_DEP_1)
	v_dual_sub_f32 v68, v89, v67 :: v_dual_mul_f32 v103, 0x3fb8aa3b, v93
	v_mul_f32_e32 v68, 0x3fb8aa3b, v68
	s_delay_alu instid0(VALU_DEP_1)
	v_exp_f32_e32 v100, v68
	v_sub_f32_e32 v68, v92, v67
	v_sub_f32_e32 v99, v90, v67
	ds_load_2addr_b32 v[89:90], v82 offset0:170 offset1:187
	v_dual_mul_f32 v102, 0x3fb8aa3b, v68 :: v_dual_mul_f32 v99, 0x3fb8aa3b, v99
	s_waitcnt lgkmcnt(1)
	v_fma_f32 v68, v100, v97, 0
	s_delay_alu instid0(VALU_DEP_2) | instskip(NEXT) | instid1(VALU_DEP_2)
	v_exp_f32_e32 v102, v102
	v_exp_f32_e32 v99, v99
	s_waitcnt_depctr 0xfff
	v_fmac_f32_e32 v68, v99, v98
	v_sub_f32_e32 v91, v91, v67
	s_delay_alu instid0(VALU_DEP_1)
	v_mul_f32_e32 v101, 0x3fb8aa3b, v91
	ds_load_2addr_b32 v[91:92], v82 offset0:204 offset1:221
	v_sub_f32_e32 v97, v94, v67
	ds_load_2addr_b32 v[93:94], v82 offset0:238 offset1:255
	s_waitcnt lgkmcnt(0)
	v_exp_f32_e32 v101, v101
	s_barrier
	buffer_gl0_inv
	v_dual_fmac_f32 v68, v101, v89 :: v_dual_sub_f32 v89, v96, v67
	v_dual_sub_f32 v82, v95, v67 :: v_dual_mul_f32 v95, 0x3fb8aa3b, v97
	v_exp_f32_e32 v97, v103
	s_delay_alu instid0(VALU_DEP_2) | instskip(NEXT) | instid1(VALU_DEP_2)
	v_dual_fmac_f32 v68, v102, v90 :: v_dual_mul_f32 v89, 0x3fb8aa3b, v89
	v_mul_f32_e32 v82, 0x3fb8aa3b, v82
	s_delay_alu instid0(VALU_DEP_3) | instskip(NEXT) | instid1(VALU_DEP_2)
	v_exp_f32_e32 v95, v95
	v_exp_f32_e32 v89, v89
	s_delay_alu instid0(VALU_DEP_1)
	v_exp_f32_e32 v82, v82
	v_fmac_f32_e32 v68, v97, v91
	s_delay_alu instid0(TRANS32_DEP_3) | instid1(VALU_DEP_1)
	v_fmac_f32_e32 v68, v95, v92
	s_waitcnt_depctr 0xfff
	v_fmac_f32_e32 v68, v82, v93
	s_delay_alu instid0(VALU_DEP_1) | instskip(NEXT) | instid1(VALU_DEP_1)
	v_fmac_f32_e32 v68, v89, v94
	v_add_f32_e32 v90, 0x358637bd, v68
	s_delay_alu instid0(VALU_DEP_1) | instskip(NEXT) | instid1(VALU_DEP_1)
	v_div_scale_f32 v91, null, v90, v90, 1.0
	v_rcp_f32_e32 v92, v91
	s_waitcnt_depctr 0xfff
	v_fma_f32 v93, -v91, v92, 1.0
	s_delay_alu instid0(VALU_DEP_1) | instskip(SKIP_1) | instid1(VALU_DEP_2)
	v_dual_fmac_f32 v92, v93, v92 :: v_dual_cndmask_b32 v93, v100, v99
	v_cmp_eq_u32_e32 vcc_lo, 3, v66
	v_cndmask_b32_e64 v93, v93, v101, s4
	v_cmp_eq_u32_e64 s4, 4, v66
	s_delay_alu instid0(VALU_DEP_2) | instskip(SKIP_1) | instid1(VALU_DEP_2)
	v_cndmask_b32_e32 v93, v93, v102, vcc_lo
	v_cmp_eq_u32_e32 vcc_lo, 5, v66
	v_cndmask_b32_e64 v93, v93, v97, s4
	v_cmp_eq_u32_e64 s4, 6, v66
	s_delay_alu instid0(VALU_DEP_2) | instskip(SKIP_1) | instid1(VALU_DEP_1)
	v_cndmask_b32_e32 v93, v93, v95, vcc_lo
	v_div_scale_f32 v94, s5, 1.0, v90, 1.0
	s_mov_b32 vcc_lo, s5
	s_delay_alu instid0(VALU_DEP_2) | instskip(NEXT) | instid1(VALU_DEP_2)
	v_cndmask_b32_e64 v82, v93, v82, s4
	v_mul_f32_e32 v96, v94, v92
	s_mov_b32 s4, exec_lo
	s_delay_alu instid0(VALU_DEP_2) | instskip(NEXT) | instid1(VALU_DEP_2)
	v_cndmask_b32_e64 v82, v82, v89, s6
	v_fma_f32 v98, -v91, v96, v94
	s_delay_alu instid0(VALU_DEP_1) | instskip(NEXT) | instid1(VALU_DEP_1)
	v_fmac_f32_e32 v96, v98, v92
	v_fma_f32 v91, -v91, v96, v94
	s_delay_alu instid0(VALU_DEP_1) | instskip(NEXT) | instid1(VALU_DEP_1)
	v_div_fmas_f32 v91, v91, v92, v96
	v_div_fixup_f32 v90, v91, v90, 1.0
	s_delay_alu instid0(VALU_DEP_1) | instskip(NEXT) | instid1(VALU_DEP_1)
	v_mul_f32_e32 v82, v82, v90
	v_mul_f32_e32 v87, v82, v87
	;; [unrolled: 1-line block ×7, first 2 shown]
	v_dual_mul_f32 v86, v82, v83 :: v_dual_and_b32 v91, 0x7f800000, v90
	v_mul_f32_e32 v85, v82, v76
                                        ; implicit-def: $vgpr76
	s_delay_alu instid0(VALU_DEP_2)
	v_cmpx_ne_u32_e32 0x7f800000, v91
	s_xor_b32 s4, exec_lo, s4
; %bb.13:
	v_bfe_u32 v76, v90, 16, 1
	s_delay_alu instid0(VALU_DEP_1)
	v_add3_u32 v76, v90, v76, 0x7fff
                                        ; implicit-def: $vgpr90
; %bb.14:
	s_and_not1_saveexec_b32 s4, s4
; %bb.15:
	v_and_b32_e32 v76, 0xffff, v90
	v_or_b32_e32 v83, 0x10000, v90
	s_delay_alu instid0(VALU_DEP_2) | instskip(NEXT) | instid1(VALU_DEP_2)
	v_cmp_eq_u32_e32 vcc_lo, 0, v76
	v_cndmask_b32_e32 v76, v83, v90, vcc_lo
; %bb.16:
	s_or_b32 exec_lo, exec_lo, s4
	v_and_b32_e32 v83, 0x7f800000, v85
	s_delay_alu instid0(VALU_DEP_1) | instskip(SKIP_1) | instid1(SALU_CYCLE_1)
	v_cmp_ne_u32_e32 vcc_lo, 0x7f800000, v83
                                        ; implicit-def: $vgpr83
	s_and_saveexec_b32 s4, vcc_lo
	s_xor_b32 s4, exec_lo, s4
; %bb.17:
	v_bfe_u32 v83, v85, 16, 1
	s_delay_alu instid0(VALU_DEP_1)
	v_add3_u32 v83, v85, v83, 0x7fff
                                        ; implicit-def: $vgpr85
; %bb.18:
	s_and_not1_saveexec_b32 s4, s4
; %bb.19:
	v_and_b32_e32 v83, 0xffff, v85
	v_or_b32_e32 v90, 0x10000, v85
	s_delay_alu instid0(VALU_DEP_2) | instskip(NEXT) | instid1(VALU_DEP_2)
	v_cmp_eq_u32_e32 vcc_lo, 0, v83
	v_cndmask_b32_e32 v83, v90, v85, vcc_lo
; %bb.20:
	s_or_b32 exec_lo, exec_lo, s4
	v_and_b32_e32 v85, 0x7f800000, v86
	s_delay_alu instid0(VALU_DEP_1) | instskip(SKIP_1) | instid1(SALU_CYCLE_1)
	v_cmp_ne_u32_e32 vcc_lo, 0x7f800000, v85
                                        ; implicit-def: $vgpr85
	s_and_saveexec_b32 s4, vcc_lo
	s_xor_b32 s4, exec_lo, s4
; %bb.21:
	v_bfe_u32 v85, v86, 16, 1
	s_delay_alu instid0(VALU_DEP_1)
	v_add3_u32 v85, v86, v85, 0x7fff
                                        ; implicit-def: $vgpr86
; %bb.22:
	s_and_not1_saveexec_b32 s4, s4
; %bb.23:
	v_and_b32_e32 v85, 0xffff, v86
	v_or_b32_e32 v90, 0x10000, v86
	s_delay_alu instid0(VALU_DEP_2) | instskip(NEXT) | instid1(VALU_DEP_2)
	v_cmp_eq_u32_e32 vcc_lo, 0, v85
	v_cndmask_b32_e32 v85, v90, v86, vcc_lo
; %bb.24:
	s_or_b32 exec_lo, exec_lo, s4
	v_and_b32_e32 v86, 0x7f800000, v89
	s_delay_alu instid0(VALU_DEP_1) | instskip(SKIP_1) | instid1(SALU_CYCLE_1)
	v_cmp_ne_u32_e32 vcc_lo, 0x7f800000, v86
                                        ; implicit-def: $vgpr86
	s_and_saveexec_b32 s4, vcc_lo
	s_xor_b32 s4, exec_lo, s4
; %bb.25:
	v_bfe_u32 v86, v89, 16, 1
	s_delay_alu instid0(VALU_DEP_1)
	v_add3_u32 v86, v89, v86, 0x7fff
                                        ; implicit-def: $vgpr89
; %bb.26:
	s_and_not1_saveexec_b32 s4, s4
; %bb.27:
	v_and_b32_e32 v86, 0xffff, v89
	v_or_b32_e32 v90, 0x10000, v89
	s_delay_alu instid0(VALU_DEP_2) | instskip(NEXT) | instid1(VALU_DEP_2)
	v_cmp_eq_u32_e32 vcc_lo, 0, v86
	v_cndmask_b32_e32 v86, v90, v89, vcc_lo
; %bb.28:
	s_or_b32 exec_lo, exec_lo, s4
	v_and_b32_e32 v89, 0x7f800000, v88
	s_delay_alu instid0(VALU_DEP_1) | instskip(SKIP_1) | instid1(SALU_CYCLE_1)
	v_cmp_ne_u32_e32 vcc_lo, 0x7f800000, v89
                                        ; implicit-def: $vgpr89
	s_and_saveexec_b32 s4, vcc_lo
	s_xor_b32 s4, exec_lo, s4
; %bb.29:
	v_bfe_u32 v89, v88, 16, 1
	s_delay_alu instid0(VALU_DEP_1)
	v_add3_u32 v89, v88, v89, 0x7fff
                                        ; implicit-def: $vgpr88
; %bb.30:
	s_and_not1_saveexec_b32 s4, s4
; %bb.31:
	v_and_b32_e32 v89, 0xffff, v88
	v_or_b32_e32 v90, 0x10000, v88
	s_delay_alu instid0(VALU_DEP_2) | instskip(NEXT) | instid1(VALU_DEP_2)
	v_cmp_eq_u32_e32 vcc_lo, 0, v89
	v_cndmask_b32_e32 v89, v90, v88, vcc_lo
; %bb.32:
	s_or_b32 exec_lo, exec_lo, s4
	v_and_b32_e32 v88, 0x7f800000, v87
	s_delay_alu instid0(VALU_DEP_1) | instskip(SKIP_1) | instid1(SALU_CYCLE_1)
	v_cmp_ne_u32_e32 vcc_lo, 0x7f800000, v88
                                        ; implicit-def: $vgpr88
	s_and_saveexec_b32 s4, vcc_lo
	s_xor_b32 s4, exec_lo, s4
; %bb.33:
	v_bfe_u32 v88, v87, 16, 1
	s_delay_alu instid0(VALU_DEP_1)
	v_add3_u32 v88, v87, v88, 0x7fff
                                        ; implicit-def: $vgpr87
; %bb.34:
	s_and_not1_saveexec_b32 s4, s4
; %bb.35:
	v_and_b32_e32 v88, 0xffff, v87
	v_or_b32_e32 v90, 0x10000, v87
	s_delay_alu instid0(VALU_DEP_2) | instskip(NEXT) | instid1(VALU_DEP_2)
	v_cmp_eq_u32_e32 vcc_lo, 0, v88
	v_cndmask_b32_e32 v88, v90, v87, vcc_lo
; %bb.36:
	s_or_b32 exec_lo, exec_lo, s4
	v_and_b32_e32 v87, 0x7f800000, v84
	s_delay_alu instid0(VALU_DEP_1) | instskip(SKIP_1) | instid1(SALU_CYCLE_1)
	v_cmp_ne_u32_e32 vcc_lo, 0x7f800000, v87
                                        ; implicit-def: $vgpr87
	s_and_saveexec_b32 s4, vcc_lo
	s_xor_b32 s4, exec_lo, s4
; %bb.37:
	v_bfe_u32 v87, v84, 16, 1
	s_delay_alu instid0(VALU_DEP_1)
	v_add3_u32 v87, v84, v87, 0x7fff
                                        ; implicit-def: $vgpr84
; %bb.38:
	s_and_not1_saveexec_b32 s4, s4
; %bb.39:
	v_and_b32_e32 v87, 0xffff, v84
	v_or_b32_e32 v90, 0x10000, v84
	s_delay_alu instid0(VALU_DEP_2) | instskip(NEXT) | instid1(VALU_DEP_2)
	v_cmp_eq_u32_e32 vcc_lo, 0, v87
	v_cndmask_b32_e32 v87, v90, v84, vcc_lo
; %bb.40:
	s_or_b32 exec_lo, exec_lo, s4
	v_and_b32_e32 v84, 0x7f800000, v80
	s_delay_alu instid0(VALU_DEP_1) | instskip(SKIP_1) | instid1(SALU_CYCLE_1)
	v_cmp_ne_u32_e32 vcc_lo, 0x7f800000, v84
                                        ; implicit-def: $vgpr84
	s_and_saveexec_b32 s4, vcc_lo
	s_xor_b32 s4, exec_lo, s4
; %bb.41:
	v_bfe_u32 v84, v80, 16, 1
	s_delay_alu instid0(VALU_DEP_1)
	v_add3_u32 v84, v80, v84, 0x7fff
                                        ; implicit-def: $vgpr80
; %bb.42:
	s_and_not1_saveexec_b32 s4, s4
; %bb.43:
	v_and_b32_e32 v84, 0xffff, v80
	v_or_b32_e32 v90, 0x10000, v80
	s_delay_alu instid0(VALU_DEP_2) | instskip(NEXT) | instid1(VALU_DEP_2)
	v_cmp_eq_u32_e32 vcc_lo, 0, v84
	v_cndmask_b32_e32 v84, v90, v80, vcc_lo
; %bb.44:
	s_or_b32 exec_lo, exec_lo, s4
	s_load_b64 s[36:37], s[0:1], 0x94
	v_lshlrev_b32_e32 v91, 4, v74
	s_delay_alu instid0(VALU_DEP_2)
	v_perm_b32 v90, v84, v87, 0x7060302
	v_dual_mul_f32 v79, v82, v79 :: v_dual_lshlrev_b32 v80, 6, v65
	v_dual_mul_f32 v77, v82, v77 :: v_dual_lshlrev_b32 v92, 11, v66
	v_mul_f32_e32 v84, v82, v70
	v_perm_b32 v89, v88, v89, 0x7060302
	v_perm_b32 v88, v86, v85, 0x7060302
	;; [unrolled: 1-line block ×3, first 2 shown]
	v_mul_f32_e32 v70, v82, v81
	v_or3_b32 v76, v91, v92, v80
	v_dual_mul_f32 v78, v82, v78 :: v_dual_and_b32 v85, 0x7f800000, v84
	v_mul_f32_e32 v83, v82, v72
	v_mul_f32_e32 v81, v82, v71
	v_mul_f32_e32 v72, v82, v69
	s_mov_b32 s4, exec_lo
	ds_store_b128 v76, v[87:90]
                                        ; implicit-def: $vgpr69
	v_cmpx_ne_u32_e32 0x7f800000, v85
	s_xor_b32 s4, exec_lo, s4
; %bb.45:
	v_bfe_u32 v69, v84, 16, 1
	s_delay_alu instid0(VALU_DEP_1)
	v_add3_u32 v69, v84, v69, 0x7fff
                                        ; implicit-def: $vgpr84
; %bb.46:
	s_and_not1_saveexec_b32 s4, s4
; %bb.47:
	v_and_b32_e32 v69, 0xffff, v84
	v_or_b32_e32 v71, 0x10000, v84
	s_delay_alu instid0(VALU_DEP_2) | instskip(NEXT) | instid1(VALU_DEP_2)
	v_cmp_eq_u32_e32 vcc_lo, 0, v69
	v_cndmask_b32_e32 v69, v71, v84, vcc_lo
; %bb.48:
	s_or_b32 exec_lo, exec_lo, s4
	v_and_b32_e32 v71, 0x7f800000, v72
	s_delay_alu instid0(VALU_DEP_1) | instskip(SKIP_1) | instid1(SALU_CYCLE_1)
	v_cmp_ne_u32_e32 vcc_lo, 0x7f800000, v71
                                        ; implicit-def: $vgpr71
	s_and_saveexec_b32 s4, vcc_lo
	s_xor_b32 s4, exec_lo, s4
; %bb.49:
	v_bfe_u32 v71, v72, 16, 1
	s_delay_alu instid0(VALU_DEP_1)
	v_add3_u32 v71, v72, v71, 0x7fff
                                        ; implicit-def: $vgpr72
; %bb.50:
	s_and_not1_saveexec_b32 s4, s4
; %bb.51:
	v_and_b32_e32 v71, 0xffff, v72
	v_or_b32_e32 v82, 0x10000, v72
	s_delay_alu instid0(VALU_DEP_2) | instskip(NEXT) | instid1(VALU_DEP_2)
	v_cmp_eq_u32_e32 vcc_lo, 0, v71
	v_cndmask_b32_e32 v71, v82, v72, vcc_lo
; %bb.52:
	s_or_b32 exec_lo, exec_lo, s4
	v_and_b32_e32 v72, 0x7f800000, v81
	s_delay_alu instid0(VALU_DEP_1) | instskip(SKIP_1) | instid1(SALU_CYCLE_1)
	v_cmp_ne_u32_e32 vcc_lo, 0x7f800000, v72
                                        ; implicit-def: $vgpr72
	s_and_saveexec_b32 s4, vcc_lo
	s_xor_b32 s4, exec_lo, s4
; %bb.53:
	v_bfe_u32 v72, v81, 16, 1
	s_delay_alu instid0(VALU_DEP_1)
	v_add3_u32 v72, v81, v72, 0x7fff
                                        ; implicit-def: $vgpr81
; %bb.54:
	s_and_not1_saveexec_b32 s4, s4
; %bb.55:
	v_and_b32_e32 v72, 0xffff, v81
	v_or_b32_e32 v82, 0x10000, v81
	s_delay_alu instid0(VALU_DEP_2) | instskip(NEXT) | instid1(VALU_DEP_2)
	v_cmp_eq_u32_e32 vcc_lo, 0, v72
	v_cndmask_b32_e32 v72, v82, v81, vcc_lo
; %bb.56:
	s_or_b32 exec_lo, exec_lo, s4
	v_and_b32_e32 v81, 0x7f800000, v83
	s_delay_alu instid0(VALU_DEP_1) | instskip(SKIP_1) | instid1(SALU_CYCLE_1)
	v_cmp_ne_u32_e32 vcc_lo, 0x7f800000, v81
                                        ; implicit-def: $vgpr81
	s_and_saveexec_b32 s4, vcc_lo
	s_xor_b32 s4, exec_lo, s4
; %bb.57:
	v_bfe_u32 v81, v83, 16, 1
	s_delay_alu instid0(VALU_DEP_1)
	v_add3_u32 v81, v83, v81, 0x7fff
                                        ; implicit-def: $vgpr83
; %bb.58:
	s_and_not1_saveexec_b32 s4, s4
; %bb.59:
	v_and_b32_e32 v81, 0xffff, v83
	v_or_b32_e32 v82, 0x10000, v83
	s_delay_alu instid0(VALU_DEP_2) | instskip(NEXT) | instid1(VALU_DEP_2)
	v_cmp_eq_u32_e32 vcc_lo, 0, v81
	v_cndmask_b32_e32 v81, v82, v83, vcc_lo
; %bb.60:
	s_or_b32 exec_lo, exec_lo, s4
	v_and_b32_e32 v82, 0x7f800000, v77
	s_delay_alu instid0(VALU_DEP_1) | instskip(SKIP_1) | instid1(SALU_CYCLE_1)
	v_cmp_ne_u32_e32 vcc_lo, 0x7f800000, v82
                                        ; implicit-def: $vgpr82
	s_and_saveexec_b32 s4, vcc_lo
	s_xor_b32 s4, exec_lo, s4
; %bb.61:
	v_bfe_u32 v82, v77, 16, 1
	s_delay_alu instid0(VALU_DEP_1)
	v_add3_u32 v82, v77, v82, 0x7fff
                                        ; implicit-def: $vgpr77
; %bb.62:
	s_and_not1_saveexec_b32 s4, s4
; %bb.63:
	v_and_b32_e32 v82, 0xffff, v77
	v_or_b32_e32 v83, 0x10000, v77
	s_delay_alu instid0(VALU_DEP_2) | instskip(NEXT) | instid1(VALU_DEP_2)
	v_cmp_eq_u32_e32 vcc_lo, 0, v82
	v_cndmask_b32_e32 v82, v83, v77, vcc_lo
; %bb.64:
	s_or_b32 exec_lo, exec_lo, s4
	v_and_b32_e32 v77, 0x7f800000, v78
	s_delay_alu instid0(VALU_DEP_1) | instskip(SKIP_1) | instid1(SALU_CYCLE_1)
	v_cmp_ne_u32_e32 vcc_lo, 0x7f800000, v77
                                        ; implicit-def: $vgpr77
	s_and_saveexec_b32 s4, vcc_lo
	s_xor_b32 s4, exec_lo, s4
; %bb.65:
	v_bfe_u32 v77, v78, 16, 1
	s_delay_alu instid0(VALU_DEP_1)
	v_add3_u32 v77, v78, v77, 0x7fff
                                        ; implicit-def: $vgpr78
; %bb.66:
	s_and_not1_saveexec_b32 s4, s4
; %bb.67:
	v_and_b32_e32 v77, 0xffff, v78
	v_or_b32_e32 v83, 0x10000, v78
	s_delay_alu instid0(VALU_DEP_2) | instskip(NEXT) | instid1(VALU_DEP_2)
	v_cmp_eq_u32_e32 vcc_lo, 0, v77
	v_cndmask_b32_e32 v77, v83, v78, vcc_lo
; %bb.68:
	s_or_b32 exec_lo, exec_lo, s4
	v_and_b32_e32 v78, 0x7f800000, v79
	s_delay_alu instid0(VALU_DEP_1) | instskip(SKIP_1) | instid1(SALU_CYCLE_1)
	v_cmp_ne_u32_e32 vcc_lo, 0x7f800000, v78
                                        ; implicit-def: $vgpr78
	s_and_saveexec_b32 s4, vcc_lo
	s_xor_b32 s4, exec_lo, s4
; %bb.69:
	v_bfe_u32 v78, v79, 16, 1
	s_delay_alu instid0(VALU_DEP_1)
	v_add3_u32 v78, v79, v78, 0x7fff
                                        ; implicit-def: $vgpr79
; %bb.70:
	s_and_not1_saveexec_b32 s4, s4
; %bb.71:
	v_and_b32_e32 v78, 0xffff, v79
	v_or_b32_e32 v83, 0x10000, v79
	s_delay_alu instid0(VALU_DEP_2) | instskip(NEXT) | instid1(VALU_DEP_2)
	v_cmp_eq_u32_e32 vcc_lo, 0, v78
	v_cndmask_b32_e32 v78, v83, v79, vcc_lo
; %bb.72:
	s_or_b32 exec_lo, exec_lo, s4
	v_and_b32_e32 v79, 0x7f800000, v70
	s_delay_alu instid0(VALU_DEP_1) | instskip(SKIP_1) | instid1(SALU_CYCLE_1)
	v_cmp_ne_u32_e32 vcc_lo, 0x7f800000, v79
                                        ; implicit-def: $vgpr79
	s_and_saveexec_b32 s4, vcc_lo
	s_xor_b32 s4, exec_lo, s4
; %bb.73:
	v_bfe_u32 v79, v70, 16, 1
	s_delay_alu instid0(VALU_DEP_1)
	v_add3_u32 v79, v70, v79, 0x7fff
                                        ; implicit-def: $vgpr70
; %bb.74:
	s_and_not1_saveexec_b32 s4, s4
; %bb.75:
	v_and_b32_e32 v79, 0xffff, v70
	v_or_b32_e32 v83, 0x10000, v70
	s_delay_alu instid0(VALU_DEP_2) | instskip(NEXT) | instid1(VALU_DEP_2)
	v_cmp_eq_u32_e32 vcc_lo, 0, v79
	v_cndmask_b32_e32 v79, v83, v70, vcc_lo
; %bb.76:
	s_or_b32 exec_lo, exec_lo, s4
	s_delay_alu instid0(VALU_DEP_1)
	v_perm_b32 v86, v79, v78, 0x7060302
	v_perm_b32 v85, v77, v82, 0x7060302
	;; [unrolled: 1-line block ×4, first 2 shown]
	v_lshl_or_b32 v82, v66, 11, v80
	ds_store_b128 v76, v[83:86] offset:1024
	s_waitcnt lgkmcnt(0)
	s_barrier
	buffer_gl0_inv
	ds_load_b128 v[69:72], v82
	ds_load_b128 v[83:86], v82 offset:16
	s_waitcnt lgkmcnt(1)
	v_lshrrev_b32_e32 v66, 16, v69
	s_waitcnt lgkmcnt(0)
	v_lshrrev_b32_e32 v91, 16, v83
	v_lshlrev_b32_e32 v78, 2, v74
	v_lshrrev_b32_e32 v95, 16, v70
	v_lshrrev_b32_e32 v98, 16, v84
	;; [unrolled: 1-line block ×4, first 2 shown]
	v_cmp_eq_u32_e32 vcc_lo, 1, v78
	v_lshrrev_b32_e32 v97, 16, v72
	v_lshrrev_b32_e32 v100, 16, v86
	v_cndmask_b32_e32 v87, v83, v91, vcc_lo
	v_or_b32_e32 v79, 1, v78
	v_cndmask_b32_e32 v81, v69, v66, vcc_lo
	v_cmp_eq_u32_e64 s5, 2, v78
	v_cmp_eq_u32_e64 s8, 3, v78
	;; [unrolled: 1-line block ×5, first 2 shown]
	v_cndmask_b32_e64 v81, v81, v70, s5
	v_cndmask_b32_e64 v87, v87, v84, s5
	v_cmp_eq_u32_e64 s9, 3, v79
	v_cndmask_b32_e64 v88, v69, v66, s4
	v_or_b32_e32 v77, 2, v78
	v_cndmask_b32_e64 v81, v81, v95, s8
	v_cndmask_b32_e64 v87, v87, v98, s8
	v_cndmask_b32_e64 v89, v83, v91, s4
	v_cndmask_b32_e64 v88, v88, v70, s7
	v_cmp_eq_u32_e64 s11, 5, v78
	v_cndmask_b32_e64 v81, v81, v71, s10
	v_cndmask_b32_e64 v87, v87, v85, s10
	v_cmp_eq_u32_e64 s12, 4, v79
	v_cndmask_b32_e64 v88, v88, v95, s9
	v_cmp_eq_u32_e64 s6, 1, v77
	v_cndmask_b32_e64 v89, v89, v84, s7
	v_cndmask_b32_e64 v81, v81, v96, s11
	v_cmp_eq_u32_e64 s13, 6, v78
	v_cndmask_b32_e64 v88, v88, v71, s12
	;; [unrolled: 3-line block ×3, first 2 shown]
	v_cndmask_b32_e64 v89, v89, v98, s9
	v_cndmask_b32_e64 v81, v81, v72, s13
	v_cmp_eq_u32_e64 s16, 7, v78
	v_cndmask_b32_e64 v88, v88, v96, s15
	v_cndmask_b32_e64 v87, v87, v86, s13
	v_cmp_eq_u32_e64 s17, 6, v79
	v_cmp_eq_u32_e64 s18, 2, v77
	v_cndmask_b32_e64 v89, v89, v85, s12
	v_cndmask_b32_e64 v101, v81, v97, s16
	;; [unrolled: 1-line block ×6, first 2 shown]
	v_cmp_eq_u32_e64 s19, 7, v79
	v_cmp_eq_u32_e64 s20, 3, v77
	v_cmp_eq_u32_e64 s21, 4, v77
	v_cmp_eq_u32_e64 s23, 5, v77
	v_cndmask_b32_e64 v87, v87, v84, s18
	v_cndmask_b32_e64 v103, v88, v97, s19
	;; [unrolled: 1-line block ×4, first 2 shown]
	v_or_b32_e32 v81, 3, v78
	v_cndmask_b32_e64 v93, v87, v98, s20
	v_cmp_eq_u32_e64 s25, 6, v77
	v_cndmask_b32_e64 v104, v88, v86, s17
	v_cndmask_b32_e64 v92, v89, v71, s21
	v_cmp_eq_u32_e64 s22, 1, v81
	ds_load_b128 v[87:90], v82 offset:1024
	v_cmp_eq_u32_e64 s24, 2, v81
	v_cmp_eq_u32_e64 s26, 3, v81
	v_cndmask_b32_e64 v105, v92, v96, s23
	v_cndmask_b32_e64 v66, v69, v66, s22
	;; [unrolled: 1-line block ×4, first 2 shown]
	ds_load_b128 v[91:94], v82 offset:1040
	v_cmp_eq_u32_e64 s27, 4, v81
	v_cndmask_b32_e64 v66, v66, v70, s24
	v_cmp_eq_u32_e64 s28, 7, v77
	v_cndmask_b32_e64 v70, v83, v84, s24
	v_cndmask_b32_e64 v84, v105, v72, s25
	v_cmp_eq_u32_e64 s29, 5, v81
	v_cndmask_b32_e64 v66, v66, v95, s26
	v_cmp_eq_u32_e64 s30, 6, v81
	v_cndmask_b32_e64 v70, v70, v98, s26
	v_cndmask_b32_e64 v69, v69, v99, s23
	;; [unrolled: 1-line block ×4, first 2 shown]
	s_waitcnt lgkmcnt(1)
	v_lshrrev_b32_e32 v95, 16, v87
	v_cndmask_b32_e64 v70, v70, v85, s27
	v_cndmask_b32_e64 v71, v84, v97, s28
	;; [unrolled: 1-line block ×4, first 2 shown]
	v_cndmask_b32_e32 v84, v87, v95, vcc_lo
	v_cndmask_b32_e64 v70, v70, v99, s29
	s_waitcnt lgkmcnt(0)
	v_lshrrev_b32_e32 v85, 16, v91
	v_lshrrev_b32_e32 v96, 16, v88
	v_cndmask_b32_e64 v98, v87, v95, s4
	v_cndmask_b32_e64 v84, v84, v88, s5
	;; [unrolled: 1-line block ×3, first 2 shown]
	v_cndmask_b32_e32 v99, v91, v85, vcc_lo
	v_cmp_eq_u32_e32 vcc_lo, 7, v81
	v_cndmask_b32_e64 v66, v66, v72, s30
	v_cndmask_b32_e64 v72, v84, v96, s8
	;; [unrolled: 1-line block ×3, first 2 shown]
	v_lshrrev_b32_e32 v98, 16, v92
	v_cndmask_b32_e32 v70, v70, v100, vcc_lo
	v_cndmask_b32_e64 v86, v99, v92, s5
	v_cndmask_b32_e64 v69, v69, v100, s28
	v_lshrrev_b32_e32 v100, 16, v93
	v_cndmask_b32_e64 v72, v72, v89, s10
	v_lshrrev_b32_e32 v99, 16, v89
	v_cndmask_b32_e64 v86, v86, v98, s8
	v_perm_b32 v71, v69, v71, 0x5040100
	v_cndmask_b32_e64 v84, v84, v96, s9
	s_delay_alu instid0(VALU_DEP_3) | instskip(NEXT) | instid1(VALU_DEP_2)
	v_cndmask_b32_e64 v86, v86, v93, s10
	v_cndmask_b32_e64 v84, v84, v89, s12
	s_delay_alu instid0(VALU_DEP_2) | instskip(NEXT) | instid1(VALU_DEP_1)
	v_cndmask_b32_e64 v86, v86, v100, s11
	v_cndmask_b32_e64 v69, v86, v94, s13
	;; [unrolled: 1-line block ×5, first 2 shown]
	s_delay_alu instid0(VALU_DEP_3) | instskip(NEXT) | instid1(VALU_DEP_3)
	v_cndmask_b32_e64 v86, v86, v88, s18
	v_cndmask_b32_e64 v87, v87, v88, s24
	s_delay_alu instid0(VALU_DEP_3) | instskip(NEXT) | instid1(VALU_DEP_3)
	v_cndmask_b32_e64 v88, v95, v92, s24
	v_cndmask_b32_e64 v86, v86, v96, s20
	s_delay_alu instid0(VALU_DEP_3) | instskip(NEXT) | instid1(VALU_DEP_3)
	v_cndmask_b32_e64 v87, v87, v96, s26
	v_cndmask_b32_e64 v88, v88, v98, s26
	s_delay_alu instid0(VALU_DEP_3) | instskip(NEXT) | instid1(VALU_DEP_3)
	v_cndmask_b32_e64 v86, v86, v89, s21
	v_cndmask_b32_e64 v87, v87, v89, s27
	s_delay_alu instid0(VALU_DEP_3) | instskip(NEXT) | instid1(VALU_DEP_3)
	v_cndmask_b32_e64 v88, v88, v93, s27
	v_cndmask_b32_e64 v86, v86, v99, s23
	s_delay_alu instid0(VALU_DEP_3) | instskip(NEXT) | instid1(VALU_DEP_3)
	v_cndmask_b32_e64 v87, v87, v99, s29
	v_cndmask_b32_e64 v88, v88, v100, s29
	s_delay_alu instid0(VALU_DEP_3) | instskip(NEXT) | instid1(VALU_DEP_3)
	v_cndmask_b32_e64 v86, v86, v90, s25
	v_cndmask_b32_e64 v87, v87, v90, s30
	s_delay_alu instid0(VALU_DEP_3) | instskip(SKIP_2) | instid1(VALU_DEP_2)
	v_cndmask_b32_e64 v88, v88, v94, s30
	v_cndmask_b32_e32 v66, v66, v97, vcc_lo
	v_cndmask_b32_e64 v97, v72, v99, s11
	v_perm_b32 v72, v70, v66, 0x5040100
	v_perm_b32 v70, v83, v103, 0x5040100
	v_cndmask_b32_e64 v103, v91, v85, s6
	v_cndmask_b32_e64 v85, v91, v85, s4
	;; [unrolled: 1-line block ×4, first 2 shown]
	v_lshrrev_b32_e32 v97, 16, v90
	v_cndmask_b32_e64 v91, v103, v92, s18
	v_cndmask_b32_e64 v85, v85, v92, s7
	;; [unrolled: 1-line block ×3, first 2 shown]
	s_mov_b32 s4, exec_lo
	v_cndmask_b32_e64 v83, v84, v97, s16
	v_cndmask_b32_e64 v91, v91, v98, s20
	v_cndmask_b32_e64 v85, v85, v98, s9
	v_lshrrev_b32_e32 v84, 16, v94
	v_cndmask_b32_e64 v66, v66, v97, s19
	v_cndmask_b32_e64 v90, v86, v97, s28
	;; [unrolled: 1-line block ×4, first 2 shown]
	v_dual_cndmask_b32 v86, v87, v97 :: v_dual_cndmask_b32 v87, v88, v84
	v_cndmask_b32_e64 v91, v69, v84, s16
	s_delay_alu instid0(VALU_DEP_4) | instskip(NEXT) | instid1(VALU_DEP_4)
	v_cndmask_b32_e64 v89, v89, v100, s23
	v_cndmask_b32_e64 v85, v85, v100, s15
	v_perm_b32 v69, v102, v101, 0x5040100
	v_perm_b32 v86, v87, v86, 0x5040100
	;; [unrolled: 1-line block ×3, first 2 shown]
	v_cndmask_b32_e64 v89, v89, v94, s25
	v_cndmask_b32_e64 v85, v85, v94, s17
	s_mul_i32 s9, s37, 5
	s_delay_alu instid0(VALU_DEP_2) | instskip(NEXT) | instid1(VALU_DEP_2)
	v_cndmask_b32_e64 v88, v89, v84, s28
	v_cndmask_b32_e64 v89, v85, v84, s19
	s_delay_alu instid0(VALU_DEP_2) | instskip(NEXT) | instid1(VALU_DEP_2)
	v_perm_b32 v85, v88, v90, 0x5040100
	v_perm_b32 v84, v89, v66, 0x5040100
	ds_store_b128 v76, v[69:72]
	ds_store_b128 v76, v[83:86] offset:1024
	v_cmpx_gt_u32_e32 5, v0
	s_cbranch_execz .LBB1430_78
; %bb.77:
	s_mul_i32 s5, s9, s34
	s_load_b128 s[16:19], s[0:1], 0x58
	v_add3_u32 v69, s5, s31, v65
	s_delay_alu instid0(VALU_DEP_1) | instskip(NEXT) | instid1(VALU_DEP_1)
	v_mad_u64_u32 v[65:66], null, v69, s36, s[14:15]
	v_ashrrev_i32_e32 v66, 31, v65
	s_delay_alu instid0(VALU_DEP_1) | instskip(SKIP_1) | instid1(VALU_DEP_1)
	v_lshlrev_b64 v[65:66], 2, v[65:66]
	s_waitcnt lgkmcnt(0)
	v_add_co_u32 v69, vcc_lo, s18, v65
	s_delay_alu instid0(VALU_DEP_2)
	v_add_co_ci_u32_e32 v70, vcc_lo, s19, v66, vcc_lo
	v_add_co_u32 v65, vcc_lo, s16, v65
	v_add_co_ci_u32_e32 v66, vcc_lo, s17, v66, vcc_lo
	global_store_b32 v[69:70], v67, off
	global_store_b32 v[65:66], v68, off
.LBB1430_78:
	s_or_b32 exec_lo, exec_lo, s4
	s_waitcnt lgkmcnt(0)
	s_waitcnt_vscnt null, 0x0
	s_barrier
	buffer_gl0_inv
	ds_load_b128 v[83:86], v80
	ds_load_b128 v[87:90], v80 offset:16
	ds_load_b128 v[95:98], v80 offset:2064
	;; [unrolled: 1-line block ×3, first 2 shown]
	v_mov_b32_e32 v65, 0
	ds_load_b128 v[103:106], v80 offset:4112
	ds_load_b128 v[99:102], v80 offset:4096
	;; [unrolled: 1-line block ×4, first 2 shown]
	v_mov_b32_e32 v66, v65
	v_mov_b32_e32 v67, v65
	;; [unrolled: 1-line block ×7, first 2 shown]
	s_waitcnt lgkmcnt(6)
	s_delay_alu instid0(VALU_DEP_1)
	v_wmma_f32_16x16x16_bf16 v[65:72], v[57:64], v[83:90], v[65:72]
	ds_load_b128 v[61:64], v80 offset:8208
	ds_load_b128 v[57:60], v80 offset:8192
	s_waitcnt lgkmcnt(6)
	v_wmma_f32_16x16x16_bf16 v[65:72], v[41:48], v[91:98], v[65:72]
	ds_load_b128 v[45:48], v80 offset:10256
	ds_load_b128 v[41:44], v80 offset:10240
	s_waitcnt lgkmcnt(6)
	;; [unrolled: 4-line block ×4, first 2 shown]
	v_wmma_f32_16x16x16_bf16 v[65:72], v[1:8], v[57:64], v[65:72]
	s_waitcnt lgkmcnt(4)
	s_delay_alu instid0(VALU_DEP_1) | instskip(SKIP_1) | instid1(VALU_DEP_1)
	v_wmma_f32_16x16x16_bf16 v[65:72], v[9:16], v[41:48], v[65:72]
	s_waitcnt lgkmcnt(2)
	v_wmma_f32_16x16x16_bf16 v[65:72], v[17:24], v[33:40], v[65:72]
	s_waitcnt lgkmcnt(0)
	s_delay_alu instid0(VALU_DEP_1) | instskip(NEXT) | instid1(VALU_DEP_1)
	v_wmma_f32_16x16x16_bf16 v[65:72], v[49:56], v[25:32], v[65:72]
	v_and_b32_e32 v1, 0x7f800000, v65
	s_delay_alu instid0(VALU_DEP_1) | instskip(SKIP_1) | instid1(SALU_CYCLE_1)
	v_cmp_ne_u32_e32 vcc_lo, 0x7f800000, v1
                                        ; implicit-def: $vgpr1
	s_and_saveexec_b32 s4, vcc_lo
	s_xor_b32 s4, exec_lo, s4
; %bb.79:
	v_bfe_u32 v1, v65, 16, 1
	s_delay_alu instid0(VALU_DEP_1)
	v_add3_u32 v1, v65, v1, 0x7fff
; %bb.80:
	s_and_not1_saveexec_b32 s4, s4
; %bb.81:
	v_and_b32_e32 v1, 0xffff, v65
	v_or_b32_e32 v2, 0x10000, v65
	s_delay_alu instid0(VALU_DEP_2) | instskip(NEXT) | instid1(VALU_DEP_2)
	v_cmp_eq_u32_e32 vcc_lo, 0, v1
	v_cndmask_b32_e32 v1, v2, v65, vcc_lo
; %bb.82:
	s_or_b32 exec_lo, exec_lo, s4
	v_and_b32_e32 v2, 0x7f800000, v66
	s_delay_alu instid0(VALU_DEP_1) | instskip(SKIP_1) | instid1(SALU_CYCLE_1)
	v_cmp_ne_u32_e32 vcc_lo, 0x7f800000, v2
                                        ; implicit-def: $vgpr2
	s_and_saveexec_b32 s4, vcc_lo
	s_xor_b32 s4, exec_lo, s4
; %bb.83:
	v_bfe_u32 v2, v66, 16, 1
	s_delay_alu instid0(VALU_DEP_1)
	v_add3_u32 v2, v66, v2, 0x7fff
; %bb.84:
	s_and_not1_saveexec_b32 s4, s4
; %bb.85:
	v_and_b32_e32 v2, 0xffff, v66
	v_or_b32_e32 v3, 0x10000, v66
	s_delay_alu instid0(VALU_DEP_2) | instskip(NEXT) | instid1(VALU_DEP_2)
	v_cmp_eq_u32_e32 vcc_lo, 0, v2
	v_cndmask_b32_e32 v2, v3, v66, vcc_lo
; %bb.86:
	s_or_b32 exec_lo, exec_lo, s4
	v_and_b32_e32 v3, 0x7f800000, v67
	s_delay_alu instid0(VALU_DEP_1) | instskip(SKIP_1) | instid1(SALU_CYCLE_1)
	v_cmp_ne_u32_e32 vcc_lo, 0x7f800000, v3
                                        ; implicit-def: $vgpr3
	s_and_saveexec_b32 s4, vcc_lo
	s_xor_b32 s4, exec_lo, s4
; %bb.87:
	v_bfe_u32 v3, v67, 16, 1
	s_delay_alu instid0(VALU_DEP_1)
	v_add3_u32 v3, v67, v3, 0x7fff
; %bb.88:
	s_and_not1_saveexec_b32 s4, s4
; %bb.89:
	v_and_b32_e32 v3, 0xffff, v67
	v_or_b32_e32 v4, 0x10000, v67
	s_delay_alu instid0(VALU_DEP_2) | instskip(NEXT) | instid1(VALU_DEP_2)
	v_cmp_eq_u32_e32 vcc_lo, 0, v3
	v_cndmask_b32_e32 v3, v4, v67, vcc_lo
; %bb.90:
	s_or_b32 exec_lo, exec_lo, s4
	v_and_b32_e32 v4, 0x7f800000, v68
	s_delay_alu instid0(VALU_DEP_1) | instskip(SKIP_1) | instid1(SALU_CYCLE_1)
	v_cmp_ne_u32_e32 vcc_lo, 0x7f800000, v4
                                        ; implicit-def: $vgpr4
	s_and_saveexec_b32 s4, vcc_lo
	s_xor_b32 s4, exec_lo, s4
; %bb.91:
	v_bfe_u32 v4, v68, 16, 1
	s_delay_alu instid0(VALU_DEP_1)
	v_add3_u32 v4, v68, v4, 0x7fff
; %bb.92:
	s_and_not1_saveexec_b32 s4, s4
; %bb.93:
	v_and_b32_e32 v4, 0xffff, v68
	v_or_b32_e32 v5, 0x10000, v68
	s_delay_alu instid0(VALU_DEP_2) | instskip(NEXT) | instid1(VALU_DEP_2)
	v_cmp_eq_u32_e32 vcc_lo, 0, v4
	v_cndmask_b32_e32 v4, v5, v68, vcc_lo
; %bb.94:
	s_or_b32 exec_lo, exec_lo, s4
	v_and_b32_e32 v5, 0x7f800000, v69
	s_delay_alu instid0(VALU_DEP_1) | instskip(SKIP_1) | instid1(SALU_CYCLE_1)
	v_cmp_ne_u32_e32 vcc_lo, 0x7f800000, v5
                                        ; implicit-def: $vgpr5
	s_and_saveexec_b32 s4, vcc_lo
	s_xor_b32 s4, exec_lo, s4
; %bb.95:
	v_bfe_u32 v5, v69, 16, 1
	s_delay_alu instid0(VALU_DEP_1)
	v_add3_u32 v5, v69, v5, 0x7fff
; %bb.96:
	s_and_not1_saveexec_b32 s4, s4
; %bb.97:
	v_and_b32_e32 v5, 0xffff, v69
	v_or_b32_e32 v6, 0x10000, v69
	s_delay_alu instid0(VALU_DEP_2) | instskip(NEXT) | instid1(VALU_DEP_2)
	v_cmp_eq_u32_e32 vcc_lo, 0, v5
	v_cndmask_b32_e32 v5, v6, v69, vcc_lo
; %bb.98:
	s_or_b32 exec_lo, exec_lo, s4
	v_and_b32_e32 v6, 0x7f800000, v70
	s_delay_alu instid0(VALU_DEP_1) | instskip(SKIP_1) | instid1(SALU_CYCLE_1)
	v_cmp_ne_u32_e32 vcc_lo, 0x7f800000, v6
                                        ; implicit-def: $vgpr6
	s_and_saveexec_b32 s4, vcc_lo
	s_xor_b32 s4, exec_lo, s4
; %bb.99:
	v_bfe_u32 v6, v70, 16, 1
	s_delay_alu instid0(VALU_DEP_1)
	v_add3_u32 v6, v70, v6, 0x7fff
; %bb.100:
	s_and_not1_saveexec_b32 s4, s4
; %bb.101:
	v_and_b32_e32 v6, 0xffff, v70
	v_or_b32_e32 v7, 0x10000, v70
	s_delay_alu instid0(VALU_DEP_2) | instskip(NEXT) | instid1(VALU_DEP_2)
	v_cmp_eq_u32_e32 vcc_lo, 0, v6
	v_cndmask_b32_e32 v6, v7, v70, vcc_lo
; %bb.102:
	s_or_b32 exec_lo, exec_lo, s4
	v_and_b32_e32 v7, 0x7f800000, v71
	s_delay_alu instid0(VALU_DEP_1) | instskip(SKIP_1) | instid1(SALU_CYCLE_1)
	v_cmp_ne_u32_e32 vcc_lo, 0x7f800000, v7
                                        ; implicit-def: $vgpr7
	s_and_saveexec_b32 s4, vcc_lo
	s_xor_b32 s4, exec_lo, s4
; %bb.103:
	v_bfe_u32 v7, v71, 16, 1
	s_delay_alu instid0(VALU_DEP_1)
	v_add3_u32 v7, v71, v7, 0x7fff
; %bb.104:
	s_and_not1_saveexec_b32 s4, s4
; %bb.105:
	v_and_b32_e32 v7, 0xffff, v71
	v_or_b32_e32 v8, 0x10000, v71
	s_delay_alu instid0(VALU_DEP_2) | instskip(NEXT) | instid1(VALU_DEP_2)
	v_cmp_eq_u32_e32 vcc_lo, 0, v7
	v_cndmask_b32_e32 v7, v8, v71, vcc_lo
; %bb.106:
	s_or_b32 exec_lo, exec_lo, s4
	v_and_b32_e32 v8, 0x7f800000, v72
	s_delay_alu instid0(VALU_DEP_1) | instskip(SKIP_1) | instid1(SALU_CYCLE_1)
	v_cmp_ne_u32_e32 vcc_lo, 0x7f800000, v8
                                        ; implicit-def: $vgpr8
	s_and_saveexec_b32 s4, vcc_lo
	s_xor_b32 s4, exec_lo, s4
; %bb.107:
	v_bfe_u32 v8, v72, 16, 1
	s_delay_alu instid0(VALU_DEP_1)
	v_add3_u32 v8, v72, v8, 0x7fff
                                        ; implicit-def: $vgpr65_vgpr66_vgpr67_vgpr68_vgpr69_vgpr70_vgpr71_vgpr72
; %bb.108:
	s_and_not1_saveexec_b32 s4, s4
; %bb.109:
	v_and_b32_e32 v8, 0xffff, v72
	v_or_b32_e32 v9, 0x10000, v72
	s_delay_alu instid0(VALU_DEP_2) | instskip(NEXT) | instid1(VALU_DEP_2)
	v_cmp_eq_u32_e32 vcc_lo, 0, v8
	v_cndmask_b32_e32 v8, v9, v72, vcc_lo
; %bb.110:
	s_or_b32 exec_lo, exec_lo, s4
	s_delay_alu instid0(VALU_DEP_1)
	v_perm_b32 v7, v8, v7, 0x7060302
	v_perm_b32 v6, v6, v5, 0x7060302
	v_perm_b32 v5, v4, v3, 0x7060302
	v_perm_b32 v4, v2, v1, 0x7060302
	s_barrier
	buffer_gl0_inv
	v_cmp_eq_u32_e32 vcc_lo, 1, v78
	ds_store_b128 v76, v[4:7]
	s_waitcnt lgkmcnt(0)
	s_barrier
	buffer_gl0_inv
	ds_load_b128 v[1:4], v82
	ds_load_b128 v[5:8], v82 offset:16
	v_cmp_eq_u32_e64 s4, 1, v79
	v_cmp_eq_u32_e64 s5, 2, v78
	;; [unrolled: 1-line block ×5, first 2 shown]
	s_waitcnt lgkmcnt(1)
	v_lshrrev_b32_e32 v9, 16, v1
	s_waitcnt lgkmcnt(0)
	v_lshrrev_b32_e32 v13, 16, v5
	v_lshrrev_b32_e32 v10, 16, v2
	;; [unrolled: 1-line block ×4, first 2 shown]
	v_cndmask_b32_e64 v19, v1, v9, s4
	v_cndmask_b32_e32 v18, v5, v13, vcc_lo
	v_cndmask_b32_e64 v20, v5, v13, s4
	v_cndmask_b32_e32 v17, v1, v9, vcc_lo
	v_cmp_eq_u32_e32 vcc_lo, 2, v79
	v_lshrrev_b32_e32 v15, 16, v7
	v_cmp_eq_u32_e64 s4, 1, v77
	v_lshrrev_b32_e32 v12, 16, v4
	v_lshrrev_b32_e32 v16, 16, v8
	v_cndmask_b32_e32 v20, v20, v6, vcc_lo
	v_cndmask_b32_e64 v17, v17, v2, s5
	v_cndmask_b32_e32 v19, v19, v2, vcc_lo
	v_cndmask_b32_e64 v18, v18, v6, s5
	v_cmp_eq_u32_e32 vcc_lo, 4, v78
	v_cmp_eq_u32_e64 s5, 3, v79
	v_cndmask_b32_e64 v17, v17, v10, s6
	v_cndmask_b32_e64 v21, v1, v9, s4
	;; [unrolled: 1-line block ×5, first 2 shown]
	v_cndmask_b32_e32 v17, v17, v3, vcc_lo
	v_cndmask_b32_e64 v20, v20, v14, s5
	v_cndmask_b32_e32 v18, v18, v7, vcc_lo
	v_cmp_eq_u32_e32 vcc_lo, 4, v79
	v_cmp_eq_u32_e64 s5, 5, v79
	v_cmp_eq_u32_e64 s4, 2, v81
	v_cndmask_b32_e64 v21, v21, v2, s8
	v_cmp_eq_u32_e64 s6, 5, v78
	v_cndmask_b32_e32 v19, v19, v3, vcc_lo
	v_cndmask_b32_e32 v20, v20, v7, vcc_lo
	v_cmp_eq_u32_e32 vcc_lo, 6, v79
	s_delay_alu instid0(VALU_DEP_4) | instskip(NEXT) | instid1(VALU_DEP_4)
	v_cndmask_b32_e64 v17, v17, v11, s6
	v_cndmask_b32_e64 v19, v19, v11, s5
	s_delay_alu instid0(VALU_DEP_4) | instskip(SKIP_1) | instid1(VALU_DEP_3)
	v_cndmask_b32_e64 v20, v20, v15, s5
	v_cmp_eq_u32_e64 s5, 1, v81
	v_cndmask_b32_e32 v19, v19, v4, vcc_lo
	v_cndmask_b32_e64 v18, v18, v15, s6
	s_delay_alu instid0(VALU_DEP_3)
	v_cndmask_b32_e64 v1, v1, v9, s5
	v_cndmask_b32_e64 v5, v5, v13, s5
	v_cmp_eq_u32_e64 s5, 3, v77
	v_cndmask_b32_e64 v13, v22, v6, s8
	v_cmp_eq_u32_e64 s8, 3, v81
	v_cndmask_b32_e64 v1, v1, v2, s4
	v_cndmask_b32_e64 v2, v5, v6, s4
	;; [unrolled: 1-line block ×3, first 2 shown]
	v_cmp_eq_u32_e64 s4, 4, v77
	v_cndmask_b32_e64 v6, v13, v14, s5
	v_cndmask_b32_e64 v1, v1, v10, s8
	v_cmp_eq_u32_e64 s5, 4, v81
	v_cndmask_b32_e64 v2, v2, v14, s8
	v_cndmask_b32_e64 v5, v9, v3, s4
	;; [unrolled: 3-line block ×3, first 2 shown]
	v_cndmask_b32_e64 v2, v2, v7, s5
	v_cmp_eq_u32_e64 s4, 5, v81
	v_cmp_eq_u32_e64 s6, 6, v78
	v_cndmask_b32_e64 v5, v5, v11, s8
	v_cmp_eq_u32_e64 s5, 6, v77
	v_cndmask_b32_e64 v3, v6, v15, s8
	v_cndmask_b32_e64 v1, v1, v11, s4
	v_cmp_eq_u32_e64 s8, 6, v81
	v_cndmask_b32_e64 v2, v2, v15, s4
	v_cndmask_b32_e64 v17, v17, v4, s6
	v_cndmask_b32_e64 v18, v18, v8, s6
	v_cmp_eq_u32_e64 s6, 7, v78
	v_cndmask_b32_e64 v5, v5, v4, s5
	;; [unrolled: 4-line block ×3, first 2 shown]
	v_cmp_eq_u32_e64 s5, 7, v77
	v_cndmask_b32_e32 v4, v20, v8, vcc_lo
	v_cndmask_b32_e64 v17, v17, v12, s6
	v_cndmask_b32_e64 v19, v19, v12, s7
	;; [unrolled: 1-line block ×8, first 2 shown]
	v_cmp_gt_u32_e32 vcc_lo, 32, v0
	v_perm_b32 v4, v2, v1, 0x5040100
	v_perm_b32 v3, v3, v5, 0x5040100
	;; [unrolled: 1-line block ×4, first 2 shown]
	s_and_b32 s2, vcc_lo, s2
	ds_store_b128 v76, v[1:4]
	s_waitcnt lgkmcnt(0)
	s_barrier
	buffer_gl0_inv
	s_and_saveexec_b32 s4, s2
	s_cbranch_execz .LBB1430_2
; %bb.111:
	s_load_b64 s[4:5], s[0:1], 0x68
	v_lshlrev_b32_e32 v0, 10, v0
	v_add_nc_u32_e32 v2, s31, v74
	v_lshlrev_b32_e32 v3, 4, v75
	s_lshl_b32 s0, s36, 6
	s_delay_alu instid0(SALU_CYCLE_1) | instskip(NEXT) | instid1(VALU_DEP_2)
	s_mul_i32 s1, s0, s34
	v_mul_lo_u32 v1, v2, s0
	s_delay_alu instid0(VALU_DEP_2) | instskip(SKIP_2) | instid1(SALU_CYCLE_1)
	v_and_or_b32 v0, 0x3800, v0, v3
	v_add_nc_u32_e32 v2, 2, v2
	s_mul_i32 s6, s1, s9
	s_ashr_i32 s7, s6, 31
	s_delay_alu instid0(VALU_DEP_2)
	v_lshl_or_b32 v7, v74, 6, v0
	s_lshl_b64 s[6:7], s[6:7], 1
	v_mul_lo_u32 v11, v2, s0
	v_ashrrev_i32_e32 v2, 31, v1
	ds_load_b128 v[3:6], v7
	ds_load_b128 v[7:10], v7 offset:128
	s_waitcnt lgkmcnt(0)
	s_add_u32 s1, s4, s6
	s_addc_u32 s2, s5, s7
	s_lshl_b32 s4, s14, 6
	v_ashrrev_i32_e32 v12, 31, v11
	s_ashr_i32 s5, s4, 31
	v_lshlrev_b64 v[13:14], 1, v[1:2]
	s_lshl_b64 s[4:5], s[4:5], 1
	s_delay_alu instid0(SALU_CYCLE_1) | instskip(SKIP_2) | instid1(VALU_DEP_1)
	s_add_u32 s1, s1, s4
	s_addc_u32 s2, s2, s5
	v_add_co_u32 v1, s1, s1, v73
	v_add_co_ci_u32_e64 v2, null, s2, 0, s1
	v_lshlrev_b64 v[11:12], 1, v[11:12]
	s_delay_alu instid0(VALU_DEP_3) | instskip(NEXT) | instid1(VALU_DEP_3)
	v_add_co_u32 v13, vcc_lo, v1, v13
	v_add_co_ci_u32_e32 v14, vcc_lo, v2, v14, vcc_lo
	s_delay_alu instid0(VALU_DEP_3) | instskip(NEXT) | instid1(VALU_DEP_4)
	v_add_co_u32 v11, vcc_lo, v1, v11
	v_add_co_ci_u32_e32 v12, vcc_lo, v2, v12, vcc_lo
	s_clause 0x1
	global_store_b128 v[13:14], v[3:6], off
	global_store_b128 v[11:12], v[7:10], off
	s_and_b32 exec_lo, exec_lo, s3
	s_cbranch_execz .LBB1430_2
; %bb.112:
	ds_load_b128 v[3:6], v0 offset:256
	s_add_i32 s1, s31, 4
	s_delay_alu instid0(SALU_CYCLE_1) | instskip(NEXT) | instid1(SALU_CYCLE_1)
	s_mul_i32 s0, s1, s0
	s_ashr_i32 s1, s0, 31
	s_delay_alu instid0(SALU_CYCLE_1) | instskip(NEXT) | instid1(SALU_CYCLE_1)
	s_lshl_b64 s[0:1], s[0:1], 1
	v_add_co_u32 v0, vcc_lo, v1, s0
	v_add_co_ci_u32_e32 v1, vcc_lo, s1, v2, vcc_lo
	s_waitcnt lgkmcnt(0)
	global_store_b128 v[0:1], v[3:6], off
	s_nop 0
	s_sendmsg sendmsg(MSG_DEALLOC_VGPRS)
	s_endpgm
	.section	.rodata,"a",@progbits
	.p2align	6, 0x0
	.amdhsa_kernel _Z39paged_attention_ll4mi_QKV_mfma16_kernelI14__hip_bfloat16hLN4vllm18Fp8KVCacheDataTypeE1EhLi32ELi64ELi256ELb1ELi5EL8MFMAType1EEvPKT_PKT0_S9_ifPKiSB_SB_iPKfiiiPfSE_PS4_PT2_iSD_SD_
		.amdhsa_group_segment_fixed_size 17472
		.amdhsa_private_segment_fixed_size 0
		.amdhsa_kernarg_size 400
		.amdhsa_user_sgpr_count 13
		.amdhsa_user_sgpr_dispatch_ptr 0
		.amdhsa_user_sgpr_queue_ptr 0
		.amdhsa_user_sgpr_kernarg_segment_ptr 1
		.amdhsa_user_sgpr_dispatch_id 0
		.amdhsa_user_sgpr_private_segment_size 0
		.amdhsa_wavefront_size32 1
		.amdhsa_uses_dynamic_stack 0
		.amdhsa_enable_private_segment 0
		.amdhsa_system_sgpr_workgroup_id_x 1
		.amdhsa_system_sgpr_workgroup_id_y 1
		.amdhsa_system_sgpr_workgroup_id_z 1
		.amdhsa_system_sgpr_workgroup_info 0
		.amdhsa_system_vgpr_workitem_id 0
		.amdhsa_next_free_vgpr 124
		.amdhsa_next_free_sgpr 42
		.amdhsa_reserve_vcc 1
		.amdhsa_float_round_mode_32 0
		.amdhsa_float_round_mode_16_64 0
		.amdhsa_float_denorm_mode_32 3
		.amdhsa_float_denorm_mode_16_64 3
		.amdhsa_dx10_clamp 1
		.amdhsa_ieee_mode 1
		.amdhsa_fp16_overflow 0
		.amdhsa_workgroup_processor_mode 1
		.amdhsa_memory_ordered 1
		.amdhsa_forward_progress 0
		.amdhsa_shared_vgpr_count 0
		.amdhsa_exception_fp_ieee_invalid_op 0
		.amdhsa_exception_fp_denorm_src 0
		.amdhsa_exception_fp_ieee_div_zero 0
		.amdhsa_exception_fp_ieee_overflow 0
		.amdhsa_exception_fp_ieee_underflow 0
		.amdhsa_exception_fp_ieee_inexact 0
		.amdhsa_exception_int_div_zero 0
	.end_amdhsa_kernel
	.section	.text._Z39paged_attention_ll4mi_QKV_mfma16_kernelI14__hip_bfloat16hLN4vllm18Fp8KVCacheDataTypeE1EhLi32ELi64ELi256ELb1ELi5EL8MFMAType1EEvPKT_PKT0_S9_ifPKiSB_SB_iPKfiiiPfSE_PS4_PT2_iSD_SD_,"axG",@progbits,_Z39paged_attention_ll4mi_QKV_mfma16_kernelI14__hip_bfloat16hLN4vllm18Fp8KVCacheDataTypeE1EhLi32ELi64ELi256ELb1ELi5EL8MFMAType1EEvPKT_PKT0_S9_ifPKiSB_SB_iPKfiiiPfSE_PS4_PT2_iSD_SD_,comdat
.Lfunc_end1430:
	.size	_Z39paged_attention_ll4mi_QKV_mfma16_kernelI14__hip_bfloat16hLN4vllm18Fp8KVCacheDataTypeE1EhLi32ELi64ELi256ELb1ELi5EL8MFMAType1EEvPKT_PKT0_S9_ifPKiSB_SB_iPKfiiiPfSE_PS4_PT2_iSD_SD_, .Lfunc_end1430-_Z39paged_attention_ll4mi_QKV_mfma16_kernelI14__hip_bfloat16hLN4vllm18Fp8KVCacheDataTypeE1EhLi32ELi64ELi256ELb1ELi5EL8MFMAType1EEvPKT_PKT0_S9_ifPKiSB_SB_iPKfiiiPfSE_PS4_PT2_iSD_SD_
                                        ; -- End function
	.section	.AMDGPU.csdata,"",@progbits
; Kernel info:
; codeLenInByte = 8780
; NumSgprs: 44
; NumVgprs: 124
; ScratchSize: 0
; MemoryBound: 0
; FloatMode: 240
; IeeeMode: 1
; LDSByteSize: 17472 bytes/workgroup (compile time only)
; SGPRBlocks: 5
; VGPRBlocks: 15
; NumSGPRsForWavesPerEU: 44
; NumVGPRsForWavesPerEU: 124
; Occupancy: 10
; WaveLimiterHint : 1
; COMPUTE_PGM_RSRC2:SCRATCH_EN: 0
; COMPUTE_PGM_RSRC2:USER_SGPR: 13
; COMPUTE_PGM_RSRC2:TRAP_HANDLER: 0
; COMPUTE_PGM_RSRC2:TGID_X_EN: 1
; COMPUTE_PGM_RSRC2:TGID_Y_EN: 1
; COMPUTE_PGM_RSRC2:TGID_Z_EN: 1
; COMPUTE_PGM_RSRC2:TIDIG_COMP_CNT: 0
	.section	.text._Z39paged_attention_ll4mi_QKV_mfma16_kernelI14__hip_bfloat16hLN4vllm18Fp8KVCacheDataTypeE1EhLi32ELi64ELi256ELb1ELi6EL8MFMAType1EEvPKT_PKT0_S9_ifPKiSB_SB_iPKfiiiPfSE_PS4_PT2_iSD_SD_,"axG",@progbits,_Z39paged_attention_ll4mi_QKV_mfma16_kernelI14__hip_bfloat16hLN4vllm18Fp8KVCacheDataTypeE1EhLi32ELi64ELi256ELb1ELi6EL8MFMAType1EEvPKT_PKT0_S9_ifPKiSB_SB_iPKfiiiPfSE_PS4_PT2_iSD_SD_,comdat
	.protected	_Z39paged_attention_ll4mi_QKV_mfma16_kernelI14__hip_bfloat16hLN4vllm18Fp8KVCacheDataTypeE1EhLi32ELi64ELi256ELb1ELi6EL8MFMAType1EEvPKT_PKT0_S9_ifPKiSB_SB_iPKfiiiPfSE_PS4_PT2_iSD_SD_ ; -- Begin function _Z39paged_attention_ll4mi_QKV_mfma16_kernelI14__hip_bfloat16hLN4vllm18Fp8KVCacheDataTypeE1EhLi32ELi64ELi256ELb1ELi6EL8MFMAType1EEvPKT_PKT0_S9_ifPKiSB_SB_iPKfiiiPfSE_PS4_PT2_iSD_SD_
	.globl	_Z39paged_attention_ll4mi_QKV_mfma16_kernelI14__hip_bfloat16hLN4vllm18Fp8KVCacheDataTypeE1EhLi32ELi64ELi256ELb1ELi6EL8MFMAType1EEvPKT_PKT0_S9_ifPKiSB_SB_iPKfiiiPfSE_PS4_PT2_iSD_SD_
	.p2align	8
	.type	_Z39paged_attention_ll4mi_QKV_mfma16_kernelI14__hip_bfloat16hLN4vllm18Fp8KVCacheDataTypeE1EhLi32ELi64ELi256ELb1ELi6EL8MFMAType1EEvPKT_PKT0_S9_ifPKiSB_SB_iPKfiiiPfSE_PS4_PT2_iSD_SD_,@function
_Z39paged_attention_ll4mi_QKV_mfma16_kernelI14__hip_bfloat16hLN4vllm18Fp8KVCacheDataTypeE1EhLi32ELi64ELi256ELb1ELi6EL8MFMAType1EEvPKT_PKT0_S9_ifPKiSB_SB_iPKfiiiPfSE_PS4_PT2_iSD_SD_: ; @_Z39paged_attention_ll4mi_QKV_mfma16_kernelI14__hip_bfloat16hLN4vllm18Fp8KVCacheDataTypeE1EhLi32ELi64ELi256ELb1ELi6EL8MFMAType1EEvPKT_PKT0_S9_ifPKiSB_SB_iPKfiiiPfSE_PS4_PT2_iSD_SD_
; %bb.0:
	s_load_b64 s[2:3], s[0:1], 0x30
	s_mov_b32 s30, s13
	s_waitcnt lgkmcnt(0)
	s_cmp_lg_u64 s[2:3], 0
	s_cselect_b32 s8, -1, 0
	s_ashr_i32 s31, s13, 31
	s_cmp_eq_u64 s[2:3], 0
	s_cbranch_scc1 .LBB1431_3
; %bb.1:
	s_lshl_b64 s[4:5], s[30:31], 2
	s_delay_alu instid0(SALU_CYCLE_1) | instskip(SKIP_4) | instid1(SALU_CYCLE_1)
	s_add_u32 s4, s2, s4
	s_addc_u32 s5, s3, s5
	s_load_b64 s[4:5], s[4:5], 0x0
	s_waitcnt lgkmcnt(0)
	s_sub_i32 s4, s5, s4
	s_cmp_eq_u32 s4, 1
	s_cselect_b32 s4, -1, 0
	s_delay_alu instid0(SALU_CYCLE_1)
	s_and_not1_b32 vcc_lo, exec_lo, s4
	s_cbranch_vccz .LBB1431_4
.LBB1431_2:
	s_endpgm
.LBB1431_3:
.LBB1431_4:
	s_load_b64 s[4:5], s[0:1], 0x28
	s_lshl_b64 s[6:7], s[30:31], 2
	s_waitcnt lgkmcnt(0)
	s_add_u32 s4, s4, s6
	s_addc_u32 s5, s5, s7
	s_lshl_b32 s12, s14, 8
	s_load_b32 s24, s[4:5], 0x0
	s_waitcnt lgkmcnt(0)
	s_cmp_ge_i32 s12, s24
	s_cbranch_scc1 .LBB1431_2
; %bb.5:
	s_clause 0x1
	s_load_b128 s[20:23], s[0:1], 0x8
	s_load_b64 s[4:5], s[0:1], 0x20
	s_and_not1_b32 vcc_lo, exec_lo, s8
	s_cbranch_vccnz .LBB1431_7
; %bb.6:
	s_add_u32 s2, s2, s6
	s_addc_u32 s3, s3, s7
	s_load_b32 s3, s[2:3], 0x0
	s_branch .LBB1431_8
.LBB1431_7:
	s_mov_b32 s3, s30
.LBB1431_8:
	s_load_b128 s[16:19], s[0:1], 0x48
	v_and_b32_e32 v65, 15, v0
	v_cmp_gt_u32_e32 vcc_lo, 0x60, v0
	v_lshrrev_b32_e32 v66, 5, v0
	v_and_b32_e32 v67, 31, v0
	v_and_b32_e32 v75, 1, v0
	v_lshlrev_b32_e32 v1, 3, v65
	v_cmp_gt_u32_e64 s2, 8, v65
	v_bfe_u32 v74, v0, 4, 1
	s_mul_i32 s31, s15, 6
	s_delay_alu instid0(VALU_DEP_3) | instskip(NEXT) | instid1(VALU_DEP_3)
	v_lshlrev_b32_e32 v73, 1, v1
	s_and_b32 s7, vcc_lo, s2
	s_delay_alu instid0(SALU_CYCLE_1)
	s_and_saveexec_b32 s6, s7
	s_cbranch_execz .LBB1431_10
; %bb.9:
	s_load_b64 s[8:9], s[0:1], 0x0
	v_lshl_or_b32 v5, v66, 1, v74
	s_waitcnt lgkmcnt(0)
	s_mul_hi_i32 s11, s3, s16
	s_mul_i32 s10, s3, s16
	v_lshlrev_b32_e32 v6, 10, v65
	s_lshl_b64 s[10:11], s[10:11], 1
	v_add_lshl_u32 v1, v5, s31, 6
	v_lshlrev_b32_e32 v5, 6, v5
	v_lshlrev_b32_e32 v7, 10, v75
	v_and_b32_e32 v6, 0x3800, v6
	s_delay_alu instid0(VALU_DEP_4) | instskip(NEXT) | instid1(VALU_DEP_2)
	v_ashrrev_i32_e32 v2, 31, v1
	v_or3_b32 v5, v6, v7, v5
	s_delay_alu instid0(VALU_DEP_2) | instskip(SKIP_2) | instid1(VALU_DEP_1)
	v_lshlrev_b64 v[1:2], 1, v[1:2]
	s_add_u32 s3, s8, s10
	s_addc_u32 s7, s9, s11
	v_add_co_u32 v1, vcc_lo, s3, v1
	s_delay_alu instid0(VALU_DEP_2) | instskip(NEXT) | instid1(VALU_DEP_2)
	v_add_co_ci_u32_e32 v2, vcc_lo, s7, v2, vcc_lo
	v_add_co_u32 v1, vcc_lo, v1, v73
	s_delay_alu instid0(VALU_DEP_2)
	v_add_co_ci_u32_e32 v2, vcc_lo, 0, v2, vcc_lo
	global_load_b128 v[1:4], v[1:2], off
	s_waitcnt vmcnt(0)
	ds_store_b128 v5, v[1:4]
.LBB1431_10:
	s_or_b32 exec_lo, exec_lo, s6
	v_and_b32_e32 v1, 0xef, v0
	s_waitcnt lgkmcnt(0)
	s_add_i32 s3, s24, 31
	s_clause 0x1
	s_load_b32 s6, s[0:1], 0x38
	s_load_b32 s19, s[0:1], 0x1c
	s_ashr_i32 s7, s3, 31
	v_add_nc_u32_e32 v1, s12, v1
	s_lshr_b32 s7, s7, 27
	s_waitcnt lgkmcnt(0)
	s_add_i32 s3, s3, s7
	s_barrier
	v_ashrrev_i32_e32 v2, 31, v1
	v_or_b32_e32 v3, 16, v1
	s_ashr_i32 s3, s3, 5
	v_cmp_gt_i32_e32 vcc_lo, s24, v1
	s_add_i32 s3, s3, -1
	v_lshrrev_b32_e32 v2, 27, v2
	buffer_gl0_inv
	s_mul_i32 s27, s15, s18
	v_add_nc_u32_e32 v4, v1, v2
	s_mul_i32 s6, s30, s6
	s_delay_alu instid0(SALU_CYCLE_1) | instskip(NEXT) | instid1(VALU_DEP_1)
	s_ashr_i32 s7, s6, 31
	v_ashrrev_i32_e32 v4, 5, v4
	v_add_nc_u32_e32 v2, v3, v2
	s_lshl_b64 s[6:7], s[6:7], 2
	s_delay_alu instid0(SALU_CYCLE_1) | instskip(NEXT) | instid1(VALU_DEP_2)
	s_add_u32 s26, s4, s6
	v_cndmask_b32_e32 v1, s3, v4, vcc_lo
	s_delay_alu instid0(VALU_DEP_2)
	v_ashrrev_i32_e32 v2, 5, v2
	v_cmp_gt_i32_e32 vcc_lo, s24, v3
	s_addc_u32 s25, s5, s7
	s_ashr_i32 s28, s27, 31
	s_add_u32 s4, s20, s27
	s_addc_u32 s5, s21, s28
	v_cndmask_b32_e32 v3, s3, v2, vcc_lo
	v_ashrrev_i32_e32 v2, 31, v1
	s_lshl_b32 s6, s14, 3
	s_delay_alu instid0(SALU_CYCLE_1) | instskip(NEXT) | instid1(VALU_DEP_2)
	s_ashr_i32 s7, s6, 31
	v_ashrrev_i32_e32 v4, 31, v3
	s_delay_alu instid0(VALU_DEP_2) | instskip(SKIP_1) | instid1(SALU_CYCLE_1)
	v_lshlrev_b64 v[1:2], 2, v[1:2]
	s_lshl_b64 s[6:7], s[6:7], 2
	s_add_u32 s6, s26, s6
	s_delay_alu instid0(VALU_DEP_2) | instskip(SKIP_1) | instid1(VALU_DEP_2)
	v_lshlrev_b64 v[3:4], 2, v[3:4]
	s_addc_u32 s7, s25, s7
	v_add_co_u32 v1, vcc_lo, s26, v1
	v_add_co_ci_u32_e32 v2, vcc_lo, s25, v2, vcc_lo
	s_delay_alu instid0(VALU_DEP_3) | instskip(NEXT) | instid1(VALU_DEP_4)
	v_add_co_u32 v3, vcc_lo, s26, v3
	v_add_co_ci_u32_e32 v4, vcc_lo, s25, v4, vcc_lo
	s_clause 0x1
	global_load_b32 v5, v[1:2], off
	global_load_b32 v6, v[3:4], off
	s_or_b32 s8, s12, 32
	s_delay_alu instid0(SALU_CYCLE_1) | instskip(SKIP_2) | instid1(SALU_CYCLE_1)
	s_ashr_i32 s9, s8, 5
	s_cmp_lt_i32 s8, s24
	s_cselect_b32 s8, s9, s3
	s_ashr_i32 s9, s8, 31
	s_delay_alu instid0(SALU_CYCLE_1) | instskip(NEXT) | instid1(SALU_CYCLE_1)
	s_lshl_b64 s[8:9], s[8:9], 2
	s_add_u32 s8, s26, s8
	s_addc_u32 s9, s25, s9
	s_or_b32 s10, s12, 64
	s_delay_alu instid0(SALU_CYCLE_1) | instskip(SKIP_2) | instid1(SALU_CYCLE_1)
	s_ashr_i32 s11, s10, 5
	s_cmp_lt_i32 s10, s24
	s_cselect_b32 s10, s11, s3
	s_ashr_i32 s11, s10, 31
	s_delay_alu instid0(SALU_CYCLE_1) | instskip(NEXT) | instid1(SALU_CYCLE_1)
	s_lshl_b64 s[10:11], s[10:11], 2
	s_add_u32 s10, s26, s10
	s_addc_u32 s11, s25, s11
	;; [unrolled: 10-line block ×5, first 2 shown]
	s_clause 0x5
	s_load_b32 s21, s[6:7], 0x0
	s_load_b32 s13, s[8:9], 0x0
	;; [unrolled: 1-line block ×6, first 2 shown]
	s_or_b32 s9, s12, 0xc0
	s_delay_alu instid0(SALU_CYCLE_1) | instskip(SKIP_2) | instid1(SALU_CYCLE_1)
	s_ashr_i32 s10, s9, 5
	s_cmp_lt_i32 s9, s24
	s_cselect_b32 s34, s10, s3
	s_ashr_i32 s35, s34, 31
	s_delay_alu instid0(SALU_CYCLE_1) | instskip(NEXT) | instid1(SALU_CYCLE_1)
	s_lshl_b64 s[34:35], s[34:35], 2
	s_add_u32 s34, s26, s34
	s_addc_u32 s35, s25, s35
	s_or_b32 s29, s12, 0xe0
	s_delay_alu instid0(SALU_CYCLE_1)
	s_ashr_i32 s33, s29, 5
	s_cmp_lt_i32 s29, s24
	s_waitcnt vmcnt(1)
	v_mad_i64_i32 v[1:2], null, v5, s17, s[4:5]
	s_waitcnt vmcnt(0)
	v_mad_i64_i32 v[3:4], null, v6, s17, s[4:5]
	s_mov_b32 s4, 0
	s_delay_alu instid0(SALU_CYCLE_1)
	s_mov_b32 s5, s4
	s_mov_b32 s6, s4
	;; [unrolled: 1-line block ×7, first 2 shown]
	v_lshlrev_b32_e32 v5, 4, v65
	v_dual_mov_b32 v107, s11 :: v_dual_mov_b32 v102, s6
	v_mov_b32_e32 v106, s10
	v_mov_b32_e32 v104, s8
	s_delay_alu instid0(VALU_DEP_4)
	v_add_co_u32 v1, vcc_lo, v1, v5
	v_add_co_ci_u32_e32 v2, vcc_lo, 0, v2, vcc_lo
	v_add_co_u32 v3, vcc_lo, v3, v5
	v_add_co_ci_u32_e32 v4, vcc_lo, 0, v4, vcc_lo
	s_clause 0x7
	global_load_b128 v[49:52], v[1:2], off
	global_load_b128 v[53:56], v[1:2], off offset:512
	global_load_b128 v[76:79], v[3:4], off offset:256
	;; [unrolled: 1-line block ×7, first 2 shown]
	v_mul_lo_u16 v1, v65, 43
	v_mov_b32_e32 v103, s7
	v_dual_mov_b32 v101, s5 :: v_dual_lshlrev_b32 v2, 5, v65
	v_mov_b32_e32 v100, s4
	s_delay_alu instid0(VALU_DEP_4) | instskip(NEXT) | instid1(VALU_DEP_3)
	v_lshrrev_b16 v1, 8, v1
	v_lshl_or_b32 v2, v66, 9, v2
	s_delay_alu instid0(VALU_DEP_2) | instskip(NEXT) | instid1(VALU_DEP_1)
	v_mul_lo_u16 v1, v1, 6
	v_sub_nc_u16 v1, v65, v1
	s_delay_alu instid0(VALU_DEP_1)
	v_and_b32_e32 v1, 0xff, v1
	v_mov_b32_e32 v105, s9
	s_cselect_b32 s4, s33, s3
	s_load_b32 s3, s[34:35], 0x0
	s_ashr_i32 s5, s4, 31
	v_lshlrev_b32_e32 v70, 6, v1
	s_lshl_b64 s[4:5], s[4:5], 2
	ds_load_b128 v[108:111], v70
	ds_load_b128 v[112:115], v70 offset:1024
	s_add_u32 s4, s26, s4
	s_addc_u32 s5, s25, s5
	s_add_u32 s6, s22, s27
	s_load_b32 s4, s[4:5], 0x0
	s_addc_u32 s7, s23, s28
	v_add_co_u32 v9, s6, s6, v2
	s_delay_alu instid0(VALU_DEP_1) | instskip(SKIP_1) | instid1(VALU_DEP_1)
	v_add_co_ci_u32_e64 v10, null, s7, 0, s6
	s_waitcnt lgkmcnt(0)
	v_mad_i64_i32 v[1:2], null, s21, s17, v[9:10]
	v_mad_i64_i32 v[3:4], null, s13, s17, v[9:10]
	;; [unrolled: 1-line block ×7, first 2 shown]
	s_clause 0x9
	global_load_b128 v[57:60], v[1:2], off
	global_load_b128 v[61:64], v[1:2], off offset:16
	global_load_b128 v[41:44], v[3:4], off
	global_load_b128 v[45:48], v[3:4], off offset:16
	;; [unrolled: 2-line block ×5, first 2 shown]
	v_mad_i64_i32 v[68:69], null, s4, s17, v[9:10]
	s_clause 0x3
	global_load_b128 v[9:12], v[13:14], off
	global_load_b128 v[13:16], v[13:14], off offset:16
	global_load_b128 v[17:20], v[21:22], off
	global_load_b128 v[21:24], v[21:22], off offset:16
	s_waitcnt vmcnt(20)
	v_wmma_f32_16x16x16_bf16 v[116:123], v[49:56], v[108:115], v[100:107]
	s_clause 0x1
	global_load_b128 v[49:52], v[68:69], off
	global_load_b128 v[53:56], v[68:69], off offset:16
	v_and_b32_e32 v68, 0xe0, v0
	v_mbcnt_lo_u32_b32 v69, -1, 0
	s_delay_alu instid0(VALU_DEP_2)
	v_add_nc_u32_e32 v68, s12, v68
	s_waitcnt vmcnt(20)
	v_wmma_f32_16x16x16_bf16 v[100:107], v[76:83], v[108:115], v[100:107]
	ds_load_b128 v[76:79], v70 offset:2048
	ds_load_b128 v[80:83], v70 offset:3072
	v_xor_b32_e32 v70, 16, v69
	s_waitcnt vmcnt(0) lgkmcnt(0)
	v_or_b32_e32 v68, v68, v74
	s_barrier
	buffer_gl0_inv
	v_cmp_gt_i32_e32 vcc_lo, 32, v70
	v_or_b32_e32 v71, 4, v68
	v_or_b32_e32 v72, 6, v68
	v_cmp_gt_i32_e64 s3, s24, v68
	v_or_b32_e32 v108, 8, v68
	v_or_b32_e32 v109, 10, v68
	v_cmp_gt_i32_e64 s4, s24, v71
	v_cmp_gt_i32_e64 s5, s24, v72
	s_delay_alu instid0(VALU_DEP_4) | instskip(NEXT) | instid1(VALU_DEP_4)
	v_cmp_gt_i32_e64 s6, s24, v108
	v_cmp_gt_i32_e64 s7, s24, v109
	v_wmma_f32_16x16x16_bf16 v[116:123], v[84:91], v[76:83], v[116:123]
	v_cndmask_b32_e32 v69, v69, v70, vcc_lo
	v_or_b32_e32 v70, 2, v68
	v_wmma_f32_16x16x16_bf16 v[100:107], v[92:99], v[76:83], v[100:107]
	v_or_b32_e32 v84, 12, v68
	v_dual_mul_f32 v78, s19, v123 :: v_dual_mul_f32 v83, s19, v118
	v_dual_mul_f32 v92, s19, v117 :: v_dual_mul_f32 v93, s19, v116
	s_delay_alu instid0(VALU_DEP_4) | instskip(SKIP_2) | instid1(VALU_DEP_4)
	v_mul_f32_e32 v94, s19, v107
	v_cmp_gt_i32_e32 vcc_lo, s24, v70
	v_dual_mul_f32 v81, s19, v120 :: v_dual_mul_f32 v82, s19, v119
	v_cndmask_b32_e64 v93, 0xff7fffff, v93, s3
	v_or_b32_e32 v85, 14, v68
	v_cndmask_b32_e32 v92, 0xff7fffff, v92, vcc_lo
	v_dual_mul_f32 v79, s19, v122 :: v_dual_mul_f32 v80, s19, v121
	v_cndmask_b32_e64 v71, 0xff7fffff, v83, s4
	v_cndmask_b32_e64 v72, 0xff7fffff, v82, s5
	s_delay_alu instid0(VALU_DEP_4)
	v_max3_f32 v82, v93, 0xff7fffff, v92
	v_or_b32_e32 v86, 16, v68
	v_or_b32_e32 v87, 18, v68
	v_cndmask_b32_e64 v81, 0xff7fffff, v81, s6
	v_cndmask_b32_e64 v80, 0xff7fffff, v80, s7
	v_max3_f32 v71, v82, v71, v72
	v_cmp_gt_i32_e64 s8, s24, v84
	v_cmp_gt_i32_e64 s9, s24, v85
	v_or_b32_e32 v88, 20, v68
	v_or_b32_e32 v89, 22, v68
	;; [unrolled: 1-line block ×6, first 2 shown]
	v_dual_mul_f32 v99, s19, v102 :: v_dual_mul_f32 v70, s19, v101
	v_mul_f32_e32 v68, s19, v100
	v_cndmask_b32_e64 v72, 0xff7fffff, v79, s8
	v_cndmask_b32_e64 v78, 0xff7fffff, v78, s9
	v_max3_f32 v71, v71, v81, v80
	v_cmp_gt_i32_e64 s10, s24, v86
	v_cmp_gt_i32_e64 s11, s24, v87
	v_dual_mul_f32 v97, s19, v104 :: v_dual_mul_f32 v98, s19, v103
	s_delay_alu instid0(VALU_DEP_4) | instskip(SKIP_1) | instid1(VALU_DEP_4)
	v_max3_f32 v71, v71, v72, v78
	v_cmp_gt_i32_e64 s12, s24, v88
	v_cndmask_b32_e64 v70, 0xff7fffff, v70, s11
	v_cmp_gt_i32_e64 s13, s24, v89
	v_lshlrev_b32_e32 v89, 2, v69
	v_cndmask_b32_e64 v68, 0xff7fffff, v68, s10
	v_dual_mul_f32 v95, s19, v106 :: v_dual_mul_f32 v96, s19, v105
	v_cndmask_b32_e64 v72, 0xff7fffff, v99, s12
	v_cndmask_b32_e64 v78, 0xff7fffff, v98, s13
	s_delay_alu instid0(VALU_DEP_4)
	v_max3_f32 v68, v71, v68, v70
	v_cmp_gt_i32_e64 s15, s24, v90
	v_cmp_gt_i32_e64 s16, s24, v91
	;; [unrolled: 1-line block ×4, first 2 shown]
	v_max3_f32 v68, v68, v72, v78
	v_cndmask_b32_e64 v70, 0xff7fffff, v97, s15
	v_cndmask_b32_e64 v71, 0xff7fffff, v96, s16
	;; [unrolled: 1-line block ×4, first 2 shown]
	s_delay_alu instid0(VALU_DEP_3) | instskip(NEXT) | instid1(VALU_DEP_1)
	v_max3_f32 v68, v68, v70, v71
	v_max3_f32 v68, v68, v72, v76
	ds_bpermute_b32 v69, v89, v68
	s_waitcnt lgkmcnt(0)
	v_max_f32_e32 v69, v69, v69
	s_delay_alu instid0(VALU_DEP_1) | instskip(NEXT) | instid1(VALU_DEP_1)
	v_max_f32_e32 v68, v68, v69
	v_fma_f32 v71, s19, v118, -v68
	s_delay_alu instid0(VALU_DEP_1)
	v_mul_f32_e32 v71, 0x3fb8aa3b, v71
	v_fma_f32 v69, s19, v116, -v68
	v_fma_f32 v70, s19, v117, -v68
	;; [unrolled: 1-line block ×4, first 2 shown]
	v_exp_f32_e32 v71, v71
	s_delay_alu instid0(VALU_DEP_3) | instskip(SKIP_2) | instid1(VALU_DEP_3)
	v_dual_mul_f32 v69, 0x3fb8aa3b, v69 :: v_dual_mul_f32 v70, 0x3fb8aa3b, v70
	v_fma_f32 v78, s19, v122, -v68
	v_fma_f32 v81, s19, v105, -v68
	v_exp_f32_e32 v69, v69
	s_delay_alu instid0(VALU_DEP_3) | instskip(SKIP_1) | instid1(VALU_DEP_2)
	v_exp_f32_e32 v70, v70
	v_mul_f32_e32 v77, 0x3fb8aa3b, v76
	v_mul_f32_e32 v81, 0x3fb8aa3b, v81
	s_delay_alu instid0(TRANS32_DEP_3) | instskip(SKIP_1) | instid1(VALU_DEP_3)
	v_cndmask_b32_e64 v83, 0, v71, s4
	v_fma_f32 v71, s19, v123, -v68
	v_exp_f32_e32 v81, v81
	s_delay_alu instid0(TRANS32_DEP_3) | instskip(NEXT) | instid1(TRANS32_DEP_2)
	v_cndmask_b32_e64 v80, 0, v69, s3
	v_cndmask_b32_e32 v76, 0, v70, vcc_lo
	v_fma_f32 v69, s19, v121, -v68
	v_mul_f32_e32 v72, 0x3fb8aa3b, v72
	v_exp_f32_e32 v77, v77
	v_dual_add_f32 v70, 0, v80 :: v_dual_mul_f32 v71, 0x3fb8aa3b, v71
	s_delay_alu instid0(VALU_DEP_3) | instskip(NEXT) | instid1(VALU_DEP_3)
	v_mul_f32_e32 v69, 0x3fb8aa3b, v69
	v_exp_f32_e32 v72, v72
	s_mov_b32 s3, exec_lo
	s_delay_alu instid0(VALU_DEP_2) | instskip(NEXT) | instid1(VALU_DEP_1)
	v_exp_f32_e32 v71, v71
	v_exp_f32_e32 v69, v69
	v_cndmask_b32_e64 v86, 0, v77, s6
	v_fma_f32 v77, s19, v101, -v68
	v_add_f32_e32 v70, v70, v76
	s_delay_alu instid0(TRANS32_DEP_3) | instskip(SKIP_1) | instid1(VALU_DEP_3)
	v_cndmask_b32_e64 v85, 0, v72, s5
	v_fma_f32 v72, s19, v100, -v68
	v_dual_mul_f32 v77, 0x3fb8aa3b, v77 :: v_dual_add_f32 v70, v70, v83
	s_delay_alu instid0(TRANS32_DEP_2) | instskip(SKIP_1) | instid1(TRANS32_DEP_1)
	v_cndmask_b32_e64 v88, 0, v71, s9
	v_fma_f32 v71, s19, v104, -v68
	v_cndmask_b32_e64 v87, 0, v69, s7
	s_delay_alu instid0(VALU_DEP_4) | instskip(NEXT) | instid1(VALU_DEP_2)
	v_exp_f32_e32 v77, v77
	v_dual_add_f32 v70, v70, v85 :: v_dual_mul_f32 v71, 0x3fb8aa3b, v71
	s_delay_alu instid0(VALU_DEP_1) | instskip(SKIP_2) | instid1(VALU_DEP_3)
	v_dual_mul_f32 v72, 0x3fb8aa3b, v72 :: v_dual_add_f32 v69, v70, v86
	v_mul_f32_e32 v78, 0x3fb8aa3b, v78
	v_fma_f32 v70, s19, v102, -v68
	v_exp_f32_e32 v72, v72
	v_exp_f32_e32 v82, v71
	v_add_f32_e32 v69, v69, v87
	v_exp_f32_e32 v78, v78
	v_mul_f32_e32 v70, 0x3fb8aa3b, v70
	s_delay_alu instid0(VALU_DEP_1) | instskip(SKIP_4) | instid1(VALU_DEP_2)
	v_exp_f32_e32 v79, v70
	v_cndmask_b32_e64 v70, 0, v72, s10
	s_waitcnt_depctr 0xfff
	v_cndmask_b32_e64 v84, 0, v78, s8
	v_fma_f32 v78, s19, v103, -v68
	v_add_f32_e32 v69, v69, v84
	v_cndmask_b32_e64 v71, 0, v79, s12
	s_delay_alu instid0(VALU_DEP_2) | instskip(SKIP_2) | instid1(VALU_DEP_1)
	v_add_f32_e32 v72, v69, v88
	v_cndmask_b32_e64 v69, 0, v77, s11
	v_fma_f32 v77, s19, v106, -v68
	v_dual_mul_f32 v77, 0x3fb8aa3b, v77 :: v_dual_add_f32 v72, v72, v70
	v_mul_f32_e32 v78, 0x3fb8aa3b, v78
	s_delay_alu instid0(VALU_DEP_2) | instskip(NEXT) | instid1(VALU_DEP_2)
	v_exp_f32_e32 v90, v77
	v_add_f32_e32 v79, v72, v69
	s_delay_alu instid0(VALU_DEP_2)
	v_exp_f32_e32 v78, v78
	v_cndmask_b32_e64 v77, 0, v82, s15
	s_waitcnt_depctr 0xfff
	v_cndmask_b32_e64 v72, 0, v78, s13
	v_add_f32_e32 v78, v79, v71
	v_fma_f32 v79, s19, v107, -v68
	s_delay_alu instid0(VALU_DEP_1) | instskip(SKIP_1) | instid1(VALU_DEP_2)
	v_dual_add_f32 v82, v78, v72 :: v_dual_mul_f32 v79, 0x3fb8aa3b, v79
	v_cndmask_b32_e64 v78, 0, v81, s16
	v_add_f32_e32 v81, v82, v77
	s_delay_alu instid0(VALU_DEP_3) | instskip(SKIP_1) | instid1(VALU_DEP_2)
	v_exp_f32_e32 v82, v79
	v_cndmask_b32_e64 v79, 0, v90, s17
	v_add_f32_e32 v81, v81, v78
	s_delay_alu instid0(VALU_DEP_1) | instskip(SKIP_2) | instid1(VALU_DEP_1)
	v_add_f32_e32 v90, v81, v79
	s_waitcnt_depctr 0xfff
	v_cndmask_b32_e64 v81, 0, v82, s18
	v_add_f32_e32 v82, v90, v81
	ds_bpermute_b32 v89, v89, v82
	v_cmpx_gt_u32_e32 16, v67
	s_cbranch_execz .LBB1431_12
; %bb.11:
	v_mul_u32_u24_e32 v67, 0x44, v66
	s_delay_alu instid0(VALU_DEP_1) | instskip(SKIP_1) | instid1(VALU_DEP_1)
	v_lshl_add_u32 v67, v65, 2, v67
	s_waitcnt lgkmcnt(0)
	v_dual_add_f32 v82, v82, v89 :: v_dual_add_nc_u32 v67, 0x4000, v67
	ds_store_2addr_b32 v67, v68, v82 offset1:136
.LBB1431_12:
	s_or_b32 exec_lo, exec_lo, s3
	v_lshlrev_b32_e32 v67, 2, v65
	s_waitcnt lgkmcnt(0)
	s_barrier
	buffer_gl0_inv
	v_cmp_eq_u32_e32 vcc_lo, 1, v66
	v_add_nc_u32_e32 v82, 0x4000, v67
	v_cmp_eq_u32_e64 s3, 2, v66
	v_cmp_eq_u32_e64 s5, 7, v66
	ds_load_2addr_b32 v[89:90], v82 offset1:17
	ds_load_2addr_b32 v[91:92], v82 offset0:34 offset1:51
	ds_load_2addr_b32 v[93:94], v82 offset0:68 offset1:85
	;; [unrolled: 1-line block ×4, first 2 shown]
	s_waitcnt lgkmcnt(4)
	v_max3_f32 v67, v89, 0xff7fffff, v90
	s_waitcnt lgkmcnt(3)
	s_delay_alu instid0(VALU_DEP_1) | instskip(SKIP_1) | instid1(VALU_DEP_1)
	v_max3_f32 v67, v67, v91, v92
	s_waitcnt lgkmcnt(2)
	v_max3_f32 v67, v67, v93, v94
	s_waitcnt lgkmcnt(1)
	s_delay_alu instid0(VALU_DEP_1) | instskip(NEXT) | instid1(VALU_DEP_1)
	v_max3_f32 v67, v67, v95, v96
	v_sub_f32_e32 v93, v93, v67
	s_delay_alu instid0(VALU_DEP_1) | instskip(NEXT) | instid1(VALU_DEP_1)
	v_dual_sub_f32 v68, v89, v67 :: v_dual_mul_f32 v103, 0x3fb8aa3b, v93
	v_mul_f32_e32 v68, 0x3fb8aa3b, v68
	s_delay_alu instid0(VALU_DEP_1)
	v_exp_f32_e32 v100, v68
	v_sub_f32_e32 v68, v92, v67
	v_sub_f32_e32 v99, v90, v67
	ds_load_2addr_b32 v[89:90], v82 offset0:170 offset1:187
	v_dual_mul_f32 v102, 0x3fb8aa3b, v68 :: v_dual_mul_f32 v99, 0x3fb8aa3b, v99
	s_waitcnt lgkmcnt(1)
	v_fma_f32 v68, v100, v97, 0
	s_delay_alu instid0(VALU_DEP_2) | instskip(NEXT) | instid1(VALU_DEP_2)
	v_exp_f32_e32 v102, v102
	v_exp_f32_e32 v99, v99
	s_waitcnt_depctr 0xfff
	v_fmac_f32_e32 v68, v99, v98
	v_sub_f32_e32 v91, v91, v67
	s_delay_alu instid0(VALU_DEP_1)
	v_mul_f32_e32 v101, 0x3fb8aa3b, v91
	ds_load_2addr_b32 v[91:92], v82 offset0:204 offset1:221
	v_sub_f32_e32 v97, v94, v67
	ds_load_2addr_b32 v[93:94], v82 offset0:238 offset1:255
	s_waitcnt lgkmcnt(0)
	v_exp_f32_e32 v101, v101
	s_barrier
	buffer_gl0_inv
	v_dual_fmac_f32 v68, v101, v89 :: v_dual_sub_f32 v89, v96, v67
	v_dual_sub_f32 v82, v95, v67 :: v_dual_mul_f32 v95, 0x3fb8aa3b, v97
	v_exp_f32_e32 v97, v103
	s_delay_alu instid0(VALU_DEP_2) | instskip(NEXT) | instid1(VALU_DEP_2)
	v_dual_fmac_f32 v68, v102, v90 :: v_dual_mul_f32 v89, 0x3fb8aa3b, v89
	v_mul_f32_e32 v82, 0x3fb8aa3b, v82
	s_delay_alu instid0(VALU_DEP_3) | instskip(NEXT) | instid1(VALU_DEP_2)
	v_exp_f32_e32 v95, v95
	v_exp_f32_e32 v89, v89
	s_delay_alu instid0(VALU_DEP_1)
	v_exp_f32_e32 v82, v82
	v_fmac_f32_e32 v68, v97, v91
	s_delay_alu instid0(TRANS32_DEP_3) | instid1(VALU_DEP_1)
	v_fmac_f32_e32 v68, v95, v92
	s_waitcnt_depctr 0xfff
	v_fmac_f32_e32 v68, v82, v93
	s_delay_alu instid0(VALU_DEP_1) | instskip(NEXT) | instid1(VALU_DEP_1)
	v_fmac_f32_e32 v68, v89, v94
	v_add_f32_e32 v90, 0x358637bd, v68
	s_delay_alu instid0(VALU_DEP_1) | instskip(NEXT) | instid1(VALU_DEP_1)
	v_div_scale_f32 v91, null, v90, v90, 1.0
	v_rcp_f32_e32 v92, v91
	s_waitcnt_depctr 0xfff
	v_fma_f32 v93, -v91, v92, 1.0
	s_delay_alu instid0(VALU_DEP_1) | instskip(SKIP_1) | instid1(VALU_DEP_2)
	v_dual_fmac_f32 v92, v93, v92 :: v_dual_cndmask_b32 v93, v100, v99
	v_cmp_eq_u32_e32 vcc_lo, 3, v66
	v_cndmask_b32_e64 v93, v93, v101, s3
	v_cmp_eq_u32_e64 s3, 4, v66
	s_delay_alu instid0(VALU_DEP_2) | instskip(SKIP_1) | instid1(VALU_DEP_2)
	v_cndmask_b32_e32 v93, v93, v102, vcc_lo
	v_cmp_eq_u32_e32 vcc_lo, 5, v66
	v_cndmask_b32_e64 v93, v93, v97, s3
	v_cmp_eq_u32_e64 s3, 6, v66
	s_delay_alu instid0(VALU_DEP_2) | instskip(SKIP_1) | instid1(VALU_DEP_1)
	v_cndmask_b32_e32 v93, v93, v95, vcc_lo
	v_div_scale_f32 v94, s4, 1.0, v90, 1.0
	s_mov_b32 vcc_lo, s4
	s_delay_alu instid0(VALU_DEP_2) | instskip(NEXT) | instid1(VALU_DEP_2)
	v_cndmask_b32_e64 v82, v93, v82, s3
	v_mul_f32_e32 v96, v94, v92
	s_mov_b32 s3, exec_lo
	s_delay_alu instid0(VALU_DEP_2) | instskip(NEXT) | instid1(VALU_DEP_2)
	v_cndmask_b32_e64 v82, v82, v89, s5
	v_fma_f32 v98, -v91, v96, v94
	s_delay_alu instid0(VALU_DEP_1) | instskip(NEXT) | instid1(VALU_DEP_1)
	v_fmac_f32_e32 v96, v98, v92
	v_fma_f32 v91, -v91, v96, v94
	s_delay_alu instid0(VALU_DEP_1) | instskip(NEXT) | instid1(VALU_DEP_1)
	v_div_fmas_f32 v91, v91, v92, v96
	v_div_fixup_f32 v90, v91, v90, 1.0
	s_delay_alu instid0(VALU_DEP_1) | instskip(NEXT) | instid1(VALU_DEP_1)
	v_mul_f32_e32 v82, v82, v90
	v_mul_f32_e32 v87, v82, v87
	;; [unrolled: 1-line block ×7, first 2 shown]
	v_dual_mul_f32 v86, v82, v83 :: v_dual_and_b32 v91, 0x7f800000, v90
	v_mul_f32_e32 v85, v82, v76
                                        ; implicit-def: $vgpr76
	s_delay_alu instid0(VALU_DEP_2)
	v_cmpx_ne_u32_e32 0x7f800000, v91
	s_xor_b32 s3, exec_lo, s3
; %bb.13:
	v_bfe_u32 v76, v90, 16, 1
	s_delay_alu instid0(VALU_DEP_1)
	v_add3_u32 v76, v90, v76, 0x7fff
                                        ; implicit-def: $vgpr90
; %bb.14:
	s_and_not1_saveexec_b32 s3, s3
; %bb.15:
	v_and_b32_e32 v76, 0xffff, v90
	v_or_b32_e32 v83, 0x10000, v90
	s_delay_alu instid0(VALU_DEP_2) | instskip(NEXT) | instid1(VALU_DEP_2)
	v_cmp_eq_u32_e32 vcc_lo, 0, v76
	v_cndmask_b32_e32 v76, v83, v90, vcc_lo
; %bb.16:
	s_or_b32 exec_lo, exec_lo, s3
	v_and_b32_e32 v83, 0x7f800000, v85
	s_delay_alu instid0(VALU_DEP_1) | instskip(SKIP_1) | instid1(SALU_CYCLE_1)
	v_cmp_ne_u32_e32 vcc_lo, 0x7f800000, v83
                                        ; implicit-def: $vgpr83
	s_and_saveexec_b32 s3, vcc_lo
	s_xor_b32 s3, exec_lo, s3
; %bb.17:
	v_bfe_u32 v83, v85, 16, 1
	s_delay_alu instid0(VALU_DEP_1)
	v_add3_u32 v83, v85, v83, 0x7fff
                                        ; implicit-def: $vgpr85
; %bb.18:
	s_and_not1_saveexec_b32 s3, s3
; %bb.19:
	v_and_b32_e32 v83, 0xffff, v85
	v_or_b32_e32 v90, 0x10000, v85
	s_delay_alu instid0(VALU_DEP_2) | instskip(NEXT) | instid1(VALU_DEP_2)
	v_cmp_eq_u32_e32 vcc_lo, 0, v83
	v_cndmask_b32_e32 v83, v90, v85, vcc_lo
; %bb.20:
	s_or_b32 exec_lo, exec_lo, s3
	v_and_b32_e32 v85, 0x7f800000, v86
	s_delay_alu instid0(VALU_DEP_1) | instskip(SKIP_1) | instid1(SALU_CYCLE_1)
	v_cmp_ne_u32_e32 vcc_lo, 0x7f800000, v85
                                        ; implicit-def: $vgpr85
	s_and_saveexec_b32 s3, vcc_lo
	s_xor_b32 s3, exec_lo, s3
; %bb.21:
	v_bfe_u32 v85, v86, 16, 1
	s_delay_alu instid0(VALU_DEP_1)
	v_add3_u32 v85, v86, v85, 0x7fff
                                        ; implicit-def: $vgpr86
; %bb.22:
	s_and_not1_saveexec_b32 s3, s3
; %bb.23:
	v_and_b32_e32 v85, 0xffff, v86
	v_or_b32_e32 v90, 0x10000, v86
	s_delay_alu instid0(VALU_DEP_2) | instskip(NEXT) | instid1(VALU_DEP_2)
	v_cmp_eq_u32_e32 vcc_lo, 0, v85
	v_cndmask_b32_e32 v85, v90, v86, vcc_lo
; %bb.24:
	s_or_b32 exec_lo, exec_lo, s3
	v_and_b32_e32 v86, 0x7f800000, v89
	s_delay_alu instid0(VALU_DEP_1) | instskip(SKIP_1) | instid1(SALU_CYCLE_1)
	v_cmp_ne_u32_e32 vcc_lo, 0x7f800000, v86
                                        ; implicit-def: $vgpr86
	s_and_saveexec_b32 s3, vcc_lo
	s_xor_b32 s3, exec_lo, s3
; %bb.25:
	v_bfe_u32 v86, v89, 16, 1
	s_delay_alu instid0(VALU_DEP_1)
	v_add3_u32 v86, v89, v86, 0x7fff
                                        ; implicit-def: $vgpr89
; %bb.26:
	s_and_not1_saveexec_b32 s3, s3
; %bb.27:
	v_and_b32_e32 v86, 0xffff, v89
	v_or_b32_e32 v90, 0x10000, v89
	s_delay_alu instid0(VALU_DEP_2) | instskip(NEXT) | instid1(VALU_DEP_2)
	v_cmp_eq_u32_e32 vcc_lo, 0, v86
	v_cndmask_b32_e32 v86, v90, v89, vcc_lo
; %bb.28:
	s_or_b32 exec_lo, exec_lo, s3
	v_and_b32_e32 v89, 0x7f800000, v88
	s_delay_alu instid0(VALU_DEP_1) | instskip(SKIP_1) | instid1(SALU_CYCLE_1)
	v_cmp_ne_u32_e32 vcc_lo, 0x7f800000, v89
                                        ; implicit-def: $vgpr89
	s_and_saveexec_b32 s3, vcc_lo
	s_xor_b32 s3, exec_lo, s3
; %bb.29:
	v_bfe_u32 v89, v88, 16, 1
	s_delay_alu instid0(VALU_DEP_1)
	v_add3_u32 v89, v88, v89, 0x7fff
                                        ; implicit-def: $vgpr88
; %bb.30:
	s_and_not1_saveexec_b32 s3, s3
; %bb.31:
	v_and_b32_e32 v89, 0xffff, v88
	v_or_b32_e32 v90, 0x10000, v88
	s_delay_alu instid0(VALU_DEP_2) | instskip(NEXT) | instid1(VALU_DEP_2)
	v_cmp_eq_u32_e32 vcc_lo, 0, v89
	v_cndmask_b32_e32 v89, v90, v88, vcc_lo
; %bb.32:
	s_or_b32 exec_lo, exec_lo, s3
	v_and_b32_e32 v88, 0x7f800000, v87
	s_delay_alu instid0(VALU_DEP_1) | instskip(SKIP_1) | instid1(SALU_CYCLE_1)
	v_cmp_ne_u32_e32 vcc_lo, 0x7f800000, v88
                                        ; implicit-def: $vgpr88
	s_and_saveexec_b32 s3, vcc_lo
	s_xor_b32 s3, exec_lo, s3
; %bb.33:
	v_bfe_u32 v88, v87, 16, 1
	s_delay_alu instid0(VALU_DEP_1)
	v_add3_u32 v88, v87, v88, 0x7fff
                                        ; implicit-def: $vgpr87
; %bb.34:
	s_and_not1_saveexec_b32 s3, s3
; %bb.35:
	v_and_b32_e32 v88, 0xffff, v87
	v_or_b32_e32 v90, 0x10000, v87
	s_delay_alu instid0(VALU_DEP_2) | instskip(NEXT) | instid1(VALU_DEP_2)
	v_cmp_eq_u32_e32 vcc_lo, 0, v88
	v_cndmask_b32_e32 v88, v90, v87, vcc_lo
; %bb.36:
	s_or_b32 exec_lo, exec_lo, s3
	v_and_b32_e32 v87, 0x7f800000, v84
	s_delay_alu instid0(VALU_DEP_1) | instskip(SKIP_1) | instid1(SALU_CYCLE_1)
	v_cmp_ne_u32_e32 vcc_lo, 0x7f800000, v87
                                        ; implicit-def: $vgpr87
	s_and_saveexec_b32 s3, vcc_lo
	s_xor_b32 s3, exec_lo, s3
; %bb.37:
	v_bfe_u32 v87, v84, 16, 1
	s_delay_alu instid0(VALU_DEP_1)
	v_add3_u32 v87, v84, v87, 0x7fff
                                        ; implicit-def: $vgpr84
; %bb.38:
	s_and_not1_saveexec_b32 s3, s3
; %bb.39:
	v_and_b32_e32 v87, 0xffff, v84
	v_or_b32_e32 v90, 0x10000, v84
	s_delay_alu instid0(VALU_DEP_2) | instskip(NEXT) | instid1(VALU_DEP_2)
	v_cmp_eq_u32_e32 vcc_lo, 0, v87
	v_cndmask_b32_e32 v87, v90, v84, vcc_lo
; %bb.40:
	s_or_b32 exec_lo, exec_lo, s3
	v_and_b32_e32 v84, 0x7f800000, v80
	s_delay_alu instid0(VALU_DEP_1) | instskip(SKIP_1) | instid1(SALU_CYCLE_1)
	v_cmp_ne_u32_e32 vcc_lo, 0x7f800000, v84
                                        ; implicit-def: $vgpr84
	s_and_saveexec_b32 s3, vcc_lo
	s_xor_b32 s3, exec_lo, s3
; %bb.41:
	v_bfe_u32 v84, v80, 16, 1
	s_delay_alu instid0(VALU_DEP_1)
	v_add3_u32 v84, v80, v84, 0x7fff
                                        ; implicit-def: $vgpr80
; %bb.42:
	s_and_not1_saveexec_b32 s3, s3
; %bb.43:
	v_and_b32_e32 v84, 0xffff, v80
	v_or_b32_e32 v90, 0x10000, v80
	s_delay_alu instid0(VALU_DEP_2) | instskip(NEXT) | instid1(VALU_DEP_2)
	v_cmp_eq_u32_e32 vcc_lo, 0, v84
	v_cndmask_b32_e32 v84, v90, v80, vcc_lo
; %bb.44:
	s_or_b32 exec_lo, exec_lo, s3
	s_load_b64 s[34:35], s[0:1], 0x94
	v_lshlrev_b32_e32 v91, 4, v74
	s_delay_alu instid0(VALU_DEP_2)
	v_perm_b32 v90, v84, v87, 0x7060302
	v_dual_mul_f32 v79, v82, v79 :: v_dual_lshlrev_b32 v80, 6, v65
	v_dual_mul_f32 v77, v82, v77 :: v_dual_lshlrev_b32 v92, 11, v66
	v_mul_f32_e32 v84, v82, v70
	v_perm_b32 v89, v88, v89, 0x7060302
	v_perm_b32 v88, v86, v85, 0x7060302
	v_perm_b32 v87, v83, v76, 0x7060302
	v_mul_f32_e32 v70, v82, v81
	v_or3_b32 v76, v91, v92, v80
	v_dual_mul_f32 v78, v82, v78 :: v_dual_and_b32 v85, 0x7f800000, v84
	v_mul_f32_e32 v83, v82, v72
	v_mul_f32_e32 v81, v82, v71
	;; [unrolled: 1-line block ×3, first 2 shown]
	s_mov_b32 s3, exec_lo
	ds_store_b128 v76, v[87:90]
                                        ; implicit-def: $vgpr69
	v_cmpx_ne_u32_e32 0x7f800000, v85
	s_xor_b32 s3, exec_lo, s3
; %bb.45:
	v_bfe_u32 v69, v84, 16, 1
	s_delay_alu instid0(VALU_DEP_1)
	v_add3_u32 v69, v84, v69, 0x7fff
                                        ; implicit-def: $vgpr84
; %bb.46:
	s_and_not1_saveexec_b32 s3, s3
; %bb.47:
	v_and_b32_e32 v69, 0xffff, v84
	v_or_b32_e32 v71, 0x10000, v84
	s_delay_alu instid0(VALU_DEP_2) | instskip(NEXT) | instid1(VALU_DEP_2)
	v_cmp_eq_u32_e32 vcc_lo, 0, v69
	v_cndmask_b32_e32 v69, v71, v84, vcc_lo
; %bb.48:
	s_or_b32 exec_lo, exec_lo, s3
	v_and_b32_e32 v71, 0x7f800000, v72
	s_delay_alu instid0(VALU_DEP_1) | instskip(SKIP_1) | instid1(SALU_CYCLE_1)
	v_cmp_ne_u32_e32 vcc_lo, 0x7f800000, v71
                                        ; implicit-def: $vgpr71
	s_and_saveexec_b32 s3, vcc_lo
	s_xor_b32 s3, exec_lo, s3
; %bb.49:
	v_bfe_u32 v71, v72, 16, 1
	s_delay_alu instid0(VALU_DEP_1)
	v_add3_u32 v71, v72, v71, 0x7fff
                                        ; implicit-def: $vgpr72
; %bb.50:
	s_and_not1_saveexec_b32 s3, s3
; %bb.51:
	v_and_b32_e32 v71, 0xffff, v72
	v_or_b32_e32 v82, 0x10000, v72
	s_delay_alu instid0(VALU_DEP_2) | instskip(NEXT) | instid1(VALU_DEP_2)
	v_cmp_eq_u32_e32 vcc_lo, 0, v71
	v_cndmask_b32_e32 v71, v82, v72, vcc_lo
; %bb.52:
	s_or_b32 exec_lo, exec_lo, s3
	v_and_b32_e32 v72, 0x7f800000, v81
	s_delay_alu instid0(VALU_DEP_1) | instskip(SKIP_1) | instid1(SALU_CYCLE_1)
	v_cmp_ne_u32_e32 vcc_lo, 0x7f800000, v72
                                        ; implicit-def: $vgpr72
	s_and_saveexec_b32 s3, vcc_lo
	s_xor_b32 s3, exec_lo, s3
; %bb.53:
	v_bfe_u32 v72, v81, 16, 1
	s_delay_alu instid0(VALU_DEP_1)
	v_add3_u32 v72, v81, v72, 0x7fff
                                        ; implicit-def: $vgpr81
; %bb.54:
	s_and_not1_saveexec_b32 s3, s3
; %bb.55:
	v_and_b32_e32 v72, 0xffff, v81
	v_or_b32_e32 v82, 0x10000, v81
	s_delay_alu instid0(VALU_DEP_2) | instskip(NEXT) | instid1(VALU_DEP_2)
	v_cmp_eq_u32_e32 vcc_lo, 0, v72
	v_cndmask_b32_e32 v72, v82, v81, vcc_lo
; %bb.56:
	s_or_b32 exec_lo, exec_lo, s3
	v_and_b32_e32 v81, 0x7f800000, v83
	s_delay_alu instid0(VALU_DEP_1) | instskip(SKIP_1) | instid1(SALU_CYCLE_1)
	v_cmp_ne_u32_e32 vcc_lo, 0x7f800000, v81
                                        ; implicit-def: $vgpr81
	s_and_saveexec_b32 s3, vcc_lo
	s_xor_b32 s3, exec_lo, s3
; %bb.57:
	v_bfe_u32 v81, v83, 16, 1
	s_delay_alu instid0(VALU_DEP_1)
	v_add3_u32 v81, v83, v81, 0x7fff
                                        ; implicit-def: $vgpr83
; %bb.58:
	s_and_not1_saveexec_b32 s3, s3
; %bb.59:
	v_and_b32_e32 v81, 0xffff, v83
	v_or_b32_e32 v82, 0x10000, v83
	s_delay_alu instid0(VALU_DEP_2) | instskip(NEXT) | instid1(VALU_DEP_2)
	v_cmp_eq_u32_e32 vcc_lo, 0, v81
	v_cndmask_b32_e32 v81, v82, v83, vcc_lo
; %bb.60:
	s_or_b32 exec_lo, exec_lo, s3
	v_and_b32_e32 v82, 0x7f800000, v77
	s_delay_alu instid0(VALU_DEP_1) | instskip(SKIP_1) | instid1(SALU_CYCLE_1)
	v_cmp_ne_u32_e32 vcc_lo, 0x7f800000, v82
                                        ; implicit-def: $vgpr82
	s_and_saveexec_b32 s3, vcc_lo
	s_xor_b32 s3, exec_lo, s3
; %bb.61:
	v_bfe_u32 v82, v77, 16, 1
	s_delay_alu instid0(VALU_DEP_1)
	v_add3_u32 v82, v77, v82, 0x7fff
                                        ; implicit-def: $vgpr77
; %bb.62:
	s_and_not1_saveexec_b32 s3, s3
; %bb.63:
	v_and_b32_e32 v82, 0xffff, v77
	v_or_b32_e32 v83, 0x10000, v77
	s_delay_alu instid0(VALU_DEP_2) | instskip(NEXT) | instid1(VALU_DEP_2)
	v_cmp_eq_u32_e32 vcc_lo, 0, v82
	v_cndmask_b32_e32 v82, v83, v77, vcc_lo
; %bb.64:
	s_or_b32 exec_lo, exec_lo, s3
	v_and_b32_e32 v77, 0x7f800000, v78
	s_delay_alu instid0(VALU_DEP_1) | instskip(SKIP_1) | instid1(SALU_CYCLE_1)
	v_cmp_ne_u32_e32 vcc_lo, 0x7f800000, v77
                                        ; implicit-def: $vgpr77
	s_and_saveexec_b32 s3, vcc_lo
	s_xor_b32 s3, exec_lo, s3
; %bb.65:
	v_bfe_u32 v77, v78, 16, 1
	s_delay_alu instid0(VALU_DEP_1)
	v_add3_u32 v77, v78, v77, 0x7fff
                                        ; implicit-def: $vgpr78
; %bb.66:
	s_and_not1_saveexec_b32 s3, s3
; %bb.67:
	v_and_b32_e32 v77, 0xffff, v78
	v_or_b32_e32 v83, 0x10000, v78
	s_delay_alu instid0(VALU_DEP_2) | instskip(NEXT) | instid1(VALU_DEP_2)
	v_cmp_eq_u32_e32 vcc_lo, 0, v77
	v_cndmask_b32_e32 v77, v83, v78, vcc_lo
; %bb.68:
	s_or_b32 exec_lo, exec_lo, s3
	v_and_b32_e32 v78, 0x7f800000, v79
	s_delay_alu instid0(VALU_DEP_1) | instskip(SKIP_1) | instid1(SALU_CYCLE_1)
	v_cmp_ne_u32_e32 vcc_lo, 0x7f800000, v78
                                        ; implicit-def: $vgpr78
	s_and_saveexec_b32 s3, vcc_lo
	s_xor_b32 s3, exec_lo, s3
; %bb.69:
	v_bfe_u32 v78, v79, 16, 1
	s_delay_alu instid0(VALU_DEP_1)
	v_add3_u32 v78, v79, v78, 0x7fff
                                        ; implicit-def: $vgpr79
; %bb.70:
	s_and_not1_saveexec_b32 s3, s3
; %bb.71:
	v_and_b32_e32 v78, 0xffff, v79
	v_or_b32_e32 v83, 0x10000, v79
	s_delay_alu instid0(VALU_DEP_2) | instskip(NEXT) | instid1(VALU_DEP_2)
	v_cmp_eq_u32_e32 vcc_lo, 0, v78
	v_cndmask_b32_e32 v78, v83, v79, vcc_lo
; %bb.72:
	s_or_b32 exec_lo, exec_lo, s3
	v_and_b32_e32 v79, 0x7f800000, v70
	s_delay_alu instid0(VALU_DEP_1) | instskip(SKIP_1) | instid1(SALU_CYCLE_1)
	v_cmp_ne_u32_e32 vcc_lo, 0x7f800000, v79
                                        ; implicit-def: $vgpr79
	s_and_saveexec_b32 s3, vcc_lo
	s_xor_b32 s3, exec_lo, s3
; %bb.73:
	v_bfe_u32 v79, v70, 16, 1
	s_delay_alu instid0(VALU_DEP_1)
	v_add3_u32 v79, v70, v79, 0x7fff
                                        ; implicit-def: $vgpr70
; %bb.74:
	s_and_not1_saveexec_b32 s3, s3
; %bb.75:
	v_and_b32_e32 v79, 0xffff, v70
	v_or_b32_e32 v83, 0x10000, v70
	s_delay_alu instid0(VALU_DEP_2) | instskip(NEXT) | instid1(VALU_DEP_2)
	v_cmp_eq_u32_e32 vcc_lo, 0, v79
	v_cndmask_b32_e32 v79, v83, v70, vcc_lo
; %bb.76:
	s_or_b32 exec_lo, exec_lo, s3
	s_delay_alu instid0(VALU_DEP_1)
	v_perm_b32 v86, v79, v78, 0x7060302
	v_perm_b32 v85, v77, v82, 0x7060302
	;; [unrolled: 1-line block ×4, first 2 shown]
	v_lshl_or_b32 v82, v66, 11, v80
	ds_store_b128 v76, v[83:86] offset:1024
	s_waitcnt lgkmcnt(0)
	s_barrier
	buffer_gl0_inv
	ds_load_b128 v[69:72], v82
	ds_load_b128 v[83:86], v82 offset:16
	s_waitcnt lgkmcnt(1)
	v_lshrrev_b32_e32 v66, 16, v69
	s_waitcnt lgkmcnt(0)
	v_lshrrev_b32_e32 v91, 16, v83
	v_lshlrev_b32_e32 v78, 2, v74
	v_lshrrev_b32_e32 v95, 16, v70
	v_lshrrev_b32_e32 v98, 16, v84
	;; [unrolled: 1-line block ×4, first 2 shown]
	v_cmp_eq_u32_e32 vcc_lo, 1, v78
	v_lshrrev_b32_e32 v97, 16, v72
	v_lshrrev_b32_e32 v100, 16, v86
	v_cndmask_b32_e32 v87, v83, v91, vcc_lo
	v_or_b32_e32 v79, 1, v78
	v_cndmask_b32_e32 v81, v69, v66, vcc_lo
	v_cmp_eq_u32_e64 s4, 2, v78
	v_cmp_eq_u32_e64 s7, 3, v78
	;; [unrolled: 1-line block ×5, first 2 shown]
	v_cndmask_b32_e64 v81, v81, v70, s4
	v_cndmask_b32_e64 v87, v87, v84, s4
	v_cmp_eq_u32_e64 s8, 3, v79
	v_cndmask_b32_e64 v88, v69, v66, s3
	v_or_b32_e32 v77, 2, v78
	v_cndmask_b32_e64 v81, v81, v95, s7
	v_cndmask_b32_e64 v87, v87, v98, s7
	;; [unrolled: 1-line block ×4, first 2 shown]
	v_cmp_eq_u32_e64 s10, 5, v78
	v_cndmask_b32_e64 v81, v81, v71, s9
	v_cndmask_b32_e64 v87, v87, v85, s9
	v_cmp_eq_u32_e64 s11, 4, v79
	v_cndmask_b32_e64 v88, v88, v95, s8
	v_cmp_eq_u32_e64 s5, 1, v77
	v_cndmask_b32_e64 v89, v89, v84, s6
	v_cndmask_b32_e64 v81, v81, v96, s10
	v_cmp_eq_u32_e64 s12, 6, v78
	v_cndmask_b32_e64 v88, v88, v71, s11
	;; [unrolled: 3-line block ×3, first 2 shown]
	v_cndmask_b32_e64 v89, v89, v98, s8
	v_cndmask_b32_e64 v81, v81, v72, s12
	v_cmp_eq_u32_e64 s15, 7, v78
	v_cndmask_b32_e64 v88, v88, v96, s13
	v_cndmask_b32_e64 v87, v87, v86, s12
	v_cmp_eq_u32_e64 s16, 6, v79
	v_cmp_eq_u32_e64 s17, 2, v77
	v_cndmask_b32_e64 v89, v89, v85, s11
	v_cndmask_b32_e64 v101, v81, v97, s15
	;; [unrolled: 1-line block ×6, first 2 shown]
	v_cmp_eq_u32_e64 s18, 7, v79
	v_cmp_eq_u32_e64 s19, 3, v77
	v_cmp_eq_u32_e64 s20, 4, v77
	v_cmp_eq_u32_e64 s22, 5, v77
	v_cndmask_b32_e64 v87, v87, v84, s17
	v_cndmask_b32_e64 v103, v88, v97, s18
	;; [unrolled: 1-line block ×4, first 2 shown]
	v_or_b32_e32 v81, 3, v78
	v_cndmask_b32_e64 v93, v87, v98, s19
	v_cmp_eq_u32_e64 s24, 6, v77
	v_cndmask_b32_e64 v104, v88, v86, s16
	v_cndmask_b32_e64 v92, v89, v71, s20
	v_cmp_eq_u32_e64 s21, 1, v81
	ds_load_b128 v[87:90], v82 offset:1024
	v_cmp_eq_u32_e64 s23, 2, v81
	v_cmp_eq_u32_e64 s25, 3, v81
	v_cndmask_b32_e64 v105, v92, v96, s22
	v_cndmask_b32_e64 v66, v69, v66, s21
	;; [unrolled: 1-line block ×4, first 2 shown]
	ds_load_b128 v[91:94], v82 offset:1040
	v_cmp_eq_u32_e64 s26, 4, v81
	v_cndmask_b32_e64 v66, v66, v70, s23
	v_cmp_eq_u32_e64 s27, 7, v77
	v_cndmask_b32_e64 v70, v83, v84, s23
	v_cndmask_b32_e64 v84, v105, v72, s24
	v_cmp_eq_u32_e64 s28, 5, v81
	v_cndmask_b32_e64 v66, v66, v95, s25
	v_cmp_eq_u32_e64 s29, 6, v81
	v_cndmask_b32_e64 v70, v70, v98, s25
	v_cndmask_b32_e64 v69, v69, v99, s22
	;; [unrolled: 1-line block ×4, first 2 shown]
	s_waitcnt lgkmcnt(1)
	v_lshrrev_b32_e32 v95, 16, v87
	v_cndmask_b32_e64 v70, v70, v85, s26
	v_cndmask_b32_e64 v71, v84, v97, s27
	;; [unrolled: 1-line block ×4, first 2 shown]
	v_cndmask_b32_e32 v84, v87, v95, vcc_lo
	v_cndmask_b32_e64 v70, v70, v99, s28
	s_waitcnt lgkmcnt(0)
	v_lshrrev_b32_e32 v85, 16, v91
	v_lshrrev_b32_e32 v96, 16, v88
	v_cndmask_b32_e64 v98, v87, v95, s3
	v_cndmask_b32_e64 v84, v84, v88, s4
	;; [unrolled: 1-line block ×3, first 2 shown]
	v_cndmask_b32_e32 v99, v91, v85, vcc_lo
	v_cmp_eq_u32_e32 vcc_lo, 7, v81
	v_cndmask_b32_e64 v66, v66, v72, s29
	v_cndmask_b32_e64 v72, v84, v96, s7
	;; [unrolled: 1-line block ×3, first 2 shown]
	v_lshrrev_b32_e32 v98, 16, v92
	v_cndmask_b32_e32 v70, v70, v100, vcc_lo
	v_cndmask_b32_e64 v86, v99, v92, s4
	v_cndmask_b32_e64 v69, v69, v100, s27
	v_lshrrev_b32_e32 v100, 16, v93
	v_cndmask_b32_e64 v72, v72, v89, s9
	v_lshrrev_b32_e32 v99, 16, v89
	v_cndmask_b32_e64 v86, v86, v98, s7
	v_perm_b32 v71, v69, v71, 0x5040100
	v_cndmask_b32_e64 v84, v84, v96, s8
	s_delay_alu instid0(VALU_DEP_3) | instskip(NEXT) | instid1(VALU_DEP_2)
	v_cndmask_b32_e64 v86, v86, v93, s9
	v_cndmask_b32_e64 v84, v84, v89, s11
	s_delay_alu instid0(VALU_DEP_2) | instskip(NEXT) | instid1(VALU_DEP_1)
	v_cndmask_b32_e64 v86, v86, v100, s10
	v_cndmask_b32_e64 v69, v86, v94, s12
	;; [unrolled: 1-line block ×5, first 2 shown]
	s_delay_alu instid0(VALU_DEP_3) | instskip(NEXT) | instid1(VALU_DEP_3)
	v_cndmask_b32_e64 v86, v86, v88, s17
	v_cndmask_b32_e64 v87, v87, v88, s23
	s_delay_alu instid0(VALU_DEP_3) | instskip(NEXT) | instid1(VALU_DEP_3)
	v_cndmask_b32_e64 v88, v95, v92, s23
	v_cndmask_b32_e64 v86, v86, v96, s19
	;; [unrolled: 3-line block ×7, first 2 shown]
	s_delay_alu instid0(VALU_DEP_3) | instskip(SKIP_2) | instid1(VALU_DEP_2)
	v_cndmask_b32_e64 v88, v88, v94, s29
	v_cndmask_b32_e32 v66, v66, v97, vcc_lo
	v_cndmask_b32_e64 v97, v72, v99, s10
	v_perm_b32 v72, v70, v66, 0x5040100
	v_perm_b32 v70, v83, v103, 0x5040100
	v_cndmask_b32_e64 v103, v91, v85, s5
	v_cndmask_b32_e64 v85, v91, v85, s3
	;; [unrolled: 1-line block ×4, first 2 shown]
	v_lshrrev_b32_e32 v97, 16, v90
	v_cndmask_b32_e64 v91, v103, v92, s17
	v_cndmask_b32_e64 v85, v85, v92, s6
	;; [unrolled: 1-line block ×3, first 2 shown]
	s_mov_b32 s3, exec_lo
	v_cndmask_b32_e64 v83, v84, v97, s15
	v_cndmask_b32_e64 v91, v91, v98, s19
	;; [unrolled: 1-line block ×3, first 2 shown]
	v_lshrrev_b32_e32 v84, 16, v94
	v_cndmask_b32_e64 v66, v66, v97, s18
	v_cndmask_b32_e64 v90, v86, v97, s27
	;; [unrolled: 1-line block ×4, first 2 shown]
	v_dual_cndmask_b32 v86, v87, v97 :: v_dual_cndmask_b32 v87, v88, v84
	v_cndmask_b32_e64 v91, v69, v84, s15
	s_delay_alu instid0(VALU_DEP_4) | instskip(NEXT) | instid1(VALU_DEP_4)
	v_cndmask_b32_e64 v89, v89, v100, s22
	v_cndmask_b32_e64 v85, v85, v100, s13
	v_perm_b32 v69, v102, v101, 0x5040100
	v_perm_b32 v86, v87, v86, 0x5040100
	;; [unrolled: 1-line block ×3, first 2 shown]
	v_cndmask_b32_e64 v89, v89, v94, s24
	v_cndmask_b32_e64 v85, v85, v94, s16
	s_mul_i32 s8, s35, 6
	s_delay_alu instid0(VALU_DEP_2) | instskip(NEXT) | instid1(VALU_DEP_2)
	v_cndmask_b32_e64 v88, v89, v84, s27
	v_cndmask_b32_e64 v89, v85, v84, s18
	s_delay_alu instid0(VALU_DEP_2) | instskip(NEXT) | instid1(VALU_DEP_2)
	v_perm_b32 v85, v88, v90, 0x5040100
	v_perm_b32 v84, v89, v66, 0x5040100
	ds_store_b128 v76, v[69:72]
	ds_store_b128 v76, v[83:86] offset:1024
	v_cmpx_gt_u32_e32 6, v0
	s_cbranch_execz .LBB1431_78
; %bb.77:
	s_mul_i32 s4, s8, s30
	s_delay_alu instid0(SALU_CYCLE_1) | instskip(SKIP_1) | instid1(VALU_DEP_1)
	v_add3_u32 v69, s4, s31, v65
	s_load_b128 s[4:7], s[0:1], 0x58
	v_mad_u64_u32 v[65:66], null, v69, s34, s[14:15]
	s_delay_alu instid0(VALU_DEP_1) | instskip(NEXT) | instid1(VALU_DEP_1)
	v_ashrrev_i32_e32 v66, 31, v65
	v_lshlrev_b64 v[65:66], 2, v[65:66]
	s_waitcnt lgkmcnt(0)
	s_delay_alu instid0(VALU_DEP_1) | instskip(NEXT) | instid1(VALU_DEP_2)
	v_add_co_u32 v69, vcc_lo, s6, v65
	v_add_co_ci_u32_e32 v70, vcc_lo, s7, v66, vcc_lo
	v_add_co_u32 v65, vcc_lo, s4, v65
	v_add_co_ci_u32_e32 v66, vcc_lo, s5, v66, vcc_lo
	global_store_b32 v[69:70], v67, off
	global_store_b32 v[65:66], v68, off
.LBB1431_78:
	s_or_b32 exec_lo, exec_lo, s3
	s_waitcnt lgkmcnt(0)
	s_waitcnt_vscnt null, 0x0
	s_barrier
	buffer_gl0_inv
	ds_load_b128 v[83:86], v80
	ds_load_b128 v[87:90], v80 offset:16
	ds_load_b128 v[95:98], v80 offset:2064
	;; [unrolled: 1-line block ×3, first 2 shown]
	v_mov_b32_e32 v65, 0
	ds_load_b128 v[103:106], v80 offset:4112
	ds_load_b128 v[99:102], v80 offset:4096
	;; [unrolled: 1-line block ×4, first 2 shown]
	v_mov_b32_e32 v66, v65
	v_mov_b32_e32 v67, v65
	;; [unrolled: 1-line block ×7, first 2 shown]
	s_waitcnt lgkmcnt(6)
	s_delay_alu instid0(VALU_DEP_1)
	v_wmma_f32_16x16x16_bf16 v[65:72], v[57:64], v[83:90], v[65:72]
	ds_load_b128 v[61:64], v80 offset:8208
	ds_load_b128 v[57:60], v80 offset:8192
	s_waitcnt lgkmcnt(6)
	v_wmma_f32_16x16x16_bf16 v[65:72], v[41:48], v[91:98], v[65:72]
	ds_load_b128 v[45:48], v80 offset:10256
	ds_load_b128 v[41:44], v80 offset:10240
	s_waitcnt lgkmcnt(6)
	;; [unrolled: 4-line block ×4, first 2 shown]
	v_wmma_f32_16x16x16_bf16 v[65:72], v[1:8], v[57:64], v[65:72]
	s_waitcnt lgkmcnt(4)
	s_delay_alu instid0(VALU_DEP_1) | instskip(SKIP_1) | instid1(VALU_DEP_1)
	v_wmma_f32_16x16x16_bf16 v[65:72], v[9:16], v[41:48], v[65:72]
	s_waitcnt lgkmcnt(2)
	v_wmma_f32_16x16x16_bf16 v[65:72], v[17:24], v[33:40], v[65:72]
	s_waitcnt lgkmcnt(0)
	s_delay_alu instid0(VALU_DEP_1) | instskip(NEXT) | instid1(VALU_DEP_1)
	v_wmma_f32_16x16x16_bf16 v[65:72], v[49:56], v[25:32], v[65:72]
	v_and_b32_e32 v1, 0x7f800000, v65
	s_delay_alu instid0(VALU_DEP_1) | instskip(SKIP_1) | instid1(SALU_CYCLE_1)
	v_cmp_ne_u32_e32 vcc_lo, 0x7f800000, v1
                                        ; implicit-def: $vgpr1
	s_and_saveexec_b32 s3, vcc_lo
	s_xor_b32 s3, exec_lo, s3
; %bb.79:
	v_bfe_u32 v1, v65, 16, 1
	s_delay_alu instid0(VALU_DEP_1)
	v_add3_u32 v1, v65, v1, 0x7fff
; %bb.80:
	s_and_not1_saveexec_b32 s3, s3
; %bb.81:
	v_and_b32_e32 v1, 0xffff, v65
	v_or_b32_e32 v2, 0x10000, v65
	s_delay_alu instid0(VALU_DEP_2) | instskip(NEXT) | instid1(VALU_DEP_2)
	v_cmp_eq_u32_e32 vcc_lo, 0, v1
	v_cndmask_b32_e32 v1, v2, v65, vcc_lo
; %bb.82:
	s_or_b32 exec_lo, exec_lo, s3
	v_and_b32_e32 v2, 0x7f800000, v66
	s_delay_alu instid0(VALU_DEP_1) | instskip(SKIP_1) | instid1(SALU_CYCLE_1)
	v_cmp_ne_u32_e32 vcc_lo, 0x7f800000, v2
                                        ; implicit-def: $vgpr2
	s_and_saveexec_b32 s3, vcc_lo
	s_xor_b32 s3, exec_lo, s3
; %bb.83:
	v_bfe_u32 v2, v66, 16, 1
	s_delay_alu instid0(VALU_DEP_1)
	v_add3_u32 v2, v66, v2, 0x7fff
; %bb.84:
	s_and_not1_saveexec_b32 s3, s3
; %bb.85:
	v_and_b32_e32 v2, 0xffff, v66
	v_or_b32_e32 v3, 0x10000, v66
	s_delay_alu instid0(VALU_DEP_2) | instskip(NEXT) | instid1(VALU_DEP_2)
	v_cmp_eq_u32_e32 vcc_lo, 0, v2
	v_cndmask_b32_e32 v2, v3, v66, vcc_lo
; %bb.86:
	s_or_b32 exec_lo, exec_lo, s3
	v_and_b32_e32 v3, 0x7f800000, v67
	s_delay_alu instid0(VALU_DEP_1) | instskip(SKIP_1) | instid1(SALU_CYCLE_1)
	v_cmp_ne_u32_e32 vcc_lo, 0x7f800000, v3
                                        ; implicit-def: $vgpr3
	s_and_saveexec_b32 s3, vcc_lo
	s_xor_b32 s3, exec_lo, s3
; %bb.87:
	v_bfe_u32 v3, v67, 16, 1
	s_delay_alu instid0(VALU_DEP_1)
	v_add3_u32 v3, v67, v3, 0x7fff
; %bb.88:
	s_and_not1_saveexec_b32 s3, s3
; %bb.89:
	v_and_b32_e32 v3, 0xffff, v67
	v_or_b32_e32 v4, 0x10000, v67
	s_delay_alu instid0(VALU_DEP_2) | instskip(NEXT) | instid1(VALU_DEP_2)
	v_cmp_eq_u32_e32 vcc_lo, 0, v3
	v_cndmask_b32_e32 v3, v4, v67, vcc_lo
; %bb.90:
	s_or_b32 exec_lo, exec_lo, s3
	v_and_b32_e32 v4, 0x7f800000, v68
	s_delay_alu instid0(VALU_DEP_1) | instskip(SKIP_1) | instid1(SALU_CYCLE_1)
	v_cmp_ne_u32_e32 vcc_lo, 0x7f800000, v4
                                        ; implicit-def: $vgpr4
	s_and_saveexec_b32 s3, vcc_lo
	s_xor_b32 s3, exec_lo, s3
; %bb.91:
	v_bfe_u32 v4, v68, 16, 1
	s_delay_alu instid0(VALU_DEP_1)
	v_add3_u32 v4, v68, v4, 0x7fff
; %bb.92:
	s_and_not1_saveexec_b32 s3, s3
; %bb.93:
	v_and_b32_e32 v4, 0xffff, v68
	v_or_b32_e32 v5, 0x10000, v68
	s_delay_alu instid0(VALU_DEP_2) | instskip(NEXT) | instid1(VALU_DEP_2)
	v_cmp_eq_u32_e32 vcc_lo, 0, v4
	v_cndmask_b32_e32 v4, v5, v68, vcc_lo
; %bb.94:
	s_or_b32 exec_lo, exec_lo, s3
	v_and_b32_e32 v5, 0x7f800000, v69
	s_delay_alu instid0(VALU_DEP_1) | instskip(SKIP_1) | instid1(SALU_CYCLE_1)
	v_cmp_ne_u32_e32 vcc_lo, 0x7f800000, v5
                                        ; implicit-def: $vgpr5
	s_and_saveexec_b32 s3, vcc_lo
	s_xor_b32 s3, exec_lo, s3
; %bb.95:
	v_bfe_u32 v5, v69, 16, 1
	s_delay_alu instid0(VALU_DEP_1)
	v_add3_u32 v5, v69, v5, 0x7fff
; %bb.96:
	s_and_not1_saveexec_b32 s3, s3
; %bb.97:
	v_and_b32_e32 v5, 0xffff, v69
	v_or_b32_e32 v6, 0x10000, v69
	s_delay_alu instid0(VALU_DEP_2) | instskip(NEXT) | instid1(VALU_DEP_2)
	v_cmp_eq_u32_e32 vcc_lo, 0, v5
	v_cndmask_b32_e32 v5, v6, v69, vcc_lo
; %bb.98:
	s_or_b32 exec_lo, exec_lo, s3
	v_and_b32_e32 v6, 0x7f800000, v70
	s_delay_alu instid0(VALU_DEP_1) | instskip(SKIP_1) | instid1(SALU_CYCLE_1)
	v_cmp_ne_u32_e32 vcc_lo, 0x7f800000, v6
                                        ; implicit-def: $vgpr6
	s_and_saveexec_b32 s3, vcc_lo
	s_xor_b32 s3, exec_lo, s3
; %bb.99:
	v_bfe_u32 v6, v70, 16, 1
	s_delay_alu instid0(VALU_DEP_1)
	v_add3_u32 v6, v70, v6, 0x7fff
; %bb.100:
	s_and_not1_saveexec_b32 s3, s3
; %bb.101:
	v_and_b32_e32 v6, 0xffff, v70
	v_or_b32_e32 v7, 0x10000, v70
	s_delay_alu instid0(VALU_DEP_2) | instskip(NEXT) | instid1(VALU_DEP_2)
	v_cmp_eq_u32_e32 vcc_lo, 0, v6
	v_cndmask_b32_e32 v6, v7, v70, vcc_lo
; %bb.102:
	s_or_b32 exec_lo, exec_lo, s3
	v_and_b32_e32 v7, 0x7f800000, v71
	s_delay_alu instid0(VALU_DEP_1) | instskip(SKIP_1) | instid1(SALU_CYCLE_1)
	v_cmp_ne_u32_e32 vcc_lo, 0x7f800000, v7
                                        ; implicit-def: $vgpr7
	s_and_saveexec_b32 s3, vcc_lo
	s_xor_b32 s3, exec_lo, s3
; %bb.103:
	v_bfe_u32 v7, v71, 16, 1
	s_delay_alu instid0(VALU_DEP_1)
	v_add3_u32 v7, v71, v7, 0x7fff
; %bb.104:
	s_and_not1_saveexec_b32 s3, s3
; %bb.105:
	v_and_b32_e32 v7, 0xffff, v71
	v_or_b32_e32 v8, 0x10000, v71
	s_delay_alu instid0(VALU_DEP_2) | instskip(NEXT) | instid1(VALU_DEP_2)
	v_cmp_eq_u32_e32 vcc_lo, 0, v7
	v_cndmask_b32_e32 v7, v8, v71, vcc_lo
; %bb.106:
	s_or_b32 exec_lo, exec_lo, s3
	v_and_b32_e32 v8, 0x7f800000, v72
	s_delay_alu instid0(VALU_DEP_1) | instskip(SKIP_1) | instid1(SALU_CYCLE_1)
	v_cmp_ne_u32_e32 vcc_lo, 0x7f800000, v8
                                        ; implicit-def: $vgpr8
	s_and_saveexec_b32 s3, vcc_lo
	s_xor_b32 s3, exec_lo, s3
; %bb.107:
	v_bfe_u32 v8, v72, 16, 1
	s_delay_alu instid0(VALU_DEP_1)
	v_add3_u32 v8, v72, v8, 0x7fff
                                        ; implicit-def: $vgpr65_vgpr66_vgpr67_vgpr68_vgpr69_vgpr70_vgpr71_vgpr72
; %bb.108:
	s_and_not1_saveexec_b32 s3, s3
; %bb.109:
	v_and_b32_e32 v8, 0xffff, v72
	v_or_b32_e32 v9, 0x10000, v72
	s_delay_alu instid0(VALU_DEP_2) | instskip(NEXT) | instid1(VALU_DEP_2)
	v_cmp_eq_u32_e32 vcc_lo, 0, v8
	v_cndmask_b32_e32 v8, v9, v72, vcc_lo
; %bb.110:
	s_or_b32 exec_lo, exec_lo, s3
	s_delay_alu instid0(VALU_DEP_1)
	v_perm_b32 v7, v8, v7, 0x7060302
	v_perm_b32 v6, v6, v5, 0x7060302
	;; [unrolled: 1-line block ×4, first 2 shown]
	s_barrier
	buffer_gl0_inv
	v_cmp_eq_u32_e32 vcc_lo, 1, v78
	ds_store_b128 v76, v[4:7]
	s_waitcnt lgkmcnt(0)
	s_barrier
	buffer_gl0_inv
	ds_load_b128 v[1:4], v82
	ds_load_b128 v[5:8], v82 offset:16
	v_cmp_eq_u32_e64 s3, 1, v79
	v_cmp_eq_u32_e64 s4, 2, v78
	;; [unrolled: 1-line block ×5, first 2 shown]
	s_waitcnt lgkmcnt(1)
	v_lshrrev_b32_e32 v9, 16, v1
	s_waitcnt lgkmcnt(0)
	v_lshrrev_b32_e32 v13, 16, v5
	v_lshrrev_b32_e32 v10, 16, v2
	;; [unrolled: 1-line block ×4, first 2 shown]
	v_cndmask_b32_e64 v19, v1, v9, s3
	v_cndmask_b32_e32 v18, v5, v13, vcc_lo
	v_cndmask_b32_e64 v20, v5, v13, s3
	v_cndmask_b32_e32 v17, v1, v9, vcc_lo
	v_cmp_eq_u32_e32 vcc_lo, 2, v79
	v_lshrrev_b32_e32 v15, 16, v7
	v_cmp_eq_u32_e64 s3, 1, v77
	v_lshrrev_b32_e32 v12, 16, v4
	v_lshrrev_b32_e32 v16, 16, v8
	v_cndmask_b32_e32 v20, v20, v6, vcc_lo
	v_cndmask_b32_e64 v17, v17, v2, s4
	v_cndmask_b32_e32 v19, v19, v2, vcc_lo
	v_cndmask_b32_e64 v18, v18, v6, s4
	v_cmp_eq_u32_e32 vcc_lo, 4, v78
	v_cmp_eq_u32_e64 s4, 3, v79
	v_cndmask_b32_e64 v17, v17, v10, s5
	v_cndmask_b32_e64 v21, v1, v9, s3
	;; [unrolled: 1-line block ×5, first 2 shown]
	v_cndmask_b32_e32 v17, v17, v3, vcc_lo
	v_cndmask_b32_e64 v20, v20, v14, s4
	v_cndmask_b32_e32 v18, v18, v7, vcc_lo
	v_cmp_eq_u32_e32 vcc_lo, 4, v79
	v_cmp_eq_u32_e64 s4, 5, v79
	v_cmp_eq_u32_e64 s3, 2, v81
	v_cndmask_b32_e64 v21, v21, v2, s7
	v_cmp_eq_u32_e64 s5, 5, v78
	v_cndmask_b32_e32 v19, v19, v3, vcc_lo
	v_cndmask_b32_e32 v20, v20, v7, vcc_lo
	v_cmp_eq_u32_e32 vcc_lo, 6, v79
	s_delay_alu instid0(VALU_DEP_4) | instskip(NEXT) | instid1(VALU_DEP_4)
	v_cndmask_b32_e64 v17, v17, v11, s5
	v_cndmask_b32_e64 v19, v19, v11, s4
	s_delay_alu instid0(VALU_DEP_4) | instskip(SKIP_1) | instid1(VALU_DEP_3)
	v_cndmask_b32_e64 v20, v20, v15, s4
	v_cmp_eq_u32_e64 s4, 1, v81
	v_cndmask_b32_e32 v19, v19, v4, vcc_lo
	v_cndmask_b32_e64 v18, v18, v15, s5
	s_delay_alu instid0(VALU_DEP_3)
	v_cndmask_b32_e64 v1, v1, v9, s4
	v_cndmask_b32_e64 v5, v5, v13, s4
	v_cmp_eq_u32_e64 s4, 3, v77
	v_cndmask_b32_e64 v13, v22, v6, s7
	v_cmp_eq_u32_e64 s7, 3, v81
	v_cndmask_b32_e64 v1, v1, v2, s3
	v_cndmask_b32_e64 v2, v5, v6, s3
	;; [unrolled: 1-line block ×3, first 2 shown]
	v_cmp_eq_u32_e64 s3, 4, v77
	v_cndmask_b32_e64 v6, v13, v14, s4
	v_cndmask_b32_e64 v1, v1, v10, s7
	v_cmp_eq_u32_e64 s4, 4, v81
	v_cndmask_b32_e64 v2, v2, v14, s7
	v_cndmask_b32_e64 v5, v9, v3, s3
	;; [unrolled: 3-line block ×3, first 2 shown]
	v_cndmask_b32_e64 v2, v2, v7, s4
	v_cmp_eq_u32_e64 s3, 5, v81
	v_cmp_eq_u32_e64 s5, 6, v78
	v_cndmask_b32_e64 v5, v5, v11, s7
	v_cmp_eq_u32_e64 s4, 6, v77
	v_cndmask_b32_e64 v3, v6, v15, s7
	v_cndmask_b32_e64 v1, v1, v11, s3
	v_cmp_eq_u32_e64 s7, 6, v81
	v_cndmask_b32_e64 v2, v2, v15, s3
	v_cndmask_b32_e64 v17, v17, v4, s5
	v_cndmask_b32_e64 v18, v18, v8, s5
	v_cmp_eq_u32_e64 s5, 7, v78
	v_cndmask_b32_e64 v5, v5, v4, s4
	;; [unrolled: 4-line block ×3, first 2 shown]
	v_cmp_eq_u32_e64 s4, 7, v77
	v_cndmask_b32_e32 v4, v20, v8, vcc_lo
	v_cndmask_b32_e64 v17, v17, v12, s5
	v_cndmask_b32_e64 v19, v19, v12, s6
	;; [unrolled: 1-line block ×8, first 2 shown]
	v_cmp_gt_u32_e32 vcc_lo, 32, v0
	v_perm_b32 v4, v2, v1, 0x5040100
	v_perm_b32 v3, v3, v5, 0x5040100
	;; [unrolled: 1-line block ×4, first 2 shown]
	s_and_b32 s2, vcc_lo, s2
	ds_store_b128 v76, v[1:4]
	s_waitcnt lgkmcnt(0)
	s_barrier
	buffer_gl0_inv
	s_and_saveexec_b32 s3, s2
	s_cbranch_execz .LBB1431_2
; %bb.111:
	s_load_b64 s[0:1], s[0:1], 0x68
	s_lshl_b32 s4, s34, 6
	v_or_b32_e32 v3, s31, v74
	s_mul_i32 s2, s4, s30
	v_lshlrev_b32_e32 v0, 10, v0
	s_mul_i32 s2, s2, s8
	v_lshlrev_b32_e32 v1, 4, v75
	s_ashr_i32 s3, s2, 31
	v_mul_lo_u32 v12, v3, s4
	s_lshl_b64 s[2:3], s[2:3], 1
	v_lshlrev_b32_e32 v2, 6, v74
	v_and_b32_e32 v0, 0x3800, v0
	s_delay_alu instid0(VALU_DEP_1) | instskip(NEXT) | instid1(VALU_DEP_4)
	v_or3_b32 v8, v0, v1, v2
	v_ashrrev_i32_e32 v13, 31, v12
	ds_load_b128 v[0:3], v8
	ds_load_b128 v[4:7], v8 offset:128
	ds_load_b128 v[8:11], v8 offset:256
	s_waitcnt lgkmcnt(0)
	s_add_u32 s2, s0, s2
	s_addc_u32 s3, s1, s3
	s_lshl_b32 s0, s14, 6
	s_delay_alu instid0(SALU_CYCLE_1) | instskip(NEXT) | instid1(SALU_CYCLE_1)
	s_ashr_i32 s1, s0, 31
	s_lshl_b64 s[0:1], s[0:1], 1
	s_delay_alu instid0(SALU_CYCLE_1)
	s_add_u32 s0, s2, s0
	s_addc_u32 s1, s3, s1
	s_lshl_b32 s2, s34, 7
	v_add_co_u32 v18, s0, s0, v73
	v_add_nc_u32_e32 v14, s2, v12
	v_lshlrev_b64 v[12:13], 1, v[12:13]
	v_add_co_ci_u32_e64 v19, null, s1, 0, s0
	s_delay_alu instid0(VALU_DEP_3) | instskip(SKIP_1) | instid1(VALU_DEP_4)
	v_add_nc_u32_e32 v16, s2, v14
	v_ashrrev_i32_e32 v15, 31, v14
	v_add_co_u32 v12, vcc_lo, v18, v12
	s_delay_alu instid0(VALU_DEP_4) | instskip(NEXT) | instid1(VALU_DEP_4)
	v_add_co_ci_u32_e32 v13, vcc_lo, v19, v13, vcc_lo
	v_ashrrev_i32_e32 v17, 31, v16
	s_delay_alu instid0(VALU_DEP_4) | instskip(NEXT) | instid1(VALU_DEP_2)
	v_lshlrev_b64 v[14:15], 1, v[14:15]
	v_lshlrev_b64 v[16:17], 1, v[16:17]
	s_delay_alu instid0(VALU_DEP_2) | instskip(NEXT) | instid1(VALU_DEP_3)
	v_add_co_u32 v14, vcc_lo, v18, v14
	v_add_co_ci_u32_e32 v15, vcc_lo, v19, v15, vcc_lo
	s_delay_alu instid0(VALU_DEP_3) | instskip(NEXT) | instid1(VALU_DEP_4)
	v_add_co_u32 v16, vcc_lo, v18, v16
	v_add_co_ci_u32_e32 v17, vcc_lo, v19, v17, vcc_lo
	s_clause 0x2
	global_store_b128 v[12:13], v[0:3], off
	global_store_b128 v[14:15], v[4:7], off
	;; [unrolled: 1-line block ×3, first 2 shown]
	s_nop 0
	s_sendmsg sendmsg(MSG_DEALLOC_VGPRS)
	s_endpgm
	.section	.rodata,"a",@progbits
	.p2align	6, 0x0
	.amdhsa_kernel _Z39paged_attention_ll4mi_QKV_mfma16_kernelI14__hip_bfloat16hLN4vllm18Fp8KVCacheDataTypeE1EhLi32ELi64ELi256ELb1ELi6EL8MFMAType1EEvPKT_PKT0_S9_ifPKiSB_SB_iPKfiiiPfSE_PS4_PT2_iSD_SD_
		.amdhsa_group_segment_fixed_size 17472
		.amdhsa_private_segment_fixed_size 0
		.amdhsa_kernarg_size 400
		.amdhsa_user_sgpr_count 13
		.amdhsa_user_sgpr_dispatch_ptr 0
		.amdhsa_user_sgpr_queue_ptr 0
		.amdhsa_user_sgpr_kernarg_segment_ptr 1
		.amdhsa_user_sgpr_dispatch_id 0
		.amdhsa_user_sgpr_private_segment_size 0
		.amdhsa_wavefront_size32 1
		.amdhsa_uses_dynamic_stack 0
		.amdhsa_enable_private_segment 0
		.amdhsa_system_sgpr_workgroup_id_x 1
		.amdhsa_system_sgpr_workgroup_id_y 1
		.amdhsa_system_sgpr_workgroup_id_z 1
		.amdhsa_system_sgpr_workgroup_info 0
		.amdhsa_system_vgpr_workitem_id 0
		.amdhsa_next_free_vgpr 124
		.amdhsa_next_free_sgpr 40
		.amdhsa_reserve_vcc 1
		.amdhsa_float_round_mode_32 0
		.amdhsa_float_round_mode_16_64 0
		.amdhsa_float_denorm_mode_32 3
		.amdhsa_float_denorm_mode_16_64 3
		.amdhsa_dx10_clamp 1
		.amdhsa_ieee_mode 1
		.amdhsa_fp16_overflow 0
		.amdhsa_workgroup_processor_mode 1
		.amdhsa_memory_ordered 1
		.amdhsa_forward_progress 0
		.amdhsa_shared_vgpr_count 0
		.amdhsa_exception_fp_ieee_invalid_op 0
		.amdhsa_exception_fp_denorm_src 0
		.amdhsa_exception_fp_ieee_div_zero 0
		.amdhsa_exception_fp_ieee_overflow 0
		.amdhsa_exception_fp_ieee_underflow 0
		.amdhsa_exception_fp_ieee_inexact 0
		.amdhsa_exception_int_div_zero 0
	.end_amdhsa_kernel
	.section	.text._Z39paged_attention_ll4mi_QKV_mfma16_kernelI14__hip_bfloat16hLN4vllm18Fp8KVCacheDataTypeE1EhLi32ELi64ELi256ELb1ELi6EL8MFMAType1EEvPKT_PKT0_S9_ifPKiSB_SB_iPKfiiiPfSE_PS4_PT2_iSD_SD_,"axG",@progbits,_Z39paged_attention_ll4mi_QKV_mfma16_kernelI14__hip_bfloat16hLN4vllm18Fp8KVCacheDataTypeE1EhLi32ELi64ELi256ELb1ELi6EL8MFMAType1EEvPKT_PKT0_S9_ifPKiSB_SB_iPKfiiiPfSE_PS4_PT2_iSD_SD_,comdat
.Lfunc_end1431:
	.size	_Z39paged_attention_ll4mi_QKV_mfma16_kernelI14__hip_bfloat16hLN4vllm18Fp8KVCacheDataTypeE1EhLi32ELi64ELi256ELb1ELi6EL8MFMAType1EEvPKT_PKT0_S9_ifPKiSB_SB_iPKfiiiPfSE_PS4_PT2_iSD_SD_, .Lfunc_end1431-_Z39paged_attention_ll4mi_QKV_mfma16_kernelI14__hip_bfloat16hLN4vllm18Fp8KVCacheDataTypeE1EhLi32ELi64ELi256ELb1ELi6EL8MFMAType1EEvPKT_PKT0_S9_ifPKiSB_SB_iPKfiiiPfSE_PS4_PT2_iSD_SD_
                                        ; -- End function
	.section	.AMDGPU.csdata,"",@progbits
; Kernel info:
; codeLenInByte = 8760
; NumSgprs: 42
; NumVgprs: 124
; ScratchSize: 0
; MemoryBound: 0
; FloatMode: 240
; IeeeMode: 1
; LDSByteSize: 17472 bytes/workgroup (compile time only)
; SGPRBlocks: 5
; VGPRBlocks: 15
; NumSGPRsForWavesPerEU: 42
; NumVGPRsForWavesPerEU: 124
; Occupancy: 10
; WaveLimiterHint : 1
; COMPUTE_PGM_RSRC2:SCRATCH_EN: 0
; COMPUTE_PGM_RSRC2:USER_SGPR: 13
; COMPUTE_PGM_RSRC2:TRAP_HANDLER: 0
; COMPUTE_PGM_RSRC2:TGID_X_EN: 1
; COMPUTE_PGM_RSRC2:TGID_Y_EN: 1
; COMPUTE_PGM_RSRC2:TGID_Z_EN: 1
; COMPUTE_PGM_RSRC2:TIDIG_COMP_CNT: 0
	.section	.text._Z39paged_attention_ll4mi_QKV_mfma16_kernelI14__hip_bfloat16hLN4vllm18Fp8KVCacheDataTypeE1EhLi32ELi64ELi256ELb1ELi7EL8MFMAType1EEvPKT_PKT0_S9_ifPKiSB_SB_iPKfiiiPfSE_PS4_PT2_iSD_SD_,"axG",@progbits,_Z39paged_attention_ll4mi_QKV_mfma16_kernelI14__hip_bfloat16hLN4vllm18Fp8KVCacheDataTypeE1EhLi32ELi64ELi256ELb1ELi7EL8MFMAType1EEvPKT_PKT0_S9_ifPKiSB_SB_iPKfiiiPfSE_PS4_PT2_iSD_SD_,comdat
	.protected	_Z39paged_attention_ll4mi_QKV_mfma16_kernelI14__hip_bfloat16hLN4vllm18Fp8KVCacheDataTypeE1EhLi32ELi64ELi256ELb1ELi7EL8MFMAType1EEvPKT_PKT0_S9_ifPKiSB_SB_iPKfiiiPfSE_PS4_PT2_iSD_SD_ ; -- Begin function _Z39paged_attention_ll4mi_QKV_mfma16_kernelI14__hip_bfloat16hLN4vllm18Fp8KVCacheDataTypeE1EhLi32ELi64ELi256ELb1ELi7EL8MFMAType1EEvPKT_PKT0_S9_ifPKiSB_SB_iPKfiiiPfSE_PS4_PT2_iSD_SD_
	.globl	_Z39paged_attention_ll4mi_QKV_mfma16_kernelI14__hip_bfloat16hLN4vllm18Fp8KVCacheDataTypeE1EhLi32ELi64ELi256ELb1ELi7EL8MFMAType1EEvPKT_PKT0_S9_ifPKiSB_SB_iPKfiiiPfSE_PS4_PT2_iSD_SD_
	.p2align	8
	.type	_Z39paged_attention_ll4mi_QKV_mfma16_kernelI14__hip_bfloat16hLN4vllm18Fp8KVCacheDataTypeE1EhLi32ELi64ELi256ELb1ELi7EL8MFMAType1EEvPKT_PKT0_S9_ifPKiSB_SB_iPKfiiiPfSE_PS4_PT2_iSD_SD_,@function
_Z39paged_attention_ll4mi_QKV_mfma16_kernelI14__hip_bfloat16hLN4vllm18Fp8KVCacheDataTypeE1EhLi32ELi64ELi256ELb1ELi7EL8MFMAType1EEvPKT_PKT0_S9_ifPKiSB_SB_iPKfiiiPfSE_PS4_PT2_iSD_SD_: ; @_Z39paged_attention_ll4mi_QKV_mfma16_kernelI14__hip_bfloat16hLN4vllm18Fp8KVCacheDataTypeE1EhLi32ELi64ELi256ELb1ELi7EL8MFMAType1EEvPKT_PKT0_S9_ifPKiSB_SB_iPKfiiiPfSE_PS4_PT2_iSD_SD_
; %bb.0:
	s_load_b64 s[2:3], s[0:1], 0x30
	s_mov_b32 s34, s13
	s_waitcnt lgkmcnt(0)
	s_cmp_lg_u64 s[2:3], 0
	s_cselect_b32 s8, -1, 0
	s_ashr_i32 s35, s13, 31
	s_cmp_eq_u64 s[2:3], 0
	s_cbranch_scc1 .LBB1432_3
; %bb.1:
	s_lshl_b64 s[4:5], s[34:35], 2
	s_delay_alu instid0(SALU_CYCLE_1) | instskip(SKIP_4) | instid1(SALU_CYCLE_1)
	s_add_u32 s4, s2, s4
	s_addc_u32 s5, s3, s5
	s_load_b64 s[4:5], s[4:5], 0x0
	s_waitcnt lgkmcnt(0)
	s_sub_i32 s4, s5, s4
	s_cmp_eq_u32 s4, 1
	s_cselect_b32 s4, -1, 0
	s_delay_alu instid0(SALU_CYCLE_1)
	s_and_not1_b32 vcc_lo, exec_lo, s4
	s_cbranch_vccz .LBB1432_4
.LBB1432_2:
	s_nop 0
	s_sendmsg sendmsg(MSG_DEALLOC_VGPRS)
	s_endpgm
.LBB1432_3:
.LBB1432_4:
	s_load_b64 s[4:5], s[0:1], 0x28
	s_lshl_b64 s[6:7], s[34:35], 2
	s_waitcnt lgkmcnt(0)
	s_add_u32 s4, s4, s6
	s_addc_u32 s5, s5, s7
	s_lshl_b32 s12, s14, 8
	s_load_b32 s24, s[4:5], 0x0
	s_waitcnt lgkmcnt(0)
	s_cmp_ge_i32 s12, s24
	s_cbranch_scc1 .LBB1432_2
; %bb.5:
	s_clause 0x1
	s_load_b128 s[20:23], s[0:1], 0x8
	s_load_b64 s[4:5], s[0:1], 0x20
	s_and_not1_b32 vcc_lo, exec_lo, s8
	s_cbranch_vccnz .LBB1432_7
; %bb.6:
	s_add_u32 s2, s2, s6
	s_addc_u32 s3, s3, s7
	s_load_b32 s3, s[2:3], 0x0
	s_branch .LBB1432_8
.LBB1432_7:
	s_mov_b32 s3, s34
.LBB1432_8:
	s_load_b128 s[16:19], s[0:1], 0x48
	v_lshrrev_b32_e32 v66, 5, v0
	v_bfe_u32 v74, v0, 4, 1
	v_and_b32_e32 v65, 15, v0
	v_and_b32_e32 v67, 31, v0
	;; [unrolled: 1-line block ×3, first 2 shown]
	s_mul_i32 s31, s15, 7
	v_lshl_or_b32 v1, v66, 1, v74
	v_lshlrev_b32_e32 v2, 3, v65
	v_cmp_gt_u32_e64 s2, 8, v65
	s_delay_alu instid0(VALU_DEP_3) | instskip(NEXT) | instid1(VALU_DEP_3)
	v_cmp_gt_u32_e32 vcc_lo, 7, v1
	v_lshlrev_b32_e32 v73, 1, v2
	s_delay_alu instid0(VALU_DEP_3) | instskip(NEXT) | instid1(SALU_CYCLE_1)
	s_and_b32 s7, s2, vcc_lo
	s_and_saveexec_b32 s6, s7
	s_cbranch_execz .LBB1432_10
; %bb.9:
	s_load_b64 s[8:9], s[0:1], 0x0
	v_add_lshl_u32 v2, v1, s31, 6
	s_waitcnt lgkmcnt(0)
	s_mul_hi_i32 s11, s3, s16
	s_mul_i32 s10, s3, s16
	v_lshlrev_b32_e32 v6, 10, v65
	s_lshl_b64 s[10:11], s[10:11], 1
	v_ashrrev_i32_e32 v3, 31, v2
	v_lshlrev_b32_e32 v1, 6, v1
	v_lshlrev_b32_e32 v7, 10, v75
	v_and_b32_e32 v6, 0x3800, v6
	s_delay_alu instid0(VALU_DEP_4) | instskip(NEXT) | instid1(VALU_DEP_2)
	v_lshlrev_b64 v[2:3], 1, v[2:3]
	v_or3_b32 v1, v6, v7, v1
	s_add_u32 s3, s8, s10
	s_addc_u32 s7, s9, s11
	s_delay_alu instid0(VALU_DEP_2) | instskip(NEXT) | instid1(VALU_DEP_3)
	v_add_co_u32 v2, vcc_lo, s3, v2
	v_add_co_ci_u32_e32 v3, vcc_lo, s7, v3, vcc_lo
	s_delay_alu instid0(VALU_DEP_2) | instskip(NEXT) | instid1(VALU_DEP_2)
	v_add_co_u32 v2, vcc_lo, v2, v73
	v_add_co_ci_u32_e32 v3, vcc_lo, 0, v3, vcc_lo
	global_load_b128 v[2:5], v[2:3], off
	s_waitcnt vmcnt(0)
	ds_store_b128 v1, v[2:5]
.LBB1432_10:
	s_or_b32 exec_lo, exec_lo, s6
	v_and_b32_e32 v1, 0xef, v0
	s_waitcnt lgkmcnt(0)
	s_add_i32 s3, s24, 31
	s_clause 0x1
	s_load_b32 s6, s[0:1], 0x38
	s_load_b32 s19, s[0:1], 0x1c
	s_ashr_i32 s7, s3, 31
	v_add_nc_u32_e32 v1, s12, v1
	s_lshr_b32 s7, s7, 27
	s_waitcnt lgkmcnt(0)
	s_add_i32 s3, s3, s7
	s_barrier
	v_ashrrev_i32_e32 v2, 31, v1
	v_or_b32_e32 v3, 16, v1
	s_ashr_i32 s3, s3, 5
	v_cmp_gt_i32_e32 vcc_lo, s24, v1
	s_add_i32 s3, s3, -1
	v_lshrrev_b32_e32 v2, 27, v2
	buffer_gl0_inv
	s_mul_i32 s27, s15, s18
	v_add_nc_u32_e32 v4, v1, v2
	s_mul_i32 s6, s34, s6
	s_delay_alu instid0(SALU_CYCLE_1) | instskip(NEXT) | instid1(VALU_DEP_1)
	s_ashr_i32 s7, s6, 31
	v_ashrrev_i32_e32 v4, 5, v4
	v_add_nc_u32_e32 v2, v3, v2
	s_lshl_b64 s[6:7], s[6:7], 2
	s_delay_alu instid0(SALU_CYCLE_1) | instskip(NEXT) | instid1(VALU_DEP_2)
	s_add_u32 s26, s4, s6
	v_cndmask_b32_e32 v1, s3, v4, vcc_lo
	s_delay_alu instid0(VALU_DEP_2)
	v_ashrrev_i32_e32 v2, 5, v2
	v_cmp_gt_i32_e32 vcc_lo, s24, v3
	s_addc_u32 s25, s5, s7
	s_ashr_i32 s28, s27, 31
	s_add_u32 s4, s20, s27
	s_addc_u32 s5, s21, s28
	v_cndmask_b32_e32 v3, s3, v2, vcc_lo
	v_ashrrev_i32_e32 v2, 31, v1
	s_lshl_b32 s6, s14, 3
	s_delay_alu instid0(SALU_CYCLE_1) | instskip(NEXT) | instid1(VALU_DEP_2)
	s_ashr_i32 s7, s6, 31
	v_ashrrev_i32_e32 v4, 31, v3
	s_delay_alu instid0(VALU_DEP_2) | instskip(SKIP_1) | instid1(SALU_CYCLE_1)
	v_lshlrev_b64 v[1:2], 2, v[1:2]
	s_lshl_b64 s[6:7], s[6:7], 2
	s_add_u32 s6, s26, s6
	s_delay_alu instid0(VALU_DEP_2) | instskip(SKIP_1) | instid1(VALU_DEP_2)
	v_lshlrev_b64 v[3:4], 2, v[3:4]
	s_addc_u32 s7, s25, s7
	v_add_co_u32 v1, vcc_lo, s26, v1
	v_add_co_ci_u32_e32 v2, vcc_lo, s25, v2, vcc_lo
	s_delay_alu instid0(VALU_DEP_3) | instskip(NEXT) | instid1(VALU_DEP_4)
	v_add_co_u32 v3, vcc_lo, s26, v3
	v_add_co_ci_u32_e32 v4, vcc_lo, s25, v4, vcc_lo
	s_clause 0x1
	global_load_b32 v5, v[1:2], off
	global_load_b32 v6, v[3:4], off
	s_or_b32 s8, s12, 32
	s_delay_alu instid0(SALU_CYCLE_1) | instskip(SKIP_2) | instid1(SALU_CYCLE_1)
	s_ashr_i32 s9, s8, 5
	s_cmp_lt_i32 s8, s24
	s_cselect_b32 s8, s9, s3
	s_ashr_i32 s9, s8, 31
	s_delay_alu instid0(SALU_CYCLE_1) | instskip(NEXT) | instid1(SALU_CYCLE_1)
	s_lshl_b64 s[8:9], s[8:9], 2
	s_add_u32 s8, s26, s8
	s_addc_u32 s9, s25, s9
	s_or_b32 s10, s12, 64
	s_delay_alu instid0(SALU_CYCLE_1) | instskip(SKIP_2) | instid1(SALU_CYCLE_1)
	s_ashr_i32 s11, s10, 5
	s_cmp_lt_i32 s10, s24
	s_cselect_b32 s10, s11, s3
	s_ashr_i32 s11, s10, 31
	s_delay_alu instid0(SALU_CYCLE_1) | instskip(NEXT) | instid1(SALU_CYCLE_1)
	s_lshl_b64 s[10:11], s[10:11], 2
	s_add_u32 s10, s26, s10
	s_addc_u32 s11, s25, s11
	;; [unrolled: 10-line block ×5, first 2 shown]
	s_clause 0x5
	s_load_b32 s21, s[6:7], 0x0
	s_load_b32 s13, s[8:9], 0x0
	;; [unrolled: 1-line block ×6, first 2 shown]
	s_or_b32 s9, s12, 0xc0
	s_delay_alu instid0(SALU_CYCLE_1) | instskip(SKIP_2) | instid1(SALU_CYCLE_1)
	s_ashr_i32 s10, s9, 5
	s_cmp_lt_i32 s9, s24
	s_cselect_b32 s36, s10, s3
	s_ashr_i32 s37, s36, 31
	s_delay_alu instid0(SALU_CYCLE_1) | instskip(NEXT) | instid1(SALU_CYCLE_1)
	s_lshl_b64 s[36:37], s[36:37], 2
	s_add_u32 s36, s26, s36
	s_addc_u32 s37, s25, s37
	s_or_b32 s29, s12, 0xe0
	s_delay_alu instid0(SALU_CYCLE_1)
	s_ashr_i32 s30, s29, 5
	s_cmp_lt_i32 s29, s24
	s_waitcnt vmcnt(1)
	v_mad_i64_i32 v[1:2], null, v5, s17, s[4:5]
	s_waitcnt vmcnt(0)
	v_mad_i64_i32 v[3:4], null, v6, s17, s[4:5]
	s_mov_b32 s4, 0
	s_delay_alu instid0(SALU_CYCLE_1)
	s_mov_b32 s5, s4
	s_mov_b32 s6, s4
	;; [unrolled: 1-line block ×7, first 2 shown]
	v_lshlrev_b32_e32 v5, 4, v65
	v_dual_mov_b32 v107, s11 :: v_dual_mov_b32 v102, s6
	v_mov_b32_e32 v106, s10
	v_mov_b32_e32 v104, s8
	s_delay_alu instid0(VALU_DEP_4)
	v_add_co_u32 v1, vcc_lo, v1, v5
	v_add_co_ci_u32_e32 v2, vcc_lo, 0, v2, vcc_lo
	v_add_co_u32 v3, vcc_lo, v3, v5
	v_add_co_ci_u32_e32 v4, vcc_lo, 0, v4, vcc_lo
	s_clause 0x7
	global_load_b128 v[49:52], v[1:2], off
	global_load_b128 v[53:56], v[1:2], off offset:512
	global_load_b128 v[76:79], v[3:4], off offset:256
	;; [unrolled: 1-line block ×7, first 2 shown]
	v_mul_lo_u16 v1, v65, 37
	v_mov_b32_e32 v103, s7
	v_dual_mov_b32 v101, s5 :: v_dual_lshlrev_b32 v2, 5, v65
	v_mov_b32_e32 v100, s4
	s_delay_alu instid0(VALU_DEP_4) | instskip(NEXT) | instid1(VALU_DEP_3)
	v_lshrrev_b16 v1, 8, v1
	v_lshl_or_b32 v2, v66, 9, v2
	s_delay_alu instid0(VALU_DEP_2) | instskip(NEXT) | instid1(VALU_DEP_1)
	v_mul_lo_u16 v1, v1, 7
	v_sub_nc_u16 v1, v65, v1
	s_delay_alu instid0(VALU_DEP_1)
	v_and_b32_e32 v1, 0xff, v1
	v_mov_b32_e32 v105, s9
	s_cselect_b32 s4, s30, s3
	s_load_b32 s3, s[36:37], 0x0
	s_ashr_i32 s5, s4, 31
	v_lshlrev_b32_e32 v70, 6, v1
	s_lshl_b64 s[4:5], s[4:5], 2
	ds_load_b128 v[108:111], v70
	ds_load_b128 v[112:115], v70 offset:1024
	s_add_u32 s4, s26, s4
	s_addc_u32 s5, s25, s5
	s_add_u32 s6, s22, s27
	s_load_b32 s4, s[4:5], 0x0
	s_addc_u32 s7, s23, s28
	v_add_co_u32 v9, s6, s6, v2
	s_delay_alu instid0(VALU_DEP_1) | instskip(SKIP_1) | instid1(VALU_DEP_1)
	v_add_co_ci_u32_e64 v10, null, s7, 0, s6
	s_waitcnt lgkmcnt(0)
	v_mad_i64_i32 v[1:2], null, s21, s17, v[9:10]
	v_mad_i64_i32 v[3:4], null, s13, s17, v[9:10]
	;; [unrolled: 1-line block ×7, first 2 shown]
	s_clause 0x9
	global_load_b128 v[57:60], v[1:2], off
	global_load_b128 v[61:64], v[1:2], off offset:16
	global_load_b128 v[41:44], v[3:4], off
	global_load_b128 v[45:48], v[3:4], off offset:16
	;; [unrolled: 2-line block ×5, first 2 shown]
	v_mad_i64_i32 v[68:69], null, s4, s17, v[9:10]
	s_clause 0x3
	global_load_b128 v[9:12], v[13:14], off
	global_load_b128 v[13:16], v[13:14], off offset:16
	global_load_b128 v[17:20], v[21:22], off
	global_load_b128 v[21:24], v[21:22], off offset:16
	s_waitcnt vmcnt(20)
	v_wmma_f32_16x16x16_bf16 v[116:123], v[49:56], v[108:115], v[100:107]
	s_clause 0x1
	global_load_b128 v[49:52], v[68:69], off
	global_load_b128 v[53:56], v[68:69], off offset:16
	v_and_b32_e32 v68, 0xe0, v0
	v_mbcnt_lo_u32_b32 v69, -1, 0
	s_delay_alu instid0(VALU_DEP_2)
	v_add_nc_u32_e32 v68, s12, v68
	s_waitcnt vmcnt(20)
	v_wmma_f32_16x16x16_bf16 v[100:107], v[76:83], v[108:115], v[100:107]
	ds_load_b128 v[76:79], v70 offset:2048
	ds_load_b128 v[80:83], v70 offset:3072
	v_xor_b32_e32 v70, 16, v69
	s_waitcnt vmcnt(0) lgkmcnt(0)
	v_or_b32_e32 v68, v68, v74
	s_barrier
	buffer_gl0_inv
	v_cmp_gt_i32_e32 vcc_lo, 32, v70
	v_or_b32_e32 v71, 4, v68
	v_or_b32_e32 v72, 6, v68
	v_cmp_gt_i32_e64 s3, s24, v68
	v_or_b32_e32 v108, 8, v68
	v_or_b32_e32 v109, 10, v68
	v_cmp_gt_i32_e64 s4, s24, v71
	v_cmp_gt_i32_e64 s5, s24, v72
	s_delay_alu instid0(VALU_DEP_4) | instskip(NEXT) | instid1(VALU_DEP_4)
	v_cmp_gt_i32_e64 s6, s24, v108
	v_cmp_gt_i32_e64 s7, s24, v109
	v_wmma_f32_16x16x16_bf16 v[116:123], v[84:91], v[76:83], v[116:123]
	v_cndmask_b32_e32 v69, v69, v70, vcc_lo
	v_or_b32_e32 v70, 2, v68
	v_wmma_f32_16x16x16_bf16 v[100:107], v[92:99], v[76:83], v[100:107]
	v_or_b32_e32 v84, 12, v68
	v_dual_mul_f32 v78, s19, v123 :: v_dual_mul_f32 v83, s19, v118
	v_dual_mul_f32 v92, s19, v117 :: v_dual_mul_f32 v93, s19, v116
	s_delay_alu instid0(VALU_DEP_4) | instskip(SKIP_2) | instid1(VALU_DEP_4)
	v_mul_f32_e32 v94, s19, v107
	v_cmp_gt_i32_e32 vcc_lo, s24, v70
	v_dual_mul_f32 v81, s19, v120 :: v_dual_mul_f32 v82, s19, v119
	v_cndmask_b32_e64 v93, 0xff7fffff, v93, s3
	v_or_b32_e32 v85, 14, v68
	v_cndmask_b32_e32 v92, 0xff7fffff, v92, vcc_lo
	v_dual_mul_f32 v79, s19, v122 :: v_dual_mul_f32 v80, s19, v121
	v_cndmask_b32_e64 v71, 0xff7fffff, v83, s4
	v_cndmask_b32_e64 v72, 0xff7fffff, v82, s5
	s_delay_alu instid0(VALU_DEP_4)
	v_max3_f32 v82, v93, 0xff7fffff, v92
	v_or_b32_e32 v86, 16, v68
	v_or_b32_e32 v87, 18, v68
	v_cndmask_b32_e64 v81, 0xff7fffff, v81, s6
	v_cndmask_b32_e64 v80, 0xff7fffff, v80, s7
	v_max3_f32 v71, v82, v71, v72
	v_cmp_gt_i32_e64 s8, s24, v84
	v_cmp_gt_i32_e64 s9, s24, v85
	v_or_b32_e32 v88, 20, v68
	v_or_b32_e32 v89, 22, v68
	;; [unrolled: 1-line block ×6, first 2 shown]
	v_dual_mul_f32 v99, s19, v102 :: v_dual_mul_f32 v70, s19, v101
	v_mul_f32_e32 v68, s19, v100
	v_cndmask_b32_e64 v72, 0xff7fffff, v79, s8
	v_cndmask_b32_e64 v78, 0xff7fffff, v78, s9
	v_max3_f32 v71, v71, v81, v80
	v_cmp_gt_i32_e64 s10, s24, v86
	v_cmp_gt_i32_e64 s11, s24, v87
	v_dual_mul_f32 v97, s19, v104 :: v_dual_mul_f32 v98, s19, v103
	s_delay_alu instid0(VALU_DEP_4) | instskip(SKIP_1) | instid1(VALU_DEP_4)
	v_max3_f32 v71, v71, v72, v78
	v_cmp_gt_i32_e64 s12, s24, v88
	v_cndmask_b32_e64 v70, 0xff7fffff, v70, s11
	v_cmp_gt_i32_e64 s13, s24, v89
	v_lshlrev_b32_e32 v89, 2, v69
	v_cndmask_b32_e64 v68, 0xff7fffff, v68, s10
	v_dual_mul_f32 v95, s19, v106 :: v_dual_mul_f32 v96, s19, v105
	v_cndmask_b32_e64 v72, 0xff7fffff, v99, s12
	v_cndmask_b32_e64 v78, 0xff7fffff, v98, s13
	s_delay_alu instid0(VALU_DEP_4)
	v_max3_f32 v68, v71, v68, v70
	v_cmp_gt_i32_e64 s15, s24, v90
	v_cmp_gt_i32_e64 s16, s24, v91
	v_cmp_gt_i32_e64 s17, s24, v76
	v_cmp_gt_i32_e64 s18, s24, v77
	v_max3_f32 v68, v68, v72, v78
	v_cndmask_b32_e64 v70, 0xff7fffff, v97, s15
	v_cndmask_b32_e64 v71, 0xff7fffff, v96, s16
	;; [unrolled: 1-line block ×4, first 2 shown]
	s_delay_alu instid0(VALU_DEP_3) | instskip(NEXT) | instid1(VALU_DEP_1)
	v_max3_f32 v68, v68, v70, v71
	v_max3_f32 v68, v68, v72, v76
	ds_bpermute_b32 v69, v89, v68
	s_waitcnt lgkmcnt(0)
	v_max_f32_e32 v69, v69, v69
	s_delay_alu instid0(VALU_DEP_1) | instskip(NEXT) | instid1(VALU_DEP_1)
	v_max_f32_e32 v68, v68, v69
	v_fma_f32 v71, s19, v118, -v68
	s_delay_alu instid0(VALU_DEP_1)
	v_mul_f32_e32 v71, 0x3fb8aa3b, v71
	v_fma_f32 v69, s19, v116, -v68
	v_fma_f32 v70, s19, v117, -v68
	;; [unrolled: 1-line block ×4, first 2 shown]
	v_exp_f32_e32 v71, v71
	s_delay_alu instid0(VALU_DEP_3) | instskip(SKIP_2) | instid1(VALU_DEP_3)
	v_dual_mul_f32 v69, 0x3fb8aa3b, v69 :: v_dual_mul_f32 v70, 0x3fb8aa3b, v70
	v_fma_f32 v78, s19, v122, -v68
	v_fma_f32 v81, s19, v105, -v68
	v_exp_f32_e32 v69, v69
	s_delay_alu instid0(VALU_DEP_3) | instskip(SKIP_1) | instid1(VALU_DEP_2)
	v_exp_f32_e32 v70, v70
	v_mul_f32_e32 v77, 0x3fb8aa3b, v76
	v_mul_f32_e32 v81, 0x3fb8aa3b, v81
	s_delay_alu instid0(TRANS32_DEP_3) | instskip(SKIP_1) | instid1(VALU_DEP_3)
	v_cndmask_b32_e64 v83, 0, v71, s4
	v_fma_f32 v71, s19, v123, -v68
	v_exp_f32_e32 v81, v81
	s_delay_alu instid0(TRANS32_DEP_3) | instskip(NEXT) | instid1(TRANS32_DEP_2)
	v_cndmask_b32_e64 v80, 0, v69, s3
	v_cndmask_b32_e32 v76, 0, v70, vcc_lo
	v_fma_f32 v69, s19, v121, -v68
	v_mul_f32_e32 v72, 0x3fb8aa3b, v72
	v_exp_f32_e32 v77, v77
	v_dual_add_f32 v70, 0, v80 :: v_dual_mul_f32 v71, 0x3fb8aa3b, v71
	s_delay_alu instid0(VALU_DEP_3) | instskip(NEXT) | instid1(VALU_DEP_3)
	v_mul_f32_e32 v69, 0x3fb8aa3b, v69
	v_exp_f32_e32 v72, v72
	v_cmp_gt_u32_e64 s3, 16, v67
	s_delay_alu instid0(VALU_DEP_3) | instskip(NEXT) | instid1(VALU_DEP_2)
	v_exp_f32_e32 v71, v71
	v_exp_f32_e32 v69, v69
	v_cndmask_b32_e64 v86, 0, v77, s6
	v_fma_f32 v77, s19, v101, -v68
	v_add_f32_e32 v70, v70, v76
	s_delay_alu instid0(TRANS32_DEP_3) | instskip(SKIP_1) | instid1(VALU_DEP_3)
	v_cndmask_b32_e64 v85, 0, v72, s5
	v_fma_f32 v72, s19, v100, -v68
	v_dual_mul_f32 v77, 0x3fb8aa3b, v77 :: v_dual_add_f32 v70, v70, v83
	s_delay_alu instid0(TRANS32_DEP_2) | instskip(SKIP_1) | instid1(TRANS32_DEP_1)
	v_cndmask_b32_e64 v88, 0, v71, s9
	v_fma_f32 v71, s19, v104, -v68
	v_cndmask_b32_e64 v87, 0, v69, s7
	s_delay_alu instid0(VALU_DEP_4) | instskip(NEXT) | instid1(VALU_DEP_2)
	v_exp_f32_e32 v77, v77
	v_dual_add_f32 v70, v70, v85 :: v_dual_mul_f32 v71, 0x3fb8aa3b, v71
	s_delay_alu instid0(VALU_DEP_1) | instskip(SKIP_2) | instid1(VALU_DEP_3)
	v_dual_mul_f32 v72, 0x3fb8aa3b, v72 :: v_dual_add_f32 v69, v70, v86
	v_mul_f32_e32 v78, 0x3fb8aa3b, v78
	v_fma_f32 v70, s19, v102, -v68
	v_exp_f32_e32 v72, v72
	v_exp_f32_e32 v82, v71
	v_add_f32_e32 v69, v69, v87
	v_exp_f32_e32 v78, v78
	v_mul_f32_e32 v70, 0x3fb8aa3b, v70
	s_delay_alu instid0(VALU_DEP_1) | instskip(SKIP_4) | instid1(VALU_DEP_2)
	v_exp_f32_e32 v79, v70
	v_cndmask_b32_e64 v70, 0, v72, s10
	s_waitcnt_depctr 0xfff
	v_cndmask_b32_e64 v84, 0, v78, s8
	v_fma_f32 v78, s19, v103, -v68
	v_add_f32_e32 v69, v69, v84
	v_cndmask_b32_e64 v71, 0, v79, s12
	s_delay_alu instid0(VALU_DEP_2) | instskip(SKIP_2) | instid1(VALU_DEP_1)
	v_add_f32_e32 v72, v69, v88
	v_cndmask_b32_e64 v69, 0, v77, s11
	v_fma_f32 v77, s19, v106, -v68
	v_dual_mul_f32 v77, 0x3fb8aa3b, v77 :: v_dual_add_f32 v72, v72, v70
	v_mul_f32_e32 v78, 0x3fb8aa3b, v78
	s_delay_alu instid0(VALU_DEP_2) | instskip(NEXT) | instid1(VALU_DEP_2)
	v_exp_f32_e32 v90, v77
	v_add_f32_e32 v79, v72, v69
	s_delay_alu instid0(VALU_DEP_2)
	v_exp_f32_e32 v78, v78
	v_cndmask_b32_e64 v77, 0, v82, s15
	s_waitcnt_depctr 0xfff
	v_cndmask_b32_e64 v72, 0, v78, s13
	v_add_f32_e32 v78, v79, v71
	v_fma_f32 v79, s19, v107, -v68
	s_delay_alu instid0(VALU_DEP_1) | instskip(SKIP_1) | instid1(VALU_DEP_2)
	v_dual_add_f32 v82, v78, v72 :: v_dual_mul_f32 v79, 0x3fb8aa3b, v79
	v_cndmask_b32_e64 v78, 0, v81, s16
	v_add_f32_e32 v81, v82, v77
	s_delay_alu instid0(VALU_DEP_3) | instskip(SKIP_1) | instid1(VALU_DEP_2)
	v_exp_f32_e32 v82, v79
	v_cndmask_b32_e64 v79, 0, v90, s17
	v_add_f32_e32 v81, v81, v78
	s_delay_alu instid0(VALU_DEP_1) | instskip(SKIP_2) | instid1(VALU_DEP_1)
	v_add_f32_e32 v90, v81, v79
	s_waitcnt_depctr 0xfff
	v_cndmask_b32_e64 v81, 0, v82, s18
	v_add_f32_e32 v82, v90, v81
	ds_bpermute_b32 v89, v89, v82
	s_and_saveexec_b32 s4, s3
	s_cbranch_execz .LBB1432_12
; %bb.11:
	v_mul_u32_u24_e32 v67, 0x44, v66
	s_delay_alu instid0(VALU_DEP_1) | instskip(SKIP_1) | instid1(VALU_DEP_1)
	v_lshl_add_u32 v67, v65, 2, v67
	s_waitcnt lgkmcnt(0)
	v_dual_add_f32 v82, v82, v89 :: v_dual_add_nc_u32 v67, 0x4000, v67
	ds_store_2addr_b32 v67, v68, v82 offset1:136
.LBB1432_12:
	s_or_b32 exec_lo, exec_lo, s4
	v_lshlrev_b32_e32 v67, 2, v65
	s_waitcnt lgkmcnt(0)
	s_barrier
	buffer_gl0_inv
	v_cmp_eq_u32_e32 vcc_lo, 1, v66
	v_add_nc_u32_e32 v82, 0x4000, v67
	v_cmp_eq_u32_e64 s4, 2, v66
	v_cmp_eq_u32_e64 s6, 7, v66
	ds_load_2addr_b32 v[89:90], v82 offset1:17
	ds_load_2addr_b32 v[91:92], v82 offset0:34 offset1:51
	ds_load_2addr_b32 v[93:94], v82 offset0:68 offset1:85
	;; [unrolled: 1-line block ×4, first 2 shown]
	s_waitcnt lgkmcnt(4)
	v_max3_f32 v67, v89, 0xff7fffff, v90
	s_waitcnt lgkmcnt(3)
	s_delay_alu instid0(VALU_DEP_1) | instskip(SKIP_1) | instid1(VALU_DEP_1)
	v_max3_f32 v67, v67, v91, v92
	s_waitcnt lgkmcnt(2)
	v_max3_f32 v67, v67, v93, v94
	s_waitcnt lgkmcnt(1)
	s_delay_alu instid0(VALU_DEP_1) | instskip(NEXT) | instid1(VALU_DEP_1)
	v_max3_f32 v67, v67, v95, v96
	v_sub_f32_e32 v93, v93, v67
	s_delay_alu instid0(VALU_DEP_1) | instskip(NEXT) | instid1(VALU_DEP_1)
	v_dual_sub_f32 v68, v89, v67 :: v_dual_mul_f32 v103, 0x3fb8aa3b, v93
	v_mul_f32_e32 v68, 0x3fb8aa3b, v68
	s_delay_alu instid0(VALU_DEP_1)
	v_exp_f32_e32 v100, v68
	v_sub_f32_e32 v68, v92, v67
	v_sub_f32_e32 v99, v90, v67
	ds_load_2addr_b32 v[89:90], v82 offset0:170 offset1:187
	v_dual_mul_f32 v102, 0x3fb8aa3b, v68 :: v_dual_mul_f32 v99, 0x3fb8aa3b, v99
	s_waitcnt lgkmcnt(1)
	v_fma_f32 v68, v100, v97, 0
	s_delay_alu instid0(VALU_DEP_2) | instskip(NEXT) | instid1(VALU_DEP_2)
	v_exp_f32_e32 v102, v102
	v_exp_f32_e32 v99, v99
	s_waitcnt_depctr 0xfff
	v_fmac_f32_e32 v68, v99, v98
	v_sub_f32_e32 v91, v91, v67
	s_delay_alu instid0(VALU_DEP_1)
	v_mul_f32_e32 v101, 0x3fb8aa3b, v91
	ds_load_2addr_b32 v[91:92], v82 offset0:204 offset1:221
	v_sub_f32_e32 v97, v94, v67
	ds_load_2addr_b32 v[93:94], v82 offset0:238 offset1:255
	s_waitcnt lgkmcnt(0)
	v_exp_f32_e32 v101, v101
	s_barrier
	buffer_gl0_inv
	v_dual_fmac_f32 v68, v101, v89 :: v_dual_sub_f32 v89, v96, v67
	v_dual_sub_f32 v82, v95, v67 :: v_dual_mul_f32 v95, 0x3fb8aa3b, v97
	v_exp_f32_e32 v97, v103
	s_delay_alu instid0(VALU_DEP_2) | instskip(NEXT) | instid1(VALU_DEP_2)
	v_dual_fmac_f32 v68, v102, v90 :: v_dual_mul_f32 v89, 0x3fb8aa3b, v89
	v_mul_f32_e32 v82, 0x3fb8aa3b, v82
	s_delay_alu instid0(VALU_DEP_3) | instskip(NEXT) | instid1(VALU_DEP_2)
	v_exp_f32_e32 v95, v95
	v_exp_f32_e32 v89, v89
	s_delay_alu instid0(VALU_DEP_1)
	v_exp_f32_e32 v82, v82
	v_fmac_f32_e32 v68, v97, v91
	s_delay_alu instid0(TRANS32_DEP_3) | instid1(VALU_DEP_1)
	v_fmac_f32_e32 v68, v95, v92
	s_waitcnt_depctr 0xfff
	v_fmac_f32_e32 v68, v82, v93
	s_delay_alu instid0(VALU_DEP_1) | instskip(NEXT) | instid1(VALU_DEP_1)
	v_fmac_f32_e32 v68, v89, v94
	v_add_f32_e32 v90, 0x358637bd, v68
	s_delay_alu instid0(VALU_DEP_1) | instskip(NEXT) | instid1(VALU_DEP_1)
	v_div_scale_f32 v91, null, v90, v90, 1.0
	v_rcp_f32_e32 v92, v91
	s_waitcnt_depctr 0xfff
	v_fma_f32 v93, -v91, v92, 1.0
	s_delay_alu instid0(VALU_DEP_1) | instskip(SKIP_1) | instid1(VALU_DEP_2)
	v_dual_fmac_f32 v92, v93, v92 :: v_dual_cndmask_b32 v93, v100, v99
	v_cmp_eq_u32_e32 vcc_lo, 3, v66
	v_cndmask_b32_e64 v93, v93, v101, s4
	v_cmp_eq_u32_e64 s4, 4, v66
	s_delay_alu instid0(VALU_DEP_2) | instskip(SKIP_1) | instid1(VALU_DEP_2)
	v_cndmask_b32_e32 v93, v93, v102, vcc_lo
	v_cmp_eq_u32_e32 vcc_lo, 5, v66
	v_cndmask_b32_e64 v93, v93, v97, s4
	v_cmp_eq_u32_e64 s4, 6, v66
	s_delay_alu instid0(VALU_DEP_2) | instskip(SKIP_1) | instid1(VALU_DEP_1)
	v_cndmask_b32_e32 v93, v93, v95, vcc_lo
	v_div_scale_f32 v94, s5, 1.0, v90, 1.0
	s_mov_b32 vcc_lo, s5
	s_delay_alu instid0(VALU_DEP_2) | instskip(NEXT) | instid1(VALU_DEP_2)
	v_cndmask_b32_e64 v82, v93, v82, s4
	v_mul_f32_e32 v96, v94, v92
	s_mov_b32 s4, exec_lo
	s_delay_alu instid0(VALU_DEP_2) | instskip(NEXT) | instid1(VALU_DEP_2)
	v_cndmask_b32_e64 v82, v82, v89, s6
	v_fma_f32 v98, -v91, v96, v94
	s_delay_alu instid0(VALU_DEP_1) | instskip(NEXT) | instid1(VALU_DEP_1)
	v_fmac_f32_e32 v96, v98, v92
	v_fma_f32 v91, -v91, v96, v94
	s_delay_alu instid0(VALU_DEP_1) | instskip(NEXT) | instid1(VALU_DEP_1)
	v_div_fmas_f32 v91, v91, v92, v96
	v_div_fixup_f32 v90, v91, v90, 1.0
	s_delay_alu instid0(VALU_DEP_1) | instskip(NEXT) | instid1(VALU_DEP_1)
	v_mul_f32_e32 v82, v82, v90
	v_mul_f32_e32 v87, v82, v87
	;; [unrolled: 1-line block ×7, first 2 shown]
	v_dual_mul_f32 v86, v82, v83 :: v_dual_and_b32 v91, 0x7f800000, v90
	v_mul_f32_e32 v85, v82, v76
                                        ; implicit-def: $vgpr76
	s_delay_alu instid0(VALU_DEP_2)
	v_cmpx_ne_u32_e32 0x7f800000, v91
	s_xor_b32 s4, exec_lo, s4
; %bb.13:
	v_bfe_u32 v76, v90, 16, 1
	s_delay_alu instid0(VALU_DEP_1)
	v_add3_u32 v76, v90, v76, 0x7fff
                                        ; implicit-def: $vgpr90
; %bb.14:
	s_and_not1_saveexec_b32 s4, s4
; %bb.15:
	v_and_b32_e32 v76, 0xffff, v90
	v_or_b32_e32 v83, 0x10000, v90
	s_delay_alu instid0(VALU_DEP_2) | instskip(NEXT) | instid1(VALU_DEP_2)
	v_cmp_eq_u32_e32 vcc_lo, 0, v76
	v_cndmask_b32_e32 v76, v83, v90, vcc_lo
; %bb.16:
	s_or_b32 exec_lo, exec_lo, s4
	v_and_b32_e32 v83, 0x7f800000, v85
	s_delay_alu instid0(VALU_DEP_1) | instskip(SKIP_1) | instid1(SALU_CYCLE_1)
	v_cmp_ne_u32_e32 vcc_lo, 0x7f800000, v83
                                        ; implicit-def: $vgpr83
	s_and_saveexec_b32 s4, vcc_lo
	s_xor_b32 s4, exec_lo, s4
; %bb.17:
	v_bfe_u32 v83, v85, 16, 1
	s_delay_alu instid0(VALU_DEP_1)
	v_add3_u32 v83, v85, v83, 0x7fff
                                        ; implicit-def: $vgpr85
; %bb.18:
	s_and_not1_saveexec_b32 s4, s4
; %bb.19:
	v_and_b32_e32 v83, 0xffff, v85
	v_or_b32_e32 v90, 0x10000, v85
	s_delay_alu instid0(VALU_DEP_2) | instskip(NEXT) | instid1(VALU_DEP_2)
	v_cmp_eq_u32_e32 vcc_lo, 0, v83
	v_cndmask_b32_e32 v83, v90, v85, vcc_lo
; %bb.20:
	s_or_b32 exec_lo, exec_lo, s4
	v_and_b32_e32 v85, 0x7f800000, v86
	s_delay_alu instid0(VALU_DEP_1) | instskip(SKIP_1) | instid1(SALU_CYCLE_1)
	v_cmp_ne_u32_e32 vcc_lo, 0x7f800000, v85
                                        ; implicit-def: $vgpr85
	s_and_saveexec_b32 s4, vcc_lo
	s_xor_b32 s4, exec_lo, s4
; %bb.21:
	v_bfe_u32 v85, v86, 16, 1
	s_delay_alu instid0(VALU_DEP_1)
	v_add3_u32 v85, v86, v85, 0x7fff
                                        ; implicit-def: $vgpr86
; %bb.22:
	s_and_not1_saveexec_b32 s4, s4
; %bb.23:
	v_and_b32_e32 v85, 0xffff, v86
	v_or_b32_e32 v90, 0x10000, v86
	s_delay_alu instid0(VALU_DEP_2) | instskip(NEXT) | instid1(VALU_DEP_2)
	v_cmp_eq_u32_e32 vcc_lo, 0, v85
	v_cndmask_b32_e32 v85, v90, v86, vcc_lo
; %bb.24:
	s_or_b32 exec_lo, exec_lo, s4
	v_and_b32_e32 v86, 0x7f800000, v89
	s_delay_alu instid0(VALU_DEP_1) | instskip(SKIP_1) | instid1(SALU_CYCLE_1)
	v_cmp_ne_u32_e32 vcc_lo, 0x7f800000, v86
                                        ; implicit-def: $vgpr86
	s_and_saveexec_b32 s4, vcc_lo
	s_xor_b32 s4, exec_lo, s4
; %bb.25:
	v_bfe_u32 v86, v89, 16, 1
	s_delay_alu instid0(VALU_DEP_1)
	v_add3_u32 v86, v89, v86, 0x7fff
                                        ; implicit-def: $vgpr89
; %bb.26:
	s_and_not1_saveexec_b32 s4, s4
; %bb.27:
	v_and_b32_e32 v86, 0xffff, v89
	v_or_b32_e32 v90, 0x10000, v89
	s_delay_alu instid0(VALU_DEP_2) | instskip(NEXT) | instid1(VALU_DEP_2)
	v_cmp_eq_u32_e32 vcc_lo, 0, v86
	v_cndmask_b32_e32 v86, v90, v89, vcc_lo
; %bb.28:
	s_or_b32 exec_lo, exec_lo, s4
	v_and_b32_e32 v89, 0x7f800000, v88
	s_delay_alu instid0(VALU_DEP_1) | instskip(SKIP_1) | instid1(SALU_CYCLE_1)
	v_cmp_ne_u32_e32 vcc_lo, 0x7f800000, v89
                                        ; implicit-def: $vgpr89
	s_and_saveexec_b32 s4, vcc_lo
	s_xor_b32 s4, exec_lo, s4
; %bb.29:
	v_bfe_u32 v89, v88, 16, 1
	s_delay_alu instid0(VALU_DEP_1)
	v_add3_u32 v89, v88, v89, 0x7fff
                                        ; implicit-def: $vgpr88
; %bb.30:
	s_and_not1_saveexec_b32 s4, s4
; %bb.31:
	v_and_b32_e32 v89, 0xffff, v88
	v_or_b32_e32 v90, 0x10000, v88
	s_delay_alu instid0(VALU_DEP_2) | instskip(NEXT) | instid1(VALU_DEP_2)
	v_cmp_eq_u32_e32 vcc_lo, 0, v89
	v_cndmask_b32_e32 v89, v90, v88, vcc_lo
; %bb.32:
	s_or_b32 exec_lo, exec_lo, s4
	v_and_b32_e32 v88, 0x7f800000, v87
	s_delay_alu instid0(VALU_DEP_1) | instskip(SKIP_1) | instid1(SALU_CYCLE_1)
	v_cmp_ne_u32_e32 vcc_lo, 0x7f800000, v88
                                        ; implicit-def: $vgpr88
	s_and_saveexec_b32 s4, vcc_lo
	s_xor_b32 s4, exec_lo, s4
; %bb.33:
	v_bfe_u32 v88, v87, 16, 1
	s_delay_alu instid0(VALU_DEP_1)
	v_add3_u32 v88, v87, v88, 0x7fff
                                        ; implicit-def: $vgpr87
; %bb.34:
	s_and_not1_saveexec_b32 s4, s4
; %bb.35:
	v_and_b32_e32 v88, 0xffff, v87
	v_or_b32_e32 v90, 0x10000, v87
	s_delay_alu instid0(VALU_DEP_2) | instskip(NEXT) | instid1(VALU_DEP_2)
	v_cmp_eq_u32_e32 vcc_lo, 0, v88
	v_cndmask_b32_e32 v88, v90, v87, vcc_lo
; %bb.36:
	s_or_b32 exec_lo, exec_lo, s4
	v_and_b32_e32 v87, 0x7f800000, v84
	s_delay_alu instid0(VALU_DEP_1) | instskip(SKIP_1) | instid1(SALU_CYCLE_1)
	v_cmp_ne_u32_e32 vcc_lo, 0x7f800000, v87
                                        ; implicit-def: $vgpr87
	s_and_saveexec_b32 s4, vcc_lo
	s_xor_b32 s4, exec_lo, s4
; %bb.37:
	v_bfe_u32 v87, v84, 16, 1
	s_delay_alu instid0(VALU_DEP_1)
	v_add3_u32 v87, v84, v87, 0x7fff
                                        ; implicit-def: $vgpr84
; %bb.38:
	s_and_not1_saveexec_b32 s4, s4
; %bb.39:
	v_and_b32_e32 v87, 0xffff, v84
	v_or_b32_e32 v90, 0x10000, v84
	s_delay_alu instid0(VALU_DEP_2) | instskip(NEXT) | instid1(VALU_DEP_2)
	v_cmp_eq_u32_e32 vcc_lo, 0, v87
	v_cndmask_b32_e32 v87, v90, v84, vcc_lo
; %bb.40:
	s_or_b32 exec_lo, exec_lo, s4
	v_and_b32_e32 v84, 0x7f800000, v80
	s_delay_alu instid0(VALU_DEP_1) | instskip(SKIP_1) | instid1(SALU_CYCLE_1)
	v_cmp_ne_u32_e32 vcc_lo, 0x7f800000, v84
                                        ; implicit-def: $vgpr84
	s_and_saveexec_b32 s4, vcc_lo
	s_xor_b32 s4, exec_lo, s4
; %bb.41:
	v_bfe_u32 v84, v80, 16, 1
	s_delay_alu instid0(VALU_DEP_1)
	v_add3_u32 v84, v80, v84, 0x7fff
                                        ; implicit-def: $vgpr80
; %bb.42:
	s_and_not1_saveexec_b32 s4, s4
; %bb.43:
	v_and_b32_e32 v84, 0xffff, v80
	v_or_b32_e32 v90, 0x10000, v80
	s_delay_alu instid0(VALU_DEP_2) | instskip(NEXT) | instid1(VALU_DEP_2)
	v_cmp_eq_u32_e32 vcc_lo, 0, v84
	v_cndmask_b32_e32 v84, v90, v80, vcc_lo
; %bb.44:
	s_or_b32 exec_lo, exec_lo, s4
	s_load_b64 s[36:37], s[0:1], 0x94
	v_lshlrev_b32_e32 v91, 4, v74
	s_delay_alu instid0(VALU_DEP_2)
	v_perm_b32 v90, v84, v87, 0x7060302
	v_dual_mul_f32 v79, v82, v79 :: v_dual_lshlrev_b32 v80, 6, v65
	v_dual_mul_f32 v77, v82, v77 :: v_dual_lshlrev_b32 v92, 11, v66
	v_mul_f32_e32 v84, v82, v70
	v_perm_b32 v89, v88, v89, 0x7060302
	v_perm_b32 v88, v86, v85, 0x7060302
	;; [unrolled: 1-line block ×3, first 2 shown]
	v_mul_f32_e32 v70, v82, v81
	v_or3_b32 v76, v91, v92, v80
	v_dual_mul_f32 v78, v82, v78 :: v_dual_and_b32 v85, 0x7f800000, v84
	v_mul_f32_e32 v83, v82, v72
	v_mul_f32_e32 v81, v82, v71
	;; [unrolled: 1-line block ×3, first 2 shown]
	s_mov_b32 s4, exec_lo
	ds_store_b128 v76, v[87:90]
                                        ; implicit-def: $vgpr69
	v_cmpx_ne_u32_e32 0x7f800000, v85
	s_xor_b32 s4, exec_lo, s4
; %bb.45:
	v_bfe_u32 v69, v84, 16, 1
	s_delay_alu instid0(VALU_DEP_1)
	v_add3_u32 v69, v84, v69, 0x7fff
                                        ; implicit-def: $vgpr84
; %bb.46:
	s_and_not1_saveexec_b32 s4, s4
; %bb.47:
	v_and_b32_e32 v69, 0xffff, v84
	v_or_b32_e32 v71, 0x10000, v84
	s_delay_alu instid0(VALU_DEP_2) | instskip(NEXT) | instid1(VALU_DEP_2)
	v_cmp_eq_u32_e32 vcc_lo, 0, v69
	v_cndmask_b32_e32 v69, v71, v84, vcc_lo
; %bb.48:
	s_or_b32 exec_lo, exec_lo, s4
	v_and_b32_e32 v71, 0x7f800000, v72
	s_delay_alu instid0(VALU_DEP_1) | instskip(SKIP_1) | instid1(SALU_CYCLE_1)
	v_cmp_ne_u32_e32 vcc_lo, 0x7f800000, v71
                                        ; implicit-def: $vgpr71
	s_and_saveexec_b32 s4, vcc_lo
	s_xor_b32 s4, exec_lo, s4
; %bb.49:
	v_bfe_u32 v71, v72, 16, 1
	s_delay_alu instid0(VALU_DEP_1)
	v_add3_u32 v71, v72, v71, 0x7fff
                                        ; implicit-def: $vgpr72
; %bb.50:
	s_and_not1_saveexec_b32 s4, s4
; %bb.51:
	v_and_b32_e32 v71, 0xffff, v72
	v_or_b32_e32 v82, 0x10000, v72
	s_delay_alu instid0(VALU_DEP_2) | instskip(NEXT) | instid1(VALU_DEP_2)
	v_cmp_eq_u32_e32 vcc_lo, 0, v71
	v_cndmask_b32_e32 v71, v82, v72, vcc_lo
; %bb.52:
	s_or_b32 exec_lo, exec_lo, s4
	v_and_b32_e32 v72, 0x7f800000, v81
	s_delay_alu instid0(VALU_DEP_1) | instskip(SKIP_1) | instid1(SALU_CYCLE_1)
	v_cmp_ne_u32_e32 vcc_lo, 0x7f800000, v72
                                        ; implicit-def: $vgpr72
	s_and_saveexec_b32 s4, vcc_lo
	s_xor_b32 s4, exec_lo, s4
; %bb.53:
	v_bfe_u32 v72, v81, 16, 1
	s_delay_alu instid0(VALU_DEP_1)
	v_add3_u32 v72, v81, v72, 0x7fff
                                        ; implicit-def: $vgpr81
; %bb.54:
	s_and_not1_saveexec_b32 s4, s4
; %bb.55:
	v_and_b32_e32 v72, 0xffff, v81
	v_or_b32_e32 v82, 0x10000, v81
	s_delay_alu instid0(VALU_DEP_2) | instskip(NEXT) | instid1(VALU_DEP_2)
	v_cmp_eq_u32_e32 vcc_lo, 0, v72
	v_cndmask_b32_e32 v72, v82, v81, vcc_lo
; %bb.56:
	s_or_b32 exec_lo, exec_lo, s4
	v_and_b32_e32 v81, 0x7f800000, v83
	s_delay_alu instid0(VALU_DEP_1) | instskip(SKIP_1) | instid1(SALU_CYCLE_1)
	v_cmp_ne_u32_e32 vcc_lo, 0x7f800000, v81
                                        ; implicit-def: $vgpr81
	s_and_saveexec_b32 s4, vcc_lo
	s_xor_b32 s4, exec_lo, s4
; %bb.57:
	v_bfe_u32 v81, v83, 16, 1
	s_delay_alu instid0(VALU_DEP_1)
	v_add3_u32 v81, v83, v81, 0x7fff
                                        ; implicit-def: $vgpr83
; %bb.58:
	s_and_not1_saveexec_b32 s4, s4
; %bb.59:
	v_and_b32_e32 v81, 0xffff, v83
	v_or_b32_e32 v82, 0x10000, v83
	s_delay_alu instid0(VALU_DEP_2) | instskip(NEXT) | instid1(VALU_DEP_2)
	v_cmp_eq_u32_e32 vcc_lo, 0, v81
	v_cndmask_b32_e32 v81, v82, v83, vcc_lo
; %bb.60:
	s_or_b32 exec_lo, exec_lo, s4
	v_and_b32_e32 v82, 0x7f800000, v77
	s_delay_alu instid0(VALU_DEP_1) | instskip(SKIP_1) | instid1(SALU_CYCLE_1)
	v_cmp_ne_u32_e32 vcc_lo, 0x7f800000, v82
                                        ; implicit-def: $vgpr82
	s_and_saveexec_b32 s4, vcc_lo
	s_xor_b32 s4, exec_lo, s4
; %bb.61:
	v_bfe_u32 v82, v77, 16, 1
	s_delay_alu instid0(VALU_DEP_1)
	v_add3_u32 v82, v77, v82, 0x7fff
                                        ; implicit-def: $vgpr77
; %bb.62:
	s_and_not1_saveexec_b32 s4, s4
; %bb.63:
	v_and_b32_e32 v82, 0xffff, v77
	v_or_b32_e32 v83, 0x10000, v77
	s_delay_alu instid0(VALU_DEP_2) | instskip(NEXT) | instid1(VALU_DEP_2)
	v_cmp_eq_u32_e32 vcc_lo, 0, v82
	v_cndmask_b32_e32 v82, v83, v77, vcc_lo
; %bb.64:
	s_or_b32 exec_lo, exec_lo, s4
	v_and_b32_e32 v77, 0x7f800000, v78
	s_delay_alu instid0(VALU_DEP_1) | instskip(SKIP_1) | instid1(SALU_CYCLE_1)
	v_cmp_ne_u32_e32 vcc_lo, 0x7f800000, v77
                                        ; implicit-def: $vgpr77
	s_and_saveexec_b32 s4, vcc_lo
	s_xor_b32 s4, exec_lo, s4
; %bb.65:
	v_bfe_u32 v77, v78, 16, 1
	s_delay_alu instid0(VALU_DEP_1)
	v_add3_u32 v77, v78, v77, 0x7fff
                                        ; implicit-def: $vgpr78
; %bb.66:
	s_and_not1_saveexec_b32 s4, s4
; %bb.67:
	v_and_b32_e32 v77, 0xffff, v78
	v_or_b32_e32 v83, 0x10000, v78
	s_delay_alu instid0(VALU_DEP_2) | instskip(NEXT) | instid1(VALU_DEP_2)
	v_cmp_eq_u32_e32 vcc_lo, 0, v77
	v_cndmask_b32_e32 v77, v83, v78, vcc_lo
; %bb.68:
	s_or_b32 exec_lo, exec_lo, s4
	v_and_b32_e32 v78, 0x7f800000, v79
	s_delay_alu instid0(VALU_DEP_1) | instskip(SKIP_1) | instid1(SALU_CYCLE_1)
	v_cmp_ne_u32_e32 vcc_lo, 0x7f800000, v78
                                        ; implicit-def: $vgpr78
	s_and_saveexec_b32 s4, vcc_lo
	s_xor_b32 s4, exec_lo, s4
; %bb.69:
	v_bfe_u32 v78, v79, 16, 1
	s_delay_alu instid0(VALU_DEP_1)
	v_add3_u32 v78, v79, v78, 0x7fff
                                        ; implicit-def: $vgpr79
; %bb.70:
	s_and_not1_saveexec_b32 s4, s4
; %bb.71:
	v_and_b32_e32 v78, 0xffff, v79
	v_or_b32_e32 v83, 0x10000, v79
	s_delay_alu instid0(VALU_DEP_2) | instskip(NEXT) | instid1(VALU_DEP_2)
	v_cmp_eq_u32_e32 vcc_lo, 0, v78
	v_cndmask_b32_e32 v78, v83, v79, vcc_lo
; %bb.72:
	s_or_b32 exec_lo, exec_lo, s4
	v_and_b32_e32 v79, 0x7f800000, v70
	s_delay_alu instid0(VALU_DEP_1) | instskip(SKIP_1) | instid1(SALU_CYCLE_1)
	v_cmp_ne_u32_e32 vcc_lo, 0x7f800000, v79
                                        ; implicit-def: $vgpr79
	s_and_saveexec_b32 s4, vcc_lo
	s_xor_b32 s4, exec_lo, s4
; %bb.73:
	v_bfe_u32 v79, v70, 16, 1
	s_delay_alu instid0(VALU_DEP_1)
	v_add3_u32 v79, v70, v79, 0x7fff
                                        ; implicit-def: $vgpr70
; %bb.74:
	s_and_not1_saveexec_b32 s4, s4
; %bb.75:
	v_and_b32_e32 v79, 0xffff, v70
	v_or_b32_e32 v83, 0x10000, v70
	s_delay_alu instid0(VALU_DEP_2) | instskip(NEXT) | instid1(VALU_DEP_2)
	v_cmp_eq_u32_e32 vcc_lo, 0, v79
	v_cndmask_b32_e32 v79, v83, v70, vcc_lo
; %bb.76:
	s_or_b32 exec_lo, exec_lo, s4
	s_delay_alu instid0(VALU_DEP_1)
	v_perm_b32 v86, v79, v78, 0x7060302
	v_perm_b32 v85, v77, v82, 0x7060302
	;; [unrolled: 1-line block ×4, first 2 shown]
	v_lshl_or_b32 v82, v66, 11, v80
	ds_store_b128 v76, v[83:86] offset:1024
	s_waitcnt lgkmcnt(0)
	s_barrier
	buffer_gl0_inv
	ds_load_b128 v[69:72], v82
	ds_load_b128 v[83:86], v82 offset:16
	s_waitcnt lgkmcnt(1)
	v_lshrrev_b32_e32 v66, 16, v69
	s_waitcnt lgkmcnt(0)
	v_lshrrev_b32_e32 v91, 16, v83
	v_lshlrev_b32_e32 v78, 2, v74
	v_lshrrev_b32_e32 v95, 16, v70
	v_lshrrev_b32_e32 v98, 16, v84
	;; [unrolled: 1-line block ×4, first 2 shown]
	v_cmp_eq_u32_e32 vcc_lo, 1, v78
	v_lshrrev_b32_e32 v97, 16, v72
	v_lshrrev_b32_e32 v100, 16, v86
	v_cndmask_b32_e32 v87, v83, v91, vcc_lo
	v_or_b32_e32 v79, 1, v78
	v_cndmask_b32_e32 v81, v69, v66, vcc_lo
	v_cmp_eq_u32_e64 s5, 2, v78
	v_cmp_eq_u32_e64 s8, 3, v78
	;; [unrolled: 1-line block ×5, first 2 shown]
	v_cndmask_b32_e64 v81, v81, v70, s5
	v_cndmask_b32_e64 v87, v87, v84, s5
	v_cmp_eq_u32_e64 s9, 3, v79
	v_cndmask_b32_e64 v88, v69, v66, s4
	v_or_b32_e32 v77, 2, v78
	v_cndmask_b32_e64 v81, v81, v95, s8
	v_cndmask_b32_e64 v87, v87, v98, s8
	;; [unrolled: 1-line block ×4, first 2 shown]
	v_cmp_eq_u32_e64 s11, 5, v78
	v_cndmask_b32_e64 v81, v81, v71, s10
	v_cndmask_b32_e64 v87, v87, v85, s10
	v_cmp_eq_u32_e64 s12, 4, v79
	v_cndmask_b32_e64 v88, v88, v95, s9
	v_cmp_eq_u32_e64 s6, 1, v77
	v_cndmask_b32_e64 v89, v89, v84, s7
	v_cndmask_b32_e64 v81, v81, v96, s11
	v_cmp_eq_u32_e64 s13, 6, v78
	v_cndmask_b32_e64 v88, v88, v71, s12
	v_cndmask_b32_e64 v87, v87, v99, s11
	v_cmp_eq_u32_e64 s15, 5, v79
	v_cndmask_b32_e64 v90, v69, v66, s6
	v_cndmask_b32_e64 v89, v89, v98, s9
	v_cndmask_b32_e64 v81, v81, v72, s13
	v_cmp_eq_u32_e64 s16, 7, v78
	v_cndmask_b32_e64 v88, v88, v96, s15
	v_cndmask_b32_e64 v87, v87, v86, s13
	v_cmp_eq_u32_e64 s17, 6, v79
	v_cmp_eq_u32_e64 s18, 2, v77
	v_cndmask_b32_e64 v89, v89, v85, s12
	v_cndmask_b32_e64 v101, v81, v97, s16
	;; [unrolled: 1-line block ×6, first 2 shown]
	v_cmp_eq_u32_e64 s19, 7, v79
	v_cmp_eq_u32_e64 s20, 3, v77
	;; [unrolled: 1-line block ×4, first 2 shown]
	v_cndmask_b32_e64 v87, v87, v84, s18
	v_cndmask_b32_e64 v103, v88, v97, s19
	;; [unrolled: 1-line block ×4, first 2 shown]
	v_or_b32_e32 v81, 3, v78
	v_cndmask_b32_e64 v93, v87, v98, s20
	v_cmp_eq_u32_e64 s25, 6, v77
	v_cndmask_b32_e64 v104, v88, v86, s17
	v_cndmask_b32_e64 v92, v89, v71, s21
	v_cmp_eq_u32_e64 s22, 1, v81
	ds_load_b128 v[87:90], v82 offset:1024
	v_cmp_eq_u32_e64 s24, 2, v81
	v_cmp_eq_u32_e64 s26, 3, v81
	v_cndmask_b32_e64 v105, v92, v96, s23
	v_cndmask_b32_e64 v66, v69, v66, s22
	;; [unrolled: 1-line block ×4, first 2 shown]
	ds_load_b128 v[91:94], v82 offset:1040
	v_cmp_eq_u32_e64 s27, 4, v81
	v_cndmask_b32_e64 v66, v66, v70, s24
	v_cmp_eq_u32_e64 s28, 7, v77
	v_cndmask_b32_e64 v70, v83, v84, s24
	v_cndmask_b32_e64 v84, v105, v72, s25
	v_cmp_eq_u32_e64 s29, 5, v81
	v_cndmask_b32_e64 v66, v66, v95, s26
	v_cmp_eq_u32_e64 s30, 6, v81
	v_cndmask_b32_e64 v70, v70, v98, s26
	v_cndmask_b32_e64 v69, v69, v99, s23
	;; [unrolled: 1-line block ×4, first 2 shown]
	s_waitcnt lgkmcnt(1)
	v_lshrrev_b32_e32 v95, 16, v87
	v_cndmask_b32_e64 v70, v70, v85, s27
	v_cndmask_b32_e64 v71, v84, v97, s28
	;; [unrolled: 1-line block ×4, first 2 shown]
	v_cndmask_b32_e32 v84, v87, v95, vcc_lo
	v_cndmask_b32_e64 v70, v70, v99, s29
	s_waitcnt lgkmcnt(0)
	v_lshrrev_b32_e32 v85, 16, v91
	v_lshrrev_b32_e32 v96, 16, v88
	v_cndmask_b32_e64 v98, v87, v95, s4
	v_cndmask_b32_e64 v84, v84, v88, s5
	;; [unrolled: 1-line block ×3, first 2 shown]
	v_cndmask_b32_e32 v99, v91, v85, vcc_lo
	v_cmp_eq_u32_e32 vcc_lo, 7, v81
	v_cndmask_b32_e64 v66, v66, v72, s30
	v_cndmask_b32_e64 v72, v84, v96, s8
	;; [unrolled: 1-line block ×3, first 2 shown]
	v_lshrrev_b32_e32 v98, 16, v92
	v_cndmask_b32_e32 v70, v70, v100, vcc_lo
	v_cndmask_b32_e64 v86, v99, v92, s5
	v_cndmask_b32_e64 v69, v69, v100, s28
	v_lshrrev_b32_e32 v100, 16, v93
	v_cndmask_b32_e64 v72, v72, v89, s10
	v_lshrrev_b32_e32 v99, 16, v89
	v_cndmask_b32_e64 v86, v86, v98, s8
	v_perm_b32 v71, v69, v71, 0x5040100
	v_cndmask_b32_e64 v84, v84, v96, s9
	s_delay_alu instid0(VALU_DEP_3) | instskip(NEXT) | instid1(VALU_DEP_2)
	v_cndmask_b32_e64 v86, v86, v93, s10
	v_cndmask_b32_e64 v84, v84, v89, s12
	s_delay_alu instid0(VALU_DEP_2) | instskip(NEXT) | instid1(VALU_DEP_1)
	v_cndmask_b32_e64 v86, v86, v100, s11
	v_cndmask_b32_e64 v69, v86, v94, s13
	;; [unrolled: 1-line block ×5, first 2 shown]
	s_delay_alu instid0(VALU_DEP_3) | instskip(NEXT) | instid1(VALU_DEP_3)
	v_cndmask_b32_e64 v86, v86, v88, s18
	v_cndmask_b32_e64 v87, v87, v88, s24
	s_delay_alu instid0(VALU_DEP_3) | instskip(NEXT) | instid1(VALU_DEP_3)
	v_cndmask_b32_e64 v88, v95, v92, s24
	v_cndmask_b32_e64 v86, v86, v96, s20
	;; [unrolled: 3-line block ×7, first 2 shown]
	s_delay_alu instid0(VALU_DEP_3) | instskip(SKIP_2) | instid1(VALU_DEP_2)
	v_cndmask_b32_e64 v88, v88, v94, s30
	v_cndmask_b32_e32 v66, v66, v97, vcc_lo
	v_cndmask_b32_e64 v97, v72, v99, s11
	v_perm_b32 v72, v70, v66, 0x5040100
	v_perm_b32 v70, v83, v103, 0x5040100
	v_cndmask_b32_e64 v103, v91, v85, s6
	v_cndmask_b32_e64 v85, v91, v85, s4
	;; [unrolled: 1-line block ×4, first 2 shown]
	v_lshrrev_b32_e32 v97, 16, v90
	v_cndmask_b32_e64 v91, v103, v92, s18
	v_cndmask_b32_e64 v85, v85, v92, s7
	;; [unrolled: 1-line block ×3, first 2 shown]
	s_mov_b32 s4, exec_lo
	v_cndmask_b32_e64 v83, v84, v97, s16
	v_cndmask_b32_e64 v91, v91, v98, s20
	;; [unrolled: 1-line block ×3, first 2 shown]
	v_lshrrev_b32_e32 v84, 16, v94
	v_cndmask_b32_e64 v66, v66, v97, s19
	v_cndmask_b32_e64 v90, v86, v97, s28
	;; [unrolled: 1-line block ×4, first 2 shown]
	v_dual_cndmask_b32 v86, v87, v97 :: v_dual_cndmask_b32 v87, v88, v84
	v_cndmask_b32_e64 v91, v69, v84, s16
	s_delay_alu instid0(VALU_DEP_4) | instskip(NEXT) | instid1(VALU_DEP_4)
	v_cndmask_b32_e64 v89, v89, v100, s23
	v_cndmask_b32_e64 v85, v85, v100, s15
	v_perm_b32 v69, v102, v101, 0x5040100
	v_perm_b32 v86, v87, v86, 0x5040100
	;; [unrolled: 1-line block ×3, first 2 shown]
	v_cndmask_b32_e64 v89, v89, v94, s25
	v_cndmask_b32_e64 v85, v85, v94, s17
	s_mul_i32 s9, s37, 7
	s_delay_alu instid0(VALU_DEP_2) | instskip(NEXT) | instid1(VALU_DEP_2)
	v_cndmask_b32_e64 v88, v89, v84, s28
	v_cndmask_b32_e64 v89, v85, v84, s19
	s_delay_alu instid0(VALU_DEP_2) | instskip(NEXT) | instid1(VALU_DEP_2)
	v_perm_b32 v85, v88, v90, 0x5040100
	v_perm_b32 v84, v89, v66, 0x5040100
	ds_store_b128 v76, v[69:72]
	ds_store_b128 v76, v[83:86] offset:1024
	v_cmpx_gt_u32_e32 7, v0
	s_cbranch_execz .LBB1432_78
; %bb.77:
	s_mul_i32 s5, s9, s34
	s_load_b128 s[16:19], s[0:1], 0x58
	v_add3_u32 v69, s5, s31, v65
	s_delay_alu instid0(VALU_DEP_1) | instskip(NEXT) | instid1(VALU_DEP_1)
	v_mad_u64_u32 v[65:66], null, v69, s36, s[14:15]
	v_ashrrev_i32_e32 v66, 31, v65
	s_delay_alu instid0(VALU_DEP_1) | instskip(SKIP_1) | instid1(VALU_DEP_1)
	v_lshlrev_b64 v[65:66], 2, v[65:66]
	s_waitcnt lgkmcnt(0)
	v_add_co_u32 v69, vcc_lo, s18, v65
	s_delay_alu instid0(VALU_DEP_2)
	v_add_co_ci_u32_e32 v70, vcc_lo, s19, v66, vcc_lo
	v_add_co_u32 v65, vcc_lo, s16, v65
	v_add_co_ci_u32_e32 v66, vcc_lo, s17, v66, vcc_lo
	global_store_b32 v[69:70], v67, off
	global_store_b32 v[65:66], v68, off
.LBB1432_78:
	s_or_b32 exec_lo, exec_lo, s4
	s_waitcnt lgkmcnt(0)
	s_waitcnt_vscnt null, 0x0
	s_barrier
	buffer_gl0_inv
	ds_load_b128 v[83:86], v80
	ds_load_b128 v[87:90], v80 offset:16
	ds_load_b128 v[95:98], v80 offset:2064
	;; [unrolled: 1-line block ×3, first 2 shown]
	v_mov_b32_e32 v65, 0
	ds_load_b128 v[103:106], v80 offset:4112
	ds_load_b128 v[99:102], v80 offset:4096
	;; [unrolled: 1-line block ×4, first 2 shown]
	v_mov_b32_e32 v66, v65
	v_mov_b32_e32 v67, v65
	;; [unrolled: 1-line block ×7, first 2 shown]
	s_waitcnt lgkmcnt(6)
	s_delay_alu instid0(VALU_DEP_1)
	v_wmma_f32_16x16x16_bf16 v[65:72], v[57:64], v[83:90], v[65:72]
	ds_load_b128 v[61:64], v80 offset:8208
	ds_load_b128 v[57:60], v80 offset:8192
	s_waitcnt lgkmcnt(6)
	v_wmma_f32_16x16x16_bf16 v[65:72], v[41:48], v[91:98], v[65:72]
	ds_load_b128 v[45:48], v80 offset:10256
	ds_load_b128 v[41:44], v80 offset:10240
	s_waitcnt lgkmcnt(6)
	;; [unrolled: 4-line block ×4, first 2 shown]
	v_wmma_f32_16x16x16_bf16 v[65:72], v[1:8], v[57:64], v[65:72]
	s_waitcnt lgkmcnt(4)
	s_delay_alu instid0(VALU_DEP_1) | instskip(SKIP_1) | instid1(VALU_DEP_1)
	v_wmma_f32_16x16x16_bf16 v[65:72], v[9:16], v[41:48], v[65:72]
	s_waitcnt lgkmcnt(2)
	v_wmma_f32_16x16x16_bf16 v[65:72], v[17:24], v[33:40], v[65:72]
	s_waitcnt lgkmcnt(0)
	s_delay_alu instid0(VALU_DEP_1) | instskip(NEXT) | instid1(VALU_DEP_1)
	v_wmma_f32_16x16x16_bf16 v[65:72], v[49:56], v[25:32], v[65:72]
	v_and_b32_e32 v1, 0x7f800000, v65
	s_delay_alu instid0(VALU_DEP_1) | instskip(SKIP_1) | instid1(SALU_CYCLE_1)
	v_cmp_ne_u32_e32 vcc_lo, 0x7f800000, v1
                                        ; implicit-def: $vgpr1
	s_and_saveexec_b32 s4, vcc_lo
	s_xor_b32 s4, exec_lo, s4
; %bb.79:
	v_bfe_u32 v1, v65, 16, 1
	s_delay_alu instid0(VALU_DEP_1)
	v_add3_u32 v1, v65, v1, 0x7fff
; %bb.80:
	s_and_not1_saveexec_b32 s4, s4
; %bb.81:
	v_and_b32_e32 v1, 0xffff, v65
	v_or_b32_e32 v2, 0x10000, v65
	s_delay_alu instid0(VALU_DEP_2) | instskip(NEXT) | instid1(VALU_DEP_2)
	v_cmp_eq_u32_e32 vcc_lo, 0, v1
	v_cndmask_b32_e32 v1, v2, v65, vcc_lo
; %bb.82:
	s_or_b32 exec_lo, exec_lo, s4
	v_and_b32_e32 v2, 0x7f800000, v66
	s_delay_alu instid0(VALU_DEP_1) | instskip(SKIP_1) | instid1(SALU_CYCLE_1)
	v_cmp_ne_u32_e32 vcc_lo, 0x7f800000, v2
                                        ; implicit-def: $vgpr2
	s_and_saveexec_b32 s4, vcc_lo
	s_xor_b32 s4, exec_lo, s4
; %bb.83:
	v_bfe_u32 v2, v66, 16, 1
	s_delay_alu instid0(VALU_DEP_1)
	v_add3_u32 v2, v66, v2, 0x7fff
; %bb.84:
	s_and_not1_saveexec_b32 s4, s4
; %bb.85:
	v_and_b32_e32 v2, 0xffff, v66
	v_or_b32_e32 v3, 0x10000, v66
	s_delay_alu instid0(VALU_DEP_2) | instskip(NEXT) | instid1(VALU_DEP_2)
	v_cmp_eq_u32_e32 vcc_lo, 0, v2
	v_cndmask_b32_e32 v2, v3, v66, vcc_lo
; %bb.86:
	s_or_b32 exec_lo, exec_lo, s4
	v_and_b32_e32 v3, 0x7f800000, v67
	s_delay_alu instid0(VALU_DEP_1) | instskip(SKIP_1) | instid1(SALU_CYCLE_1)
	v_cmp_ne_u32_e32 vcc_lo, 0x7f800000, v3
                                        ; implicit-def: $vgpr3
	s_and_saveexec_b32 s4, vcc_lo
	s_xor_b32 s4, exec_lo, s4
; %bb.87:
	v_bfe_u32 v3, v67, 16, 1
	s_delay_alu instid0(VALU_DEP_1)
	v_add3_u32 v3, v67, v3, 0x7fff
; %bb.88:
	s_and_not1_saveexec_b32 s4, s4
; %bb.89:
	v_and_b32_e32 v3, 0xffff, v67
	v_or_b32_e32 v4, 0x10000, v67
	s_delay_alu instid0(VALU_DEP_2) | instskip(NEXT) | instid1(VALU_DEP_2)
	v_cmp_eq_u32_e32 vcc_lo, 0, v3
	v_cndmask_b32_e32 v3, v4, v67, vcc_lo
; %bb.90:
	s_or_b32 exec_lo, exec_lo, s4
	v_and_b32_e32 v4, 0x7f800000, v68
	s_delay_alu instid0(VALU_DEP_1) | instskip(SKIP_1) | instid1(SALU_CYCLE_1)
	v_cmp_ne_u32_e32 vcc_lo, 0x7f800000, v4
                                        ; implicit-def: $vgpr4
	s_and_saveexec_b32 s4, vcc_lo
	s_xor_b32 s4, exec_lo, s4
; %bb.91:
	v_bfe_u32 v4, v68, 16, 1
	s_delay_alu instid0(VALU_DEP_1)
	v_add3_u32 v4, v68, v4, 0x7fff
; %bb.92:
	s_and_not1_saveexec_b32 s4, s4
; %bb.93:
	v_and_b32_e32 v4, 0xffff, v68
	v_or_b32_e32 v5, 0x10000, v68
	s_delay_alu instid0(VALU_DEP_2) | instskip(NEXT) | instid1(VALU_DEP_2)
	v_cmp_eq_u32_e32 vcc_lo, 0, v4
	v_cndmask_b32_e32 v4, v5, v68, vcc_lo
; %bb.94:
	s_or_b32 exec_lo, exec_lo, s4
	v_and_b32_e32 v5, 0x7f800000, v69
	s_delay_alu instid0(VALU_DEP_1) | instskip(SKIP_1) | instid1(SALU_CYCLE_1)
	v_cmp_ne_u32_e32 vcc_lo, 0x7f800000, v5
                                        ; implicit-def: $vgpr5
	s_and_saveexec_b32 s4, vcc_lo
	s_xor_b32 s4, exec_lo, s4
; %bb.95:
	v_bfe_u32 v5, v69, 16, 1
	s_delay_alu instid0(VALU_DEP_1)
	v_add3_u32 v5, v69, v5, 0x7fff
; %bb.96:
	s_and_not1_saveexec_b32 s4, s4
; %bb.97:
	v_and_b32_e32 v5, 0xffff, v69
	v_or_b32_e32 v6, 0x10000, v69
	s_delay_alu instid0(VALU_DEP_2) | instskip(NEXT) | instid1(VALU_DEP_2)
	v_cmp_eq_u32_e32 vcc_lo, 0, v5
	v_cndmask_b32_e32 v5, v6, v69, vcc_lo
; %bb.98:
	s_or_b32 exec_lo, exec_lo, s4
	v_and_b32_e32 v6, 0x7f800000, v70
	s_delay_alu instid0(VALU_DEP_1) | instskip(SKIP_1) | instid1(SALU_CYCLE_1)
	v_cmp_ne_u32_e32 vcc_lo, 0x7f800000, v6
                                        ; implicit-def: $vgpr6
	s_and_saveexec_b32 s4, vcc_lo
	s_xor_b32 s4, exec_lo, s4
; %bb.99:
	v_bfe_u32 v6, v70, 16, 1
	s_delay_alu instid0(VALU_DEP_1)
	v_add3_u32 v6, v70, v6, 0x7fff
; %bb.100:
	s_and_not1_saveexec_b32 s4, s4
; %bb.101:
	v_and_b32_e32 v6, 0xffff, v70
	v_or_b32_e32 v7, 0x10000, v70
	s_delay_alu instid0(VALU_DEP_2) | instskip(NEXT) | instid1(VALU_DEP_2)
	v_cmp_eq_u32_e32 vcc_lo, 0, v6
	v_cndmask_b32_e32 v6, v7, v70, vcc_lo
; %bb.102:
	s_or_b32 exec_lo, exec_lo, s4
	v_and_b32_e32 v7, 0x7f800000, v71
	s_delay_alu instid0(VALU_DEP_1) | instskip(SKIP_1) | instid1(SALU_CYCLE_1)
	v_cmp_ne_u32_e32 vcc_lo, 0x7f800000, v7
                                        ; implicit-def: $vgpr7
	s_and_saveexec_b32 s4, vcc_lo
	s_xor_b32 s4, exec_lo, s4
; %bb.103:
	v_bfe_u32 v7, v71, 16, 1
	s_delay_alu instid0(VALU_DEP_1)
	v_add3_u32 v7, v71, v7, 0x7fff
; %bb.104:
	s_and_not1_saveexec_b32 s4, s4
; %bb.105:
	v_and_b32_e32 v7, 0xffff, v71
	v_or_b32_e32 v8, 0x10000, v71
	s_delay_alu instid0(VALU_DEP_2) | instskip(NEXT) | instid1(VALU_DEP_2)
	v_cmp_eq_u32_e32 vcc_lo, 0, v7
	v_cndmask_b32_e32 v7, v8, v71, vcc_lo
; %bb.106:
	s_or_b32 exec_lo, exec_lo, s4
	v_and_b32_e32 v8, 0x7f800000, v72
	s_delay_alu instid0(VALU_DEP_1) | instskip(SKIP_1) | instid1(SALU_CYCLE_1)
	v_cmp_ne_u32_e32 vcc_lo, 0x7f800000, v8
                                        ; implicit-def: $vgpr8
	s_and_saveexec_b32 s4, vcc_lo
	s_xor_b32 s4, exec_lo, s4
; %bb.107:
	v_bfe_u32 v8, v72, 16, 1
	s_delay_alu instid0(VALU_DEP_1)
	v_add3_u32 v8, v72, v8, 0x7fff
                                        ; implicit-def: $vgpr65_vgpr66_vgpr67_vgpr68_vgpr69_vgpr70_vgpr71_vgpr72
; %bb.108:
	s_and_not1_saveexec_b32 s4, s4
; %bb.109:
	v_and_b32_e32 v8, 0xffff, v72
	v_or_b32_e32 v9, 0x10000, v72
	s_delay_alu instid0(VALU_DEP_2) | instskip(NEXT) | instid1(VALU_DEP_2)
	v_cmp_eq_u32_e32 vcc_lo, 0, v8
	v_cndmask_b32_e32 v8, v9, v72, vcc_lo
; %bb.110:
	s_or_b32 exec_lo, exec_lo, s4
	s_delay_alu instid0(VALU_DEP_1)
	v_perm_b32 v7, v8, v7, 0x7060302
	v_perm_b32 v6, v6, v5, 0x7060302
	;; [unrolled: 1-line block ×4, first 2 shown]
	s_barrier
	buffer_gl0_inv
	v_cmp_eq_u32_e32 vcc_lo, 1, v78
	ds_store_b128 v76, v[4:7]
	s_waitcnt lgkmcnt(0)
	s_barrier
	buffer_gl0_inv
	ds_load_b128 v[1:4], v82
	ds_load_b128 v[5:8], v82 offset:16
	v_cmp_eq_u32_e64 s4, 1, v79
	v_cmp_eq_u32_e64 s5, 2, v78
	;; [unrolled: 1-line block ×5, first 2 shown]
	s_waitcnt lgkmcnt(1)
	v_lshrrev_b32_e32 v9, 16, v1
	s_waitcnt lgkmcnt(0)
	v_lshrrev_b32_e32 v13, 16, v5
	v_lshrrev_b32_e32 v10, 16, v2
	;; [unrolled: 1-line block ×4, first 2 shown]
	v_cndmask_b32_e64 v19, v1, v9, s4
	v_cndmask_b32_e32 v18, v5, v13, vcc_lo
	v_cndmask_b32_e64 v20, v5, v13, s4
	v_cndmask_b32_e32 v17, v1, v9, vcc_lo
	v_cmp_eq_u32_e32 vcc_lo, 2, v79
	v_lshrrev_b32_e32 v15, 16, v7
	v_cmp_eq_u32_e64 s4, 1, v77
	v_lshrrev_b32_e32 v12, 16, v4
	v_lshrrev_b32_e32 v16, 16, v8
	v_cndmask_b32_e32 v20, v20, v6, vcc_lo
	v_cndmask_b32_e64 v17, v17, v2, s5
	v_cndmask_b32_e32 v19, v19, v2, vcc_lo
	v_cndmask_b32_e64 v18, v18, v6, s5
	v_cmp_eq_u32_e32 vcc_lo, 4, v78
	v_cmp_eq_u32_e64 s5, 3, v79
	v_cndmask_b32_e64 v17, v17, v10, s6
	v_cndmask_b32_e64 v21, v1, v9, s4
	;; [unrolled: 1-line block ×5, first 2 shown]
	v_cndmask_b32_e32 v17, v17, v3, vcc_lo
	v_cndmask_b32_e64 v20, v20, v14, s5
	v_cndmask_b32_e32 v18, v18, v7, vcc_lo
	v_cmp_eq_u32_e32 vcc_lo, 4, v79
	v_cmp_eq_u32_e64 s5, 5, v79
	v_cmp_eq_u32_e64 s4, 2, v81
	v_cndmask_b32_e64 v21, v21, v2, s8
	v_cmp_eq_u32_e64 s6, 5, v78
	v_cndmask_b32_e32 v19, v19, v3, vcc_lo
	v_cndmask_b32_e32 v20, v20, v7, vcc_lo
	v_cmp_eq_u32_e32 vcc_lo, 6, v79
	s_delay_alu instid0(VALU_DEP_4) | instskip(NEXT) | instid1(VALU_DEP_4)
	v_cndmask_b32_e64 v17, v17, v11, s6
	v_cndmask_b32_e64 v19, v19, v11, s5
	s_delay_alu instid0(VALU_DEP_4) | instskip(SKIP_1) | instid1(VALU_DEP_3)
	v_cndmask_b32_e64 v20, v20, v15, s5
	v_cmp_eq_u32_e64 s5, 1, v81
	v_cndmask_b32_e32 v19, v19, v4, vcc_lo
	v_cndmask_b32_e64 v18, v18, v15, s6
	s_delay_alu instid0(VALU_DEP_3)
	v_cndmask_b32_e64 v1, v1, v9, s5
	v_cndmask_b32_e64 v5, v5, v13, s5
	v_cmp_eq_u32_e64 s5, 3, v77
	v_cndmask_b32_e64 v13, v22, v6, s8
	v_cmp_eq_u32_e64 s8, 3, v81
	v_cndmask_b32_e64 v1, v1, v2, s4
	v_cndmask_b32_e64 v2, v5, v6, s4
	;; [unrolled: 1-line block ×3, first 2 shown]
	v_cmp_eq_u32_e64 s4, 4, v77
	v_cndmask_b32_e64 v6, v13, v14, s5
	v_cndmask_b32_e64 v1, v1, v10, s8
	v_cmp_eq_u32_e64 s5, 4, v81
	v_cndmask_b32_e64 v2, v2, v14, s8
	v_cndmask_b32_e64 v5, v9, v3, s4
	;; [unrolled: 3-line block ×3, first 2 shown]
	v_cndmask_b32_e64 v2, v2, v7, s5
	v_cmp_eq_u32_e64 s4, 5, v81
	v_cmp_eq_u32_e64 s6, 6, v78
	v_cndmask_b32_e64 v5, v5, v11, s8
	v_cmp_eq_u32_e64 s5, 6, v77
	v_cndmask_b32_e64 v3, v6, v15, s8
	v_cndmask_b32_e64 v1, v1, v11, s4
	v_cmp_eq_u32_e64 s8, 6, v81
	v_cndmask_b32_e64 v2, v2, v15, s4
	v_cndmask_b32_e64 v17, v17, v4, s6
	v_cndmask_b32_e64 v18, v18, v8, s6
	v_cmp_eq_u32_e64 s6, 7, v78
	v_cndmask_b32_e64 v5, v5, v4, s5
	;; [unrolled: 4-line block ×3, first 2 shown]
	v_cmp_eq_u32_e64 s5, 7, v77
	v_cndmask_b32_e32 v4, v20, v8, vcc_lo
	v_cndmask_b32_e64 v17, v17, v12, s6
	v_cndmask_b32_e64 v19, v19, v12, s7
	;; [unrolled: 1-line block ×8, first 2 shown]
	v_cmp_gt_u32_e32 vcc_lo, 32, v0
	v_perm_b32 v4, v2, v1, 0x5040100
	v_perm_b32 v3, v3, v5, 0x5040100
	;; [unrolled: 1-line block ×4, first 2 shown]
	s_and_b32 s2, vcc_lo, s2
	ds_store_b128 v76, v[1:4]
	s_waitcnt lgkmcnt(0)
	s_barrier
	buffer_gl0_inv
	s_and_saveexec_b32 s4, s2
	s_cbranch_execz .LBB1432_2
; %bb.111:
	s_load_b64 s[4:5], s[0:1], 0x68
	v_lshlrev_b32_e32 v0, 10, v0
	v_add_nc_u32_e32 v2, s31, v74
	v_lshlrev_b32_e32 v3, 4, v75
	s_lshl_b32 s0, s36, 6
	s_delay_alu instid0(SALU_CYCLE_1) | instskip(NEXT) | instid1(VALU_DEP_2)
	s_mul_i32 s1, s0, s34
	v_mul_lo_u32 v1, v2, s0
	s_delay_alu instid0(VALU_DEP_2)
	v_and_or_b32 v0, 0x3800, v0, v3
	v_add_nc_u32_e32 v3, 2, v2
	s_mul_i32 s6, s1, s9
	v_add_nc_u32_e32 v4, 4, v2
	s_ashr_i32 s7, s6, 31
	v_lshl_or_b32 v11, v74, 6, v0
	s_lshl_b64 s[6:7], s[6:7], 1
	v_mul_lo_u32 v15, v3, s0
	v_mul_lo_u32 v17, v4, s0
	v_ashrrev_i32_e32 v2, 31, v1
	ds_load_b128 v[3:6], v11
	ds_load_b128 v[7:10], v11 offset:128
	ds_load_b128 v[11:14], v11 offset:256
	s_waitcnt lgkmcnt(0)
	s_add_u32 s1, s4, s6
	s_addc_u32 s2, s5, s7
	s_lshl_b32 s4, s14, 6
	v_ashrrev_i32_e32 v16, 31, v15
	s_ashr_i32 s5, s4, 31
	v_lshlrev_b64 v[19:20], 1, v[1:2]
	s_lshl_b64 s[4:5], s[4:5], 1
	v_ashrrev_i32_e32 v18, 31, v17
	s_add_u32 s1, s1, s4
	s_addc_u32 s2, s2, s5
	v_add_co_u32 v1, s1, s1, v73
	s_delay_alu instid0(VALU_DEP_1) | instskip(SKIP_1) | instid1(VALU_DEP_3)
	v_add_co_ci_u32_e64 v2, null, s2, 0, s1
	v_lshlrev_b64 v[15:16], 1, v[15:16]
	v_add_co_u32 v19, vcc_lo, v1, v19
	v_lshlrev_b64 v[17:18], 1, v[17:18]
	s_delay_alu instid0(VALU_DEP_4) | instskip(NEXT) | instid1(VALU_DEP_4)
	v_add_co_ci_u32_e32 v20, vcc_lo, v2, v20, vcc_lo
	v_add_co_u32 v15, vcc_lo, v1, v15
	v_add_co_ci_u32_e32 v16, vcc_lo, v2, v16, vcc_lo
	s_delay_alu instid0(VALU_DEP_4)
	v_add_co_u32 v17, vcc_lo, v1, v17
	v_add_co_ci_u32_e32 v18, vcc_lo, v2, v18, vcc_lo
	s_clause 0x2
	global_store_b128 v[19:20], v[3:6], off
	global_store_b128 v[15:16], v[7:10], off
	;; [unrolled: 1-line block ×3, first 2 shown]
	s_and_b32 exec_lo, exec_lo, s3
	s_cbranch_execz .LBB1432_2
; %bb.112:
	ds_load_b128 v[3:6], v0 offset:384
	s_add_i32 s1, s31, 6
	s_delay_alu instid0(SALU_CYCLE_1) | instskip(NEXT) | instid1(SALU_CYCLE_1)
	s_mul_i32 s0, s1, s0
	s_ashr_i32 s1, s0, 31
	s_delay_alu instid0(SALU_CYCLE_1) | instskip(NEXT) | instid1(SALU_CYCLE_1)
	s_lshl_b64 s[0:1], s[0:1], 1
	v_add_co_u32 v0, vcc_lo, v1, s0
	v_add_co_ci_u32_e32 v1, vcc_lo, s1, v2, vcc_lo
	s_waitcnt lgkmcnt(0)
	global_store_b128 v[0:1], v[3:6], off
	s_nop 0
	s_sendmsg sendmsg(MSG_DEALLOC_VGPRS)
	s_endpgm
	.section	.rodata,"a",@progbits
	.p2align	6, 0x0
	.amdhsa_kernel _Z39paged_attention_ll4mi_QKV_mfma16_kernelI14__hip_bfloat16hLN4vllm18Fp8KVCacheDataTypeE1EhLi32ELi64ELi256ELb1ELi7EL8MFMAType1EEvPKT_PKT0_S9_ifPKiSB_SB_iPKfiiiPfSE_PS4_PT2_iSD_SD_
		.amdhsa_group_segment_fixed_size 17472
		.amdhsa_private_segment_fixed_size 0
		.amdhsa_kernarg_size 400
		.amdhsa_user_sgpr_count 13
		.amdhsa_user_sgpr_dispatch_ptr 0
		.amdhsa_user_sgpr_queue_ptr 0
		.amdhsa_user_sgpr_kernarg_segment_ptr 1
		.amdhsa_user_sgpr_dispatch_id 0
		.amdhsa_user_sgpr_private_segment_size 0
		.amdhsa_wavefront_size32 1
		.amdhsa_uses_dynamic_stack 0
		.amdhsa_enable_private_segment 0
		.amdhsa_system_sgpr_workgroup_id_x 1
		.amdhsa_system_sgpr_workgroup_id_y 1
		.amdhsa_system_sgpr_workgroup_id_z 1
		.amdhsa_system_sgpr_workgroup_info 0
		.amdhsa_system_vgpr_workitem_id 0
		.amdhsa_next_free_vgpr 124
		.amdhsa_next_free_sgpr 42
		.amdhsa_reserve_vcc 1
		.amdhsa_float_round_mode_32 0
		.amdhsa_float_round_mode_16_64 0
		.amdhsa_float_denorm_mode_32 3
		.amdhsa_float_denorm_mode_16_64 3
		.amdhsa_dx10_clamp 1
		.amdhsa_ieee_mode 1
		.amdhsa_fp16_overflow 0
		.amdhsa_workgroup_processor_mode 1
		.amdhsa_memory_ordered 1
		.amdhsa_forward_progress 0
		.amdhsa_shared_vgpr_count 0
		.amdhsa_exception_fp_ieee_invalid_op 0
		.amdhsa_exception_fp_denorm_src 0
		.amdhsa_exception_fp_ieee_div_zero 0
		.amdhsa_exception_fp_ieee_overflow 0
		.amdhsa_exception_fp_ieee_underflow 0
		.amdhsa_exception_fp_ieee_inexact 0
		.amdhsa_exception_int_div_zero 0
	.end_amdhsa_kernel
	.section	.text._Z39paged_attention_ll4mi_QKV_mfma16_kernelI14__hip_bfloat16hLN4vllm18Fp8KVCacheDataTypeE1EhLi32ELi64ELi256ELb1ELi7EL8MFMAType1EEvPKT_PKT0_S9_ifPKiSB_SB_iPKfiiiPfSE_PS4_PT2_iSD_SD_,"axG",@progbits,_Z39paged_attention_ll4mi_QKV_mfma16_kernelI14__hip_bfloat16hLN4vllm18Fp8KVCacheDataTypeE1EhLi32ELi64ELi256ELb1ELi7EL8MFMAType1EEvPKT_PKT0_S9_ifPKiSB_SB_iPKfiiiPfSE_PS4_PT2_iSD_SD_,comdat
.Lfunc_end1432:
	.size	_Z39paged_attention_ll4mi_QKV_mfma16_kernelI14__hip_bfloat16hLN4vllm18Fp8KVCacheDataTypeE1EhLi32ELi64ELi256ELb1ELi7EL8MFMAType1EEvPKT_PKT0_S9_ifPKiSB_SB_iPKfiiiPfSE_PS4_PT2_iSD_SD_, .Lfunc_end1432-_Z39paged_attention_ll4mi_QKV_mfma16_kernelI14__hip_bfloat16hLN4vllm18Fp8KVCacheDataTypeE1EhLi32ELi64ELi256ELb1ELi7EL8MFMAType1EEvPKT_PKT0_S9_ifPKiSB_SB_iPKfiiiPfSE_PS4_PT2_iSD_SD_
                                        ; -- End function
	.section	.AMDGPU.csdata,"",@progbits
; Kernel info:
; codeLenInByte = 8828
; NumSgprs: 44
; NumVgprs: 124
; ScratchSize: 0
; MemoryBound: 0
; FloatMode: 240
; IeeeMode: 1
; LDSByteSize: 17472 bytes/workgroup (compile time only)
; SGPRBlocks: 5
; VGPRBlocks: 15
; NumSGPRsForWavesPerEU: 44
; NumVGPRsForWavesPerEU: 124
; Occupancy: 10
; WaveLimiterHint : 1
; COMPUTE_PGM_RSRC2:SCRATCH_EN: 0
; COMPUTE_PGM_RSRC2:USER_SGPR: 13
; COMPUTE_PGM_RSRC2:TRAP_HANDLER: 0
; COMPUTE_PGM_RSRC2:TGID_X_EN: 1
; COMPUTE_PGM_RSRC2:TGID_Y_EN: 1
; COMPUTE_PGM_RSRC2:TGID_Z_EN: 1
; COMPUTE_PGM_RSRC2:TIDIG_COMP_CNT: 0
	.section	.text._Z39paged_attention_ll4mi_QKV_mfma16_kernelI14__hip_bfloat16hLN4vllm18Fp8KVCacheDataTypeE1EhLi32ELi64ELi256ELb1ELi8EL8MFMAType1EEvPKT_PKT0_S9_ifPKiSB_SB_iPKfiiiPfSE_PS4_PT2_iSD_SD_,"axG",@progbits,_Z39paged_attention_ll4mi_QKV_mfma16_kernelI14__hip_bfloat16hLN4vllm18Fp8KVCacheDataTypeE1EhLi32ELi64ELi256ELb1ELi8EL8MFMAType1EEvPKT_PKT0_S9_ifPKiSB_SB_iPKfiiiPfSE_PS4_PT2_iSD_SD_,comdat
	.protected	_Z39paged_attention_ll4mi_QKV_mfma16_kernelI14__hip_bfloat16hLN4vllm18Fp8KVCacheDataTypeE1EhLi32ELi64ELi256ELb1ELi8EL8MFMAType1EEvPKT_PKT0_S9_ifPKiSB_SB_iPKfiiiPfSE_PS4_PT2_iSD_SD_ ; -- Begin function _Z39paged_attention_ll4mi_QKV_mfma16_kernelI14__hip_bfloat16hLN4vllm18Fp8KVCacheDataTypeE1EhLi32ELi64ELi256ELb1ELi8EL8MFMAType1EEvPKT_PKT0_S9_ifPKiSB_SB_iPKfiiiPfSE_PS4_PT2_iSD_SD_
	.globl	_Z39paged_attention_ll4mi_QKV_mfma16_kernelI14__hip_bfloat16hLN4vllm18Fp8KVCacheDataTypeE1EhLi32ELi64ELi256ELb1ELi8EL8MFMAType1EEvPKT_PKT0_S9_ifPKiSB_SB_iPKfiiiPfSE_PS4_PT2_iSD_SD_
	.p2align	8
	.type	_Z39paged_attention_ll4mi_QKV_mfma16_kernelI14__hip_bfloat16hLN4vllm18Fp8KVCacheDataTypeE1EhLi32ELi64ELi256ELb1ELi8EL8MFMAType1EEvPKT_PKT0_S9_ifPKiSB_SB_iPKfiiiPfSE_PS4_PT2_iSD_SD_,@function
_Z39paged_attention_ll4mi_QKV_mfma16_kernelI14__hip_bfloat16hLN4vllm18Fp8KVCacheDataTypeE1EhLi32ELi64ELi256ELb1ELi8EL8MFMAType1EEvPKT_PKT0_S9_ifPKiSB_SB_iPKfiiiPfSE_PS4_PT2_iSD_SD_: ; @_Z39paged_attention_ll4mi_QKV_mfma16_kernelI14__hip_bfloat16hLN4vllm18Fp8KVCacheDataTypeE1EhLi32ELi64ELi256ELb1ELi8EL8MFMAType1EEvPKT_PKT0_S9_ifPKiSB_SB_iPKfiiiPfSE_PS4_PT2_iSD_SD_
; %bb.0:
	s_load_b64 s[2:3], s[0:1], 0x30
	s_mov_b32 s30, s13
	s_waitcnt lgkmcnt(0)
	s_cmp_lg_u64 s[2:3], 0
	s_cselect_b32 s8, -1, 0
	s_ashr_i32 s31, s13, 31
	s_cmp_eq_u64 s[2:3], 0
	s_cbranch_scc1 .LBB1433_3
; %bb.1:
	s_lshl_b64 s[4:5], s[30:31], 2
	s_delay_alu instid0(SALU_CYCLE_1) | instskip(SKIP_4) | instid1(SALU_CYCLE_1)
	s_add_u32 s4, s2, s4
	s_addc_u32 s5, s3, s5
	s_load_b64 s[4:5], s[4:5], 0x0
	s_waitcnt lgkmcnt(0)
	s_sub_i32 s4, s5, s4
	s_cmp_eq_u32 s4, 1
	s_cselect_b32 s4, -1, 0
	s_delay_alu instid0(SALU_CYCLE_1)
	s_and_not1_b32 vcc_lo, exec_lo, s4
	s_cbranch_vccz .LBB1433_4
.LBB1433_2:
	s_endpgm
.LBB1433_3:
.LBB1433_4:
	s_load_b64 s[4:5], s[0:1], 0x28
	s_lshl_b64 s[6:7], s[30:31], 2
	s_waitcnt lgkmcnt(0)
	s_add_u32 s4, s4, s6
	s_addc_u32 s5, s5, s7
	s_lshl_b32 s12, s14, 8
	s_load_b32 s24, s[4:5], 0x0
	s_waitcnt lgkmcnt(0)
	s_cmp_ge_i32 s12, s24
	s_cbranch_scc1 .LBB1433_2
; %bb.5:
	s_clause 0x1
	s_load_b128 s[20:23], s[0:1], 0x8
	s_load_b64 s[4:5], s[0:1], 0x20
	s_and_not1_b32 vcc_lo, exec_lo, s8
	s_cbranch_vccnz .LBB1433_7
; %bb.6:
	s_add_u32 s2, s2, s6
	s_addc_u32 s3, s3, s7
	s_load_b32 s3, s[2:3], 0x0
	s_branch .LBB1433_8
.LBB1433_7:
	s_mov_b32 s3, s30
.LBB1433_8:
	s_load_b128 s[16:19], s[0:1], 0x48
	v_and_b32_e32 v66, 15, v0
	v_cmp_gt_u32_e32 vcc_lo, 0x80, v0
	v_lshrrev_b32_e32 v65, 5, v0
	v_and_b32_e32 v67, 31, v0
	v_and_b32_e32 v74, 1, v0
	v_lshlrev_b32_e32 v1, 3, v66
	v_cmp_gt_u32_e64 s2, 8, v66
	v_bfe_u32 v75, v0, 4, 1
	s_lshl_b32 s31, s15, 3
	s_delay_alu instid0(VALU_DEP_3) | instskip(NEXT) | instid1(VALU_DEP_3)
	v_lshlrev_b32_e32 v73, 1, v1
	s_and_b32 s7, vcc_lo, s2
	s_delay_alu instid0(SALU_CYCLE_1)
	s_and_saveexec_b32 s6, s7
	s_cbranch_execz .LBB1433_10
; %bb.9:
	v_lshl_or_b32 v5, v65, 1, v75
	s_load_b64 s[8:9], s[0:1], 0x0
	s_waitcnt lgkmcnt(0)
	s_mul_hi_i32 s11, s3, s16
	s_mul_i32 s10, s3, s16
	v_lshlrev_b32_e32 v6, 10, v66
	v_or_b32_e32 v1, s31, v5
	s_lshl_b64 s[10:11], s[10:11], 1
	v_lshlrev_b32_e32 v5, 6, v5
	v_lshlrev_b32_e32 v7, 10, v74
	v_and_b32_e32 v6, 0x3800, v6
	v_lshlrev_b32_e32 v1, 6, v1
	s_delay_alu instid0(VALU_DEP_2) | instskip(NEXT) | instid1(VALU_DEP_2)
	v_or3_b32 v5, v6, v7, v5
	v_ashrrev_i32_e32 v2, 31, v1
	s_delay_alu instid0(VALU_DEP_1) | instskip(SKIP_2) | instid1(VALU_DEP_1)
	v_lshlrev_b64 v[1:2], 1, v[1:2]
	s_add_u32 s3, s8, s10
	s_addc_u32 s7, s9, s11
	v_add_co_u32 v1, vcc_lo, s3, v1
	s_delay_alu instid0(VALU_DEP_2) | instskip(NEXT) | instid1(VALU_DEP_2)
	v_add_co_ci_u32_e32 v2, vcc_lo, s7, v2, vcc_lo
	v_add_co_u32 v1, vcc_lo, v1, v73
	s_delay_alu instid0(VALU_DEP_2)
	v_add_co_ci_u32_e32 v2, vcc_lo, 0, v2, vcc_lo
	global_load_b128 v[1:4], v[1:2], off
	s_waitcnt vmcnt(0)
	ds_store_b128 v5, v[1:4]
.LBB1433_10:
	s_or_b32 exec_lo, exec_lo, s6
	v_and_b32_e32 v1, 0xef, v0
	s_waitcnt lgkmcnt(0)
	s_add_i32 s3, s24, 31
	s_clause 0x1
	s_load_b32 s6, s[0:1], 0x38
	s_load_b32 s19, s[0:1], 0x1c
	s_ashr_i32 s7, s3, 31
	v_add_nc_u32_e32 v1, s12, v1
	s_lshr_b32 s7, s7, 27
	s_waitcnt lgkmcnt(0)
	s_add_i32 s3, s3, s7
	s_barrier
	v_ashrrev_i32_e32 v2, 31, v1
	v_or_b32_e32 v3, 16, v1
	s_ashr_i32 s3, s3, 5
	v_cmp_gt_i32_e32 vcc_lo, s24, v1
	s_add_i32 s3, s3, -1
	v_lshrrev_b32_e32 v2, 27, v2
	buffer_gl0_inv
	s_mul_i32 s27, s15, s18
	v_add_nc_u32_e32 v4, v1, v2
	s_mul_i32 s6, s30, s6
	s_delay_alu instid0(SALU_CYCLE_1) | instskip(NEXT) | instid1(VALU_DEP_1)
	s_ashr_i32 s7, s6, 31
	v_ashrrev_i32_e32 v4, 5, v4
	v_add_nc_u32_e32 v2, v3, v2
	s_lshl_b64 s[6:7], s[6:7], 2
	s_delay_alu instid0(SALU_CYCLE_1) | instskip(NEXT) | instid1(VALU_DEP_2)
	s_add_u32 s26, s4, s6
	v_cndmask_b32_e32 v1, s3, v4, vcc_lo
	s_delay_alu instid0(VALU_DEP_2)
	v_ashrrev_i32_e32 v2, 5, v2
	v_cmp_gt_i32_e32 vcc_lo, s24, v3
	s_addc_u32 s25, s5, s7
	s_ashr_i32 s28, s27, 31
	s_add_u32 s4, s20, s27
	s_addc_u32 s5, s21, s28
	v_cndmask_b32_e32 v3, s3, v2, vcc_lo
	v_ashrrev_i32_e32 v2, 31, v1
	s_lshl_b32 s6, s14, 3
	s_delay_alu instid0(SALU_CYCLE_1) | instskip(NEXT) | instid1(VALU_DEP_2)
	s_ashr_i32 s7, s6, 31
	v_ashrrev_i32_e32 v4, 31, v3
	s_delay_alu instid0(VALU_DEP_2) | instskip(SKIP_1) | instid1(SALU_CYCLE_1)
	v_lshlrev_b64 v[1:2], 2, v[1:2]
	s_lshl_b64 s[6:7], s[6:7], 2
	s_add_u32 s6, s26, s6
	s_delay_alu instid0(VALU_DEP_2) | instskip(SKIP_1) | instid1(VALU_DEP_2)
	v_lshlrev_b64 v[3:4], 2, v[3:4]
	s_addc_u32 s7, s25, s7
	v_add_co_u32 v1, vcc_lo, s26, v1
	v_add_co_ci_u32_e32 v2, vcc_lo, s25, v2, vcc_lo
	s_delay_alu instid0(VALU_DEP_3) | instskip(NEXT) | instid1(VALU_DEP_4)
	v_add_co_u32 v3, vcc_lo, s26, v3
	v_add_co_ci_u32_e32 v4, vcc_lo, s25, v4, vcc_lo
	s_clause 0x1
	global_load_b32 v5, v[1:2], off
	global_load_b32 v6, v[3:4], off
	s_or_b32 s8, s12, 32
	s_delay_alu instid0(SALU_CYCLE_1) | instskip(SKIP_2) | instid1(SALU_CYCLE_1)
	s_ashr_i32 s9, s8, 5
	s_cmp_lt_i32 s8, s24
	s_cselect_b32 s8, s9, s3
	s_ashr_i32 s9, s8, 31
	s_delay_alu instid0(SALU_CYCLE_1) | instskip(NEXT) | instid1(SALU_CYCLE_1)
	s_lshl_b64 s[8:9], s[8:9], 2
	s_add_u32 s8, s26, s8
	s_addc_u32 s9, s25, s9
	s_or_b32 s10, s12, 64
	s_delay_alu instid0(SALU_CYCLE_1) | instskip(SKIP_2) | instid1(SALU_CYCLE_1)
	s_ashr_i32 s11, s10, 5
	s_cmp_lt_i32 s10, s24
	s_cselect_b32 s10, s11, s3
	s_ashr_i32 s11, s10, 31
	s_delay_alu instid0(SALU_CYCLE_1) | instskip(NEXT) | instid1(SALU_CYCLE_1)
	s_lshl_b64 s[10:11], s[10:11], 2
	s_add_u32 s10, s26, s10
	s_addc_u32 s11, s25, s11
	;; [unrolled: 10-line block ×5, first 2 shown]
	s_clause 0x5
	s_load_b32 s21, s[6:7], 0x0
	s_load_b32 s13, s[8:9], 0x0
	;; [unrolled: 1-line block ×6, first 2 shown]
	s_or_b32 s7, s12, 0xc0
	s_delay_alu instid0(SALU_CYCLE_1) | instskip(SKIP_2) | instid1(SALU_CYCLE_1)
	s_ashr_i32 s8, s7, 5
	s_cmp_lt_i32 s7, s24
	s_cselect_b32 s10, s8, s3
	s_ashr_i32 s11, s10, 31
	s_delay_alu instid0(SALU_CYCLE_1) | instskip(NEXT) | instid1(SALU_CYCLE_1)
	s_lshl_b64 s[34:35], s[10:11], 2
	s_add_u32 s34, s26, s34
	s_addc_u32 s35, s25, s35
	s_or_b32 s29, s12, 0xe0
	s_delay_alu instid0(SALU_CYCLE_1)
	s_ashr_i32 s33, s29, 5
	s_cmp_lt_i32 s29, s24
	s_waitcnt vmcnt(1)
	v_mad_i64_i32 v[1:2], null, v5, s17, s[4:5]
	s_waitcnt vmcnt(0)
	v_mad_i64_i32 v[3:4], null, v6, s17, s[4:5]
	s_mov_b32 s4, 0
	s_delay_alu instid0(SALU_CYCLE_1)
	s_mov_b32 s5, s4
	s_mov_b32 s6, s4
	;; [unrolled: 1-line block ×7, first 2 shown]
	v_lshlrev_b32_e32 v5, 4, v66
	v_dual_mov_b32 v107, s11 :: v_dual_mov_b32 v102, s6
	v_dual_mov_b32 v106, s10 :: v_dual_mov_b32 v105, s9
	s_delay_alu instid0(VALU_DEP_3)
	v_add_co_u32 v1, vcc_lo, v1, v5
	v_add_co_ci_u32_e32 v2, vcc_lo, 0, v2, vcc_lo
	v_add_co_u32 v3, vcc_lo, v3, v5
	v_add_co_ci_u32_e32 v4, vcc_lo, 0, v4, vcc_lo
	s_clause 0x7
	global_load_b128 v[49:52], v[1:2], off
	global_load_b128 v[53:56], v[1:2], off offset:512
	global_load_b128 v[76:79], v[3:4], off offset:256
	;; [unrolled: 1-line block ×7, first 2 shown]
	v_dual_mov_b32 v100, s4 :: v_dual_and_b32 v1, 7, v0
	v_lshlrev_b32_e32 v2, 5, v66
	v_dual_mov_b32 v104, s8 :: v_dual_mov_b32 v103, s7
	v_mov_b32_e32 v101, s5
	s_cselect_b32 s4, s33, s3
	v_lshlrev_b32_e32 v70, 6, v1
	s_ashr_i32 s5, s4, 31
	v_lshl_or_b32 v1, v65, 9, v2
	s_lshl_b64 s[4:5], s[4:5], 2
	s_load_b32 s3, s[34:35], 0x0
	s_add_u32 s4, s26, s4
	s_addc_u32 s5, s25, s5
	ds_load_b128 v[108:111], v70
	ds_load_b128 v[112:115], v70 offset:1024
	s_load_b32 s4, s[4:5], 0x0
	s_add_u32 s6, s22, s27
	s_addc_u32 s7, s23, s28
	v_add_co_u32 v9, s6, s6, v1
	s_delay_alu instid0(VALU_DEP_1) | instskip(SKIP_1) | instid1(VALU_DEP_1)
	v_add_co_ci_u32_e64 v10, null, s7, 0, s6
	s_waitcnt lgkmcnt(0)
	v_mad_i64_i32 v[1:2], null, s21, s17, v[9:10]
	v_mad_i64_i32 v[3:4], null, s13, s17, v[9:10]
	;; [unrolled: 1-line block ×7, first 2 shown]
	s_clause 0x9
	global_load_b128 v[57:60], v[1:2], off
	global_load_b128 v[61:64], v[1:2], off offset:16
	global_load_b128 v[41:44], v[3:4], off
	global_load_b128 v[45:48], v[3:4], off offset:16
	;; [unrolled: 2-line block ×5, first 2 shown]
	v_mad_i64_i32 v[68:69], null, s4, s17, v[9:10]
	s_clause 0x3
	global_load_b128 v[9:12], v[13:14], off
	global_load_b128 v[13:16], v[13:14], off offset:16
	global_load_b128 v[17:20], v[21:22], off
	global_load_b128 v[21:24], v[21:22], off offset:16
	s_waitcnt vmcnt(20)
	v_wmma_f32_16x16x16_bf16 v[116:123], v[49:56], v[108:115], v[100:107]
	s_clause 0x1
	global_load_b128 v[49:52], v[68:69], off
	global_load_b128 v[53:56], v[68:69], off offset:16
	v_and_b32_e32 v68, 0xe0, v0
	v_mbcnt_lo_u32_b32 v69, -1, 0
	s_delay_alu instid0(VALU_DEP_2)
	v_add_nc_u32_e32 v68, s12, v68
	s_waitcnt vmcnt(20)
	v_wmma_f32_16x16x16_bf16 v[100:107], v[76:83], v[108:115], v[100:107]
	ds_load_b128 v[76:79], v70 offset:2048
	ds_load_b128 v[80:83], v70 offset:3072
	v_xor_b32_e32 v70, 16, v69
	s_waitcnt vmcnt(0) lgkmcnt(0)
	v_or_b32_e32 v68, v68, v75
	s_barrier
	buffer_gl0_inv
	v_cmp_gt_i32_e32 vcc_lo, 32, v70
	v_or_b32_e32 v71, 4, v68
	v_or_b32_e32 v72, 6, v68
	v_cmp_gt_i32_e64 s3, s24, v68
	v_or_b32_e32 v108, 8, v68
	v_or_b32_e32 v109, 10, v68
	v_cmp_gt_i32_e64 s4, s24, v71
	v_cmp_gt_i32_e64 s5, s24, v72
	s_delay_alu instid0(VALU_DEP_4) | instskip(NEXT) | instid1(VALU_DEP_4)
	v_cmp_gt_i32_e64 s6, s24, v108
	v_cmp_gt_i32_e64 s7, s24, v109
	v_wmma_f32_16x16x16_bf16 v[116:123], v[84:91], v[76:83], v[116:123]
	v_cndmask_b32_e32 v69, v69, v70, vcc_lo
	v_or_b32_e32 v70, 2, v68
	v_wmma_f32_16x16x16_bf16 v[100:107], v[92:99], v[76:83], v[100:107]
	v_or_b32_e32 v84, 12, v68
	v_dual_mul_f32 v78, s19, v123 :: v_dual_mul_f32 v83, s19, v118
	v_dual_mul_f32 v92, s19, v117 :: v_dual_mul_f32 v93, s19, v116
	s_delay_alu instid0(VALU_DEP_4) | instskip(SKIP_2) | instid1(VALU_DEP_4)
	v_mul_f32_e32 v94, s19, v107
	v_cmp_gt_i32_e32 vcc_lo, s24, v70
	v_dual_mul_f32 v81, s19, v120 :: v_dual_mul_f32 v82, s19, v119
	v_cndmask_b32_e64 v93, 0xff7fffff, v93, s3
	v_or_b32_e32 v85, 14, v68
	v_cndmask_b32_e32 v92, 0xff7fffff, v92, vcc_lo
	v_dual_mul_f32 v79, s19, v122 :: v_dual_mul_f32 v80, s19, v121
	v_cndmask_b32_e64 v71, 0xff7fffff, v83, s4
	v_cndmask_b32_e64 v72, 0xff7fffff, v82, s5
	s_delay_alu instid0(VALU_DEP_4)
	v_max3_f32 v82, v93, 0xff7fffff, v92
	v_or_b32_e32 v86, 16, v68
	v_or_b32_e32 v87, 18, v68
	v_cndmask_b32_e64 v81, 0xff7fffff, v81, s6
	v_cndmask_b32_e64 v80, 0xff7fffff, v80, s7
	v_max3_f32 v71, v82, v71, v72
	v_cmp_gt_i32_e64 s8, s24, v84
	v_cmp_gt_i32_e64 s9, s24, v85
	v_or_b32_e32 v88, 20, v68
	v_or_b32_e32 v89, 22, v68
	v_or_b32_e32 v90, 24, v68
	v_or_b32_e32 v91, 26, v68
	v_or_b32_e32 v76, 28, v68
	v_or_b32_e32 v77, 30, v68
	v_dual_mul_f32 v99, s19, v102 :: v_dual_mul_f32 v70, s19, v101
	v_mul_f32_e32 v68, s19, v100
	v_cndmask_b32_e64 v72, 0xff7fffff, v79, s8
	v_cndmask_b32_e64 v78, 0xff7fffff, v78, s9
	v_max3_f32 v71, v71, v81, v80
	v_cmp_gt_i32_e64 s10, s24, v86
	v_cmp_gt_i32_e64 s11, s24, v87
	v_dual_mul_f32 v97, s19, v104 :: v_dual_mul_f32 v98, s19, v103
	s_delay_alu instid0(VALU_DEP_4) | instskip(SKIP_1) | instid1(VALU_DEP_4)
	v_max3_f32 v71, v71, v72, v78
	v_cmp_gt_i32_e64 s12, s24, v88
	v_cndmask_b32_e64 v70, 0xff7fffff, v70, s11
	v_cmp_gt_i32_e64 s13, s24, v89
	v_lshlrev_b32_e32 v89, 2, v69
	v_cndmask_b32_e64 v68, 0xff7fffff, v68, s10
	v_dual_mul_f32 v95, s19, v106 :: v_dual_mul_f32 v96, s19, v105
	v_cndmask_b32_e64 v72, 0xff7fffff, v99, s12
	v_cndmask_b32_e64 v78, 0xff7fffff, v98, s13
	s_delay_alu instid0(VALU_DEP_4)
	v_max3_f32 v68, v71, v68, v70
	v_cmp_gt_i32_e64 s15, s24, v90
	v_cmp_gt_i32_e64 s16, s24, v91
	;; [unrolled: 1-line block ×4, first 2 shown]
	v_max3_f32 v68, v68, v72, v78
	v_cndmask_b32_e64 v70, 0xff7fffff, v97, s15
	v_cndmask_b32_e64 v71, 0xff7fffff, v96, s16
	;; [unrolled: 1-line block ×4, first 2 shown]
	s_delay_alu instid0(VALU_DEP_3) | instskip(NEXT) | instid1(VALU_DEP_1)
	v_max3_f32 v68, v68, v70, v71
	v_max3_f32 v68, v68, v72, v76
	ds_bpermute_b32 v69, v89, v68
	s_waitcnt lgkmcnt(0)
	v_max_f32_e32 v69, v69, v69
	s_delay_alu instid0(VALU_DEP_1) | instskip(NEXT) | instid1(VALU_DEP_1)
	v_max_f32_e32 v68, v68, v69
	v_fma_f32 v71, s19, v118, -v68
	s_delay_alu instid0(VALU_DEP_1)
	v_mul_f32_e32 v71, 0x3fb8aa3b, v71
	v_fma_f32 v69, s19, v116, -v68
	v_fma_f32 v70, s19, v117, -v68
	;; [unrolled: 1-line block ×4, first 2 shown]
	v_exp_f32_e32 v71, v71
	s_delay_alu instid0(VALU_DEP_3) | instskip(SKIP_2) | instid1(VALU_DEP_3)
	v_dual_mul_f32 v69, 0x3fb8aa3b, v69 :: v_dual_mul_f32 v70, 0x3fb8aa3b, v70
	v_fma_f32 v78, s19, v122, -v68
	v_fma_f32 v81, s19, v105, -v68
	v_exp_f32_e32 v69, v69
	s_delay_alu instid0(VALU_DEP_3) | instskip(SKIP_1) | instid1(VALU_DEP_2)
	v_exp_f32_e32 v70, v70
	v_mul_f32_e32 v77, 0x3fb8aa3b, v76
	v_mul_f32_e32 v81, 0x3fb8aa3b, v81
	s_delay_alu instid0(TRANS32_DEP_3) | instskip(SKIP_1) | instid1(VALU_DEP_3)
	v_cndmask_b32_e64 v83, 0, v71, s4
	v_fma_f32 v71, s19, v123, -v68
	v_exp_f32_e32 v81, v81
	s_delay_alu instid0(TRANS32_DEP_3) | instskip(NEXT) | instid1(TRANS32_DEP_2)
	v_cndmask_b32_e64 v80, 0, v69, s3
	v_cndmask_b32_e32 v76, 0, v70, vcc_lo
	v_fma_f32 v69, s19, v121, -v68
	v_mul_f32_e32 v72, 0x3fb8aa3b, v72
	v_exp_f32_e32 v77, v77
	v_dual_add_f32 v70, 0, v80 :: v_dual_mul_f32 v71, 0x3fb8aa3b, v71
	s_delay_alu instid0(VALU_DEP_3) | instskip(NEXT) | instid1(VALU_DEP_3)
	v_mul_f32_e32 v69, 0x3fb8aa3b, v69
	v_exp_f32_e32 v72, v72
	s_mov_b32 s3, exec_lo
	s_delay_alu instid0(VALU_DEP_2) | instskip(NEXT) | instid1(VALU_DEP_1)
	v_exp_f32_e32 v71, v71
	v_exp_f32_e32 v69, v69
	v_cndmask_b32_e64 v86, 0, v77, s6
	v_fma_f32 v77, s19, v101, -v68
	v_add_f32_e32 v70, v70, v76
	s_delay_alu instid0(TRANS32_DEP_3) | instskip(SKIP_1) | instid1(VALU_DEP_3)
	v_cndmask_b32_e64 v85, 0, v72, s5
	v_fma_f32 v72, s19, v100, -v68
	v_dual_mul_f32 v77, 0x3fb8aa3b, v77 :: v_dual_add_f32 v70, v70, v83
	s_delay_alu instid0(TRANS32_DEP_2) | instskip(SKIP_1) | instid1(TRANS32_DEP_1)
	v_cndmask_b32_e64 v88, 0, v71, s9
	v_fma_f32 v71, s19, v104, -v68
	v_cndmask_b32_e64 v87, 0, v69, s7
	s_delay_alu instid0(VALU_DEP_4) | instskip(NEXT) | instid1(VALU_DEP_2)
	v_exp_f32_e32 v77, v77
	v_dual_add_f32 v70, v70, v85 :: v_dual_mul_f32 v71, 0x3fb8aa3b, v71
	s_delay_alu instid0(VALU_DEP_1) | instskip(SKIP_2) | instid1(VALU_DEP_3)
	v_dual_mul_f32 v72, 0x3fb8aa3b, v72 :: v_dual_add_f32 v69, v70, v86
	v_mul_f32_e32 v78, 0x3fb8aa3b, v78
	v_fma_f32 v70, s19, v102, -v68
	v_exp_f32_e32 v72, v72
	v_exp_f32_e32 v82, v71
	v_add_f32_e32 v69, v69, v87
	v_exp_f32_e32 v78, v78
	v_mul_f32_e32 v70, 0x3fb8aa3b, v70
	s_delay_alu instid0(VALU_DEP_1) | instskip(SKIP_4) | instid1(VALU_DEP_2)
	v_exp_f32_e32 v79, v70
	v_cndmask_b32_e64 v70, 0, v72, s10
	s_waitcnt_depctr 0xfff
	v_cndmask_b32_e64 v84, 0, v78, s8
	v_fma_f32 v78, s19, v103, -v68
	v_add_f32_e32 v69, v69, v84
	v_cndmask_b32_e64 v71, 0, v79, s12
	s_delay_alu instid0(VALU_DEP_2) | instskip(SKIP_2) | instid1(VALU_DEP_1)
	v_add_f32_e32 v72, v69, v88
	v_cndmask_b32_e64 v69, 0, v77, s11
	v_fma_f32 v77, s19, v106, -v68
	v_dual_mul_f32 v77, 0x3fb8aa3b, v77 :: v_dual_add_f32 v72, v72, v70
	v_mul_f32_e32 v78, 0x3fb8aa3b, v78
	s_delay_alu instid0(VALU_DEP_2) | instskip(NEXT) | instid1(VALU_DEP_2)
	v_exp_f32_e32 v90, v77
	v_add_f32_e32 v79, v72, v69
	s_delay_alu instid0(VALU_DEP_2)
	v_exp_f32_e32 v78, v78
	v_cndmask_b32_e64 v77, 0, v82, s15
	s_waitcnt_depctr 0xfff
	v_cndmask_b32_e64 v72, 0, v78, s13
	v_add_f32_e32 v78, v79, v71
	v_fma_f32 v79, s19, v107, -v68
	s_delay_alu instid0(VALU_DEP_1) | instskip(SKIP_1) | instid1(VALU_DEP_2)
	v_dual_add_f32 v82, v78, v72 :: v_dual_mul_f32 v79, 0x3fb8aa3b, v79
	v_cndmask_b32_e64 v78, 0, v81, s16
	v_add_f32_e32 v81, v82, v77
	s_delay_alu instid0(VALU_DEP_3) | instskip(SKIP_1) | instid1(VALU_DEP_2)
	v_exp_f32_e32 v82, v79
	v_cndmask_b32_e64 v79, 0, v90, s17
	v_add_f32_e32 v81, v81, v78
	s_delay_alu instid0(VALU_DEP_1) | instskip(SKIP_2) | instid1(VALU_DEP_1)
	v_add_f32_e32 v90, v81, v79
	s_waitcnt_depctr 0xfff
	v_cndmask_b32_e64 v81, 0, v82, s18
	v_add_f32_e32 v82, v90, v81
	ds_bpermute_b32 v89, v89, v82
	v_cmpx_gt_u32_e32 16, v67
	s_cbranch_execz .LBB1433_12
; %bb.11:
	v_mul_u32_u24_e32 v67, 0x44, v65
	s_delay_alu instid0(VALU_DEP_1) | instskip(SKIP_1) | instid1(VALU_DEP_1)
	v_lshl_add_u32 v67, v66, 2, v67
	s_waitcnt lgkmcnt(0)
	v_dual_add_f32 v82, v82, v89 :: v_dual_add_nc_u32 v67, 0x4000, v67
	ds_store_2addr_b32 v67, v68, v82 offset1:136
.LBB1433_12:
	s_or_b32 exec_lo, exec_lo, s3
	v_lshlrev_b32_e32 v67, 2, v66
	s_waitcnt lgkmcnt(0)
	s_barrier
	buffer_gl0_inv
	v_cmp_eq_u32_e32 vcc_lo, 1, v65
	v_add_nc_u32_e32 v82, 0x4000, v67
	v_cmp_eq_u32_e64 s3, 2, v65
	v_cmp_eq_u32_e64 s5, 7, v65
	ds_load_2addr_b32 v[89:90], v82 offset1:17
	ds_load_2addr_b32 v[91:92], v82 offset0:34 offset1:51
	ds_load_2addr_b32 v[93:94], v82 offset0:68 offset1:85
	;; [unrolled: 1-line block ×4, first 2 shown]
	s_waitcnt lgkmcnt(4)
	v_max3_f32 v67, v89, 0xff7fffff, v90
	s_waitcnt lgkmcnt(3)
	s_delay_alu instid0(VALU_DEP_1) | instskip(SKIP_1) | instid1(VALU_DEP_1)
	v_max3_f32 v67, v67, v91, v92
	s_waitcnt lgkmcnt(2)
	v_max3_f32 v67, v67, v93, v94
	s_waitcnt lgkmcnt(1)
	s_delay_alu instid0(VALU_DEP_1) | instskip(NEXT) | instid1(VALU_DEP_1)
	v_max3_f32 v67, v67, v95, v96
	v_sub_f32_e32 v93, v93, v67
	s_delay_alu instid0(VALU_DEP_1) | instskip(NEXT) | instid1(VALU_DEP_1)
	v_dual_sub_f32 v68, v89, v67 :: v_dual_mul_f32 v103, 0x3fb8aa3b, v93
	v_mul_f32_e32 v68, 0x3fb8aa3b, v68
	s_delay_alu instid0(VALU_DEP_1)
	v_exp_f32_e32 v100, v68
	v_sub_f32_e32 v68, v92, v67
	v_sub_f32_e32 v99, v90, v67
	ds_load_2addr_b32 v[89:90], v82 offset0:170 offset1:187
	v_dual_mul_f32 v102, 0x3fb8aa3b, v68 :: v_dual_mul_f32 v99, 0x3fb8aa3b, v99
	s_waitcnt lgkmcnt(1)
	v_fma_f32 v68, v100, v97, 0
	s_delay_alu instid0(VALU_DEP_2) | instskip(NEXT) | instid1(VALU_DEP_2)
	v_exp_f32_e32 v102, v102
	v_exp_f32_e32 v99, v99
	s_waitcnt_depctr 0xfff
	v_fmac_f32_e32 v68, v99, v98
	v_sub_f32_e32 v91, v91, v67
	s_delay_alu instid0(VALU_DEP_1)
	v_mul_f32_e32 v101, 0x3fb8aa3b, v91
	ds_load_2addr_b32 v[91:92], v82 offset0:204 offset1:221
	v_sub_f32_e32 v97, v94, v67
	ds_load_2addr_b32 v[93:94], v82 offset0:238 offset1:255
	s_waitcnt lgkmcnt(0)
	v_exp_f32_e32 v101, v101
	s_barrier
	buffer_gl0_inv
	v_dual_fmac_f32 v68, v101, v89 :: v_dual_sub_f32 v89, v96, v67
	v_dual_sub_f32 v82, v95, v67 :: v_dual_mul_f32 v95, 0x3fb8aa3b, v97
	v_exp_f32_e32 v97, v103
	s_delay_alu instid0(VALU_DEP_2) | instskip(NEXT) | instid1(VALU_DEP_2)
	v_dual_fmac_f32 v68, v102, v90 :: v_dual_mul_f32 v89, 0x3fb8aa3b, v89
	v_mul_f32_e32 v82, 0x3fb8aa3b, v82
	s_delay_alu instid0(VALU_DEP_3) | instskip(NEXT) | instid1(VALU_DEP_2)
	v_exp_f32_e32 v95, v95
	v_exp_f32_e32 v89, v89
	s_delay_alu instid0(VALU_DEP_1)
	v_exp_f32_e32 v82, v82
	v_fmac_f32_e32 v68, v97, v91
	s_delay_alu instid0(TRANS32_DEP_3) | instid1(VALU_DEP_1)
	v_fmac_f32_e32 v68, v95, v92
	s_waitcnt_depctr 0xfff
	v_fmac_f32_e32 v68, v82, v93
	s_delay_alu instid0(VALU_DEP_1) | instskip(NEXT) | instid1(VALU_DEP_1)
	v_fmac_f32_e32 v68, v89, v94
	v_add_f32_e32 v90, 0x358637bd, v68
	s_delay_alu instid0(VALU_DEP_1) | instskip(NEXT) | instid1(VALU_DEP_1)
	v_div_scale_f32 v91, null, v90, v90, 1.0
	v_rcp_f32_e32 v92, v91
	s_waitcnt_depctr 0xfff
	v_fma_f32 v93, -v91, v92, 1.0
	s_delay_alu instid0(VALU_DEP_1) | instskip(SKIP_1) | instid1(VALU_DEP_2)
	v_dual_fmac_f32 v92, v93, v92 :: v_dual_cndmask_b32 v93, v100, v99
	v_cmp_eq_u32_e32 vcc_lo, 3, v65
	v_cndmask_b32_e64 v93, v93, v101, s3
	v_cmp_eq_u32_e64 s3, 4, v65
	s_delay_alu instid0(VALU_DEP_2) | instskip(SKIP_1) | instid1(VALU_DEP_2)
	v_cndmask_b32_e32 v93, v93, v102, vcc_lo
	v_cmp_eq_u32_e32 vcc_lo, 5, v65
	v_cndmask_b32_e64 v93, v93, v97, s3
	v_cmp_eq_u32_e64 s3, 6, v65
	s_delay_alu instid0(VALU_DEP_2) | instskip(SKIP_1) | instid1(VALU_DEP_1)
	v_cndmask_b32_e32 v93, v93, v95, vcc_lo
	v_div_scale_f32 v94, s4, 1.0, v90, 1.0
	s_mov_b32 vcc_lo, s4
	s_delay_alu instid0(VALU_DEP_2) | instskip(NEXT) | instid1(VALU_DEP_2)
	v_cndmask_b32_e64 v82, v93, v82, s3
	v_mul_f32_e32 v96, v94, v92
	s_mov_b32 s3, exec_lo
	s_delay_alu instid0(VALU_DEP_2) | instskip(NEXT) | instid1(VALU_DEP_2)
	v_cndmask_b32_e64 v82, v82, v89, s5
	v_fma_f32 v98, -v91, v96, v94
	s_delay_alu instid0(VALU_DEP_1) | instskip(NEXT) | instid1(VALU_DEP_1)
	v_fmac_f32_e32 v96, v98, v92
	v_fma_f32 v91, -v91, v96, v94
	s_delay_alu instid0(VALU_DEP_1) | instskip(NEXT) | instid1(VALU_DEP_1)
	v_div_fmas_f32 v91, v91, v92, v96
	v_div_fixup_f32 v90, v91, v90, 1.0
	s_delay_alu instid0(VALU_DEP_1) | instskip(NEXT) | instid1(VALU_DEP_1)
	v_mul_f32_e32 v82, v82, v90
	v_mul_f32_e32 v87, v82, v87
	;; [unrolled: 1-line block ×7, first 2 shown]
	v_dual_mul_f32 v86, v82, v83 :: v_dual_and_b32 v91, 0x7f800000, v90
	v_mul_f32_e32 v85, v82, v76
                                        ; implicit-def: $vgpr76
	s_delay_alu instid0(VALU_DEP_2)
	v_cmpx_ne_u32_e32 0x7f800000, v91
	s_xor_b32 s3, exec_lo, s3
; %bb.13:
	v_bfe_u32 v76, v90, 16, 1
	s_delay_alu instid0(VALU_DEP_1)
	v_add3_u32 v76, v90, v76, 0x7fff
                                        ; implicit-def: $vgpr90
; %bb.14:
	s_and_not1_saveexec_b32 s3, s3
; %bb.15:
	v_and_b32_e32 v76, 0xffff, v90
	v_or_b32_e32 v83, 0x10000, v90
	s_delay_alu instid0(VALU_DEP_2) | instskip(NEXT) | instid1(VALU_DEP_2)
	v_cmp_eq_u32_e32 vcc_lo, 0, v76
	v_cndmask_b32_e32 v76, v83, v90, vcc_lo
; %bb.16:
	s_or_b32 exec_lo, exec_lo, s3
	v_and_b32_e32 v83, 0x7f800000, v85
	s_delay_alu instid0(VALU_DEP_1) | instskip(SKIP_1) | instid1(SALU_CYCLE_1)
	v_cmp_ne_u32_e32 vcc_lo, 0x7f800000, v83
                                        ; implicit-def: $vgpr83
	s_and_saveexec_b32 s3, vcc_lo
	s_xor_b32 s3, exec_lo, s3
; %bb.17:
	v_bfe_u32 v83, v85, 16, 1
	s_delay_alu instid0(VALU_DEP_1)
	v_add3_u32 v83, v85, v83, 0x7fff
                                        ; implicit-def: $vgpr85
; %bb.18:
	s_and_not1_saveexec_b32 s3, s3
; %bb.19:
	v_and_b32_e32 v83, 0xffff, v85
	v_or_b32_e32 v90, 0x10000, v85
	s_delay_alu instid0(VALU_DEP_2) | instskip(NEXT) | instid1(VALU_DEP_2)
	v_cmp_eq_u32_e32 vcc_lo, 0, v83
	v_cndmask_b32_e32 v83, v90, v85, vcc_lo
; %bb.20:
	s_or_b32 exec_lo, exec_lo, s3
	v_and_b32_e32 v85, 0x7f800000, v86
	s_delay_alu instid0(VALU_DEP_1) | instskip(SKIP_1) | instid1(SALU_CYCLE_1)
	v_cmp_ne_u32_e32 vcc_lo, 0x7f800000, v85
                                        ; implicit-def: $vgpr85
	s_and_saveexec_b32 s3, vcc_lo
	s_xor_b32 s3, exec_lo, s3
; %bb.21:
	v_bfe_u32 v85, v86, 16, 1
	s_delay_alu instid0(VALU_DEP_1)
	v_add3_u32 v85, v86, v85, 0x7fff
                                        ; implicit-def: $vgpr86
; %bb.22:
	s_and_not1_saveexec_b32 s3, s3
; %bb.23:
	v_and_b32_e32 v85, 0xffff, v86
	v_or_b32_e32 v90, 0x10000, v86
	s_delay_alu instid0(VALU_DEP_2) | instskip(NEXT) | instid1(VALU_DEP_2)
	v_cmp_eq_u32_e32 vcc_lo, 0, v85
	v_cndmask_b32_e32 v85, v90, v86, vcc_lo
; %bb.24:
	s_or_b32 exec_lo, exec_lo, s3
	v_and_b32_e32 v86, 0x7f800000, v89
	s_delay_alu instid0(VALU_DEP_1) | instskip(SKIP_1) | instid1(SALU_CYCLE_1)
	v_cmp_ne_u32_e32 vcc_lo, 0x7f800000, v86
                                        ; implicit-def: $vgpr86
	s_and_saveexec_b32 s3, vcc_lo
	s_xor_b32 s3, exec_lo, s3
; %bb.25:
	v_bfe_u32 v86, v89, 16, 1
	s_delay_alu instid0(VALU_DEP_1)
	v_add3_u32 v86, v89, v86, 0x7fff
                                        ; implicit-def: $vgpr89
; %bb.26:
	s_and_not1_saveexec_b32 s3, s3
; %bb.27:
	v_and_b32_e32 v86, 0xffff, v89
	v_or_b32_e32 v90, 0x10000, v89
	s_delay_alu instid0(VALU_DEP_2) | instskip(NEXT) | instid1(VALU_DEP_2)
	v_cmp_eq_u32_e32 vcc_lo, 0, v86
	v_cndmask_b32_e32 v86, v90, v89, vcc_lo
; %bb.28:
	s_or_b32 exec_lo, exec_lo, s3
	v_and_b32_e32 v89, 0x7f800000, v88
	s_delay_alu instid0(VALU_DEP_1) | instskip(SKIP_1) | instid1(SALU_CYCLE_1)
	v_cmp_ne_u32_e32 vcc_lo, 0x7f800000, v89
                                        ; implicit-def: $vgpr89
	s_and_saveexec_b32 s3, vcc_lo
	s_xor_b32 s3, exec_lo, s3
; %bb.29:
	v_bfe_u32 v89, v88, 16, 1
	s_delay_alu instid0(VALU_DEP_1)
	v_add3_u32 v89, v88, v89, 0x7fff
                                        ; implicit-def: $vgpr88
; %bb.30:
	s_and_not1_saveexec_b32 s3, s3
; %bb.31:
	v_and_b32_e32 v89, 0xffff, v88
	v_or_b32_e32 v90, 0x10000, v88
	s_delay_alu instid0(VALU_DEP_2) | instskip(NEXT) | instid1(VALU_DEP_2)
	v_cmp_eq_u32_e32 vcc_lo, 0, v89
	v_cndmask_b32_e32 v89, v90, v88, vcc_lo
; %bb.32:
	s_or_b32 exec_lo, exec_lo, s3
	v_and_b32_e32 v88, 0x7f800000, v87
	s_delay_alu instid0(VALU_DEP_1) | instskip(SKIP_1) | instid1(SALU_CYCLE_1)
	v_cmp_ne_u32_e32 vcc_lo, 0x7f800000, v88
                                        ; implicit-def: $vgpr88
	s_and_saveexec_b32 s3, vcc_lo
	s_xor_b32 s3, exec_lo, s3
; %bb.33:
	v_bfe_u32 v88, v87, 16, 1
	s_delay_alu instid0(VALU_DEP_1)
	v_add3_u32 v88, v87, v88, 0x7fff
                                        ; implicit-def: $vgpr87
; %bb.34:
	s_and_not1_saveexec_b32 s3, s3
; %bb.35:
	v_and_b32_e32 v88, 0xffff, v87
	v_or_b32_e32 v90, 0x10000, v87
	s_delay_alu instid0(VALU_DEP_2) | instskip(NEXT) | instid1(VALU_DEP_2)
	v_cmp_eq_u32_e32 vcc_lo, 0, v88
	v_cndmask_b32_e32 v88, v90, v87, vcc_lo
; %bb.36:
	s_or_b32 exec_lo, exec_lo, s3
	v_and_b32_e32 v87, 0x7f800000, v84
	s_delay_alu instid0(VALU_DEP_1) | instskip(SKIP_1) | instid1(SALU_CYCLE_1)
	v_cmp_ne_u32_e32 vcc_lo, 0x7f800000, v87
                                        ; implicit-def: $vgpr87
	s_and_saveexec_b32 s3, vcc_lo
	s_xor_b32 s3, exec_lo, s3
; %bb.37:
	v_bfe_u32 v87, v84, 16, 1
	s_delay_alu instid0(VALU_DEP_1)
	v_add3_u32 v87, v84, v87, 0x7fff
                                        ; implicit-def: $vgpr84
; %bb.38:
	s_and_not1_saveexec_b32 s3, s3
; %bb.39:
	v_and_b32_e32 v87, 0xffff, v84
	v_or_b32_e32 v90, 0x10000, v84
	s_delay_alu instid0(VALU_DEP_2) | instskip(NEXT) | instid1(VALU_DEP_2)
	v_cmp_eq_u32_e32 vcc_lo, 0, v87
	v_cndmask_b32_e32 v87, v90, v84, vcc_lo
; %bb.40:
	s_or_b32 exec_lo, exec_lo, s3
	v_and_b32_e32 v84, 0x7f800000, v80
	s_delay_alu instid0(VALU_DEP_1) | instskip(SKIP_1) | instid1(SALU_CYCLE_1)
	v_cmp_ne_u32_e32 vcc_lo, 0x7f800000, v84
                                        ; implicit-def: $vgpr84
	s_and_saveexec_b32 s3, vcc_lo
	s_xor_b32 s3, exec_lo, s3
; %bb.41:
	v_bfe_u32 v84, v80, 16, 1
	s_delay_alu instid0(VALU_DEP_1)
	v_add3_u32 v84, v80, v84, 0x7fff
                                        ; implicit-def: $vgpr80
; %bb.42:
	s_and_not1_saveexec_b32 s3, s3
; %bb.43:
	v_and_b32_e32 v84, 0xffff, v80
	v_or_b32_e32 v90, 0x10000, v80
	s_delay_alu instid0(VALU_DEP_2) | instskip(NEXT) | instid1(VALU_DEP_2)
	v_cmp_eq_u32_e32 vcc_lo, 0, v84
	v_cndmask_b32_e32 v84, v90, v80, vcc_lo
; %bb.44:
	s_or_b32 exec_lo, exec_lo, s3
	s_load_b64 s[34:35], s[0:1], 0x94
	v_lshlrev_b32_e32 v91, 4, v75
	s_delay_alu instid0(VALU_DEP_2)
	v_perm_b32 v90, v84, v87, 0x7060302
	v_dual_mul_f32 v77, v82, v77 :: v_dual_lshlrev_b32 v80, 6, v66
	v_lshlrev_b32_e32 v66, 11, v65
	v_perm_b32 v87, v83, v76, 0x7060302
	v_mul_f32_e32 v83, v82, v70
	v_perm_b32 v89, v88, v89, 0x7060302
	v_perm_b32 v88, v86, v85, 0x7060302
	v_or3_b32 v76, v91, v66, v80
	v_mul_f32_e32 v66, v82, v81
	v_mul_f32_e32 v70, v82, v79
	;; [unrolled: 1-line block ×3, first 2 shown]
	v_dual_mul_f32 v81, v82, v72 :: v_dual_and_b32 v84, 0x7f800000, v83
	v_mul_f32_e32 v79, v82, v71
	v_mul_f32_e32 v72, v82, v69
	s_mov_b32 s3, exec_lo
	ds_store_b128 v76, v[87:90]
                                        ; implicit-def: $vgpr69
	v_cmpx_ne_u32_e32 0x7f800000, v84
	s_xor_b32 s3, exec_lo, s3
; %bb.45:
	v_bfe_u32 v69, v83, 16, 1
	s_delay_alu instid0(VALU_DEP_1)
	v_add3_u32 v69, v83, v69, 0x7fff
                                        ; implicit-def: $vgpr83
; %bb.46:
	s_and_not1_saveexec_b32 s3, s3
; %bb.47:
	v_and_b32_e32 v69, 0xffff, v83
	v_or_b32_e32 v71, 0x10000, v83
	s_delay_alu instid0(VALU_DEP_2) | instskip(NEXT) | instid1(VALU_DEP_2)
	v_cmp_eq_u32_e32 vcc_lo, 0, v69
	v_cndmask_b32_e32 v69, v71, v83, vcc_lo
; %bb.48:
	s_or_b32 exec_lo, exec_lo, s3
	v_and_b32_e32 v71, 0x7f800000, v72
	s_delay_alu instid0(VALU_DEP_1) | instskip(SKIP_1) | instid1(SALU_CYCLE_1)
	v_cmp_ne_u32_e32 vcc_lo, 0x7f800000, v71
                                        ; implicit-def: $vgpr71
	s_and_saveexec_b32 s3, vcc_lo
	s_xor_b32 s3, exec_lo, s3
; %bb.49:
	v_bfe_u32 v71, v72, 16, 1
	s_delay_alu instid0(VALU_DEP_1)
	v_add3_u32 v71, v72, v71, 0x7fff
                                        ; implicit-def: $vgpr72
; %bb.50:
	s_and_not1_saveexec_b32 s3, s3
; %bb.51:
	v_and_b32_e32 v71, 0xffff, v72
	v_or_b32_e32 v82, 0x10000, v72
	s_delay_alu instid0(VALU_DEP_2) | instskip(NEXT) | instid1(VALU_DEP_2)
	v_cmp_eq_u32_e32 vcc_lo, 0, v71
	v_cndmask_b32_e32 v71, v82, v72, vcc_lo
; %bb.52:
	s_or_b32 exec_lo, exec_lo, s3
	v_and_b32_e32 v72, 0x7f800000, v79
	s_delay_alu instid0(VALU_DEP_1) | instskip(SKIP_1) | instid1(SALU_CYCLE_1)
	v_cmp_ne_u32_e32 vcc_lo, 0x7f800000, v72
                                        ; implicit-def: $vgpr72
	s_and_saveexec_b32 s3, vcc_lo
	s_xor_b32 s3, exec_lo, s3
; %bb.53:
	v_bfe_u32 v72, v79, 16, 1
	s_delay_alu instid0(VALU_DEP_1)
	v_add3_u32 v72, v79, v72, 0x7fff
                                        ; implicit-def: $vgpr79
; %bb.54:
	s_and_not1_saveexec_b32 s3, s3
; %bb.55:
	v_and_b32_e32 v72, 0xffff, v79
	v_or_b32_e32 v82, 0x10000, v79
	s_delay_alu instid0(VALU_DEP_2) | instskip(NEXT) | instid1(VALU_DEP_2)
	v_cmp_eq_u32_e32 vcc_lo, 0, v72
	v_cndmask_b32_e32 v72, v82, v79, vcc_lo
; %bb.56:
	s_or_b32 exec_lo, exec_lo, s3
	v_and_b32_e32 v79, 0x7f800000, v81
	s_delay_alu instid0(VALU_DEP_1) | instskip(SKIP_1) | instid1(SALU_CYCLE_1)
	v_cmp_ne_u32_e32 vcc_lo, 0x7f800000, v79
                                        ; implicit-def: $vgpr79
	s_and_saveexec_b32 s3, vcc_lo
	s_xor_b32 s3, exec_lo, s3
; %bb.57:
	v_bfe_u32 v79, v81, 16, 1
	s_delay_alu instid0(VALU_DEP_1)
	v_add3_u32 v79, v81, v79, 0x7fff
                                        ; implicit-def: $vgpr81
; %bb.58:
	s_and_not1_saveexec_b32 s3, s3
; %bb.59:
	v_and_b32_e32 v79, 0xffff, v81
	v_or_b32_e32 v82, 0x10000, v81
	s_delay_alu instid0(VALU_DEP_2) | instskip(NEXT) | instid1(VALU_DEP_2)
	v_cmp_eq_u32_e32 vcc_lo, 0, v79
	v_cndmask_b32_e32 v79, v82, v81, vcc_lo
; %bb.60:
	s_or_b32 exec_lo, exec_lo, s3
	v_and_b32_e32 v81, 0x7f800000, v77
	s_delay_alu instid0(VALU_DEP_1) | instskip(SKIP_1) | instid1(SALU_CYCLE_1)
	v_cmp_ne_u32_e32 vcc_lo, 0x7f800000, v81
                                        ; implicit-def: $vgpr81
	s_and_saveexec_b32 s3, vcc_lo
	s_xor_b32 s3, exec_lo, s3
; %bb.61:
	v_bfe_u32 v81, v77, 16, 1
	s_delay_alu instid0(VALU_DEP_1)
	v_add3_u32 v81, v77, v81, 0x7fff
                                        ; implicit-def: $vgpr77
; %bb.62:
	s_and_not1_saveexec_b32 s3, s3
; %bb.63:
	v_and_b32_e32 v81, 0xffff, v77
	v_or_b32_e32 v82, 0x10000, v77
	s_delay_alu instid0(VALU_DEP_2) | instskip(NEXT) | instid1(VALU_DEP_2)
	v_cmp_eq_u32_e32 vcc_lo, 0, v81
	v_cndmask_b32_e32 v81, v82, v77, vcc_lo
; %bb.64:
	s_or_b32 exec_lo, exec_lo, s3
	v_and_b32_e32 v77, 0x7f800000, v78
	s_delay_alu instid0(VALU_DEP_1) | instskip(SKIP_1) | instid1(SALU_CYCLE_1)
	v_cmp_ne_u32_e32 vcc_lo, 0x7f800000, v77
                                        ; implicit-def: $vgpr77
	s_and_saveexec_b32 s3, vcc_lo
	s_xor_b32 s3, exec_lo, s3
; %bb.65:
	v_bfe_u32 v77, v78, 16, 1
	s_delay_alu instid0(VALU_DEP_1)
	v_add3_u32 v77, v78, v77, 0x7fff
                                        ; implicit-def: $vgpr78
; %bb.66:
	s_and_not1_saveexec_b32 s3, s3
; %bb.67:
	v_and_b32_e32 v77, 0xffff, v78
	v_or_b32_e32 v82, 0x10000, v78
	s_delay_alu instid0(VALU_DEP_2) | instskip(NEXT) | instid1(VALU_DEP_2)
	v_cmp_eq_u32_e32 vcc_lo, 0, v77
	v_cndmask_b32_e32 v77, v82, v78, vcc_lo
; %bb.68:
	s_or_b32 exec_lo, exec_lo, s3
	v_and_b32_e32 v78, 0x7f800000, v70
	s_delay_alu instid0(VALU_DEP_1) | instskip(SKIP_1) | instid1(SALU_CYCLE_1)
	v_cmp_ne_u32_e32 vcc_lo, 0x7f800000, v78
                                        ; implicit-def: $vgpr78
	s_and_saveexec_b32 s3, vcc_lo
	s_xor_b32 s3, exec_lo, s3
; %bb.69:
	v_bfe_u32 v78, v70, 16, 1
	s_delay_alu instid0(VALU_DEP_1)
	v_add3_u32 v78, v70, v78, 0x7fff
                                        ; implicit-def: $vgpr70
; %bb.70:
	s_and_not1_saveexec_b32 s3, s3
; %bb.71:
	v_and_b32_e32 v78, 0xffff, v70
	v_or_b32_e32 v82, 0x10000, v70
	s_delay_alu instid0(VALU_DEP_2) | instskip(NEXT) | instid1(VALU_DEP_2)
	v_cmp_eq_u32_e32 vcc_lo, 0, v78
	v_cndmask_b32_e32 v78, v82, v70, vcc_lo
; %bb.72:
	s_or_b32 exec_lo, exec_lo, s3
	v_and_b32_e32 v70, 0x7f800000, v66
	s_delay_alu instid0(VALU_DEP_1) | instskip(SKIP_1) | instid1(SALU_CYCLE_1)
	v_cmp_ne_u32_e32 vcc_lo, 0x7f800000, v70
                                        ; implicit-def: $vgpr70
	s_and_saveexec_b32 s3, vcc_lo
	s_xor_b32 s3, exec_lo, s3
; %bb.73:
	v_bfe_u32 v70, v66, 16, 1
	s_delay_alu instid0(VALU_DEP_1)
	v_add3_u32 v70, v66, v70, 0x7fff
                                        ; implicit-def: $vgpr66
; %bb.74:
	s_and_not1_saveexec_b32 s3, s3
; %bb.75:
	v_and_b32_e32 v70, 0xffff, v66
	v_or_b32_e32 v82, 0x10000, v66
	s_delay_alu instid0(VALU_DEP_2) | instskip(NEXT) | instid1(VALU_DEP_2)
	v_cmp_eq_u32_e32 vcc_lo, 0, v70
	v_cndmask_b32_e32 v70, v82, v66, vcc_lo
; %bb.76:
	s_or_b32 exec_lo, exec_lo, s3
	s_delay_alu instid0(VALU_DEP_1)
	v_perm_b32 v86, v70, v78, 0x7060302
	v_perm_b32 v85, v77, v81, 0x7060302
	;; [unrolled: 1-line block ×4, first 2 shown]
	v_lshl_or_b32 v82, v65, 11, v80
	ds_store_b128 v76, v[83:86] offset:1024
	s_waitcnt lgkmcnt(0)
	s_barrier
	buffer_gl0_inv
	ds_load_b128 v[69:72], v82
	ds_load_b128 v[83:86], v82 offset:16
	s_waitcnt lgkmcnt(1)
	v_lshrrev_b32_e32 v65, 16, v69
	v_lshlrev_b32_e32 v78, 2, v75
	s_waitcnt lgkmcnt(0)
	v_lshrrev_b32_e32 v91, 16, v83
	v_lshrrev_b32_e32 v66, 16, v70
	;; [unrolled: 1-line block ×4, first 2 shown]
	v_cmp_eq_u32_e32 vcc_lo, 1, v78
	v_lshrrev_b32_e32 v98, 16, v85
	v_lshrrev_b32_e32 v96, 16, v72
	;; [unrolled: 1-line block ×3, first 2 shown]
	v_cndmask_b32_e32 v81, v69, v65, vcc_lo
	v_or_b32_e32 v79, 1, v78
	v_cmp_eq_u32_e64 s4, 2, v78
	v_cndmask_b32_e32 v87, v83, v91, vcc_lo
	v_cmp_eq_u32_e64 s7, 3, v78
	v_cmp_eq_u32_e64 s9, 4, v78
	;; [unrolled: 1-line block ×3, first 2 shown]
	v_cndmask_b32_e64 v81, v81, v70, s4
	v_cmp_eq_u32_e64 s6, 2, v79
	v_cndmask_b32_e64 v87, v87, v84, s4
	v_cmp_eq_u32_e64 s8, 3, v79
	v_cndmask_b32_e64 v88, v69, v65, s3
	v_cndmask_b32_e64 v81, v81, v66, s7
	v_or_b32_e32 v77, 2, v78
	v_cndmask_b32_e64 v87, v87, v97, s7
	v_cndmask_b32_e64 v89, v83, v91, s3
	;; [unrolled: 1-line block ×4, first 2 shown]
	v_cmp_eq_u32_e64 s10, 5, v78
	v_cndmask_b32_e64 v87, v87, v85, s9
	v_cmp_eq_u32_e64 s11, 4, v79
	v_cndmask_b32_e64 v88, v88, v66, s8
	;; [unrolled: 2-line block ×3, first 2 shown]
	v_cndmask_b32_e64 v81, v81, v95, s10
	v_cmp_eq_u32_e64 s12, 6, v78
	v_cndmask_b32_e64 v88, v88, v71, s11
	v_cndmask_b32_e64 v87, v87, v98, s10
	v_cmp_eq_u32_e64 s13, 5, v79
	v_cndmask_b32_e64 v90, v69, v65, s5
	v_cndmask_b32_e64 v89, v89, v97, s8
	v_cndmask_b32_e64 v81, v81, v72, s12
	v_cmp_eq_u32_e64 s15, 7, v78
	v_cndmask_b32_e64 v88, v88, v95, s13
	v_cndmask_b32_e64 v87, v87, v86, s12
	v_cmp_eq_u32_e64 s16, 6, v79
	v_cmp_eq_u32_e64 s17, 2, v77
	v_cndmask_b32_e64 v89, v89, v85, s11
	v_cndmask_b32_e64 v100, v81, v96, s15
	;; [unrolled: 1-line block ×6, first 2 shown]
	v_cmp_eq_u32_e64 s18, 7, v79
	v_cmp_eq_u32_e64 s19, 3, v77
	;; [unrolled: 1-line block ×4, first 2 shown]
	v_cndmask_b32_e64 v87, v87, v84, s17
	v_cndmask_b32_e64 v102, v88, v96, s18
	v_cndmask_b32_e64 v88, v89, v98, s13
	v_cndmask_b32_e64 v89, v81, v66, s19
	v_or_b32_e32 v81, 3, v78
	v_cndmask_b32_e64 v93, v87, v97, s19
	v_cmp_eq_u32_e64 s24, 6, v77
	v_cndmask_b32_e64 v103, v88, v86, s16
	v_cndmask_b32_e64 v92, v89, v71, s20
	v_cmp_eq_u32_e64 s21, 1, v81
	ds_load_b128 v[87:90], v82 offset:1024
	v_cmp_eq_u32_e64 s23, 2, v81
	v_cmp_eq_u32_e64 s25, 3, v81
	v_cndmask_b32_e64 v104, v92, v95, s22
	v_cndmask_b32_e64 v65, v69, v65, s21
	v_cndmask_b32_e64 v69, v93, v85, s20
	v_cndmask_b32_e64 v83, v83, v91, s21
	ds_load_b128 v[91:94], v82 offset:1040
	v_cmp_eq_u32_e64 s26, 4, v81
	v_cndmask_b32_e64 v65, v65, v70, s23
	v_cmp_eq_u32_e64 s28, 5, v81
	v_cndmask_b32_e64 v70, v83, v84, s23
	v_cmp_eq_u32_e64 s29, 6, v81
	v_cndmask_b32_e64 v69, v69, v98, s22
	v_cndmask_b32_e64 v65, v65, v66, s25
	v_cndmask_b32_e64 v66, v104, v72, s24
	;; [unrolled: 1-line block ×3, first 2 shown]
	v_cmp_eq_u32_e64 s27, 7, v77
	v_cndmask_b32_e64 v69, v69, v86, s24
	v_cndmask_b32_e64 v65, v65, v71, s26
	s_waitcnt lgkmcnt(1)
	v_lshrrev_b32_e32 v84, 16, v87
	v_cndmask_b32_e64 v70, v70, v85, s26
	v_cndmask_b32_e64 v83, v103, v99, s18
	;; [unrolled: 1-line block ×4, first 2 shown]
	v_lshrrev_b32_e32 v95, 16, v88
	v_cndmask_b32_e64 v70, v70, v98, s28
	s_waitcnt lgkmcnt(0)
	v_lshrrev_b32_e32 v85, 16, v91
	v_cndmask_b32_e64 v97, v87, v84, s3
	v_cndmask_b32_e64 v65, v65, v72, s29
	;; [unrolled: 1-line block ×4, first 2 shown]
	v_cndmask_b32_e32 v71, v87, v84, vcc_lo
	v_cndmask_b32_e32 v98, v91, v85, vcc_lo
	v_cmp_eq_u32_e32 vcc_lo, 7, v81
	v_cndmask_b32_e64 v72, v97, v88, s6
	v_lshrrev_b32_e32 v97, 16, v92
	v_lshrrev_b32_e32 v103, 16, v90
	v_dual_cndmask_b32 v65, v65, v96 :: v_dual_cndmask_b32 v70, v70, v99
	v_cndmask_b32_e64 v71, v71, v88, s4
	v_cndmask_b32_e64 v86, v98, v92, s4
	;; [unrolled: 1-line block ×3, first 2 shown]
	v_lshrrev_b32_e32 v98, 16, v89
	v_lshrrev_b32_e32 v99, 16, v93
	v_cndmask_b32_e64 v71, v71, v95, s7
	v_cndmask_b32_e64 v86, v86, v97, s7
	;; [unrolled: 1-line block ×3, first 2 shown]
	v_perm_b32 v72, v70, v65, 0x5040100
	v_perm_b32 v70, v83, v102, 0x5040100
	v_cndmask_b32_e64 v71, v71, v89, s9
	v_cndmask_b32_e64 v86, v86, v93, s9
	;; [unrolled: 1-line block ×3, first 2 shown]
	v_lshrrev_b32_e32 v83, 16, v94
	s_delay_alu instid0(VALU_DEP_4) | instskip(NEXT) | instid1(VALU_DEP_4)
	v_cndmask_b32_e64 v71, v71, v98, s10
	v_cndmask_b32_e64 v86, v86, v99, s10
	s_delay_alu instid0(VALU_DEP_4) | instskip(NEXT) | instid1(VALU_DEP_3)
	v_cndmask_b32_e64 v65, v65, v90, s16
	v_cndmask_b32_e64 v96, v71, v90, s12
	v_perm_b32 v71, v69, v66, 0x5040100
	s_delay_alu instid0(VALU_DEP_4)
	v_cndmask_b32_e64 v69, v86, v94, s12
	v_cndmask_b32_e64 v86, v87, v84, s5
	;; [unrolled: 1-line block ×34, first 2 shown]
	v_cndmask_b32_e32 v84, v84, v103, vcc_lo
	v_cndmask_b32_e32 v86, v87, v83, vcc_lo
	v_cndmask_b32_e64 v87, v88, v83, s27
	v_cndmask_b32_e64 v88, v85, v83, s18
	;; [unrolled: 1-line block ×3, first 2 shown]
	v_perm_b32 v69, v101, v100, 0x5040100
	v_perm_b32 v86, v86, v84, 0x5040100
	;; [unrolled: 1-line block ×5, first 2 shown]
	s_lshl_b32 s8, s35, 3
	s_mov_b32 s3, exec_lo
	ds_store_b128 v76, v[69:72]
	ds_store_b128 v76, v[83:86] offset:1024
	v_cmpx_gt_u32_e32 8, v0
	s_cbranch_execz .LBB1433_78
; %bb.77:
	v_or_b32_e32 v65, s31, v0
	s_load_b128 s[4:7], s[0:1], 0x58
	s_delay_alu instid0(VALU_DEP_1) | instskip(NEXT) | instid1(VALU_DEP_1)
	v_mad_u64_u32 v[69:70], null, s8, s30, v[65:66]
	v_mad_u64_u32 v[65:66], null, v69, s34, s[14:15]
	s_delay_alu instid0(VALU_DEP_1) | instskip(NEXT) | instid1(VALU_DEP_1)
	v_ashrrev_i32_e32 v66, 31, v65
	v_lshlrev_b64 v[65:66], 2, v[65:66]
	s_waitcnt lgkmcnt(0)
	s_delay_alu instid0(VALU_DEP_1) | instskip(NEXT) | instid1(VALU_DEP_2)
	v_add_co_u32 v69, vcc_lo, s6, v65
	v_add_co_ci_u32_e32 v70, vcc_lo, s7, v66, vcc_lo
	v_add_co_u32 v65, vcc_lo, s4, v65
	v_add_co_ci_u32_e32 v66, vcc_lo, s5, v66, vcc_lo
	global_store_b32 v[69:70], v67, off
	global_store_b32 v[65:66], v68, off
.LBB1433_78:
	s_or_b32 exec_lo, exec_lo, s3
	s_waitcnt lgkmcnt(0)
	s_waitcnt_vscnt null, 0x0
	s_barrier
	buffer_gl0_inv
	ds_load_b128 v[83:86], v80
	ds_load_b128 v[87:90], v80 offset:16
	ds_load_b128 v[95:98], v80 offset:2064
	;; [unrolled: 1-line block ×3, first 2 shown]
	v_mov_b32_e32 v65, 0
	ds_load_b128 v[103:106], v80 offset:4112
	ds_load_b128 v[99:102], v80 offset:4096
	;; [unrolled: 1-line block ×4, first 2 shown]
	v_mov_b32_e32 v66, v65
	v_mov_b32_e32 v67, v65
	v_mov_b32_e32 v68, v65
	v_mov_b32_e32 v69, v65
	v_mov_b32_e32 v70, v65
	v_mov_b32_e32 v71, v65
	v_mov_b32_e32 v72, v65
	s_waitcnt lgkmcnt(6)
	s_delay_alu instid0(VALU_DEP_1)
	v_wmma_f32_16x16x16_bf16 v[65:72], v[57:64], v[83:90], v[65:72]
	ds_load_b128 v[61:64], v80 offset:8208
	ds_load_b128 v[57:60], v80 offset:8192
	s_waitcnt lgkmcnt(6)
	v_wmma_f32_16x16x16_bf16 v[65:72], v[41:48], v[91:98], v[65:72]
	ds_load_b128 v[45:48], v80 offset:10256
	ds_load_b128 v[41:44], v80 offset:10240
	s_waitcnt lgkmcnt(6)
	;; [unrolled: 4-line block ×4, first 2 shown]
	v_wmma_f32_16x16x16_bf16 v[65:72], v[1:8], v[57:64], v[65:72]
	s_waitcnt lgkmcnt(4)
	s_delay_alu instid0(VALU_DEP_1) | instskip(SKIP_1) | instid1(VALU_DEP_1)
	v_wmma_f32_16x16x16_bf16 v[65:72], v[9:16], v[41:48], v[65:72]
	s_waitcnt lgkmcnt(2)
	v_wmma_f32_16x16x16_bf16 v[65:72], v[17:24], v[33:40], v[65:72]
	s_waitcnt lgkmcnt(0)
	s_delay_alu instid0(VALU_DEP_1) | instskip(NEXT) | instid1(VALU_DEP_1)
	v_wmma_f32_16x16x16_bf16 v[65:72], v[49:56], v[25:32], v[65:72]
	v_and_b32_e32 v1, 0x7f800000, v65
	s_delay_alu instid0(VALU_DEP_1) | instskip(SKIP_1) | instid1(SALU_CYCLE_1)
	v_cmp_ne_u32_e32 vcc_lo, 0x7f800000, v1
                                        ; implicit-def: $vgpr1
	s_and_saveexec_b32 s3, vcc_lo
	s_xor_b32 s3, exec_lo, s3
; %bb.79:
	v_bfe_u32 v1, v65, 16, 1
	s_delay_alu instid0(VALU_DEP_1)
	v_add3_u32 v1, v65, v1, 0x7fff
; %bb.80:
	s_and_not1_saveexec_b32 s3, s3
; %bb.81:
	v_and_b32_e32 v1, 0xffff, v65
	v_or_b32_e32 v2, 0x10000, v65
	s_delay_alu instid0(VALU_DEP_2) | instskip(NEXT) | instid1(VALU_DEP_2)
	v_cmp_eq_u32_e32 vcc_lo, 0, v1
	v_cndmask_b32_e32 v1, v2, v65, vcc_lo
; %bb.82:
	s_or_b32 exec_lo, exec_lo, s3
	v_and_b32_e32 v2, 0x7f800000, v66
	s_delay_alu instid0(VALU_DEP_1) | instskip(SKIP_1) | instid1(SALU_CYCLE_1)
	v_cmp_ne_u32_e32 vcc_lo, 0x7f800000, v2
                                        ; implicit-def: $vgpr2
	s_and_saveexec_b32 s3, vcc_lo
	s_xor_b32 s3, exec_lo, s3
; %bb.83:
	v_bfe_u32 v2, v66, 16, 1
	s_delay_alu instid0(VALU_DEP_1)
	v_add3_u32 v2, v66, v2, 0x7fff
; %bb.84:
	s_and_not1_saveexec_b32 s3, s3
; %bb.85:
	v_and_b32_e32 v2, 0xffff, v66
	v_or_b32_e32 v3, 0x10000, v66
	s_delay_alu instid0(VALU_DEP_2) | instskip(NEXT) | instid1(VALU_DEP_2)
	v_cmp_eq_u32_e32 vcc_lo, 0, v2
	v_cndmask_b32_e32 v2, v3, v66, vcc_lo
; %bb.86:
	s_or_b32 exec_lo, exec_lo, s3
	v_and_b32_e32 v3, 0x7f800000, v67
	s_delay_alu instid0(VALU_DEP_1) | instskip(SKIP_1) | instid1(SALU_CYCLE_1)
	v_cmp_ne_u32_e32 vcc_lo, 0x7f800000, v3
                                        ; implicit-def: $vgpr3
	s_and_saveexec_b32 s3, vcc_lo
	s_xor_b32 s3, exec_lo, s3
; %bb.87:
	v_bfe_u32 v3, v67, 16, 1
	s_delay_alu instid0(VALU_DEP_1)
	v_add3_u32 v3, v67, v3, 0x7fff
; %bb.88:
	s_and_not1_saveexec_b32 s3, s3
; %bb.89:
	v_and_b32_e32 v3, 0xffff, v67
	v_or_b32_e32 v4, 0x10000, v67
	s_delay_alu instid0(VALU_DEP_2) | instskip(NEXT) | instid1(VALU_DEP_2)
	v_cmp_eq_u32_e32 vcc_lo, 0, v3
	v_cndmask_b32_e32 v3, v4, v67, vcc_lo
; %bb.90:
	s_or_b32 exec_lo, exec_lo, s3
	v_and_b32_e32 v4, 0x7f800000, v68
	s_delay_alu instid0(VALU_DEP_1) | instskip(SKIP_1) | instid1(SALU_CYCLE_1)
	v_cmp_ne_u32_e32 vcc_lo, 0x7f800000, v4
                                        ; implicit-def: $vgpr4
	s_and_saveexec_b32 s3, vcc_lo
	s_xor_b32 s3, exec_lo, s3
; %bb.91:
	v_bfe_u32 v4, v68, 16, 1
	s_delay_alu instid0(VALU_DEP_1)
	v_add3_u32 v4, v68, v4, 0x7fff
; %bb.92:
	s_and_not1_saveexec_b32 s3, s3
; %bb.93:
	v_and_b32_e32 v4, 0xffff, v68
	v_or_b32_e32 v5, 0x10000, v68
	s_delay_alu instid0(VALU_DEP_2) | instskip(NEXT) | instid1(VALU_DEP_2)
	v_cmp_eq_u32_e32 vcc_lo, 0, v4
	v_cndmask_b32_e32 v4, v5, v68, vcc_lo
; %bb.94:
	s_or_b32 exec_lo, exec_lo, s3
	v_and_b32_e32 v5, 0x7f800000, v69
	s_delay_alu instid0(VALU_DEP_1) | instskip(SKIP_1) | instid1(SALU_CYCLE_1)
	v_cmp_ne_u32_e32 vcc_lo, 0x7f800000, v5
                                        ; implicit-def: $vgpr5
	s_and_saveexec_b32 s3, vcc_lo
	s_xor_b32 s3, exec_lo, s3
; %bb.95:
	v_bfe_u32 v5, v69, 16, 1
	s_delay_alu instid0(VALU_DEP_1)
	v_add3_u32 v5, v69, v5, 0x7fff
; %bb.96:
	s_and_not1_saveexec_b32 s3, s3
; %bb.97:
	v_and_b32_e32 v5, 0xffff, v69
	v_or_b32_e32 v6, 0x10000, v69
	s_delay_alu instid0(VALU_DEP_2) | instskip(NEXT) | instid1(VALU_DEP_2)
	v_cmp_eq_u32_e32 vcc_lo, 0, v5
	v_cndmask_b32_e32 v5, v6, v69, vcc_lo
; %bb.98:
	s_or_b32 exec_lo, exec_lo, s3
	v_and_b32_e32 v6, 0x7f800000, v70
	s_delay_alu instid0(VALU_DEP_1) | instskip(SKIP_1) | instid1(SALU_CYCLE_1)
	v_cmp_ne_u32_e32 vcc_lo, 0x7f800000, v6
                                        ; implicit-def: $vgpr6
	s_and_saveexec_b32 s3, vcc_lo
	s_xor_b32 s3, exec_lo, s3
; %bb.99:
	v_bfe_u32 v6, v70, 16, 1
	s_delay_alu instid0(VALU_DEP_1)
	v_add3_u32 v6, v70, v6, 0x7fff
; %bb.100:
	s_and_not1_saveexec_b32 s3, s3
; %bb.101:
	v_and_b32_e32 v6, 0xffff, v70
	v_or_b32_e32 v7, 0x10000, v70
	s_delay_alu instid0(VALU_DEP_2) | instskip(NEXT) | instid1(VALU_DEP_2)
	v_cmp_eq_u32_e32 vcc_lo, 0, v6
	v_cndmask_b32_e32 v6, v7, v70, vcc_lo
; %bb.102:
	s_or_b32 exec_lo, exec_lo, s3
	v_and_b32_e32 v7, 0x7f800000, v71
	s_delay_alu instid0(VALU_DEP_1) | instskip(SKIP_1) | instid1(SALU_CYCLE_1)
	v_cmp_ne_u32_e32 vcc_lo, 0x7f800000, v7
                                        ; implicit-def: $vgpr7
	s_and_saveexec_b32 s3, vcc_lo
	s_xor_b32 s3, exec_lo, s3
; %bb.103:
	v_bfe_u32 v7, v71, 16, 1
	s_delay_alu instid0(VALU_DEP_1)
	v_add3_u32 v7, v71, v7, 0x7fff
; %bb.104:
	s_and_not1_saveexec_b32 s3, s3
; %bb.105:
	v_and_b32_e32 v7, 0xffff, v71
	v_or_b32_e32 v8, 0x10000, v71
	s_delay_alu instid0(VALU_DEP_2) | instskip(NEXT) | instid1(VALU_DEP_2)
	v_cmp_eq_u32_e32 vcc_lo, 0, v7
	v_cndmask_b32_e32 v7, v8, v71, vcc_lo
; %bb.106:
	s_or_b32 exec_lo, exec_lo, s3
	v_and_b32_e32 v8, 0x7f800000, v72
	s_delay_alu instid0(VALU_DEP_1) | instskip(SKIP_1) | instid1(SALU_CYCLE_1)
	v_cmp_ne_u32_e32 vcc_lo, 0x7f800000, v8
                                        ; implicit-def: $vgpr8
	s_and_saveexec_b32 s3, vcc_lo
	s_xor_b32 s3, exec_lo, s3
; %bb.107:
	v_bfe_u32 v8, v72, 16, 1
	s_delay_alu instid0(VALU_DEP_1)
	v_add3_u32 v8, v72, v8, 0x7fff
                                        ; implicit-def: $vgpr65_vgpr66_vgpr67_vgpr68_vgpr69_vgpr70_vgpr71_vgpr72
; %bb.108:
	s_and_not1_saveexec_b32 s3, s3
; %bb.109:
	v_and_b32_e32 v8, 0xffff, v72
	v_or_b32_e32 v9, 0x10000, v72
	s_delay_alu instid0(VALU_DEP_2) | instskip(NEXT) | instid1(VALU_DEP_2)
	v_cmp_eq_u32_e32 vcc_lo, 0, v8
	v_cndmask_b32_e32 v8, v9, v72, vcc_lo
; %bb.110:
	s_or_b32 exec_lo, exec_lo, s3
	s_delay_alu instid0(VALU_DEP_1)
	v_perm_b32 v7, v8, v7, 0x7060302
	v_perm_b32 v6, v6, v5, 0x7060302
	;; [unrolled: 1-line block ×4, first 2 shown]
	s_barrier
	buffer_gl0_inv
	v_cmp_eq_u32_e32 vcc_lo, 1, v78
	ds_store_b128 v76, v[4:7]
	s_waitcnt lgkmcnt(0)
	s_barrier
	buffer_gl0_inv
	ds_load_b128 v[1:4], v82
	ds_load_b128 v[5:8], v82 offset:16
	v_cmp_eq_u32_e64 s3, 1, v79
	v_cmp_eq_u32_e64 s4, 2, v78
	;; [unrolled: 1-line block ×5, first 2 shown]
	s_waitcnt lgkmcnt(1)
	v_lshrrev_b32_e32 v9, 16, v1
	s_waitcnt lgkmcnt(0)
	v_lshrrev_b32_e32 v13, 16, v5
	v_lshrrev_b32_e32 v10, 16, v2
	;; [unrolled: 1-line block ×4, first 2 shown]
	v_cndmask_b32_e64 v19, v1, v9, s3
	v_cndmask_b32_e32 v18, v5, v13, vcc_lo
	v_cndmask_b32_e64 v20, v5, v13, s3
	v_cndmask_b32_e32 v17, v1, v9, vcc_lo
	v_cmp_eq_u32_e32 vcc_lo, 2, v79
	v_lshrrev_b32_e32 v15, 16, v7
	v_cmp_eq_u32_e64 s3, 1, v77
	v_lshrrev_b32_e32 v12, 16, v4
	v_lshrrev_b32_e32 v16, 16, v8
	v_cndmask_b32_e32 v20, v20, v6, vcc_lo
	v_cndmask_b32_e64 v17, v17, v2, s4
	v_cndmask_b32_e32 v19, v19, v2, vcc_lo
	v_cndmask_b32_e64 v18, v18, v6, s4
	v_cmp_eq_u32_e32 vcc_lo, 4, v78
	v_cmp_eq_u32_e64 s4, 3, v79
	v_cndmask_b32_e64 v17, v17, v10, s5
	v_cndmask_b32_e64 v21, v1, v9, s3
	;; [unrolled: 1-line block ×5, first 2 shown]
	v_cndmask_b32_e32 v17, v17, v3, vcc_lo
	v_cndmask_b32_e64 v20, v20, v14, s4
	v_cndmask_b32_e32 v18, v18, v7, vcc_lo
	v_cmp_eq_u32_e32 vcc_lo, 4, v79
	v_cmp_eq_u32_e64 s4, 5, v79
	v_cmp_eq_u32_e64 s3, 2, v81
	v_cndmask_b32_e64 v21, v21, v2, s7
	v_cmp_eq_u32_e64 s5, 5, v78
	v_cndmask_b32_e32 v19, v19, v3, vcc_lo
	v_cndmask_b32_e32 v20, v20, v7, vcc_lo
	v_cmp_eq_u32_e32 vcc_lo, 6, v79
	s_delay_alu instid0(VALU_DEP_4) | instskip(NEXT) | instid1(VALU_DEP_4)
	v_cndmask_b32_e64 v17, v17, v11, s5
	v_cndmask_b32_e64 v19, v19, v11, s4
	s_delay_alu instid0(VALU_DEP_4) | instskip(SKIP_1) | instid1(VALU_DEP_3)
	v_cndmask_b32_e64 v20, v20, v15, s4
	v_cmp_eq_u32_e64 s4, 1, v81
	v_cndmask_b32_e32 v19, v19, v4, vcc_lo
	v_cndmask_b32_e64 v18, v18, v15, s5
	s_delay_alu instid0(VALU_DEP_3)
	v_cndmask_b32_e64 v1, v1, v9, s4
	v_cndmask_b32_e64 v5, v5, v13, s4
	v_cmp_eq_u32_e64 s4, 3, v77
	v_cndmask_b32_e64 v13, v22, v6, s7
	v_cmp_eq_u32_e64 s7, 3, v81
	v_cndmask_b32_e64 v1, v1, v2, s3
	v_cndmask_b32_e64 v2, v5, v6, s3
	;; [unrolled: 1-line block ×3, first 2 shown]
	v_cmp_eq_u32_e64 s3, 4, v77
	v_cndmask_b32_e64 v6, v13, v14, s4
	v_cndmask_b32_e64 v1, v1, v10, s7
	v_cmp_eq_u32_e64 s4, 4, v81
	v_cndmask_b32_e64 v2, v2, v14, s7
	v_cndmask_b32_e64 v5, v9, v3, s3
	;; [unrolled: 3-line block ×3, first 2 shown]
	v_cndmask_b32_e64 v2, v2, v7, s4
	v_cmp_eq_u32_e64 s3, 5, v81
	v_cmp_eq_u32_e64 s5, 6, v78
	v_cndmask_b32_e64 v5, v5, v11, s7
	v_cmp_eq_u32_e64 s4, 6, v77
	v_cndmask_b32_e64 v3, v6, v15, s7
	v_cndmask_b32_e64 v1, v1, v11, s3
	v_cmp_eq_u32_e64 s7, 6, v81
	v_cndmask_b32_e64 v2, v2, v15, s3
	v_cndmask_b32_e64 v17, v17, v4, s5
	v_cndmask_b32_e64 v18, v18, v8, s5
	v_cmp_eq_u32_e64 s5, 7, v78
	v_cndmask_b32_e64 v5, v5, v4, s4
	;; [unrolled: 4-line block ×3, first 2 shown]
	v_cmp_eq_u32_e64 s4, 7, v77
	v_cndmask_b32_e32 v4, v20, v8, vcc_lo
	v_cndmask_b32_e64 v17, v17, v12, s5
	v_cndmask_b32_e64 v19, v19, v12, s6
	;; [unrolled: 1-line block ×8, first 2 shown]
	v_cmp_gt_u32_e32 vcc_lo, 32, v0
	v_perm_b32 v4, v2, v1, 0x5040100
	v_perm_b32 v3, v3, v5, 0x5040100
	;; [unrolled: 1-line block ×4, first 2 shown]
	s_and_b32 s2, vcc_lo, s2
	ds_store_b128 v76, v[1:4]
	s_waitcnt lgkmcnt(0)
	s_barrier
	buffer_gl0_inv
	s_and_saveexec_b32 s3, s2
	s_cbranch_execz .LBB1433_2
; %bb.111:
	s_load_b64 s[0:1], s[0:1], 0x68
	s_lshl_b32 s4, s34, 6
	v_or_b32_e32 v2, s31, v75
	s_mul_i32 s2, s4, s30
	v_lshlrev_b32_e32 v1, 10, v0
	s_mul_i32 s2, s2, s8
	v_lshlrev_b32_e32 v3, 4, v74
	v_mul_lo_u32 v0, v2, s4
	s_ashr_i32 s3, s2, 31
	v_lshlrev_b32_e32 v4, 6, v75
	v_and_b32_e32 v1, 0x3800, v1
	v_or_b32_e32 v5, 2, v2
	s_lshl_b64 s[2:3], s[2:3], 1
	v_or_b32_e32 v6, 4, v2
	v_or_b32_e32 v7, 6, v2
	v_or3_b32 v12, v1, v3, v4
	v_ashrrev_i32_e32 v1, 31, v0
	v_mul_lo_u32 v2, v5, s4
	v_mul_lo_u32 v16, v6, s4
	;; [unrolled: 1-line block ×3, first 2 shown]
	s_waitcnt lgkmcnt(0)
	s_add_u32 s2, s0, s2
	s_addc_u32 s3, s1, s3
	s_lshl_b32 s0, s14, 6
	v_lshlrev_b64 v[0:1], 1, v[0:1]
	s_ashr_i32 s1, s0, 31
	v_ashrrev_i32_e32 v3, 31, v2
	s_lshl_b64 s[0:1], s[0:1], 1
	v_ashrrev_i32_e32 v17, 31, v16
	s_add_u32 s0, s2, s0
	s_addc_u32 s1, s3, s1
	v_add_co_u32 v24, s0, s0, v73
	s_delay_alu instid0(VALU_DEP_1) | instskip(SKIP_1) | instid1(VALU_DEP_3)
	v_add_co_ci_u32_e64 v25, null, s1, 0, s0
	v_lshlrev_b64 v[22:23], 1, v[2:3]
	v_add_co_u32 v18, vcc_lo, v24, v0
	s_delay_alu instid0(VALU_DEP_3)
	v_add_co_ci_u32_e32 v19, vcc_lo, v25, v1, vcc_lo
	ds_load_b128 v[0:3], v12
	ds_load_b128 v[4:7], v12 offset:128
	ds_load_b128 v[8:11], v12 offset:256
	;; [unrolled: 1-line block ×3, first 2 shown]
	v_ashrrev_i32_e32 v21, 31, v20
	v_lshlrev_b64 v[16:17], 1, v[16:17]
	v_add_co_u32 v22, vcc_lo, v24, v22
	v_add_co_ci_u32_e32 v23, vcc_lo, v25, v23, vcc_lo
	s_delay_alu instid0(VALU_DEP_4) | instskip(NEXT) | instid1(VALU_DEP_4)
	v_lshlrev_b64 v[20:21], 1, v[20:21]
	v_add_co_u32 v16, vcc_lo, v24, v16
	v_add_co_ci_u32_e32 v17, vcc_lo, v25, v17, vcc_lo
	s_delay_alu instid0(VALU_DEP_3) | instskip(NEXT) | instid1(VALU_DEP_4)
	v_add_co_u32 v20, vcc_lo, v24, v20
	v_add_co_ci_u32_e32 v21, vcc_lo, v25, v21, vcc_lo
	s_waitcnt lgkmcnt(3)
	global_store_b128 v[18:19], v[0:3], off
	s_waitcnt lgkmcnt(2)
	global_store_b128 v[22:23], v[4:7], off
	;; [unrolled: 2-line block ×4, first 2 shown]
	s_nop 0
	s_sendmsg sendmsg(MSG_DEALLOC_VGPRS)
	s_endpgm
	.section	.rodata,"a",@progbits
	.p2align	6, 0x0
	.amdhsa_kernel _Z39paged_attention_ll4mi_QKV_mfma16_kernelI14__hip_bfloat16hLN4vllm18Fp8KVCacheDataTypeE1EhLi32ELi64ELi256ELb1ELi8EL8MFMAType1EEvPKT_PKT0_S9_ifPKiSB_SB_iPKfiiiPfSE_PS4_PT2_iSD_SD_
		.amdhsa_group_segment_fixed_size 17472
		.amdhsa_private_segment_fixed_size 0
		.amdhsa_kernarg_size 400
		.amdhsa_user_sgpr_count 13
		.amdhsa_user_sgpr_dispatch_ptr 0
		.amdhsa_user_sgpr_queue_ptr 0
		.amdhsa_user_sgpr_kernarg_segment_ptr 1
		.amdhsa_user_sgpr_dispatch_id 0
		.amdhsa_user_sgpr_private_segment_size 0
		.amdhsa_wavefront_size32 1
		.amdhsa_uses_dynamic_stack 0
		.amdhsa_enable_private_segment 0
		.amdhsa_system_sgpr_workgroup_id_x 1
		.amdhsa_system_sgpr_workgroup_id_y 1
		.amdhsa_system_sgpr_workgroup_id_z 1
		.amdhsa_system_sgpr_workgroup_info 0
		.amdhsa_system_vgpr_workitem_id 0
		.amdhsa_next_free_vgpr 124
		.amdhsa_next_free_sgpr 40
		.amdhsa_reserve_vcc 1
		.amdhsa_float_round_mode_32 0
		.amdhsa_float_round_mode_16_64 0
		.amdhsa_float_denorm_mode_32 3
		.amdhsa_float_denorm_mode_16_64 3
		.amdhsa_dx10_clamp 1
		.amdhsa_ieee_mode 1
		.amdhsa_fp16_overflow 0
		.amdhsa_workgroup_processor_mode 1
		.amdhsa_memory_ordered 1
		.amdhsa_forward_progress 0
		.amdhsa_shared_vgpr_count 0
		.amdhsa_exception_fp_ieee_invalid_op 0
		.amdhsa_exception_fp_denorm_src 0
		.amdhsa_exception_fp_ieee_div_zero 0
		.amdhsa_exception_fp_ieee_overflow 0
		.amdhsa_exception_fp_ieee_underflow 0
		.amdhsa_exception_fp_ieee_inexact 0
		.amdhsa_exception_int_div_zero 0
	.end_amdhsa_kernel
	.section	.text._Z39paged_attention_ll4mi_QKV_mfma16_kernelI14__hip_bfloat16hLN4vllm18Fp8KVCacheDataTypeE1EhLi32ELi64ELi256ELb1ELi8EL8MFMAType1EEvPKT_PKT0_S9_ifPKiSB_SB_iPKfiiiPfSE_PS4_PT2_iSD_SD_,"axG",@progbits,_Z39paged_attention_ll4mi_QKV_mfma16_kernelI14__hip_bfloat16hLN4vllm18Fp8KVCacheDataTypeE1EhLi32ELi64ELi256ELb1ELi8EL8MFMAType1EEvPKT_PKT0_S9_ifPKiSB_SB_iPKfiiiPfSE_PS4_PT2_iSD_SD_,comdat
.Lfunc_end1433:
	.size	_Z39paged_attention_ll4mi_QKV_mfma16_kernelI14__hip_bfloat16hLN4vllm18Fp8KVCacheDataTypeE1EhLi32ELi64ELi256ELb1ELi8EL8MFMAType1EEvPKT_PKT0_S9_ifPKiSB_SB_iPKfiiiPfSE_PS4_PT2_iSD_SD_, .Lfunc_end1433-_Z39paged_attention_ll4mi_QKV_mfma16_kernelI14__hip_bfloat16hLN4vllm18Fp8KVCacheDataTypeE1EhLi32ELi64ELi256ELb1ELi8EL8MFMAType1EEvPKT_PKT0_S9_ifPKiSB_SB_iPKfiiiPfSE_PS4_PT2_iSD_SD_
                                        ; -- End function
	.section	.AMDGPU.csdata,"",@progbits
; Kernel info:
; codeLenInByte = 8732
; NumSgprs: 42
; NumVgprs: 124
; ScratchSize: 0
; MemoryBound: 0
; FloatMode: 240
; IeeeMode: 1
; LDSByteSize: 17472 bytes/workgroup (compile time only)
; SGPRBlocks: 5
; VGPRBlocks: 15
; NumSGPRsForWavesPerEU: 42
; NumVGPRsForWavesPerEU: 124
; Occupancy: 10
; WaveLimiterHint : 1
; COMPUTE_PGM_RSRC2:SCRATCH_EN: 0
; COMPUTE_PGM_RSRC2:USER_SGPR: 13
; COMPUTE_PGM_RSRC2:TRAP_HANDLER: 0
; COMPUTE_PGM_RSRC2:TGID_X_EN: 1
; COMPUTE_PGM_RSRC2:TGID_Y_EN: 1
; COMPUTE_PGM_RSRC2:TGID_Z_EN: 1
; COMPUTE_PGM_RSRC2:TIDIG_COMP_CNT: 0
	.section	.text._Z39paged_attention_ll4mi_QKV_mfma16_kernelI14__hip_bfloat16hLN4vllm18Fp8KVCacheDataTypeE1EhLi32ELi64ELi256ELb1ELi9EL8MFMAType1EEvPKT_PKT0_S9_ifPKiSB_SB_iPKfiiiPfSE_PS4_PT2_iSD_SD_,"axG",@progbits,_Z39paged_attention_ll4mi_QKV_mfma16_kernelI14__hip_bfloat16hLN4vllm18Fp8KVCacheDataTypeE1EhLi32ELi64ELi256ELb1ELi9EL8MFMAType1EEvPKT_PKT0_S9_ifPKiSB_SB_iPKfiiiPfSE_PS4_PT2_iSD_SD_,comdat
	.protected	_Z39paged_attention_ll4mi_QKV_mfma16_kernelI14__hip_bfloat16hLN4vllm18Fp8KVCacheDataTypeE1EhLi32ELi64ELi256ELb1ELi9EL8MFMAType1EEvPKT_PKT0_S9_ifPKiSB_SB_iPKfiiiPfSE_PS4_PT2_iSD_SD_ ; -- Begin function _Z39paged_attention_ll4mi_QKV_mfma16_kernelI14__hip_bfloat16hLN4vllm18Fp8KVCacheDataTypeE1EhLi32ELi64ELi256ELb1ELi9EL8MFMAType1EEvPKT_PKT0_S9_ifPKiSB_SB_iPKfiiiPfSE_PS4_PT2_iSD_SD_
	.globl	_Z39paged_attention_ll4mi_QKV_mfma16_kernelI14__hip_bfloat16hLN4vllm18Fp8KVCacheDataTypeE1EhLi32ELi64ELi256ELb1ELi9EL8MFMAType1EEvPKT_PKT0_S9_ifPKiSB_SB_iPKfiiiPfSE_PS4_PT2_iSD_SD_
	.p2align	8
	.type	_Z39paged_attention_ll4mi_QKV_mfma16_kernelI14__hip_bfloat16hLN4vllm18Fp8KVCacheDataTypeE1EhLi32ELi64ELi256ELb1ELi9EL8MFMAType1EEvPKT_PKT0_S9_ifPKiSB_SB_iPKfiiiPfSE_PS4_PT2_iSD_SD_,@function
_Z39paged_attention_ll4mi_QKV_mfma16_kernelI14__hip_bfloat16hLN4vllm18Fp8KVCacheDataTypeE1EhLi32ELi64ELi256ELb1ELi9EL8MFMAType1EEvPKT_PKT0_S9_ifPKiSB_SB_iPKfiiiPfSE_PS4_PT2_iSD_SD_: ; @_Z39paged_attention_ll4mi_QKV_mfma16_kernelI14__hip_bfloat16hLN4vllm18Fp8KVCacheDataTypeE1EhLi32ELi64ELi256ELb1ELi9EL8MFMAType1EEvPKT_PKT0_S9_ifPKiSB_SB_iPKfiiiPfSE_PS4_PT2_iSD_SD_
; %bb.0:
	s_load_b64 s[2:3], s[0:1], 0x30
	s_mov_b32 s34, s13
	s_waitcnt lgkmcnt(0)
	s_cmp_lg_u64 s[2:3], 0
	s_cselect_b32 s8, -1, 0
	s_ashr_i32 s35, s13, 31
	s_cmp_eq_u64 s[2:3], 0
	s_cbranch_scc1 .LBB1434_3
; %bb.1:
	s_lshl_b64 s[4:5], s[34:35], 2
	s_delay_alu instid0(SALU_CYCLE_1) | instskip(SKIP_4) | instid1(SALU_CYCLE_1)
	s_add_u32 s4, s2, s4
	s_addc_u32 s5, s3, s5
	s_load_b64 s[4:5], s[4:5], 0x0
	s_waitcnt lgkmcnt(0)
	s_sub_i32 s4, s5, s4
	s_cmp_eq_u32 s4, 1
	s_cselect_b32 s4, -1, 0
	s_delay_alu instid0(SALU_CYCLE_1)
	s_and_not1_b32 vcc_lo, exec_lo, s4
	s_cbranch_vccz .LBB1434_4
.LBB1434_2:
	s_nop 0
	s_sendmsg sendmsg(MSG_DEALLOC_VGPRS)
	s_endpgm
.LBB1434_3:
.LBB1434_4:
	s_load_b64 s[4:5], s[0:1], 0x28
	s_lshl_b64 s[6:7], s[34:35], 2
	s_waitcnt lgkmcnt(0)
	s_add_u32 s4, s4, s6
	s_addc_u32 s5, s5, s7
	s_lshl_b32 s12, s14, 8
	s_load_b32 s24, s[4:5], 0x0
	s_waitcnt lgkmcnt(0)
	s_cmp_ge_i32 s12, s24
	s_cbranch_scc1 .LBB1434_2
; %bb.5:
	s_clause 0x1
	s_load_b128 s[20:23], s[0:1], 0x8
	s_load_b64 s[4:5], s[0:1], 0x20
	s_and_not1_b32 vcc_lo, exec_lo, s8
	s_cbranch_vccnz .LBB1434_7
; %bb.6:
	s_add_u32 s2, s2, s6
	s_addc_u32 s3, s3, s7
	s_load_b32 s3, s[2:3], 0x0
	s_branch .LBB1434_8
.LBB1434_7:
	s_mov_b32 s3, s34
.LBB1434_8:
	s_load_b128 s[16:19], s[0:1], 0x48
	v_lshrrev_b32_e32 v66, 5, v0
	v_bfe_u32 v74, v0, 4, 1
	v_and_b32_e32 v65, 15, v0
	v_and_b32_e32 v67, 31, v0
	;; [unrolled: 1-line block ×3, first 2 shown]
	s_mul_i32 s31, s15, 9
	v_lshl_or_b32 v1, v66, 1, v74
	v_lshlrev_b32_e32 v2, 3, v65
	v_cmp_gt_u32_e64 s2, 8, v65
	s_delay_alu instid0(VALU_DEP_3) | instskip(NEXT) | instid1(VALU_DEP_3)
	v_cmp_gt_u32_e32 vcc_lo, 9, v1
	v_lshlrev_b32_e32 v73, 1, v2
	s_delay_alu instid0(VALU_DEP_3) | instskip(NEXT) | instid1(SALU_CYCLE_1)
	s_and_b32 s7, s2, vcc_lo
	s_and_saveexec_b32 s6, s7
	s_cbranch_execz .LBB1434_10
; %bb.9:
	s_load_b64 s[8:9], s[0:1], 0x0
	v_add_lshl_u32 v2, v1, s31, 6
	s_waitcnt lgkmcnt(0)
	s_mul_hi_i32 s11, s3, s16
	s_mul_i32 s10, s3, s16
	v_lshlrev_b32_e32 v6, 10, v65
	s_lshl_b64 s[10:11], s[10:11], 1
	v_ashrrev_i32_e32 v3, 31, v2
	v_lshlrev_b32_e32 v1, 6, v1
	v_lshlrev_b32_e32 v7, 10, v75
	v_and_b32_e32 v6, 0x3800, v6
	s_delay_alu instid0(VALU_DEP_4) | instskip(NEXT) | instid1(VALU_DEP_2)
	v_lshlrev_b64 v[2:3], 1, v[2:3]
	v_or3_b32 v1, v6, v7, v1
	s_add_u32 s3, s8, s10
	s_addc_u32 s7, s9, s11
	s_delay_alu instid0(VALU_DEP_2) | instskip(NEXT) | instid1(VALU_DEP_3)
	v_add_co_u32 v2, vcc_lo, s3, v2
	v_add_co_ci_u32_e32 v3, vcc_lo, s7, v3, vcc_lo
	s_delay_alu instid0(VALU_DEP_2) | instskip(NEXT) | instid1(VALU_DEP_2)
	v_add_co_u32 v2, vcc_lo, v2, v73
	v_add_co_ci_u32_e32 v3, vcc_lo, 0, v3, vcc_lo
	global_load_b128 v[2:5], v[2:3], off
	s_waitcnt vmcnt(0)
	ds_store_b128 v1, v[2:5]
.LBB1434_10:
	s_or_b32 exec_lo, exec_lo, s6
	v_and_b32_e32 v1, 0xef, v0
	s_waitcnt lgkmcnt(0)
	s_add_i32 s3, s24, 31
	s_clause 0x1
	s_load_b32 s6, s[0:1], 0x38
	s_load_b32 s19, s[0:1], 0x1c
	s_ashr_i32 s7, s3, 31
	v_add_nc_u32_e32 v1, s12, v1
	s_lshr_b32 s7, s7, 27
	s_waitcnt lgkmcnt(0)
	s_add_i32 s3, s3, s7
	s_barrier
	v_ashrrev_i32_e32 v2, 31, v1
	v_or_b32_e32 v3, 16, v1
	s_ashr_i32 s3, s3, 5
	v_cmp_gt_i32_e32 vcc_lo, s24, v1
	s_add_i32 s3, s3, -1
	v_lshrrev_b32_e32 v2, 27, v2
	buffer_gl0_inv
	s_mul_i32 s27, s15, s18
	v_add_nc_u32_e32 v4, v1, v2
	s_mul_i32 s6, s34, s6
	s_delay_alu instid0(SALU_CYCLE_1) | instskip(NEXT) | instid1(VALU_DEP_1)
	s_ashr_i32 s7, s6, 31
	v_ashrrev_i32_e32 v4, 5, v4
	v_add_nc_u32_e32 v2, v3, v2
	s_lshl_b64 s[6:7], s[6:7], 2
	s_delay_alu instid0(SALU_CYCLE_1) | instskip(NEXT) | instid1(VALU_DEP_2)
	s_add_u32 s26, s4, s6
	v_cndmask_b32_e32 v1, s3, v4, vcc_lo
	s_delay_alu instid0(VALU_DEP_2)
	v_ashrrev_i32_e32 v2, 5, v2
	v_cmp_gt_i32_e32 vcc_lo, s24, v3
	s_addc_u32 s25, s5, s7
	s_ashr_i32 s28, s27, 31
	s_add_u32 s4, s20, s27
	s_addc_u32 s5, s21, s28
	v_cndmask_b32_e32 v3, s3, v2, vcc_lo
	v_ashrrev_i32_e32 v2, 31, v1
	s_lshl_b32 s6, s14, 3
	s_delay_alu instid0(SALU_CYCLE_1) | instskip(NEXT) | instid1(VALU_DEP_2)
	s_ashr_i32 s7, s6, 31
	v_ashrrev_i32_e32 v4, 31, v3
	s_delay_alu instid0(VALU_DEP_2) | instskip(SKIP_1) | instid1(SALU_CYCLE_1)
	v_lshlrev_b64 v[1:2], 2, v[1:2]
	s_lshl_b64 s[6:7], s[6:7], 2
	s_add_u32 s6, s26, s6
	s_delay_alu instid0(VALU_DEP_2) | instskip(SKIP_1) | instid1(VALU_DEP_2)
	v_lshlrev_b64 v[3:4], 2, v[3:4]
	s_addc_u32 s7, s25, s7
	v_add_co_u32 v1, vcc_lo, s26, v1
	v_add_co_ci_u32_e32 v2, vcc_lo, s25, v2, vcc_lo
	s_delay_alu instid0(VALU_DEP_3) | instskip(NEXT) | instid1(VALU_DEP_4)
	v_add_co_u32 v3, vcc_lo, s26, v3
	v_add_co_ci_u32_e32 v4, vcc_lo, s25, v4, vcc_lo
	s_clause 0x1
	global_load_b32 v5, v[1:2], off
	global_load_b32 v6, v[3:4], off
	s_or_b32 s8, s12, 32
	s_delay_alu instid0(SALU_CYCLE_1) | instskip(SKIP_2) | instid1(SALU_CYCLE_1)
	s_ashr_i32 s9, s8, 5
	s_cmp_lt_i32 s8, s24
	s_cselect_b32 s8, s9, s3
	s_ashr_i32 s9, s8, 31
	s_delay_alu instid0(SALU_CYCLE_1) | instskip(NEXT) | instid1(SALU_CYCLE_1)
	s_lshl_b64 s[8:9], s[8:9], 2
	s_add_u32 s8, s26, s8
	s_addc_u32 s9, s25, s9
	s_or_b32 s10, s12, 64
	s_delay_alu instid0(SALU_CYCLE_1) | instskip(SKIP_2) | instid1(SALU_CYCLE_1)
	s_ashr_i32 s11, s10, 5
	s_cmp_lt_i32 s10, s24
	s_cselect_b32 s10, s11, s3
	s_ashr_i32 s11, s10, 31
	s_delay_alu instid0(SALU_CYCLE_1) | instskip(NEXT) | instid1(SALU_CYCLE_1)
	s_lshl_b64 s[10:11], s[10:11], 2
	s_add_u32 s10, s26, s10
	s_addc_u32 s11, s25, s11
	;; [unrolled: 10-line block ×5, first 2 shown]
	s_clause 0x5
	s_load_b32 s21, s[6:7], 0x0
	s_load_b32 s13, s[8:9], 0x0
	;; [unrolled: 1-line block ×6, first 2 shown]
	s_or_b32 s8, s12, 0xc0
	s_delay_alu instid0(SALU_CYCLE_1) | instskip(SKIP_2) | instid1(SALU_CYCLE_1)
	s_ashr_i32 s9, s8, 5
	s_cmp_lt_i32 s8, s24
	s_cselect_b32 s36, s9, s3
	s_ashr_i32 s37, s36, 31
	s_delay_alu instid0(SALU_CYCLE_1) | instskip(NEXT) | instid1(SALU_CYCLE_1)
	s_lshl_b64 s[36:37], s[36:37], 2
	s_add_u32 s36, s26, s36
	s_addc_u32 s37, s25, s37
	s_or_b32 s29, s12, 0xe0
	s_delay_alu instid0(SALU_CYCLE_1)
	s_ashr_i32 s30, s29, 5
	s_cmp_lt_i32 s29, s24
	s_waitcnt vmcnt(1)
	v_mad_i64_i32 v[1:2], null, v5, s17, s[4:5]
	s_waitcnt vmcnt(0)
	v_mad_i64_i32 v[3:4], null, v6, s17, s[4:5]
	s_mov_b32 s4, 0
	s_delay_alu instid0(SALU_CYCLE_1)
	s_mov_b32 s5, s4
	s_mov_b32 s6, s4
	;; [unrolled: 1-line block ×7, first 2 shown]
	v_lshlrev_b32_e32 v5, 4, v65
	v_dual_mov_b32 v107, s11 :: v_dual_mov_b32 v102, s6
	v_mov_b32_e32 v100, s4
	v_mov_b32_e32 v106, s10
	s_delay_alu instid0(VALU_DEP_4)
	v_add_co_u32 v1, vcc_lo, v1, v5
	v_add_co_ci_u32_e32 v2, vcc_lo, 0, v2, vcc_lo
	v_add_co_u32 v3, vcc_lo, v3, v5
	v_add_co_ci_u32_e32 v4, vcc_lo, 0, v4, vcc_lo
	s_clause 0x7
	global_load_b128 v[49:52], v[1:2], off
	global_load_b128 v[53:56], v[1:2], off offset:512
	global_load_b128 v[76:79], v[3:4], off offset:256
	;; [unrolled: 1-line block ×7, first 2 shown]
	v_add_nc_u32_e32 v1, -9, v65
	v_cmp_gt_u32_e32 vcc_lo, 9, v65
	v_dual_mov_b32 v104, s8 :: v_dual_mov_b32 v103, s7
	v_dual_mov_b32 v101, s5 :: v_dual_lshlrev_b32 v2, 5, v65
	s_delay_alu instid0(VALU_DEP_4)
	v_cndmask_b32_e32 v1, v1, v65, vcc_lo
	v_mov_b32_e32 v105, s9
	s_cselect_b32 s4, s30, s3
	s_load_b32 s3, s[36:37], 0x0
	s_ashr_i32 s5, s4, 31
	v_lshlrev_b32_e32 v70, 6, v1
	s_lshl_b64 s[4:5], s[4:5], 2
	v_lshl_or_b32 v2, v66, 9, v2
	s_add_u32 s4, s26, s4
	s_addc_u32 s5, s25, s5
	ds_load_b128 v[108:111], v70
	ds_load_b128 v[112:115], v70 offset:1024
	s_load_b32 s4, s[4:5], 0x0
	s_add_u32 s6, s22, s27
	s_addc_u32 s7, s23, s28
	v_add_co_u32 v9, s6, s6, v2
	s_delay_alu instid0(VALU_DEP_1) | instskip(SKIP_1) | instid1(VALU_DEP_1)
	v_add_co_ci_u32_e64 v10, null, s7, 0, s6
	s_waitcnt lgkmcnt(0)
	v_mad_i64_i32 v[1:2], null, s21, s17, v[9:10]
	v_mad_i64_i32 v[3:4], null, s13, s17, v[9:10]
	;; [unrolled: 1-line block ×7, first 2 shown]
	s_clause 0x9
	global_load_b128 v[57:60], v[1:2], off
	global_load_b128 v[61:64], v[1:2], off offset:16
	global_load_b128 v[41:44], v[3:4], off
	global_load_b128 v[45:48], v[3:4], off offset:16
	;; [unrolled: 2-line block ×5, first 2 shown]
	v_mad_i64_i32 v[68:69], null, s4, s17, v[9:10]
	s_clause 0x3
	global_load_b128 v[9:12], v[13:14], off
	global_load_b128 v[13:16], v[13:14], off offset:16
	global_load_b128 v[17:20], v[21:22], off
	global_load_b128 v[21:24], v[21:22], off offset:16
	s_waitcnt vmcnt(20)
	v_wmma_f32_16x16x16_bf16 v[116:123], v[49:56], v[108:115], v[100:107]
	s_clause 0x1
	global_load_b128 v[49:52], v[68:69], off
	global_load_b128 v[53:56], v[68:69], off offset:16
	v_and_b32_e32 v68, 0xe0, v0
	v_mbcnt_lo_u32_b32 v69, -1, 0
	s_delay_alu instid0(VALU_DEP_2)
	v_add_nc_u32_e32 v68, s12, v68
	s_waitcnt vmcnt(20)
	v_wmma_f32_16x16x16_bf16 v[100:107], v[76:83], v[108:115], v[100:107]
	ds_load_b128 v[76:79], v70 offset:2048
	ds_load_b128 v[80:83], v70 offset:3072
	v_xor_b32_e32 v70, 16, v69
	s_waitcnt vmcnt(0) lgkmcnt(0)
	v_or_b32_e32 v68, v68, v74
	s_barrier
	buffer_gl0_inv
	v_cmp_gt_i32_e32 vcc_lo, 32, v70
	v_or_b32_e32 v71, 4, v68
	v_or_b32_e32 v72, 6, v68
	v_cmp_gt_i32_e64 s3, s24, v68
	v_or_b32_e32 v108, 8, v68
	v_or_b32_e32 v109, 10, v68
	v_cmp_gt_i32_e64 s4, s24, v71
	v_cmp_gt_i32_e64 s5, s24, v72
	s_delay_alu instid0(VALU_DEP_4) | instskip(NEXT) | instid1(VALU_DEP_4)
	v_cmp_gt_i32_e64 s6, s24, v108
	v_cmp_gt_i32_e64 s7, s24, v109
	v_wmma_f32_16x16x16_bf16 v[116:123], v[84:91], v[76:83], v[116:123]
	v_cndmask_b32_e32 v69, v69, v70, vcc_lo
	v_or_b32_e32 v70, 2, v68
	v_wmma_f32_16x16x16_bf16 v[100:107], v[92:99], v[76:83], v[100:107]
	v_or_b32_e32 v89, 22, v68
	v_dual_mul_f32 v80, s19, v121 :: v_dual_mul_f32 v81, s19, v120
	v_dual_mul_f32 v92, s19, v117 :: v_dual_mul_f32 v93, s19, v116
	s_delay_alu instid0(VALU_DEP_4)
	v_mul_f32_e32 v96, s19, v105
	v_cmp_gt_i32_e32 vcc_lo, s24, v70
	v_dual_mul_f32 v79, s19, v122 :: v_dual_mul_f32 v82, s19, v119
	v_dual_mul_f32 v83, s19, v118 :: v_dual_mul_f32 v94, s19, v107
	v_cndmask_b32_e64 v93, 0xff7fffff, v93, s3
	v_cndmask_b32_e32 v92, 0xff7fffff, v92, vcc_lo
	v_or_b32_e32 v84, 12, v68
	v_or_b32_e32 v85, 14, v68
	v_cndmask_b32_e64 v71, 0xff7fffff, v83, s4
	v_cndmask_b32_e64 v72, 0xff7fffff, v82, s5
	v_cmp_gt_i32_e64 s13, s24, v89
	v_lshlrev_b32_e32 v89, 2, v69
	v_max3_f32 v82, v93, 0xff7fffff, v92
	v_or_b32_e32 v86, 16, v68
	v_or_b32_e32 v87, 18, v68
	v_mul_f32_e32 v78, s19, v123
	v_cndmask_b32_e64 v81, 0xff7fffff, v81, s6
	v_cndmask_b32_e64 v80, 0xff7fffff, v80, s7
	v_max3_f32 v71, v82, v71, v72
	v_cmp_gt_i32_e64 s8, s24, v84
	v_cmp_gt_i32_e64 s9, s24, v85
	v_or_b32_e32 v88, 20, v68
	v_or_b32_e32 v90, 24, v68
	;; [unrolled: 1-line block ×5, first 2 shown]
	v_dual_mul_f32 v97, s19, v104 :: v_dual_mul_f32 v70, s19, v101
	v_dual_mul_f32 v99, s19, v102 :: v_dual_mul_f32 v68, s19, v100
	v_cndmask_b32_e64 v72, 0xff7fffff, v79, s8
	v_cndmask_b32_e64 v78, 0xff7fffff, v78, s9
	v_max3_f32 v71, v71, v81, v80
	v_cmp_gt_i32_e64 s10, s24, v86
	v_cmp_gt_i32_e64 s11, s24, v87
	v_dual_mul_f32 v95, s19, v106 :: v_dual_mul_f32 v98, s19, v103
	s_delay_alu instid0(VALU_DEP_4) | instskip(NEXT) | instid1(VALU_DEP_4)
	v_max3_f32 v71, v71, v72, v78
	v_cndmask_b32_e64 v68, 0xff7fffff, v68, s10
	s_delay_alu instid0(VALU_DEP_4)
	v_cndmask_b32_e64 v70, 0xff7fffff, v70, s11
	v_cmp_gt_i32_e64 s12, s24, v88
	v_cndmask_b32_e64 v78, 0xff7fffff, v98, s13
	v_cmp_gt_i32_e64 s15, s24, v90
	v_cmp_gt_i32_e64 s16, s24, v91
	v_max3_f32 v68, v71, v68, v70
	v_cndmask_b32_e64 v72, 0xff7fffff, v99, s12
	v_cmp_gt_i32_e64 s17, s24, v76
	v_cndmask_b32_e64 v70, 0xff7fffff, v97, s15
	v_cndmask_b32_e64 v71, 0xff7fffff, v96, s16
	v_cmp_gt_i32_e64 s18, s24, v77
	v_max3_f32 v68, v68, v72, v78
	v_cndmask_b32_e64 v72, 0xff7fffff, v95, s17
	s_delay_alu instid0(VALU_DEP_3) | instskip(NEXT) | instid1(VALU_DEP_3)
	v_cndmask_b32_e64 v76, 0xff7fffff, v94, s18
	v_max3_f32 v68, v68, v70, v71
	s_delay_alu instid0(VALU_DEP_1) | instskip(SKIP_3) | instid1(VALU_DEP_1)
	v_max3_f32 v68, v68, v72, v76
	ds_bpermute_b32 v69, v89, v68
	s_waitcnt lgkmcnt(0)
	v_max_f32_e32 v69, v69, v69
	v_max_f32_e32 v68, v68, v69
	s_delay_alu instid0(VALU_DEP_1) | instskip(NEXT) | instid1(VALU_DEP_1)
	v_fma_f32 v71, s19, v118, -v68
	v_mul_f32_e32 v71, 0x3fb8aa3b, v71
	v_fma_f32 v70, s19, v117, -v68
	v_fma_f32 v69, s19, v116, -v68
	;; [unrolled: 1-line block ×5, first 2 shown]
	s_delay_alu instid0(VALU_DEP_4) | instskip(SKIP_1) | instid1(VALU_DEP_3)
	v_dual_mul_f32 v70, 0x3fb8aa3b, v70 :: v_dual_mul_f32 v69, 0x3fb8aa3b, v69
	v_exp_f32_e32 v71, v71
	v_mul_f32_e32 v72, 0x3fb8aa3b, v72
	v_fma_f32 v81, s19, v105, -v68
	s_delay_alu instid0(VALU_DEP_3)
	v_exp_f32_e32 v70, v70
	v_mul_f32_e32 v77, 0x3fb8aa3b, v76
	v_exp_f32_e32 v69, v69
	v_exp_f32_e32 v72, v72
	v_mul_f32_e32 v81, 0x3fb8aa3b, v81
	v_cndmask_b32_e64 v83, 0, v71, s4
	v_fma_f32 v71, s19, v123, -v68
	s_delay_alu instid0(VALU_DEP_3) | instskip(SKIP_4) | instid1(TRANS32_DEP_3)
	v_exp_f32_e32 v81, v81
	v_cndmask_b32_e32 v76, 0, v70, vcc_lo
	v_exp_f32_e32 v77, v77
	v_cndmask_b32_e64 v80, 0, v69, s3
	v_fma_f32 v69, s19, v121, -v68
	v_cndmask_b32_e64 v85, 0, v72, s5
	v_mul_f32_e32 v71, 0x3fb8aa3b, v71
	v_fma_f32 v72, s19, v100, -v68
	s_delay_alu instid0(VALU_DEP_4) | instskip(SKIP_1) | instid1(VALU_DEP_4)
	v_dual_add_f32 v70, 0, v80 :: v_dual_mul_f32 v69, 0x3fb8aa3b, v69
	v_cmp_gt_u32_e64 s3, 16, v67
	v_exp_f32_e32 v71, v71
	s_delay_alu instid0(TRANS32_DEP_2) | instskip(SKIP_4) | instid1(VALU_DEP_3)
	v_cndmask_b32_e64 v86, 0, v77, s6
	v_fma_f32 v77, s19, v101, -v68
	v_mul_f32_e32 v78, 0x3fb8aa3b, v78
	v_add_f32_e32 v70, v70, v76
	v_exp_f32_e32 v69, v69
	v_mul_f32_e32 v77, 0x3fb8aa3b, v77
	s_delay_alu instid0(VALU_DEP_3) | instskip(NEXT) | instid1(TRANS32_DEP_3)
	v_exp_f32_e32 v78, v78
	v_cndmask_b32_e64 v88, 0, v71, s9
	v_fma_f32 v71, s19, v104, -v68
	s_delay_alu instid0(VALU_DEP_3) | instskip(NEXT) | instid1(TRANS32_DEP_3)
	v_exp_f32_e32 v77, v77
	v_cndmask_b32_e64 v87, 0, v69, s7
	s_delay_alu instid0(VALU_DEP_2)
	v_mul_f32_e32 v71, 0x3fb8aa3b, v71
	s_waitcnt_depctr 0xfff
	v_cndmask_b32_e64 v84, 0, v78, s8
	v_add_f32_e32 v70, v70, v83
	v_fma_f32 v78, s19, v103, -v68
	v_exp_f32_e32 v82, v71
	s_delay_alu instid0(VALU_DEP_2) | instskip(SKIP_1) | instid1(VALU_DEP_3)
	v_add_f32_e32 v70, v70, v85
	v_mul_f32_e32 v72, 0x3fb8aa3b, v72
	v_mul_f32_e32 v78, 0x3fb8aa3b, v78
	s_delay_alu instid0(VALU_DEP_3) | instskip(SKIP_1) | instid1(VALU_DEP_4)
	v_add_f32_e32 v69, v70, v86
	v_fma_f32 v70, s19, v102, -v68
	v_exp_f32_e32 v72, v72
	s_delay_alu instid0(VALU_DEP_3) | instskip(NEXT) | instid1(VALU_DEP_1)
	v_exp_f32_e32 v78, v78
	v_dual_add_f32 v69, v69, v87 :: v_dual_mul_f32 v70, 0x3fb8aa3b, v70
	s_delay_alu instid0(VALU_DEP_1) | instskip(NEXT) | instid1(VALU_DEP_2)
	v_add_f32_e32 v69, v69, v84
	v_exp_f32_e32 v79, v70
	s_delay_alu instid0(TRANS32_DEP_3) | instskip(NEXT) | instid1(VALU_DEP_2)
	v_cndmask_b32_e64 v70, 0, v72, s10
	v_add_f32_e32 v72, v69, v88
	v_cndmask_b32_e64 v69, 0, v77, s11
	v_fma_f32 v77, s19, v106, -v68
	s_waitcnt_depctr 0xfff
	v_cndmask_b32_e64 v71, 0, v79, s12
	v_dual_mul_f32 v77, 0x3fb8aa3b, v77 :: v_dual_add_f32 v72, v72, v70
	s_delay_alu instid0(VALU_DEP_1) | instskip(NEXT) | instid1(VALU_DEP_1)
	v_exp_f32_e32 v90, v77
	v_add_f32_e32 v79, v72, v69
	v_cndmask_b32_e64 v72, 0, v78, s13
	v_cndmask_b32_e64 v77, 0, v82, s15
	s_delay_alu instid0(VALU_DEP_3) | instskip(SKIP_1) | instid1(VALU_DEP_1)
	v_add_f32_e32 v78, v79, v71
	v_fma_f32 v79, s19, v107, -v68
	v_dual_add_f32 v82, v78, v72 :: v_dual_mul_f32 v79, 0x3fb8aa3b, v79
	v_cndmask_b32_e64 v78, 0, v81, s16
	s_delay_alu instid0(VALU_DEP_2) | instskip(NEXT) | instid1(VALU_DEP_3)
	v_add_f32_e32 v81, v82, v77
	v_exp_f32_e32 v82, v79
	v_cndmask_b32_e64 v79, 0, v90, s17
	s_delay_alu instid0(VALU_DEP_2) | instskip(NEXT) | instid1(VALU_DEP_1)
	v_add_f32_e32 v81, v81, v78
	v_add_f32_e32 v90, v81, v79
	s_waitcnt_depctr 0xfff
	v_cndmask_b32_e64 v81, 0, v82, s18
	s_delay_alu instid0(VALU_DEP_1)
	v_add_f32_e32 v82, v90, v81
	ds_bpermute_b32 v89, v89, v82
	s_and_saveexec_b32 s4, s3
	s_cbranch_execz .LBB1434_12
; %bb.11:
	v_mul_u32_u24_e32 v67, 0x44, v66
	s_delay_alu instid0(VALU_DEP_1) | instskip(SKIP_1) | instid1(VALU_DEP_1)
	v_lshl_add_u32 v67, v65, 2, v67
	s_waitcnt lgkmcnt(0)
	v_dual_add_f32 v82, v82, v89 :: v_dual_add_nc_u32 v67, 0x4000, v67
	ds_store_2addr_b32 v67, v68, v82 offset1:136
.LBB1434_12:
	s_or_b32 exec_lo, exec_lo, s4
	v_lshlrev_b32_e32 v67, 2, v65
	s_waitcnt lgkmcnt(0)
	s_barrier
	buffer_gl0_inv
	v_cmp_eq_u32_e32 vcc_lo, 1, v66
	v_add_nc_u32_e32 v82, 0x4000, v67
	v_cmp_eq_u32_e64 s4, 2, v66
	v_cmp_eq_u32_e64 s6, 7, v66
	ds_load_2addr_b32 v[89:90], v82 offset1:17
	ds_load_2addr_b32 v[91:92], v82 offset0:34 offset1:51
	ds_load_2addr_b32 v[93:94], v82 offset0:68 offset1:85
	;; [unrolled: 1-line block ×4, first 2 shown]
	s_waitcnt lgkmcnt(4)
	v_max3_f32 v67, v89, 0xff7fffff, v90
	s_waitcnt lgkmcnt(3)
	s_delay_alu instid0(VALU_DEP_1) | instskip(SKIP_1) | instid1(VALU_DEP_1)
	v_max3_f32 v67, v67, v91, v92
	s_waitcnt lgkmcnt(2)
	v_max3_f32 v67, v67, v93, v94
	s_waitcnt lgkmcnt(1)
	s_delay_alu instid0(VALU_DEP_1) | instskip(NEXT) | instid1(VALU_DEP_1)
	v_max3_f32 v67, v67, v95, v96
	v_sub_f32_e32 v93, v93, v67
	s_delay_alu instid0(VALU_DEP_1) | instskip(NEXT) | instid1(VALU_DEP_1)
	v_dual_sub_f32 v68, v89, v67 :: v_dual_mul_f32 v103, 0x3fb8aa3b, v93
	v_mul_f32_e32 v68, 0x3fb8aa3b, v68
	s_delay_alu instid0(VALU_DEP_1)
	v_exp_f32_e32 v100, v68
	v_sub_f32_e32 v68, v92, v67
	v_sub_f32_e32 v99, v90, v67
	ds_load_2addr_b32 v[89:90], v82 offset0:170 offset1:187
	v_dual_mul_f32 v102, 0x3fb8aa3b, v68 :: v_dual_mul_f32 v99, 0x3fb8aa3b, v99
	s_waitcnt lgkmcnt(1)
	v_fma_f32 v68, v100, v97, 0
	s_delay_alu instid0(VALU_DEP_2) | instskip(NEXT) | instid1(VALU_DEP_2)
	v_exp_f32_e32 v102, v102
	v_exp_f32_e32 v99, v99
	s_waitcnt_depctr 0xfff
	v_fmac_f32_e32 v68, v99, v98
	v_sub_f32_e32 v91, v91, v67
	s_delay_alu instid0(VALU_DEP_1)
	v_mul_f32_e32 v101, 0x3fb8aa3b, v91
	ds_load_2addr_b32 v[91:92], v82 offset0:204 offset1:221
	v_sub_f32_e32 v97, v94, v67
	ds_load_2addr_b32 v[93:94], v82 offset0:238 offset1:255
	s_waitcnt lgkmcnt(0)
	v_exp_f32_e32 v101, v101
	s_barrier
	buffer_gl0_inv
	v_dual_fmac_f32 v68, v101, v89 :: v_dual_sub_f32 v89, v96, v67
	v_dual_sub_f32 v82, v95, v67 :: v_dual_mul_f32 v95, 0x3fb8aa3b, v97
	v_exp_f32_e32 v97, v103
	s_delay_alu instid0(VALU_DEP_2) | instskip(NEXT) | instid1(VALU_DEP_2)
	v_dual_fmac_f32 v68, v102, v90 :: v_dual_mul_f32 v89, 0x3fb8aa3b, v89
	v_mul_f32_e32 v82, 0x3fb8aa3b, v82
	s_delay_alu instid0(VALU_DEP_3) | instskip(NEXT) | instid1(VALU_DEP_2)
	v_exp_f32_e32 v95, v95
	v_exp_f32_e32 v89, v89
	s_delay_alu instid0(VALU_DEP_1)
	v_exp_f32_e32 v82, v82
	v_fmac_f32_e32 v68, v97, v91
	s_delay_alu instid0(TRANS32_DEP_3) | instid1(VALU_DEP_1)
	v_fmac_f32_e32 v68, v95, v92
	s_waitcnt_depctr 0xfff
	v_fmac_f32_e32 v68, v82, v93
	s_delay_alu instid0(VALU_DEP_1) | instskip(NEXT) | instid1(VALU_DEP_1)
	v_fmac_f32_e32 v68, v89, v94
	v_add_f32_e32 v90, 0x358637bd, v68
	s_delay_alu instid0(VALU_DEP_1) | instskip(NEXT) | instid1(VALU_DEP_1)
	v_div_scale_f32 v91, null, v90, v90, 1.0
	v_rcp_f32_e32 v92, v91
	s_waitcnt_depctr 0xfff
	v_fma_f32 v93, -v91, v92, 1.0
	s_delay_alu instid0(VALU_DEP_1) | instskip(SKIP_1) | instid1(VALU_DEP_2)
	v_dual_fmac_f32 v92, v93, v92 :: v_dual_cndmask_b32 v93, v100, v99
	v_cmp_eq_u32_e32 vcc_lo, 3, v66
	v_cndmask_b32_e64 v93, v93, v101, s4
	v_cmp_eq_u32_e64 s4, 4, v66
	s_delay_alu instid0(VALU_DEP_2) | instskip(SKIP_1) | instid1(VALU_DEP_2)
	v_cndmask_b32_e32 v93, v93, v102, vcc_lo
	v_cmp_eq_u32_e32 vcc_lo, 5, v66
	v_cndmask_b32_e64 v93, v93, v97, s4
	v_cmp_eq_u32_e64 s4, 6, v66
	s_delay_alu instid0(VALU_DEP_2) | instskip(SKIP_1) | instid1(VALU_DEP_1)
	v_cndmask_b32_e32 v93, v93, v95, vcc_lo
	v_div_scale_f32 v94, s5, 1.0, v90, 1.0
	s_mov_b32 vcc_lo, s5
	s_delay_alu instid0(VALU_DEP_2) | instskip(NEXT) | instid1(VALU_DEP_2)
	v_cndmask_b32_e64 v82, v93, v82, s4
	v_mul_f32_e32 v96, v94, v92
	s_mov_b32 s4, exec_lo
	s_delay_alu instid0(VALU_DEP_2) | instskip(NEXT) | instid1(VALU_DEP_2)
	v_cndmask_b32_e64 v82, v82, v89, s6
	v_fma_f32 v98, -v91, v96, v94
	s_delay_alu instid0(VALU_DEP_1) | instskip(NEXT) | instid1(VALU_DEP_1)
	v_fmac_f32_e32 v96, v98, v92
	v_fma_f32 v91, -v91, v96, v94
	s_delay_alu instid0(VALU_DEP_1) | instskip(NEXT) | instid1(VALU_DEP_1)
	v_div_fmas_f32 v91, v91, v92, v96
	v_div_fixup_f32 v90, v91, v90, 1.0
	s_delay_alu instid0(VALU_DEP_1) | instskip(NEXT) | instid1(VALU_DEP_1)
	v_mul_f32_e32 v82, v82, v90
	v_mul_f32_e32 v87, v82, v87
	;; [unrolled: 1-line block ×7, first 2 shown]
	v_dual_mul_f32 v86, v82, v83 :: v_dual_and_b32 v91, 0x7f800000, v90
	v_mul_f32_e32 v85, v82, v76
                                        ; implicit-def: $vgpr76
	s_delay_alu instid0(VALU_DEP_2)
	v_cmpx_ne_u32_e32 0x7f800000, v91
	s_xor_b32 s4, exec_lo, s4
; %bb.13:
	v_bfe_u32 v76, v90, 16, 1
	s_delay_alu instid0(VALU_DEP_1)
	v_add3_u32 v76, v90, v76, 0x7fff
                                        ; implicit-def: $vgpr90
; %bb.14:
	s_and_not1_saveexec_b32 s4, s4
; %bb.15:
	v_and_b32_e32 v76, 0xffff, v90
	v_or_b32_e32 v83, 0x10000, v90
	s_delay_alu instid0(VALU_DEP_2) | instskip(NEXT) | instid1(VALU_DEP_2)
	v_cmp_eq_u32_e32 vcc_lo, 0, v76
	v_cndmask_b32_e32 v76, v83, v90, vcc_lo
; %bb.16:
	s_or_b32 exec_lo, exec_lo, s4
	v_and_b32_e32 v83, 0x7f800000, v85
	s_delay_alu instid0(VALU_DEP_1) | instskip(SKIP_1) | instid1(SALU_CYCLE_1)
	v_cmp_ne_u32_e32 vcc_lo, 0x7f800000, v83
                                        ; implicit-def: $vgpr83
	s_and_saveexec_b32 s4, vcc_lo
	s_xor_b32 s4, exec_lo, s4
; %bb.17:
	v_bfe_u32 v83, v85, 16, 1
	s_delay_alu instid0(VALU_DEP_1)
	v_add3_u32 v83, v85, v83, 0x7fff
                                        ; implicit-def: $vgpr85
; %bb.18:
	s_and_not1_saveexec_b32 s4, s4
; %bb.19:
	v_and_b32_e32 v83, 0xffff, v85
	v_or_b32_e32 v90, 0x10000, v85
	s_delay_alu instid0(VALU_DEP_2) | instskip(NEXT) | instid1(VALU_DEP_2)
	v_cmp_eq_u32_e32 vcc_lo, 0, v83
	v_cndmask_b32_e32 v83, v90, v85, vcc_lo
; %bb.20:
	s_or_b32 exec_lo, exec_lo, s4
	v_and_b32_e32 v85, 0x7f800000, v86
	s_delay_alu instid0(VALU_DEP_1) | instskip(SKIP_1) | instid1(SALU_CYCLE_1)
	v_cmp_ne_u32_e32 vcc_lo, 0x7f800000, v85
                                        ; implicit-def: $vgpr85
	s_and_saveexec_b32 s4, vcc_lo
	s_xor_b32 s4, exec_lo, s4
; %bb.21:
	v_bfe_u32 v85, v86, 16, 1
	s_delay_alu instid0(VALU_DEP_1)
	v_add3_u32 v85, v86, v85, 0x7fff
                                        ; implicit-def: $vgpr86
; %bb.22:
	s_and_not1_saveexec_b32 s4, s4
; %bb.23:
	v_and_b32_e32 v85, 0xffff, v86
	v_or_b32_e32 v90, 0x10000, v86
	s_delay_alu instid0(VALU_DEP_2) | instskip(NEXT) | instid1(VALU_DEP_2)
	v_cmp_eq_u32_e32 vcc_lo, 0, v85
	v_cndmask_b32_e32 v85, v90, v86, vcc_lo
; %bb.24:
	s_or_b32 exec_lo, exec_lo, s4
	v_and_b32_e32 v86, 0x7f800000, v89
	s_delay_alu instid0(VALU_DEP_1) | instskip(SKIP_1) | instid1(SALU_CYCLE_1)
	v_cmp_ne_u32_e32 vcc_lo, 0x7f800000, v86
                                        ; implicit-def: $vgpr86
	s_and_saveexec_b32 s4, vcc_lo
	s_xor_b32 s4, exec_lo, s4
; %bb.25:
	v_bfe_u32 v86, v89, 16, 1
	s_delay_alu instid0(VALU_DEP_1)
	v_add3_u32 v86, v89, v86, 0x7fff
                                        ; implicit-def: $vgpr89
; %bb.26:
	s_and_not1_saveexec_b32 s4, s4
; %bb.27:
	v_and_b32_e32 v86, 0xffff, v89
	v_or_b32_e32 v90, 0x10000, v89
	s_delay_alu instid0(VALU_DEP_2) | instskip(NEXT) | instid1(VALU_DEP_2)
	v_cmp_eq_u32_e32 vcc_lo, 0, v86
	v_cndmask_b32_e32 v86, v90, v89, vcc_lo
; %bb.28:
	s_or_b32 exec_lo, exec_lo, s4
	v_and_b32_e32 v89, 0x7f800000, v88
	s_delay_alu instid0(VALU_DEP_1) | instskip(SKIP_1) | instid1(SALU_CYCLE_1)
	v_cmp_ne_u32_e32 vcc_lo, 0x7f800000, v89
                                        ; implicit-def: $vgpr89
	s_and_saveexec_b32 s4, vcc_lo
	s_xor_b32 s4, exec_lo, s4
; %bb.29:
	v_bfe_u32 v89, v88, 16, 1
	s_delay_alu instid0(VALU_DEP_1)
	v_add3_u32 v89, v88, v89, 0x7fff
                                        ; implicit-def: $vgpr88
; %bb.30:
	s_and_not1_saveexec_b32 s4, s4
; %bb.31:
	v_and_b32_e32 v89, 0xffff, v88
	v_or_b32_e32 v90, 0x10000, v88
	s_delay_alu instid0(VALU_DEP_2) | instskip(NEXT) | instid1(VALU_DEP_2)
	v_cmp_eq_u32_e32 vcc_lo, 0, v89
	v_cndmask_b32_e32 v89, v90, v88, vcc_lo
; %bb.32:
	s_or_b32 exec_lo, exec_lo, s4
	v_and_b32_e32 v88, 0x7f800000, v87
	s_delay_alu instid0(VALU_DEP_1) | instskip(SKIP_1) | instid1(SALU_CYCLE_1)
	v_cmp_ne_u32_e32 vcc_lo, 0x7f800000, v88
                                        ; implicit-def: $vgpr88
	s_and_saveexec_b32 s4, vcc_lo
	s_xor_b32 s4, exec_lo, s4
; %bb.33:
	v_bfe_u32 v88, v87, 16, 1
	s_delay_alu instid0(VALU_DEP_1)
	v_add3_u32 v88, v87, v88, 0x7fff
                                        ; implicit-def: $vgpr87
; %bb.34:
	s_and_not1_saveexec_b32 s4, s4
; %bb.35:
	v_and_b32_e32 v88, 0xffff, v87
	v_or_b32_e32 v90, 0x10000, v87
	s_delay_alu instid0(VALU_DEP_2) | instskip(NEXT) | instid1(VALU_DEP_2)
	v_cmp_eq_u32_e32 vcc_lo, 0, v88
	v_cndmask_b32_e32 v88, v90, v87, vcc_lo
; %bb.36:
	s_or_b32 exec_lo, exec_lo, s4
	v_and_b32_e32 v87, 0x7f800000, v84
	s_delay_alu instid0(VALU_DEP_1) | instskip(SKIP_1) | instid1(SALU_CYCLE_1)
	v_cmp_ne_u32_e32 vcc_lo, 0x7f800000, v87
                                        ; implicit-def: $vgpr87
	s_and_saveexec_b32 s4, vcc_lo
	s_xor_b32 s4, exec_lo, s4
; %bb.37:
	v_bfe_u32 v87, v84, 16, 1
	s_delay_alu instid0(VALU_DEP_1)
	v_add3_u32 v87, v84, v87, 0x7fff
                                        ; implicit-def: $vgpr84
; %bb.38:
	s_and_not1_saveexec_b32 s4, s4
; %bb.39:
	v_and_b32_e32 v87, 0xffff, v84
	v_or_b32_e32 v90, 0x10000, v84
	s_delay_alu instid0(VALU_DEP_2) | instskip(NEXT) | instid1(VALU_DEP_2)
	v_cmp_eq_u32_e32 vcc_lo, 0, v87
	v_cndmask_b32_e32 v87, v90, v84, vcc_lo
; %bb.40:
	s_or_b32 exec_lo, exec_lo, s4
	v_and_b32_e32 v84, 0x7f800000, v80
	s_delay_alu instid0(VALU_DEP_1) | instskip(SKIP_1) | instid1(SALU_CYCLE_1)
	v_cmp_ne_u32_e32 vcc_lo, 0x7f800000, v84
                                        ; implicit-def: $vgpr84
	s_and_saveexec_b32 s4, vcc_lo
	s_xor_b32 s4, exec_lo, s4
; %bb.41:
	v_bfe_u32 v84, v80, 16, 1
	s_delay_alu instid0(VALU_DEP_1)
	v_add3_u32 v84, v80, v84, 0x7fff
                                        ; implicit-def: $vgpr80
; %bb.42:
	s_and_not1_saveexec_b32 s4, s4
; %bb.43:
	v_and_b32_e32 v84, 0xffff, v80
	v_or_b32_e32 v90, 0x10000, v80
	s_delay_alu instid0(VALU_DEP_2) | instskip(NEXT) | instid1(VALU_DEP_2)
	v_cmp_eq_u32_e32 vcc_lo, 0, v84
	v_cndmask_b32_e32 v84, v90, v80, vcc_lo
; %bb.44:
	s_or_b32 exec_lo, exec_lo, s4
	s_load_b64 s[36:37], s[0:1], 0x94
	v_lshlrev_b32_e32 v91, 4, v74
	s_delay_alu instid0(VALU_DEP_2)
	v_perm_b32 v90, v84, v87, 0x7060302
	v_dual_mul_f32 v79, v82, v79 :: v_dual_lshlrev_b32 v80, 6, v65
	v_dual_mul_f32 v77, v82, v77 :: v_dual_lshlrev_b32 v92, 11, v66
	v_mul_f32_e32 v84, v82, v70
	v_perm_b32 v89, v88, v89, 0x7060302
	v_perm_b32 v88, v86, v85, 0x7060302
	;; [unrolled: 1-line block ×3, first 2 shown]
	v_mul_f32_e32 v70, v82, v81
	v_or3_b32 v76, v91, v92, v80
	v_dual_mul_f32 v78, v82, v78 :: v_dual_and_b32 v85, 0x7f800000, v84
	v_mul_f32_e32 v83, v82, v72
	v_mul_f32_e32 v81, v82, v71
	;; [unrolled: 1-line block ×3, first 2 shown]
	s_mov_b32 s4, exec_lo
	ds_store_b128 v76, v[87:90]
                                        ; implicit-def: $vgpr69
	v_cmpx_ne_u32_e32 0x7f800000, v85
	s_xor_b32 s4, exec_lo, s4
; %bb.45:
	v_bfe_u32 v69, v84, 16, 1
	s_delay_alu instid0(VALU_DEP_1)
	v_add3_u32 v69, v84, v69, 0x7fff
                                        ; implicit-def: $vgpr84
; %bb.46:
	s_and_not1_saveexec_b32 s4, s4
; %bb.47:
	v_and_b32_e32 v69, 0xffff, v84
	v_or_b32_e32 v71, 0x10000, v84
	s_delay_alu instid0(VALU_DEP_2) | instskip(NEXT) | instid1(VALU_DEP_2)
	v_cmp_eq_u32_e32 vcc_lo, 0, v69
	v_cndmask_b32_e32 v69, v71, v84, vcc_lo
; %bb.48:
	s_or_b32 exec_lo, exec_lo, s4
	v_and_b32_e32 v71, 0x7f800000, v72
	s_delay_alu instid0(VALU_DEP_1) | instskip(SKIP_1) | instid1(SALU_CYCLE_1)
	v_cmp_ne_u32_e32 vcc_lo, 0x7f800000, v71
                                        ; implicit-def: $vgpr71
	s_and_saveexec_b32 s4, vcc_lo
	s_xor_b32 s4, exec_lo, s4
; %bb.49:
	v_bfe_u32 v71, v72, 16, 1
	s_delay_alu instid0(VALU_DEP_1)
	v_add3_u32 v71, v72, v71, 0x7fff
                                        ; implicit-def: $vgpr72
; %bb.50:
	s_and_not1_saveexec_b32 s4, s4
; %bb.51:
	v_and_b32_e32 v71, 0xffff, v72
	v_or_b32_e32 v82, 0x10000, v72
	s_delay_alu instid0(VALU_DEP_2) | instskip(NEXT) | instid1(VALU_DEP_2)
	v_cmp_eq_u32_e32 vcc_lo, 0, v71
	v_cndmask_b32_e32 v71, v82, v72, vcc_lo
; %bb.52:
	s_or_b32 exec_lo, exec_lo, s4
	v_and_b32_e32 v72, 0x7f800000, v81
	s_delay_alu instid0(VALU_DEP_1) | instskip(SKIP_1) | instid1(SALU_CYCLE_1)
	v_cmp_ne_u32_e32 vcc_lo, 0x7f800000, v72
                                        ; implicit-def: $vgpr72
	s_and_saveexec_b32 s4, vcc_lo
	s_xor_b32 s4, exec_lo, s4
; %bb.53:
	v_bfe_u32 v72, v81, 16, 1
	s_delay_alu instid0(VALU_DEP_1)
	v_add3_u32 v72, v81, v72, 0x7fff
                                        ; implicit-def: $vgpr81
; %bb.54:
	s_and_not1_saveexec_b32 s4, s4
; %bb.55:
	v_and_b32_e32 v72, 0xffff, v81
	v_or_b32_e32 v82, 0x10000, v81
	s_delay_alu instid0(VALU_DEP_2) | instskip(NEXT) | instid1(VALU_DEP_2)
	v_cmp_eq_u32_e32 vcc_lo, 0, v72
	v_cndmask_b32_e32 v72, v82, v81, vcc_lo
; %bb.56:
	s_or_b32 exec_lo, exec_lo, s4
	v_and_b32_e32 v81, 0x7f800000, v83
	s_delay_alu instid0(VALU_DEP_1) | instskip(SKIP_1) | instid1(SALU_CYCLE_1)
	v_cmp_ne_u32_e32 vcc_lo, 0x7f800000, v81
                                        ; implicit-def: $vgpr81
	s_and_saveexec_b32 s4, vcc_lo
	s_xor_b32 s4, exec_lo, s4
; %bb.57:
	v_bfe_u32 v81, v83, 16, 1
	s_delay_alu instid0(VALU_DEP_1)
	v_add3_u32 v81, v83, v81, 0x7fff
                                        ; implicit-def: $vgpr83
; %bb.58:
	s_and_not1_saveexec_b32 s4, s4
; %bb.59:
	v_and_b32_e32 v81, 0xffff, v83
	v_or_b32_e32 v82, 0x10000, v83
	s_delay_alu instid0(VALU_DEP_2) | instskip(NEXT) | instid1(VALU_DEP_2)
	v_cmp_eq_u32_e32 vcc_lo, 0, v81
	v_cndmask_b32_e32 v81, v82, v83, vcc_lo
; %bb.60:
	s_or_b32 exec_lo, exec_lo, s4
	v_and_b32_e32 v82, 0x7f800000, v77
	s_delay_alu instid0(VALU_DEP_1) | instskip(SKIP_1) | instid1(SALU_CYCLE_1)
	v_cmp_ne_u32_e32 vcc_lo, 0x7f800000, v82
                                        ; implicit-def: $vgpr82
	s_and_saveexec_b32 s4, vcc_lo
	s_xor_b32 s4, exec_lo, s4
; %bb.61:
	v_bfe_u32 v82, v77, 16, 1
	s_delay_alu instid0(VALU_DEP_1)
	v_add3_u32 v82, v77, v82, 0x7fff
                                        ; implicit-def: $vgpr77
; %bb.62:
	s_and_not1_saveexec_b32 s4, s4
; %bb.63:
	v_and_b32_e32 v82, 0xffff, v77
	v_or_b32_e32 v83, 0x10000, v77
	s_delay_alu instid0(VALU_DEP_2) | instskip(NEXT) | instid1(VALU_DEP_2)
	v_cmp_eq_u32_e32 vcc_lo, 0, v82
	v_cndmask_b32_e32 v82, v83, v77, vcc_lo
; %bb.64:
	s_or_b32 exec_lo, exec_lo, s4
	v_and_b32_e32 v77, 0x7f800000, v78
	s_delay_alu instid0(VALU_DEP_1) | instskip(SKIP_1) | instid1(SALU_CYCLE_1)
	v_cmp_ne_u32_e32 vcc_lo, 0x7f800000, v77
                                        ; implicit-def: $vgpr77
	s_and_saveexec_b32 s4, vcc_lo
	s_xor_b32 s4, exec_lo, s4
; %bb.65:
	v_bfe_u32 v77, v78, 16, 1
	s_delay_alu instid0(VALU_DEP_1)
	v_add3_u32 v77, v78, v77, 0x7fff
                                        ; implicit-def: $vgpr78
; %bb.66:
	s_and_not1_saveexec_b32 s4, s4
; %bb.67:
	v_and_b32_e32 v77, 0xffff, v78
	v_or_b32_e32 v83, 0x10000, v78
	s_delay_alu instid0(VALU_DEP_2) | instskip(NEXT) | instid1(VALU_DEP_2)
	v_cmp_eq_u32_e32 vcc_lo, 0, v77
	v_cndmask_b32_e32 v77, v83, v78, vcc_lo
; %bb.68:
	s_or_b32 exec_lo, exec_lo, s4
	v_and_b32_e32 v78, 0x7f800000, v79
	s_delay_alu instid0(VALU_DEP_1) | instskip(SKIP_1) | instid1(SALU_CYCLE_1)
	v_cmp_ne_u32_e32 vcc_lo, 0x7f800000, v78
                                        ; implicit-def: $vgpr78
	s_and_saveexec_b32 s4, vcc_lo
	s_xor_b32 s4, exec_lo, s4
; %bb.69:
	v_bfe_u32 v78, v79, 16, 1
	s_delay_alu instid0(VALU_DEP_1)
	v_add3_u32 v78, v79, v78, 0x7fff
                                        ; implicit-def: $vgpr79
; %bb.70:
	s_and_not1_saveexec_b32 s4, s4
; %bb.71:
	v_and_b32_e32 v78, 0xffff, v79
	v_or_b32_e32 v83, 0x10000, v79
	s_delay_alu instid0(VALU_DEP_2) | instskip(NEXT) | instid1(VALU_DEP_2)
	v_cmp_eq_u32_e32 vcc_lo, 0, v78
	v_cndmask_b32_e32 v78, v83, v79, vcc_lo
; %bb.72:
	s_or_b32 exec_lo, exec_lo, s4
	v_and_b32_e32 v79, 0x7f800000, v70
	s_delay_alu instid0(VALU_DEP_1) | instskip(SKIP_1) | instid1(SALU_CYCLE_1)
	v_cmp_ne_u32_e32 vcc_lo, 0x7f800000, v79
                                        ; implicit-def: $vgpr79
	s_and_saveexec_b32 s4, vcc_lo
	s_xor_b32 s4, exec_lo, s4
; %bb.73:
	v_bfe_u32 v79, v70, 16, 1
	s_delay_alu instid0(VALU_DEP_1)
	v_add3_u32 v79, v70, v79, 0x7fff
                                        ; implicit-def: $vgpr70
; %bb.74:
	s_and_not1_saveexec_b32 s4, s4
; %bb.75:
	v_and_b32_e32 v79, 0xffff, v70
	v_or_b32_e32 v83, 0x10000, v70
	s_delay_alu instid0(VALU_DEP_2) | instskip(NEXT) | instid1(VALU_DEP_2)
	v_cmp_eq_u32_e32 vcc_lo, 0, v79
	v_cndmask_b32_e32 v79, v83, v70, vcc_lo
; %bb.76:
	s_or_b32 exec_lo, exec_lo, s4
	s_delay_alu instid0(VALU_DEP_1)
	v_perm_b32 v86, v79, v78, 0x7060302
	v_perm_b32 v85, v77, v82, 0x7060302
	;; [unrolled: 1-line block ×4, first 2 shown]
	v_lshl_or_b32 v82, v66, 11, v80
	ds_store_b128 v76, v[83:86] offset:1024
	s_waitcnt lgkmcnt(0)
	s_barrier
	buffer_gl0_inv
	ds_load_b128 v[69:72], v82
	ds_load_b128 v[83:86], v82 offset:16
	s_waitcnt lgkmcnt(1)
	v_lshrrev_b32_e32 v66, 16, v69
	s_waitcnt lgkmcnt(0)
	v_lshrrev_b32_e32 v91, 16, v83
	v_lshlrev_b32_e32 v78, 2, v74
	v_lshrrev_b32_e32 v95, 16, v70
	v_lshrrev_b32_e32 v98, 16, v84
	;; [unrolled: 1-line block ×4, first 2 shown]
	v_cmp_eq_u32_e32 vcc_lo, 1, v78
	v_lshrrev_b32_e32 v97, 16, v72
	v_lshrrev_b32_e32 v100, 16, v86
	v_cndmask_b32_e32 v87, v83, v91, vcc_lo
	v_or_b32_e32 v79, 1, v78
	v_cndmask_b32_e32 v81, v69, v66, vcc_lo
	v_cmp_eq_u32_e64 s5, 2, v78
	v_cmp_eq_u32_e64 s8, 3, v78
	;; [unrolled: 1-line block ×5, first 2 shown]
	v_cndmask_b32_e64 v81, v81, v70, s5
	v_cndmask_b32_e64 v87, v87, v84, s5
	v_cmp_eq_u32_e64 s9, 3, v79
	v_cndmask_b32_e64 v88, v69, v66, s4
	v_or_b32_e32 v77, 2, v78
	v_cndmask_b32_e64 v81, v81, v95, s8
	v_cndmask_b32_e64 v87, v87, v98, s8
	;; [unrolled: 1-line block ×4, first 2 shown]
	v_cmp_eq_u32_e64 s11, 5, v78
	v_cndmask_b32_e64 v81, v81, v71, s10
	v_cndmask_b32_e64 v87, v87, v85, s10
	v_cmp_eq_u32_e64 s12, 4, v79
	v_cndmask_b32_e64 v88, v88, v95, s9
	v_cmp_eq_u32_e64 s6, 1, v77
	v_cndmask_b32_e64 v89, v89, v84, s7
	v_cndmask_b32_e64 v81, v81, v96, s11
	v_cmp_eq_u32_e64 s13, 6, v78
	v_cndmask_b32_e64 v88, v88, v71, s12
	;; [unrolled: 3-line block ×3, first 2 shown]
	v_cndmask_b32_e64 v89, v89, v98, s9
	v_cndmask_b32_e64 v81, v81, v72, s13
	v_cmp_eq_u32_e64 s16, 7, v78
	v_cndmask_b32_e64 v88, v88, v96, s15
	v_cndmask_b32_e64 v87, v87, v86, s13
	v_cmp_eq_u32_e64 s17, 6, v79
	v_cmp_eq_u32_e64 s18, 2, v77
	v_cndmask_b32_e64 v89, v89, v85, s12
	v_cndmask_b32_e64 v101, v81, v97, s16
	;; [unrolled: 1-line block ×6, first 2 shown]
	v_cmp_eq_u32_e64 s19, 7, v79
	v_cmp_eq_u32_e64 s20, 3, v77
	v_cmp_eq_u32_e64 s21, 4, v77
	v_cmp_eq_u32_e64 s23, 5, v77
	v_cndmask_b32_e64 v87, v87, v84, s18
	v_cndmask_b32_e64 v103, v88, v97, s19
	;; [unrolled: 1-line block ×4, first 2 shown]
	v_or_b32_e32 v81, 3, v78
	v_cndmask_b32_e64 v93, v87, v98, s20
	v_cmp_eq_u32_e64 s25, 6, v77
	v_cndmask_b32_e64 v104, v88, v86, s17
	v_cndmask_b32_e64 v92, v89, v71, s21
	v_cmp_eq_u32_e64 s22, 1, v81
	ds_load_b128 v[87:90], v82 offset:1024
	v_cmp_eq_u32_e64 s24, 2, v81
	v_cmp_eq_u32_e64 s26, 3, v81
	v_cndmask_b32_e64 v105, v92, v96, s23
	v_cndmask_b32_e64 v66, v69, v66, s22
	;; [unrolled: 1-line block ×4, first 2 shown]
	ds_load_b128 v[91:94], v82 offset:1040
	v_cmp_eq_u32_e64 s27, 4, v81
	v_cndmask_b32_e64 v66, v66, v70, s24
	v_cmp_eq_u32_e64 s28, 7, v77
	v_cndmask_b32_e64 v70, v83, v84, s24
	v_cndmask_b32_e64 v84, v105, v72, s25
	v_cmp_eq_u32_e64 s29, 5, v81
	v_cndmask_b32_e64 v66, v66, v95, s26
	v_cmp_eq_u32_e64 s30, 6, v81
	v_cndmask_b32_e64 v70, v70, v98, s26
	v_cndmask_b32_e64 v69, v69, v99, s23
	;; [unrolled: 1-line block ×4, first 2 shown]
	s_waitcnt lgkmcnt(1)
	v_lshrrev_b32_e32 v95, 16, v87
	v_cndmask_b32_e64 v70, v70, v85, s27
	v_cndmask_b32_e64 v71, v84, v97, s28
	;; [unrolled: 1-line block ×4, first 2 shown]
	v_cndmask_b32_e32 v84, v87, v95, vcc_lo
	v_cndmask_b32_e64 v70, v70, v99, s29
	s_waitcnt lgkmcnt(0)
	v_lshrrev_b32_e32 v85, 16, v91
	v_lshrrev_b32_e32 v96, 16, v88
	v_cndmask_b32_e64 v98, v87, v95, s4
	v_cndmask_b32_e64 v84, v84, v88, s5
	;; [unrolled: 1-line block ×3, first 2 shown]
	v_cndmask_b32_e32 v99, v91, v85, vcc_lo
	v_cmp_eq_u32_e32 vcc_lo, 7, v81
	v_cndmask_b32_e64 v66, v66, v72, s30
	v_cndmask_b32_e64 v72, v84, v96, s8
	;; [unrolled: 1-line block ×3, first 2 shown]
	v_lshrrev_b32_e32 v98, 16, v92
	v_cndmask_b32_e32 v70, v70, v100, vcc_lo
	v_cndmask_b32_e64 v86, v99, v92, s5
	v_cndmask_b32_e64 v69, v69, v100, s28
	v_lshrrev_b32_e32 v100, 16, v93
	v_cndmask_b32_e64 v72, v72, v89, s10
	v_lshrrev_b32_e32 v99, 16, v89
	v_cndmask_b32_e64 v86, v86, v98, s8
	v_perm_b32 v71, v69, v71, 0x5040100
	v_cndmask_b32_e64 v84, v84, v96, s9
	s_delay_alu instid0(VALU_DEP_3) | instskip(NEXT) | instid1(VALU_DEP_2)
	v_cndmask_b32_e64 v86, v86, v93, s10
	v_cndmask_b32_e64 v84, v84, v89, s12
	s_delay_alu instid0(VALU_DEP_2) | instskip(NEXT) | instid1(VALU_DEP_1)
	v_cndmask_b32_e64 v86, v86, v100, s11
	v_cndmask_b32_e64 v69, v86, v94, s13
	v_cndmask_b32_e64 v86, v87, v95, s6
	v_cndmask_b32_e64 v87, v87, v95, s22
	v_cndmask_b32_e64 v95, v91, v85, s22
	s_delay_alu instid0(VALU_DEP_3) | instskip(NEXT) | instid1(VALU_DEP_3)
	v_cndmask_b32_e64 v86, v86, v88, s18
	v_cndmask_b32_e64 v87, v87, v88, s24
	s_delay_alu instid0(VALU_DEP_3) | instskip(NEXT) | instid1(VALU_DEP_3)
	v_cndmask_b32_e64 v88, v95, v92, s24
	v_cndmask_b32_e64 v86, v86, v96, s20
	;; [unrolled: 3-line block ×7, first 2 shown]
	s_delay_alu instid0(VALU_DEP_3) | instskip(SKIP_2) | instid1(VALU_DEP_2)
	v_cndmask_b32_e64 v88, v88, v94, s30
	v_cndmask_b32_e32 v66, v66, v97, vcc_lo
	v_cndmask_b32_e64 v97, v72, v99, s11
	v_perm_b32 v72, v70, v66, 0x5040100
	v_perm_b32 v70, v83, v103, 0x5040100
	v_cndmask_b32_e64 v103, v91, v85, s6
	v_cndmask_b32_e64 v85, v91, v85, s4
	;; [unrolled: 1-line block ×4, first 2 shown]
	v_lshrrev_b32_e32 v97, 16, v90
	v_cndmask_b32_e64 v91, v103, v92, s18
	v_cndmask_b32_e64 v85, v85, v92, s7
	;; [unrolled: 1-line block ×3, first 2 shown]
	s_mov_b32 s4, exec_lo
	v_cndmask_b32_e64 v83, v84, v97, s16
	v_cndmask_b32_e64 v91, v91, v98, s20
	v_cndmask_b32_e64 v85, v85, v98, s9
	v_lshrrev_b32_e32 v84, 16, v94
	v_cndmask_b32_e64 v66, v66, v97, s19
	v_cndmask_b32_e64 v90, v86, v97, s28
	;; [unrolled: 1-line block ×4, first 2 shown]
	v_dual_cndmask_b32 v86, v87, v97 :: v_dual_cndmask_b32 v87, v88, v84
	v_cndmask_b32_e64 v91, v69, v84, s16
	s_delay_alu instid0(VALU_DEP_4) | instskip(NEXT) | instid1(VALU_DEP_4)
	v_cndmask_b32_e64 v89, v89, v100, s23
	v_cndmask_b32_e64 v85, v85, v100, s15
	v_perm_b32 v69, v102, v101, 0x5040100
	v_perm_b32 v86, v87, v86, 0x5040100
	;; [unrolled: 1-line block ×3, first 2 shown]
	v_cndmask_b32_e64 v89, v89, v94, s25
	v_cndmask_b32_e64 v85, v85, v94, s17
	s_mul_i32 s9, s37, 9
	s_delay_alu instid0(VALU_DEP_2) | instskip(NEXT) | instid1(VALU_DEP_2)
	v_cndmask_b32_e64 v88, v89, v84, s28
	v_cndmask_b32_e64 v89, v85, v84, s19
	s_delay_alu instid0(VALU_DEP_2) | instskip(NEXT) | instid1(VALU_DEP_2)
	v_perm_b32 v85, v88, v90, 0x5040100
	v_perm_b32 v84, v89, v66, 0x5040100
	ds_store_b128 v76, v[69:72]
	ds_store_b128 v76, v[83:86] offset:1024
	v_cmpx_gt_u32_e32 9, v0
	s_cbranch_execz .LBB1434_78
; %bb.77:
	s_mul_i32 s5, s9, s34
	s_load_b128 s[16:19], s[0:1], 0x58
	v_add3_u32 v69, s5, s31, v65
	s_delay_alu instid0(VALU_DEP_1) | instskip(NEXT) | instid1(VALU_DEP_1)
	v_mad_u64_u32 v[65:66], null, v69, s36, s[14:15]
	v_ashrrev_i32_e32 v66, 31, v65
	s_delay_alu instid0(VALU_DEP_1) | instskip(SKIP_1) | instid1(VALU_DEP_1)
	v_lshlrev_b64 v[65:66], 2, v[65:66]
	s_waitcnt lgkmcnt(0)
	v_add_co_u32 v69, vcc_lo, s18, v65
	s_delay_alu instid0(VALU_DEP_2)
	v_add_co_ci_u32_e32 v70, vcc_lo, s19, v66, vcc_lo
	v_add_co_u32 v65, vcc_lo, s16, v65
	v_add_co_ci_u32_e32 v66, vcc_lo, s17, v66, vcc_lo
	global_store_b32 v[69:70], v67, off
	global_store_b32 v[65:66], v68, off
.LBB1434_78:
	s_or_b32 exec_lo, exec_lo, s4
	s_waitcnt lgkmcnt(0)
	s_waitcnt_vscnt null, 0x0
	s_barrier
	buffer_gl0_inv
	ds_load_b128 v[83:86], v80
	ds_load_b128 v[87:90], v80 offset:16
	ds_load_b128 v[95:98], v80 offset:2064
	;; [unrolled: 1-line block ×3, first 2 shown]
	v_mov_b32_e32 v65, 0
	ds_load_b128 v[103:106], v80 offset:4112
	ds_load_b128 v[99:102], v80 offset:4096
	;; [unrolled: 1-line block ×4, first 2 shown]
	v_mov_b32_e32 v66, v65
	v_mov_b32_e32 v67, v65
	;; [unrolled: 1-line block ×7, first 2 shown]
	s_waitcnt lgkmcnt(6)
	s_delay_alu instid0(VALU_DEP_1)
	v_wmma_f32_16x16x16_bf16 v[65:72], v[57:64], v[83:90], v[65:72]
	ds_load_b128 v[61:64], v80 offset:8208
	ds_load_b128 v[57:60], v80 offset:8192
	s_waitcnt lgkmcnt(6)
	v_wmma_f32_16x16x16_bf16 v[65:72], v[41:48], v[91:98], v[65:72]
	ds_load_b128 v[45:48], v80 offset:10256
	ds_load_b128 v[41:44], v80 offset:10240
	s_waitcnt lgkmcnt(6)
	;; [unrolled: 4-line block ×4, first 2 shown]
	v_wmma_f32_16x16x16_bf16 v[65:72], v[1:8], v[57:64], v[65:72]
	s_waitcnt lgkmcnt(4)
	s_delay_alu instid0(VALU_DEP_1) | instskip(SKIP_1) | instid1(VALU_DEP_1)
	v_wmma_f32_16x16x16_bf16 v[65:72], v[9:16], v[41:48], v[65:72]
	s_waitcnt lgkmcnt(2)
	v_wmma_f32_16x16x16_bf16 v[65:72], v[17:24], v[33:40], v[65:72]
	s_waitcnt lgkmcnt(0)
	s_delay_alu instid0(VALU_DEP_1) | instskip(NEXT) | instid1(VALU_DEP_1)
	v_wmma_f32_16x16x16_bf16 v[65:72], v[49:56], v[25:32], v[65:72]
	v_and_b32_e32 v1, 0x7f800000, v65
	s_delay_alu instid0(VALU_DEP_1) | instskip(SKIP_1) | instid1(SALU_CYCLE_1)
	v_cmp_ne_u32_e32 vcc_lo, 0x7f800000, v1
                                        ; implicit-def: $vgpr1
	s_and_saveexec_b32 s4, vcc_lo
	s_xor_b32 s4, exec_lo, s4
; %bb.79:
	v_bfe_u32 v1, v65, 16, 1
	s_delay_alu instid0(VALU_DEP_1)
	v_add3_u32 v1, v65, v1, 0x7fff
; %bb.80:
	s_and_not1_saveexec_b32 s4, s4
; %bb.81:
	v_and_b32_e32 v1, 0xffff, v65
	v_or_b32_e32 v2, 0x10000, v65
	s_delay_alu instid0(VALU_DEP_2) | instskip(NEXT) | instid1(VALU_DEP_2)
	v_cmp_eq_u32_e32 vcc_lo, 0, v1
	v_cndmask_b32_e32 v1, v2, v65, vcc_lo
; %bb.82:
	s_or_b32 exec_lo, exec_lo, s4
	v_and_b32_e32 v2, 0x7f800000, v66
	s_delay_alu instid0(VALU_DEP_1) | instskip(SKIP_1) | instid1(SALU_CYCLE_1)
	v_cmp_ne_u32_e32 vcc_lo, 0x7f800000, v2
                                        ; implicit-def: $vgpr2
	s_and_saveexec_b32 s4, vcc_lo
	s_xor_b32 s4, exec_lo, s4
; %bb.83:
	v_bfe_u32 v2, v66, 16, 1
	s_delay_alu instid0(VALU_DEP_1)
	v_add3_u32 v2, v66, v2, 0x7fff
; %bb.84:
	s_and_not1_saveexec_b32 s4, s4
; %bb.85:
	v_and_b32_e32 v2, 0xffff, v66
	v_or_b32_e32 v3, 0x10000, v66
	s_delay_alu instid0(VALU_DEP_2) | instskip(NEXT) | instid1(VALU_DEP_2)
	v_cmp_eq_u32_e32 vcc_lo, 0, v2
	v_cndmask_b32_e32 v2, v3, v66, vcc_lo
; %bb.86:
	s_or_b32 exec_lo, exec_lo, s4
	v_and_b32_e32 v3, 0x7f800000, v67
	s_delay_alu instid0(VALU_DEP_1) | instskip(SKIP_1) | instid1(SALU_CYCLE_1)
	v_cmp_ne_u32_e32 vcc_lo, 0x7f800000, v3
                                        ; implicit-def: $vgpr3
	s_and_saveexec_b32 s4, vcc_lo
	s_xor_b32 s4, exec_lo, s4
; %bb.87:
	v_bfe_u32 v3, v67, 16, 1
	s_delay_alu instid0(VALU_DEP_1)
	v_add3_u32 v3, v67, v3, 0x7fff
; %bb.88:
	s_and_not1_saveexec_b32 s4, s4
; %bb.89:
	v_and_b32_e32 v3, 0xffff, v67
	v_or_b32_e32 v4, 0x10000, v67
	s_delay_alu instid0(VALU_DEP_2) | instskip(NEXT) | instid1(VALU_DEP_2)
	v_cmp_eq_u32_e32 vcc_lo, 0, v3
	v_cndmask_b32_e32 v3, v4, v67, vcc_lo
; %bb.90:
	s_or_b32 exec_lo, exec_lo, s4
	v_and_b32_e32 v4, 0x7f800000, v68
	s_delay_alu instid0(VALU_DEP_1) | instskip(SKIP_1) | instid1(SALU_CYCLE_1)
	v_cmp_ne_u32_e32 vcc_lo, 0x7f800000, v4
                                        ; implicit-def: $vgpr4
	s_and_saveexec_b32 s4, vcc_lo
	s_xor_b32 s4, exec_lo, s4
; %bb.91:
	v_bfe_u32 v4, v68, 16, 1
	s_delay_alu instid0(VALU_DEP_1)
	v_add3_u32 v4, v68, v4, 0x7fff
; %bb.92:
	s_and_not1_saveexec_b32 s4, s4
; %bb.93:
	v_and_b32_e32 v4, 0xffff, v68
	v_or_b32_e32 v5, 0x10000, v68
	s_delay_alu instid0(VALU_DEP_2) | instskip(NEXT) | instid1(VALU_DEP_2)
	v_cmp_eq_u32_e32 vcc_lo, 0, v4
	v_cndmask_b32_e32 v4, v5, v68, vcc_lo
; %bb.94:
	s_or_b32 exec_lo, exec_lo, s4
	v_and_b32_e32 v5, 0x7f800000, v69
	s_delay_alu instid0(VALU_DEP_1) | instskip(SKIP_1) | instid1(SALU_CYCLE_1)
	v_cmp_ne_u32_e32 vcc_lo, 0x7f800000, v5
                                        ; implicit-def: $vgpr5
	s_and_saveexec_b32 s4, vcc_lo
	s_xor_b32 s4, exec_lo, s4
; %bb.95:
	v_bfe_u32 v5, v69, 16, 1
	s_delay_alu instid0(VALU_DEP_1)
	v_add3_u32 v5, v69, v5, 0x7fff
; %bb.96:
	s_and_not1_saveexec_b32 s4, s4
; %bb.97:
	v_and_b32_e32 v5, 0xffff, v69
	v_or_b32_e32 v6, 0x10000, v69
	s_delay_alu instid0(VALU_DEP_2) | instskip(NEXT) | instid1(VALU_DEP_2)
	v_cmp_eq_u32_e32 vcc_lo, 0, v5
	v_cndmask_b32_e32 v5, v6, v69, vcc_lo
; %bb.98:
	s_or_b32 exec_lo, exec_lo, s4
	v_and_b32_e32 v6, 0x7f800000, v70
	s_delay_alu instid0(VALU_DEP_1) | instskip(SKIP_1) | instid1(SALU_CYCLE_1)
	v_cmp_ne_u32_e32 vcc_lo, 0x7f800000, v6
                                        ; implicit-def: $vgpr6
	s_and_saveexec_b32 s4, vcc_lo
	s_xor_b32 s4, exec_lo, s4
; %bb.99:
	v_bfe_u32 v6, v70, 16, 1
	s_delay_alu instid0(VALU_DEP_1)
	v_add3_u32 v6, v70, v6, 0x7fff
; %bb.100:
	s_and_not1_saveexec_b32 s4, s4
; %bb.101:
	v_and_b32_e32 v6, 0xffff, v70
	v_or_b32_e32 v7, 0x10000, v70
	s_delay_alu instid0(VALU_DEP_2) | instskip(NEXT) | instid1(VALU_DEP_2)
	v_cmp_eq_u32_e32 vcc_lo, 0, v6
	v_cndmask_b32_e32 v6, v7, v70, vcc_lo
; %bb.102:
	s_or_b32 exec_lo, exec_lo, s4
	v_and_b32_e32 v7, 0x7f800000, v71
	s_delay_alu instid0(VALU_DEP_1) | instskip(SKIP_1) | instid1(SALU_CYCLE_1)
	v_cmp_ne_u32_e32 vcc_lo, 0x7f800000, v7
                                        ; implicit-def: $vgpr7
	s_and_saveexec_b32 s4, vcc_lo
	s_xor_b32 s4, exec_lo, s4
; %bb.103:
	v_bfe_u32 v7, v71, 16, 1
	s_delay_alu instid0(VALU_DEP_1)
	v_add3_u32 v7, v71, v7, 0x7fff
; %bb.104:
	s_and_not1_saveexec_b32 s4, s4
; %bb.105:
	v_and_b32_e32 v7, 0xffff, v71
	v_or_b32_e32 v8, 0x10000, v71
	s_delay_alu instid0(VALU_DEP_2) | instskip(NEXT) | instid1(VALU_DEP_2)
	v_cmp_eq_u32_e32 vcc_lo, 0, v7
	v_cndmask_b32_e32 v7, v8, v71, vcc_lo
; %bb.106:
	s_or_b32 exec_lo, exec_lo, s4
	v_and_b32_e32 v8, 0x7f800000, v72
	s_delay_alu instid0(VALU_DEP_1) | instskip(SKIP_1) | instid1(SALU_CYCLE_1)
	v_cmp_ne_u32_e32 vcc_lo, 0x7f800000, v8
                                        ; implicit-def: $vgpr8
	s_and_saveexec_b32 s4, vcc_lo
	s_xor_b32 s4, exec_lo, s4
; %bb.107:
	v_bfe_u32 v8, v72, 16, 1
	s_delay_alu instid0(VALU_DEP_1)
	v_add3_u32 v8, v72, v8, 0x7fff
                                        ; implicit-def: $vgpr65_vgpr66_vgpr67_vgpr68_vgpr69_vgpr70_vgpr71_vgpr72
; %bb.108:
	s_and_not1_saveexec_b32 s4, s4
; %bb.109:
	v_and_b32_e32 v8, 0xffff, v72
	v_or_b32_e32 v9, 0x10000, v72
	s_delay_alu instid0(VALU_DEP_2) | instskip(NEXT) | instid1(VALU_DEP_2)
	v_cmp_eq_u32_e32 vcc_lo, 0, v8
	v_cndmask_b32_e32 v8, v9, v72, vcc_lo
; %bb.110:
	s_or_b32 exec_lo, exec_lo, s4
	s_delay_alu instid0(VALU_DEP_1)
	v_perm_b32 v7, v8, v7, 0x7060302
	v_perm_b32 v6, v6, v5, 0x7060302
	;; [unrolled: 1-line block ×4, first 2 shown]
	s_barrier
	buffer_gl0_inv
	v_cmp_eq_u32_e32 vcc_lo, 1, v78
	ds_store_b128 v76, v[4:7]
	s_waitcnt lgkmcnt(0)
	s_barrier
	buffer_gl0_inv
	ds_load_b128 v[1:4], v82
	ds_load_b128 v[5:8], v82 offset:16
	v_cmp_eq_u32_e64 s4, 1, v79
	v_cmp_eq_u32_e64 s5, 2, v78
	;; [unrolled: 1-line block ×5, first 2 shown]
	s_waitcnt lgkmcnt(1)
	v_lshrrev_b32_e32 v9, 16, v1
	s_waitcnt lgkmcnt(0)
	v_lshrrev_b32_e32 v13, 16, v5
	v_lshrrev_b32_e32 v10, 16, v2
	;; [unrolled: 1-line block ×4, first 2 shown]
	v_cndmask_b32_e64 v19, v1, v9, s4
	v_cndmask_b32_e32 v18, v5, v13, vcc_lo
	v_cndmask_b32_e64 v20, v5, v13, s4
	v_cndmask_b32_e32 v17, v1, v9, vcc_lo
	v_cmp_eq_u32_e32 vcc_lo, 2, v79
	v_lshrrev_b32_e32 v15, 16, v7
	v_cmp_eq_u32_e64 s4, 1, v77
	v_lshrrev_b32_e32 v12, 16, v4
	v_lshrrev_b32_e32 v16, 16, v8
	v_cndmask_b32_e32 v20, v20, v6, vcc_lo
	v_cndmask_b32_e64 v17, v17, v2, s5
	v_cndmask_b32_e32 v19, v19, v2, vcc_lo
	v_cndmask_b32_e64 v18, v18, v6, s5
	v_cmp_eq_u32_e32 vcc_lo, 4, v78
	v_cmp_eq_u32_e64 s5, 3, v79
	v_cndmask_b32_e64 v17, v17, v10, s6
	v_cndmask_b32_e64 v21, v1, v9, s4
	;; [unrolled: 1-line block ×5, first 2 shown]
	v_cndmask_b32_e32 v17, v17, v3, vcc_lo
	v_cndmask_b32_e64 v20, v20, v14, s5
	v_cndmask_b32_e32 v18, v18, v7, vcc_lo
	v_cmp_eq_u32_e32 vcc_lo, 4, v79
	v_cmp_eq_u32_e64 s5, 5, v79
	v_cmp_eq_u32_e64 s4, 2, v81
	v_cndmask_b32_e64 v21, v21, v2, s8
	v_cmp_eq_u32_e64 s6, 5, v78
	v_cndmask_b32_e32 v19, v19, v3, vcc_lo
	v_cndmask_b32_e32 v20, v20, v7, vcc_lo
	v_cmp_eq_u32_e32 vcc_lo, 6, v79
	s_delay_alu instid0(VALU_DEP_4) | instskip(NEXT) | instid1(VALU_DEP_4)
	v_cndmask_b32_e64 v17, v17, v11, s6
	v_cndmask_b32_e64 v19, v19, v11, s5
	s_delay_alu instid0(VALU_DEP_4) | instskip(SKIP_1) | instid1(VALU_DEP_3)
	v_cndmask_b32_e64 v20, v20, v15, s5
	v_cmp_eq_u32_e64 s5, 1, v81
	v_cndmask_b32_e32 v19, v19, v4, vcc_lo
	v_cndmask_b32_e64 v18, v18, v15, s6
	s_delay_alu instid0(VALU_DEP_3)
	v_cndmask_b32_e64 v1, v1, v9, s5
	v_cndmask_b32_e64 v5, v5, v13, s5
	v_cmp_eq_u32_e64 s5, 3, v77
	v_cndmask_b32_e64 v13, v22, v6, s8
	v_cmp_eq_u32_e64 s8, 3, v81
	v_cndmask_b32_e64 v1, v1, v2, s4
	v_cndmask_b32_e64 v2, v5, v6, s4
	;; [unrolled: 1-line block ×3, first 2 shown]
	v_cmp_eq_u32_e64 s4, 4, v77
	v_cndmask_b32_e64 v6, v13, v14, s5
	v_cndmask_b32_e64 v1, v1, v10, s8
	v_cmp_eq_u32_e64 s5, 4, v81
	v_cndmask_b32_e64 v2, v2, v14, s8
	v_cndmask_b32_e64 v5, v9, v3, s4
	;; [unrolled: 3-line block ×3, first 2 shown]
	v_cndmask_b32_e64 v2, v2, v7, s5
	v_cmp_eq_u32_e64 s4, 5, v81
	v_cmp_eq_u32_e64 s6, 6, v78
	v_cndmask_b32_e64 v5, v5, v11, s8
	v_cmp_eq_u32_e64 s5, 6, v77
	v_cndmask_b32_e64 v3, v6, v15, s8
	v_cndmask_b32_e64 v1, v1, v11, s4
	v_cmp_eq_u32_e64 s8, 6, v81
	v_cndmask_b32_e64 v2, v2, v15, s4
	v_cndmask_b32_e64 v17, v17, v4, s6
	v_cndmask_b32_e64 v18, v18, v8, s6
	v_cmp_eq_u32_e64 s6, 7, v78
	v_cndmask_b32_e64 v5, v5, v4, s5
	;; [unrolled: 4-line block ×3, first 2 shown]
	v_cmp_eq_u32_e64 s5, 7, v77
	v_cndmask_b32_e32 v4, v20, v8, vcc_lo
	v_cndmask_b32_e64 v17, v17, v12, s6
	v_cndmask_b32_e64 v19, v19, v12, s7
	;; [unrolled: 1-line block ×8, first 2 shown]
	v_cmp_gt_u32_e32 vcc_lo, 32, v0
	v_perm_b32 v4, v2, v1, 0x5040100
	v_perm_b32 v3, v3, v5, 0x5040100
	;; [unrolled: 1-line block ×4, first 2 shown]
	s_and_b32 s2, vcc_lo, s2
	ds_store_b128 v76, v[1:4]
	s_waitcnt lgkmcnt(0)
	s_barrier
	buffer_gl0_inv
	s_and_saveexec_b32 s4, s2
	s_cbranch_execz .LBB1434_2
; %bb.111:
	s_load_b64 s[4:5], s[0:1], 0x68
	v_lshlrev_b32_e32 v0, 10, v0
	v_lshlrev_b32_e32 v1, 4, v75
	s_lshl_b32 s0, s36, 6
	v_add_nc_u32_e32 v2, s31, v74
	s_mul_i32 s1, s0, s34
	s_delay_alu instid0(SALU_CYCLE_1) | instskip(SKIP_1) | instid1(VALU_DEP_2)
	s_mul_i32 s6, s1, s9
	v_and_or_b32 v0, 0x3800, v0, v1
	v_mul_lo_u32 v1, v2, s0
	s_ashr_i32 s7, s6, 31
	v_add_nc_u32_e32 v3, 2, v2
	s_lshl_b64 s[6:7], s[6:7], 1
	v_add_nc_u32_e32 v4, 4, v2
	v_add_nc_u32_e32 v5, 6, v2
	v_lshl_or_b32 v15, v74, 6, v0
	v_mul_lo_u32 v3, v3, s0
	v_ashrrev_i32_e32 v2, 31, v1
	v_mul_lo_u32 v19, v4, s0
	v_mul_lo_u32 v21, v5, s0
	s_waitcnt lgkmcnt(0)
	s_add_u32 s1, s4, s6
	s_addc_u32 s2, s5, s7
	s_lshl_b32 s4, s14, 6
	v_lshlrev_b64 v[5:6], 1, v[1:2]
	s_ashr_i32 s5, s4, 31
	v_ashrrev_i32_e32 v4, 31, v3
	s_lshl_b64 s[4:5], s[4:5], 1
	v_ashrrev_i32_e32 v20, 31, v19
	s_add_u32 s1, s1, s4
	s_addc_u32 s2, s2, s5
	v_add_co_u32 v1, s1, s1, v73
	s_delay_alu instid0(VALU_DEP_1) | instskip(SKIP_1) | instid1(VALU_DEP_3)
	v_add_co_ci_u32_e64 v2, null, s2, 0, s1
	v_lshlrev_b64 v[25:26], 1, v[3:4]
	v_add_co_u32 v23, vcc_lo, v1, v5
	s_delay_alu instid0(VALU_DEP_3)
	v_add_co_ci_u32_e32 v24, vcc_lo, v2, v6, vcc_lo
	ds_load_b128 v[3:6], v15
	ds_load_b128 v[7:10], v15 offset:128
	ds_load_b128 v[11:14], v15 offset:256
	;; [unrolled: 1-line block ×3, first 2 shown]
	v_ashrrev_i32_e32 v22, 31, v21
	v_lshlrev_b64 v[19:20], 1, v[19:20]
	v_add_co_u32 v25, vcc_lo, v1, v25
	v_add_co_ci_u32_e32 v26, vcc_lo, v2, v26, vcc_lo
	s_delay_alu instid0(VALU_DEP_4) | instskip(NEXT) | instid1(VALU_DEP_4)
	v_lshlrev_b64 v[21:22], 1, v[21:22]
	v_add_co_u32 v19, vcc_lo, v1, v19
	v_add_co_ci_u32_e32 v20, vcc_lo, v2, v20, vcc_lo
	s_delay_alu instid0(VALU_DEP_3) | instskip(NEXT) | instid1(VALU_DEP_4)
	v_add_co_u32 v21, vcc_lo, v1, v21
	v_add_co_ci_u32_e32 v22, vcc_lo, v2, v22, vcc_lo
	s_waitcnt lgkmcnt(3)
	global_store_b128 v[23:24], v[3:6], off
	s_waitcnt lgkmcnt(2)
	global_store_b128 v[25:26], v[7:10], off
	;; [unrolled: 2-line block ×4, first 2 shown]
	s_and_b32 exec_lo, exec_lo, s3
	s_cbranch_execz .LBB1434_2
; %bb.112:
	ds_load_b128 v[3:6], v0 offset:512
	s_add_i32 s1, s31, 8
	s_delay_alu instid0(SALU_CYCLE_1) | instskip(NEXT) | instid1(SALU_CYCLE_1)
	s_mul_i32 s0, s1, s0
	s_ashr_i32 s1, s0, 31
	s_delay_alu instid0(SALU_CYCLE_1) | instskip(NEXT) | instid1(SALU_CYCLE_1)
	s_lshl_b64 s[0:1], s[0:1], 1
	v_add_co_u32 v0, vcc_lo, v1, s0
	v_add_co_ci_u32_e32 v1, vcc_lo, s1, v2, vcc_lo
	s_waitcnt lgkmcnt(0)
	global_store_b128 v[0:1], v[3:6], off
	s_nop 0
	s_sendmsg sendmsg(MSG_DEALLOC_VGPRS)
	s_endpgm
	.section	.rodata,"a",@progbits
	.p2align	6, 0x0
	.amdhsa_kernel _Z39paged_attention_ll4mi_QKV_mfma16_kernelI14__hip_bfloat16hLN4vllm18Fp8KVCacheDataTypeE1EhLi32ELi64ELi256ELb1ELi9EL8MFMAType1EEvPKT_PKT0_S9_ifPKiSB_SB_iPKfiiiPfSE_PS4_PT2_iSD_SD_
		.amdhsa_group_segment_fixed_size 17472
		.amdhsa_private_segment_fixed_size 0
		.amdhsa_kernarg_size 400
		.amdhsa_user_sgpr_count 13
		.amdhsa_user_sgpr_dispatch_ptr 0
		.amdhsa_user_sgpr_queue_ptr 0
		.amdhsa_user_sgpr_kernarg_segment_ptr 1
		.amdhsa_user_sgpr_dispatch_id 0
		.amdhsa_user_sgpr_private_segment_size 0
		.amdhsa_wavefront_size32 1
		.amdhsa_uses_dynamic_stack 0
		.amdhsa_enable_private_segment 0
		.amdhsa_system_sgpr_workgroup_id_x 1
		.amdhsa_system_sgpr_workgroup_id_y 1
		.amdhsa_system_sgpr_workgroup_id_z 1
		.amdhsa_system_sgpr_workgroup_info 0
		.amdhsa_system_vgpr_workitem_id 0
		.amdhsa_next_free_vgpr 124
		.amdhsa_next_free_sgpr 42
		.amdhsa_reserve_vcc 1
		.amdhsa_float_round_mode_32 0
		.amdhsa_float_round_mode_16_64 0
		.amdhsa_float_denorm_mode_32 3
		.amdhsa_float_denorm_mode_16_64 3
		.amdhsa_dx10_clamp 1
		.amdhsa_ieee_mode 1
		.amdhsa_fp16_overflow 0
		.amdhsa_workgroup_processor_mode 1
		.amdhsa_memory_ordered 1
		.amdhsa_forward_progress 0
		.amdhsa_shared_vgpr_count 0
		.amdhsa_exception_fp_ieee_invalid_op 0
		.amdhsa_exception_fp_denorm_src 0
		.amdhsa_exception_fp_ieee_div_zero 0
		.amdhsa_exception_fp_ieee_overflow 0
		.amdhsa_exception_fp_ieee_underflow 0
		.amdhsa_exception_fp_ieee_inexact 0
		.amdhsa_exception_int_div_zero 0
	.end_amdhsa_kernel
	.section	.text._Z39paged_attention_ll4mi_QKV_mfma16_kernelI14__hip_bfloat16hLN4vllm18Fp8KVCacheDataTypeE1EhLi32ELi64ELi256ELb1ELi9EL8MFMAType1EEvPKT_PKT0_S9_ifPKiSB_SB_iPKfiiiPfSE_PS4_PT2_iSD_SD_,"axG",@progbits,_Z39paged_attention_ll4mi_QKV_mfma16_kernelI14__hip_bfloat16hLN4vllm18Fp8KVCacheDataTypeE1EhLi32ELi64ELi256ELb1ELi9EL8MFMAType1EEvPKT_PKT0_S9_ifPKiSB_SB_iPKfiiiPfSE_PS4_PT2_iSD_SD_,comdat
.Lfunc_end1434:
	.size	_Z39paged_attention_ll4mi_QKV_mfma16_kernelI14__hip_bfloat16hLN4vllm18Fp8KVCacheDataTypeE1EhLi32ELi64ELi256ELb1ELi9EL8MFMAType1EEvPKT_PKT0_S9_ifPKiSB_SB_iPKfiiiPfSE_PS4_PT2_iSD_SD_, .Lfunc_end1434-_Z39paged_attention_ll4mi_QKV_mfma16_kernelI14__hip_bfloat16hLN4vllm18Fp8KVCacheDataTypeE1EhLi32ELi64ELi256ELb1ELi9EL8MFMAType1EEvPKT_PKT0_S9_ifPKiSB_SB_iPKfiiiPfSE_PS4_PT2_iSD_SD_
                                        ; -- End function
	.section	.AMDGPU.csdata,"",@progbits
; Kernel info:
; codeLenInByte = 8856
; NumSgprs: 44
; NumVgprs: 124
; ScratchSize: 0
; MemoryBound: 0
; FloatMode: 240
; IeeeMode: 1
; LDSByteSize: 17472 bytes/workgroup (compile time only)
; SGPRBlocks: 5
; VGPRBlocks: 15
; NumSGPRsForWavesPerEU: 44
; NumVGPRsForWavesPerEU: 124
; Occupancy: 10
; WaveLimiterHint : 1
; COMPUTE_PGM_RSRC2:SCRATCH_EN: 0
; COMPUTE_PGM_RSRC2:USER_SGPR: 13
; COMPUTE_PGM_RSRC2:TRAP_HANDLER: 0
; COMPUTE_PGM_RSRC2:TGID_X_EN: 1
; COMPUTE_PGM_RSRC2:TGID_Y_EN: 1
; COMPUTE_PGM_RSRC2:TGID_Z_EN: 1
; COMPUTE_PGM_RSRC2:TIDIG_COMP_CNT: 0
	.section	.text._Z39paged_attention_ll4mi_QKV_mfma16_kernelI14__hip_bfloat16hLN4vllm18Fp8KVCacheDataTypeE1EhLi32ELi64ELi256ELb1ELi10EL8MFMAType1EEvPKT_PKT0_S9_ifPKiSB_SB_iPKfiiiPfSE_PS4_PT2_iSD_SD_,"axG",@progbits,_Z39paged_attention_ll4mi_QKV_mfma16_kernelI14__hip_bfloat16hLN4vllm18Fp8KVCacheDataTypeE1EhLi32ELi64ELi256ELb1ELi10EL8MFMAType1EEvPKT_PKT0_S9_ifPKiSB_SB_iPKfiiiPfSE_PS4_PT2_iSD_SD_,comdat
	.protected	_Z39paged_attention_ll4mi_QKV_mfma16_kernelI14__hip_bfloat16hLN4vllm18Fp8KVCacheDataTypeE1EhLi32ELi64ELi256ELb1ELi10EL8MFMAType1EEvPKT_PKT0_S9_ifPKiSB_SB_iPKfiiiPfSE_PS4_PT2_iSD_SD_ ; -- Begin function _Z39paged_attention_ll4mi_QKV_mfma16_kernelI14__hip_bfloat16hLN4vllm18Fp8KVCacheDataTypeE1EhLi32ELi64ELi256ELb1ELi10EL8MFMAType1EEvPKT_PKT0_S9_ifPKiSB_SB_iPKfiiiPfSE_PS4_PT2_iSD_SD_
	.globl	_Z39paged_attention_ll4mi_QKV_mfma16_kernelI14__hip_bfloat16hLN4vllm18Fp8KVCacheDataTypeE1EhLi32ELi64ELi256ELb1ELi10EL8MFMAType1EEvPKT_PKT0_S9_ifPKiSB_SB_iPKfiiiPfSE_PS4_PT2_iSD_SD_
	.p2align	8
	.type	_Z39paged_attention_ll4mi_QKV_mfma16_kernelI14__hip_bfloat16hLN4vllm18Fp8KVCacheDataTypeE1EhLi32ELi64ELi256ELb1ELi10EL8MFMAType1EEvPKT_PKT0_S9_ifPKiSB_SB_iPKfiiiPfSE_PS4_PT2_iSD_SD_,@function
_Z39paged_attention_ll4mi_QKV_mfma16_kernelI14__hip_bfloat16hLN4vllm18Fp8KVCacheDataTypeE1EhLi32ELi64ELi256ELb1ELi10EL8MFMAType1EEvPKT_PKT0_S9_ifPKiSB_SB_iPKfiiiPfSE_PS4_PT2_iSD_SD_: ; @_Z39paged_attention_ll4mi_QKV_mfma16_kernelI14__hip_bfloat16hLN4vllm18Fp8KVCacheDataTypeE1EhLi32ELi64ELi256ELb1ELi10EL8MFMAType1EEvPKT_PKT0_S9_ifPKiSB_SB_iPKfiiiPfSE_PS4_PT2_iSD_SD_
; %bb.0:
	s_load_b64 s[2:3], s[0:1], 0x30
	s_mov_b32 s30, s13
	s_waitcnt lgkmcnt(0)
	s_cmp_lg_u64 s[2:3], 0
	s_cselect_b32 s8, -1, 0
	s_ashr_i32 s31, s13, 31
	s_cmp_eq_u64 s[2:3], 0
	s_cbranch_scc1 .LBB1435_3
; %bb.1:
	s_lshl_b64 s[4:5], s[30:31], 2
	s_delay_alu instid0(SALU_CYCLE_1) | instskip(SKIP_4) | instid1(SALU_CYCLE_1)
	s_add_u32 s4, s2, s4
	s_addc_u32 s5, s3, s5
	s_load_b64 s[4:5], s[4:5], 0x0
	s_waitcnt lgkmcnt(0)
	s_sub_i32 s4, s5, s4
	s_cmp_eq_u32 s4, 1
	s_cselect_b32 s4, -1, 0
	s_delay_alu instid0(SALU_CYCLE_1)
	s_and_not1_b32 vcc_lo, exec_lo, s4
	s_cbranch_vccz .LBB1435_4
.LBB1435_2:
	s_endpgm
.LBB1435_3:
.LBB1435_4:
	s_load_b64 s[4:5], s[0:1], 0x28
	s_lshl_b64 s[6:7], s[30:31], 2
	s_waitcnt lgkmcnt(0)
	s_add_u32 s4, s4, s6
	s_addc_u32 s5, s5, s7
	s_lshl_b32 s12, s14, 8
	s_load_b32 s24, s[4:5], 0x0
	s_waitcnt lgkmcnt(0)
	s_cmp_ge_i32 s12, s24
	s_cbranch_scc1 .LBB1435_2
; %bb.5:
	s_clause 0x1
	s_load_b128 s[20:23], s[0:1], 0x8
	s_load_b64 s[4:5], s[0:1], 0x20
	s_and_not1_b32 vcc_lo, exec_lo, s8
	s_cbranch_vccnz .LBB1435_7
; %bb.6:
	s_add_u32 s2, s2, s6
	s_addc_u32 s3, s3, s7
	s_load_b32 s3, s[2:3], 0x0
	s_branch .LBB1435_8
.LBB1435_7:
	s_mov_b32 s3, s30
.LBB1435_8:
	s_load_b128 s[16:19], s[0:1], 0x48
	v_and_b32_e32 v65, 15, v0
	v_cmp_gt_u32_e32 vcc_lo, 0xa0, v0
	v_lshrrev_b32_e32 v66, 5, v0
	v_and_b32_e32 v67, 31, v0
	v_and_b32_e32 v75, 1, v0
	v_lshlrev_b32_e32 v1, 3, v65
	v_cmp_gt_u32_e64 s2, 8, v65
	v_bfe_u32 v74, v0, 4, 1
	s_mul_i32 s31, s15, 10
	s_delay_alu instid0(VALU_DEP_3) | instskip(NEXT) | instid1(VALU_DEP_3)
	v_lshlrev_b32_e32 v73, 1, v1
	s_and_b32 s7, vcc_lo, s2
	s_delay_alu instid0(SALU_CYCLE_1)
	s_and_saveexec_b32 s6, s7
	s_cbranch_execz .LBB1435_10
; %bb.9:
	s_load_b64 s[8:9], s[0:1], 0x0
	v_lshl_or_b32 v5, v66, 1, v74
	s_waitcnt lgkmcnt(0)
	s_mul_hi_i32 s11, s3, s16
	s_mul_i32 s10, s3, s16
	v_lshlrev_b32_e32 v6, 10, v65
	s_lshl_b64 s[10:11], s[10:11], 1
	v_add_lshl_u32 v1, v5, s31, 6
	v_lshlrev_b32_e32 v5, 6, v5
	v_lshlrev_b32_e32 v7, 10, v75
	v_and_b32_e32 v6, 0x3800, v6
	s_delay_alu instid0(VALU_DEP_4) | instskip(NEXT) | instid1(VALU_DEP_2)
	v_ashrrev_i32_e32 v2, 31, v1
	v_or3_b32 v5, v6, v7, v5
	s_delay_alu instid0(VALU_DEP_2) | instskip(SKIP_2) | instid1(VALU_DEP_1)
	v_lshlrev_b64 v[1:2], 1, v[1:2]
	s_add_u32 s3, s8, s10
	s_addc_u32 s7, s9, s11
	v_add_co_u32 v1, vcc_lo, s3, v1
	s_delay_alu instid0(VALU_DEP_2) | instskip(NEXT) | instid1(VALU_DEP_2)
	v_add_co_ci_u32_e32 v2, vcc_lo, s7, v2, vcc_lo
	v_add_co_u32 v1, vcc_lo, v1, v73
	s_delay_alu instid0(VALU_DEP_2)
	v_add_co_ci_u32_e32 v2, vcc_lo, 0, v2, vcc_lo
	global_load_b128 v[1:4], v[1:2], off
	s_waitcnt vmcnt(0)
	ds_store_b128 v5, v[1:4]
.LBB1435_10:
	s_or_b32 exec_lo, exec_lo, s6
	v_and_b32_e32 v1, 0xef, v0
	s_waitcnt lgkmcnt(0)
	s_add_i32 s3, s24, 31
	s_clause 0x1
	s_load_b32 s6, s[0:1], 0x38
	s_load_b32 s19, s[0:1], 0x1c
	s_ashr_i32 s7, s3, 31
	v_add_nc_u32_e32 v1, s12, v1
	s_lshr_b32 s7, s7, 27
	s_waitcnt lgkmcnt(0)
	s_add_i32 s3, s3, s7
	s_barrier
	v_ashrrev_i32_e32 v2, 31, v1
	v_or_b32_e32 v3, 16, v1
	s_ashr_i32 s3, s3, 5
	v_cmp_gt_i32_e32 vcc_lo, s24, v1
	s_add_i32 s3, s3, -1
	v_lshrrev_b32_e32 v2, 27, v2
	buffer_gl0_inv
	s_mul_i32 s27, s15, s18
	v_add_nc_u32_e32 v4, v1, v2
	s_mul_i32 s6, s30, s6
	s_delay_alu instid0(SALU_CYCLE_1) | instskip(NEXT) | instid1(VALU_DEP_1)
	s_ashr_i32 s7, s6, 31
	v_ashrrev_i32_e32 v4, 5, v4
	v_add_nc_u32_e32 v2, v3, v2
	s_lshl_b64 s[6:7], s[6:7], 2
	s_delay_alu instid0(SALU_CYCLE_1) | instskip(NEXT) | instid1(VALU_DEP_2)
	s_add_u32 s26, s4, s6
	v_cndmask_b32_e32 v1, s3, v4, vcc_lo
	s_delay_alu instid0(VALU_DEP_2)
	v_ashrrev_i32_e32 v2, 5, v2
	v_cmp_gt_i32_e32 vcc_lo, s24, v3
	s_addc_u32 s25, s5, s7
	s_ashr_i32 s28, s27, 31
	s_add_u32 s4, s20, s27
	s_addc_u32 s5, s21, s28
	v_cndmask_b32_e32 v3, s3, v2, vcc_lo
	v_ashrrev_i32_e32 v2, 31, v1
	s_lshl_b32 s6, s14, 3
	s_delay_alu instid0(SALU_CYCLE_1) | instskip(NEXT) | instid1(VALU_DEP_2)
	s_ashr_i32 s7, s6, 31
	v_ashrrev_i32_e32 v4, 31, v3
	s_delay_alu instid0(VALU_DEP_2) | instskip(SKIP_1) | instid1(SALU_CYCLE_1)
	v_lshlrev_b64 v[1:2], 2, v[1:2]
	s_lshl_b64 s[6:7], s[6:7], 2
	s_add_u32 s6, s26, s6
	s_delay_alu instid0(VALU_DEP_2) | instskip(SKIP_1) | instid1(VALU_DEP_2)
	v_lshlrev_b64 v[3:4], 2, v[3:4]
	s_addc_u32 s7, s25, s7
	v_add_co_u32 v1, vcc_lo, s26, v1
	v_add_co_ci_u32_e32 v2, vcc_lo, s25, v2, vcc_lo
	s_delay_alu instid0(VALU_DEP_3) | instskip(NEXT) | instid1(VALU_DEP_4)
	v_add_co_u32 v3, vcc_lo, s26, v3
	v_add_co_ci_u32_e32 v4, vcc_lo, s25, v4, vcc_lo
	s_clause 0x1
	global_load_b32 v5, v[1:2], off
	global_load_b32 v6, v[3:4], off
	s_or_b32 s8, s12, 32
	s_delay_alu instid0(SALU_CYCLE_1) | instskip(SKIP_2) | instid1(SALU_CYCLE_1)
	s_ashr_i32 s9, s8, 5
	s_cmp_lt_i32 s8, s24
	s_cselect_b32 s8, s9, s3
	s_ashr_i32 s9, s8, 31
	s_delay_alu instid0(SALU_CYCLE_1) | instskip(NEXT) | instid1(SALU_CYCLE_1)
	s_lshl_b64 s[8:9], s[8:9], 2
	s_add_u32 s8, s26, s8
	s_addc_u32 s9, s25, s9
	s_or_b32 s10, s12, 64
	s_delay_alu instid0(SALU_CYCLE_1) | instskip(SKIP_2) | instid1(SALU_CYCLE_1)
	s_ashr_i32 s11, s10, 5
	s_cmp_lt_i32 s10, s24
	s_cselect_b32 s10, s11, s3
	s_ashr_i32 s11, s10, 31
	s_delay_alu instid0(SALU_CYCLE_1) | instskip(NEXT) | instid1(SALU_CYCLE_1)
	s_lshl_b64 s[10:11], s[10:11], 2
	s_add_u32 s10, s26, s10
	s_addc_u32 s11, s25, s11
	;; [unrolled: 10-line block ×5, first 2 shown]
	s_clause 0x5
	s_load_b32 s21, s[6:7], 0x0
	s_load_b32 s13, s[8:9], 0x0
	;; [unrolled: 1-line block ×6, first 2 shown]
	s_or_b32 s8, s12, 0xc0
	s_delay_alu instid0(SALU_CYCLE_1) | instskip(SKIP_2) | instid1(SALU_CYCLE_1)
	s_ashr_i32 s9, s8, 5
	s_cmp_lt_i32 s8, s24
	s_cselect_b32 s34, s9, s3
	s_ashr_i32 s35, s34, 31
	s_delay_alu instid0(SALU_CYCLE_1) | instskip(NEXT) | instid1(SALU_CYCLE_1)
	s_lshl_b64 s[34:35], s[34:35], 2
	s_add_u32 s34, s26, s34
	s_addc_u32 s35, s25, s35
	s_or_b32 s29, s12, 0xe0
	s_delay_alu instid0(SALU_CYCLE_1)
	s_ashr_i32 s33, s29, 5
	s_cmp_lt_i32 s29, s24
	s_waitcnt vmcnt(1)
	v_mad_i64_i32 v[1:2], null, v5, s17, s[4:5]
	s_waitcnt vmcnt(0)
	v_mad_i64_i32 v[3:4], null, v6, s17, s[4:5]
	s_mov_b32 s4, 0
	s_delay_alu instid0(SALU_CYCLE_1)
	s_mov_b32 s5, s4
	s_mov_b32 s6, s4
	;; [unrolled: 1-line block ×7, first 2 shown]
	v_lshlrev_b32_e32 v5, 4, v65
	v_dual_mov_b32 v107, s11 :: v_dual_mov_b32 v102, s6
	v_mov_b32_e32 v100, s4
	v_mov_b32_e32 v106, s10
	s_delay_alu instid0(VALU_DEP_4)
	v_add_co_u32 v1, vcc_lo, v1, v5
	v_add_co_ci_u32_e32 v2, vcc_lo, 0, v2, vcc_lo
	v_add_co_u32 v3, vcc_lo, v3, v5
	v_add_co_ci_u32_e32 v4, vcc_lo, 0, v4, vcc_lo
	s_clause 0x7
	global_load_b128 v[49:52], v[1:2], off
	global_load_b128 v[53:56], v[1:2], off offset:512
	global_load_b128 v[76:79], v[3:4], off offset:256
	;; [unrolled: 1-line block ×7, first 2 shown]
	v_add_nc_u32_e32 v1, -10, v65
	v_cmp_gt_u32_e32 vcc_lo, 10, v65
	v_dual_mov_b32 v104, s8 :: v_dual_mov_b32 v103, s7
	v_dual_mov_b32 v101, s5 :: v_dual_lshlrev_b32 v2, 5, v65
	s_delay_alu instid0(VALU_DEP_4)
	v_cndmask_b32_e32 v1, v1, v65, vcc_lo
	v_mov_b32_e32 v105, s9
	s_cselect_b32 s4, s33, s3
	s_load_b32 s3, s[34:35], 0x0
	s_ashr_i32 s5, s4, 31
	v_lshlrev_b32_e32 v70, 6, v1
	s_lshl_b64 s[4:5], s[4:5], 2
	v_lshl_or_b32 v2, v66, 9, v2
	s_add_u32 s4, s26, s4
	s_addc_u32 s5, s25, s5
	ds_load_b128 v[108:111], v70
	ds_load_b128 v[112:115], v70 offset:1024
	s_load_b32 s4, s[4:5], 0x0
	s_add_u32 s6, s22, s27
	s_addc_u32 s7, s23, s28
	v_add_co_u32 v9, s6, s6, v2
	s_delay_alu instid0(VALU_DEP_1) | instskip(SKIP_1) | instid1(VALU_DEP_1)
	v_add_co_ci_u32_e64 v10, null, s7, 0, s6
	s_waitcnt lgkmcnt(0)
	v_mad_i64_i32 v[1:2], null, s21, s17, v[9:10]
	v_mad_i64_i32 v[3:4], null, s13, s17, v[9:10]
	;; [unrolled: 1-line block ×7, first 2 shown]
	s_clause 0x9
	global_load_b128 v[57:60], v[1:2], off
	global_load_b128 v[61:64], v[1:2], off offset:16
	global_load_b128 v[41:44], v[3:4], off
	global_load_b128 v[45:48], v[3:4], off offset:16
	;; [unrolled: 2-line block ×5, first 2 shown]
	v_mad_i64_i32 v[68:69], null, s4, s17, v[9:10]
	s_clause 0x3
	global_load_b128 v[9:12], v[13:14], off
	global_load_b128 v[13:16], v[13:14], off offset:16
	global_load_b128 v[17:20], v[21:22], off
	global_load_b128 v[21:24], v[21:22], off offset:16
	s_waitcnt vmcnt(20)
	v_wmma_f32_16x16x16_bf16 v[116:123], v[49:56], v[108:115], v[100:107]
	s_clause 0x1
	global_load_b128 v[49:52], v[68:69], off
	global_load_b128 v[53:56], v[68:69], off offset:16
	v_and_b32_e32 v68, 0xe0, v0
	v_mbcnt_lo_u32_b32 v69, -1, 0
	s_delay_alu instid0(VALU_DEP_2)
	v_add_nc_u32_e32 v68, s12, v68
	s_waitcnt vmcnt(20)
	v_wmma_f32_16x16x16_bf16 v[100:107], v[76:83], v[108:115], v[100:107]
	ds_load_b128 v[76:79], v70 offset:2048
	ds_load_b128 v[80:83], v70 offset:3072
	v_xor_b32_e32 v70, 16, v69
	s_waitcnt vmcnt(0) lgkmcnt(0)
	v_or_b32_e32 v68, v68, v74
	s_barrier
	buffer_gl0_inv
	v_cmp_gt_i32_e32 vcc_lo, 32, v70
	v_or_b32_e32 v71, 4, v68
	v_or_b32_e32 v72, 6, v68
	v_cmp_gt_i32_e64 s3, s24, v68
	v_or_b32_e32 v108, 8, v68
	v_or_b32_e32 v109, 10, v68
	v_cmp_gt_i32_e64 s4, s24, v71
	v_cmp_gt_i32_e64 s5, s24, v72
	s_delay_alu instid0(VALU_DEP_4) | instskip(NEXT) | instid1(VALU_DEP_4)
	v_cmp_gt_i32_e64 s6, s24, v108
	v_cmp_gt_i32_e64 s7, s24, v109
	v_wmma_f32_16x16x16_bf16 v[116:123], v[84:91], v[76:83], v[116:123]
	v_cndmask_b32_e32 v69, v69, v70, vcc_lo
	v_or_b32_e32 v70, 2, v68
	v_wmma_f32_16x16x16_bf16 v[100:107], v[92:99], v[76:83], v[100:107]
	v_or_b32_e32 v89, 22, v68
	v_dual_mul_f32 v80, s19, v121 :: v_dual_mul_f32 v81, s19, v120
	v_dual_mul_f32 v92, s19, v117 :: v_dual_mul_f32 v93, s19, v116
	s_delay_alu instid0(VALU_DEP_4)
	v_mul_f32_e32 v96, s19, v105
	v_cmp_gt_i32_e32 vcc_lo, s24, v70
	v_dual_mul_f32 v79, s19, v122 :: v_dual_mul_f32 v82, s19, v119
	v_dual_mul_f32 v83, s19, v118 :: v_dual_mul_f32 v94, s19, v107
	v_cndmask_b32_e64 v93, 0xff7fffff, v93, s3
	v_cndmask_b32_e32 v92, 0xff7fffff, v92, vcc_lo
	v_or_b32_e32 v84, 12, v68
	v_or_b32_e32 v85, 14, v68
	v_cndmask_b32_e64 v71, 0xff7fffff, v83, s4
	v_cndmask_b32_e64 v72, 0xff7fffff, v82, s5
	v_cmp_gt_i32_e64 s13, s24, v89
	v_lshlrev_b32_e32 v89, 2, v69
	v_max3_f32 v82, v93, 0xff7fffff, v92
	v_or_b32_e32 v86, 16, v68
	v_or_b32_e32 v87, 18, v68
	v_mul_f32_e32 v78, s19, v123
	v_cndmask_b32_e64 v81, 0xff7fffff, v81, s6
	v_cndmask_b32_e64 v80, 0xff7fffff, v80, s7
	v_max3_f32 v71, v82, v71, v72
	v_cmp_gt_i32_e64 s8, s24, v84
	v_cmp_gt_i32_e64 s9, s24, v85
	v_or_b32_e32 v88, 20, v68
	v_or_b32_e32 v90, 24, v68
	;; [unrolled: 1-line block ×5, first 2 shown]
	v_dual_mul_f32 v97, s19, v104 :: v_dual_mul_f32 v70, s19, v101
	v_dual_mul_f32 v99, s19, v102 :: v_dual_mul_f32 v68, s19, v100
	v_cndmask_b32_e64 v72, 0xff7fffff, v79, s8
	v_cndmask_b32_e64 v78, 0xff7fffff, v78, s9
	v_max3_f32 v71, v71, v81, v80
	v_cmp_gt_i32_e64 s10, s24, v86
	v_cmp_gt_i32_e64 s11, s24, v87
	v_dual_mul_f32 v95, s19, v106 :: v_dual_mul_f32 v98, s19, v103
	s_delay_alu instid0(VALU_DEP_4) | instskip(NEXT) | instid1(VALU_DEP_4)
	v_max3_f32 v71, v71, v72, v78
	v_cndmask_b32_e64 v68, 0xff7fffff, v68, s10
	s_delay_alu instid0(VALU_DEP_4)
	v_cndmask_b32_e64 v70, 0xff7fffff, v70, s11
	v_cmp_gt_i32_e64 s12, s24, v88
	v_cndmask_b32_e64 v78, 0xff7fffff, v98, s13
	v_cmp_gt_i32_e64 s15, s24, v90
	v_cmp_gt_i32_e64 s16, s24, v91
	v_max3_f32 v68, v71, v68, v70
	v_cndmask_b32_e64 v72, 0xff7fffff, v99, s12
	v_cmp_gt_i32_e64 s17, s24, v76
	v_cndmask_b32_e64 v70, 0xff7fffff, v97, s15
	v_cndmask_b32_e64 v71, 0xff7fffff, v96, s16
	v_cmp_gt_i32_e64 s18, s24, v77
	v_max3_f32 v68, v68, v72, v78
	v_cndmask_b32_e64 v72, 0xff7fffff, v95, s17
	s_delay_alu instid0(VALU_DEP_3) | instskip(NEXT) | instid1(VALU_DEP_3)
	v_cndmask_b32_e64 v76, 0xff7fffff, v94, s18
	v_max3_f32 v68, v68, v70, v71
	s_delay_alu instid0(VALU_DEP_1) | instskip(SKIP_3) | instid1(VALU_DEP_1)
	v_max3_f32 v68, v68, v72, v76
	ds_bpermute_b32 v69, v89, v68
	s_waitcnt lgkmcnt(0)
	v_max_f32_e32 v69, v69, v69
	v_max_f32_e32 v68, v68, v69
	s_delay_alu instid0(VALU_DEP_1) | instskip(NEXT) | instid1(VALU_DEP_1)
	v_fma_f32 v71, s19, v118, -v68
	v_mul_f32_e32 v71, 0x3fb8aa3b, v71
	v_fma_f32 v70, s19, v117, -v68
	v_fma_f32 v69, s19, v116, -v68
	;; [unrolled: 1-line block ×5, first 2 shown]
	s_delay_alu instid0(VALU_DEP_4) | instskip(SKIP_1) | instid1(VALU_DEP_3)
	v_dual_mul_f32 v70, 0x3fb8aa3b, v70 :: v_dual_mul_f32 v69, 0x3fb8aa3b, v69
	v_exp_f32_e32 v71, v71
	v_mul_f32_e32 v72, 0x3fb8aa3b, v72
	v_fma_f32 v81, s19, v105, -v68
	s_delay_alu instid0(VALU_DEP_3)
	v_exp_f32_e32 v70, v70
	v_mul_f32_e32 v77, 0x3fb8aa3b, v76
	v_exp_f32_e32 v69, v69
	v_exp_f32_e32 v72, v72
	v_mul_f32_e32 v81, 0x3fb8aa3b, v81
	v_cndmask_b32_e64 v83, 0, v71, s4
	v_fma_f32 v71, s19, v123, -v68
	s_delay_alu instid0(VALU_DEP_3) | instskip(SKIP_4) | instid1(TRANS32_DEP_3)
	v_exp_f32_e32 v81, v81
	v_cndmask_b32_e32 v76, 0, v70, vcc_lo
	v_exp_f32_e32 v77, v77
	v_cndmask_b32_e64 v80, 0, v69, s3
	v_fma_f32 v69, s19, v121, -v68
	v_cndmask_b32_e64 v85, 0, v72, s5
	v_mul_f32_e32 v71, 0x3fb8aa3b, v71
	v_fma_f32 v72, s19, v100, -v68
	s_delay_alu instid0(VALU_DEP_4) | instskip(SKIP_1) | instid1(VALU_DEP_3)
	v_dual_add_f32 v70, 0, v80 :: v_dual_mul_f32 v69, 0x3fb8aa3b, v69
	s_mov_b32 s3, exec_lo
	v_exp_f32_e32 v71, v71
	s_delay_alu instid0(TRANS32_DEP_2) | instskip(SKIP_4) | instid1(VALU_DEP_3)
	v_cndmask_b32_e64 v86, 0, v77, s6
	v_fma_f32 v77, s19, v101, -v68
	v_mul_f32_e32 v78, 0x3fb8aa3b, v78
	v_add_f32_e32 v70, v70, v76
	v_exp_f32_e32 v69, v69
	v_mul_f32_e32 v77, 0x3fb8aa3b, v77
	s_delay_alu instid0(VALU_DEP_3) | instskip(NEXT) | instid1(TRANS32_DEP_3)
	v_exp_f32_e32 v78, v78
	v_cndmask_b32_e64 v88, 0, v71, s9
	v_fma_f32 v71, s19, v104, -v68
	s_delay_alu instid0(VALU_DEP_3) | instskip(NEXT) | instid1(TRANS32_DEP_3)
	v_exp_f32_e32 v77, v77
	v_cndmask_b32_e64 v87, 0, v69, s7
	s_delay_alu instid0(VALU_DEP_2)
	v_mul_f32_e32 v71, 0x3fb8aa3b, v71
	s_waitcnt_depctr 0xfff
	v_cndmask_b32_e64 v84, 0, v78, s8
	v_add_f32_e32 v70, v70, v83
	v_fma_f32 v78, s19, v103, -v68
	v_exp_f32_e32 v82, v71
	s_delay_alu instid0(VALU_DEP_2) | instskip(SKIP_1) | instid1(VALU_DEP_3)
	v_add_f32_e32 v70, v70, v85
	v_mul_f32_e32 v72, 0x3fb8aa3b, v72
	v_mul_f32_e32 v78, 0x3fb8aa3b, v78
	s_delay_alu instid0(VALU_DEP_3) | instskip(SKIP_1) | instid1(VALU_DEP_4)
	v_add_f32_e32 v69, v70, v86
	v_fma_f32 v70, s19, v102, -v68
	v_exp_f32_e32 v72, v72
	s_delay_alu instid0(VALU_DEP_3) | instskip(NEXT) | instid1(VALU_DEP_1)
	v_exp_f32_e32 v78, v78
	v_dual_add_f32 v69, v69, v87 :: v_dual_mul_f32 v70, 0x3fb8aa3b, v70
	s_delay_alu instid0(VALU_DEP_1) | instskip(NEXT) | instid1(VALU_DEP_2)
	v_add_f32_e32 v69, v69, v84
	v_exp_f32_e32 v79, v70
	s_delay_alu instid0(TRANS32_DEP_3) | instskip(NEXT) | instid1(VALU_DEP_2)
	v_cndmask_b32_e64 v70, 0, v72, s10
	v_add_f32_e32 v72, v69, v88
	v_cndmask_b32_e64 v69, 0, v77, s11
	v_fma_f32 v77, s19, v106, -v68
	s_waitcnt_depctr 0xfff
	v_cndmask_b32_e64 v71, 0, v79, s12
	v_dual_mul_f32 v77, 0x3fb8aa3b, v77 :: v_dual_add_f32 v72, v72, v70
	s_delay_alu instid0(VALU_DEP_1) | instskip(NEXT) | instid1(VALU_DEP_1)
	v_exp_f32_e32 v90, v77
	v_add_f32_e32 v79, v72, v69
	v_cndmask_b32_e64 v72, 0, v78, s13
	v_cndmask_b32_e64 v77, 0, v82, s15
	s_delay_alu instid0(VALU_DEP_3) | instskip(SKIP_1) | instid1(VALU_DEP_1)
	v_add_f32_e32 v78, v79, v71
	v_fma_f32 v79, s19, v107, -v68
	v_dual_add_f32 v82, v78, v72 :: v_dual_mul_f32 v79, 0x3fb8aa3b, v79
	v_cndmask_b32_e64 v78, 0, v81, s16
	s_delay_alu instid0(VALU_DEP_2) | instskip(NEXT) | instid1(VALU_DEP_3)
	v_add_f32_e32 v81, v82, v77
	v_exp_f32_e32 v82, v79
	v_cndmask_b32_e64 v79, 0, v90, s17
	s_delay_alu instid0(VALU_DEP_2) | instskip(NEXT) | instid1(VALU_DEP_1)
	v_add_f32_e32 v81, v81, v78
	v_add_f32_e32 v90, v81, v79
	s_waitcnt_depctr 0xfff
	v_cndmask_b32_e64 v81, 0, v82, s18
	s_delay_alu instid0(VALU_DEP_1)
	v_add_f32_e32 v82, v90, v81
	ds_bpermute_b32 v89, v89, v82
	v_cmpx_gt_u32_e32 16, v67
	s_cbranch_execz .LBB1435_12
; %bb.11:
	v_mul_u32_u24_e32 v67, 0x44, v66
	s_delay_alu instid0(VALU_DEP_1) | instskip(SKIP_1) | instid1(VALU_DEP_1)
	v_lshl_add_u32 v67, v65, 2, v67
	s_waitcnt lgkmcnt(0)
	v_dual_add_f32 v82, v82, v89 :: v_dual_add_nc_u32 v67, 0x4000, v67
	ds_store_2addr_b32 v67, v68, v82 offset1:136
.LBB1435_12:
	s_or_b32 exec_lo, exec_lo, s3
	v_lshlrev_b32_e32 v67, 2, v65
	s_waitcnt lgkmcnt(0)
	s_barrier
	buffer_gl0_inv
	v_cmp_eq_u32_e32 vcc_lo, 1, v66
	v_add_nc_u32_e32 v82, 0x4000, v67
	v_cmp_eq_u32_e64 s3, 2, v66
	v_cmp_eq_u32_e64 s5, 7, v66
	ds_load_2addr_b32 v[89:90], v82 offset1:17
	ds_load_2addr_b32 v[91:92], v82 offset0:34 offset1:51
	ds_load_2addr_b32 v[93:94], v82 offset0:68 offset1:85
	;; [unrolled: 1-line block ×4, first 2 shown]
	s_waitcnt lgkmcnt(4)
	v_max3_f32 v67, v89, 0xff7fffff, v90
	s_waitcnt lgkmcnt(3)
	s_delay_alu instid0(VALU_DEP_1) | instskip(SKIP_1) | instid1(VALU_DEP_1)
	v_max3_f32 v67, v67, v91, v92
	s_waitcnt lgkmcnt(2)
	v_max3_f32 v67, v67, v93, v94
	s_waitcnt lgkmcnt(1)
	s_delay_alu instid0(VALU_DEP_1) | instskip(NEXT) | instid1(VALU_DEP_1)
	v_max3_f32 v67, v67, v95, v96
	v_sub_f32_e32 v93, v93, v67
	s_delay_alu instid0(VALU_DEP_1) | instskip(NEXT) | instid1(VALU_DEP_1)
	v_dual_sub_f32 v68, v89, v67 :: v_dual_mul_f32 v103, 0x3fb8aa3b, v93
	v_mul_f32_e32 v68, 0x3fb8aa3b, v68
	s_delay_alu instid0(VALU_DEP_1)
	v_exp_f32_e32 v100, v68
	v_sub_f32_e32 v68, v92, v67
	v_sub_f32_e32 v99, v90, v67
	ds_load_2addr_b32 v[89:90], v82 offset0:170 offset1:187
	v_dual_mul_f32 v102, 0x3fb8aa3b, v68 :: v_dual_mul_f32 v99, 0x3fb8aa3b, v99
	s_waitcnt lgkmcnt(1)
	v_fma_f32 v68, v100, v97, 0
	s_delay_alu instid0(VALU_DEP_2) | instskip(NEXT) | instid1(VALU_DEP_2)
	v_exp_f32_e32 v102, v102
	v_exp_f32_e32 v99, v99
	s_waitcnt_depctr 0xfff
	v_fmac_f32_e32 v68, v99, v98
	v_sub_f32_e32 v91, v91, v67
	s_delay_alu instid0(VALU_DEP_1)
	v_mul_f32_e32 v101, 0x3fb8aa3b, v91
	ds_load_2addr_b32 v[91:92], v82 offset0:204 offset1:221
	v_sub_f32_e32 v97, v94, v67
	ds_load_2addr_b32 v[93:94], v82 offset0:238 offset1:255
	s_waitcnt lgkmcnt(0)
	v_exp_f32_e32 v101, v101
	s_barrier
	buffer_gl0_inv
	v_dual_fmac_f32 v68, v101, v89 :: v_dual_sub_f32 v89, v96, v67
	v_dual_sub_f32 v82, v95, v67 :: v_dual_mul_f32 v95, 0x3fb8aa3b, v97
	v_exp_f32_e32 v97, v103
	s_delay_alu instid0(VALU_DEP_2) | instskip(NEXT) | instid1(VALU_DEP_2)
	v_dual_fmac_f32 v68, v102, v90 :: v_dual_mul_f32 v89, 0x3fb8aa3b, v89
	v_mul_f32_e32 v82, 0x3fb8aa3b, v82
	s_delay_alu instid0(VALU_DEP_3) | instskip(NEXT) | instid1(VALU_DEP_2)
	v_exp_f32_e32 v95, v95
	v_exp_f32_e32 v89, v89
	s_delay_alu instid0(VALU_DEP_1)
	v_exp_f32_e32 v82, v82
	v_fmac_f32_e32 v68, v97, v91
	s_delay_alu instid0(TRANS32_DEP_3) | instid1(VALU_DEP_1)
	v_fmac_f32_e32 v68, v95, v92
	s_waitcnt_depctr 0xfff
	v_fmac_f32_e32 v68, v82, v93
	s_delay_alu instid0(VALU_DEP_1) | instskip(NEXT) | instid1(VALU_DEP_1)
	v_fmac_f32_e32 v68, v89, v94
	v_add_f32_e32 v90, 0x358637bd, v68
	s_delay_alu instid0(VALU_DEP_1) | instskip(NEXT) | instid1(VALU_DEP_1)
	v_div_scale_f32 v91, null, v90, v90, 1.0
	v_rcp_f32_e32 v92, v91
	s_waitcnt_depctr 0xfff
	v_fma_f32 v93, -v91, v92, 1.0
	s_delay_alu instid0(VALU_DEP_1) | instskip(SKIP_1) | instid1(VALU_DEP_2)
	v_dual_fmac_f32 v92, v93, v92 :: v_dual_cndmask_b32 v93, v100, v99
	v_cmp_eq_u32_e32 vcc_lo, 3, v66
	v_cndmask_b32_e64 v93, v93, v101, s3
	v_cmp_eq_u32_e64 s3, 4, v66
	s_delay_alu instid0(VALU_DEP_2) | instskip(SKIP_1) | instid1(VALU_DEP_2)
	v_cndmask_b32_e32 v93, v93, v102, vcc_lo
	v_cmp_eq_u32_e32 vcc_lo, 5, v66
	v_cndmask_b32_e64 v93, v93, v97, s3
	v_cmp_eq_u32_e64 s3, 6, v66
	s_delay_alu instid0(VALU_DEP_2) | instskip(SKIP_1) | instid1(VALU_DEP_1)
	v_cndmask_b32_e32 v93, v93, v95, vcc_lo
	v_div_scale_f32 v94, s4, 1.0, v90, 1.0
	s_mov_b32 vcc_lo, s4
	s_delay_alu instid0(VALU_DEP_2) | instskip(NEXT) | instid1(VALU_DEP_2)
	v_cndmask_b32_e64 v82, v93, v82, s3
	v_mul_f32_e32 v96, v94, v92
	s_mov_b32 s3, exec_lo
	s_delay_alu instid0(VALU_DEP_2) | instskip(NEXT) | instid1(VALU_DEP_2)
	v_cndmask_b32_e64 v82, v82, v89, s5
	v_fma_f32 v98, -v91, v96, v94
	s_delay_alu instid0(VALU_DEP_1) | instskip(NEXT) | instid1(VALU_DEP_1)
	v_fmac_f32_e32 v96, v98, v92
	v_fma_f32 v91, -v91, v96, v94
	s_delay_alu instid0(VALU_DEP_1) | instskip(NEXT) | instid1(VALU_DEP_1)
	v_div_fmas_f32 v91, v91, v92, v96
	v_div_fixup_f32 v90, v91, v90, 1.0
	s_delay_alu instid0(VALU_DEP_1) | instskip(NEXT) | instid1(VALU_DEP_1)
	v_mul_f32_e32 v82, v82, v90
	v_mul_f32_e32 v87, v82, v87
	;; [unrolled: 1-line block ×7, first 2 shown]
	v_dual_mul_f32 v86, v82, v83 :: v_dual_and_b32 v91, 0x7f800000, v90
	v_mul_f32_e32 v85, v82, v76
                                        ; implicit-def: $vgpr76
	s_delay_alu instid0(VALU_DEP_2)
	v_cmpx_ne_u32_e32 0x7f800000, v91
	s_xor_b32 s3, exec_lo, s3
; %bb.13:
	v_bfe_u32 v76, v90, 16, 1
	s_delay_alu instid0(VALU_DEP_1)
	v_add3_u32 v76, v90, v76, 0x7fff
                                        ; implicit-def: $vgpr90
; %bb.14:
	s_and_not1_saveexec_b32 s3, s3
; %bb.15:
	v_and_b32_e32 v76, 0xffff, v90
	v_or_b32_e32 v83, 0x10000, v90
	s_delay_alu instid0(VALU_DEP_2) | instskip(NEXT) | instid1(VALU_DEP_2)
	v_cmp_eq_u32_e32 vcc_lo, 0, v76
	v_cndmask_b32_e32 v76, v83, v90, vcc_lo
; %bb.16:
	s_or_b32 exec_lo, exec_lo, s3
	v_and_b32_e32 v83, 0x7f800000, v85
	s_delay_alu instid0(VALU_DEP_1) | instskip(SKIP_1) | instid1(SALU_CYCLE_1)
	v_cmp_ne_u32_e32 vcc_lo, 0x7f800000, v83
                                        ; implicit-def: $vgpr83
	s_and_saveexec_b32 s3, vcc_lo
	s_xor_b32 s3, exec_lo, s3
; %bb.17:
	v_bfe_u32 v83, v85, 16, 1
	s_delay_alu instid0(VALU_DEP_1)
	v_add3_u32 v83, v85, v83, 0x7fff
                                        ; implicit-def: $vgpr85
; %bb.18:
	s_and_not1_saveexec_b32 s3, s3
; %bb.19:
	v_and_b32_e32 v83, 0xffff, v85
	v_or_b32_e32 v90, 0x10000, v85
	s_delay_alu instid0(VALU_DEP_2) | instskip(NEXT) | instid1(VALU_DEP_2)
	v_cmp_eq_u32_e32 vcc_lo, 0, v83
	v_cndmask_b32_e32 v83, v90, v85, vcc_lo
; %bb.20:
	s_or_b32 exec_lo, exec_lo, s3
	v_and_b32_e32 v85, 0x7f800000, v86
	s_delay_alu instid0(VALU_DEP_1) | instskip(SKIP_1) | instid1(SALU_CYCLE_1)
	v_cmp_ne_u32_e32 vcc_lo, 0x7f800000, v85
                                        ; implicit-def: $vgpr85
	s_and_saveexec_b32 s3, vcc_lo
	s_xor_b32 s3, exec_lo, s3
; %bb.21:
	v_bfe_u32 v85, v86, 16, 1
	s_delay_alu instid0(VALU_DEP_1)
	v_add3_u32 v85, v86, v85, 0x7fff
                                        ; implicit-def: $vgpr86
; %bb.22:
	s_and_not1_saveexec_b32 s3, s3
; %bb.23:
	v_and_b32_e32 v85, 0xffff, v86
	v_or_b32_e32 v90, 0x10000, v86
	s_delay_alu instid0(VALU_DEP_2) | instskip(NEXT) | instid1(VALU_DEP_2)
	v_cmp_eq_u32_e32 vcc_lo, 0, v85
	v_cndmask_b32_e32 v85, v90, v86, vcc_lo
; %bb.24:
	s_or_b32 exec_lo, exec_lo, s3
	v_and_b32_e32 v86, 0x7f800000, v89
	s_delay_alu instid0(VALU_DEP_1) | instskip(SKIP_1) | instid1(SALU_CYCLE_1)
	v_cmp_ne_u32_e32 vcc_lo, 0x7f800000, v86
                                        ; implicit-def: $vgpr86
	s_and_saveexec_b32 s3, vcc_lo
	s_xor_b32 s3, exec_lo, s3
; %bb.25:
	v_bfe_u32 v86, v89, 16, 1
	s_delay_alu instid0(VALU_DEP_1)
	v_add3_u32 v86, v89, v86, 0x7fff
                                        ; implicit-def: $vgpr89
; %bb.26:
	s_and_not1_saveexec_b32 s3, s3
; %bb.27:
	v_and_b32_e32 v86, 0xffff, v89
	v_or_b32_e32 v90, 0x10000, v89
	s_delay_alu instid0(VALU_DEP_2) | instskip(NEXT) | instid1(VALU_DEP_2)
	v_cmp_eq_u32_e32 vcc_lo, 0, v86
	v_cndmask_b32_e32 v86, v90, v89, vcc_lo
; %bb.28:
	s_or_b32 exec_lo, exec_lo, s3
	v_and_b32_e32 v89, 0x7f800000, v88
	s_delay_alu instid0(VALU_DEP_1) | instskip(SKIP_1) | instid1(SALU_CYCLE_1)
	v_cmp_ne_u32_e32 vcc_lo, 0x7f800000, v89
                                        ; implicit-def: $vgpr89
	s_and_saveexec_b32 s3, vcc_lo
	s_xor_b32 s3, exec_lo, s3
; %bb.29:
	v_bfe_u32 v89, v88, 16, 1
	s_delay_alu instid0(VALU_DEP_1)
	v_add3_u32 v89, v88, v89, 0x7fff
                                        ; implicit-def: $vgpr88
; %bb.30:
	s_and_not1_saveexec_b32 s3, s3
; %bb.31:
	v_and_b32_e32 v89, 0xffff, v88
	v_or_b32_e32 v90, 0x10000, v88
	s_delay_alu instid0(VALU_DEP_2) | instskip(NEXT) | instid1(VALU_DEP_2)
	v_cmp_eq_u32_e32 vcc_lo, 0, v89
	v_cndmask_b32_e32 v89, v90, v88, vcc_lo
; %bb.32:
	s_or_b32 exec_lo, exec_lo, s3
	v_and_b32_e32 v88, 0x7f800000, v87
	s_delay_alu instid0(VALU_DEP_1) | instskip(SKIP_1) | instid1(SALU_CYCLE_1)
	v_cmp_ne_u32_e32 vcc_lo, 0x7f800000, v88
                                        ; implicit-def: $vgpr88
	s_and_saveexec_b32 s3, vcc_lo
	s_xor_b32 s3, exec_lo, s3
; %bb.33:
	v_bfe_u32 v88, v87, 16, 1
	s_delay_alu instid0(VALU_DEP_1)
	v_add3_u32 v88, v87, v88, 0x7fff
                                        ; implicit-def: $vgpr87
; %bb.34:
	s_and_not1_saveexec_b32 s3, s3
; %bb.35:
	v_and_b32_e32 v88, 0xffff, v87
	v_or_b32_e32 v90, 0x10000, v87
	s_delay_alu instid0(VALU_DEP_2) | instskip(NEXT) | instid1(VALU_DEP_2)
	v_cmp_eq_u32_e32 vcc_lo, 0, v88
	v_cndmask_b32_e32 v88, v90, v87, vcc_lo
; %bb.36:
	s_or_b32 exec_lo, exec_lo, s3
	v_and_b32_e32 v87, 0x7f800000, v84
	s_delay_alu instid0(VALU_DEP_1) | instskip(SKIP_1) | instid1(SALU_CYCLE_1)
	v_cmp_ne_u32_e32 vcc_lo, 0x7f800000, v87
                                        ; implicit-def: $vgpr87
	s_and_saveexec_b32 s3, vcc_lo
	s_xor_b32 s3, exec_lo, s3
; %bb.37:
	v_bfe_u32 v87, v84, 16, 1
	s_delay_alu instid0(VALU_DEP_1)
	v_add3_u32 v87, v84, v87, 0x7fff
                                        ; implicit-def: $vgpr84
; %bb.38:
	s_and_not1_saveexec_b32 s3, s3
; %bb.39:
	v_and_b32_e32 v87, 0xffff, v84
	v_or_b32_e32 v90, 0x10000, v84
	s_delay_alu instid0(VALU_DEP_2) | instskip(NEXT) | instid1(VALU_DEP_2)
	v_cmp_eq_u32_e32 vcc_lo, 0, v87
	v_cndmask_b32_e32 v87, v90, v84, vcc_lo
; %bb.40:
	s_or_b32 exec_lo, exec_lo, s3
	v_and_b32_e32 v84, 0x7f800000, v80
	s_delay_alu instid0(VALU_DEP_1) | instskip(SKIP_1) | instid1(SALU_CYCLE_1)
	v_cmp_ne_u32_e32 vcc_lo, 0x7f800000, v84
                                        ; implicit-def: $vgpr84
	s_and_saveexec_b32 s3, vcc_lo
	s_xor_b32 s3, exec_lo, s3
; %bb.41:
	v_bfe_u32 v84, v80, 16, 1
	s_delay_alu instid0(VALU_DEP_1)
	v_add3_u32 v84, v80, v84, 0x7fff
                                        ; implicit-def: $vgpr80
; %bb.42:
	s_and_not1_saveexec_b32 s3, s3
; %bb.43:
	v_and_b32_e32 v84, 0xffff, v80
	v_or_b32_e32 v90, 0x10000, v80
	s_delay_alu instid0(VALU_DEP_2) | instskip(NEXT) | instid1(VALU_DEP_2)
	v_cmp_eq_u32_e32 vcc_lo, 0, v84
	v_cndmask_b32_e32 v84, v90, v80, vcc_lo
; %bb.44:
	s_or_b32 exec_lo, exec_lo, s3
	s_load_b64 s[34:35], s[0:1], 0x94
	v_lshlrev_b32_e32 v91, 4, v74
	s_delay_alu instid0(VALU_DEP_2)
	v_perm_b32 v90, v84, v87, 0x7060302
	v_dual_mul_f32 v79, v82, v79 :: v_dual_lshlrev_b32 v80, 6, v65
	v_dual_mul_f32 v77, v82, v77 :: v_dual_lshlrev_b32 v92, 11, v66
	v_mul_f32_e32 v84, v82, v70
	v_perm_b32 v89, v88, v89, 0x7060302
	v_perm_b32 v88, v86, v85, 0x7060302
	;; [unrolled: 1-line block ×3, first 2 shown]
	v_mul_f32_e32 v70, v82, v81
	v_or3_b32 v76, v91, v92, v80
	v_dual_mul_f32 v78, v82, v78 :: v_dual_and_b32 v85, 0x7f800000, v84
	v_mul_f32_e32 v83, v82, v72
	v_mul_f32_e32 v81, v82, v71
	v_mul_f32_e32 v72, v82, v69
	s_mov_b32 s3, exec_lo
	ds_store_b128 v76, v[87:90]
                                        ; implicit-def: $vgpr69
	v_cmpx_ne_u32_e32 0x7f800000, v85
	s_xor_b32 s3, exec_lo, s3
; %bb.45:
	v_bfe_u32 v69, v84, 16, 1
	s_delay_alu instid0(VALU_DEP_1)
	v_add3_u32 v69, v84, v69, 0x7fff
                                        ; implicit-def: $vgpr84
; %bb.46:
	s_and_not1_saveexec_b32 s3, s3
; %bb.47:
	v_and_b32_e32 v69, 0xffff, v84
	v_or_b32_e32 v71, 0x10000, v84
	s_delay_alu instid0(VALU_DEP_2) | instskip(NEXT) | instid1(VALU_DEP_2)
	v_cmp_eq_u32_e32 vcc_lo, 0, v69
	v_cndmask_b32_e32 v69, v71, v84, vcc_lo
; %bb.48:
	s_or_b32 exec_lo, exec_lo, s3
	v_and_b32_e32 v71, 0x7f800000, v72
	s_delay_alu instid0(VALU_DEP_1) | instskip(SKIP_1) | instid1(SALU_CYCLE_1)
	v_cmp_ne_u32_e32 vcc_lo, 0x7f800000, v71
                                        ; implicit-def: $vgpr71
	s_and_saveexec_b32 s3, vcc_lo
	s_xor_b32 s3, exec_lo, s3
; %bb.49:
	v_bfe_u32 v71, v72, 16, 1
	s_delay_alu instid0(VALU_DEP_1)
	v_add3_u32 v71, v72, v71, 0x7fff
                                        ; implicit-def: $vgpr72
; %bb.50:
	s_and_not1_saveexec_b32 s3, s3
; %bb.51:
	v_and_b32_e32 v71, 0xffff, v72
	v_or_b32_e32 v82, 0x10000, v72
	s_delay_alu instid0(VALU_DEP_2) | instskip(NEXT) | instid1(VALU_DEP_2)
	v_cmp_eq_u32_e32 vcc_lo, 0, v71
	v_cndmask_b32_e32 v71, v82, v72, vcc_lo
; %bb.52:
	s_or_b32 exec_lo, exec_lo, s3
	v_and_b32_e32 v72, 0x7f800000, v81
	s_delay_alu instid0(VALU_DEP_1) | instskip(SKIP_1) | instid1(SALU_CYCLE_1)
	v_cmp_ne_u32_e32 vcc_lo, 0x7f800000, v72
                                        ; implicit-def: $vgpr72
	s_and_saveexec_b32 s3, vcc_lo
	s_xor_b32 s3, exec_lo, s3
; %bb.53:
	v_bfe_u32 v72, v81, 16, 1
	s_delay_alu instid0(VALU_DEP_1)
	v_add3_u32 v72, v81, v72, 0x7fff
                                        ; implicit-def: $vgpr81
; %bb.54:
	s_and_not1_saveexec_b32 s3, s3
; %bb.55:
	v_and_b32_e32 v72, 0xffff, v81
	v_or_b32_e32 v82, 0x10000, v81
	s_delay_alu instid0(VALU_DEP_2) | instskip(NEXT) | instid1(VALU_DEP_2)
	v_cmp_eq_u32_e32 vcc_lo, 0, v72
	v_cndmask_b32_e32 v72, v82, v81, vcc_lo
; %bb.56:
	s_or_b32 exec_lo, exec_lo, s3
	v_and_b32_e32 v81, 0x7f800000, v83
	s_delay_alu instid0(VALU_DEP_1) | instskip(SKIP_1) | instid1(SALU_CYCLE_1)
	v_cmp_ne_u32_e32 vcc_lo, 0x7f800000, v81
                                        ; implicit-def: $vgpr81
	s_and_saveexec_b32 s3, vcc_lo
	s_xor_b32 s3, exec_lo, s3
; %bb.57:
	v_bfe_u32 v81, v83, 16, 1
	s_delay_alu instid0(VALU_DEP_1)
	v_add3_u32 v81, v83, v81, 0x7fff
                                        ; implicit-def: $vgpr83
; %bb.58:
	s_and_not1_saveexec_b32 s3, s3
; %bb.59:
	v_and_b32_e32 v81, 0xffff, v83
	v_or_b32_e32 v82, 0x10000, v83
	s_delay_alu instid0(VALU_DEP_2) | instskip(NEXT) | instid1(VALU_DEP_2)
	v_cmp_eq_u32_e32 vcc_lo, 0, v81
	v_cndmask_b32_e32 v81, v82, v83, vcc_lo
; %bb.60:
	s_or_b32 exec_lo, exec_lo, s3
	v_and_b32_e32 v82, 0x7f800000, v77
	s_delay_alu instid0(VALU_DEP_1) | instskip(SKIP_1) | instid1(SALU_CYCLE_1)
	v_cmp_ne_u32_e32 vcc_lo, 0x7f800000, v82
                                        ; implicit-def: $vgpr82
	s_and_saveexec_b32 s3, vcc_lo
	s_xor_b32 s3, exec_lo, s3
; %bb.61:
	v_bfe_u32 v82, v77, 16, 1
	s_delay_alu instid0(VALU_DEP_1)
	v_add3_u32 v82, v77, v82, 0x7fff
                                        ; implicit-def: $vgpr77
; %bb.62:
	s_and_not1_saveexec_b32 s3, s3
; %bb.63:
	v_and_b32_e32 v82, 0xffff, v77
	v_or_b32_e32 v83, 0x10000, v77
	s_delay_alu instid0(VALU_DEP_2) | instskip(NEXT) | instid1(VALU_DEP_2)
	v_cmp_eq_u32_e32 vcc_lo, 0, v82
	v_cndmask_b32_e32 v82, v83, v77, vcc_lo
; %bb.64:
	s_or_b32 exec_lo, exec_lo, s3
	v_and_b32_e32 v77, 0x7f800000, v78
	s_delay_alu instid0(VALU_DEP_1) | instskip(SKIP_1) | instid1(SALU_CYCLE_1)
	v_cmp_ne_u32_e32 vcc_lo, 0x7f800000, v77
                                        ; implicit-def: $vgpr77
	s_and_saveexec_b32 s3, vcc_lo
	s_xor_b32 s3, exec_lo, s3
; %bb.65:
	v_bfe_u32 v77, v78, 16, 1
	s_delay_alu instid0(VALU_DEP_1)
	v_add3_u32 v77, v78, v77, 0x7fff
                                        ; implicit-def: $vgpr78
; %bb.66:
	s_and_not1_saveexec_b32 s3, s3
; %bb.67:
	v_and_b32_e32 v77, 0xffff, v78
	v_or_b32_e32 v83, 0x10000, v78
	s_delay_alu instid0(VALU_DEP_2) | instskip(NEXT) | instid1(VALU_DEP_2)
	v_cmp_eq_u32_e32 vcc_lo, 0, v77
	v_cndmask_b32_e32 v77, v83, v78, vcc_lo
; %bb.68:
	s_or_b32 exec_lo, exec_lo, s3
	v_and_b32_e32 v78, 0x7f800000, v79
	s_delay_alu instid0(VALU_DEP_1) | instskip(SKIP_1) | instid1(SALU_CYCLE_1)
	v_cmp_ne_u32_e32 vcc_lo, 0x7f800000, v78
                                        ; implicit-def: $vgpr78
	s_and_saveexec_b32 s3, vcc_lo
	s_xor_b32 s3, exec_lo, s3
; %bb.69:
	v_bfe_u32 v78, v79, 16, 1
	s_delay_alu instid0(VALU_DEP_1)
	v_add3_u32 v78, v79, v78, 0x7fff
                                        ; implicit-def: $vgpr79
; %bb.70:
	s_and_not1_saveexec_b32 s3, s3
; %bb.71:
	v_and_b32_e32 v78, 0xffff, v79
	v_or_b32_e32 v83, 0x10000, v79
	s_delay_alu instid0(VALU_DEP_2) | instskip(NEXT) | instid1(VALU_DEP_2)
	v_cmp_eq_u32_e32 vcc_lo, 0, v78
	v_cndmask_b32_e32 v78, v83, v79, vcc_lo
; %bb.72:
	s_or_b32 exec_lo, exec_lo, s3
	v_and_b32_e32 v79, 0x7f800000, v70
	s_delay_alu instid0(VALU_DEP_1) | instskip(SKIP_1) | instid1(SALU_CYCLE_1)
	v_cmp_ne_u32_e32 vcc_lo, 0x7f800000, v79
                                        ; implicit-def: $vgpr79
	s_and_saveexec_b32 s3, vcc_lo
	s_xor_b32 s3, exec_lo, s3
; %bb.73:
	v_bfe_u32 v79, v70, 16, 1
	s_delay_alu instid0(VALU_DEP_1)
	v_add3_u32 v79, v70, v79, 0x7fff
                                        ; implicit-def: $vgpr70
; %bb.74:
	s_and_not1_saveexec_b32 s3, s3
; %bb.75:
	v_and_b32_e32 v79, 0xffff, v70
	v_or_b32_e32 v83, 0x10000, v70
	s_delay_alu instid0(VALU_DEP_2) | instskip(NEXT) | instid1(VALU_DEP_2)
	v_cmp_eq_u32_e32 vcc_lo, 0, v79
	v_cndmask_b32_e32 v79, v83, v70, vcc_lo
; %bb.76:
	s_or_b32 exec_lo, exec_lo, s3
	s_delay_alu instid0(VALU_DEP_1)
	v_perm_b32 v86, v79, v78, 0x7060302
	v_perm_b32 v85, v77, v82, 0x7060302
	;; [unrolled: 1-line block ×4, first 2 shown]
	v_lshl_or_b32 v82, v66, 11, v80
	ds_store_b128 v76, v[83:86] offset:1024
	s_waitcnt lgkmcnt(0)
	s_barrier
	buffer_gl0_inv
	ds_load_b128 v[69:72], v82
	ds_load_b128 v[83:86], v82 offset:16
	s_waitcnt lgkmcnt(1)
	v_lshrrev_b32_e32 v66, 16, v69
	s_waitcnt lgkmcnt(0)
	v_lshrrev_b32_e32 v91, 16, v83
	v_lshlrev_b32_e32 v78, 2, v74
	v_lshrrev_b32_e32 v95, 16, v70
	v_lshrrev_b32_e32 v98, 16, v84
	;; [unrolled: 1-line block ×4, first 2 shown]
	v_cmp_eq_u32_e32 vcc_lo, 1, v78
	v_lshrrev_b32_e32 v97, 16, v72
	v_lshrrev_b32_e32 v100, 16, v86
	v_cndmask_b32_e32 v87, v83, v91, vcc_lo
	v_or_b32_e32 v79, 1, v78
	v_cndmask_b32_e32 v81, v69, v66, vcc_lo
	v_cmp_eq_u32_e64 s4, 2, v78
	v_cmp_eq_u32_e64 s7, 3, v78
	;; [unrolled: 1-line block ×5, first 2 shown]
	v_cndmask_b32_e64 v81, v81, v70, s4
	v_cndmask_b32_e64 v87, v87, v84, s4
	v_cmp_eq_u32_e64 s8, 3, v79
	v_cndmask_b32_e64 v88, v69, v66, s3
	v_or_b32_e32 v77, 2, v78
	v_cndmask_b32_e64 v81, v81, v95, s7
	v_cndmask_b32_e64 v87, v87, v98, s7
	;; [unrolled: 1-line block ×4, first 2 shown]
	v_cmp_eq_u32_e64 s10, 5, v78
	v_cndmask_b32_e64 v81, v81, v71, s9
	v_cndmask_b32_e64 v87, v87, v85, s9
	v_cmp_eq_u32_e64 s11, 4, v79
	v_cndmask_b32_e64 v88, v88, v95, s8
	v_cmp_eq_u32_e64 s5, 1, v77
	v_cndmask_b32_e64 v89, v89, v84, s6
	v_cndmask_b32_e64 v81, v81, v96, s10
	v_cmp_eq_u32_e64 s12, 6, v78
	v_cndmask_b32_e64 v88, v88, v71, s11
	;; [unrolled: 3-line block ×3, first 2 shown]
	v_cndmask_b32_e64 v89, v89, v98, s8
	v_cndmask_b32_e64 v81, v81, v72, s12
	v_cmp_eq_u32_e64 s15, 7, v78
	v_cndmask_b32_e64 v88, v88, v96, s13
	v_cndmask_b32_e64 v87, v87, v86, s12
	v_cmp_eq_u32_e64 s16, 6, v79
	v_cmp_eq_u32_e64 s17, 2, v77
	v_cndmask_b32_e64 v89, v89, v85, s11
	v_cndmask_b32_e64 v101, v81, v97, s15
	;; [unrolled: 1-line block ×6, first 2 shown]
	v_cmp_eq_u32_e64 s18, 7, v79
	v_cmp_eq_u32_e64 s19, 3, v77
	;; [unrolled: 1-line block ×4, first 2 shown]
	v_cndmask_b32_e64 v87, v87, v84, s17
	v_cndmask_b32_e64 v103, v88, v97, s18
	;; [unrolled: 1-line block ×4, first 2 shown]
	v_or_b32_e32 v81, 3, v78
	v_cndmask_b32_e64 v93, v87, v98, s19
	v_cmp_eq_u32_e64 s24, 6, v77
	v_cndmask_b32_e64 v104, v88, v86, s16
	v_cndmask_b32_e64 v92, v89, v71, s20
	v_cmp_eq_u32_e64 s21, 1, v81
	ds_load_b128 v[87:90], v82 offset:1024
	v_cmp_eq_u32_e64 s23, 2, v81
	v_cmp_eq_u32_e64 s25, 3, v81
	v_cndmask_b32_e64 v105, v92, v96, s22
	v_cndmask_b32_e64 v66, v69, v66, s21
	;; [unrolled: 1-line block ×4, first 2 shown]
	ds_load_b128 v[91:94], v82 offset:1040
	v_cmp_eq_u32_e64 s26, 4, v81
	v_cndmask_b32_e64 v66, v66, v70, s23
	v_cmp_eq_u32_e64 s27, 7, v77
	v_cndmask_b32_e64 v70, v83, v84, s23
	v_cndmask_b32_e64 v84, v105, v72, s24
	v_cmp_eq_u32_e64 s28, 5, v81
	v_cndmask_b32_e64 v66, v66, v95, s25
	v_cmp_eq_u32_e64 s29, 6, v81
	v_cndmask_b32_e64 v70, v70, v98, s25
	v_cndmask_b32_e64 v69, v69, v99, s22
	;; [unrolled: 1-line block ×4, first 2 shown]
	s_waitcnt lgkmcnt(1)
	v_lshrrev_b32_e32 v95, 16, v87
	v_cndmask_b32_e64 v70, v70, v85, s26
	v_cndmask_b32_e64 v71, v84, v97, s27
	;; [unrolled: 1-line block ×4, first 2 shown]
	v_cndmask_b32_e32 v84, v87, v95, vcc_lo
	v_cndmask_b32_e64 v70, v70, v99, s28
	s_waitcnt lgkmcnt(0)
	v_lshrrev_b32_e32 v85, 16, v91
	v_lshrrev_b32_e32 v96, 16, v88
	v_cndmask_b32_e64 v98, v87, v95, s3
	v_cndmask_b32_e64 v84, v84, v88, s4
	v_cndmask_b32_e64 v70, v70, v86, s29
	v_cndmask_b32_e32 v99, v91, v85, vcc_lo
	v_cmp_eq_u32_e32 vcc_lo, 7, v81
	v_cndmask_b32_e64 v66, v66, v72, s29
	v_cndmask_b32_e64 v72, v84, v96, s7
	;; [unrolled: 1-line block ×3, first 2 shown]
	v_lshrrev_b32_e32 v98, 16, v92
	v_cndmask_b32_e32 v70, v70, v100, vcc_lo
	v_cndmask_b32_e64 v86, v99, v92, s4
	v_cndmask_b32_e64 v69, v69, v100, s27
	v_lshrrev_b32_e32 v100, 16, v93
	v_cndmask_b32_e64 v72, v72, v89, s9
	v_lshrrev_b32_e32 v99, 16, v89
	v_cndmask_b32_e64 v86, v86, v98, s7
	v_perm_b32 v71, v69, v71, 0x5040100
	v_cndmask_b32_e64 v84, v84, v96, s8
	s_delay_alu instid0(VALU_DEP_3) | instskip(NEXT) | instid1(VALU_DEP_2)
	v_cndmask_b32_e64 v86, v86, v93, s9
	v_cndmask_b32_e64 v84, v84, v89, s11
	s_delay_alu instid0(VALU_DEP_2) | instskip(NEXT) | instid1(VALU_DEP_1)
	v_cndmask_b32_e64 v86, v86, v100, s10
	v_cndmask_b32_e64 v69, v86, v94, s12
	;; [unrolled: 1-line block ×5, first 2 shown]
	s_delay_alu instid0(VALU_DEP_3) | instskip(NEXT) | instid1(VALU_DEP_3)
	v_cndmask_b32_e64 v86, v86, v88, s17
	v_cndmask_b32_e64 v87, v87, v88, s23
	s_delay_alu instid0(VALU_DEP_3) | instskip(NEXT) | instid1(VALU_DEP_3)
	v_cndmask_b32_e64 v88, v95, v92, s23
	v_cndmask_b32_e64 v86, v86, v96, s19
	;; [unrolled: 3-line block ×7, first 2 shown]
	s_delay_alu instid0(VALU_DEP_3) | instskip(SKIP_2) | instid1(VALU_DEP_2)
	v_cndmask_b32_e64 v88, v88, v94, s29
	v_cndmask_b32_e32 v66, v66, v97, vcc_lo
	v_cndmask_b32_e64 v97, v72, v99, s10
	v_perm_b32 v72, v70, v66, 0x5040100
	v_perm_b32 v70, v83, v103, 0x5040100
	v_cndmask_b32_e64 v103, v91, v85, s5
	v_cndmask_b32_e64 v85, v91, v85, s3
	;; [unrolled: 1-line block ×4, first 2 shown]
	v_lshrrev_b32_e32 v97, 16, v90
	v_cndmask_b32_e64 v91, v103, v92, s17
	v_cndmask_b32_e64 v85, v85, v92, s6
	;; [unrolled: 1-line block ×3, first 2 shown]
	s_mov_b32 s3, exec_lo
	v_cndmask_b32_e64 v83, v84, v97, s15
	v_cndmask_b32_e64 v91, v91, v98, s19
	;; [unrolled: 1-line block ×3, first 2 shown]
	v_lshrrev_b32_e32 v84, 16, v94
	v_cndmask_b32_e64 v66, v66, v97, s18
	v_cndmask_b32_e64 v90, v86, v97, s27
	v_cndmask_b32_e64 v89, v91, v93, s20
	v_cndmask_b32_e64 v85, v85, v93, s11
	v_dual_cndmask_b32 v86, v87, v97 :: v_dual_cndmask_b32 v87, v88, v84
	v_cndmask_b32_e64 v91, v69, v84, s15
	s_delay_alu instid0(VALU_DEP_4) | instskip(NEXT) | instid1(VALU_DEP_4)
	v_cndmask_b32_e64 v89, v89, v100, s22
	v_cndmask_b32_e64 v85, v85, v100, s13
	v_perm_b32 v69, v102, v101, 0x5040100
	v_perm_b32 v86, v87, v86, 0x5040100
	;; [unrolled: 1-line block ×3, first 2 shown]
	v_cndmask_b32_e64 v89, v89, v94, s24
	v_cndmask_b32_e64 v85, v85, v94, s16
	s_mul_i32 s8, s35, 10
	s_delay_alu instid0(VALU_DEP_2) | instskip(NEXT) | instid1(VALU_DEP_2)
	v_cndmask_b32_e64 v88, v89, v84, s27
	v_cndmask_b32_e64 v89, v85, v84, s18
	s_delay_alu instid0(VALU_DEP_2) | instskip(NEXT) | instid1(VALU_DEP_2)
	v_perm_b32 v85, v88, v90, 0x5040100
	v_perm_b32 v84, v89, v66, 0x5040100
	ds_store_b128 v76, v[69:72]
	ds_store_b128 v76, v[83:86] offset:1024
	v_cmpx_gt_u32_e32 10, v0
	s_cbranch_execz .LBB1435_78
; %bb.77:
	s_mul_i32 s4, s8, s30
	s_delay_alu instid0(SALU_CYCLE_1) | instskip(SKIP_1) | instid1(VALU_DEP_1)
	v_add3_u32 v69, s4, s31, v65
	s_load_b128 s[4:7], s[0:1], 0x58
	v_mad_u64_u32 v[65:66], null, v69, s34, s[14:15]
	s_delay_alu instid0(VALU_DEP_1) | instskip(NEXT) | instid1(VALU_DEP_1)
	v_ashrrev_i32_e32 v66, 31, v65
	v_lshlrev_b64 v[65:66], 2, v[65:66]
	s_waitcnt lgkmcnt(0)
	s_delay_alu instid0(VALU_DEP_1) | instskip(NEXT) | instid1(VALU_DEP_2)
	v_add_co_u32 v69, vcc_lo, s6, v65
	v_add_co_ci_u32_e32 v70, vcc_lo, s7, v66, vcc_lo
	v_add_co_u32 v65, vcc_lo, s4, v65
	v_add_co_ci_u32_e32 v66, vcc_lo, s5, v66, vcc_lo
	global_store_b32 v[69:70], v67, off
	global_store_b32 v[65:66], v68, off
.LBB1435_78:
	s_or_b32 exec_lo, exec_lo, s3
	s_waitcnt lgkmcnt(0)
	s_waitcnt_vscnt null, 0x0
	s_barrier
	buffer_gl0_inv
	ds_load_b128 v[83:86], v80
	ds_load_b128 v[87:90], v80 offset:16
	ds_load_b128 v[95:98], v80 offset:2064
	ds_load_b128 v[91:94], v80 offset:2048
	v_mov_b32_e32 v65, 0
	ds_load_b128 v[103:106], v80 offset:4112
	ds_load_b128 v[99:102], v80 offset:4096
	ds_load_b128 v[111:114], v80 offset:6160
	ds_load_b128 v[107:110], v80 offset:6144
	v_mov_b32_e32 v66, v65
	v_mov_b32_e32 v67, v65
	;; [unrolled: 1-line block ×7, first 2 shown]
	s_waitcnt lgkmcnt(6)
	s_delay_alu instid0(VALU_DEP_1)
	v_wmma_f32_16x16x16_bf16 v[65:72], v[57:64], v[83:90], v[65:72]
	ds_load_b128 v[61:64], v80 offset:8208
	ds_load_b128 v[57:60], v80 offset:8192
	s_waitcnt lgkmcnt(6)
	v_wmma_f32_16x16x16_bf16 v[65:72], v[41:48], v[91:98], v[65:72]
	ds_load_b128 v[45:48], v80 offset:10256
	ds_load_b128 v[41:44], v80 offset:10240
	s_waitcnt lgkmcnt(6)
	;; [unrolled: 4-line block ×4, first 2 shown]
	v_wmma_f32_16x16x16_bf16 v[65:72], v[1:8], v[57:64], v[65:72]
	s_waitcnt lgkmcnt(4)
	s_delay_alu instid0(VALU_DEP_1) | instskip(SKIP_1) | instid1(VALU_DEP_1)
	v_wmma_f32_16x16x16_bf16 v[65:72], v[9:16], v[41:48], v[65:72]
	s_waitcnt lgkmcnt(2)
	v_wmma_f32_16x16x16_bf16 v[65:72], v[17:24], v[33:40], v[65:72]
	s_waitcnt lgkmcnt(0)
	s_delay_alu instid0(VALU_DEP_1) | instskip(NEXT) | instid1(VALU_DEP_1)
	v_wmma_f32_16x16x16_bf16 v[65:72], v[49:56], v[25:32], v[65:72]
	v_and_b32_e32 v1, 0x7f800000, v65
	s_delay_alu instid0(VALU_DEP_1) | instskip(SKIP_1) | instid1(SALU_CYCLE_1)
	v_cmp_ne_u32_e32 vcc_lo, 0x7f800000, v1
                                        ; implicit-def: $vgpr1
	s_and_saveexec_b32 s3, vcc_lo
	s_xor_b32 s3, exec_lo, s3
; %bb.79:
	v_bfe_u32 v1, v65, 16, 1
	s_delay_alu instid0(VALU_DEP_1)
	v_add3_u32 v1, v65, v1, 0x7fff
; %bb.80:
	s_and_not1_saveexec_b32 s3, s3
; %bb.81:
	v_and_b32_e32 v1, 0xffff, v65
	v_or_b32_e32 v2, 0x10000, v65
	s_delay_alu instid0(VALU_DEP_2) | instskip(NEXT) | instid1(VALU_DEP_2)
	v_cmp_eq_u32_e32 vcc_lo, 0, v1
	v_cndmask_b32_e32 v1, v2, v65, vcc_lo
; %bb.82:
	s_or_b32 exec_lo, exec_lo, s3
	v_and_b32_e32 v2, 0x7f800000, v66
	s_delay_alu instid0(VALU_DEP_1) | instskip(SKIP_1) | instid1(SALU_CYCLE_1)
	v_cmp_ne_u32_e32 vcc_lo, 0x7f800000, v2
                                        ; implicit-def: $vgpr2
	s_and_saveexec_b32 s3, vcc_lo
	s_xor_b32 s3, exec_lo, s3
; %bb.83:
	v_bfe_u32 v2, v66, 16, 1
	s_delay_alu instid0(VALU_DEP_1)
	v_add3_u32 v2, v66, v2, 0x7fff
; %bb.84:
	s_and_not1_saveexec_b32 s3, s3
; %bb.85:
	v_and_b32_e32 v2, 0xffff, v66
	v_or_b32_e32 v3, 0x10000, v66
	s_delay_alu instid0(VALU_DEP_2) | instskip(NEXT) | instid1(VALU_DEP_2)
	v_cmp_eq_u32_e32 vcc_lo, 0, v2
	v_cndmask_b32_e32 v2, v3, v66, vcc_lo
; %bb.86:
	s_or_b32 exec_lo, exec_lo, s3
	v_and_b32_e32 v3, 0x7f800000, v67
	s_delay_alu instid0(VALU_DEP_1) | instskip(SKIP_1) | instid1(SALU_CYCLE_1)
	v_cmp_ne_u32_e32 vcc_lo, 0x7f800000, v3
                                        ; implicit-def: $vgpr3
	s_and_saveexec_b32 s3, vcc_lo
	s_xor_b32 s3, exec_lo, s3
; %bb.87:
	v_bfe_u32 v3, v67, 16, 1
	s_delay_alu instid0(VALU_DEP_1)
	v_add3_u32 v3, v67, v3, 0x7fff
; %bb.88:
	s_and_not1_saveexec_b32 s3, s3
; %bb.89:
	v_and_b32_e32 v3, 0xffff, v67
	v_or_b32_e32 v4, 0x10000, v67
	s_delay_alu instid0(VALU_DEP_2) | instskip(NEXT) | instid1(VALU_DEP_2)
	v_cmp_eq_u32_e32 vcc_lo, 0, v3
	v_cndmask_b32_e32 v3, v4, v67, vcc_lo
; %bb.90:
	s_or_b32 exec_lo, exec_lo, s3
	v_and_b32_e32 v4, 0x7f800000, v68
	s_delay_alu instid0(VALU_DEP_1) | instskip(SKIP_1) | instid1(SALU_CYCLE_1)
	v_cmp_ne_u32_e32 vcc_lo, 0x7f800000, v4
                                        ; implicit-def: $vgpr4
	s_and_saveexec_b32 s3, vcc_lo
	s_xor_b32 s3, exec_lo, s3
; %bb.91:
	v_bfe_u32 v4, v68, 16, 1
	s_delay_alu instid0(VALU_DEP_1)
	v_add3_u32 v4, v68, v4, 0x7fff
; %bb.92:
	s_and_not1_saveexec_b32 s3, s3
; %bb.93:
	v_and_b32_e32 v4, 0xffff, v68
	v_or_b32_e32 v5, 0x10000, v68
	s_delay_alu instid0(VALU_DEP_2) | instskip(NEXT) | instid1(VALU_DEP_2)
	v_cmp_eq_u32_e32 vcc_lo, 0, v4
	v_cndmask_b32_e32 v4, v5, v68, vcc_lo
; %bb.94:
	s_or_b32 exec_lo, exec_lo, s3
	v_and_b32_e32 v5, 0x7f800000, v69
	s_delay_alu instid0(VALU_DEP_1) | instskip(SKIP_1) | instid1(SALU_CYCLE_1)
	v_cmp_ne_u32_e32 vcc_lo, 0x7f800000, v5
                                        ; implicit-def: $vgpr5
	s_and_saveexec_b32 s3, vcc_lo
	s_xor_b32 s3, exec_lo, s3
; %bb.95:
	v_bfe_u32 v5, v69, 16, 1
	s_delay_alu instid0(VALU_DEP_1)
	v_add3_u32 v5, v69, v5, 0x7fff
; %bb.96:
	s_and_not1_saveexec_b32 s3, s3
; %bb.97:
	v_and_b32_e32 v5, 0xffff, v69
	v_or_b32_e32 v6, 0x10000, v69
	s_delay_alu instid0(VALU_DEP_2) | instskip(NEXT) | instid1(VALU_DEP_2)
	v_cmp_eq_u32_e32 vcc_lo, 0, v5
	v_cndmask_b32_e32 v5, v6, v69, vcc_lo
; %bb.98:
	s_or_b32 exec_lo, exec_lo, s3
	v_and_b32_e32 v6, 0x7f800000, v70
	s_delay_alu instid0(VALU_DEP_1) | instskip(SKIP_1) | instid1(SALU_CYCLE_1)
	v_cmp_ne_u32_e32 vcc_lo, 0x7f800000, v6
                                        ; implicit-def: $vgpr6
	s_and_saveexec_b32 s3, vcc_lo
	s_xor_b32 s3, exec_lo, s3
; %bb.99:
	v_bfe_u32 v6, v70, 16, 1
	s_delay_alu instid0(VALU_DEP_1)
	v_add3_u32 v6, v70, v6, 0x7fff
; %bb.100:
	s_and_not1_saveexec_b32 s3, s3
; %bb.101:
	v_and_b32_e32 v6, 0xffff, v70
	v_or_b32_e32 v7, 0x10000, v70
	s_delay_alu instid0(VALU_DEP_2) | instskip(NEXT) | instid1(VALU_DEP_2)
	v_cmp_eq_u32_e32 vcc_lo, 0, v6
	v_cndmask_b32_e32 v6, v7, v70, vcc_lo
; %bb.102:
	s_or_b32 exec_lo, exec_lo, s3
	v_and_b32_e32 v7, 0x7f800000, v71
	s_delay_alu instid0(VALU_DEP_1) | instskip(SKIP_1) | instid1(SALU_CYCLE_1)
	v_cmp_ne_u32_e32 vcc_lo, 0x7f800000, v7
                                        ; implicit-def: $vgpr7
	s_and_saveexec_b32 s3, vcc_lo
	s_xor_b32 s3, exec_lo, s3
; %bb.103:
	v_bfe_u32 v7, v71, 16, 1
	s_delay_alu instid0(VALU_DEP_1)
	v_add3_u32 v7, v71, v7, 0x7fff
; %bb.104:
	s_and_not1_saveexec_b32 s3, s3
; %bb.105:
	v_and_b32_e32 v7, 0xffff, v71
	v_or_b32_e32 v8, 0x10000, v71
	s_delay_alu instid0(VALU_DEP_2) | instskip(NEXT) | instid1(VALU_DEP_2)
	v_cmp_eq_u32_e32 vcc_lo, 0, v7
	v_cndmask_b32_e32 v7, v8, v71, vcc_lo
; %bb.106:
	s_or_b32 exec_lo, exec_lo, s3
	v_and_b32_e32 v8, 0x7f800000, v72
	s_delay_alu instid0(VALU_DEP_1) | instskip(SKIP_1) | instid1(SALU_CYCLE_1)
	v_cmp_ne_u32_e32 vcc_lo, 0x7f800000, v8
                                        ; implicit-def: $vgpr8
	s_and_saveexec_b32 s3, vcc_lo
	s_xor_b32 s3, exec_lo, s3
; %bb.107:
	v_bfe_u32 v8, v72, 16, 1
	s_delay_alu instid0(VALU_DEP_1)
	v_add3_u32 v8, v72, v8, 0x7fff
                                        ; implicit-def: $vgpr65_vgpr66_vgpr67_vgpr68_vgpr69_vgpr70_vgpr71_vgpr72
; %bb.108:
	s_and_not1_saveexec_b32 s3, s3
; %bb.109:
	v_and_b32_e32 v8, 0xffff, v72
	v_or_b32_e32 v9, 0x10000, v72
	s_delay_alu instid0(VALU_DEP_2) | instskip(NEXT) | instid1(VALU_DEP_2)
	v_cmp_eq_u32_e32 vcc_lo, 0, v8
	v_cndmask_b32_e32 v8, v9, v72, vcc_lo
; %bb.110:
	s_or_b32 exec_lo, exec_lo, s3
	s_delay_alu instid0(VALU_DEP_1)
	v_perm_b32 v7, v8, v7, 0x7060302
	v_perm_b32 v6, v6, v5, 0x7060302
	;; [unrolled: 1-line block ×4, first 2 shown]
	s_barrier
	buffer_gl0_inv
	v_cmp_eq_u32_e32 vcc_lo, 1, v78
	ds_store_b128 v76, v[4:7]
	s_waitcnt lgkmcnt(0)
	s_barrier
	buffer_gl0_inv
	ds_load_b128 v[1:4], v82
	ds_load_b128 v[5:8], v82 offset:16
	v_cmp_eq_u32_e64 s3, 1, v79
	v_cmp_eq_u32_e64 s4, 2, v78
	;; [unrolled: 1-line block ×5, first 2 shown]
	s_waitcnt lgkmcnt(1)
	v_lshrrev_b32_e32 v9, 16, v1
	s_waitcnt lgkmcnt(0)
	v_lshrrev_b32_e32 v13, 16, v5
	v_lshrrev_b32_e32 v10, 16, v2
	;; [unrolled: 1-line block ×4, first 2 shown]
	v_cndmask_b32_e64 v19, v1, v9, s3
	v_cndmask_b32_e32 v18, v5, v13, vcc_lo
	v_cndmask_b32_e64 v20, v5, v13, s3
	v_cndmask_b32_e32 v17, v1, v9, vcc_lo
	v_cmp_eq_u32_e32 vcc_lo, 2, v79
	v_lshrrev_b32_e32 v15, 16, v7
	v_cmp_eq_u32_e64 s3, 1, v77
	v_lshrrev_b32_e32 v12, 16, v4
	v_lshrrev_b32_e32 v16, 16, v8
	v_cndmask_b32_e32 v20, v20, v6, vcc_lo
	v_cndmask_b32_e64 v17, v17, v2, s4
	v_cndmask_b32_e32 v19, v19, v2, vcc_lo
	v_cndmask_b32_e64 v18, v18, v6, s4
	v_cmp_eq_u32_e32 vcc_lo, 4, v78
	v_cmp_eq_u32_e64 s4, 3, v79
	v_cndmask_b32_e64 v17, v17, v10, s5
	v_cndmask_b32_e64 v21, v1, v9, s3
	;; [unrolled: 1-line block ×5, first 2 shown]
	v_cndmask_b32_e32 v17, v17, v3, vcc_lo
	v_cndmask_b32_e64 v20, v20, v14, s4
	v_cndmask_b32_e32 v18, v18, v7, vcc_lo
	v_cmp_eq_u32_e32 vcc_lo, 4, v79
	v_cmp_eq_u32_e64 s4, 5, v79
	v_cmp_eq_u32_e64 s3, 2, v81
	v_cndmask_b32_e64 v21, v21, v2, s7
	v_cmp_eq_u32_e64 s5, 5, v78
	v_cndmask_b32_e32 v19, v19, v3, vcc_lo
	v_cndmask_b32_e32 v20, v20, v7, vcc_lo
	v_cmp_eq_u32_e32 vcc_lo, 6, v79
	s_delay_alu instid0(VALU_DEP_4) | instskip(NEXT) | instid1(VALU_DEP_4)
	v_cndmask_b32_e64 v17, v17, v11, s5
	v_cndmask_b32_e64 v19, v19, v11, s4
	s_delay_alu instid0(VALU_DEP_4) | instskip(SKIP_1) | instid1(VALU_DEP_3)
	v_cndmask_b32_e64 v20, v20, v15, s4
	v_cmp_eq_u32_e64 s4, 1, v81
	v_cndmask_b32_e32 v19, v19, v4, vcc_lo
	v_cndmask_b32_e64 v18, v18, v15, s5
	s_delay_alu instid0(VALU_DEP_3)
	v_cndmask_b32_e64 v1, v1, v9, s4
	v_cndmask_b32_e64 v5, v5, v13, s4
	v_cmp_eq_u32_e64 s4, 3, v77
	v_cndmask_b32_e64 v13, v22, v6, s7
	v_cmp_eq_u32_e64 s7, 3, v81
	v_cndmask_b32_e64 v1, v1, v2, s3
	v_cndmask_b32_e64 v2, v5, v6, s3
	;; [unrolled: 1-line block ×3, first 2 shown]
	v_cmp_eq_u32_e64 s3, 4, v77
	v_cndmask_b32_e64 v6, v13, v14, s4
	v_cndmask_b32_e64 v1, v1, v10, s7
	v_cmp_eq_u32_e64 s4, 4, v81
	v_cndmask_b32_e64 v2, v2, v14, s7
	v_cndmask_b32_e64 v5, v9, v3, s3
	v_cmp_eq_u32_e64 s7, 5, v77
	v_cndmask_b32_e64 v6, v6, v7, s3
	v_cndmask_b32_e64 v1, v1, v3, s4
	v_cndmask_b32_e64 v2, v2, v7, s4
	v_cmp_eq_u32_e64 s3, 5, v81
	v_cmp_eq_u32_e64 s5, 6, v78
	v_cndmask_b32_e64 v5, v5, v11, s7
	v_cmp_eq_u32_e64 s4, 6, v77
	v_cndmask_b32_e64 v3, v6, v15, s7
	v_cndmask_b32_e64 v1, v1, v11, s3
	v_cmp_eq_u32_e64 s7, 6, v81
	v_cndmask_b32_e64 v2, v2, v15, s3
	v_cndmask_b32_e64 v17, v17, v4, s5
	v_cndmask_b32_e64 v18, v18, v8, s5
	v_cmp_eq_u32_e64 s5, 7, v78
	v_cndmask_b32_e64 v5, v5, v4, s4
	;; [unrolled: 4-line block ×3, first 2 shown]
	v_cmp_eq_u32_e64 s4, 7, v77
	v_cndmask_b32_e32 v4, v20, v8, vcc_lo
	v_cndmask_b32_e64 v17, v17, v12, s5
	v_cndmask_b32_e64 v19, v19, v12, s6
	;; [unrolled: 1-line block ×8, first 2 shown]
	v_cmp_gt_u32_e32 vcc_lo, 32, v0
	v_perm_b32 v4, v2, v1, 0x5040100
	v_perm_b32 v3, v3, v5, 0x5040100
	;; [unrolled: 1-line block ×4, first 2 shown]
	s_and_b32 s2, vcc_lo, s2
	ds_store_b128 v76, v[1:4]
	s_waitcnt lgkmcnt(0)
	s_barrier
	buffer_gl0_inv
	s_and_saveexec_b32 s3, s2
	s_cbranch_execz .LBB1435_2
; %bb.111:
	s_load_b64 s[0:1], s[0:1], 0x68
	s_lshl_b32 s4, s34, 6
	v_or_b32_e32 v2, s31, v74
	s_mul_i32 s2, s4, s30
	v_lshlrev_b32_e32 v0, 10, v0
	s_mul_i32 s2, s2, s8
	v_lshlrev_b32_e32 v1, 4, v75
	s_ashr_i32 s3, s2, 31
	v_mul_lo_u32 v20, v2, s4
	s_lshl_b64 s[2:3], s[2:3], 1
	v_lshlrev_b32_e32 v3, 6, v74
	v_and_b32_e32 v0, 0x3800, v0
	s_delay_alu instid0(VALU_DEP_1) | instskip(NEXT) | instid1(VALU_DEP_4)
	v_or3_b32 v16, v0, v1, v3
	v_ashrrev_i32_e32 v21, 31, v20
	ds_load_b128 v[0:3], v16
	ds_load_b128 v[4:7], v16 offset:128
	s_waitcnt lgkmcnt(0)
	s_add_u32 s2, s0, s2
	s_addc_u32 s3, s1, s3
	s_lshl_b32 s0, s14, 6
	ds_load_b128 v[8:11], v16 offset:256
	ds_load_b128 v[12:15], v16 offset:384
	;; [unrolled: 1-line block ×3, first 2 shown]
	s_ashr_i32 s1, s0, 31
	s_delay_alu instid0(SALU_CYCLE_1) | instskip(NEXT) | instid1(SALU_CYCLE_1)
	s_lshl_b64 s[0:1], s[0:1], 1
	s_add_u32 s0, s2, s0
	s_addc_u32 s1, s3, s1
	s_lshl_b32 s2, s34, 7
	v_add_co_u32 v30, s0, s0, v73
	v_add_nc_u32_e32 v22, s2, v20
	v_lshlrev_b64 v[20:21], 1, v[20:21]
	v_add_co_ci_u32_e64 v31, null, s1, 0, s0
	s_delay_alu instid0(VALU_DEP_3) | instskip(SKIP_1) | instid1(VALU_DEP_4)
	v_add_nc_u32_e32 v24, s2, v22
	v_ashrrev_i32_e32 v23, 31, v22
	v_add_co_u32 v20, vcc_lo, v30, v20
	s_delay_alu instid0(VALU_DEP_4) | instskip(NEXT) | instid1(VALU_DEP_4)
	v_add_co_ci_u32_e32 v21, vcc_lo, v31, v21, vcc_lo
	v_add_nc_u32_e32 v26, s2, v24
	v_ashrrev_i32_e32 v25, 31, v24
	v_lshlrev_b64 v[22:23], 1, v[22:23]
	s_delay_alu instid0(VALU_DEP_3) | instskip(SKIP_1) | instid1(VALU_DEP_4)
	v_add_nc_u32_e32 v28, s2, v26
	v_ashrrev_i32_e32 v27, 31, v26
	v_lshlrev_b64 v[24:25], 1, v[24:25]
	s_delay_alu instid0(VALU_DEP_4) | instskip(NEXT) | instid1(VALU_DEP_4)
	v_add_co_u32 v22, vcc_lo, v30, v22
	v_ashrrev_i32_e32 v29, 31, v28
	s_delay_alu instid0(VALU_DEP_4) | instskip(SKIP_2) | instid1(VALU_DEP_4)
	v_lshlrev_b64 v[26:27], 1, v[26:27]
	v_add_co_ci_u32_e32 v23, vcc_lo, v31, v23, vcc_lo
	v_add_co_u32 v24, vcc_lo, v30, v24
	v_lshlrev_b64 v[28:29], 1, v[28:29]
	v_add_co_ci_u32_e32 v25, vcc_lo, v31, v25, vcc_lo
	v_add_co_u32 v26, vcc_lo, v30, v26
	v_add_co_ci_u32_e32 v27, vcc_lo, v31, v27, vcc_lo
	s_delay_alu instid0(VALU_DEP_4)
	v_add_co_u32 v28, vcc_lo, v30, v28
	v_add_co_ci_u32_e32 v29, vcc_lo, v31, v29, vcc_lo
	s_clause 0x1
	global_store_b128 v[20:21], v[0:3], off
	global_store_b128 v[22:23], v[4:7], off
	s_waitcnt lgkmcnt(2)
	global_store_b128 v[24:25], v[8:11], off
	s_waitcnt lgkmcnt(1)
	;; [unrolled: 2-line block ×3, first 2 shown]
	global_store_b128 v[28:29], v[16:19], off
	s_nop 0
	s_sendmsg sendmsg(MSG_DEALLOC_VGPRS)
	s_endpgm
	.section	.rodata,"a",@progbits
	.p2align	6, 0x0
	.amdhsa_kernel _Z39paged_attention_ll4mi_QKV_mfma16_kernelI14__hip_bfloat16hLN4vllm18Fp8KVCacheDataTypeE1EhLi32ELi64ELi256ELb1ELi10EL8MFMAType1EEvPKT_PKT0_S9_ifPKiSB_SB_iPKfiiiPfSE_PS4_PT2_iSD_SD_
		.amdhsa_group_segment_fixed_size 17472
		.amdhsa_private_segment_fixed_size 0
		.amdhsa_kernarg_size 400
		.amdhsa_user_sgpr_count 13
		.amdhsa_user_sgpr_dispatch_ptr 0
		.amdhsa_user_sgpr_queue_ptr 0
		.amdhsa_user_sgpr_kernarg_segment_ptr 1
		.amdhsa_user_sgpr_dispatch_id 0
		.amdhsa_user_sgpr_private_segment_size 0
		.amdhsa_wavefront_size32 1
		.amdhsa_uses_dynamic_stack 0
		.amdhsa_enable_private_segment 0
		.amdhsa_system_sgpr_workgroup_id_x 1
		.amdhsa_system_sgpr_workgroup_id_y 1
		.amdhsa_system_sgpr_workgroup_id_z 1
		.amdhsa_system_sgpr_workgroup_info 0
		.amdhsa_system_vgpr_workitem_id 0
		.amdhsa_next_free_vgpr 124
		.amdhsa_next_free_sgpr 40
		.amdhsa_reserve_vcc 1
		.amdhsa_float_round_mode_32 0
		.amdhsa_float_round_mode_16_64 0
		.amdhsa_float_denorm_mode_32 3
		.amdhsa_float_denorm_mode_16_64 3
		.amdhsa_dx10_clamp 1
		.amdhsa_ieee_mode 1
		.amdhsa_fp16_overflow 0
		.amdhsa_workgroup_processor_mode 1
		.amdhsa_memory_ordered 1
		.amdhsa_forward_progress 0
		.amdhsa_shared_vgpr_count 0
		.amdhsa_exception_fp_ieee_invalid_op 0
		.amdhsa_exception_fp_denorm_src 0
		.amdhsa_exception_fp_ieee_div_zero 0
		.amdhsa_exception_fp_ieee_overflow 0
		.amdhsa_exception_fp_ieee_underflow 0
		.amdhsa_exception_fp_ieee_inexact 0
		.amdhsa_exception_int_div_zero 0
	.end_amdhsa_kernel
	.section	.text._Z39paged_attention_ll4mi_QKV_mfma16_kernelI14__hip_bfloat16hLN4vllm18Fp8KVCacheDataTypeE1EhLi32ELi64ELi256ELb1ELi10EL8MFMAType1EEvPKT_PKT0_S9_ifPKiSB_SB_iPKfiiiPfSE_PS4_PT2_iSD_SD_,"axG",@progbits,_Z39paged_attention_ll4mi_QKV_mfma16_kernelI14__hip_bfloat16hLN4vllm18Fp8KVCacheDataTypeE1EhLi32ELi64ELi256ELb1ELi10EL8MFMAType1EEvPKT_PKT0_S9_ifPKiSB_SB_iPKfiiiPfSE_PS4_PT2_iSD_SD_,comdat
.Lfunc_end1435:
	.size	_Z39paged_attention_ll4mi_QKV_mfma16_kernelI14__hip_bfloat16hLN4vllm18Fp8KVCacheDataTypeE1EhLi32ELi64ELi256ELb1ELi10EL8MFMAType1EEvPKT_PKT0_S9_ifPKiSB_SB_iPKfiiiPfSE_PS4_PT2_iSD_SD_, .Lfunc_end1435-_Z39paged_attention_ll4mi_QKV_mfma16_kernelI14__hip_bfloat16hLN4vllm18Fp8KVCacheDataTypeE1EhLi32ELi64ELi256ELb1ELi10EL8MFMAType1EEvPKT_PKT0_S9_ifPKiSB_SB_iPKfiiiPfSE_PS4_PT2_iSD_SD_
                                        ; -- End function
	.section	.AMDGPU.csdata,"",@progbits
; Kernel info:
; codeLenInByte = 8824
; NumSgprs: 42
; NumVgprs: 124
; ScratchSize: 0
; MemoryBound: 0
; FloatMode: 240
; IeeeMode: 1
; LDSByteSize: 17472 bytes/workgroup (compile time only)
; SGPRBlocks: 5
; VGPRBlocks: 15
; NumSGPRsForWavesPerEU: 42
; NumVGPRsForWavesPerEU: 124
; Occupancy: 10
; WaveLimiterHint : 1
; COMPUTE_PGM_RSRC2:SCRATCH_EN: 0
; COMPUTE_PGM_RSRC2:USER_SGPR: 13
; COMPUTE_PGM_RSRC2:TRAP_HANDLER: 0
; COMPUTE_PGM_RSRC2:TGID_X_EN: 1
; COMPUTE_PGM_RSRC2:TGID_Y_EN: 1
; COMPUTE_PGM_RSRC2:TGID_Z_EN: 1
; COMPUTE_PGM_RSRC2:TIDIG_COMP_CNT: 0
	.section	.text._Z39paged_attention_ll4mi_QKV_mfma16_kernelI14__hip_bfloat16hLN4vllm18Fp8KVCacheDataTypeE1EhLi32ELi64ELi256ELb1ELi11EL8MFMAType1EEvPKT_PKT0_S9_ifPKiSB_SB_iPKfiiiPfSE_PS4_PT2_iSD_SD_,"axG",@progbits,_Z39paged_attention_ll4mi_QKV_mfma16_kernelI14__hip_bfloat16hLN4vllm18Fp8KVCacheDataTypeE1EhLi32ELi64ELi256ELb1ELi11EL8MFMAType1EEvPKT_PKT0_S9_ifPKiSB_SB_iPKfiiiPfSE_PS4_PT2_iSD_SD_,comdat
	.protected	_Z39paged_attention_ll4mi_QKV_mfma16_kernelI14__hip_bfloat16hLN4vllm18Fp8KVCacheDataTypeE1EhLi32ELi64ELi256ELb1ELi11EL8MFMAType1EEvPKT_PKT0_S9_ifPKiSB_SB_iPKfiiiPfSE_PS4_PT2_iSD_SD_ ; -- Begin function _Z39paged_attention_ll4mi_QKV_mfma16_kernelI14__hip_bfloat16hLN4vllm18Fp8KVCacheDataTypeE1EhLi32ELi64ELi256ELb1ELi11EL8MFMAType1EEvPKT_PKT0_S9_ifPKiSB_SB_iPKfiiiPfSE_PS4_PT2_iSD_SD_
	.globl	_Z39paged_attention_ll4mi_QKV_mfma16_kernelI14__hip_bfloat16hLN4vllm18Fp8KVCacheDataTypeE1EhLi32ELi64ELi256ELb1ELi11EL8MFMAType1EEvPKT_PKT0_S9_ifPKiSB_SB_iPKfiiiPfSE_PS4_PT2_iSD_SD_
	.p2align	8
	.type	_Z39paged_attention_ll4mi_QKV_mfma16_kernelI14__hip_bfloat16hLN4vllm18Fp8KVCacheDataTypeE1EhLi32ELi64ELi256ELb1ELi11EL8MFMAType1EEvPKT_PKT0_S9_ifPKiSB_SB_iPKfiiiPfSE_PS4_PT2_iSD_SD_,@function
_Z39paged_attention_ll4mi_QKV_mfma16_kernelI14__hip_bfloat16hLN4vllm18Fp8KVCacheDataTypeE1EhLi32ELi64ELi256ELb1ELi11EL8MFMAType1EEvPKT_PKT0_S9_ifPKiSB_SB_iPKfiiiPfSE_PS4_PT2_iSD_SD_: ; @_Z39paged_attention_ll4mi_QKV_mfma16_kernelI14__hip_bfloat16hLN4vllm18Fp8KVCacheDataTypeE1EhLi32ELi64ELi256ELb1ELi11EL8MFMAType1EEvPKT_PKT0_S9_ifPKiSB_SB_iPKfiiiPfSE_PS4_PT2_iSD_SD_
; %bb.0:
	s_load_b64 s[2:3], s[0:1], 0x30
	s_mov_b32 s34, s13
	s_waitcnt lgkmcnt(0)
	s_cmp_lg_u64 s[2:3], 0
	s_cselect_b32 s8, -1, 0
	s_ashr_i32 s35, s13, 31
	s_cmp_eq_u64 s[2:3], 0
	s_cbranch_scc1 .LBB1436_3
; %bb.1:
	s_lshl_b64 s[4:5], s[34:35], 2
	s_delay_alu instid0(SALU_CYCLE_1) | instskip(SKIP_4) | instid1(SALU_CYCLE_1)
	s_add_u32 s4, s2, s4
	s_addc_u32 s5, s3, s5
	s_load_b64 s[4:5], s[4:5], 0x0
	s_waitcnt lgkmcnt(0)
	s_sub_i32 s4, s5, s4
	s_cmp_eq_u32 s4, 1
	s_cselect_b32 s4, -1, 0
	s_delay_alu instid0(SALU_CYCLE_1)
	s_and_not1_b32 vcc_lo, exec_lo, s4
	s_cbranch_vccz .LBB1436_4
.LBB1436_2:
	s_nop 0
	s_sendmsg sendmsg(MSG_DEALLOC_VGPRS)
	s_endpgm
.LBB1436_3:
.LBB1436_4:
	s_load_b64 s[4:5], s[0:1], 0x28
	s_lshl_b64 s[6:7], s[34:35], 2
	s_waitcnt lgkmcnt(0)
	s_add_u32 s4, s4, s6
	s_addc_u32 s5, s5, s7
	s_lshl_b32 s12, s14, 8
	s_load_b32 s24, s[4:5], 0x0
	s_waitcnt lgkmcnt(0)
	s_cmp_ge_i32 s12, s24
	s_cbranch_scc1 .LBB1436_2
; %bb.5:
	s_clause 0x1
	s_load_b128 s[20:23], s[0:1], 0x8
	s_load_b64 s[4:5], s[0:1], 0x20
	s_and_not1_b32 vcc_lo, exec_lo, s8
	s_cbranch_vccnz .LBB1436_7
; %bb.6:
	s_add_u32 s2, s2, s6
	s_addc_u32 s3, s3, s7
	s_load_b32 s3, s[2:3], 0x0
	s_branch .LBB1436_8
.LBB1436_7:
	s_mov_b32 s3, s34
.LBB1436_8:
	s_load_b128 s[16:19], s[0:1], 0x48
	v_lshrrev_b32_e32 v66, 5, v0
	v_bfe_u32 v74, v0, 4, 1
	v_and_b32_e32 v65, 15, v0
	v_and_b32_e32 v67, 31, v0
	;; [unrolled: 1-line block ×3, first 2 shown]
	s_mul_i32 s31, s15, 11
	v_lshl_or_b32 v1, v66, 1, v74
	v_lshlrev_b32_e32 v2, 3, v65
	v_cmp_gt_u32_e64 s2, 8, v65
	s_delay_alu instid0(VALU_DEP_3) | instskip(NEXT) | instid1(VALU_DEP_3)
	v_cmp_gt_u32_e32 vcc_lo, 11, v1
	v_lshlrev_b32_e32 v73, 1, v2
	s_delay_alu instid0(VALU_DEP_3) | instskip(NEXT) | instid1(SALU_CYCLE_1)
	s_and_b32 s7, s2, vcc_lo
	s_and_saveexec_b32 s6, s7
	s_cbranch_execz .LBB1436_10
; %bb.9:
	s_load_b64 s[8:9], s[0:1], 0x0
	v_add_lshl_u32 v2, v1, s31, 6
	s_waitcnt lgkmcnt(0)
	s_mul_hi_i32 s11, s3, s16
	s_mul_i32 s10, s3, s16
	v_lshlrev_b32_e32 v6, 10, v65
	s_lshl_b64 s[10:11], s[10:11], 1
	v_ashrrev_i32_e32 v3, 31, v2
	v_lshlrev_b32_e32 v1, 6, v1
	v_lshlrev_b32_e32 v7, 10, v75
	v_and_b32_e32 v6, 0x3800, v6
	s_delay_alu instid0(VALU_DEP_4) | instskip(NEXT) | instid1(VALU_DEP_2)
	v_lshlrev_b64 v[2:3], 1, v[2:3]
	v_or3_b32 v1, v6, v7, v1
	s_add_u32 s3, s8, s10
	s_addc_u32 s7, s9, s11
	s_delay_alu instid0(VALU_DEP_2) | instskip(NEXT) | instid1(VALU_DEP_3)
	v_add_co_u32 v2, vcc_lo, s3, v2
	v_add_co_ci_u32_e32 v3, vcc_lo, s7, v3, vcc_lo
	s_delay_alu instid0(VALU_DEP_2) | instskip(NEXT) | instid1(VALU_DEP_2)
	v_add_co_u32 v2, vcc_lo, v2, v73
	v_add_co_ci_u32_e32 v3, vcc_lo, 0, v3, vcc_lo
	global_load_b128 v[2:5], v[2:3], off
	s_waitcnt vmcnt(0)
	ds_store_b128 v1, v[2:5]
.LBB1436_10:
	s_or_b32 exec_lo, exec_lo, s6
	v_and_b32_e32 v1, 0xef, v0
	s_waitcnt lgkmcnt(0)
	s_add_i32 s3, s24, 31
	s_clause 0x1
	s_load_b32 s6, s[0:1], 0x38
	s_load_b32 s19, s[0:1], 0x1c
	s_ashr_i32 s7, s3, 31
	v_add_nc_u32_e32 v1, s12, v1
	s_lshr_b32 s7, s7, 27
	s_waitcnt lgkmcnt(0)
	s_add_i32 s3, s3, s7
	s_barrier
	v_ashrrev_i32_e32 v2, 31, v1
	v_or_b32_e32 v3, 16, v1
	s_ashr_i32 s3, s3, 5
	v_cmp_gt_i32_e32 vcc_lo, s24, v1
	s_add_i32 s3, s3, -1
	v_lshrrev_b32_e32 v2, 27, v2
	buffer_gl0_inv
	s_mul_i32 s27, s15, s18
	v_add_nc_u32_e32 v4, v1, v2
	s_mul_i32 s6, s34, s6
	s_delay_alu instid0(SALU_CYCLE_1) | instskip(NEXT) | instid1(VALU_DEP_1)
	s_ashr_i32 s7, s6, 31
	v_ashrrev_i32_e32 v4, 5, v4
	v_add_nc_u32_e32 v2, v3, v2
	s_lshl_b64 s[6:7], s[6:7], 2
	s_delay_alu instid0(SALU_CYCLE_1) | instskip(NEXT) | instid1(VALU_DEP_2)
	s_add_u32 s26, s4, s6
	v_cndmask_b32_e32 v1, s3, v4, vcc_lo
	s_delay_alu instid0(VALU_DEP_2)
	v_ashrrev_i32_e32 v2, 5, v2
	v_cmp_gt_i32_e32 vcc_lo, s24, v3
	s_addc_u32 s25, s5, s7
	s_ashr_i32 s28, s27, 31
	s_add_u32 s4, s20, s27
	s_addc_u32 s5, s21, s28
	v_cndmask_b32_e32 v3, s3, v2, vcc_lo
	v_ashrrev_i32_e32 v2, 31, v1
	s_lshl_b32 s6, s14, 3
	s_delay_alu instid0(SALU_CYCLE_1) | instskip(NEXT) | instid1(VALU_DEP_2)
	s_ashr_i32 s7, s6, 31
	v_ashrrev_i32_e32 v4, 31, v3
	s_delay_alu instid0(VALU_DEP_2) | instskip(SKIP_1) | instid1(SALU_CYCLE_1)
	v_lshlrev_b64 v[1:2], 2, v[1:2]
	s_lshl_b64 s[6:7], s[6:7], 2
	s_add_u32 s6, s26, s6
	s_delay_alu instid0(VALU_DEP_2) | instskip(SKIP_1) | instid1(VALU_DEP_2)
	v_lshlrev_b64 v[3:4], 2, v[3:4]
	s_addc_u32 s7, s25, s7
	v_add_co_u32 v1, vcc_lo, s26, v1
	v_add_co_ci_u32_e32 v2, vcc_lo, s25, v2, vcc_lo
	s_delay_alu instid0(VALU_DEP_3) | instskip(NEXT) | instid1(VALU_DEP_4)
	v_add_co_u32 v3, vcc_lo, s26, v3
	v_add_co_ci_u32_e32 v4, vcc_lo, s25, v4, vcc_lo
	s_clause 0x1
	global_load_b32 v5, v[1:2], off
	global_load_b32 v6, v[3:4], off
	s_or_b32 s8, s12, 32
	s_delay_alu instid0(SALU_CYCLE_1) | instskip(SKIP_2) | instid1(SALU_CYCLE_1)
	s_ashr_i32 s9, s8, 5
	s_cmp_lt_i32 s8, s24
	s_cselect_b32 s8, s9, s3
	s_ashr_i32 s9, s8, 31
	s_delay_alu instid0(SALU_CYCLE_1) | instskip(NEXT) | instid1(SALU_CYCLE_1)
	s_lshl_b64 s[8:9], s[8:9], 2
	s_add_u32 s8, s26, s8
	s_addc_u32 s9, s25, s9
	s_or_b32 s10, s12, 64
	s_delay_alu instid0(SALU_CYCLE_1) | instskip(SKIP_2) | instid1(SALU_CYCLE_1)
	s_ashr_i32 s11, s10, 5
	s_cmp_lt_i32 s10, s24
	s_cselect_b32 s10, s11, s3
	s_ashr_i32 s11, s10, 31
	s_delay_alu instid0(SALU_CYCLE_1) | instskip(NEXT) | instid1(SALU_CYCLE_1)
	s_lshl_b64 s[10:11], s[10:11], 2
	s_add_u32 s10, s26, s10
	s_addc_u32 s11, s25, s11
	;; [unrolled: 10-line block ×5, first 2 shown]
	s_clause 0x5
	s_load_b32 s21, s[6:7], 0x0
	s_load_b32 s13, s[8:9], 0x0
	;; [unrolled: 1-line block ×6, first 2 shown]
	s_or_b32 s8, s12, 0xc0
	s_delay_alu instid0(SALU_CYCLE_1) | instskip(SKIP_2) | instid1(SALU_CYCLE_1)
	s_ashr_i32 s9, s8, 5
	s_cmp_lt_i32 s8, s24
	s_cselect_b32 s36, s9, s3
	s_ashr_i32 s37, s36, 31
	s_delay_alu instid0(SALU_CYCLE_1) | instskip(NEXT) | instid1(SALU_CYCLE_1)
	s_lshl_b64 s[36:37], s[36:37], 2
	s_add_u32 s36, s26, s36
	s_addc_u32 s37, s25, s37
	s_or_b32 s29, s12, 0xe0
	s_delay_alu instid0(SALU_CYCLE_1)
	s_ashr_i32 s30, s29, 5
	s_cmp_lt_i32 s29, s24
	s_waitcnt vmcnt(1)
	v_mad_i64_i32 v[1:2], null, v5, s17, s[4:5]
	s_waitcnt vmcnt(0)
	v_mad_i64_i32 v[3:4], null, v6, s17, s[4:5]
	s_mov_b32 s4, 0
	s_delay_alu instid0(SALU_CYCLE_1)
	s_mov_b32 s5, s4
	s_mov_b32 s6, s4
	;; [unrolled: 1-line block ×7, first 2 shown]
	v_lshlrev_b32_e32 v5, 4, v65
	v_dual_mov_b32 v107, s11 :: v_dual_mov_b32 v102, s6
	v_mov_b32_e32 v100, s4
	v_mov_b32_e32 v106, s10
	s_delay_alu instid0(VALU_DEP_4)
	v_add_co_u32 v1, vcc_lo, v1, v5
	v_add_co_ci_u32_e32 v2, vcc_lo, 0, v2, vcc_lo
	v_add_co_u32 v3, vcc_lo, v3, v5
	v_add_co_ci_u32_e32 v4, vcc_lo, 0, v4, vcc_lo
	s_clause 0x7
	global_load_b128 v[49:52], v[1:2], off
	global_load_b128 v[53:56], v[1:2], off offset:512
	global_load_b128 v[76:79], v[3:4], off offset:256
	;; [unrolled: 1-line block ×7, first 2 shown]
	v_add_nc_u32_e32 v1, -11, v65
	v_cmp_gt_u32_e32 vcc_lo, 11, v65
	v_dual_mov_b32 v104, s8 :: v_dual_mov_b32 v103, s7
	v_dual_mov_b32 v101, s5 :: v_dual_lshlrev_b32 v2, 5, v65
	s_delay_alu instid0(VALU_DEP_4)
	v_cndmask_b32_e32 v1, v1, v65, vcc_lo
	v_mov_b32_e32 v105, s9
	s_cselect_b32 s4, s30, s3
	s_load_b32 s3, s[36:37], 0x0
	s_ashr_i32 s5, s4, 31
	v_lshlrev_b32_e32 v70, 6, v1
	s_lshl_b64 s[4:5], s[4:5], 2
	v_lshl_or_b32 v2, v66, 9, v2
	s_add_u32 s4, s26, s4
	s_addc_u32 s5, s25, s5
	ds_load_b128 v[108:111], v70
	ds_load_b128 v[112:115], v70 offset:1024
	s_load_b32 s4, s[4:5], 0x0
	s_add_u32 s6, s22, s27
	s_addc_u32 s7, s23, s28
	v_add_co_u32 v9, s6, s6, v2
	s_delay_alu instid0(VALU_DEP_1) | instskip(SKIP_1) | instid1(VALU_DEP_1)
	v_add_co_ci_u32_e64 v10, null, s7, 0, s6
	s_waitcnt lgkmcnt(0)
	v_mad_i64_i32 v[1:2], null, s21, s17, v[9:10]
	v_mad_i64_i32 v[3:4], null, s13, s17, v[9:10]
	;; [unrolled: 1-line block ×7, first 2 shown]
	s_clause 0x9
	global_load_b128 v[57:60], v[1:2], off
	global_load_b128 v[61:64], v[1:2], off offset:16
	global_load_b128 v[41:44], v[3:4], off
	global_load_b128 v[45:48], v[3:4], off offset:16
	global_load_b128 v[33:36], v[5:6], off
	global_load_b128 v[37:40], v[5:6], off offset:16
	global_load_b128 v[25:28], v[7:8], off
	global_load_b128 v[29:32], v[7:8], off offset:16
	global_load_b128 v[1:4], v[11:12], off
	global_load_b128 v[5:8], v[11:12], off offset:16
	v_mad_i64_i32 v[68:69], null, s4, s17, v[9:10]
	s_clause 0x3
	global_load_b128 v[9:12], v[13:14], off
	global_load_b128 v[13:16], v[13:14], off offset:16
	global_load_b128 v[17:20], v[21:22], off
	global_load_b128 v[21:24], v[21:22], off offset:16
	s_waitcnt vmcnt(20)
	v_wmma_f32_16x16x16_bf16 v[116:123], v[49:56], v[108:115], v[100:107]
	s_clause 0x1
	global_load_b128 v[49:52], v[68:69], off
	global_load_b128 v[53:56], v[68:69], off offset:16
	v_and_b32_e32 v68, 0xe0, v0
	v_mbcnt_lo_u32_b32 v69, -1, 0
	s_delay_alu instid0(VALU_DEP_2)
	v_add_nc_u32_e32 v68, s12, v68
	s_waitcnt vmcnt(20)
	v_wmma_f32_16x16x16_bf16 v[100:107], v[76:83], v[108:115], v[100:107]
	ds_load_b128 v[76:79], v70 offset:2048
	ds_load_b128 v[80:83], v70 offset:3072
	v_xor_b32_e32 v70, 16, v69
	s_waitcnt vmcnt(0) lgkmcnt(0)
	v_or_b32_e32 v68, v68, v74
	s_barrier
	buffer_gl0_inv
	v_cmp_gt_i32_e32 vcc_lo, 32, v70
	v_or_b32_e32 v71, 4, v68
	v_or_b32_e32 v72, 6, v68
	v_cmp_gt_i32_e64 s3, s24, v68
	v_or_b32_e32 v108, 8, v68
	v_or_b32_e32 v109, 10, v68
	v_cmp_gt_i32_e64 s4, s24, v71
	v_cmp_gt_i32_e64 s5, s24, v72
	s_delay_alu instid0(VALU_DEP_4) | instskip(NEXT) | instid1(VALU_DEP_4)
	v_cmp_gt_i32_e64 s6, s24, v108
	v_cmp_gt_i32_e64 s7, s24, v109
	v_wmma_f32_16x16x16_bf16 v[116:123], v[84:91], v[76:83], v[116:123]
	v_cndmask_b32_e32 v69, v69, v70, vcc_lo
	v_or_b32_e32 v70, 2, v68
	v_wmma_f32_16x16x16_bf16 v[100:107], v[92:99], v[76:83], v[100:107]
	v_or_b32_e32 v89, 22, v68
	v_dual_mul_f32 v80, s19, v121 :: v_dual_mul_f32 v81, s19, v120
	v_dual_mul_f32 v92, s19, v117 :: v_dual_mul_f32 v93, s19, v116
	s_delay_alu instid0(VALU_DEP_4)
	v_mul_f32_e32 v96, s19, v105
	v_cmp_gt_i32_e32 vcc_lo, s24, v70
	v_dual_mul_f32 v79, s19, v122 :: v_dual_mul_f32 v82, s19, v119
	v_dual_mul_f32 v83, s19, v118 :: v_dual_mul_f32 v94, s19, v107
	v_cndmask_b32_e64 v93, 0xff7fffff, v93, s3
	v_cndmask_b32_e32 v92, 0xff7fffff, v92, vcc_lo
	v_or_b32_e32 v84, 12, v68
	v_or_b32_e32 v85, 14, v68
	v_cndmask_b32_e64 v71, 0xff7fffff, v83, s4
	v_cndmask_b32_e64 v72, 0xff7fffff, v82, s5
	v_cmp_gt_i32_e64 s13, s24, v89
	v_lshlrev_b32_e32 v89, 2, v69
	v_max3_f32 v82, v93, 0xff7fffff, v92
	v_or_b32_e32 v86, 16, v68
	v_or_b32_e32 v87, 18, v68
	v_mul_f32_e32 v78, s19, v123
	v_cndmask_b32_e64 v81, 0xff7fffff, v81, s6
	v_cndmask_b32_e64 v80, 0xff7fffff, v80, s7
	v_max3_f32 v71, v82, v71, v72
	v_cmp_gt_i32_e64 s8, s24, v84
	v_cmp_gt_i32_e64 s9, s24, v85
	v_or_b32_e32 v88, 20, v68
	v_or_b32_e32 v90, 24, v68
	;; [unrolled: 1-line block ×5, first 2 shown]
	v_dual_mul_f32 v97, s19, v104 :: v_dual_mul_f32 v70, s19, v101
	v_dual_mul_f32 v99, s19, v102 :: v_dual_mul_f32 v68, s19, v100
	v_cndmask_b32_e64 v72, 0xff7fffff, v79, s8
	v_cndmask_b32_e64 v78, 0xff7fffff, v78, s9
	v_max3_f32 v71, v71, v81, v80
	v_cmp_gt_i32_e64 s10, s24, v86
	v_cmp_gt_i32_e64 s11, s24, v87
	v_dual_mul_f32 v95, s19, v106 :: v_dual_mul_f32 v98, s19, v103
	s_delay_alu instid0(VALU_DEP_4) | instskip(NEXT) | instid1(VALU_DEP_4)
	v_max3_f32 v71, v71, v72, v78
	v_cndmask_b32_e64 v68, 0xff7fffff, v68, s10
	s_delay_alu instid0(VALU_DEP_4)
	v_cndmask_b32_e64 v70, 0xff7fffff, v70, s11
	v_cmp_gt_i32_e64 s12, s24, v88
	v_cndmask_b32_e64 v78, 0xff7fffff, v98, s13
	v_cmp_gt_i32_e64 s15, s24, v90
	v_cmp_gt_i32_e64 s16, s24, v91
	v_max3_f32 v68, v71, v68, v70
	v_cndmask_b32_e64 v72, 0xff7fffff, v99, s12
	v_cmp_gt_i32_e64 s17, s24, v76
	v_cndmask_b32_e64 v70, 0xff7fffff, v97, s15
	v_cndmask_b32_e64 v71, 0xff7fffff, v96, s16
	v_cmp_gt_i32_e64 s18, s24, v77
	v_max3_f32 v68, v68, v72, v78
	v_cndmask_b32_e64 v72, 0xff7fffff, v95, s17
	s_delay_alu instid0(VALU_DEP_3) | instskip(NEXT) | instid1(VALU_DEP_3)
	v_cndmask_b32_e64 v76, 0xff7fffff, v94, s18
	v_max3_f32 v68, v68, v70, v71
	s_delay_alu instid0(VALU_DEP_1) | instskip(SKIP_3) | instid1(VALU_DEP_1)
	v_max3_f32 v68, v68, v72, v76
	ds_bpermute_b32 v69, v89, v68
	s_waitcnt lgkmcnt(0)
	v_max_f32_e32 v69, v69, v69
	v_max_f32_e32 v68, v68, v69
	s_delay_alu instid0(VALU_DEP_1) | instskip(NEXT) | instid1(VALU_DEP_1)
	v_fma_f32 v71, s19, v118, -v68
	v_mul_f32_e32 v71, 0x3fb8aa3b, v71
	v_fma_f32 v70, s19, v117, -v68
	v_fma_f32 v69, s19, v116, -v68
	;; [unrolled: 1-line block ×5, first 2 shown]
	s_delay_alu instid0(VALU_DEP_4) | instskip(SKIP_1) | instid1(VALU_DEP_3)
	v_dual_mul_f32 v70, 0x3fb8aa3b, v70 :: v_dual_mul_f32 v69, 0x3fb8aa3b, v69
	v_exp_f32_e32 v71, v71
	v_mul_f32_e32 v72, 0x3fb8aa3b, v72
	v_fma_f32 v81, s19, v105, -v68
	s_delay_alu instid0(VALU_DEP_3)
	v_exp_f32_e32 v70, v70
	v_mul_f32_e32 v77, 0x3fb8aa3b, v76
	v_exp_f32_e32 v69, v69
	v_exp_f32_e32 v72, v72
	v_mul_f32_e32 v81, 0x3fb8aa3b, v81
	v_cndmask_b32_e64 v83, 0, v71, s4
	v_fma_f32 v71, s19, v123, -v68
	s_delay_alu instid0(VALU_DEP_3) | instskip(SKIP_4) | instid1(TRANS32_DEP_3)
	v_exp_f32_e32 v81, v81
	v_cndmask_b32_e32 v76, 0, v70, vcc_lo
	v_exp_f32_e32 v77, v77
	v_cndmask_b32_e64 v80, 0, v69, s3
	v_fma_f32 v69, s19, v121, -v68
	v_cndmask_b32_e64 v85, 0, v72, s5
	v_mul_f32_e32 v71, 0x3fb8aa3b, v71
	v_fma_f32 v72, s19, v100, -v68
	s_delay_alu instid0(VALU_DEP_4) | instskip(SKIP_1) | instid1(VALU_DEP_4)
	v_dual_add_f32 v70, 0, v80 :: v_dual_mul_f32 v69, 0x3fb8aa3b, v69
	v_cmp_gt_u32_e64 s3, 16, v67
	v_exp_f32_e32 v71, v71
	s_delay_alu instid0(TRANS32_DEP_2) | instskip(SKIP_4) | instid1(VALU_DEP_3)
	v_cndmask_b32_e64 v86, 0, v77, s6
	v_fma_f32 v77, s19, v101, -v68
	v_mul_f32_e32 v78, 0x3fb8aa3b, v78
	v_add_f32_e32 v70, v70, v76
	v_exp_f32_e32 v69, v69
	v_mul_f32_e32 v77, 0x3fb8aa3b, v77
	s_delay_alu instid0(VALU_DEP_3) | instskip(NEXT) | instid1(TRANS32_DEP_3)
	v_exp_f32_e32 v78, v78
	v_cndmask_b32_e64 v88, 0, v71, s9
	v_fma_f32 v71, s19, v104, -v68
	s_delay_alu instid0(VALU_DEP_3) | instskip(NEXT) | instid1(TRANS32_DEP_3)
	v_exp_f32_e32 v77, v77
	v_cndmask_b32_e64 v87, 0, v69, s7
	s_delay_alu instid0(VALU_DEP_2)
	v_mul_f32_e32 v71, 0x3fb8aa3b, v71
	s_waitcnt_depctr 0xfff
	v_cndmask_b32_e64 v84, 0, v78, s8
	v_add_f32_e32 v70, v70, v83
	v_fma_f32 v78, s19, v103, -v68
	v_exp_f32_e32 v82, v71
	s_delay_alu instid0(VALU_DEP_2) | instskip(SKIP_1) | instid1(VALU_DEP_3)
	v_add_f32_e32 v70, v70, v85
	v_mul_f32_e32 v72, 0x3fb8aa3b, v72
	v_mul_f32_e32 v78, 0x3fb8aa3b, v78
	s_delay_alu instid0(VALU_DEP_3) | instskip(SKIP_1) | instid1(VALU_DEP_4)
	v_add_f32_e32 v69, v70, v86
	v_fma_f32 v70, s19, v102, -v68
	v_exp_f32_e32 v72, v72
	s_delay_alu instid0(VALU_DEP_3) | instskip(NEXT) | instid1(VALU_DEP_1)
	v_exp_f32_e32 v78, v78
	v_dual_add_f32 v69, v69, v87 :: v_dual_mul_f32 v70, 0x3fb8aa3b, v70
	s_delay_alu instid0(VALU_DEP_1) | instskip(NEXT) | instid1(VALU_DEP_2)
	v_add_f32_e32 v69, v69, v84
	v_exp_f32_e32 v79, v70
	s_delay_alu instid0(TRANS32_DEP_3) | instskip(NEXT) | instid1(VALU_DEP_2)
	v_cndmask_b32_e64 v70, 0, v72, s10
	v_add_f32_e32 v72, v69, v88
	v_cndmask_b32_e64 v69, 0, v77, s11
	v_fma_f32 v77, s19, v106, -v68
	s_waitcnt_depctr 0xfff
	v_cndmask_b32_e64 v71, 0, v79, s12
	v_dual_mul_f32 v77, 0x3fb8aa3b, v77 :: v_dual_add_f32 v72, v72, v70
	s_delay_alu instid0(VALU_DEP_1) | instskip(NEXT) | instid1(VALU_DEP_1)
	v_exp_f32_e32 v90, v77
	v_add_f32_e32 v79, v72, v69
	v_cndmask_b32_e64 v72, 0, v78, s13
	v_cndmask_b32_e64 v77, 0, v82, s15
	s_delay_alu instid0(VALU_DEP_3) | instskip(SKIP_1) | instid1(VALU_DEP_1)
	v_add_f32_e32 v78, v79, v71
	v_fma_f32 v79, s19, v107, -v68
	v_dual_add_f32 v82, v78, v72 :: v_dual_mul_f32 v79, 0x3fb8aa3b, v79
	v_cndmask_b32_e64 v78, 0, v81, s16
	s_delay_alu instid0(VALU_DEP_2) | instskip(NEXT) | instid1(VALU_DEP_3)
	v_add_f32_e32 v81, v82, v77
	v_exp_f32_e32 v82, v79
	v_cndmask_b32_e64 v79, 0, v90, s17
	s_delay_alu instid0(VALU_DEP_2) | instskip(NEXT) | instid1(VALU_DEP_1)
	v_add_f32_e32 v81, v81, v78
	v_add_f32_e32 v90, v81, v79
	s_waitcnt_depctr 0xfff
	v_cndmask_b32_e64 v81, 0, v82, s18
	s_delay_alu instid0(VALU_DEP_1)
	v_add_f32_e32 v82, v90, v81
	ds_bpermute_b32 v89, v89, v82
	s_and_saveexec_b32 s4, s3
	s_cbranch_execz .LBB1436_12
; %bb.11:
	v_mul_u32_u24_e32 v67, 0x44, v66
	s_delay_alu instid0(VALU_DEP_1) | instskip(SKIP_1) | instid1(VALU_DEP_1)
	v_lshl_add_u32 v67, v65, 2, v67
	s_waitcnt lgkmcnt(0)
	v_dual_add_f32 v82, v82, v89 :: v_dual_add_nc_u32 v67, 0x4000, v67
	ds_store_2addr_b32 v67, v68, v82 offset1:136
.LBB1436_12:
	s_or_b32 exec_lo, exec_lo, s4
	v_lshlrev_b32_e32 v67, 2, v65
	s_waitcnt lgkmcnt(0)
	s_barrier
	buffer_gl0_inv
	v_cmp_eq_u32_e32 vcc_lo, 1, v66
	v_add_nc_u32_e32 v82, 0x4000, v67
	v_cmp_eq_u32_e64 s4, 2, v66
	v_cmp_eq_u32_e64 s6, 7, v66
	ds_load_2addr_b32 v[89:90], v82 offset1:17
	ds_load_2addr_b32 v[91:92], v82 offset0:34 offset1:51
	ds_load_2addr_b32 v[93:94], v82 offset0:68 offset1:85
	;; [unrolled: 1-line block ×4, first 2 shown]
	s_waitcnt lgkmcnt(4)
	v_max3_f32 v67, v89, 0xff7fffff, v90
	s_waitcnt lgkmcnt(3)
	s_delay_alu instid0(VALU_DEP_1) | instskip(SKIP_1) | instid1(VALU_DEP_1)
	v_max3_f32 v67, v67, v91, v92
	s_waitcnt lgkmcnt(2)
	v_max3_f32 v67, v67, v93, v94
	s_waitcnt lgkmcnt(1)
	s_delay_alu instid0(VALU_DEP_1) | instskip(NEXT) | instid1(VALU_DEP_1)
	v_max3_f32 v67, v67, v95, v96
	v_sub_f32_e32 v93, v93, v67
	s_delay_alu instid0(VALU_DEP_1) | instskip(NEXT) | instid1(VALU_DEP_1)
	v_dual_sub_f32 v68, v89, v67 :: v_dual_mul_f32 v103, 0x3fb8aa3b, v93
	v_mul_f32_e32 v68, 0x3fb8aa3b, v68
	s_delay_alu instid0(VALU_DEP_1)
	v_exp_f32_e32 v100, v68
	v_sub_f32_e32 v68, v92, v67
	v_sub_f32_e32 v99, v90, v67
	ds_load_2addr_b32 v[89:90], v82 offset0:170 offset1:187
	v_dual_mul_f32 v102, 0x3fb8aa3b, v68 :: v_dual_mul_f32 v99, 0x3fb8aa3b, v99
	s_waitcnt lgkmcnt(1)
	v_fma_f32 v68, v100, v97, 0
	s_delay_alu instid0(VALU_DEP_2) | instskip(NEXT) | instid1(VALU_DEP_2)
	v_exp_f32_e32 v102, v102
	v_exp_f32_e32 v99, v99
	s_waitcnt_depctr 0xfff
	v_fmac_f32_e32 v68, v99, v98
	v_sub_f32_e32 v91, v91, v67
	s_delay_alu instid0(VALU_DEP_1)
	v_mul_f32_e32 v101, 0x3fb8aa3b, v91
	ds_load_2addr_b32 v[91:92], v82 offset0:204 offset1:221
	v_sub_f32_e32 v97, v94, v67
	ds_load_2addr_b32 v[93:94], v82 offset0:238 offset1:255
	s_waitcnt lgkmcnt(0)
	v_exp_f32_e32 v101, v101
	s_barrier
	buffer_gl0_inv
	v_dual_fmac_f32 v68, v101, v89 :: v_dual_sub_f32 v89, v96, v67
	v_dual_sub_f32 v82, v95, v67 :: v_dual_mul_f32 v95, 0x3fb8aa3b, v97
	v_exp_f32_e32 v97, v103
	s_delay_alu instid0(VALU_DEP_2) | instskip(NEXT) | instid1(VALU_DEP_2)
	v_dual_fmac_f32 v68, v102, v90 :: v_dual_mul_f32 v89, 0x3fb8aa3b, v89
	v_mul_f32_e32 v82, 0x3fb8aa3b, v82
	s_delay_alu instid0(VALU_DEP_3) | instskip(NEXT) | instid1(VALU_DEP_2)
	v_exp_f32_e32 v95, v95
	v_exp_f32_e32 v89, v89
	s_delay_alu instid0(VALU_DEP_1)
	v_exp_f32_e32 v82, v82
	v_fmac_f32_e32 v68, v97, v91
	s_delay_alu instid0(TRANS32_DEP_3) | instid1(VALU_DEP_1)
	v_fmac_f32_e32 v68, v95, v92
	s_waitcnt_depctr 0xfff
	v_fmac_f32_e32 v68, v82, v93
	s_delay_alu instid0(VALU_DEP_1) | instskip(NEXT) | instid1(VALU_DEP_1)
	v_fmac_f32_e32 v68, v89, v94
	v_add_f32_e32 v90, 0x358637bd, v68
	s_delay_alu instid0(VALU_DEP_1) | instskip(NEXT) | instid1(VALU_DEP_1)
	v_div_scale_f32 v91, null, v90, v90, 1.0
	v_rcp_f32_e32 v92, v91
	s_waitcnt_depctr 0xfff
	v_fma_f32 v93, -v91, v92, 1.0
	s_delay_alu instid0(VALU_DEP_1) | instskip(SKIP_1) | instid1(VALU_DEP_2)
	v_dual_fmac_f32 v92, v93, v92 :: v_dual_cndmask_b32 v93, v100, v99
	v_cmp_eq_u32_e32 vcc_lo, 3, v66
	v_cndmask_b32_e64 v93, v93, v101, s4
	v_cmp_eq_u32_e64 s4, 4, v66
	s_delay_alu instid0(VALU_DEP_2) | instskip(SKIP_1) | instid1(VALU_DEP_2)
	v_cndmask_b32_e32 v93, v93, v102, vcc_lo
	v_cmp_eq_u32_e32 vcc_lo, 5, v66
	v_cndmask_b32_e64 v93, v93, v97, s4
	v_cmp_eq_u32_e64 s4, 6, v66
	s_delay_alu instid0(VALU_DEP_2) | instskip(SKIP_1) | instid1(VALU_DEP_1)
	v_cndmask_b32_e32 v93, v93, v95, vcc_lo
	v_div_scale_f32 v94, s5, 1.0, v90, 1.0
	s_mov_b32 vcc_lo, s5
	s_delay_alu instid0(VALU_DEP_2) | instskip(NEXT) | instid1(VALU_DEP_2)
	v_cndmask_b32_e64 v82, v93, v82, s4
	v_mul_f32_e32 v96, v94, v92
	s_mov_b32 s4, exec_lo
	s_delay_alu instid0(VALU_DEP_2) | instskip(NEXT) | instid1(VALU_DEP_2)
	v_cndmask_b32_e64 v82, v82, v89, s6
	v_fma_f32 v98, -v91, v96, v94
	s_delay_alu instid0(VALU_DEP_1) | instskip(NEXT) | instid1(VALU_DEP_1)
	v_fmac_f32_e32 v96, v98, v92
	v_fma_f32 v91, -v91, v96, v94
	s_delay_alu instid0(VALU_DEP_1) | instskip(NEXT) | instid1(VALU_DEP_1)
	v_div_fmas_f32 v91, v91, v92, v96
	v_div_fixup_f32 v90, v91, v90, 1.0
	s_delay_alu instid0(VALU_DEP_1) | instskip(NEXT) | instid1(VALU_DEP_1)
	v_mul_f32_e32 v82, v82, v90
	v_mul_f32_e32 v87, v82, v87
	;; [unrolled: 1-line block ×7, first 2 shown]
	v_dual_mul_f32 v86, v82, v83 :: v_dual_and_b32 v91, 0x7f800000, v90
	v_mul_f32_e32 v85, v82, v76
                                        ; implicit-def: $vgpr76
	s_delay_alu instid0(VALU_DEP_2)
	v_cmpx_ne_u32_e32 0x7f800000, v91
	s_xor_b32 s4, exec_lo, s4
; %bb.13:
	v_bfe_u32 v76, v90, 16, 1
	s_delay_alu instid0(VALU_DEP_1)
	v_add3_u32 v76, v90, v76, 0x7fff
                                        ; implicit-def: $vgpr90
; %bb.14:
	s_and_not1_saveexec_b32 s4, s4
; %bb.15:
	v_and_b32_e32 v76, 0xffff, v90
	v_or_b32_e32 v83, 0x10000, v90
	s_delay_alu instid0(VALU_DEP_2) | instskip(NEXT) | instid1(VALU_DEP_2)
	v_cmp_eq_u32_e32 vcc_lo, 0, v76
	v_cndmask_b32_e32 v76, v83, v90, vcc_lo
; %bb.16:
	s_or_b32 exec_lo, exec_lo, s4
	v_and_b32_e32 v83, 0x7f800000, v85
	s_delay_alu instid0(VALU_DEP_1) | instskip(SKIP_1) | instid1(SALU_CYCLE_1)
	v_cmp_ne_u32_e32 vcc_lo, 0x7f800000, v83
                                        ; implicit-def: $vgpr83
	s_and_saveexec_b32 s4, vcc_lo
	s_xor_b32 s4, exec_lo, s4
; %bb.17:
	v_bfe_u32 v83, v85, 16, 1
	s_delay_alu instid0(VALU_DEP_1)
	v_add3_u32 v83, v85, v83, 0x7fff
                                        ; implicit-def: $vgpr85
; %bb.18:
	s_and_not1_saveexec_b32 s4, s4
; %bb.19:
	v_and_b32_e32 v83, 0xffff, v85
	v_or_b32_e32 v90, 0x10000, v85
	s_delay_alu instid0(VALU_DEP_2) | instskip(NEXT) | instid1(VALU_DEP_2)
	v_cmp_eq_u32_e32 vcc_lo, 0, v83
	v_cndmask_b32_e32 v83, v90, v85, vcc_lo
; %bb.20:
	s_or_b32 exec_lo, exec_lo, s4
	v_and_b32_e32 v85, 0x7f800000, v86
	s_delay_alu instid0(VALU_DEP_1) | instskip(SKIP_1) | instid1(SALU_CYCLE_1)
	v_cmp_ne_u32_e32 vcc_lo, 0x7f800000, v85
                                        ; implicit-def: $vgpr85
	s_and_saveexec_b32 s4, vcc_lo
	s_xor_b32 s4, exec_lo, s4
; %bb.21:
	v_bfe_u32 v85, v86, 16, 1
	s_delay_alu instid0(VALU_DEP_1)
	v_add3_u32 v85, v86, v85, 0x7fff
                                        ; implicit-def: $vgpr86
; %bb.22:
	s_and_not1_saveexec_b32 s4, s4
; %bb.23:
	v_and_b32_e32 v85, 0xffff, v86
	v_or_b32_e32 v90, 0x10000, v86
	s_delay_alu instid0(VALU_DEP_2) | instskip(NEXT) | instid1(VALU_DEP_2)
	v_cmp_eq_u32_e32 vcc_lo, 0, v85
	v_cndmask_b32_e32 v85, v90, v86, vcc_lo
; %bb.24:
	s_or_b32 exec_lo, exec_lo, s4
	v_and_b32_e32 v86, 0x7f800000, v89
	s_delay_alu instid0(VALU_DEP_1) | instskip(SKIP_1) | instid1(SALU_CYCLE_1)
	v_cmp_ne_u32_e32 vcc_lo, 0x7f800000, v86
                                        ; implicit-def: $vgpr86
	s_and_saveexec_b32 s4, vcc_lo
	s_xor_b32 s4, exec_lo, s4
; %bb.25:
	v_bfe_u32 v86, v89, 16, 1
	s_delay_alu instid0(VALU_DEP_1)
	v_add3_u32 v86, v89, v86, 0x7fff
                                        ; implicit-def: $vgpr89
; %bb.26:
	s_and_not1_saveexec_b32 s4, s4
; %bb.27:
	v_and_b32_e32 v86, 0xffff, v89
	v_or_b32_e32 v90, 0x10000, v89
	s_delay_alu instid0(VALU_DEP_2) | instskip(NEXT) | instid1(VALU_DEP_2)
	v_cmp_eq_u32_e32 vcc_lo, 0, v86
	v_cndmask_b32_e32 v86, v90, v89, vcc_lo
; %bb.28:
	s_or_b32 exec_lo, exec_lo, s4
	v_and_b32_e32 v89, 0x7f800000, v88
	s_delay_alu instid0(VALU_DEP_1) | instskip(SKIP_1) | instid1(SALU_CYCLE_1)
	v_cmp_ne_u32_e32 vcc_lo, 0x7f800000, v89
                                        ; implicit-def: $vgpr89
	s_and_saveexec_b32 s4, vcc_lo
	s_xor_b32 s4, exec_lo, s4
; %bb.29:
	v_bfe_u32 v89, v88, 16, 1
	s_delay_alu instid0(VALU_DEP_1)
	v_add3_u32 v89, v88, v89, 0x7fff
                                        ; implicit-def: $vgpr88
; %bb.30:
	s_and_not1_saveexec_b32 s4, s4
; %bb.31:
	v_and_b32_e32 v89, 0xffff, v88
	v_or_b32_e32 v90, 0x10000, v88
	s_delay_alu instid0(VALU_DEP_2) | instskip(NEXT) | instid1(VALU_DEP_2)
	v_cmp_eq_u32_e32 vcc_lo, 0, v89
	v_cndmask_b32_e32 v89, v90, v88, vcc_lo
; %bb.32:
	s_or_b32 exec_lo, exec_lo, s4
	v_and_b32_e32 v88, 0x7f800000, v87
	s_delay_alu instid0(VALU_DEP_1) | instskip(SKIP_1) | instid1(SALU_CYCLE_1)
	v_cmp_ne_u32_e32 vcc_lo, 0x7f800000, v88
                                        ; implicit-def: $vgpr88
	s_and_saveexec_b32 s4, vcc_lo
	s_xor_b32 s4, exec_lo, s4
; %bb.33:
	v_bfe_u32 v88, v87, 16, 1
	s_delay_alu instid0(VALU_DEP_1)
	v_add3_u32 v88, v87, v88, 0x7fff
                                        ; implicit-def: $vgpr87
; %bb.34:
	s_and_not1_saveexec_b32 s4, s4
; %bb.35:
	v_and_b32_e32 v88, 0xffff, v87
	v_or_b32_e32 v90, 0x10000, v87
	s_delay_alu instid0(VALU_DEP_2) | instskip(NEXT) | instid1(VALU_DEP_2)
	v_cmp_eq_u32_e32 vcc_lo, 0, v88
	v_cndmask_b32_e32 v88, v90, v87, vcc_lo
; %bb.36:
	s_or_b32 exec_lo, exec_lo, s4
	v_and_b32_e32 v87, 0x7f800000, v84
	s_delay_alu instid0(VALU_DEP_1) | instskip(SKIP_1) | instid1(SALU_CYCLE_1)
	v_cmp_ne_u32_e32 vcc_lo, 0x7f800000, v87
                                        ; implicit-def: $vgpr87
	s_and_saveexec_b32 s4, vcc_lo
	s_xor_b32 s4, exec_lo, s4
; %bb.37:
	v_bfe_u32 v87, v84, 16, 1
	s_delay_alu instid0(VALU_DEP_1)
	v_add3_u32 v87, v84, v87, 0x7fff
                                        ; implicit-def: $vgpr84
; %bb.38:
	s_and_not1_saveexec_b32 s4, s4
; %bb.39:
	v_and_b32_e32 v87, 0xffff, v84
	v_or_b32_e32 v90, 0x10000, v84
	s_delay_alu instid0(VALU_DEP_2) | instskip(NEXT) | instid1(VALU_DEP_2)
	v_cmp_eq_u32_e32 vcc_lo, 0, v87
	v_cndmask_b32_e32 v87, v90, v84, vcc_lo
; %bb.40:
	s_or_b32 exec_lo, exec_lo, s4
	v_and_b32_e32 v84, 0x7f800000, v80
	s_delay_alu instid0(VALU_DEP_1) | instskip(SKIP_1) | instid1(SALU_CYCLE_1)
	v_cmp_ne_u32_e32 vcc_lo, 0x7f800000, v84
                                        ; implicit-def: $vgpr84
	s_and_saveexec_b32 s4, vcc_lo
	s_xor_b32 s4, exec_lo, s4
; %bb.41:
	v_bfe_u32 v84, v80, 16, 1
	s_delay_alu instid0(VALU_DEP_1)
	v_add3_u32 v84, v80, v84, 0x7fff
                                        ; implicit-def: $vgpr80
; %bb.42:
	s_and_not1_saveexec_b32 s4, s4
; %bb.43:
	v_and_b32_e32 v84, 0xffff, v80
	v_or_b32_e32 v90, 0x10000, v80
	s_delay_alu instid0(VALU_DEP_2) | instskip(NEXT) | instid1(VALU_DEP_2)
	v_cmp_eq_u32_e32 vcc_lo, 0, v84
	v_cndmask_b32_e32 v84, v90, v80, vcc_lo
; %bb.44:
	s_or_b32 exec_lo, exec_lo, s4
	s_load_b64 s[36:37], s[0:1], 0x94
	v_lshlrev_b32_e32 v91, 4, v74
	s_delay_alu instid0(VALU_DEP_2)
	v_perm_b32 v90, v84, v87, 0x7060302
	v_dual_mul_f32 v79, v82, v79 :: v_dual_lshlrev_b32 v80, 6, v65
	v_dual_mul_f32 v77, v82, v77 :: v_dual_lshlrev_b32 v92, 11, v66
	v_mul_f32_e32 v84, v82, v70
	v_perm_b32 v89, v88, v89, 0x7060302
	v_perm_b32 v88, v86, v85, 0x7060302
	;; [unrolled: 1-line block ×3, first 2 shown]
	v_mul_f32_e32 v70, v82, v81
	v_or3_b32 v76, v91, v92, v80
	v_dual_mul_f32 v78, v82, v78 :: v_dual_and_b32 v85, 0x7f800000, v84
	v_mul_f32_e32 v83, v82, v72
	v_mul_f32_e32 v81, v82, v71
	;; [unrolled: 1-line block ×3, first 2 shown]
	s_mov_b32 s4, exec_lo
	ds_store_b128 v76, v[87:90]
                                        ; implicit-def: $vgpr69
	v_cmpx_ne_u32_e32 0x7f800000, v85
	s_xor_b32 s4, exec_lo, s4
; %bb.45:
	v_bfe_u32 v69, v84, 16, 1
	s_delay_alu instid0(VALU_DEP_1)
	v_add3_u32 v69, v84, v69, 0x7fff
                                        ; implicit-def: $vgpr84
; %bb.46:
	s_and_not1_saveexec_b32 s4, s4
; %bb.47:
	v_and_b32_e32 v69, 0xffff, v84
	v_or_b32_e32 v71, 0x10000, v84
	s_delay_alu instid0(VALU_DEP_2) | instskip(NEXT) | instid1(VALU_DEP_2)
	v_cmp_eq_u32_e32 vcc_lo, 0, v69
	v_cndmask_b32_e32 v69, v71, v84, vcc_lo
; %bb.48:
	s_or_b32 exec_lo, exec_lo, s4
	v_and_b32_e32 v71, 0x7f800000, v72
	s_delay_alu instid0(VALU_DEP_1) | instskip(SKIP_1) | instid1(SALU_CYCLE_1)
	v_cmp_ne_u32_e32 vcc_lo, 0x7f800000, v71
                                        ; implicit-def: $vgpr71
	s_and_saveexec_b32 s4, vcc_lo
	s_xor_b32 s4, exec_lo, s4
; %bb.49:
	v_bfe_u32 v71, v72, 16, 1
	s_delay_alu instid0(VALU_DEP_1)
	v_add3_u32 v71, v72, v71, 0x7fff
                                        ; implicit-def: $vgpr72
; %bb.50:
	s_and_not1_saveexec_b32 s4, s4
; %bb.51:
	v_and_b32_e32 v71, 0xffff, v72
	v_or_b32_e32 v82, 0x10000, v72
	s_delay_alu instid0(VALU_DEP_2) | instskip(NEXT) | instid1(VALU_DEP_2)
	v_cmp_eq_u32_e32 vcc_lo, 0, v71
	v_cndmask_b32_e32 v71, v82, v72, vcc_lo
; %bb.52:
	s_or_b32 exec_lo, exec_lo, s4
	v_and_b32_e32 v72, 0x7f800000, v81
	s_delay_alu instid0(VALU_DEP_1) | instskip(SKIP_1) | instid1(SALU_CYCLE_1)
	v_cmp_ne_u32_e32 vcc_lo, 0x7f800000, v72
                                        ; implicit-def: $vgpr72
	s_and_saveexec_b32 s4, vcc_lo
	s_xor_b32 s4, exec_lo, s4
; %bb.53:
	v_bfe_u32 v72, v81, 16, 1
	s_delay_alu instid0(VALU_DEP_1)
	v_add3_u32 v72, v81, v72, 0x7fff
                                        ; implicit-def: $vgpr81
; %bb.54:
	s_and_not1_saveexec_b32 s4, s4
; %bb.55:
	v_and_b32_e32 v72, 0xffff, v81
	v_or_b32_e32 v82, 0x10000, v81
	s_delay_alu instid0(VALU_DEP_2) | instskip(NEXT) | instid1(VALU_DEP_2)
	v_cmp_eq_u32_e32 vcc_lo, 0, v72
	v_cndmask_b32_e32 v72, v82, v81, vcc_lo
; %bb.56:
	s_or_b32 exec_lo, exec_lo, s4
	v_and_b32_e32 v81, 0x7f800000, v83
	s_delay_alu instid0(VALU_DEP_1) | instskip(SKIP_1) | instid1(SALU_CYCLE_1)
	v_cmp_ne_u32_e32 vcc_lo, 0x7f800000, v81
                                        ; implicit-def: $vgpr81
	s_and_saveexec_b32 s4, vcc_lo
	s_xor_b32 s4, exec_lo, s4
; %bb.57:
	v_bfe_u32 v81, v83, 16, 1
	s_delay_alu instid0(VALU_DEP_1)
	v_add3_u32 v81, v83, v81, 0x7fff
                                        ; implicit-def: $vgpr83
; %bb.58:
	s_and_not1_saveexec_b32 s4, s4
; %bb.59:
	v_and_b32_e32 v81, 0xffff, v83
	v_or_b32_e32 v82, 0x10000, v83
	s_delay_alu instid0(VALU_DEP_2) | instskip(NEXT) | instid1(VALU_DEP_2)
	v_cmp_eq_u32_e32 vcc_lo, 0, v81
	v_cndmask_b32_e32 v81, v82, v83, vcc_lo
; %bb.60:
	s_or_b32 exec_lo, exec_lo, s4
	v_and_b32_e32 v82, 0x7f800000, v77
	s_delay_alu instid0(VALU_DEP_1) | instskip(SKIP_1) | instid1(SALU_CYCLE_1)
	v_cmp_ne_u32_e32 vcc_lo, 0x7f800000, v82
                                        ; implicit-def: $vgpr82
	s_and_saveexec_b32 s4, vcc_lo
	s_xor_b32 s4, exec_lo, s4
; %bb.61:
	v_bfe_u32 v82, v77, 16, 1
	s_delay_alu instid0(VALU_DEP_1)
	v_add3_u32 v82, v77, v82, 0x7fff
                                        ; implicit-def: $vgpr77
; %bb.62:
	s_and_not1_saveexec_b32 s4, s4
; %bb.63:
	v_and_b32_e32 v82, 0xffff, v77
	v_or_b32_e32 v83, 0x10000, v77
	s_delay_alu instid0(VALU_DEP_2) | instskip(NEXT) | instid1(VALU_DEP_2)
	v_cmp_eq_u32_e32 vcc_lo, 0, v82
	v_cndmask_b32_e32 v82, v83, v77, vcc_lo
; %bb.64:
	s_or_b32 exec_lo, exec_lo, s4
	v_and_b32_e32 v77, 0x7f800000, v78
	s_delay_alu instid0(VALU_DEP_1) | instskip(SKIP_1) | instid1(SALU_CYCLE_1)
	v_cmp_ne_u32_e32 vcc_lo, 0x7f800000, v77
                                        ; implicit-def: $vgpr77
	s_and_saveexec_b32 s4, vcc_lo
	s_xor_b32 s4, exec_lo, s4
; %bb.65:
	v_bfe_u32 v77, v78, 16, 1
	s_delay_alu instid0(VALU_DEP_1)
	v_add3_u32 v77, v78, v77, 0x7fff
                                        ; implicit-def: $vgpr78
; %bb.66:
	s_and_not1_saveexec_b32 s4, s4
; %bb.67:
	v_and_b32_e32 v77, 0xffff, v78
	v_or_b32_e32 v83, 0x10000, v78
	s_delay_alu instid0(VALU_DEP_2) | instskip(NEXT) | instid1(VALU_DEP_2)
	v_cmp_eq_u32_e32 vcc_lo, 0, v77
	v_cndmask_b32_e32 v77, v83, v78, vcc_lo
; %bb.68:
	s_or_b32 exec_lo, exec_lo, s4
	v_and_b32_e32 v78, 0x7f800000, v79
	s_delay_alu instid0(VALU_DEP_1) | instskip(SKIP_1) | instid1(SALU_CYCLE_1)
	v_cmp_ne_u32_e32 vcc_lo, 0x7f800000, v78
                                        ; implicit-def: $vgpr78
	s_and_saveexec_b32 s4, vcc_lo
	s_xor_b32 s4, exec_lo, s4
; %bb.69:
	v_bfe_u32 v78, v79, 16, 1
	s_delay_alu instid0(VALU_DEP_1)
	v_add3_u32 v78, v79, v78, 0x7fff
                                        ; implicit-def: $vgpr79
; %bb.70:
	s_and_not1_saveexec_b32 s4, s4
; %bb.71:
	v_and_b32_e32 v78, 0xffff, v79
	v_or_b32_e32 v83, 0x10000, v79
	s_delay_alu instid0(VALU_DEP_2) | instskip(NEXT) | instid1(VALU_DEP_2)
	v_cmp_eq_u32_e32 vcc_lo, 0, v78
	v_cndmask_b32_e32 v78, v83, v79, vcc_lo
; %bb.72:
	s_or_b32 exec_lo, exec_lo, s4
	v_and_b32_e32 v79, 0x7f800000, v70
	s_delay_alu instid0(VALU_DEP_1) | instskip(SKIP_1) | instid1(SALU_CYCLE_1)
	v_cmp_ne_u32_e32 vcc_lo, 0x7f800000, v79
                                        ; implicit-def: $vgpr79
	s_and_saveexec_b32 s4, vcc_lo
	s_xor_b32 s4, exec_lo, s4
; %bb.73:
	v_bfe_u32 v79, v70, 16, 1
	s_delay_alu instid0(VALU_DEP_1)
	v_add3_u32 v79, v70, v79, 0x7fff
                                        ; implicit-def: $vgpr70
; %bb.74:
	s_and_not1_saveexec_b32 s4, s4
; %bb.75:
	v_and_b32_e32 v79, 0xffff, v70
	v_or_b32_e32 v83, 0x10000, v70
	s_delay_alu instid0(VALU_DEP_2) | instskip(NEXT) | instid1(VALU_DEP_2)
	v_cmp_eq_u32_e32 vcc_lo, 0, v79
	v_cndmask_b32_e32 v79, v83, v70, vcc_lo
; %bb.76:
	s_or_b32 exec_lo, exec_lo, s4
	s_delay_alu instid0(VALU_DEP_1)
	v_perm_b32 v86, v79, v78, 0x7060302
	v_perm_b32 v85, v77, v82, 0x7060302
	;; [unrolled: 1-line block ×4, first 2 shown]
	v_lshl_or_b32 v82, v66, 11, v80
	ds_store_b128 v76, v[83:86] offset:1024
	s_waitcnt lgkmcnt(0)
	s_barrier
	buffer_gl0_inv
	ds_load_b128 v[69:72], v82
	ds_load_b128 v[83:86], v82 offset:16
	s_waitcnt lgkmcnt(1)
	v_lshrrev_b32_e32 v66, 16, v69
	s_waitcnt lgkmcnt(0)
	v_lshrrev_b32_e32 v91, 16, v83
	v_lshlrev_b32_e32 v78, 2, v74
	v_lshrrev_b32_e32 v95, 16, v70
	v_lshrrev_b32_e32 v98, 16, v84
	;; [unrolled: 1-line block ×4, first 2 shown]
	v_cmp_eq_u32_e32 vcc_lo, 1, v78
	v_lshrrev_b32_e32 v97, 16, v72
	v_lshrrev_b32_e32 v100, 16, v86
	v_cndmask_b32_e32 v87, v83, v91, vcc_lo
	v_or_b32_e32 v79, 1, v78
	v_cndmask_b32_e32 v81, v69, v66, vcc_lo
	v_cmp_eq_u32_e64 s5, 2, v78
	v_cmp_eq_u32_e64 s8, 3, v78
	;; [unrolled: 1-line block ×5, first 2 shown]
	v_cndmask_b32_e64 v81, v81, v70, s5
	v_cndmask_b32_e64 v87, v87, v84, s5
	v_cmp_eq_u32_e64 s9, 3, v79
	v_cndmask_b32_e64 v88, v69, v66, s4
	v_or_b32_e32 v77, 2, v78
	v_cndmask_b32_e64 v81, v81, v95, s8
	v_cndmask_b32_e64 v87, v87, v98, s8
	;; [unrolled: 1-line block ×4, first 2 shown]
	v_cmp_eq_u32_e64 s11, 5, v78
	v_cndmask_b32_e64 v81, v81, v71, s10
	v_cndmask_b32_e64 v87, v87, v85, s10
	v_cmp_eq_u32_e64 s12, 4, v79
	v_cndmask_b32_e64 v88, v88, v95, s9
	v_cmp_eq_u32_e64 s6, 1, v77
	v_cndmask_b32_e64 v89, v89, v84, s7
	v_cndmask_b32_e64 v81, v81, v96, s11
	v_cmp_eq_u32_e64 s13, 6, v78
	v_cndmask_b32_e64 v88, v88, v71, s12
	;; [unrolled: 3-line block ×3, first 2 shown]
	v_cndmask_b32_e64 v89, v89, v98, s9
	v_cndmask_b32_e64 v81, v81, v72, s13
	v_cmp_eq_u32_e64 s16, 7, v78
	v_cndmask_b32_e64 v88, v88, v96, s15
	v_cndmask_b32_e64 v87, v87, v86, s13
	v_cmp_eq_u32_e64 s17, 6, v79
	v_cmp_eq_u32_e64 s18, 2, v77
	v_cndmask_b32_e64 v89, v89, v85, s12
	v_cndmask_b32_e64 v101, v81, v97, s16
	;; [unrolled: 1-line block ×6, first 2 shown]
	v_cmp_eq_u32_e64 s19, 7, v79
	v_cmp_eq_u32_e64 s20, 3, v77
	;; [unrolled: 1-line block ×4, first 2 shown]
	v_cndmask_b32_e64 v87, v87, v84, s18
	v_cndmask_b32_e64 v103, v88, v97, s19
	;; [unrolled: 1-line block ×4, first 2 shown]
	v_or_b32_e32 v81, 3, v78
	v_cndmask_b32_e64 v93, v87, v98, s20
	v_cmp_eq_u32_e64 s25, 6, v77
	v_cndmask_b32_e64 v104, v88, v86, s17
	v_cndmask_b32_e64 v92, v89, v71, s21
	v_cmp_eq_u32_e64 s22, 1, v81
	ds_load_b128 v[87:90], v82 offset:1024
	v_cmp_eq_u32_e64 s24, 2, v81
	v_cmp_eq_u32_e64 s26, 3, v81
	v_cndmask_b32_e64 v105, v92, v96, s23
	v_cndmask_b32_e64 v66, v69, v66, s22
	;; [unrolled: 1-line block ×4, first 2 shown]
	ds_load_b128 v[91:94], v82 offset:1040
	v_cmp_eq_u32_e64 s27, 4, v81
	v_cndmask_b32_e64 v66, v66, v70, s24
	v_cmp_eq_u32_e64 s28, 7, v77
	v_cndmask_b32_e64 v70, v83, v84, s24
	v_cndmask_b32_e64 v84, v105, v72, s25
	v_cmp_eq_u32_e64 s29, 5, v81
	v_cndmask_b32_e64 v66, v66, v95, s26
	v_cmp_eq_u32_e64 s30, 6, v81
	v_cndmask_b32_e64 v70, v70, v98, s26
	v_cndmask_b32_e64 v69, v69, v99, s23
	;; [unrolled: 1-line block ×4, first 2 shown]
	s_waitcnt lgkmcnt(1)
	v_lshrrev_b32_e32 v95, 16, v87
	v_cndmask_b32_e64 v70, v70, v85, s27
	v_cndmask_b32_e64 v71, v84, v97, s28
	;; [unrolled: 1-line block ×4, first 2 shown]
	v_cndmask_b32_e32 v84, v87, v95, vcc_lo
	v_cndmask_b32_e64 v70, v70, v99, s29
	s_waitcnt lgkmcnt(0)
	v_lshrrev_b32_e32 v85, 16, v91
	v_lshrrev_b32_e32 v96, 16, v88
	v_cndmask_b32_e64 v98, v87, v95, s4
	v_cndmask_b32_e64 v84, v84, v88, s5
	;; [unrolled: 1-line block ×3, first 2 shown]
	v_cndmask_b32_e32 v99, v91, v85, vcc_lo
	v_cmp_eq_u32_e32 vcc_lo, 7, v81
	v_cndmask_b32_e64 v66, v66, v72, s30
	v_cndmask_b32_e64 v72, v84, v96, s8
	;; [unrolled: 1-line block ×3, first 2 shown]
	v_lshrrev_b32_e32 v98, 16, v92
	v_cndmask_b32_e32 v70, v70, v100, vcc_lo
	v_cndmask_b32_e64 v86, v99, v92, s5
	v_cndmask_b32_e64 v69, v69, v100, s28
	v_lshrrev_b32_e32 v100, 16, v93
	v_cndmask_b32_e64 v72, v72, v89, s10
	v_lshrrev_b32_e32 v99, 16, v89
	v_cndmask_b32_e64 v86, v86, v98, s8
	v_perm_b32 v71, v69, v71, 0x5040100
	v_cndmask_b32_e64 v84, v84, v96, s9
	s_delay_alu instid0(VALU_DEP_3) | instskip(NEXT) | instid1(VALU_DEP_2)
	v_cndmask_b32_e64 v86, v86, v93, s10
	v_cndmask_b32_e64 v84, v84, v89, s12
	s_delay_alu instid0(VALU_DEP_2) | instskip(NEXT) | instid1(VALU_DEP_1)
	v_cndmask_b32_e64 v86, v86, v100, s11
	v_cndmask_b32_e64 v69, v86, v94, s13
	;; [unrolled: 1-line block ×5, first 2 shown]
	s_delay_alu instid0(VALU_DEP_3) | instskip(NEXT) | instid1(VALU_DEP_3)
	v_cndmask_b32_e64 v86, v86, v88, s18
	v_cndmask_b32_e64 v87, v87, v88, s24
	s_delay_alu instid0(VALU_DEP_3) | instskip(NEXT) | instid1(VALU_DEP_3)
	v_cndmask_b32_e64 v88, v95, v92, s24
	v_cndmask_b32_e64 v86, v86, v96, s20
	;; [unrolled: 3-line block ×7, first 2 shown]
	s_delay_alu instid0(VALU_DEP_3) | instskip(SKIP_2) | instid1(VALU_DEP_2)
	v_cndmask_b32_e64 v88, v88, v94, s30
	v_cndmask_b32_e32 v66, v66, v97, vcc_lo
	v_cndmask_b32_e64 v97, v72, v99, s11
	v_perm_b32 v72, v70, v66, 0x5040100
	v_perm_b32 v70, v83, v103, 0x5040100
	v_cndmask_b32_e64 v103, v91, v85, s6
	v_cndmask_b32_e64 v85, v91, v85, s4
	;; [unrolled: 1-line block ×4, first 2 shown]
	v_lshrrev_b32_e32 v97, 16, v90
	v_cndmask_b32_e64 v91, v103, v92, s18
	v_cndmask_b32_e64 v85, v85, v92, s7
	;; [unrolled: 1-line block ×3, first 2 shown]
	s_mov_b32 s4, exec_lo
	v_cndmask_b32_e64 v83, v84, v97, s16
	v_cndmask_b32_e64 v91, v91, v98, s20
	;; [unrolled: 1-line block ×3, first 2 shown]
	v_lshrrev_b32_e32 v84, 16, v94
	v_cndmask_b32_e64 v66, v66, v97, s19
	v_cndmask_b32_e64 v90, v86, v97, s28
	;; [unrolled: 1-line block ×4, first 2 shown]
	v_dual_cndmask_b32 v86, v87, v97 :: v_dual_cndmask_b32 v87, v88, v84
	v_cndmask_b32_e64 v91, v69, v84, s16
	s_delay_alu instid0(VALU_DEP_4) | instskip(NEXT) | instid1(VALU_DEP_4)
	v_cndmask_b32_e64 v89, v89, v100, s23
	v_cndmask_b32_e64 v85, v85, v100, s15
	v_perm_b32 v69, v102, v101, 0x5040100
	v_perm_b32 v86, v87, v86, 0x5040100
	;; [unrolled: 1-line block ×3, first 2 shown]
	v_cndmask_b32_e64 v89, v89, v94, s25
	v_cndmask_b32_e64 v85, v85, v94, s17
	s_mul_i32 s9, s37, 11
	s_delay_alu instid0(VALU_DEP_2) | instskip(NEXT) | instid1(VALU_DEP_2)
	v_cndmask_b32_e64 v88, v89, v84, s28
	v_cndmask_b32_e64 v89, v85, v84, s19
	s_delay_alu instid0(VALU_DEP_2) | instskip(NEXT) | instid1(VALU_DEP_2)
	v_perm_b32 v85, v88, v90, 0x5040100
	v_perm_b32 v84, v89, v66, 0x5040100
	ds_store_b128 v76, v[69:72]
	ds_store_b128 v76, v[83:86] offset:1024
	v_cmpx_gt_u32_e32 11, v0
	s_cbranch_execz .LBB1436_78
; %bb.77:
	s_mul_i32 s5, s9, s34
	s_load_b128 s[16:19], s[0:1], 0x58
	v_add3_u32 v69, s5, s31, v65
	s_delay_alu instid0(VALU_DEP_1) | instskip(NEXT) | instid1(VALU_DEP_1)
	v_mad_u64_u32 v[65:66], null, v69, s36, s[14:15]
	v_ashrrev_i32_e32 v66, 31, v65
	s_delay_alu instid0(VALU_DEP_1) | instskip(SKIP_1) | instid1(VALU_DEP_1)
	v_lshlrev_b64 v[65:66], 2, v[65:66]
	s_waitcnt lgkmcnt(0)
	v_add_co_u32 v69, vcc_lo, s18, v65
	s_delay_alu instid0(VALU_DEP_2)
	v_add_co_ci_u32_e32 v70, vcc_lo, s19, v66, vcc_lo
	v_add_co_u32 v65, vcc_lo, s16, v65
	v_add_co_ci_u32_e32 v66, vcc_lo, s17, v66, vcc_lo
	global_store_b32 v[69:70], v67, off
	global_store_b32 v[65:66], v68, off
.LBB1436_78:
	s_or_b32 exec_lo, exec_lo, s4
	s_waitcnt lgkmcnt(0)
	s_waitcnt_vscnt null, 0x0
	s_barrier
	buffer_gl0_inv
	ds_load_b128 v[83:86], v80
	ds_load_b128 v[87:90], v80 offset:16
	ds_load_b128 v[95:98], v80 offset:2064
	;; [unrolled: 1-line block ×3, first 2 shown]
	v_mov_b32_e32 v65, 0
	ds_load_b128 v[103:106], v80 offset:4112
	ds_load_b128 v[99:102], v80 offset:4096
	;; [unrolled: 1-line block ×4, first 2 shown]
	v_mov_b32_e32 v66, v65
	v_mov_b32_e32 v67, v65
	;; [unrolled: 1-line block ×7, first 2 shown]
	s_waitcnt lgkmcnt(6)
	s_delay_alu instid0(VALU_DEP_1)
	v_wmma_f32_16x16x16_bf16 v[65:72], v[57:64], v[83:90], v[65:72]
	ds_load_b128 v[61:64], v80 offset:8208
	ds_load_b128 v[57:60], v80 offset:8192
	s_waitcnt lgkmcnt(6)
	v_wmma_f32_16x16x16_bf16 v[65:72], v[41:48], v[91:98], v[65:72]
	ds_load_b128 v[45:48], v80 offset:10256
	ds_load_b128 v[41:44], v80 offset:10240
	s_waitcnt lgkmcnt(6)
	;; [unrolled: 4-line block ×4, first 2 shown]
	v_wmma_f32_16x16x16_bf16 v[65:72], v[1:8], v[57:64], v[65:72]
	s_waitcnt lgkmcnt(4)
	s_delay_alu instid0(VALU_DEP_1) | instskip(SKIP_1) | instid1(VALU_DEP_1)
	v_wmma_f32_16x16x16_bf16 v[65:72], v[9:16], v[41:48], v[65:72]
	s_waitcnt lgkmcnt(2)
	v_wmma_f32_16x16x16_bf16 v[65:72], v[17:24], v[33:40], v[65:72]
	s_waitcnt lgkmcnt(0)
	s_delay_alu instid0(VALU_DEP_1) | instskip(NEXT) | instid1(VALU_DEP_1)
	v_wmma_f32_16x16x16_bf16 v[65:72], v[49:56], v[25:32], v[65:72]
	v_and_b32_e32 v1, 0x7f800000, v65
	s_delay_alu instid0(VALU_DEP_1) | instskip(SKIP_1) | instid1(SALU_CYCLE_1)
	v_cmp_ne_u32_e32 vcc_lo, 0x7f800000, v1
                                        ; implicit-def: $vgpr1
	s_and_saveexec_b32 s4, vcc_lo
	s_xor_b32 s4, exec_lo, s4
; %bb.79:
	v_bfe_u32 v1, v65, 16, 1
	s_delay_alu instid0(VALU_DEP_1)
	v_add3_u32 v1, v65, v1, 0x7fff
; %bb.80:
	s_and_not1_saveexec_b32 s4, s4
; %bb.81:
	v_and_b32_e32 v1, 0xffff, v65
	v_or_b32_e32 v2, 0x10000, v65
	s_delay_alu instid0(VALU_DEP_2) | instskip(NEXT) | instid1(VALU_DEP_2)
	v_cmp_eq_u32_e32 vcc_lo, 0, v1
	v_cndmask_b32_e32 v1, v2, v65, vcc_lo
; %bb.82:
	s_or_b32 exec_lo, exec_lo, s4
	v_and_b32_e32 v2, 0x7f800000, v66
	s_delay_alu instid0(VALU_DEP_1) | instskip(SKIP_1) | instid1(SALU_CYCLE_1)
	v_cmp_ne_u32_e32 vcc_lo, 0x7f800000, v2
                                        ; implicit-def: $vgpr2
	s_and_saveexec_b32 s4, vcc_lo
	s_xor_b32 s4, exec_lo, s4
; %bb.83:
	v_bfe_u32 v2, v66, 16, 1
	s_delay_alu instid0(VALU_DEP_1)
	v_add3_u32 v2, v66, v2, 0x7fff
; %bb.84:
	s_and_not1_saveexec_b32 s4, s4
; %bb.85:
	v_and_b32_e32 v2, 0xffff, v66
	v_or_b32_e32 v3, 0x10000, v66
	s_delay_alu instid0(VALU_DEP_2) | instskip(NEXT) | instid1(VALU_DEP_2)
	v_cmp_eq_u32_e32 vcc_lo, 0, v2
	v_cndmask_b32_e32 v2, v3, v66, vcc_lo
; %bb.86:
	s_or_b32 exec_lo, exec_lo, s4
	v_and_b32_e32 v3, 0x7f800000, v67
	s_delay_alu instid0(VALU_DEP_1) | instskip(SKIP_1) | instid1(SALU_CYCLE_1)
	v_cmp_ne_u32_e32 vcc_lo, 0x7f800000, v3
                                        ; implicit-def: $vgpr3
	s_and_saveexec_b32 s4, vcc_lo
	s_xor_b32 s4, exec_lo, s4
; %bb.87:
	v_bfe_u32 v3, v67, 16, 1
	s_delay_alu instid0(VALU_DEP_1)
	v_add3_u32 v3, v67, v3, 0x7fff
; %bb.88:
	s_and_not1_saveexec_b32 s4, s4
; %bb.89:
	v_and_b32_e32 v3, 0xffff, v67
	v_or_b32_e32 v4, 0x10000, v67
	s_delay_alu instid0(VALU_DEP_2) | instskip(NEXT) | instid1(VALU_DEP_2)
	v_cmp_eq_u32_e32 vcc_lo, 0, v3
	v_cndmask_b32_e32 v3, v4, v67, vcc_lo
; %bb.90:
	s_or_b32 exec_lo, exec_lo, s4
	v_and_b32_e32 v4, 0x7f800000, v68
	s_delay_alu instid0(VALU_DEP_1) | instskip(SKIP_1) | instid1(SALU_CYCLE_1)
	v_cmp_ne_u32_e32 vcc_lo, 0x7f800000, v4
                                        ; implicit-def: $vgpr4
	s_and_saveexec_b32 s4, vcc_lo
	s_xor_b32 s4, exec_lo, s4
; %bb.91:
	v_bfe_u32 v4, v68, 16, 1
	s_delay_alu instid0(VALU_DEP_1)
	v_add3_u32 v4, v68, v4, 0x7fff
; %bb.92:
	s_and_not1_saveexec_b32 s4, s4
; %bb.93:
	v_and_b32_e32 v4, 0xffff, v68
	v_or_b32_e32 v5, 0x10000, v68
	s_delay_alu instid0(VALU_DEP_2) | instskip(NEXT) | instid1(VALU_DEP_2)
	v_cmp_eq_u32_e32 vcc_lo, 0, v4
	v_cndmask_b32_e32 v4, v5, v68, vcc_lo
; %bb.94:
	s_or_b32 exec_lo, exec_lo, s4
	v_and_b32_e32 v5, 0x7f800000, v69
	s_delay_alu instid0(VALU_DEP_1) | instskip(SKIP_1) | instid1(SALU_CYCLE_1)
	v_cmp_ne_u32_e32 vcc_lo, 0x7f800000, v5
                                        ; implicit-def: $vgpr5
	s_and_saveexec_b32 s4, vcc_lo
	s_xor_b32 s4, exec_lo, s4
; %bb.95:
	v_bfe_u32 v5, v69, 16, 1
	s_delay_alu instid0(VALU_DEP_1)
	v_add3_u32 v5, v69, v5, 0x7fff
; %bb.96:
	s_and_not1_saveexec_b32 s4, s4
; %bb.97:
	v_and_b32_e32 v5, 0xffff, v69
	v_or_b32_e32 v6, 0x10000, v69
	s_delay_alu instid0(VALU_DEP_2) | instskip(NEXT) | instid1(VALU_DEP_2)
	v_cmp_eq_u32_e32 vcc_lo, 0, v5
	v_cndmask_b32_e32 v5, v6, v69, vcc_lo
; %bb.98:
	s_or_b32 exec_lo, exec_lo, s4
	v_and_b32_e32 v6, 0x7f800000, v70
	s_delay_alu instid0(VALU_DEP_1) | instskip(SKIP_1) | instid1(SALU_CYCLE_1)
	v_cmp_ne_u32_e32 vcc_lo, 0x7f800000, v6
                                        ; implicit-def: $vgpr6
	s_and_saveexec_b32 s4, vcc_lo
	s_xor_b32 s4, exec_lo, s4
; %bb.99:
	v_bfe_u32 v6, v70, 16, 1
	s_delay_alu instid0(VALU_DEP_1)
	v_add3_u32 v6, v70, v6, 0x7fff
; %bb.100:
	s_and_not1_saveexec_b32 s4, s4
; %bb.101:
	v_and_b32_e32 v6, 0xffff, v70
	v_or_b32_e32 v7, 0x10000, v70
	s_delay_alu instid0(VALU_DEP_2) | instskip(NEXT) | instid1(VALU_DEP_2)
	v_cmp_eq_u32_e32 vcc_lo, 0, v6
	v_cndmask_b32_e32 v6, v7, v70, vcc_lo
; %bb.102:
	s_or_b32 exec_lo, exec_lo, s4
	v_and_b32_e32 v7, 0x7f800000, v71
	s_delay_alu instid0(VALU_DEP_1) | instskip(SKIP_1) | instid1(SALU_CYCLE_1)
	v_cmp_ne_u32_e32 vcc_lo, 0x7f800000, v7
                                        ; implicit-def: $vgpr7
	s_and_saveexec_b32 s4, vcc_lo
	s_xor_b32 s4, exec_lo, s4
; %bb.103:
	v_bfe_u32 v7, v71, 16, 1
	s_delay_alu instid0(VALU_DEP_1)
	v_add3_u32 v7, v71, v7, 0x7fff
; %bb.104:
	s_and_not1_saveexec_b32 s4, s4
; %bb.105:
	v_and_b32_e32 v7, 0xffff, v71
	v_or_b32_e32 v8, 0x10000, v71
	s_delay_alu instid0(VALU_DEP_2) | instskip(NEXT) | instid1(VALU_DEP_2)
	v_cmp_eq_u32_e32 vcc_lo, 0, v7
	v_cndmask_b32_e32 v7, v8, v71, vcc_lo
; %bb.106:
	s_or_b32 exec_lo, exec_lo, s4
	v_and_b32_e32 v8, 0x7f800000, v72
	s_delay_alu instid0(VALU_DEP_1) | instskip(SKIP_1) | instid1(SALU_CYCLE_1)
	v_cmp_ne_u32_e32 vcc_lo, 0x7f800000, v8
                                        ; implicit-def: $vgpr8
	s_and_saveexec_b32 s4, vcc_lo
	s_xor_b32 s4, exec_lo, s4
; %bb.107:
	v_bfe_u32 v8, v72, 16, 1
	s_delay_alu instid0(VALU_DEP_1)
	v_add3_u32 v8, v72, v8, 0x7fff
                                        ; implicit-def: $vgpr65_vgpr66_vgpr67_vgpr68_vgpr69_vgpr70_vgpr71_vgpr72
; %bb.108:
	s_and_not1_saveexec_b32 s4, s4
; %bb.109:
	v_and_b32_e32 v8, 0xffff, v72
	v_or_b32_e32 v9, 0x10000, v72
	s_delay_alu instid0(VALU_DEP_2) | instskip(NEXT) | instid1(VALU_DEP_2)
	v_cmp_eq_u32_e32 vcc_lo, 0, v8
	v_cndmask_b32_e32 v8, v9, v72, vcc_lo
; %bb.110:
	s_or_b32 exec_lo, exec_lo, s4
	s_delay_alu instid0(VALU_DEP_1)
	v_perm_b32 v7, v8, v7, 0x7060302
	v_perm_b32 v6, v6, v5, 0x7060302
	;; [unrolled: 1-line block ×4, first 2 shown]
	s_barrier
	buffer_gl0_inv
	v_cmp_eq_u32_e32 vcc_lo, 1, v78
	ds_store_b128 v76, v[4:7]
	s_waitcnt lgkmcnt(0)
	s_barrier
	buffer_gl0_inv
	ds_load_b128 v[1:4], v82
	ds_load_b128 v[5:8], v82 offset:16
	v_cmp_eq_u32_e64 s4, 1, v79
	v_cmp_eq_u32_e64 s5, 2, v78
	v_cmp_eq_u32_e64 s6, 3, v78
	v_cmp_eq_u32_e64 s8, 2, v77
	v_cmp_eq_u32_e64 s7, 7, v79
	s_waitcnt lgkmcnt(1)
	v_lshrrev_b32_e32 v9, 16, v1
	s_waitcnt lgkmcnt(0)
	v_lshrrev_b32_e32 v13, 16, v5
	v_lshrrev_b32_e32 v10, 16, v2
	;; [unrolled: 1-line block ×4, first 2 shown]
	v_cndmask_b32_e64 v19, v1, v9, s4
	v_cndmask_b32_e32 v18, v5, v13, vcc_lo
	v_cndmask_b32_e64 v20, v5, v13, s4
	v_cndmask_b32_e32 v17, v1, v9, vcc_lo
	v_cmp_eq_u32_e32 vcc_lo, 2, v79
	v_lshrrev_b32_e32 v15, 16, v7
	v_cmp_eq_u32_e64 s4, 1, v77
	v_lshrrev_b32_e32 v12, 16, v4
	v_lshrrev_b32_e32 v16, 16, v8
	v_cndmask_b32_e32 v20, v20, v6, vcc_lo
	v_cndmask_b32_e64 v17, v17, v2, s5
	v_cndmask_b32_e32 v19, v19, v2, vcc_lo
	v_cndmask_b32_e64 v18, v18, v6, s5
	v_cmp_eq_u32_e32 vcc_lo, 4, v78
	v_cmp_eq_u32_e64 s5, 3, v79
	v_cndmask_b32_e64 v17, v17, v10, s6
	v_cndmask_b32_e64 v21, v1, v9, s4
	v_cndmask_b32_e64 v18, v18, v14, s6
	v_cndmask_b32_e64 v22, v5, v13, s4
	v_cndmask_b32_e64 v19, v19, v10, s5
	v_cndmask_b32_e32 v17, v17, v3, vcc_lo
	v_cndmask_b32_e64 v20, v20, v14, s5
	v_cndmask_b32_e32 v18, v18, v7, vcc_lo
	v_cmp_eq_u32_e32 vcc_lo, 4, v79
	v_cmp_eq_u32_e64 s5, 5, v79
	v_cmp_eq_u32_e64 s4, 2, v81
	v_cndmask_b32_e64 v21, v21, v2, s8
	v_cmp_eq_u32_e64 s6, 5, v78
	v_cndmask_b32_e32 v19, v19, v3, vcc_lo
	v_cndmask_b32_e32 v20, v20, v7, vcc_lo
	v_cmp_eq_u32_e32 vcc_lo, 6, v79
	s_delay_alu instid0(VALU_DEP_4) | instskip(NEXT) | instid1(VALU_DEP_4)
	v_cndmask_b32_e64 v17, v17, v11, s6
	v_cndmask_b32_e64 v19, v19, v11, s5
	s_delay_alu instid0(VALU_DEP_4) | instskip(SKIP_1) | instid1(VALU_DEP_3)
	v_cndmask_b32_e64 v20, v20, v15, s5
	v_cmp_eq_u32_e64 s5, 1, v81
	v_cndmask_b32_e32 v19, v19, v4, vcc_lo
	v_cndmask_b32_e64 v18, v18, v15, s6
	s_delay_alu instid0(VALU_DEP_3)
	v_cndmask_b32_e64 v1, v1, v9, s5
	v_cndmask_b32_e64 v5, v5, v13, s5
	v_cmp_eq_u32_e64 s5, 3, v77
	v_cndmask_b32_e64 v13, v22, v6, s8
	v_cmp_eq_u32_e64 s8, 3, v81
	v_cndmask_b32_e64 v1, v1, v2, s4
	v_cndmask_b32_e64 v2, v5, v6, s4
	;; [unrolled: 1-line block ×3, first 2 shown]
	v_cmp_eq_u32_e64 s4, 4, v77
	v_cndmask_b32_e64 v6, v13, v14, s5
	v_cndmask_b32_e64 v1, v1, v10, s8
	v_cmp_eq_u32_e64 s5, 4, v81
	v_cndmask_b32_e64 v2, v2, v14, s8
	v_cndmask_b32_e64 v5, v9, v3, s4
	;; [unrolled: 3-line block ×3, first 2 shown]
	v_cndmask_b32_e64 v2, v2, v7, s5
	v_cmp_eq_u32_e64 s4, 5, v81
	v_cmp_eq_u32_e64 s6, 6, v78
	v_cndmask_b32_e64 v5, v5, v11, s8
	v_cmp_eq_u32_e64 s5, 6, v77
	v_cndmask_b32_e64 v3, v6, v15, s8
	v_cndmask_b32_e64 v1, v1, v11, s4
	v_cmp_eq_u32_e64 s8, 6, v81
	v_cndmask_b32_e64 v2, v2, v15, s4
	v_cndmask_b32_e64 v17, v17, v4, s6
	v_cndmask_b32_e64 v18, v18, v8, s6
	v_cmp_eq_u32_e64 s6, 7, v78
	v_cndmask_b32_e64 v5, v5, v4, s5
	;; [unrolled: 4-line block ×3, first 2 shown]
	v_cmp_eq_u32_e64 s5, 7, v77
	v_cndmask_b32_e32 v4, v20, v8, vcc_lo
	v_cndmask_b32_e64 v17, v17, v12, s6
	v_cndmask_b32_e64 v19, v19, v12, s7
	;; [unrolled: 1-line block ×8, first 2 shown]
	v_cmp_gt_u32_e32 vcc_lo, 32, v0
	v_perm_b32 v4, v2, v1, 0x5040100
	v_perm_b32 v3, v3, v5, 0x5040100
	;; [unrolled: 1-line block ×4, first 2 shown]
	s_and_b32 s2, vcc_lo, s2
	ds_store_b128 v76, v[1:4]
	s_waitcnt lgkmcnt(0)
	s_barrier
	buffer_gl0_inv
	s_and_saveexec_b32 s4, s2
	s_cbranch_execz .LBB1436_2
; %bb.111:
	s_load_b64 s[4:5], s[0:1], 0x68
	v_lshlrev_b32_e32 v0, 10, v0
	v_lshlrev_b32_e32 v1, 4, v75
	s_lshl_b32 s0, s36, 6
	v_add_nc_u32_e32 v7, s31, v74
	s_mul_i32 s1, s0, s34
	s_delay_alu instid0(SALU_CYCLE_1) | instskip(SKIP_1) | instid1(VALU_DEP_2)
	s_mul_i32 s6, s1, s9
	v_and_or_b32 v0, 0x3800, v0, v1
	v_mul_lo_u32 v1, v7, s0
	v_add_nc_u32_e32 v2, 2, v7
	s_ashr_i32 s7, s6, 31
	v_add_nc_u32_e32 v4, 4, v7
	s_lshl_b64 s[6:7], s[6:7], 1
	v_add_nc_u32_e32 v8, 6, v7
	v_mul_lo_u32 v3, v2, s0
	v_lshl_or_b32 v19, v74, 6, v0
	v_ashrrev_i32_e32 v2, 31, v1
	v_mul_lo_u32 v11, v4, s0
	v_mul_lo_u32 v25, v8, s0
	s_waitcnt lgkmcnt(0)
	s_add_u32 s1, s4, s6
	s_addc_u32 s2, s5, s7
	s_lshl_b32 s4, s14, 6
	v_lshlrev_b64 v[5:6], 1, v[1:2]
	s_ashr_i32 s5, s4, 31
	v_ashrrev_i32_e32 v4, 31, v3
	s_lshl_b64 s[4:5], s[4:5], 1
	v_ashrrev_i32_e32 v12, 31, v11
	s_add_u32 s1, s1, s4
	s_addc_u32 s2, s2, s5
	v_add_co_u32 v1, s1, s1, v73
	s_delay_alu instid0(VALU_DEP_1) | instskip(SKIP_1) | instid1(VALU_DEP_3)
	v_add_co_ci_u32_e64 v2, null, s2, 0, s1
	v_lshlrev_b64 v[3:4], 1, v[3:4]
	v_add_co_u32 v23, vcc_lo, v1, v5
	v_add_nc_u32_e32 v5, 8, v7
	s_delay_alu instid0(VALU_DEP_4) | instskip(NEXT) | instid1(VALU_DEP_4)
	v_add_co_ci_u32_e32 v24, vcc_lo, v2, v6, vcc_lo
	v_add_co_u32 v27, vcc_lo, v1, v3
	s_delay_alu instid0(VALU_DEP_3)
	v_mul_lo_u32 v29, v5, s0
	v_add_co_ci_u32_e32 v28, vcc_lo, v2, v4, vcc_lo
	ds_load_b128 v[3:6], v19
	ds_load_b128 v[7:10], v19 offset:128
	v_lshlrev_b64 v[31:32], 1, v[11:12]
	ds_load_b128 v[11:14], v19 offset:256
	ds_load_b128 v[15:18], v19 offset:384
	;; [unrolled: 1-line block ×3, first 2 shown]
	v_ashrrev_i32_e32 v26, 31, v25
	v_ashrrev_i32_e32 v30, 31, v29
	v_add_co_u32 v31, vcc_lo, v1, v31
	s_delay_alu instid0(VALU_DEP_3) | instskip(NEXT) | instid1(VALU_DEP_3)
	v_lshlrev_b64 v[25:26], 1, v[25:26]
	v_lshlrev_b64 v[29:30], 1, v[29:30]
	v_add_co_ci_u32_e32 v32, vcc_lo, v2, v32, vcc_lo
	s_delay_alu instid0(VALU_DEP_3) | instskip(NEXT) | instid1(VALU_DEP_4)
	v_add_co_u32 v25, vcc_lo, v1, v25
	v_add_co_ci_u32_e32 v26, vcc_lo, v2, v26, vcc_lo
	s_delay_alu instid0(VALU_DEP_4)
	v_add_co_u32 v29, vcc_lo, v1, v29
	v_add_co_ci_u32_e32 v30, vcc_lo, v2, v30, vcc_lo
	s_waitcnt lgkmcnt(4)
	global_store_b128 v[23:24], v[3:6], off
	s_waitcnt lgkmcnt(3)
	global_store_b128 v[27:28], v[7:10], off
	;; [unrolled: 2-line block ×5, first 2 shown]
	s_and_b32 exec_lo, exec_lo, s3
	s_cbranch_execz .LBB1436_2
; %bb.112:
	ds_load_b128 v[3:6], v0 offset:640
	s_add_i32 s1, s31, 10
	s_delay_alu instid0(SALU_CYCLE_1) | instskip(NEXT) | instid1(SALU_CYCLE_1)
	s_mul_i32 s0, s1, s0
	s_ashr_i32 s1, s0, 31
	s_delay_alu instid0(SALU_CYCLE_1) | instskip(NEXT) | instid1(SALU_CYCLE_1)
	s_lshl_b64 s[0:1], s[0:1], 1
	v_add_co_u32 v0, vcc_lo, v1, s0
	v_add_co_ci_u32_e32 v1, vcc_lo, s1, v2, vcc_lo
	s_waitcnt lgkmcnt(0)
	global_store_b128 v[0:1], v[3:6], off
	s_nop 0
	s_sendmsg sendmsg(MSG_DEALLOC_VGPRS)
	s_endpgm
	.section	.rodata,"a",@progbits
	.p2align	6, 0x0
	.amdhsa_kernel _Z39paged_attention_ll4mi_QKV_mfma16_kernelI14__hip_bfloat16hLN4vllm18Fp8KVCacheDataTypeE1EhLi32ELi64ELi256ELb1ELi11EL8MFMAType1EEvPKT_PKT0_S9_ifPKiSB_SB_iPKfiiiPfSE_PS4_PT2_iSD_SD_
		.amdhsa_group_segment_fixed_size 17472
		.amdhsa_private_segment_fixed_size 0
		.amdhsa_kernarg_size 400
		.amdhsa_user_sgpr_count 13
		.amdhsa_user_sgpr_dispatch_ptr 0
		.amdhsa_user_sgpr_queue_ptr 0
		.amdhsa_user_sgpr_kernarg_segment_ptr 1
		.amdhsa_user_sgpr_dispatch_id 0
		.amdhsa_user_sgpr_private_segment_size 0
		.amdhsa_wavefront_size32 1
		.amdhsa_uses_dynamic_stack 0
		.amdhsa_enable_private_segment 0
		.amdhsa_system_sgpr_workgroup_id_x 1
		.amdhsa_system_sgpr_workgroup_id_y 1
		.amdhsa_system_sgpr_workgroup_id_z 1
		.amdhsa_system_sgpr_workgroup_info 0
		.amdhsa_system_vgpr_workitem_id 0
		.amdhsa_next_free_vgpr 124
		.amdhsa_next_free_sgpr 42
		.amdhsa_reserve_vcc 1
		.amdhsa_float_round_mode_32 0
		.amdhsa_float_round_mode_16_64 0
		.amdhsa_float_denorm_mode_32 3
		.amdhsa_float_denorm_mode_16_64 3
		.amdhsa_dx10_clamp 1
		.amdhsa_ieee_mode 1
		.amdhsa_fp16_overflow 0
		.amdhsa_workgroup_processor_mode 1
		.amdhsa_memory_ordered 1
		.amdhsa_forward_progress 0
		.amdhsa_shared_vgpr_count 0
		.amdhsa_exception_fp_ieee_invalid_op 0
		.amdhsa_exception_fp_denorm_src 0
		.amdhsa_exception_fp_ieee_div_zero 0
		.amdhsa_exception_fp_ieee_overflow 0
		.amdhsa_exception_fp_ieee_underflow 0
		.amdhsa_exception_fp_ieee_inexact 0
		.amdhsa_exception_int_div_zero 0
	.end_amdhsa_kernel
	.section	.text._Z39paged_attention_ll4mi_QKV_mfma16_kernelI14__hip_bfloat16hLN4vllm18Fp8KVCacheDataTypeE1EhLi32ELi64ELi256ELb1ELi11EL8MFMAType1EEvPKT_PKT0_S9_ifPKiSB_SB_iPKfiiiPfSE_PS4_PT2_iSD_SD_,"axG",@progbits,_Z39paged_attention_ll4mi_QKV_mfma16_kernelI14__hip_bfloat16hLN4vllm18Fp8KVCacheDataTypeE1EhLi32ELi64ELi256ELb1ELi11EL8MFMAType1EEvPKT_PKT0_S9_ifPKiSB_SB_iPKfiiiPfSE_PS4_PT2_iSD_SD_,comdat
.Lfunc_end1436:
	.size	_Z39paged_attention_ll4mi_QKV_mfma16_kernelI14__hip_bfloat16hLN4vllm18Fp8KVCacheDataTypeE1EhLi32ELi64ELi256ELb1ELi11EL8MFMAType1EEvPKT_PKT0_S9_ifPKiSB_SB_iPKfiiiPfSE_PS4_PT2_iSD_SD_, .Lfunc_end1436-_Z39paged_attention_ll4mi_QKV_mfma16_kernelI14__hip_bfloat16hLN4vllm18Fp8KVCacheDataTypeE1EhLi32ELi64ELi256ELb1ELi11EL8MFMAType1EEvPKT_PKT0_S9_ifPKiSB_SB_iPKfiiiPfSE_PS4_PT2_iSD_SD_
                                        ; -- End function
	.section	.AMDGPU.csdata,"",@progbits
; Kernel info:
; codeLenInByte = 8920
; NumSgprs: 44
; NumVgprs: 124
; ScratchSize: 0
; MemoryBound: 0
; FloatMode: 240
; IeeeMode: 1
; LDSByteSize: 17472 bytes/workgroup (compile time only)
; SGPRBlocks: 5
; VGPRBlocks: 15
; NumSGPRsForWavesPerEU: 44
; NumVGPRsForWavesPerEU: 124
; Occupancy: 10
; WaveLimiterHint : 1
; COMPUTE_PGM_RSRC2:SCRATCH_EN: 0
; COMPUTE_PGM_RSRC2:USER_SGPR: 13
; COMPUTE_PGM_RSRC2:TRAP_HANDLER: 0
; COMPUTE_PGM_RSRC2:TGID_X_EN: 1
; COMPUTE_PGM_RSRC2:TGID_Y_EN: 1
; COMPUTE_PGM_RSRC2:TGID_Z_EN: 1
; COMPUTE_PGM_RSRC2:TIDIG_COMP_CNT: 0
	.section	.text._Z39paged_attention_ll4mi_QKV_mfma16_kernelI14__hip_bfloat16hLN4vllm18Fp8KVCacheDataTypeE1EhLi32ELi64ELi256ELb1ELi12EL8MFMAType1EEvPKT_PKT0_S9_ifPKiSB_SB_iPKfiiiPfSE_PS4_PT2_iSD_SD_,"axG",@progbits,_Z39paged_attention_ll4mi_QKV_mfma16_kernelI14__hip_bfloat16hLN4vllm18Fp8KVCacheDataTypeE1EhLi32ELi64ELi256ELb1ELi12EL8MFMAType1EEvPKT_PKT0_S9_ifPKiSB_SB_iPKfiiiPfSE_PS4_PT2_iSD_SD_,comdat
	.protected	_Z39paged_attention_ll4mi_QKV_mfma16_kernelI14__hip_bfloat16hLN4vllm18Fp8KVCacheDataTypeE1EhLi32ELi64ELi256ELb1ELi12EL8MFMAType1EEvPKT_PKT0_S9_ifPKiSB_SB_iPKfiiiPfSE_PS4_PT2_iSD_SD_ ; -- Begin function _Z39paged_attention_ll4mi_QKV_mfma16_kernelI14__hip_bfloat16hLN4vllm18Fp8KVCacheDataTypeE1EhLi32ELi64ELi256ELb1ELi12EL8MFMAType1EEvPKT_PKT0_S9_ifPKiSB_SB_iPKfiiiPfSE_PS4_PT2_iSD_SD_
	.globl	_Z39paged_attention_ll4mi_QKV_mfma16_kernelI14__hip_bfloat16hLN4vllm18Fp8KVCacheDataTypeE1EhLi32ELi64ELi256ELb1ELi12EL8MFMAType1EEvPKT_PKT0_S9_ifPKiSB_SB_iPKfiiiPfSE_PS4_PT2_iSD_SD_
	.p2align	8
	.type	_Z39paged_attention_ll4mi_QKV_mfma16_kernelI14__hip_bfloat16hLN4vllm18Fp8KVCacheDataTypeE1EhLi32ELi64ELi256ELb1ELi12EL8MFMAType1EEvPKT_PKT0_S9_ifPKiSB_SB_iPKfiiiPfSE_PS4_PT2_iSD_SD_,@function
_Z39paged_attention_ll4mi_QKV_mfma16_kernelI14__hip_bfloat16hLN4vllm18Fp8KVCacheDataTypeE1EhLi32ELi64ELi256ELb1ELi12EL8MFMAType1EEvPKT_PKT0_S9_ifPKiSB_SB_iPKfiiiPfSE_PS4_PT2_iSD_SD_: ; @_Z39paged_attention_ll4mi_QKV_mfma16_kernelI14__hip_bfloat16hLN4vllm18Fp8KVCacheDataTypeE1EhLi32ELi64ELi256ELb1ELi12EL8MFMAType1EEvPKT_PKT0_S9_ifPKiSB_SB_iPKfiiiPfSE_PS4_PT2_iSD_SD_
; %bb.0:
	s_load_b64 s[2:3], s[0:1], 0x30
	s_mov_b32 s30, s13
	s_waitcnt lgkmcnt(0)
	s_cmp_lg_u64 s[2:3], 0
	s_cselect_b32 s8, -1, 0
	s_ashr_i32 s31, s13, 31
	s_cmp_eq_u64 s[2:3], 0
	s_cbranch_scc1 .LBB1437_3
; %bb.1:
	s_lshl_b64 s[4:5], s[30:31], 2
	s_delay_alu instid0(SALU_CYCLE_1) | instskip(SKIP_4) | instid1(SALU_CYCLE_1)
	s_add_u32 s4, s2, s4
	s_addc_u32 s5, s3, s5
	s_load_b64 s[4:5], s[4:5], 0x0
	s_waitcnt lgkmcnt(0)
	s_sub_i32 s4, s5, s4
	s_cmp_eq_u32 s4, 1
	s_cselect_b32 s4, -1, 0
	s_delay_alu instid0(SALU_CYCLE_1)
	s_and_not1_b32 vcc_lo, exec_lo, s4
	s_cbranch_vccz .LBB1437_4
.LBB1437_2:
	s_endpgm
.LBB1437_3:
.LBB1437_4:
	s_load_b64 s[4:5], s[0:1], 0x28
	s_lshl_b64 s[6:7], s[30:31], 2
	s_waitcnt lgkmcnt(0)
	s_add_u32 s4, s4, s6
	s_addc_u32 s5, s5, s7
	s_lshl_b32 s12, s14, 8
	s_load_b32 s24, s[4:5], 0x0
	s_waitcnt lgkmcnt(0)
	s_cmp_ge_i32 s12, s24
	s_cbranch_scc1 .LBB1437_2
; %bb.5:
	s_clause 0x1
	s_load_b128 s[20:23], s[0:1], 0x8
	s_load_b64 s[4:5], s[0:1], 0x20
	s_and_not1_b32 vcc_lo, exec_lo, s8
	s_cbranch_vccnz .LBB1437_7
; %bb.6:
	s_add_u32 s2, s2, s6
	s_addc_u32 s3, s3, s7
	s_load_b32 s3, s[2:3], 0x0
	s_branch .LBB1437_8
.LBB1437_7:
	s_mov_b32 s3, s30
.LBB1437_8:
	s_load_b128 s[16:19], s[0:1], 0x48
	v_and_b32_e32 v65, 15, v0
	v_cmp_gt_u32_e32 vcc_lo, 0xc0, v0
	v_lshrrev_b32_e32 v66, 5, v0
	v_and_b32_e32 v67, 31, v0
	v_and_b32_e32 v75, 1, v0
	v_lshlrev_b32_e32 v1, 3, v65
	v_cmp_gt_u32_e64 s2, 8, v65
	v_bfe_u32 v74, v0, 4, 1
	s_mul_i32 s31, s15, 12
	s_delay_alu instid0(VALU_DEP_3) | instskip(NEXT) | instid1(VALU_DEP_3)
	v_lshlrev_b32_e32 v73, 1, v1
	s_and_b32 s7, vcc_lo, s2
	s_delay_alu instid0(SALU_CYCLE_1)
	s_and_saveexec_b32 s6, s7
	s_cbranch_execz .LBB1437_10
; %bb.9:
	s_load_b64 s[8:9], s[0:1], 0x0
	v_lshl_or_b32 v5, v66, 1, v74
	s_waitcnt lgkmcnt(0)
	s_mul_hi_i32 s11, s3, s16
	s_mul_i32 s10, s3, s16
	v_lshlrev_b32_e32 v6, 10, v65
	s_lshl_b64 s[10:11], s[10:11], 1
	v_add_lshl_u32 v1, v5, s31, 6
	v_lshlrev_b32_e32 v5, 6, v5
	v_lshlrev_b32_e32 v7, 10, v75
	v_and_b32_e32 v6, 0x3800, v6
	s_delay_alu instid0(VALU_DEP_4) | instskip(NEXT) | instid1(VALU_DEP_2)
	v_ashrrev_i32_e32 v2, 31, v1
	v_or3_b32 v5, v6, v7, v5
	s_delay_alu instid0(VALU_DEP_2) | instskip(SKIP_2) | instid1(VALU_DEP_1)
	v_lshlrev_b64 v[1:2], 1, v[1:2]
	s_add_u32 s3, s8, s10
	s_addc_u32 s7, s9, s11
	v_add_co_u32 v1, vcc_lo, s3, v1
	s_delay_alu instid0(VALU_DEP_2) | instskip(NEXT) | instid1(VALU_DEP_2)
	v_add_co_ci_u32_e32 v2, vcc_lo, s7, v2, vcc_lo
	v_add_co_u32 v1, vcc_lo, v1, v73
	s_delay_alu instid0(VALU_DEP_2)
	v_add_co_ci_u32_e32 v2, vcc_lo, 0, v2, vcc_lo
	global_load_b128 v[1:4], v[1:2], off
	s_waitcnt vmcnt(0)
	ds_store_b128 v5, v[1:4]
.LBB1437_10:
	s_or_b32 exec_lo, exec_lo, s6
	v_and_b32_e32 v1, 0xef, v0
	s_waitcnt lgkmcnt(0)
	s_add_i32 s3, s24, 31
	s_clause 0x1
	s_load_b32 s6, s[0:1], 0x38
	s_load_b32 s19, s[0:1], 0x1c
	s_ashr_i32 s7, s3, 31
	v_add_nc_u32_e32 v1, s12, v1
	s_lshr_b32 s7, s7, 27
	s_waitcnt lgkmcnt(0)
	s_add_i32 s3, s3, s7
	s_barrier
	v_ashrrev_i32_e32 v2, 31, v1
	v_or_b32_e32 v3, 16, v1
	s_ashr_i32 s3, s3, 5
	v_cmp_gt_i32_e32 vcc_lo, s24, v1
	s_add_i32 s3, s3, -1
	v_lshrrev_b32_e32 v2, 27, v2
	buffer_gl0_inv
	s_mul_i32 s27, s15, s18
	v_add_nc_u32_e32 v4, v1, v2
	s_mul_i32 s6, s30, s6
	s_delay_alu instid0(SALU_CYCLE_1) | instskip(NEXT) | instid1(VALU_DEP_1)
	s_ashr_i32 s7, s6, 31
	v_ashrrev_i32_e32 v4, 5, v4
	v_add_nc_u32_e32 v2, v3, v2
	s_lshl_b64 s[6:7], s[6:7], 2
	s_delay_alu instid0(SALU_CYCLE_1) | instskip(NEXT) | instid1(VALU_DEP_2)
	s_add_u32 s26, s4, s6
	v_cndmask_b32_e32 v1, s3, v4, vcc_lo
	s_delay_alu instid0(VALU_DEP_2)
	v_ashrrev_i32_e32 v2, 5, v2
	v_cmp_gt_i32_e32 vcc_lo, s24, v3
	s_addc_u32 s25, s5, s7
	s_ashr_i32 s28, s27, 31
	s_add_u32 s4, s20, s27
	s_addc_u32 s5, s21, s28
	v_cndmask_b32_e32 v3, s3, v2, vcc_lo
	v_ashrrev_i32_e32 v2, 31, v1
	s_lshl_b32 s6, s14, 3
	s_delay_alu instid0(SALU_CYCLE_1) | instskip(NEXT) | instid1(VALU_DEP_2)
	s_ashr_i32 s7, s6, 31
	v_ashrrev_i32_e32 v4, 31, v3
	s_delay_alu instid0(VALU_DEP_2) | instskip(SKIP_1) | instid1(SALU_CYCLE_1)
	v_lshlrev_b64 v[1:2], 2, v[1:2]
	s_lshl_b64 s[6:7], s[6:7], 2
	s_add_u32 s6, s26, s6
	s_delay_alu instid0(VALU_DEP_2) | instskip(SKIP_1) | instid1(VALU_DEP_2)
	v_lshlrev_b64 v[3:4], 2, v[3:4]
	s_addc_u32 s7, s25, s7
	v_add_co_u32 v1, vcc_lo, s26, v1
	v_add_co_ci_u32_e32 v2, vcc_lo, s25, v2, vcc_lo
	s_delay_alu instid0(VALU_DEP_3) | instskip(NEXT) | instid1(VALU_DEP_4)
	v_add_co_u32 v3, vcc_lo, s26, v3
	v_add_co_ci_u32_e32 v4, vcc_lo, s25, v4, vcc_lo
	s_clause 0x1
	global_load_b32 v5, v[1:2], off
	global_load_b32 v6, v[3:4], off
	s_or_b32 s8, s12, 32
	s_delay_alu instid0(SALU_CYCLE_1) | instskip(SKIP_2) | instid1(SALU_CYCLE_1)
	s_ashr_i32 s9, s8, 5
	s_cmp_lt_i32 s8, s24
	s_cselect_b32 s8, s9, s3
	s_ashr_i32 s9, s8, 31
	s_delay_alu instid0(SALU_CYCLE_1) | instskip(NEXT) | instid1(SALU_CYCLE_1)
	s_lshl_b64 s[8:9], s[8:9], 2
	s_add_u32 s8, s26, s8
	s_addc_u32 s9, s25, s9
	s_or_b32 s10, s12, 64
	s_delay_alu instid0(SALU_CYCLE_1) | instskip(SKIP_2) | instid1(SALU_CYCLE_1)
	s_ashr_i32 s11, s10, 5
	s_cmp_lt_i32 s10, s24
	s_cselect_b32 s10, s11, s3
	s_ashr_i32 s11, s10, 31
	s_delay_alu instid0(SALU_CYCLE_1) | instskip(NEXT) | instid1(SALU_CYCLE_1)
	s_lshl_b64 s[10:11], s[10:11], 2
	s_add_u32 s10, s26, s10
	s_addc_u32 s11, s25, s11
	s_or_b32 s13, s12, 0x60
	s_delay_alu instid0(SALU_CYCLE_1) | instskip(SKIP_2) | instid1(SALU_CYCLE_1)
	s_ashr_i32 s15, s13, 5
	s_cmp_lt_i32 s13, s24
	s_cselect_b32 s20, s15, s3
	s_ashr_i32 s21, s20, 31
	s_delay_alu instid0(SALU_CYCLE_1) | instskip(NEXT) | instid1(SALU_CYCLE_1)
	s_lshl_b64 s[20:21], s[20:21], 2
	s_add_u32 s34, s26, s20
	s_addc_u32 s35, s25, s21
	s_or_b32 s13, s12, 0x80
	s_delay_alu instid0(SALU_CYCLE_1) | instskip(SKIP_2) | instid1(SALU_CYCLE_1)
	s_ashr_i32 s15, s13, 5
	s_cmp_lt_i32 s13, s24
	s_cselect_b32 s20, s15, s3
	s_ashr_i32 s21, s20, 31
	s_delay_alu instid0(SALU_CYCLE_1) | instskip(NEXT) | instid1(SALU_CYCLE_1)
	s_lshl_b64 s[20:21], s[20:21], 2
	s_add_u32 s36, s26, s20
	s_addc_u32 s37, s25, s21
	s_or_b32 s13, s12, 0xa0
	s_delay_alu instid0(SALU_CYCLE_1) | instskip(SKIP_2) | instid1(SALU_CYCLE_1)
	s_ashr_i32 s15, s13, 5
	s_cmp_lt_i32 s13, s24
	s_cselect_b32 s20, s15, s3
	s_ashr_i32 s21, s20, 31
	s_delay_alu instid0(SALU_CYCLE_1) | instskip(NEXT) | instid1(SALU_CYCLE_1)
	s_lshl_b64 s[20:21], s[20:21], 2
	s_add_u32 s38, s26, s20
	s_addc_u32 s39, s25, s21
	s_clause 0x5
	s_load_b32 s21, s[6:7], 0x0
	s_load_b32 s13, s[8:9], 0x0
	;; [unrolled: 1-line block ×6, first 2 shown]
	s_or_b32 s8, s12, 0xc0
	s_delay_alu instid0(SALU_CYCLE_1) | instskip(SKIP_2) | instid1(SALU_CYCLE_1)
	s_ashr_i32 s9, s8, 5
	s_cmp_lt_i32 s8, s24
	s_cselect_b32 s34, s9, s3
	s_ashr_i32 s35, s34, 31
	s_delay_alu instid0(SALU_CYCLE_1) | instskip(NEXT) | instid1(SALU_CYCLE_1)
	s_lshl_b64 s[34:35], s[34:35], 2
	s_add_u32 s34, s26, s34
	s_addc_u32 s35, s25, s35
	s_or_b32 s29, s12, 0xe0
	s_delay_alu instid0(SALU_CYCLE_1)
	s_ashr_i32 s33, s29, 5
	s_cmp_lt_i32 s29, s24
	s_waitcnt vmcnt(1)
	v_mad_i64_i32 v[1:2], null, v5, s17, s[4:5]
	s_waitcnt vmcnt(0)
	v_mad_i64_i32 v[3:4], null, v6, s17, s[4:5]
	s_mov_b32 s4, 0
	s_delay_alu instid0(SALU_CYCLE_1)
	s_mov_b32 s5, s4
	s_mov_b32 s6, s4
	;; [unrolled: 1-line block ×7, first 2 shown]
	v_lshlrev_b32_e32 v5, 4, v65
	v_dual_mov_b32 v107, s11 :: v_dual_mov_b32 v102, s6
	v_mov_b32_e32 v100, s4
	v_mov_b32_e32 v106, s10
	s_delay_alu instid0(VALU_DEP_4)
	v_add_co_u32 v1, vcc_lo, v1, v5
	v_add_co_ci_u32_e32 v2, vcc_lo, 0, v2, vcc_lo
	v_add_co_u32 v3, vcc_lo, v3, v5
	v_add_co_ci_u32_e32 v4, vcc_lo, 0, v4, vcc_lo
	s_clause 0x7
	global_load_b128 v[49:52], v[1:2], off
	global_load_b128 v[53:56], v[1:2], off offset:512
	global_load_b128 v[76:79], v[3:4], off offset:256
	;; [unrolled: 1-line block ×7, first 2 shown]
	v_add_nc_u32_e32 v1, -12, v65
	v_cmp_gt_u32_e32 vcc_lo, 12, v65
	v_dual_mov_b32 v104, s8 :: v_dual_mov_b32 v103, s7
	v_dual_mov_b32 v101, s5 :: v_dual_lshlrev_b32 v2, 5, v65
	s_delay_alu instid0(VALU_DEP_4)
	v_cndmask_b32_e32 v1, v1, v65, vcc_lo
	v_mov_b32_e32 v105, s9
	s_cselect_b32 s4, s33, s3
	s_load_b32 s3, s[34:35], 0x0
	s_ashr_i32 s5, s4, 31
	v_lshlrev_b32_e32 v70, 6, v1
	s_lshl_b64 s[4:5], s[4:5], 2
	v_lshl_or_b32 v2, v66, 9, v2
	s_add_u32 s4, s26, s4
	s_addc_u32 s5, s25, s5
	ds_load_b128 v[108:111], v70
	ds_load_b128 v[112:115], v70 offset:1024
	s_load_b32 s4, s[4:5], 0x0
	s_add_u32 s6, s22, s27
	s_addc_u32 s7, s23, s28
	v_add_co_u32 v9, s6, s6, v2
	s_delay_alu instid0(VALU_DEP_1) | instskip(SKIP_1) | instid1(VALU_DEP_1)
	v_add_co_ci_u32_e64 v10, null, s7, 0, s6
	s_waitcnt lgkmcnt(0)
	v_mad_i64_i32 v[1:2], null, s21, s17, v[9:10]
	v_mad_i64_i32 v[3:4], null, s13, s17, v[9:10]
	;; [unrolled: 1-line block ×7, first 2 shown]
	s_clause 0x9
	global_load_b128 v[57:60], v[1:2], off
	global_load_b128 v[61:64], v[1:2], off offset:16
	global_load_b128 v[41:44], v[3:4], off
	global_load_b128 v[45:48], v[3:4], off offset:16
	;; [unrolled: 2-line block ×5, first 2 shown]
	v_mad_i64_i32 v[68:69], null, s4, s17, v[9:10]
	s_clause 0x3
	global_load_b128 v[9:12], v[13:14], off
	global_load_b128 v[13:16], v[13:14], off offset:16
	global_load_b128 v[17:20], v[21:22], off
	global_load_b128 v[21:24], v[21:22], off offset:16
	s_waitcnt vmcnt(20)
	v_wmma_f32_16x16x16_bf16 v[116:123], v[49:56], v[108:115], v[100:107]
	s_clause 0x1
	global_load_b128 v[49:52], v[68:69], off
	global_load_b128 v[53:56], v[68:69], off offset:16
	v_and_b32_e32 v68, 0xe0, v0
	v_mbcnt_lo_u32_b32 v69, -1, 0
	s_delay_alu instid0(VALU_DEP_2)
	v_add_nc_u32_e32 v68, s12, v68
	s_waitcnt vmcnt(20)
	v_wmma_f32_16x16x16_bf16 v[100:107], v[76:83], v[108:115], v[100:107]
	ds_load_b128 v[76:79], v70 offset:2048
	ds_load_b128 v[80:83], v70 offset:3072
	v_xor_b32_e32 v70, 16, v69
	s_waitcnt vmcnt(0) lgkmcnt(0)
	v_or_b32_e32 v68, v68, v74
	s_barrier
	buffer_gl0_inv
	v_cmp_gt_i32_e32 vcc_lo, 32, v70
	v_or_b32_e32 v71, 4, v68
	v_or_b32_e32 v72, 6, v68
	v_cmp_gt_i32_e64 s3, s24, v68
	v_or_b32_e32 v108, 8, v68
	v_or_b32_e32 v109, 10, v68
	v_cmp_gt_i32_e64 s4, s24, v71
	v_cmp_gt_i32_e64 s5, s24, v72
	s_delay_alu instid0(VALU_DEP_4) | instskip(NEXT) | instid1(VALU_DEP_4)
	v_cmp_gt_i32_e64 s6, s24, v108
	v_cmp_gt_i32_e64 s7, s24, v109
	v_wmma_f32_16x16x16_bf16 v[116:123], v[84:91], v[76:83], v[116:123]
	v_cndmask_b32_e32 v69, v69, v70, vcc_lo
	v_or_b32_e32 v70, 2, v68
	v_wmma_f32_16x16x16_bf16 v[100:107], v[92:99], v[76:83], v[100:107]
	v_or_b32_e32 v89, 22, v68
	v_dual_mul_f32 v80, s19, v121 :: v_dual_mul_f32 v81, s19, v120
	v_dual_mul_f32 v92, s19, v117 :: v_dual_mul_f32 v93, s19, v116
	s_delay_alu instid0(VALU_DEP_4)
	v_mul_f32_e32 v96, s19, v105
	v_cmp_gt_i32_e32 vcc_lo, s24, v70
	v_dual_mul_f32 v79, s19, v122 :: v_dual_mul_f32 v82, s19, v119
	v_dual_mul_f32 v83, s19, v118 :: v_dual_mul_f32 v94, s19, v107
	v_cndmask_b32_e64 v93, 0xff7fffff, v93, s3
	v_cndmask_b32_e32 v92, 0xff7fffff, v92, vcc_lo
	v_or_b32_e32 v84, 12, v68
	v_or_b32_e32 v85, 14, v68
	v_cndmask_b32_e64 v71, 0xff7fffff, v83, s4
	v_cndmask_b32_e64 v72, 0xff7fffff, v82, s5
	v_cmp_gt_i32_e64 s13, s24, v89
	v_lshlrev_b32_e32 v89, 2, v69
	v_max3_f32 v82, v93, 0xff7fffff, v92
	v_or_b32_e32 v86, 16, v68
	v_or_b32_e32 v87, 18, v68
	v_mul_f32_e32 v78, s19, v123
	v_cndmask_b32_e64 v81, 0xff7fffff, v81, s6
	v_cndmask_b32_e64 v80, 0xff7fffff, v80, s7
	v_max3_f32 v71, v82, v71, v72
	v_cmp_gt_i32_e64 s8, s24, v84
	v_cmp_gt_i32_e64 s9, s24, v85
	v_or_b32_e32 v88, 20, v68
	v_or_b32_e32 v90, 24, v68
	;; [unrolled: 1-line block ×5, first 2 shown]
	v_dual_mul_f32 v97, s19, v104 :: v_dual_mul_f32 v70, s19, v101
	v_dual_mul_f32 v99, s19, v102 :: v_dual_mul_f32 v68, s19, v100
	v_cndmask_b32_e64 v72, 0xff7fffff, v79, s8
	v_cndmask_b32_e64 v78, 0xff7fffff, v78, s9
	v_max3_f32 v71, v71, v81, v80
	v_cmp_gt_i32_e64 s10, s24, v86
	v_cmp_gt_i32_e64 s11, s24, v87
	v_dual_mul_f32 v95, s19, v106 :: v_dual_mul_f32 v98, s19, v103
	s_delay_alu instid0(VALU_DEP_4) | instskip(NEXT) | instid1(VALU_DEP_4)
	v_max3_f32 v71, v71, v72, v78
	v_cndmask_b32_e64 v68, 0xff7fffff, v68, s10
	s_delay_alu instid0(VALU_DEP_4)
	v_cndmask_b32_e64 v70, 0xff7fffff, v70, s11
	v_cmp_gt_i32_e64 s12, s24, v88
	v_cndmask_b32_e64 v78, 0xff7fffff, v98, s13
	v_cmp_gt_i32_e64 s15, s24, v90
	v_cmp_gt_i32_e64 s16, s24, v91
	v_max3_f32 v68, v71, v68, v70
	v_cndmask_b32_e64 v72, 0xff7fffff, v99, s12
	v_cmp_gt_i32_e64 s17, s24, v76
	v_cndmask_b32_e64 v70, 0xff7fffff, v97, s15
	v_cndmask_b32_e64 v71, 0xff7fffff, v96, s16
	v_cmp_gt_i32_e64 s18, s24, v77
	v_max3_f32 v68, v68, v72, v78
	v_cndmask_b32_e64 v72, 0xff7fffff, v95, s17
	s_delay_alu instid0(VALU_DEP_3) | instskip(NEXT) | instid1(VALU_DEP_3)
	v_cndmask_b32_e64 v76, 0xff7fffff, v94, s18
	v_max3_f32 v68, v68, v70, v71
	s_delay_alu instid0(VALU_DEP_1) | instskip(SKIP_3) | instid1(VALU_DEP_1)
	v_max3_f32 v68, v68, v72, v76
	ds_bpermute_b32 v69, v89, v68
	s_waitcnt lgkmcnt(0)
	v_max_f32_e32 v69, v69, v69
	v_max_f32_e32 v68, v68, v69
	s_delay_alu instid0(VALU_DEP_1) | instskip(NEXT) | instid1(VALU_DEP_1)
	v_fma_f32 v71, s19, v118, -v68
	v_mul_f32_e32 v71, 0x3fb8aa3b, v71
	v_fma_f32 v70, s19, v117, -v68
	v_fma_f32 v69, s19, v116, -v68
	;; [unrolled: 1-line block ×5, first 2 shown]
	s_delay_alu instid0(VALU_DEP_4) | instskip(SKIP_1) | instid1(VALU_DEP_3)
	v_dual_mul_f32 v70, 0x3fb8aa3b, v70 :: v_dual_mul_f32 v69, 0x3fb8aa3b, v69
	v_exp_f32_e32 v71, v71
	v_mul_f32_e32 v72, 0x3fb8aa3b, v72
	v_fma_f32 v81, s19, v105, -v68
	s_delay_alu instid0(VALU_DEP_3)
	v_exp_f32_e32 v70, v70
	v_mul_f32_e32 v77, 0x3fb8aa3b, v76
	v_exp_f32_e32 v69, v69
	v_exp_f32_e32 v72, v72
	v_mul_f32_e32 v81, 0x3fb8aa3b, v81
	v_cndmask_b32_e64 v83, 0, v71, s4
	v_fma_f32 v71, s19, v123, -v68
	s_delay_alu instid0(VALU_DEP_3) | instskip(SKIP_4) | instid1(TRANS32_DEP_3)
	v_exp_f32_e32 v81, v81
	v_cndmask_b32_e32 v76, 0, v70, vcc_lo
	v_exp_f32_e32 v77, v77
	v_cndmask_b32_e64 v80, 0, v69, s3
	v_fma_f32 v69, s19, v121, -v68
	v_cndmask_b32_e64 v85, 0, v72, s5
	v_mul_f32_e32 v71, 0x3fb8aa3b, v71
	v_fma_f32 v72, s19, v100, -v68
	s_delay_alu instid0(VALU_DEP_4) | instskip(SKIP_1) | instid1(VALU_DEP_3)
	v_dual_add_f32 v70, 0, v80 :: v_dual_mul_f32 v69, 0x3fb8aa3b, v69
	s_mov_b32 s3, exec_lo
	v_exp_f32_e32 v71, v71
	s_delay_alu instid0(TRANS32_DEP_2) | instskip(SKIP_4) | instid1(VALU_DEP_3)
	v_cndmask_b32_e64 v86, 0, v77, s6
	v_fma_f32 v77, s19, v101, -v68
	v_mul_f32_e32 v78, 0x3fb8aa3b, v78
	v_add_f32_e32 v70, v70, v76
	v_exp_f32_e32 v69, v69
	v_mul_f32_e32 v77, 0x3fb8aa3b, v77
	s_delay_alu instid0(VALU_DEP_3) | instskip(NEXT) | instid1(TRANS32_DEP_3)
	v_exp_f32_e32 v78, v78
	v_cndmask_b32_e64 v88, 0, v71, s9
	v_fma_f32 v71, s19, v104, -v68
	s_delay_alu instid0(VALU_DEP_3) | instskip(NEXT) | instid1(TRANS32_DEP_3)
	v_exp_f32_e32 v77, v77
	v_cndmask_b32_e64 v87, 0, v69, s7
	s_delay_alu instid0(VALU_DEP_2)
	v_mul_f32_e32 v71, 0x3fb8aa3b, v71
	s_waitcnt_depctr 0xfff
	v_cndmask_b32_e64 v84, 0, v78, s8
	v_add_f32_e32 v70, v70, v83
	v_fma_f32 v78, s19, v103, -v68
	v_exp_f32_e32 v82, v71
	s_delay_alu instid0(VALU_DEP_2) | instskip(SKIP_1) | instid1(VALU_DEP_3)
	v_add_f32_e32 v70, v70, v85
	v_mul_f32_e32 v72, 0x3fb8aa3b, v72
	v_mul_f32_e32 v78, 0x3fb8aa3b, v78
	s_delay_alu instid0(VALU_DEP_3) | instskip(SKIP_1) | instid1(VALU_DEP_4)
	v_add_f32_e32 v69, v70, v86
	v_fma_f32 v70, s19, v102, -v68
	v_exp_f32_e32 v72, v72
	s_delay_alu instid0(VALU_DEP_3) | instskip(NEXT) | instid1(VALU_DEP_1)
	v_exp_f32_e32 v78, v78
	v_dual_add_f32 v69, v69, v87 :: v_dual_mul_f32 v70, 0x3fb8aa3b, v70
	s_delay_alu instid0(VALU_DEP_1) | instskip(NEXT) | instid1(VALU_DEP_2)
	v_add_f32_e32 v69, v69, v84
	v_exp_f32_e32 v79, v70
	s_delay_alu instid0(TRANS32_DEP_3) | instskip(NEXT) | instid1(VALU_DEP_2)
	v_cndmask_b32_e64 v70, 0, v72, s10
	v_add_f32_e32 v72, v69, v88
	v_cndmask_b32_e64 v69, 0, v77, s11
	v_fma_f32 v77, s19, v106, -v68
	s_waitcnt_depctr 0xfff
	v_cndmask_b32_e64 v71, 0, v79, s12
	v_dual_mul_f32 v77, 0x3fb8aa3b, v77 :: v_dual_add_f32 v72, v72, v70
	s_delay_alu instid0(VALU_DEP_1) | instskip(NEXT) | instid1(VALU_DEP_1)
	v_exp_f32_e32 v90, v77
	v_add_f32_e32 v79, v72, v69
	v_cndmask_b32_e64 v72, 0, v78, s13
	v_cndmask_b32_e64 v77, 0, v82, s15
	s_delay_alu instid0(VALU_DEP_3) | instskip(SKIP_1) | instid1(VALU_DEP_1)
	v_add_f32_e32 v78, v79, v71
	v_fma_f32 v79, s19, v107, -v68
	v_dual_add_f32 v82, v78, v72 :: v_dual_mul_f32 v79, 0x3fb8aa3b, v79
	v_cndmask_b32_e64 v78, 0, v81, s16
	s_delay_alu instid0(VALU_DEP_2) | instskip(NEXT) | instid1(VALU_DEP_3)
	v_add_f32_e32 v81, v82, v77
	v_exp_f32_e32 v82, v79
	v_cndmask_b32_e64 v79, 0, v90, s17
	s_delay_alu instid0(VALU_DEP_2) | instskip(NEXT) | instid1(VALU_DEP_1)
	v_add_f32_e32 v81, v81, v78
	v_add_f32_e32 v90, v81, v79
	s_waitcnt_depctr 0xfff
	v_cndmask_b32_e64 v81, 0, v82, s18
	s_delay_alu instid0(VALU_DEP_1)
	v_add_f32_e32 v82, v90, v81
	ds_bpermute_b32 v89, v89, v82
	v_cmpx_gt_u32_e32 16, v67
	s_cbranch_execz .LBB1437_12
; %bb.11:
	v_mul_u32_u24_e32 v67, 0x44, v66
	s_delay_alu instid0(VALU_DEP_1) | instskip(SKIP_1) | instid1(VALU_DEP_1)
	v_lshl_add_u32 v67, v65, 2, v67
	s_waitcnt lgkmcnt(0)
	v_dual_add_f32 v82, v82, v89 :: v_dual_add_nc_u32 v67, 0x4000, v67
	ds_store_2addr_b32 v67, v68, v82 offset1:136
.LBB1437_12:
	s_or_b32 exec_lo, exec_lo, s3
	v_lshlrev_b32_e32 v67, 2, v65
	s_waitcnt lgkmcnt(0)
	s_barrier
	buffer_gl0_inv
	v_cmp_eq_u32_e32 vcc_lo, 1, v66
	v_add_nc_u32_e32 v82, 0x4000, v67
	v_cmp_eq_u32_e64 s3, 2, v66
	v_cmp_eq_u32_e64 s5, 7, v66
	ds_load_2addr_b32 v[89:90], v82 offset1:17
	ds_load_2addr_b32 v[91:92], v82 offset0:34 offset1:51
	ds_load_2addr_b32 v[93:94], v82 offset0:68 offset1:85
	;; [unrolled: 1-line block ×4, first 2 shown]
	s_waitcnt lgkmcnt(4)
	v_max3_f32 v67, v89, 0xff7fffff, v90
	s_waitcnt lgkmcnt(3)
	s_delay_alu instid0(VALU_DEP_1) | instskip(SKIP_1) | instid1(VALU_DEP_1)
	v_max3_f32 v67, v67, v91, v92
	s_waitcnt lgkmcnt(2)
	v_max3_f32 v67, v67, v93, v94
	s_waitcnt lgkmcnt(1)
	s_delay_alu instid0(VALU_DEP_1) | instskip(NEXT) | instid1(VALU_DEP_1)
	v_max3_f32 v67, v67, v95, v96
	v_sub_f32_e32 v93, v93, v67
	s_delay_alu instid0(VALU_DEP_1) | instskip(NEXT) | instid1(VALU_DEP_1)
	v_dual_sub_f32 v68, v89, v67 :: v_dual_mul_f32 v103, 0x3fb8aa3b, v93
	v_mul_f32_e32 v68, 0x3fb8aa3b, v68
	s_delay_alu instid0(VALU_DEP_1)
	v_exp_f32_e32 v100, v68
	v_sub_f32_e32 v68, v92, v67
	v_sub_f32_e32 v99, v90, v67
	ds_load_2addr_b32 v[89:90], v82 offset0:170 offset1:187
	v_dual_mul_f32 v102, 0x3fb8aa3b, v68 :: v_dual_mul_f32 v99, 0x3fb8aa3b, v99
	s_waitcnt lgkmcnt(1)
	v_fma_f32 v68, v100, v97, 0
	s_delay_alu instid0(VALU_DEP_2) | instskip(NEXT) | instid1(VALU_DEP_2)
	v_exp_f32_e32 v102, v102
	v_exp_f32_e32 v99, v99
	s_waitcnt_depctr 0xfff
	v_fmac_f32_e32 v68, v99, v98
	v_sub_f32_e32 v91, v91, v67
	s_delay_alu instid0(VALU_DEP_1)
	v_mul_f32_e32 v101, 0x3fb8aa3b, v91
	ds_load_2addr_b32 v[91:92], v82 offset0:204 offset1:221
	v_sub_f32_e32 v97, v94, v67
	ds_load_2addr_b32 v[93:94], v82 offset0:238 offset1:255
	s_waitcnt lgkmcnt(0)
	v_exp_f32_e32 v101, v101
	s_barrier
	buffer_gl0_inv
	v_dual_fmac_f32 v68, v101, v89 :: v_dual_sub_f32 v89, v96, v67
	v_dual_sub_f32 v82, v95, v67 :: v_dual_mul_f32 v95, 0x3fb8aa3b, v97
	v_exp_f32_e32 v97, v103
	s_delay_alu instid0(VALU_DEP_2) | instskip(NEXT) | instid1(VALU_DEP_2)
	v_dual_fmac_f32 v68, v102, v90 :: v_dual_mul_f32 v89, 0x3fb8aa3b, v89
	v_mul_f32_e32 v82, 0x3fb8aa3b, v82
	s_delay_alu instid0(VALU_DEP_3) | instskip(NEXT) | instid1(VALU_DEP_2)
	v_exp_f32_e32 v95, v95
	v_exp_f32_e32 v89, v89
	s_delay_alu instid0(VALU_DEP_1)
	v_exp_f32_e32 v82, v82
	v_fmac_f32_e32 v68, v97, v91
	s_delay_alu instid0(TRANS32_DEP_3) | instid1(VALU_DEP_1)
	v_fmac_f32_e32 v68, v95, v92
	s_waitcnt_depctr 0xfff
	v_fmac_f32_e32 v68, v82, v93
	s_delay_alu instid0(VALU_DEP_1) | instskip(NEXT) | instid1(VALU_DEP_1)
	v_fmac_f32_e32 v68, v89, v94
	v_add_f32_e32 v90, 0x358637bd, v68
	s_delay_alu instid0(VALU_DEP_1) | instskip(NEXT) | instid1(VALU_DEP_1)
	v_div_scale_f32 v91, null, v90, v90, 1.0
	v_rcp_f32_e32 v92, v91
	s_waitcnt_depctr 0xfff
	v_fma_f32 v93, -v91, v92, 1.0
	s_delay_alu instid0(VALU_DEP_1) | instskip(SKIP_1) | instid1(VALU_DEP_2)
	v_dual_fmac_f32 v92, v93, v92 :: v_dual_cndmask_b32 v93, v100, v99
	v_cmp_eq_u32_e32 vcc_lo, 3, v66
	v_cndmask_b32_e64 v93, v93, v101, s3
	v_cmp_eq_u32_e64 s3, 4, v66
	s_delay_alu instid0(VALU_DEP_2) | instskip(SKIP_1) | instid1(VALU_DEP_2)
	v_cndmask_b32_e32 v93, v93, v102, vcc_lo
	v_cmp_eq_u32_e32 vcc_lo, 5, v66
	v_cndmask_b32_e64 v93, v93, v97, s3
	v_cmp_eq_u32_e64 s3, 6, v66
	s_delay_alu instid0(VALU_DEP_2) | instskip(SKIP_1) | instid1(VALU_DEP_1)
	v_cndmask_b32_e32 v93, v93, v95, vcc_lo
	v_div_scale_f32 v94, s4, 1.0, v90, 1.0
	s_mov_b32 vcc_lo, s4
	s_delay_alu instid0(VALU_DEP_2) | instskip(NEXT) | instid1(VALU_DEP_2)
	v_cndmask_b32_e64 v82, v93, v82, s3
	v_mul_f32_e32 v96, v94, v92
	s_mov_b32 s3, exec_lo
	s_delay_alu instid0(VALU_DEP_2) | instskip(NEXT) | instid1(VALU_DEP_2)
	v_cndmask_b32_e64 v82, v82, v89, s5
	v_fma_f32 v98, -v91, v96, v94
	s_delay_alu instid0(VALU_DEP_1) | instskip(NEXT) | instid1(VALU_DEP_1)
	v_fmac_f32_e32 v96, v98, v92
	v_fma_f32 v91, -v91, v96, v94
	s_delay_alu instid0(VALU_DEP_1) | instskip(NEXT) | instid1(VALU_DEP_1)
	v_div_fmas_f32 v91, v91, v92, v96
	v_div_fixup_f32 v90, v91, v90, 1.0
	s_delay_alu instid0(VALU_DEP_1) | instskip(NEXT) | instid1(VALU_DEP_1)
	v_mul_f32_e32 v82, v82, v90
	v_mul_f32_e32 v87, v82, v87
	;; [unrolled: 1-line block ×7, first 2 shown]
	v_dual_mul_f32 v86, v82, v83 :: v_dual_and_b32 v91, 0x7f800000, v90
	v_mul_f32_e32 v85, v82, v76
                                        ; implicit-def: $vgpr76
	s_delay_alu instid0(VALU_DEP_2)
	v_cmpx_ne_u32_e32 0x7f800000, v91
	s_xor_b32 s3, exec_lo, s3
; %bb.13:
	v_bfe_u32 v76, v90, 16, 1
	s_delay_alu instid0(VALU_DEP_1)
	v_add3_u32 v76, v90, v76, 0x7fff
                                        ; implicit-def: $vgpr90
; %bb.14:
	s_and_not1_saveexec_b32 s3, s3
; %bb.15:
	v_and_b32_e32 v76, 0xffff, v90
	v_or_b32_e32 v83, 0x10000, v90
	s_delay_alu instid0(VALU_DEP_2) | instskip(NEXT) | instid1(VALU_DEP_2)
	v_cmp_eq_u32_e32 vcc_lo, 0, v76
	v_cndmask_b32_e32 v76, v83, v90, vcc_lo
; %bb.16:
	s_or_b32 exec_lo, exec_lo, s3
	v_and_b32_e32 v83, 0x7f800000, v85
	s_delay_alu instid0(VALU_DEP_1) | instskip(SKIP_1) | instid1(SALU_CYCLE_1)
	v_cmp_ne_u32_e32 vcc_lo, 0x7f800000, v83
                                        ; implicit-def: $vgpr83
	s_and_saveexec_b32 s3, vcc_lo
	s_xor_b32 s3, exec_lo, s3
; %bb.17:
	v_bfe_u32 v83, v85, 16, 1
	s_delay_alu instid0(VALU_DEP_1)
	v_add3_u32 v83, v85, v83, 0x7fff
                                        ; implicit-def: $vgpr85
; %bb.18:
	s_and_not1_saveexec_b32 s3, s3
; %bb.19:
	v_and_b32_e32 v83, 0xffff, v85
	v_or_b32_e32 v90, 0x10000, v85
	s_delay_alu instid0(VALU_DEP_2) | instskip(NEXT) | instid1(VALU_DEP_2)
	v_cmp_eq_u32_e32 vcc_lo, 0, v83
	v_cndmask_b32_e32 v83, v90, v85, vcc_lo
; %bb.20:
	s_or_b32 exec_lo, exec_lo, s3
	v_and_b32_e32 v85, 0x7f800000, v86
	s_delay_alu instid0(VALU_DEP_1) | instskip(SKIP_1) | instid1(SALU_CYCLE_1)
	v_cmp_ne_u32_e32 vcc_lo, 0x7f800000, v85
                                        ; implicit-def: $vgpr85
	s_and_saveexec_b32 s3, vcc_lo
	s_xor_b32 s3, exec_lo, s3
; %bb.21:
	v_bfe_u32 v85, v86, 16, 1
	s_delay_alu instid0(VALU_DEP_1)
	v_add3_u32 v85, v86, v85, 0x7fff
                                        ; implicit-def: $vgpr86
; %bb.22:
	s_and_not1_saveexec_b32 s3, s3
; %bb.23:
	v_and_b32_e32 v85, 0xffff, v86
	v_or_b32_e32 v90, 0x10000, v86
	s_delay_alu instid0(VALU_DEP_2) | instskip(NEXT) | instid1(VALU_DEP_2)
	v_cmp_eq_u32_e32 vcc_lo, 0, v85
	v_cndmask_b32_e32 v85, v90, v86, vcc_lo
; %bb.24:
	s_or_b32 exec_lo, exec_lo, s3
	v_and_b32_e32 v86, 0x7f800000, v89
	s_delay_alu instid0(VALU_DEP_1) | instskip(SKIP_1) | instid1(SALU_CYCLE_1)
	v_cmp_ne_u32_e32 vcc_lo, 0x7f800000, v86
                                        ; implicit-def: $vgpr86
	s_and_saveexec_b32 s3, vcc_lo
	s_xor_b32 s3, exec_lo, s3
; %bb.25:
	v_bfe_u32 v86, v89, 16, 1
	s_delay_alu instid0(VALU_DEP_1)
	v_add3_u32 v86, v89, v86, 0x7fff
                                        ; implicit-def: $vgpr89
; %bb.26:
	s_and_not1_saveexec_b32 s3, s3
; %bb.27:
	v_and_b32_e32 v86, 0xffff, v89
	v_or_b32_e32 v90, 0x10000, v89
	s_delay_alu instid0(VALU_DEP_2) | instskip(NEXT) | instid1(VALU_DEP_2)
	v_cmp_eq_u32_e32 vcc_lo, 0, v86
	v_cndmask_b32_e32 v86, v90, v89, vcc_lo
; %bb.28:
	s_or_b32 exec_lo, exec_lo, s3
	v_and_b32_e32 v89, 0x7f800000, v88
	s_delay_alu instid0(VALU_DEP_1) | instskip(SKIP_1) | instid1(SALU_CYCLE_1)
	v_cmp_ne_u32_e32 vcc_lo, 0x7f800000, v89
                                        ; implicit-def: $vgpr89
	s_and_saveexec_b32 s3, vcc_lo
	s_xor_b32 s3, exec_lo, s3
; %bb.29:
	v_bfe_u32 v89, v88, 16, 1
	s_delay_alu instid0(VALU_DEP_1)
	v_add3_u32 v89, v88, v89, 0x7fff
                                        ; implicit-def: $vgpr88
; %bb.30:
	s_and_not1_saveexec_b32 s3, s3
; %bb.31:
	v_and_b32_e32 v89, 0xffff, v88
	v_or_b32_e32 v90, 0x10000, v88
	s_delay_alu instid0(VALU_DEP_2) | instskip(NEXT) | instid1(VALU_DEP_2)
	v_cmp_eq_u32_e32 vcc_lo, 0, v89
	v_cndmask_b32_e32 v89, v90, v88, vcc_lo
; %bb.32:
	s_or_b32 exec_lo, exec_lo, s3
	v_and_b32_e32 v88, 0x7f800000, v87
	s_delay_alu instid0(VALU_DEP_1) | instskip(SKIP_1) | instid1(SALU_CYCLE_1)
	v_cmp_ne_u32_e32 vcc_lo, 0x7f800000, v88
                                        ; implicit-def: $vgpr88
	s_and_saveexec_b32 s3, vcc_lo
	s_xor_b32 s3, exec_lo, s3
; %bb.33:
	v_bfe_u32 v88, v87, 16, 1
	s_delay_alu instid0(VALU_DEP_1)
	v_add3_u32 v88, v87, v88, 0x7fff
                                        ; implicit-def: $vgpr87
; %bb.34:
	s_and_not1_saveexec_b32 s3, s3
; %bb.35:
	v_and_b32_e32 v88, 0xffff, v87
	v_or_b32_e32 v90, 0x10000, v87
	s_delay_alu instid0(VALU_DEP_2) | instskip(NEXT) | instid1(VALU_DEP_2)
	v_cmp_eq_u32_e32 vcc_lo, 0, v88
	v_cndmask_b32_e32 v88, v90, v87, vcc_lo
; %bb.36:
	s_or_b32 exec_lo, exec_lo, s3
	v_and_b32_e32 v87, 0x7f800000, v84
	s_delay_alu instid0(VALU_DEP_1) | instskip(SKIP_1) | instid1(SALU_CYCLE_1)
	v_cmp_ne_u32_e32 vcc_lo, 0x7f800000, v87
                                        ; implicit-def: $vgpr87
	s_and_saveexec_b32 s3, vcc_lo
	s_xor_b32 s3, exec_lo, s3
; %bb.37:
	v_bfe_u32 v87, v84, 16, 1
	s_delay_alu instid0(VALU_DEP_1)
	v_add3_u32 v87, v84, v87, 0x7fff
                                        ; implicit-def: $vgpr84
; %bb.38:
	s_and_not1_saveexec_b32 s3, s3
; %bb.39:
	v_and_b32_e32 v87, 0xffff, v84
	v_or_b32_e32 v90, 0x10000, v84
	s_delay_alu instid0(VALU_DEP_2) | instskip(NEXT) | instid1(VALU_DEP_2)
	v_cmp_eq_u32_e32 vcc_lo, 0, v87
	v_cndmask_b32_e32 v87, v90, v84, vcc_lo
; %bb.40:
	s_or_b32 exec_lo, exec_lo, s3
	v_and_b32_e32 v84, 0x7f800000, v80
	s_delay_alu instid0(VALU_DEP_1) | instskip(SKIP_1) | instid1(SALU_CYCLE_1)
	v_cmp_ne_u32_e32 vcc_lo, 0x7f800000, v84
                                        ; implicit-def: $vgpr84
	s_and_saveexec_b32 s3, vcc_lo
	s_xor_b32 s3, exec_lo, s3
; %bb.41:
	v_bfe_u32 v84, v80, 16, 1
	s_delay_alu instid0(VALU_DEP_1)
	v_add3_u32 v84, v80, v84, 0x7fff
                                        ; implicit-def: $vgpr80
; %bb.42:
	s_and_not1_saveexec_b32 s3, s3
; %bb.43:
	v_and_b32_e32 v84, 0xffff, v80
	v_or_b32_e32 v90, 0x10000, v80
	s_delay_alu instid0(VALU_DEP_2) | instskip(NEXT) | instid1(VALU_DEP_2)
	v_cmp_eq_u32_e32 vcc_lo, 0, v84
	v_cndmask_b32_e32 v84, v90, v80, vcc_lo
; %bb.44:
	s_or_b32 exec_lo, exec_lo, s3
	s_load_b64 s[34:35], s[0:1], 0x94
	v_lshlrev_b32_e32 v91, 4, v74
	s_delay_alu instid0(VALU_DEP_2)
	v_perm_b32 v90, v84, v87, 0x7060302
	v_dual_mul_f32 v79, v82, v79 :: v_dual_lshlrev_b32 v80, 6, v65
	v_dual_mul_f32 v77, v82, v77 :: v_dual_lshlrev_b32 v92, 11, v66
	v_mul_f32_e32 v84, v82, v70
	v_perm_b32 v89, v88, v89, 0x7060302
	v_perm_b32 v88, v86, v85, 0x7060302
	;; [unrolled: 1-line block ×3, first 2 shown]
	v_mul_f32_e32 v70, v82, v81
	v_or3_b32 v76, v91, v92, v80
	v_dual_mul_f32 v78, v82, v78 :: v_dual_and_b32 v85, 0x7f800000, v84
	v_mul_f32_e32 v83, v82, v72
	v_mul_f32_e32 v81, v82, v71
	;; [unrolled: 1-line block ×3, first 2 shown]
	s_mov_b32 s3, exec_lo
	ds_store_b128 v76, v[87:90]
                                        ; implicit-def: $vgpr69
	v_cmpx_ne_u32_e32 0x7f800000, v85
	s_xor_b32 s3, exec_lo, s3
; %bb.45:
	v_bfe_u32 v69, v84, 16, 1
	s_delay_alu instid0(VALU_DEP_1)
	v_add3_u32 v69, v84, v69, 0x7fff
                                        ; implicit-def: $vgpr84
; %bb.46:
	s_and_not1_saveexec_b32 s3, s3
; %bb.47:
	v_and_b32_e32 v69, 0xffff, v84
	v_or_b32_e32 v71, 0x10000, v84
	s_delay_alu instid0(VALU_DEP_2) | instskip(NEXT) | instid1(VALU_DEP_2)
	v_cmp_eq_u32_e32 vcc_lo, 0, v69
	v_cndmask_b32_e32 v69, v71, v84, vcc_lo
; %bb.48:
	s_or_b32 exec_lo, exec_lo, s3
	v_and_b32_e32 v71, 0x7f800000, v72
	s_delay_alu instid0(VALU_DEP_1) | instskip(SKIP_1) | instid1(SALU_CYCLE_1)
	v_cmp_ne_u32_e32 vcc_lo, 0x7f800000, v71
                                        ; implicit-def: $vgpr71
	s_and_saveexec_b32 s3, vcc_lo
	s_xor_b32 s3, exec_lo, s3
; %bb.49:
	v_bfe_u32 v71, v72, 16, 1
	s_delay_alu instid0(VALU_DEP_1)
	v_add3_u32 v71, v72, v71, 0x7fff
                                        ; implicit-def: $vgpr72
; %bb.50:
	s_and_not1_saveexec_b32 s3, s3
; %bb.51:
	v_and_b32_e32 v71, 0xffff, v72
	v_or_b32_e32 v82, 0x10000, v72
	s_delay_alu instid0(VALU_DEP_2) | instskip(NEXT) | instid1(VALU_DEP_2)
	v_cmp_eq_u32_e32 vcc_lo, 0, v71
	v_cndmask_b32_e32 v71, v82, v72, vcc_lo
; %bb.52:
	s_or_b32 exec_lo, exec_lo, s3
	v_and_b32_e32 v72, 0x7f800000, v81
	s_delay_alu instid0(VALU_DEP_1) | instskip(SKIP_1) | instid1(SALU_CYCLE_1)
	v_cmp_ne_u32_e32 vcc_lo, 0x7f800000, v72
                                        ; implicit-def: $vgpr72
	s_and_saveexec_b32 s3, vcc_lo
	s_xor_b32 s3, exec_lo, s3
; %bb.53:
	v_bfe_u32 v72, v81, 16, 1
	s_delay_alu instid0(VALU_DEP_1)
	v_add3_u32 v72, v81, v72, 0x7fff
                                        ; implicit-def: $vgpr81
; %bb.54:
	s_and_not1_saveexec_b32 s3, s3
; %bb.55:
	v_and_b32_e32 v72, 0xffff, v81
	v_or_b32_e32 v82, 0x10000, v81
	s_delay_alu instid0(VALU_DEP_2) | instskip(NEXT) | instid1(VALU_DEP_2)
	v_cmp_eq_u32_e32 vcc_lo, 0, v72
	v_cndmask_b32_e32 v72, v82, v81, vcc_lo
; %bb.56:
	s_or_b32 exec_lo, exec_lo, s3
	v_and_b32_e32 v81, 0x7f800000, v83
	s_delay_alu instid0(VALU_DEP_1) | instskip(SKIP_1) | instid1(SALU_CYCLE_1)
	v_cmp_ne_u32_e32 vcc_lo, 0x7f800000, v81
                                        ; implicit-def: $vgpr81
	s_and_saveexec_b32 s3, vcc_lo
	s_xor_b32 s3, exec_lo, s3
; %bb.57:
	v_bfe_u32 v81, v83, 16, 1
	s_delay_alu instid0(VALU_DEP_1)
	v_add3_u32 v81, v83, v81, 0x7fff
                                        ; implicit-def: $vgpr83
; %bb.58:
	s_and_not1_saveexec_b32 s3, s3
; %bb.59:
	v_and_b32_e32 v81, 0xffff, v83
	v_or_b32_e32 v82, 0x10000, v83
	s_delay_alu instid0(VALU_DEP_2) | instskip(NEXT) | instid1(VALU_DEP_2)
	v_cmp_eq_u32_e32 vcc_lo, 0, v81
	v_cndmask_b32_e32 v81, v82, v83, vcc_lo
; %bb.60:
	s_or_b32 exec_lo, exec_lo, s3
	v_and_b32_e32 v82, 0x7f800000, v77
	s_delay_alu instid0(VALU_DEP_1) | instskip(SKIP_1) | instid1(SALU_CYCLE_1)
	v_cmp_ne_u32_e32 vcc_lo, 0x7f800000, v82
                                        ; implicit-def: $vgpr82
	s_and_saveexec_b32 s3, vcc_lo
	s_xor_b32 s3, exec_lo, s3
; %bb.61:
	v_bfe_u32 v82, v77, 16, 1
	s_delay_alu instid0(VALU_DEP_1)
	v_add3_u32 v82, v77, v82, 0x7fff
                                        ; implicit-def: $vgpr77
; %bb.62:
	s_and_not1_saveexec_b32 s3, s3
; %bb.63:
	v_and_b32_e32 v82, 0xffff, v77
	v_or_b32_e32 v83, 0x10000, v77
	s_delay_alu instid0(VALU_DEP_2) | instskip(NEXT) | instid1(VALU_DEP_2)
	v_cmp_eq_u32_e32 vcc_lo, 0, v82
	v_cndmask_b32_e32 v82, v83, v77, vcc_lo
; %bb.64:
	s_or_b32 exec_lo, exec_lo, s3
	v_and_b32_e32 v77, 0x7f800000, v78
	s_delay_alu instid0(VALU_DEP_1) | instskip(SKIP_1) | instid1(SALU_CYCLE_1)
	v_cmp_ne_u32_e32 vcc_lo, 0x7f800000, v77
                                        ; implicit-def: $vgpr77
	s_and_saveexec_b32 s3, vcc_lo
	s_xor_b32 s3, exec_lo, s3
; %bb.65:
	v_bfe_u32 v77, v78, 16, 1
	s_delay_alu instid0(VALU_DEP_1)
	v_add3_u32 v77, v78, v77, 0x7fff
                                        ; implicit-def: $vgpr78
; %bb.66:
	s_and_not1_saveexec_b32 s3, s3
; %bb.67:
	v_and_b32_e32 v77, 0xffff, v78
	v_or_b32_e32 v83, 0x10000, v78
	s_delay_alu instid0(VALU_DEP_2) | instskip(NEXT) | instid1(VALU_DEP_2)
	v_cmp_eq_u32_e32 vcc_lo, 0, v77
	v_cndmask_b32_e32 v77, v83, v78, vcc_lo
; %bb.68:
	s_or_b32 exec_lo, exec_lo, s3
	v_and_b32_e32 v78, 0x7f800000, v79
	s_delay_alu instid0(VALU_DEP_1) | instskip(SKIP_1) | instid1(SALU_CYCLE_1)
	v_cmp_ne_u32_e32 vcc_lo, 0x7f800000, v78
                                        ; implicit-def: $vgpr78
	s_and_saveexec_b32 s3, vcc_lo
	s_xor_b32 s3, exec_lo, s3
; %bb.69:
	v_bfe_u32 v78, v79, 16, 1
	s_delay_alu instid0(VALU_DEP_1)
	v_add3_u32 v78, v79, v78, 0x7fff
                                        ; implicit-def: $vgpr79
; %bb.70:
	s_and_not1_saveexec_b32 s3, s3
; %bb.71:
	v_and_b32_e32 v78, 0xffff, v79
	v_or_b32_e32 v83, 0x10000, v79
	s_delay_alu instid0(VALU_DEP_2) | instskip(NEXT) | instid1(VALU_DEP_2)
	v_cmp_eq_u32_e32 vcc_lo, 0, v78
	v_cndmask_b32_e32 v78, v83, v79, vcc_lo
; %bb.72:
	s_or_b32 exec_lo, exec_lo, s3
	v_and_b32_e32 v79, 0x7f800000, v70
	s_delay_alu instid0(VALU_DEP_1) | instskip(SKIP_1) | instid1(SALU_CYCLE_1)
	v_cmp_ne_u32_e32 vcc_lo, 0x7f800000, v79
                                        ; implicit-def: $vgpr79
	s_and_saveexec_b32 s3, vcc_lo
	s_xor_b32 s3, exec_lo, s3
; %bb.73:
	v_bfe_u32 v79, v70, 16, 1
	s_delay_alu instid0(VALU_DEP_1)
	v_add3_u32 v79, v70, v79, 0x7fff
                                        ; implicit-def: $vgpr70
; %bb.74:
	s_and_not1_saveexec_b32 s3, s3
; %bb.75:
	v_and_b32_e32 v79, 0xffff, v70
	v_or_b32_e32 v83, 0x10000, v70
	s_delay_alu instid0(VALU_DEP_2) | instskip(NEXT) | instid1(VALU_DEP_2)
	v_cmp_eq_u32_e32 vcc_lo, 0, v79
	v_cndmask_b32_e32 v79, v83, v70, vcc_lo
; %bb.76:
	s_or_b32 exec_lo, exec_lo, s3
	s_delay_alu instid0(VALU_DEP_1)
	v_perm_b32 v86, v79, v78, 0x7060302
	v_perm_b32 v85, v77, v82, 0x7060302
	v_perm_b32 v84, v81, v72, 0x7060302
	v_perm_b32 v83, v71, v69, 0x7060302
	v_lshl_or_b32 v82, v66, 11, v80
	ds_store_b128 v76, v[83:86] offset:1024
	s_waitcnt lgkmcnt(0)
	s_barrier
	buffer_gl0_inv
	ds_load_b128 v[69:72], v82
	ds_load_b128 v[83:86], v82 offset:16
	s_waitcnt lgkmcnt(1)
	v_lshrrev_b32_e32 v66, 16, v69
	s_waitcnt lgkmcnt(0)
	v_lshrrev_b32_e32 v91, 16, v83
	v_lshlrev_b32_e32 v78, 2, v74
	v_lshrrev_b32_e32 v95, 16, v70
	v_lshrrev_b32_e32 v98, 16, v84
	;; [unrolled: 1-line block ×4, first 2 shown]
	v_cmp_eq_u32_e32 vcc_lo, 1, v78
	v_lshrrev_b32_e32 v97, 16, v72
	v_lshrrev_b32_e32 v100, 16, v86
	v_cndmask_b32_e32 v87, v83, v91, vcc_lo
	v_or_b32_e32 v79, 1, v78
	v_cndmask_b32_e32 v81, v69, v66, vcc_lo
	v_cmp_eq_u32_e64 s4, 2, v78
	v_cmp_eq_u32_e64 s7, 3, v78
	;; [unrolled: 1-line block ×5, first 2 shown]
	v_cndmask_b32_e64 v81, v81, v70, s4
	v_cndmask_b32_e64 v87, v87, v84, s4
	v_cmp_eq_u32_e64 s8, 3, v79
	v_cndmask_b32_e64 v88, v69, v66, s3
	v_or_b32_e32 v77, 2, v78
	v_cndmask_b32_e64 v81, v81, v95, s7
	v_cndmask_b32_e64 v87, v87, v98, s7
	;; [unrolled: 1-line block ×4, first 2 shown]
	v_cmp_eq_u32_e64 s10, 5, v78
	v_cndmask_b32_e64 v81, v81, v71, s9
	v_cndmask_b32_e64 v87, v87, v85, s9
	v_cmp_eq_u32_e64 s11, 4, v79
	v_cndmask_b32_e64 v88, v88, v95, s8
	v_cmp_eq_u32_e64 s5, 1, v77
	v_cndmask_b32_e64 v89, v89, v84, s6
	v_cndmask_b32_e64 v81, v81, v96, s10
	v_cmp_eq_u32_e64 s12, 6, v78
	v_cndmask_b32_e64 v88, v88, v71, s11
	;; [unrolled: 3-line block ×3, first 2 shown]
	v_cndmask_b32_e64 v89, v89, v98, s8
	v_cndmask_b32_e64 v81, v81, v72, s12
	v_cmp_eq_u32_e64 s15, 7, v78
	v_cndmask_b32_e64 v88, v88, v96, s13
	v_cndmask_b32_e64 v87, v87, v86, s12
	v_cmp_eq_u32_e64 s16, 6, v79
	v_cmp_eq_u32_e64 s17, 2, v77
	v_cndmask_b32_e64 v89, v89, v85, s11
	v_cndmask_b32_e64 v101, v81, v97, s15
	;; [unrolled: 1-line block ×6, first 2 shown]
	v_cmp_eq_u32_e64 s18, 7, v79
	v_cmp_eq_u32_e64 s19, 3, v77
	;; [unrolled: 1-line block ×4, first 2 shown]
	v_cndmask_b32_e64 v87, v87, v84, s17
	v_cndmask_b32_e64 v103, v88, v97, s18
	;; [unrolled: 1-line block ×4, first 2 shown]
	v_or_b32_e32 v81, 3, v78
	v_cndmask_b32_e64 v93, v87, v98, s19
	v_cmp_eq_u32_e64 s24, 6, v77
	v_cndmask_b32_e64 v104, v88, v86, s16
	v_cndmask_b32_e64 v92, v89, v71, s20
	v_cmp_eq_u32_e64 s21, 1, v81
	ds_load_b128 v[87:90], v82 offset:1024
	v_cmp_eq_u32_e64 s23, 2, v81
	v_cmp_eq_u32_e64 s25, 3, v81
	v_cndmask_b32_e64 v105, v92, v96, s22
	v_cndmask_b32_e64 v66, v69, v66, s21
	;; [unrolled: 1-line block ×4, first 2 shown]
	ds_load_b128 v[91:94], v82 offset:1040
	v_cmp_eq_u32_e64 s26, 4, v81
	v_cndmask_b32_e64 v66, v66, v70, s23
	v_cmp_eq_u32_e64 s27, 7, v77
	v_cndmask_b32_e64 v70, v83, v84, s23
	v_cndmask_b32_e64 v84, v105, v72, s24
	v_cmp_eq_u32_e64 s28, 5, v81
	v_cndmask_b32_e64 v66, v66, v95, s25
	v_cmp_eq_u32_e64 s29, 6, v81
	v_cndmask_b32_e64 v70, v70, v98, s25
	v_cndmask_b32_e64 v69, v69, v99, s22
	;; [unrolled: 1-line block ×4, first 2 shown]
	s_waitcnt lgkmcnt(1)
	v_lshrrev_b32_e32 v95, 16, v87
	v_cndmask_b32_e64 v70, v70, v85, s26
	v_cndmask_b32_e64 v71, v84, v97, s27
	;; [unrolled: 1-line block ×4, first 2 shown]
	v_cndmask_b32_e32 v84, v87, v95, vcc_lo
	v_cndmask_b32_e64 v70, v70, v99, s28
	s_waitcnt lgkmcnt(0)
	v_lshrrev_b32_e32 v85, 16, v91
	v_lshrrev_b32_e32 v96, 16, v88
	v_cndmask_b32_e64 v98, v87, v95, s3
	v_cndmask_b32_e64 v84, v84, v88, s4
	;; [unrolled: 1-line block ×3, first 2 shown]
	v_cndmask_b32_e32 v99, v91, v85, vcc_lo
	v_cmp_eq_u32_e32 vcc_lo, 7, v81
	v_cndmask_b32_e64 v66, v66, v72, s29
	v_cndmask_b32_e64 v72, v84, v96, s7
	;; [unrolled: 1-line block ×3, first 2 shown]
	v_lshrrev_b32_e32 v98, 16, v92
	v_cndmask_b32_e32 v70, v70, v100, vcc_lo
	v_cndmask_b32_e64 v86, v99, v92, s4
	v_cndmask_b32_e64 v69, v69, v100, s27
	v_lshrrev_b32_e32 v100, 16, v93
	v_cndmask_b32_e64 v72, v72, v89, s9
	v_lshrrev_b32_e32 v99, 16, v89
	v_cndmask_b32_e64 v86, v86, v98, s7
	v_perm_b32 v71, v69, v71, 0x5040100
	v_cndmask_b32_e64 v84, v84, v96, s8
	s_delay_alu instid0(VALU_DEP_3) | instskip(NEXT) | instid1(VALU_DEP_2)
	v_cndmask_b32_e64 v86, v86, v93, s9
	v_cndmask_b32_e64 v84, v84, v89, s11
	s_delay_alu instid0(VALU_DEP_2) | instskip(NEXT) | instid1(VALU_DEP_1)
	v_cndmask_b32_e64 v86, v86, v100, s10
	v_cndmask_b32_e64 v69, v86, v94, s12
	v_cndmask_b32_e64 v86, v87, v95, s5
	v_cndmask_b32_e64 v87, v87, v95, s21
	v_cndmask_b32_e64 v95, v91, v85, s21
	s_delay_alu instid0(VALU_DEP_3) | instskip(NEXT) | instid1(VALU_DEP_3)
	v_cndmask_b32_e64 v86, v86, v88, s17
	v_cndmask_b32_e64 v87, v87, v88, s23
	s_delay_alu instid0(VALU_DEP_3) | instskip(NEXT) | instid1(VALU_DEP_3)
	v_cndmask_b32_e64 v88, v95, v92, s23
	v_cndmask_b32_e64 v86, v86, v96, s19
	;; [unrolled: 3-line block ×7, first 2 shown]
	s_delay_alu instid0(VALU_DEP_3) | instskip(SKIP_2) | instid1(VALU_DEP_2)
	v_cndmask_b32_e64 v88, v88, v94, s29
	v_cndmask_b32_e32 v66, v66, v97, vcc_lo
	v_cndmask_b32_e64 v97, v72, v99, s10
	v_perm_b32 v72, v70, v66, 0x5040100
	v_perm_b32 v70, v83, v103, 0x5040100
	v_cndmask_b32_e64 v103, v91, v85, s5
	v_cndmask_b32_e64 v85, v91, v85, s3
	;; [unrolled: 1-line block ×4, first 2 shown]
	v_lshrrev_b32_e32 v97, 16, v90
	v_cndmask_b32_e64 v91, v103, v92, s17
	v_cndmask_b32_e64 v85, v85, v92, s6
	;; [unrolled: 1-line block ×3, first 2 shown]
	s_mov_b32 s3, exec_lo
	v_cndmask_b32_e64 v83, v84, v97, s15
	v_cndmask_b32_e64 v91, v91, v98, s19
	;; [unrolled: 1-line block ×3, first 2 shown]
	v_lshrrev_b32_e32 v84, 16, v94
	v_cndmask_b32_e64 v66, v66, v97, s18
	v_cndmask_b32_e64 v90, v86, v97, s27
	;; [unrolled: 1-line block ×4, first 2 shown]
	v_dual_cndmask_b32 v86, v87, v97 :: v_dual_cndmask_b32 v87, v88, v84
	v_cndmask_b32_e64 v91, v69, v84, s15
	s_delay_alu instid0(VALU_DEP_4) | instskip(NEXT) | instid1(VALU_DEP_4)
	v_cndmask_b32_e64 v89, v89, v100, s22
	v_cndmask_b32_e64 v85, v85, v100, s13
	v_perm_b32 v69, v102, v101, 0x5040100
	v_perm_b32 v86, v87, v86, 0x5040100
	;; [unrolled: 1-line block ×3, first 2 shown]
	v_cndmask_b32_e64 v89, v89, v94, s24
	v_cndmask_b32_e64 v85, v85, v94, s16
	s_mul_i32 s8, s35, 12
	s_delay_alu instid0(VALU_DEP_2) | instskip(NEXT) | instid1(VALU_DEP_2)
	v_cndmask_b32_e64 v88, v89, v84, s27
	v_cndmask_b32_e64 v89, v85, v84, s18
	s_delay_alu instid0(VALU_DEP_2) | instskip(NEXT) | instid1(VALU_DEP_2)
	v_perm_b32 v85, v88, v90, 0x5040100
	v_perm_b32 v84, v89, v66, 0x5040100
	ds_store_b128 v76, v[69:72]
	ds_store_b128 v76, v[83:86] offset:1024
	v_cmpx_gt_u32_e32 12, v0
	s_cbranch_execz .LBB1437_78
; %bb.77:
	s_mul_i32 s4, s8, s30
	s_delay_alu instid0(SALU_CYCLE_1) | instskip(SKIP_1) | instid1(VALU_DEP_1)
	v_add3_u32 v69, s4, s31, v65
	s_load_b128 s[4:7], s[0:1], 0x58
	v_mad_u64_u32 v[65:66], null, v69, s34, s[14:15]
	s_delay_alu instid0(VALU_DEP_1) | instskip(NEXT) | instid1(VALU_DEP_1)
	v_ashrrev_i32_e32 v66, 31, v65
	v_lshlrev_b64 v[65:66], 2, v[65:66]
	s_waitcnt lgkmcnt(0)
	s_delay_alu instid0(VALU_DEP_1) | instskip(NEXT) | instid1(VALU_DEP_2)
	v_add_co_u32 v69, vcc_lo, s6, v65
	v_add_co_ci_u32_e32 v70, vcc_lo, s7, v66, vcc_lo
	v_add_co_u32 v65, vcc_lo, s4, v65
	v_add_co_ci_u32_e32 v66, vcc_lo, s5, v66, vcc_lo
	global_store_b32 v[69:70], v67, off
	global_store_b32 v[65:66], v68, off
.LBB1437_78:
	s_or_b32 exec_lo, exec_lo, s3
	s_waitcnt lgkmcnt(0)
	s_waitcnt_vscnt null, 0x0
	s_barrier
	buffer_gl0_inv
	ds_load_b128 v[83:86], v80
	ds_load_b128 v[87:90], v80 offset:16
	ds_load_b128 v[95:98], v80 offset:2064
	ds_load_b128 v[91:94], v80 offset:2048
	v_mov_b32_e32 v65, 0
	ds_load_b128 v[103:106], v80 offset:4112
	ds_load_b128 v[99:102], v80 offset:4096
	;; [unrolled: 1-line block ×4, first 2 shown]
	v_mov_b32_e32 v66, v65
	v_mov_b32_e32 v67, v65
	;; [unrolled: 1-line block ×7, first 2 shown]
	s_waitcnt lgkmcnt(6)
	s_delay_alu instid0(VALU_DEP_1)
	v_wmma_f32_16x16x16_bf16 v[65:72], v[57:64], v[83:90], v[65:72]
	ds_load_b128 v[61:64], v80 offset:8208
	ds_load_b128 v[57:60], v80 offset:8192
	s_waitcnt lgkmcnt(6)
	v_wmma_f32_16x16x16_bf16 v[65:72], v[41:48], v[91:98], v[65:72]
	ds_load_b128 v[45:48], v80 offset:10256
	ds_load_b128 v[41:44], v80 offset:10240
	s_waitcnt lgkmcnt(6)
	;; [unrolled: 4-line block ×4, first 2 shown]
	v_wmma_f32_16x16x16_bf16 v[65:72], v[1:8], v[57:64], v[65:72]
	s_waitcnt lgkmcnt(4)
	s_delay_alu instid0(VALU_DEP_1) | instskip(SKIP_1) | instid1(VALU_DEP_1)
	v_wmma_f32_16x16x16_bf16 v[65:72], v[9:16], v[41:48], v[65:72]
	s_waitcnt lgkmcnt(2)
	v_wmma_f32_16x16x16_bf16 v[65:72], v[17:24], v[33:40], v[65:72]
	s_waitcnt lgkmcnt(0)
	s_delay_alu instid0(VALU_DEP_1) | instskip(NEXT) | instid1(VALU_DEP_1)
	v_wmma_f32_16x16x16_bf16 v[65:72], v[49:56], v[25:32], v[65:72]
	v_and_b32_e32 v1, 0x7f800000, v65
	s_delay_alu instid0(VALU_DEP_1) | instskip(SKIP_1) | instid1(SALU_CYCLE_1)
	v_cmp_ne_u32_e32 vcc_lo, 0x7f800000, v1
                                        ; implicit-def: $vgpr1
	s_and_saveexec_b32 s3, vcc_lo
	s_xor_b32 s3, exec_lo, s3
; %bb.79:
	v_bfe_u32 v1, v65, 16, 1
	s_delay_alu instid0(VALU_DEP_1)
	v_add3_u32 v1, v65, v1, 0x7fff
; %bb.80:
	s_and_not1_saveexec_b32 s3, s3
; %bb.81:
	v_and_b32_e32 v1, 0xffff, v65
	v_or_b32_e32 v2, 0x10000, v65
	s_delay_alu instid0(VALU_DEP_2) | instskip(NEXT) | instid1(VALU_DEP_2)
	v_cmp_eq_u32_e32 vcc_lo, 0, v1
	v_cndmask_b32_e32 v1, v2, v65, vcc_lo
; %bb.82:
	s_or_b32 exec_lo, exec_lo, s3
	v_and_b32_e32 v2, 0x7f800000, v66
	s_delay_alu instid0(VALU_DEP_1) | instskip(SKIP_1) | instid1(SALU_CYCLE_1)
	v_cmp_ne_u32_e32 vcc_lo, 0x7f800000, v2
                                        ; implicit-def: $vgpr2
	s_and_saveexec_b32 s3, vcc_lo
	s_xor_b32 s3, exec_lo, s3
; %bb.83:
	v_bfe_u32 v2, v66, 16, 1
	s_delay_alu instid0(VALU_DEP_1)
	v_add3_u32 v2, v66, v2, 0x7fff
; %bb.84:
	s_and_not1_saveexec_b32 s3, s3
; %bb.85:
	v_and_b32_e32 v2, 0xffff, v66
	v_or_b32_e32 v3, 0x10000, v66
	s_delay_alu instid0(VALU_DEP_2) | instskip(NEXT) | instid1(VALU_DEP_2)
	v_cmp_eq_u32_e32 vcc_lo, 0, v2
	v_cndmask_b32_e32 v2, v3, v66, vcc_lo
; %bb.86:
	s_or_b32 exec_lo, exec_lo, s3
	v_and_b32_e32 v3, 0x7f800000, v67
	s_delay_alu instid0(VALU_DEP_1) | instskip(SKIP_1) | instid1(SALU_CYCLE_1)
	v_cmp_ne_u32_e32 vcc_lo, 0x7f800000, v3
                                        ; implicit-def: $vgpr3
	s_and_saveexec_b32 s3, vcc_lo
	s_xor_b32 s3, exec_lo, s3
; %bb.87:
	v_bfe_u32 v3, v67, 16, 1
	s_delay_alu instid0(VALU_DEP_1)
	v_add3_u32 v3, v67, v3, 0x7fff
; %bb.88:
	s_and_not1_saveexec_b32 s3, s3
; %bb.89:
	v_and_b32_e32 v3, 0xffff, v67
	v_or_b32_e32 v4, 0x10000, v67
	s_delay_alu instid0(VALU_DEP_2) | instskip(NEXT) | instid1(VALU_DEP_2)
	v_cmp_eq_u32_e32 vcc_lo, 0, v3
	v_cndmask_b32_e32 v3, v4, v67, vcc_lo
; %bb.90:
	s_or_b32 exec_lo, exec_lo, s3
	v_and_b32_e32 v4, 0x7f800000, v68
	s_delay_alu instid0(VALU_DEP_1) | instskip(SKIP_1) | instid1(SALU_CYCLE_1)
	v_cmp_ne_u32_e32 vcc_lo, 0x7f800000, v4
                                        ; implicit-def: $vgpr4
	s_and_saveexec_b32 s3, vcc_lo
	s_xor_b32 s3, exec_lo, s3
; %bb.91:
	v_bfe_u32 v4, v68, 16, 1
	s_delay_alu instid0(VALU_DEP_1)
	v_add3_u32 v4, v68, v4, 0x7fff
; %bb.92:
	s_and_not1_saveexec_b32 s3, s3
; %bb.93:
	v_and_b32_e32 v4, 0xffff, v68
	v_or_b32_e32 v5, 0x10000, v68
	s_delay_alu instid0(VALU_DEP_2) | instskip(NEXT) | instid1(VALU_DEP_2)
	v_cmp_eq_u32_e32 vcc_lo, 0, v4
	v_cndmask_b32_e32 v4, v5, v68, vcc_lo
; %bb.94:
	s_or_b32 exec_lo, exec_lo, s3
	v_and_b32_e32 v5, 0x7f800000, v69
	s_delay_alu instid0(VALU_DEP_1) | instskip(SKIP_1) | instid1(SALU_CYCLE_1)
	v_cmp_ne_u32_e32 vcc_lo, 0x7f800000, v5
                                        ; implicit-def: $vgpr5
	s_and_saveexec_b32 s3, vcc_lo
	s_xor_b32 s3, exec_lo, s3
; %bb.95:
	v_bfe_u32 v5, v69, 16, 1
	s_delay_alu instid0(VALU_DEP_1)
	v_add3_u32 v5, v69, v5, 0x7fff
; %bb.96:
	s_and_not1_saveexec_b32 s3, s3
; %bb.97:
	v_and_b32_e32 v5, 0xffff, v69
	v_or_b32_e32 v6, 0x10000, v69
	s_delay_alu instid0(VALU_DEP_2) | instskip(NEXT) | instid1(VALU_DEP_2)
	v_cmp_eq_u32_e32 vcc_lo, 0, v5
	v_cndmask_b32_e32 v5, v6, v69, vcc_lo
; %bb.98:
	s_or_b32 exec_lo, exec_lo, s3
	v_and_b32_e32 v6, 0x7f800000, v70
	s_delay_alu instid0(VALU_DEP_1) | instskip(SKIP_1) | instid1(SALU_CYCLE_1)
	v_cmp_ne_u32_e32 vcc_lo, 0x7f800000, v6
                                        ; implicit-def: $vgpr6
	s_and_saveexec_b32 s3, vcc_lo
	s_xor_b32 s3, exec_lo, s3
; %bb.99:
	v_bfe_u32 v6, v70, 16, 1
	s_delay_alu instid0(VALU_DEP_1)
	v_add3_u32 v6, v70, v6, 0x7fff
; %bb.100:
	s_and_not1_saveexec_b32 s3, s3
; %bb.101:
	v_and_b32_e32 v6, 0xffff, v70
	v_or_b32_e32 v7, 0x10000, v70
	s_delay_alu instid0(VALU_DEP_2) | instskip(NEXT) | instid1(VALU_DEP_2)
	v_cmp_eq_u32_e32 vcc_lo, 0, v6
	v_cndmask_b32_e32 v6, v7, v70, vcc_lo
; %bb.102:
	s_or_b32 exec_lo, exec_lo, s3
	v_and_b32_e32 v7, 0x7f800000, v71
	s_delay_alu instid0(VALU_DEP_1) | instskip(SKIP_1) | instid1(SALU_CYCLE_1)
	v_cmp_ne_u32_e32 vcc_lo, 0x7f800000, v7
                                        ; implicit-def: $vgpr7
	s_and_saveexec_b32 s3, vcc_lo
	s_xor_b32 s3, exec_lo, s3
; %bb.103:
	v_bfe_u32 v7, v71, 16, 1
	s_delay_alu instid0(VALU_DEP_1)
	v_add3_u32 v7, v71, v7, 0x7fff
; %bb.104:
	s_and_not1_saveexec_b32 s3, s3
; %bb.105:
	v_and_b32_e32 v7, 0xffff, v71
	v_or_b32_e32 v8, 0x10000, v71
	s_delay_alu instid0(VALU_DEP_2) | instskip(NEXT) | instid1(VALU_DEP_2)
	v_cmp_eq_u32_e32 vcc_lo, 0, v7
	v_cndmask_b32_e32 v7, v8, v71, vcc_lo
; %bb.106:
	s_or_b32 exec_lo, exec_lo, s3
	v_and_b32_e32 v8, 0x7f800000, v72
	s_delay_alu instid0(VALU_DEP_1) | instskip(SKIP_1) | instid1(SALU_CYCLE_1)
	v_cmp_ne_u32_e32 vcc_lo, 0x7f800000, v8
                                        ; implicit-def: $vgpr8
	s_and_saveexec_b32 s3, vcc_lo
	s_xor_b32 s3, exec_lo, s3
; %bb.107:
	v_bfe_u32 v8, v72, 16, 1
	s_delay_alu instid0(VALU_DEP_1)
	v_add3_u32 v8, v72, v8, 0x7fff
                                        ; implicit-def: $vgpr65_vgpr66_vgpr67_vgpr68_vgpr69_vgpr70_vgpr71_vgpr72
; %bb.108:
	s_and_not1_saveexec_b32 s3, s3
; %bb.109:
	v_and_b32_e32 v8, 0xffff, v72
	v_or_b32_e32 v9, 0x10000, v72
	s_delay_alu instid0(VALU_DEP_2) | instskip(NEXT) | instid1(VALU_DEP_2)
	v_cmp_eq_u32_e32 vcc_lo, 0, v8
	v_cndmask_b32_e32 v8, v9, v72, vcc_lo
; %bb.110:
	s_or_b32 exec_lo, exec_lo, s3
	s_delay_alu instid0(VALU_DEP_1)
	v_perm_b32 v7, v8, v7, 0x7060302
	v_perm_b32 v6, v6, v5, 0x7060302
	v_perm_b32 v5, v4, v3, 0x7060302
	v_perm_b32 v4, v2, v1, 0x7060302
	s_barrier
	buffer_gl0_inv
	v_cmp_eq_u32_e32 vcc_lo, 1, v78
	ds_store_b128 v76, v[4:7]
	s_waitcnt lgkmcnt(0)
	s_barrier
	buffer_gl0_inv
	ds_load_b128 v[1:4], v82
	ds_load_b128 v[5:8], v82 offset:16
	v_cmp_eq_u32_e64 s3, 1, v79
	v_cmp_eq_u32_e64 s4, 2, v78
	;; [unrolled: 1-line block ×5, first 2 shown]
	s_waitcnt lgkmcnt(1)
	v_lshrrev_b32_e32 v9, 16, v1
	s_waitcnt lgkmcnt(0)
	v_lshrrev_b32_e32 v13, 16, v5
	v_lshrrev_b32_e32 v10, 16, v2
	;; [unrolled: 1-line block ×4, first 2 shown]
	v_cndmask_b32_e64 v19, v1, v9, s3
	v_cndmask_b32_e32 v18, v5, v13, vcc_lo
	v_cndmask_b32_e64 v20, v5, v13, s3
	v_cndmask_b32_e32 v17, v1, v9, vcc_lo
	v_cmp_eq_u32_e32 vcc_lo, 2, v79
	v_lshrrev_b32_e32 v15, 16, v7
	v_cmp_eq_u32_e64 s3, 1, v77
	v_lshrrev_b32_e32 v12, 16, v4
	v_lshrrev_b32_e32 v16, 16, v8
	v_cndmask_b32_e32 v20, v20, v6, vcc_lo
	v_cndmask_b32_e64 v17, v17, v2, s4
	v_cndmask_b32_e32 v19, v19, v2, vcc_lo
	v_cndmask_b32_e64 v18, v18, v6, s4
	v_cmp_eq_u32_e32 vcc_lo, 4, v78
	v_cmp_eq_u32_e64 s4, 3, v79
	v_cndmask_b32_e64 v17, v17, v10, s5
	v_cndmask_b32_e64 v21, v1, v9, s3
	;; [unrolled: 1-line block ×5, first 2 shown]
	v_cndmask_b32_e32 v17, v17, v3, vcc_lo
	v_cndmask_b32_e64 v20, v20, v14, s4
	v_cndmask_b32_e32 v18, v18, v7, vcc_lo
	v_cmp_eq_u32_e32 vcc_lo, 4, v79
	v_cmp_eq_u32_e64 s4, 5, v79
	v_cmp_eq_u32_e64 s3, 2, v81
	v_cndmask_b32_e64 v21, v21, v2, s7
	v_cmp_eq_u32_e64 s5, 5, v78
	v_cndmask_b32_e32 v19, v19, v3, vcc_lo
	v_cndmask_b32_e32 v20, v20, v7, vcc_lo
	v_cmp_eq_u32_e32 vcc_lo, 6, v79
	s_delay_alu instid0(VALU_DEP_4) | instskip(NEXT) | instid1(VALU_DEP_4)
	v_cndmask_b32_e64 v17, v17, v11, s5
	v_cndmask_b32_e64 v19, v19, v11, s4
	s_delay_alu instid0(VALU_DEP_4) | instskip(SKIP_1) | instid1(VALU_DEP_3)
	v_cndmask_b32_e64 v20, v20, v15, s4
	v_cmp_eq_u32_e64 s4, 1, v81
	v_cndmask_b32_e32 v19, v19, v4, vcc_lo
	v_cndmask_b32_e64 v18, v18, v15, s5
	s_delay_alu instid0(VALU_DEP_3)
	v_cndmask_b32_e64 v1, v1, v9, s4
	v_cndmask_b32_e64 v5, v5, v13, s4
	v_cmp_eq_u32_e64 s4, 3, v77
	v_cndmask_b32_e64 v13, v22, v6, s7
	v_cmp_eq_u32_e64 s7, 3, v81
	v_cndmask_b32_e64 v1, v1, v2, s3
	v_cndmask_b32_e64 v2, v5, v6, s3
	;; [unrolled: 1-line block ×3, first 2 shown]
	v_cmp_eq_u32_e64 s3, 4, v77
	v_cndmask_b32_e64 v6, v13, v14, s4
	v_cndmask_b32_e64 v1, v1, v10, s7
	v_cmp_eq_u32_e64 s4, 4, v81
	v_cndmask_b32_e64 v2, v2, v14, s7
	v_cndmask_b32_e64 v5, v9, v3, s3
	;; [unrolled: 3-line block ×3, first 2 shown]
	v_cndmask_b32_e64 v2, v2, v7, s4
	v_cmp_eq_u32_e64 s3, 5, v81
	v_cmp_eq_u32_e64 s5, 6, v78
	v_cndmask_b32_e64 v5, v5, v11, s7
	v_cmp_eq_u32_e64 s4, 6, v77
	v_cndmask_b32_e64 v3, v6, v15, s7
	v_cndmask_b32_e64 v1, v1, v11, s3
	v_cmp_eq_u32_e64 s7, 6, v81
	v_cndmask_b32_e64 v2, v2, v15, s3
	v_cndmask_b32_e64 v17, v17, v4, s5
	v_cndmask_b32_e64 v18, v18, v8, s5
	v_cmp_eq_u32_e64 s5, 7, v78
	v_cndmask_b32_e64 v5, v5, v4, s4
	;; [unrolled: 4-line block ×3, first 2 shown]
	v_cmp_eq_u32_e64 s4, 7, v77
	v_cndmask_b32_e32 v4, v20, v8, vcc_lo
	v_cndmask_b32_e64 v17, v17, v12, s5
	v_cndmask_b32_e64 v19, v19, v12, s6
	;; [unrolled: 1-line block ×8, first 2 shown]
	v_cmp_gt_u32_e32 vcc_lo, 32, v0
	v_perm_b32 v4, v2, v1, 0x5040100
	v_perm_b32 v3, v3, v5, 0x5040100
	;; [unrolled: 1-line block ×4, first 2 shown]
	s_and_b32 s2, vcc_lo, s2
	ds_store_b128 v76, v[1:4]
	s_waitcnt lgkmcnt(0)
	s_barrier
	buffer_gl0_inv
	s_and_saveexec_b32 s3, s2
	s_cbranch_execz .LBB1437_2
; %bb.111:
	s_load_b64 s[0:1], s[0:1], 0x68
	v_lshlrev_b32_e32 v0, 10, v0
	s_lshl_b32 s4, s34, 6
	v_or_b32_e32 v3, s31, v74
	s_mul_i32 s2, s4, s30
	v_lshlrev_b32_e32 v1, 4, v75
	s_mul_i32 s2, s2, s8
	v_lshlrev_b32_e32 v2, 6, v74
	v_and_b32_e32 v0, 0x3800, v0
	s_ashr_i32 s3, s2, 31
	v_mul_lo_u32 v4, v3, s4
	s_lshl_b64 s[2:3], s[2:3], 1
	s_delay_alu instid0(VALU_DEP_2) | instskip(NEXT) | instid1(VALU_DEP_2)
	v_or3_b32 v16, v0, v1, v2
	v_ashrrev_i32_e32 v5, 31, v4
	ds_load_b128 v[0:3], v16
	s_waitcnt lgkmcnt(0)
	s_add_u32 s2, s0, s2
	s_addc_u32 s3, s1, s3
	s_lshl_b32 s0, s14, 6
	v_lshlrev_b64 v[5:6], 1, v[4:5]
	s_ashr_i32 s1, s0, 31
	s_delay_alu instid0(SALU_CYCLE_1) | instskip(NEXT) | instid1(SALU_CYCLE_1)
	s_lshl_b64 s[0:1], s[0:1], 1
	s_add_u32 s0, s2, s0
	s_addc_u32 s1, s3, s1
	s_lshl_b32 s2, s34, 7
	v_add_co_u32 v30, s0, s0, v73
	v_add_nc_u32_e32 v8, s2, v4
	v_add_co_ci_u32_e64 v31, null, s1, 0, s0
	s_delay_alu instid0(VALU_DEP_3) | instskip(NEXT) | instid1(VALU_DEP_3)
	v_add_co_u32 v12, vcc_lo, v30, v5
	v_add_nc_u32_e32 v10, s2, v8
	v_ashrrev_i32_e32 v9, 31, v8
	s_delay_alu instid0(VALU_DEP_4)
	v_add_co_ci_u32_e32 v13, vcc_lo, v31, v6, vcc_lo
	ds_load_b128 v[4:7], v16 offset:128
	v_ashrrev_i32_e32 v11, 31, v10
	v_lshlrev_b64 v[8:9], 1, v[8:9]
	v_add_nc_u32_e32 v14, s2, v10
	global_store_b128 v[12:13], v[0:3], off
	v_lshlrev_b64 v[0:1], 1, v[10:11]
	v_ashrrev_i32_e32 v15, 31, v14
	v_add_co_u32 v22, vcc_lo, v30, v8
	v_add_nc_u32_e32 v20, s2, v14
	v_add_co_ci_u32_e32 v23, vcc_lo, v31, v9, vcc_lo
	v_add_co_u32 v26, vcc_lo, v30, v0
	v_lshlrev_b64 v[24:25], 1, v[14:15]
	v_add_co_ci_u32_e32 v27, vcc_lo, v31, v1, vcc_lo
	ds_load_b128 v[0:3], v16 offset:256
	ds_load_b128 v[8:11], v16 offset:384
	;; [unrolled: 1-line block ×4, first 2 shown]
	v_add_nc_u32_e32 v28, s2, v20
	v_ashrrev_i32_e32 v21, 31, v20
	v_add_co_u32 v24, vcc_lo, v30, v24
	v_add_co_ci_u32_e32 v25, vcc_lo, v31, v25, vcc_lo
	s_delay_alu instid0(VALU_DEP_4) | instskip(NEXT) | instid1(VALU_DEP_4)
	v_ashrrev_i32_e32 v29, 31, v28
	v_lshlrev_b64 v[20:21], 1, v[20:21]
	s_delay_alu instid0(VALU_DEP_2) | instskip(NEXT) | instid1(VALU_DEP_2)
	v_lshlrev_b64 v[28:29], 1, v[28:29]
	v_add_co_u32 v20, vcc_lo, v30, v20
	s_delay_alu instid0(VALU_DEP_3) | instskip(NEXT) | instid1(VALU_DEP_3)
	v_add_co_ci_u32_e32 v21, vcc_lo, v31, v21, vcc_lo
	v_add_co_u32 v28, vcc_lo, v30, v28
	s_delay_alu instid0(VALU_DEP_4)
	v_add_co_ci_u32_e32 v29, vcc_lo, v31, v29, vcc_lo
	s_waitcnt lgkmcnt(4)
	global_store_b128 v[22:23], v[4:7], off
	s_waitcnt lgkmcnt(3)
	global_store_b128 v[26:27], v[0:3], off
	s_waitcnt lgkmcnt(2)
	global_store_b128 v[24:25], v[8:11], off
	s_waitcnt lgkmcnt(1)
	global_store_b128 v[20:21], v[12:15], off
	s_waitcnt lgkmcnt(0)
	global_store_b128 v[28:29], v[16:19], off
	s_nop 0
	s_sendmsg sendmsg(MSG_DEALLOC_VGPRS)
	s_endpgm
	.section	.rodata,"a",@progbits
	.p2align	6, 0x0
	.amdhsa_kernel _Z39paged_attention_ll4mi_QKV_mfma16_kernelI14__hip_bfloat16hLN4vllm18Fp8KVCacheDataTypeE1EhLi32ELi64ELi256ELb1ELi12EL8MFMAType1EEvPKT_PKT0_S9_ifPKiSB_SB_iPKfiiiPfSE_PS4_PT2_iSD_SD_
		.amdhsa_group_segment_fixed_size 17472
		.amdhsa_private_segment_fixed_size 0
		.amdhsa_kernarg_size 400
		.amdhsa_user_sgpr_count 13
		.amdhsa_user_sgpr_dispatch_ptr 0
		.amdhsa_user_sgpr_queue_ptr 0
		.amdhsa_user_sgpr_kernarg_segment_ptr 1
		.amdhsa_user_sgpr_dispatch_id 0
		.amdhsa_user_sgpr_private_segment_size 0
		.amdhsa_wavefront_size32 1
		.amdhsa_uses_dynamic_stack 0
		.amdhsa_enable_private_segment 0
		.amdhsa_system_sgpr_workgroup_id_x 1
		.amdhsa_system_sgpr_workgroup_id_y 1
		.amdhsa_system_sgpr_workgroup_id_z 1
		.amdhsa_system_sgpr_workgroup_info 0
		.amdhsa_system_vgpr_workitem_id 0
		.amdhsa_next_free_vgpr 124
		.amdhsa_next_free_sgpr 40
		.amdhsa_reserve_vcc 1
		.amdhsa_float_round_mode_32 0
		.amdhsa_float_round_mode_16_64 0
		.amdhsa_float_denorm_mode_32 3
		.amdhsa_float_denorm_mode_16_64 3
		.amdhsa_dx10_clamp 1
		.amdhsa_ieee_mode 1
		.amdhsa_fp16_overflow 0
		.amdhsa_workgroup_processor_mode 1
		.amdhsa_memory_ordered 1
		.amdhsa_forward_progress 0
		.amdhsa_shared_vgpr_count 0
		.amdhsa_exception_fp_ieee_invalid_op 0
		.amdhsa_exception_fp_denorm_src 0
		.amdhsa_exception_fp_ieee_div_zero 0
		.amdhsa_exception_fp_ieee_overflow 0
		.amdhsa_exception_fp_ieee_underflow 0
		.amdhsa_exception_fp_ieee_inexact 0
		.amdhsa_exception_int_div_zero 0
	.end_amdhsa_kernel
	.section	.text._Z39paged_attention_ll4mi_QKV_mfma16_kernelI14__hip_bfloat16hLN4vllm18Fp8KVCacheDataTypeE1EhLi32ELi64ELi256ELb1ELi12EL8MFMAType1EEvPKT_PKT0_S9_ifPKiSB_SB_iPKfiiiPfSE_PS4_PT2_iSD_SD_,"axG",@progbits,_Z39paged_attention_ll4mi_QKV_mfma16_kernelI14__hip_bfloat16hLN4vllm18Fp8KVCacheDataTypeE1EhLi32ELi64ELi256ELb1ELi12EL8MFMAType1EEvPKT_PKT0_S9_ifPKiSB_SB_iPKfiiiPfSE_PS4_PT2_iSD_SD_,comdat
.Lfunc_end1437:
	.size	_Z39paged_attention_ll4mi_QKV_mfma16_kernelI14__hip_bfloat16hLN4vllm18Fp8KVCacheDataTypeE1EhLi32ELi64ELi256ELb1ELi12EL8MFMAType1EEvPKT_PKT0_S9_ifPKiSB_SB_iPKfiiiPfSE_PS4_PT2_iSD_SD_, .Lfunc_end1437-_Z39paged_attention_ll4mi_QKV_mfma16_kernelI14__hip_bfloat16hLN4vllm18Fp8KVCacheDataTypeE1EhLi32ELi64ELi256ELb1ELi12EL8MFMAType1EEvPKT_PKT0_S9_ifPKiSB_SB_iPKfiiiPfSE_PS4_PT2_iSD_SD_
                                        ; -- End function
	.section	.AMDGPU.csdata,"",@progbits
; Kernel info:
; codeLenInByte = 8872
; NumSgprs: 42
; NumVgprs: 124
; ScratchSize: 0
; MemoryBound: 0
; FloatMode: 240
; IeeeMode: 1
; LDSByteSize: 17472 bytes/workgroup (compile time only)
; SGPRBlocks: 5
; VGPRBlocks: 15
; NumSGPRsForWavesPerEU: 42
; NumVGPRsForWavesPerEU: 124
; Occupancy: 10
; WaveLimiterHint : 1
; COMPUTE_PGM_RSRC2:SCRATCH_EN: 0
; COMPUTE_PGM_RSRC2:USER_SGPR: 13
; COMPUTE_PGM_RSRC2:TRAP_HANDLER: 0
; COMPUTE_PGM_RSRC2:TGID_X_EN: 1
; COMPUTE_PGM_RSRC2:TGID_Y_EN: 1
; COMPUTE_PGM_RSRC2:TGID_Z_EN: 1
; COMPUTE_PGM_RSRC2:TIDIG_COMP_CNT: 0
	.section	.text._Z39paged_attention_ll4mi_QKV_mfma16_kernelI14__hip_bfloat16hLN4vllm18Fp8KVCacheDataTypeE1EhLi32ELi64ELi256ELb1ELi13EL8MFMAType1EEvPKT_PKT0_S9_ifPKiSB_SB_iPKfiiiPfSE_PS4_PT2_iSD_SD_,"axG",@progbits,_Z39paged_attention_ll4mi_QKV_mfma16_kernelI14__hip_bfloat16hLN4vllm18Fp8KVCacheDataTypeE1EhLi32ELi64ELi256ELb1ELi13EL8MFMAType1EEvPKT_PKT0_S9_ifPKiSB_SB_iPKfiiiPfSE_PS4_PT2_iSD_SD_,comdat
	.protected	_Z39paged_attention_ll4mi_QKV_mfma16_kernelI14__hip_bfloat16hLN4vllm18Fp8KVCacheDataTypeE1EhLi32ELi64ELi256ELb1ELi13EL8MFMAType1EEvPKT_PKT0_S9_ifPKiSB_SB_iPKfiiiPfSE_PS4_PT2_iSD_SD_ ; -- Begin function _Z39paged_attention_ll4mi_QKV_mfma16_kernelI14__hip_bfloat16hLN4vllm18Fp8KVCacheDataTypeE1EhLi32ELi64ELi256ELb1ELi13EL8MFMAType1EEvPKT_PKT0_S9_ifPKiSB_SB_iPKfiiiPfSE_PS4_PT2_iSD_SD_
	.globl	_Z39paged_attention_ll4mi_QKV_mfma16_kernelI14__hip_bfloat16hLN4vllm18Fp8KVCacheDataTypeE1EhLi32ELi64ELi256ELb1ELi13EL8MFMAType1EEvPKT_PKT0_S9_ifPKiSB_SB_iPKfiiiPfSE_PS4_PT2_iSD_SD_
	.p2align	8
	.type	_Z39paged_attention_ll4mi_QKV_mfma16_kernelI14__hip_bfloat16hLN4vllm18Fp8KVCacheDataTypeE1EhLi32ELi64ELi256ELb1ELi13EL8MFMAType1EEvPKT_PKT0_S9_ifPKiSB_SB_iPKfiiiPfSE_PS4_PT2_iSD_SD_,@function
_Z39paged_attention_ll4mi_QKV_mfma16_kernelI14__hip_bfloat16hLN4vllm18Fp8KVCacheDataTypeE1EhLi32ELi64ELi256ELb1ELi13EL8MFMAType1EEvPKT_PKT0_S9_ifPKiSB_SB_iPKfiiiPfSE_PS4_PT2_iSD_SD_: ; @_Z39paged_attention_ll4mi_QKV_mfma16_kernelI14__hip_bfloat16hLN4vllm18Fp8KVCacheDataTypeE1EhLi32ELi64ELi256ELb1ELi13EL8MFMAType1EEvPKT_PKT0_S9_ifPKiSB_SB_iPKfiiiPfSE_PS4_PT2_iSD_SD_
; %bb.0:
	s_load_b64 s[2:3], s[0:1], 0x30
	s_mov_b32 s34, s13
	s_waitcnt lgkmcnt(0)
	s_cmp_lg_u64 s[2:3], 0
	s_cselect_b32 s8, -1, 0
	s_ashr_i32 s35, s13, 31
	s_cmp_eq_u64 s[2:3], 0
	s_cbranch_scc1 .LBB1438_3
; %bb.1:
	s_lshl_b64 s[4:5], s[34:35], 2
	s_delay_alu instid0(SALU_CYCLE_1) | instskip(SKIP_4) | instid1(SALU_CYCLE_1)
	s_add_u32 s4, s2, s4
	s_addc_u32 s5, s3, s5
	s_load_b64 s[4:5], s[4:5], 0x0
	s_waitcnt lgkmcnt(0)
	s_sub_i32 s4, s5, s4
	s_cmp_eq_u32 s4, 1
	s_cselect_b32 s4, -1, 0
	s_delay_alu instid0(SALU_CYCLE_1)
	s_and_not1_b32 vcc_lo, exec_lo, s4
	s_cbranch_vccz .LBB1438_4
.LBB1438_2:
	s_nop 0
	s_sendmsg sendmsg(MSG_DEALLOC_VGPRS)
	s_endpgm
.LBB1438_3:
.LBB1438_4:
	s_load_b64 s[4:5], s[0:1], 0x28
	s_lshl_b64 s[6:7], s[34:35], 2
	s_waitcnt lgkmcnt(0)
	s_add_u32 s4, s4, s6
	s_addc_u32 s5, s5, s7
	s_lshl_b32 s12, s14, 8
	s_load_b32 s24, s[4:5], 0x0
	s_waitcnt lgkmcnt(0)
	s_cmp_ge_i32 s12, s24
	s_cbranch_scc1 .LBB1438_2
; %bb.5:
	s_clause 0x1
	s_load_b128 s[20:23], s[0:1], 0x8
	s_load_b64 s[4:5], s[0:1], 0x20
	s_and_not1_b32 vcc_lo, exec_lo, s8
	s_cbranch_vccnz .LBB1438_7
; %bb.6:
	s_add_u32 s2, s2, s6
	s_addc_u32 s3, s3, s7
	s_load_b32 s3, s[2:3], 0x0
	s_branch .LBB1438_8
.LBB1438_7:
	s_mov_b32 s3, s34
.LBB1438_8:
	s_load_b128 s[16:19], s[0:1], 0x48
	v_lshrrev_b32_e32 v66, 5, v0
	v_bfe_u32 v74, v0, 4, 1
	v_and_b32_e32 v65, 15, v0
	v_and_b32_e32 v67, 31, v0
	;; [unrolled: 1-line block ×3, first 2 shown]
	s_mul_i32 s31, s15, 13
	v_lshl_or_b32 v1, v66, 1, v74
	v_lshlrev_b32_e32 v2, 3, v65
	v_cmp_gt_u32_e64 s2, 8, v65
	s_delay_alu instid0(VALU_DEP_3) | instskip(NEXT) | instid1(VALU_DEP_3)
	v_cmp_gt_u32_e32 vcc_lo, 13, v1
	v_lshlrev_b32_e32 v73, 1, v2
	s_delay_alu instid0(VALU_DEP_3) | instskip(NEXT) | instid1(SALU_CYCLE_1)
	s_and_b32 s7, s2, vcc_lo
	s_and_saveexec_b32 s6, s7
	s_cbranch_execz .LBB1438_10
; %bb.9:
	s_load_b64 s[8:9], s[0:1], 0x0
	v_add_lshl_u32 v2, v1, s31, 6
	s_waitcnt lgkmcnt(0)
	s_mul_hi_i32 s11, s3, s16
	s_mul_i32 s10, s3, s16
	v_lshlrev_b32_e32 v6, 10, v65
	s_lshl_b64 s[10:11], s[10:11], 1
	v_ashrrev_i32_e32 v3, 31, v2
	v_lshlrev_b32_e32 v1, 6, v1
	v_lshlrev_b32_e32 v7, 10, v75
	v_and_b32_e32 v6, 0x3800, v6
	s_delay_alu instid0(VALU_DEP_4) | instskip(NEXT) | instid1(VALU_DEP_2)
	v_lshlrev_b64 v[2:3], 1, v[2:3]
	v_or3_b32 v1, v6, v7, v1
	s_add_u32 s3, s8, s10
	s_addc_u32 s7, s9, s11
	s_delay_alu instid0(VALU_DEP_2) | instskip(NEXT) | instid1(VALU_DEP_3)
	v_add_co_u32 v2, vcc_lo, s3, v2
	v_add_co_ci_u32_e32 v3, vcc_lo, s7, v3, vcc_lo
	s_delay_alu instid0(VALU_DEP_2) | instskip(NEXT) | instid1(VALU_DEP_2)
	v_add_co_u32 v2, vcc_lo, v2, v73
	v_add_co_ci_u32_e32 v3, vcc_lo, 0, v3, vcc_lo
	global_load_b128 v[2:5], v[2:3], off
	s_waitcnt vmcnt(0)
	ds_store_b128 v1, v[2:5]
.LBB1438_10:
	s_or_b32 exec_lo, exec_lo, s6
	v_and_b32_e32 v1, 0xef, v0
	s_waitcnt lgkmcnt(0)
	s_add_i32 s3, s24, 31
	s_clause 0x1
	s_load_b32 s6, s[0:1], 0x38
	s_load_b32 s19, s[0:1], 0x1c
	s_ashr_i32 s7, s3, 31
	v_add_nc_u32_e32 v1, s12, v1
	s_lshr_b32 s7, s7, 27
	s_waitcnt lgkmcnt(0)
	s_add_i32 s3, s3, s7
	s_barrier
	v_ashrrev_i32_e32 v2, 31, v1
	v_or_b32_e32 v3, 16, v1
	s_ashr_i32 s3, s3, 5
	v_cmp_gt_i32_e32 vcc_lo, s24, v1
	s_add_i32 s3, s3, -1
	v_lshrrev_b32_e32 v2, 27, v2
	buffer_gl0_inv
	s_mul_i32 s27, s15, s18
	v_add_nc_u32_e32 v4, v1, v2
	s_mul_i32 s6, s34, s6
	s_delay_alu instid0(SALU_CYCLE_1) | instskip(NEXT) | instid1(VALU_DEP_1)
	s_ashr_i32 s7, s6, 31
	v_ashrrev_i32_e32 v4, 5, v4
	v_add_nc_u32_e32 v2, v3, v2
	s_lshl_b64 s[6:7], s[6:7], 2
	s_delay_alu instid0(SALU_CYCLE_1) | instskip(NEXT) | instid1(VALU_DEP_2)
	s_add_u32 s26, s4, s6
	v_cndmask_b32_e32 v1, s3, v4, vcc_lo
	s_delay_alu instid0(VALU_DEP_2)
	v_ashrrev_i32_e32 v2, 5, v2
	v_cmp_gt_i32_e32 vcc_lo, s24, v3
	s_addc_u32 s25, s5, s7
	s_ashr_i32 s28, s27, 31
	s_add_u32 s4, s20, s27
	s_addc_u32 s5, s21, s28
	v_cndmask_b32_e32 v3, s3, v2, vcc_lo
	v_ashrrev_i32_e32 v2, 31, v1
	s_lshl_b32 s6, s14, 3
	s_delay_alu instid0(SALU_CYCLE_1) | instskip(NEXT) | instid1(VALU_DEP_2)
	s_ashr_i32 s7, s6, 31
	v_ashrrev_i32_e32 v4, 31, v3
	s_delay_alu instid0(VALU_DEP_2) | instskip(SKIP_1) | instid1(SALU_CYCLE_1)
	v_lshlrev_b64 v[1:2], 2, v[1:2]
	s_lshl_b64 s[6:7], s[6:7], 2
	s_add_u32 s6, s26, s6
	s_delay_alu instid0(VALU_DEP_2) | instskip(SKIP_1) | instid1(VALU_DEP_2)
	v_lshlrev_b64 v[3:4], 2, v[3:4]
	s_addc_u32 s7, s25, s7
	v_add_co_u32 v1, vcc_lo, s26, v1
	v_add_co_ci_u32_e32 v2, vcc_lo, s25, v2, vcc_lo
	s_delay_alu instid0(VALU_DEP_3) | instskip(NEXT) | instid1(VALU_DEP_4)
	v_add_co_u32 v3, vcc_lo, s26, v3
	v_add_co_ci_u32_e32 v4, vcc_lo, s25, v4, vcc_lo
	s_clause 0x1
	global_load_b32 v5, v[1:2], off
	global_load_b32 v6, v[3:4], off
	s_or_b32 s8, s12, 32
	s_delay_alu instid0(SALU_CYCLE_1) | instskip(SKIP_2) | instid1(SALU_CYCLE_1)
	s_ashr_i32 s9, s8, 5
	s_cmp_lt_i32 s8, s24
	s_cselect_b32 s8, s9, s3
	s_ashr_i32 s9, s8, 31
	s_delay_alu instid0(SALU_CYCLE_1) | instskip(NEXT) | instid1(SALU_CYCLE_1)
	s_lshl_b64 s[8:9], s[8:9], 2
	s_add_u32 s8, s26, s8
	s_addc_u32 s9, s25, s9
	s_or_b32 s10, s12, 64
	s_delay_alu instid0(SALU_CYCLE_1) | instskip(SKIP_2) | instid1(SALU_CYCLE_1)
	s_ashr_i32 s11, s10, 5
	s_cmp_lt_i32 s10, s24
	s_cselect_b32 s10, s11, s3
	s_ashr_i32 s11, s10, 31
	s_delay_alu instid0(SALU_CYCLE_1) | instskip(NEXT) | instid1(SALU_CYCLE_1)
	s_lshl_b64 s[10:11], s[10:11], 2
	s_add_u32 s10, s26, s10
	s_addc_u32 s11, s25, s11
	;; [unrolled: 10-line block ×5, first 2 shown]
	s_clause 0x5
	s_load_b32 s21, s[6:7], 0x0
	s_load_b32 s13, s[8:9], 0x0
	;; [unrolled: 1-line block ×6, first 2 shown]
	s_or_b32 s8, s12, 0xc0
	s_delay_alu instid0(SALU_CYCLE_1) | instskip(SKIP_2) | instid1(SALU_CYCLE_1)
	s_ashr_i32 s9, s8, 5
	s_cmp_lt_i32 s8, s24
	s_cselect_b32 s36, s9, s3
	s_ashr_i32 s37, s36, 31
	s_delay_alu instid0(SALU_CYCLE_1) | instskip(NEXT) | instid1(SALU_CYCLE_1)
	s_lshl_b64 s[36:37], s[36:37], 2
	s_add_u32 s36, s26, s36
	s_addc_u32 s37, s25, s37
	s_or_b32 s29, s12, 0xe0
	s_delay_alu instid0(SALU_CYCLE_1)
	s_ashr_i32 s30, s29, 5
	s_cmp_lt_i32 s29, s24
	s_waitcnt vmcnt(1)
	v_mad_i64_i32 v[1:2], null, v5, s17, s[4:5]
	s_waitcnt vmcnt(0)
	v_mad_i64_i32 v[3:4], null, v6, s17, s[4:5]
	s_mov_b32 s4, 0
	s_delay_alu instid0(SALU_CYCLE_1)
	s_mov_b32 s5, s4
	s_mov_b32 s6, s4
	;; [unrolled: 1-line block ×7, first 2 shown]
	v_lshlrev_b32_e32 v5, 4, v65
	v_dual_mov_b32 v107, s11 :: v_dual_mov_b32 v102, s6
	v_mov_b32_e32 v100, s4
	v_mov_b32_e32 v106, s10
	s_delay_alu instid0(VALU_DEP_4)
	v_add_co_u32 v1, vcc_lo, v1, v5
	v_add_co_ci_u32_e32 v2, vcc_lo, 0, v2, vcc_lo
	v_add_co_u32 v3, vcc_lo, v3, v5
	v_add_co_ci_u32_e32 v4, vcc_lo, 0, v4, vcc_lo
	s_clause 0x7
	global_load_b128 v[49:52], v[1:2], off
	global_load_b128 v[53:56], v[1:2], off offset:512
	global_load_b128 v[76:79], v[3:4], off offset:256
	;; [unrolled: 1-line block ×7, first 2 shown]
	v_add_nc_u32_e32 v1, -13, v65
	v_cmp_gt_u32_e32 vcc_lo, 13, v65
	v_dual_mov_b32 v104, s8 :: v_dual_mov_b32 v103, s7
	v_dual_mov_b32 v101, s5 :: v_dual_lshlrev_b32 v2, 5, v65
	s_delay_alu instid0(VALU_DEP_4)
	v_cndmask_b32_e32 v1, v1, v65, vcc_lo
	v_mov_b32_e32 v105, s9
	s_cselect_b32 s4, s30, s3
	s_load_b32 s3, s[36:37], 0x0
	s_ashr_i32 s5, s4, 31
	v_lshlrev_b32_e32 v70, 6, v1
	s_lshl_b64 s[4:5], s[4:5], 2
	v_lshl_or_b32 v2, v66, 9, v2
	s_add_u32 s4, s26, s4
	s_addc_u32 s5, s25, s5
	ds_load_b128 v[108:111], v70
	ds_load_b128 v[112:115], v70 offset:1024
	s_load_b32 s4, s[4:5], 0x0
	s_add_u32 s6, s22, s27
	s_addc_u32 s7, s23, s28
	v_add_co_u32 v9, s6, s6, v2
	s_delay_alu instid0(VALU_DEP_1) | instskip(SKIP_1) | instid1(VALU_DEP_1)
	v_add_co_ci_u32_e64 v10, null, s7, 0, s6
	s_waitcnt lgkmcnt(0)
	v_mad_i64_i32 v[1:2], null, s21, s17, v[9:10]
	v_mad_i64_i32 v[3:4], null, s13, s17, v[9:10]
	;; [unrolled: 1-line block ×7, first 2 shown]
	s_clause 0x9
	global_load_b128 v[57:60], v[1:2], off
	global_load_b128 v[61:64], v[1:2], off offset:16
	global_load_b128 v[41:44], v[3:4], off
	global_load_b128 v[45:48], v[3:4], off offset:16
	;; [unrolled: 2-line block ×5, first 2 shown]
	v_mad_i64_i32 v[68:69], null, s4, s17, v[9:10]
	s_clause 0x3
	global_load_b128 v[9:12], v[13:14], off
	global_load_b128 v[13:16], v[13:14], off offset:16
	global_load_b128 v[17:20], v[21:22], off
	global_load_b128 v[21:24], v[21:22], off offset:16
	s_waitcnt vmcnt(20)
	v_wmma_f32_16x16x16_bf16 v[116:123], v[49:56], v[108:115], v[100:107]
	s_clause 0x1
	global_load_b128 v[49:52], v[68:69], off
	global_load_b128 v[53:56], v[68:69], off offset:16
	v_and_b32_e32 v68, 0xe0, v0
	v_mbcnt_lo_u32_b32 v69, -1, 0
	s_delay_alu instid0(VALU_DEP_2)
	v_add_nc_u32_e32 v68, s12, v68
	s_waitcnt vmcnt(20)
	v_wmma_f32_16x16x16_bf16 v[100:107], v[76:83], v[108:115], v[100:107]
	ds_load_b128 v[76:79], v70 offset:2048
	ds_load_b128 v[80:83], v70 offset:3072
	v_xor_b32_e32 v70, 16, v69
	s_waitcnt vmcnt(0) lgkmcnt(0)
	v_or_b32_e32 v68, v68, v74
	s_barrier
	buffer_gl0_inv
	v_cmp_gt_i32_e32 vcc_lo, 32, v70
	v_or_b32_e32 v71, 4, v68
	v_or_b32_e32 v72, 6, v68
	v_cmp_gt_i32_e64 s3, s24, v68
	v_or_b32_e32 v108, 8, v68
	v_or_b32_e32 v109, 10, v68
	v_cmp_gt_i32_e64 s4, s24, v71
	v_cmp_gt_i32_e64 s5, s24, v72
	s_delay_alu instid0(VALU_DEP_4) | instskip(NEXT) | instid1(VALU_DEP_4)
	v_cmp_gt_i32_e64 s6, s24, v108
	v_cmp_gt_i32_e64 s7, s24, v109
	v_wmma_f32_16x16x16_bf16 v[116:123], v[84:91], v[76:83], v[116:123]
	v_cndmask_b32_e32 v69, v69, v70, vcc_lo
	v_or_b32_e32 v70, 2, v68
	v_wmma_f32_16x16x16_bf16 v[100:107], v[92:99], v[76:83], v[100:107]
	v_or_b32_e32 v89, 22, v68
	v_dual_mul_f32 v80, s19, v121 :: v_dual_mul_f32 v81, s19, v120
	v_dual_mul_f32 v92, s19, v117 :: v_dual_mul_f32 v93, s19, v116
	s_delay_alu instid0(VALU_DEP_4)
	v_mul_f32_e32 v96, s19, v105
	v_cmp_gt_i32_e32 vcc_lo, s24, v70
	v_dual_mul_f32 v79, s19, v122 :: v_dual_mul_f32 v82, s19, v119
	v_dual_mul_f32 v83, s19, v118 :: v_dual_mul_f32 v94, s19, v107
	v_cndmask_b32_e64 v93, 0xff7fffff, v93, s3
	v_cndmask_b32_e32 v92, 0xff7fffff, v92, vcc_lo
	v_or_b32_e32 v84, 12, v68
	v_or_b32_e32 v85, 14, v68
	v_cndmask_b32_e64 v71, 0xff7fffff, v83, s4
	v_cndmask_b32_e64 v72, 0xff7fffff, v82, s5
	v_cmp_gt_i32_e64 s13, s24, v89
	v_lshlrev_b32_e32 v89, 2, v69
	v_max3_f32 v82, v93, 0xff7fffff, v92
	v_or_b32_e32 v86, 16, v68
	v_or_b32_e32 v87, 18, v68
	v_mul_f32_e32 v78, s19, v123
	v_cndmask_b32_e64 v81, 0xff7fffff, v81, s6
	v_cndmask_b32_e64 v80, 0xff7fffff, v80, s7
	v_max3_f32 v71, v82, v71, v72
	v_cmp_gt_i32_e64 s8, s24, v84
	v_cmp_gt_i32_e64 s9, s24, v85
	v_or_b32_e32 v88, 20, v68
	v_or_b32_e32 v90, 24, v68
	v_or_b32_e32 v91, 26, v68
	v_or_b32_e32 v76, 28, v68
	v_or_b32_e32 v77, 30, v68
	v_dual_mul_f32 v97, s19, v104 :: v_dual_mul_f32 v70, s19, v101
	v_dual_mul_f32 v99, s19, v102 :: v_dual_mul_f32 v68, s19, v100
	v_cndmask_b32_e64 v72, 0xff7fffff, v79, s8
	v_cndmask_b32_e64 v78, 0xff7fffff, v78, s9
	v_max3_f32 v71, v71, v81, v80
	v_cmp_gt_i32_e64 s10, s24, v86
	v_cmp_gt_i32_e64 s11, s24, v87
	v_dual_mul_f32 v95, s19, v106 :: v_dual_mul_f32 v98, s19, v103
	s_delay_alu instid0(VALU_DEP_4) | instskip(NEXT) | instid1(VALU_DEP_4)
	v_max3_f32 v71, v71, v72, v78
	v_cndmask_b32_e64 v68, 0xff7fffff, v68, s10
	s_delay_alu instid0(VALU_DEP_4)
	v_cndmask_b32_e64 v70, 0xff7fffff, v70, s11
	v_cmp_gt_i32_e64 s12, s24, v88
	v_cndmask_b32_e64 v78, 0xff7fffff, v98, s13
	v_cmp_gt_i32_e64 s15, s24, v90
	v_cmp_gt_i32_e64 s16, s24, v91
	v_max3_f32 v68, v71, v68, v70
	v_cndmask_b32_e64 v72, 0xff7fffff, v99, s12
	v_cmp_gt_i32_e64 s17, s24, v76
	v_cndmask_b32_e64 v70, 0xff7fffff, v97, s15
	v_cndmask_b32_e64 v71, 0xff7fffff, v96, s16
	v_cmp_gt_i32_e64 s18, s24, v77
	v_max3_f32 v68, v68, v72, v78
	v_cndmask_b32_e64 v72, 0xff7fffff, v95, s17
	s_delay_alu instid0(VALU_DEP_3) | instskip(NEXT) | instid1(VALU_DEP_3)
	v_cndmask_b32_e64 v76, 0xff7fffff, v94, s18
	v_max3_f32 v68, v68, v70, v71
	s_delay_alu instid0(VALU_DEP_1) | instskip(SKIP_3) | instid1(VALU_DEP_1)
	v_max3_f32 v68, v68, v72, v76
	ds_bpermute_b32 v69, v89, v68
	s_waitcnt lgkmcnt(0)
	v_max_f32_e32 v69, v69, v69
	v_max_f32_e32 v68, v68, v69
	s_delay_alu instid0(VALU_DEP_1) | instskip(NEXT) | instid1(VALU_DEP_1)
	v_fma_f32 v71, s19, v118, -v68
	v_mul_f32_e32 v71, 0x3fb8aa3b, v71
	v_fma_f32 v70, s19, v117, -v68
	v_fma_f32 v69, s19, v116, -v68
	;; [unrolled: 1-line block ×5, first 2 shown]
	s_delay_alu instid0(VALU_DEP_4) | instskip(SKIP_1) | instid1(VALU_DEP_3)
	v_dual_mul_f32 v70, 0x3fb8aa3b, v70 :: v_dual_mul_f32 v69, 0x3fb8aa3b, v69
	v_exp_f32_e32 v71, v71
	v_mul_f32_e32 v72, 0x3fb8aa3b, v72
	v_fma_f32 v81, s19, v105, -v68
	s_delay_alu instid0(VALU_DEP_3)
	v_exp_f32_e32 v70, v70
	v_mul_f32_e32 v77, 0x3fb8aa3b, v76
	v_exp_f32_e32 v69, v69
	v_exp_f32_e32 v72, v72
	v_mul_f32_e32 v81, 0x3fb8aa3b, v81
	v_cndmask_b32_e64 v83, 0, v71, s4
	v_fma_f32 v71, s19, v123, -v68
	s_delay_alu instid0(VALU_DEP_3) | instskip(SKIP_4) | instid1(TRANS32_DEP_3)
	v_exp_f32_e32 v81, v81
	v_cndmask_b32_e32 v76, 0, v70, vcc_lo
	v_exp_f32_e32 v77, v77
	v_cndmask_b32_e64 v80, 0, v69, s3
	v_fma_f32 v69, s19, v121, -v68
	v_cndmask_b32_e64 v85, 0, v72, s5
	v_mul_f32_e32 v71, 0x3fb8aa3b, v71
	v_fma_f32 v72, s19, v100, -v68
	s_delay_alu instid0(VALU_DEP_4) | instskip(SKIP_1) | instid1(VALU_DEP_4)
	v_dual_add_f32 v70, 0, v80 :: v_dual_mul_f32 v69, 0x3fb8aa3b, v69
	v_cmp_gt_u32_e64 s3, 16, v67
	v_exp_f32_e32 v71, v71
	s_delay_alu instid0(TRANS32_DEP_2) | instskip(SKIP_4) | instid1(VALU_DEP_3)
	v_cndmask_b32_e64 v86, 0, v77, s6
	v_fma_f32 v77, s19, v101, -v68
	v_mul_f32_e32 v78, 0x3fb8aa3b, v78
	v_add_f32_e32 v70, v70, v76
	v_exp_f32_e32 v69, v69
	v_mul_f32_e32 v77, 0x3fb8aa3b, v77
	s_delay_alu instid0(VALU_DEP_3) | instskip(NEXT) | instid1(TRANS32_DEP_3)
	v_exp_f32_e32 v78, v78
	v_cndmask_b32_e64 v88, 0, v71, s9
	v_fma_f32 v71, s19, v104, -v68
	s_delay_alu instid0(VALU_DEP_3) | instskip(NEXT) | instid1(TRANS32_DEP_3)
	v_exp_f32_e32 v77, v77
	v_cndmask_b32_e64 v87, 0, v69, s7
	s_delay_alu instid0(VALU_DEP_2)
	v_mul_f32_e32 v71, 0x3fb8aa3b, v71
	s_waitcnt_depctr 0xfff
	v_cndmask_b32_e64 v84, 0, v78, s8
	v_add_f32_e32 v70, v70, v83
	v_fma_f32 v78, s19, v103, -v68
	v_exp_f32_e32 v82, v71
	s_delay_alu instid0(VALU_DEP_2) | instskip(SKIP_1) | instid1(VALU_DEP_3)
	v_add_f32_e32 v70, v70, v85
	v_mul_f32_e32 v72, 0x3fb8aa3b, v72
	v_mul_f32_e32 v78, 0x3fb8aa3b, v78
	s_delay_alu instid0(VALU_DEP_3) | instskip(SKIP_1) | instid1(VALU_DEP_4)
	v_add_f32_e32 v69, v70, v86
	v_fma_f32 v70, s19, v102, -v68
	v_exp_f32_e32 v72, v72
	s_delay_alu instid0(VALU_DEP_3) | instskip(NEXT) | instid1(VALU_DEP_1)
	v_exp_f32_e32 v78, v78
	v_dual_add_f32 v69, v69, v87 :: v_dual_mul_f32 v70, 0x3fb8aa3b, v70
	s_delay_alu instid0(VALU_DEP_1) | instskip(NEXT) | instid1(VALU_DEP_2)
	v_add_f32_e32 v69, v69, v84
	v_exp_f32_e32 v79, v70
	s_delay_alu instid0(TRANS32_DEP_3) | instskip(NEXT) | instid1(VALU_DEP_2)
	v_cndmask_b32_e64 v70, 0, v72, s10
	v_add_f32_e32 v72, v69, v88
	v_cndmask_b32_e64 v69, 0, v77, s11
	v_fma_f32 v77, s19, v106, -v68
	s_waitcnt_depctr 0xfff
	v_cndmask_b32_e64 v71, 0, v79, s12
	v_dual_mul_f32 v77, 0x3fb8aa3b, v77 :: v_dual_add_f32 v72, v72, v70
	s_delay_alu instid0(VALU_DEP_1) | instskip(NEXT) | instid1(VALU_DEP_1)
	v_exp_f32_e32 v90, v77
	v_add_f32_e32 v79, v72, v69
	v_cndmask_b32_e64 v72, 0, v78, s13
	v_cndmask_b32_e64 v77, 0, v82, s15
	s_delay_alu instid0(VALU_DEP_3) | instskip(SKIP_1) | instid1(VALU_DEP_1)
	v_add_f32_e32 v78, v79, v71
	v_fma_f32 v79, s19, v107, -v68
	v_dual_add_f32 v82, v78, v72 :: v_dual_mul_f32 v79, 0x3fb8aa3b, v79
	v_cndmask_b32_e64 v78, 0, v81, s16
	s_delay_alu instid0(VALU_DEP_2) | instskip(NEXT) | instid1(VALU_DEP_3)
	v_add_f32_e32 v81, v82, v77
	v_exp_f32_e32 v82, v79
	v_cndmask_b32_e64 v79, 0, v90, s17
	s_delay_alu instid0(VALU_DEP_2) | instskip(NEXT) | instid1(VALU_DEP_1)
	v_add_f32_e32 v81, v81, v78
	v_add_f32_e32 v90, v81, v79
	s_waitcnt_depctr 0xfff
	v_cndmask_b32_e64 v81, 0, v82, s18
	s_delay_alu instid0(VALU_DEP_1)
	v_add_f32_e32 v82, v90, v81
	ds_bpermute_b32 v89, v89, v82
	s_and_saveexec_b32 s4, s3
	s_cbranch_execz .LBB1438_12
; %bb.11:
	v_mul_u32_u24_e32 v67, 0x44, v66
	s_delay_alu instid0(VALU_DEP_1) | instskip(SKIP_1) | instid1(VALU_DEP_1)
	v_lshl_add_u32 v67, v65, 2, v67
	s_waitcnt lgkmcnt(0)
	v_dual_add_f32 v82, v82, v89 :: v_dual_add_nc_u32 v67, 0x4000, v67
	ds_store_2addr_b32 v67, v68, v82 offset1:136
.LBB1438_12:
	s_or_b32 exec_lo, exec_lo, s4
	v_lshlrev_b32_e32 v67, 2, v65
	s_waitcnt lgkmcnt(0)
	s_barrier
	buffer_gl0_inv
	v_cmp_eq_u32_e32 vcc_lo, 1, v66
	v_add_nc_u32_e32 v82, 0x4000, v67
	v_cmp_eq_u32_e64 s4, 2, v66
	v_cmp_eq_u32_e64 s6, 7, v66
	ds_load_2addr_b32 v[89:90], v82 offset1:17
	ds_load_2addr_b32 v[91:92], v82 offset0:34 offset1:51
	ds_load_2addr_b32 v[93:94], v82 offset0:68 offset1:85
	;; [unrolled: 1-line block ×4, first 2 shown]
	s_waitcnt lgkmcnt(4)
	v_max3_f32 v67, v89, 0xff7fffff, v90
	s_waitcnt lgkmcnt(3)
	s_delay_alu instid0(VALU_DEP_1) | instskip(SKIP_1) | instid1(VALU_DEP_1)
	v_max3_f32 v67, v67, v91, v92
	s_waitcnt lgkmcnt(2)
	v_max3_f32 v67, v67, v93, v94
	s_waitcnt lgkmcnt(1)
	s_delay_alu instid0(VALU_DEP_1) | instskip(NEXT) | instid1(VALU_DEP_1)
	v_max3_f32 v67, v67, v95, v96
	v_sub_f32_e32 v93, v93, v67
	s_delay_alu instid0(VALU_DEP_1) | instskip(NEXT) | instid1(VALU_DEP_1)
	v_dual_sub_f32 v68, v89, v67 :: v_dual_mul_f32 v103, 0x3fb8aa3b, v93
	v_mul_f32_e32 v68, 0x3fb8aa3b, v68
	s_delay_alu instid0(VALU_DEP_1)
	v_exp_f32_e32 v100, v68
	v_sub_f32_e32 v68, v92, v67
	v_sub_f32_e32 v99, v90, v67
	ds_load_2addr_b32 v[89:90], v82 offset0:170 offset1:187
	v_dual_mul_f32 v102, 0x3fb8aa3b, v68 :: v_dual_mul_f32 v99, 0x3fb8aa3b, v99
	s_waitcnt lgkmcnt(1)
	v_fma_f32 v68, v100, v97, 0
	s_delay_alu instid0(VALU_DEP_2) | instskip(NEXT) | instid1(VALU_DEP_2)
	v_exp_f32_e32 v102, v102
	v_exp_f32_e32 v99, v99
	s_waitcnt_depctr 0xfff
	v_fmac_f32_e32 v68, v99, v98
	v_sub_f32_e32 v91, v91, v67
	s_delay_alu instid0(VALU_DEP_1)
	v_mul_f32_e32 v101, 0x3fb8aa3b, v91
	ds_load_2addr_b32 v[91:92], v82 offset0:204 offset1:221
	v_sub_f32_e32 v97, v94, v67
	ds_load_2addr_b32 v[93:94], v82 offset0:238 offset1:255
	s_waitcnt lgkmcnt(0)
	v_exp_f32_e32 v101, v101
	s_barrier
	buffer_gl0_inv
	v_dual_fmac_f32 v68, v101, v89 :: v_dual_sub_f32 v89, v96, v67
	v_dual_sub_f32 v82, v95, v67 :: v_dual_mul_f32 v95, 0x3fb8aa3b, v97
	v_exp_f32_e32 v97, v103
	s_delay_alu instid0(VALU_DEP_2) | instskip(NEXT) | instid1(VALU_DEP_2)
	v_dual_fmac_f32 v68, v102, v90 :: v_dual_mul_f32 v89, 0x3fb8aa3b, v89
	v_mul_f32_e32 v82, 0x3fb8aa3b, v82
	s_delay_alu instid0(VALU_DEP_3) | instskip(NEXT) | instid1(VALU_DEP_2)
	v_exp_f32_e32 v95, v95
	v_exp_f32_e32 v89, v89
	s_delay_alu instid0(VALU_DEP_1)
	v_exp_f32_e32 v82, v82
	v_fmac_f32_e32 v68, v97, v91
	s_delay_alu instid0(TRANS32_DEP_3) | instid1(VALU_DEP_1)
	v_fmac_f32_e32 v68, v95, v92
	s_waitcnt_depctr 0xfff
	v_fmac_f32_e32 v68, v82, v93
	s_delay_alu instid0(VALU_DEP_1) | instskip(NEXT) | instid1(VALU_DEP_1)
	v_fmac_f32_e32 v68, v89, v94
	v_add_f32_e32 v90, 0x358637bd, v68
	s_delay_alu instid0(VALU_DEP_1) | instskip(NEXT) | instid1(VALU_DEP_1)
	v_div_scale_f32 v91, null, v90, v90, 1.0
	v_rcp_f32_e32 v92, v91
	s_waitcnt_depctr 0xfff
	v_fma_f32 v93, -v91, v92, 1.0
	s_delay_alu instid0(VALU_DEP_1) | instskip(SKIP_1) | instid1(VALU_DEP_2)
	v_dual_fmac_f32 v92, v93, v92 :: v_dual_cndmask_b32 v93, v100, v99
	v_cmp_eq_u32_e32 vcc_lo, 3, v66
	v_cndmask_b32_e64 v93, v93, v101, s4
	v_cmp_eq_u32_e64 s4, 4, v66
	s_delay_alu instid0(VALU_DEP_2) | instskip(SKIP_1) | instid1(VALU_DEP_2)
	v_cndmask_b32_e32 v93, v93, v102, vcc_lo
	v_cmp_eq_u32_e32 vcc_lo, 5, v66
	v_cndmask_b32_e64 v93, v93, v97, s4
	v_cmp_eq_u32_e64 s4, 6, v66
	s_delay_alu instid0(VALU_DEP_2) | instskip(SKIP_1) | instid1(VALU_DEP_1)
	v_cndmask_b32_e32 v93, v93, v95, vcc_lo
	v_div_scale_f32 v94, s5, 1.0, v90, 1.0
	s_mov_b32 vcc_lo, s5
	s_delay_alu instid0(VALU_DEP_2) | instskip(NEXT) | instid1(VALU_DEP_2)
	v_cndmask_b32_e64 v82, v93, v82, s4
	v_mul_f32_e32 v96, v94, v92
	s_mov_b32 s4, exec_lo
	s_delay_alu instid0(VALU_DEP_2) | instskip(NEXT) | instid1(VALU_DEP_2)
	v_cndmask_b32_e64 v82, v82, v89, s6
	v_fma_f32 v98, -v91, v96, v94
	s_delay_alu instid0(VALU_DEP_1) | instskip(NEXT) | instid1(VALU_DEP_1)
	v_fmac_f32_e32 v96, v98, v92
	v_fma_f32 v91, -v91, v96, v94
	s_delay_alu instid0(VALU_DEP_1) | instskip(NEXT) | instid1(VALU_DEP_1)
	v_div_fmas_f32 v91, v91, v92, v96
	v_div_fixup_f32 v90, v91, v90, 1.0
	s_delay_alu instid0(VALU_DEP_1) | instskip(NEXT) | instid1(VALU_DEP_1)
	v_mul_f32_e32 v82, v82, v90
	v_mul_f32_e32 v87, v82, v87
	;; [unrolled: 1-line block ×7, first 2 shown]
	v_dual_mul_f32 v86, v82, v83 :: v_dual_and_b32 v91, 0x7f800000, v90
	v_mul_f32_e32 v85, v82, v76
                                        ; implicit-def: $vgpr76
	s_delay_alu instid0(VALU_DEP_2)
	v_cmpx_ne_u32_e32 0x7f800000, v91
	s_xor_b32 s4, exec_lo, s4
; %bb.13:
	v_bfe_u32 v76, v90, 16, 1
	s_delay_alu instid0(VALU_DEP_1)
	v_add3_u32 v76, v90, v76, 0x7fff
                                        ; implicit-def: $vgpr90
; %bb.14:
	s_and_not1_saveexec_b32 s4, s4
; %bb.15:
	v_and_b32_e32 v76, 0xffff, v90
	v_or_b32_e32 v83, 0x10000, v90
	s_delay_alu instid0(VALU_DEP_2) | instskip(NEXT) | instid1(VALU_DEP_2)
	v_cmp_eq_u32_e32 vcc_lo, 0, v76
	v_cndmask_b32_e32 v76, v83, v90, vcc_lo
; %bb.16:
	s_or_b32 exec_lo, exec_lo, s4
	v_and_b32_e32 v83, 0x7f800000, v85
	s_delay_alu instid0(VALU_DEP_1) | instskip(SKIP_1) | instid1(SALU_CYCLE_1)
	v_cmp_ne_u32_e32 vcc_lo, 0x7f800000, v83
                                        ; implicit-def: $vgpr83
	s_and_saveexec_b32 s4, vcc_lo
	s_xor_b32 s4, exec_lo, s4
; %bb.17:
	v_bfe_u32 v83, v85, 16, 1
	s_delay_alu instid0(VALU_DEP_1)
	v_add3_u32 v83, v85, v83, 0x7fff
                                        ; implicit-def: $vgpr85
; %bb.18:
	s_and_not1_saveexec_b32 s4, s4
; %bb.19:
	v_and_b32_e32 v83, 0xffff, v85
	v_or_b32_e32 v90, 0x10000, v85
	s_delay_alu instid0(VALU_DEP_2) | instskip(NEXT) | instid1(VALU_DEP_2)
	v_cmp_eq_u32_e32 vcc_lo, 0, v83
	v_cndmask_b32_e32 v83, v90, v85, vcc_lo
; %bb.20:
	s_or_b32 exec_lo, exec_lo, s4
	v_and_b32_e32 v85, 0x7f800000, v86
	s_delay_alu instid0(VALU_DEP_1) | instskip(SKIP_1) | instid1(SALU_CYCLE_1)
	v_cmp_ne_u32_e32 vcc_lo, 0x7f800000, v85
                                        ; implicit-def: $vgpr85
	s_and_saveexec_b32 s4, vcc_lo
	s_xor_b32 s4, exec_lo, s4
; %bb.21:
	v_bfe_u32 v85, v86, 16, 1
	s_delay_alu instid0(VALU_DEP_1)
	v_add3_u32 v85, v86, v85, 0x7fff
                                        ; implicit-def: $vgpr86
; %bb.22:
	s_and_not1_saveexec_b32 s4, s4
; %bb.23:
	v_and_b32_e32 v85, 0xffff, v86
	v_or_b32_e32 v90, 0x10000, v86
	s_delay_alu instid0(VALU_DEP_2) | instskip(NEXT) | instid1(VALU_DEP_2)
	v_cmp_eq_u32_e32 vcc_lo, 0, v85
	v_cndmask_b32_e32 v85, v90, v86, vcc_lo
; %bb.24:
	s_or_b32 exec_lo, exec_lo, s4
	v_and_b32_e32 v86, 0x7f800000, v89
	s_delay_alu instid0(VALU_DEP_1) | instskip(SKIP_1) | instid1(SALU_CYCLE_1)
	v_cmp_ne_u32_e32 vcc_lo, 0x7f800000, v86
                                        ; implicit-def: $vgpr86
	s_and_saveexec_b32 s4, vcc_lo
	s_xor_b32 s4, exec_lo, s4
; %bb.25:
	v_bfe_u32 v86, v89, 16, 1
	s_delay_alu instid0(VALU_DEP_1)
	v_add3_u32 v86, v89, v86, 0x7fff
                                        ; implicit-def: $vgpr89
; %bb.26:
	s_and_not1_saveexec_b32 s4, s4
; %bb.27:
	v_and_b32_e32 v86, 0xffff, v89
	v_or_b32_e32 v90, 0x10000, v89
	s_delay_alu instid0(VALU_DEP_2) | instskip(NEXT) | instid1(VALU_DEP_2)
	v_cmp_eq_u32_e32 vcc_lo, 0, v86
	v_cndmask_b32_e32 v86, v90, v89, vcc_lo
; %bb.28:
	s_or_b32 exec_lo, exec_lo, s4
	v_and_b32_e32 v89, 0x7f800000, v88
	s_delay_alu instid0(VALU_DEP_1) | instskip(SKIP_1) | instid1(SALU_CYCLE_1)
	v_cmp_ne_u32_e32 vcc_lo, 0x7f800000, v89
                                        ; implicit-def: $vgpr89
	s_and_saveexec_b32 s4, vcc_lo
	s_xor_b32 s4, exec_lo, s4
; %bb.29:
	v_bfe_u32 v89, v88, 16, 1
	s_delay_alu instid0(VALU_DEP_1)
	v_add3_u32 v89, v88, v89, 0x7fff
                                        ; implicit-def: $vgpr88
; %bb.30:
	s_and_not1_saveexec_b32 s4, s4
; %bb.31:
	v_and_b32_e32 v89, 0xffff, v88
	v_or_b32_e32 v90, 0x10000, v88
	s_delay_alu instid0(VALU_DEP_2) | instskip(NEXT) | instid1(VALU_DEP_2)
	v_cmp_eq_u32_e32 vcc_lo, 0, v89
	v_cndmask_b32_e32 v89, v90, v88, vcc_lo
; %bb.32:
	s_or_b32 exec_lo, exec_lo, s4
	v_and_b32_e32 v88, 0x7f800000, v87
	s_delay_alu instid0(VALU_DEP_1) | instskip(SKIP_1) | instid1(SALU_CYCLE_1)
	v_cmp_ne_u32_e32 vcc_lo, 0x7f800000, v88
                                        ; implicit-def: $vgpr88
	s_and_saveexec_b32 s4, vcc_lo
	s_xor_b32 s4, exec_lo, s4
; %bb.33:
	v_bfe_u32 v88, v87, 16, 1
	s_delay_alu instid0(VALU_DEP_1)
	v_add3_u32 v88, v87, v88, 0x7fff
                                        ; implicit-def: $vgpr87
; %bb.34:
	s_and_not1_saveexec_b32 s4, s4
; %bb.35:
	v_and_b32_e32 v88, 0xffff, v87
	v_or_b32_e32 v90, 0x10000, v87
	s_delay_alu instid0(VALU_DEP_2) | instskip(NEXT) | instid1(VALU_DEP_2)
	v_cmp_eq_u32_e32 vcc_lo, 0, v88
	v_cndmask_b32_e32 v88, v90, v87, vcc_lo
; %bb.36:
	s_or_b32 exec_lo, exec_lo, s4
	v_and_b32_e32 v87, 0x7f800000, v84
	s_delay_alu instid0(VALU_DEP_1) | instskip(SKIP_1) | instid1(SALU_CYCLE_1)
	v_cmp_ne_u32_e32 vcc_lo, 0x7f800000, v87
                                        ; implicit-def: $vgpr87
	s_and_saveexec_b32 s4, vcc_lo
	s_xor_b32 s4, exec_lo, s4
; %bb.37:
	v_bfe_u32 v87, v84, 16, 1
	s_delay_alu instid0(VALU_DEP_1)
	v_add3_u32 v87, v84, v87, 0x7fff
                                        ; implicit-def: $vgpr84
; %bb.38:
	s_and_not1_saveexec_b32 s4, s4
; %bb.39:
	v_and_b32_e32 v87, 0xffff, v84
	v_or_b32_e32 v90, 0x10000, v84
	s_delay_alu instid0(VALU_DEP_2) | instskip(NEXT) | instid1(VALU_DEP_2)
	v_cmp_eq_u32_e32 vcc_lo, 0, v87
	v_cndmask_b32_e32 v87, v90, v84, vcc_lo
; %bb.40:
	s_or_b32 exec_lo, exec_lo, s4
	v_and_b32_e32 v84, 0x7f800000, v80
	s_delay_alu instid0(VALU_DEP_1) | instskip(SKIP_1) | instid1(SALU_CYCLE_1)
	v_cmp_ne_u32_e32 vcc_lo, 0x7f800000, v84
                                        ; implicit-def: $vgpr84
	s_and_saveexec_b32 s4, vcc_lo
	s_xor_b32 s4, exec_lo, s4
; %bb.41:
	v_bfe_u32 v84, v80, 16, 1
	s_delay_alu instid0(VALU_DEP_1)
	v_add3_u32 v84, v80, v84, 0x7fff
                                        ; implicit-def: $vgpr80
; %bb.42:
	s_and_not1_saveexec_b32 s4, s4
; %bb.43:
	v_and_b32_e32 v84, 0xffff, v80
	v_or_b32_e32 v90, 0x10000, v80
	s_delay_alu instid0(VALU_DEP_2) | instskip(NEXT) | instid1(VALU_DEP_2)
	v_cmp_eq_u32_e32 vcc_lo, 0, v84
	v_cndmask_b32_e32 v84, v90, v80, vcc_lo
; %bb.44:
	s_or_b32 exec_lo, exec_lo, s4
	s_load_b64 s[36:37], s[0:1], 0x94
	v_lshlrev_b32_e32 v91, 4, v74
	s_delay_alu instid0(VALU_DEP_2)
	v_perm_b32 v90, v84, v87, 0x7060302
	v_dual_mul_f32 v79, v82, v79 :: v_dual_lshlrev_b32 v80, 6, v65
	v_dual_mul_f32 v77, v82, v77 :: v_dual_lshlrev_b32 v92, 11, v66
	v_mul_f32_e32 v84, v82, v70
	v_perm_b32 v89, v88, v89, 0x7060302
	v_perm_b32 v88, v86, v85, 0x7060302
	;; [unrolled: 1-line block ×3, first 2 shown]
	v_mul_f32_e32 v70, v82, v81
	v_or3_b32 v76, v91, v92, v80
	v_dual_mul_f32 v78, v82, v78 :: v_dual_and_b32 v85, 0x7f800000, v84
	v_mul_f32_e32 v83, v82, v72
	v_mul_f32_e32 v81, v82, v71
	;; [unrolled: 1-line block ×3, first 2 shown]
	s_mov_b32 s4, exec_lo
	ds_store_b128 v76, v[87:90]
                                        ; implicit-def: $vgpr69
	v_cmpx_ne_u32_e32 0x7f800000, v85
	s_xor_b32 s4, exec_lo, s4
; %bb.45:
	v_bfe_u32 v69, v84, 16, 1
	s_delay_alu instid0(VALU_DEP_1)
	v_add3_u32 v69, v84, v69, 0x7fff
                                        ; implicit-def: $vgpr84
; %bb.46:
	s_and_not1_saveexec_b32 s4, s4
; %bb.47:
	v_and_b32_e32 v69, 0xffff, v84
	v_or_b32_e32 v71, 0x10000, v84
	s_delay_alu instid0(VALU_DEP_2) | instskip(NEXT) | instid1(VALU_DEP_2)
	v_cmp_eq_u32_e32 vcc_lo, 0, v69
	v_cndmask_b32_e32 v69, v71, v84, vcc_lo
; %bb.48:
	s_or_b32 exec_lo, exec_lo, s4
	v_and_b32_e32 v71, 0x7f800000, v72
	s_delay_alu instid0(VALU_DEP_1) | instskip(SKIP_1) | instid1(SALU_CYCLE_1)
	v_cmp_ne_u32_e32 vcc_lo, 0x7f800000, v71
                                        ; implicit-def: $vgpr71
	s_and_saveexec_b32 s4, vcc_lo
	s_xor_b32 s4, exec_lo, s4
; %bb.49:
	v_bfe_u32 v71, v72, 16, 1
	s_delay_alu instid0(VALU_DEP_1)
	v_add3_u32 v71, v72, v71, 0x7fff
                                        ; implicit-def: $vgpr72
; %bb.50:
	s_and_not1_saveexec_b32 s4, s4
; %bb.51:
	v_and_b32_e32 v71, 0xffff, v72
	v_or_b32_e32 v82, 0x10000, v72
	s_delay_alu instid0(VALU_DEP_2) | instskip(NEXT) | instid1(VALU_DEP_2)
	v_cmp_eq_u32_e32 vcc_lo, 0, v71
	v_cndmask_b32_e32 v71, v82, v72, vcc_lo
; %bb.52:
	s_or_b32 exec_lo, exec_lo, s4
	v_and_b32_e32 v72, 0x7f800000, v81
	s_delay_alu instid0(VALU_DEP_1) | instskip(SKIP_1) | instid1(SALU_CYCLE_1)
	v_cmp_ne_u32_e32 vcc_lo, 0x7f800000, v72
                                        ; implicit-def: $vgpr72
	s_and_saveexec_b32 s4, vcc_lo
	s_xor_b32 s4, exec_lo, s4
; %bb.53:
	v_bfe_u32 v72, v81, 16, 1
	s_delay_alu instid0(VALU_DEP_1)
	v_add3_u32 v72, v81, v72, 0x7fff
                                        ; implicit-def: $vgpr81
; %bb.54:
	s_and_not1_saveexec_b32 s4, s4
; %bb.55:
	v_and_b32_e32 v72, 0xffff, v81
	v_or_b32_e32 v82, 0x10000, v81
	s_delay_alu instid0(VALU_DEP_2) | instskip(NEXT) | instid1(VALU_DEP_2)
	v_cmp_eq_u32_e32 vcc_lo, 0, v72
	v_cndmask_b32_e32 v72, v82, v81, vcc_lo
; %bb.56:
	s_or_b32 exec_lo, exec_lo, s4
	v_and_b32_e32 v81, 0x7f800000, v83
	s_delay_alu instid0(VALU_DEP_1) | instskip(SKIP_1) | instid1(SALU_CYCLE_1)
	v_cmp_ne_u32_e32 vcc_lo, 0x7f800000, v81
                                        ; implicit-def: $vgpr81
	s_and_saveexec_b32 s4, vcc_lo
	s_xor_b32 s4, exec_lo, s4
; %bb.57:
	v_bfe_u32 v81, v83, 16, 1
	s_delay_alu instid0(VALU_DEP_1)
	v_add3_u32 v81, v83, v81, 0x7fff
                                        ; implicit-def: $vgpr83
; %bb.58:
	s_and_not1_saveexec_b32 s4, s4
; %bb.59:
	v_and_b32_e32 v81, 0xffff, v83
	v_or_b32_e32 v82, 0x10000, v83
	s_delay_alu instid0(VALU_DEP_2) | instskip(NEXT) | instid1(VALU_DEP_2)
	v_cmp_eq_u32_e32 vcc_lo, 0, v81
	v_cndmask_b32_e32 v81, v82, v83, vcc_lo
; %bb.60:
	s_or_b32 exec_lo, exec_lo, s4
	v_and_b32_e32 v82, 0x7f800000, v77
	s_delay_alu instid0(VALU_DEP_1) | instskip(SKIP_1) | instid1(SALU_CYCLE_1)
	v_cmp_ne_u32_e32 vcc_lo, 0x7f800000, v82
                                        ; implicit-def: $vgpr82
	s_and_saveexec_b32 s4, vcc_lo
	s_xor_b32 s4, exec_lo, s4
; %bb.61:
	v_bfe_u32 v82, v77, 16, 1
	s_delay_alu instid0(VALU_DEP_1)
	v_add3_u32 v82, v77, v82, 0x7fff
                                        ; implicit-def: $vgpr77
; %bb.62:
	s_and_not1_saveexec_b32 s4, s4
; %bb.63:
	v_and_b32_e32 v82, 0xffff, v77
	v_or_b32_e32 v83, 0x10000, v77
	s_delay_alu instid0(VALU_DEP_2) | instskip(NEXT) | instid1(VALU_DEP_2)
	v_cmp_eq_u32_e32 vcc_lo, 0, v82
	v_cndmask_b32_e32 v82, v83, v77, vcc_lo
; %bb.64:
	s_or_b32 exec_lo, exec_lo, s4
	v_and_b32_e32 v77, 0x7f800000, v78
	s_delay_alu instid0(VALU_DEP_1) | instskip(SKIP_1) | instid1(SALU_CYCLE_1)
	v_cmp_ne_u32_e32 vcc_lo, 0x7f800000, v77
                                        ; implicit-def: $vgpr77
	s_and_saveexec_b32 s4, vcc_lo
	s_xor_b32 s4, exec_lo, s4
; %bb.65:
	v_bfe_u32 v77, v78, 16, 1
	s_delay_alu instid0(VALU_DEP_1)
	v_add3_u32 v77, v78, v77, 0x7fff
                                        ; implicit-def: $vgpr78
; %bb.66:
	s_and_not1_saveexec_b32 s4, s4
; %bb.67:
	v_and_b32_e32 v77, 0xffff, v78
	v_or_b32_e32 v83, 0x10000, v78
	s_delay_alu instid0(VALU_DEP_2) | instskip(NEXT) | instid1(VALU_DEP_2)
	v_cmp_eq_u32_e32 vcc_lo, 0, v77
	v_cndmask_b32_e32 v77, v83, v78, vcc_lo
; %bb.68:
	s_or_b32 exec_lo, exec_lo, s4
	v_and_b32_e32 v78, 0x7f800000, v79
	s_delay_alu instid0(VALU_DEP_1) | instskip(SKIP_1) | instid1(SALU_CYCLE_1)
	v_cmp_ne_u32_e32 vcc_lo, 0x7f800000, v78
                                        ; implicit-def: $vgpr78
	s_and_saveexec_b32 s4, vcc_lo
	s_xor_b32 s4, exec_lo, s4
; %bb.69:
	v_bfe_u32 v78, v79, 16, 1
	s_delay_alu instid0(VALU_DEP_1)
	v_add3_u32 v78, v79, v78, 0x7fff
                                        ; implicit-def: $vgpr79
; %bb.70:
	s_and_not1_saveexec_b32 s4, s4
; %bb.71:
	v_and_b32_e32 v78, 0xffff, v79
	v_or_b32_e32 v83, 0x10000, v79
	s_delay_alu instid0(VALU_DEP_2) | instskip(NEXT) | instid1(VALU_DEP_2)
	v_cmp_eq_u32_e32 vcc_lo, 0, v78
	v_cndmask_b32_e32 v78, v83, v79, vcc_lo
; %bb.72:
	s_or_b32 exec_lo, exec_lo, s4
	v_and_b32_e32 v79, 0x7f800000, v70
	s_delay_alu instid0(VALU_DEP_1) | instskip(SKIP_1) | instid1(SALU_CYCLE_1)
	v_cmp_ne_u32_e32 vcc_lo, 0x7f800000, v79
                                        ; implicit-def: $vgpr79
	s_and_saveexec_b32 s4, vcc_lo
	s_xor_b32 s4, exec_lo, s4
; %bb.73:
	v_bfe_u32 v79, v70, 16, 1
	s_delay_alu instid0(VALU_DEP_1)
	v_add3_u32 v79, v70, v79, 0x7fff
                                        ; implicit-def: $vgpr70
; %bb.74:
	s_and_not1_saveexec_b32 s4, s4
; %bb.75:
	v_and_b32_e32 v79, 0xffff, v70
	v_or_b32_e32 v83, 0x10000, v70
	s_delay_alu instid0(VALU_DEP_2) | instskip(NEXT) | instid1(VALU_DEP_2)
	v_cmp_eq_u32_e32 vcc_lo, 0, v79
	v_cndmask_b32_e32 v79, v83, v70, vcc_lo
; %bb.76:
	s_or_b32 exec_lo, exec_lo, s4
	s_delay_alu instid0(VALU_DEP_1)
	v_perm_b32 v86, v79, v78, 0x7060302
	v_perm_b32 v85, v77, v82, 0x7060302
	;; [unrolled: 1-line block ×4, first 2 shown]
	v_lshl_or_b32 v82, v66, 11, v80
	ds_store_b128 v76, v[83:86] offset:1024
	s_waitcnt lgkmcnt(0)
	s_barrier
	buffer_gl0_inv
	ds_load_b128 v[69:72], v82
	ds_load_b128 v[83:86], v82 offset:16
	s_waitcnt lgkmcnt(1)
	v_lshrrev_b32_e32 v66, 16, v69
	s_waitcnt lgkmcnt(0)
	v_lshrrev_b32_e32 v91, 16, v83
	v_lshlrev_b32_e32 v78, 2, v74
	v_lshrrev_b32_e32 v95, 16, v70
	v_lshrrev_b32_e32 v98, 16, v84
	v_lshrrev_b32_e32 v96, 16, v71
	v_lshrrev_b32_e32 v99, 16, v85
	v_cmp_eq_u32_e32 vcc_lo, 1, v78
	v_lshrrev_b32_e32 v97, 16, v72
	v_lshrrev_b32_e32 v100, 16, v86
	v_cndmask_b32_e32 v87, v83, v91, vcc_lo
	v_or_b32_e32 v79, 1, v78
	v_cndmask_b32_e32 v81, v69, v66, vcc_lo
	v_cmp_eq_u32_e64 s5, 2, v78
	v_cmp_eq_u32_e64 s8, 3, v78
	;; [unrolled: 1-line block ×5, first 2 shown]
	v_cndmask_b32_e64 v81, v81, v70, s5
	v_cndmask_b32_e64 v87, v87, v84, s5
	v_cmp_eq_u32_e64 s9, 3, v79
	v_cndmask_b32_e64 v88, v69, v66, s4
	v_or_b32_e32 v77, 2, v78
	v_cndmask_b32_e64 v81, v81, v95, s8
	v_cndmask_b32_e64 v87, v87, v98, s8
	;; [unrolled: 1-line block ×4, first 2 shown]
	v_cmp_eq_u32_e64 s11, 5, v78
	v_cndmask_b32_e64 v81, v81, v71, s10
	v_cndmask_b32_e64 v87, v87, v85, s10
	v_cmp_eq_u32_e64 s12, 4, v79
	v_cndmask_b32_e64 v88, v88, v95, s9
	v_cmp_eq_u32_e64 s6, 1, v77
	v_cndmask_b32_e64 v89, v89, v84, s7
	v_cndmask_b32_e64 v81, v81, v96, s11
	v_cmp_eq_u32_e64 s13, 6, v78
	v_cndmask_b32_e64 v88, v88, v71, s12
	v_cndmask_b32_e64 v87, v87, v99, s11
	v_cmp_eq_u32_e64 s15, 5, v79
	v_cndmask_b32_e64 v90, v69, v66, s6
	v_cndmask_b32_e64 v89, v89, v98, s9
	v_cndmask_b32_e64 v81, v81, v72, s13
	v_cmp_eq_u32_e64 s16, 7, v78
	v_cndmask_b32_e64 v88, v88, v96, s15
	v_cndmask_b32_e64 v87, v87, v86, s13
	v_cmp_eq_u32_e64 s17, 6, v79
	v_cmp_eq_u32_e64 s18, 2, v77
	v_cndmask_b32_e64 v89, v89, v85, s12
	v_cndmask_b32_e64 v101, v81, v97, s16
	;; [unrolled: 1-line block ×6, first 2 shown]
	v_cmp_eq_u32_e64 s19, 7, v79
	v_cmp_eq_u32_e64 s20, 3, v77
	;; [unrolled: 1-line block ×4, first 2 shown]
	v_cndmask_b32_e64 v87, v87, v84, s18
	v_cndmask_b32_e64 v103, v88, v97, s19
	;; [unrolled: 1-line block ×4, first 2 shown]
	v_or_b32_e32 v81, 3, v78
	v_cndmask_b32_e64 v93, v87, v98, s20
	v_cmp_eq_u32_e64 s25, 6, v77
	v_cndmask_b32_e64 v104, v88, v86, s17
	v_cndmask_b32_e64 v92, v89, v71, s21
	v_cmp_eq_u32_e64 s22, 1, v81
	ds_load_b128 v[87:90], v82 offset:1024
	v_cmp_eq_u32_e64 s24, 2, v81
	v_cmp_eq_u32_e64 s26, 3, v81
	v_cndmask_b32_e64 v105, v92, v96, s23
	v_cndmask_b32_e64 v66, v69, v66, s22
	;; [unrolled: 1-line block ×4, first 2 shown]
	ds_load_b128 v[91:94], v82 offset:1040
	v_cmp_eq_u32_e64 s27, 4, v81
	v_cndmask_b32_e64 v66, v66, v70, s24
	v_cmp_eq_u32_e64 s28, 7, v77
	v_cndmask_b32_e64 v70, v83, v84, s24
	v_cndmask_b32_e64 v84, v105, v72, s25
	v_cmp_eq_u32_e64 s29, 5, v81
	v_cndmask_b32_e64 v66, v66, v95, s26
	v_cmp_eq_u32_e64 s30, 6, v81
	v_cndmask_b32_e64 v70, v70, v98, s26
	v_cndmask_b32_e64 v69, v69, v99, s23
	;; [unrolled: 1-line block ×4, first 2 shown]
	s_waitcnt lgkmcnt(1)
	v_lshrrev_b32_e32 v95, 16, v87
	v_cndmask_b32_e64 v70, v70, v85, s27
	v_cndmask_b32_e64 v71, v84, v97, s28
	;; [unrolled: 1-line block ×4, first 2 shown]
	v_cndmask_b32_e32 v84, v87, v95, vcc_lo
	v_cndmask_b32_e64 v70, v70, v99, s29
	s_waitcnt lgkmcnt(0)
	v_lshrrev_b32_e32 v85, 16, v91
	v_lshrrev_b32_e32 v96, 16, v88
	v_cndmask_b32_e64 v98, v87, v95, s4
	v_cndmask_b32_e64 v84, v84, v88, s5
	;; [unrolled: 1-line block ×3, first 2 shown]
	v_cndmask_b32_e32 v99, v91, v85, vcc_lo
	v_cmp_eq_u32_e32 vcc_lo, 7, v81
	v_cndmask_b32_e64 v66, v66, v72, s30
	v_cndmask_b32_e64 v72, v84, v96, s8
	;; [unrolled: 1-line block ×3, first 2 shown]
	v_lshrrev_b32_e32 v98, 16, v92
	v_cndmask_b32_e32 v70, v70, v100, vcc_lo
	v_cndmask_b32_e64 v86, v99, v92, s5
	v_cndmask_b32_e64 v69, v69, v100, s28
	v_lshrrev_b32_e32 v100, 16, v93
	v_cndmask_b32_e64 v72, v72, v89, s10
	v_lshrrev_b32_e32 v99, 16, v89
	v_cndmask_b32_e64 v86, v86, v98, s8
	v_perm_b32 v71, v69, v71, 0x5040100
	v_cndmask_b32_e64 v84, v84, v96, s9
	s_delay_alu instid0(VALU_DEP_3) | instskip(NEXT) | instid1(VALU_DEP_2)
	v_cndmask_b32_e64 v86, v86, v93, s10
	v_cndmask_b32_e64 v84, v84, v89, s12
	s_delay_alu instid0(VALU_DEP_2) | instskip(NEXT) | instid1(VALU_DEP_1)
	v_cndmask_b32_e64 v86, v86, v100, s11
	v_cndmask_b32_e64 v69, v86, v94, s13
	;; [unrolled: 1-line block ×5, first 2 shown]
	s_delay_alu instid0(VALU_DEP_3) | instskip(NEXT) | instid1(VALU_DEP_3)
	v_cndmask_b32_e64 v86, v86, v88, s18
	v_cndmask_b32_e64 v87, v87, v88, s24
	s_delay_alu instid0(VALU_DEP_3) | instskip(NEXT) | instid1(VALU_DEP_3)
	v_cndmask_b32_e64 v88, v95, v92, s24
	v_cndmask_b32_e64 v86, v86, v96, s20
	;; [unrolled: 3-line block ×7, first 2 shown]
	s_delay_alu instid0(VALU_DEP_3) | instskip(SKIP_2) | instid1(VALU_DEP_2)
	v_cndmask_b32_e64 v88, v88, v94, s30
	v_cndmask_b32_e32 v66, v66, v97, vcc_lo
	v_cndmask_b32_e64 v97, v72, v99, s11
	v_perm_b32 v72, v70, v66, 0x5040100
	v_perm_b32 v70, v83, v103, 0x5040100
	v_cndmask_b32_e64 v103, v91, v85, s6
	v_cndmask_b32_e64 v85, v91, v85, s4
	;; [unrolled: 1-line block ×4, first 2 shown]
	v_lshrrev_b32_e32 v97, 16, v90
	v_cndmask_b32_e64 v91, v103, v92, s18
	v_cndmask_b32_e64 v85, v85, v92, s7
	;; [unrolled: 1-line block ×3, first 2 shown]
	s_mov_b32 s4, exec_lo
	v_cndmask_b32_e64 v83, v84, v97, s16
	v_cndmask_b32_e64 v91, v91, v98, s20
	;; [unrolled: 1-line block ×3, first 2 shown]
	v_lshrrev_b32_e32 v84, 16, v94
	v_cndmask_b32_e64 v66, v66, v97, s19
	v_cndmask_b32_e64 v90, v86, v97, s28
	;; [unrolled: 1-line block ×4, first 2 shown]
	v_dual_cndmask_b32 v86, v87, v97 :: v_dual_cndmask_b32 v87, v88, v84
	v_cndmask_b32_e64 v91, v69, v84, s16
	s_delay_alu instid0(VALU_DEP_4) | instskip(NEXT) | instid1(VALU_DEP_4)
	v_cndmask_b32_e64 v89, v89, v100, s23
	v_cndmask_b32_e64 v85, v85, v100, s15
	v_perm_b32 v69, v102, v101, 0x5040100
	v_perm_b32 v86, v87, v86, 0x5040100
	;; [unrolled: 1-line block ×3, first 2 shown]
	v_cndmask_b32_e64 v89, v89, v94, s25
	v_cndmask_b32_e64 v85, v85, v94, s17
	s_mul_i32 s9, s37, 13
	s_delay_alu instid0(VALU_DEP_2) | instskip(NEXT) | instid1(VALU_DEP_2)
	v_cndmask_b32_e64 v88, v89, v84, s28
	v_cndmask_b32_e64 v89, v85, v84, s19
	s_delay_alu instid0(VALU_DEP_2) | instskip(NEXT) | instid1(VALU_DEP_2)
	v_perm_b32 v85, v88, v90, 0x5040100
	v_perm_b32 v84, v89, v66, 0x5040100
	ds_store_b128 v76, v[69:72]
	ds_store_b128 v76, v[83:86] offset:1024
	v_cmpx_gt_u32_e32 13, v0
	s_cbranch_execz .LBB1438_78
; %bb.77:
	s_mul_i32 s5, s9, s34
	s_load_b128 s[16:19], s[0:1], 0x58
	v_add3_u32 v69, s5, s31, v65
	s_delay_alu instid0(VALU_DEP_1) | instskip(NEXT) | instid1(VALU_DEP_1)
	v_mad_u64_u32 v[65:66], null, v69, s36, s[14:15]
	v_ashrrev_i32_e32 v66, 31, v65
	s_delay_alu instid0(VALU_DEP_1) | instskip(SKIP_1) | instid1(VALU_DEP_1)
	v_lshlrev_b64 v[65:66], 2, v[65:66]
	s_waitcnt lgkmcnt(0)
	v_add_co_u32 v69, vcc_lo, s18, v65
	s_delay_alu instid0(VALU_DEP_2)
	v_add_co_ci_u32_e32 v70, vcc_lo, s19, v66, vcc_lo
	v_add_co_u32 v65, vcc_lo, s16, v65
	v_add_co_ci_u32_e32 v66, vcc_lo, s17, v66, vcc_lo
	global_store_b32 v[69:70], v67, off
	global_store_b32 v[65:66], v68, off
.LBB1438_78:
	s_or_b32 exec_lo, exec_lo, s4
	s_waitcnt lgkmcnt(0)
	s_waitcnt_vscnt null, 0x0
	s_barrier
	buffer_gl0_inv
	ds_load_b128 v[83:86], v80
	ds_load_b128 v[87:90], v80 offset:16
	ds_load_b128 v[95:98], v80 offset:2064
	;; [unrolled: 1-line block ×3, first 2 shown]
	v_mov_b32_e32 v65, 0
	ds_load_b128 v[103:106], v80 offset:4112
	ds_load_b128 v[99:102], v80 offset:4096
	;; [unrolled: 1-line block ×4, first 2 shown]
	v_mov_b32_e32 v66, v65
	v_mov_b32_e32 v67, v65
	;; [unrolled: 1-line block ×7, first 2 shown]
	s_waitcnt lgkmcnt(6)
	s_delay_alu instid0(VALU_DEP_1)
	v_wmma_f32_16x16x16_bf16 v[65:72], v[57:64], v[83:90], v[65:72]
	ds_load_b128 v[61:64], v80 offset:8208
	ds_load_b128 v[57:60], v80 offset:8192
	s_waitcnt lgkmcnt(6)
	v_wmma_f32_16x16x16_bf16 v[65:72], v[41:48], v[91:98], v[65:72]
	ds_load_b128 v[45:48], v80 offset:10256
	ds_load_b128 v[41:44], v80 offset:10240
	s_waitcnt lgkmcnt(6)
	;; [unrolled: 4-line block ×4, first 2 shown]
	v_wmma_f32_16x16x16_bf16 v[65:72], v[1:8], v[57:64], v[65:72]
	s_waitcnt lgkmcnt(4)
	s_delay_alu instid0(VALU_DEP_1) | instskip(SKIP_1) | instid1(VALU_DEP_1)
	v_wmma_f32_16x16x16_bf16 v[65:72], v[9:16], v[41:48], v[65:72]
	s_waitcnt lgkmcnt(2)
	v_wmma_f32_16x16x16_bf16 v[65:72], v[17:24], v[33:40], v[65:72]
	s_waitcnt lgkmcnt(0)
	s_delay_alu instid0(VALU_DEP_1) | instskip(NEXT) | instid1(VALU_DEP_1)
	v_wmma_f32_16x16x16_bf16 v[65:72], v[49:56], v[25:32], v[65:72]
	v_and_b32_e32 v1, 0x7f800000, v65
	s_delay_alu instid0(VALU_DEP_1) | instskip(SKIP_1) | instid1(SALU_CYCLE_1)
	v_cmp_ne_u32_e32 vcc_lo, 0x7f800000, v1
                                        ; implicit-def: $vgpr1
	s_and_saveexec_b32 s4, vcc_lo
	s_xor_b32 s4, exec_lo, s4
; %bb.79:
	v_bfe_u32 v1, v65, 16, 1
	s_delay_alu instid0(VALU_DEP_1)
	v_add3_u32 v1, v65, v1, 0x7fff
; %bb.80:
	s_and_not1_saveexec_b32 s4, s4
; %bb.81:
	v_and_b32_e32 v1, 0xffff, v65
	v_or_b32_e32 v2, 0x10000, v65
	s_delay_alu instid0(VALU_DEP_2) | instskip(NEXT) | instid1(VALU_DEP_2)
	v_cmp_eq_u32_e32 vcc_lo, 0, v1
	v_cndmask_b32_e32 v1, v2, v65, vcc_lo
; %bb.82:
	s_or_b32 exec_lo, exec_lo, s4
	v_and_b32_e32 v2, 0x7f800000, v66
	s_delay_alu instid0(VALU_DEP_1) | instskip(SKIP_1) | instid1(SALU_CYCLE_1)
	v_cmp_ne_u32_e32 vcc_lo, 0x7f800000, v2
                                        ; implicit-def: $vgpr2
	s_and_saveexec_b32 s4, vcc_lo
	s_xor_b32 s4, exec_lo, s4
; %bb.83:
	v_bfe_u32 v2, v66, 16, 1
	s_delay_alu instid0(VALU_DEP_1)
	v_add3_u32 v2, v66, v2, 0x7fff
; %bb.84:
	s_and_not1_saveexec_b32 s4, s4
; %bb.85:
	v_and_b32_e32 v2, 0xffff, v66
	v_or_b32_e32 v3, 0x10000, v66
	s_delay_alu instid0(VALU_DEP_2) | instskip(NEXT) | instid1(VALU_DEP_2)
	v_cmp_eq_u32_e32 vcc_lo, 0, v2
	v_cndmask_b32_e32 v2, v3, v66, vcc_lo
; %bb.86:
	s_or_b32 exec_lo, exec_lo, s4
	v_and_b32_e32 v3, 0x7f800000, v67
	s_delay_alu instid0(VALU_DEP_1) | instskip(SKIP_1) | instid1(SALU_CYCLE_1)
	v_cmp_ne_u32_e32 vcc_lo, 0x7f800000, v3
                                        ; implicit-def: $vgpr3
	s_and_saveexec_b32 s4, vcc_lo
	s_xor_b32 s4, exec_lo, s4
; %bb.87:
	v_bfe_u32 v3, v67, 16, 1
	s_delay_alu instid0(VALU_DEP_1)
	v_add3_u32 v3, v67, v3, 0x7fff
; %bb.88:
	s_and_not1_saveexec_b32 s4, s4
; %bb.89:
	v_and_b32_e32 v3, 0xffff, v67
	v_or_b32_e32 v4, 0x10000, v67
	s_delay_alu instid0(VALU_DEP_2) | instskip(NEXT) | instid1(VALU_DEP_2)
	v_cmp_eq_u32_e32 vcc_lo, 0, v3
	v_cndmask_b32_e32 v3, v4, v67, vcc_lo
; %bb.90:
	s_or_b32 exec_lo, exec_lo, s4
	v_and_b32_e32 v4, 0x7f800000, v68
	s_delay_alu instid0(VALU_DEP_1) | instskip(SKIP_1) | instid1(SALU_CYCLE_1)
	v_cmp_ne_u32_e32 vcc_lo, 0x7f800000, v4
                                        ; implicit-def: $vgpr4
	s_and_saveexec_b32 s4, vcc_lo
	s_xor_b32 s4, exec_lo, s4
; %bb.91:
	v_bfe_u32 v4, v68, 16, 1
	s_delay_alu instid0(VALU_DEP_1)
	v_add3_u32 v4, v68, v4, 0x7fff
; %bb.92:
	s_and_not1_saveexec_b32 s4, s4
; %bb.93:
	v_and_b32_e32 v4, 0xffff, v68
	v_or_b32_e32 v5, 0x10000, v68
	s_delay_alu instid0(VALU_DEP_2) | instskip(NEXT) | instid1(VALU_DEP_2)
	v_cmp_eq_u32_e32 vcc_lo, 0, v4
	v_cndmask_b32_e32 v4, v5, v68, vcc_lo
; %bb.94:
	s_or_b32 exec_lo, exec_lo, s4
	v_and_b32_e32 v5, 0x7f800000, v69
	s_delay_alu instid0(VALU_DEP_1) | instskip(SKIP_1) | instid1(SALU_CYCLE_1)
	v_cmp_ne_u32_e32 vcc_lo, 0x7f800000, v5
                                        ; implicit-def: $vgpr5
	s_and_saveexec_b32 s4, vcc_lo
	s_xor_b32 s4, exec_lo, s4
; %bb.95:
	v_bfe_u32 v5, v69, 16, 1
	s_delay_alu instid0(VALU_DEP_1)
	v_add3_u32 v5, v69, v5, 0x7fff
; %bb.96:
	s_and_not1_saveexec_b32 s4, s4
; %bb.97:
	v_and_b32_e32 v5, 0xffff, v69
	v_or_b32_e32 v6, 0x10000, v69
	s_delay_alu instid0(VALU_DEP_2) | instskip(NEXT) | instid1(VALU_DEP_2)
	v_cmp_eq_u32_e32 vcc_lo, 0, v5
	v_cndmask_b32_e32 v5, v6, v69, vcc_lo
; %bb.98:
	s_or_b32 exec_lo, exec_lo, s4
	v_and_b32_e32 v6, 0x7f800000, v70
	s_delay_alu instid0(VALU_DEP_1) | instskip(SKIP_1) | instid1(SALU_CYCLE_1)
	v_cmp_ne_u32_e32 vcc_lo, 0x7f800000, v6
                                        ; implicit-def: $vgpr6
	s_and_saveexec_b32 s4, vcc_lo
	s_xor_b32 s4, exec_lo, s4
; %bb.99:
	v_bfe_u32 v6, v70, 16, 1
	s_delay_alu instid0(VALU_DEP_1)
	v_add3_u32 v6, v70, v6, 0x7fff
; %bb.100:
	s_and_not1_saveexec_b32 s4, s4
; %bb.101:
	v_and_b32_e32 v6, 0xffff, v70
	v_or_b32_e32 v7, 0x10000, v70
	s_delay_alu instid0(VALU_DEP_2) | instskip(NEXT) | instid1(VALU_DEP_2)
	v_cmp_eq_u32_e32 vcc_lo, 0, v6
	v_cndmask_b32_e32 v6, v7, v70, vcc_lo
; %bb.102:
	s_or_b32 exec_lo, exec_lo, s4
	v_and_b32_e32 v7, 0x7f800000, v71
	s_delay_alu instid0(VALU_DEP_1) | instskip(SKIP_1) | instid1(SALU_CYCLE_1)
	v_cmp_ne_u32_e32 vcc_lo, 0x7f800000, v7
                                        ; implicit-def: $vgpr7
	s_and_saveexec_b32 s4, vcc_lo
	s_xor_b32 s4, exec_lo, s4
; %bb.103:
	v_bfe_u32 v7, v71, 16, 1
	s_delay_alu instid0(VALU_DEP_1)
	v_add3_u32 v7, v71, v7, 0x7fff
; %bb.104:
	s_and_not1_saveexec_b32 s4, s4
; %bb.105:
	v_and_b32_e32 v7, 0xffff, v71
	v_or_b32_e32 v8, 0x10000, v71
	s_delay_alu instid0(VALU_DEP_2) | instskip(NEXT) | instid1(VALU_DEP_2)
	v_cmp_eq_u32_e32 vcc_lo, 0, v7
	v_cndmask_b32_e32 v7, v8, v71, vcc_lo
; %bb.106:
	s_or_b32 exec_lo, exec_lo, s4
	v_and_b32_e32 v8, 0x7f800000, v72
	s_delay_alu instid0(VALU_DEP_1) | instskip(SKIP_1) | instid1(SALU_CYCLE_1)
	v_cmp_ne_u32_e32 vcc_lo, 0x7f800000, v8
                                        ; implicit-def: $vgpr8
	s_and_saveexec_b32 s4, vcc_lo
	s_xor_b32 s4, exec_lo, s4
; %bb.107:
	v_bfe_u32 v8, v72, 16, 1
	s_delay_alu instid0(VALU_DEP_1)
	v_add3_u32 v8, v72, v8, 0x7fff
                                        ; implicit-def: $vgpr65_vgpr66_vgpr67_vgpr68_vgpr69_vgpr70_vgpr71_vgpr72
; %bb.108:
	s_and_not1_saveexec_b32 s4, s4
; %bb.109:
	v_and_b32_e32 v8, 0xffff, v72
	v_or_b32_e32 v9, 0x10000, v72
	s_delay_alu instid0(VALU_DEP_2) | instskip(NEXT) | instid1(VALU_DEP_2)
	v_cmp_eq_u32_e32 vcc_lo, 0, v8
	v_cndmask_b32_e32 v8, v9, v72, vcc_lo
; %bb.110:
	s_or_b32 exec_lo, exec_lo, s4
	s_delay_alu instid0(VALU_DEP_1)
	v_perm_b32 v7, v8, v7, 0x7060302
	v_perm_b32 v6, v6, v5, 0x7060302
	;; [unrolled: 1-line block ×4, first 2 shown]
	s_barrier
	buffer_gl0_inv
	v_cmp_eq_u32_e32 vcc_lo, 1, v78
	ds_store_b128 v76, v[4:7]
	s_waitcnt lgkmcnt(0)
	s_barrier
	buffer_gl0_inv
	ds_load_b128 v[1:4], v82
	ds_load_b128 v[5:8], v82 offset:16
	v_cmp_eq_u32_e64 s4, 1, v79
	v_cmp_eq_u32_e64 s5, 2, v78
	;; [unrolled: 1-line block ×5, first 2 shown]
	s_waitcnt lgkmcnt(1)
	v_lshrrev_b32_e32 v9, 16, v1
	s_waitcnt lgkmcnt(0)
	v_lshrrev_b32_e32 v13, 16, v5
	v_lshrrev_b32_e32 v10, 16, v2
	;; [unrolled: 1-line block ×4, first 2 shown]
	v_cndmask_b32_e64 v19, v1, v9, s4
	v_cndmask_b32_e32 v18, v5, v13, vcc_lo
	v_cndmask_b32_e64 v20, v5, v13, s4
	v_cndmask_b32_e32 v17, v1, v9, vcc_lo
	v_cmp_eq_u32_e32 vcc_lo, 2, v79
	v_lshrrev_b32_e32 v15, 16, v7
	v_cmp_eq_u32_e64 s4, 1, v77
	v_lshrrev_b32_e32 v12, 16, v4
	v_lshrrev_b32_e32 v16, 16, v8
	v_cndmask_b32_e32 v20, v20, v6, vcc_lo
	v_cndmask_b32_e64 v17, v17, v2, s5
	v_cndmask_b32_e32 v19, v19, v2, vcc_lo
	v_cndmask_b32_e64 v18, v18, v6, s5
	v_cmp_eq_u32_e32 vcc_lo, 4, v78
	v_cmp_eq_u32_e64 s5, 3, v79
	v_cndmask_b32_e64 v17, v17, v10, s6
	v_cndmask_b32_e64 v21, v1, v9, s4
	;; [unrolled: 1-line block ×5, first 2 shown]
	v_cndmask_b32_e32 v17, v17, v3, vcc_lo
	v_cndmask_b32_e64 v20, v20, v14, s5
	v_cndmask_b32_e32 v18, v18, v7, vcc_lo
	v_cmp_eq_u32_e32 vcc_lo, 4, v79
	v_cmp_eq_u32_e64 s5, 5, v79
	v_cmp_eq_u32_e64 s4, 2, v81
	v_cndmask_b32_e64 v21, v21, v2, s8
	v_cmp_eq_u32_e64 s6, 5, v78
	v_cndmask_b32_e32 v19, v19, v3, vcc_lo
	v_cndmask_b32_e32 v20, v20, v7, vcc_lo
	v_cmp_eq_u32_e32 vcc_lo, 6, v79
	s_delay_alu instid0(VALU_DEP_4) | instskip(NEXT) | instid1(VALU_DEP_4)
	v_cndmask_b32_e64 v17, v17, v11, s6
	v_cndmask_b32_e64 v19, v19, v11, s5
	s_delay_alu instid0(VALU_DEP_4) | instskip(SKIP_1) | instid1(VALU_DEP_3)
	v_cndmask_b32_e64 v20, v20, v15, s5
	v_cmp_eq_u32_e64 s5, 1, v81
	v_cndmask_b32_e32 v19, v19, v4, vcc_lo
	v_cndmask_b32_e64 v18, v18, v15, s6
	s_delay_alu instid0(VALU_DEP_3)
	v_cndmask_b32_e64 v1, v1, v9, s5
	v_cndmask_b32_e64 v5, v5, v13, s5
	v_cmp_eq_u32_e64 s5, 3, v77
	v_cndmask_b32_e64 v13, v22, v6, s8
	v_cmp_eq_u32_e64 s8, 3, v81
	v_cndmask_b32_e64 v1, v1, v2, s4
	v_cndmask_b32_e64 v2, v5, v6, s4
	;; [unrolled: 1-line block ×3, first 2 shown]
	v_cmp_eq_u32_e64 s4, 4, v77
	v_cndmask_b32_e64 v6, v13, v14, s5
	v_cndmask_b32_e64 v1, v1, v10, s8
	v_cmp_eq_u32_e64 s5, 4, v81
	v_cndmask_b32_e64 v2, v2, v14, s8
	v_cndmask_b32_e64 v5, v9, v3, s4
	;; [unrolled: 3-line block ×3, first 2 shown]
	v_cndmask_b32_e64 v2, v2, v7, s5
	v_cmp_eq_u32_e64 s4, 5, v81
	v_cmp_eq_u32_e64 s6, 6, v78
	v_cndmask_b32_e64 v5, v5, v11, s8
	v_cmp_eq_u32_e64 s5, 6, v77
	v_cndmask_b32_e64 v3, v6, v15, s8
	v_cndmask_b32_e64 v1, v1, v11, s4
	v_cmp_eq_u32_e64 s8, 6, v81
	v_cndmask_b32_e64 v2, v2, v15, s4
	v_cndmask_b32_e64 v17, v17, v4, s6
	v_cndmask_b32_e64 v18, v18, v8, s6
	v_cmp_eq_u32_e64 s6, 7, v78
	v_cndmask_b32_e64 v5, v5, v4, s5
	;; [unrolled: 4-line block ×3, first 2 shown]
	v_cmp_eq_u32_e64 s5, 7, v77
	v_cndmask_b32_e32 v4, v20, v8, vcc_lo
	v_cndmask_b32_e64 v17, v17, v12, s6
	v_cndmask_b32_e64 v19, v19, v12, s7
	;; [unrolled: 1-line block ×8, first 2 shown]
	v_cmp_gt_u32_e32 vcc_lo, 32, v0
	v_perm_b32 v4, v2, v1, 0x5040100
	v_perm_b32 v3, v3, v5, 0x5040100
	;; [unrolled: 1-line block ×4, first 2 shown]
	s_and_b32 s2, vcc_lo, s2
	ds_store_b128 v76, v[1:4]
	s_waitcnt lgkmcnt(0)
	s_barrier
	buffer_gl0_inv
	s_and_saveexec_b32 s4, s2
	s_cbranch_execz .LBB1438_2
; %bb.111:
	s_load_b64 s[4:5], s[0:1], 0x68
	v_lshlrev_b32_e32 v0, 10, v0
	v_lshlrev_b32_e32 v1, 4, v75
	s_lshl_b32 s0, s36, 6
	v_add_nc_u32_e32 v18, s31, v74
	s_mul_i32 s1, s0, s34
	s_delay_alu instid0(VALU_DEP_2) | instskip(SKIP_1) | instid1(VALU_DEP_2)
	v_and_or_b32 v0, 0x3800, v0, v1
	s_mul_i32 s6, s1, s9
	v_mul_lo_u32 v1, v18, s0
	s_ashr_i32 s7, s6, 31
	v_add_nc_u32_e32 v2, 2, v18
	v_lshl_or_b32 v19, v74, 6, v0
	s_lshl_b64 s[6:7], s[6:7], 1
	v_add_nc_u32_e32 v8, 4, v18
	v_add_nc_u32_e32 v15, 6, v18
	v_mul_lo_u32 v7, v2, s0
	ds_load_b128 v[3:6], v19
	v_ashrrev_i32_e32 v2, 31, v1
	v_mul_lo_u32 v11, v8, s0
	s_waitcnt lgkmcnt(0)
	s_add_u32 s1, s4, s6
	s_addc_u32 s2, s5, s7
	s_lshl_b32 s4, s14, 6
	v_lshlrev_b64 v[9:10], 1, v[1:2]
	s_ashr_i32 s5, s4, 31
	v_ashrrev_i32_e32 v8, 31, v7
	s_lshl_b64 s[4:5], s[4:5], 1
	v_ashrrev_i32_e32 v12, 31, v11
	s_add_u32 s1, s1, s4
	s_addc_u32 s2, s2, s5
	v_add_co_u32 v1, s1, s1, v73
	s_delay_alu instid0(VALU_DEP_1) | instskip(SKIP_1) | instid1(VALU_DEP_3)
	v_add_co_ci_u32_e64 v2, null, s2, 0, s1
	v_mul_lo_u32 v15, v15, s0
	v_add_co_u32 v13, vcc_lo, v1, v9
	s_delay_alu instid0(VALU_DEP_3)
	v_add_co_ci_u32_e32 v14, vcc_lo, v2, v10, vcc_lo
	v_lshlrev_b64 v[16:17], 1, v[7:8]
	ds_load_b128 v[7:10], v19 offset:128
	global_store_b128 v[13:14], v[3:6], off
	v_add_nc_u32_e32 v5, 8, v18
	v_lshlrev_b64 v[3:4], 1, v[11:12]
	v_add_co_u32 v23, vcc_lo, v1, v16
	v_ashrrev_i32_e32 v16, 31, v15
	s_delay_alu instid0(VALU_DEP_4) | instskip(SKIP_3) | instid1(VALU_DEP_3)
	v_mul_lo_u32 v25, v5, s0
	v_add_nc_u32_e32 v5, 10, v18
	v_add_co_ci_u32_e32 v24, vcc_lo, v2, v17, vcc_lo
	v_add_co_u32 v27, vcc_lo, v1, v3
	v_mul_lo_u32 v29, v5, s0
	v_add_co_ci_u32_e32 v28, vcc_lo, v2, v4, vcc_lo
	v_lshlrev_b64 v[31:32], 1, v[15:16]
	ds_load_b128 v[3:6], v19 offset:256
	ds_load_b128 v[11:14], v19 offset:384
	ds_load_b128 v[15:18], v19 offset:512
	ds_load_b128 v[19:22], v19 offset:640
	v_ashrrev_i32_e32 v26, 31, v25
	v_ashrrev_i32_e32 v30, 31, v29
	v_add_co_u32 v31, vcc_lo, v1, v31
	s_delay_alu instid0(VALU_DEP_3) | instskip(SKIP_1) | instid1(VALU_DEP_4)
	v_lshlrev_b64 v[25:26], 1, v[25:26]
	v_add_co_ci_u32_e32 v32, vcc_lo, v2, v32, vcc_lo
	v_lshlrev_b64 v[29:30], 1, v[29:30]
	s_delay_alu instid0(VALU_DEP_3) | instskip(NEXT) | instid1(VALU_DEP_4)
	v_add_co_u32 v25, vcc_lo, v1, v25
	v_add_co_ci_u32_e32 v26, vcc_lo, v2, v26, vcc_lo
	s_delay_alu instid0(VALU_DEP_3) | instskip(NEXT) | instid1(VALU_DEP_4)
	v_add_co_u32 v29, vcc_lo, v1, v29
	v_add_co_ci_u32_e32 v30, vcc_lo, v2, v30, vcc_lo
	s_waitcnt lgkmcnt(4)
	global_store_b128 v[23:24], v[7:10], off
	s_waitcnt lgkmcnt(3)
	global_store_b128 v[27:28], v[3:6], off
	;; [unrolled: 2-line block ×5, first 2 shown]
	s_and_b32 exec_lo, exec_lo, s3
	s_cbranch_execz .LBB1438_2
; %bb.112:
	ds_load_b128 v[3:6], v0 offset:768
	s_add_i32 s1, s31, 12
	s_delay_alu instid0(SALU_CYCLE_1) | instskip(NEXT) | instid1(SALU_CYCLE_1)
	s_mul_i32 s0, s1, s0
	s_ashr_i32 s1, s0, 31
	s_delay_alu instid0(SALU_CYCLE_1) | instskip(NEXT) | instid1(SALU_CYCLE_1)
	s_lshl_b64 s[0:1], s[0:1], 1
	v_add_co_u32 v0, vcc_lo, v1, s0
	v_add_co_ci_u32_e32 v1, vcc_lo, s1, v2, vcc_lo
	s_waitcnt lgkmcnt(0)
	global_store_b128 v[0:1], v[3:6], off
	s_nop 0
	s_sendmsg sendmsg(MSG_DEALLOC_VGPRS)
	s_endpgm
	.section	.rodata,"a",@progbits
	.p2align	6, 0x0
	.amdhsa_kernel _Z39paged_attention_ll4mi_QKV_mfma16_kernelI14__hip_bfloat16hLN4vllm18Fp8KVCacheDataTypeE1EhLi32ELi64ELi256ELb1ELi13EL8MFMAType1EEvPKT_PKT0_S9_ifPKiSB_SB_iPKfiiiPfSE_PS4_PT2_iSD_SD_
		.amdhsa_group_segment_fixed_size 17472
		.amdhsa_private_segment_fixed_size 0
		.amdhsa_kernarg_size 400
		.amdhsa_user_sgpr_count 13
		.amdhsa_user_sgpr_dispatch_ptr 0
		.amdhsa_user_sgpr_queue_ptr 0
		.amdhsa_user_sgpr_kernarg_segment_ptr 1
		.amdhsa_user_sgpr_dispatch_id 0
		.amdhsa_user_sgpr_private_segment_size 0
		.amdhsa_wavefront_size32 1
		.amdhsa_uses_dynamic_stack 0
		.amdhsa_enable_private_segment 0
		.amdhsa_system_sgpr_workgroup_id_x 1
		.amdhsa_system_sgpr_workgroup_id_y 1
		.amdhsa_system_sgpr_workgroup_id_z 1
		.amdhsa_system_sgpr_workgroup_info 0
		.amdhsa_system_vgpr_workitem_id 0
		.amdhsa_next_free_vgpr 124
		.amdhsa_next_free_sgpr 42
		.amdhsa_reserve_vcc 1
		.amdhsa_float_round_mode_32 0
		.amdhsa_float_round_mode_16_64 0
		.amdhsa_float_denorm_mode_32 3
		.amdhsa_float_denorm_mode_16_64 3
		.amdhsa_dx10_clamp 1
		.amdhsa_ieee_mode 1
		.amdhsa_fp16_overflow 0
		.amdhsa_workgroup_processor_mode 1
		.amdhsa_memory_ordered 1
		.amdhsa_forward_progress 0
		.amdhsa_shared_vgpr_count 0
		.amdhsa_exception_fp_ieee_invalid_op 0
		.amdhsa_exception_fp_denorm_src 0
		.amdhsa_exception_fp_ieee_div_zero 0
		.amdhsa_exception_fp_ieee_overflow 0
		.amdhsa_exception_fp_ieee_underflow 0
		.amdhsa_exception_fp_ieee_inexact 0
		.amdhsa_exception_int_div_zero 0
	.end_amdhsa_kernel
	.section	.text._Z39paged_attention_ll4mi_QKV_mfma16_kernelI14__hip_bfloat16hLN4vllm18Fp8KVCacheDataTypeE1EhLi32ELi64ELi256ELb1ELi13EL8MFMAType1EEvPKT_PKT0_S9_ifPKiSB_SB_iPKfiiiPfSE_PS4_PT2_iSD_SD_,"axG",@progbits,_Z39paged_attention_ll4mi_QKV_mfma16_kernelI14__hip_bfloat16hLN4vllm18Fp8KVCacheDataTypeE1EhLi32ELi64ELi256ELb1ELi13EL8MFMAType1EEvPKT_PKT0_S9_ifPKiSB_SB_iPKfiiiPfSE_PS4_PT2_iSD_SD_,comdat
.Lfunc_end1438:
	.size	_Z39paged_attention_ll4mi_QKV_mfma16_kernelI14__hip_bfloat16hLN4vllm18Fp8KVCacheDataTypeE1EhLi32ELi64ELi256ELb1ELi13EL8MFMAType1EEvPKT_PKT0_S9_ifPKiSB_SB_iPKfiiiPfSE_PS4_PT2_iSD_SD_, .Lfunc_end1438-_Z39paged_attention_ll4mi_QKV_mfma16_kernelI14__hip_bfloat16hLN4vllm18Fp8KVCacheDataTypeE1EhLi32ELi64ELi256ELb1ELi13EL8MFMAType1EEvPKT_PKT0_S9_ifPKiSB_SB_iPKfiiiPfSE_PS4_PT2_iSD_SD_
                                        ; -- End function
	.section	.AMDGPU.csdata,"",@progbits
; Kernel info:
; codeLenInByte = 8972
; NumSgprs: 44
; NumVgprs: 124
; ScratchSize: 0
; MemoryBound: 0
; FloatMode: 240
; IeeeMode: 1
; LDSByteSize: 17472 bytes/workgroup (compile time only)
; SGPRBlocks: 5
; VGPRBlocks: 15
; NumSGPRsForWavesPerEU: 44
; NumVGPRsForWavesPerEU: 124
; Occupancy: 10
; WaveLimiterHint : 1
; COMPUTE_PGM_RSRC2:SCRATCH_EN: 0
; COMPUTE_PGM_RSRC2:USER_SGPR: 13
; COMPUTE_PGM_RSRC2:TRAP_HANDLER: 0
; COMPUTE_PGM_RSRC2:TGID_X_EN: 1
; COMPUTE_PGM_RSRC2:TGID_Y_EN: 1
; COMPUTE_PGM_RSRC2:TGID_Z_EN: 1
; COMPUTE_PGM_RSRC2:TIDIG_COMP_CNT: 0
	.section	.text._Z39paged_attention_ll4mi_QKV_mfma16_kernelI14__hip_bfloat16hLN4vllm18Fp8KVCacheDataTypeE1EhLi32ELi64ELi256ELb1ELi14EL8MFMAType1EEvPKT_PKT0_S9_ifPKiSB_SB_iPKfiiiPfSE_PS4_PT2_iSD_SD_,"axG",@progbits,_Z39paged_attention_ll4mi_QKV_mfma16_kernelI14__hip_bfloat16hLN4vllm18Fp8KVCacheDataTypeE1EhLi32ELi64ELi256ELb1ELi14EL8MFMAType1EEvPKT_PKT0_S9_ifPKiSB_SB_iPKfiiiPfSE_PS4_PT2_iSD_SD_,comdat
	.protected	_Z39paged_attention_ll4mi_QKV_mfma16_kernelI14__hip_bfloat16hLN4vllm18Fp8KVCacheDataTypeE1EhLi32ELi64ELi256ELb1ELi14EL8MFMAType1EEvPKT_PKT0_S9_ifPKiSB_SB_iPKfiiiPfSE_PS4_PT2_iSD_SD_ ; -- Begin function _Z39paged_attention_ll4mi_QKV_mfma16_kernelI14__hip_bfloat16hLN4vllm18Fp8KVCacheDataTypeE1EhLi32ELi64ELi256ELb1ELi14EL8MFMAType1EEvPKT_PKT0_S9_ifPKiSB_SB_iPKfiiiPfSE_PS4_PT2_iSD_SD_
	.globl	_Z39paged_attention_ll4mi_QKV_mfma16_kernelI14__hip_bfloat16hLN4vllm18Fp8KVCacheDataTypeE1EhLi32ELi64ELi256ELb1ELi14EL8MFMAType1EEvPKT_PKT0_S9_ifPKiSB_SB_iPKfiiiPfSE_PS4_PT2_iSD_SD_
	.p2align	8
	.type	_Z39paged_attention_ll4mi_QKV_mfma16_kernelI14__hip_bfloat16hLN4vllm18Fp8KVCacheDataTypeE1EhLi32ELi64ELi256ELb1ELi14EL8MFMAType1EEvPKT_PKT0_S9_ifPKiSB_SB_iPKfiiiPfSE_PS4_PT2_iSD_SD_,@function
_Z39paged_attention_ll4mi_QKV_mfma16_kernelI14__hip_bfloat16hLN4vllm18Fp8KVCacheDataTypeE1EhLi32ELi64ELi256ELb1ELi14EL8MFMAType1EEvPKT_PKT0_S9_ifPKiSB_SB_iPKfiiiPfSE_PS4_PT2_iSD_SD_: ; @_Z39paged_attention_ll4mi_QKV_mfma16_kernelI14__hip_bfloat16hLN4vllm18Fp8KVCacheDataTypeE1EhLi32ELi64ELi256ELb1ELi14EL8MFMAType1EEvPKT_PKT0_S9_ifPKiSB_SB_iPKfiiiPfSE_PS4_PT2_iSD_SD_
; %bb.0:
	s_load_b64 s[2:3], s[0:1], 0x30
	s_mov_b32 s30, s13
	s_waitcnt lgkmcnt(0)
	s_cmp_lg_u64 s[2:3], 0
	s_cselect_b32 s8, -1, 0
	s_ashr_i32 s31, s13, 31
	s_cmp_eq_u64 s[2:3], 0
	s_cbranch_scc1 .LBB1439_3
; %bb.1:
	s_lshl_b64 s[4:5], s[30:31], 2
	s_delay_alu instid0(SALU_CYCLE_1) | instskip(SKIP_4) | instid1(SALU_CYCLE_1)
	s_add_u32 s4, s2, s4
	s_addc_u32 s5, s3, s5
	s_load_b64 s[4:5], s[4:5], 0x0
	s_waitcnt lgkmcnt(0)
	s_sub_i32 s4, s5, s4
	s_cmp_eq_u32 s4, 1
	s_cselect_b32 s4, -1, 0
	s_delay_alu instid0(SALU_CYCLE_1)
	s_and_not1_b32 vcc_lo, exec_lo, s4
	s_cbranch_vccz .LBB1439_4
.LBB1439_2:
	s_endpgm
.LBB1439_3:
.LBB1439_4:
	s_load_b64 s[4:5], s[0:1], 0x28
	s_lshl_b64 s[6:7], s[30:31], 2
	s_waitcnt lgkmcnt(0)
	s_add_u32 s4, s4, s6
	s_addc_u32 s5, s5, s7
	s_lshl_b32 s12, s14, 8
	s_load_b32 s24, s[4:5], 0x0
	s_waitcnt lgkmcnt(0)
	s_cmp_ge_i32 s12, s24
	s_cbranch_scc1 .LBB1439_2
; %bb.5:
	s_clause 0x1
	s_load_b128 s[20:23], s[0:1], 0x8
	s_load_b64 s[4:5], s[0:1], 0x20
	s_and_not1_b32 vcc_lo, exec_lo, s8
	s_cbranch_vccnz .LBB1439_7
; %bb.6:
	s_add_u32 s2, s2, s6
	s_addc_u32 s3, s3, s7
	s_load_b32 s3, s[2:3], 0x0
	s_branch .LBB1439_8
.LBB1439_7:
	s_mov_b32 s3, s30
.LBB1439_8:
	s_load_b128 s[16:19], s[0:1], 0x48
	v_and_b32_e32 v65, 15, v0
	v_cmp_gt_u32_e32 vcc_lo, 0xe0, v0
	v_lshrrev_b32_e32 v66, 5, v0
	v_and_b32_e32 v67, 31, v0
	v_and_b32_e32 v75, 1, v0
	v_lshlrev_b32_e32 v1, 3, v65
	v_cmp_gt_u32_e64 s2, 8, v65
	v_bfe_u32 v74, v0, 4, 1
	s_mul_i32 s31, s15, 14
	s_delay_alu instid0(VALU_DEP_3) | instskip(NEXT) | instid1(VALU_DEP_3)
	v_lshlrev_b32_e32 v73, 1, v1
	s_and_b32 s7, vcc_lo, s2
	s_delay_alu instid0(SALU_CYCLE_1)
	s_and_saveexec_b32 s6, s7
	s_cbranch_execz .LBB1439_10
; %bb.9:
	s_load_b64 s[8:9], s[0:1], 0x0
	v_lshl_or_b32 v5, v66, 1, v74
	s_waitcnt lgkmcnt(0)
	s_mul_hi_i32 s11, s3, s16
	s_mul_i32 s10, s3, s16
	v_lshlrev_b32_e32 v6, 10, v65
	s_lshl_b64 s[10:11], s[10:11], 1
	v_add_lshl_u32 v1, v5, s31, 6
	v_lshlrev_b32_e32 v5, 6, v5
	v_lshlrev_b32_e32 v7, 10, v75
	v_and_b32_e32 v6, 0x3800, v6
	s_delay_alu instid0(VALU_DEP_4) | instskip(NEXT) | instid1(VALU_DEP_2)
	v_ashrrev_i32_e32 v2, 31, v1
	v_or3_b32 v5, v6, v7, v5
	s_delay_alu instid0(VALU_DEP_2) | instskip(SKIP_2) | instid1(VALU_DEP_1)
	v_lshlrev_b64 v[1:2], 1, v[1:2]
	s_add_u32 s3, s8, s10
	s_addc_u32 s7, s9, s11
	v_add_co_u32 v1, vcc_lo, s3, v1
	s_delay_alu instid0(VALU_DEP_2) | instskip(NEXT) | instid1(VALU_DEP_2)
	v_add_co_ci_u32_e32 v2, vcc_lo, s7, v2, vcc_lo
	v_add_co_u32 v1, vcc_lo, v1, v73
	s_delay_alu instid0(VALU_DEP_2)
	v_add_co_ci_u32_e32 v2, vcc_lo, 0, v2, vcc_lo
	global_load_b128 v[1:4], v[1:2], off
	s_waitcnt vmcnt(0)
	ds_store_b128 v5, v[1:4]
.LBB1439_10:
	s_or_b32 exec_lo, exec_lo, s6
	v_and_b32_e32 v1, 0xef, v0
	s_waitcnt lgkmcnt(0)
	s_add_i32 s3, s24, 31
	s_clause 0x1
	s_load_b32 s6, s[0:1], 0x38
	s_load_b32 s19, s[0:1], 0x1c
	s_ashr_i32 s7, s3, 31
	v_add_nc_u32_e32 v1, s12, v1
	s_lshr_b32 s7, s7, 27
	s_waitcnt lgkmcnt(0)
	s_add_i32 s3, s3, s7
	s_barrier
	v_ashrrev_i32_e32 v2, 31, v1
	v_or_b32_e32 v3, 16, v1
	s_ashr_i32 s3, s3, 5
	v_cmp_gt_i32_e32 vcc_lo, s24, v1
	s_add_i32 s3, s3, -1
	v_lshrrev_b32_e32 v2, 27, v2
	buffer_gl0_inv
	s_mul_i32 s27, s15, s18
	v_add_nc_u32_e32 v4, v1, v2
	s_mul_i32 s6, s30, s6
	s_delay_alu instid0(SALU_CYCLE_1) | instskip(NEXT) | instid1(VALU_DEP_1)
	s_ashr_i32 s7, s6, 31
	v_ashrrev_i32_e32 v4, 5, v4
	v_add_nc_u32_e32 v2, v3, v2
	s_lshl_b64 s[6:7], s[6:7], 2
	s_delay_alu instid0(SALU_CYCLE_1) | instskip(NEXT) | instid1(VALU_DEP_2)
	s_add_u32 s26, s4, s6
	v_cndmask_b32_e32 v1, s3, v4, vcc_lo
	s_delay_alu instid0(VALU_DEP_2)
	v_ashrrev_i32_e32 v2, 5, v2
	v_cmp_gt_i32_e32 vcc_lo, s24, v3
	s_addc_u32 s25, s5, s7
	s_ashr_i32 s28, s27, 31
	s_add_u32 s4, s20, s27
	s_addc_u32 s5, s21, s28
	v_cndmask_b32_e32 v3, s3, v2, vcc_lo
	v_ashrrev_i32_e32 v2, 31, v1
	s_lshl_b32 s6, s14, 3
	s_delay_alu instid0(SALU_CYCLE_1) | instskip(NEXT) | instid1(VALU_DEP_2)
	s_ashr_i32 s7, s6, 31
	v_ashrrev_i32_e32 v4, 31, v3
	s_delay_alu instid0(VALU_DEP_2) | instskip(SKIP_1) | instid1(SALU_CYCLE_1)
	v_lshlrev_b64 v[1:2], 2, v[1:2]
	s_lshl_b64 s[6:7], s[6:7], 2
	s_add_u32 s6, s26, s6
	s_delay_alu instid0(VALU_DEP_2) | instskip(SKIP_1) | instid1(VALU_DEP_2)
	v_lshlrev_b64 v[3:4], 2, v[3:4]
	s_addc_u32 s7, s25, s7
	v_add_co_u32 v1, vcc_lo, s26, v1
	v_add_co_ci_u32_e32 v2, vcc_lo, s25, v2, vcc_lo
	s_delay_alu instid0(VALU_DEP_3) | instskip(NEXT) | instid1(VALU_DEP_4)
	v_add_co_u32 v3, vcc_lo, s26, v3
	v_add_co_ci_u32_e32 v4, vcc_lo, s25, v4, vcc_lo
	s_clause 0x1
	global_load_b32 v5, v[1:2], off
	global_load_b32 v6, v[3:4], off
	s_or_b32 s8, s12, 32
	s_delay_alu instid0(SALU_CYCLE_1) | instskip(SKIP_2) | instid1(SALU_CYCLE_1)
	s_ashr_i32 s9, s8, 5
	s_cmp_lt_i32 s8, s24
	s_cselect_b32 s8, s9, s3
	s_ashr_i32 s9, s8, 31
	s_delay_alu instid0(SALU_CYCLE_1) | instskip(NEXT) | instid1(SALU_CYCLE_1)
	s_lshl_b64 s[8:9], s[8:9], 2
	s_add_u32 s8, s26, s8
	s_addc_u32 s9, s25, s9
	s_or_b32 s10, s12, 64
	s_delay_alu instid0(SALU_CYCLE_1) | instskip(SKIP_2) | instid1(SALU_CYCLE_1)
	s_ashr_i32 s11, s10, 5
	s_cmp_lt_i32 s10, s24
	s_cselect_b32 s10, s11, s3
	s_ashr_i32 s11, s10, 31
	s_delay_alu instid0(SALU_CYCLE_1) | instskip(NEXT) | instid1(SALU_CYCLE_1)
	s_lshl_b64 s[10:11], s[10:11], 2
	s_add_u32 s10, s26, s10
	s_addc_u32 s11, s25, s11
	;; [unrolled: 10-line block ×5, first 2 shown]
	s_clause 0x5
	s_load_b32 s21, s[6:7], 0x0
	s_load_b32 s13, s[8:9], 0x0
	;; [unrolled: 1-line block ×6, first 2 shown]
	s_or_b32 s8, s12, 0xc0
	s_delay_alu instid0(SALU_CYCLE_1) | instskip(SKIP_2) | instid1(SALU_CYCLE_1)
	s_ashr_i32 s9, s8, 5
	s_cmp_lt_i32 s8, s24
	s_cselect_b32 s34, s9, s3
	s_ashr_i32 s35, s34, 31
	s_delay_alu instid0(SALU_CYCLE_1) | instskip(NEXT) | instid1(SALU_CYCLE_1)
	s_lshl_b64 s[34:35], s[34:35], 2
	s_add_u32 s34, s26, s34
	s_addc_u32 s35, s25, s35
	s_or_b32 s29, s12, 0xe0
	s_delay_alu instid0(SALU_CYCLE_1)
	s_ashr_i32 s33, s29, 5
	s_cmp_lt_i32 s29, s24
	s_waitcnt vmcnt(1)
	v_mad_i64_i32 v[1:2], null, v5, s17, s[4:5]
	s_waitcnt vmcnt(0)
	v_mad_i64_i32 v[3:4], null, v6, s17, s[4:5]
	s_mov_b32 s4, 0
	s_delay_alu instid0(SALU_CYCLE_1)
	s_mov_b32 s5, s4
	s_mov_b32 s6, s4
	;; [unrolled: 1-line block ×7, first 2 shown]
	v_lshlrev_b32_e32 v5, 4, v65
	v_dual_mov_b32 v107, s11 :: v_dual_mov_b32 v102, s6
	v_mov_b32_e32 v100, s4
	v_mov_b32_e32 v106, s10
	s_delay_alu instid0(VALU_DEP_4)
	v_add_co_u32 v1, vcc_lo, v1, v5
	v_add_co_ci_u32_e32 v2, vcc_lo, 0, v2, vcc_lo
	v_add_co_u32 v3, vcc_lo, v3, v5
	v_add_co_ci_u32_e32 v4, vcc_lo, 0, v4, vcc_lo
	s_clause 0x7
	global_load_b128 v[49:52], v[1:2], off
	global_load_b128 v[53:56], v[1:2], off offset:512
	global_load_b128 v[76:79], v[3:4], off offset:256
	;; [unrolled: 1-line block ×7, first 2 shown]
	v_add_nc_u32_e32 v1, -14, v65
	v_cmp_gt_u32_e32 vcc_lo, 14, v65
	v_dual_mov_b32 v104, s8 :: v_dual_mov_b32 v103, s7
	v_dual_mov_b32 v101, s5 :: v_dual_lshlrev_b32 v2, 5, v65
	s_delay_alu instid0(VALU_DEP_4)
	v_cndmask_b32_e32 v1, v1, v65, vcc_lo
	v_mov_b32_e32 v105, s9
	s_cselect_b32 s4, s33, s3
	s_load_b32 s3, s[34:35], 0x0
	s_ashr_i32 s5, s4, 31
	v_lshlrev_b32_e32 v70, 6, v1
	s_lshl_b64 s[4:5], s[4:5], 2
	v_lshl_or_b32 v2, v66, 9, v2
	s_add_u32 s4, s26, s4
	s_addc_u32 s5, s25, s5
	ds_load_b128 v[108:111], v70
	ds_load_b128 v[112:115], v70 offset:1024
	s_load_b32 s4, s[4:5], 0x0
	s_add_u32 s6, s22, s27
	s_addc_u32 s7, s23, s28
	v_add_co_u32 v9, s6, s6, v2
	s_delay_alu instid0(VALU_DEP_1) | instskip(SKIP_1) | instid1(VALU_DEP_1)
	v_add_co_ci_u32_e64 v10, null, s7, 0, s6
	s_waitcnt lgkmcnt(0)
	v_mad_i64_i32 v[1:2], null, s21, s17, v[9:10]
	v_mad_i64_i32 v[3:4], null, s13, s17, v[9:10]
	;; [unrolled: 1-line block ×7, first 2 shown]
	s_clause 0x9
	global_load_b128 v[57:60], v[1:2], off
	global_load_b128 v[61:64], v[1:2], off offset:16
	global_load_b128 v[41:44], v[3:4], off
	global_load_b128 v[45:48], v[3:4], off offset:16
	;; [unrolled: 2-line block ×5, first 2 shown]
	v_mad_i64_i32 v[68:69], null, s4, s17, v[9:10]
	s_clause 0x3
	global_load_b128 v[9:12], v[13:14], off
	global_load_b128 v[13:16], v[13:14], off offset:16
	global_load_b128 v[17:20], v[21:22], off
	global_load_b128 v[21:24], v[21:22], off offset:16
	s_waitcnt vmcnt(20)
	v_wmma_f32_16x16x16_bf16 v[116:123], v[49:56], v[108:115], v[100:107]
	s_clause 0x1
	global_load_b128 v[49:52], v[68:69], off
	global_load_b128 v[53:56], v[68:69], off offset:16
	v_and_b32_e32 v68, 0xe0, v0
	v_mbcnt_lo_u32_b32 v69, -1, 0
	s_delay_alu instid0(VALU_DEP_2)
	v_add_nc_u32_e32 v68, s12, v68
	s_waitcnt vmcnt(20)
	v_wmma_f32_16x16x16_bf16 v[100:107], v[76:83], v[108:115], v[100:107]
	ds_load_b128 v[76:79], v70 offset:2048
	ds_load_b128 v[80:83], v70 offset:3072
	v_xor_b32_e32 v70, 16, v69
	s_waitcnt vmcnt(0) lgkmcnt(0)
	v_or_b32_e32 v68, v68, v74
	s_barrier
	buffer_gl0_inv
	v_cmp_gt_i32_e32 vcc_lo, 32, v70
	v_or_b32_e32 v71, 4, v68
	v_or_b32_e32 v72, 6, v68
	v_cmp_gt_i32_e64 s3, s24, v68
	v_or_b32_e32 v108, 8, v68
	v_or_b32_e32 v109, 10, v68
	v_cmp_gt_i32_e64 s4, s24, v71
	v_cmp_gt_i32_e64 s5, s24, v72
	s_delay_alu instid0(VALU_DEP_4) | instskip(NEXT) | instid1(VALU_DEP_4)
	v_cmp_gt_i32_e64 s6, s24, v108
	v_cmp_gt_i32_e64 s7, s24, v109
	v_wmma_f32_16x16x16_bf16 v[116:123], v[84:91], v[76:83], v[116:123]
	v_cndmask_b32_e32 v69, v69, v70, vcc_lo
	v_or_b32_e32 v70, 2, v68
	v_wmma_f32_16x16x16_bf16 v[100:107], v[92:99], v[76:83], v[100:107]
	v_or_b32_e32 v89, 22, v68
	v_dual_mul_f32 v80, s19, v121 :: v_dual_mul_f32 v81, s19, v120
	v_dual_mul_f32 v92, s19, v117 :: v_dual_mul_f32 v93, s19, v116
	s_delay_alu instid0(VALU_DEP_4)
	v_mul_f32_e32 v96, s19, v105
	v_cmp_gt_i32_e32 vcc_lo, s24, v70
	v_dual_mul_f32 v79, s19, v122 :: v_dual_mul_f32 v82, s19, v119
	v_dual_mul_f32 v83, s19, v118 :: v_dual_mul_f32 v94, s19, v107
	v_cndmask_b32_e64 v93, 0xff7fffff, v93, s3
	v_cndmask_b32_e32 v92, 0xff7fffff, v92, vcc_lo
	v_or_b32_e32 v84, 12, v68
	v_or_b32_e32 v85, 14, v68
	v_cndmask_b32_e64 v71, 0xff7fffff, v83, s4
	v_cndmask_b32_e64 v72, 0xff7fffff, v82, s5
	v_cmp_gt_i32_e64 s13, s24, v89
	v_lshlrev_b32_e32 v89, 2, v69
	v_max3_f32 v82, v93, 0xff7fffff, v92
	v_or_b32_e32 v86, 16, v68
	v_or_b32_e32 v87, 18, v68
	v_mul_f32_e32 v78, s19, v123
	v_cndmask_b32_e64 v81, 0xff7fffff, v81, s6
	v_cndmask_b32_e64 v80, 0xff7fffff, v80, s7
	v_max3_f32 v71, v82, v71, v72
	v_cmp_gt_i32_e64 s8, s24, v84
	v_cmp_gt_i32_e64 s9, s24, v85
	v_or_b32_e32 v88, 20, v68
	v_or_b32_e32 v90, 24, v68
	;; [unrolled: 1-line block ×5, first 2 shown]
	v_dual_mul_f32 v97, s19, v104 :: v_dual_mul_f32 v70, s19, v101
	v_dual_mul_f32 v99, s19, v102 :: v_dual_mul_f32 v68, s19, v100
	v_cndmask_b32_e64 v72, 0xff7fffff, v79, s8
	v_cndmask_b32_e64 v78, 0xff7fffff, v78, s9
	v_max3_f32 v71, v71, v81, v80
	v_cmp_gt_i32_e64 s10, s24, v86
	v_cmp_gt_i32_e64 s11, s24, v87
	v_dual_mul_f32 v95, s19, v106 :: v_dual_mul_f32 v98, s19, v103
	s_delay_alu instid0(VALU_DEP_4) | instskip(NEXT) | instid1(VALU_DEP_4)
	v_max3_f32 v71, v71, v72, v78
	v_cndmask_b32_e64 v68, 0xff7fffff, v68, s10
	s_delay_alu instid0(VALU_DEP_4)
	v_cndmask_b32_e64 v70, 0xff7fffff, v70, s11
	v_cmp_gt_i32_e64 s12, s24, v88
	v_cndmask_b32_e64 v78, 0xff7fffff, v98, s13
	v_cmp_gt_i32_e64 s15, s24, v90
	v_cmp_gt_i32_e64 s16, s24, v91
	v_max3_f32 v68, v71, v68, v70
	v_cndmask_b32_e64 v72, 0xff7fffff, v99, s12
	v_cmp_gt_i32_e64 s17, s24, v76
	v_cndmask_b32_e64 v70, 0xff7fffff, v97, s15
	v_cndmask_b32_e64 v71, 0xff7fffff, v96, s16
	v_cmp_gt_i32_e64 s18, s24, v77
	v_max3_f32 v68, v68, v72, v78
	v_cndmask_b32_e64 v72, 0xff7fffff, v95, s17
	s_delay_alu instid0(VALU_DEP_3) | instskip(NEXT) | instid1(VALU_DEP_3)
	v_cndmask_b32_e64 v76, 0xff7fffff, v94, s18
	v_max3_f32 v68, v68, v70, v71
	s_delay_alu instid0(VALU_DEP_1) | instskip(SKIP_3) | instid1(VALU_DEP_1)
	v_max3_f32 v68, v68, v72, v76
	ds_bpermute_b32 v69, v89, v68
	s_waitcnt lgkmcnt(0)
	v_max_f32_e32 v69, v69, v69
	v_max_f32_e32 v68, v68, v69
	s_delay_alu instid0(VALU_DEP_1) | instskip(NEXT) | instid1(VALU_DEP_1)
	v_fma_f32 v71, s19, v118, -v68
	v_mul_f32_e32 v71, 0x3fb8aa3b, v71
	v_fma_f32 v70, s19, v117, -v68
	v_fma_f32 v69, s19, v116, -v68
	;; [unrolled: 1-line block ×5, first 2 shown]
	s_delay_alu instid0(VALU_DEP_4) | instskip(SKIP_1) | instid1(VALU_DEP_3)
	v_dual_mul_f32 v70, 0x3fb8aa3b, v70 :: v_dual_mul_f32 v69, 0x3fb8aa3b, v69
	v_exp_f32_e32 v71, v71
	v_mul_f32_e32 v72, 0x3fb8aa3b, v72
	v_fma_f32 v81, s19, v105, -v68
	s_delay_alu instid0(VALU_DEP_3)
	v_exp_f32_e32 v70, v70
	v_mul_f32_e32 v77, 0x3fb8aa3b, v76
	v_exp_f32_e32 v69, v69
	v_exp_f32_e32 v72, v72
	v_mul_f32_e32 v81, 0x3fb8aa3b, v81
	v_cndmask_b32_e64 v83, 0, v71, s4
	v_fma_f32 v71, s19, v123, -v68
	s_delay_alu instid0(VALU_DEP_3) | instskip(SKIP_4) | instid1(TRANS32_DEP_3)
	v_exp_f32_e32 v81, v81
	v_cndmask_b32_e32 v76, 0, v70, vcc_lo
	v_exp_f32_e32 v77, v77
	v_cndmask_b32_e64 v80, 0, v69, s3
	v_fma_f32 v69, s19, v121, -v68
	v_cndmask_b32_e64 v85, 0, v72, s5
	v_mul_f32_e32 v71, 0x3fb8aa3b, v71
	v_fma_f32 v72, s19, v100, -v68
	s_delay_alu instid0(VALU_DEP_4) | instskip(SKIP_1) | instid1(VALU_DEP_3)
	v_dual_add_f32 v70, 0, v80 :: v_dual_mul_f32 v69, 0x3fb8aa3b, v69
	s_mov_b32 s3, exec_lo
	v_exp_f32_e32 v71, v71
	s_delay_alu instid0(TRANS32_DEP_2) | instskip(SKIP_4) | instid1(VALU_DEP_3)
	v_cndmask_b32_e64 v86, 0, v77, s6
	v_fma_f32 v77, s19, v101, -v68
	v_mul_f32_e32 v78, 0x3fb8aa3b, v78
	v_add_f32_e32 v70, v70, v76
	v_exp_f32_e32 v69, v69
	v_mul_f32_e32 v77, 0x3fb8aa3b, v77
	s_delay_alu instid0(VALU_DEP_3) | instskip(NEXT) | instid1(TRANS32_DEP_3)
	v_exp_f32_e32 v78, v78
	v_cndmask_b32_e64 v88, 0, v71, s9
	v_fma_f32 v71, s19, v104, -v68
	s_delay_alu instid0(VALU_DEP_3) | instskip(NEXT) | instid1(TRANS32_DEP_3)
	v_exp_f32_e32 v77, v77
	v_cndmask_b32_e64 v87, 0, v69, s7
	s_delay_alu instid0(VALU_DEP_2)
	v_mul_f32_e32 v71, 0x3fb8aa3b, v71
	s_waitcnt_depctr 0xfff
	v_cndmask_b32_e64 v84, 0, v78, s8
	v_add_f32_e32 v70, v70, v83
	v_fma_f32 v78, s19, v103, -v68
	v_exp_f32_e32 v82, v71
	s_delay_alu instid0(VALU_DEP_2) | instskip(SKIP_1) | instid1(VALU_DEP_3)
	v_add_f32_e32 v70, v70, v85
	v_mul_f32_e32 v72, 0x3fb8aa3b, v72
	v_mul_f32_e32 v78, 0x3fb8aa3b, v78
	s_delay_alu instid0(VALU_DEP_3) | instskip(SKIP_1) | instid1(VALU_DEP_4)
	v_add_f32_e32 v69, v70, v86
	v_fma_f32 v70, s19, v102, -v68
	v_exp_f32_e32 v72, v72
	s_delay_alu instid0(VALU_DEP_3) | instskip(NEXT) | instid1(VALU_DEP_1)
	v_exp_f32_e32 v78, v78
	v_dual_add_f32 v69, v69, v87 :: v_dual_mul_f32 v70, 0x3fb8aa3b, v70
	s_delay_alu instid0(VALU_DEP_1) | instskip(NEXT) | instid1(VALU_DEP_2)
	v_add_f32_e32 v69, v69, v84
	v_exp_f32_e32 v79, v70
	s_delay_alu instid0(TRANS32_DEP_3) | instskip(NEXT) | instid1(VALU_DEP_2)
	v_cndmask_b32_e64 v70, 0, v72, s10
	v_add_f32_e32 v72, v69, v88
	v_cndmask_b32_e64 v69, 0, v77, s11
	v_fma_f32 v77, s19, v106, -v68
	s_waitcnt_depctr 0xfff
	v_cndmask_b32_e64 v71, 0, v79, s12
	v_dual_mul_f32 v77, 0x3fb8aa3b, v77 :: v_dual_add_f32 v72, v72, v70
	s_delay_alu instid0(VALU_DEP_1) | instskip(NEXT) | instid1(VALU_DEP_1)
	v_exp_f32_e32 v90, v77
	v_add_f32_e32 v79, v72, v69
	v_cndmask_b32_e64 v72, 0, v78, s13
	v_cndmask_b32_e64 v77, 0, v82, s15
	s_delay_alu instid0(VALU_DEP_3) | instskip(SKIP_1) | instid1(VALU_DEP_1)
	v_add_f32_e32 v78, v79, v71
	v_fma_f32 v79, s19, v107, -v68
	v_dual_add_f32 v82, v78, v72 :: v_dual_mul_f32 v79, 0x3fb8aa3b, v79
	v_cndmask_b32_e64 v78, 0, v81, s16
	s_delay_alu instid0(VALU_DEP_2) | instskip(NEXT) | instid1(VALU_DEP_3)
	v_add_f32_e32 v81, v82, v77
	v_exp_f32_e32 v82, v79
	v_cndmask_b32_e64 v79, 0, v90, s17
	s_delay_alu instid0(VALU_DEP_2) | instskip(NEXT) | instid1(VALU_DEP_1)
	v_add_f32_e32 v81, v81, v78
	v_add_f32_e32 v90, v81, v79
	s_waitcnt_depctr 0xfff
	v_cndmask_b32_e64 v81, 0, v82, s18
	s_delay_alu instid0(VALU_DEP_1)
	v_add_f32_e32 v82, v90, v81
	ds_bpermute_b32 v89, v89, v82
	v_cmpx_gt_u32_e32 16, v67
	s_cbranch_execz .LBB1439_12
; %bb.11:
	v_mul_u32_u24_e32 v67, 0x44, v66
	s_delay_alu instid0(VALU_DEP_1) | instskip(SKIP_1) | instid1(VALU_DEP_1)
	v_lshl_add_u32 v67, v65, 2, v67
	s_waitcnt lgkmcnt(0)
	v_dual_add_f32 v82, v82, v89 :: v_dual_add_nc_u32 v67, 0x4000, v67
	ds_store_2addr_b32 v67, v68, v82 offset1:136
.LBB1439_12:
	s_or_b32 exec_lo, exec_lo, s3
	v_lshlrev_b32_e32 v67, 2, v65
	s_waitcnt lgkmcnt(0)
	s_barrier
	buffer_gl0_inv
	v_cmp_eq_u32_e32 vcc_lo, 1, v66
	v_add_nc_u32_e32 v82, 0x4000, v67
	v_cmp_eq_u32_e64 s3, 2, v66
	v_cmp_eq_u32_e64 s5, 7, v66
	ds_load_2addr_b32 v[89:90], v82 offset1:17
	ds_load_2addr_b32 v[91:92], v82 offset0:34 offset1:51
	ds_load_2addr_b32 v[93:94], v82 offset0:68 offset1:85
	;; [unrolled: 1-line block ×4, first 2 shown]
	s_waitcnt lgkmcnt(4)
	v_max3_f32 v67, v89, 0xff7fffff, v90
	s_waitcnt lgkmcnt(3)
	s_delay_alu instid0(VALU_DEP_1) | instskip(SKIP_1) | instid1(VALU_DEP_1)
	v_max3_f32 v67, v67, v91, v92
	s_waitcnt lgkmcnt(2)
	v_max3_f32 v67, v67, v93, v94
	s_waitcnt lgkmcnt(1)
	s_delay_alu instid0(VALU_DEP_1) | instskip(NEXT) | instid1(VALU_DEP_1)
	v_max3_f32 v67, v67, v95, v96
	v_sub_f32_e32 v93, v93, v67
	s_delay_alu instid0(VALU_DEP_1) | instskip(NEXT) | instid1(VALU_DEP_1)
	v_dual_sub_f32 v68, v89, v67 :: v_dual_mul_f32 v103, 0x3fb8aa3b, v93
	v_mul_f32_e32 v68, 0x3fb8aa3b, v68
	s_delay_alu instid0(VALU_DEP_1)
	v_exp_f32_e32 v100, v68
	v_sub_f32_e32 v68, v92, v67
	v_sub_f32_e32 v99, v90, v67
	ds_load_2addr_b32 v[89:90], v82 offset0:170 offset1:187
	v_dual_mul_f32 v102, 0x3fb8aa3b, v68 :: v_dual_mul_f32 v99, 0x3fb8aa3b, v99
	s_waitcnt lgkmcnt(1)
	v_fma_f32 v68, v100, v97, 0
	s_delay_alu instid0(VALU_DEP_2) | instskip(NEXT) | instid1(VALU_DEP_2)
	v_exp_f32_e32 v102, v102
	v_exp_f32_e32 v99, v99
	s_waitcnt_depctr 0xfff
	v_fmac_f32_e32 v68, v99, v98
	v_sub_f32_e32 v91, v91, v67
	s_delay_alu instid0(VALU_DEP_1)
	v_mul_f32_e32 v101, 0x3fb8aa3b, v91
	ds_load_2addr_b32 v[91:92], v82 offset0:204 offset1:221
	v_sub_f32_e32 v97, v94, v67
	ds_load_2addr_b32 v[93:94], v82 offset0:238 offset1:255
	s_waitcnt lgkmcnt(0)
	v_exp_f32_e32 v101, v101
	s_barrier
	buffer_gl0_inv
	v_dual_fmac_f32 v68, v101, v89 :: v_dual_sub_f32 v89, v96, v67
	v_dual_sub_f32 v82, v95, v67 :: v_dual_mul_f32 v95, 0x3fb8aa3b, v97
	v_exp_f32_e32 v97, v103
	s_delay_alu instid0(VALU_DEP_2) | instskip(NEXT) | instid1(VALU_DEP_2)
	v_dual_fmac_f32 v68, v102, v90 :: v_dual_mul_f32 v89, 0x3fb8aa3b, v89
	v_mul_f32_e32 v82, 0x3fb8aa3b, v82
	s_delay_alu instid0(VALU_DEP_3) | instskip(NEXT) | instid1(VALU_DEP_2)
	v_exp_f32_e32 v95, v95
	v_exp_f32_e32 v89, v89
	s_delay_alu instid0(VALU_DEP_1)
	v_exp_f32_e32 v82, v82
	v_fmac_f32_e32 v68, v97, v91
	s_delay_alu instid0(TRANS32_DEP_3) | instid1(VALU_DEP_1)
	v_fmac_f32_e32 v68, v95, v92
	s_waitcnt_depctr 0xfff
	v_fmac_f32_e32 v68, v82, v93
	s_delay_alu instid0(VALU_DEP_1) | instskip(NEXT) | instid1(VALU_DEP_1)
	v_fmac_f32_e32 v68, v89, v94
	v_add_f32_e32 v90, 0x358637bd, v68
	s_delay_alu instid0(VALU_DEP_1) | instskip(NEXT) | instid1(VALU_DEP_1)
	v_div_scale_f32 v91, null, v90, v90, 1.0
	v_rcp_f32_e32 v92, v91
	s_waitcnt_depctr 0xfff
	v_fma_f32 v93, -v91, v92, 1.0
	s_delay_alu instid0(VALU_DEP_1) | instskip(SKIP_1) | instid1(VALU_DEP_2)
	v_dual_fmac_f32 v92, v93, v92 :: v_dual_cndmask_b32 v93, v100, v99
	v_cmp_eq_u32_e32 vcc_lo, 3, v66
	v_cndmask_b32_e64 v93, v93, v101, s3
	v_cmp_eq_u32_e64 s3, 4, v66
	s_delay_alu instid0(VALU_DEP_2) | instskip(SKIP_1) | instid1(VALU_DEP_2)
	v_cndmask_b32_e32 v93, v93, v102, vcc_lo
	v_cmp_eq_u32_e32 vcc_lo, 5, v66
	v_cndmask_b32_e64 v93, v93, v97, s3
	v_cmp_eq_u32_e64 s3, 6, v66
	s_delay_alu instid0(VALU_DEP_2) | instskip(SKIP_1) | instid1(VALU_DEP_1)
	v_cndmask_b32_e32 v93, v93, v95, vcc_lo
	v_div_scale_f32 v94, s4, 1.0, v90, 1.0
	s_mov_b32 vcc_lo, s4
	s_delay_alu instid0(VALU_DEP_2) | instskip(NEXT) | instid1(VALU_DEP_2)
	v_cndmask_b32_e64 v82, v93, v82, s3
	v_mul_f32_e32 v96, v94, v92
	s_mov_b32 s3, exec_lo
	s_delay_alu instid0(VALU_DEP_2) | instskip(NEXT) | instid1(VALU_DEP_2)
	v_cndmask_b32_e64 v82, v82, v89, s5
	v_fma_f32 v98, -v91, v96, v94
	s_delay_alu instid0(VALU_DEP_1) | instskip(NEXT) | instid1(VALU_DEP_1)
	v_fmac_f32_e32 v96, v98, v92
	v_fma_f32 v91, -v91, v96, v94
	s_delay_alu instid0(VALU_DEP_1) | instskip(NEXT) | instid1(VALU_DEP_1)
	v_div_fmas_f32 v91, v91, v92, v96
	v_div_fixup_f32 v90, v91, v90, 1.0
	s_delay_alu instid0(VALU_DEP_1) | instskip(NEXT) | instid1(VALU_DEP_1)
	v_mul_f32_e32 v82, v82, v90
	v_mul_f32_e32 v87, v82, v87
	;; [unrolled: 1-line block ×7, first 2 shown]
	v_dual_mul_f32 v86, v82, v83 :: v_dual_and_b32 v91, 0x7f800000, v90
	v_mul_f32_e32 v85, v82, v76
                                        ; implicit-def: $vgpr76
	s_delay_alu instid0(VALU_DEP_2)
	v_cmpx_ne_u32_e32 0x7f800000, v91
	s_xor_b32 s3, exec_lo, s3
; %bb.13:
	v_bfe_u32 v76, v90, 16, 1
	s_delay_alu instid0(VALU_DEP_1)
	v_add3_u32 v76, v90, v76, 0x7fff
                                        ; implicit-def: $vgpr90
; %bb.14:
	s_and_not1_saveexec_b32 s3, s3
; %bb.15:
	v_and_b32_e32 v76, 0xffff, v90
	v_or_b32_e32 v83, 0x10000, v90
	s_delay_alu instid0(VALU_DEP_2) | instskip(NEXT) | instid1(VALU_DEP_2)
	v_cmp_eq_u32_e32 vcc_lo, 0, v76
	v_cndmask_b32_e32 v76, v83, v90, vcc_lo
; %bb.16:
	s_or_b32 exec_lo, exec_lo, s3
	v_and_b32_e32 v83, 0x7f800000, v85
	s_delay_alu instid0(VALU_DEP_1) | instskip(SKIP_1) | instid1(SALU_CYCLE_1)
	v_cmp_ne_u32_e32 vcc_lo, 0x7f800000, v83
                                        ; implicit-def: $vgpr83
	s_and_saveexec_b32 s3, vcc_lo
	s_xor_b32 s3, exec_lo, s3
; %bb.17:
	v_bfe_u32 v83, v85, 16, 1
	s_delay_alu instid0(VALU_DEP_1)
	v_add3_u32 v83, v85, v83, 0x7fff
                                        ; implicit-def: $vgpr85
; %bb.18:
	s_and_not1_saveexec_b32 s3, s3
; %bb.19:
	v_and_b32_e32 v83, 0xffff, v85
	v_or_b32_e32 v90, 0x10000, v85
	s_delay_alu instid0(VALU_DEP_2) | instskip(NEXT) | instid1(VALU_DEP_2)
	v_cmp_eq_u32_e32 vcc_lo, 0, v83
	v_cndmask_b32_e32 v83, v90, v85, vcc_lo
; %bb.20:
	s_or_b32 exec_lo, exec_lo, s3
	v_and_b32_e32 v85, 0x7f800000, v86
	s_delay_alu instid0(VALU_DEP_1) | instskip(SKIP_1) | instid1(SALU_CYCLE_1)
	v_cmp_ne_u32_e32 vcc_lo, 0x7f800000, v85
                                        ; implicit-def: $vgpr85
	s_and_saveexec_b32 s3, vcc_lo
	s_xor_b32 s3, exec_lo, s3
; %bb.21:
	v_bfe_u32 v85, v86, 16, 1
	s_delay_alu instid0(VALU_DEP_1)
	v_add3_u32 v85, v86, v85, 0x7fff
                                        ; implicit-def: $vgpr86
; %bb.22:
	s_and_not1_saveexec_b32 s3, s3
; %bb.23:
	v_and_b32_e32 v85, 0xffff, v86
	v_or_b32_e32 v90, 0x10000, v86
	s_delay_alu instid0(VALU_DEP_2) | instskip(NEXT) | instid1(VALU_DEP_2)
	v_cmp_eq_u32_e32 vcc_lo, 0, v85
	v_cndmask_b32_e32 v85, v90, v86, vcc_lo
; %bb.24:
	s_or_b32 exec_lo, exec_lo, s3
	v_and_b32_e32 v86, 0x7f800000, v89
	s_delay_alu instid0(VALU_DEP_1) | instskip(SKIP_1) | instid1(SALU_CYCLE_1)
	v_cmp_ne_u32_e32 vcc_lo, 0x7f800000, v86
                                        ; implicit-def: $vgpr86
	s_and_saveexec_b32 s3, vcc_lo
	s_xor_b32 s3, exec_lo, s3
; %bb.25:
	v_bfe_u32 v86, v89, 16, 1
	s_delay_alu instid0(VALU_DEP_1)
	v_add3_u32 v86, v89, v86, 0x7fff
                                        ; implicit-def: $vgpr89
; %bb.26:
	s_and_not1_saveexec_b32 s3, s3
; %bb.27:
	v_and_b32_e32 v86, 0xffff, v89
	v_or_b32_e32 v90, 0x10000, v89
	s_delay_alu instid0(VALU_DEP_2) | instskip(NEXT) | instid1(VALU_DEP_2)
	v_cmp_eq_u32_e32 vcc_lo, 0, v86
	v_cndmask_b32_e32 v86, v90, v89, vcc_lo
; %bb.28:
	s_or_b32 exec_lo, exec_lo, s3
	v_and_b32_e32 v89, 0x7f800000, v88
	s_delay_alu instid0(VALU_DEP_1) | instskip(SKIP_1) | instid1(SALU_CYCLE_1)
	v_cmp_ne_u32_e32 vcc_lo, 0x7f800000, v89
                                        ; implicit-def: $vgpr89
	s_and_saveexec_b32 s3, vcc_lo
	s_xor_b32 s3, exec_lo, s3
; %bb.29:
	v_bfe_u32 v89, v88, 16, 1
	s_delay_alu instid0(VALU_DEP_1)
	v_add3_u32 v89, v88, v89, 0x7fff
                                        ; implicit-def: $vgpr88
; %bb.30:
	s_and_not1_saveexec_b32 s3, s3
; %bb.31:
	v_and_b32_e32 v89, 0xffff, v88
	v_or_b32_e32 v90, 0x10000, v88
	s_delay_alu instid0(VALU_DEP_2) | instskip(NEXT) | instid1(VALU_DEP_2)
	v_cmp_eq_u32_e32 vcc_lo, 0, v89
	v_cndmask_b32_e32 v89, v90, v88, vcc_lo
; %bb.32:
	s_or_b32 exec_lo, exec_lo, s3
	v_and_b32_e32 v88, 0x7f800000, v87
	s_delay_alu instid0(VALU_DEP_1) | instskip(SKIP_1) | instid1(SALU_CYCLE_1)
	v_cmp_ne_u32_e32 vcc_lo, 0x7f800000, v88
                                        ; implicit-def: $vgpr88
	s_and_saveexec_b32 s3, vcc_lo
	s_xor_b32 s3, exec_lo, s3
; %bb.33:
	v_bfe_u32 v88, v87, 16, 1
	s_delay_alu instid0(VALU_DEP_1)
	v_add3_u32 v88, v87, v88, 0x7fff
                                        ; implicit-def: $vgpr87
; %bb.34:
	s_and_not1_saveexec_b32 s3, s3
; %bb.35:
	v_and_b32_e32 v88, 0xffff, v87
	v_or_b32_e32 v90, 0x10000, v87
	s_delay_alu instid0(VALU_DEP_2) | instskip(NEXT) | instid1(VALU_DEP_2)
	v_cmp_eq_u32_e32 vcc_lo, 0, v88
	v_cndmask_b32_e32 v88, v90, v87, vcc_lo
; %bb.36:
	s_or_b32 exec_lo, exec_lo, s3
	v_and_b32_e32 v87, 0x7f800000, v84
	s_delay_alu instid0(VALU_DEP_1) | instskip(SKIP_1) | instid1(SALU_CYCLE_1)
	v_cmp_ne_u32_e32 vcc_lo, 0x7f800000, v87
                                        ; implicit-def: $vgpr87
	s_and_saveexec_b32 s3, vcc_lo
	s_xor_b32 s3, exec_lo, s3
; %bb.37:
	v_bfe_u32 v87, v84, 16, 1
	s_delay_alu instid0(VALU_DEP_1)
	v_add3_u32 v87, v84, v87, 0x7fff
                                        ; implicit-def: $vgpr84
; %bb.38:
	s_and_not1_saveexec_b32 s3, s3
; %bb.39:
	v_and_b32_e32 v87, 0xffff, v84
	v_or_b32_e32 v90, 0x10000, v84
	s_delay_alu instid0(VALU_DEP_2) | instskip(NEXT) | instid1(VALU_DEP_2)
	v_cmp_eq_u32_e32 vcc_lo, 0, v87
	v_cndmask_b32_e32 v87, v90, v84, vcc_lo
; %bb.40:
	s_or_b32 exec_lo, exec_lo, s3
	v_and_b32_e32 v84, 0x7f800000, v80
	s_delay_alu instid0(VALU_DEP_1) | instskip(SKIP_1) | instid1(SALU_CYCLE_1)
	v_cmp_ne_u32_e32 vcc_lo, 0x7f800000, v84
                                        ; implicit-def: $vgpr84
	s_and_saveexec_b32 s3, vcc_lo
	s_xor_b32 s3, exec_lo, s3
; %bb.41:
	v_bfe_u32 v84, v80, 16, 1
	s_delay_alu instid0(VALU_DEP_1)
	v_add3_u32 v84, v80, v84, 0x7fff
                                        ; implicit-def: $vgpr80
; %bb.42:
	s_and_not1_saveexec_b32 s3, s3
; %bb.43:
	v_and_b32_e32 v84, 0xffff, v80
	v_or_b32_e32 v90, 0x10000, v80
	s_delay_alu instid0(VALU_DEP_2) | instskip(NEXT) | instid1(VALU_DEP_2)
	v_cmp_eq_u32_e32 vcc_lo, 0, v84
	v_cndmask_b32_e32 v84, v90, v80, vcc_lo
; %bb.44:
	s_or_b32 exec_lo, exec_lo, s3
	s_load_b64 s[34:35], s[0:1], 0x94
	v_lshlrev_b32_e32 v91, 4, v74
	s_delay_alu instid0(VALU_DEP_2)
	v_perm_b32 v90, v84, v87, 0x7060302
	v_dual_mul_f32 v79, v82, v79 :: v_dual_lshlrev_b32 v80, 6, v65
	v_dual_mul_f32 v77, v82, v77 :: v_dual_lshlrev_b32 v92, 11, v66
	v_mul_f32_e32 v84, v82, v70
	v_perm_b32 v89, v88, v89, 0x7060302
	v_perm_b32 v88, v86, v85, 0x7060302
	;; [unrolled: 1-line block ×3, first 2 shown]
	v_mul_f32_e32 v70, v82, v81
	v_or3_b32 v76, v91, v92, v80
	v_dual_mul_f32 v78, v82, v78 :: v_dual_and_b32 v85, 0x7f800000, v84
	v_mul_f32_e32 v83, v82, v72
	v_mul_f32_e32 v81, v82, v71
	;; [unrolled: 1-line block ×3, first 2 shown]
	s_mov_b32 s3, exec_lo
	ds_store_b128 v76, v[87:90]
                                        ; implicit-def: $vgpr69
	v_cmpx_ne_u32_e32 0x7f800000, v85
	s_xor_b32 s3, exec_lo, s3
; %bb.45:
	v_bfe_u32 v69, v84, 16, 1
	s_delay_alu instid0(VALU_DEP_1)
	v_add3_u32 v69, v84, v69, 0x7fff
                                        ; implicit-def: $vgpr84
; %bb.46:
	s_and_not1_saveexec_b32 s3, s3
; %bb.47:
	v_and_b32_e32 v69, 0xffff, v84
	v_or_b32_e32 v71, 0x10000, v84
	s_delay_alu instid0(VALU_DEP_2) | instskip(NEXT) | instid1(VALU_DEP_2)
	v_cmp_eq_u32_e32 vcc_lo, 0, v69
	v_cndmask_b32_e32 v69, v71, v84, vcc_lo
; %bb.48:
	s_or_b32 exec_lo, exec_lo, s3
	v_and_b32_e32 v71, 0x7f800000, v72
	s_delay_alu instid0(VALU_DEP_1) | instskip(SKIP_1) | instid1(SALU_CYCLE_1)
	v_cmp_ne_u32_e32 vcc_lo, 0x7f800000, v71
                                        ; implicit-def: $vgpr71
	s_and_saveexec_b32 s3, vcc_lo
	s_xor_b32 s3, exec_lo, s3
; %bb.49:
	v_bfe_u32 v71, v72, 16, 1
	s_delay_alu instid0(VALU_DEP_1)
	v_add3_u32 v71, v72, v71, 0x7fff
                                        ; implicit-def: $vgpr72
; %bb.50:
	s_and_not1_saveexec_b32 s3, s3
; %bb.51:
	v_and_b32_e32 v71, 0xffff, v72
	v_or_b32_e32 v82, 0x10000, v72
	s_delay_alu instid0(VALU_DEP_2) | instskip(NEXT) | instid1(VALU_DEP_2)
	v_cmp_eq_u32_e32 vcc_lo, 0, v71
	v_cndmask_b32_e32 v71, v82, v72, vcc_lo
; %bb.52:
	s_or_b32 exec_lo, exec_lo, s3
	v_and_b32_e32 v72, 0x7f800000, v81
	s_delay_alu instid0(VALU_DEP_1) | instskip(SKIP_1) | instid1(SALU_CYCLE_1)
	v_cmp_ne_u32_e32 vcc_lo, 0x7f800000, v72
                                        ; implicit-def: $vgpr72
	s_and_saveexec_b32 s3, vcc_lo
	s_xor_b32 s3, exec_lo, s3
; %bb.53:
	v_bfe_u32 v72, v81, 16, 1
	s_delay_alu instid0(VALU_DEP_1)
	v_add3_u32 v72, v81, v72, 0x7fff
                                        ; implicit-def: $vgpr81
; %bb.54:
	s_and_not1_saveexec_b32 s3, s3
; %bb.55:
	v_and_b32_e32 v72, 0xffff, v81
	v_or_b32_e32 v82, 0x10000, v81
	s_delay_alu instid0(VALU_DEP_2) | instskip(NEXT) | instid1(VALU_DEP_2)
	v_cmp_eq_u32_e32 vcc_lo, 0, v72
	v_cndmask_b32_e32 v72, v82, v81, vcc_lo
; %bb.56:
	s_or_b32 exec_lo, exec_lo, s3
	v_and_b32_e32 v81, 0x7f800000, v83
	s_delay_alu instid0(VALU_DEP_1) | instskip(SKIP_1) | instid1(SALU_CYCLE_1)
	v_cmp_ne_u32_e32 vcc_lo, 0x7f800000, v81
                                        ; implicit-def: $vgpr81
	s_and_saveexec_b32 s3, vcc_lo
	s_xor_b32 s3, exec_lo, s3
; %bb.57:
	v_bfe_u32 v81, v83, 16, 1
	s_delay_alu instid0(VALU_DEP_1)
	v_add3_u32 v81, v83, v81, 0x7fff
                                        ; implicit-def: $vgpr83
; %bb.58:
	s_and_not1_saveexec_b32 s3, s3
; %bb.59:
	v_and_b32_e32 v81, 0xffff, v83
	v_or_b32_e32 v82, 0x10000, v83
	s_delay_alu instid0(VALU_DEP_2) | instskip(NEXT) | instid1(VALU_DEP_2)
	v_cmp_eq_u32_e32 vcc_lo, 0, v81
	v_cndmask_b32_e32 v81, v82, v83, vcc_lo
; %bb.60:
	s_or_b32 exec_lo, exec_lo, s3
	v_and_b32_e32 v82, 0x7f800000, v77
	s_delay_alu instid0(VALU_DEP_1) | instskip(SKIP_1) | instid1(SALU_CYCLE_1)
	v_cmp_ne_u32_e32 vcc_lo, 0x7f800000, v82
                                        ; implicit-def: $vgpr82
	s_and_saveexec_b32 s3, vcc_lo
	s_xor_b32 s3, exec_lo, s3
; %bb.61:
	v_bfe_u32 v82, v77, 16, 1
	s_delay_alu instid0(VALU_DEP_1)
	v_add3_u32 v82, v77, v82, 0x7fff
                                        ; implicit-def: $vgpr77
; %bb.62:
	s_and_not1_saveexec_b32 s3, s3
; %bb.63:
	v_and_b32_e32 v82, 0xffff, v77
	v_or_b32_e32 v83, 0x10000, v77
	s_delay_alu instid0(VALU_DEP_2) | instskip(NEXT) | instid1(VALU_DEP_2)
	v_cmp_eq_u32_e32 vcc_lo, 0, v82
	v_cndmask_b32_e32 v82, v83, v77, vcc_lo
; %bb.64:
	s_or_b32 exec_lo, exec_lo, s3
	v_and_b32_e32 v77, 0x7f800000, v78
	s_delay_alu instid0(VALU_DEP_1) | instskip(SKIP_1) | instid1(SALU_CYCLE_1)
	v_cmp_ne_u32_e32 vcc_lo, 0x7f800000, v77
                                        ; implicit-def: $vgpr77
	s_and_saveexec_b32 s3, vcc_lo
	s_xor_b32 s3, exec_lo, s3
; %bb.65:
	v_bfe_u32 v77, v78, 16, 1
	s_delay_alu instid0(VALU_DEP_1)
	v_add3_u32 v77, v78, v77, 0x7fff
                                        ; implicit-def: $vgpr78
; %bb.66:
	s_and_not1_saveexec_b32 s3, s3
; %bb.67:
	v_and_b32_e32 v77, 0xffff, v78
	v_or_b32_e32 v83, 0x10000, v78
	s_delay_alu instid0(VALU_DEP_2) | instskip(NEXT) | instid1(VALU_DEP_2)
	v_cmp_eq_u32_e32 vcc_lo, 0, v77
	v_cndmask_b32_e32 v77, v83, v78, vcc_lo
; %bb.68:
	s_or_b32 exec_lo, exec_lo, s3
	v_and_b32_e32 v78, 0x7f800000, v79
	s_delay_alu instid0(VALU_DEP_1) | instskip(SKIP_1) | instid1(SALU_CYCLE_1)
	v_cmp_ne_u32_e32 vcc_lo, 0x7f800000, v78
                                        ; implicit-def: $vgpr78
	s_and_saveexec_b32 s3, vcc_lo
	s_xor_b32 s3, exec_lo, s3
; %bb.69:
	v_bfe_u32 v78, v79, 16, 1
	s_delay_alu instid0(VALU_DEP_1)
	v_add3_u32 v78, v79, v78, 0x7fff
                                        ; implicit-def: $vgpr79
; %bb.70:
	s_and_not1_saveexec_b32 s3, s3
; %bb.71:
	v_and_b32_e32 v78, 0xffff, v79
	v_or_b32_e32 v83, 0x10000, v79
	s_delay_alu instid0(VALU_DEP_2) | instskip(NEXT) | instid1(VALU_DEP_2)
	v_cmp_eq_u32_e32 vcc_lo, 0, v78
	v_cndmask_b32_e32 v78, v83, v79, vcc_lo
; %bb.72:
	s_or_b32 exec_lo, exec_lo, s3
	v_and_b32_e32 v79, 0x7f800000, v70
	s_delay_alu instid0(VALU_DEP_1) | instskip(SKIP_1) | instid1(SALU_CYCLE_1)
	v_cmp_ne_u32_e32 vcc_lo, 0x7f800000, v79
                                        ; implicit-def: $vgpr79
	s_and_saveexec_b32 s3, vcc_lo
	s_xor_b32 s3, exec_lo, s3
; %bb.73:
	v_bfe_u32 v79, v70, 16, 1
	s_delay_alu instid0(VALU_DEP_1)
	v_add3_u32 v79, v70, v79, 0x7fff
                                        ; implicit-def: $vgpr70
; %bb.74:
	s_and_not1_saveexec_b32 s3, s3
; %bb.75:
	v_and_b32_e32 v79, 0xffff, v70
	v_or_b32_e32 v83, 0x10000, v70
	s_delay_alu instid0(VALU_DEP_2) | instskip(NEXT) | instid1(VALU_DEP_2)
	v_cmp_eq_u32_e32 vcc_lo, 0, v79
	v_cndmask_b32_e32 v79, v83, v70, vcc_lo
; %bb.76:
	s_or_b32 exec_lo, exec_lo, s3
	s_delay_alu instid0(VALU_DEP_1)
	v_perm_b32 v86, v79, v78, 0x7060302
	v_perm_b32 v85, v77, v82, 0x7060302
	;; [unrolled: 1-line block ×4, first 2 shown]
	v_lshl_or_b32 v82, v66, 11, v80
	ds_store_b128 v76, v[83:86] offset:1024
	s_waitcnt lgkmcnt(0)
	s_barrier
	buffer_gl0_inv
	ds_load_b128 v[69:72], v82
	ds_load_b128 v[83:86], v82 offset:16
	s_waitcnt lgkmcnt(1)
	v_lshrrev_b32_e32 v66, 16, v69
	s_waitcnt lgkmcnt(0)
	v_lshrrev_b32_e32 v91, 16, v83
	v_lshlrev_b32_e32 v78, 2, v74
	v_lshrrev_b32_e32 v95, 16, v70
	v_lshrrev_b32_e32 v98, 16, v84
	;; [unrolled: 1-line block ×4, first 2 shown]
	v_cmp_eq_u32_e32 vcc_lo, 1, v78
	v_lshrrev_b32_e32 v97, 16, v72
	v_lshrrev_b32_e32 v100, 16, v86
	v_cndmask_b32_e32 v87, v83, v91, vcc_lo
	v_or_b32_e32 v79, 1, v78
	v_cndmask_b32_e32 v81, v69, v66, vcc_lo
	v_cmp_eq_u32_e64 s4, 2, v78
	v_cmp_eq_u32_e64 s7, 3, v78
	;; [unrolled: 1-line block ×5, first 2 shown]
	v_cndmask_b32_e64 v81, v81, v70, s4
	v_cndmask_b32_e64 v87, v87, v84, s4
	v_cmp_eq_u32_e64 s8, 3, v79
	v_cndmask_b32_e64 v88, v69, v66, s3
	v_or_b32_e32 v77, 2, v78
	v_cndmask_b32_e64 v81, v81, v95, s7
	v_cndmask_b32_e64 v87, v87, v98, s7
	;; [unrolled: 1-line block ×4, first 2 shown]
	v_cmp_eq_u32_e64 s10, 5, v78
	v_cndmask_b32_e64 v81, v81, v71, s9
	v_cndmask_b32_e64 v87, v87, v85, s9
	v_cmp_eq_u32_e64 s11, 4, v79
	v_cndmask_b32_e64 v88, v88, v95, s8
	v_cmp_eq_u32_e64 s5, 1, v77
	v_cndmask_b32_e64 v89, v89, v84, s6
	v_cndmask_b32_e64 v81, v81, v96, s10
	v_cmp_eq_u32_e64 s12, 6, v78
	v_cndmask_b32_e64 v88, v88, v71, s11
	;; [unrolled: 3-line block ×3, first 2 shown]
	v_cndmask_b32_e64 v89, v89, v98, s8
	v_cndmask_b32_e64 v81, v81, v72, s12
	v_cmp_eq_u32_e64 s15, 7, v78
	v_cndmask_b32_e64 v88, v88, v96, s13
	v_cndmask_b32_e64 v87, v87, v86, s12
	v_cmp_eq_u32_e64 s16, 6, v79
	v_cmp_eq_u32_e64 s17, 2, v77
	v_cndmask_b32_e64 v89, v89, v85, s11
	v_cndmask_b32_e64 v101, v81, v97, s15
	;; [unrolled: 1-line block ×6, first 2 shown]
	v_cmp_eq_u32_e64 s18, 7, v79
	v_cmp_eq_u32_e64 s19, 3, v77
	;; [unrolled: 1-line block ×4, first 2 shown]
	v_cndmask_b32_e64 v87, v87, v84, s17
	v_cndmask_b32_e64 v103, v88, v97, s18
	;; [unrolled: 1-line block ×4, first 2 shown]
	v_or_b32_e32 v81, 3, v78
	v_cndmask_b32_e64 v93, v87, v98, s19
	v_cmp_eq_u32_e64 s24, 6, v77
	v_cndmask_b32_e64 v104, v88, v86, s16
	v_cndmask_b32_e64 v92, v89, v71, s20
	v_cmp_eq_u32_e64 s21, 1, v81
	ds_load_b128 v[87:90], v82 offset:1024
	v_cmp_eq_u32_e64 s23, 2, v81
	v_cmp_eq_u32_e64 s25, 3, v81
	v_cndmask_b32_e64 v105, v92, v96, s22
	v_cndmask_b32_e64 v66, v69, v66, s21
	;; [unrolled: 1-line block ×4, first 2 shown]
	ds_load_b128 v[91:94], v82 offset:1040
	v_cmp_eq_u32_e64 s26, 4, v81
	v_cndmask_b32_e64 v66, v66, v70, s23
	v_cmp_eq_u32_e64 s27, 7, v77
	v_cndmask_b32_e64 v70, v83, v84, s23
	v_cndmask_b32_e64 v84, v105, v72, s24
	v_cmp_eq_u32_e64 s28, 5, v81
	v_cndmask_b32_e64 v66, v66, v95, s25
	v_cmp_eq_u32_e64 s29, 6, v81
	v_cndmask_b32_e64 v70, v70, v98, s25
	v_cndmask_b32_e64 v69, v69, v99, s22
	;; [unrolled: 1-line block ×4, first 2 shown]
	s_waitcnt lgkmcnt(1)
	v_lshrrev_b32_e32 v95, 16, v87
	v_cndmask_b32_e64 v70, v70, v85, s26
	v_cndmask_b32_e64 v71, v84, v97, s27
	;; [unrolled: 1-line block ×4, first 2 shown]
	v_cndmask_b32_e32 v84, v87, v95, vcc_lo
	v_cndmask_b32_e64 v70, v70, v99, s28
	s_waitcnt lgkmcnt(0)
	v_lshrrev_b32_e32 v85, 16, v91
	v_lshrrev_b32_e32 v96, 16, v88
	v_cndmask_b32_e64 v98, v87, v95, s3
	v_cndmask_b32_e64 v84, v84, v88, s4
	;; [unrolled: 1-line block ×3, first 2 shown]
	v_cndmask_b32_e32 v99, v91, v85, vcc_lo
	v_cmp_eq_u32_e32 vcc_lo, 7, v81
	v_cndmask_b32_e64 v66, v66, v72, s29
	v_cndmask_b32_e64 v72, v84, v96, s7
	;; [unrolled: 1-line block ×3, first 2 shown]
	v_lshrrev_b32_e32 v98, 16, v92
	v_cndmask_b32_e32 v70, v70, v100, vcc_lo
	v_cndmask_b32_e64 v86, v99, v92, s4
	v_cndmask_b32_e64 v69, v69, v100, s27
	v_lshrrev_b32_e32 v100, 16, v93
	v_cndmask_b32_e64 v72, v72, v89, s9
	v_lshrrev_b32_e32 v99, 16, v89
	v_cndmask_b32_e64 v86, v86, v98, s7
	v_perm_b32 v71, v69, v71, 0x5040100
	v_cndmask_b32_e64 v84, v84, v96, s8
	s_delay_alu instid0(VALU_DEP_3) | instskip(NEXT) | instid1(VALU_DEP_2)
	v_cndmask_b32_e64 v86, v86, v93, s9
	v_cndmask_b32_e64 v84, v84, v89, s11
	s_delay_alu instid0(VALU_DEP_2) | instskip(NEXT) | instid1(VALU_DEP_1)
	v_cndmask_b32_e64 v86, v86, v100, s10
	v_cndmask_b32_e64 v69, v86, v94, s12
	;; [unrolled: 1-line block ×5, first 2 shown]
	s_delay_alu instid0(VALU_DEP_3) | instskip(NEXT) | instid1(VALU_DEP_3)
	v_cndmask_b32_e64 v86, v86, v88, s17
	v_cndmask_b32_e64 v87, v87, v88, s23
	s_delay_alu instid0(VALU_DEP_3) | instskip(NEXT) | instid1(VALU_DEP_3)
	v_cndmask_b32_e64 v88, v95, v92, s23
	v_cndmask_b32_e64 v86, v86, v96, s19
	s_delay_alu instid0(VALU_DEP_3) | instskip(NEXT) | instid1(VALU_DEP_3)
	v_cndmask_b32_e64 v87, v87, v96, s25
	v_cndmask_b32_e64 v88, v88, v98, s25
	s_delay_alu instid0(VALU_DEP_3) | instskip(NEXT) | instid1(VALU_DEP_3)
	v_cndmask_b32_e64 v86, v86, v89, s20
	v_cndmask_b32_e64 v87, v87, v89, s26
	s_delay_alu instid0(VALU_DEP_3) | instskip(NEXT) | instid1(VALU_DEP_3)
	v_cndmask_b32_e64 v88, v88, v93, s26
	v_cndmask_b32_e64 v86, v86, v99, s22
	s_delay_alu instid0(VALU_DEP_3) | instskip(NEXT) | instid1(VALU_DEP_3)
	v_cndmask_b32_e64 v87, v87, v99, s28
	v_cndmask_b32_e64 v88, v88, v100, s28
	s_delay_alu instid0(VALU_DEP_3) | instskip(NEXT) | instid1(VALU_DEP_3)
	v_cndmask_b32_e64 v86, v86, v90, s24
	v_cndmask_b32_e64 v87, v87, v90, s29
	s_delay_alu instid0(VALU_DEP_3) | instskip(SKIP_2) | instid1(VALU_DEP_2)
	v_cndmask_b32_e64 v88, v88, v94, s29
	v_cndmask_b32_e32 v66, v66, v97, vcc_lo
	v_cndmask_b32_e64 v97, v72, v99, s10
	v_perm_b32 v72, v70, v66, 0x5040100
	v_perm_b32 v70, v83, v103, 0x5040100
	v_cndmask_b32_e64 v103, v91, v85, s5
	v_cndmask_b32_e64 v85, v91, v85, s3
	;; [unrolled: 1-line block ×4, first 2 shown]
	v_lshrrev_b32_e32 v97, 16, v90
	v_cndmask_b32_e64 v91, v103, v92, s17
	v_cndmask_b32_e64 v85, v85, v92, s6
	;; [unrolled: 1-line block ×3, first 2 shown]
	s_mov_b32 s3, exec_lo
	v_cndmask_b32_e64 v83, v84, v97, s15
	v_cndmask_b32_e64 v91, v91, v98, s19
	v_cndmask_b32_e64 v85, v85, v98, s8
	v_lshrrev_b32_e32 v84, 16, v94
	v_cndmask_b32_e64 v66, v66, v97, s18
	v_cndmask_b32_e64 v90, v86, v97, s27
	;; [unrolled: 1-line block ×4, first 2 shown]
	v_dual_cndmask_b32 v86, v87, v97 :: v_dual_cndmask_b32 v87, v88, v84
	v_cndmask_b32_e64 v91, v69, v84, s15
	s_delay_alu instid0(VALU_DEP_4) | instskip(NEXT) | instid1(VALU_DEP_4)
	v_cndmask_b32_e64 v89, v89, v100, s22
	v_cndmask_b32_e64 v85, v85, v100, s13
	v_perm_b32 v69, v102, v101, 0x5040100
	v_perm_b32 v86, v87, v86, 0x5040100
	;; [unrolled: 1-line block ×3, first 2 shown]
	v_cndmask_b32_e64 v89, v89, v94, s24
	v_cndmask_b32_e64 v85, v85, v94, s16
	s_mul_i32 s8, s35, 14
	s_delay_alu instid0(VALU_DEP_2) | instskip(NEXT) | instid1(VALU_DEP_2)
	v_cndmask_b32_e64 v88, v89, v84, s27
	v_cndmask_b32_e64 v89, v85, v84, s18
	s_delay_alu instid0(VALU_DEP_2) | instskip(NEXT) | instid1(VALU_DEP_2)
	v_perm_b32 v85, v88, v90, 0x5040100
	v_perm_b32 v84, v89, v66, 0x5040100
	ds_store_b128 v76, v[69:72]
	ds_store_b128 v76, v[83:86] offset:1024
	v_cmpx_gt_u32_e32 14, v0
	s_cbranch_execz .LBB1439_78
; %bb.77:
	s_mul_i32 s4, s8, s30
	s_delay_alu instid0(SALU_CYCLE_1) | instskip(SKIP_1) | instid1(VALU_DEP_1)
	v_add3_u32 v69, s4, s31, v65
	s_load_b128 s[4:7], s[0:1], 0x58
	v_mad_u64_u32 v[65:66], null, v69, s34, s[14:15]
	s_delay_alu instid0(VALU_DEP_1) | instskip(NEXT) | instid1(VALU_DEP_1)
	v_ashrrev_i32_e32 v66, 31, v65
	v_lshlrev_b64 v[65:66], 2, v[65:66]
	s_waitcnt lgkmcnt(0)
	s_delay_alu instid0(VALU_DEP_1) | instskip(NEXT) | instid1(VALU_DEP_2)
	v_add_co_u32 v69, vcc_lo, s6, v65
	v_add_co_ci_u32_e32 v70, vcc_lo, s7, v66, vcc_lo
	v_add_co_u32 v65, vcc_lo, s4, v65
	v_add_co_ci_u32_e32 v66, vcc_lo, s5, v66, vcc_lo
	global_store_b32 v[69:70], v67, off
	global_store_b32 v[65:66], v68, off
.LBB1439_78:
	s_or_b32 exec_lo, exec_lo, s3
	s_waitcnt lgkmcnt(0)
	s_waitcnt_vscnt null, 0x0
	s_barrier
	buffer_gl0_inv
	ds_load_b128 v[83:86], v80
	ds_load_b128 v[87:90], v80 offset:16
	ds_load_b128 v[95:98], v80 offset:2064
	;; [unrolled: 1-line block ×3, first 2 shown]
	v_mov_b32_e32 v65, 0
	ds_load_b128 v[103:106], v80 offset:4112
	ds_load_b128 v[99:102], v80 offset:4096
	;; [unrolled: 1-line block ×4, first 2 shown]
	v_mov_b32_e32 v66, v65
	v_mov_b32_e32 v67, v65
	;; [unrolled: 1-line block ×7, first 2 shown]
	s_waitcnt lgkmcnt(6)
	s_delay_alu instid0(VALU_DEP_1)
	v_wmma_f32_16x16x16_bf16 v[65:72], v[57:64], v[83:90], v[65:72]
	ds_load_b128 v[61:64], v80 offset:8208
	ds_load_b128 v[57:60], v80 offset:8192
	s_waitcnt lgkmcnt(6)
	v_wmma_f32_16x16x16_bf16 v[65:72], v[41:48], v[91:98], v[65:72]
	ds_load_b128 v[45:48], v80 offset:10256
	ds_load_b128 v[41:44], v80 offset:10240
	s_waitcnt lgkmcnt(6)
	;; [unrolled: 4-line block ×4, first 2 shown]
	v_wmma_f32_16x16x16_bf16 v[65:72], v[1:8], v[57:64], v[65:72]
	s_waitcnt lgkmcnt(4)
	s_delay_alu instid0(VALU_DEP_1) | instskip(SKIP_1) | instid1(VALU_DEP_1)
	v_wmma_f32_16x16x16_bf16 v[65:72], v[9:16], v[41:48], v[65:72]
	s_waitcnt lgkmcnt(2)
	v_wmma_f32_16x16x16_bf16 v[65:72], v[17:24], v[33:40], v[65:72]
	s_waitcnt lgkmcnt(0)
	s_delay_alu instid0(VALU_DEP_1) | instskip(NEXT) | instid1(VALU_DEP_1)
	v_wmma_f32_16x16x16_bf16 v[65:72], v[49:56], v[25:32], v[65:72]
	v_and_b32_e32 v1, 0x7f800000, v65
	s_delay_alu instid0(VALU_DEP_1) | instskip(SKIP_1) | instid1(SALU_CYCLE_1)
	v_cmp_ne_u32_e32 vcc_lo, 0x7f800000, v1
                                        ; implicit-def: $vgpr1
	s_and_saveexec_b32 s3, vcc_lo
	s_xor_b32 s3, exec_lo, s3
; %bb.79:
	v_bfe_u32 v1, v65, 16, 1
	s_delay_alu instid0(VALU_DEP_1)
	v_add3_u32 v1, v65, v1, 0x7fff
; %bb.80:
	s_and_not1_saveexec_b32 s3, s3
; %bb.81:
	v_and_b32_e32 v1, 0xffff, v65
	v_or_b32_e32 v2, 0x10000, v65
	s_delay_alu instid0(VALU_DEP_2) | instskip(NEXT) | instid1(VALU_DEP_2)
	v_cmp_eq_u32_e32 vcc_lo, 0, v1
	v_cndmask_b32_e32 v1, v2, v65, vcc_lo
; %bb.82:
	s_or_b32 exec_lo, exec_lo, s3
	v_and_b32_e32 v2, 0x7f800000, v66
	s_delay_alu instid0(VALU_DEP_1) | instskip(SKIP_1) | instid1(SALU_CYCLE_1)
	v_cmp_ne_u32_e32 vcc_lo, 0x7f800000, v2
                                        ; implicit-def: $vgpr2
	s_and_saveexec_b32 s3, vcc_lo
	s_xor_b32 s3, exec_lo, s3
; %bb.83:
	v_bfe_u32 v2, v66, 16, 1
	s_delay_alu instid0(VALU_DEP_1)
	v_add3_u32 v2, v66, v2, 0x7fff
; %bb.84:
	s_and_not1_saveexec_b32 s3, s3
; %bb.85:
	v_and_b32_e32 v2, 0xffff, v66
	v_or_b32_e32 v3, 0x10000, v66
	s_delay_alu instid0(VALU_DEP_2) | instskip(NEXT) | instid1(VALU_DEP_2)
	v_cmp_eq_u32_e32 vcc_lo, 0, v2
	v_cndmask_b32_e32 v2, v3, v66, vcc_lo
; %bb.86:
	s_or_b32 exec_lo, exec_lo, s3
	v_and_b32_e32 v3, 0x7f800000, v67
	s_delay_alu instid0(VALU_DEP_1) | instskip(SKIP_1) | instid1(SALU_CYCLE_1)
	v_cmp_ne_u32_e32 vcc_lo, 0x7f800000, v3
                                        ; implicit-def: $vgpr3
	s_and_saveexec_b32 s3, vcc_lo
	s_xor_b32 s3, exec_lo, s3
; %bb.87:
	v_bfe_u32 v3, v67, 16, 1
	s_delay_alu instid0(VALU_DEP_1)
	v_add3_u32 v3, v67, v3, 0x7fff
; %bb.88:
	s_and_not1_saveexec_b32 s3, s3
; %bb.89:
	v_and_b32_e32 v3, 0xffff, v67
	v_or_b32_e32 v4, 0x10000, v67
	s_delay_alu instid0(VALU_DEP_2) | instskip(NEXT) | instid1(VALU_DEP_2)
	v_cmp_eq_u32_e32 vcc_lo, 0, v3
	v_cndmask_b32_e32 v3, v4, v67, vcc_lo
; %bb.90:
	s_or_b32 exec_lo, exec_lo, s3
	v_and_b32_e32 v4, 0x7f800000, v68
	s_delay_alu instid0(VALU_DEP_1) | instskip(SKIP_1) | instid1(SALU_CYCLE_1)
	v_cmp_ne_u32_e32 vcc_lo, 0x7f800000, v4
                                        ; implicit-def: $vgpr4
	s_and_saveexec_b32 s3, vcc_lo
	s_xor_b32 s3, exec_lo, s3
; %bb.91:
	v_bfe_u32 v4, v68, 16, 1
	s_delay_alu instid0(VALU_DEP_1)
	v_add3_u32 v4, v68, v4, 0x7fff
; %bb.92:
	s_and_not1_saveexec_b32 s3, s3
; %bb.93:
	v_and_b32_e32 v4, 0xffff, v68
	v_or_b32_e32 v5, 0x10000, v68
	s_delay_alu instid0(VALU_DEP_2) | instskip(NEXT) | instid1(VALU_DEP_2)
	v_cmp_eq_u32_e32 vcc_lo, 0, v4
	v_cndmask_b32_e32 v4, v5, v68, vcc_lo
; %bb.94:
	s_or_b32 exec_lo, exec_lo, s3
	v_and_b32_e32 v5, 0x7f800000, v69
	s_delay_alu instid0(VALU_DEP_1) | instskip(SKIP_1) | instid1(SALU_CYCLE_1)
	v_cmp_ne_u32_e32 vcc_lo, 0x7f800000, v5
                                        ; implicit-def: $vgpr5
	s_and_saveexec_b32 s3, vcc_lo
	s_xor_b32 s3, exec_lo, s3
; %bb.95:
	v_bfe_u32 v5, v69, 16, 1
	s_delay_alu instid0(VALU_DEP_1)
	v_add3_u32 v5, v69, v5, 0x7fff
; %bb.96:
	s_and_not1_saveexec_b32 s3, s3
; %bb.97:
	v_and_b32_e32 v5, 0xffff, v69
	v_or_b32_e32 v6, 0x10000, v69
	s_delay_alu instid0(VALU_DEP_2) | instskip(NEXT) | instid1(VALU_DEP_2)
	v_cmp_eq_u32_e32 vcc_lo, 0, v5
	v_cndmask_b32_e32 v5, v6, v69, vcc_lo
; %bb.98:
	s_or_b32 exec_lo, exec_lo, s3
	v_and_b32_e32 v6, 0x7f800000, v70
	s_delay_alu instid0(VALU_DEP_1) | instskip(SKIP_1) | instid1(SALU_CYCLE_1)
	v_cmp_ne_u32_e32 vcc_lo, 0x7f800000, v6
                                        ; implicit-def: $vgpr6
	s_and_saveexec_b32 s3, vcc_lo
	s_xor_b32 s3, exec_lo, s3
; %bb.99:
	v_bfe_u32 v6, v70, 16, 1
	s_delay_alu instid0(VALU_DEP_1)
	v_add3_u32 v6, v70, v6, 0x7fff
; %bb.100:
	s_and_not1_saveexec_b32 s3, s3
; %bb.101:
	v_and_b32_e32 v6, 0xffff, v70
	v_or_b32_e32 v7, 0x10000, v70
	s_delay_alu instid0(VALU_DEP_2) | instskip(NEXT) | instid1(VALU_DEP_2)
	v_cmp_eq_u32_e32 vcc_lo, 0, v6
	v_cndmask_b32_e32 v6, v7, v70, vcc_lo
; %bb.102:
	s_or_b32 exec_lo, exec_lo, s3
	v_and_b32_e32 v7, 0x7f800000, v71
	s_delay_alu instid0(VALU_DEP_1) | instskip(SKIP_1) | instid1(SALU_CYCLE_1)
	v_cmp_ne_u32_e32 vcc_lo, 0x7f800000, v7
                                        ; implicit-def: $vgpr7
	s_and_saveexec_b32 s3, vcc_lo
	s_xor_b32 s3, exec_lo, s3
; %bb.103:
	v_bfe_u32 v7, v71, 16, 1
	s_delay_alu instid0(VALU_DEP_1)
	v_add3_u32 v7, v71, v7, 0x7fff
; %bb.104:
	s_and_not1_saveexec_b32 s3, s3
; %bb.105:
	v_and_b32_e32 v7, 0xffff, v71
	v_or_b32_e32 v8, 0x10000, v71
	s_delay_alu instid0(VALU_DEP_2) | instskip(NEXT) | instid1(VALU_DEP_2)
	v_cmp_eq_u32_e32 vcc_lo, 0, v7
	v_cndmask_b32_e32 v7, v8, v71, vcc_lo
; %bb.106:
	s_or_b32 exec_lo, exec_lo, s3
	v_and_b32_e32 v8, 0x7f800000, v72
	s_delay_alu instid0(VALU_DEP_1) | instskip(SKIP_1) | instid1(SALU_CYCLE_1)
	v_cmp_ne_u32_e32 vcc_lo, 0x7f800000, v8
                                        ; implicit-def: $vgpr8
	s_and_saveexec_b32 s3, vcc_lo
	s_xor_b32 s3, exec_lo, s3
; %bb.107:
	v_bfe_u32 v8, v72, 16, 1
	s_delay_alu instid0(VALU_DEP_1)
	v_add3_u32 v8, v72, v8, 0x7fff
                                        ; implicit-def: $vgpr65_vgpr66_vgpr67_vgpr68_vgpr69_vgpr70_vgpr71_vgpr72
; %bb.108:
	s_and_not1_saveexec_b32 s3, s3
; %bb.109:
	v_and_b32_e32 v8, 0xffff, v72
	v_or_b32_e32 v9, 0x10000, v72
	s_delay_alu instid0(VALU_DEP_2) | instskip(NEXT) | instid1(VALU_DEP_2)
	v_cmp_eq_u32_e32 vcc_lo, 0, v8
	v_cndmask_b32_e32 v8, v9, v72, vcc_lo
; %bb.110:
	s_or_b32 exec_lo, exec_lo, s3
	s_delay_alu instid0(VALU_DEP_1)
	v_perm_b32 v7, v8, v7, 0x7060302
	v_perm_b32 v6, v6, v5, 0x7060302
	;; [unrolled: 1-line block ×4, first 2 shown]
	s_barrier
	buffer_gl0_inv
	v_cmp_eq_u32_e32 vcc_lo, 1, v78
	ds_store_b128 v76, v[4:7]
	s_waitcnt lgkmcnt(0)
	s_barrier
	buffer_gl0_inv
	ds_load_b128 v[1:4], v82
	ds_load_b128 v[5:8], v82 offset:16
	v_cmp_eq_u32_e64 s3, 1, v79
	v_cmp_eq_u32_e64 s4, 2, v78
	v_cmp_eq_u32_e64 s5, 3, v78
	v_cmp_eq_u32_e64 s7, 2, v77
	v_cmp_eq_u32_e64 s6, 7, v79
	s_waitcnt lgkmcnt(1)
	v_lshrrev_b32_e32 v9, 16, v1
	s_waitcnt lgkmcnt(0)
	v_lshrrev_b32_e32 v13, 16, v5
	v_lshrrev_b32_e32 v10, 16, v2
	;; [unrolled: 1-line block ×4, first 2 shown]
	v_cndmask_b32_e64 v19, v1, v9, s3
	v_cndmask_b32_e32 v18, v5, v13, vcc_lo
	v_cndmask_b32_e64 v20, v5, v13, s3
	v_cndmask_b32_e32 v17, v1, v9, vcc_lo
	v_cmp_eq_u32_e32 vcc_lo, 2, v79
	v_lshrrev_b32_e32 v15, 16, v7
	v_cmp_eq_u32_e64 s3, 1, v77
	v_lshrrev_b32_e32 v12, 16, v4
	v_lshrrev_b32_e32 v16, 16, v8
	v_cndmask_b32_e32 v20, v20, v6, vcc_lo
	v_cndmask_b32_e64 v17, v17, v2, s4
	v_cndmask_b32_e32 v19, v19, v2, vcc_lo
	v_cndmask_b32_e64 v18, v18, v6, s4
	v_cmp_eq_u32_e32 vcc_lo, 4, v78
	v_cmp_eq_u32_e64 s4, 3, v79
	v_cndmask_b32_e64 v17, v17, v10, s5
	v_cndmask_b32_e64 v21, v1, v9, s3
	;; [unrolled: 1-line block ×5, first 2 shown]
	v_cndmask_b32_e32 v17, v17, v3, vcc_lo
	v_cndmask_b32_e64 v20, v20, v14, s4
	v_cndmask_b32_e32 v18, v18, v7, vcc_lo
	v_cmp_eq_u32_e32 vcc_lo, 4, v79
	v_cmp_eq_u32_e64 s4, 5, v79
	v_cmp_eq_u32_e64 s3, 2, v81
	v_cndmask_b32_e64 v21, v21, v2, s7
	v_cmp_eq_u32_e64 s5, 5, v78
	v_cndmask_b32_e32 v19, v19, v3, vcc_lo
	v_cndmask_b32_e32 v20, v20, v7, vcc_lo
	v_cmp_eq_u32_e32 vcc_lo, 6, v79
	s_delay_alu instid0(VALU_DEP_4) | instskip(NEXT) | instid1(VALU_DEP_4)
	v_cndmask_b32_e64 v17, v17, v11, s5
	v_cndmask_b32_e64 v19, v19, v11, s4
	s_delay_alu instid0(VALU_DEP_4) | instskip(SKIP_1) | instid1(VALU_DEP_3)
	v_cndmask_b32_e64 v20, v20, v15, s4
	v_cmp_eq_u32_e64 s4, 1, v81
	v_cndmask_b32_e32 v19, v19, v4, vcc_lo
	v_cndmask_b32_e64 v18, v18, v15, s5
	s_delay_alu instid0(VALU_DEP_3)
	v_cndmask_b32_e64 v1, v1, v9, s4
	v_cndmask_b32_e64 v5, v5, v13, s4
	v_cmp_eq_u32_e64 s4, 3, v77
	v_cndmask_b32_e64 v13, v22, v6, s7
	v_cmp_eq_u32_e64 s7, 3, v81
	v_cndmask_b32_e64 v1, v1, v2, s3
	v_cndmask_b32_e64 v2, v5, v6, s3
	;; [unrolled: 1-line block ×3, first 2 shown]
	v_cmp_eq_u32_e64 s3, 4, v77
	v_cndmask_b32_e64 v6, v13, v14, s4
	v_cndmask_b32_e64 v1, v1, v10, s7
	v_cmp_eq_u32_e64 s4, 4, v81
	v_cndmask_b32_e64 v2, v2, v14, s7
	v_cndmask_b32_e64 v5, v9, v3, s3
	;; [unrolled: 3-line block ×3, first 2 shown]
	v_cndmask_b32_e64 v2, v2, v7, s4
	v_cmp_eq_u32_e64 s3, 5, v81
	v_cmp_eq_u32_e64 s5, 6, v78
	v_cndmask_b32_e64 v5, v5, v11, s7
	v_cmp_eq_u32_e64 s4, 6, v77
	v_cndmask_b32_e64 v3, v6, v15, s7
	v_cndmask_b32_e64 v1, v1, v11, s3
	v_cmp_eq_u32_e64 s7, 6, v81
	v_cndmask_b32_e64 v2, v2, v15, s3
	v_cndmask_b32_e64 v17, v17, v4, s5
	v_cndmask_b32_e64 v18, v18, v8, s5
	v_cmp_eq_u32_e64 s5, 7, v78
	v_cndmask_b32_e64 v5, v5, v4, s4
	;; [unrolled: 4-line block ×3, first 2 shown]
	v_cmp_eq_u32_e64 s4, 7, v77
	v_cndmask_b32_e32 v4, v20, v8, vcc_lo
	v_cndmask_b32_e64 v17, v17, v12, s5
	v_cndmask_b32_e64 v19, v19, v12, s6
	;; [unrolled: 1-line block ×8, first 2 shown]
	v_cmp_gt_u32_e32 vcc_lo, 32, v0
	v_perm_b32 v4, v2, v1, 0x5040100
	v_perm_b32 v3, v3, v5, 0x5040100
	v_perm_b32 v2, v6, v19, 0x5040100
	v_perm_b32 v1, v7, v17, 0x5040100
	s_and_b32 s2, vcc_lo, s2
	ds_store_b128 v76, v[1:4]
	s_waitcnt lgkmcnt(0)
	s_barrier
	buffer_gl0_inv
	s_and_saveexec_b32 s3, s2
	s_cbranch_execz .LBB1439_2
; %bb.111:
	s_load_b64 s[0:1], s[0:1], 0x68
	v_lshlrev_b32_e32 v0, 10, v0
	s_lshl_b32 s4, s34, 6
	v_or_b32_e32 v3, s31, v74
	s_mul_i32 s2, s4, s30
	v_lshlrev_b32_e32 v1, 4, v75
	v_lshlrev_b32_e32 v2, 6, v74
	v_and_b32_e32 v0, 0x3800, v0
	s_mul_i32 s2, s2, s8
	v_mul_lo_u32 v8, v3, s4
	s_ashr_i32 s3, s2, 31
	s_delay_alu instid0(SALU_CYCLE_1)
	s_lshl_b64 s[2:3], s[2:3], 1
	v_or3_b32 v16, v0, v1, v2
	ds_load_b128 v[0:3], v16
	ds_load_b128 v[4:7], v16 offset:128
	v_ashrrev_i32_e32 v9, 31, v8
	s_waitcnt lgkmcnt(0)
	s_add_u32 s2, s0, s2
	s_addc_u32 s3, s1, s3
	s_lshl_b32 s0, s14, 6
	s_delay_alu instid0(SALU_CYCLE_1) | instskip(SKIP_2) | instid1(SALU_CYCLE_1)
	s_ashr_i32 s1, s0, 31
	v_lshlrev_b64 v[9:10], 1, v[8:9]
	s_lshl_b64 s[0:1], s[0:1], 1
	s_add_u32 s0, s2, s0
	s_addc_u32 s1, s3, s1
	s_lshl_b32 s2, s34, 7
	v_add_co_u32 v30, s0, s0, v73
	v_add_nc_u32_e32 v11, s2, v8
	v_add_co_ci_u32_e64 v31, null, s1, 0, s0
	s_delay_alu instid0(VALU_DEP_3) | instskip(NEXT) | instid1(VALU_DEP_3)
	v_add_co_u32 v9, vcc_lo, v30, v9
	v_add_nc_u32_e32 v8, s2, v11
	s_delay_alu instid0(VALU_DEP_3) | instskip(SKIP_1) | instid1(VALU_DEP_3)
	v_add_co_ci_u32_e32 v10, vcc_lo, v31, v10, vcc_lo
	v_ashrrev_i32_e32 v12, 31, v11
	v_add_nc_u32_e32 v13, s2, v8
	global_store_b128 v[9:10], v[0:3], off
	v_ashrrev_i32_e32 v9, 31, v8
	v_lshlrev_b64 v[11:12], 1, v[11:12]
	v_ashrrev_i32_e32 v14, 31, v13
	v_add_nc_u32_e32 v10, s2, v13
	s_delay_alu instid0(VALU_DEP_4) | instskip(NEXT) | instid1(VALU_DEP_4)
	v_lshlrev_b64 v[2:3], 1, v[8:9]
	v_add_co_u32 v0, vcc_lo, v30, v11
	s_delay_alu instid0(VALU_DEP_4)
	v_lshlrev_b64 v[8:9], 1, v[13:14]
	v_add_co_ci_u32_e32 v1, vcc_lo, v31, v12, vcc_lo
	v_ashrrev_i32_e32 v11, 31, v10
	v_add_co_u32 v22, vcc_lo, v30, v2
	v_add_nc_u32_e32 v20, s2, v10
	v_add_co_ci_u32_e32 v23, vcc_lo, v31, v3, vcc_lo
	v_add_co_u32 v24, vcc_lo, v30, v8
	global_store_b128 v[0:1], v[4:7], off
	v_add_co_ci_u32_e32 v25, vcc_lo, v31, v9, vcc_lo
	ds_load_b128 v[0:3], v16 offset:256
	ds_load_b128 v[4:7], v16 offset:384
	v_lshlrev_b64 v[26:27], 1, v[10:11]
	ds_load_b128 v[8:11], v16 offset:512
	ds_load_b128 v[12:15], v16 offset:640
	;; [unrolled: 1-line block ×3, first 2 shown]
	v_add_nc_u32_e32 v28, s2, v20
	v_ashrrev_i32_e32 v21, 31, v20
	v_add_co_u32 v26, vcc_lo, v30, v26
	s_delay_alu instid0(VALU_DEP_3) | instskip(NEXT) | instid1(VALU_DEP_3)
	v_ashrrev_i32_e32 v29, 31, v28
	v_lshlrev_b64 v[20:21], 1, v[20:21]
	v_add_co_ci_u32_e32 v27, vcc_lo, v31, v27, vcc_lo
	s_delay_alu instid0(VALU_DEP_3) | instskip(NEXT) | instid1(VALU_DEP_3)
	v_lshlrev_b64 v[28:29], 1, v[28:29]
	v_add_co_u32 v20, vcc_lo, v30, v20
	s_delay_alu instid0(VALU_DEP_4) | instskip(NEXT) | instid1(VALU_DEP_3)
	v_add_co_ci_u32_e32 v21, vcc_lo, v31, v21, vcc_lo
	v_add_co_u32 v28, vcc_lo, v30, v28
	s_delay_alu instid0(VALU_DEP_4)
	v_add_co_ci_u32_e32 v29, vcc_lo, v31, v29, vcc_lo
	s_waitcnt lgkmcnt(4)
	global_store_b128 v[22:23], v[0:3], off
	s_waitcnt lgkmcnt(3)
	global_store_b128 v[24:25], v[4:7], off
	;; [unrolled: 2-line block ×5, first 2 shown]
	s_nop 0
	s_sendmsg sendmsg(MSG_DEALLOC_VGPRS)
	s_endpgm
	.section	.rodata,"a",@progbits
	.p2align	6, 0x0
	.amdhsa_kernel _Z39paged_attention_ll4mi_QKV_mfma16_kernelI14__hip_bfloat16hLN4vllm18Fp8KVCacheDataTypeE1EhLi32ELi64ELi256ELb1ELi14EL8MFMAType1EEvPKT_PKT0_S9_ifPKiSB_SB_iPKfiiiPfSE_PS4_PT2_iSD_SD_
		.amdhsa_group_segment_fixed_size 17472
		.amdhsa_private_segment_fixed_size 0
		.amdhsa_kernarg_size 400
		.amdhsa_user_sgpr_count 13
		.amdhsa_user_sgpr_dispatch_ptr 0
		.amdhsa_user_sgpr_queue_ptr 0
		.amdhsa_user_sgpr_kernarg_segment_ptr 1
		.amdhsa_user_sgpr_dispatch_id 0
		.amdhsa_user_sgpr_private_segment_size 0
		.amdhsa_wavefront_size32 1
		.amdhsa_uses_dynamic_stack 0
		.amdhsa_enable_private_segment 0
		.amdhsa_system_sgpr_workgroup_id_x 1
		.amdhsa_system_sgpr_workgroup_id_y 1
		.amdhsa_system_sgpr_workgroup_id_z 1
		.amdhsa_system_sgpr_workgroup_info 0
		.amdhsa_system_vgpr_workitem_id 0
		.amdhsa_next_free_vgpr 124
		.amdhsa_next_free_sgpr 40
		.amdhsa_reserve_vcc 1
		.amdhsa_float_round_mode_32 0
		.amdhsa_float_round_mode_16_64 0
		.amdhsa_float_denorm_mode_32 3
		.amdhsa_float_denorm_mode_16_64 3
		.amdhsa_dx10_clamp 1
		.amdhsa_ieee_mode 1
		.amdhsa_fp16_overflow 0
		.amdhsa_workgroup_processor_mode 1
		.amdhsa_memory_ordered 1
		.amdhsa_forward_progress 0
		.amdhsa_shared_vgpr_count 0
		.amdhsa_exception_fp_ieee_invalid_op 0
		.amdhsa_exception_fp_denorm_src 0
		.amdhsa_exception_fp_ieee_div_zero 0
		.amdhsa_exception_fp_ieee_overflow 0
		.amdhsa_exception_fp_ieee_underflow 0
		.amdhsa_exception_fp_ieee_inexact 0
		.amdhsa_exception_int_div_zero 0
	.end_amdhsa_kernel
	.section	.text._Z39paged_attention_ll4mi_QKV_mfma16_kernelI14__hip_bfloat16hLN4vllm18Fp8KVCacheDataTypeE1EhLi32ELi64ELi256ELb1ELi14EL8MFMAType1EEvPKT_PKT0_S9_ifPKiSB_SB_iPKfiiiPfSE_PS4_PT2_iSD_SD_,"axG",@progbits,_Z39paged_attention_ll4mi_QKV_mfma16_kernelI14__hip_bfloat16hLN4vllm18Fp8KVCacheDataTypeE1EhLi32ELi64ELi256ELb1ELi14EL8MFMAType1EEvPKT_PKT0_S9_ifPKiSB_SB_iPKfiiiPfSE_PS4_PT2_iSD_SD_,comdat
.Lfunc_end1439:
	.size	_Z39paged_attention_ll4mi_QKV_mfma16_kernelI14__hip_bfloat16hLN4vllm18Fp8KVCacheDataTypeE1EhLi32ELi64ELi256ELb1ELi14EL8MFMAType1EEvPKT_PKT0_S9_ifPKiSB_SB_iPKfiiiPfSE_PS4_PT2_iSD_SD_, .Lfunc_end1439-_Z39paged_attention_ll4mi_QKV_mfma16_kernelI14__hip_bfloat16hLN4vllm18Fp8KVCacheDataTypeE1EhLi32ELi64ELi256ELb1ELi14EL8MFMAType1EEvPKT_PKT0_S9_ifPKiSB_SB_iPKfiiiPfSE_PS4_PT2_iSD_SD_
                                        ; -- End function
	.section	.AMDGPU.csdata,"",@progbits
; Kernel info:
; codeLenInByte = 8924
; NumSgprs: 42
; NumVgprs: 124
; ScratchSize: 0
; MemoryBound: 0
; FloatMode: 240
; IeeeMode: 1
; LDSByteSize: 17472 bytes/workgroup (compile time only)
; SGPRBlocks: 5
; VGPRBlocks: 15
; NumSGPRsForWavesPerEU: 42
; NumVGPRsForWavesPerEU: 124
; Occupancy: 10
; WaveLimiterHint : 1
; COMPUTE_PGM_RSRC2:SCRATCH_EN: 0
; COMPUTE_PGM_RSRC2:USER_SGPR: 13
; COMPUTE_PGM_RSRC2:TRAP_HANDLER: 0
; COMPUTE_PGM_RSRC2:TGID_X_EN: 1
; COMPUTE_PGM_RSRC2:TGID_Y_EN: 1
; COMPUTE_PGM_RSRC2:TGID_Z_EN: 1
; COMPUTE_PGM_RSRC2:TIDIG_COMP_CNT: 0
	.section	.text._Z39paged_attention_ll4mi_QKV_mfma16_kernelI14__hip_bfloat16hLN4vllm18Fp8KVCacheDataTypeE1EhLi32ELi64ELi256ELb1ELi15EL8MFMAType1EEvPKT_PKT0_S9_ifPKiSB_SB_iPKfiiiPfSE_PS4_PT2_iSD_SD_,"axG",@progbits,_Z39paged_attention_ll4mi_QKV_mfma16_kernelI14__hip_bfloat16hLN4vllm18Fp8KVCacheDataTypeE1EhLi32ELi64ELi256ELb1ELi15EL8MFMAType1EEvPKT_PKT0_S9_ifPKiSB_SB_iPKfiiiPfSE_PS4_PT2_iSD_SD_,comdat
	.protected	_Z39paged_attention_ll4mi_QKV_mfma16_kernelI14__hip_bfloat16hLN4vllm18Fp8KVCacheDataTypeE1EhLi32ELi64ELi256ELb1ELi15EL8MFMAType1EEvPKT_PKT0_S9_ifPKiSB_SB_iPKfiiiPfSE_PS4_PT2_iSD_SD_ ; -- Begin function _Z39paged_attention_ll4mi_QKV_mfma16_kernelI14__hip_bfloat16hLN4vllm18Fp8KVCacheDataTypeE1EhLi32ELi64ELi256ELb1ELi15EL8MFMAType1EEvPKT_PKT0_S9_ifPKiSB_SB_iPKfiiiPfSE_PS4_PT2_iSD_SD_
	.globl	_Z39paged_attention_ll4mi_QKV_mfma16_kernelI14__hip_bfloat16hLN4vllm18Fp8KVCacheDataTypeE1EhLi32ELi64ELi256ELb1ELi15EL8MFMAType1EEvPKT_PKT0_S9_ifPKiSB_SB_iPKfiiiPfSE_PS4_PT2_iSD_SD_
	.p2align	8
	.type	_Z39paged_attention_ll4mi_QKV_mfma16_kernelI14__hip_bfloat16hLN4vllm18Fp8KVCacheDataTypeE1EhLi32ELi64ELi256ELb1ELi15EL8MFMAType1EEvPKT_PKT0_S9_ifPKiSB_SB_iPKfiiiPfSE_PS4_PT2_iSD_SD_,@function
_Z39paged_attention_ll4mi_QKV_mfma16_kernelI14__hip_bfloat16hLN4vllm18Fp8KVCacheDataTypeE1EhLi32ELi64ELi256ELb1ELi15EL8MFMAType1EEvPKT_PKT0_S9_ifPKiSB_SB_iPKfiiiPfSE_PS4_PT2_iSD_SD_: ; @_Z39paged_attention_ll4mi_QKV_mfma16_kernelI14__hip_bfloat16hLN4vllm18Fp8KVCacheDataTypeE1EhLi32ELi64ELi256ELb1ELi15EL8MFMAType1EEvPKT_PKT0_S9_ifPKiSB_SB_iPKfiiiPfSE_PS4_PT2_iSD_SD_
; %bb.0:
	s_load_b64 s[2:3], s[0:1], 0x30
	s_mov_b32 s34, s13
	s_waitcnt lgkmcnt(0)
	s_cmp_lg_u64 s[2:3], 0
	s_cselect_b32 s8, -1, 0
	s_ashr_i32 s35, s13, 31
	s_cmp_eq_u64 s[2:3], 0
	s_cbranch_scc1 .LBB1440_3
; %bb.1:
	s_lshl_b64 s[4:5], s[34:35], 2
	s_delay_alu instid0(SALU_CYCLE_1) | instskip(SKIP_4) | instid1(SALU_CYCLE_1)
	s_add_u32 s4, s2, s4
	s_addc_u32 s5, s3, s5
	s_load_b64 s[4:5], s[4:5], 0x0
	s_waitcnt lgkmcnt(0)
	s_sub_i32 s4, s5, s4
	s_cmp_eq_u32 s4, 1
	s_cselect_b32 s4, -1, 0
	s_delay_alu instid0(SALU_CYCLE_1)
	s_and_not1_b32 vcc_lo, exec_lo, s4
	s_cbranch_vccz .LBB1440_4
.LBB1440_2:
	s_nop 0
	s_sendmsg sendmsg(MSG_DEALLOC_VGPRS)
	s_endpgm
.LBB1440_3:
.LBB1440_4:
	s_load_b64 s[4:5], s[0:1], 0x28
	s_lshl_b64 s[6:7], s[34:35], 2
	s_waitcnt lgkmcnt(0)
	s_add_u32 s4, s4, s6
	s_addc_u32 s5, s5, s7
	s_lshl_b32 s12, s14, 8
	s_load_b32 s24, s[4:5], 0x0
	s_waitcnt lgkmcnt(0)
	s_cmp_ge_i32 s12, s24
	s_cbranch_scc1 .LBB1440_2
; %bb.5:
	s_clause 0x1
	s_load_b128 s[20:23], s[0:1], 0x8
	s_load_b64 s[4:5], s[0:1], 0x20
	s_and_not1_b32 vcc_lo, exec_lo, s8
	s_cbranch_vccnz .LBB1440_7
; %bb.6:
	s_add_u32 s2, s2, s6
	s_addc_u32 s3, s3, s7
	s_load_b32 s3, s[2:3], 0x0
	s_branch .LBB1440_8
.LBB1440_7:
	s_mov_b32 s3, s34
.LBB1440_8:
	s_load_b128 s[16:19], s[0:1], 0x48
	v_lshrrev_b32_e32 v66, 5, v0
	v_bfe_u32 v74, v0, 4, 1
	v_and_b32_e32 v65, 15, v0
	v_and_b32_e32 v67, 31, v0
	;; [unrolled: 1-line block ×3, first 2 shown]
	s_mul_i32 s31, s15, 15
	v_lshl_or_b32 v1, v66, 1, v74
	v_lshlrev_b32_e32 v2, 3, v65
	v_cmp_gt_u32_e64 s2, 8, v65
	s_delay_alu instid0(VALU_DEP_3) | instskip(NEXT) | instid1(VALU_DEP_3)
	v_cmp_gt_u32_e32 vcc_lo, 15, v1
	v_lshlrev_b32_e32 v73, 1, v2
	s_delay_alu instid0(VALU_DEP_3) | instskip(NEXT) | instid1(SALU_CYCLE_1)
	s_and_b32 s7, s2, vcc_lo
	s_and_saveexec_b32 s6, s7
	s_cbranch_execz .LBB1440_10
; %bb.9:
	s_load_b64 s[8:9], s[0:1], 0x0
	v_add_lshl_u32 v2, v1, s31, 6
	s_waitcnt lgkmcnt(0)
	s_mul_hi_i32 s11, s3, s16
	s_mul_i32 s10, s3, s16
	v_lshlrev_b32_e32 v6, 10, v65
	s_lshl_b64 s[10:11], s[10:11], 1
	v_ashrrev_i32_e32 v3, 31, v2
	v_lshlrev_b32_e32 v1, 6, v1
	v_lshlrev_b32_e32 v7, 10, v75
	v_and_b32_e32 v6, 0x3800, v6
	s_delay_alu instid0(VALU_DEP_4) | instskip(NEXT) | instid1(VALU_DEP_2)
	v_lshlrev_b64 v[2:3], 1, v[2:3]
	v_or3_b32 v1, v6, v7, v1
	s_add_u32 s3, s8, s10
	s_addc_u32 s7, s9, s11
	s_delay_alu instid0(VALU_DEP_2) | instskip(NEXT) | instid1(VALU_DEP_3)
	v_add_co_u32 v2, vcc_lo, s3, v2
	v_add_co_ci_u32_e32 v3, vcc_lo, s7, v3, vcc_lo
	s_delay_alu instid0(VALU_DEP_2) | instskip(NEXT) | instid1(VALU_DEP_2)
	v_add_co_u32 v2, vcc_lo, v2, v73
	v_add_co_ci_u32_e32 v3, vcc_lo, 0, v3, vcc_lo
	global_load_b128 v[2:5], v[2:3], off
	s_waitcnt vmcnt(0)
	ds_store_b128 v1, v[2:5]
.LBB1440_10:
	s_or_b32 exec_lo, exec_lo, s6
	v_and_b32_e32 v1, 0xef, v0
	s_waitcnt lgkmcnt(0)
	s_add_i32 s3, s24, 31
	s_clause 0x1
	s_load_b32 s6, s[0:1], 0x38
	s_load_b32 s19, s[0:1], 0x1c
	s_ashr_i32 s7, s3, 31
	v_add_nc_u32_e32 v1, s12, v1
	s_lshr_b32 s7, s7, 27
	s_waitcnt lgkmcnt(0)
	s_add_i32 s3, s3, s7
	s_barrier
	v_ashrrev_i32_e32 v2, 31, v1
	v_or_b32_e32 v3, 16, v1
	s_ashr_i32 s3, s3, 5
	v_cmp_gt_i32_e32 vcc_lo, s24, v1
	s_add_i32 s3, s3, -1
	v_lshrrev_b32_e32 v2, 27, v2
	buffer_gl0_inv
	s_mul_i32 s27, s15, s18
	v_add_nc_u32_e32 v4, v1, v2
	s_mul_i32 s6, s34, s6
	s_delay_alu instid0(SALU_CYCLE_1) | instskip(NEXT) | instid1(VALU_DEP_1)
	s_ashr_i32 s7, s6, 31
	v_ashrrev_i32_e32 v4, 5, v4
	v_add_nc_u32_e32 v2, v3, v2
	s_lshl_b64 s[6:7], s[6:7], 2
	s_delay_alu instid0(SALU_CYCLE_1) | instskip(NEXT) | instid1(VALU_DEP_2)
	s_add_u32 s26, s4, s6
	v_cndmask_b32_e32 v1, s3, v4, vcc_lo
	s_delay_alu instid0(VALU_DEP_2)
	v_ashrrev_i32_e32 v2, 5, v2
	v_cmp_gt_i32_e32 vcc_lo, s24, v3
	s_addc_u32 s25, s5, s7
	s_ashr_i32 s28, s27, 31
	s_add_u32 s4, s20, s27
	s_addc_u32 s5, s21, s28
	v_cndmask_b32_e32 v3, s3, v2, vcc_lo
	v_ashrrev_i32_e32 v2, 31, v1
	s_lshl_b32 s6, s14, 3
	s_delay_alu instid0(SALU_CYCLE_1) | instskip(NEXT) | instid1(VALU_DEP_2)
	s_ashr_i32 s7, s6, 31
	v_ashrrev_i32_e32 v4, 31, v3
	s_delay_alu instid0(VALU_DEP_2) | instskip(SKIP_1) | instid1(SALU_CYCLE_1)
	v_lshlrev_b64 v[1:2], 2, v[1:2]
	s_lshl_b64 s[6:7], s[6:7], 2
	s_add_u32 s6, s26, s6
	s_delay_alu instid0(VALU_DEP_2) | instskip(SKIP_1) | instid1(VALU_DEP_2)
	v_lshlrev_b64 v[3:4], 2, v[3:4]
	s_addc_u32 s7, s25, s7
	v_add_co_u32 v1, vcc_lo, s26, v1
	v_add_co_ci_u32_e32 v2, vcc_lo, s25, v2, vcc_lo
	s_delay_alu instid0(VALU_DEP_3) | instskip(NEXT) | instid1(VALU_DEP_4)
	v_add_co_u32 v3, vcc_lo, s26, v3
	v_add_co_ci_u32_e32 v4, vcc_lo, s25, v4, vcc_lo
	s_clause 0x1
	global_load_b32 v5, v[1:2], off
	global_load_b32 v6, v[3:4], off
	s_or_b32 s8, s12, 32
	s_delay_alu instid0(SALU_CYCLE_1) | instskip(SKIP_2) | instid1(SALU_CYCLE_1)
	s_ashr_i32 s9, s8, 5
	s_cmp_lt_i32 s8, s24
	s_cselect_b32 s8, s9, s3
	s_ashr_i32 s9, s8, 31
	s_delay_alu instid0(SALU_CYCLE_1) | instskip(NEXT) | instid1(SALU_CYCLE_1)
	s_lshl_b64 s[8:9], s[8:9], 2
	s_add_u32 s8, s26, s8
	s_addc_u32 s9, s25, s9
	s_or_b32 s10, s12, 64
	s_delay_alu instid0(SALU_CYCLE_1) | instskip(SKIP_2) | instid1(SALU_CYCLE_1)
	s_ashr_i32 s11, s10, 5
	s_cmp_lt_i32 s10, s24
	s_cselect_b32 s10, s11, s3
	s_ashr_i32 s11, s10, 31
	s_delay_alu instid0(SALU_CYCLE_1) | instskip(NEXT) | instid1(SALU_CYCLE_1)
	s_lshl_b64 s[10:11], s[10:11], 2
	s_add_u32 s10, s26, s10
	s_addc_u32 s11, s25, s11
	;; [unrolled: 10-line block ×5, first 2 shown]
	s_clause 0x5
	s_load_b32 s21, s[6:7], 0x0
	s_load_b32 s13, s[8:9], 0x0
	;; [unrolled: 1-line block ×6, first 2 shown]
	s_or_b32 s7, s12, 0xc0
	s_delay_alu instid0(SALU_CYCLE_1) | instskip(SKIP_2) | instid1(SALU_CYCLE_1)
	s_ashr_i32 s8, s7, 5
	s_cmp_lt_i32 s7, s24
	s_cselect_b32 s10, s8, s3
	s_ashr_i32 s11, s10, 31
	s_delay_alu instid0(SALU_CYCLE_1) | instskip(NEXT) | instid1(SALU_CYCLE_1)
	s_lshl_b64 s[36:37], s[10:11], 2
	s_add_u32 s36, s26, s36
	s_addc_u32 s37, s25, s37
	s_or_b32 s29, s12, 0xe0
	s_delay_alu instid0(SALU_CYCLE_1)
	s_ashr_i32 s30, s29, 5
	s_cmp_lt_i32 s29, s24
	s_waitcnt vmcnt(1)
	v_mad_i64_i32 v[1:2], null, v5, s17, s[4:5]
	s_waitcnt vmcnt(0)
	v_mad_i64_i32 v[3:4], null, v6, s17, s[4:5]
	s_mov_b32 s4, 0
	s_delay_alu instid0(SALU_CYCLE_1)
	s_mov_b32 s5, s4
	s_mov_b32 s6, s4
	;; [unrolled: 1-line block ×7, first 2 shown]
	v_lshlrev_b32_e32 v5, 4, v65
	v_dual_mov_b32 v107, s11 :: v_dual_mov_b32 v100, s4
	v_mov_b32_e32 v102, s6
	v_mov_b32_e32 v106, s10
	s_delay_alu instid0(VALU_DEP_4)
	v_add_co_u32 v1, vcc_lo, v1, v5
	v_add_co_ci_u32_e32 v2, vcc_lo, 0, v2, vcc_lo
	v_add_co_u32 v3, vcc_lo, v3, v5
	v_add_co_ci_u32_e32 v4, vcc_lo, 0, v4, vcc_lo
	s_clause 0x7
	global_load_b128 v[49:52], v[1:2], off
	global_load_b128 v[53:56], v[1:2], off offset:512
	global_load_b128 v[76:79], v[3:4], off offset:256
	;; [unrolled: 1-line block ×7, first 2 shown]
	v_cmp_ne_u32_e32 vcc_lo, 15, v65
	v_dual_mov_b32 v104, s8 :: v_dual_mov_b32 v103, s7
	v_dual_mov_b32 v101, s5 :: v_dual_lshlrev_b32 v2, 5, v65
	v_cndmask_b32_e32 v1, 0, v65, vcc_lo
	v_mov_b32_e32 v105, s9
	s_cselect_b32 s4, s30, s3
	s_load_b32 s3, s[36:37], 0x0
	s_ashr_i32 s5, s4, 31
	v_lshlrev_b32_e32 v70, 6, v1
	s_lshl_b64 s[4:5], s[4:5], 2
	v_lshl_or_b32 v1, v66, 9, v2
	s_add_u32 s4, s26, s4
	s_addc_u32 s5, s25, s5
	ds_load_b128 v[108:111], v70
	ds_load_b128 v[112:115], v70 offset:1024
	s_load_b32 s4, s[4:5], 0x0
	s_add_u32 s6, s22, s27
	s_addc_u32 s7, s23, s28
	v_add_co_u32 v9, s6, s6, v1
	s_delay_alu instid0(VALU_DEP_1) | instskip(SKIP_1) | instid1(VALU_DEP_1)
	v_add_co_ci_u32_e64 v10, null, s7, 0, s6
	s_waitcnt lgkmcnt(0)
	v_mad_i64_i32 v[1:2], null, s21, s17, v[9:10]
	v_mad_i64_i32 v[3:4], null, s13, s17, v[9:10]
	;; [unrolled: 1-line block ×7, first 2 shown]
	s_clause 0x9
	global_load_b128 v[57:60], v[1:2], off
	global_load_b128 v[61:64], v[1:2], off offset:16
	global_load_b128 v[41:44], v[3:4], off
	global_load_b128 v[45:48], v[3:4], off offset:16
	;; [unrolled: 2-line block ×5, first 2 shown]
	v_mad_i64_i32 v[68:69], null, s4, s17, v[9:10]
	s_clause 0x3
	global_load_b128 v[9:12], v[13:14], off
	global_load_b128 v[13:16], v[13:14], off offset:16
	global_load_b128 v[17:20], v[21:22], off
	global_load_b128 v[21:24], v[21:22], off offset:16
	s_waitcnt vmcnt(20)
	v_wmma_f32_16x16x16_bf16 v[116:123], v[49:56], v[108:115], v[100:107]
	s_clause 0x1
	global_load_b128 v[49:52], v[68:69], off
	global_load_b128 v[53:56], v[68:69], off offset:16
	v_and_b32_e32 v68, 0xe0, v0
	v_mbcnt_lo_u32_b32 v69, -1, 0
	s_delay_alu instid0(VALU_DEP_2)
	v_add_nc_u32_e32 v68, s12, v68
	s_waitcnt vmcnt(20)
	v_wmma_f32_16x16x16_bf16 v[100:107], v[76:83], v[108:115], v[100:107]
	ds_load_b128 v[76:79], v70 offset:2048
	ds_load_b128 v[80:83], v70 offset:3072
	v_xor_b32_e32 v70, 16, v69
	s_waitcnt vmcnt(0) lgkmcnt(0)
	v_or_b32_e32 v68, v68, v74
	s_barrier
	buffer_gl0_inv
	v_cmp_gt_i32_e32 vcc_lo, 32, v70
	v_or_b32_e32 v71, 4, v68
	v_or_b32_e32 v72, 6, v68
	v_cmp_gt_i32_e64 s3, s24, v68
	v_or_b32_e32 v108, 8, v68
	v_or_b32_e32 v109, 10, v68
	v_cmp_gt_i32_e64 s4, s24, v71
	v_cmp_gt_i32_e64 s5, s24, v72
	s_delay_alu instid0(VALU_DEP_4) | instskip(NEXT) | instid1(VALU_DEP_4)
	v_cmp_gt_i32_e64 s6, s24, v108
	v_cmp_gt_i32_e64 s7, s24, v109
	v_wmma_f32_16x16x16_bf16 v[116:123], v[84:91], v[76:83], v[116:123]
	v_cndmask_b32_e32 v69, v69, v70, vcc_lo
	v_or_b32_e32 v70, 2, v68
	v_wmma_f32_16x16x16_bf16 v[100:107], v[92:99], v[76:83], v[100:107]
	v_or_b32_e32 v84, 12, v68
	v_dual_mul_f32 v78, s19, v123 :: v_dual_mul_f32 v83, s19, v118
	v_dual_mul_f32 v92, s19, v117 :: v_dual_mul_f32 v93, s19, v116
	s_delay_alu instid0(VALU_DEP_4) | instskip(SKIP_2) | instid1(VALU_DEP_4)
	v_mul_f32_e32 v94, s19, v107
	v_cmp_gt_i32_e32 vcc_lo, s24, v70
	v_dual_mul_f32 v81, s19, v120 :: v_dual_mul_f32 v82, s19, v119
	v_cndmask_b32_e64 v93, 0xff7fffff, v93, s3
	v_or_b32_e32 v85, 14, v68
	v_cndmask_b32_e32 v92, 0xff7fffff, v92, vcc_lo
	v_dual_mul_f32 v79, s19, v122 :: v_dual_mul_f32 v80, s19, v121
	v_cndmask_b32_e64 v71, 0xff7fffff, v83, s4
	v_cndmask_b32_e64 v72, 0xff7fffff, v82, s5
	s_delay_alu instid0(VALU_DEP_4)
	v_max3_f32 v82, v93, 0xff7fffff, v92
	v_or_b32_e32 v86, 16, v68
	v_or_b32_e32 v87, 18, v68
	v_cndmask_b32_e64 v81, 0xff7fffff, v81, s6
	v_cndmask_b32_e64 v80, 0xff7fffff, v80, s7
	v_max3_f32 v71, v82, v71, v72
	v_cmp_gt_i32_e64 s8, s24, v84
	v_cmp_gt_i32_e64 s9, s24, v85
	v_or_b32_e32 v88, 20, v68
	v_or_b32_e32 v89, 22, v68
	;; [unrolled: 1-line block ×6, first 2 shown]
	v_dual_mul_f32 v99, s19, v102 :: v_dual_mul_f32 v70, s19, v101
	v_mul_f32_e32 v68, s19, v100
	v_cndmask_b32_e64 v72, 0xff7fffff, v79, s8
	v_cndmask_b32_e64 v78, 0xff7fffff, v78, s9
	v_max3_f32 v71, v71, v81, v80
	v_cmp_gt_i32_e64 s10, s24, v86
	v_cmp_gt_i32_e64 s11, s24, v87
	v_dual_mul_f32 v97, s19, v104 :: v_dual_mul_f32 v98, s19, v103
	s_delay_alu instid0(VALU_DEP_4) | instskip(SKIP_1) | instid1(VALU_DEP_4)
	v_max3_f32 v71, v71, v72, v78
	v_cmp_gt_i32_e64 s12, s24, v88
	v_cndmask_b32_e64 v70, 0xff7fffff, v70, s11
	v_cmp_gt_i32_e64 s13, s24, v89
	v_lshlrev_b32_e32 v89, 2, v69
	v_cndmask_b32_e64 v68, 0xff7fffff, v68, s10
	v_dual_mul_f32 v95, s19, v106 :: v_dual_mul_f32 v96, s19, v105
	v_cndmask_b32_e64 v72, 0xff7fffff, v99, s12
	v_cndmask_b32_e64 v78, 0xff7fffff, v98, s13
	s_delay_alu instid0(VALU_DEP_4)
	v_max3_f32 v68, v71, v68, v70
	v_cmp_gt_i32_e64 s15, s24, v90
	v_cmp_gt_i32_e64 s16, s24, v91
	;; [unrolled: 1-line block ×4, first 2 shown]
	v_max3_f32 v68, v68, v72, v78
	v_cndmask_b32_e64 v70, 0xff7fffff, v97, s15
	v_cndmask_b32_e64 v71, 0xff7fffff, v96, s16
	;; [unrolled: 1-line block ×4, first 2 shown]
	s_delay_alu instid0(VALU_DEP_3) | instskip(NEXT) | instid1(VALU_DEP_1)
	v_max3_f32 v68, v68, v70, v71
	v_max3_f32 v68, v68, v72, v76
	ds_bpermute_b32 v69, v89, v68
	s_waitcnt lgkmcnt(0)
	v_max_f32_e32 v69, v69, v69
	s_delay_alu instid0(VALU_DEP_1) | instskip(NEXT) | instid1(VALU_DEP_1)
	v_max_f32_e32 v68, v68, v69
	v_fma_f32 v71, s19, v118, -v68
	s_delay_alu instid0(VALU_DEP_1)
	v_mul_f32_e32 v71, 0x3fb8aa3b, v71
	v_fma_f32 v69, s19, v116, -v68
	v_fma_f32 v70, s19, v117, -v68
	;; [unrolled: 1-line block ×4, first 2 shown]
	v_exp_f32_e32 v71, v71
	s_delay_alu instid0(VALU_DEP_3) | instskip(SKIP_2) | instid1(VALU_DEP_3)
	v_dual_mul_f32 v69, 0x3fb8aa3b, v69 :: v_dual_mul_f32 v70, 0x3fb8aa3b, v70
	v_fma_f32 v78, s19, v122, -v68
	v_fma_f32 v81, s19, v105, -v68
	v_exp_f32_e32 v69, v69
	s_delay_alu instid0(VALU_DEP_3) | instskip(SKIP_1) | instid1(VALU_DEP_2)
	v_exp_f32_e32 v70, v70
	v_mul_f32_e32 v77, 0x3fb8aa3b, v76
	v_mul_f32_e32 v81, 0x3fb8aa3b, v81
	s_delay_alu instid0(TRANS32_DEP_3) | instskip(SKIP_1) | instid1(VALU_DEP_3)
	v_cndmask_b32_e64 v83, 0, v71, s4
	v_fma_f32 v71, s19, v123, -v68
	v_exp_f32_e32 v81, v81
	s_delay_alu instid0(TRANS32_DEP_3) | instskip(NEXT) | instid1(TRANS32_DEP_2)
	v_cndmask_b32_e64 v80, 0, v69, s3
	v_cndmask_b32_e32 v76, 0, v70, vcc_lo
	v_fma_f32 v69, s19, v121, -v68
	v_mul_f32_e32 v72, 0x3fb8aa3b, v72
	v_exp_f32_e32 v77, v77
	v_dual_add_f32 v70, 0, v80 :: v_dual_mul_f32 v71, 0x3fb8aa3b, v71
	s_delay_alu instid0(VALU_DEP_3) | instskip(NEXT) | instid1(VALU_DEP_3)
	v_mul_f32_e32 v69, 0x3fb8aa3b, v69
	v_exp_f32_e32 v72, v72
	v_cmp_gt_u32_e64 s3, 16, v67
	s_delay_alu instid0(VALU_DEP_3) | instskip(NEXT) | instid1(VALU_DEP_2)
	v_exp_f32_e32 v71, v71
	v_exp_f32_e32 v69, v69
	v_cndmask_b32_e64 v86, 0, v77, s6
	v_fma_f32 v77, s19, v101, -v68
	v_add_f32_e32 v70, v70, v76
	s_delay_alu instid0(TRANS32_DEP_3) | instskip(SKIP_1) | instid1(VALU_DEP_3)
	v_cndmask_b32_e64 v85, 0, v72, s5
	v_fma_f32 v72, s19, v100, -v68
	v_dual_mul_f32 v77, 0x3fb8aa3b, v77 :: v_dual_add_f32 v70, v70, v83
	s_delay_alu instid0(TRANS32_DEP_2) | instskip(SKIP_1) | instid1(TRANS32_DEP_1)
	v_cndmask_b32_e64 v88, 0, v71, s9
	v_fma_f32 v71, s19, v104, -v68
	v_cndmask_b32_e64 v87, 0, v69, s7
	s_delay_alu instid0(VALU_DEP_4) | instskip(NEXT) | instid1(VALU_DEP_2)
	v_exp_f32_e32 v77, v77
	v_dual_add_f32 v70, v70, v85 :: v_dual_mul_f32 v71, 0x3fb8aa3b, v71
	s_delay_alu instid0(VALU_DEP_1) | instskip(SKIP_2) | instid1(VALU_DEP_3)
	v_dual_mul_f32 v72, 0x3fb8aa3b, v72 :: v_dual_add_f32 v69, v70, v86
	v_mul_f32_e32 v78, 0x3fb8aa3b, v78
	v_fma_f32 v70, s19, v102, -v68
	v_exp_f32_e32 v72, v72
	v_exp_f32_e32 v82, v71
	v_add_f32_e32 v69, v69, v87
	v_exp_f32_e32 v78, v78
	v_mul_f32_e32 v70, 0x3fb8aa3b, v70
	s_delay_alu instid0(VALU_DEP_1) | instskip(SKIP_4) | instid1(VALU_DEP_2)
	v_exp_f32_e32 v79, v70
	v_cndmask_b32_e64 v70, 0, v72, s10
	s_waitcnt_depctr 0xfff
	v_cndmask_b32_e64 v84, 0, v78, s8
	v_fma_f32 v78, s19, v103, -v68
	v_add_f32_e32 v69, v69, v84
	v_cndmask_b32_e64 v71, 0, v79, s12
	s_delay_alu instid0(VALU_DEP_2) | instskip(SKIP_2) | instid1(VALU_DEP_1)
	v_add_f32_e32 v72, v69, v88
	v_cndmask_b32_e64 v69, 0, v77, s11
	v_fma_f32 v77, s19, v106, -v68
	v_dual_mul_f32 v77, 0x3fb8aa3b, v77 :: v_dual_add_f32 v72, v72, v70
	v_mul_f32_e32 v78, 0x3fb8aa3b, v78
	s_delay_alu instid0(VALU_DEP_2) | instskip(NEXT) | instid1(VALU_DEP_2)
	v_exp_f32_e32 v90, v77
	v_add_f32_e32 v79, v72, v69
	s_delay_alu instid0(VALU_DEP_2)
	v_exp_f32_e32 v78, v78
	v_cndmask_b32_e64 v77, 0, v82, s15
	s_waitcnt_depctr 0xfff
	v_cndmask_b32_e64 v72, 0, v78, s13
	v_add_f32_e32 v78, v79, v71
	v_fma_f32 v79, s19, v107, -v68
	s_delay_alu instid0(VALU_DEP_1) | instskip(SKIP_1) | instid1(VALU_DEP_2)
	v_dual_add_f32 v82, v78, v72 :: v_dual_mul_f32 v79, 0x3fb8aa3b, v79
	v_cndmask_b32_e64 v78, 0, v81, s16
	v_add_f32_e32 v81, v82, v77
	s_delay_alu instid0(VALU_DEP_3) | instskip(SKIP_1) | instid1(VALU_DEP_2)
	v_exp_f32_e32 v82, v79
	v_cndmask_b32_e64 v79, 0, v90, s17
	v_add_f32_e32 v81, v81, v78
	s_delay_alu instid0(VALU_DEP_1) | instskip(SKIP_2) | instid1(VALU_DEP_1)
	v_add_f32_e32 v90, v81, v79
	s_waitcnt_depctr 0xfff
	v_cndmask_b32_e64 v81, 0, v82, s18
	v_add_f32_e32 v82, v90, v81
	ds_bpermute_b32 v89, v89, v82
	s_and_saveexec_b32 s4, s3
	s_cbranch_execz .LBB1440_12
; %bb.11:
	v_mul_u32_u24_e32 v67, 0x44, v66
	s_delay_alu instid0(VALU_DEP_1) | instskip(SKIP_1) | instid1(VALU_DEP_1)
	v_lshl_add_u32 v67, v65, 2, v67
	s_waitcnt lgkmcnt(0)
	v_dual_add_f32 v82, v82, v89 :: v_dual_add_nc_u32 v67, 0x4000, v67
	ds_store_2addr_b32 v67, v68, v82 offset1:136
.LBB1440_12:
	s_or_b32 exec_lo, exec_lo, s4
	v_lshlrev_b32_e32 v67, 2, v65
	s_waitcnt lgkmcnt(0)
	s_barrier
	buffer_gl0_inv
	v_cmp_eq_u32_e32 vcc_lo, 1, v66
	v_add_nc_u32_e32 v82, 0x4000, v67
	v_cmp_eq_u32_e64 s4, 2, v66
	v_cmp_eq_u32_e64 s6, 7, v66
	ds_load_2addr_b32 v[89:90], v82 offset1:17
	ds_load_2addr_b32 v[91:92], v82 offset0:34 offset1:51
	ds_load_2addr_b32 v[93:94], v82 offset0:68 offset1:85
	;; [unrolled: 1-line block ×4, first 2 shown]
	s_waitcnt lgkmcnt(4)
	v_max3_f32 v67, v89, 0xff7fffff, v90
	s_waitcnt lgkmcnt(3)
	s_delay_alu instid0(VALU_DEP_1) | instskip(SKIP_1) | instid1(VALU_DEP_1)
	v_max3_f32 v67, v67, v91, v92
	s_waitcnt lgkmcnt(2)
	v_max3_f32 v67, v67, v93, v94
	s_waitcnt lgkmcnt(1)
	s_delay_alu instid0(VALU_DEP_1) | instskip(NEXT) | instid1(VALU_DEP_1)
	v_max3_f32 v67, v67, v95, v96
	v_sub_f32_e32 v93, v93, v67
	s_delay_alu instid0(VALU_DEP_1) | instskip(NEXT) | instid1(VALU_DEP_1)
	v_dual_sub_f32 v68, v89, v67 :: v_dual_mul_f32 v103, 0x3fb8aa3b, v93
	v_mul_f32_e32 v68, 0x3fb8aa3b, v68
	s_delay_alu instid0(VALU_DEP_1)
	v_exp_f32_e32 v100, v68
	v_sub_f32_e32 v68, v92, v67
	v_sub_f32_e32 v99, v90, v67
	ds_load_2addr_b32 v[89:90], v82 offset0:170 offset1:187
	v_dual_mul_f32 v102, 0x3fb8aa3b, v68 :: v_dual_mul_f32 v99, 0x3fb8aa3b, v99
	s_waitcnt lgkmcnt(1)
	v_fma_f32 v68, v100, v97, 0
	s_delay_alu instid0(VALU_DEP_2) | instskip(NEXT) | instid1(VALU_DEP_2)
	v_exp_f32_e32 v102, v102
	v_exp_f32_e32 v99, v99
	s_waitcnt_depctr 0xfff
	v_fmac_f32_e32 v68, v99, v98
	v_sub_f32_e32 v91, v91, v67
	s_delay_alu instid0(VALU_DEP_1)
	v_mul_f32_e32 v101, 0x3fb8aa3b, v91
	ds_load_2addr_b32 v[91:92], v82 offset0:204 offset1:221
	v_sub_f32_e32 v97, v94, v67
	ds_load_2addr_b32 v[93:94], v82 offset0:238 offset1:255
	s_waitcnt lgkmcnt(0)
	v_exp_f32_e32 v101, v101
	s_barrier
	buffer_gl0_inv
	v_dual_fmac_f32 v68, v101, v89 :: v_dual_sub_f32 v89, v96, v67
	v_dual_sub_f32 v82, v95, v67 :: v_dual_mul_f32 v95, 0x3fb8aa3b, v97
	v_exp_f32_e32 v97, v103
	s_delay_alu instid0(VALU_DEP_2) | instskip(NEXT) | instid1(VALU_DEP_2)
	v_dual_fmac_f32 v68, v102, v90 :: v_dual_mul_f32 v89, 0x3fb8aa3b, v89
	v_mul_f32_e32 v82, 0x3fb8aa3b, v82
	s_delay_alu instid0(VALU_DEP_3) | instskip(NEXT) | instid1(VALU_DEP_2)
	v_exp_f32_e32 v95, v95
	v_exp_f32_e32 v89, v89
	s_delay_alu instid0(VALU_DEP_1)
	v_exp_f32_e32 v82, v82
	v_fmac_f32_e32 v68, v97, v91
	s_delay_alu instid0(TRANS32_DEP_3) | instid1(VALU_DEP_1)
	v_fmac_f32_e32 v68, v95, v92
	s_waitcnt_depctr 0xfff
	v_fmac_f32_e32 v68, v82, v93
	s_delay_alu instid0(VALU_DEP_1) | instskip(NEXT) | instid1(VALU_DEP_1)
	v_fmac_f32_e32 v68, v89, v94
	v_add_f32_e32 v90, 0x358637bd, v68
	s_delay_alu instid0(VALU_DEP_1) | instskip(NEXT) | instid1(VALU_DEP_1)
	v_div_scale_f32 v91, null, v90, v90, 1.0
	v_rcp_f32_e32 v92, v91
	s_waitcnt_depctr 0xfff
	v_fma_f32 v93, -v91, v92, 1.0
	s_delay_alu instid0(VALU_DEP_1) | instskip(SKIP_1) | instid1(VALU_DEP_2)
	v_dual_fmac_f32 v92, v93, v92 :: v_dual_cndmask_b32 v93, v100, v99
	v_cmp_eq_u32_e32 vcc_lo, 3, v66
	v_cndmask_b32_e64 v93, v93, v101, s4
	v_cmp_eq_u32_e64 s4, 4, v66
	s_delay_alu instid0(VALU_DEP_2) | instskip(SKIP_1) | instid1(VALU_DEP_2)
	v_cndmask_b32_e32 v93, v93, v102, vcc_lo
	v_cmp_eq_u32_e32 vcc_lo, 5, v66
	v_cndmask_b32_e64 v93, v93, v97, s4
	v_cmp_eq_u32_e64 s4, 6, v66
	s_delay_alu instid0(VALU_DEP_2) | instskip(SKIP_1) | instid1(VALU_DEP_1)
	v_cndmask_b32_e32 v93, v93, v95, vcc_lo
	v_div_scale_f32 v94, s5, 1.0, v90, 1.0
	s_mov_b32 vcc_lo, s5
	s_delay_alu instid0(VALU_DEP_2) | instskip(NEXT) | instid1(VALU_DEP_2)
	v_cndmask_b32_e64 v82, v93, v82, s4
	v_mul_f32_e32 v96, v94, v92
	s_mov_b32 s4, exec_lo
	s_delay_alu instid0(VALU_DEP_2) | instskip(NEXT) | instid1(VALU_DEP_2)
	v_cndmask_b32_e64 v82, v82, v89, s6
	v_fma_f32 v98, -v91, v96, v94
	s_delay_alu instid0(VALU_DEP_1) | instskip(NEXT) | instid1(VALU_DEP_1)
	v_fmac_f32_e32 v96, v98, v92
	v_fma_f32 v91, -v91, v96, v94
	s_delay_alu instid0(VALU_DEP_1) | instskip(NEXT) | instid1(VALU_DEP_1)
	v_div_fmas_f32 v91, v91, v92, v96
	v_div_fixup_f32 v90, v91, v90, 1.0
	s_delay_alu instid0(VALU_DEP_1) | instskip(NEXT) | instid1(VALU_DEP_1)
	v_mul_f32_e32 v82, v82, v90
	v_mul_f32_e32 v87, v82, v87
	;; [unrolled: 1-line block ×7, first 2 shown]
	v_dual_mul_f32 v86, v82, v83 :: v_dual_and_b32 v91, 0x7f800000, v90
	v_mul_f32_e32 v85, v82, v76
                                        ; implicit-def: $vgpr76
	s_delay_alu instid0(VALU_DEP_2)
	v_cmpx_ne_u32_e32 0x7f800000, v91
	s_xor_b32 s4, exec_lo, s4
; %bb.13:
	v_bfe_u32 v76, v90, 16, 1
	s_delay_alu instid0(VALU_DEP_1)
	v_add3_u32 v76, v90, v76, 0x7fff
                                        ; implicit-def: $vgpr90
; %bb.14:
	s_and_not1_saveexec_b32 s4, s4
; %bb.15:
	v_and_b32_e32 v76, 0xffff, v90
	v_or_b32_e32 v83, 0x10000, v90
	s_delay_alu instid0(VALU_DEP_2) | instskip(NEXT) | instid1(VALU_DEP_2)
	v_cmp_eq_u32_e32 vcc_lo, 0, v76
	v_cndmask_b32_e32 v76, v83, v90, vcc_lo
; %bb.16:
	s_or_b32 exec_lo, exec_lo, s4
	v_and_b32_e32 v83, 0x7f800000, v85
	s_delay_alu instid0(VALU_DEP_1) | instskip(SKIP_1) | instid1(SALU_CYCLE_1)
	v_cmp_ne_u32_e32 vcc_lo, 0x7f800000, v83
                                        ; implicit-def: $vgpr83
	s_and_saveexec_b32 s4, vcc_lo
	s_xor_b32 s4, exec_lo, s4
; %bb.17:
	v_bfe_u32 v83, v85, 16, 1
	s_delay_alu instid0(VALU_DEP_1)
	v_add3_u32 v83, v85, v83, 0x7fff
                                        ; implicit-def: $vgpr85
; %bb.18:
	s_and_not1_saveexec_b32 s4, s4
; %bb.19:
	v_and_b32_e32 v83, 0xffff, v85
	v_or_b32_e32 v90, 0x10000, v85
	s_delay_alu instid0(VALU_DEP_2) | instskip(NEXT) | instid1(VALU_DEP_2)
	v_cmp_eq_u32_e32 vcc_lo, 0, v83
	v_cndmask_b32_e32 v83, v90, v85, vcc_lo
; %bb.20:
	s_or_b32 exec_lo, exec_lo, s4
	v_and_b32_e32 v85, 0x7f800000, v86
	s_delay_alu instid0(VALU_DEP_1) | instskip(SKIP_1) | instid1(SALU_CYCLE_1)
	v_cmp_ne_u32_e32 vcc_lo, 0x7f800000, v85
                                        ; implicit-def: $vgpr85
	s_and_saveexec_b32 s4, vcc_lo
	s_xor_b32 s4, exec_lo, s4
; %bb.21:
	v_bfe_u32 v85, v86, 16, 1
	s_delay_alu instid0(VALU_DEP_1)
	v_add3_u32 v85, v86, v85, 0x7fff
                                        ; implicit-def: $vgpr86
; %bb.22:
	s_and_not1_saveexec_b32 s4, s4
; %bb.23:
	v_and_b32_e32 v85, 0xffff, v86
	v_or_b32_e32 v90, 0x10000, v86
	s_delay_alu instid0(VALU_DEP_2) | instskip(NEXT) | instid1(VALU_DEP_2)
	v_cmp_eq_u32_e32 vcc_lo, 0, v85
	v_cndmask_b32_e32 v85, v90, v86, vcc_lo
; %bb.24:
	s_or_b32 exec_lo, exec_lo, s4
	v_and_b32_e32 v86, 0x7f800000, v89
	s_delay_alu instid0(VALU_DEP_1) | instskip(SKIP_1) | instid1(SALU_CYCLE_1)
	v_cmp_ne_u32_e32 vcc_lo, 0x7f800000, v86
                                        ; implicit-def: $vgpr86
	s_and_saveexec_b32 s4, vcc_lo
	s_xor_b32 s4, exec_lo, s4
; %bb.25:
	v_bfe_u32 v86, v89, 16, 1
	s_delay_alu instid0(VALU_DEP_1)
	v_add3_u32 v86, v89, v86, 0x7fff
                                        ; implicit-def: $vgpr89
; %bb.26:
	s_and_not1_saveexec_b32 s4, s4
; %bb.27:
	v_and_b32_e32 v86, 0xffff, v89
	v_or_b32_e32 v90, 0x10000, v89
	s_delay_alu instid0(VALU_DEP_2) | instskip(NEXT) | instid1(VALU_DEP_2)
	v_cmp_eq_u32_e32 vcc_lo, 0, v86
	v_cndmask_b32_e32 v86, v90, v89, vcc_lo
; %bb.28:
	s_or_b32 exec_lo, exec_lo, s4
	v_and_b32_e32 v89, 0x7f800000, v88
	s_delay_alu instid0(VALU_DEP_1) | instskip(SKIP_1) | instid1(SALU_CYCLE_1)
	v_cmp_ne_u32_e32 vcc_lo, 0x7f800000, v89
                                        ; implicit-def: $vgpr89
	s_and_saveexec_b32 s4, vcc_lo
	s_xor_b32 s4, exec_lo, s4
; %bb.29:
	v_bfe_u32 v89, v88, 16, 1
	s_delay_alu instid0(VALU_DEP_1)
	v_add3_u32 v89, v88, v89, 0x7fff
                                        ; implicit-def: $vgpr88
; %bb.30:
	s_and_not1_saveexec_b32 s4, s4
; %bb.31:
	v_and_b32_e32 v89, 0xffff, v88
	v_or_b32_e32 v90, 0x10000, v88
	s_delay_alu instid0(VALU_DEP_2) | instskip(NEXT) | instid1(VALU_DEP_2)
	v_cmp_eq_u32_e32 vcc_lo, 0, v89
	v_cndmask_b32_e32 v89, v90, v88, vcc_lo
; %bb.32:
	s_or_b32 exec_lo, exec_lo, s4
	v_and_b32_e32 v88, 0x7f800000, v87
	s_delay_alu instid0(VALU_DEP_1) | instskip(SKIP_1) | instid1(SALU_CYCLE_1)
	v_cmp_ne_u32_e32 vcc_lo, 0x7f800000, v88
                                        ; implicit-def: $vgpr88
	s_and_saveexec_b32 s4, vcc_lo
	s_xor_b32 s4, exec_lo, s4
; %bb.33:
	v_bfe_u32 v88, v87, 16, 1
	s_delay_alu instid0(VALU_DEP_1)
	v_add3_u32 v88, v87, v88, 0x7fff
                                        ; implicit-def: $vgpr87
; %bb.34:
	s_and_not1_saveexec_b32 s4, s4
; %bb.35:
	v_and_b32_e32 v88, 0xffff, v87
	v_or_b32_e32 v90, 0x10000, v87
	s_delay_alu instid0(VALU_DEP_2) | instskip(NEXT) | instid1(VALU_DEP_2)
	v_cmp_eq_u32_e32 vcc_lo, 0, v88
	v_cndmask_b32_e32 v88, v90, v87, vcc_lo
; %bb.36:
	s_or_b32 exec_lo, exec_lo, s4
	v_and_b32_e32 v87, 0x7f800000, v84
	s_delay_alu instid0(VALU_DEP_1) | instskip(SKIP_1) | instid1(SALU_CYCLE_1)
	v_cmp_ne_u32_e32 vcc_lo, 0x7f800000, v87
                                        ; implicit-def: $vgpr87
	s_and_saveexec_b32 s4, vcc_lo
	s_xor_b32 s4, exec_lo, s4
; %bb.37:
	v_bfe_u32 v87, v84, 16, 1
	s_delay_alu instid0(VALU_DEP_1)
	v_add3_u32 v87, v84, v87, 0x7fff
                                        ; implicit-def: $vgpr84
; %bb.38:
	s_and_not1_saveexec_b32 s4, s4
; %bb.39:
	v_and_b32_e32 v87, 0xffff, v84
	v_or_b32_e32 v90, 0x10000, v84
	s_delay_alu instid0(VALU_DEP_2) | instskip(NEXT) | instid1(VALU_DEP_2)
	v_cmp_eq_u32_e32 vcc_lo, 0, v87
	v_cndmask_b32_e32 v87, v90, v84, vcc_lo
; %bb.40:
	s_or_b32 exec_lo, exec_lo, s4
	v_and_b32_e32 v84, 0x7f800000, v80
	s_delay_alu instid0(VALU_DEP_1) | instskip(SKIP_1) | instid1(SALU_CYCLE_1)
	v_cmp_ne_u32_e32 vcc_lo, 0x7f800000, v84
                                        ; implicit-def: $vgpr84
	s_and_saveexec_b32 s4, vcc_lo
	s_xor_b32 s4, exec_lo, s4
; %bb.41:
	v_bfe_u32 v84, v80, 16, 1
	s_delay_alu instid0(VALU_DEP_1)
	v_add3_u32 v84, v80, v84, 0x7fff
                                        ; implicit-def: $vgpr80
; %bb.42:
	s_and_not1_saveexec_b32 s4, s4
; %bb.43:
	v_and_b32_e32 v84, 0xffff, v80
	v_or_b32_e32 v90, 0x10000, v80
	s_delay_alu instid0(VALU_DEP_2) | instskip(NEXT) | instid1(VALU_DEP_2)
	v_cmp_eq_u32_e32 vcc_lo, 0, v84
	v_cndmask_b32_e32 v84, v90, v80, vcc_lo
; %bb.44:
	s_or_b32 exec_lo, exec_lo, s4
	s_load_b64 s[36:37], s[0:1], 0x94
	v_lshlrev_b32_e32 v91, 4, v74
	s_delay_alu instid0(VALU_DEP_2)
	v_perm_b32 v90, v84, v87, 0x7060302
	v_dual_mul_f32 v79, v82, v79 :: v_dual_lshlrev_b32 v80, 6, v65
	v_dual_mul_f32 v77, v82, v77 :: v_dual_lshlrev_b32 v92, 11, v66
	v_mul_f32_e32 v84, v82, v70
	v_perm_b32 v89, v88, v89, 0x7060302
	v_perm_b32 v88, v86, v85, 0x7060302
	;; [unrolled: 1-line block ×3, first 2 shown]
	v_mul_f32_e32 v70, v82, v81
	v_or3_b32 v76, v91, v92, v80
	v_dual_mul_f32 v78, v82, v78 :: v_dual_and_b32 v85, 0x7f800000, v84
	v_mul_f32_e32 v83, v82, v72
	v_mul_f32_e32 v81, v82, v71
	;; [unrolled: 1-line block ×3, first 2 shown]
	s_mov_b32 s4, exec_lo
	ds_store_b128 v76, v[87:90]
                                        ; implicit-def: $vgpr69
	v_cmpx_ne_u32_e32 0x7f800000, v85
	s_xor_b32 s4, exec_lo, s4
; %bb.45:
	v_bfe_u32 v69, v84, 16, 1
	s_delay_alu instid0(VALU_DEP_1)
	v_add3_u32 v69, v84, v69, 0x7fff
                                        ; implicit-def: $vgpr84
; %bb.46:
	s_and_not1_saveexec_b32 s4, s4
; %bb.47:
	v_and_b32_e32 v69, 0xffff, v84
	v_or_b32_e32 v71, 0x10000, v84
	s_delay_alu instid0(VALU_DEP_2) | instskip(NEXT) | instid1(VALU_DEP_2)
	v_cmp_eq_u32_e32 vcc_lo, 0, v69
	v_cndmask_b32_e32 v69, v71, v84, vcc_lo
; %bb.48:
	s_or_b32 exec_lo, exec_lo, s4
	v_and_b32_e32 v71, 0x7f800000, v72
	s_delay_alu instid0(VALU_DEP_1) | instskip(SKIP_1) | instid1(SALU_CYCLE_1)
	v_cmp_ne_u32_e32 vcc_lo, 0x7f800000, v71
                                        ; implicit-def: $vgpr71
	s_and_saveexec_b32 s4, vcc_lo
	s_xor_b32 s4, exec_lo, s4
; %bb.49:
	v_bfe_u32 v71, v72, 16, 1
	s_delay_alu instid0(VALU_DEP_1)
	v_add3_u32 v71, v72, v71, 0x7fff
                                        ; implicit-def: $vgpr72
; %bb.50:
	s_and_not1_saveexec_b32 s4, s4
; %bb.51:
	v_and_b32_e32 v71, 0xffff, v72
	v_or_b32_e32 v82, 0x10000, v72
	s_delay_alu instid0(VALU_DEP_2) | instskip(NEXT) | instid1(VALU_DEP_2)
	v_cmp_eq_u32_e32 vcc_lo, 0, v71
	v_cndmask_b32_e32 v71, v82, v72, vcc_lo
; %bb.52:
	s_or_b32 exec_lo, exec_lo, s4
	v_and_b32_e32 v72, 0x7f800000, v81
	s_delay_alu instid0(VALU_DEP_1) | instskip(SKIP_1) | instid1(SALU_CYCLE_1)
	v_cmp_ne_u32_e32 vcc_lo, 0x7f800000, v72
                                        ; implicit-def: $vgpr72
	s_and_saveexec_b32 s4, vcc_lo
	s_xor_b32 s4, exec_lo, s4
; %bb.53:
	v_bfe_u32 v72, v81, 16, 1
	s_delay_alu instid0(VALU_DEP_1)
	v_add3_u32 v72, v81, v72, 0x7fff
                                        ; implicit-def: $vgpr81
; %bb.54:
	s_and_not1_saveexec_b32 s4, s4
; %bb.55:
	v_and_b32_e32 v72, 0xffff, v81
	v_or_b32_e32 v82, 0x10000, v81
	s_delay_alu instid0(VALU_DEP_2) | instskip(NEXT) | instid1(VALU_DEP_2)
	v_cmp_eq_u32_e32 vcc_lo, 0, v72
	v_cndmask_b32_e32 v72, v82, v81, vcc_lo
; %bb.56:
	s_or_b32 exec_lo, exec_lo, s4
	v_and_b32_e32 v81, 0x7f800000, v83
	s_delay_alu instid0(VALU_DEP_1) | instskip(SKIP_1) | instid1(SALU_CYCLE_1)
	v_cmp_ne_u32_e32 vcc_lo, 0x7f800000, v81
                                        ; implicit-def: $vgpr81
	s_and_saveexec_b32 s4, vcc_lo
	s_xor_b32 s4, exec_lo, s4
; %bb.57:
	v_bfe_u32 v81, v83, 16, 1
	s_delay_alu instid0(VALU_DEP_1)
	v_add3_u32 v81, v83, v81, 0x7fff
                                        ; implicit-def: $vgpr83
; %bb.58:
	s_and_not1_saveexec_b32 s4, s4
; %bb.59:
	v_and_b32_e32 v81, 0xffff, v83
	v_or_b32_e32 v82, 0x10000, v83
	s_delay_alu instid0(VALU_DEP_2) | instskip(NEXT) | instid1(VALU_DEP_2)
	v_cmp_eq_u32_e32 vcc_lo, 0, v81
	v_cndmask_b32_e32 v81, v82, v83, vcc_lo
; %bb.60:
	s_or_b32 exec_lo, exec_lo, s4
	v_and_b32_e32 v82, 0x7f800000, v77
	s_delay_alu instid0(VALU_DEP_1) | instskip(SKIP_1) | instid1(SALU_CYCLE_1)
	v_cmp_ne_u32_e32 vcc_lo, 0x7f800000, v82
                                        ; implicit-def: $vgpr82
	s_and_saveexec_b32 s4, vcc_lo
	s_xor_b32 s4, exec_lo, s4
; %bb.61:
	v_bfe_u32 v82, v77, 16, 1
	s_delay_alu instid0(VALU_DEP_1)
	v_add3_u32 v82, v77, v82, 0x7fff
                                        ; implicit-def: $vgpr77
; %bb.62:
	s_and_not1_saveexec_b32 s4, s4
; %bb.63:
	v_and_b32_e32 v82, 0xffff, v77
	v_or_b32_e32 v83, 0x10000, v77
	s_delay_alu instid0(VALU_DEP_2) | instskip(NEXT) | instid1(VALU_DEP_2)
	v_cmp_eq_u32_e32 vcc_lo, 0, v82
	v_cndmask_b32_e32 v82, v83, v77, vcc_lo
; %bb.64:
	s_or_b32 exec_lo, exec_lo, s4
	v_and_b32_e32 v77, 0x7f800000, v78
	s_delay_alu instid0(VALU_DEP_1) | instskip(SKIP_1) | instid1(SALU_CYCLE_1)
	v_cmp_ne_u32_e32 vcc_lo, 0x7f800000, v77
                                        ; implicit-def: $vgpr77
	s_and_saveexec_b32 s4, vcc_lo
	s_xor_b32 s4, exec_lo, s4
; %bb.65:
	v_bfe_u32 v77, v78, 16, 1
	s_delay_alu instid0(VALU_DEP_1)
	v_add3_u32 v77, v78, v77, 0x7fff
                                        ; implicit-def: $vgpr78
; %bb.66:
	s_and_not1_saveexec_b32 s4, s4
; %bb.67:
	v_and_b32_e32 v77, 0xffff, v78
	v_or_b32_e32 v83, 0x10000, v78
	s_delay_alu instid0(VALU_DEP_2) | instskip(NEXT) | instid1(VALU_DEP_2)
	v_cmp_eq_u32_e32 vcc_lo, 0, v77
	v_cndmask_b32_e32 v77, v83, v78, vcc_lo
; %bb.68:
	s_or_b32 exec_lo, exec_lo, s4
	v_and_b32_e32 v78, 0x7f800000, v79
	s_delay_alu instid0(VALU_DEP_1) | instskip(SKIP_1) | instid1(SALU_CYCLE_1)
	v_cmp_ne_u32_e32 vcc_lo, 0x7f800000, v78
                                        ; implicit-def: $vgpr78
	s_and_saveexec_b32 s4, vcc_lo
	s_xor_b32 s4, exec_lo, s4
; %bb.69:
	v_bfe_u32 v78, v79, 16, 1
	s_delay_alu instid0(VALU_DEP_1)
	v_add3_u32 v78, v79, v78, 0x7fff
                                        ; implicit-def: $vgpr79
; %bb.70:
	s_and_not1_saveexec_b32 s4, s4
; %bb.71:
	v_and_b32_e32 v78, 0xffff, v79
	v_or_b32_e32 v83, 0x10000, v79
	s_delay_alu instid0(VALU_DEP_2) | instskip(NEXT) | instid1(VALU_DEP_2)
	v_cmp_eq_u32_e32 vcc_lo, 0, v78
	v_cndmask_b32_e32 v78, v83, v79, vcc_lo
; %bb.72:
	s_or_b32 exec_lo, exec_lo, s4
	v_and_b32_e32 v79, 0x7f800000, v70
	s_delay_alu instid0(VALU_DEP_1) | instskip(SKIP_1) | instid1(SALU_CYCLE_1)
	v_cmp_ne_u32_e32 vcc_lo, 0x7f800000, v79
                                        ; implicit-def: $vgpr79
	s_and_saveexec_b32 s4, vcc_lo
	s_xor_b32 s4, exec_lo, s4
; %bb.73:
	v_bfe_u32 v79, v70, 16, 1
	s_delay_alu instid0(VALU_DEP_1)
	v_add3_u32 v79, v70, v79, 0x7fff
                                        ; implicit-def: $vgpr70
; %bb.74:
	s_and_not1_saveexec_b32 s4, s4
; %bb.75:
	v_and_b32_e32 v79, 0xffff, v70
	v_or_b32_e32 v83, 0x10000, v70
	s_delay_alu instid0(VALU_DEP_2) | instskip(NEXT) | instid1(VALU_DEP_2)
	v_cmp_eq_u32_e32 vcc_lo, 0, v79
	v_cndmask_b32_e32 v79, v83, v70, vcc_lo
; %bb.76:
	s_or_b32 exec_lo, exec_lo, s4
	s_delay_alu instid0(VALU_DEP_1)
	v_perm_b32 v86, v79, v78, 0x7060302
	v_perm_b32 v85, v77, v82, 0x7060302
	;; [unrolled: 1-line block ×4, first 2 shown]
	v_lshl_or_b32 v82, v66, 11, v80
	ds_store_b128 v76, v[83:86] offset:1024
	s_waitcnt lgkmcnt(0)
	s_barrier
	buffer_gl0_inv
	ds_load_b128 v[69:72], v82
	ds_load_b128 v[83:86], v82 offset:16
	s_waitcnt lgkmcnt(1)
	v_lshrrev_b32_e32 v66, 16, v69
	s_waitcnt lgkmcnt(0)
	v_lshrrev_b32_e32 v91, 16, v83
	v_lshlrev_b32_e32 v78, 2, v74
	v_lshrrev_b32_e32 v95, 16, v70
	v_lshrrev_b32_e32 v98, 16, v84
	;; [unrolled: 1-line block ×4, first 2 shown]
	v_cmp_eq_u32_e32 vcc_lo, 1, v78
	v_lshrrev_b32_e32 v97, 16, v72
	v_lshrrev_b32_e32 v100, 16, v86
	v_cndmask_b32_e32 v87, v83, v91, vcc_lo
	v_or_b32_e32 v79, 1, v78
	v_cndmask_b32_e32 v81, v69, v66, vcc_lo
	v_cmp_eq_u32_e64 s5, 2, v78
	v_cmp_eq_u32_e64 s8, 3, v78
	;; [unrolled: 1-line block ×5, first 2 shown]
	v_cndmask_b32_e64 v81, v81, v70, s5
	v_cndmask_b32_e64 v87, v87, v84, s5
	v_cmp_eq_u32_e64 s9, 3, v79
	v_cndmask_b32_e64 v88, v69, v66, s4
	v_or_b32_e32 v77, 2, v78
	v_cndmask_b32_e64 v81, v81, v95, s8
	v_cndmask_b32_e64 v87, v87, v98, s8
	;; [unrolled: 1-line block ×4, first 2 shown]
	v_cmp_eq_u32_e64 s11, 5, v78
	v_cndmask_b32_e64 v81, v81, v71, s10
	v_cndmask_b32_e64 v87, v87, v85, s10
	v_cmp_eq_u32_e64 s12, 4, v79
	v_cndmask_b32_e64 v88, v88, v95, s9
	v_cmp_eq_u32_e64 s6, 1, v77
	v_cndmask_b32_e64 v89, v89, v84, s7
	v_cndmask_b32_e64 v81, v81, v96, s11
	v_cmp_eq_u32_e64 s13, 6, v78
	v_cndmask_b32_e64 v88, v88, v71, s12
	;; [unrolled: 3-line block ×3, first 2 shown]
	v_cndmask_b32_e64 v89, v89, v98, s9
	v_cndmask_b32_e64 v81, v81, v72, s13
	v_cmp_eq_u32_e64 s16, 7, v78
	v_cndmask_b32_e64 v88, v88, v96, s15
	v_cndmask_b32_e64 v87, v87, v86, s13
	v_cmp_eq_u32_e64 s17, 6, v79
	v_cmp_eq_u32_e64 s18, 2, v77
	v_cndmask_b32_e64 v89, v89, v85, s12
	v_cndmask_b32_e64 v101, v81, v97, s16
	;; [unrolled: 1-line block ×6, first 2 shown]
	v_cmp_eq_u32_e64 s19, 7, v79
	v_cmp_eq_u32_e64 s20, 3, v77
	;; [unrolled: 1-line block ×4, first 2 shown]
	v_cndmask_b32_e64 v87, v87, v84, s18
	v_cndmask_b32_e64 v103, v88, v97, s19
	;; [unrolled: 1-line block ×4, first 2 shown]
	v_or_b32_e32 v81, 3, v78
	v_cndmask_b32_e64 v93, v87, v98, s20
	v_cmp_eq_u32_e64 s25, 6, v77
	v_cndmask_b32_e64 v104, v88, v86, s17
	v_cndmask_b32_e64 v92, v89, v71, s21
	v_cmp_eq_u32_e64 s22, 1, v81
	ds_load_b128 v[87:90], v82 offset:1024
	v_cmp_eq_u32_e64 s24, 2, v81
	v_cmp_eq_u32_e64 s26, 3, v81
	v_cndmask_b32_e64 v105, v92, v96, s23
	v_cndmask_b32_e64 v66, v69, v66, s22
	;; [unrolled: 1-line block ×4, first 2 shown]
	ds_load_b128 v[91:94], v82 offset:1040
	v_cmp_eq_u32_e64 s27, 4, v81
	v_cndmask_b32_e64 v66, v66, v70, s24
	v_cmp_eq_u32_e64 s28, 7, v77
	v_cndmask_b32_e64 v70, v83, v84, s24
	v_cndmask_b32_e64 v84, v105, v72, s25
	v_cmp_eq_u32_e64 s29, 5, v81
	v_cndmask_b32_e64 v66, v66, v95, s26
	v_cmp_eq_u32_e64 s30, 6, v81
	v_cndmask_b32_e64 v70, v70, v98, s26
	v_cndmask_b32_e64 v69, v69, v99, s23
	;; [unrolled: 1-line block ×4, first 2 shown]
	s_waitcnt lgkmcnt(1)
	v_lshrrev_b32_e32 v95, 16, v87
	v_cndmask_b32_e64 v70, v70, v85, s27
	v_cndmask_b32_e64 v71, v84, v97, s28
	;; [unrolled: 1-line block ×4, first 2 shown]
	v_cndmask_b32_e32 v84, v87, v95, vcc_lo
	v_cndmask_b32_e64 v70, v70, v99, s29
	s_waitcnt lgkmcnt(0)
	v_lshrrev_b32_e32 v85, 16, v91
	v_lshrrev_b32_e32 v96, 16, v88
	v_cndmask_b32_e64 v98, v87, v95, s4
	v_cndmask_b32_e64 v84, v84, v88, s5
	;; [unrolled: 1-line block ×3, first 2 shown]
	v_cndmask_b32_e32 v99, v91, v85, vcc_lo
	v_cmp_eq_u32_e32 vcc_lo, 7, v81
	v_cndmask_b32_e64 v66, v66, v72, s30
	v_cndmask_b32_e64 v72, v84, v96, s8
	;; [unrolled: 1-line block ×3, first 2 shown]
	v_lshrrev_b32_e32 v98, 16, v92
	v_cndmask_b32_e32 v70, v70, v100, vcc_lo
	v_cndmask_b32_e64 v86, v99, v92, s5
	v_cndmask_b32_e64 v69, v69, v100, s28
	v_lshrrev_b32_e32 v100, 16, v93
	v_cndmask_b32_e64 v72, v72, v89, s10
	v_lshrrev_b32_e32 v99, 16, v89
	v_cndmask_b32_e64 v86, v86, v98, s8
	v_perm_b32 v71, v69, v71, 0x5040100
	v_cndmask_b32_e64 v84, v84, v96, s9
	s_delay_alu instid0(VALU_DEP_3) | instskip(NEXT) | instid1(VALU_DEP_2)
	v_cndmask_b32_e64 v86, v86, v93, s10
	v_cndmask_b32_e64 v84, v84, v89, s12
	s_delay_alu instid0(VALU_DEP_2) | instskip(NEXT) | instid1(VALU_DEP_1)
	v_cndmask_b32_e64 v86, v86, v100, s11
	v_cndmask_b32_e64 v69, v86, v94, s13
	;; [unrolled: 1-line block ×5, first 2 shown]
	s_delay_alu instid0(VALU_DEP_3) | instskip(NEXT) | instid1(VALU_DEP_3)
	v_cndmask_b32_e64 v86, v86, v88, s18
	v_cndmask_b32_e64 v87, v87, v88, s24
	s_delay_alu instid0(VALU_DEP_3) | instskip(NEXT) | instid1(VALU_DEP_3)
	v_cndmask_b32_e64 v88, v95, v92, s24
	v_cndmask_b32_e64 v86, v86, v96, s20
	;; [unrolled: 3-line block ×7, first 2 shown]
	s_delay_alu instid0(VALU_DEP_3) | instskip(SKIP_2) | instid1(VALU_DEP_2)
	v_cndmask_b32_e64 v88, v88, v94, s30
	v_cndmask_b32_e32 v66, v66, v97, vcc_lo
	v_cndmask_b32_e64 v97, v72, v99, s11
	v_perm_b32 v72, v70, v66, 0x5040100
	v_perm_b32 v70, v83, v103, 0x5040100
	v_cndmask_b32_e64 v103, v91, v85, s6
	v_cndmask_b32_e64 v85, v91, v85, s4
	;; [unrolled: 1-line block ×4, first 2 shown]
	v_lshrrev_b32_e32 v97, 16, v90
	v_cndmask_b32_e64 v91, v103, v92, s18
	v_cndmask_b32_e64 v85, v85, v92, s7
	;; [unrolled: 1-line block ×3, first 2 shown]
	s_mov_b32 s4, exec_lo
	v_cndmask_b32_e64 v83, v84, v97, s16
	v_cndmask_b32_e64 v91, v91, v98, s20
	;; [unrolled: 1-line block ×3, first 2 shown]
	v_lshrrev_b32_e32 v84, 16, v94
	v_cndmask_b32_e64 v66, v66, v97, s19
	v_cndmask_b32_e64 v90, v86, v97, s28
	;; [unrolled: 1-line block ×4, first 2 shown]
	v_dual_cndmask_b32 v86, v87, v97 :: v_dual_cndmask_b32 v87, v88, v84
	v_cndmask_b32_e64 v91, v69, v84, s16
	s_delay_alu instid0(VALU_DEP_4) | instskip(NEXT) | instid1(VALU_DEP_4)
	v_cndmask_b32_e64 v89, v89, v100, s23
	v_cndmask_b32_e64 v85, v85, v100, s15
	v_perm_b32 v69, v102, v101, 0x5040100
	v_perm_b32 v86, v87, v86, 0x5040100
	v_perm_b32 v83, v91, v83, 0x5040100
	v_cndmask_b32_e64 v89, v89, v94, s25
	v_cndmask_b32_e64 v85, v85, v94, s17
	s_mul_i32 s9, s37, 15
	s_delay_alu instid0(VALU_DEP_2) | instskip(NEXT) | instid1(VALU_DEP_2)
	v_cndmask_b32_e64 v88, v89, v84, s28
	v_cndmask_b32_e64 v89, v85, v84, s19
	s_delay_alu instid0(VALU_DEP_2) | instskip(NEXT) | instid1(VALU_DEP_2)
	v_perm_b32 v85, v88, v90, 0x5040100
	v_perm_b32 v84, v89, v66, 0x5040100
	ds_store_b128 v76, v[69:72]
	ds_store_b128 v76, v[83:86] offset:1024
	v_cmpx_gt_u32_e32 15, v0
	s_cbranch_execz .LBB1440_78
; %bb.77:
	s_mul_i32 s5, s9, s34
	s_load_b128 s[16:19], s[0:1], 0x58
	v_add3_u32 v69, s5, s31, v65
	s_delay_alu instid0(VALU_DEP_1) | instskip(NEXT) | instid1(VALU_DEP_1)
	v_mad_u64_u32 v[65:66], null, v69, s36, s[14:15]
	v_ashrrev_i32_e32 v66, 31, v65
	s_delay_alu instid0(VALU_DEP_1) | instskip(SKIP_1) | instid1(VALU_DEP_1)
	v_lshlrev_b64 v[65:66], 2, v[65:66]
	s_waitcnt lgkmcnt(0)
	v_add_co_u32 v69, vcc_lo, s18, v65
	s_delay_alu instid0(VALU_DEP_2)
	v_add_co_ci_u32_e32 v70, vcc_lo, s19, v66, vcc_lo
	v_add_co_u32 v65, vcc_lo, s16, v65
	v_add_co_ci_u32_e32 v66, vcc_lo, s17, v66, vcc_lo
	global_store_b32 v[69:70], v67, off
	global_store_b32 v[65:66], v68, off
.LBB1440_78:
	s_or_b32 exec_lo, exec_lo, s4
	s_waitcnt lgkmcnt(0)
	s_waitcnt_vscnt null, 0x0
	s_barrier
	buffer_gl0_inv
	ds_load_b128 v[83:86], v80
	ds_load_b128 v[87:90], v80 offset:16
	ds_load_b128 v[95:98], v80 offset:2064
	;; [unrolled: 1-line block ×3, first 2 shown]
	v_mov_b32_e32 v65, 0
	ds_load_b128 v[103:106], v80 offset:4112
	ds_load_b128 v[99:102], v80 offset:4096
	;; [unrolled: 1-line block ×4, first 2 shown]
	v_mov_b32_e32 v66, v65
	v_mov_b32_e32 v67, v65
	;; [unrolled: 1-line block ×7, first 2 shown]
	s_waitcnt lgkmcnt(6)
	s_delay_alu instid0(VALU_DEP_1)
	v_wmma_f32_16x16x16_bf16 v[65:72], v[57:64], v[83:90], v[65:72]
	ds_load_b128 v[61:64], v80 offset:8208
	ds_load_b128 v[57:60], v80 offset:8192
	s_waitcnt lgkmcnt(6)
	v_wmma_f32_16x16x16_bf16 v[65:72], v[41:48], v[91:98], v[65:72]
	ds_load_b128 v[45:48], v80 offset:10256
	ds_load_b128 v[41:44], v80 offset:10240
	s_waitcnt lgkmcnt(6)
	;; [unrolled: 4-line block ×4, first 2 shown]
	v_wmma_f32_16x16x16_bf16 v[65:72], v[1:8], v[57:64], v[65:72]
	s_waitcnt lgkmcnt(4)
	s_delay_alu instid0(VALU_DEP_1) | instskip(SKIP_1) | instid1(VALU_DEP_1)
	v_wmma_f32_16x16x16_bf16 v[65:72], v[9:16], v[41:48], v[65:72]
	s_waitcnt lgkmcnt(2)
	v_wmma_f32_16x16x16_bf16 v[65:72], v[17:24], v[33:40], v[65:72]
	s_waitcnt lgkmcnt(0)
	s_delay_alu instid0(VALU_DEP_1) | instskip(NEXT) | instid1(VALU_DEP_1)
	v_wmma_f32_16x16x16_bf16 v[65:72], v[49:56], v[25:32], v[65:72]
	v_and_b32_e32 v1, 0x7f800000, v65
	s_delay_alu instid0(VALU_DEP_1) | instskip(SKIP_1) | instid1(SALU_CYCLE_1)
	v_cmp_ne_u32_e32 vcc_lo, 0x7f800000, v1
                                        ; implicit-def: $vgpr1
	s_and_saveexec_b32 s4, vcc_lo
	s_xor_b32 s4, exec_lo, s4
; %bb.79:
	v_bfe_u32 v1, v65, 16, 1
	s_delay_alu instid0(VALU_DEP_1)
	v_add3_u32 v1, v65, v1, 0x7fff
; %bb.80:
	s_and_not1_saveexec_b32 s4, s4
; %bb.81:
	v_and_b32_e32 v1, 0xffff, v65
	v_or_b32_e32 v2, 0x10000, v65
	s_delay_alu instid0(VALU_DEP_2) | instskip(NEXT) | instid1(VALU_DEP_2)
	v_cmp_eq_u32_e32 vcc_lo, 0, v1
	v_cndmask_b32_e32 v1, v2, v65, vcc_lo
; %bb.82:
	s_or_b32 exec_lo, exec_lo, s4
	v_and_b32_e32 v2, 0x7f800000, v66
	s_delay_alu instid0(VALU_DEP_1) | instskip(SKIP_1) | instid1(SALU_CYCLE_1)
	v_cmp_ne_u32_e32 vcc_lo, 0x7f800000, v2
                                        ; implicit-def: $vgpr2
	s_and_saveexec_b32 s4, vcc_lo
	s_xor_b32 s4, exec_lo, s4
; %bb.83:
	v_bfe_u32 v2, v66, 16, 1
	s_delay_alu instid0(VALU_DEP_1)
	v_add3_u32 v2, v66, v2, 0x7fff
; %bb.84:
	s_and_not1_saveexec_b32 s4, s4
; %bb.85:
	v_and_b32_e32 v2, 0xffff, v66
	v_or_b32_e32 v3, 0x10000, v66
	s_delay_alu instid0(VALU_DEP_2) | instskip(NEXT) | instid1(VALU_DEP_2)
	v_cmp_eq_u32_e32 vcc_lo, 0, v2
	v_cndmask_b32_e32 v2, v3, v66, vcc_lo
; %bb.86:
	s_or_b32 exec_lo, exec_lo, s4
	v_and_b32_e32 v3, 0x7f800000, v67
	s_delay_alu instid0(VALU_DEP_1) | instskip(SKIP_1) | instid1(SALU_CYCLE_1)
	v_cmp_ne_u32_e32 vcc_lo, 0x7f800000, v3
                                        ; implicit-def: $vgpr3
	s_and_saveexec_b32 s4, vcc_lo
	s_xor_b32 s4, exec_lo, s4
; %bb.87:
	v_bfe_u32 v3, v67, 16, 1
	s_delay_alu instid0(VALU_DEP_1)
	v_add3_u32 v3, v67, v3, 0x7fff
; %bb.88:
	s_and_not1_saveexec_b32 s4, s4
; %bb.89:
	v_and_b32_e32 v3, 0xffff, v67
	v_or_b32_e32 v4, 0x10000, v67
	s_delay_alu instid0(VALU_DEP_2) | instskip(NEXT) | instid1(VALU_DEP_2)
	v_cmp_eq_u32_e32 vcc_lo, 0, v3
	v_cndmask_b32_e32 v3, v4, v67, vcc_lo
; %bb.90:
	s_or_b32 exec_lo, exec_lo, s4
	v_and_b32_e32 v4, 0x7f800000, v68
	s_delay_alu instid0(VALU_DEP_1) | instskip(SKIP_1) | instid1(SALU_CYCLE_1)
	v_cmp_ne_u32_e32 vcc_lo, 0x7f800000, v4
                                        ; implicit-def: $vgpr4
	s_and_saveexec_b32 s4, vcc_lo
	s_xor_b32 s4, exec_lo, s4
; %bb.91:
	v_bfe_u32 v4, v68, 16, 1
	s_delay_alu instid0(VALU_DEP_1)
	v_add3_u32 v4, v68, v4, 0x7fff
; %bb.92:
	s_and_not1_saveexec_b32 s4, s4
; %bb.93:
	v_and_b32_e32 v4, 0xffff, v68
	v_or_b32_e32 v5, 0x10000, v68
	s_delay_alu instid0(VALU_DEP_2) | instskip(NEXT) | instid1(VALU_DEP_2)
	v_cmp_eq_u32_e32 vcc_lo, 0, v4
	v_cndmask_b32_e32 v4, v5, v68, vcc_lo
; %bb.94:
	s_or_b32 exec_lo, exec_lo, s4
	v_and_b32_e32 v5, 0x7f800000, v69
	s_delay_alu instid0(VALU_DEP_1) | instskip(SKIP_1) | instid1(SALU_CYCLE_1)
	v_cmp_ne_u32_e32 vcc_lo, 0x7f800000, v5
                                        ; implicit-def: $vgpr5
	s_and_saveexec_b32 s4, vcc_lo
	s_xor_b32 s4, exec_lo, s4
; %bb.95:
	v_bfe_u32 v5, v69, 16, 1
	s_delay_alu instid0(VALU_DEP_1)
	v_add3_u32 v5, v69, v5, 0x7fff
; %bb.96:
	s_and_not1_saveexec_b32 s4, s4
; %bb.97:
	v_and_b32_e32 v5, 0xffff, v69
	v_or_b32_e32 v6, 0x10000, v69
	s_delay_alu instid0(VALU_DEP_2) | instskip(NEXT) | instid1(VALU_DEP_2)
	v_cmp_eq_u32_e32 vcc_lo, 0, v5
	v_cndmask_b32_e32 v5, v6, v69, vcc_lo
; %bb.98:
	s_or_b32 exec_lo, exec_lo, s4
	v_and_b32_e32 v6, 0x7f800000, v70
	s_delay_alu instid0(VALU_DEP_1) | instskip(SKIP_1) | instid1(SALU_CYCLE_1)
	v_cmp_ne_u32_e32 vcc_lo, 0x7f800000, v6
                                        ; implicit-def: $vgpr6
	s_and_saveexec_b32 s4, vcc_lo
	s_xor_b32 s4, exec_lo, s4
; %bb.99:
	v_bfe_u32 v6, v70, 16, 1
	s_delay_alu instid0(VALU_DEP_1)
	v_add3_u32 v6, v70, v6, 0x7fff
; %bb.100:
	s_and_not1_saveexec_b32 s4, s4
; %bb.101:
	v_and_b32_e32 v6, 0xffff, v70
	v_or_b32_e32 v7, 0x10000, v70
	s_delay_alu instid0(VALU_DEP_2) | instskip(NEXT) | instid1(VALU_DEP_2)
	v_cmp_eq_u32_e32 vcc_lo, 0, v6
	v_cndmask_b32_e32 v6, v7, v70, vcc_lo
; %bb.102:
	s_or_b32 exec_lo, exec_lo, s4
	v_and_b32_e32 v7, 0x7f800000, v71
	s_delay_alu instid0(VALU_DEP_1) | instskip(SKIP_1) | instid1(SALU_CYCLE_1)
	v_cmp_ne_u32_e32 vcc_lo, 0x7f800000, v7
                                        ; implicit-def: $vgpr7
	s_and_saveexec_b32 s4, vcc_lo
	s_xor_b32 s4, exec_lo, s4
; %bb.103:
	v_bfe_u32 v7, v71, 16, 1
	s_delay_alu instid0(VALU_DEP_1)
	v_add3_u32 v7, v71, v7, 0x7fff
; %bb.104:
	s_and_not1_saveexec_b32 s4, s4
; %bb.105:
	v_and_b32_e32 v7, 0xffff, v71
	v_or_b32_e32 v8, 0x10000, v71
	s_delay_alu instid0(VALU_DEP_2) | instskip(NEXT) | instid1(VALU_DEP_2)
	v_cmp_eq_u32_e32 vcc_lo, 0, v7
	v_cndmask_b32_e32 v7, v8, v71, vcc_lo
; %bb.106:
	s_or_b32 exec_lo, exec_lo, s4
	v_and_b32_e32 v8, 0x7f800000, v72
	s_delay_alu instid0(VALU_DEP_1) | instskip(SKIP_1) | instid1(SALU_CYCLE_1)
	v_cmp_ne_u32_e32 vcc_lo, 0x7f800000, v8
                                        ; implicit-def: $vgpr8
	s_and_saveexec_b32 s4, vcc_lo
	s_xor_b32 s4, exec_lo, s4
; %bb.107:
	v_bfe_u32 v8, v72, 16, 1
	s_delay_alu instid0(VALU_DEP_1)
	v_add3_u32 v8, v72, v8, 0x7fff
                                        ; implicit-def: $vgpr65_vgpr66_vgpr67_vgpr68_vgpr69_vgpr70_vgpr71_vgpr72
; %bb.108:
	s_and_not1_saveexec_b32 s4, s4
; %bb.109:
	v_and_b32_e32 v8, 0xffff, v72
	v_or_b32_e32 v9, 0x10000, v72
	s_delay_alu instid0(VALU_DEP_2) | instskip(NEXT) | instid1(VALU_DEP_2)
	v_cmp_eq_u32_e32 vcc_lo, 0, v8
	v_cndmask_b32_e32 v8, v9, v72, vcc_lo
; %bb.110:
	s_or_b32 exec_lo, exec_lo, s4
	s_delay_alu instid0(VALU_DEP_1)
	v_perm_b32 v7, v8, v7, 0x7060302
	v_perm_b32 v6, v6, v5, 0x7060302
	;; [unrolled: 1-line block ×4, first 2 shown]
	s_barrier
	buffer_gl0_inv
	v_cmp_eq_u32_e32 vcc_lo, 1, v78
	ds_store_b128 v76, v[4:7]
	s_waitcnt lgkmcnt(0)
	s_barrier
	buffer_gl0_inv
	ds_load_b128 v[1:4], v82
	ds_load_b128 v[5:8], v82 offset:16
	v_cmp_eq_u32_e64 s4, 1, v79
	v_cmp_eq_u32_e64 s5, 2, v78
	;; [unrolled: 1-line block ×5, first 2 shown]
	s_waitcnt lgkmcnt(1)
	v_lshrrev_b32_e32 v9, 16, v1
	s_waitcnt lgkmcnt(0)
	v_lshrrev_b32_e32 v13, 16, v5
	v_lshrrev_b32_e32 v10, 16, v2
	v_lshrrev_b32_e32 v14, 16, v6
	v_lshrrev_b32_e32 v11, 16, v3
	v_cndmask_b32_e64 v19, v1, v9, s4
	v_cndmask_b32_e32 v18, v5, v13, vcc_lo
	v_cndmask_b32_e64 v20, v5, v13, s4
	v_cndmask_b32_e32 v17, v1, v9, vcc_lo
	v_cmp_eq_u32_e32 vcc_lo, 2, v79
	v_lshrrev_b32_e32 v15, 16, v7
	v_cmp_eq_u32_e64 s4, 1, v77
	v_lshrrev_b32_e32 v12, 16, v4
	v_lshrrev_b32_e32 v16, 16, v8
	v_cndmask_b32_e32 v20, v20, v6, vcc_lo
	v_cndmask_b32_e64 v17, v17, v2, s5
	v_cndmask_b32_e32 v19, v19, v2, vcc_lo
	v_cndmask_b32_e64 v18, v18, v6, s5
	v_cmp_eq_u32_e32 vcc_lo, 4, v78
	v_cmp_eq_u32_e64 s5, 3, v79
	v_cndmask_b32_e64 v17, v17, v10, s6
	v_cndmask_b32_e64 v21, v1, v9, s4
	;; [unrolled: 1-line block ×5, first 2 shown]
	v_cndmask_b32_e32 v17, v17, v3, vcc_lo
	v_cndmask_b32_e64 v20, v20, v14, s5
	v_cndmask_b32_e32 v18, v18, v7, vcc_lo
	v_cmp_eq_u32_e32 vcc_lo, 4, v79
	v_cmp_eq_u32_e64 s5, 5, v79
	v_cmp_eq_u32_e64 s4, 2, v81
	v_cndmask_b32_e64 v21, v21, v2, s8
	v_cmp_eq_u32_e64 s6, 5, v78
	v_cndmask_b32_e32 v19, v19, v3, vcc_lo
	v_cndmask_b32_e32 v20, v20, v7, vcc_lo
	v_cmp_eq_u32_e32 vcc_lo, 6, v79
	s_delay_alu instid0(VALU_DEP_4) | instskip(NEXT) | instid1(VALU_DEP_4)
	v_cndmask_b32_e64 v17, v17, v11, s6
	v_cndmask_b32_e64 v19, v19, v11, s5
	s_delay_alu instid0(VALU_DEP_4) | instskip(SKIP_1) | instid1(VALU_DEP_3)
	v_cndmask_b32_e64 v20, v20, v15, s5
	v_cmp_eq_u32_e64 s5, 1, v81
	v_cndmask_b32_e32 v19, v19, v4, vcc_lo
	v_cndmask_b32_e64 v18, v18, v15, s6
	s_delay_alu instid0(VALU_DEP_3)
	v_cndmask_b32_e64 v1, v1, v9, s5
	v_cndmask_b32_e64 v5, v5, v13, s5
	v_cmp_eq_u32_e64 s5, 3, v77
	v_cndmask_b32_e64 v13, v22, v6, s8
	v_cmp_eq_u32_e64 s8, 3, v81
	v_cndmask_b32_e64 v1, v1, v2, s4
	v_cndmask_b32_e64 v2, v5, v6, s4
	;; [unrolled: 1-line block ×3, first 2 shown]
	v_cmp_eq_u32_e64 s4, 4, v77
	v_cndmask_b32_e64 v6, v13, v14, s5
	v_cndmask_b32_e64 v1, v1, v10, s8
	v_cmp_eq_u32_e64 s5, 4, v81
	v_cndmask_b32_e64 v2, v2, v14, s8
	v_cndmask_b32_e64 v5, v9, v3, s4
	;; [unrolled: 3-line block ×3, first 2 shown]
	v_cndmask_b32_e64 v2, v2, v7, s5
	v_cmp_eq_u32_e64 s4, 5, v81
	v_cmp_eq_u32_e64 s6, 6, v78
	v_cndmask_b32_e64 v5, v5, v11, s8
	v_cmp_eq_u32_e64 s5, 6, v77
	v_cndmask_b32_e64 v3, v6, v15, s8
	v_cndmask_b32_e64 v1, v1, v11, s4
	v_cmp_eq_u32_e64 s8, 6, v81
	v_cndmask_b32_e64 v2, v2, v15, s4
	v_cndmask_b32_e64 v17, v17, v4, s6
	v_cndmask_b32_e64 v18, v18, v8, s6
	v_cmp_eq_u32_e64 s6, 7, v78
	v_cndmask_b32_e64 v5, v5, v4, s5
	;; [unrolled: 4-line block ×3, first 2 shown]
	v_cmp_eq_u32_e64 s5, 7, v77
	v_cndmask_b32_e32 v4, v20, v8, vcc_lo
	v_cndmask_b32_e64 v17, v17, v12, s6
	v_cndmask_b32_e64 v19, v19, v12, s7
	;; [unrolled: 1-line block ×8, first 2 shown]
	v_cmp_gt_u32_e32 vcc_lo, 32, v0
	v_perm_b32 v4, v2, v1, 0x5040100
	v_perm_b32 v3, v3, v5, 0x5040100
	;; [unrolled: 1-line block ×4, first 2 shown]
	s_and_b32 s2, vcc_lo, s2
	ds_store_b128 v76, v[1:4]
	s_waitcnt lgkmcnt(0)
	s_barrier
	buffer_gl0_inv
	s_and_saveexec_b32 s4, s2
	s_cbranch_execz .LBB1440_2
; %bb.111:
	s_load_b64 s[4:5], s[0:1], 0x68
	v_add_nc_u32_e32 v20, s31, v74
	v_lshlrev_b32_e32 v0, 10, v0
	v_lshlrev_b32_e32 v1, 4, v75
	s_lshl_b32 s0, s36, 6
	s_delay_alu instid0(SALU_CYCLE_1)
	s_mul_i32 s1, s0, s34
	v_add_nc_u32_e32 v2, 2, v20
	s_mul_i32 s6, s1, s9
	v_and_or_b32 v0, 0x3800, v0, v1
	v_mul_lo_u32 v1, v20, s0
	s_ashr_i32 s7, s6, 31
	v_mul_lo_u32 v11, v2, s0
	s_lshl_b64 s[6:7], s[6:7], 1
	v_add_nc_u32_e32 v3, 4, v20
	v_lshl_or_b32 v21, v74, 6, v0
	v_add_nc_u32_e32 v16, 6, v20
	v_ashrrev_i32_e32 v2, 31, v1
	s_delay_alu instid0(VALU_DEP_4)
	v_mul_lo_u32 v13, v3, s0
	s_waitcnt lgkmcnt(0)
	s_add_u32 s1, s4, s6
	s_addc_u32 s2, s5, s7
	s_lshl_b32 s4, s14, 6
	ds_load_b128 v[3:6], v21
	ds_load_b128 v[7:10], v21 offset:128
	s_ashr_i32 s5, s4, 31
	v_ashrrev_i32_e32 v12, 31, v11
	s_lshl_b64 s[4:5], s[4:5], 1
	v_lshlrev_b64 v[14:15], 1, v[1:2]
	s_add_u32 s1, s1, s4
	s_addc_u32 s2, s2, s5
	v_add_co_u32 v1, s1, s1, v73
	s_delay_alu instid0(VALU_DEP_1) | instskip(SKIP_1) | instid1(VALU_DEP_3)
	v_add_co_ci_u32_e64 v2, null, s2, 0, s1
	v_lshlrev_b64 v[11:12], 1, v[11:12]
	v_add_co_u32 v18, vcc_lo, v1, v14
	v_mul_lo_u32 v16, v16, s0
	s_delay_alu instid0(VALU_DEP_4) | instskip(NEXT) | instid1(VALU_DEP_4)
	v_add_co_ci_u32_e32 v19, vcc_lo, v2, v15, vcc_lo
	v_add_co_u32 v11, vcc_lo, v1, v11
	v_ashrrev_i32_e32 v14, 31, v13
	v_add_co_ci_u32_e32 v12, vcc_lo, v2, v12, vcc_lo
	v_add_nc_u32_e32 v15, 8, v20
	v_ashrrev_i32_e32 v17, 31, v16
	s_waitcnt lgkmcnt(1)
	global_store_b128 v[18:19], v[3:6], off
	v_lshlrev_b64 v[3:4], 1, v[13:14]
	s_waitcnt lgkmcnt(0)
	global_store_b128 v[11:12], v[7:10], off
	v_mul_lo_u32 v11, v15, s0
	v_add_nc_u32_e32 v7, 10, v20
	v_lshlrev_b64 v[5:6], 1, v[16:17]
	v_add_co_u32 v23, vcc_lo, v1, v3
	v_add_nc_u32_e32 v3, 12, v20
	s_delay_alu instid0(VALU_DEP_4)
	v_mul_lo_u32 v25, v7, s0
	v_ashrrev_i32_e32 v12, 31, v11
	v_add_co_ci_u32_e32 v24, vcc_lo, v2, v4, vcc_lo
	v_add_co_u32 v27, vcc_lo, v1, v5
	v_mul_lo_u32 v29, v3, s0
	v_add_co_ci_u32_e32 v28, vcc_lo, v2, v6, vcc_lo
	ds_load_b128 v[3:6], v21 offset:256
	ds_load_b128 v[7:10], v21 offset:384
	v_lshlrev_b64 v[31:32], 1, v[11:12]
	ds_load_b128 v[11:14], v21 offset:512
	ds_load_b128 v[15:18], v21 offset:640
	;; [unrolled: 1-line block ×3, first 2 shown]
	v_ashrrev_i32_e32 v26, 31, v25
	v_ashrrev_i32_e32 v30, 31, v29
	v_add_co_u32 v31, vcc_lo, v1, v31
	s_delay_alu instid0(VALU_DEP_3) | instskip(NEXT) | instid1(VALU_DEP_3)
	v_lshlrev_b64 v[25:26], 1, v[25:26]
	v_lshlrev_b64 v[29:30], 1, v[29:30]
	v_add_co_ci_u32_e32 v32, vcc_lo, v2, v32, vcc_lo
	s_delay_alu instid0(VALU_DEP_3) | instskip(NEXT) | instid1(VALU_DEP_4)
	v_add_co_u32 v25, vcc_lo, v1, v25
	v_add_co_ci_u32_e32 v26, vcc_lo, v2, v26, vcc_lo
	s_delay_alu instid0(VALU_DEP_4)
	v_add_co_u32 v29, vcc_lo, v1, v29
	v_add_co_ci_u32_e32 v30, vcc_lo, v2, v30, vcc_lo
	s_waitcnt lgkmcnt(4)
	global_store_b128 v[23:24], v[3:6], off
	s_waitcnt lgkmcnt(3)
	global_store_b128 v[27:28], v[7:10], off
	;; [unrolled: 2-line block ×5, first 2 shown]
	s_and_b32 exec_lo, exec_lo, s3
	s_cbranch_execz .LBB1440_2
; %bb.112:
	ds_load_b128 v[3:6], v0 offset:896
	s_add_i32 s1, s31, 14
	s_delay_alu instid0(SALU_CYCLE_1) | instskip(NEXT) | instid1(SALU_CYCLE_1)
	s_mul_i32 s0, s1, s0
	s_ashr_i32 s1, s0, 31
	s_delay_alu instid0(SALU_CYCLE_1) | instskip(NEXT) | instid1(SALU_CYCLE_1)
	s_lshl_b64 s[0:1], s[0:1], 1
	v_add_co_u32 v0, vcc_lo, v1, s0
	v_add_co_ci_u32_e32 v1, vcc_lo, s1, v2, vcc_lo
	s_waitcnt lgkmcnt(0)
	global_store_b128 v[0:1], v[3:6], off
	s_nop 0
	s_sendmsg sendmsg(MSG_DEALLOC_VGPRS)
	s_endpgm
	.section	.rodata,"a",@progbits
	.p2align	6, 0x0
	.amdhsa_kernel _Z39paged_attention_ll4mi_QKV_mfma16_kernelI14__hip_bfloat16hLN4vllm18Fp8KVCacheDataTypeE1EhLi32ELi64ELi256ELb1ELi15EL8MFMAType1EEvPKT_PKT0_S9_ifPKiSB_SB_iPKfiiiPfSE_PS4_PT2_iSD_SD_
		.amdhsa_group_segment_fixed_size 17472
		.amdhsa_private_segment_fixed_size 0
		.amdhsa_kernarg_size 400
		.amdhsa_user_sgpr_count 13
		.amdhsa_user_sgpr_dispatch_ptr 0
		.amdhsa_user_sgpr_queue_ptr 0
		.amdhsa_user_sgpr_kernarg_segment_ptr 1
		.amdhsa_user_sgpr_dispatch_id 0
		.amdhsa_user_sgpr_private_segment_size 0
		.amdhsa_wavefront_size32 1
		.amdhsa_uses_dynamic_stack 0
		.amdhsa_enable_private_segment 0
		.amdhsa_system_sgpr_workgroup_id_x 1
		.amdhsa_system_sgpr_workgroup_id_y 1
		.amdhsa_system_sgpr_workgroup_id_z 1
		.amdhsa_system_sgpr_workgroup_info 0
		.amdhsa_system_vgpr_workitem_id 0
		.amdhsa_next_free_vgpr 124
		.amdhsa_next_free_sgpr 42
		.amdhsa_reserve_vcc 1
		.amdhsa_float_round_mode_32 0
		.amdhsa_float_round_mode_16_64 0
		.amdhsa_float_denorm_mode_32 3
		.amdhsa_float_denorm_mode_16_64 3
		.amdhsa_dx10_clamp 1
		.amdhsa_ieee_mode 1
		.amdhsa_fp16_overflow 0
		.amdhsa_workgroup_processor_mode 1
		.amdhsa_memory_ordered 1
		.amdhsa_forward_progress 0
		.amdhsa_shared_vgpr_count 0
		.amdhsa_exception_fp_ieee_invalid_op 0
		.amdhsa_exception_fp_denorm_src 0
		.amdhsa_exception_fp_ieee_div_zero 0
		.amdhsa_exception_fp_ieee_overflow 0
		.amdhsa_exception_fp_ieee_underflow 0
		.amdhsa_exception_fp_ieee_inexact 0
		.amdhsa_exception_int_div_zero 0
	.end_amdhsa_kernel
	.section	.text._Z39paged_attention_ll4mi_QKV_mfma16_kernelI14__hip_bfloat16hLN4vllm18Fp8KVCacheDataTypeE1EhLi32ELi64ELi256ELb1ELi15EL8MFMAType1EEvPKT_PKT0_S9_ifPKiSB_SB_iPKfiiiPfSE_PS4_PT2_iSD_SD_,"axG",@progbits,_Z39paged_attention_ll4mi_QKV_mfma16_kernelI14__hip_bfloat16hLN4vllm18Fp8KVCacheDataTypeE1EhLi32ELi64ELi256ELb1ELi15EL8MFMAType1EEvPKT_PKT0_S9_ifPKiSB_SB_iPKfiiiPfSE_PS4_PT2_iSD_SD_,comdat
.Lfunc_end1440:
	.size	_Z39paged_attention_ll4mi_QKV_mfma16_kernelI14__hip_bfloat16hLN4vllm18Fp8KVCacheDataTypeE1EhLi32ELi64ELi256ELb1ELi15EL8MFMAType1EEvPKT_PKT0_S9_ifPKiSB_SB_iPKfiiiPfSE_PS4_PT2_iSD_SD_, .Lfunc_end1440-_Z39paged_attention_ll4mi_QKV_mfma16_kernelI14__hip_bfloat16hLN4vllm18Fp8KVCacheDataTypeE1EhLi32ELi64ELi256ELb1ELi15EL8MFMAType1EEvPKT_PKT0_S9_ifPKiSB_SB_iPKfiiiPfSE_PS4_PT2_iSD_SD_
                                        ; -- End function
	.section	.AMDGPU.csdata,"",@progbits
; Kernel info:
; codeLenInByte = 9028
; NumSgprs: 44
; NumVgprs: 124
; ScratchSize: 0
; MemoryBound: 0
; FloatMode: 240
; IeeeMode: 1
; LDSByteSize: 17472 bytes/workgroup (compile time only)
; SGPRBlocks: 5
; VGPRBlocks: 15
; NumSGPRsForWavesPerEU: 44
; NumVGPRsForWavesPerEU: 124
; Occupancy: 10
; WaveLimiterHint : 1
; COMPUTE_PGM_RSRC2:SCRATCH_EN: 0
; COMPUTE_PGM_RSRC2:USER_SGPR: 13
; COMPUTE_PGM_RSRC2:TRAP_HANDLER: 0
; COMPUTE_PGM_RSRC2:TGID_X_EN: 1
; COMPUTE_PGM_RSRC2:TGID_Y_EN: 1
; COMPUTE_PGM_RSRC2:TGID_Z_EN: 1
; COMPUTE_PGM_RSRC2:TIDIG_COMP_CNT: 0
	.section	.text._Z39paged_attention_ll4mi_QKV_mfma16_kernelI14__hip_bfloat16hLN4vllm18Fp8KVCacheDataTypeE1EhLi32ELi64ELi256ELb1ELi16EL8MFMAType1EEvPKT_PKT0_S9_ifPKiSB_SB_iPKfiiiPfSE_PS4_PT2_iSD_SD_,"axG",@progbits,_Z39paged_attention_ll4mi_QKV_mfma16_kernelI14__hip_bfloat16hLN4vllm18Fp8KVCacheDataTypeE1EhLi32ELi64ELi256ELb1ELi16EL8MFMAType1EEvPKT_PKT0_S9_ifPKiSB_SB_iPKfiiiPfSE_PS4_PT2_iSD_SD_,comdat
	.protected	_Z39paged_attention_ll4mi_QKV_mfma16_kernelI14__hip_bfloat16hLN4vllm18Fp8KVCacheDataTypeE1EhLi32ELi64ELi256ELb1ELi16EL8MFMAType1EEvPKT_PKT0_S9_ifPKiSB_SB_iPKfiiiPfSE_PS4_PT2_iSD_SD_ ; -- Begin function _Z39paged_attention_ll4mi_QKV_mfma16_kernelI14__hip_bfloat16hLN4vllm18Fp8KVCacheDataTypeE1EhLi32ELi64ELi256ELb1ELi16EL8MFMAType1EEvPKT_PKT0_S9_ifPKiSB_SB_iPKfiiiPfSE_PS4_PT2_iSD_SD_
	.globl	_Z39paged_attention_ll4mi_QKV_mfma16_kernelI14__hip_bfloat16hLN4vllm18Fp8KVCacheDataTypeE1EhLi32ELi64ELi256ELb1ELi16EL8MFMAType1EEvPKT_PKT0_S9_ifPKiSB_SB_iPKfiiiPfSE_PS4_PT2_iSD_SD_
	.p2align	8
	.type	_Z39paged_attention_ll4mi_QKV_mfma16_kernelI14__hip_bfloat16hLN4vllm18Fp8KVCacheDataTypeE1EhLi32ELi64ELi256ELb1ELi16EL8MFMAType1EEvPKT_PKT0_S9_ifPKiSB_SB_iPKfiiiPfSE_PS4_PT2_iSD_SD_,@function
_Z39paged_attention_ll4mi_QKV_mfma16_kernelI14__hip_bfloat16hLN4vllm18Fp8KVCacheDataTypeE1EhLi32ELi64ELi256ELb1ELi16EL8MFMAType1EEvPKT_PKT0_S9_ifPKiSB_SB_iPKfiiiPfSE_PS4_PT2_iSD_SD_: ; @_Z39paged_attention_ll4mi_QKV_mfma16_kernelI14__hip_bfloat16hLN4vllm18Fp8KVCacheDataTypeE1EhLi32ELi64ELi256ELb1ELi16EL8MFMAType1EEvPKT_PKT0_S9_ifPKiSB_SB_iPKfiiiPfSE_PS4_PT2_iSD_SD_
; %bb.0:
	s_load_b64 s[2:3], s[0:1], 0x30
	s_mov_b32 s30, s13
	s_waitcnt lgkmcnt(0)
	s_cmp_lg_u64 s[2:3], 0
	s_cselect_b32 s8, -1, 0
	s_ashr_i32 s31, s13, 31
	s_cmp_eq_u64 s[2:3], 0
	s_cbranch_scc1 .LBB1441_3
; %bb.1:
	s_lshl_b64 s[4:5], s[30:31], 2
	s_delay_alu instid0(SALU_CYCLE_1) | instskip(SKIP_4) | instid1(SALU_CYCLE_1)
	s_add_u32 s4, s2, s4
	s_addc_u32 s5, s3, s5
	s_load_b64 s[4:5], s[4:5], 0x0
	s_waitcnt lgkmcnt(0)
	s_sub_i32 s4, s5, s4
	s_cmp_eq_u32 s4, 1
	s_cselect_b32 s4, -1, 0
	s_delay_alu instid0(SALU_CYCLE_1)
	s_and_not1_b32 vcc_lo, exec_lo, s4
	s_cbranch_vccz .LBB1441_4
.LBB1441_2:
	s_endpgm
.LBB1441_3:
.LBB1441_4:
	s_load_b64 s[4:5], s[0:1], 0x28
	s_lshl_b64 s[6:7], s[30:31], 2
	s_waitcnt lgkmcnt(0)
	s_add_u32 s4, s4, s6
	s_addc_u32 s5, s5, s7
	s_lshl_b32 s12, s14, 8
	s_load_b32 s24, s[4:5], 0x0
	s_waitcnt lgkmcnt(0)
	s_cmp_ge_i32 s12, s24
	s_cbranch_scc1 .LBB1441_2
; %bb.5:
	s_clause 0x1
	s_load_b128 s[20:23], s[0:1], 0x8
	s_load_b64 s[4:5], s[0:1], 0x20
	s_and_not1_b32 vcc_lo, exec_lo, s8
	s_cbranch_vccnz .LBB1441_7
; %bb.6:
	s_add_u32 s2, s2, s6
	s_addc_u32 s3, s3, s7
	s_load_b32 s3, s[2:3], 0x0
	s_branch .LBB1441_8
.LBB1441_7:
	s_mov_b32 s3, s30
.LBB1441_8:
	s_load_b128 s[16:19], s[0:1], 0x48
	v_and_b32_e32 v66, 15, v0
	v_cmp_gt_u32_e32 vcc_lo, 0x100, v0
	v_lshrrev_b32_e32 v65, 5, v0
	v_and_b32_e32 v67, 31, v0
	v_and_b32_e32 v75, 1, v0
	v_lshlrev_b32_e32 v1, 3, v66
	v_cmp_gt_u32_e64 s2, 8, v66
	v_bfe_u32 v74, v0, 4, 1
	s_lshl_b32 s31, s15, 4
	s_delay_alu instid0(VALU_DEP_3) | instskip(NEXT) | instid1(VALU_DEP_3)
	v_lshlrev_b32_e32 v73, 1, v1
	s_and_b32 s7, vcc_lo, s2
	s_delay_alu instid0(SALU_CYCLE_1)
	s_and_saveexec_b32 s6, s7
	s_cbranch_execz .LBB1441_10
; %bb.9:
	v_lshl_or_b32 v5, v65, 1, v74
	s_load_b64 s[8:9], s[0:1], 0x0
	s_waitcnt lgkmcnt(0)
	s_mul_hi_i32 s11, s3, s16
	s_mul_i32 s10, s3, s16
	v_lshlrev_b32_e32 v6, 10, v66
	v_or_b32_e32 v1, s31, v5
	s_lshl_b64 s[10:11], s[10:11], 1
	v_lshlrev_b32_e32 v5, 6, v5
	v_lshlrev_b32_e32 v7, 10, v75
	v_and_b32_e32 v6, 0x3800, v6
	v_lshlrev_b32_e32 v1, 6, v1
	s_delay_alu instid0(VALU_DEP_2) | instskip(NEXT) | instid1(VALU_DEP_2)
	v_or3_b32 v5, v6, v7, v5
	v_ashrrev_i32_e32 v2, 31, v1
	s_delay_alu instid0(VALU_DEP_1) | instskip(SKIP_2) | instid1(VALU_DEP_1)
	v_lshlrev_b64 v[1:2], 1, v[1:2]
	s_add_u32 s3, s8, s10
	s_addc_u32 s7, s9, s11
	v_add_co_u32 v1, vcc_lo, s3, v1
	s_delay_alu instid0(VALU_DEP_2) | instskip(NEXT) | instid1(VALU_DEP_2)
	v_add_co_ci_u32_e32 v2, vcc_lo, s7, v2, vcc_lo
	v_add_co_u32 v1, vcc_lo, v1, v73
	s_delay_alu instid0(VALU_DEP_2)
	v_add_co_ci_u32_e32 v2, vcc_lo, 0, v2, vcc_lo
	global_load_b128 v[1:4], v[1:2], off
	s_waitcnt vmcnt(0)
	ds_store_b128 v5, v[1:4]
.LBB1441_10:
	s_or_b32 exec_lo, exec_lo, s6
	v_and_b32_e32 v1, 0xef, v0
	s_waitcnt lgkmcnt(0)
	s_add_i32 s3, s24, 31
	s_clause 0x1
	s_load_b32 s6, s[0:1], 0x38
	s_load_b32 s19, s[0:1], 0x1c
	s_ashr_i32 s7, s3, 31
	v_add_nc_u32_e32 v1, s12, v1
	s_lshr_b32 s7, s7, 27
	s_waitcnt lgkmcnt(0)
	s_add_i32 s3, s3, s7
	s_barrier
	v_ashrrev_i32_e32 v2, 31, v1
	v_or_b32_e32 v3, 16, v1
	s_ashr_i32 s3, s3, 5
	v_cmp_gt_i32_e32 vcc_lo, s24, v1
	s_add_i32 s3, s3, -1
	v_lshrrev_b32_e32 v2, 27, v2
	buffer_gl0_inv
	s_mul_i32 s27, s15, s18
	v_add_nc_u32_e32 v4, v1, v2
	s_mul_i32 s6, s30, s6
	s_delay_alu instid0(SALU_CYCLE_1) | instskip(NEXT) | instid1(VALU_DEP_1)
	s_ashr_i32 s7, s6, 31
	v_ashrrev_i32_e32 v4, 5, v4
	v_add_nc_u32_e32 v2, v3, v2
	s_lshl_b64 s[6:7], s[6:7], 2
	s_delay_alu instid0(SALU_CYCLE_1) | instskip(NEXT) | instid1(VALU_DEP_2)
	s_add_u32 s26, s4, s6
	v_cndmask_b32_e32 v1, s3, v4, vcc_lo
	s_delay_alu instid0(VALU_DEP_2)
	v_ashrrev_i32_e32 v2, 5, v2
	v_cmp_gt_i32_e32 vcc_lo, s24, v3
	s_addc_u32 s25, s5, s7
	s_ashr_i32 s28, s27, 31
	s_add_u32 s4, s20, s27
	s_addc_u32 s5, s21, s28
	v_cndmask_b32_e32 v3, s3, v2, vcc_lo
	v_ashrrev_i32_e32 v2, 31, v1
	s_lshl_b32 s6, s14, 3
	s_delay_alu instid0(SALU_CYCLE_1) | instskip(NEXT) | instid1(VALU_DEP_2)
	s_ashr_i32 s7, s6, 31
	v_ashrrev_i32_e32 v4, 31, v3
	s_delay_alu instid0(VALU_DEP_2) | instskip(SKIP_1) | instid1(SALU_CYCLE_1)
	v_lshlrev_b64 v[1:2], 2, v[1:2]
	s_lshl_b64 s[6:7], s[6:7], 2
	s_add_u32 s6, s26, s6
	s_delay_alu instid0(VALU_DEP_2) | instskip(SKIP_1) | instid1(VALU_DEP_2)
	v_lshlrev_b64 v[3:4], 2, v[3:4]
	s_addc_u32 s7, s25, s7
	v_add_co_u32 v1, vcc_lo, s26, v1
	v_add_co_ci_u32_e32 v2, vcc_lo, s25, v2, vcc_lo
	s_delay_alu instid0(VALU_DEP_3) | instskip(NEXT) | instid1(VALU_DEP_4)
	v_add_co_u32 v3, vcc_lo, s26, v3
	v_add_co_ci_u32_e32 v4, vcc_lo, s25, v4, vcc_lo
	s_clause 0x1
	global_load_b32 v5, v[1:2], off
	global_load_b32 v6, v[3:4], off
	s_or_b32 s8, s12, 32
	s_delay_alu instid0(SALU_CYCLE_1) | instskip(SKIP_2) | instid1(SALU_CYCLE_1)
	s_ashr_i32 s9, s8, 5
	s_cmp_lt_i32 s8, s24
	s_cselect_b32 s8, s9, s3
	s_ashr_i32 s9, s8, 31
	s_delay_alu instid0(SALU_CYCLE_1) | instskip(NEXT) | instid1(SALU_CYCLE_1)
	s_lshl_b64 s[8:9], s[8:9], 2
	s_add_u32 s8, s26, s8
	s_addc_u32 s9, s25, s9
	s_or_b32 s10, s12, 64
	s_delay_alu instid0(SALU_CYCLE_1) | instskip(SKIP_2) | instid1(SALU_CYCLE_1)
	s_ashr_i32 s11, s10, 5
	s_cmp_lt_i32 s10, s24
	s_cselect_b32 s10, s11, s3
	s_ashr_i32 s11, s10, 31
	s_delay_alu instid0(SALU_CYCLE_1) | instskip(NEXT) | instid1(SALU_CYCLE_1)
	s_lshl_b64 s[10:11], s[10:11], 2
	s_add_u32 s10, s26, s10
	s_addc_u32 s11, s25, s11
	;; [unrolled: 10-line block ×5, first 2 shown]
	s_clause 0x5
	s_load_b32 s21, s[6:7], 0x0
	s_load_b32 s13, s[8:9], 0x0
	;; [unrolled: 1-line block ×6, first 2 shown]
	s_or_b32 s6, s12, 0xc0
	s_delay_alu instid0(SALU_CYCLE_1) | instskip(SKIP_2) | instid1(SALU_CYCLE_1)
	s_ashr_i32 s7, s6, 5
	s_cmp_lt_i32 s6, s24
	s_cselect_b32 s10, s7, s3
	s_ashr_i32 s11, s10, 31
	s_delay_alu instid0(SALU_CYCLE_1) | instskip(NEXT) | instid1(SALU_CYCLE_1)
	s_lshl_b64 s[10:11], s[10:11], 2
	s_add_u32 s34, s26, s10
	s_addc_u32 s35, s25, s11
	s_or_b32 s11, s12, 0xe0
	s_delay_alu instid0(SALU_CYCLE_1) | instskip(SKIP_2) | instid1(SALU_CYCLE_1)
	s_ashr_i32 s29, s11, 5
	s_cmp_lt_i32 s11, s24
	s_cselect_b32 s36, s29, s3
	s_ashr_i32 s37, s36, 31
	s_waitcnt vmcnt(1)
	v_mad_i64_i32 v[1:2], null, v5, s17, s[4:5]
	s_waitcnt vmcnt(0)
	v_mad_i64_i32 v[3:4], null, v6, s17, s[4:5]
	s_mov_b32 s4, 0
	s_delay_alu instid0(SALU_CYCLE_1)
	s_mov_b32 s5, s4
	s_mov_b32 s6, s4
	;; [unrolled: 1-line block ×7, first 2 shown]
	s_delay_alu instid0(SALU_CYCLE_1) | instskip(SKIP_2) | instid1(VALU_DEP_3)
	v_dual_mov_b32 v108, s11 :: v_dual_lshlrev_b32 v5, 4, v66
	v_mov_b32_e32 v104, s7
	v_dual_mov_b32 v105, s8 :: v_dual_lshlrev_b32 v76, 6, v66
	v_add_co_u32 v1, vcc_lo, v1, v5
	v_add_co_ci_u32_e32 v2, vcc_lo, 0, v2, vcc_lo
	v_add_co_u32 v3, vcc_lo, v3, v5
	v_add_co_ci_u32_e32 v4, vcc_lo, 0, v4, vcc_lo
	s_clause 0x7
	global_load_b128 v[49:52], v[1:2], off
	global_load_b128 v[53:56], v[1:2], off offset:512
	global_load_b128 v[77:80], v[3:4], off offset:256
	;; [unrolled: 1-line block ×7, first 2 shown]
	v_dual_mov_b32 v102, s5 :: v_dual_lshlrev_b32 v1, 5, v66
	v_dual_mov_b32 v107, s10 :: v_dual_mov_b32 v106, s9
	v_mov_b32_e32 v103, s6
	v_mov_b32_e32 v101, s4
	s_lshl_b64 s[4:5], s[36:37], 2
	v_lshl_or_b32 v1, v65, 9, v1
	s_add_u32 s4, s26, s4
	s_addc_u32 s5, s25, s5
	s_load_b32 s3, s[34:35], 0x0
	ds_load_b128 v[109:112], v76
	ds_load_b128 v[113:116], v76 offset:1024
	s_load_b32 s4, s[4:5], 0x0
	s_add_u32 s6, s22, s27
	s_addc_u32 s7, s23, s28
	v_add_co_u32 v9, s6, s6, v1
	s_delay_alu instid0(VALU_DEP_1) | instskip(SKIP_1) | instid1(VALU_DEP_1)
	v_add_co_ci_u32_e64 v10, null, s7, 0, s6
	s_waitcnt lgkmcnt(0)
	v_mad_i64_i32 v[1:2], null, s21, s17, v[9:10]
	v_mad_i64_i32 v[3:4], null, s13, s17, v[9:10]
	;; [unrolled: 1-line block ×7, first 2 shown]
	s_clause 0x9
	global_load_b128 v[57:60], v[1:2], off
	global_load_b128 v[61:64], v[1:2], off offset:16
	global_load_b128 v[41:44], v[3:4], off
	global_load_b128 v[45:48], v[3:4], off offset:16
	;; [unrolled: 2-line block ×5, first 2 shown]
	v_mad_i64_i32 v[68:69], null, s4, s17, v[9:10]
	s_clause 0x3
	global_load_b128 v[9:12], v[13:14], off
	global_load_b128 v[13:16], v[13:14], off offset:16
	global_load_b128 v[17:20], v[21:22], off
	global_load_b128 v[21:24], v[21:22], off offset:16
	s_waitcnt vmcnt(20)
	v_wmma_f32_16x16x16_bf16 v[117:124], v[49:56], v[109:116], v[101:108]
	s_clause 0x1
	global_load_b128 v[49:52], v[68:69], off
	global_load_b128 v[53:56], v[68:69], off offset:16
	v_and_b32_e32 v68, 0xe0, v0
	v_mbcnt_lo_u32_b32 v69, -1, 0
	s_delay_alu instid0(VALU_DEP_2)
	v_add_nc_u32_e32 v68, s12, v68
	s_waitcnt vmcnt(20)
	v_wmma_f32_16x16x16_bf16 v[101:108], v[77:84], v[109:116], v[101:108]
	ds_load_b128 v[77:80], v76 offset:2048
	ds_load_b128 v[81:84], v76 offset:3072
	v_xor_b32_e32 v70, 16, v69
	s_waitcnt vmcnt(0) lgkmcnt(0)
	v_or_b32_e32 v68, v68, v74
	s_barrier
	buffer_gl0_inv
	v_cmp_gt_i32_e32 vcc_lo, 32, v70
	v_or_b32_e32 v71, 4, v68
	v_or_b32_e32 v72, 6, v68
	v_cmp_gt_i32_e64 s3, s24, v68
	v_or_b32_e32 v109, 8, v68
	s_delay_alu instid0(VALU_DEP_4) | instskip(NEXT) | instid1(VALU_DEP_4)
	v_cmp_gt_i32_e64 s4, s24, v71
	v_cmp_gt_i32_e64 s5, s24, v72
	s_delay_alu instid0(VALU_DEP_3)
	v_cmp_gt_i32_e64 s6, s24, v109
	v_wmma_f32_16x16x16_bf16 v[117:124], v[85:92], v[77:84], v[117:124]
	v_cndmask_b32_e32 v69, v69, v70, vcc_lo
	v_or_b32_e32 v70, 2, v68
	v_wmma_f32_16x16x16_bf16 v[101:108], v[93:100], v[77:84], v[101:108]
	v_or_b32_e32 v85, 10, v68
	v_dual_mul_f32 v80, s19, v124 :: v_dual_mul_f32 v93, s19, v119
	v_dual_mul_f32 v94, s19, v118 :: v_dual_mul_f32 v95, s19, v117
	s_delay_alu instid0(VALU_DEP_4) | instskip(SKIP_2) | instid1(VALU_DEP_4)
	v_mul_f32_e32 v96, s19, v108
	v_cmp_gt_i32_e32 vcc_lo, s24, v70
	v_dual_mul_f32 v83, s19, v121 :: v_dual_mul_f32 v84, s19, v120
	v_cndmask_b32_e64 v95, 0xff7fffff, v95, s3
	v_or_b32_e32 v86, 12, v68
	v_cndmask_b32_e32 v94, 0xff7fffff, v94, vcc_lo
	v_or_b32_e32 v87, 14, v68
	v_dual_mul_f32 v81, s19, v123 :: v_dual_mul_f32 v82, s19, v122
	v_cndmask_b32_e64 v93, 0xff7fffff, v93, s4
	v_cndmask_b32_e64 v72, 0xff7fffff, v84, s5
	v_max3_f32 v84, v95, 0xff7fffff, v94
	v_cmp_gt_i32_e64 s7, s24, v85
	v_or_b32_e32 v88, 16, v68
	v_or_b32_e32 v89, 18, v68
	v_cndmask_b32_e64 v83, 0xff7fffff, v83, s6
	v_max3_f32 v72, v84, v93, v72
	v_cndmask_b32_e64 v82, 0xff7fffff, v82, s7
	v_cmp_gt_i32_e64 s8, s24, v86
	v_cmp_gt_i32_e64 s9, s24, v87
	v_or_b32_e32 v90, 20, v68
	v_or_b32_e32 v91, 22, v68
	v_or_b32_e32 v92, 24, v68
	v_or_b32_e32 v77, 26, v68
	v_or_b32_e32 v78, 28, v68
	v_or_b32_e32 v79, 30, v68
	v_dual_mul_f32 v70, s19, v103 :: v_dual_mul_f32 v71, s19, v101
	v_mul_f32_e32 v68, s19, v102
	v_cndmask_b32_e64 v81, 0xff7fffff, v81, s8
	v_cndmask_b32_e64 v80, 0xff7fffff, v80, s9
	v_max3_f32 v72, v72, v83, v82
	v_cmp_gt_i32_e64 s10, s24, v88
	v_cmp_gt_i32_e64 s11, s24, v89
	v_dual_mul_f32 v99, s19, v105 :: v_dual_mul_f32 v100, s19, v104
	s_delay_alu instid0(VALU_DEP_4) | instskip(NEXT) | instid1(VALU_DEP_4)
	v_max3_f32 v72, v72, v81, v80
	v_cndmask_b32_e64 v71, 0xff7fffff, v71, s10
	s_delay_alu instid0(VALU_DEP_4) | instskip(SKIP_3) | instid1(VALU_DEP_4)
	v_cndmask_b32_e64 v68, 0xff7fffff, v68, s11
	v_cmp_gt_i32_e64 s12, s24, v90
	v_cmp_gt_i32_e64 s13, s24, v91
	v_dual_mul_f32 v97, s19, v107 :: v_dual_mul_f32 v98, s19, v106
	v_max3_f32 v68, v72, v71, v68
	s_delay_alu instid0(VALU_DEP_4) | instskip(NEXT) | instid1(VALU_DEP_4)
	v_cndmask_b32_e64 v70, 0xff7fffff, v70, s12
	v_cndmask_b32_e64 v80, 0xff7fffff, v100, s13
	v_cmp_gt_i32_e64 s15, s24, v92
	v_cmp_gt_i32_e64 s16, s24, v77
	;; [unrolled: 1-line block ×4, first 2 shown]
	v_max3_f32 v68, v68, v70, v80
	v_cndmask_b32_e64 v71, 0xff7fffff, v99, s15
	v_cndmask_b32_e64 v72, 0xff7fffff, v98, s16
	;; [unrolled: 1-line block ×4, first 2 shown]
	v_lshlrev_b32_e32 v90, 2, v69
	s_delay_alu instid0(VALU_DEP_4) | instskip(NEXT) | instid1(VALU_DEP_1)
	v_max3_f32 v68, v68, v71, v72
	v_max3_f32 v68, v68, v70, v77
	ds_bpermute_b32 v69, v90, v68
	s_waitcnt lgkmcnt(0)
	v_max_f32_e32 v69, v69, v69
	s_delay_alu instid0(VALU_DEP_1) | instskip(NEXT) | instid1(VALU_DEP_1)
	v_max_f32_e32 v81, v68, v69
	v_fma_f32 v68, s19, v117, -v81
	v_fma_f32 v69, s19, v118, -v81
	;; [unrolled: 1-line block ×5, first 2 shown]
	s_delay_alu instid0(VALU_DEP_4) | instskip(NEXT) | instid1(VALU_DEP_3)
	v_dual_mul_f32 v68, 0x3fb8aa3b, v68 :: v_dual_mul_f32 v69, 0x3fb8aa3b, v69
	v_dual_mul_f32 v70, 0x3fb8aa3b, v70 :: v_dual_mul_f32 v71, 0x3fb8aa3b, v71
	v_fma_f32 v78, s19, v123, -v81
	s_delay_alu instid0(VALU_DEP_3) | instskip(NEXT) | instid1(VALU_DEP_3)
	v_exp_f32_e32 v68, v68
	v_exp_f32_e32 v69, v69
	s_delay_alu instid0(VALU_DEP_2)
	v_exp_f32_e32 v70, v70
	v_mul_f32_e32 v72, 0x3fb8aa3b, v72
	v_exp_f32_e32 v71, v71
	v_mul_f32_e32 v78, 0x3fb8aa3b, v78
	v_fma_f32 v80, s19, v106, -v81
	v_cndmask_b32_e64 v82, 0, v68, s3
	s_delay_alu instid0(TRANS32_DEP_3) | instskip(SKIP_2) | instid1(TRANS32_DEP_3)
	v_cndmask_b32_e32 v77, 0, v69, vcc_lo
	v_fma_f32 v68, s19, v122, -v81
	v_exp_f32_e32 v72, v72
	v_cndmask_b32_e64 v83, 0, v70, s4
	v_add_f32_e32 v69, 0, v82
	v_fma_f32 v70, s19, v124, -v81
	v_mul_f32_e32 v68, 0x3fb8aa3b, v68
	v_cndmask_b32_e64 v85, 0, v71, s5
	v_fma_f32 v71, s19, v101, -v81
	s_delay_alu instid0(VALU_DEP_4) | instskip(NEXT) | instid1(VALU_DEP_4)
	v_dual_add_f32 v69, v69, v77 :: v_dual_mul_f32 v70, 0x3fb8aa3b, v70
	v_exp_f32_e32 v68, v68
	s_delay_alu instid0(TRANS32_DEP_2) | instskip(SKIP_1) | instid1(VALU_DEP_3)
	v_cndmask_b32_e64 v86, 0, v72, s6
	v_fma_f32 v72, s19, v102, -v81
	v_add_f32_e32 v69, v69, v83
	v_exp_f32_e32 v78, v78
	v_exp_f32_e32 v70, v70
	s_mov_b32 s3, exec_lo
	s_delay_alu instid0(VALU_DEP_1) | instskip(SKIP_1) | instid1(TRANS32_DEP_3)
	v_dual_mul_f32 v72, 0x3fb8aa3b, v72 :: v_dual_add_f32 v69, v69, v85
	v_mul_f32_e32 v71, 0x3fb8aa3b, v71
	v_cndmask_b32_e64 v87, 0, v68, s7
	s_delay_alu instid0(VALU_DEP_3) | instskip(NEXT) | instid1(VALU_DEP_3)
	v_exp_f32_e32 v72, v72
	v_add_f32_e32 v68, v69, v86
	v_fma_f32 v69, s19, v103, -v81
	v_exp_f32_e32 v71, v71
	v_cndmask_b32_e64 v84, 0, v78, s8
	v_fma_f32 v78, s19, v104, -v81
	s_delay_alu instid0(VALU_DEP_3) | instskip(SKIP_2) | instid1(VALU_DEP_3)
	v_dual_add_f32 v68, v68, v87 :: v_dual_mul_f32 v69, 0x3fb8aa3b, v69
	v_cndmask_b32_e64 v88, 0, v70, s9
	v_fma_f32 v70, s19, v105, -v81
	v_exp_f32_e32 v79, v69
	s_delay_alu instid0(TRANS32_DEP_2) | instskip(SKIP_1) | instid1(VALU_DEP_1)
	v_cndmask_b32_e64 v69, 0, v71, s10
	v_add_f32_e32 v68, v68, v84
	v_dual_mul_f32 v78, 0x3fb8aa3b, v78 :: v_dual_add_f32 v71, v68, v88
	s_delay_alu instid0(VALU_DEP_1) | instskip(SKIP_2) | instid1(VALU_DEP_3)
	v_exp_f32_e32 v78, v78
	v_cndmask_b32_e64 v68, 0, v72, s11
	v_fma_f32 v72, s19, v107, -v81
	v_dual_add_f32 v71, v71, v69 :: v_dual_mul_f32 v70, 0x3fb8aa3b, v70
	s_delay_alu instid0(VALU_DEP_1) | instskip(NEXT) | instid1(TRANS32_DEP_3)
	v_exp_f32_e32 v89, v70
	v_cndmask_b32_e64 v70, 0, v79, s12
	s_delay_alu instid0(VALU_DEP_2) | instskip(NEXT) | instid1(TRANS32_DEP_2)
	v_add_f32_e32 v79, v71, v68
	v_cndmask_b32_e64 v71, 0, v78, s13
	s_delay_alu instid0(VALU_DEP_2) | instskip(SKIP_2) | instid1(VALU_DEP_1)
	v_add_f32_e32 v78, v79, v70
	v_mul_f32_e32 v80, 0x3fb8aa3b, v80
	v_fma_f32 v79, s19, v108, -v81
	v_dual_mul_f32 v72, 0x3fb8aa3b, v72 :: v_dual_mul_f32 v79, 0x3fb8aa3b, v79
	s_delay_alu instid0(VALU_DEP_1) | instskip(NEXT) | instid1(TRANS32_DEP_2)
	v_exp_f32_e32 v91, v72
	v_cndmask_b32_e64 v72, 0, v89, s15
	v_add_f32_e32 v89, v78, v71
	v_exp_f32_e32 v80, v80
	s_waitcnt_depctr 0xfff
	v_cndmask_b32_e64 v78, 0, v80, s16
	v_add_f32_e32 v80, v89, v72
	v_exp_f32_e32 v89, v79
	v_cndmask_b32_e64 v79, 0, v91, s17
	s_delay_alu instid0(VALU_DEP_2) | instskip(NEXT) | instid1(VALU_DEP_1)
	v_add_f32_e32 v80, v80, v78
	v_add_f32_e32 v91, v80, v79
	s_waitcnt_depctr 0xfff
	v_cndmask_b32_e64 v80, 0, v89, s18
	s_delay_alu instid0(VALU_DEP_1)
	v_add_f32_e32 v89, v91, v80
	ds_bpermute_b32 v90, v90, v89
	v_cmpx_gt_u32_e32 16, v67
	s_cbranch_execz .LBB1441_12
; %bb.11:
	v_mul_u32_u24_e32 v67, 0x44, v65
	s_waitcnt lgkmcnt(0)
	v_add_f32_e32 v89, v89, v90
	s_delay_alu instid0(VALU_DEP_2) | instskip(NEXT) | instid1(VALU_DEP_1)
	v_lshl_add_u32 v67, v66, 2, v67
	v_add_nc_u32_e32 v67, 0x4000, v67
	ds_store_2addr_b32 v67, v81, v89 offset1:136
.LBB1441_12:
	s_or_b32 exec_lo, exec_lo, s3
	v_lshlrev_b32_e32 v66, 2, v66
	s_waitcnt lgkmcnt(0)
	s_barrier
	buffer_gl0_inv
	v_cmp_eq_u32_e32 vcc_lo, 1, v65
	v_add_nc_u32_e32 v81, 0x4000, v66
	v_cmp_eq_u32_e64 s3, 2, v65
	v_cmp_eq_u32_e64 s5, 7, v65
	ds_load_2addr_b32 v[89:90], v81 offset1:17
	ds_load_2addr_b32 v[91:92], v81 offset0:34 offset1:51
	ds_load_2addr_b32 v[93:94], v81 offset0:68 offset1:85
	;; [unrolled: 1-line block ×4, first 2 shown]
	s_waitcnt lgkmcnt(4)
	v_max3_f32 v66, v89, 0xff7fffff, v90
	s_waitcnt lgkmcnt(3)
	s_delay_alu instid0(VALU_DEP_1) | instskip(SKIP_1) | instid1(VALU_DEP_1)
	v_max3_f32 v66, v66, v91, v92
	s_waitcnt lgkmcnt(2)
	v_max3_f32 v66, v66, v93, v94
	s_waitcnt lgkmcnt(1)
	s_delay_alu instid0(VALU_DEP_1) | instskip(NEXT) | instid1(VALU_DEP_1)
	v_max3_f32 v66, v66, v95, v96
	v_sub_f32_e32 v67, v89, v66
	v_sub_f32_e32 v91, v91, v66
	;; [unrolled: 1-line block ×3, first 2 shown]
	s_delay_alu instid0(VALU_DEP_3) | instskip(NEXT) | instid1(VALU_DEP_3)
	v_mul_f32_e32 v67, 0x3fb8aa3b, v67
	v_mul_f32_e32 v101, 0x3fb8aa3b, v91
	s_delay_alu instid0(VALU_DEP_3) | instskip(NEXT) | instid1(VALU_DEP_3)
	v_mul_f32_e32 v103, 0x3fb8aa3b, v93
	v_exp_f32_e32 v100, v67
	v_sub_f32_e32 v67, v92, v66
	v_sub_f32_e32 v99, v90, v66
	ds_load_2addr_b32 v[89:90], v81 offset0:170 offset1:187
	ds_load_2addr_b32 v[91:92], v81 offset0:204 offset1:221
	v_exp_f32_e32 v101, v101
	v_mul_f32_e32 v102, 0x3fb8aa3b, v67
	v_mul_f32_e32 v99, 0x3fb8aa3b, v99
	s_waitcnt lgkmcnt(2)
	v_fma_f32 v67, v100, v97, 0
	v_sub_f32_e32 v97, v94, v66
	s_delay_alu instid0(VALU_DEP_3)
	v_exp_f32_e32 v99, v99
	v_exp_f32_e32 v102, v102
	ds_load_2addr_b32 v[93:94], v81 offset0:238 offset1:255
	v_sub_f32_e32 v81, v95, v66
	v_mul_f32_e32 v95, 0x3fb8aa3b, v97
	v_exp_f32_e32 v97, v103
	s_waitcnt lgkmcnt(0)
	s_barrier
	v_mul_f32_e32 v81, 0x3fb8aa3b, v81
	v_exp_f32_e32 v95, v95
	v_fmac_f32_e32 v67, v99, v98
	buffer_gl0_inv
	v_exp_f32_e32 v81, v81
	v_fmac_f32_e32 v67, v101, v89
	v_sub_f32_e32 v89, v96, v66
	s_delay_alu instid0(VALU_DEP_2) | instskip(NEXT) | instid1(VALU_DEP_2)
	v_fmac_f32_e32 v67, v102, v90
	v_mul_f32_e32 v89, 0x3fb8aa3b, v89
	s_delay_alu instid0(VALU_DEP_2) | instskip(NEXT) | instid1(VALU_DEP_2)
	v_fmac_f32_e32 v67, v97, v91
	v_exp_f32_e32 v89, v89
	s_delay_alu instid0(VALU_DEP_1)
	v_fmac_f32_e32 v67, v95, v92
	s_delay_alu instid0(TRANS32_DEP_2) | instid1(VALU_DEP_1)
	v_fmac_f32_e32 v67, v81, v93
	s_waitcnt_depctr 0xfff
	v_fmac_f32_e32 v67, v89, v94
	s_delay_alu instid0(VALU_DEP_1) | instskip(NEXT) | instid1(VALU_DEP_1)
	v_add_f32_e32 v90, 0x358637bd, v67
	v_div_scale_f32 v91, null, v90, v90, 1.0
	v_div_scale_f32 v94, s4, 1.0, v90, 1.0
	s_delay_alu instid0(VALU_DEP_2) | instskip(SKIP_2) | instid1(VALU_DEP_1)
	v_rcp_f32_e32 v92, v91
	s_waitcnt_depctr 0xfff
	v_fma_f32 v93, -v91, v92, 1.0
	v_dual_fmac_f32 v92, v93, v92 :: v_dual_cndmask_b32 v93, v100, v99
	v_cmp_eq_u32_e32 vcc_lo, 3, v65
	s_delay_alu instid0(VALU_DEP_2) | instskip(NEXT) | instid1(VALU_DEP_3)
	v_mul_f32_e32 v96, v94, v92
	v_cndmask_b32_e64 v93, v93, v101, s3
	v_cmp_eq_u32_e64 s3, 4, v65
	s_delay_alu instid0(VALU_DEP_3) | instskip(NEXT) | instid1(VALU_DEP_3)
	v_fma_f32 v98, -v91, v96, v94
	v_cndmask_b32_e32 v93, v93, v102, vcc_lo
	v_cmp_eq_u32_e32 vcc_lo, 5, v65
	s_delay_alu instid0(VALU_DEP_3) | instskip(NEXT) | instid1(VALU_DEP_3)
	v_fmac_f32_e32 v96, v98, v92
	v_cndmask_b32_e64 v93, v93, v97, s3
	v_cmp_eq_u32_e64 s3, 6, v65
	s_delay_alu instid0(VALU_DEP_3) | instskip(NEXT) | instid1(VALU_DEP_3)
	v_fma_f32 v91, -v91, v96, v94
	v_cndmask_b32_e32 v93, v93, v95, vcc_lo
	s_mov_b32 vcc_lo, s4
	s_delay_alu instid0(VALU_DEP_2) | instskip(NEXT) | instid1(VALU_DEP_2)
	v_div_fmas_f32 v91, v91, v92, v96
	v_cndmask_b32_e64 v81, v93, v81, s3
	s_mov_b32 s3, exec_lo
	s_delay_alu instid0(VALU_DEP_2) | instskip(NEXT) | instid1(VALU_DEP_2)
	v_div_fixup_f32 v90, v91, v90, 1.0
	v_cndmask_b32_e64 v81, v81, v89, s5
	s_delay_alu instid0(VALU_DEP_1) | instskip(NEXT) | instid1(VALU_DEP_1)
	v_mul_f32_e32 v81, v81, v90
	v_mul_f32_e32 v90, v81, v82
	;; [unrolled: 1-line block ×6, first 2 shown]
	v_dual_mul_f32 v86, v81, v83 :: v_dual_and_b32 v91, 0x7f800000, v90
	v_mul_f32_e32 v89, v81, v85
	v_mul_f32_e32 v85, v81, v77
                                        ; implicit-def: $vgpr77
	s_delay_alu instid0(VALU_DEP_3)
	v_cmpx_ne_u32_e32 0x7f800000, v91
	s_xor_b32 s3, exec_lo, s3
; %bb.13:
	v_bfe_u32 v77, v90, 16, 1
	s_delay_alu instid0(VALU_DEP_1)
	v_add3_u32 v77, v90, v77, 0x7fff
                                        ; implicit-def: $vgpr90
; %bb.14:
	s_and_not1_saveexec_b32 s3, s3
; %bb.15:
	v_and_b32_e32 v77, 0xffff, v90
	v_or_b32_e32 v83, 0x10000, v90
	s_delay_alu instid0(VALU_DEP_2) | instskip(NEXT) | instid1(VALU_DEP_2)
	v_cmp_eq_u32_e32 vcc_lo, 0, v77
	v_cndmask_b32_e32 v77, v83, v90, vcc_lo
; %bb.16:
	s_or_b32 exec_lo, exec_lo, s3
	v_and_b32_e32 v83, 0x7f800000, v85
	s_delay_alu instid0(VALU_DEP_1) | instskip(SKIP_1) | instid1(SALU_CYCLE_1)
	v_cmp_ne_u32_e32 vcc_lo, 0x7f800000, v83
                                        ; implicit-def: $vgpr83
	s_and_saveexec_b32 s3, vcc_lo
	s_xor_b32 s3, exec_lo, s3
; %bb.17:
	v_bfe_u32 v83, v85, 16, 1
	s_delay_alu instid0(VALU_DEP_1)
	v_add3_u32 v83, v85, v83, 0x7fff
                                        ; implicit-def: $vgpr85
; %bb.18:
	s_and_not1_saveexec_b32 s3, s3
; %bb.19:
	v_and_b32_e32 v83, 0xffff, v85
	v_or_b32_e32 v90, 0x10000, v85
	s_delay_alu instid0(VALU_DEP_2) | instskip(NEXT) | instid1(VALU_DEP_2)
	v_cmp_eq_u32_e32 vcc_lo, 0, v83
	v_cndmask_b32_e32 v83, v90, v85, vcc_lo
; %bb.20:
	s_or_b32 exec_lo, exec_lo, s3
	v_and_b32_e32 v85, 0x7f800000, v86
	s_delay_alu instid0(VALU_DEP_1) | instskip(SKIP_1) | instid1(SALU_CYCLE_1)
	v_cmp_ne_u32_e32 vcc_lo, 0x7f800000, v85
                                        ; implicit-def: $vgpr85
	s_and_saveexec_b32 s3, vcc_lo
	s_xor_b32 s3, exec_lo, s3
; %bb.21:
	v_bfe_u32 v85, v86, 16, 1
	s_delay_alu instid0(VALU_DEP_1)
	v_add3_u32 v85, v86, v85, 0x7fff
                                        ; implicit-def: $vgpr86
; %bb.22:
	s_and_not1_saveexec_b32 s3, s3
; %bb.23:
	v_and_b32_e32 v85, 0xffff, v86
	v_or_b32_e32 v90, 0x10000, v86
	s_delay_alu instid0(VALU_DEP_2) | instskip(NEXT) | instid1(VALU_DEP_2)
	v_cmp_eq_u32_e32 vcc_lo, 0, v85
	v_cndmask_b32_e32 v85, v90, v86, vcc_lo
; %bb.24:
	s_or_b32 exec_lo, exec_lo, s3
	v_and_b32_e32 v86, 0x7f800000, v89
	s_delay_alu instid0(VALU_DEP_1) | instskip(SKIP_1) | instid1(SALU_CYCLE_1)
	v_cmp_ne_u32_e32 vcc_lo, 0x7f800000, v86
                                        ; implicit-def: $vgpr86
	s_and_saveexec_b32 s3, vcc_lo
	s_xor_b32 s3, exec_lo, s3
; %bb.25:
	v_bfe_u32 v86, v89, 16, 1
	s_delay_alu instid0(VALU_DEP_1)
	v_add3_u32 v86, v89, v86, 0x7fff
                                        ; implicit-def: $vgpr89
; %bb.26:
	s_and_not1_saveexec_b32 s3, s3
; %bb.27:
	v_and_b32_e32 v86, 0xffff, v89
	v_or_b32_e32 v90, 0x10000, v89
	s_delay_alu instid0(VALU_DEP_2) | instskip(NEXT) | instid1(VALU_DEP_2)
	v_cmp_eq_u32_e32 vcc_lo, 0, v86
	v_cndmask_b32_e32 v86, v90, v89, vcc_lo
; %bb.28:
	s_or_b32 exec_lo, exec_lo, s3
	v_and_b32_e32 v89, 0x7f800000, v88
	s_delay_alu instid0(VALU_DEP_1) | instskip(SKIP_1) | instid1(SALU_CYCLE_1)
	v_cmp_ne_u32_e32 vcc_lo, 0x7f800000, v89
                                        ; implicit-def: $vgpr89
	s_and_saveexec_b32 s3, vcc_lo
	s_xor_b32 s3, exec_lo, s3
; %bb.29:
	v_bfe_u32 v89, v88, 16, 1
	s_delay_alu instid0(VALU_DEP_1)
	v_add3_u32 v89, v88, v89, 0x7fff
                                        ; implicit-def: $vgpr88
; %bb.30:
	s_and_not1_saveexec_b32 s3, s3
; %bb.31:
	v_and_b32_e32 v89, 0xffff, v88
	v_or_b32_e32 v90, 0x10000, v88
	s_delay_alu instid0(VALU_DEP_2) | instskip(NEXT) | instid1(VALU_DEP_2)
	v_cmp_eq_u32_e32 vcc_lo, 0, v89
	v_cndmask_b32_e32 v89, v90, v88, vcc_lo
; %bb.32:
	s_or_b32 exec_lo, exec_lo, s3
	v_and_b32_e32 v88, 0x7f800000, v87
	s_delay_alu instid0(VALU_DEP_1) | instskip(SKIP_1) | instid1(SALU_CYCLE_1)
	v_cmp_ne_u32_e32 vcc_lo, 0x7f800000, v88
                                        ; implicit-def: $vgpr88
	s_and_saveexec_b32 s3, vcc_lo
	s_xor_b32 s3, exec_lo, s3
; %bb.33:
	v_bfe_u32 v88, v87, 16, 1
	s_delay_alu instid0(VALU_DEP_1)
	v_add3_u32 v88, v87, v88, 0x7fff
                                        ; implicit-def: $vgpr87
; %bb.34:
	s_and_not1_saveexec_b32 s3, s3
; %bb.35:
	v_and_b32_e32 v88, 0xffff, v87
	v_or_b32_e32 v90, 0x10000, v87
	s_delay_alu instid0(VALU_DEP_2) | instskip(NEXT) | instid1(VALU_DEP_2)
	v_cmp_eq_u32_e32 vcc_lo, 0, v88
	v_cndmask_b32_e32 v88, v90, v87, vcc_lo
; %bb.36:
	s_or_b32 exec_lo, exec_lo, s3
	v_and_b32_e32 v87, 0x7f800000, v84
	s_delay_alu instid0(VALU_DEP_1) | instskip(SKIP_1) | instid1(SALU_CYCLE_1)
	v_cmp_ne_u32_e32 vcc_lo, 0x7f800000, v87
                                        ; implicit-def: $vgpr87
	s_and_saveexec_b32 s3, vcc_lo
	s_xor_b32 s3, exec_lo, s3
; %bb.37:
	v_bfe_u32 v87, v84, 16, 1
	s_delay_alu instid0(VALU_DEP_1)
	v_add3_u32 v87, v84, v87, 0x7fff
                                        ; implicit-def: $vgpr84
; %bb.38:
	s_and_not1_saveexec_b32 s3, s3
; %bb.39:
	v_and_b32_e32 v87, 0xffff, v84
	v_or_b32_e32 v90, 0x10000, v84
	s_delay_alu instid0(VALU_DEP_2) | instskip(NEXT) | instid1(VALU_DEP_2)
	v_cmp_eq_u32_e32 vcc_lo, 0, v87
	v_cndmask_b32_e32 v87, v90, v84, vcc_lo
; %bb.40:
	s_or_b32 exec_lo, exec_lo, s3
	v_and_b32_e32 v84, 0x7f800000, v82
	s_delay_alu instid0(VALU_DEP_1) | instskip(SKIP_1) | instid1(SALU_CYCLE_1)
	v_cmp_ne_u32_e32 vcc_lo, 0x7f800000, v84
                                        ; implicit-def: $vgpr84
	s_and_saveexec_b32 s3, vcc_lo
	s_xor_b32 s3, exec_lo, s3
; %bb.41:
	v_bfe_u32 v84, v82, 16, 1
	s_delay_alu instid0(VALU_DEP_1)
	v_add3_u32 v84, v82, v84, 0x7fff
                                        ; implicit-def: $vgpr82
; %bb.42:
	s_and_not1_saveexec_b32 s3, s3
; %bb.43:
	v_and_b32_e32 v84, 0xffff, v82
	v_or_b32_e32 v90, 0x10000, v82
	s_delay_alu instid0(VALU_DEP_2) | instskip(NEXT) | instid1(VALU_DEP_2)
	v_cmp_eq_u32_e32 vcc_lo, 0, v84
	v_cndmask_b32_e32 v84, v90, v82, vcc_lo
; %bb.44:
	s_or_b32 exec_lo, exec_lo, s3
	s_load_b64 s[34:35], s[0:1], 0x94
	v_lshlrev_b32_e32 v82, 4, v74
	s_delay_alu instid0(VALU_DEP_2)
	v_perm_b32 v90, v84, v87, 0x7060302
	v_lshlrev_b32_e32 v84, 11, v65
	v_perm_b32 v87, v83, v77, 0x7060302
	v_mul_f32_e32 v83, v81, v69
	v_mul_f32_e32 v69, v81, v80
	v_perm_b32 v89, v88, v89, 0x7060302
	v_perm_b32 v88, v86, v85, 0x7060302
	v_or3_b32 v77, v82, v84, v76
	v_mul_f32_e32 v79, v81, v79
	v_mul_f32_e32 v78, v81, v78
	v_and_b32_e32 v84, 0x7f800000, v83
	v_mul_f32_e32 v72, v81, v72
	v_mul_f32_e32 v82, v81, v71
	;; [unrolled: 1-line block ×4, first 2 shown]
	s_mov_b32 s3, exec_lo
	ds_store_b128 v77, v[87:90]
                                        ; implicit-def: $vgpr68
	v_cmpx_ne_u32_e32 0x7f800000, v84
	s_xor_b32 s3, exec_lo, s3
; %bb.45:
	v_bfe_u32 v68, v83, 16, 1
	s_delay_alu instid0(VALU_DEP_1)
	v_add3_u32 v68, v83, v68, 0x7fff
                                        ; implicit-def: $vgpr83
; %bb.46:
	s_and_not1_saveexec_b32 s3, s3
; %bb.47:
	v_and_b32_e32 v68, 0xffff, v83
	v_or_b32_e32 v70, 0x10000, v83
	s_delay_alu instid0(VALU_DEP_2) | instskip(NEXT) | instid1(VALU_DEP_2)
	v_cmp_eq_u32_e32 vcc_lo, 0, v68
	v_cndmask_b32_e32 v68, v70, v83, vcc_lo
; %bb.48:
	s_or_b32 exec_lo, exec_lo, s3
	v_and_b32_e32 v70, 0x7f800000, v71
	s_delay_alu instid0(VALU_DEP_1) | instskip(SKIP_1) | instid1(SALU_CYCLE_1)
	v_cmp_ne_u32_e32 vcc_lo, 0x7f800000, v70
                                        ; implicit-def: $vgpr70
	s_and_saveexec_b32 s3, vcc_lo
	s_xor_b32 s3, exec_lo, s3
; %bb.49:
	v_bfe_u32 v70, v71, 16, 1
	s_delay_alu instid0(VALU_DEP_1)
	v_add3_u32 v70, v71, v70, 0x7fff
                                        ; implicit-def: $vgpr71
; %bb.50:
	s_and_not1_saveexec_b32 s3, s3
; %bb.51:
	v_and_b32_e32 v70, 0xffff, v71
	v_or_b32_e32 v81, 0x10000, v71
	s_delay_alu instid0(VALU_DEP_2) | instskip(NEXT) | instid1(VALU_DEP_2)
	v_cmp_eq_u32_e32 vcc_lo, 0, v70
	v_cndmask_b32_e32 v70, v81, v71, vcc_lo
; %bb.52:
	s_or_b32 exec_lo, exec_lo, s3
	v_and_b32_e32 v71, 0x7f800000, v80
	s_delay_alu instid0(VALU_DEP_1) | instskip(SKIP_1) | instid1(SALU_CYCLE_1)
	v_cmp_ne_u32_e32 vcc_lo, 0x7f800000, v71
                                        ; implicit-def: $vgpr71
	s_and_saveexec_b32 s3, vcc_lo
	s_xor_b32 s3, exec_lo, s3
; %bb.53:
	v_bfe_u32 v71, v80, 16, 1
	s_delay_alu instid0(VALU_DEP_1)
	v_add3_u32 v71, v80, v71, 0x7fff
                                        ; implicit-def: $vgpr80
; %bb.54:
	s_and_not1_saveexec_b32 s3, s3
; %bb.55:
	v_and_b32_e32 v71, 0xffff, v80
	v_or_b32_e32 v81, 0x10000, v80
	s_delay_alu instid0(VALU_DEP_2) | instskip(NEXT) | instid1(VALU_DEP_2)
	v_cmp_eq_u32_e32 vcc_lo, 0, v71
	v_cndmask_b32_e32 v71, v81, v80, vcc_lo
; %bb.56:
	s_or_b32 exec_lo, exec_lo, s3
	v_and_b32_e32 v80, 0x7f800000, v82
	s_delay_alu instid0(VALU_DEP_1) | instskip(SKIP_1) | instid1(SALU_CYCLE_1)
	v_cmp_ne_u32_e32 vcc_lo, 0x7f800000, v80
                                        ; implicit-def: $vgpr80
	s_and_saveexec_b32 s3, vcc_lo
	s_xor_b32 s3, exec_lo, s3
; %bb.57:
	v_bfe_u32 v80, v82, 16, 1
	s_delay_alu instid0(VALU_DEP_1)
	v_add3_u32 v80, v82, v80, 0x7fff
                                        ; implicit-def: $vgpr82
; %bb.58:
	s_and_not1_saveexec_b32 s3, s3
; %bb.59:
	v_and_b32_e32 v80, 0xffff, v82
	v_or_b32_e32 v81, 0x10000, v82
	s_delay_alu instid0(VALU_DEP_2) | instskip(NEXT) | instid1(VALU_DEP_2)
	v_cmp_eq_u32_e32 vcc_lo, 0, v80
	v_cndmask_b32_e32 v80, v81, v82, vcc_lo
; %bb.60:
	s_or_b32 exec_lo, exec_lo, s3
	v_and_b32_e32 v81, 0x7f800000, v72
	s_delay_alu instid0(VALU_DEP_1) | instskip(SKIP_1) | instid1(SALU_CYCLE_1)
	v_cmp_ne_u32_e32 vcc_lo, 0x7f800000, v81
                                        ; implicit-def: $vgpr81
	s_and_saveexec_b32 s3, vcc_lo
	s_xor_b32 s3, exec_lo, s3
; %bb.61:
	v_bfe_u32 v81, v72, 16, 1
	s_delay_alu instid0(VALU_DEP_1)
	v_add3_u32 v81, v72, v81, 0x7fff
                                        ; implicit-def: $vgpr72
; %bb.62:
	s_and_not1_saveexec_b32 s3, s3
; %bb.63:
	v_and_b32_e32 v81, 0xffff, v72
	v_or_b32_e32 v82, 0x10000, v72
	s_delay_alu instid0(VALU_DEP_2) | instskip(NEXT) | instid1(VALU_DEP_2)
	v_cmp_eq_u32_e32 vcc_lo, 0, v81
	v_cndmask_b32_e32 v81, v82, v72, vcc_lo
; %bb.64:
	s_or_b32 exec_lo, exec_lo, s3
	v_and_b32_e32 v72, 0x7f800000, v78
	s_delay_alu instid0(VALU_DEP_1) | instskip(SKIP_1) | instid1(SALU_CYCLE_1)
	v_cmp_ne_u32_e32 vcc_lo, 0x7f800000, v72
                                        ; implicit-def: $vgpr72
	s_and_saveexec_b32 s3, vcc_lo
	s_xor_b32 s3, exec_lo, s3
; %bb.65:
	v_bfe_u32 v72, v78, 16, 1
	s_delay_alu instid0(VALU_DEP_1)
	v_add3_u32 v72, v78, v72, 0x7fff
                                        ; implicit-def: $vgpr78
; %bb.66:
	s_and_not1_saveexec_b32 s3, s3
; %bb.67:
	v_and_b32_e32 v72, 0xffff, v78
	v_or_b32_e32 v82, 0x10000, v78
	s_delay_alu instid0(VALU_DEP_2) | instskip(NEXT) | instid1(VALU_DEP_2)
	v_cmp_eq_u32_e32 vcc_lo, 0, v72
	v_cndmask_b32_e32 v72, v82, v78, vcc_lo
; %bb.68:
	s_or_b32 exec_lo, exec_lo, s3
	v_and_b32_e32 v78, 0x7f800000, v79
	s_delay_alu instid0(VALU_DEP_1) | instskip(SKIP_1) | instid1(SALU_CYCLE_1)
	v_cmp_ne_u32_e32 vcc_lo, 0x7f800000, v78
                                        ; implicit-def: $vgpr78
	s_and_saveexec_b32 s3, vcc_lo
	s_xor_b32 s3, exec_lo, s3
; %bb.69:
	v_bfe_u32 v78, v79, 16, 1
	s_delay_alu instid0(VALU_DEP_1)
	v_add3_u32 v78, v79, v78, 0x7fff
                                        ; implicit-def: $vgpr79
; %bb.70:
	s_and_not1_saveexec_b32 s3, s3
; %bb.71:
	v_and_b32_e32 v78, 0xffff, v79
	v_or_b32_e32 v82, 0x10000, v79
	s_delay_alu instid0(VALU_DEP_2) | instskip(NEXT) | instid1(VALU_DEP_2)
	v_cmp_eq_u32_e32 vcc_lo, 0, v78
	v_cndmask_b32_e32 v78, v82, v79, vcc_lo
; %bb.72:
	s_or_b32 exec_lo, exec_lo, s3
	v_and_b32_e32 v79, 0x7f800000, v69
	s_delay_alu instid0(VALU_DEP_1) | instskip(SKIP_1) | instid1(SALU_CYCLE_1)
	v_cmp_ne_u32_e32 vcc_lo, 0x7f800000, v79
                                        ; implicit-def: $vgpr79
	s_and_saveexec_b32 s3, vcc_lo
	s_xor_b32 s3, exec_lo, s3
; %bb.73:
	v_bfe_u32 v79, v69, 16, 1
	s_delay_alu instid0(VALU_DEP_1)
	v_add3_u32 v79, v69, v79, 0x7fff
                                        ; implicit-def: $vgpr69
; %bb.74:
	s_and_not1_saveexec_b32 s3, s3
; %bb.75:
	v_and_b32_e32 v79, 0xffff, v69
	v_or_b32_e32 v82, 0x10000, v69
	s_delay_alu instid0(VALU_DEP_2) | instskip(NEXT) | instid1(VALU_DEP_2)
	v_cmp_eq_u32_e32 vcc_lo, 0, v79
	v_cndmask_b32_e32 v79, v82, v69, vcc_lo
; %bb.76:
	s_or_b32 exec_lo, exec_lo, s3
	s_delay_alu instid0(VALU_DEP_1)
	v_perm_b32 v86, v79, v78, 0x7060302
	v_perm_b32 v85, v72, v81, 0x7060302
	;; [unrolled: 1-line block ×4, first 2 shown]
	v_lshl_or_b32 v82, v65, 11, v76
	v_lshlrev_b32_e32 v79, 2, v74
	ds_store_b128 v77, v[83:86] offset:1024
	s_waitcnt lgkmcnt(0)
	s_barrier
	buffer_gl0_inv
	ds_load_b128 v[68:71], v82
	ds_load_b128 v[83:86], v82 offset:16
	v_or_b32_e32 v80, 1, v79
	v_cmp_eq_u32_e32 vcc_lo, 1, v79
	v_cmp_eq_u32_e64 s4, 2, v79
	v_cmp_eq_u32_e64 s7, 3, v79
	;; [unrolled: 1-line block ×6, first 2 shown]
	v_or_b32_e32 v78, 2, v79
	v_cmp_eq_u32_e64 s10, 5, v79
	v_cmp_eq_u32_e64 s11, 4, v80
	;; [unrolled: 1-line block ×9, first 2 shown]
	s_waitcnt lgkmcnt(1)
	v_lshrrev_b32_e32 v65, 16, v68
	s_waitcnt lgkmcnt(0)
	v_lshrrev_b32_e32 v91, 16, v83
	v_lshrrev_b32_e32 v72, 16, v69
	;; [unrolled: 1-line block ×4, first 2 shown]
	v_cndmask_b32_e32 v81, v68, v65, vcc_lo
	v_cndmask_b32_e32 v87, v83, v91, vcc_lo
	v_cndmask_b32_e64 v88, v68, v65, s3
	v_lshrrev_b32_e32 v98, 16, v85
	v_cndmask_b32_e64 v89, v83, v91, s3
	v_cndmask_b32_e64 v81, v81, v69, s4
	v_cndmask_b32_e64 v87, v87, v84, s4
	v_cndmask_b32_e64 v88, v88, v69, s6
	v_lshrrev_b32_e32 v96, 16, v71
	v_cndmask_b32_e64 v89, v89, v84, s6
	v_cndmask_b32_e64 v81, v81, v72, s7
	v_cndmask_b32_e64 v87, v87, v97, s7
	;; [unrolled: 5-line block ×3, first 2 shown]
	v_cndmask_b32_e64 v88, v88, v70, s11
	v_cndmask_b32_e64 v89, v89, v97, s8
	v_cmp_eq_u32_e64 s19, 3, v78
	v_cndmask_b32_e64 v81, v81, v95, s10
	v_cndmask_b32_e64 v87, v87, v98, s10
	;; [unrolled: 1-line block ×4, first 2 shown]
	v_cmp_eq_u32_e64 s20, 4, v78
	v_cndmask_b32_e64 v81, v81, v71, s12
	v_cndmask_b32_e64 v87, v87, v86, s12
	;; [unrolled: 1-line block ×3, first 2 shown]
	v_cmp_eq_u32_e64 s22, 5, v78
	v_cmp_eq_u32_e64 s24, 6, v78
	v_cndmask_b32_e64 v100, v81, v96, s15
	v_cndmask_b32_e64 v101, v87, v99, s15
	;; [unrolled: 1-line block ×6, first 2 shown]
	v_cmp_eq_u32_e64 s27, 7, v78
	v_cndmask_b32_e64 v89, v81, v72, s19
	v_cndmask_b32_e64 v87, v87, v84, s17
	v_or_b32_e32 v81, 3, v79
	v_cndmask_b32_e64 v103, v88, v86, s16
	s_delay_alu instid0(VALU_DEP_4) | instskip(NEXT) | instid1(VALU_DEP_4)
	v_cndmask_b32_e64 v92, v89, v70, s20
	v_cndmask_b32_e64 v93, v87, v97, s19
	s_delay_alu instid0(VALU_DEP_4)
	v_cmp_eq_u32_e64 s21, 1, v81
	ds_load_b128 v[87:90], v82 offset:1024
	v_cmp_eq_u32_e64 s23, 2, v81
	v_cndmask_b32_e64 v104, v92, v95, s22
	v_cmp_eq_u32_e64 s25, 3, v81
	v_cndmask_b32_e64 v65, v68, v65, s21
	v_cndmask_b32_e64 v68, v93, v85, s20
	;; [unrolled: 1-line block ×3, first 2 shown]
	ds_load_b128 v[91:94], v82 offset:1040
	v_cmp_eq_u32_e64 s26, 4, v81
	v_cndmask_b32_e64 v65, v65, v69, s23
	v_cmp_eq_u32_e64 s28, 5, v81
	v_cndmask_b32_e64 v69, v83, v84, s23
	;; [unrolled: 2-line block ×3, first 2 shown]
	v_cndmask_b32_e64 v65, v65, v72, s25
	v_cndmask_b32_e64 v72, v104, v71, s24
	;; [unrolled: 1-line block ×6, first 2 shown]
	s_waitcnt lgkmcnt(1)
	v_lshrrev_b32_e32 v84, 16, v87
	v_cndmask_b32_e64 v69, v69, v85, s26
	v_cndmask_b32_e64 v70, v72, v96, s27
	;; [unrolled: 1-line block ×4, first 2 shown]
	v_cndmask_b32_e32 v72, v87, v84, vcc_lo
	v_cndmask_b32_e64 v69, v69, v98, s28
	s_waitcnt lgkmcnt(0)
	v_lshrrev_b32_e32 v85, 16, v91
	v_lshrrev_b32_e32 v95, 16, v88
	v_cndmask_b32_e64 v97, v87, v84, s3
	v_cndmask_b32_e64 v72, v72, v88, s4
	;; [unrolled: 1-line block ×3, first 2 shown]
	v_cndmask_b32_e32 v98, v91, v85, vcc_lo
	v_cmp_eq_u32_e32 vcc_lo, 7, v81
	v_cndmask_b32_e64 v69, v69, v86, s29
	v_cndmask_b32_e64 v71, v72, v95, s7
	v_cndmask_b32_e64 v72, v97, v88, s6
	v_lshrrev_b32_e32 v97, 16, v92
	v_cndmask_b32_e32 v65, v65, v96, vcc_lo
	v_cndmask_b32_e64 v86, v98, v92, s4
	v_cndmask_b32_e32 v69, v69, v99, vcc_lo
	v_lshrrev_b32_e32 v99, 16, v93
	v_cndmask_b32_e64 v71, v71, v89, s9
	v_lshrrev_b32_e32 v98, 16, v89
	v_cndmask_b32_e64 v86, v86, v97, s7
	v_perm_b32 v70, v68, v70, 0x5040100
	v_cndmask_b32_e64 v72, v72, v95, s8
	s_delay_alu instid0(VALU_DEP_4) | instskip(NEXT) | instid1(VALU_DEP_4)
	v_cndmask_b32_e64 v96, v71, v98, s10
	v_cndmask_b32_e64 v86, v86, v93, s9
	v_perm_b32 v71, v69, v65, 0x5040100
	v_perm_b32 v69, v83, v102, 0x5040100
	v_cndmask_b32_e64 v102, v91, v85, s5
	v_cndmask_b32_e64 v72, v72, v89, s11
	;; [unrolled: 1-line block ×3, first 2 shown]
	v_lshrrev_b32_e32 v83, 16, v94
	s_delay_alu instid0(VALU_DEP_3) | instskip(NEXT) | instid1(VALU_DEP_3)
	v_cndmask_b32_e64 v65, v72, v98, s13
	v_cndmask_b32_e64 v68, v86, v94, s12
	;; [unrolled: 1-line block ×27, first 2 shown]
	v_lshrrev_b32_e32 v96, 16, v90
	v_cndmask_b32_e64 v65, v65, v90, s16
	v_cndmask_b32_e64 v86, v86, v90, s24
	;; [unrolled: 1-line block ×9, first 2 shown]
	v_cndmask_b32_e32 v84, v84, v96, vcc_lo
	v_cndmask_b32_e32 v86, v87, v83, vcc_lo
	v_cndmask_b32_e64 v87, v88, v83, s27
	v_cndmask_b32_e64 v88, v85, v83, s18
	;; [unrolled: 1-line block ×3, first 2 shown]
	v_perm_b32 v68, v101, v100, 0x5040100
	v_perm_b32 v86, v86, v84, 0x5040100
	;; [unrolled: 1-line block ×5, first 2 shown]
	s_lshl_b32 s8, s35, 4
	s_mov_b32 s3, exec_lo
	ds_store_b128 v77, v[68:71]
	ds_store_b128 v77, v[83:86] offset:1024
	v_cmpx_gt_u32_e32 16, v0
	s_cbranch_execz .LBB1441_78
; %bb.77:
	v_or_b32_e32 v65, s31, v0
	s_load_b128 s[4:7], s[0:1], 0x58
	s_delay_alu instid0(VALU_DEP_1) | instskip(NEXT) | instid1(VALU_DEP_1)
	v_mad_u64_u32 v[68:69], null, s8, s30, v[65:66]
	v_mad_u64_u32 v[69:70], null, v68, s34, s[14:15]
	s_delay_alu instid0(VALU_DEP_1) | instskip(NEXT) | instid1(VALU_DEP_1)
	v_ashrrev_i32_e32 v70, 31, v69
	v_lshlrev_b64 v[68:69], 2, v[69:70]
	s_waitcnt lgkmcnt(0)
	s_delay_alu instid0(VALU_DEP_1) | instskip(NEXT) | instid1(VALU_DEP_2)
	v_add_co_u32 v70, vcc_lo, s6, v68
	v_add_co_ci_u32_e32 v71, vcc_lo, s7, v69, vcc_lo
	v_add_co_u32 v68, vcc_lo, s4, v68
	v_add_co_ci_u32_e32 v69, vcc_lo, s5, v69, vcc_lo
	global_store_b32 v[70:71], v66, off
	global_store_b32 v[68:69], v67, off
.LBB1441_78:
	s_or_b32 exec_lo, exec_lo, s3
	s_waitcnt lgkmcnt(0)
	s_waitcnt_vscnt null, 0x0
	s_barrier
	buffer_gl0_inv
	ds_load_b128 v[83:86], v76
	ds_load_b128 v[87:90], v76 offset:16
	ds_load_b128 v[95:98], v76 offset:2064
	ds_load_b128 v[91:94], v76 offset:2048
	v_mov_b32_e32 v65, 0
	ds_load_b128 v[103:106], v76 offset:4112
	ds_load_b128 v[99:102], v76 offset:4096
	;; [unrolled: 1-line block ×4, first 2 shown]
	v_mov_b32_e32 v66, v65
	v_mov_b32_e32 v67, v65
	;; [unrolled: 1-line block ×7, first 2 shown]
	s_waitcnt lgkmcnt(6)
	s_delay_alu instid0(VALU_DEP_1)
	v_wmma_f32_16x16x16_bf16 v[65:72], v[57:64], v[83:90], v[65:72]
	ds_load_b128 v[61:64], v76 offset:8208
	ds_load_b128 v[57:60], v76 offset:8192
	s_waitcnt lgkmcnt(6)
	v_wmma_f32_16x16x16_bf16 v[65:72], v[41:48], v[91:98], v[65:72]
	ds_load_b128 v[45:48], v76 offset:10256
	ds_load_b128 v[41:44], v76 offset:10240
	s_waitcnt lgkmcnt(6)
	;; [unrolled: 4-line block ×4, first 2 shown]
	v_wmma_f32_16x16x16_bf16 v[65:72], v[1:8], v[57:64], v[65:72]
	s_waitcnt lgkmcnt(4)
	s_delay_alu instid0(VALU_DEP_1) | instskip(SKIP_1) | instid1(VALU_DEP_1)
	v_wmma_f32_16x16x16_bf16 v[65:72], v[9:16], v[41:48], v[65:72]
	s_waitcnt lgkmcnt(2)
	v_wmma_f32_16x16x16_bf16 v[65:72], v[17:24], v[33:40], v[65:72]
	s_waitcnt lgkmcnt(0)
	s_delay_alu instid0(VALU_DEP_1) | instskip(NEXT) | instid1(VALU_DEP_1)
	v_wmma_f32_16x16x16_bf16 v[65:72], v[49:56], v[25:32], v[65:72]
	v_and_b32_e32 v1, 0x7f800000, v65
	s_delay_alu instid0(VALU_DEP_1) | instskip(SKIP_1) | instid1(SALU_CYCLE_1)
	v_cmp_ne_u32_e32 vcc_lo, 0x7f800000, v1
                                        ; implicit-def: $vgpr1
	s_and_saveexec_b32 s3, vcc_lo
	s_xor_b32 s3, exec_lo, s3
; %bb.79:
	v_bfe_u32 v1, v65, 16, 1
	s_delay_alu instid0(VALU_DEP_1)
	v_add3_u32 v1, v65, v1, 0x7fff
; %bb.80:
	s_and_not1_saveexec_b32 s3, s3
; %bb.81:
	v_and_b32_e32 v1, 0xffff, v65
	v_or_b32_e32 v2, 0x10000, v65
	s_delay_alu instid0(VALU_DEP_2) | instskip(NEXT) | instid1(VALU_DEP_2)
	v_cmp_eq_u32_e32 vcc_lo, 0, v1
	v_cndmask_b32_e32 v1, v2, v65, vcc_lo
; %bb.82:
	s_or_b32 exec_lo, exec_lo, s3
	v_and_b32_e32 v2, 0x7f800000, v66
	s_delay_alu instid0(VALU_DEP_1) | instskip(SKIP_1) | instid1(SALU_CYCLE_1)
	v_cmp_ne_u32_e32 vcc_lo, 0x7f800000, v2
                                        ; implicit-def: $vgpr2
	s_and_saveexec_b32 s3, vcc_lo
	s_xor_b32 s3, exec_lo, s3
; %bb.83:
	v_bfe_u32 v2, v66, 16, 1
	s_delay_alu instid0(VALU_DEP_1)
	v_add3_u32 v2, v66, v2, 0x7fff
; %bb.84:
	s_and_not1_saveexec_b32 s3, s3
; %bb.85:
	v_and_b32_e32 v2, 0xffff, v66
	v_or_b32_e32 v3, 0x10000, v66
	s_delay_alu instid0(VALU_DEP_2) | instskip(NEXT) | instid1(VALU_DEP_2)
	v_cmp_eq_u32_e32 vcc_lo, 0, v2
	v_cndmask_b32_e32 v2, v3, v66, vcc_lo
; %bb.86:
	s_or_b32 exec_lo, exec_lo, s3
	v_and_b32_e32 v3, 0x7f800000, v67
	s_delay_alu instid0(VALU_DEP_1) | instskip(SKIP_1) | instid1(SALU_CYCLE_1)
	v_cmp_ne_u32_e32 vcc_lo, 0x7f800000, v3
                                        ; implicit-def: $vgpr3
	s_and_saveexec_b32 s3, vcc_lo
	s_xor_b32 s3, exec_lo, s3
; %bb.87:
	v_bfe_u32 v3, v67, 16, 1
	s_delay_alu instid0(VALU_DEP_1)
	v_add3_u32 v3, v67, v3, 0x7fff
; %bb.88:
	s_and_not1_saveexec_b32 s3, s3
; %bb.89:
	v_and_b32_e32 v3, 0xffff, v67
	v_or_b32_e32 v4, 0x10000, v67
	s_delay_alu instid0(VALU_DEP_2) | instskip(NEXT) | instid1(VALU_DEP_2)
	v_cmp_eq_u32_e32 vcc_lo, 0, v3
	v_cndmask_b32_e32 v3, v4, v67, vcc_lo
; %bb.90:
	s_or_b32 exec_lo, exec_lo, s3
	v_and_b32_e32 v4, 0x7f800000, v68
	s_delay_alu instid0(VALU_DEP_1) | instskip(SKIP_1) | instid1(SALU_CYCLE_1)
	v_cmp_ne_u32_e32 vcc_lo, 0x7f800000, v4
                                        ; implicit-def: $vgpr4
	s_and_saveexec_b32 s3, vcc_lo
	s_xor_b32 s3, exec_lo, s3
; %bb.91:
	v_bfe_u32 v4, v68, 16, 1
	s_delay_alu instid0(VALU_DEP_1)
	v_add3_u32 v4, v68, v4, 0x7fff
; %bb.92:
	s_and_not1_saveexec_b32 s3, s3
; %bb.93:
	v_and_b32_e32 v4, 0xffff, v68
	v_or_b32_e32 v5, 0x10000, v68
	s_delay_alu instid0(VALU_DEP_2) | instskip(NEXT) | instid1(VALU_DEP_2)
	v_cmp_eq_u32_e32 vcc_lo, 0, v4
	v_cndmask_b32_e32 v4, v5, v68, vcc_lo
; %bb.94:
	s_or_b32 exec_lo, exec_lo, s3
	v_and_b32_e32 v5, 0x7f800000, v69
	s_delay_alu instid0(VALU_DEP_1) | instskip(SKIP_1) | instid1(SALU_CYCLE_1)
	v_cmp_ne_u32_e32 vcc_lo, 0x7f800000, v5
                                        ; implicit-def: $vgpr5
	s_and_saveexec_b32 s3, vcc_lo
	s_xor_b32 s3, exec_lo, s3
; %bb.95:
	v_bfe_u32 v5, v69, 16, 1
	s_delay_alu instid0(VALU_DEP_1)
	v_add3_u32 v5, v69, v5, 0x7fff
; %bb.96:
	s_and_not1_saveexec_b32 s3, s3
; %bb.97:
	v_and_b32_e32 v5, 0xffff, v69
	v_or_b32_e32 v6, 0x10000, v69
	s_delay_alu instid0(VALU_DEP_2) | instskip(NEXT) | instid1(VALU_DEP_2)
	v_cmp_eq_u32_e32 vcc_lo, 0, v5
	v_cndmask_b32_e32 v5, v6, v69, vcc_lo
; %bb.98:
	s_or_b32 exec_lo, exec_lo, s3
	v_and_b32_e32 v6, 0x7f800000, v70
	s_delay_alu instid0(VALU_DEP_1) | instskip(SKIP_1) | instid1(SALU_CYCLE_1)
	v_cmp_ne_u32_e32 vcc_lo, 0x7f800000, v6
                                        ; implicit-def: $vgpr6
	s_and_saveexec_b32 s3, vcc_lo
	s_xor_b32 s3, exec_lo, s3
; %bb.99:
	v_bfe_u32 v6, v70, 16, 1
	s_delay_alu instid0(VALU_DEP_1)
	v_add3_u32 v6, v70, v6, 0x7fff
; %bb.100:
	s_and_not1_saveexec_b32 s3, s3
; %bb.101:
	v_and_b32_e32 v6, 0xffff, v70
	v_or_b32_e32 v7, 0x10000, v70
	s_delay_alu instid0(VALU_DEP_2) | instskip(NEXT) | instid1(VALU_DEP_2)
	v_cmp_eq_u32_e32 vcc_lo, 0, v6
	v_cndmask_b32_e32 v6, v7, v70, vcc_lo
; %bb.102:
	s_or_b32 exec_lo, exec_lo, s3
	v_and_b32_e32 v7, 0x7f800000, v71
	s_delay_alu instid0(VALU_DEP_1) | instskip(SKIP_1) | instid1(SALU_CYCLE_1)
	v_cmp_ne_u32_e32 vcc_lo, 0x7f800000, v7
                                        ; implicit-def: $vgpr7
	s_and_saveexec_b32 s3, vcc_lo
	s_xor_b32 s3, exec_lo, s3
; %bb.103:
	v_bfe_u32 v7, v71, 16, 1
	s_delay_alu instid0(VALU_DEP_1)
	v_add3_u32 v7, v71, v7, 0x7fff
; %bb.104:
	s_and_not1_saveexec_b32 s3, s3
; %bb.105:
	v_and_b32_e32 v7, 0xffff, v71
	v_or_b32_e32 v8, 0x10000, v71
	s_delay_alu instid0(VALU_DEP_2) | instskip(NEXT) | instid1(VALU_DEP_2)
	v_cmp_eq_u32_e32 vcc_lo, 0, v7
	v_cndmask_b32_e32 v7, v8, v71, vcc_lo
; %bb.106:
	s_or_b32 exec_lo, exec_lo, s3
	v_and_b32_e32 v8, 0x7f800000, v72
	s_delay_alu instid0(VALU_DEP_1) | instskip(SKIP_1) | instid1(SALU_CYCLE_1)
	v_cmp_ne_u32_e32 vcc_lo, 0x7f800000, v8
                                        ; implicit-def: $vgpr8
	s_and_saveexec_b32 s3, vcc_lo
	s_xor_b32 s3, exec_lo, s3
; %bb.107:
	v_bfe_u32 v8, v72, 16, 1
	s_delay_alu instid0(VALU_DEP_1)
	v_add3_u32 v8, v72, v8, 0x7fff
                                        ; implicit-def: $vgpr65_vgpr66_vgpr67_vgpr68_vgpr69_vgpr70_vgpr71_vgpr72
; %bb.108:
	s_and_not1_saveexec_b32 s3, s3
; %bb.109:
	v_and_b32_e32 v8, 0xffff, v72
	v_or_b32_e32 v9, 0x10000, v72
	s_delay_alu instid0(VALU_DEP_2) | instskip(NEXT) | instid1(VALU_DEP_2)
	v_cmp_eq_u32_e32 vcc_lo, 0, v8
	v_cndmask_b32_e32 v8, v9, v72, vcc_lo
; %bb.110:
	s_or_b32 exec_lo, exec_lo, s3
	s_delay_alu instid0(VALU_DEP_1)
	v_perm_b32 v7, v8, v7, 0x7060302
	v_perm_b32 v6, v6, v5, 0x7060302
	;; [unrolled: 1-line block ×4, first 2 shown]
	s_barrier
	buffer_gl0_inv
	v_cmp_eq_u32_e32 vcc_lo, 1, v79
	ds_store_b128 v77, v[4:7]
	s_waitcnt lgkmcnt(0)
	s_barrier
	buffer_gl0_inv
	ds_load_b128 v[1:4], v82
	ds_load_b128 v[5:8], v82 offset:16
	v_cmp_eq_u32_e64 s3, 1, v80
	v_cmp_eq_u32_e64 s4, 2, v79
	;; [unrolled: 1-line block ×5, first 2 shown]
	s_waitcnt lgkmcnt(1)
	v_lshrrev_b32_e32 v9, 16, v1
	s_waitcnt lgkmcnt(0)
	v_lshrrev_b32_e32 v13, 16, v5
	v_lshrrev_b32_e32 v10, 16, v2
	;; [unrolled: 1-line block ×4, first 2 shown]
	v_cndmask_b32_e64 v19, v1, v9, s3
	v_cndmask_b32_e32 v18, v5, v13, vcc_lo
	v_cndmask_b32_e64 v20, v5, v13, s3
	v_cndmask_b32_e32 v17, v1, v9, vcc_lo
	v_cmp_eq_u32_e32 vcc_lo, 2, v80
	v_lshrrev_b32_e32 v15, 16, v7
	v_cmp_eq_u32_e64 s3, 1, v78
	v_lshrrev_b32_e32 v12, 16, v4
	v_lshrrev_b32_e32 v16, 16, v8
	v_cndmask_b32_e32 v20, v20, v6, vcc_lo
	v_cndmask_b32_e64 v17, v17, v2, s4
	v_cndmask_b32_e32 v19, v19, v2, vcc_lo
	v_cndmask_b32_e64 v18, v18, v6, s4
	v_cmp_eq_u32_e32 vcc_lo, 4, v79
	v_cmp_eq_u32_e64 s4, 3, v80
	v_cndmask_b32_e64 v17, v17, v10, s5
	v_cndmask_b32_e64 v21, v1, v9, s3
	;; [unrolled: 1-line block ×5, first 2 shown]
	v_cndmask_b32_e32 v17, v17, v3, vcc_lo
	v_cndmask_b32_e64 v20, v20, v14, s4
	v_cndmask_b32_e32 v18, v18, v7, vcc_lo
	v_cmp_eq_u32_e32 vcc_lo, 4, v80
	v_cmp_eq_u32_e64 s4, 5, v80
	v_cmp_eq_u32_e64 s3, 2, v81
	v_cndmask_b32_e64 v21, v21, v2, s7
	v_cmp_eq_u32_e64 s5, 5, v79
	v_cndmask_b32_e32 v19, v19, v3, vcc_lo
	v_cndmask_b32_e32 v20, v20, v7, vcc_lo
	v_cmp_eq_u32_e32 vcc_lo, 6, v80
	s_delay_alu instid0(VALU_DEP_4) | instskip(NEXT) | instid1(VALU_DEP_4)
	v_cndmask_b32_e64 v17, v17, v11, s5
	v_cndmask_b32_e64 v19, v19, v11, s4
	s_delay_alu instid0(VALU_DEP_4) | instskip(SKIP_1) | instid1(VALU_DEP_3)
	v_cndmask_b32_e64 v20, v20, v15, s4
	v_cmp_eq_u32_e64 s4, 1, v81
	v_cndmask_b32_e32 v19, v19, v4, vcc_lo
	v_cndmask_b32_e64 v18, v18, v15, s5
	s_delay_alu instid0(VALU_DEP_3)
	v_cndmask_b32_e64 v1, v1, v9, s4
	v_cndmask_b32_e64 v5, v5, v13, s4
	v_cmp_eq_u32_e64 s4, 3, v78
	v_cndmask_b32_e64 v13, v22, v6, s7
	v_cmp_eq_u32_e64 s7, 3, v81
	v_cndmask_b32_e64 v1, v1, v2, s3
	v_cndmask_b32_e64 v2, v5, v6, s3
	v_cndmask_b32_e64 v9, v21, v10, s4
	v_cmp_eq_u32_e64 s3, 4, v78
	v_cndmask_b32_e64 v6, v13, v14, s4
	v_cndmask_b32_e64 v1, v1, v10, s7
	v_cmp_eq_u32_e64 s4, 4, v81
	v_cndmask_b32_e64 v2, v2, v14, s7
	v_cndmask_b32_e64 v5, v9, v3, s3
	;; [unrolled: 3-line block ×3, first 2 shown]
	v_cndmask_b32_e64 v2, v2, v7, s4
	v_cmp_eq_u32_e64 s3, 5, v81
	v_cmp_eq_u32_e64 s5, 6, v79
	v_cndmask_b32_e64 v5, v5, v11, s7
	v_cmp_eq_u32_e64 s4, 6, v78
	v_cndmask_b32_e64 v3, v6, v15, s7
	v_cndmask_b32_e64 v1, v1, v11, s3
	v_cmp_eq_u32_e64 s7, 6, v81
	v_cndmask_b32_e64 v2, v2, v15, s3
	v_cndmask_b32_e64 v17, v17, v4, s5
	v_cndmask_b32_e64 v18, v18, v8, s5
	v_cmp_eq_u32_e64 s5, 7, v79
	v_cndmask_b32_e64 v5, v5, v4, s4
	;; [unrolled: 4-line block ×3, first 2 shown]
	v_cmp_eq_u32_e64 s4, 7, v78
	v_cndmask_b32_e32 v4, v20, v8, vcc_lo
	v_cndmask_b32_e64 v17, v17, v12, s5
	v_cndmask_b32_e64 v19, v19, v12, s6
	;; [unrolled: 1-line block ×8, first 2 shown]
	v_cmp_gt_u32_e32 vcc_lo, 32, v0
	v_perm_b32 v4, v2, v1, 0x5040100
	v_perm_b32 v3, v3, v5, 0x5040100
	;; [unrolled: 1-line block ×4, first 2 shown]
	s_and_b32 s2, vcc_lo, s2
	ds_store_b128 v77, v[1:4]
	s_waitcnt lgkmcnt(0)
	s_barrier
	buffer_gl0_inv
	s_and_saveexec_b32 s3, s2
	s_cbranch_execz .LBB1441_2
; %bb.111:
	s_load_b64 s[0:1], s[0:1], 0x68
	v_lshlrev_b32_e32 v0, 10, v0
	s_lshl_b32 s4, s34, 6
	v_or_b32_e32 v23, s31, v74
	s_mul_i32 s2, s4, s30
	v_lshlrev_b32_e32 v1, 4, v75
	v_lshlrev_b32_e32 v2, 6, v74
	s_mul_i32 s2, s2, s8
	v_and_b32_e32 v0, 0x3800, v0
	v_mul_lo_u32 v8, v23, s4
	s_ashr_i32 s3, s2, 31
	v_or_b32_e32 v3, 2, v23
	s_lshl_b64 s[2:3], s[2:3], 1
	v_or3_b32 v27, v0, v1, v2
	v_or_b32_e32 v11, 4, v23
	v_or_b32_e32 v18, 6, v23
	v_mul_lo_u32 v10, v3, s4
	v_ashrrev_i32_e32 v9, 31, v8
	ds_load_b128 v[0:3], v27
	ds_load_b128 v[4:7], v27 offset:128
	v_mul_lo_u32 v12, v11, s4
	s_waitcnt lgkmcnt(0)
	s_add_u32 s2, s0, s2
	s_addc_u32 s3, s1, s3
	s_lshl_b32 s0, s14, 6
	v_lshlrev_b64 v[8:9], 1, v[8:9]
	s_ashr_i32 s1, s0, 31
	v_ashrrev_i32_e32 v11, 31, v10
	s_lshl_b64 s[0:1], s[0:1], 1
	v_ashrrev_i32_e32 v13, 31, v12
	s_add_u32 s0, s2, s0
	s_addc_u32 s1, s3, s1
	v_add_co_u32 v30, s0, s0, v73
	s_delay_alu instid0(VALU_DEP_1) | instskip(SKIP_1) | instid1(VALU_DEP_3)
	v_add_co_ci_u32_e64 v31, null, s1, 0, s0
	v_lshlrev_b64 v[16:17], 1, v[10:11]
	v_add_co_u32 v14, vcc_lo, v30, v8
	s_delay_alu instid0(VALU_DEP_3)
	v_add_co_ci_u32_e32 v15, vcc_lo, v31, v9, vcc_lo
	ds_load_b128 v[8:11], v27 offset:256
	v_mul_lo_u32 v18, v18, s4
	v_or_b32_e32 v19, 8, v23
	v_add_co_u32 v16, vcc_lo, v30, v16
	global_store_b128 v[14:15], v[0:3], off
	v_lshlrev_b64 v[0:1], 1, v[12:13]
	v_add_co_ci_u32_e32 v17, vcc_lo, v31, v17, vcc_lo
	v_mul_lo_u32 v12, v19, s4
	v_ashrrev_i32_e32 v19, 31, v18
	v_or_b32_e32 v14, 10, v23
	global_store_b128 v[16:17], v[4:7], off
	v_add_co_u32 v4, vcc_lo, v30, v0
	v_add_co_ci_u32_e32 v5, vcc_lo, v31, v1, vcc_lo
	ds_load_b128 v[0:3], v27 offset:384
	v_ashrrev_i32_e32 v13, 31, v12
	v_lshlrev_b64 v[6:7], 1, v[18:19]
	v_mul_lo_u32 v14, v14, s4
	s_waitcnt lgkmcnt(1)
	global_store_b128 v[4:5], v[8:11], off
	v_or_b32_e32 v8, 12, v23
	v_lshlrev_b64 v[4:5], 1, v[12:13]
	v_add_co_u32 v20, vcc_lo, v30, v6
	v_or_b32_e32 v6, 14, v23
	v_ashrrev_i32_e32 v15, 31, v14
	v_mul_lo_u32 v22, v8, s4
	v_add_co_ci_u32_e32 v21, vcc_lo, v31, v7, vcc_lo
	v_add_co_u32 v24, vcc_lo, v30, v4
	v_mul_lo_u32 v26, v6, s4
	v_add_co_ci_u32_e32 v25, vcc_lo, v31, v5, vcc_lo
	v_lshlrev_b64 v[28:29], 1, v[14:15]
	ds_load_b128 v[4:7], v27 offset:512
	ds_load_b128 v[8:11], v27 offset:640
	;; [unrolled: 1-line block ×4, first 2 shown]
	v_ashrrev_i32_e32 v23, 31, v22
	v_ashrrev_i32_e32 v27, 31, v26
	v_add_co_u32 v28, vcc_lo, v30, v28
	s_delay_alu instid0(VALU_DEP_3) | instskip(SKIP_1) | instid1(VALU_DEP_4)
	v_lshlrev_b64 v[22:23], 1, v[22:23]
	v_add_co_ci_u32_e32 v29, vcc_lo, v31, v29, vcc_lo
	v_lshlrev_b64 v[26:27], 1, v[26:27]
	s_delay_alu instid0(VALU_DEP_3) | instskip(NEXT) | instid1(VALU_DEP_4)
	v_add_co_u32 v22, vcc_lo, v30, v22
	v_add_co_ci_u32_e32 v23, vcc_lo, v31, v23, vcc_lo
	s_delay_alu instid0(VALU_DEP_3) | instskip(NEXT) | instid1(VALU_DEP_4)
	v_add_co_u32 v26, vcc_lo, v30, v26
	v_add_co_ci_u32_e32 v27, vcc_lo, v31, v27, vcc_lo
	s_waitcnt lgkmcnt(4)
	global_store_b128 v[20:21], v[0:3], off
	s_waitcnt lgkmcnt(3)
	global_store_b128 v[24:25], v[4:7], off
	;; [unrolled: 2-line block ×5, first 2 shown]
	s_nop 0
	s_sendmsg sendmsg(MSG_DEALLOC_VGPRS)
	s_endpgm
	.section	.rodata,"a",@progbits
	.p2align	6, 0x0
	.amdhsa_kernel _Z39paged_attention_ll4mi_QKV_mfma16_kernelI14__hip_bfloat16hLN4vllm18Fp8KVCacheDataTypeE1EhLi32ELi64ELi256ELb1ELi16EL8MFMAType1EEvPKT_PKT0_S9_ifPKiSB_SB_iPKfiiiPfSE_PS4_PT2_iSD_SD_
		.amdhsa_group_segment_fixed_size 17472
		.amdhsa_private_segment_fixed_size 0
		.amdhsa_kernarg_size 400
		.amdhsa_user_sgpr_count 13
		.amdhsa_user_sgpr_dispatch_ptr 0
		.amdhsa_user_sgpr_queue_ptr 0
		.amdhsa_user_sgpr_kernarg_segment_ptr 1
		.amdhsa_user_sgpr_dispatch_id 0
		.amdhsa_user_sgpr_private_segment_size 0
		.amdhsa_wavefront_size32 1
		.amdhsa_uses_dynamic_stack 0
		.amdhsa_enable_private_segment 0
		.amdhsa_system_sgpr_workgroup_id_x 1
		.amdhsa_system_sgpr_workgroup_id_y 1
		.amdhsa_system_sgpr_workgroup_id_z 1
		.amdhsa_system_sgpr_workgroup_info 0
		.amdhsa_system_vgpr_workitem_id 0
		.amdhsa_next_free_vgpr 125
		.amdhsa_next_free_sgpr 40
		.amdhsa_reserve_vcc 1
		.amdhsa_float_round_mode_32 0
		.amdhsa_float_round_mode_16_64 0
		.amdhsa_float_denorm_mode_32 3
		.amdhsa_float_denorm_mode_16_64 3
		.amdhsa_dx10_clamp 1
		.amdhsa_ieee_mode 1
		.amdhsa_fp16_overflow 0
		.amdhsa_workgroup_processor_mode 1
		.amdhsa_memory_ordered 1
		.amdhsa_forward_progress 0
		.amdhsa_shared_vgpr_count 0
		.amdhsa_exception_fp_ieee_invalid_op 0
		.amdhsa_exception_fp_denorm_src 0
		.amdhsa_exception_fp_ieee_div_zero 0
		.amdhsa_exception_fp_ieee_overflow 0
		.amdhsa_exception_fp_ieee_underflow 0
		.amdhsa_exception_fp_ieee_inexact 0
		.amdhsa_exception_int_div_zero 0
	.end_amdhsa_kernel
	.section	.text._Z39paged_attention_ll4mi_QKV_mfma16_kernelI14__hip_bfloat16hLN4vllm18Fp8KVCacheDataTypeE1EhLi32ELi64ELi256ELb1ELi16EL8MFMAType1EEvPKT_PKT0_S9_ifPKiSB_SB_iPKfiiiPfSE_PS4_PT2_iSD_SD_,"axG",@progbits,_Z39paged_attention_ll4mi_QKV_mfma16_kernelI14__hip_bfloat16hLN4vllm18Fp8KVCacheDataTypeE1EhLi32ELi64ELi256ELb1ELi16EL8MFMAType1EEvPKT_PKT0_S9_ifPKiSB_SB_iPKfiiiPfSE_PS4_PT2_iSD_SD_,comdat
.Lfunc_end1441:
	.size	_Z39paged_attention_ll4mi_QKV_mfma16_kernelI14__hip_bfloat16hLN4vllm18Fp8KVCacheDataTypeE1EhLi32ELi64ELi256ELb1ELi16EL8MFMAType1EEvPKT_PKT0_S9_ifPKiSB_SB_iPKfiiiPfSE_PS4_PT2_iSD_SD_, .Lfunc_end1441-_Z39paged_attention_ll4mi_QKV_mfma16_kernelI14__hip_bfloat16hLN4vllm18Fp8KVCacheDataTypeE1EhLi32ELi64ELi256ELb1ELi16EL8MFMAType1EEvPKT_PKT0_S9_ifPKiSB_SB_iPKfiiiPfSE_PS4_PT2_iSD_SD_
                                        ; -- End function
	.section	.AMDGPU.csdata,"",@progbits
; Kernel info:
; codeLenInByte = 8928
; NumSgprs: 42
; NumVgprs: 125
; ScratchSize: 0
; MemoryBound: 0
; FloatMode: 240
; IeeeMode: 1
; LDSByteSize: 17472 bytes/workgroup (compile time only)
; SGPRBlocks: 5
; VGPRBlocks: 15
; NumSGPRsForWavesPerEU: 42
; NumVGPRsForWavesPerEU: 125
; Occupancy: 10
; WaveLimiterHint : 1
; COMPUTE_PGM_RSRC2:SCRATCH_EN: 0
; COMPUTE_PGM_RSRC2:USER_SGPR: 13
; COMPUTE_PGM_RSRC2:TRAP_HANDLER: 0
; COMPUTE_PGM_RSRC2:TGID_X_EN: 1
; COMPUTE_PGM_RSRC2:TGID_Y_EN: 1
; COMPUTE_PGM_RSRC2:TGID_Z_EN: 1
; COMPUTE_PGM_RSRC2:TIDIG_COMP_CNT: 0
	.section	.text._Z39paged_attention_ll4mi_QKV_mfma16_kernelI14__hip_bfloat16hLN4vllm18Fp8KVCacheDataTypeE1EhLi32ELi64ELi256ELb1ELi1EL8MFMAType1EEvPKT_PKT0_S9_ifPKiSB_SB_iPKfiiiPfSE_PS4_PT2_iSD_SD_,"axG",@progbits,_Z39paged_attention_ll4mi_QKV_mfma16_kernelI14__hip_bfloat16hLN4vllm18Fp8KVCacheDataTypeE1EhLi32ELi64ELi256ELb1ELi1EL8MFMAType1EEvPKT_PKT0_S9_ifPKiSB_SB_iPKfiiiPfSE_PS4_PT2_iSD_SD_,comdat
	.protected	_Z39paged_attention_ll4mi_QKV_mfma16_kernelI14__hip_bfloat16hLN4vllm18Fp8KVCacheDataTypeE1EhLi32ELi64ELi256ELb1ELi1EL8MFMAType1EEvPKT_PKT0_S9_ifPKiSB_SB_iPKfiiiPfSE_PS4_PT2_iSD_SD_ ; -- Begin function _Z39paged_attention_ll4mi_QKV_mfma16_kernelI14__hip_bfloat16hLN4vllm18Fp8KVCacheDataTypeE1EhLi32ELi64ELi256ELb1ELi1EL8MFMAType1EEvPKT_PKT0_S9_ifPKiSB_SB_iPKfiiiPfSE_PS4_PT2_iSD_SD_
	.globl	_Z39paged_attention_ll4mi_QKV_mfma16_kernelI14__hip_bfloat16hLN4vllm18Fp8KVCacheDataTypeE1EhLi32ELi64ELi256ELb1ELi1EL8MFMAType1EEvPKT_PKT0_S9_ifPKiSB_SB_iPKfiiiPfSE_PS4_PT2_iSD_SD_
	.p2align	8
	.type	_Z39paged_attention_ll4mi_QKV_mfma16_kernelI14__hip_bfloat16hLN4vllm18Fp8KVCacheDataTypeE1EhLi32ELi64ELi256ELb1ELi1EL8MFMAType1EEvPKT_PKT0_S9_ifPKiSB_SB_iPKfiiiPfSE_PS4_PT2_iSD_SD_,@function
_Z39paged_attention_ll4mi_QKV_mfma16_kernelI14__hip_bfloat16hLN4vllm18Fp8KVCacheDataTypeE1EhLi32ELi64ELi256ELb1ELi1EL8MFMAType1EEvPKT_PKT0_S9_ifPKiSB_SB_iPKfiiiPfSE_PS4_PT2_iSD_SD_: ; @_Z39paged_attention_ll4mi_QKV_mfma16_kernelI14__hip_bfloat16hLN4vllm18Fp8KVCacheDataTypeE1EhLi32ELi64ELi256ELb1ELi1EL8MFMAType1EEvPKT_PKT0_S9_ifPKiSB_SB_iPKfiiiPfSE_PS4_PT2_iSD_SD_
; %bb.0:
	s_load_b64 s[4:5], s[0:1], 0x30
	s_mov_b32 s34, s13
	s_waitcnt lgkmcnt(0)
	s_cmp_lg_u64 s[4:5], 0
	s_cselect_b32 s6, -1, 0
	s_ashr_i32 s35, s13, 31
	s_cmp_eq_u64 s[4:5], 0
	s_cbranch_scc1 .LBB1442_3
; %bb.1:
	s_lshl_b64 s[2:3], s[34:35], 2
	s_delay_alu instid0(SALU_CYCLE_1) | instskip(SKIP_4) | instid1(SALU_CYCLE_1)
	s_add_u32 s2, s4, s2
	s_addc_u32 s3, s5, s3
	s_load_b64 s[2:3], s[2:3], 0x0
	s_waitcnt lgkmcnt(0)
	s_sub_i32 s2, s3, s2
	s_cmp_eq_u32 s2, 1
	s_cselect_b32 s2, -1, 0
	s_delay_alu instid0(SALU_CYCLE_1)
	s_and_not1_b32 vcc_lo, exec_lo, s2
	s_cbranch_vccz .LBB1442_4
.LBB1442_2:
	s_endpgm
.LBB1442_3:
.LBB1442_4:
	s_load_b64 s[2:3], s[0:1], 0x28
	s_lshl_b64 s[8:9], s[34:35], 2
	s_waitcnt lgkmcnt(0)
	s_add_u32 s2, s2, s8
	s_addc_u32 s3, s3, s9
	s_lshl_b32 s12, s14, 8
	s_load_b32 s33, s[2:3], 0x0
	s_waitcnt lgkmcnt(0)
	s_cmp_ge_i32 s12, s33
	s_cbranch_scc1 .LBB1442_2
; %bb.5:
	s_clause 0x1
	s_load_b128 s[28:31], s[0:1], 0x8
	s_load_b64 s[2:3], s[0:1], 0x20
	s_and_not1_b32 vcc_lo, exec_lo, s6
	s_mov_b64 s[6:7], s[34:35]
	s_cbranch_vccnz .LBB1442_7
; %bb.6:
	s_add_u32 s4, s4, s8
	s_addc_u32 s5, s5, s9
	s_load_b32 s6, s[4:5], 0x0
.LBB1442_7:
	s_load_b128 s[24:27], s[0:1], 0x48
	v_and_b32_e32 v73, 15, v0
	s_mov_b32 s13, exec_lo
                                        ; implicit-def: $sgpr16
                                        ; implicit-def: $sgpr4
	s_delay_alu instid0(VALU_DEP_1)
	v_cmpx_eq_u32_e32 0, v73
	s_cbranch_execz .LBB1442_9
; %bb.8:
	s_load_b64 s[4:5], s[0:1], 0x0
	s_waitcnt lgkmcnt(0)
	s_mul_hi_i32 s7, s6, s24
	s_mul_i32 s6, s6, s24
	s_delay_alu instid0(SALU_CYCLE_1) | instskip(NEXT) | instid1(SALU_CYCLE_1)
	s_lshl_b64 s[6:7], s[6:7], 1
	s_add_u32 s6, s4, s6
	s_addc_u32 s7, s5, s7
	s_lshl_b32 s4, s15, 6
	s_delay_alu instid0(SALU_CYCLE_1) | instskip(NEXT) | instid1(SALU_CYCLE_1)
	s_ashr_i32 s5, s4, 31
	s_lshl_b64 s[4:5], s[4:5], 1
	s_delay_alu instid0(SALU_CYCLE_1)
	s_add_u32 s4, s6, s4
	s_addc_u32 s5, s7, s5
	s_clause 0x1
	s_load_b256 s[16:23], s[4:5], 0x0
	s_load_b256 s[4:11], s[4:5], 0x40
.LBB1442_9:
	s_or_b32 exec_lo, exec_lo, s13
	s_waitcnt lgkmcnt(0)
	v_dual_mov_b32 v114, s23 :: v_dual_and_b32 v1, 0xef, v0
	s_add_i32 s13, s33, 31
	s_load_b32 s27, s[0:1], 0x38
	s_ashr_i32 s24, s13, 31
	s_delay_alu instid0(VALU_DEP_1) | instskip(SKIP_3) | instid1(VALU_DEP_2)
	v_dual_mov_b32 v112, s21 :: v_dual_add_nc_u32 v1, s12, v1
	s_lshr_b32 s24, s24, 27
	v_lshrrev_b32_e32 v65, 5, v0
	s_add_i32 s13, s13, s24
	v_ashrrev_i32_e32 v2, 31, v1
	v_or_b32_e32 v3, 16, v1
	s_ashr_i32 s13, s13, 5
	v_cmp_gt_i32_e32 vcc_lo, s33, v1
	s_add_i32 s13, s13, -1
	v_lshrrev_b32_e32 v2, 27, v2
	s_load_b32 s24, s[0:1], 0x1c
	v_dual_mov_b32 v111, s20 :: v_dual_mov_b32 v108, s17
	v_mbcnt_lo_u32_b32 v67, -1, 0
	s_delay_alu instid0(VALU_DEP_3)
	v_dual_mov_b32 v113, s22 :: v_dual_add_nc_u32 v4, v1, v2
	v_lshlrev_b32_e32 v74, 4, v73
	s_waitcnt lgkmcnt(0)
	s_mul_i32 s36, s34, s27
	v_xor_b32_e32 v68, 16, v67
	v_ashrrev_i32_e32 v4, 5, v4
	v_add_nc_u32_e32 v2, v3, v2
	s_ashr_i32 s37, s36, 31
	v_mov_b32_e32 v110, s19
	s_lshl_b64 s[36:37], s[36:37], 2
	v_cndmask_b32_e32 v1, s13, v4, vcc_lo
	v_ashrrev_i32_e32 v2, 5, v2
	v_cmp_gt_i32_e32 vcc_lo, s33, v3
	s_add_u32 s36, s2, s36
	s_addc_u32 s35, s3, s37
	s_mul_i32 s37, s15, s26
	v_and_b32_e32 v66, 0xe0, v0
	v_cndmask_b32_e32 v3, s13, v2, vcc_lo
	v_ashrrev_i32_e32 v2, 31, v1
	s_ashr_i32 s38, s37, 31
	s_add_u32 s40, s28, s37
	s_addc_u32 s41, s29, s38
	v_ashrrev_i32_e32 v4, 31, v3
	v_lshlrev_b64 v[1:2], 2, v[1:2]
	s_lshl_b32 s2, s14, 3
	v_add_nc_u32_e32 v66, s12, v66
	s_ashr_i32 s3, s2, 31
	v_lshlrev_b64 v[3:4], 2, v[3:4]
	s_lshl_b64 s[2:3], s[2:3], 2
	v_add_co_u32 v1, vcc_lo, s36, v1
	v_add_co_ci_u32_e32 v2, vcc_lo, s35, v2, vcc_lo
	s_delay_alu instid0(VALU_DEP_3) | instskip(NEXT) | instid1(VALU_DEP_4)
	v_add_co_u32 v3, vcc_lo, s36, v3
	v_add_co_ci_u32_e32 v4, vcc_lo, s35, v4, vcc_lo
	s_clause 0x1
	global_load_b32 v5, v[1:2], off
	global_load_b32 v6, v[3:4], off
	s_add_u32 s2, s36, s2
	s_addc_u32 s3, s35, s3
	s_or_b32 s26, s12, 32
	s_delay_alu instid0(SALU_CYCLE_1) | instskip(SKIP_2) | instid1(SALU_CYCLE_1)
	s_ashr_i32 s27, s26, 5
	s_cmp_lt_i32 s26, s33
	s_cselect_b32 s26, s27, s13
	s_ashr_i32 s27, s26, 31
	s_delay_alu instid0(SALU_CYCLE_1) | instskip(NEXT) | instid1(SALU_CYCLE_1)
	s_lshl_b64 s[26:27], s[26:27], 2
	s_add_u32 s26, s36, s26
	s_addc_u32 s27, s35, s27
	s_or_b32 s28, s12, 64
	s_delay_alu instid0(SALU_CYCLE_1) | instskip(SKIP_2) | instid1(SALU_CYCLE_1)
	s_ashr_i32 s29, s28, 5
	s_cmp_lt_i32 s28, s33
	s_cselect_b32 s28, s29, s13
	s_ashr_i32 s29, s28, 31
	s_delay_alu instid0(SALU_CYCLE_1) | instskip(NEXT) | instid1(SALU_CYCLE_1)
	s_lshl_b64 s[28:29], s[28:29], 2
	;; [unrolled: 10-line block ×5, first 2 shown]
	s_add_u32 s48, s36, s28
	s_addc_u32 s49, s35, s29
	s_clause 0x5
	s_load_b32 s29, s[2:3], 0x0
	s_load_b32 s2, s[26:27], 0x0
	;; [unrolled: 1-line block ×6, first 2 shown]
	s_or_b32 s39, s12, 0xc0
	s_waitcnt vmcnt(1)
	v_mad_i64_i32 v[1:2], null, v5, s25, s[40:41]
	s_waitcnt vmcnt(0)
	v_mad_i64_i32 v[3:4], null, v6, s25, s[40:41]
	s_ashr_i32 s40, s39, 5
	s_cmp_lt_i32 s39, s33
	s_cselect_b32 s40, s40, s13
	s_delay_alu instid0(VALU_DEP_2) | instskip(NEXT) | instid1(VALU_DEP_3)
	v_add_co_u32 v1, vcc_lo, v1, v74
	v_add_co_ci_u32_e32 v2, vcc_lo, 0, v2, vcc_lo
	s_delay_alu instid0(VALU_DEP_3) | instskip(NEXT) | instid1(VALU_DEP_4)
	v_add_co_u32 v3, vcc_lo, v3, v74
	v_add_co_ci_u32_e32 v4, vcc_lo, 0, v4, vcc_lo
	s_clause 0x7
	global_load_b128 v[75:78], v[1:2], off
	global_load_b128 v[79:82], v[1:2], off offset:512
	global_load_b128 v[83:86], v[3:4], off offset:256
	global_load_b128 v[87:90], v[3:4], off offset:768
	global_load_b128 v[91:94], v[1:2], off offset:1024
	global_load_b128 v[95:98], v[1:2], off offset:1536
	global_load_b128 v[99:102], v[3:4], off offset:1280
	global_load_b128 v[103:106], v[3:4], off offset:1792
	s_ashr_i32 s41, s40, 31
	v_lshlrev_b32_e32 v1, 5, v73
	s_lshl_b64 s[40:41], s[40:41], 2
	v_cmp_gt_i32_e32 vcc_lo, 32, v68
	s_add_u32 s40, s36, s40
	s_addc_u32 s41, s35, s41
	s_or_b32 s39, s12, 0xe0
	v_lshl_or_b32 v1, v65, 9, v1
	s_ashr_i32 s42, s39, 5
	s_cmp_lt_i32 s39, s33
	s_cselect_b32 s42, s42, s13
	s_load_b32 s13, s[40:41], 0x0
	s_ashr_i32 s43, s42, 31
	s_delay_alu instid0(SALU_CYCLE_1) | instskip(NEXT) | instid1(SALU_CYCLE_1)
	s_lshl_b64 s[42:43], s[42:43], 2
	s_add_u32 s40, s36, s42
	s_addc_u32 s41, s35, s43
	s_add_u32 s30, s30, s37
	s_addc_u32 s31, s31, s38
	v_add_co_u32 v1, s30, s30, v1
	s_delay_alu instid0(VALU_DEP_1) | instskip(SKIP_3) | instid1(VALU_DEP_1)
	v_add_co_ci_u32_e64 v2, null, s31, 0, s30
	s_load_b32 s30, s[40:41], 0x0
	s_mov_b32 s36, 0
	s_waitcnt lgkmcnt(0)
	v_mad_i64_i32 v[3:4], null, s29, s25, v[1:2]
	v_mad_i64_i32 v[9:10], null, s26, s25, v[1:2]
	;; [unrolled: 1-line block ×7, first 2 shown]
	s_clause 0x5
	global_load_b128 v[49:52], v[3:4], off
	global_load_b128 v[53:56], v[3:4], off offset:16
	global_load_b128 v[41:44], v[5:6], off
	global_load_b128 v[45:48], v[5:6], off offset:16
	;; [unrolled: 2-line block ×3, first 2 shown]
	s_mov_b32 s43, s36
	s_mov_b32 s37, s36
	v_mad_i64_i32 v[61:62], null, s30, s25, v[1:2]
	s_clause 0x9
	global_load_b128 v[25:28], v[9:10], off
	global_load_b128 v[29:32], v[9:10], off offset:16
	global_load_b128 v[1:4], v[11:12], off
	global_load_b128 v[5:8], v[11:12], off offset:16
	;; [unrolled: 2-line block ×5, first 2 shown]
	s_mov_b32 s38, s36
	s_mov_b32 s39, s36
	;; [unrolled: 1-line block ×5, first 2 shown]
	v_dual_mov_b32 v109, s18 :: v_dual_mov_b32 v122, s43
	v_dual_mov_b32 v107, s16 :: v_dual_mov_b32 v120, s41
	;; [unrolled: 1-line block ×4, first 2 shown]
	v_mov_b32_e32 v117, s38
	v_mov_b32_e32 v115, s36
	s_waitcnt vmcnt(0)
	s_barrier
	buffer_gl0_inv
	v_wmma_f32_16x16x16_bf16 v[123:130], v[75:82], v[107:114], v[115:122]
	v_bfe_u32 v75, v0, 4, 1
	v_wmma_f32_16x16x16_bf16 v[115:122], v[83:90], v[107:114], v[115:122]
	v_dual_mov_b32 v83, s11 :: v_dual_mov_b32 v82, s10
	v_dual_mov_b32 v81, s9 :: v_dual_mov_b32 v80, s8
	s_delay_alu instid0(VALU_DEP_4) | instskip(SKIP_2) | instid1(VALU_DEP_3)
	v_or_b32_e32 v66, v66, v75
	v_dual_mov_b32 v79, s7 :: v_dual_mov_b32 v78, s6
	v_dual_mov_b32 v77, s5 :: v_dual_mov_b32 v76, s4
	v_or_b32_e32 v69, 4, v66
	v_or_b32_e32 v70, 6, v66
	;; [unrolled: 1-line block ×3, first 2 shown]
	v_cmp_gt_i32_e64 s2, s33, v66
	v_wmma_f32_16x16x16_bf16 v[123:130], v[91:98], v[76:83], v[123:130]
	v_cndmask_b32_e32 v67, v67, v68, vcc_lo
	v_or_b32_e32 v68, 2, v66
	v_wmma_f32_16x16x16_bf16 v[115:122], v[99:106], v[76:83], v[115:122]
	v_or_b32_e32 v72, 10, v66
	v_dual_mul_f32 v78, s24, v130 :: v_dual_mul_f32 v83, s24, v125
	v_dual_mul_f32 v92, s24, v124 :: v_dual_mul_f32 v93, s24, v123
	s_delay_alu instid0(VALU_DEP_4) | instskip(SKIP_2) | instid1(VALU_DEP_4)
	v_mul_f32_e32 v94, s24, v122
	v_cmp_gt_i32_e32 vcc_lo, s33, v68
	v_dual_mul_f32 v81, s24, v127 :: v_dual_mul_f32 v82, s24, v126
	v_cndmask_b32_e64 v93, 0xff7fffff, v93, s2
	v_cmp_gt_i32_e64 s3, s33, v69
	v_cndmask_b32_e32 v92, 0xff7fffff, v92, vcc_lo
	v_cmp_gt_i32_e64 s4, s33, v70
	v_cmp_gt_i32_e64 s5, s33, v71
	v_or_b32_e32 v84, 12, v66
	v_or_b32_e32 v85, 14, v66
	v_dual_mul_f32 v79, s24, v129 :: v_dual_mul_f32 v80, s24, v128
	v_cndmask_b32_e64 v69, 0xff7fffff, v83, s3
	v_cndmask_b32_e64 v70, 0xff7fffff, v82, s4
	;; [unrolled: 1-line block ×3, first 2 shown]
	v_cmp_gt_i32_e64 s6, s33, v72
	v_lshlrev_b32_e32 v81, 2, v67
	v_max3_f32 v82, v93, 0xff7fffff, v92
	v_or_b32_e32 v86, 16, v66
	v_or_b32_e32 v87, 18, v66
	v_cndmask_b32_e64 v72, 0xff7fffff, v80, s6
	v_cmp_gt_i32_e64 s7, s33, v84
	v_max3_f32 v69, v82, v69, v70
	v_cmp_gt_i32_e64 s8, s33, v85
	v_or_b32_e32 v88, 20, v66
	v_or_b32_e32 v89, 22, v66
	;; [unrolled: 1-line block ×6, first 2 shown]
	v_dual_mul_f32 v99, s24, v117 :: v_dual_mul_f32 v68, s24, v116
	v_mul_f32_e32 v66, s24, v115
	v_cndmask_b32_e64 v70, 0xff7fffff, v79, s7
	v_cndmask_b32_e64 v78, 0xff7fffff, v78, s8
	v_max3_f32 v69, v69, v71, v72
	v_cmp_gt_i32_e64 s9, s33, v86
	v_cmp_gt_i32_e64 s10, s33, v87
	v_dual_mul_f32 v97, s24, v119 :: v_dual_mul_f32 v98, s24, v118
	s_delay_alu instid0(VALU_DEP_4) | instskip(NEXT) | instid1(VALU_DEP_4)
	v_max3_f32 v69, v69, v70, v78
	v_cndmask_b32_e64 v66, 0xff7fffff, v66, s9
	s_delay_alu instid0(VALU_DEP_4) | instskip(SKIP_3) | instid1(VALU_DEP_4)
	v_cndmask_b32_e64 v68, 0xff7fffff, v68, s10
	v_cmp_gt_i32_e64 s11, s33, v88
	v_cmp_gt_i32_e64 s12, s33, v89
	v_dual_mul_f32 v95, s24, v121 :: v_dual_mul_f32 v96, s24, v120
	v_max3_f32 v66, v69, v66, v68
	s_delay_alu instid0(VALU_DEP_4) | instskip(NEXT) | instid1(VALU_DEP_4)
	v_cndmask_b32_e64 v70, 0xff7fffff, v99, s11
	v_cndmask_b32_e64 v71, 0xff7fffff, v98, s12
	v_cmp_gt_i32_e64 s13, s33, v90
	v_cmp_gt_i32_e64 s16, s33, v91
	;; [unrolled: 1-line block ×4, first 2 shown]
	v_max3_f32 v66, v66, v70, v71
	v_cndmask_b32_e64 v68, 0xff7fffff, v97, s13
	v_cndmask_b32_e64 v69, 0xff7fffff, v96, s16
	;; [unrolled: 1-line block ×4, first 2 shown]
	s_delay_alu instid0(VALU_DEP_3) | instskip(NEXT) | instid1(VALU_DEP_1)
	v_max3_f32 v66, v66, v68, v69
	v_max3_f32 v66, v66, v70, v71
	ds_bpermute_b32 v67, v81, v66
	s_waitcnt lgkmcnt(0)
	v_max_f32_e32 v67, v67, v67
	s_delay_alu instid0(VALU_DEP_1) | instskip(NEXT) | instid1(VALU_DEP_1)
	v_max_f32_e32 v66, v66, v67
	v_fma_f32 v69, s24, v125, -v66
	s_delay_alu instid0(VALU_DEP_1) | instskip(NEXT) | instid1(VALU_DEP_1)
	v_mul_f32_e32 v69, 0x3fb8aa3b, v69
	v_exp_f32_e32 v69, v69
	s_waitcnt_depctr 0xfff
	v_cndmask_b32_e64 v82, 0, v69, s3
	v_fma_f32 v69, s24, v130, -v66
	s_mov_b32 s3, exec_lo
	s_delay_alu instid0(VALU_DEP_1)
	v_mul_f32_e32 v69, 0x3fb8aa3b, v69
	v_fma_f32 v67, s24, v123, -v66
	v_fma_f32 v68, s24, v124, -v66
	;; [unrolled: 1-line block ×5, first 2 shown]
	s_delay_alu instid0(VALU_DEP_4) | instskip(NEXT) | instid1(VALU_DEP_4)
	v_dual_mul_f32 v67, 0x3fb8aa3b, v67 :: v_dual_mul_f32 v68, 0x3fb8aa3b, v68
	v_mul_f32_e32 v70, 0x3fb8aa3b, v70
	v_exp_f32_e32 v69, v69
	v_fma_f32 v77, s24, v119, -v66
	s_delay_alu instid0(VALU_DEP_3)
	v_exp_f32_e32 v67, v67
	v_exp_f32_e32 v68, v68
	v_mul_f32_e32 v71, 0x3fb8aa3b, v71
	v_exp_f32_e32 v70, v70
	v_mul_f32_e32 v77, 0x3fb8aa3b, v77
	v_fma_f32 v88, s24, v122, -v66
	v_cndmask_b32_e64 v87, 0, v69, s8
	s_delay_alu instid0(VALU_DEP_3) | instskip(SKIP_1) | instid1(TRANS32_DEP_3)
	v_exp_f32_e32 v77, v77
	v_cndmask_b32_e64 v80, 0, v67, s2
	v_cndmask_b32_e32 v76, 0, v68, vcc_lo
	v_fma_f32 v67, s24, v128, -v66
	v_exp_f32_e32 v71, v71
	s_delay_alu instid0(TRANS32_DEP_3) | instskip(SKIP_3) | instid1(VALU_DEP_1)
	v_cndmask_b32_e64 v84, 0, v70, s4
	v_add_f32_e32 v68, 0, v80
	v_fma_f32 v70, s24, v115, -v66
	v_dual_mul_f32 v67, 0x3fb8aa3b, v67 :: v_dual_mul_f32 v88, 0x3fb8aa3b, v88
	v_exp_f32_e32 v67, v67
	s_waitcnt_depctr 0xfff
	v_cndmask_b32_e64 v85, 0, v71, s5
	v_fma_f32 v71, s24, v116, -v66
	s_delay_alu instid0(VALU_DEP_1) | instskip(NEXT) | instid1(VALU_DEP_1)
	v_dual_add_f32 v68, v68, v76 :: v_dual_mul_f32 v71, 0x3fb8aa3b, v71
	v_add_f32_e32 v68, v68, v82
	v_cndmask_b32_e64 v86, 0, v67, s6
	s_delay_alu instid0(VALU_DEP_3) | instskip(NEXT) | instid1(VALU_DEP_2)
	v_exp_f32_e32 v71, v71
	v_add_f32_e32 v68, v68, v84
	s_delay_alu instid0(VALU_DEP_1) | instskip(NEXT) | instid1(VALU_DEP_1)
	v_dual_mul_f32 v72, 0x3fb8aa3b, v72 :: v_dual_add_f32 v67, v68, v85
	v_exp_f32_e32 v72, v72
	v_fma_f32 v68, s24, v117, -v66
	s_delay_alu instid0(VALU_DEP_1)
	v_dual_add_f32 v67, v67, v86 :: v_dual_mul_f32 v68, 0x3fb8aa3b, v68
	s_waitcnt_depctr 0xfff
	v_cndmask_b32_e64 v83, 0, v72, s7
	v_fma_f32 v72, s24, v118, -v66
	v_exp_f32_e32 v78, v68
	v_cndmask_b32_e64 v68, 0, v71, s10
	v_fma_f32 v71, s24, v121, -v66
	v_dual_add_f32 v67, v67, v83 :: v_dual_mul_f32 v70, 0x3fb8aa3b, v70
	s_delay_alu instid0(VALU_DEP_1) | instskip(NEXT) | instid1(VALU_DEP_2)
	v_add_f32_e32 v67, v67, v87
	v_exp_f32_e32 v70, v70
	s_waitcnt_depctr 0xfff
	v_cndmask_b32_e64 v69, 0, v70, s9
	v_mul_f32_e32 v72, 0x3fb8aa3b, v72
	v_fma_f32 v70, s24, v120, -v66
	s_delay_alu instid0(VALU_DEP_3) | instskip(NEXT) | instid1(VALU_DEP_3)
	v_add_f32_e32 v67, v67, v69
	v_exp_f32_e32 v72, v72
	s_delay_alu instid0(VALU_DEP_2) | instskip(SKIP_1) | instid1(VALU_DEP_3)
	v_mul_f32_e32 v79, 0x3fb8aa3b, v70
	v_cndmask_b32_e64 v70, 0, v78, s11
	v_dual_mul_f32 v78, 0x3fb8aa3b, v71 :: v_dual_add_f32 v67, v67, v68
	s_delay_alu instid0(VALU_DEP_3) | instskip(NEXT) | instid1(VALU_DEP_1)
	v_exp_f32_e32 v79, v79
	v_exp_f32_e32 v78, v78
	s_delay_alu instid0(VALU_DEP_1) | instskip(NEXT) | instid1(TRANS32_DEP_3)
	v_add_f32_e32 v67, v67, v70
	v_cndmask_b32_e64 v71, 0, v72, s12
	v_cndmask_b32_e64 v72, 0, v77, s13
	s_delay_alu instid0(VALU_DEP_2)
	v_add_f32_e32 v67, v67, v71
	s_waitcnt_depctr 0xfff
	v_cndmask_b32_e64 v77, 0, v79, s16
	v_exp_f32_e32 v79, v88
	v_and_b32_e32 v88, 31, v0
	v_cndmask_b32_e64 v78, 0, v78, s17
	v_add_f32_e32 v67, v67, v72
	s_delay_alu instid0(VALU_DEP_3) | instskip(NEXT) | instid1(VALU_DEP_2)
	v_cmp_lt_u32_e64 s2, 15, v88
	v_add_f32_e32 v67, v67, v77
	s_waitcnt_depctr 0xfff
	v_cndmask_b32_e64 v79, 0, v79, s18
	v_add_f32_e32 v67, v67, v78
	s_delay_alu instid0(VALU_DEP_1)
	v_add_f32_e32 v67, v67, v79
	ds_bpermute_b32 v81, v81, v67
	v_cmpx_gt_u32_e32 16, v88
	s_cbranch_execz .LBB1442_11
; %bb.10:
	v_mul_u32_u24_e32 v88, 0x44, v65
	s_waitcnt lgkmcnt(0)
	v_add_f32_e32 v67, v67, v81
	s_delay_alu instid0(VALU_DEP_2) | instskip(NEXT) | instid1(VALU_DEP_1)
	v_lshl_add_u32 v88, v73, 2, v88
	v_add_nc_u32_e32 v81, 0x4000, v88
	ds_store_2addr_b32 v81, v66, v67 offset1:136
.LBB1442_11:
	s_or_b32 exec_lo, exec_lo, s3
	v_lshlrev_b32_e32 v66, 2, v73
	s_waitcnt lgkmcnt(0)
	s_barrier
	buffer_gl0_inv
	v_cmp_eq_u32_e32 vcc_lo, 1, v65
	v_add_nc_u32_e32 v81, 0x4000, v66
	v_cmp_eq_u32_e64 s3, 2, v65
	v_cmp_eq_u32_e64 s5, 7, v65
	ds_load_2addr_b32 v[88:89], v81 offset1:17
	ds_load_2addr_b32 v[90:91], v81 offset0:34 offset1:51
	ds_load_2addr_b32 v[92:93], v81 offset0:68 offset1:85
	;; [unrolled: 1-line block ×4, first 2 shown]
	s_waitcnt lgkmcnt(4)
	v_max3_f32 v66, v88, 0xff7fffff, v89
	s_waitcnt lgkmcnt(3)
	s_delay_alu instid0(VALU_DEP_1) | instskip(SKIP_1) | instid1(VALU_DEP_1)
	v_max3_f32 v66, v66, v90, v91
	s_waitcnt lgkmcnt(2)
	v_max3_f32 v66, v66, v92, v93
	s_waitcnt lgkmcnt(1)
	s_delay_alu instid0(VALU_DEP_1) | instskip(NEXT) | instid1(VALU_DEP_1)
	v_max3_f32 v66, v66, v94, v95
	v_sub_f32_e32 v92, v92, v66
	s_delay_alu instid0(VALU_DEP_1) | instskip(NEXT) | instid1(VALU_DEP_1)
	v_dual_sub_f32 v67, v88, v66 :: v_dual_mul_f32 v102, 0x3fb8aa3b, v92
	v_mul_f32_e32 v67, 0x3fb8aa3b, v67
	s_delay_alu instid0(VALU_DEP_1)
	v_exp_f32_e32 v99, v67
	v_sub_f32_e32 v67, v91, v66
	v_sub_f32_e32 v98, v89, v66
	ds_load_2addr_b32 v[88:89], v81 offset0:170 offset1:187
	v_dual_mul_f32 v101, 0x3fb8aa3b, v67 :: v_dual_mul_f32 v98, 0x3fb8aa3b, v98
	s_waitcnt lgkmcnt(1)
	v_fma_f32 v67, v99, v96, 0
	s_delay_alu instid0(VALU_DEP_2) | instskip(NEXT) | instid1(VALU_DEP_2)
	v_exp_f32_e32 v101, v101
	v_exp_f32_e32 v98, v98
	s_waitcnt_depctr 0xfff
	v_fmac_f32_e32 v67, v98, v97
	v_sub_f32_e32 v90, v90, v66
	s_delay_alu instid0(VALU_DEP_1)
	v_mul_f32_e32 v100, 0x3fb8aa3b, v90
	ds_load_2addr_b32 v[90:91], v81 offset0:204 offset1:221
	v_sub_f32_e32 v96, v93, v66
	ds_load_2addr_b32 v[92:93], v81 offset0:238 offset1:255
	s_waitcnt lgkmcnt(0)
	v_exp_f32_e32 v100, v100
	s_barrier
	buffer_gl0_inv
	v_dual_fmac_f32 v67, v100, v88 :: v_dual_sub_f32 v88, v95, v66
	v_dual_sub_f32 v81, v94, v66 :: v_dual_mul_f32 v94, 0x3fb8aa3b, v96
	v_exp_f32_e32 v96, v102
	s_delay_alu instid0(VALU_DEP_2) | instskip(NEXT) | instid1(VALU_DEP_2)
	v_dual_fmac_f32 v67, v101, v89 :: v_dual_mul_f32 v88, 0x3fb8aa3b, v88
	v_mul_f32_e32 v81, 0x3fb8aa3b, v81
	s_delay_alu instid0(VALU_DEP_3) | instskip(NEXT) | instid1(VALU_DEP_2)
	v_exp_f32_e32 v94, v94
	v_exp_f32_e32 v88, v88
	s_delay_alu instid0(VALU_DEP_1)
	v_exp_f32_e32 v81, v81
	v_fmac_f32_e32 v67, v96, v90
	s_delay_alu instid0(TRANS32_DEP_3) | instid1(VALU_DEP_1)
	v_fmac_f32_e32 v67, v94, v91
	s_waitcnt_depctr 0xfff
	v_fmac_f32_e32 v67, v81, v92
	s_delay_alu instid0(VALU_DEP_1) | instskip(NEXT) | instid1(VALU_DEP_1)
	v_fmac_f32_e32 v67, v88, v93
	v_add_f32_e32 v89, 0x358637bd, v67
	s_delay_alu instid0(VALU_DEP_1) | instskip(NEXT) | instid1(VALU_DEP_1)
	v_div_scale_f32 v90, null, v89, v89, 1.0
	v_rcp_f32_e32 v91, v90
	s_waitcnt_depctr 0xfff
	v_fma_f32 v92, -v90, v91, 1.0
	s_delay_alu instid0(VALU_DEP_1) | instskip(SKIP_1) | instid1(VALU_DEP_2)
	v_dual_fmac_f32 v91, v92, v91 :: v_dual_cndmask_b32 v92, v99, v98
	v_cmp_eq_u32_e32 vcc_lo, 3, v65
	v_cndmask_b32_e64 v92, v92, v100, s3
	v_cmp_eq_u32_e64 s3, 4, v65
	s_delay_alu instid0(VALU_DEP_2) | instskip(SKIP_1) | instid1(VALU_DEP_2)
	v_cndmask_b32_e32 v92, v92, v101, vcc_lo
	v_cmp_eq_u32_e32 vcc_lo, 5, v65
	v_cndmask_b32_e64 v92, v92, v96, s3
	v_cmp_eq_u32_e64 s3, 6, v65
	s_delay_alu instid0(VALU_DEP_2) | instskip(SKIP_1) | instid1(VALU_DEP_1)
	v_cndmask_b32_e32 v92, v92, v94, vcc_lo
	v_div_scale_f32 v93, s4, 1.0, v89, 1.0
	s_mov_b32 vcc_lo, s4
	s_delay_alu instid0(VALU_DEP_2) | instskip(NEXT) | instid1(VALU_DEP_2)
	v_cndmask_b32_e64 v81, v92, v81, s3
	v_mul_f32_e32 v95, v93, v91
	s_mov_b32 s3, exec_lo
	s_delay_alu instid0(VALU_DEP_2) | instskip(NEXT) | instid1(VALU_DEP_2)
	v_cndmask_b32_e64 v81, v81, v88, s5
	v_fma_f32 v97, -v90, v95, v93
	s_delay_alu instid0(VALU_DEP_1) | instskip(NEXT) | instid1(VALU_DEP_1)
	v_fmac_f32_e32 v95, v97, v91
	v_fma_f32 v90, -v90, v95, v93
	s_delay_alu instid0(VALU_DEP_1) | instskip(NEXT) | instid1(VALU_DEP_1)
	v_div_fmas_f32 v90, v90, v91, v95
	v_div_fixup_f32 v89, v90, v89, 1.0
	s_delay_alu instid0(VALU_DEP_1) | instskip(NEXT) | instid1(VALU_DEP_1)
	v_mul_f32_e32 v81, v81, v89
	v_mul_f32_e32 v89, v81, v80
	;; [unrolled: 1-line block ×6, first 2 shown]
	v_and_b32_e32 v90, 0x7f800000, v89
	v_mul_f32_e32 v88, v81, v84
	v_mul_f32_e32 v85, v81, v82
	;; [unrolled: 1-line block ×3, first 2 shown]
                                        ; implicit-def: $vgpr76
	s_delay_alu instid0(VALU_DEP_4)
	v_cmpx_ne_u32_e32 0x7f800000, v90
	s_xor_b32 s3, exec_lo, s3
; %bb.12:
	v_bfe_u32 v76, v89, 16, 1
	s_delay_alu instid0(VALU_DEP_1)
	v_add3_u32 v76, v89, v76, 0x7fff
                                        ; implicit-def: $vgpr89
; %bb.13:
	s_and_not1_saveexec_b32 s3, s3
; %bb.14:
	v_and_b32_e32 v76, 0xffff, v89
	v_or_b32_e32 v82, 0x10000, v89
	s_delay_alu instid0(VALU_DEP_2) | instskip(NEXT) | instid1(VALU_DEP_2)
	v_cmp_eq_u32_e32 vcc_lo, 0, v76
	v_cndmask_b32_e32 v76, v82, v89, vcc_lo
; %bb.15:
	s_or_b32 exec_lo, exec_lo, s3
	v_and_b32_e32 v82, 0x7f800000, v84
	s_delay_alu instid0(VALU_DEP_1) | instskip(SKIP_1) | instid1(SALU_CYCLE_1)
	v_cmp_ne_u32_e32 vcc_lo, 0x7f800000, v82
                                        ; implicit-def: $vgpr82
	s_and_saveexec_b32 s3, vcc_lo
	s_xor_b32 s3, exec_lo, s3
; %bb.16:
	v_bfe_u32 v82, v84, 16, 1
	s_delay_alu instid0(VALU_DEP_1)
	v_add3_u32 v82, v84, v82, 0x7fff
                                        ; implicit-def: $vgpr84
; %bb.17:
	s_and_not1_saveexec_b32 s3, s3
; %bb.18:
	v_and_b32_e32 v82, 0xffff, v84
	v_or_b32_e32 v89, 0x10000, v84
	s_delay_alu instid0(VALU_DEP_2) | instskip(NEXT) | instid1(VALU_DEP_2)
	v_cmp_eq_u32_e32 vcc_lo, 0, v82
	v_cndmask_b32_e32 v82, v89, v84, vcc_lo
; %bb.19:
	s_or_b32 exec_lo, exec_lo, s3
	v_and_b32_e32 v84, 0x7f800000, v85
	s_delay_alu instid0(VALU_DEP_1) | instskip(SKIP_1) | instid1(SALU_CYCLE_1)
	v_cmp_ne_u32_e32 vcc_lo, 0x7f800000, v84
                                        ; implicit-def: $vgpr84
	s_and_saveexec_b32 s3, vcc_lo
	s_xor_b32 s3, exec_lo, s3
; %bb.20:
	v_bfe_u32 v84, v85, 16, 1
	s_delay_alu instid0(VALU_DEP_1)
	v_add3_u32 v84, v85, v84, 0x7fff
                                        ; implicit-def: $vgpr85
; %bb.21:
	s_and_not1_saveexec_b32 s3, s3
; %bb.22:
	v_and_b32_e32 v84, 0xffff, v85
	v_or_b32_e32 v89, 0x10000, v85
	s_delay_alu instid0(VALU_DEP_2) | instskip(NEXT) | instid1(VALU_DEP_2)
	v_cmp_eq_u32_e32 vcc_lo, 0, v84
	v_cndmask_b32_e32 v84, v89, v85, vcc_lo
; %bb.23:
	s_or_b32 exec_lo, exec_lo, s3
	v_and_b32_e32 v85, 0x7f800000, v88
	s_delay_alu instid0(VALU_DEP_1) | instskip(SKIP_1) | instid1(SALU_CYCLE_1)
	v_cmp_ne_u32_e32 vcc_lo, 0x7f800000, v85
                                        ; implicit-def: $vgpr85
	s_and_saveexec_b32 s3, vcc_lo
	s_xor_b32 s3, exec_lo, s3
; %bb.24:
	v_bfe_u32 v85, v88, 16, 1
	s_delay_alu instid0(VALU_DEP_1)
	v_add3_u32 v85, v88, v85, 0x7fff
                                        ; implicit-def: $vgpr88
; %bb.25:
	s_and_not1_saveexec_b32 s3, s3
; %bb.26:
	v_and_b32_e32 v85, 0xffff, v88
	v_or_b32_e32 v89, 0x10000, v88
	s_delay_alu instid0(VALU_DEP_2) | instskip(NEXT) | instid1(VALU_DEP_2)
	v_cmp_eq_u32_e32 vcc_lo, 0, v85
	v_cndmask_b32_e32 v85, v89, v88, vcc_lo
; %bb.27:
	s_or_b32 exec_lo, exec_lo, s3
	v_and_b32_e32 v88, 0x7f800000, v87
	s_delay_alu instid0(VALU_DEP_1) | instskip(SKIP_1) | instid1(SALU_CYCLE_1)
	v_cmp_ne_u32_e32 vcc_lo, 0x7f800000, v88
                                        ; implicit-def: $vgpr88
	s_and_saveexec_b32 s3, vcc_lo
	s_xor_b32 s3, exec_lo, s3
; %bb.28:
	v_bfe_u32 v88, v87, 16, 1
	s_delay_alu instid0(VALU_DEP_1)
	v_add3_u32 v88, v87, v88, 0x7fff
                                        ; implicit-def: $vgpr87
; %bb.29:
	s_and_not1_saveexec_b32 s3, s3
; %bb.30:
	v_and_b32_e32 v88, 0xffff, v87
	v_or_b32_e32 v89, 0x10000, v87
	s_delay_alu instid0(VALU_DEP_2) | instskip(NEXT) | instid1(VALU_DEP_2)
	v_cmp_eq_u32_e32 vcc_lo, 0, v88
	v_cndmask_b32_e32 v88, v89, v87, vcc_lo
; %bb.31:
	s_or_b32 exec_lo, exec_lo, s3
	v_and_b32_e32 v87, 0x7f800000, v86
	s_delay_alu instid0(VALU_DEP_1) | instskip(SKIP_1) | instid1(SALU_CYCLE_1)
	v_cmp_ne_u32_e32 vcc_lo, 0x7f800000, v87
                                        ; implicit-def: $vgpr87
	s_and_saveexec_b32 s3, vcc_lo
	s_xor_b32 s3, exec_lo, s3
; %bb.32:
	v_bfe_u32 v87, v86, 16, 1
	s_delay_alu instid0(VALU_DEP_1)
	v_add3_u32 v87, v86, v87, 0x7fff
                                        ; implicit-def: $vgpr86
; %bb.33:
	s_and_not1_saveexec_b32 s3, s3
; %bb.34:
	v_and_b32_e32 v87, 0xffff, v86
	v_or_b32_e32 v89, 0x10000, v86
	s_delay_alu instid0(VALU_DEP_2) | instskip(NEXT) | instid1(VALU_DEP_2)
	v_cmp_eq_u32_e32 vcc_lo, 0, v87
	v_cndmask_b32_e32 v87, v89, v86, vcc_lo
; %bb.35:
	s_or_b32 exec_lo, exec_lo, s3
	v_and_b32_e32 v86, 0x7f800000, v83
	s_delay_alu instid0(VALU_DEP_1) | instskip(SKIP_1) | instid1(SALU_CYCLE_1)
	v_cmp_ne_u32_e32 vcc_lo, 0x7f800000, v86
                                        ; implicit-def: $vgpr86
	s_and_saveexec_b32 s3, vcc_lo
	s_xor_b32 s3, exec_lo, s3
; %bb.36:
	v_bfe_u32 v86, v83, 16, 1
	s_delay_alu instid0(VALU_DEP_1)
	v_add3_u32 v86, v83, v86, 0x7fff
                                        ; implicit-def: $vgpr83
; %bb.37:
	s_and_not1_saveexec_b32 s3, s3
; %bb.38:
	v_and_b32_e32 v86, 0xffff, v83
	v_or_b32_e32 v89, 0x10000, v83
	s_delay_alu instid0(VALU_DEP_2) | instskip(NEXT) | instid1(VALU_DEP_2)
	v_cmp_eq_u32_e32 vcc_lo, 0, v86
	v_cndmask_b32_e32 v86, v89, v83, vcc_lo
; %bb.39:
	s_or_b32 exec_lo, exec_lo, s3
	v_and_b32_e32 v83, 0x7f800000, v80
	s_delay_alu instid0(VALU_DEP_1) | instskip(SKIP_1) | instid1(SALU_CYCLE_1)
	v_cmp_ne_u32_e32 vcc_lo, 0x7f800000, v83
                                        ; implicit-def: $vgpr83
	s_and_saveexec_b32 s3, vcc_lo
	s_xor_b32 s3, exec_lo, s3
; %bb.40:
	v_bfe_u32 v83, v80, 16, 1
	s_delay_alu instid0(VALU_DEP_1)
	v_add3_u32 v83, v80, v83, 0x7fff
                                        ; implicit-def: $vgpr80
; %bb.41:
	s_and_not1_saveexec_b32 s3, s3
; %bb.42:
	v_and_b32_e32 v83, 0xffff, v80
	v_or_b32_e32 v89, 0x10000, v80
	s_delay_alu instid0(VALU_DEP_2) | instskip(NEXT) | instid1(VALU_DEP_2)
	v_cmp_eq_u32_e32 vcc_lo, 0, v83
	v_cndmask_b32_e32 v83, v89, v80, vcc_lo
; %bb.43:
	s_or_b32 exec_lo, exec_lo, s3
	s_load_b64 s[36:37], s[0:1], 0x94
	v_lshlrev_b32_e32 v90, 4, v75
	s_delay_alu instid0(VALU_DEP_2)
	v_perm_b32 v89, v83, v86, 0x7060302
	v_mul_f32_e32 v83, v81, v69
	v_dual_mul_f32 v69, v81, v79 :: v_dual_lshlrev_b32 v80, 6, v73
	v_dual_mul_f32 v78, v81, v78 :: v_dual_lshlrev_b32 v91, 11, v65
	v_perm_b32 v88, v87, v88, 0x7060302
	v_perm_b32 v87, v85, v84, 0x7060302
	;; [unrolled: 1-line block ×3, first 2 shown]
	s_delay_alu instid0(VALU_DEP_4)
	v_or3_b32 v76, v90, v91, v80
	v_dual_mul_f32 v77, v81, v77 :: v_dual_and_b32 v84, 0x7f800000, v83
	v_mul_f32_e32 v72, v81, v72
	v_mul_f32_e32 v82, v81, v71
	;; [unrolled: 1-line block ×4, first 2 shown]
	s_mov_b32 s3, exec_lo
	ds_store_b128 v76, v[86:89]
                                        ; implicit-def: $vgpr68
	v_cmpx_ne_u32_e32 0x7f800000, v84
	s_xor_b32 s3, exec_lo, s3
; %bb.44:
	v_bfe_u32 v68, v83, 16, 1
	s_delay_alu instid0(VALU_DEP_1)
	v_add3_u32 v68, v83, v68, 0x7fff
                                        ; implicit-def: $vgpr83
; %bb.45:
	s_and_not1_saveexec_b32 s3, s3
; %bb.46:
	v_and_b32_e32 v68, 0xffff, v83
	v_or_b32_e32 v70, 0x10000, v83
	s_delay_alu instid0(VALU_DEP_2) | instskip(NEXT) | instid1(VALU_DEP_2)
	v_cmp_eq_u32_e32 vcc_lo, 0, v68
	v_cndmask_b32_e32 v68, v70, v83, vcc_lo
; %bb.47:
	s_or_b32 exec_lo, exec_lo, s3
	v_and_b32_e32 v70, 0x7f800000, v71
	s_delay_alu instid0(VALU_DEP_1) | instskip(SKIP_1) | instid1(SALU_CYCLE_1)
	v_cmp_ne_u32_e32 vcc_lo, 0x7f800000, v70
                                        ; implicit-def: $vgpr70
	s_and_saveexec_b32 s3, vcc_lo
	s_xor_b32 s3, exec_lo, s3
; %bb.48:
	v_bfe_u32 v70, v71, 16, 1
	s_delay_alu instid0(VALU_DEP_1)
	v_add3_u32 v70, v71, v70, 0x7fff
                                        ; implicit-def: $vgpr71
; %bb.49:
	s_and_not1_saveexec_b32 s3, s3
; %bb.50:
	v_and_b32_e32 v70, 0xffff, v71
	v_or_b32_e32 v81, 0x10000, v71
	s_delay_alu instid0(VALU_DEP_2) | instskip(NEXT) | instid1(VALU_DEP_2)
	v_cmp_eq_u32_e32 vcc_lo, 0, v70
	v_cndmask_b32_e32 v70, v81, v71, vcc_lo
; %bb.51:
	s_or_b32 exec_lo, exec_lo, s3
	v_and_b32_e32 v71, 0x7f800000, v79
	s_delay_alu instid0(VALU_DEP_1) | instskip(SKIP_1) | instid1(SALU_CYCLE_1)
	v_cmp_ne_u32_e32 vcc_lo, 0x7f800000, v71
                                        ; implicit-def: $vgpr71
	s_and_saveexec_b32 s3, vcc_lo
	s_xor_b32 s3, exec_lo, s3
; %bb.52:
	v_bfe_u32 v71, v79, 16, 1
	s_delay_alu instid0(VALU_DEP_1)
	v_add3_u32 v71, v79, v71, 0x7fff
                                        ; implicit-def: $vgpr79
; %bb.53:
	s_and_not1_saveexec_b32 s3, s3
; %bb.54:
	v_and_b32_e32 v71, 0xffff, v79
	v_or_b32_e32 v81, 0x10000, v79
	s_delay_alu instid0(VALU_DEP_2) | instskip(NEXT) | instid1(VALU_DEP_2)
	v_cmp_eq_u32_e32 vcc_lo, 0, v71
	v_cndmask_b32_e32 v71, v81, v79, vcc_lo
; %bb.55:
	s_or_b32 exec_lo, exec_lo, s3
	v_and_b32_e32 v79, 0x7f800000, v82
	s_delay_alu instid0(VALU_DEP_1) | instskip(SKIP_1) | instid1(SALU_CYCLE_1)
	v_cmp_ne_u32_e32 vcc_lo, 0x7f800000, v79
                                        ; implicit-def: $vgpr79
	s_and_saveexec_b32 s3, vcc_lo
	s_xor_b32 s3, exec_lo, s3
; %bb.56:
	v_bfe_u32 v79, v82, 16, 1
	s_delay_alu instid0(VALU_DEP_1)
	v_add3_u32 v79, v82, v79, 0x7fff
                                        ; implicit-def: $vgpr82
; %bb.57:
	s_and_not1_saveexec_b32 s3, s3
; %bb.58:
	v_and_b32_e32 v79, 0xffff, v82
	v_or_b32_e32 v81, 0x10000, v82
	s_delay_alu instid0(VALU_DEP_2) | instskip(NEXT) | instid1(VALU_DEP_2)
	v_cmp_eq_u32_e32 vcc_lo, 0, v79
	v_cndmask_b32_e32 v79, v81, v82, vcc_lo
; %bb.59:
	s_or_b32 exec_lo, exec_lo, s3
	v_and_b32_e32 v81, 0x7f800000, v72
	s_delay_alu instid0(VALU_DEP_1) | instskip(SKIP_1) | instid1(SALU_CYCLE_1)
	v_cmp_ne_u32_e32 vcc_lo, 0x7f800000, v81
                                        ; implicit-def: $vgpr81
	s_and_saveexec_b32 s3, vcc_lo
	s_xor_b32 s3, exec_lo, s3
; %bb.60:
	v_bfe_u32 v81, v72, 16, 1
	s_delay_alu instid0(VALU_DEP_1)
	v_add3_u32 v81, v72, v81, 0x7fff
                                        ; implicit-def: $vgpr72
; %bb.61:
	s_and_not1_saveexec_b32 s3, s3
; %bb.62:
	v_and_b32_e32 v81, 0xffff, v72
	v_or_b32_e32 v82, 0x10000, v72
	s_delay_alu instid0(VALU_DEP_2) | instskip(NEXT) | instid1(VALU_DEP_2)
	v_cmp_eq_u32_e32 vcc_lo, 0, v81
	v_cndmask_b32_e32 v81, v82, v72, vcc_lo
; %bb.63:
	s_or_b32 exec_lo, exec_lo, s3
	v_and_b32_e32 v72, 0x7f800000, v77
	s_delay_alu instid0(VALU_DEP_1) | instskip(SKIP_1) | instid1(SALU_CYCLE_1)
	v_cmp_ne_u32_e32 vcc_lo, 0x7f800000, v72
                                        ; implicit-def: $vgpr72
	s_and_saveexec_b32 s3, vcc_lo
	s_xor_b32 s3, exec_lo, s3
; %bb.64:
	v_bfe_u32 v72, v77, 16, 1
	s_delay_alu instid0(VALU_DEP_1)
	v_add3_u32 v72, v77, v72, 0x7fff
                                        ; implicit-def: $vgpr77
; %bb.65:
	s_and_not1_saveexec_b32 s3, s3
; %bb.66:
	v_and_b32_e32 v72, 0xffff, v77
	v_or_b32_e32 v82, 0x10000, v77
	s_delay_alu instid0(VALU_DEP_2) | instskip(NEXT) | instid1(VALU_DEP_2)
	v_cmp_eq_u32_e32 vcc_lo, 0, v72
	v_cndmask_b32_e32 v72, v82, v77, vcc_lo
; %bb.67:
	s_or_b32 exec_lo, exec_lo, s3
	v_and_b32_e32 v77, 0x7f800000, v78
	s_delay_alu instid0(VALU_DEP_1) | instskip(SKIP_1) | instid1(SALU_CYCLE_1)
	v_cmp_ne_u32_e32 vcc_lo, 0x7f800000, v77
                                        ; implicit-def: $vgpr77
	s_and_saveexec_b32 s3, vcc_lo
	s_xor_b32 s3, exec_lo, s3
; %bb.68:
	v_bfe_u32 v77, v78, 16, 1
	s_delay_alu instid0(VALU_DEP_1)
	v_add3_u32 v77, v78, v77, 0x7fff
                                        ; implicit-def: $vgpr78
; %bb.69:
	s_and_not1_saveexec_b32 s3, s3
; %bb.70:
	v_and_b32_e32 v77, 0xffff, v78
	v_or_b32_e32 v82, 0x10000, v78
	s_delay_alu instid0(VALU_DEP_2) | instskip(NEXT) | instid1(VALU_DEP_2)
	v_cmp_eq_u32_e32 vcc_lo, 0, v77
	v_cndmask_b32_e32 v77, v82, v78, vcc_lo
; %bb.71:
	s_or_b32 exec_lo, exec_lo, s3
	v_and_b32_e32 v78, 0x7f800000, v69
	s_delay_alu instid0(VALU_DEP_1) | instskip(SKIP_1) | instid1(SALU_CYCLE_1)
	v_cmp_ne_u32_e32 vcc_lo, 0x7f800000, v78
                                        ; implicit-def: $vgpr78
	s_and_saveexec_b32 s3, vcc_lo
	s_xor_b32 s3, exec_lo, s3
; %bb.72:
	v_bfe_u32 v78, v69, 16, 1
	s_delay_alu instid0(VALU_DEP_1)
	v_add3_u32 v78, v69, v78, 0x7fff
                                        ; implicit-def: $vgpr69
; %bb.73:
	s_and_not1_saveexec_b32 s3, s3
; %bb.74:
	v_and_b32_e32 v78, 0xffff, v69
	v_or_b32_e32 v82, 0x10000, v69
	s_delay_alu instid0(VALU_DEP_2) | instskip(NEXT) | instid1(VALU_DEP_2)
	v_cmp_eq_u32_e32 vcc_lo, 0, v78
	v_cndmask_b32_e32 v78, v82, v69, vcc_lo
; %bb.75:
	s_or_b32 exec_lo, exec_lo, s3
	s_delay_alu instid0(VALU_DEP_1)
	v_perm_b32 v86, v78, v77, 0x7060302
	v_perm_b32 v85, v72, v81, 0x7060302
	;; [unrolled: 1-line block ×4, first 2 shown]
	v_lshl_or_b32 v82, v65, 11, v80
	ds_store_b128 v76, v[83:86] offset:1024
	s_waitcnt lgkmcnt(0)
	s_barrier
	buffer_gl0_inv
	ds_load_b128 v[68:71], v82
	ds_load_b128 v[83:86], v82 offset:16
	s_waitcnt lgkmcnt(1)
	v_lshrrev_b32_e32 v65, 16, v68
	v_lshlrev_b32_e32 v78, 2, v75
	s_waitcnt lgkmcnt(0)
	v_lshrrev_b32_e32 v91, 16, v83
	v_lshrrev_b32_e32 v72, 16, v69
	;; [unrolled: 1-line block ×4, first 2 shown]
	v_cmp_eq_u32_e32 vcc_lo, 1, v78
	v_lshrrev_b32_e32 v98, 16, v85
	v_lshrrev_b32_e32 v96, 16, v71
	;; [unrolled: 1-line block ×3, first 2 shown]
	v_cndmask_b32_e32 v81, v68, v65, vcc_lo
	v_or_b32_e32 v79, 1, v78
	v_cmp_eq_u32_e64 s4, 2, v78
	v_cndmask_b32_e32 v87, v83, v91, vcc_lo
	v_cmp_eq_u32_e64 s7, 3, v78
	v_cmp_eq_u32_e64 s9, 4, v78
	v_cmp_eq_u32_e64 s3, 1, v79
	v_cndmask_b32_e64 v81, v81, v69, s4
	v_cmp_eq_u32_e64 s6, 2, v79
	v_cndmask_b32_e64 v87, v87, v84, s4
	v_cmp_eq_u32_e64 s8, 3, v79
	v_cndmask_b32_e64 v88, v68, v65, s3
	v_cndmask_b32_e64 v81, v81, v72, s7
	v_or_b32_e32 v77, 2, v78
	v_cndmask_b32_e64 v87, v87, v97, s7
	v_cndmask_b32_e64 v89, v83, v91, s3
	;; [unrolled: 1-line block ×4, first 2 shown]
	v_cmp_eq_u32_e64 s10, 5, v78
	v_cndmask_b32_e64 v87, v87, v85, s9
	v_cmp_eq_u32_e64 s11, 4, v79
	v_cndmask_b32_e64 v88, v88, v72, s8
	;; [unrolled: 2-line block ×3, first 2 shown]
	v_cndmask_b32_e64 v81, v81, v95, s10
	v_cmp_eq_u32_e64 s12, 6, v78
	v_cndmask_b32_e64 v88, v88, v70, s11
	v_cndmask_b32_e64 v87, v87, v98, s10
	v_cmp_eq_u32_e64 s13, 5, v79
	v_cndmask_b32_e64 v90, v68, v65, s5
	v_cndmask_b32_e64 v89, v89, v97, s8
	;; [unrolled: 1-line block ×3, first 2 shown]
	v_cmp_eq_u32_e64 s16, 7, v78
	v_cndmask_b32_e64 v88, v88, v95, s13
	v_cndmask_b32_e64 v87, v87, v86, s12
	v_cmp_eq_u32_e64 s17, 6, v79
	v_cmp_eq_u32_e64 s18, 2, v77
	v_cndmask_b32_e64 v89, v89, v85, s11
	v_cndmask_b32_e64 v100, v81, v96, s16
	;; [unrolled: 1-line block ×6, first 2 shown]
	v_cmp_eq_u32_e64 s19, 7, v79
	v_cmp_eq_u32_e64 s20, 3, v77
	v_cmp_eq_u32_e64 s21, 4, v77
	v_cmp_eq_u32_e64 s23, 5, v77
	v_cndmask_b32_e64 v87, v87, v84, s18
	v_cndmask_b32_e64 v102, v88, v96, s19
	;; [unrolled: 1-line block ×4, first 2 shown]
	v_or_b32_e32 v81, 3, v78
	v_cndmask_b32_e64 v93, v87, v97, s20
	v_cmp_eq_u32_e64 s25, 6, v77
	v_cndmask_b32_e64 v103, v88, v86, s17
	v_cndmask_b32_e64 v92, v89, v70, s21
	v_cmp_eq_u32_e64 s22, 1, v81
	ds_load_b128 v[87:90], v82 offset:1024
	v_cmp_eq_u32_e64 s24, 2, v81
	v_cmp_eq_u32_e64 s26, 3, v81
	v_cndmask_b32_e64 v104, v92, v95, s23
	v_cndmask_b32_e64 v65, v68, v65, s22
	v_cndmask_b32_e64 v68, v93, v85, s21
	v_cndmask_b32_e64 v83, v83, v91, s22
	ds_load_b128 v[91:94], v82 offset:1040
	v_cmp_eq_u32_e64 s27, 4, v81
	v_cndmask_b32_e64 v65, v65, v69, s24
	v_cmp_eq_u32_e64 s29, 5, v81
	v_cndmask_b32_e64 v69, v83, v84, s24
	v_cmp_eq_u32_e64 s28, 7, v77
	v_cmp_eq_u32_e64 s30, 6, v81
	v_cndmask_b32_e64 v65, v65, v72, s26
	v_cndmask_b32_e64 v72, v104, v71, s25
	;; [unrolled: 1-line block ×6, first 2 shown]
	s_waitcnt lgkmcnt(1)
	v_lshrrev_b32_e32 v84, 16, v87
	v_cndmask_b32_e64 v69, v69, v85, s27
	v_cndmask_b32_e64 v70, v72, v96, s28
	;; [unrolled: 1-line block ×4, first 2 shown]
	v_lshrrev_b32_e32 v95, 16, v88
	v_cndmask_b32_e64 v69, v69, v98, s29
	s_waitcnt lgkmcnt(0)
	v_lshrrev_b32_e32 v85, 16, v91
	v_cndmask_b32_e64 v97, v87, v84, s3
	v_cndmask_b32_e64 v65, v65, v71, s30
	;; [unrolled: 1-line block ×4, first 2 shown]
	v_cndmask_b32_e32 v72, v87, v84, vcc_lo
	v_cndmask_b32_e32 v98, v91, v85, vcc_lo
	v_cmp_eq_u32_e32 vcc_lo, 7, v81
	v_perm_b32 v70, v68, v70, 0x5040100
	v_cndmask_b32_e32 v65, v65, v96, vcc_lo
	v_cndmask_b32_e32 v69, v69, v99, vcc_lo
	v_cndmask_b32_e64 v72, v72, v88, s4
	v_cndmask_b32_e64 v86, v98, v92, s4
	v_lshrrev_b32_e32 v99, 16, v93
	v_lshrrev_b32_e32 v98, 16, v89
	s_delay_alu instid0(VALU_DEP_4) | instskip(SKIP_2) | instid1(VALU_DEP_3)
	v_cndmask_b32_e64 v71, v72, v95, s7
	v_cndmask_b32_e64 v72, v97, v88, s6
	v_lshrrev_b32_e32 v97, 16, v92
	v_cndmask_b32_e64 v71, v71, v89, s9
	s_delay_alu instid0(VALU_DEP_3) | instskip(NEXT) | instid1(VALU_DEP_3)
	v_cndmask_b32_e64 v72, v72, v95, s8
	v_cndmask_b32_e64 v86, v86, v97, s7
	s_delay_alu instid0(VALU_DEP_3) | instskip(SKIP_1) | instid1(VALU_DEP_3)
	v_cndmask_b32_e64 v96, v71, v98, s10
	v_perm_b32 v71, v69, v65, 0x5040100
	v_cndmask_b32_e64 v86, v86, v93, s9
	v_perm_b32 v69, v83, v102, 0x5040100
	v_cndmask_b32_e64 v102, v91, v85, s5
	v_cndmask_b32_e64 v72, v72, v89, s11
	v_lshrrev_b32_e32 v83, 16, v94
	v_cndmask_b32_e64 v86, v86, v99, s10
	s_delay_alu instid0(VALU_DEP_3) | instskip(SKIP_1) | instid1(VALU_DEP_3)
	v_cndmask_b32_e64 v65, v72, v98, s13
	v_cndmask_b32_e64 v72, v96, v90, s12
	v_cndmask_b32_e64 v68, v86, v94, s12
	v_cndmask_b32_e64 v86, v87, v84, s5
	v_cndmask_b32_e64 v84, v87, v84, s22
	v_cndmask_b32_e64 v87, v91, v85, s22
	v_cndmask_b32_e64 v85, v91, v85, s3
	v_lshrrev_b32_e32 v96, 16, v90
	v_cndmask_b32_e64 v86, v86, v88, s18
	v_cndmask_b32_e64 v84, v84, v88, s24
	;; [unrolled: 1-line block ×29, first 2 shown]
	v_cndmask_b32_e32 v84, v84, v96, vcc_lo
	v_cndmask_b32_e32 v86, v87, v83, vcc_lo
	v_cndmask_b32_e64 v87, v88, v83, s28
	v_cndmask_b32_e64 v88, v85, v83, s19
	v_cndmask_b32_e64 v83, v68, v83, s16
	v_perm_b32 v68, v101, v100, 0x5040100
	v_perm_b32 v86, v86, v84, 0x5040100
	v_perm_b32 v85, v87, v89, 0x5040100
	v_perm_b32 v84, v88, v65, 0x5040100
	v_perm_b32 v83, v83, v72, 0x5040100
	s_mov_b32 s3, exec_lo
	ds_store_b128 v76, v[68:71]
	ds_store_b128 v76, v[83:86] offset:1024
	v_cmpx_eq_u32_e32 0, v0
	s_cbranch_execz .LBB1442_77
; %bb.76:
	s_load_b128 s[4:7], s[0:1], 0x58
	s_mul_i32 s8, s37, s34
	v_mov_b32_e32 v65, 0
	s_add_i32 s8, s8, s15
	s_delay_alu instid0(SALU_CYCLE_1) | instskip(NEXT) | instid1(SALU_CYCLE_1)
	s_mul_i32 s8, s8, s36
	s_add_i32 s8, s8, s14
	s_delay_alu instid0(SALU_CYCLE_1) | instskip(NEXT) | instid1(SALU_CYCLE_1)
	s_ashr_i32 s9, s8, 31
	s_lshl_b64 s[8:9], s[8:9], 2
	s_waitcnt lgkmcnt(0)
	s_add_u32 s6, s6, s8
	s_addc_u32 s7, s7, s9
	s_add_u32 s4, s4, s8
	s_addc_u32 s5, s5, s9
	s_clause 0x1
	global_store_b32 v65, v66, s[6:7]
	global_store_b32 v65, v67, s[4:5]
.LBB1442_77:
	s_or_b32 exec_lo, exec_lo, s3
	s_waitcnt lgkmcnt(0)
	s_waitcnt_vscnt null, 0x0
	s_barrier
	buffer_gl0_inv
	ds_load_b128 v[83:86], v80
	ds_load_b128 v[87:90], v80 offset:16
	ds_load_b128 v[95:98], v80 offset:2064
	;; [unrolled: 1-line block ×3, first 2 shown]
	v_mov_b32_e32 v65, 0
	ds_load_b128 v[103:106], v80 offset:4112
	ds_load_b128 v[99:102], v80 offset:4096
	;; [unrolled: 1-line block ×4, first 2 shown]
	v_mov_b32_e32 v66, v65
	v_mov_b32_e32 v67, v65
	;; [unrolled: 1-line block ×7, first 2 shown]
	s_waitcnt lgkmcnt(6)
	s_delay_alu instid0(VALU_DEP_1)
	v_wmma_f32_16x16x16_bf16 v[65:72], v[49:56], v[83:90], v[65:72]
	ds_load_b128 v[53:56], v80 offset:8208
	ds_load_b128 v[49:52], v80 offset:8192
	s_waitcnt lgkmcnt(6)
	v_wmma_f32_16x16x16_bf16 v[65:72], v[41:48], v[91:98], v[65:72]
	ds_load_b128 v[45:48], v80 offset:10256
	ds_load_b128 v[41:44], v80 offset:10240
	s_waitcnt lgkmcnt(6)
	;; [unrolled: 4-line block ×4, first 2 shown]
	v_wmma_f32_16x16x16_bf16 v[65:72], v[1:8], v[49:56], v[65:72]
	s_waitcnt lgkmcnt(4)
	s_delay_alu instid0(VALU_DEP_1) | instskip(SKIP_1) | instid1(VALU_DEP_1)
	v_wmma_f32_16x16x16_bf16 v[65:72], v[9:16], v[41:48], v[65:72]
	s_waitcnt lgkmcnt(2)
	v_wmma_f32_16x16x16_bf16 v[65:72], v[17:24], v[33:40], v[65:72]
	s_waitcnt lgkmcnt(0)
	s_delay_alu instid0(VALU_DEP_1) | instskip(NEXT) | instid1(VALU_DEP_1)
	v_wmma_f32_16x16x16_bf16 v[65:72], v[57:64], v[25:32], v[65:72]
	v_and_b32_e32 v1, 0x7f800000, v65
	s_delay_alu instid0(VALU_DEP_1) | instskip(SKIP_1) | instid1(SALU_CYCLE_1)
	v_cmp_ne_u32_e32 vcc_lo, 0x7f800000, v1
                                        ; implicit-def: $vgpr1
	s_and_saveexec_b32 s3, vcc_lo
	s_xor_b32 s3, exec_lo, s3
; %bb.78:
	v_bfe_u32 v1, v65, 16, 1
	s_delay_alu instid0(VALU_DEP_1)
	v_add3_u32 v1, v65, v1, 0x7fff
; %bb.79:
	s_and_not1_saveexec_b32 s3, s3
; %bb.80:
	v_and_b32_e32 v1, 0xffff, v65
	v_or_b32_e32 v2, 0x10000, v65
	s_delay_alu instid0(VALU_DEP_2) | instskip(NEXT) | instid1(VALU_DEP_2)
	v_cmp_eq_u32_e32 vcc_lo, 0, v1
	v_cndmask_b32_e32 v1, v2, v65, vcc_lo
; %bb.81:
	s_or_b32 exec_lo, exec_lo, s3
	v_and_b32_e32 v2, 0x7f800000, v66
	s_delay_alu instid0(VALU_DEP_1) | instskip(SKIP_1) | instid1(SALU_CYCLE_1)
	v_cmp_ne_u32_e32 vcc_lo, 0x7f800000, v2
                                        ; implicit-def: $vgpr2
	s_and_saveexec_b32 s3, vcc_lo
	s_xor_b32 s3, exec_lo, s3
; %bb.82:
	v_bfe_u32 v2, v66, 16, 1
	s_delay_alu instid0(VALU_DEP_1)
	v_add3_u32 v2, v66, v2, 0x7fff
; %bb.83:
	s_and_not1_saveexec_b32 s3, s3
; %bb.84:
	v_and_b32_e32 v2, 0xffff, v66
	v_or_b32_e32 v3, 0x10000, v66
	s_delay_alu instid0(VALU_DEP_2) | instskip(NEXT) | instid1(VALU_DEP_2)
	v_cmp_eq_u32_e32 vcc_lo, 0, v2
	v_cndmask_b32_e32 v2, v3, v66, vcc_lo
; %bb.85:
	s_or_b32 exec_lo, exec_lo, s3
	v_and_b32_e32 v3, 0x7f800000, v67
	s_delay_alu instid0(VALU_DEP_1) | instskip(SKIP_1) | instid1(SALU_CYCLE_1)
	v_cmp_ne_u32_e32 vcc_lo, 0x7f800000, v3
                                        ; implicit-def: $vgpr3
	s_and_saveexec_b32 s3, vcc_lo
	s_xor_b32 s3, exec_lo, s3
; %bb.86:
	v_bfe_u32 v3, v67, 16, 1
	s_delay_alu instid0(VALU_DEP_1)
	v_add3_u32 v3, v67, v3, 0x7fff
; %bb.87:
	s_and_not1_saveexec_b32 s3, s3
; %bb.88:
	v_and_b32_e32 v3, 0xffff, v67
	v_or_b32_e32 v4, 0x10000, v67
	s_delay_alu instid0(VALU_DEP_2) | instskip(NEXT) | instid1(VALU_DEP_2)
	v_cmp_eq_u32_e32 vcc_lo, 0, v3
	v_cndmask_b32_e32 v3, v4, v67, vcc_lo
; %bb.89:
	s_or_b32 exec_lo, exec_lo, s3
	v_and_b32_e32 v4, 0x7f800000, v68
	s_delay_alu instid0(VALU_DEP_1) | instskip(SKIP_1) | instid1(SALU_CYCLE_1)
	v_cmp_ne_u32_e32 vcc_lo, 0x7f800000, v4
                                        ; implicit-def: $vgpr4
	s_and_saveexec_b32 s3, vcc_lo
	s_xor_b32 s3, exec_lo, s3
; %bb.90:
	v_bfe_u32 v4, v68, 16, 1
	s_delay_alu instid0(VALU_DEP_1)
	v_add3_u32 v4, v68, v4, 0x7fff
; %bb.91:
	s_and_not1_saveexec_b32 s3, s3
; %bb.92:
	v_and_b32_e32 v4, 0xffff, v68
	v_or_b32_e32 v5, 0x10000, v68
	s_delay_alu instid0(VALU_DEP_2) | instskip(NEXT) | instid1(VALU_DEP_2)
	v_cmp_eq_u32_e32 vcc_lo, 0, v4
	v_cndmask_b32_e32 v4, v5, v68, vcc_lo
; %bb.93:
	s_or_b32 exec_lo, exec_lo, s3
	v_and_b32_e32 v5, 0x7f800000, v69
	s_delay_alu instid0(VALU_DEP_1) | instskip(SKIP_1) | instid1(SALU_CYCLE_1)
	v_cmp_ne_u32_e32 vcc_lo, 0x7f800000, v5
                                        ; implicit-def: $vgpr5
	s_and_saveexec_b32 s3, vcc_lo
	s_xor_b32 s3, exec_lo, s3
; %bb.94:
	v_bfe_u32 v5, v69, 16, 1
	s_delay_alu instid0(VALU_DEP_1)
	v_add3_u32 v5, v69, v5, 0x7fff
; %bb.95:
	s_and_not1_saveexec_b32 s3, s3
; %bb.96:
	v_and_b32_e32 v5, 0xffff, v69
	v_or_b32_e32 v6, 0x10000, v69
	s_delay_alu instid0(VALU_DEP_2) | instskip(NEXT) | instid1(VALU_DEP_2)
	v_cmp_eq_u32_e32 vcc_lo, 0, v5
	v_cndmask_b32_e32 v5, v6, v69, vcc_lo
; %bb.97:
	s_or_b32 exec_lo, exec_lo, s3
	v_and_b32_e32 v6, 0x7f800000, v70
	s_delay_alu instid0(VALU_DEP_1) | instskip(SKIP_1) | instid1(SALU_CYCLE_1)
	v_cmp_ne_u32_e32 vcc_lo, 0x7f800000, v6
                                        ; implicit-def: $vgpr6
	s_and_saveexec_b32 s3, vcc_lo
	s_xor_b32 s3, exec_lo, s3
; %bb.98:
	v_bfe_u32 v6, v70, 16, 1
	s_delay_alu instid0(VALU_DEP_1)
	v_add3_u32 v6, v70, v6, 0x7fff
; %bb.99:
	s_and_not1_saveexec_b32 s3, s3
; %bb.100:
	v_and_b32_e32 v6, 0xffff, v70
	v_or_b32_e32 v7, 0x10000, v70
	s_delay_alu instid0(VALU_DEP_2) | instskip(NEXT) | instid1(VALU_DEP_2)
	v_cmp_eq_u32_e32 vcc_lo, 0, v6
	v_cndmask_b32_e32 v6, v7, v70, vcc_lo
; %bb.101:
	s_or_b32 exec_lo, exec_lo, s3
	v_and_b32_e32 v7, 0x7f800000, v71
	s_delay_alu instid0(VALU_DEP_1) | instskip(SKIP_1) | instid1(SALU_CYCLE_1)
	v_cmp_ne_u32_e32 vcc_lo, 0x7f800000, v7
                                        ; implicit-def: $vgpr7
	s_and_saveexec_b32 s3, vcc_lo
	s_xor_b32 s3, exec_lo, s3
; %bb.102:
	v_bfe_u32 v7, v71, 16, 1
	s_delay_alu instid0(VALU_DEP_1)
	v_add3_u32 v7, v71, v7, 0x7fff
; %bb.103:
	s_and_not1_saveexec_b32 s3, s3
; %bb.104:
	v_and_b32_e32 v7, 0xffff, v71
	v_or_b32_e32 v8, 0x10000, v71
	s_delay_alu instid0(VALU_DEP_2) | instskip(NEXT) | instid1(VALU_DEP_2)
	v_cmp_eq_u32_e32 vcc_lo, 0, v7
	v_cndmask_b32_e32 v7, v8, v71, vcc_lo
; %bb.105:
	s_or_b32 exec_lo, exec_lo, s3
	v_and_b32_e32 v8, 0x7f800000, v72
	s_delay_alu instid0(VALU_DEP_1) | instskip(SKIP_1) | instid1(SALU_CYCLE_1)
	v_cmp_ne_u32_e32 vcc_lo, 0x7f800000, v8
                                        ; implicit-def: $vgpr8
	s_and_saveexec_b32 s3, vcc_lo
	s_xor_b32 s3, exec_lo, s3
; %bb.106:
	v_bfe_u32 v8, v72, 16, 1
	s_delay_alu instid0(VALU_DEP_1)
	v_add3_u32 v8, v72, v8, 0x7fff
                                        ; implicit-def: $vgpr65_vgpr66_vgpr67_vgpr68_vgpr69_vgpr70_vgpr71_vgpr72
; %bb.107:
	s_and_not1_saveexec_b32 s3, s3
; %bb.108:
	v_and_b32_e32 v8, 0xffff, v72
	v_or_b32_e32 v9, 0x10000, v72
	s_delay_alu instid0(VALU_DEP_2) | instskip(NEXT) | instid1(VALU_DEP_2)
	v_cmp_eq_u32_e32 vcc_lo, 0, v8
	v_cndmask_b32_e32 v8, v9, v72, vcc_lo
; %bb.109:
	s_or_b32 exec_lo, exec_lo, s3
	s_delay_alu instid0(VALU_DEP_1)
	v_perm_b32 v7, v8, v7, 0x7060302
	v_perm_b32 v6, v6, v5, 0x7060302
	;; [unrolled: 1-line block ×4, first 2 shown]
	s_barrier
	buffer_gl0_inv
	v_cmp_eq_u32_e32 vcc_lo, 1, v78
	ds_store_b128 v76, v[4:7]
	s_waitcnt lgkmcnt(0)
	s_barrier
	buffer_gl0_inv
	ds_load_b128 v[1:4], v82
	ds_load_b128 v[5:8], v82 offset:16
	v_cmp_eq_u32_e64 s3, 1, v79
	v_cmp_eq_u32_e64 s4, 2, v78
	;; [unrolled: 1-line block ×5, first 2 shown]
	s_waitcnt lgkmcnt(1)
	v_lshrrev_b32_e32 v9, 16, v1
	s_waitcnt lgkmcnt(0)
	v_lshrrev_b32_e32 v13, 16, v5
	v_lshrrev_b32_e32 v10, 16, v2
	v_lshrrev_b32_e32 v14, 16, v6
	v_lshrrev_b32_e32 v11, 16, v3
	v_cndmask_b32_e64 v19, v1, v9, s3
	v_cndmask_b32_e32 v18, v5, v13, vcc_lo
	v_cndmask_b32_e64 v20, v5, v13, s3
	v_cndmask_b32_e32 v17, v1, v9, vcc_lo
	v_cmp_eq_u32_e32 vcc_lo, 2, v79
	v_lshrrev_b32_e32 v15, 16, v7
	v_cmp_eq_u32_e64 s3, 1, v77
	v_lshrrev_b32_e32 v12, 16, v4
	v_lshrrev_b32_e32 v16, 16, v8
	v_cndmask_b32_e32 v20, v20, v6, vcc_lo
	v_cndmask_b32_e64 v17, v17, v2, s4
	v_cndmask_b32_e32 v19, v19, v2, vcc_lo
	v_cndmask_b32_e64 v18, v18, v6, s4
	v_cmp_eq_u32_e32 vcc_lo, 4, v78
	v_cmp_eq_u32_e64 s4, 3, v79
	v_cndmask_b32_e64 v17, v17, v10, s5
	v_cndmask_b32_e64 v21, v1, v9, s3
	;; [unrolled: 1-line block ×5, first 2 shown]
	v_cndmask_b32_e32 v17, v17, v3, vcc_lo
	v_cndmask_b32_e64 v20, v20, v14, s4
	v_cndmask_b32_e32 v18, v18, v7, vcc_lo
	v_cmp_eq_u32_e32 vcc_lo, 4, v79
	v_cmp_eq_u32_e64 s4, 5, v79
	v_cmp_eq_u32_e64 s3, 2, v81
	v_cndmask_b32_e64 v21, v21, v2, s7
	v_cmp_eq_u32_e64 s5, 5, v78
	v_cndmask_b32_e32 v19, v19, v3, vcc_lo
	v_cndmask_b32_e32 v20, v20, v7, vcc_lo
	v_cmp_eq_u32_e32 vcc_lo, 6, v79
	s_delay_alu instid0(VALU_DEP_4) | instskip(NEXT) | instid1(VALU_DEP_4)
	v_cndmask_b32_e64 v17, v17, v11, s5
	v_cndmask_b32_e64 v19, v19, v11, s4
	s_delay_alu instid0(VALU_DEP_4) | instskip(SKIP_1) | instid1(VALU_DEP_3)
	v_cndmask_b32_e64 v20, v20, v15, s4
	v_cmp_eq_u32_e64 s4, 1, v81
	v_cndmask_b32_e32 v19, v19, v4, vcc_lo
	v_cndmask_b32_e64 v18, v18, v15, s5
	s_delay_alu instid0(VALU_DEP_3)
	v_cndmask_b32_e64 v1, v1, v9, s4
	v_cndmask_b32_e64 v5, v5, v13, s4
	v_cmp_eq_u32_e64 s4, 3, v77
	v_cndmask_b32_e64 v13, v22, v6, s7
	v_cmp_eq_u32_e64 s7, 3, v81
	v_cndmask_b32_e64 v1, v1, v2, s3
	v_cndmask_b32_e64 v2, v5, v6, s3
	;; [unrolled: 1-line block ×3, first 2 shown]
	v_cmp_eq_u32_e64 s3, 4, v77
	v_cndmask_b32_e64 v6, v13, v14, s4
	v_cndmask_b32_e64 v1, v1, v10, s7
	v_cmp_eq_u32_e64 s4, 4, v81
	v_cndmask_b32_e64 v2, v2, v14, s7
	v_cndmask_b32_e64 v5, v9, v3, s3
	;; [unrolled: 3-line block ×3, first 2 shown]
	v_cndmask_b32_e64 v2, v2, v7, s4
	v_cmp_eq_u32_e64 s3, 5, v81
	v_cndmask_b32_e64 v5, v5, v11, s7
	v_cndmask_b32_e64 v3, v6, v15, s7
	v_cmp_eq_u32_e64 s7, 6, v81
	v_cmp_eq_u32_e64 s5, 6, v78
	v_cndmask_b32_e64 v1, v1, v11, s3
	v_cndmask_b32_e64 v2, v2, v15, s3
	v_cmp_eq_u32_e64 s4, 6, v77
	v_cmp_eq_u32_e64 s3, 7, v81
	v_cndmask_b32_e64 v17, v17, v4, s5
	v_cndmask_b32_e64 v1, v1, v4, s7
	;; [unrolled: 1-line block ×4, first 2 shown]
	v_cmp_eq_u32_e64 s5, 7, v78
	v_cndmask_b32_e64 v5, v5, v4, s4
	v_cndmask_b32_e64 v3, v3, v8, s4
	v_cmp_eq_u32_e64 s4, 7, v77
	v_cndmask_b32_e32 v4, v20, v8, vcc_lo
	v_cndmask_b32_e64 v1, v1, v12, s3
	v_cndmask_b32_e64 v2, v2, v16, s3
	v_cmp_lt_u32_e32 vcc_lo, 31, v0
	v_cmp_lt_u32_e64 s3, 7, v73
	v_cndmask_b32_e64 v17, v17, v12, s5
	v_cndmask_b32_e64 v19, v19, v12, s6
	;; [unrolled: 1-line block ×6, first 2 shown]
	s_or_b32 s3, vcc_lo, s3
	v_perm_b32 v4, v2, v1, 0x5040100
	v_perm_b32 v3, v3, v5, 0x5040100
	;; [unrolled: 1-line block ×4, first 2 shown]
	s_or_b32 s2, s2, s3
	s_delay_alu instid0(SALU_CYCLE_1)
	s_xor_b32 s2, s2, -1
	ds_store_b128 v76, v[1:4]
	s_waitcnt lgkmcnt(0)
	s_barrier
	buffer_gl0_inv
	s_and_saveexec_b32 s3, s2
	s_cbranch_execz .LBB1442_2
; %bb.110:
	s_load_b64 s[0:1], s[0:1], 0x68
	v_lshlrev_b32_e32 v1, 10, v0
	v_and_b32_e32 v0, 1, v0
	v_lshlrev_b32_e32 v2, 6, v75
	s_lshl_b32 s4, s36, 6
	s_delay_alu instid0(VALU_DEP_3) | instskip(NEXT) | instid1(VALU_DEP_3)
	v_and_b32_e32 v1, 0x3800, v1
	v_lshlrev_b32_e32 v0, 4, v0
	s_mul_i32 s2, s4, s34
	s_delay_alu instid0(SALU_CYCLE_1) | instskip(NEXT) | instid1(VALU_DEP_1)
	s_mul_i32 s2, s2, s37
	v_or3_b32 v0, v1, v2, v0
	s_ashr_i32 s3, s2, 31
	s_delay_alu instid0(SALU_CYCLE_1)
	s_lshl_b64 s[2:3], s[2:3], 1
	ds_load_b128 v[0:3], v0
	s_waitcnt lgkmcnt(0)
	s_add_u32 s5, s0, s2
	s_addc_u32 s3, s1, s3
	s_lshl_b32 s0, s14, 6
	s_mul_i32 s2, s4, s15
	s_ashr_i32 s1, s0, 31
	s_delay_alu instid0(SALU_CYCLE_1) | instskip(NEXT) | instid1(SALU_CYCLE_1)
	s_lshl_b64 s[0:1], s[0:1], 1
	s_add_u32 s4, s5, s0
	s_addc_u32 s5, s3, s1
	s_ashr_i32 s3, s2, 31
	s_delay_alu instid0(SALU_CYCLE_1) | instskip(NEXT) | instid1(SALU_CYCLE_1)
	s_lshl_b64 s[0:1], s[2:3], 1
	s_add_u32 s0, s4, s0
	s_addc_u32 s1, s5, s1
	global_store_b128 v74, v[0:3], s[0:1]
	s_nop 0
	s_sendmsg sendmsg(MSG_DEALLOC_VGPRS)
	s_endpgm
	.section	.rodata,"a",@progbits
	.p2align	6, 0x0
	.amdhsa_kernel _Z39paged_attention_ll4mi_QKV_mfma16_kernelI14__hip_bfloat16hLN4vllm18Fp8KVCacheDataTypeE1EhLi32ELi64ELi256ELb1ELi1EL8MFMAType1EEvPKT_PKT0_S9_ifPKiSB_SB_iPKfiiiPfSE_PS4_PT2_iSD_SD_
		.amdhsa_group_segment_fixed_size 17472
		.amdhsa_private_segment_fixed_size 0
		.amdhsa_kernarg_size 400
		.amdhsa_user_sgpr_count 13
		.amdhsa_user_sgpr_dispatch_ptr 0
		.amdhsa_user_sgpr_queue_ptr 0
		.amdhsa_user_sgpr_kernarg_segment_ptr 1
		.amdhsa_user_sgpr_dispatch_id 0
		.amdhsa_user_sgpr_private_segment_size 0
		.amdhsa_wavefront_size32 1
		.amdhsa_uses_dynamic_stack 0
		.amdhsa_enable_private_segment 0
		.amdhsa_system_sgpr_workgroup_id_x 1
		.amdhsa_system_sgpr_workgroup_id_y 1
		.amdhsa_system_sgpr_workgroup_id_z 1
		.amdhsa_system_sgpr_workgroup_info 0
		.amdhsa_system_vgpr_workitem_id 0
		.amdhsa_next_free_vgpr 131
		.amdhsa_next_free_sgpr 50
		.amdhsa_reserve_vcc 1
		.amdhsa_float_round_mode_32 0
		.amdhsa_float_round_mode_16_64 0
		.amdhsa_float_denorm_mode_32 3
		.amdhsa_float_denorm_mode_16_64 3
		.amdhsa_dx10_clamp 1
		.amdhsa_ieee_mode 1
		.amdhsa_fp16_overflow 0
		.amdhsa_workgroup_processor_mode 1
		.amdhsa_memory_ordered 1
		.amdhsa_forward_progress 0
		.amdhsa_shared_vgpr_count 0
		.amdhsa_exception_fp_ieee_invalid_op 0
		.amdhsa_exception_fp_denorm_src 0
		.amdhsa_exception_fp_ieee_div_zero 0
		.amdhsa_exception_fp_ieee_overflow 0
		.amdhsa_exception_fp_ieee_underflow 0
		.amdhsa_exception_fp_ieee_inexact 0
		.amdhsa_exception_int_div_zero 0
	.end_amdhsa_kernel
	.section	.text._Z39paged_attention_ll4mi_QKV_mfma16_kernelI14__hip_bfloat16hLN4vllm18Fp8KVCacheDataTypeE1EhLi32ELi64ELi256ELb1ELi1EL8MFMAType1EEvPKT_PKT0_S9_ifPKiSB_SB_iPKfiiiPfSE_PS4_PT2_iSD_SD_,"axG",@progbits,_Z39paged_attention_ll4mi_QKV_mfma16_kernelI14__hip_bfloat16hLN4vllm18Fp8KVCacheDataTypeE1EhLi32ELi64ELi256ELb1ELi1EL8MFMAType1EEvPKT_PKT0_S9_ifPKiSB_SB_iPKfiiiPfSE_PS4_PT2_iSD_SD_,comdat
.Lfunc_end1442:
	.size	_Z39paged_attention_ll4mi_QKV_mfma16_kernelI14__hip_bfloat16hLN4vllm18Fp8KVCacheDataTypeE1EhLi32ELi64ELi256ELb1ELi1EL8MFMAType1EEvPKT_PKT0_S9_ifPKiSB_SB_iPKfiiiPfSE_PS4_PT2_iSD_SD_, .Lfunc_end1442-_Z39paged_attention_ll4mi_QKV_mfma16_kernelI14__hip_bfloat16hLN4vllm18Fp8KVCacheDataTypeE1EhLi32ELi64ELi256ELb1ELi1EL8MFMAType1EEvPKT_PKT0_S9_ifPKiSB_SB_iPKfiiiPfSE_PS4_PT2_iSD_SD_
                                        ; -- End function
	.section	.AMDGPU.csdata,"",@progbits
; Kernel info:
; codeLenInByte = 8428
; NumSgprs: 52
; NumVgprs: 131
; ScratchSize: 0
; MemoryBound: 1
; FloatMode: 240
; IeeeMode: 1
; LDSByteSize: 17472 bytes/workgroup (compile time only)
; SGPRBlocks: 6
; VGPRBlocks: 16
; NumSGPRsForWavesPerEU: 52
; NumVGPRsForWavesPerEU: 131
; Occupancy: 10
; WaveLimiterHint : 1
; COMPUTE_PGM_RSRC2:SCRATCH_EN: 0
; COMPUTE_PGM_RSRC2:USER_SGPR: 13
; COMPUTE_PGM_RSRC2:TRAP_HANDLER: 0
; COMPUTE_PGM_RSRC2:TGID_X_EN: 1
; COMPUTE_PGM_RSRC2:TGID_Y_EN: 1
; COMPUTE_PGM_RSRC2:TGID_Z_EN: 1
; COMPUTE_PGM_RSRC2:TIDIG_COMP_CNT: 0
	.section	.text._Z39paged_attention_ll4mi_QKV_mfma16_kernelI14__hip_bfloat16hLN4vllm18Fp8KVCacheDataTypeE1EhLi32ELi64ELi256ELb1ELi2EL8MFMAType1EEvPKT_PKT0_S9_ifPKiSB_SB_iPKfiiiPfSE_PS4_PT2_iSD_SD_,"axG",@progbits,_Z39paged_attention_ll4mi_QKV_mfma16_kernelI14__hip_bfloat16hLN4vllm18Fp8KVCacheDataTypeE1EhLi32ELi64ELi256ELb1ELi2EL8MFMAType1EEvPKT_PKT0_S9_ifPKiSB_SB_iPKfiiiPfSE_PS4_PT2_iSD_SD_,comdat
	.protected	_Z39paged_attention_ll4mi_QKV_mfma16_kernelI14__hip_bfloat16hLN4vllm18Fp8KVCacheDataTypeE1EhLi32ELi64ELi256ELb1ELi2EL8MFMAType1EEvPKT_PKT0_S9_ifPKiSB_SB_iPKfiiiPfSE_PS4_PT2_iSD_SD_ ; -- Begin function _Z39paged_attention_ll4mi_QKV_mfma16_kernelI14__hip_bfloat16hLN4vllm18Fp8KVCacheDataTypeE1EhLi32ELi64ELi256ELb1ELi2EL8MFMAType1EEvPKT_PKT0_S9_ifPKiSB_SB_iPKfiiiPfSE_PS4_PT2_iSD_SD_
	.globl	_Z39paged_attention_ll4mi_QKV_mfma16_kernelI14__hip_bfloat16hLN4vllm18Fp8KVCacheDataTypeE1EhLi32ELi64ELi256ELb1ELi2EL8MFMAType1EEvPKT_PKT0_S9_ifPKiSB_SB_iPKfiiiPfSE_PS4_PT2_iSD_SD_
	.p2align	8
	.type	_Z39paged_attention_ll4mi_QKV_mfma16_kernelI14__hip_bfloat16hLN4vllm18Fp8KVCacheDataTypeE1EhLi32ELi64ELi256ELb1ELi2EL8MFMAType1EEvPKT_PKT0_S9_ifPKiSB_SB_iPKfiiiPfSE_PS4_PT2_iSD_SD_,@function
_Z39paged_attention_ll4mi_QKV_mfma16_kernelI14__hip_bfloat16hLN4vllm18Fp8KVCacheDataTypeE1EhLi32ELi64ELi256ELb1ELi2EL8MFMAType1EEvPKT_PKT0_S9_ifPKiSB_SB_iPKfiiiPfSE_PS4_PT2_iSD_SD_: ; @_Z39paged_attention_ll4mi_QKV_mfma16_kernelI14__hip_bfloat16hLN4vllm18Fp8KVCacheDataTypeE1EhLi32ELi64ELi256ELb1ELi2EL8MFMAType1EEvPKT_PKT0_S9_ifPKiSB_SB_iPKfiiiPfSE_PS4_PT2_iSD_SD_
; %bb.0:
	s_load_b64 s[2:3], s[0:1], 0x30
	s_mov_b32 s30, s13
	s_waitcnt lgkmcnt(0)
	s_cmp_lg_u64 s[2:3], 0
	s_cselect_b32 s8, -1, 0
	s_ashr_i32 s31, s13, 31
	s_cmp_eq_u64 s[2:3], 0
	s_cbranch_scc1 .LBB1443_3
; %bb.1:
	s_lshl_b64 s[4:5], s[30:31], 2
	s_delay_alu instid0(SALU_CYCLE_1) | instskip(SKIP_4) | instid1(SALU_CYCLE_1)
	s_add_u32 s4, s2, s4
	s_addc_u32 s5, s3, s5
	s_load_b64 s[4:5], s[4:5], 0x0
	s_waitcnt lgkmcnt(0)
	s_sub_i32 s4, s5, s4
	s_cmp_eq_u32 s4, 1
	s_cselect_b32 s4, -1, 0
	s_delay_alu instid0(SALU_CYCLE_1)
	s_and_not1_b32 vcc_lo, exec_lo, s4
	s_cbranch_vccz .LBB1443_4
.LBB1443_2:
	s_endpgm
.LBB1443_3:
.LBB1443_4:
	s_load_b64 s[4:5], s[0:1], 0x28
	s_lshl_b64 s[6:7], s[30:31], 2
	s_waitcnt lgkmcnt(0)
	s_add_u32 s4, s4, s6
	s_addc_u32 s5, s5, s7
	s_lshl_b32 s12, s14, 8
	s_load_b32 s24, s[4:5], 0x0
	s_waitcnt lgkmcnt(0)
	s_cmp_ge_i32 s12, s24
	s_cbranch_scc1 .LBB1443_2
; %bb.5:
	s_clause 0x1
	s_load_b128 s[20:23], s[0:1], 0x8
	s_load_b64 s[4:5], s[0:1], 0x20
	s_and_not1_b32 vcc_lo, exec_lo, s8
	s_cbranch_vccnz .LBB1443_7
; %bb.6:
	s_add_u32 s2, s2, s6
	s_addc_u32 s3, s3, s7
	s_load_b32 s3, s[2:3], 0x0
	s_branch .LBB1443_8
.LBB1443_7:
	s_mov_b32 s3, s30
.LBB1443_8:
	s_load_b128 s[16:19], s[0:1], 0x48
	v_and_b32_e32 v66, 15, v0
	v_bfe_u32 v65, v0, 4, 1
	s_lshl_b32 s31, s15, 1
	v_cmp_gt_u32_e32 vcc_lo, 32, v0
	v_and_b32_e32 v68, 31, v0
	v_lshlrev_b32_e32 v1, 3, v66
	v_cmp_gt_u32_e64 s2, 8, v66
	v_and_b32_e32 v76, 1, v0
	v_or_b32_e32 v75, s31, v65
	v_lshlrev_b32_e32 v74, 6, v65
	v_lshlrev_b32_e32 v73, 1, v1
	s_and_b32 s29, vcc_lo, s2
	s_delay_alu instid0(SALU_CYCLE_1)
	s_and_saveexec_b32 s2, s29
	s_cbranch_execz .LBB1443_10
; %bb.9:
	s_load_b64 s[6:7], s[0:1], 0x0
	v_lshlrev_b32_e32 v1, 6, v75
	s_waitcnt lgkmcnt(0)
	s_mul_hi_i32 s9, s3, s16
	s_mul_i32 s8, s3, s16
	v_lshlrev_b32_e32 v5, 10, v66
	s_lshl_b64 s[8:9], s[8:9], 1
	v_ashrrev_i32_e32 v2, 31, v1
	v_lshlrev_b32_e32 v6, 10, v76
	s_delay_alu instid0(VALU_DEP_3) | instskip(NEXT) | instid1(VALU_DEP_3)
	v_and_b32_e32 v5, 0x3800, v5
	v_lshlrev_b64 v[1:2], 1, v[1:2]
	s_delay_alu instid0(VALU_DEP_2) | instskip(SKIP_2) | instid1(VALU_DEP_2)
	v_or3_b32 v5, v5, v6, v74
	s_add_u32 s3, s6, s8
	s_addc_u32 s6, s7, s9
	v_add_co_u32 v1, vcc_lo, s3, v1
	s_delay_alu instid0(VALU_DEP_3) | instskip(NEXT) | instid1(VALU_DEP_2)
	v_add_co_ci_u32_e32 v2, vcc_lo, s6, v2, vcc_lo
	v_add_co_u32 v1, vcc_lo, v1, v73
	s_delay_alu instid0(VALU_DEP_2)
	v_add_co_ci_u32_e32 v2, vcc_lo, 0, v2, vcc_lo
	global_load_b128 v[1:4], v[1:2], off
	s_waitcnt vmcnt(0)
	ds_store_b128 v5, v[1:4]
.LBB1443_10:
	s_or_b32 exec_lo, exec_lo, s2
	v_and_b32_e32 v1, 0xef, v0
	s_add_i32 s2, s24, 31
	s_waitcnt lgkmcnt(0)
	s_clause 0x1
	s_load_b32 s3, s[0:1], 0x38
	s_load_b32 s19, s[0:1], 0x1c
	s_ashr_i32 s6, s2, 31
	v_add_nc_u32_e32 v1, s12, v1
	s_lshr_b32 s6, s6, 27
	s_waitcnt lgkmcnt(0)
	s_add_i32 s2, s2, s6
	s_barrier
	v_ashrrev_i32_e32 v2, 31, v1
	v_or_b32_e32 v3, 16, v1
	s_ashr_i32 s2, s2, 5
	v_cmp_gt_i32_e32 vcc_lo, s24, v1
	s_add_i32 s2, s2, -1
	v_lshrrev_b32_e32 v2, 27, v2
	buffer_gl0_inv
	s_mul_i32 s27, s15, s18
	v_lshrrev_b32_e32 v67, 5, v0
	v_add_nc_u32_e32 v4, v1, v2
	s_mul_i32 s6, s30, s3
	s_delay_alu instid0(SALU_CYCLE_1) | instskip(NEXT) | instid1(VALU_DEP_1)
	s_ashr_i32 s7, s6, 31
	v_ashrrev_i32_e32 v4, 5, v4
	v_add_nc_u32_e32 v2, v3, v2
	s_lshl_b64 s[6:7], s[6:7], 2
	s_delay_alu instid0(SALU_CYCLE_1) | instskip(NEXT) | instid1(VALU_DEP_2)
	s_add_u32 s26, s4, s6
	v_cndmask_b32_e32 v1, s2, v4, vcc_lo
	s_delay_alu instid0(VALU_DEP_2)
	v_ashrrev_i32_e32 v2, 5, v2
	v_cmp_gt_i32_e32 vcc_lo, s24, v3
	s_addc_u32 s25, s5, s7
	s_ashr_i32 s28, s27, 31
	s_add_u32 s4, s20, s27
	s_addc_u32 s5, s21, s28
	v_cndmask_b32_e32 v3, s2, v2, vcc_lo
	v_ashrrev_i32_e32 v2, 31, v1
	s_lshl_b32 s6, s14, 3
	s_delay_alu instid0(SALU_CYCLE_1) | instskip(NEXT) | instid1(VALU_DEP_2)
	s_ashr_i32 s7, s6, 31
	v_ashrrev_i32_e32 v4, 31, v3
	s_delay_alu instid0(VALU_DEP_2) | instskip(SKIP_1) | instid1(SALU_CYCLE_1)
	v_lshlrev_b64 v[1:2], 2, v[1:2]
	s_lshl_b64 s[6:7], s[6:7], 2
	s_add_u32 s6, s26, s6
	s_delay_alu instid0(VALU_DEP_2) | instskip(SKIP_1) | instid1(VALU_DEP_2)
	v_lshlrev_b64 v[3:4], 2, v[3:4]
	s_addc_u32 s7, s25, s7
	v_add_co_u32 v1, vcc_lo, s26, v1
	v_add_co_ci_u32_e32 v2, vcc_lo, s25, v2, vcc_lo
	s_delay_alu instid0(VALU_DEP_3) | instskip(NEXT) | instid1(VALU_DEP_4)
	v_add_co_u32 v3, vcc_lo, s26, v3
	v_add_co_ci_u32_e32 v4, vcc_lo, s25, v4, vcc_lo
	s_clause 0x1
	global_load_b32 v5, v[1:2], off
	global_load_b32 v6, v[3:4], off
	s_or_b32 s3, s12, 32
	s_delay_alu instid0(SALU_CYCLE_1) | instskip(SKIP_2) | instid1(SALU_CYCLE_1)
	s_ashr_i32 s8, s3, 5
	s_cmp_lt_i32 s3, s24
	s_cselect_b32 s8, s8, s2
	s_ashr_i32 s9, s8, 31
	s_delay_alu instid0(SALU_CYCLE_1) | instskip(NEXT) | instid1(SALU_CYCLE_1)
	s_lshl_b64 s[8:9], s[8:9], 2
	s_add_u32 s8, s26, s8
	s_addc_u32 s9, s25, s9
	s_or_b32 s3, s12, 64
	s_delay_alu instid0(SALU_CYCLE_1) | instskip(SKIP_2) | instid1(SALU_CYCLE_1)
	s_ashr_i32 s10, s3, 5
	s_cmp_lt_i32 s3, s24
	s_cselect_b32 s10, s10, s2
	s_ashr_i32 s11, s10, 31
	s_delay_alu instid0(SALU_CYCLE_1) | instskip(NEXT) | instid1(SALU_CYCLE_1)
	s_lshl_b64 s[10:11], s[10:11], 2
	s_add_u32 s10, s26, s10
	s_addc_u32 s11, s25, s11
	;; [unrolled: 10-line block ×5, first 2 shown]
	s_clause 0x5
	s_load_b32 s20, s[6:7], 0x0
	s_load_b32 s3, s[8:9], 0x0
	;; [unrolled: 1-line block ×6, first 2 shown]
	s_or_b32 s6, s12, 0xc0
	s_delay_alu instid0(SALU_CYCLE_1) | instskip(SKIP_2) | instid1(SALU_CYCLE_1)
	s_ashr_i32 s7, s6, 5
	s_cmp_lt_i32 s6, s24
	s_cselect_b32 s10, s7, s2
	s_ashr_i32 s11, s10, 31
	s_delay_alu instid0(SALU_CYCLE_1) | instskip(NEXT) | instid1(SALU_CYCLE_1)
	s_lshl_b64 s[10:11], s[10:11], 2
	s_add_u32 s34, s26, s10
	s_addc_u32 s35, s25, s11
	s_or_b32 s11, s12, 0xe0
	s_delay_alu instid0(SALU_CYCLE_1) | instskip(SKIP_2) | instid1(SALU_CYCLE_1)
	s_ashr_i32 s21, s11, 5
	s_cmp_lt_i32 s11, s24
	s_cselect_b32 s36, s21, s2
	s_ashr_i32 s37, s36, 31
	s_waitcnt vmcnt(1)
	v_mad_i64_i32 v[1:2], null, v5, s17, s[4:5]
	s_waitcnt vmcnt(0)
	v_mad_i64_i32 v[3:4], null, v6, s17, s[4:5]
	s_mov_b32 s4, 0
	s_delay_alu instid0(SALU_CYCLE_1)
	s_mov_b32 s5, s4
	s_mov_b32 s6, s4
	;; [unrolled: 1-line block ×7, first 2 shown]
	s_delay_alu instid0(SALU_CYCLE_1) | instskip(SKIP_2) | instid1(VALU_DEP_3)
	v_dual_mov_b32 v108, s11 :: v_dual_lshlrev_b32 v5, 4, v66
	v_dual_mov_b32 v104, s7 :: v_dual_lshlrev_b32 v71, 6, v76
	v_mov_b32_e32 v102, s5
	v_add_co_u32 v1, vcc_lo, v1, v5
	v_add_co_ci_u32_e32 v2, vcc_lo, 0, v2, vcc_lo
	v_add_co_u32 v3, vcc_lo, v3, v5
	v_add_co_ci_u32_e32 v4, vcc_lo, 0, v4, vcc_lo
	s_clause 0x7
	global_load_b128 v[49:52], v[1:2], off
	global_load_b128 v[53:56], v[1:2], off offset:512
	global_load_b128 v[77:80], v[3:4], off offset:256
	;; [unrolled: 1-line block ×7, first 2 shown]
	v_lshlrev_b32_e32 v1, 5, v66
	v_dual_mov_b32 v107, s10 :: v_dual_mov_b32 v106, s9
	v_mov_b32_e32 v105, s8
	v_mov_b32_e32 v103, s6
	;; [unrolled: 1-line block ×3, first 2 shown]
	s_lshl_b64 s[4:5], s[36:37], 2
	v_lshl_or_b32 v1, v67, 9, v1
	s_add_u32 s4, s26, s4
	s_addc_u32 s5, s25, s5
	s_load_b32 s2, s[34:35], 0x0
	ds_load_b128 v[109:112], v71
	ds_load_b128 v[113:116], v71 offset:1024
	s_load_b32 s4, s[4:5], 0x0
	s_add_u32 s6, s22, s27
	s_addc_u32 s7, s23, s28
	v_add_co_u32 v9, s6, s6, v1
	s_delay_alu instid0(VALU_DEP_1) | instskip(SKIP_1) | instid1(VALU_DEP_1)
	v_add_co_ci_u32_e64 v10, null, s7, 0, s6
	s_waitcnt lgkmcnt(0)
	v_mad_i64_i32 v[1:2], null, s20, s17, v[9:10]
	v_mad_i64_i32 v[3:4], null, s3, s17, v[9:10]
	;; [unrolled: 1-line block ×7, first 2 shown]
	s_clause 0x9
	global_load_b128 v[57:60], v[1:2], off
	global_load_b128 v[61:64], v[1:2], off offset:16
	global_load_b128 v[41:44], v[3:4], off
	global_load_b128 v[45:48], v[3:4], off offset:16
	;; [unrolled: 2-line block ×5, first 2 shown]
	v_mad_i64_i32 v[69:70], null, s4, s17, v[9:10]
	s_clause 0x3
	global_load_b128 v[9:12], v[13:14], off
	global_load_b128 v[13:16], v[13:14], off offset:16
	global_load_b128 v[17:20], v[21:22], off
	global_load_b128 v[21:24], v[21:22], off offset:16
	s_waitcnt vmcnt(20)
	v_wmma_f32_16x16x16_bf16 v[117:124], v[49:56], v[109:116], v[101:108]
	s_clause 0x1
	global_load_b128 v[49:52], v[69:70], off
	global_load_b128 v[53:56], v[69:70], off offset:16
	s_waitcnt vmcnt(20)
	v_wmma_f32_16x16x16_bf16 v[101:108], v[77:84], v[109:116], v[101:108]
	ds_load_b128 v[77:80], v71 offset:2048
	ds_load_b128 v[81:84], v71 offset:3072
	v_mbcnt_lo_u32_b32 v70, -1, 0
	s_waitcnt vmcnt(0) lgkmcnt(0)
	s_barrier
	buffer_gl0_inv
	v_xor_b32_e32 v71, 16, v70
	s_delay_alu instid0(VALU_DEP_1) | instskip(SKIP_4) | instid1(VALU_DEP_2)
	v_cmp_gt_i32_e32 vcc_lo, 32, v71
	v_cndmask_b32_e32 v70, v70, v71, vcc_lo
	v_wmma_f32_16x16x16_bf16 v[117:124], v[85:92], v[77:84], v[117:124]
	v_and_b32_e32 v69, 0xe0, v0
	v_wmma_f32_16x16x16_bf16 v[101:108], v[93:100], v[77:84], v[101:108]
	v_dual_mul_f32 v94, s19, v118 :: v_dual_add_nc_u32 v69, s12, v69
	s_delay_alu instid0(VALU_DEP_2) | instskip(SKIP_1) | instid1(VALU_DEP_3)
	v_dual_mul_f32 v96, s19, v108 :: v_dual_mul_f32 v95, s19, v117
	v_dual_mul_f32 v84, s19, v120 :: v_dual_mul_f32 v93, s19, v119
	v_or_b32_e32 v69, v69, v65
	v_dual_mul_f32 v82, s19, v122 :: v_dual_mul_f32 v83, s19, v121
	v_mul_f32_e32 v100, s19, v104
	v_mul_f32_e32 v80, s19, v124
	s_delay_alu instid0(VALU_DEP_4)
	v_or_b32_e32 v71, 2, v69
	v_or_b32_e32 v72, 4, v69
	;; [unrolled: 1-line block ×3, first 2 shown]
	v_cmp_gt_i32_e64 s2, s24, v69
	v_or_b32_e32 v110, 8, v69
	v_cmp_gt_i32_e32 vcc_lo, s24, v71
	v_or_b32_e32 v85, 10, v69
	v_cmp_gt_i32_e64 s3, s24, v72
	v_cndmask_b32_e64 v95, 0xff7fffff, v95, s2
	v_cmp_gt_i32_e64 s4, s24, v109
	v_cndmask_b32_e32 v94, 0xff7fffff, v94, vcc_lo
	v_or_b32_e32 v86, 12, v69
	v_or_b32_e32 v87, 14, v69
	v_mul_f32_e32 v72, s19, v101
	v_cndmask_b32_e64 v93, 0xff7fffff, v93, s3
	v_cndmask_b32_e64 v84, 0xff7fffff, v84, s4
	v_max3_f32 v94, v95, 0xff7fffff, v94
	v_cmp_gt_i32_e64 s5, s24, v110
	v_cmp_gt_i32_e64 s6, s24, v85
	v_or_b32_e32 v88, 16, v69
	v_or_b32_e32 v89, 18, v69
	v_dual_mul_f32 v81, s19, v123 :: v_dual_mul_f32 v98, s19, v106
	v_cndmask_b32_e64 v83, 0xff7fffff, v83, s5
	v_cndmask_b32_e64 v82, 0xff7fffff, v82, s6
	v_max3_f32 v84, v94, v93, v84
	v_cmp_gt_i32_e64 s7, s24, v86
	v_cmp_gt_i32_e64 s8, s24, v87
	v_or_b32_e32 v90, 20, v69
	v_or_b32_e32 v91, 22, v69
	;; [unrolled: 1-line block ×6, first 2 shown]
	v_mul_f32_e32 v69, s19, v102
	v_cndmask_b32_e64 v81, 0xff7fffff, v81, s7
	v_cndmask_b32_e64 v80, 0xff7fffff, v80, s8
	v_max3_f32 v82, v84, v83, v82
	v_cmp_gt_i32_e64 s9, s24, v88
	v_cmp_gt_i32_e64 s10, s24, v89
	v_mul_f32_e32 v71, s19, v103
	v_cmp_gt_i32_e64 s11, s24, v90
	v_max3_f32 v80, v82, v81, v80
	v_cndmask_b32_e64 v72, 0xff7fffff, v72, s9
	v_cndmask_b32_e64 v69, 0xff7fffff, v69, s10
	v_cmp_gt_i32_e64 s12, s24, v91
	v_mul_f32_e32 v99, s19, v105
	v_cndmask_b32_e64 v71, 0xff7fffff, v71, s11
	v_cmp_gt_i32_e64 s13, s24, v92
	v_max3_f32 v69, v80, v72, v69
	v_cndmask_b32_e64 v81, 0xff7fffff, v100, s12
	v_cmp_gt_i32_e64 s15, s24, v77
	v_mul_f32_e32 v97, s19, v107
	v_cndmask_b32_e64 v72, 0xff7fffff, v99, s13
	v_cmp_gt_i32_e64 s16, s24, v78
	v_max3_f32 v69, v69, v71, v81
	v_cndmask_b32_e64 v77, 0xff7fffff, v98, s15
	v_cmp_gt_i32_e64 s17, s24, v79
	v_lshlrev_b32_e32 v91, 2, v70
	v_cndmask_b32_e64 v71, 0xff7fffff, v97, s16
	s_delay_alu instid0(VALU_DEP_4) | instskip(NEXT) | instid1(VALU_DEP_4)
	v_max3_f32 v69, v69, v72, v77
	v_cndmask_b32_e64 v78, 0xff7fffff, v96, s17
	s_delay_alu instid0(VALU_DEP_1) | instskip(SKIP_3) | instid1(VALU_DEP_1)
	v_max3_f32 v69, v69, v71, v78
	ds_bpermute_b32 v70, v91, v69
	s_waitcnt lgkmcnt(0)
	v_max_f32_e32 v70, v70, v70
	v_max_f32_e32 v69, v69, v70
	s_delay_alu instid0(VALU_DEP_1)
	v_fma_f32 v70, s19, v117, -v69
	v_fma_f32 v71, s19, v118, -v69
	;; [unrolled: 1-line block ×5, first 2 shown]
	v_mul_f32_e32 v70, 0x3fb8aa3b, v70
	s_delay_alu instid0(VALU_DEP_3) | instskip(NEXT) | instid1(VALU_DEP_3)
	v_dual_mul_f32 v72, 0x3fb8aa3b, v72 :: v_dual_mul_f32 v77, 0x3fb8aa3b, v77
	v_mul_f32_e32 v78, 0x3fb8aa3b, v78
	s_delay_alu instid0(VALU_DEP_3) | instskip(NEXT) | instid1(VALU_DEP_2)
	v_exp_f32_e32 v70, v70
	v_exp_f32_e32 v72, v72
	s_delay_alu instid0(VALU_DEP_2) | instskip(NEXT) | instid1(VALU_DEP_1)
	v_exp_f32_e32 v79, v77
	v_exp_f32_e32 v78, v78
	v_cndmask_b32_e64 v81, 0, v70, s2
	v_fma_f32 v70, s19, v122, -v69
	v_mul_f32_e32 v71, 0x3fb8aa3b, v71
	s_delay_alu instid0(TRANS32_DEP_3)
	v_cndmask_b32_e64 v85, 0, v72, s3
	s_waitcnt_depctr 0xfff
	v_cndmask_b32_e64 v87, 0, v79, s4
	v_cndmask_b32_e64 v88, 0, v78, s5
	v_mul_f32_e32 v70, 0x3fb8aa3b, v70
	v_exp_f32_e32 v71, v71
	s_mov_b32 s2, exec_lo
	s_delay_alu instid0(VALU_DEP_1) | instskip(SKIP_4) | instid1(VALU_DEP_2)
	v_exp_f32_e32 v70, v70
	s_waitcnt_depctr 0xfff
	v_cndmask_b32_e32 v77, 0, v71, vcc_lo
	v_add_f32_e32 v71, 0, v81
	v_cndmask_b32_e64 v89, 0, v70, s6
	v_add_f32_e32 v71, v71, v77
	s_delay_alu instid0(VALU_DEP_1) | instskip(NEXT) | instid1(VALU_DEP_1)
	v_add_f32_e32 v71, v71, v85
	v_add_f32_e32 v71, v71, v87
	s_delay_alu instid0(VALU_DEP_1) | instskip(NEXT) | instid1(VALU_DEP_1)
	v_add_f32_e32 v70, v71, v88
	v_add_f32_e32 v70, v70, v89
	v_fma_f32 v72, s19, v124, -v69
	v_fma_f32 v71, s19, v103, -v69
	;; [unrolled: 1-line block ×5, first 2 shown]
	s_delay_alu instid0(VALU_DEP_4) | instskip(NEXT) | instid1(VALU_DEP_4)
	v_dual_mul_f32 v72, 0x3fb8aa3b, v72 :: v_dual_mul_f32 v71, 0x3fb8aa3b, v71
	v_mul_f32_e32 v80, 0x3fb8aa3b, v80
	v_fma_f32 v83, s19, v106, -v69
	s_delay_alu instid0(VALU_DEP_4) | instskip(NEXT) | instid1(VALU_DEP_4)
	v_mul_f32_e32 v78, 0x3fb8aa3b, v78
	v_exp_f32_e32 v72, v72
	v_exp_f32_e32 v82, v71
	;; [unrolled: 1-line block ×3, first 2 shown]
	s_delay_alu instid0(VALU_DEP_1)
	v_exp_f32_e32 v78, v78
	v_cndmask_b32_e64 v90, 0, v72, s8
	v_fma_f32 v72, s19, v105, -v69
	s_waitcnt_depctr 0xfff
	v_cndmask_b32_e64 v86, 0, v80, s7
	v_fma_f32 v80, s19, v104, -v69
	v_mul_f32_e32 v72, 0x3fb8aa3b, v72
	s_delay_alu instid0(VALU_DEP_3) | instskip(NEXT) | instid1(VALU_DEP_3)
	v_add_f32_e32 v70, v70, v86
	v_mul_f32_e32 v80, 0x3fb8aa3b, v80
	s_delay_alu instid0(VALU_DEP_3) | instskip(SKIP_2) | instid1(VALU_DEP_3)
	v_exp_f32_e32 v84, v72
	v_cndmask_b32_e64 v72, 0, v82, s11
	v_mul_f32_e32 v79, 0x3fb8aa3b, v79
	v_exp_f32_e32 v80, v80
	s_delay_alu instid0(VALU_DEP_1) | instskip(SKIP_4) | instid1(VALU_DEP_2)
	v_exp_f32_e32 v79, v79
	s_waitcnt_depctr 0xfff
	v_cndmask_b32_e64 v71, 0, v79, s9
	v_add_f32_e32 v79, v70, v90
	v_cndmask_b32_e64 v70, 0, v78, s10
	v_add_f32_e32 v78, v79, v71
	v_fma_f32 v79, s19, v107, -v69
	s_delay_alu instid0(VALU_DEP_2) | instskip(SKIP_1) | instid1(VALU_DEP_2)
	v_add_f32_e32 v82, v78, v70
	v_cndmask_b32_e64 v78, 0, v80, s12
	v_dual_mul_f32 v79, 0x3fb8aa3b, v79 :: v_dual_add_f32 v80, v82, v72
	v_fma_f32 v82, s19, v108, -v69
	v_mul_f32_e32 v83, 0x3fb8aa3b, v83
	s_delay_alu instid0(VALU_DEP_3)
	v_exp_f32_e32 v92, v79
	v_cndmask_b32_e64 v79, 0, v84, s13
	v_add_f32_e32 v84, v80, v78
	v_mul_f32_e32 v82, 0x3fb8aa3b, v82
	v_exp_f32_e32 v83, v83
	s_waitcnt_depctr 0xfff
	v_cndmask_b32_e64 v80, 0, v83, s15
	v_add_f32_e32 v83, v84, v79
	v_exp_f32_e32 v84, v82
	v_cndmask_b32_e64 v82, 0, v92, s16
	s_delay_alu instid0(VALU_DEP_2) | instskip(NEXT) | instid1(VALU_DEP_1)
	v_add_f32_e32 v83, v83, v80
	v_add_f32_e32 v92, v83, v82
	s_waitcnt_depctr 0xfff
	v_cndmask_b32_e64 v83, 0, v84, s17
	s_delay_alu instid0(VALU_DEP_1)
	v_add_f32_e32 v84, v92, v83
	ds_bpermute_b32 v91, v91, v84
	v_cmpx_gt_u32_e32 16, v68
	s_cbranch_execz .LBB1443_12
; %bb.11:
	v_mul_u32_u24_e32 v68, 0x44, v67
	s_waitcnt lgkmcnt(0)
	v_add_f32_e32 v84, v84, v91
	s_delay_alu instid0(VALU_DEP_2) | instskip(NEXT) | instid1(VALU_DEP_1)
	v_lshl_add_u32 v68, v66, 2, v68
	v_add_nc_u32_e32 v68, 0x4000, v68
	ds_store_2addr_b32 v68, v69, v84 offset1:136
.LBB1443_12:
	s_or_b32 exec_lo, exec_lo, s2
	v_lshlrev_b32_e32 v68, 2, v66
	s_waitcnt lgkmcnt(0)
	s_barrier
	buffer_gl0_inv
	v_cmp_eq_u32_e32 vcc_lo, 1, v67
	v_add_nc_u32_e32 v84, 0x4000, v68
	v_cmp_eq_u32_e64 s2, 2, v67
	v_cmp_eq_u32_e64 s4, 7, v67
	ds_load_2addr_b32 v[91:92], v84 offset1:17
	ds_load_2addr_b32 v[93:94], v84 offset0:34 offset1:51
	ds_load_2addr_b32 v[95:96], v84 offset0:68 offset1:85
	;; [unrolled: 1-line block ×4, first 2 shown]
	s_waitcnt lgkmcnt(4)
	v_max3_f32 v68, v91, 0xff7fffff, v92
	s_waitcnt lgkmcnt(3)
	s_delay_alu instid0(VALU_DEP_1) | instskip(SKIP_1) | instid1(VALU_DEP_1)
	v_max3_f32 v68, v68, v93, v94
	s_waitcnt lgkmcnt(2)
	v_max3_f32 v68, v68, v95, v96
	s_waitcnt lgkmcnt(1)
	s_delay_alu instid0(VALU_DEP_1) | instskip(NEXT) | instid1(VALU_DEP_1)
	v_max3_f32 v68, v68, v97, v98
	v_sub_f32_e32 v69, v91, v68
	v_sub_f32_e32 v93, v93, v68
	;; [unrolled: 1-line block ×3, first 2 shown]
	s_delay_alu instid0(VALU_DEP_3) | instskip(NEXT) | instid1(VALU_DEP_3)
	v_mul_f32_e32 v69, 0x3fb8aa3b, v69
	v_mul_f32_e32 v103, 0x3fb8aa3b, v93
	s_delay_alu instid0(VALU_DEP_3) | instskip(NEXT) | instid1(VALU_DEP_3)
	v_mul_f32_e32 v105, 0x3fb8aa3b, v95
	v_exp_f32_e32 v102, v69
	v_sub_f32_e32 v69, v94, v68
	v_sub_f32_e32 v101, v92, v68
	ds_load_2addr_b32 v[91:92], v84 offset0:170 offset1:187
	v_exp_f32_e32 v103, v103
	v_mul_f32_e32 v104, 0x3fb8aa3b, v69
	v_mul_f32_e32 v101, 0x3fb8aa3b, v101
	s_waitcnt lgkmcnt(1)
	v_fma_f32 v69, v102, v99, 0
	v_sub_f32_e32 v99, v96, v68
	s_delay_alu instid0(VALU_DEP_3) | instskip(SKIP_4) | instid1(VALU_DEP_1)
	v_exp_f32_e32 v101, v101
	v_exp_f32_e32 v104, v104
	s_waitcnt_depctr 0xfff
	v_fmac_f32_e32 v69, v101, v100
	s_waitcnt lgkmcnt(0)
	v_fmac_f32_e32 v69, v103, v91
	ds_load_2addr_b32 v[93:94], v84 offset0:204 offset1:221
	ds_load_2addr_b32 v[95:96], v84 offset0:238 offset1:255
	v_dual_sub_f32 v84, v97, v68 :: v_dual_mul_f32 v97, 0x3fb8aa3b, v99
	v_exp_f32_e32 v99, v105
	v_sub_f32_e32 v91, v98, v68
	v_fmac_f32_e32 v69, v104, v92
	s_delay_alu instid0(VALU_DEP_3)
	v_mul_f32_e32 v84, 0x3fb8aa3b, v84
	v_exp_f32_e32 v97, v97
	s_waitcnt lgkmcnt(0)
	v_mul_f32_e32 v91, 0x3fb8aa3b, v91
	s_barrier
	v_exp_f32_e32 v84, v84
	buffer_gl0_inv
	v_exp_f32_e32 v91, v91
	v_fmac_f32_e32 v69, v99, v93
	s_delay_alu instid0(VALU_DEP_1) | instskip(NEXT) | instid1(VALU_DEP_1)
	v_fmac_f32_e32 v69, v97, v94
	v_fmac_f32_e32 v69, v84, v95
	s_waitcnt_depctr 0xfff
	v_fmac_f32_e32 v69, v91, v96
	s_delay_alu instid0(VALU_DEP_1) | instskip(NEXT) | instid1(VALU_DEP_1)
	v_add_f32_e32 v92, 0x358637bd, v69
	v_div_scale_f32 v93, null, v92, v92, 1.0
	v_div_scale_f32 v96, s3, 1.0, v92, 1.0
	s_delay_alu instid0(VALU_DEP_2) | instskip(SKIP_2) | instid1(VALU_DEP_1)
	v_rcp_f32_e32 v94, v93
	s_waitcnt_depctr 0xfff
	v_fma_f32 v95, -v93, v94, 1.0
	v_dual_fmac_f32 v94, v95, v94 :: v_dual_cndmask_b32 v95, v102, v101
	v_cmp_eq_u32_e32 vcc_lo, 3, v67
	s_delay_alu instid0(VALU_DEP_2) | instskip(NEXT) | instid1(VALU_DEP_3)
	v_mul_f32_e32 v98, v96, v94
	v_cndmask_b32_e64 v95, v95, v103, s2
	v_cmp_eq_u32_e64 s2, 4, v67
	s_delay_alu instid0(VALU_DEP_3) | instskip(NEXT) | instid1(VALU_DEP_3)
	v_fma_f32 v100, -v93, v98, v96
	v_cndmask_b32_e32 v95, v95, v104, vcc_lo
	v_cmp_eq_u32_e32 vcc_lo, 5, v67
	s_delay_alu instid0(VALU_DEP_3) | instskip(NEXT) | instid1(VALU_DEP_3)
	v_fmac_f32_e32 v98, v100, v94
	v_cndmask_b32_e64 v95, v95, v99, s2
	v_cmp_eq_u32_e64 s2, 6, v67
	s_delay_alu instid0(VALU_DEP_3) | instskip(NEXT) | instid1(VALU_DEP_3)
	v_fma_f32 v93, -v93, v98, v96
	v_cndmask_b32_e32 v95, v95, v97, vcc_lo
	s_mov_b32 vcc_lo, s3
	s_delay_alu instid0(VALU_DEP_2) | instskip(NEXT) | instid1(VALU_DEP_2)
	v_div_fmas_f32 v93, v93, v94, v98
	v_cndmask_b32_e64 v84, v95, v84, s2
	s_mov_b32 s2, exec_lo
	s_delay_alu instid0(VALU_DEP_2) | instskip(NEXT) | instid1(VALU_DEP_2)
	v_div_fixup_f32 v92, v93, v92, 1.0
	v_cndmask_b32_e64 v84, v84, v91, s4
	s_delay_alu instid0(VALU_DEP_1) | instskip(NEXT) | instid1(VALU_DEP_1)
	v_mul_f32_e32 v84, v84, v92
	v_mul_f32_e32 v92, v84, v81
	;; [unrolled: 1-line block ×6, first 2 shown]
	v_and_b32_e32 v93, 0x7f800000, v92
	v_mul_f32_e32 v91, v84, v87
	v_mul_f32_e32 v88, v84, v85
	;; [unrolled: 1-line block ×3, first 2 shown]
                                        ; implicit-def: $vgpr77
	s_delay_alu instid0(VALU_DEP_4)
	v_cmpx_ne_u32_e32 0x7f800000, v93
	s_xor_b32 s2, exec_lo, s2
; %bb.13:
	v_bfe_u32 v77, v92, 16, 1
	s_delay_alu instid0(VALU_DEP_1)
	v_add3_u32 v77, v92, v77, 0x7fff
                                        ; implicit-def: $vgpr92
; %bb.14:
	s_and_not1_saveexec_b32 s2, s2
; %bb.15:
	v_and_b32_e32 v77, 0xffff, v92
	v_or_b32_e32 v85, 0x10000, v92
	s_delay_alu instid0(VALU_DEP_2) | instskip(NEXT) | instid1(VALU_DEP_2)
	v_cmp_eq_u32_e32 vcc_lo, 0, v77
	v_cndmask_b32_e32 v77, v85, v92, vcc_lo
; %bb.16:
	s_or_b32 exec_lo, exec_lo, s2
	v_and_b32_e32 v85, 0x7f800000, v87
	s_delay_alu instid0(VALU_DEP_1) | instskip(SKIP_1) | instid1(SALU_CYCLE_1)
	v_cmp_ne_u32_e32 vcc_lo, 0x7f800000, v85
                                        ; implicit-def: $vgpr85
	s_and_saveexec_b32 s2, vcc_lo
	s_xor_b32 s2, exec_lo, s2
; %bb.17:
	v_bfe_u32 v85, v87, 16, 1
	s_delay_alu instid0(VALU_DEP_1)
	v_add3_u32 v85, v87, v85, 0x7fff
                                        ; implicit-def: $vgpr87
; %bb.18:
	s_and_not1_saveexec_b32 s2, s2
; %bb.19:
	v_and_b32_e32 v85, 0xffff, v87
	v_or_b32_e32 v92, 0x10000, v87
	s_delay_alu instid0(VALU_DEP_2) | instskip(NEXT) | instid1(VALU_DEP_2)
	v_cmp_eq_u32_e32 vcc_lo, 0, v85
	v_cndmask_b32_e32 v85, v92, v87, vcc_lo
; %bb.20:
	s_or_b32 exec_lo, exec_lo, s2
	v_and_b32_e32 v87, 0x7f800000, v88
	s_delay_alu instid0(VALU_DEP_1) | instskip(SKIP_1) | instid1(SALU_CYCLE_1)
	v_cmp_ne_u32_e32 vcc_lo, 0x7f800000, v87
                                        ; implicit-def: $vgpr87
	s_and_saveexec_b32 s2, vcc_lo
	s_xor_b32 s2, exec_lo, s2
; %bb.21:
	v_bfe_u32 v87, v88, 16, 1
	s_delay_alu instid0(VALU_DEP_1)
	v_add3_u32 v87, v88, v87, 0x7fff
                                        ; implicit-def: $vgpr88
; %bb.22:
	s_and_not1_saveexec_b32 s2, s2
; %bb.23:
	v_and_b32_e32 v87, 0xffff, v88
	v_or_b32_e32 v92, 0x10000, v88
	s_delay_alu instid0(VALU_DEP_2) | instskip(NEXT) | instid1(VALU_DEP_2)
	v_cmp_eq_u32_e32 vcc_lo, 0, v87
	v_cndmask_b32_e32 v87, v92, v88, vcc_lo
; %bb.24:
	s_or_b32 exec_lo, exec_lo, s2
	v_and_b32_e32 v88, 0x7f800000, v91
	s_delay_alu instid0(VALU_DEP_1) | instskip(SKIP_1) | instid1(SALU_CYCLE_1)
	v_cmp_ne_u32_e32 vcc_lo, 0x7f800000, v88
                                        ; implicit-def: $vgpr88
	s_and_saveexec_b32 s2, vcc_lo
	s_xor_b32 s2, exec_lo, s2
; %bb.25:
	v_bfe_u32 v88, v91, 16, 1
	s_delay_alu instid0(VALU_DEP_1)
	v_add3_u32 v88, v91, v88, 0x7fff
                                        ; implicit-def: $vgpr91
; %bb.26:
	s_and_not1_saveexec_b32 s2, s2
; %bb.27:
	v_and_b32_e32 v88, 0xffff, v91
	v_or_b32_e32 v92, 0x10000, v91
	s_delay_alu instid0(VALU_DEP_2) | instskip(NEXT) | instid1(VALU_DEP_2)
	v_cmp_eq_u32_e32 vcc_lo, 0, v88
	v_cndmask_b32_e32 v88, v92, v91, vcc_lo
; %bb.28:
	s_or_b32 exec_lo, exec_lo, s2
	v_and_b32_e32 v91, 0x7f800000, v90
	s_delay_alu instid0(VALU_DEP_1) | instskip(SKIP_1) | instid1(SALU_CYCLE_1)
	v_cmp_ne_u32_e32 vcc_lo, 0x7f800000, v91
                                        ; implicit-def: $vgpr91
	s_and_saveexec_b32 s2, vcc_lo
	s_xor_b32 s2, exec_lo, s2
; %bb.29:
	v_bfe_u32 v91, v90, 16, 1
	s_delay_alu instid0(VALU_DEP_1)
	v_add3_u32 v91, v90, v91, 0x7fff
                                        ; implicit-def: $vgpr90
; %bb.30:
	s_and_not1_saveexec_b32 s2, s2
; %bb.31:
	v_and_b32_e32 v91, 0xffff, v90
	v_or_b32_e32 v92, 0x10000, v90
	s_delay_alu instid0(VALU_DEP_2) | instskip(NEXT) | instid1(VALU_DEP_2)
	v_cmp_eq_u32_e32 vcc_lo, 0, v91
	v_cndmask_b32_e32 v91, v92, v90, vcc_lo
; %bb.32:
	s_or_b32 exec_lo, exec_lo, s2
	v_and_b32_e32 v90, 0x7f800000, v89
	s_delay_alu instid0(VALU_DEP_1) | instskip(SKIP_1) | instid1(SALU_CYCLE_1)
	v_cmp_ne_u32_e32 vcc_lo, 0x7f800000, v90
                                        ; implicit-def: $vgpr90
	s_and_saveexec_b32 s2, vcc_lo
	s_xor_b32 s2, exec_lo, s2
; %bb.33:
	v_bfe_u32 v90, v89, 16, 1
	s_delay_alu instid0(VALU_DEP_1)
	v_add3_u32 v90, v89, v90, 0x7fff
                                        ; implicit-def: $vgpr89
; %bb.34:
	s_and_not1_saveexec_b32 s2, s2
; %bb.35:
	v_and_b32_e32 v90, 0xffff, v89
	v_or_b32_e32 v92, 0x10000, v89
	s_delay_alu instid0(VALU_DEP_2) | instskip(NEXT) | instid1(VALU_DEP_2)
	v_cmp_eq_u32_e32 vcc_lo, 0, v90
	v_cndmask_b32_e32 v90, v92, v89, vcc_lo
; %bb.36:
	s_or_b32 exec_lo, exec_lo, s2
	v_and_b32_e32 v89, 0x7f800000, v86
	s_delay_alu instid0(VALU_DEP_1) | instskip(SKIP_1) | instid1(SALU_CYCLE_1)
	v_cmp_ne_u32_e32 vcc_lo, 0x7f800000, v89
                                        ; implicit-def: $vgpr89
	s_and_saveexec_b32 s2, vcc_lo
	s_xor_b32 s2, exec_lo, s2
; %bb.37:
	v_bfe_u32 v89, v86, 16, 1
	s_delay_alu instid0(VALU_DEP_1)
	v_add3_u32 v89, v86, v89, 0x7fff
                                        ; implicit-def: $vgpr86
; %bb.38:
	s_and_not1_saveexec_b32 s2, s2
; %bb.39:
	v_and_b32_e32 v89, 0xffff, v86
	v_or_b32_e32 v92, 0x10000, v86
	s_delay_alu instid0(VALU_DEP_2) | instskip(NEXT) | instid1(VALU_DEP_2)
	v_cmp_eq_u32_e32 vcc_lo, 0, v89
	v_cndmask_b32_e32 v89, v92, v86, vcc_lo
; %bb.40:
	s_or_b32 exec_lo, exec_lo, s2
	v_and_b32_e32 v86, 0x7f800000, v81
	s_delay_alu instid0(VALU_DEP_1) | instskip(SKIP_1) | instid1(SALU_CYCLE_1)
	v_cmp_ne_u32_e32 vcc_lo, 0x7f800000, v86
                                        ; implicit-def: $vgpr86
	s_and_saveexec_b32 s2, vcc_lo
	s_xor_b32 s2, exec_lo, s2
; %bb.41:
	v_bfe_u32 v86, v81, 16, 1
	s_delay_alu instid0(VALU_DEP_1)
	v_add3_u32 v86, v81, v86, 0x7fff
                                        ; implicit-def: $vgpr81
; %bb.42:
	s_and_not1_saveexec_b32 s2, s2
; %bb.43:
	v_and_b32_e32 v86, 0xffff, v81
	v_or_b32_e32 v92, 0x10000, v81
	s_delay_alu instid0(VALU_DEP_2) | instskip(NEXT) | instid1(VALU_DEP_2)
	v_cmp_eq_u32_e32 vcc_lo, 0, v86
	v_cndmask_b32_e32 v86, v92, v81, vcc_lo
; %bb.44:
	s_or_b32 exec_lo, exec_lo, s2
	s_load_b64 s[34:35], s[0:1], 0x94
	v_lshlrev_b32_e32 v93, 4, v65
	s_delay_alu instid0(VALU_DEP_2)
	v_perm_b32 v92, v86, v89, 0x7060302
	v_dual_mul_f32 v80, v84, v80 :: v_dual_lshlrev_b32 v81, 6, v66
	v_lshlrev_b32_e32 v66, 11, v67
	v_perm_b32 v89, v85, v77, 0x7060302
	v_mul_f32_e32 v85, v84, v71
	v_mul_f32_e32 v71, v84, v82
	v_perm_b32 v91, v90, v91, 0x7060302
	v_perm_b32 v90, v88, v87, 0x7060302
	v_or3_b32 v77, v93, v66, v81
	v_mul_f32_e32 v66, v84, v83
	v_dual_mul_f32 v79, v84, v79 :: v_dual_and_b32 v86, 0x7f800000, v85
	v_mul_f32_e32 v83, v84, v78
	v_mul_f32_e32 v82, v84, v72
	;; [unrolled: 1-line block ×3, first 2 shown]
	s_mov_b32 s2, exec_lo
	ds_store_b128 v77, v[89:92]
                                        ; implicit-def: $vgpr70
	v_cmpx_ne_u32_e32 0x7f800000, v86
	s_xor_b32 s2, exec_lo, s2
; %bb.45:
	v_bfe_u32 v70, v85, 16, 1
	s_delay_alu instid0(VALU_DEP_1)
	v_add3_u32 v70, v85, v70, 0x7fff
                                        ; implicit-def: $vgpr85
; %bb.46:
	s_and_not1_saveexec_b32 s2, s2
; %bb.47:
	v_and_b32_e32 v70, 0xffff, v85
	v_or_b32_e32 v72, 0x10000, v85
	s_delay_alu instid0(VALU_DEP_2) | instskip(NEXT) | instid1(VALU_DEP_2)
	v_cmp_eq_u32_e32 vcc_lo, 0, v70
	v_cndmask_b32_e32 v70, v72, v85, vcc_lo
; %bb.48:
	s_or_b32 exec_lo, exec_lo, s2
	v_and_b32_e32 v72, 0x7f800000, v78
	s_delay_alu instid0(VALU_DEP_1) | instskip(SKIP_1) | instid1(SALU_CYCLE_1)
	v_cmp_ne_u32_e32 vcc_lo, 0x7f800000, v72
                                        ; implicit-def: $vgpr72
	s_and_saveexec_b32 s2, vcc_lo
	s_xor_b32 s2, exec_lo, s2
; %bb.49:
	v_bfe_u32 v72, v78, 16, 1
	s_delay_alu instid0(VALU_DEP_1)
	v_add3_u32 v72, v78, v72, 0x7fff
                                        ; implicit-def: $vgpr78
; %bb.50:
	s_and_not1_saveexec_b32 s2, s2
; %bb.51:
	v_and_b32_e32 v72, 0xffff, v78
	v_or_b32_e32 v84, 0x10000, v78
	s_delay_alu instid0(VALU_DEP_2) | instskip(NEXT) | instid1(VALU_DEP_2)
	v_cmp_eq_u32_e32 vcc_lo, 0, v72
	v_cndmask_b32_e32 v72, v84, v78, vcc_lo
; %bb.52:
	s_or_b32 exec_lo, exec_lo, s2
	v_and_b32_e32 v78, 0x7f800000, v82
	s_delay_alu instid0(VALU_DEP_1) | instskip(SKIP_1) | instid1(SALU_CYCLE_1)
	v_cmp_ne_u32_e32 vcc_lo, 0x7f800000, v78
                                        ; implicit-def: $vgpr78
	s_and_saveexec_b32 s2, vcc_lo
	s_xor_b32 s2, exec_lo, s2
; %bb.53:
	v_bfe_u32 v78, v82, 16, 1
	s_delay_alu instid0(VALU_DEP_1)
	v_add3_u32 v78, v82, v78, 0x7fff
                                        ; implicit-def: $vgpr82
; %bb.54:
	s_and_not1_saveexec_b32 s2, s2
; %bb.55:
	v_and_b32_e32 v78, 0xffff, v82
	v_or_b32_e32 v84, 0x10000, v82
	s_delay_alu instid0(VALU_DEP_2) | instskip(NEXT) | instid1(VALU_DEP_2)
	v_cmp_eq_u32_e32 vcc_lo, 0, v78
	v_cndmask_b32_e32 v78, v84, v82, vcc_lo
; %bb.56:
	s_or_b32 exec_lo, exec_lo, s2
	v_and_b32_e32 v82, 0x7f800000, v83
	s_delay_alu instid0(VALU_DEP_1) | instskip(SKIP_1) | instid1(SALU_CYCLE_1)
	v_cmp_ne_u32_e32 vcc_lo, 0x7f800000, v82
                                        ; implicit-def: $vgpr82
	s_and_saveexec_b32 s2, vcc_lo
	s_xor_b32 s2, exec_lo, s2
; %bb.57:
	v_bfe_u32 v82, v83, 16, 1
	s_delay_alu instid0(VALU_DEP_1)
	v_add3_u32 v82, v83, v82, 0x7fff
                                        ; implicit-def: $vgpr83
; %bb.58:
	s_and_not1_saveexec_b32 s2, s2
; %bb.59:
	v_and_b32_e32 v82, 0xffff, v83
	v_or_b32_e32 v84, 0x10000, v83
	s_delay_alu instid0(VALU_DEP_2) | instskip(NEXT) | instid1(VALU_DEP_2)
	v_cmp_eq_u32_e32 vcc_lo, 0, v82
	v_cndmask_b32_e32 v82, v84, v83, vcc_lo
; %bb.60:
	s_or_b32 exec_lo, exec_lo, s2
	v_and_b32_e32 v83, 0x7f800000, v79
	s_delay_alu instid0(VALU_DEP_1) | instskip(SKIP_1) | instid1(SALU_CYCLE_1)
	v_cmp_ne_u32_e32 vcc_lo, 0x7f800000, v83
                                        ; implicit-def: $vgpr83
	s_and_saveexec_b32 s2, vcc_lo
	s_xor_b32 s2, exec_lo, s2
; %bb.61:
	v_bfe_u32 v83, v79, 16, 1
	s_delay_alu instid0(VALU_DEP_1)
	v_add3_u32 v83, v79, v83, 0x7fff
                                        ; implicit-def: $vgpr79
; %bb.62:
	s_and_not1_saveexec_b32 s2, s2
; %bb.63:
	v_and_b32_e32 v83, 0xffff, v79
	v_or_b32_e32 v84, 0x10000, v79
	s_delay_alu instid0(VALU_DEP_2) | instskip(NEXT) | instid1(VALU_DEP_2)
	v_cmp_eq_u32_e32 vcc_lo, 0, v83
	v_cndmask_b32_e32 v83, v84, v79, vcc_lo
; %bb.64:
	s_or_b32 exec_lo, exec_lo, s2
	v_and_b32_e32 v79, 0x7f800000, v80
	s_delay_alu instid0(VALU_DEP_1) | instskip(SKIP_1) | instid1(SALU_CYCLE_1)
	v_cmp_ne_u32_e32 vcc_lo, 0x7f800000, v79
                                        ; implicit-def: $vgpr79
	s_and_saveexec_b32 s2, vcc_lo
	s_xor_b32 s2, exec_lo, s2
; %bb.65:
	v_bfe_u32 v79, v80, 16, 1
	s_delay_alu instid0(VALU_DEP_1)
	v_add3_u32 v79, v80, v79, 0x7fff
                                        ; implicit-def: $vgpr80
; %bb.66:
	s_and_not1_saveexec_b32 s2, s2
; %bb.67:
	v_and_b32_e32 v79, 0xffff, v80
	v_or_b32_e32 v84, 0x10000, v80
	s_delay_alu instid0(VALU_DEP_2) | instskip(NEXT) | instid1(VALU_DEP_2)
	v_cmp_eq_u32_e32 vcc_lo, 0, v79
	v_cndmask_b32_e32 v79, v84, v80, vcc_lo
; %bb.68:
	s_or_b32 exec_lo, exec_lo, s2
	v_and_b32_e32 v80, 0x7f800000, v71
	s_delay_alu instid0(VALU_DEP_1) | instskip(SKIP_1) | instid1(SALU_CYCLE_1)
	v_cmp_ne_u32_e32 vcc_lo, 0x7f800000, v80
                                        ; implicit-def: $vgpr80
	s_and_saveexec_b32 s2, vcc_lo
	s_xor_b32 s2, exec_lo, s2
; %bb.69:
	v_bfe_u32 v80, v71, 16, 1
	s_delay_alu instid0(VALU_DEP_1)
	v_add3_u32 v80, v71, v80, 0x7fff
                                        ; implicit-def: $vgpr71
; %bb.70:
	s_and_not1_saveexec_b32 s2, s2
; %bb.71:
	v_and_b32_e32 v80, 0xffff, v71
	v_or_b32_e32 v84, 0x10000, v71
	s_delay_alu instid0(VALU_DEP_2) | instskip(NEXT) | instid1(VALU_DEP_2)
	v_cmp_eq_u32_e32 vcc_lo, 0, v80
	v_cndmask_b32_e32 v80, v84, v71, vcc_lo
; %bb.72:
	s_or_b32 exec_lo, exec_lo, s2
	v_and_b32_e32 v71, 0x7f800000, v66
	s_delay_alu instid0(VALU_DEP_1) | instskip(SKIP_1) | instid1(SALU_CYCLE_1)
	v_cmp_ne_u32_e32 vcc_lo, 0x7f800000, v71
                                        ; implicit-def: $vgpr71
	s_and_saveexec_b32 s2, vcc_lo
	s_xor_b32 s2, exec_lo, s2
; %bb.73:
	v_bfe_u32 v71, v66, 16, 1
	s_delay_alu instid0(VALU_DEP_1)
	v_add3_u32 v71, v66, v71, 0x7fff
                                        ; implicit-def: $vgpr66
; %bb.74:
	s_and_not1_saveexec_b32 s2, s2
; %bb.75:
	v_and_b32_e32 v71, 0xffff, v66
	v_or_b32_e32 v84, 0x10000, v66
	s_delay_alu instid0(VALU_DEP_2) | instskip(NEXT) | instid1(VALU_DEP_2)
	v_cmp_eq_u32_e32 vcc_lo, 0, v71
	v_cndmask_b32_e32 v71, v84, v66, vcc_lo
; %bb.76:
	s_or_b32 exec_lo, exec_lo, s2
	s_delay_alu instid0(VALU_DEP_1)
	v_perm_b32 v87, v71, v80, 0x7060302
	v_perm_b32 v86, v79, v83, 0x7060302
	;; [unrolled: 1-line block ×4, first 2 shown]
	v_lshl_or_b32 v83, v67, 11, v81
	ds_store_b128 v77, v[84:87] offset:1024
	s_waitcnt lgkmcnt(0)
	s_barrier
	buffer_gl0_inv
	ds_load_b128 v[84:87], v83
	ds_load_b128 v[88:91], v83 offset:16
	s_waitcnt lgkmcnt(1)
	v_lshrrev_b32_e32 v70, 16, v87
	s_waitcnt lgkmcnt(0)
	v_lshrrev_b32_e32 v71, 16, v88
	v_lshlrev_b32_e32 v79, 2, v65
	v_lshrrev_b32_e32 v65, 16, v84
	v_lshrrev_b32_e32 v66, 16, v85
	;; [unrolled: 1-line block ×4, first 2 shown]
	v_cmp_eq_u32_e32 vcc_lo, 1, v79
	v_lshrrev_b32_e32 v100, 16, v90
	v_lshrrev_b32_e32 v101, 16, v91
	v_cndmask_b32_e32 v92, v88, v71, vcc_lo
	v_or_b32_e32 v80, 1, v79
	v_cndmask_b32_e32 v82, v84, v65, vcc_lo
	v_cmp_eq_u32_e64 s3, 2, v79
	v_cmp_eq_u32_e64 s6, 3, v79
	;; [unrolled: 1-line block ×5, first 2 shown]
	v_cndmask_b32_e64 v82, v82, v85, s3
	v_cndmask_b32_e64 v92, v92, v89, s3
	v_cmp_eq_u32_e64 s7, 3, v80
	v_cndmask_b32_e64 v93, v84, v65, s2
	v_or_b32_e32 v78, 2, v79
	v_cndmask_b32_e64 v82, v82, v66, s6
	v_cndmask_b32_e64 v92, v92, v72, s6
	;; [unrolled: 1-line block ×4, first 2 shown]
	v_cmp_eq_u32_e64 s9, 5, v79
	v_cndmask_b32_e64 v82, v82, v86, s8
	v_cndmask_b32_e64 v92, v92, v90, s8
	v_cmp_eq_u32_e64 s10, 4, v80
	v_cndmask_b32_e64 v93, v93, v66, s7
	v_cmp_eq_u32_e64 s4, 1, v78
	v_cndmask_b32_e64 v94, v94, v89, s5
	v_cndmask_b32_e64 v82, v82, v67, s9
	v_cmp_eq_u32_e64 s11, 6, v79
	v_cndmask_b32_e64 v93, v93, v86, s10
	;; [unrolled: 3-line block ×3, first 2 shown]
	v_cndmask_b32_e64 v94, v94, v72, s7
	v_cndmask_b32_e64 v82, v82, v87, s11
	v_cmp_eq_u32_e64 s13, 7, v79
	v_cndmask_b32_e64 v93, v93, v67, s12
	v_cndmask_b32_e64 v92, v92, v91, s11
	v_cmp_eq_u32_e64 s15, 6, v80
	v_cmp_eq_u32_e64 s16, 2, v78
	v_cndmask_b32_e64 v94, v94, v90, s10
	v_cndmask_b32_e64 v102, v82, v70, s13
	;; [unrolled: 1-line block ×6, first 2 shown]
	v_cmp_eq_u32_e64 s17, 7, v80
	v_cmp_eq_u32_e64 s18, 3, v78
	;; [unrolled: 1-line block ×4, first 2 shown]
	v_cndmask_b32_e64 v92, v92, v89, s16
	v_cndmask_b32_e64 v104, v93, v70, s17
	;; [unrolled: 1-line block ×4, first 2 shown]
	v_or_b32_e32 v82, 3, v79
	v_cndmask_b32_e64 v97, v92, v72, s18
	v_cmp_eq_u32_e64 s23, 6, v78
	v_cndmask_b32_e64 v105, v93, v91, s15
	v_cndmask_b32_e64 v96, v94, v86, s19
	v_cmp_eq_u32_e64 s20, 1, v82
	ds_load_b128 v[92:95], v83 offset:1024
	v_cmp_eq_u32_e64 s22, 2, v82
	v_cmp_eq_u32_e64 s24, 3, v82
	v_cndmask_b32_e64 v106, v96, v67, s21
	v_cndmask_b32_e64 v65, v84, v65, s20
	;; [unrolled: 1-line block ×3, first 2 shown]
	ds_load_b128 v[96:99], v83 offset:1040
	v_cndmask_b32_e64 v71, v88, v71, s20
	v_cmp_eq_u32_e64 s25, 4, v82
	v_cndmask_b32_e64 v65, v65, v85, s22
	v_cmp_eq_u32_e64 s27, 5, v82
	v_cmp_eq_u32_e64 s28, 6, v82
	v_cndmask_b32_e64 v71, v71, v89, s22
	v_cndmask_b32_e64 v84, v84, v100, s21
	;; [unrolled: 1-line block ×4, first 2 shown]
	v_cmp_eq_u32_e64 s26, 7, v78
	v_cndmask_b32_e64 v71, v71, v72, s24
	v_cndmask_b32_e64 v84, v84, v91, s23
	;; [unrolled: 1-line block ×3, first 2 shown]
	s_waitcnt lgkmcnt(1)
	v_lshrrev_b32_e32 v72, 16, v92
	v_lshrrev_b32_e32 v88, 16, v93
	v_cndmask_b32_e64 v71, v71, v90, s25
	v_cndmask_b32_e64 v66, v66, v70, s26
	;; [unrolled: 1-line block ×6, first 2 shown]
	s_waitcnt lgkmcnt(0)
	v_lshrrev_b32_e32 v71, 16, v96
	v_cndmask_b32_e64 v65, v65, v87, s28
	v_cndmask_b32_e64 v87, v89, v93, s5
	v_lshrrev_b32_e32 v100, 16, v98
	v_cndmask_b32_e64 v67, v67, v91, s28
	v_cndmask_b32_e32 v86, v92, v72, vcc_lo
	v_cndmask_b32_e32 v90, v96, v71, vcc_lo
	v_cmp_eq_u32_e32 vcc_lo, 7, v82
	v_cndmask_b32_e64 v87, v87, v88, s7
	v_lshrrev_b32_e32 v91, 16, v94
	v_cndmask_b32_e64 v85, v105, v101, s17
	v_cndmask_b32_e64 v89, v90, v97, s3
	v_cndmask_b32_e32 v67, v67, v101, vcc_lo
	v_cndmask_b32_e64 v86, v86, v93, s3
	v_lshrrev_b32_e32 v90, 16, v97
	v_cndmask_b32_e32 v65, v65, v70, vcc_lo
	v_cndmask_b32_e64 v70, v87, v94, s10
	v_cndmask_b32_e64 v101, v96, v71, s4
	;; [unrolled: 1-line block ×4, first 2 shown]
	v_perm_b32 v87, v67, v65, 0x5040100
	v_cndmask_b32_e64 v65, v70, v91, s12
	v_lshrrev_b32_e32 v70, 16, v95
	v_cndmask_b32_e64 v86, v86, v94, s8
	v_cndmask_b32_e64 v89, v89, v98, s8
	v_perm_b32 v85, v85, v104, 0x5040100
	v_cndmask_b32_e64 v65, v65, v95, s15
	s_delay_alu instid0(VALU_DEP_4) | instskip(NEXT) | instid1(VALU_DEP_4)
	v_cndmask_b32_e64 v86, v86, v91, s9
	v_cndmask_b32_e64 v89, v89, v100, s9
	s_delay_alu instid0(VALU_DEP_3) | instskip(NEXT) | instid1(VALU_DEP_3)
	v_cndmask_b32_e64 v65, v65, v70, s17
	v_cndmask_b32_e64 v67, v86, v95, s11
	v_perm_b32 v86, v84, v66, 0x5040100
	v_lshrrev_b32_e32 v84, 16, v99
	s_delay_alu instid0(VALU_DEP_3)
	v_cndmask_b32_e64 v66, v67, v70, s13
	v_cndmask_b32_e64 v67, v89, v99, s11
	;; [unrolled: 1-line block ×33, first 2 shown]
	v_cndmask_b32_e32 v70, v72, v70, vcc_lo
	v_cndmask_b32_e32 v72, v88, v84, vcc_lo
	v_cndmask_b32_e64 v88, v90, v84, s26
	v_cndmask_b32_e64 v71, v71, v84, s17
	v_perm_b32 v84, v103, v102, 0x5040100
	s_lshl_b32 s7, s35, 1
	v_perm_b32 v91, v72, v70, 0x5040100
	v_perm_b32 v90, v88, v89, 0x5040100
	;; [unrolled: 1-line block ×4, first 2 shown]
	s_mov_b32 s2, exec_lo
	ds_store_b128 v77, v[84:87]
	ds_store_b128 v77, v[88:91] offset:1024
	v_cmpx_gt_u32_e32 2, v0
	s_cbranch_execz .LBB1443_78
; %bb.77:
	v_or_b32_e32 v65, s31, v0
	s_load_b128 s[8:11], s[0:1], 0x58
	s_delay_alu instid0(VALU_DEP_1) | instskip(NEXT) | instid1(VALU_DEP_1)
	v_mad_u64_u32 v[66:67], null, s7, s30, v[65:66]
	v_mad_u64_u32 v[70:71], null, v66, s34, s[14:15]
	s_delay_alu instid0(VALU_DEP_1) | instskip(NEXT) | instid1(VALU_DEP_1)
	v_ashrrev_i32_e32 v71, 31, v70
	v_lshlrev_b64 v[65:66], 2, v[70:71]
	s_waitcnt lgkmcnt(0)
	s_delay_alu instid0(VALU_DEP_1) | instskip(NEXT) | instid1(VALU_DEP_2)
	v_add_co_u32 v70, vcc_lo, s10, v65
	v_add_co_ci_u32_e32 v71, vcc_lo, s11, v66, vcc_lo
	v_add_co_u32 v65, vcc_lo, s8, v65
	v_add_co_ci_u32_e32 v66, vcc_lo, s9, v66, vcc_lo
	global_store_b32 v[70:71], v68, off
	global_store_b32 v[65:66], v69, off
.LBB1443_78:
	s_or_b32 exec_lo, exec_lo, s2
	s_waitcnt lgkmcnt(0)
	s_waitcnt_vscnt null, 0x0
	s_barrier
	buffer_gl0_inv
	ds_load_b128 v[84:87], v81
	ds_load_b128 v[88:91], v81 offset:16
	ds_load_b128 v[96:99], v81 offset:2064
	;; [unrolled: 1-line block ×3, first 2 shown]
	v_mov_b32_e32 v65, 0
	ds_load_b128 v[104:107], v81 offset:4112
	ds_load_b128 v[100:103], v81 offset:4096
	;; [unrolled: 1-line block ×4, first 2 shown]
	v_mov_b32_e32 v66, v65
	v_mov_b32_e32 v67, v65
	;; [unrolled: 1-line block ×7, first 2 shown]
	s_waitcnt lgkmcnt(6)
	s_delay_alu instid0(VALU_DEP_1)
	v_wmma_f32_16x16x16_bf16 v[65:72], v[57:64], v[84:91], v[65:72]
	ds_load_b128 v[61:64], v81 offset:8208
	ds_load_b128 v[57:60], v81 offset:8192
	s_waitcnt lgkmcnt(6)
	v_wmma_f32_16x16x16_bf16 v[65:72], v[41:48], v[92:99], v[65:72]
	ds_load_b128 v[45:48], v81 offset:10256
	ds_load_b128 v[41:44], v81 offset:10240
	s_waitcnt lgkmcnt(6)
	;; [unrolled: 4-line block ×4, first 2 shown]
	v_wmma_f32_16x16x16_bf16 v[65:72], v[1:8], v[57:64], v[65:72]
	s_waitcnt lgkmcnt(4)
	s_delay_alu instid0(VALU_DEP_1) | instskip(SKIP_1) | instid1(VALU_DEP_1)
	v_wmma_f32_16x16x16_bf16 v[65:72], v[9:16], v[41:48], v[65:72]
	s_waitcnt lgkmcnt(2)
	v_wmma_f32_16x16x16_bf16 v[65:72], v[17:24], v[33:40], v[65:72]
	s_waitcnt lgkmcnt(0)
	s_delay_alu instid0(VALU_DEP_1) | instskip(NEXT) | instid1(VALU_DEP_1)
	v_wmma_f32_16x16x16_bf16 v[65:72], v[49:56], v[25:32], v[65:72]
	v_and_b32_e32 v1, 0x7f800000, v65
	s_delay_alu instid0(VALU_DEP_1) | instskip(SKIP_1) | instid1(SALU_CYCLE_1)
	v_cmp_ne_u32_e32 vcc_lo, 0x7f800000, v1
                                        ; implicit-def: $vgpr1
	s_and_saveexec_b32 s2, vcc_lo
	s_xor_b32 s2, exec_lo, s2
; %bb.79:
	v_bfe_u32 v1, v65, 16, 1
	s_delay_alu instid0(VALU_DEP_1)
	v_add3_u32 v1, v65, v1, 0x7fff
; %bb.80:
	s_and_not1_saveexec_b32 s2, s2
; %bb.81:
	v_and_b32_e32 v1, 0xffff, v65
	v_or_b32_e32 v2, 0x10000, v65
	s_delay_alu instid0(VALU_DEP_2) | instskip(NEXT) | instid1(VALU_DEP_2)
	v_cmp_eq_u32_e32 vcc_lo, 0, v1
	v_cndmask_b32_e32 v1, v2, v65, vcc_lo
; %bb.82:
	s_or_b32 exec_lo, exec_lo, s2
	v_and_b32_e32 v2, 0x7f800000, v66
	s_delay_alu instid0(VALU_DEP_1) | instskip(SKIP_1) | instid1(SALU_CYCLE_1)
	v_cmp_ne_u32_e32 vcc_lo, 0x7f800000, v2
                                        ; implicit-def: $vgpr2
	s_and_saveexec_b32 s2, vcc_lo
	s_xor_b32 s2, exec_lo, s2
; %bb.83:
	v_bfe_u32 v2, v66, 16, 1
	s_delay_alu instid0(VALU_DEP_1)
	v_add3_u32 v2, v66, v2, 0x7fff
; %bb.84:
	s_and_not1_saveexec_b32 s2, s2
; %bb.85:
	v_and_b32_e32 v2, 0xffff, v66
	v_or_b32_e32 v3, 0x10000, v66
	s_delay_alu instid0(VALU_DEP_2) | instskip(NEXT) | instid1(VALU_DEP_2)
	v_cmp_eq_u32_e32 vcc_lo, 0, v2
	v_cndmask_b32_e32 v2, v3, v66, vcc_lo
; %bb.86:
	s_or_b32 exec_lo, exec_lo, s2
	v_and_b32_e32 v3, 0x7f800000, v67
	s_delay_alu instid0(VALU_DEP_1) | instskip(SKIP_1) | instid1(SALU_CYCLE_1)
	v_cmp_ne_u32_e32 vcc_lo, 0x7f800000, v3
                                        ; implicit-def: $vgpr3
	s_and_saveexec_b32 s2, vcc_lo
	s_xor_b32 s2, exec_lo, s2
; %bb.87:
	v_bfe_u32 v3, v67, 16, 1
	s_delay_alu instid0(VALU_DEP_1)
	v_add3_u32 v3, v67, v3, 0x7fff
; %bb.88:
	s_and_not1_saveexec_b32 s2, s2
; %bb.89:
	v_and_b32_e32 v3, 0xffff, v67
	v_or_b32_e32 v4, 0x10000, v67
	s_delay_alu instid0(VALU_DEP_2) | instskip(NEXT) | instid1(VALU_DEP_2)
	v_cmp_eq_u32_e32 vcc_lo, 0, v3
	v_cndmask_b32_e32 v3, v4, v67, vcc_lo
; %bb.90:
	s_or_b32 exec_lo, exec_lo, s2
	v_and_b32_e32 v4, 0x7f800000, v68
	s_delay_alu instid0(VALU_DEP_1) | instskip(SKIP_1) | instid1(SALU_CYCLE_1)
	v_cmp_ne_u32_e32 vcc_lo, 0x7f800000, v4
                                        ; implicit-def: $vgpr4
	s_and_saveexec_b32 s2, vcc_lo
	s_xor_b32 s2, exec_lo, s2
; %bb.91:
	v_bfe_u32 v4, v68, 16, 1
	s_delay_alu instid0(VALU_DEP_1)
	v_add3_u32 v4, v68, v4, 0x7fff
; %bb.92:
	s_and_not1_saveexec_b32 s2, s2
; %bb.93:
	v_and_b32_e32 v4, 0xffff, v68
	v_or_b32_e32 v5, 0x10000, v68
	s_delay_alu instid0(VALU_DEP_2) | instskip(NEXT) | instid1(VALU_DEP_2)
	v_cmp_eq_u32_e32 vcc_lo, 0, v4
	v_cndmask_b32_e32 v4, v5, v68, vcc_lo
; %bb.94:
	s_or_b32 exec_lo, exec_lo, s2
	v_and_b32_e32 v5, 0x7f800000, v69
	s_delay_alu instid0(VALU_DEP_1) | instskip(SKIP_1) | instid1(SALU_CYCLE_1)
	v_cmp_ne_u32_e32 vcc_lo, 0x7f800000, v5
                                        ; implicit-def: $vgpr5
	s_and_saveexec_b32 s2, vcc_lo
	s_xor_b32 s2, exec_lo, s2
; %bb.95:
	v_bfe_u32 v5, v69, 16, 1
	s_delay_alu instid0(VALU_DEP_1)
	v_add3_u32 v5, v69, v5, 0x7fff
; %bb.96:
	s_and_not1_saveexec_b32 s2, s2
; %bb.97:
	v_and_b32_e32 v5, 0xffff, v69
	v_or_b32_e32 v6, 0x10000, v69
	s_delay_alu instid0(VALU_DEP_2) | instskip(NEXT) | instid1(VALU_DEP_2)
	v_cmp_eq_u32_e32 vcc_lo, 0, v5
	v_cndmask_b32_e32 v5, v6, v69, vcc_lo
; %bb.98:
	s_or_b32 exec_lo, exec_lo, s2
	v_and_b32_e32 v6, 0x7f800000, v70
	s_delay_alu instid0(VALU_DEP_1) | instskip(SKIP_1) | instid1(SALU_CYCLE_1)
	v_cmp_ne_u32_e32 vcc_lo, 0x7f800000, v6
                                        ; implicit-def: $vgpr6
	s_and_saveexec_b32 s2, vcc_lo
	s_xor_b32 s2, exec_lo, s2
; %bb.99:
	v_bfe_u32 v6, v70, 16, 1
	s_delay_alu instid0(VALU_DEP_1)
	v_add3_u32 v6, v70, v6, 0x7fff
; %bb.100:
	s_and_not1_saveexec_b32 s2, s2
; %bb.101:
	v_and_b32_e32 v6, 0xffff, v70
	v_or_b32_e32 v7, 0x10000, v70
	s_delay_alu instid0(VALU_DEP_2) | instskip(NEXT) | instid1(VALU_DEP_2)
	v_cmp_eq_u32_e32 vcc_lo, 0, v6
	v_cndmask_b32_e32 v6, v7, v70, vcc_lo
; %bb.102:
	s_or_b32 exec_lo, exec_lo, s2
	v_and_b32_e32 v7, 0x7f800000, v71
	s_delay_alu instid0(VALU_DEP_1) | instskip(SKIP_1) | instid1(SALU_CYCLE_1)
	v_cmp_ne_u32_e32 vcc_lo, 0x7f800000, v7
                                        ; implicit-def: $vgpr7
	s_and_saveexec_b32 s2, vcc_lo
	s_xor_b32 s2, exec_lo, s2
; %bb.103:
	v_bfe_u32 v7, v71, 16, 1
	s_delay_alu instid0(VALU_DEP_1)
	v_add3_u32 v7, v71, v7, 0x7fff
; %bb.104:
	s_and_not1_saveexec_b32 s2, s2
; %bb.105:
	v_and_b32_e32 v7, 0xffff, v71
	v_or_b32_e32 v8, 0x10000, v71
	s_delay_alu instid0(VALU_DEP_2) | instskip(NEXT) | instid1(VALU_DEP_2)
	v_cmp_eq_u32_e32 vcc_lo, 0, v7
	v_cndmask_b32_e32 v7, v8, v71, vcc_lo
; %bb.106:
	s_or_b32 exec_lo, exec_lo, s2
	v_and_b32_e32 v8, 0x7f800000, v72
	s_delay_alu instid0(VALU_DEP_1) | instskip(SKIP_1) | instid1(SALU_CYCLE_1)
	v_cmp_ne_u32_e32 vcc_lo, 0x7f800000, v8
                                        ; implicit-def: $vgpr8
	s_and_saveexec_b32 s2, vcc_lo
	s_xor_b32 s2, exec_lo, s2
; %bb.107:
	v_bfe_u32 v8, v72, 16, 1
	s_delay_alu instid0(VALU_DEP_1)
	v_add3_u32 v8, v72, v8, 0x7fff
                                        ; implicit-def: $vgpr65_vgpr66_vgpr67_vgpr68_vgpr69_vgpr70_vgpr71_vgpr72
; %bb.108:
	s_and_not1_saveexec_b32 s2, s2
; %bb.109:
	v_and_b32_e32 v8, 0xffff, v72
	v_or_b32_e32 v9, 0x10000, v72
	s_delay_alu instid0(VALU_DEP_2) | instskip(NEXT) | instid1(VALU_DEP_2)
	v_cmp_eq_u32_e32 vcc_lo, 0, v8
	v_cndmask_b32_e32 v8, v9, v72, vcc_lo
; %bb.110:
	s_or_b32 exec_lo, exec_lo, s2
	s_delay_alu instid0(VALU_DEP_1)
	v_perm_b32 v7, v8, v7, 0x7060302
	v_perm_b32 v6, v6, v5, 0x7060302
	;; [unrolled: 1-line block ×4, first 2 shown]
	s_barrier
	buffer_gl0_inv
	v_cmp_eq_u32_e32 vcc_lo, 1, v79
	ds_store_b128 v77, v[4:7]
	s_waitcnt lgkmcnt(0)
	s_barrier
	buffer_gl0_inv
	ds_load_b128 v[1:4], v83
	ds_load_b128 v[5:8], v83 offset:16
	v_cmp_eq_u32_e64 s2, 1, v80
	v_cmp_eq_u32_e64 s3, 2, v79
	;; [unrolled: 1-line block ×5, first 2 shown]
	s_waitcnt lgkmcnt(1)
	v_lshrrev_b32_e32 v9, 16, v1
	s_waitcnt lgkmcnt(0)
	v_lshrrev_b32_e32 v13, 16, v5
	v_lshrrev_b32_e32 v10, 16, v2
	;; [unrolled: 1-line block ×4, first 2 shown]
	v_cndmask_b32_e64 v19, v1, v9, s2
	v_cndmask_b32_e32 v18, v5, v13, vcc_lo
	v_cndmask_b32_e64 v20, v5, v13, s2
	v_cndmask_b32_e32 v17, v1, v9, vcc_lo
	v_cmp_eq_u32_e32 vcc_lo, 2, v80
	v_lshrrev_b32_e32 v15, 16, v7
	v_cmp_eq_u32_e64 s2, 1, v78
	v_lshrrev_b32_e32 v12, 16, v4
	v_lshrrev_b32_e32 v16, 16, v8
	v_cndmask_b32_e32 v20, v20, v6, vcc_lo
	v_cndmask_b32_e64 v17, v17, v2, s3
	v_cndmask_b32_e32 v19, v19, v2, vcc_lo
	v_cndmask_b32_e64 v18, v18, v6, s3
	v_cmp_eq_u32_e32 vcc_lo, 4, v79
	v_cmp_eq_u32_e64 s3, 3, v80
	v_cndmask_b32_e64 v17, v17, v10, s4
	v_cndmask_b32_e64 v21, v1, v9, s2
	;; [unrolled: 1-line block ×5, first 2 shown]
	v_cndmask_b32_e32 v17, v17, v3, vcc_lo
	v_cndmask_b32_e64 v20, v20, v14, s3
	v_cndmask_b32_e32 v18, v18, v7, vcc_lo
	v_cmp_eq_u32_e32 vcc_lo, 4, v80
	v_cmp_eq_u32_e64 s3, 5, v80
	v_cmp_eq_u32_e64 s2, 2, v82
	v_cndmask_b32_e64 v21, v21, v2, s6
	v_cmp_eq_u32_e64 s4, 5, v79
	v_cndmask_b32_e32 v19, v19, v3, vcc_lo
	v_cndmask_b32_e32 v20, v20, v7, vcc_lo
	v_cmp_eq_u32_e32 vcc_lo, 6, v80
	s_delay_alu instid0(VALU_DEP_4) | instskip(NEXT) | instid1(VALU_DEP_4)
	v_cndmask_b32_e64 v17, v17, v11, s4
	v_cndmask_b32_e64 v19, v19, v11, s3
	s_delay_alu instid0(VALU_DEP_4) | instskip(SKIP_1) | instid1(VALU_DEP_3)
	v_cndmask_b32_e64 v20, v20, v15, s3
	v_cmp_eq_u32_e64 s3, 1, v82
	v_cndmask_b32_e32 v19, v19, v4, vcc_lo
	v_cndmask_b32_e64 v18, v18, v15, s4
	s_delay_alu instid0(VALU_DEP_3)
	v_cndmask_b32_e64 v1, v1, v9, s3
	v_cndmask_b32_e64 v5, v5, v13, s3
	v_cmp_eq_u32_e64 s3, 3, v78
	v_cndmask_b32_e64 v13, v22, v6, s6
	v_cmp_eq_u32_e64 s6, 3, v82
	v_cndmask_b32_e64 v1, v1, v2, s2
	v_cndmask_b32_e64 v2, v5, v6, s2
	;; [unrolled: 1-line block ×3, first 2 shown]
	v_cmp_eq_u32_e64 s2, 4, v78
	v_cndmask_b32_e64 v6, v13, v14, s3
	v_cndmask_b32_e64 v1, v1, v10, s6
	v_cmp_eq_u32_e64 s3, 4, v82
	v_cndmask_b32_e64 v2, v2, v14, s6
	v_cndmask_b32_e64 v5, v9, v3, s2
	;; [unrolled: 3-line block ×3, first 2 shown]
	v_cndmask_b32_e64 v2, v2, v7, s3
	v_cmp_eq_u32_e64 s2, 5, v82
	v_cmp_eq_u32_e64 s4, 6, v79
	v_cndmask_b32_e64 v5, v5, v11, s6
	v_cmp_eq_u32_e64 s3, 6, v78
	v_cndmask_b32_e64 v3, v6, v15, s6
	v_cndmask_b32_e64 v1, v1, v11, s2
	v_cmp_eq_u32_e64 s6, 6, v82
	v_cndmask_b32_e64 v2, v2, v15, s2
	v_cndmask_b32_e64 v17, v17, v4, s4
	v_cndmask_b32_e64 v18, v18, v8, s4
	v_cmp_eq_u32_e64 s4, 7, v79
	v_cndmask_b32_e64 v5, v5, v4, s3
	;; [unrolled: 4-line block ×3, first 2 shown]
	v_cmp_eq_u32_e64 s3, 7, v78
	v_cndmask_b32_e32 v4, v20, v8, vcc_lo
	v_cndmask_b32_e64 v17, v17, v12, s4
	v_cndmask_b32_e64 v19, v19, v12, s5
	;; [unrolled: 1-line block ×8, first 2 shown]
	s_delay_alu instid0(VALU_DEP_4) | instskip(NEXT) | instid1(VALU_DEP_4)
	v_perm_b32 v4, v2, v1, 0x5040100
	v_perm_b32 v3, v3, v5, 0x5040100
	s_delay_alu instid0(VALU_DEP_4) | instskip(NEXT) | instid1(VALU_DEP_4)
	v_perm_b32 v2, v6, v19, 0x5040100
	v_perm_b32 v1, v7, v17, 0x5040100
	ds_store_b128 v77, v[1:4]
	s_waitcnt lgkmcnt(0)
	s_barrier
	buffer_gl0_inv
	s_and_saveexec_b32 s2, s29
	s_cbranch_execz .LBB1443_2
; %bb.111:
	s_load_b64 s[0:1], s[0:1], 0x68
	v_lshlrev_b32_e32 v0, 10, v0
	s_lshl_b32 s2, s34, 6
	v_lshlrev_b32_e32 v1, 4, v76
	v_mul_lo_u32 v4, s2, v75
	s_mul_i32 s3, s2, s30
	v_and_b32_e32 v0, 0x3800, v0
	s_mul_i32 s2, s3, s7
	s_delay_alu instid0(SALU_CYCLE_1) | instskip(NEXT) | instid1(VALU_DEP_1)
	s_ashr_i32 s3, s2, 31
	v_or3_b32 v0, v0, v74, v1
	s_lshl_b64 s[2:3], s[2:3], 1
	s_delay_alu instid0(VALU_DEP_3)
	v_ashrrev_i32_e32 v5, 31, v4
	ds_load_b128 v[0:3], v0
	v_lshlrev_b64 v[4:5], 1, v[4:5]
	s_waitcnt lgkmcnt(0)
	s_add_u32 s2, s0, s2
	s_addc_u32 s3, s1, s3
	s_lshl_b32 s0, s14, 6
	s_delay_alu instid0(SALU_CYCLE_1) | instskip(NEXT) | instid1(SALU_CYCLE_1)
	s_ashr_i32 s1, s0, 31
	s_lshl_b64 s[0:1], s[0:1], 1
	s_delay_alu instid0(SALU_CYCLE_1) | instskip(SKIP_3) | instid1(VALU_DEP_2)
	s_add_u32 s0, s2, s0
	s_addc_u32 s1, s3, s1
	v_add_co_u32 v4, vcc_lo, s0, v4
	v_add_co_ci_u32_e32 v5, vcc_lo, s1, v5, vcc_lo
	v_add_co_u32 v4, vcc_lo, v4, v73
	s_delay_alu instid0(VALU_DEP_2)
	v_add_co_ci_u32_e32 v5, vcc_lo, 0, v5, vcc_lo
	global_store_b128 v[4:5], v[0:3], off
	s_nop 0
	s_sendmsg sendmsg(MSG_DEALLOC_VGPRS)
	s_endpgm
	.section	.rodata,"a",@progbits
	.p2align	6, 0x0
	.amdhsa_kernel _Z39paged_attention_ll4mi_QKV_mfma16_kernelI14__hip_bfloat16hLN4vllm18Fp8KVCacheDataTypeE1EhLi32ELi64ELi256ELb1ELi2EL8MFMAType1EEvPKT_PKT0_S9_ifPKiSB_SB_iPKfiiiPfSE_PS4_PT2_iSD_SD_
		.amdhsa_group_segment_fixed_size 17472
		.amdhsa_private_segment_fixed_size 0
		.amdhsa_kernarg_size 400
		.amdhsa_user_sgpr_count 13
		.amdhsa_user_sgpr_dispatch_ptr 0
		.amdhsa_user_sgpr_queue_ptr 0
		.amdhsa_user_sgpr_kernarg_segment_ptr 1
		.amdhsa_user_sgpr_dispatch_id 0
		.amdhsa_user_sgpr_private_segment_size 0
		.amdhsa_wavefront_size32 1
		.amdhsa_uses_dynamic_stack 0
		.amdhsa_enable_private_segment 0
		.amdhsa_system_sgpr_workgroup_id_x 1
		.amdhsa_system_sgpr_workgroup_id_y 1
		.amdhsa_system_sgpr_workgroup_id_z 1
		.amdhsa_system_sgpr_workgroup_info 0
		.amdhsa_system_vgpr_workitem_id 0
		.amdhsa_next_free_vgpr 125
		.amdhsa_next_free_sgpr 40
		.amdhsa_reserve_vcc 1
		.amdhsa_float_round_mode_32 0
		.amdhsa_float_round_mode_16_64 0
		.amdhsa_float_denorm_mode_32 3
		.amdhsa_float_denorm_mode_16_64 3
		.amdhsa_dx10_clamp 1
		.amdhsa_ieee_mode 1
		.amdhsa_fp16_overflow 0
		.amdhsa_workgroup_processor_mode 1
		.amdhsa_memory_ordered 1
		.amdhsa_forward_progress 0
		.amdhsa_shared_vgpr_count 0
		.amdhsa_exception_fp_ieee_invalid_op 0
		.amdhsa_exception_fp_denorm_src 0
		.amdhsa_exception_fp_ieee_div_zero 0
		.amdhsa_exception_fp_ieee_overflow 0
		.amdhsa_exception_fp_ieee_underflow 0
		.amdhsa_exception_fp_ieee_inexact 0
		.amdhsa_exception_int_div_zero 0
	.end_amdhsa_kernel
	.section	.text._Z39paged_attention_ll4mi_QKV_mfma16_kernelI14__hip_bfloat16hLN4vllm18Fp8KVCacheDataTypeE1EhLi32ELi64ELi256ELb1ELi2EL8MFMAType1EEvPKT_PKT0_S9_ifPKiSB_SB_iPKfiiiPfSE_PS4_PT2_iSD_SD_,"axG",@progbits,_Z39paged_attention_ll4mi_QKV_mfma16_kernelI14__hip_bfloat16hLN4vllm18Fp8KVCacheDataTypeE1EhLi32ELi64ELi256ELb1ELi2EL8MFMAType1EEvPKT_PKT0_S9_ifPKiSB_SB_iPKfiiiPfSE_PS4_PT2_iSD_SD_,comdat
.Lfunc_end1443:
	.size	_Z39paged_attention_ll4mi_QKV_mfma16_kernelI14__hip_bfloat16hLN4vllm18Fp8KVCacheDataTypeE1EhLi32ELi64ELi256ELb1ELi2EL8MFMAType1EEvPKT_PKT0_S9_ifPKiSB_SB_iPKfiiiPfSE_PS4_PT2_iSD_SD_, .Lfunc_end1443-_Z39paged_attention_ll4mi_QKV_mfma16_kernelI14__hip_bfloat16hLN4vllm18Fp8KVCacheDataTypeE1EhLi32ELi64ELi256ELb1ELi2EL8MFMAType1EEvPKT_PKT0_S9_ifPKiSB_SB_iPKfiiiPfSE_PS4_PT2_iSD_SD_
                                        ; -- End function
	.section	.AMDGPU.csdata,"",@progbits
; Kernel info:
; codeLenInByte = 8520
; NumSgprs: 42
; NumVgprs: 125
; ScratchSize: 0
; MemoryBound: 0
; FloatMode: 240
; IeeeMode: 1
; LDSByteSize: 17472 bytes/workgroup (compile time only)
; SGPRBlocks: 5
; VGPRBlocks: 15
; NumSGPRsForWavesPerEU: 42
; NumVGPRsForWavesPerEU: 125
; Occupancy: 10
; WaveLimiterHint : 1
; COMPUTE_PGM_RSRC2:SCRATCH_EN: 0
; COMPUTE_PGM_RSRC2:USER_SGPR: 13
; COMPUTE_PGM_RSRC2:TRAP_HANDLER: 0
; COMPUTE_PGM_RSRC2:TGID_X_EN: 1
; COMPUTE_PGM_RSRC2:TGID_Y_EN: 1
; COMPUTE_PGM_RSRC2:TGID_Z_EN: 1
; COMPUTE_PGM_RSRC2:TIDIG_COMP_CNT: 0
	.section	.text._Z39paged_attention_ll4mi_QKV_mfma16_kernelI14__hip_bfloat16hLN4vllm18Fp8KVCacheDataTypeE1EhLi32ELi64ELi256ELb1ELi3EL8MFMAType1EEvPKT_PKT0_S9_ifPKiSB_SB_iPKfiiiPfSE_PS4_PT2_iSD_SD_,"axG",@progbits,_Z39paged_attention_ll4mi_QKV_mfma16_kernelI14__hip_bfloat16hLN4vllm18Fp8KVCacheDataTypeE1EhLi32ELi64ELi256ELb1ELi3EL8MFMAType1EEvPKT_PKT0_S9_ifPKiSB_SB_iPKfiiiPfSE_PS4_PT2_iSD_SD_,comdat
	.protected	_Z39paged_attention_ll4mi_QKV_mfma16_kernelI14__hip_bfloat16hLN4vllm18Fp8KVCacheDataTypeE1EhLi32ELi64ELi256ELb1ELi3EL8MFMAType1EEvPKT_PKT0_S9_ifPKiSB_SB_iPKfiiiPfSE_PS4_PT2_iSD_SD_ ; -- Begin function _Z39paged_attention_ll4mi_QKV_mfma16_kernelI14__hip_bfloat16hLN4vllm18Fp8KVCacheDataTypeE1EhLi32ELi64ELi256ELb1ELi3EL8MFMAType1EEvPKT_PKT0_S9_ifPKiSB_SB_iPKfiiiPfSE_PS4_PT2_iSD_SD_
	.globl	_Z39paged_attention_ll4mi_QKV_mfma16_kernelI14__hip_bfloat16hLN4vllm18Fp8KVCacheDataTypeE1EhLi32ELi64ELi256ELb1ELi3EL8MFMAType1EEvPKT_PKT0_S9_ifPKiSB_SB_iPKfiiiPfSE_PS4_PT2_iSD_SD_
	.p2align	8
	.type	_Z39paged_attention_ll4mi_QKV_mfma16_kernelI14__hip_bfloat16hLN4vllm18Fp8KVCacheDataTypeE1EhLi32ELi64ELi256ELb1ELi3EL8MFMAType1EEvPKT_PKT0_S9_ifPKiSB_SB_iPKfiiiPfSE_PS4_PT2_iSD_SD_,@function
_Z39paged_attention_ll4mi_QKV_mfma16_kernelI14__hip_bfloat16hLN4vllm18Fp8KVCacheDataTypeE1EhLi32ELi64ELi256ELb1ELi3EL8MFMAType1EEvPKT_PKT0_S9_ifPKiSB_SB_iPKfiiiPfSE_PS4_PT2_iSD_SD_: ; @_Z39paged_attention_ll4mi_QKV_mfma16_kernelI14__hip_bfloat16hLN4vllm18Fp8KVCacheDataTypeE1EhLi32ELi64ELi256ELb1ELi3EL8MFMAType1EEvPKT_PKT0_S9_ifPKiSB_SB_iPKfiiiPfSE_PS4_PT2_iSD_SD_
; %bb.0:
	s_load_b64 s[2:3], s[0:1], 0x30
	s_mov_b32 s34, s13
	s_waitcnt lgkmcnt(0)
	s_cmp_lg_u64 s[2:3], 0
	s_cselect_b32 s8, -1, 0
	s_ashr_i32 s35, s13, 31
	s_cmp_eq_u64 s[2:3], 0
	s_cbranch_scc1 .LBB1444_3
; %bb.1:
	s_lshl_b64 s[4:5], s[34:35], 2
	s_delay_alu instid0(SALU_CYCLE_1) | instskip(SKIP_4) | instid1(SALU_CYCLE_1)
	s_add_u32 s4, s2, s4
	s_addc_u32 s5, s3, s5
	s_load_b64 s[4:5], s[4:5], 0x0
	s_waitcnt lgkmcnt(0)
	s_sub_i32 s4, s5, s4
	s_cmp_eq_u32 s4, 1
	s_cselect_b32 s4, -1, 0
	s_delay_alu instid0(SALU_CYCLE_1)
	s_and_not1_b32 vcc_lo, exec_lo, s4
	s_cbranch_vccz .LBB1444_4
.LBB1444_2:
	s_nop 0
	s_sendmsg sendmsg(MSG_DEALLOC_VGPRS)
	s_endpgm
.LBB1444_3:
.LBB1444_4:
	s_load_b64 s[4:5], s[0:1], 0x28
	s_lshl_b64 s[6:7], s[34:35], 2
	s_waitcnt lgkmcnt(0)
	s_add_u32 s4, s4, s6
	s_addc_u32 s5, s5, s7
	s_lshl_b32 s12, s14, 8
	s_load_b32 s24, s[4:5], 0x0
	s_waitcnt lgkmcnt(0)
	s_cmp_ge_i32 s12, s24
	s_cbranch_scc1 .LBB1444_2
; %bb.5:
	s_clause 0x1
	s_load_b128 s[20:23], s[0:1], 0x8
	s_load_b64 s[4:5], s[0:1], 0x20
	s_and_not1_b32 vcc_lo, exec_lo, s8
	s_cbranch_vccnz .LBB1444_7
; %bb.6:
	s_add_u32 s2, s2, s6
	s_addc_u32 s3, s3, s7
	s_load_b32 s3, s[2:3], 0x0
	s_branch .LBB1444_8
.LBB1444_7:
	s_mov_b32 s3, s34
.LBB1444_8:
	s_load_b128 s[16:19], s[0:1], 0x48
	v_lshrrev_b32_e32 v66, 5, v0
	v_bfe_u32 v74, v0, 4, 1
	v_and_b32_e32 v65, 15, v0
	v_and_b32_e32 v67, 31, v0
	;; [unrolled: 1-line block ×3, first 2 shown]
	s_mul_i32 s31, s15, 3
	v_lshl_or_b32 v1, v66, 1, v74
	v_lshlrev_b32_e32 v2, 3, v65
	v_cmp_gt_u32_e64 s2, 8, v65
	s_delay_alu instid0(VALU_DEP_3) | instskip(NEXT) | instid1(VALU_DEP_3)
	v_cmp_gt_u32_e32 vcc_lo, 3, v1
	v_lshlrev_b32_e32 v73, 1, v2
	s_delay_alu instid0(VALU_DEP_3) | instskip(NEXT) | instid1(SALU_CYCLE_1)
	s_and_b32 s7, s2, vcc_lo
	s_and_saveexec_b32 s6, s7
	s_cbranch_execz .LBB1444_10
; %bb.9:
	s_load_b64 s[8:9], s[0:1], 0x0
	v_add_lshl_u32 v2, v1, s31, 6
	s_waitcnt lgkmcnt(0)
	s_mul_hi_i32 s11, s3, s16
	s_mul_i32 s10, s3, s16
	v_lshlrev_b32_e32 v6, 10, v65
	s_lshl_b64 s[10:11], s[10:11], 1
	v_ashrrev_i32_e32 v3, 31, v2
	v_lshlrev_b32_e32 v1, 6, v1
	v_lshlrev_b32_e32 v7, 10, v75
	v_and_b32_e32 v6, 0x3800, v6
	s_delay_alu instid0(VALU_DEP_4) | instskip(NEXT) | instid1(VALU_DEP_2)
	v_lshlrev_b64 v[2:3], 1, v[2:3]
	v_or3_b32 v1, v6, v7, v1
	s_add_u32 s3, s8, s10
	s_addc_u32 s7, s9, s11
	s_delay_alu instid0(VALU_DEP_2) | instskip(NEXT) | instid1(VALU_DEP_3)
	v_add_co_u32 v2, vcc_lo, s3, v2
	v_add_co_ci_u32_e32 v3, vcc_lo, s7, v3, vcc_lo
	s_delay_alu instid0(VALU_DEP_2) | instskip(NEXT) | instid1(VALU_DEP_2)
	v_add_co_u32 v2, vcc_lo, v2, v73
	v_add_co_ci_u32_e32 v3, vcc_lo, 0, v3, vcc_lo
	global_load_b128 v[2:5], v[2:3], off
	s_waitcnt vmcnt(0)
	ds_store_b128 v1, v[2:5]
.LBB1444_10:
	s_or_b32 exec_lo, exec_lo, s6
	v_and_b32_e32 v1, 0xef, v0
	s_waitcnt lgkmcnt(0)
	s_add_i32 s3, s24, 31
	s_clause 0x1
	s_load_b32 s6, s[0:1], 0x38
	s_load_b32 s19, s[0:1], 0x1c
	s_ashr_i32 s7, s3, 31
	v_add_nc_u32_e32 v1, s12, v1
	s_lshr_b32 s7, s7, 27
	s_waitcnt lgkmcnt(0)
	s_add_i32 s3, s3, s7
	s_barrier
	v_ashrrev_i32_e32 v2, 31, v1
	v_or_b32_e32 v3, 16, v1
	s_ashr_i32 s3, s3, 5
	v_cmp_gt_i32_e32 vcc_lo, s24, v1
	s_add_i32 s3, s3, -1
	v_lshrrev_b32_e32 v2, 27, v2
	buffer_gl0_inv
	s_mul_i32 s27, s15, s18
	v_add_nc_u32_e32 v4, v1, v2
	s_mul_i32 s6, s34, s6
	s_delay_alu instid0(SALU_CYCLE_1) | instskip(NEXT) | instid1(VALU_DEP_1)
	s_ashr_i32 s7, s6, 31
	v_ashrrev_i32_e32 v4, 5, v4
	v_add_nc_u32_e32 v2, v3, v2
	s_lshl_b64 s[6:7], s[6:7], 2
	s_delay_alu instid0(SALU_CYCLE_1) | instskip(NEXT) | instid1(VALU_DEP_2)
	s_add_u32 s26, s4, s6
	v_cndmask_b32_e32 v1, s3, v4, vcc_lo
	s_delay_alu instid0(VALU_DEP_2)
	v_ashrrev_i32_e32 v2, 5, v2
	v_cmp_gt_i32_e32 vcc_lo, s24, v3
	s_addc_u32 s25, s5, s7
	s_ashr_i32 s28, s27, 31
	s_add_u32 s4, s20, s27
	s_addc_u32 s5, s21, s28
	v_cndmask_b32_e32 v3, s3, v2, vcc_lo
	v_ashrrev_i32_e32 v2, 31, v1
	s_lshl_b32 s6, s14, 3
	s_delay_alu instid0(SALU_CYCLE_1) | instskip(NEXT) | instid1(VALU_DEP_2)
	s_ashr_i32 s7, s6, 31
	v_ashrrev_i32_e32 v4, 31, v3
	s_delay_alu instid0(VALU_DEP_2) | instskip(SKIP_1) | instid1(SALU_CYCLE_1)
	v_lshlrev_b64 v[1:2], 2, v[1:2]
	s_lshl_b64 s[6:7], s[6:7], 2
	s_add_u32 s6, s26, s6
	s_delay_alu instid0(VALU_DEP_2) | instskip(SKIP_1) | instid1(VALU_DEP_2)
	v_lshlrev_b64 v[3:4], 2, v[3:4]
	s_addc_u32 s7, s25, s7
	v_add_co_u32 v1, vcc_lo, s26, v1
	v_add_co_ci_u32_e32 v2, vcc_lo, s25, v2, vcc_lo
	s_delay_alu instid0(VALU_DEP_3) | instskip(NEXT) | instid1(VALU_DEP_4)
	v_add_co_u32 v3, vcc_lo, s26, v3
	v_add_co_ci_u32_e32 v4, vcc_lo, s25, v4, vcc_lo
	s_clause 0x1
	global_load_b32 v5, v[1:2], off
	global_load_b32 v6, v[3:4], off
	s_or_b32 s8, s12, 32
	s_delay_alu instid0(SALU_CYCLE_1) | instskip(SKIP_2) | instid1(SALU_CYCLE_1)
	s_ashr_i32 s9, s8, 5
	s_cmp_lt_i32 s8, s24
	s_cselect_b32 s8, s9, s3
	s_ashr_i32 s9, s8, 31
	s_delay_alu instid0(SALU_CYCLE_1) | instskip(NEXT) | instid1(SALU_CYCLE_1)
	s_lshl_b64 s[8:9], s[8:9], 2
	s_add_u32 s8, s26, s8
	s_addc_u32 s9, s25, s9
	s_or_b32 s10, s12, 64
	s_delay_alu instid0(SALU_CYCLE_1) | instskip(SKIP_2) | instid1(SALU_CYCLE_1)
	s_ashr_i32 s11, s10, 5
	s_cmp_lt_i32 s10, s24
	s_cselect_b32 s10, s11, s3
	s_ashr_i32 s11, s10, 31
	s_delay_alu instid0(SALU_CYCLE_1) | instskip(NEXT) | instid1(SALU_CYCLE_1)
	s_lshl_b64 s[10:11], s[10:11], 2
	s_add_u32 s10, s26, s10
	s_addc_u32 s11, s25, s11
	;; [unrolled: 10-line block ×5, first 2 shown]
	s_clause 0x5
	s_load_b32 s21, s[6:7], 0x0
	s_load_b32 s13, s[8:9], 0x0
	;; [unrolled: 1-line block ×6, first 2 shown]
	s_or_b32 s9, s12, 0xc0
	s_delay_alu instid0(SALU_CYCLE_1) | instskip(SKIP_2) | instid1(SALU_CYCLE_1)
	s_ashr_i32 s10, s9, 5
	s_cmp_lt_i32 s9, s24
	s_cselect_b32 s36, s10, s3
	s_ashr_i32 s37, s36, 31
	s_delay_alu instid0(SALU_CYCLE_1) | instskip(NEXT) | instid1(SALU_CYCLE_1)
	s_lshl_b64 s[36:37], s[36:37], 2
	s_add_u32 s36, s26, s36
	s_addc_u32 s37, s25, s37
	s_or_b32 s29, s12, 0xe0
	s_delay_alu instid0(SALU_CYCLE_1)
	s_ashr_i32 s30, s29, 5
	s_cmp_lt_i32 s29, s24
	s_waitcnt vmcnt(1)
	v_mad_i64_i32 v[1:2], null, v5, s17, s[4:5]
	s_waitcnt vmcnt(0)
	v_mad_i64_i32 v[3:4], null, v6, s17, s[4:5]
	s_mov_b32 s4, 0
	s_delay_alu instid0(SALU_CYCLE_1)
	s_mov_b32 s5, s4
	s_mov_b32 s6, s4
	;; [unrolled: 1-line block ×7, first 2 shown]
	v_lshlrev_b32_e32 v5, 4, v65
	v_dual_mov_b32 v107, s11 :: v_dual_mov_b32 v102, s6
	v_mov_b32_e32 v106, s10
	v_mov_b32_e32 v104, s8
	s_delay_alu instid0(VALU_DEP_4)
	v_add_co_u32 v1, vcc_lo, v1, v5
	v_add_co_ci_u32_e32 v2, vcc_lo, 0, v2, vcc_lo
	v_add_co_u32 v3, vcc_lo, v3, v5
	v_add_co_ci_u32_e32 v4, vcc_lo, 0, v4, vcc_lo
	s_clause 0x7
	global_load_b128 v[49:52], v[1:2], off
	global_load_b128 v[53:56], v[1:2], off offset:512
	global_load_b128 v[76:79], v[3:4], off offset:256
	;; [unrolled: 1-line block ×7, first 2 shown]
	v_mul_lo_u16 v1, 0x56, v65
	v_mov_b32_e32 v103, s7
	v_dual_mov_b32 v101, s5 :: v_dual_lshlrev_b32 v2, 5, v65
	v_mov_b32_e32 v100, s4
	s_delay_alu instid0(VALU_DEP_4) | instskip(NEXT) | instid1(VALU_DEP_3)
	v_lshrrev_b16 v1, 8, v1
	v_lshl_or_b32 v2, v66, 9, v2
	s_delay_alu instid0(VALU_DEP_2) | instskip(NEXT) | instid1(VALU_DEP_1)
	v_mul_lo_u16 v1, v1, 3
	v_sub_nc_u16 v1, v65, v1
	s_delay_alu instid0(VALU_DEP_1)
	v_and_b32_e32 v1, 0xff, v1
	v_mov_b32_e32 v105, s9
	s_cselect_b32 s4, s30, s3
	s_load_b32 s3, s[36:37], 0x0
	s_ashr_i32 s5, s4, 31
	v_lshlrev_b32_e32 v70, 6, v1
	s_lshl_b64 s[4:5], s[4:5], 2
	ds_load_b128 v[108:111], v70
	ds_load_b128 v[112:115], v70 offset:1024
	s_add_u32 s4, s26, s4
	s_addc_u32 s5, s25, s5
	s_add_u32 s6, s22, s27
	s_load_b32 s4, s[4:5], 0x0
	s_addc_u32 s7, s23, s28
	v_add_co_u32 v9, s6, s6, v2
	s_delay_alu instid0(VALU_DEP_1) | instskip(SKIP_1) | instid1(VALU_DEP_1)
	v_add_co_ci_u32_e64 v10, null, s7, 0, s6
	s_waitcnt lgkmcnt(0)
	v_mad_i64_i32 v[1:2], null, s21, s17, v[9:10]
	v_mad_i64_i32 v[3:4], null, s13, s17, v[9:10]
	v_mad_i64_i32 v[5:6], null, s15, s17, v[9:10]
	v_mad_i64_i32 v[7:8], null, s16, s17, v[9:10]
	v_mad_i64_i32 v[13:14], null, s20, s17, v[9:10]
	v_mad_i64_i32 v[11:12], null, s18, s17, v[9:10]
	v_mad_i64_i32 v[21:22], null, s3, s17, v[9:10]
	s_clause 0x9
	global_load_b128 v[57:60], v[1:2], off
	global_load_b128 v[61:64], v[1:2], off offset:16
	global_load_b128 v[41:44], v[3:4], off
	global_load_b128 v[45:48], v[3:4], off offset:16
	;; [unrolled: 2-line block ×5, first 2 shown]
	v_mad_i64_i32 v[68:69], null, s4, s17, v[9:10]
	s_clause 0x3
	global_load_b128 v[9:12], v[13:14], off
	global_load_b128 v[13:16], v[13:14], off offset:16
	global_load_b128 v[17:20], v[21:22], off
	global_load_b128 v[21:24], v[21:22], off offset:16
	s_waitcnt vmcnt(20)
	v_wmma_f32_16x16x16_bf16 v[116:123], v[49:56], v[108:115], v[100:107]
	s_clause 0x1
	global_load_b128 v[49:52], v[68:69], off
	global_load_b128 v[53:56], v[68:69], off offset:16
	v_and_b32_e32 v68, 0xe0, v0
	v_mbcnt_lo_u32_b32 v69, -1, 0
	s_delay_alu instid0(VALU_DEP_2)
	v_add_nc_u32_e32 v68, s12, v68
	s_waitcnt vmcnt(20)
	v_wmma_f32_16x16x16_bf16 v[100:107], v[76:83], v[108:115], v[100:107]
	ds_load_b128 v[76:79], v70 offset:2048
	ds_load_b128 v[80:83], v70 offset:3072
	v_xor_b32_e32 v70, 16, v69
	s_waitcnt vmcnt(0) lgkmcnt(0)
	v_or_b32_e32 v68, v68, v74
	s_barrier
	buffer_gl0_inv
	v_cmp_gt_i32_e32 vcc_lo, 32, v70
	v_or_b32_e32 v71, 4, v68
	v_or_b32_e32 v72, 6, v68
	v_cmp_gt_i32_e64 s3, s24, v68
	v_or_b32_e32 v108, 8, v68
	v_or_b32_e32 v109, 10, v68
	v_cmp_gt_i32_e64 s4, s24, v71
	v_cmp_gt_i32_e64 s5, s24, v72
	s_delay_alu instid0(VALU_DEP_4) | instskip(NEXT) | instid1(VALU_DEP_4)
	v_cmp_gt_i32_e64 s6, s24, v108
	v_cmp_gt_i32_e64 s7, s24, v109
	v_wmma_f32_16x16x16_bf16 v[116:123], v[84:91], v[76:83], v[116:123]
	v_cndmask_b32_e32 v69, v69, v70, vcc_lo
	v_or_b32_e32 v70, 2, v68
	v_wmma_f32_16x16x16_bf16 v[100:107], v[92:99], v[76:83], v[100:107]
	v_or_b32_e32 v84, 12, v68
	v_dual_mul_f32 v78, s19, v123 :: v_dual_mul_f32 v83, s19, v118
	v_dual_mul_f32 v92, s19, v117 :: v_dual_mul_f32 v93, s19, v116
	s_delay_alu instid0(VALU_DEP_4) | instskip(SKIP_2) | instid1(VALU_DEP_4)
	v_mul_f32_e32 v94, s19, v107
	v_cmp_gt_i32_e32 vcc_lo, s24, v70
	v_dual_mul_f32 v81, s19, v120 :: v_dual_mul_f32 v82, s19, v119
	v_cndmask_b32_e64 v93, 0xff7fffff, v93, s3
	v_or_b32_e32 v85, 14, v68
	v_cndmask_b32_e32 v92, 0xff7fffff, v92, vcc_lo
	v_dual_mul_f32 v79, s19, v122 :: v_dual_mul_f32 v80, s19, v121
	v_cndmask_b32_e64 v71, 0xff7fffff, v83, s4
	v_cndmask_b32_e64 v72, 0xff7fffff, v82, s5
	s_delay_alu instid0(VALU_DEP_4)
	v_max3_f32 v82, v93, 0xff7fffff, v92
	v_or_b32_e32 v86, 16, v68
	v_or_b32_e32 v87, 18, v68
	v_cndmask_b32_e64 v81, 0xff7fffff, v81, s6
	v_cndmask_b32_e64 v80, 0xff7fffff, v80, s7
	v_max3_f32 v71, v82, v71, v72
	v_cmp_gt_i32_e64 s8, s24, v84
	v_cmp_gt_i32_e64 s9, s24, v85
	v_or_b32_e32 v88, 20, v68
	v_or_b32_e32 v89, 22, v68
	;; [unrolled: 1-line block ×6, first 2 shown]
	v_dual_mul_f32 v99, s19, v102 :: v_dual_mul_f32 v70, s19, v101
	v_mul_f32_e32 v68, s19, v100
	v_cndmask_b32_e64 v72, 0xff7fffff, v79, s8
	v_cndmask_b32_e64 v78, 0xff7fffff, v78, s9
	v_max3_f32 v71, v71, v81, v80
	v_cmp_gt_i32_e64 s10, s24, v86
	v_cmp_gt_i32_e64 s11, s24, v87
	v_dual_mul_f32 v97, s19, v104 :: v_dual_mul_f32 v98, s19, v103
	s_delay_alu instid0(VALU_DEP_4) | instskip(SKIP_1) | instid1(VALU_DEP_4)
	v_max3_f32 v71, v71, v72, v78
	v_cmp_gt_i32_e64 s12, s24, v88
	v_cndmask_b32_e64 v70, 0xff7fffff, v70, s11
	v_cmp_gt_i32_e64 s13, s24, v89
	v_lshlrev_b32_e32 v89, 2, v69
	v_cndmask_b32_e64 v68, 0xff7fffff, v68, s10
	v_dual_mul_f32 v95, s19, v106 :: v_dual_mul_f32 v96, s19, v105
	v_cndmask_b32_e64 v72, 0xff7fffff, v99, s12
	v_cndmask_b32_e64 v78, 0xff7fffff, v98, s13
	s_delay_alu instid0(VALU_DEP_4)
	v_max3_f32 v68, v71, v68, v70
	v_cmp_gt_i32_e64 s15, s24, v90
	v_cmp_gt_i32_e64 s16, s24, v91
	v_cmp_gt_i32_e64 s17, s24, v76
	v_cmp_gt_i32_e64 s18, s24, v77
	v_max3_f32 v68, v68, v72, v78
	v_cndmask_b32_e64 v70, 0xff7fffff, v97, s15
	v_cndmask_b32_e64 v71, 0xff7fffff, v96, s16
	;; [unrolled: 1-line block ×4, first 2 shown]
	s_delay_alu instid0(VALU_DEP_3) | instskip(NEXT) | instid1(VALU_DEP_1)
	v_max3_f32 v68, v68, v70, v71
	v_max3_f32 v68, v68, v72, v76
	ds_bpermute_b32 v69, v89, v68
	s_waitcnt lgkmcnt(0)
	v_max_f32_e32 v69, v69, v69
	s_delay_alu instid0(VALU_DEP_1) | instskip(NEXT) | instid1(VALU_DEP_1)
	v_max_f32_e32 v68, v68, v69
	v_fma_f32 v71, s19, v118, -v68
	s_delay_alu instid0(VALU_DEP_1)
	v_mul_f32_e32 v71, 0x3fb8aa3b, v71
	v_fma_f32 v69, s19, v116, -v68
	v_fma_f32 v70, s19, v117, -v68
	;; [unrolled: 1-line block ×4, first 2 shown]
	v_exp_f32_e32 v71, v71
	s_delay_alu instid0(VALU_DEP_3) | instskip(SKIP_2) | instid1(VALU_DEP_3)
	v_dual_mul_f32 v69, 0x3fb8aa3b, v69 :: v_dual_mul_f32 v70, 0x3fb8aa3b, v70
	v_fma_f32 v78, s19, v122, -v68
	v_fma_f32 v81, s19, v105, -v68
	v_exp_f32_e32 v69, v69
	s_delay_alu instid0(VALU_DEP_3) | instskip(SKIP_1) | instid1(VALU_DEP_2)
	v_exp_f32_e32 v70, v70
	v_mul_f32_e32 v77, 0x3fb8aa3b, v76
	v_mul_f32_e32 v81, 0x3fb8aa3b, v81
	s_delay_alu instid0(TRANS32_DEP_3) | instskip(SKIP_1) | instid1(VALU_DEP_3)
	v_cndmask_b32_e64 v83, 0, v71, s4
	v_fma_f32 v71, s19, v123, -v68
	v_exp_f32_e32 v81, v81
	s_delay_alu instid0(TRANS32_DEP_3) | instskip(NEXT) | instid1(TRANS32_DEP_2)
	v_cndmask_b32_e64 v80, 0, v69, s3
	v_cndmask_b32_e32 v76, 0, v70, vcc_lo
	v_fma_f32 v69, s19, v121, -v68
	v_mul_f32_e32 v72, 0x3fb8aa3b, v72
	v_exp_f32_e32 v77, v77
	v_dual_add_f32 v70, 0, v80 :: v_dual_mul_f32 v71, 0x3fb8aa3b, v71
	s_delay_alu instid0(VALU_DEP_3) | instskip(NEXT) | instid1(VALU_DEP_3)
	v_mul_f32_e32 v69, 0x3fb8aa3b, v69
	v_exp_f32_e32 v72, v72
	v_cmp_gt_u32_e64 s3, 16, v67
	s_delay_alu instid0(VALU_DEP_3) | instskip(NEXT) | instid1(VALU_DEP_2)
	v_exp_f32_e32 v71, v71
	v_exp_f32_e32 v69, v69
	v_cndmask_b32_e64 v86, 0, v77, s6
	v_fma_f32 v77, s19, v101, -v68
	v_add_f32_e32 v70, v70, v76
	s_delay_alu instid0(TRANS32_DEP_3) | instskip(SKIP_1) | instid1(VALU_DEP_3)
	v_cndmask_b32_e64 v85, 0, v72, s5
	v_fma_f32 v72, s19, v100, -v68
	v_dual_mul_f32 v77, 0x3fb8aa3b, v77 :: v_dual_add_f32 v70, v70, v83
	s_delay_alu instid0(TRANS32_DEP_2) | instskip(SKIP_1) | instid1(TRANS32_DEP_1)
	v_cndmask_b32_e64 v88, 0, v71, s9
	v_fma_f32 v71, s19, v104, -v68
	v_cndmask_b32_e64 v87, 0, v69, s7
	s_delay_alu instid0(VALU_DEP_4) | instskip(NEXT) | instid1(VALU_DEP_2)
	v_exp_f32_e32 v77, v77
	v_dual_add_f32 v70, v70, v85 :: v_dual_mul_f32 v71, 0x3fb8aa3b, v71
	s_delay_alu instid0(VALU_DEP_1) | instskip(SKIP_2) | instid1(VALU_DEP_3)
	v_dual_mul_f32 v72, 0x3fb8aa3b, v72 :: v_dual_add_f32 v69, v70, v86
	v_mul_f32_e32 v78, 0x3fb8aa3b, v78
	v_fma_f32 v70, s19, v102, -v68
	v_exp_f32_e32 v72, v72
	v_exp_f32_e32 v82, v71
	v_add_f32_e32 v69, v69, v87
	v_exp_f32_e32 v78, v78
	v_mul_f32_e32 v70, 0x3fb8aa3b, v70
	s_delay_alu instid0(VALU_DEP_1) | instskip(SKIP_4) | instid1(VALU_DEP_2)
	v_exp_f32_e32 v79, v70
	v_cndmask_b32_e64 v70, 0, v72, s10
	s_waitcnt_depctr 0xfff
	v_cndmask_b32_e64 v84, 0, v78, s8
	v_fma_f32 v78, s19, v103, -v68
	v_add_f32_e32 v69, v69, v84
	v_cndmask_b32_e64 v71, 0, v79, s12
	s_delay_alu instid0(VALU_DEP_2) | instskip(SKIP_2) | instid1(VALU_DEP_1)
	v_add_f32_e32 v72, v69, v88
	v_cndmask_b32_e64 v69, 0, v77, s11
	v_fma_f32 v77, s19, v106, -v68
	v_dual_mul_f32 v77, 0x3fb8aa3b, v77 :: v_dual_add_f32 v72, v72, v70
	v_mul_f32_e32 v78, 0x3fb8aa3b, v78
	s_delay_alu instid0(VALU_DEP_2) | instskip(NEXT) | instid1(VALU_DEP_2)
	v_exp_f32_e32 v90, v77
	v_add_f32_e32 v79, v72, v69
	s_delay_alu instid0(VALU_DEP_2)
	v_exp_f32_e32 v78, v78
	v_cndmask_b32_e64 v77, 0, v82, s15
	s_waitcnt_depctr 0xfff
	v_cndmask_b32_e64 v72, 0, v78, s13
	v_add_f32_e32 v78, v79, v71
	v_fma_f32 v79, s19, v107, -v68
	s_delay_alu instid0(VALU_DEP_1) | instskip(SKIP_1) | instid1(VALU_DEP_2)
	v_dual_add_f32 v82, v78, v72 :: v_dual_mul_f32 v79, 0x3fb8aa3b, v79
	v_cndmask_b32_e64 v78, 0, v81, s16
	v_add_f32_e32 v81, v82, v77
	s_delay_alu instid0(VALU_DEP_3) | instskip(SKIP_1) | instid1(VALU_DEP_2)
	v_exp_f32_e32 v82, v79
	v_cndmask_b32_e64 v79, 0, v90, s17
	v_add_f32_e32 v81, v81, v78
	s_delay_alu instid0(VALU_DEP_1) | instskip(SKIP_2) | instid1(VALU_DEP_1)
	v_add_f32_e32 v90, v81, v79
	s_waitcnt_depctr 0xfff
	v_cndmask_b32_e64 v81, 0, v82, s18
	v_add_f32_e32 v82, v90, v81
	ds_bpermute_b32 v89, v89, v82
	s_and_saveexec_b32 s4, s3
	s_cbranch_execz .LBB1444_12
; %bb.11:
	v_mul_u32_u24_e32 v67, 0x44, v66
	s_delay_alu instid0(VALU_DEP_1) | instskip(SKIP_1) | instid1(VALU_DEP_1)
	v_lshl_add_u32 v67, v65, 2, v67
	s_waitcnt lgkmcnt(0)
	v_dual_add_f32 v82, v82, v89 :: v_dual_add_nc_u32 v67, 0x4000, v67
	ds_store_2addr_b32 v67, v68, v82 offset1:136
.LBB1444_12:
	s_or_b32 exec_lo, exec_lo, s4
	v_lshlrev_b32_e32 v67, 2, v65
	s_waitcnt lgkmcnt(0)
	s_barrier
	buffer_gl0_inv
	v_cmp_eq_u32_e32 vcc_lo, 1, v66
	v_add_nc_u32_e32 v82, 0x4000, v67
	v_cmp_eq_u32_e64 s4, 2, v66
	v_cmp_eq_u32_e64 s6, 7, v66
	ds_load_2addr_b32 v[89:90], v82 offset1:17
	ds_load_2addr_b32 v[91:92], v82 offset0:34 offset1:51
	ds_load_2addr_b32 v[93:94], v82 offset0:68 offset1:85
	;; [unrolled: 1-line block ×4, first 2 shown]
	s_waitcnt lgkmcnt(4)
	v_max3_f32 v67, v89, 0xff7fffff, v90
	s_waitcnt lgkmcnt(3)
	s_delay_alu instid0(VALU_DEP_1) | instskip(SKIP_1) | instid1(VALU_DEP_1)
	v_max3_f32 v67, v67, v91, v92
	s_waitcnt lgkmcnt(2)
	v_max3_f32 v67, v67, v93, v94
	s_waitcnt lgkmcnt(1)
	s_delay_alu instid0(VALU_DEP_1) | instskip(NEXT) | instid1(VALU_DEP_1)
	v_max3_f32 v67, v67, v95, v96
	v_sub_f32_e32 v93, v93, v67
	s_delay_alu instid0(VALU_DEP_1) | instskip(NEXT) | instid1(VALU_DEP_1)
	v_dual_sub_f32 v68, v89, v67 :: v_dual_mul_f32 v103, 0x3fb8aa3b, v93
	v_mul_f32_e32 v68, 0x3fb8aa3b, v68
	s_delay_alu instid0(VALU_DEP_1)
	v_exp_f32_e32 v100, v68
	v_sub_f32_e32 v68, v92, v67
	v_sub_f32_e32 v99, v90, v67
	ds_load_2addr_b32 v[89:90], v82 offset0:170 offset1:187
	v_dual_mul_f32 v102, 0x3fb8aa3b, v68 :: v_dual_mul_f32 v99, 0x3fb8aa3b, v99
	s_waitcnt lgkmcnt(1)
	v_fma_f32 v68, v100, v97, 0
	s_delay_alu instid0(VALU_DEP_2) | instskip(NEXT) | instid1(VALU_DEP_2)
	v_exp_f32_e32 v102, v102
	v_exp_f32_e32 v99, v99
	s_waitcnt_depctr 0xfff
	v_fmac_f32_e32 v68, v99, v98
	v_sub_f32_e32 v91, v91, v67
	s_delay_alu instid0(VALU_DEP_1)
	v_mul_f32_e32 v101, 0x3fb8aa3b, v91
	ds_load_2addr_b32 v[91:92], v82 offset0:204 offset1:221
	v_sub_f32_e32 v97, v94, v67
	ds_load_2addr_b32 v[93:94], v82 offset0:238 offset1:255
	s_waitcnt lgkmcnt(0)
	v_exp_f32_e32 v101, v101
	s_barrier
	buffer_gl0_inv
	v_dual_fmac_f32 v68, v101, v89 :: v_dual_sub_f32 v89, v96, v67
	v_dual_sub_f32 v82, v95, v67 :: v_dual_mul_f32 v95, 0x3fb8aa3b, v97
	v_exp_f32_e32 v97, v103
	s_delay_alu instid0(VALU_DEP_2) | instskip(NEXT) | instid1(VALU_DEP_2)
	v_dual_fmac_f32 v68, v102, v90 :: v_dual_mul_f32 v89, 0x3fb8aa3b, v89
	v_mul_f32_e32 v82, 0x3fb8aa3b, v82
	s_delay_alu instid0(VALU_DEP_3) | instskip(NEXT) | instid1(VALU_DEP_2)
	v_exp_f32_e32 v95, v95
	v_exp_f32_e32 v89, v89
	s_delay_alu instid0(VALU_DEP_1)
	v_exp_f32_e32 v82, v82
	v_fmac_f32_e32 v68, v97, v91
	s_delay_alu instid0(TRANS32_DEP_3) | instid1(VALU_DEP_1)
	v_fmac_f32_e32 v68, v95, v92
	s_waitcnt_depctr 0xfff
	v_fmac_f32_e32 v68, v82, v93
	s_delay_alu instid0(VALU_DEP_1) | instskip(NEXT) | instid1(VALU_DEP_1)
	v_fmac_f32_e32 v68, v89, v94
	v_add_f32_e32 v90, 0x358637bd, v68
	s_delay_alu instid0(VALU_DEP_1) | instskip(NEXT) | instid1(VALU_DEP_1)
	v_div_scale_f32 v91, null, v90, v90, 1.0
	v_rcp_f32_e32 v92, v91
	s_waitcnt_depctr 0xfff
	v_fma_f32 v93, -v91, v92, 1.0
	s_delay_alu instid0(VALU_DEP_1) | instskip(SKIP_1) | instid1(VALU_DEP_2)
	v_dual_fmac_f32 v92, v93, v92 :: v_dual_cndmask_b32 v93, v100, v99
	v_cmp_eq_u32_e32 vcc_lo, 3, v66
	v_cndmask_b32_e64 v93, v93, v101, s4
	v_cmp_eq_u32_e64 s4, 4, v66
	s_delay_alu instid0(VALU_DEP_2) | instskip(SKIP_1) | instid1(VALU_DEP_2)
	v_cndmask_b32_e32 v93, v93, v102, vcc_lo
	v_cmp_eq_u32_e32 vcc_lo, 5, v66
	v_cndmask_b32_e64 v93, v93, v97, s4
	v_cmp_eq_u32_e64 s4, 6, v66
	s_delay_alu instid0(VALU_DEP_2) | instskip(SKIP_1) | instid1(VALU_DEP_1)
	v_cndmask_b32_e32 v93, v93, v95, vcc_lo
	v_div_scale_f32 v94, s5, 1.0, v90, 1.0
	s_mov_b32 vcc_lo, s5
	s_delay_alu instid0(VALU_DEP_2) | instskip(NEXT) | instid1(VALU_DEP_2)
	v_cndmask_b32_e64 v82, v93, v82, s4
	v_mul_f32_e32 v96, v94, v92
	s_mov_b32 s4, exec_lo
	s_delay_alu instid0(VALU_DEP_2) | instskip(NEXT) | instid1(VALU_DEP_2)
	v_cndmask_b32_e64 v82, v82, v89, s6
	v_fma_f32 v98, -v91, v96, v94
	s_delay_alu instid0(VALU_DEP_1) | instskip(NEXT) | instid1(VALU_DEP_1)
	v_fmac_f32_e32 v96, v98, v92
	v_fma_f32 v91, -v91, v96, v94
	s_delay_alu instid0(VALU_DEP_1) | instskip(NEXT) | instid1(VALU_DEP_1)
	v_div_fmas_f32 v91, v91, v92, v96
	v_div_fixup_f32 v90, v91, v90, 1.0
	s_delay_alu instid0(VALU_DEP_1) | instskip(NEXT) | instid1(VALU_DEP_1)
	v_mul_f32_e32 v82, v82, v90
	v_mul_f32_e32 v87, v82, v87
	;; [unrolled: 1-line block ×7, first 2 shown]
	v_dual_mul_f32 v86, v82, v83 :: v_dual_and_b32 v91, 0x7f800000, v90
	v_mul_f32_e32 v85, v82, v76
                                        ; implicit-def: $vgpr76
	s_delay_alu instid0(VALU_DEP_2)
	v_cmpx_ne_u32_e32 0x7f800000, v91
	s_xor_b32 s4, exec_lo, s4
; %bb.13:
	v_bfe_u32 v76, v90, 16, 1
	s_delay_alu instid0(VALU_DEP_1)
	v_add3_u32 v76, v90, v76, 0x7fff
                                        ; implicit-def: $vgpr90
; %bb.14:
	s_and_not1_saveexec_b32 s4, s4
; %bb.15:
	v_and_b32_e32 v76, 0xffff, v90
	v_or_b32_e32 v83, 0x10000, v90
	s_delay_alu instid0(VALU_DEP_2) | instskip(NEXT) | instid1(VALU_DEP_2)
	v_cmp_eq_u32_e32 vcc_lo, 0, v76
	v_cndmask_b32_e32 v76, v83, v90, vcc_lo
; %bb.16:
	s_or_b32 exec_lo, exec_lo, s4
	v_and_b32_e32 v83, 0x7f800000, v85
	s_delay_alu instid0(VALU_DEP_1) | instskip(SKIP_1) | instid1(SALU_CYCLE_1)
	v_cmp_ne_u32_e32 vcc_lo, 0x7f800000, v83
                                        ; implicit-def: $vgpr83
	s_and_saveexec_b32 s4, vcc_lo
	s_xor_b32 s4, exec_lo, s4
; %bb.17:
	v_bfe_u32 v83, v85, 16, 1
	s_delay_alu instid0(VALU_DEP_1)
	v_add3_u32 v83, v85, v83, 0x7fff
                                        ; implicit-def: $vgpr85
; %bb.18:
	s_and_not1_saveexec_b32 s4, s4
; %bb.19:
	v_and_b32_e32 v83, 0xffff, v85
	v_or_b32_e32 v90, 0x10000, v85
	s_delay_alu instid0(VALU_DEP_2) | instskip(NEXT) | instid1(VALU_DEP_2)
	v_cmp_eq_u32_e32 vcc_lo, 0, v83
	v_cndmask_b32_e32 v83, v90, v85, vcc_lo
; %bb.20:
	s_or_b32 exec_lo, exec_lo, s4
	v_and_b32_e32 v85, 0x7f800000, v86
	s_delay_alu instid0(VALU_DEP_1) | instskip(SKIP_1) | instid1(SALU_CYCLE_1)
	v_cmp_ne_u32_e32 vcc_lo, 0x7f800000, v85
                                        ; implicit-def: $vgpr85
	s_and_saveexec_b32 s4, vcc_lo
	s_xor_b32 s4, exec_lo, s4
; %bb.21:
	v_bfe_u32 v85, v86, 16, 1
	s_delay_alu instid0(VALU_DEP_1)
	v_add3_u32 v85, v86, v85, 0x7fff
                                        ; implicit-def: $vgpr86
; %bb.22:
	s_and_not1_saveexec_b32 s4, s4
; %bb.23:
	v_and_b32_e32 v85, 0xffff, v86
	v_or_b32_e32 v90, 0x10000, v86
	s_delay_alu instid0(VALU_DEP_2) | instskip(NEXT) | instid1(VALU_DEP_2)
	v_cmp_eq_u32_e32 vcc_lo, 0, v85
	v_cndmask_b32_e32 v85, v90, v86, vcc_lo
; %bb.24:
	s_or_b32 exec_lo, exec_lo, s4
	v_and_b32_e32 v86, 0x7f800000, v89
	s_delay_alu instid0(VALU_DEP_1) | instskip(SKIP_1) | instid1(SALU_CYCLE_1)
	v_cmp_ne_u32_e32 vcc_lo, 0x7f800000, v86
                                        ; implicit-def: $vgpr86
	s_and_saveexec_b32 s4, vcc_lo
	s_xor_b32 s4, exec_lo, s4
; %bb.25:
	v_bfe_u32 v86, v89, 16, 1
	s_delay_alu instid0(VALU_DEP_1)
	v_add3_u32 v86, v89, v86, 0x7fff
                                        ; implicit-def: $vgpr89
; %bb.26:
	s_and_not1_saveexec_b32 s4, s4
; %bb.27:
	v_and_b32_e32 v86, 0xffff, v89
	v_or_b32_e32 v90, 0x10000, v89
	s_delay_alu instid0(VALU_DEP_2) | instskip(NEXT) | instid1(VALU_DEP_2)
	v_cmp_eq_u32_e32 vcc_lo, 0, v86
	v_cndmask_b32_e32 v86, v90, v89, vcc_lo
; %bb.28:
	s_or_b32 exec_lo, exec_lo, s4
	v_and_b32_e32 v89, 0x7f800000, v88
	s_delay_alu instid0(VALU_DEP_1) | instskip(SKIP_1) | instid1(SALU_CYCLE_1)
	v_cmp_ne_u32_e32 vcc_lo, 0x7f800000, v89
                                        ; implicit-def: $vgpr89
	s_and_saveexec_b32 s4, vcc_lo
	s_xor_b32 s4, exec_lo, s4
; %bb.29:
	v_bfe_u32 v89, v88, 16, 1
	s_delay_alu instid0(VALU_DEP_1)
	v_add3_u32 v89, v88, v89, 0x7fff
                                        ; implicit-def: $vgpr88
; %bb.30:
	s_and_not1_saveexec_b32 s4, s4
; %bb.31:
	v_and_b32_e32 v89, 0xffff, v88
	v_or_b32_e32 v90, 0x10000, v88
	s_delay_alu instid0(VALU_DEP_2) | instskip(NEXT) | instid1(VALU_DEP_2)
	v_cmp_eq_u32_e32 vcc_lo, 0, v89
	v_cndmask_b32_e32 v89, v90, v88, vcc_lo
; %bb.32:
	s_or_b32 exec_lo, exec_lo, s4
	v_and_b32_e32 v88, 0x7f800000, v87
	s_delay_alu instid0(VALU_DEP_1) | instskip(SKIP_1) | instid1(SALU_CYCLE_1)
	v_cmp_ne_u32_e32 vcc_lo, 0x7f800000, v88
                                        ; implicit-def: $vgpr88
	s_and_saveexec_b32 s4, vcc_lo
	s_xor_b32 s4, exec_lo, s4
; %bb.33:
	v_bfe_u32 v88, v87, 16, 1
	s_delay_alu instid0(VALU_DEP_1)
	v_add3_u32 v88, v87, v88, 0x7fff
                                        ; implicit-def: $vgpr87
; %bb.34:
	s_and_not1_saveexec_b32 s4, s4
; %bb.35:
	v_and_b32_e32 v88, 0xffff, v87
	v_or_b32_e32 v90, 0x10000, v87
	s_delay_alu instid0(VALU_DEP_2) | instskip(NEXT) | instid1(VALU_DEP_2)
	v_cmp_eq_u32_e32 vcc_lo, 0, v88
	v_cndmask_b32_e32 v88, v90, v87, vcc_lo
; %bb.36:
	s_or_b32 exec_lo, exec_lo, s4
	v_and_b32_e32 v87, 0x7f800000, v84
	s_delay_alu instid0(VALU_DEP_1) | instskip(SKIP_1) | instid1(SALU_CYCLE_1)
	v_cmp_ne_u32_e32 vcc_lo, 0x7f800000, v87
                                        ; implicit-def: $vgpr87
	s_and_saveexec_b32 s4, vcc_lo
	s_xor_b32 s4, exec_lo, s4
; %bb.37:
	v_bfe_u32 v87, v84, 16, 1
	s_delay_alu instid0(VALU_DEP_1)
	v_add3_u32 v87, v84, v87, 0x7fff
                                        ; implicit-def: $vgpr84
; %bb.38:
	s_and_not1_saveexec_b32 s4, s4
; %bb.39:
	v_and_b32_e32 v87, 0xffff, v84
	v_or_b32_e32 v90, 0x10000, v84
	s_delay_alu instid0(VALU_DEP_2) | instskip(NEXT) | instid1(VALU_DEP_2)
	v_cmp_eq_u32_e32 vcc_lo, 0, v87
	v_cndmask_b32_e32 v87, v90, v84, vcc_lo
; %bb.40:
	s_or_b32 exec_lo, exec_lo, s4
	v_and_b32_e32 v84, 0x7f800000, v80
	s_delay_alu instid0(VALU_DEP_1) | instskip(SKIP_1) | instid1(SALU_CYCLE_1)
	v_cmp_ne_u32_e32 vcc_lo, 0x7f800000, v84
                                        ; implicit-def: $vgpr84
	s_and_saveexec_b32 s4, vcc_lo
	s_xor_b32 s4, exec_lo, s4
; %bb.41:
	v_bfe_u32 v84, v80, 16, 1
	s_delay_alu instid0(VALU_DEP_1)
	v_add3_u32 v84, v80, v84, 0x7fff
                                        ; implicit-def: $vgpr80
; %bb.42:
	s_and_not1_saveexec_b32 s4, s4
; %bb.43:
	v_and_b32_e32 v84, 0xffff, v80
	v_or_b32_e32 v90, 0x10000, v80
	s_delay_alu instid0(VALU_DEP_2) | instskip(NEXT) | instid1(VALU_DEP_2)
	v_cmp_eq_u32_e32 vcc_lo, 0, v84
	v_cndmask_b32_e32 v84, v90, v80, vcc_lo
; %bb.44:
	s_or_b32 exec_lo, exec_lo, s4
	s_load_b64 s[36:37], s[0:1], 0x94
	v_lshlrev_b32_e32 v91, 4, v74
	s_delay_alu instid0(VALU_DEP_2)
	v_perm_b32 v90, v84, v87, 0x7060302
	v_dual_mul_f32 v79, v82, v79 :: v_dual_lshlrev_b32 v80, 6, v65
	v_dual_mul_f32 v77, v82, v77 :: v_dual_lshlrev_b32 v92, 11, v66
	v_mul_f32_e32 v84, v82, v70
	v_perm_b32 v89, v88, v89, 0x7060302
	v_perm_b32 v88, v86, v85, 0x7060302
	;; [unrolled: 1-line block ×3, first 2 shown]
	v_mul_f32_e32 v70, v82, v81
	v_or3_b32 v76, v91, v92, v80
	v_dual_mul_f32 v78, v82, v78 :: v_dual_and_b32 v85, 0x7f800000, v84
	v_mul_f32_e32 v83, v82, v72
	v_mul_f32_e32 v81, v82, v71
	;; [unrolled: 1-line block ×3, first 2 shown]
	s_mov_b32 s4, exec_lo
	ds_store_b128 v76, v[87:90]
                                        ; implicit-def: $vgpr69
	v_cmpx_ne_u32_e32 0x7f800000, v85
	s_xor_b32 s4, exec_lo, s4
; %bb.45:
	v_bfe_u32 v69, v84, 16, 1
	s_delay_alu instid0(VALU_DEP_1)
	v_add3_u32 v69, v84, v69, 0x7fff
                                        ; implicit-def: $vgpr84
; %bb.46:
	s_and_not1_saveexec_b32 s4, s4
; %bb.47:
	v_and_b32_e32 v69, 0xffff, v84
	v_or_b32_e32 v71, 0x10000, v84
	s_delay_alu instid0(VALU_DEP_2) | instskip(NEXT) | instid1(VALU_DEP_2)
	v_cmp_eq_u32_e32 vcc_lo, 0, v69
	v_cndmask_b32_e32 v69, v71, v84, vcc_lo
; %bb.48:
	s_or_b32 exec_lo, exec_lo, s4
	v_and_b32_e32 v71, 0x7f800000, v72
	s_delay_alu instid0(VALU_DEP_1) | instskip(SKIP_1) | instid1(SALU_CYCLE_1)
	v_cmp_ne_u32_e32 vcc_lo, 0x7f800000, v71
                                        ; implicit-def: $vgpr71
	s_and_saveexec_b32 s4, vcc_lo
	s_xor_b32 s4, exec_lo, s4
; %bb.49:
	v_bfe_u32 v71, v72, 16, 1
	s_delay_alu instid0(VALU_DEP_1)
	v_add3_u32 v71, v72, v71, 0x7fff
                                        ; implicit-def: $vgpr72
; %bb.50:
	s_and_not1_saveexec_b32 s4, s4
; %bb.51:
	v_and_b32_e32 v71, 0xffff, v72
	v_or_b32_e32 v82, 0x10000, v72
	s_delay_alu instid0(VALU_DEP_2) | instskip(NEXT) | instid1(VALU_DEP_2)
	v_cmp_eq_u32_e32 vcc_lo, 0, v71
	v_cndmask_b32_e32 v71, v82, v72, vcc_lo
; %bb.52:
	s_or_b32 exec_lo, exec_lo, s4
	v_and_b32_e32 v72, 0x7f800000, v81
	s_delay_alu instid0(VALU_DEP_1) | instskip(SKIP_1) | instid1(SALU_CYCLE_1)
	v_cmp_ne_u32_e32 vcc_lo, 0x7f800000, v72
                                        ; implicit-def: $vgpr72
	s_and_saveexec_b32 s4, vcc_lo
	s_xor_b32 s4, exec_lo, s4
; %bb.53:
	v_bfe_u32 v72, v81, 16, 1
	s_delay_alu instid0(VALU_DEP_1)
	v_add3_u32 v72, v81, v72, 0x7fff
                                        ; implicit-def: $vgpr81
; %bb.54:
	s_and_not1_saveexec_b32 s4, s4
; %bb.55:
	v_and_b32_e32 v72, 0xffff, v81
	v_or_b32_e32 v82, 0x10000, v81
	s_delay_alu instid0(VALU_DEP_2) | instskip(NEXT) | instid1(VALU_DEP_2)
	v_cmp_eq_u32_e32 vcc_lo, 0, v72
	v_cndmask_b32_e32 v72, v82, v81, vcc_lo
; %bb.56:
	s_or_b32 exec_lo, exec_lo, s4
	v_and_b32_e32 v81, 0x7f800000, v83
	s_delay_alu instid0(VALU_DEP_1) | instskip(SKIP_1) | instid1(SALU_CYCLE_1)
	v_cmp_ne_u32_e32 vcc_lo, 0x7f800000, v81
                                        ; implicit-def: $vgpr81
	s_and_saveexec_b32 s4, vcc_lo
	s_xor_b32 s4, exec_lo, s4
; %bb.57:
	v_bfe_u32 v81, v83, 16, 1
	s_delay_alu instid0(VALU_DEP_1)
	v_add3_u32 v81, v83, v81, 0x7fff
                                        ; implicit-def: $vgpr83
; %bb.58:
	s_and_not1_saveexec_b32 s4, s4
; %bb.59:
	v_and_b32_e32 v81, 0xffff, v83
	v_or_b32_e32 v82, 0x10000, v83
	s_delay_alu instid0(VALU_DEP_2) | instskip(NEXT) | instid1(VALU_DEP_2)
	v_cmp_eq_u32_e32 vcc_lo, 0, v81
	v_cndmask_b32_e32 v81, v82, v83, vcc_lo
; %bb.60:
	s_or_b32 exec_lo, exec_lo, s4
	v_and_b32_e32 v82, 0x7f800000, v77
	s_delay_alu instid0(VALU_DEP_1) | instskip(SKIP_1) | instid1(SALU_CYCLE_1)
	v_cmp_ne_u32_e32 vcc_lo, 0x7f800000, v82
                                        ; implicit-def: $vgpr82
	s_and_saveexec_b32 s4, vcc_lo
	s_xor_b32 s4, exec_lo, s4
; %bb.61:
	v_bfe_u32 v82, v77, 16, 1
	s_delay_alu instid0(VALU_DEP_1)
	v_add3_u32 v82, v77, v82, 0x7fff
                                        ; implicit-def: $vgpr77
; %bb.62:
	s_and_not1_saveexec_b32 s4, s4
; %bb.63:
	v_and_b32_e32 v82, 0xffff, v77
	v_or_b32_e32 v83, 0x10000, v77
	s_delay_alu instid0(VALU_DEP_2) | instskip(NEXT) | instid1(VALU_DEP_2)
	v_cmp_eq_u32_e32 vcc_lo, 0, v82
	v_cndmask_b32_e32 v82, v83, v77, vcc_lo
; %bb.64:
	s_or_b32 exec_lo, exec_lo, s4
	v_and_b32_e32 v77, 0x7f800000, v78
	s_delay_alu instid0(VALU_DEP_1) | instskip(SKIP_1) | instid1(SALU_CYCLE_1)
	v_cmp_ne_u32_e32 vcc_lo, 0x7f800000, v77
                                        ; implicit-def: $vgpr77
	s_and_saveexec_b32 s4, vcc_lo
	s_xor_b32 s4, exec_lo, s4
; %bb.65:
	v_bfe_u32 v77, v78, 16, 1
	s_delay_alu instid0(VALU_DEP_1)
	v_add3_u32 v77, v78, v77, 0x7fff
                                        ; implicit-def: $vgpr78
; %bb.66:
	s_and_not1_saveexec_b32 s4, s4
; %bb.67:
	v_and_b32_e32 v77, 0xffff, v78
	v_or_b32_e32 v83, 0x10000, v78
	s_delay_alu instid0(VALU_DEP_2) | instskip(NEXT) | instid1(VALU_DEP_2)
	v_cmp_eq_u32_e32 vcc_lo, 0, v77
	v_cndmask_b32_e32 v77, v83, v78, vcc_lo
; %bb.68:
	s_or_b32 exec_lo, exec_lo, s4
	v_and_b32_e32 v78, 0x7f800000, v79
	s_delay_alu instid0(VALU_DEP_1) | instskip(SKIP_1) | instid1(SALU_CYCLE_1)
	v_cmp_ne_u32_e32 vcc_lo, 0x7f800000, v78
                                        ; implicit-def: $vgpr78
	s_and_saveexec_b32 s4, vcc_lo
	s_xor_b32 s4, exec_lo, s4
; %bb.69:
	v_bfe_u32 v78, v79, 16, 1
	s_delay_alu instid0(VALU_DEP_1)
	v_add3_u32 v78, v79, v78, 0x7fff
                                        ; implicit-def: $vgpr79
; %bb.70:
	s_and_not1_saveexec_b32 s4, s4
; %bb.71:
	v_and_b32_e32 v78, 0xffff, v79
	v_or_b32_e32 v83, 0x10000, v79
	s_delay_alu instid0(VALU_DEP_2) | instskip(NEXT) | instid1(VALU_DEP_2)
	v_cmp_eq_u32_e32 vcc_lo, 0, v78
	v_cndmask_b32_e32 v78, v83, v79, vcc_lo
; %bb.72:
	s_or_b32 exec_lo, exec_lo, s4
	v_and_b32_e32 v79, 0x7f800000, v70
	s_delay_alu instid0(VALU_DEP_1) | instskip(SKIP_1) | instid1(SALU_CYCLE_1)
	v_cmp_ne_u32_e32 vcc_lo, 0x7f800000, v79
                                        ; implicit-def: $vgpr79
	s_and_saveexec_b32 s4, vcc_lo
	s_xor_b32 s4, exec_lo, s4
; %bb.73:
	v_bfe_u32 v79, v70, 16, 1
	s_delay_alu instid0(VALU_DEP_1)
	v_add3_u32 v79, v70, v79, 0x7fff
                                        ; implicit-def: $vgpr70
; %bb.74:
	s_and_not1_saveexec_b32 s4, s4
; %bb.75:
	v_and_b32_e32 v79, 0xffff, v70
	v_or_b32_e32 v83, 0x10000, v70
	s_delay_alu instid0(VALU_DEP_2) | instskip(NEXT) | instid1(VALU_DEP_2)
	v_cmp_eq_u32_e32 vcc_lo, 0, v79
	v_cndmask_b32_e32 v79, v83, v70, vcc_lo
; %bb.76:
	s_or_b32 exec_lo, exec_lo, s4
	s_delay_alu instid0(VALU_DEP_1)
	v_perm_b32 v86, v79, v78, 0x7060302
	v_perm_b32 v85, v77, v82, 0x7060302
	;; [unrolled: 1-line block ×4, first 2 shown]
	v_lshl_or_b32 v82, v66, 11, v80
	ds_store_b128 v76, v[83:86] offset:1024
	s_waitcnt lgkmcnt(0)
	s_barrier
	buffer_gl0_inv
	ds_load_b128 v[69:72], v82
	ds_load_b128 v[83:86], v82 offset:16
	s_waitcnt lgkmcnt(1)
	v_lshrrev_b32_e32 v66, 16, v69
	s_waitcnt lgkmcnt(0)
	v_lshrrev_b32_e32 v91, 16, v83
	v_lshlrev_b32_e32 v78, 2, v74
	v_lshrrev_b32_e32 v95, 16, v70
	v_lshrrev_b32_e32 v98, 16, v84
	;; [unrolled: 1-line block ×4, first 2 shown]
	v_cmp_eq_u32_e32 vcc_lo, 1, v78
	v_lshrrev_b32_e32 v97, 16, v72
	v_lshrrev_b32_e32 v100, 16, v86
	v_cndmask_b32_e32 v87, v83, v91, vcc_lo
	v_or_b32_e32 v79, 1, v78
	v_cndmask_b32_e32 v81, v69, v66, vcc_lo
	v_cmp_eq_u32_e64 s5, 2, v78
	v_cmp_eq_u32_e64 s8, 3, v78
	v_cmp_eq_u32_e64 s10, 4, v78
	v_cmp_eq_u32_e64 s4, 1, v79
	v_cmp_eq_u32_e64 s7, 2, v79
	v_cndmask_b32_e64 v81, v81, v70, s5
	v_cndmask_b32_e64 v87, v87, v84, s5
	v_cmp_eq_u32_e64 s9, 3, v79
	v_cndmask_b32_e64 v88, v69, v66, s4
	v_or_b32_e32 v77, 2, v78
	v_cndmask_b32_e64 v81, v81, v95, s8
	v_cndmask_b32_e64 v87, v87, v98, s8
	;; [unrolled: 1-line block ×4, first 2 shown]
	v_cmp_eq_u32_e64 s11, 5, v78
	v_cndmask_b32_e64 v81, v81, v71, s10
	v_cndmask_b32_e64 v87, v87, v85, s10
	v_cmp_eq_u32_e64 s12, 4, v79
	v_cndmask_b32_e64 v88, v88, v95, s9
	v_cmp_eq_u32_e64 s6, 1, v77
	v_cndmask_b32_e64 v89, v89, v84, s7
	v_cndmask_b32_e64 v81, v81, v96, s11
	v_cmp_eq_u32_e64 s13, 6, v78
	v_cndmask_b32_e64 v88, v88, v71, s12
	;; [unrolled: 3-line block ×3, first 2 shown]
	v_cndmask_b32_e64 v89, v89, v98, s9
	v_cndmask_b32_e64 v81, v81, v72, s13
	v_cmp_eq_u32_e64 s16, 7, v78
	v_cndmask_b32_e64 v88, v88, v96, s15
	v_cndmask_b32_e64 v87, v87, v86, s13
	v_cmp_eq_u32_e64 s17, 6, v79
	v_cmp_eq_u32_e64 s18, 2, v77
	v_cndmask_b32_e64 v89, v89, v85, s12
	v_cndmask_b32_e64 v101, v81, v97, s16
	;; [unrolled: 1-line block ×6, first 2 shown]
	v_cmp_eq_u32_e64 s19, 7, v79
	v_cmp_eq_u32_e64 s20, 3, v77
	;; [unrolled: 1-line block ×4, first 2 shown]
	v_cndmask_b32_e64 v87, v87, v84, s18
	v_cndmask_b32_e64 v103, v88, v97, s19
	;; [unrolled: 1-line block ×4, first 2 shown]
	v_or_b32_e32 v81, 3, v78
	v_cndmask_b32_e64 v93, v87, v98, s20
	v_cmp_eq_u32_e64 s25, 6, v77
	v_cndmask_b32_e64 v104, v88, v86, s17
	v_cndmask_b32_e64 v92, v89, v71, s21
	v_cmp_eq_u32_e64 s22, 1, v81
	ds_load_b128 v[87:90], v82 offset:1024
	v_cmp_eq_u32_e64 s24, 2, v81
	v_cmp_eq_u32_e64 s26, 3, v81
	v_cndmask_b32_e64 v105, v92, v96, s23
	v_cndmask_b32_e64 v66, v69, v66, s22
	;; [unrolled: 1-line block ×4, first 2 shown]
	ds_load_b128 v[91:94], v82 offset:1040
	v_cmp_eq_u32_e64 s27, 4, v81
	v_cndmask_b32_e64 v66, v66, v70, s24
	v_cmp_eq_u32_e64 s28, 7, v77
	v_cndmask_b32_e64 v70, v83, v84, s24
	v_cndmask_b32_e64 v84, v105, v72, s25
	v_cmp_eq_u32_e64 s29, 5, v81
	v_cndmask_b32_e64 v66, v66, v95, s26
	v_cmp_eq_u32_e64 s30, 6, v81
	v_cndmask_b32_e64 v70, v70, v98, s26
	v_cndmask_b32_e64 v69, v69, v99, s23
	v_cndmask_b32_e64 v83, v104, v100, s19
	v_cndmask_b32_e64 v66, v66, v71, s27
	s_waitcnt lgkmcnt(1)
	v_lshrrev_b32_e32 v95, 16, v87
	v_cndmask_b32_e64 v70, v70, v85, s27
	v_cndmask_b32_e64 v71, v84, v97, s28
	;; [unrolled: 1-line block ×4, first 2 shown]
	v_cndmask_b32_e32 v84, v87, v95, vcc_lo
	v_cndmask_b32_e64 v70, v70, v99, s29
	s_waitcnt lgkmcnt(0)
	v_lshrrev_b32_e32 v85, 16, v91
	v_lshrrev_b32_e32 v96, 16, v88
	v_cndmask_b32_e64 v98, v87, v95, s4
	v_cndmask_b32_e64 v84, v84, v88, s5
	;; [unrolled: 1-line block ×3, first 2 shown]
	v_cndmask_b32_e32 v99, v91, v85, vcc_lo
	v_cmp_eq_u32_e32 vcc_lo, 7, v81
	v_cndmask_b32_e64 v66, v66, v72, s30
	v_cndmask_b32_e64 v72, v84, v96, s8
	;; [unrolled: 1-line block ×3, first 2 shown]
	v_lshrrev_b32_e32 v98, 16, v92
	v_cndmask_b32_e32 v70, v70, v100, vcc_lo
	v_cndmask_b32_e64 v86, v99, v92, s5
	v_cndmask_b32_e64 v69, v69, v100, s28
	v_lshrrev_b32_e32 v100, 16, v93
	v_cndmask_b32_e64 v72, v72, v89, s10
	v_lshrrev_b32_e32 v99, 16, v89
	v_cndmask_b32_e64 v86, v86, v98, s8
	v_perm_b32 v71, v69, v71, 0x5040100
	v_cndmask_b32_e64 v84, v84, v96, s9
	s_delay_alu instid0(VALU_DEP_3) | instskip(NEXT) | instid1(VALU_DEP_2)
	v_cndmask_b32_e64 v86, v86, v93, s10
	v_cndmask_b32_e64 v84, v84, v89, s12
	s_delay_alu instid0(VALU_DEP_2) | instskip(NEXT) | instid1(VALU_DEP_1)
	v_cndmask_b32_e64 v86, v86, v100, s11
	v_cndmask_b32_e64 v69, v86, v94, s13
	;; [unrolled: 1-line block ×5, first 2 shown]
	s_delay_alu instid0(VALU_DEP_3) | instskip(NEXT) | instid1(VALU_DEP_3)
	v_cndmask_b32_e64 v86, v86, v88, s18
	v_cndmask_b32_e64 v87, v87, v88, s24
	s_delay_alu instid0(VALU_DEP_3) | instskip(NEXT) | instid1(VALU_DEP_3)
	v_cndmask_b32_e64 v88, v95, v92, s24
	v_cndmask_b32_e64 v86, v86, v96, s20
	;; [unrolled: 3-line block ×7, first 2 shown]
	s_delay_alu instid0(VALU_DEP_3) | instskip(SKIP_2) | instid1(VALU_DEP_2)
	v_cndmask_b32_e64 v88, v88, v94, s30
	v_cndmask_b32_e32 v66, v66, v97, vcc_lo
	v_cndmask_b32_e64 v97, v72, v99, s11
	v_perm_b32 v72, v70, v66, 0x5040100
	v_perm_b32 v70, v83, v103, 0x5040100
	v_cndmask_b32_e64 v103, v91, v85, s6
	v_cndmask_b32_e64 v85, v91, v85, s4
	;; [unrolled: 1-line block ×4, first 2 shown]
	v_lshrrev_b32_e32 v97, 16, v90
	v_cndmask_b32_e64 v91, v103, v92, s18
	v_cndmask_b32_e64 v85, v85, v92, s7
	;; [unrolled: 1-line block ×3, first 2 shown]
	s_mov_b32 s4, exec_lo
	v_cndmask_b32_e64 v83, v84, v97, s16
	v_cndmask_b32_e64 v91, v91, v98, s20
	;; [unrolled: 1-line block ×3, first 2 shown]
	v_lshrrev_b32_e32 v84, 16, v94
	v_cndmask_b32_e64 v66, v66, v97, s19
	v_cndmask_b32_e64 v90, v86, v97, s28
	;; [unrolled: 1-line block ×4, first 2 shown]
	v_dual_cndmask_b32 v86, v87, v97 :: v_dual_cndmask_b32 v87, v88, v84
	v_cndmask_b32_e64 v91, v69, v84, s16
	s_delay_alu instid0(VALU_DEP_4) | instskip(NEXT) | instid1(VALU_DEP_4)
	v_cndmask_b32_e64 v89, v89, v100, s23
	v_cndmask_b32_e64 v85, v85, v100, s15
	v_perm_b32 v69, v102, v101, 0x5040100
	v_perm_b32 v86, v87, v86, 0x5040100
	;; [unrolled: 1-line block ×3, first 2 shown]
	v_cndmask_b32_e64 v89, v89, v94, s25
	v_cndmask_b32_e64 v85, v85, v94, s17
	s_mul_i32 s9, s37, 3
	s_delay_alu instid0(VALU_DEP_2) | instskip(NEXT) | instid1(VALU_DEP_2)
	v_cndmask_b32_e64 v88, v89, v84, s28
	v_cndmask_b32_e64 v89, v85, v84, s19
	s_delay_alu instid0(VALU_DEP_2) | instskip(NEXT) | instid1(VALU_DEP_2)
	v_perm_b32 v85, v88, v90, 0x5040100
	v_perm_b32 v84, v89, v66, 0x5040100
	ds_store_b128 v76, v[69:72]
	ds_store_b128 v76, v[83:86] offset:1024
	v_cmpx_gt_u32_e32 3, v0
	s_cbranch_execz .LBB1444_78
; %bb.77:
	s_mul_i32 s5, s9, s34
	s_load_b128 s[16:19], s[0:1], 0x58
	v_add3_u32 v69, s5, s31, v65
	s_delay_alu instid0(VALU_DEP_1) | instskip(NEXT) | instid1(VALU_DEP_1)
	v_mad_u64_u32 v[65:66], null, v69, s36, s[14:15]
	v_ashrrev_i32_e32 v66, 31, v65
	s_delay_alu instid0(VALU_DEP_1) | instskip(SKIP_1) | instid1(VALU_DEP_1)
	v_lshlrev_b64 v[65:66], 2, v[65:66]
	s_waitcnt lgkmcnt(0)
	v_add_co_u32 v69, vcc_lo, s18, v65
	s_delay_alu instid0(VALU_DEP_2)
	v_add_co_ci_u32_e32 v70, vcc_lo, s19, v66, vcc_lo
	v_add_co_u32 v65, vcc_lo, s16, v65
	v_add_co_ci_u32_e32 v66, vcc_lo, s17, v66, vcc_lo
	global_store_b32 v[69:70], v67, off
	global_store_b32 v[65:66], v68, off
.LBB1444_78:
	s_or_b32 exec_lo, exec_lo, s4
	s_waitcnt lgkmcnt(0)
	s_waitcnt_vscnt null, 0x0
	s_barrier
	buffer_gl0_inv
	ds_load_b128 v[83:86], v80
	ds_load_b128 v[87:90], v80 offset:16
	ds_load_b128 v[95:98], v80 offset:2064
	;; [unrolled: 1-line block ×3, first 2 shown]
	v_mov_b32_e32 v65, 0
	ds_load_b128 v[103:106], v80 offset:4112
	ds_load_b128 v[99:102], v80 offset:4096
	;; [unrolled: 1-line block ×4, first 2 shown]
	v_mov_b32_e32 v66, v65
	v_mov_b32_e32 v67, v65
	;; [unrolled: 1-line block ×7, first 2 shown]
	s_waitcnt lgkmcnt(6)
	s_delay_alu instid0(VALU_DEP_1)
	v_wmma_f32_16x16x16_bf16 v[65:72], v[57:64], v[83:90], v[65:72]
	ds_load_b128 v[61:64], v80 offset:8208
	ds_load_b128 v[57:60], v80 offset:8192
	s_waitcnt lgkmcnt(6)
	v_wmma_f32_16x16x16_bf16 v[65:72], v[41:48], v[91:98], v[65:72]
	ds_load_b128 v[45:48], v80 offset:10256
	ds_load_b128 v[41:44], v80 offset:10240
	s_waitcnt lgkmcnt(6)
	;; [unrolled: 4-line block ×4, first 2 shown]
	v_wmma_f32_16x16x16_bf16 v[65:72], v[1:8], v[57:64], v[65:72]
	s_waitcnt lgkmcnt(4)
	s_delay_alu instid0(VALU_DEP_1) | instskip(SKIP_1) | instid1(VALU_DEP_1)
	v_wmma_f32_16x16x16_bf16 v[65:72], v[9:16], v[41:48], v[65:72]
	s_waitcnt lgkmcnt(2)
	v_wmma_f32_16x16x16_bf16 v[65:72], v[17:24], v[33:40], v[65:72]
	s_waitcnt lgkmcnt(0)
	s_delay_alu instid0(VALU_DEP_1) | instskip(NEXT) | instid1(VALU_DEP_1)
	v_wmma_f32_16x16x16_bf16 v[65:72], v[49:56], v[25:32], v[65:72]
	v_and_b32_e32 v1, 0x7f800000, v65
	s_delay_alu instid0(VALU_DEP_1) | instskip(SKIP_1) | instid1(SALU_CYCLE_1)
	v_cmp_ne_u32_e32 vcc_lo, 0x7f800000, v1
                                        ; implicit-def: $vgpr1
	s_and_saveexec_b32 s4, vcc_lo
	s_xor_b32 s4, exec_lo, s4
; %bb.79:
	v_bfe_u32 v1, v65, 16, 1
	s_delay_alu instid0(VALU_DEP_1)
	v_add3_u32 v1, v65, v1, 0x7fff
; %bb.80:
	s_and_not1_saveexec_b32 s4, s4
; %bb.81:
	v_and_b32_e32 v1, 0xffff, v65
	v_or_b32_e32 v2, 0x10000, v65
	s_delay_alu instid0(VALU_DEP_2) | instskip(NEXT) | instid1(VALU_DEP_2)
	v_cmp_eq_u32_e32 vcc_lo, 0, v1
	v_cndmask_b32_e32 v1, v2, v65, vcc_lo
; %bb.82:
	s_or_b32 exec_lo, exec_lo, s4
	v_and_b32_e32 v2, 0x7f800000, v66
	s_delay_alu instid0(VALU_DEP_1) | instskip(SKIP_1) | instid1(SALU_CYCLE_1)
	v_cmp_ne_u32_e32 vcc_lo, 0x7f800000, v2
                                        ; implicit-def: $vgpr2
	s_and_saveexec_b32 s4, vcc_lo
	s_xor_b32 s4, exec_lo, s4
; %bb.83:
	v_bfe_u32 v2, v66, 16, 1
	s_delay_alu instid0(VALU_DEP_1)
	v_add3_u32 v2, v66, v2, 0x7fff
; %bb.84:
	s_and_not1_saveexec_b32 s4, s4
; %bb.85:
	v_and_b32_e32 v2, 0xffff, v66
	v_or_b32_e32 v3, 0x10000, v66
	s_delay_alu instid0(VALU_DEP_2) | instskip(NEXT) | instid1(VALU_DEP_2)
	v_cmp_eq_u32_e32 vcc_lo, 0, v2
	v_cndmask_b32_e32 v2, v3, v66, vcc_lo
; %bb.86:
	s_or_b32 exec_lo, exec_lo, s4
	v_and_b32_e32 v3, 0x7f800000, v67
	s_delay_alu instid0(VALU_DEP_1) | instskip(SKIP_1) | instid1(SALU_CYCLE_1)
	v_cmp_ne_u32_e32 vcc_lo, 0x7f800000, v3
                                        ; implicit-def: $vgpr3
	s_and_saveexec_b32 s4, vcc_lo
	s_xor_b32 s4, exec_lo, s4
; %bb.87:
	v_bfe_u32 v3, v67, 16, 1
	s_delay_alu instid0(VALU_DEP_1)
	v_add3_u32 v3, v67, v3, 0x7fff
; %bb.88:
	s_and_not1_saveexec_b32 s4, s4
; %bb.89:
	v_and_b32_e32 v3, 0xffff, v67
	v_or_b32_e32 v4, 0x10000, v67
	s_delay_alu instid0(VALU_DEP_2) | instskip(NEXT) | instid1(VALU_DEP_2)
	v_cmp_eq_u32_e32 vcc_lo, 0, v3
	v_cndmask_b32_e32 v3, v4, v67, vcc_lo
; %bb.90:
	s_or_b32 exec_lo, exec_lo, s4
	v_and_b32_e32 v4, 0x7f800000, v68
	s_delay_alu instid0(VALU_DEP_1) | instskip(SKIP_1) | instid1(SALU_CYCLE_1)
	v_cmp_ne_u32_e32 vcc_lo, 0x7f800000, v4
                                        ; implicit-def: $vgpr4
	s_and_saveexec_b32 s4, vcc_lo
	s_xor_b32 s4, exec_lo, s4
; %bb.91:
	v_bfe_u32 v4, v68, 16, 1
	s_delay_alu instid0(VALU_DEP_1)
	v_add3_u32 v4, v68, v4, 0x7fff
; %bb.92:
	s_and_not1_saveexec_b32 s4, s4
; %bb.93:
	v_and_b32_e32 v4, 0xffff, v68
	v_or_b32_e32 v5, 0x10000, v68
	s_delay_alu instid0(VALU_DEP_2) | instskip(NEXT) | instid1(VALU_DEP_2)
	v_cmp_eq_u32_e32 vcc_lo, 0, v4
	v_cndmask_b32_e32 v4, v5, v68, vcc_lo
; %bb.94:
	s_or_b32 exec_lo, exec_lo, s4
	v_and_b32_e32 v5, 0x7f800000, v69
	s_delay_alu instid0(VALU_DEP_1) | instskip(SKIP_1) | instid1(SALU_CYCLE_1)
	v_cmp_ne_u32_e32 vcc_lo, 0x7f800000, v5
                                        ; implicit-def: $vgpr5
	s_and_saveexec_b32 s4, vcc_lo
	s_xor_b32 s4, exec_lo, s4
; %bb.95:
	v_bfe_u32 v5, v69, 16, 1
	s_delay_alu instid0(VALU_DEP_1)
	v_add3_u32 v5, v69, v5, 0x7fff
; %bb.96:
	s_and_not1_saveexec_b32 s4, s4
; %bb.97:
	v_and_b32_e32 v5, 0xffff, v69
	v_or_b32_e32 v6, 0x10000, v69
	s_delay_alu instid0(VALU_DEP_2) | instskip(NEXT) | instid1(VALU_DEP_2)
	v_cmp_eq_u32_e32 vcc_lo, 0, v5
	v_cndmask_b32_e32 v5, v6, v69, vcc_lo
; %bb.98:
	s_or_b32 exec_lo, exec_lo, s4
	v_and_b32_e32 v6, 0x7f800000, v70
	s_delay_alu instid0(VALU_DEP_1) | instskip(SKIP_1) | instid1(SALU_CYCLE_1)
	v_cmp_ne_u32_e32 vcc_lo, 0x7f800000, v6
                                        ; implicit-def: $vgpr6
	s_and_saveexec_b32 s4, vcc_lo
	s_xor_b32 s4, exec_lo, s4
; %bb.99:
	v_bfe_u32 v6, v70, 16, 1
	s_delay_alu instid0(VALU_DEP_1)
	v_add3_u32 v6, v70, v6, 0x7fff
; %bb.100:
	s_and_not1_saveexec_b32 s4, s4
; %bb.101:
	v_and_b32_e32 v6, 0xffff, v70
	v_or_b32_e32 v7, 0x10000, v70
	s_delay_alu instid0(VALU_DEP_2) | instskip(NEXT) | instid1(VALU_DEP_2)
	v_cmp_eq_u32_e32 vcc_lo, 0, v6
	v_cndmask_b32_e32 v6, v7, v70, vcc_lo
; %bb.102:
	s_or_b32 exec_lo, exec_lo, s4
	v_and_b32_e32 v7, 0x7f800000, v71
	s_delay_alu instid0(VALU_DEP_1) | instskip(SKIP_1) | instid1(SALU_CYCLE_1)
	v_cmp_ne_u32_e32 vcc_lo, 0x7f800000, v7
                                        ; implicit-def: $vgpr7
	s_and_saveexec_b32 s4, vcc_lo
	s_xor_b32 s4, exec_lo, s4
; %bb.103:
	v_bfe_u32 v7, v71, 16, 1
	s_delay_alu instid0(VALU_DEP_1)
	v_add3_u32 v7, v71, v7, 0x7fff
; %bb.104:
	s_and_not1_saveexec_b32 s4, s4
; %bb.105:
	v_and_b32_e32 v7, 0xffff, v71
	v_or_b32_e32 v8, 0x10000, v71
	s_delay_alu instid0(VALU_DEP_2) | instskip(NEXT) | instid1(VALU_DEP_2)
	v_cmp_eq_u32_e32 vcc_lo, 0, v7
	v_cndmask_b32_e32 v7, v8, v71, vcc_lo
; %bb.106:
	s_or_b32 exec_lo, exec_lo, s4
	v_and_b32_e32 v8, 0x7f800000, v72
	s_delay_alu instid0(VALU_DEP_1) | instskip(SKIP_1) | instid1(SALU_CYCLE_1)
	v_cmp_ne_u32_e32 vcc_lo, 0x7f800000, v8
                                        ; implicit-def: $vgpr8
	s_and_saveexec_b32 s4, vcc_lo
	s_xor_b32 s4, exec_lo, s4
; %bb.107:
	v_bfe_u32 v8, v72, 16, 1
	s_delay_alu instid0(VALU_DEP_1)
	v_add3_u32 v8, v72, v8, 0x7fff
                                        ; implicit-def: $vgpr65_vgpr66_vgpr67_vgpr68_vgpr69_vgpr70_vgpr71_vgpr72
; %bb.108:
	s_and_not1_saveexec_b32 s4, s4
; %bb.109:
	v_and_b32_e32 v8, 0xffff, v72
	v_or_b32_e32 v9, 0x10000, v72
	s_delay_alu instid0(VALU_DEP_2) | instskip(NEXT) | instid1(VALU_DEP_2)
	v_cmp_eq_u32_e32 vcc_lo, 0, v8
	v_cndmask_b32_e32 v8, v9, v72, vcc_lo
; %bb.110:
	s_or_b32 exec_lo, exec_lo, s4
	s_delay_alu instid0(VALU_DEP_1)
	v_perm_b32 v7, v8, v7, 0x7060302
	v_perm_b32 v6, v6, v5, 0x7060302
	;; [unrolled: 1-line block ×4, first 2 shown]
	s_barrier
	buffer_gl0_inv
	v_cmp_eq_u32_e32 vcc_lo, 1, v78
	ds_store_b128 v76, v[4:7]
	s_waitcnt lgkmcnt(0)
	s_barrier
	buffer_gl0_inv
	ds_load_b128 v[1:4], v82
	ds_load_b128 v[5:8], v82 offset:16
	v_cmp_eq_u32_e64 s4, 1, v79
	v_cmp_eq_u32_e64 s5, 2, v78
	;; [unrolled: 1-line block ×5, first 2 shown]
	s_waitcnt lgkmcnt(1)
	v_lshrrev_b32_e32 v9, 16, v1
	s_waitcnt lgkmcnt(0)
	v_lshrrev_b32_e32 v13, 16, v5
	v_lshrrev_b32_e32 v10, 16, v2
	;; [unrolled: 1-line block ×4, first 2 shown]
	v_cndmask_b32_e64 v19, v1, v9, s4
	v_cndmask_b32_e32 v18, v5, v13, vcc_lo
	v_cndmask_b32_e64 v20, v5, v13, s4
	v_cndmask_b32_e32 v17, v1, v9, vcc_lo
	v_cmp_eq_u32_e32 vcc_lo, 2, v79
	v_lshrrev_b32_e32 v15, 16, v7
	v_cmp_eq_u32_e64 s4, 1, v77
	v_lshrrev_b32_e32 v12, 16, v4
	v_lshrrev_b32_e32 v16, 16, v8
	v_cndmask_b32_e32 v20, v20, v6, vcc_lo
	v_cndmask_b32_e64 v17, v17, v2, s5
	v_cndmask_b32_e32 v19, v19, v2, vcc_lo
	v_cndmask_b32_e64 v18, v18, v6, s5
	v_cmp_eq_u32_e32 vcc_lo, 4, v78
	v_cmp_eq_u32_e64 s5, 3, v79
	v_cndmask_b32_e64 v17, v17, v10, s6
	v_cndmask_b32_e64 v21, v1, v9, s4
	;; [unrolled: 1-line block ×5, first 2 shown]
	v_cndmask_b32_e32 v17, v17, v3, vcc_lo
	v_cndmask_b32_e64 v20, v20, v14, s5
	v_cndmask_b32_e32 v18, v18, v7, vcc_lo
	v_cmp_eq_u32_e32 vcc_lo, 4, v79
	v_cmp_eq_u32_e64 s5, 5, v79
	v_cmp_eq_u32_e64 s4, 2, v81
	v_cndmask_b32_e64 v21, v21, v2, s8
	v_cmp_eq_u32_e64 s6, 5, v78
	v_cndmask_b32_e32 v19, v19, v3, vcc_lo
	v_cndmask_b32_e32 v20, v20, v7, vcc_lo
	v_cmp_eq_u32_e32 vcc_lo, 6, v79
	s_delay_alu instid0(VALU_DEP_4) | instskip(NEXT) | instid1(VALU_DEP_4)
	v_cndmask_b32_e64 v17, v17, v11, s6
	v_cndmask_b32_e64 v19, v19, v11, s5
	s_delay_alu instid0(VALU_DEP_4) | instskip(SKIP_1) | instid1(VALU_DEP_3)
	v_cndmask_b32_e64 v20, v20, v15, s5
	v_cmp_eq_u32_e64 s5, 1, v81
	v_cndmask_b32_e32 v19, v19, v4, vcc_lo
	v_cndmask_b32_e64 v18, v18, v15, s6
	s_delay_alu instid0(VALU_DEP_3)
	v_cndmask_b32_e64 v1, v1, v9, s5
	v_cndmask_b32_e64 v5, v5, v13, s5
	v_cmp_eq_u32_e64 s5, 3, v77
	v_cndmask_b32_e64 v13, v22, v6, s8
	v_cmp_eq_u32_e64 s8, 3, v81
	v_cndmask_b32_e64 v1, v1, v2, s4
	v_cndmask_b32_e64 v2, v5, v6, s4
	;; [unrolled: 1-line block ×3, first 2 shown]
	v_cmp_eq_u32_e64 s4, 4, v77
	v_cndmask_b32_e64 v6, v13, v14, s5
	v_cndmask_b32_e64 v1, v1, v10, s8
	v_cmp_eq_u32_e64 s5, 4, v81
	v_cndmask_b32_e64 v2, v2, v14, s8
	v_cndmask_b32_e64 v5, v9, v3, s4
	;; [unrolled: 3-line block ×3, first 2 shown]
	v_cndmask_b32_e64 v2, v2, v7, s5
	v_cmp_eq_u32_e64 s4, 5, v81
	v_cmp_eq_u32_e64 s6, 6, v78
	v_cndmask_b32_e64 v5, v5, v11, s8
	v_cmp_eq_u32_e64 s5, 6, v77
	v_cndmask_b32_e64 v3, v6, v15, s8
	v_cndmask_b32_e64 v1, v1, v11, s4
	v_cmp_eq_u32_e64 s8, 6, v81
	v_cndmask_b32_e64 v2, v2, v15, s4
	v_cndmask_b32_e64 v17, v17, v4, s6
	v_cndmask_b32_e64 v18, v18, v8, s6
	v_cmp_eq_u32_e64 s6, 7, v78
	v_cndmask_b32_e64 v5, v5, v4, s5
	;; [unrolled: 4-line block ×3, first 2 shown]
	v_cmp_eq_u32_e64 s5, 7, v77
	v_cndmask_b32_e32 v4, v20, v8, vcc_lo
	v_cndmask_b32_e64 v17, v17, v12, s6
	v_cndmask_b32_e64 v19, v19, v12, s7
	;; [unrolled: 1-line block ×8, first 2 shown]
	v_cmp_gt_u32_e32 vcc_lo, 32, v0
	v_perm_b32 v4, v2, v1, 0x5040100
	v_perm_b32 v3, v3, v5, 0x5040100
	;; [unrolled: 1-line block ×4, first 2 shown]
	s_and_b32 s2, vcc_lo, s2
	ds_store_b128 v76, v[1:4]
	s_waitcnt lgkmcnt(0)
	s_barrier
	buffer_gl0_inv
	s_and_saveexec_b32 s4, s2
	s_cbranch_execz .LBB1444_2
; %bb.111:
	s_load_b64 s[4:5], s[0:1], 0x68
	v_lshlrev_b32_e32 v0, 10, v0
	v_lshlrev_b32_e32 v2, 4, v75
	v_add_nc_u32_e32 v1, s31, v74
	s_lshl_b32 s0, s36, 6
	s_delay_alu instid0(SALU_CYCLE_1) | instskip(NEXT) | instid1(VALU_DEP_2)
	s_mul_i32 s1, s0, s34
	v_and_or_b32 v0, 0x3800, v0, v2
	s_mul_i32 s6, s1, s9
	v_mul_lo_u32 v1, v1, s0
	s_ashr_i32 s7, s6, 31
	s_delay_alu instid0(VALU_DEP_2) | instskip(SKIP_1) | instid1(VALU_DEP_2)
	v_lshl_or_b32 v3, v74, 6, v0
	s_lshl_b64 s[6:7], s[6:7], 1
	v_ashrrev_i32_e32 v2, 31, v1
	ds_load_b128 v[3:6], v3
	s_waitcnt lgkmcnt(0)
	s_add_u32 s1, s4, s6
	s_addc_u32 s2, s5, s7
	s_lshl_b32 s4, s14, 6
	v_lshlrev_b64 v[7:8], 1, v[1:2]
	s_ashr_i32 s5, s4, 31
	s_delay_alu instid0(SALU_CYCLE_1) | instskip(NEXT) | instid1(SALU_CYCLE_1)
	s_lshl_b64 s[4:5], s[4:5], 1
	s_add_u32 s1, s1, s4
	s_addc_u32 s2, s2, s5
	v_add_co_u32 v1, s1, s1, v73
	s_delay_alu instid0(VALU_DEP_1) | instskip(NEXT) | instid1(VALU_DEP_2)
	v_add_co_ci_u32_e64 v2, null, s2, 0, s1
	v_add_co_u32 v7, vcc_lo, v1, v7
	s_delay_alu instid0(VALU_DEP_2)
	v_add_co_ci_u32_e32 v8, vcc_lo, v2, v8, vcc_lo
	global_store_b128 v[7:8], v[3:6], off
	s_and_b32 exec_lo, exec_lo, s3
	s_cbranch_execz .LBB1444_2
; %bb.112:
	ds_load_b128 v[3:6], v0 offset:128
	s_add_i32 s1, s31, 2
	s_delay_alu instid0(SALU_CYCLE_1) | instskip(NEXT) | instid1(SALU_CYCLE_1)
	s_mul_i32 s0, s1, s0
	s_ashr_i32 s1, s0, 31
	s_delay_alu instid0(SALU_CYCLE_1) | instskip(NEXT) | instid1(SALU_CYCLE_1)
	s_lshl_b64 s[0:1], s[0:1], 1
	v_add_co_u32 v0, vcc_lo, v1, s0
	v_add_co_ci_u32_e32 v1, vcc_lo, s1, v2, vcc_lo
	s_waitcnt lgkmcnt(0)
	global_store_b128 v[0:1], v[3:6], off
	s_nop 0
	s_sendmsg sendmsg(MSG_DEALLOC_VGPRS)
	s_endpgm
	.section	.rodata,"a",@progbits
	.p2align	6, 0x0
	.amdhsa_kernel _Z39paged_attention_ll4mi_QKV_mfma16_kernelI14__hip_bfloat16hLN4vllm18Fp8KVCacheDataTypeE1EhLi32ELi64ELi256ELb1ELi3EL8MFMAType1EEvPKT_PKT0_S9_ifPKiSB_SB_iPKfiiiPfSE_PS4_PT2_iSD_SD_
		.amdhsa_group_segment_fixed_size 17472
		.amdhsa_private_segment_fixed_size 0
		.amdhsa_kernarg_size 400
		.amdhsa_user_sgpr_count 13
		.amdhsa_user_sgpr_dispatch_ptr 0
		.amdhsa_user_sgpr_queue_ptr 0
		.amdhsa_user_sgpr_kernarg_segment_ptr 1
		.amdhsa_user_sgpr_dispatch_id 0
		.amdhsa_user_sgpr_private_segment_size 0
		.amdhsa_wavefront_size32 1
		.amdhsa_uses_dynamic_stack 0
		.amdhsa_enable_private_segment 0
		.amdhsa_system_sgpr_workgroup_id_x 1
		.amdhsa_system_sgpr_workgroup_id_y 1
		.amdhsa_system_sgpr_workgroup_id_z 1
		.amdhsa_system_sgpr_workgroup_info 0
		.amdhsa_system_vgpr_workitem_id 0
		.amdhsa_next_free_vgpr 124
		.amdhsa_next_free_sgpr 42
		.amdhsa_reserve_vcc 1
		.amdhsa_float_round_mode_32 0
		.amdhsa_float_round_mode_16_64 0
		.amdhsa_float_denorm_mode_32 3
		.amdhsa_float_denorm_mode_16_64 3
		.amdhsa_dx10_clamp 1
		.amdhsa_ieee_mode 1
		.amdhsa_fp16_overflow 0
		.amdhsa_workgroup_processor_mode 1
		.amdhsa_memory_ordered 1
		.amdhsa_forward_progress 0
		.amdhsa_shared_vgpr_count 0
		.amdhsa_exception_fp_ieee_invalid_op 0
		.amdhsa_exception_fp_denorm_src 0
		.amdhsa_exception_fp_ieee_div_zero 0
		.amdhsa_exception_fp_ieee_overflow 0
		.amdhsa_exception_fp_ieee_underflow 0
		.amdhsa_exception_fp_ieee_inexact 0
		.amdhsa_exception_int_div_zero 0
	.end_amdhsa_kernel
	.section	.text._Z39paged_attention_ll4mi_QKV_mfma16_kernelI14__hip_bfloat16hLN4vllm18Fp8KVCacheDataTypeE1EhLi32ELi64ELi256ELb1ELi3EL8MFMAType1EEvPKT_PKT0_S9_ifPKiSB_SB_iPKfiiiPfSE_PS4_PT2_iSD_SD_,"axG",@progbits,_Z39paged_attention_ll4mi_QKV_mfma16_kernelI14__hip_bfloat16hLN4vllm18Fp8KVCacheDataTypeE1EhLi32ELi64ELi256ELb1ELi3EL8MFMAType1EEvPKT_PKT0_S9_ifPKiSB_SB_iPKfiiiPfSE_PS4_PT2_iSD_SD_,comdat
.Lfunc_end1444:
	.size	_Z39paged_attention_ll4mi_QKV_mfma16_kernelI14__hip_bfloat16hLN4vllm18Fp8KVCacheDataTypeE1EhLi32ELi64ELi256ELb1ELi3EL8MFMAType1EEvPKT_PKT0_S9_ifPKiSB_SB_iPKfiiiPfSE_PS4_PT2_iSD_SD_, .Lfunc_end1444-_Z39paged_attention_ll4mi_QKV_mfma16_kernelI14__hip_bfloat16hLN4vllm18Fp8KVCacheDataTypeE1EhLi32ELi64ELi256ELb1ELi3EL8MFMAType1EEvPKT_PKT0_S9_ifPKiSB_SB_iPKfiiiPfSE_PS4_PT2_iSD_SD_
                                        ; -- End function
	.section	.AMDGPU.csdata,"",@progbits
; Kernel info:
; codeLenInByte = 8724
; NumSgprs: 44
; NumVgprs: 124
; ScratchSize: 0
; MemoryBound: 0
; FloatMode: 240
; IeeeMode: 1
; LDSByteSize: 17472 bytes/workgroup (compile time only)
; SGPRBlocks: 5
; VGPRBlocks: 15
; NumSGPRsForWavesPerEU: 44
; NumVGPRsForWavesPerEU: 124
; Occupancy: 10
; WaveLimiterHint : 1
; COMPUTE_PGM_RSRC2:SCRATCH_EN: 0
; COMPUTE_PGM_RSRC2:USER_SGPR: 13
; COMPUTE_PGM_RSRC2:TRAP_HANDLER: 0
; COMPUTE_PGM_RSRC2:TGID_X_EN: 1
; COMPUTE_PGM_RSRC2:TGID_Y_EN: 1
; COMPUTE_PGM_RSRC2:TGID_Z_EN: 1
; COMPUTE_PGM_RSRC2:TIDIG_COMP_CNT: 0
	.section	.text._Z39paged_attention_ll4mi_QKV_mfma16_kernelI14__hip_bfloat16hLN4vllm18Fp8KVCacheDataTypeE1EhLi32ELi64ELi256ELb1ELi4EL8MFMAType1EEvPKT_PKT0_S9_ifPKiSB_SB_iPKfiiiPfSE_PS4_PT2_iSD_SD_,"axG",@progbits,_Z39paged_attention_ll4mi_QKV_mfma16_kernelI14__hip_bfloat16hLN4vllm18Fp8KVCacheDataTypeE1EhLi32ELi64ELi256ELb1ELi4EL8MFMAType1EEvPKT_PKT0_S9_ifPKiSB_SB_iPKfiiiPfSE_PS4_PT2_iSD_SD_,comdat
	.protected	_Z39paged_attention_ll4mi_QKV_mfma16_kernelI14__hip_bfloat16hLN4vllm18Fp8KVCacheDataTypeE1EhLi32ELi64ELi256ELb1ELi4EL8MFMAType1EEvPKT_PKT0_S9_ifPKiSB_SB_iPKfiiiPfSE_PS4_PT2_iSD_SD_ ; -- Begin function _Z39paged_attention_ll4mi_QKV_mfma16_kernelI14__hip_bfloat16hLN4vllm18Fp8KVCacheDataTypeE1EhLi32ELi64ELi256ELb1ELi4EL8MFMAType1EEvPKT_PKT0_S9_ifPKiSB_SB_iPKfiiiPfSE_PS4_PT2_iSD_SD_
	.globl	_Z39paged_attention_ll4mi_QKV_mfma16_kernelI14__hip_bfloat16hLN4vllm18Fp8KVCacheDataTypeE1EhLi32ELi64ELi256ELb1ELi4EL8MFMAType1EEvPKT_PKT0_S9_ifPKiSB_SB_iPKfiiiPfSE_PS4_PT2_iSD_SD_
	.p2align	8
	.type	_Z39paged_attention_ll4mi_QKV_mfma16_kernelI14__hip_bfloat16hLN4vllm18Fp8KVCacheDataTypeE1EhLi32ELi64ELi256ELb1ELi4EL8MFMAType1EEvPKT_PKT0_S9_ifPKiSB_SB_iPKfiiiPfSE_PS4_PT2_iSD_SD_,@function
_Z39paged_attention_ll4mi_QKV_mfma16_kernelI14__hip_bfloat16hLN4vllm18Fp8KVCacheDataTypeE1EhLi32ELi64ELi256ELb1ELi4EL8MFMAType1EEvPKT_PKT0_S9_ifPKiSB_SB_iPKfiiiPfSE_PS4_PT2_iSD_SD_: ; @_Z39paged_attention_ll4mi_QKV_mfma16_kernelI14__hip_bfloat16hLN4vllm18Fp8KVCacheDataTypeE1EhLi32ELi64ELi256ELb1ELi4EL8MFMAType1EEvPKT_PKT0_S9_ifPKiSB_SB_iPKfiiiPfSE_PS4_PT2_iSD_SD_
; %bb.0:
	s_load_b64 s[2:3], s[0:1], 0x30
	s_mov_b32 s30, s13
	s_waitcnt lgkmcnt(0)
	s_cmp_lg_u64 s[2:3], 0
	s_cselect_b32 s8, -1, 0
	s_ashr_i32 s31, s13, 31
	s_cmp_eq_u64 s[2:3], 0
	s_cbranch_scc1 .LBB1445_3
; %bb.1:
	s_lshl_b64 s[4:5], s[30:31], 2
	s_delay_alu instid0(SALU_CYCLE_1) | instskip(SKIP_4) | instid1(SALU_CYCLE_1)
	s_add_u32 s4, s2, s4
	s_addc_u32 s5, s3, s5
	s_load_b64 s[4:5], s[4:5], 0x0
	s_waitcnt lgkmcnt(0)
	s_sub_i32 s4, s5, s4
	s_cmp_eq_u32 s4, 1
	s_cselect_b32 s4, -1, 0
	s_delay_alu instid0(SALU_CYCLE_1)
	s_and_not1_b32 vcc_lo, exec_lo, s4
	s_cbranch_vccz .LBB1445_4
.LBB1445_2:
	s_endpgm
.LBB1445_3:
.LBB1445_4:
	s_load_b64 s[4:5], s[0:1], 0x28
	s_lshl_b64 s[6:7], s[30:31], 2
	s_waitcnt lgkmcnt(0)
	s_add_u32 s4, s4, s6
	s_addc_u32 s5, s5, s7
	s_lshl_b32 s12, s14, 8
	s_load_b32 s24, s[4:5], 0x0
	s_waitcnt lgkmcnt(0)
	s_cmp_ge_i32 s12, s24
	s_cbranch_scc1 .LBB1445_2
; %bb.5:
	s_clause 0x1
	s_load_b128 s[20:23], s[0:1], 0x8
	s_load_b64 s[4:5], s[0:1], 0x20
	s_and_not1_b32 vcc_lo, exec_lo, s8
	s_cbranch_vccnz .LBB1445_7
; %bb.6:
	s_add_u32 s2, s2, s6
	s_addc_u32 s3, s3, s7
	s_load_b32 s3, s[2:3], 0x0
	s_branch .LBB1445_8
.LBB1445_7:
	s_mov_b32 s3, s30
.LBB1445_8:
	s_load_b128 s[16:19], s[0:1], 0x48
	v_and_b32_e32 v66, 15, v0
	v_cmp_gt_u32_e32 vcc_lo, 64, v0
	v_lshrrev_b32_e32 v65, 5, v0
	v_and_b32_e32 v67, 31, v0
	v_and_b32_e32 v74, 1, v0
	v_lshlrev_b32_e32 v1, 3, v66
	v_cmp_gt_u32_e64 s2, 8, v66
	v_bfe_u32 v75, v0, 4, 1
	s_lshl_b32 s31, s15, 2
	s_delay_alu instid0(VALU_DEP_3) | instskip(NEXT) | instid1(VALU_DEP_3)
	v_lshlrev_b32_e32 v73, 1, v1
	s_and_b32 s7, vcc_lo, s2
	s_delay_alu instid0(SALU_CYCLE_1)
	s_and_saveexec_b32 s6, s7
	s_cbranch_execz .LBB1445_10
; %bb.9:
	v_lshl_or_b32 v5, v65, 1, v75
	s_load_b64 s[8:9], s[0:1], 0x0
	s_waitcnt lgkmcnt(0)
	s_mul_hi_i32 s11, s3, s16
	s_mul_i32 s10, s3, s16
	v_lshlrev_b32_e32 v6, 10, v66
	v_or_b32_e32 v1, s31, v5
	s_lshl_b64 s[10:11], s[10:11], 1
	v_lshlrev_b32_e32 v5, 6, v5
	v_lshlrev_b32_e32 v7, 10, v74
	v_and_b32_e32 v6, 0x3800, v6
	v_lshlrev_b32_e32 v1, 6, v1
	s_delay_alu instid0(VALU_DEP_2) | instskip(NEXT) | instid1(VALU_DEP_2)
	v_or3_b32 v5, v6, v7, v5
	v_ashrrev_i32_e32 v2, 31, v1
	s_delay_alu instid0(VALU_DEP_1) | instskip(SKIP_2) | instid1(VALU_DEP_1)
	v_lshlrev_b64 v[1:2], 1, v[1:2]
	s_add_u32 s3, s8, s10
	s_addc_u32 s7, s9, s11
	v_add_co_u32 v1, vcc_lo, s3, v1
	s_delay_alu instid0(VALU_DEP_2) | instskip(NEXT) | instid1(VALU_DEP_2)
	v_add_co_ci_u32_e32 v2, vcc_lo, s7, v2, vcc_lo
	v_add_co_u32 v1, vcc_lo, v1, v73
	s_delay_alu instid0(VALU_DEP_2)
	v_add_co_ci_u32_e32 v2, vcc_lo, 0, v2, vcc_lo
	global_load_b128 v[1:4], v[1:2], off
	s_waitcnt vmcnt(0)
	ds_store_b128 v5, v[1:4]
.LBB1445_10:
	s_or_b32 exec_lo, exec_lo, s6
	v_and_b32_e32 v1, 0xef, v0
	s_waitcnt lgkmcnt(0)
	s_add_i32 s3, s24, 31
	s_clause 0x1
	s_load_b32 s6, s[0:1], 0x38
	s_load_b32 s19, s[0:1], 0x1c
	s_ashr_i32 s7, s3, 31
	v_add_nc_u32_e32 v1, s12, v1
	s_lshr_b32 s7, s7, 27
	s_waitcnt lgkmcnt(0)
	s_add_i32 s3, s3, s7
	s_barrier
	v_ashrrev_i32_e32 v2, 31, v1
	v_or_b32_e32 v3, 16, v1
	s_ashr_i32 s3, s3, 5
	v_cmp_gt_i32_e32 vcc_lo, s24, v1
	s_add_i32 s3, s3, -1
	v_lshrrev_b32_e32 v2, 27, v2
	buffer_gl0_inv
	s_mul_i32 s27, s15, s18
	v_add_nc_u32_e32 v4, v1, v2
	s_mul_i32 s6, s30, s6
	s_delay_alu instid0(SALU_CYCLE_1) | instskip(NEXT) | instid1(VALU_DEP_1)
	s_ashr_i32 s7, s6, 31
	v_ashrrev_i32_e32 v4, 5, v4
	v_add_nc_u32_e32 v2, v3, v2
	s_lshl_b64 s[6:7], s[6:7], 2
	s_delay_alu instid0(SALU_CYCLE_1) | instskip(NEXT) | instid1(VALU_DEP_2)
	s_add_u32 s26, s4, s6
	v_cndmask_b32_e32 v1, s3, v4, vcc_lo
	s_delay_alu instid0(VALU_DEP_2)
	v_ashrrev_i32_e32 v2, 5, v2
	v_cmp_gt_i32_e32 vcc_lo, s24, v3
	s_addc_u32 s25, s5, s7
	s_ashr_i32 s28, s27, 31
	s_add_u32 s4, s20, s27
	s_addc_u32 s5, s21, s28
	v_cndmask_b32_e32 v3, s3, v2, vcc_lo
	v_ashrrev_i32_e32 v2, 31, v1
	s_lshl_b32 s6, s14, 3
	s_delay_alu instid0(SALU_CYCLE_1) | instskip(NEXT) | instid1(VALU_DEP_2)
	s_ashr_i32 s7, s6, 31
	v_ashrrev_i32_e32 v4, 31, v3
	s_delay_alu instid0(VALU_DEP_2) | instskip(SKIP_1) | instid1(SALU_CYCLE_1)
	v_lshlrev_b64 v[1:2], 2, v[1:2]
	s_lshl_b64 s[6:7], s[6:7], 2
	s_add_u32 s6, s26, s6
	s_delay_alu instid0(VALU_DEP_2) | instskip(SKIP_1) | instid1(VALU_DEP_2)
	v_lshlrev_b64 v[3:4], 2, v[3:4]
	s_addc_u32 s7, s25, s7
	v_add_co_u32 v1, vcc_lo, s26, v1
	v_add_co_ci_u32_e32 v2, vcc_lo, s25, v2, vcc_lo
	s_delay_alu instid0(VALU_DEP_3) | instskip(NEXT) | instid1(VALU_DEP_4)
	v_add_co_u32 v3, vcc_lo, s26, v3
	v_add_co_ci_u32_e32 v4, vcc_lo, s25, v4, vcc_lo
	s_clause 0x1
	global_load_b32 v5, v[1:2], off
	global_load_b32 v6, v[3:4], off
	s_or_b32 s8, s12, 32
	s_delay_alu instid0(SALU_CYCLE_1) | instskip(SKIP_2) | instid1(SALU_CYCLE_1)
	s_ashr_i32 s9, s8, 5
	s_cmp_lt_i32 s8, s24
	s_cselect_b32 s8, s9, s3
	s_ashr_i32 s9, s8, 31
	s_delay_alu instid0(SALU_CYCLE_1) | instskip(NEXT) | instid1(SALU_CYCLE_1)
	s_lshl_b64 s[8:9], s[8:9], 2
	s_add_u32 s8, s26, s8
	s_addc_u32 s9, s25, s9
	s_or_b32 s10, s12, 64
	s_delay_alu instid0(SALU_CYCLE_1) | instskip(SKIP_2) | instid1(SALU_CYCLE_1)
	s_ashr_i32 s11, s10, 5
	s_cmp_lt_i32 s10, s24
	s_cselect_b32 s10, s11, s3
	s_ashr_i32 s11, s10, 31
	s_delay_alu instid0(SALU_CYCLE_1) | instskip(NEXT) | instid1(SALU_CYCLE_1)
	s_lshl_b64 s[10:11], s[10:11], 2
	s_add_u32 s10, s26, s10
	s_addc_u32 s11, s25, s11
	;; [unrolled: 10-line block ×5, first 2 shown]
	s_clause 0x5
	s_load_b32 s21, s[6:7], 0x0
	s_load_b32 s13, s[8:9], 0x0
	;; [unrolled: 1-line block ×6, first 2 shown]
	s_or_b32 s7, s12, 0xc0
	s_delay_alu instid0(SALU_CYCLE_1) | instskip(SKIP_2) | instid1(SALU_CYCLE_1)
	s_ashr_i32 s8, s7, 5
	s_cmp_lt_i32 s7, s24
	s_cselect_b32 s10, s8, s3
	s_ashr_i32 s11, s10, 31
	s_delay_alu instid0(SALU_CYCLE_1) | instskip(NEXT) | instid1(SALU_CYCLE_1)
	s_lshl_b64 s[34:35], s[10:11], 2
	s_add_u32 s34, s26, s34
	s_addc_u32 s35, s25, s35
	s_or_b32 s29, s12, 0xe0
	s_delay_alu instid0(SALU_CYCLE_1)
	s_ashr_i32 s33, s29, 5
	s_cmp_lt_i32 s29, s24
	s_waitcnt vmcnt(1)
	v_mad_i64_i32 v[1:2], null, v5, s17, s[4:5]
	s_waitcnt vmcnt(0)
	v_mad_i64_i32 v[3:4], null, v6, s17, s[4:5]
	s_mov_b32 s4, 0
	s_delay_alu instid0(SALU_CYCLE_1)
	s_mov_b32 s5, s4
	s_mov_b32 s6, s4
	;; [unrolled: 1-line block ×7, first 2 shown]
	v_lshlrev_b32_e32 v5, 4, v66
	v_dual_mov_b32 v107, s11 :: v_dual_mov_b32 v102, s6
	v_dual_mov_b32 v106, s10 :: v_dual_mov_b32 v105, s9
	s_delay_alu instid0(VALU_DEP_3)
	v_add_co_u32 v1, vcc_lo, v1, v5
	v_add_co_ci_u32_e32 v2, vcc_lo, 0, v2, vcc_lo
	v_add_co_u32 v3, vcc_lo, v3, v5
	v_add_co_ci_u32_e32 v4, vcc_lo, 0, v4, vcc_lo
	s_clause 0x7
	global_load_b128 v[49:52], v[1:2], off
	global_load_b128 v[53:56], v[1:2], off offset:512
	global_load_b128 v[76:79], v[3:4], off offset:256
	;; [unrolled: 1-line block ×7, first 2 shown]
	v_dual_mov_b32 v100, s4 :: v_dual_and_b32 v1, 3, v0
	v_lshlrev_b32_e32 v2, 5, v66
	v_dual_mov_b32 v104, s8 :: v_dual_mov_b32 v103, s7
	v_mov_b32_e32 v101, s5
	s_cselect_b32 s4, s33, s3
	v_lshlrev_b32_e32 v70, 6, v1
	s_ashr_i32 s5, s4, 31
	v_lshl_or_b32 v1, v65, 9, v2
	s_lshl_b64 s[4:5], s[4:5], 2
	s_load_b32 s3, s[34:35], 0x0
	s_add_u32 s4, s26, s4
	s_addc_u32 s5, s25, s5
	ds_load_b128 v[108:111], v70
	ds_load_b128 v[112:115], v70 offset:1024
	s_load_b32 s4, s[4:5], 0x0
	s_add_u32 s6, s22, s27
	s_addc_u32 s7, s23, s28
	v_add_co_u32 v9, s6, s6, v1
	s_delay_alu instid0(VALU_DEP_1) | instskip(SKIP_1) | instid1(VALU_DEP_1)
	v_add_co_ci_u32_e64 v10, null, s7, 0, s6
	s_waitcnt lgkmcnt(0)
	v_mad_i64_i32 v[1:2], null, s21, s17, v[9:10]
	v_mad_i64_i32 v[3:4], null, s13, s17, v[9:10]
	;; [unrolled: 1-line block ×7, first 2 shown]
	s_clause 0x9
	global_load_b128 v[57:60], v[1:2], off
	global_load_b128 v[61:64], v[1:2], off offset:16
	global_load_b128 v[41:44], v[3:4], off
	global_load_b128 v[45:48], v[3:4], off offset:16
	;; [unrolled: 2-line block ×5, first 2 shown]
	v_mad_i64_i32 v[68:69], null, s4, s17, v[9:10]
	s_clause 0x3
	global_load_b128 v[9:12], v[13:14], off
	global_load_b128 v[13:16], v[13:14], off offset:16
	global_load_b128 v[17:20], v[21:22], off
	global_load_b128 v[21:24], v[21:22], off offset:16
	s_waitcnt vmcnt(20)
	v_wmma_f32_16x16x16_bf16 v[116:123], v[49:56], v[108:115], v[100:107]
	s_clause 0x1
	global_load_b128 v[49:52], v[68:69], off
	global_load_b128 v[53:56], v[68:69], off offset:16
	v_and_b32_e32 v68, 0xe0, v0
	v_mbcnt_lo_u32_b32 v69, -1, 0
	s_delay_alu instid0(VALU_DEP_2)
	v_add_nc_u32_e32 v68, s12, v68
	s_waitcnt vmcnt(20)
	v_wmma_f32_16x16x16_bf16 v[100:107], v[76:83], v[108:115], v[100:107]
	ds_load_b128 v[76:79], v70 offset:2048
	ds_load_b128 v[80:83], v70 offset:3072
	v_xor_b32_e32 v70, 16, v69
	s_waitcnt vmcnt(0) lgkmcnt(0)
	v_or_b32_e32 v68, v68, v75
	s_barrier
	buffer_gl0_inv
	v_cmp_gt_i32_e32 vcc_lo, 32, v70
	v_or_b32_e32 v71, 4, v68
	v_or_b32_e32 v72, 6, v68
	v_cmp_gt_i32_e64 s3, s24, v68
	v_or_b32_e32 v108, 8, v68
	v_or_b32_e32 v109, 10, v68
	v_cmp_gt_i32_e64 s4, s24, v71
	v_cmp_gt_i32_e64 s5, s24, v72
	s_delay_alu instid0(VALU_DEP_4) | instskip(NEXT) | instid1(VALU_DEP_4)
	v_cmp_gt_i32_e64 s6, s24, v108
	v_cmp_gt_i32_e64 s7, s24, v109
	v_wmma_f32_16x16x16_bf16 v[116:123], v[84:91], v[76:83], v[116:123]
	v_cndmask_b32_e32 v69, v69, v70, vcc_lo
	v_or_b32_e32 v70, 2, v68
	v_wmma_f32_16x16x16_bf16 v[100:107], v[92:99], v[76:83], v[100:107]
	v_or_b32_e32 v84, 12, v68
	v_dual_mul_f32 v78, s19, v123 :: v_dual_mul_f32 v83, s19, v118
	v_dual_mul_f32 v92, s19, v117 :: v_dual_mul_f32 v93, s19, v116
	s_delay_alu instid0(VALU_DEP_4) | instskip(SKIP_2) | instid1(VALU_DEP_4)
	v_mul_f32_e32 v94, s19, v107
	v_cmp_gt_i32_e32 vcc_lo, s24, v70
	v_dual_mul_f32 v81, s19, v120 :: v_dual_mul_f32 v82, s19, v119
	v_cndmask_b32_e64 v93, 0xff7fffff, v93, s3
	v_or_b32_e32 v85, 14, v68
	v_cndmask_b32_e32 v92, 0xff7fffff, v92, vcc_lo
	v_dual_mul_f32 v79, s19, v122 :: v_dual_mul_f32 v80, s19, v121
	v_cndmask_b32_e64 v71, 0xff7fffff, v83, s4
	v_cndmask_b32_e64 v72, 0xff7fffff, v82, s5
	s_delay_alu instid0(VALU_DEP_4)
	v_max3_f32 v82, v93, 0xff7fffff, v92
	v_or_b32_e32 v86, 16, v68
	v_or_b32_e32 v87, 18, v68
	v_cndmask_b32_e64 v81, 0xff7fffff, v81, s6
	v_cndmask_b32_e64 v80, 0xff7fffff, v80, s7
	v_max3_f32 v71, v82, v71, v72
	v_cmp_gt_i32_e64 s8, s24, v84
	v_cmp_gt_i32_e64 s9, s24, v85
	v_or_b32_e32 v88, 20, v68
	v_or_b32_e32 v89, 22, v68
	;; [unrolled: 1-line block ×6, first 2 shown]
	v_dual_mul_f32 v99, s19, v102 :: v_dual_mul_f32 v70, s19, v101
	v_mul_f32_e32 v68, s19, v100
	v_cndmask_b32_e64 v72, 0xff7fffff, v79, s8
	v_cndmask_b32_e64 v78, 0xff7fffff, v78, s9
	v_max3_f32 v71, v71, v81, v80
	v_cmp_gt_i32_e64 s10, s24, v86
	v_cmp_gt_i32_e64 s11, s24, v87
	v_dual_mul_f32 v97, s19, v104 :: v_dual_mul_f32 v98, s19, v103
	s_delay_alu instid0(VALU_DEP_4) | instskip(SKIP_1) | instid1(VALU_DEP_4)
	v_max3_f32 v71, v71, v72, v78
	v_cmp_gt_i32_e64 s12, s24, v88
	v_cndmask_b32_e64 v70, 0xff7fffff, v70, s11
	v_cmp_gt_i32_e64 s13, s24, v89
	v_lshlrev_b32_e32 v89, 2, v69
	v_cndmask_b32_e64 v68, 0xff7fffff, v68, s10
	v_dual_mul_f32 v95, s19, v106 :: v_dual_mul_f32 v96, s19, v105
	v_cndmask_b32_e64 v72, 0xff7fffff, v99, s12
	v_cndmask_b32_e64 v78, 0xff7fffff, v98, s13
	s_delay_alu instid0(VALU_DEP_4)
	v_max3_f32 v68, v71, v68, v70
	v_cmp_gt_i32_e64 s15, s24, v90
	v_cmp_gt_i32_e64 s16, s24, v91
	;; [unrolled: 1-line block ×4, first 2 shown]
	v_max3_f32 v68, v68, v72, v78
	v_cndmask_b32_e64 v70, 0xff7fffff, v97, s15
	v_cndmask_b32_e64 v71, 0xff7fffff, v96, s16
	;; [unrolled: 1-line block ×4, first 2 shown]
	s_delay_alu instid0(VALU_DEP_3) | instskip(NEXT) | instid1(VALU_DEP_1)
	v_max3_f32 v68, v68, v70, v71
	v_max3_f32 v68, v68, v72, v76
	ds_bpermute_b32 v69, v89, v68
	s_waitcnt lgkmcnt(0)
	v_max_f32_e32 v69, v69, v69
	s_delay_alu instid0(VALU_DEP_1) | instskip(NEXT) | instid1(VALU_DEP_1)
	v_max_f32_e32 v68, v68, v69
	v_fma_f32 v71, s19, v118, -v68
	s_delay_alu instid0(VALU_DEP_1)
	v_mul_f32_e32 v71, 0x3fb8aa3b, v71
	v_fma_f32 v69, s19, v116, -v68
	v_fma_f32 v70, s19, v117, -v68
	;; [unrolled: 1-line block ×4, first 2 shown]
	v_exp_f32_e32 v71, v71
	s_delay_alu instid0(VALU_DEP_3) | instskip(SKIP_2) | instid1(VALU_DEP_3)
	v_dual_mul_f32 v69, 0x3fb8aa3b, v69 :: v_dual_mul_f32 v70, 0x3fb8aa3b, v70
	v_fma_f32 v78, s19, v122, -v68
	v_fma_f32 v81, s19, v105, -v68
	v_exp_f32_e32 v69, v69
	s_delay_alu instid0(VALU_DEP_3) | instskip(SKIP_1) | instid1(VALU_DEP_2)
	v_exp_f32_e32 v70, v70
	v_mul_f32_e32 v77, 0x3fb8aa3b, v76
	v_mul_f32_e32 v81, 0x3fb8aa3b, v81
	s_delay_alu instid0(TRANS32_DEP_3) | instskip(SKIP_1) | instid1(VALU_DEP_3)
	v_cndmask_b32_e64 v83, 0, v71, s4
	v_fma_f32 v71, s19, v123, -v68
	v_exp_f32_e32 v81, v81
	s_delay_alu instid0(TRANS32_DEP_3) | instskip(NEXT) | instid1(TRANS32_DEP_2)
	v_cndmask_b32_e64 v80, 0, v69, s3
	v_cndmask_b32_e32 v76, 0, v70, vcc_lo
	v_fma_f32 v69, s19, v121, -v68
	v_mul_f32_e32 v72, 0x3fb8aa3b, v72
	v_exp_f32_e32 v77, v77
	v_dual_add_f32 v70, 0, v80 :: v_dual_mul_f32 v71, 0x3fb8aa3b, v71
	s_delay_alu instid0(VALU_DEP_3) | instskip(NEXT) | instid1(VALU_DEP_3)
	v_mul_f32_e32 v69, 0x3fb8aa3b, v69
	v_exp_f32_e32 v72, v72
	s_mov_b32 s3, exec_lo
	s_delay_alu instid0(VALU_DEP_2) | instskip(NEXT) | instid1(VALU_DEP_1)
	v_exp_f32_e32 v71, v71
	v_exp_f32_e32 v69, v69
	v_cndmask_b32_e64 v86, 0, v77, s6
	v_fma_f32 v77, s19, v101, -v68
	v_add_f32_e32 v70, v70, v76
	s_delay_alu instid0(TRANS32_DEP_3) | instskip(SKIP_1) | instid1(VALU_DEP_3)
	v_cndmask_b32_e64 v85, 0, v72, s5
	v_fma_f32 v72, s19, v100, -v68
	v_dual_mul_f32 v77, 0x3fb8aa3b, v77 :: v_dual_add_f32 v70, v70, v83
	s_delay_alu instid0(TRANS32_DEP_2) | instskip(SKIP_1) | instid1(TRANS32_DEP_1)
	v_cndmask_b32_e64 v88, 0, v71, s9
	v_fma_f32 v71, s19, v104, -v68
	v_cndmask_b32_e64 v87, 0, v69, s7
	s_delay_alu instid0(VALU_DEP_4) | instskip(NEXT) | instid1(VALU_DEP_2)
	v_exp_f32_e32 v77, v77
	v_dual_add_f32 v70, v70, v85 :: v_dual_mul_f32 v71, 0x3fb8aa3b, v71
	s_delay_alu instid0(VALU_DEP_1) | instskip(SKIP_2) | instid1(VALU_DEP_3)
	v_dual_mul_f32 v72, 0x3fb8aa3b, v72 :: v_dual_add_f32 v69, v70, v86
	v_mul_f32_e32 v78, 0x3fb8aa3b, v78
	v_fma_f32 v70, s19, v102, -v68
	v_exp_f32_e32 v72, v72
	v_exp_f32_e32 v82, v71
	v_add_f32_e32 v69, v69, v87
	v_exp_f32_e32 v78, v78
	v_mul_f32_e32 v70, 0x3fb8aa3b, v70
	s_delay_alu instid0(VALU_DEP_1) | instskip(SKIP_4) | instid1(VALU_DEP_2)
	v_exp_f32_e32 v79, v70
	v_cndmask_b32_e64 v70, 0, v72, s10
	s_waitcnt_depctr 0xfff
	v_cndmask_b32_e64 v84, 0, v78, s8
	v_fma_f32 v78, s19, v103, -v68
	v_add_f32_e32 v69, v69, v84
	v_cndmask_b32_e64 v71, 0, v79, s12
	s_delay_alu instid0(VALU_DEP_2) | instskip(SKIP_2) | instid1(VALU_DEP_1)
	v_add_f32_e32 v72, v69, v88
	v_cndmask_b32_e64 v69, 0, v77, s11
	v_fma_f32 v77, s19, v106, -v68
	v_dual_mul_f32 v77, 0x3fb8aa3b, v77 :: v_dual_add_f32 v72, v72, v70
	v_mul_f32_e32 v78, 0x3fb8aa3b, v78
	s_delay_alu instid0(VALU_DEP_2) | instskip(NEXT) | instid1(VALU_DEP_2)
	v_exp_f32_e32 v90, v77
	v_add_f32_e32 v79, v72, v69
	s_delay_alu instid0(VALU_DEP_2)
	v_exp_f32_e32 v78, v78
	v_cndmask_b32_e64 v77, 0, v82, s15
	s_waitcnt_depctr 0xfff
	v_cndmask_b32_e64 v72, 0, v78, s13
	v_add_f32_e32 v78, v79, v71
	v_fma_f32 v79, s19, v107, -v68
	s_delay_alu instid0(VALU_DEP_1) | instskip(SKIP_1) | instid1(VALU_DEP_2)
	v_dual_add_f32 v82, v78, v72 :: v_dual_mul_f32 v79, 0x3fb8aa3b, v79
	v_cndmask_b32_e64 v78, 0, v81, s16
	v_add_f32_e32 v81, v82, v77
	s_delay_alu instid0(VALU_DEP_3) | instskip(SKIP_1) | instid1(VALU_DEP_2)
	v_exp_f32_e32 v82, v79
	v_cndmask_b32_e64 v79, 0, v90, s17
	v_add_f32_e32 v81, v81, v78
	s_delay_alu instid0(VALU_DEP_1) | instskip(SKIP_2) | instid1(VALU_DEP_1)
	v_add_f32_e32 v90, v81, v79
	s_waitcnt_depctr 0xfff
	v_cndmask_b32_e64 v81, 0, v82, s18
	v_add_f32_e32 v82, v90, v81
	ds_bpermute_b32 v89, v89, v82
	v_cmpx_gt_u32_e32 16, v67
	s_cbranch_execz .LBB1445_12
; %bb.11:
	v_mul_u32_u24_e32 v67, 0x44, v65
	s_delay_alu instid0(VALU_DEP_1) | instskip(SKIP_1) | instid1(VALU_DEP_1)
	v_lshl_add_u32 v67, v66, 2, v67
	s_waitcnt lgkmcnt(0)
	v_dual_add_f32 v82, v82, v89 :: v_dual_add_nc_u32 v67, 0x4000, v67
	ds_store_2addr_b32 v67, v68, v82 offset1:136
.LBB1445_12:
	s_or_b32 exec_lo, exec_lo, s3
	v_lshlrev_b32_e32 v67, 2, v66
	s_waitcnt lgkmcnt(0)
	s_barrier
	buffer_gl0_inv
	v_cmp_eq_u32_e32 vcc_lo, 1, v65
	v_add_nc_u32_e32 v82, 0x4000, v67
	v_cmp_eq_u32_e64 s3, 2, v65
	v_cmp_eq_u32_e64 s5, 7, v65
	ds_load_2addr_b32 v[89:90], v82 offset1:17
	ds_load_2addr_b32 v[91:92], v82 offset0:34 offset1:51
	ds_load_2addr_b32 v[93:94], v82 offset0:68 offset1:85
	;; [unrolled: 1-line block ×4, first 2 shown]
	s_waitcnt lgkmcnt(4)
	v_max3_f32 v67, v89, 0xff7fffff, v90
	s_waitcnt lgkmcnt(3)
	s_delay_alu instid0(VALU_DEP_1) | instskip(SKIP_1) | instid1(VALU_DEP_1)
	v_max3_f32 v67, v67, v91, v92
	s_waitcnt lgkmcnt(2)
	v_max3_f32 v67, v67, v93, v94
	s_waitcnt lgkmcnt(1)
	s_delay_alu instid0(VALU_DEP_1) | instskip(NEXT) | instid1(VALU_DEP_1)
	v_max3_f32 v67, v67, v95, v96
	v_sub_f32_e32 v93, v93, v67
	s_delay_alu instid0(VALU_DEP_1) | instskip(NEXT) | instid1(VALU_DEP_1)
	v_dual_sub_f32 v68, v89, v67 :: v_dual_mul_f32 v103, 0x3fb8aa3b, v93
	v_mul_f32_e32 v68, 0x3fb8aa3b, v68
	s_delay_alu instid0(VALU_DEP_1)
	v_exp_f32_e32 v100, v68
	v_sub_f32_e32 v68, v92, v67
	v_sub_f32_e32 v99, v90, v67
	ds_load_2addr_b32 v[89:90], v82 offset0:170 offset1:187
	v_dual_mul_f32 v102, 0x3fb8aa3b, v68 :: v_dual_mul_f32 v99, 0x3fb8aa3b, v99
	s_waitcnt lgkmcnt(1)
	v_fma_f32 v68, v100, v97, 0
	s_delay_alu instid0(VALU_DEP_2) | instskip(NEXT) | instid1(VALU_DEP_2)
	v_exp_f32_e32 v102, v102
	v_exp_f32_e32 v99, v99
	s_waitcnt_depctr 0xfff
	v_fmac_f32_e32 v68, v99, v98
	v_sub_f32_e32 v91, v91, v67
	s_delay_alu instid0(VALU_DEP_1)
	v_mul_f32_e32 v101, 0x3fb8aa3b, v91
	ds_load_2addr_b32 v[91:92], v82 offset0:204 offset1:221
	v_sub_f32_e32 v97, v94, v67
	ds_load_2addr_b32 v[93:94], v82 offset0:238 offset1:255
	s_waitcnt lgkmcnt(0)
	v_exp_f32_e32 v101, v101
	s_barrier
	buffer_gl0_inv
	v_dual_fmac_f32 v68, v101, v89 :: v_dual_sub_f32 v89, v96, v67
	v_dual_sub_f32 v82, v95, v67 :: v_dual_mul_f32 v95, 0x3fb8aa3b, v97
	v_exp_f32_e32 v97, v103
	s_delay_alu instid0(VALU_DEP_2) | instskip(NEXT) | instid1(VALU_DEP_2)
	v_dual_fmac_f32 v68, v102, v90 :: v_dual_mul_f32 v89, 0x3fb8aa3b, v89
	v_mul_f32_e32 v82, 0x3fb8aa3b, v82
	s_delay_alu instid0(VALU_DEP_3) | instskip(NEXT) | instid1(VALU_DEP_2)
	v_exp_f32_e32 v95, v95
	v_exp_f32_e32 v89, v89
	s_delay_alu instid0(VALU_DEP_1)
	v_exp_f32_e32 v82, v82
	v_fmac_f32_e32 v68, v97, v91
	s_delay_alu instid0(TRANS32_DEP_3) | instid1(VALU_DEP_1)
	v_fmac_f32_e32 v68, v95, v92
	s_waitcnt_depctr 0xfff
	v_fmac_f32_e32 v68, v82, v93
	s_delay_alu instid0(VALU_DEP_1) | instskip(NEXT) | instid1(VALU_DEP_1)
	v_fmac_f32_e32 v68, v89, v94
	v_add_f32_e32 v90, 0x358637bd, v68
	s_delay_alu instid0(VALU_DEP_1) | instskip(NEXT) | instid1(VALU_DEP_1)
	v_div_scale_f32 v91, null, v90, v90, 1.0
	v_rcp_f32_e32 v92, v91
	s_waitcnt_depctr 0xfff
	v_fma_f32 v93, -v91, v92, 1.0
	s_delay_alu instid0(VALU_DEP_1) | instskip(SKIP_1) | instid1(VALU_DEP_2)
	v_dual_fmac_f32 v92, v93, v92 :: v_dual_cndmask_b32 v93, v100, v99
	v_cmp_eq_u32_e32 vcc_lo, 3, v65
	v_cndmask_b32_e64 v93, v93, v101, s3
	v_cmp_eq_u32_e64 s3, 4, v65
	s_delay_alu instid0(VALU_DEP_2) | instskip(SKIP_1) | instid1(VALU_DEP_2)
	v_cndmask_b32_e32 v93, v93, v102, vcc_lo
	v_cmp_eq_u32_e32 vcc_lo, 5, v65
	v_cndmask_b32_e64 v93, v93, v97, s3
	v_cmp_eq_u32_e64 s3, 6, v65
	s_delay_alu instid0(VALU_DEP_2) | instskip(SKIP_1) | instid1(VALU_DEP_1)
	v_cndmask_b32_e32 v93, v93, v95, vcc_lo
	v_div_scale_f32 v94, s4, 1.0, v90, 1.0
	s_mov_b32 vcc_lo, s4
	s_delay_alu instid0(VALU_DEP_2) | instskip(NEXT) | instid1(VALU_DEP_2)
	v_cndmask_b32_e64 v82, v93, v82, s3
	v_mul_f32_e32 v96, v94, v92
	s_mov_b32 s3, exec_lo
	s_delay_alu instid0(VALU_DEP_2) | instskip(NEXT) | instid1(VALU_DEP_2)
	v_cndmask_b32_e64 v82, v82, v89, s5
	v_fma_f32 v98, -v91, v96, v94
	s_delay_alu instid0(VALU_DEP_1) | instskip(NEXT) | instid1(VALU_DEP_1)
	v_fmac_f32_e32 v96, v98, v92
	v_fma_f32 v91, -v91, v96, v94
	s_delay_alu instid0(VALU_DEP_1) | instskip(NEXT) | instid1(VALU_DEP_1)
	v_div_fmas_f32 v91, v91, v92, v96
	v_div_fixup_f32 v90, v91, v90, 1.0
	s_delay_alu instid0(VALU_DEP_1) | instskip(NEXT) | instid1(VALU_DEP_1)
	v_mul_f32_e32 v82, v82, v90
	v_mul_f32_e32 v87, v82, v87
	;; [unrolled: 1-line block ×7, first 2 shown]
	v_dual_mul_f32 v86, v82, v83 :: v_dual_and_b32 v91, 0x7f800000, v90
	v_mul_f32_e32 v85, v82, v76
                                        ; implicit-def: $vgpr76
	s_delay_alu instid0(VALU_DEP_2)
	v_cmpx_ne_u32_e32 0x7f800000, v91
	s_xor_b32 s3, exec_lo, s3
; %bb.13:
	v_bfe_u32 v76, v90, 16, 1
	s_delay_alu instid0(VALU_DEP_1)
	v_add3_u32 v76, v90, v76, 0x7fff
                                        ; implicit-def: $vgpr90
; %bb.14:
	s_and_not1_saveexec_b32 s3, s3
; %bb.15:
	v_and_b32_e32 v76, 0xffff, v90
	v_or_b32_e32 v83, 0x10000, v90
	s_delay_alu instid0(VALU_DEP_2) | instskip(NEXT) | instid1(VALU_DEP_2)
	v_cmp_eq_u32_e32 vcc_lo, 0, v76
	v_cndmask_b32_e32 v76, v83, v90, vcc_lo
; %bb.16:
	s_or_b32 exec_lo, exec_lo, s3
	v_and_b32_e32 v83, 0x7f800000, v85
	s_delay_alu instid0(VALU_DEP_1) | instskip(SKIP_1) | instid1(SALU_CYCLE_1)
	v_cmp_ne_u32_e32 vcc_lo, 0x7f800000, v83
                                        ; implicit-def: $vgpr83
	s_and_saveexec_b32 s3, vcc_lo
	s_xor_b32 s3, exec_lo, s3
; %bb.17:
	v_bfe_u32 v83, v85, 16, 1
	s_delay_alu instid0(VALU_DEP_1)
	v_add3_u32 v83, v85, v83, 0x7fff
                                        ; implicit-def: $vgpr85
; %bb.18:
	s_and_not1_saveexec_b32 s3, s3
; %bb.19:
	v_and_b32_e32 v83, 0xffff, v85
	v_or_b32_e32 v90, 0x10000, v85
	s_delay_alu instid0(VALU_DEP_2) | instskip(NEXT) | instid1(VALU_DEP_2)
	v_cmp_eq_u32_e32 vcc_lo, 0, v83
	v_cndmask_b32_e32 v83, v90, v85, vcc_lo
; %bb.20:
	s_or_b32 exec_lo, exec_lo, s3
	v_and_b32_e32 v85, 0x7f800000, v86
	s_delay_alu instid0(VALU_DEP_1) | instskip(SKIP_1) | instid1(SALU_CYCLE_1)
	v_cmp_ne_u32_e32 vcc_lo, 0x7f800000, v85
                                        ; implicit-def: $vgpr85
	s_and_saveexec_b32 s3, vcc_lo
	s_xor_b32 s3, exec_lo, s3
; %bb.21:
	v_bfe_u32 v85, v86, 16, 1
	s_delay_alu instid0(VALU_DEP_1)
	v_add3_u32 v85, v86, v85, 0x7fff
                                        ; implicit-def: $vgpr86
; %bb.22:
	s_and_not1_saveexec_b32 s3, s3
; %bb.23:
	v_and_b32_e32 v85, 0xffff, v86
	v_or_b32_e32 v90, 0x10000, v86
	s_delay_alu instid0(VALU_DEP_2) | instskip(NEXT) | instid1(VALU_DEP_2)
	v_cmp_eq_u32_e32 vcc_lo, 0, v85
	v_cndmask_b32_e32 v85, v90, v86, vcc_lo
; %bb.24:
	s_or_b32 exec_lo, exec_lo, s3
	v_and_b32_e32 v86, 0x7f800000, v89
	s_delay_alu instid0(VALU_DEP_1) | instskip(SKIP_1) | instid1(SALU_CYCLE_1)
	v_cmp_ne_u32_e32 vcc_lo, 0x7f800000, v86
                                        ; implicit-def: $vgpr86
	s_and_saveexec_b32 s3, vcc_lo
	s_xor_b32 s3, exec_lo, s3
; %bb.25:
	v_bfe_u32 v86, v89, 16, 1
	s_delay_alu instid0(VALU_DEP_1)
	v_add3_u32 v86, v89, v86, 0x7fff
                                        ; implicit-def: $vgpr89
; %bb.26:
	s_and_not1_saveexec_b32 s3, s3
; %bb.27:
	v_and_b32_e32 v86, 0xffff, v89
	v_or_b32_e32 v90, 0x10000, v89
	s_delay_alu instid0(VALU_DEP_2) | instskip(NEXT) | instid1(VALU_DEP_2)
	v_cmp_eq_u32_e32 vcc_lo, 0, v86
	v_cndmask_b32_e32 v86, v90, v89, vcc_lo
; %bb.28:
	s_or_b32 exec_lo, exec_lo, s3
	v_and_b32_e32 v89, 0x7f800000, v88
	s_delay_alu instid0(VALU_DEP_1) | instskip(SKIP_1) | instid1(SALU_CYCLE_1)
	v_cmp_ne_u32_e32 vcc_lo, 0x7f800000, v89
                                        ; implicit-def: $vgpr89
	s_and_saveexec_b32 s3, vcc_lo
	s_xor_b32 s3, exec_lo, s3
; %bb.29:
	v_bfe_u32 v89, v88, 16, 1
	s_delay_alu instid0(VALU_DEP_1)
	v_add3_u32 v89, v88, v89, 0x7fff
                                        ; implicit-def: $vgpr88
; %bb.30:
	s_and_not1_saveexec_b32 s3, s3
; %bb.31:
	v_and_b32_e32 v89, 0xffff, v88
	v_or_b32_e32 v90, 0x10000, v88
	s_delay_alu instid0(VALU_DEP_2) | instskip(NEXT) | instid1(VALU_DEP_2)
	v_cmp_eq_u32_e32 vcc_lo, 0, v89
	v_cndmask_b32_e32 v89, v90, v88, vcc_lo
; %bb.32:
	s_or_b32 exec_lo, exec_lo, s3
	v_and_b32_e32 v88, 0x7f800000, v87
	s_delay_alu instid0(VALU_DEP_1) | instskip(SKIP_1) | instid1(SALU_CYCLE_1)
	v_cmp_ne_u32_e32 vcc_lo, 0x7f800000, v88
                                        ; implicit-def: $vgpr88
	s_and_saveexec_b32 s3, vcc_lo
	s_xor_b32 s3, exec_lo, s3
; %bb.33:
	v_bfe_u32 v88, v87, 16, 1
	s_delay_alu instid0(VALU_DEP_1)
	v_add3_u32 v88, v87, v88, 0x7fff
                                        ; implicit-def: $vgpr87
; %bb.34:
	s_and_not1_saveexec_b32 s3, s3
; %bb.35:
	v_and_b32_e32 v88, 0xffff, v87
	v_or_b32_e32 v90, 0x10000, v87
	s_delay_alu instid0(VALU_DEP_2) | instskip(NEXT) | instid1(VALU_DEP_2)
	v_cmp_eq_u32_e32 vcc_lo, 0, v88
	v_cndmask_b32_e32 v88, v90, v87, vcc_lo
; %bb.36:
	s_or_b32 exec_lo, exec_lo, s3
	v_and_b32_e32 v87, 0x7f800000, v84
	s_delay_alu instid0(VALU_DEP_1) | instskip(SKIP_1) | instid1(SALU_CYCLE_1)
	v_cmp_ne_u32_e32 vcc_lo, 0x7f800000, v87
                                        ; implicit-def: $vgpr87
	s_and_saveexec_b32 s3, vcc_lo
	s_xor_b32 s3, exec_lo, s3
; %bb.37:
	v_bfe_u32 v87, v84, 16, 1
	s_delay_alu instid0(VALU_DEP_1)
	v_add3_u32 v87, v84, v87, 0x7fff
                                        ; implicit-def: $vgpr84
; %bb.38:
	s_and_not1_saveexec_b32 s3, s3
; %bb.39:
	v_and_b32_e32 v87, 0xffff, v84
	v_or_b32_e32 v90, 0x10000, v84
	s_delay_alu instid0(VALU_DEP_2) | instskip(NEXT) | instid1(VALU_DEP_2)
	v_cmp_eq_u32_e32 vcc_lo, 0, v87
	v_cndmask_b32_e32 v87, v90, v84, vcc_lo
; %bb.40:
	s_or_b32 exec_lo, exec_lo, s3
	v_and_b32_e32 v84, 0x7f800000, v80
	s_delay_alu instid0(VALU_DEP_1) | instskip(SKIP_1) | instid1(SALU_CYCLE_1)
	v_cmp_ne_u32_e32 vcc_lo, 0x7f800000, v84
                                        ; implicit-def: $vgpr84
	s_and_saveexec_b32 s3, vcc_lo
	s_xor_b32 s3, exec_lo, s3
; %bb.41:
	v_bfe_u32 v84, v80, 16, 1
	s_delay_alu instid0(VALU_DEP_1)
	v_add3_u32 v84, v80, v84, 0x7fff
                                        ; implicit-def: $vgpr80
; %bb.42:
	s_and_not1_saveexec_b32 s3, s3
; %bb.43:
	v_and_b32_e32 v84, 0xffff, v80
	v_or_b32_e32 v90, 0x10000, v80
	s_delay_alu instid0(VALU_DEP_2) | instskip(NEXT) | instid1(VALU_DEP_2)
	v_cmp_eq_u32_e32 vcc_lo, 0, v84
	v_cndmask_b32_e32 v84, v90, v80, vcc_lo
; %bb.44:
	s_or_b32 exec_lo, exec_lo, s3
	s_load_b64 s[34:35], s[0:1], 0x94
	v_lshlrev_b32_e32 v91, 4, v75
	s_delay_alu instid0(VALU_DEP_2)
	v_perm_b32 v90, v84, v87, 0x7060302
	v_dual_mul_f32 v77, v82, v77 :: v_dual_lshlrev_b32 v80, 6, v66
	v_lshlrev_b32_e32 v66, 11, v65
	v_perm_b32 v87, v83, v76, 0x7060302
	v_mul_f32_e32 v83, v82, v70
	v_perm_b32 v89, v88, v89, 0x7060302
	v_perm_b32 v88, v86, v85, 0x7060302
	v_or3_b32 v76, v91, v66, v80
	v_mul_f32_e32 v66, v82, v81
	v_mul_f32_e32 v70, v82, v79
	v_mul_f32_e32 v78, v82, v78
	v_dual_mul_f32 v81, v82, v72 :: v_dual_and_b32 v84, 0x7f800000, v83
	v_mul_f32_e32 v79, v82, v71
	v_mul_f32_e32 v72, v82, v69
	s_mov_b32 s3, exec_lo
	ds_store_b128 v76, v[87:90]
                                        ; implicit-def: $vgpr69
	v_cmpx_ne_u32_e32 0x7f800000, v84
	s_xor_b32 s3, exec_lo, s3
; %bb.45:
	v_bfe_u32 v69, v83, 16, 1
	s_delay_alu instid0(VALU_DEP_1)
	v_add3_u32 v69, v83, v69, 0x7fff
                                        ; implicit-def: $vgpr83
; %bb.46:
	s_and_not1_saveexec_b32 s3, s3
; %bb.47:
	v_and_b32_e32 v69, 0xffff, v83
	v_or_b32_e32 v71, 0x10000, v83
	s_delay_alu instid0(VALU_DEP_2) | instskip(NEXT) | instid1(VALU_DEP_2)
	v_cmp_eq_u32_e32 vcc_lo, 0, v69
	v_cndmask_b32_e32 v69, v71, v83, vcc_lo
; %bb.48:
	s_or_b32 exec_lo, exec_lo, s3
	v_and_b32_e32 v71, 0x7f800000, v72
	s_delay_alu instid0(VALU_DEP_1) | instskip(SKIP_1) | instid1(SALU_CYCLE_1)
	v_cmp_ne_u32_e32 vcc_lo, 0x7f800000, v71
                                        ; implicit-def: $vgpr71
	s_and_saveexec_b32 s3, vcc_lo
	s_xor_b32 s3, exec_lo, s3
; %bb.49:
	v_bfe_u32 v71, v72, 16, 1
	s_delay_alu instid0(VALU_DEP_1)
	v_add3_u32 v71, v72, v71, 0x7fff
                                        ; implicit-def: $vgpr72
; %bb.50:
	s_and_not1_saveexec_b32 s3, s3
; %bb.51:
	v_and_b32_e32 v71, 0xffff, v72
	v_or_b32_e32 v82, 0x10000, v72
	s_delay_alu instid0(VALU_DEP_2) | instskip(NEXT) | instid1(VALU_DEP_2)
	v_cmp_eq_u32_e32 vcc_lo, 0, v71
	v_cndmask_b32_e32 v71, v82, v72, vcc_lo
; %bb.52:
	s_or_b32 exec_lo, exec_lo, s3
	v_and_b32_e32 v72, 0x7f800000, v79
	s_delay_alu instid0(VALU_DEP_1) | instskip(SKIP_1) | instid1(SALU_CYCLE_1)
	v_cmp_ne_u32_e32 vcc_lo, 0x7f800000, v72
                                        ; implicit-def: $vgpr72
	s_and_saveexec_b32 s3, vcc_lo
	s_xor_b32 s3, exec_lo, s3
; %bb.53:
	v_bfe_u32 v72, v79, 16, 1
	s_delay_alu instid0(VALU_DEP_1)
	v_add3_u32 v72, v79, v72, 0x7fff
                                        ; implicit-def: $vgpr79
; %bb.54:
	s_and_not1_saveexec_b32 s3, s3
; %bb.55:
	v_and_b32_e32 v72, 0xffff, v79
	v_or_b32_e32 v82, 0x10000, v79
	s_delay_alu instid0(VALU_DEP_2) | instskip(NEXT) | instid1(VALU_DEP_2)
	v_cmp_eq_u32_e32 vcc_lo, 0, v72
	v_cndmask_b32_e32 v72, v82, v79, vcc_lo
; %bb.56:
	s_or_b32 exec_lo, exec_lo, s3
	v_and_b32_e32 v79, 0x7f800000, v81
	s_delay_alu instid0(VALU_DEP_1) | instskip(SKIP_1) | instid1(SALU_CYCLE_1)
	v_cmp_ne_u32_e32 vcc_lo, 0x7f800000, v79
                                        ; implicit-def: $vgpr79
	s_and_saveexec_b32 s3, vcc_lo
	s_xor_b32 s3, exec_lo, s3
; %bb.57:
	v_bfe_u32 v79, v81, 16, 1
	s_delay_alu instid0(VALU_DEP_1)
	v_add3_u32 v79, v81, v79, 0x7fff
                                        ; implicit-def: $vgpr81
; %bb.58:
	s_and_not1_saveexec_b32 s3, s3
; %bb.59:
	v_and_b32_e32 v79, 0xffff, v81
	v_or_b32_e32 v82, 0x10000, v81
	s_delay_alu instid0(VALU_DEP_2) | instskip(NEXT) | instid1(VALU_DEP_2)
	v_cmp_eq_u32_e32 vcc_lo, 0, v79
	v_cndmask_b32_e32 v79, v82, v81, vcc_lo
; %bb.60:
	s_or_b32 exec_lo, exec_lo, s3
	v_and_b32_e32 v81, 0x7f800000, v77
	s_delay_alu instid0(VALU_DEP_1) | instskip(SKIP_1) | instid1(SALU_CYCLE_1)
	v_cmp_ne_u32_e32 vcc_lo, 0x7f800000, v81
                                        ; implicit-def: $vgpr81
	s_and_saveexec_b32 s3, vcc_lo
	s_xor_b32 s3, exec_lo, s3
; %bb.61:
	v_bfe_u32 v81, v77, 16, 1
	s_delay_alu instid0(VALU_DEP_1)
	v_add3_u32 v81, v77, v81, 0x7fff
                                        ; implicit-def: $vgpr77
; %bb.62:
	s_and_not1_saveexec_b32 s3, s3
; %bb.63:
	v_and_b32_e32 v81, 0xffff, v77
	v_or_b32_e32 v82, 0x10000, v77
	s_delay_alu instid0(VALU_DEP_2) | instskip(NEXT) | instid1(VALU_DEP_2)
	v_cmp_eq_u32_e32 vcc_lo, 0, v81
	v_cndmask_b32_e32 v81, v82, v77, vcc_lo
; %bb.64:
	s_or_b32 exec_lo, exec_lo, s3
	v_and_b32_e32 v77, 0x7f800000, v78
	s_delay_alu instid0(VALU_DEP_1) | instskip(SKIP_1) | instid1(SALU_CYCLE_1)
	v_cmp_ne_u32_e32 vcc_lo, 0x7f800000, v77
                                        ; implicit-def: $vgpr77
	s_and_saveexec_b32 s3, vcc_lo
	s_xor_b32 s3, exec_lo, s3
; %bb.65:
	v_bfe_u32 v77, v78, 16, 1
	s_delay_alu instid0(VALU_DEP_1)
	v_add3_u32 v77, v78, v77, 0x7fff
                                        ; implicit-def: $vgpr78
; %bb.66:
	s_and_not1_saveexec_b32 s3, s3
; %bb.67:
	v_and_b32_e32 v77, 0xffff, v78
	v_or_b32_e32 v82, 0x10000, v78
	s_delay_alu instid0(VALU_DEP_2) | instskip(NEXT) | instid1(VALU_DEP_2)
	v_cmp_eq_u32_e32 vcc_lo, 0, v77
	v_cndmask_b32_e32 v77, v82, v78, vcc_lo
; %bb.68:
	s_or_b32 exec_lo, exec_lo, s3
	v_and_b32_e32 v78, 0x7f800000, v70
	s_delay_alu instid0(VALU_DEP_1) | instskip(SKIP_1) | instid1(SALU_CYCLE_1)
	v_cmp_ne_u32_e32 vcc_lo, 0x7f800000, v78
                                        ; implicit-def: $vgpr78
	s_and_saveexec_b32 s3, vcc_lo
	s_xor_b32 s3, exec_lo, s3
; %bb.69:
	v_bfe_u32 v78, v70, 16, 1
	s_delay_alu instid0(VALU_DEP_1)
	v_add3_u32 v78, v70, v78, 0x7fff
                                        ; implicit-def: $vgpr70
; %bb.70:
	s_and_not1_saveexec_b32 s3, s3
; %bb.71:
	v_and_b32_e32 v78, 0xffff, v70
	v_or_b32_e32 v82, 0x10000, v70
	s_delay_alu instid0(VALU_DEP_2) | instskip(NEXT) | instid1(VALU_DEP_2)
	v_cmp_eq_u32_e32 vcc_lo, 0, v78
	v_cndmask_b32_e32 v78, v82, v70, vcc_lo
; %bb.72:
	s_or_b32 exec_lo, exec_lo, s3
	v_and_b32_e32 v70, 0x7f800000, v66
	s_delay_alu instid0(VALU_DEP_1) | instskip(SKIP_1) | instid1(SALU_CYCLE_1)
	v_cmp_ne_u32_e32 vcc_lo, 0x7f800000, v70
                                        ; implicit-def: $vgpr70
	s_and_saveexec_b32 s3, vcc_lo
	s_xor_b32 s3, exec_lo, s3
; %bb.73:
	v_bfe_u32 v70, v66, 16, 1
	s_delay_alu instid0(VALU_DEP_1)
	v_add3_u32 v70, v66, v70, 0x7fff
                                        ; implicit-def: $vgpr66
; %bb.74:
	s_and_not1_saveexec_b32 s3, s3
; %bb.75:
	v_and_b32_e32 v70, 0xffff, v66
	v_or_b32_e32 v82, 0x10000, v66
	s_delay_alu instid0(VALU_DEP_2) | instskip(NEXT) | instid1(VALU_DEP_2)
	v_cmp_eq_u32_e32 vcc_lo, 0, v70
	v_cndmask_b32_e32 v70, v82, v66, vcc_lo
; %bb.76:
	s_or_b32 exec_lo, exec_lo, s3
	s_delay_alu instid0(VALU_DEP_1)
	v_perm_b32 v86, v70, v78, 0x7060302
	v_perm_b32 v85, v77, v81, 0x7060302
	;; [unrolled: 1-line block ×4, first 2 shown]
	v_lshl_or_b32 v82, v65, 11, v80
	ds_store_b128 v76, v[83:86] offset:1024
	s_waitcnt lgkmcnt(0)
	s_barrier
	buffer_gl0_inv
	ds_load_b128 v[69:72], v82
	ds_load_b128 v[83:86], v82 offset:16
	s_waitcnt lgkmcnt(1)
	v_lshrrev_b32_e32 v65, 16, v69
	v_lshlrev_b32_e32 v78, 2, v75
	s_waitcnt lgkmcnt(0)
	v_lshrrev_b32_e32 v91, 16, v83
	v_lshrrev_b32_e32 v66, 16, v70
	;; [unrolled: 1-line block ×4, first 2 shown]
	v_cmp_eq_u32_e32 vcc_lo, 1, v78
	v_lshrrev_b32_e32 v98, 16, v85
	v_lshrrev_b32_e32 v96, 16, v72
	;; [unrolled: 1-line block ×3, first 2 shown]
	v_cndmask_b32_e32 v81, v69, v65, vcc_lo
	v_or_b32_e32 v79, 1, v78
	v_cmp_eq_u32_e64 s4, 2, v78
	v_cndmask_b32_e32 v87, v83, v91, vcc_lo
	v_cmp_eq_u32_e64 s7, 3, v78
	v_cmp_eq_u32_e64 s9, 4, v78
	;; [unrolled: 1-line block ×3, first 2 shown]
	v_cndmask_b32_e64 v81, v81, v70, s4
	v_cmp_eq_u32_e64 s6, 2, v79
	v_cndmask_b32_e64 v87, v87, v84, s4
	v_cmp_eq_u32_e64 s8, 3, v79
	v_cndmask_b32_e64 v88, v69, v65, s3
	v_cndmask_b32_e64 v81, v81, v66, s7
	v_or_b32_e32 v77, 2, v78
	v_cndmask_b32_e64 v87, v87, v97, s7
	v_cndmask_b32_e64 v89, v83, v91, s3
	;; [unrolled: 1-line block ×4, first 2 shown]
	v_cmp_eq_u32_e64 s10, 5, v78
	v_cndmask_b32_e64 v87, v87, v85, s9
	v_cmp_eq_u32_e64 s11, 4, v79
	v_cndmask_b32_e64 v88, v88, v66, s8
	;; [unrolled: 2-line block ×3, first 2 shown]
	v_cndmask_b32_e64 v81, v81, v95, s10
	v_cmp_eq_u32_e64 s12, 6, v78
	v_cndmask_b32_e64 v88, v88, v71, s11
	v_cndmask_b32_e64 v87, v87, v98, s10
	v_cmp_eq_u32_e64 s13, 5, v79
	v_cndmask_b32_e64 v90, v69, v65, s5
	v_cndmask_b32_e64 v89, v89, v97, s8
	;; [unrolled: 1-line block ×3, first 2 shown]
	v_cmp_eq_u32_e64 s15, 7, v78
	v_cndmask_b32_e64 v88, v88, v95, s13
	v_cndmask_b32_e64 v87, v87, v86, s12
	v_cmp_eq_u32_e64 s16, 6, v79
	v_cmp_eq_u32_e64 s17, 2, v77
	v_cndmask_b32_e64 v89, v89, v85, s11
	v_cndmask_b32_e64 v100, v81, v96, s15
	;; [unrolled: 1-line block ×6, first 2 shown]
	v_cmp_eq_u32_e64 s18, 7, v79
	v_cmp_eq_u32_e64 s19, 3, v77
	;; [unrolled: 1-line block ×4, first 2 shown]
	v_cndmask_b32_e64 v87, v87, v84, s17
	v_cndmask_b32_e64 v102, v88, v96, s18
	;; [unrolled: 1-line block ×4, first 2 shown]
	v_or_b32_e32 v81, 3, v78
	v_cndmask_b32_e64 v93, v87, v97, s19
	v_cmp_eq_u32_e64 s24, 6, v77
	v_cndmask_b32_e64 v103, v88, v86, s16
	v_cndmask_b32_e64 v92, v89, v71, s20
	v_cmp_eq_u32_e64 s21, 1, v81
	ds_load_b128 v[87:90], v82 offset:1024
	v_cmp_eq_u32_e64 s23, 2, v81
	v_cmp_eq_u32_e64 s25, 3, v81
	v_cndmask_b32_e64 v104, v92, v95, s22
	v_cndmask_b32_e64 v65, v69, v65, s21
	v_cndmask_b32_e64 v69, v93, v85, s20
	v_cndmask_b32_e64 v83, v83, v91, s21
	ds_load_b128 v[91:94], v82 offset:1040
	v_cmp_eq_u32_e64 s26, 4, v81
	v_cndmask_b32_e64 v65, v65, v70, s23
	v_cmp_eq_u32_e64 s28, 5, v81
	v_cndmask_b32_e64 v70, v83, v84, s23
	;; [unrolled: 2-line block ×3, first 2 shown]
	v_cndmask_b32_e64 v65, v65, v66, s25
	v_cndmask_b32_e64 v66, v104, v72, s24
	;; [unrolled: 1-line block ×3, first 2 shown]
	v_cmp_eq_u32_e64 s27, 7, v77
	v_cndmask_b32_e64 v69, v69, v86, s24
	v_cndmask_b32_e64 v65, v65, v71, s26
	s_waitcnt lgkmcnt(1)
	v_lshrrev_b32_e32 v84, 16, v87
	v_cndmask_b32_e64 v70, v70, v85, s26
	v_cndmask_b32_e64 v83, v103, v99, s18
	;; [unrolled: 1-line block ×4, first 2 shown]
	v_lshrrev_b32_e32 v95, 16, v88
	v_cndmask_b32_e64 v70, v70, v98, s28
	s_waitcnt lgkmcnt(0)
	v_lshrrev_b32_e32 v85, 16, v91
	v_cndmask_b32_e64 v97, v87, v84, s3
	v_cndmask_b32_e64 v65, v65, v72, s29
	;; [unrolled: 1-line block ×4, first 2 shown]
	v_cndmask_b32_e32 v71, v87, v84, vcc_lo
	v_cndmask_b32_e32 v98, v91, v85, vcc_lo
	v_cmp_eq_u32_e32 vcc_lo, 7, v81
	v_cndmask_b32_e64 v72, v97, v88, s6
	v_lshrrev_b32_e32 v97, 16, v92
	v_lshrrev_b32_e32 v103, 16, v90
	v_dual_cndmask_b32 v65, v65, v96 :: v_dual_cndmask_b32 v70, v70, v99
	v_cndmask_b32_e64 v71, v71, v88, s4
	v_cndmask_b32_e64 v86, v98, v92, s4
	v_cndmask_b32_e64 v72, v72, v95, s8
	v_lshrrev_b32_e32 v98, 16, v89
	v_lshrrev_b32_e32 v99, 16, v93
	v_cndmask_b32_e64 v71, v71, v95, s7
	v_cndmask_b32_e64 v86, v86, v97, s7
	;; [unrolled: 1-line block ×3, first 2 shown]
	v_perm_b32 v72, v70, v65, 0x5040100
	v_perm_b32 v70, v83, v102, 0x5040100
	v_cndmask_b32_e64 v71, v71, v89, s9
	v_cndmask_b32_e64 v86, v86, v93, s9
	;; [unrolled: 1-line block ×3, first 2 shown]
	v_lshrrev_b32_e32 v83, 16, v94
	s_delay_alu instid0(VALU_DEP_4) | instskip(NEXT) | instid1(VALU_DEP_4)
	v_cndmask_b32_e64 v71, v71, v98, s10
	v_cndmask_b32_e64 v86, v86, v99, s10
	s_delay_alu instid0(VALU_DEP_4) | instskip(NEXT) | instid1(VALU_DEP_3)
	v_cndmask_b32_e64 v65, v65, v90, s16
	v_cndmask_b32_e64 v96, v71, v90, s12
	v_perm_b32 v71, v69, v66, 0x5040100
	s_delay_alu instid0(VALU_DEP_4)
	v_cndmask_b32_e64 v69, v86, v94, s12
	v_cndmask_b32_e64 v86, v87, v84, s5
	;; [unrolled: 1-line block ×34, first 2 shown]
	v_cndmask_b32_e32 v84, v84, v103, vcc_lo
	v_cndmask_b32_e32 v86, v87, v83, vcc_lo
	v_cndmask_b32_e64 v87, v88, v83, s27
	v_cndmask_b32_e64 v88, v85, v83, s18
	v_cndmask_b32_e64 v83, v69, v83, s15
	v_perm_b32 v69, v101, v100, 0x5040100
	v_perm_b32 v86, v86, v84, 0x5040100
	;; [unrolled: 1-line block ×5, first 2 shown]
	s_lshl_b32 s8, s35, 2
	s_mov_b32 s3, exec_lo
	ds_store_b128 v76, v[69:72]
	ds_store_b128 v76, v[83:86] offset:1024
	v_cmpx_gt_u32_e32 4, v0
	s_cbranch_execz .LBB1445_78
; %bb.77:
	v_or_b32_e32 v65, s31, v0
	s_load_b128 s[4:7], s[0:1], 0x58
	s_delay_alu instid0(VALU_DEP_1) | instskip(NEXT) | instid1(VALU_DEP_1)
	v_mad_u64_u32 v[69:70], null, s8, s30, v[65:66]
	v_mad_u64_u32 v[65:66], null, v69, s34, s[14:15]
	s_delay_alu instid0(VALU_DEP_1) | instskip(NEXT) | instid1(VALU_DEP_1)
	v_ashrrev_i32_e32 v66, 31, v65
	v_lshlrev_b64 v[65:66], 2, v[65:66]
	s_waitcnt lgkmcnt(0)
	s_delay_alu instid0(VALU_DEP_1) | instskip(NEXT) | instid1(VALU_DEP_2)
	v_add_co_u32 v69, vcc_lo, s6, v65
	v_add_co_ci_u32_e32 v70, vcc_lo, s7, v66, vcc_lo
	v_add_co_u32 v65, vcc_lo, s4, v65
	v_add_co_ci_u32_e32 v66, vcc_lo, s5, v66, vcc_lo
	global_store_b32 v[69:70], v67, off
	global_store_b32 v[65:66], v68, off
.LBB1445_78:
	s_or_b32 exec_lo, exec_lo, s3
	s_waitcnt lgkmcnt(0)
	s_waitcnt_vscnt null, 0x0
	s_barrier
	buffer_gl0_inv
	ds_load_b128 v[83:86], v80
	ds_load_b128 v[87:90], v80 offset:16
	ds_load_b128 v[95:98], v80 offset:2064
	;; [unrolled: 1-line block ×3, first 2 shown]
	v_mov_b32_e32 v65, 0
	ds_load_b128 v[103:106], v80 offset:4112
	ds_load_b128 v[99:102], v80 offset:4096
	;; [unrolled: 1-line block ×4, first 2 shown]
	v_mov_b32_e32 v66, v65
	v_mov_b32_e32 v67, v65
	;; [unrolled: 1-line block ×7, first 2 shown]
	s_waitcnt lgkmcnt(6)
	s_delay_alu instid0(VALU_DEP_1)
	v_wmma_f32_16x16x16_bf16 v[65:72], v[57:64], v[83:90], v[65:72]
	ds_load_b128 v[61:64], v80 offset:8208
	ds_load_b128 v[57:60], v80 offset:8192
	s_waitcnt lgkmcnt(6)
	v_wmma_f32_16x16x16_bf16 v[65:72], v[41:48], v[91:98], v[65:72]
	ds_load_b128 v[45:48], v80 offset:10256
	ds_load_b128 v[41:44], v80 offset:10240
	s_waitcnt lgkmcnt(6)
	;; [unrolled: 4-line block ×4, first 2 shown]
	v_wmma_f32_16x16x16_bf16 v[65:72], v[1:8], v[57:64], v[65:72]
	s_waitcnt lgkmcnt(4)
	s_delay_alu instid0(VALU_DEP_1) | instskip(SKIP_1) | instid1(VALU_DEP_1)
	v_wmma_f32_16x16x16_bf16 v[65:72], v[9:16], v[41:48], v[65:72]
	s_waitcnt lgkmcnt(2)
	v_wmma_f32_16x16x16_bf16 v[65:72], v[17:24], v[33:40], v[65:72]
	s_waitcnt lgkmcnt(0)
	s_delay_alu instid0(VALU_DEP_1) | instskip(NEXT) | instid1(VALU_DEP_1)
	v_wmma_f32_16x16x16_bf16 v[65:72], v[49:56], v[25:32], v[65:72]
	v_and_b32_e32 v1, 0x7f800000, v65
	s_delay_alu instid0(VALU_DEP_1) | instskip(SKIP_1) | instid1(SALU_CYCLE_1)
	v_cmp_ne_u32_e32 vcc_lo, 0x7f800000, v1
                                        ; implicit-def: $vgpr1
	s_and_saveexec_b32 s3, vcc_lo
	s_xor_b32 s3, exec_lo, s3
; %bb.79:
	v_bfe_u32 v1, v65, 16, 1
	s_delay_alu instid0(VALU_DEP_1)
	v_add3_u32 v1, v65, v1, 0x7fff
; %bb.80:
	s_and_not1_saveexec_b32 s3, s3
; %bb.81:
	v_and_b32_e32 v1, 0xffff, v65
	v_or_b32_e32 v2, 0x10000, v65
	s_delay_alu instid0(VALU_DEP_2) | instskip(NEXT) | instid1(VALU_DEP_2)
	v_cmp_eq_u32_e32 vcc_lo, 0, v1
	v_cndmask_b32_e32 v1, v2, v65, vcc_lo
; %bb.82:
	s_or_b32 exec_lo, exec_lo, s3
	v_and_b32_e32 v2, 0x7f800000, v66
	s_delay_alu instid0(VALU_DEP_1) | instskip(SKIP_1) | instid1(SALU_CYCLE_1)
	v_cmp_ne_u32_e32 vcc_lo, 0x7f800000, v2
                                        ; implicit-def: $vgpr2
	s_and_saveexec_b32 s3, vcc_lo
	s_xor_b32 s3, exec_lo, s3
; %bb.83:
	v_bfe_u32 v2, v66, 16, 1
	s_delay_alu instid0(VALU_DEP_1)
	v_add3_u32 v2, v66, v2, 0x7fff
; %bb.84:
	s_and_not1_saveexec_b32 s3, s3
; %bb.85:
	v_and_b32_e32 v2, 0xffff, v66
	v_or_b32_e32 v3, 0x10000, v66
	s_delay_alu instid0(VALU_DEP_2) | instskip(NEXT) | instid1(VALU_DEP_2)
	v_cmp_eq_u32_e32 vcc_lo, 0, v2
	v_cndmask_b32_e32 v2, v3, v66, vcc_lo
; %bb.86:
	s_or_b32 exec_lo, exec_lo, s3
	v_and_b32_e32 v3, 0x7f800000, v67
	s_delay_alu instid0(VALU_DEP_1) | instskip(SKIP_1) | instid1(SALU_CYCLE_1)
	v_cmp_ne_u32_e32 vcc_lo, 0x7f800000, v3
                                        ; implicit-def: $vgpr3
	s_and_saveexec_b32 s3, vcc_lo
	s_xor_b32 s3, exec_lo, s3
; %bb.87:
	v_bfe_u32 v3, v67, 16, 1
	s_delay_alu instid0(VALU_DEP_1)
	v_add3_u32 v3, v67, v3, 0x7fff
; %bb.88:
	s_and_not1_saveexec_b32 s3, s3
; %bb.89:
	v_and_b32_e32 v3, 0xffff, v67
	v_or_b32_e32 v4, 0x10000, v67
	s_delay_alu instid0(VALU_DEP_2) | instskip(NEXT) | instid1(VALU_DEP_2)
	v_cmp_eq_u32_e32 vcc_lo, 0, v3
	v_cndmask_b32_e32 v3, v4, v67, vcc_lo
; %bb.90:
	s_or_b32 exec_lo, exec_lo, s3
	v_and_b32_e32 v4, 0x7f800000, v68
	s_delay_alu instid0(VALU_DEP_1) | instskip(SKIP_1) | instid1(SALU_CYCLE_1)
	v_cmp_ne_u32_e32 vcc_lo, 0x7f800000, v4
                                        ; implicit-def: $vgpr4
	s_and_saveexec_b32 s3, vcc_lo
	s_xor_b32 s3, exec_lo, s3
; %bb.91:
	v_bfe_u32 v4, v68, 16, 1
	s_delay_alu instid0(VALU_DEP_1)
	v_add3_u32 v4, v68, v4, 0x7fff
; %bb.92:
	s_and_not1_saveexec_b32 s3, s3
; %bb.93:
	v_and_b32_e32 v4, 0xffff, v68
	v_or_b32_e32 v5, 0x10000, v68
	s_delay_alu instid0(VALU_DEP_2) | instskip(NEXT) | instid1(VALU_DEP_2)
	v_cmp_eq_u32_e32 vcc_lo, 0, v4
	v_cndmask_b32_e32 v4, v5, v68, vcc_lo
; %bb.94:
	s_or_b32 exec_lo, exec_lo, s3
	v_and_b32_e32 v5, 0x7f800000, v69
	s_delay_alu instid0(VALU_DEP_1) | instskip(SKIP_1) | instid1(SALU_CYCLE_1)
	v_cmp_ne_u32_e32 vcc_lo, 0x7f800000, v5
                                        ; implicit-def: $vgpr5
	s_and_saveexec_b32 s3, vcc_lo
	s_xor_b32 s3, exec_lo, s3
; %bb.95:
	v_bfe_u32 v5, v69, 16, 1
	s_delay_alu instid0(VALU_DEP_1)
	v_add3_u32 v5, v69, v5, 0x7fff
; %bb.96:
	s_and_not1_saveexec_b32 s3, s3
; %bb.97:
	v_and_b32_e32 v5, 0xffff, v69
	v_or_b32_e32 v6, 0x10000, v69
	s_delay_alu instid0(VALU_DEP_2) | instskip(NEXT) | instid1(VALU_DEP_2)
	v_cmp_eq_u32_e32 vcc_lo, 0, v5
	v_cndmask_b32_e32 v5, v6, v69, vcc_lo
; %bb.98:
	s_or_b32 exec_lo, exec_lo, s3
	v_and_b32_e32 v6, 0x7f800000, v70
	s_delay_alu instid0(VALU_DEP_1) | instskip(SKIP_1) | instid1(SALU_CYCLE_1)
	v_cmp_ne_u32_e32 vcc_lo, 0x7f800000, v6
                                        ; implicit-def: $vgpr6
	s_and_saveexec_b32 s3, vcc_lo
	s_xor_b32 s3, exec_lo, s3
; %bb.99:
	v_bfe_u32 v6, v70, 16, 1
	s_delay_alu instid0(VALU_DEP_1)
	v_add3_u32 v6, v70, v6, 0x7fff
; %bb.100:
	s_and_not1_saveexec_b32 s3, s3
; %bb.101:
	v_and_b32_e32 v6, 0xffff, v70
	v_or_b32_e32 v7, 0x10000, v70
	s_delay_alu instid0(VALU_DEP_2) | instskip(NEXT) | instid1(VALU_DEP_2)
	v_cmp_eq_u32_e32 vcc_lo, 0, v6
	v_cndmask_b32_e32 v6, v7, v70, vcc_lo
; %bb.102:
	s_or_b32 exec_lo, exec_lo, s3
	v_and_b32_e32 v7, 0x7f800000, v71
	s_delay_alu instid0(VALU_DEP_1) | instskip(SKIP_1) | instid1(SALU_CYCLE_1)
	v_cmp_ne_u32_e32 vcc_lo, 0x7f800000, v7
                                        ; implicit-def: $vgpr7
	s_and_saveexec_b32 s3, vcc_lo
	s_xor_b32 s3, exec_lo, s3
; %bb.103:
	v_bfe_u32 v7, v71, 16, 1
	s_delay_alu instid0(VALU_DEP_1)
	v_add3_u32 v7, v71, v7, 0x7fff
; %bb.104:
	s_and_not1_saveexec_b32 s3, s3
; %bb.105:
	v_and_b32_e32 v7, 0xffff, v71
	v_or_b32_e32 v8, 0x10000, v71
	s_delay_alu instid0(VALU_DEP_2) | instskip(NEXT) | instid1(VALU_DEP_2)
	v_cmp_eq_u32_e32 vcc_lo, 0, v7
	v_cndmask_b32_e32 v7, v8, v71, vcc_lo
; %bb.106:
	s_or_b32 exec_lo, exec_lo, s3
	v_and_b32_e32 v8, 0x7f800000, v72
	s_delay_alu instid0(VALU_DEP_1) | instskip(SKIP_1) | instid1(SALU_CYCLE_1)
	v_cmp_ne_u32_e32 vcc_lo, 0x7f800000, v8
                                        ; implicit-def: $vgpr8
	s_and_saveexec_b32 s3, vcc_lo
	s_xor_b32 s3, exec_lo, s3
; %bb.107:
	v_bfe_u32 v8, v72, 16, 1
	s_delay_alu instid0(VALU_DEP_1)
	v_add3_u32 v8, v72, v8, 0x7fff
                                        ; implicit-def: $vgpr65_vgpr66_vgpr67_vgpr68_vgpr69_vgpr70_vgpr71_vgpr72
; %bb.108:
	s_and_not1_saveexec_b32 s3, s3
; %bb.109:
	v_and_b32_e32 v8, 0xffff, v72
	v_or_b32_e32 v9, 0x10000, v72
	s_delay_alu instid0(VALU_DEP_2) | instskip(NEXT) | instid1(VALU_DEP_2)
	v_cmp_eq_u32_e32 vcc_lo, 0, v8
	v_cndmask_b32_e32 v8, v9, v72, vcc_lo
; %bb.110:
	s_or_b32 exec_lo, exec_lo, s3
	s_delay_alu instid0(VALU_DEP_1)
	v_perm_b32 v7, v8, v7, 0x7060302
	v_perm_b32 v6, v6, v5, 0x7060302
	v_perm_b32 v5, v4, v3, 0x7060302
	v_perm_b32 v4, v2, v1, 0x7060302
	s_barrier
	buffer_gl0_inv
	v_cmp_eq_u32_e32 vcc_lo, 1, v78
	ds_store_b128 v76, v[4:7]
	s_waitcnt lgkmcnt(0)
	s_barrier
	buffer_gl0_inv
	ds_load_b128 v[1:4], v82
	ds_load_b128 v[5:8], v82 offset:16
	v_cmp_eq_u32_e64 s3, 1, v79
	v_cmp_eq_u32_e64 s4, 2, v78
	;; [unrolled: 1-line block ×5, first 2 shown]
	s_waitcnt lgkmcnt(1)
	v_lshrrev_b32_e32 v9, 16, v1
	s_waitcnt lgkmcnt(0)
	v_lshrrev_b32_e32 v13, 16, v5
	v_lshrrev_b32_e32 v10, 16, v2
	;; [unrolled: 1-line block ×4, first 2 shown]
	v_cndmask_b32_e64 v19, v1, v9, s3
	v_cndmask_b32_e32 v18, v5, v13, vcc_lo
	v_cndmask_b32_e64 v20, v5, v13, s3
	v_cndmask_b32_e32 v17, v1, v9, vcc_lo
	v_cmp_eq_u32_e32 vcc_lo, 2, v79
	v_lshrrev_b32_e32 v15, 16, v7
	v_cmp_eq_u32_e64 s3, 1, v77
	v_lshrrev_b32_e32 v12, 16, v4
	v_lshrrev_b32_e32 v16, 16, v8
	v_cndmask_b32_e32 v20, v20, v6, vcc_lo
	v_cndmask_b32_e64 v17, v17, v2, s4
	v_cndmask_b32_e32 v19, v19, v2, vcc_lo
	v_cndmask_b32_e64 v18, v18, v6, s4
	v_cmp_eq_u32_e32 vcc_lo, 4, v78
	v_cmp_eq_u32_e64 s4, 3, v79
	v_cndmask_b32_e64 v17, v17, v10, s5
	v_cndmask_b32_e64 v21, v1, v9, s3
	v_cndmask_b32_e64 v18, v18, v14, s5
	v_cndmask_b32_e64 v22, v5, v13, s3
	v_cndmask_b32_e64 v19, v19, v10, s4
	v_cndmask_b32_e32 v17, v17, v3, vcc_lo
	v_cndmask_b32_e64 v20, v20, v14, s4
	v_cndmask_b32_e32 v18, v18, v7, vcc_lo
	v_cmp_eq_u32_e32 vcc_lo, 4, v79
	v_cmp_eq_u32_e64 s4, 5, v79
	v_cmp_eq_u32_e64 s3, 2, v81
	v_cndmask_b32_e64 v21, v21, v2, s7
	v_cmp_eq_u32_e64 s5, 5, v78
	v_cndmask_b32_e32 v19, v19, v3, vcc_lo
	v_cndmask_b32_e32 v20, v20, v7, vcc_lo
	v_cmp_eq_u32_e32 vcc_lo, 6, v79
	s_delay_alu instid0(VALU_DEP_4) | instskip(NEXT) | instid1(VALU_DEP_4)
	v_cndmask_b32_e64 v17, v17, v11, s5
	v_cndmask_b32_e64 v19, v19, v11, s4
	s_delay_alu instid0(VALU_DEP_4) | instskip(SKIP_1) | instid1(VALU_DEP_3)
	v_cndmask_b32_e64 v20, v20, v15, s4
	v_cmp_eq_u32_e64 s4, 1, v81
	v_cndmask_b32_e32 v19, v19, v4, vcc_lo
	v_cndmask_b32_e64 v18, v18, v15, s5
	s_delay_alu instid0(VALU_DEP_3)
	v_cndmask_b32_e64 v1, v1, v9, s4
	v_cndmask_b32_e64 v5, v5, v13, s4
	v_cmp_eq_u32_e64 s4, 3, v77
	v_cndmask_b32_e64 v13, v22, v6, s7
	v_cmp_eq_u32_e64 s7, 3, v81
	v_cndmask_b32_e64 v1, v1, v2, s3
	v_cndmask_b32_e64 v2, v5, v6, s3
	v_cndmask_b32_e64 v9, v21, v10, s4
	v_cmp_eq_u32_e64 s3, 4, v77
	v_cndmask_b32_e64 v6, v13, v14, s4
	v_cndmask_b32_e64 v1, v1, v10, s7
	v_cmp_eq_u32_e64 s4, 4, v81
	v_cndmask_b32_e64 v2, v2, v14, s7
	v_cndmask_b32_e64 v5, v9, v3, s3
	;; [unrolled: 3-line block ×3, first 2 shown]
	v_cndmask_b32_e64 v2, v2, v7, s4
	v_cmp_eq_u32_e64 s3, 5, v81
	v_cmp_eq_u32_e64 s5, 6, v78
	v_cndmask_b32_e64 v5, v5, v11, s7
	v_cmp_eq_u32_e64 s4, 6, v77
	v_cndmask_b32_e64 v3, v6, v15, s7
	v_cndmask_b32_e64 v1, v1, v11, s3
	v_cmp_eq_u32_e64 s7, 6, v81
	v_cndmask_b32_e64 v2, v2, v15, s3
	v_cndmask_b32_e64 v17, v17, v4, s5
	v_cndmask_b32_e64 v18, v18, v8, s5
	v_cmp_eq_u32_e64 s5, 7, v78
	v_cndmask_b32_e64 v5, v5, v4, s4
	;; [unrolled: 4-line block ×3, first 2 shown]
	v_cmp_eq_u32_e64 s4, 7, v77
	v_cndmask_b32_e32 v4, v20, v8, vcc_lo
	v_cndmask_b32_e64 v17, v17, v12, s5
	v_cndmask_b32_e64 v19, v19, v12, s6
	v_cndmask_b32_e64 v1, v1, v12, s3
	v_cndmask_b32_e64 v5, v5, v12, s4
	v_cndmask_b32_e64 v2, v2, v16, s3
	v_cndmask_b32_e64 v3, v3, v16, s4
	v_cndmask_b32_e64 v6, v4, v16, s6
	v_cndmask_b32_e64 v7, v18, v16, s5
	v_cmp_gt_u32_e32 vcc_lo, 32, v0
	v_perm_b32 v4, v2, v1, 0x5040100
	v_perm_b32 v3, v3, v5, 0x5040100
	;; [unrolled: 1-line block ×4, first 2 shown]
	s_and_b32 s2, vcc_lo, s2
	ds_store_b128 v76, v[1:4]
	s_waitcnt lgkmcnt(0)
	s_barrier
	buffer_gl0_inv
	s_and_saveexec_b32 s3, s2
	s_cbranch_execz .LBB1445_2
; %bb.111:
	s_load_b64 s[0:1], s[0:1], 0x68
	v_lshlrev_b32_e32 v0, 10, v0
	v_or_b32_e32 v1, s31, v75
	s_lshl_b32 s4, s34, 6
	v_lshlrev_b32_e32 v2, 4, v74
	s_mul_i32 s2, s4, s30
	v_lshlrev_b32_e32 v3, 6, v75
	v_mul_lo_u32 v8, v1, s4
	v_and_b32_e32 v0, 0x3800, v0
	v_or_b32_e32 v1, 2, v1
	s_mul_i32 s2, s2, s8
	s_delay_alu instid0(SALU_CYCLE_1) | instskip(NEXT) | instid1(VALU_DEP_2)
	s_ashr_i32 s3, s2, 31
	v_or3_b32 v4, v0, v2, v3
	s_lshl_b64 s[2:3], s[2:3], 1
	v_mul_lo_u32 v10, v1, s4
	v_ashrrev_i32_e32 v9, 31, v8
	ds_load_b128 v[0:3], v4
	ds_load_b128 v[4:7], v4 offset:128
	s_waitcnt lgkmcnt(0)
	s_add_u32 s2, s0, s2
	s_addc_u32 s3, s1, s3
	s_lshl_b32 s0, s14, 6
	v_ashrrev_i32_e32 v11, 31, v10
	s_ashr_i32 s1, s0, 31
	v_lshlrev_b64 v[8:9], 1, v[8:9]
	s_lshl_b64 s[0:1], s[0:1], 1
	s_delay_alu instid0(SALU_CYCLE_1) | instskip(SKIP_2) | instid1(VALU_DEP_1)
	s_add_u32 s0, s2, s0
	s_addc_u32 s1, s3, s1
	v_add_co_u32 v12, s0, s0, v73
	v_add_co_ci_u32_e64 v13, null, s1, 0, s0
	v_lshlrev_b64 v[10:11], 1, v[10:11]
	s_delay_alu instid0(VALU_DEP_3) | instskip(NEXT) | instid1(VALU_DEP_3)
	v_add_co_u32 v8, vcc_lo, v12, v8
	v_add_co_ci_u32_e32 v9, vcc_lo, v13, v9, vcc_lo
	s_delay_alu instid0(VALU_DEP_3) | instskip(NEXT) | instid1(VALU_DEP_4)
	v_add_co_u32 v10, vcc_lo, v12, v10
	v_add_co_ci_u32_e32 v11, vcc_lo, v13, v11, vcc_lo
	s_clause 0x1
	global_store_b128 v[8:9], v[0:3], off
	global_store_b128 v[10:11], v[4:7], off
	s_nop 0
	s_sendmsg sendmsg(MSG_DEALLOC_VGPRS)
	s_endpgm
	.section	.rodata,"a",@progbits
	.p2align	6, 0x0
	.amdhsa_kernel _Z39paged_attention_ll4mi_QKV_mfma16_kernelI14__hip_bfloat16hLN4vllm18Fp8KVCacheDataTypeE1EhLi32ELi64ELi256ELb1ELi4EL8MFMAType1EEvPKT_PKT0_S9_ifPKiSB_SB_iPKfiiiPfSE_PS4_PT2_iSD_SD_
		.amdhsa_group_segment_fixed_size 17472
		.amdhsa_private_segment_fixed_size 0
		.amdhsa_kernarg_size 400
		.amdhsa_user_sgpr_count 13
		.amdhsa_user_sgpr_dispatch_ptr 0
		.amdhsa_user_sgpr_queue_ptr 0
		.amdhsa_user_sgpr_kernarg_segment_ptr 1
		.amdhsa_user_sgpr_dispatch_id 0
		.amdhsa_user_sgpr_private_segment_size 0
		.amdhsa_wavefront_size32 1
		.amdhsa_uses_dynamic_stack 0
		.amdhsa_enable_private_segment 0
		.amdhsa_system_sgpr_workgroup_id_x 1
		.amdhsa_system_sgpr_workgroup_id_y 1
		.amdhsa_system_sgpr_workgroup_id_z 1
		.amdhsa_system_sgpr_workgroup_info 0
		.amdhsa_system_vgpr_workitem_id 0
		.amdhsa_next_free_vgpr 124
		.amdhsa_next_free_sgpr 40
		.amdhsa_reserve_vcc 1
		.amdhsa_float_round_mode_32 0
		.amdhsa_float_round_mode_16_64 0
		.amdhsa_float_denorm_mode_32 3
		.amdhsa_float_denorm_mode_16_64 3
		.amdhsa_dx10_clamp 1
		.amdhsa_ieee_mode 1
		.amdhsa_fp16_overflow 0
		.amdhsa_workgroup_processor_mode 1
		.amdhsa_memory_ordered 1
		.amdhsa_forward_progress 0
		.amdhsa_shared_vgpr_count 0
		.amdhsa_exception_fp_ieee_invalid_op 0
		.amdhsa_exception_fp_denorm_src 0
		.amdhsa_exception_fp_ieee_div_zero 0
		.amdhsa_exception_fp_ieee_overflow 0
		.amdhsa_exception_fp_ieee_underflow 0
		.amdhsa_exception_fp_ieee_inexact 0
		.amdhsa_exception_int_div_zero 0
	.end_amdhsa_kernel
	.section	.text._Z39paged_attention_ll4mi_QKV_mfma16_kernelI14__hip_bfloat16hLN4vllm18Fp8KVCacheDataTypeE1EhLi32ELi64ELi256ELb1ELi4EL8MFMAType1EEvPKT_PKT0_S9_ifPKiSB_SB_iPKfiiiPfSE_PS4_PT2_iSD_SD_,"axG",@progbits,_Z39paged_attention_ll4mi_QKV_mfma16_kernelI14__hip_bfloat16hLN4vllm18Fp8KVCacheDataTypeE1EhLi32ELi64ELi256ELb1ELi4EL8MFMAType1EEvPKT_PKT0_S9_ifPKiSB_SB_iPKfiiiPfSE_PS4_PT2_iSD_SD_,comdat
.Lfunc_end1445:
	.size	_Z39paged_attention_ll4mi_QKV_mfma16_kernelI14__hip_bfloat16hLN4vllm18Fp8KVCacheDataTypeE1EhLi32ELi64ELi256ELb1ELi4EL8MFMAType1EEvPKT_PKT0_S9_ifPKiSB_SB_iPKfiiiPfSE_PS4_PT2_iSD_SD_, .Lfunc_end1445-_Z39paged_attention_ll4mi_QKV_mfma16_kernelI14__hip_bfloat16hLN4vllm18Fp8KVCacheDataTypeE1EhLi32ELi64ELi256ELb1ELi4EL8MFMAType1EEvPKT_PKT0_S9_ifPKiSB_SB_iPKfiiiPfSE_PS4_PT2_iSD_SD_
                                        ; -- End function
	.section	.AMDGPU.csdata,"",@progbits
; Kernel info:
; codeLenInByte = 8612
; NumSgprs: 42
; NumVgprs: 124
; ScratchSize: 0
; MemoryBound: 0
; FloatMode: 240
; IeeeMode: 1
; LDSByteSize: 17472 bytes/workgroup (compile time only)
; SGPRBlocks: 5
; VGPRBlocks: 15
; NumSGPRsForWavesPerEU: 42
; NumVGPRsForWavesPerEU: 124
; Occupancy: 10
; WaveLimiterHint : 1
; COMPUTE_PGM_RSRC2:SCRATCH_EN: 0
; COMPUTE_PGM_RSRC2:USER_SGPR: 13
; COMPUTE_PGM_RSRC2:TRAP_HANDLER: 0
; COMPUTE_PGM_RSRC2:TGID_X_EN: 1
; COMPUTE_PGM_RSRC2:TGID_Y_EN: 1
; COMPUTE_PGM_RSRC2:TGID_Z_EN: 1
; COMPUTE_PGM_RSRC2:TIDIG_COMP_CNT: 0
	.section	.text._Z38paged_attention_ll4mi_QKV_mfma4_kernelI14__hip_bfloat16hLN4vllm18Fp8KVCacheDataTypeE1EhLi32ELi64ELi256ELb0ELi1EEvPKT_PKT0_S8_ifPKiSA_SA_iPKfiiiPfSD_PS3_PT2_iSC_SC_,"axG",@progbits,_Z38paged_attention_ll4mi_QKV_mfma4_kernelI14__hip_bfloat16hLN4vllm18Fp8KVCacheDataTypeE1EhLi32ELi64ELi256ELb0ELi1EEvPKT_PKT0_S8_ifPKiSA_SA_iPKfiiiPfSD_PS3_PT2_iSC_SC_,comdat
	.protected	_Z38paged_attention_ll4mi_QKV_mfma4_kernelI14__hip_bfloat16hLN4vllm18Fp8KVCacheDataTypeE1EhLi32ELi64ELi256ELb0ELi1EEvPKT_PKT0_S8_ifPKiSA_SA_iPKfiiiPfSD_PS3_PT2_iSC_SC_ ; -- Begin function _Z38paged_attention_ll4mi_QKV_mfma4_kernelI14__hip_bfloat16hLN4vllm18Fp8KVCacheDataTypeE1EhLi32ELi64ELi256ELb0ELi1EEvPKT_PKT0_S8_ifPKiSA_SA_iPKfiiiPfSD_PS3_PT2_iSC_SC_
	.globl	_Z38paged_attention_ll4mi_QKV_mfma4_kernelI14__hip_bfloat16hLN4vllm18Fp8KVCacheDataTypeE1EhLi32ELi64ELi256ELb0ELi1EEvPKT_PKT0_S8_ifPKiSA_SA_iPKfiiiPfSD_PS3_PT2_iSC_SC_
	.p2align	8
	.type	_Z38paged_attention_ll4mi_QKV_mfma4_kernelI14__hip_bfloat16hLN4vllm18Fp8KVCacheDataTypeE1EhLi32ELi64ELi256ELb0ELi1EEvPKT_PKT0_S8_ifPKiSA_SA_iPKfiiiPfSD_PS3_PT2_iSC_SC_,@function
_Z38paged_attention_ll4mi_QKV_mfma4_kernelI14__hip_bfloat16hLN4vllm18Fp8KVCacheDataTypeE1EhLi32ELi64ELi256ELb0ELi1EEvPKT_PKT0_S8_ifPKiSA_SA_iPKfiiiPfSD_PS3_PT2_iSC_SC_: ; @_Z38paged_attention_ll4mi_QKV_mfma4_kernelI14__hip_bfloat16hLN4vllm18Fp8KVCacheDataTypeE1EhLi32ELi64ELi256ELb0ELi1EEvPKT_PKT0_S8_ifPKiSA_SA_iPKfiiiPfSD_PS3_PT2_iSC_SC_
; %bb.0:
	s_add_u32 s8, s0, 0x90
	s_addc_u32 s9, s1, 0
	s_getpc_b64 s[0:1]
	s_add_u32 s0, s0, __PRETTY_FUNCTION__._Z38paged_attention_ll4mi_QKV_mfma4_kernelI14__hip_bfloat16hLN4vllm18Fp8KVCacheDataTypeE1EhLi32ELi64ELi256ELb0ELi1EEvPKT_PKT0_S8_ifPKiSA_SA_iPKfiiiPfSD_PS3_PT2_iSC_SC_@rel32@lo+4
	s_addc_u32 s1, s1, __PRETTY_FUNCTION__._Z38paged_attention_ll4mi_QKV_mfma4_kernelI14__hip_bfloat16hLN4vllm18Fp8KVCacheDataTypeE1EhLi32ELi64ELi256ELb0ELi1EEvPKT_PKT0_S8_ifPKiSA_SA_iPKfiiiPfSD_PS3_PT2_iSC_SC_@rel32@hi+12
	s_delay_alu instid0(SALU_CYCLE_1) | instskip(SKIP_4) | instid1(SALU_CYCLE_1)
	v_dual_mov_b32 v0, s0 :: v_dual_mov_b32 v1, s1
	s_mov_b32 s32, 0
	s_getpc_b64 s[2:3]
	s_add_u32 s2, s2, __assert_fail@rel32@lo+4
	s_addc_u32 s3, s3, __assert_fail@rel32@hi+12
	s_swappc_b64 s[30:31], s[2:3]
	.section	.rodata,"a",@progbits
	.p2align	6, 0x0
	.amdhsa_kernel _Z38paged_attention_ll4mi_QKV_mfma4_kernelI14__hip_bfloat16hLN4vllm18Fp8KVCacheDataTypeE1EhLi32ELi64ELi256ELb0ELi1EEvPKT_PKT0_S8_ifPKiSA_SA_iPKfiiiPfSD_PS3_PT2_iSC_SC_
		.amdhsa_group_segment_fixed_size 0
		.amdhsa_private_segment_fixed_size 64
		.amdhsa_kernarg_size 400
		.amdhsa_user_sgpr_count 15
		.amdhsa_user_sgpr_dispatch_ptr 0
		.amdhsa_user_sgpr_queue_ptr 0
		.amdhsa_user_sgpr_kernarg_segment_ptr 1
		.amdhsa_user_sgpr_dispatch_id 0
		.amdhsa_user_sgpr_private_segment_size 0
		.amdhsa_wavefront_size32 1
		.amdhsa_uses_dynamic_stack 0
		.amdhsa_enable_private_segment 1
		.amdhsa_system_sgpr_workgroup_id_x 1
		.amdhsa_system_sgpr_workgroup_id_y 0
		.amdhsa_system_sgpr_workgroup_id_z 0
		.amdhsa_system_sgpr_workgroup_info 0
		.amdhsa_system_vgpr_workitem_id 0
		.amdhsa_next_free_vgpr 41
		.amdhsa_next_free_sgpr 34
		.amdhsa_reserve_vcc 1
		.amdhsa_float_round_mode_32 0
		.amdhsa_float_round_mode_16_64 0
		.amdhsa_float_denorm_mode_32 3
		.amdhsa_float_denorm_mode_16_64 3
		.amdhsa_dx10_clamp 1
		.amdhsa_ieee_mode 1
		.amdhsa_fp16_overflow 0
		.amdhsa_workgroup_processor_mode 1
		.amdhsa_memory_ordered 1
		.amdhsa_forward_progress 0
		.amdhsa_shared_vgpr_count 0
		.amdhsa_exception_fp_ieee_invalid_op 0
		.amdhsa_exception_fp_denorm_src 0
		.amdhsa_exception_fp_ieee_div_zero 0
		.amdhsa_exception_fp_ieee_overflow 0
		.amdhsa_exception_fp_ieee_underflow 0
		.amdhsa_exception_fp_ieee_inexact 0
		.amdhsa_exception_int_div_zero 0
	.end_amdhsa_kernel
	.section	.text._Z38paged_attention_ll4mi_QKV_mfma4_kernelI14__hip_bfloat16hLN4vllm18Fp8KVCacheDataTypeE1EhLi32ELi64ELi256ELb0ELi1EEvPKT_PKT0_S8_ifPKiSA_SA_iPKfiiiPfSD_PS3_PT2_iSC_SC_,"axG",@progbits,_Z38paged_attention_ll4mi_QKV_mfma4_kernelI14__hip_bfloat16hLN4vllm18Fp8KVCacheDataTypeE1EhLi32ELi64ELi256ELb0ELi1EEvPKT_PKT0_S8_ifPKiSA_SA_iPKfiiiPfSD_PS3_PT2_iSC_SC_,comdat
.Lfunc_end1446:
	.size	_Z38paged_attention_ll4mi_QKV_mfma4_kernelI14__hip_bfloat16hLN4vllm18Fp8KVCacheDataTypeE1EhLi32ELi64ELi256ELb0ELi1EEvPKT_PKT0_S8_ifPKiSA_SA_iPKfiiiPfSD_PS3_PT2_iSC_SC_, .Lfunc_end1446-_Z38paged_attention_ll4mi_QKV_mfma4_kernelI14__hip_bfloat16hLN4vllm18Fp8KVCacheDataTypeE1EhLi32ELi64ELi256ELb0ELi1EEvPKT_PKT0_S8_ifPKiSA_SA_iPKfiiiPfSD_PS3_PT2_iSC_SC_
                                        ; -- End function
	.section	.AMDGPU.csdata,"",@progbits
; Kernel info:
; codeLenInByte = 72
; NumSgprs: 36
; NumVgprs: 41
; ScratchSize: 64
; MemoryBound: 0
; FloatMode: 240
; IeeeMode: 1
; LDSByteSize: 0 bytes/workgroup (compile time only)
; SGPRBlocks: 4
; VGPRBlocks: 5
; NumSGPRsForWavesPerEU: 36
; NumVGPRsForWavesPerEU: 41
; Occupancy: 16
; WaveLimiterHint : 1
; COMPUTE_PGM_RSRC2:SCRATCH_EN: 1
; COMPUTE_PGM_RSRC2:USER_SGPR: 15
; COMPUTE_PGM_RSRC2:TRAP_HANDLER: 0
; COMPUTE_PGM_RSRC2:TGID_X_EN: 1
; COMPUTE_PGM_RSRC2:TGID_Y_EN: 0
; COMPUTE_PGM_RSRC2:TGID_Z_EN: 0
; COMPUTE_PGM_RSRC2:TIDIG_COMP_CNT: 0
	.section	.text._Z38paged_attention_ll4mi_QKV_mfma4_kernelI14__hip_bfloat16hLN4vllm18Fp8KVCacheDataTypeE1EhLi32ELi64ELi256ELb0ELi2EEvPKT_PKT0_S8_ifPKiSA_SA_iPKfiiiPfSD_PS3_PT2_iSC_SC_,"axG",@progbits,_Z38paged_attention_ll4mi_QKV_mfma4_kernelI14__hip_bfloat16hLN4vllm18Fp8KVCacheDataTypeE1EhLi32ELi64ELi256ELb0ELi2EEvPKT_PKT0_S8_ifPKiSA_SA_iPKfiiiPfSD_PS3_PT2_iSC_SC_,comdat
	.protected	_Z38paged_attention_ll4mi_QKV_mfma4_kernelI14__hip_bfloat16hLN4vllm18Fp8KVCacheDataTypeE1EhLi32ELi64ELi256ELb0ELi2EEvPKT_PKT0_S8_ifPKiSA_SA_iPKfiiiPfSD_PS3_PT2_iSC_SC_ ; -- Begin function _Z38paged_attention_ll4mi_QKV_mfma4_kernelI14__hip_bfloat16hLN4vllm18Fp8KVCacheDataTypeE1EhLi32ELi64ELi256ELb0ELi2EEvPKT_PKT0_S8_ifPKiSA_SA_iPKfiiiPfSD_PS3_PT2_iSC_SC_
	.globl	_Z38paged_attention_ll4mi_QKV_mfma4_kernelI14__hip_bfloat16hLN4vllm18Fp8KVCacheDataTypeE1EhLi32ELi64ELi256ELb0ELi2EEvPKT_PKT0_S8_ifPKiSA_SA_iPKfiiiPfSD_PS3_PT2_iSC_SC_
	.p2align	8
	.type	_Z38paged_attention_ll4mi_QKV_mfma4_kernelI14__hip_bfloat16hLN4vllm18Fp8KVCacheDataTypeE1EhLi32ELi64ELi256ELb0ELi2EEvPKT_PKT0_S8_ifPKiSA_SA_iPKfiiiPfSD_PS3_PT2_iSC_SC_,@function
_Z38paged_attention_ll4mi_QKV_mfma4_kernelI14__hip_bfloat16hLN4vllm18Fp8KVCacheDataTypeE1EhLi32ELi64ELi256ELb0ELi2EEvPKT_PKT0_S8_ifPKiSA_SA_iPKfiiiPfSD_PS3_PT2_iSC_SC_: ; @_Z38paged_attention_ll4mi_QKV_mfma4_kernelI14__hip_bfloat16hLN4vllm18Fp8KVCacheDataTypeE1EhLi32ELi64ELi256ELb0ELi2EEvPKT_PKT0_S8_ifPKiSA_SA_iPKfiiiPfSD_PS3_PT2_iSC_SC_
; %bb.0:
	s_add_u32 s8, s0, 0x90
	s_addc_u32 s9, s1, 0
	s_getpc_b64 s[0:1]
	s_add_u32 s0, s0, __PRETTY_FUNCTION__._Z38paged_attention_ll4mi_QKV_mfma4_kernelI14__hip_bfloat16hLN4vllm18Fp8KVCacheDataTypeE1EhLi32ELi64ELi256ELb0ELi2EEvPKT_PKT0_S8_ifPKiSA_SA_iPKfiiiPfSD_PS3_PT2_iSC_SC_@rel32@lo+4
	s_addc_u32 s1, s1, __PRETTY_FUNCTION__._Z38paged_attention_ll4mi_QKV_mfma4_kernelI14__hip_bfloat16hLN4vllm18Fp8KVCacheDataTypeE1EhLi32ELi64ELi256ELb0ELi2EEvPKT_PKT0_S8_ifPKiSA_SA_iPKfiiiPfSD_PS3_PT2_iSC_SC_@rel32@hi+12
	s_delay_alu instid0(SALU_CYCLE_1) | instskip(SKIP_4) | instid1(SALU_CYCLE_1)
	v_dual_mov_b32 v0, s0 :: v_dual_mov_b32 v1, s1
	s_mov_b32 s32, 0
	s_getpc_b64 s[2:3]
	s_add_u32 s2, s2, __assert_fail@rel32@lo+4
	s_addc_u32 s3, s3, __assert_fail@rel32@hi+12
	s_swappc_b64 s[30:31], s[2:3]
	.section	.rodata,"a",@progbits
	.p2align	6, 0x0
	.amdhsa_kernel _Z38paged_attention_ll4mi_QKV_mfma4_kernelI14__hip_bfloat16hLN4vllm18Fp8KVCacheDataTypeE1EhLi32ELi64ELi256ELb0ELi2EEvPKT_PKT0_S8_ifPKiSA_SA_iPKfiiiPfSD_PS3_PT2_iSC_SC_
		.amdhsa_group_segment_fixed_size 0
		.amdhsa_private_segment_fixed_size 64
		.amdhsa_kernarg_size 400
		.amdhsa_user_sgpr_count 15
		.amdhsa_user_sgpr_dispatch_ptr 0
		.amdhsa_user_sgpr_queue_ptr 0
		.amdhsa_user_sgpr_kernarg_segment_ptr 1
		.amdhsa_user_sgpr_dispatch_id 0
		.amdhsa_user_sgpr_private_segment_size 0
		.amdhsa_wavefront_size32 1
		.amdhsa_uses_dynamic_stack 0
		.amdhsa_enable_private_segment 1
		.amdhsa_system_sgpr_workgroup_id_x 1
		.amdhsa_system_sgpr_workgroup_id_y 0
		.amdhsa_system_sgpr_workgroup_id_z 0
		.amdhsa_system_sgpr_workgroup_info 0
		.amdhsa_system_vgpr_workitem_id 0
		.amdhsa_next_free_vgpr 41
		.amdhsa_next_free_sgpr 34
		.amdhsa_reserve_vcc 1
		.amdhsa_float_round_mode_32 0
		.amdhsa_float_round_mode_16_64 0
		.amdhsa_float_denorm_mode_32 3
		.amdhsa_float_denorm_mode_16_64 3
		.amdhsa_dx10_clamp 1
		.amdhsa_ieee_mode 1
		.amdhsa_fp16_overflow 0
		.amdhsa_workgroup_processor_mode 1
		.amdhsa_memory_ordered 1
		.amdhsa_forward_progress 0
		.amdhsa_shared_vgpr_count 0
		.amdhsa_exception_fp_ieee_invalid_op 0
		.amdhsa_exception_fp_denorm_src 0
		.amdhsa_exception_fp_ieee_div_zero 0
		.amdhsa_exception_fp_ieee_overflow 0
		.amdhsa_exception_fp_ieee_underflow 0
		.amdhsa_exception_fp_ieee_inexact 0
		.amdhsa_exception_int_div_zero 0
	.end_amdhsa_kernel
	.section	.text._Z38paged_attention_ll4mi_QKV_mfma4_kernelI14__hip_bfloat16hLN4vllm18Fp8KVCacheDataTypeE1EhLi32ELi64ELi256ELb0ELi2EEvPKT_PKT0_S8_ifPKiSA_SA_iPKfiiiPfSD_PS3_PT2_iSC_SC_,"axG",@progbits,_Z38paged_attention_ll4mi_QKV_mfma4_kernelI14__hip_bfloat16hLN4vllm18Fp8KVCacheDataTypeE1EhLi32ELi64ELi256ELb0ELi2EEvPKT_PKT0_S8_ifPKiSA_SA_iPKfiiiPfSD_PS3_PT2_iSC_SC_,comdat
.Lfunc_end1447:
	.size	_Z38paged_attention_ll4mi_QKV_mfma4_kernelI14__hip_bfloat16hLN4vllm18Fp8KVCacheDataTypeE1EhLi32ELi64ELi256ELb0ELi2EEvPKT_PKT0_S8_ifPKiSA_SA_iPKfiiiPfSD_PS3_PT2_iSC_SC_, .Lfunc_end1447-_Z38paged_attention_ll4mi_QKV_mfma4_kernelI14__hip_bfloat16hLN4vllm18Fp8KVCacheDataTypeE1EhLi32ELi64ELi256ELb0ELi2EEvPKT_PKT0_S8_ifPKiSA_SA_iPKfiiiPfSD_PS3_PT2_iSC_SC_
                                        ; -- End function
	.section	.AMDGPU.csdata,"",@progbits
; Kernel info:
; codeLenInByte = 72
; NumSgprs: 36
; NumVgprs: 41
; ScratchSize: 64
; MemoryBound: 0
; FloatMode: 240
; IeeeMode: 1
; LDSByteSize: 0 bytes/workgroup (compile time only)
; SGPRBlocks: 4
; VGPRBlocks: 5
; NumSGPRsForWavesPerEU: 36
; NumVGPRsForWavesPerEU: 41
; Occupancy: 16
; WaveLimiterHint : 1
; COMPUTE_PGM_RSRC2:SCRATCH_EN: 1
; COMPUTE_PGM_RSRC2:USER_SGPR: 15
; COMPUTE_PGM_RSRC2:TRAP_HANDLER: 0
; COMPUTE_PGM_RSRC2:TGID_X_EN: 1
; COMPUTE_PGM_RSRC2:TGID_Y_EN: 0
; COMPUTE_PGM_RSRC2:TGID_Z_EN: 0
; COMPUTE_PGM_RSRC2:TIDIG_COMP_CNT: 0
	.section	.text._Z38paged_attention_ll4mi_QKV_mfma4_kernelI14__hip_bfloat16hLN4vllm18Fp8KVCacheDataTypeE1EhLi32ELi64ELi256ELb0ELi3EEvPKT_PKT0_S8_ifPKiSA_SA_iPKfiiiPfSD_PS3_PT2_iSC_SC_,"axG",@progbits,_Z38paged_attention_ll4mi_QKV_mfma4_kernelI14__hip_bfloat16hLN4vllm18Fp8KVCacheDataTypeE1EhLi32ELi64ELi256ELb0ELi3EEvPKT_PKT0_S8_ifPKiSA_SA_iPKfiiiPfSD_PS3_PT2_iSC_SC_,comdat
	.protected	_Z38paged_attention_ll4mi_QKV_mfma4_kernelI14__hip_bfloat16hLN4vllm18Fp8KVCacheDataTypeE1EhLi32ELi64ELi256ELb0ELi3EEvPKT_PKT0_S8_ifPKiSA_SA_iPKfiiiPfSD_PS3_PT2_iSC_SC_ ; -- Begin function _Z38paged_attention_ll4mi_QKV_mfma4_kernelI14__hip_bfloat16hLN4vllm18Fp8KVCacheDataTypeE1EhLi32ELi64ELi256ELb0ELi3EEvPKT_PKT0_S8_ifPKiSA_SA_iPKfiiiPfSD_PS3_PT2_iSC_SC_
	.globl	_Z38paged_attention_ll4mi_QKV_mfma4_kernelI14__hip_bfloat16hLN4vllm18Fp8KVCacheDataTypeE1EhLi32ELi64ELi256ELb0ELi3EEvPKT_PKT0_S8_ifPKiSA_SA_iPKfiiiPfSD_PS3_PT2_iSC_SC_
	.p2align	8
	.type	_Z38paged_attention_ll4mi_QKV_mfma4_kernelI14__hip_bfloat16hLN4vllm18Fp8KVCacheDataTypeE1EhLi32ELi64ELi256ELb0ELi3EEvPKT_PKT0_S8_ifPKiSA_SA_iPKfiiiPfSD_PS3_PT2_iSC_SC_,@function
_Z38paged_attention_ll4mi_QKV_mfma4_kernelI14__hip_bfloat16hLN4vllm18Fp8KVCacheDataTypeE1EhLi32ELi64ELi256ELb0ELi3EEvPKT_PKT0_S8_ifPKiSA_SA_iPKfiiiPfSD_PS3_PT2_iSC_SC_: ; @_Z38paged_attention_ll4mi_QKV_mfma4_kernelI14__hip_bfloat16hLN4vllm18Fp8KVCacheDataTypeE1EhLi32ELi64ELi256ELb0ELi3EEvPKT_PKT0_S8_ifPKiSA_SA_iPKfiiiPfSD_PS3_PT2_iSC_SC_
; %bb.0:
	s_add_u32 s8, s0, 0x90
	s_addc_u32 s9, s1, 0
	s_getpc_b64 s[0:1]
	s_add_u32 s0, s0, __PRETTY_FUNCTION__._Z38paged_attention_ll4mi_QKV_mfma4_kernelI14__hip_bfloat16hLN4vllm18Fp8KVCacheDataTypeE1EhLi32ELi64ELi256ELb0ELi3EEvPKT_PKT0_S8_ifPKiSA_SA_iPKfiiiPfSD_PS3_PT2_iSC_SC_@rel32@lo+4
	s_addc_u32 s1, s1, __PRETTY_FUNCTION__._Z38paged_attention_ll4mi_QKV_mfma4_kernelI14__hip_bfloat16hLN4vllm18Fp8KVCacheDataTypeE1EhLi32ELi64ELi256ELb0ELi3EEvPKT_PKT0_S8_ifPKiSA_SA_iPKfiiiPfSD_PS3_PT2_iSC_SC_@rel32@hi+12
	s_delay_alu instid0(SALU_CYCLE_1) | instskip(SKIP_4) | instid1(SALU_CYCLE_1)
	v_dual_mov_b32 v0, s0 :: v_dual_mov_b32 v1, s1
	s_mov_b32 s32, 0
	s_getpc_b64 s[2:3]
	s_add_u32 s2, s2, __assert_fail@rel32@lo+4
	s_addc_u32 s3, s3, __assert_fail@rel32@hi+12
	s_swappc_b64 s[30:31], s[2:3]
	.section	.rodata,"a",@progbits
	.p2align	6, 0x0
	.amdhsa_kernel _Z38paged_attention_ll4mi_QKV_mfma4_kernelI14__hip_bfloat16hLN4vllm18Fp8KVCacheDataTypeE1EhLi32ELi64ELi256ELb0ELi3EEvPKT_PKT0_S8_ifPKiSA_SA_iPKfiiiPfSD_PS3_PT2_iSC_SC_
		.amdhsa_group_segment_fixed_size 0
		.amdhsa_private_segment_fixed_size 64
		.amdhsa_kernarg_size 400
		.amdhsa_user_sgpr_count 15
		.amdhsa_user_sgpr_dispatch_ptr 0
		.amdhsa_user_sgpr_queue_ptr 0
		.amdhsa_user_sgpr_kernarg_segment_ptr 1
		.amdhsa_user_sgpr_dispatch_id 0
		.amdhsa_user_sgpr_private_segment_size 0
		.amdhsa_wavefront_size32 1
		.amdhsa_uses_dynamic_stack 0
		.amdhsa_enable_private_segment 1
		.amdhsa_system_sgpr_workgroup_id_x 1
		.amdhsa_system_sgpr_workgroup_id_y 0
		.amdhsa_system_sgpr_workgroup_id_z 0
		.amdhsa_system_sgpr_workgroup_info 0
		.amdhsa_system_vgpr_workitem_id 0
		.amdhsa_next_free_vgpr 41
		.amdhsa_next_free_sgpr 34
		.amdhsa_reserve_vcc 1
		.amdhsa_float_round_mode_32 0
		.amdhsa_float_round_mode_16_64 0
		.amdhsa_float_denorm_mode_32 3
		.amdhsa_float_denorm_mode_16_64 3
		.amdhsa_dx10_clamp 1
		.amdhsa_ieee_mode 1
		.amdhsa_fp16_overflow 0
		.amdhsa_workgroup_processor_mode 1
		.amdhsa_memory_ordered 1
		.amdhsa_forward_progress 0
		.amdhsa_shared_vgpr_count 0
		.amdhsa_exception_fp_ieee_invalid_op 0
		.amdhsa_exception_fp_denorm_src 0
		.amdhsa_exception_fp_ieee_div_zero 0
		.amdhsa_exception_fp_ieee_overflow 0
		.amdhsa_exception_fp_ieee_underflow 0
		.amdhsa_exception_fp_ieee_inexact 0
		.amdhsa_exception_int_div_zero 0
	.end_amdhsa_kernel
	.section	.text._Z38paged_attention_ll4mi_QKV_mfma4_kernelI14__hip_bfloat16hLN4vllm18Fp8KVCacheDataTypeE1EhLi32ELi64ELi256ELb0ELi3EEvPKT_PKT0_S8_ifPKiSA_SA_iPKfiiiPfSD_PS3_PT2_iSC_SC_,"axG",@progbits,_Z38paged_attention_ll4mi_QKV_mfma4_kernelI14__hip_bfloat16hLN4vllm18Fp8KVCacheDataTypeE1EhLi32ELi64ELi256ELb0ELi3EEvPKT_PKT0_S8_ifPKiSA_SA_iPKfiiiPfSD_PS3_PT2_iSC_SC_,comdat
.Lfunc_end1448:
	.size	_Z38paged_attention_ll4mi_QKV_mfma4_kernelI14__hip_bfloat16hLN4vllm18Fp8KVCacheDataTypeE1EhLi32ELi64ELi256ELb0ELi3EEvPKT_PKT0_S8_ifPKiSA_SA_iPKfiiiPfSD_PS3_PT2_iSC_SC_, .Lfunc_end1448-_Z38paged_attention_ll4mi_QKV_mfma4_kernelI14__hip_bfloat16hLN4vllm18Fp8KVCacheDataTypeE1EhLi32ELi64ELi256ELb0ELi3EEvPKT_PKT0_S8_ifPKiSA_SA_iPKfiiiPfSD_PS3_PT2_iSC_SC_
                                        ; -- End function
	.section	.AMDGPU.csdata,"",@progbits
; Kernel info:
; codeLenInByte = 72
; NumSgprs: 36
; NumVgprs: 41
; ScratchSize: 64
; MemoryBound: 0
; FloatMode: 240
; IeeeMode: 1
; LDSByteSize: 0 bytes/workgroup (compile time only)
; SGPRBlocks: 4
; VGPRBlocks: 5
; NumSGPRsForWavesPerEU: 36
; NumVGPRsForWavesPerEU: 41
; Occupancy: 16
; WaveLimiterHint : 1
; COMPUTE_PGM_RSRC2:SCRATCH_EN: 1
; COMPUTE_PGM_RSRC2:USER_SGPR: 15
; COMPUTE_PGM_RSRC2:TRAP_HANDLER: 0
; COMPUTE_PGM_RSRC2:TGID_X_EN: 1
; COMPUTE_PGM_RSRC2:TGID_Y_EN: 0
; COMPUTE_PGM_RSRC2:TGID_Z_EN: 0
; COMPUTE_PGM_RSRC2:TIDIG_COMP_CNT: 0
	.section	.text._Z38paged_attention_ll4mi_QKV_mfma4_kernelI14__hip_bfloat16hLN4vllm18Fp8KVCacheDataTypeE1EhLi32ELi64ELi256ELb0ELi4EEvPKT_PKT0_S8_ifPKiSA_SA_iPKfiiiPfSD_PS3_PT2_iSC_SC_,"axG",@progbits,_Z38paged_attention_ll4mi_QKV_mfma4_kernelI14__hip_bfloat16hLN4vllm18Fp8KVCacheDataTypeE1EhLi32ELi64ELi256ELb0ELi4EEvPKT_PKT0_S8_ifPKiSA_SA_iPKfiiiPfSD_PS3_PT2_iSC_SC_,comdat
	.protected	_Z38paged_attention_ll4mi_QKV_mfma4_kernelI14__hip_bfloat16hLN4vllm18Fp8KVCacheDataTypeE1EhLi32ELi64ELi256ELb0ELi4EEvPKT_PKT0_S8_ifPKiSA_SA_iPKfiiiPfSD_PS3_PT2_iSC_SC_ ; -- Begin function _Z38paged_attention_ll4mi_QKV_mfma4_kernelI14__hip_bfloat16hLN4vllm18Fp8KVCacheDataTypeE1EhLi32ELi64ELi256ELb0ELi4EEvPKT_PKT0_S8_ifPKiSA_SA_iPKfiiiPfSD_PS3_PT2_iSC_SC_
	.globl	_Z38paged_attention_ll4mi_QKV_mfma4_kernelI14__hip_bfloat16hLN4vllm18Fp8KVCacheDataTypeE1EhLi32ELi64ELi256ELb0ELi4EEvPKT_PKT0_S8_ifPKiSA_SA_iPKfiiiPfSD_PS3_PT2_iSC_SC_
	.p2align	8
	.type	_Z38paged_attention_ll4mi_QKV_mfma4_kernelI14__hip_bfloat16hLN4vllm18Fp8KVCacheDataTypeE1EhLi32ELi64ELi256ELb0ELi4EEvPKT_PKT0_S8_ifPKiSA_SA_iPKfiiiPfSD_PS3_PT2_iSC_SC_,@function
_Z38paged_attention_ll4mi_QKV_mfma4_kernelI14__hip_bfloat16hLN4vllm18Fp8KVCacheDataTypeE1EhLi32ELi64ELi256ELb0ELi4EEvPKT_PKT0_S8_ifPKiSA_SA_iPKfiiiPfSD_PS3_PT2_iSC_SC_: ; @_Z38paged_attention_ll4mi_QKV_mfma4_kernelI14__hip_bfloat16hLN4vllm18Fp8KVCacheDataTypeE1EhLi32ELi64ELi256ELb0ELi4EEvPKT_PKT0_S8_ifPKiSA_SA_iPKfiiiPfSD_PS3_PT2_iSC_SC_
; %bb.0:
	s_add_u32 s8, s0, 0x90
	s_addc_u32 s9, s1, 0
	s_getpc_b64 s[0:1]
	s_add_u32 s0, s0, __PRETTY_FUNCTION__._Z38paged_attention_ll4mi_QKV_mfma4_kernelI14__hip_bfloat16hLN4vllm18Fp8KVCacheDataTypeE1EhLi32ELi64ELi256ELb0ELi4EEvPKT_PKT0_S8_ifPKiSA_SA_iPKfiiiPfSD_PS3_PT2_iSC_SC_@rel32@lo+4
	s_addc_u32 s1, s1, __PRETTY_FUNCTION__._Z38paged_attention_ll4mi_QKV_mfma4_kernelI14__hip_bfloat16hLN4vllm18Fp8KVCacheDataTypeE1EhLi32ELi64ELi256ELb0ELi4EEvPKT_PKT0_S8_ifPKiSA_SA_iPKfiiiPfSD_PS3_PT2_iSC_SC_@rel32@hi+12
	s_delay_alu instid0(SALU_CYCLE_1) | instskip(SKIP_4) | instid1(SALU_CYCLE_1)
	v_dual_mov_b32 v0, s0 :: v_dual_mov_b32 v1, s1
	s_mov_b32 s32, 0
	s_getpc_b64 s[2:3]
	s_add_u32 s2, s2, __assert_fail@rel32@lo+4
	s_addc_u32 s3, s3, __assert_fail@rel32@hi+12
	s_swappc_b64 s[30:31], s[2:3]
	.section	.rodata,"a",@progbits
	.p2align	6, 0x0
	.amdhsa_kernel _Z38paged_attention_ll4mi_QKV_mfma4_kernelI14__hip_bfloat16hLN4vllm18Fp8KVCacheDataTypeE1EhLi32ELi64ELi256ELb0ELi4EEvPKT_PKT0_S8_ifPKiSA_SA_iPKfiiiPfSD_PS3_PT2_iSC_SC_
		.amdhsa_group_segment_fixed_size 0
		.amdhsa_private_segment_fixed_size 64
		.amdhsa_kernarg_size 400
		.amdhsa_user_sgpr_count 15
		.amdhsa_user_sgpr_dispatch_ptr 0
		.amdhsa_user_sgpr_queue_ptr 0
		.amdhsa_user_sgpr_kernarg_segment_ptr 1
		.amdhsa_user_sgpr_dispatch_id 0
		.amdhsa_user_sgpr_private_segment_size 0
		.amdhsa_wavefront_size32 1
		.amdhsa_uses_dynamic_stack 0
		.amdhsa_enable_private_segment 1
		.amdhsa_system_sgpr_workgroup_id_x 1
		.amdhsa_system_sgpr_workgroup_id_y 0
		.amdhsa_system_sgpr_workgroup_id_z 0
		.amdhsa_system_sgpr_workgroup_info 0
		.amdhsa_system_vgpr_workitem_id 0
		.amdhsa_next_free_vgpr 41
		.amdhsa_next_free_sgpr 34
		.amdhsa_reserve_vcc 1
		.amdhsa_float_round_mode_32 0
		.amdhsa_float_round_mode_16_64 0
		.amdhsa_float_denorm_mode_32 3
		.amdhsa_float_denorm_mode_16_64 3
		.amdhsa_dx10_clamp 1
		.amdhsa_ieee_mode 1
		.amdhsa_fp16_overflow 0
		.amdhsa_workgroup_processor_mode 1
		.amdhsa_memory_ordered 1
		.amdhsa_forward_progress 0
		.amdhsa_shared_vgpr_count 0
		.amdhsa_exception_fp_ieee_invalid_op 0
		.amdhsa_exception_fp_denorm_src 0
		.amdhsa_exception_fp_ieee_div_zero 0
		.amdhsa_exception_fp_ieee_overflow 0
		.amdhsa_exception_fp_ieee_underflow 0
		.amdhsa_exception_fp_ieee_inexact 0
		.amdhsa_exception_int_div_zero 0
	.end_amdhsa_kernel
	.section	.text._Z38paged_attention_ll4mi_QKV_mfma4_kernelI14__hip_bfloat16hLN4vllm18Fp8KVCacheDataTypeE1EhLi32ELi64ELi256ELb0ELi4EEvPKT_PKT0_S8_ifPKiSA_SA_iPKfiiiPfSD_PS3_PT2_iSC_SC_,"axG",@progbits,_Z38paged_attention_ll4mi_QKV_mfma4_kernelI14__hip_bfloat16hLN4vllm18Fp8KVCacheDataTypeE1EhLi32ELi64ELi256ELb0ELi4EEvPKT_PKT0_S8_ifPKiSA_SA_iPKfiiiPfSD_PS3_PT2_iSC_SC_,comdat
.Lfunc_end1449:
	.size	_Z38paged_attention_ll4mi_QKV_mfma4_kernelI14__hip_bfloat16hLN4vllm18Fp8KVCacheDataTypeE1EhLi32ELi64ELi256ELb0ELi4EEvPKT_PKT0_S8_ifPKiSA_SA_iPKfiiiPfSD_PS3_PT2_iSC_SC_, .Lfunc_end1449-_Z38paged_attention_ll4mi_QKV_mfma4_kernelI14__hip_bfloat16hLN4vllm18Fp8KVCacheDataTypeE1EhLi32ELi64ELi256ELb0ELi4EEvPKT_PKT0_S8_ifPKiSA_SA_iPKfiiiPfSD_PS3_PT2_iSC_SC_
                                        ; -- End function
	.section	.AMDGPU.csdata,"",@progbits
; Kernel info:
; codeLenInByte = 72
; NumSgprs: 36
; NumVgprs: 41
; ScratchSize: 64
; MemoryBound: 0
; FloatMode: 240
; IeeeMode: 1
; LDSByteSize: 0 bytes/workgroup (compile time only)
; SGPRBlocks: 4
; VGPRBlocks: 5
; NumSGPRsForWavesPerEU: 36
; NumVGPRsForWavesPerEU: 41
; Occupancy: 16
; WaveLimiterHint : 1
; COMPUTE_PGM_RSRC2:SCRATCH_EN: 1
; COMPUTE_PGM_RSRC2:USER_SGPR: 15
; COMPUTE_PGM_RSRC2:TRAP_HANDLER: 0
; COMPUTE_PGM_RSRC2:TGID_X_EN: 1
; COMPUTE_PGM_RSRC2:TGID_Y_EN: 0
; COMPUTE_PGM_RSRC2:TGID_Z_EN: 0
; COMPUTE_PGM_RSRC2:TIDIG_COMP_CNT: 0
	.section	.text._Z39paged_attention_ll4mi_QKV_mfma16_kernelI14__hip_bfloat16hLN4vllm18Fp8KVCacheDataTypeE1EhLi32ELi64ELi256ELb0ELi5EL8MFMAType1EEvPKT_PKT0_S9_ifPKiSB_SB_iPKfiiiPfSE_PS4_PT2_iSD_SD_,"axG",@progbits,_Z39paged_attention_ll4mi_QKV_mfma16_kernelI14__hip_bfloat16hLN4vllm18Fp8KVCacheDataTypeE1EhLi32ELi64ELi256ELb0ELi5EL8MFMAType1EEvPKT_PKT0_S9_ifPKiSB_SB_iPKfiiiPfSE_PS4_PT2_iSD_SD_,comdat
	.protected	_Z39paged_attention_ll4mi_QKV_mfma16_kernelI14__hip_bfloat16hLN4vllm18Fp8KVCacheDataTypeE1EhLi32ELi64ELi256ELb0ELi5EL8MFMAType1EEvPKT_PKT0_S9_ifPKiSB_SB_iPKfiiiPfSE_PS4_PT2_iSD_SD_ ; -- Begin function _Z39paged_attention_ll4mi_QKV_mfma16_kernelI14__hip_bfloat16hLN4vllm18Fp8KVCacheDataTypeE1EhLi32ELi64ELi256ELb0ELi5EL8MFMAType1EEvPKT_PKT0_S9_ifPKiSB_SB_iPKfiiiPfSE_PS4_PT2_iSD_SD_
	.globl	_Z39paged_attention_ll4mi_QKV_mfma16_kernelI14__hip_bfloat16hLN4vllm18Fp8KVCacheDataTypeE1EhLi32ELi64ELi256ELb0ELi5EL8MFMAType1EEvPKT_PKT0_S9_ifPKiSB_SB_iPKfiiiPfSE_PS4_PT2_iSD_SD_
	.p2align	8
	.type	_Z39paged_attention_ll4mi_QKV_mfma16_kernelI14__hip_bfloat16hLN4vllm18Fp8KVCacheDataTypeE1EhLi32ELi64ELi256ELb0ELi5EL8MFMAType1EEvPKT_PKT0_S9_ifPKiSB_SB_iPKfiiiPfSE_PS4_PT2_iSD_SD_,@function
_Z39paged_attention_ll4mi_QKV_mfma16_kernelI14__hip_bfloat16hLN4vllm18Fp8KVCacheDataTypeE1EhLi32ELi64ELi256ELb0ELi5EL8MFMAType1EEvPKT_PKT0_S9_ifPKiSB_SB_iPKfiiiPfSE_PS4_PT2_iSD_SD_: ; @_Z39paged_attention_ll4mi_QKV_mfma16_kernelI14__hip_bfloat16hLN4vllm18Fp8KVCacheDataTypeE1EhLi32ELi64ELi256ELb0ELi5EL8MFMAType1EEvPKT_PKT0_S9_ifPKiSB_SB_iPKfiiiPfSE_PS4_PT2_iSD_SD_
; %bb.0:
	s_load_b64 s[2:3], s[0:1], 0x30
	s_mov_b32 s34, s13
	s_waitcnt lgkmcnt(0)
	s_cmp_lg_u64 s[2:3], 0
	s_cselect_b32 s8, -1, 0
	s_ashr_i32 s35, s13, 31
	s_cmp_eq_u64 s[2:3], 0
	s_cbranch_scc1 .LBB1450_3
; %bb.1:
	s_lshl_b64 s[4:5], s[34:35], 2
	s_delay_alu instid0(SALU_CYCLE_1) | instskip(SKIP_4) | instid1(SALU_CYCLE_1)
	s_add_u32 s4, s2, s4
	s_addc_u32 s5, s3, s5
	s_load_b64 s[4:5], s[4:5], 0x0
	s_waitcnt lgkmcnt(0)
	s_sub_i32 s4, s5, s4
	s_cmp_eq_u32 s4, 1
	s_cselect_b32 s4, -1, 0
	s_delay_alu instid0(SALU_CYCLE_1)
	s_and_not1_b32 vcc_lo, exec_lo, s4
	s_cbranch_vccz .LBB1450_4
.LBB1450_2:
	s_nop 0
	s_sendmsg sendmsg(MSG_DEALLOC_VGPRS)
	s_endpgm
.LBB1450_3:
.LBB1450_4:
	s_load_b64 s[4:5], s[0:1], 0x28
	s_lshl_b64 s[6:7], s[34:35], 2
	s_waitcnt lgkmcnt(0)
	s_add_u32 s4, s4, s6
	s_addc_u32 s5, s5, s7
	s_lshl_b32 s12, s14, 8
	s_load_b32 s24, s[4:5], 0x0
	s_waitcnt lgkmcnt(0)
	s_cmp_ge_i32 s12, s24
	s_cbranch_scc1 .LBB1450_2
; %bb.5:
	s_clause 0x1
	s_load_b128 s[20:23], s[0:1], 0x8
	s_load_b64 s[4:5], s[0:1], 0x20
	s_and_not1_b32 vcc_lo, exec_lo, s8
	s_cbranch_vccnz .LBB1450_7
; %bb.6:
	s_add_u32 s2, s2, s6
	s_addc_u32 s3, s3, s7
	s_load_b32 s3, s[2:3], 0x0
	s_branch .LBB1450_8
.LBB1450_7:
	s_mov_b32 s3, s34
.LBB1450_8:
	s_load_b128 s[16:19], s[0:1], 0x48
	v_lshrrev_b32_e32 v66, 5, v0
	v_bfe_u32 v74, v0, 4, 1
	v_and_b32_e32 v65, 15, v0
	v_and_b32_e32 v67, 31, v0
	;; [unrolled: 1-line block ×3, first 2 shown]
	s_mul_i32 s31, s15, 5
	v_lshl_or_b32 v1, v66, 1, v74
	v_lshlrev_b32_e32 v2, 3, v65
	v_cmp_gt_u32_e64 s2, 8, v65
	s_delay_alu instid0(VALU_DEP_3) | instskip(NEXT) | instid1(VALU_DEP_3)
	v_cmp_gt_u32_e32 vcc_lo, 5, v1
	v_lshlrev_b32_e32 v73, 1, v2
	s_delay_alu instid0(VALU_DEP_3) | instskip(NEXT) | instid1(SALU_CYCLE_1)
	s_and_b32 s7, s2, vcc_lo
	s_and_saveexec_b32 s6, s7
	s_cbranch_execz .LBB1450_10
; %bb.9:
	s_load_b64 s[8:9], s[0:1], 0x0
	v_add_lshl_u32 v2, v1, s31, 6
	s_waitcnt lgkmcnt(0)
	s_mul_hi_i32 s11, s3, s16
	s_mul_i32 s10, s3, s16
	v_lshlrev_b32_e32 v6, 10, v65
	s_lshl_b64 s[10:11], s[10:11], 1
	v_ashrrev_i32_e32 v3, 31, v2
	v_lshlrev_b32_e32 v1, 6, v1
	v_lshlrev_b32_e32 v7, 10, v75
	v_and_b32_e32 v6, 0x3800, v6
	s_delay_alu instid0(VALU_DEP_4) | instskip(NEXT) | instid1(VALU_DEP_2)
	v_lshlrev_b64 v[2:3], 1, v[2:3]
	v_or3_b32 v1, v6, v7, v1
	s_add_u32 s3, s8, s10
	s_addc_u32 s7, s9, s11
	s_delay_alu instid0(VALU_DEP_2) | instskip(NEXT) | instid1(VALU_DEP_3)
	v_add_co_u32 v2, vcc_lo, s3, v2
	v_add_co_ci_u32_e32 v3, vcc_lo, s7, v3, vcc_lo
	s_delay_alu instid0(VALU_DEP_2) | instskip(NEXT) | instid1(VALU_DEP_2)
	v_add_co_u32 v2, vcc_lo, v2, v73
	v_add_co_ci_u32_e32 v3, vcc_lo, 0, v3, vcc_lo
	global_load_b128 v[2:5], v[2:3], off
	s_waitcnt vmcnt(0)
	ds_store_b128 v1, v[2:5]
.LBB1450_10:
	s_or_b32 exec_lo, exec_lo, s6
	v_and_b32_e32 v1, 0xef, v0
	s_waitcnt lgkmcnt(0)
	s_add_i32 s3, s24, 31
	s_clause 0x1
	s_load_b32 s6, s[0:1], 0x38
	s_load_b32 s19, s[0:1], 0x1c
	s_ashr_i32 s7, s3, 31
	v_add_nc_u32_e32 v1, s12, v1
	s_lshr_b32 s7, s7, 27
	s_waitcnt lgkmcnt(0)
	s_add_i32 s3, s3, s7
	s_barrier
	v_ashrrev_i32_e32 v2, 31, v1
	v_or_b32_e32 v3, 16, v1
	s_ashr_i32 s3, s3, 5
	v_cmp_gt_i32_e32 vcc_lo, s24, v1
	s_add_i32 s3, s3, -1
	v_lshrrev_b32_e32 v2, 27, v2
	buffer_gl0_inv
	s_mul_i32 s27, s15, s18
	v_add_nc_u32_e32 v4, v1, v2
	s_mul_i32 s6, s34, s6
	s_delay_alu instid0(SALU_CYCLE_1) | instskip(NEXT) | instid1(VALU_DEP_1)
	s_ashr_i32 s7, s6, 31
	v_ashrrev_i32_e32 v4, 5, v4
	v_add_nc_u32_e32 v2, v3, v2
	s_lshl_b64 s[6:7], s[6:7], 2
	s_delay_alu instid0(SALU_CYCLE_1) | instskip(NEXT) | instid1(VALU_DEP_2)
	s_add_u32 s26, s4, s6
	v_cndmask_b32_e32 v1, s3, v4, vcc_lo
	s_delay_alu instid0(VALU_DEP_2)
	v_ashrrev_i32_e32 v2, 5, v2
	v_cmp_gt_i32_e32 vcc_lo, s24, v3
	s_addc_u32 s25, s5, s7
	s_ashr_i32 s28, s27, 31
	s_add_u32 s4, s20, s27
	s_addc_u32 s5, s21, s28
	v_cndmask_b32_e32 v3, s3, v2, vcc_lo
	v_ashrrev_i32_e32 v2, 31, v1
	s_lshl_b32 s6, s14, 3
	s_delay_alu instid0(SALU_CYCLE_1) | instskip(NEXT) | instid1(VALU_DEP_2)
	s_ashr_i32 s7, s6, 31
	v_ashrrev_i32_e32 v4, 31, v3
	s_delay_alu instid0(VALU_DEP_2) | instskip(SKIP_1) | instid1(SALU_CYCLE_1)
	v_lshlrev_b64 v[1:2], 2, v[1:2]
	s_lshl_b64 s[6:7], s[6:7], 2
	s_add_u32 s6, s26, s6
	s_delay_alu instid0(VALU_DEP_2) | instskip(SKIP_1) | instid1(VALU_DEP_2)
	v_lshlrev_b64 v[3:4], 2, v[3:4]
	s_addc_u32 s7, s25, s7
	v_add_co_u32 v1, vcc_lo, s26, v1
	v_add_co_ci_u32_e32 v2, vcc_lo, s25, v2, vcc_lo
	s_delay_alu instid0(VALU_DEP_3) | instskip(NEXT) | instid1(VALU_DEP_4)
	v_add_co_u32 v3, vcc_lo, s26, v3
	v_add_co_ci_u32_e32 v4, vcc_lo, s25, v4, vcc_lo
	s_clause 0x1
	global_load_b32 v5, v[1:2], off
	global_load_b32 v6, v[3:4], off
	s_or_b32 s8, s12, 32
	s_delay_alu instid0(SALU_CYCLE_1) | instskip(SKIP_2) | instid1(SALU_CYCLE_1)
	s_ashr_i32 s9, s8, 5
	s_cmp_lt_i32 s8, s24
	s_cselect_b32 s8, s9, s3
	s_ashr_i32 s9, s8, 31
	s_delay_alu instid0(SALU_CYCLE_1) | instskip(NEXT) | instid1(SALU_CYCLE_1)
	s_lshl_b64 s[8:9], s[8:9], 2
	s_add_u32 s8, s26, s8
	s_addc_u32 s9, s25, s9
	s_or_b32 s10, s12, 64
	s_delay_alu instid0(SALU_CYCLE_1) | instskip(SKIP_2) | instid1(SALU_CYCLE_1)
	s_ashr_i32 s11, s10, 5
	s_cmp_lt_i32 s10, s24
	s_cselect_b32 s10, s11, s3
	s_ashr_i32 s11, s10, 31
	s_delay_alu instid0(SALU_CYCLE_1) | instskip(NEXT) | instid1(SALU_CYCLE_1)
	s_lshl_b64 s[10:11], s[10:11], 2
	s_add_u32 s10, s26, s10
	s_addc_u32 s11, s25, s11
	;; [unrolled: 10-line block ×5, first 2 shown]
	s_clause 0x5
	s_load_b32 s21, s[6:7], 0x0
	s_load_b32 s13, s[8:9], 0x0
	;; [unrolled: 1-line block ×6, first 2 shown]
	s_or_b32 s9, s12, 0xc0
	s_delay_alu instid0(SALU_CYCLE_1) | instskip(SKIP_2) | instid1(SALU_CYCLE_1)
	s_ashr_i32 s10, s9, 5
	s_cmp_lt_i32 s9, s24
	s_cselect_b32 s36, s10, s3
	s_ashr_i32 s37, s36, 31
	s_delay_alu instid0(SALU_CYCLE_1) | instskip(NEXT) | instid1(SALU_CYCLE_1)
	s_lshl_b64 s[36:37], s[36:37], 2
	s_add_u32 s36, s26, s36
	s_addc_u32 s37, s25, s37
	s_or_b32 s29, s12, 0xe0
	s_delay_alu instid0(SALU_CYCLE_1)
	s_ashr_i32 s30, s29, 5
	s_cmp_lt_i32 s29, s24
	s_waitcnt vmcnt(1)
	v_mad_i64_i32 v[1:2], null, v5, s17, s[4:5]
	s_waitcnt vmcnt(0)
	v_mad_i64_i32 v[3:4], null, v6, s17, s[4:5]
	s_mov_b32 s4, 0
	s_delay_alu instid0(SALU_CYCLE_1)
	s_mov_b32 s5, s4
	s_mov_b32 s6, s4
	;; [unrolled: 1-line block ×7, first 2 shown]
	v_lshlrev_b32_e32 v5, 4, v65
	v_dual_mov_b32 v107, s11 :: v_dual_mov_b32 v102, s6
	v_mov_b32_e32 v106, s10
	v_mov_b32_e32 v104, s8
	s_delay_alu instid0(VALU_DEP_4)
	v_add_co_u32 v1, vcc_lo, v1, v5
	v_add_co_ci_u32_e32 v2, vcc_lo, 0, v2, vcc_lo
	v_add_co_u32 v3, vcc_lo, v3, v5
	v_add_co_ci_u32_e32 v4, vcc_lo, 0, v4, vcc_lo
	s_clause 0x7
	global_load_b128 v[49:52], v[1:2], off
	global_load_b128 v[53:56], v[1:2], off offset:512
	global_load_b128 v[76:79], v[3:4], off offset:256
	;; [unrolled: 1-line block ×7, first 2 shown]
	v_mul_lo_u16 v1, v65, 52
	v_mov_b32_e32 v103, s7
	v_dual_mov_b32 v101, s5 :: v_dual_lshlrev_b32 v2, 5, v65
	v_mov_b32_e32 v100, s4
	s_delay_alu instid0(VALU_DEP_4) | instskip(NEXT) | instid1(VALU_DEP_3)
	v_lshrrev_b16 v1, 8, v1
	v_lshl_or_b32 v2, v66, 9, v2
	s_delay_alu instid0(VALU_DEP_2) | instskip(NEXT) | instid1(VALU_DEP_1)
	v_mul_lo_u16 v1, v1, 5
	v_sub_nc_u16 v1, v65, v1
	s_delay_alu instid0(VALU_DEP_1)
	v_and_b32_e32 v1, 0xff, v1
	v_mov_b32_e32 v105, s9
	s_cselect_b32 s4, s30, s3
	s_load_b32 s3, s[36:37], 0x0
	s_ashr_i32 s5, s4, 31
	v_lshlrev_b32_e32 v70, 6, v1
	s_lshl_b64 s[4:5], s[4:5], 2
	ds_load_b128 v[108:111], v70
	ds_load_b128 v[112:115], v70 offset:1024
	s_add_u32 s4, s26, s4
	s_addc_u32 s5, s25, s5
	s_add_u32 s6, s22, s27
	s_load_b32 s4, s[4:5], 0x0
	s_addc_u32 s7, s23, s28
	v_add_co_u32 v9, s6, s6, v2
	s_delay_alu instid0(VALU_DEP_1) | instskip(SKIP_1) | instid1(VALU_DEP_1)
	v_add_co_ci_u32_e64 v10, null, s7, 0, s6
	s_waitcnt lgkmcnt(0)
	v_mad_i64_i32 v[1:2], null, s21, s17, v[9:10]
	v_mad_i64_i32 v[3:4], null, s13, s17, v[9:10]
	;; [unrolled: 1-line block ×7, first 2 shown]
	s_clause 0x9
	global_load_b128 v[57:60], v[1:2], off
	global_load_b128 v[61:64], v[1:2], off offset:16
	global_load_b128 v[41:44], v[3:4], off
	global_load_b128 v[45:48], v[3:4], off offset:16
	global_load_b128 v[33:36], v[5:6], off
	global_load_b128 v[37:40], v[5:6], off offset:16
	global_load_b128 v[25:28], v[7:8], off
	global_load_b128 v[29:32], v[7:8], off offset:16
	global_load_b128 v[1:4], v[11:12], off
	global_load_b128 v[5:8], v[11:12], off offset:16
	v_mad_i64_i32 v[68:69], null, s4, s17, v[9:10]
	s_clause 0x3
	global_load_b128 v[9:12], v[13:14], off
	global_load_b128 v[13:16], v[13:14], off offset:16
	global_load_b128 v[17:20], v[21:22], off
	global_load_b128 v[21:24], v[21:22], off offset:16
	s_waitcnt vmcnt(20)
	v_wmma_f32_16x16x16_bf16 v[116:123], v[49:56], v[108:115], v[100:107]
	s_clause 0x1
	global_load_b128 v[49:52], v[68:69], off
	global_load_b128 v[53:56], v[68:69], off offset:16
	v_and_b32_e32 v68, 0xe0, v0
	v_mbcnt_lo_u32_b32 v69, -1, 0
	s_delay_alu instid0(VALU_DEP_2)
	v_add_nc_u32_e32 v68, s12, v68
	s_waitcnt vmcnt(20)
	v_wmma_f32_16x16x16_bf16 v[100:107], v[76:83], v[108:115], v[100:107]
	ds_load_b128 v[76:79], v70 offset:2048
	ds_load_b128 v[80:83], v70 offset:3072
	v_xor_b32_e32 v70, 16, v69
	s_waitcnt vmcnt(0) lgkmcnt(0)
	v_or_b32_e32 v68, v68, v74
	s_barrier
	buffer_gl0_inv
	v_cmp_gt_i32_e32 vcc_lo, 32, v70
	v_or_b32_e32 v71, 4, v68
	v_or_b32_e32 v72, 6, v68
	v_cmp_gt_i32_e64 s3, s24, v68
	v_or_b32_e32 v108, 8, v68
	v_or_b32_e32 v109, 10, v68
	v_cmp_gt_i32_e64 s4, s24, v71
	v_cmp_gt_i32_e64 s5, s24, v72
	s_delay_alu instid0(VALU_DEP_4) | instskip(NEXT) | instid1(VALU_DEP_4)
	v_cmp_gt_i32_e64 s6, s24, v108
	v_cmp_gt_i32_e64 s7, s24, v109
	v_wmma_f32_16x16x16_bf16 v[116:123], v[84:91], v[76:83], v[116:123]
	v_cndmask_b32_e32 v69, v69, v70, vcc_lo
	v_or_b32_e32 v70, 2, v68
	v_wmma_f32_16x16x16_bf16 v[100:107], v[92:99], v[76:83], v[100:107]
	v_or_b32_e32 v84, 12, v68
	v_dual_mul_f32 v78, s19, v123 :: v_dual_mul_f32 v83, s19, v118
	v_dual_mul_f32 v92, s19, v117 :: v_dual_mul_f32 v93, s19, v116
	s_delay_alu instid0(VALU_DEP_4) | instskip(SKIP_2) | instid1(VALU_DEP_4)
	v_mul_f32_e32 v94, s19, v107
	v_cmp_gt_i32_e32 vcc_lo, s24, v70
	v_dual_mul_f32 v81, s19, v120 :: v_dual_mul_f32 v82, s19, v119
	v_cndmask_b32_e64 v93, 0xff7fffff, v93, s3
	v_or_b32_e32 v85, 14, v68
	v_cndmask_b32_e32 v92, 0xff7fffff, v92, vcc_lo
	v_dual_mul_f32 v79, s19, v122 :: v_dual_mul_f32 v80, s19, v121
	v_cndmask_b32_e64 v71, 0xff7fffff, v83, s4
	v_cndmask_b32_e64 v72, 0xff7fffff, v82, s5
	s_delay_alu instid0(VALU_DEP_4)
	v_max3_f32 v82, v93, 0xff7fffff, v92
	v_or_b32_e32 v86, 16, v68
	v_or_b32_e32 v87, 18, v68
	v_cndmask_b32_e64 v81, 0xff7fffff, v81, s6
	v_cndmask_b32_e64 v80, 0xff7fffff, v80, s7
	v_max3_f32 v71, v82, v71, v72
	v_cmp_gt_i32_e64 s8, s24, v84
	v_cmp_gt_i32_e64 s9, s24, v85
	v_or_b32_e32 v88, 20, v68
	v_or_b32_e32 v89, 22, v68
	;; [unrolled: 1-line block ×6, first 2 shown]
	v_dual_mul_f32 v99, s19, v102 :: v_dual_mul_f32 v70, s19, v101
	v_mul_f32_e32 v68, s19, v100
	v_cndmask_b32_e64 v72, 0xff7fffff, v79, s8
	v_cndmask_b32_e64 v78, 0xff7fffff, v78, s9
	v_max3_f32 v71, v71, v81, v80
	v_cmp_gt_i32_e64 s10, s24, v86
	v_cmp_gt_i32_e64 s11, s24, v87
	v_dual_mul_f32 v97, s19, v104 :: v_dual_mul_f32 v98, s19, v103
	s_delay_alu instid0(VALU_DEP_4) | instskip(SKIP_1) | instid1(VALU_DEP_4)
	v_max3_f32 v71, v71, v72, v78
	v_cmp_gt_i32_e64 s12, s24, v88
	v_cndmask_b32_e64 v70, 0xff7fffff, v70, s11
	v_cmp_gt_i32_e64 s13, s24, v89
	v_lshlrev_b32_e32 v89, 2, v69
	v_cndmask_b32_e64 v68, 0xff7fffff, v68, s10
	v_dual_mul_f32 v95, s19, v106 :: v_dual_mul_f32 v96, s19, v105
	v_cndmask_b32_e64 v72, 0xff7fffff, v99, s12
	v_cndmask_b32_e64 v78, 0xff7fffff, v98, s13
	s_delay_alu instid0(VALU_DEP_4)
	v_max3_f32 v68, v71, v68, v70
	v_cmp_gt_i32_e64 s15, s24, v90
	v_cmp_gt_i32_e64 s16, s24, v91
	;; [unrolled: 1-line block ×4, first 2 shown]
	v_max3_f32 v68, v68, v72, v78
	v_cndmask_b32_e64 v70, 0xff7fffff, v97, s15
	v_cndmask_b32_e64 v71, 0xff7fffff, v96, s16
	;; [unrolled: 1-line block ×4, first 2 shown]
	s_delay_alu instid0(VALU_DEP_3) | instskip(NEXT) | instid1(VALU_DEP_1)
	v_max3_f32 v68, v68, v70, v71
	v_max3_f32 v68, v68, v72, v76
	ds_bpermute_b32 v69, v89, v68
	s_waitcnt lgkmcnt(0)
	v_max_f32_e32 v69, v69, v69
	s_delay_alu instid0(VALU_DEP_1) | instskip(NEXT) | instid1(VALU_DEP_1)
	v_max_f32_e32 v68, v68, v69
	v_fma_f32 v71, s19, v118, -v68
	s_delay_alu instid0(VALU_DEP_1)
	v_mul_f32_e32 v71, 0x3fb8aa3b, v71
	v_fma_f32 v69, s19, v116, -v68
	v_fma_f32 v70, s19, v117, -v68
	;; [unrolled: 1-line block ×4, first 2 shown]
	v_exp_f32_e32 v71, v71
	s_delay_alu instid0(VALU_DEP_3) | instskip(SKIP_2) | instid1(VALU_DEP_3)
	v_dual_mul_f32 v69, 0x3fb8aa3b, v69 :: v_dual_mul_f32 v70, 0x3fb8aa3b, v70
	v_fma_f32 v78, s19, v122, -v68
	v_fma_f32 v81, s19, v105, -v68
	v_exp_f32_e32 v69, v69
	s_delay_alu instid0(VALU_DEP_3) | instskip(SKIP_1) | instid1(VALU_DEP_2)
	v_exp_f32_e32 v70, v70
	v_mul_f32_e32 v77, 0x3fb8aa3b, v76
	v_mul_f32_e32 v81, 0x3fb8aa3b, v81
	s_delay_alu instid0(TRANS32_DEP_3) | instskip(SKIP_1) | instid1(VALU_DEP_3)
	v_cndmask_b32_e64 v83, 0, v71, s4
	v_fma_f32 v71, s19, v123, -v68
	v_exp_f32_e32 v81, v81
	s_delay_alu instid0(TRANS32_DEP_3) | instskip(NEXT) | instid1(TRANS32_DEP_2)
	v_cndmask_b32_e64 v80, 0, v69, s3
	v_cndmask_b32_e32 v76, 0, v70, vcc_lo
	v_fma_f32 v69, s19, v121, -v68
	v_mul_f32_e32 v72, 0x3fb8aa3b, v72
	v_exp_f32_e32 v77, v77
	v_dual_add_f32 v70, 0, v80 :: v_dual_mul_f32 v71, 0x3fb8aa3b, v71
	s_delay_alu instid0(VALU_DEP_3) | instskip(NEXT) | instid1(VALU_DEP_3)
	v_mul_f32_e32 v69, 0x3fb8aa3b, v69
	v_exp_f32_e32 v72, v72
	v_cmp_gt_u32_e64 s3, 16, v67
	s_delay_alu instid0(VALU_DEP_3) | instskip(NEXT) | instid1(VALU_DEP_2)
	v_exp_f32_e32 v71, v71
	v_exp_f32_e32 v69, v69
	v_cndmask_b32_e64 v86, 0, v77, s6
	v_fma_f32 v77, s19, v101, -v68
	v_add_f32_e32 v70, v70, v76
	s_delay_alu instid0(TRANS32_DEP_3) | instskip(SKIP_1) | instid1(VALU_DEP_3)
	v_cndmask_b32_e64 v85, 0, v72, s5
	v_fma_f32 v72, s19, v100, -v68
	v_dual_mul_f32 v77, 0x3fb8aa3b, v77 :: v_dual_add_f32 v70, v70, v83
	s_delay_alu instid0(TRANS32_DEP_2) | instskip(SKIP_1) | instid1(TRANS32_DEP_1)
	v_cndmask_b32_e64 v88, 0, v71, s9
	v_fma_f32 v71, s19, v104, -v68
	v_cndmask_b32_e64 v87, 0, v69, s7
	s_delay_alu instid0(VALU_DEP_4) | instskip(NEXT) | instid1(VALU_DEP_2)
	v_exp_f32_e32 v77, v77
	v_dual_add_f32 v70, v70, v85 :: v_dual_mul_f32 v71, 0x3fb8aa3b, v71
	s_delay_alu instid0(VALU_DEP_1) | instskip(SKIP_2) | instid1(VALU_DEP_3)
	v_dual_mul_f32 v72, 0x3fb8aa3b, v72 :: v_dual_add_f32 v69, v70, v86
	v_mul_f32_e32 v78, 0x3fb8aa3b, v78
	v_fma_f32 v70, s19, v102, -v68
	v_exp_f32_e32 v72, v72
	v_exp_f32_e32 v82, v71
	v_add_f32_e32 v69, v69, v87
	v_exp_f32_e32 v78, v78
	v_mul_f32_e32 v70, 0x3fb8aa3b, v70
	s_delay_alu instid0(VALU_DEP_1) | instskip(SKIP_4) | instid1(VALU_DEP_2)
	v_exp_f32_e32 v79, v70
	v_cndmask_b32_e64 v70, 0, v72, s10
	s_waitcnt_depctr 0xfff
	v_cndmask_b32_e64 v84, 0, v78, s8
	v_fma_f32 v78, s19, v103, -v68
	v_add_f32_e32 v69, v69, v84
	v_cndmask_b32_e64 v71, 0, v79, s12
	s_delay_alu instid0(VALU_DEP_2) | instskip(SKIP_2) | instid1(VALU_DEP_1)
	v_add_f32_e32 v72, v69, v88
	v_cndmask_b32_e64 v69, 0, v77, s11
	v_fma_f32 v77, s19, v106, -v68
	v_dual_mul_f32 v77, 0x3fb8aa3b, v77 :: v_dual_add_f32 v72, v72, v70
	v_mul_f32_e32 v78, 0x3fb8aa3b, v78
	s_delay_alu instid0(VALU_DEP_2) | instskip(NEXT) | instid1(VALU_DEP_2)
	v_exp_f32_e32 v90, v77
	v_add_f32_e32 v79, v72, v69
	s_delay_alu instid0(VALU_DEP_2)
	v_exp_f32_e32 v78, v78
	v_cndmask_b32_e64 v77, 0, v82, s15
	s_waitcnt_depctr 0xfff
	v_cndmask_b32_e64 v72, 0, v78, s13
	v_add_f32_e32 v78, v79, v71
	v_fma_f32 v79, s19, v107, -v68
	s_delay_alu instid0(VALU_DEP_1) | instskip(SKIP_1) | instid1(VALU_DEP_2)
	v_dual_add_f32 v82, v78, v72 :: v_dual_mul_f32 v79, 0x3fb8aa3b, v79
	v_cndmask_b32_e64 v78, 0, v81, s16
	v_add_f32_e32 v81, v82, v77
	s_delay_alu instid0(VALU_DEP_3) | instskip(SKIP_1) | instid1(VALU_DEP_2)
	v_exp_f32_e32 v82, v79
	v_cndmask_b32_e64 v79, 0, v90, s17
	v_add_f32_e32 v81, v81, v78
	s_delay_alu instid0(VALU_DEP_1) | instskip(SKIP_2) | instid1(VALU_DEP_1)
	v_add_f32_e32 v90, v81, v79
	s_waitcnt_depctr 0xfff
	v_cndmask_b32_e64 v81, 0, v82, s18
	v_add_f32_e32 v82, v90, v81
	ds_bpermute_b32 v89, v89, v82
	s_and_saveexec_b32 s4, s3
	s_cbranch_execz .LBB1450_12
; %bb.11:
	v_mul_u32_u24_e32 v67, 0x44, v66
	s_delay_alu instid0(VALU_DEP_1) | instskip(SKIP_1) | instid1(VALU_DEP_1)
	v_lshl_add_u32 v67, v65, 2, v67
	s_waitcnt lgkmcnt(0)
	v_dual_add_f32 v82, v82, v89 :: v_dual_add_nc_u32 v67, 0x4000, v67
	ds_store_2addr_b32 v67, v68, v82 offset1:136
.LBB1450_12:
	s_or_b32 exec_lo, exec_lo, s4
	v_lshlrev_b32_e32 v67, 2, v65
	s_waitcnt lgkmcnt(0)
	s_barrier
	buffer_gl0_inv
	v_cmp_eq_u32_e32 vcc_lo, 1, v66
	v_add_nc_u32_e32 v82, 0x4000, v67
	v_cmp_eq_u32_e64 s4, 2, v66
	v_cmp_eq_u32_e64 s6, 7, v66
	ds_load_2addr_b32 v[89:90], v82 offset1:17
	ds_load_2addr_b32 v[91:92], v82 offset0:34 offset1:51
	ds_load_2addr_b32 v[93:94], v82 offset0:68 offset1:85
	;; [unrolled: 1-line block ×4, first 2 shown]
	s_waitcnt lgkmcnt(4)
	v_max3_f32 v67, v89, 0xff7fffff, v90
	s_waitcnt lgkmcnt(3)
	s_delay_alu instid0(VALU_DEP_1) | instskip(SKIP_1) | instid1(VALU_DEP_1)
	v_max3_f32 v67, v67, v91, v92
	s_waitcnt lgkmcnt(2)
	v_max3_f32 v67, v67, v93, v94
	s_waitcnt lgkmcnt(1)
	s_delay_alu instid0(VALU_DEP_1) | instskip(NEXT) | instid1(VALU_DEP_1)
	v_max3_f32 v67, v67, v95, v96
	v_sub_f32_e32 v93, v93, v67
	s_delay_alu instid0(VALU_DEP_1) | instskip(NEXT) | instid1(VALU_DEP_1)
	v_dual_sub_f32 v68, v89, v67 :: v_dual_mul_f32 v103, 0x3fb8aa3b, v93
	v_mul_f32_e32 v68, 0x3fb8aa3b, v68
	s_delay_alu instid0(VALU_DEP_1)
	v_exp_f32_e32 v100, v68
	v_sub_f32_e32 v68, v92, v67
	v_sub_f32_e32 v99, v90, v67
	ds_load_2addr_b32 v[89:90], v82 offset0:170 offset1:187
	v_dual_mul_f32 v102, 0x3fb8aa3b, v68 :: v_dual_mul_f32 v99, 0x3fb8aa3b, v99
	s_waitcnt lgkmcnt(1)
	v_fma_f32 v68, v100, v97, 0
	s_delay_alu instid0(VALU_DEP_2) | instskip(NEXT) | instid1(VALU_DEP_2)
	v_exp_f32_e32 v102, v102
	v_exp_f32_e32 v99, v99
	s_waitcnt_depctr 0xfff
	v_fmac_f32_e32 v68, v99, v98
	v_sub_f32_e32 v91, v91, v67
	s_delay_alu instid0(VALU_DEP_1)
	v_mul_f32_e32 v101, 0x3fb8aa3b, v91
	ds_load_2addr_b32 v[91:92], v82 offset0:204 offset1:221
	v_sub_f32_e32 v97, v94, v67
	ds_load_2addr_b32 v[93:94], v82 offset0:238 offset1:255
	s_waitcnt lgkmcnt(0)
	v_exp_f32_e32 v101, v101
	s_barrier
	buffer_gl0_inv
	v_dual_fmac_f32 v68, v101, v89 :: v_dual_sub_f32 v89, v96, v67
	v_dual_sub_f32 v82, v95, v67 :: v_dual_mul_f32 v95, 0x3fb8aa3b, v97
	v_exp_f32_e32 v97, v103
	s_delay_alu instid0(VALU_DEP_2) | instskip(NEXT) | instid1(VALU_DEP_2)
	v_dual_fmac_f32 v68, v102, v90 :: v_dual_mul_f32 v89, 0x3fb8aa3b, v89
	v_mul_f32_e32 v82, 0x3fb8aa3b, v82
	s_delay_alu instid0(VALU_DEP_3) | instskip(NEXT) | instid1(VALU_DEP_2)
	v_exp_f32_e32 v95, v95
	v_exp_f32_e32 v89, v89
	s_delay_alu instid0(VALU_DEP_1)
	v_exp_f32_e32 v82, v82
	v_fmac_f32_e32 v68, v97, v91
	s_delay_alu instid0(TRANS32_DEP_3) | instid1(VALU_DEP_1)
	v_fmac_f32_e32 v68, v95, v92
	s_waitcnt_depctr 0xfff
	v_fmac_f32_e32 v68, v82, v93
	s_delay_alu instid0(VALU_DEP_1) | instskip(NEXT) | instid1(VALU_DEP_1)
	v_fmac_f32_e32 v68, v89, v94
	v_add_f32_e32 v90, 0x358637bd, v68
	s_delay_alu instid0(VALU_DEP_1) | instskip(NEXT) | instid1(VALU_DEP_1)
	v_div_scale_f32 v91, null, v90, v90, 1.0
	v_rcp_f32_e32 v92, v91
	s_waitcnt_depctr 0xfff
	v_fma_f32 v93, -v91, v92, 1.0
	s_delay_alu instid0(VALU_DEP_1) | instskip(SKIP_1) | instid1(VALU_DEP_2)
	v_dual_fmac_f32 v92, v93, v92 :: v_dual_cndmask_b32 v93, v100, v99
	v_cmp_eq_u32_e32 vcc_lo, 3, v66
	v_cndmask_b32_e64 v93, v93, v101, s4
	v_cmp_eq_u32_e64 s4, 4, v66
	s_delay_alu instid0(VALU_DEP_2) | instskip(SKIP_1) | instid1(VALU_DEP_2)
	v_cndmask_b32_e32 v93, v93, v102, vcc_lo
	v_cmp_eq_u32_e32 vcc_lo, 5, v66
	v_cndmask_b32_e64 v93, v93, v97, s4
	v_cmp_eq_u32_e64 s4, 6, v66
	s_delay_alu instid0(VALU_DEP_2) | instskip(SKIP_1) | instid1(VALU_DEP_1)
	v_cndmask_b32_e32 v93, v93, v95, vcc_lo
	v_div_scale_f32 v94, s5, 1.0, v90, 1.0
	s_mov_b32 vcc_lo, s5
	s_delay_alu instid0(VALU_DEP_2) | instskip(NEXT) | instid1(VALU_DEP_2)
	v_cndmask_b32_e64 v82, v93, v82, s4
	v_mul_f32_e32 v96, v94, v92
	s_mov_b32 s4, exec_lo
	s_delay_alu instid0(VALU_DEP_2) | instskip(NEXT) | instid1(VALU_DEP_2)
	v_cndmask_b32_e64 v82, v82, v89, s6
	v_fma_f32 v98, -v91, v96, v94
	s_delay_alu instid0(VALU_DEP_1) | instskip(NEXT) | instid1(VALU_DEP_1)
	v_fmac_f32_e32 v96, v98, v92
	v_fma_f32 v91, -v91, v96, v94
	s_delay_alu instid0(VALU_DEP_1) | instskip(NEXT) | instid1(VALU_DEP_1)
	v_div_fmas_f32 v91, v91, v92, v96
	v_div_fixup_f32 v90, v91, v90, 1.0
	s_delay_alu instid0(VALU_DEP_1) | instskip(NEXT) | instid1(VALU_DEP_1)
	v_mul_f32_e32 v82, v82, v90
	v_mul_f32_e32 v87, v82, v87
	v_mul_f32_e32 v90, v82, v80
	v_mul_f32_e32 v80, v82, v88
	v_mul_f32_e32 v84, v82, v84
	v_mul_f32_e32 v88, v82, v86
	v_mul_f32_e32 v89, v82, v85
	v_dual_mul_f32 v86, v82, v83 :: v_dual_and_b32 v91, 0x7f800000, v90
	v_mul_f32_e32 v85, v82, v76
                                        ; implicit-def: $vgpr76
	s_delay_alu instid0(VALU_DEP_2)
	v_cmpx_ne_u32_e32 0x7f800000, v91
	s_xor_b32 s4, exec_lo, s4
; %bb.13:
	v_bfe_u32 v76, v90, 16, 1
	s_delay_alu instid0(VALU_DEP_1)
	v_add3_u32 v76, v90, v76, 0x7fff
                                        ; implicit-def: $vgpr90
; %bb.14:
	s_and_not1_saveexec_b32 s4, s4
; %bb.15:
	v_and_b32_e32 v76, 0xffff, v90
	v_or_b32_e32 v83, 0x10000, v90
	s_delay_alu instid0(VALU_DEP_2) | instskip(NEXT) | instid1(VALU_DEP_2)
	v_cmp_eq_u32_e32 vcc_lo, 0, v76
	v_cndmask_b32_e32 v76, v83, v90, vcc_lo
; %bb.16:
	s_or_b32 exec_lo, exec_lo, s4
	v_and_b32_e32 v83, 0x7f800000, v85
	s_delay_alu instid0(VALU_DEP_1) | instskip(SKIP_1) | instid1(SALU_CYCLE_1)
	v_cmp_ne_u32_e32 vcc_lo, 0x7f800000, v83
                                        ; implicit-def: $vgpr83
	s_and_saveexec_b32 s4, vcc_lo
	s_xor_b32 s4, exec_lo, s4
; %bb.17:
	v_bfe_u32 v83, v85, 16, 1
	s_delay_alu instid0(VALU_DEP_1)
	v_add3_u32 v83, v85, v83, 0x7fff
                                        ; implicit-def: $vgpr85
; %bb.18:
	s_and_not1_saveexec_b32 s4, s4
; %bb.19:
	v_and_b32_e32 v83, 0xffff, v85
	v_or_b32_e32 v90, 0x10000, v85
	s_delay_alu instid0(VALU_DEP_2) | instskip(NEXT) | instid1(VALU_DEP_2)
	v_cmp_eq_u32_e32 vcc_lo, 0, v83
	v_cndmask_b32_e32 v83, v90, v85, vcc_lo
; %bb.20:
	s_or_b32 exec_lo, exec_lo, s4
	v_and_b32_e32 v85, 0x7f800000, v86
	s_delay_alu instid0(VALU_DEP_1) | instskip(SKIP_1) | instid1(SALU_CYCLE_1)
	v_cmp_ne_u32_e32 vcc_lo, 0x7f800000, v85
                                        ; implicit-def: $vgpr85
	s_and_saveexec_b32 s4, vcc_lo
	s_xor_b32 s4, exec_lo, s4
; %bb.21:
	v_bfe_u32 v85, v86, 16, 1
	s_delay_alu instid0(VALU_DEP_1)
	v_add3_u32 v85, v86, v85, 0x7fff
                                        ; implicit-def: $vgpr86
; %bb.22:
	s_and_not1_saveexec_b32 s4, s4
; %bb.23:
	v_and_b32_e32 v85, 0xffff, v86
	v_or_b32_e32 v90, 0x10000, v86
	s_delay_alu instid0(VALU_DEP_2) | instskip(NEXT) | instid1(VALU_DEP_2)
	v_cmp_eq_u32_e32 vcc_lo, 0, v85
	v_cndmask_b32_e32 v85, v90, v86, vcc_lo
; %bb.24:
	s_or_b32 exec_lo, exec_lo, s4
	v_and_b32_e32 v86, 0x7f800000, v89
	s_delay_alu instid0(VALU_DEP_1) | instskip(SKIP_1) | instid1(SALU_CYCLE_1)
	v_cmp_ne_u32_e32 vcc_lo, 0x7f800000, v86
                                        ; implicit-def: $vgpr86
	s_and_saveexec_b32 s4, vcc_lo
	s_xor_b32 s4, exec_lo, s4
; %bb.25:
	v_bfe_u32 v86, v89, 16, 1
	s_delay_alu instid0(VALU_DEP_1)
	v_add3_u32 v86, v89, v86, 0x7fff
                                        ; implicit-def: $vgpr89
; %bb.26:
	s_and_not1_saveexec_b32 s4, s4
; %bb.27:
	v_and_b32_e32 v86, 0xffff, v89
	v_or_b32_e32 v90, 0x10000, v89
	s_delay_alu instid0(VALU_DEP_2) | instskip(NEXT) | instid1(VALU_DEP_2)
	v_cmp_eq_u32_e32 vcc_lo, 0, v86
	v_cndmask_b32_e32 v86, v90, v89, vcc_lo
; %bb.28:
	s_or_b32 exec_lo, exec_lo, s4
	v_and_b32_e32 v89, 0x7f800000, v88
	s_delay_alu instid0(VALU_DEP_1) | instskip(SKIP_1) | instid1(SALU_CYCLE_1)
	v_cmp_ne_u32_e32 vcc_lo, 0x7f800000, v89
                                        ; implicit-def: $vgpr89
	s_and_saveexec_b32 s4, vcc_lo
	s_xor_b32 s4, exec_lo, s4
; %bb.29:
	v_bfe_u32 v89, v88, 16, 1
	s_delay_alu instid0(VALU_DEP_1)
	v_add3_u32 v89, v88, v89, 0x7fff
                                        ; implicit-def: $vgpr88
; %bb.30:
	s_and_not1_saveexec_b32 s4, s4
; %bb.31:
	v_and_b32_e32 v89, 0xffff, v88
	v_or_b32_e32 v90, 0x10000, v88
	s_delay_alu instid0(VALU_DEP_2) | instskip(NEXT) | instid1(VALU_DEP_2)
	v_cmp_eq_u32_e32 vcc_lo, 0, v89
	v_cndmask_b32_e32 v89, v90, v88, vcc_lo
; %bb.32:
	s_or_b32 exec_lo, exec_lo, s4
	v_and_b32_e32 v88, 0x7f800000, v87
	s_delay_alu instid0(VALU_DEP_1) | instskip(SKIP_1) | instid1(SALU_CYCLE_1)
	v_cmp_ne_u32_e32 vcc_lo, 0x7f800000, v88
                                        ; implicit-def: $vgpr88
	s_and_saveexec_b32 s4, vcc_lo
	s_xor_b32 s4, exec_lo, s4
; %bb.33:
	v_bfe_u32 v88, v87, 16, 1
	s_delay_alu instid0(VALU_DEP_1)
	v_add3_u32 v88, v87, v88, 0x7fff
                                        ; implicit-def: $vgpr87
; %bb.34:
	s_and_not1_saveexec_b32 s4, s4
; %bb.35:
	v_and_b32_e32 v88, 0xffff, v87
	v_or_b32_e32 v90, 0x10000, v87
	s_delay_alu instid0(VALU_DEP_2) | instskip(NEXT) | instid1(VALU_DEP_2)
	v_cmp_eq_u32_e32 vcc_lo, 0, v88
	v_cndmask_b32_e32 v88, v90, v87, vcc_lo
; %bb.36:
	s_or_b32 exec_lo, exec_lo, s4
	v_and_b32_e32 v87, 0x7f800000, v84
	s_delay_alu instid0(VALU_DEP_1) | instskip(SKIP_1) | instid1(SALU_CYCLE_1)
	v_cmp_ne_u32_e32 vcc_lo, 0x7f800000, v87
                                        ; implicit-def: $vgpr87
	s_and_saveexec_b32 s4, vcc_lo
	s_xor_b32 s4, exec_lo, s4
; %bb.37:
	v_bfe_u32 v87, v84, 16, 1
	s_delay_alu instid0(VALU_DEP_1)
	v_add3_u32 v87, v84, v87, 0x7fff
                                        ; implicit-def: $vgpr84
; %bb.38:
	s_and_not1_saveexec_b32 s4, s4
; %bb.39:
	v_and_b32_e32 v87, 0xffff, v84
	v_or_b32_e32 v90, 0x10000, v84
	s_delay_alu instid0(VALU_DEP_2) | instskip(NEXT) | instid1(VALU_DEP_2)
	v_cmp_eq_u32_e32 vcc_lo, 0, v87
	v_cndmask_b32_e32 v87, v90, v84, vcc_lo
; %bb.40:
	s_or_b32 exec_lo, exec_lo, s4
	v_and_b32_e32 v84, 0x7f800000, v80
	s_delay_alu instid0(VALU_DEP_1) | instskip(SKIP_1) | instid1(SALU_CYCLE_1)
	v_cmp_ne_u32_e32 vcc_lo, 0x7f800000, v84
                                        ; implicit-def: $vgpr84
	s_and_saveexec_b32 s4, vcc_lo
	s_xor_b32 s4, exec_lo, s4
; %bb.41:
	v_bfe_u32 v84, v80, 16, 1
	s_delay_alu instid0(VALU_DEP_1)
	v_add3_u32 v84, v80, v84, 0x7fff
                                        ; implicit-def: $vgpr80
; %bb.42:
	s_and_not1_saveexec_b32 s4, s4
; %bb.43:
	v_and_b32_e32 v84, 0xffff, v80
	v_or_b32_e32 v90, 0x10000, v80
	s_delay_alu instid0(VALU_DEP_2) | instskip(NEXT) | instid1(VALU_DEP_2)
	v_cmp_eq_u32_e32 vcc_lo, 0, v84
	v_cndmask_b32_e32 v84, v90, v80, vcc_lo
; %bb.44:
	s_or_b32 exec_lo, exec_lo, s4
	s_load_b64 s[36:37], s[0:1], 0x94
	v_lshlrev_b32_e32 v91, 4, v74
	s_delay_alu instid0(VALU_DEP_2)
	v_perm_b32 v90, v84, v87, 0x7060302
	v_dual_mul_f32 v79, v82, v79 :: v_dual_lshlrev_b32 v80, 6, v65
	v_dual_mul_f32 v77, v82, v77 :: v_dual_lshlrev_b32 v92, 11, v66
	v_mul_f32_e32 v84, v82, v70
	v_perm_b32 v89, v88, v89, 0x7060302
	v_perm_b32 v88, v86, v85, 0x7060302
	;; [unrolled: 1-line block ×3, first 2 shown]
	v_mul_f32_e32 v70, v82, v81
	v_or3_b32 v76, v91, v92, v80
	v_dual_mul_f32 v78, v82, v78 :: v_dual_and_b32 v85, 0x7f800000, v84
	v_mul_f32_e32 v83, v82, v72
	v_mul_f32_e32 v81, v82, v71
	;; [unrolled: 1-line block ×3, first 2 shown]
	s_mov_b32 s4, exec_lo
	ds_store_b128 v76, v[87:90]
                                        ; implicit-def: $vgpr69
	v_cmpx_ne_u32_e32 0x7f800000, v85
	s_xor_b32 s4, exec_lo, s4
; %bb.45:
	v_bfe_u32 v69, v84, 16, 1
	s_delay_alu instid0(VALU_DEP_1)
	v_add3_u32 v69, v84, v69, 0x7fff
                                        ; implicit-def: $vgpr84
; %bb.46:
	s_and_not1_saveexec_b32 s4, s4
; %bb.47:
	v_and_b32_e32 v69, 0xffff, v84
	v_or_b32_e32 v71, 0x10000, v84
	s_delay_alu instid0(VALU_DEP_2) | instskip(NEXT) | instid1(VALU_DEP_2)
	v_cmp_eq_u32_e32 vcc_lo, 0, v69
	v_cndmask_b32_e32 v69, v71, v84, vcc_lo
; %bb.48:
	s_or_b32 exec_lo, exec_lo, s4
	v_and_b32_e32 v71, 0x7f800000, v72
	s_delay_alu instid0(VALU_DEP_1) | instskip(SKIP_1) | instid1(SALU_CYCLE_1)
	v_cmp_ne_u32_e32 vcc_lo, 0x7f800000, v71
                                        ; implicit-def: $vgpr71
	s_and_saveexec_b32 s4, vcc_lo
	s_xor_b32 s4, exec_lo, s4
; %bb.49:
	v_bfe_u32 v71, v72, 16, 1
	s_delay_alu instid0(VALU_DEP_1)
	v_add3_u32 v71, v72, v71, 0x7fff
                                        ; implicit-def: $vgpr72
; %bb.50:
	s_and_not1_saveexec_b32 s4, s4
; %bb.51:
	v_and_b32_e32 v71, 0xffff, v72
	v_or_b32_e32 v82, 0x10000, v72
	s_delay_alu instid0(VALU_DEP_2) | instskip(NEXT) | instid1(VALU_DEP_2)
	v_cmp_eq_u32_e32 vcc_lo, 0, v71
	v_cndmask_b32_e32 v71, v82, v72, vcc_lo
; %bb.52:
	s_or_b32 exec_lo, exec_lo, s4
	v_and_b32_e32 v72, 0x7f800000, v81
	s_delay_alu instid0(VALU_DEP_1) | instskip(SKIP_1) | instid1(SALU_CYCLE_1)
	v_cmp_ne_u32_e32 vcc_lo, 0x7f800000, v72
                                        ; implicit-def: $vgpr72
	s_and_saveexec_b32 s4, vcc_lo
	s_xor_b32 s4, exec_lo, s4
; %bb.53:
	v_bfe_u32 v72, v81, 16, 1
	s_delay_alu instid0(VALU_DEP_1)
	v_add3_u32 v72, v81, v72, 0x7fff
                                        ; implicit-def: $vgpr81
; %bb.54:
	s_and_not1_saveexec_b32 s4, s4
; %bb.55:
	v_and_b32_e32 v72, 0xffff, v81
	v_or_b32_e32 v82, 0x10000, v81
	s_delay_alu instid0(VALU_DEP_2) | instskip(NEXT) | instid1(VALU_DEP_2)
	v_cmp_eq_u32_e32 vcc_lo, 0, v72
	v_cndmask_b32_e32 v72, v82, v81, vcc_lo
; %bb.56:
	s_or_b32 exec_lo, exec_lo, s4
	v_and_b32_e32 v81, 0x7f800000, v83
	s_delay_alu instid0(VALU_DEP_1) | instskip(SKIP_1) | instid1(SALU_CYCLE_1)
	v_cmp_ne_u32_e32 vcc_lo, 0x7f800000, v81
                                        ; implicit-def: $vgpr81
	s_and_saveexec_b32 s4, vcc_lo
	s_xor_b32 s4, exec_lo, s4
; %bb.57:
	v_bfe_u32 v81, v83, 16, 1
	s_delay_alu instid0(VALU_DEP_1)
	v_add3_u32 v81, v83, v81, 0x7fff
                                        ; implicit-def: $vgpr83
; %bb.58:
	s_and_not1_saveexec_b32 s4, s4
; %bb.59:
	v_and_b32_e32 v81, 0xffff, v83
	v_or_b32_e32 v82, 0x10000, v83
	s_delay_alu instid0(VALU_DEP_2) | instskip(NEXT) | instid1(VALU_DEP_2)
	v_cmp_eq_u32_e32 vcc_lo, 0, v81
	v_cndmask_b32_e32 v81, v82, v83, vcc_lo
; %bb.60:
	s_or_b32 exec_lo, exec_lo, s4
	v_and_b32_e32 v82, 0x7f800000, v77
	s_delay_alu instid0(VALU_DEP_1) | instskip(SKIP_1) | instid1(SALU_CYCLE_1)
	v_cmp_ne_u32_e32 vcc_lo, 0x7f800000, v82
                                        ; implicit-def: $vgpr82
	s_and_saveexec_b32 s4, vcc_lo
	s_xor_b32 s4, exec_lo, s4
; %bb.61:
	v_bfe_u32 v82, v77, 16, 1
	s_delay_alu instid0(VALU_DEP_1)
	v_add3_u32 v82, v77, v82, 0x7fff
                                        ; implicit-def: $vgpr77
; %bb.62:
	s_and_not1_saveexec_b32 s4, s4
; %bb.63:
	v_and_b32_e32 v82, 0xffff, v77
	v_or_b32_e32 v83, 0x10000, v77
	s_delay_alu instid0(VALU_DEP_2) | instskip(NEXT) | instid1(VALU_DEP_2)
	v_cmp_eq_u32_e32 vcc_lo, 0, v82
	v_cndmask_b32_e32 v82, v83, v77, vcc_lo
; %bb.64:
	s_or_b32 exec_lo, exec_lo, s4
	v_and_b32_e32 v77, 0x7f800000, v78
	s_delay_alu instid0(VALU_DEP_1) | instskip(SKIP_1) | instid1(SALU_CYCLE_1)
	v_cmp_ne_u32_e32 vcc_lo, 0x7f800000, v77
                                        ; implicit-def: $vgpr77
	s_and_saveexec_b32 s4, vcc_lo
	s_xor_b32 s4, exec_lo, s4
; %bb.65:
	v_bfe_u32 v77, v78, 16, 1
	s_delay_alu instid0(VALU_DEP_1)
	v_add3_u32 v77, v78, v77, 0x7fff
                                        ; implicit-def: $vgpr78
; %bb.66:
	s_and_not1_saveexec_b32 s4, s4
; %bb.67:
	v_and_b32_e32 v77, 0xffff, v78
	v_or_b32_e32 v83, 0x10000, v78
	s_delay_alu instid0(VALU_DEP_2) | instskip(NEXT) | instid1(VALU_DEP_2)
	v_cmp_eq_u32_e32 vcc_lo, 0, v77
	v_cndmask_b32_e32 v77, v83, v78, vcc_lo
; %bb.68:
	s_or_b32 exec_lo, exec_lo, s4
	v_and_b32_e32 v78, 0x7f800000, v79
	s_delay_alu instid0(VALU_DEP_1) | instskip(SKIP_1) | instid1(SALU_CYCLE_1)
	v_cmp_ne_u32_e32 vcc_lo, 0x7f800000, v78
                                        ; implicit-def: $vgpr78
	s_and_saveexec_b32 s4, vcc_lo
	s_xor_b32 s4, exec_lo, s4
; %bb.69:
	v_bfe_u32 v78, v79, 16, 1
	s_delay_alu instid0(VALU_DEP_1)
	v_add3_u32 v78, v79, v78, 0x7fff
                                        ; implicit-def: $vgpr79
; %bb.70:
	s_and_not1_saveexec_b32 s4, s4
; %bb.71:
	v_and_b32_e32 v78, 0xffff, v79
	v_or_b32_e32 v83, 0x10000, v79
	s_delay_alu instid0(VALU_DEP_2) | instskip(NEXT) | instid1(VALU_DEP_2)
	v_cmp_eq_u32_e32 vcc_lo, 0, v78
	v_cndmask_b32_e32 v78, v83, v79, vcc_lo
; %bb.72:
	s_or_b32 exec_lo, exec_lo, s4
	v_and_b32_e32 v79, 0x7f800000, v70
	s_delay_alu instid0(VALU_DEP_1) | instskip(SKIP_1) | instid1(SALU_CYCLE_1)
	v_cmp_ne_u32_e32 vcc_lo, 0x7f800000, v79
                                        ; implicit-def: $vgpr79
	s_and_saveexec_b32 s4, vcc_lo
	s_xor_b32 s4, exec_lo, s4
; %bb.73:
	v_bfe_u32 v79, v70, 16, 1
	s_delay_alu instid0(VALU_DEP_1)
	v_add3_u32 v79, v70, v79, 0x7fff
                                        ; implicit-def: $vgpr70
; %bb.74:
	s_and_not1_saveexec_b32 s4, s4
; %bb.75:
	v_and_b32_e32 v79, 0xffff, v70
	v_or_b32_e32 v83, 0x10000, v70
	s_delay_alu instid0(VALU_DEP_2) | instskip(NEXT) | instid1(VALU_DEP_2)
	v_cmp_eq_u32_e32 vcc_lo, 0, v79
	v_cndmask_b32_e32 v79, v83, v70, vcc_lo
; %bb.76:
	s_or_b32 exec_lo, exec_lo, s4
	s_delay_alu instid0(VALU_DEP_1)
	v_perm_b32 v86, v79, v78, 0x7060302
	v_perm_b32 v85, v77, v82, 0x7060302
	;; [unrolled: 1-line block ×4, first 2 shown]
	v_lshl_or_b32 v82, v66, 11, v80
	ds_store_b128 v76, v[83:86] offset:1024
	s_waitcnt lgkmcnt(0)
	s_barrier
	buffer_gl0_inv
	ds_load_b128 v[69:72], v82
	ds_load_b128 v[83:86], v82 offset:16
	s_waitcnt lgkmcnt(1)
	v_lshrrev_b32_e32 v66, 16, v69
	s_waitcnt lgkmcnt(0)
	v_lshrrev_b32_e32 v91, 16, v83
	v_lshlrev_b32_e32 v78, 2, v74
	v_lshrrev_b32_e32 v95, 16, v70
	v_lshrrev_b32_e32 v98, 16, v84
	;; [unrolled: 1-line block ×4, first 2 shown]
	v_cmp_eq_u32_e32 vcc_lo, 1, v78
	v_lshrrev_b32_e32 v97, 16, v72
	v_lshrrev_b32_e32 v100, 16, v86
	v_cndmask_b32_e32 v87, v83, v91, vcc_lo
	v_or_b32_e32 v79, 1, v78
	v_cndmask_b32_e32 v81, v69, v66, vcc_lo
	v_cmp_eq_u32_e64 s5, 2, v78
	v_cmp_eq_u32_e64 s8, 3, v78
	;; [unrolled: 1-line block ×5, first 2 shown]
	v_cndmask_b32_e64 v81, v81, v70, s5
	v_cndmask_b32_e64 v87, v87, v84, s5
	v_cmp_eq_u32_e64 s9, 3, v79
	v_cndmask_b32_e64 v88, v69, v66, s4
	v_or_b32_e32 v77, 2, v78
	v_cndmask_b32_e64 v81, v81, v95, s8
	v_cndmask_b32_e64 v87, v87, v98, s8
	;; [unrolled: 1-line block ×4, first 2 shown]
	v_cmp_eq_u32_e64 s11, 5, v78
	v_cndmask_b32_e64 v81, v81, v71, s10
	v_cndmask_b32_e64 v87, v87, v85, s10
	v_cmp_eq_u32_e64 s12, 4, v79
	v_cndmask_b32_e64 v88, v88, v95, s9
	v_cmp_eq_u32_e64 s6, 1, v77
	v_cndmask_b32_e64 v89, v89, v84, s7
	v_cndmask_b32_e64 v81, v81, v96, s11
	v_cmp_eq_u32_e64 s13, 6, v78
	v_cndmask_b32_e64 v88, v88, v71, s12
	;; [unrolled: 3-line block ×3, first 2 shown]
	v_cndmask_b32_e64 v89, v89, v98, s9
	v_cndmask_b32_e64 v81, v81, v72, s13
	v_cmp_eq_u32_e64 s16, 7, v78
	v_cndmask_b32_e64 v88, v88, v96, s15
	v_cndmask_b32_e64 v87, v87, v86, s13
	v_cmp_eq_u32_e64 s17, 6, v79
	v_cmp_eq_u32_e64 s18, 2, v77
	v_cndmask_b32_e64 v89, v89, v85, s12
	v_cndmask_b32_e64 v101, v81, v97, s16
	v_cndmask_b32_e64 v102, v87, v100, s16
	v_cndmask_b32_e64 v88, v88, v72, s17
	v_cndmask_b32_e64 v81, v90, v70, s18
	v_cndmask_b32_e64 v87, v83, v91, s6
	v_cmp_eq_u32_e64 s19, 7, v79
	v_cmp_eq_u32_e64 s20, 3, v77
	;; [unrolled: 1-line block ×4, first 2 shown]
	v_cndmask_b32_e64 v87, v87, v84, s18
	v_cndmask_b32_e64 v103, v88, v97, s19
	;; [unrolled: 1-line block ×4, first 2 shown]
	v_or_b32_e32 v81, 3, v78
	v_cndmask_b32_e64 v93, v87, v98, s20
	v_cmp_eq_u32_e64 s25, 6, v77
	v_cndmask_b32_e64 v104, v88, v86, s17
	v_cndmask_b32_e64 v92, v89, v71, s21
	v_cmp_eq_u32_e64 s22, 1, v81
	ds_load_b128 v[87:90], v82 offset:1024
	v_cmp_eq_u32_e64 s24, 2, v81
	v_cmp_eq_u32_e64 s26, 3, v81
	v_cndmask_b32_e64 v105, v92, v96, s23
	v_cndmask_b32_e64 v66, v69, v66, s22
	;; [unrolled: 1-line block ×4, first 2 shown]
	ds_load_b128 v[91:94], v82 offset:1040
	v_cmp_eq_u32_e64 s27, 4, v81
	v_cndmask_b32_e64 v66, v66, v70, s24
	v_cmp_eq_u32_e64 s28, 7, v77
	v_cndmask_b32_e64 v70, v83, v84, s24
	v_cndmask_b32_e64 v84, v105, v72, s25
	v_cmp_eq_u32_e64 s29, 5, v81
	v_cndmask_b32_e64 v66, v66, v95, s26
	v_cmp_eq_u32_e64 s30, 6, v81
	v_cndmask_b32_e64 v70, v70, v98, s26
	v_cndmask_b32_e64 v69, v69, v99, s23
	;; [unrolled: 1-line block ×4, first 2 shown]
	s_waitcnt lgkmcnt(1)
	v_lshrrev_b32_e32 v95, 16, v87
	v_cndmask_b32_e64 v70, v70, v85, s27
	v_cndmask_b32_e64 v71, v84, v97, s28
	v_cndmask_b32_e64 v69, v69, v86, s25
	v_cndmask_b32_e64 v66, v66, v96, s29
	v_cndmask_b32_e32 v84, v87, v95, vcc_lo
	v_cndmask_b32_e64 v70, v70, v99, s29
	s_waitcnt lgkmcnt(0)
	v_lshrrev_b32_e32 v85, 16, v91
	v_lshrrev_b32_e32 v96, 16, v88
	v_cndmask_b32_e64 v98, v87, v95, s4
	v_cndmask_b32_e64 v84, v84, v88, s5
	;; [unrolled: 1-line block ×3, first 2 shown]
	v_cndmask_b32_e32 v99, v91, v85, vcc_lo
	v_cmp_eq_u32_e32 vcc_lo, 7, v81
	v_cndmask_b32_e64 v66, v66, v72, s30
	v_cndmask_b32_e64 v72, v84, v96, s8
	v_cndmask_b32_e64 v84, v98, v88, s7
	v_lshrrev_b32_e32 v98, 16, v92
	v_cndmask_b32_e32 v70, v70, v100, vcc_lo
	v_cndmask_b32_e64 v86, v99, v92, s5
	v_cndmask_b32_e64 v69, v69, v100, s28
	v_lshrrev_b32_e32 v100, 16, v93
	v_cndmask_b32_e64 v72, v72, v89, s10
	v_lshrrev_b32_e32 v99, 16, v89
	v_cndmask_b32_e64 v86, v86, v98, s8
	v_perm_b32 v71, v69, v71, 0x5040100
	v_cndmask_b32_e64 v84, v84, v96, s9
	s_delay_alu instid0(VALU_DEP_3) | instskip(NEXT) | instid1(VALU_DEP_2)
	v_cndmask_b32_e64 v86, v86, v93, s10
	v_cndmask_b32_e64 v84, v84, v89, s12
	s_delay_alu instid0(VALU_DEP_2) | instskip(NEXT) | instid1(VALU_DEP_1)
	v_cndmask_b32_e64 v86, v86, v100, s11
	v_cndmask_b32_e64 v69, v86, v94, s13
	;; [unrolled: 1-line block ×5, first 2 shown]
	s_delay_alu instid0(VALU_DEP_3) | instskip(NEXT) | instid1(VALU_DEP_3)
	v_cndmask_b32_e64 v86, v86, v88, s18
	v_cndmask_b32_e64 v87, v87, v88, s24
	s_delay_alu instid0(VALU_DEP_3) | instskip(NEXT) | instid1(VALU_DEP_3)
	v_cndmask_b32_e64 v88, v95, v92, s24
	v_cndmask_b32_e64 v86, v86, v96, s20
	;; [unrolled: 3-line block ×7, first 2 shown]
	s_delay_alu instid0(VALU_DEP_3) | instskip(SKIP_2) | instid1(VALU_DEP_2)
	v_cndmask_b32_e64 v88, v88, v94, s30
	v_cndmask_b32_e32 v66, v66, v97, vcc_lo
	v_cndmask_b32_e64 v97, v72, v99, s11
	v_perm_b32 v72, v70, v66, 0x5040100
	v_perm_b32 v70, v83, v103, 0x5040100
	v_cndmask_b32_e64 v103, v91, v85, s6
	v_cndmask_b32_e64 v85, v91, v85, s4
	;; [unrolled: 1-line block ×4, first 2 shown]
	v_lshrrev_b32_e32 v97, 16, v90
	v_cndmask_b32_e64 v91, v103, v92, s18
	v_cndmask_b32_e64 v85, v85, v92, s7
	;; [unrolled: 1-line block ×3, first 2 shown]
	s_mov_b32 s4, exec_lo
	v_cndmask_b32_e64 v83, v84, v97, s16
	v_cndmask_b32_e64 v91, v91, v98, s20
	;; [unrolled: 1-line block ×3, first 2 shown]
	v_lshrrev_b32_e32 v84, 16, v94
	v_cndmask_b32_e64 v66, v66, v97, s19
	v_cndmask_b32_e64 v90, v86, v97, s28
	;; [unrolled: 1-line block ×4, first 2 shown]
	v_dual_cndmask_b32 v86, v87, v97 :: v_dual_cndmask_b32 v87, v88, v84
	v_cndmask_b32_e64 v91, v69, v84, s16
	s_delay_alu instid0(VALU_DEP_4) | instskip(NEXT) | instid1(VALU_DEP_4)
	v_cndmask_b32_e64 v89, v89, v100, s23
	v_cndmask_b32_e64 v85, v85, v100, s15
	v_perm_b32 v69, v102, v101, 0x5040100
	v_perm_b32 v86, v87, v86, 0x5040100
	;; [unrolled: 1-line block ×3, first 2 shown]
	v_cndmask_b32_e64 v89, v89, v94, s25
	v_cndmask_b32_e64 v85, v85, v94, s17
	s_mul_i32 s9, s37, 5
	s_delay_alu instid0(VALU_DEP_2) | instskip(NEXT) | instid1(VALU_DEP_2)
	v_cndmask_b32_e64 v88, v89, v84, s28
	v_cndmask_b32_e64 v89, v85, v84, s19
	s_delay_alu instid0(VALU_DEP_2) | instskip(NEXT) | instid1(VALU_DEP_2)
	v_perm_b32 v85, v88, v90, 0x5040100
	v_perm_b32 v84, v89, v66, 0x5040100
	ds_store_b128 v76, v[69:72]
	ds_store_b128 v76, v[83:86] offset:1024
	v_cmpx_gt_u32_e32 5, v0
	s_cbranch_execz .LBB1450_78
; %bb.77:
	s_mul_i32 s5, s9, s34
	s_load_b128 s[16:19], s[0:1], 0x58
	v_add3_u32 v69, s5, s31, v65
	s_delay_alu instid0(VALU_DEP_1) | instskip(NEXT) | instid1(VALU_DEP_1)
	v_mad_u64_u32 v[65:66], null, v69, s36, s[14:15]
	v_ashrrev_i32_e32 v66, 31, v65
	s_delay_alu instid0(VALU_DEP_1) | instskip(SKIP_1) | instid1(VALU_DEP_1)
	v_lshlrev_b64 v[65:66], 2, v[65:66]
	s_waitcnt lgkmcnt(0)
	v_add_co_u32 v69, vcc_lo, s18, v65
	s_delay_alu instid0(VALU_DEP_2)
	v_add_co_ci_u32_e32 v70, vcc_lo, s19, v66, vcc_lo
	v_add_co_u32 v65, vcc_lo, s16, v65
	v_add_co_ci_u32_e32 v66, vcc_lo, s17, v66, vcc_lo
	global_store_b32 v[69:70], v67, off
	global_store_b32 v[65:66], v68, off
.LBB1450_78:
	s_or_b32 exec_lo, exec_lo, s4
	s_waitcnt lgkmcnt(0)
	s_waitcnt_vscnt null, 0x0
	s_barrier
	buffer_gl0_inv
	ds_load_b128 v[83:86], v80
	ds_load_b128 v[87:90], v80 offset:16
	ds_load_b128 v[95:98], v80 offset:2064
	;; [unrolled: 1-line block ×3, first 2 shown]
	v_mov_b32_e32 v65, 0
	ds_load_b128 v[103:106], v80 offset:4112
	ds_load_b128 v[99:102], v80 offset:4096
	;; [unrolled: 1-line block ×4, first 2 shown]
	v_mov_b32_e32 v66, v65
	v_mov_b32_e32 v67, v65
	;; [unrolled: 1-line block ×7, first 2 shown]
	s_waitcnt lgkmcnt(6)
	s_delay_alu instid0(VALU_DEP_1)
	v_wmma_f32_16x16x16_bf16 v[65:72], v[57:64], v[83:90], v[65:72]
	ds_load_b128 v[61:64], v80 offset:8208
	ds_load_b128 v[57:60], v80 offset:8192
	s_waitcnt lgkmcnt(6)
	v_wmma_f32_16x16x16_bf16 v[65:72], v[41:48], v[91:98], v[65:72]
	ds_load_b128 v[45:48], v80 offset:10256
	ds_load_b128 v[41:44], v80 offset:10240
	s_waitcnt lgkmcnt(6)
	;; [unrolled: 4-line block ×4, first 2 shown]
	v_wmma_f32_16x16x16_bf16 v[65:72], v[1:8], v[57:64], v[65:72]
	s_waitcnt lgkmcnt(4)
	s_delay_alu instid0(VALU_DEP_1) | instskip(SKIP_1) | instid1(VALU_DEP_1)
	v_wmma_f32_16x16x16_bf16 v[65:72], v[9:16], v[41:48], v[65:72]
	s_waitcnt lgkmcnt(2)
	v_wmma_f32_16x16x16_bf16 v[65:72], v[17:24], v[33:40], v[65:72]
	s_waitcnt lgkmcnt(0)
	s_delay_alu instid0(VALU_DEP_1) | instskip(NEXT) | instid1(VALU_DEP_1)
	v_wmma_f32_16x16x16_bf16 v[65:72], v[49:56], v[25:32], v[65:72]
	v_and_b32_e32 v1, 0x7f800000, v65
	s_delay_alu instid0(VALU_DEP_1) | instskip(SKIP_1) | instid1(SALU_CYCLE_1)
	v_cmp_ne_u32_e32 vcc_lo, 0x7f800000, v1
                                        ; implicit-def: $vgpr1
	s_and_saveexec_b32 s4, vcc_lo
	s_xor_b32 s4, exec_lo, s4
; %bb.79:
	v_bfe_u32 v1, v65, 16, 1
	s_delay_alu instid0(VALU_DEP_1)
	v_add3_u32 v1, v65, v1, 0x7fff
; %bb.80:
	s_and_not1_saveexec_b32 s4, s4
; %bb.81:
	v_and_b32_e32 v1, 0xffff, v65
	v_or_b32_e32 v2, 0x10000, v65
	s_delay_alu instid0(VALU_DEP_2) | instskip(NEXT) | instid1(VALU_DEP_2)
	v_cmp_eq_u32_e32 vcc_lo, 0, v1
	v_cndmask_b32_e32 v1, v2, v65, vcc_lo
; %bb.82:
	s_or_b32 exec_lo, exec_lo, s4
	v_and_b32_e32 v2, 0x7f800000, v66
	s_delay_alu instid0(VALU_DEP_1) | instskip(SKIP_1) | instid1(SALU_CYCLE_1)
	v_cmp_ne_u32_e32 vcc_lo, 0x7f800000, v2
                                        ; implicit-def: $vgpr2
	s_and_saveexec_b32 s4, vcc_lo
	s_xor_b32 s4, exec_lo, s4
; %bb.83:
	v_bfe_u32 v2, v66, 16, 1
	s_delay_alu instid0(VALU_DEP_1)
	v_add3_u32 v2, v66, v2, 0x7fff
; %bb.84:
	s_and_not1_saveexec_b32 s4, s4
; %bb.85:
	v_and_b32_e32 v2, 0xffff, v66
	v_or_b32_e32 v3, 0x10000, v66
	s_delay_alu instid0(VALU_DEP_2) | instskip(NEXT) | instid1(VALU_DEP_2)
	v_cmp_eq_u32_e32 vcc_lo, 0, v2
	v_cndmask_b32_e32 v2, v3, v66, vcc_lo
; %bb.86:
	s_or_b32 exec_lo, exec_lo, s4
	v_and_b32_e32 v3, 0x7f800000, v67
	s_delay_alu instid0(VALU_DEP_1) | instskip(SKIP_1) | instid1(SALU_CYCLE_1)
	v_cmp_ne_u32_e32 vcc_lo, 0x7f800000, v3
                                        ; implicit-def: $vgpr3
	s_and_saveexec_b32 s4, vcc_lo
	s_xor_b32 s4, exec_lo, s4
; %bb.87:
	v_bfe_u32 v3, v67, 16, 1
	s_delay_alu instid0(VALU_DEP_1)
	v_add3_u32 v3, v67, v3, 0x7fff
; %bb.88:
	s_and_not1_saveexec_b32 s4, s4
; %bb.89:
	v_and_b32_e32 v3, 0xffff, v67
	v_or_b32_e32 v4, 0x10000, v67
	s_delay_alu instid0(VALU_DEP_2) | instskip(NEXT) | instid1(VALU_DEP_2)
	v_cmp_eq_u32_e32 vcc_lo, 0, v3
	v_cndmask_b32_e32 v3, v4, v67, vcc_lo
; %bb.90:
	s_or_b32 exec_lo, exec_lo, s4
	v_and_b32_e32 v4, 0x7f800000, v68
	s_delay_alu instid0(VALU_DEP_1) | instskip(SKIP_1) | instid1(SALU_CYCLE_1)
	v_cmp_ne_u32_e32 vcc_lo, 0x7f800000, v4
                                        ; implicit-def: $vgpr4
	s_and_saveexec_b32 s4, vcc_lo
	s_xor_b32 s4, exec_lo, s4
; %bb.91:
	v_bfe_u32 v4, v68, 16, 1
	s_delay_alu instid0(VALU_DEP_1)
	v_add3_u32 v4, v68, v4, 0x7fff
; %bb.92:
	s_and_not1_saveexec_b32 s4, s4
; %bb.93:
	v_and_b32_e32 v4, 0xffff, v68
	v_or_b32_e32 v5, 0x10000, v68
	s_delay_alu instid0(VALU_DEP_2) | instskip(NEXT) | instid1(VALU_DEP_2)
	v_cmp_eq_u32_e32 vcc_lo, 0, v4
	v_cndmask_b32_e32 v4, v5, v68, vcc_lo
; %bb.94:
	s_or_b32 exec_lo, exec_lo, s4
	v_and_b32_e32 v5, 0x7f800000, v69
	s_delay_alu instid0(VALU_DEP_1) | instskip(SKIP_1) | instid1(SALU_CYCLE_1)
	v_cmp_ne_u32_e32 vcc_lo, 0x7f800000, v5
                                        ; implicit-def: $vgpr5
	s_and_saveexec_b32 s4, vcc_lo
	s_xor_b32 s4, exec_lo, s4
; %bb.95:
	v_bfe_u32 v5, v69, 16, 1
	s_delay_alu instid0(VALU_DEP_1)
	v_add3_u32 v5, v69, v5, 0x7fff
; %bb.96:
	s_and_not1_saveexec_b32 s4, s4
; %bb.97:
	v_and_b32_e32 v5, 0xffff, v69
	v_or_b32_e32 v6, 0x10000, v69
	s_delay_alu instid0(VALU_DEP_2) | instskip(NEXT) | instid1(VALU_DEP_2)
	v_cmp_eq_u32_e32 vcc_lo, 0, v5
	v_cndmask_b32_e32 v5, v6, v69, vcc_lo
; %bb.98:
	s_or_b32 exec_lo, exec_lo, s4
	v_and_b32_e32 v6, 0x7f800000, v70
	s_delay_alu instid0(VALU_DEP_1) | instskip(SKIP_1) | instid1(SALU_CYCLE_1)
	v_cmp_ne_u32_e32 vcc_lo, 0x7f800000, v6
                                        ; implicit-def: $vgpr6
	s_and_saveexec_b32 s4, vcc_lo
	s_xor_b32 s4, exec_lo, s4
; %bb.99:
	v_bfe_u32 v6, v70, 16, 1
	s_delay_alu instid0(VALU_DEP_1)
	v_add3_u32 v6, v70, v6, 0x7fff
; %bb.100:
	s_and_not1_saveexec_b32 s4, s4
; %bb.101:
	v_and_b32_e32 v6, 0xffff, v70
	v_or_b32_e32 v7, 0x10000, v70
	s_delay_alu instid0(VALU_DEP_2) | instskip(NEXT) | instid1(VALU_DEP_2)
	v_cmp_eq_u32_e32 vcc_lo, 0, v6
	v_cndmask_b32_e32 v6, v7, v70, vcc_lo
; %bb.102:
	s_or_b32 exec_lo, exec_lo, s4
	v_and_b32_e32 v7, 0x7f800000, v71
	s_delay_alu instid0(VALU_DEP_1) | instskip(SKIP_1) | instid1(SALU_CYCLE_1)
	v_cmp_ne_u32_e32 vcc_lo, 0x7f800000, v7
                                        ; implicit-def: $vgpr7
	s_and_saveexec_b32 s4, vcc_lo
	s_xor_b32 s4, exec_lo, s4
; %bb.103:
	v_bfe_u32 v7, v71, 16, 1
	s_delay_alu instid0(VALU_DEP_1)
	v_add3_u32 v7, v71, v7, 0x7fff
; %bb.104:
	s_and_not1_saveexec_b32 s4, s4
; %bb.105:
	v_and_b32_e32 v7, 0xffff, v71
	v_or_b32_e32 v8, 0x10000, v71
	s_delay_alu instid0(VALU_DEP_2) | instskip(NEXT) | instid1(VALU_DEP_2)
	v_cmp_eq_u32_e32 vcc_lo, 0, v7
	v_cndmask_b32_e32 v7, v8, v71, vcc_lo
; %bb.106:
	s_or_b32 exec_lo, exec_lo, s4
	v_and_b32_e32 v8, 0x7f800000, v72
	s_delay_alu instid0(VALU_DEP_1) | instskip(SKIP_1) | instid1(SALU_CYCLE_1)
	v_cmp_ne_u32_e32 vcc_lo, 0x7f800000, v8
                                        ; implicit-def: $vgpr8
	s_and_saveexec_b32 s4, vcc_lo
	s_xor_b32 s4, exec_lo, s4
; %bb.107:
	v_bfe_u32 v8, v72, 16, 1
	s_delay_alu instid0(VALU_DEP_1)
	v_add3_u32 v8, v72, v8, 0x7fff
                                        ; implicit-def: $vgpr65_vgpr66_vgpr67_vgpr68_vgpr69_vgpr70_vgpr71_vgpr72
; %bb.108:
	s_and_not1_saveexec_b32 s4, s4
; %bb.109:
	v_and_b32_e32 v8, 0xffff, v72
	v_or_b32_e32 v9, 0x10000, v72
	s_delay_alu instid0(VALU_DEP_2) | instskip(NEXT) | instid1(VALU_DEP_2)
	v_cmp_eq_u32_e32 vcc_lo, 0, v8
	v_cndmask_b32_e32 v8, v9, v72, vcc_lo
; %bb.110:
	s_or_b32 exec_lo, exec_lo, s4
	s_delay_alu instid0(VALU_DEP_1)
	v_perm_b32 v7, v8, v7, 0x7060302
	v_perm_b32 v6, v6, v5, 0x7060302
	v_perm_b32 v5, v4, v3, 0x7060302
	v_perm_b32 v4, v2, v1, 0x7060302
	s_barrier
	buffer_gl0_inv
	v_cmp_eq_u32_e32 vcc_lo, 1, v78
	ds_store_b128 v76, v[4:7]
	s_waitcnt lgkmcnt(0)
	s_barrier
	buffer_gl0_inv
	ds_load_b128 v[1:4], v82
	ds_load_b128 v[5:8], v82 offset:16
	v_cmp_eq_u32_e64 s4, 1, v79
	v_cmp_eq_u32_e64 s5, 2, v78
	;; [unrolled: 1-line block ×5, first 2 shown]
	s_waitcnt lgkmcnt(1)
	v_lshrrev_b32_e32 v9, 16, v1
	s_waitcnt lgkmcnt(0)
	v_lshrrev_b32_e32 v13, 16, v5
	v_lshrrev_b32_e32 v10, 16, v2
	;; [unrolled: 1-line block ×4, first 2 shown]
	v_cndmask_b32_e64 v19, v1, v9, s4
	v_cndmask_b32_e32 v18, v5, v13, vcc_lo
	v_cndmask_b32_e64 v20, v5, v13, s4
	v_cndmask_b32_e32 v17, v1, v9, vcc_lo
	v_cmp_eq_u32_e32 vcc_lo, 2, v79
	v_lshrrev_b32_e32 v15, 16, v7
	v_cmp_eq_u32_e64 s4, 1, v77
	v_lshrrev_b32_e32 v12, 16, v4
	v_lshrrev_b32_e32 v16, 16, v8
	v_cndmask_b32_e32 v20, v20, v6, vcc_lo
	v_cndmask_b32_e64 v17, v17, v2, s5
	v_cndmask_b32_e32 v19, v19, v2, vcc_lo
	v_cndmask_b32_e64 v18, v18, v6, s5
	v_cmp_eq_u32_e32 vcc_lo, 4, v78
	v_cmp_eq_u32_e64 s5, 3, v79
	v_cndmask_b32_e64 v17, v17, v10, s6
	v_cndmask_b32_e64 v21, v1, v9, s4
	;; [unrolled: 1-line block ×5, first 2 shown]
	v_cndmask_b32_e32 v17, v17, v3, vcc_lo
	v_cndmask_b32_e64 v20, v20, v14, s5
	v_cndmask_b32_e32 v18, v18, v7, vcc_lo
	v_cmp_eq_u32_e32 vcc_lo, 4, v79
	v_cmp_eq_u32_e64 s5, 5, v79
	v_cmp_eq_u32_e64 s4, 2, v81
	v_cndmask_b32_e64 v21, v21, v2, s8
	v_cmp_eq_u32_e64 s6, 5, v78
	v_cndmask_b32_e32 v19, v19, v3, vcc_lo
	v_cndmask_b32_e32 v20, v20, v7, vcc_lo
	v_cmp_eq_u32_e32 vcc_lo, 6, v79
	s_delay_alu instid0(VALU_DEP_4) | instskip(NEXT) | instid1(VALU_DEP_4)
	v_cndmask_b32_e64 v17, v17, v11, s6
	v_cndmask_b32_e64 v19, v19, v11, s5
	s_delay_alu instid0(VALU_DEP_4) | instskip(SKIP_1) | instid1(VALU_DEP_3)
	v_cndmask_b32_e64 v20, v20, v15, s5
	v_cmp_eq_u32_e64 s5, 1, v81
	v_cndmask_b32_e32 v19, v19, v4, vcc_lo
	v_cndmask_b32_e64 v18, v18, v15, s6
	s_delay_alu instid0(VALU_DEP_3)
	v_cndmask_b32_e64 v1, v1, v9, s5
	v_cndmask_b32_e64 v5, v5, v13, s5
	v_cmp_eq_u32_e64 s5, 3, v77
	v_cndmask_b32_e64 v13, v22, v6, s8
	v_cmp_eq_u32_e64 s8, 3, v81
	v_cndmask_b32_e64 v1, v1, v2, s4
	v_cndmask_b32_e64 v2, v5, v6, s4
	;; [unrolled: 1-line block ×3, first 2 shown]
	v_cmp_eq_u32_e64 s4, 4, v77
	v_cndmask_b32_e64 v6, v13, v14, s5
	v_cndmask_b32_e64 v1, v1, v10, s8
	v_cmp_eq_u32_e64 s5, 4, v81
	v_cndmask_b32_e64 v2, v2, v14, s8
	v_cndmask_b32_e64 v5, v9, v3, s4
	;; [unrolled: 3-line block ×3, first 2 shown]
	v_cndmask_b32_e64 v2, v2, v7, s5
	v_cmp_eq_u32_e64 s4, 5, v81
	v_cmp_eq_u32_e64 s6, 6, v78
	v_cndmask_b32_e64 v5, v5, v11, s8
	v_cmp_eq_u32_e64 s5, 6, v77
	v_cndmask_b32_e64 v3, v6, v15, s8
	v_cndmask_b32_e64 v1, v1, v11, s4
	v_cmp_eq_u32_e64 s8, 6, v81
	v_cndmask_b32_e64 v2, v2, v15, s4
	v_cndmask_b32_e64 v17, v17, v4, s6
	v_cndmask_b32_e64 v18, v18, v8, s6
	v_cmp_eq_u32_e64 s6, 7, v78
	v_cndmask_b32_e64 v5, v5, v4, s5
	;; [unrolled: 4-line block ×3, first 2 shown]
	v_cmp_eq_u32_e64 s5, 7, v77
	v_cndmask_b32_e32 v4, v20, v8, vcc_lo
	v_cndmask_b32_e64 v17, v17, v12, s6
	v_cndmask_b32_e64 v19, v19, v12, s7
	;; [unrolled: 1-line block ×8, first 2 shown]
	v_cmp_gt_u32_e32 vcc_lo, 32, v0
	v_perm_b32 v4, v2, v1, 0x5040100
	v_perm_b32 v3, v3, v5, 0x5040100
	;; [unrolled: 1-line block ×4, first 2 shown]
	s_and_b32 s2, vcc_lo, s2
	ds_store_b128 v76, v[1:4]
	s_waitcnt lgkmcnt(0)
	s_barrier
	buffer_gl0_inv
	s_and_saveexec_b32 s4, s2
	s_cbranch_execz .LBB1450_2
; %bb.111:
	s_load_b64 s[4:5], s[0:1], 0x68
	v_lshlrev_b32_e32 v0, 10, v0
	v_add_nc_u32_e32 v2, s31, v74
	v_lshlrev_b32_e32 v3, 4, v75
	s_lshl_b32 s0, s36, 6
	s_delay_alu instid0(SALU_CYCLE_1) | instskip(NEXT) | instid1(VALU_DEP_2)
	s_mul_i32 s1, s0, s34
	v_mul_lo_u32 v1, v2, s0
	s_delay_alu instid0(VALU_DEP_2) | instskip(SKIP_2) | instid1(SALU_CYCLE_1)
	v_and_or_b32 v0, 0x3800, v0, v3
	v_add_nc_u32_e32 v2, 2, v2
	s_mul_i32 s6, s1, s9
	s_ashr_i32 s7, s6, 31
	s_delay_alu instid0(VALU_DEP_2)
	v_lshl_or_b32 v7, v74, 6, v0
	s_lshl_b64 s[6:7], s[6:7], 1
	v_mul_lo_u32 v11, v2, s0
	v_ashrrev_i32_e32 v2, 31, v1
	ds_load_b128 v[3:6], v7
	ds_load_b128 v[7:10], v7 offset:128
	s_waitcnt lgkmcnt(0)
	s_add_u32 s1, s4, s6
	s_addc_u32 s2, s5, s7
	s_lshl_b32 s4, s14, 6
	v_ashrrev_i32_e32 v12, 31, v11
	s_ashr_i32 s5, s4, 31
	v_lshlrev_b64 v[13:14], 1, v[1:2]
	s_lshl_b64 s[4:5], s[4:5], 1
	s_delay_alu instid0(SALU_CYCLE_1) | instskip(SKIP_2) | instid1(VALU_DEP_1)
	s_add_u32 s1, s1, s4
	s_addc_u32 s2, s2, s5
	v_add_co_u32 v1, s1, s1, v73
	v_add_co_ci_u32_e64 v2, null, s2, 0, s1
	v_lshlrev_b64 v[11:12], 1, v[11:12]
	s_delay_alu instid0(VALU_DEP_3) | instskip(NEXT) | instid1(VALU_DEP_3)
	v_add_co_u32 v13, vcc_lo, v1, v13
	v_add_co_ci_u32_e32 v14, vcc_lo, v2, v14, vcc_lo
	s_delay_alu instid0(VALU_DEP_3) | instskip(NEXT) | instid1(VALU_DEP_4)
	v_add_co_u32 v11, vcc_lo, v1, v11
	v_add_co_ci_u32_e32 v12, vcc_lo, v2, v12, vcc_lo
	s_clause 0x1
	global_store_b128 v[13:14], v[3:6], off
	global_store_b128 v[11:12], v[7:10], off
	s_and_b32 exec_lo, exec_lo, s3
	s_cbranch_execz .LBB1450_2
; %bb.112:
	ds_load_b128 v[3:6], v0 offset:256
	s_add_i32 s1, s31, 4
	s_delay_alu instid0(SALU_CYCLE_1) | instskip(NEXT) | instid1(SALU_CYCLE_1)
	s_mul_i32 s0, s1, s0
	s_ashr_i32 s1, s0, 31
	s_delay_alu instid0(SALU_CYCLE_1) | instskip(NEXT) | instid1(SALU_CYCLE_1)
	s_lshl_b64 s[0:1], s[0:1], 1
	v_add_co_u32 v0, vcc_lo, v1, s0
	v_add_co_ci_u32_e32 v1, vcc_lo, s1, v2, vcc_lo
	s_waitcnt lgkmcnt(0)
	global_store_b128 v[0:1], v[3:6], off
	s_nop 0
	s_sendmsg sendmsg(MSG_DEALLOC_VGPRS)
	s_endpgm
	.section	.rodata,"a",@progbits
	.p2align	6, 0x0
	.amdhsa_kernel _Z39paged_attention_ll4mi_QKV_mfma16_kernelI14__hip_bfloat16hLN4vllm18Fp8KVCacheDataTypeE1EhLi32ELi64ELi256ELb0ELi5EL8MFMAType1EEvPKT_PKT0_S9_ifPKiSB_SB_iPKfiiiPfSE_PS4_PT2_iSD_SD_
		.amdhsa_group_segment_fixed_size 17472
		.amdhsa_private_segment_fixed_size 0
		.amdhsa_kernarg_size 400
		.amdhsa_user_sgpr_count 13
		.amdhsa_user_sgpr_dispatch_ptr 0
		.amdhsa_user_sgpr_queue_ptr 0
		.amdhsa_user_sgpr_kernarg_segment_ptr 1
		.amdhsa_user_sgpr_dispatch_id 0
		.amdhsa_user_sgpr_private_segment_size 0
		.amdhsa_wavefront_size32 1
		.amdhsa_uses_dynamic_stack 0
		.amdhsa_enable_private_segment 0
		.amdhsa_system_sgpr_workgroup_id_x 1
		.amdhsa_system_sgpr_workgroup_id_y 1
		.amdhsa_system_sgpr_workgroup_id_z 1
		.amdhsa_system_sgpr_workgroup_info 0
		.amdhsa_system_vgpr_workitem_id 0
		.amdhsa_next_free_vgpr 124
		.amdhsa_next_free_sgpr 42
		.amdhsa_reserve_vcc 1
		.amdhsa_float_round_mode_32 0
		.amdhsa_float_round_mode_16_64 0
		.amdhsa_float_denorm_mode_32 3
		.amdhsa_float_denorm_mode_16_64 3
		.amdhsa_dx10_clamp 1
		.amdhsa_ieee_mode 1
		.amdhsa_fp16_overflow 0
		.amdhsa_workgroup_processor_mode 1
		.amdhsa_memory_ordered 1
		.amdhsa_forward_progress 0
		.amdhsa_shared_vgpr_count 0
		.amdhsa_exception_fp_ieee_invalid_op 0
		.amdhsa_exception_fp_denorm_src 0
		.amdhsa_exception_fp_ieee_div_zero 0
		.amdhsa_exception_fp_ieee_overflow 0
		.amdhsa_exception_fp_ieee_underflow 0
		.amdhsa_exception_fp_ieee_inexact 0
		.amdhsa_exception_int_div_zero 0
	.end_amdhsa_kernel
	.section	.text._Z39paged_attention_ll4mi_QKV_mfma16_kernelI14__hip_bfloat16hLN4vllm18Fp8KVCacheDataTypeE1EhLi32ELi64ELi256ELb0ELi5EL8MFMAType1EEvPKT_PKT0_S9_ifPKiSB_SB_iPKfiiiPfSE_PS4_PT2_iSD_SD_,"axG",@progbits,_Z39paged_attention_ll4mi_QKV_mfma16_kernelI14__hip_bfloat16hLN4vllm18Fp8KVCacheDataTypeE1EhLi32ELi64ELi256ELb0ELi5EL8MFMAType1EEvPKT_PKT0_S9_ifPKiSB_SB_iPKfiiiPfSE_PS4_PT2_iSD_SD_,comdat
.Lfunc_end1450:
	.size	_Z39paged_attention_ll4mi_QKV_mfma16_kernelI14__hip_bfloat16hLN4vllm18Fp8KVCacheDataTypeE1EhLi32ELi64ELi256ELb0ELi5EL8MFMAType1EEvPKT_PKT0_S9_ifPKiSB_SB_iPKfiiiPfSE_PS4_PT2_iSD_SD_, .Lfunc_end1450-_Z39paged_attention_ll4mi_QKV_mfma16_kernelI14__hip_bfloat16hLN4vllm18Fp8KVCacheDataTypeE1EhLi32ELi64ELi256ELb0ELi5EL8MFMAType1EEvPKT_PKT0_S9_ifPKiSB_SB_iPKfiiiPfSE_PS4_PT2_iSD_SD_
                                        ; -- End function
	.section	.AMDGPU.csdata,"",@progbits
; Kernel info:
; codeLenInByte = 8780
; NumSgprs: 44
; NumVgprs: 124
; ScratchSize: 0
; MemoryBound: 0
; FloatMode: 240
; IeeeMode: 1
; LDSByteSize: 17472 bytes/workgroup (compile time only)
; SGPRBlocks: 5
; VGPRBlocks: 15
; NumSGPRsForWavesPerEU: 44
; NumVGPRsForWavesPerEU: 124
; Occupancy: 10
; WaveLimiterHint : 1
; COMPUTE_PGM_RSRC2:SCRATCH_EN: 0
; COMPUTE_PGM_RSRC2:USER_SGPR: 13
; COMPUTE_PGM_RSRC2:TRAP_HANDLER: 0
; COMPUTE_PGM_RSRC2:TGID_X_EN: 1
; COMPUTE_PGM_RSRC2:TGID_Y_EN: 1
; COMPUTE_PGM_RSRC2:TGID_Z_EN: 1
; COMPUTE_PGM_RSRC2:TIDIG_COMP_CNT: 0
	.section	.text._Z39paged_attention_ll4mi_QKV_mfma16_kernelI14__hip_bfloat16hLN4vllm18Fp8KVCacheDataTypeE1EhLi32ELi64ELi256ELb0ELi6EL8MFMAType1EEvPKT_PKT0_S9_ifPKiSB_SB_iPKfiiiPfSE_PS4_PT2_iSD_SD_,"axG",@progbits,_Z39paged_attention_ll4mi_QKV_mfma16_kernelI14__hip_bfloat16hLN4vllm18Fp8KVCacheDataTypeE1EhLi32ELi64ELi256ELb0ELi6EL8MFMAType1EEvPKT_PKT0_S9_ifPKiSB_SB_iPKfiiiPfSE_PS4_PT2_iSD_SD_,comdat
	.protected	_Z39paged_attention_ll4mi_QKV_mfma16_kernelI14__hip_bfloat16hLN4vllm18Fp8KVCacheDataTypeE1EhLi32ELi64ELi256ELb0ELi6EL8MFMAType1EEvPKT_PKT0_S9_ifPKiSB_SB_iPKfiiiPfSE_PS4_PT2_iSD_SD_ ; -- Begin function _Z39paged_attention_ll4mi_QKV_mfma16_kernelI14__hip_bfloat16hLN4vllm18Fp8KVCacheDataTypeE1EhLi32ELi64ELi256ELb0ELi6EL8MFMAType1EEvPKT_PKT0_S9_ifPKiSB_SB_iPKfiiiPfSE_PS4_PT2_iSD_SD_
	.globl	_Z39paged_attention_ll4mi_QKV_mfma16_kernelI14__hip_bfloat16hLN4vllm18Fp8KVCacheDataTypeE1EhLi32ELi64ELi256ELb0ELi6EL8MFMAType1EEvPKT_PKT0_S9_ifPKiSB_SB_iPKfiiiPfSE_PS4_PT2_iSD_SD_
	.p2align	8
	.type	_Z39paged_attention_ll4mi_QKV_mfma16_kernelI14__hip_bfloat16hLN4vllm18Fp8KVCacheDataTypeE1EhLi32ELi64ELi256ELb0ELi6EL8MFMAType1EEvPKT_PKT0_S9_ifPKiSB_SB_iPKfiiiPfSE_PS4_PT2_iSD_SD_,@function
_Z39paged_attention_ll4mi_QKV_mfma16_kernelI14__hip_bfloat16hLN4vllm18Fp8KVCacheDataTypeE1EhLi32ELi64ELi256ELb0ELi6EL8MFMAType1EEvPKT_PKT0_S9_ifPKiSB_SB_iPKfiiiPfSE_PS4_PT2_iSD_SD_: ; @_Z39paged_attention_ll4mi_QKV_mfma16_kernelI14__hip_bfloat16hLN4vllm18Fp8KVCacheDataTypeE1EhLi32ELi64ELi256ELb0ELi6EL8MFMAType1EEvPKT_PKT0_S9_ifPKiSB_SB_iPKfiiiPfSE_PS4_PT2_iSD_SD_
; %bb.0:
	s_load_b64 s[2:3], s[0:1], 0x30
	s_mov_b32 s30, s13
	s_waitcnt lgkmcnt(0)
	s_cmp_lg_u64 s[2:3], 0
	s_cselect_b32 s8, -1, 0
	s_ashr_i32 s31, s13, 31
	s_cmp_eq_u64 s[2:3], 0
	s_cbranch_scc1 .LBB1451_3
; %bb.1:
	s_lshl_b64 s[4:5], s[30:31], 2
	s_delay_alu instid0(SALU_CYCLE_1) | instskip(SKIP_4) | instid1(SALU_CYCLE_1)
	s_add_u32 s4, s2, s4
	s_addc_u32 s5, s3, s5
	s_load_b64 s[4:5], s[4:5], 0x0
	s_waitcnt lgkmcnt(0)
	s_sub_i32 s4, s5, s4
	s_cmp_eq_u32 s4, 1
	s_cselect_b32 s4, -1, 0
	s_delay_alu instid0(SALU_CYCLE_1)
	s_and_not1_b32 vcc_lo, exec_lo, s4
	s_cbranch_vccz .LBB1451_4
.LBB1451_2:
	s_endpgm
.LBB1451_3:
.LBB1451_4:
	s_load_b64 s[4:5], s[0:1], 0x28
	s_lshl_b64 s[6:7], s[30:31], 2
	s_waitcnt lgkmcnt(0)
	s_add_u32 s4, s4, s6
	s_addc_u32 s5, s5, s7
	s_lshl_b32 s12, s14, 8
	s_load_b32 s24, s[4:5], 0x0
	s_waitcnt lgkmcnt(0)
	s_cmp_ge_i32 s12, s24
	s_cbranch_scc1 .LBB1451_2
; %bb.5:
	s_clause 0x1
	s_load_b128 s[20:23], s[0:1], 0x8
	s_load_b64 s[4:5], s[0:1], 0x20
	s_and_not1_b32 vcc_lo, exec_lo, s8
	s_cbranch_vccnz .LBB1451_7
; %bb.6:
	s_add_u32 s2, s2, s6
	s_addc_u32 s3, s3, s7
	s_load_b32 s3, s[2:3], 0x0
	s_branch .LBB1451_8
.LBB1451_7:
	s_mov_b32 s3, s30
.LBB1451_8:
	s_load_b128 s[16:19], s[0:1], 0x48
	v_and_b32_e32 v65, 15, v0
	v_cmp_gt_u32_e32 vcc_lo, 0x60, v0
	v_lshrrev_b32_e32 v66, 5, v0
	v_and_b32_e32 v67, 31, v0
	v_and_b32_e32 v75, 1, v0
	v_lshlrev_b32_e32 v1, 3, v65
	v_cmp_gt_u32_e64 s2, 8, v65
	v_bfe_u32 v74, v0, 4, 1
	s_mul_i32 s31, s15, 6
	s_delay_alu instid0(VALU_DEP_3) | instskip(NEXT) | instid1(VALU_DEP_3)
	v_lshlrev_b32_e32 v73, 1, v1
	s_and_b32 s7, vcc_lo, s2
	s_delay_alu instid0(SALU_CYCLE_1)
	s_and_saveexec_b32 s6, s7
	s_cbranch_execz .LBB1451_10
; %bb.9:
	s_load_b64 s[8:9], s[0:1], 0x0
	v_lshl_or_b32 v5, v66, 1, v74
	s_waitcnt lgkmcnt(0)
	s_mul_hi_i32 s11, s3, s16
	s_mul_i32 s10, s3, s16
	v_lshlrev_b32_e32 v6, 10, v65
	s_lshl_b64 s[10:11], s[10:11], 1
	v_add_lshl_u32 v1, v5, s31, 6
	v_lshlrev_b32_e32 v5, 6, v5
	v_lshlrev_b32_e32 v7, 10, v75
	v_and_b32_e32 v6, 0x3800, v6
	s_delay_alu instid0(VALU_DEP_4) | instskip(NEXT) | instid1(VALU_DEP_2)
	v_ashrrev_i32_e32 v2, 31, v1
	v_or3_b32 v5, v6, v7, v5
	s_delay_alu instid0(VALU_DEP_2) | instskip(SKIP_2) | instid1(VALU_DEP_1)
	v_lshlrev_b64 v[1:2], 1, v[1:2]
	s_add_u32 s3, s8, s10
	s_addc_u32 s7, s9, s11
	v_add_co_u32 v1, vcc_lo, s3, v1
	s_delay_alu instid0(VALU_DEP_2) | instskip(NEXT) | instid1(VALU_DEP_2)
	v_add_co_ci_u32_e32 v2, vcc_lo, s7, v2, vcc_lo
	v_add_co_u32 v1, vcc_lo, v1, v73
	s_delay_alu instid0(VALU_DEP_2)
	v_add_co_ci_u32_e32 v2, vcc_lo, 0, v2, vcc_lo
	global_load_b128 v[1:4], v[1:2], off
	s_waitcnt vmcnt(0)
	ds_store_b128 v5, v[1:4]
.LBB1451_10:
	s_or_b32 exec_lo, exec_lo, s6
	v_and_b32_e32 v1, 0xef, v0
	s_waitcnt lgkmcnt(0)
	s_add_i32 s3, s24, 31
	s_clause 0x1
	s_load_b32 s6, s[0:1], 0x38
	s_load_b32 s19, s[0:1], 0x1c
	s_ashr_i32 s7, s3, 31
	v_add_nc_u32_e32 v1, s12, v1
	s_lshr_b32 s7, s7, 27
	s_waitcnt lgkmcnt(0)
	s_add_i32 s3, s3, s7
	s_barrier
	v_ashrrev_i32_e32 v2, 31, v1
	v_or_b32_e32 v3, 16, v1
	s_ashr_i32 s3, s3, 5
	v_cmp_gt_i32_e32 vcc_lo, s24, v1
	s_add_i32 s3, s3, -1
	v_lshrrev_b32_e32 v2, 27, v2
	buffer_gl0_inv
	s_mul_i32 s27, s15, s18
	v_add_nc_u32_e32 v4, v1, v2
	s_mul_i32 s6, s30, s6
	s_delay_alu instid0(SALU_CYCLE_1) | instskip(NEXT) | instid1(VALU_DEP_1)
	s_ashr_i32 s7, s6, 31
	v_ashrrev_i32_e32 v4, 5, v4
	v_add_nc_u32_e32 v2, v3, v2
	s_lshl_b64 s[6:7], s[6:7], 2
	s_delay_alu instid0(SALU_CYCLE_1) | instskip(NEXT) | instid1(VALU_DEP_2)
	s_add_u32 s26, s4, s6
	v_cndmask_b32_e32 v1, s3, v4, vcc_lo
	s_delay_alu instid0(VALU_DEP_2)
	v_ashrrev_i32_e32 v2, 5, v2
	v_cmp_gt_i32_e32 vcc_lo, s24, v3
	s_addc_u32 s25, s5, s7
	s_ashr_i32 s28, s27, 31
	s_add_u32 s4, s20, s27
	s_addc_u32 s5, s21, s28
	v_cndmask_b32_e32 v3, s3, v2, vcc_lo
	v_ashrrev_i32_e32 v2, 31, v1
	s_lshl_b32 s6, s14, 3
	s_delay_alu instid0(SALU_CYCLE_1) | instskip(NEXT) | instid1(VALU_DEP_2)
	s_ashr_i32 s7, s6, 31
	v_ashrrev_i32_e32 v4, 31, v3
	s_delay_alu instid0(VALU_DEP_2) | instskip(SKIP_1) | instid1(SALU_CYCLE_1)
	v_lshlrev_b64 v[1:2], 2, v[1:2]
	s_lshl_b64 s[6:7], s[6:7], 2
	s_add_u32 s6, s26, s6
	s_delay_alu instid0(VALU_DEP_2) | instskip(SKIP_1) | instid1(VALU_DEP_2)
	v_lshlrev_b64 v[3:4], 2, v[3:4]
	s_addc_u32 s7, s25, s7
	v_add_co_u32 v1, vcc_lo, s26, v1
	v_add_co_ci_u32_e32 v2, vcc_lo, s25, v2, vcc_lo
	s_delay_alu instid0(VALU_DEP_3) | instskip(NEXT) | instid1(VALU_DEP_4)
	v_add_co_u32 v3, vcc_lo, s26, v3
	v_add_co_ci_u32_e32 v4, vcc_lo, s25, v4, vcc_lo
	s_clause 0x1
	global_load_b32 v5, v[1:2], off
	global_load_b32 v6, v[3:4], off
	s_or_b32 s8, s12, 32
	s_delay_alu instid0(SALU_CYCLE_1) | instskip(SKIP_2) | instid1(SALU_CYCLE_1)
	s_ashr_i32 s9, s8, 5
	s_cmp_lt_i32 s8, s24
	s_cselect_b32 s8, s9, s3
	s_ashr_i32 s9, s8, 31
	s_delay_alu instid0(SALU_CYCLE_1) | instskip(NEXT) | instid1(SALU_CYCLE_1)
	s_lshl_b64 s[8:9], s[8:9], 2
	s_add_u32 s8, s26, s8
	s_addc_u32 s9, s25, s9
	s_or_b32 s10, s12, 64
	s_delay_alu instid0(SALU_CYCLE_1) | instskip(SKIP_2) | instid1(SALU_CYCLE_1)
	s_ashr_i32 s11, s10, 5
	s_cmp_lt_i32 s10, s24
	s_cselect_b32 s10, s11, s3
	s_ashr_i32 s11, s10, 31
	s_delay_alu instid0(SALU_CYCLE_1) | instskip(NEXT) | instid1(SALU_CYCLE_1)
	s_lshl_b64 s[10:11], s[10:11], 2
	s_add_u32 s10, s26, s10
	s_addc_u32 s11, s25, s11
	;; [unrolled: 10-line block ×5, first 2 shown]
	s_clause 0x5
	s_load_b32 s21, s[6:7], 0x0
	s_load_b32 s13, s[8:9], 0x0
	;; [unrolled: 1-line block ×6, first 2 shown]
	s_or_b32 s9, s12, 0xc0
	s_delay_alu instid0(SALU_CYCLE_1) | instskip(SKIP_2) | instid1(SALU_CYCLE_1)
	s_ashr_i32 s10, s9, 5
	s_cmp_lt_i32 s9, s24
	s_cselect_b32 s34, s10, s3
	s_ashr_i32 s35, s34, 31
	s_delay_alu instid0(SALU_CYCLE_1) | instskip(NEXT) | instid1(SALU_CYCLE_1)
	s_lshl_b64 s[34:35], s[34:35], 2
	s_add_u32 s34, s26, s34
	s_addc_u32 s35, s25, s35
	s_or_b32 s29, s12, 0xe0
	s_delay_alu instid0(SALU_CYCLE_1)
	s_ashr_i32 s33, s29, 5
	s_cmp_lt_i32 s29, s24
	s_waitcnt vmcnt(1)
	v_mad_i64_i32 v[1:2], null, v5, s17, s[4:5]
	s_waitcnt vmcnt(0)
	v_mad_i64_i32 v[3:4], null, v6, s17, s[4:5]
	s_mov_b32 s4, 0
	s_delay_alu instid0(SALU_CYCLE_1)
	s_mov_b32 s5, s4
	s_mov_b32 s6, s4
	;; [unrolled: 1-line block ×7, first 2 shown]
	v_lshlrev_b32_e32 v5, 4, v65
	v_dual_mov_b32 v107, s11 :: v_dual_mov_b32 v102, s6
	v_mov_b32_e32 v106, s10
	v_mov_b32_e32 v104, s8
	s_delay_alu instid0(VALU_DEP_4)
	v_add_co_u32 v1, vcc_lo, v1, v5
	v_add_co_ci_u32_e32 v2, vcc_lo, 0, v2, vcc_lo
	v_add_co_u32 v3, vcc_lo, v3, v5
	v_add_co_ci_u32_e32 v4, vcc_lo, 0, v4, vcc_lo
	s_clause 0x7
	global_load_b128 v[49:52], v[1:2], off
	global_load_b128 v[53:56], v[1:2], off offset:512
	global_load_b128 v[76:79], v[3:4], off offset:256
	;; [unrolled: 1-line block ×7, first 2 shown]
	v_mul_lo_u16 v1, v65, 43
	v_mov_b32_e32 v103, s7
	v_dual_mov_b32 v101, s5 :: v_dual_lshlrev_b32 v2, 5, v65
	v_mov_b32_e32 v100, s4
	s_delay_alu instid0(VALU_DEP_4) | instskip(NEXT) | instid1(VALU_DEP_3)
	v_lshrrev_b16 v1, 8, v1
	v_lshl_or_b32 v2, v66, 9, v2
	s_delay_alu instid0(VALU_DEP_2) | instskip(NEXT) | instid1(VALU_DEP_1)
	v_mul_lo_u16 v1, v1, 6
	v_sub_nc_u16 v1, v65, v1
	s_delay_alu instid0(VALU_DEP_1)
	v_and_b32_e32 v1, 0xff, v1
	v_mov_b32_e32 v105, s9
	s_cselect_b32 s4, s33, s3
	s_load_b32 s3, s[34:35], 0x0
	s_ashr_i32 s5, s4, 31
	v_lshlrev_b32_e32 v70, 6, v1
	s_lshl_b64 s[4:5], s[4:5], 2
	ds_load_b128 v[108:111], v70
	ds_load_b128 v[112:115], v70 offset:1024
	s_add_u32 s4, s26, s4
	s_addc_u32 s5, s25, s5
	s_add_u32 s6, s22, s27
	s_load_b32 s4, s[4:5], 0x0
	s_addc_u32 s7, s23, s28
	v_add_co_u32 v9, s6, s6, v2
	s_delay_alu instid0(VALU_DEP_1) | instskip(SKIP_1) | instid1(VALU_DEP_1)
	v_add_co_ci_u32_e64 v10, null, s7, 0, s6
	s_waitcnt lgkmcnt(0)
	v_mad_i64_i32 v[1:2], null, s21, s17, v[9:10]
	v_mad_i64_i32 v[3:4], null, s13, s17, v[9:10]
	;; [unrolled: 1-line block ×7, first 2 shown]
	s_clause 0x9
	global_load_b128 v[57:60], v[1:2], off
	global_load_b128 v[61:64], v[1:2], off offset:16
	global_load_b128 v[41:44], v[3:4], off
	global_load_b128 v[45:48], v[3:4], off offset:16
	;; [unrolled: 2-line block ×5, first 2 shown]
	v_mad_i64_i32 v[68:69], null, s4, s17, v[9:10]
	s_clause 0x3
	global_load_b128 v[9:12], v[13:14], off
	global_load_b128 v[13:16], v[13:14], off offset:16
	global_load_b128 v[17:20], v[21:22], off
	global_load_b128 v[21:24], v[21:22], off offset:16
	s_waitcnt vmcnt(20)
	v_wmma_f32_16x16x16_bf16 v[116:123], v[49:56], v[108:115], v[100:107]
	s_clause 0x1
	global_load_b128 v[49:52], v[68:69], off
	global_load_b128 v[53:56], v[68:69], off offset:16
	v_and_b32_e32 v68, 0xe0, v0
	v_mbcnt_lo_u32_b32 v69, -1, 0
	s_delay_alu instid0(VALU_DEP_2)
	v_add_nc_u32_e32 v68, s12, v68
	s_waitcnt vmcnt(20)
	v_wmma_f32_16x16x16_bf16 v[100:107], v[76:83], v[108:115], v[100:107]
	ds_load_b128 v[76:79], v70 offset:2048
	ds_load_b128 v[80:83], v70 offset:3072
	v_xor_b32_e32 v70, 16, v69
	s_waitcnt vmcnt(0) lgkmcnt(0)
	v_or_b32_e32 v68, v68, v74
	s_barrier
	buffer_gl0_inv
	v_cmp_gt_i32_e32 vcc_lo, 32, v70
	v_or_b32_e32 v71, 4, v68
	v_or_b32_e32 v72, 6, v68
	v_cmp_gt_i32_e64 s3, s24, v68
	v_or_b32_e32 v108, 8, v68
	v_or_b32_e32 v109, 10, v68
	v_cmp_gt_i32_e64 s4, s24, v71
	v_cmp_gt_i32_e64 s5, s24, v72
	s_delay_alu instid0(VALU_DEP_4) | instskip(NEXT) | instid1(VALU_DEP_4)
	v_cmp_gt_i32_e64 s6, s24, v108
	v_cmp_gt_i32_e64 s7, s24, v109
	v_wmma_f32_16x16x16_bf16 v[116:123], v[84:91], v[76:83], v[116:123]
	v_cndmask_b32_e32 v69, v69, v70, vcc_lo
	v_or_b32_e32 v70, 2, v68
	v_wmma_f32_16x16x16_bf16 v[100:107], v[92:99], v[76:83], v[100:107]
	v_or_b32_e32 v84, 12, v68
	v_dual_mul_f32 v78, s19, v123 :: v_dual_mul_f32 v83, s19, v118
	v_dual_mul_f32 v92, s19, v117 :: v_dual_mul_f32 v93, s19, v116
	s_delay_alu instid0(VALU_DEP_4) | instskip(SKIP_2) | instid1(VALU_DEP_4)
	v_mul_f32_e32 v94, s19, v107
	v_cmp_gt_i32_e32 vcc_lo, s24, v70
	v_dual_mul_f32 v81, s19, v120 :: v_dual_mul_f32 v82, s19, v119
	v_cndmask_b32_e64 v93, 0xff7fffff, v93, s3
	v_or_b32_e32 v85, 14, v68
	v_cndmask_b32_e32 v92, 0xff7fffff, v92, vcc_lo
	v_dual_mul_f32 v79, s19, v122 :: v_dual_mul_f32 v80, s19, v121
	v_cndmask_b32_e64 v71, 0xff7fffff, v83, s4
	v_cndmask_b32_e64 v72, 0xff7fffff, v82, s5
	s_delay_alu instid0(VALU_DEP_4)
	v_max3_f32 v82, v93, 0xff7fffff, v92
	v_or_b32_e32 v86, 16, v68
	v_or_b32_e32 v87, 18, v68
	v_cndmask_b32_e64 v81, 0xff7fffff, v81, s6
	v_cndmask_b32_e64 v80, 0xff7fffff, v80, s7
	v_max3_f32 v71, v82, v71, v72
	v_cmp_gt_i32_e64 s8, s24, v84
	v_cmp_gt_i32_e64 s9, s24, v85
	v_or_b32_e32 v88, 20, v68
	v_or_b32_e32 v89, 22, v68
	v_or_b32_e32 v90, 24, v68
	v_or_b32_e32 v91, 26, v68
	v_or_b32_e32 v76, 28, v68
	v_or_b32_e32 v77, 30, v68
	v_dual_mul_f32 v99, s19, v102 :: v_dual_mul_f32 v70, s19, v101
	v_mul_f32_e32 v68, s19, v100
	v_cndmask_b32_e64 v72, 0xff7fffff, v79, s8
	v_cndmask_b32_e64 v78, 0xff7fffff, v78, s9
	v_max3_f32 v71, v71, v81, v80
	v_cmp_gt_i32_e64 s10, s24, v86
	v_cmp_gt_i32_e64 s11, s24, v87
	v_dual_mul_f32 v97, s19, v104 :: v_dual_mul_f32 v98, s19, v103
	s_delay_alu instid0(VALU_DEP_4) | instskip(SKIP_1) | instid1(VALU_DEP_4)
	v_max3_f32 v71, v71, v72, v78
	v_cmp_gt_i32_e64 s12, s24, v88
	v_cndmask_b32_e64 v70, 0xff7fffff, v70, s11
	v_cmp_gt_i32_e64 s13, s24, v89
	v_lshlrev_b32_e32 v89, 2, v69
	v_cndmask_b32_e64 v68, 0xff7fffff, v68, s10
	v_dual_mul_f32 v95, s19, v106 :: v_dual_mul_f32 v96, s19, v105
	v_cndmask_b32_e64 v72, 0xff7fffff, v99, s12
	v_cndmask_b32_e64 v78, 0xff7fffff, v98, s13
	s_delay_alu instid0(VALU_DEP_4)
	v_max3_f32 v68, v71, v68, v70
	v_cmp_gt_i32_e64 s15, s24, v90
	v_cmp_gt_i32_e64 s16, s24, v91
	;; [unrolled: 1-line block ×4, first 2 shown]
	v_max3_f32 v68, v68, v72, v78
	v_cndmask_b32_e64 v70, 0xff7fffff, v97, s15
	v_cndmask_b32_e64 v71, 0xff7fffff, v96, s16
	v_cndmask_b32_e64 v72, 0xff7fffff, v95, s17
	v_cndmask_b32_e64 v76, 0xff7fffff, v94, s18
	s_delay_alu instid0(VALU_DEP_3) | instskip(NEXT) | instid1(VALU_DEP_1)
	v_max3_f32 v68, v68, v70, v71
	v_max3_f32 v68, v68, v72, v76
	ds_bpermute_b32 v69, v89, v68
	s_waitcnt lgkmcnt(0)
	v_max_f32_e32 v69, v69, v69
	s_delay_alu instid0(VALU_DEP_1) | instskip(NEXT) | instid1(VALU_DEP_1)
	v_max_f32_e32 v68, v68, v69
	v_fma_f32 v71, s19, v118, -v68
	s_delay_alu instid0(VALU_DEP_1)
	v_mul_f32_e32 v71, 0x3fb8aa3b, v71
	v_fma_f32 v69, s19, v116, -v68
	v_fma_f32 v70, s19, v117, -v68
	;; [unrolled: 1-line block ×4, first 2 shown]
	v_exp_f32_e32 v71, v71
	s_delay_alu instid0(VALU_DEP_3) | instskip(SKIP_2) | instid1(VALU_DEP_3)
	v_dual_mul_f32 v69, 0x3fb8aa3b, v69 :: v_dual_mul_f32 v70, 0x3fb8aa3b, v70
	v_fma_f32 v78, s19, v122, -v68
	v_fma_f32 v81, s19, v105, -v68
	v_exp_f32_e32 v69, v69
	s_delay_alu instid0(VALU_DEP_3) | instskip(SKIP_1) | instid1(VALU_DEP_2)
	v_exp_f32_e32 v70, v70
	v_mul_f32_e32 v77, 0x3fb8aa3b, v76
	v_mul_f32_e32 v81, 0x3fb8aa3b, v81
	s_delay_alu instid0(TRANS32_DEP_3) | instskip(SKIP_1) | instid1(VALU_DEP_3)
	v_cndmask_b32_e64 v83, 0, v71, s4
	v_fma_f32 v71, s19, v123, -v68
	v_exp_f32_e32 v81, v81
	s_delay_alu instid0(TRANS32_DEP_3) | instskip(NEXT) | instid1(TRANS32_DEP_2)
	v_cndmask_b32_e64 v80, 0, v69, s3
	v_cndmask_b32_e32 v76, 0, v70, vcc_lo
	v_fma_f32 v69, s19, v121, -v68
	v_mul_f32_e32 v72, 0x3fb8aa3b, v72
	v_exp_f32_e32 v77, v77
	v_dual_add_f32 v70, 0, v80 :: v_dual_mul_f32 v71, 0x3fb8aa3b, v71
	s_delay_alu instid0(VALU_DEP_3) | instskip(NEXT) | instid1(VALU_DEP_3)
	v_mul_f32_e32 v69, 0x3fb8aa3b, v69
	v_exp_f32_e32 v72, v72
	s_mov_b32 s3, exec_lo
	s_delay_alu instid0(VALU_DEP_2) | instskip(NEXT) | instid1(VALU_DEP_1)
	v_exp_f32_e32 v71, v71
	v_exp_f32_e32 v69, v69
	v_cndmask_b32_e64 v86, 0, v77, s6
	v_fma_f32 v77, s19, v101, -v68
	v_add_f32_e32 v70, v70, v76
	s_delay_alu instid0(TRANS32_DEP_3) | instskip(SKIP_1) | instid1(VALU_DEP_3)
	v_cndmask_b32_e64 v85, 0, v72, s5
	v_fma_f32 v72, s19, v100, -v68
	v_dual_mul_f32 v77, 0x3fb8aa3b, v77 :: v_dual_add_f32 v70, v70, v83
	s_delay_alu instid0(TRANS32_DEP_2) | instskip(SKIP_1) | instid1(TRANS32_DEP_1)
	v_cndmask_b32_e64 v88, 0, v71, s9
	v_fma_f32 v71, s19, v104, -v68
	v_cndmask_b32_e64 v87, 0, v69, s7
	s_delay_alu instid0(VALU_DEP_4) | instskip(NEXT) | instid1(VALU_DEP_2)
	v_exp_f32_e32 v77, v77
	v_dual_add_f32 v70, v70, v85 :: v_dual_mul_f32 v71, 0x3fb8aa3b, v71
	s_delay_alu instid0(VALU_DEP_1) | instskip(SKIP_2) | instid1(VALU_DEP_3)
	v_dual_mul_f32 v72, 0x3fb8aa3b, v72 :: v_dual_add_f32 v69, v70, v86
	v_mul_f32_e32 v78, 0x3fb8aa3b, v78
	v_fma_f32 v70, s19, v102, -v68
	v_exp_f32_e32 v72, v72
	v_exp_f32_e32 v82, v71
	v_add_f32_e32 v69, v69, v87
	v_exp_f32_e32 v78, v78
	v_mul_f32_e32 v70, 0x3fb8aa3b, v70
	s_delay_alu instid0(VALU_DEP_1) | instskip(SKIP_4) | instid1(VALU_DEP_2)
	v_exp_f32_e32 v79, v70
	v_cndmask_b32_e64 v70, 0, v72, s10
	s_waitcnt_depctr 0xfff
	v_cndmask_b32_e64 v84, 0, v78, s8
	v_fma_f32 v78, s19, v103, -v68
	v_add_f32_e32 v69, v69, v84
	v_cndmask_b32_e64 v71, 0, v79, s12
	s_delay_alu instid0(VALU_DEP_2) | instskip(SKIP_2) | instid1(VALU_DEP_1)
	v_add_f32_e32 v72, v69, v88
	v_cndmask_b32_e64 v69, 0, v77, s11
	v_fma_f32 v77, s19, v106, -v68
	v_dual_mul_f32 v77, 0x3fb8aa3b, v77 :: v_dual_add_f32 v72, v72, v70
	v_mul_f32_e32 v78, 0x3fb8aa3b, v78
	s_delay_alu instid0(VALU_DEP_2) | instskip(NEXT) | instid1(VALU_DEP_2)
	v_exp_f32_e32 v90, v77
	v_add_f32_e32 v79, v72, v69
	s_delay_alu instid0(VALU_DEP_2)
	v_exp_f32_e32 v78, v78
	v_cndmask_b32_e64 v77, 0, v82, s15
	s_waitcnt_depctr 0xfff
	v_cndmask_b32_e64 v72, 0, v78, s13
	v_add_f32_e32 v78, v79, v71
	v_fma_f32 v79, s19, v107, -v68
	s_delay_alu instid0(VALU_DEP_1) | instskip(SKIP_1) | instid1(VALU_DEP_2)
	v_dual_add_f32 v82, v78, v72 :: v_dual_mul_f32 v79, 0x3fb8aa3b, v79
	v_cndmask_b32_e64 v78, 0, v81, s16
	v_add_f32_e32 v81, v82, v77
	s_delay_alu instid0(VALU_DEP_3) | instskip(SKIP_1) | instid1(VALU_DEP_2)
	v_exp_f32_e32 v82, v79
	v_cndmask_b32_e64 v79, 0, v90, s17
	v_add_f32_e32 v81, v81, v78
	s_delay_alu instid0(VALU_DEP_1) | instskip(SKIP_2) | instid1(VALU_DEP_1)
	v_add_f32_e32 v90, v81, v79
	s_waitcnt_depctr 0xfff
	v_cndmask_b32_e64 v81, 0, v82, s18
	v_add_f32_e32 v82, v90, v81
	ds_bpermute_b32 v89, v89, v82
	v_cmpx_gt_u32_e32 16, v67
	s_cbranch_execz .LBB1451_12
; %bb.11:
	v_mul_u32_u24_e32 v67, 0x44, v66
	s_delay_alu instid0(VALU_DEP_1) | instskip(SKIP_1) | instid1(VALU_DEP_1)
	v_lshl_add_u32 v67, v65, 2, v67
	s_waitcnt lgkmcnt(0)
	v_dual_add_f32 v82, v82, v89 :: v_dual_add_nc_u32 v67, 0x4000, v67
	ds_store_2addr_b32 v67, v68, v82 offset1:136
.LBB1451_12:
	s_or_b32 exec_lo, exec_lo, s3
	v_lshlrev_b32_e32 v67, 2, v65
	s_waitcnt lgkmcnt(0)
	s_barrier
	buffer_gl0_inv
	v_cmp_eq_u32_e32 vcc_lo, 1, v66
	v_add_nc_u32_e32 v82, 0x4000, v67
	v_cmp_eq_u32_e64 s3, 2, v66
	v_cmp_eq_u32_e64 s5, 7, v66
	ds_load_2addr_b32 v[89:90], v82 offset1:17
	ds_load_2addr_b32 v[91:92], v82 offset0:34 offset1:51
	ds_load_2addr_b32 v[93:94], v82 offset0:68 offset1:85
	;; [unrolled: 1-line block ×4, first 2 shown]
	s_waitcnt lgkmcnt(4)
	v_max3_f32 v67, v89, 0xff7fffff, v90
	s_waitcnt lgkmcnt(3)
	s_delay_alu instid0(VALU_DEP_1) | instskip(SKIP_1) | instid1(VALU_DEP_1)
	v_max3_f32 v67, v67, v91, v92
	s_waitcnt lgkmcnt(2)
	v_max3_f32 v67, v67, v93, v94
	s_waitcnt lgkmcnt(1)
	s_delay_alu instid0(VALU_DEP_1) | instskip(NEXT) | instid1(VALU_DEP_1)
	v_max3_f32 v67, v67, v95, v96
	v_sub_f32_e32 v93, v93, v67
	s_delay_alu instid0(VALU_DEP_1) | instskip(NEXT) | instid1(VALU_DEP_1)
	v_dual_sub_f32 v68, v89, v67 :: v_dual_mul_f32 v103, 0x3fb8aa3b, v93
	v_mul_f32_e32 v68, 0x3fb8aa3b, v68
	s_delay_alu instid0(VALU_DEP_1)
	v_exp_f32_e32 v100, v68
	v_sub_f32_e32 v68, v92, v67
	v_sub_f32_e32 v99, v90, v67
	ds_load_2addr_b32 v[89:90], v82 offset0:170 offset1:187
	v_dual_mul_f32 v102, 0x3fb8aa3b, v68 :: v_dual_mul_f32 v99, 0x3fb8aa3b, v99
	s_waitcnt lgkmcnt(1)
	v_fma_f32 v68, v100, v97, 0
	s_delay_alu instid0(VALU_DEP_2) | instskip(NEXT) | instid1(VALU_DEP_2)
	v_exp_f32_e32 v102, v102
	v_exp_f32_e32 v99, v99
	s_waitcnt_depctr 0xfff
	v_fmac_f32_e32 v68, v99, v98
	v_sub_f32_e32 v91, v91, v67
	s_delay_alu instid0(VALU_DEP_1)
	v_mul_f32_e32 v101, 0x3fb8aa3b, v91
	ds_load_2addr_b32 v[91:92], v82 offset0:204 offset1:221
	v_sub_f32_e32 v97, v94, v67
	ds_load_2addr_b32 v[93:94], v82 offset0:238 offset1:255
	s_waitcnt lgkmcnt(0)
	v_exp_f32_e32 v101, v101
	s_barrier
	buffer_gl0_inv
	v_dual_fmac_f32 v68, v101, v89 :: v_dual_sub_f32 v89, v96, v67
	v_dual_sub_f32 v82, v95, v67 :: v_dual_mul_f32 v95, 0x3fb8aa3b, v97
	v_exp_f32_e32 v97, v103
	s_delay_alu instid0(VALU_DEP_2) | instskip(NEXT) | instid1(VALU_DEP_2)
	v_dual_fmac_f32 v68, v102, v90 :: v_dual_mul_f32 v89, 0x3fb8aa3b, v89
	v_mul_f32_e32 v82, 0x3fb8aa3b, v82
	s_delay_alu instid0(VALU_DEP_3) | instskip(NEXT) | instid1(VALU_DEP_2)
	v_exp_f32_e32 v95, v95
	v_exp_f32_e32 v89, v89
	s_delay_alu instid0(VALU_DEP_1)
	v_exp_f32_e32 v82, v82
	v_fmac_f32_e32 v68, v97, v91
	s_delay_alu instid0(TRANS32_DEP_3) | instid1(VALU_DEP_1)
	v_fmac_f32_e32 v68, v95, v92
	s_waitcnt_depctr 0xfff
	v_fmac_f32_e32 v68, v82, v93
	s_delay_alu instid0(VALU_DEP_1) | instskip(NEXT) | instid1(VALU_DEP_1)
	v_fmac_f32_e32 v68, v89, v94
	v_add_f32_e32 v90, 0x358637bd, v68
	s_delay_alu instid0(VALU_DEP_1) | instskip(NEXT) | instid1(VALU_DEP_1)
	v_div_scale_f32 v91, null, v90, v90, 1.0
	v_rcp_f32_e32 v92, v91
	s_waitcnt_depctr 0xfff
	v_fma_f32 v93, -v91, v92, 1.0
	s_delay_alu instid0(VALU_DEP_1) | instskip(SKIP_1) | instid1(VALU_DEP_2)
	v_dual_fmac_f32 v92, v93, v92 :: v_dual_cndmask_b32 v93, v100, v99
	v_cmp_eq_u32_e32 vcc_lo, 3, v66
	v_cndmask_b32_e64 v93, v93, v101, s3
	v_cmp_eq_u32_e64 s3, 4, v66
	s_delay_alu instid0(VALU_DEP_2) | instskip(SKIP_1) | instid1(VALU_DEP_2)
	v_cndmask_b32_e32 v93, v93, v102, vcc_lo
	v_cmp_eq_u32_e32 vcc_lo, 5, v66
	v_cndmask_b32_e64 v93, v93, v97, s3
	v_cmp_eq_u32_e64 s3, 6, v66
	s_delay_alu instid0(VALU_DEP_2) | instskip(SKIP_1) | instid1(VALU_DEP_1)
	v_cndmask_b32_e32 v93, v93, v95, vcc_lo
	v_div_scale_f32 v94, s4, 1.0, v90, 1.0
	s_mov_b32 vcc_lo, s4
	s_delay_alu instid0(VALU_DEP_2) | instskip(NEXT) | instid1(VALU_DEP_2)
	v_cndmask_b32_e64 v82, v93, v82, s3
	v_mul_f32_e32 v96, v94, v92
	s_mov_b32 s3, exec_lo
	s_delay_alu instid0(VALU_DEP_2) | instskip(NEXT) | instid1(VALU_DEP_2)
	v_cndmask_b32_e64 v82, v82, v89, s5
	v_fma_f32 v98, -v91, v96, v94
	s_delay_alu instid0(VALU_DEP_1) | instskip(NEXT) | instid1(VALU_DEP_1)
	v_fmac_f32_e32 v96, v98, v92
	v_fma_f32 v91, -v91, v96, v94
	s_delay_alu instid0(VALU_DEP_1) | instskip(NEXT) | instid1(VALU_DEP_1)
	v_div_fmas_f32 v91, v91, v92, v96
	v_div_fixup_f32 v90, v91, v90, 1.0
	s_delay_alu instid0(VALU_DEP_1) | instskip(NEXT) | instid1(VALU_DEP_1)
	v_mul_f32_e32 v82, v82, v90
	v_mul_f32_e32 v87, v82, v87
	;; [unrolled: 1-line block ×7, first 2 shown]
	v_dual_mul_f32 v86, v82, v83 :: v_dual_and_b32 v91, 0x7f800000, v90
	v_mul_f32_e32 v85, v82, v76
                                        ; implicit-def: $vgpr76
	s_delay_alu instid0(VALU_DEP_2)
	v_cmpx_ne_u32_e32 0x7f800000, v91
	s_xor_b32 s3, exec_lo, s3
; %bb.13:
	v_bfe_u32 v76, v90, 16, 1
	s_delay_alu instid0(VALU_DEP_1)
	v_add3_u32 v76, v90, v76, 0x7fff
                                        ; implicit-def: $vgpr90
; %bb.14:
	s_and_not1_saveexec_b32 s3, s3
; %bb.15:
	v_and_b32_e32 v76, 0xffff, v90
	v_or_b32_e32 v83, 0x10000, v90
	s_delay_alu instid0(VALU_DEP_2) | instskip(NEXT) | instid1(VALU_DEP_2)
	v_cmp_eq_u32_e32 vcc_lo, 0, v76
	v_cndmask_b32_e32 v76, v83, v90, vcc_lo
; %bb.16:
	s_or_b32 exec_lo, exec_lo, s3
	v_and_b32_e32 v83, 0x7f800000, v85
	s_delay_alu instid0(VALU_DEP_1) | instskip(SKIP_1) | instid1(SALU_CYCLE_1)
	v_cmp_ne_u32_e32 vcc_lo, 0x7f800000, v83
                                        ; implicit-def: $vgpr83
	s_and_saveexec_b32 s3, vcc_lo
	s_xor_b32 s3, exec_lo, s3
; %bb.17:
	v_bfe_u32 v83, v85, 16, 1
	s_delay_alu instid0(VALU_DEP_1)
	v_add3_u32 v83, v85, v83, 0x7fff
                                        ; implicit-def: $vgpr85
; %bb.18:
	s_and_not1_saveexec_b32 s3, s3
; %bb.19:
	v_and_b32_e32 v83, 0xffff, v85
	v_or_b32_e32 v90, 0x10000, v85
	s_delay_alu instid0(VALU_DEP_2) | instskip(NEXT) | instid1(VALU_DEP_2)
	v_cmp_eq_u32_e32 vcc_lo, 0, v83
	v_cndmask_b32_e32 v83, v90, v85, vcc_lo
; %bb.20:
	s_or_b32 exec_lo, exec_lo, s3
	v_and_b32_e32 v85, 0x7f800000, v86
	s_delay_alu instid0(VALU_DEP_1) | instskip(SKIP_1) | instid1(SALU_CYCLE_1)
	v_cmp_ne_u32_e32 vcc_lo, 0x7f800000, v85
                                        ; implicit-def: $vgpr85
	s_and_saveexec_b32 s3, vcc_lo
	s_xor_b32 s3, exec_lo, s3
; %bb.21:
	v_bfe_u32 v85, v86, 16, 1
	s_delay_alu instid0(VALU_DEP_1)
	v_add3_u32 v85, v86, v85, 0x7fff
                                        ; implicit-def: $vgpr86
; %bb.22:
	s_and_not1_saveexec_b32 s3, s3
; %bb.23:
	v_and_b32_e32 v85, 0xffff, v86
	v_or_b32_e32 v90, 0x10000, v86
	s_delay_alu instid0(VALU_DEP_2) | instskip(NEXT) | instid1(VALU_DEP_2)
	v_cmp_eq_u32_e32 vcc_lo, 0, v85
	v_cndmask_b32_e32 v85, v90, v86, vcc_lo
; %bb.24:
	s_or_b32 exec_lo, exec_lo, s3
	v_and_b32_e32 v86, 0x7f800000, v89
	s_delay_alu instid0(VALU_DEP_1) | instskip(SKIP_1) | instid1(SALU_CYCLE_1)
	v_cmp_ne_u32_e32 vcc_lo, 0x7f800000, v86
                                        ; implicit-def: $vgpr86
	s_and_saveexec_b32 s3, vcc_lo
	s_xor_b32 s3, exec_lo, s3
; %bb.25:
	v_bfe_u32 v86, v89, 16, 1
	s_delay_alu instid0(VALU_DEP_1)
	v_add3_u32 v86, v89, v86, 0x7fff
                                        ; implicit-def: $vgpr89
; %bb.26:
	s_and_not1_saveexec_b32 s3, s3
; %bb.27:
	v_and_b32_e32 v86, 0xffff, v89
	v_or_b32_e32 v90, 0x10000, v89
	s_delay_alu instid0(VALU_DEP_2) | instskip(NEXT) | instid1(VALU_DEP_2)
	v_cmp_eq_u32_e32 vcc_lo, 0, v86
	v_cndmask_b32_e32 v86, v90, v89, vcc_lo
; %bb.28:
	s_or_b32 exec_lo, exec_lo, s3
	v_and_b32_e32 v89, 0x7f800000, v88
	s_delay_alu instid0(VALU_DEP_1) | instskip(SKIP_1) | instid1(SALU_CYCLE_1)
	v_cmp_ne_u32_e32 vcc_lo, 0x7f800000, v89
                                        ; implicit-def: $vgpr89
	s_and_saveexec_b32 s3, vcc_lo
	s_xor_b32 s3, exec_lo, s3
; %bb.29:
	v_bfe_u32 v89, v88, 16, 1
	s_delay_alu instid0(VALU_DEP_1)
	v_add3_u32 v89, v88, v89, 0x7fff
                                        ; implicit-def: $vgpr88
; %bb.30:
	s_and_not1_saveexec_b32 s3, s3
; %bb.31:
	v_and_b32_e32 v89, 0xffff, v88
	v_or_b32_e32 v90, 0x10000, v88
	s_delay_alu instid0(VALU_DEP_2) | instskip(NEXT) | instid1(VALU_DEP_2)
	v_cmp_eq_u32_e32 vcc_lo, 0, v89
	v_cndmask_b32_e32 v89, v90, v88, vcc_lo
; %bb.32:
	s_or_b32 exec_lo, exec_lo, s3
	v_and_b32_e32 v88, 0x7f800000, v87
	s_delay_alu instid0(VALU_DEP_1) | instskip(SKIP_1) | instid1(SALU_CYCLE_1)
	v_cmp_ne_u32_e32 vcc_lo, 0x7f800000, v88
                                        ; implicit-def: $vgpr88
	s_and_saveexec_b32 s3, vcc_lo
	s_xor_b32 s3, exec_lo, s3
; %bb.33:
	v_bfe_u32 v88, v87, 16, 1
	s_delay_alu instid0(VALU_DEP_1)
	v_add3_u32 v88, v87, v88, 0x7fff
                                        ; implicit-def: $vgpr87
; %bb.34:
	s_and_not1_saveexec_b32 s3, s3
; %bb.35:
	v_and_b32_e32 v88, 0xffff, v87
	v_or_b32_e32 v90, 0x10000, v87
	s_delay_alu instid0(VALU_DEP_2) | instskip(NEXT) | instid1(VALU_DEP_2)
	v_cmp_eq_u32_e32 vcc_lo, 0, v88
	v_cndmask_b32_e32 v88, v90, v87, vcc_lo
; %bb.36:
	s_or_b32 exec_lo, exec_lo, s3
	v_and_b32_e32 v87, 0x7f800000, v84
	s_delay_alu instid0(VALU_DEP_1) | instskip(SKIP_1) | instid1(SALU_CYCLE_1)
	v_cmp_ne_u32_e32 vcc_lo, 0x7f800000, v87
                                        ; implicit-def: $vgpr87
	s_and_saveexec_b32 s3, vcc_lo
	s_xor_b32 s3, exec_lo, s3
; %bb.37:
	v_bfe_u32 v87, v84, 16, 1
	s_delay_alu instid0(VALU_DEP_1)
	v_add3_u32 v87, v84, v87, 0x7fff
                                        ; implicit-def: $vgpr84
; %bb.38:
	s_and_not1_saveexec_b32 s3, s3
; %bb.39:
	v_and_b32_e32 v87, 0xffff, v84
	v_or_b32_e32 v90, 0x10000, v84
	s_delay_alu instid0(VALU_DEP_2) | instskip(NEXT) | instid1(VALU_DEP_2)
	v_cmp_eq_u32_e32 vcc_lo, 0, v87
	v_cndmask_b32_e32 v87, v90, v84, vcc_lo
; %bb.40:
	s_or_b32 exec_lo, exec_lo, s3
	v_and_b32_e32 v84, 0x7f800000, v80
	s_delay_alu instid0(VALU_DEP_1) | instskip(SKIP_1) | instid1(SALU_CYCLE_1)
	v_cmp_ne_u32_e32 vcc_lo, 0x7f800000, v84
                                        ; implicit-def: $vgpr84
	s_and_saveexec_b32 s3, vcc_lo
	s_xor_b32 s3, exec_lo, s3
; %bb.41:
	v_bfe_u32 v84, v80, 16, 1
	s_delay_alu instid0(VALU_DEP_1)
	v_add3_u32 v84, v80, v84, 0x7fff
                                        ; implicit-def: $vgpr80
; %bb.42:
	s_and_not1_saveexec_b32 s3, s3
; %bb.43:
	v_and_b32_e32 v84, 0xffff, v80
	v_or_b32_e32 v90, 0x10000, v80
	s_delay_alu instid0(VALU_DEP_2) | instskip(NEXT) | instid1(VALU_DEP_2)
	v_cmp_eq_u32_e32 vcc_lo, 0, v84
	v_cndmask_b32_e32 v84, v90, v80, vcc_lo
; %bb.44:
	s_or_b32 exec_lo, exec_lo, s3
	s_load_b64 s[34:35], s[0:1], 0x94
	v_lshlrev_b32_e32 v91, 4, v74
	s_delay_alu instid0(VALU_DEP_2)
	v_perm_b32 v90, v84, v87, 0x7060302
	v_dual_mul_f32 v79, v82, v79 :: v_dual_lshlrev_b32 v80, 6, v65
	v_dual_mul_f32 v77, v82, v77 :: v_dual_lshlrev_b32 v92, 11, v66
	v_mul_f32_e32 v84, v82, v70
	v_perm_b32 v89, v88, v89, 0x7060302
	v_perm_b32 v88, v86, v85, 0x7060302
	;; [unrolled: 1-line block ×3, first 2 shown]
	v_mul_f32_e32 v70, v82, v81
	v_or3_b32 v76, v91, v92, v80
	v_dual_mul_f32 v78, v82, v78 :: v_dual_and_b32 v85, 0x7f800000, v84
	v_mul_f32_e32 v83, v82, v72
	v_mul_f32_e32 v81, v82, v71
	;; [unrolled: 1-line block ×3, first 2 shown]
	s_mov_b32 s3, exec_lo
	ds_store_b128 v76, v[87:90]
                                        ; implicit-def: $vgpr69
	v_cmpx_ne_u32_e32 0x7f800000, v85
	s_xor_b32 s3, exec_lo, s3
; %bb.45:
	v_bfe_u32 v69, v84, 16, 1
	s_delay_alu instid0(VALU_DEP_1)
	v_add3_u32 v69, v84, v69, 0x7fff
                                        ; implicit-def: $vgpr84
; %bb.46:
	s_and_not1_saveexec_b32 s3, s3
; %bb.47:
	v_and_b32_e32 v69, 0xffff, v84
	v_or_b32_e32 v71, 0x10000, v84
	s_delay_alu instid0(VALU_DEP_2) | instskip(NEXT) | instid1(VALU_DEP_2)
	v_cmp_eq_u32_e32 vcc_lo, 0, v69
	v_cndmask_b32_e32 v69, v71, v84, vcc_lo
; %bb.48:
	s_or_b32 exec_lo, exec_lo, s3
	v_and_b32_e32 v71, 0x7f800000, v72
	s_delay_alu instid0(VALU_DEP_1) | instskip(SKIP_1) | instid1(SALU_CYCLE_1)
	v_cmp_ne_u32_e32 vcc_lo, 0x7f800000, v71
                                        ; implicit-def: $vgpr71
	s_and_saveexec_b32 s3, vcc_lo
	s_xor_b32 s3, exec_lo, s3
; %bb.49:
	v_bfe_u32 v71, v72, 16, 1
	s_delay_alu instid0(VALU_DEP_1)
	v_add3_u32 v71, v72, v71, 0x7fff
                                        ; implicit-def: $vgpr72
; %bb.50:
	s_and_not1_saveexec_b32 s3, s3
; %bb.51:
	v_and_b32_e32 v71, 0xffff, v72
	v_or_b32_e32 v82, 0x10000, v72
	s_delay_alu instid0(VALU_DEP_2) | instskip(NEXT) | instid1(VALU_DEP_2)
	v_cmp_eq_u32_e32 vcc_lo, 0, v71
	v_cndmask_b32_e32 v71, v82, v72, vcc_lo
; %bb.52:
	s_or_b32 exec_lo, exec_lo, s3
	v_and_b32_e32 v72, 0x7f800000, v81
	s_delay_alu instid0(VALU_DEP_1) | instskip(SKIP_1) | instid1(SALU_CYCLE_1)
	v_cmp_ne_u32_e32 vcc_lo, 0x7f800000, v72
                                        ; implicit-def: $vgpr72
	s_and_saveexec_b32 s3, vcc_lo
	s_xor_b32 s3, exec_lo, s3
; %bb.53:
	v_bfe_u32 v72, v81, 16, 1
	s_delay_alu instid0(VALU_DEP_1)
	v_add3_u32 v72, v81, v72, 0x7fff
                                        ; implicit-def: $vgpr81
; %bb.54:
	s_and_not1_saveexec_b32 s3, s3
; %bb.55:
	v_and_b32_e32 v72, 0xffff, v81
	v_or_b32_e32 v82, 0x10000, v81
	s_delay_alu instid0(VALU_DEP_2) | instskip(NEXT) | instid1(VALU_DEP_2)
	v_cmp_eq_u32_e32 vcc_lo, 0, v72
	v_cndmask_b32_e32 v72, v82, v81, vcc_lo
; %bb.56:
	s_or_b32 exec_lo, exec_lo, s3
	v_and_b32_e32 v81, 0x7f800000, v83
	s_delay_alu instid0(VALU_DEP_1) | instskip(SKIP_1) | instid1(SALU_CYCLE_1)
	v_cmp_ne_u32_e32 vcc_lo, 0x7f800000, v81
                                        ; implicit-def: $vgpr81
	s_and_saveexec_b32 s3, vcc_lo
	s_xor_b32 s3, exec_lo, s3
; %bb.57:
	v_bfe_u32 v81, v83, 16, 1
	s_delay_alu instid0(VALU_DEP_1)
	v_add3_u32 v81, v83, v81, 0x7fff
                                        ; implicit-def: $vgpr83
; %bb.58:
	s_and_not1_saveexec_b32 s3, s3
; %bb.59:
	v_and_b32_e32 v81, 0xffff, v83
	v_or_b32_e32 v82, 0x10000, v83
	s_delay_alu instid0(VALU_DEP_2) | instskip(NEXT) | instid1(VALU_DEP_2)
	v_cmp_eq_u32_e32 vcc_lo, 0, v81
	v_cndmask_b32_e32 v81, v82, v83, vcc_lo
; %bb.60:
	s_or_b32 exec_lo, exec_lo, s3
	v_and_b32_e32 v82, 0x7f800000, v77
	s_delay_alu instid0(VALU_DEP_1) | instskip(SKIP_1) | instid1(SALU_CYCLE_1)
	v_cmp_ne_u32_e32 vcc_lo, 0x7f800000, v82
                                        ; implicit-def: $vgpr82
	s_and_saveexec_b32 s3, vcc_lo
	s_xor_b32 s3, exec_lo, s3
; %bb.61:
	v_bfe_u32 v82, v77, 16, 1
	s_delay_alu instid0(VALU_DEP_1)
	v_add3_u32 v82, v77, v82, 0x7fff
                                        ; implicit-def: $vgpr77
; %bb.62:
	s_and_not1_saveexec_b32 s3, s3
; %bb.63:
	v_and_b32_e32 v82, 0xffff, v77
	v_or_b32_e32 v83, 0x10000, v77
	s_delay_alu instid0(VALU_DEP_2) | instskip(NEXT) | instid1(VALU_DEP_2)
	v_cmp_eq_u32_e32 vcc_lo, 0, v82
	v_cndmask_b32_e32 v82, v83, v77, vcc_lo
; %bb.64:
	s_or_b32 exec_lo, exec_lo, s3
	v_and_b32_e32 v77, 0x7f800000, v78
	s_delay_alu instid0(VALU_DEP_1) | instskip(SKIP_1) | instid1(SALU_CYCLE_1)
	v_cmp_ne_u32_e32 vcc_lo, 0x7f800000, v77
                                        ; implicit-def: $vgpr77
	s_and_saveexec_b32 s3, vcc_lo
	s_xor_b32 s3, exec_lo, s3
; %bb.65:
	v_bfe_u32 v77, v78, 16, 1
	s_delay_alu instid0(VALU_DEP_1)
	v_add3_u32 v77, v78, v77, 0x7fff
                                        ; implicit-def: $vgpr78
; %bb.66:
	s_and_not1_saveexec_b32 s3, s3
; %bb.67:
	v_and_b32_e32 v77, 0xffff, v78
	v_or_b32_e32 v83, 0x10000, v78
	s_delay_alu instid0(VALU_DEP_2) | instskip(NEXT) | instid1(VALU_DEP_2)
	v_cmp_eq_u32_e32 vcc_lo, 0, v77
	v_cndmask_b32_e32 v77, v83, v78, vcc_lo
; %bb.68:
	s_or_b32 exec_lo, exec_lo, s3
	v_and_b32_e32 v78, 0x7f800000, v79
	s_delay_alu instid0(VALU_DEP_1) | instskip(SKIP_1) | instid1(SALU_CYCLE_1)
	v_cmp_ne_u32_e32 vcc_lo, 0x7f800000, v78
                                        ; implicit-def: $vgpr78
	s_and_saveexec_b32 s3, vcc_lo
	s_xor_b32 s3, exec_lo, s3
; %bb.69:
	v_bfe_u32 v78, v79, 16, 1
	s_delay_alu instid0(VALU_DEP_1)
	v_add3_u32 v78, v79, v78, 0x7fff
                                        ; implicit-def: $vgpr79
; %bb.70:
	s_and_not1_saveexec_b32 s3, s3
; %bb.71:
	v_and_b32_e32 v78, 0xffff, v79
	v_or_b32_e32 v83, 0x10000, v79
	s_delay_alu instid0(VALU_DEP_2) | instskip(NEXT) | instid1(VALU_DEP_2)
	v_cmp_eq_u32_e32 vcc_lo, 0, v78
	v_cndmask_b32_e32 v78, v83, v79, vcc_lo
; %bb.72:
	s_or_b32 exec_lo, exec_lo, s3
	v_and_b32_e32 v79, 0x7f800000, v70
	s_delay_alu instid0(VALU_DEP_1) | instskip(SKIP_1) | instid1(SALU_CYCLE_1)
	v_cmp_ne_u32_e32 vcc_lo, 0x7f800000, v79
                                        ; implicit-def: $vgpr79
	s_and_saveexec_b32 s3, vcc_lo
	s_xor_b32 s3, exec_lo, s3
; %bb.73:
	v_bfe_u32 v79, v70, 16, 1
	s_delay_alu instid0(VALU_DEP_1)
	v_add3_u32 v79, v70, v79, 0x7fff
                                        ; implicit-def: $vgpr70
; %bb.74:
	s_and_not1_saveexec_b32 s3, s3
; %bb.75:
	v_and_b32_e32 v79, 0xffff, v70
	v_or_b32_e32 v83, 0x10000, v70
	s_delay_alu instid0(VALU_DEP_2) | instskip(NEXT) | instid1(VALU_DEP_2)
	v_cmp_eq_u32_e32 vcc_lo, 0, v79
	v_cndmask_b32_e32 v79, v83, v70, vcc_lo
; %bb.76:
	s_or_b32 exec_lo, exec_lo, s3
	s_delay_alu instid0(VALU_DEP_1)
	v_perm_b32 v86, v79, v78, 0x7060302
	v_perm_b32 v85, v77, v82, 0x7060302
	;; [unrolled: 1-line block ×4, first 2 shown]
	v_lshl_or_b32 v82, v66, 11, v80
	ds_store_b128 v76, v[83:86] offset:1024
	s_waitcnt lgkmcnt(0)
	s_barrier
	buffer_gl0_inv
	ds_load_b128 v[69:72], v82
	ds_load_b128 v[83:86], v82 offset:16
	s_waitcnt lgkmcnt(1)
	v_lshrrev_b32_e32 v66, 16, v69
	s_waitcnt lgkmcnt(0)
	v_lshrrev_b32_e32 v91, 16, v83
	v_lshlrev_b32_e32 v78, 2, v74
	v_lshrrev_b32_e32 v95, 16, v70
	v_lshrrev_b32_e32 v98, 16, v84
	;; [unrolled: 1-line block ×4, first 2 shown]
	v_cmp_eq_u32_e32 vcc_lo, 1, v78
	v_lshrrev_b32_e32 v97, 16, v72
	v_lshrrev_b32_e32 v100, 16, v86
	v_cndmask_b32_e32 v87, v83, v91, vcc_lo
	v_or_b32_e32 v79, 1, v78
	v_cndmask_b32_e32 v81, v69, v66, vcc_lo
	v_cmp_eq_u32_e64 s4, 2, v78
	v_cmp_eq_u32_e64 s7, 3, v78
	;; [unrolled: 1-line block ×5, first 2 shown]
	v_cndmask_b32_e64 v81, v81, v70, s4
	v_cndmask_b32_e64 v87, v87, v84, s4
	v_cmp_eq_u32_e64 s8, 3, v79
	v_cndmask_b32_e64 v88, v69, v66, s3
	v_or_b32_e32 v77, 2, v78
	v_cndmask_b32_e64 v81, v81, v95, s7
	v_cndmask_b32_e64 v87, v87, v98, s7
	;; [unrolled: 1-line block ×4, first 2 shown]
	v_cmp_eq_u32_e64 s10, 5, v78
	v_cndmask_b32_e64 v81, v81, v71, s9
	v_cndmask_b32_e64 v87, v87, v85, s9
	v_cmp_eq_u32_e64 s11, 4, v79
	v_cndmask_b32_e64 v88, v88, v95, s8
	v_cmp_eq_u32_e64 s5, 1, v77
	v_cndmask_b32_e64 v89, v89, v84, s6
	v_cndmask_b32_e64 v81, v81, v96, s10
	v_cmp_eq_u32_e64 s12, 6, v78
	v_cndmask_b32_e64 v88, v88, v71, s11
	;; [unrolled: 3-line block ×3, first 2 shown]
	v_cndmask_b32_e64 v89, v89, v98, s8
	v_cndmask_b32_e64 v81, v81, v72, s12
	v_cmp_eq_u32_e64 s15, 7, v78
	v_cndmask_b32_e64 v88, v88, v96, s13
	v_cndmask_b32_e64 v87, v87, v86, s12
	v_cmp_eq_u32_e64 s16, 6, v79
	v_cmp_eq_u32_e64 s17, 2, v77
	v_cndmask_b32_e64 v89, v89, v85, s11
	v_cndmask_b32_e64 v101, v81, v97, s15
	;; [unrolled: 1-line block ×6, first 2 shown]
	v_cmp_eq_u32_e64 s18, 7, v79
	v_cmp_eq_u32_e64 s19, 3, v77
	;; [unrolled: 1-line block ×4, first 2 shown]
	v_cndmask_b32_e64 v87, v87, v84, s17
	v_cndmask_b32_e64 v103, v88, v97, s18
	;; [unrolled: 1-line block ×4, first 2 shown]
	v_or_b32_e32 v81, 3, v78
	v_cndmask_b32_e64 v93, v87, v98, s19
	v_cmp_eq_u32_e64 s24, 6, v77
	v_cndmask_b32_e64 v104, v88, v86, s16
	v_cndmask_b32_e64 v92, v89, v71, s20
	v_cmp_eq_u32_e64 s21, 1, v81
	ds_load_b128 v[87:90], v82 offset:1024
	v_cmp_eq_u32_e64 s23, 2, v81
	v_cmp_eq_u32_e64 s25, 3, v81
	v_cndmask_b32_e64 v105, v92, v96, s22
	v_cndmask_b32_e64 v66, v69, v66, s21
	;; [unrolled: 1-line block ×4, first 2 shown]
	ds_load_b128 v[91:94], v82 offset:1040
	v_cmp_eq_u32_e64 s26, 4, v81
	v_cndmask_b32_e64 v66, v66, v70, s23
	v_cmp_eq_u32_e64 s27, 7, v77
	v_cndmask_b32_e64 v70, v83, v84, s23
	v_cndmask_b32_e64 v84, v105, v72, s24
	v_cmp_eq_u32_e64 s28, 5, v81
	v_cndmask_b32_e64 v66, v66, v95, s25
	v_cmp_eq_u32_e64 s29, 6, v81
	v_cndmask_b32_e64 v70, v70, v98, s25
	v_cndmask_b32_e64 v69, v69, v99, s22
	;; [unrolled: 1-line block ×4, first 2 shown]
	s_waitcnt lgkmcnt(1)
	v_lshrrev_b32_e32 v95, 16, v87
	v_cndmask_b32_e64 v70, v70, v85, s26
	v_cndmask_b32_e64 v71, v84, v97, s27
	;; [unrolled: 1-line block ×4, first 2 shown]
	v_cndmask_b32_e32 v84, v87, v95, vcc_lo
	v_cndmask_b32_e64 v70, v70, v99, s28
	s_waitcnt lgkmcnt(0)
	v_lshrrev_b32_e32 v85, 16, v91
	v_lshrrev_b32_e32 v96, 16, v88
	v_cndmask_b32_e64 v98, v87, v95, s3
	v_cndmask_b32_e64 v84, v84, v88, s4
	v_cndmask_b32_e64 v70, v70, v86, s29
	v_cndmask_b32_e32 v99, v91, v85, vcc_lo
	v_cmp_eq_u32_e32 vcc_lo, 7, v81
	v_cndmask_b32_e64 v66, v66, v72, s29
	v_cndmask_b32_e64 v72, v84, v96, s7
	;; [unrolled: 1-line block ×3, first 2 shown]
	v_lshrrev_b32_e32 v98, 16, v92
	v_cndmask_b32_e32 v70, v70, v100, vcc_lo
	v_cndmask_b32_e64 v86, v99, v92, s4
	v_cndmask_b32_e64 v69, v69, v100, s27
	v_lshrrev_b32_e32 v100, 16, v93
	v_cndmask_b32_e64 v72, v72, v89, s9
	v_lshrrev_b32_e32 v99, 16, v89
	v_cndmask_b32_e64 v86, v86, v98, s7
	v_perm_b32 v71, v69, v71, 0x5040100
	v_cndmask_b32_e64 v84, v84, v96, s8
	s_delay_alu instid0(VALU_DEP_3) | instskip(NEXT) | instid1(VALU_DEP_2)
	v_cndmask_b32_e64 v86, v86, v93, s9
	v_cndmask_b32_e64 v84, v84, v89, s11
	s_delay_alu instid0(VALU_DEP_2) | instskip(NEXT) | instid1(VALU_DEP_1)
	v_cndmask_b32_e64 v86, v86, v100, s10
	v_cndmask_b32_e64 v69, v86, v94, s12
	;; [unrolled: 1-line block ×5, first 2 shown]
	s_delay_alu instid0(VALU_DEP_3) | instskip(NEXT) | instid1(VALU_DEP_3)
	v_cndmask_b32_e64 v86, v86, v88, s17
	v_cndmask_b32_e64 v87, v87, v88, s23
	s_delay_alu instid0(VALU_DEP_3) | instskip(NEXT) | instid1(VALU_DEP_3)
	v_cndmask_b32_e64 v88, v95, v92, s23
	v_cndmask_b32_e64 v86, v86, v96, s19
	;; [unrolled: 3-line block ×7, first 2 shown]
	s_delay_alu instid0(VALU_DEP_3) | instskip(SKIP_2) | instid1(VALU_DEP_2)
	v_cndmask_b32_e64 v88, v88, v94, s29
	v_cndmask_b32_e32 v66, v66, v97, vcc_lo
	v_cndmask_b32_e64 v97, v72, v99, s10
	v_perm_b32 v72, v70, v66, 0x5040100
	v_perm_b32 v70, v83, v103, 0x5040100
	v_cndmask_b32_e64 v103, v91, v85, s5
	v_cndmask_b32_e64 v85, v91, v85, s3
	;; [unrolled: 1-line block ×4, first 2 shown]
	v_lshrrev_b32_e32 v97, 16, v90
	v_cndmask_b32_e64 v91, v103, v92, s17
	v_cndmask_b32_e64 v85, v85, v92, s6
	;; [unrolled: 1-line block ×3, first 2 shown]
	s_mov_b32 s3, exec_lo
	v_cndmask_b32_e64 v83, v84, v97, s15
	v_cndmask_b32_e64 v91, v91, v98, s19
	;; [unrolled: 1-line block ×3, first 2 shown]
	v_lshrrev_b32_e32 v84, 16, v94
	v_cndmask_b32_e64 v66, v66, v97, s18
	v_cndmask_b32_e64 v90, v86, v97, s27
	;; [unrolled: 1-line block ×4, first 2 shown]
	v_dual_cndmask_b32 v86, v87, v97 :: v_dual_cndmask_b32 v87, v88, v84
	v_cndmask_b32_e64 v91, v69, v84, s15
	s_delay_alu instid0(VALU_DEP_4) | instskip(NEXT) | instid1(VALU_DEP_4)
	v_cndmask_b32_e64 v89, v89, v100, s22
	v_cndmask_b32_e64 v85, v85, v100, s13
	v_perm_b32 v69, v102, v101, 0x5040100
	v_perm_b32 v86, v87, v86, 0x5040100
	;; [unrolled: 1-line block ×3, first 2 shown]
	v_cndmask_b32_e64 v89, v89, v94, s24
	v_cndmask_b32_e64 v85, v85, v94, s16
	s_mul_i32 s8, s35, 6
	s_delay_alu instid0(VALU_DEP_2) | instskip(NEXT) | instid1(VALU_DEP_2)
	v_cndmask_b32_e64 v88, v89, v84, s27
	v_cndmask_b32_e64 v89, v85, v84, s18
	s_delay_alu instid0(VALU_DEP_2) | instskip(NEXT) | instid1(VALU_DEP_2)
	v_perm_b32 v85, v88, v90, 0x5040100
	v_perm_b32 v84, v89, v66, 0x5040100
	ds_store_b128 v76, v[69:72]
	ds_store_b128 v76, v[83:86] offset:1024
	v_cmpx_gt_u32_e32 6, v0
	s_cbranch_execz .LBB1451_78
; %bb.77:
	s_mul_i32 s4, s8, s30
	s_delay_alu instid0(SALU_CYCLE_1) | instskip(SKIP_1) | instid1(VALU_DEP_1)
	v_add3_u32 v69, s4, s31, v65
	s_load_b128 s[4:7], s[0:1], 0x58
	v_mad_u64_u32 v[65:66], null, v69, s34, s[14:15]
	s_delay_alu instid0(VALU_DEP_1) | instskip(NEXT) | instid1(VALU_DEP_1)
	v_ashrrev_i32_e32 v66, 31, v65
	v_lshlrev_b64 v[65:66], 2, v[65:66]
	s_waitcnt lgkmcnt(0)
	s_delay_alu instid0(VALU_DEP_1) | instskip(NEXT) | instid1(VALU_DEP_2)
	v_add_co_u32 v69, vcc_lo, s6, v65
	v_add_co_ci_u32_e32 v70, vcc_lo, s7, v66, vcc_lo
	v_add_co_u32 v65, vcc_lo, s4, v65
	v_add_co_ci_u32_e32 v66, vcc_lo, s5, v66, vcc_lo
	global_store_b32 v[69:70], v67, off
	global_store_b32 v[65:66], v68, off
.LBB1451_78:
	s_or_b32 exec_lo, exec_lo, s3
	s_waitcnt lgkmcnt(0)
	s_waitcnt_vscnt null, 0x0
	s_barrier
	buffer_gl0_inv
	ds_load_b128 v[83:86], v80
	ds_load_b128 v[87:90], v80 offset:16
	ds_load_b128 v[95:98], v80 offset:2064
	;; [unrolled: 1-line block ×3, first 2 shown]
	v_mov_b32_e32 v65, 0
	ds_load_b128 v[103:106], v80 offset:4112
	ds_load_b128 v[99:102], v80 offset:4096
	;; [unrolled: 1-line block ×4, first 2 shown]
	v_mov_b32_e32 v66, v65
	v_mov_b32_e32 v67, v65
	;; [unrolled: 1-line block ×7, first 2 shown]
	s_waitcnt lgkmcnt(6)
	s_delay_alu instid0(VALU_DEP_1)
	v_wmma_f32_16x16x16_bf16 v[65:72], v[57:64], v[83:90], v[65:72]
	ds_load_b128 v[61:64], v80 offset:8208
	ds_load_b128 v[57:60], v80 offset:8192
	s_waitcnt lgkmcnt(6)
	v_wmma_f32_16x16x16_bf16 v[65:72], v[41:48], v[91:98], v[65:72]
	ds_load_b128 v[45:48], v80 offset:10256
	ds_load_b128 v[41:44], v80 offset:10240
	s_waitcnt lgkmcnt(6)
	v_wmma_f32_16x16x16_bf16 v[65:72], v[33:40], v[99:106], v[65:72]
	ds_load_b128 v[37:40], v80 offset:12304
	ds_load_b128 v[33:36], v80 offset:12288
	s_waitcnt lgkmcnt(6)
	v_wmma_f32_16x16x16_bf16 v[65:72], v[25:32], v[107:114], v[65:72]
	ds_load_b128 v[29:32], v80 offset:14352
	ds_load_b128 v[25:28], v80 offset:14336
	s_waitcnt lgkmcnt(6)
	v_wmma_f32_16x16x16_bf16 v[65:72], v[1:8], v[57:64], v[65:72]
	s_waitcnt lgkmcnt(4)
	s_delay_alu instid0(VALU_DEP_1) | instskip(SKIP_1) | instid1(VALU_DEP_1)
	v_wmma_f32_16x16x16_bf16 v[65:72], v[9:16], v[41:48], v[65:72]
	s_waitcnt lgkmcnt(2)
	v_wmma_f32_16x16x16_bf16 v[65:72], v[17:24], v[33:40], v[65:72]
	s_waitcnt lgkmcnt(0)
	s_delay_alu instid0(VALU_DEP_1) | instskip(NEXT) | instid1(VALU_DEP_1)
	v_wmma_f32_16x16x16_bf16 v[65:72], v[49:56], v[25:32], v[65:72]
	v_and_b32_e32 v1, 0x7f800000, v65
	s_delay_alu instid0(VALU_DEP_1) | instskip(SKIP_1) | instid1(SALU_CYCLE_1)
	v_cmp_ne_u32_e32 vcc_lo, 0x7f800000, v1
                                        ; implicit-def: $vgpr1
	s_and_saveexec_b32 s3, vcc_lo
	s_xor_b32 s3, exec_lo, s3
; %bb.79:
	v_bfe_u32 v1, v65, 16, 1
	s_delay_alu instid0(VALU_DEP_1)
	v_add3_u32 v1, v65, v1, 0x7fff
; %bb.80:
	s_and_not1_saveexec_b32 s3, s3
; %bb.81:
	v_and_b32_e32 v1, 0xffff, v65
	v_or_b32_e32 v2, 0x10000, v65
	s_delay_alu instid0(VALU_DEP_2) | instskip(NEXT) | instid1(VALU_DEP_2)
	v_cmp_eq_u32_e32 vcc_lo, 0, v1
	v_cndmask_b32_e32 v1, v2, v65, vcc_lo
; %bb.82:
	s_or_b32 exec_lo, exec_lo, s3
	v_and_b32_e32 v2, 0x7f800000, v66
	s_delay_alu instid0(VALU_DEP_1) | instskip(SKIP_1) | instid1(SALU_CYCLE_1)
	v_cmp_ne_u32_e32 vcc_lo, 0x7f800000, v2
                                        ; implicit-def: $vgpr2
	s_and_saveexec_b32 s3, vcc_lo
	s_xor_b32 s3, exec_lo, s3
; %bb.83:
	v_bfe_u32 v2, v66, 16, 1
	s_delay_alu instid0(VALU_DEP_1)
	v_add3_u32 v2, v66, v2, 0x7fff
; %bb.84:
	s_and_not1_saveexec_b32 s3, s3
; %bb.85:
	v_and_b32_e32 v2, 0xffff, v66
	v_or_b32_e32 v3, 0x10000, v66
	s_delay_alu instid0(VALU_DEP_2) | instskip(NEXT) | instid1(VALU_DEP_2)
	v_cmp_eq_u32_e32 vcc_lo, 0, v2
	v_cndmask_b32_e32 v2, v3, v66, vcc_lo
; %bb.86:
	s_or_b32 exec_lo, exec_lo, s3
	v_and_b32_e32 v3, 0x7f800000, v67
	s_delay_alu instid0(VALU_DEP_1) | instskip(SKIP_1) | instid1(SALU_CYCLE_1)
	v_cmp_ne_u32_e32 vcc_lo, 0x7f800000, v3
                                        ; implicit-def: $vgpr3
	s_and_saveexec_b32 s3, vcc_lo
	s_xor_b32 s3, exec_lo, s3
; %bb.87:
	v_bfe_u32 v3, v67, 16, 1
	s_delay_alu instid0(VALU_DEP_1)
	v_add3_u32 v3, v67, v3, 0x7fff
; %bb.88:
	s_and_not1_saveexec_b32 s3, s3
; %bb.89:
	v_and_b32_e32 v3, 0xffff, v67
	v_or_b32_e32 v4, 0x10000, v67
	s_delay_alu instid0(VALU_DEP_2) | instskip(NEXT) | instid1(VALU_DEP_2)
	v_cmp_eq_u32_e32 vcc_lo, 0, v3
	v_cndmask_b32_e32 v3, v4, v67, vcc_lo
; %bb.90:
	s_or_b32 exec_lo, exec_lo, s3
	v_and_b32_e32 v4, 0x7f800000, v68
	s_delay_alu instid0(VALU_DEP_1) | instskip(SKIP_1) | instid1(SALU_CYCLE_1)
	v_cmp_ne_u32_e32 vcc_lo, 0x7f800000, v4
                                        ; implicit-def: $vgpr4
	s_and_saveexec_b32 s3, vcc_lo
	s_xor_b32 s3, exec_lo, s3
; %bb.91:
	v_bfe_u32 v4, v68, 16, 1
	s_delay_alu instid0(VALU_DEP_1)
	v_add3_u32 v4, v68, v4, 0x7fff
; %bb.92:
	s_and_not1_saveexec_b32 s3, s3
; %bb.93:
	v_and_b32_e32 v4, 0xffff, v68
	v_or_b32_e32 v5, 0x10000, v68
	s_delay_alu instid0(VALU_DEP_2) | instskip(NEXT) | instid1(VALU_DEP_2)
	v_cmp_eq_u32_e32 vcc_lo, 0, v4
	v_cndmask_b32_e32 v4, v5, v68, vcc_lo
; %bb.94:
	s_or_b32 exec_lo, exec_lo, s3
	v_and_b32_e32 v5, 0x7f800000, v69
	s_delay_alu instid0(VALU_DEP_1) | instskip(SKIP_1) | instid1(SALU_CYCLE_1)
	v_cmp_ne_u32_e32 vcc_lo, 0x7f800000, v5
                                        ; implicit-def: $vgpr5
	s_and_saveexec_b32 s3, vcc_lo
	s_xor_b32 s3, exec_lo, s3
; %bb.95:
	v_bfe_u32 v5, v69, 16, 1
	s_delay_alu instid0(VALU_DEP_1)
	v_add3_u32 v5, v69, v5, 0x7fff
; %bb.96:
	s_and_not1_saveexec_b32 s3, s3
; %bb.97:
	v_and_b32_e32 v5, 0xffff, v69
	v_or_b32_e32 v6, 0x10000, v69
	s_delay_alu instid0(VALU_DEP_2) | instskip(NEXT) | instid1(VALU_DEP_2)
	v_cmp_eq_u32_e32 vcc_lo, 0, v5
	v_cndmask_b32_e32 v5, v6, v69, vcc_lo
; %bb.98:
	s_or_b32 exec_lo, exec_lo, s3
	v_and_b32_e32 v6, 0x7f800000, v70
	s_delay_alu instid0(VALU_DEP_1) | instskip(SKIP_1) | instid1(SALU_CYCLE_1)
	v_cmp_ne_u32_e32 vcc_lo, 0x7f800000, v6
                                        ; implicit-def: $vgpr6
	s_and_saveexec_b32 s3, vcc_lo
	s_xor_b32 s3, exec_lo, s3
; %bb.99:
	v_bfe_u32 v6, v70, 16, 1
	s_delay_alu instid0(VALU_DEP_1)
	v_add3_u32 v6, v70, v6, 0x7fff
; %bb.100:
	s_and_not1_saveexec_b32 s3, s3
; %bb.101:
	v_and_b32_e32 v6, 0xffff, v70
	v_or_b32_e32 v7, 0x10000, v70
	s_delay_alu instid0(VALU_DEP_2) | instskip(NEXT) | instid1(VALU_DEP_2)
	v_cmp_eq_u32_e32 vcc_lo, 0, v6
	v_cndmask_b32_e32 v6, v7, v70, vcc_lo
; %bb.102:
	s_or_b32 exec_lo, exec_lo, s3
	v_and_b32_e32 v7, 0x7f800000, v71
	s_delay_alu instid0(VALU_DEP_1) | instskip(SKIP_1) | instid1(SALU_CYCLE_1)
	v_cmp_ne_u32_e32 vcc_lo, 0x7f800000, v7
                                        ; implicit-def: $vgpr7
	s_and_saveexec_b32 s3, vcc_lo
	s_xor_b32 s3, exec_lo, s3
; %bb.103:
	v_bfe_u32 v7, v71, 16, 1
	s_delay_alu instid0(VALU_DEP_1)
	v_add3_u32 v7, v71, v7, 0x7fff
; %bb.104:
	s_and_not1_saveexec_b32 s3, s3
; %bb.105:
	v_and_b32_e32 v7, 0xffff, v71
	v_or_b32_e32 v8, 0x10000, v71
	s_delay_alu instid0(VALU_DEP_2) | instskip(NEXT) | instid1(VALU_DEP_2)
	v_cmp_eq_u32_e32 vcc_lo, 0, v7
	v_cndmask_b32_e32 v7, v8, v71, vcc_lo
; %bb.106:
	s_or_b32 exec_lo, exec_lo, s3
	v_and_b32_e32 v8, 0x7f800000, v72
	s_delay_alu instid0(VALU_DEP_1) | instskip(SKIP_1) | instid1(SALU_CYCLE_1)
	v_cmp_ne_u32_e32 vcc_lo, 0x7f800000, v8
                                        ; implicit-def: $vgpr8
	s_and_saveexec_b32 s3, vcc_lo
	s_xor_b32 s3, exec_lo, s3
; %bb.107:
	v_bfe_u32 v8, v72, 16, 1
	s_delay_alu instid0(VALU_DEP_1)
	v_add3_u32 v8, v72, v8, 0x7fff
                                        ; implicit-def: $vgpr65_vgpr66_vgpr67_vgpr68_vgpr69_vgpr70_vgpr71_vgpr72
; %bb.108:
	s_and_not1_saveexec_b32 s3, s3
; %bb.109:
	v_and_b32_e32 v8, 0xffff, v72
	v_or_b32_e32 v9, 0x10000, v72
	s_delay_alu instid0(VALU_DEP_2) | instskip(NEXT) | instid1(VALU_DEP_2)
	v_cmp_eq_u32_e32 vcc_lo, 0, v8
	v_cndmask_b32_e32 v8, v9, v72, vcc_lo
; %bb.110:
	s_or_b32 exec_lo, exec_lo, s3
	s_delay_alu instid0(VALU_DEP_1)
	v_perm_b32 v7, v8, v7, 0x7060302
	v_perm_b32 v6, v6, v5, 0x7060302
	;; [unrolled: 1-line block ×4, first 2 shown]
	s_barrier
	buffer_gl0_inv
	v_cmp_eq_u32_e32 vcc_lo, 1, v78
	ds_store_b128 v76, v[4:7]
	s_waitcnt lgkmcnt(0)
	s_barrier
	buffer_gl0_inv
	ds_load_b128 v[1:4], v82
	ds_load_b128 v[5:8], v82 offset:16
	v_cmp_eq_u32_e64 s3, 1, v79
	v_cmp_eq_u32_e64 s4, 2, v78
	;; [unrolled: 1-line block ×5, first 2 shown]
	s_waitcnt lgkmcnt(1)
	v_lshrrev_b32_e32 v9, 16, v1
	s_waitcnt lgkmcnt(0)
	v_lshrrev_b32_e32 v13, 16, v5
	v_lshrrev_b32_e32 v10, 16, v2
	;; [unrolled: 1-line block ×4, first 2 shown]
	v_cndmask_b32_e64 v19, v1, v9, s3
	v_cndmask_b32_e32 v18, v5, v13, vcc_lo
	v_cndmask_b32_e64 v20, v5, v13, s3
	v_cndmask_b32_e32 v17, v1, v9, vcc_lo
	v_cmp_eq_u32_e32 vcc_lo, 2, v79
	v_lshrrev_b32_e32 v15, 16, v7
	v_cmp_eq_u32_e64 s3, 1, v77
	v_lshrrev_b32_e32 v12, 16, v4
	v_lshrrev_b32_e32 v16, 16, v8
	v_cndmask_b32_e32 v20, v20, v6, vcc_lo
	v_cndmask_b32_e64 v17, v17, v2, s4
	v_cndmask_b32_e32 v19, v19, v2, vcc_lo
	v_cndmask_b32_e64 v18, v18, v6, s4
	v_cmp_eq_u32_e32 vcc_lo, 4, v78
	v_cmp_eq_u32_e64 s4, 3, v79
	v_cndmask_b32_e64 v17, v17, v10, s5
	v_cndmask_b32_e64 v21, v1, v9, s3
	;; [unrolled: 1-line block ×5, first 2 shown]
	v_cndmask_b32_e32 v17, v17, v3, vcc_lo
	v_cndmask_b32_e64 v20, v20, v14, s4
	v_cndmask_b32_e32 v18, v18, v7, vcc_lo
	v_cmp_eq_u32_e32 vcc_lo, 4, v79
	v_cmp_eq_u32_e64 s4, 5, v79
	v_cmp_eq_u32_e64 s3, 2, v81
	v_cndmask_b32_e64 v21, v21, v2, s7
	v_cmp_eq_u32_e64 s5, 5, v78
	v_cndmask_b32_e32 v19, v19, v3, vcc_lo
	v_cndmask_b32_e32 v20, v20, v7, vcc_lo
	v_cmp_eq_u32_e32 vcc_lo, 6, v79
	s_delay_alu instid0(VALU_DEP_4) | instskip(NEXT) | instid1(VALU_DEP_4)
	v_cndmask_b32_e64 v17, v17, v11, s5
	v_cndmask_b32_e64 v19, v19, v11, s4
	s_delay_alu instid0(VALU_DEP_4) | instskip(SKIP_1) | instid1(VALU_DEP_3)
	v_cndmask_b32_e64 v20, v20, v15, s4
	v_cmp_eq_u32_e64 s4, 1, v81
	v_cndmask_b32_e32 v19, v19, v4, vcc_lo
	v_cndmask_b32_e64 v18, v18, v15, s5
	s_delay_alu instid0(VALU_DEP_3)
	v_cndmask_b32_e64 v1, v1, v9, s4
	v_cndmask_b32_e64 v5, v5, v13, s4
	v_cmp_eq_u32_e64 s4, 3, v77
	v_cndmask_b32_e64 v13, v22, v6, s7
	v_cmp_eq_u32_e64 s7, 3, v81
	v_cndmask_b32_e64 v1, v1, v2, s3
	v_cndmask_b32_e64 v2, v5, v6, s3
	v_cndmask_b32_e64 v9, v21, v10, s4
	v_cmp_eq_u32_e64 s3, 4, v77
	v_cndmask_b32_e64 v6, v13, v14, s4
	v_cndmask_b32_e64 v1, v1, v10, s7
	v_cmp_eq_u32_e64 s4, 4, v81
	v_cndmask_b32_e64 v2, v2, v14, s7
	v_cndmask_b32_e64 v5, v9, v3, s3
	;; [unrolled: 3-line block ×3, first 2 shown]
	v_cndmask_b32_e64 v2, v2, v7, s4
	v_cmp_eq_u32_e64 s3, 5, v81
	v_cmp_eq_u32_e64 s5, 6, v78
	v_cndmask_b32_e64 v5, v5, v11, s7
	v_cmp_eq_u32_e64 s4, 6, v77
	v_cndmask_b32_e64 v3, v6, v15, s7
	v_cndmask_b32_e64 v1, v1, v11, s3
	v_cmp_eq_u32_e64 s7, 6, v81
	v_cndmask_b32_e64 v2, v2, v15, s3
	v_cndmask_b32_e64 v17, v17, v4, s5
	v_cndmask_b32_e64 v18, v18, v8, s5
	v_cmp_eq_u32_e64 s5, 7, v78
	v_cndmask_b32_e64 v5, v5, v4, s4
	;; [unrolled: 4-line block ×3, first 2 shown]
	v_cmp_eq_u32_e64 s4, 7, v77
	v_cndmask_b32_e32 v4, v20, v8, vcc_lo
	v_cndmask_b32_e64 v17, v17, v12, s5
	v_cndmask_b32_e64 v19, v19, v12, s6
	;; [unrolled: 1-line block ×8, first 2 shown]
	v_cmp_gt_u32_e32 vcc_lo, 32, v0
	v_perm_b32 v4, v2, v1, 0x5040100
	v_perm_b32 v3, v3, v5, 0x5040100
	;; [unrolled: 1-line block ×4, first 2 shown]
	s_and_b32 s2, vcc_lo, s2
	ds_store_b128 v76, v[1:4]
	s_waitcnt lgkmcnt(0)
	s_barrier
	buffer_gl0_inv
	s_and_saveexec_b32 s3, s2
	s_cbranch_execz .LBB1451_2
; %bb.111:
	s_load_b64 s[0:1], s[0:1], 0x68
	s_lshl_b32 s4, s34, 6
	v_or_b32_e32 v3, s31, v74
	s_mul_i32 s2, s4, s30
	v_lshlrev_b32_e32 v0, 10, v0
	s_mul_i32 s2, s2, s8
	v_lshlrev_b32_e32 v1, 4, v75
	s_ashr_i32 s3, s2, 31
	v_mul_lo_u32 v12, v3, s4
	s_lshl_b64 s[2:3], s[2:3], 1
	v_lshlrev_b32_e32 v2, 6, v74
	v_and_b32_e32 v0, 0x3800, v0
	s_delay_alu instid0(VALU_DEP_1) | instskip(NEXT) | instid1(VALU_DEP_4)
	v_or3_b32 v8, v0, v1, v2
	v_ashrrev_i32_e32 v13, 31, v12
	ds_load_b128 v[0:3], v8
	ds_load_b128 v[4:7], v8 offset:128
	ds_load_b128 v[8:11], v8 offset:256
	s_waitcnt lgkmcnt(0)
	s_add_u32 s2, s0, s2
	s_addc_u32 s3, s1, s3
	s_lshl_b32 s0, s14, 6
	s_delay_alu instid0(SALU_CYCLE_1) | instskip(NEXT) | instid1(SALU_CYCLE_1)
	s_ashr_i32 s1, s0, 31
	s_lshl_b64 s[0:1], s[0:1], 1
	s_delay_alu instid0(SALU_CYCLE_1)
	s_add_u32 s0, s2, s0
	s_addc_u32 s1, s3, s1
	s_lshl_b32 s2, s34, 7
	v_add_co_u32 v18, s0, s0, v73
	v_add_nc_u32_e32 v14, s2, v12
	v_lshlrev_b64 v[12:13], 1, v[12:13]
	v_add_co_ci_u32_e64 v19, null, s1, 0, s0
	s_delay_alu instid0(VALU_DEP_3) | instskip(SKIP_1) | instid1(VALU_DEP_4)
	v_add_nc_u32_e32 v16, s2, v14
	v_ashrrev_i32_e32 v15, 31, v14
	v_add_co_u32 v12, vcc_lo, v18, v12
	s_delay_alu instid0(VALU_DEP_4) | instskip(NEXT) | instid1(VALU_DEP_4)
	v_add_co_ci_u32_e32 v13, vcc_lo, v19, v13, vcc_lo
	v_ashrrev_i32_e32 v17, 31, v16
	s_delay_alu instid0(VALU_DEP_4) | instskip(NEXT) | instid1(VALU_DEP_2)
	v_lshlrev_b64 v[14:15], 1, v[14:15]
	v_lshlrev_b64 v[16:17], 1, v[16:17]
	s_delay_alu instid0(VALU_DEP_2) | instskip(NEXT) | instid1(VALU_DEP_3)
	v_add_co_u32 v14, vcc_lo, v18, v14
	v_add_co_ci_u32_e32 v15, vcc_lo, v19, v15, vcc_lo
	s_delay_alu instid0(VALU_DEP_3) | instskip(NEXT) | instid1(VALU_DEP_4)
	v_add_co_u32 v16, vcc_lo, v18, v16
	v_add_co_ci_u32_e32 v17, vcc_lo, v19, v17, vcc_lo
	s_clause 0x2
	global_store_b128 v[12:13], v[0:3], off
	global_store_b128 v[14:15], v[4:7], off
	;; [unrolled: 1-line block ×3, first 2 shown]
	s_nop 0
	s_sendmsg sendmsg(MSG_DEALLOC_VGPRS)
	s_endpgm
	.section	.rodata,"a",@progbits
	.p2align	6, 0x0
	.amdhsa_kernel _Z39paged_attention_ll4mi_QKV_mfma16_kernelI14__hip_bfloat16hLN4vllm18Fp8KVCacheDataTypeE1EhLi32ELi64ELi256ELb0ELi6EL8MFMAType1EEvPKT_PKT0_S9_ifPKiSB_SB_iPKfiiiPfSE_PS4_PT2_iSD_SD_
		.amdhsa_group_segment_fixed_size 17472
		.amdhsa_private_segment_fixed_size 0
		.amdhsa_kernarg_size 400
		.amdhsa_user_sgpr_count 13
		.amdhsa_user_sgpr_dispatch_ptr 0
		.amdhsa_user_sgpr_queue_ptr 0
		.amdhsa_user_sgpr_kernarg_segment_ptr 1
		.amdhsa_user_sgpr_dispatch_id 0
		.amdhsa_user_sgpr_private_segment_size 0
		.amdhsa_wavefront_size32 1
		.amdhsa_uses_dynamic_stack 0
		.amdhsa_enable_private_segment 0
		.amdhsa_system_sgpr_workgroup_id_x 1
		.amdhsa_system_sgpr_workgroup_id_y 1
		.amdhsa_system_sgpr_workgroup_id_z 1
		.amdhsa_system_sgpr_workgroup_info 0
		.amdhsa_system_vgpr_workitem_id 0
		.amdhsa_next_free_vgpr 124
		.amdhsa_next_free_sgpr 40
		.amdhsa_reserve_vcc 1
		.amdhsa_float_round_mode_32 0
		.amdhsa_float_round_mode_16_64 0
		.amdhsa_float_denorm_mode_32 3
		.amdhsa_float_denorm_mode_16_64 3
		.amdhsa_dx10_clamp 1
		.amdhsa_ieee_mode 1
		.amdhsa_fp16_overflow 0
		.amdhsa_workgroup_processor_mode 1
		.amdhsa_memory_ordered 1
		.amdhsa_forward_progress 0
		.amdhsa_shared_vgpr_count 0
		.amdhsa_exception_fp_ieee_invalid_op 0
		.amdhsa_exception_fp_denorm_src 0
		.amdhsa_exception_fp_ieee_div_zero 0
		.amdhsa_exception_fp_ieee_overflow 0
		.amdhsa_exception_fp_ieee_underflow 0
		.amdhsa_exception_fp_ieee_inexact 0
		.amdhsa_exception_int_div_zero 0
	.end_amdhsa_kernel
	.section	.text._Z39paged_attention_ll4mi_QKV_mfma16_kernelI14__hip_bfloat16hLN4vllm18Fp8KVCacheDataTypeE1EhLi32ELi64ELi256ELb0ELi6EL8MFMAType1EEvPKT_PKT0_S9_ifPKiSB_SB_iPKfiiiPfSE_PS4_PT2_iSD_SD_,"axG",@progbits,_Z39paged_attention_ll4mi_QKV_mfma16_kernelI14__hip_bfloat16hLN4vllm18Fp8KVCacheDataTypeE1EhLi32ELi64ELi256ELb0ELi6EL8MFMAType1EEvPKT_PKT0_S9_ifPKiSB_SB_iPKfiiiPfSE_PS4_PT2_iSD_SD_,comdat
.Lfunc_end1451:
	.size	_Z39paged_attention_ll4mi_QKV_mfma16_kernelI14__hip_bfloat16hLN4vllm18Fp8KVCacheDataTypeE1EhLi32ELi64ELi256ELb0ELi6EL8MFMAType1EEvPKT_PKT0_S9_ifPKiSB_SB_iPKfiiiPfSE_PS4_PT2_iSD_SD_, .Lfunc_end1451-_Z39paged_attention_ll4mi_QKV_mfma16_kernelI14__hip_bfloat16hLN4vllm18Fp8KVCacheDataTypeE1EhLi32ELi64ELi256ELb0ELi6EL8MFMAType1EEvPKT_PKT0_S9_ifPKiSB_SB_iPKfiiiPfSE_PS4_PT2_iSD_SD_
                                        ; -- End function
	.section	.AMDGPU.csdata,"",@progbits
; Kernel info:
; codeLenInByte = 8760
; NumSgprs: 42
; NumVgprs: 124
; ScratchSize: 0
; MemoryBound: 0
; FloatMode: 240
; IeeeMode: 1
; LDSByteSize: 17472 bytes/workgroup (compile time only)
; SGPRBlocks: 5
; VGPRBlocks: 15
; NumSGPRsForWavesPerEU: 42
; NumVGPRsForWavesPerEU: 124
; Occupancy: 10
; WaveLimiterHint : 1
; COMPUTE_PGM_RSRC2:SCRATCH_EN: 0
; COMPUTE_PGM_RSRC2:USER_SGPR: 13
; COMPUTE_PGM_RSRC2:TRAP_HANDLER: 0
; COMPUTE_PGM_RSRC2:TGID_X_EN: 1
; COMPUTE_PGM_RSRC2:TGID_Y_EN: 1
; COMPUTE_PGM_RSRC2:TGID_Z_EN: 1
; COMPUTE_PGM_RSRC2:TIDIG_COMP_CNT: 0
	.section	.text._Z39paged_attention_ll4mi_QKV_mfma16_kernelI14__hip_bfloat16hLN4vllm18Fp8KVCacheDataTypeE1EhLi32ELi64ELi256ELb0ELi7EL8MFMAType1EEvPKT_PKT0_S9_ifPKiSB_SB_iPKfiiiPfSE_PS4_PT2_iSD_SD_,"axG",@progbits,_Z39paged_attention_ll4mi_QKV_mfma16_kernelI14__hip_bfloat16hLN4vllm18Fp8KVCacheDataTypeE1EhLi32ELi64ELi256ELb0ELi7EL8MFMAType1EEvPKT_PKT0_S9_ifPKiSB_SB_iPKfiiiPfSE_PS4_PT2_iSD_SD_,comdat
	.protected	_Z39paged_attention_ll4mi_QKV_mfma16_kernelI14__hip_bfloat16hLN4vllm18Fp8KVCacheDataTypeE1EhLi32ELi64ELi256ELb0ELi7EL8MFMAType1EEvPKT_PKT0_S9_ifPKiSB_SB_iPKfiiiPfSE_PS4_PT2_iSD_SD_ ; -- Begin function _Z39paged_attention_ll4mi_QKV_mfma16_kernelI14__hip_bfloat16hLN4vllm18Fp8KVCacheDataTypeE1EhLi32ELi64ELi256ELb0ELi7EL8MFMAType1EEvPKT_PKT0_S9_ifPKiSB_SB_iPKfiiiPfSE_PS4_PT2_iSD_SD_
	.globl	_Z39paged_attention_ll4mi_QKV_mfma16_kernelI14__hip_bfloat16hLN4vllm18Fp8KVCacheDataTypeE1EhLi32ELi64ELi256ELb0ELi7EL8MFMAType1EEvPKT_PKT0_S9_ifPKiSB_SB_iPKfiiiPfSE_PS4_PT2_iSD_SD_
	.p2align	8
	.type	_Z39paged_attention_ll4mi_QKV_mfma16_kernelI14__hip_bfloat16hLN4vllm18Fp8KVCacheDataTypeE1EhLi32ELi64ELi256ELb0ELi7EL8MFMAType1EEvPKT_PKT0_S9_ifPKiSB_SB_iPKfiiiPfSE_PS4_PT2_iSD_SD_,@function
_Z39paged_attention_ll4mi_QKV_mfma16_kernelI14__hip_bfloat16hLN4vllm18Fp8KVCacheDataTypeE1EhLi32ELi64ELi256ELb0ELi7EL8MFMAType1EEvPKT_PKT0_S9_ifPKiSB_SB_iPKfiiiPfSE_PS4_PT2_iSD_SD_: ; @_Z39paged_attention_ll4mi_QKV_mfma16_kernelI14__hip_bfloat16hLN4vllm18Fp8KVCacheDataTypeE1EhLi32ELi64ELi256ELb0ELi7EL8MFMAType1EEvPKT_PKT0_S9_ifPKiSB_SB_iPKfiiiPfSE_PS4_PT2_iSD_SD_
; %bb.0:
	s_load_b64 s[2:3], s[0:1], 0x30
	s_mov_b32 s34, s13
	s_waitcnt lgkmcnt(0)
	s_cmp_lg_u64 s[2:3], 0
	s_cselect_b32 s8, -1, 0
	s_ashr_i32 s35, s13, 31
	s_cmp_eq_u64 s[2:3], 0
	s_cbranch_scc1 .LBB1452_3
; %bb.1:
	s_lshl_b64 s[4:5], s[34:35], 2
	s_delay_alu instid0(SALU_CYCLE_1) | instskip(SKIP_4) | instid1(SALU_CYCLE_1)
	s_add_u32 s4, s2, s4
	s_addc_u32 s5, s3, s5
	s_load_b64 s[4:5], s[4:5], 0x0
	s_waitcnt lgkmcnt(0)
	s_sub_i32 s4, s5, s4
	s_cmp_eq_u32 s4, 1
	s_cselect_b32 s4, -1, 0
	s_delay_alu instid0(SALU_CYCLE_1)
	s_and_not1_b32 vcc_lo, exec_lo, s4
	s_cbranch_vccz .LBB1452_4
.LBB1452_2:
	s_nop 0
	s_sendmsg sendmsg(MSG_DEALLOC_VGPRS)
	s_endpgm
.LBB1452_3:
.LBB1452_4:
	s_load_b64 s[4:5], s[0:1], 0x28
	s_lshl_b64 s[6:7], s[34:35], 2
	s_waitcnt lgkmcnt(0)
	s_add_u32 s4, s4, s6
	s_addc_u32 s5, s5, s7
	s_lshl_b32 s12, s14, 8
	s_load_b32 s24, s[4:5], 0x0
	s_waitcnt lgkmcnt(0)
	s_cmp_ge_i32 s12, s24
	s_cbranch_scc1 .LBB1452_2
; %bb.5:
	s_clause 0x1
	s_load_b128 s[20:23], s[0:1], 0x8
	s_load_b64 s[4:5], s[0:1], 0x20
	s_and_not1_b32 vcc_lo, exec_lo, s8
	s_cbranch_vccnz .LBB1452_7
; %bb.6:
	s_add_u32 s2, s2, s6
	s_addc_u32 s3, s3, s7
	s_load_b32 s3, s[2:3], 0x0
	s_branch .LBB1452_8
.LBB1452_7:
	s_mov_b32 s3, s34
.LBB1452_8:
	s_load_b128 s[16:19], s[0:1], 0x48
	v_lshrrev_b32_e32 v66, 5, v0
	v_bfe_u32 v74, v0, 4, 1
	v_and_b32_e32 v65, 15, v0
	v_and_b32_e32 v67, 31, v0
	;; [unrolled: 1-line block ×3, first 2 shown]
	s_mul_i32 s31, s15, 7
	v_lshl_or_b32 v1, v66, 1, v74
	v_lshlrev_b32_e32 v2, 3, v65
	v_cmp_gt_u32_e64 s2, 8, v65
	s_delay_alu instid0(VALU_DEP_3) | instskip(NEXT) | instid1(VALU_DEP_3)
	v_cmp_gt_u32_e32 vcc_lo, 7, v1
	v_lshlrev_b32_e32 v73, 1, v2
	s_delay_alu instid0(VALU_DEP_3) | instskip(NEXT) | instid1(SALU_CYCLE_1)
	s_and_b32 s7, s2, vcc_lo
	s_and_saveexec_b32 s6, s7
	s_cbranch_execz .LBB1452_10
; %bb.9:
	s_load_b64 s[8:9], s[0:1], 0x0
	v_add_lshl_u32 v2, v1, s31, 6
	s_waitcnt lgkmcnt(0)
	s_mul_hi_i32 s11, s3, s16
	s_mul_i32 s10, s3, s16
	v_lshlrev_b32_e32 v6, 10, v65
	s_lshl_b64 s[10:11], s[10:11], 1
	v_ashrrev_i32_e32 v3, 31, v2
	v_lshlrev_b32_e32 v1, 6, v1
	v_lshlrev_b32_e32 v7, 10, v75
	v_and_b32_e32 v6, 0x3800, v6
	s_delay_alu instid0(VALU_DEP_4) | instskip(NEXT) | instid1(VALU_DEP_2)
	v_lshlrev_b64 v[2:3], 1, v[2:3]
	v_or3_b32 v1, v6, v7, v1
	s_add_u32 s3, s8, s10
	s_addc_u32 s7, s9, s11
	s_delay_alu instid0(VALU_DEP_2) | instskip(NEXT) | instid1(VALU_DEP_3)
	v_add_co_u32 v2, vcc_lo, s3, v2
	v_add_co_ci_u32_e32 v3, vcc_lo, s7, v3, vcc_lo
	s_delay_alu instid0(VALU_DEP_2) | instskip(NEXT) | instid1(VALU_DEP_2)
	v_add_co_u32 v2, vcc_lo, v2, v73
	v_add_co_ci_u32_e32 v3, vcc_lo, 0, v3, vcc_lo
	global_load_b128 v[2:5], v[2:3], off
	s_waitcnt vmcnt(0)
	ds_store_b128 v1, v[2:5]
.LBB1452_10:
	s_or_b32 exec_lo, exec_lo, s6
	v_and_b32_e32 v1, 0xef, v0
	s_waitcnt lgkmcnt(0)
	s_add_i32 s3, s24, 31
	s_clause 0x1
	s_load_b32 s6, s[0:1], 0x38
	s_load_b32 s19, s[0:1], 0x1c
	s_ashr_i32 s7, s3, 31
	v_add_nc_u32_e32 v1, s12, v1
	s_lshr_b32 s7, s7, 27
	s_waitcnt lgkmcnt(0)
	s_add_i32 s3, s3, s7
	s_barrier
	v_ashrrev_i32_e32 v2, 31, v1
	v_or_b32_e32 v3, 16, v1
	s_ashr_i32 s3, s3, 5
	v_cmp_gt_i32_e32 vcc_lo, s24, v1
	s_add_i32 s3, s3, -1
	v_lshrrev_b32_e32 v2, 27, v2
	buffer_gl0_inv
	s_mul_i32 s27, s15, s18
	v_add_nc_u32_e32 v4, v1, v2
	s_mul_i32 s6, s34, s6
	s_delay_alu instid0(SALU_CYCLE_1) | instskip(NEXT) | instid1(VALU_DEP_1)
	s_ashr_i32 s7, s6, 31
	v_ashrrev_i32_e32 v4, 5, v4
	v_add_nc_u32_e32 v2, v3, v2
	s_lshl_b64 s[6:7], s[6:7], 2
	s_delay_alu instid0(SALU_CYCLE_1) | instskip(NEXT) | instid1(VALU_DEP_2)
	s_add_u32 s26, s4, s6
	v_cndmask_b32_e32 v1, s3, v4, vcc_lo
	s_delay_alu instid0(VALU_DEP_2)
	v_ashrrev_i32_e32 v2, 5, v2
	v_cmp_gt_i32_e32 vcc_lo, s24, v3
	s_addc_u32 s25, s5, s7
	s_ashr_i32 s28, s27, 31
	s_add_u32 s4, s20, s27
	s_addc_u32 s5, s21, s28
	v_cndmask_b32_e32 v3, s3, v2, vcc_lo
	v_ashrrev_i32_e32 v2, 31, v1
	s_lshl_b32 s6, s14, 3
	s_delay_alu instid0(SALU_CYCLE_1) | instskip(NEXT) | instid1(VALU_DEP_2)
	s_ashr_i32 s7, s6, 31
	v_ashrrev_i32_e32 v4, 31, v3
	s_delay_alu instid0(VALU_DEP_2) | instskip(SKIP_1) | instid1(SALU_CYCLE_1)
	v_lshlrev_b64 v[1:2], 2, v[1:2]
	s_lshl_b64 s[6:7], s[6:7], 2
	s_add_u32 s6, s26, s6
	s_delay_alu instid0(VALU_DEP_2) | instskip(SKIP_1) | instid1(VALU_DEP_2)
	v_lshlrev_b64 v[3:4], 2, v[3:4]
	s_addc_u32 s7, s25, s7
	v_add_co_u32 v1, vcc_lo, s26, v1
	v_add_co_ci_u32_e32 v2, vcc_lo, s25, v2, vcc_lo
	s_delay_alu instid0(VALU_DEP_3) | instskip(NEXT) | instid1(VALU_DEP_4)
	v_add_co_u32 v3, vcc_lo, s26, v3
	v_add_co_ci_u32_e32 v4, vcc_lo, s25, v4, vcc_lo
	s_clause 0x1
	global_load_b32 v5, v[1:2], off
	global_load_b32 v6, v[3:4], off
	s_or_b32 s8, s12, 32
	s_delay_alu instid0(SALU_CYCLE_1) | instskip(SKIP_2) | instid1(SALU_CYCLE_1)
	s_ashr_i32 s9, s8, 5
	s_cmp_lt_i32 s8, s24
	s_cselect_b32 s8, s9, s3
	s_ashr_i32 s9, s8, 31
	s_delay_alu instid0(SALU_CYCLE_1) | instskip(NEXT) | instid1(SALU_CYCLE_1)
	s_lshl_b64 s[8:9], s[8:9], 2
	s_add_u32 s8, s26, s8
	s_addc_u32 s9, s25, s9
	s_or_b32 s10, s12, 64
	s_delay_alu instid0(SALU_CYCLE_1) | instskip(SKIP_2) | instid1(SALU_CYCLE_1)
	s_ashr_i32 s11, s10, 5
	s_cmp_lt_i32 s10, s24
	s_cselect_b32 s10, s11, s3
	s_ashr_i32 s11, s10, 31
	s_delay_alu instid0(SALU_CYCLE_1) | instskip(NEXT) | instid1(SALU_CYCLE_1)
	s_lshl_b64 s[10:11], s[10:11], 2
	s_add_u32 s10, s26, s10
	s_addc_u32 s11, s25, s11
	;; [unrolled: 10-line block ×5, first 2 shown]
	s_clause 0x5
	s_load_b32 s21, s[6:7], 0x0
	s_load_b32 s13, s[8:9], 0x0
	s_load_b32 s15, s[10:11], 0x0
	s_load_b32 s16, s[36:37], 0x0
	s_load_b32 s18, s[38:39], 0x0
	s_load_b32 s20, s[40:41], 0x0
	s_or_b32 s9, s12, 0xc0
	s_delay_alu instid0(SALU_CYCLE_1) | instskip(SKIP_2) | instid1(SALU_CYCLE_1)
	s_ashr_i32 s10, s9, 5
	s_cmp_lt_i32 s9, s24
	s_cselect_b32 s36, s10, s3
	s_ashr_i32 s37, s36, 31
	s_delay_alu instid0(SALU_CYCLE_1) | instskip(NEXT) | instid1(SALU_CYCLE_1)
	s_lshl_b64 s[36:37], s[36:37], 2
	s_add_u32 s36, s26, s36
	s_addc_u32 s37, s25, s37
	s_or_b32 s29, s12, 0xe0
	s_delay_alu instid0(SALU_CYCLE_1)
	s_ashr_i32 s30, s29, 5
	s_cmp_lt_i32 s29, s24
	s_waitcnt vmcnt(1)
	v_mad_i64_i32 v[1:2], null, v5, s17, s[4:5]
	s_waitcnt vmcnt(0)
	v_mad_i64_i32 v[3:4], null, v6, s17, s[4:5]
	s_mov_b32 s4, 0
	s_delay_alu instid0(SALU_CYCLE_1)
	s_mov_b32 s5, s4
	s_mov_b32 s6, s4
	;; [unrolled: 1-line block ×7, first 2 shown]
	v_lshlrev_b32_e32 v5, 4, v65
	v_dual_mov_b32 v107, s11 :: v_dual_mov_b32 v102, s6
	v_mov_b32_e32 v106, s10
	v_mov_b32_e32 v104, s8
	s_delay_alu instid0(VALU_DEP_4)
	v_add_co_u32 v1, vcc_lo, v1, v5
	v_add_co_ci_u32_e32 v2, vcc_lo, 0, v2, vcc_lo
	v_add_co_u32 v3, vcc_lo, v3, v5
	v_add_co_ci_u32_e32 v4, vcc_lo, 0, v4, vcc_lo
	s_clause 0x7
	global_load_b128 v[49:52], v[1:2], off
	global_load_b128 v[53:56], v[1:2], off offset:512
	global_load_b128 v[76:79], v[3:4], off offset:256
	;; [unrolled: 1-line block ×7, first 2 shown]
	v_mul_lo_u16 v1, v65, 37
	v_mov_b32_e32 v103, s7
	v_dual_mov_b32 v101, s5 :: v_dual_lshlrev_b32 v2, 5, v65
	v_mov_b32_e32 v100, s4
	s_delay_alu instid0(VALU_DEP_4) | instskip(NEXT) | instid1(VALU_DEP_3)
	v_lshrrev_b16 v1, 8, v1
	v_lshl_or_b32 v2, v66, 9, v2
	s_delay_alu instid0(VALU_DEP_2) | instskip(NEXT) | instid1(VALU_DEP_1)
	v_mul_lo_u16 v1, v1, 7
	v_sub_nc_u16 v1, v65, v1
	s_delay_alu instid0(VALU_DEP_1)
	v_and_b32_e32 v1, 0xff, v1
	v_mov_b32_e32 v105, s9
	s_cselect_b32 s4, s30, s3
	s_load_b32 s3, s[36:37], 0x0
	s_ashr_i32 s5, s4, 31
	v_lshlrev_b32_e32 v70, 6, v1
	s_lshl_b64 s[4:5], s[4:5], 2
	ds_load_b128 v[108:111], v70
	ds_load_b128 v[112:115], v70 offset:1024
	s_add_u32 s4, s26, s4
	s_addc_u32 s5, s25, s5
	s_add_u32 s6, s22, s27
	s_load_b32 s4, s[4:5], 0x0
	s_addc_u32 s7, s23, s28
	v_add_co_u32 v9, s6, s6, v2
	s_delay_alu instid0(VALU_DEP_1) | instskip(SKIP_1) | instid1(VALU_DEP_1)
	v_add_co_ci_u32_e64 v10, null, s7, 0, s6
	s_waitcnt lgkmcnt(0)
	v_mad_i64_i32 v[1:2], null, s21, s17, v[9:10]
	v_mad_i64_i32 v[3:4], null, s13, s17, v[9:10]
	;; [unrolled: 1-line block ×7, first 2 shown]
	s_clause 0x9
	global_load_b128 v[57:60], v[1:2], off
	global_load_b128 v[61:64], v[1:2], off offset:16
	global_load_b128 v[41:44], v[3:4], off
	global_load_b128 v[45:48], v[3:4], off offset:16
	global_load_b128 v[33:36], v[5:6], off
	global_load_b128 v[37:40], v[5:6], off offset:16
	global_load_b128 v[25:28], v[7:8], off
	global_load_b128 v[29:32], v[7:8], off offset:16
	global_load_b128 v[1:4], v[11:12], off
	global_load_b128 v[5:8], v[11:12], off offset:16
	v_mad_i64_i32 v[68:69], null, s4, s17, v[9:10]
	s_clause 0x3
	global_load_b128 v[9:12], v[13:14], off
	global_load_b128 v[13:16], v[13:14], off offset:16
	global_load_b128 v[17:20], v[21:22], off
	global_load_b128 v[21:24], v[21:22], off offset:16
	s_waitcnt vmcnt(20)
	v_wmma_f32_16x16x16_bf16 v[116:123], v[49:56], v[108:115], v[100:107]
	s_clause 0x1
	global_load_b128 v[49:52], v[68:69], off
	global_load_b128 v[53:56], v[68:69], off offset:16
	v_and_b32_e32 v68, 0xe0, v0
	v_mbcnt_lo_u32_b32 v69, -1, 0
	s_delay_alu instid0(VALU_DEP_2)
	v_add_nc_u32_e32 v68, s12, v68
	s_waitcnt vmcnt(20)
	v_wmma_f32_16x16x16_bf16 v[100:107], v[76:83], v[108:115], v[100:107]
	ds_load_b128 v[76:79], v70 offset:2048
	ds_load_b128 v[80:83], v70 offset:3072
	v_xor_b32_e32 v70, 16, v69
	s_waitcnt vmcnt(0) lgkmcnt(0)
	v_or_b32_e32 v68, v68, v74
	s_barrier
	buffer_gl0_inv
	v_cmp_gt_i32_e32 vcc_lo, 32, v70
	v_or_b32_e32 v71, 4, v68
	v_or_b32_e32 v72, 6, v68
	v_cmp_gt_i32_e64 s3, s24, v68
	v_or_b32_e32 v108, 8, v68
	v_or_b32_e32 v109, 10, v68
	v_cmp_gt_i32_e64 s4, s24, v71
	v_cmp_gt_i32_e64 s5, s24, v72
	s_delay_alu instid0(VALU_DEP_4) | instskip(NEXT) | instid1(VALU_DEP_4)
	v_cmp_gt_i32_e64 s6, s24, v108
	v_cmp_gt_i32_e64 s7, s24, v109
	v_wmma_f32_16x16x16_bf16 v[116:123], v[84:91], v[76:83], v[116:123]
	v_cndmask_b32_e32 v69, v69, v70, vcc_lo
	v_or_b32_e32 v70, 2, v68
	v_wmma_f32_16x16x16_bf16 v[100:107], v[92:99], v[76:83], v[100:107]
	v_or_b32_e32 v84, 12, v68
	v_dual_mul_f32 v78, s19, v123 :: v_dual_mul_f32 v83, s19, v118
	v_dual_mul_f32 v92, s19, v117 :: v_dual_mul_f32 v93, s19, v116
	s_delay_alu instid0(VALU_DEP_4) | instskip(SKIP_2) | instid1(VALU_DEP_4)
	v_mul_f32_e32 v94, s19, v107
	v_cmp_gt_i32_e32 vcc_lo, s24, v70
	v_dual_mul_f32 v81, s19, v120 :: v_dual_mul_f32 v82, s19, v119
	v_cndmask_b32_e64 v93, 0xff7fffff, v93, s3
	v_or_b32_e32 v85, 14, v68
	v_cndmask_b32_e32 v92, 0xff7fffff, v92, vcc_lo
	v_dual_mul_f32 v79, s19, v122 :: v_dual_mul_f32 v80, s19, v121
	v_cndmask_b32_e64 v71, 0xff7fffff, v83, s4
	v_cndmask_b32_e64 v72, 0xff7fffff, v82, s5
	s_delay_alu instid0(VALU_DEP_4)
	v_max3_f32 v82, v93, 0xff7fffff, v92
	v_or_b32_e32 v86, 16, v68
	v_or_b32_e32 v87, 18, v68
	v_cndmask_b32_e64 v81, 0xff7fffff, v81, s6
	v_cndmask_b32_e64 v80, 0xff7fffff, v80, s7
	v_max3_f32 v71, v82, v71, v72
	v_cmp_gt_i32_e64 s8, s24, v84
	v_cmp_gt_i32_e64 s9, s24, v85
	v_or_b32_e32 v88, 20, v68
	v_or_b32_e32 v89, 22, v68
	;; [unrolled: 1-line block ×6, first 2 shown]
	v_dual_mul_f32 v99, s19, v102 :: v_dual_mul_f32 v70, s19, v101
	v_mul_f32_e32 v68, s19, v100
	v_cndmask_b32_e64 v72, 0xff7fffff, v79, s8
	v_cndmask_b32_e64 v78, 0xff7fffff, v78, s9
	v_max3_f32 v71, v71, v81, v80
	v_cmp_gt_i32_e64 s10, s24, v86
	v_cmp_gt_i32_e64 s11, s24, v87
	v_dual_mul_f32 v97, s19, v104 :: v_dual_mul_f32 v98, s19, v103
	s_delay_alu instid0(VALU_DEP_4) | instskip(SKIP_1) | instid1(VALU_DEP_4)
	v_max3_f32 v71, v71, v72, v78
	v_cmp_gt_i32_e64 s12, s24, v88
	v_cndmask_b32_e64 v70, 0xff7fffff, v70, s11
	v_cmp_gt_i32_e64 s13, s24, v89
	v_lshlrev_b32_e32 v89, 2, v69
	v_cndmask_b32_e64 v68, 0xff7fffff, v68, s10
	v_dual_mul_f32 v95, s19, v106 :: v_dual_mul_f32 v96, s19, v105
	v_cndmask_b32_e64 v72, 0xff7fffff, v99, s12
	v_cndmask_b32_e64 v78, 0xff7fffff, v98, s13
	s_delay_alu instid0(VALU_DEP_4)
	v_max3_f32 v68, v71, v68, v70
	v_cmp_gt_i32_e64 s15, s24, v90
	v_cmp_gt_i32_e64 s16, s24, v91
	;; [unrolled: 1-line block ×4, first 2 shown]
	v_max3_f32 v68, v68, v72, v78
	v_cndmask_b32_e64 v70, 0xff7fffff, v97, s15
	v_cndmask_b32_e64 v71, 0xff7fffff, v96, s16
	;; [unrolled: 1-line block ×4, first 2 shown]
	s_delay_alu instid0(VALU_DEP_3) | instskip(NEXT) | instid1(VALU_DEP_1)
	v_max3_f32 v68, v68, v70, v71
	v_max3_f32 v68, v68, v72, v76
	ds_bpermute_b32 v69, v89, v68
	s_waitcnt lgkmcnt(0)
	v_max_f32_e32 v69, v69, v69
	s_delay_alu instid0(VALU_DEP_1) | instskip(NEXT) | instid1(VALU_DEP_1)
	v_max_f32_e32 v68, v68, v69
	v_fma_f32 v71, s19, v118, -v68
	s_delay_alu instid0(VALU_DEP_1)
	v_mul_f32_e32 v71, 0x3fb8aa3b, v71
	v_fma_f32 v69, s19, v116, -v68
	v_fma_f32 v70, s19, v117, -v68
	;; [unrolled: 1-line block ×4, first 2 shown]
	v_exp_f32_e32 v71, v71
	s_delay_alu instid0(VALU_DEP_3) | instskip(SKIP_2) | instid1(VALU_DEP_3)
	v_dual_mul_f32 v69, 0x3fb8aa3b, v69 :: v_dual_mul_f32 v70, 0x3fb8aa3b, v70
	v_fma_f32 v78, s19, v122, -v68
	v_fma_f32 v81, s19, v105, -v68
	v_exp_f32_e32 v69, v69
	s_delay_alu instid0(VALU_DEP_3) | instskip(SKIP_1) | instid1(VALU_DEP_2)
	v_exp_f32_e32 v70, v70
	v_mul_f32_e32 v77, 0x3fb8aa3b, v76
	v_mul_f32_e32 v81, 0x3fb8aa3b, v81
	s_delay_alu instid0(TRANS32_DEP_3) | instskip(SKIP_1) | instid1(VALU_DEP_3)
	v_cndmask_b32_e64 v83, 0, v71, s4
	v_fma_f32 v71, s19, v123, -v68
	v_exp_f32_e32 v81, v81
	s_delay_alu instid0(TRANS32_DEP_3) | instskip(NEXT) | instid1(TRANS32_DEP_2)
	v_cndmask_b32_e64 v80, 0, v69, s3
	v_cndmask_b32_e32 v76, 0, v70, vcc_lo
	v_fma_f32 v69, s19, v121, -v68
	v_mul_f32_e32 v72, 0x3fb8aa3b, v72
	v_exp_f32_e32 v77, v77
	v_dual_add_f32 v70, 0, v80 :: v_dual_mul_f32 v71, 0x3fb8aa3b, v71
	s_delay_alu instid0(VALU_DEP_3) | instskip(NEXT) | instid1(VALU_DEP_3)
	v_mul_f32_e32 v69, 0x3fb8aa3b, v69
	v_exp_f32_e32 v72, v72
	v_cmp_gt_u32_e64 s3, 16, v67
	s_delay_alu instid0(VALU_DEP_3) | instskip(NEXT) | instid1(VALU_DEP_2)
	v_exp_f32_e32 v71, v71
	v_exp_f32_e32 v69, v69
	v_cndmask_b32_e64 v86, 0, v77, s6
	v_fma_f32 v77, s19, v101, -v68
	v_add_f32_e32 v70, v70, v76
	s_delay_alu instid0(TRANS32_DEP_3) | instskip(SKIP_1) | instid1(VALU_DEP_3)
	v_cndmask_b32_e64 v85, 0, v72, s5
	v_fma_f32 v72, s19, v100, -v68
	v_dual_mul_f32 v77, 0x3fb8aa3b, v77 :: v_dual_add_f32 v70, v70, v83
	s_delay_alu instid0(TRANS32_DEP_2) | instskip(SKIP_1) | instid1(TRANS32_DEP_1)
	v_cndmask_b32_e64 v88, 0, v71, s9
	v_fma_f32 v71, s19, v104, -v68
	v_cndmask_b32_e64 v87, 0, v69, s7
	s_delay_alu instid0(VALU_DEP_4) | instskip(NEXT) | instid1(VALU_DEP_2)
	v_exp_f32_e32 v77, v77
	v_dual_add_f32 v70, v70, v85 :: v_dual_mul_f32 v71, 0x3fb8aa3b, v71
	s_delay_alu instid0(VALU_DEP_1) | instskip(SKIP_2) | instid1(VALU_DEP_3)
	v_dual_mul_f32 v72, 0x3fb8aa3b, v72 :: v_dual_add_f32 v69, v70, v86
	v_mul_f32_e32 v78, 0x3fb8aa3b, v78
	v_fma_f32 v70, s19, v102, -v68
	v_exp_f32_e32 v72, v72
	v_exp_f32_e32 v82, v71
	v_add_f32_e32 v69, v69, v87
	v_exp_f32_e32 v78, v78
	v_mul_f32_e32 v70, 0x3fb8aa3b, v70
	s_delay_alu instid0(VALU_DEP_1) | instskip(SKIP_4) | instid1(VALU_DEP_2)
	v_exp_f32_e32 v79, v70
	v_cndmask_b32_e64 v70, 0, v72, s10
	s_waitcnt_depctr 0xfff
	v_cndmask_b32_e64 v84, 0, v78, s8
	v_fma_f32 v78, s19, v103, -v68
	v_add_f32_e32 v69, v69, v84
	v_cndmask_b32_e64 v71, 0, v79, s12
	s_delay_alu instid0(VALU_DEP_2) | instskip(SKIP_2) | instid1(VALU_DEP_1)
	v_add_f32_e32 v72, v69, v88
	v_cndmask_b32_e64 v69, 0, v77, s11
	v_fma_f32 v77, s19, v106, -v68
	v_dual_mul_f32 v77, 0x3fb8aa3b, v77 :: v_dual_add_f32 v72, v72, v70
	v_mul_f32_e32 v78, 0x3fb8aa3b, v78
	s_delay_alu instid0(VALU_DEP_2) | instskip(NEXT) | instid1(VALU_DEP_2)
	v_exp_f32_e32 v90, v77
	v_add_f32_e32 v79, v72, v69
	s_delay_alu instid0(VALU_DEP_2)
	v_exp_f32_e32 v78, v78
	v_cndmask_b32_e64 v77, 0, v82, s15
	s_waitcnt_depctr 0xfff
	v_cndmask_b32_e64 v72, 0, v78, s13
	v_add_f32_e32 v78, v79, v71
	v_fma_f32 v79, s19, v107, -v68
	s_delay_alu instid0(VALU_DEP_1) | instskip(SKIP_1) | instid1(VALU_DEP_2)
	v_dual_add_f32 v82, v78, v72 :: v_dual_mul_f32 v79, 0x3fb8aa3b, v79
	v_cndmask_b32_e64 v78, 0, v81, s16
	v_add_f32_e32 v81, v82, v77
	s_delay_alu instid0(VALU_DEP_3) | instskip(SKIP_1) | instid1(VALU_DEP_2)
	v_exp_f32_e32 v82, v79
	v_cndmask_b32_e64 v79, 0, v90, s17
	v_add_f32_e32 v81, v81, v78
	s_delay_alu instid0(VALU_DEP_1) | instskip(SKIP_2) | instid1(VALU_DEP_1)
	v_add_f32_e32 v90, v81, v79
	s_waitcnt_depctr 0xfff
	v_cndmask_b32_e64 v81, 0, v82, s18
	v_add_f32_e32 v82, v90, v81
	ds_bpermute_b32 v89, v89, v82
	s_and_saveexec_b32 s4, s3
	s_cbranch_execz .LBB1452_12
; %bb.11:
	v_mul_u32_u24_e32 v67, 0x44, v66
	s_delay_alu instid0(VALU_DEP_1) | instskip(SKIP_1) | instid1(VALU_DEP_1)
	v_lshl_add_u32 v67, v65, 2, v67
	s_waitcnt lgkmcnt(0)
	v_dual_add_f32 v82, v82, v89 :: v_dual_add_nc_u32 v67, 0x4000, v67
	ds_store_2addr_b32 v67, v68, v82 offset1:136
.LBB1452_12:
	s_or_b32 exec_lo, exec_lo, s4
	v_lshlrev_b32_e32 v67, 2, v65
	s_waitcnt lgkmcnt(0)
	s_barrier
	buffer_gl0_inv
	v_cmp_eq_u32_e32 vcc_lo, 1, v66
	v_add_nc_u32_e32 v82, 0x4000, v67
	v_cmp_eq_u32_e64 s4, 2, v66
	v_cmp_eq_u32_e64 s6, 7, v66
	ds_load_2addr_b32 v[89:90], v82 offset1:17
	ds_load_2addr_b32 v[91:92], v82 offset0:34 offset1:51
	ds_load_2addr_b32 v[93:94], v82 offset0:68 offset1:85
	;; [unrolled: 1-line block ×4, first 2 shown]
	s_waitcnt lgkmcnt(4)
	v_max3_f32 v67, v89, 0xff7fffff, v90
	s_waitcnt lgkmcnt(3)
	s_delay_alu instid0(VALU_DEP_1) | instskip(SKIP_1) | instid1(VALU_DEP_1)
	v_max3_f32 v67, v67, v91, v92
	s_waitcnt lgkmcnt(2)
	v_max3_f32 v67, v67, v93, v94
	s_waitcnt lgkmcnt(1)
	s_delay_alu instid0(VALU_DEP_1) | instskip(NEXT) | instid1(VALU_DEP_1)
	v_max3_f32 v67, v67, v95, v96
	v_sub_f32_e32 v93, v93, v67
	s_delay_alu instid0(VALU_DEP_1) | instskip(NEXT) | instid1(VALU_DEP_1)
	v_dual_sub_f32 v68, v89, v67 :: v_dual_mul_f32 v103, 0x3fb8aa3b, v93
	v_mul_f32_e32 v68, 0x3fb8aa3b, v68
	s_delay_alu instid0(VALU_DEP_1)
	v_exp_f32_e32 v100, v68
	v_sub_f32_e32 v68, v92, v67
	v_sub_f32_e32 v99, v90, v67
	ds_load_2addr_b32 v[89:90], v82 offset0:170 offset1:187
	v_dual_mul_f32 v102, 0x3fb8aa3b, v68 :: v_dual_mul_f32 v99, 0x3fb8aa3b, v99
	s_waitcnt lgkmcnt(1)
	v_fma_f32 v68, v100, v97, 0
	s_delay_alu instid0(VALU_DEP_2) | instskip(NEXT) | instid1(VALU_DEP_2)
	v_exp_f32_e32 v102, v102
	v_exp_f32_e32 v99, v99
	s_waitcnt_depctr 0xfff
	v_fmac_f32_e32 v68, v99, v98
	v_sub_f32_e32 v91, v91, v67
	s_delay_alu instid0(VALU_DEP_1)
	v_mul_f32_e32 v101, 0x3fb8aa3b, v91
	ds_load_2addr_b32 v[91:92], v82 offset0:204 offset1:221
	v_sub_f32_e32 v97, v94, v67
	ds_load_2addr_b32 v[93:94], v82 offset0:238 offset1:255
	s_waitcnt lgkmcnt(0)
	v_exp_f32_e32 v101, v101
	s_barrier
	buffer_gl0_inv
	v_dual_fmac_f32 v68, v101, v89 :: v_dual_sub_f32 v89, v96, v67
	v_dual_sub_f32 v82, v95, v67 :: v_dual_mul_f32 v95, 0x3fb8aa3b, v97
	v_exp_f32_e32 v97, v103
	s_delay_alu instid0(VALU_DEP_2) | instskip(NEXT) | instid1(VALU_DEP_2)
	v_dual_fmac_f32 v68, v102, v90 :: v_dual_mul_f32 v89, 0x3fb8aa3b, v89
	v_mul_f32_e32 v82, 0x3fb8aa3b, v82
	s_delay_alu instid0(VALU_DEP_3) | instskip(NEXT) | instid1(VALU_DEP_2)
	v_exp_f32_e32 v95, v95
	v_exp_f32_e32 v89, v89
	s_delay_alu instid0(VALU_DEP_1)
	v_exp_f32_e32 v82, v82
	v_fmac_f32_e32 v68, v97, v91
	s_delay_alu instid0(TRANS32_DEP_3) | instid1(VALU_DEP_1)
	v_fmac_f32_e32 v68, v95, v92
	s_waitcnt_depctr 0xfff
	v_fmac_f32_e32 v68, v82, v93
	s_delay_alu instid0(VALU_DEP_1) | instskip(NEXT) | instid1(VALU_DEP_1)
	v_fmac_f32_e32 v68, v89, v94
	v_add_f32_e32 v90, 0x358637bd, v68
	s_delay_alu instid0(VALU_DEP_1) | instskip(NEXT) | instid1(VALU_DEP_1)
	v_div_scale_f32 v91, null, v90, v90, 1.0
	v_rcp_f32_e32 v92, v91
	s_waitcnt_depctr 0xfff
	v_fma_f32 v93, -v91, v92, 1.0
	s_delay_alu instid0(VALU_DEP_1) | instskip(SKIP_1) | instid1(VALU_DEP_2)
	v_dual_fmac_f32 v92, v93, v92 :: v_dual_cndmask_b32 v93, v100, v99
	v_cmp_eq_u32_e32 vcc_lo, 3, v66
	v_cndmask_b32_e64 v93, v93, v101, s4
	v_cmp_eq_u32_e64 s4, 4, v66
	s_delay_alu instid0(VALU_DEP_2) | instskip(SKIP_1) | instid1(VALU_DEP_2)
	v_cndmask_b32_e32 v93, v93, v102, vcc_lo
	v_cmp_eq_u32_e32 vcc_lo, 5, v66
	v_cndmask_b32_e64 v93, v93, v97, s4
	v_cmp_eq_u32_e64 s4, 6, v66
	s_delay_alu instid0(VALU_DEP_2) | instskip(SKIP_1) | instid1(VALU_DEP_1)
	v_cndmask_b32_e32 v93, v93, v95, vcc_lo
	v_div_scale_f32 v94, s5, 1.0, v90, 1.0
	s_mov_b32 vcc_lo, s5
	s_delay_alu instid0(VALU_DEP_2) | instskip(NEXT) | instid1(VALU_DEP_2)
	v_cndmask_b32_e64 v82, v93, v82, s4
	v_mul_f32_e32 v96, v94, v92
	s_mov_b32 s4, exec_lo
	s_delay_alu instid0(VALU_DEP_2) | instskip(NEXT) | instid1(VALU_DEP_2)
	v_cndmask_b32_e64 v82, v82, v89, s6
	v_fma_f32 v98, -v91, v96, v94
	s_delay_alu instid0(VALU_DEP_1) | instskip(NEXT) | instid1(VALU_DEP_1)
	v_fmac_f32_e32 v96, v98, v92
	v_fma_f32 v91, -v91, v96, v94
	s_delay_alu instid0(VALU_DEP_1) | instskip(NEXT) | instid1(VALU_DEP_1)
	v_div_fmas_f32 v91, v91, v92, v96
	v_div_fixup_f32 v90, v91, v90, 1.0
	s_delay_alu instid0(VALU_DEP_1) | instskip(NEXT) | instid1(VALU_DEP_1)
	v_mul_f32_e32 v82, v82, v90
	v_mul_f32_e32 v87, v82, v87
	;; [unrolled: 1-line block ×7, first 2 shown]
	v_dual_mul_f32 v86, v82, v83 :: v_dual_and_b32 v91, 0x7f800000, v90
	v_mul_f32_e32 v85, v82, v76
                                        ; implicit-def: $vgpr76
	s_delay_alu instid0(VALU_DEP_2)
	v_cmpx_ne_u32_e32 0x7f800000, v91
	s_xor_b32 s4, exec_lo, s4
; %bb.13:
	v_bfe_u32 v76, v90, 16, 1
	s_delay_alu instid0(VALU_DEP_1)
	v_add3_u32 v76, v90, v76, 0x7fff
                                        ; implicit-def: $vgpr90
; %bb.14:
	s_and_not1_saveexec_b32 s4, s4
; %bb.15:
	v_and_b32_e32 v76, 0xffff, v90
	v_or_b32_e32 v83, 0x10000, v90
	s_delay_alu instid0(VALU_DEP_2) | instskip(NEXT) | instid1(VALU_DEP_2)
	v_cmp_eq_u32_e32 vcc_lo, 0, v76
	v_cndmask_b32_e32 v76, v83, v90, vcc_lo
; %bb.16:
	s_or_b32 exec_lo, exec_lo, s4
	v_and_b32_e32 v83, 0x7f800000, v85
	s_delay_alu instid0(VALU_DEP_1) | instskip(SKIP_1) | instid1(SALU_CYCLE_1)
	v_cmp_ne_u32_e32 vcc_lo, 0x7f800000, v83
                                        ; implicit-def: $vgpr83
	s_and_saveexec_b32 s4, vcc_lo
	s_xor_b32 s4, exec_lo, s4
; %bb.17:
	v_bfe_u32 v83, v85, 16, 1
	s_delay_alu instid0(VALU_DEP_1)
	v_add3_u32 v83, v85, v83, 0x7fff
                                        ; implicit-def: $vgpr85
; %bb.18:
	s_and_not1_saveexec_b32 s4, s4
; %bb.19:
	v_and_b32_e32 v83, 0xffff, v85
	v_or_b32_e32 v90, 0x10000, v85
	s_delay_alu instid0(VALU_DEP_2) | instskip(NEXT) | instid1(VALU_DEP_2)
	v_cmp_eq_u32_e32 vcc_lo, 0, v83
	v_cndmask_b32_e32 v83, v90, v85, vcc_lo
; %bb.20:
	s_or_b32 exec_lo, exec_lo, s4
	v_and_b32_e32 v85, 0x7f800000, v86
	s_delay_alu instid0(VALU_DEP_1) | instskip(SKIP_1) | instid1(SALU_CYCLE_1)
	v_cmp_ne_u32_e32 vcc_lo, 0x7f800000, v85
                                        ; implicit-def: $vgpr85
	s_and_saveexec_b32 s4, vcc_lo
	s_xor_b32 s4, exec_lo, s4
; %bb.21:
	v_bfe_u32 v85, v86, 16, 1
	s_delay_alu instid0(VALU_DEP_1)
	v_add3_u32 v85, v86, v85, 0x7fff
                                        ; implicit-def: $vgpr86
; %bb.22:
	s_and_not1_saveexec_b32 s4, s4
; %bb.23:
	v_and_b32_e32 v85, 0xffff, v86
	v_or_b32_e32 v90, 0x10000, v86
	s_delay_alu instid0(VALU_DEP_2) | instskip(NEXT) | instid1(VALU_DEP_2)
	v_cmp_eq_u32_e32 vcc_lo, 0, v85
	v_cndmask_b32_e32 v85, v90, v86, vcc_lo
; %bb.24:
	s_or_b32 exec_lo, exec_lo, s4
	v_and_b32_e32 v86, 0x7f800000, v89
	s_delay_alu instid0(VALU_DEP_1) | instskip(SKIP_1) | instid1(SALU_CYCLE_1)
	v_cmp_ne_u32_e32 vcc_lo, 0x7f800000, v86
                                        ; implicit-def: $vgpr86
	s_and_saveexec_b32 s4, vcc_lo
	s_xor_b32 s4, exec_lo, s4
; %bb.25:
	v_bfe_u32 v86, v89, 16, 1
	s_delay_alu instid0(VALU_DEP_1)
	v_add3_u32 v86, v89, v86, 0x7fff
                                        ; implicit-def: $vgpr89
; %bb.26:
	s_and_not1_saveexec_b32 s4, s4
; %bb.27:
	v_and_b32_e32 v86, 0xffff, v89
	v_or_b32_e32 v90, 0x10000, v89
	s_delay_alu instid0(VALU_DEP_2) | instskip(NEXT) | instid1(VALU_DEP_2)
	v_cmp_eq_u32_e32 vcc_lo, 0, v86
	v_cndmask_b32_e32 v86, v90, v89, vcc_lo
; %bb.28:
	s_or_b32 exec_lo, exec_lo, s4
	v_and_b32_e32 v89, 0x7f800000, v88
	s_delay_alu instid0(VALU_DEP_1) | instskip(SKIP_1) | instid1(SALU_CYCLE_1)
	v_cmp_ne_u32_e32 vcc_lo, 0x7f800000, v89
                                        ; implicit-def: $vgpr89
	s_and_saveexec_b32 s4, vcc_lo
	s_xor_b32 s4, exec_lo, s4
; %bb.29:
	v_bfe_u32 v89, v88, 16, 1
	s_delay_alu instid0(VALU_DEP_1)
	v_add3_u32 v89, v88, v89, 0x7fff
                                        ; implicit-def: $vgpr88
; %bb.30:
	s_and_not1_saveexec_b32 s4, s4
; %bb.31:
	v_and_b32_e32 v89, 0xffff, v88
	v_or_b32_e32 v90, 0x10000, v88
	s_delay_alu instid0(VALU_DEP_2) | instskip(NEXT) | instid1(VALU_DEP_2)
	v_cmp_eq_u32_e32 vcc_lo, 0, v89
	v_cndmask_b32_e32 v89, v90, v88, vcc_lo
; %bb.32:
	s_or_b32 exec_lo, exec_lo, s4
	v_and_b32_e32 v88, 0x7f800000, v87
	s_delay_alu instid0(VALU_DEP_1) | instskip(SKIP_1) | instid1(SALU_CYCLE_1)
	v_cmp_ne_u32_e32 vcc_lo, 0x7f800000, v88
                                        ; implicit-def: $vgpr88
	s_and_saveexec_b32 s4, vcc_lo
	s_xor_b32 s4, exec_lo, s4
; %bb.33:
	v_bfe_u32 v88, v87, 16, 1
	s_delay_alu instid0(VALU_DEP_1)
	v_add3_u32 v88, v87, v88, 0x7fff
                                        ; implicit-def: $vgpr87
; %bb.34:
	s_and_not1_saveexec_b32 s4, s4
; %bb.35:
	v_and_b32_e32 v88, 0xffff, v87
	v_or_b32_e32 v90, 0x10000, v87
	s_delay_alu instid0(VALU_DEP_2) | instskip(NEXT) | instid1(VALU_DEP_2)
	v_cmp_eq_u32_e32 vcc_lo, 0, v88
	v_cndmask_b32_e32 v88, v90, v87, vcc_lo
; %bb.36:
	s_or_b32 exec_lo, exec_lo, s4
	v_and_b32_e32 v87, 0x7f800000, v84
	s_delay_alu instid0(VALU_DEP_1) | instskip(SKIP_1) | instid1(SALU_CYCLE_1)
	v_cmp_ne_u32_e32 vcc_lo, 0x7f800000, v87
                                        ; implicit-def: $vgpr87
	s_and_saveexec_b32 s4, vcc_lo
	s_xor_b32 s4, exec_lo, s4
; %bb.37:
	v_bfe_u32 v87, v84, 16, 1
	s_delay_alu instid0(VALU_DEP_1)
	v_add3_u32 v87, v84, v87, 0x7fff
                                        ; implicit-def: $vgpr84
; %bb.38:
	s_and_not1_saveexec_b32 s4, s4
; %bb.39:
	v_and_b32_e32 v87, 0xffff, v84
	v_or_b32_e32 v90, 0x10000, v84
	s_delay_alu instid0(VALU_DEP_2) | instskip(NEXT) | instid1(VALU_DEP_2)
	v_cmp_eq_u32_e32 vcc_lo, 0, v87
	v_cndmask_b32_e32 v87, v90, v84, vcc_lo
; %bb.40:
	s_or_b32 exec_lo, exec_lo, s4
	v_and_b32_e32 v84, 0x7f800000, v80
	s_delay_alu instid0(VALU_DEP_1) | instskip(SKIP_1) | instid1(SALU_CYCLE_1)
	v_cmp_ne_u32_e32 vcc_lo, 0x7f800000, v84
                                        ; implicit-def: $vgpr84
	s_and_saveexec_b32 s4, vcc_lo
	s_xor_b32 s4, exec_lo, s4
; %bb.41:
	v_bfe_u32 v84, v80, 16, 1
	s_delay_alu instid0(VALU_DEP_1)
	v_add3_u32 v84, v80, v84, 0x7fff
                                        ; implicit-def: $vgpr80
; %bb.42:
	s_and_not1_saveexec_b32 s4, s4
; %bb.43:
	v_and_b32_e32 v84, 0xffff, v80
	v_or_b32_e32 v90, 0x10000, v80
	s_delay_alu instid0(VALU_DEP_2) | instskip(NEXT) | instid1(VALU_DEP_2)
	v_cmp_eq_u32_e32 vcc_lo, 0, v84
	v_cndmask_b32_e32 v84, v90, v80, vcc_lo
; %bb.44:
	s_or_b32 exec_lo, exec_lo, s4
	s_load_b64 s[36:37], s[0:1], 0x94
	v_lshlrev_b32_e32 v91, 4, v74
	s_delay_alu instid0(VALU_DEP_2)
	v_perm_b32 v90, v84, v87, 0x7060302
	v_dual_mul_f32 v79, v82, v79 :: v_dual_lshlrev_b32 v80, 6, v65
	v_dual_mul_f32 v77, v82, v77 :: v_dual_lshlrev_b32 v92, 11, v66
	v_mul_f32_e32 v84, v82, v70
	v_perm_b32 v89, v88, v89, 0x7060302
	v_perm_b32 v88, v86, v85, 0x7060302
	;; [unrolled: 1-line block ×3, first 2 shown]
	v_mul_f32_e32 v70, v82, v81
	v_or3_b32 v76, v91, v92, v80
	v_dual_mul_f32 v78, v82, v78 :: v_dual_and_b32 v85, 0x7f800000, v84
	v_mul_f32_e32 v83, v82, v72
	v_mul_f32_e32 v81, v82, v71
	;; [unrolled: 1-line block ×3, first 2 shown]
	s_mov_b32 s4, exec_lo
	ds_store_b128 v76, v[87:90]
                                        ; implicit-def: $vgpr69
	v_cmpx_ne_u32_e32 0x7f800000, v85
	s_xor_b32 s4, exec_lo, s4
; %bb.45:
	v_bfe_u32 v69, v84, 16, 1
	s_delay_alu instid0(VALU_DEP_1)
	v_add3_u32 v69, v84, v69, 0x7fff
                                        ; implicit-def: $vgpr84
; %bb.46:
	s_and_not1_saveexec_b32 s4, s4
; %bb.47:
	v_and_b32_e32 v69, 0xffff, v84
	v_or_b32_e32 v71, 0x10000, v84
	s_delay_alu instid0(VALU_DEP_2) | instskip(NEXT) | instid1(VALU_DEP_2)
	v_cmp_eq_u32_e32 vcc_lo, 0, v69
	v_cndmask_b32_e32 v69, v71, v84, vcc_lo
; %bb.48:
	s_or_b32 exec_lo, exec_lo, s4
	v_and_b32_e32 v71, 0x7f800000, v72
	s_delay_alu instid0(VALU_DEP_1) | instskip(SKIP_1) | instid1(SALU_CYCLE_1)
	v_cmp_ne_u32_e32 vcc_lo, 0x7f800000, v71
                                        ; implicit-def: $vgpr71
	s_and_saveexec_b32 s4, vcc_lo
	s_xor_b32 s4, exec_lo, s4
; %bb.49:
	v_bfe_u32 v71, v72, 16, 1
	s_delay_alu instid0(VALU_DEP_1)
	v_add3_u32 v71, v72, v71, 0x7fff
                                        ; implicit-def: $vgpr72
; %bb.50:
	s_and_not1_saveexec_b32 s4, s4
; %bb.51:
	v_and_b32_e32 v71, 0xffff, v72
	v_or_b32_e32 v82, 0x10000, v72
	s_delay_alu instid0(VALU_DEP_2) | instskip(NEXT) | instid1(VALU_DEP_2)
	v_cmp_eq_u32_e32 vcc_lo, 0, v71
	v_cndmask_b32_e32 v71, v82, v72, vcc_lo
; %bb.52:
	s_or_b32 exec_lo, exec_lo, s4
	v_and_b32_e32 v72, 0x7f800000, v81
	s_delay_alu instid0(VALU_DEP_1) | instskip(SKIP_1) | instid1(SALU_CYCLE_1)
	v_cmp_ne_u32_e32 vcc_lo, 0x7f800000, v72
                                        ; implicit-def: $vgpr72
	s_and_saveexec_b32 s4, vcc_lo
	s_xor_b32 s4, exec_lo, s4
; %bb.53:
	v_bfe_u32 v72, v81, 16, 1
	s_delay_alu instid0(VALU_DEP_1)
	v_add3_u32 v72, v81, v72, 0x7fff
                                        ; implicit-def: $vgpr81
; %bb.54:
	s_and_not1_saveexec_b32 s4, s4
; %bb.55:
	v_and_b32_e32 v72, 0xffff, v81
	v_or_b32_e32 v82, 0x10000, v81
	s_delay_alu instid0(VALU_DEP_2) | instskip(NEXT) | instid1(VALU_DEP_2)
	v_cmp_eq_u32_e32 vcc_lo, 0, v72
	v_cndmask_b32_e32 v72, v82, v81, vcc_lo
; %bb.56:
	s_or_b32 exec_lo, exec_lo, s4
	v_and_b32_e32 v81, 0x7f800000, v83
	s_delay_alu instid0(VALU_DEP_1) | instskip(SKIP_1) | instid1(SALU_CYCLE_1)
	v_cmp_ne_u32_e32 vcc_lo, 0x7f800000, v81
                                        ; implicit-def: $vgpr81
	s_and_saveexec_b32 s4, vcc_lo
	s_xor_b32 s4, exec_lo, s4
; %bb.57:
	v_bfe_u32 v81, v83, 16, 1
	s_delay_alu instid0(VALU_DEP_1)
	v_add3_u32 v81, v83, v81, 0x7fff
                                        ; implicit-def: $vgpr83
; %bb.58:
	s_and_not1_saveexec_b32 s4, s4
; %bb.59:
	v_and_b32_e32 v81, 0xffff, v83
	v_or_b32_e32 v82, 0x10000, v83
	s_delay_alu instid0(VALU_DEP_2) | instskip(NEXT) | instid1(VALU_DEP_2)
	v_cmp_eq_u32_e32 vcc_lo, 0, v81
	v_cndmask_b32_e32 v81, v82, v83, vcc_lo
; %bb.60:
	s_or_b32 exec_lo, exec_lo, s4
	v_and_b32_e32 v82, 0x7f800000, v77
	s_delay_alu instid0(VALU_DEP_1) | instskip(SKIP_1) | instid1(SALU_CYCLE_1)
	v_cmp_ne_u32_e32 vcc_lo, 0x7f800000, v82
                                        ; implicit-def: $vgpr82
	s_and_saveexec_b32 s4, vcc_lo
	s_xor_b32 s4, exec_lo, s4
; %bb.61:
	v_bfe_u32 v82, v77, 16, 1
	s_delay_alu instid0(VALU_DEP_1)
	v_add3_u32 v82, v77, v82, 0x7fff
                                        ; implicit-def: $vgpr77
; %bb.62:
	s_and_not1_saveexec_b32 s4, s4
; %bb.63:
	v_and_b32_e32 v82, 0xffff, v77
	v_or_b32_e32 v83, 0x10000, v77
	s_delay_alu instid0(VALU_DEP_2) | instskip(NEXT) | instid1(VALU_DEP_2)
	v_cmp_eq_u32_e32 vcc_lo, 0, v82
	v_cndmask_b32_e32 v82, v83, v77, vcc_lo
; %bb.64:
	s_or_b32 exec_lo, exec_lo, s4
	v_and_b32_e32 v77, 0x7f800000, v78
	s_delay_alu instid0(VALU_DEP_1) | instskip(SKIP_1) | instid1(SALU_CYCLE_1)
	v_cmp_ne_u32_e32 vcc_lo, 0x7f800000, v77
                                        ; implicit-def: $vgpr77
	s_and_saveexec_b32 s4, vcc_lo
	s_xor_b32 s4, exec_lo, s4
; %bb.65:
	v_bfe_u32 v77, v78, 16, 1
	s_delay_alu instid0(VALU_DEP_1)
	v_add3_u32 v77, v78, v77, 0x7fff
                                        ; implicit-def: $vgpr78
; %bb.66:
	s_and_not1_saveexec_b32 s4, s4
; %bb.67:
	v_and_b32_e32 v77, 0xffff, v78
	v_or_b32_e32 v83, 0x10000, v78
	s_delay_alu instid0(VALU_DEP_2) | instskip(NEXT) | instid1(VALU_DEP_2)
	v_cmp_eq_u32_e32 vcc_lo, 0, v77
	v_cndmask_b32_e32 v77, v83, v78, vcc_lo
; %bb.68:
	s_or_b32 exec_lo, exec_lo, s4
	v_and_b32_e32 v78, 0x7f800000, v79
	s_delay_alu instid0(VALU_DEP_1) | instskip(SKIP_1) | instid1(SALU_CYCLE_1)
	v_cmp_ne_u32_e32 vcc_lo, 0x7f800000, v78
                                        ; implicit-def: $vgpr78
	s_and_saveexec_b32 s4, vcc_lo
	s_xor_b32 s4, exec_lo, s4
; %bb.69:
	v_bfe_u32 v78, v79, 16, 1
	s_delay_alu instid0(VALU_DEP_1)
	v_add3_u32 v78, v79, v78, 0x7fff
                                        ; implicit-def: $vgpr79
; %bb.70:
	s_and_not1_saveexec_b32 s4, s4
; %bb.71:
	v_and_b32_e32 v78, 0xffff, v79
	v_or_b32_e32 v83, 0x10000, v79
	s_delay_alu instid0(VALU_DEP_2) | instskip(NEXT) | instid1(VALU_DEP_2)
	v_cmp_eq_u32_e32 vcc_lo, 0, v78
	v_cndmask_b32_e32 v78, v83, v79, vcc_lo
; %bb.72:
	s_or_b32 exec_lo, exec_lo, s4
	v_and_b32_e32 v79, 0x7f800000, v70
	s_delay_alu instid0(VALU_DEP_1) | instskip(SKIP_1) | instid1(SALU_CYCLE_1)
	v_cmp_ne_u32_e32 vcc_lo, 0x7f800000, v79
                                        ; implicit-def: $vgpr79
	s_and_saveexec_b32 s4, vcc_lo
	s_xor_b32 s4, exec_lo, s4
; %bb.73:
	v_bfe_u32 v79, v70, 16, 1
	s_delay_alu instid0(VALU_DEP_1)
	v_add3_u32 v79, v70, v79, 0x7fff
                                        ; implicit-def: $vgpr70
; %bb.74:
	s_and_not1_saveexec_b32 s4, s4
; %bb.75:
	v_and_b32_e32 v79, 0xffff, v70
	v_or_b32_e32 v83, 0x10000, v70
	s_delay_alu instid0(VALU_DEP_2) | instskip(NEXT) | instid1(VALU_DEP_2)
	v_cmp_eq_u32_e32 vcc_lo, 0, v79
	v_cndmask_b32_e32 v79, v83, v70, vcc_lo
; %bb.76:
	s_or_b32 exec_lo, exec_lo, s4
	s_delay_alu instid0(VALU_DEP_1)
	v_perm_b32 v86, v79, v78, 0x7060302
	v_perm_b32 v85, v77, v82, 0x7060302
	v_perm_b32 v84, v81, v72, 0x7060302
	v_perm_b32 v83, v71, v69, 0x7060302
	v_lshl_or_b32 v82, v66, 11, v80
	ds_store_b128 v76, v[83:86] offset:1024
	s_waitcnt lgkmcnt(0)
	s_barrier
	buffer_gl0_inv
	ds_load_b128 v[69:72], v82
	ds_load_b128 v[83:86], v82 offset:16
	s_waitcnt lgkmcnt(1)
	v_lshrrev_b32_e32 v66, 16, v69
	s_waitcnt lgkmcnt(0)
	v_lshrrev_b32_e32 v91, 16, v83
	v_lshlrev_b32_e32 v78, 2, v74
	v_lshrrev_b32_e32 v95, 16, v70
	v_lshrrev_b32_e32 v98, 16, v84
	;; [unrolled: 1-line block ×4, first 2 shown]
	v_cmp_eq_u32_e32 vcc_lo, 1, v78
	v_lshrrev_b32_e32 v97, 16, v72
	v_lshrrev_b32_e32 v100, 16, v86
	v_cndmask_b32_e32 v87, v83, v91, vcc_lo
	v_or_b32_e32 v79, 1, v78
	v_cndmask_b32_e32 v81, v69, v66, vcc_lo
	v_cmp_eq_u32_e64 s5, 2, v78
	v_cmp_eq_u32_e64 s8, 3, v78
	;; [unrolled: 1-line block ×5, first 2 shown]
	v_cndmask_b32_e64 v81, v81, v70, s5
	v_cndmask_b32_e64 v87, v87, v84, s5
	v_cmp_eq_u32_e64 s9, 3, v79
	v_cndmask_b32_e64 v88, v69, v66, s4
	v_or_b32_e32 v77, 2, v78
	v_cndmask_b32_e64 v81, v81, v95, s8
	v_cndmask_b32_e64 v87, v87, v98, s8
	;; [unrolled: 1-line block ×4, first 2 shown]
	v_cmp_eq_u32_e64 s11, 5, v78
	v_cndmask_b32_e64 v81, v81, v71, s10
	v_cndmask_b32_e64 v87, v87, v85, s10
	v_cmp_eq_u32_e64 s12, 4, v79
	v_cndmask_b32_e64 v88, v88, v95, s9
	v_cmp_eq_u32_e64 s6, 1, v77
	v_cndmask_b32_e64 v89, v89, v84, s7
	v_cndmask_b32_e64 v81, v81, v96, s11
	v_cmp_eq_u32_e64 s13, 6, v78
	v_cndmask_b32_e64 v88, v88, v71, s12
	;; [unrolled: 3-line block ×3, first 2 shown]
	v_cndmask_b32_e64 v89, v89, v98, s9
	v_cndmask_b32_e64 v81, v81, v72, s13
	v_cmp_eq_u32_e64 s16, 7, v78
	v_cndmask_b32_e64 v88, v88, v96, s15
	v_cndmask_b32_e64 v87, v87, v86, s13
	v_cmp_eq_u32_e64 s17, 6, v79
	v_cmp_eq_u32_e64 s18, 2, v77
	v_cndmask_b32_e64 v89, v89, v85, s12
	v_cndmask_b32_e64 v101, v81, v97, s16
	;; [unrolled: 1-line block ×6, first 2 shown]
	v_cmp_eq_u32_e64 s19, 7, v79
	v_cmp_eq_u32_e64 s20, 3, v77
	;; [unrolled: 1-line block ×4, first 2 shown]
	v_cndmask_b32_e64 v87, v87, v84, s18
	v_cndmask_b32_e64 v103, v88, v97, s19
	;; [unrolled: 1-line block ×4, first 2 shown]
	v_or_b32_e32 v81, 3, v78
	v_cndmask_b32_e64 v93, v87, v98, s20
	v_cmp_eq_u32_e64 s25, 6, v77
	v_cndmask_b32_e64 v104, v88, v86, s17
	v_cndmask_b32_e64 v92, v89, v71, s21
	v_cmp_eq_u32_e64 s22, 1, v81
	ds_load_b128 v[87:90], v82 offset:1024
	v_cmp_eq_u32_e64 s24, 2, v81
	v_cmp_eq_u32_e64 s26, 3, v81
	v_cndmask_b32_e64 v105, v92, v96, s23
	v_cndmask_b32_e64 v66, v69, v66, s22
	;; [unrolled: 1-line block ×4, first 2 shown]
	ds_load_b128 v[91:94], v82 offset:1040
	v_cmp_eq_u32_e64 s27, 4, v81
	v_cndmask_b32_e64 v66, v66, v70, s24
	v_cmp_eq_u32_e64 s28, 7, v77
	v_cndmask_b32_e64 v70, v83, v84, s24
	v_cndmask_b32_e64 v84, v105, v72, s25
	v_cmp_eq_u32_e64 s29, 5, v81
	v_cndmask_b32_e64 v66, v66, v95, s26
	v_cmp_eq_u32_e64 s30, 6, v81
	v_cndmask_b32_e64 v70, v70, v98, s26
	v_cndmask_b32_e64 v69, v69, v99, s23
	;; [unrolled: 1-line block ×4, first 2 shown]
	s_waitcnt lgkmcnt(1)
	v_lshrrev_b32_e32 v95, 16, v87
	v_cndmask_b32_e64 v70, v70, v85, s27
	v_cndmask_b32_e64 v71, v84, v97, s28
	;; [unrolled: 1-line block ×4, first 2 shown]
	v_cndmask_b32_e32 v84, v87, v95, vcc_lo
	v_cndmask_b32_e64 v70, v70, v99, s29
	s_waitcnt lgkmcnt(0)
	v_lshrrev_b32_e32 v85, 16, v91
	v_lshrrev_b32_e32 v96, 16, v88
	v_cndmask_b32_e64 v98, v87, v95, s4
	v_cndmask_b32_e64 v84, v84, v88, s5
	;; [unrolled: 1-line block ×3, first 2 shown]
	v_cndmask_b32_e32 v99, v91, v85, vcc_lo
	v_cmp_eq_u32_e32 vcc_lo, 7, v81
	v_cndmask_b32_e64 v66, v66, v72, s30
	v_cndmask_b32_e64 v72, v84, v96, s8
	;; [unrolled: 1-line block ×3, first 2 shown]
	v_lshrrev_b32_e32 v98, 16, v92
	v_cndmask_b32_e32 v70, v70, v100, vcc_lo
	v_cndmask_b32_e64 v86, v99, v92, s5
	v_cndmask_b32_e64 v69, v69, v100, s28
	v_lshrrev_b32_e32 v100, 16, v93
	v_cndmask_b32_e64 v72, v72, v89, s10
	v_lshrrev_b32_e32 v99, 16, v89
	v_cndmask_b32_e64 v86, v86, v98, s8
	v_perm_b32 v71, v69, v71, 0x5040100
	v_cndmask_b32_e64 v84, v84, v96, s9
	s_delay_alu instid0(VALU_DEP_3) | instskip(NEXT) | instid1(VALU_DEP_2)
	v_cndmask_b32_e64 v86, v86, v93, s10
	v_cndmask_b32_e64 v84, v84, v89, s12
	s_delay_alu instid0(VALU_DEP_2) | instskip(NEXT) | instid1(VALU_DEP_1)
	v_cndmask_b32_e64 v86, v86, v100, s11
	v_cndmask_b32_e64 v69, v86, v94, s13
	;; [unrolled: 1-line block ×5, first 2 shown]
	s_delay_alu instid0(VALU_DEP_3) | instskip(NEXT) | instid1(VALU_DEP_3)
	v_cndmask_b32_e64 v86, v86, v88, s18
	v_cndmask_b32_e64 v87, v87, v88, s24
	s_delay_alu instid0(VALU_DEP_3) | instskip(NEXT) | instid1(VALU_DEP_3)
	v_cndmask_b32_e64 v88, v95, v92, s24
	v_cndmask_b32_e64 v86, v86, v96, s20
	;; [unrolled: 3-line block ×7, first 2 shown]
	s_delay_alu instid0(VALU_DEP_3) | instskip(SKIP_2) | instid1(VALU_DEP_2)
	v_cndmask_b32_e64 v88, v88, v94, s30
	v_cndmask_b32_e32 v66, v66, v97, vcc_lo
	v_cndmask_b32_e64 v97, v72, v99, s11
	v_perm_b32 v72, v70, v66, 0x5040100
	v_perm_b32 v70, v83, v103, 0x5040100
	v_cndmask_b32_e64 v103, v91, v85, s6
	v_cndmask_b32_e64 v85, v91, v85, s4
	;; [unrolled: 1-line block ×4, first 2 shown]
	v_lshrrev_b32_e32 v97, 16, v90
	v_cndmask_b32_e64 v91, v103, v92, s18
	v_cndmask_b32_e64 v85, v85, v92, s7
	;; [unrolled: 1-line block ×3, first 2 shown]
	s_mov_b32 s4, exec_lo
	v_cndmask_b32_e64 v83, v84, v97, s16
	v_cndmask_b32_e64 v91, v91, v98, s20
	;; [unrolled: 1-line block ×3, first 2 shown]
	v_lshrrev_b32_e32 v84, 16, v94
	v_cndmask_b32_e64 v66, v66, v97, s19
	v_cndmask_b32_e64 v90, v86, v97, s28
	;; [unrolled: 1-line block ×4, first 2 shown]
	v_dual_cndmask_b32 v86, v87, v97 :: v_dual_cndmask_b32 v87, v88, v84
	v_cndmask_b32_e64 v91, v69, v84, s16
	s_delay_alu instid0(VALU_DEP_4) | instskip(NEXT) | instid1(VALU_DEP_4)
	v_cndmask_b32_e64 v89, v89, v100, s23
	v_cndmask_b32_e64 v85, v85, v100, s15
	v_perm_b32 v69, v102, v101, 0x5040100
	v_perm_b32 v86, v87, v86, 0x5040100
	;; [unrolled: 1-line block ×3, first 2 shown]
	v_cndmask_b32_e64 v89, v89, v94, s25
	v_cndmask_b32_e64 v85, v85, v94, s17
	s_mul_i32 s9, s37, 7
	s_delay_alu instid0(VALU_DEP_2) | instskip(NEXT) | instid1(VALU_DEP_2)
	v_cndmask_b32_e64 v88, v89, v84, s28
	v_cndmask_b32_e64 v89, v85, v84, s19
	s_delay_alu instid0(VALU_DEP_2) | instskip(NEXT) | instid1(VALU_DEP_2)
	v_perm_b32 v85, v88, v90, 0x5040100
	v_perm_b32 v84, v89, v66, 0x5040100
	ds_store_b128 v76, v[69:72]
	ds_store_b128 v76, v[83:86] offset:1024
	v_cmpx_gt_u32_e32 7, v0
	s_cbranch_execz .LBB1452_78
; %bb.77:
	s_mul_i32 s5, s9, s34
	s_load_b128 s[16:19], s[0:1], 0x58
	v_add3_u32 v69, s5, s31, v65
	s_delay_alu instid0(VALU_DEP_1) | instskip(NEXT) | instid1(VALU_DEP_1)
	v_mad_u64_u32 v[65:66], null, v69, s36, s[14:15]
	v_ashrrev_i32_e32 v66, 31, v65
	s_delay_alu instid0(VALU_DEP_1) | instskip(SKIP_1) | instid1(VALU_DEP_1)
	v_lshlrev_b64 v[65:66], 2, v[65:66]
	s_waitcnt lgkmcnt(0)
	v_add_co_u32 v69, vcc_lo, s18, v65
	s_delay_alu instid0(VALU_DEP_2)
	v_add_co_ci_u32_e32 v70, vcc_lo, s19, v66, vcc_lo
	v_add_co_u32 v65, vcc_lo, s16, v65
	v_add_co_ci_u32_e32 v66, vcc_lo, s17, v66, vcc_lo
	global_store_b32 v[69:70], v67, off
	global_store_b32 v[65:66], v68, off
.LBB1452_78:
	s_or_b32 exec_lo, exec_lo, s4
	s_waitcnt lgkmcnt(0)
	s_waitcnt_vscnt null, 0x0
	s_barrier
	buffer_gl0_inv
	ds_load_b128 v[83:86], v80
	ds_load_b128 v[87:90], v80 offset:16
	ds_load_b128 v[95:98], v80 offset:2064
	;; [unrolled: 1-line block ×3, first 2 shown]
	v_mov_b32_e32 v65, 0
	ds_load_b128 v[103:106], v80 offset:4112
	ds_load_b128 v[99:102], v80 offset:4096
	;; [unrolled: 1-line block ×4, first 2 shown]
	v_mov_b32_e32 v66, v65
	v_mov_b32_e32 v67, v65
	;; [unrolled: 1-line block ×7, first 2 shown]
	s_waitcnt lgkmcnt(6)
	s_delay_alu instid0(VALU_DEP_1)
	v_wmma_f32_16x16x16_bf16 v[65:72], v[57:64], v[83:90], v[65:72]
	ds_load_b128 v[61:64], v80 offset:8208
	ds_load_b128 v[57:60], v80 offset:8192
	s_waitcnt lgkmcnt(6)
	v_wmma_f32_16x16x16_bf16 v[65:72], v[41:48], v[91:98], v[65:72]
	ds_load_b128 v[45:48], v80 offset:10256
	ds_load_b128 v[41:44], v80 offset:10240
	s_waitcnt lgkmcnt(6)
	;; [unrolled: 4-line block ×4, first 2 shown]
	v_wmma_f32_16x16x16_bf16 v[65:72], v[1:8], v[57:64], v[65:72]
	s_waitcnt lgkmcnt(4)
	s_delay_alu instid0(VALU_DEP_1) | instskip(SKIP_1) | instid1(VALU_DEP_1)
	v_wmma_f32_16x16x16_bf16 v[65:72], v[9:16], v[41:48], v[65:72]
	s_waitcnt lgkmcnt(2)
	v_wmma_f32_16x16x16_bf16 v[65:72], v[17:24], v[33:40], v[65:72]
	s_waitcnt lgkmcnt(0)
	s_delay_alu instid0(VALU_DEP_1) | instskip(NEXT) | instid1(VALU_DEP_1)
	v_wmma_f32_16x16x16_bf16 v[65:72], v[49:56], v[25:32], v[65:72]
	v_and_b32_e32 v1, 0x7f800000, v65
	s_delay_alu instid0(VALU_DEP_1) | instskip(SKIP_1) | instid1(SALU_CYCLE_1)
	v_cmp_ne_u32_e32 vcc_lo, 0x7f800000, v1
                                        ; implicit-def: $vgpr1
	s_and_saveexec_b32 s4, vcc_lo
	s_xor_b32 s4, exec_lo, s4
; %bb.79:
	v_bfe_u32 v1, v65, 16, 1
	s_delay_alu instid0(VALU_DEP_1)
	v_add3_u32 v1, v65, v1, 0x7fff
; %bb.80:
	s_and_not1_saveexec_b32 s4, s4
; %bb.81:
	v_and_b32_e32 v1, 0xffff, v65
	v_or_b32_e32 v2, 0x10000, v65
	s_delay_alu instid0(VALU_DEP_2) | instskip(NEXT) | instid1(VALU_DEP_2)
	v_cmp_eq_u32_e32 vcc_lo, 0, v1
	v_cndmask_b32_e32 v1, v2, v65, vcc_lo
; %bb.82:
	s_or_b32 exec_lo, exec_lo, s4
	v_and_b32_e32 v2, 0x7f800000, v66
	s_delay_alu instid0(VALU_DEP_1) | instskip(SKIP_1) | instid1(SALU_CYCLE_1)
	v_cmp_ne_u32_e32 vcc_lo, 0x7f800000, v2
                                        ; implicit-def: $vgpr2
	s_and_saveexec_b32 s4, vcc_lo
	s_xor_b32 s4, exec_lo, s4
; %bb.83:
	v_bfe_u32 v2, v66, 16, 1
	s_delay_alu instid0(VALU_DEP_1)
	v_add3_u32 v2, v66, v2, 0x7fff
; %bb.84:
	s_and_not1_saveexec_b32 s4, s4
; %bb.85:
	v_and_b32_e32 v2, 0xffff, v66
	v_or_b32_e32 v3, 0x10000, v66
	s_delay_alu instid0(VALU_DEP_2) | instskip(NEXT) | instid1(VALU_DEP_2)
	v_cmp_eq_u32_e32 vcc_lo, 0, v2
	v_cndmask_b32_e32 v2, v3, v66, vcc_lo
; %bb.86:
	s_or_b32 exec_lo, exec_lo, s4
	v_and_b32_e32 v3, 0x7f800000, v67
	s_delay_alu instid0(VALU_DEP_1) | instskip(SKIP_1) | instid1(SALU_CYCLE_1)
	v_cmp_ne_u32_e32 vcc_lo, 0x7f800000, v3
                                        ; implicit-def: $vgpr3
	s_and_saveexec_b32 s4, vcc_lo
	s_xor_b32 s4, exec_lo, s4
; %bb.87:
	v_bfe_u32 v3, v67, 16, 1
	s_delay_alu instid0(VALU_DEP_1)
	v_add3_u32 v3, v67, v3, 0x7fff
; %bb.88:
	s_and_not1_saveexec_b32 s4, s4
; %bb.89:
	v_and_b32_e32 v3, 0xffff, v67
	v_or_b32_e32 v4, 0x10000, v67
	s_delay_alu instid0(VALU_DEP_2) | instskip(NEXT) | instid1(VALU_DEP_2)
	v_cmp_eq_u32_e32 vcc_lo, 0, v3
	v_cndmask_b32_e32 v3, v4, v67, vcc_lo
; %bb.90:
	s_or_b32 exec_lo, exec_lo, s4
	v_and_b32_e32 v4, 0x7f800000, v68
	s_delay_alu instid0(VALU_DEP_1) | instskip(SKIP_1) | instid1(SALU_CYCLE_1)
	v_cmp_ne_u32_e32 vcc_lo, 0x7f800000, v4
                                        ; implicit-def: $vgpr4
	s_and_saveexec_b32 s4, vcc_lo
	s_xor_b32 s4, exec_lo, s4
; %bb.91:
	v_bfe_u32 v4, v68, 16, 1
	s_delay_alu instid0(VALU_DEP_1)
	v_add3_u32 v4, v68, v4, 0x7fff
; %bb.92:
	s_and_not1_saveexec_b32 s4, s4
; %bb.93:
	v_and_b32_e32 v4, 0xffff, v68
	v_or_b32_e32 v5, 0x10000, v68
	s_delay_alu instid0(VALU_DEP_2) | instskip(NEXT) | instid1(VALU_DEP_2)
	v_cmp_eq_u32_e32 vcc_lo, 0, v4
	v_cndmask_b32_e32 v4, v5, v68, vcc_lo
; %bb.94:
	s_or_b32 exec_lo, exec_lo, s4
	v_and_b32_e32 v5, 0x7f800000, v69
	s_delay_alu instid0(VALU_DEP_1) | instskip(SKIP_1) | instid1(SALU_CYCLE_1)
	v_cmp_ne_u32_e32 vcc_lo, 0x7f800000, v5
                                        ; implicit-def: $vgpr5
	s_and_saveexec_b32 s4, vcc_lo
	s_xor_b32 s4, exec_lo, s4
; %bb.95:
	v_bfe_u32 v5, v69, 16, 1
	s_delay_alu instid0(VALU_DEP_1)
	v_add3_u32 v5, v69, v5, 0x7fff
; %bb.96:
	s_and_not1_saveexec_b32 s4, s4
; %bb.97:
	v_and_b32_e32 v5, 0xffff, v69
	v_or_b32_e32 v6, 0x10000, v69
	s_delay_alu instid0(VALU_DEP_2) | instskip(NEXT) | instid1(VALU_DEP_2)
	v_cmp_eq_u32_e32 vcc_lo, 0, v5
	v_cndmask_b32_e32 v5, v6, v69, vcc_lo
; %bb.98:
	s_or_b32 exec_lo, exec_lo, s4
	v_and_b32_e32 v6, 0x7f800000, v70
	s_delay_alu instid0(VALU_DEP_1) | instskip(SKIP_1) | instid1(SALU_CYCLE_1)
	v_cmp_ne_u32_e32 vcc_lo, 0x7f800000, v6
                                        ; implicit-def: $vgpr6
	s_and_saveexec_b32 s4, vcc_lo
	s_xor_b32 s4, exec_lo, s4
; %bb.99:
	v_bfe_u32 v6, v70, 16, 1
	s_delay_alu instid0(VALU_DEP_1)
	v_add3_u32 v6, v70, v6, 0x7fff
; %bb.100:
	s_and_not1_saveexec_b32 s4, s4
; %bb.101:
	v_and_b32_e32 v6, 0xffff, v70
	v_or_b32_e32 v7, 0x10000, v70
	s_delay_alu instid0(VALU_DEP_2) | instskip(NEXT) | instid1(VALU_DEP_2)
	v_cmp_eq_u32_e32 vcc_lo, 0, v6
	v_cndmask_b32_e32 v6, v7, v70, vcc_lo
; %bb.102:
	s_or_b32 exec_lo, exec_lo, s4
	v_and_b32_e32 v7, 0x7f800000, v71
	s_delay_alu instid0(VALU_DEP_1) | instskip(SKIP_1) | instid1(SALU_CYCLE_1)
	v_cmp_ne_u32_e32 vcc_lo, 0x7f800000, v7
                                        ; implicit-def: $vgpr7
	s_and_saveexec_b32 s4, vcc_lo
	s_xor_b32 s4, exec_lo, s4
; %bb.103:
	v_bfe_u32 v7, v71, 16, 1
	s_delay_alu instid0(VALU_DEP_1)
	v_add3_u32 v7, v71, v7, 0x7fff
; %bb.104:
	s_and_not1_saveexec_b32 s4, s4
; %bb.105:
	v_and_b32_e32 v7, 0xffff, v71
	v_or_b32_e32 v8, 0x10000, v71
	s_delay_alu instid0(VALU_DEP_2) | instskip(NEXT) | instid1(VALU_DEP_2)
	v_cmp_eq_u32_e32 vcc_lo, 0, v7
	v_cndmask_b32_e32 v7, v8, v71, vcc_lo
; %bb.106:
	s_or_b32 exec_lo, exec_lo, s4
	v_and_b32_e32 v8, 0x7f800000, v72
	s_delay_alu instid0(VALU_DEP_1) | instskip(SKIP_1) | instid1(SALU_CYCLE_1)
	v_cmp_ne_u32_e32 vcc_lo, 0x7f800000, v8
                                        ; implicit-def: $vgpr8
	s_and_saveexec_b32 s4, vcc_lo
	s_xor_b32 s4, exec_lo, s4
; %bb.107:
	v_bfe_u32 v8, v72, 16, 1
	s_delay_alu instid0(VALU_DEP_1)
	v_add3_u32 v8, v72, v8, 0x7fff
                                        ; implicit-def: $vgpr65_vgpr66_vgpr67_vgpr68_vgpr69_vgpr70_vgpr71_vgpr72
; %bb.108:
	s_and_not1_saveexec_b32 s4, s4
; %bb.109:
	v_and_b32_e32 v8, 0xffff, v72
	v_or_b32_e32 v9, 0x10000, v72
	s_delay_alu instid0(VALU_DEP_2) | instskip(NEXT) | instid1(VALU_DEP_2)
	v_cmp_eq_u32_e32 vcc_lo, 0, v8
	v_cndmask_b32_e32 v8, v9, v72, vcc_lo
; %bb.110:
	s_or_b32 exec_lo, exec_lo, s4
	s_delay_alu instid0(VALU_DEP_1)
	v_perm_b32 v7, v8, v7, 0x7060302
	v_perm_b32 v6, v6, v5, 0x7060302
	;; [unrolled: 1-line block ×4, first 2 shown]
	s_barrier
	buffer_gl0_inv
	v_cmp_eq_u32_e32 vcc_lo, 1, v78
	ds_store_b128 v76, v[4:7]
	s_waitcnt lgkmcnt(0)
	s_barrier
	buffer_gl0_inv
	ds_load_b128 v[1:4], v82
	ds_load_b128 v[5:8], v82 offset:16
	v_cmp_eq_u32_e64 s4, 1, v79
	v_cmp_eq_u32_e64 s5, 2, v78
	;; [unrolled: 1-line block ×5, first 2 shown]
	s_waitcnt lgkmcnt(1)
	v_lshrrev_b32_e32 v9, 16, v1
	s_waitcnt lgkmcnt(0)
	v_lshrrev_b32_e32 v13, 16, v5
	v_lshrrev_b32_e32 v10, 16, v2
	;; [unrolled: 1-line block ×4, first 2 shown]
	v_cndmask_b32_e64 v19, v1, v9, s4
	v_cndmask_b32_e32 v18, v5, v13, vcc_lo
	v_cndmask_b32_e64 v20, v5, v13, s4
	v_cndmask_b32_e32 v17, v1, v9, vcc_lo
	v_cmp_eq_u32_e32 vcc_lo, 2, v79
	v_lshrrev_b32_e32 v15, 16, v7
	v_cmp_eq_u32_e64 s4, 1, v77
	v_lshrrev_b32_e32 v12, 16, v4
	v_lshrrev_b32_e32 v16, 16, v8
	v_cndmask_b32_e32 v20, v20, v6, vcc_lo
	v_cndmask_b32_e64 v17, v17, v2, s5
	v_cndmask_b32_e32 v19, v19, v2, vcc_lo
	v_cndmask_b32_e64 v18, v18, v6, s5
	v_cmp_eq_u32_e32 vcc_lo, 4, v78
	v_cmp_eq_u32_e64 s5, 3, v79
	v_cndmask_b32_e64 v17, v17, v10, s6
	v_cndmask_b32_e64 v21, v1, v9, s4
	;; [unrolled: 1-line block ×5, first 2 shown]
	v_cndmask_b32_e32 v17, v17, v3, vcc_lo
	v_cndmask_b32_e64 v20, v20, v14, s5
	v_cndmask_b32_e32 v18, v18, v7, vcc_lo
	v_cmp_eq_u32_e32 vcc_lo, 4, v79
	v_cmp_eq_u32_e64 s5, 5, v79
	v_cmp_eq_u32_e64 s4, 2, v81
	v_cndmask_b32_e64 v21, v21, v2, s8
	v_cmp_eq_u32_e64 s6, 5, v78
	v_cndmask_b32_e32 v19, v19, v3, vcc_lo
	v_cndmask_b32_e32 v20, v20, v7, vcc_lo
	v_cmp_eq_u32_e32 vcc_lo, 6, v79
	s_delay_alu instid0(VALU_DEP_4) | instskip(NEXT) | instid1(VALU_DEP_4)
	v_cndmask_b32_e64 v17, v17, v11, s6
	v_cndmask_b32_e64 v19, v19, v11, s5
	s_delay_alu instid0(VALU_DEP_4) | instskip(SKIP_1) | instid1(VALU_DEP_3)
	v_cndmask_b32_e64 v20, v20, v15, s5
	v_cmp_eq_u32_e64 s5, 1, v81
	v_cndmask_b32_e32 v19, v19, v4, vcc_lo
	v_cndmask_b32_e64 v18, v18, v15, s6
	s_delay_alu instid0(VALU_DEP_3)
	v_cndmask_b32_e64 v1, v1, v9, s5
	v_cndmask_b32_e64 v5, v5, v13, s5
	v_cmp_eq_u32_e64 s5, 3, v77
	v_cndmask_b32_e64 v13, v22, v6, s8
	v_cmp_eq_u32_e64 s8, 3, v81
	v_cndmask_b32_e64 v1, v1, v2, s4
	v_cndmask_b32_e64 v2, v5, v6, s4
	;; [unrolled: 1-line block ×3, first 2 shown]
	v_cmp_eq_u32_e64 s4, 4, v77
	v_cndmask_b32_e64 v6, v13, v14, s5
	v_cndmask_b32_e64 v1, v1, v10, s8
	v_cmp_eq_u32_e64 s5, 4, v81
	v_cndmask_b32_e64 v2, v2, v14, s8
	v_cndmask_b32_e64 v5, v9, v3, s4
	v_cmp_eq_u32_e64 s8, 5, v77
	v_cndmask_b32_e64 v6, v6, v7, s4
	v_cndmask_b32_e64 v1, v1, v3, s5
	v_cndmask_b32_e64 v2, v2, v7, s5
	v_cmp_eq_u32_e64 s4, 5, v81
	v_cmp_eq_u32_e64 s6, 6, v78
	v_cndmask_b32_e64 v5, v5, v11, s8
	v_cmp_eq_u32_e64 s5, 6, v77
	v_cndmask_b32_e64 v3, v6, v15, s8
	v_cndmask_b32_e64 v1, v1, v11, s4
	v_cmp_eq_u32_e64 s8, 6, v81
	v_cndmask_b32_e64 v2, v2, v15, s4
	v_cndmask_b32_e64 v17, v17, v4, s6
	v_cndmask_b32_e64 v18, v18, v8, s6
	v_cmp_eq_u32_e64 s6, 7, v78
	v_cndmask_b32_e64 v5, v5, v4, s5
	;; [unrolled: 4-line block ×3, first 2 shown]
	v_cmp_eq_u32_e64 s5, 7, v77
	v_cndmask_b32_e32 v4, v20, v8, vcc_lo
	v_cndmask_b32_e64 v17, v17, v12, s6
	v_cndmask_b32_e64 v19, v19, v12, s7
	;; [unrolled: 1-line block ×8, first 2 shown]
	v_cmp_gt_u32_e32 vcc_lo, 32, v0
	v_perm_b32 v4, v2, v1, 0x5040100
	v_perm_b32 v3, v3, v5, 0x5040100
	v_perm_b32 v2, v6, v19, 0x5040100
	v_perm_b32 v1, v7, v17, 0x5040100
	s_and_b32 s2, vcc_lo, s2
	ds_store_b128 v76, v[1:4]
	s_waitcnt lgkmcnt(0)
	s_barrier
	buffer_gl0_inv
	s_and_saveexec_b32 s4, s2
	s_cbranch_execz .LBB1452_2
; %bb.111:
	s_load_b64 s[4:5], s[0:1], 0x68
	v_lshlrev_b32_e32 v0, 10, v0
	v_add_nc_u32_e32 v2, s31, v74
	v_lshlrev_b32_e32 v3, 4, v75
	s_lshl_b32 s0, s36, 6
	s_delay_alu instid0(SALU_CYCLE_1) | instskip(NEXT) | instid1(VALU_DEP_2)
	s_mul_i32 s1, s0, s34
	v_mul_lo_u32 v1, v2, s0
	s_delay_alu instid0(VALU_DEP_2)
	v_and_or_b32 v0, 0x3800, v0, v3
	v_add_nc_u32_e32 v3, 2, v2
	s_mul_i32 s6, s1, s9
	v_add_nc_u32_e32 v4, 4, v2
	s_ashr_i32 s7, s6, 31
	v_lshl_or_b32 v11, v74, 6, v0
	s_lshl_b64 s[6:7], s[6:7], 1
	v_mul_lo_u32 v15, v3, s0
	v_mul_lo_u32 v17, v4, s0
	v_ashrrev_i32_e32 v2, 31, v1
	ds_load_b128 v[3:6], v11
	ds_load_b128 v[7:10], v11 offset:128
	ds_load_b128 v[11:14], v11 offset:256
	s_waitcnt lgkmcnt(0)
	s_add_u32 s1, s4, s6
	s_addc_u32 s2, s5, s7
	s_lshl_b32 s4, s14, 6
	v_ashrrev_i32_e32 v16, 31, v15
	s_ashr_i32 s5, s4, 31
	v_lshlrev_b64 v[19:20], 1, v[1:2]
	s_lshl_b64 s[4:5], s[4:5], 1
	v_ashrrev_i32_e32 v18, 31, v17
	s_add_u32 s1, s1, s4
	s_addc_u32 s2, s2, s5
	v_add_co_u32 v1, s1, s1, v73
	s_delay_alu instid0(VALU_DEP_1) | instskip(SKIP_1) | instid1(VALU_DEP_3)
	v_add_co_ci_u32_e64 v2, null, s2, 0, s1
	v_lshlrev_b64 v[15:16], 1, v[15:16]
	v_add_co_u32 v19, vcc_lo, v1, v19
	v_lshlrev_b64 v[17:18], 1, v[17:18]
	s_delay_alu instid0(VALU_DEP_4) | instskip(NEXT) | instid1(VALU_DEP_4)
	v_add_co_ci_u32_e32 v20, vcc_lo, v2, v20, vcc_lo
	v_add_co_u32 v15, vcc_lo, v1, v15
	v_add_co_ci_u32_e32 v16, vcc_lo, v2, v16, vcc_lo
	s_delay_alu instid0(VALU_DEP_4)
	v_add_co_u32 v17, vcc_lo, v1, v17
	v_add_co_ci_u32_e32 v18, vcc_lo, v2, v18, vcc_lo
	s_clause 0x2
	global_store_b128 v[19:20], v[3:6], off
	global_store_b128 v[15:16], v[7:10], off
	;; [unrolled: 1-line block ×3, first 2 shown]
	s_and_b32 exec_lo, exec_lo, s3
	s_cbranch_execz .LBB1452_2
; %bb.112:
	ds_load_b128 v[3:6], v0 offset:384
	s_add_i32 s1, s31, 6
	s_delay_alu instid0(SALU_CYCLE_1) | instskip(NEXT) | instid1(SALU_CYCLE_1)
	s_mul_i32 s0, s1, s0
	s_ashr_i32 s1, s0, 31
	s_delay_alu instid0(SALU_CYCLE_1) | instskip(NEXT) | instid1(SALU_CYCLE_1)
	s_lshl_b64 s[0:1], s[0:1], 1
	v_add_co_u32 v0, vcc_lo, v1, s0
	v_add_co_ci_u32_e32 v1, vcc_lo, s1, v2, vcc_lo
	s_waitcnt lgkmcnt(0)
	global_store_b128 v[0:1], v[3:6], off
	s_nop 0
	s_sendmsg sendmsg(MSG_DEALLOC_VGPRS)
	s_endpgm
	.section	.rodata,"a",@progbits
	.p2align	6, 0x0
	.amdhsa_kernel _Z39paged_attention_ll4mi_QKV_mfma16_kernelI14__hip_bfloat16hLN4vllm18Fp8KVCacheDataTypeE1EhLi32ELi64ELi256ELb0ELi7EL8MFMAType1EEvPKT_PKT0_S9_ifPKiSB_SB_iPKfiiiPfSE_PS4_PT2_iSD_SD_
		.amdhsa_group_segment_fixed_size 17472
		.amdhsa_private_segment_fixed_size 0
		.amdhsa_kernarg_size 400
		.amdhsa_user_sgpr_count 13
		.amdhsa_user_sgpr_dispatch_ptr 0
		.amdhsa_user_sgpr_queue_ptr 0
		.amdhsa_user_sgpr_kernarg_segment_ptr 1
		.amdhsa_user_sgpr_dispatch_id 0
		.amdhsa_user_sgpr_private_segment_size 0
		.amdhsa_wavefront_size32 1
		.amdhsa_uses_dynamic_stack 0
		.amdhsa_enable_private_segment 0
		.amdhsa_system_sgpr_workgroup_id_x 1
		.amdhsa_system_sgpr_workgroup_id_y 1
		.amdhsa_system_sgpr_workgroup_id_z 1
		.amdhsa_system_sgpr_workgroup_info 0
		.amdhsa_system_vgpr_workitem_id 0
		.amdhsa_next_free_vgpr 124
		.amdhsa_next_free_sgpr 42
		.amdhsa_reserve_vcc 1
		.amdhsa_float_round_mode_32 0
		.amdhsa_float_round_mode_16_64 0
		.amdhsa_float_denorm_mode_32 3
		.amdhsa_float_denorm_mode_16_64 3
		.amdhsa_dx10_clamp 1
		.amdhsa_ieee_mode 1
		.amdhsa_fp16_overflow 0
		.amdhsa_workgroup_processor_mode 1
		.amdhsa_memory_ordered 1
		.amdhsa_forward_progress 0
		.amdhsa_shared_vgpr_count 0
		.amdhsa_exception_fp_ieee_invalid_op 0
		.amdhsa_exception_fp_denorm_src 0
		.amdhsa_exception_fp_ieee_div_zero 0
		.amdhsa_exception_fp_ieee_overflow 0
		.amdhsa_exception_fp_ieee_underflow 0
		.amdhsa_exception_fp_ieee_inexact 0
		.amdhsa_exception_int_div_zero 0
	.end_amdhsa_kernel
	.section	.text._Z39paged_attention_ll4mi_QKV_mfma16_kernelI14__hip_bfloat16hLN4vllm18Fp8KVCacheDataTypeE1EhLi32ELi64ELi256ELb0ELi7EL8MFMAType1EEvPKT_PKT0_S9_ifPKiSB_SB_iPKfiiiPfSE_PS4_PT2_iSD_SD_,"axG",@progbits,_Z39paged_attention_ll4mi_QKV_mfma16_kernelI14__hip_bfloat16hLN4vllm18Fp8KVCacheDataTypeE1EhLi32ELi64ELi256ELb0ELi7EL8MFMAType1EEvPKT_PKT0_S9_ifPKiSB_SB_iPKfiiiPfSE_PS4_PT2_iSD_SD_,comdat
.Lfunc_end1452:
	.size	_Z39paged_attention_ll4mi_QKV_mfma16_kernelI14__hip_bfloat16hLN4vllm18Fp8KVCacheDataTypeE1EhLi32ELi64ELi256ELb0ELi7EL8MFMAType1EEvPKT_PKT0_S9_ifPKiSB_SB_iPKfiiiPfSE_PS4_PT2_iSD_SD_, .Lfunc_end1452-_Z39paged_attention_ll4mi_QKV_mfma16_kernelI14__hip_bfloat16hLN4vllm18Fp8KVCacheDataTypeE1EhLi32ELi64ELi256ELb0ELi7EL8MFMAType1EEvPKT_PKT0_S9_ifPKiSB_SB_iPKfiiiPfSE_PS4_PT2_iSD_SD_
                                        ; -- End function
	.section	.AMDGPU.csdata,"",@progbits
; Kernel info:
; codeLenInByte = 8828
; NumSgprs: 44
; NumVgprs: 124
; ScratchSize: 0
; MemoryBound: 0
; FloatMode: 240
; IeeeMode: 1
; LDSByteSize: 17472 bytes/workgroup (compile time only)
; SGPRBlocks: 5
; VGPRBlocks: 15
; NumSGPRsForWavesPerEU: 44
; NumVGPRsForWavesPerEU: 124
; Occupancy: 10
; WaveLimiterHint : 1
; COMPUTE_PGM_RSRC2:SCRATCH_EN: 0
; COMPUTE_PGM_RSRC2:USER_SGPR: 13
; COMPUTE_PGM_RSRC2:TRAP_HANDLER: 0
; COMPUTE_PGM_RSRC2:TGID_X_EN: 1
; COMPUTE_PGM_RSRC2:TGID_Y_EN: 1
; COMPUTE_PGM_RSRC2:TGID_Z_EN: 1
; COMPUTE_PGM_RSRC2:TIDIG_COMP_CNT: 0
	.section	.text._Z39paged_attention_ll4mi_QKV_mfma16_kernelI14__hip_bfloat16hLN4vllm18Fp8KVCacheDataTypeE1EhLi32ELi64ELi256ELb0ELi8EL8MFMAType1EEvPKT_PKT0_S9_ifPKiSB_SB_iPKfiiiPfSE_PS4_PT2_iSD_SD_,"axG",@progbits,_Z39paged_attention_ll4mi_QKV_mfma16_kernelI14__hip_bfloat16hLN4vllm18Fp8KVCacheDataTypeE1EhLi32ELi64ELi256ELb0ELi8EL8MFMAType1EEvPKT_PKT0_S9_ifPKiSB_SB_iPKfiiiPfSE_PS4_PT2_iSD_SD_,comdat
	.protected	_Z39paged_attention_ll4mi_QKV_mfma16_kernelI14__hip_bfloat16hLN4vllm18Fp8KVCacheDataTypeE1EhLi32ELi64ELi256ELb0ELi8EL8MFMAType1EEvPKT_PKT0_S9_ifPKiSB_SB_iPKfiiiPfSE_PS4_PT2_iSD_SD_ ; -- Begin function _Z39paged_attention_ll4mi_QKV_mfma16_kernelI14__hip_bfloat16hLN4vllm18Fp8KVCacheDataTypeE1EhLi32ELi64ELi256ELb0ELi8EL8MFMAType1EEvPKT_PKT0_S9_ifPKiSB_SB_iPKfiiiPfSE_PS4_PT2_iSD_SD_
	.globl	_Z39paged_attention_ll4mi_QKV_mfma16_kernelI14__hip_bfloat16hLN4vllm18Fp8KVCacheDataTypeE1EhLi32ELi64ELi256ELb0ELi8EL8MFMAType1EEvPKT_PKT0_S9_ifPKiSB_SB_iPKfiiiPfSE_PS4_PT2_iSD_SD_
	.p2align	8
	.type	_Z39paged_attention_ll4mi_QKV_mfma16_kernelI14__hip_bfloat16hLN4vllm18Fp8KVCacheDataTypeE1EhLi32ELi64ELi256ELb0ELi8EL8MFMAType1EEvPKT_PKT0_S9_ifPKiSB_SB_iPKfiiiPfSE_PS4_PT2_iSD_SD_,@function
_Z39paged_attention_ll4mi_QKV_mfma16_kernelI14__hip_bfloat16hLN4vllm18Fp8KVCacheDataTypeE1EhLi32ELi64ELi256ELb0ELi8EL8MFMAType1EEvPKT_PKT0_S9_ifPKiSB_SB_iPKfiiiPfSE_PS4_PT2_iSD_SD_: ; @_Z39paged_attention_ll4mi_QKV_mfma16_kernelI14__hip_bfloat16hLN4vllm18Fp8KVCacheDataTypeE1EhLi32ELi64ELi256ELb0ELi8EL8MFMAType1EEvPKT_PKT0_S9_ifPKiSB_SB_iPKfiiiPfSE_PS4_PT2_iSD_SD_
; %bb.0:
	s_load_b64 s[2:3], s[0:1], 0x30
	s_mov_b32 s30, s13
	s_waitcnt lgkmcnt(0)
	s_cmp_lg_u64 s[2:3], 0
	s_cselect_b32 s8, -1, 0
	s_ashr_i32 s31, s13, 31
	s_cmp_eq_u64 s[2:3], 0
	s_cbranch_scc1 .LBB1453_3
; %bb.1:
	s_lshl_b64 s[4:5], s[30:31], 2
	s_delay_alu instid0(SALU_CYCLE_1) | instskip(SKIP_4) | instid1(SALU_CYCLE_1)
	s_add_u32 s4, s2, s4
	s_addc_u32 s5, s3, s5
	s_load_b64 s[4:5], s[4:5], 0x0
	s_waitcnt lgkmcnt(0)
	s_sub_i32 s4, s5, s4
	s_cmp_eq_u32 s4, 1
	s_cselect_b32 s4, -1, 0
	s_delay_alu instid0(SALU_CYCLE_1)
	s_and_not1_b32 vcc_lo, exec_lo, s4
	s_cbranch_vccz .LBB1453_4
.LBB1453_2:
	s_endpgm
.LBB1453_3:
.LBB1453_4:
	s_load_b64 s[4:5], s[0:1], 0x28
	s_lshl_b64 s[6:7], s[30:31], 2
	s_waitcnt lgkmcnt(0)
	s_add_u32 s4, s4, s6
	s_addc_u32 s5, s5, s7
	s_lshl_b32 s12, s14, 8
	s_load_b32 s24, s[4:5], 0x0
	s_waitcnt lgkmcnt(0)
	s_cmp_ge_i32 s12, s24
	s_cbranch_scc1 .LBB1453_2
; %bb.5:
	s_clause 0x1
	s_load_b128 s[20:23], s[0:1], 0x8
	s_load_b64 s[4:5], s[0:1], 0x20
	s_and_not1_b32 vcc_lo, exec_lo, s8
	s_cbranch_vccnz .LBB1453_7
; %bb.6:
	s_add_u32 s2, s2, s6
	s_addc_u32 s3, s3, s7
	s_load_b32 s3, s[2:3], 0x0
	s_branch .LBB1453_8
.LBB1453_7:
	s_mov_b32 s3, s30
.LBB1453_8:
	s_load_b128 s[16:19], s[0:1], 0x48
	v_and_b32_e32 v66, 15, v0
	v_cmp_gt_u32_e32 vcc_lo, 0x80, v0
	v_lshrrev_b32_e32 v65, 5, v0
	v_and_b32_e32 v67, 31, v0
	v_and_b32_e32 v74, 1, v0
	v_lshlrev_b32_e32 v1, 3, v66
	v_cmp_gt_u32_e64 s2, 8, v66
	v_bfe_u32 v75, v0, 4, 1
	s_lshl_b32 s31, s15, 3
	s_delay_alu instid0(VALU_DEP_3) | instskip(NEXT) | instid1(VALU_DEP_3)
	v_lshlrev_b32_e32 v73, 1, v1
	s_and_b32 s7, vcc_lo, s2
	s_delay_alu instid0(SALU_CYCLE_1)
	s_and_saveexec_b32 s6, s7
	s_cbranch_execz .LBB1453_10
; %bb.9:
	v_lshl_or_b32 v5, v65, 1, v75
	s_load_b64 s[8:9], s[0:1], 0x0
	s_waitcnt lgkmcnt(0)
	s_mul_hi_i32 s11, s3, s16
	s_mul_i32 s10, s3, s16
	v_lshlrev_b32_e32 v6, 10, v66
	v_or_b32_e32 v1, s31, v5
	s_lshl_b64 s[10:11], s[10:11], 1
	v_lshlrev_b32_e32 v5, 6, v5
	v_lshlrev_b32_e32 v7, 10, v74
	v_and_b32_e32 v6, 0x3800, v6
	v_lshlrev_b32_e32 v1, 6, v1
	s_delay_alu instid0(VALU_DEP_2) | instskip(NEXT) | instid1(VALU_DEP_2)
	v_or3_b32 v5, v6, v7, v5
	v_ashrrev_i32_e32 v2, 31, v1
	s_delay_alu instid0(VALU_DEP_1) | instskip(SKIP_2) | instid1(VALU_DEP_1)
	v_lshlrev_b64 v[1:2], 1, v[1:2]
	s_add_u32 s3, s8, s10
	s_addc_u32 s7, s9, s11
	v_add_co_u32 v1, vcc_lo, s3, v1
	s_delay_alu instid0(VALU_DEP_2) | instskip(NEXT) | instid1(VALU_DEP_2)
	v_add_co_ci_u32_e32 v2, vcc_lo, s7, v2, vcc_lo
	v_add_co_u32 v1, vcc_lo, v1, v73
	s_delay_alu instid0(VALU_DEP_2)
	v_add_co_ci_u32_e32 v2, vcc_lo, 0, v2, vcc_lo
	global_load_b128 v[1:4], v[1:2], off
	s_waitcnt vmcnt(0)
	ds_store_b128 v5, v[1:4]
.LBB1453_10:
	s_or_b32 exec_lo, exec_lo, s6
	v_and_b32_e32 v1, 0xef, v0
	s_waitcnt lgkmcnt(0)
	s_add_i32 s3, s24, 31
	s_clause 0x1
	s_load_b32 s6, s[0:1], 0x38
	s_load_b32 s19, s[0:1], 0x1c
	s_ashr_i32 s7, s3, 31
	v_add_nc_u32_e32 v1, s12, v1
	s_lshr_b32 s7, s7, 27
	s_waitcnt lgkmcnt(0)
	s_add_i32 s3, s3, s7
	s_barrier
	v_ashrrev_i32_e32 v2, 31, v1
	v_or_b32_e32 v3, 16, v1
	s_ashr_i32 s3, s3, 5
	v_cmp_gt_i32_e32 vcc_lo, s24, v1
	s_add_i32 s3, s3, -1
	v_lshrrev_b32_e32 v2, 27, v2
	buffer_gl0_inv
	s_mul_i32 s27, s15, s18
	v_add_nc_u32_e32 v4, v1, v2
	s_mul_i32 s6, s30, s6
	s_delay_alu instid0(SALU_CYCLE_1) | instskip(NEXT) | instid1(VALU_DEP_1)
	s_ashr_i32 s7, s6, 31
	v_ashrrev_i32_e32 v4, 5, v4
	v_add_nc_u32_e32 v2, v3, v2
	s_lshl_b64 s[6:7], s[6:7], 2
	s_delay_alu instid0(SALU_CYCLE_1) | instskip(NEXT) | instid1(VALU_DEP_2)
	s_add_u32 s26, s4, s6
	v_cndmask_b32_e32 v1, s3, v4, vcc_lo
	s_delay_alu instid0(VALU_DEP_2)
	v_ashrrev_i32_e32 v2, 5, v2
	v_cmp_gt_i32_e32 vcc_lo, s24, v3
	s_addc_u32 s25, s5, s7
	s_ashr_i32 s28, s27, 31
	s_add_u32 s4, s20, s27
	s_addc_u32 s5, s21, s28
	v_cndmask_b32_e32 v3, s3, v2, vcc_lo
	v_ashrrev_i32_e32 v2, 31, v1
	s_lshl_b32 s6, s14, 3
	s_delay_alu instid0(SALU_CYCLE_1) | instskip(NEXT) | instid1(VALU_DEP_2)
	s_ashr_i32 s7, s6, 31
	v_ashrrev_i32_e32 v4, 31, v3
	s_delay_alu instid0(VALU_DEP_2) | instskip(SKIP_1) | instid1(SALU_CYCLE_1)
	v_lshlrev_b64 v[1:2], 2, v[1:2]
	s_lshl_b64 s[6:7], s[6:7], 2
	s_add_u32 s6, s26, s6
	s_delay_alu instid0(VALU_DEP_2) | instskip(SKIP_1) | instid1(VALU_DEP_2)
	v_lshlrev_b64 v[3:4], 2, v[3:4]
	s_addc_u32 s7, s25, s7
	v_add_co_u32 v1, vcc_lo, s26, v1
	v_add_co_ci_u32_e32 v2, vcc_lo, s25, v2, vcc_lo
	s_delay_alu instid0(VALU_DEP_3) | instskip(NEXT) | instid1(VALU_DEP_4)
	v_add_co_u32 v3, vcc_lo, s26, v3
	v_add_co_ci_u32_e32 v4, vcc_lo, s25, v4, vcc_lo
	s_clause 0x1
	global_load_b32 v5, v[1:2], off
	global_load_b32 v6, v[3:4], off
	s_or_b32 s8, s12, 32
	s_delay_alu instid0(SALU_CYCLE_1) | instskip(SKIP_2) | instid1(SALU_CYCLE_1)
	s_ashr_i32 s9, s8, 5
	s_cmp_lt_i32 s8, s24
	s_cselect_b32 s8, s9, s3
	s_ashr_i32 s9, s8, 31
	s_delay_alu instid0(SALU_CYCLE_1) | instskip(NEXT) | instid1(SALU_CYCLE_1)
	s_lshl_b64 s[8:9], s[8:9], 2
	s_add_u32 s8, s26, s8
	s_addc_u32 s9, s25, s9
	s_or_b32 s10, s12, 64
	s_delay_alu instid0(SALU_CYCLE_1) | instskip(SKIP_2) | instid1(SALU_CYCLE_1)
	s_ashr_i32 s11, s10, 5
	s_cmp_lt_i32 s10, s24
	s_cselect_b32 s10, s11, s3
	s_ashr_i32 s11, s10, 31
	s_delay_alu instid0(SALU_CYCLE_1) | instskip(NEXT) | instid1(SALU_CYCLE_1)
	s_lshl_b64 s[10:11], s[10:11], 2
	s_add_u32 s10, s26, s10
	s_addc_u32 s11, s25, s11
	;; [unrolled: 10-line block ×5, first 2 shown]
	s_clause 0x5
	s_load_b32 s21, s[6:7], 0x0
	s_load_b32 s13, s[8:9], 0x0
	;; [unrolled: 1-line block ×6, first 2 shown]
	s_or_b32 s7, s12, 0xc0
	s_delay_alu instid0(SALU_CYCLE_1) | instskip(SKIP_2) | instid1(SALU_CYCLE_1)
	s_ashr_i32 s8, s7, 5
	s_cmp_lt_i32 s7, s24
	s_cselect_b32 s10, s8, s3
	s_ashr_i32 s11, s10, 31
	s_delay_alu instid0(SALU_CYCLE_1) | instskip(NEXT) | instid1(SALU_CYCLE_1)
	s_lshl_b64 s[34:35], s[10:11], 2
	s_add_u32 s34, s26, s34
	s_addc_u32 s35, s25, s35
	s_or_b32 s29, s12, 0xe0
	s_delay_alu instid0(SALU_CYCLE_1)
	s_ashr_i32 s33, s29, 5
	s_cmp_lt_i32 s29, s24
	s_waitcnt vmcnt(1)
	v_mad_i64_i32 v[1:2], null, v5, s17, s[4:5]
	s_waitcnt vmcnt(0)
	v_mad_i64_i32 v[3:4], null, v6, s17, s[4:5]
	s_mov_b32 s4, 0
	s_delay_alu instid0(SALU_CYCLE_1)
	s_mov_b32 s5, s4
	s_mov_b32 s6, s4
	;; [unrolled: 1-line block ×7, first 2 shown]
	v_lshlrev_b32_e32 v5, 4, v66
	v_dual_mov_b32 v107, s11 :: v_dual_mov_b32 v102, s6
	v_dual_mov_b32 v106, s10 :: v_dual_mov_b32 v105, s9
	s_delay_alu instid0(VALU_DEP_3)
	v_add_co_u32 v1, vcc_lo, v1, v5
	v_add_co_ci_u32_e32 v2, vcc_lo, 0, v2, vcc_lo
	v_add_co_u32 v3, vcc_lo, v3, v5
	v_add_co_ci_u32_e32 v4, vcc_lo, 0, v4, vcc_lo
	s_clause 0x7
	global_load_b128 v[49:52], v[1:2], off
	global_load_b128 v[53:56], v[1:2], off offset:512
	global_load_b128 v[76:79], v[3:4], off offset:256
	;; [unrolled: 1-line block ×7, first 2 shown]
	v_dual_mov_b32 v100, s4 :: v_dual_and_b32 v1, 7, v0
	v_lshlrev_b32_e32 v2, 5, v66
	v_dual_mov_b32 v104, s8 :: v_dual_mov_b32 v103, s7
	v_mov_b32_e32 v101, s5
	s_cselect_b32 s4, s33, s3
	v_lshlrev_b32_e32 v70, 6, v1
	s_ashr_i32 s5, s4, 31
	v_lshl_or_b32 v1, v65, 9, v2
	s_lshl_b64 s[4:5], s[4:5], 2
	s_load_b32 s3, s[34:35], 0x0
	s_add_u32 s4, s26, s4
	s_addc_u32 s5, s25, s5
	ds_load_b128 v[108:111], v70
	ds_load_b128 v[112:115], v70 offset:1024
	s_load_b32 s4, s[4:5], 0x0
	s_add_u32 s6, s22, s27
	s_addc_u32 s7, s23, s28
	v_add_co_u32 v9, s6, s6, v1
	s_delay_alu instid0(VALU_DEP_1) | instskip(SKIP_1) | instid1(VALU_DEP_1)
	v_add_co_ci_u32_e64 v10, null, s7, 0, s6
	s_waitcnt lgkmcnt(0)
	v_mad_i64_i32 v[1:2], null, s21, s17, v[9:10]
	v_mad_i64_i32 v[3:4], null, s13, s17, v[9:10]
	v_mad_i64_i32 v[5:6], null, s15, s17, v[9:10]
	v_mad_i64_i32 v[7:8], null, s16, s17, v[9:10]
	v_mad_i64_i32 v[13:14], null, s20, s17, v[9:10]
	v_mad_i64_i32 v[11:12], null, s18, s17, v[9:10]
	v_mad_i64_i32 v[21:22], null, s3, s17, v[9:10]
	s_clause 0x9
	global_load_b128 v[57:60], v[1:2], off
	global_load_b128 v[61:64], v[1:2], off offset:16
	global_load_b128 v[41:44], v[3:4], off
	global_load_b128 v[45:48], v[3:4], off offset:16
	;; [unrolled: 2-line block ×5, first 2 shown]
	v_mad_i64_i32 v[68:69], null, s4, s17, v[9:10]
	s_clause 0x3
	global_load_b128 v[9:12], v[13:14], off
	global_load_b128 v[13:16], v[13:14], off offset:16
	global_load_b128 v[17:20], v[21:22], off
	global_load_b128 v[21:24], v[21:22], off offset:16
	s_waitcnt vmcnt(20)
	v_wmma_f32_16x16x16_bf16 v[116:123], v[49:56], v[108:115], v[100:107]
	s_clause 0x1
	global_load_b128 v[49:52], v[68:69], off
	global_load_b128 v[53:56], v[68:69], off offset:16
	v_and_b32_e32 v68, 0xe0, v0
	v_mbcnt_lo_u32_b32 v69, -1, 0
	s_delay_alu instid0(VALU_DEP_2)
	v_add_nc_u32_e32 v68, s12, v68
	s_waitcnt vmcnt(20)
	v_wmma_f32_16x16x16_bf16 v[100:107], v[76:83], v[108:115], v[100:107]
	ds_load_b128 v[76:79], v70 offset:2048
	ds_load_b128 v[80:83], v70 offset:3072
	v_xor_b32_e32 v70, 16, v69
	s_waitcnt vmcnt(0) lgkmcnt(0)
	v_or_b32_e32 v68, v68, v75
	s_barrier
	buffer_gl0_inv
	v_cmp_gt_i32_e32 vcc_lo, 32, v70
	v_or_b32_e32 v71, 4, v68
	v_or_b32_e32 v72, 6, v68
	v_cmp_gt_i32_e64 s3, s24, v68
	v_or_b32_e32 v108, 8, v68
	v_or_b32_e32 v109, 10, v68
	v_cmp_gt_i32_e64 s4, s24, v71
	v_cmp_gt_i32_e64 s5, s24, v72
	s_delay_alu instid0(VALU_DEP_4) | instskip(NEXT) | instid1(VALU_DEP_4)
	v_cmp_gt_i32_e64 s6, s24, v108
	v_cmp_gt_i32_e64 s7, s24, v109
	v_wmma_f32_16x16x16_bf16 v[116:123], v[84:91], v[76:83], v[116:123]
	v_cndmask_b32_e32 v69, v69, v70, vcc_lo
	v_or_b32_e32 v70, 2, v68
	v_wmma_f32_16x16x16_bf16 v[100:107], v[92:99], v[76:83], v[100:107]
	v_or_b32_e32 v84, 12, v68
	v_dual_mul_f32 v78, s19, v123 :: v_dual_mul_f32 v83, s19, v118
	v_dual_mul_f32 v92, s19, v117 :: v_dual_mul_f32 v93, s19, v116
	s_delay_alu instid0(VALU_DEP_4) | instskip(SKIP_2) | instid1(VALU_DEP_4)
	v_mul_f32_e32 v94, s19, v107
	v_cmp_gt_i32_e32 vcc_lo, s24, v70
	v_dual_mul_f32 v81, s19, v120 :: v_dual_mul_f32 v82, s19, v119
	v_cndmask_b32_e64 v93, 0xff7fffff, v93, s3
	v_or_b32_e32 v85, 14, v68
	v_cndmask_b32_e32 v92, 0xff7fffff, v92, vcc_lo
	v_dual_mul_f32 v79, s19, v122 :: v_dual_mul_f32 v80, s19, v121
	v_cndmask_b32_e64 v71, 0xff7fffff, v83, s4
	v_cndmask_b32_e64 v72, 0xff7fffff, v82, s5
	s_delay_alu instid0(VALU_DEP_4)
	v_max3_f32 v82, v93, 0xff7fffff, v92
	v_or_b32_e32 v86, 16, v68
	v_or_b32_e32 v87, 18, v68
	v_cndmask_b32_e64 v81, 0xff7fffff, v81, s6
	v_cndmask_b32_e64 v80, 0xff7fffff, v80, s7
	v_max3_f32 v71, v82, v71, v72
	v_cmp_gt_i32_e64 s8, s24, v84
	v_cmp_gt_i32_e64 s9, s24, v85
	v_or_b32_e32 v88, 20, v68
	v_or_b32_e32 v89, 22, v68
	;; [unrolled: 1-line block ×6, first 2 shown]
	v_dual_mul_f32 v99, s19, v102 :: v_dual_mul_f32 v70, s19, v101
	v_mul_f32_e32 v68, s19, v100
	v_cndmask_b32_e64 v72, 0xff7fffff, v79, s8
	v_cndmask_b32_e64 v78, 0xff7fffff, v78, s9
	v_max3_f32 v71, v71, v81, v80
	v_cmp_gt_i32_e64 s10, s24, v86
	v_cmp_gt_i32_e64 s11, s24, v87
	v_dual_mul_f32 v97, s19, v104 :: v_dual_mul_f32 v98, s19, v103
	s_delay_alu instid0(VALU_DEP_4) | instskip(SKIP_1) | instid1(VALU_DEP_4)
	v_max3_f32 v71, v71, v72, v78
	v_cmp_gt_i32_e64 s12, s24, v88
	v_cndmask_b32_e64 v70, 0xff7fffff, v70, s11
	v_cmp_gt_i32_e64 s13, s24, v89
	v_lshlrev_b32_e32 v89, 2, v69
	v_cndmask_b32_e64 v68, 0xff7fffff, v68, s10
	v_dual_mul_f32 v95, s19, v106 :: v_dual_mul_f32 v96, s19, v105
	v_cndmask_b32_e64 v72, 0xff7fffff, v99, s12
	v_cndmask_b32_e64 v78, 0xff7fffff, v98, s13
	s_delay_alu instid0(VALU_DEP_4)
	v_max3_f32 v68, v71, v68, v70
	v_cmp_gt_i32_e64 s15, s24, v90
	v_cmp_gt_i32_e64 s16, s24, v91
	;; [unrolled: 1-line block ×4, first 2 shown]
	v_max3_f32 v68, v68, v72, v78
	v_cndmask_b32_e64 v70, 0xff7fffff, v97, s15
	v_cndmask_b32_e64 v71, 0xff7fffff, v96, s16
	;; [unrolled: 1-line block ×4, first 2 shown]
	s_delay_alu instid0(VALU_DEP_3) | instskip(NEXT) | instid1(VALU_DEP_1)
	v_max3_f32 v68, v68, v70, v71
	v_max3_f32 v68, v68, v72, v76
	ds_bpermute_b32 v69, v89, v68
	s_waitcnt lgkmcnt(0)
	v_max_f32_e32 v69, v69, v69
	s_delay_alu instid0(VALU_DEP_1) | instskip(NEXT) | instid1(VALU_DEP_1)
	v_max_f32_e32 v68, v68, v69
	v_fma_f32 v71, s19, v118, -v68
	s_delay_alu instid0(VALU_DEP_1)
	v_mul_f32_e32 v71, 0x3fb8aa3b, v71
	v_fma_f32 v69, s19, v116, -v68
	v_fma_f32 v70, s19, v117, -v68
	;; [unrolled: 1-line block ×4, first 2 shown]
	v_exp_f32_e32 v71, v71
	s_delay_alu instid0(VALU_DEP_3) | instskip(SKIP_2) | instid1(VALU_DEP_3)
	v_dual_mul_f32 v69, 0x3fb8aa3b, v69 :: v_dual_mul_f32 v70, 0x3fb8aa3b, v70
	v_fma_f32 v78, s19, v122, -v68
	v_fma_f32 v81, s19, v105, -v68
	v_exp_f32_e32 v69, v69
	s_delay_alu instid0(VALU_DEP_3) | instskip(SKIP_1) | instid1(VALU_DEP_2)
	v_exp_f32_e32 v70, v70
	v_mul_f32_e32 v77, 0x3fb8aa3b, v76
	v_mul_f32_e32 v81, 0x3fb8aa3b, v81
	s_delay_alu instid0(TRANS32_DEP_3) | instskip(SKIP_1) | instid1(VALU_DEP_3)
	v_cndmask_b32_e64 v83, 0, v71, s4
	v_fma_f32 v71, s19, v123, -v68
	v_exp_f32_e32 v81, v81
	s_delay_alu instid0(TRANS32_DEP_3) | instskip(NEXT) | instid1(TRANS32_DEP_2)
	v_cndmask_b32_e64 v80, 0, v69, s3
	v_cndmask_b32_e32 v76, 0, v70, vcc_lo
	v_fma_f32 v69, s19, v121, -v68
	v_mul_f32_e32 v72, 0x3fb8aa3b, v72
	v_exp_f32_e32 v77, v77
	v_dual_add_f32 v70, 0, v80 :: v_dual_mul_f32 v71, 0x3fb8aa3b, v71
	s_delay_alu instid0(VALU_DEP_3) | instskip(NEXT) | instid1(VALU_DEP_3)
	v_mul_f32_e32 v69, 0x3fb8aa3b, v69
	v_exp_f32_e32 v72, v72
	s_mov_b32 s3, exec_lo
	s_delay_alu instid0(VALU_DEP_2) | instskip(NEXT) | instid1(VALU_DEP_1)
	v_exp_f32_e32 v71, v71
	v_exp_f32_e32 v69, v69
	v_cndmask_b32_e64 v86, 0, v77, s6
	v_fma_f32 v77, s19, v101, -v68
	v_add_f32_e32 v70, v70, v76
	s_delay_alu instid0(TRANS32_DEP_3) | instskip(SKIP_1) | instid1(VALU_DEP_3)
	v_cndmask_b32_e64 v85, 0, v72, s5
	v_fma_f32 v72, s19, v100, -v68
	v_dual_mul_f32 v77, 0x3fb8aa3b, v77 :: v_dual_add_f32 v70, v70, v83
	s_delay_alu instid0(TRANS32_DEP_2) | instskip(SKIP_1) | instid1(TRANS32_DEP_1)
	v_cndmask_b32_e64 v88, 0, v71, s9
	v_fma_f32 v71, s19, v104, -v68
	v_cndmask_b32_e64 v87, 0, v69, s7
	s_delay_alu instid0(VALU_DEP_4) | instskip(NEXT) | instid1(VALU_DEP_2)
	v_exp_f32_e32 v77, v77
	v_dual_add_f32 v70, v70, v85 :: v_dual_mul_f32 v71, 0x3fb8aa3b, v71
	s_delay_alu instid0(VALU_DEP_1) | instskip(SKIP_2) | instid1(VALU_DEP_3)
	v_dual_mul_f32 v72, 0x3fb8aa3b, v72 :: v_dual_add_f32 v69, v70, v86
	v_mul_f32_e32 v78, 0x3fb8aa3b, v78
	v_fma_f32 v70, s19, v102, -v68
	v_exp_f32_e32 v72, v72
	v_exp_f32_e32 v82, v71
	v_add_f32_e32 v69, v69, v87
	v_exp_f32_e32 v78, v78
	v_mul_f32_e32 v70, 0x3fb8aa3b, v70
	s_delay_alu instid0(VALU_DEP_1) | instskip(SKIP_4) | instid1(VALU_DEP_2)
	v_exp_f32_e32 v79, v70
	v_cndmask_b32_e64 v70, 0, v72, s10
	s_waitcnt_depctr 0xfff
	v_cndmask_b32_e64 v84, 0, v78, s8
	v_fma_f32 v78, s19, v103, -v68
	v_add_f32_e32 v69, v69, v84
	v_cndmask_b32_e64 v71, 0, v79, s12
	s_delay_alu instid0(VALU_DEP_2) | instskip(SKIP_2) | instid1(VALU_DEP_1)
	v_add_f32_e32 v72, v69, v88
	v_cndmask_b32_e64 v69, 0, v77, s11
	v_fma_f32 v77, s19, v106, -v68
	v_dual_mul_f32 v77, 0x3fb8aa3b, v77 :: v_dual_add_f32 v72, v72, v70
	v_mul_f32_e32 v78, 0x3fb8aa3b, v78
	s_delay_alu instid0(VALU_DEP_2) | instskip(NEXT) | instid1(VALU_DEP_2)
	v_exp_f32_e32 v90, v77
	v_add_f32_e32 v79, v72, v69
	s_delay_alu instid0(VALU_DEP_2)
	v_exp_f32_e32 v78, v78
	v_cndmask_b32_e64 v77, 0, v82, s15
	s_waitcnt_depctr 0xfff
	v_cndmask_b32_e64 v72, 0, v78, s13
	v_add_f32_e32 v78, v79, v71
	v_fma_f32 v79, s19, v107, -v68
	s_delay_alu instid0(VALU_DEP_1) | instskip(SKIP_1) | instid1(VALU_DEP_2)
	v_dual_add_f32 v82, v78, v72 :: v_dual_mul_f32 v79, 0x3fb8aa3b, v79
	v_cndmask_b32_e64 v78, 0, v81, s16
	v_add_f32_e32 v81, v82, v77
	s_delay_alu instid0(VALU_DEP_3) | instskip(SKIP_1) | instid1(VALU_DEP_2)
	v_exp_f32_e32 v82, v79
	v_cndmask_b32_e64 v79, 0, v90, s17
	v_add_f32_e32 v81, v81, v78
	s_delay_alu instid0(VALU_DEP_1) | instskip(SKIP_2) | instid1(VALU_DEP_1)
	v_add_f32_e32 v90, v81, v79
	s_waitcnt_depctr 0xfff
	v_cndmask_b32_e64 v81, 0, v82, s18
	v_add_f32_e32 v82, v90, v81
	ds_bpermute_b32 v89, v89, v82
	v_cmpx_gt_u32_e32 16, v67
	s_cbranch_execz .LBB1453_12
; %bb.11:
	v_mul_u32_u24_e32 v67, 0x44, v65
	s_delay_alu instid0(VALU_DEP_1) | instskip(SKIP_1) | instid1(VALU_DEP_1)
	v_lshl_add_u32 v67, v66, 2, v67
	s_waitcnt lgkmcnt(0)
	v_dual_add_f32 v82, v82, v89 :: v_dual_add_nc_u32 v67, 0x4000, v67
	ds_store_2addr_b32 v67, v68, v82 offset1:136
.LBB1453_12:
	s_or_b32 exec_lo, exec_lo, s3
	v_lshlrev_b32_e32 v67, 2, v66
	s_waitcnt lgkmcnt(0)
	s_barrier
	buffer_gl0_inv
	v_cmp_eq_u32_e32 vcc_lo, 1, v65
	v_add_nc_u32_e32 v82, 0x4000, v67
	v_cmp_eq_u32_e64 s3, 2, v65
	v_cmp_eq_u32_e64 s5, 7, v65
	ds_load_2addr_b32 v[89:90], v82 offset1:17
	ds_load_2addr_b32 v[91:92], v82 offset0:34 offset1:51
	ds_load_2addr_b32 v[93:94], v82 offset0:68 offset1:85
	;; [unrolled: 1-line block ×4, first 2 shown]
	s_waitcnt lgkmcnt(4)
	v_max3_f32 v67, v89, 0xff7fffff, v90
	s_waitcnt lgkmcnt(3)
	s_delay_alu instid0(VALU_DEP_1) | instskip(SKIP_1) | instid1(VALU_DEP_1)
	v_max3_f32 v67, v67, v91, v92
	s_waitcnt lgkmcnt(2)
	v_max3_f32 v67, v67, v93, v94
	s_waitcnt lgkmcnt(1)
	s_delay_alu instid0(VALU_DEP_1) | instskip(NEXT) | instid1(VALU_DEP_1)
	v_max3_f32 v67, v67, v95, v96
	v_sub_f32_e32 v93, v93, v67
	s_delay_alu instid0(VALU_DEP_1) | instskip(NEXT) | instid1(VALU_DEP_1)
	v_dual_sub_f32 v68, v89, v67 :: v_dual_mul_f32 v103, 0x3fb8aa3b, v93
	v_mul_f32_e32 v68, 0x3fb8aa3b, v68
	s_delay_alu instid0(VALU_DEP_1)
	v_exp_f32_e32 v100, v68
	v_sub_f32_e32 v68, v92, v67
	v_sub_f32_e32 v99, v90, v67
	ds_load_2addr_b32 v[89:90], v82 offset0:170 offset1:187
	v_dual_mul_f32 v102, 0x3fb8aa3b, v68 :: v_dual_mul_f32 v99, 0x3fb8aa3b, v99
	s_waitcnt lgkmcnt(1)
	v_fma_f32 v68, v100, v97, 0
	s_delay_alu instid0(VALU_DEP_2) | instskip(NEXT) | instid1(VALU_DEP_2)
	v_exp_f32_e32 v102, v102
	v_exp_f32_e32 v99, v99
	s_waitcnt_depctr 0xfff
	v_fmac_f32_e32 v68, v99, v98
	v_sub_f32_e32 v91, v91, v67
	s_delay_alu instid0(VALU_DEP_1)
	v_mul_f32_e32 v101, 0x3fb8aa3b, v91
	ds_load_2addr_b32 v[91:92], v82 offset0:204 offset1:221
	v_sub_f32_e32 v97, v94, v67
	ds_load_2addr_b32 v[93:94], v82 offset0:238 offset1:255
	s_waitcnt lgkmcnt(0)
	v_exp_f32_e32 v101, v101
	s_barrier
	buffer_gl0_inv
	v_dual_fmac_f32 v68, v101, v89 :: v_dual_sub_f32 v89, v96, v67
	v_dual_sub_f32 v82, v95, v67 :: v_dual_mul_f32 v95, 0x3fb8aa3b, v97
	v_exp_f32_e32 v97, v103
	s_delay_alu instid0(VALU_DEP_2) | instskip(NEXT) | instid1(VALU_DEP_2)
	v_dual_fmac_f32 v68, v102, v90 :: v_dual_mul_f32 v89, 0x3fb8aa3b, v89
	v_mul_f32_e32 v82, 0x3fb8aa3b, v82
	s_delay_alu instid0(VALU_DEP_3) | instskip(NEXT) | instid1(VALU_DEP_2)
	v_exp_f32_e32 v95, v95
	v_exp_f32_e32 v89, v89
	s_delay_alu instid0(VALU_DEP_1)
	v_exp_f32_e32 v82, v82
	v_fmac_f32_e32 v68, v97, v91
	s_delay_alu instid0(TRANS32_DEP_3) | instid1(VALU_DEP_1)
	v_fmac_f32_e32 v68, v95, v92
	s_waitcnt_depctr 0xfff
	v_fmac_f32_e32 v68, v82, v93
	s_delay_alu instid0(VALU_DEP_1) | instskip(NEXT) | instid1(VALU_DEP_1)
	v_fmac_f32_e32 v68, v89, v94
	v_add_f32_e32 v90, 0x358637bd, v68
	s_delay_alu instid0(VALU_DEP_1) | instskip(NEXT) | instid1(VALU_DEP_1)
	v_div_scale_f32 v91, null, v90, v90, 1.0
	v_rcp_f32_e32 v92, v91
	s_waitcnt_depctr 0xfff
	v_fma_f32 v93, -v91, v92, 1.0
	s_delay_alu instid0(VALU_DEP_1) | instskip(SKIP_1) | instid1(VALU_DEP_2)
	v_dual_fmac_f32 v92, v93, v92 :: v_dual_cndmask_b32 v93, v100, v99
	v_cmp_eq_u32_e32 vcc_lo, 3, v65
	v_cndmask_b32_e64 v93, v93, v101, s3
	v_cmp_eq_u32_e64 s3, 4, v65
	s_delay_alu instid0(VALU_DEP_2) | instskip(SKIP_1) | instid1(VALU_DEP_2)
	v_cndmask_b32_e32 v93, v93, v102, vcc_lo
	v_cmp_eq_u32_e32 vcc_lo, 5, v65
	v_cndmask_b32_e64 v93, v93, v97, s3
	v_cmp_eq_u32_e64 s3, 6, v65
	s_delay_alu instid0(VALU_DEP_2) | instskip(SKIP_1) | instid1(VALU_DEP_1)
	v_cndmask_b32_e32 v93, v93, v95, vcc_lo
	v_div_scale_f32 v94, s4, 1.0, v90, 1.0
	s_mov_b32 vcc_lo, s4
	s_delay_alu instid0(VALU_DEP_2) | instskip(NEXT) | instid1(VALU_DEP_2)
	v_cndmask_b32_e64 v82, v93, v82, s3
	v_mul_f32_e32 v96, v94, v92
	s_mov_b32 s3, exec_lo
	s_delay_alu instid0(VALU_DEP_2) | instskip(NEXT) | instid1(VALU_DEP_2)
	v_cndmask_b32_e64 v82, v82, v89, s5
	v_fma_f32 v98, -v91, v96, v94
	s_delay_alu instid0(VALU_DEP_1) | instskip(NEXT) | instid1(VALU_DEP_1)
	v_fmac_f32_e32 v96, v98, v92
	v_fma_f32 v91, -v91, v96, v94
	s_delay_alu instid0(VALU_DEP_1) | instskip(NEXT) | instid1(VALU_DEP_1)
	v_div_fmas_f32 v91, v91, v92, v96
	v_div_fixup_f32 v90, v91, v90, 1.0
	s_delay_alu instid0(VALU_DEP_1) | instskip(NEXT) | instid1(VALU_DEP_1)
	v_mul_f32_e32 v82, v82, v90
	v_mul_f32_e32 v87, v82, v87
	;; [unrolled: 1-line block ×7, first 2 shown]
	v_dual_mul_f32 v86, v82, v83 :: v_dual_and_b32 v91, 0x7f800000, v90
	v_mul_f32_e32 v85, v82, v76
                                        ; implicit-def: $vgpr76
	s_delay_alu instid0(VALU_DEP_2)
	v_cmpx_ne_u32_e32 0x7f800000, v91
	s_xor_b32 s3, exec_lo, s3
; %bb.13:
	v_bfe_u32 v76, v90, 16, 1
	s_delay_alu instid0(VALU_DEP_1)
	v_add3_u32 v76, v90, v76, 0x7fff
                                        ; implicit-def: $vgpr90
; %bb.14:
	s_and_not1_saveexec_b32 s3, s3
; %bb.15:
	v_and_b32_e32 v76, 0xffff, v90
	v_or_b32_e32 v83, 0x10000, v90
	s_delay_alu instid0(VALU_DEP_2) | instskip(NEXT) | instid1(VALU_DEP_2)
	v_cmp_eq_u32_e32 vcc_lo, 0, v76
	v_cndmask_b32_e32 v76, v83, v90, vcc_lo
; %bb.16:
	s_or_b32 exec_lo, exec_lo, s3
	v_and_b32_e32 v83, 0x7f800000, v85
	s_delay_alu instid0(VALU_DEP_1) | instskip(SKIP_1) | instid1(SALU_CYCLE_1)
	v_cmp_ne_u32_e32 vcc_lo, 0x7f800000, v83
                                        ; implicit-def: $vgpr83
	s_and_saveexec_b32 s3, vcc_lo
	s_xor_b32 s3, exec_lo, s3
; %bb.17:
	v_bfe_u32 v83, v85, 16, 1
	s_delay_alu instid0(VALU_DEP_1)
	v_add3_u32 v83, v85, v83, 0x7fff
                                        ; implicit-def: $vgpr85
; %bb.18:
	s_and_not1_saveexec_b32 s3, s3
; %bb.19:
	v_and_b32_e32 v83, 0xffff, v85
	v_or_b32_e32 v90, 0x10000, v85
	s_delay_alu instid0(VALU_DEP_2) | instskip(NEXT) | instid1(VALU_DEP_2)
	v_cmp_eq_u32_e32 vcc_lo, 0, v83
	v_cndmask_b32_e32 v83, v90, v85, vcc_lo
; %bb.20:
	s_or_b32 exec_lo, exec_lo, s3
	v_and_b32_e32 v85, 0x7f800000, v86
	s_delay_alu instid0(VALU_DEP_1) | instskip(SKIP_1) | instid1(SALU_CYCLE_1)
	v_cmp_ne_u32_e32 vcc_lo, 0x7f800000, v85
                                        ; implicit-def: $vgpr85
	s_and_saveexec_b32 s3, vcc_lo
	s_xor_b32 s3, exec_lo, s3
; %bb.21:
	v_bfe_u32 v85, v86, 16, 1
	s_delay_alu instid0(VALU_DEP_1)
	v_add3_u32 v85, v86, v85, 0x7fff
                                        ; implicit-def: $vgpr86
; %bb.22:
	s_and_not1_saveexec_b32 s3, s3
; %bb.23:
	v_and_b32_e32 v85, 0xffff, v86
	v_or_b32_e32 v90, 0x10000, v86
	s_delay_alu instid0(VALU_DEP_2) | instskip(NEXT) | instid1(VALU_DEP_2)
	v_cmp_eq_u32_e32 vcc_lo, 0, v85
	v_cndmask_b32_e32 v85, v90, v86, vcc_lo
; %bb.24:
	s_or_b32 exec_lo, exec_lo, s3
	v_and_b32_e32 v86, 0x7f800000, v89
	s_delay_alu instid0(VALU_DEP_1) | instskip(SKIP_1) | instid1(SALU_CYCLE_1)
	v_cmp_ne_u32_e32 vcc_lo, 0x7f800000, v86
                                        ; implicit-def: $vgpr86
	s_and_saveexec_b32 s3, vcc_lo
	s_xor_b32 s3, exec_lo, s3
; %bb.25:
	v_bfe_u32 v86, v89, 16, 1
	s_delay_alu instid0(VALU_DEP_1)
	v_add3_u32 v86, v89, v86, 0x7fff
                                        ; implicit-def: $vgpr89
; %bb.26:
	s_and_not1_saveexec_b32 s3, s3
; %bb.27:
	v_and_b32_e32 v86, 0xffff, v89
	v_or_b32_e32 v90, 0x10000, v89
	s_delay_alu instid0(VALU_DEP_2) | instskip(NEXT) | instid1(VALU_DEP_2)
	v_cmp_eq_u32_e32 vcc_lo, 0, v86
	v_cndmask_b32_e32 v86, v90, v89, vcc_lo
; %bb.28:
	s_or_b32 exec_lo, exec_lo, s3
	v_and_b32_e32 v89, 0x7f800000, v88
	s_delay_alu instid0(VALU_DEP_1) | instskip(SKIP_1) | instid1(SALU_CYCLE_1)
	v_cmp_ne_u32_e32 vcc_lo, 0x7f800000, v89
                                        ; implicit-def: $vgpr89
	s_and_saveexec_b32 s3, vcc_lo
	s_xor_b32 s3, exec_lo, s3
; %bb.29:
	v_bfe_u32 v89, v88, 16, 1
	s_delay_alu instid0(VALU_DEP_1)
	v_add3_u32 v89, v88, v89, 0x7fff
                                        ; implicit-def: $vgpr88
; %bb.30:
	s_and_not1_saveexec_b32 s3, s3
; %bb.31:
	v_and_b32_e32 v89, 0xffff, v88
	v_or_b32_e32 v90, 0x10000, v88
	s_delay_alu instid0(VALU_DEP_2) | instskip(NEXT) | instid1(VALU_DEP_2)
	v_cmp_eq_u32_e32 vcc_lo, 0, v89
	v_cndmask_b32_e32 v89, v90, v88, vcc_lo
; %bb.32:
	s_or_b32 exec_lo, exec_lo, s3
	v_and_b32_e32 v88, 0x7f800000, v87
	s_delay_alu instid0(VALU_DEP_1) | instskip(SKIP_1) | instid1(SALU_CYCLE_1)
	v_cmp_ne_u32_e32 vcc_lo, 0x7f800000, v88
                                        ; implicit-def: $vgpr88
	s_and_saveexec_b32 s3, vcc_lo
	s_xor_b32 s3, exec_lo, s3
; %bb.33:
	v_bfe_u32 v88, v87, 16, 1
	s_delay_alu instid0(VALU_DEP_1)
	v_add3_u32 v88, v87, v88, 0x7fff
                                        ; implicit-def: $vgpr87
; %bb.34:
	s_and_not1_saveexec_b32 s3, s3
; %bb.35:
	v_and_b32_e32 v88, 0xffff, v87
	v_or_b32_e32 v90, 0x10000, v87
	s_delay_alu instid0(VALU_DEP_2) | instskip(NEXT) | instid1(VALU_DEP_2)
	v_cmp_eq_u32_e32 vcc_lo, 0, v88
	v_cndmask_b32_e32 v88, v90, v87, vcc_lo
; %bb.36:
	s_or_b32 exec_lo, exec_lo, s3
	v_and_b32_e32 v87, 0x7f800000, v84
	s_delay_alu instid0(VALU_DEP_1) | instskip(SKIP_1) | instid1(SALU_CYCLE_1)
	v_cmp_ne_u32_e32 vcc_lo, 0x7f800000, v87
                                        ; implicit-def: $vgpr87
	s_and_saveexec_b32 s3, vcc_lo
	s_xor_b32 s3, exec_lo, s3
; %bb.37:
	v_bfe_u32 v87, v84, 16, 1
	s_delay_alu instid0(VALU_DEP_1)
	v_add3_u32 v87, v84, v87, 0x7fff
                                        ; implicit-def: $vgpr84
; %bb.38:
	s_and_not1_saveexec_b32 s3, s3
; %bb.39:
	v_and_b32_e32 v87, 0xffff, v84
	v_or_b32_e32 v90, 0x10000, v84
	s_delay_alu instid0(VALU_DEP_2) | instskip(NEXT) | instid1(VALU_DEP_2)
	v_cmp_eq_u32_e32 vcc_lo, 0, v87
	v_cndmask_b32_e32 v87, v90, v84, vcc_lo
; %bb.40:
	s_or_b32 exec_lo, exec_lo, s3
	v_and_b32_e32 v84, 0x7f800000, v80
	s_delay_alu instid0(VALU_DEP_1) | instskip(SKIP_1) | instid1(SALU_CYCLE_1)
	v_cmp_ne_u32_e32 vcc_lo, 0x7f800000, v84
                                        ; implicit-def: $vgpr84
	s_and_saveexec_b32 s3, vcc_lo
	s_xor_b32 s3, exec_lo, s3
; %bb.41:
	v_bfe_u32 v84, v80, 16, 1
	s_delay_alu instid0(VALU_DEP_1)
	v_add3_u32 v84, v80, v84, 0x7fff
                                        ; implicit-def: $vgpr80
; %bb.42:
	s_and_not1_saveexec_b32 s3, s3
; %bb.43:
	v_and_b32_e32 v84, 0xffff, v80
	v_or_b32_e32 v90, 0x10000, v80
	s_delay_alu instid0(VALU_DEP_2) | instskip(NEXT) | instid1(VALU_DEP_2)
	v_cmp_eq_u32_e32 vcc_lo, 0, v84
	v_cndmask_b32_e32 v84, v90, v80, vcc_lo
; %bb.44:
	s_or_b32 exec_lo, exec_lo, s3
	s_load_b64 s[34:35], s[0:1], 0x94
	v_lshlrev_b32_e32 v91, 4, v75
	s_delay_alu instid0(VALU_DEP_2)
	v_perm_b32 v90, v84, v87, 0x7060302
	v_dual_mul_f32 v77, v82, v77 :: v_dual_lshlrev_b32 v80, 6, v66
	v_lshlrev_b32_e32 v66, 11, v65
	v_perm_b32 v87, v83, v76, 0x7060302
	v_mul_f32_e32 v83, v82, v70
	v_perm_b32 v89, v88, v89, 0x7060302
	v_perm_b32 v88, v86, v85, 0x7060302
	v_or3_b32 v76, v91, v66, v80
	v_mul_f32_e32 v66, v82, v81
	v_mul_f32_e32 v70, v82, v79
	;; [unrolled: 1-line block ×3, first 2 shown]
	v_dual_mul_f32 v81, v82, v72 :: v_dual_and_b32 v84, 0x7f800000, v83
	v_mul_f32_e32 v79, v82, v71
	v_mul_f32_e32 v72, v82, v69
	s_mov_b32 s3, exec_lo
	ds_store_b128 v76, v[87:90]
                                        ; implicit-def: $vgpr69
	v_cmpx_ne_u32_e32 0x7f800000, v84
	s_xor_b32 s3, exec_lo, s3
; %bb.45:
	v_bfe_u32 v69, v83, 16, 1
	s_delay_alu instid0(VALU_DEP_1)
	v_add3_u32 v69, v83, v69, 0x7fff
                                        ; implicit-def: $vgpr83
; %bb.46:
	s_and_not1_saveexec_b32 s3, s3
; %bb.47:
	v_and_b32_e32 v69, 0xffff, v83
	v_or_b32_e32 v71, 0x10000, v83
	s_delay_alu instid0(VALU_DEP_2) | instskip(NEXT) | instid1(VALU_DEP_2)
	v_cmp_eq_u32_e32 vcc_lo, 0, v69
	v_cndmask_b32_e32 v69, v71, v83, vcc_lo
; %bb.48:
	s_or_b32 exec_lo, exec_lo, s3
	v_and_b32_e32 v71, 0x7f800000, v72
	s_delay_alu instid0(VALU_DEP_1) | instskip(SKIP_1) | instid1(SALU_CYCLE_1)
	v_cmp_ne_u32_e32 vcc_lo, 0x7f800000, v71
                                        ; implicit-def: $vgpr71
	s_and_saveexec_b32 s3, vcc_lo
	s_xor_b32 s3, exec_lo, s3
; %bb.49:
	v_bfe_u32 v71, v72, 16, 1
	s_delay_alu instid0(VALU_DEP_1)
	v_add3_u32 v71, v72, v71, 0x7fff
                                        ; implicit-def: $vgpr72
; %bb.50:
	s_and_not1_saveexec_b32 s3, s3
; %bb.51:
	v_and_b32_e32 v71, 0xffff, v72
	v_or_b32_e32 v82, 0x10000, v72
	s_delay_alu instid0(VALU_DEP_2) | instskip(NEXT) | instid1(VALU_DEP_2)
	v_cmp_eq_u32_e32 vcc_lo, 0, v71
	v_cndmask_b32_e32 v71, v82, v72, vcc_lo
; %bb.52:
	s_or_b32 exec_lo, exec_lo, s3
	v_and_b32_e32 v72, 0x7f800000, v79
	s_delay_alu instid0(VALU_DEP_1) | instskip(SKIP_1) | instid1(SALU_CYCLE_1)
	v_cmp_ne_u32_e32 vcc_lo, 0x7f800000, v72
                                        ; implicit-def: $vgpr72
	s_and_saveexec_b32 s3, vcc_lo
	s_xor_b32 s3, exec_lo, s3
; %bb.53:
	v_bfe_u32 v72, v79, 16, 1
	s_delay_alu instid0(VALU_DEP_1)
	v_add3_u32 v72, v79, v72, 0x7fff
                                        ; implicit-def: $vgpr79
; %bb.54:
	s_and_not1_saveexec_b32 s3, s3
; %bb.55:
	v_and_b32_e32 v72, 0xffff, v79
	v_or_b32_e32 v82, 0x10000, v79
	s_delay_alu instid0(VALU_DEP_2) | instskip(NEXT) | instid1(VALU_DEP_2)
	v_cmp_eq_u32_e32 vcc_lo, 0, v72
	v_cndmask_b32_e32 v72, v82, v79, vcc_lo
; %bb.56:
	s_or_b32 exec_lo, exec_lo, s3
	v_and_b32_e32 v79, 0x7f800000, v81
	s_delay_alu instid0(VALU_DEP_1) | instskip(SKIP_1) | instid1(SALU_CYCLE_1)
	v_cmp_ne_u32_e32 vcc_lo, 0x7f800000, v79
                                        ; implicit-def: $vgpr79
	s_and_saveexec_b32 s3, vcc_lo
	s_xor_b32 s3, exec_lo, s3
; %bb.57:
	v_bfe_u32 v79, v81, 16, 1
	s_delay_alu instid0(VALU_DEP_1)
	v_add3_u32 v79, v81, v79, 0x7fff
                                        ; implicit-def: $vgpr81
; %bb.58:
	s_and_not1_saveexec_b32 s3, s3
; %bb.59:
	v_and_b32_e32 v79, 0xffff, v81
	v_or_b32_e32 v82, 0x10000, v81
	s_delay_alu instid0(VALU_DEP_2) | instskip(NEXT) | instid1(VALU_DEP_2)
	v_cmp_eq_u32_e32 vcc_lo, 0, v79
	v_cndmask_b32_e32 v79, v82, v81, vcc_lo
; %bb.60:
	s_or_b32 exec_lo, exec_lo, s3
	v_and_b32_e32 v81, 0x7f800000, v77
	s_delay_alu instid0(VALU_DEP_1) | instskip(SKIP_1) | instid1(SALU_CYCLE_1)
	v_cmp_ne_u32_e32 vcc_lo, 0x7f800000, v81
                                        ; implicit-def: $vgpr81
	s_and_saveexec_b32 s3, vcc_lo
	s_xor_b32 s3, exec_lo, s3
; %bb.61:
	v_bfe_u32 v81, v77, 16, 1
	s_delay_alu instid0(VALU_DEP_1)
	v_add3_u32 v81, v77, v81, 0x7fff
                                        ; implicit-def: $vgpr77
; %bb.62:
	s_and_not1_saveexec_b32 s3, s3
; %bb.63:
	v_and_b32_e32 v81, 0xffff, v77
	v_or_b32_e32 v82, 0x10000, v77
	s_delay_alu instid0(VALU_DEP_2) | instskip(NEXT) | instid1(VALU_DEP_2)
	v_cmp_eq_u32_e32 vcc_lo, 0, v81
	v_cndmask_b32_e32 v81, v82, v77, vcc_lo
; %bb.64:
	s_or_b32 exec_lo, exec_lo, s3
	v_and_b32_e32 v77, 0x7f800000, v78
	s_delay_alu instid0(VALU_DEP_1) | instskip(SKIP_1) | instid1(SALU_CYCLE_1)
	v_cmp_ne_u32_e32 vcc_lo, 0x7f800000, v77
                                        ; implicit-def: $vgpr77
	s_and_saveexec_b32 s3, vcc_lo
	s_xor_b32 s3, exec_lo, s3
; %bb.65:
	v_bfe_u32 v77, v78, 16, 1
	s_delay_alu instid0(VALU_DEP_1)
	v_add3_u32 v77, v78, v77, 0x7fff
                                        ; implicit-def: $vgpr78
; %bb.66:
	s_and_not1_saveexec_b32 s3, s3
; %bb.67:
	v_and_b32_e32 v77, 0xffff, v78
	v_or_b32_e32 v82, 0x10000, v78
	s_delay_alu instid0(VALU_DEP_2) | instskip(NEXT) | instid1(VALU_DEP_2)
	v_cmp_eq_u32_e32 vcc_lo, 0, v77
	v_cndmask_b32_e32 v77, v82, v78, vcc_lo
; %bb.68:
	s_or_b32 exec_lo, exec_lo, s3
	v_and_b32_e32 v78, 0x7f800000, v70
	s_delay_alu instid0(VALU_DEP_1) | instskip(SKIP_1) | instid1(SALU_CYCLE_1)
	v_cmp_ne_u32_e32 vcc_lo, 0x7f800000, v78
                                        ; implicit-def: $vgpr78
	s_and_saveexec_b32 s3, vcc_lo
	s_xor_b32 s3, exec_lo, s3
; %bb.69:
	v_bfe_u32 v78, v70, 16, 1
	s_delay_alu instid0(VALU_DEP_1)
	v_add3_u32 v78, v70, v78, 0x7fff
                                        ; implicit-def: $vgpr70
; %bb.70:
	s_and_not1_saveexec_b32 s3, s3
; %bb.71:
	v_and_b32_e32 v78, 0xffff, v70
	v_or_b32_e32 v82, 0x10000, v70
	s_delay_alu instid0(VALU_DEP_2) | instskip(NEXT) | instid1(VALU_DEP_2)
	v_cmp_eq_u32_e32 vcc_lo, 0, v78
	v_cndmask_b32_e32 v78, v82, v70, vcc_lo
; %bb.72:
	s_or_b32 exec_lo, exec_lo, s3
	v_and_b32_e32 v70, 0x7f800000, v66
	s_delay_alu instid0(VALU_DEP_1) | instskip(SKIP_1) | instid1(SALU_CYCLE_1)
	v_cmp_ne_u32_e32 vcc_lo, 0x7f800000, v70
                                        ; implicit-def: $vgpr70
	s_and_saveexec_b32 s3, vcc_lo
	s_xor_b32 s3, exec_lo, s3
; %bb.73:
	v_bfe_u32 v70, v66, 16, 1
	s_delay_alu instid0(VALU_DEP_1)
	v_add3_u32 v70, v66, v70, 0x7fff
                                        ; implicit-def: $vgpr66
; %bb.74:
	s_and_not1_saveexec_b32 s3, s3
; %bb.75:
	v_and_b32_e32 v70, 0xffff, v66
	v_or_b32_e32 v82, 0x10000, v66
	s_delay_alu instid0(VALU_DEP_2) | instskip(NEXT) | instid1(VALU_DEP_2)
	v_cmp_eq_u32_e32 vcc_lo, 0, v70
	v_cndmask_b32_e32 v70, v82, v66, vcc_lo
; %bb.76:
	s_or_b32 exec_lo, exec_lo, s3
	s_delay_alu instid0(VALU_DEP_1)
	v_perm_b32 v86, v70, v78, 0x7060302
	v_perm_b32 v85, v77, v81, 0x7060302
	;; [unrolled: 1-line block ×4, first 2 shown]
	v_lshl_or_b32 v82, v65, 11, v80
	ds_store_b128 v76, v[83:86] offset:1024
	s_waitcnt lgkmcnt(0)
	s_barrier
	buffer_gl0_inv
	ds_load_b128 v[69:72], v82
	ds_load_b128 v[83:86], v82 offset:16
	s_waitcnt lgkmcnt(1)
	v_lshrrev_b32_e32 v65, 16, v69
	v_lshlrev_b32_e32 v78, 2, v75
	s_waitcnt lgkmcnt(0)
	v_lshrrev_b32_e32 v91, 16, v83
	v_lshrrev_b32_e32 v66, 16, v70
	;; [unrolled: 1-line block ×4, first 2 shown]
	v_cmp_eq_u32_e32 vcc_lo, 1, v78
	v_lshrrev_b32_e32 v98, 16, v85
	v_lshrrev_b32_e32 v96, 16, v72
	;; [unrolled: 1-line block ×3, first 2 shown]
	v_cndmask_b32_e32 v81, v69, v65, vcc_lo
	v_or_b32_e32 v79, 1, v78
	v_cmp_eq_u32_e64 s4, 2, v78
	v_cndmask_b32_e32 v87, v83, v91, vcc_lo
	v_cmp_eq_u32_e64 s7, 3, v78
	v_cmp_eq_u32_e64 s9, 4, v78
	;; [unrolled: 1-line block ×3, first 2 shown]
	v_cndmask_b32_e64 v81, v81, v70, s4
	v_cmp_eq_u32_e64 s6, 2, v79
	v_cndmask_b32_e64 v87, v87, v84, s4
	v_cmp_eq_u32_e64 s8, 3, v79
	v_cndmask_b32_e64 v88, v69, v65, s3
	v_cndmask_b32_e64 v81, v81, v66, s7
	v_or_b32_e32 v77, 2, v78
	v_cndmask_b32_e64 v87, v87, v97, s7
	v_cndmask_b32_e64 v89, v83, v91, s3
	;; [unrolled: 1-line block ×4, first 2 shown]
	v_cmp_eq_u32_e64 s10, 5, v78
	v_cndmask_b32_e64 v87, v87, v85, s9
	v_cmp_eq_u32_e64 s11, 4, v79
	v_cndmask_b32_e64 v88, v88, v66, s8
	;; [unrolled: 2-line block ×3, first 2 shown]
	v_cndmask_b32_e64 v81, v81, v95, s10
	v_cmp_eq_u32_e64 s12, 6, v78
	v_cndmask_b32_e64 v88, v88, v71, s11
	v_cndmask_b32_e64 v87, v87, v98, s10
	v_cmp_eq_u32_e64 s13, 5, v79
	v_cndmask_b32_e64 v90, v69, v65, s5
	v_cndmask_b32_e64 v89, v89, v97, s8
	;; [unrolled: 1-line block ×3, first 2 shown]
	v_cmp_eq_u32_e64 s15, 7, v78
	v_cndmask_b32_e64 v88, v88, v95, s13
	v_cndmask_b32_e64 v87, v87, v86, s12
	v_cmp_eq_u32_e64 s16, 6, v79
	v_cmp_eq_u32_e64 s17, 2, v77
	v_cndmask_b32_e64 v89, v89, v85, s11
	v_cndmask_b32_e64 v100, v81, v96, s15
	;; [unrolled: 1-line block ×6, first 2 shown]
	v_cmp_eq_u32_e64 s18, 7, v79
	v_cmp_eq_u32_e64 s19, 3, v77
	;; [unrolled: 1-line block ×4, first 2 shown]
	v_cndmask_b32_e64 v87, v87, v84, s17
	v_cndmask_b32_e64 v102, v88, v96, s18
	;; [unrolled: 1-line block ×4, first 2 shown]
	v_or_b32_e32 v81, 3, v78
	v_cndmask_b32_e64 v93, v87, v97, s19
	v_cmp_eq_u32_e64 s24, 6, v77
	v_cndmask_b32_e64 v103, v88, v86, s16
	v_cndmask_b32_e64 v92, v89, v71, s20
	v_cmp_eq_u32_e64 s21, 1, v81
	ds_load_b128 v[87:90], v82 offset:1024
	v_cmp_eq_u32_e64 s23, 2, v81
	v_cmp_eq_u32_e64 s25, 3, v81
	v_cndmask_b32_e64 v104, v92, v95, s22
	v_cndmask_b32_e64 v65, v69, v65, s21
	;; [unrolled: 1-line block ×4, first 2 shown]
	ds_load_b128 v[91:94], v82 offset:1040
	v_cmp_eq_u32_e64 s26, 4, v81
	v_cndmask_b32_e64 v65, v65, v70, s23
	v_cmp_eq_u32_e64 s28, 5, v81
	v_cndmask_b32_e64 v70, v83, v84, s23
	;; [unrolled: 2-line block ×3, first 2 shown]
	v_cndmask_b32_e64 v65, v65, v66, s25
	v_cndmask_b32_e64 v66, v104, v72, s24
	;; [unrolled: 1-line block ×3, first 2 shown]
	v_cmp_eq_u32_e64 s27, 7, v77
	v_cndmask_b32_e64 v69, v69, v86, s24
	v_cndmask_b32_e64 v65, v65, v71, s26
	s_waitcnt lgkmcnt(1)
	v_lshrrev_b32_e32 v84, 16, v87
	v_cndmask_b32_e64 v70, v70, v85, s26
	v_cndmask_b32_e64 v83, v103, v99, s18
	v_cndmask_b32_e64 v66, v66, v96, s27
	v_cndmask_b32_e64 v65, v65, v95, s28
	v_lshrrev_b32_e32 v95, 16, v88
	v_cndmask_b32_e64 v70, v70, v98, s28
	s_waitcnt lgkmcnt(0)
	v_lshrrev_b32_e32 v85, 16, v91
	v_cndmask_b32_e64 v97, v87, v84, s3
	v_cndmask_b32_e64 v65, v65, v72, s29
	;; [unrolled: 1-line block ×4, first 2 shown]
	v_cndmask_b32_e32 v71, v87, v84, vcc_lo
	v_cndmask_b32_e32 v98, v91, v85, vcc_lo
	v_cmp_eq_u32_e32 vcc_lo, 7, v81
	v_cndmask_b32_e64 v72, v97, v88, s6
	v_lshrrev_b32_e32 v97, 16, v92
	v_lshrrev_b32_e32 v103, 16, v90
	v_dual_cndmask_b32 v65, v65, v96 :: v_dual_cndmask_b32 v70, v70, v99
	v_cndmask_b32_e64 v71, v71, v88, s4
	v_cndmask_b32_e64 v86, v98, v92, s4
	;; [unrolled: 1-line block ×3, first 2 shown]
	v_lshrrev_b32_e32 v98, 16, v89
	v_lshrrev_b32_e32 v99, 16, v93
	v_cndmask_b32_e64 v71, v71, v95, s7
	v_cndmask_b32_e64 v86, v86, v97, s7
	;; [unrolled: 1-line block ×3, first 2 shown]
	v_perm_b32 v72, v70, v65, 0x5040100
	v_perm_b32 v70, v83, v102, 0x5040100
	v_cndmask_b32_e64 v71, v71, v89, s9
	v_cndmask_b32_e64 v86, v86, v93, s9
	;; [unrolled: 1-line block ×3, first 2 shown]
	v_lshrrev_b32_e32 v83, 16, v94
	s_delay_alu instid0(VALU_DEP_4) | instskip(NEXT) | instid1(VALU_DEP_4)
	v_cndmask_b32_e64 v71, v71, v98, s10
	v_cndmask_b32_e64 v86, v86, v99, s10
	s_delay_alu instid0(VALU_DEP_4) | instskip(NEXT) | instid1(VALU_DEP_3)
	v_cndmask_b32_e64 v65, v65, v90, s16
	v_cndmask_b32_e64 v96, v71, v90, s12
	v_perm_b32 v71, v69, v66, 0x5040100
	s_delay_alu instid0(VALU_DEP_4)
	v_cndmask_b32_e64 v69, v86, v94, s12
	v_cndmask_b32_e64 v86, v87, v84, s5
	;; [unrolled: 1-line block ×34, first 2 shown]
	v_cndmask_b32_e32 v84, v84, v103, vcc_lo
	v_cndmask_b32_e32 v86, v87, v83, vcc_lo
	v_cndmask_b32_e64 v87, v88, v83, s27
	v_cndmask_b32_e64 v88, v85, v83, s18
	;; [unrolled: 1-line block ×3, first 2 shown]
	v_perm_b32 v69, v101, v100, 0x5040100
	v_perm_b32 v86, v86, v84, 0x5040100
	;; [unrolled: 1-line block ×5, first 2 shown]
	s_lshl_b32 s8, s35, 3
	s_mov_b32 s3, exec_lo
	ds_store_b128 v76, v[69:72]
	ds_store_b128 v76, v[83:86] offset:1024
	v_cmpx_gt_u32_e32 8, v0
	s_cbranch_execz .LBB1453_78
; %bb.77:
	v_or_b32_e32 v65, s31, v0
	s_load_b128 s[4:7], s[0:1], 0x58
	s_delay_alu instid0(VALU_DEP_1) | instskip(NEXT) | instid1(VALU_DEP_1)
	v_mad_u64_u32 v[69:70], null, s8, s30, v[65:66]
	v_mad_u64_u32 v[65:66], null, v69, s34, s[14:15]
	s_delay_alu instid0(VALU_DEP_1) | instskip(NEXT) | instid1(VALU_DEP_1)
	v_ashrrev_i32_e32 v66, 31, v65
	v_lshlrev_b64 v[65:66], 2, v[65:66]
	s_waitcnt lgkmcnt(0)
	s_delay_alu instid0(VALU_DEP_1) | instskip(NEXT) | instid1(VALU_DEP_2)
	v_add_co_u32 v69, vcc_lo, s6, v65
	v_add_co_ci_u32_e32 v70, vcc_lo, s7, v66, vcc_lo
	v_add_co_u32 v65, vcc_lo, s4, v65
	v_add_co_ci_u32_e32 v66, vcc_lo, s5, v66, vcc_lo
	global_store_b32 v[69:70], v67, off
	global_store_b32 v[65:66], v68, off
.LBB1453_78:
	s_or_b32 exec_lo, exec_lo, s3
	s_waitcnt lgkmcnt(0)
	s_waitcnt_vscnt null, 0x0
	s_barrier
	buffer_gl0_inv
	ds_load_b128 v[83:86], v80
	ds_load_b128 v[87:90], v80 offset:16
	ds_load_b128 v[95:98], v80 offset:2064
	ds_load_b128 v[91:94], v80 offset:2048
	v_mov_b32_e32 v65, 0
	ds_load_b128 v[103:106], v80 offset:4112
	ds_load_b128 v[99:102], v80 offset:4096
	;; [unrolled: 1-line block ×4, first 2 shown]
	v_mov_b32_e32 v66, v65
	v_mov_b32_e32 v67, v65
	;; [unrolled: 1-line block ×7, first 2 shown]
	s_waitcnt lgkmcnt(6)
	s_delay_alu instid0(VALU_DEP_1)
	v_wmma_f32_16x16x16_bf16 v[65:72], v[57:64], v[83:90], v[65:72]
	ds_load_b128 v[61:64], v80 offset:8208
	ds_load_b128 v[57:60], v80 offset:8192
	s_waitcnt lgkmcnt(6)
	v_wmma_f32_16x16x16_bf16 v[65:72], v[41:48], v[91:98], v[65:72]
	ds_load_b128 v[45:48], v80 offset:10256
	ds_load_b128 v[41:44], v80 offset:10240
	s_waitcnt lgkmcnt(6)
	;; [unrolled: 4-line block ×4, first 2 shown]
	v_wmma_f32_16x16x16_bf16 v[65:72], v[1:8], v[57:64], v[65:72]
	s_waitcnt lgkmcnt(4)
	s_delay_alu instid0(VALU_DEP_1) | instskip(SKIP_1) | instid1(VALU_DEP_1)
	v_wmma_f32_16x16x16_bf16 v[65:72], v[9:16], v[41:48], v[65:72]
	s_waitcnt lgkmcnt(2)
	v_wmma_f32_16x16x16_bf16 v[65:72], v[17:24], v[33:40], v[65:72]
	s_waitcnt lgkmcnt(0)
	s_delay_alu instid0(VALU_DEP_1) | instskip(NEXT) | instid1(VALU_DEP_1)
	v_wmma_f32_16x16x16_bf16 v[65:72], v[49:56], v[25:32], v[65:72]
	v_and_b32_e32 v1, 0x7f800000, v65
	s_delay_alu instid0(VALU_DEP_1) | instskip(SKIP_1) | instid1(SALU_CYCLE_1)
	v_cmp_ne_u32_e32 vcc_lo, 0x7f800000, v1
                                        ; implicit-def: $vgpr1
	s_and_saveexec_b32 s3, vcc_lo
	s_xor_b32 s3, exec_lo, s3
; %bb.79:
	v_bfe_u32 v1, v65, 16, 1
	s_delay_alu instid0(VALU_DEP_1)
	v_add3_u32 v1, v65, v1, 0x7fff
; %bb.80:
	s_and_not1_saveexec_b32 s3, s3
; %bb.81:
	v_and_b32_e32 v1, 0xffff, v65
	v_or_b32_e32 v2, 0x10000, v65
	s_delay_alu instid0(VALU_DEP_2) | instskip(NEXT) | instid1(VALU_DEP_2)
	v_cmp_eq_u32_e32 vcc_lo, 0, v1
	v_cndmask_b32_e32 v1, v2, v65, vcc_lo
; %bb.82:
	s_or_b32 exec_lo, exec_lo, s3
	v_and_b32_e32 v2, 0x7f800000, v66
	s_delay_alu instid0(VALU_DEP_1) | instskip(SKIP_1) | instid1(SALU_CYCLE_1)
	v_cmp_ne_u32_e32 vcc_lo, 0x7f800000, v2
                                        ; implicit-def: $vgpr2
	s_and_saveexec_b32 s3, vcc_lo
	s_xor_b32 s3, exec_lo, s3
; %bb.83:
	v_bfe_u32 v2, v66, 16, 1
	s_delay_alu instid0(VALU_DEP_1)
	v_add3_u32 v2, v66, v2, 0x7fff
; %bb.84:
	s_and_not1_saveexec_b32 s3, s3
; %bb.85:
	v_and_b32_e32 v2, 0xffff, v66
	v_or_b32_e32 v3, 0x10000, v66
	s_delay_alu instid0(VALU_DEP_2) | instskip(NEXT) | instid1(VALU_DEP_2)
	v_cmp_eq_u32_e32 vcc_lo, 0, v2
	v_cndmask_b32_e32 v2, v3, v66, vcc_lo
; %bb.86:
	s_or_b32 exec_lo, exec_lo, s3
	v_and_b32_e32 v3, 0x7f800000, v67
	s_delay_alu instid0(VALU_DEP_1) | instskip(SKIP_1) | instid1(SALU_CYCLE_1)
	v_cmp_ne_u32_e32 vcc_lo, 0x7f800000, v3
                                        ; implicit-def: $vgpr3
	s_and_saveexec_b32 s3, vcc_lo
	s_xor_b32 s3, exec_lo, s3
; %bb.87:
	v_bfe_u32 v3, v67, 16, 1
	s_delay_alu instid0(VALU_DEP_1)
	v_add3_u32 v3, v67, v3, 0x7fff
; %bb.88:
	s_and_not1_saveexec_b32 s3, s3
; %bb.89:
	v_and_b32_e32 v3, 0xffff, v67
	v_or_b32_e32 v4, 0x10000, v67
	s_delay_alu instid0(VALU_DEP_2) | instskip(NEXT) | instid1(VALU_DEP_2)
	v_cmp_eq_u32_e32 vcc_lo, 0, v3
	v_cndmask_b32_e32 v3, v4, v67, vcc_lo
; %bb.90:
	s_or_b32 exec_lo, exec_lo, s3
	v_and_b32_e32 v4, 0x7f800000, v68
	s_delay_alu instid0(VALU_DEP_1) | instskip(SKIP_1) | instid1(SALU_CYCLE_1)
	v_cmp_ne_u32_e32 vcc_lo, 0x7f800000, v4
                                        ; implicit-def: $vgpr4
	s_and_saveexec_b32 s3, vcc_lo
	s_xor_b32 s3, exec_lo, s3
; %bb.91:
	v_bfe_u32 v4, v68, 16, 1
	s_delay_alu instid0(VALU_DEP_1)
	v_add3_u32 v4, v68, v4, 0x7fff
; %bb.92:
	s_and_not1_saveexec_b32 s3, s3
; %bb.93:
	v_and_b32_e32 v4, 0xffff, v68
	v_or_b32_e32 v5, 0x10000, v68
	s_delay_alu instid0(VALU_DEP_2) | instskip(NEXT) | instid1(VALU_DEP_2)
	v_cmp_eq_u32_e32 vcc_lo, 0, v4
	v_cndmask_b32_e32 v4, v5, v68, vcc_lo
; %bb.94:
	s_or_b32 exec_lo, exec_lo, s3
	v_and_b32_e32 v5, 0x7f800000, v69
	s_delay_alu instid0(VALU_DEP_1) | instskip(SKIP_1) | instid1(SALU_CYCLE_1)
	v_cmp_ne_u32_e32 vcc_lo, 0x7f800000, v5
                                        ; implicit-def: $vgpr5
	s_and_saveexec_b32 s3, vcc_lo
	s_xor_b32 s3, exec_lo, s3
; %bb.95:
	v_bfe_u32 v5, v69, 16, 1
	s_delay_alu instid0(VALU_DEP_1)
	v_add3_u32 v5, v69, v5, 0x7fff
; %bb.96:
	s_and_not1_saveexec_b32 s3, s3
; %bb.97:
	v_and_b32_e32 v5, 0xffff, v69
	v_or_b32_e32 v6, 0x10000, v69
	s_delay_alu instid0(VALU_DEP_2) | instskip(NEXT) | instid1(VALU_DEP_2)
	v_cmp_eq_u32_e32 vcc_lo, 0, v5
	v_cndmask_b32_e32 v5, v6, v69, vcc_lo
; %bb.98:
	s_or_b32 exec_lo, exec_lo, s3
	v_and_b32_e32 v6, 0x7f800000, v70
	s_delay_alu instid0(VALU_DEP_1) | instskip(SKIP_1) | instid1(SALU_CYCLE_1)
	v_cmp_ne_u32_e32 vcc_lo, 0x7f800000, v6
                                        ; implicit-def: $vgpr6
	s_and_saveexec_b32 s3, vcc_lo
	s_xor_b32 s3, exec_lo, s3
; %bb.99:
	v_bfe_u32 v6, v70, 16, 1
	s_delay_alu instid0(VALU_DEP_1)
	v_add3_u32 v6, v70, v6, 0x7fff
; %bb.100:
	s_and_not1_saveexec_b32 s3, s3
; %bb.101:
	v_and_b32_e32 v6, 0xffff, v70
	v_or_b32_e32 v7, 0x10000, v70
	s_delay_alu instid0(VALU_DEP_2) | instskip(NEXT) | instid1(VALU_DEP_2)
	v_cmp_eq_u32_e32 vcc_lo, 0, v6
	v_cndmask_b32_e32 v6, v7, v70, vcc_lo
; %bb.102:
	s_or_b32 exec_lo, exec_lo, s3
	v_and_b32_e32 v7, 0x7f800000, v71
	s_delay_alu instid0(VALU_DEP_1) | instskip(SKIP_1) | instid1(SALU_CYCLE_1)
	v_cmp_ne_u32_e32 vcc_lo, 0x7f800000, v7
                                        ; implicit-def: $vgpr7
	s_and_saveexec_b32 s3, vcc_lo
	s_xor_b32 s3, exec_lo, s3
; %bb.103:
	v_bfe_u32 v7, v71, 16, 1
	s_delay_alu instid0(VALU_DEP_1)
	v_add3_u32 v7, v71, v7, 0x7fff
; %bb.104:
	s_and_not1_saveexec_b32 s3, s3
; %bb.105:
	v_and_b32_e32 v7, 0xffff, v71
	v_or_b32_e32 v8, 0x10000, v71
	s_delay_alu instid0(VALU_DEP_2) | instskip(NEXT) | instid1(VALU_DEP_2)
	v_cmp_eq_u32_e32 vcc_lo, 0, v7
	v_cndmask_b32_e32 v7, v8, v71, vcc_lo
; %bb.106:
	s_or_b32 exec_lo, exec_lo, s3
	v_and_b32_e32 v8, 0x7f800000, v72
	s_delay_alu instid0(VALU_DEP_1) | instskip(SKIP_1) | instid1(SALU_CYCLE_1)
	v_cmp_ne_u32_e32 vcc_lo, 0x7f800000, v8
                                        ; implicit-def: $vgpr8
	s_and_saveexec_b32 s3, vcc_lo
	s_xor_b32 s3, exec_lo, s3
; %bb.107:
	v_bfe_u32 v8, v72, 16, 1
	s_delay_alu instid0(VALU_DEP_1)
	v_add3_u32 v8, v72, v8, 0x7fff
                                        ; implicit-def: $vgpr65_vgpr66_vgpr67_vgpr68_vgpr69_vgpr70_vgpr71_vgpr72
; %bb.108:
	s_and_not1_saveexec_b32 s3, s3
; %bb.109:
	v_and_b32_e32 v8, 0xffff, v72
	v_or_b32_e32 v9, 0x10000, v72
	s_delay_alu instid0(VALU_DEP_2) | instskip(NEXT) | instid1(VALU_DEP_2)
	v_cmp_eq_u32_e32 vcc_lo, 0, v8
	v_cndmask_b32_e32 v8, v9, v72, vcc_lo
; %bb.110:
	s_or_b32 exec_lo, exec_lo, s3
	s_delay_alu instid0(VALU_DEP_1)
	v_perm_b32 v7, v8, v7, 0x7060302
	v_perm_b32 v6, v6, v5, 0x7060302
	;; [unrolled: 1-line block ×4, first 2 shown]
	s_barrier
	buffer_gl0_inv
	v_cmp_eq_u32_e32 vcc_lo, 1, v78
	ds_store_b128 v76, v[4:7]
	s_waitcnt lgkmcnt(0)
	s_barrier
	buffer_gl0_inv
	ds_load_b128 v[1:4], v82
	ds_load_b128 v[5:8], v82 offset:16
	v_cmp_eq_u32_e64 s3, 1, v79
	v_cmp_eq_u32_e64 s4, 2, v78
	;; [unrolled: 1-line block ×5, first 2 shown]
	s_waitcnt lgkmcnt(1)
	v_lshrrev_b32_e32 v9, 16, v1
	s_waitcnt lgkmcnt(0)
	v_lshrrev_b32_e32 v13, 16, v5
	v_lshrrev_b32_e32 v10, 16, v2
	v_lshrrev_b32_e32 v14, 16, v6
	v_lshrrev_b32_e32 v11, 16, v3
	v_cndmask_b32_e64 v19, v1, v9, s3
	v_cndmask_b32_e32 v18, v5, v13, vcc_lo
	v_cndmask_b32_e64 v20, v5, v13, s3
	v_cndmask_b32_e32 v17, v1, v9, vcc_lo
	v_cmp_eq_u32_e32 vcc_lo, 2, v79
	v_lshrrev_b32_e32 v15, 16, v7
	v_cmp_eq_u32_e64 s3, 1, v77
	v_lshrrev_b32_e32 v12, 16, v4
	v_lshrrev_b32_e32 v16, 16, v8
	v_cndmask_b32_e32 v20, v20, v6, vcc_lo
	v_cndmask_b32_e64 v17, v17, v2, s4
	v_cndmask_b32_e32 v19, v19, v2, vcc_lo
	v_cndmask_b32_e64 v18, v18, v6, s4
	v_cmp_eq_u32_e32 vcc_lo, 4, v78
	v_cmp_eq_u32_e64 s4, 3, v79
	v_cndmask_b32_e64 v17, v17, v10, s5
	v_cndmask_b32_e64 v21, v1, v9, s3
	;; [unrolled: 1-line block ×5, first 2 shown]
	v_cndmask_b32_e32 v17, v17, v3, vcc_lo
	v_cndmask_b32_e64 v20, v20, v14, s4
	v_cndmask_b32_e32 v18, v18, v7, vcc_lo
	v_cmp_eq_u32_e32 vcc_lo, 4, v79
	v_cmp_eq_u32_e64 s4, 5, v79
	v_cmp_eq_u32_e64 s3, 2, v81
	v_cndmask_b32_e64 v21, v21, v2, s7
	v_cmp_eq_u32_e64 s5, 5, v78
	v_cndmask_b32_e32 v19, v19, v3, vcc_lo
	v_cndmask_b32_e32 v20, v20, v7, vcc_lo
	v_cmp_eq_u32_e32 vcc_lo, 6, v79
	s_delay_alu instid0(VALU_DEP_4) | instskip(NEXT) | instid1(VALU_DEP_4)
	v_cndmask_b32_e64 v17, v17, v11, s5
	v_cndmask_b32_e64 v19, v19, v11, s4
	s_delay_alu instid0(VALU_DEP_4) | instskip(SKIP_1) | instid1(VALU_DEP_3)
	v_cndmask_b32_e64 v20, v20, v15, s4
	v_cmp_eq_u32_e64 s4, 1, v81
	v_cndmask_b32_e32 v19, v19, v4, vcc_lo
	v_cndmask_b32_e64 v18, v18, v15, s5
	s_delay_alu instid0(VALU_DEP_3)
	v_cndmask_b32_e64 v1, v1, v9, s4
	v_cndmask_b32_e64 v5, v5, v13, s4
	v_cmp_eq_u32_e64 s4, 3, v77
	v_cndmask_b32_e64 v13, v22, v6, s7
	v_cmp_eq_u32_e64 s7, 3, v81
	v_cndmask_b32_e64 v1, v1, v2, s3
	v_cndmask_b32_e64 v2, v5, v6, s3
	;; [unrolled: 1-line block ×3, first 2 shown]
	v_cmp_eq_u32_e64 s3, 4, v77
	v_cndmask_b32_e64 v6, v13, v14, s4
	v_cndmask_b32_e64 v1, v1, v10, s7
	v_cmp_eq_u32_e64 s4, 4, v81
	v_cndmask_b32_e64 v2, v2, v14, s7
	v_cndmask_b32_e64 v5, v9, v3, s3
	;; [unrolled: 3-line block ×3, first 2 shown]
	v_cndmask_b32_e64 v2, v2, v7, s4
	v_cmp_eq_u32_e64 s3, 5, v81
	v_cmp_eq_u32_e64 s5, 6, v78
	v_cndmask_b32_e64 v5, v5, v11, s7
	v_cmp_eq_u32_e64 s4, 6, v77
	v_cndmask_b32_e64 v3, v6, v15, s7
	v_cndmask_b32_e64 v1, v1, v11, s3
	v_cmp_eq_u32_e64 s7, 6, v81
	v_cndmask_b32_e64 v2, v2, v15, s3
	v_cndmask_b32_e64 v17, v17, v4, s5
	v_cndmask_b32_e64 v18, v18, v8, s5
	v_cmp_eq_u32_e64 s5, 7, v78
	v_cndmask_b32_e64 v5, v5, v4, s4
	;; [unrolled: 4-line block ×3, first 2 shown]
	v_cmp_eq_u32_e64 s4, 7, v77
	v_cndmask_b32_e32 v4, v20, v8, vcc_lo
	v_cndmask_b32_e64 v17, v17, v12, s5
	v_cndmask_b32_e64 v19, v19, v12, s6
	;; [unrolled: 1-line block ×8, first 2 shown]
	v_cmp_gt_u32_e32 vcc_lo, 32, v0
	v_perm_b32 v4, v2, v1, 0x5040100
	v_perm_b32 v3, v3, v5, 0x5040100
	;; [unrolled: 1-line block ×4, first 2 shown]
	s_and_b32 s2, vcc_lo, s2
	ds_store_b128 v76, v[1:4]
	s_waitcnt lgkmcnt(0)
	s_barrier
	buffer_gl0_inv
	s_and_saveexec_b32 s3, s2
	s_cbranch_execz .LBB1453_2
; %bb.111:
	s_load_b64 s[0:1], s[0:1], 0x68
	s_lshl_b32 s4, s34, 6
	v_or_b32_e32 v2, s31, v75
	s_mul_i32 s2, s4, s30
	v_lshlrev_b32_e32 v1, 10, v0
	s_mul_i32 s2, s2, s8
	v_lshlrev_b32_e32 v3, 4, v74
	v_mul_lo_u32 v0, v2, s4
	s_ashr_i32 s3, s2, 31
	v_lshlrev_b32_e32 v4, 6, v75
	v_and_b32_e32 v1, 0x3800, v1
	v_or_b32_e32 v5, 2, v2
	s_lshl_b64 s[2:3], s[2:3], 1
	v_or_b32_e32 v6, 4, v2
	v_or_b32_e32 v7, 6, v2
	v_or3_b32 v12, v1, v3, v4
	v_ashrrev_i32_e32 v1, 31, v0
	v_mul_lo_u32 v2, v5, s4
	v_mul_lo_u32 v16, v6, s4
	;; [unrolled: 1-line block ×3, first 2 shown]
	s_waitcnt lgkmcnt(0)
	s_add_u32 s2, s0, s2
	s_addc_u32 s3, s1, s3
	s_lshl_b32 s0, s14, 6
	v_lshlrev_b64 v[0:1], 1, v[0:1]
	s_ashr_i32 s1, s0, 31
	v_ashrrev_i32_e32 v3, 31, v2
	s_lshl_b64 s[0:1], s[0:1], 1
	v_ashrrev_i32_e32 v17, 31, v16
	s_add_u32 s0, s2, s0
	s_addc_u32 s1, s3, s1
	v_add_co_u32 v24, s0, s0, v73
	s_delay_alu instid0(VALU_DEP_1) | instskip(SKIP_1) | instid1(VALU_DEP_3)
	v_add_co_ci_u32_e64 v25, null, s1, 0, s0
	v_lshlrev_b64 v[22:23], 1, v[2:3]
	v_add_co_u32 v18, vcc_lo, v24, v0
	s_delay_alu instid0(VALU_DEP_3)
	v_add_co_ci_u32_e32 v19, vcc_lo, v25, v1, vcc_lo
	ds_load_b128 v[0:3], v12
	ds_load_b128 v[4:7], v12 offset:128
	ds_load_b128 v[8:11], v12 offset:256
	;; [unrolled: 1-line block ×3, first 2 shown]
	v_ashrrev_i32_e32 v21, 31, v20
	v_lshlrev_b64 v[16:17], 1, v[16:17]
	v_add_co_u32 v22, vcc_lo, v24, v22
	v_add_co_ci_u32_e32 v23, vcc_lo, v25, v23, vcc_lo
	s_delay_alu instid0(VALU_DEP_4) | instskip(NEXT) | instid1(VALU_DEP_4)
	v_lshlrev_b64 v[20:21], 1, v[20:21]
	v_add_co_u32 v16, vcc_lo, v24, v16
	v_add_co_ci_u32_e32 v17, vcc_lo, v25, v17, vcc_lo
	s_delay_alu instid0(VALU_DEP_3) | instskip(NEXT) | instid1(VALU_DEP_4)
	v_add_co_u32 v20, vcc_lo, v24, v20
	v_add_co_ci_u32_e32 v21, vcc_lo, v25, v21, vcc_lo
	s_waitcnt lgkmcnt(3)
	global_store_b128 v[18:19], v[0:3], off
	s_waitcnt lgkmcnt(2)
	global_store_b128 v[22:23], v[4:7], off
	;; [unrolled: 2-line block ×4, first 2 shown]
	s_nop 0
	s_sendmsg sendmsg(MSG_DEALLOC_VGPRS)
	s_endpgm
	.section	.rodata,"a",@progbits
	.p2align	6, 0x0
	.amdhsa_kernel _Z39paged_attention_ll4mi_QKV_mfma16_kernelI14__hip_bfloat16hLN4vllm18Fp8KVCacheDataTypeE1EhLi32ELi64ELi256ELb0ELi8EL8MFMAType1EEvPKT_PKT0_S9_ifPKiSB_SB_iPKfiiiPfSE_PS4_PT2_iSD_SD_
		.amdhsa_group_segment_fixed_size 17472
		.amdhsa_private_segment_fixed_size 0
		.amdhsa_kernarg_size 400
		.amdhsa_user_sgpr_count 13
		.amdhsa_user_sgpr_dispatch_ptr 0
		.amdhsa_user_sgpr_queue_ptr 0
		.amdhsa_user_sgpr_kernarg_segment_ptr 1
		.amdhsa_user_sgpr_dispatch_id 0
		.amdhsa_user_sgpr_private_segment_size 0
		.amdhsa_wavefront_size32 1
		.amdhsa_uses_dynamic_stack 0
		.amdhsa_enable_private_segment 0
		.amdhsa_system_sgpr_workgroup_id_x 1
		.amdhsa_system_sgpr_workgroup_id_y 1
		.amdhsa_system_sgpr_workgroup_id_z 1
		.amdhsa_system_sgpr_workgroup_info 0
		.amdhsa_system_vgpr_workitem_id 0
		.amdhsa_next_free_vgpr 124
		.amdhsa_next_free_sgpr 40
		.amdhsa_reserve_vcc 1
		.amdhsa_float_round_mode_32 0
		.amdhsa_float_round_mode_16_64 0
		.amdhsa_float_denorm_mode_32 3
		.amdhsa_float_denorm_mode_16_64 3
		.amdhsa_dx10_clamp 1
		.amdhsa_ieee_mode 1
		.amdhsa_fp16_overflow 0
		.amdhsa_workgroup_processor_mode 1
		.amdhsa_memory_ordered 1
		.amdhsa_forward_progress 0
		.amdhsa_shared_vgpr_count 0
		.amdhsa_exception_fp_ieee_invalid_op 0
		.amdhsa_exception_fp_denorm_src 0
		.amdhsa_exception_fp_ieee_div_zero 0
		.amdhsa_exception_fp_ieee_overflow 0
		.amdhsa_exception_fp_ieee_underflow 0
		.amdhsa_exception_fp_ieee_inexact 0
		.amdhsa_exception_int_div_zero 0
	.end_amdhsa_kernel
	.section	.text._Z39paged_attention_ll4mi_QKV_mfma16_kernelI14__hip_bfloat16hLN4vllm18Fp8KVCacheDataTypeE1EhLi32ELi64ELi256ELb0ELi8EL8MFMAType1EEvPKT_PKT0_S9_ifPKiSB_SB_iPKfiiiPfSE_PS4_PT2_iSD_SD_,"axG",@progbits,_Z39paged_attention_ll4mi_QKV_mfma16_kernelI14__hip_bfloat16hLN4vllm18Fp8KVCacheDataTypeE1EhLi32ELi64ELi256ELb0ELi8EL8MFMAType1EEvPKT_PKT0_S9_ifPKiSB_SB_iPKfiiiPfSE_PS4_PT2_iSD_SD_,comdat
.Lfunc_end1453:
	.size	_Z39paged_attention_ll4mi_QKV_mfma16_kernelI14__hip_bfloat16hLN4vllm18Fp8KVCacheDataTypeE1EhLi32ELi64ELi256ELb0ELi8EL8MFMAType1EEvPKT_PKT0_S9_ifPKiSB_SB_iPKfiiiPfSE_PS4_PT2_iSD_SD_, .Lfunc_end1453-_Z39paged_attention_ll4mi_QKV_mfma16_kernelI14__hip_bfloat16hLN4vllm18Fp8KVCacheDataTypeE1EhLi32ELi64ELi256ELb0ELi8EL8MFMAType1EEvPKT_PKT0_S9_ifPKiSB_SB_iPKfiiiPfSE_PS4_PT2_iSD_SD_
                                        ; -- End function
	.section	.AMDGPU.csdata,"",@progbits
; Kernel info:
; codeLenInByte = 8732
; NumSgprs: 42
; NumVgprs: 124
; ScratchSize: 0
; MemoryBound: 0
; FloatMode: 240
; IeeeMode: 1
; LDSByteSize: 17472 bytes/workgroup (compile time only)
; SGPRBlocks: 5
; VGPRBlocks: 15
; NumSGPRsForWavesPerEU: 42
; NumVGPRsForWavesPerEU: 124
; Occupancy: 10
; WaveLimiterHint : 1
; COMPUTE_PGM_RSRC2:SCRATCH_EN: 0
; COMPUTE_PGM_RSRC2:USER_SGPR: 13
; COMPUTE_PGM_RSRC2:TRAP_HANDLER: 0
; COMPUTE_PGM_RSRC2:TGID_X_EN: 1
; COMPUTE_PGM_RSRC2:TGID_Y_EN: 1
; COMPUTE_PGM_RSRC2:TGID_Z_EN: 1
; COMPUTE_PGM_RSRC2:TIDIG_COMP_CNT: 0
	.section	.text._Z39paged_attention_ll4mi_QKV_mfma16_kernelI14__hip_bfloat16hLN4vllm18Fp8KVCacheDataTypeE1EhLi32ELi64ELi256ELb0ELi9EL8MFMAType1EEvPKT_PKT0_S9_ifPKiSB_SB_iPKfiiiPfSE_PS4_PT2_iSD_SD_,"axG",@progbits,_Z39paged_attention_ll4mi_QKV_mfma16_kernelI14__hip_bfloat16hLN4vllm18Fp8KVCacheDataTypeE1EhLi32ELi64ELi256ELb0ELi9EL8MFMAType1EEvPKT_PKT0_S9_ifPKiSB_SB_iPKfiiiPfSE_PS4_PT2_iSD_SD_,comdat
	.protected	_Z39paged_attention_ll4mi_QKV_mfma16_kernelI14__hip_bfloat16hLN4vllm18Fp8KVCacheDataTypeE1EhLi32ELi64ELi256ELb0ELi9EL8MFMAType1EEvPKT_PKT0_S9_ifPKiSB_SB_iPKfiiiPfSE_PS4_PT2_iSD_SD_ ; -- Begin function _Z39paged_attention_ll4mi_QKV_mfma16_kernelI14__hip_bfloat16hLN4vllm18Fp8KVCacheDataTypeE1EhLi32ELi64ELi256ELb0ELi9EL8MFMAType1EEvPKT_PKT0_S9_ifPKiSB_SB_iPKfiiiPfSE_PS4_PT2_iSD_SD_
	.globl	_Z39paged_attention_ll4mi_QKV_mfma16_kernelI14__hip_bfloat16hLN4vllm18Fp8KVCacheDataTypeE1EhLi32ELi64ELi256ELb0ELi9EL8MFMAType1EEvPKT_PKT0_S9_ifPKiSB_SB_iPKfiiiPfSE_PS4_PT2_iSD_SD_
	.p2align	8
	.type	_Z39paged_attention_ll4mi_QKV_mfma16_kernelI14__hip_bfloat16hLN4vllm18Fp8KVCacheDataTypeE1EhLi32ELi64ELi256ELb0ELi9EL8MFMAType1EEvPKT_PKT0_S9_ifPKiSB_SB_iPKfiiiPfSE_PS4_PT2_iSD_SD_,@function
_Z39paged_attention_ll4mi_QKV_mfma16_kernelI14__hip_bfloat16hLN4vllm18Fp8KVCacheDataTypeE1EhLi32ELi64ELi256ELb0ELi9EL8MFMAType1EEvPKT_PKT0_S9_ifPKiSB_SB_iPKfiiiPfSE_PS4_PT2_iSD_SD_: ; @_Z39paged_attention_ll4mi_QKV_mfma16_kernelI14__hip_bfloat16hLN4vllm18Fp8KVCacheDataTypeE1EhLi32ELi64ELi256ELb0ELi9EL8MFMAType1EEvPKT_PKT0_S9_ifPKiSB_SB_iPKfiiiPfSE_PS4_PT2_iSD_SD_
; %bb.0:
	s_load_b64 s[2:3], s[0:1], 0x30
	s_mov_b32 s34, s13
	s_waitcnt lgkmcnt(0)
	s_cmp_lg_u64 s[2:3], 0
	s_cselect_b32 s8, -1, 0
	s_ashr_i32 s35, s13, 31
	s_cmp_eq_u64 s[2:3], 0
	s_cbranch_scc1 .LBB1454_3
; %bb.1:
	s_lshl_b64 s[4:5], s[34:35], 2
	s_delay_alu instid0(SALU_CYCLE_1) | instskip(SKIP_4) | instid1(SALU_CYCLE_1)
	s_add_u32 s4, s2, s4
	s_addc_u32 s5, s3, s5
	s_load_b64 s[4:5], s[4:5], 0x0
	s_waitcnt lgkmcnt(0)
	s_sub_i32 s4, s5, s4
	s_cmp_eq_u32 s4, 1
	s_cselect_b32 s4, -1, 0
	s_delay_alu instid0(SALU_CYCLE_1)
	s_and_not1_b32 vcc_lo, exec_lo, s4
	s_cbranch_vccz .LBB1454_4
.LBB1454_2:
	s_nop 0
	s_sendmsg sendmsg(MSG_DEALLOC_VGPRS)
	s_endpgm
.LBB1454_3:
.LBB1454_4:
	s_load_b64 s[4:5], s[0:1], 0x28
	s_lshl_b64 s[6:7], s[34:35], 2
	s_waitcnt lgkmcnt(0)
	s_add_u32 s4, s4, s6
	s_addc_u32 s5, s5, s7
	s_lshl_b32 s12, s14, 8
	s_load_b32 s24, s[4:5], 0x0
	s_waitcnt lgkmcnt(0)
	s_cmp_ge_i32 s12, s24
	s_cbranch_scc1 .LBB1454_2
; %bb.5:
	s_clause 0x1
	s_load_b128 s[20:23], s[0:1], 0x8
	s_load_b64 s[4:5], s[0:1], 0x20
	s_and_not1_b32 vcc_lo, exec_lo, s8
	s_cbranch_vccnz .LBB1454_7
; %bb.6:
	s_add_u32 s2, s2, s6
	s_addc_u32 s3, s3, s7
	s_load_b32 s3, s[2:3], 0x0
	s_branch .LBB1454_8
.LBB1454_7:
	s_mov_b32 s3, s34
.LBB1454_8:
	s_load_b128 s[16:19], s[0:1], 0x48
	v_lshrrev_b32_e32 v66, 5, v0
	v_bfe_u32 v74, v0, 4, 1
	v_and_b32_e32 v65, 15, v0
	v_and_b32_e32 v67, 31, v0
	v_and_b32_e32 v75, 1, v0
	s_mul_i32 s31, s15, 9
	v_lshl_or_b32 v1, v66, 1, v74
	v_lshlrev_b32_e32 v2, 3, v65
	v_cmp_gt_u32_e64 s2, 8, v65
	s_delay_alu instid0(VALU_DEP_3) | instskip(NEXT) | instid1(VALU_DEP_3)
	v_cmp_gt_u32_e32 vcc_lo, 9, v1
	v_lshlrev_b32_e32 v73, 1, v2
	s_delay_alu instid0(VALU_DEP_3) | instskip(NEXT) | instid1(SALU_CYCLE_1)
	s_and_b32 s7, s2, vcc_lo
	s_and_saveexec_b32 s6, s7
	s_cbranch_execz .LBB1454_10
; %bb.9:
	s_load_b64 s[8:9], s[0:1], 0x0
	v_add_lshl_u32 v2, v1, s31, 6
	s_waitcnt lgkmcnt(0)
	s_mul_hi_i32 s11, s3, s16
	s_mul_i32 s10, s3, s16
	v_lshlrev_b32_e32 v6, 10, v65
	s_lshl_b64 s[10:11], s[10:11], 1
	v_ashrrev_i32_e32 v3, 31, v2
	v_lshlrev_b32_e32 v1, 6, v1
	v_lshlrev_b32_e32 v7, 10, v75
	v_and_b32_e32 v6, 0x3800, v6
	s_delay_alu instid0(VALU_DEP_4) | instskip(NEXT) | instid1(VALU_DEP_2)
	v_lshlrev_b64 v[2:3], 1, v[2:3]
	v_or3_b32 v1, v6, v7, v1
	s_add_u32 s3, s8, s10
	s_addc_u32 s7, s9, s11
	s_delay_alu instid0(VALU_DEP_2) | instskip(NEXT) | instid1(VALU_DEP_3)
	v_add_co_u32 v2, vcc_lo, s3, v2
	v_add_co_ci_u32_e32 v3, vcc_lo, s7, v3, vcc_lo
	s_delay_alu instid0(VALU_DEP_2) | instskip(NEXT) | instid1(VALU_DEP_2)
	v_add_co_u32 v2, vcc_lo, v2, v73
	v_add_co_ci_u32_e32 v3, vcc_lo, 0, v3, vcc_lo
	global_load_b128 v[2:5], v[2:3], off
	s_waitcnt vmcnt(0)
	ds_store_b128 v1, v[2:5]
.LBB1454_10:
	s_or_b32 exec_lo, exec_lo, s6
	v_and_b32_e32 v1, 0xef, v0
	s_waitcnt lgkmcnt(0)
	s_add_i32 s3, s24, 31
	s_clause 0x1
	s_load_b32 s6, s[0:1], 0x38
	s_load_b32 s19, s[0:1], 0x1c
	s_ashr_i32 s7, s3, 31
	v_add_nc_u32_e32 v1, s12, v1
	s_lshr_b32 s7, s7, 27
	s_waitcnt lgkmcnt(0)
	s_add_i32 s3, s3, s7
	s_barrier
	v_ashrrev_i32_e32 v2, 31, v1
	v_or_b32_e32 v3, 16, v1
	s_ashr_i32 s3, s3, 5
	v_cmp_gt_i32_e32 vcc_lo, s24, v1
	s_add_i32 s3, s3, -1
	v_lshrrev_b32_e32 v2, 27, v2
	buffer_gl0_inv
	s_mul_i32 s27, s15, s18
	v_add_nc_u32_e32 v4, v1, v2
	s_mul_i32 s6, s34, s6
	s_delay_alu instid0(SALU_CYCLE_1) | instskip(NEXT) | instid1(VALU_DEP_1)
	s_ashr_i32 s7, s6, 31
	v_ashrrev_i32_e32 v4, 5, v4
	v_add_nc_u32_e32 v2, v3, v2
	s_lshl_b64 s[6:7], s[6:7], 2
	s_delay_alu instid0(SALU_CYCLE_1) | instskip(NEXT) | instid1(VALU_DEP_2)
	s_add_u32 s26, s4, s6
	v_cndmask_b32_e32 v1, s3, v4, vcc_lo
	s_delay_alu instid0(VALU_DEP_2)
	v_ashrrev_i32_e32 v2, 5, v2
	v_cmp_gt_i32_e32 vcc_lo, s24, v3
	s_addc_u32 s25, s5, s7
	s_ashr_i32 s28, s27, 31
	s_add_u32 s4, s20, s27
	s_addc_u32 s5, s21, s28
	v_cndmask_b32_e32 v3, s3, v2, vcc_lo
	v_ashrrev_i32_e32 v2, 31, v1
	s_lshl_b32 s6, s14, 3
	s_delay_alu instid0(SALU_CYCLE_1) | instskip(NEXT) | instid1(VALU_DEP_2)
	s_ashr_i32 s7, s6, 31
	v_ashrrev_i32_e32 v4, 31, v3
	s_delay_alu instid0(VALU_DEP_2) | instskip(SKIP_1) | instid1(SALU_CYCLE_1)
	v_lshlrev_b64 v[1:2], 2, v[1:2]
	s_lshl_b64 s[6:7], s[6:7], 2
	s_add_u32 s6, s26, s6
	s_delay_alu instid0(VALU_DEP_2) | instskip(SKIP_1) | instid1(VALU_DEP_2)
	v_lshlrev_b64 v[3:4], 2, v[3:4]
	s_addc_u32 s7, s25, s7
	v_add_co_u32 v1, vcc_lo, s26, v1
	v_add_co_ci_u32_e32 v2, vcc_lo, s25, v2, vcc_lo
	s_delay_alu instid0(VALU_DEP_3) | instskip(NEXT) | instid1(VALU_DEP_4)
	v_add_co_u32 v3, vcc_lo, s26, v3
	v_add_co_ci_u32_e32 v4, vcc_lo, s25, v4, vcc_lo
	s_clause 0x1
	global_load_b32 v5, v[1:2], off
	global_load_b32 v6, v[3:4], off
	s_or_b32 s8, s12, 32
	s_delay_alu instid0(SALU_CYCLE_1) | instskip(SKIP_2) | instid1(SALU_CYCLE_1)
	s_ashr_i32 s9, s8, 5
	s_cmp_lt_i32 s8, s24
	s_cselect_b32 s8, s9, s3
	s_ashr_i32 s9, s8, 31
	s_delay_alu instid0(SALU_CYCLE_1) | instskip(NEXT) | instid1(SALU_CYCLE_1)
	s_lshl_b64 s[8:9], s[8:9], 2
	s_add_u32 s8, s26, s8
	s_addc_u32 s9, s25, s9
	s_or_b32 s10, s12, 64
	s_delay_alu instid0(SALU_CYCLE_1) | instskip(SKIP_2) | instid1(SALU_CYCLE_1)
	s_ashr_i32 s11, s10, 5
	s_cmp_lt_i32 s10, s24
	s_cselect_b32 s10, s11, s3
	s_ashr_i32 s11, s10, 31
	s_delay_alu instid0(SALU_CYCLE_1) | instskip(NEXT) | instid1(SALU_CYCLE_1)
	s_lshl_b64 s[10:11], s[10:11], 2
	s_add_u32 s10, s26, s10
	s_addc_u32 s11, s25, s11
	;; [unrolled: 10-line block ×5, first 2 shown]
	s_clause 0x5
	s_load_b32 s21, s[6:7], 0x0
	s_load_b32 s13, s[8:9], 0x0
	;; [unrolled: 1-line block ×6, first 2 shown]
	s_or_b32 s8, s12, 0xc0
	s_delay_alu instid0(SALU_CYCLE_1) | instskip(SKIP_2) | instid1(SALU_CYCLE_1)
	s_ashr_i32 s9, s8, 5
	s_cmp_lt_i32 s8, s24
	s_cselect_b32 s36, s9, s3
	s_ashr_i32 s37, s36, 31
	s_delay_alu instid0(SALU_CYCLE_1) | instskip(NEXT) | instid1(SALU_CYCLE_1)
	s_lshl_b64 s[36:37], s[36:37], 2
	s_add_u32 s36, s26, s36
	s_addc_u32 s37, s25, s37
	s_or_b32 s29, s12, 0xe0
	s_delay_alu instid0(SALU_CYCLE_1)
	s_ashr_i32 s30, s29, 5
	s_cmp_lt_i32 s29, s24
	s_waitcnt vmcnt(1)
	v_mad_i64_i32 v[1:2], null, v5, s17, s[4:5]
	s_waitcnt vmcnt(0)
	v_mad_i64_i32 v[3:4], null, v6, s17, s[4:5]
	s_mov_b32 s4, 0
	s_delay_alu instid0(SALU_CYCLE_1)
	s_mov_b32 s5, s4
	s_mov_b32 s6, s4
	;; [unrolled: 1-line block ×7, first 2 shown]
	v_lshlrev_b32_e32 v5, 4, v65
	v_dual_mov_b32 v107, s11 :: v_dual_mov_b32 v102, s6
	v_mov_b32_e32 v100, s4
	v_mov_b32_e32 v106, s10
	s_delay_alu instid0(VALU_DEP_4)
	v_add_co_u32 v1, vcc_lo, v1, v5
	v_add_co_ci_u32_e32 v2, vcc_lo, 0, v2, vcc_lo
	v_add_co_u32 v3, vcc_lo, v3, v5
	v_add_co_ci_u32_e32 v4, vcc_lo, 0, v4, vcc_lo
	s_clause 0x7
	global_load_b128 v[49:52], v[1:2], off
	global_load_b128 v[53:56], v[1:2], off offset:512
	global_load_b128 v[76:79], v[3:4], off offset:256
	;; [unrolled: 1-line block ×7, first 2 shown]
	v_add_nc_u32_e32 v1, -9, v65
	v_cmp_gt_u32_e32 vcc_lo, 9, v65
	v_dual_mov_b32 v104, s8 :: v_dual_mov_b32 v103, s7
	v_dual_mov_b32 v101, s5 :: v_dual_lshlrev_b32 v2, 5, v65
	s_delay_alu instid0(VALU_DEP_4)
	v_cndmask_b32_e32 v1, v1, v65, vcc_lo
	v_mov_b32_e32 v105, s9
	s_cselect_b32 s4, s30, s3
	s_load_b32 s3, s[36:37], 0x0
	s_ashr_i32 s5, s4, 31
	v_lshlrev_b32_e32 v70, 6, v1
	s_lshl_b64 s[4:5], s[4:5], 2
	v_lshl_or_b32 v2, v66, 9, v2
	s_add_u32 s4, s26, s4
	s_addc_u32 s5, s25, s5
	ds_load_b128 v[108:111], v70
	ds_load_b128 v[112:115], v70 offset:1024
	s_load_b32 s4, s[4:5], 0x0
	s_add_u32 s6, s22, s27
	s_addc_u32 s7, s23, s28
	v_add_co_u32 v9, s6, s6, v2
	s_delay_alu instid0(VALU_DEP_1) | instskip(SKIP_1) | instid1(VALU_DEP_1)
	v_add_co_ci_u32_e64 v10, null, s7, 0, s6
	s_waitcnt lgkmcnt(0)
	v_mad_i64_i32 v[1:2], null, s21, s17, v[9:10]
	v_mad_i64_i32 v[3:4], null, s13, s17, v[9:10]
	;; [unrolled: 1-line block ×7, first 2 shown]
	s_clause 0x9
	global_load_b128 v[57:60], v[1:2], off
	global_load_b128 v[61:64], v[1:2], off offset:16
	global_load_b128 v[41:44], v[3:4], off
	global_load_b128 v[45:48], v[3:4], off offset:16
	global_load_b128 v[33:36], v[5:6], off
	global_load_b128 v[37:40], v[5:6], off offset:16
	global_load_b128 v[25:28], v[7:8], off
	global_load_b128 v[29:32], v[7:8], off offset:16
	global_load_b128 v[1:4], v[11:12], off
	global_load_b128 v[5:8], v[11:12], off offset:16
	v_mad_i64_i32 v[68:69], null, s4, s17, v[9:10]
	s_clause 0x3
	global_load_b128 v[9:12], v[13:14], off
	global_load_b128 v[13:16], v[13:14], off offset:16
	global_load_b128 v[17:20], v[21:22], off
	global_load_b128 v[21:24], v[21:22], off offset:16
	s_waitcnt vmcnt(20)
	v_wmma_f32_16x16x16_bf16 v[116:123], v[49:56], v[108:115], v[100:107]
	s_clause 0x1
	global_load_b128 v[49:52], v[68:69], off
	global_load_b128 v[53:56], v[68:69], off offset:16
	v_and_b32_e32 v68, 0xe0, v0
	v_mbcnt_lo_u32_b32 v69, -1, 0
	s_delay_alu instid0(VALU_DEP_2)
	v_add_nc_u32_e32 v68, s12, v68
	s_waitcnt vmcnt(20)
	v_wmma_f32_16x16x16_bf16 v[100:107], v[76:83], v[108:115], v[100:107]
	ds_load_b128 v[76:79], v70 offset:2048
	ds_load_b128 v[80:83], v70 offset:3072
	v_xor_b32_e32 v70, 16, v69
	s_waitcnt vmcnt(0) lgkmcnt(0)
	v_or_b32_e32 v68, v68, v74
	s_barrier
	buffer_gl0_inv
	v_cmp_gt_i32_e32 vcc_lo, 32, v70
	v_or_b32_e32 v71, 4, v68
	v_or_b32_e32 v72, 6, v68
	v_cmp_gt_i32_e64 s3, s24, v68
	v_or_b32_e32 v108, 8, v68
	v_or_b32_e32 v109, 10, v68
	v_cmp_gt_i32_e64 s4, s24, v71
	v_cmp_gt_i32_e64 s5, s24, v72
	s_delay_alu instid0(VALU_DEP_4) | instskip(NEXT) | instid1(VALU_DEP_4)
	v_cmp_gt_i32_e64 s6, s24, v108
	v_cmp_gt_i32_e64 s7, s24, v109
	v_wmma_f32_16x16x16_bf16 v[116:123], v[84:91], v[76:83], v[116:123]
	v_cndmask_b32_e32 v69, v69, v70, vcc_lo
	v_or_b32_e32 v70, 2, v68
	v_wmma_f32_16x16x16_bf16 v[100:107], v[92:99], v[76:83], v[100:107]
	v_or_b32_e32 v89, 22, v68
	v_dual_mul_f32 v80, s19, v121 :: v_dual_mul_f32 v81, s19, v120
	v_dual_mul_f32 v92, s19, v117 :: v_dual_mul_f32 v93, s19, v116
	s_delay_alu instid0(VALU_DEP_4)
	v_mul_f32_e32 v96, s19, v105
	v_cmp_gt_i32_e32 vcc_lo, s24, v70
	v_dual_mul_f32 v79, s19, v122 :: v_dual_mul_f32 v82, s19, v119
	v_dual_mul_f32 v83, s19, v118 :: v_dual_mul_f32 v94, s19, v107
	v_cndmask_b32_e64 v93, 0xff7fffff, v93, s3
	v_cndmask_b32_e32 v92, 0xff7fffff, v92, vcc_lo
	v_or_b32_e32 v84, 12, v68
	v_or_b32_e32 v85, 14, v68
	v_cndmask_b32_e64 v71, 0xff7fffff, v83, s4
	v_cndmask_b32_e64 v72, 0xff7fffff, v82, s5
	v_cmp_gt_i32_e64 s13, s24, v89
	v_lshlrev_b32_e32 v89, 2, v69
	v_max3_f32 v82, v93, 0xff7fffff, v92
	v_or_b32_e32 v86, 16, v68
	v_or_b32_e32 v87, 18, v68
	v_mul_f32_e32 v78, s19, v123
	v_cndmask_b32_e64 v81, 0xff7fffff, v81, s6
	v_cndmask_b32_e64 v80, 0xff7fffff, v80, s7
	v_max3_f32 v71, v82, v71, v72
	v_cmp_gt_i32_e64 s8, s24, v84
	v_cmp_gt_i32_e64 s9, s24, v85
	v_or_b32_e32 v88, 20, v68
	v_or_b32_e32 v90, 24, v68
	;; [unrolled: 1-line block ×5, first 2 shown]
	v_dual_mul_f32 v97, s19, v104 :: v_dual_mul_f32 v70, s19, v101
	v_dual_mul_f32 v99, s19, v102 :: v_dual_mul_f32 v68, s19, v100
	v_cndmask_b32_e64 v72, 0xff7fffff, v79, s8
	v_cndmask_b32_e64 v78, 0xff7fffff, v78, s9
	v_max3_f32 v71, v71, v81, v80
	v_cmp_gt_i32_e64 s10, s24, v86
	v_cmp_gt_i32_e64 s11, s24, v87
	v_dual_mul_f32 v95, s19, v106 :: v_dual_mul_f32 v98, s19, v103
	s_delay_alu instid0(VALU_DEP_4) | instskip(NEXT) | instid1(VALU_DEP_4)
	v_max3_f32 v71, v71, v72, v78
	v_cndmask_b32_e64 v68, 0xff7fffff, v68, s10
	s_delay_alu instid0(VALU_DEP_4)
	v_cndmask_b32_e64 v70, 0xff7fffff, v70, s11
	v_cmp_gt_i32_e64 s12, s24, v88
	v_cndmask_b32_e64 v78, 0xff7fffff, v98, s13
	v_cmp_gt_i32_e64 s15, s24, v90
	v_cmp_gt_i32_e64 s16, s24, v91
	v_max3_f32 v68, v71, v68, v70
	v_cndmask_b32_e64 v72, 0xff7fffff, v99, s12
	v_cmp_gt_i32_e64 s17, s24, v76
	v_cndmask_b32_e64 v70, 0xff7fffff, v97, s15
	v_cndmask_b32_e64 v71, 0xff7fffff, v96, s16
	v_cmp_gt_i32_e64 s18, s24, v77
	v_max3_f32 v68, v68, v72, v78
	v_cndmask_b32_e64 v72, 0xff7fffff, v95, s17
	s_delay_alu instid0(VALU_DEP_3) | instskip(NEXT) | instid1(VALU_DEP_3)
	v_cndmask_b32_e64 v76, 0xff7fffff, v94, s18
	v_max3_f32 v68, v68, v70, v71
	s_delay_alu instid0(VALU_DEP_1) | instskip(SKIP_3) | instid1(VALU_DEP_1)
	v_max3_f32 v68, v68, v72, v76
	ds_bpermute_b32 v69, v89, v68
	s_waitcnt lgkmcnt(0)
	v_max_f32_e32 v69, v69, v69
	v_max_f32_e32 v68, v68, v69
	s_delay_alu instid0(VALU_DEP_1) | instskip(NEXT) | instid1(VALU_DEP_1)
	v_fma_f32 v71, s19, v118, -v68
	v_mul_f32_e32 v71, 0x3fb8aa3b, v71
	v_fma_f32 v70, s19, v117, -v68
	v_fma_f32 v69, s19, v116, -v68
	;; [unrolled: 1-line block ×5, first 2 shown]
	s_delay_alu instid0(VALU_DEP_4) | instskip(SKIP_1) | instid1(VALU_DEP_3)
	v_dual_mul_f32 v70, 0x3fb8aa3b, v70 :: v_dual_mul_f32 v69, 0x3fb8aa3b, v69
	v_exp_f32_e32 v71, v71
	v_mul_f32_e32 v72, 0x3fb8aa3b, v72
	v_fma_f32 v81, s19, v105, -v68
	s_delay_alu instid0(VALU_DEP_3)
	v_exp_f32_e32 v70, v70
	v_mul_f32_e32 v77, 0x3fb8aa3b, v76
	v_exp_f32_e32 v69, v69
	v_exp_f32_e32 v72, v72
	v_mul_f32_e32 v81, 0x3fb8aa3b, v81
	v_cndmask_b32_e64 v83, 0, v71, s4
	v_fma_f32 v71, s19, v123, -v68
	s_delay_alu instid0(VALU_DEP_3) | instskip(SKIP_4) | instid1(TRANS32_DEP_3)
	v_exp_f32_e32 v81, v81
	v_cndmask_b32_e32 v76, 0, v70, vcc_lo
	v_exp_f32_e32 v77, v77
	v_cndmask_b32_e64 v80, 0, v69, s3
	v_fma_f32 v69, s19, v121, -v68
	v_cndmask_b32_e64 v85, 0, v72, s5
	v_mul_f32_e32 v71, 0x3fb8aa3b, v71
	v_fma_f32 v72, s19, v100, -v68
	s_delay_alu instid0(VALU_DEP_4) | instskip(SKIP_1) | instid1(VALU_DEP_4)
	v_dual_add_f32 v70, 0, v80 :: v_dual_mul_f32 v69, 0x3fb8aa3b, v69
	v_cmp_gt_u32_e64 s3, 16, v67
	v_exp_f32_e32 v71, v71
	s_delay_alu instid0(TRANS32_DEP_2) | instskip(SKIP_4) | instid1(VALU_DEP_3)
	v_cndmask_b32_e64 v86, 0, v77, s6
	v_fma_f32 v77, s19, v101, -v68
	v_mul_f32_e32 v78, 0x3fb8aa3b, v78
	v_add_f32_e32 v70, v70, v76
	v_exp_f32_e32 v69, v69
	v_mul_f32_e32 v77, 0x3fb8aa3b, v77
	s_delay_alu instid0(VALU_DEP_3) | instskip(NEXT) | instid1(TRANS32_DEP_3)
	v_exp_f32_e32 v78, v78
	v_cndmask_b32_e64 v88, 0, v71, s9
	v_fma_f32 v71, s19, v104, -v68
	s_delay_alu instid0(VALU_DEP_3) | instskip(NEXT) | instid1(TRANS32_DEP_3)
	v_exp_f32_e32 v77, v77
	v_cndmask_b32_e64 v87, 0, v69, s7
	s_delay_alu instid0(VALU_DEP_2)
	v_mul_f32_e32 v71, 0x3fb8aa3b, v71
	s_waitcnt_depctr 0xfff
	v_cndmask_b32_e64 v84, 0, v78, s8
	v_add_f32_e32 v70, v70, v83
	v_fma_f32 v78, s19, v103, -v68
	v_exp_f32_e32 v82, v71
	s_delay_alu instid0(VALU_DEP_2) | instskip(SKIP_1) | instid1(VALU_DEP_3)
	v_add_f32_e32 v70, v70, v85
	v_mul_f32_e32 v72, 0x3fb8aa3b, v72
	v_mul_f32_e32 v78, 0x3fb8aa3b, v78
	s_delay_alu instid0(VALU_DEP_3) | instskip(SKIP_1) | instid1(VALU_DEP_4)
	v_add_f32_e32 v69, v70, v86
	v_fma_f32 v70, s19, v102, -v68
	v_exp_f32_e32 v72, v72
	s_delay_alu instid0(VALU_DEP_3) | instskip(NEXT) | instid1(VALU_DEP_1)
	v_exp_f32_e32 v78, v78
	v_dual_add_f32 v69, v69, v87 :: v_dual_mul_f32 v70, 0x3fb8aa3b, v70
	s_delay_alu instid0(VALU_DEP_1) | instskip(NEXT) | instid1(VALU_DEP_2)
	v_add_f32_e32 v69, v69, v84
	v_exp_f32_e32 v79, v70
	s_delay_alu instid0(TRANS32_DEP_3) | instskip(NEXT) | instid1(VALU_DEP_2)
	v_cndmask_b32_e64 v70, 0, v72, s10
	v_add_f32_e32 v72, v69, v88
	v_cndmask_b32_e64 v69, 0, v77, s11
	v_fma_f32 v77, s19, v106, -v68
	s_waitcnt_depctr 0xfff
	v_cndmask_b32_e64 v71, 0, v79, s12
	v_dual_mul_f32 v77, 0x3fb8aa3b, v77 :: v_dual_add_f32 v72, v72, v70
	s_delay_alu instid0(VALU_DEP_1) | instskip(NEXT) | instid1(VALU_DEP_1)
	v_exp_f32_e32 v90, v77
	v_add_f32_e32 v79, v72, v69
	v_cndmask_b32_e64 v72, 0, v78, s13
	v_cndmask_b32_e64 v77, 0, v82, s15
	s_delay_alu instid0(VALU_DEP_3) | instskip(SKIP_1) | instid1(VALU_DEP_1)
	v_add_f32_e32 v78, v79, v71
	v_fma_f32 v79, s19, v107, -v68
	v_dual_add_f32 v82, v78, v72 :: v_dual_mul_f32 v79, 0x3fb8aa3b, v79
	v_cndmask_b32_e64 v78, 0, v81, s16
	s_delay_alu instid0(VALU_DEP_2) | instskip(NEXT) | instid1(VALU_DEP_3)
	v_add_f32_e32 v81, v82, v77
	v_exp_f32_e32 v82, v79
	v_cndmask_b32_e64 v79, 0, v90, s17
	s_delay_alu instid0(VALU_DEP_2) | instskip(NEXT) | instid1(VALU_DEP_1)
	v_add_f32_e32 v81, v81, v78
	v_add_f32_e32 v90, v81, v79
	s_waitcnt_depctr 0xfff
	v_cndmask_b32_e64 v81, 0, v82, s18
	s_delay_alu instid0(VALU_DEP_1)
	v_add_f32_e32 v82, v90, v81
	ds_bpermute_b32 v89, v89, v82
	s_and_saveexec_b32 s4, s3
	s_cbranch_execz .LBB1454_12
; %bb.11:
	v_mul_u32_u24_e32 v67, 0x44, v66
	s_delay_alu instid0(VALU_DEP_1) | instskip(SKIP_1) | instid1(VALU_DEP_1)
	v_lshl_add_u32 v67, v65, 2, v67
	s_waitcnt lgkmcnt(0)
	v_dual_add_f32 v82, v82, v89 :: v_dual_add_nc_u32 v67, 0x4000, v67
	ds_store_2addr_b32 v67, v68, v82 offset1:136
.LBB1454_12:
	s_or_b32 exec_lo, exec_lo, s4
	v_lshlrev_b32_e32 v67, 2, v65
	s_waitcnt lgkmcnt(0)
	s_barrier
	buffer_gl0_inv
	v_cmp_eq_u32_e32 vcc_lo, 1, v66
	v_add_nc_u32_e32 v82, 0x4000, v67
	v_cmp_eq_u32_e64 s4, 2, v66
	v_cmp_eq_u32_e64 s6, 7, v66
	ds_load_2addr_b32 v[89:90], v82 offset1:17
	ds_load_2addr_b32 v[91:92], v82 offset0:34 offset1:51
	ds_load_2addr_b32 v[93:94], v82 offset0:68 offset1:85
	;; [unrolled: 1-line block ×4, first 2 shown]
	s_waitcnt lgkmcnt(4)
	v_max3_f32 v67, v89, 0xff7fffff, v90
	s_waitcnt lgkmcnt(3)
	s_delay_alu instid0(VALU_DEP_1) | instskip(SKIP_1) | instid1(VALU_DEP_1)
	v_max3_f32 v67, v67, v91, v92
	s_waitcnt lgkmcnt(2)
	v_max3_f32 v67, v67, v93, v94
	s_waitcnt lgkmcnt(1)
	s_delay_alu instid0(VALU_DEP_1) | instskip(NEXT) | instid1(VALU_DEP_1)
	v_max3_f32 v67, v67, v95, v96
	v_sub_f32_e32 v93, v93, v67
	s_delay_alu instid0(VALU_DEP_1) | instskip(NEXT) | instid1(VALU_DEP_1)
	v_dual_sub_f32 v68, v89, v67 :: v_dual_mul_f32 v103, 0x3fb8aa3b, v93
	v_mul_f32_e32 v68, 0x3fb8aa3b, v68
	s_delay_alu instid0(VALU_DEP_1)
	v_exp_f32_e32 v100, v68
	v_sub_f32_e32 v68, v92, v67
	v_sub_f32_e32 v99, v90, v67
	ds_load_2addr_b32 v[89:90], v82 offset0:170 offset1:187
	v_dual_mul_f32 v102, 0x3fb8aa3b, v68 :: v_dual_mul_f32 v99, 0x3fb8aa3b, v99
	s_waitcnt lgkmcnt(1)
	v_fma_f32 v68, v100, v97, 0
	s_delay_alu instid0(VALU_DEP_2) | instskip(NEXT) | instid1(VALU_DEP_2)
	v_exp_f32_e32 v102, v102
	v_exp_f32_e32 v99, v99
	s_waitcnt_depctr 0xfff
	v_fmac_f32_e32 v68, v99, v98
	v_sub_f32_e32 v91, v91, v67
	s_delay_alu instid0(VALU_DEP_1)
	v_mul_f32_e32 v101, 0x3fb8aa3b, v91
	ds_load_2addr_b32 v[91:92], v82 offset0:204 offset1:221
	v_sub_f32_e32 v97, v94, v67
	ds_load_2addr_b32 v[93:94], v82 offset0:238 offset1:255
	s_waitcnt lgkmcnt(0)
	v_exp_f32_e32 v101, v101
	s_barrier
	buffer_gl0_inv
	v_dual_fmac_f32 v68, v101, v89 :: v_dual_sub_f32 v89, v96, v67
	v_dual_sub_f32 v82, v95, v67 :: v_dual_mul_f32 v95, 0x3fb8aa3b, v97
	v_exp_f32_e32 v97, v103
	s_delay_alu instid0(VALU_DEP_2) | instskip(NEXT) | instid1(VALU_DEP_2)
	v_dual_fmac_f32 v68, v102, v90 :: v_dual_mul_f32 v89, 0x3fb8aa3b, v89
	v_mul_f32_e32 v82, 0x3fb8aa3b, v82
	s_delay_alu instid0(VALU_DEP_3) | instskip(NEXT) | instid1(VALU_DEP_2)
	v_exp_f32_e32 v95, v95
	v_exp_f32_e32 v89, v89
	s_delay_alu instid0(VALU_DEP_1)
	v_exp_f32_e32 v82, v82
	v_fmac_f32_e32 v68, v97, v91
	s_delay_alu instid0(TRANS32_DEP_3) | instid1(VALU_DEP_1)
	v_fmac_f32_e32 v68, v95, v92
	s_waitcnt_depctr 0xfff
	v_fmac_f32_e32 v68, v82, v93
	s_delay_alu instid0(VALU_DEP_1) | instskip(NEXT) | instid1(VALU_DEP_1)
	v_fmac_f32_e32 v68, v89, v94
	v_add_f32_e32 v90, 0x358637bd, v68
	s_delay_alu instid0(VALU_DEP_1) | instskip(NEXT) | instid1(VALU_DEP_1)
	v_div_scale_f32 v91, null, v90, v90, 1.0
	v_rcp_f32_e32 v92, v91
	s_waitcnt_depctr 0xfff
	v_fma_f32 v93, -v91, v92, 1.0
	s_delay_alu instid0(VALU_DEP_1) | instskip(SKIP_1) | instid1(VALU_DEP_2)
	v_dual_fmac_f32 v92, v93, v92 :: v_dual_cndmask_b32 v93, v100, v99
	v_cmp_eq_u32_e32 vcc_lo, 3, v66
	v_cndmask_b32_e64 v93, v93, v101, s4
	v_cmp_eq_u32_e64 s4, 4, v66
	s_delay_alu instid0(VALU_DEP_2) | instskip(SKIP_1) | instid1(VALU_DEP_2)
	v_cndmask_b32_e32 v93, v93, v102, vcc_lo
	v_cmp_eq_u32_e32 vcc_lo, 5, v66
	v_cndmask_b32_e64 v93, v93, v97, s4
	v_cmp_eq_u32_e64 s4, 6, v66
	s_delay_alu instid0(VALU_DEP_2) | instskip(SKIP_1) | instid1(VALU_DEP_1)
	v_cndmask_b32_e32 v93, v93, v95, vcc_lo
	v_div_scale_f32 v94, s5, 1.0, v90, 1.0
	s_mov_b32 vcc_lo, s5
	s_delay_alu instid0(VALU_DEP_2) | instskip(NEXT) | instid1(VALU_DEP_2)
	v_cndmask_b32_e64 v82, v93, v82, s4
	v_mul_f32_e32 v96, v94, v92
	s_mov_b32 s4, exec_lo
	s_delay_alu instid0(VALU_DEP_2) | instskip(NEXT) | instid1(VALU_DEP_2)
	v_cndmask_b32_e64 v82, v82, v89, s6
	v_fma_f32 v98, -v91, v96, v94
	s_delay_alu instid0(VALU_DEP_1) | instskip(NEXT) | instid1(VALU_DEP_1)
	v_fmac_f32_e32 v96, v98, v92
	v_fma_f32 v91, -v91, v96, v94
	s_delay_alu instid0(VALU_DEP_1) | instskip(NEXT) | instid1(VALU_DEP_1)
	v_div_fmas_f32 v91, v91, v92, v96
	v_div_fixup_f32 v90, v91, v90, 1.0
	s_delay_alu instid0(VALU_DEP_1) | instskip(NEXT) | instid1(VALU_DEP_1)
	v_mul_f32_e32 v82, v82, v90
	v_mul_f32_e32 v87, v82, v87
	;; [unrolled: 1-line block ×7, first 2 shown]
	v_dual_mul_f32 v86, v82, v83 :: v_dual_and_b32 v91, 0x7f800000, v90
	v_mul_f32_e32 v85, v82, v76
                                        ; implicit-def: $vgpr76
	s_delay_alu instid0(VALU_DEP_2)
	v_cmpx_ne_u32_e32 0x7f800000, v91
	s_xor_b32 s4, exec_lo, s4
; %bb.13:
	v_bfe_u32 v76, v90, 16, 1
	s_delay_alu instid0(VALU_DEP_1)
	v_add3_u32 v76, v90, v76, 0x7fff
                                        ; implicit-def: $vgpr90
; %bb.14:
	s_and_not1_saveexec_b32 s4, s4
; %bb.15:
	v_and_b32_e32 v76, 0xffff, v90
	v_or_b32_e32 v83, 0x10000, v90
	s_delay_alu instid0(VALU_DEP_2) | instskip(NEXT) | instid1(VALU_DEP_2)
	v_cmp_eq_u32_e32 vcc_lo, 0, v76
	v_cndmask_b32_e32 v76, v83, v90, vcc_lo
; %bb.16:
	s_or_b32 exec_lo, exec_lo, s4
	v_and_b32_e32 v83, 0x7f800000, v85
	s_delay_alu instid0(VALU_DEP_1) | instskip(SKIP_1) | instid1(SALU_CYCLE_1)
	v_cmp_ne_u32_e32 vcc_lo, 0x7f800000, v83
                                        ; implicit-def: $vgpr83
	s_and_saveexec_b32 s4, vcc_lo
	s_xor_b32 s4, exec_lo, s4
; %bb.17:
	v_bfe_u32 v83, v85, 16, 1
	s_delay_alu instid0(VALU_DEP_1)
	v_add3_u32 v83, v85, v83, 0x7fff
                                        ; implicit-def: $vgpr85
; %bb.18:
	s_and_not1_saveexec_b32 s4, s4
; %bb.19:
	v_and_b32_e32 v83, 0xffff, v85
	v_or_b32_e32 v90, 0x10000, v85
	s_delay_alu instid0(VALU_DEP_2) | instskip(NEXT) | instid1(VALU_DEP_2)
	v_cmp_eq_u32_e32 vcc_lo, 0, v83
	v_cndmask_b32_e32 v83, v90, v85, vcc_lo
; %bb.20:
	s_or_b32 exec_lo, exec_lo, s4
	v_and_b32_e32 v85, 0x7f800000, v86
	s_delay_alu instid0(VALU_DEP_1) | instskip(SKIP_1) | instid1(SALU_CYCLE_1)
	v_cmp_ne_u32_e32 vcc_lo, 0x7f800000, v85
                                        ; implicit-def: $vgpr85
	s_and_saveexec_b32 s4, vcc_lo
	s_xor_b32 s4, exec_lo, s4
; %bb.21:
	v_bfe_u32 v85, v86, 16, 1
	s_delay_alu instid0(VALU_DEP_1)
	v_add3_u32 v85, v86, v85, 0x7fff
                                        ; implicit-def: $vgpr86
; %bb.22:
	s_and_not1_saveexec_b32 s4, s4
; %bb.23:
	v_and_b32_e32 v85, 0xffff, v86
	v_or_b32_e32 v90, 0x10000, v86
	s_delay_alu instid0(VALU_DEP_2) | instskip(NEXT) | instid1(VALU_DEP_2)
	v_cmp_eq_u32_e32 vcc_lo, 0, v85
	v_cndmask_b32_e32 v85, v90, v86, vcc_lo
; %bb.24:
	s_or_b32 exec_lo, exec_lo, s4
	v_and_b32_e32 v86, 0x7f800000, v89
	s_delay_alu instid0(VALU_DEP_1) | instskip(SKIP_1) | instid1(SALU_CYCLE_1)
	v_cmp_ne_u32_e32 vcc_lo, 0x7f800000, v86
                                        ; implicit-def: $vgpr86
	s_and_saveexec_b32 s4, vcc_lo
	s_xor_b32 s4, exec_lo, s4
; %bb.25:
	v_bfe_u32 v86, v89, 16, 1
	s_delay_alu instid0(VALU_DEP_1)
	v_add3_u32 v86, v89, v86, 0x7fff
                                        ; implicit-def: $vgpr89
; %bb.26:
	s_and_not1_saveexec_b32 s4, s4
; %bb.27:
	v_and_b32_e32 v86, 0xffff, v89
	v_or_b32_e32 v90, 0x10000, v89
	s_delay_alu instid0(VALU_DEP_2) | instskip(NEXT) | instid1(VALU_DEP_2)
	v_cmp_eq_u32_e32 vcc_lo, 0, v86
	v_cndmask_b32_e32 v86, v90, v89, vcc_lo
; %bb.28:
	s_or_b32 exec_lo, exec_lo, s4
	v_and_b32_e32 v89, 0x7f800000, v88
	s_delay_alu instid0(VALU_DEP_1) | instskip(SKIP_1) | instid1(SALU_CYCLE_1)
	v_cmp_ne_u32_e32 vcc_lo, 0x7f800000, v89
                                        ; implicit-def: $vgpr89
	s_and_saveexec_b32 s4, vcc_lo
	s_xor_b32 s4, exec_lo, s4
; %bb.29:
	v_bfe_u32 v89, v88, 16, 1
	s_delay_alu instid0(VALU_DEP_1)
	v_add3_u32 v89, v88, v89, 0x7fff
                                        ; implicit-def: $vgpr88
; %bb.30:
	s_and_not1_saveexec_b32 s4, s4
; %bb.31:
	v_and_b32_e32 v89, 0xffff, v88
	v_or_b32_e32 v90, 0x10000, v88
	s_delay_alu instid0(VALU_DEP_2) | instskip(NEXT) | instid1(VALU_DEP_2)
	v_cmp_eq_u32_e32 vcc_lo, 0, v89
	v_cndmask_b32_e32 v89, v90, v88, vcc_lo
; %bb.32:
	s_or_b32 exec_lo, exec_lo, s4
	v_and_b32_e32 v88, 0x7f800000, v87
	s_delay_alu instid0(VALU_DEP_1) | instskip(SKIP_1) | instid1(SALU_CYCLE_1)
	v_cmp_ne_u32_e32 vcc_lo, 0x7f800000, v88
                                        ; implicit-def: $vgpr88
	s_and_saveexec_b32 s4, vcc_lo
	s_xor_b32 s4, exec_lo, s4
; %bb.33:
	v_bfe_u32 v88, v87, 16, 1
	s_delay_alu instid0(VALU_DEP_1)
	v_add3_u32 v88, v87, v88, 0x7fff
                                        ; implicit-def: $vgpr87
; %bb.34:
	s_and_not1_saveexec_b32 s4, s4
; %bb.35:
	v_and_b32_e32 v88, 0xffff, v87
	v_or_b32_e32 v90, 0x10000, v87
	s_delay_alu instid0(VALU_DEP_2) | instskip(NEXT) | instid1(VALU_DEP_2)
	v_cmp_eq_u32_e32 vcc_lo, 0, v88
	v_cndmask_b32_e32 v88, v90, v87, vcc_lo
; %bb.36:
	s_or_b32 exec_lo, exec_lo, s4
	v_and_b32_e32 v87, 0x7f800000, v84
	s_delay_alu instid0(VALU_DEP_1) | instskip(SKIP_1) | instid1(SALU_CYCLE_1)
	v_cmp_ne_u32_e32 vcc_lo, 0x7f800000, v87
                                        ; implicit-def: $vgpr87
	s_and_saveexec_b32 s4, vcc_lo
	s_xor_b32 s4, exec_lo, s4
; %bb.37:
	v_bfe_u32 v87, v84, 16, 1
	s_delay_alu instid0(VALU_DEP_1)
	v_add3_u32 v87, v84, v87, 0x7fff
                                        ; implicit-def: $vgpr84
; %bb.38:
	s_and_not1_saveexec_b32 s4, s4
; %bb.39:
	v_and_b32_e32 v87, 0xffff, v84
	v_or_b32_e32 v90, 0x10000, v84
	s_delay_alu instid0(VALU_DEP_2) | instskip(NEXT) | instid1(VALU_DEP_2)
	v_cmp_eq_u32_e32 vcc_lo, 0, v87
	v_cndmask_b32_e32 v87, v90, v84, vcc_lo
; %bb.40:
	s_or_b32 exec_lo, exec_lo, s4
	v_and_b32_e32 v84, 0x7f800000, v80
	s_delay_alu instid0(VALU_DEP_1) | instskip(SKIP_1) | instid1(SALU_CYCLE_1)
	v_cmp_ne_u32_e32 vcc_lo, 0x7f800000, v84
                                        ; implicit-def: $vgpr84
	s_and_saveexec_b32 s4, vcc_lo
	s_xor_b32 s4, exec_lo, s4
; %bb.41:
	v_bfe_u32 v84, v80, 16, 1
	s_delay_alu instid0(VALU_DEP_1)
	v_add3_u32 v84, v80, v84, 0x7fff
                                        ; implicit-def: $vgpr80
; %bb.42:
	s_and_not1_saveexec_b32 s4, s4
; %bb.43:
	v_and_b32_e32 v84, 0xffff, v80
	v_or_b32_e32 v90, 0x10000, v80
	s_delay_alu instid0(VALU_DEP_2) | instskip(NEXT) | instid1(VALU_DEP_2)
	v_cmp_eq_u32_e32 vcc_lo, 0, v84
	v_cndmask_b32_e32 v84, v90, v80, vcc_lo
; %bb.44:
	s_or_b32 exec_lo, exec_lo, s4
	s_load_b64 s[36:37], s[0:1], 0x94
	v_lshlrev_b32_e32 v91, 4, v74
	s_delay_alu instid0(VALU_DEP_2)
	v_perm_b32 v90, v84, v87, 0x7060302
	v_dual_mul_f32 v79, v82, v79 :: v_dual_lshlrev_b32 v80, 6, v65
	v_dual_mul_f32 v77, v82, v77 :: v_dual_lshlrev_b32 v92, 11, v66
	v_mul_f32_e32 v84, v82, v70
	v_perm_b32 v89, v88, v89, 0x7060302
	v_perm_b32 v88, v86, v85, 0x7060302
	;; [unrolled: 1-line block ×3, first 2 shown]
	v_mul_f32_e32 v70, v82, v81
	v_or3_b32 v76, v91, v92, v80
	v_dual_mul_f32 v78, v82, v78 :: v_dual_and_b32 v85, 0x7f800000, v84
	v_mul_f32_e32 v83, v82, v72
	v_mul_f32_e32 v81, v82, v71
	;; [unrolled: 1-line block ×3, first 2 shown]
	s_mov_b32 s4, exec_lo
	ds_store_b128 v76, v[87:90]
                                        ; implicit-def: $vgpr69
	v_cmpx_ne_u32_e32 0x7f800000, v85
	s_xor_b32 s4, exec_lo, s4
; %bb.45:
	v_bfe_u32 v69, v84, 16, 1
	s_delay_alu instid0(VALU_DEP_1)
	v_add3_u32 v69, v84, v69, 0x7fff
                                        ; implicit-def: $vgpr84
; %bb.46:
	s_and_not1_saveexec_b32 s4, s4
; %bb.47:
	v_and_b32_e32 v69, 0xffff, v84
	v_or_b32_e32 v71, 0x10000, v84
	s_delay_alu instid0(VALU_DEP_2) | instskip(NEXT) | instid1(VALU_DEP_2)
	v_cmp_eq_u32_e32 vcc_lo, 0, v69
	v_cndmask_b32_e32 v69, v71, v84, vcc_lo
; %bb.48:
	s_or_b32 exec_lo, exec_lo, s4
	v_and_b32_e32 v71, 0x7f800000, v72
	s_delay_alu instid0(VALU_DEP_1) | instskip(SKIP_1) | instid1(SALU_CYCLE_1)
	v_cmp_ne_u32_e32 vcc_lo, 0x7f800000, v71
                                        ; implicit-def: $vgpr71
	s_and_saveexec_b32 s4, vcc_lo
	s_xor_b32 s4, exec_lo, s4
; %bb.49:
	v_bfe_u32 v71, v72, 16, 1
	s_delay_alu instid0(VALU_DEP_1)
	v_add3_u32 v71, v72, v71, 0x7fff
                                        ; implicit-def: $vgpr72
; %bb.50:
	s_and_not1_saveexec_b32 s4, s4
; %bb.51:
	v_and_b32_e32 v71, 0xffff, v72
	v_or_b32_e32 v82, 0x10000, v72
	s_delay_alu instid0(VALU_DEP_2) | instskip(NEXT) | instid1(VALU_DEP_2)
	v_cmp_eq_u32_e32 vcc_lo, 0, v71
	v_cndmask_b32_e32 v71, v82, v72, vcc_lo
; %bb.52:
	s_or_b32 exec_lo, exec_lo, s4
	v_and_b32_e32 v72, 0x7f800000, v81
	s_delay_alu instid0(VALU_DEP_1) | instskip(SKIP_1) | instid1(SALU_CYCLE_1)
	v_cmp_ne_u32_e32 vcc_lo, 0x7f800000, v72
                                        ; implicit-def: $vgpr72
	s_and_saveexec_b32 s4, vcc_lo
	s_xor_b32 s4, exec_lo, s4
; %bb.53:
	v_bfe_u32 v72, v81, 16, 1
	s_delay_alu instid0(VALU_DEP_1)
	v_add3_u32 v72, v81, v72, 0x7fff
                                        ; implicit-def: $vgpr81
; %bb.54:
	s_and_not1_saveexec_b32 s4, s4
; %bb.55:
	v_and_b32_e32 v72, 0xffff, v81
	v_or_b32_e32 v82, 0x10000, v81
	s_delay_alu instid0(VALU_DEP_2) | instskip(NEXT) | instid1(VALU_DEP_2)
	v_cmp_eq_u32_e32 vcc_lo, 0, v72
	v_cndmask_b32_e32 v72, v82, v81, vcc_lo
; %bb.56:
	s_or_b32 exec_lo, exec_lo, s4
	v_and_b32_e32 v81, 0x7f800000, v83
	s_delay_alu instid0(VALU_DEP_1) | instskip(SKIP_1) | instid1(SALU_CYCLE_1)
	v_cmp_ne_u32_e32 vcc_lo, 0x7f800000, v81
                                        ; implicit-def: $vgpr81
	s_and_saveexec_b32 s4, vcc_lo
	s_xor_b32 s4, exec_lo, s4
; %bb.57:
	v_bfe_u32 v81, v83, 16, 1
	s_delay_alu instid0(VALU_DEP_1)
	v_add3_u32 v81, v83, v81, 0x7fff
                                        ; implicit-def: $vgpr83
; %bb.58:
	s_and_not1_saveexec_b32 s4, s4
; %bb.59:
	v_and_b32_e32 v81, 0xffff, v83
	v_or_b32_e32 v82, 0x10000, v83
	s_delay_alu instid0(VALU_DEP_2) | instskip(NEXT) | instid1(VALU_DEP_2)
	v_cmp_eq_u32_e32 vcc_lo, 0, v81
	v_cndmask_b32_e32 v81, v82, v83, vcc_lo
; %bb.60:
	s_or_b32 exec_lo, exec_lo, s4
	v_and_b32_e32 v82, 0x7f800000, v77
	s_delay_alu instid0(VALU_DEP_1) | instskip(SKIP_1) | instid1(SALU_CYCLE_1)
	v_cmp_ne_u32_e32 vcc_lo, 0x7f800000, v82
                                        ; implicit-def: $vgpr82
	s_and_saveexec_b32 s4, vcc_lo
	s_xor_b32 s4, exec_lo, s4
; %bb.61:
	v_bfe_u32 v82, v77, 16, 1
	s_delay_alu instid0(VALU_DEP_1)
	v_add3_u32 v82, v77, v82, 0x7fff
                                        ; implicit-def: $vgpr77
; %bb.62:
	s_and_not1_saveexec_b32 s4, s4
; %bb.63:
	v_and_b32_e32 v82, 0xffff, v77
	v_or_b32_e32 v83, 0x10000, v77
	s_delay_alu instid0(VALU_DEP_2) | instskip(NEXT) | instid1(VALU_DEP_2)
	v_cmp_eq_u32_e32 vcc_lo, 0, v82
	v_cndmask_b32_e32 v82, v83, v77, vcc_lo
; %bb.64:
	s_or_b32 exec_lo, exec_lo, s4
	v_and_b32_e32 v77, 0x7f800000, v78
	s_delay_alu instid0(VALU_DEP_1) | instskip(SKIP_1) | instid1(SALU_CYCLE_1)
	v_cmp_ne_u32_e32 vcc_lo, 0x7f800000, v77
                                        ; implicit-def: $vgpr77
	s_and_saveexec_b32 s4, vcc_lo
	s_xor_b32 s4, exec_lo, s4
; %bb.65:
	v_bfe_u32 v77, v78, 16, 1
	s_delay_alu instid0(VALU_DEP_1)
	v_add3_u32 v77, v78, v77, 0x7fff
                                        ; implicit-def: $vgpr78
; %bb.66:
	s_and_not1_saveexec_b32 s4, s4
; %bb.67:
	v_and_b32_e32 v77, 0xffff, v78
	v_or_b32_e32 v83, 0x10000, v78
	s_delay_alu instid0(VALU_DEP_2) | instskip(NEXT) | instid1(VALU_DEP_2)
	v_cmp_eq_u32_e32 vcc_lo, 0, v77
	v_cndmask_b32_e32 v77, v83, v78, vcc_lo
; %bb.68:
	s_or_b32 exec_lo, exec_lo, s4
	v_and_b32_e32 v78, 0x7f800000, v79
	s_delay_alu instid0(VALU_DEP_1) | instskip(SKIP_1) | instid1(SALU_CYCLE_1)
	v_cmp_ne_u32_e32 vcc_lo, 0x7f800000, v78
                                        ; implicit-def: $vgpr78
	s_and_saveexec_b32 s4, vcc_lo
	s_xor_b32 s4, exec_lo, s4
; %bb.69:
	v_bfe_u32 v78, v79, 16, 1
	s_delay_alu instid0(VALU_DEP_1)
	v_add3_u32 v78, v79, v78, 0x7fff
                                        ; implicit-def: $vgpr79
; %bb.70:
	s_and_not1_saveexec_b32 s4, s4
; %bb.71:
	v_and_b32_e32 v78, 0xffff, v79
	v_or_b32_e32 v83, 0x10000, v79
	s_delay_alu instid0(VALU_DEP_2) | instskip(NEXT) | instid1(VALU_DEP_2)
	v_cmp_eq_u32_e32 vcc_lo, 0, v78
	v_cndmask_b32_e32 v78, v83, v79, vcc_lo
; %bb.72:
	s_or_b32 exec_lo, exec_lo, s4
	v_and_b32_e32 v79, 0x7f800000, v70
	s_delay_alu instid0(VALU_DEP_1) | instskip(SKIP_1) | instid1(SALU_CYCLE_1)
	v_cmp_ne_u32_e32 vcc_lo, 0x7f800000, v79
                                        ; implicit-def: $vgpr79
	s_and_saveexec_b32 s4, vcc_lo
	s_xor_b32 s4, exec_lo, s4
; %bb.73:
	v_bfe_u32 v79, v70, 16, 1
	s_delay_alu instid0(VALU_DEP_1)
	v_add3_u32 v79, v70, v79, 0x7fff
                                        ; implicit-def: $vgpr70
; %bb.74:
	s_and_not1_saveexec_b32 s4, s4
; %bb.75:
	v_and_b32_e32 v79, 0xffff, v70
	v_or_b32_e32 v83, 0x10000, v70
	s_delay_alu instid0(VALU_DEP_2) | instskip(NEXT) | instid1(VALU_DEP_2)
	v_cmp_eq_u32_e32 vcc_lo, 0, v79
	v_cndmask_b32_e32 v79, v83, v70, vcc_lo
; %bb.76:
	s_or_b32 exec_lo, exec_lo, s4
	s_delay_alu instid0(VALU_DEP_1)
	v_perm_b32 v86, v79, v78, 0x7060302
	v_perm_b32 v85, v77, v82, 0x7060302
	;; [unrolled: 1-line block ×4, first 2 shown]
	v_lshl_or_b32 v82, v66, 11, v80
	ds_store_b128 v76, v[83:86] offset:1024
	s_waitcnt lgkmcnt(0)
	s_barrier
	buffer_gl0_inv
	ds_load_b128 v[69:72], v82
	ds_load_b128 v[83:86], v82 offset:16
	s_waitcnt lgkmcnt(1)
	v_lshrrev_b32_e32 v66, 16, v69
	s_waitcnt lgkmcnt(0)
	v_lshrrev_b32_e32 v91, 16, v83
	v_lshlrev_b32_e32 v78, 2, v74
	v_lshrrev_b32_e32 v95, 16, v70
	v_lshrrev_b32_e32 v98, 16, v84
	v_lshrrev_b32_e32 v96, 16, v71
	v_lshrrev_b32_e32 v99, 16, v85
	v_cmp_eq_u32_e32 vcc_lo, 1, v78
	v_lshrrev_b32_e32 v97, 16, v72
	v_lshrrev_b32_e32 v100, 16, v86
	v_cndmask_b32_e32 v87, v83, v91, vcc_lo
	v_or_b32_e32 v79, 1, v78
	v_cndmask_b32_e32 v81, v69, v66, vcc_lo
	v_cmp_eq_u32_e64 s5, 2, v78
	v_cmp_eq_u32_e64 s8, 3, v78
	;; [unrolled: 1-line block ×5, first 2 shown]
	v_cndmask_b32_e64 v81, v81, v70, s5
	v_cndmask_b32_e64 v87, v87, v84, s5
	v_cmp_eq_u32_e64 s9, 3, v79
	v_cndmask_b32_e64 v88, v69, v66, s4
	v_or_b32_e32 v77, 2, v78
	v_cndmask_b32_e64 v81, v81, v95, s8
	v_cndmask_b32_e64 v87, v87, v98, s8
	;; [unrolled: 1-line block ×4, first 2 shown]
	v_cmp_eq_u32_e64 s11, 5, v78
	v_cndmask_b32_e64 v81, v81, v71, s10
	v_cndmask_b32_e64 v87, v87, v85, s10
	v_cmp_eq_u32_e64 s12, 4, v79
	v_cndmask_b32_e64 v88, v88, v95, s9
	v_cmp_eq_u32_e64 s6, 1, v77
	v_cndmask_b32_e64 v89, v89, v84, s7
	v_cndmask_b32_e64 v81, v81, v96, s11
	v_cmp_eq_u32_e64 s13, 6, v78
	v_cndmask_b32_e64 v88, v88, v71, s12
	v_cndmask_b32_e64 v87, v87, v99, s11
	v_cmp_eq_u32_e64 s15, 5, v79
	v_cndmask_b32_e64 v90, v69, v66, s6
	v_cndmask_b32_e64 v89, v89, v98, s9
	v_cndmask_b32_e64 v81, v81, v72, s13
	v_cmp_eq_u32_e64 s16, 7, v78
	v_cndmask_b32_e64 v88, v88, v96, s15
	v_cndmask_b32_e64 v87, v87, v86, s13
	v_cmp_eq_u32_e64 s17, 6, v79
	v_cmp_eq_u32_e64 s18, 2, v77
	v_cndmask_b32_e64 v89, v89, v85, s12
	v_cndmask_b32_e64 v101, v81, v97, s16
	;; [unrolled: 1-line block ×6, first 2 shown]
	v_cmp_eq_u32_e64 s19, 7, v79
	v_cmp_eq_u32_e64 s20, 3, v77
	v_cmp_eq_u32_e64 s21, 4, v77
	v_cmp_eq_u32_e64 s23, 5, v77
	v_cndmask_b32_e64 v87, v87, v84, s18
	v_cndmask_b32_e64 v103, v88, v97, s19
	;; [unrolled: 1-line block ×4, first 2 shown]
	v_or_b32_e32 v81, 3, v78
	v_cndmask_b32_e64 v93, v87, v98, s20
	v_cmp_eq_u32_e64 s25, 6, v77
	v_cndmask_b32_e64 v104, v88, v86, s17
	v_cndmask_b32_e64 v92, v89, v71, s21
	v_cmp_eq_u32_e64 s22, 1, v81
	ds_load_b128 v[87:90], v82 offset:1024
	v_cmp_eq_u32_e64 s24, 2, v81
	v_cmp_eq_u32_e64 s26, 3, v81
	v_cndmask_b32_e64 v105, v92, v96, s23
	v_cndmask_b32_e64 v66, v69, v66, s22
	;; [unrolled: 1-line block ×4, first 2 shown]
	ds_load_b128 v[91:94], v82 offset:1040
	v_cmp_eq_u32_e64 s27, 4, v81
	v_cndmask_b32_e64 v66, v66, v70, s24
	v_cmp_eq_u32_e64 s28, 7, v77
	v_cndmask_b32_e64 v70, v83, v84, s24
	v_cndmask_b32_e64 v84, v105, v72, s25
	v_cmp_eq_u32_e64 s29, 5, v81
	v_cndmask_b32_e64 v66, v66, v95, s26
	v_cmp_eq_u32_e64 s30, 6, v81
	v_cndmask_b32_e64 v70, v70, v98, s26
	v_cndmask_b32_e64 v69, v69, v99, s23
	;; [unrolled: 1-line block ×4, first 2 shown]
	s_waitcnt lgkmcnt(1)
	v_lshrrev_b32_e32 v95, 16, v87
	v_cndmask_b32_e64 v70, v70, v85, s27
	v_cndmask_b32_e64 v71, v84, v97, s28
	;; [unrolled: 1-line block ×4, first 2 shown]
	v_cndmask_b32_e32 v84, v87, v95, vcc_lo
	v_cndmask_b32_e64 v70, v70, v99, s29
	s_waitcnt lgkmcnt(0)
	v_lshrrev_b32_e32 v85, 16, v91
	v_lshrrev_b32_e32 v96, 16, v88
	v_cndmask_b32_e64 v98, v87, v95, s4
	v_cndmask_b32_e64 v84, v84, v88, s5
	;; [unrolled: 1-line block ×3, first 2 shown]
	v_cndmask_b32_e32 v99, v91, v85, vcc_lo
	v_cmp_eq_u32_e32 vcc_lo, 7, v81
	v_cndmask_b32_e64 v66, v66, v72, s30
	v_cndmask_b32_e64 v72, v84, v96, s8
	;; [unrolled: 1-line block ×3, first 2 shown]
	v_lshrrev_b32_e32 v98, 16, v92
	v_cndmask_b32_e32 v70, v70, v100, vcc_lo
	v_cndmask_b32_e64 v86, v99, v92, s5
	v_cndmask_b32_e64 v69, v69, v100, s28
	v_lshrrev_b32_e32 v100, 16, v93
	v_cndmask_b32_e64 v72, v72, v89, s10
	v_lshrrev_b32_e32 v99, 16, v89
	v_cndmask_b32_e64 v86, v86, v98, s8
	v_perm_b32 v71, v69, v71, 0x5040100
	v_cndmask_b32_e64 v84, v84, v96, s9
	s_delay_alu instid0(VALU_DEP_3) | instskip(NEXT) | instid1(VALU_DEP_2)
	v_cndmask_b32_e64 v86, v86, v93, s10
	v_cndmask_b32_e64 v84, v84, v89, s12
	s_delay_alu instid0(VALU_DEP_2) | instskip(NEXT) | instid1(VALU_DEP_1)
	v_cndmask_b32_e64 v86, v86, v100, s11
	v_cndmask_b32_e64 v69, v86, v94, s13
	v_cndmask_b32_e64 v86, v87, v95, s6
	v_cndmask_b32_e64 v87, v87, v95, s22
	v_cndmask_b32_e64 v95, v91, v85, s22
	s_delay_alu instid0(VALU_DEP_3) | instskip(NEXT) | instid1(VALU_DEP_3)
	v_cndmask_b32_e64 v86, v86, v88, s18
	v_cndmask_b32_e64 v87, v87, v88, s24
	s_delay_alu instid0(VALU_DEP_3) | instskip(NEXT) | instid1(VALU_DEP_3)
	v_cndmask_b32_e64 v88, v95, v92, s24
	v_cndmask_b32_e64 v86, v86, v96, s20
	;; [unrolled: 3-line block ×7, first 2 shown]
	s_delay_alu instid0(VALU_DEP_3) | instskip(SKIP_2) | instid1(VALU_DEP_2)
	v_cndmask_b32_e64 v88, v88, v94, s30
	v_cndmask_b32_e32 v66, v66, v97, vcc_lo
	v_cndmask_b32_e64 v97, v72, v99, s11
	v_perm_b32 v72, v70, v66, 0x5040100
	v_perm_b32 v70, v83, v103, 0x5040100
	v_cndmask_b32_e64 v103, v91, v85, s6
	v_cndmask_b32_e64 v85, v91, v85, s4
	;; [unrolled: 1-line block ×4, first 2 shown]
	v_lshrrev_b32_e32 v97, 16, v90
	v_cndmask_b32_e64 v91, v103, v92, s18
	v_cndmask_b32_e64 v85, v85, v92, s7
	;; [unrolled: 1-line block ×3, first 2 shown]
	s_mov_b32 s4, exec_lo
	v_cndmask_b32_e64 v83, v84, v97, s16
	v_cndmask_b32_e64 v91, v91, v98, s20
	;; [unrolled: 1-line block ×3, first 2 shown]
	v_lshrrev_b32_e32 v84, 16, v94
	v_cndmask_b32_e64 v66, v66, v97, s19
	v_cndmask_b32_e64 v90, v86, v97, s28
	;; [unrolled: 1-line block ×4, first 2 shown]
	v_dual_cndmask_b32 v86, v87, v97 :: v_dual_cndmask_b32 v87, v88, v84
	v_cndmask_b32_e64 v91, v69, v84, s16
	s_delay_alu instid0(VALU_DEP_4) | instskip(NEXT) | instid1(VALU_DEP_4)
	v_cndmask_b32_e64 v89, v89, v100, s23
	v_cndmask_b32_e64 v85, v85, v100, s15
	v_perm_b32 v69, v102, v101, 0x5040100
	v_perm_b32 v86, v87, v86, 0x5040100
	;; [unrolled: 1-line block ×3, first 2 shown]
	v_cndmask_b32_e64 v89, v89, v94, s25
	v_cndmask_b32_e64 v85, v85, v94, s17
	s_mul_i32 s9, s37, 9
	s_delay_alu instid0(VALU_DEP_2) | instskip(NEXT) | instid1(VALU_DEP_2)
	v_cndmask_b32_e64 v88, v89, v84, s28
	v_cndmask_b32_e64 v89, v85, v84, s19
	s_delay_alu instid0(VALU_DEP_2) | instskip(NEXT) | instid1(VALU_DEP_2)
	v_perm_b32 v85, v88, v90, 0x5040100
	v_perm_b32 v84, v89, v66, 0x5040100
	ds_store_b128 v76, v[69:72]
	ds_store_b128 v76, v[83:86] offset:1024
	v_cmpx_gt_u32_e32 9, v0
	s_cbranch_execz .LBB1454_78
; %bb.77:
	s_mul_i32 s5, s9, s34
	s_load_b128 s[16:19], s[0:1], 0x58
	v_add3_u32 v69, s5, s31, v65
	s_delay_alu instid0(VALU_DEP_1) | instskip(NEXT) | instid1(VALU_DEP_1)
	v_mad_u64_u32 v[65:66], null, v69, s36, s[14:15]
	v_ashrrev_i32_e32 v66, 31, v65
	s_delay_alu instid0(VALU_DEP_1) | instskip(SKIP_1) | instid1(VALU_DEP_1)
	v_lshlrev_b64 v[65:66], 2, v[65:66]
	s_waitcnt lgkmcnt(0)
	v_add_co_u32 v69, vcc_lo, s18, v65
	s_delay_alu instid0(VALU_DEP_2)
	v_add_co_ci_u32_e32 v70, vcc_lo, s19, v66, vcc_lo
	v_add_co_u32 v65, vcc_lo, s16, v65
	v_add_co_ci_u32_e32 v66, vcc_lo, s17, v66, vcc_lo
	global_store_b32 v[69:70], v67, off
	global_store_b32 v[65:66], v68, off
.LBB1454_78:
	s_or_b32 exec_lo, exec_lo, s4
	s_waitcnt lgkmcnt(0)
	s_waitcnt_vscnt null, 0x0
	s_barrier
	buffer_gl0_inv
	ds_load_b128 v[83:86], v80
	ds_load_b128 v[87:90], v80 offset:16
	ds_load_b128 v[95:98], v80 offset:2064
	;; [unrolled: 1-line block ×3, first 2 shown]
	v_mov_b32_e32 v65, 0
	ds_load_b128 v[103:106], v80 offset:4112
	ds_load_b128 v[99:102], v80 offset:4096
	ds_load_b128 v[111:114], v80 offset:6160
	ds_load_b128 v[107:110], v80 offset:6144
	v_mov_b32_e32 v66, v65
	v_mov_b32_e32 v67, v65
	v_mov_b32_e32 v68, v65
	v_mov_b32_e32 v69, v65
	v_mov_b32_e32 v70, v65
	v_mov_b32_e32 v71, v65
	v_mov_b32_e32 v72, v65
	s_waitcnt lgkmcnt(6)
	s_delay_alu instid0(VALU_DEP_1)
	v_wmma_f32_16x16x16_bf16 v[65:72], v[57:64], v[83:90], v[65:72]
	ds_load_b128 v[61:64], v80 offset:8208
	ds_load_b128 v[57:60], v80 offset:8192
	s_waitcnt lgkmcnt(6)
	v_wmma_f32_16x16x16_bf16 v[65:72], v[41:48], v[91:98], v[65:72]
	ds_load_b128 v[45:48], v80 offset:10256
	ds_load_b128 v[41:44], v80 offset:10240
	s_waitcnt lgkmcnt(6)
	;; [unrolled: 4-line block ×4, first 2 shown]
	v_wmma_f32_16x16x16_bf16 v[65:72], v[1:8], v[57:64], v[65:72]
	s_waitcnt lgkmcnt(4)
	s_delay_alu instid0(VALU_DEP_1) | instskip(SKIP_1) | instid1(VALU_DEP_1)
	v_wmma_f32_16x16x16_bf16 v[65:72], v[9:16], v[41:48], v[65:72]
	s_waitcnt lgkmcnt(2)
	v_wmma_f32_16x16x16_bf16 v[65:72], v[17:24], v[33:40], v[65:72]
	s_waitcnt lgkmcnt(0)
	s_delay_alu instid0(VALU_DEP_1) | instskip(NEXT) | instid1(VALU_DEP_1)
	v_wmma_f32_16x16x16_bf16 v[65:72], v[49:56], v[25:32], v[65:72]
	v_and_b32_e32 v1, 0x7f800000, v65
	s_delay_alu instid0(VALU_DEP_1) | instskip(SKIP_1) | instid1(SALU_CYCLE_1)
	v_cmp_ne_u32_e32 vcc_lo, 0x7f800000, v1
                                        ; implicit-def: $vgpr1
	s_and_saveexec_b32 s4, vcc_lo
	s_xor_b32 s4, exec_lo, s4
; %bb.79:
	v_bfe_u32 v1, v65, 16, 1
	s_delay_alu instid0(VALU_DEP_1)
	v_add3_u32 v1, v65, v1, 0x7fff
; %bb.80:
	s_and_not1_saveexec_b32 s4, s4
; %bb.81:
	v_and_b32_e32 v1, 0xffff, v65
	v_or_b32_e32 v2, 0x10000, v65
	s_delay_alu instid0(VALU_DEP_2) | instskip(NEXT) | instid1(VALU_DEP_2)
	v_cmp_eq_u32_e32 vcc_lo, 0, v1
	v_cndmask_b32_e32 v1, v2, v65, vcc_lo
; %bb.82:
	s_or_b32 exec_lo, exec_lo, s4
	v_and_b32_e32 v2, 0x7f800000, v66
	s_delay_alu instid0(VALU_DEP_1) | instskip(SKIP_1) | instid1(SALU_CYCLE_1)
	v_cmp_ne_u32_e32 vcc_lo, 0x7f800000, v2
                                        ; implicit-def: $vgpr2
	s_and_saveexec_b32 s4, vcc_lo
	s_xor_b32 s4, exec_lo, s4
; %bb.83:
	v_bfe_u32 v2, v66, 16, 1
	s_delay_alu instid0(VALU_DEP_1)
	v_add3_u32 v2, v66, v2, 0x7fff
; %bb.84:
	s_and_not1_saveexec_b32 s4, s4
; %bb.85:
	v_and_b32_e32 v2, 0xffff, v66
	v_or_b32_e32 v3, 0x10000, v66
	s_delay_alu instid0(VALU_DEP_2) | instskip(NEXT) | instid1(VALU_DEP_2)
	v_cmp_eq_u32_e32 vcc_lo, 0, v2
	v_cndmask_b32_e32 v2, v3, v66, vcc_lo
; %bb.86:
	s_or_b32 exec_lo, exec_lo, s4
	v_and_b32_e32 v3, 0x7f800000, v67
	s_delay_alu instid0(VALU_DEP_1) | instskip(SKIP_1) | instid1(SALU_CYCLE_1)
	v_cmp_ne_u32_e32 vcc_lo, 0x7f800000, v3
                                        ; implicit-def: $vgpr3
	s_and_saveexec_b32 s4, vcc_lo
	s_xor_b32 s4, exec_lo, s4
; %bb.87:
	v_bfe_u32 v3, v67, 16, 1
	s_delay_alu instid0(VALU_DEP_1)
	v_add3_u32 v3, v67, v3, 0x7fff
; %bb.88:
	s_and_not1_saveexec_b32 s4, s4
; %bb.89:
	v_and_b32_e32 v3, 0xffff, v67
	v_or_b32_e32 v4, 0x10000, v67
	s_delay_alu instid0(VALU_DEP_2) | instskip(NEXT) | instid1(VALU_DEP_2)
	v_cmp_eq_u32_e32 vcc_lo, 0, v3
	v_cndmask_b32_e32 v3, v4, v67, vcc_lo
; %bb.90:
	s_or_b32 exec_lo, exec_lo, s4
	v_and_b32_e32 v4, 0x7f800000, v68
	s_delay_alu instid0(VALU_DEP_1) | instskip(SKIP_1) | instid1(SALU_CYCLE_1)
	v_cmp_ne_u32_e32 vcc_lo, 0x7f800000, v4
                                        ; implicit-def: $vgpr4
	s_and_saveexec_b32 s4, vcc_lo
	s_xor_b32 s4, exec_lo, s4
; %bb.91:
	v_bfe_u32 v4, v68, 16, 1
	s_delay_alu instid0(VALU_DEP_1)
	v_add3_u32 v4, v68, v4, 0x7fff
; %bb.92:
	s_and_not1_saveexec_b32 s4, s4
; %bb.93:
	v_and_b32_e32 v4, 0xffff, v68
	v_or_b32_e32 v5, 0x10000, v68
	s_delay_alu instid0(VALU_DEP_2) | instskip(NEXT) | instid1(VALU_DEP_2)
	v_cmp_eq_u32_e32 vcc_lo, 0, v4
	v_cndmask_b32_e32 v4, v5, v68, vcc_lo
; %bb.94:
	s_or_b32 exec_lo, exec_lo, s4
	v_and_b32_e32 v5, 0x7f800000, v69
	s_delay_alu instid0(VALU_DEP_1) | instskip(SKIP_1) | instid1(SALU_CYCLE_1)
	v_cmp_ne_u32_e32 vcc_lo, 0x7f800000, v5
                                        ; implicit-def: $vgpr5
	s_and_saveexec_b32 s4, vcc_lo
	s_xor_b32 s4, exec_lo, s4
; %bb.95:
	v_bfe_u32 v5, v69, 16, 1
	s_delay_alu instid0(VALU_DEP_1)
	v_add3_u32 v5, v69, v5, 0x7fff
; %bb.96:
	s_and_not1_saveexec_b32 s4, s4
; %bb.97:
	v_and_b32_e32 v5, 0xffff, v69
	v_or_b32_e32 v6, 0x10000, v69
	s_delay_alu instid0(VALU_DEP_2) | instskip(NEXT) | instid1(VALU_DEP_2)
	v_cmp_eq_u32_e32 vcc_lo, 0, v5
	v_cndmask_b32_e32 v5, v6, v69, vcc_lo
; %bb.98:
	s_or_b32 exec_lo, exec_lo, s4
	v_and_b32_e32 v6, 0x7f800000, v70
	s_delay_alu instid0(VALU_DEP_1) | instskip(SKIP_1) | instid1(SALU_CYCLE_1)
	v_cmp_ne_u32_e32 vcc_lo, 0x7f800000, v6
                                        ; implicit-def: $vgpr6
	s_and_saveexec_b32 s4, vcc_lo
	s_xor_b32 s4, exec_lo, s4
; %bb.99:
	v_bfe_u32 v6, v70, 16, 1
	s_delay_alu instid0(VALU_DEP_1)
	v_add3_u32 v6, v70, v6, 0x7fff
; %bb.100:
	s_and_not1_saveexec_b32 s4, s4
; %bb.101:
	v_and_b32_e32 v6, 0xffff, v70
	v_or_b32_e32 v7, 0x10000, v70
	s_delay_alu instid0(VALU_DEP_2) | instskip(NEXT) | instid1(VALU_DEP_2)
	v_cmp_eq_u32_e32 vcc_lo, 0, v6
	v_cndmask_b32_e32 v6, v7, v70, vcc_lo
; %bb.102:
	s_or_b32 exec_lo, exec_lo, s4
	v_and_b32_e32 v7, 0x7f800000, v71
	s_delay_alu instid0(VALU_DEP_1) | instskip(SKIP_1) | instid1(SALU_CYCLE_1)
	v_cmp_ne_u32_e32 vcc_lo, 0x7f800000, v7
                                        ; implicit-def: $vgpr7
	s_and_saveexec_b32 s4, vcc_lo
	s_xor_b32 s4, exec_lo, s4
; %bb.103:
	v_bfe_u32 v7, v71, 16, 1
	s_delay_alu instid0(VALU_DEP_1)
	v_add3_u32 v7, v71, v7, 0x7fff
; %bb.104:
	s_and_not1_saveexec_b32 s4, s4
; %bb.105:
	v_and_b32_e32 v7, 0xffff, v71
	v_or_b32_e32 v8, 0x10000, v71
	s_delay_alu instid0(VALU_DEP_2) | instskip(NEXT) | instid1(VALU_DEP_2)
	v_cmp_eq_u32_e32 vcc_lo, 0, v7
	v_cndmask_b32_e32 v7, v8, v71, vcc_lo
; %bb.106:
	s_or_b32 exec_lo, exec_lo, s4
	v_and_b32_e32 v8, 0x7f800000, v72
	s_delay_alu instid0(VALU_DEP_1) | instskip(SKIP_1) | instid1(SALU_CYCLE_1)
	v_cmp_ne_u32_e32 vcc_lo, 0x7f800000, v8
                                        ; implicit-def: $vgpr8
	s_and_saveexec_b32 s4, vcc_lo
	s_xor_b32 s4, exec_lo, s4
; %bb.107:
	v_bfe_u32 v8, v72, 16, 1
	s_delay_alu instid0(VALU_DEP_1)
	v_add3_u32 v8, v72, v8, 0x7fff
                                        ; implicit-def: $vgpr65_vgpr66_vgpr67_vgpr68_vgpr69_vgpr70_vgpr71_vgpr72
; %bb.108:
	s_and_not1_saveexec_b32 s4, s4
; %bb.109:
	v_and_b32_e32 v8, 0xffff, v72
	v_or_b32_e32 v9, 0x10000, v72
	s_delay_alu instid0(VALU_DEP_2) | instskip(NEXT) | instid1(VALU_DEP_2)
	v_cmp_eq_u32_e32 vcc_lo, 0, v8
	v_cndmask_b32_e32 v8, v9, v72, vcc_lo
; %bb.110:
	s_or_b32 exec_lo, exec_lo, s4
	s_delay_alu instid0(VALU_DEP_1)
	v_perm_b32 v7, v8, v7, 0x7060302
	v_perm_b32 v6, v6, v5, 0x7060302
	;; [unrolled: 1-line block ×4, first 2 shown]
	s_barrier
	buffer_gl0_inv
	v_cmp_eq_u32_e32 vcc_lo, 1, v78
	ds_store_b128 v76, v[4:7]
	s_waitcnt lgkmcnt(0)
	s_barrier
	buffer_gl0_inv
	ds_load_b128 v[1:4], v82
	ds_load_b128 v[5:8], v82 offset:16
	v_cmp_eq_u32_e64 s4, 1, v79
	v_cmp_eq_u32_e64 s5, 2, v78
	;; [unrolled: 1-line block ×5, first 2 shown]
	s_waitcnt lgkmcnt(1)
	v_lshrrev_b32_e32 v9, 16, v1
	s_waitcnt lgkmcnt(0)
	v_lshrrev_b32_e32 v13, 16, v5
	v_lshrrev_b32_e32 v10, 16, v2
	;; [unrolled: 1-line block ×4, first 2 shown]
	v_cndmask_b32_e64 v19, v1, v9, s4
	v_cndmask_b32_e32 v18, v5, v13, vcc_lo
	v_cndmask_b32_e64 v20, v5, v13, s4
	v_cndmask_b32_e32 v17, v1, v9, vcc_lo
	v_cmp_eq_u32_e32 vcc_lo, 2, v79
	v_lshrrev_b32_e32 v15, 16, v7
	v_cmp_eq_u32_e64 s4, 1, v77
	v_lshrrev_b32_e32 v12, 16, v4
	v_lshrrev_b32_e32 v16, 16, v8
	v_cndmask_b32_e32 v20, v20, v6, vcc_lo
	v_cndmask_b32_e64 v17, v17, v2, s5
	v_cndmask_b32_e32 v19, v19, v2, vcc_lo
	v_cndmask_b32_e64 v18, v18, v6, s5
	v_cmp_eq_u32_e32 vcc_lo, 4, v78
	v_cmp_eq_u32_e64 s5, 3, v79
	v_cndmask_b32_e64 v17, v17, v10, s6
	v_cndmask_b32_e64 v21, v1, v9, s4
	;; [unrolled: 1-line block ×5, first 2 shown]
	v_cndmask_b32_e32 v17, v17, v3, vcc_lo
	v_cndmask_b32_e64 v20, v20, v14, s5
	v_cndmask_b32_e32 v18, v18, v7, vcc_lo
	v_cmp_eq_u32_e32 vcc_lo, 4, v79
	v_cmp_eq_u32_e64 s5, 5, v79
	v_cmp_eq_u32_e64 s4, 2, v81
	v_cndmask_b32_e64 v21, v21, v2, s8
	v_cmp_eq_u32_e64 s6, 5, v78
	v_cndmask_b32_e32 v19, v19, v3, vcc_lo
	v_cndmask_b32_e32 v20, v20, v7, vcc_lo
	v_cmp_eq_u32_e32 vcc_lo, 6, v79
	s_delay_alu instid0(VALU_DEP_4) | instskip(NEXT) | instid1(VALU_DEP_4)
	v_cndmask_b32_e64 v17, v17, v11, s6
	v_cndmask_b32_e64 v19, v19, v11, s5
	s_delay_alu instid0(VALU_DEP_4) | instskip(SKIP_1) | instid1(VALU_DEP_3)
	v_cndmask_b32_e64 v20, v20, v15, s5
	v_cmp_eq_u32_e64 s5, 1, v81
	v_cndmask_b32_e32 v19, v19, v4, vcc_lo
	v_cndmask_b32_e64 v18, v18, v15, s6
	s_delay_alu instid0(VALU_DEP_3)
	v_cndmask_b32_e64 v1, v1, v9, s5
	v_cndmask_b32_e64 v5, v5, v13, s5
	v_cmp_eq_u32_e64 s5, 3, v77
	v_cndmask_b32_e64 v13, v22, v6, s8
	v_cmp_eq_u32_e64 s8, 3, v81
	v_cndmask_b32_e64 v1, v1, v2, s4
	v_cndmask_b32_e64 v2, v5, v6, s4
	;; [unrolled: 1-line block ×3, first 2 shown]
	v_cmp_eq_u32_e64 s4, 4, v77
	v_cndmask_b32_e64 v6, v13, v14, s5
	v_cndmask_b32_e64 v1, v1, v10, s8
	v_cmp_eq_u32_e64 s5, 4, v81
	v_cndmask_b32_e64 v2, v2, v14, s8
	v_cndmask_b32_e64 v5, v9, v3, s4
	;; [unrolled: 3-line block ×3, first 2 shown]
	v_cndmask_b32_e64 v2, v2, v7, s5
	v_cmp_eq_u32_e64 s4, 5, v81
	v_cmp_eq_u32_e64 s6, 6, v78
	v_cndmask_b32_e64 v5, v5, v11, s8
	v_cmp_eq_u32_e64 s5, 6, v77
	v_cndmask_b32_e64 v3, v6, v15, s8
	v_cndmask_b32_e64 v1, v1, v11, s4
	v_cmp_eq_u32_e64 s8, 6, v81
	v_cndmask_b32_e64 v2, v2, v15, s4
	v_cndmask_b32_e64 v17, v17, v4, s6
	v_cndmask_b32_e64 v18, v18, v8, s6
	v_cmp_eq_u32_e64 s6, 7, v78
	v_cndmask_b32_e64 v5, v5, v4, s5
	;; [unrolled: 4-line block ×3, first 2 shown]
	v_cmp_eq_u32_e64 s5, 7, v77
	v_cndmask_b32_e32 v4, v20, v8, vcc_lo
	v_cndmask_b32_e64 v17, v17, v12, s6
	v_cndmask_b32_e64 v19, v19, v12, s7
	;; [unrolled: 1-line block ×8, first 2 shown]
	v_cmp_gt_u32_e32 vcc_lo, 32, v0
	v_perm_b32 v4, v2, v1, 0x5040100
	v_perm_b32 v3, v3, v5, 0x5040100
	;; [unrolled: 1-line block ×4, first 2 shown]
	s_and_b32 s2, vcc_lo, s2
	ds_store_b128 v76, v[1:4]
	s_waitcnt lgkmcnt(0)
	s_barrier
	buffer_gl0_inv
	s_and_saveexec_b32 s4, s2
	s_cbranch_execz .LBB1454_2
; %bb.111:
	s_load_b64 s[4:5], s[0:1], 0x68
	v_lshlrev_b32_e32 v0, 10, v0
	v_lshlrev_b32_e32 v1, 4, v75
	s_lshl_b32 s0, s36, 6
	v_add_nc_u32_e32 v2, s31, v74
	s_mul_i32 s1, s0, s34
	s_delay_alu instid0(SALU_CYCLE_1) | instskip(SKIP_1) | instid1(VALU_DEP_2)
	s_mul_i32 s6, s1, s9
	v_and_or_b32 v0, 0x3800, v0, v1
	v_mul_lo_u32 v1, v2, s0
	s_ashr_i32 s7, s6, 31
	v_add_nc_u32_e32 v3, 2, v2
	s_lshl_b64 s[6:7], s[6:7], 1
	v_add_nc_u32_e32 v4, 4, v2
	v_add_nc_u32_e32 v5, 6, v2
	v_lshl_or_b32 v15, v74, 6, v0
	v_mul_lo_u32 v3, v3, s0
	v_ashrrev_i32_e32 v2, 31, v1
	v_mul_lo_u32 v19, v4, s0
	v_mul_lo_u32 v21, v5, s0
	s_waitcnt lgkmcnt(0)
	s_add_u32 s1, s4, s6
	s_addc_u32 s2, s5, s7
	s_lshl_b32 s4, s14, 6
	v_lshlrev_b64 v[5:6], 1, v[1:2]
	s_ashr_i32 s5, s4, 31
	v_ashrrev_i32_e32 v4, 31, v3
	s_lshl_b64 s[4:5], s[4:5], 1
	v_ashrrev_i32_e32 v20, 31, v19
	s_add_u32 s1, s1, s4
	s_addc_u32 s2, s2, s5
	v_add_co_u32 v1, s1, s1, v73
	s_delay_alu instid0(VALU_DEP_1) | instskip(SKIP_1) | instid1(VALU_DEP_3)
	v_add_co_ci_u32_e64 v2, null, s2, 0, s1
	v_lshlrev_b64 v[25:26], 1, v[3:4]
	v_add_co_u32 v23, vcc_lo, v1, v5
	s_delay_alu instid0(VALU_DEP_3)
	v_add_co_ci_u32_e32 v24, vcc_lo, v2, v6, vcc_lo
	ds_load_b128 v[3:6], v15
	ds_load_b128 v[7:10], v15 offset:128
	ds_load_b128 v[11:14], v15 offset:256
	;; [unrolled: 1-line block ×3, first 2 shown]
	v_ashrrev_i32_e32 v22, 31, v21
	v_lshlrev_b64 v[19:20], 1, v[19:20]
	v_add_co_u32 v25, vcc_lo, v1, v25
	v_add_co_ci_u32_e32 v26, vcc_lo, v2, v26, vcc_lo
	s_delay_alu instid0(VALU_DEP_4) | instskip(NEXT) | instid1(VALU_DEP_4)
	v_lshlrev_b64 v[21:22], 1, v[21:22]
	v_add_co_u32 v19, vcc_lo, v1, v19
	v_add_co_ci_u32_e32 v20, vcc_lo, v2, v20, vcc_lo
	s_delay_alu instid0(VALU_DEP_3) | instskip(NEXT) | instid1(VALU_DEP_4)
	v_add_co_u32 v21, vcc_lo, v1, v21
	v_add_co_ci_u32_e32 v22, vcc_lo, v2, v22, vcc_lo
	s_waitcnt lgkmcnt(3)
	global_store_b128 v[23:24], v[3:6], off
	s_waitcnt lgkmcnt(2)
	global_store_b128 v[25:26], v[7:10], off
	;; [unrolled: 2-line block ×4, first 2 shown]
	s_and_b32 exec_lo, exec_lo, s3
	s_cbranch_execz .LBB1454_2
; %bb.112:
	ds_load_b128 v[3:6], v0 offset:512
	s_add_i32 s1, s31, 8
	s_delay_alu instid0(SALU_CYCLE_1) | instskip(NEXT) | instid1(SALU_CYCLE_1)
	s_mul_i32 s0, s1, s0
	s_ashr_i32 s1, s0, 31
	s_delay_alu instid0(SALU_CYCLE_1) | instskip(NEXT) | instid1(SALU_CYCLE_1)
	s_lshl_b64 s[0:1], s[0:1], 1
	v_add_co_u32 v0, vcc_lo, v1, s0
	v_add_co_ci_u32_e32 v1, vcc_lo, s1, v2, vcc_lo
	s_waitcnt lgkmcnt(0)
	global_store_b128 v[0:1], v[3:6], off
	s_nop 0
	s_sendmsg sendmsg(MSG_DEALLOC_VGPRS)
	s_endpgm
	.section	.rodata,"a",@progbits
	.p2align	6, 0x0
	.amdhsa_kernel _Z39paged_attention_ll4mi_QKV_mfma16_kernelI14__hip_bfloat16hLN4vllm18Fp8KVCacheDataTypeE1EhLi32ELi64ELi256ELb0ELi9EL8MFMAType1EEvPKT_PKT0_S9_ifPKiSB_SB_iPKfiiiPfSE_PS4_PT2_iSD_SD_
		.amdhsa_group_segment_fixed_size 17472
		.amdhsa_private_segment_fixed_size 0
		.amdhsa_kernarg_size 400
		.amdhsa_user_sgpr_count 13
		.amdhsa_user_sgpr_dispatch_ptr 0
		.amdhsa_user_sgpr_queue_ptr 0
		.amdhsa_user_sgpr_kernarg_segment_ptr 1
		.amdhsa_user_sgpr_dispatch_id 0
		.amdhsa_user_sgpr_private_segment_size 0
		.amdhsa_wavefront_size32 1
		.amdhsa_uses_dynamic_stack 0
		.amdhsa_enable_private_segment 0
		.amdhsa_system_sgpr_workgroup_id_x 1
		.amdhsa_system_sgpr_workgroup_id_y 1
		.amdhsa_system_sgpr_workgroup_id_z 1
		.amdhsa_system_sgpr_workgroup_info 0
		.amdhsa_system_vgpr_workitem_id 0
		.amdhsa_next_free_vgpr 124
		.amdhsa_next_free_sgpr 42
		.amdhsa_reserve_vcc 1
		.amdhsa_float_round_mode_32 0
		.amdhsa_float_round_mode_16_64 0
		.amdhsa_float_denorm_mode_32 3
		.amdhsa_float_denorm_mode_16_64 3
		.amdhsa_dx10_clamp 1
		.amdhsa_ieee_mode 1
		.amdhsa_fp16_overflow 0
		.amdhsa_workgroup_processor_mode 1
		.amdhsa_memory_ordered 1
		.amdhsa_forward_progress 0
		.amdhsa_shared_vgpr_count 0
		.amdhsa_exception_fp_ieee_invalid_op 0
		.amdhsa_exception_fp_denorm_src 0
		.amdhsa_exception_fp_ieee_div_zero 0
		.amdhsa_exception_fp_ieee_overflow 0
		.amdhsa_exception_fp_ieee_underflow 0
		.amdhsa_exception_fp_ieee_inexact 0
		.amdhsa_exception_int_div_zero 0
	.end_amdhsa_kernel
	.section	.text._Z39paged_attention_ll4mi_QKV_mfma16_kernelI14__hip_bfloat16hLN4vllm18Fp8KVCacheDataTypeE1EhLi32ELi64ELi256ELb0ELi9EL8MFMAType1EEvPKT_PKT0_S9_ifPKiSB_SB_iPKfiiiPfSE_PS4_PT2_iSD_SD_,"axG",@progbits,_Z39paged_attention_ll4mi_QKV_mfma16_kernelI14__hip_bfloat16hLN4vllm18Fp8KVCacheDataTypeE1EhLi32ELi64ELi256ELb0ELi9EL8MFMAType1EEvPKT_PKT0_S9_ifPKiSB_SB_iPKfiiiPfSE_PS4_PT2_iSD_SD_,comdat
.Lfunc_end1454:
	.size	_Z39paged_attention_ll4mi_QKV_mfma16_kernelI14__hip_bfloat16hLN4vllm18Fp8KVCacheDataTypeE1EhLi32ELi64ELi256ELb0ELi9EL8MFMAType1EEvPKT_PKT0_S9_ifPKiSB_SB_iPKfiiiPfSE_PS4_PT2_iSD_SD_, .Lfunc_end1454-_Z39paged_attention_ll4mi_QKV_mfma16_kernelI14__hip_bfloat16hLN4vllm18Fp8KVCacheDataTypeE1EhLi32ELi64ELi256ELb0ELi9EL8MFMAType1EEvPKT_PKT0_S9_ifPKiSB_SB_iPKfiiiPfSE_PS4_PT2_iSD_SD_
                                        ; -- End function
	.section	.AMDGPU.csdata,"",@progbits
; Kernel info:
; codeLenInByte = 8856
; NumSgprs: 44
; NumVgprs: 124
; ScratchSize: 0
; MemoryBound: 0
; FloatMode: 240
; IeeeMode: 1
; LDSByteSize: 17472 bytes/workgroup (compile time only)
; SGPRBlocks: 5
; VGPRBlocks: 15
; NumSGPRsForWavesPerEU: 44
; NumVGPRsForWavesPerEU: 124
; Occupancy: 10
; WaveLimiterHint : 1
; COMPUTE_PGM_RSRC2:SCRATCH_EN: 0
; COMPUTE_PGM_RSRC2:USER_SGPR: 13
; COMPUTE_PGM_RSRC2:TRAP_HANDLER: 0
; COMPUTE_PGM_RSRC2:TGID_X_EN: 1
; COMPUTE_PGM_RSRC2:TGID_Y_EN: 1
; COMPUTE_PGM_RSRC2:TGID_Z_EN: 1
; COMPUTE_PGM_RSRC2:TIDIG_COMP_CNT: 0
	.section	.text._Z39paged_attention_ll4mi_QKV_mfma16_kernelI14__hip_bfloat16hLN4vllm18Fp8KVCacheDataTypeE1EhLi32ELi64ELi256ELb0ELi10EL8MFMAType1EEvPKT_PKT0_S9_ifPKiSB_SB_iPKfiiiPfSE_PS4_PT2_iSD_SD_,"axG",@progbits,_Z39paged_attention_ll4mi_QKV_mfma16_kernelI14__hip_bfloat16hLN4vllm18Fp8KVCacheDataTypeE1EhLi32ELi64ELi256ELb0ELi10EL8MFMAType1EEvPKT_PKT0_S9_ifPKiSB_SB_iPKfiiiPfSE_PS4_PT2_iSD_SD_,comdat
	.protected	_Z39paged_attention_ll4mi_QKV_mfma16_kernelI14__hip_bfloat16hLN4vllm18Fp8KVCacheDataTypeE1EhLi32ELi64ELi256ELb0ELi10EL8MFMAType1EEvPKT_PKT0_S9_ifPKiSB_SB_iPKfiiiPfSE_PS4_PT2_iSD_SD_ ; -- Begin function _Z39paged_attention_ll4mi_QKV_mfma16_kernelI14__hip_bfloat16hLN4vllm18Fp8KVCacheDataTypeE1EhLi32ELi64ELi256ELb0ELi10EL8MFMAType1EEvPKT_PKT0_S9_ifPKiSB_SB_iPKfiiiPfSE_PS4_PT2_iSD_SD_
	.globl	_Z39paged_attention_ll4mi_QKV_mfma16_kernelI14__hip_bfloat16hLN4vllm18Fp8KVCacheDataTypeE1EhLi32ELi64ELi256ELb0ELi10EL8MFMAType1EEvPKT_PKT0_S9_ifPKiSB_SB_iPKfiiiPfSE_PS4_PT2_iSD_SD_
	.p2align	8
	.type	_Z39paged_attention_ll4mi_QKV_mfma16_kernelI14__hip_bfloat16hLN4vllm18Fp8KVCacheDataTypeE1EhLi32ELi64ELi256ELb0ELi10EL8MFMAType1EEvPKT_PKT0_S9_ifPKiSB_SB_iPKfiiiPfSE_PS4_PT2_iSD_SD_,@function
_Z39paged_attention_ll4mi_QKV_mfma16_kernelI14__hip_bfloat16hLN4vllm18Fp8KVCacheDataTypeE1EhLi32ELi64ELi256ELb0ELi10EL8MFMAType1EEvPKT_PKT0_S9_ifPKiSB_SB_iPKfiiiPfSE_PS4_PT2_iSD_SD_: ; @_Z39paged_attention_ll4mi_QKV_mfma16_kernelI14__hip_bfloat16hLN4vllm18Fp8KVCacheDataTypeE1EhLi32ELi64ELi256ELb0ELi10EL8MFMAType1EEvPKT_PKT0_S9_ifPKiSB_SB_iPKfiiiPfSE_PS4_PT2_iSD_SD_
; %bb.0:
	s_load_b64 s[2:3], s[0:1], 0x30
	s_mov_b32 s30, s13
	s_waitcnt lgkmcnt(0)
	s_cmp_lg_u64 s[2:3], 0
	s_cselect_b32 s8, -1, 0
	s_ashr_i32 s31, s13, 31
	s_cmp_eq_u64 s[2:3], 0
	s_cbranch_scc1 .LBB1455_3
; %bb.1:
	s_lshl_b64 s[4:5], s[30:31], 2
	s_delay_alu instid0(SALU_CYCLE_1) | instskip(SKIP_4) | instid1(SALU_CYCLE_1)
	s_add_u32 s4, s2, s4
	s_addc_u32 s5, s3, s5
	s_load_b64 s[4:5], s[4:5], 0x0
	s_waitcnt lgkmcnt(0)
	s_sub_i32 s4, s5, s4
	s_cmp_eq_u32 s4, 1
	s_cselect_b32 s4, -1, 0
	s_delay_alu instid0(SALU_CYCLE_1)
	s_and_not1_b32 vcc_lo, exec_lo, s4
	s_cbranch_vccz .LBB1455_4
.LBB1455_2:
	s_endpgm
.LBB1455_3:
.LBB1455_4:
	s_load_b64 s[4:5], s[0:1], 0x28
	s_lshl_b64 s[6:7], s[30:31], 2
	s_waitcnt lgkmcnt(0)
	s_add_u32 s4, s4, s6
	s_addc_u32 s5, s5, s7
	s_lshl_b32 s12, s14, 8
	s_load_b32 s24, s[4:5], 0x0
	s_waitcnt lgkmcnt(0)
	s_cmp_ge_i32 s12, s24
	s_cbranch_scc1 .LBB1455_2
; %bb.5:
	s_clause 0x1
	s_load_b128 s[20:23], s[0:1], 0x8
	s_load_b64 s[4:5], s[0:1], 0x20
	s_and_not1_b32 vcc_lo, exec_lo, s8
	s_cbranch_vccnz .LBB1455_7
; %bb.6:
	s_add_u32 s2, s2, s6
	s_addc_u32 s3, s3, s7
	s_load_b32 s3, s[2:3], 0x0
	s_branch .LBB1455_8
.LBB1455_7:
	s_mov_b32 s3, s30
.LBB1455_8:
	s_load_b128 s[16:19], s[0:1], 0x48
	v_and_b32_e32 v65, 15, v0
	v_cmp_gt_u32_e32 vcc_lo, 0xa0, v0
	v_lshrrev_b32_e32 v66, 5, v0
	v_and_b32_e32 v67, 31, v0
	v_and_b32_e32 v75, 1, v0
	v_lshlrev_b32_e32 v1, 3, v65
	v_cmp_gt_u32_e64 s2, 8, v65
	v_bfe_u32 v74, v0, 4, 1
	s_mul_i32 s31, s15, 10
	s_delay_alu instid0(VALU_DEP_3) | instskip(NEXT) | instid1(VALU_DEP_3)
	v_lshlrev_b32_e32 v73, 1, v1
	s_and_b32 s7, vcc_lo, s2
	s_delay_alu instid0(SALU_CYCLE_1)
	s_and_saveexec_b32 s6, s7
	s_cbranch_execz .LBB1455_10
; %bb.9:
	s_load_b64 s[8:9], s[0:1], 0x0
	v_lshl_or_b32 v5, v66, 1, v74
	s_waitcnt lgkmcnt(0)
	s_mul_hi_i32 s11, s3, s16
	s_mul_i32 s10, s3, s16
	v_lshlrev_b32_e32 v6, 10, v65
	s_lshl_b64 s[10:11], s[10:11], 1
	v_add_lshl_u32 v1, v5, s31, 6
	v_lshlrev_b32_e32 v5, 6, v5
	v_lshlrev_b32_e32 v7, 10, v75
	v_and_b32_e32 v6, 0x3800, v6
	s_delay_alu instid0(VALU_DEP_4) | instskip(NEXT) | instid1(VALU_DEP_2)
	v_ashrrev_i32_e32 v2, 31, v1
	v_or3_b32 v5, v6, v7, v5
	s_delay_alu instid0(VALU_DEP_2) | instskip(SKIP_2) | instid1(VALU_DEP_1)
	v_lshlrev_b64 v[1:2], 1, v[1:2]
	s_add_u32 s3, s8, s10
	s_addc_u32 s7, s9, s11
	v_add_co_u32 v1, vcc_lo, s3, v1
	s_delay_alu instid0(VALU_DEP_2) | instskip(NEXT) | instid1(VALU_DEP_2)
	v_add_co_ci_u32_e32 v2, vcc_lo, s7, v2, vcc_lo
	v_add_co_u32 v1, vcc_lo, v1, v73
	s_delay_alu instid0(VALU_DEP_2)
	v_add_co_ci_u32_e32 v2, vcc_lo, 0, v2, vcc_lo
	global_load_b128 v[1:4], v[1:2], off
	s_waitcnt vmcnt(0)
	ds_store_b128 v5, v[1:4]
.LBB1455_10:
	s_or_b32 exec_lo, exec_lo, s6
	v_and_b32_e32 v1, 0xef, v0
	s_waitcnt lgkmcnt(0)
	s_add_i32 s3, s24, 31
	s_clause 0x1
	s_load_b32 s6, s[0:1], 0x38
	s_load_b32 s19, s[0:1], 0x1c
	s_ashr_i32 s7, s3, 31
	v_add_nc_u32_e32 v1, s12, v1
	s_lshr_b32 s7, s7, 27
	s_waitcnt lgkmcnt(0)
	s_add_i32 s3, s3, s7
	s_barrier
	v_ashrrev_i32_e32 v2, 31, v1
	v_or_b32_e32 v3, 16, v1
	s_ashr_i32 s3, s3, 5
	v_cmp_gt_i32_e32 vcc_lo, s24, v1
	s_add_i32 s3, s3, -1
	v_lshrrev_b32_e32 v2, 27, v2
	buffer_gl0_inv
	s_mul_i32 s27, s15, s18
	v_add_nc_u32_e32 v4, v1, v2
	s_mul_i32 s6, s30, s6
	s_delay_alu instid0(SALU_CYCLE_1) | instskip(NEXT) | instid1(VALU_DEP_1)
	s_ashr_i32 s7, s6, 31
	v_ashrrev_i32_e32 v4, 5, v4
	v_add_nc_u32_e32 v2, v3, v2
	s_lshl_b64 s[6:7], s[6:7], 2
	s_delay_alu instid0(SALU_CYCLE_1) | instskip(NEXT) | instid1(VALU_DEP_2)
	s_add_u32 s26, s4, s6
	v_cndmask_b32_e32 v1, s3, v4, vcc_lo
	s_delay_alu instid0(VALU_DEP_2)
	v_ashrrev_i32_e32 v2, 5, v2
	v_cmp_gt_i32_e32 vcc_lo, s24, v3
	s_addc_u32 s25, s5, s7
	s_ashr_i32 s28, s27, 31
	s_add_u32 s4, s20, s27
	s_addc_u32 s5, s21, s28
	v_cndmask_b32_e32 v3, s3, v2, vcc_lo
	v_ashrrev_i32_e32 v2, 31, v1
	s_lshl_b32 s6, s14, 3
	s_delay_alu instid0(SALU_CYCLE_1) | instskip(NEXT) | instid1(VALU_DEP_2)
	s_ashr_i32 s7, s6, 31
	v_ashrrev_i32_e32 v4, 31, v3
	s_delay_alu instid0(VALU_DEP_2) | instskip(SKIP_1) | instid1(SALU_CYCLE_1)
	v_lshlrev_b64 v[1:2], 2, v[1:2]
	s_lshl_b64 s[6:7], s[6:7], 2
	s_add_u32 s6, s26, s6
	s_delay_alu instid0(VALU_DEP_2) | instskip(SKIP_1) | instid1(VALU_DEP_2)
	v_lshlrev_b64 v[3:4], 2, v[3:4]
	s_addc_u32 s7, s25, s7
	v_add_co_u32 v1, vcc_lo, s26, v1
	v_add_co_ci_u32_e32 v2, vcc_lo, s25, v2, vcc_lo
	s_delay_alu instid0(VALU_DEP_3) | instskip(NEXT) | instid1(VALU_DEP_4)
	v_add_co_u32 v3, vcc_lo, s26, v3
	v_add_co_ci_u32_e32 v4, vcc_lo, s25, v4, vcc_lo
	s_clause 0x1
	global_load_b32 v5, v[1:2], off
	global_load_b32 v6, v[3:4], off
	s_or_b32 s8, s12, 32
	s_delay_alu instid0(SALU_CYCLE_1) | instskip(SKIP_2) | instid1(SALU_CYCLE_1)
	s_ashr_i32 s9, s8, 5
	s_cmp_lt_i32 s8, s24
	s_cselect_b32 s8, s9, s3
	s_ashr_i32 s9, s8, 31
	s_delay_alu instid0(SALU_CYCLE_1) | instskip(NEXT) | instid1(SALU_CYCLE_1)
	s_lshl_b64 s[8:9], s[8:9], 2
	s_add_u32 s8, s26, s8
	s_addc_u32 s9, s25, s9
	s_or_b32 s10, s12, 64
	s_delay_alu instid0(SALU_CYCLE_1) | instskip(SKIP_2) | instid1(SALU_CYCLE_1)
	s_ashr_i32 s11, s10, 5
	s_cmp_lt_i32 s10, s24
	s_cselect_b32 s10, s11, s3
	s_ashr_i32 s11, s10, 31
	s_delay_alu instid0(SALU_CYCLE_1) | instskip(NEXT) | instid1(SALU_CYCLE_1)
	s_lshl_b64 s[10:11], s[10:11], 2
	s_add_u32 s10, s26, s10
	s_addc_u32 s11, s25, s11
	;; [unrolled: 10-line block ×5, first 2 shown]
	s_clause 0x5
	s_load_b32 s21, s[6:7], 0x0
	s_load_b32 s13, s[8:9], 0x0
	;; [unrolled: 1-line block ×6, first 2 shown]
	s_or_b32 s8, s12, 0xc0
	s_delay_alu instid0(SALU_CYCLE_1) | instskip(SKIP_2) | instid1(SALU_CYCLE_1)
	s_ashr_i32 s9, s8, 5
	s_cmp_lt_i32 s8, s24
	s_cselect_b32 s34, s9, s3
	s_ashr_i32 s35, s34, 31
	s_delay_alu instid0(SALU_CYCLE_1) | instskip(NEXT) | instid1(SALU_CYCLE_1)
	s_lshl_b64 s[34:35], s[34:35], 2
	s_add_u32 s34, s26, s34
	s_addc_u32 s35, s25, s35
	s_or_b32 s29, s12, 0xe0
	s_delay_alu instid0(SALU_CYCLE_1)
	s_ashr_i32 s33, s29, 5
	s_cmp_lt_i32 s29, s24
	s_waitcnt vmcnt(1)
	v_mad_i64_i32 v[1:2], null, v5, s17, s[4:5]
	s_waitcnt vmcnt(0)
	v_mad_i64_i32 v[3:4], null, v6, s17, s[4:5]
	s_mov_b32 s4, 0
	s_delay_alu instid0(SALU_CYCLE_1)
	s_mov_b32 s5, s4
	s_mov_b32 s6, s4
	;; [unrolled: 1-line block ×7, first 2 shown]
	v_lshlrev_b32_e32 v5, 4, v65
	v_dual_mov_b32 v107, s11 :: v_dual_mov_b32 v102, s6
	v_mov_b32_e32 v100, s4
	v_mov_b32_e32 v106, s10
	s_delay_alu instid0(VALU_DEP_4)
	v_add_co_u32 v1, vcc_lo, v1, v5
	v_add_co_ci_u32_e32 v2, vcc_lo, 0, v2, vcc_lo
	v_add_co_u32 v3, vcc_lo, v3, v5
	v_add_co_ci_u32_e32 v4, vcc_lo, 0, v4, vcc_lo
	s_clause 0x7
	global_load_b128 v[49:52], v[1:2], off
	global_load_b128 v[53:56], v[1:2], off offset:512
	global_load_b128 v[76:79], v[3:4], off offset:256
	;; [unrolled: 1-line block ×7, first 2 shown]
	v_add_nc_u32_e32 v1, -10, v65
	v_cmp_gt_u32_e32 vcc_lo, 10, v65
	v_dual_mov_b32 v104, s8 :: v_dual_mov_b32 v103, s7
	v_dual_mov_b32 v101, s5 :: v_dual_lshlrev_b32 v2, 5, v65
	s_delay_alu instid0(VALU_DEP_4)
	v_cndmask_b32_e32 v1, v1, v65, vcc_lo
	v_mov_b32_e32 v105, s9
	s_cselect_b32 s4, s33, s3
	s_load_b32 s3, s[34:35], 0x0
	s_ashr_i32 s5, s4, 31
	v_lshlrev_b32_e32 v70, 6, v1
	s_lshl_b64 s[4:5], s[4:5], 2
	v_lshl_or_b32 v2, v66, 9, v2
	s_add_u32 s4, s26, s4
	s_addc_u32 s5, s25, s5
	ds_load_b128 v[108:111], v70
	ds_load_b128 v[112:115], v70 offset:1024
	s_load_b32 s4, s[4:5], 0x0
	s_add_u32 s6, s22, s27
	s_addc_u32 s7, s23, s28
	v_add_co_u32 v9, s6, s6, v2
	s_delay_alu instid0(VALU_DEP_1) | instskip(SKIP_1) | instid1(VALU_DEP_1)
	v_add_co_ci_u32_e64 v10, null, s7, 0, s6
	s_waitcnt lgkmcnt(0)
	v_mad_i64_i32 v[1:2], null, s21, s17, v[9:10]
	v_mad_i64_i32 v[3:4], null, s13, s17, v[9:10]
	v_mad_i64_i32 v[5:6], null, s15, s17, v[9:10]
	v_mad_i64_i32 v[7:8], null, s16, s17, v[9:10]
	v_mad_i64_i32 v[13:14], null, s20, s17, v[9:10]
	v_mad_i64_i32 v[11:12], null, s18, s17, v[9:10]
	v_mad_i64_i32 v[21:22], null, s3, s17, v[9:10]
	s_clause 0x9
	global_load_b128 v[57:60], v[1:2], off
	global_load_b128 v[61:64], v[1:2], off offset:16
	global_load_b128 v[41:44], v[3:4], off
	global_load_b128 v[45:48], v[3:4], off offset:16
	;; [unrolled: 2-line block ×5, first 2 shown]
	v_mad_i64_i32 v[68:69], null, s4, s17, v[9:10]
	s_clause 0x3
	global_load_b128 v[9:12], v[13:14], off
	global_load_b128 v[13:16], v[13:14], off offset:16
	global_load_b128 v[17:20], v[21:22], off
	global_load_b128 v[21:24], v[21:22], off offset:16
	s_waitcnt vmcnt(20)
	v_wmma_f32_16x16x16_bf16 v[116:123], v[49:56], v[108:115], v[100:107]
	s_clause 0x1
	global_load_b128 v[49:52], v[68:69], off
	global_load_b128 v[53:56], v[68:69], off offset:16
	v_and_b32_e32 v68, 0xe0, v0
	v_mbcnt_lo_u32_b32 v69, -1, 0
	s_delay_alu instid0(VALU_DEP_2)
	v_add_nc_u32_e32 v68, s12, v68
	s_waitcnt vmcnt(20)
	v_wmma_f32_16x16x16_bf16 v[100:107], v[76:83], v[108:115], v[100:107]
	ds_load_b128 v[76:79], v70 offset:2048
	ds_load_b128 v[80:83], v70 offset:3072
	v_xor_b32_e32 v70, 16, v69
	s_waitcnt vmcnt(0) lgkmcnt(0)
	v_or_b32_e32 v68, v68, v74
	s_barrier
	buffer_gl0_inv
	v_cmp_gt_i32_e32 vcc_lo, 32, v70
	v_or_b32_e32 v71, 4, v68
	v_or_b32_e32 v72, 6, v68
	v_cmp_gt_i32_e64 s3, s24, v68
	v_or_b32_e32 v108, 8, v68
	v_or_b32_e32 v109, 10, v68
	v_cmp_gt_i32_e64 s4, s24, v71
	v_cmp_gt_i32_e64 s5, s24, v72
	s_delay_alu instid0(VALU_DEP_4) | instskip(NEXT) | instid1(VALU_DEP_4)
	v_cmp_gt_i32_e64 s6, s24, v108
	v_cmp_gt_i32_e64 s7, s24, v109
	v_wmma_f32_16x16x16_bf16 v[116:123], v[84:91], v[76:83], v[116:123]
	v_cndmask_b32_e32 v69, v69, v70, vcc_lo
	v_or_b32_e32 v70, 2, v68
	v_wmma_f32_16x16x16_bf16 v[100:107], v[92:99], v[76:83], v[100:107]
	v_or_b32_e32 v89, 22, v68
	v_dual_mul_f32 v80, s19, v121 :: v_dual_mul_f32 v81, s19, v120
	v_dual_mul_f32 v92, s19, v117 :: v_dual_mul_f32 v93, s19, v116
	s_delay_alu instid0(VALU_DEP_4)
	v_mul_f32_e32 v96, s19, v105
	v_cmp_gt_i32_e32 vcc_lo, s24, v70
	v_dual_mul_f32 v79, s19, v122 :: v_dual_mul_f32 v82, s19, v119
	v_dual_mul_f32 v83, s19, v118 :: v_dual_mul_f32 v94, s19, v107
	v_cndmask_b32_e64 v93, 0xff7fffff, v93, s3
	v_cndmask_b32_e32 v92, 0xff7fffff, v92, vcc_lo
	v_or_b32_e32 v84, 12, v68
	v_or_b32_e32 v85, 14, v68
	v_cndmask_b32_e64 v71, 0xff7fffff, v83, s4
	v_cndmask_b32_e64 v72, 0xff7fffff, v82, s5
	v_cmp_gt_i32_e64 s13, s24, v89
	v_lshlrev_b32_e32 v89, 2, v69
	v_max3_f32 v82, v93, 0xff7fffff, v92
	v_or_b32_e32 v86, 16, v68
	v_or_b32_e32 v87, 18, v68
	v_mul_f32_e32 v78, s19, v123
	v_cndmask_b32_e64 v81, 0xff7fffff, v81, s6
	v_cndmask_b32_e64 v80, 0xff7fffff, v80, s7
	v_max3_f32 v71, v82, v71, v72
	v_cmp_gt_i32_e64 s8, s24, v84
	v_cmp_gt_i32_e64 s9, s24, v85
	v_or_b32_e32 v88, 20, v68
	v_or_b32_e32 v90, 24, v68
	;; [unrolled: 1-line block ×5, first 2 shown]
	v_dual_mul_f32 v97, s19, v104 :: v_dual_mul_f32 v70, s19, v101
	v_dual_mul_f32 v99, s19, v102 :: v_dual_mul_f32 v68, s19, v100
	v_cndmask_b32_e64 v72, 0xff7fffff, v79, s8
	v_cndmask_b32_e64 v78, 0xff7fffff, v78, s9
	v_max3_f32 v71, v71, v81, v80
	v_cmp_gt_i32_e64 s10, s24, v86
	v_cmp_gt_i32_e64 s11, s24, v87
	v_dual_mul_f32 v95, s19, v106 :: v_dual_mul_f32 v98, s19, v103
	s_delay_alu instid0(VALU_DEP_4) | instskip(NEXT) | instid1(VALU_DEP_4)
	v_max3_f32 v71, v71, v72, v78
	v_cndmask_b32_e64 v68, 0xff7fffff, v68, s10
	s_delay_alu instid0(VALU_DEP_4)
	v_cndmask_b32_e64 v70, 0xff7fffff, v70, s11
	v_cmp_gt_i32_e64 s12, s24, v88
	v_cndmask_b32_e64 v78, 0xff7fffff, v98, s13
	v_cmp_gt_i32_e64 s15, s24, v90
	v_cmp_gt_i32_e64 s16, s24, v91
	v_max3_f32 v68, v71, v68, v70
	v_cndmask_b32_e64 v72, 0xff7fffff, v99, s12
	v_cmp_gt_i32_e64 s17, s24, v76
	v_cndmask_b32_e64 v70, 0xff7fffff, v97, s15
	v_cndmask_b32_e64 v71, 0xff7fffff, v96, s16
	v_cmp_gt_i32_e64 s18, s24, v77
	v_max3_f32 v68, v68, v72, v78
	v_cndmask_b32_e64 v72, 0xff7fffff, v95, s17
	s_delay_alu instid0(VALU_DEP_3) | instskip(NEXT) | instid1(VALU_DEP_3)
	v_cndmask_b32_e64 v76, 0xff7fffff, v94, s18
	v_max3_f32 v68, v68, v70, v71
	s_delay_alu instid0(VALU_DEP_1) | instskip(SKIP_3) | instid1(VALU_DEP_1)
	v_max3_f32 v68, v68, v72, v76
	ds_bpermute_b32 v69, v89, v68
	s_waitcnt lgkmcnt(0)
	v_max_f32_e32 v69, v69, v69
	v_max_f32_e32 v68, v68, v69
	s_delay_alu instid0(VALU_DEP_1) | instskip(NEXT) | instid1(VALU_DEP_1)
	v_fma_f32 v71, s19, v118, -v68
	v_mul_f32_e32 v71, 0x3fb8aa3b, v71
	v_fma_f32 v70, s19, v117, -v68
	v_fma_f32 v69, s19, v116, -v68
	;; [unrolled: 1-line block ×5, first 2 shown]
	s_delay_alu instid0(VALU_DEP_4) | instskip(SKIP_1) | instid1(VALU_DEP_3)
	v_dual_mul_f32 v70, 0x3fb8aa3b, v70 :: v_dual_mul_f32 v69, 0x3fb8aa3b, v69
	v_exp_f32_e32 v71, v71
	v_mul_f32_e32 v72, 0x3fb8aa3b, v72
	v_fma_f32 v81, s19, v105, -v68
	s_delay_alu instid0(VALU_DEP_3)
	v_exp_f32_e32 v70, v70
	v_mul_f32_e32 v77, 0x3fb8aa3b, v76
	v_exp_f32_e32 v69, v69
	v_exp_f32_e32 v72, v72
	v_mul_f32_e32 v81, 0x3fb8aa3b, v81
	v_cndmask_b32_e64 v83, 0, v71, s4
	v_fma_f32 v71, s19, v123, -v68
	s_delay_alu instid0(VALU_DEP_3) | instskip(SKIP_4) | instid1(TRANS32_DEP_3)
	v_exp_f32_e32 v81, v81
	v_cndmask_b32_e32 v76, 0, v70, vcc_lo
	v_exp_f32_e32 v77, v77
	v_cndmask_b32_e64 v80, 0, v69, s3
	v_fma_f32 v69, s19, v121, -v68
	v_cndmask_b32_e64 v85, 0, v72, s5
	v_mul_f32_e32 v71, 0x3fb8aa3b, v71
	v_fma_f32 v72, s19, v100, -v68
	s_delay_alu instid0(VALU_DEP_4) | instskip(SKIP_1) | instid1(VALU_DEP_3)
	v_dual_add_f32 v70, 0, v80 :: v_dual_mul_f32 v69, 0x3fb8aa3b, v69
	s_mov_b32 s3, exec_lo
	v_exp_f32_e32 v71, v71
	s_delay_alu instid0(TRANS32_DEP_2) | instskip(SKIP_4) | instid1(VALU_DEP_3)
	v_cndmask_b32_e64 v86, 0, v77, s6
	v_fma_f32 v77, s19, v101, -v68
	v_mul_f32_e32 v78, 0x3fb8aa3b, v78
	v_add_f32_e32 v70, v70, v76
	v_exp_f32_e32 v69, v69
	v_mul_f32_e32 v77, 0x3fb8aa3b, v77
	s_delay_alu instid0(VALU_DEP_3) | instskip(NEXT) | instid1(TRANS32_DEP_3)
	v_exp_f32_e32 v78, v78
	v_cndmask_b32_e64 v88, 0, v71, s9
	v_fma_f32 v71, s19, v104, -v68
	s_delay_alu instid0(VALU_DEP_3) | instskip(NEXT) | instid1(TRANS32_DEP_3)
	v_exp_f32_e32 v77, v77
	v_cndmask_b32_e64 v87, 0, v69, s7
	s_delay_alu instid0(VALU_DEP_2)
	v_mul_f32_e32 v71, 0x3fb8aa3b, v71
	s_waitcnt_depctr 0xfff
	v_cndmask_b32_e64 v84, 0, v78, s8
	v_add_f32_e32 v70, v70, v83
	v_fma_f32 v78, s19, v103, -v68
	v_exp_f32_e32 v82, v71
	s_delay_alu instid0(VALU_DEP_2) | instskip(SKIP_1) | instid1(VALU_DEP_3)
	v_add_f32_e32 v70, v70, v85
	v_mul_f32_e32 v72, 0x3fb8aa3b, v72
	v_mul_f32_e32 v78, 0x3fb8aa3b, v78
	s_delay_alu instid0(VALU_DEP_3) | instskip(SKIP_1) | instid1(VALU_DEP_4)
	v_add_f32_e32 v69, v70, v86
	v_fma_f32 v70, s19, v102, -v68
	v_exp_f32_e32 v72, v72
	s_delay_alu instid0(VALU_DEP_3) | instskip(NEXT) | instid1(VALU_DEP_1)
	v_exp_f32_e32 v78, v78
	v_dual_add_f32 v69, v69, v87 :: v_dual_mul_f32 v70, 0x3fb8aa3b, v70
	s_delay_alu instid0(VALU_DEP_1) | instskip(NEXT) | instid1(VALU_DEP_2)
	v_add_f32_e32 v69, v69, v84
	v_exp_f32_e32 v79, v70
	s_delay_alu instid0(TRANS32_DEP_3) | instskip(NEXT) | instid1(VALU_DEP_2)
	v_cndmask_b32_e64 v70, 0, v72, s10
	v_add_f32_e32 v72, v69, v88
	v_cndmask_b32_e64 v69, 0, v77, s11
	v_fma_f32 v77, s19, v106, -v68
	s_waitcnt_depctr 0xfff
	v_cndmask_b32_e64 v71, 0, v79, s12
	v_dual_mul_f32 v77, 0x3fb8aa3b, v77 :: v_dual_add_f32 v72, v72, v70
	s_delay_alu instid0(VALU_DEP_1) | instskip(NEXT) | instid1(VALU_DEP_1)
	v_exp_f32_e32 v90, v77
	v_add_f32_e32 v79, v72, v69
	v_cndmask_b32_e64 v72, 0, v78, s13
	v_cndmask_b32_e64 v77, 0, v82, s15
	s_delay_alu instid0(VALU_DEP_3) | instskip(SKIP_1) | instid1(VALU_DEP_1)
	v_add_f32_e32 v78, v79, v71
	v_fma_f32 v79, s19, v107, -v68
	v_dual_add_f32 v82, v78, v72 :: v_dual_mul_f32 v79, 0x3fb8aa3b, v79
	v_cndmask_b32_e64 v78, 0, v81, s16
	s_delay_alu instid0(VALU_DEP_2) | instskip(NEXT) | instid1(VALU_DEP_3)
	v_add_f32_e32 v81, v82, v77
	v_exp_f32_e32 v82, v79
	v_cndmask_b32_e64 v79, 0, v90, s17
	s_delay_alu instid0(VALU_DEP_2) | instskip(NEXT) | instid1(VALU_DEP_1)
	v_add_f32_e32 v81, v81, v78
	v_add_f32_e32 v90, v81, v79
	s_waitcnt_depctr 0xfff
	v_cndmask_b32_e64 v81, 0, v82, s18
	s_delay_alu instid0(VALU_DEP_1)
	v_add_f32_e32 v82, v90, v81
	ds_bpermute_b32 v89, v89, v82
	v_cmpx_gt_u32_e32 16, v67
	s_cbranch_execz .LBB1455_12
; %bb.11:
	v_mul_u32_u24_e32 v67, 0x44, v66
	s_delay_alu instid0(VALU_DEP_1) | instskip(SKIP_1) | instid1(VALU_DEP_1)
	v_lshl_add_u32 v67, v65, 2, v67
	s_waitcnt lgkmcnt(0)
	v_dual_add_f32 v82, v82, v89 :: v_dual_add_nc_u32 v67, 0x4000, v67
	ds_store_2addr_b32 v67, v68, v82 offset1:136
.LBB1455_12:
	s_or_b32 exec_lo, exec_lo, s3
	v_lshlrev_b32_e32 v67, 2, v65
	s_waitcnt lgkmcnt(0)
	s_barrier
	buffer_gl0_inv
	v_cmp_eq_u32_e32 vcc_lo, 1, v66
	v_add_nc_u32_e32 v82, 0x4000, v67
	v_cmp_eq_u32_e64 s3, 2, v66
	v_cmp_eq_u32_e64 s5, 7, v66
	ds_load_2addr_b32 v[89:90], v82 offset1:17
	ds_load_2addr_b32 v[91:92], v82 offset0:34 offset1:51
	ds_load_2addr_b32 v[93:94], v82 offset0:68 offset1:85
	;; [unrolled: 1-line block ×4, first 2 shown]
	s_waitcnt lgkmcnt(4)
	v_max3_f32 v67, v89, 0xff7fffff, v90
	s_waitcnt lgkmcnt(3)
	s_delay_alu instid0(VALU_DEP_1) | instskip(SKIP_1) | instid1(VALU_DEP_1)
	v_max3_f32 v67, v67, v91, v92
	s_waitcnt lgkmcnt(2)
	v_max3_f32 v67, v67, v93, v94
	s_waitcnt lgkmcnt(1)
	s_delay_alu instid0(VALU_DEP_1) | instskip(NEXT) | instid1(VALU_DEP_1)
	v_max3_f32 v67, v67, v95, v96
	v_sub_f32_e32 v93, v93, v67
	s_delay_alu instid0(VALU_DEP_1) | instskip(NEXT) | instid1(VALU_DEP_1)
	v_dual_sub_f32 v68, v89, v67 :: v_dual_mul_f32 v103, 0x3fb8aa3b, v93
	v_mul_f32_e32 v68, 0x3fb8aa3b, v68
	s_delay_alu instid0(VALU_DEP_1)
	v_exp_f32_e32 v100, v68
	v_sub_f32_e32 v68, v92, v67
	v_sub_f32_e32 v99, v90, v67
	ds_load_2addr_b32 v[89:90], v82 offset0:170 offset1:187
	v_dual_mul_f32 v102, 0x3fb8aa3b, v68 :: v_dual_mul_f32 v99, 0x3fb8aa3b, v99
	s_waitcnt lgkmcnt(1)
	v_fma_f32 v68, v100, v97, 0
	s_delay_alu instid0(VALU_DEP_2) | instskip(NEXT) | instid1(VALU_DEP_2)
	v_exp_f32_e32 v102, v102
	v_exp_f32_e32 v99, v99
	s_waitcnt_depctr 0xfff
	v_fmac_f32_e32 v68, v99, v98
	v_sub_f32_e32 v91, v91, v67
	s_delay_alu instid0(VALU_DEP_1)
	v_mul_f32_e32 v101, 0x3fb8aa3b, v91
	ds_load_2addr_b32 v[91:92], v82 offset0:204 offset1:221
	v_sub_f32_e32 v97, v94, v67
	ds_load_2addr_b32 v[93:94], v82 offset0:238 offset1:255
	s_waitcnt lgkmcnt(0)
	v_exp_f32_e32 v101, v101
	s_barrier
	buffer_gl0_inv
	v_dual_fmac_f32 v68, v101, v89 :: v_dual_sub_f32 v89, v96, v67
	v_dual_sub_f32 v82, v95, v67 :: v_dual_mul_f32 v95, 0x3fb8aa3b, v97
	v_exp_f32_e32 v97, v103
	s_delay_alu instid0(VALU_DEP_2) | instskip(NEXT) | instid1(VALU_DEP_2)
	v_dual_fmac_f32 v68, v102, v90 :: v_dual_mul_f32 v89, 0x3fb8aa3b, v89
	v_mul_f32_e32 v82, 0x3fb8aa3b, v82
	s_delay_alu instid0(VALU_DEP_3) | instskip(NEXT) | instid1(VALU_DEP_2)
	v_exp_f32_e32 v95, v95
	v_exp_f32_e32 v89, v89
	s_delay_alu instid0(VALU_DEP_1)
	v_exp_f32_e32 v82, v82
	v_fmac_f32_e32 v68, v97, v91
	s_delay_alu instid0(TRANS32_DEP_3) | instid1(VALU_DEP_1)
	v_fmac_f32_e32 v68, v95, v92
	s_waitcnt_depctr 0xfff
	v_fmac_f32_e32 v68, v82, v93
	s_delay_alu instid0(VALU_DEP_1) | instskip(NEXT) | instid1(VALU_DEP_1)
	v_fmac_f32_e32 v68, v89, v94
	v_add_f32_e32 v90, 0x358637bd, v68
	s_delay_alu instid0(VALU_DEP_1) | instskip(NEXT) | instid1(VALU_DEP_1)
	v_div_scale_f32 v91, null, v90, v90, 1.0
	v_rcp_f32_e32 v92, v91
	s_waitcnt_depctr 0xfff
	v_fma_f32 v93, -v91, v92, 1.0
	s_delay_alu instid0(VALU_DEP_1) | instskip(SKIP_1) | instid1(VALU_DEP_2)
	v_dual_fmac_f32 v92, v93, v92 :: v_dual_cndmask_b32 v93, v100, v99
	v_cmp_eq_u32_e32 vcc_lo, 3, v66
	v_cndmask_b32_e64 v93, v93, v101, s3
	v_cmp_eq_u32_e64 s3, 4, v66
	s_delay_alu instid0(VALU_DEP_2) | instskip(SKIP_1) | instid1(VALU_DEP_2)
	v_cndmask_b32_e32 v93, v93, v102, vcc_lo
	v_cmp_eq_u32_e32 vcc_lo, 5, v66
	v_cndmask_b32_e64 v93, v93, v97, s3
	v_cmp_eq_u32_e64 s3, 6, v66
	s_delay_alu instid0(VALU_DEP_2) | instskip(SKIP_1) | instid1(VALU_DEP_1)
	v_cndmask_b32_e32 v93, v93, v95, vcc_lo
	v_div_scale_f32 v94, s4, 1.0, v90, 1.0
	s_mov_b32 vcc_lo, s4
	s_delay_alu instid0(VALU_DEP_2) | instskip(NEXT) | instid1(VALU_DEP_2)
	v_cndmask_b32_e64 v82, v93, v82, s3
	v_mul_f32_e32 v96, v94, v92
	s_mov_b32 s3, exec_lo
	s_delay_alu instid0(VALU_DEP_2) | instskip(NEXT) | instid1(VALU_DEP_2)
	v_cndmask_b32_e64 v82, v82, v89, s5
	v_fma_f32 v98, -v91, v96, v94
	s_delay_alu instid0(VALU_DEP_1) | instskip(NEXT) | instid1(VALU_DEP_1)
	v_fmac_f32_e32 v96, v98, v92
	v_fma_f32 v91, -v91, v96, v94
	s_delay_alu instid0(VALU_DEP_1) | instskip(NEXT) | instid1(VALU_DEP_1)
	v_div_fmas_f32 v91, v91, v92, v96
	v_div_fixup_f32 v90, v91, v90, 1.0
	s_delay_alu instid0(VALU_DEP_1) | instskip(NEXT) | instid1(VALU_DEP_1)
	v_mul_f32_e32 v82, v82, v90
	v_mul_f32_e32 v87, v82, v87
	;; [unrolled: 1-line block ×7, first 2 shown]
	v_dual_mul_f32 v86, v82, v83 :: v_dual_and_b32 v91, 0x7f800000, v90
	v_mul_f32_e32 v85, v82, v76
                                        ; implicit-def: $vgpr76
	s_delay_alu instid0(VALU_DEP_2)
	v_cmpx_ne_u32_e32 0x7f800000, v91
	s_xor_b32 s3, exec_lo, s3
; %bb.13:
	v_bfe_u32 v76, v90, 16, 1
	s_delay_alu instid0(VALU_DEP_1)
	v_add3_u32 v76, v90, v76, 0x7fff
                                        ; implicit-def: $vgpr90
; %bb.14:
	s_and_not1_saveexec_b32 s3, s3
; %bb.15:
	v_and_b32_e32 v76, 0xffff, v90
	v_or_b32_e32 v83, 0x10000, v90
	s_delay_alu instid0(VALU_DEP_2) | instskip(NEXT) | instid1(VALU_DEP_2)
	v_cmp_eq_u32_e32 vcc_lo, 0, v76
	v_cndmask_b32_e32 v76, v83, v90, vcc_lo
; %bb.16:
	s_or_b32 exec_lo, exec_lo, s3
	v_and_b32_e32 v83, 0x7f800000, v85
	s_delay_alu instid0(VALU_DEP_1) | instskip(SKIP_1) | instid1(SALU_CYCLE_1)
	v_cmp_ne_u32_e32 vcc_lo, 0x7f800000, v83
                                        ; implicit-def: $vgpr83
	s_and_saveexec_b32 s3, vcc_lo
	s_xor_b32 s3, exec_lo, s3
; %bb.17:
	v_bfe_u32 v83, v85, 16, 1
	s_delay_alu instid0(VALU_DEP_1)
	v_add3_u32 v83, v85, v83, 0x7fff
                                        ; implicit-def: $vgpr85
; %bb.18:
	s_and_not1_saveexec_b32 s3, s3
; %bb.19:
	v_and_b32_e32 v83, 0xffff, v85
	v_or_b32_e32 v90, 0x10000, v85
	s_delay_alu instid0(VALU_DEP_2) | instskip(NEXT) | instid1(VALU_DEP_2)
	v_cmp_eq_u32_e32 vcc_lo, 0, v83
	v_cndmask_b32_e32 v83, v90, v85, vcc_lo
; %bb.20:
	s_or_b32 exec_lo, exec_lo, s3
	v_and_b32_e32 v85, 0x7f800000, v86
	s_delay_alu instid0(VALU_DEP_1) | instskip(SKIP_1) | instid1(SALU_CYCLE_1)
	v_cmp_ne_u32_e32 vcc_lo, 0x7f800000, v85
                                        ; implicit-def: $vgpr85
	s_and_saveexec_b32 s3, vcc_lo
	s_xor_b32 s3, exec_lo, s3
; %bb.21:
	v_bfe_u32 v85, v86, 16, 1
	s_delay_alu instid0(VALU_DEP_1)
	v_add3_u32 v85, v86, v85, 0x7fff
                                        ; implicit-def: $vgpr86
; %bb.22:
	s_and_not1_saveexec_b32 s3, s3
; %bb.23:
	v_and_b32_e32 v85, 0xffff, v86
	v_or_b32_e32 v90, 0x10000, v86
	s_delay_alu instid0(VALU_DEP_2) | instskip(NEXT) | instid1(VALU_DEP_2)
	v_cmp_eq_u32_e32 vcc_lo, 0, v85
	v_cndmask_b32_e32 v85, v90, v86, vcc_lo
; %bb.24:
	s_or_b32 exec_lo, exec_lo, s3
	v_and_b32_e32 v86, 0x7f800000, v89
	s_delay_alu instid0(VALU_DEP_1) | instskip(SKIP_1) | instid1(SALU_CYCLE_1)
	v_cmp_ne_u32_e32 vcc_lo, 0x7f800000, v86
                                        ; implicit-def: $vgpr86
	s_and_saveexec_b32 s3, vcc_lo
	s_xor_b32 s3, exec_lo, s3
; %bb.25:
	v_bfe_u32 v86, v89, 16, 1
	s_delay_alu instid0(VALU_DEP_1)
	v_add3_u32 v86, v89, v86, 0x7fff
                                        ; implicit-def: $vgpr89
; %bb.26:
	s_and_not1_saveexec_b32 s3, s3
; %bb.27:
	v_and_b32_e32 v86, 0xffff, v89
	v_or_b32_e32 v90, 0x10000, v89
	s_delay_alu instid0(VALU_DEP_2) | instskip(NEXT) | instid1(VALU_DEP_2)
	v_cmp_eq_u32_e32 vcc_lo, 0, v86
	v_cndmask_b32_e32 v86, v90, v89, vcc_lo
; %bb.28:
	s_or_b32 exec_lo, exec_lo, s3
	v_and_b32_e32 v89, 0x7f800000, v88
	s_delay_alu instid0(VALU_DEP_1) | instskip(SKIP_1) | instid1(SALU_CYCLE_1)
	v_cmp_ne_u32_e32 vcc_lo, 0x7f800000, v89
                                        ; implicit-def: $vgpr89
	s_and_saveexec_b32 s3, vcc_lo
	s_xor_b32 s3, exec_lo, s3
; %bb.29:
	v_bfe_u32 v89, v88, 16, 1
	s_delay_alu instid0(VALU_DEP_1)
	v_add3_u32 v89, v88, v89, 0x7fff
                                        ; implicit-def: $vgpr88
; %bb.30:
	s_and_not1_saveexec_b32 s3, s3
; %bb.31:
	v_and_b32_e32 v89, 0xffff, v88
	v_or_b32_e32 v90, 0x10000, v88
	s_delay_alu instid0(VALU_DEP_2) | instskip(NEXT) | instid1(VALU_DEP_2)
	v_cmp_eq_u32_e32 vcc_lo, 0, v89
	v_cndmask_b32_e32 v89, v90, v88, vcc_lo
; %bb.32:
	s_or_b32 exec_lo, exec_lo, s3
	v_and_b32_e32 v88, 0x7f800000, v87
	s_delay_alu instid0(VALU_DEP_1) | instskip(SKIP_1) | instid1(SALU_CYCLE_1)
	v_cmp_ne_u32_e32 vcc_lo, 0x7f800000, v88
                                        ; implicit-def: $vgpr88
	s_and_saveexec_b32 s3, vcc_lo
	s_xor_b32 s3, exec_lo, s3
; %bb.33:
	v_bfe_u32 v88, v87, 16, 1
	s_delay_alu instid0(VALU_DEP_1)
	v_add3_u32 v88, v87, v88, 0x7fff
                                        ; implicit-def: $vgpr87
; %bb.34:
	s_and_not1_saveexec_b32 s3, s3
; %bb.35:
	v_and_b32_e32 v88, 0xffff, v87
	v_or_b32_e32 v90, 0x10000, v87
	s_delay_alu instid0(VALU_DEP_2) | instskip(NEXT) | instid1(VALU_DEP_2)
	v_cmp_eq_u32_e32 vcc_lo, 0, v88
	v_cndmask_b32_e32 v88, v90, v87, vcc_lo
; %bb.36:
	s_or_b32 exec_lo, exec_lo, s3
	v_and_b32_e32 v87, 0x7f800000, v84
	s_delay_alu instid0(VALU_DEP_1) | instskip(SKIP_1) | instid1(SALU_CYCLE_1)
	v_cmp_ne_u32_e32 vcc_lo, 0x7f800000, v87
                                        ; implicit-def: $vgpr87
	s_and_saveexec_b32 s3, vcc_lo
	s_xor_b32 s3, exec_lo, s3
; %bb.37:
	v_bfe_u32 v87, v84, 16, 1
	s_delay_alu instid0(VALU_DEP_1)
	v_add3_u32 v87, v84, v87, 0x7fff
                                        ; implicit-def: $vgpr84
; %bb.38:
	s_and_not1_saveexec_b32 s3, s3
; %bb.39:
	v_and_b32_e32 v87, 0xffff, v84
	v_or_b32_e32 v90, 0x10000, v84
	s_delay_alu instid0(VALU_DEP_2) | instskip(NEXT) | instid1(VALU_DEP_2)
	v_cmp_eq_u32_e32 vcc_lo, 0, v87
	v_cndmask_b32_e32 v87, v90, v84, vcc_lo
; %bb.40:
	s_or_b32 exec_lo, exec_lo, s3
	v_and_b32_e32 v84, 0x7f800000, v80
	s_delay_alu instid0(VALU_DEP_1) | instskip(SKIP_1) | instid1(SALU_CYCLE_1)
	v_cmp_ne_u32_e32 vcc_lo, 0x7f800000, v84
                                        ; implicit-def: $vgpr84
	s_and_saveexec_b32 s3, vcc_lo
	s_xor_b32 s3, exec_lo, s3
; %bb.41:
	v_bfe_u32 v84, v80, 16, 1
	s_delay_alu instid0(VALU_DEP_1)
	v_add3_u32 v84, v80, v84, 0x7fff
                                        ; implicit-def: $vgpr80
; %bb.42:
	s_and_not1_saveexec_b32 s3, s3
; %bb.43:
	v_and_b32_e32 v84, 0xffff, v80
	v_or_b32_e32 v90, 0x10000, v80
	s_delay_alu instid0(VALU_DEP_2) | instskip(NEXT) | instid1(VALU_DEP_2)
	v_cmp_eq_u32_e32 vcc_lo, 0, v84
	v_cndmask_b32_e32 v84, v90, v80, vcc_lo
; %bb.44:
	s_or_b32 exec_lo, exec_lo, s3
	s_load_b64 s[34:35], s[0:1], 0x94
	v_lshlrev_b32_e32 v91, 4, v74
	s_delay_alu instid0(VALU_DEP_2)
	v_perm_b32 v90, v84, v87, 0x7060302
	v_dual_mul_f32 v79, v82, v79 :: v_dual_lshlrev_b32 v80, 6, v65
	v_dual_mul_f32 v77, v82, v77 :: v_dual_lshlrev_b32 v92, 11, v66
	v_mul_f32_e32 v84, v82, v70
	v_perm_b32 v89, v88, v89, 0x7060302
	v_perm_b32 v88, v86, v85, 0x7060302
	;; [unrolled: 1-line block ×3, first 2 shown]
	v_mul_f32_e32 v70, v82, v81
	v_or3_b32 v76, v91, v92, v80
	v_dual_mul_f32 v78, v82, v78 :: v_dual_and_b32 v85, 0x7f800000, v84
	v_mul_f32_e32 v83, v82, v72
	v_mul_f32_e32 v81, v82, v71
	;; [unrolled: 1-line block ×3, first 2 shown]
	s_mov_b32 s3, exec_lo
	ds_store_b128 v76, v[87:90]
                                        ; implicit-def: $vgpr69
	v_cmpx_ne_u32_e32 0x7f800000, v85
	s_xor_b32 s3, exec_lo, s3
; %bb.45:
	v_bfe_u32 v69, v84, 16, 1
	s_delay_alu instid0(VALU_DEP_1)
	v_add3_u32 v69, v84, v69, 0x7fff
                                        ; implicit-def: $vgpr84
; %bb.46:
	s_and_not1_saveexec_b32 s3, s3
; %bb.47:
	v_and_b32_e32 v69, 0xffff, v84
	v_or_b32_e32 v71, 0x10000, v84
	s_delay_alu instid0(VALU_DEP_2) | instskip(NEXT) | instid1(VALU_DEP_2)
	v_cmp_eq_u32_e32 vcc_lo, 0, v69
	v_cndmask_b32_e32 v69, v71, v84, vcc_lo
; %bb.48:
	s_or_b32 exec_lo, exec_lo, s3
	v_and_b32_e32 v71, 0x7f800000, v72
	s_delay_alu instid0(VALU_DEP_1) | instskip(SKIP_1) | instid1(SALU_CYCLE_1)
	v_cmp_ne_u32_e32 vcc_lo, 0x7f800000, v71
                                        ; implicit-def: $vgpr71
	s_and_saveexec_b32 s3, vcc_lo
	s_xor_b32 s3, exec_lo, s3
; %bb.49:
	v_bfe_u32 v71, v72, 16, 1
	s_delay_alu instid0(VALU_DEP_1)
	v_add3_u32 v71, v72, v71, 0x7fff
                                        ; implicit-def: $vgpr72
; %bb.50:
	s_and_not1_saveexec_b32 s3, s3
; %bb.51:
	v_and_b32_e32 v71, 0xffff, v72
	v_or_b32_e32 v82, 0x10000, v72
	s_delay_alu instid0(VALU_DEP_2) | instskip(NEXT) | instid1(VALU_DEP_2)
	v_cmp_eq_u32_e32 vcc_lo, 0, v71
	v_cndmask_b32_e32 v71, v82, v72, vcc_lo
; %bb.52:
	s_or_b32 exec_lo, exec_lo, s3
	v_and_b32_e32 v72, 0x7f800000, v81
	s_delay_alu instid0(VALU_DEP_1) | instskip(SKIP_1) | instid1(SALU_CYCLE_1)
	v_cmp_ne_u32_e32 vcc_lo, 0x7f800000, v72
                                        ; implicit-def: $vgpr72
	s_and_saveexec_b32 s3, vcc_lo
	s_xor_b32 s3, exec_lo, s3
; %bb.53:
	v_bfe_u32 v72, v81, 16, 1
	s_delay_alu instid0(VALU_DEP_1)
	v_add3_u32 v72, v81, v72, 0x7fff
                                        ; implicit-def: $vgpr81
; %bb.54:
	s_and_not1_saveexec_b32 s3, s3
; %bb.55:
	v_and_b32_e32 v72, 0xffff, v81
	v_or_b32_e32 v82, 0x10000, v81
	s_delay_alu instid0(VALU_DEP_2) | instskip(NEXT) | instid1(VALU_DEP_2)
	v_cmp_eq_u32_e32 vcc_lo, 0, v72
	v_cndmask_b32_e32 v72, v82, v81, vcc_lo
; %bb.56:
	s_or_b32 exec_lo, exec_lo, s3
	v_and_b32_e32 v81, 0x7f800000, v83
	s_delay_alu instid0(VALU_DEP_1) | instskip(SKIP_1) | instid1(SALU_CYCLE_1)
	v_cmp_ne_u32_e32 vcc_lo, 0x7f800000, v81
                                        ; implicit-def: $vgpr81
	s_and_saveexec_b32 s3, vcc_lo
	s_xor_b32 s3, exec_lo, s3
; %bb.57:
	v_bfe_u32 v81, v83, 16, 1
	s_delay_alu instid0(VALU_DEP_1)
	v_add3_u32 v81, v83, v81, 0x7fff
                                        ; implicit-def: $vgpr83
; %bb.58:
	s_and_not1_saveexec_b32 s3, s3
; %bb.59:
	v_and_b32_e32 v81, 0xffff, v83
	v_or_b32_e32 v82, 0x10000, v83
	s_delay_alu instid0(VALU_DEP_2) | instskip(NEXT) | instid1(VALU_DEP_2)
	v_cmp_eq_u32_e32 vcc_lo, 0, v81
	v_cndmask_b32_e32 v81, v82, v83, vcc_lo
; %bb.60:
	s_or_b32 exec_lo, exec_lo, s3
	v_and_b32_e32 v82, 0x7f800000, v77
	s_delay_alu instid0(VALU_DEP_1) | instskip(SKIP_1) | instid1(SALU_CYCLE_1)
	v_cmp_ne_u32_e32 vcc_lo, 0x7f800000, v82
                                        ; implicit-def: $vgpr82
	s_and_saveexec_b32 s3, vcc_lo
	s_xor_b32 s3, exec_lo, s3
; %bb.61:
	v_bfe_u32 v82, v77, 16, 1
	s_delay_alu instid0(VALU_DEP_1)
	v_add3_u32 v82, v77, v82, 0x7fff
                                        ; implicit-def: $vgpr77
; %bb.62:
	s_and_not1_saveexec_b32 s3, s3
; %bb.63:
	v_and_b32_e32 v82, 0xffff, v77
	v_or_b32_e32 v83, 0x10000, v77
	s_delay_alu instid0(VALU_DEP_2) | instskip(NEXT) | instid1(VALU_DEP_2)
	v_cmp_eq_u32_e32 vcc_lo, 0, v82
	v_cndmask_b32_e32 v82, v83, v77, vcc_lo
; %bb.64:
	s_or_b32 exec_lo, exec_lo, s3
	v_and_b32_e32 v77, 0x7f800000, v78
	s_delay_alu instid0(VALU_DEP_1) | instskip(SKIP_1) | instid1(SALU_CYCLE_1)
	v_cmp_ne_u32_e32 vcc_lo, 0x7f800000, v77
                                        ; implicit-def: $vgpr77
	s_and_saveexec_b32 s3, vcc_lo
	s_xor_b32 s3, exec_lo, s3
; %bb.65:
	v_bfe_u32 v77, v78, 16, 1
	s_delay_alu instid0(VALU_DEP_1)
	v_add3_u32 v77, v78, v77, 0x7fff
                                        ; implicit-def: $vgpr78
; %bb.66:
	s_and_not1_saveexec_b32 s3, s3
; %bb.67:
	v_and_b32_e32 v77, 0xffff, v78
	v_or_b32_e32 v83, 0x10000, v78
	s_delay_alu instid0(VALU_DEP_2) | instskip(NEXT) | instid1(VALU_DEP_2)
	v_cmp_eq_u32_e32 vcc_lo, 0, v77
	v_cndmask_b32_e32 v77, v83, v78, vcc_lo
; %bb.68:
	s_or_b32 exec_lo, exec_lo, s3
	v_and_b32_e32 v78, 0x7f800000, v79
	s_delay_alu instid0(VALU_DEP_1) | instskip(SKIP_1) | instid1(SALU_CYCLE_1)
	v_cmp_ne_u32_e32 vcc_lo, 0x7f800000, v78
                                        ; implicit-def: $vgpr78
	s_and_saveexec_b32 s3, vcc_lo
	s_xor_b32 s3, exec_lo, s3
; %bb.69:
	v_bfe_u32 v78, v79, 16, 1
	s_delay_alu instid0(VALU_DEP_1)
	v_add3_u32 v78, v79, v78, 0x7fff
                                        ; implicit-def: $vgpr79
; %bb.70:
	s_and_not1_saveexec_b32 s3, s3
; %bb.71:
	v_and_b32_e32 v78, 0xffff, v79
	v_or_b32_e32 v83, 0x10000, v79
	s_delay_alu instid0(VALU_DEP_2) | instskip(NEXT) | instid1(VALU_DEP_2)
	v_cmp_eq_u32_e32 vcc_lo, 0, v78
	v_cndmask_b32_e32 v78, v83, v79, vcc_lo
; %bb.72:
	s_or_b32 exec_lo, exec_lo, s3
	v_and_b32_e32 v79, 0x7f800000, v70
	s_delay_alu instid0(VALU_DEP_1) | instskip(SKIP_1) | instid1(SALU_CYCLE_1)
	v_cmp_ne_u32_e32 vcc_lo, 0x7f800000, v79
                                        ; implicit-def: $vgpr79
	s_and_saveexec_b32 s3, vcc_lo
	s_xor_b32 s3, exec_lo, s3
; %bb.73:
	v_bfe_u32 v79, v70, 16, 1
	s_delay_alu instid0(VALU_DEP_1)
	v_add3_u32 v79, v70, v79, 0x7fff
                                        ; implicit-def: $vgpr70
; %bb.74:
	s_and_not1_saveexec_b32 s3, s3
; %bb.75:
	v_and_b32_e32 v79, 0xffff, v70
	v_or_b32_e32 v83, 0x10000, v70
	s_delay_alu instid0(VALU_DEP_2) | instskip(NEXT) | instid1(VALU_DEP_2)
	v_cmp_eq_u32_e32 vcc_lo, 0, v79
	v_cndmask_b32_e32 v79, v83, v70, vcc_lo
; %bb.76:
	s_or_b32 exec_lo, exec_lo, s3
	s_delay_alu instid0(VALU_DEP_1)
	v_perm_b32 v86, v79, v78, 0x7060302
	v_perm_b32 v85, v77, v82, 0x7060302
	;; [unrolled: 1-line block ×4, first 2 shown]
	v_lshl_or_b32 v82, v66, 11, v80
	ds_store_b128 v76, v[83:86] offset:1024
	s_waitcnt lgkmcnt(0)
	s_barrier
	buffer_gl0_inv
	ds_load_b128 v[69:72], v82
	ds_load_b128 v[83:86], v82 offset:16
	s_waitcnt lgkmcnt(1)
	v_lshrrev_b32_e32 v66, 16, v69
	s_waitcnt lgkmcnt(0)
	v_lshrrev_b32_e32 v91, 16, v83
	v_lshlrev_b32_e32 v78, 2, v74
	v_lshrrev_b32_e32 v95, 16, v70
	v_lshrrev_b32_e32 v98, 16, v84
	;; [unrolled: 1-line block ×4, first 2 shown]
	v_cmp_eq_u32_e32 vcc_lo, 1, v78
	v_lshrrev_b32_e32 v97, 16, v72
	v_lshrrev_b32_e32 v100, 16, v86
	v_cndmask_b32_e32 v87, v83, v91, vcc_lo
	v_or_b32_e32 v79, 1, v78
	v_cndmask_b32_e32 v81, v69, v66, vcc_lo
	v_cmp_eq_u32_e64 s4, 2, v78
	v_cmp_eq_u32_e64 s7, 3, v78
	;; [unrolled: 1-line block ×5, first 2 shown]
	v_cndmask_b32_e64 v81, v81, v70, s4
	v_cndmask_b32_e64 v87, v87, v84, s4
	v_cmp_eq_u32_e64 s8, 3, v79
	v_cndmask_b32_e64 v88, v69, v66, s3
	v_or_b32_e32 v77, 2, v78
	v_cndmask_b32_e64 v81, v81, v95, s7
	v_cndmask_b32_e64 v87, v87, v98, s7
	;; [unrolled: 1-line block ×4, first 2 shown]
	v_cmp_eq_u32_e64 s10, 5, v78
	v_cndmask_b32_e64 v81, v81, v71, s9
	v_cndmask_b32_e64 v87, v87, v85, s9
	v_cmp_eq_u32_e64 s11, 4, v79
	v_cndmask_b32_e64 v88, v88, v95, s8
	v_cmp_eq_u32_e64 s5, 1, v77
	v_cndmask_b32_e64 v89, v89, v84, s6
	v_cndmask_b32_e64 v81, v81, v96, s10
	v_cmp_eq_u32_e64 s12, 6, v78
	v_cndmask_b32_e64 v88, v88, v71, s11
	;; [unrolled: 3-line block ×3, first 2 shown]
	v_cndmask_b32_e64 v89, v89, v98, s8
	v_cndmask_b32_e64 v81, v81, v72, s12
	v_cmp_eq_u32_e64 s15, 7, v78
	v_cndmask_b32_e64 v88, v88, v96, s13
	v_cndmask_b32_e64 v87, v87, v86, s12
	v_cmp_eq_u32_e64 s16, 6, v79
	v_cmp_eq_u32_e64 s17, 2, v77
	v_cndmask_b32_e64 v89, v89, v85, s11
	v_cndmask_b32_e64 v101, v81, v97, s15
	;; [unrolled: 1-line block ×6, first 2 shown]
	v_cmp_eq_u32_e64 s18, 7, v79
	v_cmp_eq_u32_e64 s19, 3, v77
	;; [unrolled: 1-line block ×4, first 2 shown]
	v_cndmask_b32_e64 v87, v87, v84, s17
	v_cndmask_b32_e64 v103, v88, v97, s18
	v_cndmask_b32_e64 v88, v89, v99, s13
	v_cndmask_b32_e64 v89, v81, v95, s19
	v_or_b32_e32 v81, 3, v78
	v_cndmask_b32_e64 v93, v87, v98, s19
	v_cmp_eq_u32_e64 s24, 6, v77
	v_cndmask_b32_e64 v104, v88, v86, s16
	v_cndmask_b32_e64 v92, v89, v71, s20
	v_cmp_eq_u32_e64 s21, 1, v81
	ds_load_b128 v[87:90], v82 offset:1024
	v_cmp_eq_u32_e64 s23, 2, v81
	v_cmp_eq_u32_e64 s25, 3, v81
	v_cndmask_b32_e64 v105, v92, v96, s22
	v_cndmask_b32_e64 v66, v69, v66, s21
	;; [unrolled: 1-line block ×4, first 2 shown]
	ds_load_b128 v[91:94], v82 offset:1040
	v_cmp_eq_u32_e64 s26, 4, v81
	v_cndmask_b32_e64 v66, v66, v70, s23
	v_cmp_eq_u32_e64 s27, 7, v77
	v_cndmask_b32_e64 v70, v83, v84, s23
	v_cndmask_b32_e64 v84, v105, v72, s24
	v_cmp_eq_u32_e64 s28, 5, v81
	v_cndmask_b32_e64 v66, v66, v95, s25
	v_cmp_eq_u32_e64 s29, 6, v81
	v_cndmask_b32_e64 v70, v70, v98, s25
	v_cndmask_b32_e64 v69, v69, v99, s22
	;; [unrolled: 1-line block ×4, first 2 shown]
	s_waitcnt lgkmcnt(1)
	v_lshrrev_b32_e32 v95, 16, v87
	v_cndmask_b32_e64 v70, v70, v85, s26
	v_cndmask_b32_e64 v71, v84, v97, s27
	;; [unrolled: 1-line block ×4, first 2 shown]
	v_cndmask_b32_e32 v84, v87, v95, vcc_lo
	v_cndmask_b32_e64 v70, v70, v99, s28
	s_waitcnt lgkmcnt(0)
	v_lshrrev_b32_e32 v85, 16, v91
	v_lshrrev_b32_e32 v96, 16, v88
	v_cndmask_b32_e64 v98, v87, v95, s3
	v_cndmask_b32_e64 v84, v84, v88, s4
	;; [unrolled: 1-line block ×3, first 2 shown]
	v_cndmask_b32_e32 v99, v91, v85, vcc_lo
	v_cmp_eq_u32_e32 vcc_lo, 7, v81
	v_cndmask_b32_e64 v66, v66, v72, s29
	v_cndmask_b32_e64 v72, v84, v96, s7
	;; [unrolled: 1-line block ×3, first 2 shown]
	v_lshrrev_b32_e32 v98, 16, v92
	v_cndmask_b32_e32 v70, v70, v100, vcc_lo
	v_cndmask_b32_e64 v86, v99, v92, s4
	v_cndmask_b32_e64 v69, v69, v100, s27
	v_lshrrev_b32_e32 v100, 16, v93
	v_cndmask_b32_e64 v72, v72, v89, s9
	v_lshrrev_b32_e32 v99, 16, v89
	v_cndmask_b32_e64 v86, v86, v98, s7
	v_perm_b32 v71, v69, v71, 0x5040100
	v_cndmask_b32_e64 v84, v84, v96, s8
	s_delay_alu instid0(VALU_DEP_3) | instskip(NEXT) | instid1(VALU_DEP_2)
	v_cndmask_b32_e64 v86, v86, v93, s9
	v_cndmask_b32_e64 v84, v84, v89, s11
	s_delay_alu instid0(VALU_DEP_2) | instskip(NEXT) | instid1(VALU_DEP_1)
	v_cndmask_b32_e64 v86, v86, v100, s10
	v_cndmask_b32_e64 v69, v86, v94, s12
	;; [unrolled: 1-line block ×5, first 2 shown]
	s_delay_alu instid0(VALU_DEP_3) | instskip(NEXT) | instid1(VALU_DEP_3)
	v_cndmask_b32_e64 v86, v86, v88, s17
	v_cndmask_b32_e64 v87, v87, v88, s23
	s_delay_alu instid0(VALU_DEP_3) | instskip(NEXT) | instid1(VALU_DEP_3)
	v_cndmask_b32_e64 v88, v95, v92, s23
	v_cndmask_b32_e64 v86, v86, v96, s19
	;; [unrolled: 3-line block ×7, first 2 shown]
	s_delay_alu instid0(VALU_DEP_3) | instskip(SKIP_2) | instid1(VALU_DEP_2)
	v_cndmask_b32_e64 v88, v88, v94, s29
	v_cndmask_b32_e32 v66, v66, v97, vcc_lo
	v_cndmask_b32_e64 v97, v72, v99, s10
	v_perm_b32 v72, v70, v66, 0x5040100
	v_perm_b32 v70, v83, v103, 0x5040100
	v_cndmask_b32_e64 v103, v91, v85, s5
	v_cndmask_b32_e64 v85, v91, v85, s3
	;; [unrolled: 1-line block ×4, first 2 shown]
	v_lshrrev_b32_e32 v97, 16, v90
	v_cndmask_b32_e64 v91, v103, v92, s17
	v_cndmask_b32_e64 v85, v85, v92, s6
	;; [unrolled: 1-line block ×3, first 2 shown]
	s_mov_b32 s3, exec_lo
	v_cndmask_b32_e64 v83, v84, v97, s15
	v_cndmask_b32_e64 v91, v91, v98, s19
	;; [unrolled: 1-line block ×3, first 2 shown]
	v_lshrrev_b32_e32 v84, 16, v94
	v_cndmask_b32_e64 v66, v66, v97, s18
	v_cndmask_b32_e64 v90, v86, v97, s27
	;; [unrolled: 1-line block ×4, first 2 shown]
	v_dual_cndmask_b32 v86, v87, v97 :: v_dual_cndmask_b32 v87, v88, v84
	v_cndmask_b32_e64 v91, v69, v84, s15
	s_delay_alu instid0(VALU_DEP_4) | instskip(NEXT) | instid1(VALU_DEP_4)
	v_cndmask_b32_e64 v89, v89, v100, s22
	v_cndmask_b32_e64 v85, v85, v100, s13
	v_perm_b32 v69, v102, v101, 0x5040100
	v_perm_b32 v86, v87, v86, 0x5040100
	;; [unrolled: 1-line block ×3, first 2 shown]
	v_cndmask_b32_e64 v89, v89, v94, s24
	v_cndmask_b32_e64 v85, v85, v94, s16
	s_mul_i32 s8, s35, 10
	s_delay_alu instid0(VALU_DEP_2) | instskip(NEXT) | instid1(VALU_DEP_2)
	v_cndmask_b32_e64 v88, v89, v84, s27
	v_cndmask_b32_e64 v89, v85, v84, s18
	s_delay_alu instid0(VALU_DEP_2) | instskip(NEXT) | instid1(VALU_DEP_2)
	v_perm_b32 v85, v88, v90, 0x5040100
	v_perm_b32 v84, v89, v66, 0x5040100
	ds_store_b128 v76, v[69:72]
	ds_store_b128 v76, v[83:86] offset:1024
	v_cmpx_gt_u32_e32 10, v0
	s_cbranch_execz .LBB1455_78
; %bb.77:
	s_mul_i32 s4, s8, s30
	s_delay_alu instid0(SALU_CYCLE_1) | instskip(SKIP_1) | instid1(VALU_DEP_1)
	v_add3_u32 v69, s4, s31, v65
	s_load_b128 s[4:7], s[0:1], 0x58
	v_mad_u64_u32 v[65:66], null, v69, s34, s[14:15]
	s_delay_alu instid0(VALU_DEP_1) | instskip(NEXT) | instid1(VALU_DEP_1)
	v_ashrrev_i32_e32 v66, 31, v65
	v_lshlrev_b64 v[65:66], 2, v[65:66]
	s_waitcnt lgkmcnt(0)
	s_delay_alu instid0(VALU_DEP_1) | instskip(NEXT) | instid1(VALU_DEP_2)
	v_add_co_u32 v69, vcc_lo, s6, v65
	v_add_co_ci_u32_e32 v70, vcc_lo, s7, v66, vcc_lo
	v_add_co_u32 v65, vcc_lo, s4, v65
	v_add_co_ci_u32_e32 v66, vcc_lo, s5, v66, vcc_lo
	global_store_b32 v[69:70], v67, off
	global_store_b32 v[65:66], v68, off
.LBB1455_78:
	s_or_b32 exec_lo, exec_lo, s3
	s_waitcnt lgkmcnt(0)
	s_waitcnt_vscnt null, 0x0
	s_barrier
	buffer_gl0_inv
	ds_load_b128 v[83:86], v80
	ds_load_b128 v[87:90], v80 offset:16
	ds_load_b128 v[95:98], v80 offset:2064
	ds_load_b128 v[91:94], v80 offset:2048
	v_mov_b32_e32 v65, 0
	ds_load_b128 v[103:106], v80 offset:4112
	ds_load_b128 v[99:102], v80 offset:4096
	;; [unrolled: 1-line block ×4, first 2 shown]
	v_mov_b32_e32 v66, v65
	v_mov_b32_e32 v67, v65
	v_mov_b32_e32 v68, v65
	v_mov_b32_e32 v69, v65
	v_mov_b32_e32 v70, v65
	v_mov_b32_e32 v71, v65
	v_mov_b32_e32 v72, v65
	s_waitcnt lgkmcnt(6)
	s_delay_alu instid0(VALU_DEP_1)
	v_wmma_f32_16x16x16_bf16 v[65:72], v[57:64], v[83:90], v[65:72]
	ds_load_b128 v[61:64], v80 offset:8208
	ds_load_b128 v[57:60], v80 offset:8192
	s_waitcnt lgkmcnt(6)
	v_wmma_f32_16x16x16_bf16 v[65:72], v[41:48], v[91:98], v[65:72]
	ds_load_b128 v[45:48], v80 offset:10256
	ds_load_b128 v[41:44], v80 offset:10240
	s_waitcnt lgkmcnt(6)
	;; [unrolled: 4-line block ×4, first 2 shown]
	v_wmma_f32_16x16x16_bf16 v[65:72], v[1:8], v[57:64], v[65:72]
	s_waitcnt lgkmcnt(4)
	s_delay_alu instid0(VALU_DEP_1) | instskip(SKIP_1) | instid1(VALU_DEP_1)
	v_wmma_f32_16x16x16_bf16 v[65:72], v[9:16], v[41:48], v[65:72]
	s_waitcnt lgkmcnt(2)
	v_wmma_f32_16x16x16_bf16 v[65:72], v[17:24], v[33:40], v[65:72]
	s_waitcnt lgkmcnt(0)
	s_delay_alu instid0(VALU_DEP_1) | instskip(NEXT) | instid1(VALU_DEP_1)
	v_wmma_f32_16x16x16_bf16 v[65:72], v[49:56], v[25:32], v[65:72]
	v_and_b32_e32 v1, 0x7f800000, v65
	s_delay_alu instid0(VALU_DEP_1) | instskip(SKIP_1) | instid1(SALU_CYCLE_1)
	v_cmp_ne_u32_e32 vcc_lo, 0x7f800000, v1
                                        ; implicit-def: $vgpr1
	s_and_saveexec_b32 s3, vcc_lo
	s_xor_b32 s3, exec_lo, s3
; %bb.79:
	v_bfe_u32 v1, v65, 16, 1
	s_delay_alu instid0(VALU_DEP_1)
	v_add3_u32 v1, v65, v1, 0x7fff
; %bb.80:
	s_and_not1_saveexec_b32 s3, s3
; %bb.81:
	v_and_b32_e32 v1, 0xffff, v65
	v_or_b32_e32 v2, 0x10000, v65
	s_delay_alu instid0(VALU_DEP_2) | instskip(NEXT) | instid1(VALU_DEP_2)
	v_cmp_eq_u32_e32 vcc_lo, 0, v1
	v_cndmask_b32_e32 v1, v2, v65, vcc_lo
; %bb.82:
	s_or_b32 exec_lo, exec_lo, s3
	v_and_b32_e32 v2, 0x7f800000, v66
	s_delay_alu instid0(VALU_DEP_1) | instskip(SKIP_1) | instid1(SALU_CYCLE_1)
	v_cmp_ne_u32_e32 vcc_lo, 0x7f800000, v2
                                        ; implicit-def: $vgpr2
	s_and_saveexec_b32 s3, vcc_lo
	s_xor_b32 s3, exec_lo, s3
; %bb.83:
	v_bfe_u32 v2, v66, 16, 1
	s_delay_alu instid0(VALU_DEP_1)
	v_add3_u32 v2, v66, v2, 0x7fff
; %bb.84:
	s_and_not1_saveexec_b32 s3, s3
; %bb.85:
	v_and_b32_e32 v2, 0xffff, v66
	v_or_b32_e32 v3, 0x10000, v66
	s_delay_alu instid0(VALU_DEP_2) | instskip(NEXT) | instid1(VALU_DEP_2)
	v_cmp_eq_u32_e32 vcc_lo, 0, v2
	v_cndmask_b32_e32 v2, v3, v66, vcc_lo
; %bb.86:
	s_or_b32 exec_lo, exec_lo, s3
	v_and_b32_e32 v3, 0x7f800000, v67
	s_delay_alu instid0(VALU_DEP_1) | instskip(SKIP_1) | instid1(SALU_CYCLE_1)
	v_cmp_ne_u32_e32 vcc_lo, 0x7f800000, v3
                                        ; implicit-def: $vgpr3
	s_and_saveexec_b32 s3, vcc_lo
	s_xor_b32 s3, exec_lo, s3
; %bb.87:
	v_bfe_u32 v3, v67, 16, 1
	s_delay_alu instid0(VALU_DEP_1)
	v_add3_u32 v3, v67, v3, 0x7fff
; %bb.88:
	s_and_not1_saveexec_b32 s3, s3
; %bb.89:
	v_and_b32_e32 v3, 0xffff, v67
	v_or_b32_e32 v4, 0x10000, v67
	s_delay_alu instid0(VALU_DEP_2) | instskip(NEXT) | instid1(VALU_DEP_2)
	v_cmp_eq_u32_e32 vcc_lo, 0, v3
	v_cndmask_b32_e32 v3, v4, v67, vcc_lo
; %bb.90:
	s_or_b32 exec_lo, exec_lo, s3
	v_and_b32_e32 v4, 0x7f800000, v68
	s_delay_alu instid0(VALU_DEP_1) | instskip(SKIP_1) | instid1(SALU_CYCLE_1)
	v_cmp_ne_u32_e32 vcc_lo, 0x7f800000, v4
                                        ; implicit-def: $vgpr4
	s_and_saveexec_b32 s3, vcc_lo
	s_xor_b32 s3, exec_lo, s3
; %bb.91:
	v_bfe_u32 v4, v68, 16, 1
	s_delay_alu instid0(VALU_DEP_1)
	v_add3_u32 v4, v68, v4, 0x7fff
; %bb.92:
	s_and_not1_saveexec_b32 s3, s3
; %bb.93:
	v_and_b32_e32 v4, 0xffff, v68
	v_or_b32_e32 v5, 0x10000, v68
	s_delay_alu instid0(VALU_DEP_2) | instskip(NEXT) | instid1(VALU_DEP_2)
	v_cmp_eq_u32_e32 vcc_lo, 0, v4
	v_cndmask_b32_e32 v4, v5, v68, vcc_lo
; %bb.94:
	s_or_b32 exec_lo, exec_lo, s3
	v_and_b32_e32 v5, 0x7f800000, v69
	s_delay_alu instid0(VALU_DEP_1) | instskip(SKIP_1) | instid1(SALU_CYCLE_1)
	v_cmp_ne_u32_e32 vcc_lo, 0x7f800000, v5
                                        ; implicit-def: $vgpr5
	s_and_saveexec_b32 s3, vcc_lo
	s_xor_b32 s3, exec_lo, s3
; %bb.95:
	v_bfe_u32 v5, v69, 16, 1
	s_delay_alu instid0(VALU_DEP_1)
	v_add3_u32 v5, v69, v5, 0x7fff
; %bb.96:
	s_and_not1_saveexec_b32 s3, s3
; %bb.97:
	v_and_b32_e32 v5, 0xffff, v69
	v_or_b32_e32 v6, 0x10000, v69
	s_delay_alu instid0(VALU_DEP_2) | instskip(NEXT) | instid1(VALU_DEP_2)
	v_cmp_eq_u32_e32 vcc_lo, 0, v5
	v_cndmask_b32_e32 v5, v6, v69, vcc_lo
; %bb.98:
	s_or_b32 exec_lo, exec_lo, s3
	v_and_b32_e32 v6, 0x7f800000, v70
	s_delay_alu instid0(VALU_DEP_1) | instskip(SKIP_1) | instid1(SALU_CYCLE_1)
	v_cmp_ne_u32_e32 vcc_lo, 0x7f800000, v6
                                        ; implicit-def: $vgpr6
	s_and_saveexec_b32 s3, vcc_lo
	s_xor_b32 s3, exec_lo, s3
; %bb.99:
	v_bfe_u32 v6, v70, 16, 1
	s_delay_alu instid0(VALU_DEP_1)
	v_add3_u32 v6, v70, v6, 0x7fff
; %bb.100:
	s_and_not1_saveexec_b32 s3, s3
; %bb.101:
	v_and_b32_e32 v6, 0xffff, v70
	v_or_b32_e32 v7, 0x10000, v70
	s_delay_alu instid0(VALU_DEP_2) | instskip(NEXT) | instid1(VALU_DEP_2)
	v_cmp_eq_u32_e32 vcc_lo, 0, v6
	v_cndmask_b32_e32 v6, v7, v70, vcc_lo
; %bb.102:
	s_or_b32 exec_lo, exec_lo, s3
	v_and_b32_e32 v7, 0x7f800000, v71
	s_delay_alu instid0(VALU_DEP_1) | instskip(SKIP_1) | instid1(SALU_CYCLE_1)
	v_cmp_ne_u32_e32 vcc_lo, 0x7f800000, v7
                                        ; implicit-def: $vgpr7
	s_and_saveexec_b32 s3, vcc_lo
	s_xor_b32 s3, exec_lo, s3
; %bb.103:
	v_bfe_u32 v7, v71, 16, 1
	s_delay_alu instid0(VALU_DEP_1)
	v_add3_u32 v7, v71, v7, 0x7fff
; %bb.104:
	s_and_not1_saveexec_b32 s3, s3
; %bb.105:
	v_and_b32_e32 v7, 0xffff, v71
	v_or_b32_e32 v8, 0x10000, v71
	s_delay_alu instid0(VALU_DEP_2) | instskip(NEXT) | instid1(VALU_DEP_2)
	v_cmp_eq_u32_e32 vcc_lo, 0, v7
	v_cndmask_b32_e32 v7, v8, v71, vcc_lo
; %bb.106:
	s_or_b32 exec_lo, exec_lo, s3
	v_and_b32_e32 v8, 0x7f800000, v72
	s_delay_alu instid0(VALU_DEP_1) | instskip(SKIP_1) | instid1(SALU_CYCLE_1)
	v_cmp_ne_u32_e32 vcc_lo, 0x7f800000, v8
                                        ; implicit-def: $vgpr8
	s_and_saveexec_b32 s3, vcc_lo
	s_xor_b32 s3, exec_lo, s3
; %bb.107:
	v_bfe_u32 v8, v72, 16, 1
	s_delay_alu instid0(VALU_DEP_1)
	v_add3_u32 v8, v72, v8, 0x7fff
                                        ; implicit-def: $vgpr65_vgpr66_vgpr67_vgpr68_vgpr69_vgpr70_vgpr71_vgpr72
; %bb.108:
	s_and_not1_saveexec_b32 s3, s3
; %bb.109:
	v_and_b32_e32 v8, 0xffff, v72
	v_or_b32_e32 v9, 0x10000, v72
	s_delay_alu instid0(VALU_DEP_2) | instskip(NEXT) | instid1(VALU_DEP_2)
	v_cmp_eq_u32_e32 vcc_lo, 0, v8
	v_cndmask_b32_e32 v8, v9, v72, vcc_lo
; %bb.110:
	s_or_b32 exec_lo, exec_lo, s3
	s_delay_alu instid0(VALU_DEP_1)
	v_perm_b32 v7, v8, v7, 0x7060302
	v_perm_b32 v6, v6, v5, 0x7060302
	;; [unrolled: 1-line block ×4, first 2 shown]
	s_barrier
	buffer_gl0_inv
	v_cmp_eq_u32_e32 vcc_lo, 1, v78
	ds_store_b128 v76, v[4:7]
	s_waitcnt lgkmcnt(0)
	s_barrier
	buffer_gl0_inv
	ds_load_b128 v[1:4], v82
	ds_load_b128 v[5:8], v82 offset:16
	v_cmp_eq_u32_e64 s3, 1, v79
	v_cmp_eq_u32_e64 s4, 2, v78
	;; [unrolled: 1-line block ×5, first 2 shown]
	s_waitcnt lgkmcnt(1)
	v_lshrrev_b32_e32 v9, 16, v1
	s_waitcnt lgkmcnt(0)
	v_lshrrev_b32_e32 v13, 16, v5
	v_lshrrev_b32_e32 v10, 16, v2
	;; [unrolled: 1-line block ×4, first 2 shown]
	v_cndmask_b32_e64 v19, v1, v9, s3
	v_cndmask_b32_e32 v18, v5, v13, vcc_lo
	v_cndmask_b32_e64 v20, v5, v13, s3
	v_cndmask_b32_e32 v17, v1, v9, vcc_lo
	v_cmp_eq_u32_e32 vcc_lo, 2, v79
	v_lshrrev_b32_e32 v15, 16, v7
	v_cmp_eq_u32_e64 s3, 1, v77
	v_lshrrev_b32_e32 v12, 16, v4
	v_lshrrev_b32_e32 v16, 16, v8
	v_cndmask_b32_e32 v20, v20, v6, vcc_lo
	v_cndmask_b32_e64 v17, v17, v2, s4
	v_cndmask_b32_e32 v19, v19, v2, vcc_lo
	v_cndmask_b32_e64 v18, v18, v6, s4
	v_cmp_eq_u32_e32 vcc_lo, 4, v78
	v_cmp_eq_u32_e64 s4, 3, v79
	v_cndmask_b32_e64 v17, v17, v10, s5
	v_cndmask_b32_e64 v21, v1, v9, s3
	;; [unrolled: 1-line block ×5, first 2 shown]
	v_cndmask_b32_e32 v17, v17, v3, vcc_lo
	v_cndmask_b32_e64 v20, v20, v14, s4
	v_cndmask_b32_e32 v18, v18, v7, vcc_lo
	v_cmp_eq_u32_e32 vcc_lo, 4, v79
	v_cmp_eq_u32_e64 s4, 5, v79
	v_cmp_eq_u32_e64 s3, 2, v81
	v_cndmask_b32_e64 v21, v21, v2, s7
	v_cmp_eq_u32_e64 s5, 5, v78
	v_cndmask_b32_e32 v19, v19, v3, vcc_lo
	v_cndmask_b32_e32 v20, v20, v7, vcc_lo
	v_cmp_eq_u32_e32 vcc_lo, 6, v79
	s_delay_alu instid0(VALU_DEP_4) | instskip(NEXT) | instid1(VALU_DEP_4)
	v_cndmask_b32_e64 v17, v17, v11, s5
	v_cndmask_b32_e64 v19, v19, v11, s4
	s_delay_alu instid0(VALU_DEP_4) | instskip(SKIP_1) | instid1(VALU_DEP_3)
	v_cndmask_b32_e64 v20, v20, v15, s4
	v_cmp_eq_u32_e64 s4, 1, v81
	v_cndmask_b32_e32 v19, v19, v4, vcc_lo
	v_cndmask_b32_e64 v18, v18, v15, s5
	s_delay_alu instid0(VALU_DEP_3)
	v_cndmask_b32_e64 v1, v1, v9, s4
	v_cndmask_b32_e64 v5, v5, v13, s4
	v_cmp_eq_u32_e64 s4, 3, v77
	v_cndmask_b32_e64 v13, v22, v6, s7
	v_cmp_eq_u32_e64 s7, 3, v81
	v_cndmask_b32_e64 v1, v1, v2, s3
	v_cndmask_b32_e64 v2, v5, v6, s3
	;; [unrolled: 1-line block ×3, first 2 shown]
	v_cmp_eq_u32_e64 s3, 4, v77
	v_cndmask_b32_e64 v6, v13, v14, s4
	v_cndmask_b32_e64 v1, v1, v10, s7
	v_cmp_eq_u32_e64 s4, 4, v81
	v_cndmask_b32_e64 v2, v2, v14, s7
	v_cndmask_b32_e64 v5, v9, v3, s3
	;; [unrolled: 3-line block ×3, first 2 shown]
	v_cndmask_b32_e64 v2, v2, v7, s4
	v_cmp_eq_u32_e64 s3, 5, v81
	v_cmp_eq_u32_e64 s5, 6, v78
	v_cndmask_b32_e64 v5, v5, v11, s7
	v_cmp_eq_u32_e64 s4, 6, v77
	v_cndmask_b32_e64 v3, v6, v15, s7
	v_cndmask_b32_e64 v1, v1, v11, s3
	v_cmp_eq_u32_e64 s7, 6, v81
	v_cndmask_b32_e64 v2, v2, v15, s3
	v_cndmask_b32_e64 v17, v17, v4, s5
	v_cndmask_b32_e64 v18, v18, v8, s5
	v_cmp_eq_u32_e64 s5, 7, v78
	v_cndmask_b32_e64 v5, v5, v4, s4
	;; [unrolled: 4-line block ×3, first 2 shown]
	v_cmp_eq_u32_e64 s4, 7, v77
	v_cndmask_b32_e32 v4, v20, v8, vcc_lo
	v_cndmask_b32_e64 v17, v17, v12, s5
	v_cndmask_b32_e64 v19, v19, v12, s6
	;; [unrolled: 1-line block ×8, first 2 shown]
	v_cmp_gt_u32_e32 vcc_lo, 32, v0
	v_perm_b32 v4, v2, v1, 0x5040100
	v_perm_b32 v3, v3, v5, 0x5040100
	;; [unrolled: 1-line block ×4, first 2 shown]
	s_and_b32 s2, vcc_lo, s2
	ds_store_b128 v76, v[1:4]
	s_waitcnt lgkmcnt(0)
	s_barrier
	buffer_gl0_inv
	s_and_saveexec_b32 s3, s2
	s_cbranch_execz .LBB1455_2
; %bb.111:
	s_load_b64 s[0:1], s[0:1], 0x68
	s_lshl_b32 s4, s34, 6
	v_or_b32_e32 v2, s31, v74
	s_mul_i32 s2, s4, s30
	v_lshlrev_b32_e32 v0, 10, v0
	s_mul_i32 s2, s2, s8
	v_lshlrev_b32_e32 v1, 4, v75
	s_ashr_i32 s3, s2, 31
	v_mul_lo_u32 v20, v2, s4
	s_lshl_b64 s[2:3], s[2:3], 1
	v_lshlrev_b32_e32 v3, 6, v74
	v_and_b32_e32 v0, 0x3800, v0
	s_delay_alu instid0(VALU_DEP_1) | instskip(NEXT) | instid1(VALU_DEP_4)
	v_or3_b32 v16, v0, v1, v3
	v_ashrrev_i32_e32 v21, 31, v20
	ds_load_b128 v[0:3], v16
	ds_load_b128 v[4:7], v16 offset:128
	s_waitcnt lgkmcnt(0)
	s_add_u32 s2, s0, s2
	s_addc_u32 s3, s1, s3
	s_lshl_b32 s0, s14, 6
	ds_load_b128 v[8:11], v16 offset:256
	ds_load_b128 v[12:15], v16 offset:384
	;; [unrolled: 1-line block ×3, first 2 shown]
	s_ashr_i32 s1, s0, 31
	s_delay_alu instid0(SALU_CYCLE_1) | instskip(NEXT) | instid1(SALU_CYCLE_1)
	s_lshl_b64 s[0:1], s[0:1], 1
	s_add_u32 s0, s2, s0
	s_addc_u32 s1, s3, s1
	s_lshl_b32 s2, s34, 7
	v_add_co_u32 v30, s0, s0, v73
	v_add_nc_u32_e32 v22, s2, v20
	v_lshlrev_b64 v[20:21], 1, v[20:21]
	v_add_co_ci_u32_e64 v31, null, s1, 0, s0
	s_delay_alu instid0(VALU_DEP_3) | instskip(SKIP_1) | instid1(VALU_DEP_4)
	v_add_nc_u32_e32 v24, s2, v22
	v_ashrrev_i32_e32 v23, 31, v22
	v_add_co_u32 v20, vcc_lo, v30, v20
	s_delay_alu instid0(VALU_DEP_4) | instskip(NEXT) | instid1(VALU_DEP_4)
	v_add_co_ci_u32_e32 v21, vcc_lo, v31, v21, vcc_lo
	v_add_nc_u32_e32 v26, s2, v24
	v_ashrrev_i32_e32 v25, 31, v24
	v_lshlrev_b64 v[22:23], 1, v[22:23]
	s_delay_alu instid0(VALU_DEP_3) | instskip(SKIP_1) | instid1(VALU_DEP_4)
	v_add_nc_u32_e32 v28, s2, v26
	v_ashrrev_i32_e32 v27, 31, v26
	v_lshlrev_b64 v[24:25], 1, v[24:25]
	s_delay_alu instid0(VALU_DEP_4) | instskip(NEXT) | instid1(VALU_DEP_4)
	v_add_co_u32 v22, vcc_lo, v30, v22
	v_ashrrev_i32_e32 v29, 31, v28
	s_delay_alu instid0(VALU_DEP_4) | instskip(SKIP_2) | instid1(VALU_DEP_4)
	v_lshlrev_b64 v[26:27], 1, v[26:27]
	v_add_co_ci_u32_e32 v23, vcc_lo, v31, v23, vcc_lo
	v_add_co_u32 v24, vcc_lo, v30, v24
	v_lshlrev_b64 v[28:29], 1, v[28:29]
	v_add_co_ci_u32_e32 v25, vcc_lo, v31, v25, vcc_lo
	v_add_co_u32 v26, vcc_lo, v30, v26
	v_add_co_ci_u32_e32 v27, vcc_lo, v31, v27, vcc_lo
	s_delay_alu instid0(VALU_DEP_4)
	v_add_co_u32 v28, vcc_lo, v30, v28
	v_add_co_ci_u32_e32 v29, vcc_lo, v31, v29, vcc_lo
	s_clause 0x1
	global_store_b128 v[20:21], v[0:3], off
	global_store_b128 v[22:23], v[4:7], off
	s_waitcnt lgkmcnt(2)
	global_store_b128 v[24:25], v[8:11], off
	s_waitcnt lgkmcnt(1)
	;; [unrolled: 2-line block ×3, first 2 shown]
	global_store_b128 v[28:29], v[16:19], off
	s_nop 0
	s_sendmsg sendmsg(MSG_DEALLOC_VGPRS)
	s_endpgm
	.section	.rodata,"a",@progbits
	.p2align	6, 0x0
	.amdhsa_kernel _Z39paged_attention_ll4mi_QKV_mfma16_kernelI14__hip_bfloat16hLN4vllm18Fp8KVCacheDataTypeE1EhLi32ELi64ELi256ELb0ELi10EL8MFMAType1EEvPKT_PKT0_S9_ifPKiSB_SB_iPKfiiiPfSE_PS4_PT2_iSD_SD_
		.amdhsa_group_segment_fixed_size 17472
		.amdhsa_private_segment_fixed_size 0
		.amdhsa_kernarg_size 400
		.amdhsa_user_sgpr_count 13
		.amdhsa_user_sgpr_dispatch_ptr 0
		.amdhsa_user_sgpr_queue_ptr 0
		.amdhsa_user_sgpr_kernarg_segment_ptr 1
		.amdhsa_user_sgpr_dispatch_id 0
		.amdhsa_user_sgpr_private_segment_size 0
		.amdhsa_wavefront_size32 1
		.amdhsa_uses_dynamic_stack 0
		.amdhsa_enable_private_segment 0
		.amdhsa_system_sgpr_workgroup_id_x 1
		.amdhsa_system_sgpr_workgroup_id_y 1
		.amdhsa_system_sgpr_workgroup_id_z 1
		.amdhsa_system_sgpr_workgroup_info 0
		.amdhsa_system_vgpr_workitem_id 0
		.amdhsa_next_free_vgpr 124
		.amdhsa_next_free_sgpr 40
		.amdhsa_reserve_vcc 1
		.amdhsa_float_round_mode_32 0
		.amdhsa_float_round_mode_16_64 0
		.amdhsa_float_denorm_mode_32 3
		.amdhsa_float_denorm_mode_16_64 3
		.amdhsa_dx10_clamp 1
		.amdhsa_ieee_mode 1
		.amdhsa_fp16_overflow 0
		.amdhsa_workgroup_processor_mode 1
		.amdhsa_memory_ordered 1
		.amdhsa_forward_progress 0
		.amdhsa_shared_vgpr_count 0
		.amdhsa_exception_fp_ieee_invalid_op 0
		.amdhsa_exception_fp_denorm_src 0
		.amdhsa_exception_fp_ieee_div_zero 0
		.amdhsa_exception_fp_ieee_overflow 0
		.amdhsa_exception_fp_ieee_underflow 0
		.amdhsa_exception_fp_ieee_inexact 0
		.amdhsa_exception_int_div_zero 0
	.end_amdhsa_kernel
	.section	.text._Z39paged_attention_ll4mi_QKV_mfma16_kernelI14__hip_bfloat16hLN4vllm18Fp8KVCacheDataTypeE1EhLi32ELi64ELi256ELb0ELi10EL8MFMAType1EEvPKT_PKT0_S9_ifPKiSB_SB_iPKfiiiPfSE_PS4_PT2_iSD_SD_,"axG",@progbits,_Z39paged_attention_ll4mi_QKV_mfma16_kernelI14__hip_bfloat16hLN4vllm18Fp8KVCacheDataTypeE1EhLi32ELi64ELi256ELb0ELi10EL8MFMAType1EEvPKT_PKT0_S9_ifPKiSB_SB_iPKfiiiPfSE_PS4_PT2_iSD_SD_,comdat
.Lfunc_end1455:
	.size	_Z39paged_attention_ll4mi_QKV_mfma16_kernelI14__hip_bfloat16hLN4vllm18Fp8KVCacheDataTypeE1EhLi32ELi64ELi256ELb0ELi10EL8MFMAType1EEvPKT_PKT0_S9_ifPKiSB_SB_iPKfiiiPfSE_PS4_PT2_iSD_SD_, .Lfunc_end1455-_Z39paged_attention_ll4mi_QKV_mfma16_kernelI14__hip_bfloat16hLN4vllm18Fp8KVCacheDataTypeE1EhLi32ELi64ELi256ELb0ELi10EL8MFMAType1EEvPKT_PKT0_S9_ifPKiSB_SB_iPKfiiiPfSE_PS4_PT2_iSD_SD_
                                        ; -- End function
	.section	.AMDGPU.csdata,"",@progbits
; Kernel info:
; codeLenInByte = 8824
; NumSgprs: 42
; NumVgprs: 124
; ScratchSize: 0
; MemoryBound: 0
; FloatMode: 240
; IeeeMode: 1
; LDSByteSize: 17472 bytes/workgroup (compile time only)
; SGPRBlocks: 5
; VGPRBlocks: 15
; NumSGPRsForWavesPerEU: 42
; NumVGPRsForWavesPerEU: 124
; Occupancy: 10
; WaveLimiterHint : 1
; COMPUTE_PGM_RSRC2:SCRATCH_EN: 0
; COMPUTE_PGM_RSRC2:USER_SGPR: 13
; COMPUTE_PGM_RSRC2:TRAP_HANDLER: 0
; COMPUTE_PGM_RSRC2:TGID_X_EN: 1
; COMPUTE_PGM_RSRC2:TGID_Y_EN: 1
; COMPUTE_PGM_RSRC2:TGID_Z_EN: 1
; COMPUTE_PGM_RSRC2:TIDIG_COMP_CNT: 0
	.section	.text._Z39paged_attention_ll4mi_QKV_mfma16_kernelI14__hip_bfloat16hLN4vllm18Fp8KVCacheDataTypeE1EhLi32ELi64ELi256ELb0ELi11EL8MFMAType1EEvPKT_PKT0_S9_ifPKiSB_SB_iPKfiiiPfSE_PS4_PT2_iSD_SD_,"axG",@progbits,_Z39paged_attention_ll4mi_QKV_mfma16_kernelI14__hip_bfloat16hLN4vllm18Fp8KVCacheDataTypeE1EhLi32ELi64ELi256ELb0ELi11EL8MFMAType1EEvPKT_PKT0_S9_ifPKiSB_SB_iPKfiiiPfSE_PS4_PT2_iSD_SD_,comdat
	.protected	_Z39paged_attention_ll4mi_QKV_mfma16_kernelI14__hip_bfloat16hLN4vllm18Fp8KVCacheDataTypeE1EhLi32ELi64ELi256ELb0ELi11EL8MFMAType1EEvPKT_PKT0_S9_ifPKiSB_SB_iPKfiiiPfSE_PS4_PT2_iSD_SD_ ; -- Begin function _Z39paged_attention_ll4mi_QKV_mfma16_kernelI14__hip_bfloat16hLN4vllm18Fp8KVCacheDataTypeE1EhLi32ELi64ELi256ELb0ELi11EL8MFMAType1EEvPKT_PKT0_S9_ifPKiSB_SB_iPKfiiiPfSE_PS4_PT2_iSD_SD_
	.globl	_Z39paged_attention_ll4mi_QKV_mfma16_kernelI14__hip_bfloat16hLN4vllm18Fp8KVCacheDataTypeE1EhLi32ELi64ELi256ELb0ELi11EL8MFMAType1EEvPKT_PKT0_S9_ifPKiSB_SB_iPKfiiiPfSE_PS4_PT2_iSD_SD_
	.p2align	8
	.type	_Z39paged_attention_ll4mi_QKV_mfma16_kernelI14__hip_bfloat16hLN4vllm18Fp8KVCacheDataTypeE1EhLi32ELi64ELi256ELb0ELi11EL8MFMAType1EEvPKT_PKT0_S9_ifPKiSB_SB_iPKfiiiPfSE_PS4_PT2_iSD_SD_,@function
_Z39paged_attention_ll4mi_QKV_mfma16_kernelI14__hip_bfloat16hLN4vllm18Fp8KVCacheDataTypeE1EhLi32ELi64ELi256ELb0ELi11EL8MFMAType1EEvPKT_PKT0_S9_ifPKiSB_SB_iPKfiiiPfSE_PS4_PT2_iSD_SD_: ; @_Z39paged_attention_ll4mi_QKV_mfma16_kernelI14__hip_bfloat16hLN4vllm18Fp8KVCacheDataTypeE1EhLi32ELi64ELi256ELb0ELi11EL8MFMAType1EEvPKT_PKT0_S9_ifPKiSB_SB_iPKfiiiPfSE_PS4_PT2_iSD_SD_
; %bb.0:
	s_load_b64 s[2:3], s[0:1], 0x30
	s_mov_b32 s34, s13
	s_waitcnt lgkmcnt(0)
	s_cmp_lg_u64 s[2:3], 0
	s_cselect_b32 s8, -1, 0
	s_ashr_i32 s35, s13, 31
	s_cmp_eq_u64 s[2:3], 0
	s_cbranch_scc1 .LBB1456_3
; %bb.1:
	s_lshl_b64 s[4:5], s[34:35], 2
	s_delay_alu instid0(SALU_CYCLE_1) | instskip(SKIP_4) | instid1(SALU_CYCLE_1)
	s_add_u32 s4, s2, s4
	s_addc_u32 s5, s3, s5
	s_load_b64 s[4:5], s[4:5], 0x0
	s_waitcnt lgkmcnt(0)
	s_sub_i32 s4, s5, s4
	s_cmp_eq_u32 s4, 1
	s_cselect_b32 s4, -1, 0
	s_delay_alu instid0(SALU_CYCLE_1)
	s_and_not1_b32 vcc_lo, exec_lo, s4
	s_cbranch_vccz .LBB1456_4
.LBB1456_2:
	s_nop 0
	s_sendmsg sendmsg(MSG_DEALLOC_VGPRS)
	s_endpgm
.LBB1456_3:
.LBB1456_4:
	s_load_b64 s[4:5], s[0:1], 0x28
	s_lshl_b64 s[6:7], s[34:35], 2
	s_waitcnt lgkmcnt(0)
	s_add_u32 s4, s4, s6
	s_addc_u32 s5, s5, s7
	s_lshl_b32 s12, s14, 8
	s_load_b32 s24, s[4:5], 0x0
	s_waitcnt lgkmcnt(0)
	s_cmp_ge_i32 s12, s24
	s_cbranch_scc1 .LBB1456_2
; %bb.5:
	s_clause 0x1
	s_load_b128 s[20:23], s[0:1], 0x8
	s_load_b64 s[4:5], s[0:1], 0x20
	s_and_not1_b32 vcc_lo, exec_lo, s8
	s_cbranch_vccnz .LBB1456_7
; %bb.6:
	s_add_u32 s2, s2, s6
	s_addc_u32 s3, s3, s7
	s_load_b32 s3, s[2:3], 0x0
	s_branch .LBB1456_8
.LBB1456_7:
	s_mov_b32 s3, s34
.LBB1456_8:
	s_load_b128 s[16:19], s[0:1], 0x48
	v_lshrrev_b32_e32 v66, 5, v0
	v_bfe_u32 v74, v0, 4, 1
	v_and_b32_e32 v65, 15, v0
	v_and_b32_e32 v67, 31, v0
	v_and_b32_e32 v75, 1, v0
	s_mul_i32 s31, s15, 11
	v_lshl_or_b32 v1, v66, 1, v74
	v_lshlrev_b32_e32 v2, 3, v65
	v_cmp_gt_u32_e64 s2, 8, v65
	s_delay_alu instid0(VALU_DEP_3) | instskip(NEXT) | instid1(VALU_DEP_3)
	v_cmp_gt_u32_e32 vcc_lo, 11, v1
	v_lshlrev_b32_e32 v73, 1, v2
	s_delay_alu instid0(VALU_DEP_3) | instskip(NEXT) | instid1(SALU_CYCLE_1)
	s_and_b32 s7, s2, vcc_lo
	s_and_saveexec_b32 s6, s7
	s_cbranch_execz .LBB1456_10
; %bb.9:
	s_load_b64 s[8:9], s[0:1], 0x0
	v_add_lshl_u32 v2, v1, s31, 6
	s_waitcnt lgkmcnt(0)
	s_mul_hi_i32 s11, s3, s16
	s_mul_i32 s10, s3, s16
	v_lshlrev_b32_e32 v6, 10, v65
	s_lshl_b64 s[10:11], s[10:11], 1
	v_ashrrev_i32_e32 v3, 31, v2
	v_lshlrev_b32_e32 v1, 6, v1
	v_lshlrev_b32_e32 v7, 10, v75
	v_and_b32_e32 v6, 0x3800, v6
	s_delay_alu instid0(VALU_DEP_4) | instskip(NEXT) | instid1(VALU_DEP_2)
	v_lshlrev_b64 v[2:3], 1, v[2:3]
	v_or3_b32 v1, v6, v7, v1
	s_add_u32 s3, s8, s10
	s_addc_u32 s7, s9, s11
	s_delay_alu instid0(VALU_DEP_2) | instskip(NEXT) | instid1(VALU_DEP_3)
	v_add_co_u32 v2, vcc_lo, s3, v2
	v_add_co_ci_u32_e32 v3, vcc_lo, s7, v3, vcc_lo
	s_delay_alu instid0(VALU_DEP_2) | instskip(NEXT) | instid1(VALU_DEP_2)
	v_add_co_u32 v2, vcc_lo, v2, v73
	v_add_co_ci_u32_e32 v3, vcc_lo, 0, v3, vcc_lo
	global_load_b128 v[2:5], v[2:3], off
	s_waitcnt vmcnt(0)
	ds_store_b128 v1, v[2:5]
.LBB1456_10:
	s_or_b32 exec_lo, exec_lo, s6
	v_and_b32_e32 v1, 0xef, v0
	s_waitcnt lgkmcnt(0)
	s_add_i32 s3, s24, 31
	s_clause 0x1
	s_load_b32 s6, s[0:1], 0x38
	s_load_b32 s19, s[0:1], 0x1c
	s_ashr_i32 s7, s3, 31
	v_add_nc_u32_e32 v1, s12, v1
	s_lshr_b32 s7, s7, 27
	s_waitcnt lgkmcnt(0)
	s_add_i32 s3, s3, s7
	s_barrier
	v_ashrrev_i32_e32 v2, 31, v1
	v_or_b32_e32 v3, 16, v1
	s_ashr_i32 s3, s3, 5
	v_cmp_gt_i32_e32 vcc_lo, s24, v1
	s_add_i32 s3, s3, -1
	v_lshrrev_b32_e32 v2, 27, v2
	buffer_gl0_inv
	s_mul_i32 s27, s15, s18
	v_add_nc_u32_e32 v4, v1, v2
	s_mul_i32 s6, s34, s6
	s_delay_alu instid0(SALU_CYCLE_1) | instskip(NEXT) | instid1(VALU_DEP_1)
	s_ashr_i32 s7, s6, 31
	v_ashrrev_i32_e32 v4, 5, v4
	v_add_nc_u32_e32 v2, v3, v2
	s_lshl_b64 s[6:7], s[6:7], 2
	s_delay_alu instid0(SALU_CYCLE_1) | instskip(NEXT) | instid1(VALU_DEP_2)
	s_add_u32 s26, s4, s6
	v_cndmask_b32_e32 v1, s3, v4, vcc_lo
	s_delay_alu instid0(VALU_DEP_2)
	v_ashrrev_i32_e32 v2, 5, v2
	v_cmp_gt_i32_e32 vcc_lo, s24, v3
	s_addc_u32 s25, s5, s7
	s_ashr_i32 s28, s27, 31
	s_add_u32 s4, s20, s27
	s_addc_u32 s5, s21, s28
	v_cndmask_b32_e32 v3, s3, v2, vcc_lo
	v_ashrrev_i32_e32 v2, 31, v1
	s_lshl_b32 s6, s14, 3
	s_delay_alu instid0(SALU_CYCLE_1) | instskip(NEXT) | instid1(VALU_DEP_2)
	s_ashr_i32 s7, s6, 31
	v_ashrrev_i32_e32 v4, 31, v3
	s_delay_alu instid0(VALU_DEP_2) | instskip(SKIP_1) | instid1(SALU_CYCLE_1)
	v_lshlrev_b64 v[1:2], 2, v[1:2]
	s_lshl_b64 s[6:7], s[6:7], 2
	s_add_u32 s6, s26, s6
	s_delay_alu instid0(VALU_DEP_2) | instskip(SKIP_1) | instid1(VALU_DEP_2)
	v_lshlrev_b64 v[3:4], 2, v[3:4]
	s_addc_u32 s7, s25, s7
	v_add_co_u32 v1, vcc_lo, s26, v1
	v_add_co_ci_u32_e32 v2, vcc_lo, s25, v2, vcc_lo
	s_delay_alu instid0(VALU_DEP_3) | instskip(NEXT) | instid1(VALU_DEP_4)
	v_add_co_u32 v3, vcc_lo, s26, v3
	v_add_co_ci_u32_e32 v4, vcc_lo, s25, v4, vcc_lo
	s_clause 0x1
	global_load_b32 v5, v[1:2], off
	global_load_b32 v6, v[3:4], off
	s_or_b32 s8, s12, 32
	s_delay_alu instid0(SALU_CYCLE_1) | instskip(SKIP_2) | instid1(SALU_CYCLE_1)
	s_ashr_i32 s9, s8, 5
	s_cmp_lt_i32 s8, s24
	s_cselect_b32 s8, s9, s3
	s_ashr_i32 s9, s8, 31
	s_delay_alu instid0(SALU_CYCLE_1) | instskip(NEXT) | instid1(SALU_CYCLE_1)
	s_lshl_b64 s[8:9], s[8:9], 2
	s_add_u32 s8, s26, s8
	s_addc_u32 s9, s25, s9
	s_or_b32 s10, s12, 64
	s_delay_alu instid0(SALU_CYCLE_1) | instskip(SKIP_2) | instid1(SALU_CYCLE_1)
	s_ashr_i32 s11, s10, 5
	s_cmp_lt_i32 s10, s24
	s_cselect_b32 s10, s11, s3
	s_ashr_i32 s11, s10, 31
	s_delay_alu instid0(SALU_CYCLE_1) | instskip(NEXT) | instid1(SALU_CYCLE_1)
	s_lshl_b64 s[10:11], s[10:11], 2
	s_add_u32 s10, s26, s10
	s_addc_u32 s11, s25, s11
	;; [unrolled: 10-line block ×5, first 2 shown]
	s_clause 0x5
	s_load_b32 s21, s[6:7], 0x0
	s_load_b32 s13, s[8:9], 0x0
	;; [unrolled: 1-line block ×6, first 2 shown]
	s_or_b32 s8, s12, 0xc0
	s_delay_alu instid0(SALU_CYCLE_1) | instskip(SKIP_2) | instid1(SALU_CYCLE_1)
	s_ashr_i32 s9, s8, 5
	s_cmp_lt_i32 s8, s24
	s_cselect_b32 s36, s9, s3
	s_ashr_i32 s37, s36, 31
	s_delay_alu instid0(SALU_CYCLE_1) | instskip(NEXT) | instid1(SALU_CYCLE_1)
	s_lshl_b64 s[36:37], s[36:37], 2
	s_add_u32 s36, s26, s36
	s_addc_u32 s37, s25, s37
	s_or_b32 s29, s12, 0xe0
	s_delay_alu instid0(SALU_CYCLE_1)
	s_ashr_i32 s30, s29, 5
	s_cmp_lt_i32 s29, s24
	s_waitcnt vmcnt(1)
	v_mad_i64_i32 v[1:2], null, v5, s17, s[4:5]
	s_waitcnt vmcnt(0)
	v_mad_i64_i32 v[3:4], null, v6, s17, s[4:5]
	s_mov_b32 s4, 0
	s_delay_alu instid0(SALU_CYCLE_1)
	s_mov_b32 s5, s4
	s_mov_b32 s6, s4
	;; [unrolled: 1-line block ×7, first 2 shown]
	v_lshlrev_b32_e32 v5, 4, v65
	v_dual_mov_b32 v107, s11 :: v_dual_mov_b32 v102, s6
	v_mov_b32_e32 v100, s4
	v_mov_b32_e32 v106, s10
	s_delay_alu instid0(VALU_DEP_4)
	v_add_co_u32 v1, vcc_lo, v1, v5
	v_add_co_ci_u32_e32 v2, vcc_lo, 0, v2, vcc_lo
	v_add_co_u32 v3, vcc_lo, v3, v5
	v_add_co_ci_u32_e32 v4, vcc_lo, 0, v4, vcc_lo
	s_clause 0x7
	global_load_b128 v[49:52], v[1:2], off
	global_load_b128 v[53:56], v[1:2], off offset:512
	global_load_b128 v[76:79], v[3:4], off offset:256
	global_load_b128 v[80:83], v[3:4], off offset:768
	global_load_b128 v[84:87], v[1:2], off offset:1024
	global_load_b128 v[88:91], v[1:2], off offset:1536
	global_load_b128 v[92:95], v[3:4], off offset:1280
	global_load_b128 v[96:99], v[3:4], off offset:1792
	v_add_nc_u32_e32 v1, -11, v65
	v_cmp_gt_u32_e32 vcc_lo, 11, v65
	v_dual_mov_b32 v104, s8 :: v_dual_mov_b32 v103, s7
	v_dual_mov_b32 v101, s5 :: v_dual_lshlrev_b32 v2, 5, v65
	s_delay_alu instid0(VALU_DEP_4)
	v_cndmask_b32_e32 v1, v1, v65, vcc_lo
	v_mov_b32_e32 v105, s9
	s_cselect_b32 s4, s30, s3
	s_load_b32 s3, s[36:37], 0x0
	s_ashr_i32 s5, s4, 31
	v_lshlrev_b32_e32 v70, 6, v1
	s_lshl_b64 s[4:5], s[4:5], 2
	v_lshl_or_b32 v2, v66, 9, v2
	s_add_u32 s4, s26, s4
	s_addc_u32 s5, s25, s5
	ds_load_b128 v[108:111], v70
	ds_load_b128 v[112:115], v70 offset:1024
	s_load_b32 s4, s[4:5], 0x0
	s_add_u32 s6, s22, s27
	s_addc_u32 s7, s23, s28
	v_add_co_u32 v9, s6, s6, v2
	s_delay_alu instid0(VALU_DEP_1) | instskip(SKIP_1) | instid1(VALU_DEP_1)
	v_add_co_ci_u32_e64 v10, null, s7, 0, s6
	s_waitcnt lgkmcnt(0)
	v_mad_i64_i32 v[1:2], null, s21, s17, v[9:10]
	v_mad_i64_i32 v[3:4], null, s13, s17, v[9:10]
	;; [unrolled: 1-line block ×7, first 2 shown]
	s_clause 0x9
	global_load_b128 v[57:60], v[1:2], off
	global_load_b128 v[61:64], v[1:2], off offset:16
	global_load_b128 v[41:44], v[3:4], off
	global_load_b128 v[45:48], v[3:4], off offset:16
	;; [unrolled: 2-line block ×5, first 2 shown]
	v_mad_i64_i32 v[68:69], null, s4, s17, v[9:10]
	s_clause 0x3
	global_load_b128 v[9:12], v[13:14], off
	global_load_b128 v[13:16], v[13:14], off offset:16
	global_load_b128 v[17:20], v[21:22], off
	global_load_b128 v[21:24], v[21:22], off offset:16
	s_waitcnt vmcnt(20)
	v_wmma_f32_16x16x16_bf16 v[116:123], v[49:56], v[108:115], v[100:107]
	s_clause 0x1
	global_load_b128 v[49:52], v[68:69], off
	global_load_b128 v[53:56], v[68:69], off offset:16
	v_and_b32_e32 v68, 0xe0, v0
	v_mbcnt_lo_u32_b32 v69, -1, 0
	s_delay_alu instid0(VALU_DEP_2)
	v_add_nc_u32_e32 v68, s12, v68
	s_waitcnt vmcnt(20)
	v_wmma_f32_16x16x16_bf16 v[100:107], v[76:83], v[108:115], v[100:107]
	ds_load_b128 v[76:79], v70 offset:2048
	ds_load_b128 v[80:83], v70 offset:3072
	v_xor_b32_e32 v70, 16, v69
	s_waitcnt vmcnt(0) lgkmcnt(0)
	v_or_b32_e32 v68, v68, v74
	s_barrier
	buffer_gl0_inv
	v_cmp_gt_i32_e32 vcc_lo, 32, v70
	v_or_b32_e32 v71, 4, v68
	v_or_b32_e32 v72, 6, v68
	v_cmp_gt_i32_e64 s3, s24, v68
	v_or_b32_e32 v108, 8, v68
	v_or_b32_e32 v109, 10, v68
	v_cmp_gt_i32_e64 s4, s24, v71
	v_cmp_gt_i32_e64 s5, s24, v72
	s_delay_alu instid0(VALU_DEP_4) | instskip(NEXT) | instid1(VALU_DEP_4)
	v_cmp_gt_i32_e64 s6, s24, v108
	v_cmp_gt_i32_e64 s7, s24, v109
	v_wmma_f32_16x16x16_bf16 v[116:123], v[84:91], v[76:83], v[116:123]
	v_cndmask_b32_e32 v69, v69, v70, vcc_lo
	v_or_b32_e32 v70, 2, v68
	v_wmma_f32_16x16x16_bf16 v[100:107], v[92:99], v[76:83], v[100:107]
	v_or_b32_e32 v89, 22, v68
	v_dual_mul_f32 v80, s19, v121 :: v_dual_mul_f32 v81, s19, v120
	v_dual_mul_f32 v92, s19, v117 :: v_dual_mul_f32 v93, s19, v116
	s_delay_alu instid0(VALU_DEP_4)
	v_mul_f32_e32 v96, s19, v105
	v_cmp_gt_i32_e32 vcc_lo, s24, v70
	v_dual_mul_f32 v79, s19, v122 :: v_dual_mul_f32 v82, s19, v119
	v_dual_mul_f32 v83, s19, v118 :: v_dual_mul_f32 v94, s19, v107
	v_cndmask_b32_e64 v93, 0xff7fffff, v93, s3
	v_cndmask_b32_e32 v92, 0xff7fffff, v92, vcc_lo
	v_or_b32_e32 v84, 12, v68
	v_or_b32_e32 v85, 14, v68
	v_cndmask_b32_e64 v71, 0xff7fffff, v83, s4
	v_cndmask_b32_e64 v72, 0xff7fffff, v82, s5
	v_cmp_gt_i32_e64 s13, s24, v89
	v_lshlrev_b32_e32 v89, 2, v69
	v_max3_f32 v82, v93, 0xff7fffff, v92
	v_or_b32_e32 v86, 16, v68
	v_or_b32_e32 v87, 18, v68
	v_mul_f32_e32 v78, s19, v123
	v_cndmask_b32_e64 v81, 0xff7fffff, v81, s6
	v_cndmask_b32_e64 v80, 0xff7fffff, v80, s7
	v_max3_f32 v71, v82, v71, v72
	v_cmp_gt_i32_e64 s8, s24, v84
	v_cmp_gt_i32_e64 s9, s24, v85
	v_or_b32_e32 v88, 20, v68
	v_or_b32_e32 v90, 24, v68
	;; [unrolled: 1-line block ×5, first 2 shown]
	v_dual_mul_f32 v97, s19, v104 :: v_dual_mul_f32 v70, s19, v101
	v_dual_mul_f32 v99, s19, v102 :: v_dual_mul_f32 v68, s19, v100
	v_cndmask_b32_e64 v72, 0xff7fffff, v79, s8
	v_cndmask_b32_e64 v78, 0xff7fffff, v78, s9
	v_max3_f32 v71, v71, v81, v80
	v_cmp_gt_i32_e64 s10, s24, v86
	v_cmp_gt_i32_e64 s11, s24, v87
	v_dual_mul_f32 v95, s19, v106 :: v_dual_mul_f32 v98, s19, v103
	s_delay_alu instid0(VALU_DEP_4) | instskip(NEXT) | instid1(VALU_DEP_4)
	v_max3_f32 v71, v71, v72, v78
	v_cndmask_b32_e64 v68, 0xff7fffff, v68, s10
	s_delay_alu instid0(VALU_DEP_4)
	v_cndmask_b32_e64 v70, 0xff7fffff, v70, s11
	v_cmp_gt_i32_e64 s12, s24, v88
	v_cndmask_b32_e64 v78, 0xff7fffff, v98, s13
	v_cmp_gt_i32_e64 s15, s24, v90
	v_cmp_gt_i32_e64 s16, s24, v91
	v_max3_f32 v68, v71, v68, v70
	v_cndmask_b32_e64 v72, 0xff7fffff, v99, s12
	v_cmp_gt_i32_e64 s17, s24, v76
	v_cndmask_b32_e64 v70, 0xff7fffff, v97, s15
	v_cndmask_b32_e64 v71, 0xff7fffff, v96, s16
	v_cmp_gt_i32_e64 s18, s24, v77
	v_max3_f32 v68, v68, v72, v78
	v_cndmask_b32_e64 v72, 0xff7fffff, v95, s17
	s_delay_alu instid0(VALU_DEP_3) | instskip(NEXT) | instid1(VALU_DEP_3)
	v_cndmask_b32_e64 v76, 0xff7fffff, v94, s18
	v_max3_f32 v68, v68, v70, v71
	s_delay_alu instid0(VALU_DEP_1) | instskip(SKIP_3) | instid1(VALU_DEP_1)
	v_max3_f32 v68, v68, v72, v76
	ds_bpermute_b32 v69, v89, v68
	s_waitcnt lgkmcnt(0)
	v_max_f32_e32 v69, v69, v69
	v_max_f32_e32 v68, v68, v69
	s_delay_alu instid0(VALU_DEP_1) | instskip(NEXT) | instid1(VALU_DEP_1)
	v_fma_f32 v71, s19, v118, -v68
	v_mul_f32_e32 v71, 0x3fb8aa3b, v71
	v_fma_f32 v70, s19, v117, -v68
	v_fma_f32 v69, s19, v116, -v68
	;; [unrolled: 1-line block ×5, first 2 shown]
	s_delay_alu instid0(VALU_DEP_4) | instskip(SKIP_1) | instid1(VALU_DEP_3)
	v_dual_mul_f32 v70, 0x3fb8aa3b, v70 :: v_dual_mul_f32 v69, 0x3fb8aa3b, v69
	v_exp_f32_e32 v71, v71
	v_mul_f32_e32 v72, 0x3fb8aa3b, v72
	v_fma_f32 v81, s19, v105, -v68
	s_delay_alu instid0(VALU_DEP_3)
	v_exp_f32_e32 v70, v70
	v_mul_f32_e32 v77, 0x3fb8aa3b, v76
	v_exp_f32_e32 v69, v69
	v_exp_f32_e32 v72, v72
	v_mul_f32_e32 v81, 0x3fb8aa3b, v81
	v_cndmask_b32_e64 v83, 0, v71, s4
	v_fma_f32 v71, s19, v123, -v68
	s_delay_alu instid0(VALU_DEP_3) | instskip(SKIP_4) | instid1(TRANS32_DEP_3)
	v_exp_f32_e32 v81, v81
	v_cndmask_b32_e32 v76, 0, v70, vcc_lo
	v_exp_f32_e32 v77, v77
	v_cndmask_b32_e64 v80, 0, v69, s3
	v_fma_f32 v69, s19, v121, -v68
	v_cndmask_b32_e64 v85, 0, v72, s5
	v_mul_f32_e32 v71, 0x3fb8aa3b, v71
	v_fma_f32 v72, s19, v100, -v68
	s_delay_alu instid0(VALU_DEP_4) | instskip(SKIP_1) | instid1(VALU_DEP_4)
	v_dual_add_f32 v70, 0, v80 :: v_dual_mul_f32 v69, 0x3fb8aa3b, v69
	v_cmp_gt_u32_e64 s3, 16, v67
	v_exp_f32_e32 v71, v71
	s_delay_alu instid0(TRANS32_DEP_2) | instskip(SKIP_4) | instid1(VALU_DEP_3)
	v_cndmask_b32_e64 v86, 0, v77, s6
	v_fma_f32 v77, s19, v101, -v68
	v_mul_f32_e32 v78, 0x3fb8aa3b, v78
	v_add_f32_e32 v70, v70, v76
	v_exp_f32_e32 v69, v69
	v_mul_f32_e32 v77, 0x3fb8aa3b, v77
	s_delay_alu instid0(VALU_DEP_3) | instskip(NEXT) | instid1(TRANS32_DEP_3)
	v_exp_f32_e32 v78, v78
	v_cndmask_b32_e64 v88, 0, v71, s9
	v_fma_f32 v71, s19, v104, -v68
	s_delay_alu instid0(VALU_DEP_3) | instskip(NEXT) | instid1(TRANS32_DEP_3)
	v_exp_f32_e32 v77, v77
	v_cndmask_b32_e64 v87, 0, v69, s7
	s_delay_alu instid0(VALU_DEP_2)
	v_mul_f32_e32 v71, 0x3fb8aa3b, v71
	s_waitcnt_depctr 0xfff
	v_cndmask_b32_e64 v84, 0, v78, s8
	v_add_f32_e32 v70, v70, v83
	v_fma_f32 v78, s19, v103, -v68
	v_exp_f32_e32 v82, v71
	s_delay_alu instid0(VALU_DEP_2) | instskip(SKIP_1) | instid1(VALU_DEP_3)
	v_add_f32_e32 v70, v70, v85
	v_mul_f32_e32 v72, 0x3fb8aa3b, v72
	v_mul_f32_e32 v78, 0x3fb8aa3b, v78
	s_delay_alu instid0(VALU_DEP_3) | instskip(SKIP_1) | instid1(VALU_DEP_4)
	v_add_f32_e32 v69, v70, v86
	v_fma_f32 v70, s19, v102, -v68
	v_exp_f32_e32 v72, v72
	s_delay_alu instid0(VALU_DEP_3) | instskip(NEXT) | instid1(VALU_DEP_1)
	v_exp_f32_e32 v78, v78
	v_dual_add_f32 v69, v69, v87 :: v_dual_mul_f32 v70, 0x3fb8aa3b, v70
	s_delay_alu instid0(VALU_DEP_1) | instskip(NEXT) | instid1(VALU_DEP_2)
	v_add_f32_e32 v69, v69, v84
	v_exp_f32_e32 v79, v70
	s_delay_alu instid0(TRANS32_DEP_3) | instskip(NEXT) | instid1(VALU_DEP_2)
	v_cndmask_b32_e64 v70, 0, v72, s10
	v_add_f32_e32 v72, v69, v88
	v_cndmask_b32_e64 v69, 0, v77, s11
	v_fma_f32 v77, s19, v106, -v68
	s_waitcnt_depctr 0xfff
	v_cndmask_b32_e64 v71, 0, v79, s12
	v_dual_mul_f32 v77, 0x3fb8aa3b, v77 :: v_dual_add_f32 v72, v72, v70
	s_delay_alu instid0(VALU_DEP_1) | instskip(NEXT) | instid1(VALU_DEP_1)
	v_exp_f32_e32 v90, v77
	v_add_f32_e32 v79, v72, v69
	v_cndmask_b32_e64 v72, 0, v78, s13
	v_cndmask_b32_e64 v77, 0, v82, s15
	s_delay_alu instid0(VALU_DEP_3) | instskip(SKIP_1) | instid1(VALU_DEP_1)
	v_add_f32_e32 v78, v79, v71
	v_fma_f32 v79, s19, v107, -v68
	v_dual_add_f32 v82, v78, v72 :: v_dual_mul_f32 v79, 0x3fb8aa3b, v79
	v_cndmask_b32_e64 v78, 0, v81, s16
	s_delay_alu instid0(VALU_DEP_2) | instskip(NEXT) | instid1(VALU_DEP_3)
	v_add_f32_e32 v81, v82, v77
	v_exp_f32_e32 v82, v79
	v_cndmask_b32_e64 v79, 0, v90, s17
	s_delay_alu instid0(VALU_DEP_2) | instskip(NEXT) | instid1(VALU_DEP_1)
	v_add_f32_e32 v81, v81, v78
	v_add_f32_e32 v90, v81, v79
	s_waitcnt_depctr 0xfff
	v_cndmask_b32_e64 v81, 0, v82, s18
	s_delay_alu instid0(VALU_DEP_1)
	v_add_f32_e32 v82, v90, v81
	ds_bpermute_b32 v89, v89, v82
	s_and_saveexec_b32 s4, s3
	s_cbranch_execz .LBB1456_12
; %bb.11:
	v_mul_u32_u24_e32 v67, 0x44, v66
	s_delay_alu instid0(VALU_DEP_1) | instskip(SKIP_1) | instid1(VALU_DEP_1)
	v_lshl_add_u32 v67, v65, 2, v67
	s_waitcnt lgkmcnt(0)
	v_dual_add_f32 v82, v82, v89 :: v_dual_add_nc_u32 v67, 0x4000, v67
	ds_store_2addr_b32 v67, v68, v82 offset1:136
.LBB1456_12:
	s_or_b32 exec_lo, exec_lo, s4
	v_lshlrev_b32_e32 v67, 2, v65
	s_waitcnt lgkmcnt(0)
	s_barrier
	buffer_gl0_inv
	v_cmp_eq_u32_e32 vcc_lo, 1, v66
	v_add_nc_u32_e32 v82, 0x4000, v67
	v_cmp_eq_u32_e64 s4, 2, v66
	v_cmp_eq_u32_e64 s6, 7, v66
	ds_load_2addr_b32 v[89:90], v82 offset1:17
	ds_load_2addr_b32 v[91:92], v82 offset0:34 offset1:51
	ds_load_2addr_b32 v[93:94], v82 offset0:68 offset1:85
	;; [unrolled: 1-line block ×4, first 2 shown]
	s_waitcnt lgkmcnt(4)
	v_max3_f32 v67, v89, 0xff7fffff, v90
	s_waitcnt lgkmcnt(3)
	s_delay_alu instid0(VALU_DEP_1) | instskip(SKIP_1) | instid1(VALU_DEP_1)
	v_max3_f32 v67, v67, v91, v92
	s_waitcnt lgkmcnt(2)
	v_max3_f32 v67, v67, v93, v94
	s_waitcnt lgkmcnt(1)
	s_delay_alu instid0(VALU_DEP_1) | instskip(NEXT) | instid1(VALU_DEP_1)
	v_max3_f32 v67, v67, v95, v96
	v_sub_f32_e32 v93, v93, v67
	s_delay_alu instid0(VALU_DEP_1) | instskip(NEXT) | instid1(VALU_DEP_1)
	v_dual_sub_f32 v68, v89, v67 :: v_dual_mul_f32 v103, 0x3fb8aa3b, v93
	v_mul_f32_e32 v68, 0x3fb8aa3b, v68
	s_delay_alu instid0(VALU_DEP_1)
	v_exp_f32_e32 v100, v68
	v_sub_f32_e32 v68, v92, v67
	v_sub_f32_e32 v99, v90, v67
	ds_load_2addr_b32 v[89:90], v82 offset0:170 offset1:187
	v_dual_mul_f32 v102, 0x3fb8aa3b, v68 :: v_dual_mul_f32 v99, 0x3fb8aa3b, v99
	s_waitcnt lgkmcnt(1)
	v_fma_f32 v68, v100, v97, 0
	s_delay_alu instid0(VALU_DEP_2) | instskip(NEXT) | instid1(VALU_DEP_2)
	v_exp_f32_e32 v102, v102
	v_exp_f32_e32 v99, v99
	s_waitcnt_depctr 0xfff
	v_fmac_f32_e32 v68, v99, v98
	v_sub_f32_e32 v91, v91, v67
	s_delay_alu instid0(VALU_DEP_1)
	v_mul_f32_e32 v101, 0x3fb8aa3b, v91
	ds_load_2addr_b32 v[91:92], v82 offset0:204 offset1:221
	v_sub_f32_e32 v97, v94, v67
	ds_load_2addr_b32 v[93:94], v82 offset0:238 offset1:255
	s_waitcnt lgkmcnt(0)
	v_exp_f32_e32 v101, v101
	s_barrier
	buffer_gl0_inv
	v_dual_fmac_f32 v68, v101, v89 :: v_dual_sub_f32 v89, v96, v67
	v_dual_sub_f32 v82, v95, v67 :: v_dual_mul_f32 v95, 0x3fb8aa3b, v97
	v_exp_f32_e32 v97, v103
	s_delay_alu instid0(VALU_DEP_2) | instskip(NEXT) | instid1(VALU_DEP_2)
	v_dual_fmac_f32 v68, v102, v90 :: v_dual_mul_f32 v89, 0x3fb8aa3b, v89
	v_mul_f32_e32 v82, 0x3fb8aa3b, v82
	s_delay_alu instid0(VALU_DEP_3) | instskip(NEXT) | instid1(VALU_DEP_2)
	v_exp_f32_e32 v95, v95
	v_exp_f32_e32 v89, v89
	s_delay_alu instid0(VALU_DEP_1)
	v_exp_f32_e32 v82, v82
	v_fmac_f32_e32 v68, v97, v91
	s_delay_alu instid0(TRANS32_DEP_3) | instid1(VALU_DEP_1)
	v_fmac_f32_e32 v68, v95, v92
	s_waitcnt_depctr 0xfff
	v_fmac_f32_e32 v68, v82, v93
	s_delay_alu instid0(VALU_DEP_1) | instskip(NEXT) | instid1(VALU_DEP_1)
	v_fmac_f32_e32 v68, v89, v94
	v_add_f32_e32 v90, 0x358637bd, v68
	s_delay_alu instid0(VALU_DEP_1) | instskip(NEXT) | instid1(VALU_DEP_1)
	v_div_scale_f32 v91, null, v90, v90, 1.0
	v_rcp_f32_e32 v92, v91
	s_waitcnt_depctr 0xfff
	v_fma_f32 v93, -v91, v92, 1.0
	s_delay_alu instid0(VALU_DEP_1) | instskip(SKIP_1) | instid1(VALU_DEP_2)
	v_dual_fmac_f32 v92, v93, v92 :: v_dual_cndmask_b32 v93, v100, v99
	v_cmp_eq_u32_e32 vcc_lo, 3, v66
	v_cndmask_b32_e64 v93, v93, v101, s4
	v_cmp_eq_u32_e64 s4, 4, v66
	s_delay_alu instid0(VALU_DEP_2) | instskip(SKIP_1) | instid1(VALU_DEP_2)
	v_cndmask_b32_e32 v93, v93, v102, vcc_lo
	v_cmp_eq_u32_e32 vcc_lo, 5, v66
	v_cndmask_b32_e64 v93, v93, v97, s4
	v_cmp_eq_u32_e64 s4, 6, v66
	s_delay_alu instid0(VALU_DEP_2) | instskip(SKIP_1) | instid1(VALU_DEP_1)
	v_cndmask_b32_e32 v93, v93, v95, vcc_lo
	v_div_scale_f32 v94, s5, 1.0, v90, 1.0
	s_mov_b32 vcc_lo, s5
	s_delay_alu instid0(VALU_DEP_2) | instskip(NEXT) | instid1(VALU_DEP_2)
	v_cndmask_b32_e64 v82, v93, v82, s4
	v_mul_f32_e32 v96, v94, v92
	s_mov_b32 s4, exec_lo
	s_delay_alu instid0(VALU_DEP_2) | instskip(NEXT) | instid1(VALU_DEP_2)
	v_cndmask_b32_e64 v82, v82, v89, s6
	v_fma_f32 v98, -v91, v96, v94
	s_delay_alu instid0(VALU_DEP_1) | instskip(NEXT) | instid1(VALU_DEP_1)
	v_fmac_f32_e32 v96, v98, v92
	v_fma_f32 v91, -v91, v96, v94
	s_delay_alu instid0(VALU_DEP_1) | instskip(NEXT) | instid1(VALU_DEP_1)
	v_div_fmas_f32 v91, v91, v92, v96
	v_div_fixup_f32 v90, v91, v90, 1.0
	s_delay_alu instid0(VALU_DEP_1) | instskip(NEXT) | instid1(VALU_DEP_1)
	v_mul_f32_e32 v82, v82, v90
	v_mul_f32_e32 v87, v82, v87
	;; [unrolled: 1-line block ×7, first 2 shown]
	v_dual_mul_f32 v86, v82, v83 :: v_dual_and_b32 v91, 0x7f800000, v90
	v_mul_f32_e32 v85, v82, v76
                                        ; implicit-def: $vgpr76
	s_delay_alu instid0(VALU_DEP_2)
	v_cmpx_ne_u32_e32 0x7f800000, v91
	s_xor_b32 s4, exec_lo, s4
; %bb.13:
	v_bfe_u32 v76, v90, 16, 1
	s_delay_alu instid0(VALU_DEP_1)
	v_add3_u32 v76, v90, v76, 0x7fff
                                        ; implicit-def: $vgpr90
; %bb.14:
	s_and_not1_saveexec_b32 s4, s4
; %bb.15:
	v_and_b32_e32 v76, 0xffff, v90
	v_or_b32_e32 v83, 0x10000, v90
	s_delay_alu instid0(VALU_DEP_2) | instskip(NEXT) | instid1(VALU_DEP_2)
	v_cmp_eq_u32_e32 vcc_lo, 0, v76
	v_cndmask_b32_e32 v76, v83, v90, vcc_lo
; %bb.16:
	s_or_b32 exec_lo, exec_lo, s4
	v_and_b32_e32 v83, 0x7f800000, v85
	s_delay_alu instid0(VALU_DEP_1) | instskip(SKIP_1) | instid1(SALU_CYCLE_1)
	v_cmp_ne_u32_e32 vcc_lo, 0x7f800000, v83
                                        ; implicit-def: $vgpr83
	s_and_saveexec_b32 s4, vcc_lo
	s_xor_b32 s4, exec_lo, s4
; %bb.17:
	v_bfe_u32 v83, v85, 16, 1
	s_delay_alu instid0(VALU_DEP_1)
	v_add3_u32 v83, v85, v83, 0x7fff
                                        ; implicit-def: $vgpr85
; %bb.18:
	s_and_not1_saveexec_b32 s4, s4
; %bb.19:
	v_and_b32_e32 v83, 0xffff, v85
	v_or_b32_e32 v90, 0x10000, v85
	s_delay_alu instid0(VALU_DEP_2) | instskip(NEXT) | instid1(VALU_DEP_2)
	v_cmp_eq_u32_e32 vcc_lo, 0, v83
	v_cndmask_b32_e32 v83, v90, v85, vcc_lo
; %bb.20:
	s_or_b32 exec_lo, exec_lo, s4
	v_and_b32_e32 v85, 0x7f800000, v86
	s_delay_alu instid0(VALU_DEP_1) | instskip(SKIP_1) | instid1(SALU_CYCLE_1)
	v_cmp_ne_u32_e32 vcc_lo, 0x7f800000, v85
                                        ; implicit-def: $vgpr85
	s_and_saveexec_b32 s4, vcc_lo
	s_xor_b32 s4, exec_lo, s4
; %bb.21:
	v_bfe_u32 v85, v86, 16, 1
	s_delay_alu instid0(VALU_DEP_1)
	v_add3_u32 v85, v86, v85, 0x7fff
                                        ; implicit-def: $vgpr86
; %bb.22:
	s_and_not1_saveexec_b32 s4, s4
; %bb.23:
	v_and_b32_e32 v85, 0xffff, v86
	v_or_b32_e32 v90, 0x10000, v86
	s_delay_alu instid0(VALU_DEP_2) | instskip(NEXT) | instid1(VALU_DEP_2)
	v_cmp_eq_u32_e32 vcc_lo, 0, v85
	v_cndmask_b32_e32 v85, v90, v86, vcc_lo
; %bb.24:
	s_or_b32 exec_lo, exec_lo, s4
	v_and_b32_e32 v86, 0x7f800000, v89
	s_delay_alu instid0(VALU_DEP_1) | instskip(SKIP_1) | instid1(SALU_CYCLE_1)
	v_cmp_ne_u32_e32 vcc_lo, 0x7f800000, v86
                                        ; implicit-def: $vgpr86
	s_and_saveexec_b32 s4, vcc_lo
	s_xor_b32 s4, exec_lo, s4
; %bb.25:
	v_bfe_u32 v86, v89, 16, 1
	s_delay_alu instid0(VALU_DEP_1)
	v_add3_u32 v86, v89, v86, 0x7fff
                                        ; implicit-def: $vgpr89
; %bb.26:
	s_and_not1_saveexec_b32 s4, s4
; %bb.27:
	v_and_b32_e32 v86, 0xffff, v89
	v_or_b32_e32 v90, 0x10000, v89
	s_delay_alu instid0(VALU_DEP_2) | instskip(NEXT) | instid1(VALU_DEP_2)
	v_cmp_eq_u32_e32 vcc_lo, 0, v86
	v_cndmask_b32_e32 v86, v90, v89, vcc_lo
; %bb.28:
	s_or_b32 exec_lo, exec_lo, s4
	v_and_b32_e32 v89, 0x7f800000, v88
	s_delay_alu instid0(VALU_DEP_1) | instskip(SKIP_1) | instid1(SALU_CYCLE_1)
	v_cmp_ne_u32_e32 vcc_lo, 0x7f800000, v89
                                        ; implicit-def: $vgpr89
	s_and_saveexec_b32 s4, vcc_lo
	s_xor_b32 s4, exec_lo, s4
; %bb.29:
	v_bfe_u32 v89, v88, 16, 1
	s_delay_alu instid0(VALU_DEP_1)
	v_add3_u32 v89, v88, v89, 0x7fff
                                        ; implicit-def: $vgpr88
; %bb.30:
	s_and_not1_saveexec_b32 s4, s4
; %bb.31:
	v_and_b32_e32 v89, 0xffff, v88
	v_or_b32_e32 v90, 0x10000, v88
	s_delay_alu instid0(VALU_DEP_2) | instskip(NEXT) | instid1(VALU_DEP_2)
	v_cmp_eq_u32_e32 vcc_lo, 0, v89
	v_cndmask_b32_e32 v89, v90, v88, vcc_lo
; %bb.32:
	s_or_b32 exec_lo, exec_lo, s4
	v_and_b32_e32 v88, 0x7f800000, v87
	s_delay_alu instid0(VALU_DEP_1) | instskip(SKIP_1) | instid1(SALU_CYCLE_1)
	v_cmp_ne_u32_e32 vcc_lo, 0x7f800000, v88
                                        ; implicit-def: $vgpr88
	s_and_saveexec_b32 s4, vcc_lo
	s_xor_b32 s4, exec_lo, s4
; %bb.33:
	v_bfe_u32 v88, v87, 16, 1
	s_delay_alu instid0(VALU_DEP_1)
	v_add3_u32 v88, v87, v88, 0x7fff
                                        ; implicit-def: $vgpr87
; %bb.34:
	s_and_not1_saveexec_b32 s4, s4
; %bb.35:
	v_and_b32_e32 v88, 0xffff, v87
	v_or_b32_e32 v90, 0x10000, v87
	s_delay_alu instid0(VALU_DEP_2) | instskip(NEXT) | instid1(VALU_DEP_2)
	v_cmp_eq_u32_e32 vcc_lo, 0, v88
	v_cndmask_b32_e32 v88, v90, v87, vcc_lo
; %bb.36:
	s_or_b32 exec_lo, exec_lo, s4
	v_and_b32_e32 v87, 0x7f800000, v84
	s_delay_alu instid0(VALU_DEP_1) | instskip(SKIP_1) | instid1(SALU_CYCLE_1)
	v_cmp_ne_u32_e32 vcc_lo, 0x7f800000, v87
                                        ; implicit-def: $vgpr87
	s_and_saveexec_b32 s4, vcc_lo
	s_xor_b32 s4, exec_lo, s4
; %bb.37:
	v_bfe_u32 v87, v84, 16, 1
	s_delay_alu instid0(VALU_DEP_1)
	v_add3_u32 v87, v84, v87, 0x7fff
                                        ; implicit-def: $vgpr84
; %bb.38:
	s_and_not1_saveexec_b32 s4, s4
; %bb.39:
	v_and_b32_e32 v87, 0xffff, v84
	v_or_b32_e32 v90, 0x10000, v84
	s_delay_alu instid0(VALU_DEP_2) | instskip(NEXT) | instid1(VALU_DEP_2)
	v_cmp_eq_u32_e32 vcc_lo, 0, v87
	v_cndmask_b32_e32 v87, v90, v84, vcc_lo
; %bb.40:
	s_or_b32 exec_lo, exec_lo, s4
	v_and_b32_e32 v84, 0x7f800000, v80
	s_delay_alu instid0(VALU_DEP_1) | instskip(SKIP_1) | instid1(SALU_CYCLE_1)
	v_cmp_ne_u32_e32 vcc_lo, 0x7f800000, v84
                                        ; implicit-def: $vgpr84
	s_and_saveexec_b32 s4, vcc_lo
	s_xor_b32 s4, exec_lo, s4
; %bb.41:
	v_bfe_u32 v84, v80, 16, 1
	s_delay_alu instid0(VALU_DEP_1)
	v_add3_u32 v84, v80, v84, 0x7fff
                                        ; implicit-def: $vgpr80
; %bb.42:
	s_and_not1_saveexec_b32 s4, s4
; %bb.43:
	v_and_b32_e32 v84, 0xffff, v80
	v_or_b32_e32 v90, 0x10000, v80
	s_delay_alu instid0(VALU_DEP_2) | instskip(NEXT) | instid1(VALU_DEP_2)
	v_cmp_eq_u32_e32 vcc_lo, 0, v84
	v_cndmask_b32_e32 v84, v90, v80, vcc_lo
; %bb.44:
	s_or_b32 exec_lo, exec_lo, s4
	s_load_b64 s[36:37], s[0:1], 0x94
	v_lshlrev_b32_e32 v91, 4, v74
	s_delay_alu instid0(VALU_DEP_2)
	v_perm_b32 v90, v84, v87, 0x7060302
	v_dual_mul_f32 v79, v82, v79 :: v_dual_lshlrev_b32 v80, 6, v65
	v_dual_mul_f32 v77, v82, v77 :: v_dual_lshlrev_b32 v92, 11, v66
	v_mul_f32_e32 v84, v82, v70
	v_perm_b32 v89, v88, v89, 0x7060302
	v_perm_b32 v88, v86, v85, 0x7060302
	;; [unrolled: 1-line block ×3, first 2 shown]
	v_mul_f32_e32 v70, v82, v81
	v_or3_b32 v76, v91, v92, v80
	v_dual_mul_f32 v78, v82, v78 :: v_dual_and_b32 v85, 0x7f800000, v84
	v_mul_f32_e32 v83, v82, v72
	v_mul_f32_e32 v81, v82, v71
	;; [unrolled: 1-line block ×3, first 2 shown]
	s_mov_b32 s4, exec_lo
	ds_store_b128 v76, v[87:90]
                                        ; implicit-def: $vgpr69
	v_cmpx_ne_u32_e32 0x7f800000, v85
	s_xor_b32 s4, exec_lo, s4
; %bb.45:
	v_bfe_u32 v69, v84, 16, 1
	s_delay_alu instid0(VALU_DEP_1)
	v_add3_u32 v69, v84, v69, 0x7fff
                                        ; implicit-def: $vgpr84
; %bb.46:
	s_and_not1_saveexec_b32 s4, s4
; %bb.47:
	v_and_b32_e32 v69, 0xffff, v84
	v_or_b32_e32 v71, 0x10000, v84
	s_delay_alu instid0(VALU_DEP_2) | instskip(NEXT) | instid1(VALU_DEP_2)
	v_cmp_eq_u32_e32 vcc_lo, 0, v69
	v_cndmask_b32_e32 v69, v71, v84, vcc_lo
; %bb.48:
	s_or_b32 exec_lo, exec_lo, s4
	v_and_b32_e32 v71, 0x7f800000, v72
	s_delay_alu instid0(VALU_DEP_1) | instskip(SKIP_1) | instid1(SALU_CYCLE_1)
	v_cmp_ne_u32_e32 vcc_lo, 0x7f800000, v71
                                        ; implicit-def: $vgpr71
	s_and_saveexec_b32 s4, vcc_lo
	s_xor_b32 s4, exec_lo, s4
; %bb.49:
	v_bfe_u32 v71, v72, 16, 1
	s_delay_alu instid0(VALU_DEP_1)
	v_add3_u32 v71, v72, v71, 0x7fff
                                        ; implicit-def: $vgpr72
; %bb.50:
	s_and_not1_saveexec_b32 s4, s4
; %bb.51:
	v_and_b32_e32 v71, 0xffff, v72
	v_or_b32_e32 v82, 0x10000, v72
	s_delay_alu instid0(VALU_DEP_2) | instskip(NEXT) | instid1(VALU_DEP_2)
	v_cmp_eq_u32_e32 vcc_lo, 0, v71
	v_cndmask_b32_e32 v71, v82, v72, vcc_lo
; %bb.52:
	s_or_b32 exec_lo, exec_lo, s4
	v_and_b32_e32 v72, 0x7f800000, v81
	s_delay_alu instid0(VALU_DEP_1) | instskip(SKIP_1) | instid1(SALU_CYCLE_1)
	v_cmp_ne_u32_e32 vcc_lo, 0x7f800000, v72
                                        ; implicit-def: $vgpr72
	s_and_saveexec_b32 s4, vcc_lo
	s_xor_b32 s4, exec_lo, s4
; %bb.53:
	v_bfe_u32 v72, v81, 16, 1
	s_delay_alu instid0(VALU_DEP_1)
	v_add3_u32 v72, v81, v72, 0x7fff
                                        ; implicit-def: $vgpr81
; %bb.54:
	s_and_not1_saveexec_b32 s4, s4
; %bb.55:
	v_and_b32_e32 v72, 0xffff, v81
	v_or_b32_e32 v82, 0x10000, v81
	s_delay_alu instid0(VALU_DEP_2) | instskip(NEXT) | instid1(VALU_DEP_2)
	v_cmp_eq_u32_e32 vcc_lo, 0, v72
	v_cndmask_b32_e32 v72, v82, v81, vcc_lo
; %bb.56:
	s_or_b32 exec_lo, exec_lo, s4
	v_and_b32_e32 v81, 0x7f800000, v83
	s_delay_alu instid0(VALU_DEP_1) | instskip(SKIP_1) | instid1(SALU_CYCLE_1)
	v_cmp_ne_u32_e32 vcc_lo, 0x7f800000, v81
                                        ; implicit-def: $vgpr81
	s_and_saveexec_b32 s4, vcc_lo
	s_xor_b32 s4, exec_lo, s4
; %bb.57:
	v_bfe_u32 v81, v83, 16, 1
	s_delay_alu instid0(VALU_DEP_1)
	v_add3_u32 v81, v83, v81, 0x7fff
                                        ; implicit-def: $vgpr83
; %bb.58:
	s_and_not1_saveexec_b32 s4, s4
; %bb.59:
	v_and_b32_e32 v81, 0xffff, v83
	v_or_b32_e32 v82, 0x10000, v83
	s_delay_alu instid0(VALU_DEP_2) | instskip(NEXT) | instid1(VALU_DEP_2)
	v_cmp_eq_u32_e32 vcc_lo, 0, v81
	v_cndmask_b32_e32 v81, v82, v83, vcc_lo
; %bb.60:
	s_or_b32 exec_lo, exec_lo, s4
	v_and_b32_e32 v82, 0x7f800000, v77
	s_delay_alu instid0(VALU_DEP_1) | instskip(SKIP_1) | instid1(SALU_CYCLE_1)
	v_cmp_ne_u32_e32 vcc_lo, 0x7f800000, v82
                                        ; implicit-def: $vgpr82
	s_and_saveexec_b32 s4, vcc_lo
	s_xor_b32 s4, exec_lo, s4
; %bb.61:
	v_bfe_u32 v82, v77, 16, 1
	s_delay_alu instid0(VALU_DEP_1)
	v_add3_u32 v82, v77, v82, 0x7fff
                                        ; implicit-def: $vgpr77
; %bb.62:
	s_and_not1_saveexec_b32 s4, s4
; %bb.63:
	v_and_b32_e32 v82, 0xffff, v77
	v_or_b32_e32 v83, 0x10000, v77
	s_delay_alu instid0(VALU_DEP_2) | instskip(NEXT) | instid1(VALU_DEP_2)
	v_cmp_eq_u32_e32 vcc_lo, 0, v82
	v_cndmask_b32_e32 v82, v83, v77, vcc_lo
; %bb.64:
	s_or_b32 exec_lo, exec_lo, s4
	v_and_b32_e32 v77, 0x7f800000, v78
	s_delay_alu instid0(VALU_DEP_1) | instskip(SKIP_1) | instid1(SALU_CYCLE_1)
	v_cmp_ne_u32_e32 vcc_lo, 0x7f800000, v77
                                        ; implicit-def: $vgpr77
	s_and_saveexec_b32 s4, vcc_lo
	s_xor_b32 s4, exec_lo, s4
; %bb.65:
	v_bfe_u32 v77, v78, 16, 1
	s_delay_alu instid0(VALU_DEP_1)
	v_add3_u32 v77, v78, v77, 0x7fff
                                        ; implicit-def: $vgpr78
; %bb.66:
	s_and_not1_saveexec_b32 s4, s4
; %bb.67:
	v_and_b32_e32 v77, 0xffff, v78
	v_or_b32_e32 v83, 0x10000, v78
	s_delay_alu instid0(VALU_DEP_2) | instskip(NEXT) | instid1(VALU_DEP_2)
	v_cmp_eq_u32_e32 vcc_lo, 0, v77
	v_cndmask_b32_e32 v77, v83, v78, vcc_lo
; %bb.68:
	s_or_b32 exec_lo, exec_lo, s4
	v_and_b32_e32 v78, 0x7f800000, v79
	s_delay_alu instid0(VALU_DEP_1) | instskip(SKIP_1) | instid1(SALU_CYCLE_1)
	v_cmp_ne_u32_e32 vcc_lo, 0x7f800000, v78
                                        ; implicit-def: $vgpr78
	s_and_saveexec_b32 s4, vcc_lo
	s_xor_b32 s4, exec_lo, s4
; %bb.69:
	v_bfe_u32 v78, v79, 16, 1
	s_delay_alu instid0(VALU_DEP_1)
	v_add3_u32 v78, v79, v78, 0x7fff
                                        ; implicit-def: $vgpr79
; %bb.70:
	s_and_not1_saveexec_b32 s4, s4
; %bb.71:
	v_and_b32_e32 v78, 0xffff, v79
	v_or_b32_e32 v83, 0x10000, v79
	s_delay_alu instid0(VALU_DEP_2) | instskip(NEXT) | instid1(VALU_DEP_2)
	v_cmp_eq_u32_e32 vcc_lo, 0, v78
	v_cndmask_b32_e32 v78, v83, v79, vcc_lo
; %bb.72:
	s_or_b32 exec_lo, exec_lo, s4
	v_and_b32_e32 v79, 0x7f800000, v70
	s_delay_alu instid0(VALU_DEP_1) | instskip(SKIP_1) | instid1(SALU_CYCLE_1)
	v_cmp_ne_u32_e32 vcc_lo, 0x7f800000, v79
                                        ; implicit-def: $vgpr79
	s_and_saveexec_b32 s4, vcc_lo
	s_xor_b32 s4, exec_lo, s4
; %bb.73:
	v_bfe_u32 v79, v70, 16, 1
	s_delay_alu instid0(VALU_DEP_1)
	v_add3_u32 v79, v70, v79, 0x7fff
                                        ; implicit-def: $vgpr70
; %bb.74:
	s_and_not1_saveexec_b32 s4, s4
; %bb.75:
	v_and_b32_e32 v79, 0xffff, v70
	v_or_b32_e32 v83, 0x10000, v70
	s_delay_alu instid0(VALU_DEP_2) | instskip(NEXT) | instid1(VALU_DEP_2)
	v_cmp_eq_u32_e32 vcc_lo, 0, v79
	v_cndmask_b32_e32 v79, v83, v70, vcc_lo
; %bb.76:
	s_or_b32 exec_lo, exec_lo, s4
	s_delay_alu instid0(VALU_DEP_1)
	v_perm_b32 v86, v79, v78, 0x7060302
	v_perm_b32 v85, v77, v82, 0x7060302
	;; [unrolled: 1-line block ×4, first 2 shown]
	v_lshl_or_b32 v82, v66, 11, v80
	ds_store_b128 v76, v[83:86] offset:1024
	s_waitcnt lgkmcnt(0)
	s_barrier
	buffer_gl0_inv
	ds_load_b128 v[69:72], v82
	ds_load_b128 v[83:86], v82 offset:16
	s_waitcnt lgkmcnt(1)
	v_lshrrev_b32_e32 v66, 16, v69
	s_waitcnt lgkmcnt(0)
	v_lshrrev_b32_e32 v91, 16, v83
	v_lshlrev_b32_e32 v78, 2, v74
	v_lshrrev_b32_e32 v95, 16, v70
	v_lshrrev_b32_e32 v98, 16, v84
	v_lshrrev_b32_e32 v96, 16, v71
	v_lshrrev_b32_e32 v99, 16, v85
	v_cmp_eq_u32_e32 vcc_lo, 1, v78
	v_lshrrev_b32_e32 v97, 16, v72
	v_lshrrev_b32_e32 v100, 16, v86
	v_cndmask_b32_e32 v87, v83, v91, vcc_lo
	v_or_b32_e32 v79, 1, v78
	v_cndmask_b32_e32 v81, v69, v66, vcc_lo
	v_cmp_eq_u32_e64 s5, 2, v78
	v_cmp_eq_u32_e64 s8, 3, v78
	;; [unrolled: 1-line block ×5, first 2 shown]
	v_cndmask_b32_e64 v81, v81, v70, s5
	v_cndmask_b32_e64 v87, v87, v84, s5
	v_cmp_eq_u32_e64 s9, 3, v79
	v_cndmask_b32_e64 v88, v69, v66, s4
	v_or_b32_e32 v77, 2, v78
	v_cndmask_b32_e64 v81, v81, v95, s8
	v_cndmask_b32_e64 v87, v87, v98, s8
	;; [unrolled: 1-line block ×4, first 2 shown]
	v_cmp_eq_u32_e64 s11, 5, v78
	v_cndmask_b32_e64 v81, v81, v71, s10
	v_cndmask_b32_e64 v87, v87, v85, s10
	v_cmp_eq_u32_e64 s12, 4, v79
	v_cndmask_b32_e64 v88, v88, v95, s9
	v_cmp_eq_u32_e64 s6, 1, v77
	v_cndmask_b32_e64 v89, v89, v84, s7
	v_cndmask_b32_e64 v81, v81, v96, s11
	v_cmp_eq_u32_e64 s13, 6, v78
	v_cndmask_b32_e64 v88, v88, v71, s12
	v_cndmask_b32_e64 v87, v87, v99, s11
	v_cmp_eq_u32_e64 s15, 5, v79
	v_cndmask_b32_e64 v90, v69, v66, s6
	v_cndmask_b32_e64 v89, v89, v98, s9
	v_cndmask_b32_e64 v81, v81, v72, s13
	v_cmp_eq_u32_e64 s16, 7, v78
	v_cndmask_b32_e64 v88, v88, v96, s15
	v_cndmask_b32_e64 v87, v87, v86, s13
	v_cmp_eq_u32_e64 s17, 6, v79
	v_cmp_eq_u32_e64 s18, 2, v77
	v_cndmask_b32_e64 v89, v89, v85, s12
	v_cndmask_b32_e64 v101, v81, v97, s16
	;; [unrolled: 1-line block ×6, first 2 shown]
	v_cmp_eq_u32_e64 s19, 7, v79
	v_cmp_eq_u32_e64 s20, 3, v77
	;; [unrolled: 1-line block ×4, first 2 shown]
	v_cndmask_b32_e64 v87, v87, v84, s18
	v_cndmask_b32_e64 v103, v88, v97, s19
	;; [unrolled: 1-line block ×4, first 2 shown]
	v_or_b32_e32 v81, 3, v78
	v_cndmask_b32_e64 v93, v87, v98, s20
	v_cmp_eq_u32_e64 s25, 6, v77
	v_cndmask_b32_e64 v104, v88, v86, s17
	v_cndmask_b32_e64 v92, v89, v71, s21
	v_cmp_eq_u32_e64 s22, 1, v81
	ds_load_b128 v[87:90], v82 offset:1024
	v_cmp_eq_u32_e64 s24, 2, v81
	v_cmp_eq_u32_e64 s26, 3, v81
	v_cndmask_b32_e64 v105, v92, v96, s23
	v_cndmask_b32_e64 v66, v69, v66, s22
	;; [unrolled: 1-line block ×4, first 2 shown]
	ds_load_b128 v[91:94], v82 offset:1040
	v_cmp_eq_u32_e64 s27, 4, v81
	v_cndmask_b32_e64 v66, v66, v70, s24
	v_cmp_eq_u32_e64 s28, 7, v77
	v_cndmask_b32_e64 v70, v83, v84, s24
	v_cndmask_b32_e64 v84, v105, v72, s25
	v_cmp_eq_u32_e64 s29, 5, v81
	v_cndmask_b32_e64 v66, v66, v95, s26
	v_cmp_eq_u32_e64 s30, 6, v81
	v_cndmask_b32_e64 v70, v70, v98, s26
	v_cndmask_b32_e64 v69, v69, v99, s23
	;; [unrolled: 1-line block ×4, first 2 shown]
	s_waitcnt lgkmcnt(1)
	v_lshrrev_b32_e32 v95, 16, v87
	v_cndmask_b32_e64 v70, v70, v85, s27
	v_cndmask_b32_e64 v71, v84, v97, s28
	;; [unrolled: 1-line block ×4, first 2 shown]
	v_cndmask_b32_e32 v84, v87, v95, vcc_lo
	v_cndmask_b32_e64 v70, v70, v99, s29
	s_waitcnt lgkmcnt(0)
	v_lshrrev_b32_e32 v85, 16, v91
	v_lshrrev_b32_e32 v96, 16, v88
	v_cndmask_b32_e64 v98, v87, v95, s4
	v_cndmask_b32_e64 v84, v84, v88, s5
	;; [unrolled: 1-line block ×3, first 2 shown]
	v_cndmask_b32_e32 v99, v91, v85, vcc_lo
	v_cmp_eq_u32_e32 vcc_lo, 7, v81
	v_cndmask_b32_e64 v66, v66, v72, s30
	v_cndmask_b32_e64 v72, v84, v96, s8
	;; [unrolled: 1-line block ×3, first 2 shown]
	v_lshrrev_b32_e32 v98, 16, v92
	v_cndmask_b32_e32 v70, v70, v100, vcc_lo
	v_cndmask_b32_e64 v86, v99, v92, s5
	v_cndmask_b32_e64 v69, v69, v100, s28
	v_lshrrev_b32_e32 v100, 16, v93
	v_cndmask_b32_e64 v72, v72, v89, s10
	v_lshrrev_b32_e32 v99, 16, v89
	v_cndmask_b32_e64 v86, v86, v98, s8
	v_perm_b32 v71, v69, v71, 0x5040100
	v_cndmask_b32_e64 v84, v84, v96, s9
	s_delay_alu instid0(VALU_DEP_3) | instskip(NEXT) | instid1(VALU_DEP_2)
	v_cndmask_b32_e64 v86, v86, v93, s10
	v_cndmask_b32_e64 v84, v84, v89, s12
	s_delay_alu instid0(VALU_DEP_2) | instskip(NEXT) | instid1(VALU_DEP_1)
	v_cndmask_b32_e64 v86, v86, v100, s11
	v_cndmask_b32_e64 v69, v86, v94, s13
	;; [unrolled: 1-line block ×5, first 2 shown]
	s_delay_alu instid0(VALU_DEP_3) | instskip(NEXT) | instid1(VALU_DEP_3)
	v_cndmask_b32_e64 v86, v86, v88, s18
	v_cndmask_b32_e64 v87, v87, v88, s24
	s_delay_alu instid0(VALU_DEP_3) | instskip(NEXT) | instid1(VALU_DEP_3)
	v_cndmask_b32_e64 v88, v95, v92, s24
	v_cndmask_b32_e64 v86, v86, v96, s20
	;; [unrolled: 3-line block ×7, first 2 shown]
	s_delay_alu instid0(VALU_DEP_3) | instskip(SKIP_2) | instid1(VALU_DEP_2)
	v_cndmask_b32_e64 v88, v88, v94, s30
	v_cndmask_b32_e32 v66, v66, v97, vcc_lo
	v_cndmask_b32_e64 v97, v72, v99, s11
	v_perm_b32 v72, v70, v66, 0x5040100
	v_perm_b32 v70, v83, v103, 0x5040100
	v_cndmask_b32_e64 v103, v91, v85, s6
	v_cndmask_b32_e64 v85, v91, v85, s4
	;; [unrolled: 1-line block ×4, first 2 shown]
	v_lshrrev_b32_e32 v97, 16, v90
	v_cndmask_b32_e64 v91, v103, v92, s18
	v_cndmask_b32_e64 v85, v85, v92, s7
	v_cndmask_b32_e64 v66, v66, v90, s17
	s_mov_b32 s4, exec_lo
	v_cndmask_b32_e64 v83, v84, v97, s16
	v_cndmask_b32_e64 v91, v91, v98, s20
	;; [unrolled: 1-line block ×3, first 2 shown]
	v_lshrrev_b32_e32 v84, 16, v94
	v_cndmask_b32_e64 v66, v66, v97, s19
	v_cndmask_b32_e64 v90, v86, v97, s28
	;; [unrolled: 1-line block ×4, first 2 shown]
	v_dual_cndmask_b32 v86, v87, v97 :: v_dual_cndmask_b32 v87, v88, v84
	v_cndmask_b32_e64 v91, v69, v84, s16
	s_delay_alu instid0(VALU_DEP_4) | instskip(NEXT) | instid1(VALU_DEP_4)
	v_cndmask_b32_e64 v89, v89, v100, s23
	v_cndmask_b32_e64 v85, v85, v100, s15
	v_perm_b32 v69, v102, v101, 0x5040100
	v_perm_b32 v86, v87, v86, 0x5040100
	;; [unrolled: 1-line block ×3, first 2 shown]
	v_cndmask_b32_e64 v89, v89, v94, s25
	v_cndmask_b32_e64 v85, v85, v94, s17
	s_mul_i32 s9, s37, 11
	s_delay_alu instid0(VALU_DEP_2) | instskip(NEXT) | instid1(VALU_DEP_2)
	v_cndmask_b32_e64 v88, v89, v84, s28
	v_cndmask_b32_e64 v89, v85, v84, s19
	s_delay_alu instid0(VALU_DEP_2) | instskip(NEXT) | instid1(VALU_DEP_2)
	v_perm_b32 v85, v88, v90, 0x5040100
	v_perm_b32 v84, v89, v66, 0x5040100
	ds_store_b128 v76, v[69:72]
	ds_store_b128 v76, v[83:86] offset:1024
	v_cmpx_gt_u32_e32 11, v0
	s_cbranch_execz .LBB1456_78
; %bb.77:
	s_mul_i32 s5, s9, s34
	s_load_b128 s[16:19], s[0:1], 0x58
	v_add3_u32 v69, s5, s31, v65
	s_delay_alu instid0(VALU_DEP_1) | instskip(NEXT) | instid1(VALU_DEP_1)
	v_mad_u64_u32 v[65:66], null, v69, s36, s[14:15]
	v_ashrrev_i32_e32 v66, 31, v65
	s_delay_alu instid0(VALU_DEP_1) | instskip(SKIP_1) | instid1(VALU_DEP_1)
	v_lshlrev_b64 v[65:66], 2, v[65:66]
	s_waitcnt lgkmcnt(0)
	v_add_co_u32 v69, vcc_lo, s18, v65
	s_delay_alu instid0(VALU_DEP_2)
	v_add_co_ci_u32_e32 v70, vcc_lo, s19, v66, vcc_lo
	v_add_co_u32 v65, vcc_lo, s16, v65
	v_add_co_ci_u32_e32 v66, vcc_lo, s17, v66, vcc_lo
	global_store_b32 v[69:70], v67, off
	global_store_b32 v[65:66], v68, off
.LBB1456_78:
	s_or_b32 exec_lo, exec_lo, s4
	s_waitcnt lgkmcnt(0)
	s_waitcnt_vscnt null, 0x0
	s_barrier
	buffer_gl0_inv
	ds_load_b128 v[83:86], v80
	ds_load_b128 v[87:90], v80 offset:16
	ds_load_b128 v[95:98], v80 offset:2064
	;; [unrolled: 1-line block ×3, first 2 shown]
	v_mov_b32_e32 v65, 0
	ds_load_b128 v[103:106], v80 offset:4112
	ds_load_b128 v[99:102], v80 offset:4096
	ds_load_b128 v[111:114], v80 offset:6160
	ds_load_b128 v[107:110], v80 offset:6144
	v_mov_b32_e32 v66, v65
	v_mov_b32_e32 v67, v65
	;; [unrolled: 1-line block ×7, first 2 shown]
	s_waitcnt lgkmcnt(6)
	s_delay_alu instid0(VALU_DEP_1)
	v_wmma_f32_16x16x16_bf16 v[65:72], v[57:64], v[83:90], v[65:72]
	ds_load_b128 v[61:64], v80 offset:8208
	ds_load_b128 v[57:60], v80 offset:8192
	s_waitcnt lgkmcnt(6)
	v_wmma_f32_16x16x16_bf16 v[65:72], v[41:48], v[91:98], v[65:72]
	ds_load_b128 v[45:48], v80 offset:10256
	ds_load_b128 v[41:44], v80 offset:10240
	s_waitcnt lgkmcnt(6)
	;; [unrolled: 4-line block ×4, first 2 shown]
	v_wmma_f32_16x16x16_bf16 v[65:72], v[1:8], v[57:64], v[65:72]
	s_waitcnt lgkmcnt(4)
	s_delay_alu instid0(VALU_DEP_1) | instskip(SKIP_1) | instid1(VALU_DEP_1)
	v_wmma_f32_16x16x16_bf16 v[65:72], v[9:16], v[41:48], v[65:72]
	s_waitcnt lgkmcnt(2)
	v_wmma_f32_16x16x16_bf16 v[65:72], v[17:24], v[33:40], v[65:72]
	s_waitcnt lgkmcnt(0)
	s_delay_alu instid0(VALU_DEP_1) | instskip(NEXT) | instid1(VALU_DEP_1)
	v_wmma_f32_16x16x16_bf16 v[65:72], v[49:56], v[25:32], v[65:72]
	v_and_b32_e32 v1, 0x7f800000, v65
	s_delay_alu instid0(VALU_DEP_1) | instskip(SKIP_1) | instid1(SALU_CYCLE_1)
	v_cmp_ne_u32_e32 vcc_lo, 0x7f800000, v1
                                        ; implicit-def: $vgpr1
	s_and_saveexec_b32 s4, vcc_lo
	s_xor_b32 s4, exec_lo, s4
; %bb.79:
	v_bfe_u32 v1, v65, 16, 1
	s_delay_alu instid0(VALU_DEP_1)
	v_add3_u32 v1, v65, v1, 0x7fff
; %bb.80:
	s_and_not1_saveexec_b32 s4, s4
; %bb.81:
	v_and_b32_e32 v1, 0xffff, v65
	v_or_b32_e32 v2, 0x10000, v65
	s_delay_alu instid0(VALU_DEP_2) | instskip(NEXT) | instid1(VALU_DEP_2)
	v_cmp_eq_u32_e32 vcc_lo, 0, v1
	v_cndmask_b32_e32 v1, v2, v65, vcc_lo
; %bb.82:
	s_or_b32 exec_lo, exec_lo, s4
	v_and_b32_e32 v2, 0x7f800000, v66
	s_delay_alu instid0(VALU_DEP_1) | instskip(SKIP_1) | instid1(SALU_CYCLE_1)
	v_cmp_ne_u32_e32 vcc_lo, 0x7f800000, v2
                                        ; implicit-def: $vgpr2
	s_and_saveexec_b32 s4, vcc_lo
	s_xor_b32 s4, exec_lo, s4
; %bb.83:
	v_bfe_u32 v2, v66, 16, 1
	s_delay_alu instid0(VALU_DEP_1)
	v_add3_u32 v2, v66, v2, 0x7fff
; %bb.84:
	s_and_not1_saveexec_b32 s4, s4
; %bb.85:
	v_and_b32_e32 v2, 0xffff, v66
	v_or_b32_e32 v3, 0x10000, v66
	s_delay_alu instid0(VALU_DEP_2) | instskip(NEXT) | instid1(VALU_DEP_2)
	v_cmp_eq_u32_e32 vcc_lo, 0, v2
	v_cndmask_b32_e32 v2, v3, v66, vcc_lo
; %bb.86:
	s_or_b32 exec_lo, exec_lo, s4
	v_and_b32_e32 v3, 0x7f800000, v67
	s_delay_alu instid0(VALU_DEP_1) | instskip(SKIP_1) | instid1(SALU_CYCLE_1)
	v_cmp_ne_u32_e32 vcc_lo, 0x7f800000, v3
                                        ; implicit-def: $vgpr3
	s_and_saveexec_b32 s4, vcc_lo
	s_xor_b32 s4, exec_lo, s4
; %bb.87:
	v_bfe_u32 v3, v67, 16, 1
	s_delay_alu instid0(VALU_DEP_1)
	v_add3_u32 v3, v67, v3, 0x7fff
; %bb.88:
	s_and_not1_saveexec_b32 s4, s4
; %bb.89:
	v_and_b32_e32 v3, 0xffff, v67
	v_or_b32_e32 v4, 0x10000, v67
	s_delay_alu instid0(VALU_DEP_2) | instskip(NEXT) | instid1(VALU_DEP_2)
	v_cmp_eq_u32_e32 vcc_lo, 0, v3
	v_cndmask_b32_e32 v3, v4, v67, vcc_lo
; %bb.90:
	s_or_b32 exec_lo, exec_lo, s4
	v_and_b32_e32 v4, 0x7f800000, v68
	s_delay_alu instid0(VALU_DEP_1) | instskip(SKIP_1) | instid1(SALU_CYCLE_1)
	v_cmp_ne_u32_e32 vcc_lo, 0x7f800000, v4
                                        ; implicit-def: $vgpr4
	s_and_saveexec_b32 s4, vcc_lo
	s_xor_b32 s4, exec_lo, s4
; %bb.91:
	v_bfe_u32 v4, v68, 16, 1
	s_delay_alu instid0(VALU_DEP_1)
	v_add3_u32 v4, v68, v4, 0x7fff
; %bb.92:
	s_and_not1_saveexec_b32 s4, s4
; %bb.93:
	v_and_b32_e32 v4, 0xffff, v68
	v_or_b32_e32 v5, 0x10000, v68
	s_delay_alu instid0(VALU_DEP_2) | instskip(NEXT) | instid1(VALU_DEP_2)
	v_cmp_eq_u32_e32 vcc_lo, 0, v4
	v_cndmask_b32_e32 v4, v5, v68, vcc_lo
; %bb.94:
	s_or_b32 exec_lo, exec_lo, s4
	v_and_b32_e32 v5, 0x7f800000, v69
	s_delay_alu instid0(VALU_DEP_1) | instskip(SKIP_1) | instid1(SALU_CYCLE_1)
	v_cmp_ne_u32_e32 vcc_lo, 0x7f800000, v5
                                        ; implicit-def: $vgpr5
	s_and_saveexec_b32 s4, vcc_lo
	s_xor_b32 s4, exec_lo, s4
; %bb.95:
	v_bfe_u32 v5, v69, 16, 1
	s_delay_alu instid0(VALU_DEP_1)
	v_add3_u32 v5, v69, v5, 0x7fff
; %bb.96:
	s_and_not1_saveexec_b32 s4, s4
; %bb.97:
	v_and_b32_e32 v5, 0xffff, v69
	v_or_b32_e32 v6, 0x10000, v69
	s_delay_alu instid0(VALU_DEP_2) | instskip(NEXT) | instid1(VALU_DEP_2)
	v_cmp_eq_u32_e32 vcc_lo, 0, v5
	v_cndmask_b32_e32 v5, v6, v69, vcc_lo
; %bb.98:
	s_or_b32 exec_lo, exec_lo, s4
	v_and_b32_e32 v6, 0x7f800000, v70
	s_delay_alu instid0(VALU_DEP_1) | instskip(SKIP_1) | instid1(SALU_CYCLE_1)
	v_cmp_ne_u32_e32 vcc_lo, 0x7f800000, v6
                                        ; implicit-def: $vgpr6
	s_and_saveexec_b32 s4, vcc_lo
	s_xor_b32 s4, exec_lo, s4
; %bb.99:
	v_bfe_u32 v6, v70, 16, 1
	s_delay_alu instid0(VALU_DEP_1)
	v_add3_u32 v6, v70, v6, 0x7fff
; %bb.100:
	s_and_not1_saveexec_b32 s4, s4
; %bb.101:
	v_and_b32_e32 v6, 0xffff, v70
	v_or_b32_e32 v7, 0x10000, v70
	s_delay_alu instid0(VALU_DEP_2) | instskip(NEXT) | instid1(VALU_DEP_2)
	v_cmp_eq_u32_e32 vcc_lo, 0, v6
	v_cndmask_b32_e32 v6, v7, v70, vcc_lo
; %bb.102:
	s_or_b32 exec_lo, exec_lo, s4
	v_and_b32_e32 v7, 0x7f800000, v71
	s_delay_alu instid0(VALU_DEP_1) | instskip(SKIP_1) | instid1(SALU_CYCLE_1)
	v_cmp_ne_u32_e32 vcc_lo, 0x7f800000, v7
                                        ; implicit-def: $vgpr7
	s_and_saveexec_b32 s4, vcc_lo
	s_xor_b32 s4, exec_lo, s4
; %bb.103:
	v_bfe_u32 v7, v71, 16, 1
	s_delay_alu instid0(VALU_DEP_1)
	v_add3_u32 v7, v71, v7, 0x7fff
; %bb.104:
	s_and_not1_saveexec_b32 s4, s4
; %bb.105:
	v_and_b32_e32 v7, 0xffff, v71
	v_or_b32_e32 v8, 0x10000, v71
	s_delay_alu instid0(VALU_DEP_2) | instskip(NEXT) | instid1(VALU_DEP_2)
	v_cmp_eq_u32_e32 vcc_lo, 0, v7
	v_cndmask_b32_e32 v7, v8, v71, vcc_lo
; %bb.106:
	s_or_b32 exec_lo, exec_lo, s4
	v_and_b32_e32 v8, 0x7f800000, v72
	s_delay_alu instid0(VALU_DEP_1) | instskip(SKIP_1) | instid1(SALU_CYCLE_1)
	v_cmp_ne_u32_e32 vcc_lo, 0x7f800000, v8
                                        ; implicit-def: $vgpr8
	s_and_saveexec_b32 s4, vcc_lo
	s_xor_b32 s4, exec_lo, s4
; %bb.107:
	v_bfe_u32 v8, v72, 16, 1
	s_delay_alu instid0(VALU_DEP_1)
	v_add3_u32 v8, v72, v8, 0x7fff
                                        ; implicit-def: $vgpr65_vgpr66_vgpr67_vgpr68_vgpr69_vgpr70_vgpr71_vgpr72
; %bb.108:
	s_and_not1_saveexec_b32 s4, s4
; %bb.109:
	v_and_b32_e32 v8, 0xffff, v72
	v_or_b32_e32 v9, 0x10000, v72
	s_delay_alu instid0(VALU_DEP_2) | instskip(NEXT) | instid1(VALU_DEP_2)
	v_cmp_eq_u32_e32 vcc_lo, 0, v8
	v_cndmask_b32_e32 v8, v9, v72, vcc_lo
; %bb.110:
	s_or_b32 exec_lo, exec_lo, s4
	s_delay_alu instid0(VALU_DEP_1)
	v_perm_b32 v7, v8, v7, 0x7060302
	v_perm_b32 v6, v6, v5, 0x7060302
	;; [unrolled: 1-line block ×4, first 2 shown]
	s_barrier
	buffer_gl0_inv
	v_cmp_eq_u32_e32 vcc_lo, 1, v78
	ds_store_b128 v76, v[4:7]
	s_waitcnt lgkmcnt(0)
	s_barrier
	buffer_gl0_inv
	ds_load_b128 v[1:4], v82
	ds_load_b128 v[5:8], v82 offset:16
	v_cmp_eq_u32_e64 s4, 1, v79
	v_cmp_eq_u32_e64 s5, 2, v78
	;; [unrolled: 1-line block ×5, first 2 shown]
	s_waitcnt lgkmcnt(1)
	v_lshrrev_b32_e32 v9, 16, v1
	s_waitcnt lgkmcnt(0)
	v_lshrrev_b32_e32 v13, 16, v5
	v_lshrrev_b32_e32 v10, 16, v2
	;; [unrolled: 1-line block ×4, first 2 shown]
	v_cndmask_b32_e64 v19, v1, v9, s4
	v_cndmask_b32_e32 v18, v5, v13, vcc_lo
	v_cndmask_b32_e64 v20, v5, v13, s4
	v_cndmask_b32_e32 v17, v1, v9, vcc_lo
	v_cmp_eq_u32_e32 vcc_lo, 2, v79
	v_lshrrev_b32_e32 v15, 16, v7
	v_cmp_eq_u32_e64 s4, 1, v77
	v_lshrrev_b32_e32 v12, 16, v4
	v_lshrrev_b32_e32 v16, 16, v8
	v_cndmask_b32_e32 v20, v20, v6, vcc_lo
	v_cndmask_b32_e64 v17, v17, v2, s5
	v_cndmask_b32_e32 v19, v19, v2, vcc_lo
	v_cndmask_b32_e64 v18, v18, v6, s5
	v_cmp_eq_u32_e32 vcc_lo, 4, v78
	v_cmp_eq_u32_e64 s5, 3, v79
	v_cndmask_b32_e64 v17, v17, v10, s6
	v_cndmask_b32_e64 v21, v1, v9, s4
	;; [unrolled: 1-line block ×5, first 2 shown]
	v_cndmask_b32_e32 v17, v17, v3, vcc_lo
	v_cndmask_b32_e64 v20, v20, v14, s5
	v_cndmask_b32_e32 v18, v18, v7, vcc_lo
	v_cmp_eq_u32_e32 vcc_lo, 4, v79
	v_cmp_eq_u32_e64 s5, 5, v79
	v_cmp_eq_u32_e64 s4, 2, v81
	v_cndmask_b32_e64 v21, v21, v2, s8
	v_cmp_eq_u32_e64 s6, 5, v78
	v_cndmask_b32_e32 v19, v19, v3, vcc_lo
	v_cndmask_b32_e32 v20, v20, v7, vcc_lo
	v_cmp_eq_u32_e32 vcc_lo, 6, v79
	s_delay_alu instid0(VALU_DEP_4) | instskip(NEXT) | instid1(VALU_DEP_4)
	v_cndmask_b32_e64 v17, v17, v11, s6
	v_cndmask_b32_e64 v19, v19, v11, s5
	s_delay_alu instid0(VALU_DEP_4) | instskip(SKIP_1) | instid1(VALU_DEP_3)
	v_cndmask_b32_e64 v20, v20, v15, s5
	v_cmp_eq_u32_e64 s5, 1, v81
	v_cndmask_b32_e32 v19, v19, v4, vcc_lo
	v_cndmask_b32_e64 v18, v18, v15, s6
	s_delay_alu instid0(VALU_DEP_3)
	v_cndmask_b32_e64 v1, v1, v9, s5
	v_cndmask_b32_e64 v5, v5, v13, s5
	v_cmp_eq_u32_e64 s5, 3, v77
	v_cndmask_b32_e64 v13, v22, v6, s8
	v_cmp_eq_u32_e64 s8, 3, v81
	v_cndmask_b32_e64 v1, v1, v2, s4
	v_cndmask_b32_e64 v2, v5, v6, s4
	;; [unrolled: 1-line block ×3, first 2 shown]
	v_cmp_eq_u32_e64 s4, 4, v77
	v_cndmask_b32_e64 v6, v13, v14, s5
	v_cndmask_b32_e64 v1, v1, v10, s8
	v_cmp_eq_u32_e64 s5, 4, v81
	v_cndmask_b32_e64 v2, v2, v14, s8
	v_cndmask_b32_e64 v5, v9, v3, s4
	;; [unrolled: 3-line block ×3, first 2 shown]
	v_cndmask_b32_e64 v2, v2, v7, s5
	v_cmp_eq_u32_e64 s4, 5, v81
	v_cmp_eq_u32_e64 s6, 6, v78
	v_cndmask_b32_e64 v5, v5, v11, s8
	v_cmp_eq_u32_e64 s5, 6, v77
	v_cndmask_b32_e64 v3, v6, v15, s8
	v_cndmask_b32_e64 v1, v1, v11, s4
	v_cmp_eq_u32_e64 s8, 6, v81
	v_cndmask_b32_e64 v2, v2, v15, s4
	v_cndmask_b32_e64 v17, v17, v4, s6
	v_cndmask_b32_e64 v18, v18, v8, s6
	v_cmp_eq_u32_e64 s6, 7, v78
	v_cndmask_b32_e64 v5, v5, v4, s5
	;; [unrolled: 4-line block ×3, first 2 shown]
	v_cmp_eq_u32_e64 s5, 7, v77
	v_cndmask_b32_e32 v4, v20, v8, vcc_lo
	v_cndmask_b32_e64 v17, v17, v12, s6
	v_cndmask_b32_e64 v19, v19, v12, s7
	;; [unrolled: 1-line block ×8, first 2 shown]
	v_cmp_gt_u32_e32 vcc_lo, 32, v0
	v_perm_b32 v4, v2, v1, 0x5040100
	v_perm_b32 v3, v3, v5, 0x5040100
	;; [unrolled: 1-line block ×4, first 2 shown]
	s_and_b32 s2, vcc_lo, s2
	ds_store_b128 v76, v[1:4]
	s_waitcnt lgkmcnt(0)
	s_barrier
	buffer_gl0_inv
	s_and_saveexec_b32 s4, s2
	s_cbranch_execz .LBB1456_2
; %bb.111:
	s_load_b64 s[4:5], s[0:1], 0x68
	v_lshlrev_b32_e32 v0, 10, v0
	v_lshlrev_b32_e32 v1, 4, v75
	s_lshl_b32 s0, s36, 6
	v_add_nc_u32_e32 v7, s31, v74
	s_mul_i32 s1, s0, s34
	s_delay_alu instid0(SALU_CYCLE_1) | instskip(SKIP_1) | instid1(VALU_DEP_2)
	s_mul_i32 s6, s1, s9
	v_and_or_b32 v0, 0x3800, v0, v1
	v_mul_lo_u32 v1, v7, s0
	v_add_nc_u32_e32 v2, 2, v7
	s_ashr_i32 s7, s6, 31
	v_add_nc_u32_e32 v4, 4, v7
	s_lshl_b64 s[6:7], s[6:7], 1
	v_add_nc_u32_e32 v8, 6, v7
	v_mul_lo_u32 v3, v2, s0
	v_lshl_or_b32 v19, v74, 6, v0
	v_ashrrev_i32_e32 v2, 31, v1
	v_mul_lo_u32 v11, v4, s0
	v_mul_lo_u32 v25, v8, s0
	s_waitcnt lgkmcnt(0)
	s_add_u32 s1, s4, s6
	s_addc_u32 s2, s5, s7
	s_lshl_b32 s4, s14, 6
	v_lshlrev_b64 v[5:6], 1, v[1:2]
	s_ashr_i32 s5, s4, 31
	v_ashrrev_i32_e32 v4, 31, v3
	s_lshl_b64 s[4:5], s[4:5], 1
	v_ashrrev_i32_e32 v12, 31, v11
	s_add_u32 s1, s1, s4
	s_addc_u32 s2, s2, s5
	v_add_co_u32 v1, s1, s1, v73
	s_delay_alu instid0(VALU_DEP_1) | instskip(SKIP_1) | instid1(VALU_DEP_3)
	v_add_co_ci_u32_e64 v2, null, s2, 0, s1
	v_lshlrev_b64 v[3:4], 1, v[3:4]
	v_add_co_u32 v23, vcc_lo, v1, v5
	v_add_nc_u32_e32 v5, 8, v7
	s_delay_alu instid0(VALU_DEP_4) | instskip(NEXT) | instid1(VALU_DEP_4)
	v_add_co_ci_u32_e32 v24, vcc_lo, v2, v6, vcc_lo
	v_add_co_u32 v27, vcc_lo, v1, v3
	s_delay_alu instid0(VALU_DEP_3)
	v_mul_lo_u32 v29, v5, s0
	v_add_co_ci_u32_e32 v28, vcc_lo, v2, v4, vcc_lo
	ds_load_b128 v[3:6], v19
	ds_load_b128 v[7:10], v19 offset:128
	v_lshlrev_b64 v[31:32], 1, v[11:12]
	ds_load_b128 v[11:14], v19 offset:256
	ds_load_b128 v[15:18], v19 offset:384
	;; [unrolled: 1-line block ×3, first 2 shown]
	v_ashrrev_i32_e32 v26, 31, v25
	v_ashrrev_i32_e32 v30, 31, v29
	v_add_co_u32 v31, vcc_lo, v1, v31
	s_delay_alu instid0(VALU_DEP_3) | instskip(NEXT) | instid1(VALU_DEP_3)
	v_lshlrev_b64 v[25:26], 1, v[25:26]
	v_lshlrev_b64 v[29:30], 1, v[29:30]
	v_add_co_ci_u32_e32 v32, vcc_lo, v2, v32, vcc_lo
	s_delay_alu instid0(VALU_DEP_3) | instskip(NEXT) | instid1(VALU_DEP_4)
	v_add_co_u32 v25, vcc_lo, v1, v25
	v_add_co_ci_u32_e32 v26, vcc_lo, v2, v26, vcc_lo
	s_delay_alu instid0(VALU_DEP_4)
	v_add_co_u32 v29, vcc_lo, v1, v29
	v_add_co_ci_u32_e32 v30, vcc_lo, v2, v30, vcc_lo
	s_waitcnt lgkmcnt(4)
	global_store_b128 v[23:24], v[3:6], off
	s_waitcnt lgkmcnt(3)
	global_store_b128 v[27:28], v[7:10], off
	;; [unrolled: 2-line block ×5, first 2 shown]
	s_and_b32 exec_lo, exec_lo, s3
	s_cbranch_execz .LBB1456_2
; %bb.112:
	ds_load_b128 v[3:6], v0 offset:640
	s_add_i32 s1, s31, 10
	s_delay_alu instid0(SALU_CYCLE_1) | instskip(NEXT) | instid1(SALU_CYCLE_1)
	s_mul_i32 s0, s1, s0
	s_ashr_i32 s1, s0, 31
	s_delay_alu instid0(SALU_CYCLE_1) | instskip(NEXT) | instid1(SALU_CYCLE_1)
	s_lshl_b64 s[0:1], s[0:1], 1
	v_add_co_u32 v0, vcc_lo, v1, s0
	v_add_co_ci_u32_e32 v1, vcc_lo, s1, v2, vcc_lo
	s_waitcnt lgkmcnt(0)
	global_store_b128 v[0:1], v[3:6], off
	s_nop 0
	s_sendmsg sendmsg(MSG_DEALLOC_VGPRS)
	s_endpgm
	.section	.rodata,"a",@progbits
	.p2align	6, 0x0
	.amdhsa_kernel _Z39paged_attention_ll4mi_QKV_mfma16_kernelI14__hip_bfloat16hLN4vllm18Fp8KVCacheDataTypeE1EhLi32ELi64ELi256ELb0ELi11EL8MFMAType1EEvPKT_PKT0_S9_ifPKiSB_SB_iPKfiiiPfSE_PS4_PT2_iSD_SD_
		.amdhsa_group_segment_fixed_size 17472
		.amdhsa_private_segment_fixed_size 0
		.amdhsa_kernarg_size 400
		.amdhsa_user_sgpr_count 13
		.amdhsa_user_sgpr_dispatch_ptr 0
		.amdhsa_user_sgpr_queue_ptr 0
		.amdhsa_user_sgpr_kernarg_segment_ptr 1
		.amdhsa_user_sgpr_dispatch_id 0
		.amdhsa_user_sgpr_private_segment_size 0
		.amdhsa_wavefront_size32 1
		.amdhsa_uses_dynamic_stack 0
		.amdhsa_enable_private_segment 0
		.amdhsa_system_sgpr_workgroup_id_x 1
		.amdhsa_system_sgpr_workgroup_id_y 1
		.amdhsa_system_sgpr_workgroup_id_z 1
		.amdhsa_system_sgpr_workgroup_info 0
		.amdhsa_system_vgpr_workitem_id 0
		.amdhsa_next_free_vgpr 124
		.amdhsa_next_free_sgpr 42
		.amdhsa_reserve_vcc 1
		.amdhsa_float_round_mode_32 0
		.amdhsa_float_round_mode_16_64 0
		.amdhsa_float_denorm_mode_32 3
		.amdhsa_float_denorm_mode_16_64 3
		.amdhsa_dx10_clamp 1
		.amdhsa_ieee_mode 1
		.amdhsa_fp16_overflow 0
		.amdhsa_workgroup_processor_mode 1
		.amdhsa_memory_ordered 1
		.amdhsa_forward_progress 0
		.amdhsa_shared_vgpr_count 0
		.amdhsa_exception_fp_ieee_invalid_op 0
		.amdhsa_exception_fp_denorm_src 0
		.amdhsa_exception_fp_ieee_div_zero 0
		.amdhsa_exception_fp_ieee_overflow 0
		.amdhsa_exception_fp_ieee_underflow 0
		.amdhsa_exception_fp_ieee_inexact 0
		.amdhsa_exception_int_div_zero 0
	.end_amdhsa_kernel
	.section	.text._Z39paged_attention_ll4mi_QKV_mfma16_kernelI14__hip_bfloat16hLN4vllm18Fp8KVCacheDataTypeE1EhLi32ELi64ELi256ELb0ELi11EL8MFMAType1EEvPKT_PKT0_S9_ifPKiSB_SB_iPKfiiiPfSE_PS4_PT2_iSD_SD_,"axG",@progbits,_Z39paged_attention_ll4mi_QKV_mfma16_kernelI14__hip_bfloat16hLN4vllm18Fp8KVCacheDataTypeE1EhLi32ELi64ELi256ELb0ELi11EL8MFMAType1EEvPKT_PKT0_S9_ifPKiSB_SB_iPKfiiiPfSE_PS4_PT2_iSD_SD_,comdat
.Lfunc_end1456:
	.size	_Z39paged_attention_ll4mi_QKV_mfma16_kernelI14__hip_bfloat16hLN4vllm18Fp8KVCacheDataTypeE1EhLi32ELi64ELi256ELb0ELi11EL8MFMAType1EEvPKT_PKT0_S9_ifPKiSB_SB_iPKfiiiPfSE_PS4_PT2_iSD_SD_, .Lfunc_end1456-_Z39paged_attention_ll4mi_QKV_mfma16_kernelI14__hip_bfloat16hLN4vllm18Fp8KVCacheDataTypeE1EhLi32ELi64ELi256ELb0ELi11EL8MFMAType1EEvPKT_PKT0_S9_ifPKiSB_SB_iPKfiiiPfSE_PS4_PT2_iSD_SD_
                                        ; -- End function
	.section	.AMDGPU.csdata,"",@progbits
; Kernel info:
; codeLenInByte = 8920
; NumSgprs: 44
; NumVgprs: 124
; ScratchSize: 0
; MemoryBound: 0
; FloatMode: 240
; IeeeMode: 1
; LDSByteSize: 17472 bytes/workgroup (compile time only)
; SGPRBlocks: 5
; VGPRBlocks: 15
; NumSGPRsForWavesPerEU: 44
; NumVGPRsForWavesPerEU: 124
; Occupancy: 10
; WaveLimiterHint : 1
; COMPUTE_PGM_RSRC2:SCRATCH_EN: 0
; COMPUTE_PGM_RSRC2:USER_SGPR: 13
; COMPUTE_PGM_RSRC2:TRAP_HANDLER: 0
; COMPUTE_PGM_RSRC2:TGID_X_EN: 1
; COMPUTE_PGM_RSRC2:TGID_Y_EN: 1
; COMPUTE_PGM_RSRC2:TGID_Z_EN: 1
; COMPUTE_PGM_RSRC2:TIDIG_COMP_CNT: 0
	.section	.text._Z39paged_attention_ll4mi_QKV_mfma16_kernelI14__hip_bfloat16hLN4vllm18Fp8KVCacheDataTypeE1EhLi32ELi64ELi256ELb0ELi12EL8MFMAType1EEvPKT_PKT0_S9_ifPKiSB_SB_iPKfiiiPfSE_PS4_PT2_iSD_SD_,"axG",@progbits,_Z39paged_attention_ll4mi_QKV_mfma16_kernelI14__hip_bfloat16hLN4vllm18Fp8KVCacheDataTypeE1EhLi32ELi64ELi256ELb0ELi12EL8MFMAType1EEvPKT_PKT0_S9_ifPKiSB_SB_iPKfiiiPfSE_PS4_PT2_iSD_SD_,comdat
	.protected	_Z39paged_attention_ll4mi_QKV_mfma16_kernelI14__hip_bfloat16hLN4vllm18Fp8KVCacheDataTypeE1EhLi32ELi64ELi256ELb0ELi12EL8MFMAType1EEvPKT_PKT0_S9_ifPKiSB_SB_iPKfiiiPfSE_PS4_PT2_iSD_SD_ ; -- Begin function _Z39paged_attention_ll4mi_QKV_mfma16_kernelI14__hip_bfloat16hLN4vllm18Fp8KVCacheDataTypeE1EhLi32ELi64ELi256ELb0ELi12EL8MFMAType1EEvPKT_PKT0_S9_ifPKiSB_SB_iPKfiiiPfSE_PS4_PT2_iSD_SD_
	.globl	_Z39paged_attention_ll4mi_QKV_mfma16_kernelI14__hip_bfloat16hLN4vllm18Fp8KVCacheDataTypeE1EhLi32ELi64ELi256ELb0ELi12EL8MFMAType1EEvPKT_PKT0_S9_ifPKiSB_SB_iPKfiiiPfSE_PS4_PT2_iSD_SD_
	.p2align	8
	.type	_Z39paged_attention_ll4mi_QKV_mfma16_kernelI14__hip_bfloat16hLN4vllm18Fp8KVCacheDataTypeE1EhLi32ELi64ELi256ELb0ELi12EL8MFMAType1EEvPKT_PKT0_S9_ifPKiSB_SB_iPKfiiiPfSE_PS4_PT2_iSD_SD_,@function
_Z39paged_attention_ll4mi_QKV_mfma16_kernelI14__hip_bfloat16hLN4vllm18Fp8KVCacheDataTypeE1EhLi32ELi64ELi256ELb0ELi12EL8MFMAType1EEvPKT_PKT0_S9_ifPKiSB_SB_iPKfiiiPfSE_PS4_PT2_iSD_SD_: ; @_Z39paged_attention_ll4mi_QKV_mfma16_kernelI14__hip_bfloat16hLN4vllm18Fp8KVCacheDataTypeE1EhLi32ELi64ELi256ELb0ELi12EL8MFMAType1EEvPKT_PKT0_S9_ifPKiSB_SB_iPKfiiiPfSE_PS4_PT2_iSD_SD_
; %bb.0:
	s_load_b64 s[2:3], s[0:1], 0x30
	s_mov_b32 s30, s13
	s_waitcnt lgkmcnt(0)
	s_cmp_lg_u64 s[2:3], 0
	s_cselect_b32 s8, -1, 0
	s_ashr_i32 s31, s13, 31
	s_cmp_eq_u64 s[2:3], 0
	s_cbranch_scc1 .LBB1457_3
; %bb.1:
	s_lshl_b64 s[4:5], s[30:31], 2
	s_delay_alu instid0(SALU_CYCLE_1) | instskip(SKIP_4) | instid1(SALU_CYCLE_1)
	s_add_u32 s4, s2, s4
	s_addc_u32 s5, s3, s5
	s_load_b64 s[4:5], s[4:5], 0x0
	s_waitcnt lgkmcnt(0)
	s_sub_i32 s4, s5, s4
	s_cmp_eq_u32 s4, 1
	s_cselect_b32 s4, -1, 0
	s_delay_alu instid0(SALU_CYCLE_1)
	s_and_not1_b32 vcc_lo, exec_lo, s4
	s_cbranch_vccz .LBB1457_4
.LBB1457_2:
	s_endpgm
.LBB1457_3:
.LBB1457_4:
	s_load_b64 s[4:5], s[0:1], 0x28
	s_lshl_b64 s[6:7], s[30:31], 2
	s_waitcnt lgkmcnt(0)
	s_add_u32 s4, s4, s6
	s_addc_u32 s5, s5, s7
	s_lshl_b32 s12, s14, 8
	s_load_b32 s24, s[4:5], 0x0
	s_waitcnt lgkmcnt(0)
	s_cmp_ge_i32 s12, s24
	s_cbranch_scc1 .LBB1457_2
; %bb.5:
	s_clause 0x1
	s_load_b128 s[20:23], s[0:1], 0x8
	s_load_b64 s[4:5], s[0:1], 0x20
	s_and_not1_b32 vcc_lo, exec_lo, s8
	s_cbranch_vccnz .LBB1457_7
; %bb.6:
	s_add_u32 s2, s2, s6
	s_addc_u32 s3, s3, s7
	s_load_b32 s3, s[2:3], 0x0
	s_branch .LBB1457_8
.LBB1457_7:
	s_mov_b32 s3, s30
.LBB1457_8:
	s_load_b128 s[16:19], s[0:1], 0x48
	v_and_b32_e32 v65, 15, v0
	v_cmp_gt_u32_e32 vcc_lo, 0xc0, v0
	v_lshrrev_b32_e32 v66, 5, v0
	v_and_b32_e32 v67, 31, v0
	v_and_b32_e32 v75, 1, v0
	v_lshlrev_b32_e32 v1, 3, v65
	v_cmp_gt_u32_e64 s2, 8, v65
	v_bfe_u32 v74, v0, 4, 1
	s_mul_i32 s31, s15, 12
	s_delay_alu instid0(VALU_DEP_3) | instskip(NEXT) | instid1(VALU_DEP_3)
	v_lshlrev_b32_e32 v73, 1, v1
	s_and_b32 s7, vcc_lo, s2
	s_delay_alu instid0(SALU_CYCLE_1)
	s_and_saveexec_b32 s6, s7
	s_cbranch_execz .LBB1457_10
; %bb.9:
	s_load_b64 s[8:9], s[0:1], 0x0
	v_lshl_or_b32 v5, v66, 1, v74
	s_waitcnt lgkmcnt(0)
	s_mul_hi_i32 s11, s3, s16
	s_mul_i32 s10, s3, s16
	v_lshlrev_b32_e32 v6, 10, v65
	s_lshl_b64 s[10:11], s[10:11], 1
	v_add_lshl_u32 v1, v5, s31, 6
	v_lshlrev_b32_e32 v5, 6, v5
	v_lshlrev_b32_e32 v7, 10, v75
	v_and_b32_e32 v6, 0x3800, v6
	s_delay_alu instid0(VALU_DEP_4) | instskip(NEXT) | instid1(VALU_DEP_2)
	v_ashrrev_i32_e32 v2, 31, v1
	v_or3_b32 v5, v6, v7, v5
	s_delay_alu instid0(VALU_DEP_2) | instskip(SKIP_2) | instid1(VALU_DEP_1)
	v_lshlrev_b64 v[1:2], 1, v[1:2]
	s_add_u32 s3, s8, s10
	s_addc_u32 s7, s9, s11
	v_add_co_u32 v1, vcc_lo, s3, v1
	s_delay_alu instid0(VALU_DEP_2) | instskip(NEXT) | instid1(VALU_DEP_2)
	v_add_co_ci_u32_e32 v2, vcc_lo, s7, v2, vcc_lo
	v_add_co_u32 v1, vcc_lo, v1, v73
	s_delay_alu instid0(VALU_DEP_2)
	v_add_co_ci_u32_e32 v2, vcc_lo, 0, v2, vcc_lo
	global_load_b128 v[1:4], v[1:2], off
	s_waitcnt vmcnt(0)
	ds_store_b128 v5, v[1:4]
.LBB1457_10:
	s_or_b32 exec_lo, exec_lo, s6
	v_and_b32_e32 v1, 0xef, v0
	s_waitcnt lgkmcnt(0)
	s_add_i32 s3, s24, 31
	s_clause 0x1
	s_load_b32 s6, s[0:1], 0x38
	s_load_b32 s19, s[0:1], 0x1c
	s_ashr_i32 s7, s3, 31
	v_add_nc_u32_e32 v1, s12, v1
	s_lshr_b32 s7, s7, 27
	s_waitcnt lgkmcnt(0)
	s_add_i32 s3, s3, s7
	s_barrier
	v_ashrrev_i32_e32 v2, 31, v1
	v_or_b32_e32 v3, 16, v1
	s_ashr_i32 s3, s3, 5
	v_cmp_gt_i32_e32 vcc_lo, s24, v1
	s_add_i32 s3, s3, -1
	v_lshrrev_b32_e32 v2, 27, v2
	buffer_gl0_inv
	s_mul_i32 s27, s15, s18
	v_add_nc_u32_e32 v4, v1, v2
	s_mul_i32 s6, s30, s6
	s_delay_alu instid0(SALU_CYCLE_1) | instskip(NEXT) | instid1(VALU_DEP_1)
	s_ashr_i32 s7, s6, 31
	v_ashrrev_i32_e32 v4, 5, v4
	v_add_nc_u32_e32 v2, v3, v2
	s_lshl_b64 s[6:7], s[6:7], 2
	s_delay_alu instid0(SALU_CYCLE_1) | instskip(NEXT) | instid1(VALU_DEP_2)
	s_add_u32 s26, s4, s6
	v_cndmask_b32_e32 v1, s3, v4, vcc_lo
	s_delay_alu instid0(VALU_DEP_2)
	v_ashrrev_i32_e32 v2, 5, v2
	v_cmp_gt_i32_e32 vcc_lo, s24, v3
	s_addc_u32 s25, s5, s7
	s_ashr_i32 s28, s27, 31
	s_add_u32 s4, s20, s27
	s_addc_u32 s5, s21, s28
	v_cndmask_b32_e32 v3, s3, v2, vcc_lo
	v_ashrrev_i32_e32 v2, 31, v1
	s_lshl_b32 s6, s14, 3
	s_delay_alu instid0(SALU_CYCLE_1) | instskip(NEXT) | instid1(VALU_DEP_2)
	s_ashr_i32 s7, s6, 31
	v_ashrrev_i32_e32 v4, 31, v3
	s_delay_alu instid0(VALU_DEP_2) | instskip(SKIP_1) | instid1(SALU_CYCLE_1)
	v_lshlrev_b64 v[1:2], 2, v[1:2]
	s_lshl_b64 s[6:7], s[6:7], 2
	s_add_u32 s6, s26, s6
	s_delay_alu instid0(VALU_DEP_2) | instskip(SKIP_1) | instid1(VALU_DEP_2)
	v_lshlrev_b64 v[3:4], 2, v[3:4]
	s_addc_u32 s7, s25, s7
	v_add_co_u32 v1, vcc_lo, s26, v1
	v_add_co_ci_u32_e32 v2, vcc_lo, s25, v2, vcc_lo
	s_delay_alu instid0(VALU_DEP_3) | instskip(NEXT) | instid1(VALU_DEP_4)
	v_add_co_u32 v3, vcc_lo, s26, v3
	v_add_co_ci_u32_e32 v4, vcc_lo, s25, v4, vcc_lo
	s_clause 0x1
	global_load_b32 v5, v[1:2], off
	global_load_b32 v6, v[3:4], off
	s_or_b32 s8, s12, 32
	s_delay_alu instid0(SALU_CYCLE_1) | instskip(SKIP_2) | instid1(SALU_CYCLE_1)
	s_ashr_i32 s9, s8, 5
	s_cmp_lt_i32 s8, s24
	s_cselect_b32 s8, s9, s3
	s_ashr_i32 s9, s8, 31
	s_delay_alu instid0(SALU_CYCLE_1) | instskip(NEXT) | instid1(SALU_CYCLE_1)
	s_lshl_b64 s[8:9], s[8:9], 2
	s_add_u32 s8, s26, s8
	s_addc_u32 s9, s25, s9
	s_or_b32 s10, s12, 64
	s_delay_alu instid0(SALU_CYCLE_1) | instskip(SKIP_2) | instid1(SALU_CYCLE_1)
	s_ashr_i32 s11, s10, 5
	s_cmp_lt_i32 s10, s24
	s_cselect_b32 s10, s11, s3
	s_ashr_i32 s11, s10, 31
	s_delay_alu instid0(SALU_CYCLE_1) | instskip(NEXT) | instid1(SALU_CYCLE_1)
	s_lshl_b64 s[10:11], s[10:11], 2
	s_add_u32 s10, s26, s10
	s_addc_u32 s11, s25, s11
	;; [unrolled: 10-line block ×5, first 2 shown]
	s_clause 0x5
	s_load_b32 s21, s[6:7], 0x0
	s_load_b32 s13, s[8:9], 0x0
	;; [unrolled: 1-line block ×6, first 2 shown]
	s_or_b32 s8, s12, 0xc0
	s_delay_alu instid0(SALU_CYCLE_1) | instskip(SKIP_2) | instid1(SALU_CYCLE_1)
	s_ashr_i32 s9, s8, 5
	s_cmp_lt_i32 s8, s24
	s_cselect_b32 s34, s9, s3
	s_ashr_i32 s35, s34, 31
	s_delay_alu instid0(SALU_CYCLE_1) | instskip(NEXT) | instid1(SALU_CYCLE_1)
	s_lshl_b64 s[34:35], s[34:35], 2
	s_add_u32 s34, s26, s34
	s_addc_u32 s35, s25, s35
	s_or_b32 s29, s12, 0xe0
	s_delay_alu instid0(SALU_CYCLE_1)
	s_ashr_i32 s33, s29, 5
	s_cmp_lt_i32 s29, s24
	s_waitcnt vmcnt(1)
	v_mad_i64_i32 v[1:2], null, v5, s17, s[4:5]
	s_waitcnt vmcnt(0)
	v_mad_i64_i32 v[3:4], null, v6, s17, s[4:5]
	s_mov_b32 s4, 0
	s_delay_alu instid0(SALU_CYCLE_1)
	s_mov_b32 s5, s4
	s_mov_b32 s6, s4
	;; [unrolled: 1-line block ×7, first 2 shown]
	v_lshlrev_b32_e32 v5, 4, v65
	v_dual_mov_b32 v107, s11 :: v_dual_mov_b32 v102, s6
	v_mov_b32_e32 v100, s4
	v_mov_b32_e32 v106, s10
	s_delay_alu instid0(VALU_DEP_4)
	v_add_co_u32 v1, vcc_lo, v1, v5
	v_add_co_ci_u32_e32 v2, vcc_lo, 0, v2, vcc_lo
	v_add_co_u32 v3, vcc_lo, v3, v5
	v_add_co_ci_u32_e32 v4, vcc_lo, 0, v4, vcc_lo
	s_clause 0x7
	global_load_b128 v[49:52], v[1:2], off
	global_load_b128 v[53:56], v[1:2], off offset:512
	global_load_b128 v[76:79], v[3:4], off offset:256
	;; [unrolled: 1-line block ×7, first 2 shown]
	v_add_nc_u32_e32 v1, -12, v65
	v_cmp_gt_u32_e32 vcc_lo, 12, v65
	v_dual_mov_b32 v104, s8 :: v_dual_mov_b32 v103, s7
	v_dual_mov_b32 v101, s5 :: v_dual_lshlrev_b32 v2, 5, v65
	s_delay_alu instid0(VALU_DEP_4)
	v_cndmask_b32_e32 v1, v1, v65, vcc_lo
	v_mov_b32_e32 v105, s9
	s_cselect_b32 s4, s33, s3
	s_load_b32 s3, s[34:35], 0x0
	s_ashr_i32 s5, s4, 31
	v_lshlrev_b32_e32 v70, 6, v1
	s_lshl_b64 s[4:5], s[4:5], 2
	v_lshl_or_b32 v2, v66, 9, v2
	s_add_u32 s4, s26, s4
	s_addc_u32 s5, s25, s5
	ds_load_b128 v[108:111], v70
	ds_load_b128 v[112:115], v70 offset:1024
	s_load_b32 s4, s[4:5], 0x0
	s_add_u32 s6, s22, s27
	s_addc_u32 s7, s23, s28
	v_add_co_u32 v9, s6, s6, v2
	s_delay_alu instid0(VALU_DEP_1) | instskip(SKIP_1) | instid1(VALU_DEP_1)
	v_add_co_ci_u32_e64 v10, null, s7, 0, s6
	s_waitcnt lgkmcnt(0)
	v_mad_i64_i32 v[1:2], null, s21, s17, v[9:10]
	v_mad_i64_i32 v[3:4], null, s13, s17, v[9:10]
	;; [unrolled: 1-line block ×7, first 2 shown]
	s_clause 0x9
	global_load_b128 v[57:60], v[1:2], off
	global_load_b128 v[61:64], v[1:2], off offset:16
	global_load_b128 v[41:44], v[3:4], off
	global_load_b128 v[45:48], v[3:4], off offset:16
	;; [unrolled: 2-line block ×5, first 2 shown]
	v_mad_i64_i32 v[68:69], null, s4, s17, v[9:10]
	s_clause 0x3
	global_load_b128 v[9:12], v[13:14], off
	global_load_b128 v[13:16], v[13:14], off offset:16
	global_load_b128 v[17:20], v[21:22], off
	global_load_b128 v[21:24], v[21:22], off offset:16
	s_waitcnt vmcnt(20)
	v_wmma_f32_16x16x16_bf16 v[116:123], v[49:56], v[108:115], v[100:107]
	s_clause 0x1
	global_load_b128 v[49:52], v[68:69], off
	global_load_b128 v[53:56], v[68:69], off offset:16
	v_and_b32_e32 v68, 0xe0, v0
	v_mbcnt_lo_u32_b32 v69, -1, 0
	s_delay_alu instid0(VALU_DEP_2)
	v_add_nc_u32_e32 v68, s12, v68
	s_waitcnt vmcnt(20)
	v_wmma_f32_16x16x16_bf16 v[100:107], v[76:83], v[108:115], v[100:107]
	ds_load_b128 v[76:79], v70 offset:2048
	ds_load_b128 v[80:83], v70 offset:3072
	v_xor_b32_e32 v70, 16, v69
	s_waitcnt vmcnt(0) lgkmcnt(0)
	v_or_b32_e32 v68, v68, v74
	s_barrier
	buffer_gl0_inv
	v_cmp_gt_i32_e32 vcc_lo, 32, v70
	v_or_b32_e32 v71, 4, v68
	v_or_b32_e32 v72, 6, v68
	v_cmp_gt_i32_e64 s3, s24, v68
	v_or_b32_e32 v108, 8, v68
	v_or_b32_e32 v109, 10, v68
	v_cmp_gt_i32_e64 s4, s24, v71
	v_cmp_gt_i32_e64 s5, s24, v72
	s_delay_alu instid0(VALU_DEP_4) | instskip(NEXT) | instid1(VALU_DEP_4)
	v_cmp_gt_i32_e64 s6, s24, v108
	v_cmp_gt_i32_e64 s7, s24, v109
	v_wmma_f32_16x16x16_bf16 v[116:123], v[84:91], v[76:83], v[116:123]
	v_cndmask_b32_e32 v69, v69, v70, vcc_lo
	v_or_b32_e32 v70, 2, v68
	v_wmma_f32_16x16x16_bf16 v[100:107], v[92:99], v[76:83], v[100:107]
	v_or_b32_e32 v89, 22, v68
	v_dual_mul_f32 v80, s19, v121 :: v_dual_mul_f32 v81, s19, v120
	v_dual_mul_f32 v92, s19, v117 :: v_dual_mul_f32 v93, s19, v116
	s_delay_alu instid0(VALU_DEP_4)
	v_mul_f32_e32 v96, s19, v105
	v_cmp_gt_i32_e32 vcc_lo, s24, v70
	v_dual_mul_f32 v79, s19, v122 :: v_dual_mul_f32 v82, s19, v119
	v_dual_mul_f32 v83, s19, v118 :: v_dual_mul_f32 v94, s19, v107
	v_cndmask_b32_e64 v93, 0xff7fffff, v93, s3
	v_cndmask_b32_e32 v92, 0xff7fffff, v92, vcc_lo
	v_or_b32_e32 v84, 12, v68
	v_or_b32_e32 v85, 14, v68
	v_cndmask_b32_e64 v71, 0xff7fffff, v83, s4
	v_cndmask_b32_e64 v72, 0xff7fffff, v82, s5
	v_cmp_gt_i32_e64 s13, s24, v89
	v_lshlrev_b32_e32 v89, 2, v69
	v_max3_f32 v82, v93, 0xff7fffff, v92
	v_or_b32_e32 v86, 16, v68
	v_or_b32_e32 v87, 18, v68
	v_mul_f32_e32 v78, s19, v123
	v_cndmask_b32_e64 v81, 0xff7fffff, v81, s6
	v_cndmask_b32_e64 v80, 0xff7fffff, v80, s7
	v_max3_f32 v71, v82, v71, v72
	v_cmp_gt_i32_e64 s8, s24, v84
	v_cmp_gt_i32_e64 s9, s24, v85
	v_or_b32_e32 v88, 20, v68
	v_or_b32_e32 v90, 24, v68
	;; [unrolled: 1-line block ×5, first 2 shown]
	v_dual_mul_f32 v97, s19, v104 :: v_dual_mul_f32 v70, s19, v101
	v_dual_mul_f32 v99, s19, v102 :: v_dual_mul_f32 v68, s19, v100
	v_cndmask_b32_e64 v72, 0xff7fffff, v79, s8
	v_cndmask_b32_e64 v78, 0xff7fffff, v78, s9
	v_max3_f32 v71, v71, v81, v80
	v_cmp_gt_i32_e64 s10, s24, v86
	v_cmp_gt_i32_e64 s11, s24, v87
	v_dual_mul_f32 v95, s19, v106 :: v_dual_mul_f32 v98, s19, v103
	s_delay_alu instid0(VALU_DEP_4) | instskip(NEXT) | instid1(VALU_DEP_4)
	v_max3_f32 v71, v71, v72, v78
	v_cndmask_b32_e64 v68, 0xff7fffff, v68, s10
	s_delay_alu instid0(VALU_DEP_4)
	v_cndmask_b32_e64 v70, 0xff7fffff, v70, s11
	v_cmp_gt_i32_e64 s12, s24, v88
	v_cndmask_b32_e64 v78, 0xff7fffff, v98, s13
	v_cmp_gt_i32_e64 s15, s24, v90
	v_cmp_gt_i32_e64 s16, s24, v91
	v_max3_f32 v68, v71, v68, v70
	v_cndmask_b32_e64 v72, 0xff7fffff, v99, s12
	v_cmp_gt_i32_e64 s17, s24, v76
	v_cndmask_b32_e64 v70, 0xff7fffff, v97, s15
	v_cndmask_b32_e64 v71, 0xff7fffff, v96, s16
	v_cmp_gt_i32_e64 s18, s24, v77
	v_max3_f32 v68, v68, v72, v78
	v_cndmask_b32_e64 v72, 0xff7fffff, v95, s17
	s_delay_alu instid0(VALU_DEP_3) | instskip(NEXT) | instid1(VALU_DEP_3)
	v_cndmask_b32_e64 v76, 0xff7fffff, v94, s18
	v_max3_f32 v68, v68, v70, v71
	s_delay_alu instid0(VALU_DEP_1) | instskip(SKIP_3) | instid1(VALU_DEP_1)
	v_max3_f32 v68, v68, v72, v76
	ds_bpermute_b32 v69, v89, v68
	s_waitcnt lgkmcnt(0)
	v_max_f32_e32 v69, v69, v69
	v_max_f32_e32 v68, v68, v69
	s_delay_alu instid0(VALU_DEP_1) | instskip(NEXT) | instid1(VALU_DEP_1)
	v_fma_f32 v71, s19, v118, -v68
	v_mul_f32_e32 v71, 0x3fb8aa3b, v71
	v_fma_f32 v70, s19, v117, -v68
	v_fma_f32 v69, s19, v116, -v68
	;; [unrolled: 1-line block ×5, first 2 shown]
	s_delay_alu instid0(VALU_DEP_4) | instskip(SKIP_1) | instid1(VALU_DEP_3)
	v_dual_mul_f32 v70, 0x3fb8aa3b, v70 :: v_dual_mul_f32 v69, 0x3fb8aa3b, v69
	v_exp_f32_e32 v71, v71
	v_mul_f32_e32 v72, 0x3fb8aa3b, v72
	v_fma_f32 v81, s19, v105, -v68
	s_delay_alu instid0(VALU_DEP_3)
	v_exp_f32_e32 v70, v70
	v_mul_f32_e32 v77, 0x3fb8aa3b, v76
	v_exp_f32_e32 v69, v69
	v_exp_f32_e32 v72, v72
	v_mul_f32_e32 v81, 0x3fb8aa3b, v81
	v_cndmask_b32_e64 v83, 0, v71, s4
	v_fma_f32 v71, s19, v123, -v68
	s_delay_alu instid0(VALU_DEP_3) | instskip(SKIP_4) | instid1(TRANS32_DEP_3)
	v_exp_f32_e32 v81, v81
	v_cndmask_b32_e32 v76, 0, v70, vcc_lo
	v_exp_f32_e32 v77, v77
	v_cndmask_b32_e64 v80, 0, v69, s3
	v_fma_f32 v69, s19, v121, -v68
	v_cndmask_b32_e64 v85, 0, v72, s5
	v_mul_f32_e32 v71, 0x3fb8aa3b, v71
	v_fma_f32 v72, s19, v100, -v68
	s_delay_alu instid0(VALU_DEP_4) | instskip(SKIP_1) | instid1(VALU_DEP_3)
	v_dual_add_f32 v70, 0, v80 :: v_dual_mul_f32 v69, 0x3fb8aa3b, v69
	s_mov_b32 s3, exec_lo
	v_exp_f32_e32 v71, v71
	s_delay_alu instid0(TRANS32_DEP_2) | instskip(SKIP_4) | instid1(VALU_DEP_3)
	v_cndmask_b32_e64 v86, 0, v77, s6
	v_fma_f32 v77, s19, v101, -v68
	v_mul_f32_e32 v78, 0x3fb8aa3b, v78
	v_add_f32_e32 v70, v70, v76
	v_exp_f32_e32 v69, v69
	v_mul_f32_e32 v77, 0x3fb8aa3b, v77
	s_delay_alu instid0(VALU_DEP_3) | instskip(NEXT) | instid1(TRANS32_DEP_3)
	v_exp_f32_e32 v78, v78
	v_cndmask_b32_e64 v88, 0, v71, s9
	v_fma_f32 v71, s19, v104, -v68
	s_delay_alu instid0(VALU_DEP_3) | instskip(NEXT) | instid1(TRANS32_DEP_3)
	v_exp_f32_e32 v77, v77
	v_cndmask_b32_e64 v87, 0, v69, s7
	s_delay_alu instid0(VALU_DEP_2)
	v_mul_f32_e32 v71, 0x3fb8aa3b, v71
	s_waitcnt_depctr 0xfff
	v_cndmask_b32_e64 v84, 0, v78, s8
	v_add_f32_e32 v70, v70, v83
	v_fma_f32 v78, s19, v103, -v68
	v_exp_f32_e32 v82, v71
	s_delay_alu instid0(VALU_DEP_2) | instskip(SKIP_1) | instid1(VALU_DEP_3)
	v_add_f32_e32 v70, v70, v85
	v_mul_f32_e32 v72, 0x3fb8aa3b, v72
	v_mul_f32_e32 v78, 0x3fb8aa3b, v78
	s_delay_alu instid0(VALU_DEP_3) | instskip(SKIP_1) | instid1(VALU_DEP_4)
	v_add_f32_e32 v69, v70, v86
	v_fma_f32 v70, s19, v102, -v68
	v_exp_f32_e32 v72, v72
	s_delay_alu instid0(VALU_DEP_3) | instskip(NEXT) | instid1(VALU_DEP_1)
	v_exp_f32_e32 v78, v78
	v_dual_add_f32 v69, v69, v87 :: v_dual_mul_f32 v70, 0x3fb8aa3b, v70
	s_delay_alu instid0(VALU_DEP_1) | instskip(NEXT) | instid1(VALU_DEP_2)
	v_add_f32_e32 v69, v69, v84
	v_exp_f32_e32 v79, v70
	s_delay_alu instid0(TRANS32_DEP_3) | instskip(NEXT) | instid1(VALU_DEP_2)
	v_cndmask_b32_e64 v70, 0, v72, s10
	v_add_f32_e32 v72, v69, v88
	v_cndmask_b32_e64 v69, 0, v77, s11
	v_fma_f32 v77, s19, v106, -v68
	s_waitcnt_depctr 0xfff
	v_cndmask_b32_e64 v71, 0, v79, s12
	v_dual_mul_f32 v77, 0x3fb8aa3b, v77 :: v_dual_add_f32 v72, v72, v70
	s_delay_alu instid0(VALU_DEP_1) | instskip(NEXT) | instid1(VALU_DEP_1)
	v_exp_f32_e32 v90, v77
	v_add_f32_e32 v79, v72, v69
	v_cndmask_b32_e64 v72, 0, v78, s13
	v_cndmask_b32_e64 v77, 0, v82, s15
	s_delay_alu instid0(VALU_DEP_3) | instskip(SKIP_1) | instid1(VALU_DEP_1)
	v_add_f32_e32 v78, v79, v71
	v_fma_f32 v79, s19, v107, -v68
	v_dual_add_f32 v82, v78, v72 :: v_dual_mul_f32 v79, 0x3fb8aa3b, v79
	v_cndmask_b32_e64 v78, 0, v81, s16
	s_delay_alu instid0(VALU_DEP_2) | instskip(NEXT) | instid1(VALU_DEP_3)
	v_add_f32_e32 v81, v82, v77
	v_exp_f32_e32 v82, v79
	v_cndmask_b32_e64 v79, 0, v90, s17
	s_delay_alu instid0(VALU_DEP_2) | instskip(NEXT) | instid1(VALU_DEP_1)
	v_add_f32_e32 v81, v81, v78
	v_add_f32_e32 v90, v81, v79
	s_waitcnt_depctr 0xfff
	v_cndmask_b32_e64 v81, 0, v82, s18
	s_delay_alu instid0(VALU_DEP_1)
	v_add_f32_e32 v82, v90, v81
	ds_bpermute_b32 v89, v89, v82
	v_cmpx_gt_u32_e32 16, v67
	s_cbranch_execz .LBB1457_12
; %bb.11:
	v_mul_u32_u24_e32 v67, 0x44, v66
	s_delay_alu instid0(VALU_DEP_1) | instskip(SKIP_1) | instid1(VALU_DEP_1)
	v_lshl_add_u32 v67, v65, 2, v67
	s_waitcnt lgkmcnt(0)
	v_dual_add_f32 v82, v82, v89 :: v_dual_add_nc_u32 v67, 0x4000, v67
	ds_store_2addr_b32 v67, v68, v82 offset1:136
.LBB1457_12:
	s_or_b32 exec_lo, exec_lo, s3
	v_lshlrev_b32_e32 v67, 2, v65
	s_waitcnt lgkmcnt(0)
	s_barrier
	buffer_gl0_inv
	v_cmp_eq_u32_e32 vcc_lo, 1, v66
	v_add_nc_u32_e32 v82, 0x4000, v67
	v_cmp_eq_u32_e64 s3, 2, v66
	v_cmp_eq_u32_e64 s5, 7, v66
	ds_load_2addr_b32 v[89:90], v82 offset1:17
	ds_load_2addr_b32 v[91:92], v82 offset0:34 offset1:51
	ds_load_2addr_b32 v[93:94], v82 offset0:68 offset1:85
	;; [unrolled: 1-line block ×4, first 2 shown]
	s_waitcnt lgkmcnt(4)
	v_max3_f32 v67, v89, 0xff7fffff, v90
	s_waitcnt lgkmcnt(3)
	s_delay_alu instid0(VALU_DEP_1) | instskip(SKIP_1) | instid1(VALU_DEP_1)
	v_max3_f32 v67, v67, v91, v92
	s_waitcnt lgkmcnt(2)
	v_max3_f32 v67, v67, v93, v94
	s_waitcnt lgkmcnt(1)
	s_delay_alu instid0(VALU_DEP_1) | instskip(NEXT) | instid1(VALU_DEP_1)
	v_max3_f32 v67, v67, v95, v96
	v_sub_f32_e32 v93, v93, v67
	s_delay_alu instid0(VALU_DEP_1) | instskip(NEXT) | instid1(VALU_DEP_1)
	v_dual_sub_f32 v68, v89, v67 :: v_dual_mul_f32 v103, 0x3fb8aa3b, v93
	v_mul_f32_e32 v68, 0x3fb8aa3b, v68
	s_delay_alu instid0(VALU_DEP_1)
	v_exp_f32_e32 v100, v68
	v_sub_f32_e32 v68, v92, v67
	v_sub_f32_e32 v99, v90, v67
	ds_load_2addr_b32 v[89:90], v82 offset0:170 offset1:187
	v_dual_mul_f32 v102, 0x3fb8aa3b, v68 :: v_dual_mul_f32 v99, 0x3fb8aa3b, v99
	s_waitcnt lgkmcnt(1)
	v_fma_f32 v68, v100, v97, 0
	s_delay_alu instid0(VALU_DEP_2) | instskip(NEXT) | instid1(VALU_DEP_2)
	v_exp_f32_e32 v102, v102
	v_exp_f32_e32 v99, v99
	s_waitcnt_depctr 0xfff
	v_fmac_f32_e32 v68, v99, v98
	v_sub_f32_e32 v91, v91, v67
	s_delay_alu instid0(VALU_DEP_1)
	v_mul_f32_e32 v101, 0x3fb8aa3b, v91
	ds_load_2addr_b32 v[91:92], v82 offset0:204 offset1:221
	v_sub_f32_e32 v97, v94, v67
	ds_load_2addr_b32 v[93:94], v82 offset0:238 offset1:255
	s_waitcnt lgkmcnt(0)
	v_exp_f32_e32 v101, v101
	s_barrier
	buffer_gl0_inv
	v_dual_fmac_f32 v68, v101, v89 :: v_dual_sub_f32 v89, v96, v67
	v_dual_sub_f32 v82, v95, v67 :: v_dual_mul_f32 v95, 0x3fb8aa3b, v97
	v_exp_f32_e32 v97, v103
	s_delay_alu instid0(VALU_DEP_2) | instskip(NEXT) | instid1(VALU_DEP_2)
	v_dual_fmac_f32 v68, v102, v90 :: v_dual_mul_f32 v89, 0x3fb8aa3b, v89
	v_mul_f32_e32 v82, 0x3fb8aa3b, v82
	s_delay_alu instid0(VALU_DEP_3) | instskip(NEXT) | instid1(VALU_DEP_2)
	v_exp_f32_e32 v95, v95
	v_exp_f32_e32 v89, v89
	s_delay_alu instid0(VALU_DEP_1)
	v_exp_f32_e32 v82, v82
	v_fmac_f32_e32 v68, v97, v91
	s_delay_alu instid0(TRANS32_DEP_3) | instid1(VALU_DEP_1)
	v_fmac_f32_e32 v68, v95, v92
	s_waitcnt_depctr 0xfff
	v_fmac_f32_e32 v68, v82, v93
	s_delay_alu instid0(VALU_DEP_1) | instskip(NEXT) | instid1(VALU_DEP_1)
	v_fmac_f32_e32 v68, v89, v94
	v_add_f32_e32 v90, 0x358637bd, v68
	s_delay_alu instid0(VALU_DEP_1) | instskip(NEXT) | instid1(VALU_DEP_1)
	v_div_scale_f32 v91, null, v90, v90, 1.0
	v_rcp_f32_e32 v92, v91
	s_waitcnt_depctr 0xfff
	v_fma_f32 v93, -v91, v92, 1.0
	s_delay_alu instid0(VALU_DEP_1) | instskip(SKIP_1) | instid1(VALU_DEP_2)
	v_dual_fmac_f32 v92, v93, v92 :: v_dual_cndmask_b32 v93, v100, v99
	v_cmp_eq_u32_e32 vcc_lo, 3, v66
	v_cndmask_b32_e64 v93, v93, v101, s3
	v_cmp_eq_u32_e64 s3, 4, v66
	s_delay_alu instid0(VALU_DEP_2) | instskip(SKIP_1) | instid1(VALU_DEP_2)
	v_cndmask_b32_e32 v93, v93, v102, vcc_lo
	v_cmp_eq_u32_e32 vcc_lo, 5, v66
	v_cndmask_b32_e64 v93, v93, v97, s3
	v_cmp_eq_u32_e64 s3, 6, v66
	s_delay_alu instid0(VALU_DEP_2) | instskip(SKIP_1) | instid1(VALU_DEP_1)
	v_cndmask_b32_e32 v93, v93, v95, vcc_lo
	v_div_scale_f32 v94, s4, 1.0, v90, 1.0
	s_mov_b32 vcc_lo, s4
	s_delay_alu instid0(VALU_DEP_2) | instskip(NEXT) | instid1(VALU_DEP_2)
	v_cndmask_b32_e64 v82, v93, v82, s3
	v_mul_f32_e32 v96, v94, v92
	s_mov_b32 s3, exec_lo
	s_delay_alu instid0(VALU_DEP_2) | instskip(NEXT) | instid1(VALU_DEP_2)
	v_cndmask_b32_e64 v82, v82, v89, s5
	v_fma_f32 v98, -v91, v96, v94
	s_delay_alu instid0(VALU_DEP_1) | instskip(NEXT) | instid1(VALU_DEP_1)
	v_fmac_f32_e32 v96, v98, v92
	v_fma_f32 v91, -v91, v96, v94
	s_delay_alu instid0(VALU_DEP_1) | instskip(NEXT) | instid1(VALU_DEP_1)
	v_div_fmas_f32 v91, v91, v92, v96
	v_div_fixup_f32 v90, v91, v90, 1.0
	s_delay_alu instid0(VALU_DEP_1) | instskip(NEXT) | instid1(VALU_DEP_1)
	v_mul_f32_e32 v82, v82, v90
	v_mul_f32_e32 v87, v82, v87
	;; [unrolled: 1-line block ×7, first 2 shown]
	v_dual_mul_f32 v86, v82, v83 :: v_dual_and_b32 v91, 0x7f800000, v90
	v_mul_f32_e32 v85, v82, v76
                                        ; implicit-def: $vgpr76
	s_delay_alu instid0(VALU_DEP_2)
	v_cmpx_ne_u32_e32 0x7f800000, v91
	s_xor_b32 s3, exec_lo, s3
; %bb.13:
	v_bfe_u32 v76, v90, 16, 1
	s_delay_alu instid0(VALU_DEP_1)
	v_add3_u32 v76, v90, v76, 0x7fff
                                        ; implicit-def: $vgpr90
; %bb.14:
	s_and_not1_saveexec_b32 s3, s3
; %bb.15:
	v_and_b32_e32 v76, 0xffff, v90
	v_or_b32_e32 v83, 0x10000, v90
	s_delay_alu instid0(VALU_DEP_2) | instskip(NEXT) | instid1(VALU_DEP_2)
	v_cmp_eq_u32_e32 vcc_lo, 0, v76
	v_cndmask_b32_e32 v76, v83, v90, vcc_lo
; %bb.16:
	s_or_b32 exec_lo, exec_lo, s3
	v_and_b32_e32 v83, 0x7f800000, v85
	s_delay_alu instid0(VALU_DEP_1) | instskip(SKIP_1) | instid1(SALU_CYCLE_1)
	v_cmp_ne_u32_e32 vcc_lo, 0x7f800000, v83
                                        ; implicit-def: $vgpr83
	s_and_saveexec_b32 s3, vcc_lo
	s_xor_b32 s3, exec_lo, s3
; %bb.17:
	v_bfe_u32 v83, v85, 16, 1
	s_delay_alu instid0(VALU_DEP_1)
	v_add3_u32 v83, v85, v83, 0x7fff
                                        ; implicit-def: $vgpr85
; %bb.18:
	s_and_not1_saveexec_b32 s3, s3
; %bb.19:
	v_and_b32_e32 v83, 0xffff, v85
	v_or_b32_e32 v90, 0x10000, v85
	s_delay_alu instid0(VALU_DEP_2) | instskip(NEXT) | instid1(VALU_DEP_2)
	v_cmp_eq_u32_e32 vcc_lo, 0, v83
	v_cndmask_b32_e32 v83, v90, v85, vcc_lo
; %bb.20:
	s_or_b32 exec_lo, exec_lo, s3
	v_and_b32_e32 v85, 0x7f800000, v86
	s_delay_alu instid0(VALU_DEP_1) | instskip(SKIP_1) | instid1(SALU_CYCLE_1)
	v_cmp_ne_u32_e32 vcc_lo, 0x7f800000, v85
                                        ; implicit-def: $vgpr85
	s_and_saveexec_b32 s3, vcc_lo
	s_xor_b32 s3, exec_lo, s3
; %bb.21:
	v_bfe_u32 v85, v86, 16, 1
	s_delay_alu instid0(VALU_DEP_1)
	v_add3_u32 v85, v86, v85, 0x7fff
                                        ; implicit-def: $vgpr86
; %bb.22:
	s_and_not1_saveexec_b32 s3, s3
; %bb.23:
	v_and_b32_e32 v85, 0xffff, v86
	v_or_b32_e32 v90, 0x10000, v86
	s_delay_alu instid0(VALU_DEP_2) | instskip(NEXT) | instid1(VALU_DEP_2)
	v_cmp_eq_u32_e32 vcc_lo, 0, v85
	v_cndmask_b32_e32 v85, v90, v86, vcc_lo
; %bb.24:
	s_or_b32 exec_lo, exec_lo, s3
	v_and_b32_e32 v86, 0x7f800000, v89
	s_delay_alu instid0(VALU_DEP_1) | instskip(SKIP_1) | instid1(SALU_CYCLE_1)
	v_cmp_ne_u32_e32 vcc_lo, 0x7f800000, v86
                                        ; implicit-def: $vgpr86
	s_and_saveexec_b32 s3, vcc_lo
	s_xor_b32 s3, exec_lo, s3
; %bb.25:
	v_bfe_u32 v86, v89, 16, 1
	s_delay_alu instid0(VALU_DEP_1)
	v_add3_u32 v86, v89, v86, 0x7fff
                                        ; implicit-def: $vgpr89
; %bb.26:
	s_and_not1_saveexec_b32 s3, s3
; %bb.27:
	v_and_b32_e32 v86, 0xffff, v89
	v_or_b32_e32 v90, 0x10000, v89
	s_delay_alu instid0(VALU_DEP_2) | instskip(NEXT) | instid1(VALU_DEP_2)
	v_cmp_eq_u32_e32 vcc_lo, 0, v86
	v_cndmask_b32_e32 v86, v90, v89, vcc_lo
; %bb.28:
	s_or_b32 exec_lo, exec_lo, s3
	v_and_b32_e32 v89, 0x7f800000, v88
	s_delay_alu instid0(VALU_DEP_1) | instskip(SKIP_1) | instid1(SALU_CYCLE_1)
	v_cmp_ne_u32_e32 vcc_lo, 0x7f800000, v89
                                        ; implicit-def: $vgpr89
	s_and_saveexec_b32 s3, vcc_lo
	s_xor_b32 s3, exec_lo, s3
; %bb.29:
	v_bfe_u32 v89, v88, 16, 1
	s_delay_alu instid0(VALU_DEP_1)
	v_add3_u32 v89, v88, v89, 0x7fff
                                        ; implicit-def: $vgpr88
; %bb.30:
	s_and_not1_saveexec_b32 s3, s3
; %bb.31:
	v_and_b32_e32 v89, 0xffff, v88
	v_or_b32_e32 v90, 0x10000, v88
	s_delay_alu instid0(VALU_DEP_2) | instskip(NEXT) | instid1(VALU_DEP_2)
	v_cmp_eq_u32_e32 vcc_lo, 0, v89
	v_cndmask_b32_e32 v89, v90, v88, vcc_lo
; %bb.32:
	s_or_b32 exec_lo, exec_lo, s3
	v_and_b32_e32 v88, 0x7f800000, v87
	s_delay_alu instid0(VALU_DEP_1) | instskip(SKIP_1) | instid1(SALU_CYCLE_1)
	v_cmp_ne_u32_e32 vcc_lo, 0x7f800000, v88
                                        ; implicit-def: $vgpr88
	s_and_saveexec_b32 s3, vcc_lo
	s_xor_b32 s3, exec_lo, s3
; %bb.33:
	v_bfe_u32 v88, v87, 16, 1
	s_delay_alu instid0(VALU_DEP_1)
	v_add3_u32 v88, v87, v88, 0x7fff
                                        ; implicit-def: $vgpr87
; %bb.34:
	s_and_not1_saveexec_b32 s3, s3
; %bb.35:
	v_and_b32_e32 v88, 0xffff, v87
	v_or_b32_e32 v90, 0x10000, v87
	s_delay_alu instid0(VALU_DEP_2) | instskip(NEXT) | instid1(VALU_DEP_2)
	v_cmp_eq_u32_e32 vcc_lo, 0, v88
	v_cndmask_b32_e32 v88, v90, v87, vcc_lo
; %bb.36:
	s_or_b32 exec_lo, exec_lo, s3
	v_and_b32_e32 v87, 0x7f800000, v84
	s_delay_alu instid0(VALU_DEP_1) | instskip(SKIP_1) | instid1(SALU_CYCLE_1)
	v_cmp_ne_u32_e32 vcc_lo, 0x7f800000, v87
                                        ; implicit-def: $vgpr87
	s_and_saveexec_b32 s3, vcc_lo
	s_xor_b32 s3, exec_lo, s3
; %bb.37:
	v_bfe_u32 v87, v84, 16, 1
	s_delay_alu instid0(VALU_DEP_1)
	v_add3_u32 v87, v84, v87, 0x7fff
                                        ; implicit-def: $vgpr84
; %bb.38:
	s_and_not1_saveexec_b32 s3, s3
; %bb.39:
	v_and_b32_e32 v87, 0xffff, v84
	v_or_b32_e32 v90, 0x10000, v84
	s_delay_alu instid0(VALU_DEP_2) | instskip(NEXT) | instid1(VALU_DEP_2)
	v_cmp_eq_u32_e32 vcc_lo, 0, v87
	v_cndmask_b32_e32 v87, v90, v84, vcc_lo
; %bb.40:
	s_or_b32 exec_lo, exec_lo, s3
	v_and_b32_e32 v84, 0x7f800000, v80
	s_delay_alu instid0(VALU_DEP_1) | instskip(SKIP_1) | instid1(SALU_CYCLE_1)
	v_cmp_ne_u32_e32 vcc_lo, 0x7f800000, v84
                                        ; implicit-def: $vgpr84
	s_and_saveexec_b32 s3, vcc_lo
	s_xor_b32 s3, exec_lo, s3
; %bb.41:
	v_bfe_u32 v84, v80, 16, 1
	s_delay_alu instid0(VALU_DEP_1)
	v_add3_u32 v84, v80, v84, 0x7fff
                                        ; implicit-def: $vgpr80
; %bb.42:
	s_and_not1_saveexec_b32 s3, s3
; %bb.43:
	v_and_b32_e32 v84, 0xffff, v80
	v_or_b32_e32 v90, 0x10000, v80
	s_delay_alu instid0(VALU_DEP_2) | instskip(NEXT) | instid1(VALU_DEP_2)
	v_cmp_eq_u32_e32 vcc_lo, 0, v84
	v_cndmask_b32_e32 v84, v90, v80, vcc_lo
; %bb.44:
	s_or_b32 exec_lo, exec_lo, s3
	s_load_b64 s[34:35], s[0:1], 0x94
	v_lshlrev_b32_e32 v91, 4, v74
	s_delay_alu instid0(VALU_DEP_2)
	v_perm_b32 v90, v84, v87, 0x7060302
	v_dual_mul_f32 v79, v82, v79 :: v_dual_lshlrev_b32 v80, 6, v65
	v_dual_mul_f32 v77, v82, v77 :: v_dual_lshlrev_b32 v92, 11, v66
	v_mul_f32_e32 v84, v82, v70
	v_perm_b32 v89, v88, v89, 0x7060302
	v_perm_b32 v88, v86, v85, 0x7060302
	v_perm_b32 v87, v83, v76, 0x7060302
	v_mul_f32_e32 v70, v82, v81
	v_or3_b32 v76, v91, v92, v80
	v_dual_mul_f32 v78, v82, v78 :: v_dual_and_b32 v85, 0x7f800000, v84
	v_mul_f32_e32 v83, v82, v72
	v_mul_f32_e32 v81, v82, v71
	;; [unrolled: 1-line block ×3, first 2 shown]
	s_mov_b32 s3, exec_lo
	ds_store_b128 v76, v[87:90]
                                        ; implicit-def: $vgpr69
	v_cmpx_ne_u32_e32 0x7f800000, v85
	s_xor_b32 s3, exec_lo, s3
; %bb.45:
	v_bfe_u32 v69, v84, 16, 1
	s_delay_alu instid0(VALU_DEP_1)
	v_add3_u32 v69, v84, v69, 0x7fff
                                        ; implicit-def: $vgpr84
; %bb.46:
	s_and_not1_saveexec_b32 s3, s3
; %bb.47:
	v_and_b32_e32 v69, 0xffff, v84
	v_or_b32_e32 v71, 0x10000, v84
	s_delay_alu instid0(VALU_DEP_2) | instskip(NEXT) | instid1(VALU_DEP_2)
	v_cmp_eq_u32_e32 vcc_lo, 0, v69
	v_cndmask_b32_e32 v69, v71, v84, vcc_lo
; %bb.48:
	s_or_b32 exec_lo, exec_lo, s3
	v_and_b32_e32 v71, 0x7f800000, v72
	s_delay_alu instid0(VALU_DEP_1) | instskip(SKIP_1) | instid1(SALU_CYCLE_1)
	v_cmp_ne_u32_e32 vcc_lo, 0x7f800000, v71
                                        ; implicit-def: $vgpr71
	s_and_saveexec_b32 s3, vcc_lo
	s_xor_b32 s3, exec_lo, s3
; %bb.49:
	v_bfe_u32 v71, v72, 16, 1
	s_delay_alu instid0(VALU_DEP_1)
	v_add3_u32 v71, v72, v71, 0x7fff
                                        ; implicit-def: $vgpr72
; %bb.50:
	s_and_not1_saveexec_b32 s3, s3
; %bb.51:
	v_and_b32_e32 v71, 0xffff, v72
	v_or_b32_e32 v82, 0x10000, v72
	s_delay_alu instid0(VALU_DEP_2) | instskip(NEXT) | instid1(VALU_DEP_2)
	v_cmp_eq_u32_e32 vcc_lo, 0, v71
	v_cndmask_b32_e32 v71, v82, v72, vcc_lo
; %bb.52:
	s_or_b32 exec_lo, exec_lo, s3
	v_and_b32_e32 v72, 0x7f800000, v81
	s_delay_alu instid0(VALU_DEP_1) | instskip(SKIP_1) | instid1(SALU_CYCLE_1)
	v_cmp_ne_u32_e32 vcc_lo, 0x7f800000, v72
                                        ; implicit-def: $vgpr72
	s_and_saveexec_b32 s3, vcc_lo
	s_xor_b32 s3, exec_lo, s3
; %bb.53:
	v_bfe_u32 v72, v81, 16, 1
	s_delay_alu instid0(VALU_DEP_1)
	v_add3_u32 v72, v81, v72, 0x7fff
                                        ; implicit-def: $vgpr81
; %bb.54:
	s_and_not1_saveexec_b32 s3, s3
; %bb.55:
	v_and_b32_e32 v72, 0xffff, v81
	v_or_b32_e32 v82, 0x10000, v81
	s_delay_alu instid0(VALU_DEP_2) | instskip(NEXT) | instid1(VALU_DEP_2)
	v_cmp_eq_u32_e32 vcc_lo, 0, v72
	v_cndmask_b32_e32 v72, v82, v81, vcc_lo
; %bb.56:
	s_or_b32 exec_lo, exec_lo, s3
	v_and_b32_e32 v81, 0x7f800000, v83
	s_delay_alu instid0(VALU_DEP_1) | instskip(SKIP_1) | instid1(SALU_CYCLE_1)
	v_cmp_ne_u32_e32 vcc_lo, 0x7f800000, v81
                                        ; implicit-def: $vgpr81
	s_and_saveexec_b32 s3, vcc_lo
	s_xor_b32 s3, exec_lo, s3
; %bb.57:
	v_bfe_u32 v81, v83, 16, 1
	s_delay_alu instid0(VALU_DEP_1)
	v_add3_u32 v81, v83, v81, 0x7fff
                                        ; implicit-def: $vgpr83
; %bb.58:
	s_and_not1_saveexec_b32 s3, s3
; %bb.59:
	v_and_b32_e32 v81, 0xffff, v83
	v_or_b32_e32 v82, 0x10000, v83
	s_delay_alu instid0(VALU_DEP_2) | instskip(NEXT) | instid1(VALU_DEP_2)
	v_cmp_eq_u32_e32 vcc_lo, 0, v81
	v_cndmask_b32_e32 v81, v82, v83, vcc_lo
; %bb.60:
	s_or_b32 exec_lo, exec_lo, s3
	v_and_b32_e32 v82, 0x7f800000, v77
	s_delay_alu instid0(VALU_DEP_1) | instskip(SKIP_1) | instid1(SALU_CYCLE_1)
	v_cmp_ne_u32_e32 vcc_lo, 0x7f800000, v82
                                        ; implicit-def: $vgpr82
	s_and_saveexec_b32 s3, vcc_lo
	s_xor_b32 s3, exec_lo, s3
; %bb.61:
	v_bfe_u32 v82, v77, 16, 1
	s_delay_alu instid0(VALU_DEP_1)
	v_add3_u32 v82, v77, v82, 0x7fff
                                        ; implicit-def: $vgpr77
; %bb.62:
	s_and_not1_saveexec_b32 s3, s3
; %bb.63:
	v_and_b32_e32 v82, 0xffff, v77
	v_or_b32_e32 v83, 0x10000, v77
	s_delay_alu instid0(VALU_DEP_2) | instskip(NEXT) | instid1(VALU_DEP_2)
	v_cmp_eq_u32_e32 vcc_lo, 0, v82
	v_cndmask_b32_e32 v82, v83, v77, vcc_lo
; %bb.64:
	s_or_b32 exec_lo, exec_lo, s3
	v_and_b32_e32 v77, 0x7f800000, v78
	s_delay_alu instid0(VALU_DEP_1) | instskip(SKIP_1) | instid1(SALU_CYCLE_1)
	v_cmp_ne_u32_e32 vcc_lo, 0x7f800000, v77
                                        ; implicit-def: $vgpr77
	s_and_saveexec_b32 s3, vcc_lo
	s_xor_b32 s3, exec_lo, s3
; %bb.65:
	v_bfe_u32 v77, v78, 16, 1
	s_delay_alu instid0(VALU_DEP_1)
	v_add3_u32 v77, v78, v77, 0x7fff
                                        ; implicit-def: $vgpr78
; %bb.66:
	s_and_not1_saveexec_b32 s3, s3
; %bb.67:
	v_and_b32_e32 v77, 0xffff, v78
	v_or_b32_e32 v83, 0x10000, v78
	s_delay_alu instid0(VALU_DEP_2) | instskip(NEXT) | instid1(VALU_DEP_2)
	v_cmp_eq_u32_e32 vcc_lo, 0, v77
	v_cndmask_b32_e32 v77, v83, v78, vcc_lo
; %bb.68:
	s_or_b32 exec_lo, exec_lo, s3
	v_and_b32_e32 v78, 0x7f800000, v79
	s_delay_alu instid0(VALU_DEP_1) | instskip(SKIP_1) | instid1(SALU_CYCLE_1)
	v_cmp_ne_u32_e32 vcc_lo, 0x7f800000, v78
                                        ; implicit-def: $vgpr78
	s_and_saveexec_b32 s3, vcc_lo
	s_xor_b32 s3, exec_lo, s3
; %bb.69:
	v_bfe_u32 v78, v79, 16, 1
	s_delay_alu instid0(VALU_DEP_1)
	v_add3_u32 v78, v79, v78, 0x7fff
                                        ; implicit-def: $vgpr79
; %bb.70:
	s_and_not1_saveexec_b32 s3, s3
; %bb.71:
	v_and_b32_e32 v78, 0xffff, v79
	v_or_b32_e32 v83, 0x10000, v79
	s_delay_alu instid0(VALU_DEP_2) | instskip(NEXT) | instid1(VALU_DEP_2)
	v_cmp_eq_u32_e32 vcc_lo, 0, v78
	v_cndmask_b32_e32 v78, v83, v79, vcc_lo
; %bb.72:
	s_or_b32 exec_lo, exec_lo, s3
	v_and_b32_e32 v79, 0x7f800000, v70
	s_delay_alu instid0(VALU_DEP_1) | instskip(SKIP_1) | instid1(SALU_CYCLE_1)
	v_cmp_ne_u32_e32 vcc_lo, 0x7f800000, v79
                                        ; implicit-def: $vgpr79
	s_and_saveexec_b32 s3, vcc_lo
	s_xor_b32 s3, exec_lo, s3
; %bb.73:
	v_bfe_u32 v79, v70, 16, 1
	s_delay_alu instid0(VALU_DEP_1)
	v_add3_u32 v79, v70, v79, 0x7fff
                                        ; implicit-def: $vgpr70
; %bb.74:
	s_and_not1_saveexec_b32 s3, s3
; %bb.75:
	v_and_b32_e32 v79, 0xffff, v70
	v_or_b32_e32 v83, 0x10000, v70
	s_delay_alu instid0(VALU_DEP_2) | instskip(NEXT) | instid1(VALU_DEP_2)
	v_cmp_eq_u32_e32 vcc_lo, 0, v79
	v_cndmask_b32_e32 v79, v83, v70, vcc_lo
; %bb.76:
	s_or_b32 exec_lo, exec_lo, s3
	s_delay_alu instid0(VALU_DEP_1)
	v_perm_b32 v86, v79, v78, 0x7060302
	v_perm_b32 v85, v77, v82, 0x7060302
	;; [unrolled: 1-line block ×4, first 2 shown]
	v_lshl_or_b32 v82, v66, 11, v80
	ds_store_b128 v76, v[83:86] offset:1024
	s_waitcnt lgkmcnt(0)
	s_barrier
	buffer_gl0_inv
	ds_load_b128 v[69:72], v82
	ds_load_b128 v[83:86], v82 offset:16
	s_waitcnt lgkmcnt(1)
	v_lshrrev_b32_e32 v66, 16, v69
	s_waitcnt lgkmcnt(0)
	v_lshrrev_b32_e32 v91, 16, v83
	v_lshlrev_b32_e32 v78, 2, v74
	v_lshrrev_b32_e32 v95, 16, v70
	v_lshrrev_b32_e32 v98, 16, v84
	;; [unrolled: 1-line block ×4, first 2 shown]
	v_cmp_eq_u32_e32 vcc_lo, 1, v78
	v_lshrrev_b32_e32 v97, 16, v72
	v_lshrrev_b32_e32 v100, 16, v86
	v_cndmask_b32_e32 v87, v83, v91, vcc_lo
	v_or_b32_e32 v79, 1, v78
	v_cndmask_b32_e32 v81, v69, v66, vcc_lo
	v_cmp_eq_u32_e64 s4, 2, v78
	v_cmp_eq_u32_e64 s7, 3, v78
	;; [unrolled: 1-line block ×5, first 2 shown]
	v_cndmask_b32_e64 v81, v81, v70, s4
	v_cndmask_b32_e64 v87, v87, v84, s4
	v_cmp_eq_u32_e64 s8, 3, v79
	v_cndmask_b32_e64 v88, v69, v66, s3
	v_or_b32_e32 v77, 2, v78
	v_cndmask_b32_e64 v81, v81, v95, s7
	v_cndmask_b32_e64 v87, v87, v98, s7
	v_cndmask_b32_e64 v89, v83, v91, s3
	v_cndmask_b32_e64 v88, v88, v70, s6
	v_cmp_eq_u32_e64 s10, 5, v78
	v_cndmask_b32_e64 v81, v81, v71, s9
	v_cndmask_b32_e64 v87, v87, v85, s9
	v_cmp_eq_u32_e64 s11, 4, v79
	v_cndmask_b32_e64 v88, v88, v95, s8
	v_cmp_eq_u32_e64 s5, 1, v77
	v_cndmask_b32_e64 v89, v89, v84, s6
	v_cndmask_b32_e64 v81, v81, v96, s10
	v_cmp_eq_u32_e64 s12, 6, v78
	v_cndmask_b32_e64 v88, v88, v71, s11
	;; [unrolled: 3-line block ×3, first 2 shown]
	v_cndmask_b32_e64 v89, v89, v98, s8
	v_cndmask_b32_e64 v81, v81, v72, s12
	v_cmp_eq_u32_e64 s15, 7, v78
	v_cndmask_b32_e64 v88, v88, v96, s13
	v_cndmask_b32_e64 v87, v87, v86, s12
	v_cmp_eq_u32_e64 s16, 6, v79
	v_cmp_eq_u32_e64 s17, 2, v77
	v_cndmask_b32_e64 v89, v89, v85, s11
	v_cndmask_b32_e64 v101, v81, v97, s15
	v_cndmask_b32_e64 v102, v87, v100, s15
	v_cndmask_b32_e64 v88, v88, v72, s16
	v_cndmask_b32_e64 v81, v90, v70, s17
	v_cndmask_b32_e64 v87, v83, v91, s5
	v_cmp_eq_u32_e64 s18, 7, v79
	v_cmp_eq_u32_e64 s19, 3, v77
	;; [unrolled: 1-line block ×4, first 2 shown]
	v_cndmask_b32_e64 v87, v87, v84, s17
	v_cndmask_b32_e64 v103, v88, v97, s18
	;; [unrolled: 1-line block ×4, first 2 shown]
	v_or_b32_e32 v81, 3, v78
	v_cndmask_b32_e64 v93, v87, v98, s19
	v_cmp_eq_u32_e64 s24, 6, v77
	v_cndmask_b32_e64 v104, v88, v86, s16
	v_cndmask_b32_e64 v92, v89, v71, s20
	v_cmp_eq_u32_e64 s21, 1, v81
	ds_load_b128 v[87:90], v82 offset:1024
	v_cmp_eq_u32_e64 s23, 2, v81
	v_cmp_eq_u32_e64 s25, 3, v81
	v_cndmask_b32_e64 v105, v92, v96, s22
	v_cndmask_b32_e64 v66, v69, v66, s21
	;; [unrolled: 1-line block ×4, first 2 shown]
	ds_load_b128 v[91:94], v82 offset:1040
	v_cmp_eq_u32_e64 s26, 4, v81
	v_cndmask_b32_e64 v66, v66, v70, s23
	v_cmp_eq_u32_e64 s27, 7, v77
	v_cndmask_b32_e64 v70, v83, v84, s23
	v_cndmask_b32_e64 v84, v105, v72, s24
	v_cmp_eq_u32_e64 s28, 5, v81
	v_cndmask_b32_e64 v66, v66, v95, s25
	v_cmp_eq_u32_e64 s29, 6, v81
	v_cndmask_b32_e64 v70, v70, v98, s25
	v_cndmask_b32_e64 v69, v69, v99, s22
	v_cndmask_b32_e64 v83, v104, v100, s18
	v_cndmask_b32_e64 v66, v66, v71, s26
	s_waitcnt lgkmcnt(1)
	v_lshrrev_b32_e32 v95, 16, v87
	v_cndmask_b32_e64 v70, v70, v85, s26
	v_cndmask_b32_e64 v71, v84, v97, s27
	;; [unrolled: 1-line block ×4, first 2 shown]
	v_cndmask_b32_e32 v84, v87, v95, vcc_lo
	v_cndmask_b32_e64 v70, v70, v99, s28
	s_waitcnt lgkmcnt(0)
	v_lshrrev_b32_e32 v85, 16, v91
	v_lshrrev_b32_e32 v96, 16, v88
	v_cndmask_b32_e64 v98, v87, v95, s3
	v_cndmask_b32_e64 v84, v84, v88, s4
	;; [unrolled: 1-line block ×3, first 2 shown]
	v_cndmask_b32_e32 v99, v91, v85, vcc_lo
	v_cmp_eq_u32_e32 vcc_lo, 7, v81
	v_cndmask_b32_e64 v66, v66, v72, s29
	v_cndmask_b32_e64 v72, v84, v96, s7
	v_cndmask_b32_e64 v84, v98, v88, s6
	v_lshrrev_b32_e32 v98, 16, v92
	v_cndmask_b32_e32 v70, v70, v100, vcc_lo
	v_cndmask_b32_e64 v86, v99, v92, s4
	v_cndmask_b32_e64 v69, v69, v100, s27
	v_lshrrev_b32_e32 v100, 16, v93
	v_cndmask_b32_e64 v72, v72, v89, s9
	v_lshrrev_b32_e32 v99, 16, v89
	v_cndmask_b32_e64 v86, v86, v98, s7
	v_perm_b32 v71, v69, v71, 0x5040100
	v_cndmask_b32_e64 v84, v84, v96, s8
	s_delay_alu instid0(VALU_DEP_3) | instskip(NEXT) | instid1(VALU_DEP_2)
	v_cndmask_b32_e64 v86, v86, v93, s9
	v_cndmask_b32_e64 v84, v84, v89, s11
	s_delay_alu instid0(VALU_DEP_2) | instskip(NEXT) | instid1(VALU_DEP_1)
	v_cndmask_b32_e64 v86, v86, v100, s10
	v_cndmask_b32_e64 v69, v86, v94, s12
	;; [unrolled: 1-line block ×5, first 2 shown]
	s_delay_alu instid0(VALU_DEP_3) | instskip(NEXT) | instid1(VALU_DEP_3)
	v_cndmask_b32_e64 v86, v86, v88, s17
	v_cndmask_b32_e64 v87, v87, v88, s23
	s_delay_alu instid0(VALU_DEP_3) | instskip(NEXT) | instid1(VALU_DEP_3)
	v_cndmask_b32_e64 v88, v95, v92, s23
	v_cndmask_b32_e64 v86, v86, v96, s19
	;; [unrolled: 3-line block ×7, first 2 shown]
	s_delay_alu instid0(VALU_DEP_3) | instskip(SKIP_2) | instid1(VALU_DEP_2)
	v_cndmask_b32_e64 v88, v88, v94, s29
	v_cndmask_b32_e32 v66, v66, v97, vcc_lo
	v_cndmask_b32_e64 v97, v72, v99, s10
	v_perm_b32 v72, v70, v66, 0x5040100
	v_perm_b32 v70, v83, v103, 0x5040100
	v_cndmask_b32_e64 v103, v91, v85, s5
	v_cndmask_b32_e64 v85, v91, v85, s3
	v_cndmask_b32_e64 v66, v84, v99, s13
	v_cndmask_b32_e64 v84, v97, v90, s12
	v_lshrrev_b32_e32 v97, 16, v90
	v_cndmask_b32_e64 v91, v103, v92, s17
	v_cndmask_b32_e64 v85, v85, v92, s6
	;; [unrolled: 1-line block ×3, first 2 shown]
	s_mov_b32 s3, exec_lo
	v_cndmask_b32_e64 v83, v84, v97, s15
	v_cndmask_b32_e64 v91, v91, v98, s19
	;; [unrolled: 1-line block ×3, first 2 shown]
	v_lshrrev_b32_e32 v84, 16, v94
	v_cndmask_b32_e64 v66, v66, v97, s18
	v_cndmask_b32_e64 v90, v86, v97, s27
	;; [unrolled: 1-line block ×4, first 2 shown]
	v_dual_cndmask_b32 v86, v87, v97 :: v_dual_cndmask_b32 v87, v88, v84
	v_cndmask_b32_e64 v91, v69, v84, s15
	s_delay_alu instid0(VALU_DEP_4) | instskip(NEXT) | instid1(VALU_DEP_4)
	v_cndmask_b32_e64 v89, v89, v100, s22
	v_cndmask_b32_e64 v85, v85, v100, s13
	v_perm_b32 v69, v102, v101, 0x5040100
	v_perm_b32 v86, v87, v86, 0x5040100
	;; [unrolled: 1-line block ×3, first 2 shown]
	v_cndmask_b32_e64 v89, v89, v94, s24
	v_cndmask_b32_e64 v85, v85, v94, s16
	s_mul_i32 s8, s35, 12
	s_delay_alu instid0(VALU_DEP_2) | instskip(NEXT) | instid1(VALU_DEP_2)
	v_cndmask_b32_e64 v88, v89, v84, s27
	v_cndmask_b32_e64 v89, v85, v84, s18
	s_delay_alu instid0(VALU_DEP_2) | instskip(NEXT) | instid1(VALU_DEP_2)
	v_perm_b32 v85, v88, v90, 0x5040100
	v_perm_b32 v84, v89, v66, 0x5040100
	ds_store_b128 v76, v[69:72]
	ds_store_b128 v76, v[83:86] offset:1024
	v_cmpx_gt_u32_e32 12, v0
	s_cbranch_execz .LBB1457_78
; %bb.77:
	s_mul_i32 s4, s8, s30
	s_delay_alu instid0(SALU_CYCLE_1) | instskip(SKIP_1) | instid1(VALU_DEP_1)
	v_add3_u32 v69, s4, s31, v65
	s_load_b128 s[4:7], s[0:1], 0x58
	v_mad_u64_u32 v[65:66], null, v69, s34, s[14:15]
	s_delay_alu instid0(VALU_DEP_1) | instskip(NEXT) | instid1(VALU_DEP_1)
	v_ashrrev_i32_e32 v66, 31, v65
	v_lshlrev_b64 v[65:66], 2, v[65:66]
	s_waitcnt lgkmcnt(0)
	s_delay_alu instid0(VALU_DEP_1) | instskip(NEXT) | instid1(VALU_DEP_2)
	v_add_co_u32 v69, vcc_lo, s6, v65
	v_add_co_ci_u32_e32 v70, vcc_lo, s7, v66, vcc_lo
	v_add_co_u32 v65, vcc_lo, s4, v65
	v_add_co_ci_u32_e32 v66, vcc_lo, s5, v66, vcc_lo
	global_store_b32 v[69:70], v67, off
	global_store_b32 v[65:66], v68, off
.LBB1457_78:
	s_or_b32 exec_lo, exec_lo, s3
	s_waitcnt lgkmcnt(0)
	s_waitcnt_vscnt null, 0x0
	s_barrier
	buffer_gl0_inv
	ds_load_b128 v[83:86], v80
	ds_load_b128 v[87:90], v80 offset:16
	ds_load_b128 v[95:98], v80 offset:2064
	;; [unrolled: 1-line block ×3, first 2 shown]
	v_mov_b32_e32 v65, 0
	ds_load_b128 v[103:106], v80 offset:4112
	ds_load_b128 v[99:102], v80 offset:4096
	;; [unrolled: 1-line block ×4, first 2 shown]
	v_mov_b32_e32 v66, v65
	v_mov_b32_e32 v67, v65
	v_mov_b32_e32 v68, v65
	v_mov_b32_e32 v69, v65
	v_mov_b32_e32 v70, v65
	v_mov_b32_e32 v71, v65
	v_mov_b32_e32 v72, v65
	s_waitcnt lgkmcnt(6)
	s_delay_alu instid0(VALU_DEP_1)
	v_wmma_f32_16x16x16_bf16 v[65:72], v[57:64], v[83:90], v[65:72]
	ds_load_b128 v[61:64], v80 offset:8208
	ds_load_b128 v[57:60], v80 offset:8192
	s_waitcnt lgkmcnt(6)
	v_wmma_f32_16x16x16_bf16 v[65:72], v[41:48], v[91:98], v[65:72]
	ds_load_b128 v[45:48], v80 offset:10256
	ds_load_b128 v[41:44], v80 offset:10240
	s_waitcnt lgkmcnt(6)
	;; [unrolled: 4-line block ×4, first 2 shown]
	v_wmma_f32_16x16x16_bf16 v[65:72], v[1:8], v[57:64], v[65:72]
	s_waitcnt lgkmcnt(4)
	s_delay_alu instid0(VALU_DEP_1) | instskip(SKIP_1) | instid1(VALU_DEP_1)
	v_wmma_f32_16x16x16_bf16 v[65:72], v[9:16], v[41:48], v[65:72]
	s_waitcnt lgkmcnt(2)
	v_wmma_f32_16x16x16_bf16 v[65:72], v[17:24], v[33:40], v[65:72]
	s_waitcnt lgkmcnt(0)
	s_delay_alu instid0(VALU_DEP_1) | instskip(NEXT) | instid1(VALU_DEP_1)
	v_wmma_f32_16x16x16_bf16 v[65:72], v[49:56], v[25:32], v[65:72]
	v_and_b32_e32 v1, 0x7f800000, v65
	s_delay_alu instid0(VALU_DEP_1) | instskip(SKIP_1) | instid1(SALU_CYCLE_1)
	v_cmp_ne_u32_e32 vcc_lo, 0x7f800000, v1
                                        ; implicit-def: $vgpr1
	s_and_saveexec_b32 s3, vcc_lo
	s_xor_b32 s3, exec_lo, s3
; %bb.79:
	v_bfe_u32 v1, v65, 16, 1
	s_delay_alu instid0(VALU_DEP_1)
	v_add3_u32 v1, v65, v1, 0x7fff
; %bb.80:
	s_and_not1_saveexec_b32 s3, s3
; %bb.81:
	v_and_b32_e32 v1, 0xffff, v65
	v_or_b32_e32 v2, 0x10000, v65
	s_delay_alu instid0(VALU_DEP_2) | instskip(NEXT) | instid1(VALU_DEP_2)
	v_cmp_eq_u32_e32 vcc_lo, 0, v1
	v_cndmask_b32_e32 v1, v2, v65, vcc_lo
; %bb.82:
	s_or_b32 exec_lo, exec_lo, s3
	v_and_b32_e32 v2, 0x7f800000, v66
	s_delay_alu instid0(VALU_DEP_1) | instskip(SKIP_1) | instid1(SALU_CYCLE_1)
	v_cmp_ne_u32_e32 vcc_lo, 0x7f800000, v2
                                        ; implicit-def: $vgpr2
	s_and_saveexec_b32 s3, vcc_lo
	s_xor_b32 s3, exec_lo, s3
; %bb.83:
	v_bfe_u32 v2, v66, 16, 1
	s_delay_alu instid0(VALU_DEP_1)
	v_add3_u32 v2, v66, v2, 0x7fff
; %bb.84:
	s_and_not1_saveexec_b32 s3, s3
; %bb.85:
	v_and_b32_e32 v2, 0xffff, v66
	v_or_b32_e32 v3, 0x10000, v66
	s_delay_alu instid0(VALU_DEP_2) | instskip(NEXT) | instid1(VALU_DEP_2)
	v_cmp_eq_u32_e32 vcc_lo, 0, v2
	v_cndmask_b32_e32 v2, v3, v66, vcc_lo
; %bb.86:
	s_or_b32 exec_lo, exec_lo, s3
	v_and_b32_e32 v3, 0x7f800000, v67
	s_delay_alu instid0(VALU_DEP_1) | instskip(SKIP_1) | instid1(SALU_CYCLE_1)
	v_cmp_ne_u32_e32 vcc_lo, 0x7f800000, v3
                                        ; implicit-def: $vgpr3
	s_and_saveexec_b32 s3, vcc_lo
	s_xor_b32 s3, exec_lo, s3
; %bb.87:
	v_bfe_u32 v3, v67, 16, 1
	s_delay_alu instid0(VALU_DEP_1)
	v_add3_u32 v3, v67, v3, 0x7fff
; %bb.88:
	s_and_not1_saveexec_b32 s3, s3
; %bb.89:
	v_and_b32_e32 v3, 0xffff, v67
	v_or_b32_e32 v4, 0x10000, v67
	s_delay_alu instid0(VALU_DEP_2) | instskip(NEXT) | instid1(VALU_DEP_2)
	v_cmp_eq_u32_e32 vcc_lo, 0, v3
	v_cndmask_b32_e32 v3, v4, v67, vcc_lo
; %bb.90:
	s_or_b32 exec_lo, exec_lo, s3
	v_and_b32_e32 v4, 0x7f800000, v68
	s_delay_alu instid0(VALU_DEP_1) | instskip(SKIP_1) | instid1(SALU_CYCLE_1)
	v_cmp_ne_u32_e32 vcc_lo, 0x7f800000, v4
                                        ; implicit-def: $vgpr4
	s_and_saveexec_b32 s3, vcc_lo
	s_xor_b32 s3, exec_lo, s3
; %bb.91:
	v_bfe_u32 v4, v68, 16, 1
	s_delay_alu instid0(VALU_DEP_1)
	v_add3_u32 v4, v68, v4, 0x7fff
; %bb.92:
	s_and_not1_saveexec_b32 s3, s3
; %bb.93:
	v_and_b32_e32 v4, 0xffff, v68
	v_or_b32_e32 v5, 0x10000, v68
	s_delay_alu instid0(VALU_DEP_2) | instskip(NEXT) | instid1(VALU_DEP_2)
	v_cmp_eq_u32_e32 vcc_lo, 0, v4
	v_cndmask_b32_e32 v4, v5, v68, vcc_lo
; %bb.94:
	s_or_b32 exec_lo, exec_lo, s3
	v_and_b32_e32 v5, 0x7f800000, v69
	s_delay_alu instid0(VALU_DEP_1) | instskip(SKIP_1) | instid1(SALU_CYCLE_1)
	v_cmp_ne_u32_e32 vcc_lo, 0x7f800000, v5
                                        ; implicit-def: $vgpr5
	s_and_saveexec_b32 s3, vcc_lo
	s_xor_b32 s3, exec_lo, s3
; %bb.95:
	v_bfe_u32 v5, v69, 16, 1
	s_delay_alu instid0(VALU_DEP_1)
	v_add3_u32 v5, v69, v5, 0x7fff
; %bb.96:
	s_and_not1_saveexec_b32 s3, s3
; %bb.97:
	v_and_b32_e32 v5, 0xffff, v69
	v_or_b32_e32 v6, 0x10000, v69
	s_delay_alu instid0(VALU_DEP_2) | instskip(NEXT) | instid1(VALU_DEP_2)
	v_cmp_eq_u32_e32 vcc_lo, 0, v5
	v_cndmask_b32_e32 v5, v6, v69, vcc_lo
; %bb.98:
	s_or_b32 exec_lo, exec_lo, s3
	v_and_b32_e32 v6, 0x7f800000, v70
	s_delay_alu instid0(VALU_DEP_1) | instskip(SKIP_1) | instid1(SALU_CYCLE_1)
	v_cmp_ne_u32_e32 vcc_lo, 0x7f800000, v6
                                        ; implicit-def: $vgpr6
	s_and_saveexec_b32 s3, vcc_lo
	s_xor_b32 s3, exec_lo, s3
; %bb.99:
	v_bfe_u32 v6, v70, 16, 1
	s_delay_alu instid0(VALU_DEP_1)
	v_add3_u32 v6, v70, v6, 0x7fff
; %bb.100:
	s_and_not1_saveexec_b32 s3, s3
; %bb.101:
	v_and_b32_e32 v6, 0xffff, v70
	v_or_b32_e32 v7, 0x10000, v70
	s_delay_alu instid0(VALU_DEP_2) | instskip(NEXT) | instid1(VALU_DEP_2)
	v_cmp_eq_u32_e32 vcc_lo, 0, v6
	v_cndmask_b32_e32 v6, v7, v70, vcc_lo
; %bb.102:
	s_or_b32 exec_lo, exec_lo, s3
	v_and_b32_e32 v7, 0x7f800000, v71
	s_delay_alu instid0(VALU_DEP_1) | instskip(SKIP_1) | instid1(SALU_CYCLE_1)
	v_cmp_ne_u32_e32 vcc_lo, 0x7f800000, v7
                                        ; implicit-def: $vgpr7
	s_and_saveexec_b32 s3, vcc_lo
	s_xor_b32 s3, exec_lo, s3
; %bb.103:
	v_bfe_u32 v7, v71, 16, 1
	s_delay_alu instid0(VALU_DEP_1)
	v_add3_u32 v7, v71, v7, 0x7fff
; %bb.104:
	s_and_not1_saveexec_b32 s3, s3
; %bb.105:
	v_and_b32_e32 v7, 0xffff, v71
	v_or_b32_e32 v8, 0x10000, v71
	s_delay_alu instid0(VALU_DEP_2) | instskip(NEXT) | instid1(VALU_DEP_2)
	v_cmp_eq_u32_e32 vcc_lo, 0, v7
	v_cndmask_b32_e32 v7, v8, v71, vcc_lo
; %bb.106:
	s_or_b32 exec_lo, exec_lo, s3
	v_and_b32_e32 v8, 0x7f800000, v72
	s_delay_alu instid0(VALU_DEP_1) | instskip(SKIP_1) | instid1(SALU_CYCLE_1)
	v_cmp_ne_u32_e32 vcc_lo, 0x7f800000, v8
                                        ; implicit-def: $vgpr8
	s_and_saveexec_b32 s3, vcc_lo
	s_xor_b32 s3, exec_lo, s3
; %bb.107:
	v_bfe_u32 v8, v72, 16, 1
	s_delay_alu instid0(VALU_DEP_1)
	v_add3_u32 v8, v72, v8, 0x7fff
                                        ; implicit-def: $vgpr65_vgpr66_vgpr67_vgpr68_vgpr69_vgpr70_vgpr71_vgpr72
; %bb.108:
	s_and_not1_saveexec_b32 s3, s3
; %bb.109:
	v_and_b32_e32 v8, 0xffff, v72
	v_or_b32_e32 v9, 0x10000, v72
	s_delay_alu instid0(VALU_DEP_2) | instskip(NEXT) | instid1(VALU_DEP_2)
	v_cmp_eq_u32_e32 vcc_lo, 0, v8
	v_cndmask_b32_e32 v8, v9, v72, vcc_lo
; %bb.110:
	s_or_b32 exec_lo, exec_lo, s3
	s_delay_alu instid0(VALU_DEP_1)
	v_perm_b32 v7, v8, v7, 0x7060302
	v_perm_b32 v6, v6, v5, 0x7060302
	;; [unrolled: 1-line block ×4, first 2 shown]
	s_barrier
	buffer_gl0_inv
	v_cmp_eq_u32_e32 vcc_lo, 1, v78
	ds_store_b128 v76, v[4:7]
	s_waitcnt lgkmcnt(0)
	s_barrier
	buffer_gl0_inv
	ds_load_b128 v[1:4], v82
	ds_load_b128 v[5:8], v82 offset:16
	v_cmp_eq_u32_e64 s3, 1, v79
	v_cmp_eq_u32_e64 s4, 2, v78
	;; [unrolled: 1-line block ×5, first 2 shown]
	s_waitcnt lgkmcnt(1)
	v_lshrrev_b32_e32 v9, 16, v1
	s_waitcnt lgkmcnt(0)
	v_lshrrev_b32_e32 v13, 16, v5
	v_lshrrev_b32_e32 v10, 16, v2
	;; [unrolled: 1-line block ×4, first 2 shown]
	v_cndmask_b32_e64 v19, v1, v9, s3
	v_cndmask_b32_e32 v18, v5, v13, vcc_lo
	v_cndmask_b32_e64 v20, v5, v13, s3
	v_cndmask_b32_e32 v17, v1, v9, vcc_lo
	v_cmp_eq_u32_e32 vcc_lo, 2, v79
	v_lshrrev_b32_e32 v15, 16, v7
	v_cmp_eq_u32_e64 s3, 1, v77
	v_lshrrev_b32_e32 v12, 16, v4
	v_lshrrev_b32_e32 v16, 16, v8
	v_cndmask_b32_e32 v20, v20, v6, vcc_lo
	v_cndmask_b32_e64 v17, v17, v2, s4
	v_cndmask_b32_e32 v19, v19, v2, vcc_lo
	v_cndmask_b32_e64 v18, v18, v6, s4
	v_cmp_eq_u32_e32 vcc_lo, 4, v78
	v_cmp_eq_u32_e64 s4, 3, v79
	v_cndmask_b32_e64 v17, v17, v10, s5
	v_cndmask_b32_e64 v21, v1, v9, s3
	;; [unrolled: 1-line block ×5, first 2 shown]
	v_cndmask_b32_e32 v17, v17, v3, vcc_lo
	v_cndmask_b32_e64 v20, v20, v14, s4
	v_cndmask_b32_e32 v18, v18, v7, vcc_lo
	v_cmp_eq_u32_e32 vcc_lo, 4, v79
	v_cmp_eq_u32_e64 s4, 5, v79
	v_cmp_eq_u32_e64 s3, 2, v81
	v_cndmask_b32_e64 v21, v21, v2, s7
	v_cmp_eq_u32_e64 s5, 5, v78
	v_cndmask_b32_e32 v19, v19, v3, vcc_lo
	v_cndmask_b32_e32 v20, v20, v7, vcc_lo
	v_cmp_eq_u32_e32 vcc_lo, 6, v79
	s_delay_alu instid0(VALU_DEP_4) | instskip(NEXT) | instid1(VALU_DEP_4)
	v_cndmask_b32_e64 v17, v17, v11, s5
	v_cndmask_b32_e64 v19, v19, v11, s4
	s_delay_alu instid0(VALU_DEP_4) | instskip(SKIP_1) | instid1(VALU_DEP_3)
	v_cndmask_b32_e64 v20, v20, v15, s4
	v_cmp_eq_u32_e64 s4, 1, v81
	v_cndmask_b32_e32 v19, v19, v4, vcc_lo
	v_cndmask_b32_e64 v18, v18, v15, s5
	s_delay_alu instid0(VALU_DEP_3)
	v_cndmask_b32_e64 v1, v1, v9, s4
	v_cndmask_b32_e64 v5, v5, v13, s4
	v_cmp_eq_u32_e64 s4, 3, v77
	v_cndmask_b32_e64 v13, v22, v6, s7
	v_cmp_eq_u32_e64 s7, 3, v81
	v_cndmask_b32_e64 v1, v1, v2, s3
	v_cndmask_b32_e64 v2, v5, v6, s3
	;; [unrolled: 1-line block ×3, first 2 shown]
	v_cmp_eq_u32_e64 s3, 4, v77
	v_cndmask_b32_e64 v6, v13, v14, s4
	v_cndmask_b32_e64 v1, v1, v10, s7
	v_cmp_eq_u32_e64 s4, 4, v81
	v_cndmask_b32_e64 v2, v2, v14, s7
	v_cndmask_b32_e64 v5, v9, v3, s3
	;; [unrolled: 3-line block ×3, first 2 shown]
	v_cndmask_b32_e64 v2, v2, v7, s4
	v_cmp_eq_u32_e64 s3, 5, v81
	v_cmp_eq_u32_e64 s5, 6, v78
	v_cndmask_b32_e64 v5, v5, v11, s7
	v_cmp_eq_u32_e64 s4, 6, v77
	v_cndmask_b32_e64 v3, v6, v15, s7
	v_cndmask_b32_e64 v1, v1, v11, s3
	v_cmp_eq_u32_e64 s7, 6, v81
	v_cndmask_b32_e64 v2, v2, v15, s3
	v_cndmask_b32_e64 v17, v17, v4, s5
	v_cndmask_b32_e64 v18, v18, v8, s5
	v_cmp_eq_u32_e64 s5, 7, v78
	v_cndmask_b32_e64 v5, v5, v4, s4
	;; [unrolled: 4-line block ×3, first 2 shown]
	v_cmp_eq_u32_e64 s4, 7, v77
	v_cndmask_b32_e32 v4, v20, v8, vcc_lo
	v_cndmask_b32_e64 v17, v17, v12, s5
	v_cndmask_b32_e64 v19, v19, v12, s6
	;; [unrolled: 1-line block ×8, first 2 shown]
	v_cmp_gt_u32_e32 vcc_lo, 32, v0
	v_perm_b32 v4, v2, v1, 0x5040100
	v_perm_b32 v3, v3, v5, 0x5040100
	;; [unrolled: 1-line block ×4, first 2 shown]
	s_and_b32 s2, vcc_lo, s2
	ds_store_b128 v76, v[1:4]
	s_waitcnt lgkmcnt(0)
	s_barrier
	buffer_gl0_inv
	s_and_saveexec_b32 s3, s2
	s_cbranch_execz .LBB1457_2
; %bb.111:
	s_load_b64 s[0:1], s[0:1], 0x68
	v_lshlrev_b32_e32 v0, 10, v0
	s_lshl_b32 s4, s34, 6
	v_or_b32_e32 v3, s31, v74
	s_mul_i32 s2, s4, s30
	v_lshlrev_b32_e32 v1, 4, v75
	s_mul_i32 s2, s2, s8
	v_lshlrev_b32_e32 v2, 6, v74
	v_and_b32_e32 v0, 0x3800, v0
	s_ashr_i32 s3, s2, 31
	v_mul_lo_u32 v4, v3, s4
	s_lshl_b64 s[2:3], s[2:3], 1
	s_delay_alu instid0(VALU_DEP_2) | instskip(NEXT) | instid1(VALU_DEP_2)
	v_or3_b32 v16, v0, v1, v2
	v_ashrrev_i32_e32 v5, 31, v4
	ds_load_b128 v[0:3], v16
	s_waitcnt lgkmcnt(0)
	s_add_u32 s2, s0, s2
	s_addc_u32 s3, s1, s3
	s_lshl_b32 s0, s14, 6
	v_lshlrev_b64 v[5:6], 1, v[4:5]
	s_ashr_i32 s1, s0, 31
	s_delay_alu instid0(SALU_CYCLE_1) | instskip(NEXT) | instid1(SALU_CYCLE_1)
	s_lshl_b64 s[0:1], s[0:1], 1
	s_add_u32 s0, s2, s0
	s_addc_u32 s1, s3, s1
	s_lshl_b32 s2, s34, 7
	v_add_co_u32 v30, s0, s0, v73
	v_add_nc_u32_e32 v8, s2, v4
	v_add_co_ci_u32_e64 v31, null, s1, 0, s0
	s_delay_alu instid0(VALU_DEP_3) | instskip(NEXT) | instid1(VALU_DEP_3)
	v_add_co_u32 v12, vcc_lo, v30, v5
	v_add_nc_u32_e32 v10, s2, v8
	v_ashrrev_i32_e32 v9, 31, v8
	s_delay_alu instid0(VALU_DEP_4)
	v_add_co_ci_u32_e32 v13, vcc_lo, v31, v6, vcc_lo
	ds_load_b128 v[4:7], v16 offset:128
	v_ashrrev_i32_e32 v11, 31, v10
	v_lshlrev_b64 v[8:9], 1, v[8:9]
	v_add_nc_u32_e32 v14, s2, v10
	global_store_b128 v[12:13], v[0:3], off
	v_lshlrev_b64 v[0:1], 1, v[10:11]
	v_ashrrev_i32_e32 v15, 31, v14
	v_add_co_u32 v22, vcc_lo, v30, v8
	v_add_nc_u32_e32 v20, s2, v14
	v_add_co_ci_u32_e32 v23, vcc_lo, v31, v9, vcc_lo
	v_add_co_u32 v26, vcc_lo, v30, v0
	v_lshlrev_b64 v[24:25], 1, v[14:15]
	v_add_co_ci_u32_e32 v27, vcc_lo, v31, v1, vcc_lo
	ds_load_b128 v[0:3], v16 offset:256
	ds_load_b128 v[8:11], v16 offset:384
	;; [unrolled: 1-line block ×4, first 2 shown]
	v_add_nc_u32_e32 v28, s2, v20
	v_ashrrev_i32_e32 v21, 31, v20
	v_add_co_u32 v24, vcc_lo, v30, v24
	v_add_co_ci_u32_e32 v25, vcc_lo, v31, v25, vcc_lo
	s_delay_alu instid0(VALU_DEP_4) | instskip(NEXT) | instid1(VALU_DEP_4)
	v_ashrrev_i32_e32 v29, 31, v28
	v_lshlrev_b64 v[20:21], 1, v[20:21]
	s_delay_alu instid0(VALU_DEP_2) | instskip(NEXT) | instid1(VALU_DEP_2)
	v_lshlrev_b64 v[28:29], 1, v[28:29]
	v_add_co_u32 v20, vcc_lo, v30, v20
	s_delay_alu instid0(VALU_DEP_3) | instskip(NEXT) | instid1(VALU_DEP_3)
	v_add_co_ci_u32_e32 v21, vcc_lo, v31, v21, vcc_lo
	v_add_co_u32 v28, vcc_lo, v30, v28
	s_delay_alu instid0(VALU_DEP_4)
	v_add_co_ci_u32_e32 v29, vcc_lo, v31, v29, vcc_lo
	s_waitcnt lgkmcnt(4)
	global_store_b128 v[22:23], v[4:7], off
	s_waitcnt lgkmcnt(3)
	global_store_b128 v[26:27], v[0:3], off
	;; [unrolled: 2-line block ×5, first 2 shown]
	s_nop 0
	s_sendmsg sendmsg(MSG_DEALLOC_VGPRS)
	s_endpgm
	.section	.rodata,"a",@progbits
	.p2align	6, 0x0
	.amdhsa_kernel _Z39paged_attention_ll4mi_QKV_mfma16_kernelI14__hip_bfloat16hLN4vllm18Fp8KVCacheDataTypeE1EhLi32ELi64ELi256ELb0ELi12EL8MFMAType1EEvPKT_PKT0_S9_ifPKiSB_SB_iPKfiiiPfSE_PS4_PT2_iSD_SD_
		.amdhsa_group_segment_fixed_size 17472
		.amdhsa_private_segment_fixed_size 0
		.amdhsa_kernarg_size 400
		.amdhsa_user_sgpr_count 13
		.amdhsa_user_sgpr_dispatch_ptr 0
		.amdhsa_user_sgpr_queue_ptr 0
		.amdhsa_user_sgpr_kernarg_segment_ptr 1
		.amdhsa_user_sgpr_dispatch_id 0
		.amdhsa_user_sgpr_private_segment_size 0
		.amdhsa_wavefront_size32 1
		.amdhsa_uses_dynamic_stack 0
		.amdhsa_enable_private_segment 0
		.amdhsa_system_sgpr_workgroup_id_x 1
		.amdhsa_system_sgpr_workgroup_id_y 1
		.amdhsa_system_sgpr_workgroup_id_z 1
		.amdhsa_system_sgpr_workgroup_info 0
		.amdhsa_system_vgpr_workitem_id 0
		.amdhsa_next_free_vgpr 124
		.amdhsa_next_free_sgpr 40
		.amdhsa_reserve_vcc 1
		.amdhsa_float_round_mode_32 0
		.amdhsa_float_round_mode_16_64 0
		.amdhsa_float_denorm_mode_32 3
		.amdhsa_float_denorm_mode_16_64 3
		.amdhsa_dx10_clamp 1
		.amdhsa_ieee_mode 1
		.amdhsa_fp16_overflow 0
		.amdhsa_workgroup_processor_mode 1
		.amdhsa_memory_ordered 1
		.amdhsa_forward_progress 0
		.amdhsa_shared_vgpr_count 0
		.amdhsa_exception_fp_ieee_invalid_op 0
		.amdhsa_exception_fp_denorm_src 0
		.amdhsa_exception_fp_ieee_div_zero 0
		.amdhsa_exception_fp_ieee_overflow 0
		.amdhsa_exception_fp_ieee_underflow 0
		.amdhsa_exception_fp_ieee_inexact 0
		.amdhsa_exception_int_div_zero 0
	.end_amdhsa_kernel
	.section	.text._Z39paged_attention_ll4mi_QKV_mfma16_kernelI14__hip_bfloat16hLN4vllm18Fp8KVCacheDataTypeE1EhLi32ELi64ELi256ELb0ELi12EL8MFMAType1EEvPKT_PKT0_S9_ifPKiSB_SB_iPKfiiiPfSE_PS4_PT2_iSD_SD_,"axG",@progbits,_Z39paged_attention_ll4mi_QKV_mfma16_kernelI14__hip_bfloat16hLN4vllm18Fp8KVCacheDataTypeE1EhLi32ELi64ELi256ELb0ELi12EL8MFMAType1EEvPKT_PKT0_S9_ifPKiSB_SB_iPKfiiiPfSE_PS4_PT2_iSD_SD_,comdat
.Lfunc_end1457:
	.size	_Z39paged_attention_ll4mi_QKV_mfma16_kernelI14__hip_bfloat16hLN4vllm18Fp8KVCacheDataTypeE1EhLi32ELi64ELi256ELb0ELi12EL8MFMAType1EEvPKT_PKT0_S9_ifPKiSB_SB_iPKfiiiPfSE_PS4_PT2_iSD_SD_, .Lfunc_end1457-_Z39paged_attention_ll4mi_QKV_mfma16_kernelI14__hip_bfloat16hLN4vllm18Fp8KVCacheDataTypeE1EhLi32ELi64ELi256ELb0ELi12EL8MFMAType1EEvPKT_PKT0_S9_ifPKiSB_SB_iPKfiiiPfSE_PS4_PT2_iSD_SD_
                                        ; -- End function
	.section	.AMDGPU.csdata,"",@progbits
; Kernel info:
; codeLenInByte = 8872
; NumSgprs: 42
; NumVgprs: 124
; ScratchSize: 0
; MemoryBound: 0
; FloatMode: 240
; IeeeMode: 1
; LDSByteSize: 17472 bytes/workgroup (compile time only)
; SGPRBlocks: 5
; VGPRBlocks: 15
; NumSGPRsForWavesPerEU: 42
; NumVGPRsForWavesPerEU: 124
; Occupancy: 10
; WaveLimiterHint : 1
; COMPUTE_PGM_RSRC2:SCRATCH_EN: 0
; COMPUTE_PGM_RSRC2:USER_SGPR: 13
; COMPUTE_PGM_RSRC2:TRAP_HANDLER: 0
; COMPUTE_PGM_RSRC2:TGID_X_EN: 1
; COMPUTE_PGM_RSRC2:TGID_Y_EN: 1
; COMPUTE_PGM_RSRC2:TGID_Z_EN: 1
; COMPUTE_PGM_RSRC2:TIDIG_COMP_CNT: 0
	.section	.text._Z39paged_attention_ll4mi_QKV_mfma16_kernelI14__hip_bfloat16hLN4vllm18Fp8KVCacheDataTypeE1EhLi32ELi64ELi256ELb0ELi13EL8MFMAType1EEvPKT_PKT0_S9_ifPKiSB_SB_iPKfiiiPfSE_PS4_PT2_iSD_SD_,"axG",@progbits,_Z39paged_attention_ll4mi_QKV_mfma16_kernelI14__hip_bfloat16hLN4vllm18Fp8KVCacheDataTypeE1EhLi32ELi64ELi256ELb0ELi13EL8MFMAType1EEvPKT_PKT0_S9_ifPKiSB_SB_iPKfiiiPfSE_PS4_PT2_iSD_SD_,comdat
	.protected	_Z39paged_attention_ll4mi_QKV_mfma16_kernelI14__hip_bfloat16hLN4vllm18Fp8KVCacheDataTypeE1EhLi32ELi64ELi256ELb0ELi13EL8MFMAType1EEvPKT_PKT0_S9_ifPKiSB_SB_iPKfiiiPfSE_PS4_PT2_iSD_SD_ ; -- Begin function _Z39paged_attention_ll4mi_QKV_mfma16_kernelI14__hip_bfloat16hLN4vllm18Fp8KVCacheDataTypeE1EhLi32ELi64ELi256ELb0ELi13EL8MFMAType1EEvPKT_PKT0_S9_ifPKiSB_SB_iPKfiiiPfSE_PS4_PT2_iSD_SD_
	.globl	_Z39paged_attention_ll4mi_QKV_mfma16_kernelI14__hip_bfloat16hLN4vllm18Fp8KVCacheDataTypeE1EhLi32ELi64ELi256ELb0ELi13EL8MFMAType1EEvPKT_PKT0_S9_ifPKiSB_SB_iPKfiiiPfSE_PS4_PT2_iSD_SD_
	.p2align	8
	.type	_Z39paged_attention_ll4mi_QKV_mfma16_kernelI14__hip_bfloat16hLN4vllm18Fp8KVCacheDataTypeE1EhLi32ELi64ELi256ELb0ELi13EL8MFMAType1EEvPKT_PKT0_S9_ifPKiSB_SB_iPKfiiiPfSE_PS4_PT2_iSD_SD_,@function
_Z39paged_attention_ll4mi_QKV_mfma16_kernelI14__hip_bfloat16hLN4vllm18Fp8KVCacheDataTypeE1EhLi32ELi64ELi256ELb0ELi13EL8MFMAType1EEvPKT_PKT0_S9_ifPKiSB_SB_iPKfiiiPfSE_PS4_PT2_iSD_SD_: ; @_Z39paged_attention_ll4mi_QKV_mfma16_kernelI14__hip_bfloat16hLN4vllm18Fp8KVCacheDataTypeE1EhLi32ELi64ELi256ELb0ELi13EL8MFMAType1EEvPKT_PKT0_S9_ifPKiSB_SB_iPKfiiiPfSE_PS4_PT2_iSD_SD_
; %bb.0:
	s_load_b64 s[2:3], s[0:1], 0x30
	s_mov_b32 s34, s13
	s_waitcnt lgkmcnt(0)
	s_cmp_lg_u64 s[2:3], 0
	s_cselect_b32 s8, -1, 0
	s_ashr_i32 s35, s13, 31
	s_cmp_eq_u64 s[2:3], 0
	s_cbranch_scc1 .LBB1458_3
; %bb.1:
	s_lshl_b64 s[4:5], s[34:35], 2
	s_delay_alu instid0(SALU_CYCLE_1) | instskip(SKIP_4) | instid1(SALU_CYCLE_1)
	s_add_u32 s4, s2, s4
	s_addc_u32 s5, s3, s5
	s_load_b64 s[4:5], s[4:5], 0x0
	s_waitcnt lgkmcnt(0)
	s_sub_i32 s4, s5, s4
	s_cmp_eq_u32 s4, 1
	s_cselect_b32 s4, -1, 0
	s_delay_alu instid0(SALU_CYCLE_1)
	s_and_not1_b32 vcc_lo, exec_lo, s4
	s_cbranch_vccz .LBB1458_4
.LBB1458_2:
	s_nop 0
	s_sendmsg sendmsg(MSG_DEALLOC_VGPRS)
	s_endpgm
.LBB1458_3:
.LBB1458_4:
	s_load_b64 s[4:5], s[0:1], 0x28
	s_lshl_b64 s[6:7], s[34:35], 2
	s_waitcnt lgkmcnt(0)
	s_add_u32 s4, s4, s6
	s_addc_u32 s5, s5, s7
	s_lshl_b32 s12, s14, 8
	s_load_b32 s24, s[4:5], 0x0
	s_waitcnt lgkmcnt(0)
	s_cmp_ge_i32 s12, s24
	s_cbranch_scc1 .LBB1458_2
; %bb.5:
	s_clause 0x1
	s_load_b128 s[20:23], s[0:1], 0x8
	s_load_b64 s[4:5], s[0:1], 0x20
	s_and_not1_b32 vcc_lo, exec_lo, s8
	s_cbranch_vccnz .LBB1458_7
; %bb.6:
	s_add_u32 s2, s2, s6
	s_addc_u32 s3, s3, s7
	s_load_b32 s3, s[2:3], 0x0
	s_branch .LBB1458_8
.LBB1458_7:
	s_mov_b32 s3, s34
.LBB1458_8:
	s_load_b128 s[16:19], s[0:1], 0x48
	v_lshrrev_b32_e32 v66, 5, v0
	v_bfe_u32 v74, v0, 4, 1
	v_and_b32_e32 v65, 15, v0
	v_and_b32_e32 v67, 31, v0
	;; [unrolled: 1-line block ×3, first 2 shown]
	s_mul_i32 s31, s15, 13
	v_lshl_or_b32 v1, v66, 1, v74
	v_lshlrev_b32_e32 v2, 3, v65
	v_cmp_gt_u32_e64 s2, 8, v65
	s_delay_alu instid0(VALU_DEP_3) | instskip(NEXT) | instid1(VALU_DEP_3)
	v_cmp_gt_u32_e32 vcc_lo, 13, v1
	v_lshlrev_b32_e32 v73, 1, v2
	s_delay_alu instid0(VALU_DEP_3) | instskip(NEXT) | instid1(SALU_CYCLE_1)
	s_and_b32 s7, s2, vcc_lo
	s_and_saveexec_b32 s6, s7
	s_cbranch_execz .LBB1458_10
; %bb.9:
	s_load_b64 s[8:9], s[0:1], 0x0
	v_add_lshl_u32 v2, v1, s31, 6
	s_waitcnt lgkmcnt(0)
	s_mul_hi_i32 s11, s3, s16
	s_mul_i32 s10, s3, s16
	v_lshlrev_b32_e32 v6, 10, v65
	s_lshl_b64 s[10:11], s[10:11], 1
	v_ashrrev_i32_e32 v3, 31, v2
	v_lshlrev_b32_e32 v1, 6, v1
	v_lshlrev_b32_e32 v7, 10, v75
	v_and_b32_e32 v6, 0x3800, v6
	s_delay_alu instid0(VALU_DEP_4) | instskip(NEXT) | instid1(VALU_DEP_2)
	v_lshlrev_b64 v[2:3], 1, v[2:3]
	v_or3_b32 v1, v6, v7, v1
	s_add_u32 s3, s8, s10
	s_addc_u32 s7, s9, s11
	s_delay_alu instid0(VALU_DEP_2) | instskip(NEXT) | instid1(VALU_DEP_3)
	v_add_co_u32 v2, vcc_lo, s3, v2
	v_add_co_ci_u32_e32 v3, vcc_lo, s7, v3, vcc_lo
	s_delay_alu instid0(VALU_DEP_2) | instskip(NEXT) | instid1(VALU_DEP_2)
	v_add_co_u32 v2, vcc_lo, v2, v73
	v_add_co_ci_u32_e32 v3, vcc_lo, 0, v3, vcc_lo
	global_load_b128 v[2:5], v[2:3], off
	s_waitcnt vmcnt(0)
	ds_store_b128 v1, v[2:5]
.LBB1458_10:
	s_or_b32 exec_lo, exec_lo, s6
	v_and_b32_e32 v1, 0xef, v0
	s_waitcnt lgkmcnt(0)
	s_add_i32 s3, s24, 31
	s_clause 0x1
	s_load_b32 s6, s[0:1], 0x38
	s_load_b32 s19, s[0:1], 0x1c
	s_ashr_i32 s7, s3, 31
	v_add_nc_u32_e32 v1, s12, v1
	s_lshr_b32 s7, s7, 27
	s_waitcnt lgkmcnt(0)
	s_add_i32 s3, s3, s7
	s_barrier
	v_ashrrev_i32_e32 v2, 31, v1
	v_or_b32_e32 v3, 16, v1
	s_ashr_i32 s3, s3, 5
	v_cmp_gt_i32_e32 vcc_lo, s24, v1
	s_add_i32 s3, s3, -1
	v_lshrrev_b32_e32 v2, 27, v2
	buffer_gl0_inv
	s_mul_i32 s27, s15, s18
	v_add_nc_u32_e32 v4, v1, v2
	s_mul_i32 s6, s34, s6
	s_delay_alu instid0(SALU_CYCLE_1) | instskip(NEXT) | instid1(VALU_DEP_1)
	s_ashr_i32 s7, s6, 31
	v_ashrrev_i32_e32 v4, 5, v4
	v_add_nc_u32_e32 v2, v3, v2
	s_lshl_b64 s[6:7], s[6:7], 2
	s_delay_alu instid0(SALU_CYCLE_1) | instskip(NEXT) | instid1(VALU_DEP_2)
	s_add_u32 s26, s4, s6
	v_cndmask_b32_e32 v1, s3, v4, vcc_lo
	s_delay_alu instid0(VALU_DEP_2)
	v_ashrrev_i32_e32 v2, 5, v2
	v_cmp_gt_i32_e32 vcc_lo, s24, v3
	s_addc_u32 s25, s5, s7
	s_ashr_i32 s28, s27, 31
	s_add_u32 s4, s20, s27
	s_addc_u32 s5, s21, s28
	v_cndmask_b32_e32 v3, s3, v2, vcc_lo
	v_ashrrev_i32_e32 v2, 31, v1
	s_lshl_b32 s6, s14, 3
	s_delay_alu instid0(SALU_CYCLE_1) | instskip(NEXT) | instid1(VALU_DEP_2)
	s_ashr_i32 s7, s6, 31
	v_ashrrev_i32_e32 v4, 31, v3
	s_delay_alu instid0(VALU_DEP_2) | instskip(SKIP_1) | instid1(SALU_CYCLE_1)
	v_lshlrev_b64 v[1:2], 2, v[1:2]
	s_lshl_b64 s[6:7], s[6:7], 2
	s_add_u32 s6, s26, s6
	s_delay_alu instid0(VALU_DEP_2) | instskip(SKIP_1) | instid1(VALU_DEP_2)
	v_lshlrev_b64 v[3:4], 2, v[3:4]
	s_addc_u32 s7, s25, s7
	v_add_co_u32 v1, vcc_lo, s26, v1
	v_add_co_ci_u32_e32 v2, vcc_lo, s25, v2, vcc_lo
	s_delay_alu instid0(VALU_DEP_3) | instskip(NEXT) | instid1(VALU_DEP_4)
	v_add_co_u32 v3, vcc_lo, s26, v3
	v_add_co_ci_u32_e32 v4, vcc_lo, s25, v4, vcc_lo
	s_clause 0x1
	global_load_b32 v5, v[1:2], off
	global_load_b32 v6, v[3:4], off
	s_or_b32 s8, s12, 32
	s_delay_alu instid0(SALU_CYCLE_1) | instskip(SKIP_2) | instid1(SALU_CYCLE_1)
	s_ashr_i32 s9, s8, 5
	s_cmp_lt_i32 s8, s24
	s_cselect_b32 s8, s9, s3
	s_ashr_i32 s9, s8, 31
	s_delay_alu instid0(SALU_CYCLE_1) | instskip(NEXT) | instid1(SALU_CYCLE_1)
	s_lshl_b64 s[8:9], s[8:9], 2
	s_add_u32 s8, s26, s8
	s_addc_u32 s9, s25, s9
	s_or_b32 s10, s12, 64
	s_delay_alu instid0(SALU_CYCLE_1) | instskip(SKIP_2) | instid1(SALU_CYCLE_1)
	s_ashr_i32 s11, s10, 5
	s_cmp_lt_i32 s10, s24
	s_cselect_b32 s10, s11, s3
	s_ashr_i32 s11, s10, 31
	s_delay_alu instid0(SALU_CYCLE_1) | instskip(NEXT) | instid1(SALU_CYCLE_1)
	s_lshl_b64 s[10:11], s[10:11], 2
	s_add_u32 s10, s26, s10
	s_addc_u32 s11, s25, s11
	;; [unrolled: 10-line block ×5, first 2 shown]
	s_clause 0x5
	s_load_b32 s21, s[6:7], 0x0
	s_load_b32 s13, s[8:9], 0x0
	;; [unrolled: 1-line block ×6, first 2 shown]
	s_or_b32 s8, s12, 0xc0
	s_delay_alu instid0(SALU_CYCLE_1) | instskip(SKIP_2) | instid1(SALU_CYCLE_1)
	s_ashr_i32 s9, s8, 5
	s_cmp_lt_i32 s8, s24
	s_cselect_b32 s36, s9, s3
	s_ashr_i32 s37, s36, 31
	s_delay_alu instid0(SALU_CYCLE_1) | instskip(NEXT) | instid1(SALU_CYCLE_1)
	s_lshl_b64 s[36:37], s[36:37], 2
	s_add_u32 s36, s26, s36
	s_addc_u32 s37, s25, s37
	s_or_b32 s29, s12, 0xe0
	s_delay_alu instid0(SALU_CYCLE_1)
	s_ashr_i32 s30, s29, 5
	s_cmp_lt_i32 s29, s24
	s_waitcnt vmcnt(1)
	v_mad_i64_i32 v[1:2], null, v5, s17, s[4:5]
	s_waitcnt vmcnt(0)
	v_mad_i64_i32 v[3:4], null, v6, s17, s[4:5]
	s_mov_b32 s4, 0
	s_delay_alu instid0(SALU_CYCLE_1)
	s_mov_b32 s5, s4
	s_mov_b32 s6, s4
	;; [unrolled: 1-line block ×7, first 2 shown]
	v_lshlrev_b32_e32 v5, 4, v65
	v_dual_mov_b32 v107, s11 :: v_dual_mov_b32 v102, s6
	v_mov_b32_e32 v100, s4
	v_mov_b32_e32 v106, s10
	s_delay_alu instid0(VALU_DEP_4)
	v_add_co_u32 v1, vcc_lo, v1, v5
	v_add_co_ci_u32_e32 v2, vcc_lo, 0, v2, vcc_lo
	v_add_co_u32 v3, vcc_lo, v3, v5
	v_add_co_ci_u32_e32 v4, vcc_lo, 0, v4, vcc_lo
	s_clause 0x7
	global_load_b128 v[49:52], v[1:2], off
	global_load_b128 v[53:56], v[1:2], off offset:512
	global_load_b128 v[76:79], v[3:4], off offset:256
	;; [unrolled: 1-line block ×7, first 2 shown]
	v_add_nc_u32_e32 v1, -13, v65
	v_cmp_gt_u32_e32 vcc_lo, 13, v65
	v_dual_mov_b32 v104, s8 :: v_dual_mov_b32 v103, s7
	v_dual_mov_b32 v101, s5 :: v_dual_lshlrev_b32 v2, 5, v65
	s_delay_alu instid0(VALU_DEP_4)
	v_cndmask_b32_e32 v1, v1, v65, vcc_lo
	v_mov_b32_e32 v105, s9
	s_cselect_b32 s4, s30, s3
	s_load_b32 s3, s[36:37], 0x0
	s_ashr_i32 s5, s4, 31
	v_lshlrev_b32_e32 v70, 6, v1
	s_lshl_b64 s[4:5], s[4:5], 2
	v_lshl_or_b32 v2, v66, 9, v2
	s_add_u32 s4, s26, s4
	s_addc_u32 s5, s25, s5
	ds_load_b128 v[108:111], v70
	ds_load_b128 v[112:115], v70 offset:1024
	s_load_b32 s4, s[4:5], 0x0
	s_add_u32 s6, s22, s27
	s_addc_u32 s7, s23, s28
	v_add_co_u32 v9, s6, s6, v2
	s_delay_alu instid0(VALU_DEP_1) | instskip(SKIP_1) | instid1(VALU_DEP_1)
	v_add_co_ci_u32_e64 v10, null, s7, 0, s6
	s_waitcnt lgkmcnt(0)
	v_mad_i64_i32 v[1:2], null, s21, s17, v[9:10]
	v_mad_i64_i32 v[3:4], null, s13, s17, v[9:10]
	;; [unrolled: 1-line block ×7, first 2 shown]
	s_clause 0x9
	global_load_b128 v[57:60], v[1:2], off
	global_load_b128 v[61:64], v[1:2], off offset:16
	global_load_b128 v[41:44], v[3:4], off
	global_load_b128 v[45:48], v[3:4], off offset:16
	;; [unrolled: 2-line block ×5, first 2 shown]
	v_mad_i64_i32 v[68:69], null, s4, s17, v[9:10]
	s_clause 0x3
	global_load_b128 v[9:12], v[13:14], off
	global_load_b128 v[13:16], v[13:14], off offset:16
	global_load_b128 v[17:20], v[21:22], off
	global_load_b128 v[21:24], v[21:22], off offset:16
	s_waitcnt vmcnt(20)
	v_wmma_f32_16x16x16_bf16 v[116:123], v[49:56], v[108:115], v[100:107]
	s_clause 0x1
	global_load_b128 v[49:52], v[68:69], off
	global_load_b128 v[53:56], v[68:69], off offset:16
	v_and_b32_e32 v68, 0xe0, v0
	v_mbcnt_lo_u32_b32 v69, -1, 0
	s_delay_alu instid0(VALU_DEP_2)
	v_add_nc_u32_e32 v68, s12, v68
	s_waitcnt vmcnt(20)
	v_wmma_f32_16x16x16_bf16 v[100:107], v[76:83], v[108:115], v[100:107]
	ds_load_b128 v[76:79], v70 offset:2048
	ds_load_b128 v[80:83], v70 offset:3072
	v_xor_b32_e32 v70, 16, v69
	s_waitcnt vmcnt(0) lgkmcnt(0)
	v_or_b32_e32 v68, v68, v74
	s_barrier
	buffer_gl0_inv
	v_cmp_gt_i32_e32 vcc_lo, 32, v70
	v_or_b32_e32 v71, 4, v68
	v_or_b32_e32 v72, 6, v68
	v_cmp_gt_i32_e64 s3, s24, v68
	v_or_b32_e32 v108, 8, v68
	v_or_b32_e32 v109, 10, v68
	v_cmp_gt_i32_e64 s4, s24, v71
	v_cmp_gt_i32_e64 s5, s24, v72
	s_delay_alu instid0(VALU_DEP_4) | instskip(NEXT) | instid1(VALU_DEP_4)
	v_cmp_gt_i32_e64 s6, s24, v108
	v_cmp_gt_i32_e64 s7, s24, v109
	v_wmma_f32_16x16x16_bf16 v[116:123], v[84:91], v[76:83], v[116:123]
	v_cndmask_b32_e32 v69, v69, v70, vcc_lo
	v_or_b32_e32 v70, 2, v68
	v_wmma_f32_16x16x16_bf16 v[100:107], v[92:99], v[76:83], v[100:107]
	v_or_b32_e32 v89, 22, v68
	v_dual_mul_f32 v80, s19, v121 :: v_dual_mul_f32 v81, s19, v120
	v_dual_mul_f32 v92, s19, v117 :: v_dual_mul_f32 v93, s19, v116
	s_delay_alu instid0(VALU_DEP_4)
	v_mul_f32_e32 v96, s19, v105
	v_cmp_gt_i32_e32 vcc_lo, s24, v70
	v_dual_mul_f32 v79, s19, v122 :: v_dual_mul_f32 v82, s19, v119
	v_dual_mul_f32 v83, s19, v118 :: v_dual_mul_f32 v94, s19, v107
	v_cndmask_b32_e64 v93, 0xff7fffff, v93, s3
	v_cndmask_b32_e32 v92, 0xff7fffff, v92, vcc_lo
	v_or_b32_e32 v84, 12, v68
	v_or_b32_e32 v85, 14, v68
	v_cndmask_b32_e64 v71, 0xff7fffff, v83, s4
	v_cndmask_b32_e64 v72, 0xff7fffff, v82, s5
	v_cmp_gt_i32_e64 s13, s24, v89
	v_lshlrev_b32_e32 v89, 2, v69
	v_max3_f32 v82, v93, 0xff7fffff, v92
	v_or_b32_e32 v86, 16, v68
	v_or_b32_e32 v87, 18, v68
	v_mul_f32_e32 v78, s19, v123
	v_cndmask_b32_e64 v81, 0xff7fffff, v81, s6
	v_cndmask_b32_e64 v80, 0xff7fffff, v80, s7
	v_max3_f32 v71, v82, v71, v72
	v_cmp_gt_i32_e64 s8, s24, v84
	v_cmp_gt_i32_e64 s9, s24, v85
	v_or_b32_e32 v88, 20, v68
	v_or_b32_e32 v90, 24, v68
	;; [unrolled: 1-line block ×5, first 2 shown]
	v_dual_mul_f32 v97, s19, v104 :: v_dual_mul_f32 v70, s19, v101
	v_dual_mul_f32 v99, s19, v102 :: v_dual_mul_f32 v68, s19, v100
	v_cndmask_b32_e64 v72, 0xff7fffff, v79, s8
	v_cndmask_b32_e64 v78, 0xff7fffff, v78, s9
	v_max3_f32 v71, v71, v81, v80
	v_cmp_gt_i32_e64 s10, s24, v86
	v_cmp_gt_i32_e64 s11, s24, v87
	v_dual_mul_f32 v95, s19, v106 :: v_dual_mul_f32 v98, s19, v103
	s_delay_alu instid0(VALU_DEP_4) | instskip(NEXT) | instid1(VALU_DEP_4)
	v_max3_f32 v71, v71, v72, v78
	v_cndmask_b32_e64 v68, 0xff7fffff, v68, s10
	s_delay_alu instid0(VALU_DEP_4)
	v_cndmask_b32_e64 v70, 0xff7fffff, v70, s11
	v_cmp_gt_i32_e64 s12, s24, v88
	v_cndmask_b32_e64 v78, 0xff7fffff, v98, s13
	v_cmp_gt_i32_e64 s15, s24, v90
	v_cmp_gt_i32_e64 s16, s24, v91
	v_max3_f32 v68, v71, v68, v70
	v_cndmask_b32_e64 v72, 0xff7fffff, v99, s12
	v_cmp_gt_i32_e64 s17, s24, v76
	v_cndmask_b32_e64 v70, 0xff7fffff, v97, s15
	v_cndmask_b32_e64 v71, 0xff7fffff, v96, s16
	v_cmp_gt_i32_e64 s18, s24, v77
	v_max3_f32 v68, v68, v72, v78
	v_cndmask_b32_e64 v72, 0xff7fffff, v95, s17
	s_delay_alu instid0(VALU_DEP_3) | instskip(NEXT) | instid1(VALU_DEP_3)
	v_cndmask_b32_e64 v76, 0xff7fffff, v94, s18
	v_max3_f32 v68, v68, v70, v71
	s_delay_alu instid0(VALU_DEP_1) | instskip(SKIP_3) | instid1(VALU_DEP_1)
	v_max3_f32 v68, v68, v72, v76
	ds_bpermute_b32 v69, v89, v68
	s_waitcnt lgkmcnt(0)
	v_max_f32_e32 v69, v69, v69
	v_max_f32_e32 v68, v68, v69
	s_delay_alu instid0(VALU_DEP_1) | instskip(NEXT) | instid1(VALU_DEP_1)
	v_fma_f32 v71, s19, v118, -v68
	v_mul_f32_e32 v71, 0x3fb8aa3b, v71
	v_fma_f32 v70, s19, v117, -v68
	v_fma_f32 v69, s19, v116, -v68
	;; [unrolled: 1-line block ×5, first 2 shown]
	s_delay_alu instid0(VALU_DEP_4) | instskip(SKIP_1) | instid1(VALU_DEP_3)
	v_dual_mul_f32 v70, 0x3fb8aa3b, v70 :: v_dual_mul_f32 v69, 0x3fb8aa3b, v69
	v_exp_f32_e32 v71, v71
	v_mul_f32_e32 v72, 0x3fb8aa3b, v72
	v_fma_f32 v81, s19, v105, -v68
	s_delay_alu instid0(VALU_DEP_3)
	v_exp_f32_e32 v70, v70
	v_mul_f32_e32 v77, 0x3fb8aa3b, v76
	v_exp_f32_e32 v69, v69
	v_exp_f32_e32 v72, v72
	v_mul_f32_e32 v81, 0x3fb8aa3b, v81
	v_cndmask_b32_e64 v83, 0, v71, s4
	v_fma_f32 v71, s19, v123, -v68
	s_delay_alu instid0(VALU_DEP_3) | instskip(SKIP_4) | instid1(TRANS32_DEP_3)
	v_exp_f32_e32 v81, v81
	v_cndmask_b32_e32 v76, 0, v70, vcc_lo
	v_exp_f32_e32 v77, v77
	v_cndmask_b32_e64 v80, 0, v69, s3
	v_fma_f32 v69, s19, v121, -v68
	v_cndmask_b32_e64 v85, 0, v72, s5
	v_mul_f32_e32 v71, 0x3fb8aa3b, v71
	v_fma_f32 v72, s19, v100, -v68
	s_delay_alu instid0(VALU_DEP_4) | instskip(SKIP_1) | instid1(VALU_DEP_4)
	v_dual_add_f32 v70, 0, v80 :: v_dual_mul_f32 v69, 0x3fb8aa3b, v69
	v_cmp_gt_u32_e64 s3, 16, v67
	v_exp_f32_e32 v71, v71
	s_delay_alu instid0(TRANS32_DEP_2) | instskip(SKIP_4) | instid1(VALU_DEP_3)
	v_cndmask_b32_e64 v86, 0, v77, s6
	v_fma_f32 v77, s19, v101, -v68
	v_mul_f32_e32 v78, 0x3fb8aa3b, v78
	v_add_f32_e32 v70, v70, v76
	v_exp_f32_e32 v69, v69
	v_mul_f32_e32 v77, 0x3fb8aa3b, v77
	s_delay_alu instid0(VALU_DEP_3) | instskip(NEXT) | instid1(TRANS32_DEP_3)
	v_exp_f32_e32 v78, v78
	v_cndmask_b32_e64 v88, 0, v71, s9
	v_fma_f32 v71, s19, v104, -v68
	s_delay_alu instid0(VALU_DEP_3) | instskip(NEXT) | instid1(TRANS32_DEP_3)
	v_exp_f32_e32 v77, v77
	v_cndmask_b32_e64 v87, 0, v69, s7
	s_delay_alu instid0(VALU_DEP_2)
	v_mul_f32_e32 v71, 0x3fb8aa3b, v71
	s_waitcnt_depctr 0xfff
	v_cndmask_b32_e64 v84, 0, v78, s8
	v_add_f32_e32 v70, v70, v83
	v_fma_f32 v78, s19, v103, -v68
	v_exp_f32_e32 v82, v71
	s_delay_alu instid0(VALU_DEP_2) | instskip(SKIP_1) | instid1(VALU_DEP_3)
	v_add_f32_e32 v70, v70, v85
	v_mul_f32_e32 v72, 0x3fb8aa3b, v72
	v_mul_f32_e32 v78, 0x3fb8aa3b, v78
	s_delay_alu instid0(VALU_DEP_3) | instskip(SKIP_1) | instid1(VALU_DEP_4)
	v_add_f32_e32 v69, v70, v86
	v_fma_f32 v70, s19, v102, -v68
	v_exp_f32_e32 v72, v72
	s_delay_alu instid0(VALU_DEP_3) | instskip(NEXT) | instid1(VALU_DEP_1)
	v_exp_f32_e32 v78, v78
	v_dual_add_f32 v69, v69, v87 :: v_dual_mul_f32 v70, 0x3fb8aa3b, v70
	s_delay_alu instid0(VALU_DEP_1) | instskip(NEXT) | instid1(VALU_DEP_2)
	v_add_f32_e32 v69, v69, v84
	v_exp_f32_e32 v79, v70
	s_delay_alu instid0(TRANS32_DEP_3) | instskip(NEXT) | instid1(VALU_DEP_2)
	v_cndmask_b32_e64 v70, 0, v72, s10
	v_add_f32_e32 v72, v69, v88
	v_cndmask_b32_e64 v69, 0, v77, s11
	v_fma_f32 v77, s19, v106, -v68
	s_waitcnt_depctr 0xfff
	v_cndmask_b32_e64 v71, 0, v79, s12
	v_dual_mul_f32 v77, 0x3fb8aa3b, v77 :: v_dual_add_f32 v72, v72, v70
	s_delay_alu instid0(VALU_DEP_1) | instskip(NEXT) | instid1(VALU_DEP_1)
	v_exp_f32_e32 v90, v77
	v_add_f32_e32 v79, v72, v69
	v_cndmask_b32_e64 v72, 0, v78, s13
	v_cndmask_b32_e64 v77, 0, v82, s15
	s_delay_alu instid0(VALU_DEP_3) | instskip(SKIP_1) | instid1(VALU_DEP_1)
	v_add_f32_e32 v78, v79, v71
	v_fma_f32 v79, s19, v107, -v68
	v_dual_add_f32 v82, v78, v72 :: v_dual_mul_f32 v79, 0x3fb8aa3b, v79
	v_cndmask_b32_e64 v78, 0, v81, s16
	s_delay_alu instid0(VALU_DEP_2) | instskip(NEXT) | instid1(VALU_DEP_3)
	v_add_f32_e32 v81, v82, v77
	v_exp_f32_e32 v82, v79
	v_cndmask_b32_e64 v79, 0, v90, s17
	s_delay_alu instid0(VALU_DEP_2) | instskip(NEXT) | instid1(VALU_DEP_1)
	v_add_f32_e32 v81, v81, v78
	v_add_f32_e32 v90, v81, v79
	s_waitcnt_depctr 0xfff
	v_cndmask_b32_e64 v81, 0, v82, s18
	s_delay_alu instid0(VALU_DEP_1)
	v_add_f32_e32 v82, v90, v81
	ds_bpermute_b32 v89, v89, v82
	s_and_saveexec_b32 s4, s3
	s_cbranch_execz .LBB1458_12
; %bb.11:
	v_mul_u32_u24_e32 v67, 0x44, v66
	s_delay_alu instid0(VALU_DEP_1) | instskip(SKIP_1) | instid1(VALU_DEP_1)
	v_lshl_add_u32 v67, v65, 2, v67
	s_waitcnt lgkmcnt(0)
	v_dual_add_f32 v82, v82, v89 :: v_dual_add_nc_u32 v67, 0x4000, v67
	ds_store_2addr_b32 v67, v68, v82 offset1:136
.LBB1458_12:
	s_or_b32 exec_lo, exec_lo, s4
	v_lshlrev_b32_e32 v67, 2, v65
	s_waitcnt lgkmcnt(0)
	s_barrier
	buffer_gl0_inv
	v_cmp_eq_u32_e32 vcc_lo, 1, v66
	v_add_nc_u32_e32 v82, 0x4000, v67
	v_cmp_eq_u32_e64 s4, 2, v66
	v_cmp_eq_u32_e64 s6, 7, v66
	ds_load_2addr_b32 v[89:90], v82 offset1:17
	ds_load_2addr_b32 v[91:92], v82 offset0:34 offset1:51
	ds_load_2addr_b32 v[93:94], v82 offset0:68 offset1:85
	;; [unrolled: 1-line block ×4, first 2 shown]
	s_waitcnt lgkmcnt(4)
	v_max3_f32 v67, v89, 0xff7fffff, v90
	s_waitcnt lgkmcnt(3)
	s_delay_alu instid0(VALU_DEP_1) | instskip(SKIP_1) | instid1(VALU_DEP_1)
	v_max3_f32 v67, v67, v91, v92
	s_waitcnt lgkmcnt(2)
	v_max3_f32 v67, v67, v93, v94
	s_waitcnt lgkmcnt(1)
	s_delay_alu instid0(VALU_DEP_1) | instskip(NEXT) | instid1(VALU_DEP_1)
	v_max3_f32 v67, v67, v95, v96
	v_sub_f32_e32 v93, v93, v67
	s_delay_alu instid0(VALU_DEP_1) | instskip(NEXT) | instid1(VALU_DEP_1)
	v_dual_sub_f32 v68, v89, v67 :: v_dual_mul_f32 v103, 0x3fb8aa3b, v93
	v_mul_f32_e32 v68, 0x3fb8aa3b, v68
	s_delay_alu instid0(VALU_DEP_1)
	v_exp_f32_e32 v100, v68
	v_sub_f32_e32 v68, v92, v67
	v_sub_f32_e32 v99, v90, v67
	ds_load_2addr_b32 v[89:90], v82 offset0:170 offset1:187
	v_dual_mul_f32 v102, 0x3fb8aa3b, v68 :: v_dual_mul_f32 v99, 0x3fb8aa3b, v99
	s_waitcnt lgkmcnt(1)
	v_fma_f32 v68, v100, v97, 0
	s_delay_alu instid0(VALU_DEP_2) | instskip(NEXT) | instid1(VALU_DEP_2)
	v_exp_f32_e32 v102, v102
	v_exp_f32_e32 v99, v99
	s_waitcnt_depctr 0xfff
	v_fmac_f32_e32 v68, v99, v98
	v_sub_f32_e32 v91, v91, v67
	s_delay_alu instid0(VALU_DEP_1)
	v_mul_f32_e32 v101, 0x3fb8aa3b, v91
	ds_load_2addr_b32 v[91:92], v82 offset0:204 offset1:221
	v_sub_f32_e32 v97, v94, v67
	ds_load_2addr_b32 v[93:94], v82 offset0:238 offset1:255
	s_waitcnt lgkmcnt(0)
	v_exp_f32_e32 v101, v101
	s_barrier
	buffer_gl0_inv
	v_dual_fmac_f32 v68, v101, v89 :: v_dual_sub_f32 v89, v96, v67
	v_dual_sub_f32 v82, v95, v67 :: v_dual_mul_f32 v95, 0x3fb8aa3b, v97
	v_exp_f32_e32 v97, v103
	s_delay_alu instid0(VALU_DEP_2) | instskip(NEXT) | instid1(VALU_DEP_2)
	v_dual_fmac_f32 v68, v102, v90 :: v_dual_mul_f32 v89, 0x3fb8aa3b, v89
	v_mul_f32_e32 v82, 0x3fb8aa3b, v82
	s_delay_alu instid0(VALU_DEP_3) | instskip(NEXT) | instid1(VALU_DEP_2)
	v_exp_f32_e32 v95, v95
	v_exp_f32_e32 v89, v89
	s_delay_alu instid0(VALU_DEP_1)
	v_exp_f32_e32 v82, v82
	v_fmac_f32_e32 v68, v97, v91
	s_delay_alu instid0(TRANS32_DEP_3) | instid1(VALU_DEP_1)
	v_fmac_f32_e32 v68, v95, v92
	s_waitcnt_depctr 0xfff
	v_fmac_f32_e32 v68, v82, v93
	s_delay_alu instid0(VALU_DEP_1) | instskip(NEXT) | instid1(VALU_DEP_1)
	v_fmac_f32_e32 v68, v89, v94
	v_add_f32_e32 v90, 0x358637bd, v68
	s_delay_alu instid0(VALU_DEP_1) | instskip(NEXT) | instid1(VALU_DEP_1)
	v_div_scale_f32 v91, null, v90, v90, 1.0
	v_rcp_f32_e32 v92, v91
	s_waitcnt_depctr 0xfff
	v_fma_f32 v93, -v91, v92, 1.0
	s_delay_alu instid0(VALU_DEP_1) | instskip(SKIP_1) | instid1(VALU_DEP_2)
	v_dual_fmac_f32 v92, v93, v92 :: v_dual_cndmask_b32 v93, v100, v99
	v_cmp_eq_u32_e32 vcc_lo, 3, v66
	v_cndmask_b32_e64 v93, v93, v101, s4
	v_cmp_eq_u32_e64 s4, 4, v66
	s_delay_alu instid0(VALU_DEP_2) | instskip(SKIP_1) | instid1(VALU_DEP_2)
	v_cndmask_b32_e32 v93, v93, v102, vcc_lo
	v_cmp_eq_u32_e32 vcc_lo, 5, v66
	v_cndmask_b32_e64 v93, v93, v97, s4
	v_cmp_eq_u32_e64 s4, 6, v66
	s_delay_alu instid0(VALU_DEP_2) | instskip(SKIP_1) | instid1(VALU_DEP_1)
	v_cndmask_b32_e32 v93, v93, v95, vcc_lo
	v_div_scale_f32 v94, s5, 1.0, v90, 1.0
	s_mov_b32 vcc_lo, s5
	s_delay_alu instid0(VALU_DEP_2) | instskip(NEXT) | instid1(VALU_DEP_2)
	v_cndmask_b32_e64 v82, v93, v82, s4
	v_mul_f32_e32 v96, v94, v92
	s_mov_b32 s4, exec_lo
	s_delay_alu instid0(VALU_DEP_2) | instskip(NEXT) | instid1(VALU_DEP_2)
	v_cndmask_b32_e64 v82, v82, v89, s6
	v_fma_f32 v98, -v91, v96, v94
	s_delay_alu instid0(VALU_DEP_1) | instskip(NEXT) | instid1(VALU_DEP_1)
	v_fmac_f32_e32 v96, v98, v92
	v_fma_f32 v91, -v91, v96, v94
	s_delay_alu instid0(VALU_DEP_1) | instskip(NEXT) | instid1(VALU_DEP_1)
	v_div_fmas_f32 v91, v91, v92, v96
	v_div_fixup_f32 v90, v91, v90, 1.0
	s_delay_alu instid0(VALU_DEP_1) | instskip(NEXT) | instid1(VALU_DEP_1)
	v_mul_f32_e32 v82, v82, v90
	v_mul_f32_e32 v87, v82, v87
	;; [unrolled: 1-line block ×7, first 2 shown]
	v_dual_mul_f32 v86, v82, v83 :: v_dual_and_b32 v91, 0x7f800000, v90
	v_mul_f32_e32 v85, v82, v76
                                        ; implicit-def: $vgpr76
	s_delay_alu instid0(VALU_DEP_2)
	v_cmpx_ne_u32_e32 0x7f800000, v91
	s_xor_b32 s4, exec_lo, s4
; %bb.13:
	v_bfe_u32 v76, v90, 16, 1
	s_delay_alu instid0(VALU_DEP_1)
	v_add3_u32 v76, v90, v76, 0x7fff
                                        ; implicit-def: $vgpr90
; %bb.14:
	s_and_not1_saveexec_b32 s4, s4
; %bb.15:
	v_and_b32_e32 v76, 0xffff, v90
	v_or_b32_e32 v83, 0x10000, v90
	s_delay_alu instid0(VALU_DEP_2) | instskip(NEXT) | instid1(VALU_DEP_2)
	v_cmp_eq_u32_e32 vcc_lo, 0, v76
	v_cndmask_b32_e32 v76, v83, v90, vcc_lo
; %bb.16:
	s_or_b32 exec_lo, exec_lo, s4
	v_and_b32_e32 v83, 0x7f800000, v85
	s_delay_alu instid0(VALU_DEP_1) | instskip(SKIP_1) | instid1(SALU_CYCLE_1)
	v_cmp_ne_u32_e32 vcc_lo, 0x7f800000, v83
                                        ; implicit-def: $vgpr83
	s_and_saveexec_b32 s4, vcc_lo
	s_xor_b32 s4, exec_lo, s4
; %bb.17:
	v_bfe_u32 v83, v85, 16, 1
	s_delay_alu instid0(VALU_DEP_1)
	v_add3_u32 v83, v85, v83, 0x7fff
                                        ; implicit-def: $vgpr85
; %bb.18:
	s_and_not1_saveexec_b32 s4, s4
; %bb.19:
	v_and_b32_e32 v83, 0xffff, v85
	v_or_b32_e32 v90, 0x10000, v85
	s_delay_alu instid0(VALU_DEP_2) | instskip(NEXT) | instid1(VALU_DEP_2)
	v_cmp_eq_u32_e32 vcc_lo, 0, v83
	v_cndmask_b32_e32 v83, v90, v85, vcc_lo
; %bb.20:
	s_or_b32 exec_lo, exec_lo, s4
	v_and_b32_e32 v85, 0x7f800000, v86
	s_delay_alu instid0(VALU_DEP_1) | instskip(SKIP_1) | instid1(SALU_CYCLE_1)
	v_cmp_ne_u32_e32 vcc_lo, 0x7f800000, v85
                                        ; implicit-def: $vgpr85
	s_and_saveexec_b32 s4, vcc_lo
	s_xor_b32 s4, exec_lo, s4
; %bb.21:
	v_bfe_u32 v85, v86, 16, 1
	s_delay_alu instid0(VALU_DEP_1)
	v_add3_u32 v85, v86, v85, 0x7fff
                                        ; implicit-def: $vgpr86
; %bb.22:
	s_and_not1_saveexec_b32 s4, s4
; %bb.23:
	v_and_b32_e32 v85, 0xffff, v86
	v_or_b32_e32 v90, 0x10000, v86
	s_delay_alu instid0(VALU_DEP_2) | instskip(NEXT) | instid1(VALU_DEP_2)
	v_cmp_eq_u32_e32 vcc_lo, 0, v85
	v_cndmask_b32_e32 v85, v90, v86, vcc_lo
; %bb.24:
	s_or_b32 exec_lo, exec_lo, s4
	v_and_b32_e32 v86, 0x7f800000, v89
	s_delay_alu instid0(VALU_DEP_1) | instskip(SKIP_1) | instid1(SALU_CYCLE_1)
	v_cmp_ne_u32_e32 vcc_lo, 0x7f800000, v86
                                        ; implicit-def: $vgpr86
	s_and_saveexec_b32 s4, vcc_lo
	s_xor_b32 s4, exec_lo, s4
; %bb.25:
	v_bfe_u32 v86, v89, 16, 1
	s_delay_alu instid0(VALU_DEP_1)
	v_add3_u32 v86, v89, v86, 0x7fff
                                        ; implicit-def: $vgpr89
; %bb.26:
	s_and_not1_saveexec_b32 s4, s4
; %bb.27:
	v_and_b32_e32 v86, 0xffff, v89
	v_or_b32_e32 v90, 0x10000, v89
	s_delay_alu instid0(VALU_DEP_2) | instskip(NEXT) | instid1(VALU_DEP_2)
	v_cmp_eq_u32_e32 vcc_lo, 0, v86
	v_cndmask_b32_e32 v86, v90, v89, vcc_lo
; %bb.28:
	s_or_b32 exec_lo, exec_lo, s4
	v_and_b32_e32 v89, 0x7f800000, v88
	s_delay_alu instid0(VALU_DEP_1) | instskip(SKIP_1) | instid1(SALU_CYCLE_1)
	v_cmp_ne_u32_e32 vcc_lo, 0x7f800000, v89
                                        ; implicit-def: $vgpr89
	s_and_saveexec_b32 s4, vcc_lo
	s_xor_b32 s4, exec_lo, s4
; %bb.29:
	v_bfe_u32 v89, v88, 16, 1
	s_delay_alu instid0(VALU_DEP_1)
	v_add3_u32 v89, v88, v89, 0x7fff
                                        ; implicit-def: $vgpr88
; %bb.30:
	s_and_not1_saveexec_b32 s4, s4
; %bb.31:
	v_and_b32_e32 v89, 0xffff, v88
	v_or_b32_e32 v90, 0x10000, v88
	s_delay_alu instid0(VALU_DEP_2) | instskip(NEXT) | instid1(VALU_DEP_2)
	v_cmp_eq_u32_e32 vcc_lo, 0, v89
	v_cndmask_b32_e32 v89, v90, v88, vcc_lo
; %bb.32:
	s_or_b32 exec_lo, exec_lo, s4
	v_and_b32_e32 v88, 0x7f800000, v87
	s_delay_alu instid0(VALU_DEP_1) | instskip(SKIP_1) | instid1(SALU_CYCLE_1)
	v_cmp_ne_u32_e32 vcc_lo, 0x7f800000, v88
                                        ; implicit-def: $vgpr88
	s_and_saveexec_b32 s4, vcc_lo
	s_xor_b32 s4, exec_lo, s4
; %bb.33:
	v_bfe_u32 v88, v87, 16, 1
	s_delay_alu instid0(VALU_DEP_1)
	v_add3_u32 v88, v87, v88, 0x7fff
                                        ; implicit-def: $vgpr87
; %bb.34:
	s_and_not1_saveexec_b32 s4, s4
; %bb.35:
	v_and_b32_e32 v88, 0xffff, v87
	v_or_b32_e32 v90, 0x10000, v87
	s_delay_alu instid0(VALU_DEP_2) | instskip(NEXT) | instid1(VALU_DEP_2)
	v_cmp_eq_u32_e32 vcc_lo, 0, v88
	v_cndmask_b32_e32 v88, v90, v87, vcc_lo
; %bb.36:
	s_or_b32 exec_lo, exec_lo, s4
	v_and_b32_e32 v87, 0x7f800000, v84
	s_delay_alu instid0(VALU_DEP_1) | instskip(SKIP_1) | instid1(SALU_CYCLE_1)
	v_cmp_ne_u32_e32 vcc_lo, 0x7f800000, v87
                                        ; implicit-def: $vgpr87
	s_and_saveexec_b32 s4, vcc_lo
	s_xor_b32 s4, exec_lo, s4
; %bb.37:
	v_bfe_u32 v87, v84, 16, 1
	s_delay_alu instid0(VALU_DEP_1)
	v_add3_u32 v87, v84, v87, 0x7fff
                                        ; implicit-def: $vgpr84
; %bb.38:
	s_and_not1_saveexec_b32 s4, s4
; %bb.39:
	v_and_b32_e32 v87, 0xffff, v84
	v_or_b32_e32 v90, 0x10000, v84
	s_delay_alu instid0(VALU_DEP_2) | instskip(NEXT) | instid1(VALU_DEP_2)
	v_cmp_eq_u32_e32 vcc_lo, 0, v87
	v_cndmask_b32_e32 v87, v90, v84, vcc_lo
; %bb.40:
	s_or_b32 exec_lo, exec_lo, s4
	v_and_b32_e32 v84, 0x7f800000, v80
	s_delay_alu instid0(VALU_DEP_1) | instskip(SKIP_1) | instid1(SALU_CYCLE_1)
	v_cmp_ne_u32_e32 vcc_lo, 0x7f800000, v84
                                        ; implicit-def: $vgpr84
	s_and_saveexec_b32 s4, vcc_lo
	s_xor_b32 s4, exec_lo, s4
; %bb.41:
	v_bfe_u32 v84, v80, 16, 1
	s_delay_alu instid0(VALU_DEP_1)
	v_add3_u32 v84, v80, v84, 0x7fff
                                        ; implicit-def: $vgpr80
; %bb.42:
	s_and_not1_saveexec_b32 s4, s4
; %bb.43:
	v_and_b32_e32 v84, 0xffff, v80
	v_or_b32_e32 v90, 0x10000, v80
	s_delay_alu instid0(VALU_DEP_2) | instskip(NEXT) | instid1(VALU_DEP_2)
	v_cmp_eq_u32_e32 vcc_lo, 0, v84
	v_cndmask_b32_e32 v84, v90, v80, vcc_lo
; %bb.44:
	s_or_b32 exec_lo, exec_lo, s4
	s_load_b64 s[36:37], s[0:1], 0x94
	v_lshlrev_b32_e32 v91, 4, v74
	s_delay_alu instid0(VALU_DEP_2)
	v_perm_b32 v90, v84, v87, 0x7060302
	v_dual_mul_f32 v79, v82, v79 :: v_dual_lshlrev_b32 v80, 6, v65
	v_dual_mul_f32 v77, v82, v77 :: v_dual_lshlrev_b32 v92, 11, v66
	v_mul_f32_e32 v84, v82, v70
	v_perm_b32 v89, v88, v89, 0x7060302
	v_perm_b32 v88, v86, v85, 0x7060302
	;; [unrolled: 1-line block ×3, first 2 shown]
	v_mul_f32_e32 v70, v82, v81
	v_or3_b32 v76, v91, v92, v80
	v_dual_mul_f32 v78, v82, v78 :: v_dual_and_b32 v85, 0x7f800000, v84
	v_mul_f32_e32 v83, v82, v72
	v_mul_f32_e32 v81, v82, v71
	;; [unrolled: 1-line block ×3, first 2 shown]
	s_mov_b32 s4, exec_lo
	ds_store_b128 v76, v[87:90]
                                        ; implicit-def: $vgpr69
	v_cmpx_ne_u32_e32 0x7f800000, v85
	s_xor_b32 s4, exec_lo, s4
; %bb.45:
	v_bfe_u32 v69, v84, 16, 1
	s_delay_alu instid0(VALU_DEP_1)
	v_add3_u32 v69, v84, v69, 0x7fff
                                        ; implicit-def: $vgpr84
; %bb.46:
	s_and_not1_saveexec_b32 s4, s4
; %bb.47:
	v_and_b32_e32 v69, 0xffff, v84
	v_or_b32_e32 v71, 0x10000, v84
	s_delay_alu instid0(VALU_DEP_2) | instskip(NEXT) | instid1(VALU_DEP_2)
	v_cmp_eq_u32_e32 vcc_lo, 0, v69
	v_cndmask_b32_e32 v69, v71, v84, vcc_lo
; %bb.48:
	s_or_b32 exec_lo, exec_lo, s4
	v_and_b32_e32 v71, 0x7f800000, v72
	s_delay_alu instid0(VALU_DEP_1) | instskip(SKIP_1) | instid1(SALU_CYCLE_1)
	v_cmp_ne_u32_e32 vcc_lo, 0x7f800000, v71
                                        ; implicit-def: $vgpr71
	s_and_saveexec_b32 s4, vcc_lo
	s_xor_b32 s4, exec_lo, s4
; %bb.49:
	v_bfe_u32 v71, v72, 16, 1
	s_delay_alu instid0(VALU_DEP_1)
	v_add3_u32 v71, v72, v71, 0x7fff
                                        ; implicit-def: $vgpr72
; %bb.50:
	s_and_not1_saveexec_b32 s4, s4
; %bb.51:
	v_and_b32_e32 v71, 0xffff, v72
	v_or_b32_e32 v82, 0x10000, v72
	s_delay_alu instid0(VALU_DEP_2) | instskip(NEXT) | instid1(VALU_DEP_2)
	v_cmp_eq_u32_e32 vcc_lo, 0, v71
	v_cndmask_b32_e32 v71, v82, v72, vcc_lo
; %bb.52:
	s_or_b32 exec_lo, exec_lo, s4
	v_and_b32_e32 v72, 0x7f800000, v81
	s_delay_alu instid0(VALU_DEP_1) | instskip(SKIP_1) | instid1(SALU_CYCLE_1)
	v_cmp_ne_u32_e32 vcc_lo, 0x7f800000, v72
                                        ; implicit-def: $vgpr72
	s_and_saveexec_b32 s4, vcc_lo
	s_xor_b32 s4, exec_lo, s4
; %bb.53:
	v_bfe_u32 v72, v81, 16, 1
	s_delay_alu instid0(VALU_DEP_1)
	v_add3_u32 v72, v81, v72, 0x7fff
                                        ; implicit-def: $vgpr81
; %bb.54:
	s_and_not1_saveexec_b32 s4, s4
; %bb.55:
	v_and_b32_e32 v72, 0xffff, v81
	v_or_b32_e32 v82, 0x10000, v81
	s_delay_alu instid0(VALU_DEP_2) | instskip(NEXT) | instid1(VALU_DEP_2)
	v_cmp_eq_u32_e32 vcc_lo, 0, v72
	v_cndmask_b32_e32 v72, v82, v81, vcc_lo
; %bb.56:
	s_or_b32 exec_lo, exec_lo, s4
	v_and_b32_e32 v81, 0x7f800000, v83
	s_delay_alu instid0(VALU_DEP_1) | instskip(SKIP_1) | instid1(SALU_CYCLE_1)
	v_cmp_ne_u32_e32 vcc_lo, 0x7f800000, v81
                                        ; implicit-def: $vgpr81
	s_and_saveexec_b32 s4, vcc_lo
	s_xor_b32 s4, exec_lo, s4
; %bb.57:
	v_bfe_u32 v81, v83, 16, 1
	s_delay_alu instid0(VALU_DEP_1)
	v_add3_u32 v81, v83, v81, 0x7fff
                                        ; implicit-def: $vgpr83
; %bb.58:
	s_and_not1_saveexec_b32 s4, s4
; %bb.59:
	v_and_b32_e32 v81, 0xffff, v83
	v_or_b32_e32 v82, 0x10000, v83
	s_delay_alu instid0(VALU_DEP_2) | instskip(NEXT) | instid1(VALU_DEP_2)
	v_cmp_eq_u32_e32 vcc_lo, 0, v81
	v_cndmask_b32_e32 v81, v82, v83, vcc_lo
; %bb.60:
	s_or_b32 exec_lo, exec_lo, s4
	v_and_b32_e32 v82, 0x7f800000, v77
	s_delay_alu instid0(VALU_DEP_1) | instskip(SKIP_1) | instid1(SALU_CYCLE_1)
	v_cmp_ne_u32_e32 vcc_lo, 0x7f800000, v82
                                        ; implicit-def: $vgpr82
	s_and_saveexec_b32 s4, vcc_lo
	s_xor_b32 s4, exec_lo, s4
; %bb.61:
	v_bfe_u32 v82, v77, 16, 1
	s_delay_alu instid0(VALU_DEP_1)
	v_add3_u32 v82, v77, v82, 0x7fff
                                        ; implicit-def: $vgpr77
; %bb.62:
	s_and_not1_saveexec_b32 s4, s4
; %bb.63:
	v_and_b32_e32 v82, 0xffff, v77
	v_or_b32_e32 v83, 0x10000, v77
	s_delay_alu instid0(VALU_DEP_2) | instskip(NEXT) | instid1(VALU_DEP_2)
	v_cmp_eq_u32_e32 vcc_lo, 0, v82
	v_cndmask_b32_e32 v82, v83, v77, vcc_lo
; %bb.64:
	s_or_b32 exec_lo, exec_lo, s4
	v_and_b32_e32 v77, 0x7f800000, v78
	s_delay_alu instid0(VALU_DEP_1) | instskip(SKIP_1) | instid1(SALU_CYCLE_1)
	v_cmp_ne_u32_e32 vcc_lo, 0x7f800000, v77
                                        ; implicit-def: $vgpr77
	s_and_saveexec_b32 s4, vcc_lo
	s_xor_b32 s4, exec_lo, s4
; %bb.65:
	v_bfe_u32 v77, v78, 16, 1
	s_delay_alu instid0(VALU_DEP_1)
	v_add3_u32 v77, v78, v77, 0x7fff
                                        ; implicit-def: $vgpr78
; %bb.66:
	s_and_not1_saveexec_b32 s4, s4
; %bb.67:
	v_and_b32_e32 v77, 0xffff, v78
	v_or_b32_e32 v83, 0x10000, v78
	s_delay_alu instid0(VALU_DEP_2) | instskip(NEXT) | instid1(VALU_DEP_2)
	v_cmp_eq_u32_e32 vcc_lo, 0, v77
	v_cndmask_b32_e32 v77, v83, v78, vcc_lo
; %bb.68:
	s_or_b32 exec_lo, exec_lo, s4
	v_and_b32_e32 v78, 0x7f800000, v79
	s_delay_alu instid0(VALU_DEP_1) | instskip(SKIP_1) | instid1(SALU_CYCLE_1)
	v_cmp_ne_u32_e32 vcc_lo, 0x7f800000, v78
                                        ; implicit-def: $vgpr78
	s_and_saveexec_b32 s4, vcc_lo
	s_xor_b32 s4, exec_lo, s4
; %bb.69:
	v_bfe_u32 v78, v79, 16, 1
	s_delay_alu instid0(VALU_DEP_1)
	v_add3_u32 v78, v79, v78, 0x7fff
                                        ; implicit-def: $vgpr79
; %bb.70:
	s_and_not1_saveexec_b32 s4, s4
; %bb.71:
	v_and_b32_e32 v78, 0xffff, v79
	v_or_b32_e32 v83, 0x10000, v79
	s_delay_alu instid0(VALU_DEP_2) | instskip(NEXT) | instid1(VALU_DEP_2)
	v_cmp_eq_u32_e32 vcc_lo, 0, v78
	v_cndmask_b32_e32 v78, v83, v79, vcc_lo
; %bb.72:
	s_or_b32 exec_lo, exec_lo, s4
	v_and_b32_e32 v79, 0x7f800000, v70
	s_delay_alu instid0(VALU_DEP_1) | instskip(SKIP_1) | instid1(SALU_CYCLE_1)
	v_cmp_ne_u32_e32 vcc_lo, 0x7f800000, v79
                                        ; implicit-def: $vgpr79
	s_and_saveexec_b32 s4, vcc_lo
	s_xor_b32 s4, exec_lo, s4
; %bb.73:
	v_bfe_u32 v79, v70, 16, 1
	s_delay_alu instid0(VALU_DEP_1)
	v_add3_u32 v79, v70, v79, 0x7fff
                                        ; implicit-def: $vgpr70
; %bb.74:
	s_and_not1_saveexec_b32 s4, s4
; %bb.75:
	v_and_b32_e32 v79, 0xffff, v70
	v_or_b32_e32 v83, 0x10000, v70
	s_delay_alu instid0(VALU_DEP_2) | instskip(NEXT) | instid1(VALU_DEP_2)
	v_cmp_eq_u32_e32 vcc_lo, 0, v79
	v_cndmask_b32_e32 v79, v83, v70, vcc_lo
; %bb.76:
	s_or_b32 exec_lo, exec_lo, s4
	s_delay_alu instid0(VALU_DEP_1)
	v_perm_b32 v86, v79, v78, 0x7060302
	v_perm_b32 v85, v77, v82, 0x7060302
	;; [unrolled: 1-line block ×4, first 2 shown]
	v_lshl_or_b32 v82, v66, 11, v80
	ds_store_b128 v76, v[83:86] offset:1024
	s_waitcnt lgkmcnt(0)
	s_barrier
	buffer_gl0_inv
	ds_load_b128 v[69:72], v82
	ds_load_b128 v[83:86], v82 offset:16
	s_waitcnt lgkmcnt(1)
	v_lshrrev_b32_e32 v66, 16, v69
	s_waitcnt lgkmcnt(0)
	v_lshrrev_b32_e32 v91, 16, v83
	v_lshlrev_b32_e32 v78, 2, v74
	v_lshrrev_b32_e32 v95, 16, v70
	v_lshrrev_b32_e32 v98, 16, v84
	;; [unrolled: 1-line block ×4, first 2 shown]
	v_cmp_eq_u32_e32 vcc_lo, 1, v78
	v_lshrrev_b32_e32 v97, 16, v72
	v_lshrrev_b32_e32 v100, 16, v86
	v_cndmask_b32_e32 v87, v83, v91, vcc_lo
	v_or_b32_e32 v79, 1, v78
	v_cndmask_b32_e32 v81, v69, v66, vcc_lo
	v_cmp_eq_u32_e64 s5, 2, v78
	v_cmp_eq_u32_e64 s8, 3, v78
	;; [unrolled: 1-line block ×5, first 2 shown]
	v_cndmask_b32_e64 v81, v81, v70, s5
	v_cndmask_b32_e64 v87, v87, v84, s5
	v_cmp_eq_u32_e64 s9, 3, v79
	v_cndmask_b32_e64 v88, v69, v66, s4
	v_or_b32_e32 v77, 2, v78
	v_cndmask_b32_e64 v81, v81, v95, s8
	v_cndmask_b32_e64 v87, v87, v98, s8
	v_cndmask_b32_e64 v89, v83, v91, s4
	v_cndmask_b32_e64 v88, v88, v70, s7
	v_cmp_eq_u32_e64 s11, 5, v78
	v_cndmask_b32_e64 v81, v81, v71, s10
	v_cndmask_b32_e64 v87, v87, v85, s10
	v_cmp_eq_u32_e64 s12, 4, v79
	v_cndmask_b32_e64 v88, v88, v95, s9
	v_cmp_eq_u32_e64 s6, 1, v77
	v_cndmask_b32_e64 v89, v89, v84, s7
	v_cndmask_b32_e64 v81, v81, v96, s11
	v_cmp_eq_u32_e64 s13, 6, v78
	v_cndmask_b32_e64 v88, v88, v71, s12
	;; [unrolled: 3-line block ×3, first 2 shown]
	v_cndmask_b32_e64 v89, v89, v98, s9
	v_cndmask_b32_e64 v81, v81, v72, s13
	v_cmp_eq_u32_e64 s16, 7, v78
	v_cndmask_b32_e64 v88, v88, v96, s15
	v_cndmask_b32_e64 v87, v87, v86, s13
	v_cmp_eq_u32_e64 s17, 6, v79
	v_cmp_eq_u32_e64 s18, 2, v77
	v_cndmask_b32_e64 v89, v89, v85, s12
	v_cndmask_b32_e64 v101, v81, v97, s16
	;; [unrolled: 1-line block ×6, first 2 shown]
	v_cmp_eq_u32_e64 s19, 7, v79
	v_cmp_eq_u32_e64 s20, 3, v77
	;; [unrolled: 1-line block ×4, first 2 shown]
	v_cndmask_b32_e64 v87, v87, v84, s18
	v_cndmask_b32_e64 v103, v88, v97, s19
	;; [unrolled: 1-line block ×4, first 2 shown]
	v_or_b32_e32 v81, 3, v78
	v_cndmask_b32_e64 v93, v87, v98, s20
	v_cmp_eq_u32_e64 s25, 6, v77
	v_cndmask_b32_e64 v104, v88, v86, s17
	v_cndmask_b32_e64 v92, v89, v71, s21
	v_cmp_eq_u32_e64 s22, 1, v81
	ds_load_b128 v[87:90], v82 offset:1024
	v_cmp_eq_u32_e64 s24, 2, v81
	v_cmp_eq_u32_e64 s26, 3, v81
	v_cndmask_b32_e64 v105, v92, v96, s23
	v_cndmask_b32_e64 v66, v69, v66, s22
	;; [unrolled: 1-line block ×4, first 2 shown]
	ds_load_b128 v[91:94], v82 offset:1040
	v_cmp_eq_u32_e64 s27, 4, v81
	v_cndmask_b32_e64 v66, v66, v70, s24
	v_cmp_eq_u32_e64 s28, 7, v77
	v_cndmask_b32_e64 v70, v83, v84, s24
	v_cndmask_b32_e64 v84, v105, v72, s25
	v_cmp_eq_u32_e64 s29, 5, v81
	v_cndmask_b32_e64 v66, v66, v95, s26
	v_cmp_eq_u32_e64 s30, 6, v81
	v_cndmask_b32_e64 v70, v70, v98, s26
	v_cndmask_b32_e64 v69, v69, v99, s23
	;; [unrolled: 1-line block ×4, first 2 shown]
	s_waitcnt lgkmcnt(1)
	v_lshrrev_b32_e32 v95, 16, v87
	v_cndmask_b32_e64 v70, v70, v85, s27
	v_cndmask_b32_e64 v71, v84, v97, s28
	;; [unrolled: 1-line block ×4, first 2 shown]
	v_cndmask_b32_e32 v84, v87, v95, vcc_lo
	v_cndmask_b32_e64 v70, v70, v99, s29
	s_waitcnt lgkmcnt(0)
	v_lshrrev_b32_e32 v85, 16, v91
	v_lshrrev_b32_e32 v96, 16, v88
	v_cndmask_b32_e64 v98, v87, v95, s4
	v_cndmask_b32_e64 v84, v84, v88, s5
	;; [unrolled: 1-line block ×3, first 2 shown]
	v_cndmask_b32_e32 v99, v91, v85, vcc_lo
	v_cmp_eq_u32_e32 vcc_lo, 7, v81
	v_cndmask_b32_e64 v66, v66, v72, s30
	v_cndmask_b32_e64 v72, v84, v96, s8
	;; [unrolled: 1-line block ×3, first 2 shown]
	v_lshrrev_b32_e32 v98, 16, v92
	v_cndmask_b32_e32 v70, v70, v100, vcc_lo
	v_cndmask_b32_e64 v86, v99, v92, s5
	v_cndmask_b32_e64 v69, v69, v100, s28
	v_lshrrev_b32_e32 v100, 16, v93
	v_cndmask_b32_e64 v72, v72, v89, s10
	v_lshrrev_b32_e32 v99, 16, v89
	v_cndmask_b32_e64 v86, v86, v98, s8
	v_perm_b32 v71, v69, v71, 0x5040100
	v_cndmask_b32_e64 v84, v84, v96, s9
	s_delay_alu instid0(VALU_DEP_3) | instskip(NEXT) | instid1(VALU_DEP_2)
	v_cndmask_b32_e64 v86, v86, v93, s10
	v_cndmask_b32_e64 v84, v84, v89, s12
	s_delay_alu instid0(VALU_DEP_2) | instskip(NEXT) | instid1(VALU_DEP_1)
	v_cndmask_b32_e64 v86, v86, v100, s11
	v_cndmask_b32_e64 v69, v86, v94, s13
	;; [unrolled: 1-line block ×5, first 2 shown]
	s_delay_alu instid0(VALU_DEP_3) | instskip(NEXT) | instid1(VALU_DEP_3)
	v_cndmask_b32_e64 v86, v86, v88, s18
	v_cndmask_b32_e64 v87, v87, v88, s24
	s_delay_alu instid0(VALU_DEP_3) | instskip(NEXT) | instid1(VALU_DEP_3)
	v_cndmask_b32_e64 v88, v95, v92, s24
	v_cndmask_b32_e64 v86, v86, v96, s20
	;; [unrolled: 3-line block ×7, first 2 shown]
	s_delay_alu instid0(VALU_DEP_3) | instskip(SKIP_2) | instid1(VALU_DEP_2)
	v_cndmask_b32_e64 v88, v88, v94, s30
	v_cndmask_b32_e32 v66, v66, v97, vcc_lo
	v_cndmask_b32_e64 v97, v72, v99, s11
	v_perm_b32 v72, v70, v66, 0x5040100
	v_perm_b32 v70, v83, v103, 0x5040100
	v_cndmask_b32_e64 v103, v91, v85, s6
	v_cndmask_b32_e64 v85, v91, v85, s4
	;; [unrolled: 1-line block ×4, first 2 shown]
	v_lshrrev_b32_e32 v97, 16, v90
	v_cndmask_b32_e64 v91, v103, v92, s18
	v_cndmask_b32_e64 v85, v85, v92, s7
	;; [unrolled: 1-line block ×3, first 2 shown]
	s_mov_b32 s4, exec_lo
	v_cndmask_b32_e64 v83, v84, v97, s16
	v_cndmask_b32_e64 v91, v91, v98, s20
	;; [unrolled: 1-line block ×3, first 2 shown]
	v_lshrrev_b32_e32 v84, 16, v94
	v_cndmask_b32_e64 v66, v66, v97, s19
	v_cndmask_b32_e64 v90, v86, v97, s28
	;; [unrolled: 1-line block ×4, first 2 shown]
	v_dual_cndmask_b32 v86, v87, v97 :: v_dual_cndmask_b32 v87, v88, v84
	v_cndmask_b32_e64 v91, v69, v84, s16
	s_delay_alu instid0(VALU_DEP_4) | instskip(NEXT) | instid1(VALU_DEP_4)
	v_cndmask_b32_e64 v89, v89, v100, s23
	v_cndmask_b32_e64 v85, v85, v100, s15
	v_perm_b32 v69, v102, v101, 0x5040100
	v_perm_b32 v86, v87, v86, 0x5040100
	;; [unrolled: 1-line block ×3, first 2 shown]
	v_cndmask_b32_e64 v89, v89, v94, s25
	v_cndmask_b32_e64 v85, v85, v94, s17
	s_mul_i32 s9, s37, 13
	s_delay_alu instid0(VALU_DEP_2) | instskip(NEXT) | instid1(VALU_DEP_2)
	v_cndmask_b32_e64 v88, v89, v84, s28
	v_cndmask_b32_e64 v89, v85, v84, s19
	s_delay_alu instid0(VALU_DEP_2) | instskip(NEXT) | instid1(VALU_DEP_2)
	v_perm_b32 v85, v88, v90, 0x5040100
	v_perm_b32 v84, v89, v66, 0x5040100
	ds_store_b128 v76, v[69:72]
	ds_store_b128 v76, v[83:86] offset:1024
	v_cmpx_gt_u32_e32 13, v0
	s_cbranch_execz .LBB1458_78
; %bb.77:
	s_mul_i32 s5, s9, s34
	s_load_b128 s[16:19], s[0:1], 0x58
	v_add3_u32 v69, s5, s31, v65
	s_delay_alu instid0(VALU_DEP_1) | instskip(NEXT) | instid1(VALU_DEP_1)
	v_mad_u64_u32 v[65:66], null, v69, s36, s[14:15]
	v_ashrrev_i32_e32 v66, 31, v65
	s_delay_alu instid0(VALU_DEP_1) | instskip(SKIP_1) | instid1(VALU_DEP_1)
	v_lshlrev_b64 v[65:66], 2, v[65:66]
	s_waitcnt lgkmcnt(0)
	v_add_co_u32 v69, vcc_lo, s18, v65
	s_delay_alu instid0(VALU_DEP_2)
	v_add_co_ci_u32_e32 v70, vcc_lo, s19, v66, vcc_lo
	v_add_co_u32 v65, vcc_lo, s16, v65
	v_add_co_ci_u32_e32 v66, vcc_lo, s17, v66, vcc_lo
	global_store_b32 v[69:70], v67, off
	global_store_b32 v[65:66], v68, off
.LBB1458_78:
	s_or_b32 exec_lo, exec_lo, s4
	s_waitcnt lgkmcnt(0)
	s_waitcnt_vscnt null, 0x0
	s_barrier
	buffer_gl0_inv
	ds_load_b128 v[83:86], v80
	ds_load_b128 v[87:90], v80 offset:16
	ds_load_b128 v[95:98], v80 offset:2064
	;; [unrolled: 1-line block ×3, first 2 shown]
	v_mov_b32_e32 v65, 0
	ds_load_b128 v[103:106], v80 offset:4112
	ds_load_b128 v[99:102], v80 offset:4096
	;; [unrolled: 1-line block ×4, first 2 shown]
	v_mov_b32_e32 v66, v65
	v_mov_b32_e32 v67, v65
	;; [unrolled: 1-line block ×7, first 2 shown]
	s_waitcnt lgkmcnt(6)
	s_delay_alu instid0(VALU_DEP_1)
	v_wmma_f32_16x16x16_bf16 v[65:72], v[57:64], v[83:90], v[65:72]
	ds_load_b128 v[61:64], v80 offset:8208
	ds_load_b128 v[57:60], v80 offset:8192
	s_waitcnt lgkmcnt(6)
	v_wmma_f32_16x16x16_bf16 v[65:72], v[41:48], v[91:98], v[65:72]
	ds_load_b128 v[45:48], v80 offset:10256
	ds_load_b128 v[41:44], v80 offset:10240
	s_waitcnt lgkmcnt(6)
	;; [unrolled: 4-line block ×4, first 2 shown]
	v_wmma_f32_16x16x16_bf16 v[65:72], v[1:8], v[57:64], v[65:72]
	s_waitcnt lgkmcnt(4)
	s_delay_alu instid0(VALU_DEP_1) | instskip(SKIP_1) | instid1(VALU_DEP_1)
	v_wmma_f32_16x16x16_bf16 v[65:72], v[9:16], v[41:48], v[65:72]
	s_waitcnt lgkmcnt(2)
	v_wmma_f32_16x16x16_bf16 v[65:72], v[17:24], v[33:40], v[65:72]
	s_waitcnt lgkmcnt(0)
	s_delay_alu instid0(VALU_DEP_1) | instskip(NEXT) | instid1(VALU_DEP_1)
	v_wmma_f32_16x16x16_bf16 v[65:72], v[49:56], v[25:32], v[65:72]
	v_and_b32_e32 v1, 0x7f800000, v65
	s_delay_alu instid0(VALU_DEP_1) | instskip(SKIP_1) | instid1(SALU_CYCLE_1)
	v_cmp_ne_u32_e32 vcc_lo, 0x7f800000, v1
                                        ; implicit-def: $vgpr1
	s_and_saveexec_b32 s4, vcc_lo
	s_xor_b32 s4, exec_lo, s4
; %bb.79:
	v_bfe_u32 v1, v65, 16, 1
	s_delay_alu instid0(VALU_DEP_1)
	v_add3_u32 v1, v65, v1, 0x7fff
; %bb.80:
	s_and_not1_saveexec_b32 s4, s4
; %bb.81:
	v_and_b32_e32 v1, 0xffff, v65
	v_or_b32_e32 v2, 0x10000, v65
	s_delay_alu instid0(VALU_DEP_2) | instskip(NEXT) | instid1(VALU_DEP_2)
	v_cmp_eq_u32_e32 vcc_lo, 0, v1
	v_cndmask_b32_e32 v1, v2, v65, vcc_lo
; %bb.82:
	s_or_b32 exec_lo, exec_lo, s4
	v_and_b32_e32 v2, 0x7f800000, v66
	s_delay_alu instid0(VALU_DEP_1) | instskip(SKIP_1) | instid1(SALU_CYCLE_1)
	v_cmp_ne_u32_e32 vcc_lo, 0x7f800000, v2
                                        ; implicit-def: $vgpr2
	s_and_saveexec_b32 s4, vcc_lo
	s_xor_b32 s4, exec_lo, s4
; %bb.83:
	v_bfe_u32 v2, v66, 16, 1
	s_delay_alu instid0(VALU_DEP_1)
	v_add3_u32 v2, v66, v2, 0x7fff
; %bb.84:
	s_and_not1_saveexec_b32 s4, s4
; %bb.85:
	v_and_b32_e32 v2, 0xffff, v66
	v_or_b32_e32 v3, 0x10000, v66
	s_delay_alu instid0(VALU_DEP_2) | instskip(NEXT) | instid1(VALU_DEP_2)
	v_cmp_eq_u32_e32 vcc_lo, 0, v2
	v_cndmask_b32_e32 v2, v3, v66, vcc_lo
; %bb.86:
	s_or_b32 exec_lo, exec_lo, s4
	v_and_b32_e32 v3, 0x7f800000, v67
	s_delay_alu instid0(VALU_DEP_1) | instskip(SKIP_1) | instid1(SALU_CYCLE_1)
	v_cmp_ne_u32_e32 vcc_lo, 0x7f800000, v3
                                        ; implicit-def: $vgpr3
	s_and_saveexec_b32 s4, vcc_lo
	s_xor_b32 s4, exec_lo, s4
; %bb.87:
	v_bfe_u32 v3, v67, 16, 1
	s_delay_alu instid0(VALU_DEP_1)
	v_add3_u32 v3, v67, v3, 0x7fff
; %bb.88:
	s_and_not1_saveexec_b32 s4, s4
; %bb.89:
	v_and_b32_e32 v3, 0xffff, v67
	v_or_b32_e32 v4, 0x10000, v67
	s_delay_alu instid0(VALU_DEP_2) | instskip(NEXT) | instid1(VALU_DEP_2)
	v_cmp_eq_u32_e32 vcc_lo, 0, v3
	v_cndmask_b32_e32 v3, v4, v67, vcc_lo
; %bb.90:
	s_or_b32 exec_lo, exec_lo, s4
	v_and_b32_e32 v4, 0x7f800000, v68
	s_delay_alu instid0(VALU_DEP_1) | instskip(SKIP_1) | instid1(SALU_CYCLE_1)
	v_cmp_ne_u32_e32 vcc_lo, 0x7f800000, v4
                                        ; implicit-def: $vgpr4
	s_and_saveexec_b32 s4, vcc_lo
	s_xor_b32 s4, exec_lo, s4
; %bb.91:
	v_bfe_u32 v4, v68, 16, 1
	s_delay_alu instid0(VALU_DEP_1)
	v_add3_u32 v4, v68, v4, 0x7fff
; %bb.92:
	s_and_not1_saveexec_b32 s4, s4
; %bb.93:
	v_and_b32_e32 v4, 0xffff, v68
	v_or_b32_e32 v5, 0x10000, v68
	s_delay_alu instid0(VALU_DEP_2) | instskip(NEXT) | instid1(VALU_DEP_2)
	v_cmp_eq_u32_e32 vcc_lo, 0, v4
	v_cndmask_b32_e32 v4, v5, v68, vcc_lo
; %bb.94:
	s_or_b32 exec_lo, exec_lo, s4
	v_and_b32_e32 v5, 0x7f800000, v69
	s_delay_alu instid0(VALU_DEP_1) | instskip(SKIP_1) | instid1(SALU_CYCLE_1)
	v_cmp_ne_u32_e32 vcc_lo, 0x7f800000, v5
                                        ; implicit-def: $vgpr5
	s_and_saveexec_b32 s4, vcc_lo
	s_xor_b32 s4, exec_lo, s4
; %bb.95:
	v_bfe_u32 v5, v69, 16, 1
	s_delay_alu instid0(VALU_DEP_1)
	v_add3_u32 v5, v69, v5, 0x7fff
; %bb.96:
	s_and_not1_saveexec_b32 s4, s4
; %bb.97:
	v_and_b32_e32 v5, 0xffff, v69
	v_or_b32_e32 v6, 0x10000, v69
	s_delay_alu instid0(VALU_DEP_2) | instskip(NEXT) | instid1(VALU_DEP_2)
	v_cmp_eq_u32_e32 vcc_lo, 0, v5
	v_cndmask_b32_e32 v5, v6, v69, vcc_lo
; %bb.98:
	s_or_b32 exec_lo, exec_lo, s4
	v_and_b32_e32 v6, 0x7f800000, v70
	s_delay_alu instid0(VALU_DEP_1) | instskip(SKIP_1) | instid1(SALU_CYCLE_1)
	v_cmp_ne_u32_e32 vcc_lo, 0x7f800000, v6
                                        ; implicit-def: $vgpr6
	s_and_saveexec_b32 s4, vcc_lo
	s_xor_b32 s4, exec_lo, s4
; %bb.99:
	v_bfe_u32 v6, v70, 16, 1
	s_delay_alu instid0(VALU_DEP_1)
	v_add3_u32 v6, v70, v6, 0x7fff
; %bb.100:
	s_and_not1_saveexec_b32 s4, s4
; %bb.101:
	v_and_b32_e32 v6, 0xffff, v70
	v_or_b32_e32 v7, 0x10000, v70
	s_delay_alu instid0(VALU_DEP_2) | instskip(NEXT) | instid1(VALU_DEP_2)
	v_cmp_eq_u32_e32 vcc_lo, 0, v6
	v_cndmask_b32_e32 v6, v7, v70, vcc_lo
; %bb.102:
	s_or_b32 exec_lo, exec_lo, s4
	v_and_b32_e32 v7, 0x7f800000, v71
	s_delay_alu instid0(VALU_DEP_1) | instskip(SKIP_1) | instid1(SALU_CYCLE_1)
	v_cmp_ne_u32_e32 vcc_lo, 0x7f800000, v7
                                        ; implicit-def: $vgpr7
	s_and_saveexec_b32 s4, vcc_lo
	s_xor_b32 s4, exec_lo, s4
; %bb.103:
	v_bfe_u32 v7, v71, 16, 1
	s_delay_alu instid0(VALU_DEP_1)
	v_add3_u32 v7, v71, v7, 0x7fff
; %bb.104:
	s_and_not1_saveexec_b32 s4, s4
; %bb.105:
	v_and_b32_e32 v7, 0xffff, v71
	v_or_b32_e32 v8, 0x10000, v71
	s_delay_alu instid0(VALU_DEP_2) | instskip(NEXT) | instid1(VALU_DEP_2)
	v_cmp_eq_u32_e32 vcc_lo, 0, v7
	v_cndmask_b32_e32 v7, v8, v71, vcc_lo
; %bb.106:
	s_or_b32 exec_lo, exec_lo, s4
	v_and_b32_e32 v8, 0x7f800000, v72
	s_delay_alu instid0(VALU_DEP_1) | instskip(SKIP_1) | instid1(SALU_CYCLE_1)
	v_cmp_ne_u32_e32 vcc_lo, 0x7f800000, v8
                                        ; implicit-def: $vgpr8
	s_and_saveexec_b32 s4, vcc_lo
	s_xor_b32 s4, exec_lo, s4
; %bb.107:
	v_bfe_u32 v8, v72, 16, 1
	s_delay_alu instid0(VALU_DEP_1)
	v_add3_u32 v8, v72, v8, 0x7fff
                                        ; implicit-def: $vgpr65_vgpr66_vgpr67_vgpr68_vgpr69_vgpr70_vgpr71_vgpr72
; %bb.108:
	s_and_not1_saveexec_b32 s4, s4
; %bb.109:
	v_and_b32_e32 v8, 0xffff, v72
	v_or_b32_e32 v9, 0x10000, v72
	s_delay_alu instid0(VALU_DEP_2) | instskip(NEXT) | instid1(VALU_DEP_2)
	v_cmp_eq_u32_e32 vcc_lo, 0, v8
	v_cndmask_b32_e32 v8, v9, v72, vcc_lo
; %bb.110:
	s_or_b32 exec_lo, exec_lo, s4
	s_delay_alu instid0(VALU_DEP_1)
	v_perm_b32 v7, v8, v7, 0x7060302
	v_perm_b32 v6, v6, v5, 0x7060302
	;; [unrolled: 1-line block ×4, first 2 shown]
	s_barrier
	buffer_gl0_inv
	v_cmp_eq_u32_e32 vcc_lo, 1, v78
	ds_store_b128 v76, v[4:7]
	s_waitcnt lgkmcnt(0)
	s_barrier
	buffer_gl0_inv
	ds_load_b128 v[1:4], v82
	ds_load_b128 v[5:8], v82 offset:16
	v_cmp_eq_u32_e64 s4, 1, v79
	v_cmp_eq_u32_e64 s5, 2, v78
	;; [unrolled: 1-line block ×5, first 2 shown]
	s_waitcnt lgkmcnt(1)
	v_lshrrev_b32_e32 v9, 16, v1
	s_waitcnt lgkmcnt(0)
	v_lshrrev_b32_e32 v13, 16, v5
	v_lshrrev_b32_e32 v10, 16, v2
	;; [unrolled: 1-line block ×4, first 2 shown]
	v_cndmask_b32_e64 v19, v1, v9, s4
	v_cndmask_b32_e32 v18, v5, v13, vcc_lo
	v_cndmask_b32_e64 v20, v5, v13, s4
	v_cndmask_b32_e32 v17, v1, v9, vcc_lo
	v_cmp_eq_u32_e32 vcc_lo, 2, v79
	v_lshrrev_b32_e32 v15, 16, v7
	v_cmp_eq_u32_e64 s4, 1, v77
	v_lshrrev_b32_e32 v12, 16, v4
	v_lshrrev_b32_e32 v16, 16, v8
	v_cndmask_b32_e32 v20, v20, v6, vcc_lo
	v_cndmask_b32_e64 v17, v17, v2, s5
	v_cndmask_b32_e32 v19, v19, v2, vcc_lo
	v_cndmask_b32_e64 v18, v18, v6, s5
	v_cmp_eq_u32_e32 vcc_lo, 4, v78
	v_cmp_eq_u32_e64 s5, 3, v79
	v_cndmask_b32_e64 v17, v17, v10, s6
	v_cndmask_b32_e64 v21, v1, v9, s4
	v_cndmask_b32_e64 v18, v18, v14, s6
	v_cndmask_b32_e64 v22, v5, v13, s4
	v_cndmask_b32_e64 v19, v19, v10, s5
	v_cndmask_b32_e32 v17, v17, v3, vcc_lo
	v_cndmask_b32_e64 v20, v20, v14, s5
	v_cndmask_b32_e32 v18, v18, v7, vcc_lo
	v_cmp_eq_u32_e32 vcc_lo, 4, v79
	v_cmp_eq_u32_e64 s5, 5, v79
	v_cmp_eq_u32_e64 s4, 2, v81
	v_cndmask_b32_e64 v21, v21, v2, s8
	v_cmp_eq_u32_e64 s6, 5, v78
	v_cndmask_b32_e32 v19, v19, v3, vcc_lo
	v_cndmask_b32_e32 v20, v20, v7, vcc_lo
	v_cmp_eq_u32_e32 vcc_lo, 6, v79
	s_delay_alu instid0(VALU_DEP_4) | instskip(NEXT) | instid1(VALU_DEP_4)
	v_cndmask_b32_e64 v17, v17, v11, s6
	v_cndmask_b32_e64 v19, v19, v11, s5
	s_delay_alu instid0(VALU_DEP_4) | instskip(SKIP_1) | instid1(VALU_DEP_3)
	v_cndmask_b32_e64 v20, v20, v15, s5
	v_cmp_eq_u32_e64 s5, 1, v81
	v_cndmask_b32_e32 v19, v19, v4, vcc_lo
	v_cndmask_b32_e64 v18, v18, v15, s6
	s_delay_alu instid0(VALU_DEP_3)
	v_cndmask_b32_e64 v1, v1, v9, s5
	v_cndmask_b32_e64 v5, v5, v13, s5
	v_cmp_eq_u32_e64 s5, 3, v77
	v_cndmask_b32_e64 v13, v22, v6, s8
	v_cmp_eq_u32_e64 s8, 3, v81
	v_cndmask_b32_e64 v1, v1, v2, s4
	v_cndmask_b32_e64 v2, v5, v6, s4
	;; [unrolled: 1-line block ×3, first 2 shown]
	v_cmp_eq_u32_e64 s4, 4, v77
	v_cndmask_b32_e64 v6, v13, v14, s5
	v_cndmask_b32_e64 v1, v1, v10, s8
	v_cmp_eq_u32_e64 s5, 4, v81
	v_cndmask_b32_e64 v2, v2, v14, s8
	v_cndmask_b32_e64 v5, v9, v3, s4
	;; [unrolled: 3-line block ×3, first 2 shown]
	v_cndmask_b32_e64 v2, v2, v7, s5
	v_cmp_eq_u32_e64 s4, 5, v81
	v_cmp_eq_u32_e64 s6, 6, v78
	v_cndmask_b32_e64 v5, v5, v11, s8
	v_cmp_eq_u32_e64 s5, 6, v77
	v_cndmask_b32_e64 v3, v6, v15, s8
	v_cndmask_b32_e64 v1, v1, v11, s4
	v_cmp_eq_u32_e64 s8, 6, v81
	v_cndmask_b32_e64 v2, v2, v15, s4
	v_cndmask_b32_e64 v17, v17, v4, s6
	v_cndmask_b32_e64 v18, v18, v8, s6
	v_cmp_eq_u32_e64 s6, 7, v78
	v_cndmask_b32_e64 v5, v5, v4, s5
	;; [unrolled: 4-line block ×3, first 2 shown]
	v_cmp_eq_u32_e64 s5, 7, v77
	v_cndmask_b32_e32 v4, v20, v8, vcc_lo
	v_cndmask_b32_e64 v17, v17, v12, s6
	v_cndmask_b32_e64 v19, v19, v12, s7
	;; [unrolled: 1-line block ×8, first 2 shown]
	v_cmp_gt_u32_e32 vcc_lo, 32, v0
	v_perm_b32 v4, v2, v1, 0x5040100
	v_perm_b32 v3, v3, v5, 0x5040100
	;; [unrolled: 1-line block ×4, first 2 shown]
	s_and_b32 s2, vcc_lo, s2
	ds_store_b128 v76, v[1:4]
	s_waitcnt lgkmcnt(0)
	s_barrier
	buffer_gl0_inv
	s_and_saveexec_b32 s4, s2
	s_cbranch_execz .LBB1458_2
; %bb.111:
	s_load_b64 s[4:5], s[0:1], 0x68
	v_lshlrev_b32_e32 v0, 10, v0
	v_lshlrev_b32_e32 v1, 4, v75
	s_lshl_b32 s0, s36, 6
	v_add_nc_u32_e32 v18, s31, v74
	s_mul_i32 s1, s0, s34
	s_delay_alu instid0(VALU_DEP_2) | instskip(SKIP_1) | instid1(VALU_DEP_2)
	v_and_or_b32 v0, 0x3800, v0, v1
	s_mul_i32 s6, s1, s9
	v_mul_lo_u32 v1, v18, s0
	s_ashr_i32 s7, s6, 31
	v_add_nc_u32_e32 v2, 2, v18
	v_lshl_or_b32 v19, v74, 6, v0
	s_lshl_b64 s[6:7], s[6:7], 1
	v_add_nc_u32_e32 v8, 4, v18
	v_add_nc_u32_e32 v15, 6, v18
	v_mul_lo_u32 v7, v2, s0
	ds_load_b128 v[3:6], v19
	v_ashrrev_i32_e32 v2, 31, v1
	v_mul_lo_u32 v11, v8, s0
	s_waitcnt lgkmcnt(0)
	s_add_u32 s1, s4, s6
	s_addc_u32 s2, s5, s7
	s_lshl_b32 s4, s14, 6
	v_lshlrev_b64 v[9:10], 1, v[1:2]
	s_ashr_i32 s5, s4, 31
	v_ashrrev_i32_e32 v8, 31, v7
	s_lshl_b64 s[4:5], s[4:5], 1
	v_ashrrev_i32_e32 v12, 31, v11
	s_add_u32 s1, s1, s4
	s_addc_u32 s2, s2, s5
	v_add_co_u32 v1, s1, s1, v73
	s_delay_alu instid0(VALU_DEP_1) | instskip(SKIP_1) | instid1(VALU_DEP_3)
	v_add_co_ci_u32_e64 v2, null, s2, 0, s1
	v_mul_lo_u32 v15, v15, s0
	v_add_co_u32 v13, vcc_lo, v1, v9
	s_delay_alu instid0(VALU_DEP_3)
	v_add_co_ci_u32_e32 v14, vcc_lo, v2, v10, vcc_lo
	v_lshlrev_b64 v[16:17], 1, v[7:8]
	ds_load_b128 v[7:10], v19 offset:128
	global_store_b128 v[13:14], v[3:6], off
	v_add_nc_u32_e32 v5, 8, v18
	v_lshlrev_b64 v[3:4], 1, v[11:12]
	v_add_co_u32 v23, vcc_lo, v1, v16
	v_ashrrev_i32_e32 v16, 31, v15
	s_delay_alu instid0(VALU_DEP_4) | instskip(SKIP_3) | instid1(VALU_DEP_3)
	v_mul_lo_u32 v25, v5, s0
	v_add_nc_u32_e32 v5, 10, v18
	v_add_co_ci_u32_e32 v24, vcc_lo, v2, v17, vcc_lo
	v_add_co_u32 v27, vcc_lo, v1, v3
	v_mul_lo_u32 v29, v5, s0
	v_add_co_ci_u32_e32 v28, vcc_lo, v2, v4, vcc_lo
	v_lshlrev_b64 v[31:32], 1, v[15:16]
	ds_load_b128 v[3:6], v19 offset:256
	ds_load_b128 v[11:14], v19 offset:384
	;; [unrolled: 1-line block ×4, first 2 shown]
	v_ashrrev_i32_e32 v26, 31, v25
	v_ashrrev_i32_e32 v30, 31, v29
	v_add_co_u32 v31, vcc_lo, v1, v31
	s_delay_alu instid0(VALU_DEP_3) | instskip(SKIP_1) | instid1(VALU_DEP_4)
	v_lshlrev_b64 v[25:26], 1, v[25:26]
	v_add_co_ci_u32_e32 v32, vcc_lo, v2, v32, vcc_lo
	v_lshlrev_b64 v[29:30], 1, v[29:30]
	s_delay_alu instid0(VALU_DEP_3) | instskip(NEXT) | instid1(VALU_DEP_4)
	v_add_co_u32 v25, vcc_lo, v1, v25
	v_add_co_ci_u32_e32 v26, vcc_lo, v2, v26, vcc_lo
	s_delay_alu instid0(VALU_DEP_3) | instskip(NEXT) | instid1(VALU_DEP_4)
	v_add_co_u32 v29, vcc_lo, v1, v29
	v_add_co_ci_u32_e32 v30, vcc_lo, v2, v30, vcc_lo
	s_waitcnt lgkmcnt(4)
	global_store_b128 v[23:24], v[7:10], off
	s_waitcnt lgkmcnt(3)
	global_store_b128 v[27:28], v[3:6], off
	;; [unrolled: 2-line block ×5, first 2 shown]
	s_and_b32 exec_lo, exec_lo, s3
	s_cbranch_execz .LBB1458_2
; %bb.112:
	ds_load_b128 v[3:6], v0 offset:768
	s_add_i32 s1, s31, 12
	s_delay_alu instid0(SALU_CYCLE_1) | instskip(NEXT) | instid1(SALU_CYCLE_1)
	s_mul_i32 s0, s1, s0
	s_ashr_i32 s1, s0, 31
	s_delay_alu instid0(SALU_CYCLE_1) | instskip(NEXT) | instid1(SALU_CYCLE_1)
	s_lshl_b64 s[0:1], s[0:1], 1
	v_add_co_u32 v0, vcc_lo, v1, s0
	v_add_co_ci_u32_e32 v1, vcc_lo, s1, v2, vcc_lo
	s_waitcnt lgkmcnt(0)
	global_store_b128 v[0:1], v[3:6], off
	s_nop 0
	s_sendmsg sendmsg(MSG_DEALLOC_VGPRS)
	s_endpgm
	.section	.rodata,"a",@progbits
	.p2align	6, 0x0
	.amdhsa_kernel _Z39paged_attention_ll4mi_QKV_mfma16_kernelI14__hip_bfloat16hLN4vllm18Fp8KVCacheDataTypeE1EhLi32ELi64ELi256ELb0ELi13EL8MFMAType1EEvPKT_PKT0_S9_ifPKiSB_SB_iPKfiiiPfSE_PS4_PT2_iSD_SD_
		.amdhsa_group_segment_fixed_size 17472
		.amdhsa_private_segment_fixed_size 0
		.amdhsa_kernarg_size 400
		.amdhsa_user_sgpr_count 13
		.amdhsa_user_sgpr_dispatch_ptr 0
		.amdhsa_user_sgpr_queue_ptr 0
		.amdhsa_user_sgpr_kernarg_segment_ptr 1
		.amdhsa_user_sgpr_dispatch_id 0
		.amdhsa_user_sgpr_private_segment_size 0
		.amdhsa_wavefront_size32 1
		.amdhsa_uses_dynamic_stack 0
		.amdhsa_enable_private_segment 0
		.amdhsa_system_sgpr_workgroup_id_x 1
		.amdhsa_system_sgpr_workgroup_id_y 1
		.amdhsa_system_sgpr_workgroup_id_z 1
		.amdhsa_system_sgpr_workgroup_info 0
		.amdhsa_system_vgpr_workitem_id 0
		.amdhsa_next_free_vgpr 124
		.amdhsa_next_free_sgpr 42
		.amdhsa_reserve_vcc 1
		.amdhsa_float_round_mode_32 0
		.amdhsa_float_round_mode_16_64 0
		.amdhsa_float_denorm_mode_32 3
		.amdhsa_float_denorm_mode_16_64 3
		.amdhsa_dx10_clamp 1
		.amdhsa_ieee_mode 1
		.amdhsa_fp16_overflow 0
		.amdhsa_workgroup_processor_mode 1
		.amdhsa_memory_ordered 1
		.amdhsa_forward_progress 0
		.amdhsa_shared_vgpr_count 0
		.amdhsa_exception_fp_ieee_invalid_op 0
		.amdhsa_exception_fp_denorm_src 0
		.amdhsa_exception_fp_ieee_div_zero 0
		.amdhsa_exception_fp_ieee_overflow 0
		.amdhsa_exception_fp_ieee_underflow 0
		.amdhsa_exception_fp_ieee_inexact 0
		.amdhsa_exception_int_div_zero 0
	.end_amdhsa_kernel
	.section	.text._Z39paged_attention_ll4mi_QKV_mfma16_kernelI14__hip_bfloat16hLN4vllm18Fp8KVCacheDataTypeE1EhLi32ELi64ELi256ELb0ELi13EL8MFMAType1EEvPKT_PKT0_S9_ifPKiSB_SB_iPKfiiiPfSE_PS4_PT2_iSD_SD_,"axG",@progbits,_Z39paged_attention_ll4mi_QKV_mfma16_kernelI14__hip_bfloat16hLN4vllm18Fp8KVCacheDataTypeE1EhLi32ELi64ELi256ELb0ELi13EL8MFMAType1EEvPKT_PKT0_S9_ifPKiSB_SB_iPKfiiiPfSE_PS4_PT2_iSD_SD_,comdat
.Lfunc_end1458:
	.size	_Z39paged_attention_ll4mi_QKV_mfma16_kernelI14__hip_bfloat16hLN4vllm18Fp8KVCacheDataTypeE1EhLi32ELi64ELi256ELb0ELi13EL8MFMAType1EEvPKT_PKT0_S9_ifPKiSB_SB_iPKfiiiPfSE_PS4_PT2_iSD_SD_, .Lfunc_end1458-_Z39paged_attention_ll4mi_QKV_mfma16_kernelI14__hip_bfloat16hLN4vllm18Fp8KVCacheDataTypeE1EhLi32ELi64ELi256ELb0ELi13EL8MFMAType1EEvPKT_PKT0_S9_ifPKiSB_SB_iPKfiiiPfSE_PS4_PT2_iSD_SD_
                                        ; -- End function
	.section	.AMDGPU.csdata,"",@progbits
; Kernel info:
; codeLenInByte = 8972
; NumSgprs: 44
; NumVgprs: 124
; ScratchSize: 0
; MemoryBound: 0
; FloatMode: 240
; IeeeMode: 1
; LDSByteSize: 17472 bytes/workgroup (compile time only)
; SGPRBlocks: 5
; VGPRBlocks: 15
; NumSGPRsForWavesPerEU: 44
; NumVGPRsForWavesPerEU: 124
; Occupancy: 10
; WaveLimiterHint : 1
; COMPUTE_PGM_RSRC2:SCRATCH_EN: 0
; COMPUTE_PGM_RSRC2:USER_SGPR: 13
; COMPUTE_PGM_RSRC2:TRAP_HANDLER: 0
; COMPUTE_PGM_RSRC2:TGID_X_EN: 1
; COMPUTE_PGM_RSRC2:TGID_Y_EN: 1
; COMPUTE_PGM_RSRC2:TGID_Z_EN: 1
; COMPUTE_PGM_RSRC2:TIDIG_COMP_CNT: 0
	.section	.text._Z39paged_attention_ll4mi_QKV_mfma16_kernelI14__hip_bfloat16hLN4vllm18Fp8KVCacheDataTypeE1EhLi32ELi64ELi256ELb0ELi14EL8MFMAType1EEvPKT_PKT0_S9_ifPKiSB_SB_iPKfiiiPfSE_PS4_PT2_iSD_SD_,"axG",@progbits,_Z39paged_attention_ll4mi_QKV_mfma16_kernelI14__hip_bfloat16hLN4vllm18Fp8KVCacheDataTypeE1EhLi32ELi64ELi256ELb0ELi14EL8MFMAType1EEvPKT_PKT0_S9_ifPKiSB_SB_iPKfiiiPfSE_PS4_PT2_iSD_SD_,comdat
	.protected	_Z39paged_attention_ll4mi_QKV_mfma16_kernelI14__hip_bfloat16hLN4vllm18Fp8KVCacheDataTypeE1EhLi32ELi64ELi256ELb0ELi14EL8MFMAType1EEvPKT_PKT0_S9_ifPKiSB_SB_iPKfiiiPfSE_PS4_PT2_iSD_SD_ ; -- Begin function _Z39paged_attention_ll4mi_QKV_mfma16_kernelI14__hip_bfloat16hLN4vllm18Fp8KVCacheDataTypeE1EhLi32ELi64ELi256ELb0ELi14EL8MFMAType1EEvPKT_PKT0_S9_ifPKiSB_SB_iPKfiiiPfSE_PS4_PT2_iSD_SD_
	.globl	_Z39paged_attention_ll4mi_QKV_mfma16_kernelI14__hip_bfloat16hLN4vllm18Fp8KVCacheDataTypeE1EhLi32ELi64ELi256ELb0ELi14EL8MFMAType1EEvPKT_PKT0_S9_ifPKiSB_SB_iPKfiiiPfSE_PS4_PT2_iSD_SD_
	.p2align	8
	.type	_Z39paged_attention_ll4mi_QKV_mfma16_kernelI14__hip_bfloat16hLN4vllm18Fp8KVCacheDataTypeE1EhLi32ELi64ELi256ELb0ELi14EL8MFMAType1EEvPKT_PKT0_S9_ifPKiSB_SB_iPKfiiiPfSE_PS4_PT2_iSD_SD_,@function
_Z39paged_attention_ll4mi_QKV_mfma16_kernelI14__hip_bfloat16hLN4vllm18Fp8KVCacheDataTypeE1EhLi32ELi64ELi256ELb0ELi14EL8MFMAType1EEvPKT_PKT0_S9_ifPKiSB_SB_iPKfiiiPfSE_PS4_PT2_iSD_SD_: ; @_Z39paged_attention_ll4mi_QKV_mfma16_kernelI14__hip_bfloat16hLN4vllm18Fp8KVCacheDataTypeE1EhLi32ELi64ELi256ELb0ELi14EL8MFMAType1EEvPKT_PKT0_S9_ifPKiSB_SB_iPKfiiiPfSE_PS4_PT2_iSD_SD_
; %bb.0:
	s_load_b64 s[2:3], s[0:1], 0x30
	s_mov_b32 s30, s13
	s_waitcnt lgkmcnt(0)
	s_cmp_lg_u64 s[2:3], 0
	s_cselect_b32 s8, -1, 0
	s_ashr_i32 s31, s13, 31
	s_cmp_eq_u64 s[2:3], 0
	s_cbranch_scc1 .LBB1459_3
; %bb.1:
	s_lshl_b64 s[4:5], s[30:31], 2
	s_delay_alu instid0(SALU_CYCLE_1) | instskip(SKIP_4) | instid1(SALU_CYCLE_1)
	s_add_u32 s4, s2, s4
	s_addc_u32 s5, s3, s5
	s_load_b64 s[4:5], s[4:5], 0x0
	s_waitcnt lgkmcnt(0)
	s_sub_i32 s4, s5, s4
	s_cmp_eq_u32 s4, 1
	s_cselect_b32 s4, -1, 0
	s_delay_alu instid0(SALU_CYCLE_1)
	s_and_not1_b32 vcc_lo, exec_lo, s4
	s_cbranch_vccz .LBB1459_4
.LBB1459_2:
	s_endpgm
.LBB1459_3:
.LBB1459_4:
	s_load_b64 s[4:5], s[0:1], 0x28
	s_lshl_b64 s[6:7], s[30:31], 2
	s_waitcnt lgkmcnt(0)
	s_add_u32 s4, s4, s6
	s_addc_u32 s5, s5, s7
	s_lshl_b32 s12, s14, 8
	s_load_b32 s24, s[4:5], 0x0
	s_waitcnt lgkmcnt(0)
	s_cmp_ge_i32 s12, s24
	s_cbranch_scc1 .LBB1459_2
; %bb.5:
	s_clause 0x1
	s_load_b128 s[20:23], s[0:1], 0x8
	s_load_b64 s[4:5], s[0:1], 0x20
	s_and_not1_b32 vcc_lo, exec_lo, s8
	s_cbranch_vccnz .LBB1459_7
; %bb.6:
	s_add_u32 s2, s2, s6
	s_addc_u32 s3, s3, s7
	s_load_b32 s3, s[2:3], 0x0
	s_branch .LBB1459_8
.LBB1459_7:
	s_mov_b32 s3, s30
.LBB1459_8:
	s_load_b128 s[16:19], s[0:1], 0x48
	v_and_b32_e32 v65, 15, v0
	v_cmp_gt_u32_e32 vcc_lo, 0xe0, v0
	v_lshrrev_b32_e32 v66, 5, v0
	v_and_b32_e32 v67, 31, v0
	v_and_b32_e32 v75, 1, v0
	v_lshlrev_b32_e32 v1, 3, v65
	v_cmp_gt_u32_e64 s2, 8, v65
	v_bfe_u32 v74, v0, 4, 1
	s_mul_i32 s31, s15, 14
	s_delay_alu instid0(VALU_DEP_3) | instskip(NEXT) | instid1(VALU_DEP_3)
	v_lshlrev_b32_e32 v73, 1, v1
	s_and_b32 s7, vcc_lo, s2
	s_delay_alu instid0(SALU_CYCLE_1)
	s_and_saveexec_b32 s6, s7
	s_cbranch_execz .LBB1459_10
; %bb.9:
	s_load_b64 s[8:9], s[0:1], 0x0
	v_lshl_or_b32 v5, v66, 1, v74
	s_waitcnt lgkmcnt(0)
	s_mul_hi_i32 s11, s3, s16
	s_mul_i32 s10, s3, s16
	v_lshlrev_b32_e32 v6, 10, v65
	s_lshl_b64 s[10:11], s[10:11], 1
	v_add_lshl_u32 v1, v5, s31, 6
	v_lshlrev_b32_e32 v5, 6, v5
	v_lshlrev_b32_e32 v7, 10, v75
	v_and_b32_e32 v6, 0x3800, v6
	s_delay_alu instid0(VALU_DEP_4) | instskip(NEXT) | instid1(VALU_DEP_2)
	v_ashrrev_i32_e32 v2, 31, v1
	v_or3_b32 v5, v6, v7, v5
	s_delay_alu instid0(VALU_DEP_2) | instskip(SKIP_2) | instid1(VALU_DEP_1)
	v_lshlrev_b64 v[1:2], 1, v[1:2]
	s_add_u32 s3, s8, s10
	s_addc_u32 s7, s9, s11
	v_add_co_u32 v1, vcc_lo, s3, v1
	s_delay_alu instid0(VALU_DEP_2) | instskip(NEXT) | instid1(VALU_DEP_2)
	v_add_co_ci_u32_e32 v2, vcc_lo, s7, v2, vcc_lo
	v_add_co_u32 v1, vcc_lo, v1, v73
	s_delay_alu instid0(VALU_DEP_2)
	v_add_co_ci_u32_e32 v2, vcc_lo, 0, v2, vcc_lo
	global_load_b128 v[1:4], v[1:2], off
	s_waitcnt vmcnt(0)
	ds_store_b128 v5, v[1:4]
.LBB1459_10:
	s_or_b32 exec_lo, exec_lo, s6
	v_and_b32_e32 v1, 0xef, v0
	s_waitcnt lgkmcnt(0)
	s_add_i32 s3, s24, 31
	s_clause 0x1
	s_load_b32 s6, s[0:1], 0x38
	s_load_b32 s19, s[0:1], 0x1c
	s_ashr_i32 s7, s3, 31
	v_add_nc_u32_e32 v1, s12, v1
	s_lshr_b32 s7, s7, 27
	s_waitcnt lgkmcnt(0)
	s_add_i32 s3, s3, s7
	s_barrier
	v_ashrrev_i32_e32 v2, 31, v1
	v_or_b32_e32 v3, 16, v1
	s_ashr_i32 s3, s3, 5
	v_cmp_gt_i32_e32 vcc_lo, s24, v1
	s_add_i32 s3, s3, -1
	v_lshrrev_b32_e32 v2, 27, v2
	buffer_gl0_inv
	s_mul_i32 s27, s15, s18
	v_add_nc_u32_e32 v4, v1, v2
	s_mul_i32 s6, s30, s6
	s_delay_alu instid0(SALU_CYCLE_1) | instskip(NEXT) | instid1(VALU_DEP_1)
	s_ashr_i32 s7, s6, 31
	v_ashrrev_i32_e32 v4, 5, v4
	v_add_nc_u32_e32 v2, v3, v2
	s_lshl_b64 s[6:7], s[6:7], 2
	s_delay_alu instid0(SALU_CYCLE_1) | instskip(NEXT) | instid1(VALU_DEP_2)
	s_add_u32 s26, s4, s6
	v_cndmask_b32_e32 v1, s3, v4, vcc_lo
	s_delay_alu instid0(VALU_DEP_2)
	v_ashrrev_i32_e32 v2, 5, v2
	v_cmp_gt_i32_e32 vcc_lo, s24, v3
	s_addc_u32 s25, s5, s7
	s_ashr_i32 s28, s27, 31
	s_add_u32 s4, s20, s27
	s_addc_u32 s5, s21, s28
	v_cndmask_b32_e32 v3, s3, v2, vcc_lo
	v_ashrrev_i32_e32 v2, 31, v1
	s_lshl_b32 s6, s14, 3
	s_delay_alu instid0(SALU_CYCLE_1) | instskip(NEXT) | instid1(VALU_DEP_2)
	s_ashr_i32 s7, s6, 31
	v_ashrrev_i32_e32 v4, 31, v3
	s_delay_alu instid0(VALU_DEP_2) | instskip(SKIP_1) | instid1(SALU_CYCLE_1)
	v_lshlrev_b64 v[1:2], 2, v[1:2]
	s_lshl_b64 s[6:7], s[6:7], 2
	s_add_u32 s6, s26, s6
	s_delay_alu instid0(VALU_DEP_2) | instskip(SKIP_1) | instid1(VALU_DEP_2)
	v_lshlrev_b64 v[3:4], 2, v[3:4]
	s_addc_u32 s7, s25, s7
	v_add_co_u32 v1, vcc_lo, s26, v1
	v_add_co_ci_u32_e32 v2, vcc_lo, s25, v2, vcc_lo
	s_delay_alu instid0(VALU_DEP_3) | instskip(NEXT) | instid1(VALU_DEP_4)
	v_add_co_u32 v3, vcc_lo, s26, v3
	v_add_co_ci_u32_e32 v4, vcc_lo, s25, v4, vcc_lo
	s_clause 0x1
	global_load_b32 v5, v[1:2], off
	global_load_b32 v6, v[3:4], off
	s_or_b32 s8, s12, 32
	s_delay_alu instid0(SALU_CYCLE_1) | instskip(SKIP_2) | instid1(SALU_CYCLE_1)
	s_ashr_i32 s9, s8, 5
	s_cmp_lt_i32 s8, s24
	s_cselect_b32 s8, s9, s3
	s_ashr_i32 s9, s8, 31
	s_delay_alu instid0(SALU_CYCLE_1) | instskip(NEXT) | instid1(SALU_CYCLE_1)
	s_lshl_b64 s[8:9], s[8:9], 2
	s_add_u32 s8, s26, s8
	s_addc_u32 s9, s25, s9
	s_or_b32 s10, s12, 64
	s_delay_alu instid0(SALU_CYCLE_1) | instskip(SKIP_2) | instid1(SALU_CYCLE_1)
	s_ashr_i32 s11, s10, 5
	s_cmp_lt_i32 s10, s24
	s_cselect_b32 s10, s11, s3
	s_ashr_i32 s11, s10, 31
	s_delay_alu instid0(SALU_CYCLE_1) | instskip(NEXT) | instid1(SALU_CYCLE_1)
	s_lshl_b64 s[10:11], s[10:11], 2
	s_add_u32 s10, s26, s10
	s_addc_u32 s11, s25, s11
	;; [unrolled: 10-line block ×5, first 2 shown]
	s_clause 0x5
	s_load_b32 s21, s[6:7], 0x0
	s_load_b32 s13, s[8:9], 0x0
	;; [unrolled: 1-line block ×6, first 2 shown]
	s_or_b32 s8, s12, 0xc0
	s_delay_alu instid0(SALU_CYCLE_1) | instskip(SKIP_2) | instid1(SALU_CYCLE_1)
	s_ashr_i32 s9, s8, 5
	s_cmp_lt_i32 s8, s24
	s_cselect_b32 s34, s9, s3
	s_ashr_i32 s35, s34, 31
	s_delay_alu instid0(SALU_CYCLE_1) | instskip(NEXT) | instid1(SALU_CYCLE_1)
	s_lshl_b64 s[34:35], s[34:35], 2
	s_add_u32 s34, s26, s34
	s_addc_u32 s35, s25, s35
	s_or_b32 s29, s12, 0xe0
	s_delay_alu instid0(SALU_CYCLE_1)
	s_ashr_i32 s33, s29, 5
	s_cmp_lt_i32 s29, s24
	s_waitcnt vmcnt(1)
	v_mad_i64_i32 v[1:2], null, v5, s17, s[4:5]
	s_waitcnt vmcnt(0)
	v_mad_i64_i32 v[3:4], null, v6, s17, s[4:5]
	s_mov_b32 s4, 0
	s_delay_alu instid0(SALU_CYCLE_1)
	s_mov_b32 s5, s4
	s_mov_b32 s6, s4
	;; [unrolled: 1-line block ×7, first 2 shown]
	v_lshlrev_b32_e32 v5, 4, v65
	v_dual_mov_b32 v107, s11 :: v_dual_mov_b32 v102, s6
	v_mov_b32_e32 v100, s4
	v_mov_b32_e32 v106, s10
	s_delay_alu instid0(VALU_DEP_4)
	v_add_co_u32 v1, vcc_lo, v1, v5
	v_add_co_ci_u32_e32 v2, vcc_lo, 0, v2, vcc_lo
	v_add_co_u32 v3, vcc_lo, v3, v5
	v_add_co_ci_u32_e32 v4, vcc_lo, 0, v4, vcc_lo
	s_clause 0x7
	global_load_b128 v[49:52], v[1:2], off
	global_load_b128 v[53:56], v[1:2], off offset:512
	global_load_b128 v[76:79], v[3:4], off offset:256
	;; [unrolled: 1-line block ×7, first 2 shown]
	v_add_nc_u32_e32 v1, -14, v65
	v_cmp_gt_u32_e32 vcc_lo, 14, v65
	v_dual_mov_b32 v104, s8 :: v_dual_mov_b32 v103, s7
	v_dual_mov_b32 v101, s5 :: v_dual_lshlrev_b32 v2, 5, v65
	s_delay_alu instid0(VALU_DEP_4)
	v_cndmask_b32_e32 v1, v1, v65, vcc_lo
	v_mov_b32_e32 v105, s9
	s_cselect_b32 s4, s33, s3
	s_load_b32 s3, s[34:35], 0x0
	s_ashr_i32 s5, s4, 31
	v_lshlrev_b32_e32 v70, 6, v1
	s_lshl_b64 s[4:5], s[4:5], 2
	v_lshl_or_b32 v2, v66, 9, v2
	s_add_u32 s4, s26, s4
	s_addc_u32 s5, s25, s5
	ds_load_b128 v[108:111], v70
	ds_load_b128 v[112:115], v70 offset:1024
	s_load_b32 s4, s[4:5], 0x0
	s_add_u32 s6, s22, s27
	s_addc_u32 s7, s23, s28
	v_add_co_u32 v9, s6, s6, v2
	s_delay_alu instid0(VALU_DEP_1) | instskip(SKIP_1) | instid1(VALU_DEP_1)
	v_add_co_ci_u32_e64 v10, null, s7, 0, s6
	s_waitcnt lgkmcnt(0)
	v_mad_i64_i32 v[1:2], null, s21, s17, v[9:10]
	v_mad_i64_i32 v[3:4], null, s13, s17, v[9:10]
	;; [unrolled: 1-line block ×7, first 2 shown]
	s_clause 0x9
	global_load_b128 v[57:60], v[1:2], off
	global_load_b128 v[61:64], v[1:2], off offset:16
	global_load_b128 v[41:44], v[3:4], off
	global_load_b128 v[45:48], v[3:4], off offset:16
	;; [unrolled: 2-line block ×5, first 2 shown]
	v_mad_i64_i32 v[68:69], null, s4, s17, v[9:10]
	s_clause 0x3
	global_load_b128 v[9:12], v[13:14], off
	global_load_b128 v[13:16], v[13:14], off offset:16
	global_load_b128 v[17:20], v[21:22], off
	global_load_b128 v[21:24], v[21:22], off offset:16
	s_waitcnt vmcnt(20)
	v_wmma_f32_16x16x16_bf16 v[116:123], v[49:56], v[108:115], v[100:107]
	s_clause 0x1
	global_load_b128 v[49:52], v[68:69], off
	global_load_b128 v[53:56], v[68:69], off offset:16
	v_and_b32_e32 v68, 0xe0, v0
	v_mbcnt_lo_u32_b32 v69, -1, 0
	s_delay_alu instid0(VALU_DEP_2)
	v_add_nc_u32_e32 v68, s12, v68
	s_waitcnt vmcnt(20)
	v_wmma_f32_16x16x16_bf16 v[100:107], v[76:83], v[108:115], v[100:107]
	ds_load_b128 v[76:79], v70 offset:2048
	ds_load_b128 v[80:83], v70 offset:3072
	v_xor_b32_e32 v70, 16, v69
	s_waitcnt vmcnt(0) lgkmcnt(0)
	v_or_b32_e32 v68, v68, v74
	s_barrier
	buffer_gl0_inv
	v_cmp_gt_i32_e32 vcc_lo, 32, v70
	v_or_b32_e32 v71, 4, v68
	v_or_b32_e32 v72, 6, v68
	v_cmp_gt_i32_e64 s3, s24, v68
	v_or_b32_e32 v108, 8, v68
	v_or_b32_e32 v109, 10, v68
	v_cmp_gt_i32_e64 s4, s24, v71
	v_cmp_gt_i32_e64 s5, s24, v72
	s_delay_alu instid0(VALU_DEP_4) | instskip(NEXT) | instid1(VALU_DEP_4)
	v_cmp_gt_i32_e64 s6, s24, v108
	v_cmp_gt_i32_e64 s7, s24, v109
	v_wmma_f32_16x16x16_bf16 v[116:123], v[84:91], v[76:83], v[116:123]
	v_cndmask_b32_e32 v69, v69, v70, vcc_lo
	v_or_b32_e32 v70, 2, v68
	v_wmma_f32_16x16x16_bf16 v[100:107], v[92:99], v[76:83], v[100:107]
	v_or_b32_e32 v89, 22, v68
	v_dual_mul_f32 v80, s19, v121 :: v_dual_mul_f32 v81, s19, v120
	v_dual_mul_f32 v92, s19, v117 :: v_dual_mul_f32 v93, s19, v116
	s_delay_alu instid0(VALU_DEP_4)
	v_mul_f32_e32 v96, s19, v105
	v_cmp_gt_i32_e32 vcc_lo, s24, v70
	v_dual_mul_f32 v79, s19, v122 :: v_dual_mul_f32 v82, s19, v119
	v_dual_mul_f32 v83, s19, v118 :: v_dual_mul_f32 v94, s19, v107
	v_cndmask_b32_e64 v93, 0xff7fffff, v93, s3
	v_cndmask_b32_e32 v92, 0xff7fffff, v92, vcc_lo
	v_or_b32_e32 v84, 12, v68
	v_or_b32_e32 v85, 14, v68
	v_cndmask_b32_e64 v71, 0xff7fffff, v83, s4
	v_cndmask_b32_e64 v72, 0xff7fffff, v82, s5
	v_cmp_gt_i32_e64 s13, s24, v89
	v_lshlrev_b32_e32 v89, 2, v69
	v_max3_f32 v82, v93, 0xff7fffff, v92
	v_or_b32_e32 v86, 16, v68
	v_or_b32_e32 v87, 18, v68
	v_mul_f32_e32 v78, s19, v123
	v_cndmask_b32_e64 v81, 0xff7fffff, v81, s6
	v_cndmask_b32_e64 v80, 0xff7fffff, v80, s7
	v_max3_f32 v71, v82, v71, v72
	v_cmp_gt_i32_e64 s8, s24, v84
	v_cmp_gt_i32_e64 s9, s24, v85
	v_or_b32_e32 v88, 20, v68
	v_or_b32_e32 v90, 24, v68
	;; [unrolled: 1-line block ×5, first 2 shown]
	v_dual_mul_f32 v97, s19, v104 :: v_dual_mul_f32 v70, s19, v101
	v_dual_mul_f32 v99, s19, v102 :: v_dual_mul_f32 v68, s19, v100
	v_cndmask_b32_e64 v72, 0xff7fffff, v79, s8
	v_cndmask_b32_e64 v78, 0xff7fffff, v78, s9
	v_max3_f32 v71, v71, v81, v80
	v_cmp_gt_i32_e64 s10, s24, v86
	v_cmp_gt_i32_e64 s11, s24, v87
	v_dual_mul_f32 v95, s19, v106 :: v_dual_mul_f32 v98, s19, v103
	s_delay_alu instid0(VALU_DEP_4) | instskip(NEXT) | instid1(VALU_DEP_4)
	v_max3_f32 v71, v71, v72, v78
	v_cndmask_b32_e64 v68, 0xff7fffff, v68, s10
	s_delay_alu instid0(VALU_DEP_4)
	v_cndmask_b32_e64 v70, 0xff7fffff, v70, s11
	v_cmp_gt_i32_e64 s12, s24, v88
	v_cndmask_b32_e64 v78, 0xff7fffff, v98, s13
	v_cmp_gt_i32_e64 s15, s24, v90
	v_cmp_gt_i32_e64 s16, s24, v91
	v_max3_f32 v68, v71, v68, v70
	v_cndmask_b32_e64 v72, 0xff7fffff, v99, s12
	v_cmp_gt_i32_e64 s17, s24, v76
	v_cndmask_b32_e64 v70, 0xff7fffff, v97, s15
	v_cndmask_b32_e64 v71, 0xff7fffff, v96, s16
	v_cmp_gt_i32_e64 s18, s24, v77
	v_max3_f32 v68, v68, v72, v78
	v_cndmask_b32_e64 v72, 0xff7fffff, v95, s17
	s_delay_alu instid0(VALU_DEP_3) | instskip(NEXT) | instid1(VALU_DEP_3)
	v_cndmask_b32_e64 v76, 0xff7fffff, v94, s18
	v_max3_f32 v68, v68, v70, v71
	s_delay_alu instid0(VALU_DEP_1) | instskip(SKIP_3) | instid1(VALU_DEP_1)
	v_max3_f32 v68, v68, v72, v76
	ds_bpermute_b32 v69, v89, v68
	s_waitcnt lgkmcnt(0)
	v_max_f32_e32 v69, v69, v69
	v_max_f32_e32 v68, v68, v69
	s_delay_alu instid0(VALU_DEP_1) | instskip(NEXT) | instid1(VALU_DEP_1)
	v_fma_f32 v71, s19, v118, -v68
	v_mul_f32_e32 v71, 0x3fb8aa3b, v71
	v_fma_f32 v70, s19, v117, -v68
	v_fma_f32 v69, s19, v116, -v68
	;; [unrolled: 1-line block ×5, first 2 shown]
	s_delay_alu instid0(VALU_DEP_4) | instskip(SKIP_1) | instid1(VALU_DEP_3)
	v_dual_mul_f32 v70, 0x3fb8aa3b, v70 :: v_dual_mul_f32 v69, 0x3fb8aa3b, v69
	v_exp_f32_e32 v71, v71
	v_mul_f32_e32 v72, 0x3fb8aa3b, v72
	v_fma_f32 v81, s19, v105, -v68
	s_delay_alu instid0(VALU_DEP_3)
	v_exp_f32_e32 v70, v70
	v_mul_f32_e32 v77, 0x3fb8aa3b, v76
	v_exp_f32_e32 v69, v69
	v_exp_f32_e32 v72, v72
	v_mul_f32_e32 v81, 0x3fb8aa3b, v81
	v_cndmask_b32_e64 v83, 0, v71, s4
	v_fma_f32 v71, s19, v123, -v68
	s_delay_alu instid0(VALU_DEP_3) | instskip(SKIP_4) | instid1(TRANS32_DEP_3)
	v_exp_f32_e32 v81, v81
	v_cndmask_b32_e32 v76, 0, v70, vcc_lo
	v_exp_f32_e32 v77, v77
	v_cndmask_b32_e64 v80, 0, v69, s3
	v_fma_f32 v69, s19, v121, -v68
	v_cndmask_b32_e64 v85, 0, v72, s5
	v_mul_f32_e32 v71, 0x3fb8aa3b, v71
	v_fma_f32 v72, s19, v100, -v68
	s_delay_alu instid0(VALU_DEP_4) | instskip(SKIP_1) | instid1(VALU_DEP_3)
	v_dual_add_f32 v70, 0, v80 :: v_dual_mul_f32 v69, 0x3fb8aa3b, v69
	s_mov_b32 s3, exec_lo
	v_exp_f32_e32 v71, v71
	s_delay_alu instid0(TRANS32_DEP_2) | instskip(SKIP_4) | instid1(VALU_DEP_3)
	v_cndmask_b32_e64 v86, 0, v77, s6
	v_fma_f32 v77, s19, v101, -v68
	v_mul_f32_e32 v78, 0x3fb8aa3b, v78
	v_add_f32_e32 v70, v70, v76
	v_exp_f32_e32 v69, v69
	v_mul_f32_e32 v77, 0x3fb8aa3b, v77
	s_delay_alu instid0(VALU_DEP_3) | instskip(NEXT) | instid1(TRANS32_DEP_3)
	v_exp_f32_e32 v78, v78
	v_cndmask_b32_e64 v88, 0, v71, s9
	v_fma_f32 v71, s19, v104, -v68
	s_delay_alu instid0(VALU_DEP_3) | instskip(NEXT) | instid1(TRANS32_DEP_3)
	v_exp_f32_e32 v77, v77
	v_cndmask_b32_e64 v87, 0, v69, s7
	s_delay_alu instid0(VALU_DEP_2)
	v_mul_f32_e32 v71, 0x3fb8aa3b, v71
	s_waitcnt_depctr 0xfff
	v_cndmask_b32_e64 v84, 0, v78, s8
	v_add_f32_e32 v70, v70, v83
	v_fma_f32 v78, s19, v103, -v68
	v_exp_f32_e32 v82, v71
	s_delay_alu instid0(VALU_DEP_2) | instskip(SKIP_1) | instid1(VALU_DEP_3)
	v_add_f32_e32 v70, v70, v85
	v_mul_f32_e32 v72, 0x3fb8aa3b, v72
	v_mul_f32_e32 v78, 0x3fb8aa3b, v78
	s_delay_alu instid0(VALU_DEP_3) | instskip(SKIP_1) | instid1(VALU_DEP_4)
	v_add_f32_e32 v69, v70, v86
	v_fma_f32 v70, s19, v102, -v68
	v_exp_f32_e32 v72, v72
	s_delay_alu instid0(VALU_DEP_3) | instskip(NEXT) | instid1(VALU_DEP_1)
	v_exp_f32_e32 v78, v78
	v_dual_add_f32 v69, v69, v87 :: v_dual_mul_f32 v70, 0x3fb8aa3b, v70
	s_delay_alu instid0(VALU_DEP_1) | instskip(NEXT) | instid1(VALU_DEP_2)
	v_add_f32_e32 v69, v69, v84
	v_exp_f32_e32 v79, v70
	s_delay_alu instid0(TRANS32_DEP_3) | instskip(NEXT) | instid1(VALU_DEP_2)
	v_cndmask_b32_e64 v70, 0, v72, s10
	v_add_f32_e32 v72, v69, v88
	v_cndmask_b32_e64 v69, 0, v77, s11
	v_fma_f32 v77, s19, v106, -v68
	s_waitcnt_depctr 0xfff
	v_cndmask_b32_e64 v71, 0, v79, s12
	v_dual_mul_f32 v77, 0x3fb8aa3b, v77 :: v_dual_add_f32 v72, v72, v70
	s_delay_alu instid0(VALU_DEP_1) | instskip(NEXT) | instid1(VALU_DEP_1)
	v_exp_f32_e32 v90, v77
	v_add_f32_e32 v79, v72, v69
	v_cndmask_b32_e64 v72, 0, v78, s13
	v_cndmask_b32_e64 v77, 0, v82, s15
	s_delay_alu instid0(VALU_DEP_3) | instskip(SKIP_1) | instid1(VALU_DEP_1)
	v_add_f32_e32 v78, v79, v71
	v_fma_f32 v79, s19, v107, -v68
	v_dual_add_f32 v82, v78, v72 :: v_dual_mul_f32 v79, 0x3fb8aa3b, v79
	v_cndmask_b32_e64 v78, 0, v81, s16
	s_delay_alu instid0(VALU_DEP_2) | instskip(NEXT) | instid1(VALU_DEP_3)
	v_add_f32_e32 v81, v82, v77
	v_exp_f32_e32 v82, v79
	v_cndmask_b32_e64 v79, 0, v90, s17
	s_delay_alu instid0(VALU_DEP_2) | instskip(NEXT) | instid1(VALU_DEP_1)
	v_add_f32_e32 v81, v81, v78
	v_add_f32_e32 v90, v81, v79
	s_waitcnt_depctr 0xfff
	v_cndmask_b32_e64 v81, 0, v82, s18
	s_delay_alu instid0(VALU_DEP_1)
	v_add_f32_e32 v82, v90, v81
	ds_bpermute_b32 v89, v89, v82
	v_cmpx_gt_u32_e32 16, v67
	s_cbranch_execz .LBB1459_12
; %bb.11:
	v_mul_u32_u24_e32 v67, 0x44, v66
	s_delay_alu instid0(VALU_DEP_1) | instskip(SKIP_1) | instid1(VALU_DEP_1)
	v_lshl_add_u32 v67, v65, 2, v67
	s_waitcnt lgkmcnt(0)
	v_dual_add_f32 v82, v82, v89 :: v_dual_add_nc_u32 v67, 0x4000, v67
	ds_store_2addr_b32 v67, v68, v82 offset1:136
.LBB1459_12:
	s_or_b32 exec_lo, exec_lo, s3
	v_lshlrev_b32_e32 v67, 2, v65
	s_waitcnt lgkmcnt(0)
	s_barrier
	buffer_gl0_inv
	v_cmp_eq_u32_e32 vcc_lo, 1, v66
	v_add_nc_u32_e32 v82, 0x4000, v67
	v_cmp_eq_u32_e64 s3, 2, v66
	v_cmp_eq_u32_e64 s5, 7, v66
	ds_load_2addr_b32 v[89:90], v82 offset1:17
	ds_load_2addr_b32 v[91:92], v82 offset0:34 offset1:51
	ds_load_2addr_b32 v[93:94], v82 offset0:68 offset1:85
	;; [unrolled: 1-line block ×4, first 2 shown]
	s_waitcnt lgkmcnt(4)
	v_max3_f32 v67, v89, 0xff7fffff, v90
	s_waitcnt lgkmcnt(3)
	s_delay_alu instid0(VALU_DEP_1) | instskip(SKIP_1) | instid1(VALU_DEP_1)
	v_max3_f32 v67, v67, v91, v92
	s_waitcnt lgkmcnt(2)
	v_max3_f32 v67, v67, v93, v94
	s_waitcnt lgkmcnt(1)
	s_delay_alu instid0(VALU_DEP_1) | instskip(NEXT) | instid1(VALU_DEP_1)
	v_max3_f32 v67, v67, v95, v96
	v_sub_f32_e32 v93, v93, v67
	s_delay_alu instid0(VALU_DEP_1) | instskip(NEXT) | instid1(VALU_DEP_1)
	v_dual_sub_f32 v68, v89, v67 :: v_dual_mul_f32 v103, 0x3fb8aa3b, v93
	v_mul_f32_e32 v68, 0x3fb8aa3b, v68
	s_delay_alu instid0(VALU_DEP_1)
	v_exp_f32_e32 v100, v68
	v_sub_f32_e32 v68, v92, v67
	v_sub_f32_e32 v99, v90, v67
	ds_load_2addr_b32 v[89:90], v82 offset0:170 offset1:187
	v_dual_mul_f32 v102, 0x3fb8aa3b, v68 :: v_dual_mul_f32 v99, 0x3fb8aa3b, v99
	s_waitcnt lgkmcnt(1)
	v_fma_f32 v68, v100, v97, 0
	s_delay_alu instid0(VALU_DEP_2) | instskip(NEXT) | instid1(VALU_DEP_2)
	v_exp_f32_e32 v102, v102
	v_exp_f32_e32 v99, v99
	s_waitcnt_depctr 0xfff
	v_fmac_f32_e32 v68, v99, v98
	v_sub_f32_e32 v91, v91, v67
	s_delay_alu instid0(VALU_DEP_1)
	v_mul_f32_e32 v101, 0x3fb8aa3b, v91
	ds_load_2addr_b32 v[91:92], v82 offset0:204 offset1:221
	v_sub_f32_e32 v97, v94, v67
	ds_load_2addr_b32 v[93:94], v82 offset0:238 offset1:255
	s_waitcnt lgkmcnt(0)
	v_exp_f32_e32 v101, v101
	s_barrier
	buffer_gl0_inv
	v_dual_fmac_f32 v68, v101, v89 :: v_dual_sub_f32 v89, v96, v67
	v_dual_sub_f32 v82, v95, v67 :: v_dual_mul_f32 v95, 0x3fb8aa3b, v97
	v_exp_f32_e32 v97, v103
	s_delay_alu instid0(VALU_DEP_2) | instskip(NEXT) | instid1(VALU_DEP_2)
	v_dual_fmac_f32 v68, v102, v90 :: v_dual_mul_f32 v89, 0x3fb8aa3b, v89
	v_mul_f32_e32 v82, 0x3fb8aa3b, v82
	s_delay_alu instid0(VALU_DEP_3) | instskip(NEXT) | instid1(VALU_DEP_2)
	v_exp_f32_e32 v95, v95
	v_exp_f32_e32 v89, v89
	s_delay_alu instid0(VALU_DEP_1)
	v_exp_f32_e32 v82, v82
	v_fmac_f32_e32 v68, v97, v91
	s_delay_alu instid0(TRANS32_DEP_3) | instid1(VALU_DEP_1)
	v_fmac_f32_e32 v68, v95, v92
	s_waitcnt_depctr 0xfff
	v_fmac_f32_e32 v68, v82, v93
	s_delay_alu instid0(VALU_DEP_1) | instskip(NEXT) | instid1(VALU_DEP_1)
	v_fmac_f32_e32 v68, v89, v94
	v_add_f32_e32 v90, 0x358637bd, v68
	s_delay_alu instid0(VALU_DEP_1) | instskip(NEXT) | instid1(VALU_DEP_1)
	v_div_scale_f32 v91, null, v90, v90, 1.0
	v_rcp_f32_e32 v92, v91
	s_waitcnt_depctr 0xfff
	v_fma_f32 v93, -v91, v92, 1.0
	s_delay_alu instid0(VALU_DEP_1) | instskip(SKIP_1) | instid1(VALU_DEP_2)
	v_dual_fmac_f32 v92, v93, v92 :: v_dual_cndmask_b32 v93, v100, v99
	v_cmp_eq_u32_e32 vcc_lo, 3, v66
	v_cndmask_b32_e64 v93, v93, v101, s3
	v_cmp_eq_u32_e64 s3, 4, v66
	s_delay_alu instid0(VALU_DEP_2) | instskip(SKIP_1) | instid1(VALU_DEP_2)
	v_cndmask_b32_e32 v93, v93, v102, vcc_lo
	v_cmp_eq_u32_e32 vcc_lo, 5, v66
	v_cndmask_b32_e64 v93, v93, v97, s3
	v_cmp_eq_u32_e64 s3, 6, v66
	s_delay_alu instid0(VALU_DEP_2) | instskip(SKIP_1) | instid1(VALU_DEP_1)
	v_cndmask_b32_e32 v93, v93, v95, vcc_lo
	v_div_scale_f32 v94, s4, 1.0, v90, 1.0
	s_mov_b32 vcc_lo, s4
	s_delay_alu instid0(VALU_DEP_2) | instskip(NEXT) | instid1(VALU_DEP_2)
	v_cndmask_b32_e64 v82, v93, v82, s3
	v_mul_f32_e32 v96, v94, v92
	s_mov_b32 s3, exec_lo
	s_delay_alu instid0(VALU_DEP_2) | instskip(NEXT) | instid1(VALU_DEP_2)
	v_cndmask_b32_e64 v82, v82, v89, s5
	v_fma_f32 v98, -v91, v96, v94
	s_delay_alu instid0(VALU_DEP_1) | instskip(NEXT) | instid1(VALU_DEP_1)
	v_fmac_f32_e32 v96, v98, v92
	v_fma_f32 v91, -v91, v96, v94
	s_delay_alu instid0(VALU_DEP_1) | instskip(NEXT) | instid1(VALU_DEP_1)
	v_div_fmas_f32 v91, v91, v92, v96
	v_div_fixup_f32 v90, v91, v90, 1.0
	s_delay_alu instid0(VALU_DEP_1) | instskip(NEXT) | instid1(VALU_DEP_1)
	v_mul_f32_e32 v82, v82, v90
	v_mul_f32_e32 v87, v82, v87
	;; [unrolled: 1-line block ×7, first 2 shown]
	v_dual_mul_f32 v86, v82, v83 :: v_dual_and_b32 v91, 0x7f800000, v90
	v_mul_f32_e32 v85, v82, v76
                                        ; implicit-def: $vgpr76
	s_delay_alu instid0(VALU_DEP_2)
	v_cmpx_ne_u32_e32 0x7f800000, v91
	s_xor_b32 s3, exec_lo, s3
; %bb.13:
	v_bfe_u32 v76, v90, 16, 1
	s_delay_alu instid0(VALU_DEP_1)
	v_add3_u32 v76, v90, v76, 0x7fff
                                        ; implicit-def: $vgpr90
; %bb.14:
	s_and_not1_saveexec_b32 s3, s3
; %bb.15:
	v_and_b32_e32 v76, 0xffff, v90
	v_or_b32_e32 v83, 0x10000, v90
	s_delay_alu instid0(VALU_DEP_2) | instskip(NEXT) | instid1(VALU_DEP_2)
	v_cmp_eq_u32_e32 vcc_lo, 0, v76
	v_cndmask_b32_e32 v76, v83, v90, vcc_lo
; %bb.16:
	s_or_b32 exec_lo, exec_lo, s3
	v_and_b32_e32 v83, 0x7f800000, v85
	s_delay_alu instid0(VALU_DEP_1) | instskip(SKIP_1) | instid1(SALU_CYCLE_1)
	v_cmp_ne_u32_e32 vcc_lo, 0x7f800000, v83
                                        ; implicit-def: $vgpr83
	s_and_saveexec_b32 s3, vcc_lo
	s_xor_b32 s3, exec_lo, s3
; %bb.17:
	v_bfe_u32 v83, v85, 16, 1
	s_delay_alu instid0(VALU_DEP_1)
	v_add3_u32 v83, v85, v83, 0x7fff
                                        ; implicit-def: $vgpr85
; %bb.18:
	s_and_not1_saveexec_b32 s3, s3
; %bb.19:
	v_and_b32_e32 v83, 0xffff, v85
	v_or_b32_e32 v90, 0x10000, v85
	s_delay_alu instid0(VALU_DEP_2) | instskip(NEXT) | instid1(VALU_DEP_2)
	v_cmp_eq_u32_e32 vcc_lo, 0, v83
	v_cndmask_b32_e32 v83, v90, v85, vcc_lo
; %bb.20:
	s_or_b32 exec_lo, exec_lo, s3
	v_and_b32_e32 v85, 0x7f800000, v86
	s_delay_alu instid0(VALU_DEP_1) | instskip(SKIP_1) | instid1(SALU_CYCLE_1)
	v_cmp_ne_u32_e32 vcc_lo, 0x7f800000, v85
                                        ; implicit-def: $vgpr85
	s_and_saveexec_b32 s3, vcc_lo
	s_xor_b32 s3, exec_lo, s3
; %bb.21:
	v_bfe_u32 v85, v86, 16, 1
	s_delay_alu instid0(VALU_DEP_1)
	v_add3_u32 v85, v86, v85, 0x7fff
                                        ; implicit-def: $vgpr86
; %bb.22:
	s_and_not1_saveexec_b32 s3, s3
; %bb.23:
	v_and_b32_e32 v85, 0xffff, v86
	v_or_b32_e32 v90, 0x10000, v86
	s_delay_alu instid0(VALU_DEP_2) | instskip(NEXT) | instid1(VALU_DEP_2)
	v_cmp_eq_u32_e32 vcc_lo, 0, v85
	v_cndmask_b32_e32 v85, v90, v86, vcc_lo
; %bb.24:
	s_or_b32 exec_lo, exec_lo, s3
	v_and_b32_e32 v86, 0x7f800000, v89
	s_delay_alu instid0(VALU_DEP_1) | instskip(SKIP_1) | instid1(SALU_CYCLE_1)
	v_cmp_ne_u32_e32 vcc_lo, 0x7f800000, v86
                                        ; implicit-def: $vgpr86
	s_and_saveexec_b32 s3, vcc_lo
	s_xor_b32 s3, exec_lo, s3
; %bb.25:
	v_bfe_u32 v86, v89, 16, 1
	s_delay_alu instid0(VALU_DEP_1)
	v_add3_u32 v86, v89, v86, 0x7fff
                                        ; implicit-def: $vgpr89
; %bb.26:
	s_and_not1_saveexec_b32 s3, s3
; %bb.27:
	v_and_b32_e32 v86, 0xffff, v89
	v_or_b32_e32 v90, 0x10000, v89
	s_delay_alu instid0(VALU_DEP_2) | instskip(NEXT) | instid1(VALU_DEP_2)
	v_cmp_eq_u32_e32 vcc_lo, 0, v86
	v_cndmask_b32_e32 v86, v90, v89, vcc_lo
; %bb.28:
	s_or_b32 exec_lo, exec_lo, s3
	v_and_b32_e32 v89, 0x7f800000, v88
	s_delay_alu instid0(VALU_DEP_1) | instskip(SKIP_1) | instid1(SALU_CYCLE_1)
	v_cmp_ne_u32_e32 vcc_lo, 0x7f800000, v89
                                        ; implicit-def: $vgpr89
	s_and_saveexec_b32 s3, vcc_lo
	s_xor_b32 s3, exec_lo, s3
; %bb.29:
	v_bfe_u32 v89, v88, 16, 1
	s_delay_alu instid0(VALU_DEP_1)
	v_add3_u32 v89, v88, v89, 0x7fff
                                        ; implicit-def: $vgpr88
; %bb.30:
	s_and_not1_saveexec_b32 s3, s3
; %bb.31:
	v_and_b32_e32 v89, 0xffff, v88
	v_or_b32_e32 v90, 0x10000, v88
	s_delay_alu instid0(VALU_DEP_2) | instskip(NEXT) | instid1(VALU_DEP_2)
	v_cmp_eq_u32_e32 vcc_lo, 0, v89
	v_cndmask_b32_e32 v89, v90, v88, vcc_lo
; %bb.32:
	s_or_b32 exec_lo, exec_lo, s3
	v_and_b32_e32 v88, 0x7f800000, v87
	s_delay_alu instid0(VALU_DEP_1) | instskip(SKIP_1) | instid1(SALU_CYCLE_1)
	v_cmp_ne_u32_e32 vcc_lo, 0x7f800000, v88
                                        ; implicit-def: $vgpr88
	s_and_saveexec_b32 s3, vcc_lo
	s_xor_b32 s3, exec_lo, s3
; %bb.33:
	v_bfe_u32 v88, v87, 16, 1
	s_delay_alu instid0(VALU_DEP_1)
	v_add3_u32 v88, v87, v88, 0x7fff
                                        ; implicit-def: $vgpr87
; %bb.34:
	s_and_not1_saveexec_b32 s3, s3
; %bb.35:
	v_and_b32_e32 v88, 0xffff, v87
	v_or_b32_e32 v90, 0x10000, v87
	s_delay_alu instid0(VALU_DEP_2) | instskip(NEXT) | instid1(VALU_DEP_2)
	v_cmp_eq_u32_e32 vcc_lo, 0, v88
	v_cndmask_b32_e32 v88, v90, v87, vcc_lo
; %bb.36:
	s_or_b32 exec_lo, exec_lo, s3
	v_and_b32_e32 v87, 0x7f800000, v84
	s_delay_alu instid0(VALU_DEP_1) | instskip(SKIP_1) | instid1(SALU_CYCLE_1)
	v_cmp_ne_u32_e32 vcc_lo, 0x7f800000, v87
                                        ; implicit-def: $vgpr87
	s_and_saveexec_b32 s3, vcc_lo
	s_xor_b32 s3, exec_lo, s3
; %bb.37:
	v_bfe_u32 v87, v84, 16, 1
	s_delay_alu instid0(VALU_DEP_1)
	v_add3_u32 v87, v84, v87, 0x7fff
                                        ; implicit-def: $vgpr84
; %bb.38:
	s_and_not1_saveexec_b32 s3, s3
; %bb.39:
	v_and_b32_e32 v87, 0xffff, v84
	v_or_b32_e32 v90, 0x10000, v84
	s_delay_alu instid0(VALU_DEP_2) | instskip(NEXT) | instid1(VALU_DEP_2)
	v_cmp_eq_u32_e32 vcc_lo, 0, v87
	v_cndmask_b32_e32 v87, v90, v84, vcc_lo
; %bb.40:
	s_or_b32 exec_lo, exec_lo, s3
	v_and_b32_e32 v84, 0x7f800000, v80
	s_delay_alu instid0(VALU_DEP_1) | instskip(SKIP_1) | instid1(SALU_CYCLE_1)
	v_cmp_ne_u32_e32 vcc_lo, 0x7f800000, v84
                                        ; implicit-def: $vgpr84
	s_and_saveexec_b32 s3, vcc_lo
	s_xor_b32 s3, exec_lo, s3
; %bb.41:
	v_bfe_u32 v84, v80, 16, 1
	s_delay_alu instid0(VALU_DEP_1)
	v_add3_u32 v84, v80, v84, 0x7fff
                                        ; implicit-def: $vgpr80
; %bb.42:
	s_and_not1_saveexec_b32 s3, s3
; %bb.43:
	v_and_b32_e32 v84, 0xffff, v80
	v_or_b32_e32 v90, 0x10000, v80
	s_delay_alu instid0(VALU_DEP_2) | instskip(NEXT) | instid1(VALU_DEP_2)
	v_cmp_eq_u32_e32 vcc_lo, 0, v84
	v_cndmask_b32_e32 v84, v90, v80, vcc_lo
; %bb.44:
	s_or_b32 exec_lo, exec_lo, s3
	s_load_b64 s[34:35], s[0:1], 0x94
	v_lshlrev_b32_e32 v91, 4, v74
	s_delay_alu instid0(VALU_DEP_2)
	v_perm_b32 v90, v84, v87, 0x7060302
	v_dual_mul_f32 v79, v82, v79 :: v_dual_lshlrev_b32 v80, 6, v65
	v_dual_mul_f32 v77, v82, v77 :: v_dual_lshlrev_b32 v92, 11, v66
	v_mul_f32_e32 v84, v82, v70
	v_perm_b32 v89, v88, v89, 0x7060302
	v_perm_b32 v88, v86, v85, 0x7060302
	;; [unrolled: 1-line block ×3, first 2 shown]
	v_mul_f32_e32 v70, v82, v81
	v_or3_b32 v76, v91, v92, v80
	v_dual_mul_f32 v78, v82, v78 :: v_dual_and_b32 v85, 0x7f800000, v84
	v_mul_f32_e32 v83, v82, v72
	v_mul_f32_e32 v81, v82, v71
	;; [unrolled: 1-line block ×3, first 2 shown]
	s_mov_b32 s3, exec_lo
	ds_store_b128 v76, v[87:90]
                                        ; implicit-def: $vgpr69
	v_cmpx_ne_u32_e32 0x7f800000, v85
	s_xor_b32 s3, exec_lo, s3
; %bb.45:
	v_bfe_u32 v69, v84, 16, 1
	s_delay_alu instid0(VALU_DEP_1)
	v_add3_u32 v69, v84, v69, 0x7fff
                                        ; implicit-def: $vgpr84
; %bb.46:
	s_and_not1_saveexec_b32 s3, s3
; %bb.47:
	v_and_b32_e32 v69, 0xffff, v84
	v_or_b32_e32 v71, 0x10000, v84
	s_delay_alu instid0(VALU_DEP_2) | instskip(NEXT) | instid1(VALU_DEP_2)
	v_cmp_eq_u32_e32 vcc_lo, 0, v69
	v_cndmask_b32_e32 v69, v71, v84, vcc_lo
; %bb.48:
	s_or_b32 exec_lo, exec_lo, s3
	v_and_b32_e32 v71, 0x7f800000, v72
	s_delay_alu instid0(VALU_DEP_1) | instskip(SKIP_1) | instid1(SALU_CYCLE_1)
	v_cmp_ne_u32_e32 vcc_lo, 0x7f800000, v71
                                        ; implicit-def: $vgpr71
	s_and_saveexec_b32 s3, vcc_lo
	s_xor_b32 s3, exec_lo, s3
; %bb.49:
	v_bfe_u32 v71, v72, 16, 1
	s_delay_alu instid0(VALU_DEP_1)
	v_add3_u32 v71, v72, v71, 0x7fff
                                        ; implicit-def: $vgpr72
; %bb.50:
	s_and_not1_saveexec_b32 s3, s3
; %bb.51:
	v_and_b32_e32 v71, 0xffff, v72
	v_or_b32_e32 v82, 0x10000, v72
	s_delay_alu instid0(VALU_DEP_2) | instskip(NEXT) | instid1(VALU_DEP_2)
	v_cmp_eq_u32_e32 vcc_lo, 0, v71
	v_cndmask_b32_e32 v71, v82, v72, vcc_lo
; %bb.52:
	s_or_b32 exec_lo, exec_lo, s3
	v_and_b32_e32 v72, 0x7f800000, v81
	s_delay_alu instid0(VALU_DEP_1) | instskip(SKIP_1) | instid1(SALU_CYCLE_1)
	v_cmp_ne_u32_e32 vcc_lo, 0x7f800000, v72
                                        ; implicit-def: $vgpr72
	s_and_saveexec_b32 s3, vcc_lo
	s_xor_b32 s3, exec_lo, s3
; %bb.53:
	v_bfe_u32 v72, v81, 16, 1
	s_delay_alu instid0(VALU_DEP_1)
	v_add3_u32 v72, v81, v72, 0x7fff
                                        ; implicit-def: $vgpr81
; %bb.54:
	s_and_not1_saveexec_b32 s3, s3
; %bb.55:
	v_and_b32_e32 v72, 0xffff, v81
	v_or_b32_e32 v82, 0x10000, v81
	s_delay_alu instid0(VALU_DEP_2) | instskip(NEXT) | instid1(VALU_DEP_2)
	v_cmp_eq_u32_e32 vcc_lo, 0, v72
	v_cndmask_b32_e32 v72, v82, v81, vcc_lo
; %bb.56:
	s_or_b32 exec_lo, exec_lo, s3
	v_and_b32_e32 v81, 0x7f800000, v83
	s_delay_alu instid0(VALU_DEP_1) | instskip(SKIP_1) | instid1(SALU_CYCLE_1)
	v_cmp_ne_u32_e32 vcc_lo, 0x7f800000, v81
                                        ; implicit-def: $vgpr81
	s_and_saveexec_b32 s3, vcc_lo
	s_xor_b32 s3, exec_lo, s3
; %bb.57:
	v_bfe_u32 v81, v83, 16, 1
	s_delay_alu instid0(VALU_DEP_1)
	v_add3_u32 v81, v83, v81, 0x7fff
                                        ; implicit-def: $vgpr83
; %bb.58:
	s_and_not1_saveexec_b32 s3, s3
; %bb.59:
	v_and_b32_e32 v81, 0xffff, v83
	v_or_b32_e32 v82, 0x10000, v83
	s_delay_alu instid0(VALU_DEP_2) | instskip(NEXT) | instid1(VALU_DEP_2)
	v_cmp_eq_u32_e32 vcc_lo, 0, v81
	v_cndmask_b32_e32 v81, v82, v83, vcc_lo
; %bb.60:
	s_or_b32 exec_lo, exec_lo, s3
	v_and_b32_e32 v82, 0x7f800000, v77
	s_delay_alu instid0(VALU_DEP_1) | instskip(SKIP_1) | instid1(SALU_CYCLE_1)
	v_cmp_ne_u32_e32 vcc_lo, 0x7f800000, v82
                                        ; implicit-def: $vgpr82
	s_and_saveexec_b32 s3, vcc_lo
	s_xor_b32 s3, exec_lo, s3
; %bb.61:
	v_bfe_u32 v82, v77, 16, 1
	s_delay_alu instid0(VALU_DEP_1)
	v_add3_u32 v82, v77, v82, 0x7fff
                                        ; implicit-def: $vgpr77
; %bb.62:
	s_and_not1_saveexec_b32 s3, s3
; %bb.63:
	v_and_b32_e32 v82, 0xffff, v77
	v_or_b32_e32 v83, 0x10000, v77
	s_delay_alu instid0(VALU_DEP_2) | instskip(NEXT) | instid1(VALU_DEP_2)
	v_cmp_eq_u32_e32 vcc_lo, 0, v82
	v_cndmask_b32_e32 v82, v83, v77, vcc_lo
; %bb.64:
	s_or_b32 exec_lo, exec_lo, s3
	v_and_b32_e32 v77, 0x7f800000, v78
	s_delay_alu instid0(VALU_DEP_1) | instskip(SKIP_1) | instid1(SALU_CYCLE_1)
	v_cmp_ne_u32_e32 vcc_lo, 0x7f800000, v77
                                        ; implicit-def: $vgpr77
	s_and_saveexec_b32 s3, vcc_lo
	s_xor_b32 s3, exec_lo, s3
; %bb.65:
	v_bfe_u32 v77, v78, 16, 1
	s_delay_alu instid0(VALU_DEP_1)
	v_add3_u32 v77, v78, v77, 0x7fff
                                        ; implicit-def: $vgpr78
; %bb.66:
	s_and_not1_saveexec_b32 s3, s3
; %bb.67:
	v_and_b32_e32 v77, 0xffff, v78
	v_or_b32_e32 v83, 0x10000, v78
	s_delay_alu instid0(VALU_DEP_2) | instskip(NEXT) | instid1(VALU_DEP_2)
	v_cmp_eq_u32_e32 vcc_lo, 0, v77
	v_cndmask_b32_e32 v77, v83, v78, vcc_lo
; %bb.68:
	s_or_b32 exec_lo, exec_lo, s3
	v_and_b32_e32 v78, 0x7f800000, v79
	s_delay_alu instid0(VALU_DEP_1) | instskip(SKIP_1) | instid1(SALU_CYCLE_1)
	v_cmp_ne_u32_e32 vcc_lo, 0x7f800000, v78
                                        ; implicit-def: $vgpr78
	s_and_saveexec_b32 s3, vcc_lo
	s_xor_b32 s3, exec_lo, s3
; %bb.69:
	v_bfe_u32 v78, v79, 16, 1
	s_delay_alu instid0(VALU_DEP_1)
	v_add3_u32 v78, v79, v78, 0x7fff
                                        ; implicit-def: $vgpr79
; %bb.70:
	s_and_not1_saveexec_b32 s3, s3
; %bb.71:
	v_and_b32_e32 v78, 0xffff, v79
	v_or_b32_e32 v83, 0x10000, v79
	s_delay_alu instid0(VALU_DEP_2) | instskip(NEXT) | instid1(VALU_DEP_2)
	v_cmp_eq_u32_e32 vcc_lo, 0, v78
	v_cndmask_b32_e32 v78, v83, v79, vcc_lo
; %bb.72:
	s_or_b32 exec_lo, exec_lo, s3
	v_and_b32_e32 v79, 0x7f800000, v70
	s_delay_alu instid0(VALU_DEP_1) | instskip(SKIP_1) | instid1(SALU_CYCLE_1)
	v_cmp_ne_u32_e32 vcc_lo, 0x7f800000, v79
                                        ; implicit-def: $vgpr79
	s_and_saveexec_b32 s3, vcc_lo
	s_xor_b32 s3, exec_lo, s3
; %bb.73:
	v_bfe_u32 v79, v70, 16, 1
	s_delay_alu instid0(VALU_DEP_1)
	v_add3_u32 v79, v70, v79, 0x7fff
                                        ; implicit-def: $vgpr70
; %bb.74:
	s_and_not1_saveexec_b32 s3, s3
; %bb.75:
	v_and_b32_e32 v79, 0xffff, v70
	v_or_b32_e32 v83, 0x10000, v70
	s_delay_alu instid0(VALU_DEP_2) | instskip(NEXT) | instid1(VALU_DEP_2)
	v_cmp_eq_u32_e32 vcc_lo, 0, v79
	v_cndmask_b32_e32 v79, v83, v70, vcc_lo
; %bb.76:
	s_or_b32 exec_lo, exec_lo, s3
	s_delay_alu instid0(VALU_DEP_1)
	v_perm_b32 v86, v79, v78, 0x7060302
	v_perm_b32 v85, v77, v82, 0x7060302
	;; [unrolled: 1-line block ×4, first 2 shown]
	v_lshl_or_b32 v82, v66, 11, v80
	ds_store_b128 v76, v[83:86] offset:1024
	s_waitcnt lgkmcnt(0)
	s_barrier
	buffer_gl0_inv
	ds_load_b128 v[69:72], v82
	ds_load_b128 v[83:86], v82 offset:16
	s_waitcnt lgkmcnt(1)
	v_lshrrev_b32_e32 v66, 16, v69
	s_waitcnt lgkmcnt(0)
	v_lshrrev_b32_e32 v91, 16, v83
	v_lshlrev_b32_e32 v78, 2, v74
	v_lshrrev_b32_e32 v95, 16, v70
	v_lshrrev_b32_e32 v98, 16, v84
	;; [unrolled: 1-line block ×4, first 2 shown]
	v_cmp_eq_u32_e32 vcc_lo, 1, v78
	v_lshrrev_b32_e32 v97, 16, v72
	v_lshrrev_b32_e32 v100, 16, v86
	v_cndmask_b32_e32 v87, v83, v91, vcc_lo
	v_or_b32_e32 v79, 1, v78
	v_cndmask_b32_e32 v81, v69, v66, vcc_lo
	v_cmp_eq_u32_e64 s4, 2, v78
	v_cmp_eq_u32_e64 s7, 3, v78
	;; [unrolled: 1-line block ×5, first 2 shown]
	v_cndmask_b32_e64 v81, v81, v70, s4
	v_cndmask_b32_e64 v87, v87, v84, s4
	v_cmp_eq_u32_e64 s8, 3, v79
	v_cndmask_b32_e64 v88, v69, v66, s3
	v_or_b32_e32 v77, 2, v78
	v_cndmask_b32_e64 v81, v81, v95, s7
	v_cndmask_b32_e64 v87, v87, v98, s7
	;; [unrolled: 1-line block ×4, first 2 shown]
	v_cmp_eq_u32_e64 s10, 5, v78
	v_cndmask_b32_e64 v81, v81, v71, s9
	v_cndmask_b32_e64 v87, v87, v85, s9
	v_cmp_eq_u32_e64 s11, 4, v79
	v_cndmask_b32_e64 v88, v88, v95, s8
	v_cmp_eq_u32_e64 s5, 1, v77
	v_cndmask_b32_e64 v89, v89, v84, s6
	v_cndmask_b32_e64 v81, v81, v96, s10
	v_cmp_eq_u32_e64 s12, 6, v78
	v_cndmask_b32_e64 v88, v88, v71, s11
	;; [unrolled: 3-line block ×3, first 2 shown]
	v_cndmask_b32_e64 v89, v89, v98, s8
	v_cndmask_b32_e64 v81, v81, v72, s12
	v_cmp_eq_u32_e64 s15, 7, v78
	v_cndmask_b32_e64 v88, v88, v96, s13
	v_cndmask_b32_e64 v87, v87, v86, s12
	v_cmp_eq_u32_e64 s16, 6, v79
	v_cmp_eq_u32_e64 s17, 2, v77
	v_cndmask_b32_e64 v89, v89, v85, s11
	v_cndmask_b32_e64 v101, v81, v97, s15
	;; [unrolled: 1-line block ×6, first 2 shown]
	v_cmp_eq_u32_e64 s18, 7, v79
	v_cmp_eq_u32_e64 s19, 3, v77
	;; [unrolled: 1-line block ×4, first 2 shown]
	v_cndmask_b32_e64 v87, v87, v84, s17
	v_cndmask_b32_e64 v103, v88, v97, s18
	;; [unrolled: 1-line block ×4, first 2 shown]
	v_or_b32_e32 v81, 3, v78
	v_cndmask_b32_e64 v93, v87, v98, s19
	v_cmp_eq_u32_e64 s24, 6, v77
	v_cndmask_b32_e64 v104, v88, v86, s16
	v_cndmask_b32_e64 v92, v89, v71, s20
	v_cmp_eq_u32_e64 s21, 1, v81
	ds_load_b128 v[87:90], v82 offset:1024
	v_cmp_eq_u32_e64 s23, 2, v81
	v_cmp_eq_u32_e64 s25, 3, v81
	v_cndmask_b32_e64 v105, v92, v96, s22
	v_cndmask_b32_e64 v66, v69, v66, s21
	;; [unrolled: 1-line block ×4, first 2 shown]
	ds_load_b128 v[91:94], v82 offset:1040
	v_cmp_eq_u32_e64 s26, 4, v81
	v_cndmask_b32_e64 v66, v66, v70, s23
	v_cmp_eq_u32_e64 s27, 7, v77
	v_cndmask_b32_e64 v70, v83, v84, s23
	v_cndmask_b32_e64 v84, v105, v72, s24
	v_cmp_eq_u32_e64 s28, 5, v81
	v_cndmask_b32_e64 v66, v66, v95, s25
	v_cmp_eq_u32_e64 s29, 6, v81
	v_cndmask_b32_e64 v70, v70, v98, s25
	v_cndmask_b32_e64 v69, v69, v99, s22
	;; [unrolled: 1-line block ×4, first 2 shown]
	s_waitcnt lgkmcnt(1)
	v_lshrrev_b32_e32 v95, 16, v87
	v_cndmask_b32_e64 v70, v70, v85, s26
	v_cndmask_b32_e64 v71, v84, v97, s27
	;; [unrolled: 1-line block ×4, first 2 shown]
	v_cndmask_b32_e32 v84, v87, v95, vcc_lo
	v_cndmask_b32_e64 v70, v70, v99, s28
	s_waitcnt lgkmcnt(0)
	v_lshrrev_b32_e32 v85, 16, v91
	v_lshrrev_b32_e32 v96, 16, v88
	v_cndmask_b32_e64 v98, v87, v95, s3
	v_cndmask_b32_e64 v84, v84, v88, s4
	;; [unrolled: 1-line block ×3, first 2 shown]
	v_cndmask_b32_e32 v99, v91, v85, vcc_lo
	v_cmp_eq_u32_e32 vcc_lo, 7, v81
	v_cndmask_b32_e64 v66, v66, v72, s29
	v_cndmask_b32_e64 v72, v84, v96, s7
	;; [unrolled: 1-line block ×3, first 2 shown]
	v_lshrrev_b32_e32 v98, 16, v92
	v_cndmask_b32_e32 v70, v70, v100, vcc_lo
	v_cndmask_b32_e64 v86, v99, v92, s4
	v_cndmask_b32_e64 v69, v69, v100, s27
	v_lshrrev_b32_e32 v100, 16, v93
	v_cndmask_b32_e64 v72, v72, v89, s9
	v_lshrrev_b32_e32 v99, 16, v89
	v_cndmask_b32_e64 v86, v86, v98, s7
	v_perm_b32 v71, v69, v71, 0x5040100
	v_cndmask_b32_e64 v84, v84, v96, s8
	s_delay_alu instid0(VALU_DEP_3) | instskip(NEXT) | instid1(VALU_DEP_2)
	v_cndmask_b32_e64 v86, v86, v93, s9
	v_cndmask_b32_e64 v84, v84, v89, s11
	s_delay_alu instid0(VALU_DEP_2) | instskip(NEXT) | instid1(VALU_DEP_1)
	v_cndmask_b32_e64 v86, v86, v100, s10
	v_cndmask_b32_e64 v69, v86, v94, s12
	;; [unrolled: 1-line block ×5, first 2 shown]
	s_delay_alu instid0(VALU_DEP_3) | instskip(NEXT) | instid1(VALU_DEP_3)
	v_cndmask_b32_e64 v86, v86, v88, s17
	v_cndmask_b32_e64 v87, v87, v88, s23
	s_delay_alu instid0(VALU_DEP_3) | instskip(NEXT) | instid1(VALU_DEP_3)
	v_cndmask_b32_e64 v88, v95, v92, s23
	v_cndmask_b32_e64 v86, v86, v96, s19
	s_delay_alu instid0(VALU_DEP_3) | instskip(NEXT) | instid1(VALU_DEP_3)
	v_cndmask_b32_e64 v87, v87, v96, s25
	v_cndmask_b32_e64 v88, v88, v98, s25
	s_delay_alu instid0(VALU_DEP_3) | instskip(NEXT) | instid1(VALU_DEP_3)
	v_cndmask_b32_e64 v86, v86, v89, s20
	v_cndmask_b32_e64 v87, v87, v89, s26
	s_delay_alu instid0(VALU_DEP_3) | instskip(NEXT) | instid1(VALU_DEP_3)
	v_cndmask_b32_e64 v88, v88, v93, s26
	v_cndmask_b32_e64 v86, v86, v99, s22
	s_delay_alu instid0(VALU_DEP_3) | instskip(NEXT) | instid1(VALU_DEP_3)
	v_cndmask_b32_e64 v87, v87, v99, s28
	v_cndmask_b32_e64 v88, v88, v100, s28
	s_delay_alu instid0(VALU_DEP_3) | instskip(NEXT) | instid1(VALU_DEP_3)
	v_cndmask_b32_e64 v86, v86, v90, s24
	v_cndmask_b32_e64 v87, v87, v90, s29
	s_delay_alu instid0(VALU_DEP_3) | instskip(SKIP_2) | instid1(VALU_DEP_2)
	v_cndmask_b32_e64 v88, v88, v94, s29
	v_cndmask_b32_e32 v66, v66, v97, vcc_lo
	v_cndmask_b32_e64 v97, v72, v99, s10
	v_perm_b32 v72, v70, v66, 0x5040100
	v_perm_b32 v70, v83, v103, 0x5040100
	v_cndmask_b32_e64 v103, v91, v85, s5
	v_cndmask_b32_e64 v85, v91, v85, s3
	;; [unrolled: 1-line block ×4, first 2 shown]
	v_lshrrev_b32_e32 v97, 16, v90
	v_cndmask_b32_e64 v91, v103, v92, s17
	v_cndmask_b32_e64 v85, v85, v92, s6
	;; [unrolled: 1-line block ×3, first 2 shown]
	s_mov_b32 s3, exec_lo
	v_cndmask_b32_e64 v83, v84, v97, s15
	v_cndmask_b32_e64 v91, v91, v98, s19
	;; [unrolled: 1-line block ×3, first 2 shown]
	v_lshrrev_b32_e32 v84, 16, v94
	v_cndmask_b32_e64 v66, v66, v97, s18
	v_cndmask_b32_e64 v90, v86, v97, s27
	;; [unrolled: 1-line block ×4, first 2 shown]
	v_dual_cndmask_b32 v86, v87, v97 :: v_dual_cndmask_b32 v87, v88, v84
	v_cndmask_b32_e64 v91, v69, v84, s15
	s_delay_alu instid0(VALU_DEP_4) | instskip(NEXT) | instid1(VALU_DEP_4)
	v_cndmask_b32_e64 v89, v89, v100, s22
	v_cndmask_b32_e64 v85, v85, v100, s13
	v_perm_b32 v69, v102, v101, 0x5040100
	v_perm_b32 v86, v87, v86, 0x5040100
	;; [unrolled: 1-line block ×3, first 2 shown]
	v_cndmask_b32_e64 v89, v89, v94, s24
	v_cndmask_b32_e64 v85, v85, v94, s16
	s_mul_i32 s8, s35, 14
	s_delay_alu instid0(VALU_DEP_2) | instskip(NEXT) | instid1(VALU_DEP_2)
	v_cndmask_b32_e64 v88, v89, v84, s27
	v_cndmask_b32_e64 v89, v85, v84, s18
	s_delay_alu instid0(VALU_DEP_2) | instskip(NEXT) | instid1(VALU_DEP_2)
	v_perm_b32 v85, v88, v90, 0x5040100
	v_perm_b32 v84, v89, v66, 0x5040100
	ds_store_b128 v76, v[69:72]
	ds_store_b128 v76, v[83:86] offset:1024
	v_cmpx_gt_u32_e32 14, v0
	s_cbranch_execz .LBB1459_78
; %bb.77:
	s_mul_i32 s4, s8, s30
	s_delay_alu instid0(SALU_CYCLE_1) | instskip(SKIP_1) | instid1(VALU_DEP_1)
	v_add3_u32 v69, s4, s31, v65
	s_load_b128 s[4:7], s[0:1], 0x58
	v_mad_u64_u32 v[65:66], null, v69, s34, s[14:15]
	s_delay_alu instid0(VALU_DEP_1) | instskip(NEXT) | instid1(VALU_DEP_1)
	v_ashrrev_i32_e32 v66, 31, v65
	v_lshlrev_b64 v[65:66], 2, v[65:66]
	s_waitcnt lgkmcnt(0)
	s_delay_alu instid0(VALU_DEP_1) | instskip(NEXT) | instid1(VALU_DEP_2)
	v_add_co_u32 v69, vcc_lo, s6, v65
	v_add_co_ci_u32_e32 v70, vcc_lo, s7, v66, vcc_lo
	v_add_co_u32 v65, vcc_lo, s4, v65
	v_add_co_ci_u32_e32 v66, vcc_lo, s5, v66, vcc_lo
	global_store_b32 v[69:70], v67, off
	global_store_b32 v[65:66], v68, off
.LBB1459_78:
	s_or_b32 exec_lo, exec_lo, s3
	s_waitcnt lgkmcnt(0)
	s_waitcnt_vscnt null, 0x0
	s_barrier
	buffer_gl0_inv
	ds_load_b128 v[83:86], v80
	ds_load_b128 v[87:90], v80 offset:16
	ds_load_b128 v[95:98], v80 offset:2064
	;; [unrolled: 1-line block ×3, first 2 shown]
	v_mov_b32_e32 v65, 0
	ds_load_b128 v[103:106], v80 offset:4112
	ds_load_b128 v[99:102], v80 offset:4096
	;; [unrolled: 1-line block ×4, first 2 shown]
	v_mov_b32_e32 v66, v65
	v_mov_b32_e32 v67, v65
	;; [unrolled: 1-line block ×7, first 2 shown]
	s_waitcnt lgkmcnt(6)
	s_delay_alu instid0(VALU_DEP_1)
	v_wmma_f32_16x16x16_bf16 v[65:72], v[57:64], v[83:90], v[65:72]
	ds_load_b128 v[61:64], v80 offset:8208
	ds_load_b128 v[57:60], v80 offset:8192
	s_waitcnt lgkmcnt(6)
	v_wmma_f32_16x16x16_bf16 v[65:72], v[41:48], v[91:98], v[65:72]
	ds_load_b128 v[45:48], v80 offset:10256
	ds_load_b128 v[41:44], v80 offset:10240
	s_waitcnt lgkmcnt(6)
	;; [unrolled: 4-line block ×4, first 2 shown]
	v_wmma_f32_16x16x16_bf16 v[65:72], v[1:8], v[57:64], v[65:72]
	s_waitcnt lgkmcnt(4)
	s_delay_alu instid0(VALU_DEP_1) | instskip(SKIP_1) | instid1(VALU_DEP_1)
	v_wmma_f32_16x16x16_bf16 v[65:72], v[9:16], v[41:48], v[65:72]
	s_waitcnt lgkmcnt(2)
	v_wmma_f32_16x16x16_bf16 v[65:72], v[17:24], v[33:40], v[65:72]
	s_waitcnt lgkmcnt(0)
	s_delay_alu instid0(VALU_DEP_1) | instskip(NEXT) | instid1(VALU_DEP_1)
	v_wmma_f32_16x16x16_bf16 v[65:72], v[49:56], v[25:32], v[65:72]
	v_and_b32_e32 v1, 0x7f800000, v65
	s_delay_alu instid0(VALU_DEP_1) | instskip(SKIP_1) | instid1(SALU_CYCLE_1)
	v_cmp_ne_u32_e32 vcc_lo, 0x7f800000, v1
                                        ; implicit-def: $vgpr1
	s_and_saveexec_b32 s3, vcc_lo
	s_xor_b32 s3, exec_lo, s3
; %bb.79:
	v_bfe_u32 v1, v65, 16, 1
	s_delay_alu instid0(VALU_DEP_1)
	v_add3_u32 v1, v65, v1, 0x7fff
; %bb.80:
	s_and_not1_saveexec_b32 s3, s3
; %bb.81:
	v_and_b32_e32 v1, 0xffff, v65
	v_or_b32_e32 v2, 0x10000, v65
	s_delay_alu instid0(VALU_DEP_2) | instskip(NEXT) | instid1(VALU_DEP_2)
	v_cmp_eq_u32_e32 vcc_lo, 0, v1
	v_cndmask_b32_e32 v1, v2, v65, vcc_lo
; %bb.82:
	s_or_b32 exec_lo, exec_lo, s3
	v_and_b32_e32 v2, 0x7f800000, v66
	s_delay_alu instid0(VALU_DEP_1) | instskip(SKIP_1) | instid1(SALU_CYCLE_1)
	v_cmp_ne_u32_e32 vcc_lo, 0x7f800000, v2
                                        ; implicit-def: $vgpr2
	s_and_saveexec_b32 s3, vcc_lo
	s_xor_b32 s3, exec_lo, s3
; %bb.83:
	v_bfe_u32 v2, v66, 16, 1
	s_delay_alu instid0(VALU_DEP_1)
	v_add3_u32 v2, v66, v2, 0x7fff
; %bb.84:
	s_and_not1_saveexec_b32 s3, s3
; %bb.85:
	v_and_b32_e32 v2, 0xffff, v66
	v_or_b32_e32 v3, 0x10000, v66
	s_delay_alu instid0(VALU_DEP_2) | instskip(NEXT) | instid1(VALU_DEP_2)
	v_cmp_eq_u32_e32 vcc_lo, 0, v2
	v_cndmask_b32_e32 v2, v3, v66, vcc_lo
; %bb.86:
	s_or_b32 exec_lo, exec_lo, s3
	v_and_b32_e32 v3, 0x7f800000, v67
	s_delay_alu instid0(VALU_DEP_1) | instskip(SKIP_1) | instid1(SALU_CYCLE_1)
	v_cmp_ne_u32_e32 vcc_lo, 0x7f800000, v3
                                        ; implicit-def: $vgpr3
	s_and_saveexec_b32 s3, vcc_lo
	s_xor_b32 s3, exec_lo, s3
; %bb.87:
	v_bfe_u32 v3, v67, 16, 1
	s_delay_alu instid0(VALU_DEP_1)
	v_add3_u32 v3, v67, v3, 0x7fff
; %bb.88:
	s_and_not1_saveexec_b32 s3, s3
; %bb.89:
	v_and_b32_e32 v3, 0xffff, v67
	v_or_b32_e32 v4, 0x10000, v67
	s_delay_alu instid0(VALU_DEP_2) | instskip(NEXT) | instid1(VALU_DEP_2)
	v_cmp_eq_u32_e32 vcc_lo, 0, v3
	v_cndmask_b32_e32 v3, v4, v67, vcc_lo
; %bb.90:
	s_or_b32 exec_lo, exec_lo, s3
	v_and_b32_e32 v4, 0x7f800000, v68
	s_delay_alu instid0(VALU_DEP_1) | instskip(SKIP_1) | instid1(SALU_CYCLE_1)
	v_cmp_ne_u32_e32 vcc_lo, 0x7f800000, v4
                                        ; implicit-def: $vgpr4
	s_and_saveexec_b32 s3, vcc_lo
	s_xor_b32 s3, exec_lo, s3
; %bb.91:
	v_bfe_u32 v4, v68, 16, 1
	s_delay_alu instid0(VALU_DEP_1)
	v_add3_u32 v4, v68, v4, 0x7fff
; %bb.92:
	s_and_not1_saveexec_b32 s3, s3
; %bb.93:
	v_and_b32_e32 v4, 0xffff, v68
	v_or_b32_e32 v5, 0x10000, v68
	s_delay_alu instid0(VALU_DEP_2) | instskip(NEXT) | instid1(VALU_DEP_2)
	v_cmp_eq_u32_e32 vcc_lo, 0, v4
	v_cndmask_b32_e32 v4, v5, v68, vcc_lo
; %bb.94:
	s_or_b32 exec_lo, exec_lo, s3
	v_and_b32_e32 v5, 0x7f800000, v69
	s_delay_alu instid0(VALU_DEP_1) | instskip(SKIP_1) | instid1(SALU_CYCLE_1)
	v_cmp_ne_u32_e32 vcc_lo, 0x7f800000, v5
                                        ; implicit-def: $vgpr5
	s_and_saveexec_b32 s3, vcc_lo
	s_xor_b32 s3, exec_lo, s3
; %bb.95:
	v_bfe_u32 v5, v69, 16, 1
	s_delay_alu instid0(VALU_DEP_1)
	v_add3_u32 v5, v69, v5, 0x7fff
; %bb.96:
	s_and_not1_saveexec_b32 s3, s3
; %bb.97:
	v_and_b32_e32 v5, 0xffff, v69
	v_or_b32_e32 v6, 0x10000, v69
	s_delay_alu instid0(VALU_DEP_2) | instskip(NEXT) | instid1(VALU_DEP_2)
	v_cmp_eq_u32_e32 vcc_lo, 0, v5
	v_cndmask_b32_e32 v5, v6, v69, vcc_lo
; %bb.98:
	s_or_b32 exec_lo, exec_lo, s3
	v_and_b32_e32 v6, 0x7f800000, v70
	s_delay_alu instid0(VALU_DEP_1) | instskip(SKIP_1) | instid1(SALU_CYCLE_1)
	v_cmp_ne_u32_e32 vcc_lo, 0x7f800000, v6
                                        ; implicit-def: $vgpr6
	s_and_saveexec_b32 s3, vcc_lo
	s_xor_b32 s3, exec_lo, s3
; %bb.99:
	v_bfe_u32 v6, v70, 16, 1
	s_delay_alu instid0(VALU_DEP_1)
	v_add3_u32 v6, v70, v6, 0x7fff
; %bb.100:
	s_and_not1_saveexec_b32 s3, s3
; %bb.101:
	v_and_b32_e32 v6, 0xffff, v70
	v_or_b32_e32 v7, 0x10000, v70
	s_delay_alu instid0(VALU_DEP_2) | instskip(NEXT) | instid1(VALU_DEP_2)
	v_cmp_eq_u32_e32 vcc_lo, 0, v6
	v_cndmask_b32_e32 v6, v7, v70, vcc_lo
; %bb.102:
	s_or_b32 exec_lo, exec_lo, s3
	v_and_b32_e32 v7, 0x7f800000, v71
	s_delay_alu instid0(VALU_DEP_1) | instskip(SKIP_1) | instid1(SALU_CYCLE_1)
	v_cmp_ne_u32_e32 vcc_lo, 0x7f800000, v7
                                        ; implicit-def: $vgpr7
	s_and_saveexec_b32 s3, vcc_lo
	s_xor_b32 s3, exec_lo, s3
; %bb.103:
	v_bfe_u32 v7, v71, 16, 1
	s_delay_alu instid0(VALU_DEP_1)
	v_add3_u32 v7, v71, v7, 0x7fff
; %bb.104:
	s_and_not1_saveexec_b32 s3, s3
; %bb.105:
	v_and_b32_e32 v7, 0xffff, v71
	v_or_b32_e32 v8, 0x10000, v71
	s_delay_alu instid0(VALU_DEP_2) | instskip(NEXT) | instid1(VALU_DEP_2)
	v_cmp_eq_u32_e32 vcc_lo, 0, v7
	v_cndmask_b32_e32 v7, v8, v71, vcc_lo
; %bb.106:
	s_or_b32 exec_lo, exec_lo, s3
	v_and_b32_e32 v8, 0x7f800000, v72
	s_delay_alu instid0(VALU_DEP_1) | instskip(SKIP_1) | instid1(SALU_CYCLE_1)
	v_cmp_ne_u32_e32 vcc_lo, 0x7f800000, v8
                                        ; implicit-def: $vgpr8
	s_and_saveexec_b32 s3, vcc_lo
	s_xor_b32 s3, exec_lo, s3
; %bb.107:
	v_bfe_u32 v8, v72, 16, 1
	s_delay_alu instid0(VALU_DEP_1)
	v_add3_u32 v8, v72, v8, 0x7fff
                                        ; implicit-def: $vgpr65_vgpr66_vgpr67_vgpr68_vgpr69_vgpr70_vgpr71_vgpr72
; %bb.108:
	s_and_not1_saveexec_b32 s3, s3
; %bb.109:
	v_and_b32_e32 v8, 0xffff, v72
	v_or_b32_e32 v9, 0x10000, v72
	s_delay_alu instid0(VALU_DEP_2) | instskip(NEXT) | instid1(VALU_DEP_2)
	v_cmp_eq_u32_e32 vcc_lo, 0, v8
	v_cndmask_b32_e32 v8, v9, v72, vcc_lo
; %bb.110:
	s_or_b32 exec_lo, exec_lo, s3
	s_delay_alu instid0(VALU_DEP_1)
	v_perm_b32 v7, v8, v7, 0x7060302
	v_perm_b32 v6, v6, v5, 0x7060302
	;; [unrolled: 1-line block ×4, first 2 shown]
	s_barrier
	buffer_gl0_inv
	v_cmp_eq_u32_e32 vcc_lo, 1, v78
	ds_store_b128 v76, v[4:7]
	s_waitcnt lgkmcnt(0)
	s_barrier
	buffer_gl0_inv
	ds_load_b128 v[1:4], v82
	ds_load_b128 v[5:8], v82 offset:16
	v_cmp_eq_u32_e64 s3, 1, v79
	v_cmp_eq_u32_e64 s4, 2, v78
	;; [unrolled: 1-line block ×5, first 2 shown]
	s_waitcnt lgkmcnt(1)
	v_lshrrev_b32_e32 v9, 16, v1
	s_waitcnt lgkmcnt(0)
	v_lshrrev_b32_e32 v13, 16, v5
	v_lshrrev_b32_e32 v10, 16, v2
	;; [unrolled: 1-line block ×4, first 2 shown]
	v_cndmask_b32_e64 v19, v1, v9, s3
	v_cndmask_b32_e32 v18, v5, v13, vcc_lo
	v_cndmask_b32_e64 v20, v5, v13, s3
	v_cndmask_b32_e32 v17, v1, v9, vcc_lo
	v_cmp_eq_u32_e32 vcc_lo, 2, v79
	v_lshrrev_b32_e32 v15, 16, v7
	v_cmp_eq_u32_e64 s3, 1, v77
	v_lshrrev_b32_e32 v12, 16, v4
	v_lshrrev_b32_e32 v16, 16, v8
	v_cndmask_b32_e32 v20, v20, v6, vcc_lo
	v_cndmask_b32_e64 v17, v17, v2, s4
	v_cndmask_b32_e32 v19, v19, v2, vcc_lo
	v_cndmask_b32_e64 v18, v18, v6, s4
	v_cmp_eq_u32_e32 vcc_lo, 4, v78
	v_cmp_eq_u32_e64 s4, 3, v79
	v_cndmask_b32_e64 v17, v17, v10, s5
	v_cndmask_b32_e64 v21, v1, v9, s3
	;; [unrolled: 1-line block ×5, first 2 shown]
	v_cndmask_b32_e32 v17, v17, v3, vcc_lo
	v_cndmask_b32_e64 v20, v20, v14, s4
	v_cndmask_b32_e32 v18, v18, v7, vcc_lo
	v_cmp_eq_u32_e32 vcc_lo, 4, v79
	v_cmp_eq_u32_e64 s4, 5, v79
	v_cmp_eq_u32_e64 s3, 2, v81
	v_cndmask_b32_e64 v21, v21, v2, s7
	v_cmp_eq_u32_e64 s5, 5, v78
	v_cndmask_b32_e32 v19, v19, v3, vcc_lo
	v_cndmask_b32_e32 v20, v20, v7, vcc_lo
	v_cmp_eq_u32_e32 vcc_lo, 6, v79
	s_delay_alu instid0(VALU_DEP_4) | instskip(NEXT) | instid1(VALU_DEP_4)
	v_cndmask_b32_e64 v17, v17, v11, s5
	v_cndmask_b32_e64 v19, v19, v11, s4
	s_delay_alu instid0(VALU_DEP_4) | instskip(SKIP_1) | instid1(VALU_DEP_3)
	v_cndmask_b32_e64 v20, v20, v15, s4
	v_cmp_eq_u32_e64 s4, 1, v81
	v_cndmask_b32_e32 v19, v19, v4, vcc_lo
	v_cndmask_b32_e64 v18, v18, v15, s5
	s_delay_alu instid0(VALU_DEP_3)
	v_cndmask_b32_e64 v1, v1, v9, s4
	v_cndmask_b32_e64 v5, v5, v13, s4
	v_cmp_eq_u32_e64 s4, 3, v77
	v_cndmask_b32_e64 v13, v22, v6, s7
	v_cmp_eq_u32_e64 s7, 3, v81
	v_cndmask_b32_e64 v1, v1, v2, s3
	v_cndmask_b32_e64 v2, v5, v6, s3
	;; [unrolled: 1-line block ×3, first 2 shown]
	v_cmp_eq_u32_e64 s3, 4, v77
	v_cndmask_b32_e64 v6, v13, v14, s4
	v_cndmask_b32_e64 v1, v1, v10, s7
	v_cmp_eq_u32_e64 s4, 4, v81
	v_cndmask_b32_e64 v2, v2, v14, s7
	v_cndmask_b32_e64 v5, v9, v3, s3
	;; [unrolled: 3-line block ×3, first 2 shown]
	v_cndmask_b32_e64 v2, v2, v7, s4
	v_cmp_eq_u32_e64 s3, 5, v81
	v_cmp_eq_u32_e64 s5, 6, v78
	v_cndmask_b32_e64 v5, v5, v11, s7
	v_cmp_eq_u32_e64 s4, 6, v77
	v_cndmask_b32_e64 v3, v6, v15, s7
	v_cndmask_b32_e64 v1, v1, v11, s3
	v_cmp_eq_u32_e64 s7, 6, v81
	v_cndmask_b32_e64 v2, v2, v15, s3
	v_cndmask_b32_e64 v17, v17, v4, s5
	v_cndmask_b32_e64 v18, v18, v8, s5
	v_cmp_eq_u32_e64 s5, 7, v78
	v_cndmask_b32_e64 v5, v5, v4, s4
	;; [unrolled: 4-line block ×3, first 2 shown]
	v_cmp_eq_u32_e64 s4, 7, v77
	v_cndmask_b32_e32 v4, v20, v8, vcc_lo
	v_cndmask_b32_e64 v17, v17, v12, s5
	v_cndmask_b32_e64 v19, v19, v12, s6
	;; [unrolled: 1-line block ×8, first 2 shown]
	v_cmp_gt_u32_e32 vcc_lo, 32, v0
	v_perm_b32 v4, v2, v1, 0x5040100
	v_perm_b32 v3, v3, v5, 0x5040100
	;; [unrolled: 1-line block ×4, first 2 shown]
	s_and_b32 s2, vcc_lo, s2
	ds_store_b128 v76, v[1:4]
	s_waitcnt lgkmcnt(0)
	s_barrier
	buffer_gl0_inv
	s_and_saveexec_b32 s3, s2
	s_cbranch_execz .LBB1459_2
; %bb.111:
	s_load_b64 s[0:1], s[0:1], 0x68
	v_lshlrev_b32_e32 v0, 10, v0
	s_lshl_b32 s4, s34, 6
	v_or_b32_e32 v3, s31, v74
	s_mul_i32 s2, s4, s30
	v_lshlrev_b32_e32 v1, 4, v75
	v_lshlrev_b32_e32 v2, 6, v74
	v_and_b32_e32 v0, 0x3800, v0
	s_mul_i32 s2, s2, s8
	v_mul_lo_u32 v8, v3, s4
	s_ashr_i32 s3, s2, 31
	s_delay_alu instid0(SALU_CYCLE_1)
	s_lshl_b64 s[2:3], s[2:3], 1
	v_or3_b32 v16, v0, v1, v2
	ds_load_b128 v[0:3], v16
	ds_load_b128 v[4:7], v16 offset:128
	v_ashrrev_i32_e32 v9, 31, v8
	s_waitcnt lgkmcnt(0)
	s_add_u32 s2, s0, s2
	s_addc_u32 s3, s1, s3
	s_lshl_b32 s0, s14, 6
	s_delay_alu instid0(SALU_CYCLE_1) | instskip(SKIP_2) | instid1(SALU_CYCLE_1)
	s_ashr_i32 s1, s0, 31
	v_lshlrev_b64 v[9:10], 1, v[8:9]
	s_lshl_b64 s[0:1], s[0:1], 1
	s_add_u32 s0, s2, s0
	s_addc_u32 s1, s3, s1
	s_lshl_b32 s2, s34, 7
	v_add_co_u32 v30, s0, s0, v73
	v_add_nc_u32_e32 v11, s2, v8
	v_add_co_ci_u32_e64 v31, null, s1, 0, s0
	s_delay_alu instid0(VALU_DEP_3) | instskip(NEXT) | instid1(VALU_DEP_3)
	v_add_co_u32 v9, vcc_lo, v30, v9
	v_add_nc_u32_e32 v8, s2, v11
	s_delay_alu instid0(VALU_DEP_3) | instskip(SKIP_1) | instid1(VALU_DEP_3)
	v_add_co_ci_u32_e32 v10, vcc_lo, v31, v10, vcc_lo
	v_ashrrev_i32_e32 v12, 31, v11
	v_add_nc_u32_e32 v13, s2, v8
	global_store_b128 v[9:10], v[0:3], off
	v_ashrrev_i32_e32 v9, 31, v8
	v_lshlrev_b64 v[11:12], 1, v[11:12]
	v_ashrrev_i32_e32 v14, 31, v13
	v_add_nc_u32_e32 v10, s2, v13
	s_delay_alu instid0(VALU_DEP_4) | instskip(NEXT) | instid1(VALU_DEP_4)
	v_lshlrev_b64 v[2:3], 1, v[8:9]
	v_add_co_u32 v0, vcc_lo, v30, v11
	s_delay_alu instid0(VALU_DEP_4)
	v_lshlrev_b64 v[8:9], 1, v[13:14]
	v_add_co_ci_u32_e32 v1, vcc_lo, v31, v12, vcc_lo
	v_ashrrev_i32_e32 v11, 31, v10
	v_add_co_u32 v22, vcc_lo, v30, v2
	v_add_nc_u32_e32 v20, s2, v10
	v_add_co_ci_u32_e32 v23, vcc_lo, v31, v3, vcc_lo
	v_add_co_u32 v24, vcc_lo, v30, v8
	global_store_b128 v[0:1], v[4:7], off
	v_add_co_ci_u32_e32 v25, vcc_lo, v31, v9, vcc_lo
	ds_load_b128 v[0:3], v16 offset:256
	ds_load_b128 v[4:7], v16 offset:384
	v_lshlrev_b64 v[26:27], 1, v[10:11]
	ds_load_b128 v[8:11], v16 offset:512
	ds_load_b128 v[12:15], v16 offset:640
	;; [unrolled: 1-line block ×3, first 2 shown]
	v_add_nc_u32_e32 v28, s2, v20
	v_ashrrev_i32_e32 v21, 31, v20
	v_add_co_u32 v26, vcc_lo, v30, v26
	s_delay_alu instid0(VALU_DEP_3) | instskip(NEXT) | instid1(VALU_DEP_3)
	v_ashrrev_i32_e32 v29, 31, v28
	v_lshlrev_b64 v[20:21], 1, v[20:21]
	v_add_co_ci_u32_e32 v27, vcc_lo, v31, v27, vcc_lo
	s_delay_alu instid0(VALU_DEP_3) | instskip(NEXT) | instid1(VALU_DEP_3)
	v_lshlrev_b64 v[28:29], 1, v[28:29]
	v_add_co_u32 v20, vcc_lo, v30, v20
	s_delay_alu instid0(VALU_DEP_4) | instskip(NEXT) | instid1(VALU_DEP_3)
	v_add_co_ci_u32_e32 v21, vcc_lo, v31, v21, vcc_lo
	v_add_co_u32 v28, vcc_lo, v30, v28
	s_delay_alu instid0(VALU_DEP_4)
	v_add_co_ci_u32_e32 v29, vcc_lo, v31, v29, vcc_lo
	s_waitcnt lgkmcnt(4)
	global_store_b128 v[22:23], v[0:3], off
	s_waitcnt lgkmcnt(3)
	global_store_b128 v[24:25], v[4:7], off
	;; [unrolled: 2-line block ×5, first 2 shown]
	s_nop 0
	s_sendmsg sendmsg(MSG_DEALLOC_VGPRS)
	s_endpgm
	.section	.rodata,"a",@progbits
	.p2align	6, 0x0
	.amdhsa_kernel _Z39paged_attention_ll4mi_QKV_mfma16_kernelI14__hip_bfloat16hLN4vllm18Fp8KVCacheDataTypeE1EhLi32ELi64ELi256ELb0ELi14EL8MFMAType1EEvPKT_PKT0_S9_ifPKiSB_SB_iPKfiiiPfSE_PS4_PT2_iSD_SD_
		.amdhsa_group_segment_fixed_size 17472
		.amdhsa_private_segment_fixed_size 0
		.amdhsa_kernarg_size 400
		.amdhsa_user_sgpr_count 13
		.amdhsa_user_sgpr_dispatch_ptr 0
		.amdhsa_user_sgpr_queue_ptr 0
		.amdhsa_user_sgpr_kernarg_segment_ptr 1
		.amdhsa_user_sgpr_dispatch_id 0
		.amdhsa_user_sgpr_private_segment_size 0
		.amdhsa_wavefront_size32 1
		.amdhsa_uses_dynamic_stack 0
		.amdhsa_enable_private_segment 0
		.amdhsa_system_sgpr_workgroup_id_x 1
		.amdhsa_system_sgpr_workgroup_id_y 1
		.amdhsa_system_sgpr_workgroup_id_z 1
		.amdhsa_system_sgpr_workgroup_info 0
		.amdhsa_system_vgpr_workitem_id 0
		.amdhsa_next_free_vgpr 124
		.amdhsa_next_free_sgpr 40
		.amdhsa_reserve_vcc 1
		.amdhsa_float_round_mode_32 0
		.amdhsa_float_round_mode_16_64 0
		.amdhsa_float_denorm_mode_32 3
		.amdhsa_float_denorm_mode_16_64 3
		.amdhsa_dx10_clamp 1
		.amdhsa_ieee_mode 1
		.amdhsa_fp16_overflow 0
		.amdhsa_workgroup_processor_mode 1
		.amdhsa_memory_ordered 1
		.amdhsa_forward_progress 0
		.amdhsa_shared_vgpr_count 0
		.amdhsa_exception_fp_ieee_invalid_op 0
		.amdhsa_exception_fp_denorm_src 0
		.amdhsa_exception_fp_ieee_div_zero 0
		.amdhsa_exception_fp_ieee_overflow 0
		.amdhsa_exception_fp_ieee_underflow 0
		.amdhsa_exception_fp_ieee_inexact 0
		.amdhsa_exception_int_div_zero 0
	.end_amdhsa_kernel
	.section	.text._Z39paged_attention_ll4mi_QKV_mfma16_kernelI14__hip_bfloat16hLN4vllm18Fp8KVCacheDataTypeE1EhLi32ELi64ELi256ELb0ELi14EL8MFMAType1EEvPKT_PKT0_S9_ifPKiSB_SB_iPKfiiiPfSE_PS4_PT2_iSD_SD_,"axG",@progbits,_Z39paged_attention_ll4mi_QKV_mfma16_kernelI14__hip_bfloat16hLN4vllm18Fp8KVCacheDataTypeE1EhLi32ELi64ELi256ELb0ELi14EL8MFMAType1EEvPKT_PKT0_S9_ifPKiSB_SB_iPKfiiiPfSE_PS4_PT2_iSD_SD_,comdat
.Lfunc_end1459:
	.size	_Z39paged_attention_ll4mi_QKV_mfma16_kernelI14__hip_bfloat16hLN4vllm18Fp8KVCacheDataTypeE1EhLi32ELi64ELi256ELb0ELi14EL8MFMAType1EEvPKT_PKT0_S9_ifPKiSB_SB_iPKfiiiPfSE_PS4_PT2_iSD_SD_, .Lfunc_end1459-_Z39paged_attention_ll4mi_QKV_mfma16_kernelI14__hip_bfloat16hLN4vllm18Fp8KVCacheDataTypeE1EhLi32ELi64ELi256ELb0ELi14EL8MFMAType1EEvPKT_PKT0_S9_ifPKiSB_SB_iPKfiiiPfSE_PS4_PT2_iSD_SD_
                                        ; -- End function
	.section	.AMDGPU.csdata,"",@progbits
; Kernel info:
; codeLenInByte = 8924
; NumSgprs: 42
; NumVgprs: 124
; ScratchSize: 0
; MemoryBound: 0
; FloatMode: 240
; IeeeMode: 1
; LDSByteSize: 17472 bytes/workgroup (compile time only)
; SGPRBlocks: 5
; VGPRBlocks: 15
; NumSGPRsForWavesPerEU: 42
; NumVGPRsForWavesPerEU: 124
; Occupancy: 10
; WaveLimiterHint : 1
; COMPUTE_PGM_RSRC2:SCRATCH_EN: 0
; COMPUTE_PGM_RSRC2:USER_SGPR: 13
; COMPUTE_PGM_RSRC2:TRAP_HANDLER: 0
; COMPUTE_PGM_RSRC2:TGID_X_EN: 1
; COMPUTE_PGM_RSRC2:TGID_Y_EN: 1
; COMPUTE_PGM_RSRC2:TGID_Z_EN: 1
; COMPUTE_PGM_RSRC2:TIDIG_COMP_CNT: 0
	.section	.text._Z39paged_attention_ll4mi_QKV_mfma16_kernelI14__hip_bfloat16hLN4vllm18Fp8KVCacheDataTypeE1EhLi32ELi64ELi256ELb0ELi15EL8MFMAType1EEvPKT_PKT0_S9_ifPKiSB_SB_iPKfiiiPfSE_PS4_PT2_iSD_SD_,"axG",@progbits,_Z39paged_attention_ll4mi_QKV_mfma16_kernelI14__hip_bfloat16hLN4vllm18Fp8KVCacheDataTypeE1EhLi32ELi64ELi256ELb0ELi15EL8MFMAType1EEvPKT_PKT0_S9_ifPKiSB_SB_iPKfiiiPfSE_PS4_PT2_iSD_SD_,comdat
	.protected	_Z39paged_attention_ll4mi_QKV_mfma16_kernelI14__hip_bfloat16hLN4vllm18Fp8KVCacheDataTypeE1EhLi32ELi64ELi256ELb0ELi15EL8MFMAType1EEvPKT_PKT0_S9_ifPKiSB_SB_iPKfiiiPfSE_PS4_PT2_iSD_SD_ ; -- Begin function _Z39paged_attention_ll4mi_QKV_mfma16_kernelI14__hip_bfloat16hLN4vllm18Fp8KVCacheDataTypeE1EhLi32ELi64ELi256ELb0ELi15EL8MFMAType1EEvPKT_PKT0_S9_ifPKiSB_SB_iPKfiiiPfSE_PS4_PT2_iSD_SD_
	.globl	_Z39paged_attention_ll4mi_QKV_mfma16_kernelI14__hip_bfloat16hLN4vllm18Fp8KVCacheDataTypeE1EhLi32ELi64ELi256ELb0ELi15EL8MFMAType1EEvPKT_PKT0_S9_ifPKiSB_SB_iPKfiiiPfSE_PS4_PT2_iSD_SD_
	.p2align	8
	.type	_Z39paged_attention_ll4mi_QKV_mfma16_kernelI14__hip_bfloat16hLN4vllm18Fp8KVCacheDataTypeE1EhLi32ELi64ELi256ELb0ELi15EL8MFMAType1EEvPKT_PKT0_S9_ifPKiSB_SB_iPKfiiiPfSE_PS4_PT2_iSD_SD_,@function
_Z39paged_attention_ll4mi_QKV_mfma16_kernelI14__hip_bfloat16hLN4vllm18Fp8KVCacheDataTypeE1EhLi32ELi64ELi256ELb0ELi15EL8MFMAType1EEvPKT_PKT0_S9_ifPKiSB_SB_iPKfiiiPfSE_PS4_PT2_iSD_SD_: ; @_Z39paged_attention_ll4mi_QKV_mfma16_kernelI14__hip_bfloat16hLN4vllm18Fp8KVCacheDataTypeE1EhLi32ELi64ELi256ELb0ELi15EL8MFMAType1EEvPKT_PKT0_S9_ifPKiSB_SB_iPKfiiiPfSE_PS4_PT2_iSD_SD_
; %bb.0:
	s_load_b64 s[2:3], s[0:1], 0x30
	s_mov_b32 s34, s13
	s_waitcnt lgkmcnt(0)
	s_cmp_lg_u64 s[2:3], 0
	s_cselect_b32 s8, -1, 0
	s_ashr_i32 s35, s13, 31
	s_cmp_eq_u64 s[2:3], 0
	s_cbranch_scc1 .LBB1460_3
; %bb.1:
	s_lshl_b64 s[4:5], s[34:35], 2
	s_delay_alu instid0(SALU_CYCLE_1) | instskip(SKIP_4) | instid1(SALU_CYCLE_1)
	s_add_u32 s4, s2, s4
	s_addc_u32 s5, s3, s5
	s_load_b64 s[4:5], s[4:5], 0x0
	s_waitcnt lgkmcnt(0)
	s_sub_i32 s4, s5, s4
	s_cmp_eq_u32 s4, 1
	s_cselect_b32 s4, -1, 0
	s_delay_alu instid0(SALU_CYCLE_1)
	s_and_not1_b32 vcc_lo, exec_lo, s4
	s_cbranch_vccz .LBB1460_4
.LBB1460_2:
	s_nop 0
	s_sendmsg sendmsg(MSG_DEALLOC_VGPRS)
	s_endpgm
.LBB1460_3:
.LBB1460_4:
	s_load_b64 s[4:5], s[0:1], 0x28
	s_lshl_b64 s[6:7], s[34:35], 2
	s_waitcnt lgkmcnt(0)
	s_add_u32 s4, s4, s6
	s_addc_u32 s5, s5, s7
	s_lshl_b32 s12, s14, 8
	s_load_b32 s24, s[4:5], 0x0
	s_waitcnt lgkmcnt(0)
	s_cmp_ge_i32 s12, s24
	s_cbranch_scc1 .LBB1460_2
; %bb.5:
	s_clause 0x1
	s_load_b128 s[20:23], s[0:1], 0x8
	s_load_b64 s[4:5], s[0:1], 0x20
	s_and_not1_b32 vcc_lo, exec_lo, s8
	s_cbranch_vccnz .LBB1460_7
; %bb.6:
	s_add_u32 s2, s2, s6
	s_addc_u32 s3, s3, s7
	s_load_b32 s3, s[2:3], 0x0
	s_branch .LBB1460_8
.LBB1460_7:
	s_mov_b32 s3, s34
.LBB1460_8:
	s_load_b128 s[16:19], s[0:1], 0x48
	v_lshrrev_b32_e32 v66, 5, v0
	v_bfe_u32 v74, v0, 4, 1
	v_and_b32_e32 v65, 15, v0
	v_and_b32_e32 v67, 31, v0
	;; [unrolled: 1-line block ×3, first 2 shown]
	s_mul_i32 s31, s15, 15
	v_lshl_or_b32 v1, v66, 1, v74
	v_lshlrev_b32_e32 v2, 3, v65
	v_cmp_gt_u32_e64 s2, 8, v65
	s_delay_alu instid0(VALU_DEP_3) | instskip(NEXT) | instid1(VALU_DEP_3)
	v_cmp_gt_u32_e32 vcc_lo, 15, v1
	v_lshlrev_b32_e32 v73, 1, v2
	s_delay_alu instid0(VALU_DEP_3) | instskip(NEXT) | instid1(SALU_CYCLE_1)
	s_and_b32 s7, s2, vcc_lo
	s_and_saveexec_b32 s6, s7
	s_cbranch_execz .LBB1460_10
; %bb.9:
	s_load_b64 s[8:9], s[0:1], 0x0
	v_add_lshl_u32 v2, v1, s31, 6
	s_waitcnt lgkmcnt(0)
	s_mul_hi_i32 s11, s3, s16
	s_mul_i32 s10, s3, s16
	v_lshlrev_b32_e32 v6, 10, v65
	s_lshl_b64 s[10:11], s[10:11], 1
	v_ashrrev_i32_e32 v3, 31, v2
	v_lshlrev_b32_e32 v1, 6, v1
	v_lshlrev_b32_e32 v7, 10, v75
	v_and_b32_e32 v6, 0x3800, v6
	s_delay_alu instid0(VALU_DEP_4) | instskip(NEXT) | instid1(VALU_DEP_2)
	v_lshlrev_b64 v[2:3], 1, v[2:3]
	v_or3_b32 v1, v6, v7, v1
	s_add_u32 s3, s8, s10
	s_addc_u32 s7, s9, s11
	s_delay_alu instid0(VALU_DEP_2) | instskip(NEXT) | instid1(VALU_DEP_3)
	v_add_co_u32 v2, vcc_lo, s3, v2
	v_add_co_ci_u32_e32 v3, vcc_lo, s7, v3, vcc_lo
	s_delay_alu instid0(VALU_DEP_2) | instskip(NEXT) | instid1(VALU_DEP_2)
	v_add_co_u32 v2, vcc_lo, v2, v73
	v_add_co_ci_u32_e32 v3, vcc_lo, 0, v3, vcc_lo
	global_load_b128 v[2:5], v[2:3], off
	s_waitcnt vmcnt(0)
	ds_store_b128 v1, v[2:5]
.LBB1460_10:
	s_or_b32 exec_lo, exec_lo, s6
	v_and_b32_e32 v1, 0xef, v0
	s_waitcnt lgkmcnt(0)
	s_add_i32 s3, s24, 31
	s_clause 0x1
	s_load_b32 s6, s[0:1], 0x38
	s_load_b32 s19, s[0:1], 0x1c
	s_ashr_i32 s7, s3, 31
	v_add_nc_u32_e32 v1, s12, v1
	s_lshr_b32 s7, s7, 27
	s_waitcnt lgkmcnt(0)
	s_add_i32 s3, s3, s7
	s_barrier
	v_ashrrev_i32_e32 v2, 31, v1
	v_or_b32_e32 v3, 16, v1
	s_ashr_i32 s3, s3, 5
	v_cmp_gt_i32_e32 vcc_lo, s24, v1
	s_add_i32 s3, s3, -1
	v_lshrrev_b32_e32 v2, 27, v2
	buffer_gl0_inv
	s_mul_i32 s27, s15, s18
	v_add_nc_u32_e32 v4, v1, v2
	s_mul_i32 s6, s34, s6
	s_delay_alu instid0(SALU_CYCLE_1) | instskip(NEXT) | instid1(VALU_DEP_1)
	s_ashr_i32 s7, s6, 31
	v_ashrrev_i32_e32 v4, 5, v4
	v_add_nc_u32_e32 v2, v3, v2
	s_lshl_b64 s[6:7], s[6:7], 2
	s_delay_alu instid0(SALU_CYCLE_1) | instskip(NEXT) | instid1(VALU_DEP_2)
	s_add_u32 s26, s4, s6
	v_cndmask_b32_e32 v1, s3, v4, vcc_lo
	s_delay_alu instid0(VALU_DEP_2)
	v_ashrrev_i32_e32 v2, 5, v2
	v_cmp_gt_i32_e32 vcc_lo, s24, v3
	s_addc_u32 s25, s5, s7
	s_ashr_i32 s28, s27, 31
	s_add_u32 s4, s20, s27
	s_addc_u32 s5, s21, s28
	v_cndmask_b32_e32 v3, s3, v2, vcc_lo
	v_ashrrev_i32_e32 v2, 31, v1
	s_lshl_b32 s6, s14, 3
	s_delay_alu instid0(SALU_CYCLE_1) | instskip(NEXT) | instid1(VALU_DEP_2)
	s_ashr_i32 s7, s6, 31
	v_ashrrev_i32_e32 v4, 31, v3
	s_delay_alu instid0(VALU_DEP_2) | instskip(SKIP_1) | instid1(SALU_CYCLE_1)
	v_lshlrev_b64 v[1:2], 2, v[1:2]
	s_lshl_b64 s[6:7], s[6:7], 2
	s_add_u32 s6, s26, s6
	s_delay_alu instid0(VALU_DEP_2) | instskip(SKIP_1) | instid1(VALU_DEP_2)
	v_lshlrev_b64 v[3:4], 2, v[3:4]
	s_addc_u32 s7, s25, s7
	v_add_co_u32 v1, vcc_lo, s26, v1
	v_add_co_ci_u32_e32 v2, vcc_lo, s25, v2, vcc_lo
	s_delay_alu instid0(VALU_DEP_3) | instskip(NEXT) | instid1(VALU_DEP_4)
	v_add_co_u32 v3, vcc_lo, s26, v3
	v_add_co_ci_u32_e32 v4, vcc_lo, s25, v4, vcc_lo
	s_clause 0x1
	global_load_b32 v5, v[1:2], off
	global_load_b32 v6, v[3:4], off
	s_or_b32 s8, s12, 32
	s_delay_alu instid0(SALU_CYCLE_1) | instskip(SKIP_2) | instid1(SALU_CYCLE_1)
	s_ashr_i32 s9, s8, 5
	s_cmp_lt_i32 s8, s24
	s_cselect_b32 s8, s9, s3
	s_ashr_i32 s9, s8, 31
	s_delay_alu instid0(SALU_CYCLE_1) | instskip(NEXT) | instid1(SALU_CYCLE_1)
	s_lshl_b64 s[8:9], s[8:9], 2
	s_add_u32 s8, s26, s8
	s_addc_u32 s9, s25, s9
	s_or_b32 s10, s12, 64
	s_delay_alu instid0(SALU_CYCLE_1) | instskip(SKIP_2) | instid1(SALU_CYCLE_1)
	s_ashr_i32 s11, s10, 5
	s_cmp_lt_i32 s10, s24
	s_cselect_b32 s10, s11, s3
	s_ashr_i32 s11, s10, 31
	s_delay_alu instid0(SALU_CYCLE_1) | instskip(NEXT) | instid1(SALU_CYCLE_1)
	s_lshl_b64 s[10:11], s[10:11], 2
	s_add_u32 s10, s26, s10
	s_addc_u32 s11, s25, s11
	;; [unrolled: 10-line block ×5, first 2 shown]
	s_clause 0x5
	s_load_b32 s21, s[6:7], 0x0
	s_load_b32 s13, s[8:9], 0x0
	;; [unrolled: 1-line block ×6, first 2 shown]
	s_or_b32 s7, s12, 0xc0
	s_delay_alu instid0(SALU_CYCLE_1) | instskip(SKIP_2) | instid1(SALU_CYCLE_1)
	s_ashr_i32 s8, s7, 5
	s_cmp_lt_i32 s7, s24
	s_cselect_b32 s10, s8, s3
	s_ashr_i32 s11, s10, 31
	s_delay_alu instid0(SALU_CYCLE_1) | instskip(NEXT) | instid1(SALU_CYCLE_1)
	s_lshl_b64 s[36:37], s[10:11], 2
	s_add_u32 s36, s26, s36
	s_addc_u32 s37, s25, s37
	s_or_b32 s29, s12, 0xe0
	s_delay_alu instid0(SALU_CYCLE_1)
	s_ashr_i32 s30, s29, 5
	s_cmp_lt_i32 s29, s24
	s_waitcnt vmcnt(1)
	v_mad_i64_i32 v[1:2], null, v5, s17, s[4:5]
	s_waitcnt vmcnt(0)
	v_mad_i64_i32 v[3:4], null, v6, s17, s[4:5]
	s_mov_b32 s4, 0
	s_delay_alu instid0(SALU_CYCLE_1)
	s_mov_b32 s5, s4
	s_mov_b32 s6, s4
	;; [unrolled: 1-line block ×7, first 2 shown]
	v_lshlrev_b32_e32 v5, 4, v65
	v_dual_mov_b32 v107, s11 :: v_dual_mov_b32 v100, s4
	v_mov_b32_e32 v102, s6
	v_mov_b32_e32 v106, s10
	s_delay_alu instid0(VALU_DEP_4)
	v_add_co_u32 v1, vcc_lo, v1, v5
	v_add_co_ci_u32_e32 v2, vcc_lo, 0, v2, vcc_lo
	v_add_co_u32 v3, vcc_lo, v3, v5
	v_add_co_ci_u32_e32 v4, vcc_lo, 0, v4, vcc_lo
	s_clause 0x7
	global_load_b128 v[49:52], v[1:2], off
	global_load_b128 v[53:56], v[1:2], off offset:512
	global_load_b128 v[76:79], v[3:4], off offset:256
	global_load_b128 v[80:83], v[3:4], off offset:768
	global_load_b128 v[84:87], v[1:2], off offset:1024
	global_load_b128 v[88:91], v[1:2], off offset:1536
	global_load_b128 v[92:95], v[3:4], off offset:1280
	global_load_b128 v[96:99], v[3:4], off offset:1792
	v_cmp_ne_u32_e32 vcc_lo, 15, v65
	v_dual_mov_b32 v104, s8 :: v_dual_mov_b32 v103, s7
	v_dual_mov_b32 v101, s5 :: v_dual_lshlrev_b32 v2, 5, v65
	v_cndmask_b32_e32 v1, 0, v65, vcc_lo
	v_mov_b32_e32 v105, s9
	s_cselect_b32 s4, s30, s3
	s_load_b32 s3, s[36:37], 0x0
	s_ashr_i32 s5, s4, 31
	v_lshlrev_b32_e32 v70, 6, v1
	s_lshl_b64 s[4:5], s[4:5], 2
	v_lshl_or_b32 v1, v66, 9, v2
	s_add_u32 s4, s26, s4
	s_addc_u32 s5, s25, s5
	ds_load_b128 v[108:111], v70
	ds_load_b128 v[112:115], v70 offset:1024
	s_load_b32 s4, s[4:5], 0x0
	s_add_u32 s6, s22, s27
	s_addc_u32 s7, s23, s28
	v_add_co_u32 v9, s6, s6, v1
	s_delay_alu instid0(VALU_DEP_1) | instskip(SKIP_1) | instid1(VALU_DEP_1)
	v_add_co_ci_u32_e64 v10, null, s7, 0, s6
	s_waitcnt lgkmcnt(0)
	v_mad_i64_i32 v[1:2], null, s21, s17, v[9:10]
	v_mad_i64_i32 v[3:4], null, s13, s17, v[9:10]
	v_mad_i64_i32 v[5:6], null, s15, s17, v[9:10]
	v_mad_i64_i32 v[7:8], null, s16, s17, v[9:10]
	v_mad_i64_i32 v[13:14], null, s20, s17, v[9:10]
	v_mad_i64_i32 v[11:12], null, s18, s17, v[9:10]
	v_mad_i64_i32 v[21:22], null, s3, s17, v[9:10]
	s_clause 0x9
	global_load_b128 v[57:60], v[1:2], off
	global_load_b128 v[61:64], v[1:2], off offset:16
	global_load_b128 v[41:44], v[3:4], off
	global_load_b128 v[45:48], v[3:4], off offset:16
	global_load_b128 v[33:36], v[5:6], off
	global_load_b128 v[37:40], v[5:6], off offset:16
	global_load_b128 v[25:28], v[7:8], off
	global_load_b128 v[29:32], v[7:8], off offset:16
	global_load_b128 v[1:4], v[11:12], off
	global_load_b128 v[5:8], v[11:12], off offset:16
	v_mad_i64_i32 v[68:69], null, s4, s17, v[9:10]
	s_clause 0x3
	global_load_b128 v[9:12], v[13:14], off
	global_load_b128 v[13:16], v[13:14], off offset:16
	global_load_b128 v[17:20], v[21:22], off
	global_load_b128 v[21:24], v[21:22], off offset:16
	s_waitcnt vmcnt(20)
	v_wmma_f32_16x16x16_bf16 v[116:123], v[49:56], v[108:115], v[100:107]
	s_clause 0x1
	global_load_b128 v[49:52], v[68:69], off
	global_load_b128 v[53:56], v[68:69], off offset:16
	v_and_b32_e32 v68, 0xe0, v0
	v_mbcnt_lo_u32_b32 v69, -1, 0
	s_delay_alu instid0(VALU_DEP_2)
	v_add_nc_u32_e32 v68, s12, v68
	s_waitcnt vmcnt(20)
	v_wmma_f32_16x16x16_bf16 v[100:107], v[76:83], v[108:115], v[100:107]
	ds_load_b128 v[76:79], v70 offset:2048
	ds_load_b128 v[80:83], v70 offset:3072
	v_xor_b32_e32 v70, 16, v69
	s_waitcnt vmcnt(0) lgkmcnt(0)
	v_or_b32_e32 v68, v68, v74
	s_barrier
	buffer_gl0_inv
	v_cmp_gt_i32_e32 vcc_lo, 32, v70
	v_or_b32_e32 v71, 4, v68
	v_or_b32_e32 v72, 6, v68
	v_cmp_gt_i32_e64 s3, s24, v68
	v_or_b32_e32 v108, 8, v68
	v_or_b32_e32 v109, 10, v68
	v_cmp_gt_i32_e64 s4, s24, v71
	v_cmp_gt_i32_e64 s5, s24, v72
	s_delay_alu instid0(VALU_DEP_4) | instskip(NEXT) | instid1(VALU_DEP_4)
	v_cmp_gt_i32_e64 s6, s24, v108
	v_cmp_gt_i32_e64 s7, s24, v109
	v_wmma_f32_16x16x16_bf16 v[116:123], v[84:91], v[76:83], v[116:123]
	v_cndmask_b32_e32 v69, v69, v70, vcc_lo
	v_or_b32_e32 v70, 2, v68
	v_wmma_f32_16x16x16_bf16 v[100:107], v[92:99], v[76:83], v[100:107]
	v_or_b32_e32 v84, 12, v68
	v_dual_mul_f32 v78, s19, v123 :: v_dual_mul_f32 v83, s19, v118
	v_dual_mul_f32 v92, s19, v117 :: v_dual_mul_f32 v93, s19, v116
	s_delay_alu instid0(VALU_DEP_4) | instskip(SKIP_2) | instid1(VALU_DEP_4)
	v_mul_f32_e32 v94, s19, v107
	v_cmp_gt_i32_e32 vcc_lo, s24, v70
	v_dual_mul_f32 v81, s19, v120 :: v_dual_mul_f32 v82, s19, v119
	v_cndmask_b32_e64 v93, 0xff7fffff, v93, s3
	v_or_b32_e32 v85, 14, v68
	v_cndmask_b32_e32 v92, 0xff7fffff, v92, vcc_lo
	v_dual_mul_f32 v79, s19, v122 :: v_dual_mul_f32 v80, s19, v121
	v_cndmask_b32_e64 v71, 0xff7fffff, v83, s4
	v_cndmask_b32_e64 v72, 0xff7fffff, v82, s5
	s_delay_alu instid0(VALU_DEP_4)
	v_max3_f32 v82, v93, 0xff7fffff, v92
	v_or_b32_e32 v86, 16, v68
	v_or_b32_e32 v87, 18, v68
	v_cndmask_b32_e64 v81, 0xff7fffff, v81, s6
	v_cndmask_b32_e64 v80, 0xff7fffff, v80, s7
	v_max3_f32 v71, v82, v71, v72
	v_cmp_gt_i32_e64 s8, s24, v84
	v_cmp_gt_i32_e64 s9, s24, v85
	v_or_b32_e32 v88, 20, v68
	v_or_b32_e32 v89, 22, v68
	;; [unrolled: 1-line block ×6, first 2 shown]
	v_dual_mul_f32 v99, s19, v102 :: v_dual_mul_f32 v70, s19, v101
	v_mul_f32_e32 v68, s19, v100
	v_cndmask_b32_e64 v72, 0xff7fffff, v79, s8
	v_cndmask_b32_e64 v78, 0xff7fffff, v78, s9
	v_max3_f32 v71, v71, v81, v80
	v_cmp_gt_i32_e64 s10, s24, v86
	v_cmp_gt_i32_e64 s11, s24, v87
	v_dual_mul_f32 v97, s19, v104 :: v_dual_mul_f32 v98, s19, v103
	s_delay_alu instid0(VALU_DEP_4) | instskip(SKIP_1) | instid1(VALU_DEP_4)
	v_max3_f32 v71, v71, v72, v78
	v_cmp_gt_i32_e64 s12, s24, v88
	v_cndmask_b32_e64 v70, 0xff7fffff, v70, s11
	v_cmp_gt_i32_e64 s13, s24, v89
	v_lshlrev_b32_e32 v89, 2, v69
	v_cndmask_b32_e64 v68, 0xff7fffff, v68, s10
	v_dual_mul_f32 v95, s19, v106 :: v_dual_mul_f32 v96, s19, v105
	v_cndmask_b32_e64 v72, 0xff7fffff, v99, s12
	v_cndmask_b32_e64 v78, 0xff7fffff, v98, s13
	s_delay_alu instid0(VALU_DEP_4)
	v_max3_f32 v68, v71, v68, v70
	v_cmp_gt_i32_e64 s15, s24, v90
	v_cmp_gt_i32_e64 s16, s24, v91
	;; [unrolled: 1-line block ×4, first 2 shown]
	v_max3_f32 v68, v68, v72, v78
	v_cndmask_b32_e64 v70, 0xff7fffff, v97, s15
	v_cndmask_b32_e64 v71, 0xff7fffff, v96, s16
	;; [unrolled: 1-line block ×4, first 2 shown]
	s_delay_alu instid0(VALU_DEP_3) | instskip(NEXT) | instid1(VALU_DEP_1)
	v_max3_f32 v68, v68, v70, v71
	v_max3_f32 v68, v68, v72, v76
	ds_bpermute_b32 v69, v89, v68
	s_waitcnt lgkmcnt(0)
	v_max_f32_e32 v69, v69, v69
	s_delay_alu instid0(VALU_DEP_1) | instskip(NEXT) | instid1(VALU_DEP_1)
	v_max_f32_e32 v68, v68, v69
	v_fma_f32 v71, s19, v118, -v68
	s_delay_alu instid0(VALU_DEP_1)
	v_mul_f32_e32 v71, 0x3fb8aa3b, v71
	v_fma_f32 v69, s19, v116, -v68
	v_fma_f32 v70, s19, v117, -v68
	;; [unrolled: 1-line block ×4, first 2 shown]
	v_exp_f32_e32 v71, v71
	s_delay_alu instid0(VALU_DEP_3) | instskip(SKIP_2) | instid1(VALU_DEP_3)
	v_dual_mul_f32 v69, 0x3fb8aa3b, v69 :: v_dual_mul_f32 v70, 0x3fb8aa3b, v70
	v_fma_f32 v78, s19, v122, -v68
	v_fma_f32 v81, s19, v105, -v68
	v_exp_f32_e32 v69, v69
	s_delay_alu instid0(VALU_DEP_3) | instskip(SKIP_1) | instid1(VALU_DEP_2)
	v_exp_f32_e32 v70, v70
	v_mul_f32_e32 v77, 0x3fb8aa3b, v76
	v_mul_f32_e32 v81, 0x3fb8aa3b, v81
	s_delay_alu instid0(TRANS32_DEP_3) | instskip(SKIP_1) | instid1(VALU_DEP_3)
	v_cndmask_b32_e64 v83, 0, v71, s4
	v_fma_f32 v71, s19, v123, -v68
	v_exp_f32_e32 v81, v81
	s_delay_alu instid0(TRANS32_DEP_3) | instskip(NEXT) | instid1(TRANS32_DEP_2)
	v_cndmask_b32_e64 v80, 0, v69, s3
	v_cndmask_b32_e32 v76, 0, v70, vcc_lo
	v_fma_f32 v69, s19, v121, -v68
	v_mul_f32_e32 v72, 0x3fb8aa3b, v72
	v_exp_f32_e32 v77, v77
	v_dual_add_f32 v70, 0, v80 :: v_dual_mul_f32 v71, 0x3fb8aa3b, v71
	s_delay_alu instid0(VALU_DEP_3) | instskip(NEXT) | instid1(VALU_DEP_3)
	v_mul_f32_e32 v69, 0x3fb8aa3b, v69
	v_exp_f32_e32 v72, v72
	v_cmp_gt_u32_e64 s3, 16, v67
	s_delay_alu instid0(VALU_DEP_3) | instskip(NEXT) | instid1(VALU_DEP_2)
	v_exp_f32_e32 v71, v71
	v_exp_f32_e32 v69, v69
	v_cndmask_b32_e64 v86, 0, v77, s6
	v_fma_f32 v77, s19, v101, -v68
	v_add_f32_e32 v70, v70, v76
	s_delay_alu instid0(TRANS32_DEP_3) | instskip(SKIP_1) | instid1(VALU_DEP_3)
	v_cndmask_b32_e64 v85, 0, v72, s5
	v_fma_f32 v72, s19, v100, -v68
	v_dual_mul_f32 v77, 0x3fb8aa3b, v77 :: v_dual_add_f32 v70, v70, v83
	s_delay_alu instid0(TRANS32_DEP_2) | instskip(SKIP_1) | instid1(TRANS32_DEP_1)
	v_cndmask_b32_e64 v88, 0, v71, s9
	v_fma_f32 v71, s19, v104, -v68
	v_cndmask_b32_e64 v87, 0, v69, s7
	s_delay_alu instid0(VALU_DEP_4) | instskip(NEXT) | instid1(VALU_DEP_2)
	v_exp_f32_e32 v77, v77
	v_dual_add_f32 v70, v70, v85 :: v_dual_mul_f32 v71, 0x3fb8aa3b, v71
	s_delay_alu instid0(VALU_DEP_1) | instskip(SKIP_2) | instid1(VALU_DEP_3)
	v_dual_mul_f32 v72, 0x3fb8aa3b, v72 :: v_dual_add_f32 v69, v70, v86
	v_mul_f32_e32 v78, 0x3fb8aa3b, v78
	v_fma_f32 v70, s19, v102, -v68
	v_exp_f32_e32 v72, v72
	v_exp_f32_e32 v82, v71
	v_add_f32_e32 v69, v69, v87
	v_exp_f32_e32 v78, v78
	v_mul_f32_e32 v70, 0x3fb8aa3b, v70
	s_delay_alu instid0(VALU_DEP_1) | instskip(SKIP_4) | instid1(VALU_DEP_2)
	v_exp_f32_e32 v79, v70
	v_cndmask_b32_e64 v70, 0, v72, s10
	s_waitcnt_depctr 0xfff
	v_cndmask_b32_e64 v84, 0, v78, s8
	v_fma_f32 v78, s19, v103, -v68
	v_add_f32_e32 v69, v69, v84
	v_cndmask_b32_e64 v71, 0, v79, s12
	s_delay_alu instid0(VALU_DEP_2) | instskip(SKIP_2) | instid1(VALU_DEP_1)
	v_add_f32_e32 v72, v69, v88
	v_cndmask_b32_e64 v69, 0, v77, s11
	v_fma_f32 v77, s19, v106, -v68
	v_dual_mul_f32 v77, 0x3fb8aa3b, v77 :: v_dual_add_f32 v72, v72, v70
	v_mul_f32_e32 v78, 0x3fb8aa3b, v78
	s_delay_alu instid0(VALU_DEP_2) | instskip(NEXT) | instid1(VALU_DEP_2)
	v_exp_f32_e32 v90, v77
	v_add_f32_e32 v79, v72, v69
	s_delay_alu instid0(VALU_DEP_2)
	v_exp_f32_e32 v78, v78
	v_cndmask_b32_e64 v77, 0, v82, s15
	s_waitcnt_depctr 0xfff
	v_cndmask_b32_e64 v72, 0, v78, s13
	v_add_f32_e32 v78, v79, v71
	v_fma_f32 v79, s19, v107, -v68
	s_delay_alu instid0(VALU_DEP_1) | instskip(SKIP_1) | instid1(VALU_DEP_2)
	v_dual_add_f32 v82, v78, v72 :: v_dual_mul_f32 v79, 0x3fb8aa3b, v79
	v_cndmask_b32_e64 v78, 0, v81, s16
	v_add_f32_e32 v81, v82, v77
	s_delay_alu instid0(VALU_DEP_3) | instskip(SKIP_1) | instid1(VALU_DEP_2)
	v_exp_f32_e32 v82, v79
	v_cndmask_b32_e64 v79, 0, v90, s17
	v_add_f32_e32 v81, v81, v78
	s_delay_alu instid0(VALU_DEP_1) | instskip(SKIP_2) | instid1(VALU_DEP_1)
	v_add_f32_e32 v90, v81, v79
	s_waitcnt_depctr 0xfff
	v_cndmask_b32_e64 v81, 0, v82, s18
	v_add_f32_e32 v82, v90, v81
	ds_bpermute_b32 v89, v89, v82
	s_and_saveexec_b32 s4, s3
	s_cbranch_execz .LBB1460_12
; %bb.11:
	v_mul_u32_u24_e32 v67, 0x44, v66
	s_delay_alu instid0(VALU_DEP_1) | instskip(SKIP_1) | instid1(VALU_DEP_1)
	v_lshl_add_u32 v67, v65, 2, v67
	s_waitcnt lgkmcnt(0)
	v_dual_add_f32 v82, v82, v89 :: v_dual_add_nc_u32 v67, 0x4000, v67
	ds_store_2addr_b32 v67, v68, v82 offset1:136
.LBB1460_12:
	s_or_b32 exec_lo, exec_lo, s4
	v_lshlrev_b32_e32 v67, 2, v65
	s_waitcnt lgkmcnt(0)
	s_barrier
	buffer_gl0_inv
	v_cmp_eq_u32_e32 vcc_lo, 1, v66
	v_add_nc_u32_e32 v82, 0x4000, v67
	v_cmp_eq_u32_e64 s4, 2, v66
	v_cmp_eq_u32_e64 s6, 7, v66
	ds_load_2addr_b32 v[89:90], v82 offset1:17
	ds_load_2addr_b32 v[91:92], v82 offset0:34 offset1:51
	ds_load_2addr_b32 v[93:94], v82 offset0:68 offset1:85
	;; [unrolled: 1-line block ×4, first 2 shown]
	s_waitcnt lgkmcnt(4)
	v_max3_f32 v67, v89, 0xff7fffff, v90
	s_waitcnt lgkmcnt(3)
	s_delay_alu instid0(VALU_DEP_1) | instskip(SKIP_1) | instid1(VALU_DEP_1)
	v_max3_f32 v67, v67, v91, v92
	s_waitcnt lgkmcnt(2)
	v_max3_f32 v67, v67, v93, v94
	s_waitcnt lgkmcnt(1)
	s_delay_alu instid0(VALU_DEP_1) | instskip(NEXT) | instid1(VALU_DEP_1)
	v_max3_f32 v67, v67, v95, v96
	v_sub_f32_e32 v93, v93, v67
	s_delay_alu instid0(VALU_DEP_1) | instskip(NEXT) | instid1(VALU_DEP_1)
	v_dual_sub_f32 v68, v89, v67 :: v_dual_mul_f32 v103, 0x3fb8aa3b, v93
	v_mul_f32_e32 v68, 0x3fb8aa3b, v68
	s_delay_alu instid0(VALU_DEP_1)
	v_exp_f32_e32 v100, v68
	v_sub_f32_e32 v68, v92, v67
	v_sub_f32_e32 v99, v90, v67
	ds_load_2addr_b32 v[89:90], v82 offset0:170 offset1:187
	v_dual_mul_f32 v102, 0x3fb8aa3b, v68 :: v_dual_mul_f32 v99, 0x3fb8aa3b, v99
	s_waitcnt lgkmcnt(1)
	v_fma_f32 v68, v100, v97, 0
	s_delay_alu instid0(VALU_DEP_2) | instskip(NEXT) | instid1(VALU_DEP_2)
	v_exp_f32_e32 v102, v102
	v_exp_f32_e32 v99, v99
	s_waitcnt_depctr 0xfff
	v_fmac_f32_e32 v68, v99, v98
	v_sub_f32_e32 v91, v91, v67
	s_delay_alu instid0(VALU_DEP_1)
	v_mul_f32_e32 v101, 0x3fb8aa3b, v91
	ds_load_2addr_b32 v[91:92], v82 offset0:204 offset1:221
	v_sub_f32_e32 v97, v94, v67
	ds_load_2addr_b32 v[93:94], v82 offset0:238 offset1:255
	s_waitcnt lgkmcnt(0)
	v_exp_f32_e32 v101, v101
	s_barrier
	buffer_gl0_inv
	v_dual_fmac_f32 v68, v101, v89 :: v_dual_sub_f32 v89, v96, v67
	v_dual_sub_f32 v82, v95, v67 :: v_dual_mul_f32 v95, 0x3fb8aa3b, v97
	v_exp_f32_e32 v97, v103
	s_delay_alu instid0(VALU_DEP_2) | instskip(NEXT) | instid1(VALU_DEP_2)
	v_dual_fmac_f32 v68, v102, v90 :: v_dual_mul_f32 v89, 0x3fb8aa3b, v89
	v_mul_f32_e32 v82, 0x3fb8aa3b, v82
	s_delay_alu instid0(VALU_DEP_3) | instskip(NEXT) | instid1(VALU_DEP_2)
	v_exp_f32_e32 v95, v95
	v_exp_f32_e32 v89, v89
	s_delay_alu instid0(VALU_DEP_1)
	v_exp_f32_e32 v82, v82
	v_fmac_f32_e32 v68, v97, v91
	s_delay_alu instid0(TRANS32_DEP_3) | instid1(VALU_DEP_1)
	v_fmac_f32_e32 v68, v95, v92
	s_waitcnt_depctr 0xfff
	v_fmac_f32_e32 v68, v82, v93
	s_delay_alu instid0(VALU_DEP_1) | instskip(NEXT) | instid1(VALU_DEP_1)
	v_fmac_f32_e32 v68, v89, v94
	v_add_f32_e32 v90, 0x358637bd, v68
	s_delay_alu instid0(VALU_DEP_1) | instskip(NEXT) | instid1(VALU_DEP_1)
	v_div_scale_f32 v91, null, v90, v90, 1.0
	v_rcp_f32_e32 v92, v91
	s_waitcnt_depctr 0xfff
	v_fma_f32 v93, -v91, v92, 1.0
	s_delay_alu instid0(VALU_DEP_1) | instskip(SKIP_1) | instid1(VALU_DEP_2)
	v_dual_fmac_f32 v92, v93, v92 :: v_dual_cndmask_b32 v93, v100, v99
	v_cmp_eq_u32_e32 vcc_lo, 3, v66
	v_cndmask_b32_e64 v93, v93, v101, s4
	v_cmp_eq_u32_e64 s4, 4, v66
	s_delay_alu instid0(VALU_DEP_2) | instskip(SKIP_1) | instid1(VALU_DEP_2)
	v_cndmask_b32_e32 v93, v93, v102, vcc_lo
	v_cmp_eq_u32_e32 vcc_lo, 5, v66
	v_cndmask_b32_e64 v93, v93, v97, s4
	v_cmp_eq_u32_e64 s4, 6, v66
	s_delay_alu instid0(VALU_DEP_2) | instskip(SKIP_1) | instid1(VALU_DEP_1)
	v_cndmask_b32_e32 v93, v93, v95, vcc_lo
	v_div_scale_f32 v94, s5, 1.0, v90, 1.0
	s_mov_b32 vcc_lo, s5
	s_delay_alu instid0(VALU_DEP_2) | instskip(NEXT) | instid1(VALU_DEP_2)
	v_cndmask_b32_e64 v82, v93, v82, s4
	v_mul_f32_e32 v96, v94, v92
	s_mov_b32 s4, exec_lo
	s_delay_alu instid0(VALU_DEP_2) | instskip(NEXT) | instid1(VALU_DEP_2)
	v_cndmask_b32_e64 v82, v82, v89, s6
	v_fma_f32 v98, -v91, v96, v94
	s_delay_alu instid0(VALU_DEP_1) | instskip(NEXT) | instid1(VALU_DEP_1)
	v_fmac_f32_e32 v96, v98, v92
	v_fma_f32 v91, -v91, v96, v94
	s_delay_alu instid0(VALU_DEP_1) | instskip(NEXT) | instid1(VALU_DEP_1)
	v_div_fmas_f32 v91, v91, v92, v96
	v_div_fixup_f32 v90, v91, v90, 1.0
	s_delay_alu instid0(VALU_DEP_1) | instskip(NEXT) | instid1(VALU_DEP_1)
	v_mul_f32_e32 v82, v82, v90
	v_mul_f32_e32 v87, v82, v87
	;; [unrolled: 1-line block ×7, first 2 shown]
	v_dual_mul_f32 v86, v82, v83 :: v_dual_and_b32 v91, 0x7f800000, v90
	v_mul_f32_e32 v85, v82, v76
                                        ; implicit-def: $vgpr76
	s_delay_alu instid0(VALU_DEP_2)
	v_cmpx_ne_u32_e32 0x7f800000, v91
	s_xor_b32 s4, exec_lo, s4
; %bb.13:
	v_bfe_u32 v76, v90, 16, 1
	s_delay_alu instid0(VALU_DEP_1)
	v_add3_u32 v76, v90, v76, 0x7fff
                                        ; implicit-def: $vgpr90
; %bb.14:
	s_and_not1_saveexec_b32 s4, s4
; %bb.15:
	v_and_b32_e32 v76, 0xffff, v90
	v_or_b32_e32 v83, 0x10000, v90
	s_delay_alu instid0(VALU_DEP_2) | instskip(NEXT) | instid1(VALU_DEP_2)
	v_cmp_eq_u32_e32 vcc_lo, 0, v76
	v_cndmask_b32_e32 v76, v83, v90, vcc_lo
; %bb.16:
	s_or_b32 exec_lo, exec_lo, s4
	v_and_b32_e32 v83, 0x7f800000, v85
	s_delay_alu instid0(VALU_DEP_1) | instskip(SKIP_1) | instid1(SALU_CYCLE_1)
	v_cmp_ne_u32_e32 vcc_lo, 0x7f800000, v83
                                        ; implicit-def: $vgpr83
	s_and_saveexec_b32 s4, vcc_lo
	s_xor_b32 s4, exec_lo, s4
; %bb.17:
	v_bfe_u32 v83, v85, 16, 1
	s_delay_alu instid0(VALU_DEP_1)
	v_add3_u32 v83, v85, v83, 0x7fff
                                        ; implicit-def: $vgpr85
; %bb.18:
	s_and_not1_saveexec_b32 s4, s4
; %bb.19:
	v_and_b32_e32 v83, 0xffff, v85
	v_or_b32_e32 v90, 0x10000, v85
	s_delay_alu instid0(VALU_DEP_2) | instskip(NEXT) | instid1(VALU_DEP_2)
	v_cmp_eq_u32_e32 vcc_lo, 0, v83
	v_cndmask_b32_e32 v83, v90, v85, vcc_lo
; %bb.20:
	s_or_b32 exec_lo, exec_lo, s4
	v_and_b32_e32 v85, 0x7f800000, v86
	s_delay_alu instid0(VALU_DEP_1) | instskip(SKIP_1) | instid1(SALU_CYCLE_1)
	v_cmp_ne_u32_e32 vcc_lo, 0x7f800000, v85
                                        ; implicit-def: $vgpr85
	s_and_saveexec_b32 s4, vcc_lo
	s_xor_b32 s4, exec_lo, s4
; %bb.21:
	v_bfe_u32 v85, v86, 16, 1
	s_delay_alu instid0(VALU_DEP_1)
	v_add3_u32 v85, v86, v85, 0x7fff
                                        ; implicit-def: $vgpr86
; %bb.22:
	s_and_not1_saveexec_b32 s4, s4
; %bb.23:
	v_and_b32_e32 v85, 0xffff, v86
	v_or_b32_e32 v90, 0x10000, v86
	s_delay_alu instid0(VALU_DEP_2) | instskip(NEXT) | instid1(VALU_DEP_2)
	v_cmp_eq_u32_e32 vcc_lo, 0, v85
	v_cndmask_b32_e32 v85, v90, v86, vcc_lo
; %bb.24:
	s_or_b32 exec_lo, exec_lo, s4
	v_and_b32_e32 v86, 0x7f800000, v89
	s_delay_alu instid0(VALU_DEP_1) | instskip(SKIP_1) | instid1(SALU_CYCLE_1)
	v_cmp_ne_u32_e32 vcc_lo, 0x7f800000, v86
                                        ; implicit-def: $vgpr86
	s_and_saveexec_b32 s4, vcc_lo
	s_xor_b32 s4, exec_lo, s4
; %bb.25:
	v_bfe_u32 v86, v89, 16, 1
	s_delay_alu instid0(VALU_DEP_1)
	v_add3_u32 v86, v89, v86, 0x7fff
                                        ; implicit-def: $vgpr89
; %bb.26:
	s_and_not1_saveexec_b32 s4, s4
; %bb.27:
	v_and_b32_e32 v86, 0xffff, v89
	v_or_b32_e32 v90, 0x10000, v89
	s_delay_alu instid0(VALU_DEP_2) | instskip(NEXT) | instid1(VALU_DEP_2)
	v_cmp_eq_u32_e32 vcc_lo, 0, v86
	v_cndmask_b32_e32 v86, v90, v89, vcc_lo
; %bb.28:
	s_or_b32 exec_lo, exec_lo, s4
	v_and_b32_e32 v89, 0x7f800000, v88
	s_delay_alu instid0(VALU_DEP_1) | instskip(SKIP_1) | instid1(SALU_CYCLE_1)
	v_cmp_ne_u32_e32 vcc_lo, 0x7f800000, v89
                                        ; implicit-def: $vgpr89
	s_and_saveexec_b32 s4, vcc_lo
	s_xor_b32 s4, exec_lo, s4
; %bb.29:
	v_bfe_u32 v89, v88, 16, 1
	s_delay_alu instid0(VALU_DEP_1)
	v_add3_u32 v89, v88, v89, 0x7fff
                                        ; implicit-def: $vgpr88
; %bb.30:
	s_and_not1_saveexec_b32 s4, s4
; %bb.31:
	v_and_b32_e32 v89, 0xffff, v88
	v_or_b32_e32 v90, 0x10000, v88
	s_delay_alu instid0(VALU_DEP_2) | instskip(NEXT) | instid1(VALU_DEP_2)
	v_cmp_eq_u32_e32 vcc_lo, 0, v89
	v_cndmask_b32_e32 v89, v90, v88, vcc_lo
; %bb.32:
	s_or_b32 exec_lo, exec_lo, s4
	v_and_b32_e32 v88, 0x7f800000, v87
	s_delay_alu instid0(VALU_DEP_1) | instskip(SKIP_1) | instid1(SALU_CYCLE_1)
	v_cmp_ne_u32_e32 vcc_lo, 0x7f800000, v88
                                        ; implicit-def: $vgpr88
	s_and_saveexec_b32 s4, vcc_lo
	s_xor_b32 s4, exec_lo, s4
; %bb.33:
	v_bfe_u32 v88, v87, 16, 1
	s_delay_alu instid0(VALU_DEP_1)
	v_add3_u32 v88, v87, v88, 0x7fff
                                        ; implicit-def: $vgpr87
; %bb.34:
	s_and_not1_saveexec_b32 s4, s4
; %bb.35:
	v_and_b32_e32 v88, 0xffff, v87
	v_or_b32_e32 v90, 0x10000, v87
	s_delay_alu instid0(VALU_DEP_2) | instskip(NEXT) | instid1(VALU_DEP_2)
	v_cmp_eq_u32_e32 vcc_lo, 0, v88
	v_cndmask_b32_e32 v88, v90, v87, vcc_lo
; %bb.36:
	s_or_b32 exec_lo, exec_lo, s4
	v_and_b32_e32 v87, 0x7f800000, v84
	s_delay_alu instid0(VALU_DEP_1) | instskip(SKIP_1) | instid1(SALU_CYCLE_1)
	v_cmp_ne_u32_e32 vcc_lo, 0x7f800000, v87
                                        ; implicit-def: $vgpr87
	s_and_saveexec_b32 s4, vcc_lo
	s_xor_b32 s4, exec_lo, s4
; %bb.37:
	v_bfe_u32 v87, v84, 16, 1
	s_delay_alu instid0(VALU_DEP_1)
	v_add3_u32 v87, v84, v87, 0x7fff
                                        ; implicit-def: $vgpr84
; %bb.38:
	s_and_not1_saveexec_b32 s4, s4
; %bb.39:
	v_and_b32_e32 v87, 0xffff, v84
	v_or_b32_e32 v90, 0x10000, v84
	s_delay_alu instid0(VALU_DEP_2) | instskip(NEXT) | instid1(VALU_DEP_2)
	v_cmp_eq_u32_e32 vcc_lo, 0, v87
	v_cndmask_b32_e32 v87, v90, v84, vcc_lo
; %bb.40:
	s_or_b32 exec_lo, exec_lo, s4
	v_and_b32_e32 v84, 0x7f800000, v80
	s_delay_alu instid0(VALU_DEP_1) | instskip(SKIP_1) | instid1(SALU_CYCLE_1)
	v_cmp_ne_u32_e32 vcc_lo, 0x7f800000, v84
                                        ; implicit-def: $vgpr84
	s_and_saveexec_b32 s4, vcc_lo
	s_xor_b32 s4, exec_lo, s4
; %bb.41:
	v_bfe_u32 v84, v80, 16, 1
	s_delay_alu instid0(VALU_DEP_1)
	v_add3_u32 v84, v80, v84, 0x7fff
                                        ; implicit-def: $vgpr80
; %bb.42:
	s_and_not1_saveexec_b32 s4, s4
; %bb.43:
	v_and_b32_e32 v84, 0xffff, v80
	v_or_b32_e32 v90, 0x10000, v80
	s_delay_alu instid0(VALU_DEP_2) | instskip(NEXT) | instid1(VALU_DEP_2)
	v_cmp_eq_u32_e32 vcc_lo, 0, v84
	v_cndmask_b32_e32 v84, v90, v80, vcc_lo
; %bb.44:
	s_or_b32 exec_lo, exec_lo, s4
	s_load_b64 s[36:37], s[0:1], 0x94
	v_lshlrev_b32_e32 v91, 4, v74
	s_delay_alu instid0(VALU_DEP_2)
	v_perm_b32 v90, v84, v87, 0x7060302
	v_dual_mul_f32 v79, v82, v79 :: v_dual_lshlrev_b32 v80, 6, v65
	v_dual_mul_f32 v77, v82, v77 :: v_dual_lshlrev_b32 v92, 11, v66
	v_mul_f32_e32 v84, v82, v70
	v_perm_b32 v89, v88, v89, 0x7060302
	v_perm_b32 v88, v86, v85, 0x7060302
	;; [unrolled: 1-line block ×3, first 2 shown]
	v_mul_f32_e32 v70, v82, v81
	v_or3_b32 v76, v91, v92, v80
	v_dual_mul_f32 v78, v82, v78 :: v_dual_and_b32 v85, 0x7f800000, v84
	v_mul_f32_e32 v83, v82, v72
	v_mul_f32_e32 v81, v82, v71
	;; [unrolled: 1-line block ×3, first 2 shown]
	s_mov_b32 s4, exec_lo
	ds_store_b128 v76, v[87:90]
                                        ; implicit-def: $vgpr69
	v_cmpx_ne_u32_e32 0x7f800000, v85
	s_xor_b32 s4, exec_lo, s4
; %bb.45:
	v_bfe_u32 v69, v84, 16, 1
	s_delay_alu instid0(VALU_DEP_1)
	v_add3_u32 v69, v84, v69, 0x7fff
                                        ; implicit-def: $vgpr84
; %bb.46:
	s_and_not1_saveexec_b32 s4, s4
; %bb.47:
	v_and_b32_e32 v69, 0xffff, v84
	v_or_b32_e32 v71, 0x10000, v84
	s_delay_alu instid0(VALU_DEP_2) | instskip(NEXT) | instid1(VALU_DEP_2)
	v_cmp_eq_u32_e32 vcc_lo, 0, v69
	v_cndmask_b32_e32 v69, v71, v84, vcc_lo
; %bb.48:
	s_or_b32 exec_lo, exec_lo, s4
	v_and_b32_e32 v71, 0x7f800000, v72
	s_delay_alu instid0(VALU_DEP_1) | instskip(SKIP_1) | instid1(SALU_CYCLE_1)
	v_cmp_ne_u32_e32 vcc_lo, 0x7f800000, v71
                                        ; implicit-def: $vgpr71
	s_and_saveexec_b32 s4, vcc_lo
	s_xor_b32 s4, exec_lo, s4
; %bb.49:
	v_bfe_u32 v71, v72, 16, 1
	s_delay_alu instid0(VALU_DEP_1)
	v_add3_u32 v71, v72, v71, 0x7fff
                                        ; implicit-def: $vgpr72
; %bb.50:
	s_and_not1_saveexec_b32 s4, s4
; %bb.51:
	v_and_b32_e32 v71, 0xffff, v72
	v_or_b32_e32 v82, 0x10000, v72
	s_delay_alu instid0(VALU_DEP_2) | instskip(NEXT) | instid1(VALU_DEP_2)
	v_cmp_eq_u32_e32 vcc_lo, 0, v71
	v_cndmask_b32_e32 v71, v82, v72, vcc_lo
; %bb.52:
	s_or_b32 exec_lo, exec_lo, s4
	v_and_b32_e32 v72, 0x7f800000, v81
	s_delay_alu instid0(VALU_DEP_1) | instskip(SKIP_1) | instid1(SALU_CYCLE_1)
	v_cmp_ne_u32_e32 vcc_lo, 0x7f800000, v72
                                        ; implicit-def: $vgpr72
	s_and_saveexec_b32 s4, vcc_lo
	s_xor_b32 s4, exec_lo, s4
; %bb.53:
	v_bfe_u32 v72, v81, 16, 1
	s_delay_alu instid0(VALU_DEP_1)
	v_add3_u32 v72, v81, v72, 0x7fff
                                        ; implicit-def: $vgpr81
; %bb.54:
	s_and_not1_saveexec_b32 s4, s4
; %bb.55:
	v_and_b32_e32 v72, 0xffff, v81
	v_or_b32_e32 v82, 0x10000, v81
	s_delay_alu instid0(VALU_DEP_2) | instskip(NEXT) | instid1(VALU_DEP_2)
	v_cmp_eq_u32_e32 vcc_lo, 0, v72
	v_cndmask_b32_e32 v72, v82, v81, vcc_lo
; %bb.56:
	s_or_b32 exec_lo, exec_lo, s4
	v_and_b32_e32 v81, 0x7f800000, v83
	s_delay_alu instid0(VALU_DEP_1) | instskip(SKIP_1) | instid1(SALU_CYCLE_1)
	v_cmp_ne_u32_e32 vcc_lo, 0x7f800000, v81
                                        ; implicit-def: $vgpr81
	s_and_saveexec_b32 s4, vcc_lo
	s_xor_b32 s4, exec_lo, s4
; %bb.57:
	v_bfe_u32 v81, v83, 16, 1
	s_delay_alu instid0(VALU_DEP_1)
	v_add3_u32 v81, v83, v81, 0x7fff
                                        ; implicit-def: $vgpr83
; %bb.58:
	s_and_not1_saveexec_b32 s4, s4
; %bb.59:
	v_and_b32_e32 v81, 0xffff, v83
	v_or_b32_e32 v82, 0x10000, v83
	s_delay_alu instid0(VALU_DEP_2) | instskip(NEXT) | instid1(VALU_DEP_2)
	v_cmp_eq_u32_e32 vcc_lo, 0, v81
	v_cndmask_b32_e32 v81, v82, v83, vcc_lo
; %bb.60:
	s_or_b32 exec_lo, exec_lo, s4
	v_and_b32_e32 v82, 0x7f800000, v77
	s_delay_alu instid0(VALU_DEP_1) | instskip(SKIP_1) | instid1(SALU_CYCLE_1)
	v_cmp_ne_u32_e32 vcc_lo, 0x7f800000, v82
                                        ; implicit-def: $vgpr82
	s_and_saveexec_b32 s4, vcc_lo
	s_xor_b32 s4, exec_lo, s4
; %bb.61:
	v_bfe_u32 v82, v77, 16, 1
	s_delay_alu instid0(VALU_DEP_1)
	v_add3_u32 v82, v77, v82, 0x7fff
                                        ; implicit-def: $vgpr77
; %bb.62:
	s_and_not1_saveexec_b32 s4, s4
; %bb.63:
	v_and_b32_e32 v82, 0xffff, v77
	v_or_b32_e32 v83, 0x10000, v77
	s_delay_alu instid0(VALU_DEP_2) | instskip(NEXT) | instid1(VALU_DEP_2)
	v_cmp_eq_u32_e32 vcc_lo, 0, v82
	v_cndmask_b32_e32 v82, v83, v77, vcc_lo
; %bb.64:
	s_or_b32 exec_lo, exec_lo, s4
	v_and_b32_e32 v77, 0x7f800000, v78
	s_delay_alu instid0(VALU_DEP_1) | instskip(SKIP_1) | instid1(SALU_CYCLE_1)
	v_cmp_ne_u32_e32 vcc_lo, 0x7f800000, v77
                                        ; implicit-def: $vgpr77
	s_and_saveexec_b32 s4, vcc_lo
	s_xor_b32 s4, exec_lo, s4
; %bb.65:
	v_bfe_u32 v77, v78, 16, 1
	s_delay_alu instid0(VALU_DEP_1)
	v_add3_u32 v77, v78, v77, 0x7fff
                                        ; implicit-def: $vgpr78
; %bb.66:
	s_and_not1_saveexec_b32 s4, s4
; %bb.67:
	v_and_b32_e32 v77, 0xffff, v78
	v_or_b32_e32 v83, 0x10000, v78
	s_delay_alu instid0(VALU_DEP_2) | instskip(NEXT) | instid1(VALU_DEP_2)
	v_cmp_eq_u32_e32 vcc_lo, 0, v77
	v_cndmask_b32_e32 v77, v83, v78, vcc_lo
; %bb.68:
	s_or_b32 exec_lo, exec_lo, s4
	v_and_b32_e32 v78, 0x7f800000, v79
	s_delay_alu instid0(VALU_DEP_1) | instskip(SKIP_1) | instid1(SALU_CYCLE_1)
	v_cmp_ne_u32_e32 vcc_lo, 0x7f800000, v78
                                        ; implicit-def: $vgpr78
	s_and_saveexec_b32 s4, vcc_lo
	s_xor_b32 s4, exec_lo, s4
; %bb.69:
	v_bfe_u32 v78, v79, 16, 1
	s_delay_alu instid0(VALU_DEP_1)
	v_add3_u32 v78, v79, v78, 0x7fff
                                        ; implicit-def: $vgpr79
; %bb.70:
	s_and_not1_saveexec_b32 s4, s4
; %bb.71:
	v_and_b32_e32 v78, 0xffff, v79
	v_or_b32_e32 v83, 0x10000, v79
	s_delay_alu instid0(VALU_DEP_2) | instskip(NEXT) | instid1(VALU_DEP_2)
	v_cmp_eq_u32_e32 vcc_lo, 0, v78
	v_cndmask_b32_e32 v78, v83, v79, vcc_lo
; %bb.72:
	s_or_b32 exec_lo, exec_lo, s4
	v_and_b32_e32 v79, 0x7f800000, v70
	s_delay_alu instid0(VALU_DEP_1) | instskip(SKIP_1) | instid1(SALU_CYCLE_1)
	v_cmp_ne_u32_e32 vcc_lo, 0x7f800000, v79
                                        ; implicit-def: $vgpr79
	s_and_saveexec_b32 s4, vcc_lo
	s_xor_b32 s4, exec_lo, s4
; %bb.73:
	v_bfe_u32 v79, v70, 16, 1
	s_delay_alu instid0(VALU_DEP_1)
	v_add3_u32 v79, v70, v79, 0x7fff
                                        ; implicit-def: $vgpr70
; %bb.74:
	s_and_not1_saveexec_b32 s4, s4
; %bb.75:
	v_and_b32_e32 v79, 0xffff, v70
	v_or_b32_e32 v83, 0x10000, v70
	s_delay_alu instid0(VALU_DEP_2) | instskip(NEXT) | instid1(VALU_DEP_2)
	v_cmp_eq_u32_e32 vcc_lo, 0, v79
	v_cndmask_b32_e32 v79, v83, v70, vcc_lo
; %bb.76:
	s_or_b32 exec_lo, exec_lo, s4
	s_delay_alu instid0(VALU_DEP_1)
	v_perm_b32 v86, v79, v78, 0x7060302
	v_perm_b32 v85, v77, v82, 0x7060302
	;; [unrolled: 1-line block ×4, first 2 shown]
	v_lshl_or_b32 v82, v66, 11, v80
	ds_store_b128 v76, v[83:86] offset:1024
	s_waitcnt lgkmcnt(0)
	s_barrier
	buffer_gl0_inv
	ds_load_b128 v[69:72], v82
	ds_load_b128 v[83:86], v82 offset:16
	s_waitcnt lgkmcnt(1)
	v_lshrrev_b32_e32 v66, 16, v69
	s_waitcnt lgkmcnt(0)
	v_lshrrev_b32_e32 v91, 16, v83
	v_lshlrev_b32_e32 v78, 2, v74
	v_lshrrev_b32_e32 v95, 16, v70
	v_lshrrev_b32_e32 v98, 16, v84
	;; [unrolled: 1-line block ×4, first 2 shown]
	v_cmp_eq_u32_e32 vcc_lo, 1, v78
	v_lshrrev_b32_e32 v97, 16, v72
	v_lshrrev_b32_e32 v100, 16, v86
	v_cndmask_b32_e32 v87, v83, v91, vcc_lo
	v_or_b32_e32 v79, 1, v78
	v_cndmask_b32_e32 v81, v69, v66, vcc_lo
	v_cmp_eq_u32_e64 s5, 2, v78
	v_cmp_eq_u32_e64 s8, 3, v78
	v_cmp_eq_u32_e64 s10, 4, v78
	v_cmp_eq_u32_e64 s4, 1, v79
	v_cmp_eq_u32_e64 s7, 2, v79
	v_cndmask_b32_e64 v81, v81, v70, s5
	v_cndmask_b32_e64 v87, v87, v84, s5
	v_cmp_eq_u32_e64 s9, 3, v79
	v_cndmask_b32_e64 v88, v69, v66, s4
	v_or_b32_e32 v77, 2, v78
	v_cndmask_b32_e64 v81, v81, v95, s8
	v_cndmask_b32_e64 v87, v87, v98, s8
	;; [unrolled: 1-line block ×4, first 2 shown]
	v_cmp_eq_u32_e64 s11, 5, v78
	v_cndmask_b32_e64 v81, v81, v71, s10
	v_cndmask_b32_e64 v87, v87, v85, s10
	v_cmp_eq_u32_e64 s12, 4, v79
	v_cndmask_b32_e64 v88, v88, v95, s9
	v_cmp_eq_u32_e64 s6, 1, v77
	v_cndmask_b32_e64 v89, v89, v84, s7
	v_cndmask_b32_e64 v81, v81, v96, s11
	v_cmp_eq_u32_e64 s13, 6, v78
	v_cndmask_b32_e64 v88, v88, v71, s12
	;; [unrolled: 3-line block ×3, first 2 shown]
	v_cndmask_b32_e64 v89, v89, v98, s9
	v_cndmask_b32_e64 v81, v81, v72, s13
	v_cmp_eq_u32_e64 s16, 7, v78
	v_cndmask_b32_e64 v88, v88, v96, s15
	v_cndmask_b32_e64 v87, v87, v86, s13
	v_cmp_eq_u32_e64 s17, 6, v79
	v_cmp_eq_u32_e64 s18, 2, v77
	v_cndmask_b32_e64 v89, v89, v85, s12
	v_cndmask_b32_e64 v101, v81, v97, s16
	;; [unrolled: 1-line block ×6, first 2 shown]
	v_cmp_eq_u32_e64 s19, 7, v79
	v_cmp_eq_u32_e64 s20, 3, v77
	;; [unrolled: 1-line block ×4, first 2 shown]
	v_cndmask_b32_e64 v87, v87, v84, s18
	v_cndmask_b32_e64 v103, v88, v97, s19
	;; [unrolled: 1-line block ×4, first 2 shown]
	v_or_b32_e32 v81, 3, v78
	v_cndmask_b32_e64 v93, v87, v98, s20
	v_cmp_eq_u32_e64 s25, 6, v77
	v_cndmask_b32_e64 v104, v88, v86, s17
	v_cndmask_b32_e64 v92, v89, v71, s21
	v_cmp_eq_u32_e64 s22, 1, v81
	ds_load_b128 v[87:90], v82 offset:1024
	v_cmp_eq_u32_e64 s24, 2, v81
	v_cmp_eq_u32_e64 s26, 3, v81
	v_cndmask_b32_e64 v105, v92, v96, s23
	v_cndmask_b32_e64 v66, v69, v66, s22
	;; [unrolled: 1-line block ×4, first 2 shown]
	ds_load_b128 v[91:94], v82 offset:1040
	v_cmp_eq_u32_e64 s27, 4, v81
	v_cndmask_b32_e64 v66, v66, v70, s24
	v_cmp_eq_u32_e64 s28, 7, v77
	v_cndmask_b32_e64 v70, v83, v84, s24
	v_cndmask_b32_e64 v84, v105, v72, s25
	v_cmp_eq_u32_e64 s29, 5, v81
	v_cndmask_b32_e64 v66, v66, v95, s26
	v_cmp_eq_u32_e64 s30, 6, v81
	v_cndmask_b32_e64 v70, v70, v98, s26
	v_cndmask_b32_e64 v69, v69, v99, s23
	;; [unrolled: 1-line block ×4, first 2 shown]
	s_waitcnt lgkmcnt(1)
	v_lshrrev_b32_e32 v95, 16, v87
	v_cndmask_b32_e64 v70, v70, v85, s27
	v_cndmask_b32_e64 v71, v84, v97, s28
	;; [unrolled: 1-line block ×4, first 2 shown]
	v_cndmask_b32_e32 v84, v87, v95, vcc_lo
	v_cndmask_b32_e64 v70, v70, v99, s29
	s_waitcnt lgkmcnt(0)
	v_lshrrev_b32_e32 v85, 16, v91
	v_lshrrev_b32_e32 v96, 16, v88
	v_cndmask_b32_e64 v98, v87, v95, s4
	v_cndmask_b32_e64 v84, v84, v88, s5
	;; [unrolled: 1-line block ×3, first 2 shown]
	v_cndmask_b32_e32 v99, v91, v85, vcc_lo
	v_cmp_eq_u32_e32 vcc_lo, 7, v81
	v_cndmask_b32_e64 v66, v66, v72, s30
	v_cndmask_b32_e64 v72, v84, v96, s8
	;; [unrolled: 1-line block ×3, first 2 shown]
	v_lshrrev_b32_e32 v98, 16, v92
	v_cndmask_b32_e32 v70, v70, v100, vcc_lo
	v_cndmask_b32_e64 v86, v99, v92, s5
	v_cndmask_b32_e64 v69, v69, v100, s28
	v_lshrrev_b32_e32 v100, 16, v93
	v_cndmask_b32_e64 v72, v72, v89, s10
	v_lshrrev_b32_e32 v99, 16, v89
	v_cndmask_b32_e64 v86, v86, v98, s8
	v_perm_b32 v71, v69, v71, 0x5040100
	v_cndmask_b32_e64 v84, v84, v96, s9
	s_delay_alu instid0(VALU_DEP_3) | instskip(NEXT) | instid1(VALU_DEP_2)
	v_cndmask_b32_e64 v86, v86, v93, s10
	v_cndmask_b32_e64 v84, v84, v89, s12
	s_delay_alu instid0(VALU_DEP_2) | instskip(NEXT) | instid1(VALU_DEP_1)
	v_cndmask_b32_e64 v86, v86, v100, s11
	v_cndmask_b32_e64 v69, v86, v94, s13
	;; [unrolled: 1-line block ×5, first 2 shown]
	s_delay_alu instid0(VALU_DEP_3) | instskip(NEXT) | instid1(VALU_DEP_3)
	v_cndmask_b32_e64 v86, v86, v88, s18
	v_cndmask_b32_e64 v87, v87, v88, s24
	s_delay_alu instid0(VALU_DEP_3) | instskip(NEXT) | instid1(VALU_DEP_3)
	v_cndmask_b32_e64 v88, v95, v92, s24
	v_cndmask_b32_e64 v86, v86, v96, s20
	;; [unrolled: 3-line block ×7, first 2 shown]
	s_delay_alu instid0(VALU_DEP_3) | instskip(SKIP_2) | instid1(VALU_DEP_2)
	v_cndmask_b32_e64 v88, v88, v94, s30
	v_cndmask_b32_e32 v66, v66, v97, vcc_lo
	v_cndmask_b32_e64 v97, v72, v99, s11
	v_perm_b32 v72, v70, v66, 0x5040100
	v_perm_b32 v70, v83, v103, 0x5040100
	v_cndmask_b32_e64 v103, v91, v85, s6
	v_cndmask_b32_e64 v85, v91, v85, s4
	;; [unrolled: 1-line block ×4, first 2 shown]
	v_lshrrev_b32_e32 v97, 16, v90
	v_cndmask_b32_e64 v91, v103, v92, s18
	v_cndmask_b32_e64 v85, v85, v92, s7
	;; [unrolled: 1-line block ×3, first 2 shown]
	s_mov_b32 s4, exec_lo
	v_cndmask_b32_e64 v83, v84, v97, s16
	v_cndmask_b32_e64 v91, v91, v98, s20
	;; [unrolled: 1-line block ×3, first 2 shown]
	v_lshrrev_b32_e32 v84, 16, v94
	v_cndmask_b32_e64 v66, v66, v97, s19
	v_cndmask_b32_e64 v90, v86, v97, s28
	;; [unrolled: 1-line block ×4, first 2 shown]
	v_dual_cndmask_b32 v86, v87, v97 :: v_dual_cndmask_b32 v87, v88, v84
	v_cndmask_b32_e64 v91, v69, v84, s16
	s_delay_alu instid0(VALU_DEP_4) | instskip(NEXT) | instid1(VALU_DEP_4)
	v_cndmask_b32_e64 v89, v89, v100, s23
	v_cndmask_b32_e64 v85, v85, v100, s15
	v_perm_b32 v69, v102, v101, 0x5040100
	v_perm_b32 v86, v87, v86, 0x5040100
	;; [unrolled: 1-line block ×3, first 2 shown]
	v_cndmask_b32_e64 v89, v89, v94, s25
	v_cndmask_b32_e64 v85, v85, v94, s17
	s_mul_i32 s9, s37, 15
	s_delay_alu instid0(VALU_DEP_2) | instskip(NEXT) | instid1(VALU_DEP_2)
	v_cndmask_b32_e64 v88, v89, v84, s28
	v_cndmask_b32_e64 v89, v85, v84, s19
	s_delay_alu instid0(VALU_DEP_2) | instskip(NEXT) | instid1(VALU_DEP_2)
	v_perm_b32 v85, v88, v90, 0x5040100
	v_perm_b32 v84, v89, v66, 0x5040100
	ds_store_b128 v76, v[69:72]
	ds_store_b128 v76, v[83:86] offset:1024
	v_cmpx_gt_u32_e32 15, v0
	s_cbranch_execz .LBB1460_78
; %bb.77:
	s_mul_i32 s5, s9, s34
	s_load_b128 s[16:19], s[0:1], 0x58
	v_add3_u32 v69, s5, s31, v65
	s_delay_alu instid0(VALU_DEP_1) | instskip(NEXT) | instid1(VALU_DEP_1)
	v_mad_u64_u32 v[65:66], null, v69, s36, s[14:15]
	v_ashrrev_i32_e32 v66, 31, v65
	s_delay_alu instid0(VALU_DEP_1) | instskip(SKIP_1) | instid1(VALU_DEP_1)
	v_lshlrev_b64 v[65:66], 2, v[65:66]
	s_waitcnt lgkmcnt(0)
	v_add_co_u32 v69, vcc_lo, s18, v65
	s_delay_alu instid0(VALU_DEP_2)
	v_add_co_ci_u32_e32 v70, vcc_lo, s19, v66, vcc_lo
	v_add_co_u32 v65, vcc_lo, s16, v65
	v_add_co_ci_u32_e32 v66, vcc_lo, s17, v66, vcc_lo
	global_store_b32 v[69:70], v67, off
	global_store_b32 v[65:66], v68, off
.LBB1460_78:
	s_or_b32 exec_lo, exec_lo, s4
	s_waitcnt lgkmcnt(0)
	s_waitcnt_vscnt null, 0x0
	s_barrier
	buffer_gl0_inv
	ds_load_b128 v[83:86], v80
	ds_load_b128 v[87:90], v80 offset:16
	ds_load_b128 v[95:98], v80 offset:2064
	ds_load_b128 v[91:94], v80 offset:2048
	v_mov_b32_e32 v65, 0
	ds_load_b128 v[103:106], v80 offset:4112
	ds_load_b128 v[99:102], v80 offset:4096
	ds_load_b128 v[111:114], v80 offset:6160
	ds_load_b128 v[107:110], v80 offset:6144
	v_mov_b32_e32 v66, v65
	v_mov_b32_e32 v67, v65
	;; [unrolled: 1-line block ×7, first 2 shown]
	s_waitcnt lgkmcnt(6)
	s_delay_alu instid0(VALU_DEP_1)
	v_wmma_f32_16x16x16_bf16 v[65:72], v[57:64], v[83:90], v[65:72]
	ds_load_b128 v[61:64], v80 offset:8208
	ds_load_b128 v[57:60], v80 offset:8192
	s_waitcnt lgkmcnt(6)
	v_wmma_f32_16x16x16_bf16 v[65:72], v[41:48], v[91:98], v[65:72]
	ds_load_b128 v[45:48], v80 offset:10256
	ds_load_b128 v[41:44], v80 offset:10240
	s_waitcnt lgkmcnt(6)
	;; [unrolled: 4-line block ×4, first 2 shown]
	v_wmma_f32_16x16x16_bf16 v[65:72], v[1:8], v[57:64], v[65:72]
	s_waitcnt lgkmcnt(4)
	s_delay_alu instid0(VALU_DEP_1) | instskip(SKIP_1) | instid1(VALU_DEP_1)
	v_wmma_f32_16x16x16_bf16 v[65:72], v[9:16], v[41:48], v[65:72]
	s_waitcnt lgkmcnt(2)
	v_wmma_f32_16x16x16_bf16 v[65:72], v[17:24], v[33:40], v[65:72]
	s_waitcnt lgkmcnt(0)
	s_delay_alu instid0(VALU_DEP_1) | instskip(NEXT) | instid1(VALU_DEP_1)
	v_wmma_f32_16x16x16_bf16 v[65:72], v[49:56], v[25:32], v[65:72]
	v_and_b32_e32 v1, 0x7f800000, v65
	s_delay_alu instid0(VALU_DEP_1) | instskip(SKIP_1) | instid1(SALU_CYCLE_1)
	v_cmp_ne_u32_e32 vcc_lo, 0x7f800000, v1
                                        ; implicit-def: $vgpr1
	s_and_saveexec_b32 s4, vcc_lo
	s_xor_b32 s4, exec_lo, s4
; %bb.79:
	v_bfe_u32 v1, v65, 16, 1
	s_delay_alu instid0(VALU_DEP_1)
	v_add3_u32 v1, v65, v1, 0x7fff
; %bb.80:
	s_and_not1_saveexec_b32 s4, s4
; %bb.81:
	v_and_b32_e32 v1, 0xffff, v65
	v_or_b32_e32 v2, 0x10000, v65
	s_delay_alu instid0(VALU_DEP_2) | instskip(NEXT) | instid1(VALU_DEP_2)
	v_cmp_eq_u32_e32 vcc_lo, 0, v1
	v_cndmask_b32_e32 v1, v2, v65, vcc_lo
; %bb.82:
	s_or_b32 exec_lo, exec_lo, s4
	v_and_b32_e32 v2, 0x7f800000, v66
	s_delay_alu instid0(VALU_DEP_1) | instskip(SKIP_1) | instid1(SALU_CYCLE_1)
	v_cmp_ne_u32_e32 vcc_lo, 0x7f800000, v2
                                        ; implicit-def: $vgpr2
	s_and_saveexec_b32 s4, vcc_lo
	s_xor_b32 s4, exec_lo, s4
; %bb.83:
	v_bfe_u32 v2, v66, 16, 1
	s_delay_alu instid0(VALU_DEP_1)
	v_add3_u32 v2, v66, v2, 0x7fff
; %bb.84:
	s_and_not1_saveexec_b32 s4, s4
; %bb.85:
	v_and_b32_e32 v2, 0xffff, v66
	v_or_b32_e32 v3, 0x10000, v66
	s_delay_alu instid0(VALU_DEP_2) | instskip(NEXT) | instid1(VALU_DEP_2)
	v_cmp_eq_u32_e32 vcc_lo, 0, v2
	v_cndmask_b32_e32 v2, v3, v66, vcc_lo
; %bb.86:
	s_or_b32 exec_lo, exec_lo, s4
	v_and_b32_e32 v3, 0x7f800000, v67
	s_delay_alu instid0(VALU_DEP_1) | instskip(SKIP_1) | instid1(SALU_CYCLE_1)
	v_cmp_ne_u32_e32 vcc_lo, 0x7f800000, v3
                                        ; implicit-def: $vgpr3
	s_and_saveexec_b32 s4, vcc_lo
	s_xor_b32 s4, exec_lo, s4
; %bb.87:
	v_bfe_u32 v3, v67, 16, 1
	s_delay_alu instid0(VALU_DEP_1)
	v_add3_u32 v3, v67, v3, 0x7fff
; %bb.88:
	s_and_not1_saveexec_b32 s4, s4
; %bb.89:
	v_and_b32_e32 v3, 0xffff, v67
	v_or_b32_e32 v4, 0x10000, v67
	s_delay_alu instid0(VALU_DEP_2) | instskip(NEXT) | instid1(VALU_DEP_2)
	v_cmp_eq_u32_e32 vcc_lo, 0, v3
	v_cndmask_b32_e32 v3, v4, v67, vcc_lo
; %bb.90:
	s_or_b32 exec_lo, exec_lo, s4
	v_and_b32_e32 v4, 0x7f800000, v68
	s_delay_alu instid0(VALU_DEP_1) | instskip(SKIP_1) | instid1(SALU_CYCLE_1)
	v_cmp_ne_u32_e32 vcc_lo, 0x7f800000, v4
                                        ; implicit-def: $vgpr4
	s_and_saveexec_b32 s4, vcc_lo
	s_xor_b32 s4, exec_lo, s4
; %bb.91:
	v_bfe_u32 v4, v68, 16, 1
	s_delay_alu instid0(VALU_DEP_1)
	v_add3_u32 v4, v68, v4, 0x7fff
; %bb.92:
	s_and_not1_saveexec_b32 s4, s4
; %bb.93:
	v_and_b32_e32 v4, 0xffff, v68
	v_or_b32_e32 v5, 0x10000, v68
	s_delay_alu instid0(VALU_DEP_2) | instskip(NEXT) | instid1(VALU_DEP_2)
	v_cmp_eq_u32_e32 vcc_lo, 0, v4
	v_cndmask_b32_e32 v4, v5, v68, vcc_lo
; %bb.94:
	s_or_b32 exec_lo, exec_lo, s4
	v_and_b32_e32 v5, 0x7f800000, v69
	s_delay_alu instid0(VALU_DEP_1) | instskip(SKIP_1) | instid1(SALU_CYCLE_1)
	v_cmp_ne_u32_e32 vcc_lo, 0x7f800000, v5
                                        ; implicit-def: $vgpr5
	s_and_saveexec_b32 s4, vcc_lo
	s_xor_b32 s4, exec_lo, s4
; %bb.95:
	v_bfe_u32 v5, v69, 16, 1
	s_delay_alu instid0(VALU_DEP_1)
	v_add3_u32 v5, v69, v5, 0x7fff
; %bb.96:
	s_and_not1_saveexec_b32 s4, s4
; %bb.97:
	v_and_b32_e32 v5, 0xffff, v69
	v_or_b32_e32 v6, 0x10000, v69
	s_delay_alu instid0(VALU_DEP_2) | instskip(NEXT) | instid1(VALU_DEP_2)
	v_cmp_eq_u32_e32 vcc_lo, 0, v5
	v_cndmask_b32_e32 v5, v6, v69, vcc_lo
; %bb.98:
	s_or_b32 exec_lo, exec_lo, s4
	v_and_b32_e32 v6, 0x7f800000, v70
	s_delay_alu instid0(VALU_DEP_1) | instskip(SKIP_1) | instid1(SALU_CYCLE_1)
	v_cmp_ne_u32_e32 vcc_lo, 0x7f800000, v6
                                        ; implicit-def: $vgpr6
	s_and_saveexec_b32 s4, vcc_lo
	s_xor_b32 s4, exec_lo, s4
; %bb.99:
	v_bfe_u32 v6, v70, 16, 1
	s_delay_alu instid0(VALU_DEP_1)
	v_add3_u32 v6, v70, v6, 0x7fff
; %bb.100:
	s_and_not1_saveexec_b32 s4, s4
; %bb.101:
	v_and_b32_e32 v6, 0xffff, v70
	v_or_b32_e32 v7, 0x10000, v70
	s_delay_alu instid0(VALU_DEP_2) | instskip(NEXT) | instid1(VALU_DEP_2)
	v_cmp_eq_u32_e32 vcc_lo, 0, v6
	v_cndmask_b32_e32 v6, v7, v70, vcc_lo
; %bb.102:
	s_or_b32 exec_lo, exec_lo, s4
	v_and_b32_e32 v7, 0x7f800000, v71
	s_delay_alu instid0(VALU_DEP_1) | instskip(SKIP_1) | instid1(SALU_CYCLE_1)
	v_cmp_ne_u32_e32 vcc_lo, 0x7f800000, v7
                                        ; implicit-def: $vgpr7
	s_and_saveexec_b32 s4, vcc_lo
	s_xor_b32 s4, exec_lo, s4
; %bb.103:
	v_bfe_u32 v7, v71, 16, 1
	s_delay_alu instid0(VALU_DEP_1)
	v_add3_u32 v7, v71, v7, 0x7fff
; %bb.104:
	s_and_not1_saveexec_b32 s4, s4
; %bb.105:
	v_and_b32_e32 v7, 0xffff, v71
	v_or_b32_e32 v8, 0x10000, v71
	s_delay_alu instid0(VALU_DEP_2) | instskip(NEXT) | instid1(VALU_DEP_2)
	v_cmp_eq_u32_e32 vcc_lo, 0, v7
	v_cndmask_b32_e32 v7, v8, v71, vcc_lo
; %bb.106:
	s_or_b32 exec_lo, exec_lo, s4
	v_and_b32_e32 v8, 0x7f800000, v72
	s_delay_alu instid0(VALU_DEP_1) | instskip(SKIP_1) | instid1(SALU_CYCLE_1)
	v_cmp_ne_u32_e32 vcc_lo, 0x7f800000, v8
                                        ; implicit-def: $vgpr8
	s_and_saveexec_b32 s4, vcc_lo
	s_xor_b32 s4, exec_lo, s4
; %bb.107:
	v_bfe_u32 v8, v72, 16, 1
	s_delay_alu instid0(VALU_DEP_1)
	v_add3_u32 v8, v72, v8, 0x7fff
                                        ; implicit-def: $vgpr65_vgpr66_vgpr67_vgpr68_vgpr69_vgpr70_vgpr71_vgpr72
; %bb.108:
	s_and_not1_saveexec_b32 s4, s4
; %bb.109:
	v_and_b32_e32 v8, 0xffff, v72
	v_or_b32_e32 v9, 0x10000, v72
	s_delay_alu instid0(VALU_DEP_2) | instskip(NEXT) | instid1(VALU_DEP_2)
	v_cmp_eq_u32_e32 vcc_lo, 0, v8
	v_cndmask_b32_e32 v8, v9, v72, vcc_lo
; %bb.110:
	s_or_b32 exec_lo, exec_lo, s4
	s_delay_alu instid0(VALU_DEP_1)
	v_perm_b32 v7, v8, v7, 0x7060302
	v_perm_b32 v6, v6, v5, 0x7060302
	v_perm_b32 v5, v4, v3, 0x7060302
	v_perm_b32 v4, v2, v1, 0x7060302
	s_barrier
	buffer_gl0_inv
	v_cmp_eq_u32_e32 vcc_lo, 1, v78
	ds_store_b128 v76, v[4:7]
	s_waitcnt lgkmcnt(0)
	s_barrier
	buffer_gl0_inv
	ds_load_b128 v[1:4], v82
	ds_load_b128 v[5:8], v82 offset:16
	v_cmp_eq_u32_e64 s4, 1, v79
	v_cmp_eq_u32_e64 s5, 2, v78
	;; [unrolled: 1-line block ×5, first 2 shown]
	s_waitcnt lgkmcnt(1)
	v_lshrrev_b32_e32 v9, 16, v1
	s_waitcnt lgkmcnt(0)
	v_lshrrev_b32_e32 v13, 16, v5
	v_lshrrev_b32_e32 v10, 16, v2
	;; [unrolled: 1-line block ×4, first 2 shown]
	v_cndmask_b32_e64 v19, v1, v9, s4
	v_cndmask_b32_e32 v18, v5, v13, vcc_lo
	v_cndmask_b32_e64 v20, v5, v13, s4
	v_cndmask_b32_e32 v17, v1, v9, vcc_lo
	v_cmp_eq_u32_e32 vcc_lo, 2, v79
	v_lshrrev_b32_e32 v15, 16, v7
	v_cmp_eq_u32_e64 s4, 1, v77
	v_lshrrev_b32_e32 v12, 16, v4
	v_lshrrev_b32_e32 v16, 16, v8
	v_cndmask_b32_e32 v20, v20, v6, vcc_lo
	v_cndmask_b32_e64 v17, v17, v2, s5
	v_cndmask_b32_e32 v19, v19, v2, vcc_lo
	v_cndmask_b32_e64 v18, v18, v6, s5
	v_cmp_eq_u32_e32 vcc_lo, 4, v78
	v_cmp_eq_u32_e64 s5, 3, v79
	v_cndmask_b32_e64 v17, v17, v10, s6
	v_cndmask_b32_e64 v21, v1, v9, s4
	;; [unrolled: 1-line block ×5, first 2 shown]
	v_cndmask_b32_e32 v17, v17, v3, vcc_lo
	v_cndmask_b32_e64 v20, v20, v14, s5
	v_cndmask_b32_e32 v18, v18, v7, vcc_lo
	v_cmp_eq_u32_e32 vcc_lo, 4, v79
	v_cmp_eq_u32_e64 s5, 5, v79
	v_cmp_eq_u32_e64 s4, 2, v81
	v_cndmask_b32_e64 v21, v21, v2, s8
	v_cmp_eq_u32_e64 s6, 5, v78
	v_cndmask_b32_e32 v19, v19, v3, vcc_lo
	v_cndmask_b32_e32 v20, v20, v7, vcc_lo
	v_cmp_eq_u32_e32 vcc_lo, 6, v79
	s_delay_alu instid0(VALU_DEP_4) | instskip(NEXT) | instid1(VALU_DEP_4)
	v_cndmask_b32_e64 v17, v17, v11, s6
	v_cndmask_b32_e64 v19, v19, v11, s5
	s_delay_alu instid0(VALU_DEP_4) | instskip(SKIP_1) | instid1(VALU_DEP_3)
	v_cndmask_b32_e64 v20, v20, v15, s5
	v_cmp_eq_u32_e64 s5, 1, v81
	v_cndmask_b32_e32 v19, v19, v4, vcc_lo
	v_cndmask_b32_e64 v18, v18, v15, s6
	s_delay_alu instid0(VALU_DEP_3)
	v_cndmask_b32_e64 v1, v1, v9, s5
	v_cndmask_b32_e64 v5, v5, v13, s5
	v_cmp_eq_u32_e64 s5, 3, v77
	v_cndmask_b32_e64 v13, v22, v6, s8
	v_cmp_eq_u32_e64 s8, 3, v81
	v_cndmask_b32_e64 v1, v1, v2, s4
	v_cndmask_b32_e64 v2, v5, v6, s4
	;; [unrolled: 1-line block ×3, first 2 shown]
	v_cmp_eq_u32_e64 s4, 4, v77
	v_cndmask_b32_e64 v6, v13, v14, s5
	v_cndmask_b32_e64 v1, v1, v10, s8
	v_cmp_eq_u32_e64 s5, 4, v81
	v_cndmask_b32_e64 v2, v2, v14, s8
	v_cndmask_b32_e64 v5, v9, v3, s4
	;; [unrolled: 3-line block ×3, first 2 shown]
	v_cndmask_b32_e64 v2, v2, v7, s5
	v_cmp_eq_u32_e64 s4, 5, v81
	v_cmp_eq_u32_e64 s6, 6, v78
	v_cndmask_b32_e64 v5, v5, v11, s8
	v_cmp_eq_u32_e64 s5, 6, v77
	v_cndmask_b32_e64 v3, v6, v15, s8
	v_cndmask_b32_e64 v1, v1, v11, s4
	v_cmp_eq_u32_e64 s8, 6, v81
	v_cndmask_b32_e64 v2, v2, v15, s4
	v_cndmask_b32_e64 v17, v17, v4, s6
	v_cndmask_b32_e64 v18, v18, v8, s6
	v_cmp_eq_u32_e64 s6, 7, v78
	v_cndmask_b32_e64 v5, v5, v4, s5
	;; [unrolled: 4-line block ×3, first 2 shown]
	v_cmp_eq_u32_e64 s5, 7, v77
	v_cndmask_b32_e32 v4, v20, v8, vcc_lo
	v_cndmask_b32_e64 v17, v17, v12, s6
	v_cndmask_b32_e64 v19, v19, v12, s7
	v_cndmask_b32_e64 v1, v1, v12, s4
	v_cndmask_b32_e64 v5, v5, v12, s5
	v_cndmask_b32_e64 v2, v2, v16, s4
	v_cndmask_b32_e64 v3, v3, v16, s5
	v_cndmask_b32_e64 v6, v4, v16, s7
	v_cndmask_b32_e64 v7, v18, v16, s6
	v_cmp_gt_u32_e32 vcc_lo, 32, v0
	v_perm_b32 v4, v2, v1, 0x5040100
	v_perm_b32 v3, v3, v5, 0x5040100
	;; [unrolled: 1-line block ×4, first 2 shown]
	s_and_b32 s2, vcc_lo, s2
	ds_store_b128 v76, v[1:4]
	s_waitcnt lgkmcnt(0)
	s_barrier
	buffer_gl0_inv
	s_and_saveexec_b32 s4, s2
	s_cbranch_execz .LBB1460_2
; %bb.111:
	s_load_b64 s[4:5], s[0:1], 0x68
	v_add_nc_u32_e32 v20, s31, v74
	v_lshlrev_b32_e32 v0, 10, v0
	v_lshlrev_b32_e32 v1, 4, v75
	s_lshl_b32 s0, s36, 6
	s_delay_alu instid0(SALU_CYCLE_1)
	s_mul_i32 s1, s0, s34
	v_add_nc_u32_e32 v2, 2, v20
	s_mul_i32 s6, s1, s9
	v_and_or_b32 v0, 0x3800, v0, v1
	v_mul_lo_u32 v1, v20, s0
	s_ashr_i32 s7, s6, 31
	v_mul_lo_u32 v11, v2, s0
	s_lshl_b64 s[6:7], s[6:7], 1
	v_add_nc_u32_e32 v3, 4, v20
	v_lshl_or_b32 v21, v74, 6, v0
	v_add_nc_u32_e32 v16, 6, v20
	v_ashrrev_i32_e32 v2, 31, v1
	s_delay_alu instid0(VALU_DEP_4)
	v_mul_lo_u32 v13, v3, s0
	s_waitcnt lgkmcnt(0)
	s_add_u32 s1, s4, s6
	s_addc_u32 s2, s5, s7
	s_lshl_b32 s4, s14, 6
	ds_load_b128 v[3:6], v21
	ds_load_b128 v[7:10], v21 offset:128
	s_ashr_i32 s5, s4, 31
	v_ashrrev_i32_e32 v12, 31, v11
	s_lshl_b64 s[4:5], s[4:5], 1
	v_lshlrev_b64 v[14:15], 1, v[1:2]
	s_add_u32 s1, s1, s4
	s_addc_u32 s2, s2, s5
	v_add_co_u32 v1, s1, s1, v73
	s_delay_alu instid0(VALU_DEP_1) | instskip(SKIP_1) | instid1(VALU_DEP_3)
	v_add_co_ci_u32_e64 v2, null, s2, 0, s1
	v_lshlrev_b64 v[11:12], 1, v[11:12]
	v_add_co_u32 v18, vcc_lo, v1, v14
	v_mul_lo_u32 v16, v16, s0
	s_delay_alu instid0(VALU_DEP_4) | instskip(NEXT) | instid1(VALU_DEP_4)
	v_add_co_ci_u32_e32 v19, vcc_lo, v2, v15, vcc_lo
	v_add_co_u32 v11, vcc_lo, v1, v11
	v_ashrrev_i32_e32 v14, 31, v13
	v_add_co_ci_u32_e32 v12, vcc_lo, v2, v12, vcc_lo
	v_add_nc_u32_e32 v15, 8, v20
	v_ashrrev_i32_e32 v17, 31, v16
	s_waitcnt lgkmcnt(1)
	global_store_b128 v[18:19], v[3:6], off
	v_lshlrev_b64 v[3:4], 1, v[13:14]
	s_waitcnt lgkmcnt(0)
	global_store_b128 v[11:12], v[7:10], off
	v_mul_lo_u32 v11, v15, s0
	v_add_nc_u32_e32 v7, 10, v20
	v_lshlrev_b64 v[5:6], 1, v[16:17]
	v_add_co_u32 v23, vcc_lo, v1, v3
	v_add_nc_u32_e32 v3, 12, v20
	s_delay_alu instid0(VALU_DEP_4)
	v_mul_lo_u32 v25, v7, s0
	v_ashrrev_i32_e32 v12, 31, v11
	v_add_co_ci_u32_e32 v24, vcc_lo, v2, v4, vcc_lo
	v_add_co_u32 v27, vcc_lo, v1, v5
	v_mul_lo_u32 v29, v3, s0
	v_add_co_ci_u32_e32 v28, vcc_lo, v2, v6, vcc_lo
	ds_load_b128 v[3:6], v21 offset:256
	ds_load_b128 v[7:10], v21 offset:384
	v_lshlrev_b64 v[31:32], 1, v[11:12]
	ds_load_b128 v[11:14], v21 offset:512
	ds_load_b128 v[15:18], v21 offset:640
	;; [unrolled: 1-line block ×3, first 2 shown]
	v_ashrrev_i32_e32 v26, 31, v25
	v_ashrrev_i32_e32 v30, 31, v29
	v_add_co_u32 v31, vcc_lo, v1, v31
	s_delay_alu instid0(VALU_DEP_3) | instskip(NEXT) | instid1(VALU_DEP_3)
	v_lshlrev_b64 v[25:26], 1, v[25:26]
	v_lshlrev_b64 v[29:30], 1, v[29:30]
	v_add_co_ci_u32_e32 v32, vcc_lo, v2, v32, vcc_lo
	s_delay_alu instid0(VALU_DEP_3) | instskip(NEXT) | instid1(VALU_DEP_4)
	v_add_co_u32 v25, vcc_lo, v1, v25
	v_add_co_ci_u32_e32 v26, vcc_lo, v2, v26, vcc_lo
	s_delay_alu instid0(VALU_DEP_4)
	v_add_co_u32 v29, vcc_lo, v1, v29
	v_add_co_ci_u32_e32 v30, vcc_lo, v2, v30, vcc_lo
	s_waitcnt lgkmcnt(4)
	global_store_b128 v[23:24], v[3:6], off
	s_waitcnt lgkmcnt(3)
	global_store_b128 v[27:28], v[7:10], off
	;; [unrolled: 2-line block ×5, first 2 shown]
	s_and_b32 exec_lo, exec_lo, s3
	s_cbranch_execz .LBB1460_2
; %bb.112:
	ds_load_b128 v[3:6], v0 offset:896
	s_add_i32 s1, s31, 14
	s_delay_alu instid0(SALU_CYCLE_1) | instskip(NEXT) | instid1(SALU_CYCLE_1)
	s_mul_i32 s0, s1, s0
	s_ashr_i32 s1, s0, 31
	s_delay_alu instid0(SALU_CYCLE_1) | instskip(NEXT) | instid1(SALU_CYCLE_1)
	s_lshl_b64 s[0:1], s[0:1], 1
	v_add_co_u32 v0, vcc_lo, v1, s0
	v_add_co_ci_u32_e32 v1, vcc_lo, s1, v2, vcc_lo
	s_waitcnt lgkmcnt(0)
	global_store_b128 v[0:1], v[3:6], off
	s_nop 0
	s_sendmsg sendmsg(MSG_DEALLOC_VGPRS)
	s_endpgm
	.section	.rodata,"a",@progbits
	.p2align	6, 0x0
	.amdhsa_kernel _Z39paged_attention_ll4mi_QKV_mfma16_kernelI14__hip_bfloat16hLN4vllm18Fp8KVCacheDataTypeE1EhLi32ELi64ELi256ELb0ELi15EL8MFMAType1EEvPKT_PKT0_S9_ifPKiSB_SB_iPKfiiiPfSE_PS4_PT2_iSD_SD_
		.amdhsa_group_segment_fixed_size 17472
		.amdhsa_private_segment_fixed_size 0
		.amdhsa_kernarg_size 400
		.amdhsa_user_sgpr_count 13
		.amdhsa_user_sgpr_dispatch_ptr 0
		.amdhsa_user_sgpr_queue_ptr 0
		.amdhsa_user_sgpr_kernarg_segment_ptr 1
		.amdhsa_user_sgpr_dispatch_id 0
		.amdhsa_user_sgpr_private_segment_size 0
		.amdhsa_wavefront_size32 1
		.amdhsa_uses_dynamic_stack 0
		.amdhsa_enable_private_segment 0
		.amdhsa_system_sgpr_workgroup_id_x 1
		.amdhsa_system_sgpr_workgroup_id_y 1
		.amdhsa_system_sgpr_workgroup_id_z 1
		.amdhsa_system_sgpr_workgroup_info 0
		.amdhsa_system_vgpr_workitem_id 0
		.amdhsa_next_free_vgpr 124
		.amdhsa_next_free_sgpr 42
		.amdhsa_reserve_vcc 1
		.amdhsa_float_round_mode_32 0
		.amdhsa_float_round_mode_16_64 0
		.amdhsa_float_denorm_mode_32 3
		.amdhsa_float_denorm_mode_16_64 3
		.amdhsa_dx10_clamp 1
		.amdhsa_ieee_mode 1
		.amdhsa_fp16_overflow 0
		.amdhsa_workgroup_processor_mode 1
		.amdhsa_memory_ordered 1
		.amdhsa_forward_progress 0
		.amdhsa_shared_vgpr_count 0
		.amdhsa_exception_fp_ieee_invalid_op 0
		.amdhsa_exception_fp_denorm_src 0
		.amdhsa_exception_fp_ieee_div_zero 0
		.amdhsa_exception_fp_ieee_overflow 0
		.amdhsa_exception_fp_ieee_underflow 0
		.amdhsa_exception_fp_ieee_inexact 0
		.amdhsa_exception_int_div_zero 0
	.end_amdhsa_kernel
	.section	.text._Z39paged_attention_ll4mi_QKV_mfma16_kernelI14__hip_bfloat16hLN4vllm18Fp8KVCacheDataTypeE1EhLi32ELi64ELi256ELb0ELi15EL8MFMAType1EEvPKT_PKT0_S9_ifPKiSB_SB_iPKfiiiPfSE_PS4_PT2_iSD_SD_,"axG",@progbits,_Z39paged_attention_ll4mi_QKV_mfma16_kernelI14__hip_bfloat16hLN4vllm18Fp8KVCacheDataTypeE1EhLi32ELi64ELi256ELb0ELi15EL8MFMAType1EEvPKT_PKT0_S9_ifPKiSB_SB_iPKfiiiPfSE_PS4_PT2_iSD_SD_,comdat
.Lfunc_end1460:
	.size	_Z39paged_attention_ll4mi_QKV_mfma16_kernelI14__hip_bfloat16hLN4vllm18Fp8KVCacheDataTypeE1EhLi32ELi64ELi256ELb0ELi15EL8MFMAType1EEvPKT_PKT0_S9_ifPKiSB_SB_iPKfiiiPfSE_PS4_PT2_iSD_SD_, .Lfunc_end1460-_Z39paged_attention_ll4mi_QKV_mfma16_kernelI14__hip_bfloat16hLN4vllm18Fp8KVCacheDataTypeE1EhLi32ELi64ELi256ELb0ELi15EL8MFMAType1EEvPKT_PKT0_S9_ifPKiSB_SB_iPKfiiiPfSE_PS4_PT2_iSD_SD_
                                        ; -- End function
	.section	.AMDGPU.csdata,"",@progbits
; Kernel info:
; codeLenInByte = 9028
; NumSgprs: 44
; NumVgprs: 124
; ScratchSize: 0
; MemoryBound: 0
; FloatMode: 240
; IeeeMode: 1
; LDSByteSize: 17472 bytes/workgroup (compile time only)
; SGPRBlocks: 5
; VGPRBlocks: 15
; NumSGPRsForWavesPerEU: 44
; NumVGPRsForWavesPerEU: 124
; Occupancy: 10
; WaveLimiterHint : 1
; COMPUTE_PGM_RSRC2:SCRATCH_EN: 0
; COMPUTE_PGM_RSRC2:USER_SGPR: 13
; COMPUTE_PGM_RSRC2:TRAP_HANDLER: 0
; COMPUTE_PGM_RSRC2:TGID_X_EN: 1
; COMPUTE_PGM_RSRC2:TGID_Y_EN: 1
; COMPUTE_PGM_RSRC2:TGID_Z_EN: 1
; COMPUTE_PGM_RSRC2:TIDIG_COMP_CNT: 0
	.section	.text._Z39paged_attention_ll4mi_QKV_mfma16_kernelI14__hip_bfloat16hLN4vllm18Fp8KVCacheDataTypeE1EhLi32ELi64ELi256ELb0ELi16EL8MFMAType1EEvPKT_PKT0_S9_ifPKiSB_SB_iPKfiiiPfSE_PS4_PT2_iSD_SD_,"axG",@progbits,_Z39paged_attention_ll4mi_QKV_mfma16_kernelI14__hip_bfloat16hLN4vllm18Fp8KVCacheDataTypeE1EhLi32ELi64ELi256ELb0ELi16EL8MFMAType1EEvPKT_PKT0_S9_ifPKiSB_SB_iPKfiiiPfSE_PS4_PT2_iSD_SD_,comdat
	.protected	_Z39paged_attention_ll4mi_QKV_mfma16_kernelI14__hip_bfloat16hLN4vllm18Fp8KVCacheDataTypeE1EhLi32ELi64ELi256ELb0ELi16EL8MFMAType1EEvPKT_PKT0_S9_ifPKiSB_SB_iPKfiiiPfSE_PS4_PT2_iSD_SD_ ; -- Begin function _Z39paged_attention_ll4mi_QKV_mfma16_kernelI14__hip_bfloat16hLN4vllm18Fp8KVCacheDataTypeE1EhLi32ELi64ELi256ELb0ELi16EL8MFMAType1EEvPKT_PKT0_S9_ifPKiSB_SB_iPKfiiiPfSE_PS4_PT2_iSD_SD_
	.globl	_Z39paged_attention_ll4mi_QKV_mfma16_kernelI14__hip_bfloat16hLN4vllm18Fp8KVCacheDataTypeE1EhLi32ELi64ELi256ELb0ELi16EL8MFMAType1EEvPKT_PKT0_S9_ifPKiSB_SB_iPKfiiiPfSE_PS4_PT2_iSD_SD_
	.p2align	8
	.type	_Z39paged_attention_ll4mi_QKV_mfma16_kernelI14__hip_bfloat16hLN4vllm18Fp8KVCacheDataTypeE1EhLi32ELi64ELi256ELb0ELi16EL8MFMAType1EEvPKT_PKT0_S9_ifPKiSB_SB_iPKfiiiPfSE_PS4_PT2_iSD_SD_,@function
_Z39paged_attention_ll4mi_QKV_mfma16_kernelI14__hip_bfloat16hLN4vllm18Fp8KVCacheDataTypeE1EhLi32ELi64ELi256ELb0ELi16EL8MFMAType1EEvPKT_PKT0_S9_ifPKiSB_SB_iPKfiiiPfSE_PS4_PT2_iSD_SD_: ; @_Z39paged_attention_ll4mi_QKV_mfma16_kernelI14__hip_bfloat16hLN4vllm18Fp8KVCacheDataTypeE1EhLi32ELi64ELi256ELb0ELi16EL8MFMAType1EEvPKT_PKT0_S9_ifPKiSB_SB_iPKfiiiPfSE_PS4_PT2_iSD_SD_
; %bb.0:
	s_load_b64 s[2:3], s[0:1], 0x30
	s_mov_b32 s30, s13
	s_waitcnt lgkmcnt(0)
	s_cmp_lg_u64 s[2:3], 0
	s_cselect_b32 s8, -1, 0
	s_ashr_i32 s31, s13, 31
	s_cmp_eq_u64 s[2:3], 0
	s_cbranch_scc1 .LBB1461_3
; %bb.1:
	s_lshl_b64 s[4:5], s[30:31], 2
	s_delay_alu instid0(SALU_CYCLE_1) | instskip(SKIP_4) | instid1(SALU_CYCLE_1)
	s_add_u32 s4, s2, s4
	s_addc_u32 s5, s3, s5
	s_load_b64 s[4:5], s[4:5], 0x0
	s_waitcnt lgkmcnt(0)
	s_sub_i32 s4, s5, s4
	s_cmp_eq_u32 s4, 1
	s_cselect_b32 s4, -1, 0
	s_delay_alu instid0(SALU_CYCLE_1)
	s_and_not1_b32 vcc_lo, exec_lo, s4
	s_cbranch_vccz .LBB1461_4
.LBB1461_2:
	s_endpgm
.LBB1461_3:
.LBB1461_4:
	s_load_b64 s[4:5], s[0:1], 0x28
	s_lshl_b64 s[6:7], s[30:31], 2
	s_waitcnt lgkmcnt(0)
	s_add_u32 s4, s4, s6
	s_addc_u32 s5, s5, s7
	s_lshl_b32 s12, s14, 8
	s_load_b32 s24, s[4:5], 0x0
	s_waitcnt lgkmcnt(0)
	s_cmp_ge_i32 s12, s24
	s_cbranch_scc1 .LBB1461_2
; %bb.5:
	s_clause 0x1
	s_load_b128 s[20:23], s[0:1], 0x8
	s_load_b64 s[4:5], s[0:1], 0x20
	s_and_not1_b32 vcc_lo, exec_lo, s8
	s_cbranch_vccnz .LBB1461_7
; %bb.6:
	s_add_u32 s2, s2, s6
	s_addc_u32 s3, s3, s7
	s_load_b32 s3, s[2:3], 0x0
	s_branch .LBB1461_8
.LBB1461_7:
	s_mov_b32 s3, s30
.LBB1461_8:
	s_load_b128 s[16:19], s[0:1], 0x48
	v_and_b32_e32 v66, 15, v0
	v_cmp_gt_u32_e32 vcc_lo, 0x100, v0
	v_lshrrev_b32_e32 v65, 5, v0
	v_and_b32_e32 v67, 31, v0
	v_and_b32_e32 v75, 1, v0
	v_lshlrev_b32_e32 v1, 3, v66
	v_cmp_gt_u32_e64 s2, 8, v66
	v_bfe_u32 v74, v0, 4, 1
	s_lshl_b32 s31, s15, 4
	s_delay_alu instid0(VALU_DEP_3) | instskip(NEXT) | instid1(VALU_DEP_3)
	v_lshlrev_b32_e32 v73, 1, v1
	s_and_b32 s7, vcc_lo, s2
	s_delay_alu instid0(SALU_CYCLE_1)
	s_and_saveexec_b32 s6, s7
	s_cbranch_execz .LBB1461_10
; %bb.9:
	v_lshl_or_b32 v5, v65, 1, v74
	s_load_b64 s[8:9], s[0:1], 0x0
	s_waitcnt lgkmcnt(0)
	s_mul_hi_i32 s11, s3, s16
	s_mul_i32 s10, s3, s16
	v_lshlrev_b32_e32 v6, 10, v66
	v_or_b32_e32 v1, s31, v5
	s_lshl_b64 s[10:11], s[10:11], 1
	v_lshlrev_b32_e32 v5, 6, v5
	v_lshlrev_b32_e32 v7, 10, v75
	v_and_b32_e32 v6, 0x3800, v6
	v_lshlrev_b32_e32 v1, 6, v1
	s_delay_alu instid0(VALU_DEP_2) | instskip(NEXT) | instid1(VALU_DEP_2)
	v_or3_b32 v5, v6, v7, v5
	v_ashrrev_i32_e32 v2, 31, v1
	s_delay_alu instid0(VALU_DEP_1) | instskip(SKIP_2) | instid1(VALU_DEP_1)
	v_lshlrev_b64 v[1:2], 1, v[1:2]
	s_add_u32 s3, s8, s10
	s_addc_u32 s7, s9, s11
	v_add_co_u32 v1, vcc_lo, s3, v1
	s_delay_alu instid0(VALU_DEP_2) | instskip(NEXT) | instid1(VALU_DEP_2)
	v_add_co_ci_u32_e32 v2, vcc_lo, s7, v2, vcc_lo
	v_add_co_u32 v1, vcc_lo, v1, v73
	s_delay_alu instid0(VALU_DEP_2)
	v_add_co_ci_u32_e32 v2, vcc_lo, 0, v2, vcc_lo
	global_load_b128 v[1:4], v[1:2], off
	s_waitcnt vmcnt(0)
	ds_store_b128 v5, v[1:4]
.LBB1461_10:
	s_or_b32 exec_lo, exec_lo, s6
	v_and_b32_e32 v1, 0xef, v0
	s_waitcnt lgkmcnt(0)
	s_add_i32 s3, s24, 31
	s_clause 0x1
	s_load_b32 s6, s[0:1], 0x38
	s_load_b32 s19, s[0:1], 0x1c
	s_ashr_i32 s7, s3, 31
	v_add_nc_u32_e32 v1, s12, v1
	s_lshr_b32 s7, s7, 27
	s_waitcnt lgkmcnt(0)
	s_add_i32 s3, s3, s7
	s_barrier
	v_ashrrev_i32_e32 v2, 31, v1
	v_or_b32_e32 v3, 16, v1
	s_ashr_i32 s3, s3, 5
	v_cmp_gt_i32_e32 vcc_lo, s24, v1
	s_add_i32 s3, s3, -1
	v_lshrrev_b32_e32 v2, 27, v2
	buffer_gl0_inv
	s_mul_i32 s27, s15, s18
	v_add_nc_u32_e32 v4, v1, v2
	s_mul_i32 s6, s30, s6
	s_delay_alu instid0(SALU_CYCLE_1) | instskip(NEXT) | instid1(VALU_DEP_1)
	s_ashr_i32 s7, s6, 31
	v_ashrrev_i32_e32 v4, 5, v4
	v_add_nc_u32_e32 v2, v3, v2
	s_lshl_b64 s[6:7], s[6:7], 2
	s_delay_alu instid0(SALU_CYCLE_1) | instskip(NEXT) | instid1(VALU_DEP_2)
	s_add_u32 s26, s4, s6
	v_cndmask_b32_e32 v1, s3, v4, vcc_lo
	s_delay_alu instid0(VALU_DEP_2)
	v_ashrrev_i32_e32 v2, 5, v2
	v_cmp_gt_i32_e32 vcc_lo, s24, v3
	s_addc_u32 s25, s5, s7
	s_ashr_i32 s28, s27, 31
	s_add_u32 s4, s20, s27
	s_addc_u32 s5, s21, s28
	v_cndmask_b32_e32 v3, s3, v2, vcc_lo
	v_ashrrev_i32_e32 v2, 31, v1
	s_lshl_b32 s6, s14, 3
	s_delay_alu instid0(SALU_CYCLE_1) | instskip(NEXT) | instid1(VALU_DEP_2)
	s_ashr_i32 s7, s6, 31
	v_ashrrev_i32_e32 v4, 31, v3
	s_delay_alu instid0(VALU_DEP_2) | instskip(SKIP_1) | instid1(SALU_CYCLE_1)
	v_lshlrev_b64 v[1:2], 2, v[1:2]
	s_lshl_b64 s[6:7], s[6:7], 2
	s_add_u32 s6, s26, s6
	s_delay_alu instid0(VALU_DEP_2) | instskip(SKIP_1) | instid1(VALU_DEP_2)
	v_lshlrev_b64 v[3:4], 2, v[3:4]
	s_addc_u32 s7, s25, s7
	v_add_co_u32 v1, vcc_lo, s26, v1
	v_add_co_ci_u32_e32 v2, vcc_lo, s25, v2, vcc_lo
	s_delay_alu instid0(VALU_DEP_3) | instskip(NEXT) | instid1(VALU_DEP_4)
	v_add_co_u32 v3, vcc_lo, s26, v3
	v_add_co_ci_u32_e32 v4, vcc_lo, s25, v4, vcc_lo
	s_clause 0x1
	global_load_b32 v5, v[1:2], off
	global_load_b32 v6, v[3:4], off
	s_or_b32 s8, s12, 32
	s_delay_alu instid0(SALU_CYCLE_1) | instskip(SKIP_2) | instid1(SALU_CYCLE_1)
	s_ashr_i32 s9, s8, 5
	s_cmp_lt_i32 s8, s24
	s_cselect_b32 s8, s9, s3
	s_ashr_i32 s9, s8, 31
	s_delay_alu instid0(SALU_CYCLE_1) | instskip(NEXT) | instid1(SALU_CYCLE_1)
	s_lshl_b64 s[8:9], s[8:9], 2
	s_add_u32 s8, s26, s8
	s_addc_u32 s9, s25, s9
	s_or_b32 s10, s12, 64
	s_delay_alu instid0(SALU_CYCLE_1) | instskip(SKIP_2) | instid1(SALU_CYCLE_1)
	s_ashr_i32 s11, s10, 5
	s_cmp_lt_i32 s10, s24
	s_cselect_b32 s10, s11, s3
	s_ashr_i32 s11, s10, 31
	s_delay_alu instid0(SALU_CYCLE_1) | instskip(NEXT) | instid1(SALU_CYCLE_1)
	s_lshl_b64 s[10:11], s[10:11], 2
	s_add_u32 s10, s26, s10
	s_addc_u32 s11, s25, s11
	;; [unrolled: 10-line block ×5, first 2 shown]
	s_clause 0x5
	s_load_b32 s21, s[6:7], 0x0
	s_load_b32 s13, s[8:9], 0x0
	;; [unrolled: 1-line block ×6, first 2 shown]
	s_or_b32 s6, s12, 0xc0
	s_delay_alu instid0(SALU_CYCLE_1) | instskip(SKIP_2) | instid1(SALU_CYCLE_1)
	s_ashr_i32 s7, s6, 5
	s_cmp_lt_i32 s6, s24
	s_cselect_b32 s10, s7, s3
	s_ashr_i32 s11, s10, 31
	s_delay_alu instid0(SALU_CYCLE_1) | instskip(NEXT) | instid1(SALU_CYCLE_1)
	s_lshl_b64 s[10:11], s[10:11], 2
	s_add_u32 s34, s26, s10
	s_addc_u32 s35, s25, s11
	s_or_b32 s11, s12, 0xe0
	s_delay_alu instid0(SALU_CYCLE_1) | instskip(SKIP_2) | instid1(SALU_CYCLE_1)
	s_ashr_i32 s29, s11, 5
	s_cmp_lt_i32 s11, s24
	s_cselect_b32 s36, s29, s3
	s_ashr_i32 s37, s36, 31
	s_waitcnt vmcnt(1)
	v_mad_i64_i32 v[1:2], null, v5, s17, s[4:5]
	s_waitcnt vmcnt(0)
	v_mad_i64_i32 v[3:4], null, v6, s17, s[4:5]
	s_mov_b32 s4, 0
	s_delay_alu instid0(SALU_CYCLE_1)
	s_mov_b32 s5, s4
	s_mov_b32 s6, s4
	;; [unrolled: 1-line block ×7, first 2 shown]
	s_delay_alu instid0(SALU_CYCLE_1) | instskip(SKIP_2) | instid1(VALU_DEP_3)
	v_dual_mov_b32 v108, s11 :: v_dual_lshlrev_b32 v5, 4, v66
	v_mov_b32_e32 v104, s7
	v_dual_mov_b32 v105, s8 :: v_dual_lshlrev_b32 v76, 6, v66
	v_add_co_u32 v1, vcc_lo, v1, v5
	v_add_co_ci_u32_e32 v2, vcc_lo, 0, v2, vcc_lo
	v_add_co_u32 v3, vcc_lo, v3, v5
	v_add_co_ci_u32_e32 v4, vcc_lo, 0, v4, vcc_lo
	s_clause 0x7
	global_load_b128 v[49:52], v[1:2], off
	global_load_b128 v[53:56], v[1:2], off offset:512
	global_load_b128 v[77:80], v[3:4], off offset:256
	;; [unrolled: 1-line block ×7, first 2 shown]
	v_dual_mov_b32 v102, s5 :: v_dual_lshlrev_b32 v1, 5, v66
	v_dual_mov_b32 v107, s10 :: v_dual_mov_b32 v106, s9
	v_mov_b32_e32 v103, s6
	v_mov_b32_e32 v101, s4
	s_lshl_b64 s[4:5], s[36:37], 2
	v_lshl_or_b32 v1, v65, 9, v1
	s_add_u32 s4, s26, s4
	s_addc_u32 s5, s25, s5
	s_load_b32 s3, s[34:35], 0x0
	ds_load_b128 v[109:112], v76
	ds_load_b128 v[113:116], v76 offset:1024
	s_load_b32 s4, s[4:5], 0x0
	s_add_u32 s6, s22, s27
	s_addc_u32 s7, s23, s28
	v_add_co_u32 v9, s6, s6, v1
	s_delay_alu instid0(VALU_DEP_1) | instskip(SKIP_1) | instid1(VALU_DEP_1)
	v_add_co_ci_u32_e64 v10, null, s7, 0, s6
	s_waitcnt lgkmcnt(0)
	v_mad_i64_i32 v[1:2], null, s21, s17, v[9:10]
	v_mad_i64_i32 v[3:4], null, s13, s17, v[9:10]
	;; [unrolled: 1-line block ×7, first 2 shown]
	s_clause 0x9
	global_load_b128 v[57:60], v[1:2], off
	global_load_b128 v[61:64], v[1:2], off offset:16
	global_load_b128 v[41:44], v[3:4], off
	global_load_b128 v[45:48], v[3:4], off offset:16
	;; [unrolled: 2-line block ×5, first 2 shown]
	v_mad_i64_i32 v[68:69], null, s4, s17, v[9:10]
	s_clause 0x3
	global_load_b128 v[9:12], v[13:14], off
	global_load_b128 v[13:16], v[13:14], off offset:16
	global_load_b128 v[17:20], v[21:22], off
	global_load_b128 v[21:24], v[21:22], off offset:16
	s_waitcnt vmcnt(20)
	v_wmma_f32_16x16x16_bf16 v[117:124], v[49:56], v[109:116], v[101:108]
	s_clause 0x1
	global_load_b128 v[49:52], v[68:69], off
	global_load_b128 v[53:56], v[68:69], off offset:16
	v_and_b32_e32 v68, 0xe0, v0
	v_mbcnt_lo_u32_b32 v69, -1, 0
	s_delay_alu instid0(VALU_DEP_2)
	v_add_nc_u32_e32 v68, s12, v68
	s_waitcnt vmcnt(20)
	v_wmma_f32_16x16x16_bf16 v[101:108], v[77:84], v[109:116], v[101:108]
	ds_load_b128 v[77:80], v76 offset:2048
	ds_load_b128 v[81:84], v76 offset:3072
	v_xor_b32_e32 v70, 16, v69
	s_waitcnt vmcnt(0) lgkmcnt(0)
	v_or_b32_e32 v68, v68, v74
	s_barrier
	buffer_gl0_inv
	v_cmp_gt_i32_e32 vcc_lo, 32, v70
	v_or_b32_e32 v71, 4, v68
	v_or_b32_e32 v72, 6, v68
	v_cmp_gt_i32_e64 s3, s24, v68
	v_or_b32_e32 v109, 8, v68
	s_delay_alu instid0(VALU_DEP_4) | instskip(NEXT) | instid1(VALU_DEP_4)
	v_cmp_gt_i32_e64 s4, s24, v71
	v_cmp_gt_i32_e64 s5, s24, v72
	s_delay_alu instid0(VALU_DEP_3)
	v_cmp_gt_i32_e64 s6, s24, v109
	v_wmma_f32_16x16x16_bf16 v[117:124], v[85:92], v[77:84], v[117:124]
	v_cndmask_b32_e32 v69, v69, v70, vcc_lo
	v_or_b32_e32 v70, 2, v68
	v_wmma_f32_16x16x16_bf16 v[101:108], v[93:100], v[77:84], v[101:108]
	v_or_b32_e32 v85, 10, v68
	v_dual_mul_f32 v80, s19, v124 :: v_dual_mul_f32 v93, s19, v119
	v_dual_mul_f32 v94, s19, v118 :: v_dual_mul_f32 v95, s19, v117
	s_delay_alu instid0(VALU_DEP_4) | instskip(SKIP_2) | instid1(VALU_DEP_4)
	v_mul_f32_e32 v96, s19, v108
	v_cmp_gt_i32_e32 vcc_lo, s24, v70
	v_dual_mul_f32 v83, s19, v121 :: v_dual_mul_f32 v84, s19, v120
	v_cndmask_b32_e64 v95, 0xff7fffff, v95, s3
	v_or_b32_e32 v86, 12, v68
	v_cndmask_b32_e32 v94, 0xff7fffff, v94, vcc_lo
	v_or_b32_e32 v87, 14, v68
	v_dual_mul_f32 v81, s19, v123 :: v_dual_mul_f32 v82, s19, v122
	v_cndmask_b32_e64 v93, 0xff7fffff, v93, s4
	v_cndmask_b32_e64 v72, 0xff7fffff, v84, s5
	v_max3_f32 v84, v95, 0xff7fffff, v94
	v_cmp_gt_i32_e64 s7, s24, v85
	v_or_b32_e32 v88, 16, v68
	v_or_b32_e32 v89, 18, v68
	v_cndmask_b32_e64 v83, 0xff7fffff, v83, s6
	v_max3_f32 v72, v84, v93, v72
	v_cndmask_b32_e64 v82, 0xff7fffff, v82, s7
	v_cmp_gt_i32_e64 s8, s24, v86
	v_cmp_gt_i32_e64 s9, s24, v87
	v_or_b32_e32 v90, 20, v68
	v_or_b32_e32 v91, 22, v68
	v_or_b32_e32 v92, 24, v68
	v_or_b32_e32 v77, 26, v68
	v_or_b32_e32 v78, 28, v68
	v_or_b32_e32 v79, 30, v68
	v_dual_mul_f32 v70, s19, v103 :: v_dual_mul_f32 v71, s19, v101
	v_mul_f32_e32 v68, s19, v102
	v_cndmask_b32_e64 v81, 0xff7fffff, v81, s8
	v_cndmask_b32_e64 v80, 0xff7fffff, v80, s9
	v_max3_f32 v72, v72, v83, v82
	v_cmp_gt_i32_e64 s10, s24, v88
	v_cmp_gt_i32_e64 s11, s24, v89
	v_dual_mul_f32 v99, s19, v105 :: v_dual_mul_f32 v100, s19, v104
	s_delay_alu instid0(VALU_DEP_4) | instskip(NEXT) | instid1(VALU_DEP_4)
	v_max3_f32 v72, v72, v81, v80
	v_cndmask_b32_e64 v71, 0xff7fffff, v71, s10
	s_delay_alu instid0(VALU_DEP_4) | instskip(SKIP_3) | instid1(VALU_DEP_4)
	v_cndmask_b32_e64 v68, 0xff7fffff, v68, s11
	v_cmp_gt_i32_e64 s12, s24, v90
	v_cmp_gt_i32_e64 s13, s24, v91
	v_dual_mul_f32 v97, s19, v107 :: v_dual_mul_f32 v98, s19, v106
	v_max3_f32 v68, v72, v71, v68
	s_delay_alu instid0(VALU_DEP_4) | instskip(NEXT) | instid1(VALU_DEP_4)
	v_cndmask_b32_e64 v70, 0xff7fffff, v70, s12
	v_cndmask_b32_e64 v80, 0xff7fffff, v100, s13
	v_cmp_gt_i32_e64 s15, s24, v92
	v_cmp_gt_i32_e64 s16, s24, v77
	;; [unrolled: 1-line block ×4, first 2 shown]
	v_max3_f32 v68, v68, v70, v80
	v_cndmask_b32_e64 v71, 0xff7fffff, v99, s15
	v_cndmask_b32_e64 v72, 0xff7fffff, v98, s16
	;; [unrolled: 1-line block ×4, first 2 shown]
	v_lshlrev_b32_e32 v90, 2, v69
	s_delay_alu instid0(VALU_DEP_4) | instskip(NEXT) | instid1(VALU_DEP_1)
	v_max3_f32 v68, v68, v71, v72
	v_max3_f32 v68, v68, v70, v77
	ds_bpermute_b32 v69, v90, v68
	s_waitcnt lgkmcnt(0)
	v_max_f32_e32 v69, v69, v69
	s_delay_alu instid0(VALU_DEP_1) | instskip(NEXT) | instid1(VALU_DEP_1)
	v_max_f32_e32 v81, v68, v69
	v_fma_f32 v68, s19, v117, -v81
	v_fma_f32 v69, s19, v118, -v81
	;; [unrolled: 1-line block ×5, first 2 shown]
	s_delay_alu instid0(VALU_DEP_4) | instskip(NEXT) | instid1(VALU_DEP_3)
	v_dual_mul_f32 v68, 0x3fb8aa3b, v68 :: v_dual_mul_f32 v69, 0x3fb8aa3b, v69
	v_dual_mul_f32 v70, 0x3fb8aa3b, v70 :: v_dual_mul_f32 v71, 0x3fb8aa3b, v71
	v_fma_f32 v78, s19, v123, -v81
	s_delay_alu instid0(VALU_DEP_3) | instskip(NEXT) | instid1(VALU_DEP_3)
	v_exp_f32_e32 v68, v68
	v_exp_f32_e32 v69, v69
	s_delay_alu instid0(VALU_DEP_2)
	v_exp_f32_e32 v70, v70
	v_mul_f32_e32 v72, 0x3fb8aa3b, v72
	v_exp_f32_e32 v71, v71
	v_mul_f32_e32 v78, 0x3fb8aa3b, v78
	v_fma_f32 v80, s19, v106, -v81
	v_cndmask_b32_e64 v82, 0, v68, s3
	s_delay_alu instid0(TRANS32_DEP_3) | instskip(SKIP_2) | instid1(TRANS32_DEP_3)
	v_cndmask_b32_e32 v77, 0, v69, vcc_lo
	v_fma_f32 v68, s19, v122, -v81
	v_exp_f32_e32 v72, v72
	v_cndmask_b32_e64 v83, 0, v70, s4
	v_add_f32_e32 v69, 0, v82
	v_fma_f32 v70, s19, v124, -v81
	v_mul_f32_e32 v68, 0x3fb8aa3b, v68
	v_cndmask_b32_e64 v85, 0, v71, s5
	v_fma_f32 v71, s19, v101, -v81
	s_delay_alu instid0(VALU_DEP_4) | instskip(NEXT) | instid1(VALU_DEP_4)
	v_dual_add_f32 v69, v69, v77 :: v_dual_mul_f32 v70, 0x3fb8aa3b, v70
	v_exp_f32_e32 v68, v68
	s_delay_alu instid0(TRANS32_DEP_2) | instskip(SKIP_1) | instid1(VALU_DEP_3)
	v_cndmask_b32_e64 v86, 0, v72, s6
	v_fma_f32 v72, s19, v102, -v81
	v_add_f32_e32 v69, v69, v83
	v_exp_f32_e32 v78, v78
	v_exp_f32_e32 v70, v70
	s_mov_b32 s3, exec_lo
	s_delay_alu instid0(VALU_DEP_1) | instskip(SKIP_1) | instid1(TRANS32_DEP_3)
	v_dual_mul_f32 v72, 0x3fb8aa3b, v72 :: v_dual_add_f32 v69, v69, v85
	v_mul_f32_e32 v71, 0x3fb8aa3b, v71
	v_cndmask_b32_e64 v87, 0, v68, s7
	s_delay_alu instid0(VALU_DEP_3) | instskip(NEXT) | instid1(VALU_DEP_3)
	v_exp_f32_e32 v72, v72
	v_add_f32_e32 v68, v69, v86
	v_fma_f32 v69, s19, v103, -v81
	v_exp_f32_e32 v71, v71
	v_cndmask_b32_e64 v84, 0, v78, s8
	v_fma_f32 v78, s19, v104, -v81
	s_delay_alu instid0(VALU_DEP_3) | instskip(SKIP_2) | instid1(VALU_DEP_3)
	v_dual_add_f32 v68, v68, v87 :: v_dual_mul_f32 v69, 0x3fb8aa3b, v69
	v_cndmask_b32_e64 v88, 0, v70, s9
	v_fma_f32 v70, s19, v105, -v81
	v_exp_f32_e32 v79, v69
	s_delay_alu instid0(TRANS32_DEP_2) | instskip(SKIP_1) | instid1(VALU_DEP_1)
	v_cndmask_b32_e64 v69, 0, v71, s10
	v_add_f32_e32 v68, v68, v84
	v_dual_mul_f32 v78, 0x3fb8aa3b, v78 :: v_dual_add_f32 v71, v68, v88
	s_delay_alu instid0(VALU_DEP_1) | instskip(SKIP_2) | instid1(VALU_DEP_3)
	v_exp_f32_e32 v78, v78
	v_cndmask_b32_e64 v68, 0, v72, s11
	v_fma_f32 v72, s19, v107, -v81
	v_dual_add_f32 v71, v71, v69 :: v_dual_mul_f32 v70, 0x3fb8aa3b, v70
	s_delay_alu instid0(VALU_DEP_1) | instskip(NEXT) | instid1(TRANS32_DEP_3)
	v_exp_f32_e32 v89, v70
	v_cndmask_b32_e64 v70, 0, v79, s12
	s_delay_alu instid0(VALU_DEP_2) | instskip(NEXT) | instid1(TRANS32_DEP_2)
	v_add_f32_e32 v79, v71, v68
	v_cndmask_b32_e64 v71, 0, v78, s13
	s_delay_alu instid0(VALU_DEP_2) | instskip(SKIP_2) | instid1(VALU_DEP_1)
	v_add_f32_e32 v78, v79, v70
	v_mul_f32_e32 v80, 0x3fb8aa3b, v80
	v_fma_f32 v79, s19, v108, -v81
	v_dual_mul_f32 v72, 0x3fb8aa3b, v72 :: v_dual_mul_f32 v79, 0x3fb8aa3b, v79
	s_delay_alu instid0(VALU_DEP_1) | instskip(NEXT) | instid1(TRANS32_DEP_2)
	v_exp_f32_e32 v91, v72
	v_cndmask_b32_e64 v72, 0, v89, s15
	v_add_f32_e32 v89, v78, v71
	v_exp_f32_e32 v80, v80
	s_waitcnt_depctr 0xfff
	v_cndmask_b32_e64 v78, 0, v80, s16
	v_add_f32_e32 v80, v89, v72
	v_exp_f32_e32 v89, v79
	v_cndmask_b32_e64 v79, 0, v91, s17
	s_delay_alu instid0(VALU_DEP_2) | instskip(NEXT) | instid1(VALU_DEP_1)
	v_add_f32_e32 v80, v80, v78
	v_add_f32_e32 v91, v80, v79
	s_waitcnt_depctr 0xfff
	v_cndmask_b32_e64 v80, 0, v89, s18
	s_delay_alu instid0(VALU_DEP_1)
	v_add_f32_e32 v89, v91, v80
	ds_bpermute_b32 v90, v90, v89
	v_cmpx_gt_u32_e32 16, v67
	s_cbranch_execz .LBB1461_12
; %bb.11:
	v_mul_u32_u24_e32 v67, 0x44, v65
	s_waitcnt lgkmcnt(0)
	v_add_f32_e32 v89, v89, v90
	s_delay_alu instid0(VALU_DEP_2) | instskip(NEXT) | instid1(VALU_DEP_1)
	v_lshl_add_u32 v67, v66, 2, v67
	v_add_nc_u32_e32 v67, 0x4000, v67
	ds_store_2addr_b32 v67, v81, v89 offset1:136
.LBB1461_12:
	s_or_b32 exec_lo, exec_lo, s3
	v_lshlrev_b32_e32 v66, 2, v66
	s_waitcnt lgkmcnt(0)
	s_barrier
	buffer_gl0_inv
	v_cmp_eq_u32_e32 vcc_lo, 1, v65
	v_add_nc_u32_e32 v81, 0x4000, v66
	v_cmp_eq_u32_e64 s3, 2, v65
	v_cmp_eq_u32_e64 s5, 7, v65
	ds_load_2addr_b32 v[89:90], v81 offset1:17
	ds_load_2addr_b32 v[91:92], v81 offset0:34 offset1:51
	ds_load_2addr_b32 v[93:94], v81 offset0:68 offset1:85
	;; [unrolled: 1-line block ×4, first 2 shown]
	s_waitcnt lgkmcnt(4)
	v_max3_f32 v66, v89, 0xff7fffff, v90
	s_waitcnt lgkmcnt(3)
	s_delay_alu instid0(VALU_DEP_1) | instskip(SKIP_1) | instid1(VALU_DEP_1)
	v_max3_f32 v66, v66, v91, v92
	s_waitcnt lgkmcnt(2)
	v_max3_f32 v66, v66, v93, v94
	s_waitcnt lgkmcnt(1)
	s_delay_alu instid0(VALU_DEP_1) | instskip(NEXT) | instid1(VALU_DEP_1)
	v_max3_f32 v66, v66, v95, v96
	v_sub_f32_e32 v67, v89, v66
	v_sub_f32_e32 v91, v91, v66
	;; [unrolled: 1-line block ×3, first 2 shown]
	s_delay_alu instid0(VALU_DEP_3) | instskip(NEXT) | instid1(VALU_DEP_3)
	v_mul_f32_e32 v67, 0x3fb8aa3b, v67
	v_mul_f32_e32 v101, 0x3fb8aa3b, v91
	s_delay_alu instid0(VALU_DEP_3) | instskip(NEXT) | instid1(VALU_DEP_3)
	v_mul_f32_e32 v103, 0x3fb8aa3b, v93
	v_exp_f32_e32 v100, v67
	v_sub_f32_e32 v67, v92, v66
	v_sub_f32_e32 v99, v90, v66
	ds_load_2addr_b32 v[89:90], v81 offset0:170 offset1:187
	ds_load_2addr_b32 v[91:92], v81 offset0:204 offset1:221
	v_exp_f32_e32 v101, v101
	v_mul_f32_e32 v102, 0x3fb8aa3b, v67
	v_mul_f32_e32 v99, 0x3fb8aa3b, v99
	s_waitcnt lgkmcnt(2)
	v_fma_f32 v67, v100, v97, 0
	v_sub_f32_e32 v97, v94, v66
	s_delay_alu instid0(VALU_DEP_3)
	v_exp_f32_e32 v99, v99
	v_exp_f32_e32 v102, v102
	ds_load_2addr_b32 v[93:94], v81 offset0:238 offset1:255
	v_sub_f32_e32 v81, v95, v66
	v_mul_f32_e32 v95, 0x3fb8aa3b, v97
	v_exp_f32_e32 v97, v103
	s_waitcnt lgkmcnt(0)
	s_barrier
	v_mul_f32_e32 v81, 0x3fb8aa3b, v81
	v_exp_f32_e32 v95, v95
	v_fmac_f32_e32 v67, v99, v98
	buffer_gl0_inv
	v_exp_f32_e32 v81, v81
	v_fmac_f32_e32 v67, v101, v89
	v_sub_f32_e32 v89, v96, v66
	s_delay_alu instid0(VALU_DEP_2) | instskip(NEXT) | instid1(VALU_DEP_2)
	v_fmac_f32_e32 v67, v102, v90
	v_mul_f32_e32 v89, 0x3fb8aa3b, v89
	s_delay_alu instid0(VALU_DEP_2) | instskip(NEXT) | instid1(VALU_DEP_2)
	v_fmac_f32_e32 v67, v97, v91
	v_exp_f32_e32 v89, v89
	s_delay_alu instid0(VALU_DEP_1)
	v_fmac_f32_e32 v67, v95, v92
	s_delay_alu instid0(TRANS32_DEP_2) | instid1(VALU_DEP_1)
	v_fmac_f32_e32 v67, v81, v93
	s_waitcnt_depctr 0xfff
	v_fmac_f32_e32 v67, v89, v94
	s_delay_alu instid0(VALU_DEP_1) | instskip(NEXT) | instid1(VALU_DEP_1)
	v_add_f32_e32 v90, 0x358637bd, v67
	v_div_scale_f32 v91, null, v90, v90, 1.0
	v_div_scale_f32 v94, s4, 1.0, v90, 1.0
	s_delay_alu instid0(VALU_DEP_2) | instskip(SKIP_2) | instid1(VALU_DEP_1)
	v_rcp_f32_e32 v92, v91
	s_waitcnt_depctr 0xfff
	v_fma_f32 v93, -v91, v92, 1.0
	v_dual_fmac_f32 v92, v93, v92 :: v_dual_cndmask_b32 v93, v100, v99
	v_cmp_eq_u32_e32 vcc_lo, 3, v65
	s_delay_alu instid0(VALU_DEP_2) | instskip(NEXT) | instid1(VALU_DEP_3)
	v_mul_f32_e32 v96, v94, v92
	v_cndmask_b32_e64 v93, v93, v101, s3
	v_cmp_eq_u32_e64 s3, 4, v65
	s_delay_alu instid0(VALU_DEP_3) | instskip(NEXT) | instid1(VALU_DEP_3)
	v_fma_f32 v98, -v91, v96, v94
	v_cndmask_b32_e32 v93, v93, v102, vcc_lo
	v_cmp_eq_u32_e32 vcc_lo, 5, v65
	s_delay_alu instid0(VALU_DEP_3) | instskip(NEXT) | instid1(VALU_DEP_3)
	v_fmac_f32_e32 v96, v98, v92
	v_cndmask_b32_e64 v93, v93, v97, s3
	v_cmp_eq_u32_e64 s3, 6, v65
	s_delay_alu instid0(VALU_DEP_3) | instskip(NEXT) | instid1(VALU_DEP_3)
	v_fma_f32 v91, -v91, v96, v94
	v_cndmask_b32_e32 v93, v93, v95, vcc_lo
	s_mov_b32 vcc_lo, s4
	s_delay_alu instid0(VALU_DEP_2) | instskip(NEXT) | instid1(VALU_DEP_2)
	v_div_fmas_f32 v91, v91, v92, v96
	v_cndmask_b32_e64 v81, v93, v81, s3
	s_mov_b32 s3, exec_lo
	s_delay_alu instid0(VALU_DEP_2) | instskip(NEXT) | instid1(VALU_DEP_2)
	v_div_fixup_f32 v90, v91, v90, 1.0
	v_cndmask_b32_e64 v81, v81, v89, s5
	s_delay_alu instid0(VALU_DEP_1) | instskip(NEXT) | instid1(VALU_DEP_1)
	v_mul_f32_e32 v81, v81, v90
	v_mul_f32_e32 v90, v81, v82
	;; [unrolled: 1-line block ×6, first 2 shown]
	v_dual_mul_f32 v86, v81, v83 :: v_dual_and_b32 v91, 0x7f800000, v90
	v_mul_f32_e32 v89, v81, v85
	v_mul_f32_e32 v85, v81, v77
                                        ; implicit-def: $vgpr77
	s_delay_alu instid0(VALU_DEP_3)
	v_cmpx_ne_u32_e32 0x7f800000, v91
	s_xor_b32 s3, exec_lo, s3
; %bb.13:
	v_bfe_u32 v77, v90, 16, 1
	s_delay_alu instid0(VALU_DEP_1)
	v_add3_u32 v77, v90, v77, 0x7fff
                                        ; implicit-def: $vgpr90
; %bb.14:
	s_and_not1_saveexec_b32 s3, s3
; %bb.15:
	v_and_b32_e32 v77, 0xffff, v90
	v_or_b32_e32 v83, 0x10000, v90
	s_delay_alu instid0(VALU_DEP_2) | instskip(NEXT) | instid1(VALU_DEP_2)
	v_cmp_eq_u32_e32 vcc_lo, 0, v77
	v_cndmask_b32_e32 v77, v83, v90, vcc_lo
; %bb.16:
	s_or_b32 exec_lo, exec_lo, s3
	v_and_b32_e32 v83, 0x7f800000, v85
	s_delay_alu instid0(VALU_DEP_1) | instskip(SKIP_1) | instid1(SALU_CYCLE_1)
	v_cmp_ne_u32_e32 vcc_lo, 0x7f800000, v83
                                        ; implicit-def: $vgpr83
	s_and_saveexec_b32 s3, vcc_lo
	s_xor_b32 s3, exec_lo, s3
; %bb.17:
	v_bfe_u32 v83, v85, 16, 1
	s_delay_alu instid0(VALU_DEP_1)
	v_add3_u32 v83, v85, v83, 0x7fff
                                        ; implicit-def: $vgpr85
; %bb.18:
	s_and_not1_saveexec_b32 s3, s3
; %bb.19:
	v_and_b32_e32 v83, 0xffff, v85
	v_or_b32_e32 v90, 0x10000, v85
	s_delay_alu instid0(VALU_DEP_2) | instskip(NEXT) | instid1(VALU_DEP_2)
	v_cmp_eq_u32_e32 vcc_lo, 0, v83
	v_cndmask_b32_e32 v83, v90, v85, vcc_lo
; %bb.20:
	s_or_b32 exec_lo, exec_lo, s3
	v_and_b32_e32 v85, 0x7f800000, v86
	s_delay_alu instid0(VALU_DEP_1) | instskip(SKIP_1) | instid1(SALU_CYCLE_1)
	v_cmp_ne_u32_e32 vcc_lo, 0x7f800000, v85
                                        ; implicit-def: $vgpr85
	s_and_saveexec_b32 s3, vcc_lo
	s_xor_b32 s3, exec_lo, s3
; %bb.21:
	v_bfe_u32 v85, v86, 16, 1
	s_delay_alu instid0(VALU_DEP_1)
	v_add3_u32 v85, v86, v85, 0x7fff
                                        ; implicit-def: $vgpr86
; %bb.22:
	s_and_not1_saveexec_b32 s3, s3
; %bb.23:
	v_and_b32_e32 v85, 0xffff, v86
	v_or_b32_e32 v90, 0x10000, v86
	s_delay_alu instid0(VALU_DEP_2) | instskip(NEXT) | instid1(VALU_DEP_2)
	v_cmp_eq_u32_e32 vcc_lo, 0, v85
	v_cndmask_b32_e32 v85, v90, v86, vcc_lo
; %bb.24:
	s_or_b32 exec_lo, exec_lo, s3
	v_and_b32_e32 v86, 0x7f800000, v89
	s_delay_alu instid0(VALU_DEP_1) | instskip(SKIP_1) | instid1(SALU_CYCLE_1)
	v_cmp_ne_u32_e32 vcc_lo, 0x7f800000, v86
                                        ; implicit-def: $vgpr86
	s_and_saveexec_b32 s3, vcc_lo
	s_xor_b32 s3, exec_lo, s3
; %bb.25:
	v_bfe_u32 v86, v89, 16, 1
	s_delay_alu instid0(VALU_DEP_1)
	v_add3_u32 v86, v89, v86, 0x7fff
                                        ; implicit-def: $vgpr89
; %bb.26:
	s_and_not1_saveexec_b32 s3, s3
; %bb.27:
	v_and_b32_e32 v86, 0xffff, v89
	v_or_b32_e32 v90, 0x10000, v89
	s_delay_alu instid0(VALU_DEP_2) | instskip(NEXT) | instid1(VALU_DEP_2)
	v_cmp_eq_u32_e32 vcc_lo, 0, v86
	v_cndmask_b32_e32 v86, v90, v89, vcc_lo
; %bb.28:
	s_or_b32 exec_lo, exec_lo, s3
	v_and_b32_e32 v89, 0x7f800000, v88
	s_delay_alu instid0(VALU_DEP_1) | instskip(SKIP_1) | instid1(SALU_CYCLE_1)
	v_cmp_ne_u32_e32 vcc_lo, 0x7f800000, v89
                                        ; implicit-def: $vgpr89
	s_and_saveexec_b32 s3, vcc_lo
	s_xor_b32 s3, exec_lo, s3
; %bb.29:
	v_bfe_u32 v89, v88, 16, 1
	s_delay_alu instid0(VALU_DEP_1)
	v_add3_u32 v89, v88, v89, 0x7fff
                                        ; implicit-def: $vgpr88
; %bb.30:
	s_and_not1_saveexec_b32 s3, s3
; %bb.31:
	v_and_b32_e32 v89, 0xffff, v88
	v_or_b32_e32 v90, 0x10000, v88
	s_delay_alu instid0(VALU_DEP_2) | instskip(NEXT) | instid1(VALU_DEP_2)
	v_cmp_eq_u32_e32 vcc_lo, 0, v89
	v_cndmask_b32_e32 v89, v90, v88, vcc_lo
; %bb.32:
	s_or_b32 exec_lo, exec_lo, s3
	v_and_b32_e32 v88, 0x7f800000, v87
	s_delay_alu instid0(VALU_DEP_1) | instskip(SKIP_1) | instid1(SALU_CYCLE_1)
	v_cmp_ne_u32_e32 vcc_lo, 0x7f800000, v88
                                        ; implicit-def: $vgpr88
	s_and_saveexec_b32 s3, vcc_lo
	s_xor_b32 s3, exec_lo, s3
; %bb.33:
	v_bfe_u32 v88, v87, 16, 1
	s_delay_alu instid0(VALU_DEP_1)
	v_add3_u32 v88, v87, v88, 0x7fff
                                        ; implicit-def: $vgpr87
; %bb.34:
	s_and_not1_saveexec_b32 s3, s3
; %bb.35:
	v_and_b32_e32 v88, 0xffff, v87
	v_or_b32_e32 v90, 0x10000, v87
	s_delay_alu instid0(VALU_DEP_2) | instskip(NEXT) | instid1(VALU_DEP_2)
	v_cmp_eq_u32_e32 vcc_lo, 0, v88
	v_cndmask_b32_e32 v88, v90, v87, vcc_lo
; %bb.36:
	s_or_b32 exec_lo, exec_lo, s3
	v_and_b32_e32 v87, 0x7f800000, v84
	s_delay_alu instid0(VALU_DEP_1) | instskip(SKIP_1) | instid1(SALU_CYCLE_1)
	v_cmp_ne_u32_e32 vcc_lo, 0x7f800000, v87
                                        ; implicit-def: $vgpr87
	s_and_saveexec_b32 s3, vcc_lo
	s_xor_b32 s3, exec_lo, s3
; %bb.37:
	v_bfe_u32 v87, v84, 16, 1
	s_delay_alu instid0(VALU_DEP_1)
	v_add3_u32 v87, v84, v87, 0x7fff
                                        ; implicit-def: $vgpr84
; %bb.38:
	s_and_not1_saveexec_b32 s3, s3
; %bb.39:
	v_and_b32_e32 v87, 0xffff, v84
	v_or_b32_e32 v90, 0x10000, v84
	s_delay_alu instid0(VALU_DEP_2) | instskip(NEXT) | instid1(VALU_DEP_2)
	v_cmp_eq_u32_e32 vcc_lo, 0, v87
	v_cndmask_b32_e32 v87, v90, v84, vcc_lo
; %bb.40:
	s_or_b32 exec_lo, exec_lo, s3
	v_and_b32_e32 v84, 0x7f800000, v82
	s_delay_alu instid0(VALU_DEP_1) | instskip(SKIP_1) | instid1(SALU_CYCLE_1)
	v_cmp_ne_u32_e32 vcc_lo, 0x7f800000, v84
                                        ; implicit-def: $vgpr84
	s_and_saveexec_b32 s3, vcc_lo
	s_xor_b32 s3, exec_lo, s3
; %bb.41:
	v_bfe_u32 v84, v82, 16, 1
	s_delay_alu instid0(VALU_DEP_1)
	v_add3_u32 v84, v82, v84, 0x7fff
                                        ; implicit-def: $vgpr82
; %bb.42:
	s_and_not1_saveexec_b32 s3, s3
; %bb.43:
	v_and_b32_e32 v84, 0xffff, v82
	v_or_b32_e32 v90, 0x10000, v82
	s_delay_alu instid0(VALU_DEP_2) | instskip(NEXT) | instid1(VALU_DEP_2)
	v_cmp_eq_u32_e32 vcc_lo, 0, v84
	v_cndmask_b32_e32 v84, v90, v82, vcc_lo
; %bb.44:
	s_or_b32 exec_lo, exec_lo, s3
	s_load_b64 s[34:35], s[0:1], 0x94
	v_lshlrev_b32_e32 v82, 4, v74
	s_delay_alu instid0(VALU_DEP_2)
	v_perm_b32 v90, v84, v87, 0x7060302
	v_lshlrev_b32_e32 v84, 11, v65
	v_perm_b32 v87, v83, v77, 0x7060302
	v_mul_f32_e32 v83, v81, v69
	v_mul_f32_e32 v69, v81, v80
	v_perm_b32 v89, v88, v89, 0x7060302
	v_perm_b32 v88, v86, v85, 0x7060302
	v_or3_b32 v77, v82, v84, v76
	v_mul_f32_e32 v79, v81, v79
	v_mul_f32_e32 v78, v81, v78
	v_and_b32_e32 v84, 0x7f800000, v83
	v_mul_f32_e32 v72, v81, v72
	v_mul_f32_e32 v82, v81, v71
	;; [unrolled: 1-line block ×4, first 2 shown]
	s_mov_b32 s3, exec_lo
	ds_store_b128 v77, v[87:90]
                                        ; implicit-def: $vgpr68
	v_cmpx_ne_u32_e32 0x7f800000, v84
	s_xor_b32 s3, exec_lo, s3
; %bb.45:
	v_bfe_u32 v68, v83, 16, 1
	s_delay_alu instid0(VALU_DEP_1)
	v_add3_u32 v68, v83, v68, 0x7fff
                                        ; implicit-def: $vgpr83
; %bb.46:
	s_and_not1_saveexec_b32 s3, s3
; %bb.47:
	v_and_b32_e32 v68, 0xffff, v83
	v_or_b32_e32 v70, 0x10000, v83
	s_delay_alu instid0(VALU_DEP_2) | instskip(NEXT) | instid1(VALU_DEP_2)
	v_cmp_eq_u32_e32 vcc_lo, 0, v68
	v_cndmask_b32_e32 v68, v70, v83, vcc_lo
; %bb.48:
	s_or_b32 exec_lo, exec_lo, s3
	v_and_b32_e32 v70, 0x7f800000, v71
	s_delay_alu instid0(VALU_DEP_1) | instskip(SKIP_1) | instid1(SALU_CYCLE_1)
	v_cmp_ne_u32_e32 vcc_lo, 0x7f800000, v70
                                        ; implicit-def: $vgpr70
	s_and_saveexec_b32 s3, vcc_lo
	s_xor_b32 s3, exec_lo, s3
; %bb.49:
	v_bfe_u32 v70, v71, 16, 1
	s_delay_alu instid0(VALU_DEP_1)
	v_add3_u32 v70, v71, v70, 0x7fff
                                        ; implicit-def: $vgpr71
; %bb.50:
	s_and_not1_saveexec_b32 s3, s3
; %bb.51:
	v_and_b32_e32 v70, 0xffff, v71
	v_or_b32_e32 v81, 0x10000, v71
	s_delay_alu instid0(VALU_DEP_2) | instskip(NEXT) | instid1(VALU_DEP_2)
	v_cmp_eq_u32_e32 vcc_lo, 0, v70
	v_cndmask_b32_e32 v70, v81, v71, vcc_lo
; %bb.52:
	s_or_b32 exec_lo, exec_lo, s3
	v_and_b32_e32 v71, 0x7f800000, v80
	s_delay_alu instid0(VALU_DEP_1) | instskip(SKIP_1) | instid1(SALU_CYCLE_1)
	v_cmp_ne_u32_e32 vcc_lo, 0x7f800000, v71
                                        ; implicit-def: $vgpr71
	s_and_saveexec_b32 s3, vcc_lo
	s_xor_b32 s3, exec_lo, s3
; %bb.53:
	v_bfe_u32 v71, v80, 16, 1
	s_delay_alu instid0(VALU_DEP_1)
	v_add3_u32 v71, v80, v71, 0x7fff
                                        ; implicit-def: $vgpr80
; %bb.54:
	s_and_not1_saveexec_b32 s3, s3
; %bb.55:
	v_and_b32_e32 v71, 0xffff, v80
	v_or_b32_e32 v81, 0x10000, v80
	s_delay_alu instid0(VALU_DEP_2) | instskip(NEXT) | instid1(VALU_DEP_2)
	v_cmp_eq_u32_e32 vcc_lo, 0, v71
	v_cndmask_b32_e32 v71, v81, v80, vcc_lo
; %bb.56:
	s_or_b32 exec_lo, exec_lo, s3
	v_and_b32_e32 v80, 0x7f800000, v82
	s_delay_alu instid0(VALU_DEP_1) | instskip(SKIP_1) | instid1(SALU_CYCLE_1)
	v_cmp_ne_u32_e32 vcc_lo, 0x7f800000, v80
                                        ; implicit-def: $vgpr80
	s_and_saveexec_b32 s3, vcc_lo
	s_xor_b32 s3, exec_lo, s3
; %bb.57:
	v_bfe_u32 v80, v82, 16, 1
	s_delay_alu instid0(VALU_DEP_1)
	v_add3_u32 v80, v82, v80, 0x7fff
                                        ; implicit-def: $vgpr82
; %bb.58:
	s_and_not1_saveexec_b32 s3, s3
; %bb.59:
	v_and_b32_e32 v80, 0xffff, v82
	v_or_b32_e32 v81, 0x10000, v82
	s_delay_alu instid0(VALU_DEP_2) | instskip(NEXT) | instid1(VALU_DEP_2)
	v_cmp_eq_u32_e32 vcc_lo, 0, v80
	v_cndmask_b32_e32 v80, v81, v82, vcc_lo
; %bb.60:
	s_or_b32 exec_lo, exec_lo, s3
	v_and_b32_e32 v81, 0x7f800000, v72
	s_delay_alu instid0(VALU_DEP_1) | instskip(SKIP_1) | instid1(SALU_CYCLE_1)
	v_cmp_ne_u32_e32 vcc_lo, 0x7f800000, v81
                                        ; implicit-def: $vgpr81
	s_and_saveexec_b32 s3, vcc_lo
	s_xor_b32 s3, exec_lo, s3
; %bb.61:
	v_bfe_u32 v81, v72, 16, 1
	s_delay_alu instid0(VALU_DEP_1)
	v_add3_u32 v81, v72, v81, 0x7fff
                                        ; implicit-def: $vgpr72
; %bb.62:
	s_and_not1_saveexec_b32 s3, s3
; %bb.63:
	v_and_b32_e32 v81, 0xffff, v72
	v_or_b32_e32 v82, 0x10000, v72
	s_delay_alu instid0(VALU_DEP_2) | instskip(NEXT) | instid1(VALU_DEP_2)
	v_cmp_eq_u32_e32 vcc_lo, 0, v81
	v_cndmask_b32_e32 v81, v82, v72, vcc_lo
; %bb.64:
	s_or_b32 exec_lo, exec_lo, s3
	v_and_b32_e32 v72, 0x7f800000, v78
	s_delay_alu instid0(VALU_DEP_1) | instskip(SKIP_1) | instid1(SALU_CYCLE_1)
	v_cmp_ne_u32_e32 vcc_lo, 0x7f800000, v72
                                        ; implicit-def: $vgpr72
	s_and_saveexec_b32 s3, vcc_lo
	s_xor_b32 s3, exec_lo, s3
; %bb.65:
	v_bfe_u32 v72, v78, 16, 1
	s_delay_alu instid0(VALU_DEP_1)
	v_add3_u32 v72, v78, v72, 0x7fff
                                        ; implicit-def: $vgpr78
; %bb.66:
	s_and_not1_saveexec_b32 s3, s3
; %bb.67:
	v_and_b32_e32 v72, 0xffff, v78
	v_or_b32_e32 v82, 0x10000, v78
	s_delay_alu instid0(VALU_DEP_2) | instskip(NEXT) | instid1(VALU_DEP_2)
	v_cmp_eq_u32_e32 vcc_lo, 0, v72
	v_cndmask_b32_e32 v72, v82, v78, vcc_lo
; %bb.68:
	s_or_b32 exec_lo, exec_lo, s3
	v_and_b32_e32 v78, 0x7f800000, v79
	s_delay_alu instid0(VALU_DEP_1) | instskip(SKIP_1) | instid1(SALU_CYCLE_1)
	v_cmp_ne_u32_e32 vcc_lo, 0x7f800000, v78
                                        ; implicit-def: $vgpr78
	s_and_saveexec_b32 s3, vcc_lo
	s_xor_b32 s3, exec_lo, s3
; %bb.69:
	v_bfe_u32 v78, v79, 16, 1
	s_delay_alu instid0(VALU_DEP_1)
	v_add3_u32 v78, v79, v78, 0x7fff
                                        ; implicit-def: $vgpr79
; %bb.70:
	s_and_not1_saveexec_b32 s3, s3
; %bb.71:
	v_and_b32_e32 v78, 0xffff, v79
	v_or_b32_e32 v82, 0x10000, v79
	s_delay_alu instid0(VALU_DEP_2) | instskip(NEXT) | instid1(VALU_DEP_2)
	v_cmp_eq_u32_e32 vcc_lo, 0, v78
	v_cndmask_b32_e32 v78, v82, v79, vcc_lo
; %bb.72:
	s_or_b32 exec_lo, exec_lo, s3
	v_and_b32_e32 v79, 0x7f800000, v69
	s_delay_alu instid0(VALU_DEP_1) | instskip(SKIP_1) | instid1(SALU_CYCLE_1)
	v_cmp_ne_u32_e32 vcc_lo, 0x7f800000, v79
                                        ; implicit-def: $vgpr79
	s_and_saveexec_b32 s3, vcc_lo
	s_xor_b32 s3, exec_lo, s3
; %bb.73:
	v_bfe_u32 v79, v69, 16, 1
	s_delay_alu instid0(VALU_DEP_1)
	v_add3_u32 v79, v69, v79, 0x7fff
                                        ; implicit-def: $vgpr69
; %bb.74:
	s_and_not1_saveexec_b32 s3, s3
; %bb.75:
	v_and_b32_e32 v79, 0xffff, v69
	v_or_b32_e32 v82, 0x10000, v69
	s_delay_alu instid0(VALU_DEP_2) | instskip(NEXT) | instid1(VALU_DEP_2)
	v_cmp_eq_u32_e32 vcc_lo, 0, v79
	v_cndmask_b32_e32 v79, v82, v69, vcc_lo
; %bb.76:
	s_or_b32 exec_lo, exec_lo, s3
	s_delay_alu instid0(VALU_DEP_1)
	v_perm_b32 v86, v79, v78, 0x7060302
	v_perm_b32 v85, v72, v81, 0x7060302
	;; [unrolled: 1-line block ×4, first 2 shown]
	v_lshl_or_b32 v82, v65, 11, v76
	v_lshlrev_b32_e32 v79, 2, v74
	ds_store_b128 v77, v[83:86] offset:1024
	s_waitcnt lgkmcnt(0)
	s_barrier
	buffer_gl0_inv
	ds_load_b128 v[68:71], v82
	ds_load_b128 v[83:86], v82 offset:16
	v_or_b32_e32 v80, 1, v79
	v_cmp_eq_u32_e32 vcc_lo, 1, v79
	v_cmp_eq_u32_e64 s4, 2, v79
	v_cmp_eq_u32_e64 s7, 3, v79
	;; [unrolled: 1-line block ×6, first 2 shown]
	v_or_b32_e32 v78, 2, v79
	v_cmp_eq_u32_e64 s10, 5, v79
	v_cmp_eq_u32_e64 s11, 4, v80
	v_cmp_eq_u32_e64 s12, 6, v79
	v_cmp_eq_u32_e64 s13, 5, v80
	v_cmp_eq_u32_e64 s5, 1, v78
	v_cmp_eq_u32_e64 s15, 7, v79
	v_cmp_eq_u32_e64 s16, 6, v80
	v_cmp_eq_u32_e64 s17, 2, v78
	v_cmp_eq_u32_e64 s18, 7, v80
	s_waitcnt lgkmcnt(1)
	v_lshrrev_b32_e32 v65, 16, v68
	s_waitcnt lgkmcnt(0)
	v_lshrrev_b32_e32 v91, 16, v83
	v_lshrrev_b32_e32 v72, 16, v69
	;; [unrolled: 1-line block ×4, first 2 shown]
	v_cndmask_b32_e32 v81, v68, v65, vcc_lo
	v_cndmask_b32_e32 v87, v83, v91, vcc_lo
	v_cndmask_b32_e64 v88, v68, v65, s3
	v_lshrrev_b32_e32 v98, 16, v85
	v_cndmask_b32_e64 v89, v83, v91, s3
	v_cndmask_b32_e64 v81, v81, v69, s4
	v_cndmask_b32_e64 v87, v87, v84, s4
	v_cndmask_b32_e64 v88, v88, v69, s6
	v_lshrrev_b32_e32 v96, 16, v71
	v_cndmask_b32_e64 v89, v89, v84, s6
	v_cndmask_b32_e64 v81, v81, v72, s7
	v_cndmask_b32_e64 v87, v87, v97, s7
	;; [unrolled: 5-line block ×3, first 2 shown]
	v_cndmask_b32_e64 v88, v88, v70, s11
	v_cndmask_b32_e64 v89, v89, v97, s8
	v_cmp_eq_u32_e64 s19, 3, v78
	v_cndmask_b32_e64 v81, v81, v95, s10
	v_cndmask_b32_e64 v87, v87, v98, s10
	;; [unrolled: 1-line block ×4, first 2 shown]
	v_cmp_eq_u32_e64 s20, 4, v78
	v_cndmask_b32_e64 v81, v81, v71, s12
	v_cndmask_b32_e64 v87, v87, v86, s12
	;; [unrolled: 1-line block ×3, first 2 shown]
	v_cmp_eq_u32_e64 s22, 5, v78
	v_cmp_eq_u32_e64 s24, 6, v78
	v_cndmask_b32_e64 v100, v81, v96, s15
	v_cndmask_b32_e64 v101, v87, v99, s15
	;; [unrolled: 1-line block ×6, first 2 shown]
	v_cmp_eq_u32_e64 s27, 7, v78
	v_cndmask_b32_e64 v89, v81, v72, s19
	v_cndmask_b32_e64 v87, v87, v84, s17
	v_or_b32_e32 v81, 3, v79
	v_cndmask_b32_e64 v103, v88, v86, s16
	s_delay_alu instid0(VALU_DEP_4) | instskip(NEXT) | instid1(VALU_DEP_4)
	v_cndmask_b32_e64 v92, v89, v70, s20
	v_cndmask_b32_e64 v93, v87, v97, s19
	s_delay_alu instid0(VALU_DEP_4)
	v_cmp_eq_u32_e64 s21, 1, v81
	ds_load_b128 v[87:90], v82 offset:1024
	v_cmp_eq_u32_e64 s23, 2, v81
	v_cndmask_b32_e64 v104, v92, v95, s22
	v_cmp_eq_u32_e64 s25, 3, v81
	v_cndmask_b32_e64 v65, v68, v65, s21
	v_cndmask_b32_e64 v68, v93, v85, s20
	;; [unrolled: 1-line block ×3, first 2 shown]
	ds_load_b128 v[91:94], v82 offset:1040
	v_cmp_eq_u32_e64 s26, 4, v81
	v_cndmask_b32_e64 v65, v65, v69, s23
	v_cmp_eq_u32_e64 s28, 5, v81
	v_cndmask_b32_e64 v69, v83, v84, s23
	;; [unrolled: 2-line block ×3, first 2 shown]
	v_cndmask_b32_e64 v65, v65, v72, s25
	v_cndmask_b32_e64 v72, v104, v71, s24
	;; [unrolled: 1-line block ×6, first 2 shown]
	s_waitcnt lgkmcnt(1)
	v_lshrrev_b32_e32 v84, 16, v87
	v_cndmask_b32_e64 v69, v69, v85, s26
	v_cndmask_b32_e64 v70, v72, v96, s27
	;; [unrolled: 1-line block ×4, first 2 shown]
	v_cndmask_b32_e32 v72, v87, v84, vcc_lo
	v_cndmask_b32_e64 v69, v69, v98, s28
	s_waitcnt lgkmcnt(0)
	v_lshrrev_b32_e32 v85, 16, v91
	v_lshrrev_b32_e32 v95, 16, v88
	v_cndmask_b32_e64 v97, v87, v84, s3
	v_cndmask_b32_e64 v72, v72, v88, s4
	;; [unrolled: 1-line block ×3, first 2 shown]
	v_cndmask_b32_e32 v98, v91, v85, vcc_lo
	v_cmp_eq_u32_e32 vcc_lo, 7, v81
	v_cndmask_b32_e64 v69, v69, v86, s29
	v_cndmask_b32_e64 v71, v72, v95, s7
	;; [unrolled: 1-line block ×3, first 2 shown]
	v_lshrrev_b32_e32 v97, 16, v92
	v_cndmask_b32_e32 v65, v65, v96, vcc_lo
	v_cndmask_b32_e64 v86, v98, v92, s4
	v_cndmask_b32_e32 v69, v69, v99, vcc_lo
	v_lshrrev_b32_e32 v99, 16, v93
	v_cndmask_b32_e64 v71, v71, v89, s9
	v_lshrrev_b32_e32 v98, 16, v89
	v_cndmask_b32_e64 v86, v86, v97, s7
	v_perm_b32 v70, v68, v70, 0x5040100
	v_cndmask_b32_e64 v72, v72, v95, s8
	s_delay_alu instid0(VALU_DEP_4) | instskip(NEXT) | instid1(VALU_DEP_4)
	v_cndmask_b32_e64 v96, v71, v98, s10
	v_cndmask_b32_e64 v86, v86, v93, s9
	v_perm_b32 v71, v69, v65, 0x5040100
	v_perm_b32 v69, v83, v102, 0x5040100
	v_cndmask_b32_e64 v102, v91, v85, s5
	v_cndmask_b32_e64 v72, v72, v89, s11
	;; [unrolled: 1-line block ×3, first 2 shown]
	v_lshrrev_b32_e32 v83, 16, v94
	s_delay_alu instid0(VALU_DEP_3) | instskip(NEXT) | instid1(VALU_DEP_3)
	v_cndmask_b32_e64 v65, v72, v98, s13
	v_cndmask_b32_e64 v68, v86, v94, s12
	;; [unrolled: 1-line block ×27, first 2 shown]
	v_lshrrev_b32_e32 v96, 16, v90
	v_cndmask_b32_e64 v65, v65, v90, s16
	v_cndmask_b32_e64 v86, v86, v90, s24
	;; [unrolled: 1-line block ×9, first 2 shown]
	v_cndmask_b32_e32 v84, v84, v96, vcc_lo
	v_cndmask_b32_e32 v86, v87, v83, vcc_lo
	v_cndmask_b32_e64 v87, v88, v83, s27
	v_cndmask_b32_e64 v88, v85, v83, s18
	;; [unrolled: 1-line block ×3, first 2 shown]
	v_perm_b32 v68, v101, v100, 0x5040100
	v_perm_b32 v86, v86, v84, 0x5040100
	;; [unrolled: 1-line block ×5, first 2 shown]
	s_lshl_b32 s8, s35, 4
	s_mov_b32 s3, exec_lo
	ds_store_b128 v77, v[68:71]
	ds_store_b128 v77, v[83:86] offset:1024
	v_cmpx_gt_u32_e32 16, v0
	s_cbranch_execz .LBB1461_78
; %bb.77:
	v_or_b32_e32 v65, s31, v0
	s_load_b128 s[4:7], s[0:1], 0x58
	s_delay_alu instid0(VALU_DEP_1) | instskip(NEXT) | instid1(VALU_DEP_1)
	v_mad_u64_u32 v[68:69], null, s8, s30, v[65:66]
	v_mad_u64_u32 v[69:70], null, v68, s34, s[14:15]
	s_delay_alu instid0(VALU_DEP_1) | instskip(NEXT) | instid1(VALU_DEP_1)
	v_ashrrev_i32_e32 v70, 31, v69
	v_lshlrev_b64 v[68:69], 2, v[69:70]
	s_waitcnt lgkmcnt(0)
	s_delay_alu instid0(VALU_DEP_1) | instskip(NEXT) | instid1(VALU_DEP_2)
	v_add_co_u32 v70, vcc_lo, s6, v68
	v_add_co_ci_u32_e32 v71, vcc_lo, s7, v69, vcc_lo
	v_add_co_u32 v68, vcc_lo, s4, v68
	v_add_co_ci_u32_e32 v69, vcc_lo, s5, v69, vcc_lo
	global_store_b32 v[70:71], v66, off
	global_store_b32 v[68:69], v67, off
.LBB1461_78:
	s_or_b32 exec_lo, exec_lo, s3
	s_waitcnt lgkmcnt(0)
	s_waitcnt_vscnt null, 0x0
	s_barrier
	buffer_gl0_inv
	ds_load_b128 v[83:86], v76
	ds_load_b128 v[87:90], v76 offset:16
	ds_load_b128 v[95:98], v76 offset:2064
	;; [unrolled: 1-line block ×3, first 2 shown]
	v_mov_b32_e32 v65, 0
	ds_load_b128 v[103:106], v76 offset:4112
	ds_load_b128 v[99:102], v76 offset:4096
	;; [unrolled: 1-line block ×4, first 2 shown]
	v_mov_b32_e32 v66, v65
	v_mov_b32_e32 v67, v65
	;; [unrolled: 1-line block ×7, first 2 shown]
	s_waitcnt lgkmcnt(6)
	s_delay_alu instid0(VALU_DEP_1)
	v_wmma_f32_16x16x16_bf16 v[65:72], v[57:64], v[83:90], v[65:72]
	ds_load_b128 v[61:64], v76 offset:8208
	ds_load_b128 v[57:60], v76 offset:8192
	s_waitcnt lgkmcnt(6)
	v_wmma_f32_16x16x16_bf16 v[65:72], v[41:48], v[91:98], v[65:72]
	ds_load_b128 v[45:48], v76 offset:10256
	ds_load_b128 v[41:44], v76 offset:10240
	s_waitcnt lgkmcnt(6)
	;; [unrolled: 4-line block ×4, first 2 shown]
	v_wmma_f32_16x16x16_bf16 v[65:72], v[1:8], v[57:64], v[65:72]
	s_waitcnt lgkmcnt(4)
	s_delay_alu instid0(VALU_DEP_1) | instskip(SKIP_1) | instid1(VALU_DEP_1)
	v_wmma_f32_16x16x16_bf16 v[65:72], v[9:16], v[41:48], v[65:72]
	s_waitcnt lgkmcnt(2)
	v_wmma_f32_16x16x16_bf16 v[65:72], v[17:24], v[33:40], v[65:72]
	s_waitcnt lgkmcnt(0)
	s_delay_alu instid0(VALU_DEP_1) | instskip(NEXT) | instid1(VALU_DEP_1)
	v_wmma_f32_16x16x16_bf16 v[65:72], v[49:56], v[25:32], v[65:72]
	v_and_b32_e32 v1, 0x7f800000, v65
	s_delay_alu instid0(VALU_DEP_1) | instskip(SKIP_1) | instid1(SALU_CYCLE_1)
	v_cmp_ne_u32_e32 vcc_lo, 0x7f800000, v1
                                        ; implicit-def: $vgpr1
	s_and_saveexec_b32 s3, vcc_lo
	s_xor_b32 s3, exec_lo, s3
; %bb.79:
	v_bfe_u32 v1, v65, 16, 1
	s_delay_alu instid0(VALU_DEP_1)
	v_add3_u32 v1, v65, v1, 0x7fff
; %bb.80:
	s_and_not1_saveexec_b32 s3, s3
; %bb.81:
	v_and_b32_e32 v1, 0xffff, v65
	v_or_b32_e32 v2, 0x10000, v65
	s_delay_alu instid0(VALU_DEP_2) | instskip(NEXT) | instid1(VALU_DEP_2)
	v_cmp_eq_u32_e32 vcc_lo, 0, v1
	v_cndmask_b32_e32 v1, v2, v65, vcc_lo
; %bb.82:
	s_or_b32 exec_lo, exec_lo, s3
	v_and_b32_e32 v2, 0x7f800000, v66
	s_delay_alu instid0(VALU_DEP_1) | instskip(SKIP_1) | instid1(SALU_CYCLE_1)
	v_cmp_ne_u32_e32 vcc_lo, 0x7f800000, v2
                                        ; implicit-def: $vgpr2
	s_and_saveexec_b32 s3, vcc_lo
	s_xor_b32 s3, exec_lo, s3
; %bb.83:
	v_bfe_u32 v2, v66, 16, 1
	s_delay_alu instid0(VALU_DEP_1)
	v_add3_u32 v2, v66, v2, 0x7fff
; %bb.84:
	s_and_not1_saveexec_b32 s3, s3
; %bb.85:
	v_and_b32_e32 v2, 0xffff, v66
	v_or_b32_e32 v3, 0x10000, v66
	s_delay_alu instid0(VALU_DEP_2) | instskip(NEXT) | instid1(VALU_DEP_2)
	v_cmp_eq_u32_e32 vcc_lo, 0, v2
	v_cndmask_b32_e32 v2, v3, v66, vcc_lo
; %bb.86:
	s_or_b32 exec_lo, exec_lo, s3
	v_and_b32_e32 v3, 0x7f800000, v67
	s_delay_alu instid0(VALU_DEP_1) | instskip(SKIP_1) | instid1(SALU_CYCLE_1)
	v_cmp_ne_u32_e32 vcc_lo, 0x7f800000, v3
                                        ; implicit-def: $vgpr3
	s_and_saveexec_b32 s3, vcc_lo
	s_xor_b32 s3, exec_lo, s3
; %bb.87:
	v_bfe_u32 v3, v67, 16, 1
	s_delay_alu instid0(VALU_DEP_1)
	v_add3_u32 v3, v67, v3, 0x7fff
; %bb.88:
	s_and_not1_saveexec_b32 s3, s3
; %bb.89:
	v_and_b32_e32 v3, 0xffff, v67
	v_or_b32_e32 v4, 0x10000, v67
	s_delay_alu instid0(VALU_DEP_2) | instskip(NEXT) | instid1(VALU_DEP_2)
	v_cmp_eq_u32_e32 vcc_lo, 0, v3
	v_cndmask_b32_e32 v3, v4, v67, vcc_lo
; %bb.90:
	s_or_b32 exec_lo, exec_lo, s3
	v_and_b32_e32 v4, 0x7f800000, v68
	s_delay_alu instid0(VALU_DEP_1) | instskip(SKIP_1) | instid1(SALU_CYCLE_1)
	v_cmp_ne_u32_e32 vcc_lo, 0x7f800000, v4
                                        ; implicit-def: $vgpr4
	s_and_saveexec_b32 s3, vcc_lo
	s_xor_b32 s3, exec_lo, s3
; %bb.91:
	v_bfe_u32 v4, v68, 16, 1
	s_delay_alu instid0(VALU_DEP_1)
	v_add3_u32 v4, v68, v4, 0x7fff
; %bb.92:
	s_and_not1_saveexec_b32 s3, s3
; %bb.93:
	v_and_b32_e32 v4, 0xffff, v68
	v_or_b32_e32 v5, 0x10000, v68
	s_delay_alu instid0(VALU_DEP_2) | instskip(NEXT) | instid1(VALU_DEP_2)
	v_cmp_eq_u32_e32 vcc_lo, 0, v4
	v_cndmask_b32_e32 v4, v5, v68, vcc_lo
; %bb.94:
	s_or_b32 exec_lo, exec_lo, s3
	v_and_b32_e32 v5, 0x7f800000, v69
	s_delay_alu instid0(VALU_DEP_1) | instskip(SKIP_1) | instid1(SALU_CYCLE_1)
	v_cmp_ne_u32_e32 vcc_lo, 0x7f800000, v5
                                        ; implicit-def: $vgpr5
	s_and_saveexec_b32 s3, vcc_lo
	s_xor_b32 s3, exec_lo, s3
; %bb.95:
	v_bfe_u32 v5, v69, 16, 1
	s_delay_alu instid0(VALU_DEP_1)
	v_add3_u32 v5, v69, v5, 0x7fff
; %bb.96:
	s_and_not1_saveexec_b32 s3, s3
; %bb.97:
	v_and_b32_e32 v5, 0xffff, v69
	v_or_b32_e32 v6, 0x10000, v69
	s_delay_alu instid0(VALU_DEP_2) | instskip(NEXT) | instid1(VALU_DEP_2)
	v_cmp_eq_u32_e32 vcc_lo, 0, v5
	v_cndmask_b32_e32 v5, v6, v69, vcc_lo
; %bb.98:
	s_or_b32 exec_lo, exec_lo, s3
	v_and_b32_e32 v6, 0x7f800000, v70
	s_delay_alu instid0(VALU_DEP_1) | instskip(SKIP_1) | instid1(SALU_CYCLE_1)
	v_cmp_ne_u32_e32 vcc_lo, 0x7f800000, v6
                                        ; implicit-def: $vgpr6
	s_and_saveexec_b32 s3, vcc_lo
	s_xor_b32 s3, exec_lo, s3
; %bb.99:
	v_bfe_u32 v6, v70, 16, 1
	s_delay_alu instid0(VALU_DEP_1)
	v_add3_u32 v6, v70, v6, 0x7fff
; %bb.100:
	s_and_not1_saveexec_b32 s3, s3
; %bb.101:
	v_and_b32_e32 v6, 0xffff, v70
	v_or_b32_e32 v7, 0x10000, v70
	s_delay_alu instid0(VALU_DEP_2) | instskip(NEXT) | instid1(VALU_DEP_2)
	v_cmp_eq_u32_e32 vcc_lo, 0, v6
	v_cndmask_b32_e32 v6, v7, v70, vcc_lo
; %bb.102:
	s_or_b32 exec_lo, exec_lo, s3
	v_and_b32_e32 v7, 0x7f800000, v71
	s_delay_alu instid0(VALU_DEP_1) | instskip(SKIP_1) | instid1(SALU_CYCLE_1)
	v_cmp_ne_u32_e32 vcc_lo, 0x7f800000, v7
                                        ; implicit-def: $vgpr7
	s_and_saveexec_b32 s3, vcc_lo
	s_xor_b32 s3, exec_lo, s3
; %bb.103:
	v_bfe_u32 v7, v71, 16, 1
	s_delay_alu instid0(VALU_DEP_1)
	v_add3_u32 v7, v71, v7, 0x7fff
; %bb.104:
	s_and_not1_saveexec_b32 s3, s3
; %bb.105:
	v_and_b32_e32 v7, 0xffff, v71
	v_or_b32_e32 v8, 0x10000, v71
	s_delay_alu instid0(VALU_DEP_2) | instskip(NEXT) | instid1(VALU_DEP_2)
	v_cmp_eq_u32_e32 vcc_lo, 0, v7
	v_cndmask_b32_e32 v7, v8, v71, vcc_lo
; %bb.106:
	s_or_b32 exec_lo, exec_lo, s3
	v_and_b32_e32 v8, 0x7f800000, v72
	s_delay_alu instid0(VALU_DEP_1) | instskip(SKIP_1) | instid1(SALU_CYCLE_1)
	v_cmp_ne_u32_e32 vcc_lo, 0x7f800000, v8
                                        ; implicit-def: $vgpr8
	s_and_saveexec_b32 s3, vcc_lo
	s_xor_b32 s3, exec_lo, s3
; %bb.107:
	v_bfe_u32 v8, v72, 16, 1
	s_delay_alu instid0(VALU_DEP_1)
	v_add3_u32 v8, v72, v8, 0x7fff
                                        ; implicit-def: $vgpr65_vgpr66_vgpr67_vgpr68_vgpr69_vgpr70_vgpr71_vgpr72
; %bb.108:
	s_and_not1_saveexec_b32 s3, s3
; %bb.109:
	v_and_b32_e32 v8, 0xffff, v72
	v_or_b32_e32 v9, 0x10000, v72
	s_delay_alu instid0(VALU_DEP_2) | instskip(NEXT) | instid1(VALU_DEP_2)
	v_cmp_eq_u32_e32 vcc_lo, 0, v8
	v_cndmask_b32_e32 v8, v9, v72, vcc_lo
; %bb.110:
	s_or_b32 exec_lo, exec_lo, s3
	s_delay_alu instid0(VALU_DEP_1)
	v_perm_b32 v7, v8, v7, 0x7060302
	v_perm_b32 v6, v6, v5, 0x7060302
	;; [unrolled: 1-line block ×4, first 2 shown]
	s_barrier
	buffer_gl0_inv
	v_cmp_eq_u32_e32 vcc_lo, 1, v79
	ds_store_b128 v77, v[4:7]
	s_waitcnt lgkmcnt(0)
	s_barrier
	buffer_gl0_inv
	ds_load_b128 v[1:4], v82
	ds_load_b128 v[5:8], v82 offset:16
	v_cmp_eq_u32_e64 s3, 1, v80
	v_cmp_eq_u32_e64 s4, 2, v79
	v_cmp_eq_u32_e64 s5, 3, v79
	v_cmp_eq_u32_e64 s7, 2, v78
	v_cmp_eq_u32_e64 s6, 7, v80
	s_waitcnt lgkmcnt(1)
	v_lshrrev_b32_e32 v9, 16, v1
	s_waitcnt lgkmcnt(0)
	v_lshrrev_b32_e32 v13, 16, v5
	v_lshrrev_b32_e32 v10, 16, v2
	;; [unrolled: 1-line block ×4, first 2 shown]
	v_cndmask_b32_e64 v19, v1, v9, s3
	v_cndmask_b32_e32 v18, v5, v13, vcc_lo
	v_cndmask_b32_e64 v20, v5, v13, s3
	v_cndmask_b32_e32 v17, v1, v9, vcc_lo
	v_cmp_eq_u32_e32 vcc_lo, 2, v80
	v_lshrrev_b32_e32 v15, 16, v7
	v_cmp_eq_u32_e64 s3, 1, v78
	v_lshrrev_b32_e32 v12, 16, v4
	v_lshrrev_b32_e32 v16, 16, v8
	v_cndmask_b32_e32 v20, v20, v6, vcc_lo
	v_cndmask_b32_e64 v17, v17, v2, s4
	v_cndmask_b32_e32 v19, v19, v2, vcc_lo
	v_cndmask_b32_e64 v18, v18, v6, s4
	v_cmp_eq_u32_e32 vcc_lo, 4, v79
	v_cmp_eq_u32_e64 s4, 3, v80
	v_cndmask_b32_e64 v17, v17, v10, s5
	v_cndmask_b32_e64 v21, v1, v9, s3
	;; [unrolled: 1-line block ×5, first 2 shown]
	v_cndmask_b32_e32 v17, v17, v3, vcc_lo
	v_cndmask_b32_e64 v20, v20, v14, s4
	v_cndmask_b32_e32 v18, v18, v7, vcc_lo
	v_cmp_eq_u32_e32 vcc_lo, 4, v80
	v_cmp_eq_u32_e64 s4, 5, v80
	v_cmp_eq_u32_e64 s3, 2, v81
	v_cndmask_b32_e64 v21, v21, v2, s7
	v_cmp_eq_u32_e64 s5, 5, v79
	v_cndmask_b32_e32 v19, v19, v3, vcc_lo
	v_cndmask_b32_e32 v20, v20, v7, vcc_lo
	v_cmp_eq_u32_e32 vcc_lo, 6, v80
	s_delay_alu instid0(VALU_DEP_4) | instskip(NEXT) | instid1(VALU_DEP_4)
	v_cndmask_b32_e64 v17, v17, v11, s5
	v_cndmask_b32_e64 v19, v19, v11, s4
	s_delay_alu instid0(VALU_DEP_4) | instskip(SKIP_1) | instid1(VALU_DEP_3)
	v_cndmask_b32_e64 v20, v20, v15, s4
	v_cmp_eq_u32_e64 s4, 1, v81
	v_cndmask_b32_e32 v19, v19, v4, vcc_lo
	v_cndmask_b32_e64 v18, v18, v15, s5
	s_delay_alu instid0(VALU_DEP_3)
	v_cndmask_b32_e64 v1, v1, v9, s4
	v_cndmask_b32_e64 v5, v5, v13, s4
	v_cmp_eq_u32_e64 s4, 3, v78
	v_cndmask_b32_e64 v13, v22, v6, s7
	v_cmp_eq_u32_e64 s7, 3, v81
	v_cndmask_b32_e64 v1, v1, v2, s3
	v_cndmask_b32_e64 v2, v5, v6, s3
	v_cndmask_b32_e64 v9, v21, v10, s4
	v_cmp_eq_u32_e64 s3, 4, v78
	v_cndmask_b32_e64 v6, v13, v14, s4
	v_cndmask_b32_e64 v1, v1, v10, s7
	v_cmp_eq_u32_e64 s4, 4, v81
	v_cndmask_b32_e64 v2, v2, v14, s7
	v_cndmask_b32_e64 v5, v9, v3, s3
	;; [unrolled: 3-line block ×3, first 2 shown]
	v_cndmask_b32_e64 v2, v2, v7, s4
	v_cmp_eq_u32_e64 s3, 5, v81
	v_cmp_eq_u32_e64 s5, 6, v79
	v_cndmask_b32_e64 v5, v5, v11, s7
	v_cmp_eq_u32_e64 s4, 6, v78
	v_cndmask_b32_e64 v3, v6, v15, s7
	v_cndmask_b32_e64 v1, v1, v11, s3
	v_cmp_eq_u32_e64 s7, 6, v81
	v_cndmask_b32_e64 v2, v2, v15, s3
	v_cndmask_b32_e64 v17, v17, v4, s5
	v_cndmask_b32_e64 v18, v18, v8, s5
	v_cmp_eq_u32_e64 s5, 7, v79
	v_cndmask_b32_e64 v5, v5, v4, s4
	v_cndmask_b32_e64 v3, v3, v8, s4
	v_cndmask_b32_e64 v1, v1, v4, s7
	v_cmp_eq_u32_e64 s3, 7, v81
	v_cndmask_b32_e64 v2, v2, v8, s7
	v_cmp_eq_u32_e64 s4, 7, v78
	v_cndmask_b32_e32 v4, v20, v8, vcc_lo
	v_cndmask_b32_e64 v17, v17, v12, s5
	v_cndmask_b32_e64 v19, v19, v12, s6
	;; [unrolled: 1-line block ×8, first 2 shown]
	v_cmp_gt_u32_e32 vcc_lo, 32, v0
	v_perm_b32 v4, v2, v1, 0x5040100
	v_perm_b32 v3, v3, v5, 0x5040100
	;; [unrolled: 1-line block ×4, first 2 shown]
	s_and_b32 s2, vcc_lo, s2
	ds_store_b128 v77, v[1:4]
	s_waitcnt lgkmcnt(0)
	s_barrier
	buffer_gl0_inv
	s_and_saveexec_b32 s3, s2
	s_cbranch_execz .LBB1461_2
; %bb.111:
	s_load_b64 s[0:1], s[0:1], 0x68
	v_lshlrev_b32_e32 v0, 10, v0
	s_lshl_b32 s4, s34, 6
	v_or_b32_e32 v23, s31, v74
	s_mul_i32 s2, s4, s30
	v_lshlrev_b32_e32 v1, 4, v75
	v_lshlrev_b32_e32 v2, 6, v74
	s_mul_i32 s2, s2, s8
	v_and_b32_e32 v0, 0x3800, v0
	v_mul_lo_u32 v8, v23, s4
	s_ashr_i32 s3, s2, 31
	v_or_b32_e32 v3, 2, v23
	s_lshl_b64 s[2:3], s[2:3], 1
	v_or3_b32 v27, v0, v1, v2
	v_or_b32_e32 v11, 4, v23
	v_or_b32_e32 v18, 6, v23
	v_mul_lo_u32 v10, v3, s4
	v_ashrrev_i32_e32 v9, 31, v8
	ds_load_b128 v[0:3], v27
	ds_load_b128 v[4:7], v27 offset:128
	v_mul_lo_u32 v12, v11, s4
	s_waitcnt lgkmcnt(0)
	s_add_u32 s2, s0, s2
	s_addc_u32 s3, s1, s3
	s_lshl_b32 s0, s14, 6
	v_lshlrev_b64 v[8:9], 1, v[8:9]
	s_ashr_i32 s1, s0, 31
	v_ashrrev_i32_e32 v11, 31, v10
	s_lshl_b64 s[0:1], s[0:1], 1
	v_ashrrev_i32_e32 v13, 31, v12
	s_add_u32 s0, s2, s0
	s_addc_u32 s1, s3, s1
	v_add_co_u32 v30, s0, s0, v73
	s_delay_alu instid0(VALU_DEP_1) | instskip(SKIP_1) | instid1(VALU_DEP_3)
	v_add_co_ci_u32_e64 v31, null, s1, 0, s0
	v_lshlrev_b64 v[16:17], 1, v[10:11]
	v_add_co_u32 v14, vcc_lo, v30, v8
	s_delay_alu instid0(VALU_DEP_3)
	v_add_co_ci_u32_e32 v15, vcc_lo, v31, v9, vcc_lo
	ds_load_b128 v[8:11], v27 offset:256
	v_mul_lo_u32 v18, v18, s4
	v_or_b32_e32 v19, 8, v23
	v_add_co_u32 v16, vcc_lo, v30, v16
	global_store_b128 v[14:15], v[0:3], off
	v_lshlrev_b64 v[0:1], 1, v[12:13]
	v_add_co_ci_u32_e32 v17, vcc_lo, v31, v17, vcc_lo
	v_mul_lo_u32 v12, v19, s4
	v_ashrrev_i32_e32 v19, 31, v18
	v_or_b32_e32 v14, 10, v23
	global_store_b128 v[16:17], v[4:7], off
	v_add_co_u32 v4, vcc_lo, v30, v0
	v_add_co_ci_u32_e32 v5, vcc_lo, v31, v1, vcc_lo
	ds_load_b128 v[0:3], v27 offset:384
	v_ashrrev_i32_e32 v13, 31, v12
	v_lshlrev_b64 v[6:7], 1, v[18:19]
	v_mul_lo_u32 v14, v14, s4
	s_waitcnt lgkmcnt(1)
	global_store_b128 v[4:5], v[8:11], off
	v_or_b32_e32 v8, 12, v23
	v_lshlrev_b64 v[4:5], 1, v[12:13]
	v_add_co_u32 v20, vcc_lo, v30, v6
	v_or_b32_e32 v6, 14, v23
	v_ashrrev_i32_e32 v15, 31, v14
	v_mul_lo_u32 v22, v8, s4
	v_add_co_ci_u32_e32 v21, vcc_lo, v31, v7, vcc_lo
	v_add_co_u32 v24, vcc_lo, v30, v4
	v_mul_lo_u32 v26, v6, s4
	v_add_co_ci_u32_e32 v25, vcc_lo, v31, v5, vcc_lo
	v_lshlrev_b64 v[28:29], 1, v[14:15]
	ds_load_b128 v[4:7], v27 offset:512
	ds_load_b128 v[8:11], v27 offset:640
	;; [unrolled: 1-line block ×4, first 2 shown]
	v_ashrrev_i32_e32 v23, 31, v22
	v_ashrrev_i32_e32 v27, 31, v26
	v_add_co_u32 v28, vcc_lo, v30, v28
	s_delay_alu instid0(VALU_DEP_3) | instskip(SKIP_1) | instid1(VALU_DEP_4)
	v_lshlrev_b64 v[22:23], 1, v[22:23]
	v_add_co_ci_u32_e32 v29, vcc_lo, v31, v29, vcc_lo
	v_lshlrev_b64 v[26:27], 1, v[26:27]
	s_delay_alu instid0(VALU_DEP_3) | instskip(NEXT) | instid1(VALU_DEP_4)
	v_add_co_u32 v22, vcc_lo, v30, v22
	v_add_co_ci_u32_e32 v23, vcc_lo, v31, v23, vcc_lo
	s_delay_alu instid0(VALU_DEP_3) | instskip(NEXT) | instid1(VALU_DEP_4)
	v_add_co_u32 v26, vcc_lo, v30, v26
	v_add_co_ci_u32_e32 v27, vcc_lo, v31, v27, vcc_lo
	s_waitcnt lgkmcnt(4)
	global_store_b128 v[20:21], v[0:3], off
	s_waitcnt lgkmcnt(3)
	global_store_b128 v[24:25], v[4:7], off
	s_waitcnt lgkmcnt(2)
	global_store_b128 v[28:29], v[8:11], off
	s_waitcnt lgkmcnt(1)
	global_store_b128 v[22:23], v[12:15], off
	s_waitcnt lgkmcnt(0)
	global_store_b128 v[26:27], v[16:19], off
	s_nop 0
	s_sendmsg sendmsg(MSG_DEALLOC_VGPRS)
	s_endpgm
	.section	.rodata,"a",@progbits
	.p2align	6, 0x0
	.amdhsa_kernel _Z39paged_attention_ll4mi_QKV_mfma16_kernelI14__hip_bfloat16hLN4vllm18Fp8KVCacheDataTypeE1EhLi32ELi64ELi256ELb0ELi16EL8MFMAType1EEvPKT_PKT0_S9_ifPKiSB_SB_iPKfiiiPfSE_PS4_PT2_iSD_SD_
		.amdhsa_group_segment_fixed_size 17472
		.amdhsa_private_segment_fixed_size 0
		.amdhsa_kernarg_size 400
		.amdhsa_user_sgpr_count 13
		.amdhsa_user_sgpr_dispatch_ptr 0
		.amdhsa_user_sgpr_queue_ptr 0
		.amdhsa_user_sgpr_kernarg_segment_ptr 1
		.amdhsa_user_sgpr_dispatch_id 0
		.amdhsa_user_sgpr_private_segment_size 0
		.amdhsa_wavefront_size32 1
		.amdhsa_uses_dynamic_stack 0
		.amdhsa_enable_private_segment 0
		.amdhsa_system_sgpr_workgroup_id_x 1
		.amdhsa_system_sgpr_workgroup_id_y 1
		.amdhsa_system_sgpr_workgroup_id_z 1
		.amdhsa_system_sgpr_workgroup_info 0
		.amdhsa_system_vgpr_workitem_id 0
		.amdhsa_next_free_vgpr 125
		.amdhsa_next_free_sgpr 40
		.amdhsa_reserve_vcc 1
		.amdhsa_float_round_mode_32 0
		.amdhsa_float_round_mode_16_64 0
		.amdhsa_float_denorm_mode_32 3
		.amdhsa_float_denorm_mode_16_64 3
		.amdhsa_dx10_clamp 1
		.amdhsa_ieee_mode 1
		.amdhsa_fp16_overflow 0
		.amdhsa_workgroup_processor_mode 1
		.amdhsa_memory_ordered 1
		.amdhsa_forward_progress 0
		.amdhsa_shared_vgpr_count 0
		.amdhsa_exception_fp_ieee_invalid_op 0
		.amdhsa_exception_fp_denorm_src 0
		.amdhsa_exception_fp_ieee_div_zero 0
		.amdhsa_exception_fp_ieee_overflow 0
		.amdhsa_exception_fp_ieee_underflow 0
		.amdhsa_exception_fp_ieee_inexact 0
		.amdhsa_exception_int_div_zero 0
	.end_amdhsa_kernel
	.section	.text._Z39paged_attention_ll4mi_QKV_mfma16_kernelI14__hip_bfloat16hLN4vllm18Fp8KVCacheDataTypeE1EhLi32ELi64ELi256ELb0ELi16EL8MFMAType1EEvPKT_PKT0_S9_ifPKiSB_SB_iPKfiiiPfSE_PS4_PT2_iSD_SD_,"axG",@progbits,_Z39paged_attention_ll4mi_QKV_mfma16_kernelI14__hip_bfloat16hLN4vllm18Fp8KVCacheDataTypeE1EhLi32ELi64ELi256ELb0ELi16EL8MFMAType1EEvPKT_PKT0_S9_ifPKiSB_SB_iPKfiiiPfSE_PS4_PT2_iSD_SD_,comdat
.Lfunc_end1461:
	.size	_Z39paged_attention_ll4mi_QKV_mfma16_kernelI14__hip_bfloat16hLN4vllm18Fp8KVCacheDataTypeE1EhLi32ELi64ELi256ELb0ELi16EL8MFMAType1EEvPKT_PKT0_S9_ifPKiSB_SB_iPKfiiiPfSE_PS4_PT2_iSD_SD_, .Lfunc_end1461-_Z39paged_attention_ll4mi_QKV_mfma16_kernelI14__hip_bfloat16hLN4vllm18Fp8KVCacheDataTypeE1EhLi32ELi64ELi256ELb0ELi16EL8MFMAType1EEvPKT_PKT0_S9_ifPKiSB_SB_iPKfiiiPfSE_PS4_PT2_iSD_SD_
                                        ; -- End function
	.section	.AMDGPU.csdata,"",@progbits
; Kernel info:
; codeLenInByte = 8928
; NumSgprs: 42
; NumVgprs: 125
; ScratchSize: 0
; MemoryBound: 0
; FloatMode: 240
; IeeeMode: 1
; LDSByteSize: 17472 bytes/workgroup (compile time only)
; SGPRBlocks: 5
; VGPRBlocks: 15
; NumSGPRsForWavesPerEU: 42
; NumVGPRsForWavesPerEU: 125
; Occupancy: 10
; WaveLimiterHint : 1
; COMPUTE_PGM_RSRC2:SCRATCH_EN: 0
; COMPUTE_PGM_RSRC2:USER_SGPR: 13
; COMPUTE_PGM_RSRC2:TRAP_HANDLER: 0
; COMPUTE_PGM_RSRC2:TGID_X_EN: 1
; COMPUTE_PGM_RSRC2:TGID_Y_EN: 1
; COMPUTE_PGM_RSRC2:TGID_Z_EN: 1
; COMPUTE_PGM_RSRC2:TIDIG_COMP_CNT: 0
	.section	.text._Z39paged_attention_ll4mi_QKV_mfma16_kernelI14__hip_bfloat16hLN4vllm18Fp8KVCacheDataTypeE1EhLi32ELi64ELi256ELb0ELi1EL8MFMAType1EEvPKT_PKT0_S9_ifPKiSB_SB_iPKfiiiPfSE_PS4_PT2_iSD_SD_,"axG",@progbits,_Z39paged_attention_ll4mi_QKV_mfma16_kernelI14__hip_bfloat16hLN4vllm18Fp8KVCacheDataTypeE1EhLi32ELi64ELi256ELb0ELi1EL8MFMAType1EEvPKT_PKT0_S9_ifPKiSB_SB_iPKfiiiPfSE_PS4_PT2_iSD_SD_,comdat
	.protected	_Z39paged_attention_ll4mi_QKV_mfma16_kernelI14__hip_bfloat16hLN4vllm18Fp8KVCacheDataTypeE1EhLi32ELi64ELi256ELb0ELi1EL8MFMAType1EEvPKT_PKT0_S9_ifPKiSB_SB_iPKfiiiPfSE_PS4_PT2_iSD_SD_ ; -- Begin function _Z39paged_attention_ll4mi_QKV_mfma16_kernelI14__hip_bfloat16hLN4vllm18Fp8KVCacheDataTypeE1EhLi32ELi64ELi256ELb0ELi1EL8MFMAType1EEvPKT_PKT0_S9_ifPKiSB_SB_iPKfiiiPfSE_PS4_PT2_iSD_SD_
	.globl	_Z39paged_attention_ll4mi_QKV_mfma16_kernelI14__hip_bfloat16hLN4vllm18Fp8KVCacheDataTypeE1EhLi32ELi64ELi256ELb0ELi1EL8MFMAType1EEvPKT_PKT0_S9_ifPKiSB_SB_iPKfiiiPfSE_PS4_PT2_iSD_SD_
	.p2align	8
	.type	_Z39paged_attention_ll4mi_QKV_mfma16_kernelI14__hip_bfloat16hLN4vllm18Fp8KVCacheDataTypeE1EhLi32ELi64ELi256ELb0ELi1EL8MFMAType1EEvPKT_PKT0_S9_ifPKiSB_SB_iPKfiiiPfSE_PS4_PT2_iSD_SD_,@function
_Z39paged_attention_ll4mi_QKV_mfma16_kernelI14__hip_bfloat16hLN4vllm18Fp8KVCacheDataTypeE1EhLi32ELi64ELi256ELb0ELi1EL8MFMAType1EEvPKT_PKT0_S9_ifPKiSB_SB_iPKfiiiPfSE_PS4_PT2_iSD_SD_: ; @_Z39paged_attention_ll4mi_QKV_mfma16_kernelI14__hip_bfloat16hLN4vllm18Fp8KVCacheDataTypeE1EhLi32ELi64ELi256ELb0ELi1EL8MFMAType1EEvPKT_PKT0_S9_ifPKiSB_SB_iPKfiiiPfSE_PS4_PT2_iSD_SD_
; %bb.0:
	s_load_b64 s[4:5], s[0:1], 0x30
	s_mov_b32 s34, s13
	s_waitcnt lgkmcnt(0)
	s_cmp_lg_u64 s[4:5], 0
	s_cselect_b32 s6, -1, 0
	s_ashr_i32 s35, s13, 31
	s_cmp_eq_u64 s[4:5], 0
	s_cbranch_scc1 .LBB1462_3
; %bb.1:
	s_lshl_b64 s[2:3], s[34:35], 2
	s_delay_alu instid0(SALU_CYCLE_1) | instskip(SKIP_4) | instid1(SALU_CYCLE_1)
	s_add_u32 s2, s4, s2
	s_addc_u32 s3, s5, s3
	s_load_b64 s[2:3], s[2:3], 0x0
	s_waitcnt lgkmcnt(0)
	s_sub_i32 s2, s3, s2
	s_cmp_eq_u32 s2, 1
	s_cselect_b32 s2, -1, 0
	s_delay_alu instid0(SALU_CYCLE_1)
	s_and_not1_b32 vcc_lo, exec_lo, s2
	s_cbranch_vccz .LBB1462_4
.LBB1462_2:
	s_endpgm
.LBB1462_3:
.LBB1462_4:
	s_load_b64 s[2:3], s[0:1], 0x28
	s_lshl_b64 s[8:9], s[34:35], 2
	s_waitcnt lgkmcnt(0)
	s_add_u32 s2, s2, s8
	s_addc_u32 s3, s3, s9
	s_lshl_b32 s12, s14, 8
	s_load_b32 s33, s[2:3], 0x0
	s_waitcnt lgkmcnt(0)
	s_cmp_ge_i32 s12, s33
	s_cbranch_scc1 .LBB1462_2
; %bb.5:
	s_clause 0x1
	s_load_b128 s[28:31], s[0:1], 0x8
	s_load_b64 s[2:3], s[0:1], 0x20
	s_and_not1_b32 vcc_lo, exec_lo, s6
	s_mov_b64 s[6:7], s[34:35]
	s_cbranch_vccnz .LBB1462_7
; %bb.6:
	s_add_u32 s4, s4, s8
	s_addc_u32 s5, s5, s9
	s_load_b32 s6, s[4:5], 0x0
.LBB1462_7:
	s_load_b128 s[24:27], s[0:1], 0x48
	v_and_b32_e32 v73, 15, v0
	s_mov_b32 s13, exec_lo
                                        ; implicit-def: $sgpr16
                                        ; implicit-def: $sgpr4
	s_delay_alu instid0(VALU_DEP_1)
	v_cmpx_eq_u32_e32 0, v73
	s_cbranch_execz .LBB1462_9
; %bb.8:
	s_load_b64 s[4:5], s[0:1], 0x0
	s_waitcnt lgkmcnt(0)
	s_mul_hi_i32 s7, s6, s24
	s_mul_i32 s6, s6, s24
	s_delay_alu instid0(SALU_CYCLE_1) | instskip(NEXT) | instid1(SALU_CYCLE_1)
	s_lshl_b64 s[6:7], s[6:7], 1
	s_add_u32 s6, s4, s6
	s_addc_u32 s7, s5, s7
	s_lshl_b32 s4, s15, 6
	s_delay_alu instid0(SALU_CYCLE_1) | instskip(NEXT) | instid1(SALU_CYCLE_1)
	s_ashr_i32 s5, s4, 31
	s_lshl_b64 s[4:5], s[4:5], 1
	s_delay_alu instid0(SALU_CYCLE_1)
	s_add_u32 s4, s6, s4
	s_addc_u32 s5, s7, s5
	s_clause 0x1
	s_load_b256 s[16:23], s[4:5], 0x0
	s_load_b256 s[4:11], s[4:5], 0x40
.LBB1462_9:
	s_or_b32 exec_lo, exec_lo, s13
	s_waitcnt lgkmcnt(0)
	v_dual_mov_b32 v114, s23 :: v_dual_and_b32 v1, 0xef, v0
	s_add_i32 s13, s33, 31
	s_load_b32 s27, s[0:1], 0x38
	s_ashr_i32 s24, s13, 31
	s_delay_alu instid0(VALU_DEP_1) | instskip(SKIP_3) | instid1(VALU_DEP_2)
	v_dual_mov_b32 v112, s21 :: v_dual_add_nc_u32 v1, s12, v1
	s_lshr_b32 s24, s24, 27
	v_lshrrev_b32_e32 v65, 5, v0
	s_add_i32 s13, s13, s24
	v_ashrrev_i32_e32 v2, 31, v1
	v_or_b32_e32 v3, 16, v1
	s_ashr_i32 s13, s13, 5
	v_cmp_gt_i32_e32 vcc_lo, s33, v1
	s_add_i32 s13, s13, -1
	v_lshrrev_b32_e32 v2, 27, v2
	s_load_b32 s24, s[0:1], 0x1c
	v_dual_mov_b32 v111, s20 :: v_dual_mov_b32 v108, s17
	v_mbcnt_lo_u32_b32 v67, -1, 0
	s_delay_alu instid0(VALU_DEP_3)
	v_dual_mov_b32 v113, s22 :: v_dual_add_nc_u32 v4, v1, v2
	v_lshlrev_b32_e32 v74, 4, v73
	s_waitcnt lgkmcnt(0)
	s_mul_i32 s36, s34, s27
	v_xor_b32_e32 v68, 16, v67
	v_ashrrev_i32_e32 v4, 5, v4
	v_add_nc_u32_e32 v2, v3, v2
	s_ashr_i32 s37, s36, 31
	v_mov_b32_e32 v110, s19
	s_lshl_b64 s[36:37], s[36:37], 2
	v_cndmask_b32_e32 v1, s13, v4, vcc_lo
	v_ashrrev_i32_e32 v2, 5, v2
	v_cmp_gt_i32_e32 vcc_lo, s33, v3
	s_add_u32 s36, s2, s36
	s_addc_u32 s35, s3, s37
	s_mul_i32 s37, s15, s26
	v_and_b32_e32 v66, 0xe0, v0
	v_cndmask_b32_e32 v3, s13, v2, vcc_lo
	v_ashrrev_i32_e32 v2, 31, v1
	s_ashr_i32 s38, s37, 31
	s_add_u32 s40, s28, s37
	s_addc_u32 s41, s29, s38
	v_ashrrev_i32_e32 v4, 31, v3
	v_lshlrev_b64 v[1:2], 2, v[1:2]
	s_lshl_b32 s2, s14, 3
	v_add_nc_u32_e32 v66, s12, v66
	s_ashr_i32 s3, s2, 31
	v_lshlrev_b64 v[3:4], 2, v[3:4]
	s_lshl_b64 s[2:3], s[2:3], 2
	v_add_co_u32 v1, vcc_lo, s36, v1
	v_add_co_ci_u32_e32 v2, vcc_lo, s35, v2, vcc_lo
	s_delay_alu instid0(VALU_DEP_3) | instskip(NEXT) | instid1(VALU_DEP_4)
	v_add_co_u32 v3, vcc_lo, s36, v3
	v_add_co_ci_u32_e32 v4, vcc_lo, s35, v4, vcc_lo
	s_clause 0x1
	global_load_b32 v5, v[1:2], off
	global_load_b32 v6, v[3:4], off
	s_add_u32 s2, s36, s2
	s_addc_u32 s3, s35, s3
	s_or_b32 s26, s12, 32
	s_delay_alu instid0(SALU_CYCLE_1) | instskip(SKIP_2) | instid1(SALU_CYCLE_1)
	s_ashr_i32 s27, s26, 5
	s_cmp_lt_i32 s26, s33
	s_cselect_b32 s26, s27, s13
	s_ashr_i32 s27, s26, 31
	s_delay_alu instid0(SALU_CYCLE_1) | instskip(NEXT) | instid1(SALU_CYCLE_1)
	s_lshl_b64 s[26:27], s[26:27], 2
	s_add_u32 s26, s36, s26
	s_addc_u32 s27, s35, s27
	s_or_b32 s28, s12, 64
	s_delay_alu instid0(SALU_CYCLE_1) | instskip(SKIP_2) | instid1(SALU_CYCLE_1)
	s_ashr_i32 s29, s28, 5
	s_cmp_lt_i32 s28, s33
	s_cselect_b32 s28, s29, s13
	s_ashr_i32 s29, s28, 31
	s_delay_alu instid0(SALU_CYCLE_1) | instskip(NEXT) | instid1(SALU_CYCLE_1)
	s_lshl_b64 s[28:29], s[28:29], 2
	;; [unrolled: 10-line block ×5, first 2 shown]
	s_add_u32 s48, s36, s28
	s_addc_u32 s49, s35, s29
	s_clause 0x5
	s_load_b32 s29, s[2:3], 0x0
	s_load_b32 s2, s[26:27], 0x0
	;; [unrolled: 1-line block ×6, first 2 shown]
	s_or_b32 s39, s12, 0xc0
	s_waitcnt vmcnt(1)
	v_mad_i64_i32 v[1:2], null, v5, s25, s[40:41]
	s_waitcnt vmcnt(0)
	v_mad_i64_i32 v[3:4], null, v6, s25, s[40:41]
	s_ashr_i32 s40, s39, 5
	s_cmp_lt_i32 s39, s33
	s_cselect_b32 s40, s40, s13
	s_delay_alu instid0(VALU_DEP_2) | instskip(NEXT) | instid1(VALU_DEP_3)
	v_add_co_u32 v1, vcc_lo, v1, v74
	v_add_co_ci_u32_e32 v2, vcc_lo, 0, v2, vcc_lo
	s_delay_alu instid0(VALU_DEP_3) | instskip(NEXT) | instid1(VALU_DEP_4)
	v_add_co_u32 v3, vcc_lo, v3, v74
	v_add_co_ci_u32_e32 v4, vcc_lo, 0, v4, vcc_lo
	s_clause 0x7
	global_load_b128 v[75:78], v[1:2], off
	global_load_b128 v[79:82], v[1:2], off offset:512
	global_load_b128 v[83:86], v[3:4], off offset:256
	;; [unrolled: 1-line block ×7, first 2 shown]
	s_ashr_i32 s41, s40, 31
	v_lshlrev_b32_e32 v1, 5, v73
	s_lshl_b64 s[40:41], s[40:41], 2
	v_cmp_gt_i32_e32 vcc_lo, 32, v68
	s_add_u32 s40, s36, s40
	s_addc_u32 s41, s35, s41
	s_or_b32 s39, s12, 0xe0
	v_lshl_or_b32 v1, v65, 9, v1
	s_ashr_i32 s42, s39, 5
	s_cmp_lt_i32 s39, s33
	s_cselect_b32 s42, s42, s13
	s_load_b32 s13, s[40:41], 0x0
	s_ashr_i32 s43, s42, 31
	s_delay_alu instid0(SALU_CYCLE_1) | instskip(NEXT) | instid1(SALU_CYCLE_1)
	s_lshl_b64 s[42:43], s[42:43], 2
	s_add_u32 s40, s36, s42
	s_addc_u32 s41, s35, s43
	s_add_u32 s30, s30, s37
	s_addc_u32 s31, s31, s38
	v_add_co_u32 v1, s30, s30, v1
	s_delay_alu instid0(VALU_DEP_1) | instskip(SKIP_3) | instid1(VALU_DEP_1)
	v_add_co_ci_u32_e64 v2, null, s31, 0, s30
	s_load_b32 s30, s[40:41], 0x0
	s_mov_b32 s36, 0
	s_waitcnt lgkmcnt(0)
	v_mad_i64_i32 v[3:4], null, s29, s25, v[1:2]
	v_mad_i64_i32 v[9:10], null, s26, s25, v[1:2]
	;; [unrolled: 1-line block ×7, first 2 shown]
	s_clause 0x5
	global_load_b128 v[49:52], v[3:4], off
	global_load_b128 v[53:56], v[3:4], off offset:16
	global_load_b128 v[41:44], v[5:6], off
	global_load_b128 v[45:48], v[5:6], off offset:16
	;; [unrolled: 2-line block ×3, first 2 shown]
	s_mov_b32 s43, s36
	s_mov_b32 s37, s36
	v_mad_i64_i32 v[61:62], null, s30, s25, v[1:2]
	s_clause 0x9
	global_load_b128 v[25:28], v[9:10], off
	global_load_b128 v[29:32], v[9:10], off offset:16
	global_load_b128 v[1:4], v[11:12], off
	global_load_b128 v[5:8], v[11:12], off offset:16
	;; [unrolled: 2-line block ×5, first 2 shown]
	s_mov_b32 s38, s36
	s_mov_b32 s39, s36
	;; [unrolled: 1-line block ×5, first 2 shown]
	v_dual_mov_b32 v109, s18 :: v_dual_mov_b32 v122, s43
	v_dual_mov_b32 v107, s16 :: v_dual_mov_b32 v120, s41
	;; [unrolled: 1-line block ×4, first 2 shown]
	v_mov_b32_e32 v117, s38
	v_mov_b32_e32 v115, s36
	s_waitcnt vmcnt(0)
	s_barrier
	buffer_gl0_inv
	v_wmma_f32_16x16x16_bf16 v[123:130], v[75:82], v[107:114], v[115:122]
	v_bfe_u32 v75, v0, 4, 1
	v_wmma_f32_16x16x16_bf16 v[115:122], v[83:90], v[107:114], v[115:122]
	v_dual_mov_b32 v83, s11 :: v_dual_mov_b32 v82, s10
	v_dual_mov_b32 v81, s9 :: v_dual_mov_b32 v80, s8
	s_delay_alu instid0(VALU_DEP_4) | instskip(SKIP_2) | instid1(VALU_DEP_3)
	v_or_b32_e32 v66, v66, v75
	v_dual_mov_b32 v79, s7 :: v_dual_mov_b32 v78, s6
	v_dual_mov_b32 v77, s5 :: v_dual_mov_b32 v76, s4
	v_or_b32_e32 v69, 4, v66
	v_or_b32_e32 v70, 6, v66
	;; [unrolled: 1-line block ×3, first 2 shown]
	v_cmp_gt_i32_e64 s2, s33, v66
	v_wmma_f32_16x16x16_bf16 v[123:130], v[91:98], v[76:83], v[123:130]
	v_cndmask_b32_e32 v67, v67, v68, vcc_lo
	v_or_b32_e32 v68, 2, v66
	v_wmma_f32_16x16x16_bf16 v[115:122], v[99:106], v[76:83], v[115:122]
	v_or_b32_e32 v72, 10, v66
	v_dual_mul_f32 v78, s24, v130 :: v_dual_mul_f32 v83, s24, v125
	v_dual_mul_f32 v92, s24, v124 :: v_dual_mul_f32 v93, s24, v123
	s_delay_alu instid0(VALU_DEP_4) | instskip(SKIP_2) | instid1(VALU_DEP_4)
	v_mul_f32_e32 v94, s24, v122
	v_cmp_gt_i32_e32 vcc_lo, s33, v68
	v_dual_mul_f32 v81, s24, v127 :: v_dual_mul_f32 v82, s24, v126
	v_cndmask_b32_e64 v93, 0xff7fffff, v93, s2
	v_cmp_gt_i32_e64 s3, s33, v69
	v_cndmask_b32_e32 v92, 0xff7fffff, v92, vcc_lo
	v_cmp_gt_i32_e64 s4, s33, v70
	v_cmp_gt_i32_e64 s5, s33, v71
	v_or_b32_e32 v84, 12, v66
	v_or_b32_e32 v85, 14, v66
	v_dual_mul_f32 v79, s24, v129 :: v_dual_mul_f32 v80, s24, v128
	v_cndmask_b32_e64 v69, 0xff7fffff, v83, s3
	v_cndmask_b32_e64 v70, 0xff7fffff, v82, s4
	v_cndmask_b32_e64 v71, 0xff7fffff, v81, s5
	v_cmp_gt_i32_e64 s6, s33, v72
	v_lshlrev_b32_e32 v81, 2, v67
	v_max3_f32 v82, v93, 0xff7fffff, v92
	v_or_b32_e32 v86, 16, v66
	v_or_b32_e32 v87, 18, v66
	v_cndmask_b32_e64 v72, 0xff7fffff, v80, s6
	v_cmp_gt_i32_e64 s7, s33, v84
	v_max3_f32 v69, v82, v69, v70
	v_cmp_gt_i32_e64 s8, s33, v85
	v_or_b32_e32 v88, 20, v66
	v_or_b32_e32 v89, 22, v66
	;; [unrolled: 1-line block ×6, first 2 shown]
	v_dual_mul_f32 v99, s24, v117 :: v_dual_mul_f32 v68, s24, v116
	v_mul_f32_e32 v66, s24, v115
	v_cndmask_b32_e64 v70, 0xff7fffff, v79, s7
	v_cndmask_b32_e64 v78, 0xff7fffff, v78, s8
	v_max3_f32 v69, v69, v71, v72
	v_cmp_gt_i32_e64 s9, s33, v86
	v_cmp_gt_i32_e64 s10, s33, v87
	v_dual_mul_f32 v97, s24, v119 :: v_dual_mul_f32 v98, s24, v118
	s_delay_alu instid0(VALU_DEP_4) | instskip(NEXT) | instid1(VALU_DEP_4)
	v_max3_f32 v69, v69, v70, v78
	v_cndmask_b32_e64 v66, 0xff7fffff, v66, s9
	s_delay_alu instid0(VALU_DEP_4) | instskip(SKIP_3) | instid1(VALU_DEP_4)
	v_cndmask_b32_e64 v68, 0xff7fffff, v68, s10
	v_cmp_gt_i32_e64 s11, s33, v88
	v_cmp_gt_i32_e64 s12, s33, v89
	v_dual_mul_f32 v95, s24, v121 :: v_dual_mul_f32 v96, s24, v120
	v_max3_f32 v66, v69, v66, v68
	s_delay_alu instid0(VALU_DEP_4) | instskip(NEXT) | instid1(VALU_DEP_4)
	v_cndmask_b32_e64 v70, 0xff7fffff, v99, s11
	v_cndmask_b32_e64 v71, 0xff7fffff, v98, s12
	v_cmp_gt_i32_e64 s13, s33, v90
	v_cmp_gt_i32_e64 s16, s33, v91
	;; [unrolled: 1-line block ×4, first 2 shown]
	v_max3_f32 v66, v66, v70, v71
	v_cndmask_b32_e64 v68, 0xff7fffff, v97, s13
	v_cndmask_b32_e64 v69, 0xff7fffff, v96, s16
	;; [unrolled: 1-line block ×4, first 2 shown]
	s_delay_alu instid0(VALU_DEP_3) | instskip(NEXT) | instid1(VALU_DEP_1)
	v_max3_f32 v66, v66, v68, v69
	v_max3_f32 v66, v66, v70, v71
	ds_bpermute_b32 v67, v81, v66
	s_waitcnt lgkmcnt(0)
	v_max_f32_e32 v67, v67, v67
	s_delay_alu instid0(VALU_DEP_1) | instskip(NEXT) | instid1(VALU_DEP_1)
	v_max_f32_e32 v66, v66, v67
	v_fma_f32 v69, s24, v125, -v66
	s_delay_alu instid0(VALU_DEP_1) | instskip(NEXT) | instid1(VALU_DEP_1)
	v_mul_f32_e32 v69, 0x3fb8aa3b, v69
	v_exp_f32_e32 v69, v69
	s_waitcnt_depctr 0xfff
	v_cndmask_b32_e64 v82, 0, v69, s3
	v_fma_f32 v69, s24, v130, -v66
	s_mov_b32 s3, exec_lo
	s_delay_alu instid0(VALU_DEP_1)
	v_mul_f32_e32 v69, 0x3fb8aa3b, v69
	v_fma_f32 v67, s24, v123, -v66
	v_fma_f32 v68, s24, v124, -v66
	;; [unrolled: 1-line block ×5, first 2 shown]
	s_delay_alu instid0(VALU_DEP_4) | instskip(NEXT) | instid1(VALU_DEP_4)
	v_dual_mul_f32 v67, 0x3fb8aa3b, v67 :: v_dual_mul_f32 v68, 0x3fb8aa3b, v68
	v_mul_f32_e32 v70, 0x3fb8aa3b, v70
	v_exp_f32_e32 v69, v69
	v_fma_f32 v77, s24, v119, -v66
	s_delay_alu instid0(VALU_DEP_3)
	v_exp_f32_e32 v67, v67
	v_exp_f32_e32 v68, v68
	v_mul_f32_e32 v71, 0x3fb8aa3b, v71
	v_exp_f32_e32 v70, v70
	v_mul_f32_e32 v77, 0x3fb8aa3b, v77
	v_fma_f32 v88, s24, v122, -v66
	v_cndmask_b32_e64 v87, 0, v69, s8
	s_delay_alu instid0(VALU_DEP_3) | instskip(SKIP_1) | instid1(TRANS32_DEP_3)
	v_exp_f32_e32 v77, v77
	v_cndmask_b32_e64 v80, 0, v67, s2
	v_cndmask_b32_e32 v76, 0, v68, vcc_lo
	v_fma_f32 v67, s24, v128, -v66
	v_exp_f32_e32 v71, v71
	s_delay_alu instid0(TRANS32_DEP_3) | instskip(SKIP_3) | instid1(VALU_DEP_1)
	v_cndmask_b32_e64 v84, 0, v70, s4
	v_add_f32_e32 v68, 0, v80
	v_fma_f32 v70, s24, v115, -v66
	v_dual_mul_f32 v67, 0x3fb8aa3b, v67 :: v_dual_mul_f32 v88, 0x3fb8aa3b, v88
	v_exp_f32_e32 v67, v67
	s_waitcnt_depctr 0xfff
	v_cndmask_b32_e64 v85, 0, v71, s5
	v_fma_f32 v71, s24, v116, -v66
	s_delay_alu instid0(VALU_DEP_1) | instskip(NEXT) | instid1(VALU_DEP_1)
	v_dual_add_f32 v68, v68, v76 :: v_dual_mul_f32 v71, 0x3fb8aa3b, v71
	v_add_f32_e32 v68, v68, v82
	v_cndmask_b32_e64 v86, 0, v67, s6
	s_delay_alu instid0(VALU_DEP_3) | instskip(NEXT) | instid1(VALU_DEP_2)
	v_exp_f32_e32 v71, v71
	v_add_f32_e32 v68, v68, v84
	s_delay_alu instid0(VALU_DEP_1) | instskip(NEXT) | instid1(VALU_DEP_1)
	v_dual_mul_f32 v72, 0x3fb8aa3b, v72 :: v_dual_add_f32 v67, v68, v85
	v_exp_f32_e32 v72, v72
	v_fma_f32 v68, s24, v117, -v66
	s_delay_alu instid0(VALU_DEP_1)
	v_dual_add_f32 v67, v67, v86 :: v_dual_mul_f32 v68, 0x3fb8aa3b, v68
	s_waitcnt_depctr 0xfff
	v_cndmask_b32_e64 v83, 0, v72, s7
	v_fma_f32 v72, s24, v118, -v66
	v_exp_f32_e32 v78, v68
	v_cndmask_b32_e64 v68, 0, v71, s10
	v_fma_f32 v71, s24, v121, -v66
	v_dual_add_f32 v67, v67, v83 :: v_dual_mul_f32 v70, 0x3fb8aa3b, v70
	s_delay_alu instid0(VALU_DEP_1) | instskip(NEXT) | instid1(VALU_DEP_2)
	v_add_f32_e32 v67, v67, v87
	v_exp_f32_e32 v70, v70
	s_waitcnt_depctr 0xfff
	v_cndmask_b32_e64 v69, 0, v70, s9
	v_mul_f32_e32 v72, 0x3fb8aa3b, v72
	v_fma_f32 v70, s24, v120, -v66
	s_delay_alu instid0(VALU_DEP_3) | instskip(NEXT) | instid1(VALU_DEP_3)
	v_add_f32_e32 v67, v67, v69
	v_exp_f32_e32 v72, v72
	s_delay_alu instid0(VALU_DEP_2) | instskip(SKIP_1) | instid1(VALU_DEP_3)
	v_mul_f32_e32 v79, 0x3fb8aa3b, v70
	v_cndmask_b32_e64 v70, 0, v78, s11
	v_dual_mul_f32 v78, 0x3fb8aa3b, v71 :: v_dual_add_f32 v67, v67, v68
	s_delay_alu instid0(VALU_DEP_3) | instskip(NEXT) | instid1(VALU_DEP_1)
	v_exp_f32_e32 v79, v79
	v_exp_f32_e32 v78, v78
	s_delay_alu instid0(VALU_DEP_1) | instskip(NEXT) | instid1(TRANS32_DEP_3)
	v_add_f32_e32 v67, v67, v70
	v_cndmask_b32_e64 v71, 0, v72, s12
	v_cndmask_b32_e64 v72, 0, v77, s13
	s_delay_alu instid0(VALU_DEP_2)
	v_add_f32_e32 v67, v67, v71
	s_waitcnt_depctr 0xfff
	v_cndmask_b32_e64 v77, 0, v79, s16
	v_exp_f32_e32 v79, v88
	v_and_b32_e32 v88, 31, v0
	v_cndmask_b32_e64 v78, 0, v78, s17
	v_add_f32_e32 v67, v67, v72
	s_delay_alu instid0(VALU_DEP_3) | instskip(NEXT) | instid1(VALU_DEP_2)
	v_cmp_lt_u32_e64 s2, 15, v88
	v_add_f32_e32 v67, v67, v77
	s_waitcnt_depctr 0xfff
	v_cndmask_b32_e64 v79, 0, v79, s18
	v_add_f32_e32 v67, v67, v78
	s_delay_alu instid0(VALU_DEP_1)
	v_add_f32_e32 v67, v67, v79
	ds_bpermute_b32 v81, v81, v67
	v_cmpx_gt_u32_e32 16, v88
	s_cbranch_execz .LBB1462_11
; %bb.10:
	v_mul_u32_u24_e32 v88, 0x44, v65
	s_waitcnt lgkmcnt(0)
	v_add_f32_e32 v67, v67, v81
	s_delay_alu instid0(VALU_DEP_2) | instskip(NEXT) | instid1(VALU_DEP_1)
	v_lshl_add_u32 v88, v73, 2, v88
	v_add_nc_u32_e32 v81, 0x4000, v88
	ds_store_2addr_b32 v81, v66, v67 offset1:136
.LBB1462_11:
	s_or_b32 exec_lo, exec_lo, s3
	v_lshlrev_b32_e32 v66, 2, v73
	s_waitcnt lgkmcnt(0)
	s_barrier
	buffer_gl0_inv
	v_cmp_eq_u32_e32 vcc_lo, 1, v65
	v_add_nc_u32_e32 v81, 0x4000, v66
	v_cmp_eq_u32_e64 s3, 2, v65
	v_cmp_eq_u32_e64 s5, 7, v65
	ds_load_2addr_b32 v[88:89], v81 offset1:17
	ds_load_2addr_b32 v[90:91], v81 offset0:34 offset1:51
	ds_load_2addr_b32 v[92:93], v81 offset0:68 offset1:85
	;; [unrolled: 1-line block ×4, first 2 shown]
	s_waitcnt lgkmcnt(4)
	v_max3_f32 v66, v88, 0xff7fffff, v89
	s_waitcnt lgkmcnt(3)
	s_delay_alu instid0(VALU_DEP_1) | instskip(SKIP_1) | instid1(VALU_DEP_1)
	v_max3_f32 v66, v66, v90, v91
	s_waitcnt lgkmcnt(2)
	v_max3_f32 v66, v66, v92, v93
	s_waitcnt lgkmcnt(1)
	s_delay_alu instid0(VALU_DEP_1) | instskip(NEXT) | instid1(VALU_DEP_1)
	v_max3_f32 v66, v66, v94, v95
	v_sub_f32_e32 v92, v92, v66
	s_delay_alu instid0(VALU_DEP_1) | instskip(NEXT) | instid1(VALU_DEP_1)
	v_dual_sub_f32 v67, v88, v66 :: v_dual_mul_f32 v102, 0x3fb8aa3b, v92
	v_mul_f32_e32 v67, 0x3fb8aa3b, v67
	s_delay_alu instid0(VALU_DEP_1)
	v_exp_f32_e32 v99, v67
	v_sub_f32_e32 v67, v91, v66
	v_sub_f32_e32 v98, v89, v66
	ds_load_2addr_b32 v[88:89], v81 offset0:170 offset1:187
	v_dual_mul_f32 v101, 0x3fb8aa3b, v67 :: v_dual_mul_f32 v98, 0x3fb8aa3b, v98
	s_waitcnt lgkmcnt(1)
	v_fma_f32 v67, v99, v96, 0
	s_delay_alu instid0(VALU_DEP_2) | instskip(NEXT) | instid1(VALU_DEP_2)
	v_exp_f32_e32 v101, v101
	v_exp_f32_e32 v98, v98
	s_waitcnt_depctr 0xfff
	v_fmac_f32_e32 v67, v98, v97
	v_sub_f32_e32 v90, v90, v66
	s_delay_alu instid0(VALU_DEP_1)
	v_mul_f32_e32 v100, 0x3fb8aa3b, v90
	ds_load_2addr_b32 v[90:91], v81 offset0:204 offset1:221
	v_sub_f32_e32 v96, v93, v66
	ds_load_2addr_b32 v[92:93], v81 offset0:238 offset1:255
	s_waitcnt lgkmcnt(0)
	v_exp_f32_e32 v100, v100
	s_barrier
	buffer_gl0_inv
	v_dual_fmac_f32 v67, v100, v88 :: v_dual_sub_f32 v88, v95, v66
	v_dual_sub_f32 v81, v94, v66 :: v_dual_mul_f32 v94, 0x3fb8aa3b, v96
	v_exp_f32_e32 v96, v102
	s_delay_alu instid0(VALU_DEP_2) | instskip(NEXT) | instid1(VALU_DEP_2)
	v_dual_fmac_f32 v67, v101, v89 :: v_dual_mul_f32 v88, 0x3fb8aa3b, v88
	v_mul_f32_e32 v81, 0x3fb8aa3b, v81
	s_delay_alu instid0(VALU_DEP_3) | instskip(NEXT) | instid1(VALU_DEP_2)
	v_exp_f32_e32 v94, v94
	v_exp_f32_e32 v88, v88
	s_delay_alu instid0(VALU_DEP_1)
	v_exp_f32_e32 v81, v81
	v_fmac_f32_e32 v67, v96, v90
	s_delay_alu instid0(TRANS32_DEP_3) | instid1(VALU_DEP_1)
	v_fmac_f32_e32 v67, v94, v91
	s_waitcnt_depctr 0xfff
	v_fmac_f32_e32 v67, v81, v92
	s_delay_alu instid0(VALU_DEP_1) | instskip(NEXT) | instid1(VALU_DEP_1)
	v_fmac_f32_e32 v67, v88, v93
	v_add_f32_e32 v89, 0x358637bd, v67
	s_delay_alu instid0(VALU_DEP_1) | instskip(NEXT) | instid1(VALU_DEP_1)
	v_div_scale_f32 v90, null, v89, v89, 1.0
	v_rcp_f32_e32 v91, v90
	s_waitcnt_depctr 0xfff
	v_fma_f32 v92, -v90, v91, 1.0
	s_delay_alu instid0(VALU_DEP_1) | instskip(SKIP_1) | instid1(VALU_DEP_2)
	v_dual_fmac_f32 v91, v92, v91 :: v_dual_cndmask_b32 v92, v99, v98
	v_cmp_eq_u32_e32 vcc_lo, 3, v65
	v_cndmask_b32_e64 v92, v92, v100, s3
	v_cmp_eq_u32_e64 s3, 4, v65
	s_delay_alu instid0(VALU_DEP_2) | instskip(SKIP_1) | instid1(VALU_DEP_2)
	v_cndmask_b32_e32 v92, v92, v101, vcc_lo
	v_cmp_eq_u32_e32 vcc_lo, 5, v65
	v_cndmask_b32_e64 v92, v92, v96, s3
	v_cmp_eq_u32_e64 s3, 6, v65
	s_delay_alu instid0(VALU_DEP_2) | instskip(SKIP_1) | instid1(VALU_DEP_1)
	v_cndmask_b32_e32 v92, v92, v94, vcc_lo
	v_div_scale_f32 v93, s4, 1.0, v89, 1.0
	s_mov_b32 vcc_lo, s4
	s_delay_alu instid0(VALU_DEP_2) | instskip(NEXT) | instid1(VALU_DEP_2)
	v_cndmask_b32_e64 v81, v92, v81, s3
	v_mul_f32_e32 v95, v93, v91
	s_mov_b32 s3, exec_lo
	s_delay_alu instid0(VALU_DEP_2) | instskip(NEXT) | instid1(VALU_DEP_2)
	v_cndmask_b32_e64 v81, v81, v88, s5
	v_fma_f32 v97, -v90, v95, v93
	s_delay_alu instid0(VALU_DEP_1) | instskip(NEXT) | instid1(VALU_DEP_1)
	v_fmac_f32_e32 v95, v97, v91
	v_fma_f32 v90, -v90, v95, v93
	s_delay_alu instid0(VALU_DEP_1) | instskip(NEXT) | instid1(VALU_DEP_1)
	v_div_fmas_f32 v90, v90, v91, v95
	v_div_fixup_f32 v89, v90, v89, 1.0
	s_delay_alu instid0(VALU_DEP_1) | instskip(NEXT) | instid1(VALU_DEP_1)
	v_mul_f32_e32 v81, v81, v89
	v_mul_f32_e32 v89, v81, v80
	v_mul_f32_e32 v80, v81, v87
	v_mul_f32_e32 v83, v81, v83
	v_mul_f32_e32 v86, v81, v86
	v_mul_f32_e32 v87, v81, v85
	v_and_b32_e32 v90, 0x7f800000, v89
	v_mul_f32_e32 v88, v81, v84
	v_mul_f32_e32 v85, v81, v82
	;; [unrolled: 1-line block ×3, first 2 shown]
                                        ; implicit-def: $vgpr76
	s_delay_alu instid0(VALU_DEP_4)
	v_cmpx_ne_u32_e32 0x7f800000, v90
	s_xor_b32 s3, exec_lo, s3
; %bb.12:
	v_bfe_u32 v76, v89, 16, 1
	s_delay_alu instid0(VALU_DEP_1)
	v_add3_u32 v76, v89, v76, 0x7fff
                                        ; implicit-def: $vgpr89
; %bb.13:
	s_and_not1_saveexec_b32 s3, s3
; %bb.14:
	v_and_b32_e32 v76, 0xffff, v89
	v_or_b32_e32 v82, 0x10000, v89
	s_delay_alu instid0(VALU_DEP_2) | instskip(NEXT) | instid1(VALU_DEP_2)
	v_cmp_eq_u32_e32 vcc_lo, 0, v76
	v_cndmask_b32_e32 v76, v82, v89, vcc_lo
; %bb.15:
	s_or_b32 exec_lo, exec_lo, s3
	v_and_b32_e32 v82, 0x7f800000, v84
	s_delay_alu instid0(VALU_DEP_1) | instskip(SKIP_1) | instid1(SALU_CYCLE_1)
	v_cmp_ne_u32_e32 vcc_lo, 0x7f800000, v82
                                        ; implicit-def: $vgpr82
	s_and_saveexec_b32 s3, vcc_lo
	s_xor_b32 s3, exec_lo, s3
; %bb.16:
	v_bfe_u32 v82, v84, 16, 1
	s_delay_alu instid0(VALU_DEP_1)
	v_add3_u32 v82, v84, v82, 0x7fff
                                        ; implicit-def: $vgpr84
; %bb.17:
	s_and_not1_saveexec_b32 s3, s3
; %bb.18:
	v_and_b32_e32 v82, 0xffff, v84
	v_or_b32_e32 v89, 0x10000, v84
	s_delay_alu instid0(VALU_DEP_2) | instskip(NEXT) | instid1(VALU_DEP_2)
	v_cmp_eq_u32_e32 vcc_lo, 0, v82
	v_cndmask_b32_e32 v82, v89, v84, vcc_lo
; %bb.19:
	s_or_b32 exec_lo, exec_lo, s3
	v_and_b32_e32 v84, 0x7f800000, v85
	s_delay_alu instid0(VALU_DEP_1) | instskip(SKIP_1) | instid1(SALU_CYCLE_1)
	v_cmp_ne_u32_e32 vcc_lo, 0x7f800000, v84
                                        ; implicit-def: $vgpr84
	s_and_saveexec_b32 s3, vcc_lo
	s_xor_b32 s3, exec_lo, s3
; %bb.20:
	v_bfe_u32 v84, v85, 16, 1
	s_delay_alu instid0(VALU_DEP_1)
	v_add3_u32 v84, v85, v84, 0x7fff
                                        ; implicit-def: $vgpr85
; %bb.21:
	s_and_not1_saveexec_b32 s3, s3
; %bb.22:
	v_and_b32_e32 v84, 0xffff, v85
	v_or_b32_e32 v89, 0x10000, v85
	s_delay_alu instid0(VALU_DEP_2) | instskip(NEXT) | instid1(VALU_DEP_2)
	v_cmp_eq_u32_e32 vcc_lo, 0, v84
	v_cndmask_b32_e32 v84, v89, v85, vcc_lo
; %bb.23:
	s_or_b32 exec_lo, exec_lo, s3
	v_and_b32_e32 v85, 0x7f800000, v88
	s_delay_alu instid0(VALU_DEP_1) | instskip(SKIP_1) | instid1(SALU_CYCLE_1)
	v_cmp_ne_u32_e32 vcc_lo, 0x7f800000, v85
                                        ; implicit-def: $vgpr85
	s_and_saveexec_b32 s3, vcc_lo
	s_xor_b32 s3, exec_lo, s3
; %bb.24:
	v_bfe_u32 v85, v88, 16, 1
	s_delay_alu instid0(VALU_DEP_1)
	v_add3_u32 v85, v88, v85, 0x7fff
                                        ; implicit-def: $vgpr88
; %bb.25:
	s_and_not1_saveexec_b32 s3, s3
; %bb.26:
	v_and_b32_e32 v85, 0xffff, v88
	v_or_b32_e32 v89, 0x10000, v88
	s_delay_alu instid0(VALU_DEP_2) | instskip(NEXT) | instid1(VALU_DEP_2)
	v_cmp_eq_u32_e32 vcc_lo, 0, v85
	v_cndmask_b32_e32 v85, v89, v88, vcc_lo
; %bb.27:
	s_or_b32 exec_lo, exec_lo, s3
	v_and_b32_e32 v88, 0x7f800000, v87
	s_delay_alu instid0(VALU_DEP_1) | instskip(SKIP_1) | instid1(SALU_CYCLE_1)
	v_cmp_ne_u32_e32 vcc_lo, 0x7f800000, v88
                                        ; implicit-def: $vgpr88
	s_and_saveexec_b32 s3, vcc_lo
	s_xor_b32 s3, exec_lo, s3
; %bb.28:
	v_bfe_u32 v88, v87, 16, 1
	s_delay_alu instid0(VALU_DEP_1)
	v_add3_u32 v88, v87, v88, 0x7fff
                                        ; implicit-def: $vgpr87
; %bb.29:
	s_and_not1_saveexec_b32 s3, s3
; %bb.30:
	v_and_b32_e32 v88, 0xffff, v87
	v_or_b32_e32 v89, 0x10000, v87
	s_delay_alu instid0(VALU_DEP_2) | instskip(NEXT) | instid1(VALU_DEP_2)
	v_cmp_eq_u32_e32 vcc_lo, 0, v88
	v_cndmask_b32_e32 v88, v89, v87, vcc_lo
; %bb.31:
	s_or_b32 exec_lo, exec_lo, s3
	v_and_b32_e32 v87, 0x7f800000, v86
	s_delay_alu instid0(VALU_DEP_1) | instskip(SKIP_1) | instid1(SALU_CYCLE_1)
	v_cmp_ne_u32_e32 vcc_lo, 0x7f800000, v87
                                        ; implicit-def: $vgpr87
	s_and_saveexec_b32 s3, vcc_lo
	s_xor_b32 s3, exec_lo, s3
; %bb.32:
	v_bfe_u32 v87, v86, 16, 1
	s_delay_alu instid0(VALU_DEP_1)
	v_add3_u32 v87, v86, v87, 0x7fff
                                        ; implicit-def: $vgpr86
; %bb.33:
	s_and_not1_saveexec_b32 s3, s3
; %bb.34:
	v_and_b32_e32 v87, 0xffff, v86
	v_or_b32_e32 v89, 0x10000, v86
	s_delay_alu instid0(VALU_DEP_2) | instskip(NEXT) | instid1(VALU_DEP_2)
	v_cmp_eq_u32_e32 vcc_lo, 0, v87
	v_cndmask_b32_e32 v87, v89, v86, vcc_lo
; %bb.35:
	s_or_b32 exec_lo, exec_lo, s3
	v_and_b32_e32 v86, 0x7f800000, v83
	s_delay_alu instid0(VALU_DEP_1) | instskip(SKIP_1) | instid1(SALU_CYCLE_1)
	v_cmp_ne_u32_e32 vcc_lo, 0x7f800000, v86
                                        ; implicit-def: $vgpr86
	s_and_saveexec_b32 s3, vcc_lo
	s_xor_b32 s3, exec_lo, s3
; %bb.36:
	v_bfe_u32 v86, v83, 16, 1
	s_delay_alu instid0(VALU_DEP_1)
	v_add3_u32 v86, v83, v86, 0x7fff
                                        ; implicit-def: $vgpr83
; %bb.37:
	s_and_not1_saveexec_b32 s3, s3
; %bb.38:
	v_and_b32_e32 v86, 0xffff, v83
	v_or_b32_e32 v89, 0x10000, v83
	s_delay_alu instid0(VALU_DEP_2) | instskip(NEXT) | instid1(VALU_DEP_2)
	v_cmp_eq_u32_e32 vcc_lo, 0, v86
	v_cndmask_b32_e32 v86, v89, v83, vcc_lo
; %bb.39:
	s_or_b32 exec_lo, exec_lo, s3
	v_and_b32_e32 v83, 0x7f800000, v80
	s_delay_alu instid0(VALU_DEP_1) | instskip(SKIP_1) | instid1(SALU_CYCLE_1)
	v_cmp_ne_u32_e32 vcc_lo, 0x7f800000, v83
                                        ; implicit-def: $vgpr83
	s_and_saveexec_b32 s3, vcc_lo
	s_xor_b32 s3, exec_lo, s3
; %bb.40:
	v_bfe_u32 v83, v80, 16, 1
	s_delay_alu instid0(VALU_DEP_1)
	v_add3_u32 v83, v80, v83, 0x7fff
                                        ; implicit-def: $vgpr80
; %bb.41:
	s_and_not1_saveexec_b32 s3, s3
; %bb.42:
	v_and_b32_e32 v83, 0xffff, v80
	v_or_b32_e32 v89, 0x10000, v80
	s_delay_alu instid0(VALU_DEP_2) | instskip(NEXT) | instid1(VALU_DEP_2)
	v_cmp_eq_u32_e32 vcc_lo, 0, v83
	v_cndmask_b32_e32 v83, v89, v80, vcc_lo
; %bb.43:
	s_or_b32 exec_lo, exec_lo, s3
	s_load_b64 s[36:37], s[0:1], 0x94
	v_lshlrev_b32_e32 v90, 4, v75
	s_delay_alu instid0(VALU_DEP_2)
	v_perm_b32 v89, v83, v86, 0x7060302
	v_mul_f32_e32 v83, v81, v69
	v_dual_mul_f32 v69, v81, v79 :: v_dual_lshlrev_b32 v80, 6, v73
	v_dual_mul_f32 v78, v81, v78 :: v_dual_lshlrev_b32 v91, 11, v65
	v_perm_b32 v88, v87, v88, 0x7060302
	v_perm_b32 v87, v85, v84, 0x7060302
	;; [unrolled: 1-line block ×3, first 2 shown]
	s_delay_alu instid0(VALU_DEP_4)
	v_or3_b32 v76, v90, v91, v80
	v_dual_mul_f32 v77, v81, v77 :: v_dual_and_b32 v84, 0x7f800000, v83
	v_mul_f32_e32 v72, v81, v72
	v_mul_f32_e32 v82, v81, v71
	v_mul_f32_e32 v79, v81, v70
	v_mul_f32_e32 v71, v81, v68
	s_mov_b32 s3, exec_lo
	ds_store_b128 v76, v[86:89]
                                        ; implicit-def: $vgpr68
	v_cmpx_ne_u32_e32 0x7f800000, v84
	s_xor_b32 s3, exec_lo, s3
; %bb.44:
	v_bfe_u32 v68, v83, 16, 1
	s_delay_alu instid0(VALU_DEP_1)
	v_add3_u32 v68, v83, v68, 0x7fff
                                        ; implicit-def: $vgpr83
; %bb.45:
	s_and_not1_saveexec_b32 s3, s3
; %bb.46:
	v_and_b32_e32 v68, 0xffff, v83
	v_or_b32_e32 v70, 0x10000, v83
	s_delay_alu instid0(VALU_DEP_2) | instskip(NEXT) | instid1(VALU_DEP_2)
	v_cmp_eq_u32_e32 vcc_lo, 0, v68
	v_cndmask_b32_e32 v68, v70, v83, vcc_lo
; %bb.47:
	s_or_b32 exec_lo, exec_lo, s3
	v_and_b32_e32 v70, 0x7f800000, v71
	s_delay_alu instid0(VALU_DEP_1) | instskip(SKIP_1) | instid1(SALU_CYCLE_1)
	v_cmp_ne_u32_e32 vcc_lo, 0x7f800000, v70
                                        ; implicit-def: $vgpr70
	s_and_saveexec_b32 s3, vcc_lo
	s_xor_b32 s3, exec_lo, s3
; %bb.48:
	v_bfe_u32 v70, v71, 16, 1
	s_delay_alu instid0(VALU_DEP_1)
	v_add3_u32 v70, v71, v70, 0x7fff
                                        ; implicit-def: $vgpr71
; %bb.49:
	s_and_not1_saveexec_b32 s3, s3
; %bb.50:
	v_and_b32_e32 v70, 0xffff, v71
	v_or_b32_e32 v81, 0x10000, v71
	s_delay_alu instid0(VALU_DEP_2) | instskip(NEXT) | instid1(VALU_DEP_2)
	v_cmp_eq_u32_e32 vcc_lo, 0, v70
	v_cndmask_b32_e32 v70, v81, v71, vcc_lo
; %bb.51:
	s_or_b32 exec_lo, exec_lo, s3
	v_and_b32_e32 v71, 0x7f800000, v79
	s_delay_alu instid0(VALU_DEP_1) | instskip(SKIP_1) | instid1(SALU_CYCLE_1)
	v_cmp_ne_u32_e32 vcc_lo, 0x7f800000, v71
                                        ; implicit-def: $vgpr71
	s_and_saveexec_b32 s3, vcc_lo
	s_xor_b32 s3, exec_lo, s3
; %bb.52:
	v_bfe_u32 v71, v79, 16, 1
	s_delay_alu instid0(VALU_DEP_1)
	v_add3_u32 v71, v79, v71, 0x7fff
                                        ; implicit-def: $vgpr79
; %bb.53:
	s_and_not1_saveexec_b32 s3, s3
; %bb.54:
	v_and_b32_e32 v71, 0xffff, v79
	v_or_b32_e32 v81, 0x10000, v79
	s_delay_alu instid0(VALU_DEP_2) | instskip(NEXT) | instid1(VALU_DEP_2)
	v_cmp_eq_u32_e32 vcc_lo, 0, v71
	v_cndmask_b32_e32 v71, v81, v79, vcc_lo
; %bb.55:
	s_or_b32 exec_lo, exec_lo, s3
	v_and_b32_e32 v79, 0x7f800000, v82
	s_delay_alu instid0(VALU_DEP_1) | instskip(SKIP_1) | instid1(SALU_CYCLE_1)
	v_cmp_ne_u32_e32 vcc_lo, 0x7f800000, v79
                                        ; implicit-def: $vgpr79
	s_and_saveexec_b32 s3, vcc_lo
	s_xor_b32 s3, exec_lo, s3
; %bb.56:
	v_bfe_u32 v79, v82, 16, 1
	s_delay_alu instid0(VALU_DEP_1)
	v_add3_u32 v79, v82, v79, 0x7fff
                                        ; implicit-def: $vgpr82
; %bb.57:
	s_and_not1_saveexec_b32 s3, s3
; %bb.58:
	v_and_b32_e32 v79, 0xffff, v82
	v_or_b32_e32 v81, 0x10000, v82
	s_delay_alu instid0(VALU_DEP_2) | instskip(NEXT) | instid1(VALU_DEP_2)
	v_cmp_eq_u32_e32 vcc_lo, 0, v79
	v_cndmask_b32_e32 v79, v81, v82, vcc_lo
; %bb.59:
	s_or_b32 exec_lo, exec_lo, s3
	v_and_b32_e32 v81, 0x7f800000, v72
	s_delay_alu instid0(VALU_DEP_1) | instskip(SKIP_1) | instid1(SALU_CYCLE_1)
	v_cmp_ne_u32_e32 vcc_lo, 0x7f800000, v81
                                        ; implicit-def: $vgpr81
	s_and_saveexec_b32 s3, vcc_lo
	s_xor_b32 s3, exec_lo, s3
; %bb.60:
	v_bfe_u32 v81, v72, 16, 1
	s_delay_alu instid0(VALU_DEP_1)
	v_add3_u32 v81, v72, v81, 0x7fff
                                        ; implicit-def: $vgpr72
; %bb.61:
	s_and_not1_saveexec_b32 s3, s3
; %bb.62:
	v_and_b32_e32 v81, 0xffff, v72
	v_or_b32_e32 v82, 0x10000, v72
	s_delay_alu instid0(VALU_DEP_2) | instskip(NEXT) | instid1(VALU_DEP_2)
	v_cmp_eq_u32_e32 vcc_lo, 0, v81
	v_cndmask_b32_e32 v81, v82, v72, vcc_lo
; %bb.63:
	s_or_b32 exec_lo, exec_lo, s3
	v_and_b32_e32 v72, 0x7f800000, v77
	s_delay_alu instid0(VALU_DEP_1) | instskip(SKIP_1) | instid1(SALU_CYCLE_1)
	v_cmp_ne_u32_e32 vcc_lo, 0x7f800000, v72
                                        ; implicit-def: $vgpr72
	s_and_saveexec_b32 s3, vcc_lo
	s_xor_b32 s3, exec_lo, s3
; %bb.64:
	v_bfe_u32 v72, v77, 16, 1
	s_delay_alu instid0(VALU_DEP_1)
	v_add3_u32 v72, v77, v72, 0x7fff
                                        ; implicit-def: $vgpr77
; %bb.65:
	s_and_not1_saveexec_b32 s3, s3
; %bb.66:
	v_and_b32_e32 v72, 0xffff, v77
	v_or_b32_e32 v82, 0x10000, v77
	s_delay_alu instid0(VALU_DEP_2) | instskip(NEXT) | instid1(VALU_DEP_2)
	v_cmp_eq_u32_e32 vcc_lo, 0, v72
	v_cndmask_b32_e32 v72, v82, v77, vcc_lo
; %bb.67:
	s_or_b32 exec_lo, exec_lo, s3
	v_and_b32_e32 v77, 0x7f800000, v78
	s_delay_alu instid0(VALU_DEP_1) | instskip(SKIP_1) | instid1(SALU_CYCLE_1)
	v_cmp_ne_u32_e32 vcc_lo, 0x7f800000, v77
                                        ; implicit-def: $vgpr77
	s_and_saveexec_b32 s3, vcc_lo
	s_xor_b32 s3, exec_lo, s3
; %bb.68:
	v_bfe_u32 v77, v78, 16, 1
	s_delay_alu instid0(VALU_DEP_1)
	v_add3_u32 v77, v78, v77, 0x7fff
                                        ; implicit-def: $vgpr78
; %bb.69:
	s_and_not1_saveexec_b32 s3, s3
; %bb.70:
	v_and_b32_e32 v77, 0xffff, v78
	v_or_b32_e32 v82, 0x10000, v78
	s_delay_alu instid0(VALU_DEP_2) | instskip(NEXT) | instid1(VALU_DEP_2)
	v_cmp_eq_u32_e32 vcc_lo, 0, v77
	v_cndmask_b32_e32 v77, v82, v78, vcc_lo
; %bb.71:
	s_or_b32 exec_lo, exec_lo, s3
	v_and_b32_e32 v78, 0x7f800000, v69
	s_delay_alu instid0(VALU_DEP_1) | instskip(SKIP_1) | instid1(SALU_CYCLE_1)
	v_cmp_ne_u32_e32 vcc_lo, 0x7f800000, v78
                                        ; implicit-def: $vgpr78
	s_and_saveexec_b32 s3, vcc_lo
	s_xor_b32 s3, exec_lo, s3
; %bb.72:
	v_bfe_u32 v78, v69, 16, 1
	s_delay_alu instid0(VALU_DEP_1)
	v_add3_u32 v78, v69, v78, 0x7fff
                                        ; implicit-def: $vgpr69
; %bb.73:
	s_and_not1_saveexec_b32 s3, s3
; %bb.74:
	v_and_b32_e32 v78, 0xffff, v69
	v_or_b32_e32 v82, 0x10000, v69
	s_delay_alu instid0(VALU_DEP_2) | instskip(NEXT) | instid1(VALU_DEP_2)
	v_cmp_eq_u32_e32 vcc_lo, 0, v78
	v_cndmask_b32_e32 v78, v82, v69, vcc_lo
; %bb.75:
	s_or_b32 exec_lo, exec_lo, s3
	s_delay_alu instid0(VALU_DEP_1)
	v_perm_b32 v86, v78, v77, 0x7060302
	v_perm_b32 v85, v72, v81, 0x7060302
	;; [unrolled: 1-line block ×4, first 2 shown]
	v_lshl_or_b32 v82, v65, 11, v80
	ds_store_b128 v76, v[83:86] offset:1024
	s_waitcnt lgkmcnt(0)
	s_barrier
	buffer_gl0_inv
	ds_load_b128 v[68:71], v82
	ds_load_b128 v[83:86], v82 offset:16
	s_waitcnt lgkmcnt(1)
	v_lshrrev_b32_e32 v65, 16, v68
	v_lshlrev_b32_e32 v78, 2, v75
	s_waitcnt lgkmcnt(0)
	v_lshrrev_b32_e32 v91, 16, v83
	v_lshrrev_b32_e32 v72, 16, v69
	;; [unrolled: 1-line block ×4, first 2 shown]
	v_cmp_eq_u32_e32 vcc_lo, 1, v78
	v_lshrrev_b32_e32 v98, 16, v85
	v_lshrrev_b32_e32 v96, 16, v71
	;; [unrolled: 1-line block ×3, first 2 shown]
	v_cndmask_b32_e32 v81, v68, v65, vcc_lo
	v_or_b32_e32 v79, 1, v78
	v_cmp_eq_u32_e64 s4, 2, v78
	v_cndmask_b32_e32 v87, v83, v91, vcc_lo
	v_cmp_eq_u32_e64 s7, 3, v78
	v_cmp_eq_u32_e64 s9, 4, v78
	;; [unrolled: 1-line block ×3, first 2 shown]
	v_cndmask_b32_e64 v81, v81, v69, s4
	v_cmp_eq_u32_e64 s6, 2, v79
	v_cndmask_b32_e64 v87, v87, v84, s4
	v_cmp_eq_u32_e64 s8, 3, v79
	v_cndmask_b32_e64 v88, v68, v65, s3
	v_cndmask_b32_e64 v81, v81, v72, s7
	v_or_b32_e32 v77, 2, v78
	v_cndmask_b32_e64 v87, v87, v97, s7
	v_cndmask_b32_e64 v89, v83, v91, s3
	;; [unrolled: 1-line block ×4, first 2 shown]
	v_cmp_eq_u32_e64 s10, 5, v78
	v_cndmask_b32_e64 v87, v87, v85, s9
	v_cmp_eq_u32_e64 s11, 4, v79
	v_cndmask_b32_e64 v88, v88, v72, s8
	;; [unrolled: 2-line block ×3, first 2 shown]
	v_cndmask_b32_e64 v81, v81, v95, s10
	v_cmp_eq_u32_e64 s12, 6, v78
	v_cndmask_b32_e64 v88, v88, v70, s11
	v_cndmask_b32_e64 v87, v87, v98, s10
	v_cmp_eq_u32_e64 s13, 5, v79
	v_cndmask_b32_e64 v90, v68, v65, s5
	v_cndmask_b32_e64 v89, v89, v97, s8
	;; [unrolled: 1-line block ×3, first 2 shown]
	v_cmp_eq_u32_e64 s16, 7, v78
	v_cndmask_b32_e64 v88, v88, v95, s13
	v_cndmask_b32_e64 v87, v87, v86, s12
	v_cmp_eq_u32_e64 s17, 6, v79
	v_cmp_eq_u32_e64 s18, 2, v77
	v_cndmask_b32_e64 v89, v89, v85, s11
	v_cndmask_b32_e64 v100, v81, v96, s16
	;; [unrolled: 1-line block ×6, first 2 shown]
	v_cmp_eq_u32_e64 s19, 7, v79
	v_cmp_eq_u32_e64 s20, 3, v77
	;; [unrolled: 1-line block ×4, first 2 shown]
	v_cndmask_b32_e64 v87, v87, v84, s18
	v_cndmask_b32_e64 v102, v88, v96, s19
	;; [unrolled: 1-line block ×4, first 2 shown]
	v_or_b32_e32 v81, 3, v78
	v_cndmask_b32_e64 v93, v87, v97, s20
	v_cmp_eq_u32_e64 s25, 6, v77
	v_cndmask_b32_e64 v103, v88, v86, s17
	v_cndmask_b32_e64 v92, v89, v70, s21
	v_cmp_eq_u32_e64 s22, 1, v81
	ds_load_b128 v[87:90], v82 offset:1024
	v_cmp_eq_u32_e64 s24, 2, v81
	v_cmp_eq_u32_e64 s26, 3, v81
	v_cndmask_b32_e64 v104, v92, v95, s23
	v_cndmask_b32_e64 v65, v68, v65, s22
	;; [unrolled: 1-line block ×4, first 2 shown]
	ds_load_b128 v[91:94], v82 offset:1040
	v_cmp_eq_u32_e64 s27, 4, v81
	v_cndmask_b32_e64 v65, v65, v69, s24
	v_cmp_eq_u32_e64 s29, 5, v81
	v_cndmask_b32_e64 v69, v83, v84, s24
	v_cmp_eq_u32_e64 s28, 7, v77
	v_cmp_eq_u32_e64 s30, 6, v81
	v_cndmask_b32_e64 v65, v65, v72, s26
	v_cndmask_b32_e64 v72, v104, v71, s25
	;; [unrolled: 1-line block ×6, first 2 shown]
	s_waitcnt lgkmcnt(1)
	v_lshrrev_b32_e32 v84, 16, v87
	v_cndmask_b32_e64 v69, v69, v85, s27
	v_cndmask_b32_e64 v70, v72, v96, s28
	;; [unrolled: 1-line block ×4, first 2 shown]
	v_lshrrev_b32_e32 v95, 16, v88
	v_cndmask_b32_e64 v69, v69, v98, s29
	s_waitcnt lgkmcnt(0)
	v_lshrrev_b32_e32 v85, 16, v91
	v_cndmask_b32_e64 v97, v87, v84, s3
	v_cndmask_b32_e64 v65, v65, v71, s30
	;; [unrolled: 1-line block ×4, first 2 shown]
	v_cndmask_b32_e32 v72, v87, v84, vcc_lo
	v_cndmask_b32_e32 v98, v91, v85, vcc_lo
	v_cmp_eq_u32_e32 vcc_lo, 7, v81
	v_perm_b32 v70, v68, v70, 0x5040100
	v_cndmask_b32_e32 v65, v65, v96, vcc_lo
	v_cndmask_b32_e32 v69, v69, v99, vcc_lo
	v_cndmask_b32_e64 v72, v72, v88, s4
	v_cndmask_b32_e64 v86, v98, v92, s4
	v_lshrrev_b32_e32 v99, 16, v93
	v_lshrrev_b32_e32 v98, 16, v89
	s_delay_alu instid0(VALU_DEP_4) | instskip(SKIP_2) | instid1(VALU_DEP_3)
	v_cndmask_b32_e64 v71, v72, v95, s7
	v_cndmask_b32_e64 v72, v97, v88, s6
	v_lshrrev_b32_e32 v97, 16, v92
	v_cndmask_b32_e64 v71, v71, v89, s9
	s_delay_alu instid0(VALU_DEP_3) | instskip(NEXT) | instid1(VALU_DEP_3)
	v_cndmask_b32_e64 v72, v72, v95, s8
	v_cndmask_b32_e64 v86, v86, v97, s7
	s_delay_alu instid0(VALU_DEP_3) | instskip(SKIP_1) | instid1(VALU_DEP_3)
	v_cndmask_b32_e64 v96, v71, v98, s10
	v_perm_b32 v71, v69, v65, 0x5040100
	v_cndmask_b32_e64 v86, v86, v93, s9
	v_perm_b32 v69, v83, v102, 0x5040100
	v_cndmask_b32_e64 v102, v91, v85, s5
	v_cndmask_b32_e64 v72, v72, v89, s11
	v_lshrrev_b32_e32 v83, 16, v94
	v_cndmask_b32_e64 v86, v86, v99, s10
	s_delay_alu instid0(VALU_DEP_3) | instskip(SKIP_1) | instid1(VALU_DEP_3)
	v_cndmask_b32_e64 v65, v72, v98, s13
	v_cndmask_b32_e64 v72, v96, v90, s12
	;; [unrolled: 1-line block ×7, first 2 shown]
	v_lshrrev_b32_e32 v96, 16, v90
	v_cndmask_b32_e64 v86, v86, v88, s18
	v_cndmask_b32_e64 v84, v84, v88, s24
	;; [unrolled: 1-line block ×29, first 2 shown]
	v_cndmask_b32_e32 v84, v84, v96, vcc_lo
	v_cndmask_b32_e32 v86, v87, v83, vcc_lo
	v_cndmask_b32_e64 v87, v88, v83, s28
	v_cndmask_b32_e64 v88, v85, v83, s19
	;; [unrolled: 1-line block ×3, first 2 shown]
	v_perm_b32 v68, v101, v100, 0x5040100
	v_perm_b32 v86, v86, v84, 0x5040100
	;; [unrolled: 1-line block ×5, first 2 shown]
	s_mov_b32 s3, exec_lo
	ds_store_b128 v76, v[68:71]
	ds_store_b128 v76, v[83:86] offset:1024
	v_cmpx_eq_u32_e32 0, v0
	s_cbranch_execz .LBB1462_77
; %bb.76:
	s_load_b128 s[4:7], s[0:1], 0x58
	s_mul_i32 s8, s37, s34
	v_mov_b32_e32 v65, 0
	s_add_i32 s8, s8, s15
	s_delay_alu instid0(SALU_CYCLE_1) | instskip(NEXT) | instid1(SALU_CYCLE_1)
	s_mul_i32 s8, s8, s36
	s_add_i32 s8, s8, s14
	s_delay_alu instid0(SALU_CYCLE_1) | instskip(NEXT) | instid1(SALU_CYCLE_1)
	s_ashr_i32 s9, s8, 31
	s_lshl_b64 s[8:9], s[8:9], 2
	s_waitcnt lgkmcnt(0)
	s_add_u32 s6, s6, s8
	s_addc_u32 s7, s7, s9
	s_add_u32 s4, s4, s8
	s_addc_u32 s5, s5, s9
	s_clause 0x1
	global_store_b32 v65, v66, s[6:7]
	global_store_b32 v65, v67, s[4:5]
.LBB1462_77:
	s_or_b32 exec_lo, exec_lo, s3
	s_waitcnt lgkmcnt(0)
	s_waitcnt_vscnt null, 0x0
	s_barrier
	buffer_gl0_inv
	ds_load_b128 v[83:86], v80
	ds_load_b128 v[87:90], v80 offset:16
	ds_load_b128 v[95:98], v80 offset:2064
	;; [unrolled: 1-line block ×3, first 2 shown]
	v_mov_b32_e32 v65, 0
	ds_load_b128 v[103:106], v80 offset:4112
	ds_load_b128 v[99:102], v80 offset:4096
	;; [unrolled: 1-line block ×4, first 2 shown]
	v_mov_b32_e32 v66, v65
	v_mov_b32_e32 v67, v65
	v_mov_b32_e32 v68, v65
	v_mov_b32_e32 v69, v65
	v_mov_b32_e32 v70, v65
	v_mov_b32_e32 v71, v65
	v_mov_b32_e32 v72, v65
	s_waitcnt lgkmcnt(6)
	s_delay_alu instid0(VALU_DEP_1)
	v_wmma_f32_16x16x16_bf16 v[65:72], v[49:56], v[83:90], v[65:72]
	ds_load_b128 v[53:56], v80 offset:8208
	ds_load_b128 v[49:52], v80 offset:8192
	s_waitcnt lgkmcnt(6)
	v_wmma_f32_16x16x16_bf16 v[65:72], v[41:48], v[91:98], v[65:72]
	ds_load_b128 v[45:48], v80 offset:10256
	ds_load_b128 v[41:44], v80 offset:10240
	s_waitcnt lgkmcnt(6)
	;; [unrolled: 4-line block ×4, first 2 shown]
	v_wmma_f32_16x16x16_bf16 v[65:72], v[1:8], v[49:56], v[65:72]
	s_waitcnt lgkmcnt(4)
	s_delay_alu instid0(VALU_DEP_1) | instskip(SKIP_1) | instid1(VALU_DEP_1)
	v_wmma_f32_16x16x16_bf16 v[65:72], v[9:16], v[41:48], v[65:72]
	s_waitcnt lgkmcnt(2)
	v_wmma_f32_16x16x16_bf16 v[65:72], v[17:24], v[33:40], v[65:72]
	s_waitcnt lgkmcnt(0)
	s_delay_alu instid0(VALU_DEP_1) | instskip(NEXT) | instid1(VALU_DEP_1)
	v_wmma_f32_16x16x16_bf16 v[65:72], v[57:64], v[25:32], v[65:72]
	v_and_b32_e32 v1, 0x7f800000, v65
	s_delay_alu instid0(VALU_DEP_1) | instskip(SKIP_1) | instid1(SALU_CYCLE_1)
	v_cmp_ne_u32_e32 vcc_lo, 0x7f800000, v1
                                        ; implicit-def: $vgpr1
	s_and_saveexec_b32 s3, vcc_lo
	s_xor_b32 s3, exec_lo, s3
; %bb.78:
	v_bfe_u32 v1, v65, 16, 1
	s_delay_alu instid0(VALU_DEP_1)
	v_add3_u32 v1, v65, v1, 0x7fff
; %bb.79:
	s_and_not1_saveexec_b32 s3, s3
; %bb.80:
	v_and_b32_e32 v1, 0xffff, v65
	v_or_b32_e32 v2, 0x10000, v65
	s_delay_alu instid0(VALU_DEP_2) | instskip(NEXT) | instid1(VALU_DEP_2)
	v_cmp_eq_u32_e32 vcc_lo, 0, v1
	v_cndmask_b32_e32 v1, v2, v65, vcc_lo
; %bb.81:
	s_or_b32 exec_lo, exec_lo, s3
	v_and_b32_e32 v2, 0x7f800000, v66
	s_delay_alu instid0(VALU_DEP_1) | instskip(SKIP_1) | instid1(SALU_CYCLE_1)
	v_cmp_ne_u32_e32 vcc_lo, 0x7f800000, v2
                                        ; implicit-def: $vgpr2
	s_and_saveexec_b32 s3, vcc_lo
	s_xor_b32 s3, exec_lo, s3
; %bb.82:
	v_bfe_u32 v2, v66, 16, 1
	s_delay_alu instid0(VALU_DEP_1)
	v_add3_u32 v2, v66, v2, 0x7fff
; %bb.83:
	s_and_not1_saveexec_b32 s3, s3
; %bb.84:
	v_and_b32_e32 v2, 0xffff, v66
	v_or_b32_e32 v3, 0x10000, v66
	s_delay_alu instid0(VALU_DEP_2) | instskip(NEXT) | instid1(VALU_DEP_2)
	v_cmp_eq_u32_e32 vcc_lo, 0, v2
	v_cndmask_b32_e32 v2, v3, v66, vcc_lo
; %bb.85:
	s_or_b32 exec_lo, exec_lo, s3
	v_and_b32_e32 v3, 0x7f800000, v67
	s_delay_alu instid0(VALU_DEP_1) | instskip(SKIP_1) | instid1(SALU_CYCLE_1)
	v_cmp_ne_u32_e32 vcc_lo, 0x7f800000, v3
                                        ; implicit-def: $vgpr3
	s_and_saveexec_b32 s3, vcc_lo
	s_xor_b32 s3, exec_lo, s3
; %bb.86:
	v_bfe_u32 v3, v67, 16, 1
	s_delay_alu instid0(VALU_DEP_1)
	v_add3_u32 v3, v67, v3, 0x7fff
; %bb.87:
	s_and_not1_saveexec_b32 s3, s3
; %bb.88:
	v_and_b32_e32 v3, 0xffff, v67
	v_or_b32_e32 v4, 0x10000, v67
	s_delay_alu instid0(VALU_DEP_2) | instskip(NEXT) | instid1(VALU_DEP_2)
	v_cmp_eq_u32_e32 vcc_lo, 0, v3
	v_cndmask_b32_e32 v3, v4, v67, vcc_lo
; %bb.89:
	s_or_b32 exec_lo, exec_lo, s3
	v_and_b32_e32 v4, 0x7f800000, v68
	s_delay_alu instid0(VALU_DEP_1) | instskip(SKIP_1) | instid1(SALU_CYCLE_1)
	v_cmp_ne_u32_e32 vcc_lo, 0x7f800000, v4
                                        ; implicit-def: $vgpr4
	s_and_saveexec_b32 s3, vcc_lo
	s_xor_b32 s3, exec_lo, s3
; %bb.90:
	v_bfe_u32 v4, v68, 16, 1
	s_delay_alu instid0(VALU_DEP_1)
	v_add3_u32 v4, v68, v4, 0x7fff
; %bb.91:
	s_and_not1_saveexec_b32 s3, s3
; %bb.92:
	v_and_b32_e32 v4, 0xffff, v68
	v_or_b32_e32 v5, 0x10000, v68
	s_delay_alu instid0(VALU_DEP_2) | instskip(NEXT) | instid1(VALU_DEP_2)
	v_cmp_eq_u32_e32 vcc_lo, 0, v4
	v_cndmask_b32_e32 v4, v5, v68, vcc_lo
; %bb.93:
	s_or_b32 exec_lo, exec_lo, s3
	v_and_b32_e32 v5, 0x7f800000, v69
	s_delay_alu instid0(VALU_DEP_1) | instskip(SKIP_1) | instid1(SALU_CYCLE_1)
	v_cmp_ne_u32_e32 vcc_lo, 0x7f800000, v5
                                        ; implicit-def: $vgpr5
	s_and_saveexec_b32 s3, vcc_lo
	s_xor_b32 s3, exec_lo, s3
; %bb.94:
	v_bfe_u32 v5, v69, 16, 1
	s_delay_alu instid0(VALU_DEP_1)
	v_add3_u32 v5, v69, v5, 0x7fff
; %bb.95:
	s_and_not1_saveexec_b32 s3, s3
; %bb.96:
	v_and_b32_e32 v5, 0xffff, v69
	v_or_b32_e32 v6, 0x10000, v69
	s_delay_alu instid0(VALU_DEP_2) | instskip(NEXT) | instid1(VALU_DEP_2)
	v_cmp_eq_u32_e32 vcc_lo, 0, v5
	v_cndmask_b32_e32 v5, v6, v69, vcc_lo
; %bb.97:
	s_or_b32 exec_lo, exec_lo, s3
	v_and_b32_e32 v6, 0x7f800000, v70
	s_delay_alu instid0(VALU_DEP_1) | instskip(SKIP_1) | instid1(SALU_CYCLE_1)
	v_cmp_ne_u32_e32 vcc_lo, 0x7f800000, v6
                                        ; implicit-def: $vgpr6
	s_and_saveexec_b32 s3, vcc_lo
	s_xor_b32 s3, exec_lo, s3
; %bb.98:
	v_bfe_u32 v6, v70, 16, 1
	s_delay_alu instid0(VALU_DEP_1)
	v_add3_u32 v6, v70, v6, 0x7fff
; %bb.99:
	s_and_not1_saveexec_b32 s3, s3
; %bb.100:
	v_and_b32_e32 v6, 0xffff, v70
	v_or_b32_e32 v7, 0x10000, v70
	s_delay_alu instid0(VALU_DEP_2) | instskip(NEXT) | instid1(VALU_DEP_2)
	v_cmp_eq_u32_e32 vcc_lo, 0, v6
	v_cndmask_b32_e32 v6, v7, v70, vcc_lo
; %bb.101:
	s_or_b32 exec_lo, exec_lo, s3
	v_and_b32_e32 v7, 0x7f800000, v71
	s_delay_alu instid0(VALU_DEP_1) | instskip(SKIP_1) | instid1(SALU_CYCLE_1)
	v_cmp_ne_u32_e32 vcc_lo, 0x7f800000, v7
                                        ; implicit-def: $vgpr7
	s_and_saveexec_b32 s3, vcc_lo
	s_xor_b32 s3, exec_lo, s3
; %bb.102:
	v_bfe_u32 v7, v71, 16, 1
	s_delay_alu instid0(VALU_DEP_1)
	v_add3_u32 v7, v71, v7, 0x7fff
; %bb.103:
	s_and_not1_saveexec_b32 s3, s3
; %bb.104:
	v_and_b32_e32 v7, 0xffff, v71
	v_or_b32_e32 v8, 0x10000, v71
	s_delay_alu instid0(VALU_DEP_2) | instskip(NEXT) | instid1(VALU_DEP_2)
	v_cmp_eq_u32_e32 vcc_lo, 0, v7
	v_cndmask_b32_e32 v7, v8, v71, vcc_lo
; %bb.105:
	s_or_b32 exec_lo, exec_lo, s3
	v_and_b32_e32 v8, 0x7f800000, v72
	s_delay_alu instid0(VALU_DEP_1) | instskip(SKIP_1) | instid1(SALU_CYCLE_1)
	v_cmp_ne_u32_e32 vcc_lo, 0x7f800000, v8
                                        ; implicit-def: $vgpr8
	s_and_saveexec_b32 s3, vcc_lo
	s_xor_b32 s3, exec_lo, s3
; %bb.106:
	v_bfe_u32 v8, v72, 16, 1
	s_delay_alu instid0(VALU_DEP_1)
	v_add3_u32 v8, v72, v8, 0x7fff
                                        ; implicit-def: $vgpr65_vgpr66_vgpr67_vgpr68_vgpr69_vgpr70_vgpr71_vgpr72
; %bb.107:
	s_and_not1_saveexec_b32 s3, s3
; %bb.108:
	v_and_b32_e32 v8, 0xffff, v72
	v_or_b32_e32 v9, 0x10000, v72
	s_delay_alu instid0(VALU_DEP_2) | instskip(NEXT) | instid1(VALU_DEP_2)
	v_cmp_eq_u32_e32 vcc_lo, 0, v8
	v_cndmask_b32_e32 v8, v9, v72, vcc_lo
; %bb.109:
	s_or_b32 exec_lo, exec_lo, s3
	s_delay_alu instid0(VALU_DEP_1)
	v_perm_b32 v7, v8, v7, 0x7060302
	v_perm_b32 v6, v6, v5, 0x7060302
	;; [unrolled: 1-line block ×4, first 2 shown]
	s_barrier
	buffer_gl0_inv
	v_cmp_eq_u32_e32 vcc_lo, 1, v78
	ds_store_b128 v76, v[4:7]
	s_waitcnt lgkmcnt(0)
	s_barrier
	buffer_gl0_inv
	ds_load_b128 v[1:4], v82
	ds_load_b128 v[5:8], v82 offset:16
	v_cmp_eq_u32_e64 s3, 1, v79
	v_cmp_eq_u32_e64 s4, 2, v78
	;; [unrolled: 1-line block ×5, first 2 shown]
	s_waitcnt lgkmcnt(1)
	v_lshrrev_b32_e32 v9, 16, v1
	s_waitcnt lgkmcnt(0)
	v_lshrrev_b32_e32 v13, 16, v5
	v_lshrrev_b32_e32 v10, 16, v2
	;; [unrolled: 1-line block ×4, first 2 shown]
	v_cndmask_b32_e64 v19, v1, v9, s3
	v_cndmask_b32_e32 v18, v5, v13, vcc_lo
	v_cndmask_b32_e64 v20, v5, v13, s3
	v_cndmask_b32_e32 v17, v1, v9, vcc_lo
	v_cmp_eq_u32_e32 vcc_lo, 2, v79
	v_lshrrev_b32_e32 v15, 16, v7
	v_cmp_eq_u32_e64 s3, 1, v77
	v_lshrrev_b32_e32 v12, 16, v4
	v_lshrrev_b32_e32 v16, 16, v8
	v_cndmask_b32_e32 v20, v20, v6, vcc_lo
	v_cndmask_b32_e64 v17, v17, v2, s4
	v_cndmask_b32_e32 v19, v19, v2, vcc_lo
	v_cndmask_b32_e64 v18, v18, v6, s4
	v_cmp_eq_u32_e32 vcc_lo, 4, v78
	v_cmp_eq_u32_e64 s4, 3, v79
	v_cndmask_b32_e64 v17, v17, v10, s5
	v_cndmask_b32_e64 v21, v1, v9, s3
	;; [unrolled: 1-line block ×5, first 2 shown]
	v_cndmask_b32_e32 v17, v17, v3, vcc_lo
	v_cndmask_b32_e64 v20, v20, v14, s4
	v_cndmask_b32_e32 v18, v18, v7, vcc_lo
	v_cmp_eq_u32_e32 vcc_lo, 4, v79
	v_cmp_eq_u32_e64 s4, 5, v79
	v_cmp_eq_u32_e64 s3, 2, v81
	v_cndmask_b32_e64 v21, v21, v2, s7
	v_cmp_eq_u32_e64 s5, 5, v78
	v_cndmask_b32_e32 v19, v19, v3, vcc_lo
	v_cndmask_b32_e32 v20, v20, v7, vcc_lo
	v_cmp_eq_u32_e32 vcc_lo, 6, v79
	s_delay_alu instid0(VALU_DEP_4) | instskip(NEXT) | instid1(VALU_DEP_4)
	v_cndmask_b32_e64 v17, v17, v11, s5
	v_cndmask_b32_e64 v19, v19, v11, s4
	s_delay_alu instid0(VALU_DEP_4) | instskip(SKIP_1) | instid1(VALU_DEP_3)
	v_cndmask_b32_e64 v20, v20, v15, s4
	v_cmp_eq_u32_e64 s4, 1, v81
	v_cndmask_b32_e32 v19, v19, v4, vcc_lo
	v_cndmask_b32_e64 v18, v18, v15, s5
	s_delay_alu instid0(VALU_DEP_3)
	v_cndmask_b32_e64 v1, v1, v9, s4
	v_cndmask_b32_e64 v5, v5, v13, s4
	v_cmp_eq_u32_e64 s4, 3, v77
	v_cndmask_b32_e64 v13, v22, v6, s7
	v_cmp_eq_u32_e64 s7, 3, v81
	v_cndmask_b32_e64 v1, v1, v2, s3
	v_cndmask_b32_e64 v2, v5, v6, s3
	;; [unrolled: 1-line block ×3, first 2 shown]
	v_cmp_eq_u32_e64 s3, 4, v77
	v_cndmask_b32_e64 v6, v13, v14, s4
	v_cndmask_b32_e64 v1, v1, v10, s7
	v_cmp_eq_u32_e64 s4, 4, v81
	v_cndmask_b32_e64 v2, v2, v14, s7
	v_cndmask_b32_e64 v5, v9, v3, s3
	;; [unrolled: 3-line block ×3, first 2 shown]
	v_cndmask_b32_e64 v2, v2, v7, s4
	v_cmp_eq_u32_e64 s3, 5, v81
	v_cndmask_b32_e64 v5, v5, v11, s7
	v_cndmask_b32_e64 v3, v6, v15, s7
	v_cmp_eq_u32_e64 s7, 6, v81
	v_cmp_eq_u32_e64 s5, 6, v78
	v_cndmask_b32_e64 v1, v1, v11, s3
	v_cndmask_b32_e64 v2, v2, v15, s3
	v_cmp_eq_u32_e64 s4, 6, v77
	v_cmp_eq_u32_e64 s3, 7, v81
	v_cndmask_b32_e64 v17, v17, v4, s5
	v_cndmask_b32_e64 v1, v1, v4, s7
	;; [unrolled: 1-line block ×4, first 2 shown]
	v_cmp_eq_u32_e64 s5, 7, v78
	v_cndmask_b32_e64 v5, v5, v4, s4
	v_cndmask_b32_e64 v3, v3, v8, s4
	v_cmp_eq_u32_e64 s4, 7, v77
	v_cndmask_b32_e32 v4, v20, v8, vcc_lo
	v_cndmask_b32_e64 v1, v1, v12, s3
	v_cndmask_b32_e64 v2, v2, v16, s3
	v_cmp_lt_u32_e32 vcc_lo, 31, v0
	v_cmp_lt_u32_e64 s3, 7, v73
	v_cndmask_b32_e64 v17, v17, v12, s5
	v_cndmask_b32_e64 v19, v19, v12, s6
	;; [unrolled: 1-line block ×6, first 2 shown]
	s_or_b32 s3, vcc_lo, s3
	v_perm_b32 v4, v2, v1, 0x5040100
	v_perm_b32 v3, v3, v5, 0x5040100
	;; [unrolled: 1-line block ×4, first 2 shown]
	s_or_b32 s2, s2, s3
	s_delay_alu instid0(SALU_CYCLE_1)
	s_xor_b32 s2, s2, -1
	ds_store_b128 v76, v[1:4]
	s_waitcnt lgkmcnt(0)
	s_barrier
	buffer_gl0_inv
	s_and_saveexec_b32 s3, s2
	s_cbranch_execz .LBB1462_2
; %bb.110:
	s_load_b64 s[0:1], s[0:1], 0x68
	v_lshlrev_b32_e32 v1, 10, v0
	v_and_b32_e32 v0, 1, v0
	v_lshlrev_b32_e32 v2, 6, v75
	s_lshl_b32 s4, s36, 6
	s_delay_alu instid0(VALU_DEP_3) | instskip(NEXT) | instid1(VALU_DEP_3)
	v_and_b32_e32 v1, 0x3800, v1
	v_lshlrev_b32_e32 v0, 4, v0
	s_mul_i32 s2, s4, s34
	s_delay_alu instid0(SALU_CYCLE_1) | instskip(NEXT) | instid1(VALU_DEP_1)
	s_mul_i32 s2, s2, s37
	v_or3_b32 v0, v1, v2, v0
	s_ashr_i32 s3, s2, 31
	s_delay_alu instid0(SALU_CYCLE_1)
	s_lshl_b64 s[2:3], s[2:3], 1
	ds_load_b128 v[0:3], v0
	s_waitcnt lgkmcnt(0)
	s_add_u32 s5, s0, s2
	s_addc_u32 s3, s1, s3
	s_lshl_b32 s0, s14, 6
	s_mul_i32 s2, s4, s15
	s_ashr_i32 s1, s0, 31
	s_delay_alu instid0(SALU_CYCLE_1) | instskip(NEXT) | instid1(SALU_CYCLE_1)
	s_lshl_b64 s[0:1], s[0:1], 1
	s_add_u32 s4, s5, s0
	s_addc_u32 s5, s3, s1
	s_ashr_i32 s3, s2, 31
	s_delay_alu instid0(SALU_CYCLE_1) | instskip(NEXT) | instid1(SALU_CYCLE_1)
	s_lshl_b64 s[0:1], s[2:3], 1
	s_add_u32 s0, s4, s0
	s_addc_u32 s1, s5, s1
	global_store_b128 v74, v[0:3], s[0:1]
	s_nop 0
	s_sendmsg sendmsg(MSG_DEALLOC_VGPRS)
	s_endpgm
	.section	.rodata,"a",@progbits
	.p2align	6, 0x0
	.amdhsa_kernel _Z39paged_attention_ll4mi_QKV_mfma16_kernelI14__hip_bfloat16hLN4vllm18Fp8KVCacheDataTypeE1EhLi32ELi64ELi256ELb0ELi1EL8MFMAType1EEvPKT_PKT0_S9_ifPKiSB_SB_iPKfiiiPfSE_PS4_PT2_iSD_SD_
		.amdhsa_group_segment_fixed_size 17472
		.amdhsa_private_segment_fixed_size 0
		.amdhsa_kernarg_size 400
		.amdhsa_user_sgpr_count 13
		.amdhsa_user_sgpr_dispatch_ptr 0
		.amdhsa_user_sgpr_queue_ptr 0
		.amdhsa_user_sgpr_kernarg_segment_ptr 1
		.amdhsa_user_sgpr_dispatch_id 0
		.amdhsa_user_sgpr_private_segment_size 0
		.amdhsa_wavefront_size32 1
		.amdhsa_uses_dynamic_stack 0
		.amdhsa_enable_private_segment 0
		.amdhsa_system_sgpr_workgroup_id_x 1
		.amdhsa_system_sgpr_workgroup_id_y 1
		.amdhsa_system_sgpr_workgroup_id_z 1
		.amdhsa_system_sgpr_workgroup_info 0
		.amdhsa_system_vgpr_workitem_id 0
		.amdhsa_next_free_vgpr 131
		.amdhsa_next_free_sgpr 50
		.amdhsa_reserve_vcc 1
		.amdhsa_float_round_mode_32 0
		.amdhsa_float_round_mode_16_64 0
		.amdhsa_float_denorm_mode_32 3
		.amdhsa_float_denorm_mode_16_64 3
		.amdhsa_dx10_clamp 1
		.amdhsa_ieee_mode 1
		.amdhsa_fp16_overflow 0
		.amdhsa_workgroup_processor_mode 1
		.amdhsa_memory_ordered 1
		.amdhsa_forward_progress 0
		.amdhsa_shared_vgpr_count 0
		.amdhsa_exception_fp_ieee_invalid_op 0
		.amdhsa_exception_fp_denorm_src 0
		.amdhsa_exception_fp_ieee_div_zero 0
		.amdhsa_exception_fp_ieee_overflow 0
		.amdhsa_exception_fp_ieee_underflow 0
		.amdhsa_exception_fp_ieee_inexact 0
		.amdhsa_exception_int_div_zero 0
	.end_amdhsa_kernel
	.section	.text._Z39paged_attention_ll4mi_QKV_mfma16_kernelI14__hip_bfloat16hLN4vllm18Fp8KVCacheDataTypeE1EhLi32ELi64ELi256ELb0ELi1EL8MFMAType1EEvPKT_PKT0_S9_ifPKiSB_SB_iPKfiiiPfSE_PS4_PT2_iSD_SD_,"axG",@progbits,_Z39paged_attention_ll4mi_QKV_mfma16_kernelI14__hip_bfloat16hLN4vllm18Fp8KVCacheDataTypeE1EhLi32ELi64ELi256ELb0ELi1EL8MFMAType1EEvPKT_PKT0_S9_ifPKiSB_SB_iPKfiiiPfSE_PS4_PT2_iSD_SD_,comdat
.Lfunc_end1462:
	.size	_Z39paged_attention_ll4mi_QKV_mfma16_kernelI14__hip_bfloat16hLN4vllm18Fp8KVCacheDataTypeE1EhLi32ELi64ELi256ELb0ELi1EL8MFMAType1EEvPKT_PKT0_S9_ifPKiSB_SB_iPKfiiiPfSE_PS4_PT2_iSD_SD_, .Lfunc_end1462-_Z39paged_attention_ll4mi_QKV_mfma16_kernelI14__hip_bfloat16hLN4vllm18Fp8KVCacheDataTypeE1EhLi32ELi64ELi256ELb0ELi1EL8MFMAType1EEvPKT_PKT0_S9_ifPKiSB_SB_iPKfiiiPfSE_PS4_PT2_iSD_SD_
                                        ; -- End function
	.section	.AMDGPU.csdata,"",@progbits
; Kernel info:
; codeLenInByte = 8428
; NumSgprs: 52
; NumVgprs: 131
; ScratchSize: 0
; MemoryBound: 1
; FloatMode: 240
; IeeeMode: 1
; LDSByteSize: 17472 bytes/workgroup (compile time only)
; SGPRBlocks: 6
; VGPRBlocks: 16
; NumSGPRsForWavesPerEU: 52
; NumVGPRsForWavesPerEU: 131
; Occupancy: 10
; WaveLimiterHint : 1
; COMPUTE_PGM_RSRC2:SCRATCH_EN: 0
; COMPUTE_PGM_RSRC2:USER_SGPR: 13
; COMPUTE_PGM_RSRC2:TRAP_HANDLER: 0
; COMPUTE_PGM_RSRC2:TGID_X_EN: 1
; COMPUTE_PGM_RSRC2:TGID_Y_EN: 1
; COMPUTE_PGM_RSRC2:TGID_Z_EN: 1
; COMPUTE_PGM_RSRC2:TIDIG_COMP_CNT: 0
	.section	.text._Z39paged_attention_ll4mi_QKV_mfma16_kernelI14__hip_bfloat16hLN4vllm18Fp8KVCacheDataTypeE1EhLi32ELi64ELi256ELb0ELi2EL8MFMAType1EEvPKT_PKT0_S9_ifPKiSB_SB_iPKfiiiPfSE_PS4_PT2_iSD_SD_,"axG",@progbits,_Z39paged_attention_ll4mi_QKV_mfma16_kernelI14__hip_bfloat16hLN4vllm18Fp8KVCacheDataTypeE1EhLi32ELi64ELi256ELb0ELi2EL8MFMAType1EEvPKT_PKT0_S9_ifPKiSB_SB_iPKfiiiPfSE_PS4_PT2_iSD_SD_,comdat
	.protected	_Z39paged_attention_ll4mi_QKV_mfma16_kernelI14__hip_bfloat16hLN4vllm18Fp8KVCacheDataTypeE1EhLi32ELi64ELi256ELb0ELi2EL8MFMAType1EEvPKT_PKT0_S9_ifPKiSB_SB_iPKfiiiPfSE_PS4_PT2_iSD_SD_ ; -- Begin function _Z39paged_attention_ll4mi_QKV_mfma16_kernelI14__hip_bfloat16hLN4vllm18Fp8KVCacheDataTypeE1EhLi32ELi64ELi256ELb0ELi2EL8MFMAType1EEvPKT_PKT0_S9_ifPKiSB_SB_iPKfiiiPfSE_PS4_PT2_iSD_SD_
	.globl	_Z39paged_attention_ll4mi_QKV_mfma16_kernelI14__hip_bfloat16hLN4vllm18Fp8KVCacheDataTypeE1EhLi32ELi64ELi256ELb0ELi2EL8MFMAType1EEvPKT_PKT0_S9_ifPKiSB_SB_iPKfiiiPfSE_PS4_PT2_iSD_SD_
	.p2align	8
	.type	_Z39paged_attention_ll4mi_QKV_mfma16_kernelI14__hip_bfloat16hLN4vllm18Fp8KVCacheDataTypeE1EhLi32ELi64ELi256ELb0ELi2EL8MFMAType1EEvPKT_PKT0_S9_ifPKiSB_SB_iPKfiiiPfSE_PS4_PT2_iSD_SD_,@function
_Z39paged_attention_ll4mi_QKV_mfma16_kernelI14__hip_bfloat16hLN4vllm18Fp8KVCacheDataTypeE1EhLi32ELi64ELi256ELb0ELi2EL8MFMAType1EEvPKT_PKT0_S9_ifPKiSB_SB_iPKfiiiPfSE_PS4_PT2_iSD_SD_: ; @_Z39paged_attention_ll4mi_QKV_mfma16_kernelI14__hip_bfloat16hLN4vllm18Fp8KVCacheDataTypeE1EhLi32ELi64ELi256ELb0ELi2EL8MFMAType1EEvPKT_PKT0_S9_ifPKiSB_SB_iPKfiiiPfSE_PS4_PT2_iSD_SD_
; %bb.0:
	s_load_b64 s[2:3], s[0:1], 0x30
	s_mov_b32 s30, s13
	s_waitcnt lgkmcnt(0)
	s_cmp_lg_u64 s[2:3], 0
	s_cselect_b32 s8, -1, 0
	s_ashr_i32 s31, s13, 31
	s_cmp_eq_u64 s[2:3], 0
	s_cbranch_scc1 .LBB1463_3
; %bb.1:
	s_lshl_b64 s[4:5], s[30:31], 2
	s_delay_alu instid0(SALU_CYCLE_1) | instskip(SKIP_4) | instid1(SALU_CYCLE_1)
	s_add_u32 s4, s2, s4
	s_addc_u32 s5, s3, s5
	s_load_b64 s[4:5], s[4:5], 0x0
	s_waitcnt lgkmcnt(0)
	s_sub_i32 s4, s5, s4
	s_cmp_eq_u32 s4, 1
	s_cselect_b32 s4, -1, 0
	s_delay_alu instid0(SALU_CYCLE_1)
	s_and_not1_b32 vcc_lo, exec_lo, s4
	s_cbranch_vccz .LBB1463_4
.LBB1463_2:
	s_endpgm
.LBB1463_3:
.LBB1463_4:
	s_load_b64 s[4:5], s[0:1], 0x28
	s_lshl_b64 s[6:7], s[30:31], 2
	s_waitcnt lgkmcnt(0)
	s_add_u32 s4, s4, s6
	s_addc_u32 s5, s5, s7
	s_lshl_b32 s12, s14, 8
	s_load_b32 s24, s[4:5], 0x0
	s_waitcnt lgkmcnt(0)
	s_cmp_ge_i32 s12, s24
	s_cbranch_scc1 .LBB1463_2
; %bb.5:
	s_clause 0x1
	s_load_b128 s[20:23], s[0:1], 0x8
	s_load_b64 s[4:5], s[0:1], 0x20
	s_and_not1_b32 vcc_lo, exec_lo, s8
	s_cbranch_vccnz .LBB1463_7
; %bb.6:
	s_add_u32 s2, s2, s6
	s_addc_u32 s3, s3, s7
	s_load_b32 s3, s[2:3], 0x0
	s_branch .LBB1463_8
.LBB1463_7:
	s_mov_b32 s3, s30
.LBB1463_8:
	s_load_b128 s[16:19], s[0:1], 0x48
	v_and_b32_e32 v66, 15, v0
	v_bfe_u32 v65, v0, 4, 1
	s_lshl_b32 s31, s15, 1
	v_cmp_gt_u32_e32 vcc_lo, 32, v0
	v_and_b32_e32 v68, 31, v0
	v_lshlrev_b32_e32 v1, 3, v66
	v_cmp_gt_u32_e64 s2, 8, v66
	v_and_b32_e32 v76, 1, v0
	v_or_b32_e32 v75, s31, v65
	v_lshlrev_b32_e32 v74, 6, v65
	v_lshlrev_b32_e32 v73, 1, v1
	s_and_b32 s29, vcc_lo, s2
	s_delay_alu instid0(SALU_CYCLE_1)
	s_and_saveexec_b32 s2, s29
	s_cbranch_execz .LBB1463_10
; %bb.9:
	s_load_b64 s[6:7], s[0:1], 0x0
	v_lshlrev_b32_e32 v1, 6, v75
	s_waitcnt lgkmcnt(0)
	s_mul_hi_i32 s9, s3, s16
	s_mul_i32 s8, s3, s16
	v_lshlrev_b32_e32 v5, 10, v66
	s_lshl_b64 s[8:9], s[8:9], 1
	v_ashrrev_i32_e32 v2, 31, v1
	v_lshlrev_b32_e32 v6, 10, v76
	s_delay_alu instid0(VALU_DEP_3) | instskip(NEXT) | instid1(VALU_DEP_3)
	v_and_b32_e32 v5, 0x3800, v5
	v_lshlrev_b64 v[1:2], 1, v[1:2]
	s_delay_alu instid0(VALU_DEP_2) | instskip(SKIP_2) | instid1(VALU_DEP_2)
	v_or3_b32 v5, v5, v6, v74
	s_add_u32 s3, s6, s8
	s_addc_u32 s6, s7, s9
	v_add_co_u32 v1, vcc_lo, s3, v1
	s_delay_alu instid0(VALU_DEP_3) | instskip(NEXT) | instid1(VALU_DEP_2)
	v_add_co_ci_u32_e32 v2, vcc_lo, s6, v2, vcc_lo
	v_add_co_u32 v1, vcc_lo, v1, v73
	s_delay_alu instid0(VALU_DEP_2)
	v_add_co_ci_u32_e32 v2, vcc_lo, 0, v2, vcc_lo
	global_load_b128 v[1:4], v[1:2], off
	s_waitcnt vmcnt(0)
	ds_store_b128 v5, v[1:4]
.LBB1463_10:
	s_or_b32 exec_lo, exec_lo, s2
	v_and_b32_e32 v1, 0xef, v0
	s_add_i32 s2, s24, 31
	s_waitcnt lgkmcnt(0)
	s_clause 0x1
	s_load_b32 s3, s[0:1], 0x38
	s_load_b32 s19, s[0:1], 0x1c
	s_ashr_i32 s6, s2, 31
	v_add_nc_u32_e32 v1, s12, v1
	s_lshr_b32 s6, s6, 27
	s_waitcnt lgkmcnt(0)
	s_add_i32 s2, s2, s6
	s_barrier
	v_ashrrev_i32_e32 v2, 31, v1
	v_or_b32_e32 v3, 16, v1
	s_ashr_i32 s2, s2, 5
	v_cmp_gt_i32_e32 vcc_lo, s24, v1
	s_add_i32 s2, s2, -1
	v_lshrrev_b32_e32 v2, 27, v2
	buffer_gl0_inv
	s_mul_i32 s27, s15, s18
	v_lshrrev_b32_e32 v67, 5, v0
	v_add_nc_u32_e32 v4, v1, v2
	s_mul_i32 s6, s30, s3
	s_delay_alu instid0(SALU_CYCLE_1) | instskip(NEXT) | instid1(VALU_DEP_1)
	s_ashr_i32 s7, s6, 31
	v_ashrrev_i32_e32 v4, 5, v4
	v_add_nc_u32_e32 v2, v3, v2
	s_lshl_b64 s[6:7], s[6:7], 2
	s_delay_alu instid0(SALU_CYCLE_1) | instskip(NEXT) | instid1(VALU_DEP_2)
	s_add_u32 s26, s4, s6
	v_cndmask_b32_e32 v1, s2, v4, vcc_lo
	s_delay_alu instid0(VALU_DEP_2)
	v_ashrrev_i32_e32 v2, 5, v2
	v_cmp_gt_i32_e32 vcc_lo, s24, v3
	s_addc_u32 s25, s5, s7
	s_ashr_i32 s28, s27, 31
	s_add_u32 s4, s20, s27
	s_addc_u32 s5, s21, s28
	v_cndmask_b32_e32 v3, s2, v2, vcc_lo
	v_ashrrev_i32_e32 v2, 31, v1
	s_lshl_b32 s6, s14, 3
	s_delay_alu instid0(SALU_CYCLE_1) | instskip(NEXT) | instid1(VALU_DEP_2)
	s_ashr_i32 s7, s6, 31
	v_ashrrev_i32_e32 v4, 31, v3
	s_delay_alu instid0(VALU_DEP_2) | instskip(SKIP_1) | instid1(SALU_CYCLE_1)
	v_lshlrev_b64 v[1:2], 2, v[1:2]
	s_lshl_b64 s[6:7], s[6:7], 2
	s_add_u32 s6, s26, s6
	s_delay_alu instid0(VALU_DEP_2) | instskip(SKIP_1) | instid1(VALU_DEP_2)
	v_lshlrev_b64 v[3:4], 2, v[3:4]
	s_addc_u32 s7, s25, s7
	v_add_co_u32 v1, vcc_lo, s26, v1
	v_add_co_ci_u32_e32 v2, vcc_lo, s25, v2, vcc_lo
	s_delay_alu instid0(VALU_DEP_3) | instskip(NEXT) | instid1(VALU_DEP_4)
	v_add_co_u32 v3, vcc_lo, s26, v3
	v_add_co_ci_u32_e32 v4, vcc_lo, s25, v4, vcc_lo
	s_clause 0x1
	global_load_b32 v5, v[1:2], off
	global_load_b32 v6, v[3:4], off
	s_or_b32 s3, s12, 32
	s_delay_alu instid0(SALU_CYCLE_1) | instskip(SKIP_2) | instid1(SALU_CYCLE_1)
	s_ashr_i32 s8, s3, 5
	s_cmp_lt_i32 s3, s24
	s_cselect_b32 s8, s8, s2
	s_ashr_i32 s9, s8, 31
	s_delay_alu instid0(SALU_CYCLE_1) | instskip(NEXT) | instid1(SALU_CYCLE_1)
	s_lshl_b64 s[8:9], s[8:9], 2
	s_add_u32 s8, s26, s8
	s_addc_u32 s9, s25, s9
	s_or_b32 s3, s12, 64
	s_delay_alu instid0(SALU_CYCLE_1) | instskip(SKIP_2) | instid1(SALU_CYCLE_1)
	s_ashr_i32 s10, s3, 5
	s_cmp_lt_i32 s3, s24
	s_cselect_b32 s10, s10, s2
	s_ashr_i32 s11, s10, 31
	s_delay_alu instid0(SALU_CYCLE_1) | instskip(NEXT) | instid1(SALU_CYCLE_1)
	s_lshl_b64 s[10:11], s[10:11], 2
	s_add_u32 s10, s26, s10
	s_addc_u32 s11, s25, s11
	;; [unrolled: 10-line block ×5, first 2 shown]
	s_clause 0x5
	s_load_b32 s20, s[6:7], 0x0
	s_load_b32 s3, s[8:9], 0x0
	;; [unrolled: 1-line block ×6, first 2 shown]
	s_or_b32 s6, s12, 0xc0
	s_delay_alu instid0(SALU_CYCLE_1) | instskip(SKIP_2) | instid1(SALU_CYCLE_1)
	s_ashr_i32 s7, s6, 5
	s_cmp_lt_i32 s6, s24
	s_cselect_b32 s10, s7, s2
	s_ashr_i32 s11, s10, 31
	s_delay_alu instid0(SALU_CYCLE_1) | instskip(NEXT) | instid1(SALU_CYCLE_1)
	s_lshl_b64 s[10:11], s[10:11], 2
	s_add_u32 s34, s26, s10
	s_addc_u32 s35, s25, s11
	s_or_b32 s11, s12, 0xe0
	s_delay_alu instid0(SALU_CYCLE_1) | instskip(SKIP_2) | instid1(SALU_CYCLE_1)
	s_ashr_i32 s21, s11, 5
	s_cmp_lt_i32 s11, s24
	s_cselect_b32 s36, s21, s2
	s_ashr_i32 s37, s36, 31
	s_waitcnt vmcnt(1)
	v_mad_i64_i32 v[1:2], null, v5, s17, s[4:5]
	s_waitcnt vmcnt(0)
	v_mad_i64_i32 v[3:4], null, v6, s17, s[4:5]
	s_mov_b32 s4, 0
	s_delay_alu instid0(SALU_CYCLE_1)
	s_mov_b32 s5, s4
	s_mov_b32 s6, s4
	;; [unrolled: 1-line block ×7, first 2 shown]
	s_delay_alu instid0(SALU_CYCLE_1) | instskip(SKIP_2) | instid1(VALU_DEP_3)
	v_dual_mov_b32 v108, s11 :: v_dual_lshlrev_b32 v5, 4, v66
	v_dual_mov_b32 v104, s7 :: v_dual_lshlrev_b32 v71, 6, v76
	v_mov_b32_e32 v102, s5
	v_add_co_u32 v1, vcc_lo, v1, v5
	v_add_co_ci_u32_e32 v2, vcc_lo, 0, v2, vcc_lo
	v_add_co_u32 v3, vcc_lo, v3, v5
	v_add_co_ci_u32_e32 v4, vcc_lo, 0, v4, vcc_lo
	s_clause 0x7
	global_load_b128 v[49:52], v[1:2], off
	global_load_b128 v[53:56], v[1:2], off offset:512
	global_load_b128 v[77:80], v[3:4], off offset:256
	;; [unrolled: 1-line block ×7, first 2 shown]
	v_lshlrev_b32_e32 v1, 5, v66
	v_dual_mov_b32 v107, s10 :: v_dual_mov_b32 v106, s9
	v_mov_b32_e32 v105, s8
	v_mov_b32_e32 v103, s6
	v_mov_b32_e32 v101, s4
	s_lshl_b64 s[4:5], s[36:37], 2
	v_lshl_or_b32 v1, v67, 9, v1
	s_add_u32 s4, s26, s4
	s_addc_u32 s5, s25, s5
	s_load_b32 s2, s[34:35], 0x0
	ds_load_b128 v[109:112], v71
	ds_load_b128 v[113:116], v71 offset:1024
	s_load_b32 s4, s[4:5], 0x0
	s_add_u32 s6, s22, s27
	s_addc_u32 s7, s23, s28
	v_add_co_u32 v9, s6, s6, v1
	s_delay_alu instid0(VALU_DEP_1) | instskip(SKIP_1) | instid1(VALU_DEP_1)
	v_add_co_ci_u32_e64 v10, null, s7, 0, s6
	s_waitcnt lgkmcnt(0)
	v_mad_i64_i32 v[1:2], null, s20, s17, v[9:10]
	v_mad_i64_i32 v[3:4], null, s3, s17, v[9:10]
	;; [unrolled: 1-line block ×7, first 2 shown]
	s_clause 0x9
	global_load_b128 v[57:60], v[1:2], off
	global_load_b128 v[61:64], v[1:2], off offset:16
	global_load_b128 v[41:44], v[3:4], off
	global_load_b128 v[45:48], v[3:4], off offset:16
	;; [unrolled: 2-line block ×5, first 2 shown]
	v_mad_i64_i32 v[69:70], null, s4, s17, v[9:10]
	s_clause 0x3
	global_load_b128 v[9:12], v[13:14], off
	global_load_b128 v[13:16], v[13:14], off offset:16
	global_load_b128 v[17:20], v[21:22], off
	global_load_b128 v[21:24], v[21:22], off offset:16
	s_waitcnt vmcnt(20)
	v_wmma_f32_16x16x16_bf16 v[117:124], v[49:56], v[109:116], v[101:108]
	s_clause 0x1
	global_load_b128 v[49:52], v[69:70], off
	global_load_b128 v[53:56], v[69:70], off offset:16
	s_waitcnt vmcnt(20)
	v_wmma_f32_16x16x16_bf16 v[101:108], v[77:84], v[109:116], v[101:108]
	ds_load_b128 v[77:80], v71 offset:2048
	ds_load_b128 v[81:84], v71 offset:3072
	v_mbcnt_lo_u32_b32 v70, -1, 0
	s_waitcnt vmcnt(0) lgkmcnt(0)
	s_barrier
	buffer_gl0_inv
	v_xor_b32_e32 v71, 16, v70
	s_delay_alu instid0(VALU_DEP_1) | instskip(SKIP_4) | instid1(VALU_DEP_2)
	v_cmp_gt_i32_e32 vcc_lo, 32, v71
	v_cndmask_b32_e32 v70, v70, v71, vcc_lo
	v_wmma_f32_16x16x16_bf16 v[117:124], v[85:92], v[77:84], v[117:124]
	v_and_b32_e32 v69, 0xe0, v0
	v_wmma_f32_16x16x16_bf16 v[101:108], v[93:100], v[77:84], v[101:108]
	v_dual_mul_f32 v94, s19, v118 :: v_dual_add_nc_u32 v69, s12, v69
	s_delay_alu instid0(VALU_DEP_2) | instskip(SKIP_1) | instid1(VALU_DEP_3)
	v_dual_mul_f32 v96, s19, v108 :: v_dual_mul_f32 v95, s19, v117
	v_dual_mul_f32 v84, s19, v120 :: v_dual_mul_f32 v93, s19, v119
	v_or_b32_e32 v69, v69, v65
	v_dual_mul_f32 v82, s19, v122 :: v_dual_mul_f32 v83, s19, v121
	v_mul_f32_e32 v100, s19, v104
	v_mul_f32_e32 v80, s19, v124
	s_delay_alu instid0(VALU_DEP_4)
	v_or_b32_e32 v71, 2, v69
	v_or_b32_e32 v72, 4, v69
	v_or_b32_e32 v109, 6, v69
	v_cmp_gt_i32_e64 s2, s24, v69
	v_or_b32_e32 v110, 8, v69
	v_cmp_gt_i32_e32 vcc_lo, s24, v71
	v_or_b32_e32 v85, 10, v69
	v_cmp_gt_i32_e64 s3, s24, v72
	v_cndmask_b32_e64 v95, 0xff7fffff, v95, s2
	v_cmp_gt_i32_e64 s4, s24, v109
	v_cndmask_b32_e32 v94, 0xff7fffff, v94, vcc_lo
	v_or_b32_e32 v86, 12, v69
	v_or_b32_e32 v87, 14, v69
	v_mul_f32_e32 v72, s19, v101
	v_cndmask_b32_e64 v93, 0xff7fffff, v93, s3
	v_cndmask_b32_e64 v84, 0xff7fffff, v84, s4
	v_max3_f32 v94, v95, 0xff7fffff, v94
	v_cmp_gt_i32_e64 s5, s24, v110
	v_cmp_gt_i32_e64 s6, s24, v85
	v_or_b32_e32 v88, 16, v69
	v_or_b32_e32 v89, 18, v69
	v_dual_mul_f32 v81, s19, v123 :: v_dual_mul_f32 v98, s19, v106
	v_cndmask_b32_e64 v83, 0xff7fffff, v83, s5
	v_cndmask_b32_e64 v82, 0xff7fffff, v82, s6
	v_max3_f32 v84, v94, v93, v84
	v_cmp_gt_i32_e64 s7, s24, v86
	v_cmp_gt_i32_e64 s8, s24, v87
	v_or_b32_e32 v90, 20, v69
	v_or_b32_e32 v91, 22, v69
	;; [unrolled: 1-line block ×6, first 2 shown]
	v_mul_f32_e32 v69, s19, v102
	v_cndmask_b32_e64 v81, 0xff7fffff, v81, s7
	v_cndmask_b32_e64 v80, 0xff7fffff, v80, s8
	v_max3_f32 v82, v84, v83, v82
	v_cmp_gt_i32_e64 s9, s24, v88
	v_cmp_gt_i32_e64 s10, s24, v89
	v_mul_f32_e32 v71, s19, v103
	v_cmp_gt_i32_e64 s11, s24, v90
	v_max3_f32 v80, v82, v81, v80
	v_cndmask_b32_e64 v72, 0xff7fffff, v72, s9
	v_cndmask_b32_e64 v69, 0xff7fffff, v69, s10
	v_cmp_gt_i32_e64 s12, s24, v91
	v_mul_f32_e32 v99, s19, v105
	v_cndmask_b32_e64 v71, 0xff7fffff, v71, s11
	v_cmp_gt_i32_e64 s13, s24, v92
	v_max3_f32 v69, v80, v72, v69
	v_cndmask_b32_e64 v81, 0xff7fffff, v100, s12
	v_cmp_gt_i32_e64 s15, s24, v77
	v_mul_f32_e32 v97, s19, v107
	v_cndmask_b32_e64 v72, 0xff7fffff, v99, s13
	v_cmp_gt_i32_e64 s16, s24, v78
	v_max3_f32 v69, v69, v71, v81
	v_cndmask_b32_e64 v77, 0xff7fffff, v98, s15
	v_cmp_gt_i32_e64 s17, s24, v79
	v_lshlrev_b32_e32 v91, 2, v70
	v_cndmask_b32_e64 v71, 0xff7fffff, v97, s16
	s_delay_alu instid0(VALU_DEP_4) | instskip(NEXT) | instid1(VALU_DEP_4)
	v_max3_f32 v69, v69, v72, v77
	v_cndmask_b32_e64 v78, 0xff7fffff, v96, s17
	s_delay_alu instid0(VALU_DEP_1) | instskip(SKIP_3) | instid1(VALU_DEP_1)
	v_max3_f32 v69, v69, v71, v78
	ds_bpermute_b32 v70, v91, v69
	s_waitcnt lgkmcnt(0)
	v_max_f32_e32 v70, v70, v70
	v_max_f32_e32 v69, v69, v70
	s_delay_alu instid0(VALU_DEP_1)
	v_fma_f32 v70, s19, v117, -v69
	v_fma_f32 v71, s19, v118, -v69
	;; [unrolled: 1-line block ×5, first 2 shown]
	v_mul_f32_e32 v70, 0x3fb8aa3b, v70
	s_delay_alu instid0(VALU_DEP_3) | instskip(NEXT) | instid1(VALU_DEP_3)
	v_dual_mul_f32 v72, 0x3fb8aa3b, v72 :: v_dual_mul_f32 v77, 0x3fb8aa3b, v77
	v_mul_f32_e32 v78, 0x3fb8aa3b, v78
	s_delay_alu instid0(VALU_DEP_3) | instskip(NEXT) | instid1(VALU_DEP_2)
	v_exp_f32_e32 v70, v70
	v_exp_f32_e32 v72, v72
	s_delay_alu instid0(VALU_DEP_2) | instskip(NEXT) | instid1(VALU_DEP_1)
	v_exp_f32_e32 v79, v77
	v_exp_f32_e32 v78, v78
	v_cndmask_b32_e64 v81, 0, v70, s2
	v_fma_f32 v70, s19, v122, -v69
	v_mul_f32_e32 v71, 0x3fb8aa3b, v71
	s_delay_alu instid0(TRANS32_DEP_3)
	v_cndmask_b32_e64 v85, 0, v72, s3
	s_waitcnt_depctr 0xfff
	v_cndmask_b32_e64 v87, 0, v79, s4
	v_cndmask_b32_e64 v88, 0, v78, s5
	v_mul_f32_e32 v70, 0x3fb8aa3b, v70
	v_exp_f32_e32 v71, v71
	s_mov_b32 s2, exec_lo
	s_delay_alu instid0(VALU_DEP_1) | instskip(SKIP_4) | instid1(VALU_DEP_2)
	v_exp_f32_e32 v70, v70
	s_waitcnt_depctr 0xfff
	v_cndmask_b32_e32 v77, 0, v71, vcc_lo
	v_add_f32_e32 v71, 0, v81
	v_cndmask_b32_e64 v89, 0, v70, s6
	v_add_f32_e32 v71, v71, v77
	s_delay_alu instid0(VALU_DEP_1) | instskip(NEXT) | instid1(VALU_DEP_1)
	v_add_f32_e32 v71, v71, v85
	v_add_f32_e32 v71, v71, v87
	s_delay_alu instid0(VALU_DEP_1) | instskip(NEXT) | instid1(VALU_DEP_1)
	v_add_f32_e32 v70, v71, v88
	v_add_f32_e32 v70, v70, v89
	v_fma_f32 v72, s19, v124, -v69
	v_fma_f32 v71, s19, v103, -v69
	;; [unrolled: 1-line block ×5, first 2 shown]
	s_delay_alu instid0(VALU_DEP_4) | instskip(NEXT) | instid1(VALU_DEP_4)
	v_dual_mul_f32 v72, 0x3fb8aa3b, v72 :: v_dual_mul_f32 v71, 0x3fb8aa3b, v71
	v_mul_f32_e32 v80, 0x3fb8aa3b, v80
	v_fma_f32 v83, s19, v106, -v69
	s_delay_alu instid0(VALU_DEP_4) | instskip(NEXT) | instid1(VALU_DEP_4)
	v_mul_f32_e32 v78, 0x3fb8aa3b, v78
	v_exp_f32_e32 v72, v72
	v_exp_f32_e32 v82, v71
	;; [unrolled: 1-line block ×3, first 2 shown]
	s_delay_alu instid0(VALU_DEP_1)
	v_exp_f32_e32 v78, v78
	v_cndmask_b32_e64 v90, 0, v72, s8
	v_fma_f32 v72, s19, v105, -v69
	s_waitcnt_depctr 0xfff
	v_cndmask_b32_e64 v86, 0, v80, s7
	v_fma_f32 v80, s19, v104, -v69
	v_mul_f32_e32 v72, 0x3fb8aa3b, v72
	s_delay_alu instid0(VALU_DEP_3) | instskip(NEXT) | instid1(VALU_DEP_3)
	v_add_f32_e32 v70, v70, v86
	v_mul_f32_e32 v80, 0x3fb8aa3b, v80
	s_delay_alu instid0(VALU_DEP_3) | instskip(SKIP_2) | instid1(VALU_DEP_3)
	v_exp_f32_e32 v84, v72
	v_cndmask_b32_e64 v72, 0, v82, s11
	v_mul_f32_e32 v79, 0x3fb8aa3b, v79
	v_exp_f32_e32 v80, v80
	s_delay_alu instid0(VALU_DEP_1) | instskip(SKIP_4) | instid1(VALU_DEP_2)
	v_exp_f32_e32 v79, v79
	s_waitcnt_depctr 0xfff
	v_cndmask_b32_e64 v71, 0, v79, s9
	v_add_f32_e32 v79, v70, v90
	v_cndmask_b32_e64 v70, 0, v78, s10
	v_add_f32_e32 v78, v79, v71
	v_fma_f32 v79, s19, v107, -v69
	s_delay_alu instid0(VALU_DEP_2) | instskip(SKIP_1) | instid1(VALU_DEP_2)
	v_add_f32_e32 v82, v78, v70
	v_cndmask_b32_e64 v78, 0, v80, s12
	v_dual_mul_f32 v79, 0x3fb8aa3b, v79 :: v_dual_add_f32 v80, v82, v72
	v_fma_f32 v82, s19, v108, -v69
	v_mul_f32_e32 v83, 0x3fb8aa3b, v83
	s_delay_alu instid0(VALU_DEP_3)
	v_exp_f32_e32 v92, v79
	v_cndmask_b32_e64 v79, 0, v84, s13
	v_add_f32_e32 v84, v80, v78
	v_mul_f32_e32 v82, 0x3fb8aa3b, v82
	v_exp_f32_e32 v83, v83
	s_waitcnt_depctr 0xfff
	v_cndmask_b32_e64 v80, 0, v83, s15
	v_add_f32_e32 v83, v84, v79
	v_exp_f32_e32 v84, v82
	v_cndmask_b32_e64 v82, 0, v92, s16
	s_delay_alu instid0(VALU_DEP_2) | instskip(NEXT) | instid1(VALU_DEP_1)
	v_add_f32_e32 v83, v83, v80
	v_add_f32_e32 v92, v83, v82
	s_waitcnt_depctr 0xfff
	v_cndmask_b32_e64 v83, 0, v84, s17
	s_delay_alu instid0(VALU_DEP_1)
	v_add_f32_e32 v84, v92, v83
	ds_bpermute_b32 v91, v91, v84
	v_cmpx_gt_u32_e32 16, v68
	s_cbranch_execz .LBB1463_12
; %bb.11:
	v_mul_u32_u24_e32 v68, 0x44, v67
	s_waitcnt lgkmcnt(0)
	v_add_f32_e32 v84, v84, v91
	s_delay_alu instid0(VALU_DEP_2) | instskip(NEXT) | instid1(VALU_DEP_1)
	v_lshl_add_u32 v68, v66, 2, v68
	v_add_nc_u32_e32 v68, 0x4000, v68
	ds_store_2addr_b32 v68, v69, v84 offset1:136
.LBB1463_12:
	s_or_b32 exec_lo, exec_lo, s2
	v_lshlrev_b32_e32 v68, 2, v66
	s_waitcnt lgkmcnt(0)
	s_barrier
	buffer_gl0_inv
	v_cmp_eq_u32_e32 vcc_lo, 1, v67
	v_add_nc_u32_e32 v84, 0x4000, v68
	v_cmp_eq_u32_e64 s2, 2, v67
	v_cmp_eq_u32_e64 s4, 7, v67
	ds_load_2addr_b32 v[91:92], v84 offset1:17
	ds_load_2addr_b32 v[93:94], v84 offset0:34 offset1:51
	ds_load_2addr_b32 v[95:96], v84 offset0:68 offset1:85
	;; [unrolled: 1-line block ×4, first 2 shown]
	s_waitcnt lgkmcnt(4)
	v_max3_f32 v68, v91, 0xff7fffff, v92
	s_waitcnt lgkmcnt(3)
	s_delay_alu instid0(VALU_DEP_1) | instskip(SKIP_1) | instid1(VALU_DEP_1)
	v_max3_f32 v68, v68, v93, v94
	s_waitcnt lgkmcnt(2)
	v_max3_f32 v68, v68, v95, v96
	s_waitcnt lgkmcnt(1)
	s_delay_alu instid0(VALU_DEP_1) | instskip(NEXT) | instid1(VALU_DEP_1)
	v_max3_f32 v68, v68, v97, v98
	v_sub_f32_e32 v69, v91, v68
	v_sub_f32_e32 v93, v93, v68
	;; [unrolled: 1-line block ×3, first 2 shown]
	s_delay_alu instid0(VALU_DEP_3) | instskip(NEXT) | instid1(VALU_DEP_3)
	v_mul_f32_e32 v69, 0x3fb8aa3b, v69
	v_mul_f32_e32 v103, 0x3fb8aa3b, v93
	s_delay_alu instid0(VALU_DEP_3) | instskip(NEXT) | instid1(VALU_DEP_3)
	v_mul_f32_e32 v105, 0x3fb8aa3b, v95
	v_exp_f32_e32 v102, v69
	v_sub_f32_e32 v69, v94, v68
	v_sub_f32_e32 v101, v92, v68
	ds_load_2addr_b32 v[91:92], v84 offset0:170 offset1:187
	v_exp_f32_e32 v103, v103
	v_mul_f32_e32 v104, 0x3fb8aa3b, v69
	v_mul_f32_e32 v101, 0x3fb8aa3b, v101
	s_waitcnt lgkmcnt(1)
	v_fma_f32 v69, v102, v99, 0
	v_sub_f32_e32 v99, v96, v68
	s_delay_alu instid0(VALU_DEP_3) | instskip(SKIP_4) | instid1(VALU_DEP_1)
	v_exp_f32_e32 v101, v101
	v_exp_f32_e32 v104, v104
	s_waitcnt_depctr 0xfff
	v_fmac_f32_e32 v69, v101, v100
	s_waitcnt lgkmcnt(0)
	v_fmac_f32_e32 v69, v103, v91
	ds_load_2addr_b32 v[93:94], v84 offset0:204 offset1:221
	ds_load_2addr_b32 v[95:96], v84 offset0:238 offset1:255
	v_dual_sub_f32 v84, v97, v68 :: v_dual_mul_f32 v97, 0x3fb8aa3b, v99
	v_exp_f32_e32 v99, v105
	v_sub_f32_e32 v91, v98, v68
	v_fmac_f32_e32 v69, v104, v92
	s_delay_alu instid0(VALU_DEP_3)
	v_mul_f32_e32 v84, 0x3fb8aa3b, v84
	v_exp_f32_e32 v97, v97
	s_waitcnt lgkmcnt(0)
	v_mul_f32_e32 v91, 0x3fb8aa3b, v91
	s_barrier
	v_exp_f32_e32 v84, v84
	buffer_gl0_inv
	v_exp_f32_e32 v91, v91
	v_fmac_f32_e32 v69, v99, v93
	s_delay_alu instid0(VALU_DEP_1) | instskip(NEXT) | instid1(VALU_DEP_1)
	v_fmac_f32_e32 v69, v97, v94
	v_fmac_f32_e32 v69, v84, v95
	s_waitcnt_depctr 0xfff
	v_fmac_f32_e32 v69, v91, v96
	s_delay_alu instid0(VALU_DEP_1) | instskip(NEXT) | instid1(VALU_DEP_1)
	v_add_f32_e32 v92, 0x358637bd, v69
	v_div_scale_f32 v93, null, v92, v92, 1.0
	v_div_scale_f32 v96, s3, 1.0, v92, 1.0
	s_delay_alu instid0(VALU_DEP_2) | instskip(SKIP_2) | instid1(VALU_DEP_1)
	v_rcp_f32_e32 v94, v93
	s_waitcnt_depctr 0xfff
	v_fma_f32 v95, -v93, v94, 1.0
	v_dual_fmac_f32 v94, v95, v94 :: v_dual_cndmask_b32 v95, v102, v101
	v_cmp_eq_u32_e32 vcc_lo, 3, v67
	s_delay_alu instid0(VALU_DEP_2) | instskip(NEXT) | instid1(VALU_DEP_3)
	v_mul_f32_e32 v98, v96, v94
	v_cndmask_b32_e64 v95, v95, v103, s2
	v_cmp_eq_u32_e64 s2, 4, v67
	s_delay_alu instid0(VALU_DEP_3) | instskip(NEXT) | instid1(VALU_DEP_3)
	v_fma_f32 v100, -v93, v98, v96
	v_cndmask_b32_e32 v95, v95, v104, vcc_lo
	v_cmp_eq_u32_e32 vcc_lo, 5, v67
	s_delay_alu instid0(VALU_DEP_3) | instskip(NEXT) | instid1(VALU_DEP_3)
	v_fmac_f32_e32 v98, v100, v94
	v_cndmask_b32_e64 v95, v95, v99, s2
	v_cmp_eq_u32_e64 s2, 6, v67
	s_delay_alu instid0(VALU_DEP_3) | instskip(NEXT) | instid1(VALU_DEP_3)
	v_fma_f32 v93, -v93, v98, v96
	v_cndmask_b32_e32 v95, v95, v97, vcc_lo
	s_mov_b32 vcc_lo, s3
	s_delay_alu instid0(VALU_DEP_2) | instskip(NEXT) | instid1(VALU_DEP_2)
	v_div_fmas_f32 v93, v93, v94, v98
	v_cndmask_b32_e64 v84, v95, v84, s2
	s_mov_b32 s2, exec_lo
	s_delay_alu instid0(VALU_DEP_2) | instskip(NEXT) | instid1(VALU_DEP_2)
	v_div_fixup_f32 v92, v93, v92, 1.0
	v_cndmask_b32_e64 v84, v84, v91, s4
	s_delay_alu instid0(VALU_DEP_1) | instskip(NEXT) | instid1(VALU_DEP_1)
	v_mul_f32_e32 v84, v84, v92
	v_mul_f32_e32 v92, v84, v81
	;; [unrolled: 1-line block ×6, first 2 shown]
	v_and_b32_e32 v93, 0x7f800000, v92
	v_mul_f32_e32 v91, v84, v87
	v_mul_f32_e32 v88, v84, v85
	v_mul_f32_e32 v87, v84, v77
                                        ; implicit-def: $vgpr77
	s_delay_alu instid0(VALU_DEP_4)
	v_cmpx_ne_u32_e32 0x7f800000, v93
	s_xor_b32 s2, exec_lo, s2
; %bb.13:
	v_bfe_u32 v77, v92, 16, 1
	s_delay_alu instid0(VALU_DEP_1)
	v_add3_u32 v77, v92, v77, 0x7fff
                                        ; implicit-def: $vgpr92
; %bb.14:
	s_and_not1_saveexec_b32 s2, s2
; %bb.15:
	v_and_b32_e32 v77, 0xffff, v92
	v_or_b32_e32 v85, 0x10000, v92
	s_delay_alu instid0(VALU_DEP_2) | instskip(NEXT) | instid1(VALU_DEP_2)
	v_cmp_eq_u32_e32 vcc_lo, 0, v77
	v_cndmask_b32_e32 v77, v85, v92, vcc_lo
; %bb.16:
	s_or_b32 exec_lo, exec_lo, s2
	v_and_b32_e32 v85, 0x7f800000, v87
	s_delay_alu instid0(VALU_DEP_1) | instskip(SKIP_1) | instid1(SALU_CYCLE_1)
	v_cmp_ne_u32_e32 vcc_lo, 0x7f800000, v85
                                        ; implicit-def: $vgpr85
	s_and_saveexec_b32 s2, vcc_lo
	s_xor_b32 s2, exec_lo, s2
; %bb.17:
	v_bfe_u32 v85, v87, 16, 1
	s_delay_alu instid0(VALU_DEP_1)
	v_add3_u32 v85, v87, v85, 0x7fff
                                        ; implicit-def: $vgpr87
; %bb.18:
	s_and_not1_saveexec_b32 s2, s2
; %bb.19:
	v_and_b32_e32 v85, 0xffff, v87
	v_or_b32_e32 v92, 0x10000, v87
	s_delay_alu instid0(VALU_DEP_2) | instskip(NEXT) | instid1(VALU_DEP_2)
	v_cmp_eq_u32_e32 vcc_lo, 0, v85
	v_cndmask_b32_e32 v85, v92, v87, vcc_lo
; %bb.20:
	s_or_b32 exec_lo, exec_lo, s2
	v_and_b32_e32 v87, 0x7f800000, v88
	s_delay_alu instid0(VALU_DEP_1) | instskip(SKIP_1) | instid1(SALU_CYCLE_1)
	v_cmp_ne_u32_e32 vcc_lo, 0x7f800000, v87
                                        ; implicit-def: $vgpr87
	s_and_saveexec_b32 s2, vcc_lo
	s_xor_b32 s2, exec_lo, s2
; %bb.21:
	v_bfe_u32 v87, v88, 16, 1
	s_delay_alu instid0(VALU_DEP_1)
	v_add3_u32 v87, v88, v87, 0x7fff
                                        ; implicit-def: $vgpr88
; %bb.22:
	s_and_not1_saveexec_b32 s2, s2
; %bb.23:
	v_and_b32_e32 v87, 0xffff, v88
	v_or_b32_e32 v92, 0x10000, v88
	s_delay_alu instid0(VALU_DEP_2) | instskip(NEXT) | instid1(VALU_DEP_2)
	v_cmp_eq_u32_e32 vcc_lo, 0, v87
	v_cndmask_b32_e32 v87, v92, v88, vcc_lo
; %bb.24:
	s_or_b32 exec_lo, exec_lo, s2
	v_and_b32_e32 v88, 0x7f800000, v91
	s_delay_alu instid0(VALU_DEP_1) | instskip(SKIP_1) | instid1(SALU_CYCLE_1)
	v_cmp_ne_u32_e32 vcc_lo, 0x7f800000, v88
                                        ; implicit-def: $vgpr88
	s_and_saveexec_b32 s2, vcc_lo
	s_xor_b32 s2, exec_lo, s2
; %bb.25:
	v_bfe_u32 v88, v91, 16, 1
	s_delay_alu instid0(VALU_DEP_1)
	v_add3_u32 v88, v91, v88, 0x7fff
                                        ; implicit-def: $vgpr91
; %bb.26:
	s_and_not1_saveexec_b32 s2, s2
; %bb.27:
	v_and_b32_e32 v88, 0xffff, v91
	v_or_b32_e32 v92, 0x10000, v91
	s_delay_alu instid0(VALU_DEP_2) | instskip(NEXT) | instid1(VALU_DEP_2)
	v_cmp_eq_u32_e32 vcc_lo, 0, v88
	v_cndmask_b32_e32 v88, v92, v91, vcc_lo
; %bb.28:
	s_or_b32 exec_lo, exec_lo, s2
	v_and_b32_e32 v91, 0x7f800000, v90
	s_delay_alu instid0(VALU_DEP_1) | instskip(SKIP_1) | instid1(SALU_CYCLE_1)
	v_cmp_ne_u32_e32 vcc_lo, 0x7f800000, v91
                                        ; implicit-def: $vgpr91
	s_and_saveexec_b32 s2, vcc_lo
	s_xor_b32 s2, exec_lo, s2
; %bb.29:
	v_bfe_u32 v91, v90, 16, 1
	s_delay_alu instid0(VALU_DEP_1)
	v_add3_u32 v91, v90, v91, 0x7fff
                                        ; implicit-def: $vgpr90
; %bb.30:
	s_and_not1_saveexec_b32 s2, s2
; %bb.31:
	v_and_b32_e32 v91, 0xffff, v90
	v_or_b32_e32 v92, 0x10000, v90
	s_delay_alu instid0(VALU_DEP_2) | instskip(NEXT) | instid1(VALU_DEP_2)
	v_cmp_eq_u32_e32 vcc_lo, 0, v91
	v_cndmask_b32_e32 v91, v92, v90, vcc_lo
; %bb.32:
	s_or_b32 exec_lo, exec_lo, s2
	v_and_b32_e32 v90, 0x7f800000, v89
	s_delay_alu instid0(VALU_DEP_1) | instskip(SKIP_1) | instid1(SALU_CYCLE_1)
	v_cmp_ne_u32_e32 vcc_lo, 0x7f800000, v90
                                        ; implicit-def: $vgpr90
	s_and_saveexec_b32 s2, vcc_lo
	s_xor_b32 s2, exec_lo, s2
; %bb.33:
	v_bfe_u32 v90, v89, 16, 1
	s_delay_alu instid0(VALU_DEP_1)
	v_add3_u32 v90, v89, v90, 0x7fff
                                        ; implicit-def: $vgpr89
; %bb.34:
	s_and_not1_saveexec_b32 s2, s2
; %bb.35:
	v_and_b32_e32 v90, 0xffff, v89
	v_or_b32_e32 v92, 0x10000, v89
	s_delay_alu instid0(VALU_DEP_2) | instskip(NEXT) | instid1(VALU_DEP_2)
	v_cmp_eq_u32_e32 vcc_lo, 0, v90
	v_cndmask_b32_e32 v90, v92, v89, vcc_lo
; %bb.36:
	s_or_b32 exec_lo, exec_lo, s2
	v_and_b32_e32 v89, 0x7f800000, v86
	s_delay_alu instid0(VALU_DEP_1) | instskip(SKIP_1) | instid1(SALU_CYCLE_1)
	v_cmp_ne_u32_e32 vcc_lo, 0x7f800000, v89
                                        ; implicit-def: $vgpr89
	s_and_saveexec_b32 s2, vcc_lo
	s_xor_b32 s2, exec_lo, s2
; %bb.37:
	v_bfe_u32 v89, v86, 16, 1
	s_delay_alu instid0(VALU_DEP_1)
	v_add3_u32 v89, v86, v89, 0x7fff
                                        ; implicit-def: $vgpr86
; %bb.38:
	s_and_not1_saveexec_b32 s2, s2
; %bb.39:
	v_and_b32_e32 v89, 0xffff, v86
	v_or_b32_e32 v92, 0x10000, v86
	s_delay_alu instid0(VALU_DEP_2) | instskip(NEXT) | instid1(VALU_DEP_2)
	v_cmp_eq_u32_e32 vcc_lo, 0, v89
	v_cndmask_b32_e32 v89, v92, v86, vcc_lo
; %bb.40:
	s_or_b32 exec_lo, exec_lo, s2
	v_and_b32_e32 v86, 0x7f800000, v81
	s_delay_alu instid0(VALU_DEP_1) | instskip(SKIP_1) | instid1(SALU_CYCLE_1)
	v_cmp_ne_u32_e32 vcc_lo, 0x7f800000, v86
                                        ; implicit-def: $vgpr86
	s_and_saveexec_b32 s2, vcc_lo
	s_xor_b32 s2, exec_lo, s2
; %bb.41:
	v_bfe_u32 v86, v81, 16, 1
	s_delay_alu instid0(VALU_DEP_1)
	v_add3_u32 v86, v81, v86, 0x7fff
                                        ; implicit-def: $vgpr81
; %bb.42:
	s_and_not1_saveexec_b32 s2, s2
; %bb.43:
	v_and_b32_e32 v86, 0xffff, v81
	v_or_b32_e32 v92, 0x10000, v81
	s_delay_alu instid0(VALU_DEP_2) | instskip(NEXT) | instid1(VALU_DEP_2)
	v_cmp_eq_u32_e32 vcc_lo, 0, v86
	v_cndmask_b32_e32 v86, v92, v81, vcc_lo
; %bb.44:
	s_or_b32 exec_lo, exec_lo, s2
	s_load_b64 s[34:35], s[0:1], 0x94
	v_lshlrev_b32_e32 v93, 4, v65
	s_delay_alu instid0(VALU_DEP_2)
	v_perm_b32 v92, v86, v89, 0x7060302
	v_dual_mul_f32 v80, v84, v80 :: v_dual_lshlrev_b32 v81, 6, v66
	v_lshlrev_b32_e32 v66, 11, v67
	v_perm_b32 v89, v85, v77, 0x7060302
	v_mul_f32_e32 v85, v84, v71
	v_mul_f32_e32 v71, v84, v82
	v_perm_b32 v91, v90, v91, 0x7060302
	v_perm_b32 v90, v88, v87, 0x7060302
	v_or3_b32 v77, v93, v66, v81
	v_mul_f32_e32 v66, v84, v83
	v_dual_mul_f32 v79, v84, v79 :: v_dual_and_b32 v86, 0x7f800000, v85
	v_mul_f32_e32 v83, v84, v78
	v_mul_f32_e32 v82, v84, v72
	;; [unrolled: 1-line block ×3, first 2 shown]
	s_mov_b32 s2, exec_lo
	ds_store_b128 v77, v[89:92]
                                        ; implicit-def: $vgpr70
	v_cmpx_ne_u32_e32 0x7f800000, v86
	s_xor_b32 s2, exec_lo, s2
; %bb.45:
	v_bfe_u32 v70, v85, 16, 1
	s_delay_alu instid0(VALU_DEP_1)
	v_add3_u32 v70, v85, v70, 0x7fff
                                        ; implicit-def: $vgpr85
; %bb.46:
	s_and_not1_saveexec_b32 s2, s2
; %bb.47:
	v_and_b32_e32 v70, 0xffff, v85
	v_or_b32_e32 v72, 0x10000, v85
	s_delay_alu instid0(VALU_DEP_2) | instskip(NEXT) | instid1(VALU_DEP_2)
	v_cmp_eq_u32_e32 vcc_lo, 0, v70
	v_cndmask_b32_e32 v70, v72, v85, vcc_lo
; %bb.48:
	s_or_b32 exec_lo, exec_lo, s2
	v_and_b32_e32 v72, 0x7f800000, v78
	s_delay_alu instid0(VALU_DEP_1) | instskip(SKIP_1) | instid1(SALU_CYCLE_1)
	v_cmp_ne_u32_e32 vcc_lo, 0x7f800000, v72
                                        ; implicit-def: $vgpr72
	s_and_saveexec_b32 s2, vcc_lo
	s_xor_b32 s2, exec_lo, s2
; %bb.49:
	v_bfe_u32 v72, v78, 16, 1
	s_delay_alu instid0(VALU_DEP_1)
	v_add3_u32 v72, v78, v72, 0x7fff
                                        ; implicit-def: $vgpr78
; %bb.50:
	s_and_not1_saveexec_b32 s2, s2
; %bb.51:
	v_and_b32_e32 v72, 0xffff, v78
	v_or_b32_e32 v84, 0x10000, v78
	s_delay_alu instid0(VALU_DEP_2) | instskip(NEXT) | instid1(VALU_DEP_2)
	v_cmp_eq_u32_e32 vcc_lo, 0, v72
	v_cndmask_b32_e32 v72, v84, v78, vcc_lo
; %bb.52:
	s_or_b32 exec_lo, exec_lo, s2
	v_and_b32_e32 v78, 0x7f800000, v82
	s_delay_alu instid0(VALU_DEP_1) | instskip(SKIP_1) | instid1(SALU_CYCLE_1)
	v_cmp_ne_u32_e32 vcc_lo, 0x7f800000, v78
                                        ; implicit-def: $vgpr78
	s_and_saveexec_b32 s2, vcc_lo
	s_xor_b32 s2, exec_lo, s2
; %bb.53:
	v_bfe_u32 v78, v82, 16, 1
	s_delay_alu instid0(VALU_DEP_1)
	v_add3_u32 v78, v82, v78, 0x7fff
                                        ; implicit-def: $vgpr82
; %bb.54:
	s_and_not1_saveexec_b32 s2, s2
; %bb.55:
	v_and_b32_e32 v78, 0xffff, v82
	v_or_b32_e32 v84, 0x10000, v82
	s_delay_alu instid0(VALU_DEP_2) | instskip(NEXT) | instid1(VALU_DEP_2)
	v_cmp_eq_u32_e32 vcc_lo, 0, v78
	v_cndmask_b32_e32 v78, v84, v82, vcc_lo
; %bb.56:
	s_or_b32 exec_lo, exec_lo, s2
	v_and_b32_e32 v82, 0x7f800000, v83
	s_delay_alu instid0(VALU_DEP_1) | instskip(SKIP_1) | instid1(SALU_CYCLE_1)
	v_cmp_ne_u32_e32 vcc_lo, 0x7f800000, v82
                                        ; implicit-def: $vgpr82
	s_and_saveexec_b32 s2, vcc_lo
	s_xor_b32 s2, exec_lo, s2
; %bb.57:
	v_bfe_u32 v82, v83, 16, 1
	s_delay_alu instid0(VALU_DEP_1)
	v_add3_u32 v82, v83, v82, 0x7fff
                                        ; implicit-def: $vgpr83
; %bb.58:
	s_and_not1_saveexec_b32 s2, s2
; %bb.59:
	v_and_b32_e32 v82, 0xffff, v83
	v_or_b32_e32 v84, 0x10000, v83
	s_delay_alu instid0(VALU_DEP_2) | instskip(NEXT) | instid1(VALU_DEP_2)
	v_cmp_eq_u32_e32 vcc_lo, 0, v82
	v_cndmask_b32_e32 v82, v84, v83, vcc_lo
; %bb.60:
	s_or_b32 exec_lo, exec_lo, s2
	v_and_b32_e32 v83, 0x7f800000, v79
	s_delay_alu instid0(VALU_DEP_1) | instskip(SKIP_1) | instid1(SALU_CYCLE_1)
	v_cmp_ne_u32_e32 vcc_lo, 0x7f800000, v83
                                        ; implicit-def: $vgpr83
	s_and_saveexec_b32 s2, vcc_lo
	s_xor_b32 s2, exec_lo, s2
; %bb.61:
	v_bfe_u32 v83, v79, 16, 1
	s_delay_alu instid0(VALU_DEP_1)
	v_add3_u32 v83, v79, v83, 0x7fff
                                        ; implicit-def: $vgpr79
; %bb.62:
	s_and_not1_saveexec_b32 s2, s2
; %bb.63:
	v_and_b32_e32 v83, 0xffff, v79
	v_or_b32_e32 v84, 0x10000, v79
	s_delay_alu instid0(VALU_DEP_2) | instskip(NEXT) | instid1(VALU_DEP_2)
	v_cmp_eq_u32_e32 vcc_lo, 0, v83
	v_cndmask_b32_e32 v83, v84, v79, vcc_lo
; %bb.64:
	s_or_b32 exec_lo, exec_lo, s2
	v_and_b32_e32 v79, 0x7f800000, v80
	s_delay_alu instid0(VALU_DEP_1) | instskip(SKIP_1) | instid1(SALU_CYCLE_1)
	v_cmp_ne_u32_e32 vcc_lo, 0x7f800000, v79
                                        ; implicit-def: $vgpr79
	s_and_saveexec_b32 s2, vcc_lo
	s_xor_b32 s2, exec_lo, s2
; %bb.65:
	v_bfe_u32 v79, v80, 16, 1
	s_delay_alu instid0(VALU_DEP_1)
	v_add3_u32 v79, v80, v79, 0x7fff
                                        ; implicit-def: $vgpr80
; %bb.66:
	s_and_not1_saveexec_b32 s2, s2
; %bb.67:
	v_and_b32_e32 v79, 0xffff, v80
	v_or_b32_e32 v84, 0x10000, v80
	s_delay_alu instid0(VALU_DEP_2) | instskip(NEXT) | instid1(VALU_DEP_2)
	v_cmp_eq_u32_e32 vcc_lo, 0, v79
	v_cndmask_b32_e32 v79, v84, v80, vcc_lo
; %bb.68:
	s_or_b32 exec_lo, exec_lo, s2
	v_and_b32_e32 v80, 0x7f800000, v71
	s_delay_alu instid0(VALU_DEP_1) | instskip(SKIP_1) | instid1(SALU_CYCLE_1)
	v_cmp_ne_u32_e32 vcc_lo, 0x7f800000, v80
                                        ; implicit-def: $vgpr80
	s_and_saveexec_b32 s2, vcc_lo
	s_xor_b32 s2, exec_lo, s2
; %bb.69:
	v_bfe_u32 v80, v71, 16, 1
	s_delay_alu instid0(VALU_DEP_1)
	v_add3_u32 v80, v71, v80, 0x7fff
                                        ; implicit-def: $vgpr71
; %bb.70:
	s_and_not1_saveexec_b32 s2, s2
; %bb.71:
	v_and_b32_e32 v80, 0xffff, v71
	v_or_b32_e32 v84, 0x10000, v71
	s_delay_alu instid0(VALU_DEP_2) | instskip(NEXT) | instid1(VALU_DEP_2)
	v_cmp_eq_u32_e32 vcc_lo, 0, v80
	v_cndmask_b32_e32 v80, v84, v71, vcc_lo
; %bb.72:
	s_or_b32 exec_lo, exec_lo, s2
	v_and_b32_e32 v71, 0x7f800000, v66
	s_delay_alu instid0(VALU_DEP_1) | instskip(SKIP_1) | instid1(SALU_CYCLE_1)
	v_cmp_ne_u32_e32 vcc_lo, 0x7f800000, v71
                                        ; implicit-def: $vgpr71
	s_and_saveexec_b32 s2, vcc_lo
	s_xor_b32 s2, exec_lo, s2
; %bb.73:
	v_bfe_u32 v71, v66, 16, 1
	s_delay_alu instid0(VALU_DEP_1)
	v_add3_u32 v71, v66, v71, 0x7fff
                                        ; implicit-def: $vgpr66
; %bb.74:
	s_and_not1_saveexec_b32 s2, s2
; %bb.75:
	v_and_b32_e32 v71, 0xffff, v66
	v_or_b32_e32 v84, 0x10000, v66
	s_delay_alu instid0(VALU_DEP_2) | instskip(NEXT) | instid1(VALU_DEP_2)
	v_cmp_eq_u32_e32 vcc_lo, 0, v71
	v_cndmask_b32_e32 v71, v84, v66, vcc_lo
; %bb.76:
	s_or_b32 exec_lo, exec_lo, s2
	s_delay_alu instid0(VALU_DEP_1)
	v_perm_b32 v87, v71, v80, 0x7060302
	v_perm_b32 v86, v79, v83, 0x7060302
	;; [unrolled: 1-line block ×4, first 2 shown]
	v_lshl_or_b32 v83, v67, 11, v81
	ds_store_b128 v77, v[84:87] offset:1024
	s_waitcnt lgkmcnt(0)
	s_barrier
	buffer_gl0_inv
	ds_load_b128 v[84:87], v83
	ds_load_b128 v[88:91], v83 offset:16
	s_waitcnt lgkmcnt(1)
	v_lshrrev_b32_e32 v70, 16, v87
	s_waitcnt lgkmcnt(0)
	v_lshrrev_b32_e32 v71, 16, v88
	v_lshlrev_b32_e32 v79, 2, v65
	v_lshrrev_b32_e32 v65, 16, v84
	v_lshrrev_b32_e32 v66, 16, v85
	;; [unrolled: 1-line block ×4, first 2 shown]
	v_cmp_eq_u32_e32 vcc_lo, 1, v79
	v_lshrrev_b32_e32 v100, 16, v90
	v_lshrrev_b32_e32 v101, 16, v91
	v_cndmask_b32_e32 v92, v88, v71, vcc_lo
	v_or_b32_e32 v80, 1, v79
	v_cndmask_b32_e32 v82, v84, v65, vcc_lo
	v_cmp_eq_u32_e64 s3, 2, v79
	v_cmp_eq_u32_e64 s6, 3, v79
	;; [unrolled: 1-line block ×5, first 2 shown]
	v_cndmask_b32_e64 v82, v82, v85, s3
	v_cndmask_b32_e64 v92, v92, v89, s3
	v_cmp_eq_u32_e64 s7, 3, v80
	v_cndmask_b32_e64 v93, v84, v65, s2
	v_or_b32_e32 v78, 2, v79
	v_cndmask_b32_e64 v82, v82, v66, s6
	v_cndmask_b32_e64 v92, v92, v72, s6
	v_cndmask_b32_e64 v94, v88, v71, s2
	v_cndmask_b32_e64 v93, v93, v85, s5
	v_cmp_eq_u32_e64 s9, 5, v79
	v_cndmask_b32_e64 v82, v82, v86, s8
	v_cndmask_b32_e64 v92, v92, v90, s8
	v_cmp_eq_u32_e64 s10, 4, v80
	v_cndmask_b32_e64 v93, v93, v66, s7
	v_cmp_eq_u32_e64 s4, 1, v78
	v_cndmask_b32_e64 v94, v94, v89, s5
	v_cndmask_b32_e64 v82, v82, v67, s9
	v_cmp_eq_u32_e64 s11, 6, v79
	v_cndmask_b32_e64 v93, v93, v86, s10
	;; [unrolled: 3-line block ×3, first 2 shown]
	v_cndmask_b32_e64 v94, v94, v72, s7
	v_cndmask_b32_e64 v82, v82, v87, s11
	v_cmp_eq_u32_e64 s13, 7, v79
	v_cndmask_b32_e64 v93, v93, v67, s12
	v_cndmask_b32_e64 v92, v92, v91, s11
	v_cmp_eq_u32_e64 s15, 6, v80
	v_cmp_eq_u32_e64 s16, 2, v78
	v_cndmask_b32_e64 v94, v94, v90, s10
	v_cndmask_b32_e64 v102, v82, v70, s13
	;; [unrolled: 1-line block ×6, first 2 shown]
	v_cmp_eq_u32_e64 s17, 7, v80
	v_cmp_eq_u32_e64 s18, 3, v78
	;; [unrolled: 1-line block ×4, first 2 shown]
	v_cndmask_b32_e64 v92, v92, v89, s16
	v_cndmask_b32_e64 v104, v93, v70, s17
	;; [unrolled: 1-line block ×4, first 2 shown]
	v_or_b32_e32 v82, 3, v79
	v_cndmask_b32_e64 v97, v92, v72, s18
	v_cmp_eq_u32_e64 s23, 6, v78
	v_cndmask_b32_e64 v105, v93, v91, s15
	v_cndmask_b32_e64 v96, v94, v86, s19
	v_cmp_eq_u32_e64 s20, 1, v82
	ds_load_b128 v[92:95], v83 offset:1024
	v_cmp_eq_u32_e64 s22, 2, v82
	v_cmp_eq_u32_e64 s24, 3, v82
	v_cndmask_b32_e64 v106, v96, v67, s21
	v_cndmask_b32_e64 v65, v84, v65, s20
	;; [unrolled: 1-line block ×3, first 2 shown]
	ds_load_b128 v[96:99], v83 offset:1040
	v_cndmask_b32_e64 v71, v88, v71, s20
	v_cmp_eq_u32_e64 s25, 4, v82
	v_cndmask_b32_e64 v65, v65, v85, s22
	v_cmp_eq_u32_e64 s27, 5, v82
	v_cmp_eq_u32_e64 s28, 6, v82
	v_cndmask_b32_e64 v71, v71, v89, s22
	v_cndmask_b32_e64 v84, v84, v100, s21
	v_cndmask_b32_e64 v65, v65, v66, s24
	v_cndmask_b32_e64 v66, v106, v87, s23
	v_cmp_eq_u32_e64 s26, 7, v78
	v_cndmask_b32_e64 v71, v71, v72, s24
	v_cndmask_b32_e64 v84, v84, v91, s23
	;; [unrolled: 1-line block ×3, first 2 shown]
	s_waitcnt lgkmcnt(1)
	v_lshrrev_b32_e32 v72, 16, v92
	v_lshrrev_b32_e32 v88, 16, v93
	v_cndmask_b32_e64 v71, v71, v90, s25
	v_cndmask_b32_e64 v66, v66, v70, s26
	;; [unrolled: 1-line block ×6, first 2 shown]
	s_waitcnt lgkmcnt(0)
	v_lshrrev_b32_e32 v71, 16, v96
	v_cndmask_b32_e64 v65, v65, v87, s28
	v_cndmask_b32_e64 v87, v89, v93, s5
	v_lshrrev_b32_e32 v100, 16, v98
	v_cndmask_b32_e64 v67, v67, v91, s28
	v_cndmask_b32_e32 v86, v92, v72, vcc_lo
	v_cndmask_b32_e32 v90, v96, v71, vcc_lo
	v_cmp_eq_u32_e32 vcc_lo, 7, v82
	v_cndmask_b32_e64 v87, v87, v88, s7
	v_lshrrev_b32_e32 v91, 16, v94
	v_cndmask_b32_e64 v85, v105, v101, s17
	v_cndmask_b32_e64 v89, v90, v97, s3
	v_cndmask_b32_e32 v67, v67, v101, vcc_lo
	v_cndmask_b32_e64 v86, v86, v93, s3
	v_lshrrev_b32_e32 v90, 16, v97
	v_cndmask_b32_e32 v65, v65, v70, vcc_lo
	v_cndmask_b32_e64 v70, v87, v94, s10
	v_cndmask_b32_e64 v101, v96, v71, s4
	;; [unrolled: 1-line block ×4, first 2 shown]
	v_perm_b32 v87, v67, v65, 0x5040100
	v_cndmask_b32_e64 v65, v70, v91, s12
	v_lshrrev_b32_e32 v70, 16, v95
	v_cndmask_b32_e64 v86, v86, v94, s8
	v_cndmask_b32_e64 v89, v89, v98, s8
	v_perm_b32 v85, v85, v104, 0x5040100
	v_cndmask_b32_e64 v65, v65, v95, s15
	s_delay_alu instid0(VALU_DEP_4) | instskip(NEXT) | instid1(VALU_DEP_4)
	v_cndmask_b32_e64 v86, v86, v91, s9
	v_cndmask_b32_e64 v89, v89, v100, s9
	s_delay_alu instid0(VALU_DEP_3) | instskip(NEXT) | instid1(VALU_DEP_3)
	v_cndmask_b32_e64 v65, v65, v70, s17
	v_cndmask_b32_e64 v67, v86, v95, s11
	v_perm_b32 v86, v84, v66, 0x5040100
	v_lshrrev_b32_e32 v84, 16, v99
	s_delay_alu instid0(VALU_DEP_3)
	v_cndmask_b32_e64 v66, v67, v70, s13
	v_cndmask_b32_e64 v67, v89, v99, s11
	;; [unrolled: 1-line block ×33, first 2 shown]
	v_cndmask_b32_e32 v70, v72, v70, vcc_lo
	v_cndmask_b32_e32 v72, v88, v84, vcc_lo
	v_cndmask_b32_e64 v88, v90, v84, s26
	v_cndmask_b32_e64 v71, v71, v84, s17
	v_perm_b32 v84, v103, v102, 0x5040100
	s_lshl_b32 s7, s35, 1
	v_perm_b32 v91, v72, v70, 0x5040100
	v_perm_b32 v90, v88, v89, 0x5040100
	;; [unrolled: 1-line block ×4, first 2 shown]
	s_mov_b32 s2, exec_lo
	ds_store_b128 v77, v[84:87]
	ds_store_b128 v77, v[88:91] offset:1024
	v_cmpx_gt_u32_e32 2, v0
	s_cbranch_execz .LBB1463_78
; %bb.77:
	v_or_b32_e32 v65, s31, v0
	s_load_b128 s[8:11], s[0:1], 0x58
	s_delay_alu instid0(VALU_DEP_1) | instskip(NEXT) | instid1(VALU_DEP_1)
	v_mad_u64_u32 v[66:67], null, s7, s30, v[65:66]
	v_mad_u64_u32 v[70:71], null, v66, s34, s[14:15]
	s_delay_alu instid0(VALU_DEP_1) | instskip(NEXT) | instid1(VALU_DEP_1)
	v_ashrrev_i32_e32 v71, 31, v70
	v_lshlrev_b64 v[65:66], 2, v[70:71]
	s_waitcnt lgkmcnt(0)
	s_delay_alu instid0(VALU_DEP_1) | instskip(NEXT) | instid1(VALU_DEP_2)
	v_add_co_u32 v70, vcc_lo, s10, v65
	v_add_co_ci_u32_e32 v71, vcc_lo, s11, v66, vcc_lo
	v_add_co_u32 v65, vcc_lo, s8, v65
	v_add_co_ci_u32_e32 v66, vcc_lo, s9, v66, vcc_lo
	global_store_b32 v[70:71], v68, off
	global_store_b32 v[65:66], v69, off
.LBB1463_78:
	s_or_b32 exec_lo, exec_lo, s2
	s_waitcnt lgkmcnt(0)
	s_waitcnt_vscnt null, 0x0
	s_barrier
	buffer_gl0_inv
	ds_load_b128 v[84:87], v81
	ds_load_b128 v[88:91], v81 offset:16
	ds_load_b128 v[96:99], v81 offset:2064
	;; [unrolled: 1-line block ×3, first 2 shown]
	v_mov_b32_e32 v65, 0
	ds_load_b128 v[104:107], v81 offset:4112
	ds_load_b128 v[100:103], v81 offset:4096
	;; [unrolled: 1-line block ×4, first 2 shown]
	v_mov_b32_e32 v66, v65
	v_mov_b32_e32 v67, v65
	;; [unrolled: 1-line block ×7, first 2 shown]
	s_waitcnt lgkmcnt(6)
	s_delay_alu instid0(VALU_DEP_1)
	v_wmma_f32_16x16x16_bf16 v[65:72], v[57:64], v[84:91], v[65:72]
	ds_load_b128 v[61:64], v81 offset:8208
	ds_load_b128 v[57:60], v81 offset:8192
	s_waitcnt lgkmcnt(6)
	v_wmma_f32_16x16x16_bf16 v[65:72], v[41:48], v[92:99], v[65:72]
	ds_load_b128 v[45:48], v81 offset:10256
	ds_load_b128 v[41:44], v81 offset:10240
	s_waitcnt lgkmcnt(6)
	;; [unrolled: 4-line block ×4, first 2 shown]
	v_wmma_f32_16x16x16_bf16 v[65:72], v[1:8], v[57:64], v[65:72]
	s_waitcnt lgkmcnt(4)
	s_delay_alu instid0(VALU_DEP_1) | instskip(SKIP_1) | instid1(VALU_DEP_1)
	v_wmma_f32_16x16x16_bf16 v[65:72], v[9:16], v[41:48], v[65:72]
	s_waitcnt lgkmcnt(2)
	v_wmma_f32_16x16x16_bf16 v[65:72], v[17:24], v[33:40], v[65:72]
	s_waitcnt lgkmcnt(0)
	s_delay_alu instid0(VALU_DEP_1) | instskip(NEXT) | instid1(VALU_DEP_1)
	v_wmma_f32_16x16x16_bf16 v[65:72], v[49:56], v[25:32], v[65:72]
	v_and_b32_e32 v1, 0x7f800000, v65
	s_delay_alu instid0(VALU_DEP_1) | instskip(SKIP_1) | instid1(SALU_CYCLE_1)
	v_cmp_ne_u32_e32 vcc_lo, 0x7f800000, v1
                                        ; implicit-def: $vgpr1
	s_and_saveexec_b32 s2, vcc_lo
	s_xor_b32 s2, exec_lo, s2
; %bb.79:
	v_bfe_u32 v1, v65, 16, 1
	s_delay_alu instid0(VALU_DEP_1)
	v_add3_u32 v1, v65, v1, 0x7fff
; %bb.80:
	s_and_not1_saveexec_b32 s2, s2
; %bb.81:
	v_and_b32_e32 v1, 0xffff, v65
	v_or_b32_e32 v2, 0x10000, v65
	s_delay_alu instid0(VALU_DEP_2) | instskip(NEXT) | instid1(VALU_DEP_2)
	v_cmp_eq_u32_e32 vcc_lo, 0, v1
	v_cndmask_b32_e32 v1, v2, v65, vcc_lo
; %bb.82:
	s_or_b32 exec_lo, exec_lo, s2
	v_and_b32_e32 v2, 0x7f800000, v66
	s_delay_alu instid0(VALU_DEP_1) | instskip(SKIP_1) | instid1(SALU_CYCLE_1)
	v_cmp_ne_u32_e32 vcc_lo, 0x7f800000, v2
                                        ; implicit-def: $vgpr2
	s_and_saveexec_b32 s2, vcc_lo
	s_xor_b32 s2, exec_lo, s2
; %bb.83:
	v_bfe_u32 v2, v66, 16, 1
	s_delay_alu instid0(VALU_DEP_1)
	v_add3_u32 v2, v66, v2, 0x7fff
; %bb.84:
	s_and_not1_saveexec_b32 s2, s2
; %bb.85:
	v_and_b32_e32 v2, 0xffff, v66
	v_or_b32_e32 v3, 0x10000, v66
	s_delay_alu instid0(VALU_DEP_2) | instskip(NEXT) | instid1(VALU_DEP_2)
	v_cmp_eq_u32_e32 vcc_lo, 0, v2
	v_cndmask_b32_e32 v2, v3, v66, vcc_lo
; %bb.86:
	s_or_b32 exec_lo, exec_lo, s2
	v_and_b32_e32 v3, 0x7f800000, v67
	s_delay_alu instid0(VALU_DEP_1) | instskip(SKIP_1) | instid1(SALU_CYCLE_1)
	v_cmp_ne_u32_e32 vcc_lo, 0x7f800000, v3
                                        ; implicit-def: $vgpr3
	s_and_saveexec_b32 s2, vcc_lo
	s_xor_b32 s2, exec_lo, s2
; %bb.87:
	v_bfe_u32 v3, v67, 16, 1
	s_delay_alu instid0(VALU_DEP_1)
	v_add3_u32 v3, v67, v3, 0x7fff
; %bb.88:
	s_and_not1_saveexec_b32 s2, s2
; %bb.89:
	v_and_b32_e32 v3, 0xffff, v67
	v_or_b32_e32 v4, 0x10000, v67
	s_delay_alu instid0(VALU_DEP_2) | instskip(NEXT) | instid1(VALU_DEP_2)
	v_cmp_eq_u32_e32 vcc_lo, 0, v3
	v_cndmask_b32_e32 v3, v4, v67, vcc_lo
; %bb.90:
	s_or_b32 exec_lo, exec_lo, s2
	v_and_b32_e32 v4, 0x7f800000, v68
	s_delay_alu instid0(VALU_DEP_1) | instskip(SKIP_1) | instid1(SALU_CYCLE_1)
	v_cmp_ne_u32_e32 vcc_lo, 0x7f800000, v4
                                        ; implicit-def: $vgpr4
	s_and_saveexec_b32 s2, vcc_lo
	s_xor_b32 s2, exec_lo, s2
; %bb.91:
	v_bfe_u32 v4, v68, 16, 1
	s_delay_alu instid0(VALU_DEP_1)
	v_add3_u32 v4, v68, v4, 0x7fff
; %bb.92:
	s_and_not1_saveexec_b32 s2, s2
; %bb.93:
	v_and_b32_e32 v4, 0xffff, v68
	v_or_b32_e32 v5, 0x10000, v68
	s_delay_alu instid0(VALU_DEP_2) | instskip(NEXT) | instid1(VALU_DEP_2)
	v_cmp_eq_u32_e32 vcc_lo, 0, v4
	v_cndmask_b32_e32 v4, v5, v68, vcc_lo
; %bb.94:
	s_or_b32 exec_lo, exec_lo, s2
	v_and_b32_e32 v5, 0x7f800000, v69
	s_delay_alu instid0(VALU_DEP_1) | instskip(SKIP_1) | instid1(SALU_CYCLE_1)
	v_cmp_ne_u32_e32 vcc_lo, 0x7f800000, v5
                                        ; implicit-def: $vgpr5
	s_and_saveexec_b32 s2, vcc_lo
	s_xor_b32 s2, exec_lo, s2
; %bb.95:
	v_bfe_u32 v5, v69, 16, 1
	s_delay_alu instid0(VALU_DEP_1)
	v_add3_u32 v5, v69, v5, 0x7fff
; %bb.96:
	s_and_not1_saveexec_b32 s2, s2
; %bb.97:
	v_and_b32_e32 v5, 0xffff, v69
	v_or_b32_e32 v6, 0x10000, v69
	s_delay_alu instid0(VALU_DEP_2) | instskip(NEXT) | instid1(VALU_DEP_2)
	v_cmp_eq_u32_e32 vcc_lo, 0, v5
	v_cndmask_b32_e32 v5, v6, v69, vcc_lo
; %bb.98:
	s_or_b32 exec_lo, exec_lo, s2
	v_and_b32_e32 v6, 0x7f800000, v70
	s_delay_alu instid0(VALU_DEP_1) | instskip(SKIP_1) | instid1(SALU_CYCLE_1)
	v_cmp_ne_u32_e32 vcc_lo, 0x7f800000, v6
                                        ; implicit-def: $vgpr6
	s_and_saveexec_b32 s2, vcc_lo
	s_xor_b32 s2, exec_lo, s2
; %bb.99:
	v_bfe_u32 v6, v70, 16, 1
	s_delay_alu instid0(VALU_DEP_1)
	v_add3_u32 v6, v70, v6, 0x7fff
; %bb.100:
	s_and_not1_saveexec_b32 s2, s2
; %bb.101:
	v_and_b32_e32 v6, 0xffff, v70
	v_or_b32_e32 v7, 0x10000, v70
	s_delay_alu instid0(VALU_DEP_2) | instskip(NEXT) | instid1(VALU_DEP_2)
	v_cmp_eq_u32_e32 vcc_lo, 0, v6
	v_cndmask_b32_e32 v6, v7, v70, vcc_lo
; %bb.102:
	s_or_b32 exec_lo, exec_lo, s2
	v_and_b32_e32 v7, 0x7f800000, v71
	s_delay_alu instid0(VALU_DEP_1) | instskip(SKIP_1) | instid1(SALU_CYCLE_1)
	v_cmp_ne_u32_e32 vcc_lo, 0x7f800000, v7
                                        ; implicit-def: $vgpr7
	s_and_saveexec_b32 s2, vcc_lo
	s_xor_b32 s2, exec_lo, s2
; %bb.103:
	v_bfe_u32 v7, v71, 16, 1
	s_delay_alu instid0(VALU_DEP_1)
	v_add3_u32 v7, v71, v7, 0x7fff
; %bb.104:
	s_and_not1_saveexec_b32 s2, s2
; %bb.105:
	v_and_b32_e32 v7, 0xffff, v71
	v_or_b32_e32 v8, 0x10000, v71
	s_delay_alu instid0(VALU_DEP_2) | instskip(NEXT) | instid1(VALU_DEP_2)
	v_cmp_eq_u32_e32 vcc_lo, 0, v7
	v_cndmask_b32_e32 v7, v8, v71, vcc_lo
; %bb.106:
	s_or_b32 exec_lo, exec_lo, s2
	v_and_b32_e32 v8, 0x7f800000, v72
	s_delay_alu instid0(VALU_DEP_1) | instskip(SKIP_1) | instid1(SALU_CYCLE_1)
	v_cmp_ne_u32_e32 vcc_lo, 0x7f800000, v8
                                        ; implicit-def: $vgpr8
	s_and_saveexec_b32 s2, vcc_lo
	s_xor_b32 s2, exec_lo, s2
; %bb.107:
	v_bfe_u32 v8, v72, 16, 1
	s_delay_alu instid0(VALU_DEP_1)
	v_add3_u32 v8, v72, v8, 0x7fff
                                        ; implicit-def: $vgpr65_vgpr66_vgpr67_vgpr68_vgpr69_vgpr70_vgpr71_vgpr72
; %bb.108:
	s_and_not1_saveexec_b32 s2, s2
; %bb.109:
	v_and_b32_e32 v8, 0xffff, v72
	v_or_b32_e32 v9, 0x10000, v72
	s_delay_alu instid0(VALU_DEP_2) | instskip(NEXT) | instid1(VALU_DEP_2)
	v_cmp_eq_u32_e32 vcc_lo, 0, v8
	v_cndmask_b32_e32 v8, v9, v72, vcc_lo
; %bb.110:
	s_or_b32 exec_lo, exec_lo, s2
	s_delay_alu instid0(VALU_DEP_1)
	v_perm_b32 v7, v8, v7, 0x7060302
	v_perm_b32 v6, v6, v5, 0x7060302
	;; [unrolled: 1-line block ×4, first 2 shown]
	s_barrier
	buffer_gl0_inv
	v_cmp_eq_u32_e32 vcc_lo, 1, v79
	ds_store_b128 v77, v[4:7]
	s_waitcnt lgkmcnt(0)
	s_barrier
	buffer_gl0_inv
	ds_load_b128 v[1:4], v83
	ds_load_b128 v[5:8], v83 offset:16
	v_cmp_eq_u32_e64 s2, 1, v80
	v_cmp_eq_u32_e64 s3, 2, v79
	;; [unrolled: 1-line block ×5, first 2 shown]
	s_waitcnt lgkmcnt(1)
	v_lshrrev_b32_e32 v9, 16, v1
	s_waitcnt lgkmcnt(0)
	v_lshrrev_b32_e32 v13, 16, v5
	v_lshrrev_b32_e32 v10, 16, v2
	;; [unrolled: 1-line block ×4, first 2 shown]
	v_cndmask_b32_e64 v19, v1, v9, s2
	v_cndmask_b32_e32 v18, v5, v13, vcc_lo
	v_cndmask_b32_e64 v20, v5, v13, s2
	v_cndmask_b32_e32 v17, v1, v9, vcc_lo
	v_cmp_eq_u32_e32 vcc_lo, 2, v80
	v_lshrrev_b32_e32 v15, 16, v7
	v_cmp_eq_u32_e64 s2, 1, v78
	v_lshrrev_b32_e32 v12, 16, v4
	v_lshrrev_b32_e32 v16, 16, v8
	v_cndmask_b32_e32 v20, v20, v6, vcc_lo
	v_cndmask_b32_e64 v17, v17, v2, s3
	v_cndmask_b32_e32 v19, v19, v2, vcc_lo
	v_cndmask_b32_e64 v18, v18, v6, s3
	v_cmp_eq_u32_e32 vcc_lo, 4, v79
	v_cmp_eq_u32_e64 s3, 3, v80
	v_cndmask_b32_e64 v17, v17, v10, s4
	v_cndmask_b32_e64 v21, v1, v9, s2
	;; [unrolled: 1-line block ×5, first 2 shown]
	v_cndmask_b32_e32 v17, v17, v3, vcc_lo
	v_cndmask_b32_e64 v20, v20, v14, s3
	v_cndmask_b32_e32 v18, v18, v7, vcc_lo
	v_cmp_eq_u32_e32 vcc_lo, 4, v80
	v_cmp_eq_u32_e64 s3, 5, v80
	v_cmp_eq_u32_e64 s2, 2, v82
	v_cndmask_b32_e64 v21, v21, v2, s6
	v_cmp_eq_u32_e64 s4, 5, v79
	v_cndmask_b32_e32 v19, v19, v3, vcc_lo
	v_cndmask_b32_e32 v20, v20, v7, vcc_lo
	v_cmp_eq_u32_e32 vcc_lo, 6, v80
	s_delay_alu instid0(VALU_DEP_4) | instskip(NEXT) | instid1(VALU_DEP_4)
	v_cndmask_b32_e64 v17, v17, v11, s4
	v_cndmask_b32_e64 v19, v19, v11, s3
	s_delay_alu instid0(VALU_DEP_4) | instskip(SKIP_1) | instid1(VALU_DEP_3)
	v_cndmask_b32_e64 v20, v20, v15, s3
	v_cmp_eq_u32_e64 s3, 1, v82
	v_cndmask_b32_e32 v19, v19, v4, vcc_lo
	v_cndmask_b32_e64 v18, v18, v15, s4
	s_delay_alu instid0(VALU_DEP_3)
	v_cndmask_b32_e64 v1, v1, v9, s3
	v_cndmask_b32_e64 v5, v5, v13, s3
	v_cmp_eq_u32_e64 s3, 3, v78
	v_cndmask_b32_e64 v13, v22, v6, s6
	v_cmp_eq_u32_e64 s6, 3, v82
	v_cndmask_b32_e64 v1, v1, v2, s2
	v_cndmask_b32_e64 v2, v5, v6, s2
	;; [unrolled: 1-line block ×3, first 2 shown]
	v_cmp_eq_u32_e64 s2, 4, v78
	v_cndmask_b32_e64 v6, v13, v14, s3
	v_cndmask_b32_e64 v1, v1, v10, s6
	v_cmp_eq_u32_e64 s3, 4, v82
	v_cndmask_b32_e64 v2, v2, v14, s6
	v_cndmask_b32_e64 v5, v9, v3, s2
	;; [unrolled: 3-line block ×3, first 2 shown]
	v_cndmask_b32_e64 v2, v2, v7, s3
	v_cmp_eq_u32_e64 s2, 5, v82
	v_cmp_eq_u32_e64 s4, 6, v79
	v_cndmask_b32_e64 v5, v5, v11, s6
	v_cmp_eq_u32_e64 s3, 6, v78
	v_cndmask_b32_e64 v3, v6, v15, s6
	v_cndmask_b32_e64 v1, v1, v11, s2
	v_cmp_eq_u32_e64 s6, 6, v82
	v_cndmask_b32_e64 v2, v2, v15, s2
	v_cndmask_b32_e64 v17, v17, v4, s4
	v_cndmask_b32_e64 v18, v18, v8, s4
	v_cmp_eq_u32_e64 s4, 7, v79
	v_cndmask_b32_e64 v5, v5, v4, s3
	;; [unrolled: 4-line block ×3, first 2 shown]
	v_cmp_eq_u32_e64 s3, 7, v78
	v_cndmask_b32_e32 v4, v20, v8, vcc_lo
	v_cndmask_b32_e64 v17, v17, v12, s4
	v_cndmask_b32_e64 v19, v19, v12, s5
	;; [unrolled: 1-line block ×8, first 2 shown]
	s_delay_alu instid0(VALU_DEP_4) | instskip(NEXT) | instid1(VALU_DEP_4)
	v_perm_b32 v4, v2, v1, 0x5040100
	v_perm_b32 v3, v3, v5, 0x5040100
	s_delay_alu instid0(VALU_DEP_4) | instskip(NEXT) | instid1(VALU_DEP_4)
	v_perm_b32 v2, v6, v19, 0x5040100
	v_perm_b32 v1, v7, v17, 0x5040100
	ds_store_b128 v77, v[1:4]
	s_waitcnt lgkmcnt(0)
	s_barrier
	buffer_gl0_inv
	s_and_saveexec_b32 s2, s29
	s_cbranch_execz .LBB1463_2
; %bb.111:
	s_load_b64 s[0:1], s[0:1], 0x68
	v_lshlrev_b32_e32 v0, 10, v0
	s_lshl_b32 s2, s34, 6
	v_lshlrev_b32_e32 v1, 4, v76
	v_mul_lo_u32 v4, s2, v75
	s_mul_i32 s3, s2, s30
	v_and_b32_e32 v0, 0x3800, v0
	s_mul_i32 s2, s3, s7
	s_delay_alu instid0(SALU_CYCLE_1) | instskip(NEXT) | instid1(VALU_DEP_1)
	s_ashr_i32 s3, s2, 31
	v_or3_b32 v0, v0, v74, v1
	s_lshl_b64 s[2:3], s[2:3], 1
	s_delay_alu instid0(VALU_DEP_3)
	v_ashrrev_i32_e32 v5, 31, v4
	ds_load_b128 v[0:3], v0
	v_lshlrev_b64 v[4:5], 1, v[4:5]
	s_waitcnt lgkmcnt(0)
	s_add_u32 s2, s0, s2
	s_addc_u32 s3, s1, s3
	s_lshl_b32 s0, s14, 6
	s_delay_alu instid0(SALU_CYCLE_1) | instskip(NEXT) | instid1(SALU_CYCLE_1)
	s_ashr_i32 s1, s0, 31
	s_lshl_b64 s[0:1], s[0:1], 1
	s_delay_alu instid0(SALU_CYCLE_1) | instskip(SKIP_3) | instid1(VALU_DEP_2)
	s_add_u32 s0, s2, s0
	s_addc_u32 s1, s3, s1
	v_add_co_u32 v4, vcc_lo, s0, v4
	v_add_co_ci_u32_e32 v5, vcc_lo, s1, v5, vcc_lo
	v_add_co_u32 v4, vcc_lo, v4, v73
	s_delay_alu instid0(VALU_DEP_2)
	v_add_co_ci_u32_e32 v5, vcc_lo, 0, v5, vcc_lo
	global_store_b128 v[4:5], v[0:3], off
	s_nop 0
	s_sendmsg sendmsg(MSG_DEALLOC_VGPRS)
	s_endpgm
	.section	.rodata,"a",@progbits
	.p2align	6, 0x0
	.amdhsa_kernel _Z39paged_attention_ll4mi_QKV_mfma16_kernelI14__hip_bfloat16hLN4vllm18Fp8KVCacheDataTypeE1EhLi32ELi64ELi256ELb0ELi2EL8MFMAType1EEvPKT_PKT0_S9_ifPKiSB_SB_iPKfiiiPfSE_PS4_PT2_iSD_SD_
		.amdhsa_group_segment_fixed_size 17472
		.amdhsa_private_segment_fixed_size 0
		.amdhsa_kernarg_size 400
		.amdhsa_user_sgpr_count 13
		.amdhsa_user_sgpr_dispatch_ptr 0
		.amdhsa_user_sgpr_queue_ptr 0
		.amdhsa_user_sgpr_kernarg_segment_ptr 1
		.amdhsa_user_sgpr_dispatch_id 0
		.amdhsa_user_sgpr_private_segment_size 0
		.amdhsa_wavefront_size32 1
		.amdhsa_uses_dynamic_stack 0
		.amdhsa_enable_private_segment 0
		.amdhsa_system_sgpr_workgroup_id_x 1
		.amdhsa_system_sgpr_workgroup_id_y 1
		.amdhsa_system_sgpr_workgroup_id_z 1
		.amdhsa_system_sgpr_workgroup_info 0
		.amdhsa_system_vgpr_workitem_id 0
		.amdhsa_next_free_vgpr 125
		.amdhsa_next_free_sgpr 40
		.amdhsa_reserve_vcc 1
		.amdhsa_float_round_mode_32 0
		.amdhsa_float_round_mode_16_64 0
		.amdhsa_float_denorm_mode_32 3
		.amdhsa_float_denorm_mode_16_64 3
		.amdhsa_dx10_clamp 1
		.amdhsa_ieee_mode 1
		.amdhsa_fp16_overflow 0
		.amdhsa_workgroup_processor_mode 1
		.amdhsa_memory_ordered 1
		.amdhsa_forward_progress 0
		.amdhsa_shared_vgpr_count 0
		.amdhsa_exception_fp_ieee_invalid_op 0
		.amdhsa_exception_fp_denorm_src 0
		.amdhsa_exception_fp_ieee_div_zero 0
		.amdhsa_exception_fp_ieee_overflow 0
		.amdhsa_exception_fp_ieee_underflow 0
		.amdhsa_exception_fp_ieee_inexact 0
		.amdhsa_exception_int_div_zero 0
	.end_amdhsa_kernel
	.section	.text._Z39paged_attention_ll4mi_QKV_mfma16_kernelI14__hip_bfloat16hLN4vllm18Fp8KVCacheDataTypeE1EhLi32ELi64ELi256ELb0ELi2EL8MFMAType1EEvPKT_PKT0_S9_ifPKiSB_SB_iPKfiiiPfSE_PS4_PT2_iSD_SD_,"axG",@progbits,_Z39paged_attention_ll4mi_QKV_mfma16_kernelI14__hip_bfloat16hLN4vllm18Fp8KVCacheDataTypeE1EhLi32ELi64ELi256ELb0ELi2EL8MFMAType1EEvPKT_PKT0_S9_ifPKiSB_SB_iPKfiiiPfSE_PS4_PT2_iSD_SD_,comdat
.Lfunc_end1463:
	.size	_Z39paged_attention_ll4mi_QKV_mfma16_kernelI14__hip_bfloat16hLN4vllm18Fp8KVCacheDataTypeE1EhLi32ELi64ELi256ELb0ELi2EL8MFMAType1EEvPKT_PKT0_S9_ifPKiSB_SB_iPKfiiiPfSE_PS4_PT2_iSD_SD_, .Lfunc_end1463-_Z39paged_attention_ll4mi_QKV_mfma16_kernelI14__hip_bfloat16hLN4vllm18Fp8KVCacheDataTypeE1EhLi32ELi64ELi256ELb0ELi2EL8MFMAType1EEvPKT_PKT0_S9_ifPKiSB_SB_iPKfiiiPfSE_PS4_PT2_iSD_SD_
                                        ; -- End function
	.section	.AMDGPU.csdata,"",@progbits
; Kernel info:
; codeLenInByte = 8520
; NumSgprs: 42
; NumVgprs: 125
; ScratchSize: 0
; MemoryBound: 0
; FloatMode: 240
; IeeeMode: 1
; LDSByteSize: 17472 bytes/workgroup (compile time only)
; SGPRBlocks: 5
; VGPRBlocks: 15
; NumSGPRsForWavesPerEU: 42
; NumVGPRsForWavesPerEU: 125
; Occupancy: 10
; WaveLimiterHint : 1
; COMPUTE_PGM_RSRC2:SCRATCH_EN: 0
; COMPUTE_PGM_RSRC2:USER_SGPR: 13
; COMPUTE_PGM_RSRC2:TRAP_HANDLER: 0
; COMPUTE_PGM_RSRC2:TGID_X_EN: 1
; COMPUTE_PGM_RSRC2:TGID_Y_EN: 1
; COMPUTE_PGM_RSRC2:TGID_Z_EN: 1
; COMPUTE_PGM_RSRC2:TIDIG_COMP_CNT: 0
	.section	.text._Z39paged_attention_ll4mi_QKV_mfma16_kernelI14__hip_bfloat16hLN4vllm18Fp8KVCacheDataTypeE1EhLi32ELi64ELi256ELb0ELi3EL8MFMAType1EEvPKT_PKT0_S9_ifPKiSB_SB_iPKfiiiPfSE_PS4_PT2_iSD_SD_,"axG",@progbits,_Z39paged_attention_ll4mi_QKV_mfma16_kernelI14__hip_bfloat16hLN4vllm18Fp8KVCacheDataTypeE1EhLi32ELi64ELi256ELb0ELi3EL8MFMAType1EEvPKT_PKT0_S9_ifPKiSB_SB_iPKfiiiPfSE_PS4_PT2_iSD_SD_,comdat
	.protected	_Z39paged_attention_ll4mi_QKV_mfma16_kernelI14__hip_bfloat16hLN4vllm18Fp8KVCacheDataTypeE1EhLi32ELi64ELi256ELb0ELi3EL8MFMAType1EEvPKT_PKT0_S9_ifPKiSB_SB_iPKfiiiPfSE_PS4_PT2_iSD_SD_ ; -- Begin function _Z39paged_attention_ll4mi_QKV_mfma16_kernelI14__hip_bfloat16hLN4vllm18Fp8KVCacheDataTypeE1EhLi32ELi64ELi256ELb0ELi3EL8MFMAType1EEvPKT_PKT0_S9_ifPKiSB_SB_iPKfiiiPfSE_PS4_PT2_iSD_SD_
	.globl	_Z39paged_attention_ll4mi_QKV_mfma16_kernelI14__hip_bfloat16hLN4vllm18Fp8KVCacheDataTypeE1EhLi32ELi64ELi256ELb0ELi3EL8MFMAType1EEvPKT_PKT0_S9_ifPKiSB_SB_iPKfiiiPfSE_PS4_PT2_iSD_SD_
	.p2align	8
	.type	_Z39paged_attention_ll4mi_QKV_mfma16_kernelI14__hip_bfloat16hLN4vllm18Fp8KVCacheDataTypeE1EhLi32ELi64ELi256ELb0ELi3EL8MFMAType1EEvPKT_PKT0_S9_ifPKiSB_SB_iPKfiiiPfSE_PS4_PT2_iSD_SD_,@function
_Z39paged_attention_ll4mi_QKV_mfma16_kernelI14__hip_bfloat16hLN4vllm18Fp8KVCacheDataTypeE1EhLi32ELi64ELi256ELb0ELi3EL8MFMAType1EEvPKT_PKT0_S9_ifPKiSB_SB_iPKfiiiPfSE_PS4_PT2_iSD_SD_: ; @_Z39paged_attention_ll4mi_QKV_mfma16_kernelI14__hip_bfloat16hLN4vllm18Fp8KVCacheDataTypeE1EhLi32ELi64ELi256ELb0ELi3EL8MFMAType1EEvPKT_PKT0_S9_ifPKiSB_SB_iPKfiiiPfSE_PS4_PT2_iSD_SD_
; %bb.0:
	s_load_b64 s[2:3], s[0:1], 0x30
	s_mov_b32 s34, s13
	s_waitcnt lgkmcnt(0)
	s_cmp_lg_u64 s[2:3], 0
	s_cselect_b32 s8, -1, 0
	s_ashr_i32 s35, s13, 31
	s_cmp_eq_u64 s[2:3], 0
	s_cbranch_scc1 .LBB1464_3
; %bb.1:
	s_lshl_b64 s[4:5], s[34:35], 2
	s_delay_alu instid0(SALU_CYCLE_1) | instskip(SKIP_4) | instid1(SALU_CYCLE_1)
	s_add_u32 s4, s2, s4
	s_addc_u32 s5, s3, s5
	s_load_b64 s[4:5], s[4:5], 0x0
	s_waitcnt lgkmcnt(0)
	s_sub_i32 s4, s5, s4
	s_cmp_eq_u32 s4, 1
	s_cselect_b32 s4, -1, 0
	s_delay_alu instid0(SALU_CYCLE_1)
	s_and_not1_b32 vcc_lo, exec_lo, s4
	s_cbranch_vccz .LBB1464_4
.LBB1464_2:
	s_nop 0
	s_sendmsg sendmsg(MSG_DEALLOC_VGPRS)
	s_endpgm
.LBB1464_3:
.LBB1464_4:
	s_load_b64 s[4:5], s[0:1], 0x28
	s_lshl_b64 s[6:7], s[34:35], 2
	s_waitcnt lgkmcnt(0)
	s_add_u32 s4, s4, s6
	s_addc_u32 s5, s5, s7
	s_lshl_b32 s12, s14, 8
	s_load_b32 s24, s[4:5], 0x0
	s_waitcnt lgkmcnt(0)
	s_cmp_ge_i32 s12, s24
	s_cbranch_scc1 .LBB1464_2
; %bb.5:
	s_clause 0x1
	s_load_b128 s[20:23], s[0:1], 0x8
	s_load_b64 s[4:5], s[0:1], 0x20
	s_and_not1_b32 vcc_lo, exec_lo, s8
	s_cbranch_vccnz .LBB1464_7
; %bb.6:
	s_add_u32 s2, s2, s6
	s_addc_u32 s3, s3, s7
	s_load_b32 s3, s[2:3], 0x0
	s_branch .LBB1464_8
.LBB1464_7:
	s_mov_b32 s3, s34
.LBB1464_8:
	s_load_b128 s[16:19], s[0:1], 0x48
	v_lshrrev_b32_e32 v66, 5, v0
	v_bfe_u32 v74, v0, 4, 1
	v_and_b32_e32 v65, 15, v0
	v_and_b32_e32 v67, 31, v0
	;; [unrolled: 1-line block ×3, first 2 shown]
	s_mul_i32 s31, s15, 3
	v_lshl_or_b32 v1, v66, 1, v74
	v_lshlrev_b32_e32 v2, 3, v65
	v_cmp_gt_u32_e64 s2, 8, v65
	s_delay_alu instid0(VALU_DEP_3) | instskip(NEXT) | instid1(VALU_DEP_3)
	v_cmp_gt_u32_e32 vcc_lo, 3, v1
	v_lshlrev_b32_e32 v73, 1, v2
	s_delay_alu instid0(VALU_DEP_3) | instskip(NEXT) | instid1(SALU_CYCLE_1)
	s_and_b32 s7, s2, vcc_lo
	s_and_saveexec_b32 s6, s7
	s_cbranch_execz .LBB1464_10
; %bb.9:
	s_load_b64 s[8:9], s[0:1], 0x0
	v_add_lshl_u32 v2, v1, s31, 6
	s_waitcnt lgkmcnt(0)
	s_mul_hi_i32 s11, s3, s16
	s_mul_i32 s10, s3, s16
	v_lshlrev_b32_e32 v6, 10, v65
	s_lshl_b64 s[10:11], s[10:11], 1
	v_ashrrev_i32_e32 v3, 31, v2
	v_lshlrev_b32_e32 v1, 6, v1
	v_lshlrev_b32_e32 v7, 10, v75
	v_and_b32_e32 v6, 0x3800, v6
	s_delay_alu instid0(VALU_DEP_4) | instskip(NEXT) | instid1(VALU_DEP_2)
	v_lshlrev_b64 v[2:3], 1, v[2:3]
	v_or3_b32 v1, v6, v7, v1
	s_add_u32 s3, s8, s10
	s_addc_u32 s7, s9, s11
	s_delay_alu instid0(VALU_DEP_2) | instskip(NEXT) | instid1(VALU_DEP_3)
	v_add_co_u32 v2, vcc_lo, s3, v2
	v_add_co_ci_u32_e32 v3, vcc_lo, s7, v3, vcc_lo
	s_delay_alu instid0(VALU_DEP_2) | instskip(NEXT) | instid1(VALU_DEP_2)
	v_add_co_u32 v2, vcc_lo, v2, v73
	v_add_co_ci_u32_e32 v3, vcc_lo, 0, v3, vcc_lo
	global_load_b128 v[2:5], v[2:3], off
	s_waitcnt vmcnt(0)
	ds_store_b128 v1, v[2:5]
.LBB1464_10:
	s_or_b32 exec_lo, exec_lo, s6
	v_and_b32_e32 v1, 0xef, v0
	s_waitcnt lgkmcnt(0)
	s_add_i32 s3, s24, 31
	s_clause 0x1
	s_load_b32 s6, s[0:1], 0x38
	s_load_b32 s19, s[0:1], 0x1c
	s_ashr_i32 s7, s3, 31
	v_add_nc_u32_e32 v1, s12, v1
	s_lshr_b32 s7, s7, 27
	s_waitcnt lgkmcnt(0)
	s_add_i32 s3, s3, s7
	s_barrier
	v_ashrrev_i32_e32 v2, 31, v1
	v_or_b32_e32 v3, 16, v1
	s_ashr_i32 s3, s3, 5
	v_cmp_gt_i32_e32 vcc_lo, s24, v1
	s_add_i32 s3, s3, -1
	v_lshrrev_b32_e32 v2, 27, v2
	buffer_gl0_inv
	s_mul_i32 s27, s15, s18
	v_add_nc_u32_e32 v4, v1, v2
	s_mul_i32 s6, s34, s6
	s_delay_alu instid0(SALU_CYCLE_1) | instskip(NEXT) | instid1(VALU_DEP_1)
	s_ashr_i32 s7, s6, 31
	v_ashrrev_i32_e32 v4, 5, v4
	v_add_nc_u32_e32 v2, v3, v2
	s_lshl_b64 s[6:7], s[6:7], 2
	s_delay_alu instid0(SALU_CYCLE_1) | instskip(NEXT) | instid1(VALU_DEP_2)
	s_add_u32 s26, s4, s6
	v_cndmask_b32_e32 v1, s3, v4, vcc_lo
	s_delay_alu instid0(VALU_DEP_2)
	v_ashrrev_i32_e32 v2, 5, v2
	v_cmp_gt_i32_e32 vcc_lo, s24, v3
	s_addc_u32 s25, s5, s7
	s_ashr_i32 s28, s27, 31
	s_add_u32 s4, s20, s27
	s_addc_u32 s5, s21, s28
	v_cndmask_b32_e32 v3, s3, v2, vcc_lo
	v_ashrrev_i32_e32 v2, 31, v1
	s_lshl_b32 s6, s14, 3
	s_delay_alu instid0(SALU_CYCLE_1) | instskip(NEXT) | instid1(VALU_DEP_2)
	s_ashr_i32 s7, s6, 31
	v_ashrrev_i32_e32 v4, 31, v3
	s_delay_alu instid0(VALU_DEP_2) | instskip(SKIP_1) | instid1(SALU_CYCLE_1)
	v_lshlrev_b64 v[1:2], 2, v[1:2]
	s_lshl_b64 s[6:7], s[6:7], 2
	s_add_u32 s6, s26, s6
	s_delay_alu instid0(VALU_DEP_2) | instskip(SKIP_1) | instid1(VALU_DEP_2)
	v_lshlrev_b64 v[3:4], 2, v[3:4]
	s_addc_u32 s7, s25, s7
	v_add_co_u32 v1, vcc_lo, s26, v1
	v_add_co_ci_u32_e32 v2, vcc_lo, s25, v2, vcc_lo
	s_delay_alu instid0(VALU_DEP_3) | instskip(NEXT) | instid1(VALU_DEP_4)
	v_add_co_u32 v3, vcc_lo, s26, v3
	v_add_co_ci_u32_e32 v4, vcc_lo, s25, v4, vcc_lo
	s_clause 0x1
	global_load_b32 v5, v[1:2], off
	global_load_b32 v6, v[3:4], off
	s_or_b32 s8, s12, 32
	s_delay_alu instid0(SALU_CYCLE_1) | instskip(SKIP_2) | instid1(SALU_CYCLE_1)
	s_ashr_i32 s9, s8, 5
	s_cmp_lt_i32 s8, s24
	s_cselect_b32 s8, s9, s3
	s_ashr_i32 s9, s8, 31
	s_delay_alu instid0(SALU_CYCLE_1) | instskip(NEXT) | instid1(SALU_CYCLE_1)
	s_lshl_b64 s[8:9], s[8:9], 2
	s_add_u32 s8, s26, s8
	s_addc_u32 s9, s25, s9
	s_or_b32 s10, s12, 64
	s_delay_alu instid0(SALU_CYCLE_1) | instskip(SKIP_2) | instid1(SALU_CYCLE_1)
	s_ashr_i32 s11, s10, 5
	s_cmp_lt_i32 s10, s24
	s_cselect_b32 s10, s11, s3
	s_ashr_i32 s11, s10, 31
	s_delay_alu instid0(SALU_CYCLE_1) | instskip(NEXT) | instid1(SALU_CYCLE_1)
	s_lshl_b64 s[10:11], s[10:11], 2
	s_add_u32 s10, s26, s10
	s_addc_u32 s11, s25, s11
	;; [unrolled: 10-line block ×5, first 2 shown]
	s_clause 0x5
	s_load_b32 s21, s[6:7], 0x0
	s_load_b32 s13, s[8:9], 0x0
	;; [unrolled: 1-line block ×6, first 2 shown]
	s_or_b32 s9, s12, 0xc0
	s_delay_alu instid0(SALU_CYCLE_1) | instskip(SKIP_2) | instid1(SALU_CYCLE_1)
	s_ashr_i32 s10, s9, 5
	s_cmp_lt_i32 s9, s24
	s_cselect_b32 s36, s10, s3
	s_ashr_i32 s37, s36, 31
	s_delay_alu instid0(SALU_CYCLE_1) | instskip(NEXT) | instid1(SALU_CYCLE_1)
	s_lshl_b64 s[36:37], s[36:37], 2
	s_add_u32 s36, s26, s36
	s_addc_u32 s37, s25, s37
	s_or_b32 s29, s12, 0xe0
	s_delay_alu instid0(SALU_CYCLE_1)
	s_ashr_i32 s30, s29, 5
	s_cmp_lt_i32 s29, s24
	s_waitcnt vmcnt(1)
	v_mad_i64_i32 v[1:2], null, v5, s17, s[4:5]
	s_waitcnt vmcnt(0)
	v_mad_i64_i32 v[3:4], null, v6, s17, s[4:5]
	s_mov_b32 s4, 0
	s_delay_alu instid0(SALU_CYCLE_1)
	s_mov_b32 s5, s4
	s_mov_b32 s6, s4
	;; [unrolled: 1-line block ×7, first 2 shown]
	v_lshlrev_b32_e32 v5, 4, v65
	v_dual_mov_b32 v107, s11 :: v_dual_mov_b32 v102, s6
	v_mov_b32_e32 v106, s10
	v_mov_b32_e32 v104, s8
	s_delay_alu instid0(VALU_DEP_4)
	v_add_co_u32 v1, vcc_lo, v1, v5
	v_add_co_ci_u32_e32 v2, vcc_lo, 0, v2, vcc_lo
	v_add_co_u32 v3, vcc_lo, v3, v5
	v_add_co_ci_u32_e32 v4, vcc_lo, 0, v4, vcc_lo
	s_clause 0x7
	global_load_b128 v[49:52], v[1:2], off
	global_load_b128 v[53:56], v[1:2], off offset:512
	global_load_b128 v[76:79], v[3:4], off offset:256
	;; [unrolled: 1-line block ×7, first 2 shown]
	v_mul_lo_u16 v1, 0x56, v65
	v_mov_b32_e32 v103, s7
	v_dual_mov_b32 v101, s5 :: v_dual_lshlrev_b32 v2, 5, v65
	v_mov_b32_e32 v100, s4
	s_delay_alu instid0(VALU_DEP_4) | instskip(NEXT) | instid1(VALU_DEP_3)
	v_lshrrev_b16 v1, 8, v1
	v_lshl_or_b32 v2, v66, 9, v2
	s_delay_alu instid0(VALU_DEP_2) | instskip(NEXT) | instid1(VALU_DEP_1)
	v_mul_lo_u16 v1, v1, 3
	v_sub_nc_u16 v1, v65, v1
	s_delay_alu instid0(VALU_DEP_1)
	v_and_b32_e32 v1, 0xff, v1
	v_mov_b32_e32 v105, s9
	s_cselect_b32 s4, s30, s3
	s_load_b32 s3, s[36:37], 0x0
	s_ashr_i32 s5, s4, 31
	v_lshlrev_b32_e32 v70, 6, v1
	s_lshl_b64 s[4:5], s[4:5], 2
	ds_load_b128 v[108:111], v70
	ds_load_b128 v[112:115], v70 offset:1024
	s_add_u32 s4, s26, s4
	s_addc_u32 s5, s25, s5
	s_add_u32 s6, s22, s27
	s_load_b32 s4, s[4:5], 0x0
	s_addc_u32 s7, s23, s28
	v_add_co_u32 v9, s6, s6, v2
	s_delay_alu instid0(VALU_DEP_1) | instskip(SKIP_1) | instid1(VALU_DEP_1)
	v_add_co_ci_u32_e64 v10, null, s7, 0, s6
	s_waitcnt lgkmcnt(0)
	v_mad_i64_i32 v[1:2], null, s21, s17, v[9:10]
	v_mad_i64_i32 v[3:4], null, s13, s17, v[9:10]
	v_mad_i64_i32 v[5:6], null, s15, s17, v[9:10]
	v_mad_i64_i32 v[7:8], null, s16, s17, v[9:10]
	v_mad_i64_i32 v[13:14], null, s20, s17, v[9:10]
	v_mad_i64_i32 v[11:12], null, s18, s17, v[9:10]
	v_mad_i64_i32 v[21:22], null, s3, s17, v[9:10]
	s_clause 0x9
	global_load_b128 v[57:60], v[1:2], off
	global_load_b128 v[61:64], v[1:2], off offset:16
	global_load_b128 v[41:44], v[3:4], off
	global_load_b128 v[45:48], v[3:4], off offset:16
	global_load_b128 v[33:36], v[5:6], off
	global_load_b128 v[37:40], v[5:6], off offset:16
	global_load_b128 v[25:28], v[7:8], off
	global_load_b128 v[29:32], v[7:8], off offset:16
	global_load_b128 v[1:4], v[11:12], off
	global_load_b128 v[5:8], v[11:12], off offset:16
	v_mad_i64_i32 v[68:69], null, s4, s17, v[9:10]
	s_clause 0x3
	global_load_b128 v[9:12], v[13:14], off
	global_load_b128 v[13:16], v[13:14], off offset:16
	global_load_b128 v[17:20], v[21:22], off
	global_load_b128 v[21:24], v[21:22], off offset:16
	s_waitcnt vmcnt(20)
	v_wmma_f32_16x16x16_bf16 v[116:123], v[49:56], v[108:115], v[100:107]
	s_clause 0x1
	global_load_b128 v[49:52], v[68:69], off
	global_load_b128 v[53:56], v[68:69], off offset:16
	v_and_b32_e32 v68, 0xe0, v0
	v_mbcnt_lo_u32_b32 v69, -1, 0
	s_delay_alu instid0(VALU_DEP_2)
	v_add_nc_u32_e32 v68, s12, v68
	s_waitcnt vmcnt(20)
	v_wmma_f32_16x16x16_bf16 v[100:107], v[76:83], v[108:115], v[100:107]
	ds_load_b128 v[76:79], v70 offset:2048
	ds_load_b128 v[80:83], v70 offset:3072
	v_xor_b32_e32 v70, 16, v69
	s_waitcnt vmcnt(0) lgkmcnt(0)
	v_or_b32_e32 v68, v68, v74
	s_barrier
	buffer_gl0_inv
	v_cmp_gt_i32_e32 vcc_lo, 32, v70
	v_or_b32_e32 v71, 4, v68
	v_or_b32_e32 v72, 6, v68
	v_cmp_gt_i32_e64 s3, s24, v68
	v_or_b32_e32 v108, 8, v68
	v_or_b32_e32 v109, 10, v68
	v_cmp_gt_i32_e64 s4, s24, v71
	v_cmp_gt_i32_e64 s5, s24, v72
	s_delay_alu instid0(VALU_DEP_4) | instskip(NEXT) | instid1(VALU_DEP_4)
	v_cmp_gt_i32_e64 s6, s24, v108
	v_cmp_gt_i32_e64 s7, s24, v109
	v_wmma_f32_16x16x16_bf16 v[116:123], v[84:91], v[76:83], v[116:123]
	v_cndmask_b32_e32 v69, v69, v70, vcc_lo
	v_or_b32_e32 v70, 2, v68
	v_wmma_f32_16x16x16_bf16 v[100:107], v[92:99], v[76:83], v[100:107]
	v_or_b32_e32 v84, 12, v68
	v_dual_mul_f32 v78, s19, v123 :: v_dual_mul_f32 v83, s19, v118
	v_dual_mul_f32 v92, s19, v117 :: v_dual_mul_f32 v93, s19, v116
	s_delay_alu instid0(VALU_DEP_4) | instskip(SKIP_2) | instid1(VALU_DEP_4)
	v_mul_f32_e32 v94, s19, v107
	v_cmp_gt_i32_e32 vcc_lo, s24, v70
	v_dual_mul_f32 v81, s19, v120 :: v_dual_mul_f32 v82, s19, v119
	v_cndmask_b32_e64 v93, 0xff7fffff, v93, s3
	v_or_b32_e32 v85, 14, v68
	v_cndmask_b32_e32 v92, 0xff7fffff, v92, vcc_lo
	v_dual_mul_f32 v79, s19, v122 :: v_dual_mul_f32 v80, s19, v121
	v_cndmask_b32_e64 v71, 0xff7fffff, v83, s4
	v_cndmask_b32_e64 v72, 0xff7fffff, v82, s5
	s_delay_alu instid0(VALU_DEP_4)
	v_max3_f32 v82, v93, 0xff7fffff, v92
	v_or_b32_e32 v86, 16, v68
	v_or_b32_e32 v87, 18, v68
	v_cndmask_b32_e64 v81, 0xff7fffff, v81, s6
	v_cndmask_b32_e64 v80, 0xff7fffff, v80, s7
	v_max3_f32 v71, v82, v71, v72
	v_cmp_gt_i32_e64 s8, s24, v84
	v_cmp_gt_i32_e64 s9, s24, v85
	v_or_b32_e32 v88, 20, v68
	v_or_b32_e32 v89, 22, v68
	;; [unrolled: 1-line block ×6, first 2 shown]
	v_dual_mul_f32 v99, s19, v102 :: v_dual_mul_f32 v70, s19, v101
	v_mul_f32_e32 v68, s19, v100
	v_cndmask_b32_e64 v72, 0xff7fffff, v79, s8
	v_cndmask_b32_e64 v78, 0xff7fffff, v78, s9
	v_max3_f32 v71, v71, v81, v80
	v_cmp_gt_i32_e64 s10, s24, v86
	v_cmp_gt_i32_e64 s11, s24, v87
	v_dual_mul_f32 v97, s19, v104 :: v_dual_mul_f32 v98, s19, v103
	s_delay_alu instid0(VALU_DEP_4) | instskip(SKIP_1) | instid1(VALU_DEP_4)
	v_max3_f32 v71, v71, v72, v78
	v_cmp_gt_i32_e64 s12, s24, v88
	v_cndmask_b32_e64 v70, 0xff7fffff, v70, s11
	v_cmp_gt_i32_e64 s13, s24, v89
	v_lshlrev_b32_e32 v89, 2, v69
	v_cndmask_b32_e64 v68, 0xff7fffff, v68, s10
	v_dual_mul_f32 v95, s19, v106 :: v_dual_mul_f32 v96, s19, v105
	v_cndmask_b32_e64 v72, 0xff7fffff, v99, s12
	v_cndmask_b32_e64 v78, 0xff7fffff, v98, s13
	s_delay_alu instid0(VALU_DEP_4)
	v_max3_f32 v68, v71, v68, v70
	v_cmp_gt_i32_e64 s15, s24, v90
	v_cmp_gt_i32_e64 s16, s24, v91
	;; [unrolled: 1-line block ×4, first 2 shown]
	v_max3_f32 v68, v68, v72, v78
	v_cndmask_b32_e64 v70, 0xff7fffff, v97, s15
	v_cndmask_b32_e64 v71, 0xff7fffff, v96, s16
	v_cndmask_b32_e64 v72, 0xff7fffff, v95, s17
	v_cndmask_b32_e64 v76, 0xff7fffff, v94, s18
	s_delay_alu instid0(VALU_DEP_3) | instskip(NEXT) | instid1(VALU_DEP_1)
	v_max3_f32 v68, v68, v70, v71
	v_max3_f32 v68, v68, v72, v76
	ds_bpermute_b32 v69, v89, v68
	s_waitcnt lgkmcnt(0)
	v_max_f32_e32 v69, v69, v69
	s_delay_alu instid0(VALU_DEP_1) | instskip(NEXT) | instid1(VALU_DEP_1)
	v_max_f32_e32 v68, v68, v69
	v_fma_f32 v71, s19, v118, -v68
	s_delay_alu instid0(VALU_DEP_1)
	v_mul_f32_e32 v71, 0x3fb8aa3b, v71
	v_fma_f32 v69, s19, v116, -v68
	v_fma_f32 v70, s19, v117, -v68
	;; [unrolled: 1-line block ×4, first 2 shown]
	v_exp_f32_e32 v71, v71
	s_delay_alu instid0(VALU_DEP_3) | instskip(SKIP_2) | instid1(VALU_DEP_3)
	v_dual_mul_f32 v69, 0x3fb8aa3b, v69 :: v_dual_mul_f32 v70, 0x3fb8aa3b, v70
	v_fma_f32 v78, s19, v122, -v68
	v_fma_f32 v81, s19, v105, -v68
	v_exp_f32_e32 v69, v69
	s_delay_alu instid0(VALU_DEP_3) | instskip(SKIP_1) | instid1(VALU_DEP_2)
	v_exp_f32_e32 v70, v70
	v_mul_f32_e32 v77, 0x3fb8aa3b, v76
	v_mul_f32_e32 v81, 0x3fb8aa3b, v81
	s_delay_alu instid0(TRANS32_DEP_3) | instskip(SKIP_1) | instid1(VALU_DEP_3)
	v_cndmask_b32_e64 v83, 0, v71, s4
	v_fma_f32 v71, s19, v123, -v68
	v_exp_f32_e32 v81, v81
	s_delay_alu instid0(TRANS32_DEP_3) | instskip(NEXT) | instid1(TRANS32_DEP_2)
	v_cndmask_b32_e64 v80, 0, v69, s3
	v_cndmask_b32_e32 v76, 0, v70, vcc_lo
	v_fma_f32 v69, s19, v121, -v68
	v_mul_f32_e32 v72, 0x3fb8aa3b, v72
	v_exp_f32_e32 v77, v77
	v_dual_add_f32 v70, 0, v80 :: v_dual_mul_f32 v71, 0x3fb8aa3b, v71
	s_delay_alu instid0(VALU_DEP_3) | instskip(NEXT) | instid1(VALU_DEP_3)
	v_mul_f32_e32 v69, 0x3fb8aa3b, v69
	v_exp_f32_e32 v72, v72
	v_cmp_gt_u32_e64 s3, 16, v67
	s_delay_alu instid0(VALU_DEP_3) | instskip(NEXT) | instid1(VALU_DEP_2)
	v_exp_f32_e32 v71, v71
	v_exp_f32_e32 v69, v69
	v_cndmask_b32_e64 v86, 0, v77, s6
	v_fma_f32 v77, s19, v101, -v68
	v_add_f32_e32 v70, v70, v76
	s_delay_alu instid0(TRANS32_DEP_3) | instskip(SKIP_1) | instid1(VALU_DEP_3)
	v_cndmask_b32_e64 v85, 0, v72, s5
	v_fma_f32 v72, s19, v100, -v68
	v_dual_mul_f32 v77, 0x3fb8aa3b, v77 :: v_dual_add_f32 v70, v70, v83
	s_delay_alu instid0(TRANS32_DEP_2) | instskip(SKIP_1) | instid1(TRANS32_DEP_1)
	v_cndmask_b32_e64 v88, 0, v71, s9
	v_fma_f32 v71, s19, v104, -v68
	v_cndmask_b32_e64 v87, 0, v69, s7
	s_delay_alu instid0(VALU_DEP_4) | instskip(NEXT) | instid1(VALU_DEP_2)
	v_exp_f32_e32 v77, v77
	v_dual_add_f32 v70, v70, v85 :: v_dual_mul_f32 v71, 0x3fb8aa3b, v71
	s_delay_alu instid0(VALU_DEP_1) | instskip(SKIP_2) | instid1(VALU_DEP_3)
	v_dual_mul_f32 v72, 0x3fb8aa3b, v72 :: v_dual_add_f32 v69, v70, v86
	v_mul_f32_e32 v78, 0x3fb8aa3b, v78
	v_fma_f32 v70, s19, v102, -v68
	v_exp_f32_e32 v72, v72
	v_exp_f32_e32 v82, v71
	v_add_f32_e32 v69, v69, v87
	v_exp_f32_e32 v78, v78
	v_mul_f32_e32 v70, 0x3fb8aa3b, v70
	s_delay_alu instid0(VALU_DEP_1) | instskip(SKIP_4) | instid1(VALU_DEP_2)
	v_exp_f32_e32 v79, v70
	v_cndmask_b32_e64 v70, 0, v72, s10
	s_waitcnt_depctr 0xfff
	v_cndmask_b32_e64 v84, 0, v78, s8
	v_fma_f32 v78, s19, v103, -v68
	v_add_f32_e32 v69, v69, v84
	v_cndmask_b32_e64 v71, 0, v79, s12
	s_delay_alu instid0(VALU_DEP_2) | instskip(SKIP_2) | instid1(VALU_DEP_1)
	v_add_f32_e32 v72, v69, v88
	v_cndmask_b32_e64 v69, 0, v77, s11
	v_fma_f32 v77, s19, v106, -v68
	v_dual_mul_f32 v77, 0x3fb8aa3b, v77 :: v_dual_add_f32 v72, v72, v70
	v_mul_f32_e32 v78, 0x3fb8aa3b, v78
	s_delay_alu instid0(VALU_DEP_2) | instskip(NEXT) | instid1(VALU_DEP_2)
	v_exp_f32_e32 v90, v77
	v_add_f32_e32 v79, v72, v69
	s_delay_alu instid0(VALU_DEP_2)
	v_exp_f32_e32 v78, v78
	v_cndmask_b32_e64 v77, 0, v82, s15
	s_waitcnt_depctr 0xfff
	v_cndmask_b32_e64 v72, 0, v78, s13
	v_add_f32_e32 v78, v79, v71
	v_fma_f32 v79, s19, v107, -v68
	s_delay_alu instid0(VALU_DEP_1) | instskip(SKIP_1) | instid1(VALU_DEP_2)
	v_dual_add_f32 v82, v78, v72 :: v_dual_mul_f32 v79, 0x3fb8aa3b, v79
	v_cndmask_b32_e64 v78, 0, v81, s16
	v_add_f32_e32 v81, v82, v77
	s_delay_alu instid0(VALU_DEP_3) | instskip(SKIP_1) | instid1(VALU_DEP_2)
	v_exp_f32_e32 v82, v79
	v_cndmask_b32_e64 v79, 0, v90, s17
	v_add_f32_e32 v81, v81, v78
	s_delay_alu instid0(VALU_DEP_1) | instskip(SKIP_2) | instid1(VALU_DEP_1)
	v_add_f32_e32 v90, v81, v79
	s_waitcnt_depctr 0xfff
	v_cndmask_b32_e64 v81, 0, v82, s18
	v_add_f32_e32 v82, v90, v81
	ds_bpermute_b32 v89, v89, v82
	s_and_saveexec_b32 s4, s3
	s_cbranch_execz .LBB1464_12
; %bb.11:
	v_mul_u32_u24_e32 v67, 0x44, v66
	s_delay_alu instid0(VALU_DEP_1) | instskip(SKIP_1) | instid1(VALU_DEP_1)
	v_lshl_add_u32 v67, v65, 2, v67
	s_waitcnt lgkmcnt(0)
	v_dual_add_f32 v82, v82, v89 :: v_dual_add_nc_u32 v67, 0x4000, v67
	ds_store_2addr_b32 v67, v68, v82 offset1:136
.LBB1464_12:
	s_or_b32 exec_lo, exec_lo, s4
	v_lshlrev_b32_e32 v67, 2, v65
	s_waitcnt lgkmcnt(0)
	s_barrier
	buffer_gl0_inv
	v_cmp_eq_u32_e32 vcc_lo, 1, v66
	v_add_nc_u32_e32 v82, 0x4000, v67
	v_cmp_eq_u32_e64 s4, 2, v66
	v_cmp_eq_u32_e64 s6, 7, v66
	ds_load_2addr_b32 v[89:90], v82 offset1:17
	ds_load_2addr_b32 v[91:92], v82 offset0:34 offset1:51
	ds_load_2addr_b32 v[93:94], v82 offset0:68 offset1:85
	;; [unrolled: 1-line block ×4, first 2 shown]
	s_waitcnt lgkmcnt(4)
	v_max3_f32 v67, v89, 0xff7fffff, v90
	s_waitcnt lgkmcnt(3)
	s_delay_alu instid0(VALU_DEP_1) | instskip(SKIP_1) | instid1(VALU_DEP_1)
	v_max3_f32 v67, v67, v91, v92
	s_waitcnt lgkmcnt(2)
	v_max3_f32 v67, v67, v93, v94
	s_waitcnt lgkmcnt(1)
	s_delay_alu instid0(VALU_DEP_1) | instskip(NEXT) | instid1(VALU_DEP_1)
	v_max3_f32 v67, v67, v95, v96
	v_sub_f32_e32 v93, v93, v67
	s_delay_alu instid0(VALU_DEP_1) | instskip(NEXT) | instid1(VALU_DEP_1)
	v_dual_sub_f32 v68, v89, v67 :: v_dual_mul_f32 v103, 0x3fb8aa3b, v93
	v_mul_f32_e32 v68, 0x3fb8aa3b, v68
	s_delay_alu instid0(VALU_DEP_1)
	v_exp_f32_e32 v100, v68
	v_sub_f32_e32 v68, v92, v67
	v_sub_f32_e32 v99, v90, v67
	ds_load_2addr_b32 v[89:90], v82 offset0:170 offset1:187
	v_dual_mul_f32 v102, 0x3fb8aa3b, v68 :: v_dual_mul_f32 v99, 0x3fb8aa3b, v99
	s_waitcnt lgkmcnt(1)
	v_fma_f32 v68, v100, v97, 0
	s_delay_alu instid0(VALU_DEP_2) | instskip(NEXT) | instid1(VALU_DEP_2)
	v_exp_f32_e32 v102, v102
	v_exp_f32_e32 v99, v99
	s_waitcnt_depctr 0xfff
	v_fmac_f32_e32 v68, v99, v98
	v_sub_f32_e32 v91, v91, v67
	s_delay_alu instid0(VALU_DEP_1)
	v_mul_f32_e32 v101, 0x3fb8aa3b, v91
	ds_load_2addr_b32 v[91:92], v82 offset0:204 offset1:221
	v_sub_f32_e32 v97, v94, v67
	ds_load_2addr_b32 v[93:94], v82 offset0:238 offset1:255
	s_waitcnt lgkmcnt(0)
	v_exp_f32_e32 v101, v101
	s_barrier
	buffer_gl0_inv
	v_dual_fmac_f32 v68, v101, v89 :: v_dual_sub_f32 v89, v96, v67
	v_dual_sub_f32 v82, v95, v67 :: v_dual_mul_f32 v95, 0x3fb8aa3b, v97
	v_exp_f32_e32 v97, v103
	s_delay_alu instid0(VALU_DEP_2) | instskip(NEXT) | instid1(VALU_DEP_2)
	v_dual_fmac_f32 v68, v102, v90 :: v_dual_mul_f32 v89, 0x3fb8aa3b, v89
	v_mul_f32_e32 v82, 0x3fb8aa3b, v82
	s_delay_alu instid0(VALU_DEP_3) | instskip(NEXT) | instid1(VALU_DEP_2)
	v_exp_f32_e32 v95, v95
	v_exp_f32_e32 v89, v89
	s_delay_alu instid0(VALU_DEP_1)
	v_exp_f32_e32 v82, v82
	v_fmac_f32_e32 v68, v97, v91
	s_delay_alu instid0(TRANS32_DEP_3) | instid1(VALU_DEP_1)
	v_fmac_f32_e32 v68, v95, v92
	s_waitcnt_depctr 0xfff
	v_fmac_f32_e32 v68, v82, v93
	s_delay_alu instid0(VALU_DEP_1) | instskip(NEXT) | instid1(VALU_DEP_1)
	v_fmac_f32_e32 v68, v89, v94
	v_add_f32_e32 v90, 0x358637bd, v68
	s_delay_alu instid0(VALU_DEP_1) | instskip(NEXT) | instid1(VALU_DEP_1)
	v_div_scale_f32 v91, null, v90, v90, 1.0
	v_rcp_f32_e32 v92, v91
	s_waitcnt_depctr 0xfff
	v_fma_f32 v93, -v91, v92, 1.0
	s_delay_alu instid0(VALU_DEP_1) | instskip(SKIP_1) | instid1(VALU_DEP_2)
	v_dual_fmac_f32 v92, v93, v92 :: v_dual_cndmask_b32 v93, v100, v99
	v_cmp_eq_u32_e32 vcc_lo, 3, v66
	v_cndmask_b32_e64 v93, v93, v101, s4
	v_cmp_eq_u32_e64 s4, 4, v66
	s_delay_alu instid0(VALU_DEP_2) | instskip(SKIP_1) | instid1(VALU_DEP_2)
	v_cndmask_b32_e32 v93, v93, v102, vcc_lo
	v_cmp_eq_u32_e32 vcc_lo, 5, v66
	v_cndmask_b32_e64 v93, v93, v97, s4
	v_cmp_eq_u32_e64 s4, 6, v66
	s_delay_alu instid0(VALU_DEP_2) | instskip(SKIP_1) | instid1(VALU_DEP_1)
	v_cndmask_b32_e32 v93, v93, v95, vcc_lo
	v_div_scale_f32 v94, s5, 1.0, v90, 1.0
	s_mov_b32 vcc_lo, s5
	s_delay_alu instid0(VALU_DEP_2) | instskip(NEXT) | instid1(VALU_DEP_2)
	v_cndmask_b32_e64 v82, v93, v82, s4
	v_mul_f32_e32 v96, v94, v92
	s_mov_b32 s4, exec_lo
	s_delay_alu instid0(VALU_DEP_2) | instskip(NEXT) | instid1(VALU_DEP_2)
	v_cndmask_b32_e64 v82, v82, v89, s6
	v_fma_f32 v98, -v91, v96, v94
	s_delay_alu instid0(VALU_DEP_1) | instskip(NEXT) | instid1(VALU_DEP_1)
	v_fmac_f32_e32 v96, v98, v92
	v_fma_f32 v91, -v91, v96, v94
	s_delay_alu instid0(VALU_DEP_1) | instskip(NEXT) | instid1(VALU_DEP_1)
	v_div_fmas_f32 v91, v91, v92, v96
	v_div_fixup_f32 v90, v91, v90, 1.0
	s_delay_alu instid0(VALU_DEP_1) | instskip(NEXT) | instid1(VALU_DEP_1)
	v_mul_f32_e32 v82, v82, v90
	v_mul_f32_e32 v87, v82, v87
	v_mul_f32_e32 v90, v82, v80
	v_mul_f32_e32 v80, v82, v88
	v_mul_f32_e32 v84, v82, v84
	v_mul_f32_e32 v88, v82, v86
	v_mul_f32_e32 v89, v82, v85
	v_dual_mul_f32 v86, v82, v83 :: v_dual_and_b32 v91, 0x7f800000, v90
	v_mul_f32_e32 v85, v82, v76
                                        ; implicit-def: $vgpr76
	s_delay_alu instid0(VALU_DEP_2)
	v_cmpx_ne_u32_e32 0x7f800000, v91
	s_xor_b32 s4, exec_lo, s4
; %bb.13:
	v_bfe_u32 v76, v90, 16, 1
	s_delay_alu instid0(VALU_DEP_1)
	v_add3_u32 v76, v90, v76, 0x7fff
                                        ; implicit-def: $vgpr90
; %bb.14:
	s_and_not1_saveexec_b32 s4, s4
; %bb.15:
	v_and_b32_e32 v76, 0xffff, v90
	v_or_b32_e32 v83, 0x10000, v90
	s_delay_alu instid0(VALU_DEP_2) | instskip(NEXT) | instid1(VALU_DEP_2)
	v_cmp_eq_u32_e32 vcc_lo, 0, v76
	v_cndmask_b32_e32 v76, v83, v90, vcc_lo
; %bb.16:
	s_or_b32 exec_lo, exec_lo, s4
	v_and_b32_e32 v83, 0x7f800000, v85
	s_delay_alu instid0(VALU_DEP_1) | instskip(SKIP_1) | instid1(SALU_CYCLE_1)
	v_cmp_ne_u32_e32 vcc_lo, 0x7f800000, v83
                                        ; implicit-def: $vgpr83
	s_and_saveexec_b32 s4, vcc_lo
	s_xor_b32 s4, exec_lo, s4
; %bb.17:
	v_bfe_u32 v83, v85, 16, 1
	s_delay_alu instid0(VALU_DEP_1)
	v_add3_u32 v83, v85, v83, 0x7fff
                                        ; implicit-def: $vgpr85
; %bb.18:
	s_and_not1_saveexec_b32 s4, s4
; %bb.19:
	v_and_b32_e32 v83, 0xffff, v85
	v_or_b32_e32 v90, 0x10000, v85
	s_delay_alu instid0(VALU_DEP_2) | instskip(NEXT) | instid1(VALU_DEP_2)
	v_cmp_eq_u32_e32 vcc_lo, 0, v83
	v_cndmask_b32_e32 v83, v90, v85, vcc_lo
; %bb.20:
	s_or_b32 exec_lo, exec_lo, s4
	v_and_b32_e32 v85, 0x7f800000, v86
	s_delay_alu instid0(VALU_DEP_1) | instskip(SKIP_1) | instid1(SALU_CYCLE_1)
	v_cmp_ne_u32_e32 vcc_lo, 0x7f800000, v85
                                        ; implicit-def: $vgpr85
	s_and_saveexec_b32 s4, vcc_lo
	s_xor_b32 s4, exec_lo, s4
; %bb.21:
	v_bfe_u32 v85, v86, 16, 1
	s_delay_alu instid0(VALU_DEP_1)
	v_add3_u32 v85, v86, v85, 0x7fff
                                        ; implicit-def: $vgpr86
; %bb.22:
	s_and_not1_saveexec_b32 s4, s4
; %bb.23:
	v_and_b32_e32 v85, 0xffff, v86
	v_or_b32_e32 v90, 0x10000, v86
	s_delay_alu instid0(VALU_DEP_2) | instskip(NEXT) | instid1(VALU_DEP_2)
	v_cmp_eq_u32_e32 vcc_lo, 0, v85
	v_cndmask_b32_e32 v85, v90, v86, vcc_lo
; %bb.24:
	s_or_b32 exec_lo, exec_lo, s4
	v_and_b32_e32 v86, 0x7f800000, v89
	s_delay_alu instid0(VALU_DEP_1) | instskip(SKIP_1) | instid1(SALU_CYCLE_1)
	v_cmp_ne_u32_e32 vcc_lo, 0x7f800000, v86
                                        ; implicit-def: $vgpr86
	s_and_saveexec_b32 s4, vcc_lo
	s_xor_b32 s4, exec_lo, s4
; %bb.25:
	v_bfe_u32 v86, v89, 16, 1
	s_delay_alu instid0(VALU_DEP_1)
	v_add3_u32 v86, v89, v86, 0x7fff
                                        ; implicit-def: $vgpr89
; %bb.26:
	s_and_not1_saveexec_b32 s4, s4
; %bb.27:
	v_and_b32_e32 v86, 0xffff, v89
	v_or_b32_e32 v90, 0x10000, v89
	s_delay_alu instid0(VALU_DEP_2) | instskip(NEXT) | instid1(VALU_DEP_2)
	v_cmp_eq_u32_e32 vcc_lo, 0, v86
	v_cndmask_b32_e32 v86, v90, v89, vcc_lo
; %bb.28:
	s_or_b32 exec_lo, exec_lo, s4
	v_and_b32_e32 v89, 0x7f800000, v88
	s_delay_alu instid0(VALU_DEP_1) | instskip(SKIP_1) | instid1(SALU_CYCLE_1)
	v_cmp_ne_u32_e32 vcc_lo, 0x7f800000, v89
                                        ; implicit-def: $vgpr89
	s_and_saveexec_b32 s4, vcc_lo
	s_xor_b32 s4, exec_lo, s4
; %bb.29:
	v_bfe_u32 v89, v88, 16, 1
	s_delay_alu instid0(VALU_DEP_1)
	v_add3_u32 v89, v88, v89, 0x7fff
                                        ; implicit-def: $vgpr88
; %bb.30:
	s_and_not1_saveexec_b32 s4, s4
; %bb.31:
	v_and_b32_e32 v89, 0xffff, v88
	v_or_b32_e32 v90, 0x10000, v88
	s_delay_alu instid0(VALU_DEP_2) | instskip(NEXT) | instid1(VALU_DEP_2)
	v_cmp_eq_u32_e32 vcc_lo, 0, v89
	v_cndmask_b32_e32 v89, v90, v88, vcc_lo
; %bb.32:
	s_or_b32 exec_lo, exec_lo, s4
	v_and_b32_e32 v88, 0x7f800000, v87
	s_delay_alu instid0(VALU_DEP_1) | instskip(SKIP_1) | instid1(SALU_CYCLE_1)
	v_cmp_ne_u32_e32 vcc_lo, 0x7f800000, v88
                                        ; implicit-def: $vgpr88
	s_and_saveexec_b32 s4, vcc_lo
	s_xor_b32 s4, exec_lo, s4
; %bb.33:
	v_bfe_u32 v88, v87, 16, 1
	s_delay_alu instid0(VALU_DEP_1)
	v_add3_u32 v88, v87, v88, 0x7fff
                                        ; implicit-def: $vgpr87
; %bb.34:
	s_and_not1_saveexec_b32 s4, s4
; %bb.35:
	v_and_b32_e32 v88, 0xffff, v87
	v_or_b32_e32 v90, 0x10000, v87
	s_delay_alu instid0(VALU_DEP_2) | instskip(NEXT) | instid1(VALU_DEP_2)
	v_cmp_eq_u32_e32 vcc_lo, 0, v88
	v_cndmask_b32_e32 v88, v90, v87, vcc_lo
; %bb.36:
	s_or_b32 exec_lo, exec_lo, s4
	v_and_b32_e32 v87, 0x7f800000, v84
	s_delay_alu instid0(VALU_DEP_1) | instskip(SKIP_1) | instid1(SALU_CYCLE_1)
	v_cmp_ne_u32_e32 vcc_lo, 0x7f800000, v87
                                        ; implicit-def: $vgpr87
	s_and_saveexec_b32 s4, vcc_lo
	s_xor_b32 s4, exec_lo, s4
; %bb.37:
	v_bfe_u32 v87, v84, 16, 1
	s_delay_alu instid0(VALU_DEP_1)
	v_add3_u32 v87, v84, v87, 0x7fff
                                        ; implicit-def: $vgpr84
; %bb.38:
	s_and_not1_saveexec_b32 s4, s4
; %bb.39:
	v_and_b32_e32 v87, 0xffff, v84
	v_or_b32_e32 v90, 0x10000, v84
	s_delay_alu instid0(VALU_DEP_2) | instskip(NEXT) | instid1(VALU_DEP_2)
	v_cmp_eq_u32_e32 vcc_lo, 0, v87
	v_cndmask_b32_e32 v87, v90, v84, vcc_lo
; %bb.40:
	s_or_b32 exec_lo, exec_lo, s4
	v_and_b32_e32 v84, 0x7f800000, v80
	s_delay_alu instid0(VALU_DEP_1) | instskip(SKIP_1) | instid1(SALU_CYCLE_1)
	v_cmp_ne_u32_e32 vcc_lo, 0x7f800000, v84
                                        ; implicit-def: $vgpr84
	s_and_saveexec_b32 s4, vcc_lo
	s_xor_b32 s4, exec_lo, s4
; %bb.41:
	v_bfe_u32 v84, v80, 16, 1
	s_delay_alu instid0(VALU_DEP_1)
	v_add3_u32 v84, v80, v84, 0x7fff
                                        ; implicit-def: $vgpr80
; %bb.42:
	s_and_not1_saveexec_b32 s4, s4
; %bb.43:
	v_and_b32_e32 v84, 0xffff, v80
	v_or_b32_e32 v90, 0x10000, v80
	s_delay_alu instid0(VALU_DEP_2) | instskip(NEXT) | instid1(VALU_DEP_2)
	v_cmp_eq_u32_e32 vcc_lo, 0, v84
	v_cndmask_b32_e32 v84, v90, v80, vcc_lo
; %bb.44:
	s_or_b32 exec_lo, exec_lo, s4
	s_load_b64 s[36:37], s[0:1], 0x94
	v_lshlrev_b32_e32 v91, 4, v74
	s_delay_alu instid0(VALU_DEP_2)
	v_perm_b32 v90, v84, v87, 0x7060302
	v_dual_mul_f32 v79, v82, v79 :: v_dual_lshlrev_b32 v80, 6, v65
	v_dual_mul_f32 v77, v82, v77 :: v_dual_lshlrev_b32 v92, 11, v66
	v_mul_f32_e32 v84, v82, v70
	v_perm_b32 v89, v88, v89, 0x7060302
	v_perm_b32 v88, v86, v85, 0x7060302
	v_perm_b32 v87, v83, v76, 0x7060302
	v_mul_f32_e32 v70, v82, v81
	v_or3_b32 v76, v91, v92, v80
	v_dual_mul_f32 v78, v82, v78 :: v_dual_and_b32 v85, 0x7f800000, v84
	v_mul_f32_e32 v83, v82, v72
	v_mul_f32_e32 v81, v82, v71
	;; [unrolled: 1-line block ×3, first 2 shown]
	s_mov_b32 s4, exec_lo
	ds_store_b128 v76, v[87:90]
                                        ; implicit-def: $vgpr69
	v_cmpx_ne_u32_e32 0x7f800000, v85
	s_xor_b32 s4, exec_lo, s4
; %bb.45:
	v_bfe_u32 v69, v84, 16, 1
	s_delay_alu instid0(VALU_DEP_1)
	v_add3_u32 v69, v84, v69, 0x7fff
                                        ; implicit-def: $vgpr84
; %bb.46:
	s_and_not1_saveexec_b32 s4, s4
; %bb.47:
	v_and_b32_e32 v69, 0xffff, v84
	v_or_b32_e32 v71, 0x10000, v84
	s_delay_alu instid0(VALU_DEP_2) | instskip(NEXT) | instid1(VALU_DEP_2)
	v_cmp_eq_u32_e32 vcc_lo, 0, v69
	v_cndmask_b32_e32 v69, v71, v84, vcc_lo
; %bb.48:
	s_or_b32 exec_lo, exec_lo, s4
	v_and_b32_e32 v71, 0x7f800000, v72
	s_delay_alu instid0(VALU_DEP_1) | instskip(SKIP_1) | instid1(SALU_CYCLE_1)
	v_cmp_ne_u32_e32 vcc_lo, 0x7f800000, v71
                                        ; implicit-def: $vgpr71
	s_and_saveexec_b32 s4, vcc_lo
	s_xor_b32 s4, exec_lo, s4
; %bb.49:
	v_bfe_u32 v71, v72, 16, 1
	s_delay_alu instid0(VALU_DEP_1)
	v_add3_u32 v71, v72, v71, 0x7fff
                                        ; implicit-def: $vgpr72
; %bb.50:
	s_and_not1_saveexec_b32 s4, s4
; %bb.51:
	v_and_b32_e32 v71, 0xffff, v72
	v_or_b32_e32 v82, 0x10000, v72
	s_delay_alu instid0(VALU_DEP_2) | instskip(NEXT) | instid1(VALU_DEP_2)
	v_cmp_eq_u32_e32 vcc_lo, 0, v71
	v_cndmask_b32_e32 v71, v82, v72, vcc_lo
; %bb.52:
	s_or_b32 exec_lo, exec_lo, s4
	v_and_b32_e32 v72, 0x7f800000, v81
	s_delay_alu instid0(VALU_DEP_1) | instskip(SKIP_1) | instid1(SALU_CYCLE_1)
	v_cmp_ne_u32_e32 vcc_lo, 0x7f800000, v72
                                        ; implicit-def: $vgpr72
	s_and_saveexec_b32 s4, vcc_lo
	s_xor_b32 s4, exec_lo, s4
; %bb.53:
	v_bfe_u32 v72, v81, 16, 1
	s_delay_alu instid0(VALU_DEP_1)
	v_add3_u32 v72, v81, v72, 0x7fff
                                        ; implicit-def: $vgpr81
; %bb.54:
	s_and_not1_saveexec_b32 s4, s4
; %bb.55:
	v_and_b32_e32 v72, 0xffff, v81
	v_or_b32_e32 v82, 0x10000, v81
	s_delay_alu instid0(VALU_DEP_2) | instskip(NEXT) | instid1(VALU_DEP_2)
	v_cmp_eq_u32_e32 vcc_lo, 0, v72
	v_cndmask_b32_e32 v72, v82, v81, vcc_lo
; %bb.56:
	s_or_b32 exec_lo, exec_lo, s4
	v_and_b32_e32 v81, 0x7f800000, v83
	s_delay_alu instid0(VALU_DEP_1) | instskip(SKIP_1) | instid1(SALU_CYCLE_1)
	v_cmp_ne_u32_e32 vcc_lo, 0x7f800000, v81
                                        ; implicit-def: $vgpr81
	s_and_saveexec_b32 s4, vcc_lo
	s_xor_b32 s4, exec_lo, s4
; %bb.57:
	v_bfe_u32 v81, v83, 16, 1
	s_delay_alu instid0(VALU_DEP_1)
	v_add3_u32 v81, v83, v81, 0x7fff
                                        ; implicit-def: $vgpr83
; %bb.58:
	s_and_not1_saveexec_b32 s4, s4
; %bb.59:
	v_and_b32_e32 v81, 0xffff, v83
	v_or_b32_e32 v82, 0x10000, v83
	s_delay_alu instid0(VALU_DEP_2) | instskip(NEXT) | instid1(VALU_DEP_2)
	v_cmp_eq_u32_e32 vcc_lo, 0, v81
	v_cndmask_b32_e32 v81, v82, v83, vcc_lo
; %bb.60:
	s_or_b32 exec_lo, exec_lo, s4
	v_and_b32_e32 v82, 0x7f800000, v77
	s_delay_alu instid0(VALU_DEP_1) | instskip(SKIP_1) | instid1(SALU_CYCLE_1)
	v_cmp_ne_u32_e32 vcc_lo, 0x7f800000, v82
                                        ; implicit-def: $vgpr82
	s_and_saveexec_b32 s4, vcc_lo
	s_xor_b32 s4, exec_lo, s4
; %bb.61:
	v_bfe_u32 v82, v77, 16, 1
	s_delay_alu instid0(VALU_DEP_1)
	v_add3_u32 v82, v77, v82, 0x7fff
                                        ; implicit-def: $vgpr77
; %bb.62:
	s_and_not1_saveexec_b32 s4, s4
; %bb.63:
	v_and_b32_e32 v82, 0xffff, v77
	v_or_b32_e32 v83, 0x10000, v77
	s_delay_alu instid0(VALU_DEP_2) | instskip(NEXT) | instid1(VALU_DEP_2)
	v_cmp_eq_u32_e32 vcc_lo, 0, v82
	v_cndmask_b32_e32 v82, v83, v77, vcc_lo
; %bb.64:
	s_or_b32 exec_lo, exec_lo, s4
	v_and_b32_e32 v77, 0x7f800000, v78
	s_delay_alu instid0(VALU_DEP_1) | instskip(SKIP_1) | instid1(SALU_CYCLE_1)
	v_cmp_ne_u32_e32 vcc_lo, 0x7f800000, v77
                                        ; implicit-def: $vgpr77
	s_and_saveexec_b32 s4, vcc_lo
	s_xor_b32 s4, exec_lo, s4
; %bb.65:
	v_bfe_u32 v77, v78, 16, 1
	s_delay_alu instid0(VALU_DEP_1)
	v_add3_u32 v77, v78, v77, 0x7fff
                                        ; implicit-def: $vgpr78
; %bb.66:
	s_and_not1_saveexec_b32 s4, s4
; %bb.67:
	v_and_b32_e32 v77, 0xffff, v78
	v_or_b32_e32 v83, 0x10000, v78
	s_delay_alu instid0(VALU_DEP_2) | instskip(NEXT) | instid1(VALU_DEP_2)
	v_cmp_eq_u32_e32 vcc_lo, 0, v77
	v_cndmask_b32_e32 v77, v83, v78, vcc_lo
; %bb.68:
	s_or_b32 exec_lo, exec_lo, s4
	v_and_b32_e32 v78, 0x7f800000, v79
	s_delay_alu instid0(VALU_DEP_1) | instskip(SKIP_1) | instid1(SALU_CYCLE_1)
	v_cmp_ne_u32_e32 vcc_lo, 0x7f800000, v78
                                        ; implicit-def: $vgpr78
	s_and_saveexec_b32 s4, vcc_lo
	s_xor_b32 s4, exec_lo, s4
; %bb.69:
	v_bfe_u32 v78, v79, 16, 1
	s_delay_alu instid0(VALU_DEP_1)
	v_add3_u32 v78, v79, v78, 0x7fff
                                        ; implicit-def: $vgpr79
; %bb.70:
	s_and_not1_saveexec_b32 s4, s4
; %bb.71:
	v_and_b32_e32 v78, 0xffff, v79
	v_or_b32_e32 v83, 0x10000, v79
	s_delay_alu instid0(VALU_DEP_2) | instskip(NEXT) | instid1(VALU_DEP_2)
	v_cmp_eq_u32_e32 vcc_lo, 0, v78
	v_cndmask_b32_e32 v78, v83, v79, vcc_lo
; %bb.72:
	s_or_b32 exec_lo, exec_lo, s4
	v_and_b32_e32 v79, 0x7f800000, v70
	s_delay_alu instid0(VALU_DEP_1) | instskip(SKIP_1) | instid1(SALU_CYCLE_1)
	v_cmp_ne_u32_e32 vcc_lo, 0x7f800000, v79
                                        ; implicit-def: $vgpr79
	s_and_saveexec_b32 s4, vcc_lo
	s_xor_b32 s4, exec_lo, s4
; %bb.73:
	v_bfe_u32 v79, v70, 16, 1
	s_delay_alu instid0(VALU_DEP_1)
	v_add3_u32 v79, v70, v79, 0x7fff
                                        ; implicit-def: $vgpr70
; %bb.74:
	s_and_not1_saveexec_b32 s4, s4
; %bb.75:
	v_and_b32_e32 v79, 0xffff, v70
	v_or_b32_e32 v83, 0x10000, v70
	s_delay_alu instid0(VALU_DEP_2) | instskip(NEXT) | instid1(VALU_DEP_2)
	v_cmp_eq_u32_e32 vcc_lo, 0, v79
	v_cndmask_b32_e32 v79, v83, v70, vcc_lo
; %bb.76:
	s_or_b32 exec_lo, exec_lo, s4
	s_delay_alu instid0(VALU_DEP_1)
	v_perm_b32 v86, v79, v78, 0x7060302
	v_perm_b32 v85, v77, v82, 0x7060302
	;; [unrolled: 1-line block ×4, first 2 shown]
	v_lshl_or_b32 v82, v66, 11, v80
	ds_store_b128 v76, v[83:86] offset:1024
	s_waitcnt lgkmcnt(0)
	s_barrier
	buffer_gl0_inv
	ds_load_b128 v[69:72], v82
	ds_load_b128 v[83:86], v82 offset:16
	s_waitcnt lgkmcnt(1)
	v_lshrrev_b32_e32 v66, 16, v69
	s_waitcnt lgkmcnt(0)
	v_lshrrev_b32_e32 v91, 16, v83
	v_lshlrev_b32_e32 v78, 2, v74
	v_lshrrev_b32_e32 v95, 16, v70
	v_lshrrev_b32_e32 v98, 16, v84
	;; [unrolled: 1-line block ×4, first 2 shown]
	v_cmp_eq_u32_e32 vcc_lo, 1, v78
	v_lshrrev_b32_e32 v97, 16, v72
	v_lshrrev_b32_e32 v100, 16, v86
	v_cndmask_b32_e32 v87, v83, v91, vcc_lo
	v_or_b32_e32 v79, 1, v78
	v_cndmask_b32_e32 v81, v69, v66, vcc_lo
	v_cmp_eq_u32_e64 s5, 2, v78
	v_cmp_eq_u32_e64 s8, 3, v78
	;; [unrolled: 1-line block ×5, first 2 shown]
	v_cndmask_b32_e64 v81, v81, v70, s5
	v_cndmask_b32_e64 v87, v87, v84, s5
	v_cmp_eq_u32_e64 s9, 3, v79
	v_cndmask_b32_e64 v88, v69, v66, s4
	v_or_b32_e32 v77, 2, v78
	v_cndmask_b32_e64 v81, v81, v95, s8
	v_cndmask_b32_e64 v87, v87, v98, s8
	;; [unrolled: 1-line block ×4, first 2 shown]
	v_cmp_eq_u32_e64 s11, 5, v78
	v_cndmask_b32_e64 v81, v81, v71, s10
	v_cndmask_b32_e64 v87, v87, v85, s10
	v_cmp_eq_u32_e64 s12, 4, v79
	v_cndmask_b32_e64 v88, v88, v95, s9
	v_cmp_eq_u32_e64 s6, 1, v77
	v_cndmask_b32_e64 v89, v89, v84, s7
	v_cndmask_b32_e64 v81, v81, v96, s11
	v_cmp_eq_u32_e64 s13, 6, v78
	v_cndmask_b32_e64 v88, v88, v71, s12
	;; [unrolled: 3-line block ×3, first 2 shown]
	v_cndmask_b32_e64 v89, v89, v98, s9
	v_cndmask_b32_e64 v81, v81, v72, s13
	v_cmp_eq_u32_e64 s16, 7, v78
	v_cndmask_b32_e64 v88, v88, v96, s15
	v_cndmask_b32_e64 v87, v87, v86, s13
	v_cmp_eq_u32_e64 s17, 6, v79
	v_cmp_eq_u32_e64 s18, 2, v77
	v_cndmask_b32_e64 v89, v89, v85, s12
	v_cndmask_b32_e64 v101, v81, v97, s16
	;; [unrolled: 1-line block ×6, first 2 shown]
	v_cmp_eq_u32_e64 s19, 7, v79
	v_cmp_eq_u32_e64 s20, 3, v77
	;; [unrolled: 1-line block ×4, first 2 shown]
	v_cndmask_b32_e64 v87, v87, v84, s18
	v_cndmask_b32_e64 v103, v88, v97, s19
	;; [unrolled: 1-line block ×4, first 2 shown]
	v_or_b32_e32 v81, 3, v78
	v_cndmask_b32_e64 v93, v87, v98, s20
	v_cmp_eq_u32_e64 s25, 6, v77
	v_cndmask_b32_e64 v104, v88, v86, s17
	v_cndmask_b32_e64 v92, v89, v71, s21
	v_cmp_eq_u32_e64 s22, 1, v81
	ds_load_b128 v[87:90], v82 offset:1024
	v_cmp_eq_u32_e64 s24, 2, v81
	v_cmp_eq_u32_e64 s26, 3, v81
	v_cndmask_b32_e64 v105, v92, v96, s23
	v_cndmask_b32_e64 v66, v69, v66, s22
	;; [unrolled: 1-line block ×4, first 2 shown]
	ds_load_b128 v[91:94], v82 offset:1040
	v_cmp_eq_u32_e64 s27, 4, v81
	v_cndmask_b32_e64 v66, v66, v70, s24
	v_cmp_eq_u32_e64 s28, 7, v77
	v_cndmask_b32_e64 v70, v83, v84, s24
	v_cndmask_b32_e64 v84, v105, v72, s25
	v_cmp_eq_u32_e64 s29, 5, v81
	v_cndmask_b32_e64 v66, v66, v95, s26
	v_cmp_eq_u32_e64 s30, 6, v81
	v_cndmask_b32_e64 v70, v70, v98, s26
	v_cndmask_b32_e64 v69, v69, v99, s23
	;; [unrolled: 1-line block ×4, first 2 shown]
	s_waitcnt lgkmcnt(1)
	v_lshrrev_b32_e32 v95, 16, v87
	v_cndmask_b32_e64 v70, v70, v85, s27
	v_cndmask_b32_e64 v71, v84, v97, s28
	;; [unrolled: 1-line block ×4, first 2 shown]
	v_cndmask_b32_e32 v84, v87, v95, vcc_lo
	v_cndmask_b32_e64 v70, v70, v99, s29
	s_waitcnt lgkmcnt(0)
	v_lshrrev_b32_e32 v85, 16, v91
	v_lshrrev_b32_e32 v96, 16, v88
	v_cndmask_b32_e64 v98, v87, v95, s4
	v_cndmask_b32_e64 v84, v84, v88, s5
	;; [unrolled: 1-line block ×3, first 2 shown]
	v_cndmask_b32_e32 v99, v91, v85, vcc_lo
	v_cmp_eq_u32_e32 vcc_lo, 7, v81
	v_cndmask_b32_e64 v66, v66, v72, s30
	v_cndmask_b32_e64 v72, v84, v96, s8
	;; [unrolled: 1-line block ×3, first 2 shown]
	v_lshrrev_b32_e32 v98, 16, v92
	v_cndmask_b32_e32 v70, v70, v100, vcc_lo
	v_cndmask_b32_e64 v86, v99, v92, s5
	v_cndmask_b32_e64 v69, v69, v100, s28
	v_lshrrev_b32_e32 v100, 16, v93
	v_cndmask_b32_e64 v72, v72, v89, s10
	v_lshrrev_b32_e32 v99, 16, v89
	v_cndmask_b32_e64 v86, v86, v98, s8
	v_perm_b32 v71, v69, v71, 0x5040100
	v_cndmask_b32_e64 v84, v84, v96, s9
	s_delay_alu instid0(VALU_DEP_3) | instskip(NEXT) | instid1(VALU_DEP_2)
	v_cndmask_b32_e64 v86, v86, v93, s10
	v_cndmask_b32_e64 v84, v84, v89, s12
	s_delay_alu instid0(VALU_DEP_2) | instskip(NEXT) | instid1(VALU_DEP_1)
	v_cndmask_b32_e64 v86, v86, v100, s11
	v_cndmask_b32_e64 v69, v86, v94, s13
	v_cndmask_b32_e64 v86, v87, v95, s6
	v_cndmask_b32_e64 v87, v87, v95, s22
	v_cndmask_b32_e64 v95, v91, v85, s22
	s_delay_alu instid0(VALU_DEP_3) | instskip(NEXT) | instid1(VALU_DEP_3)
	v_cndmask_b32_e64 v86, v86, v88, s18
	v_cndmask_b32_e64 v87, v87, v88, s24
	s_delay_alu instid0(VALU_DEP_3) | instskip(NEXT) | instid1(VALU_DEP_3)
	v_cndmask_b32_e64 v88, v95, v92, s24
	v_cndmask_b32_e64 v86, v86, v96, s20
	;; [unrolled: 3-line block ×7, first 2 shown]
	s_delay_alu instid0(VALU_DEP_3) | instskip(SKIP_2) | instid1(VALU_DEP_2)
	v_cndmask_b32_e64 v88, v88, v94, s30
	v_cndmask_b32_e32 v66, v66, v97, vcc_lo
	v_cndmask_b32_e64 v97, v72, v99, s11
	v_perm_b32 v72, v70, v66, 0x5040100
	v_perm_b32 v70, v83, v103, 0x5040100
	v_cndmask_b32_e64 v103, v91, v85, s6
	v_cndmask_b32_e64 v85, v91, v85, s4
	;; [unrolled: 1-line block ×4, first 2 shown]
	v_lshrrev_b32_e32 v97, 16, v90
	v_cndmask_b32_e64 v91, v103, v92, s18
	v_cndmask_b32_e64 v85, v85, v92, s7
	;; [unrolled: 1-line block ×3, first 2 shown]
	s_mov_b32 s4, exec_lo
	v_cndmask_b32_e64 v83, v84, v97, s16
	v_cndmask_b32_e64 v91, v91, v98, s20
	;; [unrolled: 1-line block ×3, first 2 shown]
	v_lshrrev_b32_e32 v84, 16, v94
	v_cndmask_b32_e64 v66, v66, v97, s19
	v_cndmask_b32_e64 v90, v86, v97, s28
	v_cndmask_b32_e64 v89, v91, v93, s21
	v_cndmask_b32_e64 v85, v85, v93, s12
	v_dual_cndmask_b32 v86, v87, v97 :: v_dual_cndmask_b32 v87, v88, v84
	v_cndmask_b32_e64 v91, v69, v84, s16
	s_delay_alu instid0(VALU_DEP_4) | instskip(NEXT) | instid1(VALU_DEP_4)
	v_cndmask_b32_e64 v89, v89, v100, s23
	v_cndmask_b32_e64 v85, v85, v100, s15
	v_perm_b32 v69, v102, v101, 0x5040100
	v_perm_b32 v86, v87, v86, 0x5040100
	;; [unrolled: 1-line block ×3, first 2 shown]
	v_cndmask_b32_e64 v89, v89, v94, s25
	v_cndmask_b32_e64 v85, v85, v94, s17
	s_mul_i32 s9, s37, 3
	s_delay_alu instid0(VALU_DEP_2) | instskip(NEXT) | instid1(VALU_DEP_2)
	v_cndmask_b32_e64 v88, v89, v84, s28
	v_cndmask_b32_e64 v89, v85, v84, s19
	s_delay_alu instid0(VALU_DEP_2) | instskip(NEXT) | instid1(VALU_DEP_2)
	v_perm_b32 v85, v88, v90, 0x5040100
	v_perm_b32 v84, v89, v66, 0x5040100
	ds_store_b128 v76, v[69:72]
	ds_store_b128 v76, v[83:86] offset:1024
	v_cmpx_gt_u32_e32 3, v0
	s_cbranch_execz .LBB1464_78
; %bb.77:
	s_mul_i32 s5, s9, s34
	s_load_b128 s[16:19], s[0:1], 0x58
	v_add3_u32 v69, s5, s31, v65
	s_delay_alu instid0(VALU_DEP_1) | instskip(NEXT) | instid1(VALU_DEP_1)
	v_mad_u64_u32 v[65:66], null, v69, s36, s[14:15]
	v_ashrrev_i32_e32 v66, 31, v65
	s_delay_alu instid0(VALU_DEP_1) | instskip(SKIP_1) | instid1(VALU_DEP_1)
	v_lshlrev_b64 v[65:66], 2, v[65:66]
	s_waitcnt lgkmcnt(0)
	v_add_co_u32 v69, vcc_lo, s18, v65
	s_delay_alu instid0(VALU_DEP_2)
	v_add_co_ci_u32_e32 v70, vcc_lo, s19, v66, vcc_lo
	v_add_co_u32 v65, vcc_lo, s16, v65
	v_add_co_ci_u32_e32 v66, vcc_lo, s17, v66, vcc_lo
	global_store_b32 v[69:70], v67, off
	global_store_b32 v[65:66], v68, off
.LBB1464_78:
	s_or_b32 exec_lo, exec_lo, s4
	s_waitcnt lgkmcnt(0)
	s_waitcnt_vscnt null, 0x0
	s_barrier
	buffer_gl0_inv
	ds_load_b128 v[83:86], v80
	ds_load_b128 v[87:90], v80 offset:16
	ds_load_b128 v[95:98], v80 offset:2064
	;; [unrolled: 1-line block ×3, first 2 shown]
	v_mov_b32_e32 v65, 0
	ds_load_b128 v[103:106], v80 offset:4112
	ds_load_b128 v[99:102], v80 offset:4096
	;; [unrolled: 1-line block ×4, first 2 shown]
	v_mov_b32_e32 v66, v65
	v_mov_b32_e32 v67, v65
	;; [unrolled: 1-line block ×7, first 2 shown]
	s_waitcnt lgkmcnt(6)
	s_delay_alu instid0(VALU_DEP_1)
	v_wmma_f32_16x16x16_bf16 v[65:72], v[57:64], v[83:90], v[65:72]
	ds_load_b128 v[61:64], v80 offset:8208
	ds_load_b128 v[57:60], v80 offset:8192
	s_waitcnt lgkmcnt(6)
	v_wmma_f32_16x16x16_bf16 v[65:72], v[41:48], v[91:98], v[65:72]
	ds_load_b128 v[45:48], v80 offset:10256
	ds_load_b128 v[41:44], v80 offset:10240
	s_waitcnt lgkmcnt(6)
	;; [unrolled: 4-line block ×4, first 2 shown]
	v_wmma_f32_16x16x16_bf16 v[65:72], v[1:8], v[57:64], v[65:72]
	s_waitcnt lgkmcnt(4)
	s_delay_alu instid0(VALU_DEP_1) | instskip(SKIP_1) | instid1(VALU_DEP_1)
	v_wmma_f32_16x16x16_bf16 v[65:72], v[9:16], v[41:48], v[65:72]
	s_waitcnt lgkmcnt(2)
	v_wmma_f32_16x16x16_bf16 v[65:72], v[17:24], v[33:40], v[65:72]
	s_waitcnt lgkmcnt(0)
	s_delay_alu instid0(VALU_DEP_1) | instskip(NEXT) | instid1(VALU_DEP_1)
	v_wmma_f32_16x16x16_bf16 v[65:72], v[49:56], v[25:32], v[65:72]
	v_and_b32_e32 v1, 0x7f800000, v65
	s_delay_alu instid0(VALU_DEP_1) | instskip(SKIP_1) | instid1(SALU_CYCLE_1)
	v_cmp_ne_u32_e32 vcc_lo, 0x7f800000, v1
                                        ; implicit-def: $vgpr1
	s_and_saveexec_b32 s4, vcc_lo
	s_xor_b32 s4, exec_lo, s4
; %bb.79:
	v_bfe_u32 v1, v65, 16, 1
	s_delay_alu instid0(VALU_DEP_1)
	v_add3_u32 v1, v65, v1, 0x7fff
; %bb.80:
	s_and_not1_saveexec_b32 s4, s4
; %bb.81:
	v_and_b32_e32 v1, 0xffff, v65
	v_or_b32_e32 v2, 0x10000, v65
	s_delay_alu instid0(VALU_DEP_2) | instskip(NEXT) | instid1(VALU_DEP_2)
	v_cmp_eq_u32_e32 vcc_lo, 0, v1
	v_cndmask_b32_e32 v1, v2, v65, vcc_lo
; %bb.82:
	s_or_b32 exec_lo, exec_lo, s4
	v_and_b32_e32 v2, 0x7f800000, v66
	s_delay_alu instid0(VALU_DEP_1) | instskip(SKIP_1) | instid1(SALU_CYCLE_1)
	v_cmp_ne_u32_e32 vcc_lo, 0x7f800000, v2
                                        ; implicit-def: $vgpr2
	s_and_saveexec_b32 s4, vcc_lo
	s_xor_b32 s4, exec_lo, s4
; %bb.83:
	v_bfe_u32 v2, v66, 16, 1
	s_delay_alu instid0(VALU_DEP_1)
	v_add3_u32 v2, v66, v2, 0x7fff
; %bb.84:
	s_and_not1_saveexec_b32 s4, s4
; %bb.85:
	v_and_b32_e32 v2, 0xffff, v66
	v_or_b32_e32 v3, 0x10000, v66
	s_delay_alu instid0(VALU_DEP_2) | instskip(NEXT) | instid1(VALU_DEP_2)
	v_cmp_eq_u32_e32 vcc_lo, 0, v2
	v_cndmask_b32_e32 v2, v3, v66, vcc_lo
; %bb.86:
	s_or_b32 exec_lo, exec_lo, s4
	v_and_b32_e32 v3, 0x7f800000, v67
	s_delay_alu instid0(VALU_DEP_1) | instskip(SKIP_1) | instid1(SALU_CYCLE_1)
	v_cmp_ne_u32_e32 vcc_lo, 0x7f800000, v3
                                        ; implicit-def: $vgpr3
	s_and_saveexec_b32 s4, vcc_lo
	s_xor_b32 s4, exec_lo, s4
; %bb.87:
	v_bfe_u32 v3, v67, 16, 1
	s_delay_alu instid0(VALU_DEP_1)
	v_add3_u32 v3, v67, v3, 0x7fff
; %bb.88:
	s_and_not1_saveexec_b32 s4, s4
; %bb.89:
	v_and_b32_e32 v3, 0xffff, v67
	v_or_b32_e32 v4, 0x10000, v67
	s_delay_alu instid0(VALU_DEP_2) | instskip(NEXT) | instid1(VALU_DEP_2)
	v_cmp_eq_u32_e32 vcc_lo, 0, v3
	v_cndmask_b32_e32 v3, v4, v67, vcc_lo
; %bb.90:
	s_or_b32 exec_lo, exec_lo, s4
	v_and_b32_e32 v4, 0x7f800000, v68
	s_delay_alu instid0(VALU_DEP_1) | instskip(SKIP_1) | instid1(SALU_CYCLE_1)
	v_cmp_ne_u32_e32 vcc_lo, 0x7f800000, v4
                                        ; implicit-def: $vgpr4
	s_and_saveexec_b32 s4, vcc_lo
	s_xor_b32 s4, exec_lo, s4
; %bb.91:
	v_bfe_u32 v4, v68, 16, 1
	s_delay_alu instid0(VALU_DEP_1)
	v_add3_u32 v4, v68, v4, 0x7fff
; %bb.92:
	s_and_not1_saveexec_b32 s4, s4
; %bb.93:
	v_and_b32_e32 v4, 0xffff, v68
	v_or_b32_e32 v5, 0x10000, v68
	s_delay_alu instid0(VALU_DEP_2) | instskip(NEXT) | instid1(VALU_DEP_2)
	v_cmp_eq_u32_e32 vcc_lo, 0, v4
	v_cndmask_b32_e32 v4, v5, v68, vcc_lo
; %bb.94:
	s_or_b32 exec_lo, exec_lo, s4
	v_and_b32_e32 v5, 0x7f800000, v69
	s_delay_alu instid0(VALU_DEP_1) | instskip(SKIP_1) | instid1(SALU_CYCLE_1)
	v_cmp_ne_u32_e32 vcc_lo, 0x7f800000, v5
                                        ; implicit-def: $vgpr5
	s_and_saveexec_b32 s4, vcc_lo
	s_xor_b32 s4, exec_lo, s4
; %bb.95:
	v_bfe_u32 v5, v69, 16, 1
	s_delay_alu instid0(VALU_DEP_1)
	v_add3_u32 v5, v69, v5, 0x7fff
; %bb.96:
	s_and_not1_saveexec_b32 s4, s4
; %bb.97:
	v_and_b32_e32 v5, 0xffff, v69
	v_or_b32_e32 v6, 0x10000, v69
	s_delay_alu instid0(VALU_DEP_2) | instskip(NEXT) | instid1(VALU_DEP_2)
	v_cmp_eq_u32_e32 vcc_lo, 0, v5
	v_cndmask_b32_e32 v5, v6, v69, vcc_lo
; %bb.98:
	s_or_b32 exec_lo, exec_lo, s4
	v_and_b32_e32 v6, 0x7f800000, v70
	s_delay_alu instid0(VALU_DEP_1) | instskip(SKIP_1) | instid1(SALU_CYCLE_1)
	v_cmp_ne_u32_e32 vcc_lo, 0x7f800000, v6
                                        ; implicit-def: $vgpr6
	s_and_saveexec_b32 s4, vcc_lo
	s_xor_b32 s4, exec_lo, s4
; %bb.99:
	v_bfe_u32 v6, v70, 16, 1
	s_delay_alu instid0(VALU_DEP_1)
	v_add3_u32 v6, v70, v6, 0x7fff
; %bb.100:
	s_and_not1_saveexec_b32 s4, s4
; %bb.101:
	v_and_b32_e32 v6, 0xffff, v70
	v_or_b32_e32 v7, 0x10000, v70
	s_delay_alu instid0(VALU_DEP_2) | instskip(NEXT) | instid1(VALU_DEP_2)
	v_cmp_eq_u32_e32 vcc_lo, 0, v6
	v_cndmask_b32_e32 v6, v7, v70, vcc_lo
; %bb.102:
	s_or_b32 exec_lo, exec_lo, s4
	v_and_b32_e32 v7, 0x7f800000, v71
	s_delay_alu instid0(VALU_DEP_1) | instskip(SKIP_1) | instid1(SALU_CYCLE_1)
	v_cmp_ne_u32_e32 vcc_lo, 0x7f800000, v7
                                        ; implicit-def: $vgpr7
	s_and_saveexec_b32 s4, vcc_lo
	s_xor_b32 s4, exec_lo, s4
; %bb.103:
	v_bfe_u32 v7, v71, 16, 1
	s_delay_alu instid0(VALU_DEP_1)
	v_add3_u32 v7, v71, v7, 0x7fff
; %bb.104:
	s_and_not1_saveexec_b32 s4, s4
; %bb.105:
	v_and_b32_e32 v7, 0xffff, v71
	v_or_b32_e32 v8, 0x10000, v71
	s_delay_alu instid0(VALU_DEP_2) | instskip(NEXT) | instid1(VALU_DEP_2)
	v_cmp_eq_u32_e32 vcc_lo, 0, v7
	v_cndmask_b32_e32 v7, v8, v71, vcc_lo
; %bb.106:
	s_or_b32 exec_lo, exec_lo, s4
	v_and_b32_e32 v8, 0x7f800000, v72
	s_delay_alu instid0(VALU_DEP_1) | instskip(SKIP_1) | instid1(SALU_CYCLE_1)
	v_cmp_ne_u32_e32 vcc_lo, 0x7f800000, v8
                                        ; implicit-def: $vgpr8
	s_and_saveexec_b32 s4, vcc_lo
	s_xor_b32 s4, exec_lo, s4
; %bb.107:
	v_bfe_u32 v8, v72, 16, 1
	s_delay_alu instid0(VALU_DEP_1)
	v_add3_u32 v8, v72, v8, 0x7fff
                                        ; implicit-def: $vgpr65_vgpr66_vgpr67_vgpr68_vgpr69_vgpr70_vgpr71_vgpr72
; %bb.108:
	s_and_not1_saveexec_b32 s4, s4
; %bb.109:
	v_and_b32_e32 v8, 0xffff, v72
	v_or_b32_e32 v9, 0x10000, v72
	s_delay_alu instid0(VALU_DEP_2) | instskip(NEXT) | instid1(VALU_DEP_2)
	v_cmp_eq_u32_e32 vcc_lo, 0, v8
	v_cndmask_b32_e32 v8, v9, v72, vcc_lo
; %bb.110:
	s_or_b32 exec_lo, exec_lo, s4
	s_delay_alu instid0(VALU_DEP_1)
	v_perm_b32 v7, v8, v7, 0x7060302
	v_perm_b32 v6, v6, v5, 0x7060302
	;; [unrolled: 1-line block ×4, first 2 shown]
	s_barrier
	buffer_gl0_inv
	v_cmp_eq_u32_e32 vcc_lo, 1, v78
	ds_store_b128 v76, v[4:7]
	s_waitcnt lgkmcnt(0)
	s_barrier
	buffer_gl0_inv
	ds_load_b128 v[1:4], v82
	ds_load_b128 v[5:8], v82 offset:16
	v_cmp_eq_u32_e64 s4, 1, v79
	v_cmp_eq_u32_e64 s5, 2, v78
	;; [unrolled: 1-line block ×5, first 2 shown]
	s_waitcnt lgkmcnt(1)
	v_lshrrev_b32_e32 v9, 16, v1
	s_waitcnt lgkmcnt(0)
	v_lshrrev_b32_e32 v13, 16, v5
	v_lshrrev_b32_e32 v10, 16, v2
	;; [unrolled: 1-line block ×4, first 2 shown]
	v_cndmask_b32_e64 v19, v1, v9, s4
	v_cndmask_b32_e32 v18, v5, v13, vcc_lo
	v_cndmask_b32_e64 v20, v5, v13, s4
	v_cndmask_b32_e32 v17, v1, v9, vcc_lo
	v_cmp_eq_u32_e32 vcc_lo, 2, v79
	v_lshrrev_b32_e32 v15, 16, v7
	v_cmp_eq_u32_e64 s4, 1, v77
	v_lshrrev_b32_e32 v12, 16, v4
	v_lshrrev_b32_e32 v16, 16, v8
	v_cndmask_b32_e32 v20, v20, v6, vcc_lo
	v_cndmask_b32_e64 v17, v17, v2, s5
	v_cndmask_b32_e32 v19, v19, v2, vcc_lo
	v_cndmask_b32_e64 v18, v18, v6, s5
	v_cmp_eq_u32_e32 vcc_lo, 4, v78
	v_cmp_eq_u32_e64 s5, 3, v79
	v_cndmask_b32_e64 v17, v17, v10, s6
	v_cndmask_b32_e64 v21, v1, v9, s4
	;; [unrolled: 1-line block ×5, first 2 shown]
	v_cndmask_b32_e32 v17, v17, v3, vcc_lo
	v_cndmask_b32_e64 v20, v20, v14, s5
	v_cndmask_b32_e32 v18, v18, v7, vcc_lo
	v_cmp_eq_u32_e32 vcc_lo, 4, v79
	v_cmp_eq_u32_e64 s5, 5, v79
	v_cmp_eq_u32_e64 s4, 2, v81
	v_cndmask_b32_e64 v21, v21, v2, s8
	v_cmp_eq_u32_e64 s6, 5, v78
	v_cndmask_b32_e32 v19, v19, v3, vcc_lo
	v_cndmask_b32_e32 v20, v20, v7, vcc_lo
	v_cmp_eq_u32_e32 vcc_lo, 6, v79
	s_delay_alu instid0(VALU_DEP_4) | instskip(NEXT) | instid1(VALU_DEP_4)
	v_cndmask_b32_e64 v17, v17, v11, s6
	v_cndmask_b32_e64 v19, v19, v11, s5
	s_delay_alu instid0(VALU_DEP_4) | instskip(SKIP_1) | instid1(VALU_DEP_3)
	v_cndmask_b32_e64 v20, v20, v15, s5
	v_cmp_eq_u32_e64 s5, 1, v81
	v_cndmask_b32_e32 v19, v19, v4, vcc_lo
	v_cndmask_b32_e64 v18, v18, v15, s6
	s_delay_alu instid0(VALU_DEP_3)
	v_cndmask_b32_e64 v1, v1, v9, s5
	v_cndmask_b32_e64 v5, v5, v13, s5
	v_cmp_eq_u32_e64 s5, 3, v77
	v_cndmask_b32_e64 v13, v22, v6, s8
	v_cmp_eq_u32_e64 s8, 3, v81
	v_cndmask_b32_e64 v1, v1, v2, s4
	v_cndmask_b32_e64 v2, v5, v6, s4
	;; [unrolled: 1-line block ×3, first 2 shown]
	v_cmp_eq_u32_e64 s4, 4, v77
	v_cndmask_b32_e64 v6, v13, v14, s5
	v_cndmask_b32_e64 v1, v1, v10, s8
	v_cmp_eq_u32_e64 s5, 4, v81
	v_cndmask_b32_e64 v2, v2, v14, s8
	v_cndmask_b32_e64 v5, v9, v3, s4
	v_cmp_eq_u32_e64 s8, 5, v77
	v_cndmask_b32_e64 v6, v6, v7, s4
	v_cndmask_b32_e64 v1, v1, v3, s5
	v_cndmask_b32_e64 v2, v2, v7, s5
	v_cmp_eq_u32_e64 s4, 5, v81
	v_cmp_eq_u32_e64 s6, 6, v78
	v_cndmask_b32_e64 v5, v5, v11, s8
	v_cmp_eq_u32_e64 s5, 6, v77
	v_cndmask_b32_e64 v3, v6, v15, s8
	v_cndmask_b32_e64 v1, v1, v11, s4
	v_cmp_eq_u32_e64 s8, 6, v81
	v_cndmask_b32_e64 v2, v2, v15, s4
	v_cndmask_b32_e64 v17, v17, v4, s6
	v_cndmask_b32_e64 v18, v18, v8, s6
	v_cmp_eq_u32_e64 s6, 7, v78
	v_cndmask_b32_e64 v5, v5, v4, s5
	;; [unrolled: 4-line block ×3, first 2 shown]
	v_cmp_eq_u32_e64 s5, 7, v77
	v_cndmask_b32_e32 v4, v20, v8, vcc_lo
	v_cndmask_b32_e64 v17, v17, v12, s6
	v_cndmask_b32_e64 v19, v19, v12, s7
	;; [unrolled: 1-line block ×8, first 2 shown]
	v_cmp_gt_u32_e32 vcc_lo, 32, v0
	v_perm_b32 v4, v2, v1, 0x5040100
	v_perm_b32 v3, v3, v5, 0x5040100
	;; [unrolled: 1-line block ×4, first 2 shown]
	s_and_b32 s2, vcc_lo, s2
	ds_store_b128 v76, v[1:4]
	s_waitcnt lgkmcnt(0)
	s_barrier
	buffer_gl0_inv
	s_and_saveexec_b32 s4, s2
	s_cbranch_execz .LBB1464_2
; %bb.111:
	s_load_b64 s[4:5], s[0:1], 0x68
	v_lshlrev_b32_e32 v0, 10, v0
	v_lshlrev_b32_e32 v2, 4, v75
	v_add_nc_u32_e32 v1, s31, v74
	s_lshl_b32 s0, s36, 6
	s_delay_alu instid0(SALU_CYCLE_1) | instskip(NEXT) | instid1(VALU_DEP_2)
	s_mul_i32 s1, s0, s34
	v_and_or_b32 v0, 0x3800, v0, v2
	s_mul_i32 s6, s1, s9
	v_mul_lo_u32 v1, v1, s0
	s_ashr_i32 s7, s6, 31
	s_delay_alu instid0(VALU_DEP_2) | instskip(SKIP_1) | instid1(VALU_DEP_2)
	v_lshl_or_b32 v3, v74, 6, v0
	s_lshl_b64 s[6:7], s[6:7], 1
	v_ashrrev_i32_e32 v2, 31, v1
	ds_load_b128 v[3:6], v3
	s_waitcnt lgkmcnt(0)
	s_add_u32 s1, s4, s6
	s_addc_u32 s2, s5, s7
	s_lshl_b32 s4, s14, 6
	v_lshlrev_b64 v[7:8], 1, v[1:2]
	s_ashr_i32 s5, s4, 31
	s_delay_alu instid0(SALU_CYCLE_1) | instskip(NEXT) | instid1(SALU_CYCLE_1)
	s_lshl_b64 s[4:5], s[4:5], 1
	s_add_u32 s1, s1, s4
	s_addc_u32 s2, s2, s5
	v_add_co_u32 v1, s1, s1, v73
	s_delay_alu instid0(VALU_DEP_1) | instskip(NEXT) | instid1(VALU_DEP_2)
	v_add_co_ci_u32_e64 v2, null, s2, 0, s1
	v_add_co_u32 v7, vcc_lo, v1, v7
	s_delay_alu instid0(VALU_DEP_2)
	v_add_co_ci_u32_e32 v8, vcc_lo, v2, v8, vcc_lo
	global_store_b128 v[7:8], v[3:6], off
	s_and_b32 exec_lo, exec_lo, s3
	s_cbranch_execz .LBB1464_2
; %bb.112:
	ds_load_b128 v[3:6], v0 offset:128
	s_add_i32 s1, s31, 2
	s_delay_alu instid0(SALU_CYCLE_1) | instskip(NEXT) | instid1(SALU_CYCLE_1)
	s_mul_i32 s0, s1, s0
	s_ashr_i32 s1, s0, 31
	s_delay_alu instid0(SALU_CYCLE_1) | instskip(NEXT) | instid1(SALU_CYCLE_1)
	s_lshl_b64 s[0:1], s[0:1], 1
	v_add_co_u32 v0, vcc_lo, v1, s0
	v_add_co_ci_u32_e32 v1, vcc_lo, s1, v2, vcc_lo
	s_waitcnt lgkmcnt(0)
	global_store_b128 v[0:1], v[3:6], off
	s_nop 0
	s_sendmsg sendmsg(MSG_DEALLOC_VGPRS)
	s_endpgm
	.section	.rodata,"a",@progbits
	.p2align	6, 0x0
	.amdhsa_kernel _Z39paged_attention_ll4mi_QKV_mfma16_kernelI14__hip_bfloat16hLN4vllm18Fp8KVCacheDataTypeE1EhLi32ELi64ELi256ELb0ELi3EL8MFMAType1EEvPKT_PKT0_S9_ifPKiSB_SB_iPKfiiiPfSE_PS4_PT2_iSD_SD_
		.amdhsa_group_segment_fixed_size 17472
		.amdhsa_private_segment_fixed_size 0
		.amdhsa_kernarg_size 400
		.amdhsa_user_sgpr_count 13
		.amdhsa_user_sgpr_dispatch_ptr 0
		.amdhsa_user_sgpr_queue_ptr 0
		.amdhsa_user_sgpr_kernarg_segment_ptr 1
		.amdhsa_user_sgpr_dispatch_id 0
		.amdhsa_user_sgpr_private_segment_size 0
		.amdhsa_wavefront_size32 1
		.amdhsa_uses_dynamic_stack 0
		.amdhsa_enable_private_segment 0
		.amdhsa_system_sgpr_workgroup_id_x 1
		.amdhsa_system_sgpr_workgroup_id_y 1
		.amdhsa_system_sgpr_workgroup_id_z 1
		.amdhsa_system_sgpr_workgroup_info 0
		.amdhsa_system_vgpr_workitem_id 0
		.amdhsa_next_free_vgpr 124
		.amdhsa_next_free_sgpr 42
		.amdhsa_reserve_vcc 1
		.amdhsa_float_round_mode_32 0
		.amdhsa_float_round_mode_16_64 0
		.amdhsa_float_denorm_mode_32 3
		.amdhsa_float_denorm_mode_16_64 3
		.amdhsa_dx10_clamp 1
		.amdhsa_ieee_mode 1
		.amdhsa_fp16_overflow 0
		.amdhsa_workgroup_processor_mode 1
		.amdhsa_memory_ordered 1
		.amdhsa_forward_progress 0
		.amdhsa_shared_vgpr_count 0
		.amdhsa_exception_fp_ieee_invalid_op 0
		.amdhsa_exception_fp_denorm_src 0
		.amdhsa_exception_fp_ieee_div_zero 0
		.amdhsa_exception_fp_ieee_overflow 0
		.amdhsa_exception_fp_ieee_underflow 0
		.amdhsa_exception_fp_ieee_inexact 0
		.amdhsa_exception_int_div_zero 0
	.end_amdhsa_kernel
	.section	.text._Z39paged_attention_ll4mi_QKV_mfma16_kernelI14__hip_bfloat16hLN4vllm18Fp8KVCacheDataTypeE1EhLi32ELi64ELi256ELb0ELi3EL8MFMAType1EEvPKT_PKT0_S9_ifPKiSB_SB_iPKfiiiPfSE_PS4_PT2_iSD_SD_,"axG",@progbits,_Z39paged_attention_ll4mi_QKV_mfma16_kernelI14__hip_bfloat16hLN4vllm18Fp8KVCacheDataTypeE1EhLi32ELi64ELi256ELb0ELi3EL8MFMAType1EEvPKT_PKT0_S9_ifPKiSB_SB_iPKfiiiPfSE_PS4_PT2_iSD_SD_,comdat
.Lfunc_end1464:
	.size	_Z39paged_attention_ll4mi_QKV_mfma16_kernelI14__hip_bfloat16hLN4vllm18Fp8KVCacheDataTypeE1EhLi32ELi64ELi256ELb0ELi3EL8MFMAType1EEvPKT_PKT0_S9_ifPKiSB_SB_iPKfiiiPfSE_PS4_PT2_iSD_SD_, .Lfunc_end1464-_Z39paged_attention_ll4mi_QKV_mfma16_kernelI14__hip_bfloat16hLN4vllm18Fp8KVCacheDataTypeE1EhLi32ELi64ELi256ELb0ELi3EL8MFMAType1EEvPKT_PKT0_S9_ifPKiSB_SB_iPKfiiiPfSE_PS4_PT2_iSD_SD_
                                        ; -- End function
	.section	.AMDGPU.csdata,"",@progbits
; Kernel info:
; codeLenInByte = 8724
; NumSgprs: 44
; NumVgprs: 124
; ScratchSize: 0
; MemoryBound: 0
; FloatMode: 240
; IeeeMode: 1
; LDSByteSize: 17472 bytes/workgroup (compile time only)
; SGPRBlocks: 5
; VGPRBlocks: 15
; NumSGPRsForWavesPerEU: 44
; NumVGPRsForWavesPerEU: 124
; Occupancy: 10
; WaveLimiterHint : 1
; COMPUTE_PGM_RSRC2:SCRATCH_EN: 0
; COMPUTE_PGM_RSRC2:USER_SGPR: 13
; COMPUTE_PGM_RSRC2:TRAP_HANDLER: 0
; COMPUTE_PGM_RSRC2:TGID_X_EN: 1
; COMPUTE_PGM_RSRC2:TGID_Y_EN: 1
; COMPUTE_PGM_RSRC2:TGID_Z_EN: 1
; COMPUTE_PGM_RSRC2:TIDIG_COMP_CNT: 0
	.section	.text._Z39paged_attention_ll4mi_QKV_mfma16_kernelI14__hip_bfloat16hLN4vllm18Fp8KVCacheDataTypeE1EhLi32ELi64ELi256ELb0ELi4EL8MFMAType1EEvPKT_PKT0_S9_ifPKiSB_SB_iPKfiiiPfSE_PS4_PT2_iSD_SD_,"axG",@progbits,_Z39paged_attention_ll4mi_QKV_mfma16_kernelI14__hip_bfloat16hLN4vllm18Fp8KVCacheDataTypeE1EhLi32ELi64ELi256ELb0ELi4EL8MFMAType1EEvPKT_PKT0_S9_ifPKiSB_SB_iPKfiiiPfSE_PS4_PT2_iSD_SD_,comdat
	.protected	_Z39paged_attention_ll4mi_QKV_mfma16_kernelI14__hip_bfloat16hLN4vllm18Fp8KVCacheDataTypeE1EhLi32ELi64ELi256ELb0ELi4EL8MFMAType1EEvPKT_PKT0_S9_ifPKiSB_SB_iPKfiiiPfSE_PS4_PT2_iSD_SD_ ; -- Begin function _Z39paged_attention_ll4mi_QKV_mfma16_kernelI14__hip_bfloat16hLN4vllm18Fp8KVCacheDataTypeE1EhLi32ELi64ELi256ELb0ELi4EL8MFMAType1EEvPKT_PKT0_S9_ifPKiSB_SB_iPKfiiiPfSE_PS4_PT2_iSD_SD_
	.globl	_Z39paged_attention_ll4mi_QKV_mfma16_kernelI14__hip_bfloat16hLN4vllm18Fp8KVCacheDataTypeE1EhLi32ELi64ELi256ELb0ELi4EL8MFMAType1EEvPKT_PKT0_S9_ifPKiSB_SB_iPKfiiiPfSE_PS4_PT2_iSD_SD_
	.p2align	8
	.type	_Z39paged_attention_ll4mi_QKV_mfma16_kernelI14__hip_bfloat16hLN4vllm18Fp8KVCacheDataTypeE1EhLi32ELi64ELi256ELb0ELi4EL8MFMAType1EEvPKT_PKT0_S9_ifPKiSB_SB_iPKfiiiPfSE_PS4_PT2_iSD_SD_,@function
_Z39paged_attention_ll4mi_QKV_mfma16_kernelI14__hip_bfloat16hLN4vllm18Fp8KVCacheDataTypeE1EhLi32ELi64ELi256ELb0ELi4EL8MFMAType1EEvPKT_PKT0_S9_ifPKiSB_SB_iPKfiiiPfSE_PS4_PT2_iSD_SD_: ; @_Z39paged_attention_ll4mi_QKV_mfma16_kernelI14__hip_bfloat16hLN4vllm18Fp8KVCacheDataTypeE1EhLi32ELi64ELi256ELb0ELi4EL8MFMAType1EEvPKT_PKT0_S9_ifPKiSB_SB_iPKfiiiPfSE_PS4_PT2_iSD_SD_
; %bb.0:
	s_load_b64 s[2:3], s[0:1], 0x30
	s_mov_b32 s30, s13
	s_waitcnt lgkmcnt(0)
	s_cmp_lg_u64 s[2:3], 0
	s_cselect_b32 s8, -1, 0
	s_ashr_i32 s31, s13, 31
	s_cmp_eq_u64 s[2:3], 0
	s_cbranch_scc1 .LBB1465_3
; %bb.1:
	s_lshl_b64 s[4:5], s[30:31], 2
	s_delay_alu instid0(SALU_CYCLE_1) | instskip(SKIP_4) | instid1(SALU_CYCLE_1)
	s_add_u32 s4, s2, s4
	s_addc_u32 s5, s3, s5
	s_load_b64 s[4:5], s[4:5], 0x0
	s_waitcnt lgkmcnt(0)
	s_sub_i32 s4, s5, s4
	s_cmp_eq_u32 s4, 1
	s_cselect_b32 s4, -1, 0
	s_delay_alu instid0(SALU_CYCLE_1)
	s_and_not1_b32 vcc_lo, exec_lo, s4
	s_cbranch_vccz .LBB1465_4
.LBB1465_2:
	s_endpgm
.LBB1465_3:
.LBB1465_4:
	s_load_b64 s[4:5], s[0:1], 0x28
	s_lshl_b64 s[6:7], s[30:31], 2
	s_waitcnt lgkmcnt(0)
	s_add_u32 s4, s4, s6
	s_addc_u32 s5, s5, s7
	s_lshl_b32 s12, s14, 8
	s_load_b32 s24, s[4:5], 0x0
	s_waitcnt lgkmcnt(0)
	s_cmp_ge_i32 s12, s24
	s_cbranch_scc1 .LBB1465_2
; %bb.5:
	s_clause 0x1
	s_load_b128 s[20:23], s[0:1], 0x8
	s_load_b64 s[4:5], s[0:1], 0x20
	s_and_not1_b32 vcc_lo, exec_lo, s8
	s_cbranch_vccnz .LBB1465_7
; %bb.6:
	s_add_u32 s2, s2, s6
	s_addc_u32 s3, s3, s7
	s_load_b32 s3, s[2:3], 0x0
	s_branch .LBB1465_8
.LBB1465_7:
	s_mov_b32 s3, s30
.LBB1465_8:
	s_load_b128 s[16:19], s[0:1], 0x48
	v_and_b32_e32 v66, 15, v0
	v_cmp_gt_u32_e32 vcc_lo, 64, v0
	v_lshrrev_b32_e32 v65, 5, v0
	v_and_b32_e32 v67, 31, v0
	v_and_b32_e32 v74, 1, v0
	v_lshlrev_b32_e32 v1, 3, v66
	v_cmp_gt_u32_e64 s2, 8, v66
	v_bfe_u32 v75, v0, 4, 1
	s_lshl_b32 s31, s15, 2
	s_delay_alu instid0(VALU_DEP_3) | instskip(NEXT) | instid1(VALU_DEP_3)
	v_lshlrev_b32_e32 v73, 1, v1
	s_and_b32 s7, vcc_lo, s2
	s_delay_alu instid0(SALU_CYCLE_1)
	s_and_saveexec_b32 s6, s7
	s_cbranch_execz .LBB1465_10
; %bb.9:
	v_lshl_or_b32 v5, v65, 1, v75
	s_load_b64 s[8:9], s[0:1], 0x0
	s_waitcnt lgkmcnt(0)
	s_mul_hi_i32 s11, s3, s16
	s_mul_i32 s10, s3, s16
	v_lshlrev_b32_e32 v6, 10, v66
	v_or_b32_e32 v1, s31, v5
	s_lshl_b64 s[10:11], s[10:11], 1
	v_lshlrev_b32_e32 v5, 6, v5
	v_lshlrev_b32_e32 v7, 10, v74
	v_and_b32_e32 v6, 0x3800, v6
	v_lshlrev_b32_e32 v1, 6, v1
	s_delay_alu instid0(VALU_DEP_2) | instskip(NEXT) | instid1(VALU_DEP_2)
	v_or3_b32 v5, v6, v7, v5
	v_ashrrev_i32_e32 v2, 31, v1
	s_delay_alu instid0(VALU_DEP_1) | instskip(SKIP_2) | instid1(VALU_DEP_1)
	v_lshlrev_b64 v[1:2], 1, v[1:2]
	s_add_u32 s3, s8, s10
	s_addc_u32 s7, s9, s11
	v_add_co_u32 v1, vcc_lo, s3, v1
	s_delay_alu instid0(VALU_DEP_2) | instskip(NEXT) | instid1(VALU_DEP_2)
	v_add_co_ci_u32_e32 v2, vcc_lo, s7, v2, vcc_lo
	v_add_co_u32 v1, vcc_lo, v1, v73
	s_delay_alu instid0(VALU_DEP_2)
	v_add_co_ci_u32_e32 v2, vcc_lo, 0, v2, vcc_lo
	global_load_b128 v[1:4], v[1:2], off
	s_waitcnt vmcnt(0)
	ds_store_b128 v5, v[1:4]
.LBB1465_10:
	s_or_b32 exec_lo, exec_lo, s6
	v_and_b32_e32 v1, 0xef, v0
	s_waitcnt lgkmcnt(0)
	s_add_i32 s3, s24, 31
	s_clause 0x1
	s_load_b32 s6, s[0:1], 0x38
	s_load_b32 s19, s[0:1], 0x1c
	s_ashr_i32 s7, s3, 31
	v_add_nc_u32_e32 v1, s12, v1
	s_lshr_b32 s7, s7, 27
	s_waitcnt lgkmcnt(0)
	s_add_i32 s3, s3, s7
	s_barrier
	v_ashrrev_i32_e32 v2, 31, v1
	v_or_b32_e32 v3, 16, v1
	s_ashr_i32 s3, s3, 5
	v_cmp_gt_i32_e32 vcc_lo, s24, v1
	s_add_i32 s3, s3, -1
	v_lshrrev_b32_e32 v2, 27, v2
	buffer_gl0_inv
	s_mul_i32 s27, s15, s18
	v_add_nc_u32_e32 v4, v1, v2
	s_mul_i32 s6, s30, s6
	s_delay_alu instid0(SALU_CYCLE_1) | instskip(NEXT) | instid1(VALU_DEP_1)
	s_ashr_i32 s7, s6, 31
	v_ashrrev_i32_e32 v4, 5, v4
	v_add_nc_u32_e32 v2, v3, v2
	s_lshl_b64 s[6:7], s[6:7], 2
	s_delay_alu instid0(SALU_CYCLE_1) | instskip(NEXT) | instid1(VALU_DEP_2)
	s_add_u32 s26, s4, s6
	v_cndmask_b32_e32 v1, s3, v4, vcc_lo
	s_delay_alu instid0(VALU_DEP_2)
	v_ashrrev_i32_e32 v2, 5, v2
	v_cmp_gt_i32_e32 vcc_lo, s24, v3
	s_addc_u32 s25, s5, s7
	s_ashr_i32 s28, s27, 31
	s_add_u32 s4, s20, s27
	s_addc_u32 s5, s21, s28
	v_cndmask_b32_e32 v3, s3, v2, vcc_lo
	v_ashrrev_i32_e32 v2, 31, v1
	s_lshl_b32 s6, s14, 3
	s_delay_alu instid0(SALU_CYCLE_1) | instskip(NEXT) | instid1(VALU_DEP_2)
	s_ashr_i32 s7, s6, 31
	v_ashrrev_i32_e32 v4, 31, v3
	s_delay_alu instid0(VALU_DEP_2) | instskip(SKIP_1) | instid1(SALU_CYCLE_1)
	v_lshlrev_b64 v[1:2], 2, v[1:2]
	s_lshl_b64 s[6:7], s[6:7], 2
	s_add_u32 s6, s26, s6
	s_delay_alu instid0(VALU_DEP_2) | instskip(SKIP_1) | instid1(VALU_DEP_2)
	v_lshlrev_b64 v[3:4], 2, v[3:4]
	s_addc_u32 s7, s25, s7
	v_add_co_u32 v1, vcc_lo, s26, v1
	v_add_co_ci_u32_e32 v2, vcc_lo, s25, v2, vcc_lo
	s_delay_alu instid0(VALU_DEP_3) | instskip(NEXT) | instid1(VALU_DEP_4)
	v_add_co_u32 v3, vcc_lo, s26, v3
	v_add_co_ci_u32_e32 v4, vcc_lo, s25, v4, vcc_lo
	s_clause 0x1
	global_load_b32 v5, v[1:2], off
	global_load_b32 v6, v[3:4], off
	s_or_b32 s8, s12, 32
	s_delay_alu instid0(SALU_CYCLE_1) | instskip(SKIP_2) | instid1(SALU_CYCLE_1)
	s_ashr_i32 s9, s8, 5
	s_cmp_lt_i32 s8, s24
	s_cselect_b32 s8, s9, s3
	s_ashr_i32 s9, s8, 31
	s_delay_alu instid0(SALU_CYCLE_1) | instskip(NEXT) | instid1(SALU_CYCLE_1)
	s_lshl_b64 s[8:9], s[8:9], 2
	s_add_u32 s8, s26, s8
	s_addc_u32 s9, s25, s9
	s_or_b32 s10, s12, 64
	s_delay_alu instid0(SALU_CYCLE_1) | instskip(SKIP_2) | instid1(SALU_CYCLE_1)
	s_ashr_i32 s11, s10, 5
	s_cmp_lt_i32 s10, s24
	s_cselect_b32 s10, s11, s3
	s_ashr_i32 s11, s10, 31
	s_delay_alu instid0(SALU_CYCLE_1) | instskip(NEXT) | instid1(SALU_CYCLE_1)
	s_lshl_b64 s[10:11], s[10:11], 2
	s_add_u32 s10, s26, s10
	s_addc_u32 s11, s25, s11
	;; [unrolled: 10-line block ×5, first 2 shown]
	s_clause 0x5
	s_load_b32 s21, s[6:7], 0x0
	s_load_b32 s13, s[8:9], 0x0
	;; [unrolled: 1-line block ×6, first 2 shown]
	s_or_b32 s7, s12, 0xc0
	s_delay_alu instid0(SALU_CYCLE_1) | instskip(SKIP_2) | instid1(SALU_CYCLE_1)
	s_ashr_i32 s8, s7, 5
	s_cmp_lt_i32 s7, s24
	s_cselect_b32 s10, s8, s3
	s_ashr_i32 s11, s10, 31
	s_delay_alu instid0(SALU_CYCLE_1) | instskip(NEXT) | instid1(SALU_CYCLE_1)
	s_lshl_b64 s[34:35], s[10:11], 2
	s_add_u32 s34, s26, s34
	s_addc_u32 s35, s25, s35
	s_or_b32 s29, s12, 0xe0
	s_delay_alu instid0(SALU_CYCLE_1)
	s_ashr_i32 s33, s29, 5
	s_cmp_lt_i32 s29, s24
	s_waitcnt vmcnt(1)
	v_mad_i64_i32 v[1:2], null, v5, s17, s[4:5]
	s_waitcnt vmcnt(0)
	v_mad_i64_i32 v[3:4], null, v6, s17, s[4:5]
	s_mov_b32 s4, 0
	s_delay_alu instid0(SALU_CYCLE_1)
	s_mov_b32 s5, s4
	s_mov_b32 s6, s4
	;; [unrolled: 1-line block ×7, first 2 shown]
	v_lshlrev_b32_e32 v5, 4, v66
	v_dual_mov_b32 v107, s11 :: v_dual_mov_b32 v102, s6
	v_dual_mov_b32 v106, s10 :: v_dual_mov_b32 v105, s9
	s_delay_alu instid0(VALU_DEP_3)
	v_add_co_u32 v1, vcc_lo, v1, v5
	v_add_co_ci_u32_e32 v2, vcc_lo, 0, v2, vcc_lo
	v_add_co_u32 v3, vcc_lo, v3, v5
	v_add_co_ci_u32_e32 v4, vcc_lo, 0, v4, vcc_lo
	s_clause 0x7
	global_load_b128 v[49:52], v[1:2], off
	global_load_b128 v[53:56], v[1:2], off offset:512
	global_load_b128 v[76:79], v[3:4], off offset:256
	;; [unrolled: 1-line block ×7, first 2 shown]
	v_dual_mov_b32 v100, s4 :: v_dual_and_b32 v1, 3, v0
	v_lshlrev_b32_e32 v2, 5, v66
	v_dual_mov_b32 v104, s8 :: v_dual_mov_b32 v103, s7
	v_mov_b32_e32 v101, s5
	s_cselect_b32 s4, s33, s3
	v_lshlrev_b32_e32 v70, 6, v1
	s_ashr_i32 s5, s4, 31
	v_lshl_or_b32 v1, v65, 9, v2
	s_lshl_b64 s[4:5], s[4:5], 2
	s_load_b32 s3, s[34:35], 0x0
	s_add_u32 s4, s26, s4
	s_addc_u32 s5, s25, s5
	ds_load_b128 v[108:111], v70
	ds_load_b128 v[112:115], v70 offset:1024
	s_load_b32 s4, s[4:5], 0x0
	s_add_u32 s6, s22, s27
	s_addc_u32 s7, s23, s28
	v_add_co_u32 v9, s6, s6, v1
	s_delay_alu instid0(VALU_DEP_1) | instskip(SKIP_1) | instid1(VALU_DEP_1)
	v_add_co_ci_u32_e64 v10, null, s7, 0, s6
	s_waitcnt lgkmcnt(0)
	v_mad_i64_i32 v[1:2], null, s21, s17, v[9:10]
	v_mad_i64_i32 v[3:4], null, s13, s17, v[9:10]
	;; [unrolled: 1-line block ×7, first 2 shown]
	s_clause 0x9
	global_load_b128 v[57:60], v[1:2], off
	global_load_b128 v[61:64], v[1:2], off offset:16
	global_load_b128 v[41:44], v[3:4], off
	global_load_b128 v[45:48], v[3:4], off offset:16
	;; [unrolled: 2-line block ×5, first 2 shown]
	v_mad_i64_i32 v[68:69], null, s4, s17, v[9:10]
	s_clause 0x3
	global_load_b128 v[9:12], v[13:14], off
	global_load_b128 v[13:16], v[13:14], off offset:16
	global_load_b128 v[17:20], v[21:22], off
	global_load_b128 v[21:24], v[21:22], off offset:16
	s_waitcnt vmcnt(20)
	v_wmma_f32_16x16x16_bf16 v[116:123], v[49:56], v[108:115], v[100:107]
	s_clause 0x1
	global_load_b128 v[49:52], v[68:69], off
	global_load_b128 v[53:56], v[68:69], off offset:16
	v_and_b32_e32 v68, 0xe0, v0
	v_mbcnt_lo_u32_b32 v69, -1, 0
	s_delay_alu instid0(VALU_DEP_2)
	v_add_nc_u32_e32 v68, s12, v68
	s_waitcnt vmcnt(20)
	v_wmma_f32_16x16x16_bf16 v[100:107], v[76:83], v[108:115], v[100:107]
	ds_load_b128 v[76:79], v70 offset:2048
	ds_load_b128 v[80:83], v70 offset:3072
	v_xor_b32_e32 v70, 16, v69
	s_waitcnt vmcnt(0) lgkmcnt(0)
	v_or_b32_e32 v68, v68, v75
	s_barrier
	buffer_gl0_inv
	v_cmp_gt_i32_e32 vcc_lo, 32, v70
	v_or_b32_e32 v71, 4, v68
	v_or_b32_e32 v72, 6, v68
	v_cmp_gt_i32_e64 s3, s24, v68
	v_or_b32_e32 v108, 8, v68
	v_or_b32_e32 v109, 10, v68
	v_cmp_gt_i32_e64 s4, s24, v71
	v_cmp_gt_i32_e64 s5, s24, v72
	s_delay_alu instid0(VALU_DEP_4) | instskip(NEXT) | instid1(VALU_DEP_4)
	v_cmp_gt_i32_e64 s6, s24, v108
	v_cmp_gt_i32_e64 s7, s24, v109
	v_wmma_f32_16x16x16_bf16 v[116:123], v[84:91], v[76:83], v[116:123]
	v_cndmask_b32_e32 v69, v69, v70, vcc_lo
	v_or_b32_e32 v70, 2, v68
	v_wmma_f32_16x16x16_bf16 v[100:107], v[92:99], v[76:83], v[100:107]
	v_or_b32_e32 v84, 12, v68
	v_dual_mul_f32 v78, s19, v123 :: v_dual_mul_f32 v83, s19, v118
	v_dual_mul_f32 v92, s19, v117 :: v_dual_mul_f32 v93, s19, v116
	s_delay_alu instid0(VALU_DEP_4) | instskip(SKIP_2) | instid1(VALU_DEP_4)
	v_mul_f32_e32 v94, s19, v107
	v_cmp_gt_i32_e32 vcc_lo, s24, v70
	v_dual_mul_f32 v81, s19, v120 :: v_dual_mul_f32 v82, s19, v119
	v_cndmask_b32_e64 v93, 0xff7fffff, v93, s3
	v_or_b32_e32 v85, 14, v68
	v_cndmask_b32_e32 v92, 0xff7fffff, v92, vcc_lo
	v_dual_mul_f32 v79, s19, v122 :: v_dual_mul_f32 v80, s19, v121
	v_cndmask_b32_e64 v71, 0xff7fffff, v83, s4
	v_cndmask_b32_e64 v72, 0xff7fffff, v82, s5
	s_delay_alu instid0(VALU_DEP_4)
	v_max3_f32 v82, v93, 0xff7fffff, v92
	v_or_b32_e32 v86, 16, v68
	v_or_b32_e32 v87, 18, v68
	v_cndmask_b32_e64 v81, 0xff7fffff, v81, s6
	v_cndmask_b32_e64 v80, 0xff7fffff, v80, s7
	v_max3_f32 v71, v82, v71, v72
	v_cmp_gt_i32_e64 s8, s24, v84
	v_cmp_gt_i32_e64 s9, s24, v85
	v_or_b32_e32 v88, 20, v68
	v_or_b32_e32 v89, 22, v68
	;; [unrolled: 1-line block ×6, first 2 shown]
	v_dual_mul_f32 v99, s19, v102 :: v_dual_mul_f32 v70, s19, v101
	v_mul_f32_e32 v68, s19, v100
	v_cndmask_b32_e64 v72, 0xff7fffff, v79, s8
	v_cndmask_b32_e64 v78, 0xff7fffff, v78, s9
	v_max3_f32 v71, v71, v81, v80
	v_cmp_gt_i32_e64 s10, s24, v86
	v_cmp_gt_i32_e64 s11, s24, v87
	v_dual_mul_f32 v97, s19, v104 :: v_dual_mul_f32 v98, s19, v103
	s_delay_alu instid0(VALU_DEP_4) | instskip(SKIP_1) | instid1(VALU_DEP_4)
	v_max3_f32 v71, v71, v72, v78
	v_cmp_gt_i32_e64 s12, s24, v88
	v_cndmask_b32_e64 v70, 0xff7fffff, v70, s11
	v_cmp_gt_i32_e64 s13, s24, v89
	v_lshlrev_b32_e32 v89, 2, v69
	v_cndmask_b32_e64 v68, 0xff7fffff, v68, s10
	v_dual_mul_f32 v95, s19, v106 :: v_dual_mul_f32 v96, s19, v105
	v_cndmask_b32_e64 v72, 0xff7fffff, v99, s12
	v_cndmask_b32_e64 v78, 0xff7fffff, v98, s13
	s_delay_alu instid0(VALU_DEP_4)
	v_max3_f32 v68, v71, v68, v70
	v_cmp_gt_i32_e64 s15, s24, v90
	v_cmp_gt_i32_e64 s16, s24, v91
	;; [unrolled: 1-line block ×4, first 2 shown]
	v_max3_f32 v68, v68, v72, v78
	v_cndmask_b32_e64 v70, 0xff7fffff, v97, s15
	v_cndmask_b32_e64 v71, 0xff7fffff, v96, s16
	;; [unrolled: 1-line block ×4, first 2 shown]
	s_delay_alu instid0(VALU_DEP_3) | instskip(NEXT) | instid1(VALU_DEP_1)
	v_max3_f32 v68, v68, v70, v71
	v_max3_f32 v68, v68, v72, v76
	ds_bpermute_b32 v69, v89, v68
	s_waitcnt lgkmcnt(0)
	v_max_f32_e32 v69, v69, v69
	s_delay_alu instid0(VALU_DEP_1) | instskip(NEXT) | instid1(VALU_DEP_1)
	v_max_f32_e32 v68, v68, v69
	v_fma_f32 v71, s19, v118, -v68
	s_delay_alu instid0(VALU_DEP_1)
	v_mul_f32_e32 v71, 0x3fb8aa3b, v71
	v_fma_f32 v69, s19, v116, -v68
	v_fma_f32 v70, s19, v117, -v68
	;; [unrolled: 1-line block ×4, first 2 shown]
	v_exp_f32_e32 v71, v71
	s_delay_alu instid0(VALU_DEP_3) | instskip(SKIP_2) | instid1(VALU_DEP_3)
	v_dual_mul_f32 v69, 0x3fb8aa3b, v69 :: v_dual_mul_f32 v70, 0x3fb8aa3b, v70
	v_fma_f32 v78, s19, v122, -v68
	v_fma_f32 v81, s19, v105, -v68
	v_exp_f32_e32 v69, v69
	s_delay_alu instid0(VALU_DEP_3) | instskip(SKIP_1) | instid1(VALU_DEP_2)
	v_exp_f32_e32 v70, v70
	v_mul_f32_e32 v77, 0x3fb8aa3b, v76
	v_mul_f32_e32 v81, 0x3fb8aa3b, v81
	s_delay_alu instid0(TRANS32_DEP_3) | instskip(SKIP_1) | instid1(VALU_DEP_3)
	v_cndmask_b32_e64 v83, 0, v71, s4
	v_fma_f32 v71, s19, v123, -v68
	v_exp_f32_e32 v81, v81
	s_delay_alu instid0(TRANS32_DEP_3) | instskip(NEXT) | instid1(TRANS32_DEP_2)
	v_cndmask_b32_e64 v80, 0, v69, s3
	v_cndmask_b32_e32 v76, 0, v70, vcc_lo
	v_fma_f32 v69, s19, v121, -v68
	v_mul_f32_e32 v72, 0x3fb8aa3b, v72
	v_exp_f32_e32 v77, v77
	v_dual_add_f32 v70, 0, v80 :: v_dual_mul_f32 v71, 0x3fb8aa3b, v71
	s_delay_alu instid0(VALU_DEP_3) | instskip(NEXT) | instid1(VALU_DEP_3)
	v_mul_f32_e32 v69, 0x3fb8aa3b, v69
	v_exp_f32_e32 v72, v72
	s_mov_b32 s3, exec_lo
	s_delay_alu instid0(VALU_DEP_2) | instskip(NEXT) | instid1(VALU_DEP_1)
	v_exp_f32_e32 v71, v71
	v_exp_f32_e32 v69, v69
	v_cndmask_b32_e64 v86, 0, v77, s6
	v_fma_f32 v77, s19, v101, -v68
	v_add_f32_e32 v70, v70, v76
	s_delay_alu instid0(TRANS32_DEP_3) | instskip(SKIP_1) | instid1(VALU_DEP_3)
	v_cndmask_b32_e64 v85, 0, v72, s5
	v_fma_f32 v72, s19, v100, -v68
	v_dual_mul_f32 v77, 0x3fb8aa3b, v77 :: v_dual_add_f32 v70, v70, v83
	s_delay_alu instid0(TRANS32_DEP_2) | instskip(SKIP_1) | instid1(TRANS32_DEP_1)
	v_cndmask_b32_e64 v88, 0, v71, s9
	v_fma_f32 v71, s19, v104, -v68
	v_cndmask_b32_e64 v87, 0, v69, s7
	s_delay_alu instid0(VALU_DEP_4) | instskip(NEXT) | instid1(VALU_DEP_2)
	v_exp_f32_e32 v77, v77
	v_dual_add_f32 v70, v70, v85 :: v_dual_mul_f32 v71, 0x3fb8aa3b, v71
	s_delay_alu instid0(VALU_DEP_1) | instskip(SKIP_2) | instid1(VALU_DEP_3)
	v_dual_mul_f32 v72, 0x3fb8aa3b, v72 :: v_dual_add_f32 v69, v70, v86
	v_mul_f32_e32 v78, 0x3fb8aa3b, v78
	v_fma_f32 v70, s19, v102, -v68
	v_exp_f32_e32 v72, v72
	v_exp_f32_e32 v82, v71
	v_add_f32_e32 v69, v69, v87
	v_exp_f32_e32 v78, v78
	v_mul_f32_e32 v70, 0x3fb8aa3b, v70
	s_delay_alu instid0(VALU_DEP_1) | instskip(SKIP_4) | instid1(VALU_DEP_2)
	v_exp_f32_e32 v79, v70
	v_cndmask_b32_e64 v70, 0, v72, s10
	s_waitcnt_depctr 0xfff
	v_cndmask_b32_e64 v84, 0, v78, s8
	v_fma_f32 v78, s19, v103, -v68
	v_add_f32_e32 v69, v69, v84
	v_cndmask_b32_e64 v71, 0, v79, s12
	s_delay_alu instid0(VALU_DEP_2) | instskip(SKIP_2) | instid1(VALU_DEP_1)
	v_add_f32_e32 v72, v69, v88
	v_cndmask_b32_e64 v69, 0, v77, s11
	v_fma_f32 v77, s19, v106, -v68
	v_dual_mul_f32 v77, 0x3fb8aa3b, v77 :: v_dual_add_f32 v72, v72, v70
	v_mul_f32_e32 v78, 0x3fb8aa3b, v78
	s_delay_alu instid0(VALU_DEP_2) | instskip(NEXT) | instid1(VALU_DEP_2)
	v_exp_f32_e32 v90, v77
	v_add_f32_e32 v79, v72, v69
	s_delay_alu instid0(VALU_DEP_2)
	v_exp_f32_e32 v78, v78
	v_cndmask_b32_e64 v77, 0, v82, s15
	s_waitcnt_depctr 0xfff
	v_cndmask_b32_e64 v72, 0, v78, s13
	v_add_f32_e32 v78, v79, v71
	v_fma_f32 v79, s19, v107, -v68
	s_delay_alu instid0(VALU_DEP_1) | instskip(SKIP_1) | instid1(VALU_DEP_2)
	v_dual_add_f32 v82, v78, v72 :: v_dual_mul_f32 v79, 0x3fb8aa3b, v79
	v_cndmask_b32_e64 v78, 0, v81, s16
	v_add_f32_e32 v81, v82, v77
	s_delay_alu instid0(VALU_DEP_3) | instskip(SKIP_1) | instid1(VALU_DEP_2)
	v_exp_f32_e32 v82, v79
	v_cndmask_b32_e64 v79, 0, v90, s17
	v_add_f32_e32 v81, v81, v78
	s_delay_alu instid0(VALU_DEP_1) | instskip(SKIP_2) | instid1(VALU_DEP_1)
	v_add_f32_e32 v90, v81, v79
	s_waitcnt_depctr 0xfff
	v_cndmask_b32_e64 v81, 0, v82, s18
	v_add_f32_e32 v82, v90, v81
	ds_bpermute_b32 v89, v89, v82
	v_cmpx_gt_u32_e32 16, v67
	s_cbranch_execz .LBB1465_12
; %bb.11:
	v_mul_u32_u24_e32 v67, 0x44, v65
	s_delay_alu instid0(VALU_DEP_1) | instskip(SKIP_1) | instid1(VALU_DEP_1)
	v_lshl_add_u32 v67, v66, 2, v67
	s_waitcnt lgkmcnt(0)
	v_dual_add_f32 v82, v82, v89 :: v_dual_add_nc_u32 v67, 0x4000, v67
	ds_store_2addr_b32 v67, v68, v82 offset1:136
.LBB1465_12:
	s_or_b32 exec_lo, exec_lo, s3
	v_lshlrev_b32_e32 v67, 2, v66
	s_waitcnt lgkmcnt(0)
	s_barrier
	buffer_gl0_inv
	v_cmp_eq_u32_e32 vcc_lo, 1, v65
	v_add_nc_u32_e32 v82, 0x4000, v67
	v_cmp_eq_u32_e64 s3, 2, v65
	v_cmp_eq_u32_e64 s5, 7, v65
	ds_load_2addr_b32 v[89:90], v82 offset1:17
	ds_load_2addr_b32 v[91:92], v82 offset0:34 offset1:51
	ds_load_2addr_b32 v[93:94], v82 offset0:68 offset1:85
	;; [unrolled: 1-line block ×4, first 2 shown]
	s_waitcnt lgkmcnt(4)
	v_max3_f32 v67, v89, 0xff7fffff, v90
	s_waitcnt lgkmcnt(3)
	s_delay_alu instid0(VALU_DEP_1) | instskip(SKIP_1) | instid1(VALU_DEP_1)
	v_max3_f32 v67, v67, v91, v92
	s_waitcnt lgkmcnt(2)
	v_max3_f32 v67, v67, v93, v94
	s_waitcnt lgkmcnt(1)
	s_delay_alu instid0(VALU_DEP_1) | instskip(NEXT) | instid1(VALU_DEP_1)
	v_max3_f32 v67, v67, v95, v96
	v_sub_f32_e32 v93, v93, v67
	s_delay_alu instid0(VALU_DEP_1) | instskip(NEXT) | instid1(VALU_DEP_1)
	v_dual_sub_f32 v68, v89, v67 :: v_dual_mul_f32 v103, 0x3fb8aa3b, v93
	v_mul_f32_e32 v68, 0x3fb8aa3b, v68
	s_delay_alu instid0(VALU_DEP_1)
	v_exp_f32_e32 v100, v68
	v_sub_f32_e32 v68, v92, v67
	v_sub_f32_e32 v99, v90, v67
	ds_load_2addr_b32 v[89:90], v82 offset0:170 offset1:187
	v_dual_mul_f32 v102, 0x3fb8aa3b, v68 :: v_dual_mul_f32 v99, 0x3fb8aa3b, v99
	s_waitcnt lgkmcnt(1)
	v_fma_f32 v68, v100, v97, 0
	s_delay_alu instid0(VALU_DEP_2) | instskip(NEXT) | instid1(VALU_DEP_2)
	v_exp_f32_e32 v102, v102
	v_exp_f32_e32 v99, v99
	s_waitcnt_depctr 0xfff
	v_fmac_f32_e32 v68, v99, v98
	v_sub_f32_e32 v91, v91, v67
	s_delay_alu instid0(VALU_DEP_1)
	v_mul_f32_e32 v101, 0x3fb8aa3b, v91
	ds_load_2addr_b32 v[91:92], v82 offset0:204 offset1:221
	v_sub_f32_e32 v97, v94, v67
	ds_load_2addr_b32 v[93:94], v82 offset0:238 offset1:255
	s_waitcnt lgkmcnt(0)
	v_exp_f32_e32 v101, v101
	s_barrier
	buffer_gl0_inv
	v_dual_fmac_f32 v68, v101, v89 :: v_dual_sub_f32 v89, v96, v67
	v_dual_sub_f32 v82, v95, v67 :: v_dual_mul_f32 v95, 0x3fb8aa3b, v97
	v_exp_f32_e32 v97, v103
	s_delay_alu instid0(VALU_DEP_2) | instskip(NEXT) | instid1(VALU_DEP_2)
	v_dual_fmac_f32 v68, v102, v90 :: v_dual_mul_f32 v89, 0x3fb8aa3b, v89
	v_mul_f32_e32 v82, 0x3fb8aa3b, v82
	s_delay_alu instid0(VALU_DEP_3) | instskip(NEXT) | instid1(VALU_DEP_2)
	v_exp_f32_e32 v95, v95
	v_exp_f32_e32 v89, v89
	s_delay_alu instid0(VALU_DEP_1)
	v_exp_f32_e32 v82, v82
	v_fmac_f32_e32 v68, v97, v91
	s_delay_alu instid0(TRANS32_DEP_3) | instid1(VALU_DEP_1)
	v_fmac_f32_e32 v68, v95, v92
	s_waitcnt_depctr 0xfff
	v_fmac_f32_e32 v68, v82, v93
	s_delay_alu instid0(VALU_DEP_1) | instskip(NEXT) | instid1(VALU_DEP_1)
	v_fmac_f32_e32 v68, v89, v94
	v_add_f32_e32 v90, 0x358637bd, v68
	s_delay_alu instid0(VALU_DEP_1) | instskip(NEXT) | instid1(VALU_DEP_1)
	v_div_scale_f32 v91, null, v90, v90, 1.0
	v_rcp_f32_e32 v92, v91
	s_waitcnt_depctr 0xfff
	v_fma_f32 v93, -v91, v92, 1.0
	s_delay_alu instid0(VALU_DEP_1) | instskip(SKIP_1) | instid1(VALU_DEP_2)
	v_dual_fmac_f32 v92, v93, v92 :: v_dual_cndmask_b32 v93, v100, v99
	v_cmp_eq_u32_e32 vcc_lo, 3, v65
	v_cndmask_b32_e64 v93, v93, v101, s3
	v_cmp_eq_u32_e64 s3, 4, v65
	s_delay_alu instid0(VALU_DEP_2) | instskip(SKIP_1) | instid1(VALU_DEP_2)
	v_cndmask_b32_e32 v93, v93, v102, vcc_lo
	v_cmp_eq_u32_e32 vcc_lo, 5, v65
	v_cndmask_b32_e64 v93, v93, v97, s3
	v_cmp_eq_u32_e64 s3, 6, v65
	s_delay_alu instid0(VALU_DEP_2) | instskip(SKIP_1) | instid1(VALU_DEP_1)
	v_cndmask_b32_e32 v93, v93, v95, vcc_lo
	v_div_scale_f32 v94, s4, 1.0, v90, 1.0
	s_mov_b32 vcc_lo, s4
	s_delay_alu instid0(VALU_DEP_2) | instskip(NEXT) | instid1(VALU_DEP_2)
	v_cndmask_b32_e64 v82, v93, v82, s3
	v_mul_f32_e32 v96, v94, v92
	s_mov_b32 s3, exec_lo
	s_delay_alu instid0(VALU_DEP_2) | instskip(NEXT) | instid1(VALU_DEP_2)
	v_cndmask_b32_e64 v82, v82, v89, s5
	v_fma_f32 v98, -v91, v96, v94
	s_delay_alu instid0(VALU_DEP_1) | instskip(NEXT) | instid1(VALU_DEP_1)
	v_fmac_f32_e32 v96, v98, v92
	v_fma_f32 v91, -v91, v96, v94
	s_delay_alu instid0(VALU_DEP_1) | instskip(NEXT) | instid1(VALU_DEP_1)
	v_div_fmas_f32 v91, v91, v92, v96
	v_div_fixup_f32 v90, v91, v90, 1.0
	s_delay_alu instid0(VALU_DEP_1) | instskip(NEXT) | instid1(VALU_DEP_1)
	v_mul_f32_e32 v82, v82, v90
	v_mul_f32_e32 v87, v82, v87
	;; [unrolled: 1-line block ×7, first 2 shown]
	v_dual_mul_f32 v86, v82, v83 :: v_dual_and_b32 v91, 0x7f800000, v90
	v_mul_f32_e32 v85, v82, v76
                                        ; implicit-def: $vgpr76
	s_delay_alu instid0(VALU_DEP_2)
	v_cmpx_ne_u32_e32 0x7f800000, v91
	s_xor_b32 s3, exec_lo, s3
; %bb.13:
	v_bfe_u32 v76, v90, 16, 1
	s_delay_alu instid0(VALU_DEP_1)
	v_add3_u32 v76, v90, v76, 0x7fff
                                        ; implicit-def: $vgpr90
; %bb.14:
	s_and_not1_saveexec_b32 s3, s3
; %bb.15:
	v_and_b32_e32 v76, 0xffff, v90
	v_or_b32_e32 v83, 0x10000, v90
	s_delay_alu instid0(VALU_DEP_2) | instskip(NEXT) | instid1(VALU_DEP_2)
	v_cmp_eq_u32_e32 vcc_lo, 0, v76
	v_cndmask_b32_e32 v76, v83, v90, vcc_lo
; %bb.16:
	s_or_b32 exec_lo, exec_lo, s3
	v_and_b32_e32 v83, 0x7f800000, v85
	s_delay_alu instid0(VALU_DEP_1) | instskip(SKIP_1) | instid1(SALU_CYCLE_1)
	v_cmp_ne_u32_e32 vcc_lo, 0x7f800000, v83
                                        ; implicit-def: $vgpr83
	s_and_saveexec_b32 s3, vcc_lo
	s_xor_b32 s3, exec_lo, s3
; %bb.17:
	v_bfe_u32 v83, v85, 16, 1
	s_delay_alu instid0(VALU_DEP_1)
	v_add3_u32 v83, v85, v83, 0x7fff
                                        ; implicit-def: $vgpr85
; %bb.18:
	s_and_not1_saveexec_b32 s3, s3
; %bb.19:
	v_and_b32_e32 v83, 0xffff, v85
	v_or_b32_e32 v90, 0x10000, v85
	s_delay_alu instid0(VALU_DEP_2) | instskip(NEXT) | instid1(VALU_DEP_2)
	v_cmp_eq_u32_e32 vcc_lo, 0, v83
	v_cndmask_b32_e32 v83, v90, v85, vcc_lo
; %bb.20:
	s_or_b32 exec_lo, exec_lo, s3
	v_and_b32_e32 v85, 0x7f800000, v86
	s_delay_alu instid0(VALU_DEP_1) | instskip(SKIP_1) | instid1(SALU_CYCLE_1)
	v_cmp_ne_u32_e32 vcc_lo, 0x7f800000, v85
                                        ; implicit-def: $vgpr85
	s_and_saveexec_b32 s3, vcc_lo
	s_xor_b32 s3, exec_lo, s3
; %bb.21:
	v_bfe_u32 v85, v86, 16, 1
	s_delay_alu instid0(VALU_DEP_1)
	v_add3_u32 v85, v86, v85, 0x7fff
                                        ; implicit-def: $vgpr86
; %bb.22:
	s_and_not1_saveexec_b32 s3, s3
; %bb.23:
	v_and_b32_e32 v85, 0xffff, v86
	v_or_b32_e32 v90, 0x10000, v86
	s_delay_alu instid0(VALU_DEP_2) | instskip(NEXT) | instid1(VALU_DEP_2)
	v_cmp_eq_u32_e32 vcc_lo, 0, v85
	v_cndmask_b32_e32 v85, v90, v86, vcc_lo
; %bb.24:
	s_or_b32 exec_lo, exec_lo, s3
	v_and_b32_e32 v86, 0x7f800000, v89
	s_delay_alu instid0(VALU_DEP_1) | instskip(SKIP_1) | instid1(SALU_CYCLE_1)
	v_cmp_ne_u32_e32 vcc_lo, 0x7f800000, v86
                                        ; implicit-def: $vgpr86
	s_and_saveexec_b32 s3, vcc_lo
	s_xor_b32 s3, exec_lo, s3
; %bb.25:
	v_bfe_u32 v86, v89, 16, 1
	s_delay_alu instid0(VALU_DEP_1)
	v_add3_u32 v86, v89, v86, 0x7fff
                                        ; implicit-def: $vgpr89
; %bb.26:
	s_and_not1_saveexec_b32 s3, s3
; %bb.27:
	v_and_b32_e32 v86, 0xffff, v89
	v_or_b32_e32 v90, 0x10000, v89
	s_delay_alu instid0(VALU_DEP_2) | instskip(NEXT) | instid1(VALU_DEP_2)
	v_cmp_eq_u32_e32 vcc_lo, 0, v86
	v_cndmask_b32_e32 v86, v90, v89, vcc_lo
; %bb.28:
	s_or_b32 exec_lo, exec_lo, s3
	v_and_b32_e32 v89, 0x7f800000, v88
	s_delay_alu instid0(VALU_DEP_1) | instskip(SKIP_1) | instid1(SALU_CYCLE_1)
	v_cmp_ne_u32_e32 vcc_lo, 0x7f800000, v89
                                        ; implicit-def: $vgpr89
	s_and_saveexec_b32 s3, vcc_lo
	s_xor_b32 s3, exec_lo, s3
; %bb.29:
	v_bfe_u32 v89, v88, 16, 1
	s_delay_alu instid0(VALU_DEP_1)
	v_add3_u32 v89, v88, v89, 0x7fff
                                        ; implicit-def: $vgpr88
; %bb.30:
	s_and_not1_saveexec_b32 s3, s3
; %bb.31:
	v_and_b32_e32 v89, 0xffff, v88
	v_or_b32_e32 v90, 0x10000, v88
	s_delay_alu instid0(VALU_DEP_2) | instskip(NEXT) | instid1(VALU_DEP_2)
	v_cmp_eq_u32_e32 vcc_lo, 0, v89
	v_cndmask_b32_e32 v89, v90, v88, vcc_lo
; %bb.32:
	s_or_b32 exec_lo, exec_lo, s3
	v_and_b32_e32 v88, 0x7f800000, v87
	s_delay_alu instid0(VALU_DEP_1) | instskip(SKIP_1) | instid1(SALU_CYCLE_1)
	v_cmp_ne_u32_e32 vcc_lo, 0x7f800000, v88
                                        ; implicit-def: $vgpr88
	s_and_saveexec_b32 s3, vcc_lo
	s_xor_b32 s3, exec_lo, s3
; %bb.33:
	v_bfe_u32 v88, v87, 16, 1
	s_delay_alu instid0(VALU_DEP_1)
	v_add3_u32 v88, v87, v88, 0x7fff
                                        ; implicit-def: $vgpr87
; %bb.34:
	s_and_not1_saveexec_b32 s3, s3
; %bb.35:
	v_and_b32_e32 v88, 0xffff, v87
	v_or_b32_e32 v90, 0x10000, v87
	s_delay_alu instid0(VALU_DEP_2) | instskip(NEXT) | instid1(VALU_DEP_2)
	v_cmp_eq_u32_e32 vcc_lo, 0, v88
	v_cndmask_b32_e32 v88, v90, v87, vcc_lo
; %bb.36:
	s_or_b32 exec_lo, exec_lo, s3
	v_and_b32_e32 v87, 0x7f800000, v84
	s_delay_alu instid0(VALU_DEP_1) | instskip(SKIP_1) | instid1(SALU_CYCLE_1)
	v_cmp_ne_u32_e32 vcc_lo, 0x7f800000, v87
                                        ; implicit-def: $vgpr87
	s_and_saveexec_b32 s3, vcc_lo
	s_xor_b32 s3, exec_lo, s3
; %bb.37:
	v_bfe_u32 v87, v84, 16, 1
	s_delay_alu instid0(VALU_DEP_1)
	v_add3_u32 v87, v84, v87, 0x7fff
                                        ; implicit-def: $vgpr84
; %bb.38:
	s_and_not1_saveexec_b32 s3, s3
; %bb.39:
	v_and_b32_e32 v87, 0xffff, v84
	v_or_b32_e32 v90, 0x10000, v84
	s_delay_alu instid0(VALU_DEP_2) | instskip(NEXT) | instid1(VALU_DEP_2)
	v_cmp_eq_u32_e32 vcc_lo, 0, v87
	v_cndmask_b32_e32 v87, v90, v84, vcc_lo
; %bb.40:
	s_or_b32 exec_lo, exec_lo, s3
	v_and_b32_e32 v84, 0x7f800000, v80
	s_delay_alu instid0(VALU_DEP_1) | instskip(SKIP_1) | instid1(SALU_CYCLE_1)
	v_cmp_ne_u32_e32 vcc_lo, 0x7f800000, v84
                                        ; implicit-def: $vgpr84
	s_and_saveexec_b32 s3, vcc_lo
	s_xor_b32 s3, exec_lo, s3
; %bb.41:
	v_bfe_u32 v84, v80, 16, 1
	s_delay_alu instid0(VALU_DEP_1)
	v_add3_u32 v84, v80, v84, 0x7fff
                                        ; implicit-def: $vgpr80
; %bb.42:
	s_and_not1_saveexec_b32 s3, s3
; %bb.43:
	v_and_b32_e32 v84, 0xffff, v80
	v_or_b32_e32 v90, 0x10000, v80
	s_delay_alu instid0(VALU_DEP_2) | instskip(NEXT) | instid1(VALU_DEP_2)
	v_cmp_eq_u32_e32 vcc_lo, 0, v84
	v_cndmask_b32_e32 v84, v90, v80, vcc_lo
; %bb.44:
	s_or_b32 exec_lo, exec_lo, s3
	s_load_b64 s[34:35], s[0:1], 0x94
	v_lshlrev_b32_e32 v91, 4, v75
	s_delay_alu instid0(VALU_DEP_2)
	v_perm_b32 v90, v84, v87, 0x7060302
	v_dual_mul_f32 v77, v82, v77 :: v_dual_lshlrev_b32 v80, 6, v66
	v_lshlrev_b32_e32 v66, 11, v65
	v_perm_b32 v87, v83, v76, 0x7060302
	v_mul_f32_e32 v83, v82, v70
	v_perm_b32 v89, v88, v89, 0x7060302
	v_perm_b32 v88, v86, v85, 0x7060302
	v_or3_b32 v76, v91, v66, v80
	v_mul_f32_e32 v66, v82, v81
	v_mul_f32_e32 v70, v82, v79
	;; [unrolled: 1-line block ×3, first 2 shown]
	v_dual_mul_f32 v81, v82, v72 :: v_dual_and_b32 v84, 0x7f800000, v83
	v_mul_f32_e32 v79, v82, v71
	v_mul_f32_e32 v72, v82, v69
	s_mov_b32 s3, exec_lo
	ds_store_b128 v76, v[87:90]
                                        ; implicit-def: $vgpr69
	v_cmpx_ne_u32_e32 0x7f800000, v84
	s_xor_b32 s3, exec_lo, s3
; %bb.45:
	v_bfe_u32 v69, v83, 16, 1
	s_delay_alu instid0(VALU_DEP_1)
	v_add3_u32 v69, v83, v69, 0x7fff
                                        ; implicit-def: $vgpr83
; %bb.46:
	s_and_not1_saveexec_b32 s3, s3
; %bb.47:
	v_and_b32_e32 v69, 0xffff, v83
	v_or_b32_e32 v71, 0x10000, v83
	s_delay_alu instid0(VALU_DEP_2) | instskip(NEXT) | instid1(VALU_DEP_2)
	v_cmp_eq_u32_e32 vcc_lo, 0, v69
	v_cndmask_b32_e32 v69, v71, v83, vcc_lo
; %bb.48:
	s_or_b32 exec_lo, exec_lo, s3
	v_and_b32_e32 v71, 0x7f800000, v72
	s_delay_alu instid0(VALU_DEP_1) | instskip(SKIP_1) | instid1(SALU_CYCLE_1)
	v_cmp_ne_u32_e32 vcc_lo, 0x7f800000, v71
                                        ; implicit-def: $vgpr71
	s_and_saveexec_b32 s3, vcc_lo
	s_xor_b32 s3, exec_lo, s3
; %bb.49:
	v_bfe_u32 v71, v72, 16, 1
	s_delay_alu instid0(VALU_DEP_1)
	v_add3_u32 v71, v72, v71, 0x7fff
                                        ; implicit-def: $vgpr72
; %bb.50:
	s_and_not1_saveexec_b32 s3, s3
; %bb.51:
	v_and_b32_e32 v71, 0xffff, v72
	v_or_b32_e32 v82, 0x10000, v72
	s_delay_alu instid0(VALU_DEP_2) | instskip(NEXT) | instid1(VALU_DEP_2)
	v_cmp_eq_u32_e32 vcc_lo, 0, v71
	v_cndmask_b32_e32 v71, v82, v72, vcc_lo
; %bb.52:
	s_or_b32 exec_lo, exec_lo, s3
	v_and_b32_e32 v72, 0x7f800000, v79
	s_delay_alu instid0(VALU_DEP_1) | instskip(SKIP_1) | instid1(SALU_CYCLE_1)
	v_cmp_ne_u32_e32 vcc_lo, 0x7f800000, v72
                                        ; implicit-def: $vgpr72
	s_and_saveexec_b32 s3, vcc_lo
	s_xor_b32 s3, exec_lo, s3
; %bb.53:
	v_bfe_u32 v72, v79, 16, 1
	s_delay_alu instid0(VALU_DEP_1)
	v_add3_u32 v72, v79, v72, 0x7fff
                                        ; implicit-def: $vgpr79
; %bb.54:
	s_and_not1_saveexec_b32 s3, s3
; %bb.55:
	v_and_b32_e32 v72, 0xffff, v79
	v_or_b32_e32 v82, 0x10000, v79
	s_delay_alu instid0(VALU_DEP_2) | instskip(NEXT) | instid1(VALU_DEP_2)
	v_cmp_eq_u32_e32 vcc_lo, 0, v72
	v_cndmask_b32_e32 v72, v82, v79, vcc_lo
; %bb.56:
	s_or_b32 exec_lo, exec_lo, s3
	v_and_b32_e32 v79, 0x7f800000, v81
	s_delay_alu instid0(VALU_DEP_1) | instskip(SKIP_1) | instid1(SALU_CYCLE_1)
	v_cmp_ne_u32_e32 vcc_lo, 0x7f800000, v79
                                        ; implicit-def: $vgpr79
	s_and_saveexec_b32 s3, vcc_lo
	s_xor_b32 s3, exec_lo, s3
; %bb.57:
	v_bfe_u32 v79, v81, 16, 1
	s_delay_alu instid0(VALU_DEP_1)
	v_add3_u32 v79, v81, v79, 0x7fff
                                        ; implicit-def: $vgpr81
; %bb.58:
	s_and_not1_saveexec_b32 s3, s3
; %bb.59:
	v_and_b32_e32 v79, 0xffff, v81
	v_or_b32_e32 v82, 0x10000, v81
	s_delay_alu instid0(VALU_DEP_2) | instskip(NEXT) | instid1(VALU_DEP_2)
	v_cmp_eq_u32_e32 vcc_lo, 0, v79
	v_cndmask_b32_e32 v79, v82, v81, vcc_lo
; %bb.60:
	s_or_b32 exec_lo, exec_lo, s3
	v_and_b32_e32 v81, 0x7f800000, v77
	s_delay_alu instid0(VALU_DEP_1) | instskip(SKIP_1) | instid1(SALU_CYCLE_1)
	v_cmp_ne_u32_e32 vcc_lo, 0x7f800000, v81
                                        ; implicit-def: $vgpr81
	s_and_saveexec_b32 s3, vcc_lo
	s_xor_b32 s3, exec_lo, s3
; %bb.61:
	v_bfe_u32 v81, v77, 16, 1
	s_delay_alu instid0(VALU_DEP_1)
	v_add3_u32 v81, v77, v81, 0x7fff
                                        ; implicit-def: $vgpr77
; %bb.62:
	s_and_not1_saveexec_b32 s3, s3
; %bb.63:
	v_and_b32_e32 v81, 0xffff, v77
	v_or_b32_e32 v82, 0x10000, v77
	s_delay_alu instid0(VALU_DEP_2) | instskip(NEXT) | instid1(VALU_DEP_2)
	v_cmp_eq_u32_e32 vcc_lo, 0, v81
	v_cndmask_b32_e32 v81, v82, v77, vcc_lo
; %bb.64:
	s_or_b32 exec_lo, exec_lo, s3
	v_and_b32_e32 v77, 0x7f800000, v78
	s_delay_alu instid0(VALU_DEP_1) | instskip(SKIP_1) | instid1(SALU_CYCLE_1)
	v_cmp_ne_u32_e32 vcc_lo, 0x7f800000, v77
                                        ; implicit-def: $vgpr77
	s_and_saveexec_b32 s3, vcc_lo
	s_xor_b32 s3, exec_lo, s3
; %bb.65:
	v_bfe_u32 v77, v78, 16, 1
	s_delay_alu instid0(VALU_DEP_1)
	v_add3_u32 v77, v78, v77, 0x7fff
                                        ; implicit-def: $vgpr78
; %bb.66:
	s_and_not1_saveexec_b32 s3, s3
; %bb.67:
	v_and_b32_e32 v77, 0xffff, v78
	v_or_b32_e32 v82, 0x10000, v78
	s_delay_alu instid0(VALU_DEP_2) | instskip(NEXT) | instid1(VALU_DEP_2)
	v_cmp_eq_u32_e32 vcc_lo, 0, v77
	v_cndmask_b32_e32 v77, v82, v78, vcc_lo
; %bb.68:
	s_or_b32 exec_lo, exec_lo, s3
	v_and_b32_e32 v78, 0x7f800000, v70
	s_delay_alu instid0(VALU_DEP_1) | instskip(SKIP_1) | instid1(SALU_CYCLE_1)
	v_cmp_ne_u32_e32 vcc_lo, 0x7f800000, v78
                                        ; implicit-def: $vgpr78
	s_and_saveexec_b32 s3, vcc_lo
	s_xor_b32 s3, exec_lo, s3
; %bb.69:
	v_bfe_u32 v78, v70, 16, 1
	s_delay_alu instid0(VALU_DEP_1)
	v_add3_u32 v78, v70, v78, 0x7fff
                                        ; implicit-def: $vgpr70
; %bb.70:
	s_and_not1_saveexec_b32 s3, s3
; %bb.71:
	v_and_b32_e32 v78, 0xffff, v70
	v_or_b32_e32 v82, 0x10000, v70
	s_delay_alu instid0(VALU_DEP_2) | instskip(NEXT) | instid1(VALU_DEP_2)
	v_cmp_eq_u32_e32 vcc_lo, 0, v78
	v_cndmask_b32_e32 v78, v82, v70, vcc_lo
; %bb.72:
	s_or_b32 exec_lo, exec_lo, s3
	v_and_b32_e32 v70, 0x7f800000, v66
	s_delay_alu instid0(VALU_DEP_1) | instskip(SKIP_1) | instid1(SALU_CYCLE_1)
	v_cmp_ne_u32_e32 vcc_lo, 0x7f800000, v70
                                        ; implicit-def: $vgpr70
	s_and_saveexec_b32 s3, vcc_lo
	s_xor_b32 s3, exec_lo, s3
; %bb.73:
	v_bfe_u32 v70, v66, 16, 1
	s_delay_alu instid0(VALU_DEP_1)
	v_add3_u32 v70, v66, v70, 0x7fff
                                        ; implicit-def: $vgpr66
; %bb.74:
	s_and_not1_saveexec_b32 s3, s3
; %bb.75:
	v_and_b32_e32 v70, 0xffff, v66
	v_or_b32_e32 v82, 0x10000, v66
	s_delay_alu instid0(VALU_DEP_2) | instskip(NEXT) | instid1(VALU_DEP_2)
	v_cmp_eq_u32_e32 vcc_lo, 0, v70
	v_cndmask_b32_e32 v70, v82, v66, vcc_lo
; %bb.76:
	s_or_b32 exec_lo, exec_lo, s3
	s_delay_alu instid0(VALU_DEP_1)
	v_perm_b32 v86, v70, v78, 0x7060302
	v_perm_b32 v85, v77, v81, 0x7060302
	;; [unrolled: 1-line block ×4, first 2 shown]
	v_lshl_or_b32 v82, v65, 11, v80
	ds_store_b128 v76, v[83:86] offset:1024
	s_waitcnt lgkmcnt(0)
	s_barrier
	buffer_gl0_inv
	ds_load_b128 v[69:72], v82
	ds_load_b128 v[83:86], v82 offset:16
	s_waitcnt lgkmcnt(1)
	v_lshrrev_b32_e32 v65, 16, v69
	v_lshlrev_b32_e32 v78, 2, v75
	s_waitcnt lgkmcnt(0)
	v_lshrrev_b32_e32 v91, 16, v83
	v_lshrrev_b32_e32 v66, 16, v70
	;; [unrolled: 1-line block ×4, first 2 shown]
	v_cmp_eq_u32_e32 vcc_lo, 1, v78
	v_lshrrev_b32_e32 v98, 16, v85
	v_lshrrev_b32_e32 v96, 16, v72
	;; [unrolled: 1-line block ×3, first 2 shown]
	v_cndmask_b32_e32 v81, v69, v65, vcc_lo
	v_or_b32_e32 v79, 1, v78
	v_cmp_eq_u32_e64 s4, 2, v78
	v_cndmask_b32_e32 v87, v83, v91, vcc_lo
	v_cmp_eq_u32_e64 s7, 3, v78
	v_cmp_eq_u32_e64 s9, 4, v78
	;; [unrolled: 1-line block ×3, first 2 shown]
	v_cndmask_b32_e64 v81, v81, v70, s4
	v_cmp_eq_u32_e64 s6, 2, v79
	v_cndmask_b32_e64 v87, v87, v84, s4
	v_cmp_eq_u32_e64 s8, 3, v79
	v_cndmask_b32_e64 v88, v69, v65, s3
	v_cndmask_b32_e64 v81, v81, v66, s7
	v_or_b32_e32 v77, 2, v78
	v_cndmask_b32_e64 v87, v87, v97, s7
	v_cndmask_b32_e64 v89, v83, v91, s3
	;; [unrolled: 1-line block ×4, first 2 shown]
	v_cmp_eq_u32_e64 s10, 5, v78
	v_cndmask_b32_e64 v87, v87, v85, s9
	v_cmp_eq_u32_e64 s11, 4, v79
	v_cndmask_b32_e64 v88, v88, v66, s8
	;; [unrolled: 2-line block ×3, first 2 shown]
	v_cndmask_b32_e64 v81, v81, v95, s10
	v_cmp_eq_u32_e64 s12, 6, v78
	v_cndmask_b32_e64 v88, v88, v71, s11
	v_cndmask_b32_e64 v87, v87, v98, s10
	v_cmp_eq_u32_e64 s13, 5, v79
	v_cndmask_b32_e64 v90, v69, v65, s5
	v_cndmask_b32_e64 v89, v89, v97, s8
	;; [unrolled: 1-line block ×3, first 2 shown]
	v_cmp_eq_u32_e64 s15, 7, v78
	v_cndmask_b32_e64 v88, v88, v95, s13
	v_cndmask_b32_e64 v87, v87, v86, s12
	v_cmp_eq_u32_e64 s16, 6, v79
	v_cmp_eq_u32_e64 s17, 2, v77
	v_cndmask_b32_e64 v89, v89, v85, s11
	v_cndmask_b32_e64 v100, v81, v96, s15
	;; [unrolled: 1-line block ×6, first 2 shown]
	v_cmp_eq_u32_e64 s18, 7, v79
	v_cmp_eq_u32_e64 s19, 3, v77
	;; [unrolled: 1-line block ×4, first 2 shown]
	v_cndmask_b32_e64 v87, v87, v84, s17
	v_cndmask_b32_e64 v102, v88, v96, s18
	;; [unrolled: 1-line block ×4, first 2 shown]
	v_or_b32_e32 v81, 3, v78
	v_cndmask_b32_e64 v93, v87, v97, s19
	v_cmp_eq_u32_e64 s24, 6, v77
	v_cndmask_b32_e64 v103, v88, v86, s16
	v_cndmask_b32_e64 v92, v89, v71, s20
	v_cmp_eq_u32_e64 s21, 1, v81
	ds_load_b128 v[87:90], v82 offset:1024
	v_cmp_eq_u32_e64 s23, 2, v81
	v_cmp_eq_u32_e64 s25, 3, v81
	v_cndmask_b32_e64 v104, v92, v95, s22
	v_cndmask_b32_e64 v65, v69, v65, s21
	;; [unrolled: 1-line block ×4, first 2 shown]
	ds_load_b128 v[91:94], v82 offset:1040
	v_cmp_eq_u32_e64 s26, 4, v81
	v_cndmask_b32_e64 v65, v65, v70, s23
	v_cmp_eq_u32_e64 s28, 5, v81
	v_cndmask_b32_e64 v70, v83, v84, s23
	;; [unrolled: 2-line block ×3, first 2 shown]
	v_cndmask_b32_e64 v65, v65, v66, s25
	v_cndmask_b32_e64 v66, v104, v72, s24
	;; [unrolled: 1-line block ×3, first 2 shown]
	v_cmp_eq_u32_e64 s27, 7, v77
	v_cndmask_b32_e64 v69, v69, v86, s24
	v_cndmask_b32_e64 v65, v65, v71, s26
	s_waitcnt lgkmcnt(1)
	v_lshrrev_b32_e32 v84, 16, v87
	v_cndmask_b32_e64 v70, v70, v85, s26
	v_cndmask_b32_e64 v83, v103, v99, s18
	;; [unrolled: 1-line block ×4, first 2 shown]
	v_lshrrev_b32_e32 v95, 16, v88
	v_cndmask_b32_e64 v70, v70, v98, s28
	s_waitcnt lgkmcnt(0)
	v_lshrrev_b32_e32 v85, 16, v91
	v_cndmask_b32_e64 v97, v87, v84, s3
	v_cndmask_b32_e64 v65, v65, v72, s29
	;; [unrolled: 1-line block ×4, first 2 shown]
	v_cndmask_b32_e32 v71, v87, v84, vcc_lo
	v_cndmask_b32_e32 v98, v91, v85, vcc_lo
	v_cmp_eq_u32_e32 vcc_lo, 7, v81
	v_cndmask_b32_e64 v72, v97, v88, s6
	v_lshrrev_b32_e32 v97, 16, v92
	v_lshrrev_b32_e32 v103, 16, v90
	v_dual_cndmask_b32 v65, v65, v96 :: v_dual_cndmask_b32 v70, v70, v99
	v_cndmask_b32_e64 v71, v71, v88, s4
	v_cndmask_b32_e64 v86, v98, v92, s4
	v_cndmask_b32_e64 v72, v72, v95, s8
	v_lshrrev_b32_e32 v98, 16, v89
	v_lshrrev_b32_e32 v99, 16, v93
	v_cndmask_b32_e64 v71, v71, v95, s7
	v_cndmask_b32_e64 v86, v86, v97, s7
	;; [unrolled: 1-line block ×3, first 2 shown]
	v_perm_b32 v72, v70, v65, 0x5040100
	v_perm_b32 v70, v83, v102, 0x5040100
	v_cndmask_b32_e64 v71, v71, v89, s9
	v_cndmask_b32_e64 v86, v86, v93, s9
	;; [unrolled: 1-line block ×3, first 2 shown]
	v_lshrrev_b32_e32 v83, 16, v94
	s_delay_alu instid0(VALU_DEP_4) | instskip(NEXT) | instid1(VALU_DEP_4)
	v_cndmask_b32_e64 v71, v71, v98, s10
	v_cndmask_b32_e64 v86, v86, v99, s10
	s_delay_alu instid0(VALU_DEP_4) | instskip(NEXT) | instid1(VALU_DEP_3)
	v_cndmask_b32_e64 v65, v65, v90, s16
	v_cndmask_b32_e64 v96, v71, v90, s12
	v_perm_b32 v71, v69, v66, 0x5040100
	s_delay_alu instid0(VALU_DEP_4)
	v_cndmask_b32_e64 v69, v86, v94, s12
	v_cndmask_b32_e64 v86, v87, v84, s5
	v_cndmask_b32_e64 v84, v87, v84, s21
	v_cndmask_b32_e64 v66, v96, v103, s15
	v_cndmask_b32_e64 v87, v91, v85, s21
	v_cndmask_b32_e64 v96, v91, v85, s5
	v_cndmask_b32_e64 v85, v91, v85, s3
	v_cndmask_b32_e64 v86, v86, v88, s17
	v_cndmask_b32_e64 v84, v84, v88, s23
	v_cndmask_b32_e64 v87, v87, v92, s23
	v_cndmask_b32_e64 v88, v96, v92, s17
	v_cndmask_b32_e64 v85, v85, v92, s6
	v_cndmask_b32_e64 v86, v86, v95, s19
	v_cndmask_b32_e64 v84, v84, v95, s25
	v_cndmask_b32_e64 v87, v87, v97, s25
	v_cndmask_b32_e64 v88, v88, v97, s19
	v_cndmask_b32_e64 v85, v85, v97, s8
	v_cndmask_b32_e64 v86, v86, v89, s20
	v_cndmask_b32_e64 v84, v84, v89, s26
	v_cndmask_b32_e64 v87, v87, v93, s26
	v_cndmask_b32_e64 v88, v88, v93, s20
	v_cndmask_b32_e64 v85, v85, v93, s11
	v_cndmask_b32_e64 v86, v86, v98, s22
	v_cndmask_b32_e64 v84, v84, v98, s28
	v_cndmask_b32_e64 v87, v87, v99, s28
	v_cndmask_b32_e64 v88, v88, v99, s22
	v_cndmask_b32_e64 v85, v85, v99, s13
	v_cndmask_b32_e64 v86, v86, v90, s24
	v_cndmask_b32_e64 v84, v84, v90, s29
	v_cndmask_b32_e64 v87, v87, v94, s29
	v_cndmask_b32_e64 v88, v88, v94, s24
	v_cndmask_b32_e64 v85, v85, v94, s16
	v_cndmask_b32_e64 v65, v65, v103, s18
	v_cndmask_b32_e64 v89, v86, v103, s27
	v_cndmask_b32_e32 v84, v84, v103, vcc_lo
	v_cndmask_b32_e32 v86, v87, v83, vcc_lo
	v_cndmask_b32_e64 v87, v88, v83, s27
	v_cndmask_b32_e64 v88, v85, v83, s18
	;; [unrolled: 1-line block ×3, first 2 shown]
	v_perm_b32 v69, v101, v100, 0x5040100
	v_perm_b32 v86, v86, v84, 0x5040100
	;; [unrolled: 1-line block ×5, first 2 shown]
	s_lshl_b32 s8, s35, 2
	s_mov_b32 s3, exec_lo
	ds_store_b128 v76, v[69:72]
	ds_store_b128 v76, v[83:86] offset:1024
	v_cmpx_gt_u32_e32 4, v0
	s_cbranch_execz .LBB1465_78
; %bb.77:
	v_or_b32_e32 v65, s31, v0
	s_load_b128 s[4:7], s[0:1], 0x58
	s_delay_alu instid0(VALU_DEP_1) | instskip(NEXT) | instid1(VALU_DEP_1)
	v_mad_u64_u32 v[69:70], null, s8, s30, v[65:66]
	v_mad_u64_u32 v[65:66], null, v69, s34, s[14:15]
	s_delay_alu instid0(VALU_DEP_1) | instskip(NEXT) | instid1(VALU_DEP_1)
	v_ashrrev_i32_e32 v66, 31, v65
	v_lshlrev_b64 v[65:66], 2, v[65:66]
	s_waitcnt lgkmcnt(0)
	s_delay_alu instid0(VALU_DEP_1) | instskip(NEXT) | instid1(VALU_DEP_2)
	v_add_co_u32 v69, vcc_lo, s6, v65
	v_add_co_ci_u32_e32 v70, vcc_lo, s7, v66, vcc_lo
	v_add_co_u32 v65, vcc_lo, s4, v65
	v_add_co_ci_u32_e32 v66, vcc_lo, s5, v66, vcc_lo
	global_store_b32 v[69:70], v67, off
	global_store_b32 v[65:66], v68, off
.LBB1465_78:
	s_or_b32 exec_lo, exec_lo, s3
	s_waitcnt lgkmcnt(0)
	s_waitcnt_vscnt null, 0x0
	s_barrier
	buffer_gl0_inv
	ds_load_b128 v[83:86], v80
	ds_load_b128 v[87:90], v80 offset:16
	ds_load_b128 v[95:98], v80 offset:2064
	;; [unrolled: 1-line block ×3, first 2 shown]
	v_mov_b32_e32 v65, 0
	ds_load_b128 v[103:106], v80 offset:4112
	ds_load_b128 v[99:102], v80 offset:4096
	ds_load_b128 v[111:114], v80 offset:6160
	ds_load_b128 v[107:110], v80 offset:6144
	v_mov_b32_e32 v66, v65
	v_mov_b32_e32 v67, v65
	v_mov_b32_e32 v68, v65
	v_mov_b32_e32 v69, v65
	v_mov_b32_e32 v70, v65
	v_mov_b32_e32 v71, v65
	v_mov_b32_e32 v72, v65
	s_waitcnt lgkmcnt(6)
	s_delay_alu instid0(VALU_DEP_1)
	v_wmma_f32_16x16x16_bf16 v[65:72], v[57:64], v[83:90], v[65:72]
	ds_load_b128 v[61:64], v80 offset:8208
	ds_load_b128 v[57:60], v80 offset:8192
	s_waitcnt lgkmcnt(6)
	v_wmma_f32_16x16x16_bf16 v[65:72], v[41:48], v[91:98], v[65:72]
	ds_load_b128 v[45:48], v80 offset:10256
	ds_load_b128 v[41:44], v80 offset:10240
	s_waitcnt lgkmcnt(6)
	;; [unrolled: 4-line block ×4, first 2 shown]
	v_wmma_f32_16x16x16_bf16 v[65:72], v[1:8], v[57:64], v[65:72]
	s_waitcnt lgkmcnt(4)
	s_delay_alu instid0(VALU_DEP_1) | instskip(SKIP_1) | instid1(VALU_DEP_1)
	v_wmma_f32_16x16x16_bf16 v[65:72], v[9:16], v[41:48], v[65:72]
	s_waitcnt lgkmcnt(2)
	v_wmma_f32_16x16x16_bf16 v[65:72], v[17:24], v[33:40], v[65:72]
	s_waitcnt lgkmcnt(0)
	s_delay_alu instid0(VALU_DEP_1) | instskip(NEXT) | instid1(VALU_DEP_1)
	v_wmma_f32_16x16x16_bf16 v[65:72], v[49:56], v[25:32], v[65:72]
	v_and_b32_e32 v1, 0x7f800000, v65
	s_delay_alu instid0(VALU_DEP_1) | instskip(SKIP_1) | instid1(SALU_CYCLE_1)
	v_cmp_ne_u32_e32 vcc_lo, 0x7f800000, v1
                                        ; implicit-def: $vgpr1
	s_and_saveexec_b32 s3, vcc_lo
	s_xor_b32 s3, exec_lo, s3
; %bb.79:
	v_bfe_u32 v1, v65, 16, 1
	s_delay_alu instid0(VALU_DEP_1)
	v_add3_u32 v1, v65, v1, 0x7fff
; %bb.80:
	s_and_not1_saveexec_b32 s3, s3
; %bb.81:
	v_and_b32_e32 v1, 0xffff, v65
	v_or_b32_e32 v2, 0x10000, v65
	s_delay_alu instid0(VALU_DEP_2) | instskip(NEXT) | instid1(VALU_DEP_2)
	v_cmp_eq_u32_e32 vcc_lo, 0, v1
	v_cndmask_b32_e32 v1, v2, v65, vcc_lo
; %bb.82:
	s_or_b32 exec_lo, exec_lo, s3
	v_and_b32_e32 v2, 0x7f800000, v66
	s_delay_alu instid0(VALU_DEP_1) | instskip(SKIP_1) | instid1(SALU_CYCLE_1)
	v_cmp_ne_u32_e32 vcc_lo, 0x7f800000, v2
                                        ; implicit-def: $vgpr2
	s_and_saveexec_b32 s3, vcc_lo
	s_xor_b32 s3, exec_lo, s3
; %bb.83:
	v_bfe_u32 v2, v66, 16, 1
	s_delay_alu instid0(VALU_DEP_1)
	v_add3_u32 v2, v66, v2, 0x7fff
; %bb.84:
	s_and_not1_saveexec_b32 s3, s3
; %bb.85:
	v_and_b32_e32 v2, 0xffff, v66
	v_or_b32_e32 v3, 0x10000, v66
	s_delay_alu instid0(VALU_DEP_2) | instskip(NEXT) | instid1(VALU_DEP_2)
	v_cmp_eq_u32_e32 vcc_lo, 0, v2
	v_cndmask_b32_e32 v2, v3, v66, vcc_lo
; %bb.86:
	s_or_b32 exec_lo, exec_lo, s3
	v_and_b32_e32 v3, 0x7f800000, v67
	s_delay_alu instid0(VALU_DEP_1) | instskip(SKIP_1) | instid1(SALU_CYCLE_1)
	v_cmp_ne_u32_e32 vcc_lo, 0x7f800000, v3
                                        ; implicit-def: $vgpr3
	s_and_saveexec_b32 s3, vcc_lo
	s_xor_b32 s3, exec_lo, s3
; %bb.87:
	v_bfe_u32 v3, v67, 16, 1
	s_delay_alu instid0(VALU_DEP_1)
	v_add3_u32 v3, v67, v3, 0x7fff
; %bb.88:
	s_and_not1_saveexec_b32 s3, s3
; %bb.89:
	v_and_b32_e32 v3, 0xffff, v67
	v_or_b32_e32 v4, 0x10000, v67
	s_delay_alu instid0(VALU_DEP_2) | instskip(NEXT) | instid1(VALU_DEP_2)
	v_cmp_eq_u32_e32 vcc_lo, 0, v3
	v_cndmask_b32_e32 v3, v4, v67, vcc_lo
; %bb.90:
	s_or_b32 exec_lo, exec_lo, s3
	v_and_b32_e32 v4, 0x7f800000, v68
	s_delay_alu instid0(VALU_DEP_1) | instskip(SKIP_1) | instid1(SALU_CYCLE_1)
	v_cmp_ne_u32_e32 vcc_lo, 0x7f800000, v4
                                        ; implicit-def: $vgpr4
	s_and_saveexec_b32 s3, vcc_lo
	s_xor_b32 s3, exec_lo, s3
; %bb.91:
	v_bfe_u32 v4, v68, 16, 1
	s_delay_alu instid0(VALU_DEP_1)
	v_add3_u32 v4, v68, v4, 0x7fff
; %bb.92:
	s_and_not1_saveexec_b32 s3, s3
; %bb.93:
	v_and_b32_e32 v4, 0xffff, v68
	v_or_b32_e32 v5, 0x10000, v68
	s_delay_alu instid0(VALU_DEP_2) | instskip(NEXT) | instid1(VALU_DEP_2)
	v_cmp_eq_u32_e32 vcc_lo, 0, v4
	v_cndmask_b32_e32 v4, v5, v68, vcc_lo
; %bb.94:
	s_or_b32 exec_lo, exec_lo, s3
	v_and_b32_e32 v5, 0x7f800000, v69
	s_delay_alu instid0(VALU_DEP_1) | instskip(SKIP_1) | instid1(SALU_CYCLE_1)
	v_cmp_ne_u32_e32 vcc_lo, 0x7f800000, v5
                                        ; implicit-def: $vgpr5
	s_and_saveexec_b32 s3, vcc_lo
	s_xor_b32 s3, exec_lo, s3
; %bb.95:
	v_bfe_u32 v5, v69, 16, 1
	s_delay_alu instid0(VALU_DEP_1)
	v_add3_u32 v5, v69, v5, 0x7fff
; %bb.96:
	s_and_not1_saveexec_b32 s3, s3
; %bb.97:
	v_and_b32_e32 v5, 0xffff, v69
	v_or_b32_e32 v6, 0x10000, v69
	s_delay_alu instid0(VALU_DEP_2) | instskip(NEXT) | instid1(VALU_DEP_2)
	v_cmp_eq_u32_e32 vcc_lo, 0, v5
	v_cndmask_b32_e32 v5, v6, v69, vcc_lo
; %bb.98:
	s_or_b32 exec_lo, exec_lo, s3
	v_and_b32_e32 v6, 0x7f800000, v70
	s_delay_alu instid0(VALU_DEP_1) | instskip(SKIP_1) | instid1(SALU_CYCLE_1)
	v_cmp_ne_u32_e32 vcc_lo, 0x7f800000, v6
                                        ; implicit-def: $vgpr6
	s_and_saveexec_b32 s3, vcc_lo
	s_xor_b32 s3, exec_lo, s3
; %bb.99:
	v_bfe_u32 v6, v70, 16, 1
	s_delay_alu instid0(VALU_DEP_1)
	v_add3_u32 v6, v70, v6, 0x7fff
; %bb.100:
	s_and_not1_saveexec_b32 s3, s3
; %bb.101:
	v_and_b32_e32 v6, 0xffff, v70
	v_or_b32_e32 v7, 0x10000, v70
	s_delay_alu instid0(VALU_DEP_2) | instskip(NEXT) | instid1(VALU_DEP_2)
	v_cmp_eq_u32_e32 vcc_lo, 0, v6
	v_cndmask_b32_e32 v6, v7, v70, vcc_lo
; %bb.102:
	s_or_b32 exec_lo, exec_lo, s3
	v_and_b32_e32 v7, 0x7f800000, v71
	s_delay_alu instid0(VALU_DEP_1) | instskip(SKIP_1) | instid1(SALU_CYCLE_1)
	v_cmp_ne_u32_e32 vcc_lo, 0x7f800000, v7
                                        ; implicit-def: $vgpr7
	s_and_saveexec_b32 s3, vcc_lo
	s_xor_b32 s3, exec_lo, s3
; %bb.103:
	v_bfe_u32 v7, v71, 16, 1
	s_delay_alu instid0(VALU_DEP_1)
	v_add3_u32 v7, v71, v7, 0x7fff
; %bb.104:
	s_and_not1_saveexec_b32 s3, s3
; %bb.105:
	v_and_b32_e32 v7, 0xffff, v71
	v_or_b32_e32 v8, 0x10000, v71
	s_delay_alu instid0(VALU_DEP_2) | instskip(NEXT) | instid1(VALU_DEP_2)
	v_cmp_eq_u32_e32 vcc_lo, 0, v7
	v_cndmask_b32_e32 v7, v8, v71, vcc_lo
; %bb.106:
	s_or_b32 exec_lo, exec_lo, s3
	v_and_b32_e32 v8, 0x7f800000, v72
	s_delay_alu instid0(VALU_DEP_1) | instskip(SKIP_1) | instid1(SALU_CYCLE_1)
	v_cmp_ne_u32_e32 vcc_lo, 0x7f800000, v8
                                        ; implicit-def: $vgpr8
	s_and_saveexec_b32 s3, vcc_lo
	s_xor_b32 s3, exec_lo, s3
; %bb.107:
	v_bfe_u32 v8, v72, 16, 1
	s_delay_alu instid0(VALU_DEP_1)
	v_add3_u32 v8, v72, v8, 0x7fff
                                        ; implicit-def: $vgpr65_vgpr66_vgpr67_vgpr68_vgpr69_vgpr70_vgpr71_vgpr72
; %bb.108:
	s_and_not1_saveexec_b32 s3, s3
; %bb.109:
	v_and_b32_e32 v8, 0xffff, v72
	v_or_b32_e32 v9, 0x10000, v72
	s_delay_alu instid0(VALU_DEP_2) | instskip(NEXT) | instid1(VALU_DEP_2)
	v_cmp_eq_u32_e32 vcc_lo, 0, v8
	v_cndmask_b32_e32 v8, v9, v72, vcc_lo
; %bb.110:
	s_or_b32 exec_lo, exec_lo, s3
	s_delay_alu instid0(VALU_DEP_1)
	v_perm_b32 v7, v8, v7, 0x7060302
	v_perm_b32 v6, v6, v5, 0x7060302
	;; [unrolled: 1-line block ×4, first 2 shown]
	s_barrier
	buffer_gl0_inv
	v_cmp_eq_u32_e32 vcc_lo, 1, v78
	ds_store_b128 v76, v[4:7]
	s_waitcnt lgkmcnt(0)
	s_barrier
	buffer_gl0_inv
	ds_load_b128 v[1:4], v82
	ds_load_b128 v[5:8], v82 offset:16
	v_cmp_eq_u32_e64 s3, 1, v79
	v_cmp_eq_u32_e64 s4, 2, v78
	;; [unrolled: 1-line block ×5, first 2 shown]
	s_waitcnt lgkmcnt(1)
	v_lshrrev_b32_e32 v9, 16, v1
	s_waitcnt lgkmcnt(0)
	v_lshrrev_b32_e32 v13, 16, v5
	v_lshrrev_b32_e32 v10, 16, v2
	;; [unrolled: 1-line block ×4, first 2 shown]
	v_cndmask_b32_e64 v19, v1, v9, s3
	v_cndmask_b32_e32 v18, v5, v13, vcc_lo
	v_cndmask_b32_e64 v20, v5, v13, s3
	v_cndmask_b32_e32 v17, v1, v9, vcc_lo
	v_cmp_eq_u32_e32 vcc_lo, 2, v79
	v_lshrrev_b32_e32 v15, 16, v7
	v_cmp_eq_u32_e64 s3, 1, v77
	v_lshrrev_b32_e32 v12, 16, v4
	v_lshrrev_b32_e32 v16, 16, v8
	v_cndmask_b32_e32 v20, v20, v6, vcc_lo
	v_cndmask_b32_e64 v17, v17, v2, s4
	v_cndmask_b32_e32 v19, v19, v2, vcc_lo
	v_cndmask_b32_e64 v18, v18, v6, s4
	v_cmp_eq_u32_e32 vcc_lo, 4, v78
	v_cmp_eq_u32_e64 s4, 3, v79
	v_cndmask_b32_e64 v17, v17, v10, s5
	v_cndmask_b32_e64 v21, v1, v9, s3
	;; [unrolled: 1-line block ×5, first 2 shown]
	v_cndmask_b32_e32 v17, v17, v3, vcc_lo
	v_cndmask_b32_e64 v20, v20, v14, s4
	v_cndmask_b32_e32 v18, v18, v7, vcc_lo
	v_cmp_eq_u32_e32 vcc_lo, 4, v79
	v_cmp_eq_u32_e64 s4, 5, v79
	v_cmp_eq_u32_e64 s3, 2, v81
	v_cndmask_b32_e64 v21, v21, v2, s7
	v_cmp_eq_u32_e64 s5, 5, v78
	v_cndmask_b32_e32 v19, v19, v3, vcc_lo
	v_cndmask_b32_e32 v20, v20, v7, vcc_lo
	v_cmp_eq_u32_e32 vcc_lo, 6, v79
	s_delay_alu instid0(VALU_DEP_4) | instskip(NEXT) | instid1(VALU_DEP_4)
	v_cndmask_b32_e64 v17, v17, v11, s5
	v_cndmask_b32_e64 v19, v19, v11, s4
	s_delay_alu instid0(VALU_DEP_4) | instskip(SKIP_1) | instid1(VALU_DEP_3)
	v_cndmask_b32_e64 v20, v20, v15, s4
	v_cmp_eq_u32_e64 s4, 1, v81
	v_cndmask_b32_e32 v19, v19, v4, vcc_lo
	v_cndmask_b32_e64 v18, v18, v15, s5
	s_delay_alu instid0(VALU_DEP_3)
	v_cndmask_b32_e64 v1, v1, v9, s4
	v_cndmask_b32_e64 v5, v5, v13, s4
	v_cmp_eq_u32_e64 s4, 3, v77
	v_cndmask_b32_e64 v13, v22, v6, s7
	v_cmp_eq_u32_e64 s7, 3, v81
	v_cndmask_b32_e64 v1, v1, v2, s3
	v_cndmask_b32_e64 v2, v5, v6, s3
	v_cndmask_b32_e64 v9, v21, v10, s4
	v_cmp_eq_u32_e64 s3, 4, v77
	v_cndmask_b32_e64 v6, v13, v14, s4
	v_cndmask_b32_e64 v1, v1, v10, s7
	v_cmp_eq_u32_e64 s4, 4, v81
	v_cndmask_b32_e64 v2, v2, v14, s7
	v_cndmask_b32_e64 v5, v9, v3, s3
	;; [unrolled: 3-line block ×3, first 2 shown]
	v_cndmask_b32_e64 v2, v2, v7, s4
	v_cmp_eq_u32_e64 s3, 5, v81
	v_cmp_eq_u32_e64 s5, 6, v78
	v_cndmask_b32_e64 v5, v5, v11, s7
	v_cmp_eq_u32_e64 s4, 6, v77
	v_cndmask_b32_e64 v3, v6, v15, s7
	v_cndmask_b32_e64 v1, v1, v11, s3
	v_cmp_eq_u32_e64 s7, 6, v81
	v_cndmask_b32_e64 v2, v2, v15, s3
	v_cndmask_b32_e64 v17, v17, v4, s5
	v_cndmask_b32_e64 v18, v18, v8, s5
	v_cmp_eq_u32_e64 s5, 7, v78
	v_cndmask_b32_e64 v5, v5, v4, s4
	v_cndmask_b32_e64 v3, v3, v8, s4
	v_cndmask_b32_e64 v1, v1, v4, s7
	v_cmp_eq_u32_e64 s3, 7, v81
	v_cndmask_b32_e64 v2, v2, v8, s7
	v_cmp_eq_u32_e64 s4, 7, v77
	v_cndmask_b32_e32 v4, v20, v8, vcc_lo
	v_cndmask_b32_e64 v17, v17, v12, s5
	v_cndmask_b32_e64 v19, v19, v12, s6
	;; [unrolled: 1-line block ×8, first 2 shown]
	v_cmp_gt_u32_e32 vcc_lo, 32, v0
	v_perm_b32 v4, v2, v1, 0x5040100
	v_perm_b32 v3, v3, v5, 0x5040100
	;; [unrolled: 1-line block ×4, first 2 shown]
	s_and_b32 s2, vcc_lo, s2
	ds_store_b128 v76, v[1:4]
	s_waitcnt lgkmcnt(0)
	s_barrier
	buffer_gl0_inv
	s_and_saveexec_b32 s3, s2
	s_cbranch_execz .LBB1465_2
; %bb.111:
	s_load_b64 s[0:1], s[0:1], 0x68
	v_lshlrev_b32_e32 v0, 10, v0
	v_or_b32_e32 v1, s31, v75
	s_lshl_b32 s4, s34, 6
	v_lshlrev_b32_e32 v2, 4, v74
	s_mul_i32 s2, s4, s30
	v_lshlrev_b32_e32 v3, 6, v75
	v_mul_lo_u32 v8, v1, s4
	v_and_b32_e32 v0, 0x3800, v0
	v_or_b32_e32 v1, 2, v1
	s_mul_i32 s2, s2, s8
	s_delay_alu instid0(SALU_CYCLE_1) | instskip(NEXT) | instid1(VALU_DEP_2)
	s_ashr_i32 s3, s2, 31
	v_or3_b32 v4, v0, v2, v3
	s_lshl_b64 s[2:3], s[2:3], 1
	v_mul_lo_u32 v10, v1, s4
	v_ashrrev_i32_e32 v9, 31, v8
	ds_load_b128 v[0:3], v4
	ds_load_b128 v[4:7], v4 offset:128
	s_waitcnt lgkmcnt(0)
	s_add_u32 s2, s0, s2
	s_addc_u32 s3, s1, s3
	s_lshl_b32 s0, s14, 6
	v_ashrrev_i32_e32 v11, 31, v10
	s_ashr_i32 s1, s0, 31
	v_lshlrev_b64 v[8:9], 1, v[8:9]
	s_lshl_b64 s[0:1], s[0:1], 1
	s_delay_alu instid0(SALU_CYCLE_1) | instskip(SKIP_2) | instid1(VALU_DEP_1)
	s_add_u32 s0, s2, s0
	s_addc_u32 s1, s3, s1
	v_add_co_u32 v12, s0, s0, v73
	v_add_co_ci_u32_e64 v13, null, s1, 0, s0
	v_lshlrev_b64 v[10:11], 1, v[10:11]
	s_delay_alu instid0(VALU_DEP_3) | instskip(NEXT) | instid1(VALU_DEP_3)
	v_add_co_u32 v8, vcc_lo, v12, v8
	v_add_co_ci_u32_e32 v9, vcc_lo, v13, v9, vcc_lo
	s_delay_alu instid0(VALU_DEP_3) | instskip(NEXT) | instid1(VALU_DEP_4)
	v_add_co_u32 v10, vcc_lo, v12, v10
	v_add_co_ci_u32_e32 v11, vcc_lo, v13, v11, vcc_lo
	s_clause 0x1
	global_store_b128 v[8:9], v[0:3], off
	global_store_b128 v[10:11], v[4:7], off
	s_nop 0
	s_sendmsg sendmsg(MSG_DEALLOC_VGPRS)
	s_endpgm
	.section	.rodata,"a",@progbits
	.p2align	6, 0x0
	.amdhsa_kernel _Z39paged_attention_ll4mi_QKV_mfma16_kernelI14__hip_bfloat16hLN4vllm18Fp8KVCacheDataTypeE1EhLi32ELi64ELi256ELb0ELi4EL8MFMAType1EEvPKT_PKT0_S9_ifPKiSB_SB_iPKfiiiPfSE_PS4_PT2_iSD_SD_
		.amdhsa_group_segment_fixed_size 17472
		.amdhsa_private_segment_fixed_size 0
		.amdhsa_kernarg_size 400
		.amdhsa_user_sgpr_count 13
		.amdhsa_user_sgpr_dispatch_ptr 0
		.amdhsa_user_sgpr_queue_ptr 0
		.amdhsa_user_sgpr_kernarg_segment_ptr 1
		.amdhsa_user_sgpr_dispatch_id 0
		.amdhsa_user_sgpr_private_segment_size 0
		.amdhsa_wavefront_size32 1
		.amdhsa_uses_dynamic_stack 0
		.amdhsa_enable_private_segment 0
		.amdhsa_system_sgpr_workgroup_id_x 1
		.amdhsa_system_sgpr_workgroup_id_y 1
		.amdhsa_system_sgpr_workgroup_id_z 1
		.amdhsa_system_sgpr_workgroup_info 0
		.amdhsa_system_vgpr_workitem_id 0
		.amdhsa_next_free_vgpr 124
		.amdhsa_next_free_sgpr 40
		.amdhsa_reserve_vcc 1
		.amdhsa_float_round_mode_32 0
		.amdhsa_float_round_mode_16_64 0
		.amdhsa_float_denorm_mode_32 3
		.amdhsa_float_denorm_mode_16_64 3
		.amdhsa_dx10_clamp 1
		.amdhsa_ieee_mode 1
		.amdhsa_fp16_overflow 0
		.amdhsa_workgroup_processor_mode 1
		.amdhsa_memory_ordered 1
		.amdhsa_forward_progress 0
		.amdhsa_shared_vgpr_count 0
		.amdhsa_exception_fp_ieee_invalid_op 0
		.amdhsa_exception_fp_denorm_src 0
		.amdhsa_exception_fp_ieee_div_zero 0
		.amdhsa_exception_fp_ieee_overflow 0
		.amdhsa_exception_fp_ieee_underflow 0
		.amdhsa_exception_fp_ieee_inexact 0
		.amdhsa_exception_int_div_zero 0
	.end_amdhsa_kernel
	.section	.text._Z39paged_attention_ll4mi_QKV_mfma16_kernelI14__hip_bfloat16hLN4vllm18Fp8KVCacheDataTypeE1EhLi32ELi64ELi256ELb0ELi4EL8MFMAType1EEvPKT_PKT0_S9_ifPKiSB_SB_iPKfiiiPfSE_PS4_PT2_iSD_SD_,"axG",@progbits,_Z39paged_attention_ll4mi_QKV_mfma16_kernelI14__hip_bfloat16hLN4vllm18Fp8KVCacheDataTypeE1EhLi32ELi64ELi256ELb0ELi4EL8MFMAType1EEvPKT_PKT0_S9_ifPKiSB_SB_iPKfiiiPfSE_PS4_PT2_iSD_SD_,comdat
.Lfunc_end1465:
	.size	_Z39paged_attention_ll4mi_QKV_mfma16_kernelI14__hip_bfloat16hLN4vllm18Fp8KVCacheDataTypeE1EhLi32ELi64ELi256ELb0ELi4EL8MFMAType1EEvPKT_PKT0_S9_ifPKiSB_SB_iPKfiiiPfSE_PS4_PT2_iSD_SD_, .Lfunc_end1465-_Z39paged_attention_ll4mi_QKV_mfma16_kernelI14__hip_bfloat16hLN4vllm18Fp8KVCacheDataTypeE1EhLi32ELi64ELi256ELb0ELi4EL8MFMAType1EEvPKT_PKT0_S9_ifPKiSB_SB_iPKfiiiPfSE_PS4_PT2_iSD_SD_
                                        ; -- End function
	.section	.AMDGPU.csdata,"",@progbits
; Kernel info:
; codeLenInByte = 8612
; NumSgprs: 42
; NumVgprs: 124
; ScratchSize: 0
; MemoryBound: 0
; FloatMode: 240
; IeeeMode: 1
; LDSByteSize: 17472 bytes/workgroup (compile time only)
; SGPRBlocks: 5
; VGPRBlocks: 15
; NumSGPRsForWavesPerEU: 42
; NumVGPRsForWavesPerEU: 124
; Occupancy: 10
; WaveLimiterHint : 1
; COMPUTE_PGM_RSRC2:SCRATCH_EN: 0
; COMPUTE_PGM_RSRC2:USER_SGPR: 13
; COMPUTE_PGM_RSRC2:TRAP_HANDLER: 0
; COMPUTE_PGM_RSRC2:TGID_X_EN: 1
; COMPUTE_PGM_RSRC2:TGID_Y_EN: 1
; COMPUTE_PGM_RSRC2:TGID_Z_EN: 1
; COMPUTE_PGM_RSRC2:TIDIG_COMP_CNT: 0
	.section	.text._Z38paged_attention_ll4mi_QKV_mfma4_kernelI14__hip_bfloat16hLN4vllm18Fp8KVCacheDataTypeE1ES0_Li32ELi64ELi256ELb1ELi1EEvPKT_PKT0_S8_ifPKiSA_SA_iPKfiiiPfSD_PS3_PT2_iSC_SC_,"axG",@progbits,_Z38paged_attention_ll4mi_QKV_mfma4_kernelI14__hip_bfloat16hLN4vllm18Fp8KVCacheDataTypeE1ES0_Li32ELi64ELi256ELb1ELi1EEvPKT_PKT0_S8_ifPKiSA_SA_iPKfiiiPfSD_PS3_PT2_iSC_SC_,comdat
	.protected	_Z38paged_attention_ll4mi_QKV_mfma4_kernelI14__hip_bfloat16hLN4vllm18Fp8KVCacheDataTypeE1ES0_Li32ELi64ELi256ELb1ELi1EEvPKT_PKT0_S8_ifPKiSA_SA_iPKfiiiPfSD_PS3_PT2_iSC_SC_ ; -- Begin function _Z38paged_attention_ll4mi_QKV_mfma4_kernelI14__hip_bfloat16hLN4vllm18Fp8KVCacheDataTypeE1ES0_Li32ELi64ELi256ELb1ELi1EEvPKT_PKT0_S8_ifPKiSA_SA_iPKfiiiPfSD_PS3_PT2_iSC_SC_
	.globl	_Z38paged_attention_ll4mi_QKV_mfma4_kernelI14__hip_bfloat16hLN4vllm18Fp8KVCacheDataTypeE1ES0_Li32ELi64ELi256ELb1ELi1EEvPKT_PKT0_S8_ifPKiSA_SA_iPKfiiiPfSD_PS3_PT2_iSC_SC_
	.p2align	8
	.type	_Z38paged_attention_ll4mi_QKV_mfma4_kernelI14__hip_bfloat16hLN4vllm18Fp8KVCacheDataTypeE1ES0_Li32ELi64ELi256ELb1ELi1EEvPKT_PKT0_S8_ifPKiSA_SA_iPKfiiiPfSD_PS3_PT2_iSC_SC_,@function
_Z38paged_attention_ll4mi_QKV_mfma4_kernelI14__hip_bfloat16hLN4vllm18Fp8KVCacheDataTypeE1ES0_Li32ELi64ELi256ELb1ELi1EEvPKT_PKT0_S8_ifPKiSA_SA_iPKfiiiPfSD_PS3_PT2_iSC_SC_: ; @_Z38paged_attention_ll4mi_QKV_mfma4_kernelI14__hip_bfloat16hLN4vllm18Fp8KVCacheDataTypeE1ES0_Li32ELi64ELi256ELb1ELi1EEvPKT_PKT0_S8_ifPKiSA_SA_iPKfiiiPfSD_PS3_PT2_iSC_SC_
; %bb.0:
	s_add_u32 s8, s0, 0x90
	s_addc_u32 s9, s1, 0
	s_getpc_b64 s[0:1]
	s_add_u32 s0, s0, __PRETTY_FUNCTION__._Z38paged_attention_ll4mi_QKV_mfma4_kernelI14__hip_bfloat16hLN4vllm18Fp8KVCacheDataTypeE1ES0_Li32ELi64ELi256ELb1ELi1EEvPKT_PKT0_S8_ifPKiSA_SA_iPKfiiiPfSD_PS3_PT2_iSC_SC_@rel32@lo+4
	s_addc_u32 s1, s1, __PRETTY_FUNCTION__._Z38paged_attention_ll4mi_QKV_mfma4_kernelI14__hip_bfloat16hLN4vllm18Fp8KVCacheDataTypeE1ES0_Li32ELi64ELi256ELb1ELi1EEvPKT_PKT0_S8_ifPKiSA_SA_iPKfiiiPfSD_PS3_PT2_iSC_SC_@rel32@hi+12
	s_delay_alu instid0(SALU_CYCLE_1) | instskip(SKIP_4) | instid1(SALU_CYCLE_1)
	v_dual_mov_b32 v0, s0 :: v_dual_mov_b32 v1, s1
	s_mov_b32 s32, 0
	s_getpc_b64 s[2:3]
	s_add_u32 s2, s2, __assert_fail@rel32@lo+4
	s_addc_u32 s3, s3, __assert_fail@rel32@hi+12
	s_swappc_b64 s[30:31], s[2:3]
	.section	.rodata,"a",@progbits
	.p2align	6, 0x0
	.amdhsa_kernel _Z38paged_attention_ll4mi_QKV_mfma4_kernelI14__hip_bfloat16hLN4vllm18Fp8KVCacheDataTypeE1ES0_Li32ELi64ELi256ELb1ELi1EEvPKT_PKT0_S8_ifPKiSA_SA_iPKfiiiPfSD_PS3_PT2_iSC_SC_
		.amdhsa_group_segment_fixed_size 0
		.amdhsa_private_segment_fixed_size 64
		.amdhsa_kernarg_size 400
		.amdhsa_user_sgpr_count 15
		.amdhsa_user_sgpr_dispatch_ptr 0
		.amdhsa_user_sgpr_queue_ptr 0
		.amdhsa_user_sgpr_kernarg_segment_ptr 1
		.amdhsa_user_sgpr_dispatch_id 0
		.amdhsa_user_sgpr_private_segment_size 0
		.amdhsa_wavefront_size32 1
		.amdhsa_uses_dynamic_stack 0
		.amdhsa_enable_private_segment 1
		.amdhsa_system_sgpr_workgroup_id_x 1
		.amdhsa_system_sgpr_workgroup_id_y 0
		.amdhsa_system_sgpr_workgroup_id_z 0
		.amdhsa_system_sgpr_workgroup_info 0
		.amdhsa_system_vgpr_workitem_id 0
		.amdhsa_next_free_vgpr 41
		.amdhsa_next_free_sgpr 34
		.amdhsa_reserve_vcc 1
		.amdhsa_float_round_mode_32 0
		.amdhsa_float_round_mode_16_64 0
		.amdhsa_float_denorm_mode_32 3
		.amdhsa_float_denorm_mode_16_64 3
		.amdhsa_dx10_clamp 1
		.amdhsa_ieee_mode 1
		.amdhsa_fp16_overflow 0
		.amdhsa_workgroup_processor_mode 1
		.amdhsa_memory_ordered 1
		.amdhsa_forward_progress 0
		.amdhsa_shared_vgpr_count 0
		.amdhsa_exception_fp_ieee_invalid_op 0
		.amdhsa_exception_fp_denorm_src 0
		.amdhsa_exception_fp_ieee_div_zero 0
		.amdhsa_exception_fp_ieee_overflow 0
		.amdhsa_exception_fp_ieee_underflow 0
		.amdhsa_exception_fp_ieee_inexact 0
		.amdhsa_exception_int_div_zero 0
	.end_amdhsa_kernel
	.section	.text._Z38paged_attention_ll4mi_QKV_mfma4_kernelI14__hip_bfloat16hLN4vllm18Fp8KVCacheDataTypeE1ES0_Li32ELi64ELi256ELb1ELi1EEvPKT_PKT0_S8_ifPKiSA_SA_iPKfiiiPfSD_PS3_PT2_iSC_SC_,"axG",@progbits,_Z38paged_attention_ll4mi_QKV_mfma4_kernelI14__hip_bfloat16hLN4vllm18Fp8KVCacheDataTypeE1ES0_Li32ELi64ELi256ELb1ELi1EEvPKT_PKT0_S8_ifPKiSA_SA_iPKfiiiPfSD_PS3_PT2_iSC_SC_,comdat
.Lfunc_end1466:
	.size	_Z38paged_attention_ll4mi_QKV_mfma4_kernelI14__hip_bfloat16hLN4vllm18Fp8KVCacheDataTypeE1ES0_Li32ELi64ELi256ELb1ELi1EEvPKT_PKT0_S8_ifPKiSA_SA_iPKfiiiPfSD_PS3_PT2_iSC_SC_, .Lfunc_end1466-_Z38paged_attention_ll4mi_QKV_mfma4_kernelI14__hip_bfloat16hLN4vllm18Fp8KVCacheDataTypeE1ES0_Li32ELi64ELi256ELb1ELi1EEvPKT_PKT0_S8_ifPKiSA_SA_iPKfiiiPfSD_PS3_PT2_iSC_SC_
                                        ; -- End function
	.section	.AMDGPU.csdata,"",@progbits
; Kernel info:
; codeLenInByte = 72
; NumSgprs: 36
; NumVgprs: 41
; ScratchSize: 64
; MemoryBound: 0
; FloatMode: 240
; IeeeMode: 1
; LDSByteSize: 0 bytes/workgroup (compile time only)
; SGPRBlocks: 4
; VGPRBlocks: 5
; NumSGPRsForWavesPerEU: 36
; NumVGPRsForWavesPerEU: 41
; Occupancy: 16
; WaveLimiterHint : 1
; COMPUTE_PGM_RSRC2:SCRATCH_EN: 1
; COMPUTE_PGM_RSRC2:USER_SGPR: 15
; COMPUTE_PGM_RSRC2:TRAP_HANDLER: 0
; COMPUTE_PGM_RSRC2:TGID_X_EN: 1
; COMPUTE_PGM_RSRC2:TGID_Y_EN: 0
; COMPUTE_PGM_RSRC2:TGID_Z_EN: 0
; COMPUTE_PGM_RSRC2:TIDIG_COMP_CNT: 0
	.section	.text._Z38paged_attention_ll4mi_QKV_mfma4_kernelI14__hip_bfloat16hLN4vllm18Fp8KVCacheDataTypeE1ES0_Li32ELi64ELi256ELb1ELi2EEvPKT_PKT0_S8_ifPKiSA_SA_iPKfiiiPfSD_PS3_PT2_iSC_SC_,"axG",@progbits,_Z38paged_attention_ll4mi_QKV_mfma4_kernelI14__hip_bfloat16hLN4vllm18Fp8KVCacheDataTypeE1ES0_Li32ELi64ELi256ELb1ELi2EEvPKT_PKT0_S8_ifPKiSA_SA_iPKfiiiPfSD_PS3_PT2_iSC_SC_,comdat
	.protected	_Z38paged_attention_ll4mi_QKV_mfma4_kernelI14__hip_bfloat16hLN4vllm18Fp8KVCacheDataTypeE1ES0_Li32ELi64ELi256ELb1ELi2EEvPKT_PKT0_S8_ifPKiSA_SA_iPKfiiiPfSD_PS3_PT2_iSC_SC_ ; -- Begin function _Z38paged_attention_ll4mi_QKV_mfma4_kernelI14__hip_bfloat16hLN4vllm18Fp8KVCacheDataTypeE1ES0_Li32ELi64ELi256ELb1ELi2EEvPKT_PKT0_S8_ifPKiSA_SA_iPKfiiiPfSD_PS3_PT2_iSC_SC_
	.globl	_Z38paged_attention_ll4mi_QKV_mfma4_kernelI14__hip_bfloat16hLN4vllm18Fp8KVCacheDataTypeE1ES0_Li32ELi64ELi256ELb1ELi2EEvPKT_PKT0_S8_ifPKiSA_SA_iPKfiiiPfSD_PS3_PT2_iSC_SC_
	.p2align	8
	.type	_Z38paged_attention_ll4mi_QKV_mfma4_kernelI14__hip_bfloat16hLN4vllm18Fp8KVCacheDataTypeE1ES0_Li32ELi64ELi256ELb1ELi2EEvPKT_PKT0_S8_ifPKiSA_SA_iPKfiiiPfSD_PS3_PT2_iSC_SC_,@function
_Z38paged_attention_ll4mi_QKV_mfma4_kernelI14__hip_bfloat16hLN4vllm18Fp8KVCacheDataTypeE1ES0_Li32ELi64ELi256ELb1ELi2EEvPKT_PKT0_S8_ifPKiSA_SA_iPKfiiiPfSD_PS3_PT2_iSC_SC_: ; @_Z38paged_attention_ll4mi_QKV_mfma4_kernelI14__hip_bfloat16hLN4vllm18Fp8KVCacheDataTypeE1ES0_Li32ELi64ELi256ELb1ELi2EEvPKT_PKT0_S8_ifPKiSA_SA_iPKfiiiPfSD_PS3_PT2_iSC_SC_
; %bb.0:
	s_add_u32 s8, s0, 0x90
	s_addc_u32 s9, s1, 0
	s_getpc_b64 s[0:1]
	s_add_u32 s0, s0, __PRETTY_FUNCTION__._Z38paged_attention_ll4mi_QKV_mfma4_kernelI14__hip_bfloat16hLN4vllm18Fp8KVCacheDataTypeE1ES0_Li32ELi64ELi256ELb1ELi2EEvPKT_PKT0_S8_ifPKiSA_SA_iPKfiiiPfSD_PS3_PT2_iSC_SC_@rel32@lo+4
	s_addc_u32 s1, s1, __PRETTY_FUNCTION__._Z38paged_attention_ll4mi_QKV_mfma4_kernelI14__hip_bfloat16hLN4vllm18Fp8KVCacheDataTypeE1ES0_Li32ELi64ELi256ELb1ELi2EEvPKT_PKT0_S8_ifPKiSA_SA_iPKfiiiPfSD_PS3_PT2_iSC_SC_@rel32@hi+12
	s_delay_alu instid0(SALU_CYCLE_1) | instskip(SKIP_4) | instid1(SALU_CYCLE_1)
	v_dual_mov_b32 v0, s0 :: v_dual_mov_b32 v1, s1
	s_mov_b32 s32, 0
	s_getpc_b64 s[2:3]
	s_add_u32 s2, s2, __assert_fail@rel32@lo+4
	s_addc_u32 s3, s3, __assert_fail@rel32@hi+12
	s_swappc_b64 s[30:31], s[2:3]
	.section	.rodata,"a",@progbits
	.p2align	6, 0x0
	.amdhsa_kernel _Z38paged_attention_ll4mi_QKV_mfma4_kernelI14__hip_bfloat16hLN4vllm18Fp8KVCacheDataTypeE1ES0_Li32ELi64ELi256ELb1ELi2EEvPKT_PKT0_S8_ifPKiSA_SA_iPKfiiiPfSD_PS3_PT2_iSC_SC_
		.amdhsa_group_segment_fixed_size 0
		.amdhsa_private_segment_fixed_size 64
		.amdhsa_kernarg_size 400
		.amdhsa_user_sgpr_count 15
		.amdhsa_user_sgpr_dispatch_ptr 0
		.amdhsa_user_sgpr_queue_ptr 0
		.amdhsa_user_sgpr_kernarg_segment_ptr 1
		.amdhsa_user_sgpr_dispatch_id 0
		.amdhsa_user_sgpr_private_segment_size 0
		.amdhsa_wavefront_size32 1
		.amdhsa_uses_dynamic_stack 0
		.amdhsa_enable_private_segment 1
		.amdhsa_system_sgpr_workgroup_id_x 1
		.amdhsa_system_sgpr_workgroup_id_y 0
		.amdhsa_system_sgpr_workgroup_id_z 0
		.amdhsa_system_sgpr_workgroup_info 0
		.amdhsa_system_vgpr_workitem_id 0
		.amdhsa_next_free_vgpr 41
		.amdhsa_next_free_sgpr 34
		.amdhsa_reserve_vcc 1
		.amdhsa_float_round_mode_32 0
		.amdhsa_float_round_mode_16_64 0
		.amdhsa_float_denorm_mode_32 3
		.amdhsa_float_denorm_mode_16_64 3
		.amdhsa_dx10_clamp 1
		.amdhsa_ieee_mode 1
		.amdhsa_fp16_overflow 0
		.amdhsa_workgroup_processor_mode 1
		.amdhsa_memory_ordered 1
		.amdhsa_forward_progress 0
		.amdhsa_shared_vgpr_count 0
		.amdhsa_exception_fp_ieee_invalid_op 0
		.amdhsa_exception_fp_denorm_src 0
		.amdhsa_exception_fp_ieee_div_zero 0
		.amdhsa_exception_fp_ieee_overflow 0
		.amdhsa_exception_fp_ieee_underflow 0
		.amdhsa_exception_fp_ieee_inexact 0
		.amdhsa_exception_int_div_zero 0
	.end_amdhsa_kernel
	.section	.text._Z38paged_attention_ll4mi_QKV_mfma4_kernelI14__hip_bfloat16hLN4vllm18Fp8KVCacheDataTypeE1ES0_Li32ELi64ELi256ELb1ELi2EEvPKT_PKT0_S8_ifPKiSA_SA_iPKfiiiPfSD_PS3_PT2_iSC_SC_,"axG",@progbits,_Z38paged_attention_ll4mi_QKV_mfma4_kernelI14__hip_bfloat16hLN4vllm18Fp8KVCacheDataTypeE1ES0_Li32ELi64ELi256ELb1ELi2EEvPKT_PKT0_S8_ifPKiSA_SA_iPKfiiiPfSD_PS3_PT2_iSC_SC_,comdat
.Lfunc_end1467:
	.size	_Z38paged_attention_ll4mi_QKV_mfma4_kernelI14__hip_bfloat16hLN4vllm18Fp8KVCacheDataTypeE1ES0_Li32ELi64ELi256ELb1ELi2EEvPKT_PKT0_S8_ifPKiSA_SA_iPKfiiiPfSD_PS3_PT2_iSC_SC_, .Lfunc_end1467-_Z38paged_attention_ll4mi_QKV_mfma4_kernelI14__hip_bfloat16hLN4vllm18Fp8KVCacheDataTypeE1ES0_Li32ELi64ELi256ELb1ELi2EEvPKT_PKT0_S8_ifPKiSA_SA_iPKfiiiPfSD_PS3_PT2_iSC_SC_
                                        ; -- End function
	.section	.AMDGPU.csdata,"",@progbits
; Kernel info:
; codeLenInByte = 72
; NumSgprs: 36
; NumVgprs: 41
; ScratchSize: 64
; MemoryBound: 0
; FloatMode: 240
; IeeeMode: 1
; LDSByteSize: 0 bytes/workgroup (compile time only)
; SGPRBlocks: 4
; VGPRBlocks: 5
; NumSGPRsForWavesPerEU: 36
; NumVGPRsForWavesPerEU: 41
; Occupancy: 16
; WaveLimiterHint : 1
; COMPUTE_PGM_RSRC2:SCRATCH_EN: 1
; COMPUTE_PGM_RSRC2:USER_SGPR: 15
; COMPUTE_PGM_RSRC2:TRAP_HANDLER: 0
; COMPUTE_PGM_RSRC2:TGID_X_EN: 1
; COMPUTE_PGM_RSRC2:TGID_Y_EN: 0
; COMPUTE_PGM_RSRC2:TGID_Z_EN: 0
; COMPUTE_PGM_RSRC2:TIDIG_COMP_CNT: 0
	.section	.text._Z38paged_attention_ll4mi_QKV_mfma4_kernelI14__hip_bfloat16hLN4vllm18Fp8KVCacheDataTypeE1ES0_Li32ELi64ELi256ELb1ELi3EEvPKT_PKT0_S8_ifPKiSA_SA_iPKfiiiPfSD_PS3_PT2_iSC_SC_,"axG",@progbits,_Z38paged_attention_ll4mi_QKV_mfma4_kernelI14__hip_bfloat16hLN4vllm18Fp8KVCacheDataTypeE1ES0_Li32ELi64ELi256ELb1ELi3EEvPKT_PKT0_S8_ifPKiSA_SA_iPKfiiiPfSD_PS3_PT2_iSC_SC_,comdat
	.protected	_Z38paged_attention_ll4mi_QKV_mfma4_kernelI14__hip_bfloat16hLN4vllm18Fp8KVCacheDataTypeE1ES0_Li32ELi64ELi256ELb1ELi3EEvPKT_PKT0_S8_ifPKiSA_SA_iPKfiiiPfSD_PS3_PT2_iSC_SC_ ; -- Begin function _Z38paged_attention_ll4mi_QKV_mfma4_kernelI14__hip_bfloat16hLN4vllm18Fp8KVCacheDataTypeE1ES0_Li32ELi64ELi256ELb1ELi3EEvPKT_PKT0_S8_ifPKiSA_SA_iPKfiiiPfSD_PS3_PT2_iSC_SC_
	.globl	_Z38paged_attention_ll4mi_QKV_mfma4_kernelI14__hip_bfloat16hLN4vllm18Fp8KVCacheDataTypeE1ES0_Li32ELi64ELi256ELb1ELi3EEvPKT_PKT0_S8_ifPKiSA_SA_iPKfiiiPfSD_PS3_PT2_iSC_SC_
	.p2align	8
	.type	_Z38paged_attention_ll4mi_QKV_mfma4_kernelI14__hip_bfloat16hLN4vllm18Fp8KVCacheDataTypeE1ES0_Li32ELi64ELi256ELb1ELi3EEvPKT_PKT0_S8_ifPKiSA_SA_iPKfiiiPfSD_PS3_PT2_iSC_SC_,@function
_Z38paged_attention_ll4mi_QKV_mfma4_kernelI14__hip_bfloat16hLN4vllm18Fp8KVCacheDataTypeE1ES0_Li32ELi64ELi256ELb1ELi3EEvPKT_PKT0_S8_ifPKiSA_SA_iPKfiiiPfSD_PS3_PT2_iSC_SC_: ; @_Z38paged_attention_ll4mi_QKV_mfma4_kernelI14__hip_bfloat16hLN4vllm18Fp8KVCacheDataTypeE1ES0_Li32ELi64ELi256ELb1ELi3EEvPKT_PKT0_S8_ifPKiSA_SA_iPKfiiiPfSD_PS3_PT2_iSC_SC_
; %bb.0:
	s_add_u32 s8, s0, 0x90
	s_addc_u32 s9, s1, 0
	s_getpc_b64 s[0:1]
	s_add_u32 s0, s0, __PRETTY_FUNCTION__._Z38paged_attention_ll4mi_QKV_mfma4_kernelI14__hip_bfloat16hLN4vllm18Fp8KVCacheDataTypeE1ES0_Li32ELi64ELi256ELb1ELi3EEvPKT_PKT0_S8_ifPKiSA_SA_iPKfiiiPfSD_PS3_PT2_iSC_SC_@rel32@lo+4
	s_addc_u32 s1, s1, __PRETTY_FUNCTION__._Z38paged_attention_ll4mi_QKV_mfma4_kernelI14__hip_bfloat16hLN4vllm18Fp8KVCacheDataTypeE1ES0_Li32ELi64ELi256ELb1ELi3EEvPKT_PKT0_S8_ifPKiSA_SA_iPKfiiiPfSD_PS3_PT2_iSC_SC_@rel32@hi+12
	s_delay_alu instid0(SALU_CYCLE_1) | instskip(SKIP_4) | instid1(SALU_CYCLE_1)
	v_dual_mov_b32 v0, s0 :: v_dual_mov_b32 v1, s1
	s_mov_b32 s32, 0
	s_getpc_b64 s[2:3]
	s_add_u32 s2, s2, __assert_fail@rel32@lo+4
	s_addc_u32 s3, s3, __assert_fail@rel32@hi+12
	s_swappc_b64 s[30:31], s[2:3]
	.section	.rodata,"a",@progbits
	.p2align	6, 0x0
	.amdhsa_kernel _Z38paged_attention_ll4mi_QKV_mfma4_kernelI14__hip_bfloat16hLN4vllm18Fp8KVCacheDataTypeE1ES0_Li32ELi64ELi256ELb1ELi3EEvPKT_PKT0_S8_ifPKiSA_SA_iPKfiiiPfSD_PS3_PT2_iSC_SC_
		.amdhsa_group_segment_fixed_size 0
		.amdhsa_private_segment_fixed_size 64
		.amdhsa_kernarg_size 400
		.amdhsa_user_sgpr_count 15
		.amdhsa_user_sgpr_dispatch_ptr 0
		.amdhsa_user_sgpr_queue_ptr 0
		.amdhsa_user_sgpr_kernarg_segment_ptr 1
		.amdhsa_user_sgpr_dispatch_id 0
		.amdhsa_user_sgpr_private_segment_size 0
		.amdhsa_wavefront_size32 1
		.amdhsa_uses_dynamic_stack 0
		.amdhsa_enable_private_segment 1
		.amdhsa_system_sgpr_workgroup_id_x 1
		.amdhsa_system_sgpr_workgroup_id_y 0
		.amdhsa_system_sgpr_workgroup_id_z 0
		.amdhsa_system_sgpr_workgroup_info 0
		.amdhsa_system_vgpr_workitem_id 0
		.amdhsa_next_free_vgpr 41
		.amdhsa_next_free_sgpr 34
		.amdhsa_reserve_vcc 1
		.amdhsa_float_round_mode_32 0
		.amdhsa_float_round_mode_16_64 0
		.amdhsa_float_denorm_mode_32 3
		.amdhsa_float_denorm_mode_16_64 3
		.amdhsa_dx10_clamp 1
		.amdhsa_ieee_mode 1
		.amdhsa_fp16_overflow 0
		.amdhsa_workgroup_processor_mode 1
		.amdhsa_memory_ordered 1
		.amdhsa_forward_progress 0
		.amdhsa_shared_vgpr_count 0
		.amdhsa_exception_fp_ieee_invalid_op 0
		.amdhsa_exception_fp_denorm_src 0
		.amdhsa_exception_fp_ieee_div_zero 0
		.amdhsa_exception_fp_ieee_overflow 0
		.amdhsa_exception_fp_ieee_underflow 0
		.amdhsa_exception_fp_ieee_inexact 0
		.amdhsa_exception_int_div_zero 0
	.end_amdhsa_kernel
	.section	.text._Z38paged_attention_ll4mi_QKV_mfma4_kernelI14__hip_bfloat16hLN4vllm18Fp8KVCacheDataTypeE1ES0_Li32ELi64ELi256ELb1ELi3EEvPKT_PKT0_S8_ifPKiSA_SA_iPKfiiiPfSD_PS3_PT2_iSC_SC_,"axG",@progbits,_Z38paged_attention_ll4mi_QKV_mfma4_kernelI14__hip_bfloat16hLN4vllm18Fp8KVCacheDataTypeE1ES0_Li32ELi64ELi256ELb1ELi3EEvPKT_PKT0_S8_ifPKiSA_SA_iPKfiiiPfSD_PS3_PT2_iSC_SC_,comdat
.Lfunc_end1468:
	.size	_Z38paged_attention_ll4mi_QKV_mfma4_kernelI14__hip_bfloat16hLN4vllm18Fp8KVCacheDataTypeE1ES0_Li32ELi64ELi256ELb1ELi3EEvPKT_PKT0_S8_ifPKiSA_SA_iPKfiiiPfSD_PS3_PT2_iSC_SC_, .Lfunc_end1468-_Z38paged_attention_ll4mi_QKV_mfma4_kernelI14__hip_bfloat16hLN4vllm18Fp8KVCacheDataTypeE1ES0_Li32ELi64ELi256ELb1ELi3EEvPKT_PKT0_S8_ifPKiSA_SA_iPKfiiiPfSD_PS3_PT2_iSC_SC_
                                        ; -- End function
	.section	.AMDGPU.csdata,"",@progbits
; Kernel info:
; codeLenInByte = 72
; NumSgprs: 36
; NumVgprs: 41
; ScratchSize: 64
; MemoryBound: 0
; FloatMode: 240
; IeeeMode: 1
; LDSByteSize: 0 bytes/workgroup (compile time only)
; SGPRBlocks: 4
; VGPRBlocks: 5
; NumSGPRsForWavesPerEU: 36
; NumVGPRsForWavesPerEU: 41
; Occupancy: 16
; WaveLimiterHint : 1
; COMPUTE_PGM_RSRC2:SCRATCH_EN: 1
; COMPUTE_PGM_RSRC2:USER_SGPR: 15
; COMPUTE_PGM_RSRC2:TRAP_HANDLER: 0
; COMPUTE_PGM_RSRC2:TGID_X_EN: 1
; COMPUTE_PGM_RSRC2:TGID_Y_EN: 0
; COMPUTE_PGM_RSRC2:TGID_Z_EN: 0
; COMPUTE_PGM_RSRC2:TIDIG_COMP_CNT: 0
	.section	.text._Z38paged_attention_ll4mi_QKV_mfma4_kernelI14__hip_bfloat16hLN4vllm18Fp8KVCacheDataTypeE1ES0_Li32ELi64ELi256ELb1ELi4EEvPKT_PKT0_S8_ifPKiSA_SA_iPKfiiiPfSD_PS3_PT2_iSC_SC_,"axG",@progbits,_Z38paged_attention_ll4mi_QKV_mfma4_kernelI14__hip_bfloat16hLN4vllm18Fp8KVCacheDataTypeE1ES0_Li32ELi64ELi256ELb1ELi4EEvPKT_PKT0_S8_ifPKiSA_SA_iPKfiiiPfSD_PS3_PT2_iSC_SC_,comdat
	.protected	_Z38paged_attention_ll4mi_QKV_mfma4_kernelI14__hip_bfloat16hLN4vllm18Fp8KVCacheDataTypeE1ES0_Li32ELi64ELi256ELb1ELi4EEvPKT_PKT0_S8_ifPKiSA_SA_iPKfiiiPfSD_PS3_PT2_iSC_SC_ ; -- Begin function _Z38paged_attention_ll4mi_QKV_mfma4_kernelI14__hip_bfloat16hLN4vllm18Fp8KVCacheDataTypeE1ES0_Li32ELi64ELi256ELb1ELi4EEvPKT_PKT0_S8_ifPKiSA_SA_iPKfiiiPfSD_PS3_PT2_iSC_SC_
	.globl	_Z38paged_attention_ll4mi_QKV_mfma4_kernelI14__hip_bfloat16hLN4vllm18Fp8KVCacheDataTypeE1ES0_Li32ELi64ELi256ELb1ELi4EEvPKT_PKT0_S8_ifPKiSA_SA_iPKfiiiPfSD_PS3_PT2_iSC_SC_
	.p2align	8
	.type	_Z38paged_attention_ll4mi_QKV_mfma4_kernelI14__hip_bfloat16hLN4vllm18Fp8KVCacheDataTypeE1ES0_Li32ELi64ELi256ELb1ELi4EEvPKT_PKT0_S8_ifPKiSA_SA_iPKfiiiPfSD_PS3_PT2_iSC_SC_,@function
_Z38paged_attention_ll4mi_QKV_mfma4_kernelI14__hip_bfloat16hLN4vllm18Fp8KVCacheDataTypeE1ES0_Li32ELi64ELi256ELb1ELi4EEvPKT_PKT0_S8_ifPKiSA_SA_iPKfiiiPfSD_PS3_PT2_iSC_SC_: ; @_Z38paged_attention_ll4mi_QKV_mfma4_kernelI14__hip_bfloat16hLN4vllm18Fp8KVCacheDataTypeE1ES0_Li32ELi64ELi256ELb1ELi4EEvPKT_PKT0_S8_ifPKiSA_SA_iPKfiiiPfSD_PS3_PT2_iSC_SC_
; %bb.0:
	s_add_u32 s8, s0, 0x90
	s_addc_u32 s9, s1, 0
	s_getpc_b64 s[0:1]
	s_add_u32 s0, s0, __PRETTY_FUNCTION__._Z38paged_attention_ll4mi_QKV_mfma4_kernelI14__hip_bfloat16hLN4vllm18Fp8KVCacheDataTypeE1ES0_Li32ELi64ELi256ELb1ELi4EEvPKT_PKT0_S8_ifPKiSA_SA_iPKfiiiPfSD_PS3_PT2_iSC_SC_@rel32@lo+4
	s_addc_u32 s1, s1, __PRETTY_FUNCTION__._Z38paged_attention_ll4mi_QKV_mfma4_kernelI14__hip_bfloat16hLN4vllm18Fp8KVCacheDataTypeE1ES0_Li32ELi64ELi256ELb1ELi4EEvPKT_PKT0_S8_ifPKiSA_SA_iPKfiiiPfSD_PS3_PT2_iSC_SC_@rel32@hi+12
	s_delay_alu instid0(SALU_CYCLE_1) | instskip(SKIP_4) | instid1(SALU_CYCLE_1)
	v_dual_mov_b32 v0, s0 :: v_dual_mov_b32 v1, s1
	s_mov_b32 s32, 0
	s_getpc_b64 s[2:3]
	s_add_u32 s2, s2, __assert_fail@rel32@lo+4
	s_addc_u32 s3, s3, __assert_fail@rel32@hi+12
	s_swappc_b64 s[30:31], s[2:3]
	.section	.rodata,"a",@progbits
	.p2align	6, 0x0
	.amdhsa_kernel _Z38paged_attention_ll4mi_QKV_mfma4_kernelI14__hip_bfloat16hLN4vllm18Fp8KVCacheDataTypeE1ES0_Li32ELi64ELi256ELb1ELi4EEvPKT_PKT0_S8_ifPKiSA_SA_iPKfiiiPfSD_PS3_PT2_iSC_SC_
		.amdhsa_group_segment_fixed_size 0
		.amdhsa_private_segment_fixed_size 64
		.amdhsa_kernarg_size 400
		.amdhsa_user_sgpr_count 15
		.amdhsa_user_sgpr_dispatch_ptr 0
		.amdhsa_user_sgpr_queue_ptr 0
		.amdhsa_user_sgpr_kernarg_segment_ptr 1
		.amdhsa_user_sgpr_dispatch_id 0
		.amdhsa_user_sgpr_private_segment_size 0
		.amdhsa_wavefront_size32 1
		.amdhsa_uses_dynamic_stack 0
		.amdhsa_enable_private_segment 1
		.amdhsa_system_sgpr_workgroup_id_x 1
		.amdhsa_system_sgpr_workgroup_id_y 0
		.amdhsa_system_sgpr_workgroup_id_z 0
		.amdhsa_system_sgpr_workgroup_info 0
		.amdhsa_system_vgpr_workitem_id 0
		.amdhsa_next_free_vgpr 41
		.amdhsa_next_free_sgpr 34
		.amdhsa_reserve_vcc 1
		.amdhsa_float_round_mode_32 0
		.amdhsa_float_round_mode_16_64 0
		.amdhsa_float_denorm_mode_32 3
		.amdhsa_float_denorm_mode_16_64 3
		.amdhsa_dx10_clamp 1
		.amdhsa_ieee_mode 1
		.amdhsa_fp16_overflow 0
		.amdhsa_workgroup_processor_mode 1
		.amdhsa_memory_ordered 1
		.amdhsa_forward_progress 0
		.amdhsa_shared_vgpr_count 0
		.amdhsa_exception_fp_ieee_invalid_op 0
		.amdhsa_exception_fp_denorm_src 0
		.amdhsa_exception_fp_ieee_div_zero 0
		.amdhsa_exception_fp_ieee_overflow 0
		.amdhsa_exception_fp_ieee_underflow 0
		.amdhsa_exception_fp_ieee_inexact 0
		.amdhsa_exception_int_div_zero 0
	.end_amdhsa_kernel
	.section	.text._Z38paged_attention_ll4mi_QKV_mfma4_kernelI14__hip_bfloat16hLN4vllm18Fp8KVCacheDataTypeE1ES0_Li32ELi64ELi256ELb1ELi4EEvPKT_PKT0_S8_ifPKiSA_SA_iPKfiiiPfSD_PS3_PT2_iSC_SC_,"axG",@progbits,_Z38paged_attention_ll4mi_QKV_mfma4_kernelI14__hip_bfloat16hLN4vllm18Fp8KVCacheDataTypeE1ES0_Li32ELi64ELi256ELb1ELi4EEvPKT_PKT0_S8_ifPKiSA_SA_iPKfiiiPfSD_PS3_PT2_iSC_SC_,comdat
.Lfunc_end1469:
	.size	_Z38paged_attention_ll4mi_QKV_mfma4_kernelI14__hip_bfloat16hLN4vllm18Fp8KVCacheDataTypeE1ES0_Li32ELi64ELi256ELb1ELi4EEvPKT_PKT0_S8_ifPKiSA_SA_iPKfiiiPfSD_PS3_PT2_iSC_SC_, .Lfunc_end1469-_Z38paged_attention_ll4mi_QKV_mfma4_kernelI14__hip_bfloat16hLN4vllm18Fp8KVCacheDataTypeE1ES0_Li32ELi64ELi256ELb1ELi4EEvPKT_PKT0_S8_ifPKiSA_SA_iPKfiiiPfSD_PS3_PT2_iSC_SC_
                                        ; -- End function
	.section	.AMDGPU.csdata,"",@progbits
; Kernel info:
; codeLenInByte = 72
; NumSgprs: 36
; NumVgprs: 41
; ScratchSize: 64
; MemoryBound: 0
; FloatMode: 240
; IeeeMode: 1
; LDSByteSize: 0 bytes/workgroup (compile time only)
; SGPRBlocks: 4
; VGPRBlocks: 5
; NumSGPRsForWavesPerEU: 36
; NumVGPRsForWavesPerEU: 41
; Occupancy: 16
; WaveLimiterHint : 1
; COMPUTE_PGM_RSRC2:SCRATCH_EN: 1
; COMPUTE_PGM_RSRC2:USER_SGPR: 15
; COMPUTE_PGM_RSRC2:TRAP_HANDLER: 0
; COMPUTE_PGM_RSRC2:TGID_X_EN: 1
; COMPUTE_PGM_RSRC2:TGID_Y_EN: 0
; COMPUTE_PGM_RSRC2:TGID_Z_EN: 0
; COMPUTE_PGM_RSRC2:TIDIG_COMP_CNT: 0
	.section	.text._Z39paged_attention_ll4mi_QKV_mfma16_kernelI14__hip_bfloat16hLN4vllm18Fp8KVCacheDataTypeE1ES0_Li32ELi64ELi256ELb1ELi5EL8MFMAType1EEvPKT_PKT0_S9_ifPKiSB_SB_iPKfiiiPfSE_PS4_PT2_iSD_SD_,"axG",@progbits,_Z39paged_attention_ll4mi_QKV_mfma16_kernelI14__hip_bfloat16hLN4vllm18Fp8KVCacheDataTypeE1ES0_Li32ELi64ELi256ELb1ELi5EL8MFMAType1EEvPKT_PKT0_S9_ifPKiSB_SB_iPKfiiiPfSE_PS4_PT2_iSD_SD_,comdat
	.protected	_Z39paged_attention_ll4mi_QKV_mfma16_kernelI14__hip_bfloat16hLN4vllm18Fp8KVCacheDataTypeE1ES0_Li32ELi64ELi256ELb1ELi5EL8MFMAType1EEvPKT_PKT0_S9_ifPKiSB_SB_iPKfiiiPfSE_PS4_PT2_iSD_SD_ ; -- Begin function _Z39paged_attention_ll4mi_QKV_mfma16_kernelI14__hip_bfloat16hLN4vllm18Fp8KVCacheDataTypeE1ES0_Li32ELi64ELi256ELb1ELi5EL8MFMAType1EEvPKT_PKT0_S9_ifPKiSB_SB_iPKfiiiPfSE_PS4_PT2_iSD_SD_
	.globl	_Z39paged_attention_ll4mi_QKV_mfma16_kernelI14__hip_bfloat16hLN4vllm18Fp8KVCacheDataTypeE1ES0_Li32ELi64ELi256ELb1ELi5EL8MFMAType1EEvPKT_PKT0_S9_ifPKiSB_SB_iPKfiiiPfSE_PS4_PT2_iSD_SD_
	.p2align	8
	.type	_Z39paged_attention_ll4mi_QKV_mfma16_kernelI14__hip_bfloat16hLN4vllm18Fp8KVCacheDataTypeE1ES0_Li32ELi64ELi256ELb1ELi5EL8MFMAType1EEvPKT_PKT0_S9_ifPKiSB_SB_iPKfiiiPfSE_PS4_PT2_iSD_SD_,@function
_Z39paged_attention_ll4mi_QKV_mfma16_kernelI14__hip_bfloat16hLN4vllm18Fp8KVCacheDataTypeE1ES0_Li32ELi64ELi256ELb1ELi5EL8MFMAType1EEvPKT_PKT0_S9_ifPKiSB_SB_iPKfiiiPfSE_PS4_PT2_iSD_SD_: ; @_Z39paged_attention_ll4mi_QKV_mfma16_kernelI14__hip_bfloat16hLN4vllm18Fp8KVCacheDataTypeE1ES0_Li32ELi64ELi256ELb1ELi5EL8MFMAType1EEvPKT_PKT0_S9_ifPKiSB_SB_iPKfiiiPfSE_PS4_PT2_iSD_SD_
; %bb.0:
	s_load_b64 s[2:3], s[0:1], 0x30
	s_mov_b32 s34, s13
	s_waitcnt lgkmcnt(0)
	s_cmp_lg_u64 s[2:3], 0
	s_cselect_b32 s8, -1, 0
	s_ashr_i32 s35, s13, 31
	s_cmp_eq_u64 s[2:3], 0
	s_cbranch_scc1 .LBB1470_3
; %bb.1:
	s_lshl_b64 s[4:5], s[34:35], 2
	s_delay_alu instid0(SALU_CYCLE_1) | instskip(SKIP_4) | instid1(SALU_CYCLE_1)
	s_add_u32 s4, s2, s4
	s_addc_u32 s5, s3, s5
	s_load_b64 s[4:5], s[4:5], 0x0
	s_waitcnt lgkmcnt(0)
	s_sub_i32 s4, s5, s4
	s_cmp_eq_u32 s4, 1
	s_cselect_b32 s4, -1, 0
	s_delay_alu instid0(SALU_CYCLE_1)
	s_and_not1_b32 vcc_lo, exec_lo, s4
	s_cbranch_vccz .LBB1470_4
.LBB1470_2:
	s_nop 0
	s_sendmsg sendmsg(MSG_DEALLOC_VGPRS)
	s_endpgm
.LBB1470_3:
.LBB1470_4:
	s_load_b64 s[4:5], s[0:1], 0x28
	s_lshl_b64 s[6:7], s[34:35], 2
	s_waitcnt lgkmcnt(0)
	s_add_u32 s4, s4, s6
	s_addc_u32 s5, s5, s7
	s_lshl_b32 s12, s14, 8
	s_load_b32 s24, s[4:5], 0x0
	s_waitcnt lgkmcnt(0)
	s_cmp_ge_i32 s12, s24
	s_cbranch_scc1 .LBB1470_2
; %bb.5:
	s_clause 0x1
	s_load_b128 s[20:23], s[0:1], 0x8
	s_load_b64 s[4:5], s[0:1], 0x20
	s_and_not1_b32 vcc_lo, exec_lo, s8
	s_cbranch_vccnz .LBB1470_7
; %bb.6:
	s_add_u32 s2, s2, s6
	s_addc_u32 s3, s3, s7
	s_load_b32 s3, s[2:3], 0x0
	s_branch .LBB1470_8
.LBB1470_7:
	s_mov_b32 s3, s34
.LBB1470_8:
	s_load_b128 s[16:19], s[0:1], 0x48
	v_lshrrev_b32_e32 v66, 5, v0
	v_bfe_u32 v74, v0, 4, 1
	v_and_b32_e32 v65, 15, v0
	v_and_b32_e32 v67, 31, v0
	;; [unrolled: 1-line block ×3, first 2 shown]
	s_mul_i32 s31, s15, 5
	v_lshl_or_b32 v1, v66, 1, v74
	v_lshlrev_b32_e32 v2, 3, v65
	v_cmp_gt_u32_e64 s2, 8, v65
	s_delay_alu instid0(VALU_DEP_3) | instskip(NEXT) | instid1(VALU_DEP_3)
	v_cmp_gt_u32_e32 vcc_lo, 5, v1
	v_lshlrev_b32_e32 v73, 1, v2
	s_delay_alu instid0(VALU_DEP_3) | instskip(NEXT) | instid1(SALU_CYCLE_1)
	s_and_b32 s7, s2, vcc_lo
	s_and_saveexec_b32 s6, s7
	s_cbranch_execz .LBB1470_10
; %bb.9:
	s_load_b64 s[8:9], s[0:1], 0x0
	v_add_lshl_u32 v2, v1, s31, 6
	s_waitcnt lgkmcnt(0)
	s_mul_hi_i32 s11, s3, s16
	s_mul_i32 s10, s3, s16
	v_lshlrev_b32_e32 v6, 10, v65
	s_lshl_b64 s[10:11], s[10:11], 1
	v_ashrrev_i32_e32 v3, 31, v2
	v_lshlrev_b32_e32 v1, 6, v1
	v_lshlrev_b32_e32 v7, 10, v75
	v_and_b32_e32 v6, 0x3800, v6
	s_delay_alu instid0(VALU_DEP_4) | instskip(NEXT) | instid1(VALU_DEP_2)
	v_lshlrev_b64 v[2:3], 1, v[2:3]
	v_or3_b32 v1, v6, v7, v1
	s_add_u32 s3, s8, s10
	s_addc_u32 s7, s9, s11
	s_delay_alu instid0(VALU_DEP_2) | instskip(NEXT) | instid1(VALU_DEP_3)
	v_add_co_u32 v2, vcc_lo, s3, v2
	v_add_co_ci_u32_e32 v3, vcc_lo, s7, v3, vcc_lo
	s_delay_alu instid0(VALU_DEP_2) | instskip(NEXT) | instid1(VALU_DEP_2)
	v_add_co_u32 v2, vcc_lo, v2, v73
	v_add_co_ci_u32_e32 v3, vcc_lo, 0, v3, vcc_lo
	global_load_b128 v[2:5], v[2:3], off
	s_waitcnt vmcnt(0)
	ds_store_b128 v1, v[2:5]
.LBB1470_10:
	s_or_b32 exec_lo, exec_lo, s6
	v_and_b32_e32 v1, 0xef, v0
	s_waitcnt lgkmcnt(0)
	s_add_i32 s3, s24, 31
	s_clause 0x1
	s_load_b32 s6, s[0:1], 0x38
	s_load_b32 s19, s[0:1], 0x1c
	s_ashr_i32 s7, s3, 31
	v_add_nc_u32_e32 v1, s12, v1
	s_lshr_b32 s7, s7, 27
	s_waitcnt lgkmcnt(0)
	s_add_i32 s3, s3, s7
	s_barrier
	v_ashrrev_i32_e32 v2, 31, v1
	v_or_b32_e32 v3, 16, v1
	s_ashr_i32 s3, s3, 5
	v_cmp_gt_i32_e32 vcc_lo, s24, v1
	s_add_i32 s3, s3, -1
	v_lshrrev_b32_e32 v2, 27, v2
	buffer_gl0_inv
	s_mul_i32 s27, s15, s18
	v_add_nc_u32_e32 v4, v1, v2
	s_mul_i32 s6, s34, s6
	s_delay_alu instid0(SALU_CYCLE_1) | instskip(NEXT) | instid1(VALU_DEP_1)
	s_ashr_i32 s7, s6, 31
	v_ashrrev_i32_e32 v4, 5, v4
	v_add_nc_u32_e32 v2, v3, v2
	s_lshl_b64 s[6:7], s[6:7], 2
	s_delay_alu instid0(SALU_CYCLE_1) | instskip(NEXT) | instid1(VALU_DEP_2)
	s_add_u32 s26, s4, s6
	v_cndmask_b32_e32 v1, s3, v4, vcc_lo
	s_delay_alu instid0(VALU_DEP_2)
	v_ashrrev_i32_e32 v2, 5, v2
	v_cmp_gt_i32_e32 vcc_lo, s24, v3
	s_addc_u32 s25, s5, s7
	s_ashr_i32 s28, s27, 31
	s_add_u32 s4, s20, s27
	s_addc_u32 s5, s21, s28
	v_cndmask_b32_e32 v3, s3, v2, vcc_lo
	v_ashrrev_i32_e32 v2, 31, v1
	s_lshl_b32 s6, s14, 3
	s_delay_alu instid0(SALU_CYCLE_1) | instskip(NEXT) | instid1(VALU_DEP_2)
	s_ashr_i32 s7, s6, 31
	v_ashrrev_i32_e32 v4, 31, v3
	s_delay_alu instid0(VALU_DEP_2) | instskip(SKIP_1) | instid1(SALU_CYCLE_1)
	v_lshlrev_b64 v[1:2], 2, v[1:2]
	s_lshl_b64 s[6:7], s[6:7], 2
	s_add_u32 s6, s26, s6
	s_delay_alu instid0(VALU_DEP_2) | instskip(SKIP_1) | instid1(VALU_DEP_2)
	v_lshlrev_b64 v[3:4], 2, v[3:4]
	s_addc_u32 s7, s25, s7
	v_add_co_u32 v1, vcc_lo, s26, v1
	v_add_co_ci_u32_e32 v2, vcc_lo, s25, v2, vcc_lo
	s_delay_alu instid0(VALU_DEP_3) | instskip(NEXT) | instid1(VALU_DEP_4)
	v_add_co_u32 v3, vcc_lo, s26, v3
	v_add_co_ci_u32_e32 v4, vcc_lo, s25, v4, vcc_lo
	s_clause 0x1
	global_load_b32 v5, v[1:2], off
	global_load_b32 v6, v[3:4], off
	s_or_b32 s8, s12, 32
	s_delay_alu instid0(SALU_CYCLE_1) | instskip(SKIP_2) | instid1(SALU_CYCLE_1)
	s_ashr_i32 s9, s8, 5
	s_cmp_lt_i32 s8, s24
	s_cselect_b32 s8, s9, s3
	s_ashr_i32 s9, s8, 31
	s_delay_alu instid0(SALU_CYCLE_1) | instskip(NEXT) | instid1(SALU_CYCLE_1)
	s_lshl_b64 s[8:9], s[8:9], 2
	s_add_u32 s8, s26, s8
	s_addc_u32 s9, s25, s9
	s_or_b32 s10, s12, 64
	s_delay_alu instid0(SALU_CYCLE_1) | instskip(SKIP_2) | instid1(SALU_CYCLE_1)
	s_ashr_i32 s11, s10, 5
	s_cmp_lt_i32 s10, s24
	s_cselect_b32 s10, s11, s3
	s_ashr_i32 s11, s10, 31
	s_delay_alu instid0(SALU_CYCLE_1) | instskip(NEXT) | instid1(SALU_CYCLE_1)
	s_lshl_b64 s[10:11], s[10:11], 2
	s_add_u32 s10, s26, s10
	s_addc_u32 s11, s25, s11
	;; [unrolled: 10-line block ×5, first 2 shown]
	s_clause 0x5
	s_load_b32 s21, s[6:7], 0x0
	s_load_b32 s13, s[8:9], 0x0
	;; [unrolled: 1-line block ×6, first 2 shown]
	s_or_b32 s9, s12, 0xc0
	s_delay_alu instid0(SALU_CYCLE_1) | instskip(SKIP_2) | instid1(SALU_CYCLE_1)
	s_ashr_i32 s10, s9, 5
	s_cmp_lt_i32 s9, s24
	s_cselect_b32 s36, s10, s3
	s_ashr_i32 s37, s36, 31
	s_delay_alu instid0(SALU_CYCLE_1) | instskip(NEXT) | instid1(SALU_CYCLE_1)
	s_lshl_b64 s[36:37], s[36:37], 2
	s_add_u32 s36, s26, s36
	s_addc_u32 s37, s25, s37
	s_or_b32 s29, s12, 0xe0
	s_delay_alu instid0(SALU_CYCLE_1)
	s_ashr_i32 s30, s29, 5
	s_cmp_lt_i32 s29, s24
	s_waitcnt vmcnt(1)
	v_mad_i64_i32 v[1:2], null, v5, s17, s[4:5]
	s_waitcnt vmcnt(0)
	v_mad_i64_i32 v[3:4], null, v6, s17, s[4:5]
	s_mov_b32 s4, 0
	s_delay_alu instid0(SALU_CYCLE_1)
	s_mov_b32 s5, s4
	s_mov_b32 s6, s4
	s_mov_b32 s7, s4
	s_mov_b32 s8, s4
	s_mov_b32 s9, s4
	s_mov_b32 s10, s4
	s_mov_b32 s11, s4
	v_lshlrev_b32_e32 v5, 4, v65
	v_dual_mov_b32 v107, s11 :: v_dual_mov_b32 v102, s6
	v_mov_b32_e32 v106, s10
	v_mov_b32_e32 v104, s8
	s_delay_alu instid0(VALU_DEP_4)
	v_add_co_u32 v1, vcc_lo, v1, v5
	v_add_co_ci_u32_e32 v2, vcc_lo, 0, v2, vcc_lo
	v_add_co_u32 v3, vcc_lo, v3, v5
	v_add_co_ci_u32_e32 v4, vcc_lo, 0, v4, vcc_lo
	s_clause 0x7
	global_load_b128 v[49:52], v[1:2], off
	global_load_b128 v[53:56], v[1:2], off offset:512
	global_load_b128 v[76:79], v[3:4], off offset:256
	;; [unrolled: 1-line block ×7, first 2 shown]
	v_mul_lo_u16 v1, v65, 52
	v_mov_b32_e32 v103, s7
	v_dual_mov_b32 v101, s5 :: v_dual_lshlrev_b32 v2, 5, v65
	v_mov_b32_e32 v100, s4
	s_delay_alu instid0(VALU_DEP_4) | instskip(NEXT) | instid1(VALU_DEP_3)
	v_lshrrev_b16 v1, 8, v1
	v_lshl_or_b32 v2, v66, 9, v2
	s_delay_alu instid0(VALU_DEP_2) | instskip(NEXT) | instid1(VALU_DEP_1)
	v_mul_lo_u16 v1, v1, 5
	v_sub_nc_u16 v1, v65, v1
	s_delay_alu instid0(VALU_DEP_1)
	v_and_b32_e32 v1, 0xff, v1
	v_mov_b32_e32 v105, s9
	s_cselect_b32 s4, s30, s3
	s_load_b32 s3, s[36:37], 0x0
	s_ashr_i32 s5, s4, 31
	v_lshlrev_b32_e32 v70, 6, v1
	s_lshl_b64 s[4:5], s[4:5], 2
	ds_load_b128 v[108:111], v70
	ds_load_b128 v[112:115], v70 offset:1024
	s_add_u32 s4, s26, s4
	s_addc_u32 s5, s25, s5
	s_add_u32 s6, s22, s27
	s_load_b32 s4, s[4:5], 0x0
	s_addc_u32 s7, s23, s28
	v_add_co_u32 v9, s6, s6, v2
	s_delay_alu instid0(VALU_DEP_1) | instskip(SKIP_1) | instid1(VALU_DEP_1)
	v_add_co_ci_u32_e64 v10, null, s7, 0, s6
	s_waitcnt lgkmcnt(0)
	v_mad_i64_i32 v[1:2], null, s21, s17, v[9:10]
	v_mad_i64_i32 v[3:4], null, s13, s17, v[9:10]
	v_mad_i64_i32 v[5:6], null, s15, s17, v[9:10]
	v_mad_i64_i32 v[7:8], null, s16, s17, v[9:10]
	v_mad_i64_i32 v[13:14], null, s20, s17, v[9:10]
	v_mad_i64_i32 v[11:12], null, s18, s17, v[9:10]
	v_mad_i64_i32 v[21:22], null, s3, s17, v[9:10]
	s_clause 0x9
	global_load_b128 v[57:60], v[1:2], off
	global_load_b128 v[61:64], v[1:2], off offset:16
	global_load_b128 v[41:44], v[3:4], off
	global_load_b128 v[45:48], v[3:4], off offset:16
	;; [unrolled: 2-line block ×5, first 2 shown]
	v_mad_i64_i32 v[68:69], null, s4, s17, v[9:10]
	s_clause 0x3
	global_load_b128 v[9:12], v[13:14], off
	global_load_b128 v[13:16], v[13:14], off offset:16
	global_load_b128 v[17:20], v[21:22], off
	global_load_b128 v[21:24], v[21:22], off offset:16
	s_waitcnt vmcnt(20)
	v_wmma_f32_16x16x16_bf16 v[116:123], v[49:56], v[108:115], v[100:107]
	s_clause 0x1
	global_load_b128 v[49:52], v[68:69], off
	global_load_b128 v[53:56], v[68:69], off offset:16
	v_and_b32_e32 v68, 0xe0, v0
	v_mbcnt_lo_u32_b32 v69, -1, 0
	s_delay_alu instid0(VALU_DEP_2)
	v_add_nc_u32_e32 v68, s12, v68
	s_waitcnt vmcnt(20)
	v_wmma_f32_16x16x16_bf16 v[100:107], v[76:83], v[108:115], v[100:107]
	ds_load_b128 v[76:79], v70 offset:2048
	ds_load_b128 v[80:83], v70 offset:3072
	v_xor_b32_e32 v70, 16, v69
	s_waitcnt vmcnt(0) lgkmcnt(0)
	v_or_b32_e32 v68, v68, v74
	s_barrier
	buffer_gl0_inv
	v_cmp_gt_i32_e32 vcc_lo, 32, v70
	v_or_b32_e32 v71, 4, v68
	v_or_b32_e32 v72, 6, v68
	v_cmp_gt_i32_e64 s3, s24, v68
	v_or_b32_e32 v108, 8, v68
	v_or_b32_e32 v109, 10, v68
	v_cmp_gt_i32_e64 s4, s24, v71
	v_cmp_gt_i32_e64 s5, s24, v72
	s_delay_alu instid0(VALU_DEP_4) | instskip(NEXT) | instid1(VALU_DEP_4)
	v_cmp_gt_i32_e64 s6, s24, v108
	v_cmp_gt_i32_e64 s7, s24, v109
	v_wmma_f32_16x16x16_bf16 v[116:123], v[84:91], v[76:83], v[116:123]
	v_cndmask_b32_e32 v69, v69, v70, vcc_lo
	v_or_b32_e32 v70, 2, v68
	v_wmma_f32_16x16x16_bf16 v[100:107], v[92:99], v[76:83], v[100:107]
	v_or_b32_e32 v84, 12, v68
	v_dual_mul_f32 v78, s19, v123 :: v_dual_mul_f32 v83, s19, v118
	v_dual_mul_f32 v92, s19, v117 :: v_dual_mul_f32 v93, s19, v116
	s_delay_alu instid0(VALU_DEP_4) | instskip(SKIP_2) | instid1(VALU_DEP_4)
	v_mul_f32_e32 v94, s19, v107
	v_cmp_gt_i32_e32 vcc_lo, s24, v70
	v_dual_mul_f32 v81, s19, v120 :: v_dual_mul_f32 v82, s19, v119
	v_cndmask_b32_e64 v93, 0xff7fffff, v93, s3
	v_or_b32_e32 v85, 14, v68
	v_cndmask_b32_e32 v92, 0xff7fffff, v92, vcc_lo
	v_dual_mul_f32 v79, s19, v122 :: v_dual_mul_f32 v80, s19, v121
	v_cndmask_b32_e64 v71, 0xff7fffff, v83, s4
	v_cndmask_b32_e64 v72, 0xff7fffff, v82, s5
	s_delay_alu instid0(VALU_DEP_4)
	v_max3_f32 v82, v93, 0xff7fffff, v92
	v_or_b32_e32 v86, 16, v68
	v_or_b32_e32 v87, 18, v68
	v_cndmask_b32_e64 v81, 0xff7fffff, v81, s6
	v_cndmask_b32_e64 v80, 0xff7fffff, v80, s7
	v_max3_f32 v71, v82, v71, v72
	v_cmp_gt_i32_e64 s8, s24, v84
	v_cmp_gt_i32_e64 s9, s24, v85
	v_or_b32_e32 v88, 20, v68
	v_or_b32_e32 v89, 22, v68
	;; [unrolled: 1-line block ×6, first 2 shown]
	v_dual_mul_f32 v99, s19, v102 :: v_dual_mul_f32 v70, s19, v101
	v_mul_f32_e32 v68, s19, v100
	v_cndmask_b32_e64 v72, 0xff7fffff, v79, s8
	v_cndmask_b32_e64 v78, 0xff7fffff, v78, s9
	v_max3_f32 v71, v71, v81, v80
	v_cmp_gt_i32_e64 s10, s24, v86
	v_cmp_gt_i32_e64 s11, s24, v87
	v_dual_mul_f32 v97, s19, v104 :: v_dual_mul_f32 v98, s19, v103
	s_delay_alu instid0(VALU_DEP_4) | instskip(SKIP_1) | instid1(VALU_DEP_4)
	v_max3_f32 v71, v71, v72, v78
	v_cmp_gt_i32_e64 s12, s24, v88
	v_cndmask_b32_e64 v70, 0xff7fffff, v70, s11
	v_cmp_gt_i32_e64 s13, s24, v89
	v_lshlrev_b32_e32 v89, 2, v69
	v_cndmask_b32_e64 v68, 0xff7fffff, v68, s10
	v_dual_mul_f32 v95, s19, v106 :: v_dual_mul_f32 v96, s19, v105
	v_cndmask_b32_e64 v72, 0xff7fffff, v99, s12
	v_cndmask_b32_e64 v78, 0xff7fffff, v98, s13
	s_delay_alu instid0(VALU_DEP_4)
	v_max3_f32 v68, v71, v68, v70
	v_cmp_gt_i32_e64 s15, s24, v90
	v_cmp_gt_i32_e64 s16, s24, v91
	;; [unrolled: 1-line block ×4, first 2 shown]
	v_max3_f32 v68, v68, v72, v78
	v_cndmask_b32_e64 v70, 0xff7fffff, v97, s15
	v_cndmask_b32_e64 v71, 0xff7fffff, v96, s16
	;; [unrolled: 1-line block ×4, first 2 shown]
	s_delay_alu instid0(VALU_DEP_3) | instskip(NEXT) | instid1(VALU_DEP_1)
	v_max3_f32 v68, v68, v70, v71
	v_max3_f32 v68, v68, v72, v76
	ds_bpermute_b32 v69, v89, v68
	s_waitcnt lgkmcnt(0)
	v_max_f32_e32 v69, v69, v69
	s_delay_alu instid0(VALU_DEP_1) | instskip(NEXT) | instid1(VALU_DEP_1)
	v_max_f32_e32 v68, v68, v69
	v_fma_f32 v71, s19, v118, -v68
	s_delay_alu instid0(VALU_DEP_1)
	v_mul_f32_e32 v71, 0x3fb8aa3b, v71
	v_fma_f32 v69, s19, v116, -v68
	v_fma_f32 v70, s19, v117, -v68
	;; [unrolled: 1-line block ×4, first 2 shown]
	v_exp_f32_e32 v71, v71
	s_delay_alu instid0(VALU_DEP_3) | instskip(SKIP_2) | instid1(VALU_DEP_3)
	v_dual_mul_f32 v69, 0x3fb8aa3b, v69 :: v_dual_mul_f32 v70, 0x3fb8aa3b, v70
	v_fma_f32 v78, s19, v122, -v68
	v_fma_f32 v81, s19, v105, -v68
	v_exp_f32_e32 v69, v69
	s_delay_alu instid0(VALU_DEP_3) | instskip(SKIP_1) | instid1(VALU_DEP_2)
	v_exp_f32_e32 v70, v70
	v_mul_f32_e32 v77, 0x3fb8aa3b, v76
	v_mul_f32_e32 v81, 0x3fb8aa3b, v81
	s_delay_alu instid0(TRANS32_DEP_3) | instskip(SKIP_1) | instid1(VALU_DEP_3)
	v_cndmask_b32_e64 v83, 0, v71, s4
	v_fma_f32 v71, s19, v123, -v68
	v_exp_f32_e32 v81, v81
	s_delay_alu instid0(TRANS32_DEP_3) | instskip(NEXT) | instid1(TRANS32_DEP_2)
	v_cndmask_b32_e64 v80, 0, v69, s3
	v_cndmask_b32_e32 v76, 0, v70, vcc_lo
	v_fma_f32 v69, s19, v121, -v68
	v_mul_f32_e32 v72, 0x3fb8aa3b, v72
	v_exp_f32_e32 v77, v77
	v_dual_add_f32 v70, 0, v80 :: v_dual_mul_f32 v71, 0x3fb8aa3b, v71
	s_delay_alu instid0(VALU_DEP_3) | instskip(NEXT) | instid1(VALU_DEP_3)
	v_mul_f32_e32 v69, 0x3fb8aa3b, v69
	v_exp_f32_e32 v72, v72
	v_cmp_gt_u32_e64 s3, 16, v67
	s_delay_alu instid0(VALU_DEP_3) | instskip(NEXT) | instid1(VALU_DEP_2)
	v_exp_f32_e32 v71, v71
	v_exp_f32_e32 v69, v69
	v_cndmask_b32_e64 v86, 0, v77, s6
	v_fma_f32 v77, s19, v101, -v68
	v_add_f32_e32 v70, v70, v76
	s_delay_alu instid0(TRANS32_DEP_3) | instskip(SKIP_1) | instid1(VALU_DEP_3)
	v_cndmask_b32_e64 v85, 0, v72, s5
	v_fma_f32 v72, s19, v100, -v68
	v_dual_mul_f32 v77, 0x3fb8aa3b, v77 :: v_dual_add_f32 v70, v70, v83
	s_delay_alu instid0(TRANS32_DEP_2) | instskip(SKIP_1) | instid1(TRANS32_DEP_1)
	v_cndmask_b32_e64 v88, 0, v71, s9
	v_fma_f32 v71, s19, v104, -v68
	v_cndmask_b32_e64 v87, 0, v69, s7
	s_delay_alu instid0(VALU_DEP_4) | instskip(NEXT) | instid1(VALU_DEP_2)
	v_exp_f32_e32 v77, v77
	v_dual_add_f32 v70, v70, v85 :: v_dual_mul_f32 v71, 0x3fb8aa3b, v71
	s_delay_alu instid0(VALU_DEP_1) | instskip(SKIP_2) | instid1(VALU_DEP_3)
	v_dual_mul_f32 v72, 0x3fb8aa3b, v72 :: v_dual_add_f32 v69, v70, v86
	v_mul_f32_e32 v78, 0x3fb8aa3b, v78
	v_fma_f32 v70, s19, v102, -v68
	v_exp_f32_e32 v72, v72
	v_exp_f32_e32 v82, v71
	v_add_f32_e32 v69, v69, v87
	v_exp_f32_e32 v78, v78
	v_mul_f32_e32 v70, 0x3fb8aa3b, v70
	s_delay_alu instid0(VALU_DEP_1) | instskip(SKIP_4) | instid1(VALU_DEP_2)
	v_exp_f32_e32 v79, v70
	v_cndmask_b32_e64 v70, 0, v72, s10
	s_waitcnt_depctr 0xfff
	v_cndmask_b32_e64 v84, 0, v78, s8
	v_fma_f32 v78, s19, v103, -v68
	v_add_f32_e32 v69, v69, v84
	v_cndmask_b32_e64 v71, 0, v79, s12
	s_delay_alu instid0(VALU_DEP_2) | instskip(SKIP_2) | instid1(VALU_DEP_1)
	v_add_f32_e32 v72, v69, v88
	v_cndmask_b32_e64 v69, 0, v77, s11
	v_fma_f32 v77, s19, v106, -v68
	v_dual_mul_f32 v77, 0x3fb8aa3b, v77 :: v_dual_add_f32 v72, v72, v70
	v_mul_f32_e32 v78, 0x3fb8aa3b, v78
	s_delay_alu instid0(VALU_DEP_2) | instskip(NEXT) | instid1(VALU_DEP_2)
	v_exp_f32_e32 v90, v77
	v_add_f32_e32 v79, v72, v69
	s_delay_alu instid0(VALU_DEP_2)
	v_exp_f32_e32 v78, v78
	v_cndmask_b32_e64 v77, 0, v82, s15
	s_waitcnt_depctr 0xfff
	v_cndmask_b32_e64 v72, 0, v78, s13
	v_add_f32_e32 v78, v79, v71
	v_fma_f32 v79, s19, v107, -v68
	s_delay_alu instid0(VALU_DEP_1) | instskip(SKIP_1) | instid1(VALU_DEP_2)
	v_dual_add_f32 v82, v78, v72 :: v_dual_mul_f32 v79, 0x3fb8aa3b, v79
	v_cndmask_b32_e64 v78, 0, v81, s16
	v_add_f32_e32 v81, v82, v77
	s_delay_alu instid0(VALU_DEP_3) | instskip(SKIP_1) | instid1(VALU_DEP_2)
	v_exp_f32_e32 v82, v79
	v_cndmask_b32_e64 v79, 0, v90, s17
	v_add_f32_e32 v81, v81, v78
	s_delay_alu instid0(VALU_DEP_1) | instskip(SKIP_2) | instid1(VALU_DEP_1)
	v_add_f32_e32 v90, v81, v79
	s_waitcnt_depctr 0xfff
	v_cndmask_b32_e64 v81, 0, v82, s18
	v_add_f32_e32 v82, v90, v81
	ds_bpermute_b32 v89, v89, v82
	s_and_saveexec_b32 s4, s3
	s_cbranch_execz .LBB1470_12
; %bb.11:
	v_mul_u32_u24_e32 v67, 0x44, v66
	s_delay_alu instid0(VALU_DEP_1) | instskip(SKIP_1) | instid1(VALU_DEP_1)
	v_lshl_add_u32 v67, v65, 2, v67
	s_waitcnt lgkmcnt(0)
	v_dual_add_f32 v82, v82, v89 :: v_dual_add_nc_u32 v67, 0x4000, v67
	ds_store_2addr_b32 v67, v68, v82 offset1:136
.LBB1470_12:
	s_or_b32 exec_lo, exec_lo, s4
	v_lshlrev_b32_e32 v67, 2, v65
	s_waitcnt lgkmcnt(0)
	s_barrier
	buffer_gl0_inv
	v_cmp_eq_u32_e32 vcc_lo, 1, v66
	v_add_nc_u32_e32 v82, 0x4000, v67
	v_cmp_eq_u32_e64 s4, 2, v66
	v_cmp_eq_u32_e64 s6, 7, v66
	ds_load_2addr_b32 v[89:90], v82 offset1:17
	ds_load_2addr_b32 v[91:92], v82 offset0:34 offset1:51
	ds_load_2addr_b32 v[93:94], v82 offset0:68 offset1:85
	;; [unrolled: 1-line block ×4, first 2 shown]
	s_waitcnt lgkmcnt(4)
	v_max3_f32 v67, v89, 0xff7fffff, v90
	s_waitcnt lgkmcnt(3)
	s_delay_alu instid0(VALU_DEP_1) | instskip(SKIP_1) | instid1(VALU_DEP_1)
	v_max3_f32 v67, v67, v91, v92
	s_waitcnt lgkmcnt(2)
	v_max3_f32 v67, v67, v93, v94
	s_waitcnt lgkmcnt(1)
	s_delay_alu instid0(VALU_DEP_1) | instskip(NEXT) | instid1(VALU_DEP_1)
	v_max3_f32 v67, v67, v95, v96
	v_sub_f32_e32 v93, v93, v67
	s_delay_alu instid0(VALU_DEP_1) | instskip(NEXT) | instid1(VALU_DEP_1)
	v_dual_sub_f32 v68, v89, v67 :: v_dual_mul_f32 v103, 0x3fb8aa3b, v93
	v_mul_f32_e32 v68, 0x3fb8aa3b, v68
	s_delay_alu instid0(VALU_DEP_1)
	v_exp_f32_e32 v100, v68
	v_sub_f32_e32 v68, v92, v67
	v_sub_f32_e32 v99, v90, v67
	ds_load_2addr_b32 v[89:90], v82 offset0:170 offset1:187
	v_dual_mul_f32 v102, 0x3fb8aa3b, v68 :: v_dual_mul_f32 v99, 0x3fb8aa3b, v99
	s_waitcnt lgkmcnt(1)
	v_fma_f32 v68, v100, v97, 0
	s_delay_alu instid0(VALU_DEP_2) | instskip(NEXT) | instid1(VALU_DEP_2)
	v_exp_f32_e32 v102, v102
	v_exp_f32_e32 v99, v99
	s_waitcnt_depctr 0xfff
	v_fmac_f32_e32 v68, v99, v98
	v_sub_f32_e32 v91, v91, v67
	s_delay_alu instid0(VALU_DEP_1)
	v_mul_f32_e32 v101, 0x3fb8aa3b, v91
	ds_load_2addr_b32 v[91:92], v82 offset0:204 offset1:221
	v_sub_f32_e32 v97, v94, v67
	ds_load_2addr_b32 v[93:94], v82 offset0:238 offset1:255
	s_waitcnt lgkmcnt(0)
	v_exp_f32_e32 v101, v101
	s_barrier
	buffer_gl0_inv
	v_dual_fmac_f32 v68, v101, v89 :: v_dual_sub_f32 v89, v96, v67
	v_dual_sub_f32 v82, v95, v67 :: v_dual_mul_f32 v95, 0x3fb8aa3b, v97
	v_exp_f32_e32 v97, v103
	s_delay_alu instid0(VALU_DEP_2) | instskip(NEXT) | instid1(VALU_DEP_2)
	v_dual_fmac_f32 v68, v102, v90 :: v_dual_mul_f32 v89, 0x3fb8aa3b, v89
	v_mul_f32_e32 v82, 0x3fb8aa3b, v82
	s_delay_alu instid0(VALU_DEP_3) | instskip(NEXT) | instid1(VALU_DEP_2)
	v_exp_f32_e32 v95, v95
	v_exp_f32_e32 v89, v89
	s_delay_alu instid0(VALU_DEP_1)
	v_exp_f32_e32 v82, v82
	v_fmac_f32_e32 v68, v97, v91
	s_delay_alu instid0(TRANS32_DEP_3) | instid1(VALU_DEP_1)
	v_fmac_f32_e32 v68, v95, v92
	s_waitcnt_depctr 0xfff
	v_fmac_f32_e32 v68, v82, v93
	s_delay_alu instid0(VALU_DEP_1) | instskip(NEXT) | instid1(VALU_DEP_1)
	v_fmac_f32_e32 v68, v89, v94
	v_add_f32_e32 v90, 0x358637bd, v68
	s_delay_alu instid0(VALU_DEP_1) | instskip(NEXT) | instid1(VALU_DEP_1)
	v_div_scale_f32 v91, null, v90, v90, 1.0
	v_rcp_f32_e32 v92, v91
	s_waitcnt_depctr 0xfff
	v_fma_f32 v93, -v91, v92, 1.0
	s_delay_alu instid0(VALU_DEP_1) | instskip(SKIP_1) | instid1(VALU_DEP_2)
	v_dual_fmac_f32 v92, v93, v92 :: v_dual_cndmask_b32 v93, v100, v99
	v_cmp_eq_u32_e32 vcc_lo, 3, v66
	v_cndmask_b32_e64 v93, v93, v101, s4
	v_cmp_eq_u32_e64 s4, 4, v66
	s_delay_alu instid0(VALU_DEP_2) | instskip(SKIP_1) | instid1(VALU_DEP_2)
	v_cndmask_b32_e32 v93, v93, v102, vcc_lo
	v_cmp_eq_u32_e32 vcc_lo, 5, v66
	v_cndmask_b32_e64 v93, v93, v97, s4
	v_cmp_eq_u32_e64 s4, 6, v66
	s_delay_alu instid0(VALU_DEP_2) | instskip(SKIP_1) | instid1(VALU_DEP_1)
	v_cndmask_b32_e32 v93, v93, v95, vcc_lo
	v_div_scale_f32 v94, s5, 1.0, v90, 1.0
	s_mov_b32 vcc_lo, s5
	s_delay_alu instid0(VALU_DEP_2) | instskip(NEXT) | instid1(VALU_DEP_2)
	v_cndmask_b32_e64 v82, v93, v82, s4
	v_mul_f32_e32 v96, v94, v92
	s_mov_b32 s4, exec_lo
	s_delay_alu instid0(VALU_DEP_2) | instskip(NEXT) | instid1(VALU_DEP_2)
	v_cndmask_b32_e64 v82, v82, v89, s6
	v_fma_f32 v98, -v91, v96, v94
	s_delay_alu instid0(VALU_DEP_1) | instskip(NEXT) | instid1(VALU_DEP_1)
	v_fmac_f32_e32 v96, v98, v92
	v_fma_f32 v91, -v91, v96, v94
	s_delay_alu instid0(VALU_DEP_1) | instskip(NEXT) | instid1(VALU_DEP_1)
	v_div_fmas_f32 v91, v91, v92, v96
	v_div_fixup_f32 v90, v91, v90, 1.0
	s_delay_alu instid0(VALU_DEP_1) | instskip(NEXT) | instid1(VALU_DEP_1)
	v_mul_f32_e32 v82, v82, v90
	v_mul_f32_e32 v87, v82, v87
	;; [unrolled: 1-line block ×7, first 2 shown]
	v_dual_mul_f32 v86, v82, v83 :: v_dual_and_b32 v91, 0x7f800000, v90
	v_mul_f32_e32 v85, v82, v76
                                        ; implicit-def: $vgpr76
	s_delay_alu instid0(VALU_DEP_2)
	v_cmpx_ne_u32_e32 0x7f800000, v91
	s_xor_b32 s4, exec_lo, s4
; %bb.13:
	v_bfe_u32 v76, v90, 16, 1
	s_delay_alu instid0(VALU_DEP_1)
	v_add3_u32 v76, v90, v76, 0x7fff
                                        ; implicit-def: $vgpr90
; %bb.14:
	s_and_not1_saveexec_b32 s4, s4
; %bb.15:
	v_and_b32_e32 v76, 0xffff, v90
	v_or_b32_e32 v83, 0x10000, v90
	s_delay_alu instid0(VALU_DEP_2) | instskip(NEXT) | instid1(VALU_DEP_2)
	v_cmp_eq_u32_e32 vcc_lo, 0, v76
	v_cndmask_b32_e32 v76, v83, v90, vcc_lo
; %bb.16:
	s_or_b32 exec_lo, exec_lo, s4
	v_and_b32_e32 v83, 0x7f800000, v85
	s_delay_alu instid0(VALU_DEP_1) | instskip(SKIP_1) | instid1(SALU_CYCLE_1)
	v_cmp_ne_u32_e32 vcc_lo, 0x7f800000, v83
                                        ; implicit-def: $vgpr83
	s_and_saveexec_b32 s4, vcc_lo
	s_xor_b32 s4, exec_lo, s4
; %bb.17:
	v_bfe_u32 v83, v85, 16, 1
	s_delay_alu instid0(VALU_DEP_1)
	v_add3_u32 v83, v85, v83, 0x7fff
                                        ; implicit-def: $vgpr85
; %bb.18:
	s_and_not1_saveexec_b32 s4, s4
; %bb.19:
	v_and_b32_e32 v83, 0xffff, v85
	v_or_b32_e32 v90, 0x10000, v85
	s_delay_alu instid0(VALU_DEP_2) | instskip(NEXT) | instid1(VALU_DEP_2)
	v_cmp_eq_u32_e32 vcc_lo, 0, v83
	v_cndmask_b32_e32 v83, v90, v85, vcc_lo
; %bb.20:
	s_or_b32 exec_lo, exec_lo, s4
	v_and_b32_e32 v85, 0x7f800000, v86
	s_delay_alu instid0(VALU_DEP_1) | instskip(SKIP_1) | instid1(SALU_CYCLE_1)
	v_cmp_ne_u32_e32 vcc_lo, 0x7f800000, v85
                                        ; implicit-def: $vgpr85
	s_and_saveexec_b32 s4, vcc_lo
	s_xor_b32 s4, exec_lo, s4
; %bb.21:
	v_bfe_u32 v85, v86, 16, 1
	s_delay_alu instid0(VALU_DEP_1)
	v_add3_u32 v85, v86, v85, 0x7fff
                                        ; implicit-def: $vgpr86
; %bb.22:
	s_and_not1_saveexec_b32 s4, s4
; %bb.23:
	v_and_b32_e32 v85, 0xffff, v86
	v_or_b32_e32 v90, 0x10000, v86
	s_delay_alu instid0(VALU_DEP_2) | instskip(NEXT) | instid1(VALU_DEP_2)
	v_cmp_eq_u32_e32 vcc_lo, 0, v85
	v_cndmask_b32_e32 v85, v90, v86, vcc_lo
; %bb.24:
	s_or_b32 exec_lo, exec_lo, s4
	v_and_b32_e32 v86, 0x7f800000, v89
	s_delay_alu instid0(VALU_DEP_1) | instskip(SKIP_1) | instid1(SALU_CYCLE_1)
	v_cmp_ne_u32_e32 vcc_lo, 0x7f800000, v86
                                        ; implicit-def: $vgpr86
	s_and_saveexec_b32 s4, vcc_lo
	s_xor_b32 s4, exec_lo, s4
; %bb.25:
	v_bfe_u32 v86, v89, 16, 1
	s_delay_alu instid0(VALU_DEP_1)
	v_add3_u32 v86, v89, v86, 0x7fff
                                        ; implicit-def: $vgpr89
; %bb.26:
	s_and_not1_saveexec_b32 s4, s4
; %bb.27:
	v_and_b32_e32 v86, 0xffff, v89
	v_or_b32_e32 v90, 0x10000, v89
	s_delay_alu instid0(VALU_DEP_2) | instskip(NEXT) | instid1(VALU_DEP_2)
	v_cmp_eq_u32_e32 vcc_lo, 0, v86
	v_cndmask_b32_e32 v86, v90, v89, vcc_lo
; %bb.28:
	s_or_b32 exec_lo, exec_lo, s4
	v_and_b32_e32 v89, 0x7f800000, v88
	s_delay_alu instid0(VALU_DEP_1) | instskip(SKIP_1) | instid1(SALU_CYCLE_1)
	v_cmp_ne_u32_e32 vcc_lo, 0x7f800000, v89
                                        ; implicit-def: $vgpr89
	s_and_saveexec_b32 s4, vcc_lo
	s_xor_b32 s4, exec_lo, s4
; %bb.29:
	v_bfe_u32 v89, v88, 16, 1
	s_delay_alu instid0(VALU_DEP_1)
	v_add3_u32 v89, v88, v89, 0x7fff
                                        ; implicit-def: $vgpr88
; %bb.30:
	s_and_not1_saveexec_b32 s4, s4
; %bb.31:
	v_and_b32_e32 v89, 0xffff, v88
	v_or_b32_e32 v90, 0x10000, v88
	s_delay_alu instid0(VALU_DEP_2) | instskip(NEXT) | instid1(VALU_DEP_2)
	v_cmp_eq_u32_e32 vcc_lo, 0, v89
	v_cndmask_b32_e32 v89, v90, v88, vcc_lo
; %bb.32:
	s_or_b32 exec_lo, exec_lo, s4
	v_and_b32_e32 v88, 0x7f800000, v87
	s_delay_alu instid0(VALU_DEP_1) | instskip(SKIP_1) | instid1(SALU_CYCLE_1)
	v_cmp_ne_u32_e32 vcc_lo, 0x7f800000, v88
                                        ; implicit-def: $vgpr88
	s_and_saveexec_b32 s4, vcc_lo
	s_xor_b32 s4, exec_lo, s4
; %bb.33:
	v_bfe_u32 v88, v87, 16, 1
	s_delay_alu instid0(VALU_DEP_1)
	v_add3_u32 v88, v87, v88, 0x7fff
                                        ; implicit-def: $vgpr87
; %bb.34:
	s_and_not1_saveexec_b32 s4, s4
; %bb.35:
	v_and_b32_e32 v88, 0xffff, v87
	v_or_b32_e32 v90, 0x10000, v87
	s_delay_alu instid0(VALU_DEP_2) | instskip(NEXT) | instid1(VALU_DEP_2)
	v_cmp_eq_u32_e32 vcc_lo, 0, v88
	v_cndmask_b32_e32 v88, v90, v87, vcc_lo
; %bb.36:
	s_or_b32 exec_lo, exec_lo, s4
	v_and_b32_e32 v87, 0x7f800000, v84
	s_delay_alu instid0(VALU_DEP_1) | instskip(SKIP_1) | instid1(SALU_CYCLE_1)
	v_cmp_ne_u32_e32 vcc_lo, 0x7f800000, v87
                                        ; implicit-def: $vgpr87
	s_and_saveexec_b32 s4, vcc_lo
	s_xor_b32 s4, exec_lo, s4
; %bb.37:
	v_bfe_u32 v87, v84, 16, 1
	s_delay_alu instid0(VALU_DEP_1)
	v_add3_u32 v87, v84, v87, 0x7fff
                                        ; implicit-def: $vgpr84
; %bb.38:
	s_and_not1_saveexec_b32 s4, s4
; %bb.39:
	v_and_b32_e32 v87, 0xffff, v84
	v_or_b32_e32 v90, 0x10000, v84
	s_delay_alu instid0(VALU_DEP_2) | instskip(NEXT) | instid1(VALU_DEP_2)
	v_cmp_eq_u32_e32 vcc_lo, 0, v87
	v_cndmask_b32_e32 v87, v90, v84, vcc_lo
; %bb.40:
	s_or_b32 exec_lo, exec_lo, s4
	v_and_b32_e32 v84, 0x7f800000, v80
	s_delay_alu instid0(VALU_DEP_1) | instskip(SKIP_1) | instid1(SALU_CYCLE_1)
	v_cmp_ne_u32_e32 vcc_lo, 0x7f800000, v84
                                        ; implicit-def: $vgpr84
	s_and_saveexec_b32 s4, vcc_lo
	s_xor_b32 s4, exec_lo, s4
; %bb.41:
	v_bfe_u32 v84, v80, 16, 1
	s_delay_alu instid0(VALU_DEP_1)
	v_add3_u32 v84, v80, v84, 0x7fff
                                        ; implicit-def: $vgpr80
; %bb.42:
	s_and_not1_saveexec_b32 s4, s4
; %bb.43:
	v_and_b32_e32 v84, 0xffff, v80
	v_or_b32_e32 v90, 0x10000, v80
	s_delay_alu instid0(VALU_DEP_2) | instskip(NEXT) | instid1(VALU_DEP_2)
	v_cmp_eq_u32_e32 vcc_lo, 0, v84
	v_cndmask_b32_e32 v84, v90, v80, vcc_lo
; %bb.44:
	s_or_b32 exec_lo, exec_lo, s4
	s_load_b64 s[36:37], s[0:1], 0x94
	v_lshlrev_b32_e32 v91, 4, v74
	s_delay_alu instid0(VALU_DEP_2)
	v_perm_b32 v90, v84, v87, 0x7060302
	v_dual_mul_f32 v79, v82, v79 :: v_dual_lshlrev_b32 v80, 6, v65
	v_dual_mul_f32 v77, v82, v77 :: v_dual_lshlrev_b32 v92, 11, v66
	v_mul_f32_e32 v84, v82, v70
	v_perm_b32 v89, v88, v89, 0x7060302
	v_perm_b32 v88, v86, v85, 0x7060302
	;; [unrolled: 1-line block ×3, first 2 shown]
	v_mul_f32_e32 v70, v82, v81
	v_or3_b32 v76, v91, v92, v80
	v_dual_mul_f32 v78, v82, v78 :: v_dual_and_b32 v85, 0x7f800000, v84
	v_mul_f32_e32 v83, v82, v72
	v_mul_f32_e32 v81, v82, v71
	;; [unrolled: 1-line block ×3, first 2 shown]
	s_mov_b32 s4, exec_lo
	ds_store_b128 v76, v[87:90]
                                        ; implicit-def: $vgpr69
	v_cmpx_ne_u32_e32 0x7f800000, v85
	s_xor_b32 s4, exec_lo, s4
; %bb.45:
	v_bfe_u32 v69, v84, 16, 1
	s_delay_alu instid0(VALU_DEP_1)
	v_add3_u32 v69, v84, v69, 0x7fff
                                        ; implicit-def: $vgpr84
; %bb.46:
	s_and_not1_saveexec_b32 s4, s4
; %bb.47:
	v_and_b32_e32 v69, 0xffff, v84
	v_or_b32_e32 v71, 0x10000, v84
	s_delay_alu instid0(VALU_DEP_2) | instskip(NEXT) | instid1(VALU_DEP_2)
	v_cmp_eq_u32_e32 vcc_lo, 0, v69
	v_cndmask_b32_e32 v69, v71, v84, vcc_lo
; %bb.48:
	s_or_b32 exec_lo, exec_lo, s4
	v_and_b32_e32 v71, 0x7f800000, v72
	s_delay_alu instid0(VALU_DEP_1) | instskip(SKIP_1) | instid1(SALU_CYCLE_1)
	v_cmp_ne_u32_e32 vcc_lo, 0x7f800000, v71
                                        ; implicit-def: $vgpr71
	s_and_saveexec_b32 s4, vcc_lo
	s_xor_b32 s4, exec_lo, s4
; %bb.49:
	v_bfe_u32 v71, v72, 16, 1
	s_delay_alu instid0(VALU_DEP_1)
	v_add3_u32 v71, v72, v71, 0x7fff
                                        ; implicit-def: $vgpr72
; %bb.50:
	s_and_not1_saveexec_b32 s4, s4
; %bb.51:
	v_and_b32_e32 v71, 0xffff, v72
	v_or_b32_e32 v82, 0x10000, v72
	s_delay_alu instid0(VALU_DEP_2) | instskip(NEXT) | instid1(VALU_DEP_2)
	v_cmp_eq_u32_e32 vcc_lo, 0, v71
	v_cndmask_b32_e32 v71, v82, v72, vcc_lo
; %bb.52:
	s_or_b32 exec_lo, exec_lo, s4
	v_and_b32_e32 v72, 0x7f800000, v81
	s_delay_alu instid0(VALU_DEP_1) | instskip(SKIP_1) | instid1(SALU_CYCLE_1)
	v_cmp_ne_u32_e32 vcc_lo, 0x7f800000, v72
                                        ; implicit-def: $vgpr72
	s_and_saveexec_b32 s4, vcc_lo
	s_xor_b32 s4, exec_lo, s4
; %bb.53:
	v_bfe_u32 v72, v81, 16, 1
	s_delay_alu instid0(VALU_DEP_1)
	v_add3_u32 v72, v81, v72, 0x7fff
                                        ; implicit-def: $vgpr81
; %bb.54:
	s_and_not1_saveexec_b32 s4, s4
; %bb.55:
	v_and_b32_e32 v72, 0xffff, v81
	v_or_b32_e32 v82, 0x10000, v81
	s_delay_alu instid0(VALU_DEP_2) | instskip(NEXT) | instid1(VALU_DEP_2)
	v_cmp_eq_u32_e32 vcc_lo, 0, v72
	v_cndmask_b32_e32 v72, v82, v81, vcc_lo
; %bb.56:
	s_or_b32 exec_lo, exec_lo, s4
	v_and_b32_e32 v81, 0x7f800000, v83
	s_delay_alu instid0(VALU_DEP_1) | instskip(SKIP_1) | instid1(SALU_CYCLE_1)
	v_cmp_ne_u32_e32 vcc_lo, 0x7f800000, v81
                                        ; implicit-def: $vgpr81
	s_and_saveexec_b32 s4, vcc_lo
	s_xor_b32 s4, exec_lo, s4
; %bb.57:
	v_bfe_u32 v81, v83, 16, 1
	s_delay_alu instid0(VALU_DEP_1)
	v_add3_u32 v81, v83, v81, 0x7fff
                                        ; implicit-def: $vgpr83
; %bb.58:
	s_and_not1_saveexec_b32 s4, s4
; %bb.59:
	v_and_b32_e32 v81, 0xffff, v83
	v_or_b32_e32 v82, 0x10000, v83
	s_delay_alu instid0(VALU_DEP_2) | instskip(NEXT) | instid1(VALU_DEP_2)
	v_cmp_eq_u32_e32 vcc_lo, 0, v81
	v_cndmask_b32_e32 v81, v82, v83, vcc_lo
; %bb.60:
	s_or_b32 exec_lo, exec_lo, s4
	v_and_b32_e32 v82, 0x7f800000, v77
	s_delay_alu instid0(VALU_DEP_1) | instskip(SKIP_1) | instid1(SALU_CYCLE_1)
	v_cmp_ne_u32_e32 vcc_lo, 0x7f800000, v82
                                        ; implicit-def: $vgpr82
	s_and_saveexec_b32 s4, vcc_lo
	s_xor_b32 s4, exec_lo, s4
; %bb.61:
	v_bfe_u32 v82, v77, 16, 1
	s_delay_alu instid0(VALU_DEP_1)
	v_add3_u32 v82, v77, v82, 0x7fff
                                        ; implicit-def: $vgpr77
; %bb.62:
	s_and_not1_saveexec_b32 s4, s4
; %bb.63:
	v_and_b32_e32 v82, 0xffff, v77
	v_or_b32_e32 v83, 0x10000, v77
	s_delay_alu instid0(VALU_DEP_2) | instskip(NEXT) | instid1(VALU_DEP_2)
	v_cmp_eq_u32_e32 vcc_lo, 0, v82
	v_cndmask_b32_e32 v82, v83, v77, vcc_lo
; %bb.64:
	s_or_b32 exec_lo, exec_lo, s4
	v_and_b32_e32 v77, 0x7f800000, v78
	s_delay_alu instid0(VALU_DEP_1) | instskip(SKIP_1) | instid1(SALU_CYCLE_1)
	v_cmp_ne_u32_e32 vcc_lo, 0x7f800000, v77
                                        ; implicit-def: $vgpr77
	s_and_saveexec_b32 s4, vcc_lo
	s_xor_b32 s4, exec_lo, s4
; %bb.65:
	v_bfe_u32 v77, v78, 16, 1
	s_delay_alu instid0(VALU_DEP_1)
	v_add3_u32 v77, v78, v77, 0x7fff
                                        ; implicit-def: $vgpr78
; %bb.66:
	s_and_not1_saveexec_b32 s4, s4
; %bb.67:
	v_and_b32_e32 v77, 0xffff, v78
	v_or_b32_e32 v83, 0x10000, v78
	s_delay_alu instid0(VALU_DEP_2) | instskip(NEXT) | instid1(VALU_DEP_2)
	v_cmp_eq_u32_e32 vcc_lo, 0, v77
	v_cndmask_b32_e32 v77, v83, v78, vcc_lo
; %bb.68:
	s_or_b32 exec_lo, exec_lo, s4
	v_and_b32_e32 v78, 0x7f800000, v79
	s_delay_alu instid0(VALU_DEP_1) | instskip(SKIP_1) | instid1(SALU_CYCLE_1)
	v_cmp_ne_u32_e32 vcc_lo, 0x7f800000, v78
                                        ; implicit-def: $vgpr78
	s_and_saveexec_b32 s4, vcc_lo
	s_xor_b32 s4, exec_lo, s4
; %bb.69:
	v_bfe_u32 v78, v79, 16, 1
	s_delay_alu instid0(VALU_DEP_1)
	v_add3_u32 v78, v79, v78, 0x7fff
                                        ; implicit-def: $vgpr79
; %bb.70:
	s_and_not1_saveexec_b32 s4, s4
; %bb.71:
	v_and_b32_e32 v78, 0xffff, v79
	v_or_b32_e32 v83, 0x10000, v79
	s_delay_alu instid0(VALU_DEP_2) | instskip(NEXT) | instid1(VALU_DEP_2)
	v_cmp_eq_u32_e32 vcc_lo, 0, v78
	v_cndmask_b32_e32 v78, v83, v79, vcc_lo
; %bb.72:
	s_or_b32 exec_lo, exec_lo, s4
	v_and_b32_e32 v79, 0x7f800000, v70
	s_delay_alu instid0(VALU_DEP_1) | instskip(SKIP_1) | instid1(SALU_CYCLE_1)
	v_cmp_ne_u32_e32 vcc_lo, 0x7f800000, v79
                                        ; implicit-def: $vgpr79
	s_and_saveexec_b32 s4, vcc_lo
	s_xor_b32 s4, exec_lo, s4
; %bb.73:
	v_bfe_u32 v79, v70, 16, 1
	s_delay_alu instid0(VALU_DEP_1)
	v_add3_u32 v79, v70, v79, 0x7fff
                                        ; implicit-def: $vgpr70
; %bb.74:
	s_and_not1_saveexec_b32 s4, s4
; %bb.75:
	v_and_b32_e32 v79, 0xffff, v70
	v_or_b32_e32 v83, 0x10000, v70
	s_delay_alu instid0(VALU_DEP_2) | instskip(NEXT) | instid1(VALU_DEP_2)
	v_cmp_eq_u32_e32 vcc_lo, 0, v79
	v_cndmask_b32_e32 v79, v83, v70, vcc_lo
; %bb.76:
	s_or_b32 exec_lo, exec_lo, s4
	s_delay_alu instid0(VALU_DEP_1)
	v_perm_b32 v86, v79, v78, 0x7060302
	v_perm_b32 v85, v77, v82, 0x7060302
	;; [unrolled: 1-line block ×4, first 2 shown]
	v_lshl_or_b32 v82, v66, 11, v80
	ds_store_b128 v76, v[83:86] offset:1024
	s_waitcnt lgkmcnt(0)
	s_barrier
	buffer_gl0_inv
	ds_load_b128 v[69:72], v82
	ds_load_b128 v[83:86], v82 offset:16
	s_waitcnt lgkmcnt(1)
	v_lshrrev_b32_e32 v66, 16, v69
	s_waitcnt lgkmcnt(0)
	v_lshrrev_b32_e32 v91, 16, v83
	v_lshlrev_b32_e32 v78, 2, v74
	v_lshrrev_b32_e32 v95, 16, v70
	v_lshrrev_b32_e32 v98, 16, v84
	;; [unrolled: 1-line block ×4, first 2 shown]
	v_cmp_eq_u32_e32 vcc_lo, 1, v78
	v_lshrrev_b32_e32 v97, 16, v72
	v_lshrrev_b32_e32 v100, 16, v86
	v_cndmask_b32_e32 v87, v83, v91, vcc_lo
	v_or_b32_e32 v79, 1, v78
	v_cndmask_b32_e32 v81, v69, v66, vcc_lo
	v_cmp_eq_u32_e64 s5, 2, v78
	v_cmp_eq_u32_e64 s8, 3, v78
	;; [unrolled: 1-line block ×5, first 2 shown]
	v_cndmask_b32_e64 v81, v81, v70, s5
	v_cndmask_b32_e64 v87, v87, v84, s5
	v_cmp_eq_u32_e64 s9, 3, v79
	v_cndmask_b32_e64 v88, v69, v66, s4
	v_or_b32_e32 v77, 2, v78
	v_cndmask_b32_e64 v81, v81, v95, s8
	v_cndmask_b32_e64 v87, v87, v98, s8
	;; [unrolled: 1-line block ×4, first 2 shown]
	v_cmp_eq_u32_e64 s11, 5, v78
	v_cndmask_b32_e64 v81, v81, v71, s10
	v_cndmask_b32_e64 v87, v87, v85, s10
	v_cmp_eq_u32_e64 s12, 4, v79
	v_cndmask_b32_e64 v88, v88, v95, s9
	v_cmp_eq_u32_e64 s6, 1, v77
	v_cndmask_b32_e64 v89, v89, v84, s7
	v_cndmask_b32_e64 v81, v81, v96, s11
	v_cmp_eq_u32_e64 s13, 6, v78
	v_cndmask_b32_e64 v88, v88, v71, s12
	;; [unrolled: 3-line block ×3, first 2 shown]
	v_cndmask_b32_e64 v89, v89, v98, s9
	v_cndmask_b32_e64 v81, v81, v72, s13
	v_cmp_eq_u32_e64 s16, 7, v78
	v_cndmask_b32_e64 v88, v88, v96, s15
	v_cndmask_b32_e64 v87, v87, v86, s13
	v_cmp_eq_u32_e64 s17, 6, v79
	v_cmp_eq_u32_e64 s18, 2, v77
	v_cndmask_b32_e64 v89, v89, v85, s12
	v_cndmask_b32_e64 v101, v81, v97, s16
	;; [unrolled: 1-line block ×6, first 2 shown]
	v_cmp_eq_u32_e64 s19, 7, v79
	v_cmp_eq_u32_e64 s20, 3, v77
	;; [unrolled: 1-line block ×4, first 2 shown]
	v_cndmask_b32_e64 v87, v87, v84, s18
	v_cndmask_b32_e64 v103, v88, v97, s19
	;; [unrolled: 1-line block ×4, first 2 shown]
	v_or_b32_e32 v81, 3, v78
	v_cndmask_b32_e64 v93, v87, v98, s20
	v_cmp_eq_u32_e64 s25, 6, v77
	v_cndmask_b32_e64 v104, v88, v86, s17
	v_cndmask_b32_e64 v92, v89, v71, s21
	v_cmp_eq_u32_e64 s22, 1, v81
	ds_load_b128 v[87:90], v82 offset:1024
	v_cmp_eq_u32_e64 s24, 2, v81
	v_cmp_eq_u32_e64 s26, 3, v81
	v_cndmask_b32_e64 v105, v92, v96, s23
	v_cndmask_b32_e64 v66, v69, v66, s22
	;; [unrolled: 1-line block ×4, first 2 shown]
	ds_load_b128 v[91:94], v82 offset:1040
	v_cmp_eq_u32_e64 s27, 4, v81
	v_cndmask_b32_e64 v66, v66, v70, s24
	v_cmp_eq_u32_e64 s28, 7, v77
	v_cndmask_b32_e64 v70, v83, v84, s24
	v_cndmask_b32_e64 v84, v105, v72, s25
	v_cmp_eq_u32_e64 s29, 5, v81
	v_cndmask_b32_e64 v66, v66, v95, s26
	v_cmp_eq_u32_e64 s30, 6, v81
	v_cndmask_b32_e64 v70, v70, v98, s26
	v_cndmask_b32_e64 v69, v69, v99, s23
	;; [unrolled: 1-line block ×4, first 2 shown]
	s_waitcnt lgkmcnt(1)
	v_lshrrev_b32_e32 v95, 16, v87
	v_cndmask_b32_e64 v70, v70, v85, s27
	v_cndmask_b32_e64 v71, v84, v97, s28
	;; [unrolled: 1-line block ×4, first 2 shown]
	v_cndmask_b32_e32 v84, v87, v95, vcc_lo
	v_cndmask_b32_e64 v70, v70, v99, s29
	s_waitcnt lgkmcnt(0)
	v_lshrrev_b32_e32 v85, 16, v91
	v_lshrrev_b32_e32 v96, 16, v88
	v_cndmask_b32_e64 v98, v87, v95, s4
	v_cndmask_b32_e64 v84, v84, v88, s5
	;; [unrolled: 1-line block ×3, first 2 shown]
	v_cndmask_b32_e32 v99, v91, v85, vcc_lo
	v_cmp_eq_u32_e32 vcc_lo, 7, v81
	v_cndmask_b32_e64 v66, v66, v72, s30
	v_cndmask_b32_e64 v72, v84, v96, s8
	v_cndmask_b32_e64 v84, v98, v88, s7
	v_lshrrev_b32_e32 v98, 16, v92
	v_cndmask_b32_e32 v70, v70, v100, vcc_lo
	v_cndmask_b32_e64 v86, v99, v92, s5
	v_cndmask_b32_e64 v69, v69, v100, s28
	v_lshrrev_b32_e32 v100, 16, v93
	v_cndmask_b32_e64 v72, v72, v89, s10
	v_lshrrev_b32_e32 v99, 16, v89
	v_cndmask_b32_e64 v86, v86, v98, s8
	v_perm_b32 v71, v69, v71, 0x5040100
	v_cndmask_b32_e64 v84, v84, v96, s9
	s_delay_alu instid0(VALU_DEP_3) | instskip(NEXT) | instid1(VALU_DEP_2)
	v_cndmask_b32_e64 v86, v86, v93, s10
	v_cndmask_b32_e64 v84, v84, v89, s12
	s_delay_alu instid0(VALU_DEP_2) | instskip(NEXT) | instid1(VALU_DEP_1)
	v_cndmask_b32_e64 v86, v86, v100, s11
	v_cndmask_b32_e64 v69, v86, v94, s13
	;; [unrolled: 1-line block ×5, first 2 shown]
	s_delay_alu instid0(VALU_DEP_3) | instskip(NEXT) | instid1(VALU_DEP_3)
	v_cndmask_b32_e64 v86, v86, v88, s18
	v_cndmask_b32_e64 v87, v87, v88, s24
	s_delay_alu instid0(VALU_DEP_3) | instskip(NEXT) | instid1(VALU_DEP_3)
	v_cndmask_b32_e64 v88, v95, v92, s24
	v_cndmask_b32_e64 v86, v86, v96, s20
	;; [unrolled: 3-line block ×7, first 2 shown]
	s_delay_alu instid0(VALU_DEP_3) | instskip(SKIP_2) | instid1(VALU_DEP_2)
	v_cndmask_b32_e64 v88, v88, v94, s30
	v_cndmask_b32_e32 v66, v66, v97, vcc_lo
	v_cndmask_b32_e64 v97, v72, v99, s11
	v_perm_b32 v72, v70, v66, 0x5040100
	v_perm_b32 v70, v83, v103, 0x5040100
	v_cndmask_b32_e64 v103, v91, v85, s6
	v_cndmask_b32_e64 v85, v91, v85, s4
	;; [unrolled: 1-line block ×4, first 2 shown]
	v_lshrrev_b32_e32 v97, 16, v90
	v_cndmask_b32_e64 v91, v103, v92, s18
	v_cndmask_b32_e64 v85, v85, v92, s7
	;; [unrolled: 1-line block ×3, first 2 shown]
	s_mov_b32 s4, exec_lo
	v_cndmask_b32_e64 v83, v84, v97, s16
	v_cndmask_b32_e64 v91, v91, v98, s20
	;; [unrolled: 1-line block ×3, first 2 shown]
	v_lshrrev_b32_e32 v84, 16, v94
	v_cndmask_b32_e64 v66, v66, v97, s19
	v_cndmask_b32_e64 v90, v86, v97, s28
	;; [unrolled: 1-line block ×4, first 2 shown]
	v_dual_cndmask_b32 v86, v87, v97 :: v_dual_cndmask_b32 v87, v88, v84
	v_cndmask_b32_e64 v91, v69, v84, s16
	s_delay_alu instid0(VALU_DEP_4) | instskip(NEXT) | instid1(VALU_DEP_4)
	v_cndmask_b32_e64 v89, v89, v100, s23
	v_cndmask_b32_e64 v85, v85, v100, s15
	v_perm_b32 v69, v102, v101, 0x5040100
	v_perm_b32 v86, v87, v86, 0x5040100
	;; [unrolled: 1-line block ×3, first 2 shown]
	v_cndmask_b32_e64 v89, v89, v94, s25
	v_cndmask_b32_e64 v85, v85, v94, s17
	s_mul_i32 s9, s37, 5
	s_delay_alu instid0(VALU_DEP_2) | instskip(NEXT) | instid1(VALU_DEP_2)
	v_cndmask_b32_e64 v88, v89, v84, s28
	v_cndmask_b32_e64 v89, v85, v84, s19
	s_delay_alu instid0(VALU_DEP_2) | instskip(NEXT) | instid1(VALU_DEP_2)
	v_perm_b32 v85, v88, v90, 0x5040100
	v_perm_b32 v84, v89, v66, 0x5040100
	ds_store_b128 v76, v[69:72]
	ds_store_b128 v76, v[83:86] offset:1024
	v_cmpx_gt_u32_e32 5, v0
	s_cbranch_execz .LBB1470_78
; %bb.77:
	s_mul_i32 s5, s9, s34
	s_load_b128 s[16:19], s[0:1], 0x58
	v_add3_u32 v69, s5, s31, v65
	s_delay_alu instid0(VALU_DEP_1) | instskip(NEXT) | instid1(VALU_DEP_1)
	v_mad_u64_u32 v[65:66], null, v69, s36, s[14:15]
	v_ashrrev_i32_e32 v66, 31, v65
	s_delay_alu instid0(VALU_DEP_1) | instskip(SKIP_1) | instid1(VALU_DEP_1)
	v_lshlrev_b64 v[65:66], 2, v[65:66]
	s_waitcnt lgkmcnt(0)
	v_add_co_u32 v69, vcc_lo, s18, v65
	s_delay_alu instid0(VALU_DEP_2)
	v_add_co_ci_u32_e32 v70, vcc_lo, s19, v66, vcc_lo
	v_add_co_u32 v65, vcc_lo, s16, v65
	v_add_co_ci_u32_e32 v66, vcc_lo, s17, v66, vcc_lo
	global_store_b32 v[69:70], v67, off
	global_store_b32 v[65:66], v68, off
.LBB1470_78:
	s_or_b32 exec_lo, exec_lo, s4
	s_waitcnt lgkmcnt(0)
	s_waitcnt_vscnt null, 0x0
	s_barrier
	buffer_gl0_inv
	ds_load_b128 v[83:86], v80
	ds_load_b128 v[87:90], v80 offset:16
	ds_load_b128 v[95:98], v80 offset:2064
	;; [unrolled: 1-line block ×3, first 2 shown]
	v_mov_b32_e32 v65, 0
	ds_load_b128 v[103:106], v80 offset:4112
	ds_load_b128 v[99:102], v80 offset:4096
	;; [unrolled: 1-line block ×4, first 2 shown]
	v_mov_b32_e32 v66, v65
	v_mov_b32_e32 v67, v65
	;; [unrolled: 1-line block ×7, first 2 shown]
	s_waitcnt lgkmcnt(6)
	s_delay_alu instid0(VALU_DEP_1)
	v_wmma_f32_16x16x16_bf16 v[65:72], v[57:64], v[83:90], v[65:72]
	ds_load_b128 v[61:64], v80 offset:8208
	ds_load_b128 v[57:60], v80 offset:8192
	s_waitcnt lgkmcnt(6)
	v_wmma_f32_16x16x16_bf16 v[65:72], v[41:48], v[91:98], v[65:72]
	ds_load_b128 v[45:48], v80 offset:10256
	ds_load_b128 v[41:44], v80 offset:10240
	s_waitcnt lgkmcnt(6)
	;; [unrolled: 4-line block ×4, first 2 shown]
	v_wmma_f32_16x16x16_bf16 v[65:72], v[1:8], v[57:64], v[65:72]
	s_waitcnt lgkmcnt(4)
	s_delay_alu instid0(VALU_DEP_1) | instskip(SKIP_1) | instid1(VALU_DEP_1)
	v_wmma_f32_16x16x16_bf16 v[65:72], v[9:16], v[41:48], v[65:72]
	s_waitcnt lgkmcnt(2)
	v_wmma_f32_16x16x16_bf16 v[65:72], v[17:24], v[33:40], v[65:72]
	s_waitcnt lgkmcnt(0)
	s_delay_alu instid0(VALU_DEP_1) | instskip(NEXT) | instid1(VALU_DEP_1)
	v_wmma_f32_16x16x16_bf16 v[65:72], v[49:56], v[25:32], v[65:72]
	v_and_b32_e32 v1, 0x7f800000, v65
	s_delay_alu instid0(VALU_DEP_1) | instskip(SKIP_1) | instid1(SALU_CYCLE_1)
	v_cmp_ne_u32_e32 vcc_lo, 0x7f800000, v1
                                        ; implicit-def: $vgpr1
	s_and_saveexec_b32 s4, vcc_lo
	s_xor_b32 s4, exec_lo, s4
; %bb.79:
	v_bfe_u32 v1, v65, 16, 1
	s_delay_alu instid0(VALU_DEP_1)
	v_add3_u32 v1, v65, v1, 0x7fff
; %bb.80:
	s_and_not1_saveexec_b32 s4, s4
; %bb.81:
	v_and_b32_e32 v1, 0xffff, v65
	v_or_b32_e32 v2, 0x10000, v65
	s_delay_alu instid0(VALU_DEP_2) | instskip(NEXT) | instid1(VALU_DEP_2)
	v_cmp_eq_u32_e32 vcc_lo, 0, v1
	v_cndmask_b32_e32 v1, v2, v65, vcc_lo
; %bb.82:
	s_or_b32 exec_lo, exec_lo, s4
	v_and_b32_e32 v2, 0x7f800000, v66
	s_delay_alu instid0(VALU_DEP_1) | instskip(SKIP_1) | instid1(SALU_CYCLE_1)
	v_cmp_ne_u32_e32 vcc_lo, 0x7f800000, v2
                                        ; implicit-def: $vgpr2
	s_and_saveexec_b32 s4, vcc_lo
	s_xor_b32 s4, exec_lo, s4
; %bb.83:
	v_bfe_u32 v2, v66, 16, 1
	s_delay_alu instid0(VALU_DEP_1)
	v_add3_u32 v2, v66, v2, 0x7fff
; %bb.84:
	s_and_not1_saveexec_b32 s4, s4
; %bb.85:
	v_and_b32_e32 v2, 0xffff, v66
	v_or_b32_e32 v3, 0x10000, v66
	s_delay_alu instid0(VALU_DEP_2) | instskip(NEXT) | instid1(VALU_DEP_2)
	v_cmp_eq_u32_e32 vcc_lo, 0, v2
	v_cndmask_b32_e32 v2, v3, v66, vcc_lo
; %bb.86:
	s_or_b32 exec_lo, exec_lo, s4
	v_and_b32_e32 v3, 0x7f800000, v67
	s_delay_alu instid0(VALU_DEP_1) | instskip(SKIP_1) | instid1(SALU_CYCLE_1)
	v_cmp_ne_u32_e32 vcc_lo, 0x7f800000, v3
                                        ; implicit-def: $vgpr3
	s_and_saveexec_b32 s4, vcc_lo
	s_xor_b32 s4, exec_lo, s4
; %bb.87:
	v_bfe_u32 v3, v67, 16, 1
	s_delay_alu instid0(VALU_DEP_1)
	v_add3_u32 v3, v67, v3, 0x7fff
; %bb.88:
	s_and_not1_saveexec_b32 s4, s4
; %bb.89:
	v_and_b32_e32 v3, 0xffff, v67
	v_or_b32_e32 v4, 0x10000, v67
	s_delay_alu instid0(VALU_DEP_2) | instskip(NEXT) | instid1(VALU_DEP_2)
	v_cmp_eq_u32_e32 vcc_lo, 0, v3
	v_cndmask_b32_e32 v3, v4, v67, vcc_lo
; %bb.90:
	s_or_b32 exec_lo, exec_lo, s4
	v_and_b32_e32 v4, 0x7f800000, v68
	s_delay_alu instid0(VALU_DEP_1) | instskip(SKIP_1) | instid1(SALU_CYCLE_1)
	v_cmp_ne_u32_e32 vcc_lo, 0x7f800000, v4
                                        ; implicit-def: $vgpr4
	s_and_saveexec_b32 s4, vcc_lo
	s_xor_b32 s4, exec_lo, s4
; %bb.91:
	v_bfe_u32 v4, v68, 16, 1
	s_delay_alu instid0(VALU_DEP_1)
	v_add3_u32 v4, v68, v4, 0x7fff
; %bb.92:
	s_and_not1_saveexec_b32 s4, s4
; %bb.93:
	v_and_b32_e32 v4, 0xffff, v68
	v_or_b32_e32 v5, 0x10000, v68
	s_delay_alu instid0(VALU_DEP_2) | instskip(NEXT) | instid1(VALU_DEP_2)
	v_cmp_eq_u32_e32 vcc_lo, 0, v4
	v_cndmask_b32_e32 v4, v5, v68, vcc_lo
; %bb.94:
	s_or_b32 exec_lo, exec_lo, s4
	v_and_b32_e32 v5, 0x7f800000, v69
	s_delay_alu instid0(VALU_DEP_1) | instskip(SKIP_1) | instid1(SALU_CYCLE_1)
	v_cmp_ne_u32_e32 vcc_lo, 0x7f800000, v5
                                        ; implicit-def: $vgpr5
	s_and_saveexec_b32 s4, vcc_lo
	s_xor_b32 s4, exec_lo, s4
; %bb.95:
	v_bfe_u32 v5, v69, 16, 1
	s_delay_alu instid0(VALU_DEP_1)
	v_add3_u32 v5, v69, v5, 0x7fff
; %bb.96:
	s_and_not1_saveexec_b32 s4, s4
; %bb.97:
	v_and_b32_e32 v5, 0xffff, v69
	v_or_b32_e32 v6, 0x10000, v69
	s_delay_alu instid0(VALU_DEP_2) | instskip(NEXT) | instid1(VALU_DEP_2)
	v_cmp_eq_u32_e32 vcc_lo, 0, v5
	v_cndmask_b32_e32 v5, v6, v69, vcc_lo
; %bb.98:
	s_or_b32 exec_lo, exec_lo, s4
	v_and_b32_e32 v6, 0x7f800000, v70
	s_delay_alu instid0(VALU_DEP_1) | instskip(SKIP_1) | instid1(SALU_CYCLE_1)
	v_cmp_ne_u32_e32 vcc_lo, 0x7f800000, v6
                                        ; implicit-def: $vgpr6
	s_and_saveexec_b32 s4, vcc_lo
	s_xor_b32 s4, exec_lo, s4
; %bb.99:
	v_bfe_u32 v6, v70, 16, 1
	s_delay_alu instid0(VALU_DEP_1)
	v_add3_u32 v6, v70, v6, 0x7fff
; %bb.100:
	s_and_not1_saveexec_b32 s4, s4
; %bb.101:
	v_and_b32_e32 v6, 0xffff, v70
	v_or_b32_e32 v7, 0x10000, v70
	s_delay_alu instid0(VALU_DEP_2) | instskip(NEXT) | instid1(VALU_DEP_2)
	v_cmp_eq_u32_e32 vcc_lo, 0, v6
	v_cndmask_b32_e32 v6, v7, v70, vcc_lo
; %bb.102:
	s_or_b32 exec_lo, exec_lo, s4
	v_and_b32_e32 v7, 0x7f800000, v71
	s_delay_alu instid0(VALU_DEP_1) | instskip(SKIP_1) | instid1(SALU_CYCLE_1)
	v_cmp_ne_u32_e32 vcc_lo, 0x7f800000, v7
                                        ; implicit-def: $vgpr7
	s_and_saveexec_b32 s4, vcc_lo
	s_xor_b32 s4, exec_lo, s4
; %bb.103:
	v_bfe_u32 v7, v71, 16, 1
	s_delay_alu instid0(VALU_DEP_1)
	v_add3_u32 v7, v71, v7, 0x7fff
; %bb.104:
	s_and_not1_saveexec_b32 s4, s4
; %bb.105:
	v_and_b32_e32 v7, 0xffff, v71
	v_or_b32_e32 v8, 0x10000, v71
	s_delay_alu instid0(VALU_DEP_2) | instskip(NEXT) | instid1(VALU_DEP_2)
	v_cmp_eq_u32_e32 vcc_lo, 0, v7
	v_cndmask_b32_e32 v7, v8, v71, vcc_lo
; %bb.106:
	s_or_b32 exec_lo, exec_lo, s4
	v_and_b32_e32 v8, 0x7f800000, v72
	s_delay_alu instid0(VALU_DEP_1) | instskip(SKIP_1) | instid1(SALU_CYCLE_1)
	v_cmp_ne_u32_e32 vcc_lo, 0x7f800000, v8
                                        ; implicit-def: $vgpr8
	s_and_saveexec_b32 s4, vcc_lo
	s_xor_b32 s4, exec_lo, s4
; %bb.107:
	v_bfe_u32 v8, v72, 16, 1
	s_delay_alu instid0(VALU_DEP_1)
	v_add3_u32 v8, v72, v8, 0x7fff
                                        ; implicit-def: $vgpr65_vgpr66_vgpr67_vgpr68_vgpr69_vgpr70_vgpr71_vgpr72
; %bb.108:
	s_and_not1_saveexec_b32 s4, s4
; %bb.109:
	v_and_b32_e32 v8, 0xffff, v72
	v_or_b32_e32 v9, 0x10000, v72
	s_delay_alu instid0(VALU_DEP_2) | instskip(NEXT) | instid1(VALU_DEP_2)
	v_cmp_eq_u32_e32 vcc_lo, 0, v8
	v_cndmask_b32_e32 v8, v9, v72, vcc_lo
; %bb.110:
	s_or_b32 exec_lo, exec_lo, s4
	s_delay_alu instid0(VALU_DEP_1)
	v_perm_b32 v7, v8, v7, 0x7060302
	v_perm_b32 v6, v6, v5, 0x7060302
	;; [unrolled: 1-line block ×4, first 2 shown]
	s_barrier
	buffer_gl0_inv
	v_cmp_eq_u32_e32 vcc_lo, 1, v78
	ds_store_b128 v76, v[4:7]
	s_waitcnt lgkmcnt(0)
	s_barrier
	buffer_gl0_inv
	ds_load_b128 v[1:4], v82
	ds_load_b128 v[5:8], v82 offset:16
	v_cmp_eq_u32_e64 s4, 1, v79
	v_cmp_eq_u32_e64 s5, 2, v78
	;; [unrolled: 1-line block ×5, first 2 shown]
	s_waitcnt lgkmcnt(1)
	v_lshrrev_b32_e32 v9, 16, v1
	s_waitcnt lgkmcnt(0)
	v_lshrrev_b32_e32 v13, 16, v5
	v_lshrrev_b32_e32 v10, 16, v2
	;; [unrolled: 1-line block ×4, first 2 shown]
	v_cndmask_b32_e64 v19, v1, v9, s4
	v_cndmask_b32_e32 v18, v5, v13, vcc_lo
	v_cndmask_b32_e64 v20, v5, v13, s4
	v_cndmask_b32_e32 v17, v1, v9, vcc_lo
	v_cmp_eq_u32_e32 vcc_lo, 2, v79
	v_lshrrev_b32_e32 v15, 16, v7
	v_cmp_eq_u32_e64 s4, 1, v77
	v_lshrrev_b32_e32 v12, 16, v4
	v_lshrrev_b32_e32 v16, 16, v8
	v_cndmask_b32_e32 v20, v20, v6, vcc_lo
	v_cndmask_b32_e64 v17, v17, v2, s5
	v_cndmask_b32_e32 v19, v19, v2, vcc_lo
	v_cndmask_b32_e64 v18, v18, v6, s5
	v_cmp_eq_u32_e32 vcc_lo, 4, v78
	v_cmp_eq_u32_e64 s5, 3, v79
	v_cndmask_b32_e64 v17, v17, v10, s6
	v_cndmask_b32_e64 v21, v1, v9, s4
	;; [unrolled: 1-line block ×5, first 2 shown]
	v_cndmask_b32_e32 v17, v17, v3, vcc_lo
	v_cndmask_b32_e64 v20, v20, v14, s5
	v_cndmask_b32_e32 v18, v18, v7, vcc_lo
	v_cmp_eq_u32_e32 vcc_lo, 4, v79
	v_cmp_eq_u32_e64 s5, 5, v79
	v_cmp_eq_u32_e64 s4, 2, v81
	v_cndmask_b32_e64 v21, v21, v2, s8
	v_cmp_eq_u32_e64 s6, 5, v78
	v_cndmask_b32_e32 v19, v19, v3, vcc_lo
	v_cndmask_b32_e32 v20, v20, v7, vcc_lo
	v_cmp_eq_u32_e32 vcc_lo, 6, v79
	s_delay_alu instid0(VALU_DEP_4) | instskip(NEXT) | instid1(VALU_DEP_4)
	v_cndmask_b32_e64 v17, v17, v11, s6
	v_cndmask_b32_e64 v19, v19, v11, s5
	s_delay_alu instid0(VALU_DEP_4) | instskip(SKIP_1) | instid1(VALU_DEP_3)
	v_cndmask_b32_e64 v20, v20, v15, s5
	v_cmp_eq_u32_e64 s5, 1, v81
	v_cndmask_b32_e32 v19, v19, v4, vcc_lo
	v_cndmask_b32_e64 v18, v18, v15, s6
	s_delay_alu instid0(VALU_DEP_3)
	v_cndmask_b32_e64 v1, v1, v9, s5
	v_cndmask_b32_e64 v5, v5, v13, s5
	v_cmp_eq_u32_e64 s5, 3, v77
	v_cndmask_b32_e64 v13, v22, v6, s8
	v_cmp_eq_u32_e64 s8, 3, v81
	v_cndmask_b32_e64 v1, v1, v2, s4
	v_cndmask_b32_e64 v2, v5, v6, s4
	;; [unrolled: 1-line block ×3, first 2 shown]
	v_cmp_eq_u32_e64 s4, 4, v77
	v_cndmask_b32_e64 v6, v13, v14, s5
	v_cndmask_b32_e64 v1, v1, v10, s8
	v_cmp_eq_u32_e64 s5, 4, v81
	v_cndmask_b32_e64 v2, v2, v14, s8
	v_cndmask_b32_e64 v5, v9, v3, s4
	;; [unrolled: 3-line block ×3, first 2 shown]
	v_cndmask_b32_e64 v2, v2, v7, s5
	v_cmp_eq_u32_e64 s4, 5, v81
	v_cmp_eq_u32_e64 s6, 6, v78
	v_cndmask_b32_e64 v5, v5, v11, s8
	v_cmp_eq_u32_e64 s5, 6, v77
	v_cndmask_b32_e64 v3, v6, v15, s8
	v_cndmask_b32_e64 v1, v1, v11, s4
	v_cmp_eq_u32_e64 s8, 6, v81
	v_cndmask_b32_e64 v2, v2, v15, s4
	v_cndmask_b32_e64 v17, v17, v4, s6
	v_cndmask_b32_e64 v18, v18, v8, s6
	v_cmp_eq_u32_e64 s6, 7, v78
	v_cndmask_b32_e64 v5, v5, v4, s5
	;; [unrolled: 4-line block ×3, first 2 shown]
	v_cmp_eq_u32_e64 s5, 7, v77
	v_cndmask_b32_e32 v4, v20, v8, vcc_lo
	v_cndmask_b32_e64 v17, v17, v12, s6
	v_cndmask_b32_e64 v19, v19, v12, s7
	;; [unrolled: 1-line block ×8, first 2 shown]
	v_cmp_gt_u32_e32 vcc_lo, 32, v0
	v_perm_b32 v4, v2, v1, 0x5040100
	v_perm_b32 v3, v3, v5, 0x5040100
	;; [unrolled: 1-line block ×4, first 2 shown]
	s_and_b32 s2, vcc_lo, s2
	ds_store_b128 v76, v[1:4]
	s_waitcnt lgkmcnt(0)
	s_barrier
	buffer_gl0_inv
	s_and_saveexec_b32 s4, s2
	s_cbranch_execz .LBB1470_2
; %bb.111:
	s_load_b64 s[4:5], s[0:1], 0x68
	v_lshlrev_b32_e32 v0, 10, v0
	v_add_nc_u32_e32 v2, s31, v74
	v_lshlrev_b32_e32 v3, 4, v75
	s_lshl_b32 s0, s36, 6
	s_delay_alu instid0(SALU_CYCLE_1) | instskip(NEXT) | instid1(VALU_DEP_2)
	s_mul_i32 s1, s0, s34
	v_mul_lo_u32 v1, v2, s0
	s_delay_alu instid0(VALU_DEP_2) | instskip(SKIP_2) | instid1(SALU_CYCLE_1)
	v_and_or_b32 v0, 0x3800, v0, v3
	v_add_nc_u32_e32 v2, 2, v2
	s_mul_i32 s6, s1, s9
	s_ashr_i32 s7, s6, 31
	s_delay_alu instid0(VALU_DEP_2)
	v_lshl_or_b32 v7, v74, 6, v0
	s_lshl_b64 s[6:7], s[6:7], 1
	v_mul_lo_u32 v11, v2, s0
	v_ashrrev_i32_e32 v2, 31, v1
	ds_load_b128 v[3:6], v7
	ds_load_b128 v[7:10], v7 offset:128
	s_waitcnt lgkmcnt(0)
	s_add_u32 s1, s4, s6
	s_addc_u32 s2, s5, s7
	s_lshl_b32 s4, s14, 6
	v_ashrrev_i32_e32 v12, 31, v11
	s_ashr_i32 s5, s4, 31
	v_lshlrev_b64 v[13:14], 1, v[1:2]
	s_lshl_b64 s[4:5], s[4:5], 1
	s_delay_alu instid0(SALU_CYCLE_1) | instskip(SKIP_2) | instid1(VALU_DEP_1)
	s_add_u32 s1, s1, s4
	s_addc_u32 s2, s2, s5
	v_add_co_u32 v1, s1, s1, v73
	v_add_co_ci_u32_e64 v2, null, s2, 0, s1
	v_lshlrev_b64 v[11:12], 1, v[11:12]
	s_delay_alu instid0(VALU_DEP_3) | instskip(NEXT) | instid1(VALU_DEP_3)
	v_add_co_u32 v13, vcc_lo, v1, v13
	v_add_co_ci_u32_e32 v14, vcc_lo, v2, v14, vcc_lo
	s_delay_alu instid0(VALU_DEP_3) | instskip(NEXT) | instid1(VALU_DEP_4)
	v_add_co_u32 v11, vcc_lo, v1, v11
	v_add_co_ci_u32_e32 v12, vcc_lo, v2, v12, vcc_lo
	s_clause 0x1
	global_store_b128 v[13:14], v[3:6], off
	global_store_b128 v[11:12], v[7:10], off
	s_and_b32 exec_lo, exec_lo, s3
	s_cbranch_execz .LBB1470_2
; %bb.112:
	ds_load_b128 v[3:6], v0 offset:256
	s_add_i32 s1, s31, 4
	s_delay_alu instid0(SALU_CYCLE_1) | instskip(NEXT) | instid1(SALU_CYCLE_1)
	s_mul_i32 s0, s1, s0
	s_ashr_i32 s1, s0, 31
	s_delay_alu instid0(SALU_CYCLE_1) | instskip(NEXT) | instid1(SALU_CYCLE_1)
	s_lshl_b64 s[0:1], s[0:1], 1
	v_add_co_u32 v0, vcc_lo, v1, s0
	v_add_co_ci_u32_e32 v1, vcc_lo, s1, v2, vcc_lo
	s_waitcnt lgkmcnt(0)
	global_store_b128 v[0:1], v[3:6], off
	s_nop 0
	s_sendmsg sendmsg(MSG_DEALLOC_VGPRS)
	s_endpgm
	.section	.rodata,"a",@progbits
	.p2align	6, 0x0
	.amdhsa_kernel _Z39paged_attention_ll4mi_QKV_mfma16_kernelI14__hip_bfloat16hLN4vllm18Fp8KVCacheDataTypeE1ES0_Li32ELi64ELi256ELb1ELi5EL8MFMAType1EEvPKT_PKT0_S9_ifPKiSB_SB_iPKfiiiPfSE_PS4_PT2_iSD_SD_
		.amdhsa_group_segment_fixed_size 17472
		.amdhsa_private_segment_fixed_size 0
		.amdhsa_kernarg_size 400
		.amdhsa_user_sgpr_count 13
		.amdhsa_user_sgpr_dispatch_ptr 0
		.amdhsa_user_sgpr_queue_ptr 0
		.amdhsa_user_sgpr_kernarg_segment_ptr 1
		.amdhsa_user_sgpr_dispatch_id 0
		.amdhsa_user_sgpr_private_segment_size 0
		.amdhsa_wavefront_size32 1
		.amdhsa_uses_dynamic_stack 0
		.amdhsa_enable_private_segment 0
		.amdhsa_system_sgpr_workgroup_id_x 1
		.amdhsa_system_sgpr_workgroup_id_y 1
		.amdhsa_system_sgpr_workgroup_id_z 1
		.amdhsa_system_sgpr_workgroup_info 0
		.amdhsa_system_vgpr_workitem_id 0
		.amdhsa_next_free_vgpr 124
		.amdhsa_next_free_sgpr 42
		.amdhsa_reserve_vcc 1
		.amdhsa_float_round_mode_32 0
		.amdhsa_float_round_mode_16_64 0
		.amdhsa_float_denorm_mode_32 3
		.amdhsa_float_denorm_mode_16_64 3
		.amdhsa_dx10_clamp 1
		.amdhsa_ieee_mode 1
		.amdhsa_fp16_overflow 0
		.amdhsa_workgroup_processor_mode 1
		.amdhsa_memory_ordered 1
		.amdhsa_forward_progress 0
		.amdhsa_shared_vgpr_count 0
		.amdhsa_exception_fp_ieee_invalid_op 0
		.amdhsa_exception_fp_denorm_src 0
		.amdhsa_exception_fp_ieee_div_zero 0
		.amdhsa_exception_fp_ieee_overflow 0
		.amdhsa_exception_fp_ieee_underflow 0
		.amdhsa_exception_fp_ieee_inexact 0
		.amdhsa_exception_int_div_zero 0
	.end_amdhsa_kernel
	.section	.text._Z39paged_attention_ll4mi_QKV_mfma16_kernelI14__hip_bfloat16hLN4vllm18Fp8KVCacheDataTypeE1ES0_Li32ELi64ELi256ELb1ELi5EL8MFMAType1EEvPKT_PKT0_S9_ifPKiSB_SB_iPKfiiiPfSE_PS4_PT2_iSD_SD_,"axG",@progbits,_Z39paged_attention_ll4mi_QKV_mfma16_kernelI14__hip_bfloat16hLN4vllm18Fp8KVCacheDataTypeE1ES0_Li32ELi64ELi256ELb1ELi5EL8MFMAType1EEvPKT_PKT0_S9_ifPKiSB_SB_iPKfiiiPfSE_PS4_PT2_iSD_SD_,comdat
.Lfunc_end1470:
	.size	_Z39paged_attention_ll4mi_QKV_mfma16_kernelI14__hip_bfloat16hLN4vllm18Fp8KVCacheDataTypeE1ES0_Li32ELi64ELi256ELb1ELi5EL8MFMAType1EEvPKT_PKT0_S9_ifPKiSB_SB_iPKfiiiPfSE_PS4_PT2_iSD_SD_, .Lfunc_end1470-_Z39paged_attention_ll4mi_QKV_mfma16_kernelI14__hip_bfloat16hLN4vllm18Fp8KVCacheDataTypeE1ES0_Li32ELi64ELi256ELb1ELi5EL8MFMAType1EEvPKT_PKT0_S9_ifPKiSB_SB_iPKfiiiPfSE_PS4_PT2_iSD_SD_
                                        ; -- End function
	.section	.AMDGPU.csdata,"",@progbits
; Kernel info:
; codeLenInByte = 8780
; NumSgprs: 44
; NumVgprs: 124
; ScratchSize: 0
; MemoryBound: 0
; FloatMode: 240
; IeeeMode: 1
; LDSByteSize: 17472 bytes/workgroup (compile time only)
; SGPRBlocks: 5
; VGPRBlocks: 15
; NumSGPRsForWavesPerEU: 44
; NumVGPRsForWavesPerEU: 124
; Occupancy: 10
; WaveLimiterHint : 1
; COMPUTE_PGM_RSRC2:SCRATCH_EN: 0
; COMPUTE_PGM_RSRC2:USER_SGPR: 13
; COMPUTE_PGM_RSRC2:TRAP_HANDLER: 0
; COMPUTE_PGM_RSRC2:TGID_X_EN: 1
; COMPUTE_PGM_RSRC2:TGID_Y_EN: 1
; COMPUTE_PGM_RSRC2:TGID_Z_EN: 1
; COMPUTE_PGM_RSRC2:TIDIG_COMP_CNT: 0
	.section	.text._Z39paged_attention_ll4mi_QKV_mfma16_kernelI14__hip_bfloat16hLN4vllm18Fp8KVCacheDataTypeE1ES0_Li32ELi64ELi256ELb1ELi6EL8MFMAType1EEvPKT_PKT0_S9_ifPKiSB_SB_iPKfiiiPfSE_PS4_PT2_iSD_SD_,"axG",@progbits,_Z39paged_attention_ll4mi_QKV_mfma16_kernelI14__hip_bfloat16hLN4vllm18Fp8KVCacheDataTypeE1ES0_Li32ELi64ELi256ELb1ELi6EL8MFMAType1EEvPKT_PKT0_S9_ifPKiSB_SB_iPKfiiiPfSE_PS4_PT2_iSD_SD_,comdat
	.protected	_Z39paged_attention_ll4mi_QKV_mfma16_kernelI14__hip_bfloat16hLN4vllm18Fp8KVCacheDataTypeE1ES0_Li32ELi64ELi256ELb1ELi6EL8MFMAType1EEvPKT_PKT0_S9_ifPKiSB_SB_iPKfiiiPfSE_PS4_PT2_iSD_SD_ ; -- Begin function _Z39paged_attention_ll4mi_QKV_mfma16_kernelI14__hip_bfloat16hLN4vllm18Fp8KVCacheDataTypeE1ES0_Li32ELi64ELi256ELb1ELi6EL8MFMAType1EEvPKT_PKT0_S9_ifPKiSB_SB_iPKfiiiPfSE_PS4_PT2_iSD_SD_
	.globl	_Z39paged_attention_ll4mi_QKV_mfma16_kernelI14__hip_bfloat16hLN4vllm18Fp8KVCacheDataTypeE1ES0_Li32ELi64ELi256ELb1ELi6EL8MFMAType1EEvPKT_PKT0_S9_ifPKiSB_SB_iPKfiiiPfSE_PS4_PT2_iSD_SD_
	.p2align	8
	.type	_Z39paged_attention_ll4mi_QKV_mfma16_kernelI14__hip_bfloat16hLN4vllm18Fp8KVCacheDataTypeE1ES0_Li32ELi64ELi256ELb1ELi6EL8MFMAType1EEvPKT_PKT0_S9_ifPKiSB_SB_iPKfiiiPfSE_PS4_PT2_iSD_SD_,@function
_Z39paged_attention_ll4mi_QKV_mfma16_kernelI14__hip_bfloat16hLN4vllm18Fp8KVCacheDataTypeE1ES0_Li32ELi64ELi256ELb1ELi6EL8MFMAType1EEvPKT_PKT0_S9_ifPKiSB_SB_iPKfiiiPfSE_PS4_PT2_iSD_SD_: ; @_Z39paged_attention_ll4mi_QKV_mfma16_kernelI14__hip_bfloat16hLN4vllm18Fp8KVCacheDataTypeE1ES0_Li32ELi64ELi256ELb1ELi6EL8MFMAType1EEvPKT_PKT0_S9_ifPKiSB_SB_iPKfiiiPfSE_PS4_PT2_iSD_SD_
; %bb.0:
	s_load_b64 s[2:3], s[0:1], 0x30
	s_mov_b32 s30, s13
	s_waitcnt lgkmcnt(0)
	s_cmp_lg_u64 s[2:3], 0
	s_cselect_b32 s8, -1, 0
	s_ashr_i32 s31, s13, 31
	s_cmp_eq_u64 s[2:3], 0
	s_cbranch_scc1 .LBB1471_3
; %bb.1:
	s_lshl_b64 s[4:5], s[30:31], 2
	s_delay_alu instid0(SALU_CYCLE_1) | instskip(SKIP_4) | instid1(SALU_CYCLE_1)
	s_add_u32 s4, s2, s4
	s_addc_u32 s5, s3, s5
	s_load_b64 s[4:5], s[4:5], 0x0
	s_waitcnt lgkmcnt(0)
	s_sub_i32 s4, s5, s4
	s_cmp_eq_u32 s4, 1
	s_cselect_b32 s4, -1, 0
	s_delay_alu instid0(SALU_CYCLE_1)
	s_and_not1_b32 vcc_lo, exec_lo, s4
	s_cbranch_vccz .LBB1471_4
.LBB1471_2:
	s_endpgm
.LBB1471_3:
.LBB1471_4:
	s_load_b64 s[4:5], s[0:1], 0x28
	s_lshl_b64 s[6:7], s[30:31], 2
	s_waitcnt lgkmcnt(0)
	s_add_u32 s4, s4, s6
	s_addc_u32 s5, s5, s7
	s_lshl_b32 s12, s14, 8
	s_load_b32 s24, s[4:5], 0x0
	s_waitcnt lgkmcnt(0)
	s_cmp_ge_i32 s12, s24
	s_cbranch_scc1 .LBB1471_2
; %bb.5:
	s_clause 0x1
	s_load_b128 s[20:23], s[0:1], 0x8
	s_load_b64 s[4:5], s[0:1], 0x20
	s_and_not1_b32 vcc_lo, exec_lo, s8
	s_cbranch_vccnz .LBB1471_7
; %bb.6:
	s_add_u32 s2, s2, s6
	s_addc_u32 s3, s3, s7
	s_load_b32 s3, s[2:3], 0x0
	s_branch .LBB1471_8
.LBB1471_7:
	s_mov_b32 s3, s30
.LBB1471_8:
	s_load_b128 s[16:19], s[0:1], 0x48
	v_and_b32_e32 v65, 15, v0
	v_cmp_gt_u32_e32 vcc_lo, 0x60, v0
	v_lshrrev_b32_e32 v66, 5, v0
	v_and_b32_e32 v67, 31, v0
	v_and_b32_e32 v75, 1, v0
	v_lshlrev_b32_e32 v1, 3, v65
	v_cmp_gt_u32_e64 s2, 8, v65
	v_bfe_u32 v74, v0, 4, 1
	s_mul_i32 s31, s15, 6
	s_delay_alu instid0(VALU_DEP_3) | instskip(NEXT) | instid1(VALU_DEP_3)
	v_lshlrev_b32_e32 v73, 1, v1
	s_and_b32 s7, vcc_lo, s2
	s_delay_alu instid0(SALU_CYCLE_1)
	s_and_saveexec_b32 s6, s7
	s_cbranch_execz .LBB1471_10
; %bb.9:
	s_load_b64 s[8:9], s[0:1], 0x0
	v_lshl_or_b32 v5, v66, 1, v74
	s_waitcnt lgkmcnt(0)
	s_mul_hi_i32 s11, s3, s16
	s_mul_i32 s10, s3, s16
	v_lshlrev_b32_e32 v6, 10, v65
	s_lshl_b64 s[10:11], s[10:11], 1
	v_add_lshl_u32 v1, v5, s31, 6
	v_lshlrev_b32_e32 v5, 6, v5
	v_lshlrev_b32_e32 v7, 10, v75
	v_and_b32_e32 v6, 0x3800, v6
	s_delay_alu instid0(VALU_DEP_4) | instskip(NEXT) | instid1(VALU_DEP_2)
	v_ashrrev_i32_e32 v2, 31, v1
	v_or3_b32 v5, v6, v7, v5
	s_delay_alu instid0(VALU_DEP_2) | instskip(SKIP_2) | instid1(VALU_DEP_1)
	v_lshlrev_b64 v[1:2], 1, v[1:2]
	s_add_u32 s3, s8, s10
	s_addc_u32 s7, s9, s11
	v_add_co_u32 v1, vcc_lo, s3, v1
	s_delay_alu instid0(VALU_DEP_2) | instskip(NEXT) | instid1(VALU_DEP_2)
	v_add_co_ci_u32_e32 v2, vcc_lo, s7, v2, vcc_lo
	v_add_co_u32 v1, vcc_lo, v1, v73
	s_delay_alu instid0(VALU_DEP_2)
	v_add_co_ci_u32_e32 v2, vcc_lo, 0, v2, vcc_lo
	global_load_b128 v[1:4], v[1:2], off
	s_waitcnt vmcnt(0)
	ds_store_b128 v5, v[1:4]
.LBB1471_10:
	s_or_b32 exec_lo, exec_lo, s6
	v_and_b32_e32 v1, 0xef, v0
	s_waitcnt lgkmcnt(0)
	s_add_i32 s3, s24, 31
	s_clause 0x1
	s_load_b32 s6, s[0:1], 0x38
	s_load_b32 s19, s[0:1], 0x1c
	s_ashr_i32 s7, s3, 31
	v_add_nc_u32_e32 v1, s12, v1
	s_lshr_b32 s7, s7, 27
	s_waitcnt lgkmcnt(0)
	s_add_i32 s3, s3, s7
	s_barrier
	v_ashrrev_i32_e32 v2, 31, v1
	v_or_b32_e32 v3, 16, v1
	s_ashr_i32 s3, s3, 5
	v_cmp_gt_i32_e32 vcc_lo, s24, v1
	s_add_i32 s3, s3, -1
	v_lshrrev_b32_e32 v2, 27, v2
	buffer_gl0_inv
	s_mul_i32 s27, s15, s18
	v_add_nc_u32_e32 v4, v1, v2
	s_mul_i32 s6, s30, s6
	s_delay_alu instid0(SALU_CYCLE_1) | instskip(NEXT) | instid1(VALU_DEP_1)
	s_ashr_i32 s7, s6, 31
	v_ashrrev_i32_e32 v4, 5, v4
	v_add_nc_u32_e32 v2, v3, v2
	s_lshl_b64 s[6:7], s[6:7], 2
	s_delay_alu instid0(SALU_CYCLE_1) | instskip(NEXT) | instid1(VALU_DEP_2)
	s_add_u32 s26, s4, s6
	v_cndmask_b32_e32 v1, s3, v4, vcc_lo
	s_delay_alu instid0(VALU_DEP_2)
	v_ashrrev_i32_e32 v2, 5, v2
	v_cmp_gt_i32_e32 vcc_lo, s24, v3
	s_addc_u32 s25, s5, s7
	s_ashr_i32 s28, s27, 31
	s_add_u32 s4, s20, s27
	s_addc_u32 s5, s21, s28
	v_cndmask_b32_e32 v3, s3, v2, vcc_lo
	v_ashrrev_i32_e32 v2, 31, v1
	s_lshl_b32 s6, s14, 3
	s_delay_alu instid0(SALU_CYCLE_1) | instskip(NEXT) | instid1(VALU_DEP_2)
	s_ashr_i32 s7, s6, 31
	v_ashrrev_i32_e32 v4, 31, v3
	s_delay_alu instid0(VALU_DEP_2) | instskip(SKIP_1) | instid1(SALU_CYCLE_1)
	v_lshlrev_b64 v[1:2], 2, v[1:2]
	s_lshl_b64 s[6:7], s[6:7], 2
	s_add_u32 s6, s26, s6
	s_delay_alu instid0(VALU_DEP_2) | instskip(SKIP_1) | instid1(VALU_DEP_2)
	v_lshlrev_b64 v[3:4], 2, v[3:4]
	s_addc_u32 s7, s25, s7
	v_add_co_u32 v1, vcc_lo, s26, v1
	v_add_co_ci_u32_e32 v2, vcc_lo, s25, v2, vcc_lo
	s_delay_alu instid0(VALU_DEP_3) | instskip(NEXT) | instid1(VALU_DEP_4)
	v_add_co_u32 v3, vcc_lo, s26, v3
	v_add_co_ci_u32_e32 v4, vcc_lo, s25, v4, vcc_lo
	s_clause 0x1
	global_load_b32 v5, v[1:2], off
	global_load_b32 v6, v[3:4], off
	s_or_b32 s8, s12, 32
	s_delay_alu instid0(SALU_CYCLE_1) | instskip(SKIP_2) | instid1(SALU_CYCLE_1)
	s_ashr_i32 s9, s8, 5
	s_cmp_lt_i32 s8, s24
	s_cselect_b32 s8, s9, s3
	s_ashr_i32 s9, s8, 31
	s_delay_alu instid0(SALU_CYCLE_1) | instskip(NEXT) | instid1(SALU_CYCLE_1)
	s_lshl_b64 s[8:9], s[8:9], 2
	s_add_u32 s8, s26, s8
	s_addc_u32 s9, s25, s9
	s_or_b32 s10, s12, 64
	s_delay_alu instid0(SALU_CYCLE_1) | instskip(SKIP_2) | instid1(SALU_CYCLE_1)
	s_ashr_i32 s11, s10, 5
	s_cmp_lt_i32 s10, s24
	s_cselect_b32 s10, s11, s3
	s_ashr_i32 s11, s10, 31
	s_delay_alu instid0(SALU_CYCLE_1) | instskip(NEXT) | instid1(SALU_CYCLE_1)
	s_lshl_b64 s[10:11], s[10:11], 2
	s_add_u32 s10, s26, s10
	s_addc_u32 s11, s25, s11
	;; [unrolled: 10-line block ×5, first 2 shown]
	s_clause 0x5
	s_load_b32 s21, s[6:7], 0x0
	s_load_b32 s13, s[8:9], 0x0
	;; [unrolled: 1-line block ×6, first 2 shown]
	s_or_b32 s9, s12, 0xc0
	s_delay_alu instid0(SALU_CYCLE_1) | instskip(SKIP_2) | instid1(SALU_CYCLE_1)
	s_ashr_i32 s10, s9, 5
	s_cmp_lt_i32 s9, s24
	s_cselect_b32 s34, s10, s3
	s_ashr_i32 s35, s34, 31
	s_delay_alu instid0(SALU_CYCLE_1) | instskip(NEXT) | instid1(SALU_CYCLE_1)
	s_lshl_b64 s[34:35], s[34:35], 2
	s_add_u32 s34, s26, s34
	s_addc_u32 s35, s25, s35
	s_or_b32 s29, s12, 0xe0
	s_delay_alu instid0(SALU_CYCLE_1)
	s_ashr_i32 s33, s29, 5
	s_cmp_lt_i32 s29, s24
	s_waitcnt vmcnt(1)
	v_mad_i64_i32 v[1:2], null, v5, s17, s[4:5]
	s_waitcnt vmcnt(0)
	v_mad_i64_i32 v[3:4], null, v6, s17, s[4:5]
	s_mov_b32 s4, 0
	s_delay_alu instid0(SALU_CYCLE_1)
	s_mov_b32 s5, s4
	s_mov_b32 s6, s4
	s_mov_b32 s7, s4
	s_mov_b32 s8, s4
	s_mov_b32 s9, s4
	s_mov_b32 s10, s4
	s_mov_b32 s11, s4
	v_lshlrev_b32_e32 v5, 4, v65
	v_dual_mov_b32 v107, s11 :: v_dual_mov_b32 v102, s6
	v_mov_b32_e32 v106, s10
	v_mov_b32_e32 v104, s8
	s_delay_alu instid0(VALU_DEP_4)
	v_add_co_u32 v1, vcc_lo, v1, v5
	v_add_co_ci_u32_e32 v2, vcc_lo, 0, v2, vcc_lo
	v_add_co_u32 v3, vcc_lo, v3, v5
	v_add_co_ci_u32_e32 v4, vcc_lo, 0, v4, vcc_lo
	s_clause 0x7
	global_load_b128 v[49:52], v[1:2], off
	global_load_b128 v[53:56], v[1:2], off offset:512
	global_load_b128 v[76:79], v[3:4], off offset:256
	;; [unrolled: 1-line block ×7, first 2 shown]
	v_mul_lo_u16 v1, v65, 43
	v_mov_b32_e32 v103, s7
	v_dual_mov_b32 v101, s5 :: v_dual_lshlrev_b32 v2, 5, v65
	v_mov_b32_e32 v100, s4
	s_delay_alu instid0(VALU_DEP_4) | instskip(NEXT) | instid1(VALU_DEP_3)
	v_lshrrev_b16 v1, 8, v1
	v_lshl_or_b32 v2, v66, 9, v2
	s_delay_alu instid0(VALU_DEP_2) | instskip(NEXT) | instid1(VALU_DEP_1)
	v_mul_lo_u16 v1, v1, 6
	v_sub_nc_u16 v1, v65, v1
	s_delay_alu instid0(VALU_DEP_1)
	v_and_b32_e32 v1, 0xff, v1
	v_mov_b32_e32 v105, s9
	s_cselect_b32 s4, s33, s3
	s_load_b32 s3, s[34:35], 0x0
	s_ashr_i32 s5, s4, 31
	v_lshlrev_b32_e32 v70, 6, v1
	s_lshl_b64 s[4:5], s[4:5], 2
	ds_load_b128 v[108:111], v70
	ds_load_b128 v[112:115], v70 offset:1024
	s_add_u32 s4, s26, s4
	s_addc_u32 s5, s25, s5
	s_add_u32 s6, s22, s27
	s_load_b32 s4, s[4:5], 0x0
	s_addc_u32 s7, s23, s28
	v_add_co_u32 v9, s6, s6, v2
	s_delay_alu instid0(VALU_DEP_1) | instskip(SKIP_1) | instid1(VALU_DEP_1)
	v_add_co_ci_u32_e64 v10, null, s7, 0, s6
	s_waitcnt lgkmcnt(0)
	v_mad_i64_i32 v[1:2], null, s21, s17, v[9:10]
	v_mad_i64_i32 v[3:4], null, s13, s17, v[9:10]
	;; [unrolled: 1-line block ×7, first 2 shown]
	s_clause 0x9
	global_load_b128 v[57:60], v[1:2], off
	global_load_b128 v[61:64], v[1:2], off offset:16
	global_load_b128 v[41:44], v[3:4], off
	global_load_b128 v[45:48], v[3:4], off offset:16
	;; [unrolled: 2-line block ×5, first 2 shown]
	v_mad_i64_i32 v[68:69], null, s4, s17, v[9:10]
	s_clause 0x3
	global_load_b128 v[9:12], v[13:14], off
	global_load_b128 v[13:16], v[13:14], off offset:16
	global_load_b128 v[17:20], v[21:22], off
	global_load_b128 v[21:24], v[21:22], off offset:16
	s_waitcnt vmcnt(20)
	v_wmma_f32_16x16x16_bf16 v[116:123], v[49:56], v[108:115], v[100:107]
	s_clause 0x1
	global_load_b128 v[49:52], v[68:69], off
	global_load_b128 v[53:56], v[68:69], off offset:16
	v_and_b32_e32 v68, 0xe0, v0
	v_mbcnt_lo_u32_b32 v69, -1, 0
	s_delay_alu instid0(VALU_DEP_2)
	v_add_nc_u32_e32 v68, s12, v68
	s_waitcnt vmcnt(20)
	v_wmma_f32_16x16x16_bf16 v[100:107], v[76:83], v[108:115], v[100:107]
	ds_load_b128 v[76:79], v70 offset:2048
	ds_load_b128 v[80:83], v70 offset:3072
	v_xor_b32_e32 v70, 16, v69
	s_waitcnt vmcnt(0) lgkmcnt(0)
	v_or_b32_e32 v68, v68, v74
	s_barrier
	buffer_gl0_inv
	v_cmp_gt_i32_e32 vcc_lo, 32, v70
	v_or_b32_e32 v71, 4, v68
	v_or_b32_e32 v72, 6, v68
	v_cmp_gt_i32_e64 s3, s24, v68
	v_or_b32_e32 v108, 8, v68
	v_or_b32_e32 v109, 10, v68
	v_cmp_gt_i32_e64 s4, s24, v71
	v_cmp_gt_i32_e64 s5, s24, v72
	s_delay_alu instid0(VALU_DEP_4) | instskip(NEXT) | instid1(VALU_DEP_4)
	v_cmp_gt_i32_e64 s6, s24, v108
	v_cmp_gt_i32_e64 s7, s24, v109
	v_wmma_f32_16x16x16_bf16 v[116:123], v[84:91], v[76:83], v[116:123]
	v_cndmask_b32_e32 v69, v69, v70, vcc_lo
	v_or_b32_e32 v70, 2, v68
	v_wmma_f32_16x16x16_bf16 v[100:107], v[92:99], v[76:83], v[100:107]
	v_or_b32_e32 v84, 12, v68
	v_dual_mul_f32 v78, s19, v123 :: v_dual_mul_f32 v83, s19, v118
	v_dual_mul_f32 v92, s19, v117 :: v_dual_mul_f32 v93, s19, v116
	s_delay_alu instid0(VALU_DEP_4) | instskip(SKIP_2) | instid1(VALU_DEP_4)
	v_mul_f32_e32 v94, s19, v107
	v_cmp_gt_i32_e32 vcc_lo, s24, v70
	v_dual_mul_f32 v81, s19, v120 :: v_dual_mul_f32 v82, s19, v119
	v_cndmask_b32_e64 v93, 0xff7fffff, v93, s3
	v_or_b32_e32 v85, 14, v68
	v_cndmask_b32_e32 v92, 0xff7fffff, v92, vcc_lo
	v_dual_mul_f32 v79, s19, v122 :: v_dual_mul_f32 v80, s19, v121
	v_cndmask_b32_e64 v71, 0xff7fffff, v83, s4
	v_cndmask_b32_e64 v72, 0xff7fffff, v82, s5
	s_delay_alu instid0(VALU_DEP_4)
	v_max3_f32 v82, v93, 0xff7fffff, v92
	v_or_b32_e32 v86, 16, v68
	v_or_b32_e32 v87, 18, v68
	v_cndmask_b32_e64 v81, 0xff7fffff, v81, s6
	v_cndmask_b32_e64 v80, 0xff7fffff, v80, s7
	v_max3_f32 v71, v82, v71, v72
	v_cmp_gt_i32_e64 s8, s24, v84
	v_cmp_gt_i32_e64 s9, s24, v85
	v_or_b32_e32 v88, 20, v68
	v_or_b32_e32 v89, 22, v68
	;; [unrolled: 1-line block ×6, first 2 shown]
	v_dual_mul_f32 v99, s19, v102 :: v_dual_mul_f32 v70, s19, v101
	v_mul_f32_e32 v68, s19, v100
	v_cndmask_b32_e64 v72, 0xff7fffff, v79, s8
	v_cndmask_b32_e64 v78, 0xff7fffff, v78, s9
	v_max3_f32 v71, v71, v81, v80
	v_cmp_gt_i32_e64 s10, s24, v86
	v_cmp_gt_i32_e64 s11, s24, v87
	v_dual_mul_f32 v97, s19, v104 :: v_dual_mul_f32 v98, s19, v103
	s_delay_alu instid0(VALU_DEP_4) | instskip(SKIP_1) | instid1(VALU_DEP_4)
	v_max3_f32 v71, v71, v72, v78
	v_cmp_gt_i32_e64 s12, s24, v88
	v_cndmask_b32_e64 v70, 0xff7fffff, v70, s11
	v_cmp_gt_i32_e64 s13, s24, v89
	v_lshlrev_b32_e32 v89, 2, v69
	v_cndmask_b32_e64 v68, 0xff7fffff, v68, s10
	v_dual_mul_f32 v95, s19, v106 :: v_dual_mul_f32 v96, s19, v105
	v_cndmask_b32_e64 v72, 0xff7fffff, v99, s12
	v_cndmask_b32_e64 v78, 0xff7fffff, v98, s13
	s_delay_alu instid0(VALU_DEP_4)
	v_max3_f32 v68, v71, v68, v70
	v_cmp_gt_i32_e64 s15, s24, v90
	v_cmp_gt_i32_e64 s16, s24, v91
	;; [unrolled: 1-line block ×4, first 2 shown]
	v_max3_f32 v68, v68, v72, v78
	v_cndmask_b32_e64 v70, 0xff7fffff, v97, s15
	v_cndmask_b32_e64 v71, 0xff7fffff, v96, s16
	;; [unrolled: 1-line block ×4, first 2 shown]
	s_delay_alu instid0(VALU_DEP_3) | instskip(NEXT) | instid1(VALU_DEP_1)
	v_max3_f32 v68, v68, v70, v71
	v_max3_f32 v68, v68, v72, v76
	ds_bpermute_b32 v69, v89, v68
	s_waitcnt lgkmcnt(0)
	v_max_f32_e32 v69, v69, v69
	s_delay_alu instid0(VALU_DEP_1) | instskip(NEXT) | instid1(VALU_DEP_1)
	v_max_f32_e32 v68, v68, v69
	v_fma_f32 v71, s19, v118, -v68
	s_delay_alu instid0(VALU_DEP_1)
	v_mul_f32_e32 v71, 0x3fb8aa3b, v71
	v_fma_f32 v69, s19, v116, -v68
	v_fma_f32 v70, s19, v117, -v68
	;; [unrolled: 1-line block ×4, first 2 shown]
	v_exp_f32_e32 v71, v71
	s_delay_alu instid0(VALU_DEP_3) | instskip(SKIP_2) | instid1(VALU_DEP_3)
	v_dual_mul_f32 v69, 0x3fb8aa3b, v69 :: v_dual_mul_f32 v70, 0x3fb8aa3b, v70
	v_fma_f32 v78, s19, v122, -v68
	v_fma_f32 v81, s19, v105, -v68
	v_exp_f32_e32 v69, v69
	s_delay_alu instid0(VALU_DEP_3) | instskip(SKIP_1) | instid1(VALU_DEP_2)
	v_exp_f32_e32 v70, v70
	v_mul_f32_e32 v77, 0x3fb8aa3b, v76
	v_mul_f32_e32 v81, 0x3fb8aa3b, v81
	s_delay_alu instid0(TRANS32_DEP_3) | instskip(SKIP_1) | instid1(VALU_DEP_3)
	v_cndmask_b32_e64 v83, 0, v71, s4
	v_fma_f32 v71, s19, v123, -v68
	v_exp_f32_e32 v81, v81
	s_delay_alu instid0(TRANS32_DEP_3) | instskip(NEXT) | instid1(TRANS32_DEP_2)
	v_cndmask_b32_e64 v80, 0, v69, s3
	v_cndmask_b32_e32 v76, 0, v70, vcc_lo
	v_fma_f32 v69, s19, v121, -v68
	v_mul_f32_e32 v72, 0x3fb8aa3b, v72
	v_exp_f32_e32 v77, v77
	v_dual_add_f32 v70, 0, v80 :: v_dual_mul_f32 v71, 0x3fb8aa3b, v71
	s_delay_alu instid0(VALU_DEP_3) | instskip(NEXT) | instid1(VALU_DEP_3)
	v_mul_f32_e32 v69, 0x3fb8aa3b, v69
	v_exp_f32_e32 v72, v72
	s_mov_b32 s3, exec_lo
	s_delay_alu instid0(VALU_DEP_2) | instskip(NEXT) | instid1(VALU_DEP_1)
	v_exp_f32_e32 v71, v71
	v_exp_f32_e32 v69, v69
	v_cndmask_b32_e64 v86, 0, v77, s6
	v_fma_f32 v77, s19, v101, -v68
	v_add_f32_e32 v70, v70, v76
	s_delay_alu instid0(TRANS32_DEP_3) | instskip(SKIP_1) | instid1(VALU_DEP_3)
	v_cndmask_b32_e64 v85, 0, v72, s5
	v_fma_f32 v72, s19, v100, -v68
	v_dual_mul_f32 v77, 0x3fb8aa3b, v77 :: v_dual_add_f32 v70, v70, v83
	s_delay_alu instid0(TRANS32_DEP_2) | instskip(SKIP_1) | instid1(TRANS32_DEP_1)
	v_cndmask_b32_e64 v88, 0, v71, s9
	v_fma_f32 v71, s19, v104, -v68
	v_cndmask_b32_e64 v87, 0, v69, s7
	s_delay_alu instid0(VALU_DEP_4) | instskip(NEXT) | instid1(VALU_DEP_2)
	v_exp_f32_e32 v77, v77
	v_dual_add_f32 v70, v70, v85 :: v_dual_mul_f32 v71, 0x3fb8aa3b, v71
	s_delay_alu instid0(VALU_DEP_1) | instskip(SKIP_2) | instid1(VALU_DEP_3)
	v_dual_mul_f32 v72, 0x3fb8aa3b, v72 :: v_dual_add_f32 v69, v70, v86
	v_mul_f32_e32 v78, 0x3fb8aa3b, v78
	v_fma_f32 v70, s19, v102, -v68
	v_exp_f32_e32 v72, v72
	v_exp_f32_e32 v82, v71
	v_add_f32_e32 v69, v69, v87
	v_exp_f32_e32 v78, v78
	v_mul_f32_e32 v70, 0x3fb8aa3b, v70
	s_delay_alu instid0(VALU_DEP_1) | instskip(SKIP_4) | instid1(VALU_DEP_2)
	v_exp_f32_e32 v79, v70
	v_cndmask_b32_e64 v70, 0, v72, s10
	s_waitcnt_depctr 0xfff
	v_cndmask_b32_e64 v84, 0, v78, s8
	v_fma_f32 v78, s19, v103, -v68
	v_add_f32_e32 v69, v69, v84
	v_cndmask_b32_e64 v71, 0, v79, s12
	s_delay_alu instid0(VALU_DEP_2) | instskip(SKIP_2) | instid1(VALU_DEP_1)
	v_add_f32_e32 v72, v69, v88
	v_cndmask_b32_e64 v69, 0, v77, s11
	v_fma_f32 v77, s19, v106, -v68
	v_dual_mul_f32 v77, 0x3fb8aa3b, v77 :: v_dual_add_f32 v72, v72, v70
	v_mul_f32_e32 v78, 0x3fb8aa3b, v78
	s_delay_alu instid0(VALU_DEP_2) | instskip(NEXT) | instid1(VALU_DEP_2)
	v_exp_f32_e32 v90, v77
	v_add_f32_e32 v79, v72, v69
	s_delay_alu instid0(VALU_DEP_2)
	v_exp_f32_e32 v78, v78
	v_cndmask_b32_e64 v77, 0, v82, s15
	s_waitcnt_depctr 0xfff
	v_cndmask_b32_e64 v72, 0, v78, s13
	v_add_f32_e32 v78, v79, v71
	v_fma_f32 v79, s19, v107, -v68
	s_delay_alu instid0(VALU_DEP_1) | instskip(SKIP_1) | instid1(VALU_DEP_2)
	v_dual_add_f32 v82, v78, v72 :: v_dual_mul_f32 v79, 0x3fb8aa3b, v79
	v_cndmask_b32_e64 v78, 0, v81, s16
	v_add_f32_e32 v81, v82, v77
	s_delay_alu instid0(VALU_DEP_3) | instskip(SKIP_1) | instid1(VALU_DEP_2)
	v_exp_f32_e32 v82, v79
	v_cndmask_b32_e64 v79, 0, v90, s17
	v_add_f32_e32 v81, v81, v78
	s_delay_alu instid0(VALU_DEP_1) | instskip(SKIP_2) | instid1(VALU_DEP_1)
	v_add_f32_e32 v90, v81, v79
	s_waitcnt_depctr 0xfff
	v_cndmask_b32_e64 v81, 0, v82, s18
	v_add_f32_e32 v82, v90, v81
	ds_bpermute_b32 v89, v89, v82
	v_cmpx_gt_u32_e32 16, v67
	s_cbranch_execz .LBB1471_12
; %bb.11:
	v_mul_u32_u24_e32 v67, 0x44, v66
	s_delay_alu instid0(VALU_DEP_1) | instskip(SKIP_1) | instid1(VALU_DEP_1)
	v_lshl_add_u32 v67, v65, 2, v67
	s_waitcnt lgkmcnt(0)
	v_dual_add_f32 v82, v82, v89 :: v_dual_add_nc_u32 v67, 0x4000, v67
	ds_store_2addr_b32 v67, v68, v82 offset1:136
.LBB1471_12:
	s_or_b32 exec_lo, exec_lo, s3
	v_lshlrev_b32_e32 v67, 2, v65
	s_waitcnt lgkmcnt(0)
	s_barrier
	buffer_gl0_inv
	v_cmp_eq_u32_e32 vcc_lo, 1, v66
	v_add_nc_u32_e32 v82, 0x4000, v67
	v_cmp_eq_u32_e64 s3, 2, v66
	v_cmp_eq_u32_e64 s5, 7, v66
	ds_load_2addr_b32 v[89:90], v82 offset1:17
	ds_load_2addr_b32 v[91:92], v82 offset0:34 offset1:51
	ds_load_2addr_b32 v[93:94], v82 offset0:68 offset1:85
	;; [unrolled: 1-line block ×4, first 2 shown]
	s_waitcnt lgkmcnt(4)
	v_max3_f32 v67, v89, 0xff7fffff, v90
	s_waitcnt lgkmcnt(3)
	s_delay_alu instid0(VALU_DEP_1) | instskip(SKIP_1) | instid1(VALU_DEP_1)
	v_max3_f32 v67, v67, v91, v92
	s_waitcnt lgkmcnt(2)
	v_max3_f32 v67, v67, v93, v94
	s_waitcnt lgkmcnt(1)
	s_delay_alu instid0(VALU_DEP_1) | instskip(NEXT) | instid1(VALU_DEP_1)
	v_max3_f32 v67, v67, v95, v96
	v_sub_f32_e32 v93, v93, v67
	s_delay_alu instid0(VALU_DEP_1) | instskip(NEXT) | instid1(VALU_DEP_1)
	v_dual_sub_f32 v68, v89, v67 :: v_dual_mul_f32 v103, 0x3fb8aa3b, v93
	v_mul_f32_e32 v68, 0x3fb8aa3b, v68
	s_delay_alu instid0(VALU_DEP_1)
	v_exp_f32_e32 v100, v68
	v_sub_f32_e32 v68, v92, v67
	v_sub_f32_e32 v99, v90, v67
	ds_load_2addr_b32 v[89:90], v82 offset0:170 offset1:187
	v_dual_mul_f32 v102, 0x3fb8aa3b, v68 :: v_dual_mul_f32 v99, 0x3fb8aa3b, v99
	s_waitcnt lgkmcnt(1)
	v_fma_f32 v68, v100, v97, 0
	s_delay_alu instid0(VALU_DEP_2) | instskip(NEXT) | instid1(VALU_DEP_2)
	v_exp_f32_e32 v102, v102
	v_exp_f32_e32 v99, v99
	s_waitcnt_depctr 0xfff
	v_fmac_f32_e32 v68, v99, v98
	v_sub_f32_e32 v91, v91, v67
	s_delay_alu instid0(VALU_DEP_1)
	v_mul_f32_e32 v101, 0x3fb8aa3b, v91
	ds_load_2addr_b32 v[91:92], v82 offset0:204 offset1:221
	v_sub_f32_e32 v97, v94, v67
	ds_load_2addr_b32 v[93:94], v82 offset0:238 offset1:255
	s_waitcnt lgkmcnt(0)
	v_exp_f32_e32 v101, v101
	s_barrier
	buffer_gl0_inv
	v_dual_fmac_f32 v68, v101, v89 :: v_dual_sub_f32 v89, v96, v67
	v_dual_sub_f32 v82, v95, v67 :: v_dual_mul_f32 v95, 0x3fb8aa3b, v97
	v_exp_f32_e32 v97, v103
	s_delay_alu instid0(VALU_DEP_2) | instskip(NEXT) | instid1(VALU_DEP_2)
	v_dual_fmac_f32 v68, v102, v90 :: v_dual_mul_f32 v89, 0x3fb8aa3b, v89
	v_mul_f32_e32 v82, 0x3fb8aa3b, v82
	s_delay_alu instid0(VALU_DEP_3) | instskip(NEXT) | instid1(VALU_DEP_2)
	v_exp_f32_e32 v95, v95
	v_exp_f32_e32 v89, v89
	s_delay_alu instid0(VALU_DEP_1)
	v_exp_f32_e32 v82, v82
	v_fmac_f32_e32 v68, v97, v91
	s_delay_alu instid0(TRANS32_DEP_3) | instid1(VALU_DEP_1)
	v_fmac_f32_e32 v68, v95, v92
	s_waitcnt_depctr 0xfff
	v_fmac_f32_e32 v68, v82, v93
	s_delay_alu instid0(VALU_DEP_1) | instskip(NEXT) | instid1(VALU_DEP_1)
	v_fmac_f32_e32 v68, v89, v94
	v_add_f32_e32 v90, 0x358637bd, v68
	s_delay_alu instid0(VALU_DEP_1) | instskip(NEXT) | instid1(VALU_DEP_1)
	v_div_scale_f32 v91, null, v90, v90, 1.0
	v_rcp_f32_e32 v92, v91
	s_waitcnt_depctr 0xfff
	v_fma_f32 v93, -v91, v92, 1.0
	s_delay_alu instid0(VALU_DEP_1) | instskip(SKIP_1) | instid1(VALU_DEP_2)
	v_dual_fmac_f32 v92, v93, v92 :: v_dual_cndmask_b32 v93, v100, v99
	v_cmp_eq_u32_e32 vcc_lo, 3, v66
	v_cndmask_b32_e64 v93, v93, v101, s3
	v_cmp_eq_u32_e64 s3, 4, v66
	s_delay_alu instid0(VALU_DEP_2) | instskip(SKIP_1) | instid1(VALU_DEP_2)
	v_cndmask_b32_e32 v93, v93, v102, vcc_lo
	v_cmp_eq_u32_e32 vcc_lo, 5, v66
	v_cndmask_b32_e64 v93, v93, v97, s3
	v_cmp_eq_u32_e64 s3, 6, v66
	s_delay_alu instid0(VALU_DEP_2) | instskip(SKIP_1) | instid1(VALU_DEP_1)
	v_cndmask_b32_e32 v93, v93, v95, vcc_lo
	v_div_scale_f32 v94, s4, 1.0, v90, 1.0
	s_mov_b32 vcc_lo, s4
	s_delay_alu instid0(VALU_DEP_2) | instskip(NEXT) | instid1(VALU_DEP_2)
	v_cndmask_b32_e64 v82, v93, v82, s3
	v_mul_f32_e32 v96, v94, v92
	s_mov_b32 s3, exec_lo
	s_delay_alu instid0(VALU_DEP_2) | instskip(NEXT) | instid1(VALU_DEP_2)
	v_cndmask_b32_e64 v82, v82, v89, s5
	v_fma_f32 v98, -v91, v96, v94
	s_delay_alu instid0(VALU_DEP_1) | instskip(NEXT) | instid1(VALU_DEP_1)
	v_fmac_f32_e32 v96, v98, v92
	v_fma_f32 v91, -v91, v96, v94
	s_delay_alu instid0(VALU_DEP_1) | instskip(NEXT) | instid1(VALU_DEP_1)
	v_div_fmas_f32 v91, v91, v92, v96
	v_div_fixup_f32 v90, v91, v90, 1.0
	s_delay_alu instid0(VALU_DEP_1) | instskip(NEXT) | instid1(VALU_DEP_1)
	v_mul_f32_e32 v82, v82, v90
	v_mul_f32_e32 v87, v82, v87
	;; [unrolled: 1-line block ×7, first 2 shown]
	v_dual_mul_f32 v86, v82, v83 :: v_dual_and_b32 v91, 0x7f800000, v90
	v_mul_f32_e32 v85, v82, v76
                                        ; implicit-def: $vgpr76
	s_delay_alu instid0(VALU_DEP_2)
	v_cmpx_ne_u32_e32 0x7f800000, v91
	s_xor_b32 s3, exec_lo, s3
; %bb.13:
	v_bfe_u32 v76, v90, 16, 1
	s_delay_alu instid0(VALU_DEP_1)
	v_add3_u32 v76, v90, v76, 0x7fff
                                        ; implicit-def: $vgpr90
; %bb.14:
	s_and_not1_saveexec_b32 s3, s3
; %bb.15:
	v_and_b32_e32 v76, 0xffff, v90
	v_or_b32_e32 v83, 0x10000, v90
	s_delay_alu instid0(VALU_DEP_2) | instskip(NEXT) | instid1(VALU_DEP_2)
	v_cmp_eq_u32_e32 vcc_lo, 0, v76
	v_cndmask_b32_e32 v76, v83, v90, vcc_lo
; %bb.16:
	s_or_b32 exec_lo, exec_lo, s3
	v_and_b32_e32 v83, 0x7f800000, v85
	s_delay_alu instid0(VALU_DEP_1) | instskip(SKIP_1) | instid1(SALU_CYCLE_1)
	v_cmp_ne_u32_e32 vcc_lo, 0x7f800000, v83
                                        ; implicit-def: $vgpr83
	s_and_saveexec_b32 s3, vcc_lo
	s_xor_b32 s3, exec_lo, s3
; %bb.17:
	v_bfe_u32 v83, v85, 16, 1
	s_delay_alu instid0(VALU_DEP_1)
	v_add3_u32 v83, v85, v83, 0x7fff
                                        ; implicit-def: $vgpr85
; %bb.18:
	s_and_not1_saveexec_b32 s3, s3
; %bb.19:
	v_and_b32_e32 v83, 0xffff, v85
	v_or_b32_e32 v90, 0x10000, v85
	s_delay_alu instid0(VALU_DEP_2) | instskip(NEXT) | instid1(VALU_DEP_2)
	v_cmp_eq_u32_e32 vcc_lo, 0, v83
	v_cndmask_b32_e32 v83, v90, v85, vcc_lo
; %bb.20:
	s_or_b32 exec_lo, exec_lo, s3
	v_and_b32_e32 v85, 0x7f800000, v86
	s_delay_alu instid0(VALU_DEP_1) | instskip(SKIP_1) | instid1(SALU_CYCLE_1)
	v_cmp_ne_u32_e32 vcc_lo, 0x7f800000, v85
                                        ; implicit-def: $vgpr85
	s_and_saveexec_b32 s3, vcc_lo
	s_xor_b32 s3, exec_lo, s3
; %bb.21:
	v_bfe_u32 v85, v86, 16, 1
	s_delay_alu instid0(VALU_DEP_1)
	v_add3_u32 v85, v86, v85, 0x7fff
                                        ; implicit-def: $vgpr86
; %bb.22:
	s_and_not1_saveexec_b32 s3, s3
; %bb.23:
	v_and_b32_e32 v85, 0xffff, v86
	v_or_b32_e32 v90, 0x10000, v86
	s_delay_alu instid0(VALU_DEP_2) | instskip(NEXT) | instid1(VALU_DEP_2)
	v_cmp_eq_u32_e32 vcc_lo, 0, v85
	v_cndmask_b32_e32 v85, v90, v86, vcc_lo
; %bb.24:
	s_or_b32 exec_lo, exec_lo, s3
	v_and_b32_e32 v86, 0x7f800000, v89
	s_delay_alu instid0(VALU_DEP_1) | instskip(SKIP_1) | instid1(SALU_CYCLE_1)
	v_cmp_ne_u32_e32 vcc_lo, 0x7f800000, v86
                                        ; implicit-def: $vgpr86
	s_and_saveexec_b32 s3, vcc_lo
	s_xor_b32 s3, exec_lo, s3
; %bb.25:
	v_bfe_u32 v86, v89, 16, 1
	s_delay_alu instid0(VALU_DEP_1)
	v_add3_u32 v86, v89, v86, 0x7fff
                                        ; implicit-def: $vgpr89
; %bb.26:
	s_and_not1_saveexec_b32 s3, s3
; %bb.27:
	v_and_b32_e32 v86, 0xffff, v89
	v_or_b32_e32 v90, 0x10000, v89
	s_delay_alu instid0(VALU_DEP_2) | instskip(NEXT) | instid1(VALU_DEP_2)
	v_cmp_eq_u32_e32 vcc_lo, 0, v86
	v_cndmask_b32_e32 v86, v90, v89, vcc_lo
; %bb.28:
	s_or_b32 exec_lo, exec_lo, s3
	v_and_b32_e32 v89, 0x7f800000, v88
	s_delay_alu instid0(VALU_DEP_1) | instskip(SKIP_1) | instid1(SALU_CYCLE_1)
	v_cmp_ne_u32_e32 vcc_lo, 0x7f800000, v89
                                        ; implicit-def: $vgpr89
	s_and_saveexec_b32 s3, vcc_lo
	s_xor_b32 s3, exec_lo, s3
; %bb.29:
	v_bfe_u32 v89, v88, 16, 1
	s_delay_alu instid0(VALU_DEP_1)
	v_add3_u32 v89, v88, v89, 0x7fff
                                        ; implicit-def: $vgpr88
; %bb.30:
	s_and_not1_saveexec_b32 s3, s3
; %bb.31:
	v_and_b32_e32 v89, 0xffff, v88
	v_or_b32_e32 v90, 0x10000, v88
	s_delay_alu instid0(VALU_DEP_2) | instskip(NEXT) | instid1(VALU_DEP_2)
	v_cmp_eq_u32_e32 vcc_lo, 0, v89
	v_cndmask_b32_e32 v89, v90, v88, vcc_lo
; %bb.32:
	s_or_b32 exec_lo, exec_lo, s3
	v_and_b32_e32 v88, 0x7f800000, v87
	s_delay_alu instid0(VALU_DEP_1) | instskip(SKIP_1) | instid1(SALU_CYCLE_1)
	v_cmp_ne_u32_e32 vcc_lo, 0x7f800000, v88
                                        ; implicit-def: $vgpr88
	s_and_saveexec_b32 s3, vcc_lo
	s_xor_b32 s3, exec_lo, s3
; %bb.33:
	v_bfe_u32 v88, v87, 16, 1
	s_delay_alu instid0(VALU_DEP_1)
	v_add3_u32 v88, v87, v88, 0x7fff
                                        ; implicit-def: $vgpr87
; %bb.34:
	s_and_not1_saveexec_b32 s3, s3
; %bb.35:
	v_and_b32_e32 v88, 0xffff, v87
	v_or_b32_e32 v90, 0x10000, v87
	s_delay_alu instid0(VALU_DEP_2) | instskip(NEXT) | instid1(VALU_DEP_2)
	v_cmp_eq_u32_e32 vcc_lo, 0, v88
	v_cndmask_b32_e32 v88, v90, v87, vcc_lo
; %bb.36:
	s_or_b32 exec_lo, exec_lo, s3
	v_and_b32_e32 v87, 0x7f800000, v84
	s_delay_alu instid0(VALU_DEP_1) | instskip(SKIP_1) | instid1(SALU_CYCLE_1)
	v_cmp_ne_u32_e32 vcc_lo, 0x7f800000, v87
                                        ; implicit-def: $vgpr87
	s_and_saveexec_b32 s3, vcc_lo
	s_xor_b32 s3, exec_lo, s3
; %bb.37:
	v_bfe_u32 v87, v84, 16, 1
	s_delay_alu instid0(VALU_DEP_1)
	v_add3_u32 v87, v84, v87, 0x7fff
                                        ; implicit-def: $vgpr84
; %bb.38:
	s_and_not1_saveexec_b32 s3, s3
; %bb.39:
	v_and_b32_e32 v87, 0xffff, v84
	v_or_b32_e32 v90, 0x10000, v84
	s_delay_alu instid0(VALU_DEP_2) | instskip(NEXT) | instid1(VALU_DEP_2)
	v_cmp_eq_u32_e32 vcc_lo, 0, v87
	v_cndmask_b32_e32 v87, v90, v84, vcc_lo
; %bb.40:
	s_or_b32 exec_lo, exec_lo, s3
	v_and_b32_e32 v84, 0x7f800000, v80
	s_delay_alu instid0(VALU_DEP_1) | instskip(SKIP_1) | instid1(SALU_CYCLE_1)
	v_cmp_ne_u32_e32 vcc_lo, 0x7f800000, v84
                                        ; implicit-def: $vgpr84
	s_and_saveexec_b32 s3, vcc_lo
	s_xor_b32 s3, exec_lo, s3
; %bb.41:
	v_bfe_u32 v84, v80, 16, 1
	s_delay_alu instid0(VALU_DEP_1)
	v_add3_u32 v84, v80, v84, 0x7fff
                                        ; implicit-def: $vgpr80
; %bb.42:
	s_and_not1_saveexec_b32 s3, s3
; %bb.43:
	v_and_b32_e32 v84, 0xffff, v80
	v_or_b32_e32 v90, 0x10000, v80
	s_delay_alu instid0(VALU_DEP_2) | instskip(NEXT) | instid1(VALU_DEP_2)
	v_cmp_eq_u32_e32 vcc_lo, 0, v84
	v_cndmask_b32_e32 v84, v90, v80, vcc_lo
; %bb.44:
	s_or_b32 exec_lo, exec_lo, s3
	s_load_b64 s[34:35], s[0:1], 0x94
	v_lshlrev_b32_e32 v91, 4, v74
	s_delay_alu instid0(VALU_DEP_2)
	v_perm_b32 v90, v84, v87, 0x7060302
	v_dual_mul_f32 v79, v82, v79 :: v_dual_lshlrev_b32 v80, 6, v65
	v_dual_mul_f32 v77, v82, v77 :: v_dual_lshlrev_b32 v92, 11, v66
	v_mul_f32_e32 v84, v82, v70
	v_perm_b32 v89, v88, v89, 0x7060302
	v_perm_b32 v88, v86, v85, 0x7060302
	;; [unrolled: 1-line block ×3, first 2 shown]
	v_mul_f32_e32 v70, v82, v81
	v_or3_b32 v76, v91, v92, v80
	v_dual_mul_f32 v78, v82, v78 :: v_dual_and_b32 v85, 0x7f800000, v84
	v_mul_f32_e32 v83, v82, v72
	v_mul_f32_e32 v81, v82, v71
	;; [unrolled: 1-line block ×3, first 2 shown]
	s_mov_b32 s3, exec_lo
	ds_store_b128 v76, v[87:90]
                                        ; implicit-def: $vgpr69
	v_cmpx_ne_u32_e32 0x7f800000, v85
	s_xor_b32 s3, exec_lo, s3
; %bb.45:
	v_bfe_u32 v69, v84, 16, 1
	s_delay_alu instid0(VALU_DEP_1)
	v_add3_u32 v69, v84, v69, 0x7fff
                                        ; implicit-def: $vgpr84
; %bb.46:
	s_and_not1_saveexec_b32 s3, s3
; %bb.47:
	v_and_b32_e32 v69, 0xffff, v84
	v_or_b32_e32 v71, 0x10000, v84
	s_delay_alu instid0(VALU_DEP_2) | instskip(NEXT) | instid1(VALU_DEP_2)
	v_cmp_eq_u32_e32 vcc_lo, 0, v69
	v_cndmask_b32_e32 v69, v71, v84, vcc_lo
; %bb.48:
	s_or_b32 exec_lo, exec_lo, s3
	v_and_b32_e32 v71, 0x7f800000, v72
	s_delay_alu instid0(VALU_DEP_1) | instskip(SKIP_1) | instid1(SALU_CYCLE_1)
	v_cmp_ne_u32_e32 vcc_lo, 0x7f800000, v71
                                        ; implicit-def: $vgpr71
	s_and_saveexec_b32 s3, vcc_lo
	s_xor_b32 s3, exec_lo, s3
; %bb.49:
	v_bfe_u32 v71, v72, 16, 1
	s_delay_alu instid0(VALU_DEP_1)
	v_add3_u32 v71, v72, v71, 0x7fff
                                        ; implicit-def: $vgpr72
; %bb.50:
	s_and_not1_saveexec_b32 s3, s3
; %bb.51:
	v_and_b32_e32 v71, 0xffff, v72
	v_or_b32_e32 v82, 0x10000, v72
	s_delay_alu instid0(VALU_DEP_2) | instskip(NEXT) | instid1(VALU_DEP_2)
	v_cmp_eq_u32_e32 vcc_lo, 0, v71
	v_cndmask_b32_e32 v71, v82, v72, vcc_lo
; %bb.52:
	s_or_b32 exec_lo, exec_lo, s3
	v_and_b32_e32 v72, 0x7f800000, v81
	s_delay_alu instid0(VALU_DEP_1) | instskip(SKIP_1) | instid1(SALU_CYCLE_1)
	v_cmp_ne_u32_e32 vcc_lo, 0x7f800000, v72
                                        ; implicit-def: $vgpr72
	s_and_saveexec_b32 s3, vcc_lo
	s_xor_b32 s3, exec_lo, s3
; %bb.53:
	v_bfe_u32 v72, v81, 16, 1
	s_delay_alu instid0(VALU_DEP_1)
	v_add3_u32 v72, v81, v72, 0x7fff
                                        ; implicit-def: $vgpr81
; %bb.54:
	s_and_not1_saveexec_b32 s3, s3
; %bb.55:
	v_and_b32_e32 v72, 0xffff, v81
	v_or_b32_e32 v82, 0x10000, v81
	s_delay_alu instid0(VALU_DEP_2) | instskip(NEXT) | instid1(VALU_DEP_2)
	v_cmp_eq_u32_e32 vcc_lo, 0, v72
	v_cndmask_b32_e32 v72, v82, v81, vcc_lo
; %bb.56:
	s_or_b32 exec_lo, exec_lo, s3
	v_and_b32_e32 v81, 0x7f800000, v83
	s_delay_alu instid0(VALU_DEP_1) | instskip(SKIP_1) | instid1(SALU_CYCLE_1)
	v_cmp_ne_u32_e32 vcc_lo, 0x7f800000, v81
                                        ; implicit-def: $vgpr81
	s_and_saveexec_b32 s3, vcc_lo
	s_xor_b32 s3, exec_lo, s3
; %bb.57:
	v_bfe_u32 v81, v83, 16, 1
	s_delay_alu instid0(VALU_DEP_1)
	v_add3_u32 v81, v83, v81, 0x7fff
                                        ; implicit-def: $vgpr83
; %bb.58:
	s_and_not1_saveexec_b32 s3, s3
; %bb.59:
	v_and_b32_e32 v81, 0xffff, v83
	v_or_b32_e32 v82, 0x10000, v83
	s_delay_alu instid0(VALU_DEP_2) | instskip(NEXT) | instid1(VALU_DEP_2)
	v_cmp_eq_u32_e32 vcc_lo, 0, v81
	v_cndmask_b32_e32 v81, v82, v83, vcc_lo
; %bb.60:
	s_or_b32 exec_lo, exec_lo, s3
	v_and_b32_e32 v82, 0x7f800000, v77
	s_delay_alu instid0(VALU_DEP_1) | instskip(SKIP_1) | instid1(SALU_CYCLE_1)
	v_cmp_ne_u32_e32 vcc_lo, 0x7f800000, v82
                                        ; implicit-def: $vgpr82
	s_and_saveexec_b32 s3, vcc_lo
	s_xor_b32 s3, exec_lo, s3
; %bb.61:
	v_bfe_u32 v82, v77, 16, 1
	s_delay_alu instid0(VALU_DEP_1)
	v_add3_u32 v82, v77, v82, 0x7fff
                                        ; implicit-def: $vgpr77
; %bb.62:
	s_and_not1_saveexec_b32 s3, s3
; %bb.63:
	v_and_b32_e32 v82, 0xffff, v77
	v_or_b32_e32 v83, 0x10000, v77
	s_delay_alu instid0(VALU_DEP_2) | instskip(NEXT) | instid1(VALU_DEP_2)
	v_cmp_eq_u32_e32 vcc_lo, 0, v82
	v_cndmask_b32_e32 v82, v83, v77, vcc_lo
; %bb.64:
	s_or_b32 exec_lo, exec_lo, s3
	v_and_b32_e32 v77, 0x7f800000, v78
	s_delay_alu instid0(VALU_DEP_1) | instskip(SKIP_1) | instid1(SALU_CYCLE_1)
	v_cmp_ne_u32_e32 vcc_lo, 0x7f800000, v77
                                        ; implicit-def: $vgpr77
	s_and_saveexec_b32 s3, vcc_lo
	s_xor_b32 s3, exec_lo, s3
; %bb.65:
	v_bfe_u32 v77, v78, 16, 1
	s_delay_alu instid0(VALU_DEP_1)
	v_add3_u32 v77, v78, v77, 0x7fff
                                        ; implicit-def: $vgpr78
; %bb.66:
	s_and_not1_saveexec_b32 s3, s3
; %bb.67:
	v_and_b32_e32 v77, 0xffff, v78
	v_or_b32_e32 v83, 0x10000, v78
	s_delay_alu instid0(VALU_DEP_2) | instskip(NEXT) | instid1(VALU_DEP_2)
	v_cmp_eq_u32_e32 vcc_lo, 0, v77
	v_cndmask_b32_e32 v77, v83, v78, vcc_lo
; %bb.68:
	s_or_b32 exec_lo, exec_lo, s3
	v_and_b32_e32 v78, 0x7f800000, v79
	s_delay_alu instid0(VALU_DEP_1) | instskip(SKIP_1) | instid1(SALU_CYCLE_1)
	v_cmp_ne_u32_e32 vcc_lo, 0x7f800000, v78
                                        ; implicit-def: $vgpr78
	s_and_saveexec_b32 s3, vcc_lo
	s_xor_b32 s3, exec_lo, s3
; %bb.69:
	v_bfe_u32 v78, v79, 16, 1
	s_delay_alu instid0(VALU_DEP_1)
	v_add3_u32 v78, v79, v78, 0x7fff
                                        ; implicit-def: $vgpr79
; %bb.70:
	s_and_not1_saveexec_b32 s3, s3
; %bb.71:
	v_and_b32_e32 v78, 0xffff, v79
	v_or_b32_e32 v83, 0x10000, v79
	s_delay_alu instid0(VALU_DEP_2) | instskip(NEXT) | instid1(VALU_DEP_2)
	v_cmp_eq_u32_e32 vcc_lo, 0, v78
	v_cndmask_b32_e32 v78, v83, v79, vcc_lo
; %bb.72:
	s_or_b32 exec_lo, exec_lo, s3
	v_and_b32_e32 v79, 0x7f800000, v70
	s_delay_alu instid0(VALU_DEP_1) | instskip(SKIP_1) | instid1(SALU_CYCLE_1)
	v_cmp_ne_u32_e32 vcc_lo, 0x7f800000, v79
                                        ; implicit-def: $vgpr79
	s_and_saveexec_b32 s3, vcc_lo
	s_xor_b32 s3, exec_lo, s3
; %bb.73:
	v_bfe_u32 v79, v70, 16, 1
	s_delay_alu instid0(VALU_DEP_1)
	v_add3_u32 v79, v70, v79, 0x7fff
                                        ; implicit-def: $vgpr70
; %bb.74:
	s_and_not1_saveexec_b32 s3, s3
; %bb.75:
	v_and_b32_e32 v79, 0xffff, v70
	v_or_b32_e32 v83, 0x10000, v70
	s_delay_alu instid0(VALU_DEP_2) | instskip(NEXT) | instid1(VALU_DEP_2)
	v_cmp_eq_u32_e32 vcc_lo, 0, v79
	v_cndmask_b32_e32 v79, v83, v70, vcc_lo
; %bb.76:
	s_or_b32 exec_lo, exec_lo, s3
	s_delay_alu instid0(VALU_DEP_1)
	v_perm_b32 v86, v79, v78, 0x7060302
	v_perm_b32 v85, v77, v82, 0x7060302
	;; [unrolled: 1-line block ×4, first 2 shown]
	v_lshl_or_b32 v82, v66, 11, v80
	ds_store_b128 v76, v[83:86] offset:1024
	s_waitcnt lgkmcnt(0)
	s_barrier
	buffer_gl0_inv
	ds_load_b128 v[69:72], v82
	ds_load_b128 v[83:86], v82 offset:16
	s_waitcnt lgkmcnt(1)
	v_lshrrev_b32_e32 v66, 16, v69
	s_waitcnt lgkmcnt(0)
	v_lshrrev_b32_e32 v91, 16, v83
	v_lshlrev_b32_e32 v78, 2, v74
	v_lshrrev_b32_e32 v95, 16, v70
	v_lshrrev_b32_e32 v98, 16, v84
	;; [unrolled: 1-line block ×4, first 2 shown]
	v_cmp_eq_u32_e32 vcc_lo, 1, v78
	v_lshrrev_b32_e32 v97, 16, v72
	v_lshrrev_b32_e32 v100, 16, v86
	v_cndmask_b32_e32 v87, v83, v91, vcc_lo
	v_or_b32_e32 v79, 1, v78
	v_cndmask_b32_e32 v81, v69, v66, vcc_lo
	v_cmp_eq_u32_e64 s4, 2, v78
	v_cmp_eq_u32_e64 s7, 3, v78
	;; [unrolled: 1-line block ×5, first 2 shown]
	v_cndmask_b32_e64 v81, v81, v70, s4
	v_cndmask_b32_e64 v87, v87, v84, s4
	v_cmp_eq_u32_e64 s8, 3, v79
	v_cndmask_b32_e64 v88, v69, v66, s3
	v_or_b32_e32 v77, 2, v78
	v_cndmask_b32_e64 v81, v81, v95, s7
	v_cndmask_b32_e64 v87, v87, v98, s7
	;; [unrolled: 1-line block ×4, first 2 shown]
	v_cmp_eq_u32_e64 s10, 5, v78
	v_cndmask_b32_e64 v81, v81, v71, s9
	v_cndmask_b32_e64 v87, v87, v85, s9
	v_cmp_eq_u32_e64 s11, 4, v79
	v_cndmask_b32_e64 v88, v88, v95, s8
	v_cmp_eq_u32_e64 s5, 1, v77
	v_cndmask_b32_e64 v89, v89, v84, s6
	v_cndmask_b32_e64 v81, v81, v96, s10
	v_cmp_eq_u32_e64 s12, 6, v78
	v_cndmask_b32_e64 v88, v88, v71, s11
	;; [unrolled: 3-line block ×3, first 2 shown]
	v_cndmask_b32_e64 v89, v89, v98, s8
	v_cndmask_b32_e64 v81, v81, v72, s12
	v_cmp_eq_u32_e64 s15, 7, v78
	v_cndmask_b32_e64 v88, v88, v96, s13
	v_cndmask_b32_e64 v87, v87, v86, s12
	v_cmp_eq_u32_e64 s16, 6, v79
	v_cmp_eq_u32_e64 s17, 2, v77
	v_cndmask_b32_e64 v89, v89, v85, s11
	v_cndmask_b32_e64 v101, v81, v97, s15
	;; [unrolled: 1-line block ×6, first 2 shown]
	v_cmp_eq_u32_e64 s18, 7, v79
	v_cmp_eq_u32_e64 s19, 3, v77
	;; [unrolled: 1-line block ×4, first 2 shown]
	v_cndmask_b32_e64 v87, v87, v84, s17
	v_cndmask_b32_e64 v103, v88, v97, s18
	;; [unrolled: 1-line block ×4, first 2 shown]
	v_or_b32_e32 v81, 3, v78
	v_cndmask_b32_e64 v93, v87, v98, s19
	v_cmp_eq_u32_e64 s24, 6, v77
	v_cndmask_b32_e64 v104, v88, v86, s16
	v_cndmask_b32_e64 v92, v89, v71, s20
	v_cmp_eq_u32_e64 s21, 1, v81
	ds_load_b128 v[87:90], v82 offset:1024
	v_cmp_eq_u32_e64 s23, 2, v81
	v_cmp_eq_u32_e64 s25, 3, v81
	v_cndmask_b32_e64 v105, v92, v96, s22
	v_cndmask_b32_e64 v66, v69, v66, s21
	;; [unrolled: 1-line block ×4, first 2 shown]
	ds_load_b128 v[91:94], v82 offset:1040
	v_cmp_eq_u32_e64 s26, 4, v81
	v_cndmask_b32_e64 v66, v66, v70, s23
	v_cmp_eq_u32_e64 s27, 7, v77
	v_cndmask_b32_e64 v70, v83, v84, s23
	v_cndmask_b32_e64 v84, v105, v72, s24
	v_cmp_eq_u32_e64 s28, 5, v81
	v_cndmask_b32_e64 v66, v66, v95, s25
	v_cmp_eq_u32_e64 s29, 6, v81
	v_cndmask_b32_e64 v70, v70, v98, s25
	v_cndmask_b32_e64 v69, v69, v99, s22
	;; [unrolled: 1-line block ×4, first 2 shown]
	s_waitcnt lgkmcnt(1)
	v_lshrrev_b32_e32 v95, 16, v87
	v_cndmask_b32_e64 v70, v70, v85, s26
	v_cndmask_b32_e64 v71, v84, v97, s27
	;; [unrolled: 1-line block ×4, first 2 shown]
	v_cndmask_b32_e32 v84, v87, v95, vcc_lo
	v_cndmask_b32_e64 v70, v70, v99, s28
	s_waitcnt lgkmcnt(0)
	v_lshrrev_b32_e32 v85, 16, v91
	v_lshrrev_b32_e32 v96, 16, v88
	v_cndmask_b32_e64 v98, v87, v95, s3
	v_cndmask_b32_e64 v84, v84, v88, s4
	;; [unrolled: 1-line block ×3, first 2 shown]
	v_cndmask_b32_e32 v99, v91, v85, vcc_lo
	v_cmp_eq_u32_e32 vcc_lo, 7, v81
	v_cndmask_b32_e64 v66, v66, v72, s29
	v_cndmask_b32_e64 v72, v84, v96, s7
	;; [unrolled: 1-line block ×3, first 2 shown]
	v_lshrrev_b32_e32 v98, 16, v92
	v_cndmask_b32_e32 v70, v70, v100, vcc_lo
	v_cndmask_b32_e64 v86, v99, v92, s4
	v_cndmask_b32_e64 v69, v69, v100, s27
	v_lshrrev_b32_e32 v100, 16, v93
	v_cndmask_b32_e64 v72, v72, v89, s9
	v_lshrrev_b32_e32 v99, 16, v89
	v_cndmask_b32_e64 v86, v86, v98, s7
	v_perm_b32 v71, v69, v71, 0x5040100
	v_cndmask_b32_e64 v84, v84, v96, s8
	s_delay_alu instid0(VALU_DEP_3) | instskip(NEXT) | instid1(VALU_DEP_2)
	v_cndmask_b32_e64 v86, v86, v93, s9
	v_cndmask_b32_e64 v84, v84, v89, s11
	s_delay_alu instid0(VALU_DEP_2) | instskip(NEXT) | instid1(VALU_DEP_1)
	v_cndmask_b32_e64 v86, v86, v100, s10
	v_cndmask_b32_e64 v69, v86, v94, s12
	;; [unrolled: 1-line block ×5, first 2 shown]
	s_delay_alu instid0(VALU_DEP_3) | instskip(NEXT) | instid1(VALU_DEP_3)
	v_cndmask_b32_e64 v86, v86, v88, s17
	v_cndmask_b32_e64 v87, v87, v88, s23
	s_delay_alu instid0(VALU_DEP_3) | instskip(NEXT) | instid1(VALU_DEP_3)
	v_cndmask_b32_e64 v88, v95, v92, s23
	v_cndmask_b32_e64 v86, v86, v96, s19
	;; [unrolled: 3-line block ×7, first 2 shown]
	s_delay_alu instid0(VALU_DEP_3) | instskip(SKIP_2) | instid1(VALU_DEP_2)
	v_cndmask_b32_e64 v88, v88, v94, s29
	v_cndmask_b32_e32 v66, v66, v97, vcc_lo
	v_cndmask_b32_e64 v97, v72, v99, s10
	v_perm_b32 v72, v70, v66, 0x5040100
	v_perm_b32 v70, v83, v103, 0x5040100
	v_cndmask_b32_e64 v103, v91, v85, s5
	v_cndmask_b32_e64 v85, v91, v85, s3
	;; [unrolled: 1-line block ×4, first 2 shown]
	v_lshrrev_b32_e32 v97, 16, v90
	v_cndmask_b32_e64 v91, v103, v92, s17
	v_cndmask_b32_e64 v85, v85, v92, s6
	;; [unrolled: 1-line block ×3, first 2 shown]
	s_mov_b32 s3, exec_lo
	v_cndmask_b32_e64 v83, v84, v97, s15
	v_cndmask_b32_e64 v91, v91, v98, s19
	;; [unrolled: 1-line block ×3, first 2 shown]
	v_lshrrev_b32_e32 v84, 16, v94
	v_cndmask_b32_e64 v66, v66, v97, s18
	v_cndmask_b32_e64 v90, v86, v97, s27
	;; [unrolled: 1-line block ×4, first 2 shown]
	v_dual_cndmask_b32 v86, v87, v97 :: v_dual_cndmask_b32 v87, v88, v84
	v_cndmask_b32_e64 v91, v69, v84, s15
	s_delay_alu instid0(VALU_DEP_4) | instskip(NEXT) | instid1(VALU_DEP_4)
	v_cndmask_b32_e64 v89, v89, v100, s22
	v_cndmask_b32_e64 v85, v85, v100, s13
	v_perm_b32 v69, v102, v101, 0x5040100
	v_perm_b32 v86, v87, v86, 0x5040100
	v_perm_b32 v83, v91, v83, 0x5040100
	v_cndmask_b32_e64 v89, v89, v94, s24
	v_cndmask_b32_e64 v85, v85, v94, s16
	s_mul_i32 s8, s35, 6
	s_delay_alu instid0(VALU_DEP_2) | instskip(NEXT) | instid1(VALU_DEP_2)
	v_cndmask_b32_e64 v88, v89, v84, s27
	v_cndmask_b32_e64 v89, v85, v84, s18
	s_delay_alu instid0(VALU_DEP_2) | instskip(NEXT) | instid1(VALU_DEP_2)
	v_perm_b32 v85, v88, v90, 0x5040100
	v_perm_b32 v84, v89, v66, 0x5040100
	ds_store_b128 v76, v[69:72]
	ds_store_b128 v76, v[83:86] offset:1024
	v_cmpx_gt_u32_e32 6, v0
	s_cbranch_execz .LBB1471_78
; %bb.77:
	s_mul_i32 s4, s8, s30
	s_delay_alu instid0(SALU_CYCLE_1) | instskip(SKIP_1) | instid1(VALU_DEP_1)
	v_add3_u32 v69, s4, s31, v65
	s_load_b128 s[4:7], s[0:1], 0x58
	v_mad_u64_u32 v[65:66], null, v69, s34, s[14:15]
	s_delay_alu instid0(VALU_DEP_1) | instskip(NEXT) | instid1(VALU_DEP_1)
	v_ashrrev_i32_e32 v66, 31, v65
	v_lshlrev_b64 v[65:66], 2, v[65:66]
	s_waitcnt lgkmcnt(0)
	s_delay_alu instid0(VALU_DEP_1) | instskip(NEXT) | instid1(VALU_DEP_2)
	v_add_co_u32 v69, vcc_lo, s6, v65
	v_add_co_ci_u32_e32 v70, vcc_lo, s7, v66, vcc_lo
	v_add_co_u32 v65, vcc_lo, s4, v65
	v_add_co_ci_u32_e32 v66, vcc_lo, s5, v66, vcc_lo
	global_store_b32 v[69:70], v67, off
	global_store_b32 v[65:66], v68, off
.LBB1471_78:
	s_or_b32 exec_lo, exec_lo, s3
	s_waitcnt lgkmcnt(0)
	s_waitcnt_vscnt null, 0x0
	s_barrier
	buffer_gl0_inv
	ds_load_b128 v[83:86], v80
	ds_load_b128 v[87:90], v80 offset:16
	ds_load_b128 v[95:98], v80 offset:2064
	;; [unrolled: 1-line block ×3, first 2 shown]
	v_mov_b32_e32 v65, 0
	ds_load_b128 v[103:106], v80 offset:4112
	ds_load_b128 v[99:102], v80 offset:4096
	;; [unrolled: 1-line block ×4, first 2 shown]
	v_mov_b32_e32 v66, v65
	v_mov_b32_e32 v67, v65
	;; [unrolled: 1-line block ×7, first 2 shown]
	s_waitcnt lgkmcnt(6)
	s_delay_alu instid0(VALU_DEP_1)
	v_wmma_f32_16x16x16_bf16 v[65:72], v[57:64], v[83:90], v[65:72]
	ds_load_b128 v[61:64], v80 offset:8208
	ds_load_b128 v[57:60], v80 offset:8192
	s_waitcnt lgkmcnt(6)
	v_wmma_f32_16x16x16_bf16 v[65:72], v[41:48], v[91:98], v[65:72]
	ds_load_b128 v[45:48], v80 offset:10256
	ds_load_b128 v[41:44], v80 offset:10240
	s_waitcnt lgkmcnt(6)
	;; [unrolled: 4-line block ×4, first 2 shown]
	v_wmma_f32_16x16x16_bf16 v[65:72], v[1:8], v[57:64], v[65:72]
	s_waitcnt lgkmcnt(4)
	s_delay_alu instid0(VALU_DEP_1) | instskip(SKIP_1) | instid1(VALU_DEP_1)
	v_wmma_f32_16x16x16_bf16 v[65:72], v[9:16], v[41:48], v[65:72]
	s_waitcnt lgkmcnt(2)
	v_wmma_f32_16x16x16_bf16 v[65:72], v[17:24], v[33:40], v[65:72]
	s_waitcnt lgkmcnt(0)
	s_delay_alu instid0(VALU_DEP_1) | instskip(NEXT) | instid1(VALU_DEP_1)
	v_wmma_f32_16x16x16_bf16 v[65:72], v[49:56], v[25:32], v[65:72]
	v_and_b32_e32 v1, 0x7f800000, v65
	s_delay_alu instid0(VALU_DEP_1) | instskip(SKIP_1) | instid1(SALU_CYCLE_1)
	v_cmp_ne_u32_e32 vcc_lo, 0x7f800000, v1
                                        ; implicit-def: $vgpr1
	s_and_saveexec_b32 s3, vcc_lo
	s_xor_b32 s3, exec_lo, s3
; %bb.79:
	v_bfe_u32 v1, v65, 16, 1
	s_delay_alu instid0(VALU_DEP_1)
	v_add3_u32 v1, v65, v1, 0x7fff
; %bb.80:
	s_and_not1_saveexec_b32 s3, s3
; %bb.81:
	v_and_b32_e32 v1, 0xffff, v65
	v_or_b32_e32 v2, 0x10000, v65
	s_delay_alu instid0(VALU_DEP_2) | instskip(NEXT) | instid1(VALU_DEP_2)
	v_cmp_eq_u32_e32 vcc_lo, 0, v1
	v_cndmask_b32_e32 v1, v2, v65, vcc_lo
; %bb.82:
	s_or_b32 exec_lo, exec_lo, s3
	v_and_b32_e32 v2, 0x7f800000, v66
	s_delay_alu instid0(VALU_DEP_1) | instskip(SKIP_1) | instid1(SALU_CYCLE_1)
	v_cmp_ne_u32_e32 vcc_lo, 0x7f800000, v2
                                        ; implicit-def: $vgpr2
	s_and_saveexec_b32 s3, vcc_lo
	s_xor_b32 s3, exec_lo, s3
; %bb.83:
	v_bfe_u32 v2, v66, 16, 1
	s_delay_alu instid0(VALU_DEP_1)
	v_add3_u32 v2, v66, v2, 0x7fff
; %bb.84:
	s_and_not1_saveexec_b32 s3, s3
; %bb.85:
	v_and_b32_e32 v2, 0xffff, v66
	v_or_b32_e32 v3, 0x10000, v66
	s_delay_alu instid0(VALU_DEP_2) | instskip(NEXT) | instid1(VALU_DEP_2)
	v_cmp_eq_u32_e32 vcc_lo, 0, v2
	v_cndmask_b32_e32 v2, v3, v66, vcc_lo
; %bb.86:
	s_or_b32 exec_lo, exec_lo, s3
	v_and_b32_e32 v3, 0x7f800000, v67
	s_delay_alu instid0(VALU_DEP_1) | instskip(SKIP_1) | instid1(SALU_CYCLE_1)
	v_cmp_ne_u32_e32 vcc_lo, 0x7f800000, v3
                                        ; implicit-def: $vgpr3
	s_and_saveexec_b32 s3, vcc_lo
	s_xor_b32 s3, exec_lo, s3
; %bb.87:
	v_bfe_u32 v3, v67, 16, 1
	s_delay_alu instid0(VALU_DEP_1)
	v_add3_u32 v3, v67, v3, 0x7fff
; %bb.88:
	s_and_not1_saveexec_b32 s3, s3
; %bb.89:
	v_and_b32_e32 v3, 0xffff, v67
	v_or_b32_e32 v4, 0x10000, v67
	s_delay_alu instid0(VALU_DEP_2) | instskip(NEXT) | instid1(VALU_DEP_2)
	v_cmp_eq_u32_e32 vcc_lo, 0, v3
	v_cndmask_b32_e32 v3, v4, v67, vcc_lo
; %bb.90:
	s_or_b32 exec_lo, exec_lo, s3
	v_and_b32_e32 v4, 0x7f800000, v68
	s_delay_alu instid0(VALU_DEP_1) | instskip(SKIP_1) | instid1(SALU_CYCLE_1)
	v_cmp_ne_u32_e32 vcc_lo, 0x7f800000, v4
                                        ; implicit-def: $vgpr4
	s_and_saveexec_b32 s3, vcc_lo
	s_xor_b32 s3, exec_lo, s3
; %bb.91:
	v_bfe_u32 v4, v68, 16, 1
	s_delay_alu instid0(VALU_DEP_1)
	v_add3_u32 v4, v68, v4, 0x7fff
; %bb.92:
	s_and_not1_saveexec_b32 s3, s3
; %bb.93:
	v_and_b32_e32 v4, 0xffff, v68
	v_or_b32_e32 v5, 0x10000, v68
	s_delay_alu instid0(VALU_DEP_2) | instskip(NEXT) | instid1(VALU_DEP_2)
	v_cmp_eq_u32_e32 vcc_lo, 0, v4
	v_cndmask_b32_e32 v4, v5, v68, vcc_lo
; %bb.94:
	s_or_b32 exec_lo, exec_lo, s3
	v_and_b32_e32 v5, 0x7f800000, v69
	s_delay_alu instid0(VALU_DEP_1) | instskip(SKIP_1) | instid1(SALU_CYCLE_1)
	v_cmp_ne_u32_e32 vcc_lo, 0x7f800000, v5
                                        ; implicit-def: $vgpr5
	s_and_saveexec_b32 s3, vcc_lo
	s_xor_b32 s3, exec_lo, s3
; %bb.95:
	v_bfe_u32 v5, v69, 16, 1
	s_delay_alu instid0(VALU_DEP_1)
	v_add3_u32 v5, v69, v5, 0x7fff
; %bb.96:
	s_and_not1_saveexec_b32 s3, s3
; %bb.97:
	v_and_b32_e32 v5, 0xffff, v69
	v_or_b32_e32 v6, 0x10000, v69
	s_delay_alu instid0(VALU_DEP_2) | instskip(NEXT) | instid1(VALU_DEP_2)
	v_cmp_eq_u32_e32 vcc_lo, 0, v5
	v_cndmask_b32_e32 v5, v6, v69, vcc_lo
; %bb.98:
	s_or_b32 exec_lo, exec_lo, s3
	v_and_b32_e32 v6, 0x7f800000, v70
	s_delay_alu instid0(VALU_DEP_1) | instskip(SKIP_1) | instid1(SALU_CYCLE_1)
	v_cmp_ne_u32_e32 vcc_lo, 0x7f800000, v6
                                        ; implicit-def: $vgpr6
	s_and_saveexec_b32 s3, vcc_lo
	s_xor_b32 s3, exec_lo, s3
; %bb.99:
	v_bfe_u32 v6, v70, 16, 1
	s_delay_alu instid0(VALU_DEP_1)
	v_add3_u32 v6, v70, v6, 0x7fff
; %bb.100:
	s_and_not1_saveexec_b32 s3, s3
; %bb.101:
	v_and_b32_e32 v6, 0xffff, v70
	v_or_b32_e32 v7, 0x10000, v70
	s_delay_alu instid0(VALU_DEP_2) | instskip(NEXT) | instid1(VALU_DEP_2)
	v_cmp_eq_u32_e32 vcc_lo, 0, v6
	v_cndmask_b32_e32 v6, v7, v70, vcc_lo
; %bb.102:
	s_or_b32 exec_lo, exec_lo, s3
	v_and_b32_e32 v7, 0x7f800000, v71
	s_delay_alu instid0(VALU_DEP_1) | instskip(SKIP_1) | instid1(SALU_CYCLE_1)
	v_cmp_ne_u32_e32 vcc_lo, 0x7f800000, v7
                                        ; implicit-def: $vgpr7
	s_and_saveexec_b32 s3, vcc_lo
	s_xor_b32 s3, exec_lo, s3
; %bb.103:
	v_bfe_u32 v7, v71, 16, 1
	s_delay_alu instid0(VALU_DEP_1)
	v_add3_u32 v7, v71, v7, 0x7fff
; %bb.104:
	s_and_not1_saveexec_b32 s3, s3
; %bb.105:
	v_and_b32_e32 v7, 0xffff, v71
	v_or_b32_e32 v8, 0x10000, v71
	s_delay_alu instid0(VALU_DEP_2) | instskip(NEXT) | instid1(VALU_DEP_2)
	v_cmp_eq_u32_e32 vcc_lo, 0, v7
	v_cndmask_b32_e32 v7, v8, v71, vcc_lo
; %bb.106:
	s_or_b32 exec_lo, exec_lo, s3
	v_and_b32_e32 v8, 0x7f800000, v72
	s_delay_alu instid0(VALU_DEP_1) | instskip(SKIP_1) | instid1(SALU_CYCLE_1)
	v_cmp_ne_u32_e32 vcc_lo, 0x7f800000, v8
                                        ; implicit-def: $vgpr8
	s_and_saveexec_b32 s3, vcc_lo
	s_xor_b32 s3, exec_lo, s3
; %bb.107:
	v_bfe_u32 v8, v72, 16, 1
	s_delay_alu instid0(VALU_DEP_1)
	v_add3_u32 v8, v72, v8, 0x7fff
                                        ; implicit-def: $vgpr65_vgpr66_vgpr67_vgpr68_vgpr69_vgpr70_vgpr71_vgpr72
; %bb.108:
	s_and_not1_saveexec_b32 s3, s3
; %bb.109:
	v_and_b32_e32 v8, 0xffff, v72
	v_or_b32_e32 v9, 0x10000, v72
	s_delay_alu instid0(VALU_DEP_2) | instskip(NEXT) | instid1(VALU_DEP_2)
	v_cmp_eq_u32_e32 vcc_lo, 0, v8
	v_cndmask_b32_e32 v8, v9, v72, vcc_lo
; %bb.110:
	s_or_b32 exec_lo, exec_lo, s3
	s_delay_alu instid0(VALU_DEP_1)
	v_perm_b32 v7, v8, v7, 0x7060302
	v_perm_b32 v6, v6, v5, 0x7060302
	;; [unrolled: 1-line block ×4, first 2 shown]
	s_barrier
	buffer_gl0_inv
	v_cmp_eq_u32_e32 vcc_lo, 1, v78
	ds_store_b128 v76, v[4:7]
	s_waitcnt lgkmcnt(0)
	s_barrier
	buffer_gl0_inv
	ds_load_b128 v[1:4], v82
	ds_load_b128 v[5:8], v82 offset:16
	v_cmp_eq_u32_e64 s3, 1, v79
	v_cmp_eq_u32_e64 s4, 2, v78
	v_cmp_eq_u32_e64 s5, 3, v78
	v_cmp_eq_u32_e64 s7, 2, v77
	v_cmp_eq_u32_e64 s6, 7, v79
	s_waitcnt lgkmcnt(1)
	v_lshrrev_b32_e32 v9, 16, v1
	s_waitcnt lgkmcnt(0)
	v_lshrrev_b32_e32 v13, 16, v5
	v_lshrrev_b32_e32 v10, 16, v2
	;; [unrolled: 1-line block ×4, first 2 shown]
	v_cndmask_b32_e64 v19, v1, v9, s3
	v_cndmask_b32_e32 v18, v5, v13, vcc_lo
	v_cndmask_b32_e64 v20, v5, v13, s3
	v_cndmask_b32_e32 v17, v1, v9, vcc_lo
	v_cmp_eq_u32_e32 vcc_lo, 2, v79
	v_lshrrev_b32_e32 v15, 16, v7
	v_cmp_eq_u32_e64 s3, 1, v77
	v_lshrrev_b32_e32 v12, 16, v4
	v_lshrrev_b32_e32 v16, 16, v8
	v_cndmask_b32_e32 v20, v20, v6, vcc_lo
	v_cndmask_b32_e64 v17, v17, v2, s4
	v_cndmask_b32_e32 v19, v19, v2, vcc_lo
	v_cndmask_b32_e64 v18, v18, v6, s4
	v_cmp_eq_u32_e32 vcc_lo, 4, v78
	v_cmp_eq_u32_e64 s4, 3, v79
	v_cndmask_b32_e64 v17, v17, v10, s5
	v_cndmask_b32_e64 v21, v1, v9, s3
	v_cndmask_b32_e64 v18, v18, v14, s5
	v_cndmask_b32_e64 v22, v5, v13, s3
	v_cndmask_b32_e64 v19, v19, v10, s4
	v_cndmask_b32_e32 v17, v17, v3, vcc_lo
	v_cndmask_b32_e64 v20, v20, v14, s4
	v_cndmask_b32_e32 v18, v18, v7, vcc_lo
	v_cmp_eq_u32_e32 vcc_lo, 4, v79
	v_cmp_eq_u32_e64 s4, 5, v79
	v_cmp_eq_u32_e64 s3, 2, v81
	v_cndmask_b32_e64 v21, v21, v2, s7
	v_cmp_eq_u32_e64 s5, 5, v78
	v_cndmask_b32_e32 v19, v19, v3, vcc_lo
	v_cndmask_b32_e32 v20, v20, v7, vcc_lo
	v_cmp_eq_u32_e32 vcc_lo, 6, v79
	s_delay_alu instid0(VALU_DEP_4) | instskip(NEXT) | instid1(VALU_DEP_4)
	v_cndmask_b32_e64 v17, v17, v11, s5
	v_cndmask_b32_e64 v19, v19, v11, s4
	s_delay_alu instid0(VALU_DEP_4) | instskip(SKIP_1) | instid1(VALU_DEP_3)
	v_cndmask_b32_e64 v20, v20, v15, s4
	v_cmp_eq_u32_e64 s4, 1, v81
	v_cndmask_b32_e32 v19, v19, v4, vcc_lo
	v_cndmask_b32_e64 v18, v18, v15, s5
	s_delay_alu instid0(VALU_DEP_3)
	v_cndmask_b32_e64 v1, v1, v9, s4
	v_cndmask_b32_e64 v5, v5, v13, s4
	v_cmp_eq_u32_e64 s4, 3, v77
	v_cndmask_b32_e64 v13, v22, v6, s7
	v_cmp_eq_u32_e64 s7, 3, v81
	v_cndmask_b32_e64 v1, v1, v2, s3
	v_cndmask_b32_e64 v2, v5, v6, s3
	;; [unrolled: 1-line block ×3, first 2 shown]
	v_cmp_eq_u32_e64 s3, 4, v77
	v_cndmask_b32_e64 v6, v13, v14, s4
	v_cndmask_b32_e64 v1, v1, v10, s7
	v_cmp_eq_u32_e64 s4, 4, v81
	v_cndmask_b32_e64 v2, v2, v14, s7
	v_cndmask_b32_e64 v5, v9, v3, s3
	;; [unrolled: 3-line block ×3, first 2 shown]
	v_cndmask_b32_e64 v2, v2, v7, s4
	v_cmp_eq_u32_e64 s3, 5, v81
	v_cmp_eq_u32_e64 s5, 6, v78
	v_cndmask_b32_e64 v5, v5, v11, s7
	v_cmp_eq_u32_e64 s4, 6, v77
	v_cndmask_b32_e64 v3, v6, v15, s7
	v_cndmask_b32_e64 v1, v1, v11, s3
	v_cmp_eq_u32_e64 s7, 6, v81
	v_cndmask_b32_e64 v2, v2, v15, s3
	v_cndmask_b32_e64 v17, v17, v4, s5
	v_cndmask_b32_e64 v18, v18, v8, s5
	v_cmp_eq_u32_e64 s5, 7, v78
	v_cndmask_b32_e64 v5, v5, v4, s4
	;; [unrolled: 4-line block ×3, first 2 shown]
	v_cmp_eq_u32_e64 s4, 7, v77
	v_cndmask_b32_e32 v4, v20, v8, vcc_lo
	v_cndmask_b32_e64 v17, v17, v12, s5
	v_cndmask_b32_e64 v19, v19, v12, s6
	v_cndmask_b32_e64 v1, v1, v12, s3
	v_cndmask_b32_e64 v5, v5, v12, s4
	v_cndmask_b32_e64 v2, v2, v16, s3
	v_cndmask_b32_e64 v3, v3, v16, s4
	v_cndmask_b32_e64 v6, v4, v16, s6
	v_cndmask_b32_e64 v7, v18, v16, s5
	v_cmp_gt_u32_e32 vcc_lo, 32, v0
	v_perm_b32 v4, v2, v1, 0x5040100
	v_perm_b32 v3, v3, v5, 0x5040100
	v_perm_b32 v2, v6, v19, 0x5040100
	v_perm_b32 v1, v7, v17, 0x5040100
	s_and_b32 s2, vcc_lo, s2
	ds_store_b128 v76, v[1:4]
	s_waitcnt lgkmcnt(0)
	s_barrier
	buffer_gl0_inv
	s_and_saveexec_b32 s3, s2
	s_cbranch_execz .LBB1471_2
; %bb.111:
	s_load_b64 s[0:1], s[0:1], 0x68
	s_lshl_b32 s4, s34, 6
	v_or_b32_e32 v3, s31, v74
	s_mul_i32 s2, s4, s30
	v_lshlrev_b32_e32 v0, 10, v0
	s_mul_i32 s2, s2, s8
	v_lshlrev_b32_e32 v1, 4, v75
	s_ashr_i32 s3, s2, 31
	v_mul_lo_u32 v12, v3, s4
	s_lshl_b64 s[2:3], s[2:3], 1
	v_lshlrev_b32_e32 v2, 6, v74
	v_and_b32_e32 v0, 0x3800, v0
	s_delay_alu instid0(VALU_DEP_1) | instskip(NEXT) | instid1(VALU_DEP_4)
	v_or3_b32 v8, v0, v1, v2
	v_ashrrev_i32_e32 v13, 31, v12
	ds_load_b128 v[0:3], v8
	ds_load_b128 v[4:7], v8 offset:128
	ds_load_b128 v[8:11], v8 offset:256
	s_waitcnt lgkmcnt(0)
	s_add_u32 s2, s0, s2
	s_addc_u32 s3, s1, s3
	s_lshl_b32 s0, s14, 6
	s_delay_alu instid0(SALU_CYCLE_1) | instskip(NEXT) | instid1(SALU_CYCLE_1)
	s_ashr_i32 s1, s0, 31
	s_lshl_b64 s[0:1], s[0:1], 1
	s_delay_alu instid0(SALU_CYCLE_1)
	s_add_u32 s0, s2, s0
	s_addc_u32 s1, s3, s1
	s_lshl_b32 s2, s34, 7
	v_add_co_u32 v18, s0, s0, v73
	v_add_nc_u32_e32 v14, s2, v12
	v_lshlrev_b64 v[12:13], 1, v[12:13]
	v_add_co_ci_u32_e64 v19, null, s1, 0, s0
	s_delay_alu instid0(VALU_DEP_3) | instskip(SKIP_1) | instid1(VALU_DEP_4)
	v_add_nc_u32_e32 v16, s2, v14
	v_ashrrev_i32_e32 v15, 31, v14
	v_add_co_u32 v12, vcc_lo, v18, v12
	s_delay_alu instid0(VALU_DEP_4) | instskip(NEXT) | instid1(VALU_DEP_4)
	v_add_co_ci_u32_e32 v13, vcc_lo, v19, v13, vcc_lo
	v_ashrrev_i32_e32 v17, 31, v16
	s_delay_alu instid0(VALU_DEP_4) | instskip(NEXT) | instid1(VALU_DEP_2)
	v_lshlrev_b64 v[14:15], 1, v[14:15]
	v_lshlrev_b64 v[16:17], 1, v[16:17]
	s_delay_alu instid0(VALU_DEP_2) | instskip(NEXT) | instid1(VALU_DEP_3)
	v_add_co_u32 v14, vcc_lo, v18, v14
	v_add_co_ci_u32_e32 v15, vcc_lo, v19, v15, vcc_lo
	s_delay_alu instid0(VALU_DEP_3) | instskip(NEXT) | instid1(VALU_DEP_4)
	v_add_co_u32 v16, vcc_lo, v18, v16
	v_add_co_ci_u32_e32 v17, vcc_lo, v19, v17, vcc_lo
	s_clause 0x2
	global_store_b128 v[12:13], v[0:3], off
	global_store_b128 v[14:15], v[4:7], off
	;; [unrolled: 1-line block ×3, first 2 shown]
	s_nop 0
	s_sendmsg sendmsg(MSG_DEALLOC_VGPRS)
	s_endpgm
	.section	.rodata,"a",@progbits
	.p2align	6, 0x0
	.amdhsa_kernel _Z39paged_attention_ll4mi_QKV_mfma16_kernelI14__hip_bfloat16hLN4vllm18Fp8KVCacheDataTypeE1ES0_Li32ELi64ELi256ELb1ELi6EL8MFMAType1EEvPKT_PKT0_S9_ifPKiSB_SB_iPKfiiiPfSE_PS4_PT2_iSD_SD_
		.amdhsa_group_segment_fixed_size 17472
		.amdhsa_private_segment_fixed_size 0
		.amdhsa_kernarg_size 400
		.amdhsa_user_sgpr_count 13
		.amdhsa_user_sgpr_dispatch_ptr 0
		.amdhsa_user_sgpr_queue_ptr 0
		.amdhsa_user_sgpr_kernarg_segment_ptr 1
		.amdhsa_user_sgpr_dispatch_id 0
		.amdhsa_user_sgpr_private_segment_size 0
		.amdhsa_wavefront_size32 1
		.amdhsa_uses_dynamic_stack 0
		.amdhsa_enable_private_segment 0
		.amdhsa_system_sgpr_workgroup_id_x 1
		.amdhsa_system_sgpr_workgroup_id_y 1
		.amdhsa_system_sgpr_workgroup_id_z 1
		.amdhsa_system_sgpr_workgroup_info 0
		.amdhsa_system_vgpr_workitem_id 0
		.amdhsa_next_free_vgpr 124
		.amdhsa_next_free_sgpr 40
		.amdhsa_reserve_vcc 1
		.amdhsa_float_round_mode_32 0
		.amdhsa_float_round_mode_16_64 0
		.amdhsa_float_denorm_mode_32 3
		.amdhsa_float_denorm_mode_16_64 3
		.amdhsa_dx10_clamp 1
		.amdhsa_ieee_mode 1
		.amdhsa_fp16_overflow 0
		.amdhsa_workgroup_processor_mode 1
		.amdhsa_memory_ordered 1
		.amdhsa_forward_progress 0
		.amdhsa_shared_vgpr_count 0
		.amdhsa_exception_fp_ieee_invalid_op 0
		.amdhsa_exception_fp_denorm_src 0
		.amdhsa_exception_fp_ieee_div_zero 0
		.amdhsa_exception_fp_ieee_overflow 0
		.amdhsa_exception_fp_ieee_underflow 0
		.amdhsa_exception_fp_ieee_inexact 0
		.amdhsa_exception_int_div_zero 0
	.end_amdhsa_kernel
	.section	.text._Z39paged_attention_ll4mi_QKV_mfma16_kernelI14__hip_bfloat16hLN4vllm18Fp8KVCacheDataTypeE1ES0_Li32ELi64ELi256ELb1ELi6EL8MFMAType1EEvPKT_PKT0_S9_ifPKiSB_SB_iPKfiiiPfSE_PS4_PT2_iSD_SD_,"axG",@progbits,_Z39paged_attention_ll4mi_QKV_mfma16_kernelI14__hip_bfloat16hLN4vllm18Fp8KVCacheDataTypeE1ES0_Li32ELi64ELi256ELb1ELi6EL8MFMAType1EEvPKT_PKT0_S9_ifPKiSB_SB_iPKfiiiPfSE_PS4_PT2_iSD_SD_,comdat
.Lfunc_end1471:
	.size	_Z39paged_attention_ll4mi_QKV_mfma16_kernelI14__hip_bfloat16hLN4vllm18Fp8KVCacheDataTypeE1ES0_Li32ELi64ELi256ELb1ELi6EL8MFMAType1EEvPKT_PKT0_S9_ifPKiSB_SB_iPKfiiiPfSE_PS4_PT2_iSD_SD_, .Lfunc_end1471-_Z39paged_attention_ll4mi_QKV_mfma16_kernelI14__hip_bfloat16hLN4vllm18Fp8KVCacheDataTypeE1ES0_Li32ELi64ELi256ELb1ELi6EL8MFMAType1EEvPKT_PKT0_S9_ifPKiSB_SB_iPKfiiiPfSE_PS4_PT2_iSD_SD_
                                        ; -- End function
	.section	.AMDGPU.csdata,"",@progbits
; Kernel info:
; codeLenInByte = 8760
; NumSgprs: 42
; NumVgprs: 124
; ScratchSize: 0
; MemoryBound: 0
; FloatMode: 240
; IeeeMode: 1
; LDSByteSize: 17472 bytes/workgroup (compile time only)
; SGPRBlocks: 5
; VGPRBlocks: 15
; NumSGPRsForWavesPerEU: 42
; NumVGPRsForWavesPerEU: 124
; Occupancy: 10
; WaveLimiterHint : 1
; COMPUTE_PGM_RSRC2:SCRATCH_EN: 0
; COMPUTE_PGM_RSRC2:USER_SGPR: 13
; COMPUTE_PGM_RSRC2:TRAP_HANDLER: 0
; COMPUTE_PGM_RSRC2:TGID_X_EN: 1
; COMPUTE_PGM_RSRC2:TGID_Y_EN: 1
; COMPUTE_PGM_RSRC2:TGID_Z_EN: 1
; COMPUTE_PGM_RSRC2:TIDIG_COMP_CNT: 0
	.section	.text._Z39paged_attention_ll4mi_QKV_mfma16_kernelI14__hip_bfloat16hLN4vllm18Fp8KVCacheDataTypeE1ES0_Li32ELi64ELi256ELb1ELi7EL8MFMAType1EEvPKT_PKT0_S9_ifPKiSB_SB_iPKfiiiPfSE_PS4_PT2_iSD_SD_,"axG",@progbits,_Z39paged_attention_ll4mi_QKV_mfma16_kernelI14__hip_bfloat16hLN4vllm18Fp8KVCacheDataTypeE1ES0_Li32ELi64ELi256ELb1ELi7EL8MFMAType1EEvPKT_PKT0_S9_ifPKiSB_SB_iPKfiiiPfSE_PS4_PT2_iSD_SD_,comdat
	.protected	_Z39paged_attention_ll4mi_QKV_mfma16_kernelI14__hip_bfloat16hLN4vllm18Fp8KVCacheDataTypeE1ES0_Li32ELi64ELi256ELb1ELi7EL8MFMAType1EEvPKT_PKT0_S9_ifPKiSB_SB_iPKfiiiPfSE_PS4_PT2_iSD_SD_ ; -- Begin function _Z39paged_attention_ll4mi_QKV_mfma16_kernelI14__hip_bfloat16hLN4vllm18Fp8KVCacheDataTypeE1ES0_Li32ELi64ELi256ELb1ELi7EL8MFMAType1EEvPKT_PKT0_S9_ifPKiSB_SB_iPKfiiiPfSE_PS4_PT2_iSD_SD_
	.globl	_Z39paged_attention_ll4mi_QKV_mfma16_kernelI14__hip_bfloat16hLN4vllm18Fp8KVCacheDataTypeE1ES0_Li32ELi64ELi256ELb1ELi7EL8MFMAType1EEvPKT_PKT0_S9_ifPKiSB_SB_iPKfiiiPfSE_PS4_PT2_iSD_SD_
	.p2align	8
	.type	_Z39paged_attention_ll4mi_QKV_mfma16_kernelI14__hip_bfloat16hLN4vllm18Fp8KVCacheDataTypeE1ES0_Li32ELi64ELi256ELb1ELi7EL8MFMAType1EEvPKT_PKT0_S9_ifPKiSB_SB_iPKfiiiPfSE_PS4_PT2_iSD_SD_,@function
_Z39paged_attention_ll4mi_QKV_mfma16_kernelI14__hip_bfloat16hLN4vllm18Fp8KVCacheDataTypeE1ES0_Li32ELi64ELi256ELb1ELi7EL8MFMAType1EEvPKT_PKT0_S9_ifPKiSB_SB_iPKfiiiPfSE_PS4_PT2_iSD_SD_: ; @_Z39paged_attention_ll4mi_QKV_mfma16_kernelI14__hip_bfloat16hLN4vllm18Fp8KVCacheDataTypeE1ES0_Li32ELi64ELi256ELb1ELi7EL8MFMAType1EEvPKT_PKT0_S9_ifPKiSB_SB_iPKfiiiPfSE_PS4_PT2_iSD_SD_
; %bb.0:
	s_load_b64 s[2:3], s[0:1], 0x30
	s_mov_b32 s34, s13
	s_waitcnt lgkmcnt(0)
	s_cmp_lg_u64 s[2:3], 0
	s_cselect_b32 s8, -1, 0
	s_ashr_i32 s35, s13, 31
	s_cmp_eq_u64 s[2:3], 0
	s_cbranch_scc1 .LBB1472_3
; %bb.1:
	s_lshl_b64 s[4:5], s[34:35], 2
	s_delay_alu instid0(SALU_CYCLE_1) | instskip(SKIP_4) | instid1(SALU_CYCLE_1)
	s_add_u32 s4, s2, s4
	s_addc_u32 s5, s3, s5
	s_load_b64 s[4:5], s[4:5], 0x0
	s_waitcnt lgkmcnt(0)
	s_sub_i32 s4, s5, s4
	s_cmp_eq_u32 s4, 1
	s_cselect_b32 s4, -1, 0
	s_delay_alu instid0(SALU_CYCLE_1)
	s_and_not1_b32 vcc_lo, exec_lo, s4
	s_cbranch_vccz .LBB1472_4
.LBB1472_2:
	s_nop 0
	s_sendmsg sendmsg(MSG_DEALLOC_VGPRS)
	s_endpgm
.LBB1472_3:
.LBB1472_4:
	s_load_b64 s[4:5], s[0:1], 0x28
	s_lshl_b64 s[6:7], s[34:35], 2
	s_waitcnt lgkmcnt(0)
	s_add_u32 s4, s4, s6
	s_addc_u32 s5, s5, s7
	s_lshl_b32 s12, s14, 8
	s_load_b32 s24, s[4:5], 0x0
	s_waitcnt lgkmcnt(0)
	s_cmp_ge_i32 s12, s24
	s_cbranch_scc1 .LBB1472_2
; %bb.5:
	s_clause 0x1
	s_load_b128 s[20:23], s[0:1], 0x8
	s_load_b64 s[4:5], s[0:1], 0x20
	s_and_not1_b32 vcc_lo, exec_lo, s8
	s_cbranch_vccnz .LBB1472_7
; %bb.6:
	s_add_u32 s2, s2, s6
	s_addc_u32 s3, s3, s7
	s_load_b32 s3, s[2:3], 0x0
	s_branch .LBB1472_8
.LBB1472_7:
	s_mov_b32 s3, s34
.LBB1472_8:
	s_load_b128 s[16:19], s[0:1], 0x48
	v_lshrrev_b32_e32 v66, 5, v0
	v_bfe_u32 v74, v0, 4, 1
	v_and_b32_e32 v65, 15, v0
	v_and_b32_e32 v67, 31, v0
	;; [unrolled: 1-line block ×3, first 2 shown]
	s_mul_i32 s31, s15, 7
	v_lshl_or_b32 v1, v66, 1, v74
	v_lshlrev_b32_e32 v2, 3, v65
	v_cmp_gt_u32_e64 s2, 8, v65
	s_delay_alu instid0(VALU_DEP_3) | instskip(NEXT) | instid1(VALU_DEP_3)
	v_cmp_gt_u32_e32 vcc_lo, 7, v1
	v_lshlrev_b32_e32 v73, 1, v2
	s_delay_alu instid0(VALU_DEP_3) | instskip(NEXT) | instid1(SALU_CYCLE_1)
	s_and_b32 s7, s2, vcc_lo
	s_and_saveexec_b32 s6, s7
	s_cbranch_execz .LBB1472_10
; %bb.9:
	s_load_b64 s[8:9], s[0:1], 0x0
	v_add_lshl_u32 v2, v1, s31, 6
	s_waitcnt lgkmcnt(0)
	s_mul_hi_i32 s11, s3, s16
	s_mul_i32 s10, s3, s16
	v_lshlrev_b32_e32 v6, 10, v65
	s_lshl_b64 s[10:11], s[10:11], 1
	v_ashrrev_i32_e32 v3, 31, v2
	v_lshlrev_b32_e32 v1, 6, v1
	v_lshlrev_b32_e32 v7, 10, v75
	v_and_b32_e32 v6, 0x3800, v6
	s_delay_alu instid0(VALU_DEP_4) | instskip(NEXT) | instid1(VALU_DEP_2)
	v_lshlrev_b64 v[2:3], 1, v[2:3]
	v_or3_b32 v1, v6, v7, v1
	s_add_u32 s3, s8, s10
	s_addc_u32 s7, s9, s11
	s_delay_alu instid0(VALU_DEP_2) | instskip(NEXT) | instid1(VALU_DEP_3)
	v_add_co_u32 v2, vcc_lo, s3, v2
	v_add_co_ci_u32_e32 v3, vcc_lo, s7, v3, vcc_lo
	s_delay_alu instid0(VALU_DEP_2) | instskip(NEXT) | instid1(VALU_DEP_2)
	v_add_co_u32 v2, vcc_lo, v2, v73
	v_add_co_ci_u32_e32 v3, vcc_lo, 0, v3, vcc_lo
	global_load_b128 v[2:5], v[2:3], off
	s_waitcnt vmcnt(0)
	ds_store_b128 v1, v[2:5]
.LBB1472_10:
	s_or_b32 exec_lo, exec_lo, s6
	v_and_b32_e32 v1, 0xef, v0
	s_waitcnt lgkmcnt(0)
	s_add_i32 s3, s24, 31
	s_clause 0x1
	s_load_b32 s6, s[0:1], 0x38
	s_load_b32 s19, s[0:1], 0x1c
	s_ashr_i32 s7, s3, 31
	v_add_nc_u32_e32 v1, s12, v1
	s_lshr_b32 s7, s7, 27
	s_waitcnt lgkmcnt(0)
	s_add_i32 s3, s3, s7
	s_barrier
	v_ashrrev_i32_e32 v2, 31, v1
	v_or_b32_e32 v3, 16, v1
	s_ashr_i32 s3, s3, 5
	v_cmp_gt_i32_e32 vcc_lo, s24, v1
	s_add_i32 s3, s3, -1
	v_lshrrev_b32_e32 v2, 27, v2
	buffer_gl0_inv
	s_mul_i32 s27, s15, s18
	v_add_nc_u32_e32 v4, v1, v2
	s_mul_i32 s6, s34, s6
	s_delay_alu instid0(SALU_CYCLE_1) | instskip(NEXT) | instid1(VALU_DEP_1)
	s_ashr_i32 s7, s6, 31
	v_ashrrev_i32_e32 v4, 5, v4
	v_add_nc_u32_e32 v2, v3, v2
	s_lshl_b64 s[6:7], s[6:7], 2
	s_delay_alu instid0(SALU_CYCLE_1) | instskip(NEXT) | instid1(VALU_DEP_2)
	s_add_u32 s26, s4, s6
	v_cndmask_b32_e32 v1, s3, v4, vcc_lo
	s_delay_alu instid0(VALU_DEP_2)
	v_ashrrev_i32_e32 v2, 5, v2
	v_cmp_gt_i32_e32 vcc_lo, s24, v3
	s_addc_u32 s25, s5, s7
	s_ashr_i32 s28, s27, 31
	s_add_u32 s4, s20, s27
	s_addc_u32 s5, s21, s28
	v_cndmask_b32_e32 v3, s3, v2, vcc_lo
	v_ashrrev_i32_e32 v2, 31, v1
	s_lshl_b32 s6, s14, 3
	s_delay_alu instid0(SALU_CYCLE_1) | instskip(NEXT) | instid1(VALU_DEP_2)
	s_ashr_i32 s7, s6, 31
	v_ashrrev_i32_e32 v4, 31, v3
	s_delay_alu instid0(VALU_DEP_2) | instskip(SKIP_1) | instid1(SALU_CYCLE_1)
	v_lshlrev_b64 v[1:2], 2, v[1:2]
	s_lshl_b64 s[6:7], s[6:7], 2
	s_add_u32 s6, s26, s6
	s_delay_alu instid0(VALU_DEP_2) | instskip(SKIP_1) | instid1(VALU_DEP_2)
	v_lshlrev_b64 v[3:4], 2, v[3:4]
	s_addc_u32 s7, s25, s7
	v_add_co_u32 v1, vcc_lo, s26, v1
	v_add_co_ci_u32_e32 v2, vcc_lo, s25, v2, vcc_lo
	s_delay_alu instid0(VALU_DEP_3) | instskip(NEXT) | instid1(VALU_DEP_4)
	v_add_co_u32 v3, vcc_lo, s26, v3
	v_add_co_ci_u32_e32 v4, vcc_lo, s25, v4, vcc_lo
	s_clause 0x1
	global_load_b32 v5, v[1:2], off
	global_load_b32 v6, v[3:4], off
	s_or_b32 s8, s12, 32
	s_delay_alu instid0(SALU_CYCLE_1) | instskip(SKIP_2) | instid1(SALU_CYCLE_1)
	s_ashr_i32 s9, s8, 5
	s_cmp_lt_i32 s8, s24
	s_cselect_b32 s8, s9, s3
	s_ashr_i32 s9, s8, 31
	s_delay_alu instid0(SALU_CYCLE_1) | instskip(NEXT) | instid1(SALU_CYCLE_1)
	s_lshl_b64 s[8:9], s[8:9], 2
	s_add_u32 s8, s26, s8
	s_addc_u32 s9, s25, s9
	s_or_b32 s10, s12, 64
	s_delay_alu instid0(SALU_CYCLE_1) | instskip(SKIP_2) | instid1(SALU_CYCLE_1)
	s_ashr_i32 s11, s10, 5
	s_cmp_lt_i32 s10, s24
	s_cselect_b32 s10, s11, s3
	s_ashr_i32 s11, s10, 31
	s_delay_alu instid0(SALU_CYCLE_1) | instskip(NEXT) | instid1(SALU_CYCLE_1)
	s_lshl_b64 s[10:11], s[10:11], 2
	s_add_u32 s10, s26, s10
	s_addc_u32 s11, s25, s11
	;; [unrolled: 10-line block ×5, first 2 shown]
	s_clause 0x5
	s_load_b32 s21, s[6:7], 0x0
	s_load_b32 s13, s[8:9], 0x0
	;; [unrolled: 1-line block ×6, first 2 shown]
	s_or_b32 s9, s12, 0xc0
	s_delay_alu instid0(SALU_CYCLE_1) | instskip(SKIP_2) | instid1(SALU_CYCLE_1)
	s_ashr_i32 s10, s9, 5
	s_cmp_lt_i32 s9, s24
	s_cselect_b32 s36, s10, s3
	s_ashr_i32 s37, s36, 31
	s_delay_alu instid0(SALU_CYCLE_1) | instskip(NEXT) | instid1(SALU_CYCLE_1)
	s_lshl_b64 s[36:37], s[36:37], 2
	s_add_u32 s36, s26, s36
	s_addc_u32 s37, s25, s37
	s_or_b32 s29, s12, 0xe0
	s_delay_alu instid0(SALU_CYCLE_1)
	s_ashr_i32 s30, s29, 5
	s_cmp_lt_i32 s29, s24
	s_waitcnt vmcnt(1)
	v_mad_i64_i32 v[1:2], null, v5, s17, s[4:5]
	s_waitcnt vmcnt(0)
	v_mad_i64_i32 v[3:4], null, v6, s17, s[4:5]
	s_mov_b32 s4, 0
	s_delay_alu instid0(SALU_CYCLE_1)
	s_mov_b32 s5, s4
	s_mov_b32 s6, s4
	;; [unrolled: 1-line block ×7, first 2 shown]
	v_lshlrev_b32_e32 v5, 4, v65
	v_dual_mov_b32 v107, s11 :: v_dual_mov_b32 v102, s6
	v_mov_b32_e32 v106, s10
	v_mov_b32_e32 v104, s8
	s_delay_alu instid0(VALU_DEP_4)
	v_add_co_u32 v1, vcc_lo, v1, v5
	v_add_co_ci_u32_e32 v2, vcc_lo, 0, v2, vcc_lo
	v_add_co_u32 v3, vcc_lo, v3, v5
	v_add_co_ci_u32_e32 v4, vcc_lo, 0, v4, vcc_lo
	s_clause 0x7
	global_load_b128 v[49:52], v[1:2], off
	global_load_b128 v[53:56], v[1:2], off offset:512
	global_load_b128 v[76:79], v[3:4], off offset:256
	global_load_b128 v[80:83], v[3:4], off offset:768
	global_load_b128 v[84:87], v[1:2], off offset:1024
	global_load_b128 v[88:91], v[1:2], off offset:1536
	global_load_b128 v[92:95], v[3:4], off offset:1280
	global_load_b128 v[96:99], v[3:4], off offset:1792
	v_mul_lo_u16 v1, v65, 37
	v_mov_b32_e32 v103, s7
	v_dual_mov_b32 v101, s5 :: v_dual_lshlrev_b32 v2, 5, v65
	v_mov_b32_e32 v100, s4
	s_delay_alu instid0(VALU_DEP_4) | instskip(NEXT) | instid1(VALU_DEP_3)
	v_lshrrev_b16 v1, 8, v1
	v_lshl_or_b32 v2, v66, 9, v2
	s_delay_alu instid0(VALU_DEP_2) | instskip(NEXT) | instid1(VALU_DEP_1)
	v_mul_lo_u16 v1, v1, 7
	v_sub_nc_u16 v1, v65, v1
	s_delay_alu instid0(VALU_DEP_1)
	v_and_b32_e32 v1, 0xff, v1
	v_mov_b32_e32 v105, s9
	s_cselect_b32 s4, s30, s3
	s_load_b32 s3, s[36:37], 0x0
	s_ashr_i32 s5, s4, 31
	v_lshlrev_b32_e32 v70, 6, v1
	s_lshl_b64 s[4:5], s[4:5], 2
	ds_load_b128 v[108:111], v70
	ds_load_b128 v[112:115], v70 offset:1024
	s_add_u32 s4, s26, s4
	s_addc_u32 s5, s25, s5
	s_add_u32 s6, s22, s27
	s_load_b32 s4, s[4:5], 0x0
	s_addc_u32 s7, s23, s28
	v_add_co_u32 v9, s6, s6, v2
	s_delay_alu instid0(VALU_DEP_1) | instskip(SKIP_1) | instid1(VALU_DEP_1)
	v_add_co_ci_u32_e64 v10, null, s7, 0, s6
	s_waitcnt lgkmcnt(0)
	v_mad_i64_i32 v[1:2], null, s21, s17, v[9:10]
	v_mad_i64_i32 v[3:4], null, s13, s17, v[9:10]
	;; [unrolled: 1-line block ×7, first 2 shown]
	s_clause 0x9
	global_load_b128 v[57:60], v[1:2], off
	global_load_b128 v[61:64], v[1:2], off offset:16
	global_load_b128 v[41:44], v[3:4], off
	global_load_b128 v[45:48], v[3:4], off offset:16
	;; [unrolled: 2-line block ×5, first 2 shown]
	v_mad_i64_i32 v[68:69], null, s4, s17, v[9:10]
	s_clause 0x3
	global_load_b128 v[9:12], v[13:14], off
	global_load_b128 v[13:16], v[13:14], off offset:16
	global_load_b128 v[17:20], v[21:22], off
	global_load_b128 v[21:24], v[21:22], off offset:16
	s_waitcnt vmcnt(20)
	v_wmma_f32_16x16x16_bf16 v[116:123], v[49:56], v[108:115], v[100:107]
	s_clause 0x1
	global_load_b128 v[49:52], v[68:69], off
	global_load_b128 v[53:56], v[68:69], off offset:16
	v_and_b32_e32 v68, 0xe0, v0
	v_mbcnt_lo_u32_b32 v69, -1, 0
	s_delay_alu instid0(VALU_DEP_2)
	v_add_nc_u32_e32 v68, s12, v68
	s_waitcnt vmcnt(20)
	v_wmma_f32_16x16x16_bf16 v[100:107], v[76:83], v[108:115], v[100:107]
	ds_load_b128 v[76:79], v70 offset:2048
	ds_load_b128 v[80:83], v70 offset:3072
	v_xor_b32_e32 v70, 16, v69
	s_waitcnt vmcnt(0) lgkmcnt(0)
	v_or_b32_e32 v68, v68, v74
	s_barrier
	buffer_gl0_inv
	v_cmp_gt_i32_e32 vcc_lo, 32, v70
	v_or_b32_e32 v71, 4, v68
	v_or_b32_e32 v72, 6, v68
	v_cmp_gt_i32_e64 s3, s24, v68
	v_or_b32_e32 v108, 8, v68
	v_or_b32_e32 v109, 10, v68
	v_cmp_gt_i32_e64 s4, s24, v71
	v_cmp_gt_i32_e64 s5, s24, v72
	s_delay_alu instid0(VALU_DEP_4) | instskip(NEXT) | instid1(VALU_DEP_4)
	v_cmp_gt_i32_e64 s6, s24, v108
	v_cmp_gt_i32_e64 s7, s24, v109
	v_wmma_f32_16x16x16_bf16 v[116:123], v[84:91], v[76:83], v[116:123]
	v_cndmask_b32_e32 v69, v69, v70, vcc_lo
	v_or_b32_e32 v70, 2, v68
	v_wmma_f32_16x16x16_bf16 v[100:107], v[92:99], v[76:83], v[100:107]
	v_or_b32_e32 v84, 12, v68
	v_dual_mul_f32 v78, s19, v123 :: v_dual_mul_f32 v83, s19, v118
	v_dual_mul_f32 v92, s19, v117 :: v_dual_mul_f32 v93, s19, v116
	s_delay_alu instid0(VALU_DEP_4) | instskip(SKIP_2) | instid1(VALU_DEP_4)
	v_mul_f32_e32 v94, s19, v107
	v_cmp_gt_i32_e32 vcc_lo, s24, v70
	v_dual_mul_f32 v81, s19, v120 :: v_dual_mul_f32 v82, s19, v119
	v_cndmask_b32_e64 v93, 0xff7fffff, v93, s3
	v_or_b32_e32 v85, 14, v68
	v_cndmask_b32_e32 v92, 0xff7fffff, v92, vcc_lo
	v_dual_mul_f32 v79, s19, v122 :: v_dual_mul_f32 v80, s19, v121
	v_cndmask_b32_e64 v71, 0xff7fffff, v83, s4
	v_cndmask_b32_e64 v72, 0xff7fffff, v82, s5
	s_delay_alu instid0(VALU_DEP_4)
	v_max3_f32 v82, v93, 0xff7fffff, v92
	v_or_b32_e32 v86, 16, v68
	v_or_b32_e32 v87, 18, v68
	v_cndmask_b32_e64 v81, 0xff7fffff, v81, s6
	v_cndmask_b32_e64 v80, 0xff7fffff, v80, s7
	v_max3_f32 v71, v82, v71, v72
	v_cmp_gt_i32_e64 s8, s24, v84
	v_cmp_gt_i32_e64 s9, s24, v85
	v_or_b32_e32 v88, 20, v68
	v_or_b32_e32 v89, 22, v68
	v_or_b32_e32 v90, 24, v68
	v_or_b32_e32 v91, 26, v68
	v_or_b32_e32 v76, 28, v68
	v_or_b32_e32 v77, 30, v68
	v_dual_mul_f32 v99, s19, v102 :: v_dual_mul_f32 v70, s19, v101
	v_mul_f32_e32 v68, s19, v100
	v_cndmask_b32_e64 v72, 0xff7fffff, v79, s8
	v_cndmask_b32_e64 v78, 0xff7fffff, v78, s9
	v_max3_f32 v71, v71, v81, v80
	v_cmp_gt_i32_e64 s10, s24, v86
	v_cmp_gt_i32_e64 s11, s24, v87
	v_dual_mul_f32 v97, s19, v104 :: v_dual_mul_f32 v98, s19, v103
	s_delay_alu instid0(VALU_DEP_4) | instskip(SKIP_1) | instid1(VALU_DEP_4)
	v_max3_f32 v71, v71, v72, v78
	v_cmp_gt_i32_e64 s12, s24, v88
	v_cndmask_b32_e64 v70, 0xff7fffff, v70, s11
	v_cmp_gt_i32_e64 s13, s24, v89
	v_lshlrev_b32_e32 v89, 2, v69
	v_cndmask_b32_e64 v68, 0xff7fffff, v68, s10
	v_dual_mul_f32 v95, s19, v106 :: v_dual_mul_f32 v96, s19, v105
	v_cndmask_b32_e64 v72, 0xff7fffff, v99, s12
	v_cndmask_b32_e64 v78, 0xff7fffff, v98, s13
	s_delay_alu instid0(VALU_DEP_4)
	v_max3_f32 v68, v71, v68, v70
	v_cmp_gt_i32_e64 s15, s24, v90
	v_cmp_gt_i32_e64 s16, s24, v91
	;; [unrolled: 1-line block ×4, first 2 shown]
	v_max3_f32 v68, v68, v72, v78
	v_cndmask_b32_e64 v70, 0xff7fffff, v97, s15
	v_cndmask_b32_e64 v71, 0xff7fffff, v96, s16
	;; [unrolled: 1-line block ×4, first 2 shown]
	s_delay_alu instid0(VALU_DEP_3) | instskip(NEXT) | instid1(VALU_DEP_1)
	v_max3_f32 v68, v68, v70, v71
	v_max3_f32 v68, v68, v72, v76
	ds_bpermute_b32 v69, v89, v68
	s_waitcnt lgkmcnt(0)
	v_max_f32_e32 v69, v69, v69
	s_delay_alu instid0(VALU_DEP_1) | instskip(NEXT) | instid1(VALU_DEP_1)
	v_max_f32_e32 v68, v68, v69
	v_fma_f32 v71, s19, v118, -v68
	s_delay_alu instid0(VALU_DEP_1)
	v_mul_f32_e32 v71, 0x3fb8aa3b, v71
	v_fma_f32 v69, s19, v116, -v68
	v_fma_f32 v70, s19, v117, -v68
	;; [unrolled: 1-line block ×4, first 2 shown]
	v_exp_f32_e32 v71, v71
	s_delay_alu instid0(VALU_DEP_3) | instskip(SKIP_2) | instid1(VALU_DEP_3)
	v_dual_mul_f32 v69, 0x3fb8aa3b, v69 :: v_dual_mul_f32 v70, 0x3fb8aa3b, v70
	v_fma_f32 v78, s19, v122, -v68
	v_fma_f32 v81, s19, v105, -v68
	v_exp_f32_e32 v69, v69
	s_delay_alu instid0(VALU_DEP_3) | instskip(SKIP_1) | instid1(VALU_DEP_2)
	v_exp_f32_e32 v70, v70
	v_mul_f32_e32 v77, 0x3fb8aa3b, v76
	v_mul_f32_e32 v81, 0x3fb8aa3b, v81
	s_delay_alu instid0(TRANS32_DEP_3) | instskip(SKIP_1) | instid1(VALU_DEP_3)
	v_cndmask_b32_e64 v83, 0, v71, s4
	v_fma_f32 v71, s19, v123, -v68
	v_exp_f32_e32 v81, v81
	s_delay_alu instid0(TRANS32_DEP_3) | instskip(NEXT) | instid1(TRANS32_DEP_2)
	v_cndmask_b32_e64 v80, 0, v69, s3
	v_cndmask_b32_e32 v76, 0, v70, vcc_lo
	v_fma_f32 v69, s19, v121, -v68
	v_mul_f32_e32 v72, 0x3fb8aa3b, v72
	v_exp_f32_e32 v77, v77
	v_dual_add_f32 v70, 0, v80 :: v_dual_mul_f32 v71, 0x3fb8aa3b, v71
	s_delay_alu instid0(VALU_DEP_3) | instskip(NEXT) | instid1(VALU_DEP_3)
	v_mul_f32_e32 v69, 0x3fb8aa3b, v69
	v_exp_f32_e32 v72, v72
	v_cmp_gt_u32_e64 s3, 16, v67
	s_delay_alu instid0(VALU_DEP_3) | instskip(NEXT) | instid1(VALU_DEP_2)
	v_exp_f32_e32 v71, v71
	v_exp_f32_e32 v69, v69
	v_cndmask_b32_e64 v86, 0, v77, s6
	v_fma_f32 v77, s19, v101, -v68
	v_add_f32_e32 v70, v70, v76
	s_delay_alu instid0(TRANS32_DEP_3) | instskip(SKIP_1) | instid1(VALU_DEP_3)
	v_cndmask_b32_e64 v85, 0, v72, s5
	v_fma_f32 v72, s19, v100, -v68
	v_dual_mul_f32 v77, 0x3fb8aa3b, v77 :: v_dual_add_f32 v70, v70, v83
	s_delay_alu instid0(TRANS32_DEP_2) | instskip(SKIP_1) | instid1(TRANS32_DEP_1)
	v_cndmask_b32_e64 v88, 0, v71, s9
	v_fma_f32 v71, s19, v104, -v68
	v_cndmask_b32_e64 v87, 0, v69, s7
	s_delay_alu instid0(VALU_DEP_4) | instskip(NEXT) | instid1(VALU_DEP_2)
	v_exp_f32_e32 v77, v77
	v_dual_add_f32 v70, v70, v85 :: v_dual_mul_f32 v71, 0x3fb8aa3b, v71
	s_delay_alu instid0(VALU_DEP_1) | instskip(SKIP_2) | instid1(VALU_DEP_3)
	v_dual_mul_f32 v72, 0x3fb8aa3b, v72 :: v_dual_add_f32 v69, v70, v86
	v_mul_f32_e32 v78, 0x3fb8aa3b, v78
	v_fma_f32 v70, s19, v102, -v68
	v_exp_f32_e32 v72, v72
	v_exp_f32_e32 v82, v71
	v_add_f32_e32 v69, v69, v87
	v_exp_f32_e32 v78, v78
	v_mul_f32_e32 v70, 0x3fb8aa3b, v70
	s_delay_alu instid0(VALU_DEP_1) | instskip(SKIP_4) | instid1(VALU_DEP_2)
	v_exp_f32_e32 v79, v70
	v_cndmask_b32_e64 v70, 0, v72, s10
	s_waitcnt_depctr 0xfff
	v_cndmask_b32_e64 v84, 0, v78, s8
	v_fma_f32 v78, s19, v103, -v68
	v_add_f32_e32 v69, v69, v84
	v_cndmask_b32_e64 v71, 0, v79, s12
	s_delay_alu instid0(VALU_DEP_2) | instskip(SKIP_2) | instid1(VALU_DEP_1)
	v_add_f32_e32 v72, v69, v88
	v_cndmask_b32_e64 v69, 0, v77, s11
	v_fma_f32 v77, s19, v106, -v68
	v_dual_mul_f32 v77, 0x3fb8aa3b, v77 :: v_dual_add_f32 v72, v72, v70
	v_mul_f32_e32 v78, 0x3fb8aa3b, v78
	s_delay_alu instid0(VALU_DEP_2) | instskip(NEXT) | instid1(VALU_DEP_2)
	v_exp_f32_e32 v90, v77
	v_add_f32_e32 v79, v72, v69
	s_delay_alu instid0(VALU_DEP_2)
	v_exp_f32_e32 v78, v78
	v_cndmask_b32_e64 v77, 0, v82, s15
	s_waitcnt_depctr 0xfff
	v_cndmask_b32_e64 v72, 0, v78, s13
	v_add_f32_e32 v78, v79, v71
	v_fma_f32 v79, s19, v107, -v68
	s_delay_alu instid0(VALU_DEP_1) | instskip(SKIP_1) | instid1(VALU_DEP_2)
	v_dual_add_f32 v82, v78, v72 :: v_dual_mul_f32 v79, 0x3fb8aa3b, v79
	v_cndmask_b32_e64 v78, 0, v81, s16
	v_add_f32_e32 v81, v82, v77
	s_delay_alu instid0(VALU_DEP_3) | instskip(SKIP_1) | instid1(VALU_DEP_2)
	v_exp_f32_e32 v82, v79
	v_cndmask_b32_e64 v79, 0, v90, s17
	v_add_f32_e32 v81, v81, v78
	s_delay_alu instid0(VALU_DEP_1) | instskip(SKIP_2) | instid1(VALU_DEP_1)
	v_add_f32_e32 v90, v81, v79
	s_waitcnt_depctr 0xfff
	v_cndmask_b32_e64 v81, 0, v82, s18
	v_add_f32_e32 v82, v90, v81
	ds_bpermute_b32 v89, v89, v82
	s_and_saveexec_b32 s4, s3
	s_cbranch_execz .LBB1472_12
; %bb.11:
	v_mul_u32_u24_e32 v67, 0x44, v66
	s_delay_alu instid0(VALU_DEP_1) | instskip(SKIP_1) | instid1(VALU_DEP_1)
	v_lshl_add_u32 v67, v65, 2, v67
	s_waitcnt lgkmcnt(0)
	v_dual_add_f32 v82, v82, v89 :: v_dual_add_nc_u32 v67, 0x4000, v67
	ds_store_2addr_b32 v67, v68, v82 offset1:136
.LBB1472_12:
	s_or_b32 exec_lo, exec_lo, s4
	v_lshlrev_b32_e32 v67, 2, v65
	s_waitcnt lgkmcnt(0)
	s_barrier
	buffer_gl0_inv
	v_cmp_eq_u32_e32 vcc_lo, 1, v66
	v_add_nc_u32_e32 v82, 0x4000, v67
	v_cmp_eq_u32_e64 s4, 2, v66
	v_cmp_eq_u32_e64 s6, 7, v66
	ds_load_2addr_b32 v[89:90], v82 offset1:17
	ds_load_2addr_b32 v[91:92], v82 offset0:34 offset1:51
	ds_load_2addr_b32 v[93:94], v82 offset0:68 offset1:85
	;; [unrolled: 1-line block ×4, first 2 shown]
	s_waitcnt lgkmcnt(4)
	v_max3_f32 v67, v89, 0xff7fffff, v90
	s_waitcnt lgkmcnt(3)
	s_delay_alu instid0(VALU_DEP_1) | instskip(SKIP_1) | instid1(VALU_DEP_1)
	v_max3_f32 v67, v67, v91, v92
	s_waitcnt lgkmcnt(2)
	v_max3_f32 v67, v67, v93, v94
	s_waitcnt lgkmcnt(1)
	s_delay_alu instid0(VALU_DEP_1) | instskip(NEXT) | instid1(VALU_DEP_1)
	v_max3_f32 v67, v67, v95, v96
	v_sub_f32_e32 v93, v93, v67
	s_delay_alu instid0(VALU_DEP_1) | instskip(NEXT) | instid1(VALU_DEP_1)
	v_dual_sub_f32 v68, v89, v67 :: v_dual_mul_f32 v103, 0x3fb8aa3b, v93
	v_mul_f32_e32 v68, 0x3fb8aa3b, v68
	s_delay_alu instid0(VALU_DEP_1)
	v_exp_f32_e32 v100, v68
	v_sub_f32_e32 v68, v92, v67
	v_sub_f32_e32 v99, v90, v67
	ds_load_2addr_b32 v[89:90], v82 offset0:170 offset1:187
	v_dual_mul_f32 v102, 0x3fb8aa3b, v68 :: v_dual_mul_f32 v99, 0x3fb8aa3b, v99
	s_waitcnt lgkmcnt(1)
	v_fma_f32 v68, v100, v97, 0
	s_delay_alu instid0(VALU_DEP_2) | instskip(NEXT) | instid1(VALU_DEP_2)
	v_exp_f32_e32 v102, v102
	v_exp_f32_e32 v99, v99
	s_waitcnt_depctr 0xfff
	v_fmac_f32_e32 v68, v99, v98
	v_sub_f32_e32 v91, v91, v67
	s_delay_alu instid0(VALU_DEP_1)
	v_mul_f32_e32 v101, 0x3fb8aa3b, v91
	ds_load_2addr_b32 v[91:92], v82 offset0:204 offset1:221
	v_sub_f32_e32 v97, v94, v67
	ds_load_2addr_b32 v[93:94], v82 offset0:238 offset1:255
	s_waitcnt lgkmcnt(0)
	v_exp_f32_e32 v101, v101
	s_barrier
	buffer_gl0_inv
	v_dual_fmac_f32 v68, v101, v89 :: v_dual_sub_f32 v89, v96, v67
	v_dual_sub_f32 v82, v95, v67 :: v_dual_mul_f32 v95, 0x3fb8aa3b, v97
	v_exp_f32_e32 v97, v103
	s_delay_alu instid0(VALU_DEP_2) | instskip(NEXT) | instid1(VALU_DEP_2)
	v_dual_fmac_f32 v68, v102, v90 :: v_dual_mul_f32 v89, 0x3fb8aa3b, v89
	v_mul_f32_e32 v82, 0x3fb8aa3b, v82
	s_delay_alu instid0(VALU_DEP_3) | instskip(NEXT) | instid1(VALU_DEP_2)
	v_exp_f32_e32 v95, v95
	v_exp_f32_e32 v89, v89
	s_delay_alu instid0(VALU_DEP_1)
	v_exp_f32_e32 v82, v82
	v_fmac_f32_e32 v68, v97, v91
	s_delay_alu instid0(TRANS32_DEP_3) | instid1(VALU_DEP_1)
	v_fmac_f32_e32 v68, v95, v92
	s_waitcnt_depctr 0xfff
	v_fmac_f32_e32 v68, v82, v93
	s_delay_alu instid0(VALU_DEP_1) | instskip(NEXT) | instid1(VALU_DEP_1)
	v_fmac_f32_e32 v68, v89, v94
	v_add_f32_e32 v90, 0x358637bd, v68
	s_delay_alu instid0(VALU_DEP_1) | instskip(NEXT) | instid1(VALU_DEP_1)
	v_div_scale_f32 v91, null, v90, v90, 1.0
	v_rcp_f32_e32 v92, v91
	s_waitcnt_depctr 0xfff
	v_fma_f32 v93, -v91, v92, 1.0
	s_delay_alu instid0(VALU_DEP_1) | instskip(SKIP_1) | instid1(VALU_DEP_2)
	v_dual_fmac_f32 v92, v93, v92 :: v_dual_cndmask_b32 v93, v100, v99
	v_cmp_eq_u32_e32 vcc_lo, 3, v66
	v_cndmask_b32_e64 v93, v93, v101, s4
	v_cmp_eq_u32_e64 s4, 4, v66
	s_delay_alu instid0(VALU_DEP_2) | instskip(SKIP_1) | instid1(VALU_DEP_2)
	v_cndmask_b32_e32 v93, v93, v102, vcc_lo
	v_cmp_eq_u32_e32 vcc_lo, 5, v66
	v_cndmask_b32_e64 v93, v93, v97, s4
	v_cmp_eq_u32_e64 s4, 6, v66
	s_delay_alu instid0(VALU_DEP_2) | instskip(SKIP_1) | instid1(VALU_DEP_1)
	v_cndmask_b32_e32 v93, v93, v95, vcc_lo
	v_div_scale_f32 v94, s5, 1.0, v90, 1.0
	s_mov_b32 vcc_lo, s5
	s_delay_alu instid0(VALU_DEP_2) | instskip(NEXT) | instid1(VALU_DEP_2)
	v_cndmask_b32_e64 v82, v93, v82, s4
	v_mul_f32_e32 v96, v94, v92
	s_mov_b32 s4, exec_lo
	s_delay_alu instid0(VALU_DEP_2) | instskip(NEXT) | instid1(VALU_DEP_2)
	v_cndmask_b32_e64 v82, v82, v89, s6
	v_fma_f32 v98, -v91, v96, v94
	s_delay_alu instid0(VALU_DEP_1) | instskip(NEXT) | instid1(VALU_DEP_1)
	v_fmac_f32_e32 v96, v98, v92
	v_fma_f32 v91, -v91, v96, v94
	s_delay_alu instid0(VALU_DEP_1) | instskip(NEXT) | instid1(VALU_DEP_1)
	v_div_fmas_f32 v91, v91, v92, v96
	v_div_fixup_f32 v90, v91, v90, 1.0
	s_delay_alu instid0(VALU_DEP_1) | instskip(NEXT) | instid1(VALU_DEP_1)
	v_mul_f32_e32 v82, v82, v90
	v_mul_f32_e32 v87, v82, v87
	;; [unrolled: 1-line block ×7, first 2 shown]
	v_dual_mul_f32 v86, v82, v83 :: v_dual_and_b32 v91, 0x7f800000, v90
	v_mul_f32_e32 v85, v82, v76
                                        ; implicit-def: $vgpr76
	s_delay_alu instid0(VALU_DEP_2)
	v_cmpx_ne_u32_e32 0x7f800000, v91
	s_xor_b32 s4, exec_lo, s4
; %bb.13:
	v_bfe_u32 v76, v90, 16, 1
	s_delay_alu instid0(VALU_DEP_1)
	v_add3_u32 v76, v90, v76, 0x7fff
                                        ; implicit-def: $vgpr90
; %bb.14:
	s_and_not1_saveexec_b32 s4, s4
; %bb.15:
	v_and_b32_e32 v76, 0xffff, v90
	v_or_b32_e32 v83, 0x10000, v90
	s_delay_alu instid0(VALU_DEP_2) | instskip(NEXT) | instid1(VALU_DEP_2)
	v_cmp_eq_u32_e32 vcc_lo, 0, v76
	v_cndmask_b32_e32 v76, v83, v90, vcc_lo
; %bb.16:
	s_or_b32 exec_lo, exec_lo, s4
	v_and_b32_e32 v83, 0x7f800000, v85
	s_delay_alu instid0(VALU_DEP_1) | instskip(SKIP_1) | instid1(SALU_CYCLE_1)
	v_cmp_ne_u32_e32 vcc_lo, 0x7f800000, v83
                                        ; implicit-def: $vgpr83
	s_and_saveexec_b32 s4, vcc_lo
	s_xor_b32 s4, exec_lo, s4
; %bb.17:
	v_bfe_u32 v83, v85, 16, 1
	s_delay_alu instid0(VALU_DEP_1)
	v_add3_u32 v83, v85, v83, 0x7fff
                                        ; implicit-def: $vgpr85
; %bb.18:
	s_and_not1_saveexec_b32 s4, s4
; %bb.19:
	v_and_b32_e32 v83, 0xffff, v85
	v_or_b32_e32 v90, 0x10000, v85
	s_delay_alu instid0(VALU_DEP_2) | instskip(NEXT) | instid1(VALU_DEP_2)
	v_cmp_eq_u32_e32 vcc_lo, 0, v83
	v_cndmask_b32_e32 v83, v90, v85, vcc_lo
; %bb.20:
	s_or_b32 exec_lo, exec_lo, s4
	v_and_b32_e32 v85, 0x7f800000, v86
	s_delay_alu instid0(VALU_DEP_1) | instskip(SKIP_1) | instid1(SALU_CYCLE_1)
	v_cmp_ne_u32_e32 vcc_lo, 0x7f800000, v85
                                        ; implicit-def: $vgpr85
	s_and_saveexec_b32 s4, vcc_lo
	s_xor_b32 s4, exec_lo, s4
; %bb.21:
	v_bfe_u32 v85, v86, 16, 1
	s_delay_alu instid0(VALU_DEP_1)
	v_add3_u32 v85, v86, v85, 0x7fff
                                        ; implicit-def: $vgpr86
; %bb.22:
	s_and_not1_saveexec_b32 s4, s4
; %bb.23:
	v_and_b32_e32 v85, 0xffff, v86
	v_or_b32_e32 v90, 0x10000, v86
	s_delay_alu instid0(VALU_DEP_2) | instskip(NEXT) | instid1(VALU_DEP_2)
	v_cmp_eq_u32_e32 vcc_lo, 0, v85
	v_cndmask_b32_e32 v85, v90, v86, vcc_lo
; %bb.24:
	s_or_b32 exec_lo, exec_lo, s4
	v_and_b32_e32 v86, 0x7f800000, v89
	s_delay_alu instid0(VALU_DEP_1) | instskip(SKIP_1) | instid1(SALU_CYCLE_1)
	v_cmp_ne_u32_e32 vcc_lo, 0x7f800000, v86
                                        ; implicit-def: $vgpr86
	s_and_saveexec_b32 s4, vcc_lo
	s_xor_b32 s4, exec_lo, s4
; %bb.25:
	v_bfe_u32 v86, v89, 16, 1
	s_delay_alu instid0(VALU_DEP_1)
	v_add3_u32 v86, v89, v86, 0x7fff
                                        ; implicit-def: $vgpr89
; %bb.26:
	s_and_not1_saveexec_b32 s4, s4
; %bb.27:
	v_and_b32_e32 v86, 0xffff, v89
	v_or_b32_e32 v90, 0x10000, v89
	s_delay_alu instid0(VALU_DEP_2) | instskip(NEXT) | instid1(VALU_DEP_2)
	v_cmp_eq_u32_e32 vcc_lo, 0, v86
	v_cndmask_b32_e32 v86, v90, v89, vcc_lo
; %bb.28:
	s_or_b32 exec_lo, exec_lo, s4
	v_and_b32_e32 v89, 0x7f800000, v88
	s_delay_alu instid0(VALU_DEP_1) | instskip(SKIP_1) | instid1(SALU_CYCLE_1)
	v_cmp_ne_u32_e32 vcc_lo, 0x7f800000, v89
                                        ; implicit-def: $vgpr89
	s_and_saveexec_b32 s4, vcc_lo
	s_xor_b32 s4, exec_lo, s4
; %bb.29:
	v_bfe_u32 v89, v88, 16, 1
	s_delay_alu instid0(VALU_DEP_1)
	v_add3_u32 v89, v88, v89, 0x7fff
                                        ; implicit-def: $vgpr88
; %bb.30:
	s_and_not1_saveexec_b32 s4, s4
; %bb.31:
	v_and_b32_e32 v89, 0xffff, v88
	v_or_b32_e32 v90, 0x10000, v88
	s_delay_alu instid0(VALU_DEP_2) | instskip(NEXT) | instid1(VALU_DEP_2)
	v_cmp_eq_u32_e32 vcc_lo, 0, v89
	v_cndmask_b32_e32 v89, v90, v88, vcc_lo
; %bb.32:
	s_or_b32 exec_lo, exec_lo, s4
	v_and_b32_e32 v88, 0x7f800000, v87
	s_delay_alu instid0(VALU_DEP_1) | instskip(SKIP_1) | instid1(SALU_CYCLE_1)
	v_cmp_ne_u32_e32 vcc_lo, 0x7f800000, v88
                                        ; implicit-def: $vgpr88
	s_and_saveexec_b32 s4, vcc_lo
	s_xor_b32 s4, exec_lo, s4
; %bb.33:
	v_bfe_u32 v88, v87, 16, 1
	s_delay_alu instid0(VALU_DEP_1)
	v_add3_u32 v88, v87, v88, 0x7fff
                                        ; implicit-def: $vgpr87
; %bb.34:
	s_and_not1_saveexec_b32 s4, s4
; %bb.35:
	v_and_b32_e32 v88, 0xffff, v87
	v_or_b32_e32 v90, 0x10000, v87
	s_delay_alu instid0(VALU_DEP_2) | instskip(NEXT) | instid1(VALU_DEP_2)
	v_cmp_eq_u32_e32 vcc_lo, 0, v88
	v_cndmask_b32_e32 v88, v90, v87, vcc_lo
; %bb.36:
	s_or_b32 exec_lo, exec_lo, s4
	v_and_b32_e32 v87, 0x7f800000, v84
	s_delay_alu instid0(VALU_DEP_1) | instskip(SKIP_1) | instid1(SALU_CYCLE_1)
	v_cmp_ne_u32_e32 vcc_lo, 0x7f800000, v87
                                        ; implicit-def: $vgpr87
	s_and_saveexec_b32 s4, vcc_lo
	s_xor_b32 s4, exec_lo, s4
; %bb.37:
	v_bfe_u32 v87, v84, 16, 1
	s_delay_alu instid0(VALU_DEP_1)
	v_add3_u32 v87, v84, v87, 0x7fff
                                        ; implicit-def: $vgpr84
; %bb.38:
	s_and_not1_saveexec_b32 s4, s4
; %bb.39:
	v_and_b32_e32 v87, 0xffff, v84
	v_or_b32_e32 v90, 0x10000, v84
	s_delay_alu instid0(VALU_DEP_2) | instskip(NEXT) | instid1(VALU_DEP_2)
	v_cmp_eq_u32_e32 vcc_lo, 0, v87
	v_cndmask_b32_e32 v87, v90, v84, vcc_lo
; %bb.40:
	s_or_b32 exec_lo, exec_lo, s4
	v_and_b32_e32 v84, 0x7f800000, v80
	s_delay_alu instid0(VALU_DEP_1) | instskip(SKIP_1) | instid1(SALU_CYCLE_1)
	v_cmp_ne_u32_e32 vcc_lo, 0x7f800000, v84
                                        ; implicit-def: $vgpr84
	s_and_saveexec_b32 s4, vcc_lo
	s_xor_b32 s4, exec_lo, s4
; %bb.41:
	v_bfe_u32 v84, v80, 16, 1
	s_delay_alu instid0(VALU_DEP_1)
	v_add3_u32 v84, v80, v84, 0x7fff
                                        ; implicit-def: $vgpr80
; %bb.42:
	s_and_not1_saveexec_b32 s4, s4
; %bb.43:
	v_and_b32_e32 v84, 0xffff, v80
	v_or_b32_e32 v90, 0x10000, v80
	s_delay_alu instid0(VALU_DEP_2) | instskip(NEXT) | instid1(VALU_DEP_2)
	v_cmp_eq_u32_e32 vcc_lo, 0, v84
	v_cndmask_b32_e32 v84, v90, v80, vcc_lo
; %bb.44:
	s_or_b32 exec_lo, exec_lo, s4
	s_load_b64 s[36:37], s[0:1], 0x94
	v_lshlrev_b32_e32 v91, 4, v74
	s_delay_alu instid0(VALU_DEP_2)
	v_perm_b32 v90, v84, v87, 0x7060302
	v_dual_mul_f32 v79, v82, v79 :: v_dual_lshlrev_b32 v80, 6, v65
	v_dual_mul_f32 v77, v82, v77 :: v_dual_lshlrev_b32 v92, 11, v66
	v_mul_f32_e32 v84, v82, v70
	v_perm_b32 v89, v88, v89, 0x7060302
	v_perm_b32 v88, v86, v85, 0x7060302
	;; [unrolled: 1-line block ×3, first 2 shown]
	v_mul_f32_e32 v70, v82, v81
	v_or3_b32 v76, v91, v92, v80
	v_dual_mul_f32 v78, v82, v78 :: v_dual_and_b32 v85, 0x7f800000, v84
	v_mul_f32_e32 v83, v82, v72
	v_mul_f32_e32 v81, v82, v71
	;; [unrolled: 1-line block ×3, first 2 shown]
	s_mov_b32 s4, exec_lo
	ds_store_b128 v76, v[87:90]
                                        ; implicit-def: $vgpr69
	v_cmpx_ne_u32_e32 0x7f800000, v85
	s_xor_b32 s4, exec_lo, s4
; %bb.45:
	v_bfe_u32 v69, v84, 16, 1
	s_delay_alu instid0(VALU_DEP_1)
	v_add3_u32 v69, v84, v69, 0x7fff
                                        ; implicit-def: $vgpr84
; %bb.46:
	s_and_not1_saveexec_b32 s4, s4
; %bb.47:
	v_and_b32_e32 v69, 0xffff, v84
	v_or_b32_e32 v71, 0x10000, v84
	s_delay_alu instid0(VALU_DEP_2) | instskip(NEXT) | instid1(VALU_DEP_2)
	v_cmp_eq_u32_e32 vcc_lo, 0, v69
	v_cndmask_b32_e32 v69, v71, v84, vcc_lo
; %bb.48:
	s_or_b32 exec_lo, exec_lo, s4
	v_and_b32_e32 v71, 0x7f800000, v72
	s_delay_alu instid0(VALU_DEP_1) | instskip(SKIP_1) | instid1(SALU_CYCLE_1)
	v_cmp_ne_u32_e32 vcc_lo, 0x7f800000, v71
                                        ; implicit-def: $vgpr71
	s_and_saveexec_b32 s4, vcc_lo
	s_xor_b32 s4, exec_lo, s4
; %bb.49:
	v_bfe_u32 v71, v72, 16, 1
	s_delay_alu instid0(VALU_DEP_1)
	v_add3_u32 v71, v72, v71, 0x7fff
                                        ; implicit-def: $vgpr72
; %bb.50:
	s_and_not1_saveexec_b32 s4, s4
; %bb.51:
	v_and_b32_e32 v71, 0xffff, v72
	v_or_b32_e32 v82, 0x10000, v72
	s_delay_alu instid0(VALU_DEP_2) | instskip(NEXT) | instid1(VALU_DEP_2)
	v_cmp_eq_u32_e32 vcc_lo, 0, v71
	v_cndmask_b32_e32 v71, v82, v72, vcc_lo
; %bb.52:
	s_or_b32 exec_lo, exec_lo, s4
	v_and_b32_e32 v72, 0x7f800000, v81
	s_delay_alu instid0(VALU_DEP_1) | instskip(SKIP_1) | instid1(SALU_CYCLE_1)
	v_cmp_ne_u32_e32 vcc_lo, 0x7f800000, v72
                                        ; implicit-def: $vgpr72
	s_and_saveexec_b32 s4, vcc_lo
	s_xor_b32 s4, exec_lo, s4
; %bb.53:
	v_bfe_u32 v72, v81, 16, 1
	s_delay_alu instid0(VALU_DEP_1)
	v_add3_u32 v72, v81, v72, 0x7fff
                                        ; implicit-def: $vgpr81
; %bb.54:
	s_and_not1_saveexec_b32 s4, s4
; %bb.55:
	v_and_b32_e32 v72, 0xffff, v81
	v_or_b32_e32 v82, 0x10000, v81
	s_delay_alu instid0(VALU_DEP_2) | instskip(NEXT) | instid1(VALU_DEP_2)
	v_cmp_eq_u32_e32 vcc_lo, 0, v72
	v_cndmask_b32_e32 v72, v82, v81, vcc_lo
; %bb.56:
	s_or_b32 exec_lo, exec_lo, s4
	v_and_b32_e32 v81, 0x7f800000, v83
	s_delay_alu instid0(VALU_DEP_1) | instskip(SKIP_1) | instid1(SALU_CYCLE_1)
	v_cmp_ne_u32_e32 vcc_lo, 0x7f800000, v81
                                        ; implicit-def: $vgpr81
	s_and_saveexec_b32 s4, vcc_lo
	s_xor_b32 s4, exec_lo, s4
; %bb.57:
	v_bfe_u32 v81, v83, 16, 1
	s_delay_alu instid0(VALU_DEP_1)
	v_add3_u32 v81, v83, v81, 0x7fff
                                        ; implicit-def: $vgpr83
; %bb.58:
	s_and_not1_saveexec_b32 s4, s4
; %bb.59:
	v_and_b32_e32 v81, 0xffff, v83
	v_or_b32_e32 v82, 0x10000, v83
	s_delay_alu instid0(VALU_DEP_2) | instskip(NEXT) | instid1(VALU_DEP_2)
	v_cmp_eq_u32_e32 vcc_lo, 0, v81
	v_cndmask_b32_e32 v81, v82, v83, vcc_lo
; %bb.60:
	s_or_b32 exec_lo, exec_lo, s4
	v_and_b32_e32 v82, 0x7f800000, v77
	s_delay_alu instid0(VALU_DEP_1) | instskip(SKIP_1) | instid1(SALU_CYCLE_1)
	v_cmp_ne_u32_e32 vcc_lo, 0x7f800000, v82
                                        ; implicit-def: $vgpr82
	s_and_saveexec_b32 s4, vcc_lo
	s_xor_b32 s4, exec_lo, s4
; %bb.61:
	v_bfe_u32 v82, v77, 16, 1
	s_delay_alu instid0(VALU_DEP_1)
	v_add3_u32 v82, v77, v82, 0x7fff
                                        ; implicit-def: $vgpr77
; %bb.62:
	s_and_not1_saveexec_b32 s4, s4
; %bb.63:
	v_and_b32_e32 v82, 0xffff, v77
	v_or_b32_e32 v83, 0x10000, v77
	s_delay_alu instid0(VALU_DEP_2) | instskip(NEXT) | instid1(VALU_DEP_2)
	v_cmp_eq_u32_e32 vcc_lo, 0, v82
	v_cndmask_b32_e32 v82, v83, v77, vcc_lo
; %bb.64:
	s_or_b32 exec_lo, exec_lo, s4
	v_and_b32_e32 v77, 0x7f800000, v78
	s_delay_alu instid0(VALU_DEP_1) | instskip(SKIP_1) | instid1(SALU_CYCLE_1)
	v_cmp_ne_u32_e32 vcc_lo, 0x7f800000, v77
                                        ; implicit-def: $vgpr77
	s_and_saveexec_b32 s4, vcc_lo
	s_xor_b32 s4, exec_lo, s4
; %bb.65:
	v_bfe_u32 v77, v78, 16, 1
	s_delay_alu instid0(VALU_DEP_1)
	v_add3_u32 v77, v78, v77, 0x7fff
                                        ; implicit-def: $vgpr78
; %bb.66:
	s_and_not1_saveexec_b32 s4, s4
; %bb.67:
	v_and_b32_e32 v77, 0xffff, v78
	v_or_b32_e32 v83, 0x10000, v78
	s_delay_alu instid0(VALU_DEP_2) | instskip(NEXT) | instid1(VALU_DEP_2)
	v_cmp_eq_u32_e32 vcc_lo, 0, v77
	v_cndmask_b32_e32 v77, v83, v78, vcc_lo
; %bb.68:
	s_or_b32 exec_lo, exec_lo, s4
	v_and_b32_e32 v78, 0x7f800000, v79
	s_delay_alu instid0(VALU_DEP_1) | instskip(SKIP_1) | instid1(SALU_CYCLE_1)
	v_cmp_ne_u32_e32 vcc_lo, 0x7f800000, v78
                                        ; implicit-def: $vgpr78
	s_and_saveexec_b32 s4, vcc_lo
	s_xor_b32 s4, exec_lo, s4
; %bb.69:
	v_bfe_u32 v78, v79, 16, 1
	s_delay_alu instid0(VALU_DEP_1)
	v_add3_u32 v78, v79, v78, 0x7fff
                                        ; implicit-def: $vgpr79
; %bb.70:
	s_and_not1_saveexec_b32 s4, s4
; %bb.71:
	v_and_b32_e32 v78, 0xffff, v79
	v_or_b32_e32 v83, 0x10000, v79
	s_delay_alu instid0(VALU_DEP_2) | instskip(NEXT) | instid1(VALU_DEP_2)
	v_cmp_eq_u32_e32 vcc_lo, 0, v78
	v_cndmask_b32_e32 v78, v83, v79, vcc_lo
; %bb.72:
	s_or_b32 exec_lo, exec_lo, s4
	v_and_b32_e32 v79, 0x7f800000, v70
	s_delay_alu instid0(VALU_DEP_1) | instskip(SKIP_1) | instid1(SALU_CYCLE_1)
	v_cmp_ne_u32_e32 vcc_lo, 0x7f800000, v79
                                        ; implicit-def: $vgpr79
	s_and_saveexec_b32 s4, vcc_lo
	s_xor_b32 s4, exec_lo, s4
; %bb.73:
	v_bfe_u32 v79, v70, 16, 1
	s_delay_alu instid0(VALU_DEP_1)
	v_add3_u32 v79, v70, v79, 0x7fff
                                        ; implicit-def: $vgpr70
; %bb.74:
	s_and_not1_saveexec_b32 s4, s4
; %bb.75:
	v_and_b32_e32 v79, 0xffff, v70
	v_or_b32_e32 v83, 0x10000, v70
	s_delay_alu instid0(VALU_DEP_2) | instskip(NEXT) | instid1(VALU_DEP_2)
	v_cmp_eq_u32_e32 vcc_lo, 0, v79
	v_cndmask_b32_e32 v79, v83, v70, vcc_lo
; %bb.76:
	s_or_b32 exec_lo, exec_lo, s4
	s_delay_alu instid0(VALU_DEP_1)
	v_perm_b32 v86, v79, v78, 0x7060302
	v_perm_b32 v85, v77, v82, 0x7060302
	;; [unrolled: 1-line block ×4, first 2 shown]
	v_lshl_or_b32 v82, v66, 11, v80
	ds_store_b128 v76, v[83:86] offset:1024
	s_waitcnt lgkmcnt(0)
	s_barrier
	buffer_gl0_inv
	ds_load_b128 v[69:72], v82
	ds_load_b128 v[83:86], v82 offset:16
	s_waitcnt lgkmcnt(1)
	v_lshrrev_b32_e32 v66, 16, v69
	s_waitcnt lgkmcnt(0)
	v_lshrrev_b32_e32 v91, 16, v83
	v_lshlrev_b32_e32 v78, 2, v74
	v_lshrrev_b32_e32 v95, 16, v70
	v_lshrrev_b32_e32 v98, 16, v84
	;; [unrolled: 1-line block ×4, first 2 shown]
	v_cmp_eq_u32_e32 vcc_lo, 1, v78
	v_lshrrev_b32_e32 v97, 16, v72
	v_lshrrev_b32_e32 v100, 16, v86
	v_cndmask_b32_e32 v87, v83, v91, vcc_lo
	v_or_b32_e32 v79, 1, v78
	v_cndmask_b32_e32 v81, v69, v66, vcc_lo
	v_cmp_eq_u32_e64 s5, 2, v78
	v_cmp_eq_u32_e64 s8, 3, v78
	;; [unrolled: 1-line block ×5, first 2 shown]
	v_cndmask_b32_e64 v81, v81, v70, s5
	v_cndmask_b32_e64 v87, v87, v84, s5
	v_cmp_eq_u32_e64 s9, 3, v79
	v_cndmask_b32_e64 v88, v69, v66, s4
	v_or_b32_e32 v77, 2, v78
	v_cndmask_b32_e64 v81, v81, v95, s8
	v_cndmask_b32_e64 v87, v87, v98, s8
	;; [unrolled: 1-line block ×4, first 2 shown]
	v_cmp_eq_u32_e64 s11, 5, v78
	v_cndmask_b32_e64 v81, v81, v71, s10
	v_cndmask_b32_e64 v87, v87, v85, s10
	v_cmp_eq_u32_e64 s12, 4, v79
	v_cndmask_b32_e64 v88, v88, v95, s9
	v_cmp_eq_u32_e64 s6, 1, v77
	v_cndmask_b32_e64 v89, v89, v84, s7
	v_cndmask_b32_e64 v81, v81, v96, s11
	v_cmp_eq_u32_e64 s13, 6, v78
	v_cndmask_b32_e64 v88, v88, v71, s12
	;; [unrolled: 3-line block ×3, first 2 shown]
	v_cndmask_b32_e64 v89, v89, v98, s9
	v_cndmask_b32_e64 v81, v81, v72, s13
	v_cmp_eq_u32_e64 s16, 7, v78
	v_cndmask_b32_e64 v88, v88, v96, s15
	v_cndmask_b32_e64 v87, v87, v86, s13
	v_cmp_eq_u32_e64 s17, 6, v79
	v_cmp_eq_u32_e64 s18, 2, v77
	v_cndmask_b32_e64 v89, v89, v85, s12
	v_cndmask_b32_e64 v101, v81, v97, s16
	;; [unrolled: 1-line block ×6, first 2 shown]
	v_cmp_eq_u32_e64 s19, 7, v79
	v_cmp_eq_u32_e64 s20, 3, v77
	;; [unrolled: 1-line block ×4, first 2 shown]
	v_cndmask_b32_e64 v87, v87, v84, s18
	v_cndmask_b32_e64 v103, v88, v97, s19
	;; [unrolled: 1-line block ×4, first 2 shown]
	v_or_b32_e32 v81, 3, v78
	v_cndmask_b32_e64 v93, v87, v98, s20
	v_cmp_eq_u32_e64 s25, 6, v77
	v_cndmask_b32_e64 v104, v88, v86, s17
	v_cndmask_b32_e64 v92, v89, v71, s21
	v_cmp_eq_u32_e64 s22, 1, v81
	ds_load_b128 v[87:90], v82 offset:1024
	v_cmp_eq_u32_e64 s24, 2, v81
	v_cmp_eq_u32_e64 s26, 3, v81
	v_cndmask_b32_e64 v105, v92, v96, s23
	v_cndmask_b32_e64 v66, v69, v66, s22
	;; [unrolled: 1-line block ×4, first 2 shown]
	ds_load_b128 v[91:94], v82 offset:1040
	v_cmp_eq_u32_e64 s27, 4, v81
	v_cndmask_b32_e64 v66, v66, v70, s24
	v_cmp_eq_u32_e64 s28, 7, v77
	v_cndmask_b32_e64 v70, v83, v84, s24
	v_cndmask_b32_e64 v84, v105, v72, s25
	v_cmp_eq_u32_e64 s29, 5, v81
	v_cndmask_b32_e64 v66, v66, v95, s26
	v_cmp_eq_u32_e64 s30, 6, v81
	v_cndmask_b32_e64 v70, v70, v98, s26
	v_cndmask_b32_e64 v69, v69, v99, s23
	;; [unrolled: 1-line block ×4, first 2 shown]
	s_waitcnt lgkmcnt(1)
	v_lshrrev_b32_e32 v95, 16, v87
	v_cndmask_b32_e64 v70, v70, v85, s27
	v_cndmask_b32_e64 v71, v84, v97, s28
	;; [unrolled: 1-line block ×4, first 2 shown]
	v_cndmask_b32_e32 v84, v87, v95, vcc_lo
	v_cndmask_b32_e64 v70, v70, v99, s29
	s_waitcnt lgkmcnt(0)
	v_lshrrev_b32_e32 v85, 16, v91
	v_lshrrev_b32_e32 v96, 16, v88
	v_cndmask_b32_e64 v98, v87, v95, s4
	v_cndmask_b32_e64 v84, v84, v88, s5
	;; [unrolled: 1-line block ×3, first 2 shown]
	v_cndmask_b32_e32 v99, v91, v85, vcc_lo
	v_cmp_eq_u32_e32 vcc_lo, 7, v81
	v_cndmask_b32_e64 v66, v66, v72, s30
	v_cndmask_b32_e64 v72, v84, v96, s8
	v_cndmask_b32_e64 v84, v98, v88, s7
	v_lshrrev_b32_e32 v98, 16, v92
	v_cndmask_b32_e32 v70, v70, v100, vcc_lo
	v_cndmask_b32_e64 v86, v99, v92, s5
	v_cndmask_b32_e64 v69, v69, v100, s28
	v_lshrrev_b32_e32 v100, 16, v93
	v_cndmask_b32_e64 v72, v72, v89, s10
	v_lshrrev_b32_e32 v99, 16, v89
	v_cndmask_b32_e64 v86, v86, v98, s8
	v_perm_b32 v71, v69, v71, 0x5040100
	v_cndmask_b32_e64 v84, v84, v96, s9
	s_delay_alu instid0(VALU_DEP_3) | instskip(NEXT) | instid1(VALU_DEP_2)
	v_cndmask_b32_e64 v86, v86, v93, s10
	v_cndmask_b32_e64 v84, v84, v89, s12
	s_delay_alu instid0(VALU_DEP_2) | instskip(NEXT) | instid1(VALU_DEP_1)
	v_cndmask_b32_e64 v86, v86, v100, s11
	v_cndmask_b32_e64 v69, v86, v94, s13
	;; [unrolled: 1-line block ×5, first 2 shown]
	s_delay_alu instid0(VALU_DEP_3) | instskip(NEXT) | instid1(VALU_DEP_3)
	v_cndmask_b32_e64 v86, v86, v88, s18
	v_cndmask_b32_e64 v87, v87, v88, s24
	s_delay_alu instid0(VALU_DEP_3) | instskip(NEXT) | instid1(VALU_DEP_3)
	v_cndmask_b32_e64 v88, v95, v92, s24
	v_cndmask_b32_e64 v86, v86, v96, s20
	;; [unrolled: 3-line block ×7, first 2 shown]
	s_delay_alu instid0(VALU_DEP_3) | instskip(SKIP_2) | instid1(VALU_DEP_2)
	v_cndmask_b32_e64 v88, v88, v94, s30
	v_cndmask_b32_e32 v66, v66, v97, vcc_lo
	v_cndmask_b32_e64 v97, v72, v99, s11
	v_perm_b32 v72, v70, v66, 0x5040100
	v_perm_b32 v70, v83, v103, 0x5040100
	v_cndmask_b32_e64 v103, v91, v85, s6
	v_cndmask_b32_e64 v85, v91, v85, s4
	;; [unrolled: 1-line block ×4, first 2 shown]
	v_lshrrev_b32_e32 v97, 16, v90
	v_cndmask_b32_e64 v91, v103, v92, s18
	v_cndmask_b32_e64 v85, v85, v92, s7
	v_cndmask_b32_e64 v66, v66, v90, s17
	s_mov_b32 s4, exec_lo
	v_cndmask_b32_e64 v83, v84, v97, s16
	v_cndmask_b32_e64 v91, v91, v98, s20
	;; [unrolled: 1-line block ×3, first 2 shown]
	v_lshrrev_b32_e32 v84, 16, v94
	v_cndmask_b32_e64 v66, v66, v97, s19
	v_cndmask_b32_e64 v90, v86, v97, s28
	;; [unrolled: 1-line block ×4, first 2 shown]
	v_dual_cndmask_b32 v86, v87, v97 :: v_dual_cndmask_b32 v87, v88, v84
	v_cndmask_b32_e64 v91, v69, v84, s16
	s_delay_alu instid0(VALU_DEP_4) | instskip(NEXT) | instid1(VALU_DEP_4)
	v_cndmask_b32_e64 v89, v89, v100, s23
	v_cndmask_b32_e64 v85, v85, v100, s15
	v_perm_b32 v69, v102, v101, 0x5040100
	v_perm_b32 v86, v87, v86, 0x5040100
	v_perm_b32 v83, v91, v83, 0x5040100
	v_cndmask_b32_e64 v89, v89, v94, s25
	v_cndmask_b32_e64 v85, v85, v94, s17
	s_mul_i32 s9, s37, 7
	s_delay_alu instid0(VALU_DEP_2) | instskip(NEXT) | instid1(VALU_DEP_2)
	v_cndmask_b32_e64 v88, v89, v84, s28
	v_cndmask_b32_e64 v89, v85, v84, s19
	s_delay_alu instid0(VALU_DEP_2) | instskip(NEXT) | instid1(VALU_DEP_2)
	v_perm_b32 v85, v88, v90, 0x5040100
	v_perm_b32 v84, v89, v66, 0x5040100
	ds_store_b128 v76, v[69:72]
	ds_store_b128 v76, v[83:86] offset:1024
	v_cmpx_gt_u32_e32 7, v0
	s_cbranch_execz .LBB1472_78
; %bb.77:
	s_mul_i32 s5, s9, s34
	s_load_b128 s[16:19], s[0:1], 0x58
	v_add3_u32 v69, s5, s31, v65
	s_delay_alu instid0(VALU_DEP_1) | instskip(NEXT) | instid1(VALU_DEP_1)
	v_mad_u64_u32 v[65:66], null, v69, s36, s[14:15]
	v_ashrrev_i32_e32 v66, 31, v65
	s_delay_alu instid0(VALU_DEP_1) | instskip(SKIP_1) | instid1(VALU_DEP_1)
	v_lshlrev_b64 v[65:66], 2, v[65:66]
	s_waitcnt lgkmcnt(0)
	v_add_co_u32 v69, vcc_lo, s18, v65
	s_delay_alu instid0(VALU_DEP_2)
	v_add_co_ci_u32_e32 v70, vcc_lo, s19, v66, vcc_lo
	v_add_co_u32 v65, vcc_lo, s16, v65
	v_add_co_ci_u32_e32 v66, vcc_lo, s17, v66, vcc_lo
	global_store_b32 v[69:70], v67, off
	global_store_b32 v[65:66], v68, off
.LBB1472_78:
	s_or_b32 exec_lo, exec_lo, s4
	s_waitcnt lgkmcnt(0)
	s_waitcnt_vscnt null, 0x0
	s_barrier
	buffer_gl0_inv
	ds_load_b128 v[83:86], v80
	ds_load_b128 v[87:90], v80 offset:16
	ds_load_b128 v[95:98], v80 offset:2064
	;; [unrolled: 1-line block ×3, first 2 shown]
	v_mov_b32_e32 v65, 0
	ds_load_b128 v[103:106], v80 offset:4112
	ds_load_b128 v[99:102], v80 offset:4096
	;; [unrolled: 1-line block ×4, first 2 shown]
	v_mov_b32_e32 v66, v65
	v_mov_b32_e32 v67, v65
	;; [unrolled: 1-line block ×7, first 2 shown]
	s_waitcnt lgkmcnt(6)
	s_delay_alu instid0(VALU_DEP_1)
	v_wmma_f32_16x16x16_bf16 v[65:72], v[57:64], v[83:90], v[65:72]
	ds_load_b128 v[61:64], v80 offset:8208
	ds_load_b128 v[57:60], v80 offset:8192
	s_waitcnt lgkmcnt(6)
	v_wmma_f32_16x16x16_bf16 v[65:72], v[41:48], v[91:98], v[65:72]
	ds_load_b128 v[45:48], v80 offset:10256
	ds_load_b128 v[41:44], v80 offset:10240
	s_waitcnt lgkmcnt(6)
	;; [unrolled: 4-line block ×4, first 2 shown]
	v_wmma_f32_16x16x16_bf16 v[65:72], v[1:8], v[57:64], v[65:72]
	s_waitcnt lgkmcnt(4)
	s_delay_alu instid0(VALU_DEP_1) | instskip(SKIP_1) | instid1(VALU_DEP_1)
	v_wmma_f32_16x16x16_bf16 v[65:72], v[9:16], v[41:48], v[65:72]
	s_waitcnt lgkmcnt(2)
	v_wmma_f32_16x16x16_bf16 v[65:72], v[17:24], v[33:40], v[65:72]
	s_waitcnt lgkmcnt(0)
	s_delay_alu instid0(VALU_DEP_1) | instskip(NEXT) | instid1(VALU_DEP_1)
	v_wmma_f32_16x16x16_bf16 v[65:72], v[49:56], v[25:32], v[65:72]
	v_and_b32_e32 v1, 0x7f800000, v65
	s_delay_alu instid0(VALU_DEP_1) | instskip(SKIP_1) | instid1(SALU_CYCLE_1)
	v_cmp_ne_u32_e32 vcc_lo, 0x7f800000, v1
                                        ; implicit-def: $vgpr1
	s_and_saveexec_b32 s4, vcc_lo
	s_xor_b32 s4, exec_lo, s4
; %bb.79:
	v_bfe_u32 v1, v65, 16, 1
	s_delay_alu instid0(VALU_DEP_1)
	v_add3_u32 v1, v65, v1, 0x7fff
; %bb.80:
	s_and_not1_saveexec_b32 s4, s4
; %bb.81:
	v_and_b32_e32 v1, 0xffff, v65
	v_or_b32_e32 v2, 0x10000, v65
	s_delay_alu instid0(VALU_DEP_2) | instskip(NEXT) | instid1(VALU_DEP_2)
	v_cmp_eq_u32_e32 vcc_lo, 0, v1
	v_cndmask_b32_e32 v1, v2, v65, vcc_lo
; %bb.82:
	s_or_b32 exec_lo, exec_lo, s4
	v_and_b32_e32 v2, 0x7f800000, v66
	s_delay_alu instid0(VALU_DEP_1) | instskip(SKIP_1) | instid1(SALU_CYCLE_1)
	v_cmp_ne_u32_e32 vcc_lo, 0x7f800000, v2
                                        ; implicit-def: $vgpr2
	s_and_saveexec_b32 s4, vcc_lo
	s_xor_b32 s4, exec_lo, s4
; %bb.83:
	v_bfe_u32 v2, v66, 16, 1
	s_delay_alu instid0(VALU_DEP_1)
	v_add3_u32 v2, v66, v2, 0x7fff
; %bb.84:
	s_and_not1_saveexec_b32 s4, s4
; %bb.85:
	v_and_b32_e32 v2, 0xffff, v66
	v_or_b32_e32 v3, 0x10000, v66
	s_delay_alu instid0(VALU_DEP_2) | instskip(NEXT) | instid1(VALU_DEP_2)
	v_cmp_eq_u32_e32 vcc_lo, 0, v2
	v_cndmask_b32_e32 v2, v3, v66, vcc_lo
; %bb.86:
	s_or_b32 exec_lo, exec_lo, s4
	v_and_b32_e32 v3, 0x7f800000, v67
	s_delay_alu instid0(VALU_DEP_1) | instskip(SKIP_1) | instid1(SALU_CYCLE_1)
	v_cmp_ne_u32_e32 vcc_lo, 0x7f800000, v3
                                        ; implicit-def: $vgpr3
	s_and_saveexec_b32 s4, vcc_lo
	s_xor_b32 s4, exec_lo, s4
; %bb.87:
	v_bfe_u32 v3, v67, 16, 1
	s_delay_alu instid0(VALU_DEP_1)
	v_add3_u32 v3, v67, v3, 0x7fff
; %bb.88:
	s_and_not1_saveexec_b32 s4, s4
; %bb.89:
	v_and_b32_e32 v3, 0xffff, v67
	v_or_b32_e32 v4, 0x10000, v67
	s_delay_alu instid0(VALU_DEP_2) | instskip(NEXT) | instid1(VALU_DEP_2)
	v_cmp_eq_u32_e32 vcc_lo, 0, v3
	v_cndmask_b32_e32 v3, v4, v67, vcc_lo
; %bb.90:
	s_or_b32 exec_lo, exec_lo, s4
	v_and_b32_e32 v4, 0x7f800000, v68
	s_delay_alu instid0(VALU_DEP_1) | instskip(SKIP_1) | instid1(SALU_CYCLE_1)
	v_cmp_ne_u32_e32 vcc_lo, 0x7f800000, v4
                                        ; implicit-def: $vgpr4
	s_and_saveexec_b32 s4, vcc_lo
	s_xor_b32 s4, exec_lo, s4
; %bb.91:
	v_bfe_u32 v4, v68, 16, 1
	s_delay_alu instid0(VALU_DEP_1)
	v_add3_u32 v4, v68, v4, 0x7fff
; %bb.92:
	s_and_not1_saveexec_b32 s4, s4
; %bb.93:
	v_and_b32_e32 v4, 0xffff, v68
	v_or_b32_e32 v5, 0x10000, v68
	s_delay_alu instid0(VALU_DEP_2) | instskip(NEXT) | instid1(VALU_DEP_2)
	v_cmp_eq_u32_e32 vcc_lo, 0, v4
	v_cndmask_b32_e32 v4, v5, v68, vcc_lo
; %bb.94:
	s_or_b32 exec_lo, exec_lo, s4
	v_and_b32_e32 v5, 0x7f800000, v69
	s_delay_alu instid0(VALU_DEP_1) | instskip(SKIP_1) | instid1(SALU_CYCLE_1)
	v_cmp_ne_u32_e32 vcc_lo, 0x7f800000, v5
                                        ; implicit-def: $vgpr5
	s_and_saveexec_b32 s4, vcc_lo
	s_xor_b32 s4, exec_lo, s4
; %bb.95:
	v_bfe_u32 v5, v69, 16, 1
	s_delay_alu instid0(VALU_DEP_1)
	v_add3_u32 v5, v69, v5, 0x7fff
; %bb.96:
	s_and_not1_saveexec_b32 s4, s4
; %bb.97:
	v_and_b32_e32 v5, 0xffff, v69
	v_or_b32_e32 v6, 0x10000, v69
	s_delay_alu instid0(VALU_DEP_2) | instskip(NEXT) | instid1(VALU_DEP_2)
	v_cmp_eq_u32_e32 vcc_lo, 0, v5
	v_cndmask_b32_e32 v5, v6, v69, vcc_lo
; %bb.98:
	s_or_b32 exec_lo, exec_lo, s4
	v_and_b32_e32 v6, 0x7f800000, v70
	s_delay_alu instid0(VALU_DEP_1) | instskip(SKIP_1) | instid1(SALU_CYCLE_1)
	v_cmp_ne_u32_e32 vcc_lo, 0x7f800000, v6
                                        ; implicit-def: $vgpr6
	s_and_saveexec_b32 s4, vcc_lo
	s_xor_b32 s4, exec_lo, s4
; %bb.99:
	v_bfe_u32 v6, v70, 16, 1
	s_delay_alu instid0(VALU_DEP_1)
	v_add3_u32 v6, v70, v6, 0x7fff
; %bb.100:
	s_and_not1_saveexec_b32 s4, s4
; %bb.101:
	v_and_b32_e32 v6, 0xffff, v70
	v_or_b32_e32 v7, 0x10000, v70
	s_delay_alu instid0(VALU_DEP_2) | instskip(NEXT) | instid1(VALU_DEP_2)
	v_cmp_eq_u32_e32 vcc_lo, 0, v6
	v_cndmask_b32_e32 v6, v7, v70, vcc_lo
; %bb.102:
	s_or_b32 exec_lo, exec_lo, s4
	v_and_b32_e32 v7, 0x7f800000, v71
	s_delay_alu instid0(VALU_DEP_1) | instskip(SKIP_1) | instid1(SALU_CYCLE_1)
	v_cmp_ne_u32_e32 vcc_lo, 0x7f800000, v7
                                        ; implicit-def: $vgpr7
	s_and_saveexec_b32 s4, vcc_lo
	s_xor_b32 s4, exec_lo, s4
; %bb.103:
	v_bfe_u32 v7, v71, 16, 1
	s_delay_alu instid0(VALU_DEP_1)
	v_add3_u32 v7, v71, v7, 0x7fff
; %bb.104:
	s_and_not1_saveexec_b32 s4, s4
; %bb.105:
	v_and_b32_e32 v7, 0xffff, v71
	v_or_b32_e32 v8, 0x10000, v71
	s_delay_alu instid0(VALU_DEP_2) | instskip(NEXT) | instid1(VALU_DEP_2)
	v_cmp_eq_u32_e32 vcc_lo, 0, v7
	v_cndmask_b32_e32 v7, v8, v71, vcc_lo
; %bb.106:
	s_or_b32 exec_lo, exec_lo, s4
	v_and_b32_e32 v8, 0x7f800000, v72
	s_delay_alu instid0(VALU_DEP_1) | instskip(SKIP_1) | instid1(SALU_CYCLE_1)
	v_cmp_ne_u32_e32 vcc_lo, 0x7f800000, v8
                                        ; implicit-def: $vgpr8
	s_and_saveexec_b32 s4, vcc_lo
	s_xor_b32 s4, exec_lo, s4
; %bb.107:
	v_bfe_u32 v8, v72, 16, 1
	s_delay_alu instid0(VALU_DEP_1)
	v_add3_u32 v8, v72, v8, 0x7fff
                                        ; implicit-def: $vgpr65_vgpr66_vgpr67_vgpr68_vgpr69_vgpr70_vgpr71_vgpr72
; %bb.108:
	s_and_not1_saveexec_b32 s4, s4
; %bb.109:
	v_and_b32_e32 v8, 0xffff, v72
	v_or_b32_e32 v9, 0x10000, v72
	s_delay_alu instid0(VALU_DEP_2) | instskip(NEXT) | instid1(VALU_DEP_2)
	v_cmp_eq_u32_e32 vcc_lo, 0, v8
	v_cndmask_b32_e32 v8, v9, v72, vcc_lo
; %bb.110:
	s_or_b32 exec_lo, exec_lo, s4
	s_delay_alu instid0(VALU_DEP_1)
	v_perm_b32 v7, v8, v7, 0x7060302
	v_perm_b32 v6, v6, v5, 0x7060302
	;; [unrolled: 1-line block ×4, first 2 shown]
	s_barrier
	buffer_gl0_inv
	v_cmp_eq_u32_e32 vcc_lo, 1, v78
	ds_store_b128 v76, v[4:7]
	s_waitcnt lgkmcnt(0)
	s_barrier
	buffer_gl0_inv
	ds_load_b128 v[1:4], v82
	ds_load_b128 v[5:8], v82 offset:16
	v_cmp_eq_u32_e64 s4, 1, v79
	v_cmp_eq_u32_e64 s5, 2, v78
	;; [unrolled: 1-line block ×5, first 2 shown]
	s_waitcnt lgkmcnt(1)
	v_lshrrev_b32_e32 v9, 16, v1
	s_waitcnt lgkmcnt(0)
	v_lshrrev_b32_e32 v13, 16, v5
	v_lshrrev_b32_e32 v10, 16, v2
	;; [unrolled: 1-line block ×4, first 2 shown]
	v_cndmask_b32_e64 v19, v1, v9, s4
	v_cndmask_b32_e32 v18, v5, v13, vcc_lo
	v_cndmask_b32_e64 v20, v5, v13, s4
	v_cndmask_b32_e32 v17, v1, v9, vcc_lo
	v_cmp_eq_u32_e32 vcc_lo, 2, v79
	v_lshrrev_b32_e32 v15, 16, v7
	v_cmp_eq_u32_e64 s4, 1, v77
	v_lshrrev_b32_e32 v12, 16, v4
	v_lshrrev_b32_e32 v16, 16, v8
	v_cndmask_b32_e32 v20, v20, v6, vcc_lo
	v_cndmask_b32_e64 v17, v17, v2, s5
	v_cndmask_b32_e32 v19, v19, v2, vcc_lo
	v_cndmask_b32_e64 v18, v18, v6, s5
	v_cmp_eq_u32_e32 vcc_lo, 4, v78
	v_cmp_eq_u32_e64 s5, 3, v79
	v_cndmask_b32_e64 v17, v17, v10, s6
	v_cndmask_b32_e64 v21, v1, v9, s4
	;; [unrolled: 1-line block ×5, first 2 shown]
	v_cndmask_b32_e32 v17, v17, v3, vcc_lo
	v_cndmask_b32_e64 v20, v20, v14, s5
	v_cndmask_b32_e32 v18, v18, v7, vcc_lo
	v_cmp_eq_u32_e32 vcc_lo, 4, v79
	v_cmp_eq_u32_e64 s5, 5, v79
	v_cmp_eq_u32_e64 s4, 2, v81
	v_cndmask_b32_e64 v21, v21, v2, s8
	v_cmp_eq_u32_e64 s6, 5, v78
	v_cndmask_b32_e32 v19, v19, v3, vcc_lo
	v_cndmask_b32_e32 v20, v20, v7, vcc_lo
	v_cmp_eq_u32_e32 vcc_lo, 6, v79
	s_delay_alu instid0(VALU_DEP_4) | instskip(NEXT) | instid1(VALU_DEP_4)
	v_cndmask_b32_e64 v17, v17, v11, s6
	v_cndmask_b32_e64 v19, v19, v11, s5
	s_delay_alu instid0(VALU_DEP_4) | instskip(SKIP_1) | instid1(VALU_DEP_3)
	v_cndmask_b32_e64 v20, v20, v15, s5
	v_cmp_eq_u32_e64 s5, 1, v81
	v_cndmask_b32_e32 v19, v19, v4, vcc_lo
	v_cndmask_b32_e64 v18, v18, v15, s6
	s_delay_alu instid0(VALU_DEP_3)
	v_cndmask_b32_e64 v1, v1, v9, s5
	v_cndmask_b32_e64 v5, v5, v13, s5
	v_cmp_eq_u32_e64 s5, 3, v77
	v_cndmask_b32_e64 v13, v22, v6, s8
	v_cmp_eq_u32_e64 s8, 3, v81
	v_cndmask_b32_e64 v1, v1, v2, s4
	v_cndmask_b32_e64 v2, v5, v6, s4
	;; [unrolled: 1-line block ×3, first 2 shown]
	v_cmp_eq_u32_e64 s4, 4, v77
	v_cndmask_b32_e64 v6, v13, v14, s5
	v_cndmask_b32_e64 v1, v1, v10, s8
	v_cmp_eq_u32_e64 s5, 4, v81
	v_cndmask_b32_e64 v2, v2, v14, s8
	v_cndmask_b32_e64 v5, v9, v3, s4
	;; [unrolled: 3-line block ×3, first 2 shown]
	v_cndmask_b32_e64 v2, v2, v7, s5
	v_cmp_eq_u32_e64 s4, 5, v81
	v_cmp_eq_u32_e64 s6, 6, v78
	v_cndmask_b32_e64 v5, v5, v11, s8
	v_cmp_eq_u32_e64 s5, 6, v77
	v_cndmask_b32_e64 v3, v6, v15, s8
	v_cndmask_b32_e64 v1, v1, v11, s4
	v_cmp_eq_u32_e64 s8, 6, v81
	v_cndmask_b32_e64 v2, v2, v15, s4
	v_cndmask_b32_e64 v17, v17, v4, s6
	v_cndmask_b32_e64 v18, v18, v8, s6
	v_cmp_eq_u32_e64 s6, 7, v78
	v_cndmask_b32_e64 v5, v5, v4, s5
	;; [unrolled: 4-line block ×3, first 2 shown]
	v_cmp_eq_u32_e64 s5, 7, v77
	v_cndmask_b32_e32 v4, v20, v8, vcc_lo
	v_cndmask_b32_e64 v17, v17, v12, s6
	v_cndmask_b32_e64 v19, v19, v12, s7
	;; [unrolled: 1-line block ×8, first 2 shown]
	v_cmp_gt_u32_e32 vcc_lo, 32, v0
	v_perm_b32 v4, v2, v1, 0x5040100
	v_perm_b32 v3, v3, v5, 0x5040100
	;; [unrolled: 1-line block ×4, first 2 shown]
	s_and_b32 s2, vcc_lo, s2
	ds_store_b128 v76, v[1:4]
	s_waitcnt lgkmcnt(0)
	s_barrier
	buffer_gl0_inv
	s_and_saveexec_b32 s4, s2
	s_cbranch_execz .LBB1472_2
; %bb.111:
	s_load_b64 s[4:5], s[0:1], 0x68
	v_lshlrev_b32_e32 v0, 10, v0
	v_add_nc_u32_e32 v2, s31, v74
	v_lshlrev_b32_e32 v3, 4, v75
	s_lshl_b32 s0, s36, 6
	s_delay_alu instid0(SALU_CYCLE_1) | instskip(NEXT) | instid1(VALU_DEP_2)
	s_mul_i32 s1, s0, s34
	v_mul_lo_u32 v1, v2, s0
	s_delay_alu instid0(VALU_DEP_2)
	v_and_or_b32 v0, 0x3800, v0, v3
	v_add_nc_u32_e32 v3, 2, v2
	s_mul_i32 s6, s1, s9
	v_add_nc_u32_e32 v4, 4, v2
	s_ashr_i32 s7, s6, 31
	v_lshl_or_b32 v11, v74, 6, v0
	s_lshl_b64 s[6:7], s[6:7], 1
	v_mul_lo_u32 v15, v3, s0
	v_mul_lo_u32 v17, v4, s0
	v_ashrrev_i32_e32 v2, 31, v1
	ds_load_b128 v[3:6], v11
	ds_load_b128 v[7:10], v11 offset:128
	ds_load_b128 v[11:14], v11 offset:256
	s_waitcnt lgkmcnt(0)
	s_add_u32 s1, s4, s6
	s_addc_u32 s2, s5, s7
	s_lshl_b32 s4, s14, 6
	v_ashrrev_i32_e32 v16, 31, v15
	s_ashr_i32 s5, s4, 31
	v_lshlrev_b64 v[19:20], 1, v[1:2]
	s_lshl_b64 s[4:5], s[4:5], 1
	v_ashrrev_i32_e32 v18, 31, v17
	s_add_u32 s1, s1, s4
	s_addc_u32 s2, s2, s5
	v_add_co_u32 v1, s1, s1, v73
	s_delay_alu instid0(VALU_DEP_1) | instskip(SKIP_1) | instid1(VALU_DEP_3)
	v_add_co_ci_u32_e64 v2, null, s2, 0, s1
	v_lshlrev_b64 v[15:16], 1, v[15:16]
	v_add_co_u32 v19, vcc_lo, v1, v19
	v_lshlrev_b64 v[17:18], 1, v[17:18]
	s_delay_alu instid0(VALU_DEP_4) | instskip(NEXT) | instid1(VALU_DEP_4)
	v_add_co_ci_u32_e32 v20, vcc_lo, v2, v20, vcc_lo
	v_add_co_u32 v15, vcc_lo, v1, v15
	v_add_co_ci_u32_e32 v16, vcc_lo, v2, v16, vcc_lo
	s_delay_alu instid0(VALU_DEP_4)
	v_add_co_u32 v17, vcc_lo, v1, v17
	v_add_co_ci_u32_e32 v18, vcc_lo, v2, v18, vcc_lo
	s_clause 0x2
	global_store_b128 v[19:20], v[3:6], off
	global_store_b128 v[15:16], v[7:10], off
	;; [unrolled: 1-line block ×3, first 2 shown]
	s_and_b32 exec_lo, exec_lo, s3
	s_cbranch_execz .LBB1472_2
; %bb.112:
	ds_load_b128 v[3:6], v0 offset:384
	s_add_i32 s1, s31, 6
	s_delay_alu instid0(SALU_CYCLE_1) | instskip(NEXT) | instid1(SALU_CYCLE_1)
	s_mul_i32 s0, s1, s0
	s_ashr_i32 s1, s0, 31
	s_delay_alu instid0(SALU_CYCLE_1) | instskip(NEXT) | instid1(SALU_CYCLE_1)
	s_lshl_b64 s[0:1], s[0:1], 1
	v_add_co_u32 v0, vcc_lo, v1, s0
	v_add_co_ci_u32_e32 v1, vcc_lo, s1, v2, vcc_lo
	s_waitcnt lgkmcnt(0)
	global_store_b128 v[0:1], v[3:6], off
	s_nop 0
	s_sendmsg sendmsg(MSG_DEALLOC_VGPRS)
	s_endpgm
	.section	.rodata,"a",@progbits
	.p2align	6, 0x0
	.amdhsa_kernel _Z39paged_attention_ll4mi_QKV_mfma16_kernelI14__hip_bfloat16hLN4vllm18Fp8KVCacheDataTypeE1ES0_Li32ELi64ELi256ELb1ELi7EL8MFMAType1EEvPKT_PKT0_S9_ifPKiSB_SB_iPKfiiiPfSE_PS4_PT2_iSD_SD_
		.amdhsa_group_segment_fixed_size 17472
		.amdhsa_private_segment_fixed_size 0
		.amdhsa_kernarg_size 400
		.amdhsa_user_sgpr_count 13
		.amdhsa_user_sgpr_dispatch_ptr 0
		.amdhsa_user_sgpr_queue_ptr 0
		.amdhsa_user_sgpr_kernarg_segment_ptr 1
		.amdhsa_user_sgpr_dispatch_id 0
		.amdhsa_user_sgpr_private_segment_size 0
		.amdhsa_wavefront_size32 1
		.amdhsa_uses_dynamic_stack 0
		.amdhsa_enable_private_segment 0
		.amdhsa_system_sgpr_workgroup_id_x 1
		.amdhsa_system_sgpr_workgroup_id_y 1
		.amdhsa_system_sgpr_workgroup_id_z 1
		.amdhsa_system_sgpr_workgroup_info 0
		.amdhsa_system_vgpr_workitem_id 0
		.amdhsa_next_free_vgpr 124
		.amdhsa_next_free_sgpr 42
		.amdhsa_reserve_vcc 1
		.amdhsa_float_round_mode_32 0
		.amdhsa_float_round_mode_16_64 0
		.amdhsa_float_denorm_mode_32 3
		.amdhsa_float_denorm_mode_16_64 3
		.amdhsa_dx10_clamp 1
		.amdhsa_ieee_mode 1
		.amdhsa_fp16_overflow 0
		.amdhsa_workgroup_processor_mode 1
		.amdhsa_memory_ordered 1
		.amdhsa_forward_progress 0
		.amdhsa_shared_vgpr_count 0
		.amdhsa_exception_fp_ieee_invalid_op 0
		.amdhsa_exception_fp_denorm_src 0
		.amdhsa_exception_fp_ieee_div_zero 0
		.amdhsa_exception_fp_ieee_overflow 0
		.amdhsa_exception_fp_ieee_underflow 0
		.amdhsa_exception_fp_ieee_inexact 0
		.amdhsa_exception_int_div_zero 0
	.end_amdhsa_kernel
	.section	.text._Z39paged_attention_ll4mi_QKV_mfma16_kernelI14__hip_bfloat16hLN4vllm18Fp8KVCacheDataTypeE1ES0_Li32ELi64ELi256ELb1ELi7EL8MFMAType1EEvPKT_PKT0_S9_ifPKiSB_SB_iPKfiiiPfSE_PS4_PT2_iSD_SD_,"axG",@progbits,_Z39paged_attention_ll4mi_QKV_mfma16_kernelI14__hip_bfloat16hLN4vllm18Fp8KVCacheDataTypeE1ES0_Li32ELi64ELi256ELb1ELi7EL8MFMAType1EEvPKT_PKT0_S9_ifPKiSB_SB_iPKfiiiPfSE_PS4_PT2_iSD_SD_,comdat
.Lfunc_end1472:
	.size	_Z39paged_attention_ll4mi_QKV_mfma16_kernelI14__hip_bfloat16hLN4vllm18Fp8KVCacheDataTypeE1ES0_Li32ELi64ELi256ELb1ELi7EL8MFMAType1EEvPKT_PKT0_S9_ifPKiSB_SB_iPKfiiiPfSE_PS4_PT2_iSD_SD_, .Lfunc_end1472-_Z39paged_attention_ll4mi_QKV_mfma16_kernelI14__hip_bfloat16hLN4vllm18Fp8KVCacheDataTypeE1ES0_Li32ELi64ELi256ELb1ELi7EL8MFMAType1EEvPKT_PKT0_S9_ifPKiSB_SB_iPKfiiiPfSE_PS4_PT2_iSD_SD_
                                        ; -- End function
	.section	.AMDGPU.csdata,"",@progbits
; Kernel info:
; codeLenInByte = 8828
; NumSgprs: 44
; NumVgprs: 124
; ScratchSize: 0
; MemoryBound: 0
; FloatMode: 240
; IeeeMode: 1
; LDSByteSize: 17472 bytes/workgroup (compile time only)
; SGPRBlocks: 5
; VGPRBlocks: 15
; NumSGPRsForWavesPerEU: 44
; NumVGPRsForWavesPerEU: 124
; Occupancy: 10
; WaveLimiterHint : 1
; COMPUTE_PGM_RSRC2:SCRATCH_EN: 0
; COMPUTE_PGM_RSRC2:USER_SGPR: 13
; COMPUTE_PGM_RSRC2:TRAP_HANDLER: 0
; COMPUTE_PGM_RSRC2:TGID_X_EN: 1
; COMPUTE_PGM_RSRC2:TGID_Y_EN: 1
; COMPUTE_PGM_RSRC2:TGID_Z_EN: 1
; COMPUTE_PGM_RSRC2:TIDIG_COMP_CNT: 0
	.section	.text._Z39paged_attention_ll4mi_QKV_mfma16_kernelI14__hip_bfloat16hLN4vllm18Fp8KVCacheDataTypeE1ES0_Li32ELi64ELi256ELb1ELi8EL8MFMAType1EEvPKT_PKT0_S9_ifPKiSB_SB_iPKfiiiPfSE_PS4_PT2_iSD_SD_,"axG",@progbits,_Z39paged_attention_ll4mi_QKV_mfma16_kernelI14__hip_bfloat16hLN4vllm18Fp8KVCacheDataTypeE1ES0_Li32ELi64ELi256ELb1ELi8EL8MFMAType1EEvPKT_PKT0_S9_ifPKiSB_SB_iPKfiiiPfSE_PS4_PT2_iSD_SD_,comdat
	.protected	_Z39paged_attention_ll4mi_QKV_mfma16_kernelI14__hip_bfloat16hLN4vllm18Fp8KVCacheDataTypeE1ES0_Li32ELi64ELi256ELb1ELi8EL8MFMAType1EEvPKT_PKT0_S9_ifPKiSB_SB_iPKfiiiPfSE_PS4_PT2_iSD_SD_ ; -- Begin function _Z39paged_attention_ll4mi_QKV_mfma16_kernelI14__hip_bfloat16hLN4vllm18Fp8KVCacheDataTypeE1ES0_Li32ELi64ELi256ELb1ELi8EL8MFMAType1EEvPKT_PKT0_S9_ifPKiSB_SB_iPKfiiiPfSE_PS4_PT2_iSD_SD_
	.globl	_Z39paged_attention_ll4mi_QKV_mfma16_kernelI14__hip_bfloat16hLN4vllm18Fp8KVCacheDataTypeE1ES0_Li32ELi64ELi256ELb1ELi8EL8MFMAType1EEvPKT_PKT0_S9_ifPKiSB_SB_iPKfiiiPfSE_PS4_PT2_iSD_SD_
	.p2align	8
	.type	_Z39paged_attention_ll4mi_QKV_mfma16_kernelI14__hip_bfloat16hLN4vllm18Fp8KVCacheDataTypeE1ES0_Li32ELi64ELi256ELb1ELi8EL8MFMAType1EEvPKT_PKT0_S9_ifPKiSB_SB_iPKfiiiPfSE_PS4_PT2_iSD_SD_,@function
_Z39paged_attention_ll4mi_QKV_mfma16_kernelI14__hip_bfloat16hLN4vllm18Fp8KVCacheDataTypeE1ES0_Li32ELi64ELi256ELb1ELi8EL8MFMAType1EEvPKT_PKT0_S9_ifPKiSB_SB_iPKfiiiPfSE_PS4_PT2_iSD_SD_: ; @_Z39paged_attention_ll4mi_QKV_mfma16_kernelI14__hip_bfloat16hLN4vllm18Fp8KVCacheDataTypeE1ES0_Li32ELi64ELi256ELb1ELi8EL8MFMAType1EEvPKT_PKT0_S9_ifPKiSB_SB_iPKfiiiPfSE_PS4_PT2_iSD_SD_
; %bb.0:
	s_load_b64 s[2:3], s[0:1], 0x30
	s_mov_b32 s30, s13
	s_waitcnt lgkmcnt(0)
	s_cmp_lg_u64 s[2:3], 0
	s_cselect_b32 s8, -1, 0
	s_ashr_i32 s31, s13, 31
	s_cmp_eq_u64 s[2:3], 0
	s_cbranch_scc1 .LBB1473_3
; %bb.1:
	s_lshl_b64 s[4:5], s[30:31], 2
	s_delay_alu instid0(SALU_CYCLE_1) | instskip(SKIP_4) | instid1(SALU_CYCLE_1)
	s_add_u32 s4, s2, s4
	s_addc_u32 s5, s3, s5
	s_load_b64 s[4:5], s[4:5], 0x0
	s_waitcnt lgkmcnt(0)
	s_sub_i32 s4, s5, s4
	s_cmp_eq_u32 s4, 1
	s_cselect_b32 s4, -1, 0
	s_delay_alu instid0(SALU_CYCLE_1)
	s_and_not1_b32 vcc_lo, exec_lo, s4
	s_cbranch_vccz .LBB1473_4
.LBB1473_2:
	s_endpgm
.LBB1473_3:
.LBB1473_4:
	s_load_b64 s[4:5], s[0:1], 0x28
	s_lshl_b64 s[6:7], s[30:31], 2
	s_waitcnt lgkmcnt(0)
	s_add_u32 s4, s4, s6
	s_addc_u32 s5, s5, s7
	s_lshl_b32 s12, s14, 8
	s_load_b32 s24, s[4:5], 0x0
	s_waitcnt lgkmcnt(0)
	s_cmp_ge_i32 s12, s24
	s_cbranch_scc1 .LBB1473_2
; %bb.5:
	s_clause 0x1
	s_load_b128 s[20:23], s[0:1], 0x8
	s_load_b64 s[4:5], s[0:1], 0x20
	s_and_not1_b32 vcc_lo, exec_lo, s8
	s_cbranch_vccnz .LBB1473_7
; %bb.6:
	s_add_u32 s2, s2, s6
	s_addc_u32 s3, s3, s7
	s_load_b32 s3, s[2:3], 0x0
	s_branch .LBB1473_8
.LBB1473_7:
	s_mov_b32 s3, s30
.LBB1473_8:
	s_load_b128 s[16:19], s[0:1], 0x48
	v_and_b32_e32 v66, 15, v0
	v_cmp_gt_u32_e32 vcc_lo, 0x80, v0
	v_lshrrev_b32_e32 v65, 5, v0
	v_and_b32_e32 v67, 31, v0
	v_and_b32_e32 v74, 1, v0
	v_lshlrev_b32_e32 v1, 3, v66
	v_cmp_gt_u32_e64 s2, 8, v66
	v_bfe_u32 v75, v0, 4, 1
	s_lshl_b32 s31, s15, 3
	s_delay_alu instid0(VALU_DEP_3) | instskip(NEXT) | instid1(VALU_DEP_3)
	v_lshlrev_b32_e32 v73, 1, v1
	s_and_b32 s7, vcc_lo, s2
	s_delay_alu instid0(SALU_CYCLE_1)
	s_and_saveexec_b32 s6, s7
	s_cbranch_execz .LBB1473_10
; %bb.9:
	v_lshl_or_b32 v5, v65, 1, v75
	s_load_b64 s[8:9], s[0:1], 0x0
	s_waitcnt lgkmcnt(0)
	s_mul_hi_i32 s11, s3, s16
	s_mul_i32 s10, s3, s16
	v_lshlrev_b32_e32 v6, 10, v66
	v_or_b32_e32 v1, s31, v5
	s_lshl_b64 s[10:11], s[10:11], 1
	v_lshlrev_b32_e32 v5, 6, v5
	v_lshlrev_b32_e32 v7, 10, v74
	v_and_b32_e32 v6, 0x3800, v6
	v_lshlrev_b32_e32 v1, 6, v1
	s_delay_alu instid0(VALU_DEP_2) | instskip(NEXT) | instid1(VALU_DEP_2)
	v_or3_b32 v5, v6, v7, v5
	v_ashrrev_i32_e32 v2, 31, v1
	s_delay_alu instid0(VALU_DEP_1) | instskip(SKIP_2) | instid1(VALU_DEP_1)
	v_lshlrev_b64 v[1:2], 1, v[1:2]
	s_add_u32 s3, s8, s10
	s_addc_u32 s7, s9, s11
	v_add_co_u32 v1, vcc_lo, s3, v1
	s_delay_alu instid0(VALU_DEP_2) | instskip(NEXT) | instid1(VALU_DEP_2)
	v_add_co_ci_u32_e32 v2, vcc_lo, s7, v2, vcc_lo
	v_add_co_u32 v1, vcc_lo, v1, v73
	s_delay_alu instid0(VALU_DEP_2)
	v_add_co_ci_u32_e32 v2, vcc_lo, 0, v2, vcc_lo
	global_load_b128 v[1:4], v[1:2], off
	s_waitcnt vmcnt(0)
	ds_store_b128 v5, v[1:4]
.LBB1473_10:
	s_or_b32 exec_lo, exec_lo, s6
	v_and_b32_e32 v1, 0xef, v0
	s_waitcnt lgkmcnt(0)
	s_add_i32 s3, s24, 31
	s_clause 0x1
	s_load_b32 s6, s[0:1], 0x38
	s_load_b32 s19, s[0:1], 0x1c
	s_ashr_i32 s7, s3, 31
	v_add_nc_u32_e32 v1, s12, v1
	s_lshr_b32 s7, s7, 27
	s_waitcnt lgkmcnt(0)
	s_add_i32 s3, s3, s7
	s_barrier
	v_ashrrev_i32_e32 v2, 31, v1
	v_or_b32_e32 v3, 16, v1
	s_ashr_i32 s3, s3, 5
	v_cmp_gt_i32_e32 vcc_lo, s24, v1
	s_add_i32 s3, s3, -1
	v_lshrrev_b32_e32 v2, 27, v2
	buffer_gl0_inv
	s_mul_i32 s27, s15, s18
	v_add_nc_u32_e32 v4, v1, v2
	s_mul_i32 s6, s30, s6
	s_delay_alu instid0(SALU_CYCLE_1) | instskip(NEXT) | instid1(VALU_DEP_1)
	s_ashr_i32 s7, s6, 31
	v_ashrrev_i32_e32 v4, 5, v4
	v_add_nc_u32_e32 v2, v3, v2
	s_lshl_b64 s[6:7], s[6:7], 2
	s_delay_alu instid0(SALU_CYCLE_1) | instskip(NEXT) | instid1(VALU_DEP_2)
	s_add_u32 s26, s4, s6
	v_cndmask_b32_e32 v1, s3, v4, vcc_lo
	s_delay_alu instid0(VALU_DEP_2)
	v_ashrrev_i32_e32 v2, 5, v2
	v_cmp_gt_i32_e32 vcc_lo, s24, v3
	s_addc_u32 s25, s5, s7
	s_ashr_i32 s28, s27, 31
	s_add_u32 s4, s20, s27
	s_addc_u32 s5, s21, s28
	v_cndmask_b32_e32 v3, s3, v2, vcc_lo
	v_ashrrev_i32_e32 v2, 31, v1
	s_lshl_b32 s6, s14, 3
	s_delay_alu instid0(SALU_CYCLE_1) | instskip(NEXT) | instid1(VALU_DEP_2)
	s_ashr_i32 s7, s6, 31
	v_ashrrev_i32_e32 v4, 31, v3
	s_delay_alu instid0(VALU_DEP_2) | instskip(SKIP_1) | instid1(SALU_CYCLE_1)
	v_lshlrev_b64 v[1:2], 2, v[1:2]
	s_lshl_b64 s[6:7], s[6:7], 2
	s_add_u32 s6, s26, s6
	s_delay_alu instid0(VALU_DEP_2) | instskip(SKIP_1) | instid1(VALU_DEP_2)
	v_lshlrev_b64 v[3:4], 2, v[3:4]
	s_addc_u32 s7, s25, s7
	v_add_co_u32 v1, vcc_lo, s26, v1
	v_add_co_ci_u32_e32 v2, vcc_lo, s25, v2, vcc_lo
	s_delay_alu instid0(VALU_DEP_3) | instskip(NEXT) | instid1(VALU_DEP_4)
	v_add_co_u32 v3, vcc_lo, s26, v3
	v_add_co_ci_u32_e32 v4, vcc_lo, s25, v4, vcc_lo
	s_clause 0x1
	global_load_b32 v5, v[1:2], off
	global_load_b32 v6, v[3:4], off
	s_or_b32 s8, s12, 32
	s_delay_alu instid0(SALU_CYCLE_1) | instskip(SKIP_2) | instid1(SALU_CYCLE_1)
	s_ashr_i32 s9, s8, 5
	s_cmp_lt_i32 s8, s24
	s_cselect_b32 s8, s9, s3
	s_ashr_i32 s9, s8, 31
	s_delay_alu instid0(SALU_CYCLE_1) | instskip(NEXT) | instid1(SALU_CYCLE_1)
	s_lshl_b64 s[8:9], s[8:9], 2
	s_add_u32 s8, s26, s8
	s_addc_u32 s9, s25, s9
	s_or_b32 s10, s12, 64
	s_delay_alu instid0(SALU_CYCLE_1) | instskip(SKIP_2) | instid1(SALU_CYCLE_1)
	s_ashr_i32 s11, s10, 5
	s_cmp_lt_i32 s10, s24
	s_cselect_b32 s10, s11, s3
	s_ashr_i32 s11, s10, 31
	s_delay_alu instid0(SALU_CYCLE_1) | instskip(NEXT) | instid1(SALU_CYCLE_1)
	s_lshl_b64 s[10:11], s[10:11], 2
	s_add_u32 s10, s26, s10
	s_addc_u32 s11, s25, s11
	s_or_b32 s13, s12, 0x60
	s_delay_alu instid0(SALU_CYCLE_1) | instskip(SKIP_2) | instid1(SALU_CYCLE_1)
	s_ashr_i32 s15, s13, 5
	s_cmp_lt_i32 s13, s24
	s_cselect_b32 s20, s15, s3
	s_ashr_i32 s21, s20, 31
	s_delay_alu instid0(SALU_CYCLE_1) | instskip(NEXT) | instid1(SALU_CYCLE_1)
	s_lshl_b64 s[20:21], s[20:21], 2
	s_add_u32 s34, s26, s20
	s_addc_u32 s35, s25, s21
	s_or_b32 s13, s12, 0x80
	s_delay_alu instid0(SALU_CYCLE_1) | instskip(SKIP_2) | instid1(SALU_CYCLE_1)
	s_ashr_i32 s15, s13, 5
	s_cmp_lt_i32 s13, s24
	s_cselect_b32 s20, s15, s3
	s_ashr_i32 s21, s20, 31
	s_delay_alu instid0(SALU_CYCLE_1) | instskip(NEXT) | instid1(SALU_CYCLE_1)
	s_lshl_b64 s[20:21], s[20:21], 2
	s_add_u32 s36, s26, s20
	s_addc_u32 s37, s25, s21
	s_or_b32 s13, s12, 0xa0
	s_delay_alu instid0(SALU_CYCLE_1) | instskip(SKIP_2) | instid1(SALU_CYCLE_1)
	s_ashr_i32 s15, s13, 5
	s_cmp_lt_i32 s13, s24
	s_cselect_b32 s20, s15, s3
	s_ashr_i32 s21, s20, 31
	s_delay_alu instid0(SALU_CYCLE_1) | instskip(NEXT) | instid1(SALU_CYCLE_1)
	s_lshl_b64 s[20:21], s[20:21], 2
	s_add_u32 s38, s26, s20
	s_addc_u32 s39, s25, s21
	s_clause 0x5
	s_load_b32 s21, s[6:7], 0x0
	s_load_b32 s13, s[8:9], 0x0
	;; [unrolled: 1-line block ×6, first 2 shown]
	s_or_b32 s7, s12, 0xc0
	s_delay_alu instid0(SALU_CYCLE_1) | instskip(SKIP_2) | instid1(SALU_CYCLE_1)
	s_ashr_i32 s8, s7, 5
	s_cmp_lt_i32 s7, s24
	s_cselect_b32 s10, s8, s3
	s_ashr_i32 s11, s10, 31
	s_delay_alu instid0(SALU_CYCLE_1) | instskip(NEXT) | instid1(SALU_CYCLE_1)
	s_lshl_b64 s[34:35], s[10:11], 2
	s_add_u32 s34, s26, s34
	s_addc_u32 s35, s25, s35
	s_or_b32 s29, s12, 0xe0
	s_delay_alu instid0(SALU_CYCLE_1)
	s_ashr_i32 s33, s29, 5
	s_cmp_lt_i32 s29, s24
	s_waitcnt vmcnt(1)
	v_mad_i64_i32 v[1:2], null, v5, s17, s[4:5]
	s_waitcnt vmcnt(0)
	v_mad_i64_i32 v[3:4], null, v6, s17, s[4:5]
	s_mov_b32 s4, 0
	s_delay_alu instid0(SALU_CYCLE_1)
	s_mov_b32 s5, s4
	s_mov_b32 s6, s4
	;; [unrolled: 1-line block ×7, first 2 shown]
	v_lshlrev_b32_e32 v5, 4, v66
	v_dual_mov_b32 v107, s11 :: v_dual_mov_b32 v102, s6
	v_dual_mov_b32 v106, s10 :: v_dual_mov_b32 v105, s9
	s_delay_alu instid0(VALU_DEP_3)
	v_add_co_u32 v1, vcc_lo, v1, v5
	v_add_co_ci_u32_e32 v2, vcc_lo, 0, v2, vcc_lo
	v_add_co_u32 v3, vcc_lo, v3, v5
	v_add_co_ci_u32_e32 v4, vcc_lo, 0, v4, vcc_lo
	s_clause 0x7
	global_load_b128 v[49:52], v[1:2], off
	global_load_b128 v[53:56], v[1:2], off offset:512
	global_load_b128 v[76:79], v[3:4], off offset:256
	;; [unrolled: 1-line block ×7, first 2 shown]
	v_dual_mov_b32 v100, s4 :: v_dual_and_b32 v1, 7, v0
	v_lshlrev_b32_e32 v2, 5, v66
	v_dual_mov_b32 v104, s8 :: v_dual_mov_b32 v103, s7
	v_mov_b32_e32 v101, s5
	s_cselect_b32 s4, s33, s3
	v_lshlrev_b32_e32 v70, 6, v1
	s_ashr_i32 s5, s4, 31
	v_lshl_or_b32 v1, v65, 9, v2
	s_lshl_b64 s[4:5], s[4:5], 2
	s_load_b32 s3, s[34:35], 0x0
	s_add_u32 s4, s26, s4
	s_addc_u32 s5, s25, s5
	ds_load_b128 v[108:111], v70
	ds_load_b128 v[112:115], v70 offset:1024
	s_load_b32 s4, s[4:5], 0x0
	s_add_u32 s6, s22, s27
	s_addc_u32 s7, s23, s28
	v_add_co_u32 v9, s6, s6, v1
	s_delay_alu instid0(VALU_DEP_1) | instskip(SKIP_1) | instid1(VALU_DEP_1)
	v_add_co_ci_u32_e64 v10, null, s7, 0, s6
	s_waitcnt lgkmcnt(0)
	v_mad_i64_i32 v[1:2], null, s21, s17, v[9:10]
	v_mad_i64_i32 v[3:4], null, s13, s17, v[9:10]
	;; [unrolled: 1-line block ×7, first 2 shown]
	s_clause 0x9
	global_load_b128 v[57:60], v[1:2], off
	global_load_b128 v[61:64], v[1:2], off offset:16
	global_load_b128 v[41:44], v[3:4], off
	global_load_b128 v[45:48], v[3:4], off offset:16
	;; [unrolled: 2-line block ×5, first 2 shown]
	v_mad_i64_i32 v[68:69], null, s4, s17, v[9:10]
	s_clause 0x3
	global_load_b128 v[9:12], v[13:14], off
	global_load_b128 v[13:16], v[13:14], off offset:16
	global_load_b128 v[17:20], v[21:22], off
	global_load_b128 v[21:24], v[21:22], off offset:16
	s_waitcnt vmcnt(20)
	v_wmma_f32_16x16x16_bf16 v[116:123], v[49:56], v[108:115], v[100:107]
	s_clause 0x1
	global_load_b128 v[49:52], v[68:69], off
	global_load_b128 v[53:56], v[68:69], off offset:16
	v_and_b32_e32 v68, 0xe0, v0
	v_mbcnt_lo_u32_b32 v69, -1, 0
	s_delay_alu instid0(VALU_DEP_2)
	v_add_nc_u32_e32 v68, s12, v68
	s_waitcnt vmcnt(20)
	v_wmma_f32_16x16x16_bf16 v[100:107], v[76:83], v[108:115], v[100:107]
	ds_load_b128 v[76:79], v70 offset:2048
	ds_load_b128 v[80:83], v70 offset:3072
	v_xor_b32_e32 v70, 16, v69
	s_waitcnt vmcnt(0) lgkmcnt(0)
	v_or_b32_e32 v68, v68, v75
	s_barrier
	buffer_gl0_inv
	v_cmp_gt_i32_e32 vcc_lo, 32, v70
	v_or_b32_e32 v71, 4, v68
	v_or_b32_e32 v72, 6, v68
	v_cmp_gt_i32_e64 s3, s24, v68
	v_or_b32_e32 v108, 8, v68
	v_or_b32_e32 v109, 10, v68
	v_cmp_gt_i32_e64 s4, s24, v71
	v_cmp_gt_i32_e64 s5, s24, v72
	s_delay_alu instid0(VALU_DEP_4) | instskip(NEXT) | instid1(VALU_DEP_4)
	v_cmp_gt_i32_e64 s6, s24, v108
	v_cmp_gt_i32_e64 s7, s24, v109
	v_wmma_f32_16x16x16_bf16 v[116:123], v[84:91], v[76:83], v[116:123]
	v_cndmask_b32_e32 v69, v69, v70, vcc_lo
	v_or_b32_e32 v70, 2, v68
	v_wmma_f32_16x16x16_bf16 v[100:107], v[92:99], v[76:83], v[100:107]
	v_or_b32_e32 v84, 12, v68
	v_dual_mul_f32 v78, s19, v123 :: v_dual_mul_f32 v83, s19, v118
	v_dual_mul_f32 v92, s19, v117 :: v_dual_mul_f32 v93, s19, v116
	s_delay_alu instid0(VALU_DEP_4) | instskip(SKIP_2) | instid1(VALU_DEP_4)
	v_mul_f32_e32 v94, s19, v107
	v_cmp_gt_i32_e32 vcc_lo, s24, v70
	v_dual_mul_f32 v81, s19, v120 :: v_dual_mul_f32 v82, s19, v119
	v_cndmask_b32_e64 v93, 0xff7fffff, v93, s3
	v_or_b32_e32 v85, 14, v68
	v_cndmask_b32_e32 v92, 0xff7fffff, v92, vcc_lo
	v_dual_mul_f32 v79, s19, v122 :: v_dual_mul_f32 v80, s19, v121
	v_cndmask_b32_e64 v71, 0xff7fffff, v83, s4
	v_cndmask_b32_e64 v72, 0xff7fffff, v82, s5
	s_delay_alu instid0(VALU_DEP_4)
	v_max3_f32 v82, v93, 0xff7fffff, v92
	v_or_b32_e32 v86, 16, v68
	v_or_b32_e32 v87, 18, v68
	v_cndmask_b32_e64 v81, 0xff7fffff, v81, s6
	v_cndmask_b32_e64 v80, 0xff7fffff, v80, s7
	v_max3_f32 v71, v82, v71, v72
	v_cmp_gt_i32_e64 s8, s24, v84
	v_cmp_gt_i32_e64 s9, s24, v85
	v_or_b32_e32 v88, 20, v68
	v_or_b32_e32 v89, 22, v68
	;; [unrolled: 1-line block ×6, first 2 shown]
	v_dual_mul_f32 v99, s19, v102 :: v_dual_mul_f32 v70, s19, v101
	v_mul_f32_e32 v68, s19, v100
	v_cndmask_b32_e64 v72, 0xff7fffff, v79, s8
	v_cndmask_b32_e64 v78, 0xff7fffff, v78, s9
	v_max3_f32 v71, v71, v81, v80
	v_cmp_gt_i32_e64 s10, s24, v86
	v_cmp_gt_i32_e64 s11, s24, v87
	v_dual_mul_f32 v97, s19, v104 :: v_dual_mul_f32 v98, s19, v103
	s_delay_alu instid0(VALU_DEP_4) | instskip(SKIP_1) | instid1(VALU_DEP_4)
	v_max3_f32 v71, v71, v72, v78
	v_cmp_gt_i32_e64 s12, s24, v88
	v_cndmask_b32_e64 v70, 0xff7fffff, v70, s11
	v_cmp_gt_i32_e64 s13, s24, v89
	v_lshlrev_b32_e32 v89, 2, v69
	v_cndmask_b32_e64 v68, 0xff7fffff, v68, s10
	v_dual_mul_f32 v95, s19, v106 :: v_dual_mul_f32 v96, s19, v105
	v_cndmask_b32_e64 v72, 0xff7fffff, v99, s12
	v_cndmask_b32_e64 v78, 0xff7fffff, v98, s13
	s_delay_alu instid0(VALU_DEP_4)
	v_max3_f32 v68, v71, v68, v70
	v_cmp_gt_i32_e64 s15, s24, v90
	v_cmp_gt_i32_e64 s16, s24, v91
	;; [unrolled: 1-line block ×4, first 2 shown]
	v_max3_f32 v68, v68, v72, v78
	v_cndmask_b32_e64 v70, 0xff7fffff, v97, s15
	v_cndmask_b32_e64 v71, 0xff7fffff, v96, s16
	;; [unrolled: 1-line block ×4, first 2 shown]
	s_delay_alu instid0(VALU_DEP_3) | instskip(NEXT) | instid1(VALU_DEP_1)
	v_max3_f32 v68, v68, v70, v71
	v_max3_f32 v68, v68, v72, v76
	ds_bpermute_b32 v69, v89, v68
	s_waitcnt lgkmcnt(0)
	v_max_f32_e32 v69, v69, v69
	s_delay_alu instid0(VALU_DEP_1) | instskip(NEXT) | instid1(VALU_DEP_1)
	v_max_f32_e32 v68, v68, v69
	v_fma_f32 v71, s19, v118, -v68
	s_delay_alu instid0(VALU_DEP_1)
	v_mul_f32_e32 v71, 0x3fb8aa3b, v71
	v_fma_f32 v69, s19, v116, -v68
	v_fma_f32 v70, s19, v117, -v68
	;; [unrolled: 1-line block ×4, first 2 shown]
	v_exp_f32_e32 v71, v71
	s_delay_alu instid0(VALU_DEP_3) | instskip(SKIP_2) | instid1(VALU_DEP_3)
	v_dual_mul_f32 v69, 0x3fb8aa3b, v69 :: v_dual_mul_f32 v70, 0x3fb8aa3b, v70
	v_fma_f32 v78, s19, v122, -v68
	v_fma_f32 v81, s19, v105, -v68
	v_exp_f32_e32 v69, v69
	s_delay_alu instid0(VALU_DEP_3) | instskip(SKIP_1) | instid1(VALU_DEP_2)
	v_exp_f32_e32 v70, v70
	v_mul_f32_e32 v77, 0x3fb8aa3b, v76
	v_mul_f32_e32 v81, 0x3fb8aa3b, v81
	s_delay_alu instid0(TRANS32_DEP_3) | instskip(SKIP_1) | instid1(VALU_DEP_3)
	v_cndmask_b32_e64 v83, 0, v71, s4
	v_fma_f32 v71, s19, v123, -v68
	v_exp_f32_e32 v81, v81
	s_delay_alu instid0(TRANS32_DEP_3) | instskip(NEXT) | instid1(TRANS32_DEP_2)
	v_cndmask_b32_e64 v80, 0, v69, s3
	v_cndmask_b32_e32 v76, 0, v70, vcc_lo
	v_fma_f32 v69, s19, v121, -v68
	v_mul_f32_e32 v72, 0x3fb8aa3b, v72
	v_exp_f32_e32 v77, v77
	v_dual_add_f32 v70, 0, v80 :: v_dual_mul_f32 v71, 0x3fb8aa3b, v71
	s_delay_alu instid0(VALU_DEP_3) | instskip(NEXT) | instid1(VALU_DEP_3)
	v_mul_f32_e32 v69, 0x3fb8aa3b, v69
	v_exp_f32_e32 v72, v72
	s_mov_b32 s3, exec_lo
	s_delay_alu instid0(VALU_DEP_2) | instskip(NEXT) | instid1(VALU_DEP_1)
	v_exp_f32_e32 v71, v71
	v_exp_f32_e32 v69, v69
	v_cndmask_b32_e64 v86, 0, v77, s6
	v_fma_f32 v77, s19, v101, -v68
	v_add_f32_e32 v70, v70, v76
	s_delay_alu instid0(TRANS32_DEP_3) | instskip(SKIP_1) | instid1(VALU_DEP_3)
	v_cndmask_b32_e64 v85, 0, v72, s5
	v_fma_f32 v72, s19, v100, -v68
	v_dual_mul_f32 v77, 0x3fb8aa3b, v77 :: v_dual_add_f32 v70, v70, v83
	s_delay_alu instid0(TRANS32_DEP_2) | instskip(SKIP_1) | instid1(TRANS32_DEP_1)
	v_cndmask_b32_e64 v88, 0, v71, s9
	v_fma_f32 v71, s19, v104, -v68
	v_cndmask_b32_e64 v87, 0, v69, s7
	s_delay_alu instid0(VALU_DEP_4) | instskip(NEXT) | instid1(VALU_DEP_2)
	v_exp_f32_e32 v77, v77
	v_dual_add_f32 v70, v70, v85 :: v_dual_mul_f32 v71, 0x3fb8aa3b, v71
	s_delay_alu instid0(VALU_DEP_1) | instskip(SKIP_2) | instid1(VALU_DEP_3)
	v_dual_mul_f32 v72, 0x3fb8aa3b, v72 :: v_dual_add_f32 v69, v70, v86
	v_mul_f32_e32 v78, 0x3fb8aa3b, v78
	v_fma_f32 v70, s19, v102, -v68
	v_exp_f32_e32 v72, v72
	v_exp_f32_e32 v82, v71
	v_add_f32_e32 v69, v69, v87
	v_exp_f32_e32 v78, v78
	v_mul_f32_e32 v70, 0x3fb8aa3b, v70
	s_delay_alu instid0(VALU_DEP_1) | instskip(SKIP_4) | instid1(VALU_DEP_2)
	v_exp_f32_e32 v79, v70
	v_cndmask_b32_e64 v70, 0, v72, s10
	s_waitcnt_depctr 0xfff
	v_cndmask_b32_e64 v84, 0, v78, s8
	v_fma_f32 v78, s19, v103, -v68
	v_add_f32_e32 v69, v69, v84
	v_cndmask_b32_e64 v71, 0, v79, s12
	s_delay_alu instid0(VALU_DEP_2) | instskip(SKIP_2) | instid1(VALU_DEP_1)
	v_add_f32_e32 v72, v69, v88
	v_cndmask_b32_e64 v69, 0, v77, s11
	v_fma_f32 v77, s19, v106, -v68
	v_dual_mul_f32 v77, 0x3fb8aa3b, v77 :: v_dual_add_f32 v72, v72, v70
	v_mul_f32_e32 v78, 0x3fb8aa3b, v78
	s_delay_alu instid0(VALU_DEP_2) | instskip(NEXT) | instid1(VALU_DEP_2)
	v_exp_f32_e32 v90, v77
	v_add_f32_e32 v79, v72, v69
	s_delay_alu instid0(VALU_DEP_2)
	v_exp_f32_e32 v78, v78
	v_cndmask_b32_e64 v77, 0, v82, s15
	s_waitcnt_depctr 0xfff
	v_cndmask_b32_e64 v72, 0, v78, s13
	v_add_f32_e32 v78, v79, v71
	v_fma_f32 v79, s19, v107, -v68
	s_delay_alu instid0(VALU_DEP_1) | instskip(SKIP_1) | instid1(VALU_DEP_2)
	v_dual_add_f32 v82, v78, v72 :: v_dual_mul_f32 v79, 0x3fb8aa3b, v79
	v_cndmask_b32_e64 v78, 0, v81, s16
	v_add_f32_e32 v81, v82, v77
	s_delay_alu instid0(VALU_DEP_3) | instskip(SKIP_1) | instid1(VALU_DEP_2)
	v_exp_f32_e32 v82, v79
	v_cndmask_b32_e64 v79, 0, v90, s17
	v_add_f32_e32 v81, v81, v78
	s_delay_alu instid0(VALU_DEP_1) | instskip(SKIP_2) | instid1(VALU_DEP_1)
	v_add_f32_e32 v90, v81, v79
	s_waitcnt_depctr 0xfff
	v_cndmask_b32_e64 v81, 0, v82, s18
	v_add_f32_e32 v82, v90, v81
	ds_bpermute_b32 v89, v89, v82
	v_cmpx_gt_u32_e32 16, v67
	s_cbranch_execz .LBB1473_12
; %bb.11:
	v_mul_u32_u24_e32 v67, 0x44, v65
	s_delay_alu instid0(VALU_DEP_1) | instskip(SKIP_1) | instid1(VALU_DEP_1)
	v_lshl_add_u32 v67, v66, 2, v67
	s_waitcnt lgkmcnt(0)
	v_dual_add_f32 v82, v82, v89 :: v_dual_add_nc_u32 v67, 0x4000, v67
	ds_store_2addr_b32 v67, v68, v82 offset1:136
.LBB1473_12:
	s_or_b32 exec_lo, exec_lo, s3
	v_lshlrev_b32_e32 v67, 2, v66
	s_waitcnt lgkmcnt(0)
	s_barrier
	buffer_gl0_inv
	v_cmp_eq_u32_e32 vcc_lo, 1, v65
	v_add_nc_u32_e32 v82, 0x4000, v67
	v_cmp_eq_u32_e64 s3, 2, v65
	v_cmp_eq_u32_e64 s5, 7, v65
	ds_load_2addr_b32 v[89:90], v82 offset1:17
	ds_load_2addr_b32 v[91:92], v82 offset0:34 offset1:51
	ds_load_2addr_b32 v[93:94], v82 offset0:68 offset1:85
	;; [unrolled: 1-line block ×4, first 2 shown]
	s_waitcnt lgkmcnt(4)
	v_max3_f32 v67, v89, 0xff7fffff, v90
	s_waitcnt lgkmcnt(3)
	s_delay_alu instid0(VALU_DEP_1) | instskip(SKIP_1) | instid1(VALU_DEP_1)
	v_max3_f32 v67, v67, v91, v92
	s_waitcnt lgkmcnt(2)
	v_max3_f32 v67, v67, v93, v94
	s_waitcnt lgkmcnt(1)
	s_delay_alu instid0(VALU_DEP_1) | instskip(NEXT) | instid1(VALU_DEP_1)
	v_max3_f32 v67, v67, v95, v96
	v_sub_f32_e32 v93, v93, v67
	s_delay_alu instid0(VALU_DEP_1) | instskip(NEXT) | instid1(VALU_DEP_1)
	v_dual_sub_f32 v68, v89, v67 :: v_dual_mul_f32 v103, 0x3fb8aa3b, v93
	v_mul_f32_e32 v68, 0x3fb8aa3b, v68
	s_delay_alu instid0(VALU_DEP_1)
	v_exp_f32_e32 v100, v68
	v_sub_f32_e32 v68, v92, v67
	v_sub_f32_e32 v99, v90, v67
	ds_load_2addr_b32 v[89:90], v82 offset0:170 offset1:187
	v_dual_mul_f32 v102, 0x3fb8aa3b, v68 :: v_dual_mul_f32 v99, 0x3fb8aa3b, v99
	s_waitcnt lgkmcnt(1)
	v_fma_f32 v68, v100, v97, 0
	s_delay_alu instid0(VALU_DEP_2) | instskip(NEXT) | instid1(VALU_DEP_2)
	v_exp_f32_e32 v102, v102
	v_exp_f32_e32 v99, v99
	s_waitcnt_depctr 0xfff
	v_fmac_f32_e32 v68, v99, v98
	v_sub_f32_e32 v91, v91, v67
	s_delay_alu instid0(VALU_DEP_1)
	v_mul_f32_e32 v101, 0x3fb8aa3b, v91
	ds_load_2addr_b32 v[91:92], v82 offset0:204 offset1:221
	v_sub_f32_e32 v97, v94, v67
	ds_load_2addr_b32 v[93:94], v82 offset0:238 offset1:255
	s_waitcnt lgkmcnt(0)
	v_exp_f32_e32 v101, v101
	s_barrier
	buffer_gl0_inv
	v_dual_fmac_f32 v68, v101, v89 :: v_dual_sub_f32 v89, v96, v67
	v_dual_sub_f32 v82, v95, v67 :: v_dual_mul_f32 v95, 0x3fb8aa3b, v97
	v_exp_f32_e32 v97, v103
	s_delay_alu instid0(VALU_DEP_2) | instskip(NEXT) | instid1(VALU_DEP_2)
	v_dual_fmac_f32 v68, v102, v90 :: v_dual_mul_f32 v89, 0x3fb8aa3b, v89
	v_mul_f32_e32 v82, 0x3fb8aa3b, v82
	s_delay_alu instid0(VALU_DEP_3) | instskip(NEXT) | instid1(VALU_DEP_2)
	v_exp_f32_e32 v95, v95
	v_exp_f32_e32 v89, v89
	s_delay_alu instid0(VALU_DEP_1)
	v_exp_f32_e32 v82, v82
	v_fmac_f32_e32 v68, v97, v91
	s_delay_alu instid0(TRANS32_DEP_3) | instid1(VALU_DEP_1)
	v_fmac_f32_e32 v68, v95, v92
	s_waitcnt_depctr 0xfff
	v_fmac_f32_e32 v68, v82, v93
	s_delay_alu instid0(VALU_DEP_1) | instskip(NEXT) | instid1(VALU_DEP_1)
	v_fmac_f32_e32 v68, v89, v94
	v_add_f32_e32 v90, 0x358637bd, v68
	s_delay_alu instid0(VALU_DEP_1) | instskip(NEXT) | instid1(VALU_DEP_1)
	v_div_scale_f32 v91, null, v90, v90, 1.0
	v_rcp_f32_e32 v92, v91
	s_waitcnt_depctr 0xfff
	v_fma_f32 v93, -v91, v92, 1.0
	s_delay_alu instid0(VALU_DEP_1) | instskip(SKIP_1) | instid1(VALU_DEP_2)
	v_dual_fmac_f32 v92, v93, v92 :: v_dual_cndmask_b32 v93, v100, v99
	v_cmp_eq_u32_e32 vcc_lo, 3, v65
	v_cndmask_b32_e64 v93, v93, v101, s3
	v_cmp_eq_u32_e64 s3, 4, v65
	s_delay_alu instid0(VALU_DEP_2) | instskip(SKIP_1) | instid1(VALU_DEP_2)
	v_cndmask_b32_e32 v93, v93, v102, vcc_lo
	v_cmp_eq_u32_e32 vcc_lo, 5, v65
	v_cndmask_b32_e64 v93, v93, v97, s3
	v_cmp_eq_u32_e64 s3, 6, v65
	s_delay_alu instid0(VALU_DEP_2) | instskip(SKIP_1) | instid1(VALU_DEP_1)
	v_cndmask_b32_e32 v93, v93, v95, vcc_lo
	v_div_scale_f32 v94, s4, 1.0, v90, 1.0
	s_mov_b32 vcc_lo, s4
	s_delay_alu instid0(VALU_DEP_2) | instskip(NEXT) | instid1(VALU_DEP_2)
	v_cndmask_b32_e64 v82, v93, v82, s3
	v_mul_f32_e32 v96, v94, v92
	s_mov_b32 s3, exec_lo
	s_delay_alu instid0(VALU_DEP_2) | instskip(NEXT) | instid1(VALU_DEP_2)
	v_cndmask_b32_e64 v82, v82, v89, s5
	v_fma_f32 v98, -v91, v96, v94
	s_delay_alu instid0(VALU_DEP_1) | instskip(NEXT) | instid1(VALU_DEP_1)
	v_fmac_f32_e32 v96, v98, v92
	v_fma_f32 v91, -v91, v96, v94
	s_delay_alu instid0(VALU_DEP_1) | instskip(NEXT) | instid1(VALU_DEP_1)
	v_div_fmas_f32 v91, v91, v92, v96
	v_div_fixup_f32 v90, v91, v90, 1.0
	s_delay_alu instid0(VALU_DEP_1) | instskip(NEXT) | instid1(VALU_DEP_1)
	v_mul_f32_e32 v82, v82, v90
	v_mul_f32_e32 v87, v82, v87
	;; [unrolled: 1-line block ×7, first 2 shown]
	v_dual_mul_f32 v86, v82, v83 :: v_dual_and_b32 v91, 0x7f800000, v90
	v_mul_f32_e32 v85, v82, v76
                                        ; implicit-def: $vgpr76
	s_delay_alu instid0(VALU_DEP_2)
	v_cmpx_ne_u32_e32 0x7f800000, v91
	s_xor_b32 s3, exec_lo, s3
; %bb.13:
	v_bfe_u32 v76, v90, 16, 1
	s_delay_alu instid0(VALU_DEP_1)
	v_add3_u32 v76, v90, v76, 0x7fff
                                        ; implicit-def: $vgpr90
; %bb.14:
	s_and_not1_saveexec_b32 s3, s3
; %bb.15:
	v_and_b32_e32 v76, 0xffff, v90
	v_or_b32_e32 v83, 0x10000, v90
	s_delay_alu instid0(VALU_DEP_2) | instskip(NEXT) | instid1(VALU_DEP_2)
	v_cmp_eq_u32_e32 vcc_lo, 0, v76
	v_cndmask_b32_e32 v76, v83, v90, vcc_lo
; %bb.16:
	s_or_b32 exec_lo, exec_lo, s3
	v_and_b32_e32 v83, 0x7f800000, v85
	s_delay_alu instid0(VALU_DEP_1) | instskip(SKIP_1) | instid1(SALU_CYCLE_1)
	v_cmp_ne_u32_e32 vcc_lo, 0x7f800000, v83
                                        ; implicit-def: $vgpr83
	s_and_saveexec_b32 s3, vcc_lo
	s_xor_b32 s3, exec_lo, s3
; %bb.17:
	v_bfe_u32 v83, v85, 16, 1
	s_delay_alu instid0(VALU_DEP_1)
	v_add3_u32 v83, v85, v83, 0x7fff
                                        ; implicit-def: $vgpr85
; %bb.18:
	s_and_not1_saveexec_b32 s3, s3
; %bb.19:
	v_and_b32_e32 v83, 0xffff, v85
	v_or_b32_e32 v90, 0x10000, v85
	s_delay_alu instid0(VALU_DEP_2) | instskip(NEXT) | instid1(VALU_DEP_2)
	v_cmp_eq_u32_e32 vcc_lo, 0, v83
	v_cndmask_b32_e32 v83, v90, v85, vcc_lo
; %bb.20:
	s_or_b32 exec_lo, exec_lo, s3
	v_and_b32_e32 v85, 0x7f800000, v86
	s_delay_alu instid0(VALU_DEP_1) | instskip(SKIP_1) | instid1(SALU_CYCLE_1)
	v_cmp_ne_u32_e32 vcc_lo, 0x7f800000, v85
                                        ; implicit-def: $vgpr85
	s_and_saveexec_b32 s3, vcc_lo
	s_xor_b32 s3, exec_lo, s3
; %bb.21:
	v_bfe_u32 v85, v86, 16, 1
	s_delay_alu instid0(VALU_DEP_1)
	v_add3_u32 v85, v86, v85, 0x7fff
                                        ; implicit-def: $vgpr86
; %bb.22:
	s_and_not1_saveexec_b32 s3, s3
; %bb.23:
	v_and_b32_e32 v85, 0xffff, v86
	v_or_b32_e32 v90, 0x10000, v86
	s_delay_alu instid0(VALU_DEP_2) | instskip(NEXT) | instid1(VALU_DEP_2)
	v_cmp_eq_u32_e32 vcc_lo, 0, v85
	v_cndmask_b32_e32 v85, v90, v86, vcc_lo
; %bb.24:
	s_or_b32 exec_lo, exec_lo, s3
	v_and_b32_e32 v86, 0x7f800000, v89
	s_delay_alu instid0(VALU_DEP_1) | instskip(SKIP_1) | instid1(SALU_CYCLE_1)
	v_cmp_ne_u32_e32 vcc_lo, 0x7f800000, v86
                                        ; implicit-def: $vgpr86
	s_and_saveexec_b32 s3, vcc_lo
	s_xor_b32 s3, exec_lo, s3
; %bb.25:
	v_bfe_u32 v86, v89, 16, 1
	s_delay_alu instid0(VALU_DEP_1)
	v_add3_u32 v86, v89, v86, 0x7fff
                                        ; implicit-def: $vgpr89
; %bb.26:
	s_and_not1_saveexec_b32 s3, s3
; %bb.27:
	v_and_b32_e32 v86, 0xffff, v89
	v_or_b32_e32 v90, 0x10000, v89
	s_delay_alu instid0(VALU_DEP_2) | instskip(NEXT) | instid1(VALU_DEP_2)
	v_cmp_eq_u32_e32 vcc_lo, 0, v86
	v_cndmask_b32_e32 v86, v90, v89, vcc_lo
; %bb.28:
	s_or_b32 exec_lo, exec_lo, s3
	v_and_b32_e32 v89, 0x7f800000, v88
	s_delay_alu instid0(VALU_DEP_1) | instskip(SKIP_1) | instid1(SALU_CYCLE_1)
	v_cmp_ne_u32_e32 vcc_lo, 0x7f800000, v89
                                        ; implicit-def: $vgpr89
	s_and_saveexec_b32 s3, vcc_lo
	s_xor_b32 s3, exec_lo, s3
; %bb.29:
	v_bfe_u32 v89, v88, 16, 1
	s_delay_alu instid0(VALU_DEP_1)
	v_add3_u32 v89, v88, v89, 0x7fff
                                        ; implicit-def: $vgpr88
; %bb.30:
	s_and_not1_saveexec_b32 s3, s3
; %bb.31:
	v_and_b32_e32 v89, 0xffff, v88
	v_or_b32_e32 v90, 0x10000, v88
	s_delay_alu instid0(VALU_DEP_2) | instskip(NEXT) | instid1(VALU_DEP_2)
	v_cmp_eq_u32_e32 vcc_lo, 0, v89
	v_cndmask_b32_e32 v89, v90, v88, vcc_lo
; %bb.32:
	s_or_b32 exec_lo, exec_lo, s3
	v_and_b32_e32 v88, 0x7f800000, v87
	s_delay_alu instid0(VALU_DEP_1) | instskip(SKIP_1) | instid1(SALU_CYCLE_1)
	v_cmp_ne_u32_e32 vcc_lo, 0x7f800000, v88
                                        ; implicit-def: $vgpr88
	s_and_saveexec_b32 s3, vcc_lo
	s_xor_b32 s3, exec_lo, s3
; %bb.33:
	v_bfe_u32 v88, v87, 16, 1
	s_delay_alu instid0(VALU_DEP_1)
	v_add3_u32 v88, v87, v88, 0x7fff
                                        ; implicit-def: $vgpr87
; %bb.34:
	s_and_not1_saveexec_b32 s3, s3
; %bb.35:
	v_and_b32_e32 v88, 0xffff, v87
	v_or_b32_e32 v90, 0x10000, v87
	s_delay_alu instid0(VALU_DEP_2) | instskip(NEXT) | instid1(VALU_DEP_2)
	v_cmp_eq_u32_e32 vcc_lo, 0, v88
	v_cndmask_b32_e32 v88, v90, v87, vcc_lo
; %bb.36:
	s_or_b32 exec_lo, exec_lo, s3
	v_and_b32_e32 v87, 0x7f800000, v84
	s_delay_alu instid0(VALU_DEP_1) | instskip(SKIP_1) | instid1(SALU_CYCLE_1)
	v_cmp_ne_u32_e32 vcc_lo, 0x7f800000, v87
                                        ; implicit-def: $vgpr87
	s_and_saveexec_b32 s3, vcc_lo
	s_xor_b32 s3, exec_lo, s3
; %bb.37:
	v_bfe_u32 v87, v84, 16, 1
	s_delay_alu instid0(VALU_DEP_1)
	v_add3_u32 v87, v84, v87, 0x7fff
                                        ; implicit-def: $vgpr84
; %bb.38:
	s_and_not1_saveexec_b32 s3, s3
; %bb.39:
	v_and_b32_e32 v87, 0xffff, v84
	v_or_b32_e32 v90, 0x10000, v84
	s_delay_alu instid0(VALU_DEP_2) | instskip(NEXT) | instid1(VALU_DEP_2)
	v_cmp_eq_u32_e32 vcc_lo, 0, v87
	v_cndmask_b32_e32 v87, v90, v84, vcc_lo
; %bb.40:
	s_or_b32 exec_lo, exec_lo, s3
	v_and_b32_e32 v84, 0x7f800000, v80
	s_delay_alu instid0(VALU_DEP_1) | instskip(SKIP_1) | instid1(SALU_CYCLE_1)
	v_cmp_ne_u32_e32 vcc_lo, 0x7f800000, v84
                                        ; implicit-def: $vgpr84
	s_and_saveexec_b32 s3, vcc_lo
	s_xor_b32 s3, exec_lo, s3
; %bb.41:
	v_bfe_u32 v84, v80, 16, 1
	s_delay_alu instid0(VALU_DEP_1)
	v_add3_u32 v84, v80, v84, 0x7fff
                                        ; implicit-def: $vgpr80
; %bb.42:
	s_and_not1_saveexec_b32 s3, s3
; %bb.43:
	v_and_b32_e32 v84, 0xffff, v80
	v_or_b32_e32 v90, 0x10000, v80
	s_delay_alu instid0(VALU_DEP_2) | instskip(NEXT) | instid1(VALU_DEP_2)
	v_cmp_eq_u32_e32 vcc_lo, 0, v84
	v_cndmask_b32_e32 v84, v90, v80, vcc_lo
; %bb.44:
	s_or_b32 exec_lo, exec_lo, s3
	s_load_b64 s[34:35], s[0:1], 0x94
	v_lshlrev_b32_e32 v91, 4, v75
	s_delay_alu instid0(VALU_DEP_2)
	v_perm_b32 v90, v84, v87, 0x7060302
	v_dual_mul_f32 v77, v82, v77 :: v_dual_lshlrev_b32 v80, 6, v66
	v_lshlrev_b32_e32 v66, 11, v65
	v_perm_b32 v87, v83, v76, 0x7060302
	v_mul_f32_e32 v83, v82, v70
	v_perm_b32 v89, v88, v89, 0x7060302
	v_perm_b32 v88, v86, v85, 0x7060302
	v_or3_b32 v76, v91, v66, v80
	v_mul_f32_e32 v66, v82, v81
	v_mul_f32_e32 v70, v82, v79
	;; [unrolled: 1-line block ×3, first 2 shown]
	v_dual_mul_f32 v81, v82, v72 :: v_dual_and_b32 v84, 0x7f800000, v83
	v_mul_f32_e32 v79, v82, v71
	v_mul_f32_e32 v72, v82, v69
	s_mov_b32 s3, exec_lo
	ds_store_b128 v76, v[87:90]
                                        ; implicit-def: $vgpr69
	v_cmpx_ne_u32_e32 0x7f800000, v84
	s_xor_b32 s3, exec_lo, s3
; %bb.45:
	v_bfe_u32 v69, v83, 16, 1
	s_delay_alu instid0(VALU_DEP_1)
	v_add3_u32 v69, v83, v69, 0x7fff
                                        ; implicit-def: $vgpr83
; %bb.46:
	s_and_not1_saveexec_b32 s3, s3
; %bb.47:
	v_and_b32_e32 v69, 0xffff, v83
	v_or_b32_e32 v71, 0x10000, v83
	s_delay_alu instid0(VALU_DEP_2) | instskip(NEXT) | instid1(VALU_DEP_2)
	v_cmp_eq_u32_e32 vcc_lo, 0, v69
	v_cndmask_b32_e32 v69, v71, v83, vcc_lo
; %bb.48:
	s_or_b32 exec_lo, exec_lo, s3
	v_and_b32_e32 v71, 0x7f800000, v72
	s_delay_alu instid0(VALU_DEP_1) | instskip(SKIP_1) | instid1(SALU_CYCLE_1)
	v_cmp_ne_u32_e32 vcc_lo, 0x7f800000, v71
                                        ; implicit-def: $vgpr71
	s_and_saveexec_b32 s3, vcc_lo
	s_xor_b32 s3, exec_lo, s3
; %bb.49:
	v_bfe_u32 v71, v72, 16, 1
	s_delay_alu instid0(VALU_DEP_1)
	v_add3_u32 v71, v72, v71, 0x7fff
                                        ; implicit-def: $vgpr72
; %bb.50:
	s_and_not1_saveexec_b32 s3, s3
; %bb.51:
	v_and_b32_e32 v71, 0xffff, v72
	v_or_b32_e32 v82, 0x10000, v72
	s_delay_alu instid0(VALU_DEP_2) | instskip(NEXT) | instid1(VALU_DEP_2)
	v_cmp_eq_u32_e32 vcc_lo, 0, v71
	v_cndmask_b32_e32 v71, v82, v72, vcc_lo
; %bb.52:
	s_or_b32 exec_lo, exec_lo, s3
	v_and_b32_e32 v72, 0x7f800000, v79
	s_delay_alu instid0(VALU_DEP_1) | instskip(SKIP_1) | instid1(SALU_CYCLE_1)
	v_cmp_ne_u32_e32 vcc_lo, 0x7f800000, v72
                                        ; implicit-def: $vgpr72
	s_and_saveexec_b32 s3, vcc_lo
	s_xor_b32 s3, exec_lo, s3
; %bb.53:
	v_bfe_u32 v72, v79, 16, 1
	s_delay_alu instid0(VALU_DEP_1)
	v_add3_u32 v72, v79, v72, 0x7fff
                                        ; implicit-def: $vgpr79
; %bb.54:
	s_and_not1_saveexec_b32 s3, s3
; %bb.55:
	v_and_b32_e32 v72, 0xffff, v79
	v_or_b32_e32 v82, 0x10000, v79
	s_delay_alu instid0(VALU_DEP_2) | instskip(NEXT) | instid1(VALU_DEP_2)
	v_cmp_eq_u32_e32 vcc_lo, 0, v72
	v_cndmask_b32_e32 v72, v82, v79, vcc_lo
; %bb.56:
	s_or_b32 exec_lo, exec_lo, s3
	v_and_b32_e32 v79, 0x7f800000, v81
	s_delay_alu instid0(VALU_DEP_1) | instskip(SKIP_1) | instid1(SALU_CYCLE_1)
	v_cmp_ne_u32_e32 vcc_lo, 0x7f800000, v79
                                        ; implicit-def: $vgpr79
	s_and_saveexec_b32 s3, vcc_lo
	s_xor_b32 s3, exec_lo, s3
; %bb.57:
	v_bfe_u32 v79, v81, 16, 1
	s_delay_alu instid0(VALU_DEP_1)
	v_add3_u32 v79, v81, v79, 0x7fff
                                        ; implicit-def: $vgpr81
; %bb.58:
	s_and_not1_saveexec_b32 s3, s3
; %bb.59:
	v_and_b32_e32 v79, 0xffff, v81
	v_or_b32_e32 v82, 0x10000, v81
	s_delay_alu instid0(VALU_DEP_2) | instskip(NEXT) | instid1(VALU_DEP_2)
	v_cmp_eq_u32_e32 vcc_lo, 0, v79
	v_cndmask_b32_e32 v79, v82, v81, vcc_lo
; %bb.60:
	s_or_b32 exec_lo, exec_lo, s3
	v_and_b32_e32 v81, 0x7f800000, v77
	s_delay_alu instid0(VALU_DEP_1) | instskip(SKIP_1) | instid1(SALU_CYCLE_1)
	v_cmp_ne_u32_e32 vcc_lo, 0x7f800000, v81
                                        ; implicit-def: $vgpr81
	s_and_saveexec_b32 s3, vcc_lo
	s_xor_b32 s3, exec_lo, s3
; %bb.61:
	v_bfe_u32 v81, v77, 16, 1
	s_delay_alu instid0(VALU_DEP_1)
	v_add3_u32 v81, v77, v81, 0x7fff
                                        ; implicit-def: $vgpr77
; %bb.62:
	s_and_not1_saveexec_b32 s3, s3
; %bb.63:
	v_and_b32_e32 v81, 0xffff, v77
	v_or_b32_e32 v82, 0x10000, v77
	s_delay_alu instid0(VALU_DEP_2) | instskip(NEXT) | instid1(VALU_DEP_2)
	v_cmp_eq_u32_e32 vcc_lo, 0, v81
	v_cndmask_b32_e32 v81, v82, v77, vcc_lo
; %bb.64:
	s_or_b32 exec_lo, exec_lo, s3
	v_and_b32_e32 v77, 0x7f800000, v78
	s_delay_alu instid0(VALU_DEP_1) | instskip(SKIP_1) | instid1(SALU_CYCLE_1)
	v_cmp_ne_u32_e32 vcc_lo, 0x7f800000, v77
                                        ; implicit-def: $vgpr77
	s_and_saveexec_b32 s3, vcc_lo
	s_xor_b32 s3, exec_lo, s3
; %bb.65:
	v_bfe_u32 v77, v78, 16, 1
	s_delay_alu instid0(VALU_DEP_1)
	v_add3_u32 v77, v78, v77, 0x7fff
                                        ; implicit-def: $vgpr78
; %bb.66:
	s_and_not1_saveexec_b32 s3, s3
; %bb.67:
	v_and_b32_e32 v77, 0xffff, v78
	v_or_b32_e32 v82, 0x10000, v78
	s_delay_alu instid0(VALU_DEP_2) | instskip(NEXT) | instid1(VALU_DEP_2)
	v_cmp_eq_u32_e32 vcc_lo, 0, v77
	v_cndmask_b32_e32 v77, v82, v78, vcc_lo
; %bb.68:
	s_or_b32 exec_lo, exec_lo, s3
	v_and_b32_e32 v78, 0x7f800000, v70
	s_delay_alu instid0(VALU_DEP_1) | instskip(SKIP_1) | instid1(SALU_CYCLE_1)
	v_cmp_ne_u32_e32 vcc_lo, 0x7f800000, v78
                                        ; implicit-def: $vgpr78
	s_and_saveexec_b32 s3, vcc_lo
	s_xor_b32 s3, exec_lo, s3
; %bb.69:
	v_bfe_u32 v78, v70, 16, 1
	s_delay_alu instid0(VALU_DEP_1)
	v_add3_u32 v78, v70, v78, 0x7fff
                                        ; implicit-def: $vgpr70
; %bb.70:
	s_and_not1_saveexec_b32 s3, s3
; %bb.71:
	v_and_b32_e32 v78, 0xffff, v70
	v_or_b32_e32 v82, 0x10000, v70
	s_delay_alu instid0(VALU_DEP_2) | instskip(NEXT) | instid1(VALU_DEP_2)
	v_cmp_eq_u32_e32 vcc_lo, 0, v78
	v_cndmask_b32_e32 v78, v82, v70, vcc_lo
; %bb.72:
	s_or_b32 exec_lo, exec_lo, s3
	v_and_b32_e32 v70, 0x7f800000, v66
	s_delay_alu instid0(VALU_DEP_1) | instskip(SKIP_1) | instid1(SALU_CYCLE_1)
	v_cmp_ne_u32_e32 vcc_lo, 0x7f800000, v70
                                        ; implicit-def: $vgpr70
	s_and_saveexec_b32 s3, vcc_lo
	s_xor_b32 s3, exec_lo, s3
; %bb.73:
	v_bfe_u32 v70, v66, 16, 1
	s_delay_alu instid0(VALU_DEP_1)
	v_add3_u32 v70, v66, v70, 0x7fff
                                        ; implicit-def: $vgpr66
; %bb.74:
	s_and_not1_saveexec_b32 s3, s3
; %bb.75:
	v_and_b32_e32 v70, 0xffff, v66
	v_or_b32_e32 v82, 0x10000, v66
	s_delay_alu instid0(VALU_DEP_2) | instskip(NEXT) | instid1(VALU_DEP_2)
	v_cmp_eq_u32_e32 vcc_lo, 0, v70
	v_cndmask_b32_e32 v70, v82, v66, vcc_lo
; %bb.76:
	s_or_b32 exec_lo, exec_lo, s3
	s_delay_alu instid0(VALU_DEP_1)
	v_perm_b32 v86, v70, v78, 0x7060302
	v_perm_b32 v85, v77, v81, 0x7060302
	;; [unrolled: 1-line block ×4, first 2 shown]
	v_lshl_or_b32 v82, v65, 11, v80
	ds_store_b128 v76, v[83:86] offset:1024
	s_waitcnt lgkmcnt(0)
	s_barrier
	buffer_gl0_inv
	ds_load_b128 v[69:72], v82
	ds_load_b128 v[83:86], v82 offset:16
	s_waitcnt lgkmcnt(1)
	v_lshrrev_b32_e32 v65, 16, v69
	v_lshlrev_b32_e32 v78, 2, v75
	s_waitcnt lgkmcnt(0)
	v_lshrrev_b32_e32 v91, 16, v83
	v_lshrrev_b32_e32 v66, 16, v70
	;; [unrolled: 1-line block ×4, first 2 shown]
	v_cmp_eq_u32_e32 vcc_lo, 1, v78
	v_lshrrev_b32_e32 v98, 16, v85
	v_lshrrev_b32_e32 v96, 16, v72
	;; [unrolled: 1-line block ×3, first 2 shown]
	v_cndmask_b32_e32 v81, v69, v65, vcc_lo
	v_or_b32_e32 v79, 1, v78
	v_cmp_eq_u32_e64 s4, 2, v78
	v_cndmask_b32_e32 v87, v83, v91, vcc_lo
	v_cmp_eq_u32_e64 s7, 3, v78
	v_cmp_eq_u32_e64 s9, 4, v78
	;; [unrolled: 1-line block ×3, first 2 shown]
	v_cndmask_b32_e64 v81, v81, v70, s4
	v_cmp_eq_u32_e64 s6, 2, v79
	v_cndmask_b32_e64 v87, v87, v84, s4
	v_cmp_eq_u32_e64 s8, 3, v79
	v_cndmask_b32_e64 v88, v69, v65, s3
	v_cndmask_b32_e64 v81, v81, v66, s7
	v_or_b32_e32 v77, 2, v78
	v_cndmask_b32_e64 v87, v87, v97, s7
	v_cndmask_b32_e64 v89, v83, v91, s3
	;; [unrolled: 1-line block ×4, first 2 shown]
	v_cmp_eq_u32_e64 s10, 5, v78
	v_cndmask_b32_e64 v87, v87, v85, s9
	v_cmp_eq_u32_e64 s11, 4, v79
	v_cndmask_b32_e64 v88, v88, v66, s8
	v_cmp_eq_u32_e64 s5, 1, v77
	v_cndmask_b32_e64 v89, v89, v84, s6
	v_cndmask_b32_e64 v81, v81, v95, s10
	v_cmp_eq_u32_e64 s12, 6, v78
	v_cndmask_b32_e64 v88, v88, v71, s11
	v_cndmask_b32_e64 v87, v87, v98, s10
	v_cmp_eq_u32_e64 s13, 5, v79
	v_cndmask_b32_e64 v90, v69, v65, s5
	v_cndmask_b32_e64 v89, v89, v97, s8
	v_cndmask_b32_e64 v81, v81, v72, s12
	v_cmp_eq_u32_e64 s15, 7, v78
	v_cndmask_b32_e64 v88, v88, v95, s13
	v_cndmask_b32_e64 v87, v87, v86, s12
	v_cmp_eq_u32_e64 s16, 6, v79
	v_cmp_eq_u32_e64 s17, 2, v77
	v_cndmask_b32_e64 v89, v89, v85, s11
	v_cndmask_b32_e64 v100, v81, v96, s15
	;; [unrolled: 1-line block ×6, first 2 shown]
	v_cmp_eq_u32_e64 s18, 7, v79
	v_cmp_eq_u32_e64 s19, 3, v77
	;; [unrolled: 1-line block ×4, first 2 shown]
	v_cndmask_b32_e64 v87, v87, v84, s17
	v_cndmask_b32_e64 v102, v88, v96, s18
	;; [unrolled: 1-line block ×4, first 2 shown]
	v_or_b32_e32 v81, 3, v78
	v_cndmask_b32_e64 v93, v87, v97, s19
	v_cmp_eq_u32_e64 s24, 6, v77
	v_cndmask_b32_e64 v103, v88, v86, s16
	v_cndmask_b32_e64 v92, v89, v71, s20
	v_cmp_eq_u32_e64 s21, 1, v81
	ds_load_b128 v[87:90], v82 offset:1024
	v_cmp_eq_u32_e64 s23, 2, v81
	v_cmp_eq_u32_e64 s25, 3, v81
	v_cndmask_b32_e64 v104, v92, v95, s22
	v_cndmask_b32_e64 v65, v69, v65, s21
	;; [unrolled: 1-line block ×4, first 2 shown]
	ds_load_b128 v[91:94], v82 offset:1040
	v_cmp_eq_u32_e64 s26, 4, v81
	v_cndmask_b32_e64 v65, v65, v70, s23
	v_cmp_eq_u32_e64 s28, 5, v81
	v_cndmask_b32_e64 v70, v83, v84, s23
	;; [unrolled: 2-line block ×3, first 2 shown]
	v_cndmask_b32_e64 v65, v65, v66, s25
	v_cndmask_b32_e64 v66, v104, v72, s24
	;; [unrolled: 1-line block ×3, first 2 shown]
	v_cmp_eq_u32_e64 s27, 7, v77
	v_cndmask_b32_e64 v69, v69, v86, s24
	v_cndmask_b32_e64 v65, v65, v71, s26
	s_waitcnt lgkmcnt(1)
	v_lshrrev_b32_e32 v84, 16, v87
	v_cndmask_b32_e64 v70, v70, v85, s26
	v_cndmask_b32_e64 v83, v103, v99, s18
	;; [unrolled: 1-line block ×4, first 2 shown]
	v_lshrrev_b32_e32 v95, 16, v88
	v_cndmask_b32_e64 v70, v70, v98, s28
	s_waitcnt lgkmcnt(0)
	v_lshrrev_b32_e32 v85, 16, v91
	v_cndmask_b32_e64 v97, v87, v84, s3
	v_cndmask_b32_e64 v65, v65, v72, s29
	;; [unrolled: 1-line block ×4, first 2 shown]
	v_cndmask_b32_e32 v71, v87, v84, vcc_lo
	v_cndmask_b32_e32 v98, v91, v85, vcc_lo
	v_cmp_eq_u32_e32 vcc_lo, 7, v81
	v_cndmask_b32_e64 v72, v97, v88, s6
	v_lshrrev_b32_e32 v97, 16, v92
	v_lshrrev_b32_e32 v103, 16, v90
	v_dual_cndmask_b32 v65, v65, v96 :: v_dual_cndmask_b32 v70, v70, v99
	v_cndmask_b32_e64 v71, v71, v88, s4
	v_cndmask_b32_e64 v86, v98, v92, s4
	;; [unrolled: 1-line block ×3, first 2 shown]
	v_lshrrev_b32_e32 v98, 16, v89
	v_lshrrev_b32_e32 v99, 16, v93
	v_cndmask_b32_e64 v71, v71, v95, s7
	v_cndmask_b32_e64 v86, v86, v97, s7
	;; [unrolled: 1-line block ×3, first 2 shown]
	v_perm_b32 v72, v70, v65, 0x5040100
	v_perm_b32 v70, v83, v102, 0x5040100
	v_cndmask_b32_e64 v71, v71, v89, s9
	v_cndmask_b32_e64 v86, v86, v93, s9
	;; [unrolled: 1-line block ×3, first 2 shown]
	v_lshrrev_b32_e32 v83, 16, v94
	s_delay_alu instid0(VALU_DEP_4) | instskip(NEXT) | instid1(VALU_DEP_4)
	v_cndmask_b32_e64 v71, v71, v98, s10
	v_cndmask_b32_e64 v86, v86, v99, s10
	s_delay_alu instid0(VALU_DEP_4) | instskip(NEXT) | instid1(VALU_DEP_3)
	v_cndmask_b32_e64 v65, v65, v90, s16
	v_cndmask_b32_e64 v96, v71, v90, s12
	v_perm_b32 v71, v69, v66, 0x5040100
	s_delay_alu instid0(VALU_DEP_4)
	v_cndmask_b32_e64 v69, v86, v94, s12
	v_cndmask_b32_e64 v86, v87, v84, s5
	;; [unrolled: 1-line block ×34, first 2 shown]
	v_cndmask_b32_e32 v84, v84, v103, vcc_lo
	v_cndmask_b32_e32 v86, v87, v83, vcc_lo
	v_cndmask_b32_e64 v87, v88, v83, s27
	v_cndmask_b32_e64 v88, v85, v83, s18
	;; [unrolled: 1-line block ×3, first 2 shown]
	v_perm_b32 v69, v101, v100, 0x5040100
	v_perm_b32 v86, v86, v84, 0x5040100
	;; [unrolled: 1-line block ×5, first 2 shown]
	s_lshl_b32 s8, s35, 3
	s_mov_b32 s3, exec_lo
	ds_store_b128 v76, v[69:72]
	ds_store_b128 v76, v[83:86] offset:1024
	v_cmpx_gt_u32_e32 8, v0
	s_cbranch_execz .LBB1473_78
; %bb.77:
	v_or_b32_e32 v65, s31, v0
	s_load_b128 s[4:7], s[0:1], 0x58
	s_delay_alu instid0(VALU_DEP_1) | instskip(NEXT) | instid1(VALU_DEP_1)
	v_mad_u64_u32 v[69:70], null, s8, s30, v[65:66]
	v_mad_u64_u32 v[65:66], null, v69, s34, s[14:15]
	s_delay_alu instid0(VALU_DEP_1) | instskip(NEXT) | instid1(VALU_DEP_1)
	v_ashrrev_i32_e32 v66, 31, v65
	v_lshlrev_b64 v[65:66], 2, v[65:66]
	s_waitcnt lgkmcnt(0)
	s_delay_alu instid0(VALU_DEP_1) | instskip(NEXT) | instid1(VALU_DEP_2)
	v_add_co_u32 v69, vcc_lo, s6, v65
	v_add_co_ci_u32_e32 v70, vcc_lo, s7, v66, vcc_lo
	v_add_co_u32 v65, vcc_lo, s4, v65
	v_add_co_ci_u32_e32 v66, vcc_lo, s5, v66, vcc_lo
	global_store_b32 v[69:70], v67, off
	global_store_b32 v[65:66], v68, off
.LBB1473_78:
	s_or_b32 exec_lo, exec_lo, s3
	s_waitcnt lgkmcnt(0)
	s_waitcnt_vscnt null, 0x0
	s_barrier
	buffer_gl0_inv
	ds_load_b128 v[83:86], v80
	ds_load_b128 v[87:90], v80 offset:16
	ds_load_b128 v[95:98], v80 offset:2064
	;; [unrolled: 1-line block ×3, first 2 shown]
	v_mov_b32_e32 v65, 0
	ds_load_b128 v[103:106], v80 offset:4112
	ds_load_b128 v[99:102], v80 offset:4096
	;; [unrolled: 1-line block ×4, first 2 shown]
	v_mov_b32_e32 v66, v65
	v_mov_b32_e32 v67, v65
	;; [unrolled: 1-line block ×7, first 2 shown]
	s_waitcnt lgkmcnt(6)
	s_delay_alu instid0(VALU_DEP_1)
	v_wmma_f32_16x16x16_bf16 v[65:72], v[57:64], v[83:90], v[65:72]
	ds_load_b128 v[61:64], v80 offset:8208
	ds_load_b128 v[57:60], v80 offset:8192
	s_waitcnt lgkmcnt(6)
	v_wmma_f32_16x16x16_bf16 v[65:72], v[41:48], v[91:98], v[65:72]
	ds_load_b128 v[45:48], v80 offset:10256
	ds_load_b128 v[41:44], v80 offset:10240
	s_waitcnt lgkmcnt(6)
	;; [unrolled: 4-line block ×4, first 2 shown]
	v_wmma_f32_16x16x16_bf16 v[65:72], v[1:8], v[57:64], v[65:72]
	s_waitcnt lgkmcnt(4)
	s_delay_alu instid0(VALU_DEP_1) | instskip(SKIP_1) | instid1(VALU_DEP_1)
	v_wmma_f32_16x16x16_bf16 v[65:72], v[9:16], v[41:48], v[65:72]
	s_waitcnt lgkmcnt(2)
	v_wmma_f32_16x16x16_bf16 v[65:72], v[17:24], v[33:40], v[65:72]
	s_waitcnt lgkmcnt(0)
	s_delay_alu instid0(VALU_DEP_1) | instskip(NEXT) | instid1(VALU_DEP_1)
	v_wmma_f32_16x16x16_bf16 v[65:72], v[49:56], v[25:32], v[65:72]
	v_and_b32_e32 v1, 0x7f800000, v65
	s_delay_alu instid0(VALU_DEP_1) | instskip(SKIP_1) | instid1(SALU_CYCLE_1)
	v_cmp_ne_u32_e32 vcc_lo, 0x7f800000, v1
                                        ; implicit-def: $vgpr1
	s_and_saveexec_b32 s3, vcc_lo
	s_xor_b32 s3, exec_lo, s3
; %bb.79:
	v_bfe_u32 v1, v65, 16, 1
	s_delay_alu instid0(VALU_DEP_1)
	v_add3_u32 v1, v65, v1, 0x7fff
; %bb.80:
	s_and_not1_saveexec_b32 s3, s3
; %bb.81:
	v_and_b32_e32 v1, 0xffff, v65
	v_or_b32_e32 v2, 0x10000, v65
	s_delay_alu instid0(VALU_DEP_2) | instskip(NEXT) | instid1(VALU_DEP_2)
	v_cmp_eq_u32_e32 vcc_lo, 0, v1
	v_cndmask_b32_e32 v1, v2, v65, vcc_lo
; %bb.82:
	s_or_b32 exec_lo, exec_lo, s3
	v_and_b32_e32 v2, 0x7f800000, v66
	s_delay_alu instid0(VALU_DEP_1) | instskip(SKIP_1) | instid1(SALU_CYCLE_1)
	v_cmp_ne_u32_e32 vcc_lo, 0x7f800000, v2
                                        ; implicit-def: $vgpr2
	s_and_saveexec_b32 s3, vcc_lo
	s_xor_b32 s3, exec_lo, s3
; %bb.83:
	v_bfe_u32 v2, v66, 16, 1
	s_delay_alu instid0(VALU_DEP_1)
	v_add3_u32 v2, v66, v2, 0x7fff
; %bb.84:
	s_and_not1_saveexec_b32 s3, s3
; %bb.85:
	v_and_b32_e32 v2, 0xffff, v66
	v_or_b32_e32 v3, 0x10000, v66
	s_delay_alu instid0(VALU_DEP_2) | instskip(NEXT) | instid1(VALU_DEP_2)
	v_cmp_eq_u32_e32 vcc_lo, 0, v2
	v_cndmask_b32_e32 v2, v3, v66, vcc_lo
; %bb.86:
	s_or_b32 exec_lo, exec_lo, s3
	v_and_b32_e32 v3, 0x7f800000, v67
	s_delay_alu instid0(VALU_DEP_1) | instskip(SKIP_1) | instid1(SALU_CYCLE_1)
	v_cmp_ne_u32_e32 vcc_lo, 0x7f800000, v3
                                        ; implicit-def: $vgpr3
	s_and_saveexec_b32 s3, vcc_lo
	s_xor_b32 s3, exec_lo, s3
; %bb.87:
	v_bfe_u32 v3, v67, 16, 1
	s_delay_alu instid0(VALU_DEP_1)
	v_add3_u32 v3, v67, v3, 0x7fff
; %bb.88:
	s_and_not1_saveexec_b32 s3, s3
; %bb.89:
	v_and_b32_e32 v3, 0xffff, v67
	v_or_b32_e32 v4, 0x10000, v67
	s_delay_alu instid0(VALU_DEP_2) | instskip(NEXT) | instid1(VALU_DEP_2)
	v_cmp_eq_u32_e32 vcc_lo, 0, v3
	v_cndmask_b32_e32 v3, v4, v67, vcc_lo
; %bb.90:
	s_or_b32 exec_lo, exec_lo, s3
	v_and_b32_e32 v4, 0x7f800000, v68
	s_delay_alu instid0(VALU_DEP_1) | instskip(SKIP_1) | instid1(SALU_CYCLE_1)
	v_cmp_ne_u32_e32 vcc_lo, 0x7f800000, v4
                                        ; implicit-def: $vgpr4
	s_and_saveexec_b32 s3, vcc_lo
	s_xor_b32 s3, exec_lo, s3
; %bb.91:
	v_bfe_u32 v4, v68, 16, 1
	s_delay_alu instid0(VALU_DEP_1)
	v_add3_u32 v4, v68, v4, 0x7fff
; %bb.92:
	s_and_not1_saveexec_b32 s3, s3
; %bb.93:
	v_and_b32_e32 v4, 0xffff, v68
	v_or_b32_e32 v5, 0x10000, v68
	s_delay_alu instid0(VALU_DEP_2) | instskip(NEXT) | instid1(VALU_DEP_2)
	v_cmp_eq_u32_e32 vcc_lo, 0, v4
	v_cndmask_b32_e32 v4, v5, v68, vcc_lo
; %bb.94:
	s_or_b32 exec_lo, exec_lo, s3
	v_and_b32_e32 v5, 0x7f800000, v69
	s_delay_alu instid0(VALU_DEP_1) | instskip(SKIP_1) | instid1(SALU_CYCLE_1)
	v_cmp_ne_u32_e32 vcc_lo, 0x7f800000, v5
                                        ; implicit-def: $vgpr5
	s_and_saveexec_b32 s3, vcc_lo
	s_xor_b32 s3, exec_lo, s3
; %bb.95:
	v_bfe_u32 v5, v69, 16, 1
	s_delay_alu instid0(VALU_DEP_1)
	v_add3_u32 v5, v69, v5, 0x7fff
; %bb.96:
	s_and_not1_saveexec_b32 s3, s3
; %bb.97:
	v_and_b32_e32 v5, 0xffff, v69
	v_or_b32_e32 v6, 0x10000, v69
	s_delay_alu instid0(VALU_DEP_2) | instskip(NEXT) | instid1(VALU_DEP_2)
	v_cmp_eq_u32_e32 vcc_lo, 0, v5
	v_cndmask_b32_e32 v5, v6, v69, vcc_lo
; %bb.98:
	s_or_b32 exec_lo, exec_lo, s3
	v_and_b32_e32 v6, 0x7f800000, v70
	s_delay_alu instid0(VALU_DEP_1) | instskip(SKIP_1) | instid1(SALU_CYCLE_1)
	v_cmp_ne_u32_e32 vcc_lo, 0x7f800000, v6
                                        ; implicit-def: $vgpr6
	s_and_saveexec_b32 s3, vcc_lo
	s_xor_b32 s3, exec_lo, s3
; %bb.99:
	v_bfe_u32 v6, v70, 16, 1
	s_delay_alu instid0(VALU_DEP_1)
	v_add3_u32 v6, v70, v6, 0x7fff
; %bb.100:
	s_and_not1_saveexec_b32 s3, s3
; %bb.101:
	v_and_b32_e32 v6, 0xffff, v70
	v_or_b32_e32 v7, 0x10000, v70
	s_delay_alu instid0(VALU_DEP_2) | instskip(NEXT) | instid1(VALU_DEP_2)
	v_cmp_eq_u32_e32 vcc_lo, 0, v6
	v_cndmask_b32_e32 v6, v7, v70, vcc_lo
; %bb.102:
	s_or_b32 exec_lo, exec_lo, s3
	v_and_b32_e32 v7, 0x7f800000, v71
	s_delay_alu instid0(VALU_DEP_1) | instskip(SKIP_1) | instid1(SALU_CYCLE_1)
	v_cmp_ne_u32_e32 vcc_lo, 0x7f800000, v7
                                        ; implicit-def: $vgpr7
	s_and_saveexec_b32 s3, vcc_lo
	s_xor_b32 s3, exec_lo, s3
; %bb.103:
	v_bfe_u32 v7, v71, 16, 1
	s_delay_alu instid0(VALU_DEP_1)
	v_add3_u32 v7, v71, v7, 0x7fff
; %bb.104:
	s_and_not1_saveexec_b32 s3, s3
; %bb.105:
	v_and_b32_e32 v7, 0xffff, v71
	v_or_b32_e32 v8, 0x10000, v71
	s_delay_alu instid0(VALU_DEP_2) | instskip(NEXT) | instid1(VALU_DEP_2)
	v_cmp_eq_u32_e32 vcc_lo, 0, v7
	v_cndmask_b32_e32 v7, v8, v71, vcc_lo
; %bb.106:
	s_or_b32 exec_lo, exec_lo, s3
	v_and_b32_e32 v8, 0x7f800000, v72
	s_delay_alu instid0(VALU_DEP_1) | instskip(SKIP_1) | instid1(SALU_CYCLE_1)
	v_cmp_ne_u32_e32 vcc_lo, 0x7f800000, v8
                                        ; implicit-def: $vgpr8
	s_and_saveexec_b32 s3, vcc_lo
	s_xor_b32 s3, exec_lo, s3
; %bb.107:
	v_bfe_u32 v8, v72, 16, 1
	s_delay_alu instid0(VALU_DEP_1)
	v_add3_u32 v8, v72, v8, 0x7fff
                                        ; implicit-def: $vgpr65_vgpr66_vgpr67_vgpr68_vgpr69_vgpr70_vgpr71_vgpr72
; %bb.108:
	s_and_not1_saveexec_b32 s3, s3
; %bb.109:
	v_and_b32_e32 v8, 0xffff, v72
	v_or_b32_e32 v9, 0x10000, v72
	s_delay_alu instid0(VALU_DEP_2) | instskip(NEXT) | instid1(VALU_DEP_2)
	v_cmp_eq_u32_e32 vcc_lo, 0, v8
	v_cndmask_b32_e32 v8, v9, v72, vcc_lo
; %bb.110:
	s_or_b32 exec_lo, exec_lo, s3
	s_delay_alu instid0(VALU_DEP_1)
	v_perm_b32 v7, v8, v7, 0x7060302
	v_perm_b32 v6, v6, v5, 0x7060302
	;; [unrolled: 1-line block ×4, first 2 shown]
	s_barrier
	buffer_gl0_inv
	v_cmp_eq_u32_e32 vcc_lo, 1, v78
	ds_store_b128 v76, v[4:7]
	s_waitcnt lgkmcnt(0)
	s_barrier
	buffer_gl0_inv
	ds_load_b128 v[1:4], v82
	ds_load_b128 v[5:8], v82 offset:16
	v_cmp_eq_u32_e64 s3, 1, v79
	v_cmp_eq_u32_e64 s4, 2, v78
	;; [unrolled: 1-line block ×5, first 2 shown]
	s_waitcnt lgkmcnt(1)
	v_lshrrev_b32_e32 v9, 16, v1
	s_waitcnt lgkmcnt(0)
	v_lshrrev_b32_e32 v13, 16, v5
	v_lshrrev_b32_e32 v10, 16, v2
	;; [unrolled: 1-line block ×4, first 2 shown]
	v_cndmask_b32_e64 v19, v1, v9, s3
	v_cndmask_b32_e32 v18, v5, v13, vcc_lo
	v_cndmask_b32_e64 v20, v5, v13, s3
	v_cndmask_b32_e32 v17, v1, v9, vcc_lo
	v_cmp_eq_u32_e32 vcc_lo, 2, v79
	v_lshrrev_b32_e32 v15, 16, v7
	v_cmp_eq_u32_e64 s3, 1, v77
	v_lshrrev_b32_e32 v12, 16, v4
	v_lshrrev_b32_e32 v16, 16, v8
	v_cndmask_b32_e32 v20, v20, v6, vcc_lo
	v_cndmask_b32_e64 v17, v17, v2, s4
	v_cndmask_b32_e32 v19, v19, v2, vcc_lo
	v_cndmask_b32_e64 v18, v18, v6, s4
	v_cmp_eq_u32_e32 vcc_lo, 4, v78
	v_cmp_eq_u32_e64 s4, 3, v79
	v_cndmask_b32_e64 v17, v17, v10, s5
	v_cndmask_b32_e64 v21, v1, v9, s3
	;; [unrolled: 1-line block ×5, first 2 shown]
	v_cndmask_b32_e32 v17, v17, v3, vcc_lo
	v_cndmask_b32_e64 v20, v20, v14, s4
	v_cndmask_b32_e32 v18, v18, v7, vcc_lo
	v_cmp_eq_u32_e32 vcc_lo, 4, v79
	v_cmp_eq_u32_e64 s4, 5, v79
	v_cmp_eq_u32_e64 s3, 2, v81
	v_cndmask_b32_e64 v21, v21, v2, s7
	v_cmp_eq_u32_e64 s5, 5, v78
	v_cndmask_b32_e32 v19, v19, v3, vcc_lo
	v_cndmask_b32_e32 v20, v20, v7, vcc_lo
	v_cmp_eq_u32_e32 vcc_lo, 6, v79
	s_delay_alu instid0(VALU_DEP_4) | instskip(NEXT) | instid1(VALU_DEP_4)
	v_cndmask_b32_e64 v17, v17, v11, s5
	v_cndmask_b32_e64 v19, v19, v11, s4
	s_delay_alu instid0(VALU_DEP_4) | instskip(SKIP_1) | instid1(VALU_DEP_3)
	v_cndmask_b32_e64 v20, v20, v15, s4
	v_cmp_eq_u32_e64 s4, 1, v81
	v_cndmask_b32_e32 v19, v19, v4, vcc_lo
	v_cndmask_b32_e64 v18, v18, v15, s5
	s_delay_alu instid0(VALU_DEP_3)
	v_cndmask_b32_e64 v1, v1, v9, s4
	v_cndmask_b32_e64 v5, v5, v13, s4
	v_cmp_eq_u32_e64 s4, 3, v77
	v_cndmask_b32_e64 v13, v22, v6, s7
	v_cmp_eq_u32_e64 s7, 3, v81
	v_cndmask_b32_e64 v1, v1, v2, s3
	v_cndmask_b32_e64 v2, v5, v6, s3
	;; [unrolled: 1-line block ×3, first 2 shown]
	v_cmp_eq_u32_e64 s3, 4, v77
	v_cndmask_b32_e64 v6, v13, v14, s4
	v_cndmask_b32_e64 v1, v1, v10, s7
	v_cmp_eq_u32_e64 s4, 4, v81
	v_cndmask_b32_e64 v2, v2, v14, s7
	v_cndmask_b32_e64 v5, v9, v3, s3
	;; [unrolled: 3-line block ×3, first 2 shown]
	v_cndmask_b32_e64 v2, v2, v7, s4
	v_cmp_eq_u32_e64 s3, 5, v81
	v_cmp_eq_u32_e64 s5, 6, v78
	v_cndmask_b32_e64 v5, v5, v11, s7
	v_cmp_eq_u32_e64 s4, 6, v77
	v_cndmask_b32_e64 v3, v6, v15, s7
	v_cndmask_b32_e64 v1, v1, v11, s3
	v_cmp_eq_u32_e64 s7, 6, v81
	v_cndmask_b32_e64 v2, v2, v15, s3
	v_cndmask_b32_e64 v17, v17, v4, s5
	v_cndmask_b32_e64 v18, v18, v8, s5
	v_cmp_eq_u32_e64 s5, 7, v78
	v_cndmask_b32_e64 v5, v5, v4, s4
	;; [unrolled: 4-line block ×3, first 2 shown]
	v_cmp_eq_u32_e64 s4, 7, v77
	v_cndmask_b32_e32 v4, v20, v8, vcc_lo
	v_cndmask_b32_e64 v17, v17, v12, s5
	v_cndmask_b32_e64 v19, v19, v12, s6
	;; [unrolled: 1-line block ×8, first 2 shown]
	v_cmp_gt_u32_e32 vcc_lo, 32, v0
	v_perm_b32 v4, v2, v1, 0x5040100
	v_perm_b32 v3, v3, v5, 0x5040100
	;; [unrolled: 1-line block ×4, first 2 shown]
	s_and_b32 s2, vcc_lo, s2
	ds_store_b128 v76, v[1:4]
	s_waitcnt lgkmcnt(0)
	s_barrier
	buffer_gl0_inv
	s_and_saveexec_b32 s3, s2
	s_cbranch_execz .LBB1473_2
; %bb.111:
	s_load_b64 s[0:1], s[0:1], 0x68
	s_lshl_b32 s4, s34, 6
	v_or_b32_e32 v2, s31, v75
	s_mul_i32 s2, s4, s30
	v_lshlrev_b32_e32 v1, 10, v0
	s_mul_i32 s2, s2, s8
	v_lshlrev_b32_e32 v3, 4, v74
	v_mul_lo_u32 v0, v2, s4
	s_ashr_i32 s3, s2, 31
	v_lshlrev_b32_e32 v4, 6, v75
	v_and_b32_e32 v1, 0x3800, v1
	v_or_b32_e32 v5, 2, v2
	s_lshl_b64 s[2:3], s[2:3], 1
	v_or_b32_e32 v6, 4, v2
	v_or_b32_e32 v7, 6, v2
	v_or3_b32 v12, v1, v3, v4
	v_ashrrev_i32_e32 v1, 31, v0
	v_mul_lo_u32 v2, v5, s4
	v_mul_lo_u32 v16, v6, s4
	;; [unrolled: 1-line block ×3, first 2 shown]
	s_waitcnt lgkmcnt(0)
	s_add_u32 s2, s0, s2
	s_addc_u32 s3, s1, s3
	s_lshl_b32 s0, s14, 6
	v_lshlrev_b64 v[0:1], 1, v[0:1]
	s_ashr_i32 s1, s0, 31
	v_ashrrev_i32_e32 v3, 31, v2
	s_lshl_b64 s[0:1], s[0:1], 1
	v_ashrrev_i32_e32 v17, 31, v16
	s_add_u32 s0, s2, s0
	s_addc_u32 s1, s3, s1
	v_add_co_u32 v24, s0, s0, v73
	s_delay_alu instid0(VALU_DEP_1) | instskip(SKIP_1) | instid1(VALU_DEP_3)
	v_add_co_ci_u32_e64 v25, null, s1, 0, s0
	v_lshlrev_b64 v[22:23], 1, v[2:3]
	v_add_co_u32 v18, vcc_lo, v24, v0
	s_delay_alu instid0(VALU_DEP_3)
	v_add_co_ci_u32_e32 v19, vcc_lo, v25, v1, vcc_lo
	ds_load_b128 v[0:3], v12
	ds_load_b128 v[4:7], v12 offset:128
	ds_load_b128 v[8:11], v12 offset:256
	;; [unrolled: 1-line block ×3, first 2 shown]
	v_ashrrev_i32_e32 v21, 31, v20
	v_lshlrev_b64 v[16:17], 1, v[16:17]
	v_add_co_u32 v22, vcc_lo, v24, v22
	v_add_co_ci_u32_e32 v23, vcc_lo, v25, v23, vcc_lo
	s_delay_alu instid0(VALU_DEP_4) | instskip(NEXT) | instid1(VALU_DEP_4)
	v_lshlrev_b64 v[20:21], 1, v[20:21]
	v_add_co_u32 v16, vcc_lo, v24, v16
	v_add_co_ci_u32_e32 v17, vcc_lo, v25, v17, vcc_lo
	s_delay_alu instid0(VALU_DEP_3) | instskip(NEXT) | instid1(VALU_DEP_4)
	v_add_co_u32 v20, vcc_lo, v24, v20
	v_add_co_ci_u32_e32 v21, vcc_lo, v25, v21, vcc_lo
	s_waitcnt lgkmcnt(3)
	global_store_b128 v[18:19], v[0:3], off
	s_waitcnt lgkmcnt(2)
	global_store_b128 v[22:23], v[4:7], off
	s_waitcnt lgkmcnt(1)
	global_store_b128 v[16:17], v[8:11], off
	s_waitcnt lgkmcnt(0)
	global_store_b128 v[20:21], v[12:15], off
	s_nop 0
	s_sendmsg sendmsg(MSG_DEALLOC_VGPRS)
	s_endpgm
	.section	.rodata,"a",@progbits
	.p2align	6, 0x0
	.amdhsa_kernel _Z39paged_attention_ll4mi_QKV_mfma16_kernelI14__hip_bfloat16hLN4vllm18Fp8KVCacheDataTypeE1ES0_Li32ELi64ELi256ELb1ELi8EL8MFMAType1EEvPKT_PKT0_S9_ifPKiSB_SB_iPKfiiiPfSE_PS4_PT2_iSD_SD_
		.amdhsa_group_segment_fixed_size 17472
		.amdhsa_private_segment_fixed_size 0
		.amdhsa_kernarg_size 400
		.amdhsa_user_sgpr_count 13
		.amdhsa_user_sgpr_dispatch_ptr 0
		.amdhsa_user_sgpr_queue_ptr 0
		.amdhsa_user_sgpr_kernarg_segment_ptr 1
		.amdhsa_user_sgpr_dispatch_id 0
		.amdhsa_user_sgpr_private_segment_size 0
		.amdhsa_wavefront_size32 1
		.amdhsa_uses_dynamic_stack 0
		.amdhsa_enable_private_segment 0
		.amdhsa_system_sgpr_workgroup_id_x 1
		.amdhsa_system_sgpr_workgroup_id_y 1
		.amdhsa_system_sgpr_workgroup_id_z 1
		.amdhsa_system_sgpr_workgroup_info 0
		.amdhsa_system_vgpr_workitem_id 0
		.amdhsa_next_free_vgpr 124
		.amdhsa_next_free_sgpr 40
		.amdhsa_reserve_vcc 1
		.amdhsa_float_round_mode_32 0
		.amdhsa_float_round_mode_16_64 0
		.amdhsa_float_denorm_mode_32 3
		.amdhsa_float_denorm_mode_16_64 3
		.amdhsa_dx10_clamp 1
		.amdhsa_ieee_mode 1
		.amdhsa_fp16_overflow 0
		.amdhsa_workgroup_processor_mode 1
		.amdhsa_memory_ordered 1
		.amdhsa_forward_progress 0
		.amdhsa_shared_vgpr_count 0
		.amdhsa_exception_fp_ieee_invalid_op 0
		.amdhsa_exception_fp_denorm_src 0
		.amdhsa_exception_fp_ieee_div_zero 0
		.amdhsa_exception_fp_ieee_overflow 0
		.amdhsa_exception_fp_ieee_underflow 0
		.amdhsa_exception_fp_ieee_inexact 0
		.amdhsa_exception_int_div_zero 0
	.end_amdhsa_kernel
	.section	.text._Z39paged_attention_ll4mi_QKV_mfma16_kernelI14__hip_bfloat16hLN4vllm18Fp8KVCacheDataTypeE1ES0_Li32ELi64ELi256ELb1ELi8EL8MFMAType1EEvPKT_PKT0_S9_ifPKiSB_SB_iPKfiiiPfSE_PS4_PT2_iSD_SD_,"axG",@progbits,_Z39paged_attention_ll4mi_QKV_mfma16_kernelI14__hip_bfloat16hLN4vllm18Fp8KVCacheDataTypeE1ES0_Li32ELi64ELi256ELb1ELi8EL8MFMAType1EEvPKT_PKT0_S9_ifPKiSB_SB_iPKfiiiPfSE_PS4_PT2_iSD_SD_,comdat
.Lfunc_end1473:
	.size	_Z39paged_attention_ll4mi_QKV_mfma16_kernelI14__hip_bfloat16hLN4vllm18Fp8KVCacheDataTypeE1ES0_Li32ELi64ELi256ELb1ELi8EL8MFMAType1EEvPKT_PKT0_S9_ifPKiSB_SB_iPKfiiiPfSE_PS4_PT2_iSD_SD_, .Lfunc_end1473-_Z39paged_attention_ll4mi_QKV_mfma16_kernelI14__hip_bfloat16hLN4vllm18Fp8KVCacheDataTypeE1ES0_Li32ELi64ELi256ELb1ELi8EL8MFMAType1EEvPKT_PKT0_S9_ifPKiSB_SB_iPKfiiiPfSE_PS4_PT2_iSD_SD_
                                        ; -- End function
	.section	.AMDGPU.csdata,"",@progbits
; Kernel info:
; codeLenInByte = 8732
; NumSgprs: 42
; NumVgprs: 124
; ScratchSize: 0
; MemoryBound: 0
; FloatMode: 240
; IeeeMode: 1
; LDSByteSize: 17472 bytes/workgroup (compile time only)
; SGPRBlocks: 5
; VGPRBlocks: 15
; NumSGPRsForWavesPerEU: 42
; NumVGPRsForWavesPerEU: 124
; Occupancy: 10
; WaveLimiterHint : 1
; COMPUTE_PGM_RSRC2:SCRATCH_EN: 0
; COMPUTE_PGM_RSRC2:USER_SGPR: 13
; COMPUTE_PGM_RSRC2:TRAP_HANDLER: 0
; COMPUTE_PGM_RSRC2:TGID_X_EN: 1
; COMPUTE_PGM_RSRC2:TGID_Y_EN: 1
; COMPUTE_PGM_RSRC2:TGID_Z_EN: 1
; COMPUTE_PGM_RSRC2:TIDIG_COMP_CNT: 0
	.section	.text._Z39paged_attention_ll4mi_QKV_mfma16_kernelI14__hip_bfloat16hLN4vllm18Fp8KVCacheDataTypeE1ES0_Li32ELi64ELi256ELb1ELi9EL8MFMAType1EEvPKT_PKT0_S9_ifPKiSB_SB_iPKfiiiPfSE_PS4_PT2_iSD_SD_,"axG",@progbits,_Z39paged_attention_ll4mi_QKV_mfma16_kernelI14__hip_bfloat16hLN4vllm18Fp8KVCacheDataTypeE1ES0_Li32ELi64ELi256ELb1ELi9EL8MFMAType1EEvPKT_PKT0_S9_ifPKiSB_SB_iPKfiiiPfSE_PS4_PT2_iSD_SD_,comdat
	.protected	_Z39paged_attention_ll4mi_QKV_mfma16_kernelI14__hip_bfloat16hLN4vllm18Fp8KVCacheDataTypeE1ES0_Li32ELi64ELi256ELb1ELi9EL8MFMAType1EEvPKT_PKT0_S9_ifPKiSB_SB_iPKfiiiPfSE_PS4_PT2_iSD_SD_ ; -- Begin function _Z39paged_attention_ll4mi_QKV_mfma16_kernelI14__hip_bfloat16hLN4vllm18Fp8KVCacheDataTypeE1ES0_Li32ELi64ELi256ELb1ELi9EL8MFMAType1EEvPKT_PKT0_S9_ifPKiSB_SB_iPKfiiiPfSE_PS4_PT2_iSD_SD_
	.globl	_Z39paged_attention_ll4mi_QKV_mfma16_kernelI14__hip_bfloat16hLN4vllm18Fp8KVCacheDataTypeE1ES0_Li32ELi64ELi256ELb1ELi9EL8MFMAType1EEvPKT_PKT0_S9_ifPKiSB_SB_iPKfiiiPfSE_PS4_PT2_iSD_SD_
	.p2align	8
	.type	_Z39paged_attention_ll4mi_QKV_mfma16_kernelI14__hip_bfloat16hLN4vllm18Fp8KVCacheDataTypeE1ES0_Li32ELi64ELi256ELb1ELi9EL8MFMAType1EEvPKT_PKT0_S9_ifPKiSB_SB_iPKfiiiPfSE_PS4_PT2_iSD_SD_,@function
_Z39paged_attention_ll4mi_QKV_mfma16_kernelI14__hip_bfloat16hLN4vllm18Fp8KVCacheDataTypeE1ES0_Li32ELi64ELi256ELb1ELi9EL8MFMAType1EEvPKT_PKT0_S9_ifPKiSB_SB_iPKfiiiPfSE_PS4_PT2_iSD_SD_: ; @_Z39paged_attention_ll4mi_QKV_mfma16_kernelI14__hip_bfloat16hLN4vllm18Fp8KVCacheDataTypeE1ES0_Li32ELi64ELi256ELb1ELi9EL8MFMAType1EEvPKT_PKT0_S9_ifPKiSB_SB_iPKfiiiPfSE_PS4_PT2_iSD_SD_
; %bb.0:
	s_load_b64 s[2:3], s[0:1], 0x30
	s_mov_b32 s34, s13
	s_waitcnt lgkmcnt(0)
	s_cmp_lg_u64 s[2:3], 0
	s_cselect_b32 s8, -1, 0
	s_ashr_i32 s35, s13, 31
	s_cmp_eq_u64 s[2:3], 0
	s_cbranch_scc1 .LBB1474_3
; %bb.1:
	s_lshl_b64 s[4:5], s[34:35], 2
	s_delay_alu instid0(SALU_CYCLE_1) | instskip(SKIP_4) | instid1(SALU_CYCLE_1)
	s_add_u32 s4, s2, s4
	s_addc_u32 s5, s3, s5
	s_load_b64 s[4:5], s[4:5], 0x0
	s_waitcnt lgkmcnt(0)
	s_sub_i32 s4, s5, s4
	s_cmp_eq_u32 s4, 1
	s_cselect_b32 s4, -1, 0
	s_delay_alu instid0(SALU_CYCLE_1)
	s_and_not1_b32 vcc_lo, exec_lo, s4
	s_cbranch_vccz .LBB1474_4
.LBB1474_2:
	s_nop 0
	s_sendmsg sendmsg(MSG_DEALLOC_VGPRS)
	s_endpgm
.LBB1474_3:
.LBB1474_4:
	s_load_b64 s[4:5], s[0:1], 0x28
	s_lshl_b64 s[6:7], s[34:35], 2
	s_waitcnt lgkmcnt(0)
	s_add_u32 s4, s4, s6
	s_addc_u32 s5, s5, s7
	s_lshl_b32 s12, s14, 8
	s_load_b32 s24, s[4:5], 0x0
	s_waitcnt lgkmcnt(0)
	s_cmp_ge_i32 s12, s24
	s_cbranch_scc1 .LBB1474_2
; %bb.5:
	s_clause 0x1
	s_load_b128 s[20:23], s[0:1], 0x8
	s_load_b64 s[4:5], s[0:1], 0x20
	s_and_not1_b32 vcc_lo, exec_lo, s8
	s_cbranch_vccnz .LBB1474_7
; %bb.6:
	s_add_u32 s2, s2, s6
	s_addc_u32 s3, s3, s7
	s_load_b32 s3, s[2:3], 0x0
	s_branch .LBB1474_8
.LBB1474_7:
	s_mov_b32 s3, s34
.LBB1474_8:
	s_load_b128 s[16:19], s[0:1], 0x48
	v_lshrrev_b32_e32 v66, 5, v0
	v_bfe_u32 v74, v0, 4, 1
	v_and_b32_e32 v65, 15, v0
	v_and_b32_e32 v67, 31, v0
	;; [unrolled: 1-line block ×3, first 2 shown]
	s_mul_i32 s31, s15, 9
	v_lshl_or_b32 v1, v66, 1, v74
	v_lshlrev_b32_e32 v2, 3, v65
	v_cmp_gt_u32_e64 s2, 8, v65
	s_delay_alu instid0(VALU_DEP_3) | instskip(NEXT) | instid1(VALU_DEP_3)
	v_cmp_gt_u32_e32 vcc_lo, 9, v1
	v_lshlrev_b32_e32 v73, 1, v2
	s_delay_alu instid0(VALU_DEP_3) | instskip(NEXT) | instid1(SALU_CYCLE_1)
	s_and_b32 s7, s2, vcc_lo
	s_and_saveexec_b32 s6, s7
	s_cbranch_execz .LBB1474_10
; %bb.9:
	s_load_b64 s[8:9], s[0:1], 0x0
	v_add_lshl_u32 v2, v1, s31, 6
	s_waitcnt lgkmcnt(0)
	s_mul_hi_i32 s11, s3, s16
	s_mul_i32 s10, s3, s16
	v_lshlrev_b32_e32 v6, 10, v65
	s_lshl_b64 s[10:11], s[10:11], 1
	v_ashrrev_i32_e32 v3, 31, v2
	v_lshlrev_b32_e32 v1, 6, v1
	v_lshlrev_b32_e32 v7, 10, v75
	v_and_b32_e32 v6, 0x3800, v6
	s_delay_alu instid0(VALU_DEP_4) | instskip(NEXT) | instid1(VALU_DEP_2)
	v_lshlrev_b64 v[2:3], 1, v[2:3]
	v_or3_b32 v1, v6, v7, v1
	s_add_u32 s3, s8, s10
	s_addc_u32 s7, s9, s11
	s_delay_alu instid0(VALU_DEP_2) | instskip(NEXT) | instid1(VALU_DEP_3)
	v_add_co_u32 v2, vcc_lo, s3, v2
	v_add_co_ci_u32_e32 v3, vcc_lo, s7, v3, vcc_lo
	s_delay_alu instid0(VALU_DEP_2) | instskip(NEXT) | instid1(VALU_DEP_2)
	v_add_co_u32 v2, vcc_lo, v2, v73
	v_add_co_ci_u32_e32 v3, vcc_lo, 0, v3, vcc_lo
	global_load_b128 v[2:5], v[2:3], off
	s_waitcnt vmcnt(0)
	ds_store_b128 v1, v[2:5]
.LBB1474_10:
	s_or_b32 exec_lo, exec_lo, s6
	v_and_b32_e32 v1, 0xef, v0
	s_waitcnt lgkmcnt(0)
	s_add_i32 s3, s24, 31
	s_clause 0x1
	s_load_b32 s6, s[0:1], 0x38
	s_load_b32 s19, s[0:1], 0x1c
	s_ashr_i32 s7, s3, 31
	v_add_nc_u32_e32 v1, s12, v1
	s_lshr_b32 s7, s7, 27
	s_waitcnt lgkmcnt(0)
	s_add_i32 s3, s3, s7
	s_barrier
	v_ashrrev_i32_e32 v2, 31, v1
	v_or_b32_e32 v3, 16, v1
	s_ashr_i32 s3, s3, 5
	v_cmp_gt_i32_e32 vcc_lo, s24, v1
	s_add_i32 s3, s3, -1
	v_lshrrev_b32_e32 v2, 27, v2
	buffer_gl0_inv
	s_mul_i32 s27, s15, s18
	v_add_nc_u32_e32 v4, v1, v2
	s_mul_i32 s6, s34, s6
	s_delay_alu instid0(SALU_CYCLE_1) | instskip(NEXT) | instid1(VALU_DEP_1)
	s_ashr_i32 s7, s6, 31
	v_ashrrev_i32_e32 v4, 5, v4
	v_add_nc_u32_e32 v2, v3, v2
	s_lshl_b64 s[6:7], s[6:7], 2
	s_delay_alu instid0(SALU_CYCLE_1) | instskip(NEXT) | instid1(VALU_DEP_2)
	s_add_u32 s26, s4, s6
	v_cndmask_b32_e32 v1, s3, v4, vcc_lo
	s_delay_alu instid0(VALU_DEP_2)
	v_ashrrev_i32_e32 v2, 5, v2
	v_cmp_gt_i32_e32 vcc_lo, s24, v3
	s_addc_u32 s25, s5, s7
	s_ashr_i32 s28, s27, 31
	s_add_u32 s4, s20, s27
	s_addc_u32 s5, s21, s28
	v_cndmask_b32_e32 v3, s3, v2, vcc_lo
	v_ashrrev_i32_e32 v2, 31, v1
	s_lshl_b32 s6, s14, 3
	s_delay_alu instid0(SALU_CYCLE_1) | instskip(NEXT) | instid1(VALU_DEP_2)
	s_ashr_i32 s7, s6, 31
	v_ashrrev_i32_e32 v4, 31, v3
	s_delay_alu instid0(VALU_DEP_2) | instskip(SKIP_1) | instid1(SALU_CYCLE_1)
	v_lshlrev_b64 v[1:2], 2, v[1:2]
	s_lshl_b64 s[6:7], s[6:7], 2
	s_add_u32 s6, s26, s6
	s_delay_alu instid0(VALU_DEP_2) | instskip(SKIP_1) | instid1(VALU_DEP_2)
	v_lshlrev_b64 v[3:4], 2, v[3:4]
	s_addc_u32 s7, s25, s7
	v_add_co_u32 v1, vcc_lo, s26, v1
	v_add_co_ci_u32_e32 v2, vcc_lo, s25, v2, vcc_lo
	s_delay_alu instid0(VALU_DEP_3) | instskip(NEXT) | instid1(VALU_DEP_4)
	v_add_co_u32 v3, vcc_lo, s26, v3
	v_add_co_ci_u32_e32 v4, vcc_lo, s25, v4, vcc_lo
	s_clause 0x1
	global_load_b32 v5, v[1:2], off
	global_load_b32 v6, v[3:4], off
	s_or_b32 s8, s12, 32
	s_delay_alu instid0(SALU_CYCLE_1) | instskip(SKIP_2) | instid1(SALU_CYCLE_1)
	s_ashr_i32 s9, s8, 5
	s_cmp_lt_i32 s8, s24
	s_cselect_b32 s8, s9, s3
	s_ashr_i32 s9, s8, 31
	s_delay_alu instid0(SALU_CYCLE_1) | instskip(NEXT) | instid1(SALU_CYCLE_1)
	s_lshl_b64 s[8:9], s[8:9], 2
	s_add_u32 s8, s26, s8
	s_addc_u32 s9, s25, s9
	s_or_b32 s10, s12, 64
	s_delay_alu instid0(SALU_CYCLE_1) | instskip(SKIP_2) | instid1(SALU_CYCLE_1)
	s_ashr_i32 s11, s10, 5
	s_cmp_lt_i32 s10, s24
	s_cselect_b32 s10, s11, s3
	s_ashr_i32 s11, s10, 31
	s_delay_alu instid0(SALU_CYCLE_1) | instskip(NEXT) | instid1(SALU_CYCLE_1)
	s_lshl_b64 s[10:11], s[10:11], 2
	s_add_u32 s10, s26, s10
	s_addc_u32 s11, s25, s11
	;; [unrolled: 10-line block ×5, first 2 shown]
	s_clause 0x5
	s_load_b32 s21, s[6:7], 0x0
	s_load_b32 s13, s[8:9], 0x0
	;; [unrolled: 1-line block ×6, first 2 shown]
	s_or_b32 s8, s12, 0xc0
	s_delay_alu instid0(SALU_CYCLE_1) | instskip(SKIP_2) | instid1(SALU_CYCLE_1)
	s_ashr_i32 s9, s8, 5
	s_cmp_lt_i32 s8, s24
	s_cselect_b32 s36, s9, s3
	s_ashr_i32 s37, s36, 31
	s_delay_alu instid0(SALU_CYCLE_1) | instskip(NEXT) | instid1(SALU_CYCLE_1)
	s_lshl_b64 s[36:37], s[36:37], 2
	s_add_u32 s36, s26, s36
	s_addc_u32 s37, s25, s37
	s_or_b32 s29, s12, 0xe0
	s_delay_alu instid0(SALU_CYCLE_1)
	s_ashr_i32 s30, s29, 5
	s_cmp_lt_i32 s29, s24
	s_waitcnt vmcnt(1)
	v_mad_i64_i32 v[1:2], null, v5, s17, s[4:5]
	s_waitcnt vmcnt(0)
	v_mad_i64_i32 v[3:4], null, v6, s17, s[4:5]
	s_mov_b32 s4, 0
	s_delay_alu instid0(SALU_CYCLE_1)
	s_mov_b32 s5, s4
	s_mov_b32 s6, s4
	;; [unrolled: 1-line block ×7, first 2 shown]
	v_lshlrev_b32_e32 v5, 4, v65
	v_dual_mov_b32 v107, s11 :: v_dual_mov_b32 v102, s6
	v_mov_b32_e32 v100, s4
	v_mov_b32_e32 v106, s10
	s_delay_alu instid0(VALU_DEP_4)
	v_add_co_u32 v1, vcc_lo, v1, v5
	v_add_co_ci_u32_e32 v2, vcc_lo, 0, v2, vcc_lo
	v_add_co_u32 v3, vcc_lo, v3, v5
	v_add_co_ci_u32_e32 v4, vcc_lo, 0, v4, vcc_lo
	s_clause 0x7
	global_load_b128 v[49:52], v[1:2], off
	global_load_b128 v[53:56], v[1:2], off offset:512
	global_load_b128 v[76:79], v[3:4], off offset:256
	;; [unrolled: 1-line block ×7, first 2 shown]
	v_add_nc_u32_e32 v1, -9, v65
	v_cmp_gt_u32_e32 vcc_lo, 9, v65
	v_dual_mov_b32 v104, s8 :: v_dual_mov_b32 v103, s7
	v_dual_mov_b32 v101, s5 :: v_dual_lshlrev_b32 v2, 5, v65
	s_delay_alu instid0(VALU_DEP_4)
	v_cndmask_b32_e32 v1, v1, v65, vcc_lo
	v_mov_b32_e32 v105, s9
	s_cselect_b32 s4, s30, s3
	s_load_b32 s3, s[36:37], 0x0
	s_ashr_i32 s5, s4, 31
	v_lshlrev_b32_e32 v70, 6, v1
	s_lshl_b64 s[4:5], s[4:5], 2
	v_lshl_or_b32 v2, v66, 9, v2
	s_add_u32 s4, s26, s4
	s_addc_u32 s5, s25, s5
	ds_load_b128 v[108:111], v70
	ds_load_b128 v[112:115], v70 offset:1024
	s_load_b32 s4, s[4:5], 0x0
	s_add_u32 s6, s22, s27
	s_addc_u32 s7, s23, s28
	v_add_co_u32 v9, s6, s6, v2
	s_delay_alu instid0(VALU_DEP_1) | instskip(SKIP_1) | instid1(VALU_DEP_1)
	v_add_co_ci_u32_e64 v10, null, s7, 0, s6
	s_waitcnt lgkmcnt(0)
	v_mad_i64_i32 v[1:2], null, s21, s17, v[9:10]
	v_mad_i64_i32 v[3:4], null, s13, s17, v[9:10]
	;; [unrolled: 1-line block ×7, first 2 shown]
	s_clause 0x9
	global_load_b128 v[57:60], v[1:2], off
	global_load_b128 v[61:64], v[1:2], off offset:16
	global_load_b128 v[41:44], v[3:4], off
	global_load_b128 v[45:48], v[3:4], off offset:16
	;; [unrolled: 2-line block ×5, first 2 shown]
	v_mad_i64_i32 v[68:69], null, s4, s17, v[9:10]
	s_clause 0x3
	global_load_b128 v[9:12], v[13:14], off
	global_load_b128 v[13:16], v[13:14], off offset:16
	global_load_b128 v[17:20], v[21:22], off
	global_load_b128 v[21:24], v[21:22], off offset:16
	s_waitcnt vmcnt(20)
	v_wmma_f32_16x16x16_bf16 v[116:123], v[49:56], v[108:115], v[100:107]
	s_clause 0x1
	global_load_b128 v[49:52], v[68:69], off
	global_load_b128 v[53:56], v[68:69], off offset:16
	v_and_b32_e32 v68, 0xe0, v0
	v_mbcnt_lo_u32_b32 v69, -1, 0
	s_delay_alu instid0(VALU_DEP_2)
	v_add_nc_u32_e32 v68, s12, v68
	s_waitcnt vmcnt(20)
	v_wmma_f32_16x16x16_bf16 v[100:107], v[76:83], v[108:115], v[100:107]
	ds_load_b128 v[76:79], v70 offset:2048
	ds_load_b128 v[80:83], v70 offset:3072
	v_xor_b32_e32 v70, 16, v69
	s_waitcnt vmcnt(0) lgkmcnt(0)
	v_or_b32_e32 v68, v68, v74
	s_barrier
	buffer_gl0_inv
	v_cmp_gt_i32_e32 vcc_lo, 32, v70
	v_or_b32_e32 v71, 4, v68
	v_or_b32_e32 v72, 6, v68
	v_cmp_gt_i32_e64 s3, s24, v68
	v_or_b32_e32 v108, 8, v68
	v_or_b32_e32 v109, 10, v68
	v_cmp_gt_i32_e64 s4, s24, v71
	v_cmp_gt_i32_e64 s5, s24, v72
	s_delay_alu instid0(VALU_DEP_4) | instskip(NEXT) | instid1(VALU_DEP_4)
	v_cmp_gt_i32_e64 s6, s24, v108
	v_cmp_gt_i32_e64 s7, s24, v109
	v_wmma_f32_16x16x16_bf16 v[116:123], v[84:91], v[76:83], v[116:123]
	v_cndmask_b32_e32 v69, v69, v70, vcc_lo
	v_or_b32_e32 v70, 2, v68
	v_wmma_f32_16x16x16_bf16 v[100:107], v[92:99], v[76:83], v[100:107]
	v_or_b32_e32 v89, 22, v68
	v_dual_mul_f32 v80, s19, v121 :: v_dual_mul_f32 v81, s19, v120
	v_dual_mul_f32 v92, s19, v117 :: v_dual_mul_f32 v93, s19, v116
	s_delay_alu instid0(VALU_DEP_4)
	v_mul_f32_e32 v96, s19, v105
	v_cmp_gt_i32_e32 vcc_lo, s24, v70
	v_dual_mul_f32 v79, s19, v122 :: v_dual_mul_f32 v82, s19, v119
	v_dual_mul_f32 v83, s19, v118 :: v_dual_mul_f32 v94, s19, v107
	v_cndmask_b32_e64 v93, 0xff7fffff, v93, s3
	v_cndmask_b32_e32 v92, 0xff7fffff, v92, vcc_lo
	v_or_b32_e32 v84, 12, v68
	v_or_b32_e32 v85, 14, v68
	v_cndmask_b32_e64 v71, 0xff7fffff, v83, s4
	v_cndmask_b32_e64 v72, 0xff7fffff, v82, s5
	v_cmp_gt_i32_e64 s13, s24, v89
	v_lshlrev_b32_e32 v89, 2, v69
	v_max3_f32 v82, v93, 0xff7fffff, v92
	v_or_b32_e32 v86, 16, v68
	v_or_b32_e32 v87, 18, v68
	v_mul_f32_e32 v78, s19, v123
	v_cndmask_b32_e64 v81, 0xff7fffff, v81, s6
	v_cndmask_b32_e64 v80, 0xff7fffff, v80, s7
	v_max3_f32 v71, v82, v71, v72
	v_cmp_gt_i32_e64 s8, s24, v84
	v_cmp_gt_i32_e64 s9, s24, v85
	v_or_b32_e32 v88, 20, v68
	v_or_b32_e32 v90, 24, v68
	;; [unrolled: 1-line block ×5, first 2 shown]
	v_dual_mul_f32 v97, s19, v104 :: v_dual_mul_f32 v70, s19, v101
	v_dual_mul_f32 v99, s19, v102 :: v_dual_mul_f32 v68, s19, v100
	v_cndmask_b32_e64 v72, 0xff7fffff, v79, s8
	v_cndmask_b32_e64 v78, 0xff7fffff, v78, s9
	v_max3_f32 v71, v71, v81, v80
	v_cmp_gt_i32_e64 s10, s24, v86
	v_cmp_gt_i32_e64 s11, s24, v87
	v_dual_mul_f32 v95, s19, v106 :: v_dual_mul_f32 v98, s19, v103
	s_delay_alu instid0(VALU_DEP_4) | instskip(NEXT) | instid1(VALU_DEP_4)
	v_max3_f32 v71, v71, v72, v78
	v_cndmask_b32_e64 v68, 0xff7fffff, v68, s10
	s_delay_alu instid0(VALU_DEP_4)
	v_cndmask_b32_e64 v70, 0xff7fffff, v70, s11
	v_cmp_gt_i32_e64 s12, s24, v88
	v_cndmask_b32_e64 v78, 0xff7fffff, v98, s13
	v_cmp_gt_i32_e64 s15, s24, v90
	v_cmp_gt_i32_e64 s16, s24, v91
	v_max3_f32 v68, v71, v68, v70
	v_cndmask_b32_e64 v72, 0xff7fffff, v99, s12
	v_cmp_gt_i32_e64 s17, s24, v76
	v_cndmask_b32_e64 v70, 0xff7fffff, v97, s15
	v_cndmask_b32_e64 v71, 0xff7fffff, v96, s16
	v_cmp_gt_i32_e64 s18, s24, v77
	v_max3_f32 v68, v68, v72, v78
	v_cndmask_b32_e64 v72, 0xff7fffff, v95, s17
	s_delay_alu instid0(VALU_DEP_3) | instskip(NEXT) | instid1(VALU_DEP_3)
	v_cndmask_b32_e64 v76, 0xff7fffff, v94, s18
	v_max3_f32 v68, v68, v70, v71
	s_delay_alu instid0(VALU_DEP_1) | instskip(SKIP_3) | instid1(VALU_DEP_1)
	v_max3_f32 v68, v68, v72, v76
	ds_bpermute_b32 v69, v89, v68
	s_waitcnt lgkmcnt(0)
	v_max_f32_e32 v69, v69, v69
	v_max_f32_e32 v68, v68, v69
	s_delay_alu instid0(VALU_DEP_1) | instskip(NEXT) | instid1(VALU_DEP_1)
	v_fma_f32 v71, s19, v118, -v68
	v_mul_f32_e32 v71, 0x3fb8aa3b, v71
	v_fma_f32 v70, s19, v117, -v68
	v_fma_f32 v69, s19, v116, -v68
	;; [unrolled: 1-line block ×5, first 2 shown]
	s_delay_alu instid0(VALU_DEP_4) | instskip(SKIP_1) | instid1(VALU_DEP_3)
	v_dual_mul_f32 v70, 0x3fb8aa3b, v70 :: v_dual_mul_f32 v69, 0x3fb8aa3b, v69
	v_exp_f32_e32 v71, v71
	v_mul_f32_e32 v72, 0x3fb8aa3b, v72
	v_fma_f32 v81, s19, v105, -v68
	s_delay_alu instid0(VALU_DEP_3)
	v_exp_f32_e32 v70, v70
	v_mul_f32_e32 v77, 0x3fb8aa3b, v76
	v_exp_f32_e32 v69, v69
	v_exp_f32_e32 v72, v72
	v_mul_f32_e32 v81, 0x3fb8aa3b, v81
	v_cndmask_b32_e64 v83, 0, v71, s4
	v_fma_f32 v71, s19, v123, -v68
	s_delay_alu instid0(VALU_DEP_3) | instskip(SKIP_4) | instid1(TRANS32_DEP_3)
	v_exp_f32_e32 v81, v81
	v_cndmask_b32_e32 v76, 0, v70, vcc_lo
	v_exp_f32_e32 v77, v77
	v_cndmask_b32_e64 v80, 0, v69, s3
	v_fma_f32 v69, s19, v121, -v68
	v_cndmask_b32_e64 v85, 0, v72, s5
	v_mul_f32_e32 v71, 0x3fb8aa3b, v71
	v_fma_f32 v72, s19, v100, -v68
	s_delay_alu instid0(VALU_DEP_4) | instskip(SKIP_1) | instid1(VALU_DEP_4)
	v_dual_add_f32 v70, 0, v80 :: v_dual_mul_f32 v69, 0x3fb8aa3b, v69
	v_cmp_gt_u32_e64 s3, 16, v67
	v_exp_f32_e32 v71, v71
	s_delay_alu instid0(TRANS32_DEP_2) | instskip(SKIP_4) | instid1(VALU_DEP_3)
	v_cndmask_b32_e64 v86, 0, v77, s6
	v_fma_f32 v77, s19, v101, -v68
	v_mul_f32_e32 v78, 0x3fb8aa3b, v78
	v_add_f32_e32 v70, v70, v76
	v_exp_f32_e32 v69, v69
	v_mul_f32_e32 v77, 0x3fb8aa3b, v77
	s_delay_alu instid0(VALU_DEP_3) | instskip(NEXT) | instid1(TRANS32_DEP_3)
	v_exp_f32_e32 v78, v78
	v_cndmask_b32_e64 v88, 0, v71, s9
	v_fma_f32 v71, s19, v104, -v68
	s_delay_alu instid0(VALU_DEP_3) | instskip(NEXT) | instid1(TRANS32_DEP_3)
	v_exp_f32_e32 v77, v77
	v_cndmask_b32_e64 v87, 0, v69, s7
	s_delay_alu instid0(VALU_DEP_2)
	v_mul_f32_e32 v71, 0x3fb8aa3b, v71
	s_waitcnt_depctr 0xfff
	v_cndmask_b32_e64 v84, 0, v78, s8
	v_add_f32_e32 v70, v70, v83
	v_fma_f32 v78, s19, v103, -v68
	v_exp_f32_e32 v82, v71
	s_delay_alu instid0(VALU_DEP_2) | instskip(SKIP_1) | instid1(VALU_DEP_3)
	v_add_f32_e32 v70, v70, v85
	v_mul_f32_e32 v72, 0x3fb8aa3b, v72
	v_mul_f32_e32 v78, 0x3fb8aa3b, v78
	s_delay_alu instid0(VALU_DEP_3) | instskip(SKIP_1) | instid1(VALU_DEP_4)
	v_add_f32_e32 v69, v70, v86
	v_fma_f32 v70, s19, v102, -v68
	v_exp_f32_e32 v72, v72
	s_delay_alu instid0(VALU_DEP_3) | instskip(NEXT) | instid1(VALU_DEP_1)
	v_exp_f32_e32 v78, v78
	v_dual_add_f32 v69, v69, v87 :: v_dual_mul_f32 v70, 0x3fb8aa3b, v70
	s_delay_alu instid0(VALU_DEP_1) | instskip(NEXT) | instid1(VALU_DEP_2)
	v_add_f32_e32 v69, v69, v84
	v_exp_f32_e32 v79, v70
	s_delay_alu instid0(TRANS32_DEP_3) | instskip(NEXT) | instid1(VALU_DEP_2)
	v_cndmask_b32_e64 v70, 0, v72, s10
	v_add_f32_e32 v72, v69, v88
	v_cndmask_b32_e64 v69, 0, v77, s11
	v_fma_f32 v77, s19, v106, -v68
	s_waitcnt_depctr 0xfff
	v_cndmask_b32_e64 v71, 0, v79, s12
	v_dual_mul_f32 v77, 0x3fb8aa3b, v77 :: v_dual_add_f32 v72, v72, v70
	s_delay_alu instid0(VALU_DEP_1) | instskip(NEXT) | instid1(VALU_DEP_1)
	v_exp_f32_e32 v90, v77
	v_add_f32_e32 v79, v72, v69
	v_cndmask_b32_e64 v72, 0, v78, s13
	v_cndmask_b32_e64 v77, 0, v82, s15
	s_delay_alu instid0(VALU_DEP_3) | instskip(SKIP_1) | instid1(VALU_DEP_1)
	v_add_f32_e32 v78, v79, v71
	v_fma_f32 v79, s19, v107, -v68
	v_dual_add_f32 v82, v78, v72 :: v_dual_mul_f32 v79, 0x3fb8aa3b, v79
	v_cndmask_b32_e64 v78, 0, v81, s16
	s_delay_alu instid0(VALU_DEP_2) | instskip(NEXT) | instid1(VALU_DEP_3)
	v_add_f32_e32 v81, v82, v77
	v_exp_f32_e32 v82, v79
	v_cndmask_b32_e64 v79, 0, v90, s17
	s_delay_alu instid0(VALU_DEP_2) | instskip(NEXT) | instid1(VALU_DEP_1)
	v_add_f32_e32 v81, v81, v78
	v_add_f32_e32 v90, v81, v79
	s_waitcnt_depctr 0xfff
	v_cndmask_b32_e64 v81, 0, v82, s18
	s_delay_alu instid0(VALU_DEP_1)
	v_add_f32_e32 v82, v90, v81
	ds_bpermute_b32 v89, v89, v82
	s_and_saveexec_b32 s4, s3
	s_cbranch_execz .LBB1474_12
; %bb.11:
	v_mul_u32_u24_e32 v67, 0x44, v66
	s_delay_alu instid0(VALU_DEP_1) | instskip(SKIP_1) | instid1(VALU_DEP_1)
	v_lshl_add_u32 v67, v65, 2, v67
	s_waitcnt lgkmcnt(0)
	v_dual_add_f32 v82, v82, v89 :: v_dual_add_nc_u32 v67, 0x4000, v67
	ds_store_2addr_b32 v67, v68, v82 offset1:136
.LBB1474_12:
	s_or_b32 exec_lo, exec_lo, s4
	v_lshlrev_b32_e32 v67, 2, v65
	s_waitcnt lgkmcnt(0)
	s_barrier
	buffer_gl0_inv
	v_cmp_eq_u32_e32 vcc_lo, 1, v66
	v_add_nc_u32_e32 v82, 0x4000, v67
	v_cmp_eq_u32_e64 s4, 2, v66
	v_cmp_eq_u32_e64 s6, 7, v66
	ds_load_2addr_b32 v[89:90], v82 offset1:17
	ds_load_2addr_b32 v[91:92], v82 offset0:34 offset1:51
	ds_load_2addr_b32 v[93:94], v82 offset0:68 offset1:85
	;; [unrolled: 1-line block ×4, first 2 shown]
	s_waitcnt lgkmcnt(4)
	v_max3_f32 v67, v89, 0xff7fffff, v90
	s_waitcnt lgkmcnt(3)
	s_delay_alu instid0(VALU_DEP_1) | instskip(SKIP_1) | instid1(VALU_DEP_1)
	v_max3_f32 v67, v67, v91, v92
	s_waitcnt lgkmcnt(2)
	v_max3_f32 v67, v67, v93, v94
	s_waitcnt lgkmcnt(1)
	s_delay_alu instid0(VALU_DEP_1) | instskip(NEXT) | instid1(VALU_DEP_1)
	v_max3_f32 v67, v67, v95, v96
	v_sub_f32_e32 v93, v93, v67
	s_delay_alu instid0(VALU_DEP_1) | instskip(NEXT) | instid1(VALU_DEP_1)
	v_dual_sub_f32 v68, v89, v67 :: v_dual_mul_f32 v103, 0x3fb8aa3b, v93
	v_mul_f32_e32 v68, 0x3fb8aa3b, v68
	s_delay_alu instid0(VALU_DEP_1)
	v_exp_f32_e32 v100, v68
	v_sub_f32_e32 v68, v92, v67
	v_sub_f32_e32 v99, v90, v67
	ds_load_2addr_b32 v[89:90], v82 offset0:170 offset1:187
	v_dual_mul_f32 v102, 0x3fb8aa3b, v68 :: v_dual_mul_f32 v99, 0x3fb8aa3b, v99
	s_waitcnt lgkmcnt(1)
	v_fma_f32 v68, v100, v97, 0
	s_delay_alu instid0(VALU_DEP_2) | instskip(NEXT) | instid1(VALU_DEP_2)
	v_exp_f32_e32 v102, v102
	v_exp_f32_e32 v99, v99
	s_waitcnt_depctr 0xfff
	v_fmac_f32_e32 v68, v99, v98
	v_sub_f32_e32 v91, v91, v67
	s_delay_alu instid0(VALU_DEP_1)
	v_mul_f32_e32 v101, 0x3fb8aa3b, v91
	ds_load_2addr_b32 v[91:92], v82 offset0:204 offset1:221
	v_sub_f32_e32 v97, v94, v67
	ds_load_2addr_b32 v[93:94], v82 offset0:238 offset1:255
	s_waitcnt lgkmcnt(0)
	v_exp_f32_e32 v101, v101
	s_barrier
	buffer_gl0_inv
	v_dual_fmac_f32 v68, v101, v89 :: v_dual_sub_f32 v89, v96, v67
	v_dual_sub_f32 v82, v95, v67 :: v_dual_mul_f32 v95, 0x3fb8aa3b, v97
	v_exp_f32_e32 v97, v103
	s_delay_alu instid0(VALU_DEP_2) | instskip(NEXT) | instid1(VALU_DEP_2)
	v_dual_fmac_f32 v68, v102, v90 :: v_dual_mul_f32 v89, 0x3fb8aa3b, v89
	v_mul_f32_e32 v82, 0x3fb8aa3b, v82
	s_delay_alu instid0(VALU_DEP_3) | instskip(NEXT) | instid1(VALU_DEP_2)
	v_exp_f32_e32 v95, v95
	v_exp_f32_e32 v89, v89
	s_delay_alu instid0(VALU_DEP_1)
	v_exp_f32_e32 v82, v82
	v_fmac_f32_e32 v68, v97, v91
	s_delay_alu instid0(TRANS32_DEP_3) | instid1(VALU_DEP_1)
	v_fmac_f32_e32 v68, v95, v92
	s_waitcnt_depctr 0xfff
	v_fmac_f32_e32 v68, v82, v93
	s_delay_alu instid0(VALU_DEP_1) | instskip(NEXT) | instid1(VALU_DEP_1)
	v_fmac_f32_e32 v68, v89, v94
	v_add_f32_e32 v90, 0x358637bd, v68
	s_delay_alu instid0(VALU_DEP_1) | instskip(NEXT) | instid1(VALU_DEP_1)
	v_div_scale_f32 v91, null, v90, v90, 1.0
	v_rcp_f32_e32 v92, v91
	s_waitcnt_depctr 0xfff
	v_fma_f32 v93, -v91, v92, 1.0
	s_delay_alu instid0(VALU_DEP_1) | instskip(SKIP_1) | instid1(VALU_DEP_2)
	v_dual_fmac_f32 v92, v93, v92 :: v_dual_cndmask_b32 v93, v100, v99
	v_cmp_eq_u32_e32 vcc_lo, 3, v66
	v_cndmask_b32_e64 v93, v93, v101, s4
	v_cmp_eq_u32_e64 s4, 4, v66
	s_delay_alu instid0(VALU_DEP_2) | instskip(SKIP_1) | instid1(VALU_DEP_2)
	v_cndmask_b32_e32 v93, v93, v102, vcc_lo
	v_cmp_eq_u32_e32 vcc_lo, 5, v66
	v_cndmask_b32_e64 v93, v93, v97, s4
	v_cmp_eq_u32_e64 s4, 6, v66
	s_delay_alu instid0(VALU_DEP_2) | instskip(SKIP_1) | instid1(VALU_DEP_1)
	v_cndmask_b32_e32 v93, v93, v95, vcc_lo
	v_div_scale_f32 v94, s5, 1.0, v90, 1.0
	s_mov_b32 vcc_lo, s5
	s_delay_alu instid0(VALU_DEP_2) | instskip(NEXT) | instid1(VALU_DEP_2)
	v_cndmask_b32_e64 v82, v93, v82, s4
	v_mul_f32_e32 v96, v94, v92
	s_mov_b32 s4, exec_lo
	s_delay_alu instid0(VALU_DEP_2) | instskip(NEXT) | instid1(VALU_DEP_2)
	v_cndmask_b32_e64 v82, v82, v89, s6
	v_fma_f32 v98, -v91, v96, v94
	s_delay_alu instid0(VALU_DEP_1) | instskip(NEXT) | instid1(VALU_DEP_1)
	v_fmac_f32_e32 v96, v98, v92
	v_fma_f32 v91, -v91, v96, v94
	s_delay_alu instid0(VALU_DEP_1) | instskip(NEXT) | instid1(VALU_DEP_1)
	v_div_fmas_f32 v91, v91, v92, v96
	v_div_fixup_f32 v90, v91, v90, 1.0
	s_delay_alu instid0(VALU_DEP_1) | instskip(NEXT) | instid1(VALU_DEP_1)
	v_mul_f32_e32 v82, v82, v90
	v_mul_f32_e32 v87, v82, v87
	;; [unrolled: 1-line block ×7, first 2 shown]
	v_dual_mul_f32 v86, v82, v83 :: v_dual_and_b32 v91, 0x7f800000, v90
	v_mul_f32_e32 v85, v82, v76
                                        ; implicit-def: $vgpr76
	s_delay_alu instid0(VALU_DEP_2)
	v_cmpx_ne_u32_e32 0x7f800000, v91
	s_xor_b32 s4, exec_lo, s4
; %bb.13:
	v_bfe_u32 v76, v90, 16, 1
	s_delay_alu instid0(VALU_DEP_1)
	v_add3_u32 v76, v90, v76, 0x7fff
                                        ; implicit-def: $vgpr90
; %bb.14:
	s_and_not1_saveexec_b32 s4, s4
; %bb.15:
	v_and_b32_e32 v76, 0xffff, v90
	v_or_b32_e32 v83, 0x10000, v90
	s_delay_alu instid0(VALU_DEP_2) | instskip(NEXT) | instid1(VALU_DEP_2)
	v_cmp_eq_u32_e32 vcc_lo, 0, v76
	v_cndmask_b32_e32 v76, v83, v90, vcc_lo
; %bb.16:
	s_or_b32 exec_lo, exec_lo, s4
	v_and_b32_e32 v83, 0x7f800000, v85
	s_delay_alu instid0(VALU_DEP_1) | instskip(SKIP_1) | instid1(SALU_CYCLE_1)
	v_cmp_ne_u32_e32 vcc_lo, 0x7f800000, v83
                                        ; implicit-def: $vgpr83
	s_and_saveexec_b32 s4, vcc_lo
	s_xor_b32 s4, exec_lo, s4
; %bb.17:
	v_bfe_u32 v83, v85, 16, 1
	s_delay_alu instid0(VALU_DEP_1)
	v_add3_u32 v83, v85, v83, 0x7fff
                                        ; implicit-def: $vgpr85
; %bb.18:
	s_and_not1_saveexec_b32 s4, s4
; %bb.19:
	v_and_b32_e32 v83, 0xffff, v85
	v_or_b32_e32 v90, 0x10000, v85
	s_delay_alu instid0(VALU_DEP_2) | instskip(NEXT) | instid1(VALU_DEP_2)
	v_cmp_eq_u32_e32 vcc_lo, 0, v83
	v_cndmask_b32_e32 v83, v90, v85, vcc_lo
; %bb.20:
	s_or_b32 exec_lo, exec_lo, s4
	v_and_b32_e32 v85, 0x7f800000, v86
	s_delay_alu instid0(VALU_DEP_1) | instskip(SKIP_1) | instid1(SALU_CYCLE_1)
	v_cmp_ne_u32_e32 vcc_lo, 0x7f800000, v85
                                        ; implicit-def: $vgpr85
	s_and_saveexec_b32 s4, vcc_lo
	s_xor_b32 s4, exec_lo, s4
; %bb.21:
	v_bfe_u32 v85, v86, 16, 1
	s_delay_alu instid0(VALU_DEP_1)
	v_add3_u32 v85, v86, v85, 0x7fff
                                        ; implicit-def: $vgpr86
; %bb.22:
	s_and_not1_saveexec_b32 s4, s4
; %bb.23:
	v_and_b32_e32 v85, 0xffff, v86
	v_or_b32_e32 v90, 0x10000, v86
	s_delay_alu instid0(VALU_DEP_2) | instskip(NEXT) | instid1(VALU_DEP_2)
	v_cmp_eq_u32_e32 vcc_lo, 0, v85
	v_cndmask_b32_e32 v85, v90, v86, vcc_lo
; %bb.24:
	s_or_b32 exec_lo, exec_lo, s4
	v_and_b32_e32 v86, 0x7f800000, v89
	s_delay_alu instid0(VALU_DEP_1) | instskip(SKIP_1) | instid1(SALU_CYCLE_1)
	v_cmp_ne_u32_e32 vcc_lo, 0x7f800000, v86
                                        ; implicit-def: $vgpr86
	s_and_saveexec_b32 s4, vcc_lo
	s_xor_b32 s4, exec_lo, s4
; %bb.25:
	v_bfe_u32 v86, v89, 16, 1
	s_delay_alu instid0(VALU_DEP_1)
	v_add3_u32 v86, v89, v86, 0x7fff
                                        ; implicit-def: $vgpr89
; %bb.26:
	s_and_not1_saveexec_b32 s4, s4
; %bb.27:
	v_and_b32_e32 v86, 0xffff, v89
	v_or_b32_e32 v90, 0x10000, v89
	s_delay_alu instid0(VALU_DEP_2) | instskip(NEXT) | instid1(VALU_DEP_2)
	v_cmp_eq_u32_e32 vcc_lo, 0, v86
	v_cndmask_b32_e32 v86, v90, v89, vcc_lo
; %bb.28:
	s_or_b32 exec_lo, exec_lo, s4
	v_and_b32_e32 v89, 0x7f800000, v88
	s_delay_alu instid0(VALU_DEP_1) | instskip(SKIP_1) | instid1(SALU_CYCLE_1)
	v_cmp_ne_u32_e32 vcc_lo, 0x7f800000, v89
                                        ; implicit-def: $vgpr89
	s_and_saveexec_b32 s4, vcc_lo
	s_xor_b32 s4, exec_lo, s4
; %bb.29:
	v_bfe_u32 v89, v88, 16, 1
	s_delay_alu instid0(VALU_DEP_1)
	v_add3_u32 v89, v88, v89, 0x7fff
                                        ; implicit-def: $vgpr88
; %bb.30:
	s_and_not1_saveexec_b32 s4, s4
; %bb.31:
	v_and_b32_e32 v89, 0xffff, v88
	v_or_b32_e32 v90, 0x10000, v88
	s_delay_alu instid0(VALU_DEP_2) | instskip(NEXT) | instid1(VALU_DEP_2)
	v_cmp_eq_u32_e32 vcc_lo, 0, v89
	v_cndmask_b32_e32 v89, v90, v88, vcc_lo
; %bb.32:
	s_or_b32 exec_lo, exec_lo, s4
	v_and_b32_e32 v88, 0x7f800000, v87
	s_delay_alu instid0(VALU_DEP_1) | instskip(SKIP_1) | instid1(SALU_CYCLE_1)
	v_cmp_ne_u32_e32 vcc_lo, 0x7f800000, v88
                                        ; implicit-def: $vgpr88
	s_and_saveexec_b32 s4, vcc_lo
	s_xor_b32 s4, exec_lo, s4
; %bb.33:
	v_bfe_u32 v88, v87, 16, 1
	s_delay_alu instid0(VALU_DEP_1)
	v_add3_u32 v88, v87, v88, 0x7fff
                                        ; implicit-def: $vgpr87
; %bb.34:
	s_and_not1_saveexec_b32 s4, s4
; %bb.35:
	v_and_b32_e32 v88, 0xffff, v87
	v_or_b32_e32 v90, 0x10000, v87
	s_delay_alu instid0(VALU_DEP_2) | instskip(NEXT) | instid1(VALU_DEP_2)
	v_cmp_eq_u32_e32 vcc_lo, 0, v88
	v_cndmask_b32_e32 v88, v90, v87, vcc_lo
; %bb.36:
	s_or_b32 exec_lo, exec_lo, s4
	v_and_b32_e32 v87, 0x7f800000, v84
	s_delay_alu instid0(VALU_DEP_1) | instskip(SKIP_1) | instid1(SALU_CYCLE_1)
	v_cmp_ne_u32_e32 vcc_lo, 0x7f800000, v87
                                        ; implicit-def: $vgpr87
	s_and_saveexec_b32 s4, vcc_lo
	s_xor_b32 s4, exec_lo, s4
; %bb.37:
	v_bfe_u32 v87, v84, 16, 1
	s_delay_alu instid0(VALU_DEP_1)
	v_add3_u32 v87, v84, v87, 0x7fff
                                        ; implicit-def: $vgpr84
; %bb.38:
	s_and_not1_saveexec_b32 s4, s4
; %bb.39:
	v_and_b32_e32 v87, 0xffff, v84
	v_or_b32_e32 v90, 0x10000, v84
	s_delay_alu instid0(VALU_DEP_2) | instskip(NEXT) | instid1(VALU_DEP_2)
	v_cmp_eq_u32_e32 vcc_lo, 0, v87
	v_cndmask_b32_e32 v87, v90, v84, vcc_lo
; %bb.40:
	s_or_b32 exec_lo, exec_lo, s4
	v_and_b32_e32 v84, 0x7f800000, v80
	s_delay_alu instid0(VALU_DEP_1) | instskip(SKIP_1) | instid1(SALU_CYCLE_1)
	v_cmp_ne_u32_e32 vcc_lo, 0x7f800000, v84
                                        ; implicit-def: $vgpr84
	s_and_saveexec_b32 s4, vcc_lo
	s_xor_b32 s4, exec_lo, s4
; %bb.41:
	v_bfe_u32 v84, v80, 16, 1
	s_delay_alu instid0(VALU_DEP_1)
	v_add3_u32 v84, v80, v84, 0x7fff
                                        ; implicit-def: $vgpr80
; %bb.42:
	s_and_not1_saveexec_b32 s4, s4
; %bb.43:
	v_and_b32_e32 v84, 0xffff, v80
	v_or_b32_e32 v90, 0x10000, v80
	s_delay_alu instid0(VALU_DEP_2) | instskip(NEXT) | instid1(VALU_DEP_2)
	v_cmp_eq_u32_e32 vcc_lo, 0, v84
	v_cndmask_b32_e32 v84, v90, v80, vcc_lo
; %bb.44:
	s_or_b32 exec_lo, exec_lo, s4
	s_load_b64 s[36:37], s[0:1], 0x94
	v_lshlrev_b32_e32 v91, 4, v74
	s_delay_alu instid0(VALU_DEP_2)
	v_perm_b32 v90, v84, v87, 0x7060302
	v_dual_mul_f32 v79, v82, v79 :: v_dual_lshlrev_b32 v80, 6, v65
	v_dual_mul_f32 v77, v82, v77 :: v_dual_lshlrev_b32 v92, 11, v66
	v_mul_f32_e32 v84, v82, v70
	v_perm_b32 v89, v88, v89, 0x7060302
	v_perm_b32 v88, v86, v85, 0x7060302
	;; [unrolled: 1-line block ×3, first 2 shown]
	v_mul_f32_e32 v70, v82, v81
	v_or3_b32 v76, v91, v92, v80
	v_dual_mul_f32 v78, v82, v78 :: v_dual_and_b32 v85, 0x7f800000, v84
	v_mul_f32_e32 v83, v82, v72
	v_mul_f32_e32 v81, v82, v71
	;; [unrolled: 1-line block ×3, first 2 shown]
	s_mov_b32 s4, exec_lo
	ds_store_b128 v76, v[87:90]
                                        ; implicit-def: $vgpr69
	v_cmpx_ne_u32_e32 0x7f800000, v85
	s_xor_b32 s4, exec_lo, s4
; %bb.45:
	v_bfe_u32 v69, v84, 16, 1
	s_delay_alu instid0(VALU_DEP_1)
	v_add3_u32 v69, v84, v69, 0x7fff
                                        ; implicit-def: $vgpr84
; %bb.46:
	s_and_not1_saveexec_b32 s4, s4
; %bb.47:
	v_and_b32_e32 v69, 0xffff, v84
	v_or_b32_e32 v71, 0x10000, v84
	s_delay_alu instid0(VALU_DEP_2) | instskip(NEXT) | instid1(VALU_DEP_2)
	v_cmp_eq_u32_e32 vcc_lo, 0, v69
	v_cndmask_b32_e32 v69, v71, v84, vcc_lo
; %bb.48:
	s_or_b32 exec_lo, exec_lo, s4
	v_and_b32_e32 v71, 0x7f800000, v72
	s_delay_alu instid0(VALU_DEP_1) | instskip(SKIP_1) | instid1(SALU_CYCLE_1)
	v_cmp_ne_u32_e32 vcc_lo, 0x7f800000, v71
                                        ; implicit-def: $vgpr71
	s_and_saveexec_b32 s4, vcc_lo
	s_xor_b32 s4, exec_lo, s4
; %bb.49:
	v_bfe_u32 v71, v72, 16, 1
	s_delay_alu instid0(VALU_DEP_1)
	v_add3_u32 v71, v72, v71, 0x7fff
                                        ; implicit-def: $vgpr72
; %bb.50:
	s_and_not1_saveexec_b32 s4, s4
; %bb.51:
	v_and_b32_e32 v71, 0xffff, v72
	v_or_b32_e32 v82, 0x10000, v72
	s_delay_alu instid0(VALU_DEP_2) | instskip(NEXT) | instid1(VALU_DEP_2)
	v_cmp_eq_u32_e32 vcc_lo, 0, v71
	v_cndmask_b32_e32 v71, v82, v72, vcc_lo
; %bb.52:
	s_or_b32 exec_lo, exec_lo, s4
	v_and_b32_e32 v72, 0x7f800000, v81
	s_delay_alu instid0(VALU_DEP_1) | instskip(SKIP_1) | instid1(SALU_CYCLE_1)
	v_cmp_ne_u32_e32 vcc_lo, 0x7f800000, v72
                                        ; implicit-def: $vgpr72
	s_and_saveexec_b32 s4, vcc_lo
	s_xor_b32 s4, exec_lo, s4
; %bb.53:
	v_bfe_u32 v72, v81, 16, 1
	s_delay_alu instid0(VALU_DEP_1)
	v_add3_u32 v72, v81, v72, 0x7fff
                                        ; implicit-def: $vgpr81
; %bb.54:
	s_and_not1_saveexec_b32 s4, s4
; %bb.55:
	v_and_b32_e32 v72, 0xffff, v81
	v_or_b32_e32 v82, 0x10000, v81
	s_delay_alu instid0(VALU_DEP_2) | instskip(NEXT) | instid1(VALU_DEP_2)
	v_cmp_eq_u32_e32 vcc_lo, 0, v72
	v_cndmask_b32_e32 v72, v82, v81, vcc_lo
; %bb.56:
	s_or_b32 exec_lo, exec_lo, s4
	v_and_b32_e32 v81, 0x7f800000, v83
	s_delay_alu instid0(VALU_DEP_1) | instskip(SKIP_1) | instid1(SALU_CYCLE_1)
	v_cmp_ne_u32_e32 vcc_lo, 0x7f800000, v81
                                        ; implicit-def: $vgpr81
	s_and_saveexec_b32 s4, vcc_lo
	s_xor_b32 s4, exec_lo, s4
; %bb.57:
	v_bfe_u32 v81, v83, 16, 1
	s_delay_alu instid0(VALU_DEP_1)
	v_add3_u32 v81, v83, v81, 0x7fff
                                        ; implicit-def: $vgpr83
; %bb.58:
	s_and_not1_saveexec_b32 s4, s4
; %bb.59:
	v_and_b32_e32 v81, 0xffff, v83
	v_or_b32_e32 v82, 0x10000, v83
	s_delay_alu instid0(VALU_DEP_2) | instskip(NEXT) | instid1(VALU_DEP_2)
	v_cmp_eq_u32_e32 vcc_lo, 0, v81
	v_cndmask_b32_e32 v81, v82, v83, vcc_lo
; %bb.60:
	s_or_b32 exec_lo, exec_lo, s4
	v_and_b32_e32 v82, 0x7f800000, v77
	s_delay_alu instid0(VALU_DEP_1) | instskip(SKIP_1) | instid1(SALU_CYCLE_1)
	v_cmp_ne_u32_e32 vcc_lo, 0x7f800000, v82
                                        ; implicit-def: $vgpr82
	s_and_saveexec_b32 s4, vcc_lo
	s_xor_b32 s4, exec_lo, s4
; %bb.61:
	v_bfe_u32 v82, v77, 16, 1
	s_delay_alu instid0(VALU_DEP_1)
	v_add3_u32 v82, v77, v82, 0x7fff
                                        ; implicit-def: $vgpr77
; %bb.62:
	s_and_not1_saveexec_b32 s4, s4
; %bb.63:
	v_and_b32_e32 v82, 0xffff, v77
	v_or_b32_e32 v83, 0x10000, v77
	s_delay_alu instid0(VALU_DEP_2) | instskip(NEXT) | instid1(VALU_DEP_2)
	v_cmp_eq_u32_e32 vcc_lo, 0, v82
	v_cndmask_b32_e32 v82, v83, v77, vcc_lo
; %bb.64:
	s_or_b32 exec_lo, exec_lo, s4
	v_and_b32_e32 v77, 0x7f800000, v78
	s_delay_alu instid0(VALU_DEP_1) | instskip(SKIP_1) | instid1(SALU_CYCLE_1)
	v_cmp_ne_u32_e32 vcc_lo, 0x7f800000, v77
                                        ; implicit-def: $vgpr77
	s_and_saveexec_b32 s4, vcc_lo
	s_xor_b32 s4, exec_lo, s4
; %bb.65:
	v_bfe_u32 v77, v78, 16, 1
	s_delay_alu instid0(VALU_DEP_1)
	v_add3_u32 v77, v78, v77, 0x7fff
                                        ; implicit-def: $vgpr78
; %bb.66:
	s_and_not1_saveexec_b32 s4, s4
; %bb.67:
	v_and_b32_e32 v77, 0xffff, v78
	v_or_b32_e32 v83, 0x10000, v78
	s_delay_alu instid0(VALU_DEP_2) | instskip(NEXT) | instid1(VALU_DEP_2)
	v_cmp_eq_u32_e32 vcc_lo, 0, v77
	v_cndmask_b32_e32 v77, v83, v78, vcc_lo
; %bb.68:
	s_or_b32 exec_lo, exec_lo, s4
	v_and_b32_e32 v78, 0x7f800000, v79
	s_delay_alu instid0(VALU_DEP_1) | instskip(SKIP_1) | instid1(SALU_CYCLE_1)
	v_cmp_ne_u32_e32 vcc_lo, 0x7f800000, v78
                                        ; implicit-def: $vgpr78
	s_and_saveexec_b32 s4, vcc_lo
	s_xor_b32 s4, exec_lo, s4
; %bb.69:
	v_bfe_u32 v78, v79, 16, 1
	s_delay_alu instid0(VALU_DEP_1)
	v_add3_u32 v78, v79, v78, 0x7fff
                                        ; implicit-def: $vgpr79
; %bb.70:
	s_and_not1_saveexec_b32 s4, s4
; %bb.71:
	v_and_b32_e32 v78, 0xffff, v79
	v_or_b32_e32 v83, 0x10000, v79
	s_delay_alu instid0(VALU_DEP_2) | instskip(NEXT) | instid1(VALU_DEP_2)
	v_cmp_eq_u32_e32 vcc_lo, 0, v78
	v_cndmask_b32_e32 v78, v83, v79, vcc_lo
; %bb.72:
	s_or_b32 exec_lo, exec_lo, s4
	v_and_b32_e32 v79, 0x7f800000, v70
	s_delay_alu instid0(VALU_DEP_1) | instskip(SKIP_1) | instid1(SALU_CYCLE_1)
	v_cmp_ne_u32_e32 vcc_lo, 0x7f800000, v79
                                        ; implicit-def: $vgpr79
	s_and_saveexec_b32 s4, vcc_lo
	s_xor_b32 s4, exec_lo, s4
; %bb.73:
	v_bfe_u32 v79, v70, 16, 1
	s_delay_alu instid0(VALU_DEP_1)
	v_add3_u32 v79, v70, v79, 0x7fff
                                        ; implicit-def: $vgpr70
; %bb.74:
	s_and_not1_saveexec_b32 s4, s4
; %bb.75:
	v_and_b32_e32 v79, 0xffff, v70
	v_or_b32_e32 v83, 0x10000, v70
	s_delay_alu instid0(VALU_DEP_2) | instskip(NEXT) | instid1(VALU_DEP_2)
	v_cmp_eq_u32_e32 vcc_lo, 0, v79
	v_cndmask_b32_e32 v79, v83, v70, vcc_lo
; %bb.76:
	s_or_b32 exec_lo, exec_lo, s4
	s_delay_alu instid0(VALU_DEP_1)
	v_perm_b32 v86, v79, v78, 0x7060302
	v_perm_b32 v85, v77, v82, 0x7060302
	;; [unrolled: 1-line block ×4, first 2 shown]
	v_lshl_or_b32 v82, v66, 11, v80
	ds_store_b128 v76, v[83:86] offset:1024
	s_waitcnt lgkmcnt(0)
	s_barrier
	buffer_gl0_inv
	ds_load_b128 v[69:72], v82
	ds_load_b128 v[83:86], v82 offset:16
	s_waitcnt lgkmcnt(1)
	v_lshrrev_b32_e32 v66, 16, v69
	s_waitcnt lgkmcnt(0)
	v_lshrrev_b32_e32 v91, 16, v83
	v_lshlrev_b32_e32 v78, 2, v74
	v_lshrrev_b32_e32 v95, 16, v70
	v_lshrrev_b32_e32 v98, 16, v84
	v_lshrrev_b32_e32 v96, 16, v71
	v_lshrrev_b32_e32 v99, 16, v85
	v_cmp_eq_u32_e32 vcc_lo, 1, v78
	v_lshrrev_b32_e32 v97, 16, v72
	v_lshrrev_b32_e32 v100, 16, v86
	v_cndmask_b32_e32 v87, v83, v91, vcc_lo
	v_or_b32_e32 v79, 1, v78
	v_cndmask_b32_e32 v81, v69, v66, vcc_lo
	v_cmp_eq_u32_e64 s5, 2, v78
	v_cmp_eq_u32_e64 s8, 3, v78
	;; [unrolled: 1-line block ×5, first 2 shown]
	v_cndmask_b32_e64 v81, v81, v70, s5
	v_cndmask_b32_e64 v87, v87, v84, s5
	v_cmp_eq_u32_e64 s9, 3, v79
	v_cndmask_b32_e64 v88, v69, v66, s4
	v_or_b32_e32 v77, 2, v78
	v_cndmask_b32_e64 v81, v81, v95, s8
	v_cndmask_b32_e64 v87, v87, v98, s8
	;; [unrolled: 1-line block ×4, first 2 shown]
	v_cmp_eq_u32_e64 s11, 5, v78
	v_cndmask_b32_e64 v81, v81, v71, s10
	v_cndmask_b32_e64 v87, v87, v85, s10
	v_cmp_eq_u32_e64 s12, 4, v79
	v_cndmask_b32_e64 v88, v88, v95, s9
	v_cmp_eq_u32_e64 s6, 1, v77
	v_cndmask_b32_e64 v89, v89, v84, s7
	v_cndmask_b32_e64 v81, v81, v96, s11
	v_cmp_eq_u32_e64 s13, 6, v78
	v_cndmask_b32_e64 v88, v88, v71, s12
	;; [unrolled: 3-line block ×3, first 2 shown]
	v_cndmask_b32_e64 v89, v89, v98, s9
	v_cndmask_b32_e64 v81, v81, v72, s13
	v_cmp_eq_u32_e64 s16, 7, v78
	v_cndmask_b32_e64 v88, v88, v96, s15
	v_cndmask_b32_e64 v87, v87, v86, s13
	v_cmp_eq_u32_e64 s17, 6, v79
	v_cmp_eq_u32_e64 s18, 2, v77
	v_cndmask_b32_e64 v89, v89, v85, s12
	v_cndmask_b32_e64 v101, v81, v97, s16
	;; [unrolled: 1-line block ×6, first 2 shown]
	v_cmp_eq_u32_e64 s19, 7, v79
	v_cmp_eq_u32_e64 s20, 3, v77
	;; [unrolled: 1-line block ×4, first 2 shown]
	v_cndmask_b32_e64 v87, v87, v84, s18
	v_cndmask_b32_e64 v103, v88, v97, s19
	;; [unrolled: 1-line block ×4, first 2 shown]
	v_or_b32_e32 v81, 3, v78
	v_cndmask_b32_e64 v93, v87, v98, s20
	v_cmp_eq_u32_e64 s25, 6, v77
	v_cndmask_b32_e64 v104, v88, v86, s17
	v_cndmask_b32_e64 v92, v89, v71, s21
	v_cmp_eq_u32_e64 s22, 1, v81
	ds_load_b128 v[87:90], v82 offset:1024
	v_cmp_eq_u32_e64 s24, 2, v81
	v_cmp_eq_u32_e64 s26, 3, v81
	v_cndmask_b32_e64 v105, v92, v96, s23
	v_cndmask_b32_e64 v66, v69, v66, s22
	v_cndmask_b32_e64 v69, v93, v85, s21
	v_cndmask_b32_e64 v83, v83, v91, s22
	ds_load_b128 v[91:94], v82 offset:1040
	v_cmp_eq_u32_e64 s27, 4, v81
	v_cndmask_b32_e64 v66, v66, v70, s24
	v_cmp_eq_u32_e64 s28, 7, v77
	v_cndmask_b32_e64 v70, v83, v84, s24
	v_cndmask_b32_e64 v84, v105, v72, s25
	v_cmp_eq_u32_e64 s29, 5, v81
	v_cndmask_b32_e64 v66, v66, v95, s26
	v_cmp_eq_u32_e64 s30, 6, v81
	v_cndmask_b32_e64 v70, v70, v98, s26
	v_cndmask_b32_e64 v69, v69, v99, s23
	;; [unrolled: 1-line block ×4, first 2 shown]
	s_waitcnt lgkmcnt(1)
	v_lshrrev_b32_e32 v95, 16, v87
	v_cndmask_b32_e64 v70, v70, v85, s27
	v_cndmask_b32_e64 v71, v84, v97, s28
	;; [unrolled: 1-line block ×4, first 2 shown]
	v_cndmask_b32_e32 v84, v87, v95, vcc_lo
	v_cndmask_b32_e64 v70, v70, v99, s29
	s_waitcnt lgkmcnt(0)
	v_lshrrev_b32_e32 v85, 16, v91
	v_lshrrev_b32_e32 v96, 16, v88
	v_cndmask_b32_e64 v98, v87, v95, s4
	v_cndmask_b32_e64 v84, v84, v88, s5
	;; [unrolled: 1-line block ×3, first 2 shown]
	v_cndmask_b32_e32 v99, v91, v85, vcc_lo
	v_cmp_eq_u32_e32 vcc_lo, 7, v81
	v_cndmask_b32_e64 v66, v66, v72, s30
	v_cndmask_b32_e64 v72, v84, v96, s8
	;; [unrolled: 1-line block ×3, first 2 shown]
	v_lshrrev_b32_e32 v98, 16, v92
	v_cndmask_b32_e32 v70, v70, v100, vcc_lo
	v_cndmask_b32_e64 v86, v99, v92, s5
	v_cndmask_b32_e64 v69, v69, v100, s28
	v_lshrrev_b32_e32 v100, 16, v93
	v_cndmask_b32_e64 v72, v72, v89, s10
	v_lshrrev_b32_e32 v99, 16, v89
	v_cndmask_b32_e64 v86, v86, v98, s8
	v_perm_b32 v71, v69, v71, 0x5040100
	v_cndmask_b32_e64 v84, v84, v96, s9
	s_delay_alu instid0(VALU_DEP_3) | instskip(NEXT) | instid1(VALU_DEP_2)
	v_cndmask_b32_e64 v86, v86, v93, s10
	v_cndmask_b32_e64 v84, v84, v89, s12
	s_delay_alu instid0(VALU_DEP_2) | instskip(NEXT) | instid1(VALU_DEP_1)
	v_cndmask_b32_e64 v86, v86, v100, s11
	v_cndmask_b32_e64 v69, v86, v94, s13
	;; [unrolled: 1-line block ×5, first 2 shown]
	s_delay_alu instid0(VALU_DEP_3) | instskip(NEXT) | instid1(VALU_DEP_3)
	v_cndmask_b32_e64 v86, v86, v88, s18
	v_cndmask_b32_e64 v87, v87, v88, s24
	s_delay_alu instid0(VALU_DEP_3) | instskip(NEXT) | instid1(VALU_DEP_3)
	v_cndmask_b32_e64 v88, v95, v92, s24
	v_cndmask_b32_e64 v86, v86, v96, s20
	s_delay_alu instid0(VALU_DEP_3) | instskip(NEXT) | instid1(VALU_DEP_3)
	v_cndmask_b32_e64 v87, v87, v96, s26
	v_cndmask_b32_e64 v88, v88, v98, s26
	s_delay_alu instid0(VALU_DEP_3) | instskip(NEXT) | instid1(VALU_DEP_3)
	v_cndmask_b32_e64 v86, v86, v89, s21
	v_cndmask_b32_e64 v87, v87, v89, s27
	s_delay_alu instid0(VALU_DEP_3) | instskip(NEXT) | instid1(VALU_DEP_3)
	v_cndmask_b32_e64 v88, v88, v93, s27
	v_cndmask_b32_e64 v86, v86, v99, s23
	s_delay_alu instid0(VALU_DEP_3) | instskip(NEXT) | instid1(VALU_DEP_3)
	v_cndmask_b32_e64 v87, v87, v99, s29
	v_cndmask_b32_e64 v88, v88, v100, s29
	s_delay_alu instid0(VALU_DEP_3) | instskip(NEXT) | instid1(VALU_DEP_3)
	v_cndmask_b32_e64 v86, v86, v90, s25
	v_cndmask_b32_e64 v87, v87, v90, s30
	s_delay_alu instid0(VALU_DEP_3) | instskip(SKIP_2) | instid1(VALU_DEP_2)
	v_cndmask_b32_e64 v88, v88, v94, s30
	v_cndmask_b32_e32 v66, v66, v97, vcc_lo
	v_cndmask_b32_e64 v97, v72, v99, s11
	v_perm_b32 v72, v70, v66, 0x5040100
	v_perm_b32 v70, v83, v103, 0x5040100
	v_cndmask_b32_e64 v103, v91, v85, s6
	v_cndmask_b32_e64 v85, v91, v85, s4
	;; [unrolled: 1-line block ×4, first 2 shown]
	v_lshrrev_b32_e32 v97, 16, v90
	v_cndmask_b32_e64 v91, v103, v92, s18
	v_cndmask_b32_e64 v85, v85, v92, s7
	;; [unrolled: 1-line block ×3, first 2 shown]
	s_mov_b32 s4, exec_lo
	v_cndmask_b32_e64 v83, v84, v97, s16
	v_cndmask_b32_e64 v91, v91, v98, s20
	;; [unrolled: 1-line block ×3, first 2 shown]
	v_lshrrev_b32_e32 v84, 16, v94
	v_cndmask_b32_e64 v66, v66, v97, s19
	v_cndmask_b32_e64 v90, v86, v97, s28
	v_cndmask_b32_e64 v89, v91, v93, s21
	v_cndmask_b32_e64 v85, v85, v93, s12
	v_dual_cndmask_b32 v86, v87, v97 :: v_dual_cndmask_b32 v87, v88, v84
	v_cndmask_b32_e64 v91, v69, v84, s16
	s_delay_alu instid0(VALU_DEP_4) | instskip(NEXT) | instid1(VALU_DEP_4)
	v_cndmask_b32_e64 v89, v89, v100, s23
	v_cndmask_b32_e64 v85, v85, v100, s15
	v_perm_b32 v69, v102, v101, 0x5040100
	v_perm_b32 v86, v87, v86, 0x5040100
	;; [unrolled: 1-line block ×3, first 2 shown]
	v_cndmask_b32_e64 v89, v89, v94, s25
	v_cndmask_b32_e64 v85, v85, v94, s17
	s_mul_i32 s9, s37, 9
	s_delay_alu instid0(VALU_DEP_2) | instskip(NEXT) | instid1(VALU_DEP_2)
	v_cndmask_b32_e64 v88, v89, v84, s28
	v_cndmask_b32_e64 v89, v85, v84, s19
	s_delay_alu instid0(VALU_DEP_2) | instskip(NEXT) | instid1(VALU_DEP_2)
	v_perm_b32 v85, v88, v90, 0x5040100
	v_perm_b32 v84, v89, v66, 0x5040100
	ds_store_b128 v76, v[69:72]
	ds_store_b128 v76, v[83:86] offset:1024
	v_cmpx_gt_u32_e32 9, v0
	s_cbranch_execz .LBB1474_78
; %bb.77:
	s_mul_i32 s5, s9, s34
	s_load_b128 s[16:19], s[0:1], 0x58
	v_add3_u32 v69, s5, s31, v65
	s_delay_alu instid0(VALU_DEP_1) | instskip(NEXT) | instid1(VALU_DEP_1)
	v_mad_u64_u32 v[65:66], null, v69, s36, s[14:15]
	v_ashrrev_i32_e32 v66, 31, v65
	s_delay_alu instid0(VALU_DEP_1) | instskip(SKIP_1) | instid1(VALU_DEP_1)
	v_lshlrev_b64 v[65:66], 2, v[65:66]
	s_waitcnt lgkmcnt(0)
	v_add_co_u32 v69, vcc_lo, s18, v65
	s_delay_alu instid0(VALU_DEP_2)
	v_add_co_ci_u32_e32 v70, vcc_lo, s19, v66, vcc_lo
	v_add_co_u32 v65, vcc_lo, s16, v65
	v_add_co_ci_u32_e32 v66, vcc_lo, s17, v66, vcc_lo
	global_store_b32 v[69:70], v67, off
	global_store_b32 v[65:66], v68, off
.LBB1474_78:
	s_or_b32 exec_lo, exec_lo, s4
	s_waitcnt lgkmcnt(0)
	s_waitcnt_vscnt null, 0x0
	s_barrier
	buffer_gl0_inv
	ds_load_b128 v[83:86], v80
	ds_load_b128 v[87:90], v80 offset:16
	ds_load_b128 v[95:98], v80 offset:2064
	;; [unrolled: 1-line block ×3, first 2 shown]
	v_mov_b32_e32 v65, 0
	ds_load_b128 v[103:106], v80 offset:4112
	ds_load_b128 v[99:102], v80 offset:4096
	;; [unrolled: 1-line block ×4, first 2 shown]
	v_mov_b32_e32 v66, v65
	v_mov_b32_e32 v67, v65
	;; [unrolled: 1-line block ×7, first 2 shown]
	s_waitcnt lgkmcnt(6)
	s_delay_alu instid0(VALU_DEP_1)
	v_wmma_f32_16x16x16_bf16 v[65:72], v[57:64], v[83:90], v[65:72]
	ds_load_b128 v[61:64], v80 offset:8208
	ds_load_b128 v[57:60], v80 offset:8192
	s_waitcnt lgkmcnt(6)
	v_wmma_f32_16x16x16_bf16 v[65:72], v[41:48], v[91:98], v[65:72]
	ds_load_b128 v[45:48], v80 offset:10256
	ds_load_b128 v[41:44], v80 offset:10240
	s_waitcnt lgkmcnt(6)
	;; [unrolled: 4-line block ×4, first 2 shown]
	v_wmma_f32_16x16x16_bf16 v[65:72], v[1:8], v[57:64], v[65:72]
	s_waitcnt lgkmcnt(4)
	s_delay_alu instid0(VALU_DEP_1) | instskip(SKIP_1) | instid1(VALU_DEP_1)
	v_wmma_f32_16x16x16_bf16 v[65:72], v[9:16], v[41:48], v[65:72]
	s_waitcnt lgkmcnt(2)
	v_wmma_f32_16x16x16_bf16 v[65:72], v[17:24], v[33:40], v[65:72]
	s_waitcnt lgkmcnt(0)
	s_delay_alu instid0(VALU_DEP_1) | instskip(NEXT) | instid1(VALU_DEP_1)
	v_wmma_f32_16x16x16_bf16 v[65:72], v[49:56], v[25:32], v[65:72]
	v_and_b32_e32 v1, 0x7f800000, v65
	s_delay_alu instid0(VALU_DEP_1) | instskip(SKIP_1) | instid1(SALU_CYCLE_1)
	v_cmp_ne_u32_e32 vcc_lo, 0x7f800000, v1
                                        ; implicit-def: $vgpr1
	s_and_saveexec_b32 s4, vcc_lo
	s_xor_b32 s4, exec_lo, s4
; %bb.79:
	v_bfe_u32 v1, v65, 16, 1
	s_delay_alu instid0(VALU_DEP_1)
	v_add3_u32 v1, v65, v1, 0x7fff
; %bb.80:
	s_and_not1_saveexec_b32 s4, s4
; %bb.81:
	v_and_b32_e32 v1, 0xffff, v65
	v_or_b32_e32 v2, 0x10000, v65
	s_delay_alu instid0(VALU_DEP_2) | instskip(NEXT) | instid1(VALU_DEP_2)
	v_cmp_eq_u32_e32 vcc_lo, 0, v1
	v_cndmask_b32_e32 v1, v2, v65, vcc_lo
; %bb.82:
	s_or_b32 exec_lo, exec_lo, s4
	v_and_b32_e32 v2, 0x7f800000, v66
	s_delay_alu instid0(VALU_DEP_1) | instskip(SKIP_1) | instid1(SALU_CYCLE_1)
	v_cmp_ne_u32_e32 vcc_lo, 0x7f800000, v2
                                        ; implicit-def: $vgpr2
	s_and_saveexec_b32 s4, vcc_lo
	s_xor_b32 s4, exec_lo, s4
; %bb.83:
	v_bfe_u32 v2, v66, 16, 1
	s_delay_alu instid0(VALU_DEP_1)
	v_add3_u32 v2, v66, v2, 0x7fff
; %bb.84:
	s_and_not1_saveexec_b32 s4, s4
; %bb.85:
	v_and_b32_e32 v2, 0xffff, v66
	v_or_b32_e32 v3, 0x10000, v66
	s_delay_alu instid0(VALU_DEP_2) | instskip(NEXT) | instid1(VALU_DEP_2)
	v_cmp_eq_u32_e32 vcc_lo, 0, v2
	v_cndmask_b32_e32 v2, v3, v66, vcc_lo
; %bb.86:
	s_or_b32 exec_lo, exec_lo, s4
	v_and_b32_e32 v3, 0x7f800000, v67
	s_delay_alu instid0(VALU_DEP_1) | instskip(SKIP_1) | instid1(SALU_CYCLE_1)
	v_cmp_ne_u32_e32 vcc_lo, 0x7f800000, v3
                                        ; implicit-def: $vgpr3
	s_and_saveexec_b32 s4, vcc_lo
	s_xor_b32 s4, exec_lo, s4
; %bb.87:
	v_bfe_u32 v3, v67, 16, 1
	s_delay_alu instid0(VALU_DEP_1)
	v_add3_u32 v3, v67, v3, 0x7fff
; %bb.88:
	s_and_not1_saveexec_b32 s4, s4
; %bb.89:
	v_and_b32_e32 v3, 0xffff, v67
	v_or_b32_e32 v4, 0x10000, v67
	s_delay_alu instid0(VALU_DEP_2) | instskip(NEXT) | instid1(VALU_DEP_2)
	v_cmp_eq_u32_e32 vcc_lo, 0, v3
	v_cndmask_b32_e32 v3, v4, v67, vcc_lo
; %bb.90:
	s_or_b32 exec_lo, exec_lo, s4
	v_and_b32_e32 v4, 0x7f800000, v68
	s_delay_alu instid0(VALU_DEP_1) | instskip(SKIP_1) | instid1(SALU_CYCLE_1)
	v_cmp_ne_u32_e32 vcc_lo, 0x7f800000, v4
                                        ; implicit-def: $vgpr4
	s_and_saveexec_b32 s4, vcc_lo
	s_xor_b32 s4, exec_lo, s4
; %bb.91:
	v_bfe_u32 v4, v68, 16, 1
	s_delay_alu instid0(VALU_DEP_1)
	v_add3_u32 v4, v68, v4, 0x7fff
; %bb.92:
	s_and_not1_saveexec_b32 s4, s4
; %bb.93:
	v_and_b32_e32 v4, 0xffff, v68
	v_or_b32_e32 v5, 0x10000, v68
	s_delay_alu instid0(VALU_DEP_2) | instskip(NEXT) | instid1(VALU_DEP_2)
	v_cmp_eq_u32_e32 vcc_lo, 0, v4
	v_cndmask_b32_e32 v4, v5, v68, vcc_lo
; %bb.94:
	s_or_b32 exec_lo, exec_lo, s4
	v_and_b32_e32 v5, 0x7f800000, v69
	s_delay_alu instid0(VALU_DEP_1) | instskip(SKIP_1) | instid1(SALU_CYCLE_1)
	v_cmp_ne_u32_e32 vcc_lo, 0x7f800000, v5
                                        ; implicit-def: $vgpr5
	s_and_saveexec_b32 s4, vcc_lo
	s_xor_b32 s4, exec_lo, s4
; %bb.95:
	v_bfe_u32 v5, v69, 16, 1
	s_delay_alu instid0(VALU_DEP_1)
	v_add3_u32 v5, v69, v5, 0x7fff
; %bb.96:
	s_and_not1_saveexec_b32 s4, s4
; %bb.97:
	v_and_b32_e32 v5, 0xffff, v69
	v_or_b32_e32 v6, 0x10000, v69
	s_delay_alu instid0(VALU_DEP_2) | instskip(NEXT) | instid1(VALU_DEP_2)
	v_cmp_eq_u32_e32 vcc_lo, 0, v5
	v_cndmask_b32_e32 v5, v6, v69, vcc_lo
; %bb.98:
	s_or_b32 exec_lo, exec_lo, s4
	v_and_b32_e32 v6, 0x7f800000, v70
	s_delay_alu instid0(VALU_DEP_1) | instskip(SKIP_1) | instid1(SALU_CYCLE_1)
	v_cmp_ne_u32_e32 vcc_lo, 0x7f800000, v6
                                        ; implicit-def: $vgpr6
	s_and_saveexec_b32 s4, vcc_lo
	s_xor_b32 s4, exec_lo, s4
; %bb.99:
	v_bfe_u32 v6, v70, 16, 1
	s_delay_alu instid0(VALU_DEP_1)
	v_add3_u32 v6, v70, v6, 0x7fff
; %bb.100:
	s_and_not1_saveexec_b32 s4, s4
; %bb.101:
	v_and_b32_e32 v6, 0xffff, v70
	v_or_b32_e32 v7, 0x10000, v70
	s_delay_alu instid0(VALU_DEP_2) | instskip(NEXT) | instid1(VALU_DEP_2)
	v_cmp_eq_u32_e32 vcc_lo, 0, v6
	v_cndmask_b32_e32 v6, v7, v70, vcc_lo
; %bb.102:
	s_or_b32 exec_lo, exec_lo, s4
	v_and_b32_e32 v7, 0x7f800000, v71
	s_delay_alu instid0(VALU_DEP_1) | instskip(SKIP_1) | instid1(SALU_CYCLE_1)
	v_cmp_ne_u32_e32 vcc_lo, 0x7f800000, v7
                                        ; implicit-def: $vgpr7
	s_and_saveexec_b32 s4, vcc_lo
	s_xor_b32 s4, exec_lo, s4
; %bb.103:
	v_bfe_u32 v7, v71, 16, 1
	s_delay_alu instid0(VALU_DEP_1)
	v_add3_u32 v7, v71, v7, 0x7fff
; %bb.104:
	s_and_not1_saveexec_b32 s4, s4
; %bb.105:
	v_and_b32_e32 v7, 0xffff, v71
	v_or_b32_e32 v8, 0x10000, v71
	s_delay_alu instid0(VALU_DEP_2) | instskip(NEXT) | instid1(VALU_DEP_2)
	v_cmp_eq_u32_e32 vcc_lo, 0, v7
	v_cndmask_b32_e32 v7, v8, v71, vcc_lo
; %bb.106:
	s_or_b32 exec_lo, exec_lo, s4
	v_and_b32_e32 v8, 0x7f800000, v72
	s_delay_alu instid0(VALU_DEP_1) | instskip(SKIP_1) | instid1(SALU_CYCLE_1)
	v_cmp_ne_u32_e32 vcc_lo, 0x7f800000, v8
                                        ; implicit-def: $vgpr8
	s_and_saveexec_b32 s4, vcc_lo
	s_xor_b32 s4, exec_lo, s4
; %bb.107:
	v_bfe_u32 v8, v72, 16, 1
	s_delay_alu instid0(VALU_DEP_1)
	v_add3_u32 v8, v72, v8, 0x7fff
                                        ; implicit-def: $vgpr65_vgpr66_vgpr67_vgpr68_vgpr69_vgpr70_vgpr71_vgpr72
; %bb.108:
	s_and_not1_saveexec_b32 s4, s4
; %bb.109:
	v_and_b32_e32 v8, 0xffff, v72
	v_or_b32_e32 v9, 0x10000, v72
	s_delay_alu instid0(VALU_DEP_2) | instskip(NEXT) | instid1(VALU_DEP_2)
	v_cmp_eq_u32_e32 vcc_lo, 0, v8
	v_cndmask_b32_e32 v8, v9, v72, vcc_lo
; %bb.110:
	s_or_b32 exec_lo, exec_lo, s4
	s_delay_alu instid0(VALU_DEP_1)
	v_perm_b32 v7, v8, v7, 0x7060302
	v_perm_b32 v6, v6, v5, 0x7060302
	;; [unrolled: 1-line block ×4, first 2 shown]
	s_barrier
	buffer_gl0_inv
	v_cmp_eq_u32_e32 vcc_lo, 1, v78
	ds_store_b128 v76, v[4:7]
	s_waitcnt lgkmcnt(0)
	s_barrier
	buffer_gl0_inv
	ds_load_b128 v[1:4], v82
	ds_load_b128 v[5:8], v82 offset:16
	v_cmp_eq_u32_e64 s4, 1, v79
	v_cmp_eq_u32_e64 s5, 2, v78
	;; [unrolled: 1-line block ×5, first 2 shown]
	s_waitcnt lgkmcnt(1)
	v_lshrrev_b32_e32 v9, 16, v1
	s_waitcnt lgkmcnt(0)
	v_lshrrev_b32_e32 v13, 16, v5
	v_lshrrev_b32_e32 v10, 16, v2
	;; [unrolled: 1-line block ×4, first 2 shown]
	v_cndmask_b32_e64 v19, v1, v9, s4
	v_cndmask_b32_e32 v18, v5, v13, vcc_lo
	v_cndmask_b32_e64 v20, v5, v13, s4
	v_cndmask_b32_e32 v17, v1, v9, vcc_lo
	v_cmp_eq_u32_e32 vcc_lo, 2, v79
	v_lshrrev_b32_e32 v15, 16, v7
	v_cmp_eq_u32_e64 s4, 1, v77
	v_lshrrev_b32_e32 v12, 16, v4
	v_lshrrev_b32_e32 v16, 16, v8
	v_cndmask_b32_e32 v20, v20, v6, vcc_lo
	v_cndmask_b32_e64 v17, v17, v2, s5
	v_cndmask_b32_e32 v19, v19, v2, vcc_lo
	v_cndmask_b32_e64 v18, v18, v6, s5
	v_cmp_eq_u32_e32 vcc_lo, 4, v78
	v_cmp_eq_u32_e64 s5, 3, v79
	v_cndmask_b32_e64 v17, v17, v10, s6
	v_cndmask_b32_e64 v21, v1, v9, s4
	;; [unrolled: 1-line block ×5, first 2 shown]
	v_cndmask_b32_e32 v17, v17, v3, vcc_lo
	v_cndmask_b32_e64 v20, v20, v14, s5
	v_cndmask_b32_e32 v18, v18, v7, vcc_lo
	v_cmp_eq_u32_e32 vcc_lo, 4, v79
	v_cmp_eq_u32_e64 s5, 5, v79
	v_cmp_eq_u32_e64 s4, 2, v81
	v_cndmask_b32_e64 v21, v21, v2, s8
	v_cmp_eq_u32_e64 s6, 5, v78
	v_cndmask_b32_e32 v19, v19, v3, vcc_lo
	v_cndmask_b32_e32 v20, v20, v7, vcc_lo
	v_cmp_eq_u32_e32 vcc_lo, 6, v79
	s_delay_alu instid0(VALU_DEP_4) | instskip(NEXT) | instid1(VALU_DEP_4)
	v_cndmask_b32_e64 v17, v17, v11, s6
	v_cndmask_b32_e64 v19, v19, v11, s5
	s_delay_alu instid0(VALU_DEP_4) | instskip(SKIP_1) | instid1(VALU_DEP_3)
	v_cndmask_b32_e64 v20, v20, v15, s5
	v_cmp_eq_u32_e64 s5, 1, v81
	v_cndmask_b32_e32 v19, v19, v4, vcc_lo
	v_cndmask_b32_e64 v18, v18, v15, s6
	s_delay_alu instid0(VALU_DEP_3)
	v_cndmask_b32_e64 v1, v1, v9, s5
	v_cndmask_b32_e64 v5, v5, v13, s5
	v_cmp_eq_u32_e64 s5, 3, v77
	v_cndmask_b32_e64 v13, v22, v6, s8
	v_cmp_eq_u32_e64 s8, 3, v81
	v_cndmask_b32_e64 v1, v1, v2, s4
	v_cndmask_b32_e64 v2, v5, v6, s4
	;; [unrolled: 1-line block ×3, first 2 shown]
	v_cmp_eq_u32_e64 s4, 4, v77
	v_cndmask_b32_e64 v6, v13, v14, s5
	v_cndmask_b32_e64 v1, v1, v10, s8
	v_cmp_eq_u32_e64 s5, 4, v81
	v_cndmask_b32_e64 v2, v2, v14, s8
	v_cndmask_b32_e64 v5, v9, v3, s4
	;; [unrolled: 3-line block ×3, first 2 shown]
	v_cndmask_b32_e64 v2, v2, v7, s5
	v_cmp_eq_u32_e64 s4, 5, v81
	v_cmp_eq_u32_e64 s6, 6, v78
	v_cndmask_b32_e64 v5, v5, v11, s8
	v_cmp_eq_u32_e64 s5, 6, v77
	v_cndmask_b32_e64 v3, v6, v15, s8
	v_cndmask_b32_e64 v1, v1, v11, s4
	v_cmp_eq_u32_e64 s8, 6, v81
	v_cndmask_b32_e64 v2, v2, v15, s4
	v_cndmask_b32_e64 v17, v17, v4, s6
	v_cndmask_b32_e64 v18, v18, v8, s6
	v_cmp_eq_u32_e64 s6, 7, v78
	v_cndmask_b32_e64 v5, v5, v4, s5
	;; [unrolled: 4-line block ×3, first 2 shown]
	v_cmp_eq_u32_e64 s5, 7, v77
	v_cndmask_b32_e32 v4, v20, v8, vcc_lo
	v_cndmask_b32_e64 v17, v17, v12, s6
	v_cndmask_b32_e64 v19, v19, v12, s7
	;; [unrolled: 1-line block ×8, first 2 shown]
	v_cmp_gt_u32_e32 vcc_lo, 32, v0
	v_perm_b32 v4, v2, v1, 0x5040100
	v_perm_b32 v3, v3, v5, 0x5040100
	;; [unrolled: 1-line block ×4, first 2 shown]
	s_and_b32 s2, vcc_lo, s2
	ds_store_b128 v76, v[1:4]
	s_waitcnt lgkmcnt(0)
	s_barrier
	buffer_gl0_inv
	s_and_saveexec_b32 s4, s2
	s_cbranch_execz .LBB1474_2
; %bb.111:
	s_load_b64 s[4:5], s[0:1], 0x68
	v_lshlrev_b32_e32 v0, 10, v0
	v_lshlrev_b32_e32 v1, 4, v75
	s_lshl_b32 s0, s36, 6
	v_add_nc_u32_e32 v2, s31, v74
	s_mul_i32 s1, s0, s34
	s_delay_alu instid0(SALU_CYCLE_1) | instskip(SKIP_1) | instid1(VALU_DEP_2)
	s_mul_i32 s6, s1, s9
	v_and_or_b32 v0, 0x3800, v0, v1
	v_mul_lo_u32 v1, v2, s0
	s_ashr_i32 s7, s6, 31
	v_add_nc_u32_e32 v3, 2, v2
	s_lshl_b64 s[6:7], s[6:7], 1
	v_add_nc_u32_e32 v4, 4, v2
	v_add_nc_u32_e32 v5, 6, v2
	v_lshl_or_b32 v15, v74, 6, v0
	v_mul_lo_u32 v3, v3, s0
	v_ashrrev_i32_e32 v2, 31, v1
	v_mul_lo_u32 v19, v4, s0
	v_mul_lo_u32 v21, v5, s0
	s_waitcnt lgkmcnt(0)
	s_add_u32 s1, s4, s6
	s_addc_u32 s2, s5, s7
	s_lshl_b32 s4, s14, 6
	v_lshlrev_b64 v[5:6], 1, v[1:2]
	s_ashr_i32 s5, s4, 31
	v_ashrrev_i32_e32 v4, 31, v3
	s_lshl_b64 s[4:5], s[4:5], 1
	v_ashrrev_i32_e32 v20, 31, v19
	s_add_u32 s1, s1, s4
	s_addc_u32 s2, s2, s5
	v_add_co_u32 v1, s1, s1, v73
	s_delay_alu instid0(VALU_DEP_1) | instskip(SKIP_1) | instid1(VALU_DEP_3)
	v_add_co_ci_u32_e64 v2, null, s2, 0, s1
	v_lshlrev_b64 v[25:26], 1, v[3:4]
	v_add_co_u32 v23, vcc_lo, v1, v5
	s_delay_alu instid0(VALU_DEP_3)
	v_add_co_ci_u32_e32 v24, vcc_lo, v2, v6, vcc_lo
	ds_load_b128 v[3:6], v15
	ds_load_b128 v[7:10], v15 offset:128
	ds_load_b128 v[11:14], v15 offset:256
	;; [unrolled: 1-line block ×3, first 2 shown]
	v_ashrrev_i32_e32 v22, 31, v21
	v_lshlrev_b64 v[19:20], 1, v[19:20]
	v_add_co_u32 v25, vcc_lo, v1, v25
	v_add_co_ci_u32_e32 v26, vcc_lo, v2, v26, vcc_lo
	s_delay_alu instid0(VALU_DEP_4) | instskip(NEXT) | instid1(VALU_DEP_4)
	v_lshlrev_b64 v[21:22], 1, v[21:22]
	v_add_co_u32 v19, vcc_lo, v1, v19
	v_add_co_ci_u32_e32 v20, vcc_lo, v2, v20, vcc_lo
	s_delay_alu instid0(VALU_DEP_3) | instskip(NEXT) | instid1(VALU_DEP_4)
	v_add_co_u32 v21, vcc_lo, v1, v21
	v_add_co_ci_u32_e32 v22, vcc_lo, v2, v22, vcc_lo
	s_waitcnt lgkmcnt(3)
	global_store_b128 v[23:24], v[3:6], off
	s_waitcnt lgkmcnt(2)
	global_store_b128 v[25:26], v[7:10], off
	;; [unrolled: 2-line block ×4, first 2 shown]
	s_and_b32 exec_lo, exec_lo, s3
	s_cbranch_execz .LBB1474_2
; %bb.112:
	ds_load_b128 v[3:6], v0 offset:512
	s_add_i32 s1, s31, 8
	s_delay_alu instid0(SALU_CYCLE_1) | instskip(NEXT) | instid1(SALU_CYCLE_1)
	s_mul_i32 s0, s1, s0
	s_ashr_i32 s1, s0, 31
	s_delay_alu instid0(SALU_CYCLE_1) | instskip(NEXT) | instid1(SALU_CYCLE_1)
	s_lshl_b64 s[0:1], s[0:1], 1
	v_add_co_u32 v0, vcc_lo, v1, s0
	v_add_co_ci_u32_e32 v1, vcc_lo, s1, v2, vcc_lo
	s_waitcnt lgkmcnt(0)
	global_store_b128 v[0:1], v[3:6], off
	s_nop 0
	s_sendmsg sendmsg(MSG_DEALLOC_VGPRS)
	s_endpgm
	.section	.rodata,"a",@progbits
	.p2align	6, 0x0
	.amdhsa_kernel _Z39paged_attention_ll4mi_QKV_mfma16_kernelI14__hip_bfloat16hLN4vllm18Fp8KVCacheDataTypeE1ES0_Li32ELi64ELi256ELb1ELi9EL8MFMAType1EEvPKT_PKT0_S9_ifPKiSB_SB_iPKfiiiPfSE_PS4_PT2_iSD_SD_
		.amdhsa_group_segment_fixed_size 17472
		.amdhsa_private_segment_fixed_size 0
		.amdhsa_kernarg_size 400
		.amdhsa_user_sgpr_count 13
		.amdhsa_user_sgpr_dispatch_ptr 0
		.amdhsa_user_sgpr_queue_ptr 0
		.amdhsa_user_sgpr_kernarg_segment_ptr 1
		.amdhsa_user_sgpr_dispatch_id 0
		.amdhsa_user_sgpr_private_segment_size 0
		.amdhsa_wavefront_size32 1
		.amdhsa_uses_dynamic_stack 0
		.amdhsa_enable_private_segment 0
		.amdhsa_system_sgpr_workgroup_id_x 1
		.amdhsa_system_sgpr_workgroup_id_y 1
		.amdhsa_system_sgpr_workgroup_id_z 1
		.amdhsa_system_sgpr_workgroup_info 0
		.amdhsa_system_vgpr_workitem_id 0
		.amdhsa_next_free_vgpr 124
		.amdhsa_next_free_sgpr 42
		.amdhsa_reserve_vcc 1
		.amdhsa_float_round_mode_32 0
		.amdhsa_float_round_mode_16_64 0
		.amdhsa_float_denorm_mode_32 3
		.amdhsa_float_denorm_mode_16_64 3
		.amdhsa_dx10_clamp 1
		.amdhsa_ieee_mode 1
		.amdhsa_fp16_overflow 0
		.amdhsa_workgroup_processor_mode 1
		.amdhsa_memory_ordered 1
		.amdhsa_forward_progress 0
		.amdhsa_shared_vgpr_count 0
		.amdhsa_exception_fp_ieee_invalid_op 0
		.amdhsa_exception_fp_denorm_src 0
		.amdhsa_exception_fp_ieee_div_zero 0
		.amdhsa_exception_fp_ieee_overflow 0
		.amdhsa_exception_fp_ieee_underflow 0
		.amdhsa_exception_fp_ieee_inexact 0
		.amdhsa_exception_int_div_zero 0
	.end_amdhsa_kernel
	.section	.text._Z39paged_attention_ll4mi_QKV_mfma16_kernelI14__hip_bfloat16hLN4vllm18Fp8KVCacheDataTypeE1ES0_Li32ELi64ELi256ELb1ELi9EL8MFMAType1EEvPKT_PKT0_S9_ifPKiSB_SB_iPKfiiiPfSE_PS4_PT2_iSD_SD_,"axG",@progbits,_Z39paged_attention_ll4mi_QKV_mfma16_kernelI14__hip_bfloat16hLN4vllm18Fp8KVCacheDataTypeE1ES0_Li32ELi64ELi256ELb1ELi9EL8MFMAType1EEvPKT_PKT0_S9_ifPKiSB_SB_iPKfiiiPfSE_PS4_PT2_iSD_SD_,comdat
.Lfunc_end1474:
	.size	_Z39paged_attention_ll4mi_QKV_mfma16_kernelI14__hip_bfloat16hLN4vllm18Fp8KVCacheDataTypeE1ES0_Li32ELi64ELi256ELb1ELi9EL8MFMAType1EEvPKT_PKT0_S9_ifPKiSB_SB_iPKfiiiPfSE_PS4_PT2_iSD_SD_, .Lfunc_end1474-_Z39paged_attention_ll4mi_QKV_mfma16_kernelI14__hip_bfloat16hLN4vllm18Fp8KVCacheDataTypeE1ES0_Li32ELi64ELi256ELb1ELi9EL8MFMAType1EEvPKT_PKT0_S9_ifPKiSB_SB_iPKfiiiPfSE_PS4_PT2_iSD_SD_
                                        ; -- End function
	.section	.AMDGPU.csdata,"",@progbits
; Kernel info:
; codeLenInByte = 8856
; NumSgprs: 44
; NumVgprs: 124
; ScratchSize: 0
; MemoryBound: 0
; FloatMode: 240
; IeeeMode: 1
; LDSByteSize: 17472 bytes/workgroup (compile time only)
; SGPRBlocks: 5
; VGPRBlocks: 15
; NumSGPRsForWavesPerEU: 44
; NumVGPRsForWavesPerEU: 124
; Occupancy: 10
; WaveLimiterHint : 1
; COMPUTE_PGM_RSRC2:SCRATCH_EN: 0
; COMPUTE_PGM_RSRC2:USER_SGPR: 13
; COMPUTE_PGM_RSRC2:TRAP_HANDLER: 0
; COMPUTE_PGM_RSRC2:TGID_X_EN: 1
; COMPUTE_PGM_RSRC2:TGID_Y_EN: 1
; COMPUTE_PGM_RSRC2:TGID_Z_EN: 1
; COMPUTE_PGM_RSRC2:TIDIG_COMP_CNT: 0
	.section	.text._Z39paged_attention_ll4mi_QKV_mfma16_kernelI14__hip_bfloat16hLN4vllm18Fp8KVCacheDataTypeE1ES0_Li32ELi64ELi256ELb1ELi10EL8MFMAType1EEvPKT_PKT0_S9_ifPKiSB_SB_iPKfiiiPfSE_PS4_PT2_iSD_SD_,"axG",@progbits,_Z39paged_attention_ll4mi_QKV_mfma16_kernelI14__hip_bfloat16hLN4vllm18Fp8KVCacheDataTypeE1ES0_Li32ELi64ELi256ELb1ELi10EL8MFMAType1EEvPKT_PKT0_S9_ifPKiSB_SB_iPKfiiiPfSE_PS4_PT2_iSD_SD_,comdat
	.protected	_Z39paged_attention_ll4mi_QKV_mfma16_kernelI14__hip_bfloat16hLN4vllm18Fp8KVCacheDataTypeE1ES0_Li32ELi64ELi256ELb1ELi10EL8MFMAType1EEvPKT_PKT0_S9_ifPKiSB_SB_iPKfiiiPfSE_PS4_PT2_iSD_SD_ ; -- Begin function _Z39paged_attention_ll4mi_QKV_mfma16_kernelI14__hip_bfloat16hLN4vllm18Fp8KVCacheDataTypeE1ES0_Li32ELi64ELi256ELb1ELi10EL8MFMAType1EEvPKT_PKT0_S9_ifPKiSB_SB_iPKfiiiPfSE_PS4_PT2_iSD_SD_
	.globl	_Z39paged_attention_ll4mi_QKV_mfma16_kernelI14__hip_bfloat16hLN4vllm18Fp8KVCacheDataTypeE1ES0_Li32ELi64ELi256ELb1ELi10EL8MFMAType1EEvPKT_PKT0_S9_ifPKiSB_SB_iPKfiiiPfSE_PS4_PT2_iSD_SD_
	.p2align	8
	.type	_Z39paged_attention_ll4mi_QKV_mfma16_kernelI14__hip_bfloat16hLN4vllm18Fp8KVCacheDataTypeE1ES0_Li32ELi64ELi256ELb1ELi10EL8MFMAType1EEvPKT_PKT0_S9_ifPKiSB_SB_iPKfiiiPfSE_PS4_PT2_iSD_SD_,@function
_Z39paged_attention_ll4mi_QKV_mfma16_kernelI14__hip_bfloat16hLN4vllm18Fp8KVCacheDataTypeE1ES0_Li32ELi64ELi256ELb1ELi10EL8MFMAType1EEvPKT_PKT0_S9_ifPKiSB_SB_iPKfiiiPfSE_PS4_PT2_iSD_SD_: ; @_Z39paged_attention_ll4mi_QKV_mfma16_kernelI14__hip_bfloat16hLN4vllm18Fp8KVCacheDataTypeE1ES0_Li32ELi64ELi256ELb1ELi10EL8MFMAType1EEvPKT_PKT0_S9_ifPKiSB_SB_iPKfiiiPfSE_PS4_PT2_iSD_SD_
; %bb.0:
	s_load_b64 s[2:3], s[0:1], 0x30
	s_mov_b32 s30, s13
	s_waitcnt lgkmcnt(0)
	s_cmp_lg_u64 s[2:3], 0
	s_cselect_b32 s8, -1, 0
	s_ashr_i32 s31, s13, 31
	s_cmp_eq_u64 s[2:3], 0
	s_cbranch_scc1 .LBB1475_3
; %bb.1:
	s_lshl_b64 s[4:5], s[30:31], 2
	s_delay_alu instid0(SALU_CYCLE_1) | instskip(SKIP_4) | instid1(SALU_CYCLE_1)
	s_add_u32 s4, s2, s4
	s_addc_u32 s5, s3, s5
	s_load_b64 s[4:5], s[4:5], 0x0
	s_waitcnt lgkmcnt(0)
	s_sub_i32 s4, s5, s4
	s_cmp_eq_u32 s4, 1
	s_cselect_b32 s4, -1, 0
	s_delay_alu instid0(SALU_CYCLE_1)
	s_and_not1_b32 vcc_lo, exec_lo, s4
	s_cbranch_vccz .LBB1475_4
.LBB1475_2:
	s_endpgm
.LBB1475_3:
.LBB1475_4:
	s_load_b64 s[4:5], s[0:1], 0x28
	s_lshl_b64 s[6:7], s[30:31], 2
	s_waitcnt lgkmcnt(0)
	s_add_u32 s4, s4, s6
	s_addc_u32 s5, s5, s7
	s_lshl_b32 s12, s14, 8
	s_load_b32 s24, s[4:5], 0x0
	s_waitcnt lgkmcnt(0)
	s_cmp_ge_i32 s12, s24
	s_cbranch_scc1 .LBB1475_2
; %bb.5:
	s_clause 0x1
	s_load_b128 s[20:23], s[0:1], 0x8
	s_load_b64 s[4:5], s[0:1], 0x20
	s_and_not1_b32 vcc_lo, exec_lo, s8
	s_cbranch_vccnz .LBB1475_7
; %bb.6:
	s_add_u32 s2, s2, s6
	s_addc_u32 s3, s3, s7
	s_load_b32 s3, s[2:3], 0x0
	s_branch .LBB1475_8
.LBB1475_7:
	s_mov_b32 s3, s30
.LBB1475_8:
	s_load_b128 s[16:19], s[0:1], 0x48
	v_and_b32_e32 v65, 15, v0
	v_cmp_gt_u32_e32 vcc_lo, 0xa0, v0
	v_lshrrev_b32_e32 v66, 5, v0
	v_and_b32_e32 v67, 31, v0
	v_and_b32_e32 v75, 1, v0
	v_lshlrev_b32_e32 v1, 3, v65
	v_cmp_gt_u32_e64 s2, 8, v65
	v_bfe_u32 v74, v0, 4, 1
	s_mul_i32 s31, s15, 10
	s_delay_alu instid0(VALU_DEP_3) | instskip(NEXT) | instid1(VALU_DEP_3)
	v_lshlrev_b32_e32 v73, 1, v1
	s_and_b32 s7, vcc_lo, s2
	s_delay_alu instid0(SALU_CYCLE_1)
	s_and_saveexec_b32 s6, s7
	s_cbranch_execz .LBB1475_10
; %bb.9:
	s_load_b64 s[8:9], s[0:1], 0x0
	v_lshl_or_b32 v5, v66, 1, v74
	s_waitcnt lgkmcnt(0)
	s_mul_hi_i32 s11, s3, s16
	s_mul_i32 s10, s3, s16
	v_lshlrev_b32_e32 v6, 10, v65
	s_lshl_b64 s[10:11], s[10:11], 1
	v_add_lshl_u32 v1, v5, s31, 6
	v_lshlrev_b32_e32 v5, 6, v5
	v_lshlrev_b32_e32 v7, 10, v75
	v_and_b32_e32 v6, 0x3800, v6
	s_delay_alu instid0(VALU_DEP_4) | instskip(NEXT) | instid1(VALU_DEP_2)
	v_ashrrev_i32_e32 v2, 31, v1
	v_or3_b32 v5, v6, v7, v5
	s_delay_alu instid0(VALU_DEP_2) | instskip(SKIP_2) | instid1(VALU_DEP_1)
	v_lshlrev_b64 v[1:2], 1, v[1:2]
	s_add_u32 s3, s8, s10
	s_addc_u32 s7, s9, s11
	v_add_co_u32 v1, vcc_lo, s3, v1
	s_delay_alu instid0(VALU_DEP_2) | instskip(NEXT) | instid1(VALU_DEP_2)
	v_add_co_ci_u32_e32 v2, vcc_lo, s7, v2, vcc_lo
	v_add_co_u32 v1, vcc_lo, v1, v73
	s_delay_alu instid0(VALU_DEP_2)
	v_add_co_ci_u32_e32 v2, vcc_lo, 0, v2, vcc_lo
	global_load_b128 v[1:4], v[1:2], off
	s_waitcnt vmcnt(0)
	ds_store_b128 v5, v[1:4]
.LBB1475_10:
	s_or_b32 exec_lo, exec_lo, s6
	v_and_b32_e32 v1, 0xef, v0
	s_waitcnt lgkmcnt(0)
	s_add_i32 s3, s24, 31
	s_clause 0x1
	s_load_b32 s6, s[0:1], 0x38
	s_load_b32 s19, s[0:1], 0x1c
	s_ashr_i32 s7, s3, 31
	v_add_nc_u32_e32 v1, s12, v1
	s_lshr_b32 s7, s7, 27
	s_waitcnt lgkmcnt(0)
	s_add_i32 s3, s3, s7
	s_barrier
	v_ashrrev_i32_e32 v2, 31, v1
	v_or_b32_e32 v3, 16, v1
	s_ashr_i32 s3, s3, 5
	v_cmp_gt_i32_e32 vcc_lo, s24, v1
	s_add_i32 s3, s3, -1
	v_lshrrev_b32_e32 v2, 27, v2
	buffer_gl0_inv
	s_mul_i32 s27, s15, s18
	v_add_nc_u32_e32 v4, v1, v2
	s_mul_i32 s6, s30, s6
	s_delay_alu instid0(SALU_CYCLE_1) | instskip(NEXT) | instid1(VALU_DEP_1)
	s_ashr_i32 s7, s6, 31
	v_ashrrev_i32_e32 v4, 5, v4
	v_add_nc_u32_e32 v2, v3, v2
	s_lshl_b64 s[6:7], s[6:7], 2
	s_delay_alu instid0(SALU_CYCLE_1) | instskip(NEXT) | instid1(VALU_DEP_2)
	s_add_u32 s26, s4, s6
	v_cndmask_b32_e32 v1, s3, v4, vcc_lo
	s_delay_alu instid0(VALU_DEP_2)
	v_ashrrev_i32_e32 v2, 5, v2
	v_cmp_gt_i32_e32 vcc_lo, s24, v3
	s_addc_u32 s25, s5, s7
	s_ashr_i32 s28, s27, 31
	s_add_u32 s4, s20, s27
	s_addc_u32 s5, s21, s28
	v_cndmask_b32_e32 v3, s3, v2, vcc_lo
	v_ashrrev_i32_e32 v2, 31, v1
	s_lshl_b32 s6, s14, 3
	s_delay_alu instid0(SALU_CYCLE_1) | instskip(NEXT) | instid1(VALU_DEP_2)
	s_ashr_i32 s7, s6, 31
	v_ashrrev_i32_e32 v4, 31, v3
	s_delay_alu instid0(VALU_DEP_2) | instskip(SKIP_1) | instid1(SALU_CYCLE_1)
	v_lshlrev_b64 v[1:2], 2, v[1:2]
	s_lshl_b64 s[6:7], s[6:7], 2
	s_add_u32 s6, s26, s6
	s_delay_alu instid0(VALU_DEP_2) | instskip(SKIP_1) | instid1(VALU_DEP_2)
	v_lshlrev_b64 v[3:4], 2, v[3:4]
	s_addc_u32 s7, s25, s7
	v_add_co_u32 v1, vcc_lo, s26, v1
	v_add_co_ci_u32_e32 v2, vcc_lo, s25, v2, vcc_lo
	s_delay_alu instid0(VALU_DEP_3) | instskip(NEXT) | instid1(VALU_DEP_4)
	v_add_co_u32 v3, vcc_lo, s26, v3
	v_add_co_ci_u32_e32 v4, vcc_lo, s25, v4, vcc_lo
	s_clause 0x1
	global_load_b32 v5, v[1:2], off
	global_load_b32 v6, v[3:4], off
	s_or_b32 s8, s12, 32
	s_delay_alu instid0(SALU_CYCLE_1) | instskip(SKIP_2) | instid1(SALU_CYCLE_1)
	s_ashr_i32 s9, s8, 5
	s_cmp_lt_i32 s8, s24
	s_cselect_b32 s8, s9, s3
	s_ashr_i32 s9, s8, 31
	s_delay_alu instid0(SALU_CYCLE_1) | instskip(NEXT) | instid1(SALU_CYCLE_1)
	s_lshl_b64 s[8:9], s[8:9], 2
	s_add_u32 s8, s26, s8
	s_addc_u32 s9, s25, s9
	s_or_b32 s10, s12, 64
	s_delay_alu instid0(SALU_CYCLE_1) | instskip(SKIP_2) | instid1(SALU_CYCLE_1)
	s_ashr_i32 s11, s10, 5
	s_cmp_lt_i32 s10, s24
	s_cselect_b32 s10, s11, s3
	s_ashr_i32 s11, s10, 31
	s_delay_alu instid0(SALU_CYCLE_1) | instskip(NEXT) | instid1(SALU_CYCLE_1)
	s_lshl_b64 s[10:11], s[10:11], 2
	s_add_u32 s10, s26, s10
	s_addc_u32 s11, s25, s11
	;; [unrolled: 10-line block ×5, first 2 shown]
	s_clause 0x5
	s_load_b32 s21, s[6:7], 0x0
	s_load_b32 s13, s[8:9], 0x0
	;; [unrolled: 1-line block ×6, first 2 shown]
	s_or_b32 s8, s12, 0xc0
	s_delay_alu instid0(SALU_CYCLE_1) | instskip(SKIP_2) | instid1(SALU_CYCLE_1)
	s_ashr_i32 s9, s8, 5
	s_cmp_lt_i32 s8, s24
	s_cselect_b32 s34, s9, s3
	s_ashr_i32 s35, s34, 31
	s_delay_alu instid0(SALU_CYCLE_1) | instskip(NEXT) | instid1(SALU_CYCLE_1)
	s_lshl_b64 s[34:35], s[34:35], 2
	s_add_u32 s34, s26, s34
	s_addc_u32 s35, s25, s35
	s_or_b32 s29, s12, 0xe0
	s_delay_alu instid0(SALU_CYCLE_1)
	s_ashr_i32 s33, s29, 5
	s_cmp_lt_i32 s29, s24
	s_waitcnt vmcnt(1)
	v_mad_i64_i32 v[1:2], null, v5, s17, s[4:5]
	s_waitcnt vmcnt(0)
	v_mad_i64_i32 v[3:4], null, v6, s17, s[4:5]
	s_mov_b32 s4, 0
	s_delay_alu instid0(SALU_CYCLE_1)
	s_mov_b32 s5, s4
	s_mov_b32 s6, s4
	;; [unrolled: 1-line block ×7, first 2 shown]
	v_lshlrev_b32_e32 v5, 4, v65
	v_dual_mov_b32 v107, s11 :: v_dual_mov_b32 v102, s6
	v_mov_b32_e32 v100, s4
	v_mov_b32_e32 v106, s10
	s_delay_alu instid0(VALU_DEP_4)
	v_add_co_u32 v1, vcc_lo, v1, v5
	v_add_co_ci_u32_e32 v2, vcc_lo, 0, v2, vcc_lo
	v_add_co_u32 v3, vcc_lo, v3, v5
	v_add_co_ci_u32_e32 v4, vcc_lo, 0, v4, vcc_lo
	s_clause 0x7
	global_load_b128 v[49:52], v[1:2], off
	global_load_b128 v[53:56], v[1:2], off offset:512
	global_load_b128 v[76:79], v[3:4], off offset:256
	;; [unrolled: 1-line block ×7, first 2 shown]
	v_add_nc_u32_e32 v1, -10, v65
	v_cmp_gt_u32_e32 vcc_lo, 10, v65
	v_dual_mov_b32 v104, s8 :: v_dual_mov_b32 v103, s7
	v_dual_mov_b32 v101, s5 :: v_dual_lshlrev_b32 v2, 5, v65
	s_delay_alu instid0(VALU_DEP_4)
	v_cndmask_b32_e32 v1, v1, v65, vcc_lo
	v_mov_b32_e32 v105, s9
	s_cselect_b32 s4, s33, s3
	s_load_b32 s3, s[34:35], 0x0
	s_ashr_i32 s5, s4, 31
	v_lshlrev_b32_e32 v70, 6, v1
	s_lshl_b64 s[4:5], s[4:5], 2
	v_lshl_or_b32 v2, v66, 9, v2
	s_add_u32 s4, s26, s4
	s_addc_u32 s5, s25, s5
	ds_load_b128 v[108:111], v70
	ds_load_b128 v[112:115], v70 offset:1024
	s_load_b32 s4, s[4:5], 0x0
	s_add_u32 s6, s22, s27
	s_addc_u32 s7, s23, s28
	v_add_co_u32 v9, s6, s6, v2
	s_delay_alu instid0(VALU_DEP_1) | instskip(SKIP_1) | instid1(VALU_DEP_1)
	v_add_co_ci_u32_e64 v10, null, s7, 0, s6
	s_waitcnt lgkmcnt(0)
	v_mad_i64_i32 v[1:2], null, s21, s17, v[9:10]
	v_mad_i64_i32 v[3:4], null, s13, s17, v[9:10]
	;; [unrolled: 1-line block ×7, first 2 shown]
	s_clause 0x9
	global_load_b128 v[57:60], v[1:2], off
	global_load_b128 v[61:64], v[1:2], off offset:16
	global_load_b128 v[41:44], v[3:4], off
	global_load_b128 v[45:48], v[3:4], off offset:16
	;; [unrolled: 2-line block ×5, first 2 shown]
	v_mad_i64_i32 v[68:69], null, s4, s17, v[9:10]
	s_clause 0x3
	global_load_b128 v[9:12], v[13:14], off
	global_load_b128 v[13:16], v[13:14], off offset:16
	global_load_b128 v[17:20], v[21:22], off
	global_load_b128 v[21:24], v[21:22], off offset:16
	s_waitcnt vmcnt(20)
	v_wmma_f32_16x16x16_bf16 v[116:123], v[49:56], v[108:115], v[100:107]
	s_clause 0x1
	global_load_b128 v[49:52], v[68:69], off
	global_load_b128 v[53:56], v[68:69], off offset:16
	v_and_b32_e32 v68, 0xe0, v0
	v_mbcnt_lo_u32_b32 v69, -1, 0
	s_delay_alu instid0(VALU_DEP_2)
	v_add_nc_u32_e32 v68, s12, v68
	s_waitcnt vmcnt(20)
	v_wmma_f32_16x16x16_bf16 v[100:107], v[76:83], v[108:115], v[100:107]
	ds_load_b128 v[76:79], v70 offset:2048
	ds_load_b128 v[80:83], v70 offset:3072
	v_xor_b32_e32 v70, 16, v69
	s_waitcnt vmcnt(0) lgkmcnt(0)
	v_or_b32_e32 v68, v68, v74
	s_barrier
	buffer_gl0_inv
	v_cmp_gt_i32_e32 vcc_lo, 32, v70
	v_or_b32_e32 v71, 4, v68
	v_or_b32_e32 v72, 6, v68
	v_cmp_gt_i32_e64 s3, s24, v68
	v_or_b32_e32 v108, 8, v68
	v_or_b32_e32 v109, 10, v68
	v_cmp_gt_i32_e64 s4, s24, v71
	v_cmp_gt_i32_e64 s5, s24, v72
	s_delay_alu instid0(VALU_DEP_4) | instskip(NEXT) | instid1(VALU_DEP_4)
	v_cmp_gt_i32_e64 s6, s24, v108
	v_cmp_gt_i32_e64 s7, s24, v109
	v_wmma_f32_16x16x16_bf16 v[116:123], v[84:91], v[76:83], v[116:123]
	v_cndmask_b32_e32 v69, v69, v70, vcc_lo
	v_or_b32_e32 v70, 2, v68
	v_wmma_f32_16x16x16_bf16 v[100:107], v[92:99], v[76:83], v[100:107]
	v_or_b32_e32 v89, 22, v68
	v_dual_mul_f32 v80, s19, v121 :: v_dual_mul_f32 v81, s19, v120
	v_dual_mul_f32 v92, s19, v117 :: v_dual_mul_f32 v93, s19, v116
	s_delay_alu instid0(VALU_DEP_4)
	v_mul_f32_e32 v96, s19, v105
	v_cmp_gt_i32_e32 vcc_lo, s24, v70
	v_dual_mul_f32 v79, s19, v122 :: v_dual_mul_f32 v82, s19, v119
	v_dual_mul_f32 v83, s19, v118 :: v_dual_mul_f32 v94, s19, v107
	v_cndmask_b32_e64 v93, 0xff7fffff, v93, s3
	v_cndmask_b32_e32 v92, 0xff7fffff, v92, vcc_lo
	v_or_b32_e32 v84, 12, v68
	v_or_b32_e32 v85, 14, v68
	v_cndmask_b32_e64 v71, 0xff7fffff, v83, s4
	v_cndmask_b32_e64 v72, 0xff7fffff, v82, s5
	v_cmp_gt_i32_e64 s13, s24, v89
	v_lshlrev_b32_e32 v89, 2, v69
	v_max3_f32 v82, v93, 0xff7fffff, v92
	v_or_b32_e32 v86, 16, v68
	v_or_b32_e32 v87, 18, v68
	v_mul_f32_e32 v78, s19, v123
	v_cndmask_b32_e64 v81, 0xff7fffff, v81, s6
	v_cndmask_b32_e64 v80, 0xff7fffff, v80, s7
	v_max3_f32 v71, v82, v71, v72
	v_cmp_gt_i32_e64 s8, s24, v84
	v_cmp_gt_i32_e64 s9, s24, v85
	v_or_b32_e32 v88, 20, v68
	v_or_b32_e32 v90, 24, v68
	;; [unrolled: 1-line block ×5, first 2 shown]
	v_dual_mul_f32 v97, s19, v104 :: v_dual_mul_f32 v70, s19, v101
	v_dual_mul_f32 v99, s19, v102 :: v_dual_mul_f32 v68, s19, v100
	v_cndmask_b32_e64 v72, 0xff7fffff, v79, s8
	v_cndmask_b32_e64 v78, 0xff7fffff, v78, s9
	v_max3_f32 v71, v71, v81, v80
	v_cmp_gt_i32_e64 s10, s24, v86
	v_cmp_gt_i32_e64 s11, s24, v87
	v_dual_mul_f32 v95, s19, v106 :: v_dual_mul_f32 v98, s19, v103
	s_delay_alu instid0(VALU_DEP_4) | instskip(NEXT) | instid1(VALU_DEP_4)
	v_max3_f32 v71, v71, v72, v78
	v_cndmask_b32_e64 v68, 0xff7fffff, v68, s10
	s_delay_alu instid0(VALU_DEP_4)
	v_cndmask_b32_e64 v70, 0xff7fffff, v70, s11
	v_cmp_gt_i32_e64 s12, s24, v88
	v_cndmask_b32_e64 v78, 0xff7fffff, v98, s13
	v_cmp_gt_i32_e64 s15, s24, v90
	v_cmp_gt_i32_e64 s16, s24, v91
	v_max3_f32 v68, v71, v68, v70
	v_cndmask_b32_e64 v72, 0xff7fffff, v99, s12
	v_cmp_gt_i32_e64 s17, s24, v76
	v_cndmask_b32_e64 v70, 0xff7fffff, v97, s15
	v_cndmask_b32_e64 v71, 0xff7fffff, v96, s16
	v_cmp_gt_i32_e64 s18, s24, v77
	v_max3_f32 v68, v68, v72, v78
	v_cndmask_b32_e64 v72, 0xff7fffff, v95, s17
	s_delay_alu instid0(VALU_DEP_3) | instskip(NEXT) | instid1(VALU_DEP_3)
	v_cndmask_b32_e64 v76, 0xff7fffff, v94, s18
	v_max3_f32 v68, v68, v70, v71
	s_delay_alu instid0(VALU_DEP_1) | instskip(SKIP_3) | instid1(VALU_DEP_1)
	v_max3_f32 v68, v68, v72, v76
	ds_bpermute_b32 v69, v89, v68
	s_waitcnt lgkmcnt(0)
	v_max_f32_e32 v69, v69, v69
	v_max_f32_e32 v68, v68, v69
	s_delay_alu instid0(VALU_DEP_1) | instskip(NEXT) | instid1(VALU_DEP_1)
	v_fma_f32 v71, s19, v118, -v68
	v_mul_f32_e32 v71, 0x3fb8aa3b, v71
	v_fma_f32 v70, s19, v117, -v68
	v_fma_f32 v69, s19, v116, -v68
	;; [unrolled: 1-line block ×5, first 2 shown]
	s_delay_alu instid0(VALU_DEP_4) | instskip(SKIP_1) | instid1(VALU_DEP_3)
	v_dual_mul_f32 v70, 0x3fb8aa3b, v70 :: v_dual_mul_f32 v69, 0x3fb8aa3b, v69
	v_exp_f32_e32 v71, v71
	v_mul_f32_e32 v72, 0x3fb8aa3b, v72
	v_fma_f32 v81, s19, v105, -v68
	s_delay_alu instid0(VALU_DEP_3)
	v_exp_f32_e32 v70, v70
	v_mul_f32_e32 v77, 0x3fb8aa3b, v76
	v_exp_f32_e32 v69, v69
	v_exp_f32_e32 v72, v72
	v_mul_f32_e32 v81, 0x3fb8aa3b, v81
	v_cndmask_b32_e64 v83, 0, v71, s4
	v_fma_f32 v71, s19, v123, -v68
	s_delay_alu instid0(VALU_DEP_3) | instskip(SKIP_4) | instid1(TRANS32_DEP_3)
	v_exp_f32_e32 v81, v81
	v_cndmask_b32_e32 v76, 0, v70, vcc_lo
	v_exp_f32_e32 v77, v77
	v_cndmask_b32_e64 v80, 0, v69, s3
	v_fma_f32 v69, s19, v121, -v68
	v_cndmask_b32_e64 v85, 0, v72, s5
	v_mul_f32_e32 v71, 0x3fb8aa3b, v71
	v_fma_f32 v72, s19, v100, -v68
	s_delay_alu instid0(VALU_DEP_4) | instskip(SKIP_1) | instid1(VALU_DEP_3)
	v_dual_add_f32 v70, 0, v80 :: v_dual_mul_f32 v69, 0x3fb8aa3b, v69
	s_mov_b32 s3, exec_lo
	v_exp_f32_e32 v71, v71
	s_delay_alu instid0(TRANS32_DEP_2) | instskip(SKIP_4) | instid1(VALU_DEP_3)
	v_cndmask_b32_e64 v86, 0, v77, s6
	v_fma_f32 v77, s19, v101, -v68
	v_mul_f32_e32 v78, 0x3fb8aa3b, v78
	v_add_f32_e32 v70, v70, v76
	v_exp_f32_e32 v69, v69
	v_mul_f32_e32 v77, 0x3fb8aa3b, v77
	s_delay_alu instid0(VALU_DEP_3) | instskip(NEXT) | instid1(TRANS32_DEP_3)
	v_exp_f32_e32 v78, v78
	v_cndmask_b32_e64 v88, 0, v71, s9
	v_fma_f32 v71, s19, v104, -v68
	s_delay_alu instid0(VALU_DEP_3) | instskip(NEXT) | instid1(TRANS32_DEP_3)
	v_exp_f32_e32 v77, v77
	v_cndmask_b32_e64 v87, 0, v69, s7
	s_delay_alu instid0(VALU_DEP_2)
	v_mul_f32_e32 v71, 0x3fb8aa3b, v71
	s_waitcnt_depctr 0xfff
	v_cndmask_b32_e64 v84, 0, v78, s8
	v_add_f32_e32 v70, v70, v83
	v_fma_f32 v78, s19, v103, -v68
	v_exp_f32_e32 v82, v71
	s_delay_alu instid0(VALU_DEP_2) | instskip(SKIP_1) | instid1(VALU_DEP_3)
	v_add_f32_e32 v70, v70, v85
	v_mul_f32_e32 v72, 0x3fb8aa3b, v72
	v_mul_f32_e32 v78, 0x3fb8aa3b, v78
	s_delay_alu instid0(VALU_DEP_3) | instskip(SKIP_1) | instid1(VALU_DEP_4)
	v_add_f32_e32 v69, v70, v86
	v_fma_f32 v70, s19, v102, -v68
	v_exp_f32_e32 v72, v72
	s_delay_alu instid0(VALU_DEP_3) | instskip(NEXT) | instid1(VALU_DEP_1)
	v_exp_f32_e32 v78, v78
	v_dual_add_f32 v69, v69, v87 :: v_dual_mul_f32 v70, 0x3fb8aa3b, v70
	s_delay_alu instid0(VALU_DEP_1) | instskip(NEXT) | instid1(VALU_DEP_2)
	v_add_f32_e32 v69, v69, v84
	v_exp_f32_e32 v79, v70
	s_delay_alu instid0(TRANS32_DEP_3) | instskip(NEXT) | instid1(VALU_DEP_2)
	v_cndmask_b32_e64 v70, 0, v72, s10
	v_add_f32_e32 v72, v69, v88
	v_cndmask_b32_e64 v69, 0, v77, s11
	v_fma_f32 v77, s19, v106, -v68
	s_waitcnt_depctr 0xfff
	v_cndmask_b32_e64 v71, 0, v79, s12
	v_dual_mul_f32 v77, 0x3fb8aa3b, v77 :: v_dual_add_f32 v72, v72, v70
	s_delay_alu instid0(VALU_DEP_1) | instskip(NEXT) | instid1(VALU_DEP_1)
	v_exp_f32_e32 v90, v77
	v_add_f32_e32 v79, v72, v69
	v_cndmask_b32_e64 v72, 0, v78, s13
	v_cndmask_b32_e64 v77, 0, v82, s15
	s_delay_alu instid0(VALU_DEP_3) | instskip(SKIP_1) | instid1(VALU_DEP_1)
	v_add_f32_e32 v78, v79, v71
	v_fma_f32 v79, s19, v107, -v68
	v_dual_add_f32 v82, v78, v72 :: v_dual_mul_f32 v79, 0x3fb8aa3b, v79
	v_cndmask_b32_e64 v78, 0, v81, s16
	s_delay_alu instid0(VALU_DEP_2) | instskip(NEXT) | instid1(VALU_DEP_3)
	v_add_f32_e32 v81, v82, v77
	v_exp_f32_e32 v82, v79
	v_cndmask_b32_e64 v79, 0, v90, s17
	s_delay_alu instid0(VALU_DEP_2) | instskip(NEXT) | instid1(VALU_DEP_1)
	v_add_f32_e32 v81, v81, v78
	v_add_f32_e32 v90, v81, v79
	s_waitcnt_depctr 0xfff
	v_cndmask_b32_e64 v81, 0, v82, s18
	s_delay_alu instid0(VALU_DEP_1)
	v_add_f32_e32 v82, v90, v81
	ds_bpermute_b32 v89, v89, v82
	v_cmpx_gt_u32_e32 16, v67
	s_cbranch_execz .LBB1475_12
; %bb.11:
	v_mul_u32_u24_e32 v67, 0x44, v66
	s_delay_alu instid0(VALU_DEP_1) | instskip(SKIP_1) | instid1(VALU_DEP_1)
	v_lshl_add_u32 v67, v65, 2, v67
	s_waitcnt lgkmcnt(0)
	v_dual_add_f32 v82, v82, v89 :: v_dual_add_nc_u32 v67, 0x4000, v67
	ds_store_2addr_b32 v67, v68, v82 offset1:136
.LBB1475_12:
	s_or_b32 exec_lo, exec_lo, s3
	v_lshlrev_b32_e32 v67, 2, v65
	s_waitcnt lgkmcnt(0)
	s_barrier
	buffer_gl0_inv
	v_cmp_eq_u32_e32 vcc_lo, 1, v66
	v_add_nc_u32_e32 v82, 0x4000, v67
	v_cmp_eq_u32_e64 s3, 2, v66
	v_cmp_eq_u32_e64 s5, 7, v66
	ds_load_2addr_b32 v[89:90], v82 offset1:17
	ds_load_2addr_b32 v[91:92], v82 offset0:34 offset1:51
	ds_load_2addr_b32 v[93:94], v82 offset0:68 offset1:85
	;; [unrolled: 1-line block ×4, first 2 shown]
	s_waitcnt lgkmcnt(4)
	v_max3_f32 v67, v89, 0xff7fffff, v90
	s_waitcnt lgkmcnt(3)
	s_delay_alu instid0(VALU_DEP_1) | instskip(SKIP_1) | instid1(VALU_DEP_1)
	v_max3_f32 v67, v67, v91, v92
	s_waitcnt lgkmcnt(2)
	v_max3_f32 v67, v67, v93, v94
	s_waitcnt lgkmcnt(1)
	s_delay_alu instid0(VALU_DEP_1) | instskip(NEXT) | instid1(VALU_DEP_1)
	v_max3_f32 v67, v67, v95, v96
	v_sub_f32_e32 v93, v93, v67
	s_delay_alu instid0(VALU_DEP_1) | instskip(NEXT) | instid1(VALU_DEP_1)
	v_dual_sub_f32 v68, v89, v67 :: v_dual_mul_f32 v103, 0x3fb8aa3b, v93
	v_mul_f32_e32 v68, 0x3fb8aa3b, v68
	s_delay_alu instid0(VALU_DEP_1)
	v_exp_f32_e32 v100, v68
	v_sub_f32_e32 v68, v92, v67
	v_sub_f32_e32 v99, v90, v67
	ds_load_2addr_b32 v[89:90], v82 offset0:170 offset1:187
	v_dual_mul_f32 v102, 0x3fb8aa3b, v68 :: v_dual_mul_f32 v99, 0x3fb8aa3b, v99
	s_waitcnt lgkmcnt(1)
	v_fma_f32 v68, v100, v97, 0
	s_delay_alu instid0(VALU_DEP_2) | instskip(NEXT) | instid1(VALU_DEP_2)
	v_exp_f32_e32 v102, v102
	v_exp_f32_e32 v99, v99
	s_waitcnt_depctr 0xfff
	v_fmac_f32_e32 v68, v99, v98
	v_sub_f32_e32 v91, v91, v67
	s_delay_alu instid0(VALU_DEP_1)
	v_mul_f32_e32 v101, 0x3fb8aa3b, v91
	ds_load_2addr_b32 v[91:92], v82 offset0:204 offset1:221
	v_sub_f32_e32 v97, v94, v67
	ds_load_2addr_b32 v[93:94], v82 offset0:238 offset1:255
	s_waitcnt lgkmcnt(0)
	v_exp_f32_e32 v101, v101
	s_barrier
	buffer_gl0_inv
	v_dual_fmac_f32 v68, v101, v89 :: v_dual_sub_f32 v89, v96, v67
	v_dual_sub_f32 v82, v95, v67 :: v_dual_mul_f32 v95, 0x3fb8aa3b, v97
	v_exp_f32_e32 v97, v103
	s_delay_alu instid0(VALU_DEP_2) | instskip(NEXT) | instid1(VALU_DEP_2)
	v_dual_fmac_f32 v68, v102, v90 :: v_dual_mul_f32 v89, 0x3fb8aa3b, v89
	v_mul_f32_e32 v82, 0x3fb8aa3b, v82
	s_delay_alu instid0(VALU_DEP_3) | instskip(NEXT) | instid1(VALU_DEP_2)
	v_exp_f32_e32 v95, v95
	v_exp_f32_e32 v89, v89
	s_delay_alu instid0(VALU_DEP_1)
	v_exp_f32_e32 v82, v82
	v_fmac_f32_e32 v68, v97, v91
	s_delay_alu instid0(TRANS32_DEP_3) | instid1(VALU_DEP_1)
	v_fmac_f32_e32 v68, v95, v92
	s_waitcnt_depctr 0xfff
	v_fmac_f32_e32 v68, v82, v93
	s_delay_alu instid0(VALU_DEP_1) | instskip(NEXT) | instid1(VALU_DEP_1)
	v_fmac_f32_e32 v68, v89, v94
	v_add_f32_e32 v90, 0x358637bd, v68
	s_delay_alu instid0(VALU_DEP_1) | instskip(NEXT) | instid1(VALU_DEP_1)
	v_div_scale_f32 v91, null, v90, v90, 1.0
	v_rcp_f32_e32 v92, v91
	s_waitcnt_depctr 0xfff
	v_fma_f32 v93, -v91, v92, 1.0
	s_delay_alu instid0(VALU_DEP_1) | instskip(SKIP_1) | instid1(VALU_DEP_2)
	v_dual_fmac_f32 v92, v93, v92 :: v_dual_cndmask_b32 v93, v100, v99
	v_cmp_eq_u32_e32 vcc_lo, 3, v66
	v_cndmask_b32_e64 v93, v93, v101, s3
	v_cmp_eq_u32_e64 s3, 4, v66
	s_delay_alu instid0(VALU_DEP_2) | instskip(SKIP_1) | instid1(VALU_DEP_2)
	v_cndmask_b32_e32 v93, v93, v102, vcc_lo
	v_cmp_eq_u32_e32 vcc_lo, 5, v66
	v_cndmask_b32_e64 v93, v93, v97, s3
	v_cmp_eq_u32_e64 s3, 6, v66
	s_delay_alu instid0(VALU_DEP_2) | instskip(SKIP_1) | instid1(VALU_DEP_1)
	v_cndmask_b32_e32 v93, v93, v95, vcc_lo
	v_div_scale_f32 v94, s4, 1.0, v90, 1.0
	s_mov_b32 vcc_lo, s4
	s_delay_alu instid0(VALU_DEP_2) | instskip(NEXT) | instid1(VALU_DEP_2)
	v_cndmask_b32_e64 v82, v93, v82, s3
	v_mul_f32_e32 v96, v94, v92
	s_mov_b32 s3, exec_lo
	s_delay_alu instid0(VALU_DEP_2) | instskip(NEXT) | instid1(VALU_DEP_2)
	v_cndmask_b32_e64 v82, v82, v89, s5
	v_fma_f32 v98, -v91, v96, v94
	s_delay_alu instid0(VALU_DEP_1) | instskip(NEXT) | instid1(VALU_DEP_1)
	v_fmac_f32_e32 v96, v98, v92
	v_fma_f32 v91, -v91, v96, v94
	s_delay_alu instid0(VALU_DEP_1) | instskip(NEXT) | instid1(VALU_DEP_1)
	v_div_fmas_f32 v91, v91, v92, v96
	v_div_fixup_f32 v90, v91, v90, 1.0
	s_delay_alu instid0(VALU_DEP_1) | instskip(NEXT) | instid1(VALU_DEP_1)
	v_mul_f32_e32 v82, v82, v90
	v_mul_f32_e32 v87, v82, v87
	;; [unrolled: 1-line block ×7, first 2 shown]
	v_dual_mul_f32 v86, v82, v83 :: v_dual_and_b32 v91, 0x7f800000, v90
	v_mul_f32_e32 v85, v82, v76
                                        ; implicit-def: $vgpr76
	s_delay_alu instid0(VALU_DEP_2)
	v_cmpx_ne_u32_e32 0x7f800000, v91
	s_xor_b32 s3, exec_lo, s3
; %bb.13:
	v_bfe_u32 v76, v90, 16, 1
	s_delay_alu instid0(VALU_DEP_1)
	v_add3_u32 v76, v90, v76, 0x7fff
                                        ; implicit-def: $vgpr90
; %bb.14:
	s_and_not1_saveexec_b32 s3, s3
; %bb.15:
	v_and_b32_e32 v76, 0xffff, v90
	v_or_b32_e32 v83, 0x10000, v90
	s_delay_alu instid0(VALU_DEP_2) | instskip(NEXT) | instid1(VALU_DEP_2)
	v_cmp_eq_u32_e32 vcc_lo, 0, v76
	v_cndmask_b32_e32 v76, v83, v90, vcc_lo
; %bb.16:
	s_or_b32 exec_lo, exec_lo, s3
	v_and_b32_e32 v83, 0x7f800000, v85
	s_delay_alu instid0(VALU_DEP_1) | instskip(SKIP_1) | instid1(SALU_CYCLE_1)
	v_cmp_ne_u32_e32 vcc_lo, 0x7f800000, v83
                                        ; implicit-def: $vgpr83
	s_and_saveexec_b32 s3, vcc_lo
	s_xor_b32 s3, exec_lo, s3
; %bb.17:
	v_bfe_u32 v83, v85, 16, 1
	s_delay_alu instid0(VALU_DEP_1)
	v_add3_u32 v83, v85, v83, 0x7fff
                                        ; implicit-def: $vgpr85
; %bb.18:
	s_and_not1_saveexec_b32 s3, s3
; %bb.19:
	v_and_b32_e32 v83, 0xffff, v85
	v_or_b32_e32 v90, 0x10000, v85
	s_delay_alu instid0(VALU_DEP_2) | instskip(NEXT) | instid1(VALU_DEP_2)
	v_cmp_eq_u32_e32 vcc_lo, 0, v83
	v_cndmask_b32_e32 v83, v90, v85, vcc_lo
; %bb.20:
	s_or_b32 exec_lo, exec_lo, s3
	v_and_b32_e32 v85, 0x7f800000, v86
	s_delay_alu instid0(VALU_DEP_1) | instskip(SKIP_1) | instid1(SALU_CYCLE_1)
	v_cmp_ne_u32_e32 vcc_lo, 0x7f800000, v85
                                        ; implicit-def: $vgpr85
	s_and_saveexec_b32 s3, vcc_lo
	s_xor_b32 s3, exec_lo, s3
; %bb.21:
	v_bfe_u32 v85, v86, 16, 1
	s_delay_alu instid0(VALU_DEP_1)
	v_add3_u32 v85, v86, v85, 0x7fff
                                        ; implicit-def: $vgpr86
; %bb.22:
	s_and_not1_saveexec_b32 s3, s3
; %bb.23:
	v_and_b32_e32 v85, 0xffff, v86
	v_or_b32_e32 v90, 0x10000, v86
	s_delay_alu instid0(VALU_DEP_2) | instskip(NEXT) | instid1(VALU_DEP_2)
	v_cmp_eq_u32_e32 vcc_lo, 0, v85
	v_cndmask_b32_e32 v85, v90, v86, vcc_lo
; %bb.24:
	s_or_b32 exec_lo, exec_lo, s3
	v_and_b32_e32 v86, 0x7f800000, v89
	s_delay_alu instid0(VALU_DEP_1) | instskip(SKIP_1) | instid1(SALU_CYCLE_1)
	v_cmp_ne_u32_e32 vcc_lo, 0x7f800000, v86
                                        ; implicit-def: $vgpr86
	s_and_saveexec_b32 s3, vcc_lo
	s_xor_b32 s3, exec_lo, s3
; %bb.25:
	v_bfe_u32 v86, v89, 16, 1
	s_delay_alu instid0(VALU_DEP_1)
	v_add3_u32 v86, v89, v86, 0x7fff
                                        ; implicit-def: $vgpr89
; %bb.26:
	s_and_not1_saveexec_b32 s3, s3
; %bb.27:
	v_and_b32_e32 v86, 0xffff, v89
	v_or_b32_e32 v90, 0x10000, v89
	s_delay_alu instid0(VALU_DEP_2) | instskip(NEXT) | instid1(VALU_DEP_2)
	v_cmp_eq_u32_e32 vcc_lo, 0, v86
	v_cndmask_b32_e32 v86, v90, v89, vcc_lo
; %bb.28:
	s_or_b32 exec_lo, exec_lo, s3
	v_and_b32_e32 v89, 0x7f800000, v88
	s_delay_alu instid0(VALU_DEP_1) | instskip(SKIP_1) | instid1(SALU_CYCLE_1)
	v_cmp_ne_u32_e32 vcc_lo, 0x7f800000, v89
                                        ; implicit-def: $vgpr89
	s_and_saveexec_b32 s3, vcc_lo
	s_xor_b32 s3, exec_lo, s3
; %bb.29:
	v_bfe_u32 v89, v88, 16, 1
	s_delay_alu instid0(VALU_DEP_1)
	v_add3_u32 v89, v88, v89, 0x7fff
                                        ; implicit-def: $vgpr88
; %bb.30:
	s_and_not1_saveexec_b32 s3, s3
; %bb.31:
	v_and_b32_e32 v89, 0xffff, v88
	v_or_b32_e32 v90, 0x10000, v88
	s_delay_alu instid0(VALU_DEP_2) | instskip(NEXT) | instid1(VALU_DEP_2)
	v_cmp_eq_u32_e32 vcc_lo, 0, v89
	v_cndmask_b32_e32 v89, v90, v88, vcc_lo
; %bb.32:
	s_or_b32 exec_lo, exec_lo, s3
	v_and_b32_e32 v88, 0x7f800000, v87
	s_delay_alu instid0(VALU_DEP_1) | instskip(SKIP_1) | instid1(SALU_CYCLE_1)
	v_cmp_ne_u32_e32 vcc_lo, 0x7f800000, v88
                                        ; implicit-def: $vgpr88
	s_and_saveexec_b32 s3, vcc_lo
	s_xor_b32 s3, exec_lo, s3
; %bb.33:
	v_bfe_u32 v88, v87, 16, 1
	s_delay_alu instid0(VALU_DEP_1)
	v_add3_u32 v88, v87, v88, 0x7fff
                                        ; implicit-def: $vgpr87
; %bb.34:
	s_and_not1_saveexec_b32 s3, s3
; %bb.35:
	v_and_b32_e32 v88, 0xffff, v87
	v_or_b32_e32 v90, 0x10000, v87
	s_delay_alu instid0(VALU_DEP_2) | instskip(NEXT) | instid1(VALU_DEP_2)
	v_cmp_eq_u32_e32 vcc_lo, 0, v88
	v_cndmask_b32_e32 v88, v90, v87, vcc_lo
; %bb.36:
	s_or_b32 exec_lo, exec_lo, s3
	v_and_b32_e32 v87, 0x7f800000, v84
	s_delay_alu instid0(VALU_DEP_1) | instskip(SKIP_1) | instid1(SALU_CYCLE_1)
	v_cmp_ne_u32_e32 vcc_lo, 0x7f800000, v87
                                        ; implicit-def: $vgpr87
	s_and_saveexec_b32 s3, vcc_lo
	s_xor_b32 s3, exec_lo, s3
; %bb.37:
	v_bfe_u32 v87, v84, 16, 1
	s_delay_alu instid0(VALU_DEP_1)
	v_add3_u32 v87, v84, v87, 0x7fff
                                        ; implicit-def: $vgpr84
; %bb.38:
	s_and_not1_saveexec_b32 s3, s3
; %bb.39:
	v_and_b32_e32 v87, 0xffff, v84
	v_or_b32_e32 v90, 0x10000, v84
	s_delay_alu instid0(VALU_DEP_2) | instskip(NEXT) | instid1(VALU_DEP_2)
	v_cmp_eq_u32_e32 vcc_lo, 0, v87
	v_cndmask_b32_e32 v87, v90, v84, vcc_lo
; %bb.40:
	s_or_b32 exec_lo, exec_lo, s3
	v_and_b32_e32 v84, 0x7f800000, v80
	s_delay_alu instid0(VALU_DEP_1) | instskip(SKIP_1) | instid1(SALU_CYCLE_1)
	v_cmp_ne_u32_e32 vcc_lo, 0x7f800000, v84
                                        ; implicit-def: $vgpr84
	s_and_saveexec_b32 s3, vcc_lo
	s_xor_b32 s3, exec_lo, s3
; %bb.41:
	v_bfe_u32 v84, v80, 16, 1
	s_delay_alu instid0(VALU_DEP_1)
	v_add3_u32 v84, v80, v84, 0x7fff
                                        ; implicit-def: $vgpr80
; %bb.42:
	s_and_not1_saveexec_b32 s3, s3
; %bb.43:
	v_and_b32_e32 v84, 0xffff, v80
	v_or_b32_e32 v90, 0x10000, v80
	s_delay_alu instid0(VALU_DEP_2) | instskip(NEXT) | instid1(VALU_DEP_2)
	v_cmp_eq_u32_e32 vcc_lo, 0, v84
	v_cndmask_b32_e32 v84, v90, v80, vcc_lo
; %bb.44:
	s_or_b32 exec_lo, exec_lo, s3
	s_load_b64 s[34:35], s[0:1], 0x94
	v_lshlrev_b32_e32 v91, 4, v74
	s_delay_alu instid0(VALU_DEP_2)
	v_perm_b32 v90, v84, v87, 0x7060302
	v_dual_mul_f32 v79, v82, v79 :: v_dual_lshlrev_b32 v80, 6, v65
	v_dual_mul_f32 v77, v82, v77 :: v_dual_lshlrev_b32 v92, 11, v66
	v_mul_f32_e32 v84, v82, v70
	v_perm_b32 v89, v88, v89, 0x7060302
	v_perm_b32 v88, v86, v85, 0x7060302
	;; [unrolled: 1-line block ×3, first 2 shown]
	v_mul_f32_e32 v70, v82, v81
	v_or3_b32 v76, v91, v92, v80
	v_dual_mul_f32 v78, v82, v78 :: v_dual_and_b32 v85, 0x7f800000, v84
	v_mul_f32_e32 v83, v82, v72
	v_mul_f32_e32 v81, v82, v71
	;; [unrolled: 1-line block ×3, first 2 shown]
	s_mov_b32 s3, exec_lo
	ds_store_b128 v76, v[87:90]
                                        ; implicit-def: $vgpr69
	v_cmpx_ne_u32_e32 0x7f800000, v85
	s_xor_b32 s3, exec_lo, s3
; %bb.45:
	v_bfe_u32 v69, v84, 16, 1
	s_delay_alu instid0(VALU_DEP_1)
	v_add3_u32 v69, v84, v69, 0x7fff
                                        ; implicit-def: $vgpr84
; %bb.46:
	s_and_not1_saveexec_b32 s3, s3
; %bb.47:
	v_and_b32_e32 v69, 0xffff, v84
	v_or_b32_e32 v71, 0x10000, v84
	s_delay_alu instid0(VALU_DEP_2) | instskip(NEXT) | instid1(VALU_DEP_2)
	v_cmp_eq_u32_e32 vcc_lo, 0, v69
	v_cndmask_b32_e32 v69, v71, v84, vcc_lo
; %bb.48:
	s_or_b32 exec_lo, exec_lo, s3
	v_and_b32_e32 v71, 0x7f800000, v72
	s_delay_alu instid0(VALU_DEP_1) | instskip(SKIP_1) | instid1(SALU_CYCLE_1)
	v_cmp_ne_u32_e32 vcc_lo, 0x7f800000, v71
                                        ; implicit-def: $vgpr71
	s_and_saveexec_b32 s3, vcc_lo
	s_xor_b32 s3, exec_lo, s3
; %bb.49:
	v_bfe_u32 v71, v72, 16, 1
	s_delay_alu instid0(VALU_DEP_1)
	v_add3_u32 v71, v72, v71, 0x7fff
                                        ; implicit-def: $vgpr72
; %bb.50:
	s_and_not1_saveexec_b32 s3, s3
; %bb.51:
	v_and_b32_e32 v71, 0xffff, v72
	v_or_b32_e32 v82, 0x10000, v72
	s_delay_alu instid0(VALU_DEP_2) | instskip(NEXT) | instid1(VALU_DEP_2)
	v_cmp_eq_u32_e32 vcc_lo, 0, v71
	v_cndmask_b32_e32 v71, v82, v72, vcc_lo
; %bb.52:
	s_or_b32 exec_lo, exec_lo, s3
	v_and_b32_e32 v72, 0x7f800000, v81
	s_delay_alu instid0(VALU_DEP_1) | instskip(SKIP_1) | instid1(SALU_CYCLE_1)
	v_cmp_ne_u32_e32 vcc_lo, 0x7f800000, v72
                                        ; implicit-def: $vgpr72
	s_and_saveexec_b32 s3, vcc_lo
	s_xor_b32 s3, exec_lo, s3
; %bb.53:
	v_bfe_u32 v72, v81, 16, 1
	s_delay_alu instid0(VALU_DEP_1)
	v_add3_u32 v72, v81, v72, 0x7fff
                                        ; implicit-def: $vgpr81
; %bb.54:
	s_and_not1_saveexec_b32 s3, s3
; %bb.55:
	v_and_b32_e32 v72, 0xffff, v81
	v_or_b32_e32 v82, 0x10000, v81
	s_delay_alu instid0(VALU_DEP_2) | instskip(NEXT) | instid1(VALU_DEP_2)
	v_cmp_eq_u32_e32 vcc_lo, 0, v72
	v_cndmask_b32_e32 v72, v82, v81, vcc_lo
; %bb.56:
	s_or_b32 exec_lo, exec_lo, s3
	v_and_b32_e32 v81, 0x7f800000, v83
	s_delay_alu instid0(VALU_DEP_1) | instskip(SKIP_1) | instid1(SALU_CYCLE_1)
	v_cmp_ne_u32_e32 vcc_lo, 0x7f800000, v81
                                        ; implicit-def: $vgpr81
	s_and_saveexec_b32 s3, vcc_lo
	s_xor_b32 s3, exec_lo, s3
; %bb.57:
	v_bfe_u32 v81, v83, 16, 1
	s_delay_alu instid0(VALU_DEP_1)
	v_add3_u32 v81, v83, v81, 0x7fff
                                        ; implicit-def: $vgpr83
; %bb.58:
	s_and_not1_saveexec_b32 s3, s3
; %bb.59:
	v_and_b32_e32 v81, 0xffff, v83
	v_or_b32_e32 v82, 0x10000, v83
	s_delay_alu instid0(VALU_DEP_2) | instskip(NEXT) | instid1(VALU_DEP_2)
	v_cmp_eq_u32_e32 vcc_lo, 0, v81
	v_cndmask_b32_e32 v81, v82, v83, vcc_lo
; %bb.60:
	s_or_b32 exec_lo, exec_lo, s3
	v_and_b32_e32 v82, 0x7f800000, v77
	s_delay_alu instid0(VALU_DEP_1) | instskip(SKIP_1) | instid1(SALU_CYCLE_1)
	v_cmp_ne_u32_e32 vcc_lo, 0x7f800000, v82
                                        ; implicit-def: $vgpr82
	s_and_saveexec_b32 s3, vcc_lo
	s_xor_b32 s3, exec_lo, s3
; %bb.61:
	v_bfe_u32 v82, v77, 16, 1
	s_delay_alu instid0(VALU_DEP_1)
	v_add3_u32 v82, v77, v82, 0x7fff
                                        ; implicit-def: $vgpr77
; %bb.62:
	s_and_not1_saveexec_b32 s3, s3
; %bb.63:
	v_and_b32_e32 v82, 0xffff, v77
	v_or_b32_e32 v83, 0x10000, v77
	s_delay_alu instid0(VALU_DEP_2) | instskip(NEXT) | instid1(VALU_DEP_2)
	v_cmp_eq_u32_e32 vcc_lo, 0, v82
	v_cndmask_b32_e32 v82, v83, v77, vcc_lo
; %bb.64:
	s_or_b32 exec_lo, exec_lo, s3
	v_and_b32_e32 v77, 0x7f800000, v78
	s_delay_alu instid0(VALU_DEP_1) | instskip(SKIP_1) | instid1(SALU_CYCLE_1)
	v_cmp_ne_u32_e32 vcc_lo, 0x7f800000, v77
                                        ; implicit-def: $vgpr77
	s_and_saveexec_b32 s3, vcc_lo
	s_xor_b32 s3, exec_lo, s3
; %bb.65:
	v_bfe_u32 v77, v78, 16, 1
	s_delay_alu instid0(VALU_DEP_1)
	v_add3_u32 v77, v78, v77, 0x7fff
                                        ; implicit-def: $vgpr78
; %bb.66:
	s_and_not1_saveexec_b32 s3, s3
; %bb.67:
	v_and_b32_e32 v77, 0xffff, v78
	v_or_b32_e32 v83, 0x10000, v78
	s_delay_alu instid0(VALU_DEP_2) | instskip(NEXT) | instid1(VALU_DEP_2)
	v_cmp_eq_u32_e32 vcc_lo, 0, v77
	v_cndmask_b32_e32 v77, v83, v78, vcc_lo
; %bb.68:
	s_or_b32 exec_lo, exec_lo, s3
	v_and_b32_e32 v78, 0x7f800000, v79
	s_delay_alu instid0(VALU_DEP_1) | instskip(SKIP_1) | instid1(SALU_CYCLE_1)
	v_cmp_ne_u32_e32 vcc_lo, 0x7f800000, v78
                                        ; implicit-def: $vgpr78
	s_and_saveexec_b32 s3, vcc_lo
	s_xor_b32 s3, exec_lo, s3
; %bb.69:
	v_bfe_u32 v78, v79, 16, 1
	s_delay_alu instid0(VALU_DEP_1)
	v_add3_u32 v78, v79, v78, 0x7fff
                                        ; implicit-def: $vgpr79
; %bb.70:
	s_and_not1_saveexec_b32 s3, s3
; %bb.71:
	v_and_b32_e32 v78, 0xffff, v79
	v_or_b32_e32 v83, 0x10000, v79
	s_delay_alu instid0(VALU_DEP_2) | instskip(NEXT) | instid1(VALU_DEP_2)
	v_cmp_eq_u32_e32 vcc_lo, 0, v78
	v_cndmask_b32_e32 v78, v83, v79, vcc_lo
; %bb.72:
	s_or_b32 exec_lo, exec_lo, s3
	v_and_b32_e32 v79, 0x7f800000, v70
	s_delay_alu instid0(VALU_DEP_1) | instskip(SKIP_1) | instid1(SALU_CYCLE_1)
	v_cmp_ne_u32_e32 vcc_lo, 0x7f800000, v79
                                        ; implicit-def: $vgpr79
	s_and_saveexec_b32 s3, vcc_lo
	s_xor_b32 s3, exec_lo, s3
; %bb.73:
	v_bfe_u32 v79, v70, 16, 1
	s_delay_alu instid0(VALU_DEP_1)
	v_add3_u32 v79, v70, v79, 0x7fff
                                        ; implicit-def: $vgpr70
; %bb.74:
	s_and_not1_saveexec_b32 s3, s3
; %bb.75:
	v_and_b32_e32 v79, 0xffff, v70
	v_or_b32_e32 v83, 0x10000, v70
	s_delay_alu instid0(VALU_DEP_2) | instskip(NEXT) | instid1(VALU_DEP_2)
	v_cmp_eq_u32_e32 vcc_lo, 0, v79
	v_cndmask_b32_e32 v79, v83, v70, vcc_lo
; %bb.76:
	s_or_b32 exec_lo, exec_lo, s3
	s_delay_alu instid0(VALU_DEP_1)
	v_perm_b32 v86, v79, v78, 0x7060302
	v_perm_b32 v85, v77, v82, 0x7060302
	;; [unrolled: 1-line block ×4, first 2 shown]
	v_lshl_or_b32 v82, v66, 11, v80
	ds_store_b128 v76, v[83:86] offset:1024
	s_waitcnt lgkmcnt(0)
	s_barrier
	buffer_gl0_inv
	ds_load_b128 v[69:72], v82
	ds_load_b128 v[83:86], v82 offset:16
	s_waitcnt lgkmcnt(1)
	v_lshrrev_b32_e32 v66, 16, v69
	s_waitcnt lgkmcnt(0)
	v_lshrrev_b32_e32 v91, 16, v83
	v_lshlrev_b32_e32 v78, 2, v74
	v_lshrrev_b32_e32 v95, 16, v70
	v_lshrrev_b32_e32 v98, 16, v84
	;; [unrolled: 1-line block ×4, first 2 shown]
	v_cmp_eq_u32_e32 vcc_lo, 1, v78
	v_lshrrev_b32_e32 v97, 16, v72
	v_lshrrev_b32_e32 v100, 16, v86
	v_cndmask_b32_e32 v87, v83, v91, vcc_lo
	v_or_b32_e32 v79, 1, v78
	v_cndmask_b32_e32 v81, v69, v66, vcc_lo
	v_cmp_eq_u32_e64 s4, 2, v78
	v_cmp_eq_u32_e64 s7, 3, v78
	;; [unrolled: 1-line block ×5, first 2 shown]
	v_cndmask_b32_e64 v81, v81, v70, s4
	v_cndmask_b32_e64 v87, v87, v84, s4
	v_cmp_eq_u32_e64 s8, 3, v79
	v_cndmask_b32_e64 v88, v69, v66, s3
	v_or_b32_e32 v77, 2, v78
	v_cndmask_b32_e64 v81, v81, v95, s7
	v_cndmask_b32_e64 v87, v87, v98, s7
	;; [unrolled: 1-line block ×4, first 2 shown]
	v_cmp_eq_u32_e64 s10, 5, v78
	v_cndmask_b32_e64 v81, v81, v71, s9
	v_cndmask_b32_e64 v87, v87, v85, s9
	v_cmp_eq_u32_e64 s11, 4, v79
	v_cndmask_b32_e64 v88, v88, v95, s8
	v_cmp_eq_u32_e64 s5, 1, v77
	v_cndmask_b32_e64 v89, v89, v84, s6
	v_cndmask_b32_e64 v81, v81, v96, s10
	v_cmp_eq_u32_e64 s12, 6, v78
	v_cndmask_b32_e64 v88, v88, v71, s11
	;; [unrolled: 3-line block ×3, first 2 shown]
	v_cndmask_b32_e64 v89, v89, v98, s8
	v_cndmask_b32_e64 v81, v81, v72, s12
	v_cmp_eq_u32_e64 s15, 7, v78
	v_cndmask_b32_e64 v88, v88, v96, s13
	v_cndmask_b32_e64 v87, v87, v86, s12
	v_cmp_eq_u32_e64 s16, 6, v79
	v_cmp_eq_u32_e64 s17, 2, v77
	v_cndmask_b32_e64 v89, v89, v85, s11
	v_cndmask_b32_e64 v101, v81, v97, s15
	;; [unrolled: 1-line block ×6, first 2 shown]
	v_cmp_eq_u32_e64 s18, 7, v79
	v_cmp_eq_u32_e64 s19, 3, v77
	;; [unrolled: 1-line block ×4, first 2 shown]
	v_cndmask_b32_e64 v87, v87, v84, s17
	v_cndmask_b32_e64 v103, v88, v97, s18
	;; [unrolled: 1-line block ×4, first 2 shown]
	v_or_b32_e32 v81, 3, v78
	v_cndmask_b32_e64 v93, v87, v98, s19
	v_cmp_eq_u32_e64 s24, 6, v77
	v_cndmask_b32_e64 v104, v88, v86, s16
	v_cndmask_b32_e64 v92, v89, v71, s20
	v_cmp_eq_u32_e64 s21, 1, v81
	ds_load_b128 v[87:90], v82 offset:1024
	v_cmp_eq_u32_e64 s23, 2, v81
	v_cmp_eq_u32_e64 s25, 3, v81
	v_cndmask_b32_e64 v105, v92, v96, s22
	v_cndmask_b32_e64 v66, v69, v66, s21
	;; [unrolled: 1-line block ×4, first 2 shown]
	ds_load_b128 v[91:94], v82 offset:1040
	v_cmp_eq_u32_e64 s26, 4, v81
	v_cndmask_b32_e64 v66, v66, v70, s23
	v_cmp_eq_u32_e64 s27, 7, v77
	v_cndmask_b32_e64 v70, v83, v84, s23
	v_cndmask_b32_e64 v84, v105, v72, s24
	v_cmp_eq_u32_e64 s28, 5, v81
	v_cndmask_b32_e64 v66, v66, v95, s25
	v_cmp_eq_u32_e64 s29, 6, v81
	v_cndmask_b32_e64 v70, v70, v98, s25
	v_cndmask_b32_e64 v69, v69, v99, s22
	;; [unrolled: 1-line block ×4, first 2 shown]
	s_waitcnt lgkmcnt(1)
	v_lshrrev_b32_e32 v95, 16, v87
	v_cndmask_b32_e64 v70, v70, v85, s26
	v_cndmask_b32_e64 v71, v84, v97, s27
	;; [unrolled: 1-line block ×4, first 2 shown]
	v_cndmask_b32_e32 v84, v87, v95, vcc_lo
	v_cndmask_b32_e64 v70, v70, v99, s28
	s_waitcnt lgkmcnt(0)
	v_lshrrev_b32_e32 v85, 16, v91
	v_lshrrev_b32_e32 v96, 16, v88
	v_cndmask_b32_e64 v98, v87, v95, s3
	v_cndmask_b32_e64 v84, v84, v88, s4
	;; [unrolled: 1-line block ×3, first 2 shown]
	v_cndmask_b32_e32 v99, v91, v85, vcc_lo
	v_cmp_eq_u32_e32 vcc_lo, 7, v81
	v_cndmask_b32_e64 v66, v66, v72, s29
	v_cndmask_b32_e64 v72, v84, v96, s7
	;; [unrolled: 1-line block ×3, first 2 shown]
	v_lshrrev_b32_e32 v98, 16, v92
	v_cndmask_b32_e32 v70, v70, v100, vcc_lo
	v_cndmask_b32_e64 v86, v99, v92, s4
	v_cndmask_b32_e64 v69, v69, v100, s27
	v_lshrrev_b32_e32 v100, 16, v93
	v_cndmask_b32_e64 v72, v72, v89, s9
	v_lshrrev_b32_e32 v99, 16, v89
	v_cndmask_b32_e64 v86, v86, v98, s7
	v_perm_b32 v71, v69, v71, 0x5040100
	v_cndmask_b32_e64 v84, v84, v96, s8
	s_delay_alu instid0(VALU_DEP_3) | instskip(NEXT) | instid1(VALU_DEP_2)
	v_cndmask_b32_e64 v86, v86, v93, s9
	v_cndmask_b32_e64 v84, v84, v89, s11
	s_delay_alu instid0(VALU_DEP_2) | instskip(NEXT) | instid1(VALU_DEP_1)
	v_cndmask_b32_e64 v86, v86, v100, s10
	v_cndmask_b32_e64 v69, v86, v94, s12
	;; [unrolled: 1-line block ×5, first 2 shown]
	s_delay_alu instid0(VALU_DEP_3) | instskip(NEXT) | instid1(VALU_DEP_3)
	v_cndmask_b32_e64 v86, v86, v88, s17
	v_cndmask_b32_e64 v87, v87, v88, s23
	s_delay_alu instid0(VALU_DEP_3) | instskip(NEXT) | instid1(VALU_DEP_3)
	v_cndmask_b32_e64 v88, v95, v92, s23
	v_cndmask_b32_e64 v86, v86, v96, s19
	;; [unrolled: 3-line block ×7, first 2 shown]
	s_delay_alu instid0(VALU_DEP_3) | instskip(SKIP_2) | instid1(VALU_DEP_2)
	v_cndmask_b32_e64 v88, v88, v94, s29
	v_cndmask_b32_e32 v66, v66, v97, vcc_lo
	v_cndmask_b32_e64 v97, v72, v99, s10
	v_perm_b32 v72, v70, v66, 0x5040100
	v_perm_b32 v70, v83, v103, 0x5040100
	v_cndmask_b32_e64 v103, v91, v85, s5
	v_cndmask_b32_e64 v85, v91, v85, s3
	;; [unrolled: 1-line block ×4, first 2 shown]
	v_lshrrev_b32_e32 v97, 16, v90
	v_cndmask_b32_e64 v91, v103, v92, s17
	v_cndmask_b32_e64 v85, v85, v92, s6
	v_cndmask_b32_e64 v66, v66, v90, s16
	s_mov_b32 s3, exec_lo
	v_cndmask_b32_e64 v83, v84, v97, s15
	v_cndmask_b32_e64 v91, v91, v98, s19
	;; [unrolled: 1-line block ×3, first 2 shown]
	v_lshrrev_b32_e32 v84, 16, v94
	v_cndmask_b32_e64 v66, v66, v97, s18
	v_cndmask_b32_e64 v90, v86, v97, s27
	;; [unrolled: 1-line block ×4, first 2 shown]
	v_dual_cndmask_b32 v86, v87, v97 :: v_dual_cndmask_b32 v87, v88, v84
	v_cndmask_b32_e64 v91, v69, v84, s15
	s_delay_alu instid0(VALU_DEP_4) | instskip(NEXT) | instid1(VALU_DEP_4)
	v_cndmask_b32_e64 v89, v89, v100, s22
	v_cndmask_b32_e64 v85, v85, v100, s13
	v_perm_b32 v69, v102, v101, 0x5040100
	v_perm_b32 v86, v87, v86, 0x5040100
	;; [unrolled: 1-line block ×3, first 2 shown]
	v_cndmask_b32_e64 v89, v89, v94, s24
	v_cndmask_b32_e64 v85, v85, v94, s16
	s_mul_i32 s8, s35, 10
	s_delay_alu instid0(VALU_DEP_2) | instskip(NEXT) | instid1(VALU_DEP_2)
	v_cndmask_b32_e64 v88, v89, v84, s27
	v_cndmask_b32_e64 v89, v85, v84, s18
	s_delay_alu instid0(VALU_DEP_2) | instskip(NEXT) | instid1(VALU_DEP_2)
	v_perm_b32 v85, v88, v90, 0x5040100
	v_perm_b32 v84, v89, v66, 0x5040100
	ds_store_b128 v76, v[69:72]
	ds_store_b128 v76, v[83:86] offset:1024
	v_cmpx_gt_u32_e32 10, v0
	s_cbranch_execz .LBB1475_78
; %bb.77:
	s_mul_i32 s4, s8, s30
	s_delay_alu instid0(SALU_CYCLE_1) | instskip(SKIP_1) | instid1(VALU_DEP_1)
	v_add3_u32 v69, s4, s31, v65
	s_load_b128 s[4:7], s[0:1], 0x58
	v_mad_u64_u32 v[65:66], null, v69, s34, s[14:15]
	s_delay_alu instid0(VALU_DEP_1) | instskip(NEXT) | instid1(VALU_DEP_1)
	v_ashrrev_i32_e32 v66, 31, v65
	v_lshlrev_b64 v[65:66], 2, v[65:66]
	s_waitcnt lgkmcnt(0)
	s_delay_alu instid0(VALU_DEP_1) | instskip(NEXT) | instid1(VALU_DEP_2)
	v_add_co_u32 v69, vcc_lo, s6, v65
	v_add_co_ci_u32_e32 v70, vcc_lo, s7, v66, vcc_lo
	v_add_co_u32 v65, vcc_lo, s4, v65
	v_add_co_ci_u32_e32 v66, vcc_lo, s5, v66, vcc_lo
	global_store_b32 v[69:70], v67, off
	global_store_b32 v[65:66], v68, off
.LBB1475_78:
	s_or_b32 exec_lo, exec_lo, s3
	s_waitcnt lgkmcnt(0)
	s_waitcnt_vscnt null, 0x0
	s_barrier
	buffer_gl0_inv
	ds_load_b128 v[83:86], v80
	ds_load_b128 v[87:90], v80 offset:16
	ds_load_b128 v[95:98], v80 offset:2064
	;; [unrolled: 1-line block ×3, first 2 shown]
	v_mov_b32_e32 v65, 0
	ds_load_b128 v[103:106], v80 offset:4112
	ds_load_b128 v[99:102], v80 offset:4096
	;; [unrolled: 1-line block ×4, first 2 shown]
	v_mov_b32_e32 v66, v65
	v_mov_b32_e32 v67, v65
	;; [unrolled: 1-line block ×7, first 2 shown]
	s_waitcnt lgkmcnt(6)
	s_delay_alu instid0(VALU_DEP_1)
	v_wmma_f32_16x16x16_bf16 v[65:72], v[57:64], v[83:90], v[65:72]
	ds_load_b128 v[61:64], v80 offset:8208
	ds_load_b128 v[57:60], v80 offset:8192
	s_waitcnt lgkmcnt(6)
	v_wmma_f32_16x16x16_bf16 v[65:72], v[41:48], v[91:98], v[65:72]
	ds_load_b128 v[45:48], v80 offset:10256
	ds_load_b128 v[41:44], v80 offset:10240
	s_waitcnt lgkmcnt(6)
	;; [unrolled: 4-line block ×4, first 2 shown]
	v_wmma_f32_16x16x16_bf16 v[65:72], v[1:8], v[57:64], v[65:72]
	s_waitcnt lgkmcnt(4)
	s_delay_alu instid0(VALU_DEP_1) | instskip(SKIP_1) | instid1(VALU_DEP_1)
	v_wmma_f32_16x16x16_bf16 v[65:72], v[9:16], v[41:48], v[65:72]
	s_waitcnt lgkmcnt(2)
	v_wmma_f32_16x16x16_bf16 v[65:72], v[17:24], v[33:40], v[65:72]
	s_waitcnt lgkmcnt(0)
	s_delay_alu instid0(VALU_DEP_1) | instskip(NEXT) | instid1(VALU_DEP_1)
	v_wmma_f32_16x16x16_bf16 v[65:72], v[49:56], v[25:32], v[65:72]
	v_and_b32_e32 v1, 0x7f800000, v65
	s_delay_alu instid0(VALU_DEP_1) | instskip(SKIP_1) | instid1(SALU_CYCLE_1)
	v_cmp_ne_u32_e32 vcc_lo, 0x7f800000, v1
                                        ; implicit-def: $vgpr1
	s_and_saveexec_b32 s3, vcc_lo
	s_xor_b32 s3, exec_lo, s3
; %bb.79:
	v_bfe_u32 v1, v65, 16, 1
	s_delay_alu instid0(VALU_DEP_1)
	v_add3_u32 v1, v65, v1, 0x7fff
; %bb.80:
	s_and_not1_saveexec_b32 s3, s3
; %bb.81:
	v_and_b32_e32 v1, 0xffff, v65
	v_or_b32_e32 v2, 0x10000, v65
	s_delay_alu instid0(VALU_DEP_2) | instskip(NEXT) | instid1(VALU_DEP_2)
	v_cmp_eq_u32_e32 vcc_lo, 0, v1
	v_cndmask_b32_e32 v1, v2, v65, vcc_lo
; %bb.82:
	s_or_b32 exec_lo, exec_lo, s3
	v_and_b32_e32 v2, 0x7f800000, v66
	s_delay_alu instid0(VALU_DEP_1) | instskip(SKIP_1) | instid1(SALU_CYCLE_1)
	v_cmp_ne_u32_e32 vcc_lo, 0x7f800000, v2
                                        ; implicit-def: $vgpr2
	s_and_saveexec_b32 s3, vcc_lo
	s_xor_b32 s3, exec_lo, s3
; %bb.83:
	v_bfe_u32 v2, v66, 16, 1
	s_delay_alu instid0(VALU_DEP_1)
	v_add3_u32 v2, v66, v2, 0x7fff
; %bb.84:
	s_and_not1_saveexec_b32 s3, s3
; %bb.85:
	v_and_b32_e32 v2, 0xffff, v66
	v_or_b32_e32 v3, 0x10000, v66
	s_delay_alu instid0(VALU_DEP_2) | instskip(NEXT) | instid1(VALU_DEP_2)
	v_cmp_eq_u32_e32 vcc_lo, 0, v2
	v_cndmask_b32_e32 v2, v3, v66, vcc_lo
; %bb.86:
	s_or_b32 exec_lo, exec_lo, s3
	v_and_b32_e32 v3, 0x7f800000, v67
	s_delay_alu instid0(VALU_DEP_1) | instskip(SKIP_1) | instid1(SALU_CYCLE_1)
	v_cmp_ne_u32_e32 vcc_lo, 0x7f800000, v3
                                        ; implicit-def: $vgpr3
	s_and_saveexec_b32 s3, vcc_lo
	s_xor_b32 s3, exec_lo, s3
; %bb.87:
	v_bfe_u32 v3, v67, 16, 1
	s_delay_alu instid0(VALU_DEP_1)
	v_add3_u32 v3, v67, v3, 0x7fff
; %bb.88:
	s_and_not1_saveexec_b32 s3, s3
; %bb.89:
	v_and_b32_e32 v3, 0xffff, v67
	v_or_b32_e32 v4, 0x10000, v67
	s_delay_alu instid0(VALU_DEP_2) | instskip(NEXT) | instid1(VALU_DEP_2)
	v_cmp_eq_u32_e32 vcc_lo, 0, v3
	v_cndmask_b32_e32 v3, v4, v67, vcc_lo
; %bb.90:
	s_or_b32 exec_lo, exec_lo, s3
	v_and_b32_e32 v4, 0x7f800000, v68
	s_delay_alu instid0(VALU_DEP_1) | instskip(SKIP_1) | instid1(SALU_CYCLE_1)
	v_cmp_ne_u32_e32 vcc_lo, 0x7f800000, v4
                                        ; implicit-def: $vgpr4
	s_and_saveexec_b32 s3, vcc_lo
	s_xor_b32 s3, exec_lo, s3
; %bb.91:
	v_bfe_u32 v4, v68, 16, 1
	s_delay_alu instid0(VALU_DEP_1)
	v_add3_u32 v4, v68, v4, 0x7fff
; %bb.92:
	s_and_not1_saveexec_b32 s3, s3
; %bb.93:
	v_and_b32_e32 v4, 0xffff, v68
	v_or_b32_e32 v5, 0x10000, v68
	s_delay_alu instid0(VALU_DEP_2) | instskip(NEXT) | instid1(VALU_DEP_2)
	v_cmp_eq_u32_e32 vcc_lo, 0, v4
	v_cndmask_b32_e32 v4, v5, v68, vcc_lo
; %bb.94:
	s_or_b32 exec_lo, exec_lo, s3
	v_and_b32_e32 v5, 0x7f800000, v69
	s_delay_alu instid0(VALU_DEP_1) | instskip(SKIP_1) | instid1(SALU_CYCLE_1)
	v_cmp_ne_u32_e32 vcc_lo, 0x7f800000, v5
                                        ; implicit-def: $vgpr5
	s_and_saveexec_b32 s3, vcc_lo
	s_xor_b32 s3, exec_lo, s3
; %bb.95:
	v_bfe_u32 v5, v69, 16, 1
	s_delay_alu instid0(VALU_DEP_1)
	v_add3_u32 v5, v69, v5, 0x7fff
; %bb.96:
	s_and_not1_saveexec_b32 s3, s3
; %bb.97:
	v_and_b32_e32 v5, 0xffff, v69
	v_or_b32_e32 v6, 0x10000, v69
	s_delay_alu instid0(VALU_DEP_2) | instskip(NEXT) | instid1(VALU_DEP_2)
	v_cmp_eq_u32_e32 vcc_lo, 0, v5
	v_cndmask_b32_e32 v5, v6, v69, vcc_lo
; %bb.98:
	s_or_b32 exec_lo, exec_lo, s3
	v_and_b32_e32 v6, 0x7f800000, v70
	s_delay_alu instid0(VALU_DEP_1) | instskip(SKIP_1) | instid1(SALU_CYCLE_1)
	v_cmp_ne_u32_e32 vcc_lo, 0x7f800000, v6
                                        ; implicit-def: $vgpr6
	s_and_saveexec_b32 s3, vcc_lo
	s_xor_b32 s3, exec_lo, s3
; %bb.99:
	v_bfe_u32 v6, v70, 16, 1
	s_delay_alu instid0(VALU_DEP_1)
	v_add3_u32 v6, v70, v6, 0x7fff
; %bb.100:
	s_and_not1_saveexec_b32 s3, s3
; %bb.101:
	v_and_b32_e32 v6, 0xffff, v70
	v_or_b32_e32 v7, 0x10000, v70
	s_delay_alu instid0(VALU_DEP_2) | instskip(NEXT) | instid1(VALU_DEP_2)
	v_cmp_eq_u32_e32 vcc_lo, 0, v6
	v_cndmask_b32_e32 v6, v7, v70, vcc_lo
; %bb.102:
	s_or_b32 exec_lo, exec_lo, s3
	v_and_b32_e32 v7, 0x7f800000, v71
	s_delay_alu instid0(VALU_DEP_1) | instskip(SKIP_1) | instid1(SALU_CYCLE_1)
	v_cmp_ne_u32_e32 vcc_lo, 0x7f800000, v7
                                        ; implicit-def: $vgpr7
	s_and_saveexec_b32 s3, vcc_lo
	s_xor_b32 s3, exec_lo, s3
; %bb.103:
	v_bfe_u32 v7, v71, 16, 1
	s_delay_alu instid0(VALU_DEP_1)
	v_add3_u32 v7, v71, v7, 0x7fff
; %bb.104:
	s_and_not1_saveexec_b32 s3, s3
; %bb.105:
	v_and_b32_e32 v7, 0xffff, v71
	v_or_b32_e32 v8, 0x10000, v71
	s_delay_alu instid0(VALU_DEP_2) | instskip(NEXT) | instid1(VALU_DEP_2)
	v_cmp_eq_u32_e32 vcc_lo, 0, v7
	v_cndmask_b32_e32 v7, v8, v71, vcc_lo
; %bb.106:
	s_or_b32 exec_lo, exec_lo, s3
	v_and_b32_e32 v8, 0x7f800000, v72
	s_delay_alu instid0(VALU_DEP_1) | instskip(SKIP_1) | instid1(SALU_CYCLE_1)
	v_cmp_ne_u32_e32 vcc_lo, 0x7f800000, v8
                                        ; implicit-def: $vgpr8
	s_and_saveexec_b32 s3, vcc_lo
	s_xor_b32 s3, exec_lo, s3
; %bb.107:
	v_bfe_u32 v8, v72, 16, 1
	s_delay_alu instid0(VALU_DEP_1)
	v_add3_u32 v8, v72, v8, 0x7fff
                                        ; implicit-def: $vgpr65_vgpr66_vgpr67_vgpr68_vgpr69_vgpr70_vgpr71_vgpr72
; %bb.108:
	s_and_not1_saveexec_b32 s3, s3
; %bb.109:
	v_and_b32_e32 v8, 0xffff, v72
	v_or_b32_e32 v9, 0x10000, v72
	s_delay_alu instid0(VALU_DEP_2) | instskip(NEXT) | instid1(VALU_DEP_2)
	v_cmp_eq_u32_e32 vcc_lo, 0, v8
	v_cndmask_b32_e32 v8, v9, v72, vcc_lo
; %bb.110:
	s_or_b32 exec_lo, exec_lo, s3
	s_delay_alu instid0(VALU_DEP_1)
	v_perm_b32 v7, v8, v7, 0x7060302
	v_perm_b32 v6, v6, v5, 0x7060302
	;; [unrolled: 1-line block ×4, first 2 shown]
	s_barrier
	buffer_gl0_inv
	v_cmp_eq_u32_e32 vcc_lo, 1, v78
	ds_store_b128 v76, v[4:7]
	s_waitcnt lgkmcnt(0)
	s_barrier
	buffer_gl0_inv
	ds_load_b128 v[1:4], v82
	ds_load_b128 v[5:8], v82 offset:16
	v_cmp_eq_u32_e64 s3, 1, v79
	v_cmp_eq_u32_e64 s4, 2, v78
	;; [unrolled: 1-line block ×5, first 2 shown]
	s_waitcnt lgkmcnt(1)
	v_lshrrev_b32_e32 v9, 16, v1
	s_waitcnt lgkmcnt(0)
	v_lshrrev_b32_e32 v13, 16, v5
	v_lshrrev_b32_e32 v10, 16, v2
	;; [unrolled: 1-line block ×4, first 2 shown]
	v_cndmask_b32_e64 v19, v1, v9, s3
	v_cndmask_b32_e32 v18, v5, v13, vcc_lo
	v_cndmask_b32_e64 v20, v5, v13, s3
	v_cndmask_b32_e32 v17, v1, v9, vcc_lo
	v_cmp_eq_u32_e32 vcc_lo, 2, v79
	v_lshrrev_b32_e32 v15, 16, v7
	v_cmp_eq_u32_e64 s3, 1, v77
	v_lshrrev_b32_e32 v12, 16, v4
	v_lshrrev_b32_e32 v16, 16, v8
	v_cndmask_b32_e32 v20, v20, v6, vcc_lo
	v_cndmask_b32_e64 v17, v17, v2, s4
	v_cndmask_b32_e32 v19, v19, v2, vcc_lo
	v_cndmask_b32_e64 v18, v18, v6, s4
	v_cmp_eq_u32_e32 vcc_lo, 4, v78
	v_cmp_eq_u32_e64 s4, 3, v79
	v_cndmask_b32_e64 v17, v17, v10, s5
	v_cndmask_b32_e64 v21, v1, v9, s3
	;; [unrolled: 1-line block ×5, first 2 shown]
	v_cndmask_b32_e32 v17, v17, v3, vcc_lo
	v_cndmask_b32_e64 v20, v20, v14, s4
	v_cndmask_b32_e32 v18, v18, v7, vcc_lo
	v_cmp_eq_u32_e32 vcc_lo, 4, v79
	v_cmp_eq_u32_e64 s4, 5, v79
	v_cmp_eq_u32_e64 s3, 2, v81
	v_cndmask_b32_e64 v21, v21, v2, s7
	v_cmp_eq_u32_e64 s5, 5, v78
	v_cndmask_b32_e32 v19, v19, v3, vcc_lo
	v_cndmask_b32_e32 v20, v20, v7, vcc_lo
	v_cmp_eq_u32_e32 vcc_lo, 6, v79
	s_delay_alu instid0(VALU_DEP_4) | instskip(NEXT) | instid1(VALU_DEP_4)
	v_cndmask_b32_e64 v17, v17, v11, s5
	v_cndmask_b32_e64 v19, v19, v11, s4
	s_delay_alu instid0(VALU_DEP_4) | instskip(SKIP_1) | instid1(VALU_DEP_3)
	v_cndmask_b32_e64 v20, v20, v15, s4
	v_cmp_eq_u32_e64 s4, 1, v81
	v_cndmask_b32_e32 v19, v19, v4, vcc_lo
	v_cndmask_b32_e64 v18, v18, v15, s5
	s_delay_alu instid0(VALU_DEP_3)
	v_cndmask_b32_e64 v1, v1, v9, s4
	v_cndmask_b32_e64 v5, v5, v13, s4
	v_cmp_eq_u32_e64 s4, 3, v77
	v_cndmask_b32_e64 v13, v22, v6, s7
	v_cmp_eq_u32_e64 s7, 3, v81
	v_cndmask_b32_e64 v1, v1, v2, s3
	v_cndmask_b32_e64 v2, v5, v6, s3
	;; [unrolled: 1-line block ×3, first 2 shown]
	v_cmp_eq_u32_e64 s3, 4, v77
	v_cndmask_b32_e64 v6, v13, v14, s4
	v_cndmask_b32_e64 v1, v1, v10, s7
	v_cmp_eq_u32_e64 s4, 4, v81
	v_cndmask_b32_e64 v2, v2, v14, s7
	v_cndmask_b32_e64 v5, v9, v3, s3
	;; [unrolled: 3-line block ×3, first 2 shown]
	v_cndmask_b32_e64 v2, v2, v7, s4
	v_cmp_eq_u32_e64 s3, 5, v81
	v_cmp_eq_u32_e64 s5, 6, v78
	v_cndmask_b32_e64 v5, v5, v11, s7
	v_cmp_eq_u32_e64 s4, 6, v77
	v_cndmask_b32_e64 v3, v6, v15, s7
	v_cndmask_b32_e64 v1, v1, v11, s3
	v_cmp_eq_u32_e64 s7, 6, v81
	v_cndmask_b32_e64 v2, v2, v15, s3
	v_cndmask_b32_e64 v17, v17, v4, s5
	v_cndmask_b32_e64 v18, v18, v8, s5
	v_cmp_eq_u32_e64 s5, 7, v78
	v_cndmask_b32_e64 v5, v5, v4, s4
	;; [unrolled: 4-line block ×3, first 2 shown]
	v_cmp_eq_u32_e64 s4, 7, v77
	v_cndmask_b32_e32 v4, v20, v8, vcc_lo
	v_cndmask_b32_e64 v17, v17, v12, s5
	v_cndmask_b32_e64 v19, v19, v12, s6
	;; [unrolled: 1-line block ×8, first 2 shown]
	v_cmp_gt_u32_e32 vcc_lo, 32, v0
	v_perm_b32 v4, v2, v1, 0x5040100
	v_perm_b32 v3, v3, v5, 0x5040100
	;; [unrolled: 1-line block ×4, first 2 shown]
	s_and_b32 s2, vcc_lo, s2
	ds_store_b128 v76, v[1:4]
	s_waitcnt lgkmcnt(0)
	s_barrier
	buffer_gl0_inv
	s_and_saveexec_b32 s3, s2
	s_cbranch_execz .LBB1475_2
; %bb.111:
	s_load_b64 s[0:1], s[0:1], 0x68
	s_lshl_b32 s4, s34, 6
	v_or_b32_e32 v2, s31, v74
	s_mul_i32 s2, s4, s30
	v_lshlrev_b32_e32 v0, 10, v0
	s_mul_i32 s2, s2, s8
	v_lshlrev_b32_e32 v1, 4, v75
	s_ashr_i32 s3, s2, 31
	v_mul_lo_u32 v20, v2, s4
	s_lshl_b64 s[2:3], s[2:3], 1
	v_lshlrev_b32_e32 v3, 6, v74
	v_and_b32_e32 v0, 0x3800, v0
	s_delay_alu instid0(VALU_DEP_1) | instskip(NEXT) | instid1(VALU_DEP_4)
	v_or3_b32 v16, v0, v1, v3
	v_ashrrev_i32_e32 v21, 31, v20
	ds_load_b128 v[0:3], v16
	ds_load_b128 v[4:7], v16 offset:128
	s_waitcnt lgkmcnt(0)
	s_add_u32 s2, s0, s2
	s_addc_u32 s3, s1, s3
	s_lshl_b32 s0, s14, 6
	ds_load_b128 v[8:11], v16 offset:256
	ds_load_b128 v[12:15], v16 offset:384
	;; [unrolled: 1-line block ×3, first 2 shown]
	s_ashr_i32 s1, s0, 31
	s_delay_alu instid0(SALU_CYCLE_1) | instskip(NEXT) | instid1(SALU_CYCLE_1)
	s_lshl_b64 s[0:1], s[0:1], 1
	s_add_u32 s0, s2, s0
	s_addc_u32 s1, s3, s1
	s_lshl_b32 s2, s34, 7
	v_add_co_u32 v30, s0, s0, v73
	v_add_nc_u32_e32 v22, s2, v20
	v_lshlrev_b64 v[20:21], 1, v[20:21]
	v_add_co_ci_u32_e64 v31, null, s1, 0, s0
	s_delay_alu instid0(VALU_DEP_3) | instskip(SKIP_1) | instid1(VALU_DEP_4)
	v_add_nc_u32_e32 v24, s2, v22
	v_ashrrev_i32_e32 v23, 31, v22
	v_add_co_u32 v20, vcc_lo, v30, v20
	s_delay_alu instid0(VALU_DEP_4) | instskip(NEXT) | instid1(VALU_DEP_4)
	v_add_co_ci_u32_e32 v21, vcc_lo, v31, v21, vcc_lo
	v_add_nc_u32_e32 v26, s2, v24
	v_ashrrev_i32_e32 v25, 31, v24
	v_lshlrev_b64 v[22:23], 1, v[22:23]
	s_delay_alu instid0(VALU_DEP_3) | instskip(SKIP_1) | instid1(VALU_DEP_4)
	v_add_nc_u32_e32 v28, s2, v26
	v_ashrrev_i32_e32 v27, 31, v26
	v_lshlrev_b64 v[24:25], 1, v[24:25]
	s_delay_alu instid0(VALU_DEP_4) | instskip(NEXT) | instid1(VALU_DEP_4)
	v_add_co_u32 v22, vcc_lo, v30, v22
	v_ashrrev_i32_e32 v29, 31, v28
	s_delay_alu instid0(VALU_DEP_4) | instskip(SKIP_2) | instid1(VALU_DEP_4)
	v_lshlrev_b64 v[26:27], 1, v[26:27]
	v_add_co_ci_u32_e32 v23, vcc_lo, v31, v23, vcc_lo
	v_add_co_u32 v24, vcc_lo, v30, v24
	v_lshlrev_b64 v[28:29], 1, v[28:29]
	v_add_co_ci_u32_e32 v25, vcc_lo, v31, v25, vcc_lo
	v_add_co_u32 v26, vcc_lo, v30, v26
	v_add_co_ci_u32_e32 v27, vcc_lo, v31, v27, vcc_lo
	s_delay_alu instid0(VALU_DEP_4)
	v_add_co_u32 v28, vcc_lo, v30, v28
	v_add_co_ci_u32_e32 v29, vcc_lo, v31, v29, vcc_lo
	s_clause 0x1
	global_store_b128 v[20:21], v[0:3], off
	global_store_b128 v[22:23], v[4:7], off
	s_waitcnt lgkmcnt(2)
	global_store_b128 v[24:25], v[8:11], off
	s_waitcnt lgkmcnt(1)
	global_store_b128 v[26:27], v[12:15], off
	s_waitcnt lgkmcnt(0)
	global_store_b128 v[28:29], v[16:19], off
	s_nop 0
	s_sendmsg sendmsg(MSG_DEALLOC_VGPRS)
	s_endpgm
	.section	.rodata,"a",@progbits
	.p2align	6, 0x0
	.amdhsa_kernel _Z39paged_attention_ll4mi_QKV_mfma16_kernelI14__hip_bfloat16hLN4vllm18Fp8KVCacheDataTypeE1ES0_Li32ELi64ELi256ELb1ELi10EL8MFMAType1EEvPKT_PKT0_S9_ifPKiSB_SB_iPKfiiiPfSE_PS4_PT2_iSD_SD_
		.amdhsa_group_segment_fixed_size 17472
		.amdhsa_private_segment_fixed_size 0
		.amdhsa_kernarg_size 400
		.amdhsa_user_sgpr_count 13
		.amdhsa_user_sgpr_dispatch_ptr 0
		.amdhsa_user_sgpr_queue_ptr 0
		.amdhsa_user_sgpr_kernarg_segment_ptr 1
		.amdhsa_user_sgpr_dispatch_id 0
		.amdhsa_user_sgpr_private_segment_size 0
		.amdhsa_wavefront_size32 1
		.amdhsa_uses_dynamic_stack 0
		.amdhsa_enable_private_segment 0
		.amdhsa_system_sgpr_workgroup_id_x 1
		.amdhsa_system_sgpr_workgroup_id_y 1
		.amdhsa_system_sgpr_workgroup_id_z 1
		.amdhsa_system_sgpr_workgroup_info 0
		.amdhsa_system_vgpr_workitem_id 0
		.amdhsa_next_free_vgpr 124
		.amdhsa_next_free_sgpr 40
		.amdhsa_reserve_vcc 1
		.amdhsa_float_round_mode_32 0
		.amdhsa_float_round_mode_16_64 0
		.amdhsa_float_denorm_mode_32 3
		.amdhsa_float_denorm_mode_16_64 3
		.amdhsa_dx10_clamp 1
		.amdhsa_ieee_mode 1
		.amdhsa_fp16_overflow 0
		.amdhsa_workgroup_processor_mode 1
		.amdhsa_memory_ordered 1
		.amdhsa_forward_progress 0
		.amdhsa_shared_vgpr_count 0
		.amdhsa_exception_fp_ieee_invalid_op 0
		.amdhsa_exception_fp_denorm_src 0
		.amdhsa_exception_fp_ieee_div_zero 0
		.amdhsa_exception_fp_ieee_overflow 0
		.amdhsa_exception_fp_ieee_underflow 0
		.amdhsa_exception_fp_ieee_inexact 0
		.amdhsa_exception_int_div_zero 0
	.end_amdhsa_kernel
	.section	.text._Z39paged_attention_ll4mi_QKV_mfma16_kernelI14__hip_bfloat16hLN4vllm18Fp8KVCacheDataTypeE1ES0_Li32ELi64ELi256ELb1ELi10EL8MFMAType1EEvPKT_PKT0_S9_ifPKiSB_SB_iPKfiiiPfSE_PS4_PT2_iSD_SD_,"axG",@progbits,_Z39paged_attention_ll4mi_QKV_mfma16_kernelI14__hip_bfloat16hLN4vllm18Fp8KVCacheDataTypeE1ES0_Li32ELi64ELi256ELb1ELi10EL8MFMAType1EEvPKT_PKT0_S9_ifPKiSB_SB_iPKfiiiPfSE_PS4_PT2_iSD_SD_,comdat
.Lfunc_end1475:
	.size	_Z39paged_attention_ll4mi_QKV_mfma16_kernelI14__hip_bfloat16hLN4vllm18Fp8KVCacheDataTypeE1ES0_Li32ELi64ELi256ELb1ELi10EL8MFMAType1EEvPKT_PKT0_S9_ifPKiSB_SB_iPKfiiiPfSE_PS4_PT2_iSD_SD_, .Lfunc_end1475-_Z39paged_attention_ll4mi_QKV_mfma16_kernelI14__hip_bfloat16hLN4vllm18Fp8KVCacheDataTypeE1ES0_Li32ELi64ELi256ELb1ELi10EL8MFMAType1EEvPKT_PKT0_S9_ifPKiSB_SB_iPKfiiiPfSE_PS4_PT2_iSD_SD_
                                        ; -- End function
	.section	.AMDGPU.csdata,"",@progbits
; Kernel info:
; codeLenInByte = 8824
; NumSgprs: 42
; NumVgprs: 124
; ScratchSize: 0
; MemoryBound: 0
; FloatMode: 240
; IeeeMode: 1
; LDSByteSize: 17472 bytes/workgroup (compile time only)
; SGPRBlocks: 5
; VGPRBlocks: 15
; NumSGPRsForWavesPerEU: 42
; NumVGPRsForWavesPerEU: 124
; Occupancy: 10
; WaveLimiterHint : 1
; COMPUTE_PGM_RSRC2:SCRATCH_EN: 0
; COMPUTE_PGM_RSRC2:USER_SGPR: 13
; COMPUTE_PGM_RSRC2:TRAP_HANDLER: 0
; COMPUTE_PGM_RSRC2:TGID_X_EN: 1
; COMPUTE_PGM_RSRC2:TGID_Y_EN: 1
; COMPUTE_PGM_RSRC2:TGID_Z_EN: 1
; COMPUTE_PGM_RSRC2:TIDIG_COMP_CNT: 0
	.section	.text._Z39paged_attention_ll4mi_QKV_mfma16_kernelI14__hip_bfloat16hLN4vllm18Fp8KVCacheDataTypeE1ES0_Li32ELi64ELi256ELb1ELi11EL8MFMAType1EEvPKT_PKT0_S9_ifPKiSB_SB_iPKfiiiPfSE_PS4_PT2_iSD_SD_,"axG",@progbits,_Z39paged_attention_ll4mi_QKV_mfma16_kernelI14__hip_bfloat16hLN4vllm18Fp8KVCacheDataTypeE1ES0_Li32ELi64ELi256ELb1ELi11EL8MFMAType1EEvPKT_PKT0_S9_ifPKiSB_SB_iPKfiiiPfSE_PS4_PT2_iSD_SD_,comdat
	.protected	_Z39paged_attention_ll4mi_QKV_mfma16_kernelI14__hip_bfloat16hLN4vllm18Fp8KVCacheDataTypeE1ES0_Li32ELi64ELi256ELb1ELi11EL8MFMAType1EEvPKT_PKT0_S9_ifPKiSB_SB_iPKfiiiPfSE_PS4_PT2_iSD_SD_ ; -- Begin function _Z39paged_attention_ll4mi_QKV_mfma16_kernelI14__hip_bfloat16hLN4vllm18Fp8KVCacheDataTypeE1ES0_Li32ELi64ELi256ELb1ELi11EL8MFMAType1EEvPKT_PKT0_S9_ifPKiSB_SB_iPKfiiiPfSE_PS4_PT2_iSD_SD_
	.globl	_Z39paged_attention_ll4mi_QKV_mfma16_kernelI14__hip_bfloat16hLN4vllm18Fp8KVCacheDataTypeE1ES0_Li32ELi64ELi256ELb1ELi11EL8MFMAType1EEvPKT_PKT0_S9_ifPKiSB_SB_iPKfiiiPfSE_PS4_PT2_iSD_SD_
	.p2align	8
	.type	_Z39paged_attention_ll4mi_QKV_mfma16_kernelI14__hip_bfloat16hLN4vllm18Fp8KVCacheDataTypeE1ES0_Li32ELi64ELi256ELb1ELi11EL8MFMAType1EEvPKT_PKT0_S9_ifPKiSB_SB_iPKfiiiPfSE_PS4_PT2_iSD_SD_,@function
_Z39paged_attention_ll4mi_QKV_mfma16_kernelI14__hip_bfloat16hLN4vllm18Fp8KVCacheDataTypeE1ES0_Li32ELi64ELi256ELb1ELi11EL8MFMAType1EEvPKT_PKT0_S9_ifPKiSB_SB_iPKfiiiPfSE_PS4_PT2_iSD_SD_: ; @_Z39paged_attention_ll4mi_QKV_mfma16_kernelI14__hip_bfloat16hLN4vllm18Fp8KVCacheDataTypeE1ES0_Li32ELi64ELi256ELb1ELi11EL8MFMAType1EEvPKT_PKT0_S9_ifPKiSB_SB_iPKfiiiPfSE_PS4_PT2_iSD_SD_
; %bb.0:
	s_load_b64 s[2:3], s[0:1], 0x30
	s_mov_b32 s34, s13
	s_waitcnt lgkmcnt(0)
	s_cmp_lg_u64 s[2:3], 0
	s_cselect_b32 s8, -1, 0
	s_ashr_i32 s35, s13, 31
	s_cmp_eq_u64 s[2:3], 0
	s_cbranch_scc1 .LBB1476_3
; %bb.1:
	s_lshl_b64 s[4:5], s[34:35], 2
	s_delay_alu instid0(SALU_CYCLE_1) | instskip(SKIP_4) | instid1(SALU_CYCLE_1)
	s_add_u32 s4, s2, s4
	s_addc_u32 s5, s3, s5
	s_load_b64 s[4:5], s[4:5], 0x0
	s_waitcnt lgkmcnt(0)
	s_sub_i32 s4, s5, s4
	s_cmp_eq_u32 s4, 1
	s_cselect_b32 s4, -1, 0
	s_delay_alu instid0(SALU_CYCLE_1)
	s_and_not1_b32 vcc_lo, exec_lo, s4
	s_cbranch_vccz .LBB1476_4
.LBB1476_2:
	s_nop 0
	s_sendmsg sendmsg(MSG_DEALLOC_VGPRS)
	s_endpgm
.LBB1476_3:
.LBB1476_4:
	s_load_b64 s[4:5], s[0:1], 0x28
	s_lshl_b64 s[6:7], s[34:35], 2
	s_waitcnt lgkmcnt(0)
	s_add_u32 s4, s4, s6
	s_addc_u32 s5, s5, s7
	s_lshl_b32 s12, s14, 8
	s_load_b32 s24, s[4:5], 0x0
	s_waitcnt lgkmcnt(0)
	s_cmp_ge_i32 s12, s24
	s_cbranch_scc1 .LBB1476_2
; %bb.5:
	s_clause 0x1
	s_load_b128 s[20:23], s[0:1], 0x8
	s_load_b64 s[4:5], s[0:1], 0x20
	s_and_not1_b32 vcc_lo, exec_lo, s8
	s_cbranch_vccnz .LBB1476_7
; %bb.6:
	s_add_u32 s2, s2, s6
	s_addc_u32 s3, s3, s7
	s_load_b32 s3, s[2:3], 0x0
	s_branch .LBB1476_8
.LBB1476_7:
	s_mov_b32 s3, s34
.LBB1476_8:
	s_load_b128 s[16:19], s[0:1], 0x48
	v_lshrrev_b32_e32 v66, 5, v0
	v_bfe_u32 v74, v0, 4, 1
	v_and_b32_e32 v65, 15, v0
	v_and_b32_e32 v67, 31, v0
	;; [unrolled: 1-line block ×3, first 2 shown]
	s_mul_i32 s31, s15, 11
	v_lshl_or_b32 v1, v66, 1, v74
	v_lshlrev_b32_e32 v2, 3, v65
	v_cmp_gt_u32_e64 s2, 8, v65
	s_delay_alu instid0(VALU_DEP_3) | instskip(NEXT) | instid1(VALU_DEP_3)
	v_cmp_gt_u32_e32 vcc_lo, 11, v1
	v_lshlrev_b32_e32 v73, 1, v2
	s_delay_alu instid0(VALU_DEP_3) | instskip(NEXT) | instid1(SALU_CYCLE_1)
	s_and_b32 s7, s2, vcc_lo
	s_and_saveexec_b32 s6, s7
	s_cbranch_execz .LBB1476_10
; %bb.9:
	s_load_b64 s[8:9], s[0:1], 0x0
	v_add_lshl_u32 v2, v1, s31, 6
	s_waitcnt lgkmcnt(0)
	s_mul_hi_i32 s11, s3, s16
	s_mul_i32 s10, s3, s16
	v_lshlrev_b32_e32 v6, 10, v65
	s_lshl_b64 s[10:11], s[10:11], 1
	v_ashrrev_i32_e32 v3, 31, v2
	v_lshlrev_b32_e32 v1, 6, v1
	v_lshlrev_b32_e32 v7, 10, v75
	v_and_b32_e32 v6, 0x3800, v6
	s_delay_alu instid0(VALU_DEP_4) | instskip(NEXT) | instid1(VALU_DEP_2)
	v_lshlrev_b64 v[2:3], 1, v[2:3]
	v_or3_b32 v1, v6, v7, v1
	s_add_u32 s3, s8, s10
	s_addc_u32 s7, s9, s11
	s_delay_alu instid0(VALU_DEP_2) | instskip(NEXT) | instid1(VALU_DEP_3)
	v_add_co_u32 v2, vcc_lo, s3, v2
	v_add_co_ci_u32_e32 v3, vcc_lo, s7, v3, vcc_lo
	s_delay_alu instid0(VALU_DEP_2) | instskip(NEXT) | instid1(VALU_DEP_2)
	v_add_co_u32 v2, vcc_lo, v2, v73
	v_add_co_ci_u32_e32 v3, vcc_lo, 0, v3, vcc_lo
	global_load_b128 v[2:5], v[2:3], off
	s_waitcnt vmcnt(0)
	ds_store_b128 v1, v[2:5]
.LBB1476_10:
	s_or_b32 exec_lo, exec_lo, s6
	v_and_b32_e32 v1, 0xef, v0
	s_waitcnt lgkmcnt(0)
	s_add_i32 s3, s24, 31
	s_clause 0x1
	s_load_b32 s6, s[0:1], 0x38
	s_load_b32 s19, s[0:1], 0x1c
	s_ashr_i32 s7, s3, 31
	v_add_nc_u32_e32 v1, s12, v1
	s_lshr_b32 s7, s7, 27
	s_waitcnt lgkmcnt(0)
	s_add_i32 s3, s3, s7
	s_barrier
	v_ashrrev_i32_e32 v2, 31, v1
	v_or_b32_e32 v3, 16, v1
	s_ashr_i32 s3, s3, 5
	v_cmp_gt_i32_e32 vcc_lo, s24, v1
	s_add_i32 s3, s3, -1
	v_lshrrev_b32_e32 v2, 27, v2
	buffer_gl0_inv
	s_mul_i32 s27, s15, s18
	v_add_nc_u32_e32 v4, v1, v2
	s_mul_i32 s6, s34, s6
	s_delay_alu instid0(SALU_CYCLE_1) | instskip(NEXT) | instid1(VALU_DEP_1)
	s_ashr_i32 s7, s6, 31
	v_ashrrev_i32_e32 v4, 5, v4
	v_add_nc_u32_e32 v2, v3, v2
	s_lshl_b64 s[6:7], s[6:7], 2
	s_delay_alu instid0(SALU_CYCLE_1) | instskip(NEXT) | instid1(VALU_DEP_2)
	s_add_u32 s26, s4, s6
	v_cndmask_b32_e32 v1, s3, v4, vcc_lo
	s_delay_alu instid0(VALU_DEP_2)
	v_ashrrev_i32_e32 v2, 5, v2
	v_cmp_gt_i32_e32 vcc_lo, s24, v3
	s_addc_u32 s25, s5, s7
	s_ashr_i32 s28, s27, 31
	s_add_u32 s4, s20, s27
	s_addc_u32 s5, s21, s28
	v_cndmask_b32_e32 v3, s3, v2, vcc_lo
	v_ashrrev_i32_e32 v2, 31, v1
	s_lshl_b32 s6, s14, 3
	s_delay_alu instid0(SALU_CYCLE_1) | instskip(NEXT) | instid1(VALU_DEP_2)
	s_ashr_i32 s7, s6, 31
	v_ashrrev_i32_e32 v4, 31, v3
	s_delay_alu instid0(VALU_DEP_2) | instskip(SKIP_1) | instid1(SALU_CYCLE_1)
	v_lshlrev_b64 v[1:2], 2, v[1:2]
	s_lshl_b64 s[6:7], s[6:7], 2
	s_add_u32 s6, s26, s6
	s_delay_alu instid0(VALU_DEP_2) | instskip(SKIP_1) | instid1(VALU_DEP_2)
	v_lshlrev_b64 v[3:4], 2, v[3:4]
	s_addc_u32 s7, s25, s7
	v_add_co_u32 v1, vcc_lo, s26, v1
	v_add_co_ci_u32_e32 v2, vcc_lo, s25, v2, vcc_lo
	s_delay_alu instid0(VALU_DEP_3) | instskip(NEXT) | instid1(VALU_DEP_4)
	v_add_co_u32 v3, vcc_lo, s26, v3
	v_add_co_ci_u32_e32 v4, vcc_lo, s25, v4, vcc_lo
	s_clause 0x1
	global_load_b32 v5, v[1:2], off
	global_load_b32 v6, v[3:4], off
	s_or_b32 s8, s12, 32
	s_delay_alu instid0(SALU_CYCLE_1) | instskip(SKIP_2) | instid1(SALU_CYCLE_1)
	s_ashr_i32 s9, s8, 5
	s_cmp_lt_i32 s8, s24
	s_cselect_b32 s8, s9, s3
	s_ashr_i32 s9, s8, 31
	s_delay_alu instid0(SALU_CYCLE_1) | instskip(NEXT) | instid1(SALU_CYCLE_1)
	s_lshl_b64 s[8:9], s[8:9], 2
	s_add_u32 s8, s26, s8
	s_addc_u32 s9, s25, s9
	s_or_b32 s10, s12, 64
	s_delay_alu instid0(SALU_CYCLE_1) | instskip(SKIP_2) | instid1(SALU_CYCLE_1)
	s_ashr_i32 s11, s10, 5
	s_cmp_lt_i32 s10, s24
	s_cselect_b32 s10, s11, s3
	s_ashr_i32 s11, s10, 31
	s_delay_alu instid0(SALU_CYCLE_1) | instskip(NEXT) | instid1(SALU_CYCLE_1)
	s_lshl_b64 s[10:11], s[10:11], 2
	s_add_u32 s10, s26, s10
	s_addc_u32 s11, s25, s11
	;; [unrolled: 10-line block ×5, first 2 shown]
	s_clause 0x5
	s_load_b32 s21, s[6:7], 0x0
	s_load_b32 s13, s[8:9], 0x0
	;; [unrolled: 1-line block ×6, first 2 shown]
	s_or_b32 s8, s12, 0xc0
	s_delay_alu instid0(SALU_CYCLE_1) | instskip(SKIP_2) | instid1(SALU_CYCLE_1)
	s_ashr_i32 s9, s8, 5
	s_cmp_lt_i32 s8, s24
	s_cselect_b32 s36, s9, s3
	s_ashr_i32 s37, s36, 31
	s_delay_alu instid0(SALU_CYCLE_1) | instskip(NEXT) | instid1(SALU_CYCLE_1)
	s_lshl_b64 s[36:37], s[36:37], 2
	s_add_u32 s36, s26, s36
	s_addc_u32 s37, s25, s37
	s_or_b32 s29, s12, 0xe0
	s_delay_alu instid0(SALU_CYCLE_1)
	s_ashr_i32 s30, s29, 5
	s_cmp_lt_i32 s29, s24
	s_waitcnt vmcnt(1)
	v_mad_i64_i32 v[1:2], null, v5, s17, s[4:5]
	s_waitcnt vmcnt(0)
	v_mad_i64_i32 v[3:4], null, v6, s17, s[4:5]
	s_mov_b32 s4, 0
	s_delay_alu instid0(SALU_CYCLE_1)
	s_mov_b32 s5, s4
	s_mov_b32 s6, s4
	;; [unrolled: 1-line block ×7, first 2 shown]
	v_lshlrev_b32_e32 v5, 4, v65
	v_dual_mov_b32 v107, s11 :: v_dual_mov_b32 v102, s6
	v_mov_b32_e32 v100, s4
	v_mov_b32_e32 v106, s10
	s_delay_alu instid0(VALU_DEP_4)
	v_add_co_u32 v1, vcc_lo, v1, v5
	v_add_co_ci_u32_e32 v2, vcc_lo, 0, v2, vcc_lo
	v_add_co_u32 v3, vcc_lo, v3, v5
	v_add_co_ci_u32_e32 v4, vcc_lo, 0, v4, vcc_lo
	s_clause 0x7
	global_load_b128 v[49:52], v[1:2], off
	global_load_b128 v[53:56], v[1:2], off offset:512
	global_load_b128 v[76:79], v[3:4], off offset:256
	;; [unrolled: 1-line block ×7, first 2 shown]
	v_add_nc_u32_e32 v1, -11, v65
	v_cmp_gt_u32_e32 vcc_lo, 11, v65
	v_dual_mov_b32 v104, s8 :: v_dual_mov_b32 v103, s7
	v_dual_mov_b32 v101, s5 :: v_dual_lshlrev_b32 v2, 5, v65
	s_delay_alu instid0(VALU_DEP_4)
	v_cndmask_b32_e32 v1, v1, v65, vcc_lo
	v_mov_b32_e32 v105, s9
	s_cselect_b32 s4, s30, s3
	s_load_b32 s3, s[36:37], 0x0
	s_ashr_i32 s5, s4, 31
	v_lshlrev_b32_e32 v70, 6, v1
	s_lshl_b64 s[4:5], s[4:5], 2
	v_lshl_or_b32 v2, v66, 9, v2
	s_add_u32 s4, s26, s4
	s_addc_u32 s5, s25, s5
	ds_load_b128 v[108:111], v70
	ds_load_b128 v[112:115], v70 offset:1024
	s_load_b32 s4, s[4:5], 0x0
	s_add_u32 s6, s22, s27
	s_addc_u32 s7, s23, s28
	v_add_co_u32 v9, s6, s6, v2
	s_delay_alu instid0(VALU_DEP_1) | instskip(SKIP_1) | instid1(VALU_DEP_1)
	v_add_co_ci_u32_e64 v10, null, s7, 0, s6
	s_waitcnt lgkmcnt(0)
	v_mad_i64_i32 v[1:2], null, s21, s17, v[9:10]
	v_mad_i64_i32 v[3:4], null, s13, s17, v[9:10]
	;; [unrolled: 1-line block ×7, first 2 shown]
	s_clause 0x9
	global_load_b128 v[57:60], v[1:2], off
	global_load_b128 v[61:64], v[1:2], off offset:16
	global_load_b128 v[41:44], v[3:4], off
	global_load_b128 v[45:48], v[3:4], off offset:16
	global_load_b128 v[33:36], v[5:6], off
	global_load_b128 v[37:40], v[5:6], off offset:16
	global_load_b128 v[25:28], v[7:8], off
	global_load_b128 v[29:32], v[7:8], off offset:16
	global_load_b128 v[1:4], v[11:12], off
	global_load_b128 v[5:8], v[11:12], off offset:16
	v_mad_i64_i32 v[68:69], null, s4, s17, v[9:10]
	s_clause 0x3
	global_load_b128 v[9:12], v[13:14], off
	global_load_b128 v[13:16], v[13:14], off offset:16
	global_load_b128 v[17:20], v[21:22], off
	global_load_b128 v[21:24], v[21:22], off offset:16
	s_waitcnt vmcnt(20)
	v_wmma_f32_16x16x16_bf16 v[116:123], v[49:56], v[108:115], v[100:107]
	s_clause 0x1
	global_load_b128 v[49:52], v[68:69], off
	global_load_b128 v[53:56], v[68:69], off offset:16
	v_and_b32_e32 v68, 0xe0, v0
	v_mbcnt_lo_u32_b32 v69, -1, 0
	s_delay_alu instid0(VALU_DEP_2)
	v_add_nc_u32_e32 v68, s12, v68
	s_waitcnt vmcnt(20)
	v_wmma_f32_16x16x16_bf16 v[100:107], v[76:83], v[108:115], v[100:107]
	ds_load_b128 v[76:79], v70 offset:2048
	ds_load_b128 v[80:83], v70 offset:3072
	v_xor_b32_e32 v70, 16, v69
	s_waitcnt vmcnt(0) lgkmcnt(0)
	v_or_b32_e32 v68, v68, v74
	s_barrier
	buffer_gl0_inv
	v_cmp_gt_i32_e32 vcc_lo, 32, v70
	v_or_b32_e32 v71, 4, v68
	v_or_b32_e32 v72, 6, v68
	v_cmp_gt_i32_e64 s3, s24, v68
	v_or_b32_e32 v108, 8, v68
	v_or_b32_e32 v109, 10, v68
	v_cmp_gt_i32_e64 s4, s24, v71
	v_cmp_gt_i32_e64 s5, s24, v72
	s_delay_alu instid0(VALU_DEP_4) | instskip(NEXT) | instid1(VALU_DEP_4)
	v_cmp_gt_i32_e64 s6, s24, v108
	v_cmp_gt_i32_e64 s7, s24, v109
	v_wmma_f32_16x16x16_bf16 v[116:123], v[84:91], v[76:83], v[116:123]
	v_cndmask_b32_e32 v69, v69, v70, vcc_lo
	v_or_b32_e32 v70, 2, v68
	v_wmma_f32_16x16x16_bf16 v[100:107], v[92:99], v[76:83], v[100:107]
	v_or_b32_e32 v89, 22, v68
	v_dual_mul_f32 v80, s19, v121 :: v_dual_mul_f32 v81, s19, v120
	v_dual_mul_f32 v92, s19, v117 :: v_dual_mul_f32 v93, s19, v116
	s_delay_alu instid0(VALU_DEP_4)
	v_mul_f32_e32 v96, s19, v105
	v_cmp_gt_i32_e32 vcc_lo, s24, v70
	v_dual_mul_f32 v79, s19, v122 :: v_dual_mul_f32 v82, s19, v119
	v_dual_mul_f32 v83, s19, v118 :: v_dual_mul_f32 v94, s19, v107
	v_cndmask_b32_e64 v93, 0xff7fffff, v93, s3
	v_cndmask_b32_e32 v92, 0xff7fffff, v92, vcc_lo
	v_or_b32_e32 v84, 12, v68
	v_or_b32_e32 v85, 14, v68
	v_cndmask_b32_e64 v71, 0xff7fffff, v83, s4
	v_cndmask_b32_e64 v72, 0xff7fffff, v82, s5
	v_cmp_gt_i32_e64 s13, s24, v89
	v_lshlrev_b32_e32 v89, 2, v69
	v_max3_f32 v82, v93, 0xff7fffff, v92
	v_or_b32_e32 v86, 16, v68
	v_or_b32_e32 v87, 18, v68
	v_mul_f32_e32 v78, s19, v123
	v_cndmask_b32_e64 v81, 0xff7fffff, v81, s6
	v_cndmask_b32_e64 v80, 0xff7fffff, v80, s7
	v_max3_f32 v71, v82, v71, v72
	v_cmp_gt_i32_e64 s8, s24, v84
	v_cmp_gt_i32_e64 s9, s24, v85
	v_or_b32_e32 v88, 20, v68
	v_or_b32_e32 v90, 24, v68
	;; [unrolled: 1-line block ×5, first 2 shown]
	v_dual_mul_f32 v97, s19, v104 :: v_dual_mul_f32 v70, s19, v101
	v_dual_mul_f32 v99, s19, v102 :: v_dual_mul_f32 v68, s19, v100
	v_cndmask_b32_e64 v72, 0xff7fffff, v79, s8
	v_cndmask_b32_e64 v78, 0xff7fffff, v78, s9
	v_max3_f32 v71, v71, v81, v80
	v_cmp_gt_i32_e64 s10, s24, v86
	v_cmp_gt_i32_e64 s11, s24, v87
	v_dual_mul_f32 v95, s19, v106 :: v_dual_mul_f32 v98, s19, v103
	s_delay_alu instid0(VALU_DEP_4) | instskip(NEXT) | instid1(VALU_DEP_4)
	v_max3_f32 v71, v71, v72, v78
	v_cndmask_b32_e64 v68, 0xff7fffff, v68, s10
	s_delay_alu instid0(VALU_DEP_4)
	v_cndmask_b32_e64 v70, 0xff7fffff, v70, s11
	v_cmp_gt_i32_e64 s12, s24, v88
	v_cndmask_b32_e64 v78, 0xff7fffff, v98, s13
	v_cmp_gt_i32_e64 s15, s24, v90
	v_cmp_gt_i32_e64 s16, s24, v91
	v_max3_f32 v68, v71, v68, v70
	v_cndmask_b32_e64 v72, 0xff7fffff, v99, s12
	v_cmp_gt_i32_e64 s17, s24, v76
	v_cndmask_b32_e64 v70, 0xff7fffff, v97, s15
	v_cndmask_b32_e64 v71, 0xff7fffff, v96, s16
	v_cmp_gt_i32_e64 s18, s24, v77
	v_max3_f32 v68, v68, v72, v78
	v_cndmask_b32_e64 v72, 0xff7fffff, v95, s17
	s_delay_alu instid0(VALU_DEP_3) | instskip(NEXT) | instid1(VALU_DEP_3)
	v_cndmask_b32_e64 v76, 0xff7fffff, v94, s18
	v_max3_f32 v68, v68, v70, v71
	s_delay_alu instid0(VALU_DEP_1) | instskip(SKIP_3) | instid1(VALU_DEP_1)
	v_max3_f32 v68, v68, v72, v76
	ds_bpermute_b32 v69, v89, v68
	s_waitcnt lgkmcnt(0)
	v_max_f32_e32 v69, v69, v69
	v_max_f32_e32 v68, v68, v69
	s_delay_alu instid0(VALU_DEP_1) | instskip(NEXT) | instid1(VALU_DEP_1)
	v_fma_f32 v71, s19, v118, -v68
	v_mul_f32_e32 v71, 0x3fb8aa3b, v71
	v_fma_f32 v70, s19, v117, -v68
	v_fma_f32 v69, s19, v116, -v68
	;; [unrolled: 1-line block ×5, first 2 shown]
	s_delay_alu instid0(VALU_DEP_4) | instskip(SKIP_1) | instid1(VALU_DEP_3)
	v_dual_mul_f32 v70, 0x3fb8aa3b, v70 :: v_dual_mul_f32 v69, 0x3fb8aa3b, v69
	v_exp_f32_e32 v71, v71
	v_mul_f32_e32 v72, 0x3fb8aa3b, v72
	v_fma_f32 v81, s19, v105, -v68
	s_delay_alu instid0(VALU_DEP_3)
	v_exp_f32_e32 v70, v70
	v_mul_f32_e32 v77, 0x3fb8aa3b, v76
	v_exp_f32_e32 v69, v69
	v_exp_f32_e32 v72, v72
	v_mul_f32_e32 v81, 0x3fb8aa3b, v81
	v_cndmask_b32_e64 v83, 0, v71, s4
	v_fma_f32 v71, s19, v123, -v68
	s_delay_alu instid0(VALU_DEP_3) | instskip(SKIP_4) | instid1(TRANS32_DEP_3)
	v_exp_f32_e32 v81, v81
	v_cndmask_b32_e32 v76, 0, v70, vcc_lo
	v_exp_f32_e32 v77, v77
	v_cndmask_b32_e64 v80, 0, v69, s3
	v_fma_f32 v69, s19, v121, -v68
	v_cndmask_b32_e64 v85, 0, v72, s5
	v_mul_f32_e32 v71, 0x3fb8aa3b, v71
	v_fma_f32 v72, s19, v100, -v68
	s_delay_alu instid0(VALU_DEP_4) | instskip(SKIP_1) | instid1(VALU_DEP_4)
	v_dual_add_f32 v70, 0, v80 :: v_dual_mul_f32 v69, 0x3fb8aa3b, v69
	v_cmp_gt_u32_e64 s3, 16, v67
	v_exp_f32_e32 v71, v71
	s_delay_alu instid0(TRANS32_DEP_2) | instskip(SKIP_4) | instid1(VALU_DEP_3)
	v_cndmask_b32_e64 v86, 0, v77, s6
	v_fma_f32 v77, s19, v101, -v68
	v_mul_f32_e32 v78, 0x3fb8aa3b, v78
	v_add_f32_e32 v70, v70, v76
	v_exp_f32_e32 v69, v69
	v_mul_f32_e32 v77, 0x3fb8aa3b, v77
	s_delay_alu instid0(VALU_DEP_3) | instskip(NEXT) | instid1(TRANS32_DEP_3)
	v_exp_f32_e32 v78, v78
	v_cndmask_b32_e64 v88, 0, v71, s9
	v_fma_f32 v71, s19, v104, -v68
	s_delay_alu instid0(VALU_DEP_3) | instskip(NEXT) | instid1(TRANS32_DEP_3)
	v_exp_f32_e32 v77, v77
	v_cndmask_b32_e64 v87, 0, v69, s7
	s_delay_alu instid0(VALU_DEP_2)
	v_mul_f32_e32 v71, 0x3fb8aa3b, v71
	s_waitcnt_depctr 0xfff
	v_cndmask_b32_e64 v84, 0, v78, s8
	v_add_f32_e32 v70, v70, v83
	v_fma_f32 v78, s19, v103, -v68
	v_exp_f32_e32 v82, v71
	s_delay_alu instid0(VALU_DEP_2) | instskip(SKIP_1) | instid1(VALU_DEP_3)
	v_add_f32_e32 v70, v70, v85
	v_mul_f32_e32 v72, 0x3fb8aa3b, v72
	v_mul_f32_e32 v78, 0x3fb8aa3b, v78
	s_delay_alu instid0(VALU_DEP_3) | instskip(SKIP_1) | instid1(VALU_DEP_4)
	v_add_f32_e32 v69, v70, v86
	v_fma_f32 v70, s19, v102, -v68
	v_exp_f32_e32 v72, v72
	s_delay_alu instid0(VALU_DEP_3) | instskip(NEXT) | instid1(VALU_DEP_1)
	v_exp_f32_e32 v78, v78
	v_dual_add_f32 v69, v69, v87 :: v_dual_mul_f32 v70, 0x3fb8aa3b, v70
	s_delay_alu instid0(VALU_DEP_1) | instskip(NEXT) | instid1(VALU_DEP_2)
	v_add_f32_e32 v69, v69, v84
	v_exp_f32_e32 v79, v70
	s_delay_alu instid0(TRANS32_DEP_3) | instskip(NEXT) | instid1(VALU_DEP_2)
	v_cndmask_b32_e64 v70, 0, v72, s10
	v_add_f32_e32 v72, v69, v88
	v_cndmask_b32_e64 v69, 0, v77, s11
	v_fma_f32 v77, s19, v106, -v68
	s_waitcnt_depctr 0xfff
	v_cndmask_b32_e64 v71, 0, v79, s12
	v_dual_mul_f32 v77, 0x3fb8aa3b, v77 :: v_dual_add_f32 v72, v72, v70
	s_delay_alu instid0(VALU_DEP_1) | instskip(NEXT) | instid1(VALU_DEP_1)
	v_exp_f32_e32 v90, v77
	v_add_f32_e32 v79, v72, v69
	v_cndmask_b32_e64 v72, 0, v78, s13
	v_cndmask_b32_e64 v77, 0, v82, s15
	s_delay_alu instid0(VALU_DEP_3) | instskip(SKIP_1) | instid1(VALU_DEP_1)
	v_add_f32_e32 v78, v79, v71
	v_fma_f32 v79, s19, v107, -v68
	v_dual_add_f32 v82, v78, v72 :: v_dual_mul_f32 v79, 0x3fb8aa3b, v79
	v_cndmask_b32_e64 v78, 0, v81, s16
	s_delay_alu instid0(VALU_DEP_2) | instskip(NEXT) | instid1(VALU_DEP_3)
	v_add_f32_e32 v81, v82, v77
	v_exp_f32_e32 v82, v79
	v_cndmask_b32_e64 v79, 0, v90, s17
	s_delay_alu instid0(VALU_DEP_2) | instskip(NEXT) | instid1(VALU_DEP_1)
	v_add_f32_e32 v81, v81, v78
	v_add_f32_e32 v90, v81, v79
	s_waitcnt_depctr 0xfff
	v_cndmask_b32_e64 v81, 0, v82, s18
	s_delay_alu instid0(VALU_DEP_1)
	v_add_f32_e32 v82, v90, v81
	ds_bpermute_b32 v89, v89, v82
	s_and_saveexec_b32 s4, s3
	s_cbranch_execz .LBB1476_12
; %bb.11:
	v_mul_u32_u24_e32 v67, 0x44, v66
	s_delay_alu instid0(VALU_DEP_1) | instskip(SKIP_1) | instid1(VALU_DEP_1)
	v_lshl_add_u32 v67, v65, 2, v67
	s_waitcnt lgkmcnt(0)
	v_dual_add_f32 v82, v82, v89 :: v_dual_add_nc_u32 v67, 0x4000, v67
	ds_store_2addr_b32 v67, v68, v82 offset1:136
.LBB1476_12:
	s_or_b32 exec_lo, exec_lo, s4
	v_lshlrev_b32_e32 v67, 2, v65
	s_waitcnt lgkmcnt(0)
	s_barrier
	buffer_gl0_inv
	v_cmp_eq_u32_e32 vcc_lo, 1, v66
	v_add_nc_u32_e32 v82, 0x4000, v67
	v_cmp_eq_u32_e64 s4, 2, v66
	v_cmp_eq_u32_e64 s6, 7, v66
	ds_load_2addr_b32 v[89:90], v82 offset1:17
	ds_load_2addr_b32 v[91:92], v82 offset0:34 offset1:51
	ds_load_2addr_b32 v[93:94], v82 offset0:68 offset1:85
	;; [unrolled: 1-line block ×4, first 2 shown]
	s_waitcnt lgkmcnt(4)
	v_max3_f32 v67, v89, 0xff7fffff, v90
	s_waitcnt lgkmcnt(3)
	s_delay_alu instid0(VALU_DEP_1) | instskip(SKIP_1) | instid1(VALU_DEP_1)
	v_max3_f32 v67, v67, v91, v92
	s_waitcnt lgkmcnt(2)
	v_max3_f32 v67, v67, v93, v94
	s_waitcnt lgkmcnt(1)
	s_delay_alu instid0(VALU_DEP_1) | instskip(NEXT) | instid1(VALU_DEP_1)
	v_max3_f32 v67, v67, v95, v96
	v_sub_f32_e32 v93, v93, v67
	s_delay_alu instid0(VALU_DEP_1) | instskip(NEXT) | instid1(VALU_DEP_1)
	v_dual_sub_f32 v68, v89, v67 :: v_dual_mul_f32 v103, 0x3fb8aa3b, v93
	v_mul_f32_e32 v68, 0x3fb8aa3b, v68
	s_delay_alu instid0(VALU_DEP_1)
	v_exp_f32_e32 v100, v68
	v_sub_f32_e32 v68, v92, v67
	v_sub_f32_e32 v99, v90, v67
	ds_load_2addr_b32 v[89:90], v82 offset0:170 offset1:187
	v_dual_mul_f32 v102, 0x3fb8aa3b, v68 :: v_dual_mul_f32 v99, 0x3fb8aa3b, v99
	s_waitcnt lgkmcnt(1)
	v_fma_f32 v68, v100, v97, 0
	s_delay_alu instid0(VALU_DEP_2) | instskip(NEXT) | instid1(VALU_DEP_2)
	v_exp_f32_e32 v102, v102
	v_exp_f32_e32 v99, v99
	s_waitcnt_depctr 0xfff
	v_fmac_f32_e32 v68, v99, v98
	v_sub_f32_e32 v91, v91, v67
	s_delay_alu instid0(VALU_DEP_1)
	v_mul_f32_e32 v101, 0x3fb8aa3b, v91
	ds_load_2addr_b32 v[91:92], v82 offset0:204 offset1:221
	v_sub_f32_e32 v97, v94, v67
	ds_load_2addr_b32 v[93:94], v82 offset0:238 offset1:255
	s_waitcnt lgkmcnt(0)
	v_exp_f32_e32 v101, v101
	s_barrier
	buffer_gl0_inv
	v_dual_fmac_f32 v68, v101, v89 :: v_dual_sub_f32 v89, v96, v67
	v_dual_sub_f32 v82, v95, v67 :: v_dual_mul_f32 v95, 0x3fb8aa3b, v97
	v_exp_f32_e32 v97, v103
	s_delay_alu instid0(VALU_DEP_2) | instskip(NEXT) | instid1(VALU_DEP_2)
	v_dual_fmac_f32 v68, v102, v90 :: v_dual_mul_f32 v89, 0x3fb8aa3b, v89
	v_mul_f32_e32 v82, 0x3fb8aa3b, v82
	s_delay_alu instid0(VALU_DEP_3) | instskip(NEXT) | instid1(VALU_DEP_2)
	v_exp_f32_e32 v95, v95
	v_exp_f32_e32 v89, v89
	s_delay_alu instid0(VALU_DEP_1)
	v_exp_f32_e32 v82, v82
	v_fmac_f32_e32 v68, v97, v91
	s_delay_alu instid0(TRANS32_DEP_3) | instid1(VALU_DEP_1)
	v_fmac_f32_e32 v68, v95, v92
	s_waitcnt_depctr 0xfff
	v_fmac_f32_e32 v68, v82, v93
	s_delay_alu instid0(VALU_DEP_1) | instskip(NEXT) | instid1(VALU_DEP_1)
	v_fmac_f32_e32 v68, v89, v94
	v_add_f32_e32 v90, 0x358637bd, v68
	s_delay_alu instid0(VALU_DEP_1) | instskip(NEXT) | instid1(VALU_DEP_1)
	v_div_scale_f32 v91, null, v90, v90, 1.0
	v_rcp_f32_e32 v92, v91
	s_waitcnt_depctr 0xfff
	v_fma_f32 v93, -v91, v92, 1.0
	s_delay_alu instid0(VALU_DEP_1) | instskip(SKIP_1) | instid1(VALU_DEP_2)
	v_dual_fmac_f32 v92, v93, v92 :: v_dual_cndmask_b32 v93, v100, v99
	v_cmp_eq_u32_e32 vcc_lo, 3, v66
	v_cndmask_b32_e64 v93, v93, v101, s4
	v_cmp_eq_u32_e64 s4, 4, v66
	s_delay_alu instid0(VALU_DEP_2) | instskip(SKIP_1) | instid1(VALU_DEP_2)
	v_cndmask_b32_e32 v93, v93, v102, vcc_lo
	v_cmp_eq_u32_e32 vcc_lo, 5, v66
	v_cndmask_b32_e64 v93, v93, v97, s4
	v_cmp_eq_u32_e64 s4, 6, v66
	s_delay_alu instid0(VALU_DEP_2) | instskip(SKIP_1) | instid1(VALU_DEP_1)
	v_cndmask_b32_e32 v93, v93, v95, vcc_lo
	v_div_scale_f32 v94, s5, 1.0, v90, 1.0
	s_mov_b32 vcc_lo, s5
	s_delay_alu instid0(VALU_DEP_2) | instskip(NEXT) | instid1(VALU_DEP_2)
	v_cndmask_b32_e64 v82, v93, v82, s4
	v_mul_f32_e32 v96, v94, v92
	s_mov_b32 s4, exec_lo
	s_delay_alu instid0(VALU_DEP_2) | instskip(NEXT) | instid1(VALU_DEP_2)
	v_cndmask_b32_e64 v82, v82, v89, s6
	v_fma_f32 v98, -v91, v96, v94
	s_delay_alu instid0(VALU_DEP_1) | instskip(NEXT) | instid1(VALU_DEP_1)
	v_fmac_f32_e32 v96, v98, v92
	v_fma_f32 v91, -v91, v96, v94
	s_delay_alu instid0(VALU_DEP_1) | instskip(NEXT) | instid1(VALU_DEP_1)
	v_div_fmas_f32 v91, v91, v92, v96
	v_div_fixup_f32 v90, v91, v90, 1.0
	s_delay_alu instid0(VALU_DEP_1) | instskip(NEXT) | instid1(VALU_DEP_1)
	v_mul_f32_e32 v82, v82, v90
	v_mul_f32_e32 v87, v82, v87
	;; [unrolled: 1-line block ×7, first 2 shown]
	v_dual_mul_f32 v86, v82, v83 :: v_dual_and_b32 v91, 0x7f800000, v90
	v_mul_f32_e32 v85, v82, v76
                                        ; implicit-def: $vgpr76
	s_delay_alu instid0(VALU_DEP_2)
	v_cmpx_ne_u32_e32 0x7f800000, v91
	s_xor_b32 s4, exec_lo, s4
; %bb.13:
	v_bfe_u32 v76, v90, 16, 1
	s_delay_alu instid0(VALU_DEP_1)
	v_add3_u32 v76, v90, v76, 0x7fff
                                        ; implicit-def: $vgpr90
; %bb.14:
	s_and_not1_saveexec_b32 s4, s4
; %bb.15:
	v_and_b32_e32 v76, 0xffff, v90
	v_or_b32_e32 v83, 0x10000, v90
	s_delay_alu instid0(VALU_DEP_2) | instskip(NEXT) | instid1(VALU_DEP_2)
	v_cmp_eq_u32_e32 vcc_lo, 0, v76
	v_cndmask_b32_e32 v76, v83, v90, vcc_lo
; %bb.16:
	s_or_b32 exec_lo, exec_lo, s4
	v_and_b32_e32 v83, 0x7f800000, v85
	s_delay_alu instid0(VALU_DEP_1) | instskip(SKIP_1) | instid1(SALU_CYCLE_1)
	v_cmp_ne_u32_e32 vcc_lo, 0x7f800000, v83
                                        ; implicit-def: $vgpr83
	s_and_saveexec_b32 s4, vcc_lo
	s_xor_b32 s4, exec_lo, s4
; %bb.17:
	v_bfe_u32 v83, v85, 16, 1
	s_delay_alu instid0(VALU_DEP_1)
	v_add3_u32 v83, v85, v83, 0x7fff
                                        ; implicit-def: $vgpr85
; %bb.18:
	s_and_not1_saveexec_b32 s4, s4
; %bb.19:
	v_and_b32_e32 v83, 0xffff, v85
	v_or_b32_e32 v90, 0x10000, v85
	s_delay_alu instid0(VALU_DEP_2) | instskip(NEXT) | instid1(VALU_DEP_2)
	v_cmp_eq_u32_e32 vcc_lo, 0, v83
	v_cndmask_b32_e32 v83, v90, v85, vcc_lo
; %bb.20:
	s_or_b32 exec_lo, exec_lo, s4
	v_and_b32_e32 v85, 0x7f800000, v86
	s_delay_alu instid0(VALU_DEP_1) | instskip(SKIP_1) | instid1(SALU_CYCLE_1)
	v_cmp_ne_u32_e32 vcc_lo, 0x7f800000, v85
                                        ; implicit-def: $vgpr85
	s_and_saveexec_b32 s4, vcc_lo
	s_xor_b32 s4, exec_lo, s4
; %bb.21:
	v_bfe_u32 v85, v86, 16, 1
	s_delay_alu instid0(VALU_DEP_1)
	v_add3_u32 v85, v86, v85, 0x7fff
                                        ; implicit-def: $vgpr86
; %bb.22:
	s_and_not1_saveexec_b32 s4, s4
; %bb.23:
	v_and_b32_e32 v85, 0xffff, v86
	v_or_b32_e32 v90, 0x10000, v86
	s_delay_alu instid0(VALU_DEP_2) | instskip(NEXT) | instid1(VALU_DEP_2)
	v_cmp_eq_u32_e32 vcc_lo, 0, v85
	v_cndmask_b32_e32 v85, v90, v86, vcc_lo
; %bb.24:
	s_or_b32 exec_lo, exec_lo, s4
	v_and_b32_e32 v86, 0x7f800000, v89
	s_delay_alu instid0(VALU_DEP_1) | instskip(SKIP_1) | instid1(SALU_CYCLE_1)
	v_cmp_ne_u32_e32 vcc_lo, 0x7f800000, v86
                                        ; implicit-def: $vgpr86
	s_and_saveexec_b32 s4, vcc_lo
	s_xor_b32 s4, exec_lo, s4
; %bb.25:
	v_bfe_u32 v86, v89, 16, 1
	s_delay_alu instid0(VALU_DEP_1)
	v_add3_u32 v86, v89, v86, 0x7fff
                                        ; implicit-def: $vgpr89
; %bb.26:
	s_and_not1_saveexec_b32 s4, s4
; %bb.27:
	v_and_b32_e32 v86, 0xffff, v89
	v_or_b32_e32 v90, 0x10000, v89
	s_delay_alu instid0(VALU_DEP_2) | instskip(NEXT) | instid1(VALU_DEP_2)
	v_cmp_eq_u32_e32 vcc_lo, 0, v86
	v_cndmask_b32_e32 v86, v90, v89, vcc_lo
; %bb.28:
	s_or_b32 exec_lo, exec_lo, s4
	v_and_b32_e32 v89, 0x7f800000, v88
	s_delay_alu instid0(VALU_DEP_1) | instskip(SKIP_1) | instid1(SALU_CYCLE_1)
	v_cmp_ne_u32_e32 vcc_lo, 0x7f800000, v89
                                        ; implicit-def: $vgpr89
	s_and_saveexec_b32 s4, vcc_lo
	s_xor_b32 s4, exec_lo, s4
; %bb.29:
	v_bfe_u32 v89, v88, 16, 1
	s_delay_alu instid0(VALU_DEP_1)
	v_add3_u32 v89, v88, v89, 0x7fff
                                        ; implicit-def: $vgpr88
; %bb.30:
	s_and_not1_saveexec_b32 s4, s4
; %bb.31:
	v_and_b32_e32 v89, 0xffff, v88
	v_or_b32_e32 v90, 0x10000, v88
	s_delay_alu instid0(VALU_DEP_2) | instskip(NEXT) | instid1(VALU_DEP_2)
	v_cmp_eq_u32_e32 vcc_lo, 0, v89
	v_cndmask_b32_e32 v89, v90, v88, vcc_lo
; %bb.32:
	s_or_b32 exec_lo, exec_lo, s4
	v_and_b32_e32 v88, 0x7f800000, v87
	s_delay_alu instid0(VALU_DEP_1) | instskip(SKIP_1) | instid1(SALU_CYCLE_1)
	v_cmp_ne_u32_e32 vcc_lo, 0x7f800000, v88
                                        ; implicit-def: $vgpr88
	s_and_saveexec_b32 s4, vcc_lo
	s_xor_b32 s4, exec_lo, s4
; %bb.33:
	v_bfe_u32 v88, v87, 16, 1
	s_delay_alu instid0(VALU_DEP_1)
	v_add3_u32 v88, v87, v88, 0x7fff
                                        ; implicit-def: $vgpr87
; %bb.34:
	s_and_not1_saveexec_b32 s4, s4
; %bb.35:
	v_and_b32_e32 v88, 0xffff, v87
	v_or_b32_e32 v90, 0x10000, v87
	s_delay_alu instid0(VALU_DEP_2) | instskip(NEXT) | instid1(VALU_DEP_2)
	v_cmp_eq_u32_e32 vcc_lo, 0, v88
	v_cndmask_b32_e32 v88, v90, v87, vcc_lo
; %bb.36:
	s_or_b32 exec_lo, exec_lo, s4
	v_and_b32_e32 v87, 0x7f800000, v84
	s_delay_alu instid0(VALU_DEP_1) | instskip(SKIP_1) | instid1(SALU_CYCLE_1)
	v_cmp_ne_u32_e32 vcc_lo, 0x7f800000, v87
                                        ; implicit-def: $vgpr87
	s_and_saveexec_b32 s4, vcc_lo
	s_xor_b32 s4, exec_lo, s4
; %bb.37:
	v_bfe_u32 v87, v84, 16, 1
	s_delay_alu instid0(VALU_DEP_1)
	v_add3_u32 v87, v84, v87, 0x7fff
                                        ; implicit-def: $vgpr84
; %bb.38:
	s_and_not1_saveexec_b32 s4, s4
; %bb.39:
	v_and_b32_e32 v87, 0xffff, v84
	v_or_b32_e32 v90, 0x10000, v84
	s_delay_alu instid0(VALU_DEP_2) | instskip(NEXT) | instid1(VALU_DEP_2)
	v_cmp_eq_u32_e32 vcc_lo, 0, v87
	v_cndmask_b32_e32 v87, v90, v84, vcc_lo
; %bb.40:
	s_or_b32 exec_lo, exec_lo, s4
	v_and_b32_e32 v84, 0x7f800000, v80
	s_delay_alu instid0(VALU_DEP_1) | instskip(SKIP_1) | instid1(SALU_CYCLE_1)
	v_cmp_ne_u32_e32 vcc_lo, 0x7f800000, v84
                                        ; implicit-def: $vgpr84
	s_and_saveexec_b32 s4, vcc_lo
	s_xor_b32 s4, exec_lo, s4
; %bb.41:
	v_bfe_u32 v84, v80, 16, 1
	s_delay_alu instid0(VALU_DEP_1)
	v_add3_u32 v84, v80, v84, 0x7fff
                                        ; implicit-def: $vgpr80
; %bb.42:
	s_and_not1_saveexec_b32 s4, s4
; %bb.43:
	v_and_b32_e32 v84, 0xffff, v80
	v_or_b32_e32 v90, 0x10000, v80
	s_delay_alu instid0(VALU_DEP_2) | instskip(NEXT) | instid1(VALU_DEP_2)
	v_cmp_eq_u32_e32 vcc_lo, 0, v84
	v_cndmask_b32_e32 v84, v90, v80, vcc_lo
; %bb.44:
	s_or_b32 exec_lo, exec_lo, s4
	s_load_b64 s[36:37], s[0:1], 0x94
	v_lshlrev_b32_e32 v91, 4, v74
	s_delay_alu instid0(VALU_DEP_2)
	v_perm_b32 v90, v84, v87, 0x7060302
	v_dual_mul_f32 v79, v82, v79 :: v_dual_lshlrev_b32 v80, 6, v65
	v_dual_mul_f32 v77, v82, v77 :: v_dual_lshlrev_b32 v92, 11, v66
	v_mul_f32_e32 v84, v82, v70
	v_perm_b32 v89, v88, v89, 0x7060302
	v_perm_b32 v88, v86, v85, 0x7060302
	;; [unrolled: 1-line block ×3, first 2 shown]
	v_mul_f32_e32 v70, v82, v81
	v_or3_b32 v76, v91, v92, v80
	v_dual_mul_f32 v78, v82, v78 :: v_dual_and_b32 v85, 0x7f800000, v84
	v_mul_f32_e32 v83, v82, v72
	v_mul_f32_e32 v81, v82, v71
	v_mul_f32_e32 v72, v82, v69
	s_mov_b32 s4, exec_lo
	ds_store_b128 v76, v[87:90]
                                        ; implicit-def: $vgpr69
	v_cmpx_ne_u32_e32 0x7f800000, v85
	s_xor_b32 s4, exec_lo, s4
; %bb.45:
	v_bfe_u32 v69, v84, 16, 1
	s_delay_alu instid0(VALU_DEP_1)
	v_add3_u32 v69, v84, v69, 0x7fff
                                        ; implicit-def: $vgpr84
; %bb.46:
	s_and_not1_saveexec_b32 s4, s4
; %bb.47:
	v_and_b32_e32 v69, 0xffff, v84
	v_or_b32_e32 v71, 0x10000, v84
	s_delay_alu instid0(VALU_DEP_2) | instskip(NEXT) | instid1(VALU_DEP_2)
	v_cmp_eq_u32_e32 vcc_lo, 0, v69
	v_cndmask_b32_e32 v69, v71, v84, vcc_lo
; %bb.48:
	s_or_b32 exec_lo, exec_lo, s4
	v_and_b32_e32 v71, 0x7f800000, v72
	s_delay_alu instid0(VALU_DEP_1) | instskip(SKIP_1) | instid1(SALU_CYCLE_1)
	v_cmp_ne_u32_e32 vcc_lo, 0x7f800000, v71
                                        ; implicit-def: $vgpr71
	s_and_saveexec_b32 s4, vcc_lo
	s_xor_b32 s4, exec_lo, s4
; %bb.49:
	v_bfe_u32 v71, v72, 16, 1
	s_delay_alu instid0(VALU_DEP_1)
	v_add3_u32 v71, v72, v71, 0x7fff
                                        ; implicit-def: $vgpr72
; %bb.50:
	s_and_not1_saveexec_b32 s4, s4
; %bb.51:
	v_and_b32_e32 v71, 0xffff, v72
	v_or_b32_e32 v82, 0x10000, v72
	s_delay_alu instid0(VALU_DEP_2) | instskip(NEXT) | instid1(VALU_DEP_2)
	v_cmp_eq_u32_e32 vcc_lo, 0, v71
	v_cndmask_b32_e32 v71, v82, v72, vcc_lo
; %bb.52:
	s_or_b32 exec_lo, exec_lo, s4
	v_and_b32_e32 v72, 0x7f800000, v81
	s_delay_alu instid0(VALU_DEP_1) | instskip(SKIP_1) | instid1(SALU_CYCLE_1)
	v_cmp_ne_u32_e32 vcc_lo, 0x7f800000, v72
                                        ; implicit-def: $vgpr72
	s_and_saveexec_b32 s4, vcc_lo
	s_xor_b32 s4, exec_lo, s4
; %bb.53:
	v_bfe_u32 v72, v81, 16, 1
	s_delay_alu instid0(VALU_DEP_1)
	v_add3_u32 v72, v81, v72, 0x7fff
                                        ; implicit-def: $vgpr81
; %bb.54:
	s_and_not1_saveexec_b32 s4, s4
; %bb.55:
	v_and_b32_e32 v72, 0xffff, v81
	v_or_b32_e32 v82, 0x10000, v81
	s_delay_alu instid0(VALU_DEP_2) | instskip(NEXT) | instid1(VALU_DEP_2)
	v_cmp_eq_u32_e32 vcc_lo, 0, v72
	v_cndmask_b32_e32 v72, v82, v81, vcc_lo
; %bb.56:
	s_or_b32 exec_lo, exec_lo, s4
	v_and_b32_e32 v81, 0x7f800000, v83
	s_delay_alu instid0(VALU_DEP_1) | instskip(SKIP_1) | instid1(SALU_CYCLE_1)
	v_cmp_ne_u32_e32 vcc_lo, 0x7f800000, v81
                                        ; implicit-def: $vgpr81
	s_and_saveexec_b32 s4, vcc_lo
	s_xor_b32 s4, exec_lo, s4
; %bb.57:
	v_bfe_u32 v81, v83, 16, 1
	s_delay_alu instid0(VALU_DEP_1)
	v_add3_u32 v81, v83, v81, 0x7fff
                                        ; implicit-def: $vgpr83
; %bb.58:
	s_and_not1_saveexec_b32 s4, s4
; %bb.59:
	v_and_b32_e32 v81, 0xffff, v83
	v_or_b32_e32 v82, 0x10000, v83
	s_delay_alu instid0(VALU_DEP_2) | instskip(NEXT) | instid1(VALU_DEP_2)
	v_cmp_eq_u32_e32 vcc_lo, 0, v81
	v_cndmask_b32_e32 v81, v82, v83, vcc_lo
; %bb.60:
	s_or_b32 exec_lo, exec_lo, s4
	v_and_b32_e32 v82, 0x7f800000, v77
	s_delay_alu instid0(VALU_DEP_1) | instskip(SKIP_1) | instid1(SALU_CYCLE_1)
	v_cmp_ne_u32_e32 vcc_lo, 0x7f800000, v82
                                        ; implicit-def: $vgpr82
	s_and_saveexec_b32 s4, vcc_lo
	s_xor_b32 s4, exec_lo, s4
; %bb.61:
	v_bfe_u32 v82, v77, 16, 1
	s_delay_alu instid0(VALU_DEP_1)
	v_add3_u32 v82, v77, v82, 0x7fff
                                        ; implicit-def: $vgpr77
; %bb.62:
	s_and_not1_saveexec_b32 s4, s4
; %bb.63:
	v_and_b32_e32 v82, 0xffff, v77
	v_or_b32_e32 v83, 0x10000, v77
	s_delay_alu instid0(VALU_DEP_2) | instskip(NEXT) | instid1(VALU_DEP_2)
	v_cmp_eq_u32_e32 vcc_lo, 0, v82
	v_cndmask_b32_e32 v82, v83, v77, vcc_lo
; %bb.64:
	s_or_b32 exec_lo, exec_lo, s4
	v_and_b32_e32 v77, 0x7f800000, v78
	s_delay_alu instid0(VALU_DEP_1) | instskip(SKIP_1) | instid1(SALU_CYCLE_1)
	v_cmp_ne_u32_e32 vcc_lo, 0x7f800000, v77
                                        ; implicit-def: $vgpr77
	s_and_saveexec_b32 s4, vcc_lo
	s_xor_b32 s4, exec_lo, s4
; %bb.65:
	v_bfe_u32 v77, v78, 16, 1
	s_delay_alu instid0(VALU_DEP_1)
	v_add3_u32 v77, v78, v77, 0x7fff
                                        ; implicit-def: $vgpr78
; %bb.66:
	s_and_not1_saveexec_b32 s4, s4
; %bb.67:
	v_and_b32_e32 v77, 0xffff, v78
	v_or_b32_e32 v83, 0x10000, v78
	s_delay_alu instid0(VALU_DEP_2) | instskip(NEXT) | instid1(VALU_DEP_2)
	v_cmp_eq_u32_e32 vcc_lo, 0, v77
	v_cndmask_b32_e32 v77, v83, v78, vcc_lo
; %bb.68:
	s_or_b32 exec_lo, exec_lo, s4
	v_and_b32_e32 v78, 0x7f800000, v79
	s_delay_alu instid0(VALU_DEP_1) | instskip(SKIP_1) | instid1(SALU_CYCLE_1)
	v_cmp_ne_u32_e32 vcc_lo, 0x7f800000, v78
                                        ; implicit-def: $vgpr78
	s_and_saveexec_b32 s4, vcc_lo
	s_xor_b32 s4, exec_lo, s4
; %bb.69:
	v_bfe_u32 v78, v79, 16, 1
	s_delay_alu instid0(VALU_DEP_1)
	v_add3_u32 v78, v79, v78, 0x7fff
                                        ; implicit-def: $vgpr79
; %bb.70:
	s_and_not1_saveexec_b32 s4, s4
; %bb.71:
	v_and_b32_e32 v78, 0xffff, v79
	v_or_b32_e32 v83, 0x10000, v79
	s_delay_alu instid0(VALU_DEP_2) | instskip(NEXT) | instid1(VALU_DEP_2)
	v_cmp_eq_u32_e32 vcc_lo, 0, v78
	v_cndmask_b32_e32 v78, v83, v79, vcc_lo
; %bb.72:
	s_or_b32 exec_lo, exec_lo, s4
	v_and_b32_e32 v79, 0x7f800000, v70
	s_delay_alu instid0(VALU_DEP_1) | instskip(SKIP_1) | instid1(SALU_CYCLE_1)
	v_cmp_ne_u32_e32 vcc_lo, 0x7f800000, v79
                                        ; implicit-def: $vgpr79
	s_and_saveexec_b32 s4, vcc_lo
	s_xor_b32 s4, exec_lo, s4
; %bb.73:
	v_bfe_u32 v79, v70, 16, 1
	s_delay_alu instid0(VALU_DEP_1)
	v_add3_u32 v79, v70, v79, 0x7fff
                                        ; implicit-def: $vgpr70
; %bb.74:
	s_and_not1_saveexec_b32 s4, s4
; %bb.75:
	v_and_b32_e32 v79, 0xffff, v70
	v_or_b32_e32 v83, 0x10000, v70
	s_delay_alu instid0(VALU_DEP_2) | instskip(NEXT) | instid1(VALU_DEP_2)
	v_cmp_eq_u32_e32 vcc_lo, 0, v79
	v_cndmask_b32_e32 v79, v83, v70, vcc_lo
; %bb.76:
	s_or_b32 exec_lo, exec_lo, s4
	s_delay_alu instid0(VALU_DEP_1)
	v_perm_b32 v86, v79, v78, 0x7060302
	v_perm_b32 v85, v77, v82, 0x7060302
	;; [unrolled: 1-line block ×4, first 2 shown]
	v_lshl_or_b32 v82, v66, 11, v80
	ds_store_b128 v76, v[83:86] offset:1024
	s_waitcnt lgkmcnt(0)
	s_barrier
	buffer_gl0_inv
	ds_load_b128 v[69:72], v82
	ds_load_b128 v[83:86], v82 offset:16
	s_waitcnt lgkmcnt(1)
	v_lshrrev_b32_e32 v66, 16, v69
	s_waitcnt lgkmcnt(0)
	v_lshrrev_b32_e32 v91, 16, v83
	v_lshlrev_b32_e32 v78, 2, v74
	v_lshrrev_b32_e32 v95, 16, v70
	v_lshrrev_b32_e32 v98, 16, v84
	;; [unrolled: 1-line block ×4, first 2 shown]
	v_cmp_eq_u32_e32 vcc_lo, 1, v78
	v_lshrrev_b32_e32 v97, 16, v72
	v_lshrrev_b32_e32 v100, 16, v86
	v_cndmask_b32_e32 v87, v83, v91, vcc_lo
	v_or_b32_e32 v79, 1, v78
	v_cndmask_b32_e32 v81, v69, v66, vcc_lo
	v_cmp_eq_u32_e64 s5, 2, v78
	v_cmp_eq_u32_e64 s8, 3, v78
	;; [unrolled: 1-line block ×5, first 2 shown]
	v_cndmask_b32_e64 v81, v81, v70, s5
	v_cndmask_b32_e64 v87, v87, v84, s5
	v_cmp_eq_u32_e64 s9, 3, v79
	v_cndmask_b32_e64 v88, v69, v66, s4
	v_or_b32_e32 v77, 2, v78
	v_cndmask_b32_e64 v81, v81, v95, s8
	v_cndmask_b32_e64 v87, v87, v98, s8
	;; [unrolled: 1-line block ×4, first 2 shown]
	v_cmp_eq_u32_e64 s11, 5, v78
	v_cndmask_b32_e64 v81, v81, v71, s10
	v_cndmask_b32_e64 v87, v87, v85, s10
	v_cmp_eq_u32_e64 s12, 4, v79
	v_cndmask_b32_e64 v88, v88, v95, s9
	v_cmp_eq_u32_e64 s6, 1, v77
	v_cndmask_b32_e64 v89, v89, v84, s7
	v_cndmask_b32_e64 v81, v81, v96, s11
	v_cmp_eq_u32_e64 s13, 6, v78
	v_cndmask_b32_e64 v88, v88, v71, s12
	;; [unrolled: 3-line block ×3, first 2 shown]
	v_cndmask_b32_e64 v89, v89, v98, s9
	v_cndmask_b32_e64 v81, v81, v72, s13
	v_cmp_eq_u32_e64 s16, 7, v78
	v_cndmask_b32_e64 v88, v88, v96, s15
	v_cndmask_b32_e64 v87, v87, v86, s13
	v_cmp_eq_u32_e64 s17, 6, v79
	v_cmp_eq_u32_e64 s18, 2, v77
	v_cndmask_b32_e64 v89, v89, v85, s12
	v_cndmask_b32_e64 v101, v81, v97, s16
	;; [unrolled: 1-line block ×6, first 2 shown]
	v_cmp_eq_u32_e64 s19, 7, v79
	v_cmp_eq_u32_e64 s20, 3, v77
	;; [unrolled: 1-line block ×4, first 2 shown]
	v_cndmask_b32_e64 v87, v87, v84, s18
	v_cndmask_b32_e64 v103, v88, v97, s19
	;; [unrolled: 1-line block ×4, first 2 shown]
	v_or_b32_e32 v81, 3, v78
	v_cndmask_b32_e64 v93, v87, v98, s20
	v_cmp_eq_u32_e64 s25, 6, v77
	v_cndmask_b32_e64 v104, v88, v86, s17
	v_cndmask_b32_e64 v92, v89, v71, s21
	v_cmp_eq_u32_e64 s22, 1, v81
	ds_load_b128 v[87:90], v82 offset:1024
	v_cmp_eq_u32_e64 s24, 2, v81
	v_cmp_eq_u32_e64 s26, 3, v81
	v_cndmask_b32_e64 v105, v92, v96, s23
	v_cndmask_b32_e64 v66, v69, v66, s22
	;; [unrolled: 1-line block ×4, first 2 shown]
	ds_load_b128 v[91:94], v82 offset:1040
	v_cmp_eq_u32_e64 s27, 4, v81
	v_cndmask_b32_e64 v66, v66, v70, s24
	v_cmp_eq_u32_e64 s28, 7, v77
	v_cndmask_b32_e64 v70, v83, v84, s24
	v_cndmask_b32_e64 v84, v105, v72, s25
	v_cmp_eq_u32_e64 s29, 5, v81
	v_cndmask_b32_e64 v66, v66, v95, s26
	v_cmp_eq_u32_e64 s30, 6, v81
	v_cndmask_b32_e64 v70, v70, v98, s26
	v_cndmask_b32_e64 v69, v69, v99, s23
	;; [unrolled: 1-line block ×4, first 2 shown]
	s_waitcnt lgkmcnt(1)
	v_lshrrev_b32_e32 v95, 16, v87
	v_cndmask_b32_e64 v70, v70, v85, s27
	v_cndmask_b32_e64 v71, v84, v97, s28
	;; [unrolled: 1-line block ×4, first 2 shown]
	v_cndmask_b32_e32 v84, v87, v95, vcc_lo
	v_cndmask_b32_e64 v70, v70, v99, s29
	s_waitcnt lgkmcnt(0)
	v_lshrrev_b32_e32 v85, 16, v91
	v_lshrrev_b32_e32 v96, 16, v88
	v_cndmask_b32_e64 v98, v87, v95, s4
	v_cndmask_b32_e64 v84, v84, v88, s5
	;; [unrolled: 1-line block ×3, first 2 shown]
	v_cndmask_b32_e32 v99, v91, v85, vcc_lo
	v_cmp_eq_u32_e32 vcc_lo, 7, v81
	v_cndmask_b32_e64 v66, v66, v72, s30
	v_cndmask_b32_e64 v72, v84, v96, s8
	;; [unrolled: 1-line block ×3, first 2 shown]
	v_lshrrev_b32_e32 v98, 16, v92
	v_cndmask_b32_e32 v70, v70, v100, vcc_lo
	v_cndmask_b32_e64 v86, v99, v92, s5
	v_cndmask_b32_e64 v69, v69, v100, s28
	v_lshrrev_b32_e32 v100, 16, v93
	v_cndmask_b32_e64 v72, v72, v89, s10
	v_lshrrev_b32_e32 v99, 16, v89
	v_cndmask_b32_e64 v86, v86, v98, s8
	v_perm_b32 v71, v69, v71, 0x5040100
	v_cndmask_b32_e64 v84, v84, v96, s9
	s_delay_alu instid0(VALU_DEP_3) | instskip(NEXT) | instid1(VALU_DEP_2)
	v_cndmask_b32_e64 v86, v86, v93, s10
	v_cndmask_b32_e64 v84, v84, v89, s12
	s_delay_alu instid0(VALU_DEP_2) | instskip(NEXT) | instid1(VALU_DEP_1)
	v_cndmask_b32_e64 v86, v86, v100, s11
	v_cndmask_b32_e64 v69, v86, v94, s13
	;; [unrolled: 1-line block ×5, first 2 shown]
	s_delay_alu instid0(VALU_DEP_3) | instskip(NEXT) | instid1(VALU_DEP_3)
	v_cndmask_b32_e64 v86, v86, v88, s18
	v_cndmask_b32_e64 v87, v87, v88, s24
	s_delay_alu instid0(VALU_DEP_3) | instskip(NEXT) | instid1(VALU_DEP_3)
	v_cndmask_b32_e64 v88, v95, v92, s24
	v_cndmask_b32_e64 v86, v86, v96, s20
	;; [unrolled: 3-line block ×7, first 2 shown]
	s_delay_alu instid0(VALU_DEP_3) | instskip(SKIP_2) | instid1(VALU_DEP_2)
	v_cndmask_b32_e64 v88, v88, v94, s30
	v_cndmask_b32_e32 v66, v66, v97, vcc_lo
	v_cndmask_b32_e64 v97, v72, v99, s11
	v_perm_b32 v72, v70, v66, 0x5040100
	v_perm_b32 v70, v83, v103, 0x5040100
	v_cndmask_b32_e64 v103, v91, v85, s6
	v_cndmask_b32_e64 v85, v91, v85, s4
	;; [unrolled: 1-line block ×4, first 2 shown]
	v_lshrrev_b32_e32 v97, 16, v90
	v_cndmask_b32_e64 v91, v103, v92, s18
	v_cndmask_b32_e64 v85, v85, v92, s7
	;; [unrolled: 1-line block ×3, first 2 shown]
	s_mov_b32 s4, exec_lo
	v_cndmask_b32_e64 v83, v84, v97, s16
	v_cndmask_b32_e64 v91, v91, v98, s20
	;; [unrolled: 1-line block ×3, first 2 shown]
	v_lshrrev_b32_e32 v84, 16, v94
	v_cndmask_b32_e64 v66, v66, v97, s19
	v_cndmask_b32_e64 v90, v86, v97, s28
	;; [unrolled: 1-line block ×4, first 2 shown]
	v_dual_cndmask_b32 v86, v87, v97 :: v_dual_cndmask_b32 v87, v88, v84
	v_cndmask_b32_e64 v91, v69, v84, s16
	s_delay_alu instid0(VALU_DEP_4) | instskip(NEXT) | instid1(VALU_DEP_4)
	v_cndmask_b32_e64 v89, v89, v100, s23
	v_cndmask_b32_e64 v85, v85, v100, s15
	v_perm_b32 v69, v102, v101, 0x5040100
	v_perm_b32 v86, v87, v86, 0x5040100
	;; [unrolled: 1-line block ×3, first 2 shown]
	v_cndmask_b32_e64 v89, v89, v94, s25
	v_cndmask_b32_e64 v85, v85, v94, s17
	s_mul_i32 s9, s37, 11
	s_delay_alu instid0(VALU_DEP_2) | instskip(NEXT) | instid1(VALU_DEP_2)
	v_cndmask_b32_e64 v88, v89, v84, s28
	v_cndmask_b32_e64 v89, v85, v84, s19
	s_delay_alu instid0(VALU_DEP_2) | instskip(NEXT) | instid1(VALU_DEP_2)
	v_perm_b32 v85, v88, v90, 0x5040100
	v_perm_b32 v84, v89, v66, 0x5040100
	ds_store_b128 v76, v[69:72]
	ds_store_b128 v76, v[83:86] offset:1024
	v_cmpx_gt_u32_e32 11, v0
	s_cbranch_execz .LBB1476_78
; %bb.77:
	s_mul_i32 s5, s9, s34
	s_load_b128 s[16:19], s[0:1], 0x58
	v_add3_u32 v69, s5, s31, v65
	s_delay_alu instid0(VALU_DEP_1) | instskip(NEXT) | instid1(VALU_DEP_1)
	v_mad_u64_u32 v[65:66], null, v69, s36, s[14:15]
	v_ashrrev_i32_e32 v66, 31, v65
	s_delay_alu instid0(VALU_DEP_1) | instskip(SKIP_1) | instid1(VALU_DEP_1)
	v_lshlrev_b64 v[65:66], 2, v[65:66]
	s_waitcnt lgkmcnt(0)
	v_add_co_u32 v69, vcc_lo, s18, v65
	s_delay_alu instid0(VALU_DEP_2)
	v_add_co_ci_u32_e32 v70, vcc_lo, s19, v66, vcc_lo
	v_add_co_u32 v65, vcc_lo, s16, v65
	v_add_co_ci_u32_e32 v66, vcc_lo, s17, v66, vcc_lo
	global_store_b32 v[69:70], v67, off
	global_store_b32 v[65:66], v68, off
.LBB1476_78:
	s_or_b32 exec_lo, exec_lo, s4
	s_waitcnt lgkmcnt(0)
	s_waitcnt_vscnt null, 0x0
	s_barrier
	buffer_gl0_inv
	ds_load_b128 v[83:86], v80
	ds_load_b128 v[87:90], v80 offset:16
	ds_load_b128 v[95:98], v80 offset:2064
	;; [unrolled: 1-line block ×3, first 2 shown]
	v_mov_b32_e32 v65, 0
	ds_load_b128 v[103:106], v80 offset:4112
	ds_load_b128 v[99:102], v80 offset:4096
	;; [unrolled: 1-line block ×4, first 2 shown]
	v_mov_b32_e32 v66, v65
	v_mov_b32_e32 v67, v65
	;; [unrolled: 1-line block ×7, first 2 shown]
	s_waitcnt lgkmcnt(6)
	s_delay_alu instid0(VALU_DEP_1)
	v_wmma_f32_16x16x16_bf16 v[65:72], v[57:64], v[83:90], v[65:72]
	ds_load_b128 v[61:64], v80 offset:8208
	ds_load_b128 v[57:60], v80 offset:8192
	s_waitcnt lgkmcnt(6)
	v_wmma_f32_16x16x16_bf16 v[65:72], v[41:48], v[91:98], v[65:72]
	ds_load_b128 v[45:48], v80 offset:10256
	ds_load_b128 v[41:44], v80 offset:10240
	s_waitcnt lgkmcnt(6)
	;; [unrolled: 4-line block ×4, first 2 shown]
	v_wmma_f32_16x16x16_bf16 v[65:72], v[1:8], v[57:64], v[65:72]
	s_waitcnt lgkmcnt(4)
	s_delay_alu instid0(VALU_DEP_1) | instskip(SKIP_1) | instid1(VALU_DEP_1)
	v_wmma_f32_16x16x16_bf16 v[65:72], v[9:16], v[41:48], v[65:72]
	s_waitcnt lgkmcnt(2)
	v_wmma_f32_16x16x16_bf16 v[65:72], v[17:24], v[33:40], v[65:72]
	s_waitcnt lgkmcnt(0)
	s_delay_alu instid0(VALU_DEP_1) | instskip(NEXT) | instid1(VALU_DEP_1)
	v_wmma_f32_16x16x16_bf16 v[65:72], v[49:56], v[25:32], v[65:72]
	v_and_b32_e32 v1, 0x7f800000, v65
	s_delay_alu instid0(VALU_DEP_1) | instskip(SKIP_1) | instid1(SALU_CYCLE_1)
	v_cmp_ne_u32_e32 vcc_lo, 0x7f800000, v1
                                        ; implicit-def: $vgpr1
	s_and_saveexec_b32 s4, vcc_lo
	s_xor_b32 s4, exec_lo, s4
; %bb.79:
	v_bfe_u32 v1, v65, 16, 1
	s_delay_alu instid0(VALU_DEP_1)
	v_add3_u32 v1, v65, v1, 0x7fff
; %bb.80:
	s_and_not1_saveexec_b32 s4, s4
; %bb.81:
	v_and_b32_e32 v1, 0xffff, v65
	v_or_b32_e32 v2, 0x10000, v65
	s_delay_alu instid0(VALU_DEP_2) | instskip(NEXT) | instid1(VALU_DEP_2)
	v_cmp_eq_u32_e32 vcc_lo, 0, v1
	v_cndmask_b32_e32 v1, v2, v65, vcc_lo
; %bb.82:
	s_or_b32 exec_lo, exec_lo, s4
	v_and_b32_e32 v2, 0x7f800000, v66
	s_delay_alu instid0(VALU_DEP_1) | instskip(SKIP_1) | instid1(SALU_CYCLE_1)
	v_cmp_ne_u32_e32 vcc_lo, 0x7f800000, v2
                                        ; implicit-def: $vgpr2
	s_and_saveexec_b32 s4, vcc_lo
	s_xor_b32 s4, exec_lo, s4
; %bb.83:
	v_bfe_u32 v2, v66, 16, 1
	s_delay_alu instid0(VALU_DEP_1)
	v_add3_u32 v2, v66, v2, 0x7fff
; %bb.84:
	s_and_not1_saveexec_b32 s4, s4
; %bb.85:
	v_and_b32_e32 v2, 0xffff, v66
	v_or_b32_e32 v3, 0x10000, v66
	s_delay_alu instid0(VALU_DEP_2) | instskip(NEXT) | instid1(VALU_DEP_2)
	v_cmp_eq_u32_e32 vcc_lo, 0, v2
	v_cndmask_b32_e32 v2, v3, v66, vcc_lo
; %bb.86:
	s_or_b32 exec_lo, exec_lo, s4
	v_and_b32_e32 v3, 0x7f800000, v67
	s_delay_alu instid0(VALU_DEP_1) | instskip(SKIP_1) | instid1(SALU_CYCLE_1)
	v_cmp_ne_u32_e32 vcc_lo, 0x7f800000, v3
                                        ; implicit-def: $vgpr3
	s_and_saveexec_b32 s4, vcc_lo
	s_xor_b32 s4, exec_lo, s4
; %bb.87:
	v_bfe_u32 v3, v67, 16, 1
	s_delay_alu instid0(VALU_DEP_1)
	v_add3_u32 v3, v67, v3, 0x7fff
; %bb.88:
	s_and_not1_saveexec_b32 s4, s4
; %bb.89:
	v_and_b32_e32 v3, 0xffff, v67
	v_or_b32_e32 v4, 0x10000, v67
	s_delay_alu instid0(VALU_DEP_2) | instskip(NEXT) | instid1(VALU_DEP_2)
	v_cmp_eq_u32_e32 vcc_lo, 0, v3
	v_cndmask_b32_e32 v3, v4, v67, vcc_lo
; %bb.90:
	s_or_b32 exec_lo, exec_lo, s4
	v_and_b32_e32 v4, 0x7f800000, v68
	s_delay_alu instid0(VALU_DEP_1) | instskip(SKIP_1) | instid1(SALU_CYCLE_1)
	v_cmp_ne_u32_e32 vcc_lo, 0x7f800000, v4
                                        ; implicit-def: $vgpr4
	s_and_saveexec_b32 s4, vcc_lo
	s_xor_b32 s4, exec_lo, s4
; %bb.91:
	v_bfe_u32 v4, v68, 16, 1
	s_delay_alu instid0(VALU_DEP_1)
	v_add3_u32 v4, v68, v4, 0x7fff
; %bb.92:
	s_and_not1_saveexec_b32 s4, s4
; %bb.93:
	v_and_b32_e32 v4, 0xffff, v68
	v_or_b32_e32 v5, 0x10000, v68
	s_delay_alu instid0(VALU_DEP_2) | instskip(NEXT) | instid1(VALU_DEP_2)
	v_cmp_eq_u32_e32 vcc_lo, 0, v4
	v_cndmask_b32_e32 v4, v5, v68, vcc_lo
; %bb.94:
	s_or_b32 exec_lo, exec_lo, s4
	v_and_b32_e32 v5, 0x7f800000, v69
	s_delay_alu instid0(VALU_DEP_1) | instskip(SKIP_1) | instid1(SALU_CYCLE_1)
	v_cmp_ne_u32_e32 vcc_lo, 0x7f800000, v5
                                        ; implicit-def: $vgpr5
	s_and_saveexec_b32 s4, vcc_lo
	s_xor_b32 s4, exec_lo, s4
; %bb.95:
	v_bfe_u32 v5, v69, 16, 1
	s_delay_alu instid0(VALU_DEP_1)
	v_add3_u32 v5, v69, v5, 0x7fff
; %bb.96:
	s_and_not1_saveexec_b32 s4, s4
; %bb.97:
	v_and_b32_e32 v5, 0xffff, v69
	v_or_b32_e32 v6, 0x10000, v69
	s_delay_alu instid0(VALU_DEP_2) | instskip(NEXT) | instid1(VALU_DEP_2)
	v_cmp_eq_u32_e32 vcc_lo, 0, v5
	v_cndmask_b32_e32 v5, v6, v69, vcc_lo
; %bb.98:
	s_or_b32 exec_lo, exec_lo, s4
	v_and_b32_e32 v6, 0x7f800000, v70
	s_delay_alu instid0(VALU_DEP_1) | instskip(SKIP_1) | instid1(SALU_CYCLE_1)
	v_cmp_ne_u32_e32 vcc_lo, 0x7f800000, v6
                                        ; implicit-def: $vgpr6
	s_and_saveexec_b32 s4, vcc_lo
	s_xor_b32 s4, exec_lo, s4
; %bb.99:
	v_bfe_u32 v6, v70, 16, 1
	s_delay_alu instid0(VALU_DEP_1)
	v_add3_u32 v6, v70, v6, 0x7fff
; %bb.100:
	s_and_not1_saveexec_b32 s4, s4
; %bb.101:
	v_and_b32_e32 v6, 0xffff, v70
	v_or_b32_e32 v7, 0x10000, v70
	s_delay_alu instid0(VALU_DEP_2) | instskip(NEXT) | instid1(VALU_DEP_2)
	v_cmp_eq_u32_e32 vcc_lo, 0, v6
	v_cndmask_b32_e32 v6, v7, v70, vcc_lo
; %bb.102:
	s_or_b32 exec_lo, exec_lo, s4
	v_and_b32_e32 v7, 0x7f800000, v71
	s_delay_alu instid0(VALU_DEP_1) | instskip(SKIP_1) | instid1(SALU_CYCLE_1)
	v_cmp_ne_u32_e32 vcc_lo, 0x7f800000, v7
                                        ; implicit-def: $vgpr7
	s_and_saveexec_b32 s4, vcc_lo
	s_xor_b32 s4, exec_lo, s4
; %bb.103:
	v_bfe_u32 v7, v71, 16, 1
	s_delay_alu instid0(VALU_DEP_1)
	v_add3_u32 v7, v71, v7, 0x7fff
; %bb.104:
	s_and_not1_saveexec_b32 s4, s4
; %bb.105:
	v_and_b32_e32 v7, 0xffff, v71
	v_or_b32_e32 v8, 0x10000, v71
	s_delay_alu instid0(VALU_DEP_2) | instskip(NEXT) | instid1(VALU_DEP_2)
	v_cmp_eq_u32_e32 vcc_lo, 0, v7
	v_cndmask_b32_e32 v7, v8, v71, vcc_lo
; %bb.106:
	s_or_b32 exec_lo, exec_lo, s4
	v_and_b32_e32 v8, 0x7f800000, v72
	s_delay_alu instid0(VALU_DEP_1) | instskip(SKIP_1) | instid1(SALU_CYCLE_1)
	v_cmp_ne_u32_e32 vcc_lo, 0x7f800000, v8
                                        ; implicit-def: $vgpr8
	s_and_saveexec_b32 s4, vcc_lo
	s_xor_b32 s4, exec_lo, s4
; %bb.107:
	v_bfe_u32 v8, v72, 16, 1
	s_delay_alu instid0(VALU_DEP_1)
	v_add3_u32 v8, v72, v8, 0x7fff
                                        ; implicit-def: $vgpr65_vgpr66_vgpr67_vgpr68_vgpr69_vgpr70_vgpr71_vgpr72
; %bb.108:
	s_and_not1_saveexec_b32 s4, s4
; %bb.109:
	v_and_b32_e32 v8, 0xffff, v72
	v_or_b32_e32 v9, 0x10000, v72
	s_delay_alu instid0(VALU_DEP_2) | instskip(NEXT) | instid1(VALU_DEP_2)
	v_cmp_eq_u32_e32 vcc_lo, 0, v8
	v_cndmask_b32_e32 v8, v9, v72, vcc_lo
; %bb.110:
	s_or_b32 exec_lo, exec_lo, s4
	s_delay_alu instid0(VALU_DEP_1)
	v_perm_b32 v7, v8, v7, 0x7060302
	v_perm_b32 v6, v6, v5, 0x7060302
	;; [unrolled: 1-line block ×4, first 2 shown]
	s_barrier
	buffer_gl0_inv
	v_cmp_eq_u32_e32 vcc_lo, 1, v78
	ds_store_b128 v76, v[4:7]
	s_waitcnt lgkmcnt(0)
	s_barrier
	buffer_gl0_inv
	ds_load_b128 v[1:4], v82
	ds_load_b128 v[5:8], v82 offset:16
	v_cmp_eq_u32_e64 s4, 1, v79
	v_cmp_eq_u32_e64 s5, 2, v78
	;; [unrolled: 1-line block ×5, first 2 shown]
	s_waitcnt lgkmcnt(1)
	v_lshrrev_b32_e32 v9, 16, v1
	s_waitcnt lgkmcnt(0)
	v_lshrrev_b32_e32 v13, 16, v5
	v_lshrrev_b32_e32 v10, 16, v2
	;; [unrolled: 1-line block ×4, first 2 shown]
	v_cndmask_b32_e64 v19, v1, v9, s4
	v_cndmask_b32_e32 v18, v5, v13, vcc_lo
	v_cndmask_b32_e64 v20, v5, v13, s4
	v_cndmask_b32_e32 v17, v1, v9, vcc_lo
	v_cmp_eq_u32_e32 vcc_lo, 2, v79
	v_lshrrev_b32_e32 v15, 16, v7
	v_cmp_eq_u32_e64 s4, 1, v77
	v_lshrrev_b32_e32 v12, 16, v4
	v_lshrrev_b32_e32 v16, 16, v8
	v_cndmask_b32_e32 v20, v20, v6, vcc_lo
	v_cndmask_b32_e64 v17, v17, v2, s5
	v_cndmask_b32_e32 v19, v19, v2, vcc_lo
	v_cndmask_b32_e64 v18, v18, v6, s5
	v_cmp_eq_u32_e32 vcc_lo, 4, v78
	v_cmp_eq_u32_e64 s5, 3, v79
	v_cndmask_b32_e64 v17, v17, v10, s6
	v_cndmask_b32_e64 v21, v1, v9, s4
	;; [unrolled: 1-line block ×5, first 2 shown]
	v_cndmask_b32_e32 v17, v17, v3, vcc_lo
	v_cndmask_b32_e64 v20, v20, v14, s5
	v_cndmask_b32_e32 v18, v18, v7, vcc_lo
	v_cmp_eq_u32_e32 vcc_lo, 4, v79
	v_cmp_eq_u32_e64 s5, 5, v79
	v_cmp_eq_u32_e64 s4, 2, v81
	v_cndmask_b32_e64 v21, v21, v2, s8
	v_cmp_eq_u32_e64 s6, 5, v78
	v_cndmask_b32_e32 v19, v19, v3, vcc_lo
	v_cndmask_b32_e32 v20, v20, v7, vcc_lo
	v_cmp_eq_u32_e32 vcc_lo, 6, v79
	s_delay_alu instid0(VALU_DEP_4) | instskip(NEXT) | instid1(VALU_DEP_4)
	v_cndmask_b32_e64 v17, v17, v11, s6
	v_cndmask_b32_e64 v19, v19, v11, s5
	s_delay_alu instid0(VALU_DEP_4) | instskip(SKIP_1) | instid1(VALU_DEP_3)
	v_cndmask_b32_e64 v20, v20, v15, s5
	v_cmp_eq_u32_e64 s5, 1, v81
	v_cndmask_b32_e32 v19, v19, v4, vcc_lo
	v_cndmask_b32_e64 v18, v18, v15, s6
	s_delay_alu instid0(VALU_DEP_3)
	v_cndmask_b32_e64 v1, v1, v9, s5
	v_cndmask_b32_e64 v5, v5, v13, s5
	v_cmp_eq_u32_e64 s5, 3, v77
	v_cndmask_b32_e64 v13, v22, v6, s8
	v_cmp_eq_u32_e64 s8, 3, v81
	v_cndmask_b32_e64 v1, v1, v2, s4
	v_cndmask_b32_e64 v2, v5, v6, s4
	;; [unrolled: 1-line block ×3, first 2 shown]
	v_cmp_eq_u32_e64 s4, 4, v77
	v_cndmask_b32_e64 v6, v13, v14, s5
	v_cndmask_b32_e64 v1, v1, v10, s8
	v_cmp_eq_u32_e64 s5, 4, v81
	v_cndmask_b32_e64 v2, v2, v14, s8
	v_cndmask_b32_e64 v5, v9, v3, s4
	;; [unrolled: 3-line block ×3, first 2 shown]
	v_cndmask_b32_e64 v2, v2, v7, s5
	v_cmp_eq_u32_e64 s4, 5, v81
	v_cmp_eq_u32_e64 s6, 6, v78
	v_cndmask_b32_e64 v5, v5, v11, s8
	v_cmp_eq_u32_e64 s5, 6, v77
	v_cndmask_b32_e64 v3, v6, v15, s8
	v_cndmask_b32_e64 v1, v1, v11, s4
	v_cmp_eq_u32_e64 s8, 6, v81
	v_cndmask_b32_e64 v2, v2, v15, s4
	v_cndmask_b32_e64 v17, v17, v4, s6
	v_cndmask_b32_e64 v18, v18, v8, s6
	v_cmp_eq_u32_e64 s6, 7, v78
	v_cndmask_b32_e64 v5, v5, v4, s5
	;; [unrolled: 4-line block ×3, first 2 shown]
	v_cmp_eq_u32_e64 s5, 7, v77
	v_cndmask_b32_e32 v4, v20, v8, vcc_lo
	v_cndmask_b32_e64 v17, v17, v12, s6
	v_cndmask_b32_e64 v19, v19, v12, s7
	v_cndmask_b32_e64 v1, v1, v12, s4
	v_cndmask_b32_e64 v5, v5, v12, s5
	v_cndmask_b32_e64 v2, v2, v16, s4
	v_cndmask_b32_e64 v3, v3, v16, s5
	v_cndmask_b32_e64 v6, v4, v16, s7
	v_cndmask_b32_e64 v7, v18, v16, s6
	v_cmp_gt_u32_e32 vcc_lo, 32, v0
	v_perm_b32 v4, v2, v1, 0x5040100
	v_perm_b32 v3, v3, v5, 0x5040100
	v_perm_b32 v2, v6, v19, 0x5040100
	v_perm_b32 v1, v7, v17, 0x5040100
	s_and_b32 s2, vcc_lo, s2
	ds_store_b128 v76, v[1:4]
	s_waitcnt lgkmcnt(0)
	s_barrier
	buffer_gl0_inv
	s_and_saveexec_b32 s4, s2
	s_cbranch_execz .LBB1476_2
; %bb.111:
	s_load_b64 s[4:5], s[0:1], 0x68
	v_lshlrev_b32_e32 v0, 10, v0
	v_lshlrev_b32_e32 v1, 4, v75
	s_lshl_b32 s0, s36, 6
	v_add_nc_u32_e32 v7, s31, v74
	s_mul_i32 s1, s0, s34
	s_delay_alu instid0(SALU_CYCLE_1) | instskip(SKIP_1) | instid1(VALU_DEP_2)
	s_mul_i32 s6, s1, s9
	v_and_or_b32 v0, 0x3800, v0, v1
	v_mul_lo_u32 v1, v7, s0
	v_add_nc_u32_e32 v2, 2, v7
	s_ashr_i32 s7, s6, 31
	v_add_nc_u32_e32 v4, 4, v7
	s_lshl_b64 s[6:7], s[6:7], 1
	v_add_nc_u32_e32 v8, 6, v7
	v_mul_lo_u32 v3, v2, s0
	v_lshl_or_b32 v19, v74, 6, v0
	v_ashrrev_i32_e32 v2, 31, v1
	v_mul_lo_u32 v11, v4, s0
	v_mul_lo_u32 v25, v8, s0
	s_waitcnt lgkmcnt(0)
	s_add_u32 s1, s4, s6
	s_addc_u32 s2, s5, s7
	s_lshl_b32 s4, s14, 6
	v_lshlrev_b64 v[5:6], 1, v[1:2]
	s_ashr_i32 s5, s4, 31
	v_ashrrev_i32_e32 v4, 31, v3
	s_lshl_b64 s[4:5], s[4:5], 1
	v_ashrrev_i32_e32 v12, 31, v11
	s_add_u32 s1, s1, s4
	s_addc_u32 s2, s2, s5
	v_add_co_u32 v1, s1, s1, v73
	s_delay_alu instid0(VALU_DEP_1) | instskip(SKIP_1) | instid1(VALU_DEP_3)
	v_add_co_ci_u32_e64 v2, null, s2, 0, s1
	v_lshlrev_b64 v[3:4], 1, v[3:4]
	v_add_co_u32 v23, vcc_lo, v1, v5
	v_add_nc_u32_e32 v5, 8, v7
	s_delay_alu instid0(VALU_DEP_4) | instskip(NEXT) | instid1(VALU_DEP_4)
	v_add_co_ci_u32_e32 v24, vcc_lo, v2, v6, vcc_lo
	v_add_co_u32 v27, vcc_lo, v1, v3
	s_delay_alu instid0(VALU_DEP_3)
	v_mul_lo_u32 v29, v5, s0
	v_add_co_ci_u32_e32 v28, vcc_lo, v2, v4, vcc_lo
	ds_load_b128 v[3:6], v19
	ds_load_b128 v[7:10], v19 offset:128
	v_lshlrev_b64 v[31:32], 1, v[11:12]
	ds_load_b128 v[11:14], v19 offset:256
	ds_load_b128 v[15:18], v19 offset:384
	;; [unrolled: 1-line block ×3, first 2 shown]
	v_ashrrev_i32_e32 v26, 31, v25
	v_ashrrev_i32_e32 v30, 31, v29
	v_add_co_u32 v31, vcc_lo, v1, v31
	s_delay_alu instid0(VALU_DEP_3) | instskip(NEXT) | instid1(VALU_DEP_3)
	v_lshlrev_b64 v[25:26], 1, v[25:26]
	v_lshlrev_b64 v[29:30], 1, v[29:30]
	v_add_co_ci_u32_e32 v32, vcc_lo, v2, v32, vcc_lo
	s_delay_alu instid0(VALU_DEP_3) | instskip(NEXT) | instid1(VALU_DEP_4)
	v_add_co_u32 v25, vcc_lo, v1, v25
	v_add_co_ci_u32_e32 v26, vcc_lo, v2, v26, vcc_lo
	s_delay_alu instid0(VALU_DEP_4)
	v_add_co_u32 v29, vcc_lo, v1, v29
	v_add_co_ci_u32_e32 v30, vcc_lo, v2, v30, vcc_lo
	s_waitcnt lgkmcnt(4)
	global_store_b128 v[23:24], v[3:6], off
	s_waitcnt lgkmcnt(3)
	global_store_b128 v[27:28], v[7:10], off
	;; [unrolled: 2-line block ×5, first 2 shown]
	s_and_b32 exec_lo, exec_lo, s3
	s_cbranch_execz .LBB1476_2
; %bb.112:
	ds_load_b128 v[3:6], v0 offset:640
	s_add_i32 s1, s31, 10
	s_delay_alu instid0(SALU_CYCLE_1) | instskip(NEXT) | instid1(SALU_CYCLE_1)
	s_mul_i32 s0, s1, s0
	s_ashr_i32 s1, s0, 31
	s_delay_alu instid0(SALU_CYCLE_1) | instskip(NEXT) | instid1(SALU_CYCLE_1)
	s_lshl_b64 s[0:1], s[0:1], 1
	v_add_co_u32 v0, vcc_lo, v1, s0
	v_add_co_ci_u32_e32 v1, vcc_lo, s1, v2, vcc_lo
	s_waitcnt lgkmcnt(0)
	global_store_b128 v[0:1], v[3:6], off
	s_nop 0
	s_sendmsg sendmsg(MSG_DEALLOC_VGPRS)
	s_endpgm
	.section	.rodata,"a",@progbits
	.p2align	6, 0x0
	.amdhsa_kernel _Z39paged_attention_ll4mi_QKV_mfma16_kernelI14__hip_bfloat16hLN4vllm18Fp8KVCacheDataTypeE1ES0_Li32ELi64ELi256ELb1ELi11EL8MFMAType1EEvPKT_PKT0_S9_ifPKiSB_SB_iPKfiiiPfSE_PS4_PT2_iSD_SD_
		.amdhsa_group_segment_fixed_size 17472
		.amdhsa_private_segment_fixed_size 0
		.amdhsa_kernarg_size 400
		.amdhsa_user_sgpr_count 13
		.amdhsa_user_sgpr_dispatch_ptr 0
		.amdhsa_user_sgpr_queue_ptr 0
		.amdhsa_user_sgpr_kernarg_segment_ptr 1
		.amdhsa_user_sgpr_dispatch_id 0
		.amdhsa_user_sgpr_private_segment_size 0
		.amdhsa_wavefront_size32 1
		.amdhsa_uses_dynamic_stack 0
		.amdhsa_enable_private_segment 0
		.amdhsa_system_sgpr_workgroup_id_x 1
		.amdhsa_system_sgpr_workgroup_id_y 1
		.amdhsa_system_sgpr_workgroup_id_z 1
		.amdhsa_system_sgpr_workgroup_info 0
		.amdhsa_system_vgpr_workitem_id 0
		.amdhsa_next_free_vgpr 124
		.amdhsa_next_free_sgpr 42
		.amdhsa_reserve_vcc 1
		.amdhsa_float_round_mode_32 0
		.amdhsa_float_round_mode_16_64 0
		.amdhsa_float_denorm_mode_32 3
		.amdhsa_float_denorm_mode_16_64 3
		.amdhsa_dx10_clamp 1
		.amdhsa_ieee_mode 1
		.amdhsa_fp16_overflow 0
		.amdhsa_workgroup_processor_mode 1
		.amdhsa_memory_ordered 1
		.amdhsa_forward_progress 0
		.amdhsa_shared_vgpr_count 0
		.amdhsa_exception_fp_ieee_invalid_op 0
		.amdhsa_exception_fp_denorm_src 0
		.amdhsa_exception_fp_ieee_div_zero 0
		.amdhsa_exception_fp_ieee_overflow 0
		.amdhsa_exception_fp_ieee_underflow 0
		.amdhsa_exception_fp_ieee_inexact 0
		.amdhsa_exception_int_div_zero 0
	.end_amdhsa_kernel
	.section	.text._Z39paged_attention_ll4mi_QKV_mfma16_kernelI14__hip_bfloat16hLN4vllm18Fp8KVCacheDataTypeE1ES0_Li32ELi64ELi256ELb1ELi11EL8MFMAType1EEvPKT_PKT0_S9_ifPKiSB_SB_iPKfiiiPfSE_PS4_PT2_iSD_SD_,"axG",@progbits,_Z39paged_attention_ll4mi_QKV_mfma16_kernelI14__hip_bfloat16hLN4vllm18Fp8KVCacheDataTypeE1ES0_Li32ELi64ELi256ELb1ELi11EL8MFMAType1EEvPKT_PKT0_S9_ifPKiSB_SB_iPKfiiiPfSE_PS4_PT2_iSD_SD_,comdat
.Lfunc_end1476:
	.size	_Z39paged_attention_ll4mi_QKV_mfma16_kernelI14__hip_bfloat16hLN4vllm18Fp8KVCacheDataTypeE1ES0_Li32ELi64ELi256ELb1ELi11EL8MFMAType1EEvPKT_PKT0_S9_ifPKiSB_SB_iPKfiiiPfSE_PS4_PT2_iSD_SD_, .Lfunc_end1476-_Z39paged_attention_ll4mi_QKV_mfma16_kernelI14__hip_bfloat16hLN4vllm18Fp8KVCacheDataTypeE1ES0_Li32ELi64ELi256ELb1ELi11EL8MFMAType1EEvPKT_PKT0_S9_ifPKiSB_SB_iPKfiiiPfSE_PS4_PT2_iSD_SD_
                                        ; -- End function
	.section	.AMDGPU.csdata,"",@progbits
; Kernel info:
; codeLenInByte = 8920
; NumSgprs: 44
; NumVgprs: 124
; ScratchSize: 0
; MemoryBound: 0
; FloatMode: 240
; IeeeMode: 1
; LDSByteSize: 17472 bytes/workgroup (compile time only)
; SGPRBlocks: 5
; VGPRBlocks: 15
; NumSGPRsForWavesPerEU: 44
; NumVGPRsForWavesPerEU: 124
; Occupancy: 10
; WaveLimiterHint : 1
; COMPUTE_PGM_RSRC2:SCRATCH_EN: 0
; COMPUTE_PGM_RSRC2:USER_SGPR: 13
; COMPUTE_PGM_RSRC2:TRAP_HANDLER: 0
; COMPUTE_PGM_RSRC2:TGID_X_EN: 1
; COMPUTE_PGM_RSRC2:TGID_Y_EN: 1
; COMPUTE_PGM_RSRC2:TGID_Z_EN: 1
; COMPUTE_PGM_RSRC2:TIDIG_COMP_CNT: 0
	.section	.text._Z39paged_attention_ll4mi_QKV_mfma16_kernelI14__hip_bfloat16hLN4vllm18Fp8KVCacheDataTypeE1ES0_Li32ELi64ELi256ELb1ELi12EL8MFMAType1EEvPKT_PKT0_S9_ifPKiSB_SB_iPKfiiiPfSE_PS4_PT2_iSD_SD_,"axG",@progbits,_Z39paged_attention_ll4mi_QKV_mfma16_kernelI14__hip_bfloat16hLN4vllm18Fp8KVCacheDataTypeE1ES0_Li32ELi64ELi256ELb1ELi12EL8MFMAType1EEvPKT_PKT0_S9_ifPKiSB_SB_iPKfiiiPfSE_PS4_PT2_iSD_SD_,comdat
	.protected	_Z39paged_attention_ll4mi_QKV_mfma16_kernelI14__hip_bfloat16hLN4vllm18Fp8KVCacheDataTypeE1ES0_Li32ELi64ELi256ELb1ELi12EL8MFMAType1EEvPKT_PKT0_S9_ifPKiSB_SB_iPKfiiiPfSE_PS4_PT2_iSD_SD_ ; -- Begin function _Z39paged_attention_ll4mi_QKV_mfma16_kernelI14__hip_bfloat16hLN4vllm18Fp8KVCacheDataTypeE1ES0_Li32ELi64ELi256ELb1ELi12EL8MFMAType1EEvPKT_PKT0_S9_ifPKiSB_SB_iPKfiiiPfSE_PS4_PT2_iSD_SD_
	.globl	_Z39paged_attention_ll4mi_QKV_mfma16_kernelI14__hip_bfloat16hLN4vllm18Fp8KVCacheDataTypeE1ES0_Li32ELi64ELi256ELb1ELi12EL8MFMAType1EEvPKT_PKT0_S9_ifPKiSB_SB_iPKfiiiPfSE_PS4_PT2_iSD_SD_
	.p2align	8
	.type	_Z39paged_attention_ll4mi_QKV_mfma16_kernelI14__hip_bfloat16hLN4vllm18Fp8KVCacheDataTypeE1ES0_Li32ELi64ELi256ELb1ELi12EL8MFMAType1EEvPKT_PKT0_S9_ifPKiSB_SB_iPKfiiiPfSE_PS4_PT2_iSD_SD_,@function
_Z39paged_attention_ll4mi_QKV_mfma16_kernelI14__hip_bfloat16hLN4vllm18Fp8KVCacheDataTypeE1ES0_Li32ELi64ELi256ELb1ELi12EL8MFMAType1EEvPKT_PKT0_S9_ifPKiSB_SB_iPKfiiiPfSE_PS4_PT2_iSD_SD_: ; @_Z39paged_attention_ll4mi_QKV_mfma16_kernelI14__hip_bfloat16hLN4vllm18Fp8KVCacheDataTypeE1ES0_Li32ELi64ELi256ELb1ELi12EL8MFMAType1EEvPKT_PKT0_S9_ifPKiSB_SB_iPKfiiiPfSE_PS4_PT2_iSD_SD_
; %bb.0:
	s_load_b64 s[2:3], s[0:1], 0x30
	s_mov_b32 s30, s13
	s_waitcnt lgkmcnt(0)
	s_cmp_lg_u64 s[2:3], 0
	s_cselect_b32 s8, -1, 0
	s_ashr_i32 s31, s13, 31
	s_cmp_eq_u64 s[2:3], 0
	s_cbranch_scc1 .LBB1477_3
; %bb.1:
	s_lshl_b64 s[4:5], s[30:31], 2
	s_delay_alu instid0(SALU_CYCLE_1) | instskip(SKIP_4) | instid1(SALU_CYCLE_1)
	s_add_u32 s4, s2, s4
	s_addc_u32 s5, s3, s5
	s_load_b64 s[4:5], s[4:5], 0x0
	s_waitcnt lgkmcnt(0)
	s_sub_i32 s4, s5, s4
	s_cmp_eq_u32 s4, 1
	s_cselect_b32 s4, -1, 0
	s_delay_alu instid0(SALU_CYCLE_1)
	s_and_not1_b32 vcc_lo, exec_lo, s4
	s_cbranch_vccz .LBB1477_4
.LBB1477_2:
	s_endpgm
.LBB1477_3:
.LBB1477_4:
	s_load_b64 s[4:5], s[0:1], 0x28
	s_lshl_b64 s[6:7], s[30:31], 2
	s_waitcnt lgkmcnt(0)
	s_add_u32 s4, s4, s6
	s_addc_u32 s5, s5, s7
	s_lshl_b32 s12, s14, 8
	s_load_b32 s24, s[4:5], 0x0
	s_waitcnt lgkmcnt(0)
	s_cmp_ge_i32 s12, s24
	s_cbranch_scc1 .LBB1477_2
; %bb.5:
	s_clause 0x1
	s_load_b128 s[20:23], s[0:1], 0x8
	s_load_b64 s[4:5], s[0:1], 0x20
	s_and_not1_b32 vcc_lo, exec_lo, s8
	s_cbranch_vccnz .LBB1477_7
; %bb.6:
	s_add_u32 s2, s2, s6
	s_addc_u32 s3, s3, s7
	s_load_b32 s3, s[2:3], 0x0
	s_branch .LBB1477_8
.LBB1477_7:
	s_mov_b32 s3, s30
.LBB1477_8:
	s_load_b128 s[16:19], s[0:1], 0x48
	v_and_b32_e32 v65, 15, v0
	v_cmp_gt_u32_e32 vcc_lo, 0xc0, v0
	v_lshrrev_b32_e32 v66, 5, v0
	v_and_b32_e32 v67, 31, v0
	v_and_b32_e32 v75, 1, v0
	v_lshlrev_b32_e32 v1, 3, v65
	v_cmp_gt_u32_e64 s2, 8, v65
	v_bfe_u32 v74, v0, 4, 1
	s_mul_i32 s31, s15, 12
	s_delay_alu instid0(VALU_DEP_3) | instskip(NEXT) | instid1(VALU_DEP_3)
	v_lshlrev_b32_e32 v73, 1, v1
	s_and_b32 s7, vcc_lo, s2
	s_delay_alu instid0(SALU_CYCLE_1)
	s_and_saveexec_b32 s6, s7
	s_cbranch_execz .LBB1477_10
; %bb.9:
	s_load_b64 s[8:9], s[0:1], 0x0
	v_lshl_or_b32 v5, v66, 1, v74
	s_waitcnt lgkmcnt(0)
	s_mul_hi_i32 s11, s3, s16
	s_mul_i32 s10, s3, s16
	v_lshlrev_b32_e32 v6, 10, v65
	s_lshl_b64 s[10:11], s[10:11], 1
	v_add_lshl_u32 v1, v5, s31, 6
	v_lshlrev_b32_e32 v5, 6, v5
	v_lshlrev_b32_e32 v7, 10, v75
	v_and_b32_e32 v6, 0x3800, v6
	s_delay_alu instid0(VALU_DEP_4) | instskip(NEXT) | instid1(VALU_DEP_2)
	v_ashrrev_i32_e32 v2, 31, v1
	v_or3_b32 v5, v6, v7, v5
	s_delay_alu instid0(VALU_DEP_2) | instskip(SKIP_2) | instid1(VALU_DEP_1)
	v_lshlrev_b64 v[1:2], 1, v[1:2]
	s_add_u32 s3, s8, s10
	s_addc_u32 s7, s9, s11
	v_add_co_u32 v1, vcc_lo, s3, v1
	s_delay_alu instid0(VALU_DEP_2) | instskip(NEXT) | instid1(VALU_DEP_2)
	v_add_co_ci_u32_e32 v2, vcc_lo, s7, v2, vcc_lo
	v_add_co_u32 v1, vcc_lo, v1, v73
	s_delay_alu instid0(VALU_DEP_2)
	v_add_co_ci_u32_e32 v2, vcc_lo, 0, v2, vcc_lo
	global_load_b128 v[1:4], v[1:2], off
	s_waitcnt vmcnt(0)
	ds_store_b128 v5, v[1:4]
.LBB1477_10:
	s_or_b32 exec_lo, exec_lo, s6
	v_and_b32_e32 v1, 0xef, v0
	s_waitcnt lgkmcnt(0)
	s_add_i32 s3, s24, 31
	s_clause 0x1
	s_load_b32 s6, s[0:1], 0x38
	s_load_b32 s19, s[0:1], 0x1c
	s_ashr_i32 s7, s3, 31
	v_add_nc_u32_e32 v1, s12, v1
	s_lshr_b32 s7, s7, 27
	s_waitcnt lgkmcnt(0)
	s_add_i32 s3, s3, s7
	s_barrier
	v_ashrrev_i32_e32 v2, 31, v1
	v_or_b32_e32 v3, 16, v1
	s_ashr_i32 s3, s3, 5
	v_cmp_gt_i32_e32 vcc_lo, s24, v1
	s_add_i32 s3, s3, -1
	v_lshrrev_b32_e32 v2, 27, v2
	buffer_gl0_inv
	s_mul_i32 s27, s15, s18
	v_add_nc_u32_e32 v4, v1, v2
	s_mul_i32 s6, s30, s6
	s_delay_alu instid0(SALU_CYCLE_1) | instskip(NEXT) | instid1(VALU_DEP_1)
	s_ashr_i32 s7, s6, 31
	v_ashrrev_i32_e32 v4, 5, v4
	v_add_nc_u32_e32 v2, v3, v2
	s_lshl_b64 s[6:7], s[6:7], 2
	s_delay_alu instid0(SALU_CYCLE_1) | instskip(NEXT) | instid1(VALU_DEP_2)
	s_add_u32 s26, s4, s6
	v_cndmask_b32_e32 v1, s3, v4, vcc_lo
	s_delay_alu instid0(VALU_DEP_2)
	v_ashrrev_i32_e32 v2, 5, v2
	v_cmp_gt_i32_e32 vcc_lo, s24, v3
	s_addc_u32 s25, s5, s7
	s_ashr_i32 s28, s27, 31
	s_add_u32 s4, s20, s27
	s_addc_u32 s5, s21, s28
	v_cndmask_b32_e32 v3, s3, v2, vcc_lo
	v_ashrrev_i32_e32 v2, 31, v1
	s_lshl_b32 s6, s14, 3
	s_delay_alu instid0(SALU_CYCLE_1) | instskip(NEXT) | instid1(VALU_DEP_2)
	s_ashr_i32 s7, s6, 31
	v_ashrrev_i32_e32 v4, 31, v3
	s_delay_alu instid0(VALU_DEP_2) | instskip(SKIP_1) | instid1(SALU_CYCLE_1)
	v_lshlrev_b64 v[1:2], 2, v[1:2]
	s_lshl_b64 s[6:7], s[6:7], 2
	s_add_u32 s6, s26, s6
	s_delay_alu instid0(VALU_DEP_2) | instskip(SKIP_1) | instid1(VALU_DEP_2)
	v_lshlrev_b64 v[3:4], 2, v[3:4]
	s_addc_u32 s7, s25, s7
	v_add_co_u32 v1, vcc_lo, s26, v1
	v_add_co_ci_u32_e32 v2, vcc_lo, s25, v2, vcc_lo
	s_delay_alu instid0(VALU_DEP_3) | instskip(NEXT) | instid1(VALU_DEP_4)
	v_add_co_u32 v3, vcc_lo, s26, v3
	v_add_co_ci_u32_e32 v4, vcc_lo, s25, v4, vcc_lo
	s_clause 0x1
	global_load_b32 v5, v[1:2], off
	global_load_b32 v6, v[3:4], off
	s_or_b32 s8, s12, 32
	s_delay_alu instid0(SALU_CYCLE_1) | instskip(SKIP_2) | instid1(SALU_CYCLE_1)
	s_ashr_i32 s9, s8, 5
	s_cmp_lt_i32 s8, s24
	s_cselect_b32 s8, s9, s3
	s_ashr_i32 s9, s8, 31
	s_delay_alu instid0(SALU_CYCLE_1) | instskip(NEXT) | instid1(SALU_CYCLE_1)
	s_lshl_b64 s[8:9], s[8:9], 2
	s_add_u32 s8, s26, s8
	s_addc_u32 s9, s25, s9
	s_or_b32 s10, s12, 64
	s_delay_alu instid0(SALU_CYCLE_1) | instskip(SKIP_2) | instid1(SALU_CYCLE_1)
	s_ashr_i32 s11, s10, 5
	s_cmp_lt_i32 s10, s24
	s_cselect_b32 s10, s11, s3
	s_ashr_i32 s11, s10, 31
	s_delay_alu instid0(SALU_CYCLE_1) | instskip(NEXT) | instid1(SALU_CYCLE_1)
	s_lshl_b64 s[10:11], s[10:11], 2
	s_add_u32 s10, s26, s10
	s_addc_u32 s11, s25, s11
	;; [unrolled: 10-line block ×5, first 2 shown]
	s_clause 0x5
	s_load_b32 s21, s[6:7], 0x0
	s_load_b32 s13, s[8:9], 0x0
	;; [unrolled: 1-line block ×6, first 2 shown]
	s_or_b32 s8, s12, 0xc0
	s_delay_alu instid0(SALU_CYCLE_1) | instskip(SKIP_2) | instid1(SALU_CYCLE_1)
	s_ashr_i32 s9, s8, 5
	s_cmp_lt_i32 s8, s24
	s_cselect_b32 s34, s9, s3
	s_ashr_i32 s35, s34, 31
	s_delay_alu instid0(SALU_CYCLE_1) | instskip(NEXT) | instid1(SALU_CYCLE_1)
	s_lshl_b64 s[34:35], s[34:35], 2
	s_add_u32 s34, s26, s34
	s_addc_u32 s35, s25, s35
	s_or_b32 s29, s12, 0xe0
	s_delay_alu instid0(SALU_CYCLE_1)
	s_ashr_i32 s33, s29, 5
	s_cmp_lt_i32 s29, s24
	s_waitcnt vmcnt(1)
	v_mad_i64_i32 v[1:2], null, v5, s17, s[4:5]
	s_waitcnt vmcnt(0)
	v_mad_i64_i32 v[3:4], null, v6, s17, s[4:5]
	s_mov_b32 s4, 0
	s_delay_alu instid0(SALU_CYCLE_1)
	s_mov_b32 s5, s4
	s_mov_b32 s6, s4
	;; [unrolled: 1-line block ×7, first 2 shown]
	v_lshlrev_b32_e32 v5, 4, v65
	v_dual_mov_b32 v107, s11 :: v_dual_mov_b32 v102, s6
	v_mov_b32_e32 v100, s4
	v_mov_b32_e32 v106, s10
	s_delay_alu instid0(VALU_DEP_4)
	v_add_co_u32 v1, vcc_lo, v1, v5
	v_add_co_ci_u32_e32 v2, vcc_lo, 0, v2, vcc_lo
	v_add_co_u32 v3, vcc_lo, v3, v5
	v_add_co_ci_u32_e32 v4, vcc_lo, 0, v4, vcc_lo
	s_clause 0x7
	global_load_b128 v[49:52], v[1:2], off
	global_load_b128 v[53:56], v[1:2], off offset:512
	global_load_b128 v[76:79], v[3:4], off offset:256
	global_load_b128 v[80:83], v[3:4], off offset:768
	global_load_b128 v[84:87], v[1:2], off offset:1024
	global_load_b128 v[88:91], v[1:2], off offset:1536
	global_load_b128 v[92:95], v[3:4], off offset:1280
	global_load_b128 v[96:99], v[3:4], off offset:1792
	v_add_nc_u32_e32 v1, -12, v65
	v_cmp_gt_u32_e32 vcc_lo, 12, v65
	v_dual_mov_b32 v104, s8 :: v_dual_mov_b32 v103, s7
	v_dual_mov_b32 v101, s5 :: v_dual_lshlrev_b32 v2, 5, v65
	s_delay_alu instid0(VALU_DEP_4)
	v_cndmask_b32_e32 v1, v1, v65, vcc_lo
	v_mov_b32_e32 v105, s9
	s_cselect_b32 s4, s33, s3
	s_load_b32 s3, s[34:35], 0x0
	s_ashr_i32 s5, s4, 31
	v_lshlrev_b32_e32 v70, 6, v1
	s_lshl_b64 s[4:5], s[4:5], 2
	v_lshl_or_b32 v2, v66, 9, v2
	s_add_u32 s4, s26, s4
	s_addc_u32 s5, s25, s5
	ds_load_b128 v[108:111], v70
	ds_load_b128 v[112:115], v70 offset:1024
	s_load_b32 s4, s[4:5], 0x0
	s_add_u32 s6, s22, s27
	s_addc_u32 s7, s23, s28
	v_add_co_u32 v9, s6, s6, v2
	s_delay_alu instid0(VALU_DEP_1) | instskip(SKIP_1) | instid1(VALU_DEP_1)
	v_add_co_ci_u32_e64 v10, null, s7, 0, s6
	s_waitcnt lgkmcnt(0)
	v_mad_i64_i32 v[1:2], null, s21, s17, v[9:10]
	v_mad_i64_i32 v[3:4], null, s13, s17, v[9:10]
	;; [unrolled: 1-line block ×7, first 2 shown]
	s_clause 0x9
	global_load_b128 v[57:60], v[1:2], off
	global_load_b128 v[61:64], v[1:2], off offset:16
	global_load_b128 v[41:44], v[3:4], off
	global_load_b128 v[45:48], v[3:4], off offset:16
	;; [unrolled: 2-line block ×5, first 2 shown]
	v_mad_i64_i32 v[68:69], null, s4, s17, v[9:10]
	s_clause 0x3
	global_load_b128 v[9:12], v[13:14], off
	global_load_b128 v[13:16], v[13:14], off offset:16
	global_load_b128 v[17:20], v[21:22], off
	global_load_b128 v[21:24], v[21:22], off offset:16
	s_waitcnt vmcnt(20)
	v_wmma_f32_16x16x16_bf16 v[116:123], v[49:56], v[108:115], v[100:107]
	s_clause 0x1
	global_load_b128 v[49:52], v[68:69], off
	global_load_b128 v[53:56], v[68:69], off offset:16
	v_and_b32_e32 v68, 0xe0, v0
	v_mbcnt_lo_u32_b32 v69, -1, 0
	s_delay_alu instid0(VALU_DEP_2)
	v_add_nc_u32_e32 v68, s12, v68
	s_waitcnt vmcnt(20)
	v_wmma_f32_16x16x16_bf16 v[100:107], v[76:83], v[108:115], v[100:107]
	ds_load_b128 v[76:79], v70 offset:2048
	ds_load_b128 v[80:83], v70 offset:3072
	v_xor_b32_e32 v70, 16, v69
	s_waitcnt vmcnt(0) lgkmcnt(0)
	v_or_b32_e32 v68, v68, v74
	s_barrier
	buffer_gl0_inv
	v_cmp_gt_i32_e32 vcc_lo, 32, v70
	v_or_b32_e32 v71, 4, v68
	v_or_b32_e32 v72, 6, v68
	v_cmp_gt_i32_e64 s3, s24, v68
	v_or_b32_e32 v108, 8, v68
	v_or_b32_e32 v109, 10, v68
	v_cmp_gt_i32_e64 s4, s24, v71
	v_cmp_gt_i32_e64 s5, s24, v72
	s_delay_alu instid0(VALU_DEP_4) | instskip(NEXT) | instid1(VALU_DEP_4)
	v_cmp_gt_i32_e64 s6, s24, v108
	v_cmp_gt_i32_e64 s7, s24, v109
	v_wmma_f32_16x16x16_bf16 v[116:123], v[84:91], v[76:83], v[116:123]
	v_cndmask_b32_e32 v69, v69, v70, vcc_lo
	v_or_b32_e32 v70, 2, v68
	v_wmma_f32_16x16x16_bf16 v[100:107], v[92:99], v[76:83], v[100:107]
	v_or_b32_e32 v89, 22, v68
	v_dual_mul_f32 v80, s19, v121 :: v_dual_mul_f32 v81, s19, v120
	v_dual_mul_f32 v92, s19, v117 :: v_dual_mul_f32 v93, s19, v116
	s_delay_alu instid0(VALU_DEP_4)
	v_mul_f32_e32 v96, s19, v105
	v_cmp_gt_i32_e32 vcc_lo, s24, v70
	v_dual_mul_f32 v79, s19, v122 :: v_dual_mul_f32 v82, s19, v119
	v_dual_mul_f32 v83, s19, v118 :: v_dual_mul_f32 v94, s19, v107
	v_cndmask_b32_e64 v93, 0xff7fffff, v93, s3
	v_cndmask_b32_e32 v92, 0xff7fffff, v92, vcc_lo
	v_or_b32_e32 v84, 12, v68
	v_or_b32_e32 v85, 14, v68
	v_cndmask_b32_e64 v71, 0xff7fffff, v83, s4
	v_cndmask_b32_e64 v72, 0xff7fffff, v82, s5
	v_cmp_gt_i32_e64 s13, s24, v89
	v_lshlrev_b32_e32 v89, 2, v69
	v_max3_f32 v82, v93, 0xff7fffff, v92
	v_or_b32_e32 v86, 16, v68
	v_or_b32_e32 v87, 18, v68
	v_mul_f32_e32 v78, s19, v123
	v_cndmask_b32_e64 v81, 0xff7fffff, v81, s6
	v_cndmask_b32_e64 v80, 0xff7fffff, v80, s7
	v_max3_f32 v71, v82, v71, v72
	v_cmp_gt_i32_e64 s8, s24, v84
	v_cmp_gt_i32_e64 s9, s24, v85
	v_or_b32_e32 v88, 20, v68
	v_or_b32_e32 v90, 24, v68
	;; [unrolled: 1-line block ×5, first 2 shown]
	v_dual_mul_f32 v97, s19, v104 :: v_dual_mul_f32 v70, s19, v101
	v_dual_mul_f32 v99, s19, v102 :: v_dual_mul_f32 v68, s19, v100
	v_cndmask_b32_e64 v72, 0xff7fffff, v79, s8
	v_cndmask_b32_e64 v78, 0xff7fffff, v78, s9
	v_max3_f32 v71, v71, v81, v80
	v_cmp_gt_i32_e64 s10, s24, v86
	v_cmp_gt_i32_e64 s11, s24, v87
	v_dual_mul_f32 v95, s19, v106 :: v_dual_mul_f32 v98, s19, v103
	s_delay_alu instid0(VALU_DEP_4) | instskip(NEXT) | instid1(VALU_DEP_4)
	v_max3_f32 v71, v71, v72, v78
	v_cndmask_b32_e64 v68, 0xff7fffff, v68, s10
	s_delay_alu instid0(VALU_DEP_4)
	v_cndmask_b32_e64 v70, 0xff7fffff, v70, s11
	v_cmp_gt_i32_e64 s12, s24, v88
	v_cndmask_b32_e64 v78, 0xff7fffff, v98, s13
	v_cmp_gt_i32_e64 s15, s24, v90
	v_cmp_gt_i32_e64 s16, s24, v91
	v_max3_f32 v68, v71, v68, v70
	v_cndmask_b32_e64 v72, 0xff7fffff, v99, s12
	v_cmp_gt_i32_e64 s17, s24, v76
	v_cndmask_b32_e64 v70, 0xff7fffff, v97, s15
	v_cndmask_b32_e64 v71, 0xff7fffff, v96, s16
	v_cmp_gt_i32_e64 s18, s24, v77
	v_max3_f32 v68, v68, v72, v78
	v_cndmask_b32_e64 v72, 0xff7fffff, v95, s17
	s_delay_alu instid0(VALU_DEP_3) | instskip(NEXT) | instid1(VALU_DEP_3)
	v_cndmask_b32_e64 v76, 0xff7fffff, v94, s18
	v_max3_f32 v68, v68, v70, v71
	s_delay_alu instid0(VALU_DEP_1) | instskip(SKIP_3) | instid1(VALU_DEP_1)
	v_max3_f32 v68, v68, v72, v76
	ds_bpermute_b32 v69, v89, v68
	s_waitcnt lgkmcnt(0)
	v_max_f32_e32 v69, v69, v69
	v_max_f32_e32 v68, v68, v69
	s_delay_alu instid0(VALU_DEP_1) | instskip(NEXT) | instid1(VALU_DEP_1)
	v_fma_f32 v71, s19, v118, -v68
	v_mul_f32_e32 v71, 0x3fb8aa3b, v71
	v_fma_f32 v70, s19, v117, -v68
	v_fma_f32 v69, s19, v116, -v68
	;; [unrolled: 1-line block ×5, first 2 shown]
	s_delay_alu instid0(VALU_DEP_4) | instskip(SKIP_1) | instid1(VALU_DEP_3)
	v_dual_mul_f32 v70, 0x3fb8aa3b, v70 :: v_dual_mul_f32 v69, 0x3fb8aa3b, v69
	v_exp_f32_e32 v71, v71
	v_mul_f32_e32 v72, 0x3fb8aa3b, v72
	v_fma_f32 v81, s19, v105, -v68
	s_delay_alu instid0(VALU_DEP_3)
	v_exp_f32_e32 v70, v70
	v_mul_f32_e32 v77, 0x3fb8aa3b, v76
	v_exp_f32_e32 v69, v69
	v_exp_f32_e32 v72, v72
	v_mul_f32_e32 v81, 0x3fb8aa3b, v81
	v_cndmask_b32_e64 v83, 0, v71, s4
	v_fma_f32 v71, s19, v123, -v68
	s_delay_alu instid0(VALU_DEP_3) | instskip(SKIP_4) | instid1(TRANS32_DEP_3)
	v_exp_f32_e32 v81, v81
	v_cndmask_b32_e32 v76, 0, v70, vcc_lo
	v_exp_f32_e32 v77, v77
	v_cndmask_b32_e64 v80, 0, v69, s3
	v_fma_f32 v69, s19, v121, -v68
	v_cndmask_b32_e64 v85, 0, v72, s5
	v_mul_f32_e32 v71, 0x3fb8aa3b, v71
	v_fma_f32 v72, s19, v100, -v68
	s_delay_alu instid0(VALU_DEP_4) | instskip(SKIP_1) | instid1(VALU_DEP_3)
	v_dual_add_f32 v70, 0, v80 :: v_dual_mul_f32 v69, 0x3fb8aa3b, v69
	s_mov_b32 s3, exec_lo
	v_exp_f32_e32 v71, v71
	s_delay_alu instid0(TRANS32_DEP_2) | instskip(SKIP_4) | instid1(VALU_DEP_3)
	v_cndmask_b32_e64 v86, 0, v77, s6
	v_fma_f32 v77, s19, v101, -v68
	v_mul_f32_e32 v78, 0x3fb8aa3b, v78
	v_add_f32_e32 v70, v70, v76
	v_exp_f32_e32 v69, v69
	v_mul_f32_e32 v77, 0x3fb8aa3b, v77
	s_delay_alu instid0(VALU_DEP_3) | instskip(NEXT) | instid1(TRANS32_DEP_3)
	v_exp_f32_e32 v78, v78
	v_cndmask_b32_e64 v88, 0, v71, s9
	v_fma_f32 v71, s19, v104, -v68
	s_delay_alu instid0(VALU_DEP_3) | instskip(NEXT) | instid1(TRANS32_DEP_3)
	v_exp_f32_e32 v77, v77
	v_cndmask_b32_e64 v87, 0, v69, s7
	s_delay_alu instid0(VALU_DEP_2)
	v_mul_f32_e32 v71, 0x3fb8aa3b, v71
	s_waitcnt_depctr 0xfff
	v_cndmask_b32_e64 v84, 0, v78, s8
	v_add_f32_e32 v70, v70, v83
	v_fma_f32 v78, s19, v103, -v68
	v_exp_f32_e32 v82, v71
	s_delay_alu instid0(VALU_DEP_2) | instskip(SKIP_1) | instid1(VALU_DEP_3)
	v_add_f32_e32 v70, v70, v85
	v_mul_f32_e32 v72, 0x3fb8aa3b, v72
	v_mul_f32_e32 v78, 0x3fb8aa3b, v78
	s_delay_alu instid0(VALU_DEP_3) | instskip(SKIP_1) | instid1(VALU_DEP_4)
	v_add_f32_e32 v69, v70, v86
	v_fma_f32 v70, s19, v102, -v68
	v_exp_f32_e32 v72, v72
	s_delay_alu instid0(VALU_DEP_3) | instskip(NEXT) | instid1(VALU_DEP_1)
	v_exp_f32_e32 v78, v78
	v_dual_add_f32 v69, v69, v87 :: v_dual_mul_f32 v70, 0x3fb8aa3b, v70
	s_delay_alu instid0(VALU_DEP_1) | instskip(NEXT) | instid1(VALU_DEP_2)
	v_add_f32_e32 v69, v69, v84
	v_exp_f32_e32 v79, v70
	s_delay_alu instid0(TRANS32_DEP_3) | instskip(NEXT) | instid1(VALU_DEP_2)
	v_cndmask_b32_e64 v70, 0, v72, s10
	v_add_f32_e32 v72, v69, v88
	v_cndmask_b32_e64 v69, 0, v77, s11
	v_fma_f32 v77, s19, v106, -v68
	s_waitcnt_depctr 0xfff
	v_cndmask_b32_e64 v71, 0, v79, s12
	v_dual_mul_f32 v77, 0x3fb8aa3b, v77 :: v_dual_add_f32 v72, v72, v70
	s_delay_alu instid0(VALU_DEP_1) | instskip(NEXT) | instid1(VALU_DEP_1)
	v_exp_f32_e32 v90, v77
	v_add_f32_e32 v79, v72, v69
	v_cndmask_b32_e64 v72, 0, v78, s13
	v_cndmask_b32_e64 v77, 0, v82, s15
	s_delay_alu instid0(VALU_DEP_3) | instskip(SKIP_1) | instid1(VALU_DEP_1)
	v_add_f32_e32 v78, v79, v71
	v_fma_f32 v79, s19, v107, -v68
	v_dual_add_f32 v82, v78, v72 :: v_dual_mul_f32 v79, 0x3fb8aa3b, v79
	v_cndmask_b32_e64 v78, 0, v81, s16
	s_delay_alu instid0(VALU_DEP_2) | instskip(NEXT) | instid1(VALU_DEP_3)
	v_add_f32_e32 v81, v82, v77
	v_exp_f32_e32 v82, v79
	v_cndmask_b32_e64 v79, 0, v90, s17
	s_delay_alu instid0(VALU_DEP_2) | instskip(NEXT) | instid1(VALU_DEP_1)
	v_add_f32_e32 v81, v81, v78
	v_add_f32_e32 v90, v81, v79
	s_waitcnt_depctr 0xfff
	v_cndmask_b32_e64 v81, 0, v82, s18
	s_delay_alu instid0(VALU_DEP_1)
	v_add_f32_e32 v82, v90, v81
	ds_bpermute_b32 v89, v89, v82
	v_cmpx_gt_u32_e32 16, v67
	s_cbranch_execz .LBB1477_12
; %bb.11:
	v_mul_u32_u24_e32 v67, 0x44, v66
	s_delay_alu instid0(VALU_DEP_1) | instskip(SKIP_1) | instid1(VALU_DEP_1)
	v_lshl_add_u32 v67, v65, 2, v67
	s_waitcnt lgkmcnt(0)
	v_dual_add_f32 v82, v82, v89 :: v_dual_add_nc_u32 v67, 0x4000, v67
	ds_store_2addr_b32 v67, v68, v82 offset1:136
.LBB1477_12:
	s_or_b32 exec_lo, exec_lo, s3
	v_lshlrev_b32_e32 v67, 2, v65
	s_waitcnt lgkmcnt(0)
	s_barrier
	buffer_gl0_inv
	v_cmp_eq_u32_e32 vcc_lo, 1, v66
	v_add_nc_u32_e32 v82, 0x4000, v67
	v_cmp_eq_u32_e64 s3, 2, v66
	v_cmp_eq_u32_e64 s5, 7, v66
	ds_load_2addr_b32 v[89:90], v82 offset1:17
	ds_load_2addr_b32 v[91:92], v82 offset0:34 offset1:51
	ds_load_2addr_b32 v[93:94], v82 offset0:68 offset1:85
	;; [unrolled: 1-line block ×4, first 2 shown]
	s_waitcnt lgkmcnt(4)
	v_max3_f32 v67, v89, 0xff7fffff, v90
	s_waitcnt lgkmcnt(3)
	s_delay_alu instid0(VALU_DEP_1) | instskip(SKIP_1) | instid1(VALU_DEP_1)
	v_max3_f32 v67, v67, v91, v92
	s_waitcnt lgkmcnt(2)
	v_max3_f32 v67, v67, v93, v94
	s_waitcnt lgkmcnt(1)
	s_delay_alu instid0(VALU_DEP_1) | instskip(NEXT) | instid1(VALU_DEP_1)
	v_max3_f32 v67, v67, v95, v96
	v_sub_f32_e32 v93, v93, v67
	s_delay_alu instid0(VALU_DEP_1) | instskip(NEXT) | instid1(VALU_DEP_1)
	v_dual_sub_f32 v68, v89, v67 :: v_dual_mul_f32 v103, 0x3fb8aa3b, v93
	v_mul_f32_e32 v68, 0x3fb8aa3b, v68
	s_delay_alu instid0(VALU_DEP_1)
	v_exp_f32_e32 v100, v68
	v_sub_f32_e32 v68, v92, v67
	v_sub_f32_e32 v99, v90, v67
	ds_load_2addr_b32 v[89:90], v82 offset0:170 offset1:187
	v_dual_mul_f32 v102, 0x3fb8aa3b, v68 :: v_dual_mul_f32 v99, 0x3fb8aa3b, v99
	s_waitcnt lgkmcnt(1)
	v_fma_f32 v68, v100, v97, 0
	s_delay_alu instid0(VALU_DEP_2) | instskip(NEXT) | instid1(VALU_DEP_2)
	v_exp_f32_e32 v102, v102
	v_exp_f32_e32 v99, v99
	s_waitcnt_depctr 0xfff
	v_fmac_f32_e32 v68, v99, v98
	v_sub_f32_e32 v91, v91, v67
	s_delay_alu instid0(VALU_DEP_1)
	v_mul_f32_e32 v101, 0x3fb8aa3b, v91
	ds_load_2addr_b32 v[91:92], v82 offset0:204 offset1:221
	v_sub_f32_e32 v97, v94, v67
	ds_load_2addr_b32 v[93:94], v82 offset0:238 offset1:255
	s_waitcnt lgkmcnt(0)
	v_exp_f32_e32 v101, v101
	s_barrier
	buffer_gl0_inv
	v_dual_fmac_f32 v68, v101, v89 :: v_dual_sub_f32 v89, v96, v67
	v_dual_sub_f32 v82, v95, v67 :: v_dual_mul_f32 v95, 0x3fb8aa3b, v97
	v_exp_f32_e32 v97, v103
	s_delay_alu instid0(VALU_DEP_2) | instskip(NEXT) | instid1(VALU_DEP_2)
	v_dual_fmac_f32 v68, v102, v90 :: v_dual_mul_f32 v89, 0x3fb8aa3b, v89
	v_mul_f32_e32 v82, 0x3fb8aa3b, v82
	s_delay_alu instid0(VALU_DEP_3) | instskip(NEXT) | instid1(VALU_DEP_2)
	v_exp_f32_e32 v95, v95
	v_exp_f32_e32 v89, v89
	s_delay_alu instid0(VALU_DEP_1)
	v_exp_f32_e32 v82, v82
	v_fmac_f32_e32 v68, v97, v91
	s_delay_alu instid0(TRANS32_DEP_3) | instid1(VALU_DEP_1)
	v_fmac_f32_e32 v68, v95, v92
	s_waitcnt_depctr 0xfff
	v_fmac_f32_e32 v68, v82, v93
	s_delay_alu instid0(VALU_DEP_1) | instskip(NEXT) | instid1(VALU_DEP_1)
	v_fmac_f32_e32 v68, v89, v94
	v_add_f32_e32 v90, 0x358637bd, v68
	s_delay_alu instid0(VALU_DEP_1) | instskip(NEXT) | instid1(VALU_DEP_1)
	v_div_scale_f32 v91, null, v90, v90, 1.0
	v_rcp_f32_e32 v92, v91
	s_waitcnt_depctr 0xfff
	v_fma_f32 v93, -v91, v92, 1.0
	s_delay_alu instid0(VALU_DEP_1) | instskip(SKIP_1) | instid1(VALU_DEP_2)
	v_dual_fmac_f32 v92, v93, v92 :: v_dual_cndmask_b32 v93, v100, v99
	v_cmp_eq_u32_e32 vcc_lo, 3, v66
	v_cndmask_b32_e64 v93, v93, v101, s3
	v_cmp_eq_u32_e64 s3, 4, v66
	s_delay_alu instid0(VALU_DEP_2) | instskip(SKIP_1) | instid1(VALU_DEP_2)
	v_cndmask_b32_e32 v93, v93, v102, vcc_lo
	v_cmp_eq_u32_e32 vcc_lo, 5, v66
	v_cndmask_b32_e64 v93, v93, v97, s3
	v_cmp_eq_u32_e64 s3, 6, v66
	s_delay_alu instid0(VALU_DEP_2) | instskip(SKIP_1) | instid1(VALU_DEP_1)
	v_cndmask_b32_e32 v93, v93, v95, vcc_lo
	v_div_scale_f32 v94, s4, 1.0, v90, 1.0
	s_mov_b32 vcc_lo, s4
	s_delay_alu instid0(VALU_DEP_2) | instskip(NEXT) | instid1(VALU_DEP_2)
	v_cndmask_b32_e64 v82, v93, v82, s3
	v_mul_f32_e32 v96, v94, v92
	s_mov_b32 s3, exec_lo
	s_delay_alu instid0(VALU_DEP_2) | instskip(NEXT) | instid1(VALU_DEP_2)
	v_cndmask_b32_e64 v82, v82, v89, s5
	v_fma_f32 v98, -v91, v96, v94
	s_delay_alu instid0(VALU_DEP_1) | instskip(NEXT) | instid1(VALU_DEP_1)
	v_fmac_f32_e32 v96, v98, v92
	v_fma_f32 v91, -v91, v96, v94
	s_delay_alu instid0(VALU_DEP_1) | instskip(NEXT) | instid1(VALU_DEP_1)
	v_div_fmas_f32 v91, v91, v92, v96
	v_div_fixup_f32 v90, v91, v90, 1.0
	s_delay_alu instid0(VALU_DEP_1) | instskip(NEXT) | instid1(VALU_DEP_1)
	v_mul_f32_e32 v82, v82, v90
	v_mul_f32_e32 v87, v82, v87
	;; [unrolled: 1-line block ×7, first 2 shown]
	v_dual_mul_f32 v86, v82, v83 :: v_dual_and_b32 v91, 0x7f800000, v90
	v_mul_f32_e32 v85, v82, v76
                                        ; implicit-def: $vgpr76
	s_delay_alu instid0(VALU_DEP_2)
	v_cmpx_ne_u32_e32 0x7f800000, v91
	s_xor_b32 s3, exec_lo, s3
; %bb.13:
	v_bfe_u32 v76, v90, 16, 1
	s_delay_alu instid0(VALU_DEP_1)
	v_add3_u32 v76, v90, v76, 0x7fff
                                        ; implicit-def: $vgpr90
; %bb.14:
	s_and_not1_saveexec_b32 s3, s3
; %bb.15:
	v_and_b32_e32 v76, 0xffff, v90
	v_or_b32_e32 v83, 0x10000, v90
	s_delay_alu instid0(VALU_DEP_2) | instskip(NEXT) | instid1(VALU_DEP_2)
	v_cmp_eq_u32_e32 vcc_lo, 0, v76
	v_cndmask_b32_e32 v76, v83, v90, vcc_lo
; %bb.16:
	s_or_b32 exec_lo, exec_lo, s3
	v_and_b32_e32 v83, 0x7f800000, v85
	s_delay_alu instid0(VALU_DEP_1) | instskip(SKIP_1) | instid1(SALU_CYCLE_1)
	v_cmp_ne_u32_e32 vcc_lo, 0x7f800000, v83
                                        ; implicit-def: $vgpr83
	s_and_saveexec_b32 s3, vcc_lo
	s_xor_b32 s3, exec_lo, s3
; %bb.17:
	v_bfe_u32 v83, v85, 16, 1
	s_delay_alu instid0(VALU_DEP_1)
	v_add3_u32 v83, v85, v83, 0x7fff
                                        ; implicit-def: $vgpr85
; %bb.18:
	s_and_not1_saveexec_b32 s3, s3
; %bb.19:
	v_and_b32_e32 v83, 0xffff, v85
	v_or_b32_e32 v90, 0x10000, v85
	s_delay_alu instid0(VALU_DEP_2) | instskip(NEXT) | instid1(VALU_DEP_2)
	v_cmp_eq_u32_e32 vcc_lo, 0, v83
	v_cndmask_b32_e32 v83, v90, v85, vcc_lo
; %bb.20:
	s_or_b32 exec_lo, exec_lo, s3
	v_and_b32_e32 v85, 0x7f800000, v86
	s_delay_alu instid0(VALU_DEP_1) | instskip(SKIP_1) | instid1(SALU_CYCLE_1)
	v_cmp_ne_u32_e32 vcc_lo, 0x7f800000, v85
                                        ; implicit-def: $vgpr85
	s_and_saveexec_b32 s3, vcc_lo
	s_xor_b32 s3, exec_lo, s3
; %bb.21:
	v_bfe_u32 v85, v86, 16, 1
	s_delay_alu instid0(VALU_DEP_1)
	v_add3_u32 v85, v86, v85, 0x7fff
                                        ; implicit-def: $vgpr86
; %bb.22:
	s_and_not1_saveexec_b32 s3, s3
; %bb.23:
	v_and_b32_e32 v85, 0xffff, v86
	v_or_b32_e32 v90, 0x10000, v86
	s_delay_alu instid0(VALU_DEP_2) | instskip(NEXT) | instid1(VALU_DEP_2)
	v_cmp_eq_u32_e32 vcc_lo, 0, v85
	v_cndmask_b32_e32 v85, v90, v86, vcc_lo
; %bb.24:
	s_or_b32 exec_lo, exec_lo, s3
	v_and_b32_e32 v86, 0x7f800000, v89
	s_delay_alu instid0(VALU_DEP_1) | instskip(SKIP_1) | instid1(SALU_CYCLE_1)
	v_cmp_ne_u32_e32 vcc_lo, 0x7f800000, v86
                                        ; implicit-def: $vgpr86
	s_and_saveexec_b32 s3, vcc_lo
	s_xor_b32 s3, exec_lo, s3
; %bb.25:
	v_bfe_u32 v86, v89, 16, 1
	s_delay_alu instid0(VALU_DEP_1)
	v_add3_u32 v86, v89, v86, 0x7fff
                                        ; implicit-def: $vgpr89
; %bb.26:
	s_and_not1_saveexec_b32 s3, s3
; %bb.27:
	v_and_b32_e32 v86, 0xffff, v89
	v_or_b32_e32 v90, 0x10000, v89
	s_delay_alu instid0(VALU_DEP_2) | instskip(NEXT) | instid1(VALU_DEP_2)
	v_cmp_eq_u32_e32 vcc_lo, 0, v86
	v_cndmask_b32_e32 v86, v90, v89, vcc_lo
; %bb.28:
	s_or_b32 exec_lo, exec_lo, s3
	v_and_b32_e32 v89, 0x7f800000, v88
	s_delay_alu instid0(VALU_DEP_1) | instskip(SKIP_1) | instid1(SALU_CYCLE_1)
	v_cmp_ne_u32_e32 vcc_lo, 0x7f800000, v89
                                        ; implicit-def: $vgpr89
	s_and_saveexec_b32 s3, vcc_lo
	s_xor_b32 s3, exec_lo, s3
; %bb.29:
	v_bfe_u32 v89, v88, 16, 1
	s_delay_alu instid0(VALU_DEP_1)
	v_add3_u32 v89, v88, v89, 0x7fff
                                        ; implicit-def: $vgpr88
; %bb.30:
	s_and_not1_saveexec_b32 s3, s3
; %bb.31:
	v_and_b32_e32 v89, 0xffff, v88
	v_or_b32_e32 v90, 0x10000, v88
	s_delay_alu instid0(VALU_DEP_2) | instskip(NEXT) | instid1(VALU_DEP_2)
	v_cmp_eq_u32_e32 vcc_lo, 0, v89
	v_cndmask_b32_e32 v89, v90, v88, vcc_lo
; %bb.32:
	s_or_b32 exec_lo, exec_lo, s3
	v_and_b32_e32 v88, 0x7f800000, v87
	s_delay_alu instid0(VALU_DEP_1) | instskip(SKIP_1) | instid1(SALU_CYCLE_1)
	v_cmp_ne_u32_e32 vcc_lo, 0x7f800000, v88
                                        ; implicit-def: $vgpr88
	s_and_saveexec_b32 s3, vcc_lo
	s_xor_b32 s3, exec_lo, s3
; %bb.33:
	v_bfe_u32 v88, v87, 16, 1
	s_delay_alu instid0(VALU_DEP_1)
	v_add3_u32 v88, v87, v88, 0x7fff
                                        ; implicit-def: $vgpr87
; %bb.34:
	s_and_not1_saveexec_b32 s3, s3
; %bb.35:
	v_and_b32_e32 v88, 0xffff, v87
	v_or_b32_e32 v90, 0x10000, v87
	s_delay_alu instid0(VALU_DEP_2) | instskip(NEXT) | instid1(VALU_DEP_2)
	v_cmp_eq_u32_e32 vcc_lo, 0, v88
	v_cndmask_b32_e32 v88, v90, v87, vcc_lo
; %bb.36:
	s_or_b32 exec_lo, exec_lo, s3
	v_and_b32_e32 v87, 0x7f800000, v84
	s_delay_alu instid0(VALU_DEP_1) | instskip(SKIP_1) | instid1(SALU_CYCLE_1)
	v_cmp_ne_u32_e32 vcc_lo, 0x7f800000, v87
                                        ; implicit-def: $vgpr87
	s_and_saveexec_b32 s3, vcc_lo
	s_xor_b32 s3, exec_lo, s3
; %bb.37:
	v_bfe_u32 v87, v84, 16, 1
	s_delay_alu instid0(VALU_DEP_1)
	v_add3_u32 v87, v84, v87, 0x7fff
                                        ; implicit-def: $vgpr84
; %bb.38:
	s_and_not1_saveexec_b32 s3, s3
; %bb.39:
	v_and_b32_e32 v87, 0xffff, v84
	v_or_b32_e32 v90, 0x10000, v84
	s_delay_alu instid0(VALU_DEP_2) | instskip(NEXT) | instid1(VALU_DEP_2)
	v_cmp_eq_u32_e32 vcc_lo, 0, v87
	v_cndmask_b32_e32 v87, v90, v84, vcc_lo
; %bb.40:
	s_or_b32 exec_lo, exec_lo, s3
	v_and_b32_e32 v84, 0x7f800000, v80
	s_delay_alu instid0(VALU_DEP_1) | instskip(SKIP_1) | instid1(SALU_CYCLE_1)
	v_cmp_ne_u32_e32 vcc_lo, 0x7f800000, v84
                                        ; implicit-def: $vgpr84
	s_and_saveexec_b32 s3, vcc_lo
	s_xor_b32 s3, exec_lo, s3
; %bb.41:
	v_bfe_u32 v84, v80, 16, 1
	s_delay_alu instid0(VALU_DEP_1)
	v_add3_u32 v84, v80, v84, 0x7fff
                                        ; implicit-def: $vgpr80
; %bb.42:
	s_and_not1_saveexec_b32 s3, s3
; %bb.43:
	v_and_b32_e32 v84, 0xffff, v80
	v_or_b32_e32 v90, 0x10000, v80
	s_delay_alu instid0(VALU_DEP_2) | instskip(NEXT) | instid1(VALU_DEP_2)
	v_cmp_eq_u32_e32 vcc_lo, 0, v84
	v_cndmask_b32_e32 v84, v90, v80, vcc_lo
; %bb.44:
	s_or_b32 exec_lo, exec_lo, s3
	s_load_b64 s[34:35], s[0:1], 0x94
	v_lshlrev_b32_e32 v91, 4, v74
	s_delay_alu instid0(VALU_DEP_2)
	v_perm_b32 v90, v84, v87, 0x7060302
	v_dual_mul_f32 v79, v82, v79 :: v_dual_lshlrev_b32 v80, 6, v65
	v_dual_mul_f32 v77, v82, v77 :: v_dual_lshlrev_b32 v92, 11, v66
	v_mul_f32_e32 v84, v82, v70
	v_perm_b32 v89, v88, v89, 0x7060302
	v_perm_b32 v88, v86, v85, 0x7060302
	;; [unrolled: 1-line block ×3, first 2 shown]
	v_mul_f32_e32 v70, v82, v81
	v_or3_b32 v76, v91, v92, v80
	v_dual_mul_f32 v78, v82, v78 :: v_dual_and_b32 v85, 0x7f800000, v84
	v_mul_f32_e32 v83, v82, v72
	v_mul_f32_e32 v81, v82, v71
	;; [unrolled: 1-line block ×3, first 2 shown]
	s_mov_b32 s3, exec_lo
	ds_store_b128 v76, v[87:90]
                                        ; implicit-def: $vgpr69
	v_cmpx_ne_u32_e32 0x7f800000, v85
	s_xor_b32 s3, exec_lo, s3
; %bb.45:
	v_bfe_u32 v69, v84, 16, 1
	s_delay_alu instid0(VALU_DEP_1)
	v_add3_u32 v69, v84, v69, 0x7fff
                                        ; implicit-def: $vgpr84
; %bb.46:
	s_and_not1_saveexec_b32 s3, s3
; %bb.47:
	v_and_b32_e32 v69, 0xffff, v84
	v_or_b32_e32 v71, 0x10000, v84
	s_delay_alu instid0(VALU_DEP_2) | instskip(NEXT) | instid1(VALU_DEP_2)
	v_cmp_eq_u32_e32 vcc_lo, 0, v69
	v_cndmask_b32_e32 v69, v71, v84, vcc_lo
; %bb.48:
	s_or_b32 exec_lo, exec_lo, s3
	v_and_b32_e32 v71, 0x7f800000, v72
	s_delay_alu instid0(VALU_DEP_1) | instskip(SKIP_1) | instid1(SALU_CYCLE_1)
	v_cmp_ne_u32_e32 vcc_lo, 0x7f800000, v71
                                        ; implicit-def: $vgpr71
	s_and_saveexec_b32 s3, vcc_lo
	s_xor_b32 s3, exec_lo, s3
; %bb.49:
	v_bfe_u32 v71, v72, 16, 1
	s_delay_alu instid0(VALU_DEP_1)
	v_add3_u32 v71, v72, v71, 0x7fff
                                        ; implicit-def: $vgpr72
; %bb.50:
	s_and_not1_saveexec_b32 s3, s3
; %bb.51:
	v_and_b32_e32 v71, 0xffff, v72
	v_or_b32_e32 v82, 0x10000, v72
	s_delay_alu instid0(VALU_DEP_2) | instskip(NEXT) | instid1(VALU_DEP_2)
	v_cmp_eq_u32_e32 vcc_lo, 0, v71
	v_cndmask_b32_e32 v71, v82, v72, vcc_lo
; %bb.52:
	s_or_b32 exec_lo, exec_lo, s3
	v_and_b32_e32 v72, 0x7f800000, v81
	s_delay_alu instid0(VALU_DEP_1) | instskip(SKIP_1) | instid1(SALU_CYCLE_1)
	v_cmp_ne_u32_e32 vcc_lo, 0x7f800000, v72
                                        ; implicit-def: $vgpr72
	s_and_saveexec_b32 s3, vcc_lo
	s_xor_b32 s3, exec_lo, s3
; %bb.53:
	v_bfe_u32 v72, v81, 16, 1
	s_delay_alu instid0(VALU_DEP_1)
	v_add3_u32 v72, v81, v72, 0x7fff
                                        ; implicit-def: $vgpr81
; %bb.54:
	s_and_not1_saveexec_b32 s3, s3
; %bb.55:
	v_and_b32_e32 v72, 0xffff, v81
	v_or_b32_e32 v82, 0x10000, v81
	s_delay_alu instid0(VALU_DEP_2) | instskip(NEXT) | instid1(VALU_DEP_2)
	v_cmp_eq_u32_e32 vcc_lo, 0, v72
	v_cndmask_b32_e32 v72, v82, v81, vcc_lo
; %bb.56:
	s_or_b32 exec_lo, exec_lo, s3
	v_and_b32_e32 v81, 0x7f800000, v83
	s_delay_alu instid0(VALU_DEP_1) | instskip(SKIP_1) | instid1(SALU_CYCLE_1)
	v_cmp_ne_u32_e32 vcc_lo, 0x7f800000, v81
                                        ; implicit-def: $vgpr81
	s_and_saveexec_b32 s3, vcc_lo
	s_xor_b32 s3, exec_lo, s3
; %bb.57:
	v_bfe_u32 v81, v83, 16, 1
	s_delay_alu instid0(VALU_DEP_1)
	v_add3_u32 v81, v83, v81, 0x7fff
                                        ; implicit-def: $vgpr83
; %bb.58:
	s_and_not1_saveexec_b32 s3, s3
; %bb.59:
	v_and_b32_e32 v81, 0xffff, v83
	v_or_b32_e32 v82, 0x10000, v83
	s_delay_alu instid0(VALU_DEP_2) | instskip(NEXT) | instid1(VALU_DEP_2)
	v_cmp_eq_u32_e32 vcc_lo, 0, v81
	v_cndmask_b32_e32 v81, v82, v83, vcc_lo
; %bb.60:
	s_or_b32 exec_lo, exec_lo, s3
	v_and_b32_e32 v82, 0x7f800000, v77
	s_delay_alu instid0(VALU_DEP_1) | instskip(SKIP_1) | instid1(SALU_CYCLE_1)
	v_cmp_ne_u32_e32 vcc_lo, 0x7f800000, v82
                                        ; implicit-def: $vgpr82
	s_and_saveexec_b32 s3, vcc_lo
	s_xor_b32 s3, exec_lo, s3
; %bb.61:
	v_bfe_u32 v82, v77, 16, 1
	s_delay_alu instid0(VALU_DEP_1)
	v_add3_u32 v82, v77, v82, 0x7fff
                                        ; implicit-def: $vgpr77
; %bb.62:
	s_and_not1_saveexec_b32 s3, s3
; %bb.63:
	v_and_b32_e32 v82, 0xffff, v77
	v_or_b32_e32 v83, 0x10000, v77
	s_delay_alu instid0(VALU_DEP_2) | instskip(NEXT) | instid1(VALU_DEP_2)
	v_cmp_eq_u32_e32 vcc_lo, 0, v82
	v_cndmask_b32_e32 v82, v83, v77, vcc_lo
; %bb.64:
	s_or_b32 exec_lo, exec_lo, s3
	v_and_b32_e32 v77, 0x7f800000, v78
	s_delay_alu instid0(VALU_DEP_1) | instskip(SKIP_1) | instid1(SALU_CYCLE_1)
	v_cmp_ne_u32_e32 vcc_lo, 0x7f800000, v77
                                        ; implicit-def: $vgpr77
	s_and_saveexec_b32 s3, vcc_lo
	s_xor_b32 s3, exec_lo, s3
; %bb.65:
	v_bfe_u32 v77, v78, 16, 1
	s_delay_alu instid0(VALU_DEP_1)
	v_add3_u32 v77, v78, v77, 0x7fff
                                        ; implicit-def: $vgpr78
; %bb.66:
	s_and_not1_saveexec_b32 s3, s3
; %bb.67:
	v_and_b32_e32 v77, 0xffff, v78
	v_or_b32_e32 v83, 0x10000, v78
	s_delay_alu instid0(VALU_DEP_2) | instskip(NEXT) | instid1(VALU_DEP_2)
	v_cmp_eq_u32_e32 vcc_lo, 0, v77
	v_cndmask_b32_e32 v77, v83, v78, vcc_lo
; %bb.68:
	s_or_b32 exec_lo, exec_lo, s3
	v_and_b32_e32 v78, 0x7f800000, v79
	s_delay_alu instid0(VALU_DEP_1) | instskip(SKIP_1) | instid1(SALU_CYCLE_1)
	v_cmp_ne_u32_e32 vcc_lo, 0x7f800000, v78
                                        ; implicit-def: $vgpr78
	s_and_saveexec_b32 s3, vcc_lo
	s_xor_b32 s3, exec_lo, s3
; %bb.69:
	v_bfe_u32 v78, v79, 16, 1
	s_delay_alu instid0(VALU_DEP_1)
	v_add3_u32 v78, v79, v78, 0x7fff
                                        ; implicit-def: $vgpr79
; %bb.70:
	s_and_not1_saveexec_b32 s3, s3
; %bb.71:
	v_and_b32_e32 v78, 0xffff, v79
	v_or_b32_e32 v83, 0x10000, v79
	s_delay_alu instid0(VALU_DEP_2) | instskip(NEXT) | instid1(VALU_DEP_2)
	v_cmp_eq_u32_e32 vcc_lo, 0, v78
	v_cndmask_b32_e32 v78, v83, v79, vcc_lo
; %bb.72:
	s_or_b32 exec_lo, exec_lo, s3
	v_and_b32_e32 v79, 0x7f800000, v70
	s_delay_alu instid0(VALU_DEP_1) | instskip(SKIP_1) | instid1(SALU_CYCLE_1)
	v_cmp_ne_u32_e32 vcc_lo, 0x7f800000, v79
                                        ; implicit-def: $vgpr79
	s_and_saveexec_b32 s3, vcc_lo
	s_xor_b32 s3, exec_lo, s3
; %bb.73:
	v_bfe_u32 v79, v70, 16, 1
	s_delay_alu instid0(VALU_DEP_1)
	v_add3_u32 v79, v70, v79, 0x7fff
                                        ; implicit-def: $vgpr70
; %bb.74:
	s_and_not1_saveexec_b32 s3, s3
; %bb.75:
	v_and_b32_e32 v79, 0xffff, v70
	v_or_b32_e32 v83, 0x10000, v70
	s_delay_alu instid0(VALU_DEP_2) | instskip(NEXT) | instid1(VALU_DEP_2)
	v_cmp_eq_u32_e32 vcc_lo, 0, v79
	v_cndmask_b32_e32 v79, v83, v70, vcc_lo
; %bb.76:
	s_or_b32 exec_lo, exec_lo, s3
	s_delay_alu instid0(VALU_DEP_1)
	v_perm_b32 v86, v79, v78, 0x7060302
	v_perm_b32 v85, v77, v82, 0x7060302
	;; [unrolled: 1-line block ×4, first 2 shown]
	v_lshl_or_b32 v82, v66, 11, v80
	ds_store_b128 v76, v[83:86] offset:1024
	s_waitcnt lgkmcnt(0)
	s_barrier
	buffer_gl0_inv
	ds_load_b128 v[69:72], v82
	ds_load_b128 v[83:86], v82 offset:16
	s_waitcnt lgkmcnt(1)
	v_lshrrev_b32_e32 v66, 16, v69
	s_waitcnt lgkmcnt(0)
	v_lshrrev_b32_e32 v91, 16, v83
	v_lshlrev_b32_e32 v78, 2, v74
	v_lshrrev_b32_e32 v95, 16, v70
	v_lshrrev_b32_e32 v98, 16, v84
	;; [unrolled: 1-line block ×4, first 2 shown]
	v_cmp_eq_u32_e32 vcc_lo, 1, v78
	v_lshrrev_b32_e32 v97, 16, v72
	v_lshrrev_b32_e32 v100, 16, v86
	v_cndmask_b32_e32 v87, v83, v91, vcc_lo
	v_or_b32_e32 v79, 1, v78
	v_cndmask_b32_e32 v81, v69, v66, vcc_lo
	v_cmp_eq_u32_e64 s4, 2, v78
	v_cmp_eq_u32_e64 s7, 3, v78
	;; [unrolled: 1-line block ×5, first 2 shown]
	v_cndmask_b32_e64 v81, v81, v70, s4
	v_cndmask_b32_e64 v87, v87, v84, s4
	v_cmp_eq_u32_e64 s8, 3, v79
	v_cndmask_b32_e64 v88, v69, v66, s3
	v_or_b32_e32 v77, 2, v78
	v_cndmask_b32_e64 v81, v81, v95, s7
	v_cndmask_b32_e64 v87, v87, v98, s7
	;; [unrolled: 1-line block ×4, first 2 shown]
	v_cmp_eq_u32_e64 s10, 5, v78
	v_cndmask_b32_e64 v81, v81, v71, s9
	v_cndmask_b32_e64 v87, v87, v85, s9
	v_cmp_eq_u32_e64 s11, 4, v79
	v_cndmask_b32_e64 v88, v88, v95, s8
	v_cmp_eq_u32_e64 s5, 1, v77
	v_cndmask_b32_e64 v89, v89, v84, s6
	v_cndmask_b32_e64 v81, v81, v96, s10
	v_cmp_eq_u32_e64 s12, 6, v78
	v_cndmask_b32_e64 v88, v88, v71, s11
	;; [unrolled: 3-line block ×3, first 2 shown]
	v_cndmask_b32_e64 v89, v89, v98, s8
	v_cndmask_b32_e64 v81, v81, v72, s12
	v_cmp_eq_u32_e64 s15, 7, v78
	v_cndmask_b32_e64 v88, v88, v96, s13
	v_cndmask_b32_e64 v87, v87, v86, s12
	v_cmp_eq_u32_e64 s16, 6, v79
	v_cmp_eq_u32_e64 s17, 2, v77
	v_cndmask_b32_e64 v89, v89, v85, s11
	v_cndmask_b32_e64 v101, v81, v97, s15
	;; [unrolled: 1-line block ×6, first 2 shown]
	v_cmp_eq_u32_e64 s18, 7, v79
	v_cmp_eq_u32_e64 s19, 3, v77
	;; [unrolled: 1-line block ×4, first 2 shown]
	v_cndmask_b32_e64 v87, v87, v84, s17
	v_cndmask_b32_e64 v103, v88, v97, s18
	;; [unrolled: 1-line block ×4, first 2 shown]
	v_or_b32_e32 v81, 3, v78
	v_cndmask_b32_e64 v93, v87, v98, s19
	v_cmp_eq_u32_e64 s24, 6, v77
	v_cndmask_b32_e64 v104, v88, v86, s16
	v_cndmask_b32_e64 v92, v89, v71, s20
	v_cmp_eq_u32_e64 s21, 1, v81
	ds_load_b128 v[87:90], v82 offset:1024
	v_cmp_eq_u32_e64 s23, 2, v81
	v_cmp_eq_u32_e64 s25, 3, v81
	v_cndmask_b32_e64 v105, v92, v96, s22
	v_cndmask_b32_e64 v66, v69, v66, s21
	;; [unrolled: 1-line block ×4, first 2 shown]
	ds_load_b128 v[91:94], v82 offset:1040
	v_cmp_eq_u32_e64 s26, 4, v81
	v_cndmask_b32_e64 v66, v66, v70, s23
	v_cmp_eq_u32_e64 s27, 7, v77
	v_cndmask_b32_e64 v70, v83, v84, s23
	v_cndmask_b32_e64 v84, v105, v72, s24
	v_cmp_eq_u32_e64 s28, 5, v81
	v_cndmask_b32_e64 v66, v66, v95, s25
	v_cmp_eq_u32_e64 s29, 6, v81
	v_cndmask_b32_e64 v70, v70, v98, s25
	v_cndmask_b32_e64 v69, v69, v99, s22
	;; [unrolled: 1-line block ×4, first 2 shown]
	s_waitcnt lgkmcnt(1)
	v_lshrrev_b32_e32 v95, 16, v87
	v_cndmask_b32_e64 v70, v70, v85, s26
	v_cndmask_b32_e64 v71, v84, v97, s27
	v_cndmask_b32_e64 v69, v69, v86, s24
	v_cndmask_b32_e64 v66, v66, v96, s28
	v_cndmask_b32_e32 v84, v87, v95, vcc_lo
	v_cndmask_b32_e64 v70, v70, v99, s28
	s_waitcnt lgkmcnt(0)
	v_lshrrev_b32_e32 v85, 16, v91
	v_lshrrev_b32_e32 v96, 16, v88
	v_cndmask_b32_e64 v98, v87, v95, s3
	v_cndmask_b32_e64 v84, v84, v88, s4
	;; [unrolled: 1-line block ×3, first 2 shown]
	v_cndmask_b32_e32 v99, v91, v85, vcc_lo
	v_cmp_eq_u32_e32 vcc_lo, 7, v81
	v_cndmask_b32_e64 v66, v66, v72, s29
	v_cndmask_b32_e64 v72, v84, v96, s7
	;; [unrolled: 1-line block ×3, first 2 shown]
	v_lshrrev_b32_e32 v98, 16, v92
	v_cndmask_b32_e32 v70, v70, v100, vcc_lo
	v_cndmask_b32_e64 v86, v99, v92, s4
	v_cndmask_b32_e64 v69, v69, v100, s27
	v_lshrrev_b32_e32 v100, 16, v93
	v_cndmask_b32_e64 v72, v72, v89, s9
	v_lshrrev_b32_e32 v99, 16, v89
	v_cndmask_b32_e64 v86, v86, v98, s7
	v_perm_b32 v71, v69, v71, 0x5040100
	v_cndmask_b32_e64 v84, v84, v96, s8
	s_delay_alu instid0(VALU_DEP_3) | instskip(NEXT) | instid1(VALU_DEP_2)
	v_cndmask_b32_e64 v86, v86, v93, s9
	v_cndmask_b32_e64 v84, v84, v89, s11
	s_delay_alu instid0(VALU_DEP_2) | instskip(NEXT) | instid1(VALU_DEP_1)
	v_cndmask_b32_e64 v86, v86, v100, s10
	v_cndmask_b32_e64 v69, v86, v94, s12
	;; [unrolled: 1-line block ×5, first 2 shown]
	s_delay_alu instid0(VALU_DEP_3) | instskip(NEXT) | instid1(VALU_DEP_3)
	v_cndmask_b32_e64 v86, v86, v88, s17
	v_cndmask_b32_e64 v87, v87, v88, s23
	s_delay_alu instid0(VALU_DEP_3) | instskip(NEXT) | instid1(VALU_DEP_3)
	v_cndmask_b32_e64 v88, v95, v92, s23
	v_cndmask_b32_e64 v86, v86, v96, s19
	;; [unrolled: 3-line block ×7, first 2 shown]
	s_delay_alu instid0(VALU_DEP_3) | instskip(SKIP_2) | instid1(VALU_DEP_2)
	v_cndmask_b32_e64 v88, v88, v94, s29
	v_cndmask_b32_e32 v66, v66, v97, vcc_lo
	v_cndmask_b32_e64 v97, v72, v99, s10
	v_perm_b32 v72, v70, v66, 0x5040100
	v_perm_b32 v70, v83, v103, 0x5040100
	v_cndmask_b32_e64 v103, v91, v85, s5
	v_cndmask_b32_e64 v85, v91, v85, s3
	;; [unrolled: 1-line block ×4, first 2 shown]
	v_lshrrev_b32_e32 v97, 16, v90
	v_cndmask_b32_e64 v91, v103, v92, s17
	v_cndmask_b32_e64 v85, v85, v92, s6
	;; [unrolled: 1-line block ×3, first 2 shown]
	s_mov_b32 s3, exec_lo
	v_cndmask_b32_e64 v83, v84, v97, s15
	v_cndmask_b32_e64 v91, v91, v98, s19
	;; [unrolled: 1-line block ×3, first 2 shown]
	v_lshrrev_b32_e32 v84, 16, v94
	v_cndmask_b32_e64 v66, v66, v97, s18
	v_cndmask_b32_e64 v90, v86, v97, s27
	;; [unrolled: 1-line block ×4, first 2 shown]
	v_dual_cndmask_b32 v86, v87, v97 :: v_dual_cndmask_b32 v87, v88, v84
	v_cndmask_b32_e64 v91, v69, v84, s15
	s_delay_alu instid0(VALU_DEP_4) | instskip(NEXT) | instid1(VALU_DEP_4)
	v_cndmask_b32_e64 v89, v89, v100, s22
	v_cndmask_b32_e64 v85, v85, v100, s13
	v_perm_b32 v69, v102, v101, 0x5040100
	v_perm_b32 v86, v87, v86, 0x5040100
	;; [unrolled: 1-line block ×3, first 2 shown]
	v_cndmask_b32_e64 v89, v89, v94, s24
	v_cndmask_b32_e64 v85, v85, v94, s16
	s_mul_i32 s8, s35, 12
	s_delay_alu instid0(VALU_DEP_2) | instskip(NEXT) | instid1(VALU_DEP_2)
	v_cndmask_b32_e64 v88, v89, v84, s27
	v_cndmask_b32_e64 v89, v85, v84, s18
	s_delay_alu instid0(VALU_DEP_2) | instskip(NEXT) | instid1(VALU_DEP_2)
	v_perm_b32 v85, v88, v90, 0x5040100
	v_perm_b32 v84, v89, v66, 0x5040100
	ds_store_b128 v76, v[69:72]
	ds_store_b128 v76, v[83:86] offset:1024
	v_cmpx_gt_u32_e32 12, v0
	s_cbranch_execz .LBB1477_78
; %bb.77:
	s_mul_i32 s4, s8, s30
	s_delay_alu instid0(SALU_CYCLE_1) | instskip(SKIP_1) | instid1(VALU_DEP_1)
	v_add3_u32 v69, s4, s31, v65
	s_load_b128 s[4:7], s[0:1], 0x58
	v_mad_u64_u32 v[65:66], null, v69, s34, s[14:15]
	s_delay_alu instid0(VALU_DEP_1) | instskip(NEXT) | instid1(VALU_DEP_1)
	v_ashrrev_i32_e32 v66, 31, v65
	v_lshlrev_b64 v[65:66], 2, v[65:66]
	s_waitcnt lgkmcnt(0)
	s_delay_alu instid0(VALU_DEP_1) | instskip(NEXT) | instid1(VALU_DEP_2)
	v_add_co_u32 v69, vcc_lo, s6, v65
	v_add_co_ci_u32_e32 v70, vcc_lo, s7, v66, vcc_lo
	v_add_co_u32 v65, vcc_lo, s4, v65
	v_add_co_ci_u32_e32 v66, vcc_lo, s5, v66, vcc_lo
	global_store_b32 v[69:70], v67, off
	global_store_b32 v[65:66], v68, off
.LBB1477_78:
	s_or_b32 exec_lo, exec_lo, s3
	s_waitcnt lgkmcnt(0)
	s_waitcnt_vscnt null, 0x0
	s_barrier
	buffer_gl0_inv
	ds_load_b128 v[83:86], v80
	ds_load_b128 v[87:90], v80 offset:16
	ds_load_b128 v[95:98], v80 offset:2064
	ds_load_b128 v[91:94], v80 offset:2048
	v_mov_b32_e32 v65, 0
	ds_load_b128 v[103:106], v80 offset:4112
	ds_load_b128 v[99:102], v80 offset:4096
	;; [unrolled: 1-line block ×4, first 2 shown]
	v_mov_b32_e32 v66, v65
	v_mov_b32_e32 v67, v65
	;; [unrolled: 1-line block ×7, first 2 shown]
	s_waitcnt lgkmcnt(6)
	s_delay_alu instid0(VALU_DEP_1)
	v_wmma_f32_16x16x16_bf16 v[65:72], v[57:64], v[83:90], v[65:72]
	ds_load_b128 v[61:64], v80 offset:8208
	ds_load_b128 v[57:60], v80 offset:8192
	s_waitcnt lgkmcnt(6)
	v_wmma_f32_16x16x16_bf16 v[65:72], v[41:48], v[91:98], v[65:72]
	ds_load_b128 v[45:48], v80 offset:10256
	ds_load_b128 v[41:44], v80 offset:10240
	s_waitcnt lgkmcnt(6)
	v_wmma_f32_16x16x16_bf16 v[65:72], v[33:40], v[99:106], v[65:72]
	ds_load_b128 v[37:40], v80 offset:12304
	ds_load_b128 v[33:36], v80 offset:12288
	s_waitcnt lgkmcnt(6)
	v_wmma_f32_16x16x16_bf16 v[65:72], v[25:32], v[107:114], v[65:72]
	ds_load_b128 v[29:32], v80 offset:14352
	ds_load_b128 v[25:28], v80 offset:14336
	s_waitcnt lgkmcnt(6)
	v_wmma_f32_16x16x16_bf16 v[65:72], v[1:8], v[57:64], v[65:72]
	s_waitcnt lgkmcnt(4)
	s_delay_alu instid0(VALU_DEP_1) | instskip(SKIP_1) | instid1(VALU_DEP_1)
	v_wmma_f32_16x16x16_bf16 v[65:72], v[9:16], v[41:48], v[65:72]
	s_waitcnt lgkmcnt(2)
	v_wmma_f32_16x16x16_bf16 v[65:72], v[17:24], v[33:40], v[65:72]
	s_waitcnt lgkmcnt(0)
	s_delay_alu instid0(VALU_DEP_1) | instskip(NEXT) | instid1(VALU_DEP_1)
	v_wmma_f32_16x16x16_bf16 v[65:72], v[49:56], v[25:32], v[65:72]
	v_and_b32_e32 v1, 0x7f800000, v65
	s_delay_alu instid0(VALU_DEP_1) | instskip(SKIP_1) | instid1(SALU_CYCLE_1)
	v_cmp_ne_u32_e32 vcc_lo, 0x7f800000, v1
                                        ; implicit-def: $vgpr1
	s_and_saveexec_b32 s3, vcc_lo
	s_xor_b32 s3, exec_lo, s3
; %bb.79:
	v_bfe_u32 v1, v65, 16, 1
	s_delay_alu instid0(VALU_DEP_1)
	v_add3_u32 v1, v65, v1, 0x7fff
; %bb.80:
	s_and_not1_saveexec_b32 s3, s3
; %bb.81:
	v_and_b32_e32 v1, 0xffff, v65
	v_or_b32_e32 v2, 0x10000, v65
	s_delay_alu instid0(VALU_DEP_2) | instskip(NEXT) | instid1(VALU_DEP_2)
	v_cmp_eq_u32_e32 vcc_lo, 0, v1
	v_cndmask_b32_e32 v1, v2, v65, vcc_lo
; %bb.82:
	s_or_b32 exec_lo, exec_lo, s3
	v_and_b32_e32 v2, 0x7f800000, v66
	s_delay_alu instid0(VALU_DEP_1) | instskip(SKIP_1) | instid1(SALU_CYCLE_1)
	v_cmp_ne_u32_e32 vcc_lo, 0x7f800000, v2
                                        ; implicit-def: $vgpr2
	s_and_saveexec_b32 s3, vcc_lo
	s_xor_b32 s3, exec_lo, s3
; %bb.83:
	v_bfe_u32 v2, v66, 16, 1
	s_delay_alu instid0(VALU_DEP_1)
	v_add3_u32 v2, v66, v2, 0x7fff
; %bb.84:
	s_and_not1_saveexec_b32 s3, s3
; %bb.85:
	v_and_b32_e32 v2, 0xffff, v66
	v_or_b32_e32 v3, 0x10000, v66
	s_delay_alu instid0(VALU_DEP_2) | instskip(NEXT) | instid1(VALU_DEP_2)
	v_cmp_eq_u32_e32 vcc_lo, 0, v2
	v_cndmask_b32_e32 v2, v3, v66, vcc_lo
; %bb.86:
	s_or_b32 exec_lo, exec_lo, s3
	v_and_b32_e32 v3, 0x7f800000, v67
	s_delay_alu instid0(VALU_DEP_1) | instskip(SKIP_1) | instid1(SALU_CYCLE_1)
	v_cmp_ne_u32_e32 vcc_lo, 0x7f800000, v3
                                        ; implicit-def: $vgpr3
	s_and_saveexec_b32 s3, vcc_lo
	s_xor_b32 s3, exec_lo, s3
; %bb.87:
	v_bfe_u32 v3, v67, 16, 1
	s_delay_alu instid0(VALU_DEP_1)
	v_add3_u32 v3, v67, v3, 0x7fff
; %bb.88:
	s_and_not1_saveexec_b32 s3, s3
; %bb.89:
	v_and_b32_e32 v3, 0xffff, v67
	v_or_b32_e32 v4, 0x10000, v67
	s_delay_alu instid0(VALU_DEP_2) | instskip(NEXT) | instid1(VALU_DEP_2)
	v_cmp_eq_u32_e32 vcc_lo, 0, v3
	v_cndmask_b32_e32 v3, v4, v67, vcc_lo
; %bb.90:
	s_or_b32 exec_lo, exec_lo, s3
	v_and_b32_e32 v4, 0x7f800000, v68
	s_delay_alu instid0(VALU_DEP_1) | instskip(SKIP_1) | instid1(SALU_CYCLE_1)
	v_cmp_ne_u32_e32 vcc_lo, 0x7f800000, v4
                                        ; implicit-def: $vgpr4
	s_and_saveexec_b32 s3, vcc_lo
	s_xor_b32 s3, exec_lo, s3
; %bb.91:
	v_bfe_u32 v4, v68, 16, 1
	s_delay_alu instid0(VALU_DEP_1)
	v_add3_u32 v4, v68, v4, 0x7fff
; %bb.92:
	s_and_not1_saveexec_b32 s3, s3
; %bb.93:
	v_and_b32_e32 v4, 0xffff, v68
	v_or_b32_e32 v5, 0x10000, v68
	s_delay_alu instid0(VALU_DEP_2) | instskip(NEXT) | instid1(VALU_DEP_2)
	v_cmp_eq_u32_e32 vcc_lo, 0, v4
	v_cndmask_b32_e32 v4, v5, v68, vcc_lo
; %bb.94:
	s_or_b32 exec_lo, exec_lo, s3
	v_and_b32_e32 v5, 0x7f800000, v69
	s_delay_alu instid0(VALU_DEP_1) | instskip(SKIP_1) | instid1(SALU_CYCLE_1)
	v_cmp_ne_u32_e32 vcc_lo, 0x7f800000, v5
                                        ; implicit-def: $vgpr5
	s_and_saveexec_b32 s3, vcc_lo
	s_xor_b32 s3, exec_lo, s3
; %bb.95:
	v_bfe_u32 v5, v69, 16, 1
	s_delay_alu instid0(VALU_DEP_1)
	v_add3_u32 v5, v69, v5, 0x7fff
; %bb.96:
	s_and_not1_saveexec_b32 s3, s3
; %bb.97:
	v_and_b32_e32 v5, 0xffff, v69
	v_or_b32_e32 v6, 0x10000, v69
	s_delay_alu instid0(VALU_DEP_2) | instskip(NEXT) | instid1(VALU_DEP_2)
	v_cmp_eq_u32_e32 vcc_lo, 0, v5
	v_cndmask_b32_e32 v5, v6, v69, vcc_lo
; %bb.98:
	s_or_b32 exec_lo, exec_lo, s3
	v_and_b32_e32 v6, 0x7f800000, v70
	s_delay_alu instid0(VALU_DEP_1) | instskip(SKIP_1) | instid1(SALU_CYCLE_1)
	v_cmp_ne_u32_e32 vcc_lo, 0x7f800000, v6
                                        ; implicit-def: $vgpr6
	s_and_saveexec_b32 s3, vcc_lo
	s_xor_b32 s3, exec_lo, s3
; %bb.99:
	v_bfe_u32 v6, v70, 16, 1
	s_delay_alu instid0(VALU_DEP_1)
	v_add3_u32 v6, v70, v6, 0x7fff
; %bb.100:
	s_and_not1_saveexec_b32 s3, s3
; %bb.101:
	v_and_b32_e32 v6, 0xffff, v70
	v_or_b32_e32 v7, 0x10000, v70
	s_delay_alu instid0(VALU_DEP_2) | instskip(NEXT) | instid1(VALU_DEP_2)
	v_cmp_eq_u32_e32 vcc_lo, 0, v6
	v_cndmask_b32_e32 v6, v7, v70, vcc_lo
; %bb.102:
	s_or_b32 exec_lo, exec_lo, s3
	v_and_b32_e32 v7, 0x7f800000, v71
	s_delay_alu instid0(VALU_DEP_1) | instskip(SKIP_1) | instid1(SALU_CYCLE_1)
	v_cmp_ne_u32_e32 vcc_lo, 0x7f800000, v7
                                        ; implicit-def: $vgpr7
	s_and_saveexec_b32 s3, vcc_lo
	s_xor_b32 s3, exec_lo, s3
; %bb.103:
	v_bfe_u32 v7, v71, 16, 1
	s_delay_alu instid0(VALU_DEP_1)
	v_add3_u32 v7, v71, v7, 0x7fff
; %bb.104:
	s_and_not1_saveexec_b32 s3, s3
; %bb.105:
	v_and_b32_e32 v7, 0xffff, v71
	v_or_b32_e32 v8, 0x10000, v71
	s_delay_alu instid0(VALU_DEP_2) | instskip(NEXT) | instid1(VALU_DEP_2)
	v_cmp_eq_u32_e32 vcc_lo, 0, v7
	v_cndmask_b32_e32 v7, v8, v71, vcc_lo
; %bb.106:
	s_or_b32 exec_lo, exec_lo, s3
	v_and_b32_e32 v8, 0x7f800000, v72
	s_delay_alu instid0(VALU_DEP_1) | instskip(SKIP_1) | instid1(SALU_CYCLE_1)
	v_cmp_ne_u32_e32 vcc_lo, 0x7f800000, v8
                                        ; implicit-def: $vgpr8
	s_and_saveexec_b32 s3, vcc_lo
	s_xor_b32 s3, exec_lo, s3
; %bb.107:
	v_bfe_u32 v8, v72, 16, 1
	s_delay_alu instid0(VALU_DEP_1)
	v_add3_u32 v8, v72, v8, 0x7fff
                                        ; implicit-def: $vgpr65_vgpr66_vgpr67_vgpr68_vgpr69_vgpr70_vgpr71_vgpr72
; %bb.108:
	s_and_not1_saveexec_b32 s3, s3
; %bb.109:
	v_and_b32_e32 v8, 0xffff, v72
	v_or_b32_e32 v9, 0x10000, v72
	s_delay_alu instid0(VALU_DEP_2) | instskip(NEXT) | instid1(VALU_DEP_2)
	v_cmp_eq_u32_e32 vcc_lo, 0, v8
	v_cndmask_b32_e32 v8, v9, v72, vcc_lo
; %bb.110:
	s_or_b32 exec_lo, exec_lo, s3
	s_delay_alu instid0(VALU_DEP_1)
	v_perm_b32 v7, v8, v7, 0x7060302
	v_perm_b32 v6, v6, v5, 0x7060302
	;; [unrolled: 1-line block ×4, first 2 shown]
	s_barrier
	buffer_gl0_inv
	v_cmp_eq_u32_e32 vcc_lo, 1, v78
	ds_store_b128 v76, v[4:7]
	s_waitcnt lgkmcnt(0)
	s_barrier
	buffer_gl0_inv
	ds_load_b128 v[1:4], v82
	ds_load_b128 v[5:8], v82 offset:16
	v_cmp_eq_u32_e64 s3, 1, v79
	v_cmp_eq_u32_e64 s4, 2, v78
	;; [unrolled: 1-line block ×5, first 2 shown]
	s_waitcnt lgkmcnt(1)
	v_lshrrev_b32_e32 v9, 16, v1
	s_waitcnt lgkmcnt(0)
	v_lshrrev_b32_e32 v13, 16, v5
	v_lshrrev_b32_e32 v10, 16, v2
	;; [unrolled: 1-line block ×4, first 2 shown]
	v_cndmask_b32_e64 v19, v1, v9, s3
	v_cndmask_b32_e32 v18, v5, v13, vcc_lo
	v_cndmask_b32_e64 v20, v5, v13, s3
	v_cndmask_b32_e32 v17, v1, v9, vcc_lo
	v_cmp_eq_u32_e32 vcc_lo, 2, v79
	v_lshrrev_b32_e32 v15, 16, v7
	v_cmp_eq_u32_e64 s3, 1, v77
	v_lshrrev_b32_e32 v12, 16, v4
	v_lshrrev_b32_e32 v16, 16, v8
	v_cndmask_b32_e32 v20, v20, v6, vcc_lo
	v_cndmask_b32_e64 v17, v17, v2, s4
	v_cndmask_b32_e32 v19, v19, v2, vcc_lo
	v_cndmask_b32_e64 v18, v18, v6, s4
	v_cmp_eq_u32_e32 vcc_lo, 4, v78
	v_cmp_eq_u32_e64 s4, 3, v79
	v_cndmask_b32_e64 v17, v17, v10, s5
	v_cndmask_b32_e64 v21, v1, v9, s3
	;; [unrolled: 1-line block ×5, first 2 shown]
	v_cndmask_b32_e32 v17, v17, v3, vcc_lo
	v_cndmask_b32_e64 v20, v20, v14, s4
	v_cndmask_b32_e32 v18, v18, v7, vcc_lo
	v_cmp_eq_u32_e32 vcc_lo, 4, v79
	v_cmp_eq_u32_e64 s4, 5, v79
	v_cmp_eq_u32_e64 s3, 2, v81
	v_cndmask_b32_e64 v21, v21, v2, s7
	v_cmp_eq_u32_e64 s5, 5, v78
	v_cndmask_b32_e32 v19, v19, v3, vcc_lo
	v_cndmask_b32_e32 v20, v20, v7, vcc_lo
	v_cmp_eq_u32_e32 vcc_lo, 6, v79
	s_delay_alu instid0(VALU_DEP_4) | instskip(NEXT) | instid1(VALU_DEP_4)
	v_cndmask_b32_e64 v17, v17, v11, s5
	v_cndmask_b32_e64 v19, v19, v11, s4
	s_delay_alu instid0(VALU_DEP_4) | instskip(SKIP_1) | instid1(VALU_DEP_3)
	v_cndmask_b32_e64 v20, v20, v15, s4
	v_cmp_eq_u32_e64 s4, 1, v81
	v_cndmask_b32_e32 v19, v19, v4, vcc_lo
	v_cndmask_b32_e64 v18, v18, v15, s5
	s_delay_alu instid0(VALU_DEP_3)
	v_cndmask_b32_e64 v1, v1, v9, s4
	v_cndmask_b32_e64 v5, v5, v13, s4
	v_cmp_eq_u32_e64 s4, 3, v77
	v_cndmask_b32_e64 v13, v22, v6, s7
	v_cmp_eq_u32_e64 s7, 3, v81
	v_cndmask_b32_e64 v1, v1, v2, s3
	v_cndmask_b32_e64 v2, v5, v6, s3
	;; [unrolled: 1-line block ×3, first 2 shown]
	v_cmp_eq_u32_e64 s3, 4, v77
	v_cndmask_b32_e64 v6, v13, v14, s4
	v_cndmask_b32_e64 v1, v1, v10, s7
	v_cmp_eq_u32_e64 s4, 4, v81
	v_cndmask_b32_e64 v2, v2, v14, s7
	v_cndmask_b32_e64 v5, v9, v3, s3
	;; [unrolled: 3-line block ×3, first 2 shown]
	v_cndmask_b32_e64 v2, v2, v7, s4
	v_cmp_eq_u32_e64 s3, 5, v81
	v_cmp_eq_u32_e64 s5, 6, v78
	v_cndmask_b32_e64 v5, v5, v11, s7
	v_cmp_eq_u32_e64 s4, 6, v77
	v_cndmask_b32_e64 v3, v6, v15, s7
	v_cndmask_b32_e64 v1, v1, v11, s3
	v_cmp_eq_u32_e64 s7, 6, v81
	v_cndmask_b32_e64 v2, v2, v15, s3
	v_cndmask_b32_e64 v17, v17, v4, s5
	v_cndmask_b32_e64 v18, v18, v8, s5
	v_cmp_eq_u32_e64 s5, 7, v78
	v_cndmask_b32_e64 v5, v5, v4, s4
	v_cndmask_b32_e64 v3, v3, v8, s4
	v_cndmask_b32_e64 v1, v1, v4, s7
	v_cmp_eq_u32_e64 s3, 7, v81
	v_cndmask_b32_e64 v2, v2, v8, s7
	v_cmp_eq_u32_e64 s4, 7, v77
	v_cndmask_b32_e32 v4, v20, v8, vcc_lo
	v_cndmask_b32_e64 v17, v17, v12, s5
	v_cndmask_b32_e64 v19, v19, v12, s6
	v_cndmask_b32_e64 v1, v1, v12, s3
	v_cndmask_b32_e64 v5, v5, v12, s4
	v_cndmask_b32_e64 v2, v2, v16, s3
	v_cndmask_b32_e64 v3, v3, v16, s4
	v_cndmask_b32_e64 v6, v4, v16, s6
	v_cndmask_b32_e64 v7, v18, v16, s5
	v_cmp_gt_u32_e32 vcc_lo, 32, v0
	v_perm_b32 v4, v2, v1, 0x5040100
	v_perm_b32 v3, v3, v5, 0x5040100
	;; [unrolled: 1-line block ×4, first 2 shown]
	s_and_b32 s2, vcc_lo, s2
	ds_store_b128 v76, v[1:4]
	s_waitcnt lgkmcnt(0)
	s_barrier
	buffer_gl0_inv
	s_and_saveexec_b32 s3, s2
	s_cbranch_execz .LBB1477_2
; %bb.111:
	s_load_b64 s[0:1], s[0:1], 0x68
	v_lshlrev_b32_e32 v0, 10, v0
	s_lshl_b32 s4, s34, 6
	v_or_b32_e32 v3, s31, v74
	s_mul_i32 s2, s4, s30
	v_lshlrev_b32_e32 v1, 4, v75
	s_mul_i32 s2, s2, s8
	v_lshlrev_b32_e32 v2, 6, v74
	v_and_b32_e32 v0, 0x3800, v0
	s_ashr_i32 s3, s2, 31
	v_mul_lo_u32 v4, v3, s4
	s_lshl_b64 s[2:3], s[2:3], 1
	s_delay_alu instid0(VALU_DEP_2) | instskip(NEXT) | instid1(VALU_DEP_2)
	v_or3_b32 v16, v0, v1, v2
	v_ashrrev_i32_e32 v5, 31, v4
	ds_load_b128 v[0:3], v16
	s_waitcnt lgkmcnt(0)
	s_add_u32 s2, s0, s2
	s_addc_u32 s3, s1, s3
	s_lshl_b32 s0, s14, 6
	v_lshlrev_b64 v[5:6], 1, v[4:5]
	s_ashr_i32 s1, s0, 31
	s_delay_alu instid0(SALU_CYCLE_1) | instskip(NEXT) | instid1(SALU_CYCLE_1)
	s_lshl_b64 s[0:1], s[0:1], 1
	s_add_u32 s0, s2, s0
	s_addc_u32 s1, s3, s1
	s_lshl_b32 s2, s34, 7
	v_add_co_u32 v30, s0, s0, v73
	v_add_nc_u32_e32 v8, s2, v4
	v_add_co_ci_u32_e64 v31, null, s1, 0, s0
	s_delay_alu instid0(VALU_DEP_3) | instskip(NEXT) | instid1(VALU_DEP_3)
	v_add_co_u32 v12, vcc_lo, v30, v5
	v_add_nc_u32_e32 v10, s2, v8
	v_ashrrev_i32_e32 v9, 31, v8
	s_delay_alu instid0(VALU_DEP_4)
	v_add_co_ci_u32_e32 v13, vcc_lo, v31, v6, vcc_lo
	ds_load_b128 v[4:7], v16 offset:128
	v_ashrrev_i32_e32 v11, 31, v10
	v_lshlrev_b64 v[8:9], 1, v[8:9]
	v_add_nc_u32_e32 v14, s2, v10
	global_store_b128 v[12:13], v[0:3], off
	v_lshlrev_b64 v[0:1], 1, v[10:11]
	v_ashrrev_i32_e32 v15, 31, v14
	v_add_co_u32 v22, vcc_lo, v30, v8
	v_add_nc_u32_e32 v20, s2, v14
	v_add_co_ci_u32_e32 v23, vcc_lo, v31, v9, vcc_lo
	v_add_co_u32 v26, vcc_lo, v30, v0
	v_lshlrev_b64 v[24:25], 1, v[14:15]
	v_add_co_ci_u32_e32 v27, vcc_lo, v31, v1, vcc_lo
	ds_load_b128 v[0:3], v16 offset:256
	ds_load_b128 v[8:11], v16 offset:384
	;; [unrolled: 1-line block ×4, first 2 shown]
	v_add_nc_u32_e32 v28, s2, v20
	v_ashrrev_i32_e32 v21, 31, v20
	v_add_co_u32 v24, vcc_lo, v30, v24
	v_add_co_ci_u32_e32 v25, vcc_lo, v31, v25, vcc_lo
	s_delay_alu instid0(VALU_DEP_4) | instskip(NEXT) | instid1(VALU_DEP_4)
	v_ashrrev_i32_e32 v29, 31, v28
	v_lshlrev_b64 v[20:21], 1, v[20:21]
	s_delay_alu instid0(VALU_DEP_2) | instskip(NEXT) | instid1(VALU_DEP_2)
	v_lshlrev_b64 v[28:29], 1, v[28:29]
	v_add_co_u32 v20, vcc_lo, v30, v20
	s_delay_alu instid0(VALU_DEP_3) | instskip(NEXT) | instid1(VALU_DEP_3)
	v_add_co_ci_u32_e32 v21, vcc_lo, v31, v21, vcc_lo
	v_add_co_u32 v28, vcc_lo, v30, v28
	s_delay_alu instid0(VALU_DEP_4)
	v_add_co_ci_u32_e32 v29, vcc_lo, v31, v29, vcc_lo
	s_waitcnt lgkmcnt(4)
	global_store_b128 v[22:23], v[4:7], off
	s_waitcnt lgkmcnt(3)
	global_store_b128 v[26:27], v[0:3], off
	;; [unrolled: 2-line block ×5, first 2 shown]
	s_nop 0
	s_sendmsg sendmsg(MSG_DEALLOC_VGPRS)
	s_endpgm
	.section	.rodata,"a",@progbits
	.p2align	6, 0x0
	.amdhsa_kernel _Z39paged_attention_ll4mi_QKV_mfma16_kernelI14__hip_bfloat16hLN4vllm18Fp8KVCacheDataTypeE1ES0_Li32ELi64ELi256ELb1ELi12EL8MFMAType1EEvPKT_PKT0_S9_ifPKiSB_SB_iPKfiiiPfSE_PS4_PT2_iSD_SD_
		.amdhsa_group_segment_fixed_size 17472
		.amdhsa_private_segment_fixed_size 0
		.amdhsa_kernarg_size 400
		.amdhsa_user_sgpr_count 13
		.amdhsa_user_sgpr_dispatch_ptr 0
		.amdhsa_user_sgpr_queue_ptr 0
		.amdhsa_user_sgpr_kernarg_segment_ptr 1
		.amdhsa_user_sgpr_dispatch_id 0
		.amdhsa_user_sgpr_private_segment_size 0
		.amdhsa_wavefront_size32 1
		.amdhsa_uses_dynamic_stack 0
		.amdhsa_enable_private_segment 0
		.amdhsa_system_sgpr_workgroup_id_x 1
		.amdhsa_system_sgpr_workgroup_id_y 1
		.amdhsa_system_sgpr_workgroup_id_z 1
		.amdhsa_system_sgpr_workgroup_info 0
		.amdhsa_system_vgpr_workitem_id 0
		.amdhsa_next_free_vgpr 124
		.amdhsa_next_free_sgpr 40
		.amdhsa_reserve_vcc 1
		.amdhsa_float_round_mode_32 0
		.amdhsa_float_round_mode_16_64 0
		.amdhsa_float_denorm_mode_32 3
		.amdhsa_float_denorm_mode_16_64 3
		.amdhsa_dx10_clamp 1
		.amdhsa_ieee_mode 1
		.amdhsa_fp16_overflow 0
		.amdhsa_workgroup_processor_mode 1
		.amdhsa_memory_ordered 1
		.amdhsa_forward_progress 0
		.amdhsa_shared_vgpr_count 0
		.amdhsa_exception_fp_ieee_invalid_op 0
		.amdhsa_exception_fp_denorm_src 0
		.amdhsa_exception_fp_ieee_div_zero 0
		.amdhsa_exception_fp_ieee_overflow 0
		.amdhsa_exception_fp_ieee_underflow 0
		.amdhsa_exception_fp_ieee_inexact 0
		.amdhsa_exception_int_div_zero 0
	.end_amdhsa_kernel
	.section	.text._Z39paged_attention_ll4mi_QKV_mfma16_kernelI14__hip_bfloat16hLN4vllm18Fp8KVCacheDataTypeE1ES0_Li32ELi64ELi256ELb1ELi12EL8MFMAType1EEvPKT_PKT0_S9_ifPKiSB_SB_iPKfiiiPfSE_PS4_PT2_iSD_SD_,"axG",@progbits,_Z39paged_attention_ll4mi_QKV_mfma16_kernelI14__hip_bfloat16hLN4vllm18Fp8KVCacheDataTypeE1ES0_Li32ELi64ELi256ELb1ELi12EL8MFMAType1EEvPKT_PKT0_S9_ifPKiSB_SB_iPKfiiiPfSE_PS4_PT2_iSD_SD_,comdat
.Lfunc_end1477:
	.size	_Z39paged_attention_ll4mi_QKV_mfma16_kernelI14__hip_bfloat16hLN4vllm18Fp8KVCacheDataTypeE1ES0_Li32ELi64ELi256ELb1ELi12EL8MFMAType1EEvPKT_PKT0_S9_ifPKiSB_SB_iPKfiiiPfSE_PS4_PT2_iSD_SD_, .Lfunc_end1477-_Z39paged_attention_ll4mi_QKV_mfma16_kernelI14__hip_bfloat16hLN4vllm18Fp8KVCacheDataTypeE1ES0_Li32ELi64ELi256ELb1ELi12EL8MFMAType1EEvPKT_PKT0_S9_ifPKiSB_SB_iPKfiiiPfSE_PS4_PT2_iSD_SD_
                                        ; -- End function
	.section	.AMDGPU.csdata,"",@progbits
; Kernel info:
; codeLenInByte = 8872
; NumSgprs: 42
; NumVgprs: 124
; ScratchSize: 0
; MemoryBound: 0
; FloatMode: 240
; IeeeMode: 1
; LDSByteSize: 17472 bytes/workgroup (compile time only)
; SGPRBlocks: 5
; VGPRBlocks: 15
; NumSGPRsForWavesPerEU: 42
; NumVGPRsForWavesPerEU: 124
; Occupancy: 10
; WaveLimiterHint : 1
; COMPUTE_PGM_RSRC2:SCRATCH_EN: 0
; COMPUTE_PGM_RSRC2:USER_SGPR: 13
; COMPUTE_PGM_RSRC2:TRAP_HANDLER: 0
; COMPUTE_PGM_RSRC2:TGID_X_EN: 1
; COMPUTE_PGM_RSRC2:TGID_Y_EN: 1
; COMPUTE_PGM_RSRC2:TGID_Z_EN: 1
; COMPUTE_PGM_RSRC2:TIDIG_COMP_CNT: 0
	.section	.text._Z39paged_attention_ll4mi_QKV_mfma16_kernelI14__hip_bfloat16hLN4vllm18Fp8KVCacheDataTypeE1ES0_Li32ELi64ELi256ELb1ELi13EL8MFMAType1EEvPKT_PKT0_S9_ifPKiSB_SB_iPKfiiiPfSE_PS4_PT2_iSD_SD_,"axG",@progbits,_Z39paged_attention_ll4mi_QKV_mfma16_kernelI14__hip_bfloat16hLN4vllm18Fp8KVCacheDataTypeE1ES0_Li32ELi64ELi256ELb1ELi13EL8MFMAType1EEvPKT_PKT0_S9_ifPKiSB_SB_iPKfiiiPfSE_PS4_PT2_iSD_SD_,comdat
	.protected	_Z39paged_attention_ll4mi_QKV_mfma16_kernelI14__hip_bfloat16hLN4vllm18Fp8KVCacheDataTypeE1ES0_Li32ELi64ELi256ELb1ELi13EL8MFMAType1EEvPKT_PKT0_S9_ifPKiSB_SB_iPKfiiiPfSE_PS4_PT2_iSD_SD_ ; -- Begin function _Z39paged_attention_ll4mi_QKV_mfma16_kernelI14__hip_bfloat16hLN4vllm18Fp8KVCacheDataTypeE1ES0_Li32ELi64ELi256ELb1ELi13EL8MFMAType1EEvPKT_PKT0_S9_ifPKiSB_SB_iPKfiiiPfSE_PS4_PT2_iSD_SD_
	.globl	_Z39paged_attention_ll4mi_QKV_mfma16_kernelI14__hip_bfloat16hLN4vllm18Fp8KVCacheDataTypeE1ES0_Li32ELi64ELi256ELb1ELi13EL8MFMAType1EEvPKT_PKT0_S9_ifPKiSB_SB_iPKfiiiPfSE_PS4_PT2_iSD_SD_
	.p2align	8
	.type	_Z39paged_attention_ll4mi_QKV_mfma16_kernelI14__hip_bfloat16hLN4vllm18Fp8KVCacheDataTypeE1ES0_Li32ELi64ELi256ELb1ELi13EL8MFMAType1EEvPKT_PKT0_S9_ifPKiSB_SB_iPKfiiiPfSE_PS4_PT2_iSD_SD_,@function
_Z39paged_attention_ll4mi_QKV_mfma16_kernelI14__hip_bfloat16hLN4vllm18Fp8KVCacheDataTypeE1ES0_Li32ELi64ELi256ELb1ELi13EL8MFMAType1EEvPKT_PKT0_S9_ifPKiSB_SB_iPKfiiiPfSE_PS4_PT2_iSD_SD_: ; @_Z39paged_attention_ll4mi_QKV_mfma16_kernelI14__hip_bfloat16hLN4vllm18Fp8KVCacheDataTypeE1ES0_Li32ELi64ELi256ELb1ELi13EL8MFMAType1EEvPKT_PKT0_S9_ifPKiSB_SB_iPKfiiiPfSE_PS4_PT2_iSD_SD_
; %bb.0:
	s_load_b64 s[2:3], s[0:1], 0x30
	s_mov_b32 s34, s13
	s_waitcnt lgkmcnt(0)
	s_cmp_lg_u64 s[2:3], 0
	s_cselect_b32 s8, -1, 0
	s_ashr_i32 s35, s13, 31
	s_cmp_eq_u64 s[2:3], 0
	s_cbranch_scc1 .LBB1478_3
; %bb.1:
	s_lshl_b64 s[4:5], s[34:35], 2
	s_delay_alu instid0(SALU_CYCLE_1) | instskip(SKIP_4) | instid1(SALU_CYCLE_1)
	s_add_u32 s4, s2, s4
	s_addc_u32 s5, s3, s5
	s_load_b64 s[4:5], s[4:5], 0x0
	s_waitcnt lgkmcnt(0)
	s_sub_i32 s4, s5, s4
	s_cmp_eq_u32 s4, 1
	s_cselect_b32 s4, -1, 0
	s_delay_alu instid0(SALU_CYCLE_1)
	s_and_not1_b32 vcc_lo, exec_lo, s4
	s_cbranch_vccz .LBB1478_4
.LBB1478_2:
	s_nop 0
	s_sendmsg sendmsg(MSG_DEALLOC_VGPRS)
	s_endpgm
.LBB1478_3:
.LBB1478_4:
	s_load_b64 s[4:5], s[0:1], 0x28
	s_lshl_b64 s[6:7], s[34:35], 2
	s_waitcnt lgkmcnt(0)
	s_add_u32 s4, s4, s6
	s_addc_u32 s5, s5, s7
	s_lshl_b32 s12, s14, 8
	s_load_b32 s24, s[4:5], 0x0
	s_waitcnt lgkmcnt(0)
	s_cmp_ge_i32 s12, s24
	s_cbranch_scc1 .LBB1478_2
; %bb.5:
	s_clause 0x1
	s_load_b128 s[20:23], s[0:1], 0x8
	s_load_b64 s[4:5], s[0:1], 0x20
	s_and_not1_b32 vcc_lo, exec_lo, s8
	s_cbranch_vccnz .LBB1478_7
; %bb.6:
	s_add_u32 s2, s2, s6
	s_addc_u32 s3, s3, s7
	s_load_b32 s3, s[2:3], 0x0
	s_branch .LBB1478_8
.LBB1478_7:
	s_mov_b32 s3, s34
.LBB1478_8:
	s_load_b128 s[16:19], s[0:1], 0x48
	v_lshrrev_b32_e32 v66, 5, v0
	v_bfe_u32 v74, v0, 4, 1
	v_and_b32_e32 v65, 15, v0
	v_and_b32_e32 v67, 31, v0
	;; [unrolled: 1-line block ×3, first 2 shown]
	s_mul_i32 s31, s15, 13
	v_lshl_or_b32 v1, v66, 1, v74
	v_lshlrev_b32_e32 v2, 3, v65
	v_cmp_gt_u32_e64 s2, 8, v65
	s_delay_alu instid0(VALU_DEP_3) | instskip(NEXT) | instid1(VALU_DEP_3)
	v_cmp_gt_u32_e32 vcc_lo, 13, v1
	v_lshlrev_b32_e32 v73, 1, v2
	s_delay_alu instid0(VALU_DEP_3) | instskip(NEXT) | instid1(SALU_CYCLE_1)
	s_and_b32 s7, s2, vcc_lo
	s_and_saveexec_b32 s6, s7
	s_cbranch_execz .LBB1478_10
; %bb.9:
	s_load_b64 s[8:9], s[0:1], 0x0
	v_add_lshl_u32 v2, v1, s31, 6
	s_waitcnt lgkmcnt(0)
	s_mul_hi_i32 s11, s3, s16
	s_mul_i32 s10, s3, s16
	v_lshlrev_b32_e32 v6, 10, v65
	s_lshl_b64 s[10:11], s[10:11], 1
	v_ashrrev_i32_e32 v3, 31, v2
	v_lshlrev_b32_e32 v1, 6, v1
	v_lshlrev_b32_e32 v7, 10, v75
	v_and_b32_e32 v6, 0x3800, v6
	s_delay_alu instid0(VALU_DEP_4) | instskip(NEXT) | instid1(VALU_DEP_2)
	v_lshlrev_b64 v[2:3], 1, v[2:3]
	v_or3_b32 v1, v6, v7, v1
	s_add_u32 s3, s8, s10
	s_addc_u32 s7, s9, s11
	s_delay_alu instid0(VALU_DEP_2) | instskip(NEXT) | instid1(VALU_DEP_3)
	v_add_co_u32 v2, vcc_lo, s3, v2
	v_add_co_ci_u32_e32 v3, vcc_lo, s7, v3, vcc_lo
	s_delay_alu instid0(VALU_DEP_2) | instskip(NEXT) | instid1(VALU_DEP_2)
	v_add_co_u32 v2, vcc_lo, v2, v73
	v_add_co_ci_u32_e32 v3, vcc_lo, 0, v3, vcc_lo
	global_load_b128 v[2:5], v[2:3], off
	s_waitcnt vmcnt(0)
	ds_store_b128 v1, v[2:5]
.LBB1478_10:
	s_or_b32 exec_lo, exec_lo, s6
	v_and_b32_e32 v1, 0xef, v0
	s_waitcnt lgkmcnt(0)
	s_add_i32 s3, s24, 31
	s_clause 0x1
	s_load_b32 s6, s[0:1], 0x38
	s_load_b32 s19, s[0:1], 0x1c
	s_ashr_i32 s7, s3, 31
	v_add_nc_u32_e32 v1, s12, v1
	s_lshr_b32 s7, s7, 27
	s_waitcnt lgkmcnt(0)
	s_add_i32 s3, s3, s7
	s_barrier
	v_ashrrev_i32_e32 v2, 31, v1
	v_or_b32_e32 v3, 16, v1
	s_ashr_i32 s3, s3, 5
	v_cmp_gt_i32_e32 vcc_lo, s24, v1
	s_add_i32 s3, s3, -1
	v_lshrrev_b32_e32 v2, 27, v2
	buffer_gl0_inv
	s_mul_i32 s27, s15, s18
	v_add_nc_u32_e32 v4, v1, v2
	s_mul_i32 s6, s34, s6
	s_delay_alu instid0(SALU_CYCLE_1) | instskip(NEXT) | instid1(VALU_DEP_1)
	s_ashr_i32 s7, s6, 31
	v_ashrrev_i32_e32 v4, 5, v4
	v_add_nc_u32_e32 v2, v3, v2
	s_lshl_b64 s[6:7], s[6:7], 2
	s_delay_alu instid0(SALU_CYCLE_1) | instskip(NEXT) | instid1(VALU_DEP_2)
	s_add_u32 s26, s4, s6
	v_cndmask_b32_e32 v1, s3, v4, vcc_lo
	s_delay_alu instid0(VALU_DEP_2)
	v_ashrrev_i32_e32 v2, 5, v2
	v_cmp_gt_i32_e32 vcc_lo, s24, v3
	s_addc_u32 s25, s5, s7
	s_ashr_i32 s28, s27, 31
	s_add_u32 s4, s20, s27
	s_addc_u32 s5, s21, s28
	v_cndmask_b32_e32 v3, s3, v2, vcc_lo
	v_ashrrev_i32_e32 v2, 31, v1
	s_lshl_b32 s6, s14, 3
	s_delay_alu instid0(SALU_CYCLE_1) | instskip(NEXT) | instid1(VALU_DEP_2)
	s_ashr_i32 s7, s6, 31
	v_ashrrev_i32_e32 v4, 31, v3
	s_delay_alu instid0(VALU_DEP_2) | instskip(SKIP_1) | instid1(SALU_CYCLE_1)
	v_lshlrev_b64 v[1:2], 2, v[1:2]
	s_lshl_b64 s[6:7], s[6:7], 2
	s_add_u32 s6, s26, s6
	s_delay_alu instid0(VALU_DEP_2) | instskip(SKIP_1) | instid1(VALU_DEP_2)
	v_lshlrev_b64 v[3:4], 2, v[3:4]
	s_addc_u32 s7, s25, s7
	v_add_co_u32 v1, vcc_lo, s26, v1
	v_add_co_ci_u32_e32 v2, vcc_lo, s25, v2, vcc_lo
	s_delay_alu instid0(VALU_DEP_3) | instskip(NEXT) | instid1(VALU_DEP_4)
	v_add_co_u32 v3, vcc_lo, s26, v3
	v_add_co_ci_u32_e32 v4, vcc_lo, s25, v4, vcc_lo
	s_clause 0x1
	global_load_b32 v5, v[1:2], off
	global_load_b32 v6, v[3:4], off
	s_or_b32 s8, s12, 32
	s_delay_alu instid0(SALU_CYCLE_1) | instskip(SKIP_2) | instid1(SALU_CYCLE_1)
	s_ashr_i32 s9, s8, 5
	s_cmp_lt_i32 s8, s24
	s_cselect_b32 s8, s9, s3
	s_ashr_i32 s9, s8, 31
	s_delay_alu instid0(SALU_CYCLE_1) | instskip(NEXT) | instid1(SALU_CYCLE_1)
	s_lshl_b64 s[8:9], s[8:9], 2
	s_add_u32 s8, s26, s8
	s_addc_u32 s9, s25, s9
	s_or_b32 s10, s12, 64
	s_delay_alu instid0(SALU_CYCLE_1) | instskip(SKIP_2) | instid1(SALU_CYCLE_1)
	s_ashr_i32 s11, s10, 5
	s_cmp_lt_i32 s10, s24
	s_cselect_b32 s10, s11, s3
	s_ashr_i32 s11, s10, 31
	s_delay_alu instid0(SALU_CYCLE_1) | instskip(NEXT) | instid1(SALU_CYCLE_1)
	s_lshl_b64 s[10:11], s[10:11], 2
	s_add_u32 s10, s26, s10
	s_addc_u32 s11, s25, s11
	;; [unrolled: 10-line block ×5, first 2 shown]
	s_clause 0x5
	s_load_b32 s21, s[6:7], 0x0
	s_load_b32 s13, s[8:9], 0x0
	;; [unrolled: 1-line block ×6, first 2 shown]
	s_or_b32 s8, s12, 0xc0
	s_delay_alu instid0(SALU_CYCLE_1) | instskip(SKIP_2) | instid1(SALU_CYCLE_1)
	s_ashr_i32 s9, s8, 5
	s_cmp_lt_i32 s8, s24
	s_cselect_b32 s36, s9, s3
	s_ashr_i32 s37, s36, 31
	s_delay_alu instid0(SALU_CYCLE_1) | instskip(NEXT) | instid1(SALU_CYCLE_1)
	s_lshl_b64 s[36:37], s[36:37], 2
	s_add_u32 s36, s26, s36
	s_addc_u32 s37, s25, s37
	s_or_b32 s29, s12, 0xe0
	s_delay_alu instid0(SALU_CYCLE_1)
	s_ashr_i32 s30, s29, 5
	s_cmp_lt_i32 s29, s24
	s_waitcnt vmcnt(1)
	v_mad_i64_i32 v[1:2], null, v5, s17, s[4:5]
	s_waitcnt vmcnt(0)
	v_mad_i64_i32 v[3:4], null, v6, s17, s[4:5]
	s_mov_b32 s4, 0
	s_delay_alu instid0(SALU_CYCLE_1)
	s_mov_b32 s5, s4
	s_mov_b32 s6, s4
	;; [unrolled: 1-line block ×7, first 2 shown]
	v_lshlrev_b32_e32 v5, 4, v65
	v_dual_mov_b32 v107, s11 :: v_dual_mov_b32 v102, s6
	v_mov_b32_e32 v100, s4
	v_mov_b32_e32 v106, s10
	s_delay_alu instid0(VALU_DEP_4)
	v_add_co_u32 v1, vcc_lo, v1, v5
	v_add_co_ci_u32_e32 v2, vcc_lo, 0, v2, vcc_lo
	v_add_co_u32 v3, vcc_lo, v3, v5
	v_add_co_ci_u32_e32 v4, vcc_lo, 0, v4, vcc_lo
	s_clause 0x7
	global_load_b128 v[49:52], v[1:2], off
	global_load_b128 v[53:56], v[1:2], off offset:512
	global_load_b128 v[76:79], v[3:4], off offset:256
	;; [unrolled: 1-line block ×7, first 2 shown]
	v_add_nc_u32_e32 v1, -13, v65
	v_cmp_gt_u32_e32 vcc_lo, 13, v65
	v_dual_mov_b32 v104, s8 :: v_dual_mov_b32 v103, s7
	v_dual_mov_b32 v101, s5 :: v_dual_lshlrev_b32 v2, 5, v65
	s_delay_alu instid0(VALU_DEP_4)
	v_cndmask_b32_e32 v1, v1, v65, vcc_lo
	v_mov_b32_e32 v105, s9
	s_cselect_b32 s4, s30, s3
	s_load_b32 s3, s[36:37], 0x0
	s_ashr_i32 s5, s4, 31
	v_lshlrev_b32_e32 v70, 6, v1
	s_lshl_b64 s[4:5], s[4:5], 2
	v_lshl_or_b32 v2, v66, 9, v2
	s_add_u32 s4, s26, s4
	s_addc_u32 s5, s25, s5
	ds_load_b128 v[108:111], v70
	ds_load_b128 v[112:115], v70 offset:1024
	s_load_b32 s4, s[4:5], 0x0
	s_add_u32 s6, s22, s27
	s_addc_u32 s7, s23, s28
	v_add_co_u32 v9, s6, s6, v2
	s_delay_alu instid0(VALU_DEP_1) | instskip(SKIP_1) | instid1(VALU_DEP_1)
	v_add_co_ci_u32_e64 v10, null, s7, 0, s6
	s_waitcnt lgkmcnt(0)
	v_mad_i64_i32 v[1:2], null, s21, s17, v[9:10]
	v_mad_i64_i32 v[3:4], null, s13, s17, v[9:10]
	;; [unrolled: 1-line block ×7, first 2 shown]
	s_clause 0x9
	global_load_b128 v[57:60], v[1:2], off
	global_load_b128 v[61:64], v[1:2], off offset:16
	global_load_b128 v[41:44], v[3:4], off
	global_load_b128 v[45:48], v[3:4], off offset:16
	;; [unrolled: 2-line block ×5, first 2 shown]
	v_mad_i64_i32 v[68:69], null, s4, s17, v[9:10]
	s_clause 0x3
	global_load_b128 v[9:12], v[13:14], off
	global_load_b128 v[13:16], v[13:14], off offset:16
	global_load_b128 v[17:20], v[21:22], off
	global_load_b128 v[21:24], v[21:22], off offset:16
	s_waitcnt vmcnt(20)
	v_wmma_f32_16x16x16_bf16 v[116:123], v[49:56], v[108:115], v[100:107]
	s_clause 0x1
	global_load_b128 v[49:52], v[68:69], off
	global_load_b128 v[53:56], v[68:69], off offset:16
	v_and_b32_e32 v68, 0xe0, v0
	v_mbcnt_lo_u32_b32 v69, -1, 0
	s_delay_alu instid0(VALU_DEP_2)
	v_add_nc_u32_e32 v68, s12, v68
	s_waitcnt vmcnt(20)
	v_wmma_f32_16x16x16_bf16 v[100:107], v[76:83], v[108:115], v[100:107]
	ds_load_b128 v[76:79], v70 offset:2048
	ds_load_b128 v[80:83], v70 offset:3072
	v_xor_b32_e32 v70, 16, v69
	s_waitcnt vmcnt(0) lgkmcnt(0)
	v_or_b32_e32 v68, v68, v74
	s_barrier
	buffer_gl0_inv
	v_cmp_gt_i32_e32 vcc_lo, 32, v70
	v_or_b32_e32 v71, 4, v68
	v_or_b32_e32 v72, 6, v68
	v_cmp_gt_i32_e64 s3, s24, v68
	v_or_b32_e32 v108, 8, v68
	v_or_b32_e32 v109, 10, v68
	v_cmp_gt_i32_e64 s4, s24, v71
	v_cmp_gt_i32_e64 s5, s24, v72
	s_delay_alu instid0(VALU_DEP_4) | instskip(NEXT) | instid1(VALU_DEP_4)
	v_cmp_gt_i32_e64 s6, s24, v108
	v_cmp_gt_i32_e64 s7, s24, v109
	v_wmma_f32_16x16x16_bf16 v[116:123], v[84:91], v[76:83], v[116:123]
	v_cndmask_b32_e32 v69, v69, v70, vcc_lo
	v_or_b32_e32 v70, 2, v68
	v_wmma_f32_16x16x16_bf16 v[100:107], v[92:99], v[76:83], v[100:107]
	v_or_b32_e32 v89, 22, v68
	v_dual_mul_f32 v80, s19, v121 :: v_dual_mul_f32 v81, s19, v120
	v_dual_mul_f32 v92, s19, v117 :: v_dual_mul_f32 v93, s19, v116
	s_delay_alu instid0(VALU_DEP_4)
	v_mul_f32_e32 v96, s19, v105
	v_cmp_gt_i32_e32 vcc_lo, s24, v70
	v_dual_mul_f32 v79, s19, v122 :: v_dual_mul_f32 v82, s19, v119
	v_dual_mul_f32 v83, s19, v118 :: v_dual_mul_f32 v94, s19, v107
	v_cndmask_b32_e64 v93, 0xff7fffff, v93, s3
	v_cndmask_b32_e32 v92, 0xff7fffff, v92, vcc_lo
	v_or_b32_e32 v84, 12, v68
	v_or_b32_e32 v85, 14, v68
	v_cndmask_b32_e64 v71, 0xff7fffff, v83, s4
	v_cndmask_b32_e64 v72, 0xff7fffff, v82, s5
	v_cmp_gt_i32_e64 s13, s24, v89
	v_lshlrev_b32_e32 v89, 2, v69
	v_max3_f32 v82, v93, 0xff7fffff, v92
	v_or_b32_e32 v86, 16, v68
	v_or_b32_e32 v87, 18, v68
	v_mul_f32_e32 v78, s19, v123
	v_cndmask_b32_e64 v81, 0xff7fffff, v81, s6
	v_cndmask_b32_e64 v80, 0xff7fffff, v80, s7
	v_max3_f32 v71, v82, v71, v72
	v_cmp_gt_i32_e64 s8, s24, v84
	v_cmp_gt_i32_e64 s9, s24, v85
	v_or_b32_e32 v88, 20, v68
	v_or_b32_e32 v90, 24, v68
	v_or_b32_e32 v91, 26, v68
	v_or_b32_e32 v76, 28, v68
	v_or_b32_e32 v77, 30, v68
	v_dual_mul_f32 v97, s19, v104 :: v_dual_mul_f32 v70, s19, v101
	v_dual_mul_f32 v99, s19, v102 :: v_dual_mul_f32 v68, s19, v100
	v_cndmask_b32_e64 v72, 0xff7fffff, v79, s8
	v_cndmask_b32_e64 v78, 0xff7fffff, v78, s9
	v_max3_f32 v71, v71, v81, v80
	v_cmp_gt_i32_e64 s10, s24, v86
	v_cmp_gt_i32_e64 s11, s24, v87
	v_dual_mul_f32 v95, s19, v106 :: v_dual_mul_f32 v98, s19, v103
	s_delay_alu instid0(VALU_DEP_4) | instskip(NEXT) | instid1(VALU_DEP_4)
	v_max3_f32 v71, v71, v72, v78
	v_cndmask_b32_e64 v68, 0xff7fffff, v68, s10
	s_delay_alu instid0(VALU_DEP_4)
	v_cndmask_b32_e64 v70, 0xff7fffff, v70, s11
	v_cmp_gt_i32_e64 s12, s24, v88
	v_cndmask_b32_e64 v78, 0xff7fffff, v98, s13
	v_cmp_gt_i32_e64 s15, s24, v90
	v_cmp_gt_i32_e64 s16, s24, v91
	v_max3_f32 v68, v71, v68, v70
	v_cndmask_b32_e64 v72, 0xff7fffff, v99, s12
	v_cmp_gt_i32_e64 s17, s24, v76
	v_cndmask_b32_e64 v70, 0xff7fffff, v97, s15
	v_cndmask_b32_e64 v71, 0xff7fffff, v96, s16
	v_cmp_gt_i32_e64 s18, s24, v77
	v_max3_f32 v68, v68, v72, v78
	v_cndmask_b32_e64 v72, 0xff7fffff, v95, s17
	s_delay_alu instid0(VALU_DEP_3) | instskip(NEXT) | instid1(VALU_DEP_3)
	v_cndmask_b32_e64 v76, 0xff7fffff, v94, s18
	v_max3_f32 v68, v68, v70, v71
	s_delay_alu instid0(VALU_DEP_1) | instskip(SKIP_3) | instid1(VALU_DEP_1)
	v_max3_f32 v68, v68, v72, v76
	ds_bpermute_b32 v69, v89, v68
	s_waitcnt lgkmcnt(0)
	v_max_f32_e32 v69, v69, v69
	v_max_f32_e32 v68, v68, v69
	s_delay_alu instid0(VALU_DEP_1) | instskip(NEXT) | instid1(VALU_DEP_1)
	v_fma_f32 v71, s19, v118, -v68
	v_mul_f32_e32 v71, 0x3fb8aa3b, v71
	v_fma_f32 v70, s19, v117, -v68
	v_fma_f32 v69, s19, v116, -v68
	;; [unrolled: 1-line block ×5, first 2 shown]
	s_delay_alu instid0(VALU_DEP_4) | instskip(SKIP_1) | instid1(VALU_DEP_3)
	v_dual_mul_f32 v70, 0x3fb8aa3b, v70 :: v_dual_mul_f32 v69, 0x3fb8aa3b, v69
	v_exp_f32_e32 v71, v71
	v_mul_f32_e32 v72, 0x3fb8aa3b, v72
	v_fma_f32 v81, s19, v105, -v68
	s_delay_alu instid0(VALU_DEP_3)
	v_exp_f32_e32 v70, v70
	v_mul_f32_e32 v77, 0x3fb8aa3b, v76
	v_exp_f32_e32 v69, v69
	v_exp_f32_e32 v72, v72
	v_mul_f32_e32 v81, 0x3fb8aa3b, v81
	v_cndmask_b32_e64 v83, 0, v71, s4
	v_fma_f32 v71, s19, v123, -v68
	s_delay_alu instid0(VALU_DEP_3) | instskip(SKIP_4) | instid1(TRANS32_DEP_3)
	v_exp_f32_e32 v81, v81
	v_cndmask_b32_e32 v76, 0, v70, vcc_lo
	v_exp_f32_e32 v77, v77
	v_cndmask_b32_e64 v80, 0, v69, s3
	v_fma_f32 v69, s19, v121, -v68
	v_cndmask_b32_e64 v85, 0, v72, s5
	v_mul_f32_e32 v71, 0x3fb8aa3b, v71
	v_fma_f32 v72, s19, v100, -v68
	s_delay_alu instid0(VALU_DEP_4) | instskip(SKIP_1) | instid1(VALU_DEP_4)
	v_dual_add_f32 v70, 0, v80 :: v_dual_mul_f32 v69, 0x3fb8aa3b, v69
	v_cmp_gt_u32_e64 s3, 16, v67
	v_exp_f32_e32 v71, v71
	s_delay_alu instid0(TRANS32_DEP_2) | instskip(SKIP_4) | instid1(VALU_DEP_3)
	v_cndmask_b32_e64 v86, 0, v77, s6
	v_fma_f32 v77, s19, v101, -v68
	v_mul_f32_e32 v78, 0x3fb8aa3b, v78
	v_add_f32_e32 v70, v70, v76
	v_exp_f32_e32 v69, v69
	v_mul_f32_e32 v77, 0x3fb8aa3b, v77
	s_delay_alu instid0(VALU_DEP_3) | instskip(NEXT) | instid1(TRANS32_DEP_3)
	v_exp_f32_e32 v78, v78
	v_cndmask_b32_e64 v88, 0, v71, s9
	v_fma_f32 v71, s19, v104, -v68
	s_delay_alu instid0(VALU_DEP_3) | instskip(NEXT) | instid1(TRANS32_DEP_3)
	v_exp_f32_e32 v77, v77
	v_cndmask_b32_e64 v87, 0, v69, s7
	s_delay_alu instid0(VALU_DEP_2)
	v_mul_f32_e32 v71, 0x3fb8aa3b, v71
	s_waitcnt_depctr 0xfff
	v_cndmask_b32_e64 v84, 0, v78, s8
	v_add_f32_e32 v70, v70, v83
	v_fma_f32 v78, s19, v103, -v68
	v_exp_f32_e32 v82, v71
	s_delay_alu instid0(VALU_DEP_2) | instskip(SKIP_1) | instid1(VALU_DEP_3)
	v_add_f32_e32 v70, v70, v85
	v_mul_f32_e32 v72, 0x3fb8aa3b, v72
	v_mul_f32_e32 v78, 0x3fb8aa3b, v78
	s_delay_alu instid0(VALU_DEP_3) | instskip(SKIP_1) | instid1(VALU_DEP_4)
	v_add_f32_e32 v69, v70, v86
	v_fma_f32 v70, s19, v102, -v68
	v_exp_f32_e32 v72, v72
	s_delay_alu instid0(VALU_DEP_3) | instskip(NEXT) | instid1(VALU_DEP_1)
	v_exp_f32_e32 v78, v78
	v_dual_add_f32 v69, v69, v87 :: v_dual_mul_f32 v70, 0x3fb8aa3b, v70
	s_delay_alu instid0(VALU_DEP_1) | instskip(NEXT) | instid1(VALU_DEP_2)
	v_add_f32_e32 v69, v69, v84
	v_exp_f32_e32 v79, v70
	s_delay_alu instid0(TRANS32_DEP_3) | instskip(NEXT) | instid1(VALU_DEP_2)
	v_cndmask_b32_e64 v70, 0, v72, s10
	v_add_f32_e32 v72, v69, v88
	v_cndmask_b32_e64 v69, 0, v77, s11
	v_fma_f32 v77, s19, v106, -v68
	s_waitcnt_depctr 0xfff
	v_cndmask_b32_e64 v71, 0, v79, s12
	v_dual_mul_f32 v77, 0x3fb8aa3b, v77 :: v_dual_add_f32 v72, v72, v70
	s_delay_alu instid0(VALU_DEP_1) | instskip(NEXT) | instid1(VALU_DEP_1)
	v_exp_f32_e32 v90, v77
	v_add_f32_e32 v79, v72, v69
	v_cndmask_b32_e64 v72, 0, v78, s13
	v_cndmask_b32_e64 v77, 0, v82, s15
	s_delay_alu instid0(VALU_DEP_3) | instskip(SKIP_1) | instid1(VALU_DEP_1)
	v_add_f32_e32 v78, v79, v71
	v_fma_f32 v79, s19, v107, -v68
	v_dual_add_f32 v82, v78, v72 :: v_dual_mul_f32 v79, 0x3fb8aa3b, v79
	v_cndmask_b32_e64 v78, 0, v81, s16
	s_delay_alu instid0(VALU_DEP_2) | instskip(NEXT) | instid1(VALU_DEP_3)
	v_add_f32_e32 v81, v82, v77
	v_exp_f32_e32 v82, v79
	v_cndmask_b32_e64 v79, 0, v90, s17
	s_delay_alu instid0(VALU_DEP_2) | instskip(NEXT) | instid1(VALU_DEP_1)
	v_add_f32_e32 v81, v81, v78
	v_add_f32_e32 v90, v81, v79
	s_waitcnt_depctr 0xfff
	v_cndmask_b32_e64 v81, 0, v82, s18
	s_delay_alu instid0(VALU_DEP_1)
	v_add_f32_e32 v82, v90, v81
	ds_bpermute_b32 v89, v89, v82
	s_and_saveexec_b32 s4, s3
	s_cbranch_execz .LBB1478_12
; %bb.11:
	v_mul_u32_u24_e32 v67, 0x44, v66
	s_delay_alu instid0(VALU_DEP_1) | instskip(SKIP_1) | instid1(VALU_DEP_1)
	v_lshl_add_u32 v67, v65, 2, v67
	s_waitcnt lgkmcnt(0)
	v_dual_add_f32 v82, v82, v89 :: v_dual_add_nc_u32 v67, 0x4000, v67
	ds_store_2addr_b32 v67, v68, v82 offset1:136
.LBB1478_12:
	s_or_b32 exec_lo, exec_lo, s4
	v_lshlrev_b32_e32 v67, 2, v65
	s_waitcnt lgkmcnt(0)
	s_barrier
	buffer_gl0_inv
	v_cmp_eq_u32_e32 vcc_lo, 1, v66
	v_add_nc_u32_e32 v82, 0x4000, v67
	v_cmp_eq_u32_e64 s4, 2, v66
	v_cmp_eq_u32_e64 s6, 7, v66
	ds_load_2addr_b32 v[89:90], v82 offset1:17
	ds_load_2addr_b32 v[91:92], v82 offset0:34 offset1:51
	ds_load_2addr_b32 v[93:94], v82 offset0:68 offset1:85
	ds_load_2addr_b32 v[95:96], v82 offset0:102 offset1:119
	ds_load_2addr_b32 v[97:98], v82 offset0:136 offset1:153
	s_waitcnt lgkmcnt(4)
	v_max3_f32 v67, v89, 0xff7fffff, v90
	s_waitcnt lgkmcnt(3)
	s_delay_alu instid0(VALU_DEP_1) | instskip(SKIP_1) | instid1(VALU_DEP_1)
	v_max3_f32 v67, v67, v91, v92
	s_waitcnt lgkmcnt(2)
	v_max3_f32 v67, v67, v93, v94
	s_waitcnt lgkmcnt(1)
	s_delay_alu instid0(VALU_DEP_1) | instskip(NEXT) | instid1(VALU_DEP_1)
	v_max3_f32 v67, v67, v95, v96
	v_sub_f32_e32 v93, v93, v67
	s_delay_alu instid0(VALU_DEP_1) | instskip(NEXT) | instid1(VALU_DEP_1)
	v_dual_sub_f32 v68, v89, v67 :: v_dual_mul_f32 v103, 0x3fb8aa3b, v93
	v_mul_f32_e32 v68, 0x3fb8aa3b, v68
	s_delay_alu instid0(VALU_DEP_1)
	v_exp_f32_e32 v100, v68
	v_sub_f32_e32 v68, v92, v67
	v_sub_f32_e32 v99, v90, v67
	ds_load_2addr_b32 v[89:90], v82 offset0:170 offset1:187
	v_dual_mul_f32 v102, 0x3fb8aa3b, v68 :: v_dual_mul_f32 v99, 0x3fb8aa3b, v99
	s_waitcnt lgkmcnt(1)
	v_fma_f32 v68, v100, v97, 0
	s_delay_alu instid0(VALU_DEP_2) | instskip(NEXT) | instid1(VALU_DEP_2)
	v_exp_f32_e32 v102, v102
	v_exp_f32_e32 v99, v99
	s_waitcnt_depctr 0xfff
	v_fmac_f32_e32 v68, v99, v98
	v_sub_f32_e32 v91, v91, v67
	s_delay_alu instid0(VALU_DEP_1)
	v_mul_f32_e32 v101, 0x3fb8aa3b, v91
	ds_load_2addr_b32 v[91:92], v82 offset0:204 offset1:221
	v_sub_f32_e32 v97, v94, v67
	ds_load_2addr_b32 v[93:94], v82 offset0:238 offset1:255
	s_waitcnt lgkmcnt(0)
	v_exp_f32_e32 v101, v101
	s_barrier
	buffer_gl0_inv
	v_dual_fmac_f32 v68, v101, v89 :: v_dual_sub_f32 v89, v96, v67
	v_dual_sub_f32 v82, v95, v67 :: v_dual_mul_f32 v95, 0x3fb8aa3b, v97
	v_exp_f32_e32 v97, v103
	s_delay_alu instid0(VALU_DEP_2) | instskip(NEXT) | instid1(VALU_DEP_2)
	v_dual_fmac_f32 v68, v102, v90 :: v_dual_mul_f32 v89, 0x3fb8aa3b, v89
	v_mul_f32_e32 v82, 0x3fb8aa3b, v82
	s_delay_alu instid0(VALU_DEP_3) | instskip(NEXT) | instid1(VALU_DEP_2)
	v_exp_f32_e32 v95, v95
	v_exp_f32_e32 v89, v89
	s_delay_alu instid0(VALU_DEP_1)
	v_exp_f32_e32 v82, v82
	v_fmac_f32_e32 v68, v97, v91
	s_delay_alu instid0(TRANS32_DEP_3) | instid1(VALU_DEP_1)
	v_fmac_f32_e32 v68, v95, v92
	s_waitcnt_depctr 0xfff
	v_fmac_f32_e32 v68, v82, v93
	s_delay_alu instid0(VALU_DEP_1) | instskip(NEXT) | instid1(VALU_DEP_1)
	v_fmac_f32_e32 v68, v89, v94
	v_add_f32_e32 v90, 0x358637bd, v68
	s_delay_alu instid0(VALU_DEP_1) | instskip(NEXT) | instid1(VALU_DEP_1)
	v_div_scale_f32 v91, null, v90, v90, 1.0
	v_rcp_f32_e32 v92, v91
	s_waitcnt_depctr 0xfff
	v_fma_f32 v93, -v91, v92, 1.0
	s_delay_alu instid0(VALU_DEP_1) | instskip(SKIP_1) | instid1(VALU_DEP_2)
	v_dual_fmac_f32 v92, v93, v92 :: v_dual_cndmask_b32 v93, v100, v99
	v_cmp_eq_u32_e32 vcc_lo, 3, v66
	v_cndmask_b32_e64 v93, v93, v101, s4
	v_cmp_eq_u32_e64 s4, 4, v66
	s_delay_alu instid0(VALU_DEP_2) | instskip(SKIP_1) | instid1(VALU_DEP_2)
	v_cndmask_b32_e32 v93, v93, v102, vcc_lo
	v_cmp_eq_u32_e32 vcc_lo, 5, v66
	v_cndmask_b32_e64 v93, v93, v97, s4
	v_cmp_eq_u32_e64 s4, 6, v66
	s_delay_alu instid0(VALU_DEP_2) | instskip(SKIP_1) | instid1(VALU_DEP_1)
	v_cndmask_b32_e32 v93, v93, v95, vcc_lo
	v_div_scale_f32 v94, s5, 1.0, v90, 1.0
	s_mov_b32 vcc_lo, s5
	s_delay_alu instid0(VALU_DEP_2) | instskip(NEXT) | instid1(VALU_DEP_2)
	v_cndmask_b32_e64 v82, v93, v82, s4
	v_mul_f32_e32 v96, v94, v92
	s_mov_b32 s4, exec_lo
	s_delay_alu instid0(VALU_DEP_2) | instskip(NEXT) | instid1(VALU_DEP_2)
	v_cndmask_b32_e64 v82, v82, v89, s6
	v_fma_f32 v98, -v91, v96, v94
	s_delay_alu instid0(VALU_DEP_1) | instskip(NEXT) | instid1(VALU_DEP_1)
	v_fmac_f32_e32 v96, v98, v92
	v_fma_f32 v91, -v91, v96, v94
	s_delay_alu instid0(VALU_DEP_1) | instskip(NEXT) | instid1(VALU_DEP_1)
	v_div_fmas_f32 v91, v91, v92, v96
	v_div_fixup_f32 v90, v91, v90, 1.0
	s_delay_alu instid0(VALU_DEP_1) | instskip(NEXT) | instid1(VALU_DEP_1)
	v_mul_f32_e32 v82, v82, v90
	v_mul_f32_e32 v87, v82, v87
	;; [unrolled: 1-line block ×7, first 2 shown]
	v_dual_mul_f32 v86, v82, v83 :: v_dual_and_b32 v91, 0x7f800000, v90
	v_mul_f32_e32 v85, v82, v76
                                        ; implicit-def: $vgpr76
	s_delay_alu instid0(VALU_DEP_2)
	v_cmpx_ne_u32_e32 0x7f800000, v91
	s_xor_b32 s4, exec_lo, s4
; %bb.13:
	v_bfe_u32 v76, v90, 16, 1
	s_delay_alu instid0(VALU_DEP_1)
	v_add3_u32 v76, v90, v76, 0x7fff
                                        ; implicit-def: $vgpr90
; %bb.14:
	s_and_not1_saveexec_b32 s4, s4
; %bb.15:
	v_and_b32_e32 v76, 0xffff, v90
	v_or_b32_e32 v83, 0x10000, v90
	s_delay_alu instid0(VALU_DEP_2) | instskip(NEXT) | instid1(VALU_DEP_2)
	v_cmp_eq_u32_e32 vcc_lo, 0, v76
	v_cndmask_b32_e32 v76, v83, v90, vcc_lo
; %bb.16:
	s_or_b32 exec_lo, exec_lo, s4
	v_and_b32_e32 v83, 0x7f800000, v85
	s_delay_alu instid0(VALU_DEP_1) | instskip(SKIP_1) | instid1(SALU_CYCLE_1)
	v_cmp_ne_u32_e32 vcc_lo, 0x7f800000, v83
                                        ; implicit-def: $vgpr83
	s_and_saveexec_b32 s4, vcc_lo
	s_xor_b32 s4, exec_lo, s4
; %bb.17:
	v_bfe_u32 v83, v85, 16, 1
	s_delay_alu instid0(VALU_DEP_1)
	v_add3_u32 v83, v85, v83, 0x7fff
                                        ; implicit-def: $vgpr85
; %bb.18:
	s_and_not1_saveexec_b32 s4, s4
; %bb.19:
	v_and_b32_e32 v83, 0xffff, v85
	v_or_b32_e32 v90, 0x10000, v85
	s_delay_alu instid0(VALU_DEP_2) | instskip(NEXT) | instid1(VALU_DEP_2)
	v_cmp_eq_u32_e32 vcc_lo, 0, v83
	v_cndmask_b32_e32 v83, v90, v85, vcc_lo
; %bb.20:
	s_or_b32 exec_lo, exec_lo, s4
	v_and_b32_e32 v85, 0x7f800000, v86
	s_delay_alu instid0(VALU_DEP_1) | instskip(SKIP_1) | instid1(SALU_CYCLE_1)
	v_cmp_ne_u32_e32 vcc_lo, 0x7f800000, v85
                                        ; implicit-def: $vgpr85
	s_and_saveexec_b32 s4, vcc_lo
	s_xor_b32 s4, exec_lo, s4
; %bb.21:
	v_bfe_u32 v85, v86, 16, 1
	s_delay_alu instid0(VALU_DEP_1)
	v_add3_u32 v85, v86, v85, 0x7fff
                                        ; implicit-def: $vgpr86
; %bb.22:
	s_and_not1_saveexec_b32 s4, s4
; %bb.23:
	v_and_b32_e32 v85, 0xffff, v86
	v_or_b32_e32 v90, 0x10000, v86
	s_delay_alu instid0(VALU_DEP_2) | instskip(NEXT) | instid1(VALU_DEP_2)
	v_cmp_eq_u32_e32 vcc_lo, 0, v85
	v_cndmask_b32_e32 v85, v90, v86, vcc_lo
; %bb.24:
	s_or_b32 exec_lo, exec_lo, s4
	v_and_b32_e32 v86, 0x7f800000, v89
	s_delay_alu instid0(VALU_DEP_1) | instskip(SKIP_1) | instid1(SALU_CYCLE_1)
	v_cmp_ne_u32_e32 vcc_lo, 0x7f800000, v86
                                        ; implicit-def: $vgpr86
	s_and_saveexec_b32 s4, vcc_lo
	s_xor_b32 s4, exec_lo, s4
; %bb.25:
	v_bfe_u32 v86, v89, 16, 1
	s_delay_alu instid0(VALU_DEP_1)
	v_add3_u32 v86, v89, v86, 0x7fff
                                        ; implicit-def: $vgpr89
; %bb.26:
	s_and_not1_saveexec_b32 s4, s4
; %bb.27:
	v_and_b32_e32 v86, 0xffff, v89
	v_or_b32_e32 v90, 0x10000, v89
	s_delay_alu instid0(VALU_DEP_2) | instskip(NEXT) | instid1(VALU_DEP_2)
	v_cmp_eq_u32_e32 vcc_lo, 0, v86
	v_cndmask_b32_e32 v86, v90, v89, vcc_lo
; %bb.28:
	s_or_b32 exec_lo, exec_lo, s4
	v_and_b32_e32 v89, 0x7f800000, v88
	s_delay_alu instid0(VALU_DEP_1) | instskip(SKIP_1) | instid1(SALU_CYCLE_1)
	v_cmp_ne_u32_e32 vcc_lo, 0x7f800000, v89
                                        ; implicit-def: $vgpr89
	s_and_saveexec_b32 s4, vcc_lo
	s_xor_b32 s4, exec_lo, s4
; %bb.29:
	v_bfe_u32 v89, v88, 16, 1
	s_delay_alu instid0(VALU_DEP_1)
	v_add3_u32 v89, v88, v89, 0x7fff
                                        ; implicit-def: $vgpr88
; %bb.30:
	s_and_not1_saveexec_b32 s4, s4
; %bb.31:
	v_and_b32_e32 v89, 0xffff, v88
	v_or_b32_e32 v90, 0x10000, v88
	s_delay_alu instid0(VALU_DEP_2) | instskip(NEXT) | instid1(VALU_DEP_2)
	v_cmp_eq_u32_e32 vcc_lo, 0, v89
	v_cndmask_b32_e32 v89, v90, v88, vcc_lo
; %bb.32:
	s_or_b32 exec_lo, exec_lo, s4
	v_and_b32_e32 v88, 0x7f800000, v87
	s_delay_alu instid0(VALU_DEP_1) | instskip(SKIP_1) | instid1(SALU_CYCLE_1)
	v_cmp_ne_u32_e32 vcc_lo, 0x7f800000, v88
                                        ; implicit-def: $vgpr88
	s_and_saveexec_b32 s4, vcc_lo
	s_xor_b32 s4, exec_lo, s4
; %bb.33:
	v_bfe_u32 v88, v87, 16, 1
	s_delay_alu instid0(VALU_DEP_1)
	v_add3_u32 v88, v87, v88, 0x7fff
                                        ; implicit-def: $vgpr87
; %bb.34:
	s_and_not1_saveexec_b32 s4, s4
; %bb.35:
	v_and_b32_e32 v88, 0xffff, v87
	v_or_b32_e32 v90, 0x10000, v87
	s_delay_alu instid0(VALU_DEP_2) | instskip(NEXT) | instid1(VALU_DEP_2)
	v_cmp_eq_u32_e32 vcc_lo, 0, v88
	v_cndmask_b32_e32 v88, v90, v87, vcc_lo
; %bb.36:
	s_or_b32 exec_lo, exec_lo, s4
	v_and_b32_e32 v87, 0x7f800000, v84
	s_delay_alu instid0(VALU_DEP_1) | instskip(SKIP_1) | instid1(SALU_CYCLE_1)
	v_cmp_ne_u32_e32 vcc_lo, 0x7f800000, v87
                                        ; implicit-def: $vgpr87
	s_and_saveexec_b32 s4, vcc_lo
	s_xor_b32 s4, exec_lo, s4
; %bb.37:
	v_bfe_u32 v87, v84, 16, 1
	s_delay_alu instid0(VALU_DEP_1)
	v_add3_u32 v87, v84, v87, 0x7fff
                                        ; implicit-def: $vgpr84
; %bb.38:
	s_and_not1_saveexec_b32 s4, s4
; %bb.39:
	v_and_b32_e32 v87, 0xffff, v84
	v_or_b32_e32 v90, 0x10000, v84
	s_delay_alu instid0(VALU_DEP_2) | instskip(NEXT) | instid1(VALU_DEP_2)
	v_cmp_eq_u32_e32 vcc_lo, 0, v87
	v_cndmask_b32_e32 v87, v90, v84, vcc_lo
; %bb.40:
	s_or_b32 exec_lo, exec_lo, s4
	v_and_b32_e32 v84, 0x7f800000, v80
	s_delay_alu instid0(VALU_DEP_1) | instskip(SKIP_1) | instid1(SALU_CYCLE_1)
	v_cmp_ne_u32_e32 vcc_lo, 0x7f800000, v84
                                        ; implicit-def: $vgpr84
	s_and_saveexec_b32 s4, vcc_lo
	s_xor_b32 s4, exec_lo, s4
; %bb.41:
	v_bfe_u32 v84, v80, 16, 1
	s_delay_alu instid0(VALU_DEP_1)
	v_add3_u32 v84, v80, v84, 0x7fff
                                        ; implicit-def: $vgpr80
; %bb.42:
	s_and_not1_saveexec_b32 s4, s4
; %bb.43:
	v_and_b32_e32 v84, 0xffff, v80
	v_or_b32_e32 v90, 0x10000, v80
	s_delay_alu instid0(VALU_DEP_2) | instskip(NEXT) | instid1(VALU_DEP_2)
	v_cmp_eq_u32_e32 vcc_lo, 0, v84
	v_cndmask_b32_e32 v84, v90, v80, vcc_lo
; %bb.44:
	s_or_b32 exec_lo, exec_lo, s4
	s_load_b64 s[36:37], s[0:1], 0x94
	v_lshlrev_b32_e32 v91, 4, v74
	s_delay_alu instid0(VALU_DEP_2)
	v_perm_b32 v90, v84, v87, 0x7060302
	v_dual_mul_f32 v79, v82, v79 :: v_dual_lshlrev_b32 v80, 6, v65
	v_dual_mul_f32 v77, v82, v77 :: v_dual_lshlrev_b32 v92, 11, v66
	v_mul_f32_e32 v84, v82, v70
	v_perm_b32 v89, v88, v89, 0x7060302
	v_perm_b32 v88, v86, v85, 0x7060302
	;; [unrolled: 1-line block ×3, first 2 shown]
	v_mul_f32_e32 v70, v82, v81
	v_or3_b32 v76, v91, v92, v80
	v_dual_mul_f32 v78, v82, v78 :: v_dual_and_b32 v85, 0x7f800000, v84
	v_mul_f32_e32 v83, v82, v72
	v_mul_f32_e32 v81, v82, v71
	;; [unrolled: 1-line block ×3, first 2 shown]
	s_mov_b32 s4, exec_lo
	ds_store_b128 v76, v[87:90]
                                        ; implicit-def: $vgpr69
	v_cmpx_ne_u32_e32 0x7f800000, v85
	s_xor_b32 s4, exec_lo, s4
; %bb.45:
	v_bfe_u32 v69, v84, 16, 1
	s_delay_alu instid0(VALU_DEP_1)
	v_add3_u32 v69, v84, v69, 0x7fff
                                        ; implicit-def: $vgpr84
; %bb.46:
	s_and_not1_saveexec_b32 s4, s4
; %bb.47:
	v_and_b32_e32 v69, 0xffff, v84
	v_or_b32_e32 v71, 0x10000, v84
	s_delay_alu instid0(VALU_DEP_2) | instskip(NEXT) | instid1(VALU_DEP_2)
	v_cmp_eq_u32_e32 vcc_lo, 0, v69
	v_cndmask_b32_e32 v69, v71, v84, vcc_lo
; %bb.48:
	s_or_b32 exec_lo, exec_lo, s4
	v_and_b32_e32 v71, 0x7f800000, v72
	s_delay_alu instid0(VALU_DEP_1) | instskip(SKIP_1) | instid1(SALU_CYCLE_1)
	v_cmp_ne_u32_e32 vcc_lo, 0x7f800000, v71
                                        ; implicit-def: $vgpr71
	s_and_saveexec_b32 s4, vcc_lo
	s_xor_b32 s4, exec_lo, s4
; %bb.49:
	v_bfe_u32 v71, v72, 16, 1
	s_delay_alu instid0(VALU_DEP_1)
	v_add3_u32 v71, v72, v71, 0x7fff
                                        ; implicit-def: $vgpr72
; %bb.50:
	s_and_not1_saveexec_b32 s4, s4
; %bb.51:
	v_and_b32_e32 v71, 0xffff, v72
	v_or_b32_e32 v82, 0x10000, v72
	s_delay_alu instid0(VALU_DEP_2) | instskip(NEXT) | instid1(VALU_DEP_2)
	v_cmp_eq_u32_e32 vcc_lo, 0, v71
	v_cndmask_b32_e32 v71, v82, v72, vcc_lo
; %bb.52:
	s_or_b32 exec_lo, exec_lo, s4
	v_and_b32_e32 v72, 0x7f800000, v81
	s_delay_alu instid0(VALU_DEP_1) | instskip(SKIP_1) | instid1(SALU_CYCLE_1)
	v_cmp_ne_u32_e32 vcc_lo, 0x7f800000, v72
                                        ; implicit-def: $vgpr72
	s_and_saveexec_b32 s4, vcc_lo
	s_xor_b32 s4, exec_lo, s4
; %bb.53:
	v_bfe_u32 v72, v81, 16, 1
	s_delay_alu instid0(VALU_DEP_1)
	v_add3_u32 v72, v81, v72, 0x7fff
                                        ; implicit-def: $vgpr81
; %bb.54:
	s_and_not1_saveexec_b32 s4, s4
; %bb.55:
	v_and_b32_e32 v72, 0xffff, v81
	v_or_b32_e32 v82, 0x10000, v81
	s_delay_alu instid0(VALU_DEP_2) | instskip(NEXT) | instid1(VALU_DEP_2)
	v_cmp_eq_u32_e32 vcc_lo, 0, v72
	v_cndmask_b32_e32 v72, v82, v81, vcc_lo
; %bb.56:
	s_or_b32 exec_lo, exec_lo, s4
	v_and_b32_e32 v81, 0x7f800000, v83
	s_delay_alu instid0(VALU_DEP_1) | instskip(SKIP_1) | instid1(SALU_CYCLE_1)
	v_cmp_ne_u32_e32 vcc_lo, 0x7f800000, v81
                                        ; implicit-def: $vgpr81
	s_and_saveexec_b32 s4, vcc_lo
	s_xor_b32 s4, exec_lo, s4
; %bb.57:
	v_bfe_u32 v81, v83, 16, 1
	s_delay_alu instid0(VALU_DEP_1)
	v_add3_u32 v81, v83, v81, 0x7fff
                                        ; implicit-def: $vgpr83
; %bb.58:
	s_and_not1_saveexec_b32 s4, s4
; %bb.59:
	v_and_b32_e32 v81, 0xffff, v83
	v_or_b32_e32 v82, 0x10000, v83
	s_delay_alu instid0(VALU_DEP_2) | instskip(NEXT) | instid1(VALU_DEP_2)
	v_cmp_eq_u32_e32 vcc_lo, 0, v81
	v_cndmask_b32_e32 v81, v82, v83, vcc_lo
; %bb.60:
	s_or_b32 exec_lo, exec_lo, s4
	v_and_b32_e32 v82, 0x7f800000, v77
	s_delay_alu instid0(VALU_DEP_1) | instskip(SKIP_1) | instid1(SALU_CYCLE_1)
	v_cmp_ne_u32_e32 vcc_lo, 0x7f800000, v82
                                        ; implicit-def: $vgpr82
	s_and_saveexec_b32 s4, vcc_lo
	s_xor_b32 s4, exec_lo, s4
; %bb.61:
	v_bfe_u32 v82, v77, 16, 1
	s_delay_alu instid0(VALU_DEP_1)
	v_add3_u32 v82, v77, v82, 0x7fff
                                        ; implicit-def: $vgpr77
; %bb.62:
	s_and_not1_saveexec_b32 s4, s4
; %bb.63:
	v_and_b32_e32 v82, 0xffff, v77
	v_or_b32_e32 v83, 0x10000, v77
	s_delay_alu instid0(VALU_DEP_2) | instskip(NEXT) | instid1(VALU_DEP_2)
	v_cmp_eq_u32_e32 vcc_lo, 0, v82
	v_cndmask_b32_e32 v82, v83, v77, vcc_lo
; %bb.64:
	s_or_b32 exec_lo, exec_lo, s4
	v_and_b32_e32 v77, 0x7f800000, v78
	s_delay_alu instid0(VALU_DEP_1) | instskip(SKIP_1) | instid1(SALU_CYCLE_1)
	v_cmp_ne_u32_e32 vcc_lo, 0x7f800000, v77
                                        ; implicit-def: $vgpr77
	s_and_saveexec_b32 s4, vcc_lo
	s_xor_b32 s4, exec_lo, s4
; %bb.65:
	v_bfe_u32 v77, v78, 16, 1
	s_delay_alu instid0(VALU_DEP_1)
	v_add3_u32 v77, v78, v77, 0x7fff
                                        ; implicit-def: $vgpr78
; %bb.66:
	s_and_not1_saveexec_b32 s4, s4
; %bb.67:
	v_and_b32_e32 v77, 0xffff, v78
	v_or_b32_e32 v83, 0x10000, v78
	s_delay_alu instid0(VALU_DEP_2) | instskip(NEXT) | instid1(VALU_DEP_2)
	v_cmp_eq_u32_e32 vcc_lo, 0, v77
	v_cndmask_b32_e32 v77, v83, v78, vcc_lo
; %bb.68:
	s_or_b32 exec_lo, exec_lo, s4
	v_and_b32_e32 v78, 0x7f800000, v79
	s_delay_alu instid0(VALU_DEP_1) | instskip(SKIP_1) | instid1(SALU_CYCLE_1)
	v_cmp_ne_u32_e32 vcc_lo, 0x7f800000, v78
                                        ; implicit-def: $vgpr78
	s_and_saveexec_b32 s4, vcc_lo
	s_xor_b32 s4, exec_lo, s4
; %bb.69:
	v_bfe_u32 v78, v79, 16, 1
	s_delay_alu instid0(VALU_DEP_1)
	v_add3_u32 v78, v79, v78, 0x7fff
                                        ; implicit-def: $vgpr79
; %bb.70:
	s_and_not1_saveexec_b32 s4, s4
; %bb.71:
	v_and_b32_e32 v78, 0xffff, v79
	v_or_b32_e32 v83, 0x10000, v79
	s_delay_alu instid0(VALU_DEP_2) | instskip(NEXT) | instid1(VALU_DEP_2)
	v_cmp_eq_u32_e32 vcc_lo, 0, v78
	v_cndmask_b32_e32 v78, v83, v79, vcc_lo
; %bb.72:
	s_or_b32 exec_lo, exec_lo, s4
	v_and_b32_e32 v79, 0x7f800000, v70
	s_delay_alu instid0(VALU_DEP_1) | instskip(SKIP_1) | instid1(SALU_CYCLE_1)
	v_cmp_ne_u32_e32 vcc_lo, 0x7f800000, v79
                                        ; implicit-def: $vgpr79
	s_and_saveexec_b32 s4, vcc_lo
	s_xor_b32 s4, exec_lo, s4
; %bb.73:
	v_bfe_u32 v79, v70, 16, 1
	s_delay_alu instid0(VALU_DEP_1)
	v_add3_u32 v79, v70, v79, 0x7fff
                                        ; implicit-def: $vgpr70
; %bb.74:
	s_and_not1_saveexec_b32 s4, s4
; %bb.75:
	v_and_b32_e32 v79, 0xffff, v70
	v_or_b32_e32 v83, 0x10000, v70
	s_delay_alu instid0(VALU_DEP_2) | instskip(NEXT) | instid1(VALU_DEP_2)
	v_cmp_eq_u32_e32 vcc_lo, 0, v79
	v_cndmask_b32_e32 v79, v83, v70, vcc_lo
; %bb.76:
	s_or_b32 exec_lo, exec_lo, s4
	s_delay_alu instid0(VALU_DEP_1)
	v_perm_b32 v86, v79, v78, 0x7060302
	v_perm_b32 v85, v77, v82, 0x7060302
	;; [unrolled: 1-line block ×4, first 2 shown]
	v_lshl_or_b32 v82, v66, 11, v80
	ds_store_b128 v76, v[83:86] offset:1024
	s_waitcnt lgkmcnt(0)
	s_barrier
	buffer_gl0_inv
	ds_load_b128 v[69:72], v82
	ds_load_b128 v[83:86], v82 offset:16
	s_waitcnt lgkmcnt(1)
	v_lshrrev_b32_e32 v66, 16, v69
	s_waitcnt lgkmcnt(0)
	v_lshrrev_b32_e32 v91, 16, v83
	v_lshlrev_b32_e32 v78, 2, v74
	v_lshrrev_b32_e32 v95, 16, v70
	v_lshrrev_b32_e32 v98, 16, v84
	;; [unrolled: 1-line block ×4, first 2 shown]
	v_cmp_eq_u32_e32 vcc_lo, 1, v78
	v_lshrrev_b32_e32 v97, 16, v72
	v_lshrrev_b32_e32 v100, 16, v86
	v_cndmask_b32_e32 v87, v83, v91, vcc_lo
	v_or_b32_e32 v79, 1, v78
	v_cndmask_b32_e32 v81, v69, v66, vcc_lo
	v_cmp_eq_u32_e64 s5, 2, v78
	v_cmp_eq_u32_e64 s8, 3, v78
	;; [unrolled: 1-line block ×5, first 2 shown]
	v_cndmask_b32_e64 v81, v81, v70, s5
	v_cndmask_b32_e64 v87, v87, v84, s5
	v_cmp_eq_u32_e64 s9, 3, v79
	v_cndmask_b32_e64 v88, v69, v66, s4
	v_or_b32_e32 v77, 2, v78
	v_cndmask_b32_e64 v81, v81, v95, s8
	v_cndmask_b32_e64 v87, v87, v98, s8
	;; [unrolled: 1-line block ×4, first 2 shown]
	v_cmp_eq_u32_e64 s11, 5, v78
	v_cndmask_b32_e64 v81, v81, v71, s10
	v_cndmask_b32_e64 v87, v87, v85, s10
	v_cmp_eq_u32_e64 s12, 4, v79
	v_cndmask_b32_e64 v88, v88, v95, s9
	v_cmp_eq_u32_e64 s6, 1, v77
	v_cndmask_b32_e64 v89, v89, v84, s7
	v_cndmask_b32_e64 v81, v81, v96, s11
	v_cmp_eq_u32_e64 s13, 6, v78
	v_cndmask_b32_e64 v88, v88, v71, s12
	;; [unrolled: 3-line block ×3, first 2 shown]
	v_cndmask_b32_e64 v89, v89, v98, s9
	v_cndmask_b32_e64 v81, v81, v72, s13
	v_cmp_eq_u32_e64 s16, 7, v78
	v_cndmask_b32_e64 v88, v88, v96, s15
	v_cndmask_b32_e64 v87, v87, v86, s13
	v_cmp_eq_u32_e64 s17, 6, v79
	v_cmp_eq_u32_e64 s18, 2, v77
	v_cndmask_b32_e64 v89, v89, v85, s12
	v_cndmask_b32_e64 v101, v81, v97, s16
	;; [unrolled: 1-line block ×6, first 2 shown]
	v_cmp_eq_u32_e64 s19, 7, v79
	v_cmp_eq_u32_e64 s20, 3, v77
	v_cmp_eq_u32_e64 s21, 4, v77
	v_cmp_eq_u32_e64 s23, 5, v77
	v_cndmask_b32_e64 v87, v87, v84, s18
	v_cndmask_b32_e64 v103, v88, v97, s19
	;; [unrolled: 1-line block ×4, first 2 shown]
	v_or_b32_e32 v81, 3, v78
	v_cndmask_b32_e64 v93, v87, v98, s20
	v_cmp_eq_u32_e64 s25, 6, v77
	v_cndmask_b32_e64 v104, v88, v86, s17
	v_cndmask_b32_e64 v92, v89, v71, s21
	v_cmp_eq_u32_e64 s22, 1, v81
	ds_load_b128 v[87:90], v82 offset:1024
	v_cmp_eq_u32_e64 s24, 2, v81
	v_cmp_eq_u32_e64 s26, 3, v81
	v_cndmask_b32_e64 v105, v92, v96, s23
	v_cndmask_b32_e64 v66, v69, v66, s22
	;; [unrolled: 1-line block ×4, first 2 shown]
	ds_load_b128 v[91:94], v82 offset:1040
	v_cmp_eq_u32_e64 s27, 4, v81
	v_cndmask_b32_e64 v66, v66, v70, s24
	v_cmp_eq_u32_e64 s28, 7, v77
	v_cndmask_b32_e64 v70, v83, v84, s24
	v_cndmask_b32_e64 v84, v105, v72, s25
	v_cmp_eq_u32_e64 s29, 5, v81
	v_cndmask_b32_e64 v66, v66, v95, s26
	v_cmp_eq_u32_e64 s30, 6, v81
	v_cndmask_b32_e64 v70, v70, v98, s26
	v_cndmask_b32_e64 v69, v69, v99, s23
	;; [unrolled: 1-line block ×4, first 2 shown]
	s_waitcnt lgkmcnt(1)
	v_lshrrev_b32_e32 v95, 16, v87
	v_cndmask_b32_e64 v70, v70, v85, s27
	v_cndmask_b32_e64 v71, v84, v97, s28
	;; [unrolled: 1-line block ×4, first 2 shown]
	v_cndmask_b32_e32 v84, v87, v95, vcc_lo
	v_cndmask_b32_e64 v70, v70, v99, s29
	s_waitcnt lgkmcnt(0)
	v_lshrrev_b32_e32 v85, 16, v91
	v_lshrrev_b32_e32 v96, 16, v88
	v_cndmask_b32_e64 v98, v87, v95, s4
	v_cndmask_b32_e64 v84, v84, v88, s5
	;; [unrolled: 1-line block ×3, first 2 shown]
	v_cndmask_b32_e32 v99, v91, v85, vcc_lo
	v_cmp_eq_u32_e32 vcc_lo, 7, v81
	v_cndmask_b32_e64 v66, v66, v72, s30
	v_cndmask_b32_e64 v72, v84, v96, s8
	;; [unrolled: 1-line block ×3, first 2 shown]
	v_lshrrev_b32_e32 v98, 16, v92
	v_cndmask_b32_e32 v70, v70, v100, vcc_lo
	v_cndmask_b32_e64 v86, v99, v92, s5
	v_cndmask_b32_e64 v69, v69, v100, s28
	v_lshrrev_b32_e32 v100, 16, v93
	v_cndmask_b32_e64 v72, v72, v89, s10
	v_lshrrev_b32_e32 v99, 16, v89
	v_cndmask_b32_e64 v86, v86, v98, s8
	v_perm_b32 v71, v69, v71, 0x5040100
	v_cndmask_b32_e64 v84, v84, v96, s9
	s_delay_alu instid0(VALU_DEP_3) | instskip(NEXT) | instid1(VALU_DEP_2)
	v_cndmask_b32_e64 v86, v86, v93, s10
	v_cndmask_b32_e64 v84, v84, v89, s12
	s_delay_alu instid0(VALU_DEP_2) | instskip(NEXT) | instid1(VALU_DEP_1)
	v_cndmask_b32_e64 v86, v86, v100, s11
	v_cndmask_b32_e64 v69, v86, v94, s13
	;; [unrolled: 1-line block ×5, first 2 shown]
	s_delay_alu instid0(VALU_DEP_3) | instskip(NEXT) | instid1(VALU_DEP_3)
	v_cndmask_b32_e64 v86, v86, v88, s18
	v_cndmask_b32_e64 v87, v87, v88, s24
	s_delay_alu instid0(VALU_DEP_3) | instskip(NEXT) | instid1(VALU_DEP_3)
	v_cndmask_b32_e64 v88, v95, v92, s24
	v_cndmask_b32_e64 v86, v86, v96, s20
	;; [unrolled: 3-line block ×7, first 2 shown]
	s_delay_alu instid0(VALU_DEP_3) | instskip(SKIP_2) | instid1(VALU_DEP_2)
	v_cndmask_b32_e64 v88, v88, v94, s30
	v_cndmask_b32_e32 v66, v66, v97, vcc_lo
	v_cndmask_b32_e64 v97, v72, v99, s11
	v_perm_b32 v72, v70, v66, 0x5040100
	v_perm_b32 v70, v83, v103, 0x5040100
	v_cndmask_b32_e64 v103, v91, v85, s6
	v_cndmask_b32_e64 v85, v91, v85, s4
	;; [unrolled: 1-line block ×4, first 2 shown]
	v_lshrrev_b32_e32 v97, 16, v90
	v_cndmask_b32_e64 v91, v103, v92, s18
	v_cndmask_b32_e64 v85, v85, v92, s7
	;; [unrolled: 1-line block ×3, first 2 shown]
	s_mov_b32 s4, exec_lo
	v_cndmask_b32_e64 v83, v84, v97, s16
	v_cndmask_b32_e64 v91, v91, v98, s20
	;; [unrolled: 1-line block ×3, first 2 shown]
	v_lshrrev_b32_e32 v84, 16, v94
	v_cndmask_b32_e64 v66, v66, v97, s19
	v_cndmask_b32_e64 v90, v86, v97, s28
	;; [unrolled: 1-line block ×4, first 2 shown]
	v_dual_cndmask_b32 v86, v87, v97 :: v_dual_cndmask_b32 v87, v88, v84
	v_cndmask_b32_e64 v91, v69, v84, s16
	s_delay_alu instid0(VALU_DEP_4) | instskip(NEXT) | instid1(VALU_DEP_4)
	v_cndmask_b32_e64 v89, v89, v100, s23
	v_cndmask_b32_e64 v85, v85, v100, s15
	v_perm_b32 v69, v102, v101, 0x5040100
	v_perm_b32 v86, v87, v86, 0x5040100
	;; [unrolled: 1-line block ×3, first 2 shown]
	v_cndmask_b32_e64 v89, v89, v94, s25
	v_cndmask_b32_e64 v85, v85, v94, s17
	s_mul_i32 s9, s37, 13
	s_delay_alu instid0(VALU_DEP_2) | instskip(NEXT) | instid1(VALU_DEP_2)
	v_cndmask_b32_e64 v88, v89, v84, s28
	v_cndmask_b32_e64 v89, v85, v84, s19
	s_delay_alu instid0(VALU_DEP_2) | instskip(NEXT) | instid1(VALU_DEP_2)
	v_perm_b32 v85, v88, v90, 0x5040100
	v_perm_b32 v84, v89, v66, 0x5040100
	ds_store_b128 v76, v[69:72]
	ds_store_b128 v76, v[83:86] offset:1024
	v_cmpx_gt_u32_e32 13, v0
	s_cbranch_execz .LBB1478_78
; %bb.77:
	s_mul_i32 s5, s9, s34
	s_load_b128 s[16:19], s[0:1], 0x58
	v_add3_u32 v69, s5, s31, v65
	s_delay_alu instid0(VALU_DEP_1) | instskip(NEXT) | instid1(VALU_DEP_1)
	v_mad_u64_u32 v[65:66], null, v69, s36, s[14:15]
	v_ashrrev_i32_e32 v66, 31, v65
	s_delay_alu instid0(VALU_DEP_1) | instskip(SKIP_1) | instid1(VALU_DEP_1)
	v_lshlrev_b64 v[65:66], 2, v[65:66]
	s_waitcnt lgkmcnt(0)
	v_add_co_u32 v69, vcc_lo, s18, v65
	s_delay_alu instid0(VALU_DEP_2)
	v_add_co_ci_u32_e32 v70, vcc_lo, s19, v66, vcc_lo
	v_add_co_u32 v65, vcc_lo, s16, v65
	v_add_co_ci_u32_e32 v66, vcc_lo, s17, v66, vcc_lo
	global_store_b32 v[69:70], v67, off
	global_store_b32 v[65:66], v68, off
.LBB1478_78:
	s_or_b32 exec_lo, exec_lo, s4
	s_waitcnt lgkmcnt(0)
	s_waitcnt_vscnt null, 0x0
	s_barrier
	buffer_gl0_inv
	ds_load_b128 v[83:86], v80
	ds_load_b128 v[87:90], v80 offset:16
	ds_load_b128 v[95:98], v80 offset:2064
	;; [unrolled: 1-line block ×3, first 2 shown]
	v_mov_b32_e32 v65, 0
	ds_load_b128 v[103:106], v80 offset:4112
	ds_load_b128 v[99:102], v80 offset:4096
	;; [unrolled: 1-line block ×4, first 2 shown]
	v_mov_b32_e32 v66, v65
	v_mov_b32_e32 v67, v65
	;; [unrolled: 1-line block ×7, first 2 shown]
	s_waitcnt lgkmcnt(6)
	s_delay_alu instid0(VALU_DEP_1)
	v_wmma_f32_16x16x16_bf16 v[65:72], v[57:64], v[83:90], v[65:72]
	ds_load_b128 v[61:64], v80 offset:8208
	ds_load_b128 v[57:60], v80 offset:8192
	s_waitcnt lgkmcnt(6)
	v_wmma_f32_16x16x16_bf16 v[65:72], v[41:48], v[91:98], v[65:72]
	ds_load_b128 v[45:48], v80 offset:10256
	ds_load_b128 v[41:44], v80 offset:10240
	s_waitcnt lgkmcnt(6)
	;; [unrolled: 4-line block ×4, first 2 shown]
	v_wmma_f32_16x16x16_bf16 v[65:72], v[1:8], v[57:64], v[65:72]
	s_waitcnt lgkmcnt(4)
	s_delay_alu instid0(VALU_DEP_1) | instskip(SKIP_1) | instid1(VALU_DEP_1)
	v_wmma_f32_16x16x16_bf16 v[65:72], v[9:16], v[41:48], v[65:72]
	s_waitcnt lgkmcnt(2)
	v_wmma_f32_16x16x16_bf16 v[65:72], v[17:24], v[33:40], v[65:72]
	s_waitcnt lgkmcnt(0)
	s_delay_alu instid0(VALU_DEP_1) | instskip(NEXT) | instid1(VALU_DEP_1)
	v_wmma_f32_16x16x16_bf16 v[65:72], v[49:56], v[25:32], v[65:72]
	v_and_b32_e32 v1, 0x7f800000, v65
	s_delay_alu instid0(VALU_DEP_1) | instskip(SKIP_1) | instid1(SALU_CYCLE_1)
	v_cmp_ne_u32_e32 vcc_lo, 0x7f800000, v1
                                        ; implicit-def: $vgpr1
	s_and_saveexec_b32 s4, vcc_lo
	s_xor_b32 s4, exec_lo, s4
; %bb.79:
	v_bfe_u32 v1, v65, 16, 1
	s_delay_alu instid0(VALU_DEP_1)
	v_add3_u32 v1, v65, v1, 0x7fff
; %bb.80:
	s_and_not1_saveexec_b32 s4, s4
; %bb.81:
	v_and_b32_e32 v1, 0xffff, v65
	v_or_b32_e32 v2, 0x10000, v65
	s_delay_alu instid0(VALU_DEP_2) | instskip(NEXT) | instid1(VALU_DEP_2)
	v_cmp_eq_u32_e32 vcc_lo, 0, v1
	v_cndmask_b32_e32 v1, v2, v65, vcc_lo
; %bb.82:
	s_or_b32 exec_lo, exec_lo, s4
	v_and_b32_e32 v2, 0x7f800000, v66
	s_delay_alu instid0(VALU_DEP_1) | instskip(SKIP_1) | instid1(SALU_CYCLE_1)
	v_cmp_ne_u32_e32 vcc_lo, 0x7f800000, v2
                                        ; implicit-def: $vgpr2
	s_and_saveexec_b32 s4, vcc_lo
	s_xor_b32 s4, exec_lo, s4
; %bb.83:
	v_bfe_u32 v2, v66, 16, 1
	s_delay_alu instid0(VALU_DEP_1)
	v_add3_u32 v2, v66, v2, 0x7fff
; %bb.84:
	s_and_not1_saveexec_b32 s4, s4
; %bb.85:
	v_and_b32_e32 v2, 0xffff, v66
	v_or_b32_e32 v3, 0x10000, v66
	s_delay_alu instid0(VALU_DEP_2) | instskip(NEXT) | instid1(VALU_DEP_2)
	v_cmp_eq_u32_e32 vcc_lo, 0, v2
	v_cndmask_b32_e32 v2, v3, v66, vcc_lo
; %bb.86:
	s_or_b32 exec_lo, exec_lo, s4
	v_and_b32_e32 v3, 0x7f800000, v67
	s_delay_alu instid0(VALU_DEP_1) | instskip(SKIP_1) | instid1(SALU_CYCLE_1)
	v_cmp_ne_u32_e32 vcc_lo, 0x7f800000, v3
                                        ; implicit-def: $vgpr3
	s_and_saveexec_b32 s4, vcc_lo
	s_xor_b32 s4, exec_lo, s4
; %bb.87:
	v_bfe_u32 v3, v67, 16, 1
	s_delay_alu instid0(VALU_DEP_1)
	v_add3_u32 v3, v67, v3, 0x7fff
; %bb.88:
	s_and_not1_saveexec_b32 s4, s4
; %bb.89:
	v_and_b32_e32 v3, 0xffff, v67
	v_or_b32_e32 v4, 0x10000, v67
	s_delay_alu instid0(VALU_DEP_2) | instskip(NEXT) | instid1(VALU_DEP_2)
	v_cmp_eq_u32_e32 vcc_lo, 0, v3
	v_cndmask_b32_e32 v3, v4, v67, vcc_lo
; %bb.90:
	s_or_b32 exec_lo, exec_lo, s4
	v_and_b32_e32 v4, 0x7f800000, v68
	s_delay_alu instid0(VALU_DEP_1) | instskip(SKIP_1) | instid1(SALU_CYCLE_1)
	v_cmp_ne_u32_e32 vcc_lo, 0x7f800000, v4
                                        ; implicit-def: $vgpr4
	s_and_saveexec_b32 s4, vcc_lo
	s_xor_b32 s4, exec_lo, s4
; %bb.91:
	v_bfe_u32 v4, v68, 16, 1
	s_delay_alu instid0(VALU_DEP_1)
	v_add3_u32 v4, v68, v4, 0x7fff
; %bb.92:
	s_and_not1_saveexec_b32 s4, s4
; %bb.93:
	v_and_b32_e32 v4, 0xffff, v68
	v_or_b32_e32 v5, 0x10000, v68
	s_delay_alu instid0(VALU_DEP_2) | instskip(NEXT) | instid1(VALU_DEP_2)
	v_cmp_eq_u32_e32 vcc_lo, 0, v4
	v_cndmask_b32_e32 v4, v5, v68, vcc_lo
; %bb.94:
	s_or_b32 exec_lo, exec_lo, s4
	v_and_b32_e32 v5, 0x7f800000, v69
	s_delay_alu instid0(VALU_DEP_1) | instskip(SKIP_1) | instid1(SALU_CYCLE_1)
	v_cmp_ne_u32_e32 vcc_lo, 0x7f800000, v5
                                        ; implicit-def: $vgpr5
	s_and_saveexec_b32 s4, vcc_lo
	s_xor_b32 s4, exec_lo, s4
; %bb.95:
	v_bfe_u32 v5, v69, 16, 1
	s_delay_alu instid0(VALU_DEP_1)
	v_add3_u32 v5, v69, v5, 0x7fff
; %bb.96:
	s_and_not1_saveexec_b32 s4, s4
; %bb.97:
	v_and_b32_e32 v5, 0xffff, v69
	v_or_b32_e32 v6, 0x10000, v69
	s_delay_alu instid0(VALU_DEP_2) | instskip(NEXT) | instid1(VALU_DEP_2)
	v_cmp_eq_u32_e32 vcc_lo, 0, v5
	v_cndmask_b32_e32 v5, v6, v69, vcc_lo
; %bb.98:
	s_or_b32 exec_lo, exec_lo, s4
	v_and_b32_e32 v6, 0x7f800000, v70
	s_delay_alu instid0(VALU_DEP_1) | instskip(SKIP_1) | instid1(SALU_CYCLE_1)
	v_cmp_ne_u32_e32 vcc_lo, 0x7f800000, v6
                                        ; implicit-def: $vgpr6
	s_and_saveexec_b32 s4, vcc_lo
	s_xor_b32 s4, exec_lo, s4
; %bb.99:
	v_bfe_u32 v6, v70, 16, 1
	s_delay_alu instid0(VALU_DEP_1)
	v_add3_u32 v6, v70, v6, 0x7fff
; %bb.100:
	s_and_not1_saveexec_b32 s4, s4
; %bb.101:
	v_and_b32_e32 v6, 0xffff, v70
	v_or_b32_e32 v7, 0x10000, v70
	s_delay_alu instid0(VALU_DEP_2) | instskip(NEXT) | instid1(VALU_DEP_2)
	v_cmp_eq_u32_e32 vcc_lo, 0, v6
	v_cndmask_b32_e32 v6, v7, v70, vcc_lo
; %bb.102:
	s_or_b32 exec_lo, exec_lo, s4
	v_and_b32_e32 v7, 0x7f800000, v71
	s_delay_alu instid0(VALU_DEP_1) | instskip(SKIP_1) | instid1(SALU_CYCLE_1)
	v_cmp_ne_u32_e32 vcc_lo, 0x7f800000, v7
                                        ; implicit-def: $vgpr7
	s_and_saveexec_b32 s4, vcc_lo
	s_xor_b32 s4, exec_lo, s4
; %bb.103:
	v_bfe_u32 v7, v71, 16, 1
	s_delay_alu instid0(VALU_DEP_1)
	v_add3_u32 v7, v71, v7, 0x7fff
; %bb.104:
	s_and_not1_saveexec_b32 s4, s4
; %bb.105:
	v_and_b32_e32 v7, 0xffff, v71
	v_or_b32_e32 v8, 0x10000, v71
	s_delay_alu instid0(VALU_DEP_2) | instskip(NEXT) | instid1(VALU_DEP_2)
	v_cmp_eq_u32_e32 vcc_lo, 0, v7
	v_cndmask_b32_e32 v7, v8, v71, vcc_lo
; %bb.106:
	s_or_b32 exec_lo, exec_lo, s4
	v_and_b32_e32 v8, 0x7f800000, v72
	s_delay_alu instid0(VALU_DEP_1) | instskip(SKIP_1) | instid1(SALU_CYCLE_1)
	v_cmp_ne_u32_e32 vcc_lo, 0x7f800000, v8
                                        ; implicit-def: $vgpr8
	s_and_saveexec_b32 s4, vcc_lo
	s_xor_b32 s4, exec_lo, s4
; %bb.107:
	v_bfe_u32 v8, v72, 16, 1
	s_delay_alu instid0(VALU_DEP_1)
	v_add3_u32 v8, v72, v8, 0x7fff
                                        ; implicit-def: $vgpr65_vgpr66_vgpr67_vgpr68_vgpr69_vgpr70_vgpr71_vgpr72
; %bb.108:
	s_and_not1_saveexec_b32 s4, s4
; %bb.109:
	v_and_b32_e32 v8, 0xffff, v72
	v_or_b32_e32 v9, 0x10000, v72
	s_delay_alu instid0(VALU_DEP_2) | instskip(NEXT) | instid1(VALU_DEP_2)
	v_cmp_eq_u32_e32 vcc_lo, 0, v8
	v_cndmask_b32_e32 v8, v9, v72, vcc_lo
; %bb.110:
	s_or_b32 exec_lo, exec_lo, s4
	s_delay_alu instid0(VALU_DEP_1)
	v_perm_b32 v7, v8, v7, 0x7060302
	v_perm_b32 v6, v6, v5, 0x7060302
	;; [unrolled: 1-line block ×4, first 2 shown]
	s_barrier
	buffer_gl0_inv
	v_cmp_eq_u32_e32 vcc_lo, 1, v78
	ds_store_b128 v76, v[4:7]
	s_waitcnt lgkmcnt(0)
	s_barrier
	buffer_gl0_inv
	ds_load_b128 v[1:4], v82
	ds_load_b128 v[5:8], v82 offset:16
	v_cmp_eq_u32_e64 s4, 1, v79
	v_cmp_eq_u32_e64 s5, 2, v78
	;; [unrolled: 1-line block ×5, first 2 shown]
	s_waitcnt lgkmcnt(1)
	v_lshrrev_b32_e32 v9, 16, v1
	s_waitcnt lgkmcnt(0)
	v_lshrrev_b32_e32 v13, 16, v5
	v_lshrrev_b32_e32 v10, 16, v2
	;; [unrolled: 1-line block ×4, first 2 shown]
	v_cndmask_b32_e64 v19, v1, v9, s4
	v_cndmask_b32_e32 v18, v5, v13, vcc_lo
	v_cndmask_b32_e64 v20, v5, v13, s4
	v_cndmask_b32_e32 v17, v1, v9, vcc_lo
	v_cmp_eq_u32_e32 vcc_lo, 2, v79
	v_lshrrev_b32_e32 v15, 16, v7
	v_cmp_eq_u32_e64 s4, 1, v77
	v_lshrrev_b32_e32 v12, 16, v4
	v_lshrrev_b32_e32 v16, 16, v8
	v_cndmask_b32_e32 v20, v20, v6, vcc_lo
	v_cndmask_b32_e64 v17, v17, v2, s5
	v_cndmask_b32_e32 v19, v19, v2, vcc_lo
	v_cndmask_b32_e64 v18, v18, v6, s5
	v_cmp_eq_u32_e32 vcc_lo, 4, v78
	v_cmp_eq_u32_e64 s5, 3, v79
	v_cndmask_b32_e64 v17, v17, v10, s6
	v_cndmask_b32_e64 v21, v1, v9, s4
	;; [unrolled: 1-line block ×5, first 2 shown]
	v_cndmask_b32_e32 v17, v17, v3, vcc_lo
	v_cndmask_b32_e64 v20, v20, v14, s5
	v_cndmask_b32_e32 v18, v18, v7, vcc_lo
	v_cmp_eq_u32_e32 vcc_lo, 4, v79
	v_cmp_eq_u32_e64 s5, 5, v79
	v_cmp_eq_u32_e64 s4, 2, v81
	v_cndmask_b32_e64 v21, v21, v2, s8
	v_cmp_eq_u32_e64 s6, 5, v78
	v_cndmask_b32_e32 v19, v19, v3, vcc_lo
	v_cndmask_b32_e32 v20, v20, v7, vcc_lo
	v_cmp_eq_u32_e32 vcc_lo, 6, v79
	s_delay_alu instid0(VALU_DEP_4) | instskip(NEXT) | instid1(VALU_DEP_4)
	v_cndmask_b32_e64 v17, v17, v11, s6
	v_cndmask_b32_e64 v19, v19, v11, s5
	s_delay_alu instid0(VALU_DEP_4) | instskip(SKIP_1) | instid1(VALU_DEP_3)
	v_cndmask_b32_e64 v20, v20, v15, s5
	v_cmp_eq_u32_e64 s5, 1, v81
	v_cndmask_b32_e32 v19, v19, v4, vcc_lo
	v_cndmask_b32_e64 v18, v18, v15, s6
	s_delay_alu instid0(VALU_DEP_3)
	v_cndmask_b32_e64 v1, v1, v9, s5
	v_cndmask_b32_e64 v5, v5, v13, s5
	v_cmp_eq_u32_e64 s5, 3, v77
	v_cndmask_b32_e64 v13, v22, v6, s8
	v_cmp_eq_u32_e64 s8, 3, v81
	v_cndmask_b32_e64 v1, v1, v2, s4
	v_cndmask_b32_e64 v2, v5, v6, s4
	v_cndmask_b32_e64 v9, v21, v10, s5
	v_cmp_eq_u32_e64 s4, 4, v77
	v_cndmask_b32_e64 v6, v13, v14, s5
	v_cndmask_b32_e64 v1, v1, v10, s8
	v_cmp_eq_u32_e64 s5, 4, v81
	v_cndmask_b32_e64 v2, v2, v14, s8
	v_cndmask_b32_e64 v5, v9, v3, s4
	;; [unrolled: 3-line block ×3, first 2 shown]
	v_cndmask_b32_e64 v2, v2, v7, s5
	v_cmp_eq_u32_e64 s4, 5, v81
	v_cmp_eq_u32_e64 s6, 6, v78
	v_cndmask_b32_e64 v5, v5, v11, s8
	v_cmp_eq_u32_e64 s5, 6, v77
	v_cndmask_b32_e64 v3, v6, v15, s8
	v_cndmask_b32_e64 v1, v1, v11, s4
	v_cmp_eq_u32_e64 s8, 6, v81
	v_cndmask_b32_e64 v2, v2, v15, s4
	v_cndmask_b32_e64 v17, v17, v4, s6
	v_cndmask_b32_e64 v18, v18, v8, s6
	v_cmp_eq_u32_e64 s6, 7, v78
	v_cndmask_b32_e64 v5, v5, v4, s5
	v_cndmask_b32_e64 v3, v3, v8, s5
	v_cndmask_b32_e64 v1, v1, v4, s8
	v_cmp_eq_u32_e64 s4, 7, v81
	v_cndmask_b32_e64 v2, v2, v8, s8
	v_cmp_eq_u32_e64 s5, 7, v77
	v_cndmask_b32_e32 v4, v20, v8, vcc_lo
	v_cndmask_b32_e64 v17, v17, v12, s6
	v_cndmask_b32_e64 v19, v19, v12, s7
	;; [unrolled: 1-line block ×8, first 2 shown]
	v_cmp_gt_u32_e32 vcc_lo, 32, v0
	v_perm_b32 v4, v2, v1, 0x5040100
	v_perm_b32 v3, v3, v5, 0x5040100
	;; [unrolled: 1-line block ×4, first 2 shown]
	s_and_b32 s2, vcc_lo, s2
	ds_store_b128 v76, v[1:4]
	s_waitcnt lgkmcnt(0)
	s_barrier
	buffer_gl0_inv
	s_and_saveexec_b32 s4, s2
	s_cbranch_execz .LBB1478_2
; %bb.111:
	s_load_b64 s[4:5], s[0:1], 0x68
	v_lshlrev_b32_e32 v0, 10, v0
	v_lshlrev_b32_e32 v1, 4, v75
	s_lshl_b32 s0, s36, 6
	v_add_nc_u32_e32 v18, s31, v74
	s_mul_i32 s1, s0, s34
	s_delay_alu instid0(VALU_DEP_2) | instskip(SKIP_1) | instid1(VALU_DEP_2)
	v_and_or_b32 v0, 0x3800, v0, v1
	s_mul_i32 s6, s1, s9
	v_mul_lo_u32 v1, v18, s0
	s_ashr_i32 s7, s6, 31
	v_add_nc_u32_e32 v2, 2, v18
	v_lshl_or_b32 v19, v74, 6, v0
	s_lshl_b64 s[6:7], s[6:7], 1
	v_add_nc_u32_e32 v8, 4, v18
	v_add_nc_u32_e32 v15, 6, v18
	v_mul_lo_u32 v7, v2, s0
	ds_load_b128 v[3:6], v19
	v_ashrrev_i32_e32 v2, 31, v1
	v_mul_lo_u32 v11, v8, s0
	s_waitcnt lgkmcnt(0)
	s_add_u32 s1, s4, s6
	s_addc_u32 s2, s5, s7
	s_lshl_b32 s4, s14, 6
	v_lshlrev_b64 v[9:10], 1, v[1:2]
	s_ashr_i32 s5, s4, 31
	v_ashrrev_i32_e32 v8, 31, v7
	s_lshl_b64 s[4:5], s[4:5], 1
	v_ashrrev_i32_e32 v12, 31, v11
	s_add_u32 s1, s1, s4
	s_addc_u32 s2, s2, s5
	v_add_co_u32 v1, s1, s1, v73
	s_delay_alu instid0(VALU_DEP_1) | instskip(SKIP_1) | instid1(VALU_DEP_3)
	v_add_co_ci_u32_e64 v2, null, s2, 0, s1
	v_mul_lo_u32 v15, v15, s0
	v_add_co_u32 v13, vcc_lo, v1, v9
	s_delay_alu instid0(VALU_DEP_3)
	v_add_co_ci_u32_e32 v14, vcc_lo, v2, v10, vcc_lo
	v_lshlrev_b64 v[16:17], 1, v[7:8]
	ds_load_b128 v[7:10], v19 offset:128
	global_store_b128 v[13:14], v[3:6], off
	v_add_nc_u32_e32 v5, 8, v18
	v_lshlrev_b64 v[3:4], 1, v[11:12]
	v_add_co_u32 v23, vcc_lo, v1, v16
	v_ashrrev_i32_e32 v16, 31, v15
	s_delay_alu instid0(VALU_DEP_4) | instskip(SKIP_3) | instid1(VALU_DEP_3)
	v_mul_lo_u32 v25, v5, s0
	v_add_nc_u32_e32 v5, 10, v18
	v_add_co_ci_u32_e32 v24, vcc_lo, v2, v17, vcc_lo
	v_add_co_u32 v27, vcc_lo, v1, v3
	v_mul_lo_u32 v29, v5, s0
	v_add_co_ci_u32_e32 v28, vcc_lo, v2, v4, vcc_lo
	v_lshlrev_b64 v[31:32], 1, v[15:16]
	ds_load_b128 v[3:6], v19 offset:256
	ds_load_b128 v[11:14], v19 offset:384
	;; [unrolled: 1-line block ×4, first 2 shown]
	v_ashrrev_i32_e32 v26, 31, v25
	v_ashrrev_i32_e32 v30, 31, v29
	v_add_co_u32 v31, vcc_lo, v1, v31
	s_delay_alu instid0(VALU_DEP_3) | instskip(SKIP_1) | instid1(VALU_DEP_4)
	v_lshlrev_b64 v[25:26], 1, v[25:26]
	v_add_co_ci_u32_e32 v32, vcc_lo, v2, v32, vcc_lo
	v_lshlrev_b64 v[29:30], 1, v[29:30]
	s_delay_alu instid0(VALU_DEP_3) | instskip(NEXT) | instid1(VALU_DEP_4)
	v_add_co_u32 v25, vcc_lo, v1, v25
	v_add_co_ci_u32_e32 v26, vcc_lo, v2, v26, vcc_lo
	s_delay_alu instid0(VALU_DEP_3) | instskip(NEXT) | instid1(VALU_DEP_4)
	v_add_co_u32 v29, vcc_lo, v1, v29
	v_add_co_ci_u32_e32 v30, vcc_lo, v2, v30, vcc_lo
	s_waitcnt lgkmcnt(4)
	global_store_b128 v[23:24], v[7:10], off
	s_waitcnt lgkmcnt(3)
	global_store_b128 v[27:28], v[3:6], off
	s_waitcnt lgkmcnt(2)
	global_store_b128 v[31:32], v[11:14], off
	s_waitcnt lgkmcnt(1)
	global_store_b128 v[25:26], v[15:18], off
	s_waitcnt lgkmcnt(0)
	global_store_b128 v[29:30], v[19:22], off
	s_and_b32 exec_lo, exec_lo, s3
	s_cbranch_execz .LBB1478_2
; %bb.112:
	ds_load_b128 v[3:6], v0 offset:768
	s_add_i32 s1, s31, 12
	s_delay_alu instid0(SALU_CYCLE_1) | instskip(NEXT) | instid1(SALU_CYCLE_1)
	s_mul_i32 s0, s1, s0
	s_ashr_i32 s1, s0, 31
	s_delay_alu instid0(SALU_CYCLE_1) | instskip(NEXT) | instid1(SALU_CYCLE_1)
	s_lshl_b64 s[0:1], s[0:1], 1
	v_add_co_u32 v0, vcc_lo, v1, s0
	v_add_co_ci_u32_e32 v1, vcc_lo, s1, v2, vcc_lo
	s_waitcnt lgkmcnt(0)
	global_store_b128 v[0:1], v[3:6], off
	s_nop 0
	s_sendmsg sendmsg(MSG_DEALLOC_VGPRS)
	s_endpgm
	.section	.rodata,"a",@progbits
	.p2align	6, 0x0
	.amdhsa_kernel _Z39paged_attention_ll4mi_QKV_mfma16_kernelI14__hip_bfloat16hLN4vllm18Fp8KVCacheDataTypeE1ES0_Li32ELi64ELi256ELb1ELi13EL8MFMAType1EEvPKT_PKT0_S9_ifPKiSB_SB_iPKfiiiPfSE_PS4_PT2_iSD_SD_
		.amdhsa_group_segment_fixed_size 17472
		.amdhsa_private_segment_fixed_size 0
		.amdhsa_kernarg_size 400
		.amdhsa_user_sgpr_count 13
		.amdhsa_user_sgpr_dispatch_ptr 0
		.amdhsa_user_sgpr_queue_ptr 0
		.amdhsa_user_sgpr_kernarg_segment_ptr 1
		.amdhsa_user_sgpr_dispatch_id 0
		.amdhsa_user_sgpr_private_segment_size 0
		.amdhsa_wavefront_size32 1
		.amdhsa_uses_dynamic_stack 0
		.amdhsa_enable_private_segment 0
		.amdhsa_system_sgpr_workgroup_id_x 1
		.amdhsa_system_sgpr_workgroup_id_y 1
		.amdhsa_system_sgpr_workgroup_id_z 1
		.amdhsa_system_sgpr_workgroup_info 0
		.amdhsa_system_vgpr_workitem_id 0
		.amdhsa_next_free_vgpr 124
		.amdhsa_next_free_sgpr 42
		.amdhsa_reserve_vcc 1
		.amdhsa_float_round_mode_32 0
		.amdhsa_float_round_mode_16_64 0
		.amdhsa_float_denorm_mode_32 3
		.amdhsa_float_denorm_mode_16_64 3
		.amdhsa_dx10_clamp 1
		.amdhsa_ieee_mode 1
		.amdhsa_fp16_overflow 0
		.amdhsa_workgroup_processor_mode 1
		.amdhsa_memory_ordered 1
		.amdhsa_forward_progress 0
		.amdhsa_shared_vgpr_count 0
		.amdhsa_exception_fp_ieee_invalid_op 0
		.amdhsa_exception_fp_denorm_src 0
		.amdhsa_exception_fp_ieee_div_zero 0
		.amdhsa_exception_fp_ieee_overflow 0
		.amdhsa_exception_fp_ieee_underflow 0
		.amdhsa_exception_fp_ieee_inexact 0
		.amdhsa_exception_int_div_zero 0
	.end_amdhsa_kernel
	.section	.text._Z39paged_attention_ll4mi_QKV_mfma16_kernelI14__hip_bfloat16hLN4vllm18Fp8KVCacheDataTypeE1ES0_Li32ELi64ELi256ELb1ELi13EL8MFMAType1EEvPKT_PKT0_S9_ifPKiSB_SB_iPKfiiiPfSE_PS4_PT2_iSD_SD_,"axG",@progbits,_Z39paged_attention_ll4mi_QKV_mfma16_kernelI14__hip_bfloat16hLN4vllm18Fp8KVCacheDataTypeE1ES0_Li32ELi64ELi256ELb1ELi13EL8MFMAType1EEvPKT_PKT0_S9_ifPKiSB_SB_iPKfiiiPfSE_PS4_PT2_iSD_SD_,comdat
.Lfunc_end1478:
	.size	_Z39paged_attention_ll4mi_QKV_mfma16_kernelI14__hip_bfloat16hLN4vllm18Fp8KVCacheDataTypeE1ES0_Li32ELi64ELi256ELb1ELi13EL8MFMAType1EEvPKT_PKT0_S9_ifPKiSB_SB_iPKfiiiPfSE_PS4_PT2_iSD_SD_, .Lfunc_end1478-_Z39paged_attention_ll4mi_QKV_mfma16_kernelI14__hip_bfloat16hLN4vllm18Fp8KVCacheDataTypeE1ES0_Li32ELi64ELi256ELb1ELi13EL8MFMAType1EEvPKT_PKT0_S9_ifPKiSB_SB_iPKfiiiPfSE_PS4_PT2_iSD_SD_
                                        ; -- End function
	.section	.AMDGPU.csdata,"",@progbits
; Kernel info:
; codeLenInByte = 8972
; NumSgprs: 44
; NumVgprs: 124
; ScratchSize: 0
; MemoryBound: 0
; FloatMode: 240
; IeeeMode: 1
; LDSByteSize: 17472 bytes/workgroup (compile time only)
; SGPRBlocks: 5
; VGPRBlocks: 15
; NumSGPRsForWavesPerEU: 44
; NumVGPRsForWavesPerEU: 124
; Occupancy: 10
; WaveLimiterHint : 1
; COMPUTE_PGM_RSRC2:SCRATCH_EN: 0
; COMPUTE_PGM_RSRC2:USER_SGPR: 13
; COMPUTE_PGM_RSRC2:TRAP_HANDLER: 0
; COMPUTE_PGM_RSRC2:TGID_X_EN: 1
; COMPUTE_PGM_RSRC2:TGID_Y_EN: 1
; COMPUTE_PGM_RSRC2:TGID_Z_EN: 1
; COMPUTE_PGM_RSRC2:TIDIG_COMP_CNT: 0
	.section	.text._Z39paged_attention_ll4mi_QKV_mfma16_kernelI14__hip_bfloat16hLN4vllm18Fp8KVCacheDataTypeE1ES0_Li32ELi64ELi256ELb1ELi14EL8MFMAType1EEvPKT_PKT0_S9_ifPKiSB_SB_iPKfiiiPfSE_PS4_PT2_iSD_SD_,"axG",@progbits,_Z39paged_attention_ll4mi_QKV_mfma16_kernelI14__hip_bfloat16hLN4vllm18Fp8KVCacheDataTypeE1ES0_Li32ELi64ELi256ELb1ELi14EL8MFMAType1EEvPKT_PKT0_S9_ifPKiSB_SB_iPKfiiiPfSE_PS4_PT2_iSD_SD_,comdat
	.protected	_Z39paged_attention_ll4mi_QKV_mfma16_kernelI14__hip_bfloat16hLN4vllm18Fp8KVCacheDataTypeE1ES0_Li32ELi64ELi256ELb1ELi14EL8MFMAType1EEvPKT_PKT0_S9_ifPKiSB_SB_iPKfiiiPfSE_PS4_PT2_iSD_SD_ ; -- Begin function _Z39paged_attention_ll4mi_QKV_mfma16_kernelI14__hip_bfloat16hLN4vllm18Fp8KVCacheDataTypeE1ES0_Li32ELi64ELi256ELb1ELi14EL8MFMAType1EEvPKT_PKT0_S9_ifPKiSB_SB_iPKfiiiPfSE_PS4_PT2_iSD_SD_
	.globl	_Z39paged_attention_ll4mi_QKV_mfma16_kernelI14__hip_bfloat16hLN4vllm18Fp8KVCacheDataTypeE1ES0_Li32ELi64ELi256ELb1ELi14EL8MFMAType1EEvPKT_PKT0_S9_ifPKiSB_SB_iPKfiiiPfSE_PS4_PT2_iSD_SD_
	.p2align	8
	.type	_Z39paged_attention_ll4mi_QKV_mfma16_kernelI14__hip_bfloat16hLN4vllm18Fp8KVCacheDataTypeE1ES0_Li32ELi64ELi256ELb1ELi14EL8MFMAType1EEvPKT_PKT0_S9_ifPKiSB_SB_iPKfiiiPfSE_PS4_PT2_iSD_SD_,@function
_Z39paged_attention_ll4mi_QKV_mfma16_kernelI14__hip_bfloat16hLN4vllm18Fp8KVCacheDataTypeE1ES0_Li32ELi64ELi256ELb1ELi14EL8MFMAType1EEvPKT_PKT0_S9_ifPKiSB_SB_iPKfiiiPfSE_PS4_PT2_iSD_SD_: ; @_Z39paged_attention_ll4mi_QKV_mfma16_kernelI14__hip_bfloat16hLN4vllm18Fp8KVCacheDataTypeE1ES0_Li32ELi64ELi256ELb1ELi14EL8MFMAType1EEvPKT_PKT0_S9_ifPKiSB_SB_iPKfiiiPfSE_PS4_PT2_iSD_SD_
; %bb.0:
	s_load_b64 s[2:3], s[0:1], 0x30
	s_mov_b32 s30, s13
	s_waitcnt lgkmcnt(0)
	s_cmp_lg_u64 s[2:3], 0
	s_cselect_b32 s8, -1, 0
	s_ashr_i32 s31, s13, 31
	s_cmp_eq_u64 s[2:3], 0
	s_cbranch_scc1 .LBB1479_3
; %bb.1:
	s_lshl_b64 s[4:5], s[30:31], 2
	s_delay_alu instid0(SALU_CYCLE_1) | instskip(SKIP_4) | instid1(SALU_CYCLE_1)
	s_add_u32 s4, s2, s4
	s_addc_u32 s5, s3, s5
	s_load_b64 s[4:5], s[4:5], 0x0
	s_waitcnt lgkmcnt(0)
	s_sub_i32 s4, s5, s4
	s_cmp_eq_u32 s4, 1
	s_cselect_b32 s4, -1, 0
	s_delay_alu instid0(SALU_CYCLE_1)
	s_and_not1_b32 vcc_lo, exec_lo, s4
	s_cbranch_vccz .LBB1479_4
.LBB1479_2:
	s_endpgm
.LBB1479_3:
.LBB1479_4:
	s_load_b64 s[4:5], s[0:1], 0x28
	s_lshl_b64 s[6:7], s[30:31], 2
	s_waitcnt lgkmcnt(0)
	s_add_u32 s4, s4, s6
	s_addc_u32 s5, s5, s7
	s_lshl_b32 s12, s14, 8
	s_load_b32 s24, s[4:5], 0x0
	s_waitcnt lgkmcnt(0)
	s_cmp_ge_i32 s12, s24
	s_cbranch_scc1 .LBB1479_2
; %bb.5:
	s_clause 0x1
	s_load_b128 s[20:23], s[0:1], 0x8
	s_load_b64 s[4:5], s[0:1], 0x20
	s_and_not1_b32 vcc_lo, exec_lo, s8
	s_cbranch_vccnz .LBB1479_7
; %bb.6:
	s_add_u32 s2, s2, s6
	s_addc_u32 s3, s3, s7
	s_load_b32 s3, s[2:3], 0x0
	s_branch .LBB1479_8
.LBB1479_7:
	s_mov_b32 s3, s30
.LBB1479_8:
	s_load_b128 s[16:19], s[0:1], 0x48
	v_and_b32_e32 v65, 15, v0
	v_cmp_gt_u32_e32 vcc_lo, 0xe0, v0
	v_lshrrev_b32_e32 v66, 5, v0
	v_and_b32_e32 v67, 31, v0
	v_and_b32_e32 v75, 1, v0
	v_lshlrev_b32_e32 v1, 3, v65
	v_cmp_gt_u32_e64 s2, 8, v65
	v_bfe_u32 v74, v0, 4, 1
	s_mul_i32 s31, s15, 14
	s_delay_alu instid0(VALU_DEP_3) | instskip(NEXT) | instid1(VALU_DEP_3)
	v_lshlrev_b32_e32 v73, 1, v1
	s_and_b32 s7, vcc_lo, s2
	s_delay_alu instid0(SALU_CYCLE_1)
	s_and_saveexec_b32 s6, s7
	s_cbranch_execz .LBB1479_10
; %bb.9:
	s_load_b64 s[8:9], s[0:1], 0x0
	v_lshl_or_b32 v5, v66, 1, v74
	s_waitcnt lgkmcnt(0)
	s_mul_hi_i32 s11, s3, s16
	s_mul_i32 s10, s3, s16
	v_lshlrev_b32_e32 v6, 10, v65
	s_lshl_b64 s[10:11], s[10:11], 1
	v_add_lshl_u32 v1, v5, s31, 6
	v_lshlrev_b32_e32 v5, 6, v5
	v_lshlrev_b32_e32 v7, 10, v75
	v_and_b32_e32 v6, 0x3800, v6
	s_delay_alu instid0(VALU_DEP_4) | instskip(NEXT) | instid1(VALU_DEP_2)
	v_ashrrev_i32_e32 v2, 31, v1
	v_or3_b32 v5, v6, v7, v5
	s_delay_alu instid0(VALU_DEP_2) | instskip(SKIP_2) | instid1(VALU_DEP_1)
	v_lshlrev_b64 v[1:2], 1, v[1:2]
	s_add_u32 s3, s8, s10
	s_addc_u32 s7, s9, s11
	v_add_co_u32 v1, vcc_lo, s3, v1
	s_delay_alu instid0(VALU_DEP_2) | instskip(NEXT) | instid1(VALU_DEP_2)
	v_add_co_ci_u32_e32 v2, vcc_lo, s7, v2, vcc_lo
	v_add_co_u32 v1, vcc_lo, v1, v73
	s_delay_alu instid0(VALU_DEP_2)
	v_add_co_ci_u32_e32 v2, vcc_lo, 0, v2, vcc_lo
	global_load_b128 v[1:4], v[1:2], off
	s_waitcnt vmcnt(0)
	ds_store_b128 v5, v[1:4]
.LBB1479_10:
	s_or_b32 exec_lo, exec_lo, s6
	v_and_b32_e32 v1, 0xef, v0
	s_waitcnt lgkmcnt(0)
	s_add_i32 s3, s24, 31
	s_clause 0x1
	s_load_b32 s6, s[0:1], 0x38
	s_load_b32 s19, s[0:1], 0x1c
	s_ashr_i32 s7, s3, 31
	v_add_nc_u32_e32 v1, s12, v1
	s_lshr_b32 s7, s7, 27
	s_waitcnt lgkmcnt(0)
	s_add_i32 s3, s3, s7
	s_barrier
	v_ashrrev_i32_e32 v2, 31, v1
	v_or_b32_e32 v3, 16, v1
	s_ashr_i32 s3, s3, 5
	v_cmp_gt_i32_e32 vcc_lo, s24, v1
	s_add_i32 s3, s3, -1
	v_lshrrev_b32_e32 v2, 27, v2
	buffer_gl0_inv
	s_mul_i32 s27, s15, s18
	v_add_nc_u32_e32 v4, v1, v2
	s_mul_i32 s6, s30, s6
	s_delay_alu instid0(SALU_CYCLE_1) | instskip(NEXT) | instid1(VALU_DEP_1)
	s_ashr_i32 s7, s6, 31
	v_ashrrev_i32_e32 v4, 5, v4
	v_add_nc_u32_e32 v2, v3, v2
	s_lshl_b64 s[6:7], s[6:7], 2
	s_delay_alu instid0(SALU_CYCLE_1) | instskip(NEXT) | instid1(VALU_DEP_2)
	s_add_u32 s26, s4, s6
	v_cndmask_b32_e32 v1, s3, v4, vcc_lo
	s_delay_alu instid0(VALU_DEP_2)
	v_ashrrev_i32_e32 v2, 5, v2
	v_cmp_gt_i32_e32 vcc_lo, s24, v3
	s_addc_u32 s25, s5, s7
	s_ashr_i32 s28, s27, 31
	s_add_u32 s4, s20, s27
	s_addc_u32 s5, s21, s28
	v_cndmask_b32_e32 v3, s3, v2, vcc_lo
	v_ashrrev_i32_e32 v2, 31, v1
	s_lshl_b32 s6, s14, 3
	s_delay_alu instid0(SALU_CYCLE_1) | instskip(NEXT) | instid1(VALU_DEP_2)
	s_ashr_i32 s7, s6, 31
	v_ashrrev_i32_e32 v4, 31, v3
	s_delay_alu instid0(VALU_DEP_2) | instskip(SKIP_1) | instid1(SALU_CYCLE_1)
	v_lshlrev_b64 v[1:2], 2, v[1:2]
	s_lshl_b64 s[6:7], s[6:7], 2
	s_add_u32 s6, s26, s6
	s_delay_alu instid0(VALU_DEP_2) | instskip(SKIP_1) | instid1(VALU_DEP_2)
	v_lshlrev_b64 v[3:4], 2, v[3:4]
	s_addc_u32 s7, s25, s7
	v_add_co_u32 v1, vcc_lo, s26, v1
	v_add_co_ci_u32_e32 v2, vcc_lo, s25, v2, vcc_lo
	s_delay_alu instid0(VALU_DEP_3) | instskip(NEXT) | instid1(VALU_DEP_4)
	v_add_co_u32 v3, vcc_lo, s26, v3
	v_add_co_ci_u32_e32 v4, vcc_lo, s25, v4, vcc_lo
	s_clause 0x1
	global_load_b32 v5, v[1:2], off
	global_load_b32 v6, v[3:4], off
	s_or_b32 s8, s12, 32
	s_delay_alu instid0(SALU_CYCLE_1) | instskip(SKIP_2) | instid1(SALU_CYCLE_1)
	s_ashr_i32 s9, s8, 5
	s_cmp_lt_i32 s8, s24
	s_cselect_b32 s8, s9, s3
	s_ashr_i32 s9, s8, 31
	s_delay_alu instid0(SALU_CYCLE_1) | instskip(NEXT) | instid1(SALU_CYCLE_1)
	s_lshl_b64 s[8:9], s[8:9], 2
	s_add_u32 s8, s26, s8
	s_addc_u32 s9, s25, s9
	s_or_b32 s10, s12, 64
	s_delay_alu instid0(SALU_CYCLE_1) | instskip(SKIP_2) | instid1(SALU_CYCLE_1)
	s_ashr_i32 s11, s10, 5
	s_cmp_lt_i32 s10, s24
	s_cselect_b32 s10, s11, s3
	s_ashr_i32 s11, s10, 31
	s_delay_alu instid0(SALU_CYCLE_1) | instskip(NEXT) | instid1(SALU_CYCLE_1)
	s_lshl_b64 s[10:11], s[10:11], 2
	s_add_u32 s10, s26, s10
	s_addc_u32 s11, s25, s11
	;; [unrolled: 10-line block ×5, first 2 shown]
	s_clause 0x5
	s_load_b32 s21, s[6:7], 0x0
	s_load_b32 s13, s[8:9], 0x0
	;; [unrolled: 1-line block ×6, first 2 shown]
	s_or_b32 s8, s12, 0xc0
	s_delay_alu instid0(SALU_CYCLE_1) | instskip(SKIP_2) | instid1(SALU_CYCLE_1)
	s_ashr_i32 s9, s8, 5
	s_cmp_lt_i32 s8, s24
	s_cselect_b32 s34, s9, s3
	s_ashr_i32 s35, s34, 31
	s_delay_alu instid0(SALU_CYCLE_1) | instskip(NEXT) | instid1(SALU_CYCLE_1)
	s_lshl_b64 s[34:35], s[34:35], 2
	s_add_u32 s34, s26, s34
	s_addc_u32 s35, s25, s35
	s_or_b32 s29, s12, 0xe0
	s_delay_alu instid0(SALU_CYCLE_1)
	s_ashr_i32 s33, s29, 5
	s_cmp_lt_i32 s29, s24
	s_waitcnt vmcnt(1)
	v_mad_i64_i32 v[1:2], null, v5, s17, s[4:5]
	s_waitcnt vmcnt(0)
	v_mad_i64_i32 v[3:4], null, v6, s17, s[4:5]
	s_mov_b32 s4, 0
	s_delay_alu instid0(SALU_CYCLE_1)
	s_mov_b32 s5, s4
	s_mov_b32 s6, s4
	;; [unrolled: 1-line block ×7, first 2 shown]
	v_lshlrev_b32_e32 v5, 4, v65
	v_dual_mov_b32 v107, s11 :: v_dual_mov_b32 v102, s6
	v_mov_b32_e32 v100, s4
	v_mov_b32_e32 v106, s10
	s_delay_alu instid0(VALU_DEP_4)
	v_add_co_u32 v1, vcc_lo, v1, v5
	v_add_co_ci_u32_e32 v2, vcc_lo, 0, v2, vcc_lo
	v_add_co_u32 v3, vcc_lo, v3, v5
	v_add_co_ci_u32_e32 v4, vcc_lo, 0, v4, vcc_lo
	s_clause 0x7
	global_load_b128 v[49:52], v[1:2], off
	global_load_b128 v[53:56], v[1:2], off offset:512
	global_load_b128 v[76:79], v[3:4], off offset:256
	;; [unrolled: 1-line block ×7, first 2 shown]
	v_add_nc_u32_e32 v1, -14, v65
	v_cmp_gt_u32_e32 vcc_lo, 14, v65
	v_dual_mov_b32 v104, s8 :: v_dual_mov_b32 v103, s7
	v_dual_mov_b32 v101, s5 :: v_dual_lshlrev_b32 v2, 5, v65
	s_delay_alu instid0(VALU_DEP_4)
	v_cndmask_b32_e32 v1, v1, v65, vcc_lo
	v_mov_b32_e32 v105, s9
	s_cselect_b32 s4, s33, s3
	s_load_b32 s3, s[34:35], 0x0
	s_ashr_i32 s5, s4, 31
	v_lshlrev_b32_e32 v70, 6, v1
	s_lshl_b64 s[4:5], s[4:5], 2
	v_lshl_or_b32 v2, v66, 9, v2
	s_add_u32 s4, s26, s4
	s_addc_u32 s5, s25, s5
	ds_load_b128 v[108:111], v70
	ds_load_b128 v[112:115], v70 offset:1024
	s_load_b32 s4, s[4:5], 0x0
	s_add_u32 s6, s22, s27
	s_addc_u32 s7, s23, s28
	v_add_co_u32 v9, s6, s6, v2
	s_delay_alu instid0(VALU_DEP_1) | instskip(SKIP_1) | instid1(VALU_DEP_1)
	v_add_co_ci_u32_e64 v10, null, s7, 0, s6
	s_waitcnt lgkmcnt(0)
	v_mad_i64_i32 v[1:2], null, s21, s17, v[9:10]
	v_mad_i64_i32 v[3:4], null, s13, s17, v[9:10]
	;; [unrolled: 1-line block ×7, first 2 shown]
	s_clause 0x9
	global_load_b128 v[57:60], v[1:2], off
	global_load_b128 v[61:64], v[1:2], off offset:16
	global_load_b128 v[41:44], v[3:4], off
	global_load_b128 v[45:48], v[3:4], off offset:16
	;; [unrolled: 2-line block ×5, first 2 shown]
	v_mad_i64_i32 v[68:69], null, s4, s17, v[9:10]
	s_clause 0x3
	global_load_b128 v[9:12], v[13:14], off
	global_load_b128 v[13:16], v[13:14], off offset:16
	global_load_b128 v[17:20], v[21:22], off
	global_load_b128 v[21:24], v[21:22], off offset:16
	s_waitcnt vmcnt(20)
	v_wmma_f32_16x16x16_bf16 v[116:123], v[49:56], v[108:115], v[100:107]
	s_clause 0x1
	global_load_b128 v[49:52], v[68:69], off
	global_load_b128 v[53:56], v[68:69], off offset:16
	v_and_b32_e32 v68, 0xe0, v0
	v_mbcnt_lo_u32_b32 v69, -1, 0
	s_delay_alu instid0(VALU_DEP_2)
	v_add_nc_u32_e32 v68, s12, v68
	s_waitcnt vmcnt(20)
	v_wmma_f32_16x16x16_bf16 v[100:107], v[76:83], v[108:115], v[100:107]
	ds_load_b128 v[76:79], v70 offset:2048
	ds_load_b128 v[80:83], v70 offset:3072
	v_xor_b32_e32 v70, 16, v69
	s_waitcnt vmcnt(0) lgkmcnt(0)
	v_or_b32_e32 v68, v68, v74
	s_barrier
	buffer_gl0_inv
	v_cmp_gt_i32_e32 vcc_lo, 32, v70
	v_or_b32_e32 v71, 4, v68
	v_or_b32_e32 v72, 6, v68
	v_cmp_gt_i32_e64 s3, s24, v68
	v_or_b32_e32 v108, 8, v68
	v_or_b32_e32 v109, 10, v68
	v_cmp_gt_i32_e64 s4, s24, v71
	v_cmp_gt_i32_e64 s5, s24, v72
	s_delay_alu instid0(VALU_DEP_4) | instskip(NEXT) | instid1(VALU_DEP_4)
	v_cmp_gt_i32_e64 s6, s24, v108
	v_cmp_gt_i32_e64 s7, s24, v109
	v_wmma_f32_16x16x16_bf16 v[116:123], v[84:91], v[76:83], v[116:123]
	v_cndmask_b32_e32 v69, v69, v70, vcc_lo
	v_or_b32_e32 v70, 2, v68
	v_wmma_f32_16x16x16_bf16 v[100:107], v[92:99], v[76:83], v[100:107]
	v_or_b32_e32 v89, 22, v68
	v_dual_mul_f32 v80, s19, v121 :: v_dual_mul_f32 v81, s19, v120
	v_dual_mul_f32 v92, s19, v117 :: v_dual_mul_f32 v93, s19, v116
	s_delay_alu instid0(VALU_DEP_4)
	v_mul_f32_e32 v96, s19, v105
	v_cmp_gt_i32_e32 vcc_lo, s24, v70
	v_dual_mul_f32 v79, s19, v122 :: v_dual_mul_f32 v82, s19, v119
	v_dual_mul_f32 v83, s19, v118 :: v_dual_mul_f32 v94, s19, v107
	v_cndmask_b32_e64 v93, 0xff7fffff, v93, s3
	v_cndmask_b32_e32 v92, 0xff7fffff, v92, vcc_lo
	v_or_b32_e32 v84, 12, v68
	v_or_b32_e32 v85, 14, v68
	v_cndmask_b32_e64 v71, 0xff7fffff, v83, s4
	v_cndmask_b32_e64 v72, 0xff7fffff, v82, s5
	v_cmp_gt_i32_e64 s13, s24, v89
	v_lshlrev_b32_e32 v89, 2, v69
	v_max3_f32 v82, v93, 0xff7fffff, v92
	v_or_b32_e32 v86, 16, v68
	v_or_b32_e32 v87, 18, v68
	v_mul_f32_e32 v78, s19, v123
	v_cndmask_b32_e64 v81, 0xff7fffff, v81, s6
	v_cndmask_b32_e64 v80, 0xff7fffff, v80, s7
	v_max3_f32 v71, v82, v71, v72
	v_cmp_gt_i32_e64 s8, s24, v84
	v_cmp_gt_i32_e64 s9, s24, v85
	v_or_b32_e32 v88, 20, v68
	v_or_b32_e32 v90, 24, v68
	;; [unrolled: 1-line block ×5, first 2 shown]
	v_dual_mul_f32 v97, s19, v104 :: v_dual_mul_f32 v70, s19, v101
	v_dual_mul_f32 v99, s19, v102 :: v_dual_mul_f32 v68, s19, v100
	v_cndmask_b32_e64 v72, 0xff7fffff, v79, s8
	v_cndmask_b32_e64 v78, 0xff7fffff, v78, s9
	v_max3_f32 v71, v71, v81, v80
	v_cmp_gt_i32_e64 s10, s24, v86
	v_cmp_gt_i32_e64 s11, s24, v87
	v_dual_mul_f32 v95, s19, v106 :: v_dual_mul_f32 v98, s19, v103
	s_delay_alu instid0(VALU_DEP_4) | instskip(NEXT) | instid1(VALU_DEP_4)
	v_max3_f32 v71, v71, v72, v78
	v_cndmask_b32_e64 v68, 0xff7fffff, v68, s10
	s_delay_alu instid0(VALU_DEP_4)
	v_cndmask_b32_e64 v70, 0xff7fffff, v70, s11
	v_cmp_gt_i32_e64 s12, s24, v88
	v_cndmask_b32_e64 v78, 0xff7fffff, v98, s13
	v_cmp_gt_i32_e64 s15, s24, v90
	v_cmp_gt_i32_e64 s16, s24, v91
	v_max3_f32 v68, v71, v68, v70
	v_cndmask_b32_e64 v72, 0xff7fffff, v99, s12
	v_cmp_gt_i32_e64 s17, s24, v76
	v_cndmask_b32_e64 v70, 0xff7fffff, v97, s15
	v_cndmask_b32_e64 v71, 0xff7fffff, v96, s16
	v_cmp_gt_i32_e64 s18, s24, v77
	v_max3_f32 v68, v68, v72, v78
	v_cndmask_b32_e64 v72, 0xff7fffff, v95, s17
	s_delay_alu instid0(VALU_DEP_3) | instskip(NEXT) | instid1(VALU_DEP_3)
	v_cndmask_b32_e64 v76, 0xff7fffff, v94, s18
	v_max3_f32 v68, v68, v70, v71
	s_delay_alu instid0(VALU_DEP_1) | instskip(SKIP_3) | instid1(VALU_DEP_1)
	v_max3_f32 v68, v68, v72, v76
	ds_bpermute_b32 v69, v89, v68
	s_waitcnt lgkmcnt(0)
	v_max_f32_e32 v69, v69, v69
	v_max_f32_e32 v68, v68, v69
	s_delay_alu instid0(VALU_DEP_1) | instskip(NEXT) | instid1(VALU_DEP_1)
	v_fma_f32 v71, s19, v118, -v68
	v_mul_f32_e32 v71, 0x3fb8aa3b, v71
	v_fma_f32 v70, s19, v117, -v68
	v_fma_f32 v69, s19, v116, -v68
	;; [unrolled: 1-line block ×5, first 2 shown]
	s_delay_alu instid0(VALU_DEP_4) | instskip(SKIP_1) | instid1(VALU_DEP_3)
	v_dual_mul_f32 v70, 0x3fb8aa3b, v70 :: v_dual_mul_f32 v69, 0x3fb8aa3b, v69
	v_exp_f32_e32 v71, v71
	v_mul_f32_e32 v72, 0x3fb8aa3b, v72
	v_fma_f32 v81, s19, v105, -v68
	s_delay_alu instid0(VALU_DEP_3)
	v_exp_f32_e32 v70, v70
	v_mul_f32_e32 v77, 0x3fb8aa3b, v76
	v_exp_f32_e32 v69, v69
	v_exp_f32_e32 v72, v72
	v_mul_f32_e32 v81, 0x3fb8aa3b, v81
	v_cndmask_b32_e64 v83, 0, v71, s4
	v_fma_f32 v71, s19, v123, -v68
	s_delay_alu instid0(VALU_DEP_3) | instskip(SKIP_4) | instid1(TRANS32_DEP_3)
	v_exp_f32_e32 v81, v81
	v_cndmask_b32_e32 v76, 0, v70, vcc_lo
	v_exp_f32_e32 v77, v77
	v_cndmask_b32_e64 v80, 0, v69, s3
	v_fma_f32 v69, s19, v121, -v68
	v_cndmask_b32_e64 v85, 0, v72, s5
	v_mul_f32_e32 v71, 0x3fb8aa3b, v71
	v_fma_f32 v72, s19, v100, -v68
	s_delay_alu instid0(VALU_DEP_4) | instskip(SKIP_1) | instid1(VALU_DEP_3)
	v_dual_add_f32 v70, 0, v80 :: v_dual_mul_f32 v69, 0x3fb8aa3b, v69
	s_mov_b32 s3, exec_lo
	v_exp_f32_e32 v71, v71
	s_delay_alu instid0(TRANS32_DEP_2) | instskip(SKIP_4) | instid1(VALU_DEP_3)
	v_cndmask_b32_e64 v86, 0, v77, s6
	v_fma_f32 v77, s19, v101, -v68
	v_mul_f32_e32 v78, 0x3fb8aa3b, v78
	v_add_f32_e32 v70, v70, v76
	v_exp_f32_e32 v69, v69
	v_mul_f32_e32 v77, 0x3fb8aa3b, v77
	s_delay_alu instid0(VALU_DEP_3) | instskip(NEXT) | instid1(TRANS32_DEP_3)
	v_exp_f32_e32 v78, v78
	v_cndmask_b32_e64 v88, 0, v71, s9
	v_fma_f32 v71, s19, v104, -v68
	s_delay_alu instid0(VALU_DEP_3) | instskip(NEXT) | instid1(TRANS32_DEP_3)
	v_exp_f32_e32 v77, v77
	v_cndmask_b32_e64 v87, 0, v69, s7
	s_delay_alu instid0(VALU_DEP_2)
	v_mul_f32_e32 v71, 0x3fb8aa3b, v71
	s_waitcnt_depctr 0xfff
	v_cndmask_b32_e64 v84, 0, v78, s8
	v_add_f32_e32 v70, v70, v83
	v_fma_f32 v78, s19, v103, -v68
	v_exp_f32_e32 v82, v71
	s_delay_alu instid0(VALU_DEP_2) | instskip(SKIP_1) | instid1(VALU_DEP_3)
	v_add_f32_e32 v70, v70, v85
	v_mul_f32_e32 v72, 0x3fb8aa3b, v72
	v_mul_f32_e32 v78, 0x3fb8aa3b, v78
	s_delay_alu instid0(VALU_DEP_3) | instskip(SKIP_1) | instid1(VALU_DEP_4)
	v_add_f32_e32 v69, v70, v86
	v_fma_f32 v70, s19, v102, -v68
	v_exp_f32_e32 v72, v72
	s_delay_alu instid0(VALU_DEP_3) | instskip(NEXT) | instid1(VALU_DEP_1)
	v_exp_f32_e32 v78, v78
	v_dual_add_f32 v69, v69, v87 :: v_dual_mul_f32 v70, 0x3fb8aa3b, v70
	s_delay_alu instid0(VALU_DEP_1) | instskip(NEXT) | instid1(VALU_DEP_2)
	v_add_f32_e32 v69, v69, v84
	v_exp_f32_e32 v79, v70
	s_delay_alu instid0(TRANS32_DEP_3) | instskip(NEXT) | instid1(VALU_DEP_2)
	v_cndmask_b32_e64 v70, 0, v72, s10
	v_add_f32_e32 v72, v69, v88
	v_cndmask_b32_e64 v69, 0, v77, s11
	v_fma_f32 v77, s19, v106, -v68
	s_waitcnt_depctr 0xfff
	v_cndmask_b32_e64 v71, 0, v79, s12
	v_dual_mul_f32 v77, 0x3fb8aa3b, v77 :: v_dual_add_f32 v72, v72, v70
	s_delay_alu instid0(VALU_DEP_1) | instskip(NEXT) | instid1(VALU_DEP_1)
	v_exp_f32_e32 v90, v77
	v_add_f32_e32 v79, v72, v69
	v_cndmask_b32_e64 v72, 0, v78, s13
	v_cndmask_b32_e64 v77, 0, v82, s15
	s_delay_alu instid0(VALU_DEP_3) | instskip(SKIP_1) | instid1(VALU_DEP_1)
	v_add_f32_e32 v78, v79, v71
	v_fma_f32 v79, s19, v107, -v68
	v_dual_add_f32 v82, v78, v72 :: v_dual_mul_f32 v79, 0x3fb8aa3b, v79
	v_cndmask_b32_e64 v78, 0, v81, s16
	s_delay_alu instid0(VALU_DEP_2) | instskip(NEXT) | instid1(VALU_DEP_3)
	v_add_f32_e32 v81, v82, v77
	v_exp_f32_e32 v82, v79
	v_cndmask_b32_e64 v79, 0, v90, s17
	s_delay_alu instid0(VALU_DEP_2) | instskip(NEXT) | instid1(VALU_DEP_1)
	v_add_f32_e32 v81, v81, v78
	v_add_f32_e32 v90, v81, v79
	s_waitcnt_depctr 0xfff
	v_cndmask_b32_e64 v81, 0, v82, s18
	s_delay_alu instid0(VALU_DEP_1)
	v_add_f32_e32 v82, v90, v81
	ds_bpermute_b32 v89, v89, v82
	v_cmpx_gt_u32_e32 16, v67
	s_cbranch_execz .LBB1479_12
; %bb.11:
	v_mul_u32_u24_e32 v67, 0x44, v66
	s_delay_alu instid0(VALU_DEP_1) | instskip(SKIP_1) | instid1(VALU_DEP_1)
	v_lshl_add_u32 v67, v65, 2, v67
	s_waitcnt lgkmcnt(0)
	v_dual_add_f32 v82, v82, v89 :: v_dual_add_nc_u32 v67, 0x4000, v67
	ds_store_2addr_b32 v67, v68, v82 offset1:136
.LBB1479_12:
	s_or_b32 exec_lo, exec_lo, s3
	v_lshlrev_b32_e32 v67, 2, v65
	s_waitcnt lgkmcnt(0)
	s_barrier
	buffer_gl0_inv
	v_cmp_eq_u32_e32 vcc_lo, 1, v66
	v_add_nc_u32_e32 v82, 0x4000, v67
	v_cmp_eq_u32_e64 s3, 2, v66
	v_cmp_eq_u32_e64 s5, 7, v66
	ds_load_2addr_b32 v[89:90], v82 offset1:17
	ds_load_2addr_b32 v[91:92], v82 offset0:34 offset1:51
	ds_load_2addr_b32 v[93:94], v82 offset0:68 offset1:85
	;; [unrolled: 1-line block ×4, first 2 shown]
	s_waitcnt lgkmcnt(4)
	v_max3_f32 v67, v89, 0xff7fffff, v90
	s_waitcnt lgkmcnt(3)
	s_delay_alu instid0(VALU_DEP_1) | instskip(SKIP_1) | instid1(VALU_DEP_1)
	v_max3_f32 v67, v67, v91, v92
	s_waitcnt lgkmcnt(2)
	v_max3_f32 v67, v67, v93, v94
	s_waitcnt lgkmcnt(1)
	s_delay_alu instid0(VALU_DEP_1) | instskip(NEXT) | instid1(VALU_DEP_1)
	v_max3_f32 v67, v67, v95, v96
	v_sub_f32_e32 v93, v93, v67
	s_delay_alu instid0(VALU_DEP_1) | instskip(NEXT) | instid1(VALU_DEP_1)
	v_dual_sub_f32 v68, v89, v67 :: v_dual_mul_f32 v103, 0x3fb8aa3b, v93
	v_mul_f32_e32 v68, 0x3fb8aa3b, v68
	s_delay_alu instid0(VALU_DEP_1)
	v_exp_f32_e32 v100, v68
	v_sub_f32_e32 v68, v92, v67
	v_sub_f32_e32 v99, v90, v67
	ds_load_2addr_b32 v[89:90], v82 offset0:170 offset1:187
	v_dual_mul_f32 v102, 0x3fb8aa3b, v68 :: v_dual_mul_f32 v99, 0x3fb8aa3b, v99
	s_waitcnt lgkmcnt(1)
	v_fma_f32 v68, v100, v97, 0
	s_delay_alu instid0(VALU_DEP_2) | instskip(NEXT) | instid1(VALU_DEP_2)
	v_exp_f32_e32 v102, v102
	v_exp_f32_e32 v99, v99
	s_waitcnt_depctr 0xfff
	v_fmac_f32_e32 v68, v99, v98
	v_sub_f32_e32 v91, v91, v67
	s_delay_alu instid0(VALU_DEP_1)
	v_mul_f32_e32 v101, 0x3fb8aa3b, v91
	ds_load_2addr_b32 v[91:92], v82 offset0:204 offset1:221
	v_sub_f32_e32 v97, v94, v67
	ds_load_2addr_b32 v[93:94], v82 offset0:238 offset1:255
	s_waitcnt lgkmcnt(0)
	v_exp_f32_e32 v101, v101
	s_barrier
	buffer_gl0_inv
	v_dual_fmac_f32 v68, v101, v89 :: v_dual_sub_f32 v89, v96, v67
	v_dual_sub_f32 v82, v95, v67 :: v_dual_mul_f32 v95, 0x3fb8aa3b, v97
	v_exp_f32_e32 v97, v103
	s_delay_alu instid0(VALU_DEP_2) | instskip(NEXT) | instid1(VALU_DEP_2)
	v_dual_fmac_f32 v68, v102, v90 :: v_dual_mul_f32 v89, 0x3fb8aa3b, v89
	v_mul_f32_e32 v82, 0x3fb8aa3b, v82
	s_delay_alu instid0(VALU_DEP_3) | instskip(NEXT) | instid1(VALU_DEP_2)
	v_exp_f32_e32 v95, v95
	v_exp_f32_e32 v89, v89
	s_delay_alu instid0(VALU_DEP_1)
	v_exp_f32_e32 v82, v82
	v_fmac_f32_e32 v68, v97, v91
	s_delay_alu instid0(TRANS32_DEP_3) | instid1(VALU_DEP_1)
	v_fmac_f32_e32 v68, v95, v92
	s_waitcnt_depctr 0xfff
	v_fmac_f32_e32 v68, v82, v93
	s_delay_alu instid0(VALU_DEP_1) | instskip(NEXT) | instid1(VALU_DEP_1)
	v_fmac_f32_e32 v68, v89, v94
	v_add_f32_e32 v90, 0x358637bd, v68
	s_delay_alu instid0(VALU_DEP_1) | instskip(NEXT) | instid1(VALU_DEP_1)
	v_div_scale_f32 v91, null, v90, v90, 1.0
	v_rcp_f32_e32 v92, v91
	s_waitcnt_depctr 0xfff
	v_fma_f32 v93, -v91, v92, 1.0
	s_delay_alu instid0(VALU_DEP_1) | instskip(SKIP_1) | instid1(VALU_DEP_2)
	v_dual_fmac_f32 v92, v93, v92 :: v_dual_cndmask_b32 v93, v100, v99
	v_cmp_eq_u32_e32 vcc_lo, 3, v66
	v_cndmask_b32_e64 v93, v93, v101, s3
	v_cmp_eq_u32_e64 s3, 4, v66
	s_delay_alu instid0(VALU_DEP_2) | instskip(SKIP_1) | instid1(VALU_DEP_2)
	v_cndmask_b32_e32 v93, v93, v102, vcc_lo
	v_cmp_eq_u32_e32 vcc_lo, 5, v66
	v_cndmask_b32_e64 v93, v93, v97, s3
	v_cmp_eq_u32_e64 s3, 6, v66
	s_delay_alu instid0(VALU_DEP_2) | instskip(SKIP_1) | instid1(VALU_DEP_1)
	v_cndmask_b32_e32 v93, v93, v95, vcc_lo
	v_div_scale_f32 v94, s4, 1.0, v90, 1.0
	s_mov_b32 vcc_lo, s4
	s_delay_alu instid0(VALU_DEP_2) | instskip(NEXT) | instid1(VALU_DEP_2)
	v_cndmask_b32_e64 v82, v93, v82, s3
	v_mul_f32_e32 v96, v94, v92
	s_mov_b32 s3, exec_lo
	s_delay_alu instid0(VALU_DEP_2) | instskip(NEXT) | instid1(VALU_DEP_2)
	v_cndmask_b32_e64 v82, v82, v89, s5
	v_fma_f32 v98, -v91, v96, v94
	s_delay_alu instid0(VALU_DEP_1) | instskip(NEXT) | instid1(VALU_DEP_1)
	v_fmac_f32_e32 v96, v98, v92
	v_fma_f32 v91, -v91, v96, v94
	s_delay_alu instid0(VALU_DEP_1) | instskip(NEXT) | instid1(VALU_DEP_1)
	v_div_fmas_f32 v91, v91, v92, v96
	v_div_fixup_f32 v90, v91, v90, 1.0
	s_delay_alu instid0(VALU_DEP_1) | instskip(NEXT) | instid1(VALU_DEP_1)
	v_mul_f32_e32 v82, v82, v90
	v_mul_f32_e32 v87, v82, v87
	;; [unrolled: 1-line block ×7, first 2 shown]
	v_dual_mul_f32 v86, v82, v83 :: v_dual_and_b32 v91, 0x7f800000, v90
	v_mul_f32_e32 v85, v82, v76
                                        ; implicit-def: $vgpr76
	s_delay_alu instid0(VALU_DEP_2)
	v_cmpx_ne_u32_e32 0x7f800000, v91
	s_xor_b32 s3, exec_lo, s3
; %bb.13:
	v_bfe_u32 v76, v90, 16, 1
	s_delay_alu instid0(VALU_DEP_1)
	v_add3_u32 v76, v90, v76, 0x7fff
                                        ; implicit-def: $vgpr90
; %bb.14:
	s_and_not1_saveexec_b32 s3, s3
; %bb.15:
	v_and_b32_e32 v76, 0xffff, v90
	v_or_b32_e32 v83, 0x10000, v90
	s_delay_alu instid0(VALU_DEP_2) | instskip(NEXT) | instid1(VALU_DEP_2)
	v_cmp_eq_u32_e32 vcc_lo, 0, v76
	v_cndmask_b32_e32 v76, v83, v90, vcc_lo
; %bb.16:
	s_or_b32 exec_lo, exec_lo, s3
	v_and_b32_e32 v83, 0x7f800000, v85
	s_delay_alu instid0(VALU_DEP_1) | instskip(SKIP_1) | instid1(SALU_CYCLE_1)
	v_cmp_ne_u32_e32 vcc_lo, 0x7f800000, v83
                                        ; implicit-def: $vgpr83
	s_and_saveexec_b32 s3, vcc_lo
	s_xor_b32 s3, exec_lo, s3
; %bb.17:
	v_bfe_u32 v83, v85, 16, 1
	s_delay_alu instid0(VALU_DEP_1)
	v_add3_u32 v83, v85, v83, 0x7fff
                                        ; implicit-def: $vgpr85
; %bb.18:
	s_and_not1_saveexec_b32 s3, s3
; %bb.19:
	v_and_b32_e32 v83, 0xffff, v85
	v_or_b32_e32 v90, 0x10000, v85
	s_delay_alu instid0(VALU_DEP_2) | instskip(NEXT) | instid1(VALU_DEP_2)
	v_cmp_eq_u32_e32 vcc_lo, 0, v83
	v_cndmask_b32_e32 v83, v90, v85, vcc_lo
; %bb.20:
	s_or_b32 exec_lo, exec_lo, s3
	v_and_b32_e32 v85, 0x7f800000, v86
	s_delay_alu instid0(VALU_DEP_1) | instskip(SKIP_1) | instid1(SALU_CYCLE_1)
	v_cmp_ne_u32_e32 vcc_lo, 0x7f800000, v85
                                        ; implicit-def: $vgpr85
	s_and_saveexec_b32 s3, vcc_lo
	s_xor_b32 s3, exec_lo, s3
; %bb.21:
	v_bfe_u32 v85, v86, 16, 1
	s_delay_alu instid0(VALU_DEP_1)
	v_add3_u32 v85, v86, v85, 0x7fff
                                        ; implicit-def: $vgpr86
; %bb.22:
	s_and_not1_saveexec_b32 s3, s3
; %bb.23:
	v_and_b32_e32 v85, 0xffff, v86
	v_or_b32_e32 v90, 0x10000, v86
	s_delay_alu instid0(VALU_DEP_2) | instskip(NEXT) | instid1(VALU_DEP_2)
	v_cmp_eq_u32_e32 vcc_lo, 0, v85
	v_cndmask_b32_e32 v85, v90, v86, vcc_lo
; %bb.24:
	s_or_b32 exec_lo, exec_lo, s3
	v_and_b32_e32 v86, 0x7f800000, v89
	s_delay_alu instid0(VALU_DEP_1) | instskip(SKIP_1) | instid1(SALU_CYCLE_1)
	v_cmp_ne_u32_e32 vcc_lo, 0x7f800000, v86
                                        ; implicit-def: $vgpr86
	s_and_saveexec_b32 s3, vcc_lo
	s_xor_b32 s3, exec_lo, s3
; %bb.25:
	v_bfe_u32 v86, v89, 16, 1
	s_delay_alu instid0(VALU_DEP_1)
	v_add3_u32 v86, v89, v86, 0x7fff
                                        ; implicit-def: $vgpr89
; %bb.26:
	s_and_not1_saveexec_b32 s3, s3
; %bb.27:
	v_and_b32_e32 v86, 0xffff, v89
	v_or_b32_e32 v90, 0x10000, v89
	s_delay_alu instid0(VALU_DEP_2) | instskip(NEXT) | instid1(VALU_DEP_2)
	v_cmp_eq_u32_e32 vcc_lo, 0, v86
	v_cndmask_b32_e32 v86, v90, v89, vcc_lo
; %bb.28:
	s_or_b32 exec_lo, exec_lo, s3
	v_and_b32_e32 v89, 0x7f800000, v88
	s_delay_alu instid0(VALU_DEP_1) | instskip(SKIP_1) | instid1(SALU_CYCLE_1)
	v_cmp_ne_u32_e32 vcc_lo, 0x7f800000, v89
                                        ; implicit-def: $vgpr89
	s_and_saveexec_b32 s3, vcc_lo
	s_xor_b32 s3, exec_lo, s3
; %bb.29:
	v_bfe_u32 v89, v88, 16, 1
	s_delay_alu instid0(VALU_DEP_1)
	v_add3_u32 v89, v88, v89, 0x7fff
                                        ; implicit-def: $vgpr88
; %bb.30:
	s_and_not1_saveexec_b32 s3, s3
; %bb.31:
	v_and_b32_e32 v89, 0xffff, v88
	v_or_b32_e32 v90, 0x10000, v88
	s_delay_alu instid0(VALU_DEP_2) | instskip(NEXT) | instid1(VALU_DEP_2)
	v_cmp_eq_u32_e32 vcc_lo, 0, v89
	v_cndmask_b32_e32 v89, v90, v88, vcc_lo
; %bb.32:
	s_or_b32 exec_lo, exec_lo, s3
	v_and_b32_e32 v88, 0x7f800000, v87
	s_delay_alu instid0(VALU_DEP_1) | instskip(SKIP_1) | instid1(SALU_CYCLE_1)
	v_cmp_ne_u32_e32 vcc_lo, 0x7f800000, v88
                                        ; implicit-def: $vgpr88
	s_and_saveexec_b32 s3, vcc_lo
	s_xor_b32 s3, exec_lo, s3
; %bb.33:
	v_bfe_u32 v88, v87, 16, 1
	s_delay_alu instid0(VALU_DEP_1)
	v_add3_u32 v88, v87, v88, 0x7fff
                                        ; implicit-def: $vgpr87
; %bb.34:
	s_and_not1_saveexec_b32 s3, s3
; %bb.35:
	v_and_b32_e32 v88, 0xffff, v87
	v_or_b32_e32 v90, 0x10000, v87
	s_delay_alu instid0(VALU_DEP_2) | instskip(NEXT) | instid1(VALU_DEP_2)
	v_cmp_eq_u32_e32 vcc_lo, 0, v88
	v_cndmask_b32_e32 v88, v90, v87, vcc_lo
; %bb.36:
	s_or_b32 exec_lo, exec_lo, s3
	v_and_b32_e32 v87, 0x7f800000, v84
	s_delay_alu instid0(VALU_DEP_1) | instskip(SKIP_1) | instid1(SALU_CYCLE_1)
	v_cmp_ne_u32_e32 vcc_lo, 0x7f800000, v87
                                        ; implicit-def: $vgpr87
	s_and_saveexec_b32 s3, vcc_lo
	s_xor_b32 s3, exec_lo, s3
; %bb.37:
	v_bfe_u32 v87, v84, 16, 1
	s_delay_alu instid0(VALU_DEP_1)
	v_add3_u32 v87, v84, v87, 0x7fff
                                        ; implicit-def: $vgpr84
; %bb.38:
	s_and_not1_saveexec_b32 s3, s3
; %bb.39:
	v_and_b32_e32 v87, 0xffff, v84
	v_or_b32_e32 v90, 0x10000, v84
	s_delay_alu instid0(VALU_DEP_2) | instskip(NEXT) | instid1(VALU_DEP_2)
	v_cmp_eq_u32_e32 vcc_lo, 0, v87
	v_cndmask_b32_e32 v87, v90, v84, vcc_lo
; %bb.40:
	s_or_b32 exec_lo, exec_lo, s3
	v_and_b32_e32 v84, 0x7f800000, v80
	s_delay_alu instid0(VALU_DEP_1) | instskip(SKIP_1) | instid1(SALU_CYCLE_1)
	v_cmp_ne_u32_e32 vcc_lo, 0x7f800000, v84
                                        ; implicit-def: $vgpr84
	s_and_saveexec_b32 s3, vcc_lo
	s_xor_b32 s3, exec_lo, s3
; %bb.41:
	v_bfe_u32 v84, v80, 16, 1
	s_delay_alu instid0(VALU_DEP_1)
	v_add3_u32 v84, v80, v84, 0x7fff
                                        ; implicit-def: $vgpr80
; %bb.42:
	s_and_not1_saveexec_b32 s3, s3
; %bb.43:
	v_and_b32_e32 v84, 0xffff, v80
	v_or_b32_e32 v90, 0x10000, v80
	s_delay_alu instid0(VALU_DEP_2) | instskip(NEXT) | instid1(VALU_DEP_2)
	v_cmp_eq_u32_e32 vcc_lo, 0, v84
	v_cndmask_b32_e32 v84, v90, v80, vcc_lo
; %bb.44:
	s_or_b32 exec_lo, exec_lo, s3
	s_load_b64 s[34:35], s[0:1], 0x94
	v_lshlrev_b32_e32 v91, 4, v74
	s_delay_alu instid0(VALU_DEP_2)
	v_perm_b32 v90, v84, v87, 0x7060302
	v_dual_mul_f32 v79, v82, v79 :: v_dual_lshlrev_b32 v80, 6, v65
	v_dual_mul_f32 v77, v82, v77 :: v_dual_lshlrev_b32 v92, 11, v66
	v_mul_f32_e32 v84, v82, v70
	v_perm_b32 v89, v88, v89, 0x7060302
	v_perm_b32 v88, v86, v85, 0x7060302
	;; [unrolled: 1-line block ×3, first 2 shown]
	v_mul_f32_e32 v70, v82, v81
	v_or3_b32 v76, v91, v92, v80
	v_dual_mul_f32 v78, v82, v78 :: v_dual_and_b32 v85, 0x7f800000, v84
	v_mul_f32_e32 v83, v82, v72
	v_mul_f32_e32 v81, v82, v71
	;; [unrolled: 1-line block ×3, first 2 shown]
	s_mov_b32 s3, exec_lo
	ds_store_b128 v76, v[87:90]
                                        ; implicit-def: $vgpr69
	v_cmpx_ne_u32_e32 0x7f800000, v85
	s_xor_b32 s3, exec_lo, s3
; %bb.45:
	v_bfe_u32 v69, v84, 16, 1
	s_delay_alu instid0(VALU_DEP_1)
	v_add3_u32 v69, v84, v69, 0x7fff
                                        ; implicit-def: $vgpr84
; %bb.46:
	s_and_not1_saveexec_b32 s3, s3
; %bb.47:
	v_and_b32_e32 v69, 0xffff, v84
	v_or_b32_e32 v71, 0x10000, v84
	s_delay_alu instid0(VALU_DEP_2) | instskip(NEXT) | instid1(VALU_DEP_2)
	v_cmp_eq_u32_e32 vcc_lo, 0, v69
	v_cndmask_b32_e32 v69, v71, v84, vcc_lo
; %bb.48:
	s_or_b32 exec_lo, exec_lo, s3
	v_and_b32_e32 v71, 0x7f800000, v72
	s_delay_alu instid0(VALU_DEP_1) | instskip(SKIP_1) | instid1(SALU_CYCLE_1)
	v_cmp_ne_u32_e32 vcc_lo, 0x7f800000, v71
                                        ; implicit-def: $vgpr71
	s_and_saveexec_b32 s3, vcc_lo
	s_xor_b32 s3, exec_lo, s3
; %bb.49:
	v_bfe_u32 v71, v72, 16, 1
	s_delay_alu instid0(VALU_DEP_1)
	v_add3_u32 v71, v72, v71, 0x7fff
                                        ; implicit-def: $vgpr72
; %bb.50:
	s_and_not1_saveexec_b32 s3, s3
; %bb.51:
	v_and_b32_e32 v71, 0xffff, v72
	v_or_b32_e32 v82, 0x10000, v72
	s_delay_alu instid0(VALU_DEP_2) | instskip(NEXT) | instid1(VALU_DEP_2)
	v_cmp_eq_u32_e32 vcc_lo, 0, v71
	v_cndmask_b32_e32 v71, v82, v72, vcc_lo
; %bb.52:
	s_or_b32 exec_lo, exec_lo, s3
	v_and_b32_e32 v72, 0x7f800000, v81
	s_delay_alu instid0(VALU_DEP_1) | instskip(SKIP_1) | instid1(SALU_CYCLE_1)
	v_cmp_ne_u32_e32 vcc_lo, 0x7f800000, v72
                                        ; implicit-def: $vgpr72
	s_and_saveexec_b32 s3, vcc_lo
	s_xor_b32 s3, exec_lo, s3
; %bb.53:
	v_bfe_u32 v72, v81, 16, 1
	s_delay_alu instid0(VALU_DEP_1)
	v_add3_u32 v72, v81, v72, 0x7fff
                                        ; implicit-def: $vgpr81
; %bb.54:
	s_and_not1_saveexec_b32 s3, s3
; %bb.55:
	v_and_b32_e32 v72, 0xffff, v81
	v_or_b32_e32 v82, 0x10000, v81
	s_delay_alu instid0(VALU_DEP_2) | instskip(NEXT) | instid1(VALU_DEP_2)
	v_cmp_eq_u32_e32 vcc_lo, 0, v72
	v_cndmask_b32_e32 v72, v82, v81, vcc_lo
; %bb.56:
	s_or_b32 exec_lo, exec_lo, s3
	v_and_b32_e32 v81, 0x7f800000, v83
	s_delay_alu instid0(VALU_DEP_1) | instskip(SKIP_1) | instid1(SALU_CYCLE_1)
	v_cmp_ne_u32_e32 vcc_lo, 0x7f800000, v81
                                        ; implicit-def: $vgpr81
	s_and_saveexec_b32 s3, vcc_lo
	s_xor_b32 s3, exec_lo, s3
; %bb.57:
	v_bfe_u32 v81, v83, 16, 1
	s_delay_alu instid0(VALU_DEP_1)
	v_add3_u32 v81, v83, v81, 0x7fff
                                        ; implicit-def: $vgpr83
; %bb.58:
	s_and_not1_saveexec_b32 s3, s3
; %bb.59:
	v_and_b32_e32 v81, 0xffff, v83
	v_or_b32_e32 v82, 0x10000, v83
	s_delay_alu instid0(VALU_DEP_2) | instskip(NEXT) | instid1(VALU_DEP_2)
	v_cmp_eq_u32_e32 vcc_lo, 0, v81
	v_cndmask_b32_e32 v81, v82, v83, vcc_lo
; %bb.60:
	s_or_b32 exec_lo, exec_lo, s3
	v_and_b32_e32 v82, 0x7f800000, v77
	s_delay_alu instid0(VALU_DEP_1) | instskip(SKIP_1) | instid1(SALU_CYCLE_1)
	v_cmp_ne_u32_e32 vcc_lo, 0x7f800000, v82
                                        ; implicit-def: $vgpr82
	s_and_saveexec_b32 s3, vcc_lo
	s_xor_b32 s3, exec_lo, s3
; %bb.61:
	v_bfe_u32 v82, v77, 16, 1
	s_delay_alu instid0(VALU_DEP_1)
	v_add3_u32 v82, v77, v82, 0x7fff
                                        ; implicit-def: $vgpr77
; %bb.62:
	s_and_not1_saveexec_b32 s3, s3
; %bb.63:
	v_and_b32_e32 v82, 0xffff, v77
	v_or_b32_e32 v83, 0x10000, v77
	s_delay_alu instid0(VALU_DEP_2) | instskip(NEXT) | instid1(VALU_DEP_2)
	v_cmp_eq_u32_e32 vcc_lo, 0, v82
	v_cndmask_b32_e32 v82, v83, v77, vcc_lo
; %bb.64:
	s_or_b32 exec_lo, exec_lo, s3
	v_and_b32_e32 v77, 0x7f800000, v78
	s_delay_alu instid0(VALU_DEP_1) | instskip(SKIP_1) | instid1(SALU_CYCLE_1)
	v_cmp_ne_u32_e32 vcc_lo, 0x7f800000, v77
                                        ; implicit-def: $vgpr77
	s_and_saveexec_b32 s3, vcc_lo
	s_xor_b32 s3, exec_lo, s3
; %bb.65:
	v_bfe_u32 v77, v78, 16, 1
	s_delay_alu instid0(VALU_DEP_1)
	v_add3_u32 v77, v78, v77, 0x7fff
                                        ; implicit-def: $vgpr78
; %bb.66:
	s_and_not1_saveexec_b32 s3, s3
; %bb.67:
	v_and_b32_e32 v77, 0xffff, v78
	v_or_b32_e32 v83, 0x10000, v78
	s_delay_alu instid0(VALU_DEP_2) | instskip(NEXT) | instid1(VALU_DEP_2)
	v_cmp_eq_u32_e32 vcc_lo, 0, v77
	v_cndmask_b32_e32 v77, v83, v78, vcc_lo
; %bb.68:
	s_or_b32 exec_lo, exec_lo, s3
	v_and_b32_e32 v78, 0x7f800000, v79
	s_delay_alu instid0(VALU_DEP_1) | instskip(SKIP_1) | instid1(SALU_CYCLE_1)
	v_cmp_ne_u32_e32 vcc_lo, 0x7f800000, v78
                                        ; implicit-def: $vgpr78
	s_and_saveexec_b32 s3, vcc_lo
	s_xor_b32 s3, exec_lo, s3
; %bb.69:
	v_bfe_u32 v78, v79, 16, 1
	s_delay_alu instid0(VALU_DEP_1)
	v_add3_u32 v78, v79, v78, 0x7fff
                                        ; implicit-def: $vgpr79
; %bb.70:
	s_and_not1_saveexec_b32 s3, s3
; %bb.71:
	v_and_b32_e32 v78, 0xffff, v79
	v_or_b32_e32 v83, 0x10000, v79
	s_delay_alu instid0(VALU_DEP_2) | instskip(NEXT) | instid1(VALU_DEP_2)
	v_cmp_eq_u32_e32 vcc_lo, 0, v78
	v_cndmask_b32_e32 v78, v83, v79, vcc_lo
; %bb.72:
	s_or_b32 exec_lo, exec_lo, s3
	v_and_b32_e32 v79, 0x7f800000, v70
	s_delay_alu instid0(VALU_DEP_1) | instskip(SKIP_1) | instid1(SALU_CYCLE_1)
	v_cmp_ne_u32_e32 vcc_lo, 0x7f800000, v79
                                        ; implicit-def: $vgpr79
	s_and_saveexec_b32 s3, vcc_lo
	s_xor_b32 s3, exec_lo, s3
; %bb.73:
	v_bfe_u32 v79, v70, 16, 1
	s_delay_alu instid0(VALU_DEP_1)
	v_add3_u32 v79, v70, v79, 0x7fff
                                        ; implicit-def: $vgpr70
; %bb.74:
	s_and_not1_saveexec_b32 s3, s3
; %bb.75:
	v_and_b32_e32 v79, 0xffff, v70
	v_or_b32_e32 v83, 0x10000, v70
	s_delay_alu instid0(VALU_DEP_2) | instskip(NEXT) | instid1(VALU_DEP_2)
	v_cmp_eq_u32_e32 vcc_lo, 0, v79
	v_cndmask_b32_e32 v79, v83, v70, vcc_lo
; %bb.76:
	s_or_b32 exec_lo, exec_lo, s3
	s_delay_alu instid0(VALU_DEP_1)
	v_perm_b32 v86, v79, v78, 0x7060302
	v_perm_b32 v85, v77, v82, 0x7060302
	v_perm_b32 v84, v81, v72, 0x7060302
	v_perm_b32 v83, v71, v69, 0x7060302
	v_lshl_or_b32 v82, v66, 11, v80
	ds_store_b128 v76, v[83:86] offset:1024
	s_waitcnt lgkmcnt(0)
	s_barrier
	buffer_gl0_inv
	ds_load_b128 v[69:72], v82
	ds_load_b128 v[83:86], v82 offset:16
	s_waitcnt lgkmcnt(1)
	v_lshrrev_b32_e32 v66, 16, v69
	s_waitcnt lgkmcnt(0)
	v_lshrrev_b32_e32 v91, 16, v83
	v_lshlrev_b32_e32 v78, 2, v74
	v_lshrrev_b32_e32 v95, 16, v70
	v_lshrrev_b32_e32 v98, 16, v84
	v_lshrrev_b32_e32 v96, 16, v71
	v_lshrrev_b32_e32 v99, 16, v85
	v_cmp_eq_u32_e32 vcc_lo, 1, v78
	v_lshrrev_b32_e32 v97, 16, v72
	v_lshrrev_b32_e32 v100, 16, v86
	v_cndmask_b32_e32 v87, v83, v91, vcc_lo
	v_or_b32_e32 v79, 1, v78
	v_cndmask_b32_e32 v81, v69, v66, vcc_lo
	v_cmp_eq_u32_e64 s4, 2, v78
	v_cmp_eq_u32_e64 s7, 3, v78
	;; [unrolled: 1-line block ×5, first 2 shown]
	v_cndmask_b32_e64 v81, v81, v70, s4
	v_cndmask_b32_e64 v87, v87, v84, s4
	v_cmp_eq_u32_e64 s8, 3, v79
	v_cndmask_b32_e64 v88, v69, v66, s3
	v_or_b32_e32 v77, 2, v78
	v_cndmask_b32_e64 v81, v81, v95, s7
	v_cndmask_b32_e64 v87, v87, v98, s7
	;; [unrolled: 1-line block ×4, first 2 shown]
	v_cmp_eq_u32_e64 s10, 5, v78
	v_cndmask_b32_e64 v81, v81, v71, s9
	v_cndmask_b32_e64 v87, v87, v85, s9
	v_cmp_eq_u32_e64 s11, 4, v79
	v_cndmask_b32_e64 v88, v88, v95, s8
	v_cmp_eq_u32_e64 s5, 1, v77
	v_cndmask_b32_e64 v89, v89, v84, s6
	v_cndmask_b32_e64 v81, v81, v96, s10
	v_cmp_eq_u32_e64 s12, 6, v78
	v_cndmask_b32_e64 v88, v88, v71, s11
	;; [unrolled: 3-line block ×3, first 2 shown]
	v_cndmask_b32_e64 v89, v89, v98, s8
	v_cndmask_b32_e64 v81, v81, v72, s12
	v_cmp_eq_u32_e64 s15, 7, v78
	v_cndmask_b32_e64 v88, v88, v96, s13
	v_cndmask_b32_e64 v87, v87, v86, s12
	v_cmp_eq_u32_e64 s16, 6, v79
	v_cmp_eq_u32_e64 s17, 2, v77
	v_cndmask_b32_e64 v89, v89, v85, s11
	v_cndmask_b32_e64 v101, v81, v97, s15
	;; [unrolled: 1-line block ×6, first 2 shown]
	v_cmp_eq_u32_e64 s18, 7, v79
	v_cmp_eq_u32_e64 s19, 3, v77
	;; [unrolled: 1-line block ×4, first 2 shown]
	v_cndmask_b32_e64 v87, v87, v84, s17
	v_cndmask_b32_e64 v103, v88, v97, s18
	;; [unrolled: 1-line block ×4, first 2 shown]
	v_or_b32_e32 v81, 3, v78
	v_cndmask_b32_e64 v93, v87, v98, s19
	v_cmp_eq_u32_e64 s24, 6, v77
	v_cndmask_b32_e64 v104, v88, v86, s16
	v_cndmask_b32_e64 v92, v89, v71, s20
	v_cmp_eq_u32_e64 s21, 1, v81
	ds_load_b128 v[87:90], v82 offset:1024
	v_cmp_eq_u32_e64 s23, 2, v81
	v_cmp_eq_u32_e64 s25, 3, v81
	v_cndmask_b32_e64 v105, v92, v96, s22
	v_cndmask_b32_e64 v66, v69, v66, s21
	;; [unrolled: 1-line block ×4, first 2 shown]
	ds_load_b128 v[91:94], v82 offset:1040
	v_cmp_eq_u32_e64 s26, 4, v81
	v_cndmask_b32_e64 v66, v66, v70, s23
	v_cmp_eq_u32_e64 s27, 7, v77
	v_cndmask_b32_e64 v70, v83, v84, s23
	v_cndmask_b32_e64 v84, v105, v72, s24
	v_cmp_eq_u32_e64 s28, 5, v81
	v_cndmask_b32_e64 v66, v66, v95, s25
	v_cmp_eq_u32_e64 s29, 6, v81
	v_cndmask_b32_e64 v70, v70, v98, s25
	v_cndmask_b32_e64 v69, v69, v99, s22
	v_cndmask_b32_e64 v83, v104, v100, s18
	v_cndmask_b32_e64 v66, v66, v71, s26
	s_waitcnt lgkmcnt(1)
	v_lshrrev_b32_e32 v95, 16, v87
	v_cndmask_b32_e64 v70, v70, v85, s26
	v_cndmask_b32_e64 v71, v84, v97, s27
	;; [unrolled: 1-line block ×4, first 2 shown]
	v_cndmask_b32_e32 v84, v87, v95, vcc_lo
	v_cndmask_b32_e64 v70, v70, v99, s28
	s_waitcnt lgkmcnt(0)
	v_lshrrev_b32_e32 v85, 16, v91
	v_lshrrev_b32_e32 v96, 16, v88
	v_cndmask_b32_e64 v98, v87, v95, s3
	v_cndmask_b32_e64 v84, v84, v88, s4
	;; [unrolled: 1-line block ×3, first 2 shown]
	v_cndmask_b32_e32 v99, v91, v85, vcc_lo
	v_cmp_eq_u32_e32 vcc_lo, 7, v81
	v_cndmask_b32_e64 v66, v66, v72, s29
	v_cndmask_b32_e64 v72, v84, v96, s7
	;; [unrolled: 1-line block ×3, first 2 shown]
	v_lshrrev_b32_e32 v98, 16, v92
	v_cndmask_b32_e32 v70, v70, v100, vcc_lo
	v_cndmask_b32_e64 v86, v99, v92, s4
	v_cndmask_b32_e64 v69, v69, v100, s27
	v_lshrrev_b32_e32 v100, 16, v93
	v_cndmask_b32_e64 v72, v72, v89, s9
	v_lshrrev_b32_e32 v99, 16, v89
	v_cndmask_b32_e64 v86, v86, v98, s7
	v_perm_b32 v71, v69, v71, 0x5040100
	v_cndmask_b32_e64 v84, v84, v96, s8
	s_delay_alu instid0(VALU_DEP_3) | instskip(NEXT) | instid1(VALU_DEP_2)
	v_cndmask_b32_e64 v86, v86, v93, s9
	v_cndmask_b32_e64 v84, v84, v89, s11
	s_delay_alu instid0(VALU_DEP_2) | instskip(NEXT) | instid1(VALU_DEP_1)
	v_cndmask_b32_e64 v86, v86, v100, s10
	v_cndmask_b32_e64 v69, v86, v94, s12
	;; [unrolled: 1-line block ×5, first 2 shown]
	s_delay_alu instid0(VALU_DEP_3) | instskip(NEXT) | instid1(VALU_DEP_3)
	v_cndmask_b32_e64 v86, v86, v88, s17
	v_cndmask_b32_e64 v87, v87, v88, s23
	s_delay_alu instid0(VALU_DEP_3) | instskip(NEXT) | instid1(VALU_DEP_3)
	v_cndmask_b32_e64 v88, v95, v92, s23
	v_cndmask_b32_e64 v86, v86, v96, s19
	;; [unrolled: 3-line block ×7, first 2 shown]
	s_delay_alu instid0(VALU_DEP_3) | instskip(SKIP_2) | instid1(VALU_DEP_2)
	v_cndmask_b32_e64 v88, v88, v94, s29
	v_cndmask_b32_e32 v66, v66, v97, vcc_lo
	v_cndmask_b32_e64 v97, v72, v99, s10
	v_perm_b32 v72, v70, v66, 0x5040100
	v_perm_b32 v70, v83, v103, 0x5040100
	v_cndmask_b32_e64 v103, v91, v85, s5
	v_cndmask_b32_e64 v85, v91, v85, s3
	;; [unrolled: 1-line block ×4, first 2 shown]
	v_lshrrev_b32_e32 v97, 16, v90
	v_cndmask_b32_e64 v91, v103, v92, s17
	v_cndmask_b32_e64 v85, v85, v92, s6
	;; [unrolled: 1-line block ×3, first 2 shown]
	s_mov_b32 s3, exec_lo
	v_cndmask_b32_e64 v83, v84, v97, s15
	v_cndmask_b32_e64 v91, v91, v98, s19
	;; [unrolled: 1-line block ×3, first 2 shown]
	v_lshrrev_b32_e32 v84, 16, v94
	v_cndmask_b32_e64 v66, v66, v97, s18
	v_cndmask_b32_e64 v90, v86, v97, s27
	;; [unrolled: 1-line block ×4, first 2 shown]
	v_dual_cndmask_b32 v86, v87, v97 :: v_dual_cndmask_b32 v87, v88, v84
	v_cndmask_b32_e64 v91, v69, v84, s15
	s_delay_alu instid0(VALU_DEP_4) | instskip(NEXT) | instid1(VALU_DEP_4)
	v_cndmask_b32_e64 v89, v89, v100, s22
	v_cndmask_b32_e64 v85, v85, v100, s13
	v_perm_b32 v69, v102, v101, 0x5040100
	v_perm_b32 v86, v87, v86, 0x5040100
	;; [unrolled: 1-line block ×3, first 2 shown]
	v_cndmask_b32_e64 v89, v89, v94, s24
	v_cndmask_b32_e64 v85, v85, v94, s16
	s_mul_i32 s8, s35, 14
	s_delay_alu instid0(VALU_DEP_2) | instskip(NEXT) | instid1(VALU_DEP_2)
	v_cndmask_b32_e64 v88, v89, v84, s27
	v_cndmask_b32_e64 v89, v85, v84, s18
	s_delay_alu instid0(VALU_DEP_2) | instskip(NEXT) | instid1(VALU_DEP_2)
	v_perm_b32 v85, v88, v90, 0x5040100
	v_perm_b32 v84, v89, v66, 0x5040100
	ds_store_b128 v76, v[69:72]
	ds_store_b128 v76, v[83:86] offset:1024
	v_cmpx_gt_u32_e32 14, v0
	s_cbranch_execz .LBB1479_78
; %bb.77:
	s_mul_i32 s4, s8, s30
	s_delay_alu instid0(SALU_CYCLE_1) | instskip(SKIP_1) | instid1(VALU_DEP_1)
	v_add3_u32 v69, s4, s31, v65
	s_load_b128 s[4:7], s[0:1], 0x58
	v_mad_u64_u32 v[65:66], null, v69, s34, s[14:15]
	s_delay_alu instid0(VALU_DEP_1) | instskip(NEXT) | instid1(VALU_DEP_1)
	v_ashrrev_i32_e32 v66, 31, v65
	v_lshlrev_b64 v[65:66], 2, v[65:66]
	s_waitcnt lgkmcnt(0)
	s_delay_alu instid0(VALU_DEP_1) | instskip(NEXT) | instid1(VALU_DEP_2)
	v_add_co_u32 v69, vcc_lo, s6, v65
	v_add_co_ci_u32_e32 v70, vcc_lo, s7, v66, vcc_lo
	v_add_co_u32 v65, vcc_lo, s4, v65
	v_add_co_ci_u32_e32 v66, vcc_lo, s5, v66, vcc_lo
	global_store_b32 v[69:70], v67, off
	global_store_b32 v[65:66], v68, off
.LBB1479_78:
	s_or_b32 exec_lo, exec_lo, s3
	s_waitcnt lgkmcnt(0)
	s_waitcnt_vscnt null, 0x0
	s_barrier
	buffer_gl0_inv
	ds_load_b128 v[83:86], v80
	ds_load_b128 v[87:90], v80 offset:16
	ds_load_b128 v[95:98], v80 offset:2064
	ds_load_b128 v[91:94], v80 offset:2048
	v_mov_b32_e32 v65, 0
	ds_load_b128 v[103:106], v80 offset:4112
	ds_load_b128 v[99:102], v80 offset:4096
	;; [unrolled: 1-line block ×4, first 2 shown]
	v_mov_b32_e32 v66, v65
	v_mov_b32_e32 v67, v65
	;; [unrolled: 1-line block ×7, first 2 shown]
	s_waitcnt lgkmcnt(6)
	s_delay_alu instid0(VALU_DEP_1)
	v_wmma_f32_16x16x16_bf16 v[65:72], v[57:64], v[83:90], v[65:72]
	ds_load_b128 v[61:64], v80 offset:8208
	ds_load_b128 v[57:60], v80 offset:8192
	s_waitcnt lgkmcnt(6)
	v_wmma_f32_16x16x16_bf16 v[65:72], v[41:48], v[91:98], v[65:72]
	ds_load_b128 v[45:48], v80 offset:10256
	ds_load_b128 v[41:44], v80 offset:10240
	s_waitcnt lgkmcnt(6)
	;; [unrolled: 4-line block ×4, first 2 shown]
	v_wmma_f32_16x16x16_bf16 v[65:72], v[1:8], v[57:64], v[65:72]
	s_waitcnt lgkmcnt(4)
	s_delay_alu instid0(VALU_DEP_1) | instskip(SKIP_1) | instid1(VALU_DEP_1)
	v_wmma_f32_16x16x16_bf16 v[65:72], v[9:16], v[41:48], v[65:72]
	s_waitcnt lgkmcnt(2)
	v_wmma_f32_16x16x16_bf16 v[65:72], v[17:24], v[33:40], v[65:72]
	s_waitcnt lgkmcnt(0)
	s_delay_alu instid0(VALU_DEP_1) | instskip(NEXT) | instid1(VALU_DEP_1)
	v_wmma_f32_16x16x16_bf16 v[65:72], v[49:56], v[25:32], v[65:72]
	v_and_b32_e32 v1, 0x7f800000, v65
	s_delay_alu instid0(VALU_DEP_1) | instskip(SKIP_1) | instid1(SALU_CYCLE_1)
	v_cmp_ne_u32_e32 vcc_lo, 0x7f800000, v1
                                        ; implicit-def: $vgpr1
	s_and_saveexec_b32 s3, vcc_lo
	s_xor_b32 s3, exec_lo, s3
; %bb.79:
	v_bfe_u32 v1, v65, 16, 1
	s_delay_alu instid0(VALU_DEP_1)
	v_add3_u32 v1, v65, v1, 0x7fff
; %bb.80:
	s_and_not1_saveexec_b32 s3, s3
; %bb.81:
	v_and_b32_e32 v1, 0xffff, v65
	v_or_b32_e32 v2, 0x10000, v65
	s_delay_alu instid0(VALU_DEP_2) | instskip(NEXT) | instid1(VALU_DEP_2)
	v_cmp_eq_u32_e32 vcc_lo, 0, v1
	v_cndmask_b32_e32 v1, v2, v65, vcc_lo
; %bb.82:
	s_or_b32 exec_lo, exec_lo, s3
	v_and_b32_e32 v2, 0x7f800000, v66
	s_delay_alu instid0(VALU_DEP_1) | instskip(SKIP_1) | instid1(SALU_CYCLE_1)
	v_cmp_ne_u32_e32 vcc_lo, 0x7f800000, v2
                                        ; implicit-def: $vgpr2
	s_and_saveexec_b32 s3, vcc_lo
	s_xor_b32 s3, exec_lo, s3
; %bb.83:
	v_bfe_u32 v2, v66, 16, 1
	s_delay_alu instid0(VALU_DEP_1)
	v_add3_u32 v2, v66, v2, 0x7fff
; %bb.84:
	s_and_not1_saveexec_b32 s3, s3
; %bb.85:
	v_and_b32_e32 v2, 0xffff, v66
	v_or_b32_e32 v3, 0x10000, v66
	s_delay_alu instid0(VALU_DEP_2) | instskip(NEXT) | instid1(VALU_DEP_2)
	v_cmp_eq_u32_e32 vcc_lo, 0, v2
	v_cndmask_b32_e32 v2, v3, v66, vcc_lo
; %bb.86:
	s_or_b32 exec_lo, exec_lo, s3
	v_and_b32_e32 v3, 0x7f800000, v67
	s_delay_alu instid0(VALU_DEP_1) | instskip(SKIP_1) | instid1(SALU_CYCLE_1)
	v_cmp_ne_u32_e32 vcc_lo, 0x7f800000, v3
                                        ; implicit-def: $vgpr3
	s_and_saveexec_b32 s3, vcc_lo
	s_xor_b32 s3, exec_lo, s3
; %bb.87:
	v_bfe_u32 v3, v67, 16, 1
	s_delay_alu instid0(VALU_DEP_1)
	v_add3_u32 v3, v67, v3, 0x7fff
; %bb.88:
	s_and_not1_saveexec_b32 s3, s3
; %bb.89:
	v_and_b32_e32 v3, 0xffff, v67
	v_or_b32_e32 v4, 0x10000, v67
	s_delay_alu instid0(VALU_DEP_2) | instskip(NEXT) | instid1(VALU_DEP_2)
	v_cmp_eq_u32_e32 vcc_lo, 0, v3
	v_cndmask_b32_e32 v3, v4, v67, vcc_lo
; %bb.90:
	s_or_b32 exec_lo, exec_lo, s3
	v_and_b32_e32 v4, 0x7f800000, v68
	s_delay_alu instid0(VALU_DEP_1) | instskip(SKIP_1) | instid1(SALU_CYCLE_1)
	v_cmp_ne_u32_e32 vcc_lo, 0x7f800000, v4
                                        ; implicit-def: $vgpr4
	s_and_saveexec_b32 s3, vcc_lo
	s_xor_b32 s3, exec_lo, s3
; %bb.91:
	v_bfe_u32 v4, v68, 16, 1
	s_delay_alu instid0(VALU_DEP_1)
	v_add3_u32 v4, v68, v4, 0x7fff
; %bb.92:
	s_and_not1_saveexec_b32 s3, s3
; %bb.93:
	v_and_b32_e32 v4, 0xffff, v68
	v_or_b32_e32 v5, 0x10000, v68
	s_delay_alu instid0(VALU_DEP_2) | instskip(NEXT) | instid1(VALU_DEP_2)
	v_cmp_eq_u32_e32 vcc_lo, 0, v4
	v_cndmask_b32_e32 v4, v5, v68, vcc_lo
; %bb.94:
	s_or_b32 exec_lo, exec_lo, s3
	v_and_b32_e32 v5, 0x7f800000, v69
	s_delay_alu instid0(VALU_DEP_1) | instskip(SKIP_1) | instid1(SALU_CYCLE_1)
	v_cmp_ne_u32_e32 vcc_lo, 0x7f800000, v5
                                        ; implicit-def: $vgpr5
	s_and_saveexec_b32 s3, vcc_lo
	s_xor_b32 s3, exec_lo, s3
; %bb.95:
	v_bfe_u32 v5, v69, 16, 1
	s_delay_alu instid0(VALU_DEP_1)
	v_add3_u32 v5, v69, v5, 0x7fff
; %bb.96:
	s_and_not1_saveexec_b32 s3, s3
; %bb.97:
	v_and_b32_e32 v5, 0xffff, v69
	v_or_b32_e32 v6, 0x10000, v69
	s_delay_alu instid0(VALU_DEP_2) | instskip(NEXT) | instid1(VALU_DEP_2)
	v_cmp_eq_u32_e32 vcc_lo, 0, v5
	v_cndmask_b32_e32 v5, v6, v69, vcc_lo
; %bb.98:
	s_or_b32 exec_lo, exec_lo, s3
	v_and_b32_e32 v6, 0x7f800000, v70
	s_delay_alu instid0(VALU_DEP_1) | instskip(SKIP_1) | instid1(SALU_CYCLE_1)
	v_cmp_ne_u32_e32 vcc_lo, 0x7f800000, v6
                                        ; implicit-def: $vgpr6
	s_and_saveexec_b32 s3, vcc_lo
	s_xor_b32 s3, exec_lo, s3
; %bb.99:
	v_bfe_u32 v6, v70, 16, 1
	s_delay_alu instid0(VALU_DEP_1)
	v_add3_u32 v6, v70, v6, 0x7fff
; %bb.100:
	s_and_not1_saveexec_b32 s3, s3
; %bb.101:
	v_and_b32_e32 v6, 0xffff, v70
	v_or_b32_e32 v7, 0x10000, v70
	s_delay_alu instid0(VALU_DEP_2) | instskip(NEXT) | instid1(VALU_DEP_2)
	v_cmp_eq_u32_e32 vcc_lo, 0, v6
	v_cndmask_b32_e32 v6, v7, v70, vcc_lo
; %bb.102:
	s_or_b32 exec_lo, exec_lo, s3
	v_and_b32_e32 v7, 0x7f800000, v71
	s_delay_alu instid0(VALU_DEP_1) | instskip(SKIP_1) | instid1(SALU_CYCLE_1)
	v_cmp_ne_u32_e32 vcc_lo, 0x7f800000, v7
                                        ; implicit-def: $vgpr7
	s_and_saveexec_b32 s3, vcc_lo
	s_xor_b32 s3, exec_lo, s3
; %bb.103:
	v_bfe_u32 v7, v71, 16, 1
	s_delay_alu instid0(VALU_DEP_1)
	v_add3_u32 v7, v71, v7, 0x7fff
; %bb.104:
	s_and_not1_saveexec_b32 s3, s3
; %bb.105:
	v_and_b32_e32 v7, 0xffff, v71
	v_or_b32_e32 v8, 0x10000, v71
	s_delay_alu instid0(VALU_DEP_2) | instskip(NEXT) | instid1(VALU_DEP_2)
	v_cmp_eq_u32_e32 vcc_lo, 0, v7
	v_cndmask_b32_e32 v7, v8, v71, vcc_lo
; %bb.106:
	s_or_b32 exec_lo, exec_lo, s3
	v_and_b32_e32 v8, 0x7f800000, v72
	s_delay_alu instid0(VALU_DEP_1) | instskip(SKIP_1) | instid1(SALU_CYCLE_1)
	v_cmp_ne_u32_e32 vcc_lo, 0x7f800000, v8
                                        ; implicit-def: $vgpr8
	s_and_saveexec_b32 s3, vcc_lo
	s_xor_b32 s3, exec_lo, s3
; %bb.107:
	v_bfe_u32 v8, v72, 16, 1
	s_delay_alu instid0(VALU_DEP_1)
	v_add3_u32 v8, v72, v8, 0x7fff
                                        ; implicit-def: $vgpr65_vgpr66_vgpr67_vgpr68_vgpr69_vgpr70_vgpr71_vgpr72
; %bb.108:
	s_and_not1_saveexec_b32 s3, s3
; %bb.109:
	v_and_b32_e32 v8, 0xffff, v72
	v_or_b32_e32 v9, 0x10000, v72
	s_delay_alu instid0(VALU_DEP_2) | instskip(NEXT) | instid1(VALU_DEP_2)
	v_cmp_eq_u32_e32 vcc_lo, 0, v8
	v_cndmask_b32_e32 v8, v9, v72, vcc_lo
; %bb.110:
	s_or_b32 exec_lo, exec_lo, s3
	s_delay_alu instid0(VALU_DEP_1)
	v_perm_b32 v7, v8, v7, 0x7060302
	v_perm_b32 v6, v6, v5, 0x7060302
	;; [unrolled: 1-line block ×4, first 2 shown]
	s_barrier
	buffer_gl0_inv
	v_cmp_eq_u32_e32 vcc_lo, 1, v78
	ds_store_b128 v76, v[4:7]
	s_waitcnt lgkmcnt(0)
	s_barrier
	buffer_gl0_inv
	ds_load_b128 v[1:4], v82
	ds_load_b128 v[5:8], v82 offset:16
	v_cmp_eq_u32_e64 s3, 1, v79
	v_cmp_eq_u32_e64 s4, 2, v78
	v_cmp_eq_u32_e64 s5, 3, v78
	v_cmp_eq_u32_e64 s7, 2, v77
	v_cmp_eq_u32_e64 s6, 7, v79
	s_waitcnt lgkmcnt(1)
	v_lshrrev_b32_e32 v9, 16, v1
	s_waitcnt lgkmcnt(0)
	v_lshrrev_b32_e32 v13, 16, v5
	v_lshrrev_b32_e32 v10, 16, v2
	;; [unrolled: 1-line block ×4, first 2 shown]
	v_cndmask_b32_e64 v19, v1, v9, s3
	v_cndmask_b32_e32 v18, v5, v13, vcc_lo
	v_cndmask_b32_e64 v20, v5, v13, s3
	v_cndmask_b32_e32 v17, v1, v9, vcc_lo
	v_cmp_eq_u32_e32 vcc_lo, 2, v79
	v_lshrrev_b32_e32 v15, 16, v7
	v_cmp_eq_u32_e64 s3, 1, v77
	v_lshrrev_b32_e32 v12, 16, v4
	v_lshrrev_b32_e32 v16, 16, v8
	v_cndmask_b32_e32 v20, v20, v6, vcc_lo
	v_cndmask_b32_e64 v17, v17, v2, s4
	v_cndmask_b32_e32 v19, v19, v2, vcc_lo
	v_cndmask_b32_e64 v18, v18, v6, s4
	v_cmp_eq_u32_e32 vcc_lo, 4, v78
	v_cmp_eq_u32_e64 s4, 3, v79
	v_cndmask_b32_e64 v17, v17, v10, s5
	v_cndmask_b32_e64 v21, v1, v9, s3
	;; [unrolled: 1-line block ×5, first 2 shown]
	v_cndmask_b32_e32 v17, v17, v3, vcc_lo
	v_cndmask_b32_e64 v20, v20, v14, s4
	v_cndmask_b32_e32 v18, v18, v7, vcc_lo
	v_cmp_eq_u32_e32 vcc_lo, 4, v79
	v_cmp_eq_u32_e64 s4, 5, v79
	v_cmp_eq_u32_e64 s3, 2, v81
	v_cndmask_b32_e64 v21, v21, v2, s7
	v_cmp_eq_u32_e64 s5, 5, v78
	v_cndmask_b32_e32 v19, v19, v3, vcc_lo
	v_cndmask_b32_e32 v20, v20, v7, vcc_lo
	v_cmp_eq_u32_e32 vcc_lo, 6, v79
	s_delay_alu instid0(VALU_DEP_4) | instskip(NEXT) | instid1(VALU_DEP_4)
	v_cndmask_b32_e64 v17, v17, v11, s5
	v_cndmask_b32_e64 v19, v19, v11, s4
	s_delay_alu instid0(VALU_DEP_4) | instskip(SKIP_1) | instid1(VALU_DEP_3)
	v_cndmask_b32_e64 v20, v20, v15, s4
	v_cmp_eq_u32_e64 s4, 1, v81
	v_cndmask_b32_e32 v19, v19, v4, vcc_lo
	v_cndmask_b32_e64 v18, v18, v15, s5
	s_delay_alu instid0(VALU_DEP_3)
	v_cndmask_b32_e64 v1, v1, v9, s4
	v_cndmask_b32_e64 v5, v5, v13, s4
	v_cmp_eq_u32_e64 s4, 3, v77
	v_cndmask_b32_e64 v13, v22, v6, s7
	v_cmp_eq_u32_e64 s7, 3, v81
	v_cndmask_b32_e64 v1, v1, v2, s3
	v_cndmask_b32_e64 v2, v5, v6, s3
	v_cndmask_b32_e64 v9, v21, v10, s4
	v_cmp_eq_u32_e64 s3, 4, v77
	v_cndmask_b32_e64 v6, v13, v14, s4
	v_cndmask_b32_e64 v1, v1, v10, s7
	v_cmp_eq_u32_e64 s4, 4, v81
	v_cndmask_b32_e64 v2, v2, v14, s7
	v_cndmask_b32_e64 v5, v9, v3, s3
	;; [unrolled: 3-line block ×3, first 2 shown]
	v_cndmask_b32_e64 v2, v2, v7, s4
	v_cmp_eq_u32_e64 s3, 5, v81
	v_cmp_eq_u32_e64 s5, 6, v78
	v_cndmask_b32_e64 v5, v5, v11, s7
	v_cmp_eq_u32_e64 s4, 6, v77
	v_cndmask_b32_e64 v3, v6, v15, s7
	v_cndmask_b32_e64 v1, v1, v11, s3
	v_cmp_eq_u32_e64 s7, 6, v81
	v_cndmask_b32_e64 v2, v2, v15, s3
	v_cndmask_b32_e64 v17, v17, v4, s5
	v_cndmask_b32_e64 v18, v18, v8, s5
	v_cmp_eq_u32_e64 s5, 7, v78
	v_cndmask_b32_e64 v5, v5, v4, s4
	v_cndmask_b32_e64 v3, v3, v8, s4
	v_cndmask_b32_e64 v1, v1, v4, s7
	v_cmp_eq_u32_e64 s3, 7, v81
	v_cndmask_b32_e64 v2, v2, v8, s7
	v_cmp_eq_u32_e64 s4, 7, v77
	v_cndmask_b32_e32 v4, v20, v8, vcc_lo
	v_cndmask_b32_e64 v17, v17, v12, s5
	v_cndmask_b32_e64 v19, v19, v12, s6
	v_cndmask_b32_e64 v1, v1, v12, s3
	v_cndmask_b32_e64 v5, v5, v12, s4
	v_cndmask_b32_e64 v2, v2, v16, s3
	v_cndmask_b32_e64 v3, v3, v16, s4
	v_cndmask_b32_e64 v6, v4, v16, s6
	v_cndmask_b32_e64 v7, v18, v16, s5
	v_cmp_gt_u32_e32 vcc_lo, 32, v0
	v_perm_b32 v4, v2, v1, 0x5040100
	v_perm_b32 v3, v3, v5, 0x5040100
	;; [unrolled: 1-line block ×4, first 2 shown]
	s_and_b32 s2, vcc_lo, s2
	ds_store_b128 v76, v[1:4]
	s_waitcnt lgkmcnt(0)
	s_barrier
	buffer_gl0_inv
	s_and_saveexec_b32 s3, s2
	s_cbranch_execz .LBB1479_2
; %bb.111:
	s_load_b64 s[0:1], s[0:1], 0x68
	v_lshlrev_b32_e32 v0, 10, v0
	s_lshl_b32 s4, s34, 6
	v_or_b32_e32 v3, s31, v74
	s_mul_i32 s2, s4, s30
	v_lshlrev_b32_e32 v1, 4, v75
	v_lshlrev_b32_e32 v2, 6, v74
	v_and_b32_e32 v0, 0x3800, v0
	s_mul_i32 s2, s2, s8
	v_mul_lo_u32 v8, v3, s4
	s_ashr_i32 s3, s2, 31
	s_delay_alu instid0(SALU_CYCLE_1)
	s_lshl_b64 s[2:3], s[2:3], 1
	v_or3_b32 v16, v0, v1, v2
	ds_load_b128 v[0:3], v16
	ds_load_b128 v[4:7], v16 offset:128
	v_ashrrev_i32_e32 v9, 31, v8
	s_waitcnt lgkmcnt(0)
	s_add_u32 s2, s0, s2
	s_addc_u32 s3, s1, s3
	s_lshl_b32 s0, s14, 6
	s_delay_alu instid0(SALU_CYCLE_1) | instskip(SKIP_2) | instid1(SALU_CYCLE_1)
	s_ashr_i32 s1, s0, 31
	v_lshlrev_b64 v[9:10], 1, v[8:9]
	s_lshl_b64 s[0:1], s[0:1], 1
	s_add_u32 s0, s2, s0
	s_addc_u32 s1, s3, s1
	s_lshl_b32 s2, s34, 7
	v_add_co_u32 v30, s0, s0, v73
	v_add_nc_u32_e32 v11, s2, v8
	v_add_co_ci_u32_e64 v31, null, s1, 0, s0
	s_delay_alu instid0(VALU_DEP_3) | instskip(NEXT) | instid1(VALU_DEP_3)
	v_add_co_u32 v9, vcc_lo, v30, v9
	v_add_nc_u32_e32 v8, s2, v11
	s_delay_alu instid0(VALU_DEP_3) | instskip(SKIP_1) | instid1(VALU_DEP_3)
	v_add_co_ci_u32_e32 v10, vcc_lo, v31, v10, vcc_lo
	v_ashrrev_i32_e32 v12, 31, v11
	v_add_nc_u32_e32 v13, s2, v8
	global_store_b128 v[9:10], v[0:3], off
	v_ashrrev_i32_e32 v9, 31, v8
	v_lshlrev_b64 v[11:12], 1, v[11:12]
	v_ashrrev_i32_e32 v14, 31, v13
	v_add_nc_u32_e32 v10, s2, v13
	s_delay_alu instid0(VALU_DEP_4) | instskip(NEXT) | instid1(VALU_DEP_4)
	v_lshlrev_b64 v[2:3], 1, v[8:9]
	v_add_co_u32 v0, vcc_lo, v30, v11
	s_delay_alu instid0(VALU_DEP_4)
	v_lshlrev_b64 v[8:9], 1, v[13:14]
	v_add_co_ci_u32_e32 v1, vcc_lo, v31, v12, vcc_lo
	v_ashrrev_i32_e32 v11, 31, v10
	v_add_co_u32 v22, vcc_lo, v30, v2
	v_add_nc_u32_e32 v20, s2, v10
	v_add_co_ci_u32_e32 v23, vcc_lo, v31, v3, vcc_lo
	v_add_co_u32 v24, vcc_lo, v30, v8
	global_store_b128 v[0:1], v[4:7], off
	v_add_co_ci_u32_e32 v25, vcc_lo, v31, v9, vcc_lo
	ds_load_b128 v[0:3], v16 offset:256
	ds_load_b128 v[4:7], v16 offset:384
	v_lshlrev_b64 v[26:27], 1, v[10:11]
	ds_load_b128 v[8:11], v16 offset:512
	ds_load_b128 v[12:15], v16 offset:640
	ds_load_b128 v[16:19], v16 offset:768
	v_add_nc_u32_e32 v28, s2, v20
	v_ashrrev_i32_e32 v21, 31, v20
	v_add_co_u32 v26, vcc_lo, v30, v26
	s_delay_alu instid0(VALU_DEP_3) | instskip(NEXT) | instid1(VALU_DEP_3)
	v_ashrrev_i32_e32 v29, 31, v28
	v_lshlrev_b64 v[20:21], 1, v[20:21]
	v_add_co_ci_u32_e32 v27, vcc_lo, v31, v27, vcc_lo
	s_delay_alu instid0(VALU_DEP_3) | instskip(NEXT) | instid1(VALU_DEP_3)
	v_lshlrev_b64 v[28:29], 1, v[28:29]
	v_add_co_u32 v20, vcc_lo, v30, v20
	s_delay_alu instid0(VALU_DEP_4) | instskip(NEXT) | instid1(VALU_DEP_3)
	v_add_co_ci_u32_e32 v21, vcc_lo, v31, v21, vcc_lo
	v_add_co_u32 v28, vcc_lo, v30, v28
	s_delay_alu instid0(VALU_DEP_4)
	v_add_co_ci_u32_e32 v29, vcc_lo, v31, v29, vcc_lo
	s_waitcnt lgkmcnt(4)
	global_store_b128 v[22:23], v[0:3], off
	s_waitcnt lgkmcnt(3)
	global_store_b128 v[24:25], v[4:7], off
	;; [unrolled: 2-line block ×5, first 2 shown]
	s_nop 0
	s_sendmsg sendmsg(MSG_DEALLOC_VGPRS)
	s_endpgm
	.section	.rodata,"a",@progbits
	.p2align	6, 0x0
	.amdhsa_kernel _Z39paged_attention_ll4mi_QKV_mfma16_kernelI14__hip_bfloat16hLN4vllm18Fp8KVCacheDataTypeE1ES0_Li32ELi64ELi256ELb1ELi14EL8MFMAType1EEvPKT_PKT0_S9_ifPKiSB_SB_iPKfiiiPfSE_PS4_PT2_iSD_SD_
		.amdhsa_group_segment_fixed_size 17472
		.amdhsa_private_segment_fixed_size 0
		.amdhsa_kernarg_size 400
		.amdhsa_user_sgpr_count 13
		.amdhsa_user_sgpr_dispatch_ptr 0
		.amdhsa_user_sgpr_queue_ptr 0
		.amdhsa_user_sgpr_kernarg_segment_ptr 1
		.amdhsa_user_sgpr_dispatch_id 0
		.amdhsa_user_sgpr_private_segment_size 0
		.amdhsa_wavefront_size32 1
		.amdhsa_uses_dynamic_stack 0
		.amdhsa_enable_private_segment 0
		.amdhsa_system_sgpr_workgroup_id_x 1
		.amdhsa_system_sgpr_workgroup_id_y 1
		.amdhsa_system_sgpr_workgroup_id_z 1
		.amdhsa_system_sgpr_workgroup_info 0
		.amdhsa_system_vgpr_workitem_id 0
		.amdhsa_next_free_vgpr 124
		.amdhsa_next_free_sgpr 40
		.amdhsa_reserve_vcc 1
		.amdhsa_float_round_mode_32 0
		.amdhsa_float_round_mode_16_64 0
		.amdhsa_float_denorm_mode_32 3
		.amdhsa_float_denorm_mode_16_64 3
		.amdhsa_dx10_clamp 1
		.amdhsa_ieee_mode 1
		.amdhsa_fp16_overflow 0
		.amdhsa_workgroup_processor_mode 1
		.amdhsa_memory_ordered 1
		.amdhsa_forward_progress 0
		.amdhsa_shared_vgpr_count 0
		.amdhsa_exception_fp_ieee_invalid_op 0
		.amdhsa_exception_fp_denorm_src 0
		.amdhsa_exception_fp_ieee_div_zero 0
		.amdhsa_exception_fp_ieee_overflow 0
		.amdhsa_exception_fp_ieee_underflow 0
		.amdhsa_exception_fp_ieee_inexact 0
		.amdhsa_exception_int_div_zero 0
	.end_amdhsa_kernel
	.section	.text._Z39paged_attention_ll4mi_QKV_mfma16_kernelI14__hip_bfloat16hLN4vllm18Fp8KVCacheDataTypeE1ES0_Li32ELi64ELi256ELb1ELi14EL8MFMAType1EEvPKT_PKT0_S9_ifPKiSB_SB_iPKfiiiPfSE_PS4_PT2_iSD_SD_,"axG",@progbits,_Z39paged_attention_ll4mi_QKV_mfma16_kernelI14__hip_bfloat16hLN4vllm18Fp8KVCacheDataTypeE1ES0_Li32ELi64ELi256ELb1ELi14EL8MFMAType1EEvPKT_PKT0_S9_ifPKiSB_SB_iPKfiiiPfSE_PS4_PT2_iSD_SD_,comdat
.Lfunc_end1479:
	.size	_Z39paged_attention_ll4mi_QKV_mfma16_kernelI14__hip_bfloat16hLN4vllm18Fp8KVCacheDataTypeE1ES0_Li32ELi64ELi256ELb1ELi14EL8MFMAType1EEvPKT_PKT0_S9_ifPKiSB_SB_iPKfiiiPfSE_PS4_PT2_iSD_SD_, .Lfunc_end1479-_Z39paged_attention_ll4mi_QKV_mfma16_kernelI14__hip_bfloat16hLN4vllm18Fp8KVCacheDataTypeE1ES0_Li32ELi64ELi256ELb1ELi14EL8MFMAType1EEvPKT_PKT0_S9_ifPKiSB_SB_iPKfiiiPfSE_PS4_PT2_iSD_SD_
                                        ; -- End function
	.section	.AMDGPU.csdata,"",@progbits
; Kernel info:
; codeLenInByte = 8924
; NumSgprs: 42
; NumVgprs: 124
; ScratchSize: 0
; MemoryBound: 0
; FloatMode: 240
; IeeeMode: 1
; LDSByteSize: 17472 bytes/workgroup (compile time only)
; SGPRBlocks: 5
; VGPRBlocks: 15
; NumSGPRsForWavesPerEU: 42
; NumVGPRsForWavesPerEU: 124
; Occupancy: 10
; WaveLimiterHint : 1
; COMPUTE_PGM_RSRC2:SCRATCH_EN: 0
; COMPUTE_PGM_RSRC2:USER_SGPR: 13
; COMPUTE_PGM_RSRC2:TRAP_HANDLER: 0
; COMPUTE_PGM_RSRC2:TGID_X_EN: 1
; COMPUTE_PGM_RSRC2:TGID_Y_EN: 1
; COMPUTE_PGM_RSRC2:TGID_Z_EN: 1
; COMPUTE_PGM_RSRC2:TIDIG_COMP_CNT: 0
	.section	.text._Z39paged_attention_ll4mi_QKV_mfma16_kernelI14__hip_bfloat16hLN4vllm18Fp8KVCacheDataTypeE1ES0_Li32ELi64ELi256ELb1ELi15EL8MFMAType1EEvPKT_PKT0_S9_ifPKiSB_SB_iPKfiiiPfSE_PS4_PT2_iSD_SD_,"axG",@progbits,_Z39paged_attention_ll4mi_QKV_mfma16_kernelI14__hip_bfloat16hLN4vllm18Fp8KVCacheDataTypeE1ES0_Li32ELi64ELi256ELb1ELi15EL8MFMAType1EEvPKT_PKT0_S9_ifPKiSB_SB_iPKfiiiPfSE_PS4_PT2_iSD_SD_,comdat
	.protected	_Z39paged_attention_ll4mi_QKV_mfma16_kernelI14__hip_bfloat16hLN4vllm18Fp8KVCacheDataTypeE1ES0_Li32ELi64ELi256ELb1ELi15EL8MFMAType1EEvPKT_PKT0_S9_ifPKiSB_SB_iPKfiiiPfSE_PS4_PT2_iSD_SD_ ; -- Begin function _Z39paged_attention_ll4mi_QKV_mfma16_kernelI14__hip_bfloat16hLN4vllm18Fp8KVCacheDataTypeE1ES0_Li32ELi64ELi256ELb1ELi15EL8MFMAType1EEvPKT_PKT0_S9_ifPKiSB_SB_iPKfiiiPfSE_PS4_PT2_iSD_SD_
	.globl	_Z39paged_attention_ll4mi_QKV_mfma16_kernelI14__hip_bfloat16hLN4vllm18Fp8KVCacheDataTypeE1ES0_Li32ELi64ELi256ELb1ELi15EL8MFMAType1EEvPKT_PKT0_S9_ifPKiSB_SB_iPKfiiiPfSE_PS4_PT2_iSD_SD_
	.p2align	8
	.type	_Z39paged_attention_ll4mi_QKV_mfma16_kernelI14__hip_bfloat16hLN4vllm18Fp8KVCacheDataTypeE1ES0_Li32ELi64ELi256ELb1ELi15EL8MFMAType1EEvPKT_PKT0_S9_ifPKiSB_SB_iPKfiiiPfSE_PS4_PT2_iSD_SD_,@function
_Z39paged_attention_ll4mi_QKV_mfma16_kernelI14__hip_bfloat16hLN4vllm18Fp8KVCacheDataTypeE1ES0_Li32ELi64ELi256ELb1ELi15EL8MFMAType1EEvPKT_PKT0_S9_ifPKiSB_SB_iPKfiiiPfSE_PS4_PT2_iSD_SD_: ; @_Z39paged_attention_ll4mi_QKV_mfma16_kernelI14__hip_bfloat16hLN4vllm18Fp8KVCacheDataTypeE1ES0_Li32ELi64ELi256ELb1ELi15EL8MFMAType1EEvPKT_PKT0_S9_ifPKiSB_SB_iPKfiiiPfSE_PS4_PT2_iSD_SD_
; %bb.0:
	s_load_b64 s[2:3], s[0:1], 0x30
	s_mov_b32 s34, s13
	s_waitcnt lgkmcnt(0)
	s_cmp_lg_u64 s[2:3], 0
	s_cselect_b32 s8, -1, 0
	s_ashr_i32 s35, s13, 31
	s_cmp_eq_u64 s[2:3], 0
	s_cbranch_scc1 .LBB1480_3
; %bb.1:
	s_lshl_b64 s[4:5], s[34:35], 2
	s_delay_alu instid0(SALU_CYCLE_1) | instskip(SKIP_4) | instid1(SALU_CYCLE_1)
	s_add_u32 s4, s2, s4
	s_addc_u32 s5, s3, s5
	s_load_b64 s[4:5], s[4:5], 0x0
	s_waitcnt lgkmcnt(0)
	s_sub_i32 s4, s5, s4
	s_cmp_eq_u32 s4, 1
	s_cselect_b32 s4, -1, 0
	s_delay_alu instid0(SALU_CYCLE_1)
	s_and_not1_b32 vcc_lo, exec_lo, s4
	s_cbranch_vccz .LBB1480_4
.LBB1480_2:
	s_nop 0
	s_sendmsg sendmsg(MSG_DEALLOC_VGPRS)
	s_endpgm
.LBB1480_3:
.LBB1480_4:
	s_load_b64 s[4:5], s[0:1], 0x28
	s_lshl_b64 s[6:7], s[34:35], 2
	s_waitcnt lgkmcnt(0)
	s_add_u32 s4, s4, s6
	s_addc_u32 s5, s5, s7
	s_lshl_b32 s12, s14, 8
	s_load_b32 s24, s[4:5], 0x0
	s_waitcnt lgkmcnt(0)
	s_cmp_ge_i32 s12, s24
	s_cbranch_scc1 .LBB1480_2
; %bb.5:
	s_clause 0x1
	s_load_b128 s[20:23], s[0:1], 0x8
	s_load_b64 s[4:5], s[0:1], 0x20
	s_and_not1_b32 vcc_lo, exec_lo, s8
	s_cbranch_vccnz .LBB1480_7
; %bb.6:
	s_add_u32 s2, s2, s6
	s_addc_u32 s3, s3, s7
	s_load_b32 s3, s[2:3], 0x0
	s_branch .LBB1480_8
.LBB1480_7:
	s_mov_b32 s3, s34
.LBB1480_8:
	s_load_b128 s[16:19], s[0:1], 0x48
	v_lshrrev_b32_e32 v66, 5, v0
	v_bfe_u32 v74, v0, 4, 1
	v_and_b32_e32 v65, 15, v0
	v_and_b32_e32 v67, 31, v0
	;; [unrolled: 1-line block ×3, first 2 shown]
	s_mul_i32 s31, s15, 15
	v_lshl_or_b32 v1, v66, 1, v74
	v_lshlrev_b32_e32 v2, 3, v65
	v_cmp_gt_u32_e64 s2, 8, v65
	s_delay_alu instid0(VALU_DEP_3) | instskip(NEXT) | instid1(VALU_DEP_3)
	v_cmp_gt_u32_e32 vcc_lo, 15, v1
	v_lshlrev_b32_e32 v73, 1, v2
	s_delay_alu instid0(VALU_DEP_3) | instskip(NEXT) | instid1(SALU_CYCLE_1)
	s_and_b32 s7, s2, vcc_lo
	s_and_saveexec_b32 s6, s7
	s_cbranch_execz .LBB1480_10
; %bb.9:
	s_load_b64 s[8:9], s[0:1], 0x0
	v_add_lshl_u32 v2, v1, s31, 6
	s_waitcnt lgkmcnt(0)
	s_mul_hi_i32 s11, s3, s16
	s_mul_i32 s10, s3, s16
	v_lshlrev_b32_e32 v6, 10, v65
	s_lshl_b64 s[10:11], s[10:11], 1
	v_ashrrev_i32_e32 v3, 31, v2
	v_lshlrev_b32_e32 v1, 6, v1
	v_lshlrev_b32_e32 v7, 10, v75
	v_and_b32_e32 v6, 0x3800, v6
	s_delay_alu instid0(VALU_DEP_4) | instskip(NEXT) | instid1(VALU_DEP_2)
	v_lshlrev_b64 v[2:3], 1, v[2:3]
	v_or3_b32 v1, v6, v7, v1
	s_add_u32 s3, s8, s10
	s_addc_u32 s7, s9, s11
	s_delay_alu instid0(VALU_DEP_2) | instskip(NEXT) | instid1(VALU_DEP_3)
	v_add_co_u32 v2, vcc_lo, s3, v2
	v_add_co_ci_u32_e32 v3, vcc_lo, s7, v3, vcc_lo
	s_delay_alu instid0(VALU_DEP_2) | instskip(NEXT) | instid1(VALU_DEP_2)
	v_add_co_u32 v2, vcc_lo, v2, v73
	v_add_co_ci_u32_e32 v3, vcc_lo, 0, v3, vcc_lo
	global_load_b128 v[2:5], v[2:3], off
	s_waitcnt vmcnt(0)
	ds_store_b128 v1, v[2:5]
.LBB1480_10:
	s_or_b32 exec_lo, exec_lo, s6
	v_and_b32_e32 v1, 0xef, v0
	s_waitcnt lgkmcnt(0)
	s_add_i32 s3, s24, 31
	s_clause 0x1
	s_load_b32 s6, s[0:1], 0x38
	s_load_b32 s19, s[0:1], 0x1c
	s_ashr_i32 s7, s3, 31
	v_add_nc_u32_e32 v1, s12, v1
	s_lshr_b32 s7, s7, 27
	s_waitcnt lgkmcnt(0)
	s_add_i32 s3, s3, s7
	s_barrier
	v_ashrrev_i32_e32 v2, 31, v1
	v_or_b32_e32 v3, 16, v1
	s_ashr_i32 s3, s3, 5
	v_cmp_gt_i32_e32 vcc_lo, s24, v1
	s_add_i32 s3, s3, -1
	v_lshrrev_b32_e32 v2, 27, v2
	buffer_gl0_inv
	s_mul_i32 s27, s15, s18
	v_add_nc_u32_e32 v4, v1, v2
	s_mul_i32 s6, s34, s6
	s_delay_alu instid0(SALU_CYCLE_1) | instskip(NEXT) | instid1(VALU_DEP_1)
	s_ashr_i32 s7, s6, 31
	v_ashrrev_i32_e32 v4, 5, v4
	v_add_nc_u32_e32 v2, v3, v2
	s_lshl_b64 s[6:7], s[6:7], 2
	s_delay_alu instid0(SALU_CYCLE_1) | instskip(NEXT) | instid1(VALU_DEP_2)
	s_add_u32 s26, s4, s6
	v_cndmask_b32_e32 v1, s3, v4, vcc_lo
	s_delay_alu instid0(VALU_DEP_2)
	v_ashrrev_i32_e32 v2, 5, v2
	v_cmp_gt_i32_e32 vcc_lo, s24, v3
	s_addc_u32 s25, s5, s7
	s_ashr_i32 s28, s27, 31
	s_add_u32 s4, s20, s27
	s_addc_u32 s5, s21, s28
	v_cndmask_b32_e32 v3, s3, v2, vcc_lo
	v_ashrrev_i32_e32 v2, 31, v1
	s_lshl_b32 s6, s14, 3
	s_delay_alu instid0(SALU_CYCLE_1) | instskip(NEXT) | instid1(VALU_DEP_2)
	s_ashr_i32 s7, s6, 31
	v_ashrrev_i32_e32 v4, 31, v3
	s_delay_alu instid0(VALU_DEP_2) | instskip(SKIP_1) | instid1(SALU_CYCLE_1)
	v_lshlrev_b64 v[1:2], 2, v[1:2]
	s_lshl_b64 s[6:7], s[6:7], 2
	s_add_u32 s6, s26, s6
	s_delay_alu instid0(VALU_DEP_2) | instskip(SKIP_1) | instid1(VALU_DEP_2)
	v_lshlrev_b64 v[3:4], 2, v[3:4]
	s_addc_u32 s7, s25, s7
	v_add_co_u32 v1, vcc_lo, s26, v1
	v_add_co_ci_u32_e32 v2, vcc_lo, s25, v2, vcc_lo
	s_delay_alu instid0(VALU_DEP_3) | instskip(NEXT) | instid1(VALU_DEP_4)
	v_add_co_u32 v3, vcc_lo, s26, v3
	v_add_co_ci_u32_e32 v4, vcc_lo, s25, v4, vcc_lo
	s_clause 0x1
	global_load_b32 v5, v[1:2], off
	global_load_b32 v6, v[3:4], off
	s_or_b32 s8, s12, 32
	s_delay_alu instid0(SALU_CYCLE_1) | instskip(SKIP_2) | instid1(SALU_CYCLE_1)
	s_ashr_i32 s9, s8, 5
	s_cmp_lt_i32 s8, s24
	s_cselect_b32 s8, s9, s3
	s_ashr_i32 s9, s8, 31
	s_delay_alu instid0(SALU_CYCLE_1) | instskip(NEXT) | instid1(SALU_CYCLE_1)
	s_lshl_b64 s[8:9], s[8:9], 2
	s_add_u32 s8, s26, s8
	s_addc_u32 s9, s25, s9
	s_or_b32 s10, s12, 64
	s_delay_alu instid0(SALU_CYCLE_1) | instskip(SKIP_2) | instid1(SALU_CYCLE_1)
	s_ashr_i32 s11, s10, 5
	s_cmp_lt_i32 s10, s24
	s_cselect_b32 s10, s11, s3
	s_ashr_i32 s11, s10, 31
	s_delay_alu instid0(SALU_CYCLE_1) | instskip(NEXT) | instid1(SALU_CYCLE_1)
	s_lshl_b64 s[10:11], s[10:11], 2
	s_add_u32 s10, s26, s10
	s_addc_u32 s11, s25, s11
	;; [unrolled: 10-line block ×5, first 2 shown]
	s_clause 0x5
	s_load_b32 s21, s[6:7], 0x0
	s_load_b32 s13, s[8:9], 0x0
	;; [unrolled: 1-line block ×6, first 2 shown]
	s_or_b32 s7, s12, 0xc0
	s_delay_alu instid0(SALU_CYCLE_1) | instskip(SKIP_2) | instid1(SALU_CYCLE_1)
	s_ashr_i32 s8, s7, 5
	s_cmp_lt_i32 s7, s24
	s_cselect_b32 s10, s8, s3
	s_ashr_i32 s11, s10, 31
	s_delay_alu instid0(SALU_CYCLE_1) | instskip(NEXT) | instid1(SALU_CYCLE_1)
	s_lshl_b64 s[36:37], s[10:11], 2
	s_add_u32 s36, s26, s36
	s_addc_u32 s37, s25, s37
	s_or_b32 s29, s12, 0xe0
	s_delay_alu instid0(SALU_CYCLE_1)
	s_ashr_i32 s30, s29, 5
	s_cmp_lt_i32 s29, s24
	s_waitcnt vmcnt(1)
	v_mad_i64_i32 v[1:2], null, v5, s17, s[4:5]
	s_waitcnt vmcnt(0)
	v_mad_i64_i32 v[3:4], null, v6, s17, s[4:5]
	s_mov_b32 s4, 0
	s_delay_alu instid0(SALU_CYCLE_1)
	s_mov_b32 s5, s4
	s_mov_b32 s6, s4
	;; [unrolled: 1-line block ×7, first 2 shown]
	v_lshlrev_b32_e32 v5, 4, v65
	v_dual_mov_b32 v107, s11 :: v_dual_mov_b32 v100, s4
	v_mov_b32_e32 v102, s6
	v_mov_b32_e32 v106, s10
	s_delay_alu instid0(VALU_DEP_4)
	v_add_co_u32 v1, vcc_lo, v1, v5
	v_add_co_ci_u32_e32 v2, vcc_lo, 0, v2, vcc_lo
	v_add_co_u32 v3, vcc_lo, v3, v5
	v_add_co_ci_u32_e32 v4, vcc_lo, 0, v4, vcc_lo
	s_clause 0x7
	global_load_b128 v[49:52], v[1:2], off
	global_load_b128 v[53:56], v[1:2], off offset:512
	global_load_b128 v[76:79], v[3:4], off offset:256
	;; [unrolled: 1-line block ×7, first 2 shown]
	v_cmp_ne_u32_e32 vcc_lo, 15, v65
	v_dual_mov_b32 v104, s8 :: v_dual_mov_b32 v103, s7
	v_dual_mov_b32 v101, s5 :: v_dual_lshlrev_b32 v2, 5, v65
	v_cndmask_b32_e32 v1, 0, v65, vcc_lo
	v_mov_b32_e32 v105, s9
	s_cselect_b32 s4, s30, s3
	s_load_b32 s3, s[36:37], 0x0
	s_ashr_i32 s5, s4, 31
	v_lshlrev_b32_e32 v70, 6, v1
	s_lshl_b64 s[4:5], s[4:5], 2
	v_lshl_or_b32 v1, v66, 9, v2
	s_add_u32 s4, s26, s4
	s_addc_u32 s5, s25, s5
	ds_load_b128 v[108:111], v70
	ds_load_b128 v[112:115], v70 offset:1024
	s_load_b32 s4, s[4:5], 0x0
	s_add_u32 s6, s22, s27
	s_addc_u32 s7, s23, s28
	v_add_co_u32 v9, s6, s6, v1
	s_delay_alu instid0(VALU_DEP_1) | instskip(SKIP_1) | instid1(VALU_DEP_1)
	v_add_co_ci_u32_e64 v10, null, s7, 0, s6
	s_waitcnt lgkmcnt(0)
	v_mad_i64_i32 v[1:2], null, s21, s17, v[9:10]
	v_mad_i64_i32 v[3:4], null, s13, s17, v[9:10]
	;; [unrolled: 1-line block ×7, first 2 shown]
	s_clause 0x9
	global_load_b128 v[57:60], v[1:2], off
	global_load_b128 v[61:64], v[1:2], off offset:16
	global_load_b128 v[41:44], v[3:4], off
	global_load_b128 v[45:48], v[3:4], off offset:16
	;; [unrolled: 2-line block ×5, first 2 shown]
	v_mad_i64_i32 v[68:69], null, s4, s17, v[9:10]
	s_clause 0x3
	global_load_b128 v[9:12], v[13:14], off
	global_load_b128 v[13:16], v[13:14], off offset:16
	global_load_b128 v[17:20], v[21:22], off
	global_load_b128 v[21:24], v[21:22], off offset:16
	s_waitcnt vmcnt(20)
	v_wmma_f32_16x16x16_bf16 v[116:123], v[49:56], v[108:115], v[100:107]
	s_clause 0x1
	global_load_b128 v[49:52], v[68:69], off
	global_load_b128 v[53:56], v[68:69], off offset:16
	v_and_b32_e32 v68, 0xe0, v0
	v_mbcnt_lo_u32_b32 v69, -1, 0
	s_delay_alu instid0(VALU_DEP_2)
	v_add_nc_u32_e32 v68, s12, v68
	s_waitcnt vmcnt(20)
	v_wmma_f32_16x16x16_bf16 v[100:107], v[76:83], v[108:115], v[100:107]
	ds_load_b128 v[76:79], v70 offset:2048
	ds_load_b128 v[80:83], v70 offset:3072
	v_xor_b32_e32 v70, 16, v69
	s_waitcnt vmcnt(0) lgkmcnt(0)
	v_or_b32_e32 v68, v68, v74
	s_barrier
	buffer_gl0_inv
	v_cmp_gt_i32_e32 vcc_lo, 32, v70
	v_or_b32_e32 v71, 4, v68
	v_or_b32_e32 v72, 6, v68
	v_cmp_gt_i32_e64 s3, s24, v68
	v_or_b32_e32 v108, 8, v68
	v_or_b32_e32 v109, 10, v68
	v_cmp_gt_i32_e64 s4, s24, v71
	v_cmp_gt_i32_e64 s5, s24, v72
	s_delay_alu instid0(VALU_DEP_4) | instskip(NEXT) | instid1(VALU_DEP_4)
	v_cmp_gt_i32_e64 s6, s24, v108
	v_cmp_gt_i32_e64 s7, s24, v109
	v_wmma_f32_16x16x16_bf16 v[116:123], v[84:91], v[76:83], v[116:123]
	v_cndmask_b32_e32 v69, v69, v70, vcc_lo
	v_or_b32_e32 v70, 2, v68
	v_wmma_f32_16x16x16_bf16 v[100:107], v[92:99], v[76:83], v[100:107]
	v_or_b32_e32 v84, 12, v68
	v_dual_mul_f32 v78, s19, v123 :: v_dual_mul_f32 v83, s19, v118
	v_dual_mul_f32 v92, s19, v117 :: v_dual_mul_f32 v93, s19, v116
	s_delay_alu instid0(VALU_DEP_4) | instskip(SKIP_2) | instid1(VALU_DEP_4)
	v_mul_f32_e32 v94, s19, v107
	v_cmp_gt_i32_e32 vcc_lo, s24, v70
	v_dual_mul_f32 v81, s19, v120 :: v_dual_mul_f32 v82, s19, v119
	v_cndmask_b32_e64 v93, 0xff7fffff, v93, s3
	v_or_b32_e32 v85, 14, v68
	v_cndmask_b32_e32 v92, 0xff7fffff, v92, vcc_lo
	v_dual_mul_f32 v79, s19, v122 :: v_dual_mul_f32 v80, s19, v121
	v_cndmask_b32_e64 v71, 0xff7fffff, v83, s4
	v_cndmask_b32_e64 v72, 0xff7fffff, v82, s5
	s_delay_alu instid0(VALU_DEP_4)
	v_max3_f32 v82, v93, 0xff7fffff, v92
	v_or_b32_e32 v86, 16, v68
	v_or_b32_e32 v87, 18, v68
	v_cndmask_b32_e64 v81, 0xff7fffff, v81, s6
	v_cndmask_b32_e64 v80, 0xff7fffff, v80, s7
	v_max3_f32 v71, v82, v71, v72
	v_cmp_gt_i32_e64 s8, s24, v84
	v_cmp_gt_i32_e64 s9, s24, v85
	v_or_b32_e32 v88, 20, v68
	v_or_b32_e32 v89, 22, v68
	;; [unrolled: 1-line block ×6, first 2 shown]
	v_dual_mul_f32 v99, s19, v102 :: v_dual_mul_f32 v70, s19, v101
	v_mul_f32_e32 v68, s19, v100
	v_cndmask_b32_e64 v72, 0xff7fffff, v79, s8
	v_cndmask_b32_e64 v78, 0xff7fffff, v78, s9
	v_max3_f32 v71, v71, v81, v80
	v_cmp_gt_i32_e64 s10, s24, v86
	v_cmp_gt_i32_e64 s11, s24, v87
	v_dual_mul_f32 v97, s19, v104 :: v_dual_mul_f32 v98, s19, v103
	s_delay_alu instid0(VALU_DEP_4) | instskip(SKIP_1) | instid1(VALU_DEP_4)
	v_max3_f32 v71, v71, v72, v78
	v_cmp_gt_i32_e64 s12, s24, v88
	v_cndmask_b32_e64 v70, 0xff7fffff, v70, s11
	v_cmp_gt_i32_e64 s13, s24, v89
	v_lshlrev_b32_e32 v89, 2, v69
	v_cndmask_b32_e64 v68, 0xff7fffff, v68, s10
	v_dual_mul_f32 v95, s19, v106 :: v_dual_mul_f32 v96, s19, v105
	v_cndmask_b32_e64 v72, 0xff7fffff, v99, s12
	v_cndmask_b32_e64 v78, 0xff7fffff, v98, s13
	s_delay_alu instid0(VALU_DEP_4)
	v_max3_f32 v68, v71, v68, v70
	v_cmp_gt_i32_e64 s15, s24, v90
	v_cmp_gt_i32_e64 s16, s24, v91
	;; [unrolled: 1-line block ×4, first 2 shown]
	v_max3_f32 v68, v68, v72, v78
	v_cndmask_b32_e64 v70, 0xff7fffff, v97, s15
	v_cndmask_b32_e64 v71, 0xff7fffff, v96, s16
	;; [unrolled: 1-line block ×4, first 2 shown]
	s_delay_alu instid0(VALU_DEP_3) | instskip(NEXT) | instid1(VALU_DEP_1)
	v_max3_f32 v68, v68, v70, v71
	v_max3_f32 v68, v68, v72, v76
	ds_bpermute_b32 v69, v89, v68
	s_waitcnt lgkmcnt(0)
	v_max_f32_e32 v69, v69, v69
	s_delay_alu instid0(VALU_DEP_1) | instskip(NEXT) | instid1(VALU_DEP_1)
	v_max_f32_e32 v68, v68, v69
	v_fma_f32 v71, s19, v118, -v68
	s_delay_alu instid0(VALU_DEP_1)
	v_mul_f32_e32 v71, 0x3fb8aa3b, v71
	v_fma_f32 v69, s19, v116, -v68
	v_fma_f32 v70, s19, v117, -v68
	;; [unrolled: 1-line block ×4, first 2 shown]
	v_exp_f32_e32 v71, v71
	s_delay_alu instid0(VALU_DEP_3) | instskip(SKIP_2) | instid1(VALU_DEP_3)
	v_dual_mul_f32 v69, 0x3fb8aa3b, v69 :: v_dual_mul_f32 v70, 0x3fb8aa3b, v70
	v_fma_f32 v78, s19, v122, -v68
	v_fma_f32 v81, s19, v105, -v68
	v_exp_f32_e32 v69, v69
	s_delay_alu instid0(VALU_DEP_3) | instskip(SKIP_1) | instid1(VALU_DEP_2)
	v_exp_f32_e32 v70, v70
	v_mul_f32_e32 v77, 0x3fb8aa3b, v76
	v_mul_f32_e32 v81, 0x3fb8aa3b, v81
	s_delay_alu instid0(TRANS32_DEP_3) | instskip(SKIP_1) | instid1(VALU_DEP_3)
	v_cndmask_b32_e64 v83, 0, v71, s4
	v_fma_f32 v71, s19, v123, -v68
	v_exp_f32_e32 v81, v81
	s_delay_alu instid0(TRANS32_DEP_3) | instskip(NEXT) | instid1(TRANS32_DEP_2)
	v_cndmask_b32_e64 v80, 0, v69, s3
	v_cndmask_b32_e32 v76, 0, v70, vcc_lo
	v_fma_f32 v69, s19, v121, -v68
	v_mul_f32_e32 v72, 0x3fb8aa3b, v72
	v_exp_f32_e32 v77, v77
	v_dual_add_f32 v70, 0, v80 :: v_dual_mul_f32 v71, 0x3fb8aa3b, v71
	s_delay_alu instid0(VALU_DEP_3) | instskip(NEXT) | instid1(VALU_DEP_3)
	v_mul_f32_e32 v69, 0x3fb8aa3b, v69
	v_exp_f32_e32 v72, v72
	v_cmp_gt_u32_e64 s3, 16, v67
	s_delay_alu instid0(VALU_DEP_3) | instskip(NEXT) | instid1(VALU_DEP_2)
	v_exp_f32_e32 v71, v71
	v_exp_f32_e32 v69, v69
	v_cndmask_b32_e64 v86, 0, v77, s6
	v_fma_f32 v77, s19, v101, -v68
	v_add_f32_e32 v70, v70, v76
	s_delay_alu instid0(TRANS32_DEP_3) | instskip(SKIP_1) | instid1(VALU_DEP_3)
	v_cndmask_b32_e64 v85, 0, v72, s5
	v_fma_f32 v72, s19, v100, -v68
	v_dual_mul_f32 v77, 0x3fb8aa3b, v77 :: v_dual_add_f32 v70, v70, v83
	s_delay_alu instid0(TRANS32_DEP_2) | instskip(SKIP_1) | instid1(TRANS32_DEP_1)
	v_cndmask_b32_e64 v88, 0, v71, s9
	v_fma_f32 v71, s19, v104, -v68
	v_cndmask_b32_e64 v87, 0, v69, s7
	s_delay_alu instid0(VALU_DEP_4) | instskip(NEXT) | instid1(VALU_DEP_2)
	v_exp_f32_e32 v77, v77
	v_dual_add_f32 v70, v70, v85 :: v_dual_mul_f32 v71, 0x3fb8aa3b, v71
	s_delay_alu instid0(VALU_DEP_1) | instskip(SKIP_2) | instid1(VALU_DEP_3)
	v_dual_mul_f32 v72, 0x3fb8aa3b, v72 :: v_dual_add_f32 v69, v70, v86
	v_mul_f32_e32 v78, 0x3fb8aa3b, v78
	v_fma_f32 v70, s19, v102, -v68
	v_exp_f32_e32 v72, v72
	v_exp_f32_e32 v82, v71
	v_add_f32_e32 v69, v69, v87
	v_exp_f32_e32 v78, v78
	v_mul_f32_e32 v70, 0x3fb8aa3b, v70
	s_delay_alu instid0(VALU_DEP_1) | instskip(SKIP_4) | instid1(VALU_DEP_2)
	v_exp_f32_e32 v79, v70
	v_cndmask_b32_e64 v70, 0, v72, s10
	s_waitcnt_depctr 0xfff
	v_cndmask_b32_e64 v84, 0, v78, s8
	v_fma_f32 v78, s19, v103, -v68
	v_add_f32_e32 v69, v69, v84
	v_cndmask_b32_e64 v71, 0, v79, s12
	s_delay_alu instid0(VALU_DEP_2) | instskip(SKIP_2) | instid1(VALU_DEP_1)
	v_add_f32_e32 v72, v69, v88
	v_cndmask_b32_e64 v69, 0, v77, s11
	v_fma_f32 v77, s19, v106, -v68
	v_dual_mul_f32 v77, 0x3fb8aa3b, v77 :: v_dual_add_f32 v72, v72, v70
	v_mul_f32_e32 v78, 0x3fb8aa3b, v78
	s_delay_alu instid0(VALU_DEP_2) | instskip(NEXT) | instid1(VALU_DEP_2)
	v_exp_f32_e32 v90, v77
	v_add_f32_e32 v79, v72, v69
	s_delay_alu instid0(VALU_DEP_2)
	v_exp_f32_e32 v78, v78
	v_cndmask_b32_e64 v77, 0, v82, s15
	s_waitcnt_depctr 0xfff
	v_cndmask_b32_e64 v72, 0, v78, s13
	v_add_f32_e32 v78, v79, v71
	v_fma_f32 v79, s19, v107, -v68
	s_delay_alu instid0(VALU_DEP_1) | instskip(SKIP_1) | instid1(VALU_DEP_2)
	v_dual_add_f32 v82, v78, v72 :: v_dual_mul_f32 v79, 0x3fb8aa3b, v79
	v_cndmask_b32_e64 v78, 0, v81, s16
	v_add_f32_e32 v81, v82, v77
	s_delay_alu instid0(VALU_DEP_3) | instskip(SKIP_1) | instid1(VALU_DEP_2)
	v_exp_f32_e32 v82, v79
	v_cndmask_b32_e64 v79, 0, v90, s17
	v_add_f32_e32 v81, v81, v78
	s_delay_alu instid0(VALU_DEP_1) | instskip(SKIP_2) | instid1(VALU_DEP_1)
	v_add_f32_e32 v90, v81, v79
	s_waitcnt_depctr 0xfff
	v_cndmask_b32_e64 v81, 0, v82, s18
	v_add_f32_e32 v82, v90, v81
	ds_bpermute_b32 v89, v89, v82
	s_and_saveexec_b32 s4, s3
	s_cbranch_execz .LBB1480_12
; %bb.11:
	v_mul_u32_u24_e32 v67, 0x44, v66
	s_delay_alu instid0(VALU_DEP_1) | instskip(SKIP_1) | instid1(VALU_DEP_1)
	v_lshl_add_u32 v67, v65, 2, v67
	s_waitcnt lgkmcnt(0)
	v_dual_add_f32 v82, v82, v89 :: v_dual_add_nc_u32 v67, 0x4000, v67
	ds_store_2addr_b32 v67, v68, v82 offset1:136
.LBB1480_12:
	s_or_b32 exec_lo, exec_lo, s4
	v_lshlrev_b32_e32 v67, 2, v65
	s_waitcnt lgkmcnt(0)
	s_barrier
	buffer_gl0_inv
	v_cmp_eq_u32_e32 vcc_lo, 1, v66
	v_add_nc_u32_e32 v82, 0x4000, v67
	v_cmp_eq_u32_e64 s4, 2, v66
	v_cmp_eq_u32_e64 s6, 7, v66
	ds_load_2addr_b32 v[89:90], v82 offset1:17
	ds_load_2addr_b32 v[91:92], v82 offset0:34 offset1:51
	ds_load_2addr_b32 v[93:94], v82 offset0:68 offset1:85
	;; [unrolled: 1-line block ×4, first 2 shown]
	s_waitcnt lgkmcnt(4)
	v_max3_f32 v67, v89, 0xff7fffff, v90
	s_waitcnt lgkmcnt(3)
	s_delay_alu instid0(VALU_DEP_1) | instskip(SKIP_1) | instid1(VALU_DEP_1)
	v_max3_f32 v67, v67, v91, v92
	s_waitcnt lgkmcnt(2)
	v_max3_f32 v67, v67, v93, v94
	s_waitcnt lgkmcnt(1)
	s_delay_alu instid0(VALU_DEP_1) | instskip(NEXT) | instid1(VALU_DEP_1)
	v_max3_f32 v67, v67, v95, v96
	v_sub_f32_e32 v93, v93, v67
	s_delay_alu instid0(VALU_DEP_1) | instskip(NEXT) | instid1(VALU_DEP_1)
	v_dual_sub_f32 v68, v89, v67 :: v_dual_mul_f32 v103, 0x3fb8aa3b, v93
	v_mul_f32_e32 v68, 0x3fb8aa3b, v68
	s_delay_alu instid0(VALU_DEP_1)
	v_exp_f32_e32 v100, v68
	v_sub_f32_e32 v68, v92, v67
	v_sub_f32_e32 v99, v90, v67
	ds_load_2addr_b32 v[89:90], v82 offset0:170 offset1:187
	v_dual_mul_f32 v102, 0x3fb8aa3b, v68 :: v_dual_mul_f32 v99, 0x3fb8aa3b, v99
	s_waitcnt lgkmcnt(1)
	v_fma_f32 v68, v100, v97, 0
	s_delay_alu instid0(VALU_DEP_2) | instskip(NEXT) | instid1(VALU_DEP_2)
	v_exp_f32_e32 v102, v102
	v_exp_f32_e32 v99, v99
	s_waitcnt_depctr 0xfff
	v_fmac_f32_e32 v68, v99, v98
	v_sub_f32_e32 v91, v91, v67
	s_delay_alu instid0(VALU_DEP_1)
	v_mul_f32_e32 v101, 0x3fb8aa3b, v91
	ds_load_2addr_b32 v[91:92], v82 offset0:204 offset1:221
	v_sub_f32_e32 v97, v94, v67
	ds_load_2addr_b32 v[93:94], v82 offset0:238 offset1:255
	s_waitcnt lgkmcnt(0)
	v_exp_f32_e32 v101, v101
	s_barrier
	buffer_gl0_inv
	v_dual_fmac_f32 v68, v101, v89 :: v_dual_sub_f32 v89, v96, v67
	v_dual_sub_f32 v82, v95, v67 :: v_dual_mul_f32 v95, 0x3fb8aa3b, v97
	v_exp_f32_e32 v97, v103
	s_delay_alu instid0(VALU_DEP_2) | instskip(NEXT) | instid1(VALU_DEP_2)
	v_dual_fmac_f32 v68, v102, v90 :: v_dual_mul_f32 v89, 0x3fb8aa3b, v89
	v_mul_f32_e32 v82, 0x3fb8aa3b, v82
	s_delay_alu instid0(VALU_DEP_3) | instskip(NEXT) | instid1(VALU_DEP_2)
	v_exp_f32_e32 v95, v95
	v_exp_f32_e32 v89, v89
	s_delay_alu instid0(VALU_DEP_1)
	v_exp_f32_e32 v82, v82
	v_fmac_f32_e32 v68, v97, v91
	s_delay_alu instid0(TRANS32_DEP_3) | instid1(VALU_DEP_1)
	v_fmac_f32_e32 v68, v95, v92
	s_waitcnt_depctr 0xfff
	v_fmac_f32_e32 v68, v82, v93
	s_delay_alu instid0(VALU_DEP_1) | instskip(NEXT) | instid1(VALU_DEP_1)
	v_fmac_f32_e32 v68, v89, v94
	v_add_f32_e32 v90, 0x358637bd, v68
	s_delay_alu instid0(VALU_DEP_1) | instskip(NEXT) | instid1(VALU_DEP_1)
	v_div_scale_f32 v91, null, v90, v90, 1.0
	v_rcp_f32_e32 v92, v91
	s_waitcnt_depctr 0xfff
	v_fma_f32 v93, -v91, v92, 1.0
	s_delay_alu instid0(VALU_DEP_1) | instskip(SKIP_1) | instid1(VALU_DEP_2)
	v_dual_fmac_f32 v92, v93, v92 :: v_dual_cndmask_b32 v93, v100, v99
	v_cmp_eq_u32_e32 vcc_lo, 3, v66
	v_cndmask_b32_e64 v93, v93, v101, s4
	v_cmp_eq_u32_e64 s4, 4, v66
	s_delay_alu instid0(VALU_DEP_2) | instskip(SKIP_1) | instid1(VALU_DEP_2)
	v_cndmask_b32_e32 v93, v93, v102, vcc_lo
	v_cmp_eq_u32_e32 vcc_lo, 5, v66
	v_cndmask_b32_e64 v93, v93, v97, s4
	v_cmp_eq_u32_e64 s4, 6, v66
	s_delay_alu instid0(VALU_DEP_2) | instskip(SKIP_1) | instid1(VALU_DEP_1)
	v_cndmask_b32_e32 v93, v93, v95, vcc_lo
	v_div_scale_f32 v94, s5, 1.0, v90, 1.0
	s_mov_b32 vcc_lo, s5
	s_delay_alu instid0(VALU_DEP_2) | instskip(NEXT) | instid1(VALU_DEP_2)
	v_cndmask_b32_e64 v82, v93, v82, s4
	v_mul_f32_e32 v96, v94, v92
	s_mov_b32 s4, exec_lo
	s_delay_alu instid0(VALU_DEP_2) | instskip(NEXT) | instid1(VALU_DEP_2)
	v_cndmask_b32_e64 v82, v82, v89, s6
	v_fma_f32 v98, -v91, v96, v94
	s_delay_alu instid0(VALU_DEP_1) | instskip(NEXT) | instid1(VALU_DEP_1)
	v_fmac_f32_e32 v96, v98, v92
	v_fma_f32 v91, -v91, v96, v94
	s_delay_alu instid0(VALU_DEP_1) | instskip(NEXT) | instid1(VALU_DEP_1)
	v_div_fmas_f32 v91, v91, v92, v96
	v_div_fixup_f32 v90, v91, v90, 1.0
	s_delay_alu instid0(VALU_DEP_1) | instskip(NEXT) | instid1(VALU_DEP_1)
	v_mul_f32_e32 v82, v82, v90
	v_mul_f32_e32 v87, v82, v87
	;; [unrolled: 1-line block ×7, first 2 shown]
	v_dual_mul_f32 v86, v82, v83 :: v_dual_and_b32 v91, 0x7f800000, v90
	v_mul_f32_e32 v85, v82, v76
                                        ; implicit-def: $vgpr76
	s_delay_alu instid0(VALU_DEP_2)
	v_cmpx_ne_u32_e32 0x7f800000, v91
	s_xor_b32 s4, exec_lo, s4
; %bb.13:
	v_bfe_u32 v76, v90, 16, 1
	s_delay_alu instid0(VALU_DEP_1)
	v_add3_u32 v76, v90, v76, 0x7fff
                                        ; implicit-def: $vgpr90
; %bb.14:
	s_and_not1_saveexec_b32 s4, s4
; %bb.15:
	v_and_b32_e32 v76, 0xffff, v90
	v_or_b32_e32 v83, 0x10000, v90
	s_delay_alu instid0(VALU_DEP_2) | instskip(NEXT) | instid1(VALU_DEP_2)
	v_cmp_eq_u32_e32 vcc_lo, 0, v76
	v_cndmask_b32_e32 v76, v83, v90, vcc_lo
; %bb.16:
	s_or_b32 exec_lo, exec_lo, s4
	v_and_b32_e32 v83, 0x7f800000, v85
	s_delay_alu instid0(VALU_DEP_1) | instskip(SKIP_1) | instid1(SALU_CYCLE_1)
	v_cmp_ne_u32_e32 vcc_lo, 0x7f800000, v83
                                        ; implicit-def: $vgpr83
	s_and_saveexec_b32 s4, vcc_lo
	s_xor_b32 s4, exec_lo, s4
; %bb.17:
	v_bfe_u32 v83, v85, 16, 1
	s_delay_alu instid0(VALU_DEP_1)
	v_add3_u32 v83, v85, v83, 0x7fff
                                        ; implicit-def: $vgpr85
; %bb.18:
	s_and_not1_saveexec_b32 s4, s4
; %bb.19:
	v_and_b32_e32 v83, 0xffff, v85
	v_or_b32_e32 v90, 0x10000, v85
	s_delay_alu instid0(VALU_DEP_2) | instskip(NEXT) | instid1(VALU_DEP_2)
	v_cmp_eq_u32_e32 vcc_lo, 0, v83
	v_cndmask_b32_e32 v83, v90, v85, vcc_lo
; %bb.20:
	s_or_b32 exec_lo, exec_lo, s4
	v_and_b32_e32 v85, 0x7f800000, v86
	s_delay_alu instid0(VALU_DEP_1) | instskip(SKIP_1) | instid1(SALU_CYCLE_1)
	v_cmp_ne_u32_e32 vcc_lo, 0x7f800000, v85
                                        ; implicit-def: $vgpr85
	s_and_saveexec_b32 s4, vcc_lo
	s_xor_b32 s4, exec_lo, s4
; %bb.21:
	v_bfe_u32 v85, v86, 16, 1
	s_delay_alu instid0(VALU_DEP_1)
	v_add3_u32 v85, v86, v85, 0x7fff
                                        ; implicit-def: $vgpr86
; %bb.22:
	s_and_not1_saveexec_b32 s4, s4
; %bb.23:
	v_and_b32_e32 v85, 0xffff, v86
	v_or_b32_e32 v90, 0x10000, v86
	s_delay_alu instid0(VALU_DEP_2) | instskip(NEXT) | instid1(VALU_DEP_2)
	v_cmp_eq_u32_e32 vcc_lo, 0, v85
	v_cndmask_b32_e32 v85, v90, v86, vcc_lo
; %bb.24:
	s_or_b32 exec_lo, exec_lo, s4
	v_and_b32_e32 v86, 0x7f800000, v89
	s_delay_alu instid0(VALU_DEP_1) | instskip(SKIP_1) | instid1(SALU_CYCLE_1)
	v_cmp_ne_u32_e32 vcc_lo, 0x7f800000, v86
                                        ; implicit-def: $vgpr86
	s_and_saveexec_b32 s4, vcc_lo
	s_xor_b32 s4, exec_lo, s4
; %bb.25:
	v_bfe_u32 v86, v89, 16, 1
	s_delay_alu instid0(VALU_DEP_1)
	v_add3_u32 v86, v89, v86, 0x7fff
                                        ; implicit-def: $vgpr89
; %bb.26:
	s_and_not1_saveexec_b32 s4, s4
; %bb.27:
	v_and_b32_e32 v86, 0xffff, v89
	v_or_b32_e32 v90, 0x10000, v89
	s_delay_alu instid0(VALU_DEP_2) | instskip(NEXT) | instid1(VALU_DEP_2)
	v_cmp_eq_u32_e32 vcc_lo, 0, v86
	v_cndmask_b32_e32 v86, v90, v89, vcc_lo
; %bb.28:
	s_or_b32 exec_lo, exec_lo, s4
	v_and_b32_e32 v89, 0x7f800000, v88
	s_delay_alu instid0(VALU_DEP_1) | instskip(SKIP_1) | instid1(SALU_CYCLE_1)
	v_cmp_ne_u32_e32 vcc_lo, 0x7f800000, v89
                                        ; implicit-def: $vgpr89
	s_and_saveexec_b32 s4, vcc_lo
	s_xor_b32 s4, exec_lo, s4
; %bb.29:
	v_bfe_u32 v89, v88, 16, 1
	s_delay_alu instid0(VALU_DEP_1)
	v_add3_u32 v89, v88, v89, 0x7fff
                                        ; implicit-def: $vgpr88
; %bb.30:
	s_and_not1_saveexec_b32 s4, s4
; %bb.31:
	v_and_b32_e32 v89, 0xffff, v88
	v_or_b32_e32 v90, 0x10000, v88
	s_delay_alu instid0(VALU_DEP_2) | instskip(NEXT) | instid1(VALU_DEP_2)
	v_cmp_eq_u32_e32 vcc_lo, 0, v89
	v_cndmask_b32_e32 v89, v90, v88, vcc_lo
; %bb.32:
	s_or_b32 exec_lo, exec_lo, s4
	v_and_b32_e32 v88, 0x7f800000, v87
	s_delay_alu instid0(VALU_DEP_1) | instskip(SKIP_1) | instid1(SALU_CYCLE_1)
	v_cmp_ne_u32_e32 vcc_lo, 0x7f800000, v88
                                        ; implicit-def: $vgpr88
	s_and_saveexec_b32 s4, vcc_lo
	s_xor_b32 s4, exec_lo, s4
; %bb.33:
	v_bfe_u32 v88, v87, 16, 1
	s_delay_alu instid0(VALU_DEP_1)
	v_add3_u32 v88, v87, v88, 0x7fff
                                        ; implicit-def: $vgpr87
; %bb.34:
	s_and_not1_saveexec_b32 s4, s4
; %bb.35:
	v_and_b32_e32 v88, 0xffff, v87
	v_or_b32_e32 v90, 0x10000, v87
	s_delay_alu instid0(VALU_DEP_2) | instskip(NEXT) | instid1(VALU_DEP_2)
	v_cmp_eq_u32_e32 vcc_lo, 0, v88
	v_cndmask_b32_e32 v88, v90, v87, vcc_lo
; %bb.36:
	s_or_b32 exec_lo, exec_lo, s4
	v_and_b32_e32 v87, 0x7f800000, v84
	s_delay_alu instid0(VALU_DEP_1) | instskip(SKIP_1) | instid1(SALU_CYCLE_1)
	v_cmp_ne_u32_e32 vcc_lo, 0x7f800000, v87
                                        ; implicit-def: $vgpr87
	s_and_saveexec_b32 s4, vcc_lo
	s_xor_b32 s4, exec_lo, s4
; %bb.37:
	v_bfe_u32 v87, v84, 16, 1
	s_delay_alu instid0(VALU_DEP_1)
	v_add3_u32 v87, v84, v87, 0x7fff
                                        ; implicit-def: $vgpr84
; %bb.38:
	s_and_not1_saveexec_b32 s4, s4
; %bb.39:
	v_and_b32_e32 v87, 0xffff, v84
	v_or_b32_e32 v90, 0x10000, v84
	s_delay_alu instid0(VALU_DEP_2) | instskip(NEXT) | instid1(VALU_DEP_2)
	v_cmp_eq_u32_e32 vcc_lo, 0, v87
	v_cndmask_b32_e32 v87, v90, v84, vcc_lo
; %bb.40:
	s_or_b32 exec_lo, exec_lo, s4
	v_and_b32_e32 v84, 0x7f800000, v80
	s_delay_alu instid0(VALU_DEP_1) | instskip(SKIP_1) | instid1(SALU_CYCLE_1)
	v_cmp_ne_u32_e32 vcc_lo, 0x7f800000, v84
                                        ; implicit-def: $vgpr84
	s_and_saveexec_b32 s4, vcc_lo
	s_xor_b32 s4, exec_lo, s4
; %bb.41:
	v_bfe_u32 v84, v80, 16, 1
	s_delay_alu instid0(VALU_DEP_1)
	v_add3_u32 v84, v80, v84, 0x7fff
                                        ; implicit-def: $vgpr80
; %bb.42:
	s_and_not1_saveexec_b32 s4, s4
; %bb.43:
	v_and_b32_e32 v84, 0xffff, v80
	v_or_b32_e32 v90, 0x10000, v80
	s_delay_alu instid0(VALU_DEP_2) | instskip(NEXT) | instid1(VALU_DEP_2)
	v_cmp_eq_u32_e32 vcc_lo, 0, v84
	v_cndmask_b32_e32 v84, v90, v80, vcc_lo
; %bb.44:
	s_or_b32 exec_lo, exec_lo, s4
	s_load_b64 s[36:37], s[0:1], 0x94
	v_lshlrev_b32_e32 v91, 4, v74
	s_delay_alu instid0(VALU_DEP_2)
	v_perm_b32 v90, v84, v87, 0x7060302
	v_dual_mul_f32 v79, v82, v79 :: v_dual_lshlrev_b32 v80, 6, v65
	v_dual_mul_f32 v77, v82, v77 :: v_dual_lshlrev_b32 v92, 11, v66
	v_mul_f32_e32 v84, v82, v70
	v_perm_b32 v89, v88, v89, 0x7060302
	v_perm_b32 v88, v86, v85, 0x7060302
	;; [unrolled: 1-line block ×3, first 2 shown]
	v_mul_f32_e32 v70, v82, v81
	v_or3_b32 v76, v91, v92, v80
	v_dual_mul_f32 v78, v82, v78 :: v_dual_and_b32 v85, 0x7f800000, v84
	v_mul_f32_e32 v83, v82, v72
	v_mul_f32_e32 v81, v82, v71
	;; [unrolled: 1-line block ×3, first 2 shown]
	s_mov_b32 s4, exec_lo
	ds_store_b128 v76, v[87:90]
                                        ; implicit-def: $vgpr69
	v_cmpx_ne_u32_e32 0x7f800000, v85
	s_xor_b32 s4, exec_lo, s4
; %bb.45:
	v_bfe_u32 v69, v84, 16, 1
	s_delay_alu instid0(VALU_DEP_1)
	v_add3_u32 v69, v84, v69, 0x7fff
                                        ; implicit-def: $vgpr84
; %bb.46:
	s_and_not1_saveexec_b32 s4, s4
; %bb.47:
	v_and_b32_e32 v69, 0xffff, v84
	v_or_b32_e32 v71, 0x10000, v84
	s_delay_alu instid0(VALU_DEP_2) | instskip(NEXT) | instid1(VALU_DEP_2)
	v_cmp_eq_u32_e32 vcc_lo, 0, v69
	v_cndmask_b32_e32 v69, v71, v84, vcc_lo
; %bb.48:
	s_or_b32 exec_lo, exec_lo, s4
	v_and_b32_e32 v71, 0x7f800000, v72
	s_delay_alu instid0(VALU_DEP_1) | instskip(SKIP_1) | instid1(SALU_CYCLE_1)
	v_cmp_ne_u32_e32 vcc_lo, 0x7f800000, v71
                                        ; implicit-def: $vgpr71
	s_and_saveexec_b32 s4, vcc_lo
	s_xor_b32 s4, exec_lo, s4
; %bb.49:
	v_bfe_u32 v71, v72, 16, 1
	s_delay_alu instid0(VALU_DEP_1)
	v_add3_u32 v71, v72, v71, 0x7fff
                                        ; implicit-def: $vgpr72
; %bb.50:
	s_and_not1_saveexec_b32 s4, s4
; %bb.51:
	v_and_b32_e32 v71, 0xffff, v72
	v_or_b32_e32 v82, 0x10000, v72
	s_delay_alu instid0(VALU_DEP_2) | instskip(NEXT) | instid1(VALU_DEP_2)
	v_cmp_eq_u32_e32 vcc_lo, 0, v71
	v_cndmask_b32_e32 v71, v82, v72, vcc_lo
; %bb.52:
	s_or_b32 exec_lo, exec_lo, s4
	v_and_b32_e32 v72, 0x7f800000, v81
	s_delay_alu instid0(VALU_DEP_1) | instskip(SKIP_1) | instid1(SALU_CYCLE_1)
	v_cmp_ne_u32_e32 vcc_lo, 0x7f800000, v72
                                        ; implicit-def: $vgpr72
	s_and_saveexec_b32 s4, vcc_lo
	s_xor_b32 s4, exec_lo, s4
; %bb.53:
	v_bfe_u32 v72, v81, 16, 1
	s_delay_alu instid0(VALU_DEP_1)
	v_add3_u32 v72, v81, v72, 0x7fff
                                        ; implicit-def: $vgpr81
; %bb.54:
	s_and_not1_saveexec_b32 s4, s4
; %bb.55:
	v_and_b32_e32 v72, 0xffff, v81
	v_or_b32_e32 v82, 0x10000, v81
	s_delay_alu instid0(VALU_DEP_2) | instskip(NEXT) | instid1(VALU_DEP_2)
	v_cmp_eq_u32_e32 vcc_lo, 0, v72
	v_cndmask_b32_e32 v72, v82, v81, vcc_lo
; %bb.56:
	s_or_b32 exec_lo, exec_lo, s4
	v_and_b32_e32 v81, 0x7f800000, v83
	s_delay_alu instid0(VALU_DEP_1) | instskip(SKIP_1) | instid1(SALU_CYCLE_1)
	v_cmp_ne_u32_e32 vcc_lo, 0x7f800000, v81
                                        ; implicit-def: $vgpr81
	s_and_saveexec_b32 s4, vcc_lo
	s_xor_b32 s4, exec_lo, s4
; %bb.57:
	v_bfe_u32 v81, v83, 16, 1
	s_delay_alu instid0(VALU_DEP_1)
	v_add3_u32 v81, v83, v81, 0x7fff
                                        ; implicit-def: $vgpr83
; %bb.58:
	s_and_not1_saveexec_b32 s4, s4
; %bb.59:
	v_and_b32_e32 v81, 0xffff, v83
	v_or_b32_e32 v82, 0x10000, v83
	s_delay_alu instid0(VALU_DEP_2) | instskip(NEXT) | instid1(VALU_DEP_2)
	v_cmp_eq_u32_e32 vcc_lo, 0, v81
	v_cndmask_b32_e32 v81, v82, v83, vcc_lo
; %bb.60:
	s_or_b32 exec_lo, exec_lo, s4
	v_and_b32_e32 v82, 0x7f800000, v77
	s_delay_alu instid0(VALU_DEP_1) | instskip(SKIP_1) | instid1(SALU_CYCLE_1)
	v_cmp_ne_u32_e32 vcc_lo, 0x7f800000, v82
                                        ; implicit-def: $vgpr82
	s_and_saveexec_b32 s4, vcc_lo
	s_xor_b32 s4, exec_lo, s4
; %bb.61:
	v_bfe_u32 v82, v77, 16, 1
	s_delay_alu instid0(VALU_DEP_1)
	v_add3_u32 v82, v77, v82, 0x7fff
                                        ; implicit-def: $vgpr77
; %bb.62:
	s_and_not1_saveexec_b32 s4, s4
; %bb.63:
	v_and_b32_e32 v82, 0xffff, v77
	v_or_b32_e32 v83, 0x10000, v77
	s_delay_alu instid0(VALU_DEP_2) | instskip(NEXT) | instid1(VALU_DEP_2)
	v_cmp_eq_u32_e32 vcc_lo, 0, v82
	v_cndmask_b32_e32 v82, v83, v77, vcc_lo
; %bb.64:
	s_or_b32 exec_lo, exec_lo, s4
	v_and_b32_e32 v77, 0x7f800000, v78
	s_delay_alu instid0(VALU_DEP_1) | instskip(SKIP_1) | instid1(SALU_CYCLE_1)
	v_cmp_ne_u32_e32 vcc_lo, 0x7f800000, v77
                                        ; implicit-def: $vgpr77
	s_and_saveexec_b32 s4, vcc_lo
	s_xor_b32 s4, exec_lo, s4
; %bb.65:
	v_bfe_u32 v77, v78, 16, 1
	s_delay_alu instid0(VALU_DEP_1)
	v_add3_u32 v77, v78, v77, 0x7fff
                                        ; implicit-def: $vgpr78
; %bb.66:
	s_and_not1_saveexec_b32 s4, s4
; %bb.67:
	v_and_b32_e32 v77, 0xffff, v78
	v_or_b32_e32 v83, 0x10000, v78
	s_delay_alu instid0(VALU_DEP_2) | instskip(NEXT) | instid1(VALU_DEP_2)
	v_cmp_eq_u32_e32 vcc_lo, 0, v77
	v_cndmask_b32_e32 v77, v83, v78, vcc_lo
; %bb.68:
	s_or_b32 exec_lo, exec_lo, s4
	v_and_b32_e32 v78, 0x7f800000, v79
	s_delay_alu instid0(VALU_DEP_1) | instskip(SKIP_1) | instid1(SALU_CYCLE_1)
	v_cmp_ne_u32_e32 vcc_lo, 0x7f800000, v78
                                        ; implicit-def: $vgpr78
	s_and_saveexec_b32 s4, vcc_lo
	s_xor_b32 s4, exec_lo, s4
; %bb.69:
	v_bfe_u32 v78, v79, 16, 1
	s_delay_alu instid0(VALU_DEP_1)
	v_add3_u32 v78, v79, v78, 0x7fff
                                        ; implicit-def: $vgpr79
; %bb.70:
	s_and_not1_saveexec_b32 s4, s4
; %bb.71:
	v_and_b32_e32 v78, 0xffff, v79
	v_or_b32_e32 v83, 0x10000, v79
	s_delay_alu instid0(VALU_DEP_2) | instskip(NEXT) | instid1(VALU_DEP_2)
	v_cmp_eq_u32_e32 vcc_lo, 0, v78
	v_cndmask_b32_e32 v78, v83, v79, vcc_lo
; %bb.72:
	s_or_b32 exec_lo, exec_lo, s4
	v_and_b32_e32 v79, 0x7f800000, v70
	s_delay_alu instid0(VALU_DEP_1) | instskip(SKIP_1) | instid1(SALU_CYCLE_1)
	v_cmp_ne_u32_e32 vcc_lo, 0x7f800000, v79
                                        ; implicit-def: $vgpr79
	s_and_saveexec_b32 s4, vcc_lo
	s_xor_b32 s4, exec_lo, s4
; %bb.73:
	v_bfe_u32 v79, v70, 16, 1
	s_delay_alu instid0(VALU_DEP_1)
	v_add3_u32 v79, v70, v79, 0x7fff
                                        ; implicit-def: $vgpr70
; %bb.74:
	s_and_not1_saveexec_b32 s4, s4
; %bb.75:
	v_and_b32_e32 v79, 0xffff, v70
	v_or_b32_e32 v83, 0x10000, v70
	s_delay_alu instid0(VALU_DEP_2) | instskip(NEXT) | instid1(VALU_DEP_2)
	v_cmp_eq_u32_e32 vcc_lo, 0, v79
	v_cndmask_b32_e32 v79, v83, v70, vcc_lo
; %bb.76:
	s_or_b32 exec_lo, exec_lo, s4
	s_delay_alu instid0(VALU_DEP_1)
	v_perm_b32 v86, v79, v78, 0x7060302
	v_perm_b32 v85, v77, v82, 0x7060302
	;; [unrolled: 1-line block ×4, first 2 shown]
	v_lshl_or_b32 v82, v66, 11, v80
	ds_store_b128 v76, v[83:86] offset:1024
	s_waitcnt lgkmcnt(0)
	s_barrier
	buffer_gl0_inv
	ds_load_b128 v[69:72], v82
	ds_load_b128 v[83:86], v82 offset:16
	s_waitcnt lgkmcnt(1)
	v_lshrrev_b32_e32 v66, 16, v69
	s_waitcnt lgkmcnt(0)
	v_lshrrev_b32_e32 v91, 16, v83
	v_lshlrev_b32_e32 v78, 2, v74
	v_lshrrev_b32_e32 v95, 16, v70
	v_lshrrev_b32_e32 v98, 16, v84
	;; [unrolled: 1-line block ×4, first 2 shown]
	v_cmp_eq_u32_e32 vcc_lo, 1, v78
	v_lshrrev_b32_e32 v97, 16, v72
	v_lshrrev_b32_e32 v100, 16, v86
	v_cndmask_b32_e32 v87, v83, v91, vcc_lo
	v_or_b32_e32 v79, 1, v78
	v_cndmask_b32_e32 v81, v69, v66, vcc_lo
	v_cmp_eq_u32_e64 s5, 2, v78
	v_cmp_eq_u32_e64 s8, 3, v78
	;; [unrolled: 1-line block ×5, first 2 shown]
	v_cndmask_b32_e64 v81, v81, v70, s5
	v_cndmask_b32_e64 v87, v87, v84, s5
	v_cmp_eq_u32_e64 s9, 3, v79
	v_cndmask_b32_e64 v88, v69, v66, s4
	v_or_b32_e32 v77, 2, v78
	v_cndmask_b32_e64 v81, v81, v95, s8
	v_cndmask_b32_e64 v87, v87, v98, s8
	v_cndmask_b32_e64 v89, v83, v91, s4
	v_cndmask_b32_e64 v88, v88, v70, s7
	v_cmp_eq_u32_e64 s11, 5, v78
	v_cndmask_b32_e64 v81, v81, v71, s10
	v_cndmask_b32_e64 v87, v87, v85, s10
	v_cmp_eq_u32_e64 s12, 4, v79
	v_cndmask_b32_e64 v88, v88, v95, s9
	v_cmp_eq_u32_e64 s6, 1, v77
	v_cndmask_b32_e64 v89, v89, v84, s7
	v_cndmask_b32_e64 v81, v81, v96, s11
	v_cmp_eq_u32_e64 s13, 6, v78
	v_cndmask_b32_e64 v88, v88, v71, s12
	;; [unrolled: 3-line block ×3, first 2 shown]
	v_cndmask_b32_e64 v89, v89, v98, s9
	v_cndmask_b32_e64 v81, v81, v72, s13
	v_cmp_eq_u32_e64 s16, 7, v78
	v_cndmask_b32_e64 v88, v88, v96, s15
	v_cndmask_b32_e64 v87, v87, v86, s13
	v_cmp_eq_u32_e64 s17, 6, v79
	v_cmp_eq_u32_e64 s18, 2, v77
	v_cndmask_b32_e64 v89, v89, v85, s12
	v_cndmask_b32_e64 v101, v81, v97, s16
	;; [unrolled: 1-line block ×6, first 2 shown]
	v_cmp_eq_u32_e64 s19, 7, v79
	v_cmp_eq_u32_e64 s20, 3, v77
	;; [unrolled: 1-line block ×4, first 2 shown]
	v_cndmask_b32_e64 v87, v87, v84, s18
	v_cndmask_b32_e64 v103, v88, v97, s19
	;; [unrolled: 1-line block ×4, first 2 shown]
	v_or_b32_e32 v81, 3, v78
	v_cndmask_b32_e64 v93, v87, v98, s20
	v_cmp_eq_u32_e64 s25, 6, v77
	v_cndmask_b32_e64 v104, v88, v86, s17
	v_cndmask_b32_e64 v92, v89, v71, s21
	v_cmp_eq_u32_e64 s22, 1, v81
	ds_load_b128 v[87:90], v82 offset:1024
	v_cmp_eq_u32_e64 s24, 2, v81
	v_cmp_eq_u32_e64 s26, 3, v81
	v_cndmask_b32_e64 v105, v92, v96, s23
	v_cndmask_b32_e64 v66, v69, v66, s22
	;; [unrolled: 1-line block ×4, first 2 shown]
	ds_load_b128 v[91:94], v82 offset:1040
	v_cmp_eq_u32_e64 s27, 4, v81
	v_cndmask_b32_e64 v66, v66, v70, s24
	v_cmp_eq_u32_e64 s28, 7, v77
	v_cndmask_b32_e64 v70, v83, v84, s24
	v_cndmask_b32_e64 v84, v105, v72, s25
	v_cmp_eq_u32_e64 s29, 5, v81
	v_cndmask_b32_e64 v66, v66, v95, s26
	v_cmp_eq_u32_e64 s30, 6, v81
	v_cndmask_b32_e64 v70, v70, v98, s26
	v_cndmask_b32_e64 v69, v69, v99, s23
	v_cndmask_b32_e64 v83, v104, v100, s19
	v_cndmask_b32_e64 v66, v66, v71, s27
	s_waitcnt lgkmcnt(1)
	v_lshrrev_b32_e32 v95, 16, v87
	v_cndmask_b32_e64 v70, v70, v85, s27
	v_cndmask_b32_e64 v71, v84, v97, s28
	;; [unrolled: 1-line block ×4, first 2 shown]
	v_cndmask_b32_e32 v84, v87, v95, vcc_lo
	v_cndmask_b32_e64 v70, v70, v99, s29
	s_waitcnt lgkmcnt(0)
	v_lshrrev_b32_e32 v85, 16, v91
	v_lshrrev_b32_e32 v96, 16, v88
	v_cndmask_b32_e64 v98, v87, v95, s4
	v_cndmask_b32_e64 v84, v84, v88, s5
	;; [unrolled: 1-line block ×3, first 2 shown]
	v_cndmask_b32_e32 v99, v91, v85, vcc_lo
	v_cmp_eq_u32_e32 vcc_lo, 7, v81
	v_cndmask_b32_e64 v66, v66, v72, s30
	v_cndmask_b32_e64 v72, v84, v96, s8
	;; [unrolled: 1-line block ×3, first 2 shown]
	v_lshrrev_b32_e32 v98, 16, v92
	v_cndmask_b32_e32 v70, v70, v100, vcc_lo
	v_cndmask_b32_e64 v86, v99, v92, s5
	v_cndmask_b32_e64 v69, v69, v100, s28
	v_lshrrev_b32_e32 v100, 16, v93
	v_cndmask_b32_e64 v72, v72, v89, s10
	v_lshrrev_b32_e32 v99, 16, v89
	v_cndmask_b32_e64 v86, v86, v98, s8
	v_perm_b32 v71, v69, v71, 0x5040100
	v_cndmask_b32_e64 v84, v84, v96, s9
	s_delay_alu instid0(VALU_DEP_3) | instskip(NEXT) | instid1(VALU_DEP_2)
	v_cndmask_b32_e64 v86, v86, v93, s10
	v_cndmask_b32_e64 v84, v84, v89, s12
	s_delay_alu instid0(VALU_DEP_2) | instskip(NEXT) | instid1(VALU_DEP_1)
	v_cndmask_b32_e64 v86, v86, v100, s11
	v_cndmask_b32_e64 v69, v86, v94, s13
	;; [unrolled: 1-line block ×5, first 2 shown]
	s_delay_alu instid0(VALU_DEP_3) | instskip(NEXT) | instid1(VALU_DEP_3)
	v_cndmask_b32_e64 v86, v86, v88, s18
	v_cndmask_b32_e64 v87, v87, v88, s24
	s_delay_alu instid0(VALU_DEP_3) | instskip(NEXT) | instid1(VALU_DEP_3)
	v_cndmask_b32_e64 v88, v95, v92, s24
	v_cndmask_b32_e64 v86, v86, v96, s20
	;; [unrolled: 3-line block ×7, first 2 shown]
	s_delay_alu instid0(VALU_DEP_3) | instskip(SKIP_2) | instid1(VALU_DEP_2)
	v_cndmask_b32_e64 v88, v88, v94, s30
	v_cndmask_b32_e32 v66, v66, v97, vcc_lo
	v_cndmask_b32_e64 v97, v72, v99, s11
	v_perm_b32 v72, v70, v66, 0x5040100
	v_perm_b32 v70, v83, v103, 0x5040100
	v_cndmask_b32_e64 v103, v91, v85, s6
	v_cndmask_b32_e64 v85, v91, v85, s4
	v_cndmask_b32_e64 v66, v84, v99, s15
	v_cndmask_b32_e64 v84, v97, v90, s13
	v_lshrrev_b32_e32 v97, 16, v90
	v_cndmask_b32_e64 v91, v103, v92, s18
	v_cndmask_b32_e64 v85, v85, v92, s7
	;; [unrolled: 1-line block ×3, first 2 shown]
	s_mov_b32 s4, exec_lo
	v_cndmask_b32_e64 v83, v84, v97, s16
	v_cndmask_b32_e64 v91, v91, v98, s20
	;; [unrolled: 1-line block ×3, first 2 shown]
	v_lshrrev_b32_e32 v84, 16, v94
	v_cndmask_b32_e64 v66, v66, v97, s19
	v_cndmask_b32_e64 v90, v86, v97, s28
	;; [unrolled: 1-line block ×4, first 2 shown]
	v_dual_cndmask_b32 v86, v87, v97 :: v_dual_cndmask_b32 v87, v88, v84
	v_cndmask_b32_e64 v91, v69, v84, s16
	s_delay_alu instid0(VALU_DEP_4) | instskip(NEXT) | instid1(VALU_DEP_4)
	v_cndmask_b32_e64 v89, v89, v100, s23
	v_cndmask_b32_e64 v85, v85, v100, s15
	v_perm_b32 v69, v102, v101, 0x5040100
	v_perm_b32 v86, v87, v86, 0x5040100
	;; [unrolled: 1-line block ×3, first 2 shown]
	v_cndmask_b32_e64 v89, v89, v94, s25
	v_cndmask_b32_e64 v85, v85, v94, s17
	s_mul_i32 s9, s37, 15
	s_delay_alu instid0(VALU_DEP_2) | instskip(NEXT) | instid1(VALU_DEP_2)
	v_cndmask_b32_e64 v88, v89, v84, s28
	v_cndmask_b32_e64 v89, v85, v84, s19
	s_delay_alu instid0(VALU_DEP_2) | instskip(NEXT) | instid1(VALU_DEP_2)
	v_perm_b32 v85, v88, v90, 0x5040100
	v_perm_b32 v84, v89, v66, 0x5040100
	ds_store_b128 v76, v[69:72]
	ds_store_b128 v76, v[83:86] offset:1024
	v_cmpx_gt_u32_e32 15, v0
	s_cbranch_execz .LBB1480_78
; %bb.77:
	s_mul_i32 s5, s9, s34
	s_load_b128 s[16:19], s[0:1], 0x58
	v_add3_u32 v69, s5, s31, v65
	s_delay_alu instid0(VALU_DEP_1) | instskip(NEXT) | instid1(VALU_DEP_1)
	v_mad_u64_u32 v[65:66], null, v69, s36, s[14:15]
	v_ashrrev_i32_e32 v66, 31, v65
	s_delay_alu instid0(VALU_DEP_1) | instskip(SKIP_1) | instid1(VALU_DEP_1)
	v_lshlrev_b64 v[65:66], 2, v[65:66]
	s_waitcnt lgkmcnt(0)
	v_add_co_u32 v69, vcc_lo, s18, v65
	s_delay_alu instid0(VALU_DEP_2)
	v_add_co_ci_u32_e32 v70, vcc_lo, s19, v66, vcc_lo
	v_add_co_u32 v65, vcc_lo, s16, v65
	v_add_co_ci_u32_e32 v66, vcc_lo, s17, v66, vcc_lo
	global_store_b32 v[69:70], v67, off
	global_store_b32 v[65:66], v68, off
.LBB1480_78:
	s_or_b32 exec_lo, exec_lo, s4
	s_waitcnt lgkmcnt(0)
	s_waitcnt_vscnt null, 0x0
	s_barrier
	buffer_gl0_inv
	ds_load_b128 v[83:86], v80
	ds_load_b128 v[87:90], v80 offset:16
	ds_load_b128 v[95:98], v80 offset:2064
	;; [unrolled: 1-line block ×3, first 2 shown]
	v_mov_b32_e32 v65, 0
	ds_load_b128 v[103:106], v80 offset:4112
	ds_load_b128 v[99:102], v80 offset:4096
	;; [unrolled: 1-line block ×4, first 2 shown]
	v_mov_b32_e32 v66, v65
	v_mov_b32_e32 v67, v65
	;; [unrolled: 1-line block ×7, first 2 shown]
	s_waitcnt lgkmcnt(6)
	s_delay_alu instid0(VALU_DEP_1)
	v_wmma_f32_16x16x16_bf16 v[65:72], v[57:64], v[83:90], v[65:72]
	ds_load_b128 v[61:64], v80 offset:8208
	ds_load_b128 v[57:60], v80 offset:8192
	s_waitcnt lgkmcnt(6)
	v_wmma_f32_16x16x16_bf16 v[65:72], v[41:48], v[91:98], v[65:72]
	ds_load_b128 v[45:48], v80 offset:10256
	ds_load_b128 v[41:44], v80 offset:10240
	s_waitcnt lgkmcnt(6)
	;; [unrolled: 4-line block ×4, first 2 shown]
	v_wmma_f32_16x16x16_bf16 v[65:72], v[1:8], v[57:64], v[65:72]
	s_waitcnt lgkmcnt(4)
	s_delay_alu instid0(VALU_DEP_1) | instskip(SKIP_1) | instid1(VALU_DEP_1)
	v_wmma_f32_16x16x16_bf16 v[65:72], v[9:16], v[41:48], v[65:72]
	s_waitcnt lgkmcnt(2)
	v_wmma_f32_16x16x16_bf16 v[65:72], v[17:24], v[33:40], v[65:72]
	s_waitcnt lgkmcnt(0)
	s_delay_alu instid0(VALU_DEP_1) | instskip(NEXT) | instid1(VALU_DEP_1)
	v_wmma_f32_16x16x16_bf16 v[65:72], v[49:56], v[25:32], v[65:72]
	v_and_b32_e32 v1, 0x7f800000, v65
	s_delay_alu instid0(VALU_DEP_1) | instskip(SKIP_1) | instid1(SALU_CYCLE_1)
	v_cmp_ne_u32_e32 vcc_lo, 0x7f800000, v1
                                        ; implicit-def: $vgpr1
	s_and_saveexec_b32 s4, vcc_lo
	s_xor_b32 s4, exec_lo, s4
; %bb.79:
	v_bfe_u32 v1, v65, 16, 1
	s_delay_alu instid0(VALU_DEP_1)
	v_add3_u32 v1, v65, v1, 0x7fff
; %bb.80:
	s_and_not1_saveexec_b32 s4, s4
; %bb.81:
	v_and_b32_e32 v1, 0xffff, v65
	v_or_b32_e32 v2, 0x10000, v65
	s_delay_alu instid0(VALU_DEP_2) | instskip(NEXT) | instid1(VALU_DEP_2)
	v_cmp_eq_u32_e32 vcc_lo, 0, v1
	v_cndmask_b32_e32 v1, v2, v65, vcc_lo
; %bb.82:
	s_or_b32 exec_lo, exec_lo, s4
	v_and_b32_e32 v2, 0x7f800000, v66
	s_delay_alu instid0(VALU_DEP_1) | instskip(SKIP_1) | instid1(SALU_CYCLE_1)
	v_cmp_ne_u32_e32 vcc_lo, 0x7f800000, v2
                                        ; implicit-def: $vgpr2
	s_and_saveexec_b32 s4, vcc_lo
	s_xor_b32 s4, exec_lo, s4
; %bb.83:
	v_bfe_u32 v2, v66, 16, 1
	s_delay_alu instid0(VALU_DEP_1)
	v_add3_u32 v2, v66, v2, 0x7fff
; %bb.84:
	s_and_not1_saveexec_b32 s4, s4
; %bb.85:
	v_and_b32_e32 v2, 0xffff, v66
	v_or_b32_e32 v3, 0x10000, v66
	s_delay_alu instid0(VALU_DEP_2) | instskip(NEXT) | instid1(VALU_DEP_2)
	v_cmp_eq_u32_e32 vcc_lo, 0, v2
	v_cndmask_b32_e32 v2, v3, v66, vcc_lo
; %bb.86:
	s_or_b32 exec_lo, exec_lo, s4
	v_and_b32_e32 v3, 0x7f800000, v67
	s_delay_alu instid0(VALU_DEP_1) | instskip(SKIP_1) | instid1(SALU_CYCLE_1)
	v_cmp_ne_u32_e32 vcc_lo, 0x7f800000, v3
                                        ; implicit-def: $vgpr3
	s_and_saveexec_b32 s4, vcc_lo
	s_xor_b32 s4, exec_lo, s4
; %bb.87:
	v_bfe_u32 v3, v67, 16, 1
	s_delay_alu instid0(VALU_DEP_1)
	v_add3_u32 v3, v67, v3, 0x7fff
; %bb.88:
	s_and_not1_saveexec_b32 s4, s4
; %bb.89:
	v_and_b32_e32 v3, 0xffff, v67
	v_or_b32_e32 v4, 0x10000, v67
	s_delay_alu instid0(VALU_DEP_2) | instskip(NEXT) | instid1(VALU_DEP_2)
	v_cmp_eq_u32_e32 vcc_lo, 0, v3
	v_cndmask_b32_e32 v3, v4, v67, vcc_lo
; %bb.90:
	s_or_b32 exec_lo, exec_lo, s4
	v_and_b32_e32 v4, 0x7f800000, v68
	s_delay_alu instid0(VALU_DEP_1) | instskip(SKIP_1) | instid1(SALU_CYCLE_1)
	v_cmp_ne_u32_e32 vcc_lo, 0x7f800000, v4
                                        ; implicit-def: $vgpr4
	s_and_saveexec_b32 s4, vcc_lo
	s_xor_b32 s4, exec_lo, s4
; %bb.91:
	v_bfe_u32 v4, v68, 16, 1
	s_delay_alu instid0(VALU_DEP_1)
	v_add3_u32 v4, v68, v4, 0x7fff
; %bb.92:
	s_and_not1_saveexec_b32 s4, s4
; %bb.93:
	v_and_b32_e32 v4, 0xffff, v68
	v_or_b32_e32 v5, 0x10000, v68
	s_delay_alu instid0(VALU_DEP_2) | instskip(NEXT) | instid1(VALU_DEP_2)
	v_cmp_eq_u32_e32 vcc_lo, 0, v4
	v_cndmask_b32_e32 v4, v5, v68, vcc_lo
; %bb.94:
	s_or_b32 exec_lo, exec_lo, s4
	v_and_b32_e32 v5, 0x7f800000, v69
	s_delay_alu instid0(VALU_DEP_1) | instskip(SKIP_1) | instid1(SALU_CYCLE_1)
	v_cmp_ne_u32_e32 vcc_lo, 0x7f800000, v5
                                        ; implicit-def: $vgpr5
	s_and_saveexec_b32 s4, vcc_lo
	s_xor_b32 s4, exec_lo, s4
; %bb.95:
	v_bfe_u32 v5, v69, 16, 1
	s_delay_alu instid0(VALU_DEP_1)
	v_add3_u32 v5, v69, v5, 0x7fff
; %bb.96:
	s_and_not1_saveexec_b32 s4, s4
; %bb.97:
	v_and_b32_e32 v5, 0xffff, v69
	v_or_b32_e32 v6, 0x10000, v69
	s_delay_alu instid0(VALU_DEP_2) | instskip(NEXT) | instid1(VALU_DEP_2)
	v_cmp_eq_u32_e32 vcc_lo, 0, v5
	v_cndmask_b32_e32 v5, v6, v69, vcc_lo
; %bb.98:
	s_or_b32 exec_lo, exec_lo, s4
	v_and_b32_e32 v6, 0x7f800000, v70
	s_delay_alu instid0(VALU_DEP_1) | instskip(SKIP_1) | instid1(SALU_CYCLE_1)
	v_cmp_ne_u32_e32 vcc_lo, 0x7f800000, v6
                                        ; implicit-def: $vgpr6
	s_and_saveexec_b32 s4, vcc_lo
	s_xor_b32 s4, exec_lo, s4
; %bb.99:
	v_bfe_u32 v6, v70, 16, 1
	s_delay_alu instid0(VALU_DEP_1)
	v_add3_u32 v6, v70, v6, 0x7fff
; %bb.100:
	s_and_not1_saveexec_b32 s4, s4
; %bb.101:
	v_and_b32_e32 v6, 0xffff, v70
	v_or_b32_e32 v7, 0x10000, v70
	s_delay_alu instid0(VALU_DEP_2) | instskip(NEXT) | instid1(VALU_DEP_2)
	v_cmp_eq_u32_e32 vcc_lo, 0, v6
	v_cndmask_b32_e32 v6, v7, v70, vcc_lo
; %bb.102:
	s_or_b32 exec_lo, exec_lo, s4
	v_and_b32_e32 v7, 0x7f800000, v71
	s_delay_alu instid0(VALU_DEP_1) | instskip(SKIP_1) | instid1(SALU_CYCLE_1)
	v_cmp_ne_u32_e32 vcc_lo, 0x7f800000, v7
                                        ; implicit-def: $vgpr7
	s_and_saveexec_b32 s4, vcc_lo
	s_xor_b32 s4, exec_lo, s4
; %bb.103:
	v_bfe_u32 v7, v71, 16, 1
	s_delay_alu instid0(VALU_DEP_1)
	v_add3_u32 v7, v71, v7, 0x7fff
; %bb.104:
	s_and_not1_saveexec_b32 s4, s4
; %bb.105:
	v_and_b32_e32 v7, 0xffff, v71
	v_or_b32_e32 v8, 0x10000, v71
	s_delay_alu instid0(VALU_DEP_2) | instskip(NEXT) | instid1(VALU_DEP_2)
	v_cmp_eq_u32_e32 vcc_lo, 0, v7
	v_cndmask_b32_e32 v7, v8, v71, vcc_lo
; %bb.106:
	s_or_b32 exec_lo, exec_lo, s4
	v_and_b32_e32 v8, 0x7f800000, v72
	s_delay_alu instid0(VALU_DEP_1) | instskip(SKIP_1) | instid1(SALU_CYCLE_1)
	v_cmp_ne_u32_e32 vcc_lo, 0x7f800000, v8
                                        ; implicit-def: $vgpr8
	s_and_saveexec_b32 s4, vcc_lo
	s_xor_b32 s4, exec_lo, s4
; %bb.107:
	v_bfe_u32 v8, v72, 16, 1
	s_delay_alu instid0(VALU_DEP_1)
	v_add3_u32 v8, v72, v8, 0x7fff
                                        ; implicit-def: $vgpr65_vgpr66_vgpr67_vgpr68_vgpr69_vgpr70_vgpr71_vgpr72
; %bb.108:
	s_and_not1_saveexec_b32 s4, s4
; %bb.109:
	v_and_b32_e32 v8, 0xffff, v72
	v_or_b32_e32 v9, 0x10000, v72
	s_delay_alu instid0(VALU_DEP_2) | instskip(NEXT) | instid1(VALU_DEP_2)
	v_cmp_eq_u32_e32 vcc_lo, 0, v8
	v_cndmask_b32_e32 v8, v9, v72, vcc_lo
; %bb.110:
	s_or_b32 exec_lo, exec_lo, s4
	s_delay_alu instid0(VALU_DEP_1)
	v_perm_b32 v7, v8, v7, 0x7060302
	v_perm_b32 v6, v6, v5, 0x7060302
	;; [unrolled: 1-line block ×4, first 2 shown]
	s_barrier
	buffer_gl0_inv
	v_cmp_eq_u32_e32 vcc_lo, 1, v78
	ds_store_b128 v76, v[4:7]
	s_waitcnt lgkmcnt(0)
	s_barrier
	buffer_gl0_inv
	ds_load_b128 v[1:4], v82
	ds_load_b128 v[5:8], v82 offset:16
	v_cmp_eq_u32_e64 s4, 1, v79
	v_cmp_eq_u32_e64 s5, 2, v78
	;; [unrolled: 1-line block ×5, first 2 shown]
	s_waitcnt lgkmcnt(1)
	v_lshrrev_b32_e32 v9, 16, v1
	s_waitcnt lgkmcnt(0)
	v_lshrrev_b32_e32 v13, 16, v5
	v_lshrrev_b32_e32 v10, 16, v2
	;; [unrolled: 1-line block ×4, first 2 shown]
	v_cndmask_b32_e64 v19, v1, v9, s4
	v_cndmask_b32_e32 v18, v5, v13, vcc_lo
	v_cndmask_b32_e64 v20, v5, v13, s4
	v_cndmask_b32_e32 v17, v1, v9, vcc_lo
	v_cmp_eq_u32_e32 vcc_lo, 2, v79
	v_lshrrev_b32_e32 v15, 16, v7
	v_cmp_eq_u32_e64 s4, 1, v77
	v_lshrrev_b32_e32 v12, 16, v4
	v_lshrrev_b32_e32 v16, 16, v8
	v_cndmask_b32_e32 v20, v20, v6, vcc_lo
	v_cndmask_b32_e64 v17, v17, v2, s5
	v_cndmask_b32_e32 v19, v19, v2, vcc_lo
	v_cndmask_b32_e64 v18, v18, v6, s5
	v_cmp_eq_u32_e32 vcc_lo, 4, v78
	v_cmp_eq_u32_e64 s5, 3, v79
	v_cndmask_b32_e64 v17, v17, v10, s6
	v_cndmask_b32_e64 v21, v1, v9, s4
	;; [unrolled: 1-line block ×5, first 2 shown]
	v_cndmask_b32_e32 v17, v17, v3, vcc_lo
	v_cndmask_b32_e64 v20, v20, v14, s5
	v_cndmask_b32_e32 v18, v18, v7, vcc_lo
	v_cmp_eq_u32_e32 vcc_lo, 4, v79
	v_cmp_eq_u32_e64 s5, 5, v79
	v_cmp_eq_u32_e64 s4, 2, v81
	v_cndmask_b32_e64 v21, v21, v2, s8
	v_cmp_eq_u32_e64 s6, 5, v78
	v_cndmask_b32_e32 v19, v19, v3, vcc_lo
	v_cndmask_b32_e32 v20, v20, v7, vcc_lo
	v_cmp_eq_u32_e32 vcc_lo, 6, v79
	s_delay_alu instid0(VALU_DEP_4) | instskip(NEXT) | instid1(VALU_DEP_4)
	v_cndmask_b32_e64 v17, v17, v11, s6
	v_cndmask_b32_e64 v19, v19, v11, s5
	s_delay_alu instid0(VALU_DEP_4) | instskip(SKIP_1) | instid1(VALU_DEP_3)
	v_cndmask_b32_e64 v20, v20, v15, s5
	v_cmp_eq_u32_e64 s5, 1, v81
	v_cndmask_b32_e32 v19, v19, v4, vcc_lo
	v_cndmask_b32_e64 v18, v18, v15, s6
	s_delay_alu instid0(VALU_DEP_3)
	v_cndmask_b32_e64 v1, v1, v9, s5
	v_cndmask_b32_e64 v5, v5, v13, s5
	v_cmp_eq_u32_e64 s5, 3, v77
	v_cndmask_b32_e64 v13, v22, v6, s8
	v_cmp_eq_u32_e64 s8, 3, v81
	v_cndmask_b32_e64 v1, v1, v2, s4
	v_cndmask_b32_e64 v2, v5, v6, s4
	;; [unrolled: 1-line block ×3, first 2 shown]
	v_cmp_eq_u32_e64 s4, 4, v77
	v_cndmask_b32_e64 v6, v13, v14, s5
	v_cndmask_b32_e64 v1, v1, v10, s8
	v_cmp_eq_u32_e64 s5, 4, v81
	v_cndmask_b32_e64 v2, v2, v14, s8
	v_cndmask_b32_e64 v5, v9, v3, s4
	;; [unrolled: 3-line block ×3, first 2 shown]
	v_cndmask_b32_e64 v2, v2, v7, s5
	v_cmp_eq_u32_e64 s4, 5, v81
	v_cmp_eq_u32_e64 s6, 6, v78
	v_cndmask_b32_e64 v5, v5, v11, s8
	v_cmp_eq_u32_e64 s5, 6, v77
	v_cndmask_b32_e64 v3, v6, v15, s8
	v_cndmask_b32_e64 v1, v1, v11, s4
	v_cmp_eq_u32_e64 s8, 6, v81
	v_cndmask_b32_e64 v2, v2, v15, s4
	v_cndmask_b32_e64 v17, v17, v4, s6
	v_cndmask_b32_e64 v18, v18, v8, s6
	v_cmp_eq_u32_e64 s6, 7, v78
	v_cndmask_b32_e64 v5, v5, v4, s5
	;; [unrolled: 4-line block ×3, first 2 shown]
	v_cmp_eq_u32_e64 s5, 7, v77
	v_cndmask_b32_e32 v4, v20, v8, vcc_lo
	v_cndmask_b32_e64 v17, v17, v12, s6
	v_cndmask_b32_e64 v19, v19, v12, s7
	;; [unrolled: 1-line block ×8, first 2 shown]
	v_cmp_gt_u32_e32 vcc_lo, 32, v0
	v_perm_b32 v4, v2, v1, 0x5040100
	v_perm_b32 v3, v3, v5, 0x5040100
	;; [unrolled: 1-line block ×4, first 2 shown]
	s_and_b32 s2, vcc_lo, s2
	ds_store_b128 v76, v[1:4]
	s_waitcnt lgkmcnt(0)
	s_barrier
	buffer_gl0_inv
	s_and_saveexec_b32 s4, s2
	s_cbranch_execz .LBB1480_2
; %bb.111:
	s_load_b64 s[4:5], s[0:1], 0x68
	v_add_nc_u32_e32 v20, s31, v74
	v_lshlrev_b32_e32 v0, 10, v0
	v_lshlrev_b32_e32 v1, 4, v75
	s_lshl_b32 s0, s36, 6
	s_delay_alu instid0(SALU_CYCLE_1)
	s_mul_i32 s1, s0, s34
	v_add_nc_u32_e32 v2, 2, v20
	s_mul_i32 s6, s1, s9
	v_and_or_b32 v0, 0x3800, v0, v1
	v_mul_lo_u32 v1, v20, s0
	s_ashr_i32 s7, s6, 31
	v_mul_lo_u32 v11, v2, s0
	s_lshl_b64 s[6:7], s[6:7], 1
	v_add_nc_u32_e32 v3, 4, v20
	v_lshl_or_b32 v21, v74, 6, v0
	v_add_nc_u32_e32 v16, 6, v20
	v_ashrrev_i32_e32 v2, 31, v1
	s_delay_alu instid0(VALU_DEP_4)
	v_mul_lo_u32 v13, v3, s0
	s_waitcnt lgkmcnt(0)
	s_add_u32 s1, s4, s6
	s_addc_u32 s2, s5, s7
	s_lshl_b32 s4, s14, 6
	ds_load_b128 v[3:6], v21
	ds_load_b128 v[7:10], v21 offset:128
	s_ashr_i32 s5, s4, 31
	v_ashrrev_i32_e32 v12, 31, v11
	s_lshl_b64 s[4:5], s[4:5], 1
	v_lshlrev_b64 v[14:15], 1, v[1:2]
	s_add_u32 s1, s1, s4
	s_addc_u32 s2, s2, s5
	v_add_co_u32 v1, s1, s1, v73
	s_delay_alu instid0(VALU_DEP_1) | instskip(SKIP_1) | instid1(VALU_DEP_3)
	v_add_co_ci_u32_e64 v2, null, s2, 0, s1
	v_lshlrev_b64 v[11:12], 1, v[11:12]
	v_add_co_u32 v18, vcc_lo, v1, v14
	v_mul_lo_u32 v16, v16, s0
	s_delay_alu instid0(VALU_DEP_4) | instskip(NEXT) | instid1(VALU_DEP_4)
	v_add_co_ci_u32_e32 v19, vcc_lo, v2, v15, vcc_lo
	v_add_co_u32 v11, vcc_lo, v1, v11
	v_ashrrev_i32_e32 v14, 31, v13
	v_add_co_ci_u32_e32 v12, vcc_lo, v2, v12, vcc_lo
	v_add_nc_u32_e32 v15, 8, v20
	v_ashrrev_i32_e32 v17, 31, v16
	s_waitcnt lgkmcnt(1)
	global_store_b128 v[18:19], v[3:6], off
	v_lshlrev_b64 v[3:4], 1, v[13:14]
	s_waitcnt lgkmcnt(0)
	global_store_b128 v[11:12], v[7:10], off
	v_mul_lo_u32 v11, v15, s0
	v_add_nc_u32_e32 v7, 10, v20
	v_lshlrev_b64 v[5:6], 1, v[16:17]
	v_add_co_u32 v23, vcc_lo, v1, v3
	v_add_nc_u32_e32 v3, 12, v20
	s_delay_alu instid0(VALU_DEP_4)
	v_mul_lo_u32 v25, v7, s0
	v_ashrrev_i32_e32 v12, 31, v11
	v_add_co_ci_u32_e32 v24, vcc_lo, v2, v4, vcc_lo
	v_add_co_u32 v27, vcc_lo, v1, v5
	v_mul_lo_u32 v29, v3, s0
	v_add_co_ci_u32_e32 v28, vcc_lo, v2, v6, vcc_lo
	ds_load_b128 v[3:6], v21 offset:256
	ds_load_b128 v[7:10], v21 offset:384
	v_lshlrev_b64 v[31:32], 1, v[11:12]
	ds_load_b128 v[11:14], v21 offset:512
	ds_load_b128 v[15:18], v21 offset:640
	;; [unrolled: 1-line block ×3, first 2 shown]
	v_ashrrev_i32_e32 v26, 31, v25
	v_ashrrev_i32_e32 v30, 31, v29
	v_add_co_u32 v31, vcc_lo, v1, v31
	s_delay_alu instid0(VALU_DEP_3) | instskip(NEXT) | instid1(VALU_DEP_3)
	v_lshlrev_b64 v[25:26], 1, v[25:26]
	v_lshlrev_b64 v[29:30], 1, v[29:30]
	v_add_co_ci_u32_e32 v32, vcc_lo, v2, v32, vcc_lo
	s_delay_alu instid0(VALU_DEP_3) | instskip(NEXT) | instid1(VALU_DEP_4)
	v_add_co_u32 v25, vcc_lo, v1, v25
	v_add_co_ci_u32_e32 v26, vcc_lo, v2, v26, vcc_lo
	s_delay_alu instid0(VALU_DEP_4)
	v_add_co_u32 v29, vcc_lo, v1, v29
	v_add_co_ci_u32_e32 v30, vcc_lo, v2, v30, vcc_lo
	s_waitcnt lgkmcnt(4)
	global_store_b128 v[23:24], v[3:6], off
	s_waitcnt lgkmcnt(3)
	global_store_b128 v[27:28], v[7:10], off
	;; [unrolled: 2-line block ×5, first 2 shown]
	s_and_b32 exec_lo, exec_lo, s3
	s_cbranch_execz .LBB1480_2
; %bb.112:
	ds_load_b128 v[3:6], v0 offset:896
	s_add_i32 s1, s31, 14
	s_delay_alu instid0(SALU_CYCLE_1) | instskip(NEXT) | instid1(SALU_CYCLE_1)
	s_mul_i32 s0, s1, s0
	s_ashr_i32 s1, s0, 31
	s_delay_alu instid0(SALU_CYCLE_1) | instskip(NEXT) | instid1(SALU_CYCLE_1)
	s_lshl_b64 s[0:1], s[0:1], 1
	v_add_co_u32 v0, vcc_lo, v1, s0
	v_add_co_ci_u32_e32 v1, vcc_lo, s1, v2, vcc_lo
	s_waitcnt lgkmcnt(0)
	global_store_b128 v[0:1], v[3:6], off
	s_nop 0
	s_sendmsg sendmsg(MSG_DEALLOC_VGPRS)
	s_endpgm
	.section	.rodata,"a",@progbits
	.p2align	6, 0x0
	.amdhsa_kernel _Z39paged_attention_ll4mi_QKV_mfma16_kernelI14__hip_bfloat16hLN4vllm18Fp8KVCacheDataTypeE1ES0_Li32ELi64ELi256ELb1ELi15EL8MFMAType1EEvPKT_PKT0_S9_ifPKiSB_SB_iPKfiiiPfSE_PS4_PT2_iSD_SD_
		.amdhsa_group_segment_fixed_size 17472
		.amdhsa_private_segment_fixed_size 0
		.amdhsa_kernarg_size 400
		.amdhsa_user_sgpr_count 13
		.amdhsa_user_sgpr_dispatch_ptr 0
		.amdhsa_user_sgpr_queue_ptr 0
		.amdhsa_user_sgpr_kernarg_segment_ptr 1
		.amdhsa_user_sgpr_dispatch_id 0
		.amdhsa_user_sgpr_private_segment_size 0
		.amdhsa_wavefront_size32 1
		.amdhsa_uses_dynamic_stack 0
		.amdhsa_enable_private_segment 0
		.amdhsa_system_sgpr_workgroup_id_x 1
		.amdhsa_system_sgpr_workgroup_id_y 1
		.amdhsa_system_sgpr_workgroup_id_z 1
		.amdhsa_system_sgpr_workgroup_info 0
		.amdhsa_system_vgpr_workitem_id 0
		.amdhsa_next_free_vgpr 124
		.amdhsa_next_free_sgpr 42
		.amdhsa_reserve_vcc 1
		.amdhsa_float_round_mode_32 0
		.amdhsa_float_round_mode_16_64 0
		.amdhsa_float_denorm_mode_32 3
		.amdhsa_float_denorm_mode_16_64 3
		.amdhsa_dx10_clamp 1
		.amdhsa_ieee_mode 1
		.amdhsa_fp16_overflow 0
		.amdhsa_workgroup_processor_mode 1
		.amdhsa_memory_ordered 1
		.amdhsa_forward_progress 0
		.amdhsa_shared_vgpr_count 0
		.amdhsa_exception_fp_ieee_invalid_op 0
		.amdhsa_exception_fp_denorm_src 0
		.amdhsa_exception_fp_ieee_div_zero 0
		.amdhsa_exception_fp_ieee_overflow 0
		.amdhsa_exception_fp_ieee_underflow 0
		.amdhsa_exception_fp_ieee_inexact 0
		.amdhsa_exception_int_div_zero 0
	.end_amdhsa_kernel
	.section	.text._Z39paged_attention_ll4mi_QKV_mfma16_kernelI14__hip_bfloat16hLN4vllm18Fp8KVCacheDataTypeE1ES0_Li32ELi64ELi256ELb1ELi15EL8MFMAType1EEvPKT_PKT0_S9_ifPKiSB_SB_iPKfiiiPfSE_PS4_PT2_iSD_SD_,"axG",@progbits,_Z39paged_attention_ll4mi_QKV_mfma16_kernelI14__hip_bfloat16hLN4vllm18Fp8KVCacheDataTypeE1ES0_Li32ELi64ELi256ELb1ELi15EL8MFMAType1EEvPKT_PKT0_S9_ifPKiSB_SB_iPKfiiiPfSE_PS4_PT2_iSD_SD_,comdat
.Lfunc_end1480:
	.size	_Z39paged_attention_ll4mi_QKV_mfma16_kernelI14__hip_bfloat16hLN4vllm18Fp8KVCacheDataTypeE1ES0_Li32ELi64ELi256ELb1ELi15EL8MFMAType1EEvPKT_PKT0_S9_ifPKiSB_SB_iPKfiiiPfSE_PS4_PT2_iSD_SD_, .Lfunc_end1480-_Z39paged_attention_ll4mi_QKV_mfma16_kernelI14__hip_bfloat16hLN4vllm18Fp8KVCacheDataTypeE1ES0_Li32ELi64ELi256ELb1ELi15EL8MFMAType1EEvPKT_PKT0_S9_ifPKiSB_SB_iPKfiiiPfSE_PS4_PT2_iSD_SD_
                                        ; -- End function
	.section	.AMDGPU.csdata,"",@progbits
; Kernel info:
; codeLenInByte = 9028
; NumSgprs: 44
; NumVgprs: 124
; ScratchSize: 0
; MemoryBound: 0
; FloatMode: 240
; IeeeMode: 1
; LDSByteSize: 17472 bytes/workgroup (compile time only)
; SGPRBlocks: 5
; VGPRBlocks: 15
; NumSGPRsForWavesPerEU: 44
; NumVGPRsForWavesPerEU: 124
; Occupancy: 10
; WaveLimiterHint : 1
; COMPUTE_PGM_RSRC2:SCRATCH_EN: 0
; COMPUTE_PGM_RSRC2:USER_SGPR: 13
; COMPUTE_PGM_RSRC2:TRAP_HANDLER: 0
; COMPUTE_PGM_RSRC2:TGID_X_EN: 1
; COMPUTE_PGM_RSRC2:TGID_Y_EN: 1
; COMPUTE_PGM_RSRC2:TGID_Z_EN: 1
; COMPUTE_PGM_RSRC2:TIDIG_COMP_CNT: 0
	.section	.text._Z39paged_attention_ll4mi_QKV_mfma16_kernelI14__hip_bfloat16hLN4vllm18Fp8KVCacheDataTypeE1ES0_Li32ELi64ELi256ELb1ELi16EL8MFMAType1EEvPKT_PKT0_S9_ifPKiSB_SB_iPKfiiiPfSE_PS4_PT2_iSD_SD_,"axG",@progbits,_Z39paged_attention_ll4mi_QKV_mfma16_kernelI14__hip_bfloat16hLN4vllm18Fp8KVCacheDataTypeE1ES0_Li32ELi64ELi256ELb1ELi16EL8MFMAType1EEvPKT_PKT0_S9_ifPKiSB_SB_iPKfiiiPfSE_PS4_PT2_iSD_SD_,comdat
	.protected	_Z39paged_attention_ll4mi_QKV_mfma16_kernelI14__hip_bfloat16hLN4vllm18Fp8KVCacheDataTypeE1ES0_Li32ELi64ELi256ELb1ELi16EL8MFMAType1EEvPKT_PKT0_S9_ifPKiSB_SB_iPKfiiiPfSE_PS4_PT2_iSD_SD_ ; -- Begin function _Z39paged_attention_ll4mi_QKV_mfma16_kernelI14__hip_bfloat16hLN4vllm18Fp8KVCacheDataTypeE1ES0_Li32ELi64ELi256ELb1ELi16EL8MFMAType1EEvPKT_PKT0_S9_ifPKiSB_SB_iPKfiiiPfSE_PS4_PT2_iSD_SD_
	.globl	_Z39paged_attention_ll4mi_QKV_mfma16_kernelI14__hip_bfloat16hLN4vllm18Fp8KVCacheDataTypeE1ES0_Li32ELi64ELi256ELb1ELi16EL8MFMAType1EEvPKT_PKT0_S9_ifPKiSB_SB_iPKfiiiPfSE_PS4_PT2_iSD_SD_
	.p2align	8
	.type	_Z39paged_attention_ll4mi_QKV_mfma16_kernelI14__hip_bfloat16hLN4vllm18Fp8KVCacheDataTypeE1ES0_Li32ELi64ELi256ELb1ELi16EL8MFMAType1EEvPKT_PKT0_S9_ifPKiSB_SB_iPKfiiiPfSE_PS4_PT2_iSD_SD_,@function
_Z39paged_attention_ll4mi_QKV_mfma16_kernelI14__hip_bfloat16hLN4vllm18Fp8KVCacheDataTypeE1ES0_Li32ELi64ELi256ELb1ELi16EL8MFMAType1EEvPKT_PKT0_S9_ifPKiSB_SB_iPKfiiiPfSE_PS4_PT2_iSD_SD_: ; @_Z39paged_attention_ll4mi_QKV_mfma16_kernelI14__hip_bfloat16hLN4vllm18Fp8KVCacheDataTypeE1ES0_Li32ELi64ELi256ELb1ELi16EL8MFMAType1EEvPKT_PKT0_S9_ifPKiSB_SB_iPKfiiiPfSE_PS4_PT2_iSD_SD_
; %bb.0:
	s_load_b64 s[2:3], s[0:1], 0x30
	s_mov_b32 s30, s13
	s_waitcnt lgkmcnt(0)
	s_cmp_lg_u64 s[2:3], 0
	s_cselect_b32 s8, -1, 0
	s_ashr_i32 s31, s13, 31
	s_cmp_eq_u64 s[2:3], 0
	s_cbranch_scc1 .LBB1481_3
; %bb.1:
	s_lshl_b64 s[4:5], s[30:31], 2
	s_delay_alu instid0(SALU_CYCLE_1) | instskip(SKIP_4) | instid1(SALU_CYCLE_1)
	s_add_u32 s4, s2, s4
	s_addc_u32 s5, s3, s5
	s_load_b64 s[4:5], s[4:5], 0x0
	s_waitcnt lgkmcnt(0)
	s_sub_i32 s4, s5, s4
	s_cmp_eq_u32 s4, 1
	s_cselect_b32 s4, -1, 0
	s_delay_alu instid0(SALU_CYCLE_1)
	s_and_not1_b32 vcc_lo, exec_lo, s4
	s_cbranch_vccz .LBB1481_4
.LBB1481_2:
	s_endpgm
.LBB1481_3:
.LBB1481_4:
	s_load_b64 s[4:5], s[0:1], 0x28
	s_lshl_b64 s[6:7], s[30:31], 2
	s_waitcnt lgkmcnt(0)
	s_add_u32 s4, s4, s6
	s_addc_u32 s5, s5, s7
	s_lshl_b32 s12, s14, 8
	s_load_b32 s24, s[4:5], 0x0
	s_waitcnt lgkmcnt(0)
	s_cmp_ge_i32 s12, s24
	s_cbranch_scc1 .LBB1481_2
; %bb.5:
	s_clause 0x1
	s_load_b128 s[20:23], s[0:1], 0x8
	s_load_b64 s[4:5], s[0:1], 0x20
	s_and_not1_b32 vcc_lo, exec_lo, s8
	s_cbranch_vccnz .LBB1481_7
; %bb.6:
	s_add_u32 s2, s2, s6
	s_addc_u32 s3, s3, s7
	s_load_b32 s3, s[2:3], 0x0
	s_branch .LBB1481_8
.LBB1481_7:
	s_mov_b32 s3, s30
.LBB1481_8:
	s_load_b128 s[16:19], s[0:1], 0x48
	v_and_b32_e32 v66, 15, v0
	v_cmp_gt_u32_e32 vcc_lo, 0x100, v0
	v_lshrrev_b32_e32 v65, 5, v0
	v_and_b32_e32 v67, 31, v0
	v_and_b32_e32 v75, 1, v0
	v_lshlrev_b32_e32 v1, 3, v66
	v_cmp_gt_u32_e64 s2, 8, v66
	v_bfe_u32 v74, v0, 4, 1
	s_lshl_b32 s31, s15, 4
	s_delay_alu instid0(VALU_DEP_3) | instskip(NEXT) | instid1(VALU_DEP_3)
	v_lshlrev_b32_e32 v73, 1, v1
	s_and_b32 s7, vcc_lo, s2
	s_delay_alu instid0(SALU_CYCLE_1)
	s_and_saveexec_b32 s6, s7
	s_cbranch_execz .LBB1481_10
; %bb.9:
	v_lshl_or_b32 v5, v65, 1, v74
	s_load_b64 s[8:9], s[0:1], 0x0
	s_waitcnt lgkmcnt(0)
	s_mul_hi_i32 s11, s3, s16
	s_mul_i32 s10, s3, s16
	v_lshlrev_b32_e32 v6, 10, v66
	v_or_b32_e32 v1, s31, v5
	s_lshl_b64 s[10:11], s[10:11], 1
	v_lshlrev_b32_e32 v5, 6, v5
	v_lshlrev_b32_e32 v7, 10, v75
	v_and_b32_e32 v6, 0x3800, v6
	v_lshlrev_b32_e32 v1, 6, v1
	s_delay_alu instid0(VALU_DEP_2) | instskip(NEXT) | instid1(VALU_DEP_2)
	v_or3_b32 v5, v6, v7, v5
	v_ashrrev_i32_e32 v2, 31, v1
	s_delay_alu instid0(VALU_DEP_1) | instskip(SKIP_2) | instid1(VALU_DEP_1)
	v_lshlrev_b64 v[1:2], 1, v[1:2]
	s_add_u32 s3, s8, s10
	s_addc_u32 s7, s9, s11
	v_add_co_u32 v1, vcc_lo, s3, v1
	s_delay_alu instid0(VALU_DEP_2) | instskip(NEXT) | instid1(VALU_DEP_2)
	v_add_co_ci_u32_e32 v2, vcc_lo, s7, v2, vcc_lo
	v_add_co_u32 v1, vcc_lo, v1, v73
	s_delay_alu instid0(VALU_DEP_2)
	v_add_co_ci_u32_e32 v2, vcc_lo, 0, v2, vcc_lo
	global_load_b128 v[1:4], v[1:2], off
	s_waitcnt vmcnt(0)
	ds_store_b128 v5, v[1:4]
.LBB1481_10:
	s_or_b32 exec_lo, exec_lo, s6
	v_and_b32_e32 v1, 0xef, v0
	s_waitcnt lgkmcnt(0)
	s_add_i32 s3, s24, 31
	s_clause 0x1
	s_load_b32 s6, s[0:1], 0x38
	s_load_b32 s19, s[0:1], 0x1c
	s_ashr_i32 s7, s3, 31
	v_add_nc_u32_e32 v1, s12, v1
	s_lshr_b32 s7, s7, 27
	s_waitcnt lgkmcnt(0)
	s_add_i32 s3, s3, s7
	s_barrier
	v_ashrrev_i32_e32 v2, 31, v1
	v_or_b32_e32 v3, 16, v1
	s_ashr_i32 s3, s3, 5
	v_cmp_gt_i32_e32 vcc_lo, s24, v1
	s_add_i32 s3, s3, -1
	v_lshrrev_b32_e32 v2, 27, v2
	buffer_gl0_inv
	s_mul_i32 s27, s15, s18
	v_add_nc_u32_e32 v4, v1, v2
	s_mul_i32 s6, s30, s6
	s_delay_alu instid0(SALU_CYCLE_1) | instskip(NEXT) | instid1(VALU_DEP_1)
	s_ashr_i32 s7, s6, 31
	v_ashrrev_i32_e32 v4, 5, v4
	v_add_nc_u32_e32 v2, v3, v2
	s_lshl_b64 s[6:7], s[6:7], 2
	s_delay_alu instid0(SALU_CYCLE_1) | instskip(NEXT) | instid1(VALU_DEP_2)
	s_add_u32 s26, s4, s6
	v_cndmask_b32_e32 v1, s3, v4, vcc_lo
	s_delay_alu instid0(VALU_DEP_2)
	v_ashrrev_i32_e32 v2, 5, v2
	v_cmp_gt_i32_e32 vcc_lo, s24, v3
	s_addc_u32 s25, s5, s7
	s_ashr_i32 s28, s27, 31
	s_add_u32 s4, s20, s27
	s_addc_u32 s5, s21, s28
	v_cndmask_b32_e32 v3, s3, v2, vcc_lo
	v_ashrrev_i32_e32 v2, 31, v1
	s_lshl_b32 s6, s14, 3
	s_delay_alu instid0(SALU_CYCLE_1) | instskip(NEXT) | instid1(VALU_DEP_2)
	s_ashr_i32 s7, s6, 31
	v_ashrrev_i32_e32 v4, 31, v3
	s_delay_alu instid0(VALU_DEP_2) | instskip(SKIP_1) | instid1(SALU_CYCLE_1)
	v_lshlrev_b64 v[1:2], 2, v[1:2]
	s_lshl_b64 s[6:7], s[6:7], 2
	s_add_u32 s6, s26, s6
	s_delay_alu instid0(VALU_DEP_2) | instskip(SKIP_1) | instid1(VALU_DEP_2)
	v_lshlrev_b64 v[3:4], 2, v[3:4]
	s_addc_u32 s7, s25, s7
	v_add_co_u32 v1, vcc_lo, s26, v1
	v_add_co_ci_u32_e32 v2, vcc_lo, s25, v2, vcc_lo
	s_delay_alu instid0(VALU_DEP_3) | instskip(NEXT) | instid1(VALU_DEP_4)
	v_add_co_u32 v3, vcc_lo, s26, v3
	v_add_co_ci_u32_e32 v4, vcc_lo, s25, v4, vcc_lo
	s_clause 0x1
	global_load_b32 v5, v[1:2], off
	global_load_b32 v6, v[3:4], off
	s_or_b32 s8, s12, 32
	s_delay_alu instid0(SALU_CYCLE_1) | instskip(SKIP_2) | instid1(SALU_CYCLE_1)
	s_ashr_i32 s9, s8, 5
	s_cmp_lt_i32 s8, s24
	s_cselect_b32 s8, s9, s3
	s_ashr_i32 s9, s8, 31
	s_delay_alu instid0(SALU_CYCLE_1) | instskip(NEXT) | instid1(SALU_CYCLE_1)
	s_lshl_b64 s[8:9], s[8:9], 2
	s_add_u32 s8, s26, s8
	s_addc_u32 s9, s25, s9
	s_or_b32 s10, s12, 64
	s_delay_alu instid0(SALU_CYCLE_1) | instskip(SKIP_2) | instid1(SALU_CYCLE_1)
	s_ashr_i32 s11, s10, 5
	s_cmp_lt_i32 s10, s24
	s_cselect_b32 s10, s11, s3
	s_ashr_i32 s11, s10, 31
	s_delay_alu instid0(SALU_CYCLE_1) | instskip(NEXT) | instid1(SALU_CYCLE_1)
	s_lshl_b64 s[10:11], s[10:11], 2
	s_add_u32 s10, s26, s10
	s_addc_u32 s11, s25, s11
	;; [unrolled: 10-line block ×5, first 2 shown]
	s_clause 0x5
	s_load_b32 s21, s[6:7], 0x0
	s_load_b32 s13, s[8:9], 0x0
	s_load_b32 s15, s[10:11], 0x0
	s_load_b32 s16, s[34:35], 0x0
	s_load_b32 s18, s[36:37], 0x0
	s_load_b32 s20, s[38:39], 0x0
	s_or_b32 s6, s12, 0xc0
	s_delay_alu instid0(SALU_CYCLE_1) | instskip(SKIP_2) | instid1(SALU_CYCLE_1)
	s_ashr_i32 s7, s6, 5
	s_cmp_lt_i32 s6, s24
	s_cselect_b32 s10, s7, s3
	s_ashr_i32 s11, s10, 31
	s_delay_alu instid0(SALU_CYCLE_1) | instskip(NEXT) | instid1(SALU_CYCLE_1)
	s_lshl_b64 s[10:11], s[10:11], 2
	s_add_u32 s34, s26, s10
	s_addc_u32 s35, s25, s11
	s_or_b32 s11, s12, 0xe0
	s_delay_alu instid0(SALU_CYCLE_1) | instskip(SKIP_2) | instid1(SALU_CYCLE_1)
	s_ashr_i32 s29, s11, 5
	s_cmp_lt_i32 s11, s24
	s_cselect_b32 s36, s29, s3
	s_ashr_i32 s37, s36, 31
	s_waitcnt vmcnt(1)
	v_mad_i64_i32 v[1:2], null, v5, s17, s[4:5]
	s_waitcnt vmcnt(0)
	v_mad_i64_i32 v[3:4], null, v6, s17, s[4:5]
	s_mov_b32 s4, 0
	s_delay_alu instid0(SALU_CYCLE_1)
	s_mov_b32 s5, s4
	s_mov_b32 s6, s4
	;; [unrolled: 1-line block ×7, first 2 shown]
	s_delay_alu instid0(SALU_CYCLE_1) | instskip(SKIP_2) | instid1(VALU_DEP_3)
	v_dual_mov_b32 v108, s11 :: v_dual_lshlrev_b32 v5, 4, v66
	v_mov_b32_e32 v104, s7
	v_dual_mov_b32 v105, s8 :: v_dual_lshlrev_b32 v76, 6, v66
	v_add_co_u32 v1, vcc_lo, v1, v5
	v_add_co_ci_u32_e32 v2, vcc_lo, 0, v2, vcc_lo
	v_add_co_u32 v3, vcc_lo, v3, v5
	v_add_co_ci_u32_e32 v4, vcc_lo, 0, v4, vcc_lo
	s_clause 0x7
	global_load_b128 v[49:52], v[1:2], off
	global_load_b128 v[53:56], v[1:2], off offset:512
	global_load_b128 v[77:80], v[3:4], off offset:256
	;; [unrolled: 1-line block ×7, first 2 shown]
	v_dual_mov_b32 v102, s5 :: v_dual_lshlrev_b32 v1, 5, v66
	v_dual_mov_b32 v107, s10 :: v_dual_mov_b32 v106, s9
	v_mov_b32_e32 v103, s6
	v_mov_b32_e32 v101, s4
	s_lshl_b64 s[4:5], s[36:37], 2
	v_lshl_or_b32 v1, v65, 9, v1
	s_add_u32 s4, s26, s4
	s_addc_u32 s5, s25, s5
	s_load_b32 s3, s[34:35], 0x0
	ds_load_b128 v[109:112], v76
	ds_load_b128 v[113:116], v76 offset:1024
	s_load_b32 s4, s[4:5], 0x0
	s_add_u32 s6, s22, s27
	s_addc_u32 s7, s23, s28
	v_add_co_u32 v9, s6, s6, v1
	s_delay_alu instid0(VALU_DEP_1) | instskip(SKIP_1) | instid1(VALU_DEP_1)
	v_add_co_ci_u32_e64 v10, null, s7, 0, s6
	s_waitcnt lgkmcnt(0)
	v_mad_i64_i32 v[1:2], null, s21, s17, v[9:10]
	v_mad_i64_i32 v[3:4], null, s13, s17, v[9:10]
	;; [unrolled: 1-line block ×7, first 2 shown]
	s_clause 0x9
	global_load_b128 v[57:60], v[1:2], off
	global_load_b128 v[61:64], v[1:2], off offset:16
	global_load_b128 v[41:44], v[3:4], off
	global_load_b128 v[45:48], v[3:4], off offset:16
	;; [unrolled: 2-line block ×5, first 2 shown]
	v_mad_i64_i32 v[68:69], null, s4, s17, v[9:10]
	s_clause 0x3
	global_load_b128 v[9:12], v[13:14], off
	global_load_b128 v[13:16], v[13:14], off offset:16
	global_load_b128 v[17:20], v[21:22], off
	global_load_b128 v[21:24], v[21:22], off offset:16
	s_waitcnt vmcnt(20)
	v_wmma_f32_16x16x16_bf16 v[117:124], v[49:56], v[109:116], v[101:108]
	s_clause 0x1
	global_load_b128 v[49:52], v[68:69], off
	global_load_b128 v[53:56], v[68:69], off offset:16
	v_and_b32_e32 v68, 0xe0, v0
	v_mbcnt_lo_u32_b32 v69, -1, 0
	s_delay_alu instid0(VALU_DEP_2)
	v_add_nc_u32_e32 v68, s12, v68
	s_waitcnt vmcnt(20)
	v_wmma_f32_16x16x16_bf16 v[101:108], v[77:84], v[109:116], v[101:108]
	ds_load_b128 v[77:80], v76 offset:2048
	ds_load_b128 v[81:84], v76 offset:3072
	v_xor_b32_e32 v70, 16, v69
	s_waitcnt vmcnt(0) lgkmcnt(0)
	v_or_b32_e32 v68, v68, v74
	s_barrier
	buffer_gl0_inv
	v_cmp_gt_i32_e32 vcc_lo, 32, v70
	v_or_b32_e32 v71, 4, v68
	v_or_b32_e32 v72, 6, v68
	v_cmp_gt_i32_e64 s3, s24, v68
	v_or_b32_e32 v109, 8, v68
	s_delay_alu instid0(VALU_DEP_4) | instskip(NEXT) | instid1(VALU_DEP_4)
	v_cmp_gt_i32_e64 s4, s24, v71
	v_cmp_gt_i32_e64 s5, s24, v72
	s_delay_alu instid0(VALU_DEP_3)
	v_cmp_gt_i32_e64 s6, s24, v109
	v_wmma_f32_16x16x16_bf16 v[117:124], v[85:92], v[77:84], v[117:124]
	v_cndmask_b32_e32 v69, v69, v70, vcc_lo
	v_or_b32_e32 v70, 2, v68
	v_wmma_f32_16x16x16_bf16 v[101:108], v[93:100], v[77:84], v[101:108]
	v_or_b32_e32 v85, 10, v68
	v_dual_mul_f32 v80, s19, v124 :: v_dual_mul_f32 v93, s19, v119
	v_dual_mul_f32 v94, s19, v118 :: v_dual_mul_f32 v95, s19, v117
	s_delay_alu instid0(VALU_DEP_4) | instskip(SKIP_2) | instid1(VALU_DEP_4)
	v_mul_f32_e32 v96, s19, v108
	v_cmp_gt_i32_e32 vcc_lo, s24, v70
	v_dual_mul_f32 v83, s19, v121 :: v_dual_mul_f32 v84, s19, v120
	v_cndmask_b32_e64 v95, 0xff7fffff, v95, s3
	v_or_b32_e32 v86, 12, v68
	v_cndmask_b32_e32 v94, 0xff7fffff, v94, vcc_lo
	v_or_b32_e32 v87, 14, v68
	v_dual_mul_f32 v81, s19, v123 :: v_dual_mul_f32 v82, s19, v122
	v_cndmask_b32_e64 v93, 0xff7fffff, v93, s4
	v_cndmask_b32_e64 v72, 0xff7fffff, v84, s5
	v_max3_f32 v84, v95, 0xff7fffff, v94
	v_cmp_gt_i32_e64 s7, s24, v85
	v_or_b32_e32 v88, 16, v68
	v_or_b32_e32 v89, 18, v68
	v_cndmask_b32_e64 v83, 0xff7fffff, v83, s6
	v_max3_f32 v72, v84, v93, v72
	v_cndmask_b32_e64 v82, 0xff7fffff, v82, s7
	v_cmp_gt_i32_e64 s8, s24, v86
	v_cmp_gt_i32_e64 s9, s24, v87
	v_or_b32_e32 v90, 20, v68
	v_or_b32_e32 v91, 22, v68
	;; [unrolled: 1-line block ×6, first 2 shown]
	v_dual_mul_f32 v70, s19, v103 :: v_dual_mul_f32 v71, s19, v101
	v_mul_f32_e32 v68, s19, v102
	v_cndmask_b32_e64 v81, 0xff7fffff, v81, s8
	v_cndmask_b32_e64 v80, 0xff7fffff, v80, s9
	v_max3_f32 v72, v72, v83, v82
	v_cmp_gt_i32_e64 s10, s24, v88
	v_cmp_gt_i32_e64 s11, s24, v89
	v_dual_mul_f32 v99, s19, v105 :: v_dual_mul_f32 v100, s19, v104
	s_delay_alu instid0(VALU_DEP_4) | instskip(NEXT) | instid1(VALU_DEP_4)
	v_max3_f32 v72, v72, v81, v80
	v_cndmask_b32_e64 v71, 0xff7fffff, v71, s10
	s_delay_alu instid0(VALU_DEP_4) | instskip(SKIP_3) | instid1(VALU_DEP_4)
	v_cndmask_b32_e64 v68, 0xff7fffff, v68, s11
	v_cmp_gt_i32_e64 s12, s24, v90
	v_cmp_gt_i32_e64 s13, s24, v91
	v_dual_mul_f32 v97, s19, v107 :: v_dual_mul_f32 v98, s19, v106
	v_max3_f32 v68, v72, v71, v68
	s_delay_alu instid0(VALU_DEP_4) | instskip(NEXT) | instid1(VALU_DEP_4)
	v_cndmask_b32_e64 v70, 0xff7fffff, v70, s12
	v_cndmask_b32_e64 v80, 0xff7fffff, v100, s13
	v_cmp_gt_i32_e64 s15, s24, v92
	v_cmp_gt_i32_e64 s16, s24, v77
	;; [unrolled: 1-line block ×4, first 2 shown]
	v_max3_f32 v68, v68, v70, v80
	v_cndmask_b32_e64 v71, 0xff7fffff, v99, s15
	v_cndmask_b32_e64 v72, 0xff7fffff, v98, s16
	;; [unrolled: 1-line block ×4, first 2 shown]
	v_lshlrev_b32_e32 v90, 2, v69
	s_delay_alu instid0(VALU_DEP_4) | instskip(NEXT) | instid1(VALU_DEP_1)
	v_max3_f32 v68, v68, v71, v72
	v_max3_f32 v68, v68, v70, v77
	ds_bpermute_b32 v69, v90, v68
	s_waitcnt lgkmcnt(0)
	v_max_f32_e32 v69, v69, v69
	s_delay_alu instid0(VALU_DEP_1) | instskip(NEXT) | instid1(VALU_DEP_1)
	v_max_f32_e32 v81, v68, v69
	v_fma_f32 v68, s19, v117, -v81
	v_fma_f32 v69, s19, v118, -v81
	;; [unrolled: 1-line block ×5, first 2 shown]
	s_delay_alu instid0(VALU_DEP_4) | instskip(NEXT) | instid1(VALU_DEP_3)
	v_dual_mul_f32 v68, 0x3fb8aa3b, v68 :: v_dual_mul_f32 v69, 0x3fb8aa3b, v69
	v_dual_mul_f32 v70, 0x3fb8aa3b, v70 :: v_dual_mul_f32 v71, 0x3fb8aa3b, v71
	v_fma_f32 v78, s19, v123, -v81
	s_delay_alu instid0(VALU_DEP_3) | instskip(NEXT) | instid1(VALU_DEP_3)
	v_exp_f32_e32 v68, v68
	v_exp_f32_e32 v69, v69
	s_delay_alu instid0(VALU_DEP_2)
	v_exp_f32_e32 v70, v70
	v_mul_f32_e32 v72, 0x3fb8aa3b, v72
	v_exp_f32_e32 v71, v71
	v_mul_f32_e32 v78, 0x3fb8aa3b, v78
	v_fma_f32 v80, s19, v106, -v81
	v_cndmask_b32_e64 v82, 0, v68, s3
	s_delay_alu instid0(TRANS32_DEP_3) | instskip(SKIP_2) | instid1(TRANS32_DEP_3)
	v_cndmask_b32_e32 v77, 0, v69, vcc_lo
	v_fma_f32 v68, s19, v122, -v81
	v_exp_f32_e32 v72, v72
	v_cndmask_b32_e64 v83, 0, v70, s4
	v_add_f32_e32 v69, 0, v82
	v_fma_f32 v70, s19, v124, -v81
	v_mul_f32_e32 v68, 0x3fb8aa3b, v68
	v_cndmask_b32_e64 v85, 0, v71, s5
	v_fma_f32 v71, s19, v101, -v81
	s_delay_alu instid0(VALU_DEP_4) | instskip(NEXT) | instid1(VALU_DEP_4)
	v_dual_add_f32 v69, v69, v77 :: v_dual_mul_f32 v70, 0x3fb8aa3b, v70
	v_exp_f32_e32 v68, v68
	s_delay_alu instid0(TRANS32_DEP_2) | instskip(SKIP_1) | instid1(VALU_DEP_3)
	v_cndmask_b32_e64 v86, 0, v72, s6
	v_fma_f32 v72, s19, v102, -v81
	v_add_f32_e32 v69, v69, v83
	v_exp_f32_e32 v78, v78
	v_exp_f32_e32 v70, v70
	s_mov_b32 s3, exec_lo
	s_delay_alu instid0(VALU_DEP_1) | instskip(SKIP_1) | instid1(TRANS32_DEP_3)
	v_dual_mul_f32 v72, 0x3fb8aa3b, v72 :: v_dual_add_f32 v69, v69, v85
	v_mul_f32_e32 v71, 0x3fb8aa3b, v71
	v_cndmask_b32_e64 v87, 0, v68, s7
	s_delay_alu instid0(VALU_DEP_3) | instskip(NEXT) | instid1(VALU_DEP_3)
	v_exp_f32_e32 v72, v72
	v_add_f32_e32 v68, v69, v86
	v_fma_f32 v69, s19, v103, -v81
	v_exp_f32_e32 v71, v71
	v_cndmask_b32_e64 v84, 0, v78, s8
	v_fma_f32 v78, s19, v104, -v81
	s_delay_alu instid0(VALU_DEP_3) | instskip(SKIP_2) | instid1(VALU_DEP_3)
	v_dual_add_f32 v68, v68, v87 :: v_dual_mul_f32 v69, 0x3fb8aa3b, v69
	v_cndmask_b32_e64 v88, 0, v70, s9
	v_fma_f32 v70, s19, v105, -v81
	v_exp_f32_e32 v79, v69
	s_delay_alu instid0(TRANS32_DEP_2) | instskip(SKIP_1) | instid1(VALU_DEP_1)
	v_cndmask_b32_e64 v69, 0, v71, s10
	v_add_f32_e32 v68, v68, v84
	v_dual_mul_f32 v78, 0x3fb8aa3b, v78 :: v_dual_add_f32 v71, v68, v88
	s_delay_alu instid0(VALU_DEP_1) | instskip(SKIP_2) | instid1(VALU_DEP_3)
	v_exp_f32_e32 v78, v78
	v_cndmask_b32_e64 v68, 0, v72, s11
	v_fma_f32 v72, s19, v107, -v81
	v_dual_add_f32 v71, v71, v69 :: v_dual_mul_f32 v70, 0x3fb8aa3b, v70
	s_delay_alu instid0(VALU_DEP_1) | instskip(NEXT) | instid1(TRANS32_DEP_3)
	v_exp_f32_e32 v89, v70
	v_cndmask_b32_e64 v70, 0, v79, s12
	s_delay_alu instid0(VALU_DEP_2) | instskip(NEXT) | instid1(TRANS32_DEP_2)
	v_add_f32_e32 v79, v71, v68
	v_cndmask_b32_e64 v71, 0, v78, s13
	s_delay_alu instid0(VALU_DEP_2) | instskip(SKIP_2) | instid1(VALU_DEP_1)
	v_add_f32_e32 v78, v79, v70
	v_mul_f32_e32 v80, 0x3fb8aa3b, v80
	v_fma_f32 v79, s19, v108, -v81
	v_dual_mul_f32 v72, 0x3fb8aa3b, v72 :: v_dual_mul_f32 v79, 0x3fb8aa3b, v79
	s_delay_alu instid0(VALU_DEP_1) | instskip(NEXT) | instid1(TRANS32_DEP_2)
	v_exp_f32_e32 v91, v72
	v_cndmask_b32_e64 v72, 0, v89, s15
	v_add_f32_e32 v89, v78, v71
	v_exp_f32_e32 v80, v80
	s_waitcnt_depctr 0xfff
	v_cndmask_b32_e64 v78, 0, v80, s16
	v_add_f32_e32 v80, v89, v72
	v_exp_f32_e32 v89, v79
	v_cndmask_b32_e64 v79, 0, v91, s17
	s_delay_alu instid0(VALU_DEP_2) | instskip(NEXT) | instid1(VALU_DEP_1)
	v_add_f32_e32 v80, v80, v78
	v_add_f32_e32 v91, v80, v79
	s_waitcnt_depctr 0xfff
	v_cndmask_b32_e64 v80, 0, v89, s18
	s_delay_alu instid0(VALU_DEP_1)
	v_add_f32_e32 v89, v91, v80
	ds_bpermute_b32 v90, v90, v89
	v_cmpx_gt_u32_e32 16, v67
	s_cbranch_execz .LBB1481_12
; %bb.11:
	v_mul_u32_u24_e32 v67, 0x44, v65
	s_waitcnt lgkmcnt(0)
	v_add_f32_e32 v89, v89, v90
	s_delay_alu instid0(VALU_DEP_2) | instskip(NEXT) | instid1(VALU_DEP_1)
	v_lshl_add_u32 v67, v66, 2, v67
	v_add_nc_u32_e32 v67, 0x4000, v67
	ds_store_2addr_b32 v67, v81, v89 offset1:136
.LBB1481_12:
	s_or_b32 exec_lo, exec_lo, s3
	v_lshlrev_b32_e32 v66, 2, v66
	s_waitcnt lgkmcnt(0)
	s_barrier
	buffer_gl0_inv
	v_cmp_eq_u32_e32 vcc_lo, 1, v65
	v_add_nc_u32_e32 v81, 0x4000, v66
	v_cmp_eq_u32_e64 s3, 2, v65
	v_cmp_eq_u32_e64 s5, 7, v65
	ds_load_2addr_b32 v[89:90], v81 offset1:17
	ds_load_2addr_b32 v[91:92], v81 offset0:34 offset1:51
	ds_load_2addr_b32 v[93:94], v81 offset0:68 offset1:85
	;; [unrolled: 1-line block ×4, first 2 shown]
	s_waitcnt lgkmcnt(4)
	v_max3_f32 v66, v89, 0xff7fffff, v90
	s_waitcnt lgkmcnt(3)
	s_delay_alu instid0(VALU_DEP_1) | instskip(SKIP_1) | instid1(VALU_DEP_1)
	v_max3_f32 v66, v66, v91, v92
	s_waitcnt lgkmcnt(2)
	v_max3_f32 v66, v66, v93, v94
	s_waitcnt lgkmcnt(1)
	s_delay_alu instid0(VALU_DEP_1) | instskip(NEXT) | instid1(VALU_DEP_1)
	v_max3_f32 v66, v66, v95, v96
	v_sub_f32_e32 v67, v89, v66
	v_sub_f32_e32 v91, v91, v66
	;; [unrolled: 1-line block ×3, first 2 shown]
	s_delay_alu instid0(VALU_DEP_3) | instskip(NEXT) | instid1(VALU_DEP_3)
	v_mul_f32_e32 v67, 0x3fb8aa3b, v67
	v_mul_f32_e32 v101, 0x3fb8aa3b, v91
	s_delay_alu instid0(VALU_DEP_3) | instskip(NEXT) | instid1(VALU_DEP_3)
	v_mul_f32_e32 v103, 0x3fb8aa3b, v93
	v_exp_f32_e32 v100, v67
	v_sub_f32_e32 v67, v92, v66
	v_sub_f32_e32 v99, v90, v66
	ds_load_2addr_b32 v[89:90], v81 offset0:170 offset1:187
	ds_load_2addr_b32 v[91:92], v81 offset0:204 offset1:221
	v_exp_f32_e32 v101, v101
	v_mul_f32_e32 v102, 0x3fb8aa3b, v67
	v_mul_f32_e32 v99, 0x3fb8aa3b, v99
	s_waitcnt lgkmcnt(2)
	v_fma_f32 v67, v100, v97, 0
	v_sub_f32_e32 v97, v94, v66
	s_delay_alu instid0(VALU_DEP_3)
	v_exp_f32_e32 v99, v99
	v_exp_f32_e32 v102, v102
	ds_load_2addr_b32 v[93:94], v81 offset0:238 offset1:255
	v_sub_f32_e32 v81, v95, v66
	v_mul_f32_e32 v95, 0x3fb8aa3b, v97
	v_exp_f32_e32 v97, v103
	s_waitcnt lgkmcnt(0)
	s_barrier
	v_mul_f32_e32 v81, 0x3fb8aa3b, v81
	v_exp_f32_e32 v95, v95
	v_fmac_f32_e32 v67, v99, v98
	buffer_gl0_inv
	v_exp_f32_e32 v81, v81
	v_fmac_f32_e32 v67, v101, v89
	v_sub_f32_e32 v89, v96, v66
	s_delay_alu instid0(VALU_DEP_2) | instskip(NEXT) | instid1(VALU_DEP_2)
	v_fmac_f32_e32 v67, v102, v90
	v_mul_f32_e32 v89, 0x3fb8aa3b, v89
	s_delay_alu instid0(VALU_DEP_2) | instskip(NEXT) | instid1(VALU_DEP_2)
	v_fmac_f32_e32 v67, v97, v91
	v_exp_f32_e32 v89, v89
	s_delay_alu instid0(VALU_DEP_1)
	v_fmac_f32_e32 v67, v95, v92
	s_delay_alu instid0(TRANS32_DEP_2) | instid1(VALU_DEP_1)
	v_fmac_f32_e32 v67, v81, v93
	s_waitcnt_depctr 0xfff
	v_fmac_f32_e32 v67, v89, v94
	s_delay_alu instid0(VALU_DEP_1) | instskip(NEXT) | instid1(VALU_DEP_1)
	v_add_f32_e32 v90, 0x358637bd, v67
	v_div_scale_f32 v91, null, v90, v90, 1.0
	v_div_scale_f32 v94, s4, 1.0, v90, 1.0
	s_delay_alu instid0(VALU_DEP_2) | instskip(SKIP_2) | instid1(VALU_DEP_1)
	v_rcp_f32_e32 v92, v91
	s_waitcnt_depctr 0xfff
	v_fma_f32 v93, -v91, v92, 1.0
	v_dual_fmac_f32 v92, v93, v92 :: v_dual_cndmask_b32 v93, v100, v99
	v_cmp_eq_u32_e32 vcc_lo, 3, v65
	s_delay_alu instid0(VALU_DEP_2) | instskip(NEXT) | instid1(VALU_DEP_3)
	v_mul_f32_e32 v96, v94, v92
	v_cndmask_b32_e64 v93, v93, v101, s3
	v_cmp_eq_u32_e64 s3, 4, v65
	s_delay_alu instid0(VALU_DEP_3) | instskip(NEXT) | instid1(VALU_DEP_3)
	v_fma_f32 v98, -v91, v96, v94
	v_cndmask_b32_e32 v93, v93, v102, vcc_lo
	v_cmp_eq_u32_e32 vcc_lo, 5, v65
	s_delay_alu instid0(VALU_DEP_3) | instskip(NEXT) | instid1(VALU_DEP_3)
	v_fmac_f32_e32 v96, v98, v92
	v_cndmask_b32_e64 v93, v93, v97, s3
	v_cmp_eq_u32_e64 s3, 6, v65
	s_delay_alu instid0(VALU_DEP_3) | instskip(NEXT) | instid1(VALU_DEP_3)
	v_fma_f32 v91, -v91, v96, v94
	v_cndmask_b32_e32 v93, v93, v95, vcc_lo
	s_mov_b32 vcc_lo, s4
	s_delay_alu instid0(VALU_DEP_2) | instskip(NEXT) | instid1(VALU_DEP_2)
	v_div_fmas_f32 v91, v91, v92, v96
	v_cndmask_b32_e64 v81, v93, v81, s3
	s_mov_b32 s3, exec_lo
	s_delay_alu instid0(VALU_DEP_2) | instskip(NEXT) | instid1(VALU_DEP_2)
	v_div_fixup_f32 v90, v91, v90, 1.0
	v_cndmask_b32_e64 v81, v81, v89, s5
	s_delay_alu instid0(VALU_DEP_1) | instskip(NEXT) | instid1(VALU_DEP_1)
	v_mul_f32_e32 v81, v81, v90
	v_mul_f32_e32 v90, v81, v82
	;; [unrolled: 1-line block ×6, first 2 shown]
	v_dual_mul_f32 v86, v81, v83 :: v_dual_and_b32 v91, 0x7f800000, v90
	v_mul_f32_e32 v89, v81, v85
	v_mul_f32_e32 v85, v81, v77
                                        ; implicit-def: $vgpr77
	s_delay_alu instid0(VALU_DEP_3)
	v_cmpx_ne_u32_e32 0x7f800000, v91
	s_xor_b32 s3, exec_lo, s3
; %bb.13:
	v_bfe_u32 v77, v90, 16, 1
	s_delay_alu instid0(VALU_DEP_1)
	v_add3_u32 v77, v90, v77, 0x7fff
                                        ; implicit-def: $vgpr90
; %bb.14:
	s_and_not1_saveexec_b32 s3, s3
; %bb.15:
	v_and_b32_e32 v77, 0xffff, v90
	v_or_b32_e32 v83, 0x10000, v90
	s_delay_alu instid0(VALU_DEP_2) | instskip(NEXT) | instid1(VALU_DEP_2)
	v_cmp_eq_u32_e32 vcc_lo, 0, v77
	v_cndmask_b32_e32 v77, v83, v90, vcc_lo
; %bb.16:
	s_or_b32 exec_lo, exec_lo, s3
	v_and_b32_e32 v83, 0x7f800000, v85
	s_delay_alu instid0(VALU_DEP_1) | instskip(SKIP_1) | instid1(SALU_CYCLE_1)
	v_cmp_ne_u32_e32 vcc_lo, 0x7f800000, v83
                                        ; implicit-def: $vgpr83
	s_and_saveexec_b32 s3, vcc_lo
	s_xor_b32 s3, exec_lo, s3
; %bb.17:
	v_bfe_u32 v83, v85, 16, 1
	s_delay_alu instid0(VALU_DEP_1)
	v_add3_u32 v83, v85, v83, 0x7fff
                                        ; implicit-def: $vgpr85
; %bb.18:
	s_and_not1_saveexec_b32 s3, s3
; %bb.19:
	v_and_b32_e32 v83, 0xffff, v85
	v_or_b32_e32 v90, 0x10000, v85
	s_delay_alu instid0(VALU_DEP_2) | instskip(NEXT) | instid1(VALU_DEP_2)
	v_cmp_eq_u32_e32 vcc_lo, 0, v83
	v_cndmask_b32_e32 v83, v90, v85, vcc_lo
; %bb.20:
	s_or_b32 exec_lo, exec_lo, s3
	v_and_b32_e32 v85, 0x7f800000, v86
	s_delay_alu instid0(VALU_DEP_1) | instskip(SKIP_1) | instid1(SALU_CYCLE_1)
	v_cmp_ne_u32_e32 vcc_lo, 0x7f800000, v85
                                        ; implicit-def: $vgpr85
	s_and_saveexec_b32 s3, vcc_lo
	s_xor_b32 s3, exec_lo, s3
; %bb.21:
	v_bfe_u32 v85, v86, 16, 1
	s_delay_alu instid0(VALU_DEP_1)
	v_add3_u32 v85, v86, v85, 0x7fff
                                        ; implicit-def: $vgpr86
; %bb.22:
	s_and_not1_saveexec_b32 s3, s3
; %bb.23:
	v_and_b32_e32 v85, 0xffff, v86
	v_or_b32_e32 v90, 0x10000, v86
	s_delay_alu instid0(VALU_DEP_2) | instskip(NEXT) | instid1(VALU_DEP_2)
	v_cmp_eq_u32_e32 vcc_lo, 0, v85
	v_cndmask_b32_e32 v85, v90, v86, vcc_lo
; %bb.24:
	s_or_b32 exec_lo, exec_lo, s3
	v_and_b32_e32 v86, 0x7f800000, v89
	s_delay_alu instid0(VALU_DEP_1) | instskip(SKIP_1) | instid1(SALU_CYCLE_1)
	v_cmp_ne_u32_e32 vcc_lo, 0x7f800000, v86
                                        ; implicit-def: $vgpr86
	s_and_saveexec_b32 s3, vcc_lo
	s_xor_b32 s3, exec_lo, s3
; %bb.25:
	v_bfe_u32 v86, v89, 16, 1
	s_delay_alu instid0(VALU_DEP_1)
	v_add3_u32 v86, v89, v86, 0x7fff
                                        ; implicit-def: $vgpr89
; %bb.26:
	s_and_not1_saveexec_b32 s3, s3
; %bb.27:
	v_and_b32_e32 v86, 0xffff, v89
	v_or_b32_e32 v90, 0x10000, v89
	s_delay_alu instid0(VALU_DEP_2) | instskip(NEXT) | instid1(VALU_DEP_2)
	v_cmp_eq_u32_e32 vcc_lo, 0, v86
	v_cndmask_b32_e32 v86, v90, v89, vcc_lo
; %bb.28:
	s_or_b32 exec_lo, exec_lo, s3
	v_and_b32_e32 v89, 0x7f800000, v88
	s_delay_alu instid0(VALU_DEP_1) | instskip(SKIP_1) | instid1(SALU_CYCLE_1)
	v_cmp_ne_u32_e32 vcc_lo, 0x7f800000, v89
                                        ; implicit-def: $vgpr89
	s_and_saveexec_b32 s3, vcc_lo
	s_xor_b32 s3, exec_lo, s3
; %bb.29:
	v_bfe_u32 v89, v88, 16, 1
	s_delay_alu instid0(VALU_DEP_1)
	v_add3_u32 v89, v88, v89, 0x7fff
                                        ; implicit-def: $vgpr88
; %bb.30:
	s_and_not1_saveexec_b32 s3, s3
; %bb.31:
	v_and_b32_e32 v89, 0xffff, v88
	v_or_b32_e32 v90, 0x10000, v88
	s_delay_alu instid0(VALU_DEP_2) | instskip(NEXT) | instid1(VALU_DEP_2)
	v_cmp_eq_u32_e32 vcc_lo, 0, v89
	v_cndmask_b32_e32 v89, v90, v88, vcc_lo
; %bb.32:
	s_or_b32 exec_lo, exec_lo, s3
	v_and_b32_e32 v88, 0x7f800000, v87
	s_delay_alu instid0(VALU_DEP_1) | instskip(SKIP_1) | instid1(SALU_CYCLE_1)
	v_cmp_ne_u32_e32 vcc_lo, 0x7f800000, v88
                                        ; implicit-def: $vgpr88
	s_and_saveexec_b32 s3, vcc_lo
	s_xor_b32 s3, exec_lo, s3
; %bb.33:
	v_bfe_u32 v88, v87, 16, 1
	s_delay_alu instid0(VALU_DEP_1)
	v_add3_u32 v88, v87, v88, 0x7fff
                                        ; implicit-def: $vgpr87
; %bb.34:
	s_and_not1_saveexec_b32 s3, s3
; %bb.35:
	v_and_b32_e32 v88, 0xffff, v87
	v_or_b32_e32 v90, 0x10000, v87
	s_delay_alu instid0(VALU_DEP_2) | instskip(NEXT) | instid1(VALU_DEP_2)
	v_cmp_eq_u32_e32 vcc_lo, 0, v88
	v_cndmask_b32_e32 v88, v90, v87, vcc_lo
; %bb.36:
	s_or_b32 exec_lo, exec_lo, s3
	v_and_b32_e32 v87, 0x7f800000, v84
	s_delay_alu instid0(VALU_DEP_1) | instskip(SKIP_1) | instid1(SALU_CYCLE_1)
	v_cmp_ne_u32_e32 vcc_lo, 0x7f800000, v87
                                        ; implicit-def: $vgpr87
	s_and_saveexec_b32 s3, vcc_lo
	s_xor_b32 s3, exec_lo, s3
; %bb.37:
	v_bfe_u32 v87, v84, 16, 1
	s_delay_alu instid0(VALU_DEP_1)
	v_add3_u32 v87, v84, v87, 0x7fff
                                        ; implicit-def: $vgpr84
; %bb.38:
	s_and_not1_saveexec_b32 s3, s3
; %bb.39:
	v_and_b32_e32 v87, 0xffff, v84
	v_or_b32_e32 v90, 0x10000, v84
	s_delay_alu instid0(VALU_DEP_2) | instskip(NEXT) | instid1(VALU_DEP_2)
	v_cmp_eq_u32_e32 vcc_lo, 0, v87
	v_cndmask_b32_e32 v87, v90, v84, vcc_lo
; %bb.40:
	s_or_b32 exec_lo, exec_lo, s3
	v_and_b32_e32 v84, 0x7f800000, v82
	s_delay_alu instid0(VALU_DEP_1) | instskip(SKIP_1) | instid1(SALU_CYCLE_1)
	v_cmp_ne_u32_e32 vcc_lo, 0x7f800000, v84
                                        ; implicit-def: $vgpr84
	s_and_saveexec_b32 s3, vcc_lo
	s_xor_b32 s3, exec_lo, s3
; %bb.41:
	v_bfe_u32 v84, v82, 16, 1
	s_delay_alu instid0(VALU_DEP_1)
	v_add3_u32 v84, v82, v84, 0x7fff
                                        ; implicit-def: $vgpr82
; %bb.42:
	s_and_not1_saveexec_b32 s3, s3
; %bb.43:
	v_and_b32_e32 v84, 0xffff, v82
	v_or_b32_e32 v90, 0x10000, v82
	s_delay_alu instid0(VALU_DEP_2) | instskip(NEXT) | instid1(VALU_DEP_2)
	v_cmp_eq_u32_e32 vcc_lo, 0, v84
	v_cndmask_b32_e32 v84, v90, v82, vcc_lo
; %bb.44:
	s_or_b32 exec_lo, exec_lo, s3
	s_load_b64 s[34:35], s[0:1], 0x94
	v_lshlrev_b32_e32 v82, 4, v74
	s_delay_alu instid0(VALU_DEP_2)
	v_perm_b32 v90, v84, v87, 0x7060302
	v_lshlrev_b32_e32 v84, 11, v65
	v_perm_b32 v87, v83, v77, 0x7060302
	v_mul_f32_e32 v83, v81, v69
	v_mul_f32_e32 v69, v81, v80
	v_perm_b32 v89, v88, v89, 0x7060302
	v_perm_b32 v88, v86, v85, 0x7060302
	v_or3_b32 v77, v82, v84, v76
	v_mul_f32_e32 v79, v81, v79
	v_mul_f32_e32 v78, v81, v78
	v_and_b32_e32 v84, 0x7f800000, v83
	v_mul_f32_e32 v72, v81, v72
	v_mul_f32_e32 v82, v81, v71
	;; [unrolled: 1-line block ×4, first 2 shown]
	s_mov_b32 s3, exec_lo
	ds_store_b128 v77, v[87:90]
                                        ; implicit-def: $vgpr68
	v_cmpx_ne_u32_e32 0x7f800000, v84
	s_xor_b32 s3, exec_lo, s3
; %bb.45:
	v_bfe_u32 v68, v83, 16, 1
	s_delay_alu instid0(VALU_DEP_1)
	v_add3_u32 v68, v83, v68, 0x7fff
                                        ; implicit-def: $vgpr83
; %bb.46:
	s_and_not1_saveexec_b32 s3, s3
; %bb.47:
	v_and_b32_e32 v68, 0xffff, v83
	v_or_b32_e32 v70, 0x10000, v83
	s_delay_alu instid0(VALU_DEP_2) | instskip(NEXT) | instid1(VALU_DEP_2)
	v_cmp_eq_u32_e32 vcc_lo, 0, v68
	v_cndmask_b32_e32 v68, v70, v83, vcc_lo
; %bb.48:
	s_or_b32 exec_lo, exec_lo, s3
	v_and_b32_e32 v70, 0x7f800000, v71
	s_delay_alu instid0(VALU_DEP_1) | instskip(SKIP_1) | instid1(SALU_CYCLE_1)
	v_cmp_ne_u32_e32 vcc_lo, 0x7f800000, v70
                                        ; implicit-def: $vgpr70
	s_and_saveexec_b32 s3, vcc_lo
	s_xor_b32 s3, exec_lo, s3
; %bb.49:
	v_bfe_u32 v70, v71, 16, 1
	s_delay_alu instid0(VALU_DEP_1)
	v_add3_u32 v70, v71, v70, 0x7fff
                                        ; implicit-def: $vgpr71
; %bb.50:
	s_and_not1_saveexec_b32 s3, s3
; %bb.51:
	v_and_b32_e32 v70, 0xffff, v71
	v_or_b32_e32 v81, 0x10000, v71
	s_delay_alu instid0(VALU_DEP_2) | instskip(NEXT) | instid1(VALU_DEP_2)
	v_cmp_eq_u32_e32 vcc_lo, 0, v70
	v_cndmask_b32_e32 v70, v81, v71, vcc_lo
; %bb.52:
	s_or_b32 exec_lo, exec_lo, s3
	v_and_b32_e32 v71, 0x7f800000, v80
	s_delay_alu instid0(VALU_DEP_1) | instskip(SKIP_1) | instid1(SALU_CYCLE_1)
	v_cmp_ne_u32_e32 vcc_lo, 0x7f800000, v71
                                        ; implicit-def: $vgpr71
	s_and_saveexec_b32 s3, vcc_lo
	s_xor_b32 s3, exec_lo, s3
; %bb.53:
	v_bfe_u32 v71, v80, 16, 1
	s_delay_alu instid0(VALU_DEP_1)
	v_add3_u32 v71, v80, v71, 0x7fff
                                        ; implicit-def: $vgpr80
; %bb.54:
	s_and_not1_saveexec_b32 s3, s3
; %bb.55:
	v_and_b32_e32 v71, 0xffff, v80
	v_or_b32_e32 v81, 0x10000, v80
	s_delay_alu instid0(VALU_DEP_2) | instskip(NEXT) | instid1(VALU_DEP_2)
	v_cmp_eq_u32_e32 vcc_lo, 0, v71
	v_cndmask_b32_e32 v71, v81, v80, vcc_lo
; %bb.56:
	s_or_b32 exec_lo, exec_lo, s3
	v_and_b32_e32 v80, 0x7f800000, v82
	s_delay_alu instid0(VALU_DEP_1) | instskip(SKIP_1) | instid1(SALU_CYCLE_1)
	v_cmp_ne_u32_e32 vcc_lo, 0x7f800000, v80
                                        ; implicit-def: $vgpr80
	s_and_saveexec_b32 s3, vcc_lo
	s_xor_b32 s3, exec_lo, s3
; %bb.57:
	v_bfe_u32 v80, v82, 16, 1
	s_delay_alu instid0(VALU_DEP_1)
	v_add3_u32 v80, v82, v80, 0x7fff
                                        ; implicit-def: $vgpr82
; %bb.58:
	s_and_not1_saveexec_b32 s3, s3
; %bb.59:
	v_and_b32_e32 v80, 0xffff, v82
	v_or_b32_e32 v81, 0x10000, v82
	s_delay_alu instid0(VALU_DEP_2) | instskip(NEXT) | instid1(VALU_DEP_2)
	v_cmp_eq_u32_e32 vcc_lo, 0, v80
	v_cndmask_b32_e32 v80, v81, v82, vcc_lo
; %bb.60:
	s_or_b32 exec_lo, exec_lo, s3
	v_and_b32_e32 v81, 0x7f800000, v72
	s_delay_alu instid0(VALU_DEP_1) | instskip(SKIP_1) | instid1(SALU_CYCLE_1)
	v_cmp_ne_u32_e32 vcc_lo, 0x7f800000, v81
                                        ; implicit-def: $vgpr81
	s_and_saveexec_b32 s3, vcc_lo
	s_xor_b32 s3, exec_lo, s3
; %bb.61:
	v_bfe_u32 v81, v72, 16, 1
	s_delay_alu instid0(VALU_DEP_1)
	v_add3_u32 v81, v72, v81, 0x7fff
                                        ; implicit-def: $vgpr72
; %bb.62:
	s_and_not1_saveexec_b32 s3, s3
; %bb.63:
	v_and_b32_e32 v81, 0xffff, v72
	v_or_b32_e32 v82, 0x10000, v72
	s_delay_alu instid0(VALU_DEP_2) | instskip(NEXT) | instid1(VALU_DEP_2)
	v_cmp_eq_u32_e32 vcc_lo, 0, v81
	v_cndmask_b32_e32 v81, v82, v72, vcc_lo
; %bb.64:
	s_or_b32 exec_lo, exec_lo, s3
	v_and_b32_e32 v72, 0x7f800000, v78
	s_delay_alu instid0(VALU_DEP_1) | instskip(SKIP_1) | instid1(SALU_CYCLE_1)
	v_cmp_ne_u32_e32 vcc_lo, 0x7f800000, v72
                                        ; implicit-def: $vgpr72
	s_and_saveexec_b32 s3, vcc_lo
	s_xor_b32 s3, exec_lo, s3
; %bb.65:
	v_bfe_u32 v72, v78, 16, 1
	s_delay_alu instid0(VALU_DEP_1)
	v_add3_u32 v72, v78, v72, 0x7fff
                                        ; implicit-def: $vgpr78
; %bb.66:
	s_and_not1_saveexec_b32 s3, s3
; %bb.67:
	v_and_b32_e32 v72, 0xffff, v78
	v_or_b32_e32 v82, 0x10000, v78
	s_delay_alu instid0(VALU_DEP_2) | instskip(NEXT) | instid1(VALU_DEP_2)
	v_cmp_eq_u32_e32 vcc_lo, 0, v72
	v_cndmask_b32_e32 v72, v82, v78, vcc_lo
; %bb.68:
	s_or_b32 exec_lo, exec_lo, s3
	v_and_b32_e32 v78, 0x7f800000, v79
	s_delay_alu instid0(VALU_DEP_1) | instskip(SKIP_1) | instid1(SALU_CYCLE_1)
	v_cmp_ne_u32_e32 vcc_lo, 0x7f800000, v78
                                        ; implicit-def: $vgpr78
	s_and_saveexec_b32 s3, vcc_lo
	s_xor_b32 s3, exec_lo, s3
; %bb.69:
	v_bfe_u32 v78, v79, 16, 1
	s_delay_alu instid0(VALU_DEP_1)
	v_add3_u32 v78, v79, v78, 0x7fff
                                        ; implicit-def: $vgpr79
; %bb.70:
	s_and_not1_saveexec_b32 s3, s3
; %bb.71:
	v_and_b32_e32 v78, 0xffff, v79
	v_or_b32_e32 v82, 0x10000, v79
	s_delay_alu instid0(VALU_DEP_2) | instskip(NEXT) | instid1(VALU_DEP_2)
	v_cmp_eq_u32_e32 vcc_lo, 0, v78
	v_cndmask_b32_e32 v78, v82, v79, vcc_lo
; %bb.72:
	s_or_b32 exec_lo, exec_lo, s3
	v_and_b32_e32 v79, 0x7f800000, v69
	s_delay_alu instid0(VALU_DEP_1) | instskip(SKIP_1) | instid1(SALU_CYCLE_1)
	v_cmp_ne_u32_e32 vcc_lo, 0x7f800000, v79
                                        ; implicit-def: $vgpr79
	s_and_saveexec_b32 s3, vcc_lo
	s_xor_b32 s3, exec_lo, s3
; %bb.73:
	v_bfe_u32 v79, v69, 16, 1
	s_delay_alu instid0(VALU_DEP_1)
	v_add3_u32 v79, v69, v79, 0x7fff
                                        ; implicit-def: $vgpr69
; %bb.74:
	s_and_not1_saveexec_b32 s3, s3
; %bb.75:
	v_and_b32_e32 v79, 0xffff, v69
	v_or_b32_e32 v82, 0x10000, v69
	s_delay_alu instid0(VALU_DEP_2) | instskip(NEXT) | instid1(VALU_DEP_2)
	v_cmp_eq_u32_e32 vcc_lo, 0, v79
	v_cndmask_b32_e32 v79, v82, v69, vcc_lo
; %bb.76:
	s_or_b32 exec_lo, exec_lo, s3
	s_delay_alu instid0(VALU_DEP_1)
	v_perm_b32 v86, v79, v78, 0x7060302
	v_perm_b32 v85, v72, v81, 0x7060302
	;; [unrolled: 1-line block ×4, first 2 shown]
	v_lshl_or_b32 v82, v65, 11, v76
	v_lshlrev_b32_e32 v79, 2, v74
	ds_store_b128 v77, v[83:86] offset:1024
	s_waitcnt lgkmcnt(0)
	s_barrier
	buffer_gl0_inv
	ds_load_b128 v[68:71], v82
	ds_load_b128 v[83:86], v82 offset:16
	v_or_b32_e32 v80, 1, v79
	v_cmp_eq_u32_e32 vcc_lo, 1, v79
	v_cmp_eq_u32_e64 s4, 2, v79
	v_cmp_eq_u32_e64 s7, 3, v79
	;; [unrolled: 1-line block ×6, first 2 shown]
	v_or_b32_e32 v78, 2, v79
	v_cmp_eq_u32_e64 s10, 5, v79
	v_cmp_eq_u32_e64 s11, 4, v80
	;; [unrolled: 1-line block ×9, first 2 shown]
	s_waitcnt lgkmcnt(1)
	v_lshrrev_b32_e32 v65, 16, v68
	s_waitcnt lgkmcnt(0)
	v_lshrrev_b32_e32 v91, 16, v83
	v_lshrrev_b32_e32 v72, 16, v69
	;; [unrolled: 1-line block ×4, first 2 shown]
	v_cndmask_b32_e32 v81, v68, v65, vcc_lo
	v_cndmask_b32_e32 v87, v83, v91, vcc_lo
	v_cndmask_b32_e64 v88, v68, v65, s3
	v_lshrrev_b32_e32 v98, 16, v85
	v_cndmask_b32_e64 v89, v83, v91, s3
	v_cndmask_b32_e64 v81, v81, v69, s4
	v_cndmask_b32_e64 v87, v87, v84, s4
	v_cndmask_b32_e64 v88, v88, v69, s6
	v_lshrrev_b32_e32 v96, 16, v71
	v_cndmask_b32_e64 v89, v89, v84, s6
	v_cndmask_b32_e64 v81, v81, v72, s7
	v_cndmask_b32_e64 v87, v87, v97, s7
	;; [unrolled: 5-line block ×3, first 2 shown]
	v_cndmask_b32_e64 v88, v88, v70, s11
	v_cndmask_b32_e64 v89, v89, v97, s8
	v_cmp_eq_u32_e64 s19, 3, v78
	v_cndmask_b32_e64 v81, v81, v95, s10
	v_cndmask_b32_e64 v87, v87, v98, s10
	;; [unrolled: 1-line block ×4, first 2 shown]
	v_cmp_eq_u32_e64 s20, 4, v78
	v_cndmask_b32_e64 v81, v81, v71, s12
	v_cndmask_b32_e64 v87, v87, v86, s12
	;; [unrolled: 1-line block ×3, first 2 shown]
	v_cmp_eq_u32_e64 s22, 5, v78
	v_cmp_eq_u32_e64 s24, 6, v78
	v_cndmask_b32_e64 v100, v81, v96, s15
	v_cndmask_b32_e64 v101, v87, v99, s15
	;; [unrolled: 1-line block ×6, first 2 shown]
	v_cmp_eq_u32_e64 s27, 7, v78
	v_cndmask_b32_e64 v89, v81, v72, s19
	v_cndmask_b32_e64 v87, v87, v84, s17
	v_or_b32_e32 v81, 3, v79
	v_cndmask_b32_e64 v103, v88, v86, s16
	s_delay_alu instid0(VALU_DEP_4) | instskip(NEXT) | instid1(VALU_DEP_4)
	v_cndmask_b32_e64 v92, v89, v70, s20
	v_cndmask_b32_e64 v93, v87, v97, s19
	s_delay_alu instid0(VALU_DEP_4)
	v_cmp_eq_u32_e64 s21, 1, v81
	ds_load_b128 v[87:90], v82 offset:1024
	v_cmp_eq_u32_e64 s23, 2, v81
	v_cndmask_b32_e64 v104, v92, v95, s22
	v_cmp_eq_u32_e64 s25, 3, v81
	v_cndmask_b32_e64 v65, v68, v65, s21
	v_cndmask_b32_e64 v68, v93, v85, s20
	;; [unrolled: 1-line block ×3, first 2 shown]
	ds_load_b128 v[91:94], v82 offset:1040
	v_cmp_eq_u32_e64 s26, 4, v81
	v_cndmask_b32_e64 v65, v65, v69, s23
	v_cmp_eq_u32_e64 s28, 5, v81
	v_cndmask_b32_e64 v69, v83, v84, s23
	;; [unrolled: 2-line block ×3, first 2 shown]
	v_cndmask_b32_e64 v65, v65, v72, s25
	v_cndmask_b32_e64 v72, v104, v71, s24
	;; [unrolled: 1-line block ×6, first 2 shown]
	s_waitcnt lgkmcnt(1)
	v_lshrrev_b32_e32 v84, 16, v87
	v_cndmask_b32_e64 v69, v69, v85, s26
	v_cndmask_b32_e64 v70, v72, v96, s27
	;; [unrolled: 1-line block ×4, first 2 shown]
	v_cndmask_b32_e32 v72, v87, v84, vcc_lo
	v_cndmask_b32_e64 v69, v69, v98, s28
	s_waitcnt lgkmcnt(0)
	v_lshrrev_b32_e32 v85, 16, v91
	v_lshrrev_b32_e32 v95, 16, v88
	v_cndmask_b32_e64 v97, v87, v84, s3
	v_cndmask_b32_e64 v72, v72, v88, s4
	;; [unrolled: 1-line block ×3, first 2 shown]
	v_cndmask_b32_e32 v98, v91, v85, vcc_lo
	v_cmp_eq_u32_e32 vcc_lo, 7, v81
	v_cndmask_b32_e64 v69, v69, v86, s29
	v_cndmask_b32_e64 v71, v72, v95, s7
	;; [unrolled: 1-line block ×3, first 2 shown]
	v_lshrrev_b32_e32 v97, 16, v92
	v_cndmask_b32_e32 v65, v65, v96, vcc_lo
	v_cndmask_b32_e64 v86, v98, v92, s4
	v_cndmask_b32_e32 v69, v69, v99, vcc_lo
	v_lshrrev_b32_e32 v99, 16, v93
	v_cndmask_b32_e64 v71, v71, v89, s9
	v_lshrrev_b32_e32 v98, 16, v89
	v_cndmask_b32_e64 v86, v86, v97, s7
	v_perm_b32 v70, v68, v70, 0x5040100
	v_cndmask_b32_e64 v72, v72, v95, s8
	s_delay_alu instid0(VALU_DEP_4) | instskip(NEXT) | instid1(VALU_DEP_4)
	v_cndmask_b32_e64 v96, v71, v98, s10
	v_cndmask_b32_e64 v86, v86, v93, s9
	v_perm_b32 v71, v69, v65, 0x5040100
	v_perm_b32 v69, v83, v102, 0x5040100
	v_cndmask_b32_e64 v102, v91, v85, s5
	v_cndmask_b32_e64 v72, v72, v89, s11
	;; [unrolled: 1-line block ×3, first 2 shown]
	v_lshrrev_b32_e32 v83, 16, v94
	s_delay_alu instid0(VALU_DEP_3) | instskip(NEXT) | instid1(VALU_DEP_3)
	v_cndmask_b32_e64 v65, v72, v98, s13
	v_cndmask_b32_e64 v68, v86, v94, s12
	;; [unrolled: 1-line block ×27, first 2 shown]
	v_lshrrev_b32_e32 v96, 16, v90
	v_cndmask_b32_e64 v65, v65, v90, s16
	v_cndmask_b32_e64 v86, v86, v90, s24
	;; [unrolled: 1-line block ×9, first 2 shown]
	v_cndmask_b32_e32 v84, v84, v96, vcc_lo
	v_cndmask_b32_e32 v86, v87, v83, vcc_lo
	v_cndmask_b32_e64 v87, v88, v83, s27
	v_cndmask_b32_e64 v88, v85, v83, s18
	;; [unrolled: 1-line block ×3, first 2 shown]
	v_perm_b32 v68, v101, v100, 0x5040100
	v_perm_b32 v86, v86, v84, 0x5040100
	;; [unrolled: 1-line block ×5, first 2 shown]
	s_lshl_b32 s8, s35, 4
	s_mov_b32 s3, exec_lo
	ds_store_b128 v77, v[68:71]
	ds_store_b128 v77, v[83:86] offset:1024
	v_cmpx_gt_u32_e32 16, v0
	s_cbranch_execz .LBB1481_78
; %bb.77:
	v_or_b32_e32 v65, s31, v0
	s_load_b128 s[4:7], s[0:1], 0x58
	s_delay_alu instid0(VALU_DEP_1) | instskip(NEXT) | instid1(VALU_DEP_1)
	v_mad_u64_u32 v[68:69], null, s8, s30, v[65:66]
	v_mad_u64_u32 v[69:70], null, v68, s34, s[14:15]
	s_delay_alu instid0(VALU_DEP_1) | instskip(NEXT) | instid1(VALU_DEP_1)
	v_ashrrev_i32_e32 v70, 31, v69
	v_lshlrev_b64 v[68:69], 2, v[69:70]
	s_waitcnt lgkmcnt(0)
	s_delay_alu instid0(VALU_DEP_1) | instskip(NEXT) | instid1(VALU_DEP_2)
	v_add_co_u32 v70, vcc_lo, s6, v68
	v_add_co_ci_u32_e32 v71, vcc_lo, s7, v69, vcc_lo
	v_add_co_u32 v68, vcc_lo, s4, v68
	v_add_co_ci_u32_e32 v69, vcc_lo, s5, v69, vcc_lo
	global_store_b32 v[70:71], v66, off
	global_store_b32 v[68:69], v67, off
.LBB1481_78:
	s_or_b32 exec_lo, exec_lo, s3
	s_waitcnt lgkmcnt(0)
	s_waitcnt_vscnt null, 0x0
	s_barrier
	buffer_gl0_inv
	ds_load_b128 v[83:86], v76
	ds_load_b128 v[87:90], v76 offset:16
	ds_load_b128 v[95:98], v76 offset:2064
	;; [unrolled: 1-line block ×3, first 2 shown]
	v_mov_b32_e32 v65, 0
	ds_load_b128 v[103:106], v76 offset:4112
	ds_load_b128 v[99:102], v76 offset:4096
	;; [unrolled: 1-line block ×4, first 2 shown]
	v_mov_b32_e32 v66, v65
	v_mov_b32_e32 v67, v65
	;; [unrolled: 1-line block ×7, first 2 shown]
	s_waitcnt lgkmcnt(6)
	s_delay_alu instid0(VALU_DEP_1)
	v_wmma_f32_16x16x16_bf16 v[65:72], v[57:64], v[83:90], v[65:72]
	ds_load_b128 v[61:64], v76 offset:8208
	ds_load_b128 v[57:60], v76 offset:8192
	s_waitcnt lgkmcnt(6)
	v_wmma_f32_16x16x16_bf16 v[65:72], v[41:48], v[91:98], v[65:72]
	ds_load_b128 v[45:48], v76 offset:10256
	ds_load_b128 v[41:44], v76 offset:10240
	s_waitcnt lgkmcnt(6)
	;; [unrolled: 4-line block ×4, first 2 shown]
	v_wmma_f32_16x16x16_bf16 v[65:72], v[1:8], v[57:64], v[65:72]
	s_waitcnt lgkmcnt(4)
	s_delay_alu instid0(VALU_DEP_1) | instskip(SKIP_1) | instid1(VALU_DEP_1)
	v_wmma_f32_16x16x16_bf16 v[65:72], v[9:16], v[41:48], v[65:72]
	s_waitcnt lgkmcnt(2)
	v_wmma_f32_16x16x16_bf16 v[65:72], v[17:24], v[33:40], v[65:72]
	s_waitcnt lgkmcnt(0)
	s_delay_alu instid0(VALU_DEP_1) | instskip(NEXT) | instid1(VALU_DEP_1)
	v_wmma_f32_16x16x16_bf16 v[65:72], v[49:56], v[25:32], v[65:72]
	v_and_b32_e32 v1, 0x7f800000, v65
	s_delay_alu instid0(VALU_DEP_1) | instskip(SKIP_1) | instid1(SALU_CYCLE_1)
	v_cmp_ne_u32_e32 vcc_lo, 0x7f800000, v1
                                        ; implicit-def: $vgpr1
	s_and_saveexec_b32 s3, vcc_lo
	s_xor_b32 s3, exec_lo, s3
; %bb.79:
	v_bfe_u32 v1, v65, 16, 1
	s_delay_alu instid0(VALU_DEP_1)
	v_add3_u32 v1, v65, v1, 0x7fff
; %bb.80:
	s_and_not1_saveexec_b32 s3, s3
; %bb.81:
	v_and_b32_e32 v1, 0xffff, v65
	v_or_b32_e32 v2, 0x10000, v65
	s_delay_alu instid0(VALU_DEP_2) | instskip(NEXT) | instid1(VALU_DEP_2)
	v_cmp_eq_u32_e32 vcc_lo, 0, v1
	v_cndmask_b32_e32 v1, v2, v65, vcc_lo
; %bb.82:
	s_or_b32 exec_lo, exec_lo, s3
	v_and_b32_e32 v2, 0x7f800000, v66
	s_delay_alu instid0(VALU_DEP_1) | instskip(SKIP_1) | instid1(SALU_CYCLE_1)
	v_cmp_ne_u32_e32 vcc_lo, 0x7f800000, v2
                                        ; implicit-def: $vgpr2
	s_and_saveexec_b32 s3, vcc_lo
	s_xor_b32 s3, exec_lo, s3
; %bb.83:
	v_bfe_u32 v2, v66, 16, 1
	s_delay_alu instid0(VALU_DEP_1)
	v_add3_u32 v2, v66, v2, 0x7fff
; %bb.84:
	s_and_not1_saveexec_b32 s3, s3
; %bb.85:
	v_and_b32_e32 v2, 0xffff, v66
	v_or_b32_e32 v3, 0x10000, v66
	s_delay_alu instid0(VALU_DEP_2) | instskip(NEXT) | instid1(VALU_DEP_2)
	v_cmp_eq_u32_e32 vcc_lo, 0, v2
	v_cndmask_b32_e32 v2, v3, v66, vcc_lo
; %bb.86:
	s_or_b32 exec_lo, exec_lo, s3
	v_and_b32_e32 v3, 0x7f800000, v67
	s_delay_alu instid0(VALU_DEP_1) | instskip(SKIP_1) | instid1(SALU_CYCLE_1)
	v_cmp_ne_u32_e32 vcc_lo, 0x7f800000, v3
                                        ; implicit-def: $vgpr3
	s_and_saveexec_b32 s3, vcc_lo
	s_xor_b32 s3, exec_lo, s3
; %bb.87:
	v_bfe_u32 v3, v67, 16, 1
	s_delay_alu instid0(VALU_DEP_1)
	v_add3_u32 v3, v67, v3, 0x7fff
; %bb.88:
	s_and_not1_saveexec_b32 s3, s3
; %bb.89:
	v_and_b32_e32 v3, 0xffff, v67
	v_or_b32_e32 v4, 0x10000, v67
	s_delay_alu instid0(VALU_DEP_2) | instskip(NEXT) | instid1(VALU_DEP_2)
	v_cmp_eq_u32_e32 vcc_lo, 0, v3
	v_cndmask_b32_e32 v3, v4, v67, vcc_lo
; %bb.90:
	s_or_b32 exec_lo, exec_lo, s3
	v_and_b32_e32 v4, 0x7f800000, v68
	s_delay_alu instid0(VALU_DEP_1) | instskip(SKIP_1) | instid1(SALU_CYCLE_1)
	v_cmp_ne_u32_e32 vcc_lo, 0x7f800000, v4
                                        ; implicit-def: $vgpr4
	s_and_saveexec_b32 s3, vcc_lo
	s_xor_b32 s3, exec_lo, s3
; %bb.91:
	v_bfe_u32 v4, v68, 16, 1
	s_delay_alu instid0(VALU_DEP_1)
	v_add3_u32 v4, v68, v4, 0x7fff
; %bb.92:
	s_and_not1_saveexec_b32 s3, s3
; %bb.93:
	v_and_b32_e32 v4, 0xffff, v68
	v_or_b32_e32 v5, 0x10000, v68
	s_delay_alu instid0(VALU_DEP_2) | instskip(NEXT) | instid1(VALU_DEP_2)
	v_cmp_eq_u32_e32 vcc_lo, 0, v4
	v_cndmask_b32_e32 v4, v5, v68, vcc_lo
; %bb.94:
	s_or_b32 exec_lo, exec_lo, s3
	v_and_b32_e32 v5, 0x7f800000, v69
	s_delay_alu instid0(VALU_DEP_1) | instskip(SKIP_1) | instid1(SALU_CYCLE_1)
	v_cmp_ne_u32_e32 vcc_lo, 0x7f800000, v5
                                        ; implicit-def: $vgpr5
	s_and_saveexec_b32 s3, vcc_lo
	s_xor_b32 s3, exec_lo, s3
; %bb.95:
	v_bfe_u32 v5, v69, 16, 1
	s_delay_alu instid0(VALU_DEP_1)
	v_add3_u32 v5, v69, v5, 0x7fff
; %bb.96:
	s_and_not1_saveexec_b32 s3, s3
; %bb.97:
	v_and_b32_e32 v5, 0xffff, v69
	v_or_b32_e32 v6, 0x10000, v69
	s_delay_alu instid0(VALU_DEP_2) | instskip(NEXT) | instid1(VALU_DEP_2)
	v_cmp_eq_u32_e32 vcc_lo, 0, v5
	v_cndmask_b32_e32 v5, v6, v69, vcc_lo
; %bb.98:
	s_or_b32 exec_lo, exec_lo, s3
	v_and_b32_e32 v6, 0x7f800000, v70
	s_delay_alu instid0(VALU_DEP_1) | instskip(SKIP_1) | instid1(SALU_CYCLE_1)
	v_cmp_ne_u32_e32 vcc_lo, 0x7f800000, v6
                                        ; implicit-def: $vgpr6
	s_and_saveexec_b32 s3, vcc_lo
	s_xor_b32 s3, exec_lo, s3
; %bb.99:
	v_bfe_u32 v6, v70, 16, 1
	s_delay_alu instid0(VALU_DEP_1)
	v_add3_u32 v6, v70, v6, 0x7fff
; %bb.100:
	s_and_not1_saveexec_b32 s3, s3
; %bb.101:
	v_and_b32_e32 v6, 0xffff, v70
	v_or_b32_e32 v7, 0x10000, v70
	s_delay_alu instid0(VALU_DEP_2) | instskip(NEXT) | instid1(VALU_DEP_2)
	v_cmp_eq_u32_e32 vcc_lo, 0, v6
	v_cndmask_b32_e32 v6, v7, v70, vcc_lo
; %bb.102:
	s_or_b32 exec_lo, exec_lo, s3
	v_and_b32_e32 v7, 0x7f800000, v71
	s_delay_alu instid0(VALU_DEP_1) | instskip(SKIP_1) | instid1(SALU_CYCLE_1)
	v_cmp_ne_u32_e32 vcc_lo, 0x7f800000, v7
                                        ; implicit-def: $vgpr7
	s_and_saveexec_b32 s3, vcc_lo
	s_xor_b32 s3, exec_lo, s3
; %bb.103:
	v_bfe_u32 v7, v71, 16, 1
	s_delay_alu instid0(VALU_DEP_1)
	v_add3_u32 v7, v71, v7, 0x7fff
; %bb.104:
	s_and_not1_saveexec_b32 s3, s3
; %bb.105:
	v_and_b32_e32 v7, 0xffff, v71
	v_or_b32_e32 v8, 0x10000, v71
	s_delay_alu instid0(VALU_DEP_2) | instskip(NEXT) | instid1(VALU_DEP_2)
	v_cmp_eq_u32_e32 vcc_lo, 0, v7
	v_cndmask_b32_e32 v7, v8, v71, vcc_lo
; %bb.106:
	s_or_b32 exec_lo, exec_lo, s3
	v_and_b32_e32 v8, 0x7f800000, v72
	s_delay_alu instid0(VALU_DEP_1) | instskip(SKIP_1) | instid1(SALU_CYCLE_1)
	v_cmp_ne_u32_e32 vcc_lo, 0x7f800000, v8
                                        ; implicit-def: $vgpr8
	s_and_saveexec_b32 s3, vcc_lo
	s_xor_b32 s3, exec_lo, s3
; %bb.107:
	v_bfe_u32 v8, v72, 16, 1
	s_delay_alu instid0(VALU_DEP_1)
	v_add3_u32 v8, v72, v8, 0x7fff
                                        ; implicit-def: $vgpr65_vgpr66_vgpr67_vgpr68_vgpr69_vgpr70_vgpr71_vgpr72
; %bb.108:
	s_and_not1_saveexec_b32 s3, s3
; %bb.109:
	v_and_b32_e32 v8, 0xffff, v72
	v_or_b32_e32 v9, 0x10000, v72
	s_delay_alu instid0(VALU_DEP_2) | instskip(NEXT) | instid1(VALU_DEP_2)
	v_cmp_eq_u32_e32 vcc_lo, 0, v8
	v_cndmask_b32_e32 v8, v9, v72, vcc_lo
; %bb.110:
	s_or_b32 exec_lo, exec_lo, s3
	s_delay_alu instid0(VALU_DEP_1)
	v_perm_b32 v7, v8, v7, 0x7060302
	v_perm_b32 v6, v6, v5, 0x7060302
	;; [unrolled: 1-line block ×4, first 2 shown]
	s_barrier
	buffer_gl0_inv
	v_cmp_eq_u32_e32 vcc_lo, 1, v79
	ds_store_b128 v77, v[4:7]
	s_waitcnt lgkmcnt(0)
	s_barrier
	buffer_gl0_inv
	ds_load_b128 v[1:4], v82
	ds_load_b128 v[5:8], v82 offset:16
	v_cmp_eq_u32_e64 s3, 1, v80
	v_cmp_eq_u32_e64 s4, 2, v79
	;; [unrolled: 1-line block ×5, first 2 shown]
	s_waitcnt lgkmcnt(1)
	v_lshrrev_b32_e32 v9, 16, v1
	s_waitcnt lgkmcnt(0)
	v_lshrrev_b32_e32 v13, 16, v5
	v_lshrrev_b32_e32 v10, 16, v2
	;; [unrolled: 1-line block ×4, first 2 shown]
	v_cndmask_b32_e64 v19, v1, v9, s3
	v_cndmask_b32_e32 v18, v5, v13, vcc_lo
	v_cndmask_b32_e64 v20, v5, v13, s3
	v_cndmask_b32_e32 v17, v1, v9, vcc_lo
	v_cmp_eq_u32_e32 vcc_lo, 2, v80
	v_lshrrev_b32_e32 v15, 16, v7
	v_cmp_eq_u32_e64 s3, 1, v78
	v_lshrrev_b32_e32 v12, 16, v4
	v_lshrrev_b32_e32 v16, 16, v8
	v_cndmask_b32_e32 v20, v20, v6, vcc_lo
	v_cndmask_b32_e64 v17, v17, v2, s4
	v_cndmask_b32_e32 v19, v19, v2, vcc_lo
	v_cndmask_b32_e64 v18, v18, v6, s4
	v_cmp_eq_u32_e32 vcc_lo, 4, v79
	v_cmp_eq_u32_e64 s4, 3, v80
	v_cndmask_b32_e64 v17, v17, v10, s5
	v_cndmask_b32_e64 v21, v1, v9, s3
	;; [unrolled: 1-line block ×5, first 2 shown]
	v_cndmask_b32_e32 v17, v17, v3, vcc_lo
	v_cndmask_b32_e64 v20, v20, v14, s4
	v_cndmask_b32_e32 v18, v18, v7, vcc_lo
	v_cmp_eq_u32_e32 vcc_lo, 4, v80
	v_cmp_eq_u32_e64 s4, 5, v80
	v_cmp_eq_u32_e64 s3, 2, v81
	v_cndmask_b32_e64 v21, v21, v2, s7
	v_cmp_eq_u32_e64 s5, 5, v79
	v_cndmask_b32_e32 v19, v19, v3, vcc_lo
	v_cndmask_b32_e32 v20, v20, v7, vcc_lo
	v_cmp_eq_u32_e32 vcc_lo, 6, v80
	s_delay_alu instid0(VALU_DEP_4) | instskip(NEXT) | instid1(VALU_DEP_4)
	v_cndmask_b32_e64 v17, v17, v11, s5
	v_cndmask_b32_e64 v19, v19, v11, s4
	s_delay_alu instid0(VALU_DEP_4) | instskip(SKIP_1) | instid1(VALU_DEP_3)
	v_cndmask_b32_e64 v20, v20, v15, s4
	v_cmp_eq_u32_e64 s4, 1, v81
	v_cndmask_b32_e32 v19, v19, v4, vcc_lo
	v_cndmask_b32_e64 v18, v18, v15, s5
	s_delay_alu instid0(VALU_DEP_3)
	v_cndmask_b32_e64 v1, v1, v9, s4
	v_cndmask_b32_e64 v5, v5, v13, s4
	v_cmp_eq_u32_e64 s4, 3, v78
	v_cndmask_b32_e64 v13, v22, v6, s7
	v_cmp_eq_u32_e64 s7, 3, v81
	v_cndmask_b32_e64 v1, v1, v2, s3
	v_cndmask_b32_e64 v2, v5, v6, s3
	v_cndmask_b32_e64 v9, v21, v10, s4
	v_cmp_eq_u32_e64 s3, 4, v78
	v_cndmask_b32_e64 v6, v13, v14, s4
	v_cndmask_b32_e64 v1, v1, v10, s7
	v_cmp_eq_u32_e64 s4, 4, v81
	v_cndmask_b32_e64 v2, v2, v14, s7
	v_cndmask_b32_e64 v5, v9, v3, s3
	;; [unrolled: 3-line block ×3, first 2 shown]
	v_cndmask_b32_e64 v2, v2, v7, s4
	v_cmp_eq_u32_e64 s3, 5, v81
	v_cmp_eq_u32_e64 s5, 6, v79
	v_cndmask_b32_e64 v5, v5, v11, s7
	v_cmp_eq_u32_e64 s4, 6, v78
	v_cndmask_b32_e64 v3, v6, v15, s7
	v_cndmask_b32_e64 v1, v1, v11, s3
	v_cmp_eq_u32_e64 s7, 6, v81
	v_cndmask_b32_e64 v2, v2, v15, s3
	v_cndmask_b32_e64 v17, v17, v4, s5
	v_cndmask_b32_e64 v18, v18, v8, s5
	v_cmp_eq_u32_e64 s5, 7, v79
	v_cndmask_b32_e64 v5, v5, v4, s4
	;; [unrolled: 4-line block ×3, first 2 shown]
	v_cmp_eq_u32_e64 s4, 7, v78
	v_cndmask_b32_e32 v4, v20, v8, vcc_lo
	v_cndmask_b32_e64 v17, v17, v12, s5
	v_cndmask_b32_e64 v19, v19, v12, s6
	;; [unrolled: 1-line block ×8, first 2 shown]
	v_cmp_gt_u32_e32 vcc_lo, 32, v0
	v_perm_b32 v4, v2, v1, 0x5040100
	v_perm_b32 v3, v3, v5, 0x5040100
	;; [unrolled: 1-line block ×4, first 2 shown]
	s_and_b32 s2, vcc_lo, s2
	ds_store_b128 v77, v[1:4]
	s_waitcnt lgkmcnt(0)
	s_barrier
	buffer_gl0_inv
	s_and_saveexec_b32 s3, s2
	s_cbranch_execz .LBB1481_2
; %bb.111:
	s_load_b64 s[0:1], s[0:1], 0x68
	v_lshlrev_b32_e32 v0, 10, v0
	s_lshl_b32 s4, s34, 6
	v_or_b32_e32 v23, s31, v74
	s_mul_i32 s2, s4, s30
	v_lshlrev_b32_e32 v1, 4, v75
	v_lshlrev_b32_e32 v2, 6, v74
	s_mul_i32 s2, s2, s8
	v_and_b32_e32 v0, 0x3800, v0
	v_mul_lo_u32 v8, v23, s4
	s_ashr_i32 s3, s2, 31
	v_or_b32_e32 v3, 2, v23
	s_lshl_b64 s[2:3], s[2:3], 1
	v_or3_b32 v27, v0, v1, v2
	v_or_b32_e32 v11, 4, v23
	v_or_b32_e32 v18, 6, v23
	v_mul_lo_u32 v10, v3, s4
	v_ashrrev_i32_e32 v9, 31, v8
	ds_load_b128 v[0:3], v27
	ds_load_b128 v[4:7], v27 offset:128
	v_mul_lo_u32 v12, v11, s4
	s_waitcnt lgkmcnt(0)
	s_add_u32 s2, s0, s2
	s_addc_u32 s3, s1, s3
	s_lshl_b32 s0, s14, 6
	v_lshlrev_b64 v[8:9], 1, v[8:9]
	s_ashr_i32 s1, s0, 31
	v_ashrrev_i32_e32 v11, 31, v10
	s_lshl_b64 s[0:1], s[0:1], 1
	v_ashrrev_i32_e32 v13, 31, v12
	s_add_u32 s0, s2, s0
	s_addc_u32 s1, s3, s1
	v_add_co_u32 v30, s0, s0, v73
	s_delay_alu instid0(VALU_DEP_1) | instskip(SKIP_1) | instid1(VALU_DEP_3)
	v_add_co_ci_u32_e64 v31, null, s1, 0, s0
	v_lshlrev_b64 v[16:17], 1, v[10:11]
	v_add_co_u32 v14, vcc_lo, v30, v8
	s_delay_alu instid0(VALU_DEP_3)
	v_add_co_ci_u32_e32 v15, vcc_lo, v31, v9, vcc_lo
	ds_load_b128 v[8:11], v27 offset:256
	v_mul_lo_u32 v18, v18, s4
	v_or_b32_e32 v19, 8, v23
	v_add_co_u32 v16, vcc_lo, v30, v16
	global_store_b128 v[14:15], v[0:3], off
	v_lshlrev_b64 v[0:1], 1, v[12:13]
	v_add_co_ci_u32_e32 v17, vcc_lo, v31, v17, vcc_lo
	v_mul_lo_u32 v12, v19, s4
	v_ashrrev_i32_e32 v19, 31, v18
	v_or_b32_e32 v14, 10, v23
	global_store_b128 v[16:17], v[4:7], off
	v_add_co_u32 v4, vcc_lo, v30, v0
	v_add_co_ci_u32_e32 v5, vcc_lo, v31, v1, vcc_lo
	ds_load_b128 v[0:3], v27 offset:384
	v_ashrrev_i32_e32 v13, 31, v12
	v_lshlrev_b64 v[6:7], 1, v[18:19]
	v_mul_lo_u32 v14, v14, s4
	s_waitcnt lgkmcnt(1)
	global_store_b128 v[4:5], v[8:11], off
	v_or_b32_e32 v8, 12, v23
	v_lshlrev_b64 v[4:5], 1, v[12:13]
	v_add_co_u32 v20, vcc_lo, v30, v6
	v_or_b32_e32 v6, 14, v23
	v_ashrrev_i32_e32 v15, 31, v14
	v_mul_lo_u32 v22, v8, s4
	v_add_co_ci_u32_e32 v21, vcc_lo, v31, v7, vcc_lo
	v_add_co_u32 v24, vcc_lo, v30, v4
	v_mul_lo_u32 v26, v6, s4
	v_add_co_ci_u32_e32 v25, vcc_lo, v31, v5, vcc_lo
	v_lshlrev_b64 v[28:29], 1, v[14:15]
	ds_load_b128 v[4:7], v27 offset:512
	ds_load_b128 v[8:11], v27 offset:640
	ds_load_b128 v[12:15], v27 offset:768
	ds_load_b128 v[16:19], v27 offset:896
	v_ashrrev_i32_e32 v23, 31, v22
	v_ashrrev_i32_e32 v27, 31, v26
	v_add_co_u32 v28, vcc_lo, v30, v28
	s_delay_alu instid0(VALU_DEP_3) | instskip(SKIP_1) | instid1(VALU_DEP_4)
	v_lshlrev_b64 v[22:23], 1, v[22:23]
	v_add_co_ci_u32_e32 v29, vcc_lo, v31, v29, vcc_lo
	v_lshlrev_b64 v[26:27], 1, v[26:27]
	s_delay_alu instid0(VALU_DEP_3) | instskip(NEXT) | instid1(VALU_DEP_4)
	v_add_co_u32 v22, vcc_lo, v30, v22
	v_add_co_ci_u32_e32 v23, vcc_lo, v31, v23, vcc_lo
	s_delay_alu instid0(VALU_DEP_3) | instskip(NEXT) | instid1(VALU_DEP_4)
	v_add_co_u32 v26, vcc_lo, v30, v26
	v_add_co_ci_u32_e32 v27, vcc_lo, v31, v27, vcc_lo
	s_waitcnt lgkmcnt(4)
	global_store_b128 v[20:21], v[0:3], off
	s_waitcnt lgkmcnt(3)
	global_store_b128 v[24:25], v[4:7], off
	;; [unrolled: 2-line block ×5, first 2 shown]
	s_nop 0
	s_sendmsg sendmsg(MSG_DEALLOC_VGPRS)
	s_endpgm
	.section	.rodata,"a",@progbits
	.p2align	6, 0x0
	.amdhsa_kernel _Z39paged_attention_ll4mi_QKV_mfma16_kernelI14__hip_bfloat16hLN4vllm18Fp8KVCacheDataTypeE1ES0_Li32ELi64ELi256ELb1ELi16EL8MFMAType1EEvPKT_PKT0_S9_ifPKiSB_SB_iPKfiiiPfSE_PS4_PT2_iSD_SD_
		.amdhsa_group_segment_fixed_size 17472
		.amdhsa_private_segment_fixed_size 0
		.amdhsa_kernarg_size 400
		.amdhsa_user_sgpr_count 13
		.amdhsa_user_sgpr_dispatch_ptr 0
		.amdhsa_user_sgpr_queue_ptr 0
		.amdhsa_user_sgpr_kernarg_segment_ptr 1
		.amdhsa_user_sgpr_dispatch_id 0
		.amdhsa_user_sgpr_private_segment_size 0
		.amdhsa_wavefront_size32 1
		.amdhsa_uses_dynamic_stack 0
		.amdhsa_enable_private_segment 0
		.amdhsa_system_sgpr_workgroup_id_x 1
		.amdhsa_system_sgpr_workgroup_id_y 1
		.amdhsa_system_sgpr_workgroup_id_z 1
		.amdhsa_system_sgpr_workgroup_info 0
		.amdhsa_system_vgpr_workitem_id 0
		.amdhsa_next_free_vgpr 125
		.amdhsa_next_free_sgpr 40
		.amdhsa_reserve_vcc 1
		.amdhsa_float_round_mode_32 0
		.amdhsa_float_round_mode_16_64 0
		.amdhsa_float_denorm_mode_32 3
		.amdhsa_float_denorm_mode_16_64 3
		.amdhsa_dx10_clamp 1
		.amdhsa_ieee_mode 1
		.amdhsa_fp16_overflow 0
		.amdhsa_workgroup_processor_mode 1
		.amdhsa_memory_ordered 1
		.amdhsa_forward_progress 0
		.amdhsa_shared_vgpr_count 0
		.amdhsa_exception_fp_ieee_invalid_op 0
		.amdhsa_exception_fp_denorm_src 0
		.amdhsa_exception_fp_ieee_div_zero 0
		.amdhsa_exception_fp_ieee_overflow 0
		.amdhsa_exception_fp_ieee_underflow 0
		.amdhsa_exception_fp_ieee_inexact 0
		.amdhsa_exception_int_div_zero 0
	.end_amdhsa_kernel
	.section	.text._Z39paged_attention_ll4mi_QKV_mfma16_kernelI14__hip_bfloat16hLN4vllm18Fp8KVCacheDataTypeE1ES0_Li32ELi64ELi256ELb1ELi16EL8MFMAType1EEvPKT_PKT0_S9_ifPKiSB_SB_iPKfiiiPfSE_PS4_PT2_iSD_SD_,"axG",@progbits,_Z39paged_attention_ll4mi_QKV_mfma16_kernelI14__hip_bfloat16hLN4vllm18Fp8KVCacheDataTypeE1ES0_Li32ELi64ELi256ELb1ELi16EL8MFMAType1EEvPKT_PKT0_S9_ifPKiSB_SB_iPKfiiiPfSE_PS4_PT2_iSD_SD_,comdat
.Lfunc_end1481:
	.size	_Z39paged_attention_ll4mi_QKV_mfma16_kernelI14__hip_bfloat16hLN4vllm18Fp8KVCacheDataTypeE1ES0_Li32ELi64ELi256ELb1ELi16EL8MFMAType1EEvPKT_PKT0_S9_ifPKiSB_SB_iPKfiiiPfSE_PS4_PT2_iSD_SD_, .Lfunc_end1481-_Z39paged_attention_ll4mi_QKV_mfma16_kernelI14__hip_bfloat16hLN4vllm18Fp8KVCacheDataTypeE1ES0_Li32ELi64ELi256ELb1ELi16EL8MFMAType1EEvPKT_PKT0_S9_ifPKiSB_SB_iPKfiiiPfSE_PS4_PT2_iSD_SD_
                                        ; -- End function
	.section	.AMDGPU.csdata,"",@progbits
; Kernel info:
; codeLenInByte = 8928
; NumSgprs: 42
; NumVgprs: 125
; ScratchSize: 0
; MemoryBound: 0
; FloatMode: 240
; IeeeMode: 1
; LDSByteSize: 17472 bytes/workgroup (compile time only)
; SGPRBlocks: 5
; VGPRBlocks: 15
; NumSGPRsForWavesPerEU: 42
; NumVGPRsForWavesPerEU: 125
; Occupancy: 10
; WaveLimiterHint : 1
; COMPUTE_PGM_RSRC2:SCRATCH_EN: 0
; COMPUTE_PGM_RSRC2:USER_SGPR: 13
; COMPUTE_PGM_RSRC2:TRAP_HANDLER: 0
; COMPUTE_PGM_RSRC2:TGID_X_EN: 1
; COMPUTE_PGM_RSRC2:TGID_Y_EN: 1
; COMPUTE_PGM_RSRC2:TGID_Z_EN: 1
; COMPUTE_PGM_RSRC2:TIDIG_COMP_CNT: 0
	.section	.text._Z39paged_attention_ll4mi_QKV_mfma16_kernelI14__hip_bfloat16hLN4vllm18Fp8KVCacheDataTypeE1ES0_Li32ELi64ELi256ELb1ELi1EL8MFMAType1EEvPKT_PKT0_S9_ifPKiSB_SB_iPKfiiiPfSE_PS4_PT2_iSD_SD_,"axG",@progbits,_Z39paged_attention_ll4mi_QKV_mfma16_kernelI14__hip_bfloat16hLN4vllm18Fp8KVCacheDataTypeE1ES0_Li32ELi64ELi256ELb1ELi1EL8MFMAType1EEvPKT_PKT0_S9_ifPKiSB_SB_iPKfiiiPfSE_PS4_PT2_iSD_SD_,comdat
	.protected	_Z39paged_attention_ll4mi_QKV_mfma16_kernelI14__hip_bfloat16hLN4vllm18Fp8KVCacheDataTypeE1ES0_Li32ELi64ELi256ELb1ELi1EL8MFMAType1EEvPKT_PKT0_S9_ifPKiSB_SB_iPKfiiiPfSE_PS4_PT2_iSD_SD_ ; -- Begin function _Z39paged_attention_ll4mi_QKV_mfma16_kernelI14__hip_bfloat16hLN4vllm18Fp8KVCacheDataTypeE1ES0_Li32ELi64ELi256ELb1ELi1EL8MFMAType1EEvPKT_PKT0_S9_ifPKiSB_SB_iPKfiiiPfSE_PS4_PT2_iSD_SD_
	.globl	_Z39paged_attention_ll4mi_QKV_mfma16_kernelI14__hip_bfloat16hLN4vllm18Fp8KVCacheDataTypeE1ES0_Li32ELi64ELi256ELb1ELi1EL8MFMAType1EEvPKT_PKT0_S9_ifPKiSB_SB_iPKfiiiPfSE_PS4_PT2_iSD_SD_
	.p2align	8
	.type	_Z39paged_attention_ll4mi_QKV_mfma16_kernelI14__hip_bfloat16hLN4vllm18Fp8KVCacheDataTypeE1ES0_Li32ELi64ELi256ELb1ELi1EL8MFMAType1EEvPKT_PKT0_S9_ifPKiSB_SB_iPKfiiiPfSE_PS4_PT2_iSD_SD_,@function
_Z39paged_attention_ll4mi_QKV_mfma16_kernelI14__hip_bfloat16hLN4vllm18Fp8KVCacheDataTypeE1ES0_Li32ELi64ELi256ELb1ELi1EL8MFMAType1EEvPKT_PKT0_S9_ifPKiSB_SB_iPKfiiiPfSE_PS4_PT2_iSD_SD_: ; @_Z39paged_attention_ll4mi_QKV_mfma16_kernelI14__hip_bfloat16hLN4vllm18Fp8KVCacheDataTypeE1ES0_Li32ELi64ELi256ELb1ELi1EL8MFMAType1EEvPKT_PKT0_S9_ifPKiSB_SB_iPKfiiiPfSE_PS4_PT2_iSD_SD_
; %bb.0:
	s_load_b64 s[4:5], s[0:1], 0x30
	s_mov_b32 s34, s13
	s_waitcnt lgkmcnt(0)
	s_cmp_lg_u64 s[4:5], 0
	s_cselect_b32 s6, -1, 0
	s_ashr_i32 s35, s13, 31
	s_cmp_eq_u64 s[4:5], 0
	s_cbranch_scc1 .LBB1482_3
; %bb.1:
	s_lshl_b64 s[2:3], s[34:35], 2
	s_delay_alu instid0(SALU_CYCLE_1) | instskip(SKIP_4) | instid1(SALU_CYCLE_1)
	s_add_u32 s2, s4, s2
	s_addc_u32 s3, s5, s3
	s_load_b64 s[2:3], s[2:3], 0x0
	s_waitcnt lgkmcnt(0)
	s_sub_i32 s2, s3, s2
	s_cmp_eq_u32 s2, 1
	s_cselect_b32 s2, -1, 0
	s_delay_alu instid0(SALU_CYCLE_1)
	s_and_not1_b32 vcc_lo, exec_lo, s2
	s_cbranch_vccz .LBB1482_4
.LBB1482_2:
	s_endpgm
.LBB1482_3:
.LBB1482_4:
	s_load_b64 s[2:3], s[0:1], 0x28
	s_lshl_b64 s[8:9], s[34:35], 2
	s_waitcnt lgkmcnt(0)
	s_add_u32 s2, s2, s8
	s_addc_u32 s3, s3, s9
	s_lshl_b32 s12, s14, 8
	s_load_b32 s33, s[2:3], 0x0
	s_waitcnt lgkmcnt(0)
	s_cmp_ge_i32 s12, s33
	s_cbranch_scc1 .LBB1482_2
; %bb.5:
	s_clause 0x1
	s_load_b128 s[28:31], s[0:1], 0x8
	s_load_b64 s[2:3], s[0:1], 0x20
	s_and_not1_b32 vcc_lo, exec_lo, s6
	s_mov_b64 s[6:7], s[34:35]
	s_cbranch_vccnz .LBB1482_7
; %bb.6:
	s_add_u32 s4, s4, s8
	s_addc_u32 s5, s5, s9
	s_load_b32 s6, s[4:5], 0x0
.LBB1482_7:
	s_load_b128 s[24:27], s[0:1], 0x48
	v_and_b32_e32 v73, 15, v0
	s_mov_b32 s13, exec_lo
                                        ; implicit-def: $sgpr16
                                        ; implicit-def: $sgpr4
	s_delay_alu instid0(VALU_DEP_1)
	v_cmpx_eq_u32_e32 0, v73
	s_cbranch_execz .LBB1482_9
; %bb.8:
	s_load_b64 s[4:5], s[0:1], 0x0
	s_waitcnt lgkmcnt(0)
	s_mul_hi_i32 s7, s6, s24
	s_mul_i32 s6, s6, s24
	s_delay_alu instid0(SALU_CYCLE_1) | instskip(NEXT) | instid1(SALU_CYCLE_1)
	s_lshl_b64 s[6:7], s[6:7], 1
	s_add_u32 s6, s4, s6
	s_addc_u32 s7, s5, s7
	s_lshl_b32 s4, s15, 6
	s_delay_alu instid0(SALU_CYCLE_1) | instskip(NEXT) | instid1(SALU_CYCLE_1)
	s_ashr_i32 s5, s4, 31
	s_lshl_b64 s[4:5], s[4:5], 1
	s_delay_alu instid0(SALU_CYCLE_1)
	s_add_u32 s4, s6, s4
	s_addc_u32 s5, s7, s5
	s_clause 0x1
	s_load_b256 s[16:23], s[4:5], 0x0
	s_load_b256 s[4:11], s[4:5], 0x40
.LBB1482_9:
	s_or_b32 exec_lo, exec_lo, s13
	s_waitcnt lgkmcnt(0)
	v_dual_mov_b32 v114, s23 :: v_dual_and_b32 v1, 0xef, v0
	s_add_i32 s13, s33, 31
	s_load_b32 s27, s[0:1], 0x38
	s_ashr_i32 s24, s13, 31
	s_delay_alu instid0(VALU_DEP_1) | instskip(SKIP_3) | instid1(VALU_DEP_2)
	v_dual_mov_b32 v112, s21 :: v_dual_add_nc_u32 v1, s12, v1
	s_lshr_b32 s24, s24, 27
	v_lshrrev_b32_e32 v65, 5, v0
	s_add_i32 s13, s13, s24
	v_ashrrev_i32_e32 v2, 31, v1
	v_or_b32_e32 v3, 16, v1
	s_ashr_i32 s13, s13, 5
	v_cmp_gt_i32_e32 vcc_lo, s33, v1
	s_add_i32 s13, s13, -1
	v_lshrrev_b32_e32 v2, 27, v2
	s_load_b32 s24, s[0:1], 0x1c
	v_dual_mov_b32 v111, s20 :: v_dual_mov_b32 v108, s17
	v_mbcnt_lo_u32_b32 v67, -1, 0
	s_delay_alu instid0(VALU_DEP_3)
	v_dual_mov_b32 v113, s22 :: v_dual_add_nc_u32 v4, v1, v2
	v_lshlrev_b32_e32 v74, 4, v73
	s_waitcnt lgkmcnt(0)
	s_mul_i32 s36, s34, s27
	v_xor_b32_e32 v68, 16, v67
	v_ashrrev_i32_e32 v4, 5, v4
	v_add_nc_u32_e32 v2, v3, v2
	s_ashr_i32 s37, s36, 31
	v_mov_b32_e32 v110, s19
	s_lshl_b64 s[36:37], s[36:37], 2
	v_cndmask_b32_e32 v1, s13, v4, vcc_lo
	v_ashrrev_i32_e32 v2, 5, v2
	v_cmp_gt_i32_e32 vcc_lo, s33, v3
	s_add_u32 s36, s2, s36
	s_addc_u32 s35, s3, s37
	s_mul_i32 s37, s15, s26
	v_and_b32_e32 v66, 0xe0, v0
	v_cndmask_b32_e32 v3, s13, v2, vcc_lo
	v_ashrrev_i32_e32 v2, 31, v1
	s_ashr_i32 s38, s37, 31
	s_add_u32 s40, s28, s37
	s_addc_u32 s41, s29, s38
	v_ashrrev_i32_e32 v4, 31, v3
	v_lshlrev_b64 v[1:2], 2, v[1:2]
	s_lshl_b32 s2, s14, 3
	v_add_nc_u32_e32 v66, s12, v66
	s_ashr_i32 s3, s2, 31
	v_lshlrev_b64 v[3:4], 2, v[3:4]
	s_lshl_b64 s[2:3], s[2:3], 2
	v_add_co_u32 v1, vcc_lo, s36, v1
	v_add_co_ci_u32_e32 v2, vcc_lo, s35, v2, vcc_lo
	s_delay_alu instid0(VALU_DEP_3) | instskip(NEXT) | instid1(VALU_DEP_4)
	v_add_co_u32 v3, vcc_lo, s36, v3
	v_add_co_ci_u32_e32 v4, vcc_lo, s35, v4, vcc_lo
	s_clause 0x1
	global_load_b32 v5, v[1:2], off
	global_load_b32 v6, v[3:4], off
	s_add_u32 s2, s36, s2
	s_addc_u32 s3, s35, s3
	s_or_b32 s26, s12, 32
	s_delay_alu instid0(SALU_CYCLE_1) | instskip(SKIP_2) | instid1(SALU_CYCLE_1)
	s_ashr_i32 s27, s26, 5
	s_cmp_lt_i32 s26, s33
	s_cselect_b32 s26, s27, s13
	s_ashr_i32 s27, s26, 31
	s_delay_alu instid0(SALU_CYCLE_1) | instskip(NEXT) | instid1(SALU_CYCLE_1)
	s_lshl_b64 s[26:27], s[26:27], 2
	s_add_u32 s26, s36, s26
	s_addc_u32 s27, s35, s27
	s_or_b32 s28, s12, 64
	s_delay_alu instid0(SALU_CYCLE_1) | instskip(SKIP_2) | instid1(SALU_CYCLE_1)
	s_ashr_i32 s29, s28, 5
	s_cmp_lt_i32 s28, s33
	s_cselect_b32 s28, s29, s13
	s_ashr_i32 s29, s28, 31
	s_delay_alu instid0(SALU_CYCLE_1) | instskip(NEXT) | instid1(SALU_CYCLE_1)
	s_lshl_b64 s[28:29], s[28:29], 2
	;; [unrolled: 10-line block ×5, first 2 shown]
	s_add_u32 s48, s36, s28
	s_addc_u32 s49, s35, s29
	s_clause 0x5
	s_load_b32 s29, s[2:3], 0x0
	s_load_b32 s2, s[26:27], 0x0
	;; [unrolled: 1-line block ×6, first 2 shown]
	s_or_b32 s39, s12, 0xc0
	s_waitcnt vmcnt(1)
	v_mad_i64_i32 v[1:2], null, v5, s25, s[40:41]
	s_waitcnt vmcnt(0)
	v_mad_i64_i32 v[3:4], null, v6, s25, s[40:41]
	s_ashr_i32 s40, s39, 5
	s_cmp_lt_i32 s39, s33
	s_cselect_b32 s40, s40, s13
	s_delay_alu instid0(VALU_DEP_2) | instskip(NEXT) | instid1(VALU_DEP_3)
	v_add_co_u32 v1, vcc_lo, v1, v74
	v_add_co_ci_u32_e32 v2, vcc_lo, 0, v2, vcc_lo
	s_delay_alu instid0(VALU_DEP_3) | instskip(NEXT) | instid1(VALU_DEP_4)
	v_add_co_u32 v3, vcc_lo, v3, v74
	v_add_co_ci_u32_e32 v4, vcc_lo, 0, v4, vcc_lo
	s_clause 0x7
	global_load_b128 v[75:78], v[1:2], off
	global_load_b128 v[79:82], v[1:2], off offset:512
	global_load_b128 v[83:86], v[3:4], off offset:256
	;; [unrolled: 1-line block ×7, first 2 shown]
	s_ashr_i32 s41, s40, 31
	v_lshlrev_b32_e32 v1, 5, v73
	s_lshl_b64 s[40:41], s[40:41], 2
	v_cmp_gt_i32_e32 vcc_lo, 32, v68
	s_add_u32 s40, s36, s40
	s_addc_u32 s41, s35, s41
	s_or_b32 s39, s12, 0xe0
	v_lshl_or_b32 v1, v65, 9, v1
	s_ashr_i32 s42, s39, 5
	s_cmp_lt_i32 s39, s33
	s_cselect_b32 s42, s42, s13
	s_load_b32 s13, s[40:41], 0x0
	s_ashr_i32 s43, s42, 31
	s_delay_alu instid0(SALU_CYCLE_1) | instskip(NEXT) | instid1(SALU_CYCLE_1)
	s_lshl_b64 s[42:43], s[42:43], 2
	s_add_u32 s40, s36, s42
	s_addc_u32 s41, s35, s43
	s_add_u32 s30, s30, s37
	s_addc_u32 s31, s31, s38
	v_add_co_u32 v1, s30, s30, v1
	s_delay_alu instid0(VALU_DEP_1) | instskip(SKIP_3) | instid1(VALU_DEP_1)
	v_add_co_ci_u32_e64 v2, null, s31, 0, s30
	s_load_b32 s30, s[40:41], 0x0
	s_mov_b32 s36, 0
	s_waitcnt lgkmcnt(0)
	v_mad_i64_i32 v[3:4], null, s29, s25, v[1:2]
	v_mad_i64_i32 v[9:10], null, s26, s25, v[1:2]
	;; [unrolled: 1-line block ×7, first 2 shown]
	s_clause 0x5
	global_load_b128 v[49:52], v[3:4], off
	global_load_b128 v[53:56], v[3:4], off offset:16
	global_load_b128 v[41:44], v[5:6], off
	global_load_b128 v[45:48], v[5:6], off offset:16
	;; [unrolled: 2-line block ×3, first 2 shown]
	s_mov_b32 s43, s36
	s_mov_b32 s37, s36
	v_mad_i64_i32 v[61:62], null, s30, s25, v[1:2]
	s_clause 0x9
	global_load_b128 v[25:28], v[9:10], off
	global_load_b128 v[29:32], v[9:10], off offset:16
	global_load_b128 v[1:4], v[11:12], off
	global_load_b128 v[5:8], v[11:12], off offset:16
	;; [unrolled: 2-line block ×5, first 2 shown]
	s_mov_b32 s38, s36
	s_mov_b32 s39, s36
	;; [unrolled: 1-line block ×5, first 2 shown]
	v_dual_mov_b32 v109, s18 :: v_dual_mov_b32 v122, s43
	v_dual_mov_b32 v107, s16 :: v_dual_mov_b32 v120, s41
	;; [unrolled: 1-line block ×4, first 2 shown]
	v_mov_b32_e32 v117, s38
	v_mov_b32_e32 v115, s36
	s_waitcnt vmcnt(0)
	s_barrier
	buffer_gl0_inv
	v_wmma_f32_16x16x16_bf16 v[123:130], v[75:82], v[107:114], v[115:122]
	v_bfe_u32 v75, v0, 4, 1
	v_wmma_f32_16x16x16_bf16 v[115:122], v[83:90], v[107:114], v[115:122]
	v_dual_mov_b32 v83, s11 :: v_dual_mov_b32 v82, s10
	v_dual_mov_b32 v81, s9 :: v_dual_mov_b32 v80, s8
	s_delay_alu instid0(VALU_DEP_4) | instskip(SKIP_2) | instid1(VALU_DEP_3)
	v_or_b32_e32 v66, v66, v75
	v_dual_mov_b32 v79, s7 :: v_dual_mov_b32 v78, s6
	v_dual_mov_b32 v77, s5 :: v_dual_mov_b32 v76, s4
	v_or_b32_e32 v69, 4, v66
	v_or_b32_e32 v70, 6, v66
	v_or_b32_e32 v71, 8, v66
	v_cmp_gt_i32_e64 s2, s33, v66
	v_wmma_f32_16x16x16_bf16 v[123:130], v[91:98], v[76:83], v[123:130]
	v_cndmask_b32_e32 v67, v67, v68, vcc_lo
	v_or_b32_e32 v68, 2, v66
	v_wmma_f32_16x16x16_bf16 v[115:122], v[99:106], v[76:83], v[115:122]
	v_or_b32_e32 v72, 10, v66
	v_dual_mul_f32 v78, s24, v130 :: v_dual_mul_f32 v83, s24, v125
	v_dual_mul_f32 v92, s24, v124 :: v_dual_mul_f32 v93, s24, v123
	s_delay_alu instid0(VALU_DEP_4) | instskip(SKIP_2) | instid1(VALU_DEP_4)
	v_mul_f32_e32 v94, s24, v122
	v_cmp_gt_i32_e32 vcc_lo, s33, v68
	v_dual_mul_f32 v81, s24, v127 :: v_dual_mul_f32 v82, s24, v126
	v_cndmask_b32_e64 v93, 0xff7fffff, v93, s2
	v_cmp_gt_i32_e64 s3, s33, v69
	v_cndmask_b32_e32 v92, 0xff7fffff, v92, vcc_lo
	v_cmp_gt_i32_e64 s4, s33, v70
	v_cmp_gt_i32_e64 s5, s33, v71
	v_or_b32_e32 v84, 12, v66
	v_or_b32_e32 v85, 14, v66
	v_dual_mul_f32 v79, s24, v129 :: v_dual_mul_f32 v80, s24, v128
	v_cndmask_b32_e64 v69, 0xff7fffff, v83, s3
	v_cndmask_b32_e64 v70, 0xff7fffff, v82, s4
	;; [unrolled: 1-line block ×3, first 2 shown]
	v_cmp_gt_i32_e64 s6, s33, v72
	v_lshlrev_b32_e32 v81, 2, v67
	v_max3_f32 v82, v93, 0xff7fffff, v92
	v_or_b32_e32 v86, 16, v66
	v_or_b32_e32 v87, 18, v66
	v_cndmask_b32_e64 v72, 0xff7fffff, v80, s6
	v_cmp_gt_i32_e64 s7, s33, v84
	v_max3_f32 v69, v82, v69, v70
	v_cmp_gt_i32_e64 s8, s33, v85
	v_or_b32_e32 v88, 20, v66
	v_or_b32_e32 v89, 22, v66
	;; [unrolled: 1-line block ×6, first 2 shown]
	v_dual_mul_f32 v99, s24, v117 :: v_dual_mul_f32 v68, s24, v116
	v_mul_f32_e32 v66, s24, v115
	v_cndmask_b32_e64 v70, 0xff7fffff, v79, s7
	v_cndmask_b32_e64 v78, 0xff7fffff, v78, s8
	v_max3_f32 v69, v69, v71, v72
	v_cmp_gt_i32_e64 s9, s33, v86
	v_cmp_gt_i32_e64 s10, s33, v87
	v_dual_mul_f32 v97, s24, v119 :: v_dual_mul_f32 v98, s24, v118
	s_delay_alu instid0(VALU_DEP_4) | instskip(NEXT) | instid1(VALU_DEP_4)
	v_max3_f32 v69, v69, v70, v78
	v_cndmask_b32_e64 v66, 0xff7fffff, v66, s9
	s_delay_alu instid0(VALU_DEP_4) | instskip(SKIP_3) | instid1(VALU_DEP_4)
	v_cndmask_b32_e64 v68, 0xff7fffff, v68, s10
	v_cmp_gt_i32_e64 s11, s33, v88
	v_cmp_gt_i32_e64 s12, s33, v89
	v_dual_mul_f32 v95, s24, v121 :: v_dual_mul_f32 v96, s24, v120
	v_max3_f32 v66, v69, v66, v68
	s_delay_alu instid0(VALU_DEP_4) | instskip(NEXT) | instid1(VALU_DEP_4)
	v_cndmask_b32_e64 v70, 0xff7fffff, v99, s11
	v_cndmask_b32_e64 v71, 0xff7fffff, v98, s12
	v_cmp_gt_i32_e64 s13, s33, v90
	v_cmp_gt_i32_e64 s16, s33, v91
	;; [unrolled: 1-line block ×4, first 2 shown]
	v_max3_f32 v66, v66, v70, v71
	v_cndmask_b32_e64 v68, 0xff7fffff, v97, s13
	v_cndmask_b32_e64 v69, 0xff7fffff, v96, s16
	v_cndmask_b32_e64 v70, 0xff7fffff, v95, s17
	v_cndmask_b32_e64 v71, 0xff7fffff, v94, s18
	s_delay_alu instid0(VALU_DEP_3) | instskip(NEXT) | instid1(VALU_DEP_1)
	v_max3_f32 v66, v66, v68, v69
	v_max3_f32 v66, v66, v70, v71
	ds_bpermute_b32 v67, v81, v66
	s_waitcnt lgkmcnt(0)
	v_max_f32_e32 v67, v67, v67
	s_delay_alu instid0(VALU_DEP_1) | instskip(NEXT) | instid1(VALU_DEP_1)
	v_max_f32_e32 v66, v66, v67
	v_fma_f32 v69, s24, v125, -v66
	s_delay_alu instid0(VALU_DEP_1) | instskip(NEXT) | instid1(VALU_DEP_1)
	v_mul_f32_e32 v69, 0x3fb8aa3b, v69
	v_exp_f32_e32 v69, v69
	s_waitcnt_depctr 0xfff
	v_cndmask_b32_e64 v82, 0, v69, s3
	v_fma_f32 v69, s24, v130, -v66
	s_mov_b32 s3, exec_lo
	s_delay_alu instid0(VALU_DEP_1)
	v_mul_f32_e32 v69, 0x3fb8aa3b, v69
	v_fma_f32 v67, s24, v123, -v66
	v_fma_f32 v68, s24, v124, -v66
	;; [unrolled: 1-line block ×5, first 2 shown]
	s_delay_alu instid0(VALU_DEP_4) | instskip(NEXT) | instid1(VALU_DEP_4)
	v_dual_mul_f32 v67, 0x3fb8aa3b, v67 :: v_dual_mul_f32 v68, 0x3fb8aa3b, v68
	v_mul_f32_e32 v70, 0x3fb8aa3b, v70
	v_exp_f32_e32 v69, v69
	v_fma_f32 v77, s24, v119, -v66
	s_delay_alu instid0(VALU_DEP_3)
	v_exp_f32_e32 v67, v67
	v_exp_f32_e32 v68, v68
	v_mul_f32_e32 v71, 0x3fb8aa3b, v71
	v_exp_f32_e32 v70, v70
	v_mul_f32_e32 v77, 0x3fb8aa3b, v77
	v_fma_f32 v88, s24, v122, -v66
	v_cndmask_b32_e64 v87, 0, v69, s8
	s_delay_alu instid0(VALU_DEP_3) | instskip(SKIP_1) | instid1(TRANS32_DEP_3)
	v_exp_f32_e32 v77, v77
	v_cndmask_b32_e64 v80, 0, v67, s2
	v_cndmask_b32_e32 v76, 0, v68, vcc_lo
	v_fma_f32 v67, s24, v128, -v66
	v_exp_f32_e32 v71, v71
	s_delay_alu instid0(TRANS32_DEP_3) | instskip(SKIP_3) | instid1(VALU_DEP_1)
	v_cndmask_b32_e64 v84, 0, v70, s4
	v_add_f32_e32 v68, 0, v80
	v_fma_f32 v70, s24, v115, -v66
	v_dual_mul_f32 v67, 0x3fb8aa3b, v67 :: v_dual_mul_f32 v88, 0x3fb8aa3b, v88
	v_exp_f32_e32 v67, v67
	s_waitcnt_depctr 0xfff
	v_cndmask_b32_e64 v85, 0, v71, s5
	v_fma_f32 v71, s24, v116, -v66
	s_delay_alu instid0(VALU_DEP_1) | instskip(NEXT) | instid1(VALU_DEP_1)
	v_dual_add_f32 v68, v68, v76 :: v_dual_mul_f32 v71, 0x3fb8aa3b, v71
	v_add_f32_e32 v68, v68, v82
	v_cndmask_b32_e64 v86, 0, v67, s6
	s_delay_alu instid0(VALU_DEP_3) | instskip(NEXT) | instid1(VALU_DEP_2)
	v_exp_f32_e32 v71, v71
	v_add_f32_e32 v68, v68, v84
	s_delay_alu instid0(VALU_DEP_1) | instskip(NEXT) | instid1(VALU_DEP_1)
	v_dual_mul_f32 v72, 0x3fb8aa3b, v72 :: v_dual_add_f32 v67, v68, v85
	v_exp_f32_e32 v72, v72
	v_fma_f32 v68, s24, v117, -v66
	s_delay_alu instid0(VALU_DEP_1)
	v_dual_add_f32 v67, v67, v86 :: v_dual_mul_f32 v68, 0x3fb8aa3b, v68
	s_waitcnt_depctr 0xfff
	v_cndmask_b32_e64 v83, 0, v72, s7
	v_fma_f32 v72, s24, v118, -v66
	v_exp_f32_e32 v78, v68
	v_cndmask_b32_e64 v68, 0, v71, s10
	v_fma_f32 v71, s24, v121, -v66
	v_dual_add_f32 v67, v67, v83 :: v_dual_mul_f32 v70, 0x3fb8aa3b, v70
	s_delay_alu instid0(VALU_DEP_1) | instskip(NEXT) | instid1(VALU_DEP_2)
	v_add_f32_e32 v67, v67, v87
	v_exp_f32_e32 v70, v70
	s_waitcnt_depctr 0xfff
	v_cndmask_b32_e64 v69, 0, v70, s9
	v_mul_f32_e32 v72, 0x3fb8aa3b, v72
	v_fma_f32 v70, s24, v120, -v66
	s_delay_alu instid0(VALU_DEP_3) | instskip(NEXT) | instid1(VALU_DEP_3)
	v_add_f32_e32 v67, v67, v69
	v_exp_f32_e32 v72, v72
	s_delay_alu instid0(VALU_DEP_2) | instskip(SKIP_1) | instid1(VALU_DEP_3)
	v_mul_f32_e32 v79, 0x3fb8aa3b, v70
	v_cndmask_b32_e64 v70, 0, v78, s11
	v_dual_mul_f32 v78, 0x3fb8aa3b, v71 :: v_dual_add_f32 v67, v67, v68
	s_delay_alu instid0(VALU_DEP_3) | instskip(NEXT) | instid1(VALU_DEP_1)
	v_exp_f32_e32 v79, v79
	v_exp_f32_e32 v78, v78
	s_delay_alu instid0(VALU_DEP_1) | instskip(NEXT) | instid1(TRANS32_DEP_3)
	v_add_f32_e32 v67, v67, v70
	v_cndmask_b32_e64 v71, 0, v72, s12
	v_cndmask_b32_e64 v72, 0, v77, s13
	s_delay_alu instid0(VALU_DEP_2)
	v_add_f32_e32 v67, v67, v71
	s_waitcnt_depctr 0xfff
	v_cndmask_b32_e64 v77, 0, v79, s16
	v_exp_f32_e32 v79, v88
	v_and_b32_e32 v88, 31, v0
	v_cndmask_b32_e64 v78, 0, v78, s17
	v_add_f32_e32 v67, v67, v72
	s_delay_alu instid0(VALU_DEP_3) | instskip(NEXT) | instid1(VALU_DEP_2)
	v_cmp_lt_u32_e64 s2, 15, v88
	v_add_f32_e32 v67, v67, v77
	s_waitcnt_depctr 0xfff
	v_cndmask_b32_e64 v79, 0, v79, s18
	v_add_f32_e32 v67, v67, v78
	s_delay_alu instid0(VALU_DEP_1)
	v_add_f32_e32 v67, v67, v79
	ds_bpermute_b32 v81, v81, v67
	v_cmpx_gt_u32_e32 16, v88
	s_cbranch_execz .LBB1482_11
; %bb.10:
	v_mul_u32_u24_e32 v88, 0x44, v65
	s_waitcnt lgkmcnt(0)
	v_add_f32_e32 v67, v67, v81
	s_delay_alu instid0(VALU_DEP_2) | instskip(NEXT) | instid1(VALU_DEP_1)
	v_lshl_add_u32 v88, v73, 2, v88
	v_add_nc_u32_e32 v81, 0x4000, v88
	ds_store_2addr_b32 v81, v66, v67 offset1:136
.LBB1482_11:
	s_or_b32 exec_lo, exec_lo, s3
	v_lshlrev_b32_e32 v66, 2, v73
	s_waitcnt lgkmcnt(0)
	s_barrier
	buffer_gl0_inv
	v_cmp_eq_u32_e32 vcc_lo, 1, v65
	v_add_nc_u32_e32 v81, 0x4000, v66
	v_cmp_eq_u32_e64 s3, 2, v65
	v_cmp_eq_u32_e64 s5, 7, v65
	ds_load_2addr_b32 v[88:89], v81 offset1:17
	ds_load_2addr_b32 v[90:91], v81 offset0:34 offset1:51
	ds_load_2addr_b32 v[92:93], v81 offset0:68 offset1:85
	;; [unrolled: 1-line block ×4, first 2 shown]
	s_waitcnt lgkmcnt(4)
	v_max3_f32 v66, v88, 0xff7fffff, v89
	s_waitcnt lgkmcnt(3)
	s_delay_alu instid0(VALU_DEP_1) | instskip(SKIP_1) | instid1(VALU_DEP_1)
	v_max3_f32 v66, v66, v90, v91
	s_waitcnt lgkmcnt(2)
	v_max3_f32 v66, v66, v92, v93
	s_waitcnt lgkmcnt(1)
	s_delay_alu instid0(VALU_DEP_1) | instskip(NEXT) | instid1(VALU_DEP_1)
	v_max3_f32 v66, v66, v94, v95
	v_sub_f32_e32 v92, v92, v66
	s_delay_alu instid0(VALU_DEP_1) | instskip(NEXT) | instid1(VALU_DEP_1)
	v_dual_sub_f32 v67, v88, v66 :: v_dual_mul_f32 v102, 0x3fb8aa3b, v92
	v_mul_f32_e32 v67, 0x3fb8aa3b, v67
	s_delay_alu instid0(VALU_DEP_1)
	v_exp_f32_e32 v99, v67
	v_sub_f32_e32 v67, v91, v66
	v_sub_f32_e32 v98, v89, v66
	ds_load_2addr_b32 v[88:89], v81 offset0:170 offset1:187
	v_dual_mul_f32 v101, 0x3fb8aa3b, v67 :: v_dual_mul_f32 v98, 0x3fb8aa3b, v98
	s_waitcnt lgkmcnt(1)
	v_fma_f32 v67, v99, v96, 0
	s_delay_alu instid0(VALU_DEP_2) | instskip(NEXT) | instid1(VALU_DEP_2)
	v_exp_f32_e32 v101, v101
	v_exp_f32_e32 v98, v98
	s_waitcnt_depctr 0xfff
	v_fmac_f32_e32 v67, v98, v97
	v_sub_f32_e32 v90, v90, v66
	s_delay_alu instid0(VALU_DEP_1)
	v_mul_f32_e32 v100, 0x3fb8aa3b, v90
	ds_load_2addr_b32 v[90:91], v81 offset0:204 offset1:221
	v_sub_f32_e32 v96, v93, v66
	ds_load_2addr_b32 v[92:93], v81 offset0:238 offset1:255
	s_waitcnt lgkmcnt(0)
	v_exp_f32_e32 v100, v100
	s_barrier
	buffer_gl0_inv
	v_dual_fmac_f32 v67, v100, v88 :: v_dual_sub_f32 v88, v95, v66
	v_dual_sub_f32 v81, v94, v66 :: v_dual_mul_f32 v94, 0x3fb8aa3b, v96
	v_exp_f32_e32 v96, v102
	s_delay_alu instid0(VALU_DEP_2) | instskip(NEXT) | instid1(VALU_DEP_2)
	v_dual_fmac_f32 v67, v101, v89 :: v_dual_mul_f32 v88, 0x3fb8aa3b, v88
	v_mul_f32_e32 v81, 0x3fb8aa3b, v81
	s_delay_alu instid0(VALU_DEP_3) | instskip(NEXT) | instid1(VALU_DEP_2)
	v_exp_f32_e32 v94, v94
	v_exp_f32_e32 v88, v88
	s_delay_alu instid0(VALU_DEP_1)
	v_exp_f32_e32 v81, v81
	v_fmac_f32_e32 v67, v96, v90
	s_delay_alu instid0(TRANS32_DEP_3) | instid1(VALU_DEP_1)
	v_fmac_f32_e32 v67, v94, v91
	s_waitcnt_depctr 0xfff
	v_fmac_f32_e32 v67, v81, v92
	s_delay_alu instid0(VALU_DEP_1) | instskip(NEXT) | instid1(VALU_DEP_1)
	v_fmac_f32_e32 v67, v88, v93
	v_add_f32_e32 v89, 0x358637bd, v67
	s_delay_alu instid0(VALU_DEP_1) | instskip(NEXT) | instid1(VALU_DEP_1)
	v_div_scale_f32 v90, null, v89, v89, 1.0
	v_rcp_f32_e32 v91, v90
	s_waitcnt_depctr 0xfff
	v_fma_f32 v92, -v90, v91, 1.0
	s_delay_alu instid0(VALU_DEP_1) | instskip(SKIP_1) | instid1(VALU_DEP_2)
	v_dual_fmac_f32 v91, v92, v91 :: v_dual_cndmask_b32 v92, v99, v98
	v_cmp_eq_u32_e32 vcc_lo, 3, v65
	v_cndmask_b32_e64 v92, v92, v100, s3
	v_cmp_eq_u32_e64 s3, 4, v65
	s_delay_alu instid0(VALU_DEP_2) | instskip(SKIP_1) | instid1(VALU_DEP_2)
	v_cndmask_b32_e32 v92, v92, v101, vcc_lo
	v_cmp_eq_u32_e32 vcc_lo, 5, v65
	v_cndmask_b32_e64 v92, v92, v96, s3
	v_cmp_eq_u32_e64 s3, 6, v65
	s_delay_alu instid0(VALU_DEP_2) | instskip(SKIP_1) | instid1(VALU_DEP_1)
	v_cndmask_b32_e32 v92, v92, v94, vcc_lo
	v_div_scale_f32 v93, s4, 1.0, v89, 1.0
	s_mov_b32 vcc_lo, s4
	s_delay_alu instid0(VALU_DEP_2) | instskip(NEXT) | instid1(VALU_DEP_2)
	v_cndmask_b32_e64 v81, v92, v81, s3
	v_mul_f32_e32 v95, v93, v91
	s_mov_b32 s3, exec_lo
	s_delay_alu instid0(VALU_DEP_2) | instskip(NEXT) | instid1(VALU_DEP_2)
	v_cndmask_b32_e64 v81, v81, v88, s5
	v_fma_f32 v97, -v90, v95, v93
	s_delay_alu instid0(VALU_DEP_1) | instskip(NEXT) | instid1(VALU_DEP_1)
	v_fmac_f32_e32 v95, v97, v91
	v_fma_f32 v90, -v90, v95, v93
	s_delay_alu instid0(VALU_DEP_1) | instskip(NEXT) | instid1(VALU_DEP_1)
	v_div_fmas_f32 v90, v90, v91, v95
	v_div_fixup_f32 v89, v90, v89, 1.0
	s_delay_alu instid0(VALU_DEP_1) | instskip(NEXT) | instid1(VALU_DEP_1)
	v_mul_f32_e32 v81, v81, v89
	v_mul_f32_e32 v89, v81, v80
	;; [unrolled: 1-line block ×6, first 2 shown]
	v_and_b32_e32 v90, 0x7f800000, v89
	v_mul_f32_e32 v88, v81, v84
	v_mul_f32_e32 v85, v81, v82
	;; [unrolled: 1-line block ×3, first 2 shown]
                                        ; implicit-def: $vgpr76
	s_delay_alu instid0(VALU_DEP_4)
	v_cmpx_ne_u32_e32 0x7f800000, v90
	s_xor_b32 s3, exec_lo, s3
; %bb.12:
	v_bfe_u32 v76, v89, 16, 1
	s_delay_alu instid0(VALU_DEP_1)
	v_add3_u32 v76, v89, v76, 0x7fff
                                        ; implicit-def: $vgpr89
; %bb.13:
	s_and_not1_saveexec_b32 s3, s3
; %bb.14:
	v_and_b32_e32 v76, 0xffff, v89
	v_or_b32_e32 v82, 0x10000, v89
	s_delay_alu instid0(VALU_DEP_2) | instskip(NEXT) | instid1(VALU_DEP_2)
	v_cmp_eq_u32_e32 vcc_lo, 0, v76
	v_cndmask_b32_e32 v76, v82, v89, vcc_lo
; %bb.15:
	s_or_b32 exec_lo, exec_lo, s3
	v_and_b32_e32 v82, 0x7f800000, v84
	s_delay_alu instid0(VALU_DEP_1) | instskip(SKIP_1) | instid1(SALU_CYCLE_1)
	v_cmp_ne_u32_e32 vcc_lo, 0x7f800000, v82
                                        ; implicit-def: $vgpr82
	s_and_saveexec_b32 s3, vcc_lo
	s_xor_b32 s3, exec_lo, s3
; %bb.16:
	v_bfe_u32 v82, v84, 16, 1
	s_delay_alu instid0(VALU_DEP_1)
	v_add3_u32 v82, v84, v82, 0x7fff
                                        ; implicit-def: $vgpr84
; %bb.17:
	s_and_not1_saveexec_b32 s3, s3
; %bb.18:
	v_and_b32_e32 v82, 0xffff, v84
	v_or_b32_e32 v89, 0x10000, v84
	s_delay_alu instid0(VALU_DEP_2) | instskip(NEXT) | instid1(VALU_DEP_2)
	v_cmp_eq_u32_e32 vcc_lo, 0, v82
	v_cndmask_b32_e32 v82, v89, v84, vcc_lo
; %bb.19:
	s_or_b32 exec_lo, exec_lo, s3
	v_and_b32_e32 v84, 0x7f800000, v85
	s_delay_alu instid0(VALU_DEP_1) | instskip(SKIP_1) | instid1(SALU_CYCLE_1)
	v_cmp_ne_u32_e32 vcc_lo, 0x7f800000, v84
                                        ; implicit-def: $vgpr84
	s_and_saveexec_b32 s3, vcc_lo
	s_xor_b32 s3, exec_lo, s3
; %bb.20:
	v_bfe_u32 v84, v85, 16, 1
	s_delay_alu instid0(VALU_DEP_1)
	v_add3_u32 v84, v85, v84, 0x7fff
                                        ; implicit-def: $vgpr85
; %bb.21:
	s_and_not1_saveexec_b32 s3, s3
; %bb.22:
	v_and_b32_e32 v84, 0xffff, v85
	v_or_b32_e32 v89, 0x10000, v85
	s_delay_alu instid0(VALU_DEP_2) | instskip(NEXT) | instid1(VALU_DEP_2)
	v_cmp_eq_u32_e32 vcc_lo, 0, v84
	v_cndmask_b32_e32 v84, v89, v85, vcc_lo
; %bb.23:
	s_or_b32 exec_lo, exec_lo, s3
	v_and_b32_e32 v85, 0x7f800000, v88
	s_delay_alu instid0(VALU_DEP_1) | instskip(SKIP_1) | instid1(SALU_CYCLE_1)
	v_cmp_ne_u32_e32 vcc_lo, 0x7f800000, v85
                                        ; implicit-def: $vgpr85
	s_and_saveexec_b32 s3, vcc_lo
	s_xor_b32 s3, exec_lo, s3
; %bb.24:
	v_bfe_u32 v85, v88, 16, 1
	s_delay_alu instid0(VALU_DEP_1)
	v_add3_u32 v85, v88, v85, 0x7fff
                                        ; implicit-def: $vgpr88
; %bb.25:
	s_and_not1_saveexec_b32 s3, s3
; %bb.26:
	v_and_b32_e32 v85, 0xffff, v88
	v_or_b32_e32 v89, 0x10000, v88
	s_delay_alu instid0(VALU_DEP_2) | instskip(NEXT) | instid1(VALU_DEP_2)
	v_cmp_eq_u32_e32 vcc_lo, 0, v85
	v_cndmask_b32_e32 v85, v89, v88, vcc_lo
; %bb.27:
	s_or_b32 exec_lo, exec_lo, s3
	v_and_b32_e32 v88, 0x7f800000, v87
	s_delay_alu instid0(VALU_DEP_1) | instskip(SKIP_1) | instid1(SALU_CYCLE_1)
	v_cmp_ne_u32_e32 vcc_lo, 0x7f800000, v88
                                        ; implicit-def: $vgpr88
	s_and_saveexec_b32 s3, vcc_lo
	s_xor_b32 s3, exec_lo, s3
; %bb.28:
	v_bfe_u32 v88, v87, 16, 1
	s_delay_alu instid0(VALU_DEP_1)
	v_add3_u32 v88, v87, v88, 0x7fff
                                        ; implicit-def: $vgpr87
; %bb.29:
	s_and_not1_saveexec_b32 s3, s3
; %bb.30:
	v_and_b32_e32 v88, 0xffff, v87
	v_or_b32_e32 v89, 0x10000, v87
	s_delay_alu instid0(VALU_DEP_2) | instskip(NEXT) | instid1(VALU_DEP_2)
	v_cmp_eq_u32_e32 vcc_lo, 0, v88
	v_cndmask_b32_e32 v88, v89, v87, vcc_lo
; %bb.31:
	s_or_b32 exec_lo, exec_lo, s3
	v_and_b32_e32 v87, 0x7f800000, v86
	s_delay_alu instid0(VALU_DEP_1) | instskip(SKIP_1) | instid1(SALU_CYCLE_1)
	v_cmp_ne_u32_e32 vcc_lo, 0x7f800000, v87
                                        ; implicit-def: $vgpr87
	s_and_saveexec_b32 s3, vcc_lo
	s_xor_b32 s3, exec_lo, s3
; %bb.32:
	v_bfe_u32 v87, v86, 16, 1
	s_delay_alu instid0(VALU_DEP_1)
	v_add3_u32 v87, v86, v87, 0x7fff
                                        ; implicit-def: $vgpr86
; %bb.33:
	s_and_not1_saveexec_b32 s3, s3
; %bb.34:
	v_and_b32_e32 v87, 0xffff, v86
	v_or_b32_e32 v89, 0x10000, v86
	s_delay_alu instid0(VALU_DEP_2) | instskip(NEXT) | instid1(VALU_DEP_2)
	v_cmp_eq_u32_e32 vcc_lo, 0, v87
	v_cndmask_b32_e32 v87, v89, v86, vcc_lo
; %bb.35:
	s_or_b32 exec_lo, exec_lo, s3
	v_and_b32_e32 v86, 0x7f800000, v83
	s_delay_alu instid0(VALU_DEP_1) | instskip(SKIP_1) | instid1(SALU_CYCLE_1)
	v_cmp_ne_u32_e32 vcc_lo, 0x7f800000, v86
                                        ; implicit-def: $vgpr86
	s_and_saveexec_b32 s3, vcc_lo
	s_xor_b32 s3, exec_lo, s3
; %bb.36:
	v_bfe_u32 v86, v83, 16, 1
	s_delay_alu instid0(VALU_DEP_1)
	v_add3_u32 v86, v83, v86, 0x7fff
                                        ; implicit-def: $vgpr83
; %bb.37:
	s_and_not1_saveexec_b32 s3, s3
; %bb.38:
	v_and_b32_e32 v86, 0xffff, v83
	v_or_b32_e32 v89, 0x10000, v83
	s_delay_alu instid0(VALU_DEP_2) | instskip(NEXT) | instid1(VALU_DEP_2)
	v_cmp_eq_u32_e32 vcc_lo, 0, v86
	v_cndmask_b32_e32 v86, v89, v83, vcc_lo
; %bb.39:
	s_or_b32 exec_lo, exec_lo, s3
	v_and_b32_e32 v83, 0x7f800000, v80
	s_delay_alu instid0(VALU_DEP_1) | instskip(SKIP_1) | instid1(SALU_CYCLE_1)
	v_cmp_ne_u32_e32 vcc_lo, 0x7f800000, v83
                                        ; implicit-def: $vgpr83
	s_and_saveexec_b32 s3, vcc_lo
	s_xor_b32 s3, exec_lo, s3
; %bb.40:
	v_bfe_u32 v83, v80, 16, 1
	s_delay_alu instid0(VALU_DEP_1)
	v_add3_u32 v83, v80, v83, 0x7fff
                                        ; implicit-def: $vgpr80
; %bb.41:
	s_and_not1_saveexec_b32 s3, s3
; %bb.42:
	v_and_b32_e32 v83, 0xffff, v80
	v_or_b32_e32 v89, 0x10000, v80
	s_delay_alu instid0(VALU_DEP_2) | instskip(NEXT) | instid1(VALU_DEP_2)
	v_cmp_eq_u32_e32 vcc_lo, 0, v83
	v_cndmask_b32_e32 v83, v89, v80, vcc_lo
; %bb.43:
	s_or_b32 exec_lo, exec_lo, s3
	s_load_b64 s[36:37], s[0:1], 0x94
	v_lshlrev_b32_e32 v90, 4, v75
	s_delay_alu instid0(VALU_DEP_2)
	v_perm_b32 v89, v83, v86, 0x7060302
	v_mul_f32_e32 v83, v81, v69
	v_dual_mul_f32 v69, v81, v79 :: v_dual_lshlrev_b32 v80, 6, v73
	v_dual_mul_f32 v78, v81, v78 :: v_dual_lshlrev_b32 v91, 11, v65
	v_perm_b32 v88, v87, v88, 0x7060302
	v_perm_b32 v87, v85, v84, 0x7060302
	v_perm_b32 v86, v82, v76, 0x7060302
	s_delay_alu instid0(VALU_DEP_4)
	v_or3_b32 v76, v90, v91, v80
	v_dual_mul_f32 v77, v81, v77 :: v_dual_and_b32 v84, 0x7f800000, v83
	v_mul_f32_e32 v72, v81, v72
	v_mul_f32_e32 v82, v81, v71
	;; [unrolled: 1-line block ×4, first 2 shown]
	s_mov_b32 s3, exec_lo
	ds_store_b128 v76, v[86:89]
                                        ; implicit-def: $vgpr68
	v_cmpx_ne_u32_e32 0x7f800000, v84
	s_xor_b32 s3, exec_lo, s3
; %bb.44:
	v_bfe_u32 v68, v83, 16, 1
	s_delay_alu instid0(VALU_DEP_1)
	v_add3_u32 v68, v83, v68, 0x7fff
                                        ; implicit-def: $vgpr83
; %bb.45:
	s_and_not1_saveexec_b32 s3, s3
; %bb.46:
	v_and_b32_e32 v68, 0xffff, v83
	v_or_b32_e32 v70, 0x10000, v83
	s_delay_alu instid0(VALU_DEP_2) | instskip(NEXT) | instid1(VALU_DEP_2)
	v_cmp_eq_u32_e32 vcc_lo, 0, v68
	v_cndmask_b32_e32 v68, v70, v83, vcc_lo
; %bb.47:
	s_or_b32 exec_lo, exec_lo, s3
	v_and_b32_e32 v70, 0x7f800000, v71
	s_delay_alu instid0(VALU_DEP_1) | instskip(SKIP_1) | instid1(SALU_CYCLE_1)
	v_cmp_ne_u32_e32 vcc_lo, 0x7f800000, v70
                                        ; implicit-def: $vgpr70
	s_and_saveexec_b32 s3, vcc_lo
	s_xor_b32 s3, exec_lo, s3
; %bb.48:
	v_bfe_u32 v70, v71, 16, 1
	s_delay_alu instid0(VALU_DEP_1)
	v_add3_u32 v70, v71, v70, 0x7fff
                                        ; implicit-def: $vgpr71
; %bb.49:
	s_and_not1_saveexec_b32 s3, s3
; %bb.50:
	v_and_b32_e32 v70, 0xffff, v71
	v_or_b32_e32 v81, 0x10000, v71
	s_delay_alu instid0(VALU_DEP_2) | instskip(NEXT) | instid1(VALU_DEP_2)
	v_cmp_eq_u32_e32 vcc_lo, 0, v70
	v_cndmask_b32_e32 v70, v81, v71, vcc_lo
; %bb.51:
	s_or_b32 exec_lo, exec_lo, s3
	v_and_b32_e32 v71, 0x7f800000, v79
	s_delay_alu instid0(VALU_DEP_1) | instskip(SKIP_1) | instid1(SALU_CYCLE_1)
	v_cmp_ne_u32_e32 vcc_lo, 0x7f800000, v71
                                        ; implicit-def: $vgpr71
	s_and_saveexec_b32 s3, vcc_lo
	s_xor_b32 s3, exec_lo, s3
; %bb.52:
	v_bfe_u32 v71, v79, 16, 1
	s_delay_alu instid0(VALU_DEP_1)
	v_add3_u32 v71, v79, v71, 0x7fff
                                        ; implicit-def: $vgpr79
; %bb.53:
	s_and_not1_saveexec_b32 s3, s3
; %bb.54:
	v_and_b32_e32 v71, 0xffff, v79
	v_or_b32_e32 v81, 0x10000, v79
	s_delay_alu instid0(VALU_DEP_2) | instskip(NEXT) | instid1(VALU_DEP_2)
	v_cmp_eq_u32_e32 vcc_lo, 0, v71
	v_cndmask_b32_e32 v71, v81, v79, vcc_lo
; %bb.55:
	s_or_b32 exec_lo, exec_lo, s3
	v_and_b32_e32 v79, 0x7f800000, v82
	s_delay_alu instid0(VALU_DEP_1) | instskip(SKIP_1) | instid1(SALU_CYCLE_1)
	v_cmp_ne_u32_e32 vcc_lo, 0x7f800000, v79
                                        ; implicit-def: $vgpr79
	s_and_saveexec_b32 s3, vcc_lo
	s_xor_b32 s3, exec_lo, s3
; %bb.56:
	v_bfe_u32 v79, v82, 16, 1
	s_delay_alu instid0(VALU_DEP_1)
	v_add3_u32 v79, v82, v79, 0x7fff
                                        ; implicit-def: $vgpr82
; %bb.57:
	s_and_not1_saveexec_b32 s3, s3
; %bb.58:
	v_and_b32_e32 v79, 0xffff, v82
	v_or_b32_e32 v81, 0x10000, v82
	s_delay_alu instid0(VALU_DEP_2) | instskip(NEXT) | instid1(VALU_DEP_2)
	v_cmp_eq_u32_e32 vcc_lo, 0, v79
	v_cndmask_b32_e32 v79, v81, v82, vcc_lo
; %bb.59:
	s_or_b32 exec_lo, exec_lo, s3
	v_and_b32_e32 v81, 0x7f800000, v72
	s_delay_alu instid0(VALU_DEP_1) | instskip(SKIP_1) | instid1(SALU_CYCLE_1)
	v_cmp_ne_u32_e32 vcc_lo, 0x7f800000, v81
                                        ; implicit-def: $vgpr81
	s_and_saveexec_b32 s3, vcc_lo
	s_xor_b32 s3, exec_lo, s3
; %bb.60:
	v_bfe_u32 v81, v72, 16, 1
	s_delay_alu instid0(VALU_DEP_1)
	v_add3_u32 v81, v72, v81, 0x7fff
                                        ; implicit-def: $vgpr72
; %bb.61:
	s_and_not1_saveexec_b32 s3, s3
; %bb.62:
	v_and_b32_e32 v81, 0xffff, v72
	v_or_b32_e32 v82, 0x10000, v72
	s_delay_alu instid0(VALU_DEP_2) | instskip(NEXT) | instid1(VALU_DEP_2)
	v_cmp_eq_u32_e32 vcc_lo, 0, v81
	v_cndmask_b32_e32 v81, v82, v72, vcc_lo
; %bb.63:
	s_or_b32 exec_lo, exec_lo, s3
	v_and_b32_e32 v72, 0x7f800000, v77
	s_delay_alu instid0(VALU_DEP_1) | instskip(SKIP_1) | instid1(SALU_CYCLE_1)
	v_cmp_ne_u32_e32 vcc_lo, 0x7f800000, v72
                                        ; implicit-def: $vgpr72
	s_and_saveexec_b32 s3, vcc_lo
	s_xor_b32 s3, exec_lo, s3
; %bb.64:
	v_bfe_u32 v72, v77, 16, 1
	s_delay_alu instid0(VALU_DEP_1)
	v_add3_u32 v72, v77, v72, 0x7fff
                                        ; implicit-def: $vgpr77
; %bb.65:
	s_and_not1_saveexec_b32 s3, s3
; %bb.66:
	v_and_b32_e32 v72, 0xffff, v77
	v_or_b32_e32 v82, 0x10000, v77
	s_delay_alu instid0(VALU_DEP_2) | instskip(NEXT) | instid1(VALU_DEP_2)
	v_cmp_eq_u32_e32 vcc_lo, 0, v72
	v_cndmask_b32_e32 v72, v82, v77, vcc_lo
; %bb.67:
	s_or_b32 exec_lo, exec_lo, s3
	v_and_b32_e32 v77, 0x7f800000, v78
	s_delay_alu instid0(VALU_DEP_1) | instskip(SKIP_1) | instid1(SALU_CYCLE_1)
	v_cmp_ne_u32_e32 vcc_lo, 0x7f800000, v77
                                        ; implicit-def: $vgpr77
	s_and_saveexec_b32 s3, vcc_lo
	s_xor_b32 s3, exec_lo, s3
; %bb.68:
	v_bfe_u32 v77, v78, 16, 1
	s_delay_alu instid0(VALU_DEP_1)
	v_add3_u32 v77, v78, v77, 0x7fff
                                        ; implicit-def: $vgpr78
; %bb.69:
	s_and_not1_saveexec_b32 s3, s3
; %bb.70:
	v_and_b32_e32 v77, 0xffff, v78
	v_or_b32_e32 v82, 0x10000, v78
	s_delay_alu instid0(VALU_DEP_2) | instskip(NEXT) | instid1(VALU_DEP_2)
	v_cmp_eq_u32_e32 vcc_lo, 0, v77
	v_cndmask_b32_e32 v77, v82, v78, vcc_lo
; %bb.71:
	s_or_b32 exec_lo, exec_lo, s3
	v_and_b32_e32 v78, 0x7f800000, v69
	s_delay_alu instid0(VALU_DEP_1) | instskip(SKIP_1) | instid1(SALU_CYCLE_1)
	v_cmp_ne_u32_e32 vcc_lo, 0x7f800000, v78
                                        ; implicit-def: $vgpr78
	s_and_saveexec_b32 s3, vcc_lo
	s_xor_b32 s3, exec_lo, s3
; %bb.72:
	v_bfe_u32 v78, v69, 16, 1
	s_delay_alu instid0(VALU_DEP_1)
	v_add3_u32 v78, v69, v78, 0x7fff
                                        ; implicit-def: $vgpr69
; %bb.73:
	s_and_not1_saveexec_b32 s3, s3
; %bb.74:
	v_and_b32_e32 v78, 0xffff, v69
	v_or_b32_e32 v82, 0x10000, v69
	s_delay_alu instid0(VALU_DEP_2) | instskip(NEXT) | instid1(VALU_DEP_2)
	v_cmp_eq_u32_e32 vcc_lo, 0, v78
	v_cndmask_b32_e32 v78, v82, v69, vcc_lo
; %bb.75:
	s_or_b32 exec_lo, exec_lo, s3
	s_delay_alu instid0(VALU_DEP_1)
	v_perm_b32 v86, v78, v77, 0x7060302
	v_perm_b32 v85, v72, v81, 0x7060302
	;; [unrolled: 1-line block ×4, first 2 shown]
	v_lshl_or_b32 v82, v65, 11, v80
	ds_store_b128 v76, v[83:86] offset:1024
	s_waitcnt lgkmcnt(0)
	s_barrier
	buffer_gl0_inv
	ds_load_b128 v[68:71], v82
	ds_load_b128 v[83:86], v82 offset:16
	s_waitcnt lgkmcnt(1)
	v_lshrrev_b32_e32 v65, 16, v68
	v_lshlrev_b32_e32 v78, 2, v75
	s_waitcnt lgkmcnt(0)
	v_lshrrev_b32_e32 v91, 16, v83
	v_lshrrev_b32_e32 v72, 16, v69
	;; [unrolled: 1-line block ×4, first 2 shown]
	v_cmp_eq_u32_e32 vcc_lo, 1, v78
	v_lshrrev_b32_e32 v98, 16, v85
	v_lshrrev_b32_e32 v96, 16, v71
	;; [unrolled: 1-line block ×3, first 2 shown]
	v_cndmask_b32_e32 v81, v68, v65, vcc_lo
	v_or_b32_e32 v79, 1, v78
	v_cmp_eq_u32_e64 s4, 2, v78
	v_cndmask_b32_e32 v87, v83, v91, vcc_lo
	v_cmp_eq_u32_e64 s7, 3, v78
	v_cmp_eq_u32_e64 s9, 4, v78
	v_cmp_eq_u32_e64 s3, 1, v79
	v_cndmask_b32_e64 v81, v81, v69, s4
	v_cmp_eq_u32_e64 s6, 2, v79
	v_cndmask_b32_e64 v87, v87, v84, s4
	v_cmp_eq_u32_e64 s8, 3, v79
	v_cndmask_b32_e64 v88, v68, v65, s3
	v_cndmask_b32_e64 v81, v81, v72, s7
	v_or_b32_e32 v77, 2, v78
	v_cndmask_b32_e64 v87, v87, v97, s7
	v_cndmask_b32_e64 v89, v83, v91, s3
	;; [unrolled: 1-line block ×4, first 2 shown]
	v_cmp_eq_u32_e64 s10, 5, v78
	v_cndmask_b32_e64 v87, v87, v85, s9
	v_cmp_eq_u32_e64 s11, 4, v79
	v_cndmask_b32_e64 v88, v88, v72, s8
	;; [unrolled: 2-line block ×3, first 2 shown]
	v_cndmask_b32_e64 v81, v81, v95, s10
	v_cmp_eq_u32_e64 s12, 6, v78
	v_cndmask_b32_e64 v88, v88, v70, s11
	v_cndmask_b32_e64 v87, v87, v98, s10
	v_cmp_eq_u32_e64 s13, 5, v79
	v_cndmask_b32_e64 v90, v68, v65, s5
	v_cndmask_b32_e64 v89, v89, v97, s8
	v_cndmask_b32_e64 v81, v81, v71, s12
	v_cmp_eq_u32_e64 s16, 7, v78
	v_cndmask_b32_e64 v88, v88, v95, s13
	v_cndmask_b32_e64 v87, v87, v86, s12
	v_cmp_eq_u32_e64 s17, 6, v79
	v_cmp_eq_u32_e64 s18, 2, v77
	v_cndmask_b32_e64 v89, v89, v85, s11
	v_cndmask_b32_e64 v100, v81, v96, s16
	;; [unrolled: 1-line block ×6, first 2 shown]
	v_cmp_eq_u32_e64 s19, 7, v79
	v_cmp_eq_u32_e64 s20, 3, v77
	;; [unrolled: 1-line block ×4, first 2 shown]
	v_cndmask_b32_e64 v87, v87, v84, s18
	v_cndmask_b32_e64 v102, v88, v96, s19
	;; [unrolled: 1-line block ×4, first 2 shown]
	v_or_b32_e32 v81, 3, v78
	v_cndmask_b32_e64 v93, v87, v97, s20
	v_cmp_eq_u32_e64 s25, 6, v77
	v_cndmask_b32_e64 v103, v88, v86, s17
	v_cndmask_b32_e64 v92, v89, v70, s21
	v_cmp_eq_u32_e64 s22, 1, v81
	ds_load_b128 v[87:90], v82 offset:1024
	v_cmp_eq_u32_e64 s24, 2, v81
	v_cmp_eq_u32_e64 s26, 3, v81
	v_cndmask_b32_e64 v104, v92, v95, s23
	v_cndmask_b32_e64 v65, v68, v65, s22
	v_cndmask_b32_e64 v68, v93, v85, s21
	v_cndmask_b32_e64 v83, v83, v91, s22
	ds_load_b128 v[91:94], v82 offset:1040
	v_cmp_eq_u32_e64 s27, 4, v81
	v_cndmask_b32_e64 v65, v65, v69, s24
	v_cmp_eq_u32_e64 s29, 5, v81
	v_cndmask_b32_e64 v69, v83, v84, s24
	v_cmp_eq_u32_e64 s28, 7, v77
	v_cmp_eq_u32_e64 s30, 6, v81
	v_cndmask_b32_e64 v65, v65, v72, s26
	v_cndmask_b32_e64 v72, v104, v71, s25
	;; [unrolled: 1-line block ×6, first 2 shown]
	s_waitcnt lgkmcnt(1)
	v_lshrrev_b32_e32 v84, 16, v87
	v_cndmask_b32_e64 v69, v69, v85, s27
	v_cndmask_b32_e64 v70, v72, v96, s28
	v_cndmask_b32_e64 v68, v68, v86, s25
	v_cndmask_b32_e64 v65, v65, v95, s29
	v_lshrrev_b32_e32 v95, 16, v88
	v_cndmask_b32_e64 v69, v69, v98, s29
	s_waitcnt lgkmcnt(0)
	v_lshrrev_b32_e32 v85, 16, v91
	v_cndmask_b32_e64 v97, v87, v84, s3
	v_cndmask_b32_e64 v65, v65, v71, s30
	;; [unrolled: 1-line block ×4, first 2 shown]
	v_cndmask_b32_e32 v72, v87, v84, vcc_lo
	v_cndmask_b32_e32 v98, v91, v85, vcc_lo
	v_cmp_eq_u32_e32 vcc_lo, 7, v81
	v_perm_b32 v70, v68, v70, 0x5040100
	v_cndmask_b32_e32 v65, v65, v96, vcc_lo
	v_cndmask_b32_e32 v69, v69, v99, vcc_lo
	v_cndmask_b32_e64 v72, v72, v88, s4
	v_cndmask_b32_e64 v86, v98, v92, s4
	v_lshrrev_b32_e32 v99, 16, v93
	v_lshrrev_b32_e32 v98, 16, v89
	s_delay_alu instid0(VALU_DEP_4) | instskip(SKIP_2) | instid1(VALU_DEP_3)
	v_cndmask_b32_e64 v71, v72, v95, s7
	v_cndmask_b32_e64 v72, v97, v88, s6
	v_lshrrev_b32_e32 v97, 16, v92
	v_cndmask_b32_e64 v71, v71, v89, s9
	s_delay_alu instid0(VALU_DEP_3) | instskip(NEXT) | instid1(VALU_DEP_3)
	v_cndmask_b32_e64 v72, v72, v95, s8
	v_cndmask_b32_e64 v86, v86, v97, s7
	s_delay_alu instid0(VALU_DEP_3) | instskip(SKIP_1) | instid1(VALU_DEP_3)
	v_cndmask_b32_e64 v96, v71, v98, s10
	v_perm_b32 v71, v69, v65, 0x5040100
	v_cndmask_b32_e64 v86, v86, v93, s9
	v_perm_b32 v69, v83, v102, 0x5040100
	v_cndmask_b32_e64 v102, v91, v85, s5
	v_cndmask_b32_e64 v72, v72, v89, s11
	v_lshrrev_b32_e32 v83, 16, v94
	v_cndmask_b32_e64 v86, v86, v99, s10
	s_delay_alu instid0(VALU_DEP_3) | instskip(SKIP_1) | instid1(VALU_DEP_3)
	v_cndmask_b32_e64 v65, v72, v98, s13
	v_cndmask_b32_e64 v72, v96, v90, s12
	v_cndmask_b32_e64 v68, v86, v94, s12
	v_cndmask_b32_e64 v86, v87, v84, s5
	v_cndmask_b32_e64 v84, v87, v84, s22
	v_cndmask_b32_e64 v87, v91, v85, s22
	v_cndmask_b32_e64 v85, v91, v85, s3
	v_lshrrev_b32_e32 v96, 16, v90
	v_cndmask_b32_e64 v86, v86, v88, s18
	v_cndmask_b32_e64 v84, v84, v88, s24
	v_cndmask_b32_e64 v87, v87, v92, s24
	v_cndmask_b32_e64 v88, v102, v92, s18
	v_cndmask_b32_e64 v85, v85, v92, s6
	v_cndmask_b32_e64 v86, v86, v95, s20
	v_cndmask_b32_e64 v84, v84, v95, s26
	v_cndmask_b32_e64 v87, v87, v97, s26
	v_cndmask_b32_e64 v88, v88, v97, s20
	v_cndmask_b32_e64 v85, v85, v97, s8
	v_cndmask_b32_e64 v86, v86, v89, s21
	v_cndmask_b32_e64 v84, v84, v89, s27
	v_cndmask_b32_e64 v87, v87, v93, s27
	v_cndmask_b32_e64 v88, v88, v93, s21
	v_cndmask_b32_e64 v85, v85, v93, s11
	v_cndmask_b32_e64 v86, v86, v98, s23
	v_cndmask_b32_e64 v84, v84, v98, s29
	v_cndmask_b32_e64 v87, v87, v99, s29
	v_cndmask_b32_e64 v88, v88, v99, s23
	v_cndmask_b32_e64 v85, v85, v99, s13
	v_cndmask_b32_e64 v65, v65, v90, s17
	v_cndmask_b32_e64 v86, v86, v90, s25
	v_cndmask_b32_e64 v84, v84, v90, s30
	v_cndmask_b32_e64 v87, v87, v94, s30
	v_cndmask_b32_e64 v88, v88, v94, s25
	v_cndmask_b32_e64 v85, v85, v94, s17
	v_cndmask_b32_e64 v72, v72, v96, s16
	v_cndmask_b32_e64 v65, v65, v96, s19
	v_cndmask_b32_e64 v89, v86, v96, s28
	v_cndmask_b32_e32 v84, v84, v96, vcc_lo
	v_cndmask_b32_e32 v86, v87, v83, vcc_lo
	v_cndmask_b32_e64 v87, v88, v83, s28
	v_cndmask_b32_e64 v88, v85, v83, s19
	v_cndmask_b32_e64 v83, v68, v83, s16
	v_perm_b32 v68, v101, v100, 0x5040100
	v_perm_b32 v86, v86, v84, 0x5040100
	;; [unrolled: 1-line block ×5, first 2 shown]
	s_mov_b32 s3, exec_lo
	ds_store_b128 v76, v[68:71]
	ds_store_b128 v76, v[83:86] offset:1024
	v_cmpx_eq_u32_e32 0, v0
	s_cbranch_execz .LBB1482_77
; %bb.76:
	s_load_b128 s[4:7], s[0:1], 0x58
	s_mul_i32 s8, s37, s34
	v_mov_b32_e32 v65, 0
	s_add_i32 s8, s8, s15
	s_delay_alu instid0(SALU_CYCLE_1) | instskip(NEXT) | instid1(SALU_CYCLE_1)
	s_mul_i32 s8, s8, s36
	s_add_i32 s8, s8, s14
	s_delay_alu instid0(SALU_CYCLE_1) | instskip(NEXT) | instid1(SALU_CYCLE_1)
	s_ashr_i32 s9, s8, 31
	s_lshl_b64 s[8:9], s[8:9], 2
	s_waitcnt lgkmcnt(0)
	s_add_u32 s6, s6, s8
	s_addc_u32 s7, s7, s9
	s_add_u32 s4, s4, s8
	s_addc_u32 s5, s5, s9
	s_clause 0x1
	global_store_b32 v65, v66, s[6:7]
	global_store_b32 v65, v67, s[4:5]
.LBB1482_77:
	s_or_b32 exec_lo, exec_lo, s3
	s_waitcnt lgkmcnt(0)
	s_waitcnt_vscnt null, 0x0
	s_barrier
	buffer_gl0_inv
	ds_load_b128 v[83:86], v80
	ds_load_b128 v[87:90], v80 offset:16
	ds_load_b128 v[95:98], v80 offset:2064
	;; [unrolled: 1-line block ×3, first 2 shown]
	v_mov_b32_e32 v65, 0
	ds_load_b128 v[103:106], v80 offset:4112
	ds_load_b128 v[99:102], v80 offset:4096
	;; [unrolled: 1-line block ×4, first 2 shown]
	v_mov_b32_e32 v66, v65
	v_mov_b32_e32 v67, v65
	;; [unrolled: 1-line block ×7, first 2 shown]
	s_waitcnt lgkmcnt(6)
	s_delay_alu instid0(VALU_DEP_1)
	v_wmma_f32_16x16x16_bf16 v[65:72], v[49:56], v[83:90], v[65:72]
	ds_load_b128 v[53:56], v80 offset:8208
	ds_load_b128 v[49:52], v80 offset:8192
	s_waitcnt lgkmcnt(6)
	v_wmma_f32_16x16x16_bf16 v[65:72], v[41:48], v[91:98], v[65:72]
	ds_load_b128 v[45:48], v80 offset:10256
	ds_load_b128 v[41:44], v80 offset:10240
	s_waitcnt lgkmcnt(6)
	;; [unrolled: 4-line block ×4, first 2 shown]
	v_wmma_f32_16x16x16_bf16 v[65:72], v[1:8], v[49:56], v[65:72]
	s_waitcnt lgkmcnt(4)
	s_delay_alu instid0(VALU_DEP_1) | instskip(SKIP_1) | instid1(VALU_DEP_1)
	v_wmma_f32_16x16x16_bf16 v[65:72], v[9:16], v[41:48], v[65:72]
	s_waitcnt lgkmcnt(2)
	v_wmma_f32_16x16x16_bf16 v[65:72], v[17:24], v[33:40], v[65:72]
	s_waitcnt lgkmcnt(0)
	s_delay_alu instid0(VALU_DEP_1) | instskip(NEXT) | instid1(VALU_DEP_1)
	v_wmma_f32_16x16x16_bf16 v[65:72], v[57:64], v[25:32], v[65:72]
	v_and_b32_e32 v1, 0x7f800000, v65
	s_delay_alu instid0(VALU_DEP_1) | instskip(SKIP_1) | instid1(SALU_CYCLE_1)
	v_cmp_ne_u32_e32 vcc_lo, 0x7f800000, v1
                                        ; implicit-def: $vgpr1
	s_and_saveexec_b32 s3, vcc_lo
	s_xor_b32 s3, exec_lo, s3
; %bb.78:
	v_bfe_u32 v1, v65, 16, 1
	s_delay_alu instid0(VALU_DEP_1)
	v_add3_u32 v1, v65, v1, 0x7fff
; %bb.79:
	s_and_not1_saveexec_b32 s3, s3
; %bb.80:
	v_and_b32_e32 v1, 0xffff, v65
	v_or_b32_e32 v2, 0x10000, v65
	s_delay_alu instid0(VALU_DEP_2) | instskip(NEXT) | instid1(VALU_DEP_2)
	v_cmp_eq_u32_e32 vcc_lo, 0, v1
	v_cndmask_b32_e32 v1, v2, v65, vcc_lo
; %bb.81:
	s_or_b32 exec_lo, exec_lo, s3
	v_and_b32_e32 v2, 0x7f800000, v66
	s_delay_alu instid0(VALU_DEP_1) | instskip(SKIP_1) | instid1(SALU_CYCLE_1)
	v_cmp_ne_u32_e32 vcc_lo, 0x7f800000, v2
                                        ; implicit-def: $vgpr2
	s_and_saveexec_b32 s3, vcc_lo
	s_xor_b32 s3, exec_lo, s3
; %bb.82:
	v_bfe_u32 v2, v66, 16, 1
	s_delay_alu instid0(VALU_DEP_1)
	v_add3_u32 v2, v66, v2, 0x7fff
; %bb.83:
	s_and_not1_saveexec_b32 s3, s3
; %bb.84:
	v_and_b32_e32 v2, 0xffff, v66
	v_or_b32_e32 v3, 0x10000, v66
	s_delay_alu instid0(VALU_DEP_2) | instskip(NEXT) | instid1(VALU_DEP_2)
	v_cmp_eq_u32_e32 vcc_lo, 0, v2
	v_cndmask_b32_e32 v2, v3, v66, vcc_lo
; %bb.85:
	s_or_b32 exec_lo, exec_lo, s3
	v_and_b32_e32 v3, 0x7f800000, v67
	s_delay_alu instid0(VALU_DEP_1) | instskip(SKIP_1) | instid1(SALU_CYCLE_1)
	v_cmp_ne_u32_e32 vcc_lo, 0x7f800000, v3
                                        ; implicit-def: $vgpr3
	s_and_saveexec_b32 s3, vcc_lo
	s_xor_b32 s3, exec_lo, s3
; %bb.86:
	v_bfe_u32 v3, v67, 16, 1
	s_delay_alu instid0(VALU_DEP_1)
	v_add3_u32 v3, v67, v3, 0x7fff
; %bb.87:
	s_and_not1_saveexec_b32 s3, s3
; %bb.88:
	v_and_b32_e32 v3, 0xffff, v67
	v_or_b32_e32 v4, 0x10000, v67
	s_delay_alu instid0(VALU_DEP_2) | instskip(NEXT) | instid1(VALU_DEP_2)
	v_cmp_eq_u32_e32 vcc_lo, 0, v3
	v_cndmask_b32_e32 v3, v4, v67, vcc_lo
; %bb.89:
	s_or_b32 exec_lo, exec_lo, s3
	v_and_b32_e32 v4, 0x7f800000, v68
	s_delay_alu instid0(VALU_DEP_1) | instskip(SKIP_1) | instid1(SALU_CYCLE_1)
	v_cmp_ne_u32_e32 vcc_lo, 0x7f800000, v4
                                        ; implicit-def: $vgpr4
	s_and_saveexec_b32 s3, vcc_lo
	s_xor_b32 s3, exec_lo, s3
; %bb.90:
	v_bfe_u32 v4, v68, 16, 1
	s_delay_alu instid0(VALU_DEP_1)
	v_add3_u32 v4, v68, v4, 0x7fff
; %bb.91:
	s_and_not1_saveexec_b32 s3, s3
; %bb.92:
	v_and_b32_e32 v4, 0xffff, v68
	v_or_b32_e32 v5, 0x10000, v68
	s_delay_alu instid0(VALU_DEP_2) | instskip(NEXT) | instid1(VALU_DEP_2)
	v_cmp_eq_u32_e32 vcc_lo, 0, v4
	v_cndmask_b32_e32 v4, v5, v68, vcc_lo
; %bb.93:
	s_or_b32 exec_lo, exec_lo, s3
	v_and_b32_e32 v5, 0x7f800000, v69
	s_delay_alu instid0(VALU_DEP_1) | instskip(SKIP_1) | instid1(SALU_CYCLE_1)
	v_cmp_ne_u32_e32 vcc_lo, 0x7f800000, v5
                                        ; implicit-def: $vgpr5
	s_and_saveexec_b32 s3, vcc_lo
	s_xor_b32 s3, exec_lo, s3
; %bb.94:
	v_bfe_u32 v5, v69, 16, 1
	s_delay_alu instid0(VALU_DEP_1)
	v_add3_u32 v5, v69, v5, 0x7fff
; %bb.95:
	s_and_not1_saveexec_b32 s3, s3
; %bb.96:
	v_and_b32_e32 v5, 0xffff, v69
	v_or_b32_e32 v6, 0x10000, v69
	s_delay_alu instid0(VALU_DEP_2) | instskip(NEXT) | instid1(VALU_DEP_2)
	v_cmp_eq_u32_e32 vcc_lo, 0, v5
	v_cndmask_b32_e32 v5, v6, v69, vcc_lo
; %bb.97:
	s_or_b32 exec_lo, exec_lo, s3
	v_and_b32_e32 v6, 0x7f800000, v70
	s_delay_alu instid0(VALU_DEP_1) | instskip(SKIP_1) | instid1(SALU_CYCLE_1)
	v_cmp_ne_u32_e32 vcc_lo, 0x7f800000, v6
                                        ; implicit-def: $vgpr6
	s_and_saveexec_b32 s3, vcc_lo
	s_xor_b32 s3, exec_lo, s3
; %bb.98:
	v_bfe_u32 v6, v70, 16, 1
	s_delay_alu instid0(VALU_DEP_1)
	v_add3_u32 v6, v70, v6, 0x7fff
; %bb.99:
	s_and_not1_saveexec_b32 s3, s3
; %bb.100:
	v_and_b32_e32 v6, 0xffff, v70
	v_or_b32_e32 v7, 0x10000, v70
	s_delay_alu instid0(VALU_DEP_2) | instskip(NEXT) | instid1(VALU_DEP_2)
	v_cmp_eq_u32_e32 vcc_lo, 0, v6
	v_cndmask_b32_e32 v6, v7, v70, vcc_lo
; %bb.101:
	s_or_b32 exec_lo, exec_lo, s3
	v_and_b32_e32 v7, 0x7f800000, v71
	s_delay_alu instid0(VALU_DEP_1) | instskip(SKIP_1) | instid1(SALU_CYCLE_1)
	v_cmp_ne_u32_e32 vcc_lo, 0x7f800000, v7
                                        ; implicit-def: $vgpr7
	s_and_saveexec_b32 s3, vcc_lo
	s_xor_b32 s3, exec_lo, s3
; %bb.102:
	v_bfe_u32 v7, v71, 16, 1
	s_delay_alu instid0(VALU_DEP_1)
	v_add3_u32 v7, v71, v7, 0x7fff
; %bb.103:
	s_and_not1_saveexec_b32 s3, s3
; %bb.104:
	v_and_b32_e32 v7, 0xffff, v71
	v_or_b32_e32 v8, 0x10000, v71
	s_delay_alu instid0(VALU_DEP_2) | instskip(NEXT) | instid1(VALU_DEP_2)
	v_cmp_eq_u32_e32 vcc_lo, 0, v7
	v_cndmask_b32_e32 v7, v8, v71, vcc_lo
; %bb.105:
	s_or_b32 exec_lo, exec_lo, s3
	v_and_b32_e32 v8, 0x7f800000, v72
	s_delay_alu instid0(VALU_DEP_1) | instskip(SKIP_1) | instid1(SALU_CYCLE_1)
	v_cmp_ne_u32_e32 vcc_lo, 0x7f800000, v8
                                        ; implicit-def: $vgpr8
	s_and_saveexec_b32 s3, vcc_lo
	s_xor_b32 s3, exec_lo, s3
; %bb.106:
	v_bfe_u32 v8, v72, 16, 1
	s_delay_alu instid0(VALU_DEP_1)
	v_add3_u32 v8, v72, v8, 0x7fff
                                        ; implicit-def: $vgpr65_vgpr66_vgpr67_vgpr68_vgpr69_vgpr70_vgpr71_vgpr72
; %bb.107:
	s_and_not1_saveexec_b32 s3, s3
; %bb.108:
	v_and_b32_e32 v8, 0xffff, v72
	v_or_b32_e32 v9, 0x10000, v72
	s_delay_alu instid0(VALU_DEP_2) | instskip(NEXT) | instid1(VALU_DEP_2)
	v_cmp_eq_u32_e32 vcc_lo, 0, v8
	v_cndmask_b32_e32 v8, v9, v72, vcc_lo
; %bb.109:
	s_or_b32 exec_lo, exec_lo, s3
	s_delay_alu instid0(VALU_DEP_1)
	v_perm_b32 v7, v8, v7, 0x7060302
	v_perm_b32 v6, v6, v5, 0x7060302
	;; [unrolled: 1-line block ×4, first 2 shown]
	s_barrier
	buffer_gl0_inv
	v_cmp_eq_u32_e32 vcc_lo, 1, v78
	ds_store_b128 v76, v[4:7]
	s_waitcnt lgkmcnt(0)
	s_barrier
	buffer_gl0_inv
	ds_load_b128 v[1:4], v82
	ds_load_b128 v[5:8], v82 offset:16
	v_cmp_eq_u32_e64 s3, 1, v79
	v_cmp_eq_u32_e64 s4, 2, v78
	;; [unrolled: 1-line block ×5, first 2 shown]
	s_waitcnt lgkmcnt(1)
	v_lshrrev_b32_e32 v9, 16, v1
	s_waitcnt lgkmcnt(0)
	v_lshrrev_b32_e32 v13, 16, v5
	v_lshrrev_b32_e32 v10, 16, v2
	;; [unrolled: 1-line block ×4, first 2 shown]
	v_cndmask_b32_e64 v19, v1, v9, s3
	v_cndmask_b32_e32 v18, v5, v13, vcc_lo
	v_cndmask_b32_e64 v20, v5, v13, s3
	v_cndmask_b32_e32 v17, v1, v9, vcc_lo
	v_cmp_eq_u32_e32 vcc_lo, 2, v79
	v_lshrrev_b32_e32 v15, 16, v7
	v_cmp_eq_u32_e64 s3, 1, v77
	v_lshrrev_b32_e32 v12, 16, v4
	v_lshrrev_b32_e32 v16, 16, v8
	v_cndmask_b32_e32 v20, v20, v6, vcc_lo
	v_cndmask_b32_e64 v17, v17, v2, s4
	v_cndmask_b32_e32 v19, v19, v2, vcc_lo
	v_cndmask_b32_e64 v18, v18, v6, s4
	v_cmp_eq_u32_e32 vcc_lo, 4, v78
	v_cmp_eq_u32_e64 s4, 3, v79
	v_cndmask_b32_e64 v17, v17, v10, s5
	v_cndmask_b32_e64 v21, v1, v9, s3
	v_cndmask_b32_e64 v18, v18, v14, s5
	v_cndmask_b32_e64 v22, v5, v13, s3
	v_cndmask_b32_e64 v19, v19, v10, s4
	v_cndmask_b32_e32 v17, v17, v3, vcc_lo
	v_cndmask_b32_e64 v20, v20, v14, s4
	v_cndmask_b32_e32 v18, v18, v7, vcc_lo
	v_cmp_eq_u32_e32 vcc_lo, 4, v79
	v_cmp_eq_u32_e64 s4, 5, v79
	v_cmp_eq_u32_e64 s3, 2, v81
	v_cndmask_b32_e64 v21, v21, v2, s7
	v_cmp_eq_u32_e64 s5, 5, v78
	v_cndmask_b32_e32 v19, v19, v3, vcc_lo
	v_cndmask_b32_e32 v20, v20, v7, vcc_lo
	v_cmp_eq_u32_e32 vcc_lo, 6, v79
	s_delay_alu instid0(VALU_DEP_4) | instskip(NEXT) | instid1(VALU_DEP_4)
	v_cndmask_b32_e64 v17, v17, v11, s5
	v_cndmask_b32_e64 v19, v19, v11, s4
	s_delay_alu instid0(VALU_DEP_4) | instskip(SKIP_1) | instid1(VALU_DEP_3)
	v_cndmask_b32_e64 v20, v20, v15, s4
	v_cmp_eq_u32_e64 s4, 1, v81
	v_cndmask_b32_e32 v19, v19, v4, vcc_lo
	v_cndmask_b32_e64 v18, v18, v15, s5
	s_delay_alu instid0(VALU_DEP_3)
	v_cndmask_b32_e64 v1, v1, v9, s4
	v_cndmask_b32_e64 v5, v5, v13, s4
	v_cmp_eq_u32_e64 s4, 3, v77
	v_cndmask_b32_e64 v13, v22, v6, s7
	v_cmp_eq_u32_e64 s7, 3, v81
	v_cndmask_b32_e64 v1, v1, v2, s3
	v_cndmask_b32_e64 v2, v5, v6, s3
	;; [unrolled: 1-line block ×3, first 2 shown]
	v_cmp_eq_u32_e64 s3, 4, v77
	v_cndmask_b32_e64 v6, v13, v14, s4
	v_cndmask_b32_e64 v1, v1, v10, s7
	v_cmp_eq_u32_e64 s4, 4, v81
	v_cndmask_b32_e64 v2, v2, v14, s7
	v_cndmask_b32_e64 v5, v9, v3, s3
	v_cmp_eq_u32_e64 s7, 5, v77
	v_cndmask_b32_e64 v6, v6, v7, s3
	v_cndmask_b32_e64 v1, v1, v3, s4
	v_cndmask_b32_e64 v2, v2, v7, s4
	v_cmp_eq_u32_e64 s3, 5, v81
	v_cndmask_b32_e64 v5, v5, v11, s7
	v_cndmask_b32_e64 v3, v6, v15, s7
	v_cmp_eq_u32_e64 s7, 6, v81
	v_cmp_eq_u32_e64 s5, 6, v78
	v_cndmask_b32_e64 v1, v1, v11, s3
	v_cndmask_b32_e64 v2, v2, v15, s3
	v_cmp_eq_u32_e64 s4, 6, v77
	v_cmp_eq_u32_e64 s3, 7, v81
	v_cndmask_b32_e64 v17, v17, v4, s5
	v_cndmask_b32_e64 v1, v1, v4, s7
	v_cndmask_b32_e64 v2, v2, v8, s7
	v_cndmask_b32_e64 v18, v18, v8, s5
	v_cmp_eq_u32_e64 s5, 7, v78
	v_cndmask_b32_e64 v5, v5, v4, s4
	v_cndmask_b32_e64 v3, v3, v8, s4
	v_cmp_eq_u32_e64 s4, 7, v77
	v_cndmask_b32_e32 v4, v20, v8, vcc_lo
	v_cndmask_b32_e64 v1, v1, v12, s3
	v_cndmask_b32_e64 v2, v2, v16, s3
	v_cmp_lt_u32_e32 vcc_lo, 31, v0
	v_cmp_lt_u32_e64 s3, 7, v73
	v_cndmask_b32_e64 v17, v17, v12, s5
	v_cndmask_b32_e64 v19, v19, v12, s6
	;; [unrolled: 1-line block ×6, first 2 shown]
	s_or_b32 s3, vcc_lo, s3
	v_perm_b32 v4, v2, v1, 0x5040100
	v_perm_b32 v3, v3, v5, 0x5040100
	;; [unrolled: 1-line block ×4, first 2 shown]
	s_or_b32 s2, s2, s3
	s_delay_alu instid0(SALU_CYCLE_1)
	s_xor_b32 s2, s2, -1
	ds_store_b128 v76, v[1:4]
	s_waitcnt lgkmcnt(0)
	s_barrier
	buffer_gl0_inv
	s_and_saveexec_b32 s3, s2
	s_cbranch_execz .LBB1482_2
; %bb.110:
	s_load_b64 s[0:1], s[0:1], 0x68
	v_lshlrev_b32_e32 v1, 10, v0
	v_and_b32_e32 v0, 1, v0
	v_lshlrev_b32_e32 v2, 6, v75
	s_lshl_b32 s4, s36, 6
	s_delay_alu instid0(VALU_DEP_3) | instskip(NEXT) | instid1(VALU_DEP_3)
	v_and_b32_e32 v1, 0x3800, v1
	v_lshlrev_b32_e32 v0, 4, v0
	s_mul_i32 s2, s4, s34
	s_delay_alu instid0(SALU_CYCLE_1) | instskip(NEXT) | instid1(VALU_DEP_1)
	s_mul_i32 s2, s2, s37
	v_or3_b32 v0, v1, v2, v0
	s_ashr_i32 s3, s2, 31
	s_delay_alu instid0(SALU_CYCLE_1)
	s_lshl_b64 s[2:3], s[2:3], 1
	ds_load_b128 v[0:3], v0
	s_waitcnt lgkmcnt(0)
	s_add_u32 s5, s0, s2
	s_addc_u32 s3, s1, s3
	s_lshl_b32 s0, s14, 6
	s_mul_i32 s2, s4, s15
	s_ashr_i32 s1, s0, 31
	s_delay_alu instid0(SALU_CYCLE_1) | instskip(NEXT) | instid1(SALU_CYCLE_1)
	s_lshl_b64 s[0:1], s[0:1], 1
	s_add_u32 s4, s5, s0
	s_addc_u32 s5, s3, s1
	s_ashr_i32 s3, s2, 31
	s_delay_alu instid0(SALU_CYCLE_1) | instskip(NEXT) | instid1(SALU_CYCLE_1)
	s_lshl_b64 s[0:1], s[2:3], 1
	s_add_u32 s0, s4, s0
	s_addc_u32 s1, s5, s1
	global_store_b128 v74, v[0:3], s[0:1]
	s_nop 0
	s_sendmsg sendmsg(MSG_DEALLOC_VGPRS)
	s_endpgm
	.section	.rodata,"a",@progbits
	.p2align	6, 0x0
	.amdhsa_kernel _Z39paged_attention_ll4mi_QKV_mfma16_kernelI14__hip_bfloat16hLN4vllm18Fp8KVCacheDataTypeE1ES0_Li32ELi64ELi256ELb1ELi1EL8MFMAType1EEvPKT_PKT0_S9_ifPKiSB_SB_iPKfiiiPfSE_PS4_PT2_iSD_SD_
		.amdhsa_group_segment_fixed_size 17472
		.amdhsa_private_segment_fixed_size 0
		.amdhsa_kernarg_size 400
		.amdhsa_user_sgpr_count 13
		.amdhsa_user_sgpr_dispatch_ptr 0
		.amdhsa_user_sgpr_queue_ptr 0
		.amdhsa_user_sgpr_kernarg_segment_ptr 1
		.amdhsa_user_sgpr_dispatch_id 0
		.amdhsa_user_sgpr_private_segment_size 0
		.amdhsa_wavefront_size32 1
		.amdhsa_uses_dynamic_stack 0
		.amdhsa_enable_private_segment 0
		.amdhsa_system_sgpr_workgroup_id_x 1
		.amdhsa_system_sgpr_workgroup_id_y 1
		.amdhsa_system_sgpr_workgroup_id_z 1
		.amdhsa_system_sgpr_workgroup_info 0
		.amdhsa_system_vgpr_workitem_id 0
		.amdhsa_next_free_vgpr 131
		.amdhsa_next_free_sgpr 50
		.amdhsa_reserve_vcc 1
		.amdhsa_float_round_mode_32 0
		.amdhsa_float_round_mode_16_64 0
		.amdhsa_float_denorm_mode_32 3
		.amdhsa_float_denorm_mode_16_64 3
		.amdhsa_dx10_clamp 1
		.amdhsa_ieee_mode 1
		.amdhsa_fp16_overflow 0
		.amdhsa_workgroup_processor_mode 1
		.amdhsa_memory_ordered 1
		.amdhsa_forward_progress 0
		.amdhsa_shared_vgpr_count 0
		.amdhsa_exception_fp_ieee_invalid_op 0
		.amdhsa_exception_fp_denorm_src 0
		.amdhsa_exception_fp_ieee_div_zero 0
		.amdhsa_exception_fp_ieee_overflow 0
		.amdhsa_exception_fp_ieee_underflow 0
		.amdhsa_exception_fp_ieee_inexact 0
		.amdhsa_exception_int_div_zero 0
	.end_amdhsa_kernel
	.section	.text._Z39paged_attention_ll4mi_QKV_mfma16_kernelI14__hip_bfloat16hLN4vllm18Fp8KVCacheDataTypeE1ES0_Li32ELi64ELi256ELb1ELi1EL8MFMAType1EEvPKT_PKT0_S9_ifPKiSB_SB_iPKfiiiPfSE_PS4_PT2_iSD_SD_,"axG",@progbits,_Z39paged_attention_ll4mi_QKV_mfma16_kernelI14__hip_bfloat16hLN4vllm18Fp8KVCacheDataTypeE1ES0_Li32ELi64ELi256ELb1ELi1EL8MFMAType1EEvPKT_PKT0_S9_ifPKiSB_SB_iPKfiiiPfSE_PS4_PT2_iSD_SD_,comdat
.Lfunc_end1482:
	.size	_Z39paged_attention_ll4mi_QKV_mfma16_kernelI14__hip_bfloat16hLN4vllm18Fp8KVCacheDataTypeE1ES0_Li32ELi64ELi256ELb1ELi1EL8MFMAType1EEvPKT_PKT0_S9_ifPKiSB_SB_iPKfiiiPfSE_PS4_PT2_iSD_SD_, .Lfunc_end1482-_Z39paged_attention_ll4mi_QKV_mfma16_kernelI14__hip_bfloat16hLN4vllm18Fp8KVCacheDataTypeE1ES0_Li32ELi64ELi256ELb1ELi1EL8MFMAType1EEvPKT_PKT0_S9_ifPKiSB_SB_iPKfiiiPfSE_PS4_PT2_iSD_SD_
                                        ; -- End function
	.section	.AMDGPU.csdata,"",@progbits
; Kernel info:
; codeLenInByte = 8428
; NumSgprs: 52
; NumVgprs: 131
; ScratchSize: 0
; MemoryBound: 1
; FloatMode: 240
; IeeeMode: 1
; LDSByteSize: 17472 bytes/workgroup (compile time only)
; SGPRBlocks: 6
; VGPRBlocks: 16
; NumSGPRsForWavesPerEU: 52
; NumVGPRsForWavesPerEU: 131
; Occupancy: 10
; WaveLimiterHint : 1
; COMPUTE_PGM_RSRC2:SCRATCH_EN: 0
; COMPUTE_PGM_RSRC2:USER_SGPR: 13
; COMPUTE_PGM_RSRC2:TRAP_HANDLER: 0
; COMPUTE_PGM_RSRC2:TGID_X_EN: 1
; COMPUTE_PGM_RSRC2:TGID_Y_EN: 1
; COMPUTE_PGM_RSRC2:TGID_Z_EN: 1
; COMPUTE_PGM_RSRC2:TIDIG_COMP_CNT: 0
	.section	.text._Z39paged_attention_ll4mi_QKV_mfma16_kernelI14__hip_bfloat16hLN4vllm18Fp8KVCacheDataTypeE1ES0_Li32ELi64ELi256ELb1ELi2EL8MFMAType1EEvPKT_PKT0_S9_ifPKiSB_SB_iPKfiiiPfSE_PS4_PT2_iSD_SD_,"axG",@progbits,_Z39paged_attention_ll4mi_QKV_mfma16_kernelI14__hip_bfloat16hLN4vllm18Fp8KVCacheDataTypeE1ES0_Li32ELi64ELi256ELb1ELi2EL8MFMAType1EEvPKT_PKT0_S9_ifPKiSB_SB_iPKfiiiPfSE_PS4_PT2_iSD_SD_,comdat
	.protected	_Z39paged_attention_ll4mi_QKV_mfma16_kernelI14__hip_bfloat16hLN4vllm18Fp8KVCacheDataTypeE1ES0_Li32ELi64ELi256ELb1ELi2EL8MFMAType1EEvPKT_PKT0_S9_ifPKiSB_SB_iPKfiiiPfSE_PS4_PT2_iSD_SD_ ; -- Begin function _Z39paged_attention_ll4mi_QKV_mfma16_kernelI14__hip_bfloat16hLN4vllm18Fp8KVCacheDataTypeE1ES0_Li32ELi64ELi256ELb1ELi2EL8MFMAType1EEvPKT_PKT0_S9_ifPKiSB_SB_iPKfiiiPfSE_PS4_PT2_iSD_SD_
	.globl	_Z39paged_attention_ll4mi_QKV_mfma16_kernelI14__hip_bfloat16hLN4vllm18Fp8KVCacheDataTypeE1ES0_Li32ELi64ELi256ELb1ELi2EL8MFMAType1EEvPKT_PKT0_S9_ifPKiSB_SB_iPKfiiiPfSE_PS4_PT2_iSD_SD_
	.p2align	8
	.type	_Z39paged_attention_ll4mi_QKV_mfma16_kernelI14__hip_bfloat16hLN4vllm18Fp8KVCacheDataTypeE1ES0_Li32ELi64ELi256ELb1ELi2EL8MFMAType1EEvPKT_PKT0_S9_ifPKiSB_SB_iPKfiiiPfSE_PS4_PT2_iSD_SD_,@function
_Z39paged_attention_ll4mi_QKV_mfma16_kernelI14__hip_bfloat16hLN4vllm18Fp8KVCacheDataTypeE1ES0_Li32ELi64ELi256ELb1ELi2EL8MFMAType1EEvPKT_PKT0_S9_ifPKiSB_SB_iPKfiiiPfSE_PS4_PT2_iSD_SD_: ; @_Z39paged_attention_ll4mi_QKV_mfma16_kernelI14__hip_bfloat16hLN4vllm18Fp8KVCacheDataTypeE1ES0_Li32ELi64ELi256ELb1ELi2EL8MFMAType1EEvPKT_PKT0_S9_ifPKiSB_SB_iPKfiiiPfSE_PS4_PT2_iSD_SD_
; %bb.0:
	s_load_b64 s[2:3], s[0:1], 0x30
	s_mov_b32 s30, s13
	s_waitcnt lgkmcnt(0)
	s_cmp_lg_u64 s[2:3], 0
	s_cselect_b32 s8, -1, 0
	s_ashr_i32 s31, s13, 31
	s_cmp_eq_u64 s[2:3], 0
	s_cbranch_scc1 .LBB1483_3
; %bb.1:
	s_lshl_b64 s[4:5], s[30:31], 2
	s_delay_alu instid0(SALU_CYCLE_1) | instskip(SKIP_4) | instid1(SALU_CYCLE_1)
	s_add_u32 s4, s2, s4
	s_addc_u32 s5, s3, s5
	s_load_b64 s[4:5], s[4:5], 0x0
	s_waitcnt lgkmcnt(0)
	s_sub_i32 s4, s5, s4
	s_cmp_eq_u32 s4, 1
	s_cselect_b32 s4, -1, 0
	s_delay_alu instid0(SALU_CYCLE_1)
	s_and_not1_b32 vcc_lo, exec_lo, s4
	s_cbranch_vccz .LBB1483_4
.LBB1483_2:
	s_endpgm
.LBB1483_3:
.LBB1483_4:
	s_load_b64 s[4:5], s[0:1], 0x28
	s_lshl_b64 s[6:7], s[30:31], 2
	s_waitcnt lgkmcnt(0)
	s_add_u32 s4, s4, s6
	s_addc_u32 s5, s5, s7
	s_lshl_b32 s12, s14, 8
	s_load_b32 s24, s[4:5], 0x0
	s_waitcnt lgkmcnt(0)
	s_cmp_ge_i32 s12, s24
	s_cbranch_scc1 .LBB1483_2
; %bb.5:
	s_clause 0x1
	s_load_b128 s[20:23], s[0:1], 0x8
	s_load_b64 s[4:5], s[0:1], 0x20
	s_and_not1_b32 vcc_lo, exec_lo, s8
	s_cbranch_vccnz .LBB1483_7
; %bb.6:
	s_add_u32 s2, s2, s6
	s_addc_u32 s3, s3, s7
	s_load_b32 s3, s[2:3], 0x0
	s_branch .LBB1483_8
.LBB1483_7:
	s_mov_b32 s3, s30
.LBB1483_8:
	s_load_b128 s[16:19], s[0:1], 0x48
	v_and_b32_e32 v66, 15, v0
	v_bfe_u32 v65, v0, 4, 1
	s_lshl_b32 s31, s15, 1
	v_cmp_gt_u32_e32 vcc_lo, 32, v0
	v_and_b32_e32 v68, 31, v0
	v_lshlrev_b32_e32 v1, 3, v66
	v_cmp_gt_u32_e64 s2, 8, v66
	v_and_b32_e32 v76, 1, v0
	v_or_b32_e32 v75, s31, v65
	v_lshlrev_b32_e32 v74, 6, v65
	v_lshlrev_b32_e32 v73, 1, v1
	s_and_b32 s29, vcc_lo, s2
	s_delay_alu instid0(SALU_CYCLE_1)
	s_and_saveexec_b32 s2, s29
	s_cbranch_execz .LBB1483_10
; %bb.9:
	s_load_b64 s[6:7], s[0:1], 0x0
	v_lshlrev_b32_e32 v1, 6, v75
	s_waitcnt lgkmcnt(0)
	s_mul_hi_i32 s9, s3, s16
	s_mul_i32 s8, s3, s16
	v_lshlrev_b32_e32 v5, 10, v66
	s_lshl_b64 s[8:9], s[8:9], 1
	v_ashrrev_i32_e32 v2, 31, v1
	v_lshlrev_b32_e32 v6, 10, v76
	s_delay_alu instid0(VALU_DEP_3) | instskip(NEXT) | instid1(VALU_DEP_3)
	v_and_b32_e32 v5, 0x3800, v5
	v_lshlrev_b64 v[1:2], 1, v[1:2]
	s_delay_alu instid0(VALU_DEP_2) | instskip(SKIP_2) | instid1(VALU_DEP_2)
	v_or3_b32 v5, v5, v6, v74
	s_add_u32 s3, s6, s8
	s_addc_u32 s6, s7, s9
	v_add_co_u32 v1, vcc_lo, s3, v1
	s_delay_alu instid0(VALU_DEP_3) | instskip(NEXT) | instid1(VALU_DEP_2)
	v_add_co_ci_u32_e32 v2, vcc_lo, s6, v2, vcc_lo
	v_add_co_u32 v1, vcc_lo, v1, v73
	s_delay_alu instid0(VALU_DEP_2)
	v_add_co_ci_u32_e32 v2, vcc_lo, 0, v2, vcc_lo
	global_load_b128 v[1:4], v[1:2], off
	s_waitcnt vmcnt(0)
	ds_store_b128 v5, v[1:4]
.LBB1483_10:
	s_or_b32 exec_lo, exec_lo, s2
	v_and_b32_e32 v1, 0xef, v0
	s_add_i32 s2, s24, 31
	s_waitcnt lgkmcnt(0)
	s_clause 0x1
	s_load_b32 s3, s[0:1], 0x38
	s_load_b32 s19, s[0:1], 0x1c
	s_ashr_i32 s6, s2, 31
	v_add_nc_u32_e32 v1, s12, v1
	s_lshr_b32 s6, s6, 27
	s_waitcnt lgkmcnt(0)
	s_add_i32 s2, s2, s6
	s_barrier
	v_ashrrev_i32_e32 v2, 31, v1
	v_or_b32_e32 v3, 16, v1
	s_ashr_i32 s2, s2, 5
	v_cmp_gt_i32_e32 vcc_lo, s24, v1
	s_add_i32 s2, s2, -1
	v_lshrrev_b32_e32 v2, 27, v2
	buffer_gl0_inv
	s_mul_i32 s27, s15, s18
	v_lshrrev_b32_e32 v67, 5, v0
	v_add_nc_u32_e32 v4, v1, v2
	s_mul_i32 s6, s30, s3
	s_delay_alu instid0(SALU_CYCLE_1) | instskip(NEXT) | instid1(VALU_DEP_1)
	s_ashr_i32 s7, s6, 31
	v_ashrrev_i32_e32 v4, 5, v4
	v_add_nc_u32_e32 v2, v3, v2
	s_lshl_b64 s[6:7], s[6:7], 2
	s_delay_alu instid0(SALU_CYCLE_1) | instskip(NEXT) | instid1(VALU_DEP_2)
	s_add_u32 s26, s4, s6
	v_cndmask_b32_e32 v1, s2, v4, vcc_lo
	s_delay_alu instid0(VALU_DEP_2)
	v_ashrrev_i32_e32 v2, 5, v2
	v_cmp_gt_i32_e32 vcc_lo, s24, v3
	s_addc_u32 s25, s5, s7
	s_ashr_i32 s28, s27, 31
	s_add_u32 s4, s20, s27
	s_addc_u32 s5, s21, s28
	v_cndmask_b32_e32 v3, s2, v2, vcc_lo
	v_ashrrev_i32_e32 v2, 31, v1
	s_lshl_b32 s6, s14, 3
	s_delay_alu instid0(SALU_CYCLE_1) | instskip(NEXT) | instid1(VALU_DEP_2)
	s_ashr_i32 s7, s6, 31
	v_ashrrev_i32_e32 v4, 31, v3
	s_delay_alu instid0(VALU_DEP_2) | instskip(SKIP_1) | instid1(SALU_CYCLE_1)
	v_lshlrev_b64 v[1:2], 2, v[1:2]
	s_lshl_b64 s[6:7], s[6:7], 2
	s_add_u32 s6, s26, s6
	s_delay_alu instid0(VALU_DEP_2) | instskip(SKIP_1) | instid1(VALU_DEP_2)
	v_lshlrev_b64 v[3:4], 2, v[3:4]
	s_addc_u32 s7, s25, s7
	v_add_co_u32 v1, vcc_lo, s26, v1
	v_add_co_ci_u32_e32 v2, vcc_lo, s25, v2, vcc_lo
	s_delay_alu instid0(VALU_DEP_3) | instskip(NEXT) | instid1(VALU_DEP_4)
	v_add_co_u32 v3, vcc_lo, s26, v3
	v_add_co_ci_u32_e32 v4, vcc_lo, s25, v4, vcc_lo
	s_clause 0x1
	global_load_b32 v5, v[1:2], off
	global_load_b32 v6, v[3:4], off
	s_or_b32 s3, s12, 32
	s_delay_alu instid0(SALU_CYCLE_1) | instskip(SKIP_2) | instid1(SALU_CYCLE_1)
	s_ashr_i32 s8, s3, 5
	s_cmp_lt_i32 s3, s24
	s_cselect_b32 s8, s8, s2
	s_ashr_i32 s9, s8, 31
	s_delay_alu instid0(SALU_CYCLE_1) | instskip(NEXT) | instid1(SALU_CYCLE_1)
	s_lshl_b64 s[8:9], s[8:9], 2
	s_add_u32 s8, s26, s8
	s_addc_u32 s9, s25, s9
	s_or_b32 s3, s12, 64
	s_delay_alu instid0(SALU_CYCLE_1) | instskip(SKIP_2) | instid1(SALU_CYCLE_1)
	s_ashr_i32 s10, s3, 5
	s_cmp_lt_i32 s3, s24
	s_cselect_b32 s10, s10, s2
	s_ashr_i32 s11, s10, 31
	s_delay_alu instid0(SALU_CYCLE_1) | instskip(NEXT) | instid1(SALU_CYCLE_1)
	s_lshl_b64 s[10:11], s[10:11], 2
	s_add_u32 s10, s26, s10
	s_addc_u32 s11, s25, s11
	s_or_b32 s3, s12, 0x60
	s_delay_alu instid0(SALU_CYCLE_1) | instskip(SKIP_2) | instid1(SALU_CYCLE_1)
	s_ashr_i32 s13, s3, 5
	s_cmp_lt_i32 s3, s24
	s_cselect_b32 s20, s13, s2
	s_ashr_i32 s21, s20, 31
	s_delay_alu instid0(SALU_CYCLE_1) | instskip(NEXT) | instid1(SALU_CYCLE_1)
	s_lshl_b64 s[20:21], s[20:21], 2
	s_add_u32 s34, s26, s20
	s_addc_u32 s35, s25, s21
	s_or_b32 s3, s12, 0x80
	s_delay_alu instid0(SALU_CYCLE_1) | instskip(SKIP_2) | instid1(SALU_CYCLE_1)
	s_ashr_i32 s13, s3, 5
	s_cmp_lt_i32 s3, s24
	s_cselect_b32 s20, s13, s2
	s_ashr_i32 s21, s20, 31
	s_delay_alu instid0(SALU_CYCLE_1) | instskip(NEXT) | instid1(SALU_CYCLE_1)
	s_lshl_b64 s[20:21], s[20:21], 2
	s_add_u32 s36, s26, s20
	s_addc_u32 s37, s25, s21
	s_or_b32 s3, s12, 0xa0
	s_delay_alu instid0(SALU_CYCLE_1) | instskip(SKIP_2) | instid1(SALU_CYCLE_1)
	s_ashr_i32 s13, s3, 5
	s_cmp_lt_i32 s3, s24
	s_cselect_b32 s20, s13, s2
	s_ashr_i32 s21, s20, 31
	s_delay_alu instid0(SALU_CYCLE_1) | instskip(NEXT) | instid1(SALU_CYCLE_1)
	s_lshl_b64 s[20:21], s[20:21], 2
	s_add_u32 s38, s26, s20
	s_addc_u32 s39, s25, s21
	s_clause 0x5
	s_load_b32 s20, s[6:7], 0x0
	s_load_b32 s3, s[8:9], 0x0
	;; [unrolled: 1-line block ×6, first 2 shown]
	s_or_b32 s6, s12, 0xc0
	s_delay_alu instid0(SALU_CYCLE_1) | instskip(SKIP_2) | instid1(SALU_CYCLE_1)
	s_ashr_i32 s7, s6, 5
	s_cmp_lt_i32 s6, s24
	s_cselect_b32 s10, s7, s2
	s_ashr_i32 s11, s10, 31
	s_delay_alu instid0(SALU_CYCLE_1) | instskip(NEXT) | instid1(SALU_CYCLE_1)
	s_lshl_b64 s[10:11], s[10:11], 2
	s_add_u32 s34, s26, s10
	s_addc_u32 s35, s25, s11
	s_or_b32 s11, s12, 0xe0
	s_delay_alu instid0(SALU_CYCLE_1) | instskip(SKIP_2) | instid1(SALU_CYCLE_1)
	s_ashr_i32 s21, s11, 5
	s_cmp_lt_i32 s11, s24
	s_cselect_b32 s36, s21, s2
	s_ashr_i32 s37, s36, 31
	s_waitcnt vmcnt(1)
	v_mad_i64_i32 v[1:2], null, v5, s17, s[4:5]
	s_waitcnt vmcnt(0)
	v_mad_i64_i32 v[3:4], null, v6, s17, s[4:5]
	s_mov_b32 s4, 0
	s_delay_alu instid0(SALU_CYCLE_1)
	s_mov_b32 s5, s4
	s_mov_b32 s6, s4
	;; [unrolled: 1-line block ×7, first 2 shown]
	s_delay_alu instid0(SALU_CYCLE_1) | instskip(SKIP_2) | instid1(VALU_DEP_3)
	v_dual_mov_b32 v108, s11 :: v_dual_lshlrev_b32 v5, 4, v66
	v_dual_mov_b32 v104, s7 :: v_dual_lshlrev_b32 v71, 6, v76
	v_mov_b32_e32 v102, s5
	v_add_co_u32 v1, vcc_lo, v1, v5
	v_add_co_ci_u32_e32 v2, vcc_lo, 0, v2, vcc_lo
	v_add_co_u32 v3, vcc_lo, v3, v5
	v_add_co_ci_u32_e32 v4, vcc_lo, 0, v4, vcc_lo
	s_clause 0x7
	global_load_b128 v[49:52], v[1:2], off
	global_load_b128 v[53:56], v[1:2], off offset:512
	global_load_b128 v[77:80], v[3:4], off offset:256
	;; [unrolled: 1-line block ×7, first 2 shown]
	v_lshlrev_b32_e32 v1, 5, v66
	v_dual_mov_b32 v107, s10 :: v_dual_mov_b32 v106, s9
	v_mov_b32_e32 v105, s8
	v_mov_b32_e32 v103, s6
	;; [unrolled: 1-line block ×3, first 2 shown]
	s_lshl_b64 s[4:5], s[36:37], 2
	v_lshl_or_b32 v1, v67, 9, v1
	s_add_u32 s4, s26, s4
	s_addc_u32 s5, s25, s5
	s_load_b32 s2, s[34:35], 0x0
	ds_load_b128 v[109:112], v71
	ds_load_b128 v[113:116], v71 offset:1024
	s_load_b32 s4, s[4:5], 0x0
	s_add_u32 s6, s22, s27
	s_addc_u32 s7, s23, s28
	v_add_co_u32 v9, s6, s6, v1
	s_delay_alu instid0(VALU_DEP_1) | instskip(SKIP_1) | instid1(VALU_DEP_1)
	v_add_co_ci_u32_e64 v10, null, s7, 0, s6
	s_waitcnt lgkmcnt(0)
	v_mad_i64_i32 v[1:2], null, s20, s17, v[9:10]
	v_mad_i64_i32 v[3:4], null, s3, s17, v[9:10]
	v_mad_i64_i32 v[5:6], null, s13, s17, v[9:10]
	v_mad_i64_i32 v[7:8], null, s15, s17, v[9:10]
	v_mad_i64_i32 v[13:14], null, s18, s17, v[9:10]
	v_mad_i64_i32 v[11:12], null, s16, s17, v[9:10]
	v_mad_i64_i32 v[21:22], null, s2, s17, v[9:10]
	s_clause 0x9
	global_load_b128 v[57:60], v[1:2], off
	global_load_b128 v[61:64], v[1:2], off offset:16
	global_load_b128 v[41:44], v[3:4], off
	global_load_b128 v[45:48], v[3:4], off offset:16
	;; [unrolled: 2-line block ×5, first 2 shown]
	v_mad_i64_i32 v[69:70], null, s4, s17, v[9:10]
	s_clause 0x3
	global_load_b128 v[9:12], v[13:14], off
	global_load_b128 v[13:16], v[13:14], off offset:16
	global_load_b128 v[17:20], v[21:22], off
	global_load_b128 v[21:24], v[21:22], off offset:16
	s_waitcnt vmcnt(20)
	v_wmma_f32_16x16x16_bf16 v[117:124], v[49:56], v[109:116], v[101:108]
	s_clause 0x1
	global_load_b128 v[49:52], v[69:70], off
	global_load_b128 v[53:56], v[69:70], off offset:16
	s_waitcnt vmcnt(20)
	v_wmma_f32_16x16x16_bf16 v[101:108], v[77:84], v[109:116], v[101:108]
	ds_load_b128 v[77:80], v71 offset:2048
	ds_load_b128 v[81:84], v71 offset:3072
	v_mbcnt_lo_u32_b32 v70, -1, 0
	s_waitcnt vmcnt(0) lgkmcnt(0)
	s_barrier
	buffer_gl0_inv
	v_xor_b32_e32 v71, 16, v70
	s_delay_alu instid0(VALU_DEP_1) | instskip(SKIP_4) | instid1(VALU_DEP_2)
	v_cmp_gt_i32_e32 vcc_lo, 32, v71
	v_cndmask_b32_e32 v70, v70, v71, vcc_lo
	v_wmma_f32_16x16x16_bf16 v[117:124], v[85:92], v[77:84], v[117:124]
	v_and_b32_e32 v69, 0xe0, v0
	v_wmma_f32_16x16x16_bf16 v[101:108], v[93:100], v[77:84], v[101:108]
	v_dual_mul_f32 v94, s19, v118 :: v_dual_add_nc_u32 v69, s12, v69
	s_delay_alu instid0(VALU_DEP_2) | instskip(SKIP_1) | instid1(VALU_DEP_3)
	v_dual_mul_f32 v96, s19, v108 :: v_dual_mul_f32 v95, s19, v117
	v_dual_mul_f32 v84, s19, v120 :: v_dual_mul_f32 v93, s19, v119
	v_or_b32_e32 v69, v69, v65
	v_dual_mul_f32 v82, s19, v122 :: v_dual_mul_f32 v83, s19, v121
	v_mul_f32_e32 v100, s19, v104
	v_mul_f32_e32 v80, s19, v124
	s_delay_alu instid0(VALU_DEP_4)
	v_or_b32_e32 v71, 2, v69
	v_or_b32_e32 v72, 4, v69
	;; [unrolled: 1-line block ×3, first 2 shown]
	v_cmp_gt_i32_e64 s2, s24, v69
	v_or_b32_e32 v110, 8, v69
	v_cmp_gt_i32_e32 vcc_lo, s24, v71
	v_or_b32_e32 v85, 10, v69
	v_cmp_gt_i32_e64 s3, s24, v72
	v_cndmask_b32_e64 v95, 0xff7fffff, v95, s2
	v_cmp_gt_i32_e64 s4, s24, v109
	v_cndmask_b32_e32 v94, 0xff7fffff, v94, vcc_lo
	v_or_b32_e32 v86, 12, v69
	v_or_b32_e32 v87, 14, v69
	v_mul_f32_e32 v72, s19, v101
	v_cndmask_b32_e64 v93, 0xff7fffff, v93, s3
	v_cndmask_b32_e64 v84, 0xff7fffff, v84, s4
	v_max3_f32 v94, v95, 0xff7fffff, v94
	v_cmp_gt_i32_e64 s5, s24, v110
	v_cmp_gt_i32_e64 s6, s24, v85
	v_or_b32_e32 v88, 16, v69
	v_or_b32_e32 v89, 18, v69
	v_dual_mul_f32 v81, s19, v123 :: v_dual_mul_f32 v98, s19, v106
	v_cndmask_b32_e64 v83, 0xff7fffff, v83, s5
	v_cndmask_b32_e64 v82, 0xff7fffff, v82, s6
	v_max3_f32 v84, v94, v93, v84
	v_cmp_gt_i32_e64 s7, s24, v86
	v_cmp_gt_i32_e64 s8, s24, v87
	v_or_b32_e32 v90, 20, v69
	v_or_b32_e32 v91, 22, v69
	;; [unrolled: 1-line block ×6, first 2 shown]
	v_mul_f32_e32 v69, s19, v102
	v_cndmask_b32_e64 v81, 0xff7fffff, v81, s7
	v_cndmask_b32_e64 v80, 0xff7fffff, v80, s8
	v_max3_f32 v82, v84, v83, v82
	v_cmp_gt_i32_e64 s9, s24, v88
	v_cmp_gt_i32_e64 s10, s24, v89
	v_mul_f32_e32 v71, s19, v103
	v_cmp_gt_i32_e64 s11, s24, v90
	v_max3_f32 v80, v82, v81, v80
	v_cndmask_b32_e64 v72, 0xff7fffff, v72, s9
	v_cndmask_b32_e64 v69, 0xff7fffff, v69, s10
	v_cmp_gt_i32_e64 s12, s24, v91
	v_mul_f32_e32 v99, s19, v105
	v_cndmask_b32_e64 v71, 0xff7fffff, v71, s11
	v_cmp_gt_i32_e64 s13, s24, v92
	v_max3_f32 v69, v80, v72, v69
	v_cndmask_b32_e64 v81, 0xff7fffff, v100, s12
	v_cmp_gt_i32_e64 s15, s24, v77
	v_mul_f32_e32 v97, s19, v107
	v_cndmask_b32_e64 v72, 0xff7fffff, v99, s13
	v_cmp_gt_i32_e64 s16, s24, v78
	v_max3_f32 v69, v69, v71, v81
	v_cndmask_b32_e64 v77, 0xff7fffff, v98, s15
	v_cmp_gt_i32_e64 s17, s24, v79
	v_lshlrev_b32_e32 v91, 2, v70
	v_cndmask_b32_e64 v71, 0xff7fffff, v97, s16
	s_delay_alu instid0(VALU_DEP_4) | instskip(NEXT) | instid1(VALU_DEP_4)
	v_max3_f32 v69, v69, v72, v77
	v_cndmask_b32_e64 v78, 0xff7fffff, v96, s17
	s_delay_alu instid0(VALU_DEP_1) | instskip(SKIP_3) | instid1(VALU_DEP_1)
	v_max3_f32 v69, v69, v71, v78
	ds_bpermute_b32 v70, v91, v69
	s_waitcnt lgkmcnt(0)
	v_max_f32_e32 v70, v70, v70
	v_max_f32_e32 v69, v69, v70
	s_delay_alu instid0(VALU_DEP_1)
	v_fma_f32 v70, s19, v117, -v69
	v_fma_f32 v71, s19, v118, -v69
	;; [unrolled: 1-line block ×5, first 2 shown]
	v_mul_f32_e32 v70, 0x3fb8aa3b, v70
	s_delay_alu instid0(VALU_DEP_3) | instskip(NEXT) | instid1(VALU_DEP_3)
	v_dual_mul_f32 v72, 0x3fb8aa3b, v72 :: v_dual_mul_f32 v77, 0x3fb8aa3b, v77
	v_mul_f32_e32 v78, 0x3fb8aa3b, v78
	s_delay_alu instid0(VALU_DEP_3) | instskip(NEXT) | instid1(VALU_DEP_2)
	v_exp_f32_e32 v70, v70
	v_exp_f32_e32 v72, v72
	s_delay_alu instid0(VALU_DEP_2) | instskip(NEXT) | instid1(VALU_DEP_1)
	v_exp_f32_e32 v79, v77
	v_exp_f32_e32 v78, v78
	v_cndmask_b32_e64 v81, 0, v70, s2
	v_fma_f32 v70, s19, v122, -v69
	v_mul_f32_e32 v71, 0x3fb8aa3b, v71
	s_delay_alu instid0(TRANS32_DEP_3)
	v_cndmask_b32_e64 v85, 0, v72, s3
	s_waitcnt_depctr 0xfff
	v_cndmask_b32_e64 v87, 0, v79, s4
	v_cndmask_b32_e64 v88, 0, v78, s5
	v_mul_f32_e32 v70, 0x3fb8aa3b, v70
	v_exp_f32_e32 v71, v71
	s_mov_b32 s2, exec_lo
	s_delay_alu instid0(VALU_DEP_1) | instskip(SKIP_4) | instid1(VALU_DEP_2)
	v_exp_f32_e32 v70, v70
	s_waitcnt_depctr 0xfff
	v_cndmask_b32_e32 v77, 0, v71, vcc_lo
	v_add_f32_e32 v71, 0, v81
	v_cndmask_b32_e64 v89, 0, v70, s6
	v_add_f32_e32 v71, v71, v77
	s_delay_alu instid0(VALU_DEP_1) | instskip(NEXT) | instid1(VALU_DEP_1)
	v_add_f32_e32 v71, v71, v85
	v_add_f32_e32 v71, v71, v87
	s_delay_alu instid0(VALU_DEP_1) | instskip(NEXT) | instid1(VALU_DEP_1)
	v_add_f32_e32 v70, v71, v88
	v_add_f32_e32 v70, v70, v89
	v_fma_f32 v72, s19, v124, -v69
	v_fma_f32 v71, s19, v103, -v69
	;; [unrolled: 1-line block ×5, first 2 shown]
	s_delay_alu instid0(VALU_DEP_4) | instskip(NEXT) | instid1(VALU_DEP_4)
	v_dual_mul_f32 v72, 0x3fb8aa3b, v72 :: v_dual_mul_f32 v71, 0x3fb8aa3b, v71
	v_mul_f32_e32 v80, 0x3fb8aa3b, v80
	v_fma_f32 v83, s19, v106, -v69
	s_delay_alu instid0(VALU_DEP_4) | instskip(NEXT) | instid1(VALU_DEP_4)
	v_mul_f32_e32 v78, 0x3fb8aa3b, v78
	v_exp_f32_e32 v72, v72
	v_exp_f32_e32 v82, v71
	;; [unrolled: 1-line block ×3, first 2 shown]
	s_delay_alu instid0(VALU_DEP_1)
	v_exp_f32_e32 v78, v78
	v_cndmask_b32_e64 v90, 0, v72, s8
	v_fma_f32 v72, s19, v105, -v69
	s_waitcnt_depctr 0xfff
	v_cndmask_b32_e64 v86, 0, v80, s7
	v_fma_f32 v80, s19, v104, -v69
	v_mul_f32_e32 v72, 0x3fb8aa3b, v72
	s_delay_alu instid0(VALU_DEP_3) | instskip(NEXT) | instid1(VALU_DEP_3)
	v_add_f32_e32 v70, v70, v86
	v_mul_f32_e32 v80, 0x3fb8aa3b, v80
	s_delay_alu instid0(VALU_DEP_3) | instskip(SKIP_2) | instid1(VALU_DEP_3)
	v_exp_f32_e32 v84, v72
	v_cndmask_b32_e64 v72, 0, v82, s11
	v_mul_f32_e32 v79, 0x3fb8aa3b, v79
	v_exp_f32_e32 v80, v80
	s_delay_alu instid0(VALU_DEP_1) | instskip(SKIP_4) | instid1(VALU_DEP_2)
	v_exp_f32_e32 v79, v79
	s_waitcnt_depctr 0xfff
	v_cndmask_b32_e64 v71, 0, v79, s9
	v_add_f32_e32 v79, v70, v90
	v_cndmask_b32_e64 v70, 0, v78, s10
	v_add_f32_e32 v78, v79, v71
	v_fma_f32 v79, s19, v107, -v69
	s_delay_alu instid0(VALU_DEP_2) | instskip(SKIP_1) | instid1(VALU_DEP_2)
	v_add_f32_e32 v82, v78, v70
	v_cndmask_b32_e64 v78, 0, v80, s12
	v_dual_mul_f32 v79, 0x3fb8aa3b, v79 :: v_dual_add_f32 v80, v82, v72
	v_fma_f32 v82, s19, v108, -v69
	v_mul_f32_e32 v83, 0x3fb8aa3b, v83
	s_delay_alu instid0(VALU_DEP_3)
	v_exp_f32_e32 v92, v79
	v_cndmask_b32_e64 v79, 0, v84, s13
	v_add_f32_e32 v84, v80, v78
	v_mul_f32_e32 v82, 0x3fb8aa3b, v82
	v_exp_f32_e32 v83, v83
	s_waitcnt_depctr 0xfff
	v_cndmask_b32_e64 v80, 0, v83, s15
	v_add_f32_e32 v83, v84, v79
	v_exp_f32_e32 v84, v82
	v_cndmask_b32_e64 v82, 0, v92, s16
	s_delay_alu instid0(VALU_DEP_2) | instskip(NEXT) | instid1(VALU_DEP_1)
	v_add_f32_e32 v83, v83, v80
	v_add_f32_e32 v92, v83, v82
	s_waitcnt_depctr 0xfff
	v_cndmask_b32_e64 v83, 0, v84, s17
	s_delay_alu instid0(VALU_DEP_1)
	v_add_f32_e32 v84, v92, v83
	ds_bpermute_b32 v91, v91, v84
	v_cmpx_gt_u32_e32 16, v68
	s_cbranch_execz .LBB1483_12
; %bb.11:
	v_mul_u32_u24_e32 v68, 0x44, v67
	s_waitcnt lgkmcnt(0)
	v_add_f32_e32 v84, v84, v91
	s_delay_alu instid0(VALU_DEP_2) | instskip(NEXT) | instid1(VALU_DEP_1)
	v_lshl_add_u32 v68, v66, 2, v68
	v_add_nc_u32_e32 v68, 0x4000, v68
	ds_store_2addr_b32 v68, v69, v84 offset1:136
.LBB1483_12:
	s_or_b32 exec_lo, exec_lo, s2
	v_lshlrev_b32_e32 v68, 2, v66
	s_waitcnt lgkmcnt(0)
	s_barrier
	buffer_gl0_inv
	v_cmp_eq_u32_e32 vcc_lo, 1, v67
	v_add_nc_u32_e32 v84, 0x4000, v68
	v_cmp_eq_u32_e64 s2, 2, v67
	v_cmp_eq_u32_e64 s4, 7, v67
	ds_load_2addr_b32 v[91:92], v84 offset1:17
	ds_load_2addr_b32 v[93:94], v84 offset0:34 offset1:51
	ds_load_2addr_b32 v[95:96], v84 offset0:68 offset1:85
	;; [unrolled: 1-line block ×4, first 2 shown]
	s_waitcnt lgkmcnt(4)
	v_max3_f32 v68, v91, 0xff7fffff, v92
	s_waitcnt lgkmcnt(3)
	s_delay_alu instid0(VALU_DEP_1) | instskip(SKIP_1) | instid1(VALU_DEP_1)
	v_max3_f32 v68, v68, v93, v94
	s_waitcnt lgkmcnt(2)
	v_max3_f32 v68, v68, v95, v96
	s_waitcnt lgkmcnt(1)
	s_delay_alu instid0(VALU_DEP_1) | instskip(NEXT) | instid1(VALU_DEP_1)
	v_max3_f32 v68, v68, v97, v98
	v_sub_f32_e32 v69, v91, v68
	v_sub_f32_e32 v93, v93, v68
	;; [unrolled: 1-line block ×3, first 2 shown]
	s_delay_alu instid0(VALU_DEP_3) | instskip(NEXT) | instid1(VALU_DEP_3)
	v_mul_f32_e32 v69, 0x3fb8aa3b, v69
	v_mul_f32_e32 v103, 0x3fb8aa3b, v93
	s_delay_alu instid0(VALU_DEP_3) | instskip(NEXT) | instid1(VALU_DEP_3)
	v_mul_f32_e32 v105, 0x3fb8aa3b, v95
	v_exp_f32_e32 v102, v69
	v_sub_f32_e32 v69, v94, v68
	v_sub_f32_e32 v101, v92, v68
	ds_load_2addr_b32 v[91:92], v84 offset0:170 offset1:187
	v_exp_f32_e32 v103, v103
	v_mul_f32_e32 v104, 0x3fb8aa3b, v69
	v_mul_f32_e32 v101, 0x3fb8aa3b, v101
	s_waitcnt lgkmcnt(1)
	v_fma_f32 v69, v102, v99, 0
	v_sub_f32_e32 v99, v96, v68
	s_delay_alu instid0(VALU_DEP_3) | instskip(SKIP_4) | instid1(VALU_DEP_1)
	v_exp_f32_e32 v101, v101
	v_exp_f32_e32 v104, v104
	s_waitcnt_depctr 0xfff
	v_fmac_f32_e32 v69, v101, v100
	s_waitcnt lgkmcnt(0)
	v_fmac_f32_e32 v69, v103, v91
	ds_load_2addr_b32 v[93:94], v84 offset0:204 offset1:221
	ds_load_2addr_b32 v[95:96], v84 offset0:238 offset1:255
	v_dual_sub_f32 v84, v97, v68 :: v_dual_mul_f32 v97, 0x3fb8aa3b, v99
	v_exp_f32_e32 v99, v105
	v_sub_f32_e32 v91, v98, v68
	v_fmac_f32_e32 v69, v104, v92
	s_delay_alu instid0(VALU_DEP_3)
	v_mul_f32_e32 v84, 0x3fb8aa3b, v84
	v_exp_f32_e32 v97, v97
	s_waitcnt lgkmcnt(0)
	v_mul_f32_e32 v91, 0x3fb8aa3b, v91
	s_barrier
	v_exp_f32_e32 v84, v84
	buffer_gl0_inv
	v_exp_f32_e32 v91, v91
	v_fmac_f32_e32 v69, v99, v93
	s_delay_alu instid0(VALU_DEP_1) | instskip(NEXT) | instid1(VALU_DEP_1)
	v_fmac_f32_e32 v69, v97, v94
	v_fmac_f32_e32 v69, v84, v95
	s_waitcnt_depctr 0xfff
	v_fmac_f32_e32 v69, v91, v96
	s_delay_alu instid0(VALU_DEP_1) | instskip(NEXT) | instid1(VALU_DEP_1)
	v_add_f32_e32 v92, 0x358637bd, v69
	v_div_scale_f32 v93, null, v92, v92, 1.0
	v_div_scale_f32 v96, s3, 1.0, v92, 1.0
	s_delay_alu instid0(VALU_DEP_2) | instskip(SKIP_2) | instid1(VALU_DEP_1)
	v_rcp_f32_e32 v94, v93
	s_waitcnt_depctr 0xfff
	v_fma_f32 v95, -v93, v94, 1.0
	v_dual_fmac_f32 v94, v95, v94 :: v_dual_cndmask_b32 v95, v102, v101
	v_cmp_eq_u32_e32 vcc_lo, 3, v67
	s_delay_alu instid0(VALU_DEP_2) | instskip(NEXT) | instid1(VALU_DEP_3)
	v_mul_f32_e32 v98, v96, v94
	v_cndmask_b32_e64 v95, v95, v103, s2
	v_cmp_eq_u32_e64 s2, 4, v67
	s_delay_alu instid0(VALU_DEP_3) | instskip(NEXT) | instid1(VALU_DEP_3)
	v_fma_f32 v100, -v93, v98, v96
	v_cndmask_b32_e32 v95, v95, v104, vcc_lo
	v_cmp_eq_u32_e32 vcc_lo, 5, v67
	s_delay_alu instid0(VALU_DEP_3) | instskip(NEXT) | instid1(VALU_DEP_3)
	v_fmac_f32_e32 v98, v100, v94
	v_cndmask_b32_e64 v95, v95, v99, s2
	v_cmp_eq_u32_e64 s2, 6, v67
	s_delay_alu instid0(VALU_DEP_3) | instskip(NEXT) | instid1(VALU_DEP_3)
	v_fma_f32 v93, -v93, v98, v96
	v_cndmask_b32_e32 v95, v95, v97, vcc_lo
	s_mov_b32 vcc_lo, s3
	s_delay_alu instid0(VALU_DEP_2) | instskip(NEXT) | instid1(VALU_DEP_2)
	v_div_fmas_f32 v93, v93, v94, v98
	v_cndmask_b32_e64 v84, v95, v84, s2
	s_mov_b32 s2, exec_lo
	s_delay_alu instid0(VALU_DEP_2) | instskip(NEXT) | instid1(VALU_DEP_2)
	v_div_fixup_f32 v92, v93, v92, 1.0
	v_cndmask_b32_e64 v84, v84, v91, s4
	s_delay_alu instid0(VALU_DEP_1) | instskip(NEXT) | instid1(VALU_DEP_1)
	v_mul_f32_e32 v84, v84, v92
	v_mul_f32_e32 v92, v84, v81
	;; [unrolled: 1-line block ×6, first 2 shown]
	v_and_b32_e32 v93, 0x7f800000, v92
	v_mul_f32_e32 v91, v84, v87
	v_mul_f32_e32 v88, v84, v85
	;; [unrolled: 1-line block ×3, first 2 shown]
                                        ; implicit-def: $vgpr77
	s_delay_alu instid0(VALU_DEP_4)
	v_cmpx_ne_u32_e32 0x7f800000, v93
	s_xor_b32 s2, exec_lo, s2
; %bb.13:
	v_bfe_u32 v77, v92, 16, 1
	s_delay_alu instid0(VALU_DEP_1)
	v_add3_u32 v77, v92, v77, 0x7fff
                                        ; implicit-def: $vgpr92
; %bb.14:
	s_and_not1_saveexec_b32 s2, s2
; %bb.15:
	v_and_b32_e32 v77, 0xffff, v92
	v_or_b32_e32 v85, 0x10000, v92
	s_delay_alu instid0(VALU_DEP_2) | instskip(NEXT) | instid1(VALU_DEP_2)
	v_cmp_eq_u32_e32 vcc_lo, 0, v77
	v_cndmask_b32_e32 v77, v85, v92, vcc_lo
; %bb.16:
	s_or_b32 exec_lo, exec_lo, s2
	v_and_b32_e32 v85, 0x7f800000, v87
	s_delay_alu instid0(VALU_DEP_1) | instskip(SKIP_1) | instid1(SALU_CYCLE_1)
	v_cmp_ne_u32_e32 vcc_lo, 0x7f800000, v85
                                        ; implicit-def: $vgpr85
	s_and_saveexec_b32 s2, vcc_lo
	s_xor_b32 s2, exec_lo, s2
; %bb.17:
	v_bfe_u32 v85, v87, 16, 1
	s_delay_alu instid0(VALU_DEP_1)
	v_add3_u32 v85, v87, v85, 0x7fff
                                        ; implicit-def: $vgpr87
; %bb.18:
	s_and_not1_saveexec_b32 s2, s2
; %bb.19:
	v_and_b32_e32 v85, 0xffff, v87
	v_or_b32_e32 v92, 0x10000, v87
	s_delay_alu instid0(VALU_DEP_2) | instskip(NEXT) | instid1(VALU_DEP_2)
	v_cmp_eq_u32_e32 vcc_lo, 0, v85
	v_cndmask_b32_e32 v85, v92, v87, vcc_lo
; %bb.20:
	s_or_b32 exec_lo, exec_lo, s2
	v_and_b32_e32 v87, 0x7f800000, v88
	s_delay_alu instid0(VALU_DEP_1) | instskip(SKIP_1) | instid1(SALU_CYCLE_1)
	v_cmp_ne_u32_e32 vcc_lo, 0x7f800000, v87
                                        ; implicit-def: $vgpr87
	s_and_saveexec_b32 s2, vcc_lo
	s_xor_b32 s2, exec_lo, s2
; %bb.21:
	v_bfe_u32 v87, v88, 16, 1
	s_delay_alu instid0(VALU_DEP_1)
	v_add3_u32 v87, v88, v87, 0x7fff
                                        ; implicit-def: $vgpr88
; %bb.22:
	s_and_not1_saveexec_b32 s2, s2
; %bb.23:
	v_and_b32_e32 v87, 0xffff, v88
	v_or_b32_e32 v92, 0x10000, v88
	s_delay_alu instid0(VALU_DEP_2) | instskip(NEXT) | instid1(VALU_DEP_2)
	v_cmp_eq_u32_e32 vcc_lo, 0, v87
	v_cndmask_b32_e32 v87, v92, v88, vcc_lo
; %bb.24:
	s_or_b32 exec_lo, exec_lo, s2
	v_and_b32_e32 v88, 0x7f800000, v91
	s_delay_alu instid0(VALU_DEP_1) | instskip(SKIP_1) | instid1(SALU_CYCLE_1)
	v_cmp_ne_u32_e32 vcc_lo, 0x7f800000, v88
                                        ; implicit-def: $vgpr88
	s_and_saveexec_b32 s2, vcc_lo
	s_xor_b32 s2, exec_lo, s2
; %bb.25:
	v_bfe_u32 v88, v91, 16, 1
	s_delay_alu instid0(VALU_DEP_1)
	v_add3_u32 v88, v91, v88, 0x7fff
                                        ; implicit-def: $vgpr91
; %bb.26:
	s_and_not1_saveexec_b32 s2, s2
; %bb.27:
	v_and_b32_e32 v88, 0xffff, v91
	v_or_b32_e32 v92, 0x10000, v91
	s_delay_alu instid0(VALU_DEP_2) | instskip(NEXT) | instid1(VALU_DEP_2)
	v_cmp_eq_u32_e32 vcc_lo, 0, v88
	v_cndmask_b32_e32 v88, v92, v91, vcc_lo
; %bb.28:
	s_or_b32 exec_lo, exec_lo, s2
	v_and_b32_e32 v91, 0x7f800000, v90
	s_delay_alu instid0(VALU_DEP_1) | instskip(SKIP_1) | instid1(SALU_CYCLE_1)
	v_cmp_ne_u32_e32 vcc_lo, 0x7f800000, v91
                                        ; implicit-def: $vgpr91
	s_and_saveexec_b32 s2, vcc_lo
	s_xor_b32 s2, exec_lo, s2
; %bb.29:
	v_bfe_u32 v91, v90, 16, 1
	s_delay_alu instid0(VALU_DEP_1)
	v_add3_u32 v91, v90, v91, 0x7fff
                                        ; implicit-def: $vgpr90
; %bb.30:
	s_and_not1_saveexec_b32 s2, s2
; %bb.31:
	v_and_b32_e32 v91, 0xffff, v90
	v_or_b32_e32 v92, 0x10000, v90
	s_delay_alu instid0(VALU_DEP_2) | instskip(NEXT) | instid1(VALU_DEP_2)
	v_cmp_eq_u32_e32 vcc_lo, 0, v91
	v_cndmask_b32_e32 v91, v92, v90, vcc_lo
; %bb.32:
	s_or_b32 exec_lo, exec_lo, s2
	v_and_b32_e32 v90, 0x7f800000, v89
	s_delay_alu instid0(VALU_DEP_1) | instskip(SKIP_1) | instid1(SALU_CYCLE_1)
	v_cmp_ne_u32_e32 vcc_lo, 0x7f800000, v90
                                        ; implicit-def: $vgpr90
	s_and_saveexec_b32 s2, vcc_lo
	s_xor_b32 s2, exec_lo, s2
; %bb.33:
	v_bfe_u32 v90, v89, 16, 1
	s_delay_alu instid0(VALU_DEP_1)
	v_add3_u32 v90, v89, v90, 0x7fff
                                        ; implicit-def: $vgpr89
; %bb.34:
	s_and_not1_saveexec_b32 s2, s2
; %bb.35:
	v_and_b32_e32 v90, 0xffff, v89
	v_or_b32_e32 v92, 0x10000, v89
	s_delay_alu instid0(VALU_DEP_2) | instskip(NEXT) | instid1(VALU_DEP_2)
	v_cmp_eq_u32_e32 vcc_lo, 0, v90
	v_cndmask_b32_e32 v90, v92, v89, vcc_lo
; %bb.36:
	s_or_b32 exec_lo, exec_lo, s2
	v_and_b32_e32 v89, 0x7f800000, v86
	s_delay_alu instid0(VALU_DEP_1) | instskip(SKIP_1) | instid1(SALU_CYCLE_1)
	v_cmp_ne_u32_e32 vcc_lo, 0x7f800000, v89
                                        ; implicit-def: $vgpr89
	s_and_saveexec_b32 s2, vcc_lo
	s_xor_b32 s2, exec_lo, s2
; %bb.37:
	v_bfe_u32 v89, v86, 16, 1
	s_delay_alu instid0(VALU_DEP_1)
	v_add3_u32 v89, v86, v89, 0x7fff
                                        ; implicit-def: $vgpr86
; %bb.38:
	s_and_not1_saveexec_b32 s2, s2
; %bb.39:
	v_and_b32_e32 v89, 0xffff, v86
	v_or_b32_e32 v92, 0x10000, v86
	s_delay_alu instid0(VALU_DEP_2) | instskip(NEXT) | instid1(VALU_DEP_2)
	v_cmp_eq_u32_e32 vcc_lo, 0, v89
	v_cndmask_b32_e32 v89, v92, v86, vcc_lo
; %bb.40:
	s_or_b32 exec_lo, exec_lo, s2
	v_and_b32_e32 v86, 0x7f800000, v81
	s_delay_alu instid0(VALU_DEP_1) | instskip(SKIP_1) | instid1(SALU_CYCLE_1)
	v_cmp_ne_u32_e32 vcc_lo, 0x7f800000, v86
                                        ; implicit-def: $vgpr86
	s_and_saveexec_b32 s2, vcc_lo
	s_xor_b32 s2, exec_lo, s2
; %bb.41:
	v_bfe_u32 v86, v81, 16, 1
	s_delay_alu instid0(VALU_DEP_1)
	v_add3_u32 v86, v81, v86, 0x7fff
                                        ; implicit-def: $vgpr81
; %bb.42:
	s_and_not1_saveexec_b32 s2, s2
; %bb.43:
	v_and_b32_e32 v86, 0xffff, v81
	v_or_b32_e32 v92, 0x10000, v81
	s_delay_alu instid0(VALU_DEP_2) | instskip(NEXT) | instid1(VALU_DEP_2)
	v_cmp_eq_u32_e32 vcc_lo, 0, v86
	v_cndmask_b32_e32 v86, v92, v81, vcc_lo
; %bb.44:
	s_or_b32 exec_lo, exec_lo, s2
	s_load_b64 s[34:35], s[0:1], 0x94
	v_lshlrev_b32_e32 v93, 4, v65
	s_delay_alu instid0(VALU_DEP_2)
	v_perm_b32 v92, v86, v89, 0x7060302
	v_dual_mul_f32 v80, v84, v80 :: v_dual_lshlrev_b32 v81, 6, v66
	v_lshlrev_b32_e32 v66, 11, v67
	v_perm_b32 v89, v85, v77, 0x7060302
	v_mul_f32_e32 v85, v84, v71
	v_mul_f32_e32 v71, v84, v82
	v_perm_b32 v91, v90, v91, 0x7060302
	v_perm_b32 v90, v88, v87, 0x7060302
	v_or3_b32 v77, v93, v66, v81
	v_mul_f32_e32 v66, v84, v83
	v_dual_mul_f32 v79, v84, v79 :: v_dual_and_b32 v86, 0x7f800000, v85
	v_mul_f32_e32 v83, v84, v78
	v_mul_f32_e32 v82, v84, v72
	;; [unrolled: 1-line block ×3, first 2 shown]
	s_mov_b32 s2, exec_lo
	ds_store_b128 v77, v[89:92]
                                        ; implicit-def: $vgpr70
	v_cmpx_ne_u32_e32 0x7f800000, v86
	s_xor_b32 s2, exec_lo, s2
; %bb.45:
	v_bfe_u32 v70, v85, 16, 1
	s_delay_alu instid0(VALU_DEP_1)
	v_add3_u32 v70, v85, v70, 0x7fff
                                        ; implicit-def: $vgpr85
; %bb.46:
	s_and_not1_saveexec_b32 s2, s2
; %bb.47:
	v_and_b32_e32 v70, 0xffff, v85
	v_or_b32_e32 v72, 0x10000, v85
	s_delay_alu instid0(VALU_DEP_2) | instskip(NEXT) | instid1(VALU_DEP_2)
	v_cmp_eq_u32_e32 vcc_lo, 0, v70
	v_cndmask_b32_e32 v70, v72, v85, vcc_lo
; %bb.48:
	s_or_b32 exec_lo, exec_lo, s2
	v_and_b32_e32 v72, 0x7f800000, v78
	s_delay_alu instid0(VALU_DEP_1) | instskip(SKIP_1) | instid1(SALU_CYCLE_1)
	v_cmp_ne_u32_e32 vcc_lo, 0x7f800000, v72
                                        ; implicit-def: $vgpr72
	s_and_saveexec_b32 s2, vcc_lo
	s_xor_b32 s2, exec_lo, s2
; %bb.49:
	v_bfe_u32 v72, v78, 16, 1
	s_delay_alu instid0(VALU_DEP_1)
	v_add3_u32 v72, v78, v72, 0x7fff
                                        ; implicit-def: $vgpr78
; %bb.50:
	s_and_not1_saveexec_b32 s2, s2
; %bb.51:
	v_and_b32_e32 v72, 0xffff, v78
	v_or_b32_e32 v84, 0x10000, v78
	s_delay_alu instid0(VALU_DEP_2) | instskip(NEXT) | instid1(VALU_DEP_2)
	v_cmp_eq_u32_e32 vcc_lo, 0, v72
	v_cndmask_b32_e32 v72, v84, v78, vcc_lo
; %bb.52:
	s_or_b32 exec_lo, exec_lo, s2
	v_and_b32_e32 v78, 0x7f800000, v82
	s_delay_alu instid0(VALU_DEP_1) | instskip(SKIP_1) | instid1(SALU_CYCLE_1)
	v_cmp_ne_u32_e32 vcc_lo, 0x7f800000, v78
                                        ; implicit-def: $vgpr78
	s_and_saveexec_b32 s2, vcc_lo
	s_xor_b32 s2, exec_lo, s2
; %bb.53:
	v_bfe_u32 v78, v82, 16, 1
	s_delay_alu instid0(VALU_DEP_1)
	v_add3_u32 v78, v82, v78, 0x7fff
                                        ; implicit-def: $vgpr82
; %bb.54:
	s_and_not1_saveexec_b32 s2, s2
; %bb.55:
	v_and_b32_e32 v78, 0xffff, v82
	v_or_b32_e32 v84, 0x10000, v82
	s_delay_alu instid0(VALU_DEP_2) | instskip(NEXT) | instid1(VALU_DEP_2)
	v_cmp_eq_u32_e32 vcc_lo, 0, v78
	v_cndmask_b32_e32 v78, v84, v82, vcc_lo
; %bb.56:
	s_or_b32 exec_lo, exec_lo, s2
	v_and_b32_e32 v82, 0x7f800000, v83
	s_delay_alu instid0(VALU_DEP_1) | instskip(SKIP_1) | instid1(SALU_CYCLE_1)
	v_cmp_ne_u32_e32 vcc_lo, 0x7f800000, v82
                                        ; implicit-def: $vgpr82
	s_and_saveexec_b32 s2, vcc_lo
	s_xor_b32 s2, exec_lo, s2
; %bb.57:
	v_bfe_u32 v82, v83, 16, 1
	s_delay_alu instid0(VALU_DEP_1)
	v_add3_u32 v82, v83, v82, 0x7fff
                                        ; implicit-def: $vgpr83
; %bb.58:
	s_and_not1_saveexec_b32 s2, s2
; %bb.59:
	v_and_b32_e32 v82, 0xffff, v83
	v_or_b32_e32 v84, 0x10000, v83
	s_delay_alu instid0(VALU_DEP_2) | instskip(NEXT) | instid1(VALU_DEP_2)
	v_cmp_eq_u32_e32 vcc_lo, 0, v82
	v_cndmask_b32_e32 v82, v84, v83, vcc_lo
; %bb.60:
	s_or_b32 exec_lo, exec_lo, s2
	v_and_b32_e32 v83, 0x7f800000, v79
	s_delay_alu instid0(VALU_DEP_1) | instskip(SKIP_1) | instid1(SALU_CYCLE_1)
	v_cmp_ne_u32_e32 vcc_lo, 0x7f800000, v83
                                        ; implicit-def: $vgpr83
	s_and_saveexec_b32 s2, vcc_lo
	s_xor_b32 s2, exec_lo, s2
; %bb.61:
	v_bfe_u32 v83, v79, 16, 1
	s_delay_alu instid0(VALU_DEP_1)
	v_add3_u32 v83, v79, v83, 0x7fff
                                        ; implicit-def: $vgpr79
; %bb.62:
	s_and_not1_saveexec_b32 s2, s2
; %bb.63:
	v_and_b32_e32 v83, 0xffff, v79
	v_or_b32_e32 v84, 0x10000, v79
	s_delay_alu instid0(VALU_DEP_2) | instskip(NEXT) | instid1(VALU_DEP_2)
	v_cmp_eq_u32_e32 vcc_lo, 0, v83
	v_cndmask_b32_e32 v83, v84, v79, vcc_lo
; %bb.64:
	s_or_b32 exec_lo, exec_lo, s2
	v_and_b32_e32 v79, 0x7f800000, v80
	s_delay_alu instid0(VALU_DEP_1) | instskip(SKIP_1) | instid1(SALU_CYCLE_1)
	v_cmp_ne_u32_e32 vcc_lo, 0x7f800000, v79
                                        ; implicit-def: $vgpr79
	s_and_saveexec_b32 s2, vcc_lo
	s_xor_b32 s2, exec_lo, s2
; %bb.65:
	v_bfe_u32 v79, v80, 16, 1
	s_delay_alu instid0(VALU_DEP_1)
	v_add3_u32 v79, v80, v79, 0x7fff
                                        ; implicit-def: $vgpr80
; %bb.66:
	s_and_not1_saveexec_b32 s2, s2
; %bb.67:
	v_and_b32_e32 v79, 0xffff, v80
	v_or_b32_e32 v84, 0x10000, v80
	s_delay_alu instid0(VALU_DEP_2) | instskip(NEXT) | instid1(VALU_DEP_2)
	v_cmp_eq_u32_e32 vcc_lo, 0, v79
	v_cndmask_b32_e32 v79, v84, v80, vcc_lo
; %bb.68:
	s_or_b32 exec_lo, exec_lo, s2
	v_and_b32_e32 v80, 0x7f800000, v71
	s_delay_alu instid0(VALU_DEP_1) | instskip(SKIP_1) | instid1(SALU_CYCLE_1)
	v_cmp_ne_u32_e32 vcc_lo, 0x7f800000, v80
                                        ; implicit-def: $vgpr80
	s_and_saveexec_b32 s2, vcc_lo
	s_xor_b32 s2, exec_lo, s2
; %bb.69:
	v_bfe_u32 v80, v71, 16, 1
	s_delay_alu instid0(VALU_DEP_1)
	v_add3_u32 v80, v71, v80, 0x7fff
                                        ; implicit-def: $vgpr71
; %bb.70:
	s_and_not1_saveexec_b32 s2, s2
; %bb.71:
	v_and_b32_e32 v80, 0xffff, v71
	v_or_b32_e32 v84, 0x10000, v71
	s_delay_alu instid0(VALU_DEP_2) | instskip(NEXT) | instid1(VALU_DEP_2)
	v_cmp_eq_u32_e32 vcc_lo, 0, v80
	v_cndmask_b32_e32 v80, v84, v71, vcc_lo
; %bb.72:
	s_or_b32 exec_lo, exec_lo, s2
	v_and_b32_e32 v71, 0x7f800000, v66
	s_delay_alu instid0(VALU_DEP_1) | instskip(SKIP_1) | instid1(SALU_CYCLE_1)
	v_cmp_ne_u32_e32 vcc_lo, 0x7f800000, v71
                                        ; implicit-def: $vgpr71
	s_and_saveexec_b32 s2, vcc_lo
	s_xor_b32 s2, exec_lo, s2
; %bb.73:
	v_bfe_u32 v71, v66, 16, 1
	s_delay_alu instid0(VALU_DEP_1)
	v_add3_u32 v71, v66, v71, 0x7fff
                                        ; implicit-def: $vgpr66
; %bb.74:
	s_and_not1_saveexec_b32 s2, s2
; %bb.75:
	v_and_b32_e32 v71, 0xffff, v66
	v_or_b32_e32 v84, 0x10000, v66
	s_delay_alu instid0(VALU_DEP_2) | instskip(NEXT) | instid1(VALU_DEP_2)
	v_cmp_eq_u32_e32 vcc_lo, 0, v71
	v_cndmask_b32_e32 v71, v84, v66, vcc_lo
; %bb.76:
	s_or_b32 exec_lo, exec_lo, s2
	s_delay_alu instid0(VALU_DEP_1)
	v_perm_b32 v87, v71, v80, 0x7060302
	v_perm_b32 v86, v79, v83, 0x7060302
	;; [unrolled: 1-line block ×4, first 2 shown]
	v_lshl_or_b32 v83, v67, 11, v81
	ds_store_b128 v77, v[84:87] offset:1024
	s_waitcnt lgkmcnt(0)
	s_barrier
	buffer_gl0_inv
	ds_load_b128 v[84:87], v83
	ds_load_b128 v[88:91], v83 offset:16
	s_waitcnt lgkmcnt(1)
	v_lshrrev_b32_e32 v70, 16, v87
	s_waitcnt lgkmcnt(0)
	v_lshrrev_b32_e32 v71, 16, v88
	v_lshlrev_b32_e32 v79, 2, v65
	v_lshrrev_b32_e32 v65, 16, v84
	v_lshrrev_b32_e32 v66, 16, v85
	;; [unrolled: 1-line block ×4, first 2 shown]
	v_cmp_eq_u32_e32 vcc_lo, 1, v79
	v_lshrrev_b32_e32 v100, 16, v90
	v_lshrrev_b32_e32 v101, 16, v91
	v_cndmask_b32_e32 v92, v88, v71, vcc_lo
	v_or_b32_e32 v80, 1, v79
	v_cndmask_b32_e32 v82, v84, v65, vcc_lo
	v_cmp_eq_u32_e64 s3, 2, v79
	v_cmp_eq_u32_e64 s6, 3, v79
	;; [unrolled: 1-line block ×5, first 2 shown]
	v_cndmask_b32_e64 v82, v82, v85, s3
	v_cndmask_b32_e64 v92, v92, v89, s3
	v_cmp_eq_u32_e64 s7, 3, v80
	v_cndmask_b32_e64 v93, v84, v65, s2
	v_or_b32_e32 v78, 2, v79
	v_cndmask_b32_e64 v82, v82, v66, s6
	v_cndmask_b32_e64 v92, v92, v72, s6
	;; [unrolled: 1-line block ×4, first 2 shown]
	v_cmp_eq_u32_e64 s9, 5, v79
	v_cndmask_b32_e64 v82, v82, v86, s8
	v_cndmask_b32_e64 v92, v92, v90, s8
	v_cmp_eq_u32_e64 s10, 4, v80
	v_cndmask_b32_e64 v93, v93, v66, s7
	v_cmp_eq_u32_e64 s4, 1, v78
	v_cndmask_b32_e64 v94, v94, v89, s5
	v_cndmask_b32_e64 v82, v82, v67, s9
	v_cmp_eq_u32_e64 s11, 6, v79
	v_cndmask_b32_e64 v93, v93, v86, s10
	;; [unrolled: 3-line block ×3, first 2 shown]
	v_cndmask_b32_e64 v94, v94, v72, s7
	v_cndmask_b32_e64 v82, v82, v87, s11
	v_cmp_eq_u32_e64 s13, 7, v79
	v_cndmask_b32_e64 v93, v93, v67, s12
	v_cndmask_b32_e64 v92, v92, v91, s11
	v_cmp_eq_u32_e64 s15, 6, v80
	v_cmp_eq_u32_e64 s16, 2, v78
	v_cndmask_b32_e64 v94, v94, v90, s10
	v_cndmask_b32_e64 v102, v82, v70, s13
	;; [unrolled: 1-line block ×6, first 2 shown]
	v_cmp_eq_u32_e64 s17, 7, v80
	v_cmp_eq_u32_e64 s18, 3, v78
	;; [unrolled: 1-line block ×4, first 2 shown]
	v_cndmask_b32_e64 v92, v92, v89, s16
	v_cndmask_b32_e64 v104, v93, v70, s17
	v_cndmask_b32_e64 v93, v94, v100, s12
	v_cndmask_b32_e64 v94, v82, v66, s18
	v_or_b32_e32 v82, 3, v79
	v_cndmask_b32_e64 v97, v92, v72, s18
	v_cmp_eq_u32_e64 s23, 6, v78
	v_cndmask_b32_e64 v105, v93, v91, s15
	v_cndmask_b32_e64 v96, v94, v86, s19
	v_cmp_eq_u32_e64 s20, 1, v82
	ds_load_b128 v[92:95], v83 offset:1024
	v_cmp_eq_u32_e64 s22, 2, v82
	v_cmp_eq_u32_e64 s24, 3, v82
	v_cndmask_b32_e64 v106, v96, v67, s21
	v_cndmask_b32_e64 v65, v84, v65, s20
	;; [unrolled: 1-line block ×3, first 2 shown]
	ds_load_b128 v[96:99], v83 offset:1040
	v_cndmask_b32_e64 v71, v88, v71, s20
	v_cmp_eq_u32_e64 s25, 4, v82
	v_cndmask_b32_e64 v65, v65, v85, s22
	v_cmp_eq_u32_e64 s27, 5, v82
	v_cmp_eq_u32_e64 s28, 6, v82
	v_cndmask_b32_e64 v71, v71, v89, s22
	v_cndmask_b32_e64 v84, v84, v100, s21
	v_cndmask_b32_e64 v65, v65, v66, s24
	v_cndmask_b32_e64 v66, v106, v87, s23
	v_cmp_eq_u32_e64 s26, 7, v78
	v_cndmask_b32_e64 v71, v71, v72, s24
	v_cndmask_b32_e64 v84, v84, v91, s23
	;; [unrolled: 1-line block ×3, first 2 shown]
	s_waitcnt lgkmcnt(1)
	v_lshrrev_b32_e32 v72, 16, v92
	v_lshrrev_b32_e32 v88, 16, v93
	v_cndmask_b32_e64 v71, v71, v90, s25
	v_cndmask_b32_e64 v66, v66, v70, s26
	;; [unrolled: 1-line block ×6, first 2 shown]
	s_waitcnt lgkmcnt(0)
	v_lshrrev_b32_e32 v71, 16, v96
	v_cndmask_b32_e64 v65, v65, v87, s28
	v_cndmask_b32_e64 v87, v89, v93, s5
	v_lshrrev_b32_e32 v100, 16, v98
	v_cndmask_b32_e64 v67, v67, v91, s28
	v_cndmask_b32_e32 v86, v92, v72, vcc_lo
	v_cndmask_b32_e32 v90, v96, v71, vcc_lo
	v_cmp_eq_u32_e32 vcc_lo, 7, v82
	v_cndmask_b32_e64 v87, v87, v88, s7
	v_lshrrev_b32_e32 v91, 16, v94
	v_cndmask_b32_e64 v85, v105, v101, s17
	v_cndmask_b32_e64 v89, v90, v97, s3
	v_cndmask_b32_e32 v67, v67, v101, vcc_lo
	v_cndmask_b32_e64 v86, v86, v93, s3
	v_lshrrev_b32_e32 v90, 16, v97
	v_cndmask_b32_e32 v65, v65, v70, vcc_lo
	v_cndmask_b32_e64 v70, v87, v94, s10
	v_cndmask_b32_e64 v101, v96, v71, s4
	;; [unrolled: 1-line block ×4, first 2 shown]
	v_perm_b32 v87, v67, v65, 0x5040100
	v_cndmask_b32_e64 v65, v70, v91, s12
	v_lshrrev_b32_e32 v70, 16, v95
	v_cndmask_b32_e64 v86, v86, v94, s8
	v_cndmask_b32_e64 v89, v89, v98, s8
	v_perm_b32 v85, v85, v104, 0x5040100
	v_cndmask_b32_e64 v65, v65, v95, s15
	s_delay_alu instid0(VALU_DEP_4) | instskip(NEXT) | instid1(VALU_DEP_4)
	v_cndmask_b32_e64 v86, v86, v91, s9
	v_cndmask_b32_e64 v89, v89, v100, s9
	s_delay_alu instid0(VALU_DEP_3) | instskip(NEXT) | instid1(VALU_DEP_3)
	v_cndmask_b32_e64 v65, v65, v70, s17
	v_cndmask_b32_e64 v67, v86, v95, s11
	v_perm_b32 v86, v84, v66, 0x5040100
	v_lshrrev_b32_e32 v84, 16, v99
	s_delay_alu instid0(VALU_DEP_3)
	v_cndmask_b32_e64 v66, v67, v70, s13
	v_cndmask_b32_e64 v67, v89, v99, s11
	;; [unrolled: 1-line block ×33, first 2 shown]
	v_cndmask_b32_e32 v70, v72, v70, vcc_lo
	v_cndmask_b32_e32 v72, v88, v84, vcc_lo
	v_cndmask_b32_e64 v88, v90, v84, s26
	v_cndmask_b32_e64 v71, v71, v84, s17
	v_perm_b32 v84, v103, v102, 0x5040100
	s_lshl_b32 s7, s35, 1
	v_perm_b32 v91, v72, v70, 0x5040100
	v_perm_b32 v90, v88, v89, 0x5040100
	;; [unrolled: 1-line block ×4, first 2 shown]
	s_mov_b32 s2, exec_lo
	ds_store_b128 v77, v[84:87]
	ds_store_b128 v77, v[88:91] offset:1024
	v_cmpx_gt_u32_e32 2, v0
	s_cbranch_execz .LBB1483_78
; %bb.77:
	v_or_b32_e32 v65, s31, v0
	s_load_b128 s[8:11], s[0:1], 0x58
	s_delay_alu instid0(VALU_DEP_1) | instskip(NEXT) | instid1(VALU_DEP_1)
	v_mad_u64_u32 v[66:67], null, s7, s30, v[65:66]
	v_mad_u64_u32 v[70:71], null, v66, s34, s[14:15]
	s_delay_alu instid0(VALU_DEP_1) | instskip(NEXT) | instid1(VALU_DEP_1)
	v_ashrrev_i32_e32 v71, 31, v70
	v_lshlrev_b64 v[65:66], 2, v[70:71]
	s_waitcnt lgkmcnt(0)
	s_delay_alu instid0(VALU_DEP_1) | instskip(NEXT) | instid1(VALU_DEP_2)
	v_add_co_u32 v70, vcc_lo, s10, v65
	v_add_co_ci_u32_e32 v71, vcc_lo, s11, v66, vcc_lo
	v_add_co_u32 v65, vcc_lo, s8, v65
	v_add_co_ci_u32_e32 v66, vcc_lo, s9, v66, vcc_lo
	global_store_b32 v[70:71], v68, off
	global_store_b32 v[65:66], v69, off
.LBB1483_78:
	s_or_b32 exec_lo, exec_lo, s2
	s_waitcnt lgkmcnt(0)
	s_waitcnt_vscnt null, 0x0
	s_barrier
	buffer_gl0_inv
	ds_load_b128 v[84:87], v81
	ds_load_b128 v[88:91], v81 offset:16
	ds_load_b128 v[96:99], v81 offset:2064
	;; [unrolled: 1-line block ×3, first 2 shown]
	v_mov_b32_e32 v65, 0
	ds_load_b128 v[104:107], v81 offset:4112
	ds_load_b128 v[100:103], v81 offset:4096
	;; [unrolled: 1-line block ×4, first 2 shown]
	v_mov_b32_e32 v66, v65
	v_mov_b32_e32 v67, v65
	;; [unrolled: 1-line block ×7, first 2 shown]
	s_waitcnt lgkmcnt(6)
	s_delay_alu instid0(VALU_DEP_1)
	v_wmma_f32_16x16x16_bf16 v[65:72], v[57:64], v[84:91], v[65:72]
	ds_load_b128 v[61:64], v81 offset:8208
	ds_load_b128 v[57:60], v81 offset:8192
	s_waitcnt lgkmcnt(6)
	v_wmma_f32_16x16x16_bf16 v[65:72], v[41:48], v[92:99], v[65:72]
	ds_load_b128 v[45:48], v81 offset:10256
	ds_load_b128 v[41:44], v81 offset:10240
	s_waitcnt lgkmcnt(6)
	;; [unrolled: 4-line block ×4, first 2 shown]
	v_wmma_f32_16x16x16_bf16 v[65:72], v[1:8], v[57:64], v[65:72]
	s_waitcnt lgkmcnt(4)
	s_delay_alu instid0(VALU_DEP_1) | instskip(SKIP_1) | instid1(VALU_DEP_1)
	v_wmma_f32_16x16x16_bf16 v[65:72], v[9:16], v[41:48], v[65:72]
	s_waitcnt lgkmcnt(2)
	v_wmma_f32_16x16x16_bf16 v[65:72], v[17:24], v[33:40], v[65:72]
	s_waitcnt lgkmcnt(0)
	s_delay_alu instid0(VALU_DEP_1) | instskip(NEXT) | instid1(VALU_DEP_1)
	v_wmma_f32_16x16x16_bf16 v[65:72], v[49:56], v[25:32], v[65:72]
	v_and_b32_e32 v1, 0x7f800000, v65
	s_delay_alu instid0(VALU_DEP_1) | instskip(SKIP_1) | instid1(SALU_CYCLE_1)
	v_cmp_ne_u32_e32 vcc_lo, 0x7f800000, v1
                                        ; implicit-def: $vgpr1
	s_and_saveexec_b32 s2, vcc_lo
	s_xor_b32 s2, exec_lo, s2
; %bb.79:
	v_bfe_u32 v1, v65, 16, 1
	s_delay_alu instid0(VALU_DEP_1)
	v_add3_u32 v1, v65, v1, 0x7fff
; %bb.80:
	s_and_not1_saveexec_b32 s2, s2
; %bb.81:
	v_and_b32_e32 v1, 0xffff, v65
	v_or_b32_e32 v2, 0x10000, v65
	s_delay_alu instid0(VALU_DEP_2) | instskip(NEXT) | instid1(VALU_DEP_2)
	v_cmp_eq_u32_e32 vcc_lo, 0, v1
	v_cndmask_b32_e32 v1, v2, v65, vcc_lo
; %bb.82:
	s_or_b32 exec_lo, exec_lo, s2
	v_and_b32_e32 v2, 0x7f800000, v66
	s_delay_alu instid0(VALU_DEP_1) | instskip(SKIP_1) | instid1(SALU_CYCLE_1)
	v_cmp_ne_u32_e32 vcc_lo, 0x7f800000, v2
                                        ; implicit-def: $vgpr2
	s_and_saveexec_b32 s2, vcc_lo
	s_xor_b32 s2, exec_lo, s2
; %bb.83:
	v_bfe_u32 v2, v66, 16, 1
	s_delay_alu instid0(VALU_DEP_1)
	v_add3_u32 v2, v66, v2, 0x7fff
; %bb.84:
	s_and_not1_saveexec_b32 s2, s2
; %bb.85:
	v_and_b32_e32 v2, 0xffff, v66
	v_or_b32_e32 v3, 0x10000, v66
	s_delay_alu instid0(VALU_DEP_2) | instskip(NEXT) | instid1(VALU_DEP_2)
	v_cmp_eq_u32_e32 vcc_lo, 0, v2
	v_cndmask_b32_e32 v2, v3, v66, vcc_lo
; %bb.86:
	s_or_b32 exec_lo, exec_lo, s2
	v_and_b32_e32 v3, 0x7f800000, v67
	s_delay_alu instid0(VALU_DEP_1) | instskip(SKIP_1) | instid1(SALU_CYCLE_1)
	v_cmp_ne_u32_e32 vcc_lo, 0x7f800000, v3
                                        ; implicit-def: $vgpr3
	s_and_saveexec_b32 s2, vcc_lo
	s_xor_b32 s2, exec_lo, s2
; %bb.87:
	v_bfe_u32 v3, v67, 16, 1
	s_delay_alu instid0(VALU_DEP_1)
	v_add3_u32 v3, v67, v3, 0x7fff
; %bb.88:
	s_and_not1_saveexec_b32 s2, s2
; %bb.89:
	v_and_b32_e32 v3, 0xffff, v67
	v_or_b32_e32 v4, 0x10000, v67
	s_delay_alu instid0(VALU_DEP_2) | instskip(NEXT) | instid1(VALU_DEP_2)
	v_cmp_eq_u32_e32 vcc_lo, 0, v3
	v_cndmask_b32_e32 v3, v4, v67, vcc_lo
; %bb.90:
	s_or_b32 exec_lo, exec_lo, s2
	v_and_b32_e32 v4, 0x7f800000, v68
	s_delay_alu instid0(VALU_DEP_1) | instskip(SKIP_1) | instid1(SALU_CYCLE_1)
	v_cmp_ne_u32_e32 vcc_lo, 0x7f800000, v4
                                        ; implicit-def: $vgpr4
	s_and_saveexec_b32 s2, vcc_lo
	s_xor_b32 s2, exec_lo, s2
; %bb.91:
	v_bfe_u32 v4, v68, 16, 1
	s_delay_alu instid0(VALU_DEP_1)
	v_add3_u32 v4, v68, v4, 0x7fff
; %bb.92:
	s_and_not1_saveexec_b32 s2, s2
; %bb.93:
	v_and_b32_e32 v4, 0xffff, v68
	v_or_b32_e32 v5, 0x10000, v68
	s_delay_alu instid0(VALU_DEP_2) | instskip(NEXT) | instid1(VALU_DEP_2)
	v_cmp_eq_u32_e32 vcc_lo, 0, v4
	v_cndmask_b32_e32 v4, v5, v68, vcc_lo
; %bb.94:
	s_or_b32 exec_lo, exec_lo, s2
	v_and_b32_e32 v5, 0x7f800000, v69
	s_delay_alu instid0(VALU_DEP_1) | instskip(SKIP_1) | instid1(SALU_CYCLE_1)
	v_cmp_ne_u32_e32 vcc_lo, 0x7f800000, v5
                                        ; implicit-def: $vgpr5
	s_and_saveexec_b32 s2, vcc_lo
	s_xor_b32 s2, exec_lo, s2
; %bb.95:
	v_bfe_u32 v5, v69, 16, 1
	s_delay_alu instid0(VALU_DEP_1)
	v_add3_u32 v5, v69, v5, 0x7fff
; %bb.96:
	s_and_not1_saveexec_b32 s2, s2
; %bb.97:
	v_and_b32_e32 v5, 0xffff, v69
	v_or_b32_e32 v6, 0x10000, v69
	s_delay_alu instid0(VALU_DEP_2) | instskip(NEXT) | instid1(VALU_DEP_2)
	v_cmp_eq_u32_e32 vcc_lo, 0, v5
	v_cndmask_b32_e32 v5, v6, v69, vcc_lo
; %bb.98:
	s_or_b32 exec_lo, exec_lo, s2
	v_and_b32_e32 v6, 0x7f800000, v70
	s_delay_alu instid0(VALU_DEP_1) | instskip(SKIP_1) | instid1(SALU_CYCLE_1)
	v_cmp_ne_u32_e32 vcc_lo, 0x7f800000, v6
                                        ; implicit-def: $vgpr6
	s_and_saveexec_b32 s2, vcc_lo
	s_xor_b32 s2, exec_lo, s2
; %bb.99:
	v_bfe_u32 v6, v70, 16, 1
	s_delay_alu instid0(VALU_DEP_1)
	v_add3_u32 v6, v70, v6, 0x7fff
; %bb.100:
	s_and_not1_saveexec_b32 s2, s2
; %bb.101:
	v_and_b32_e32 v6, 0xffff, v70
	v_or_b32_e32 v7, 0x10000, v70
	s_delay_alu instid0(VALU_DEP_2) | instskip(NEXT) | instid1(VALU_DEP_2)
	v_cmp_eq_u32_e32 vcc_lo, 0, v6
	v_cndmask_b32_e32 v6, v7, v70, vcc_lo
; %bb.102:
	s_or_b32 exec_lo, exec_lo, s2
	v_and_b32_e32 v7, 0x7f800000, v71
	s_delay_alu instid0(VALU_DEP_1) | instskip(SKIP_1) | instid1(SALU_CYCLE_1)
	v_cmp_ne_u32_e32 vcc_lo, 0x7f800000, v7
                                        ; implicit-def: $vgpr7
	s_and_saveexec_b32 s2, vcc_lo
	s_xor_b32 s2, exec_lo, s2
; %bb.103:
	v_bfe_u32 v7, v71, 16, 1
	s_delay_alu instid0(VALU_DEP_1)
	v_add3_u32 v7, v71, v7, 0x7fff
; %bb.104:
	s_and_not1_saveexec_b32 s2, s2
; %bb.105:
	v_and_b32_e32 v7, 0xffff, v71
	v_or_b32_e32 v8, 0x10000, v71
	s_delay_alu instid0(VALU_DEP_2) | instskip(NEXT) | instid1(VALU_DEP_2)
	v_cmp_eq_u32_e32 vcc_lo, 0, v7
	v_cndmask_b32_e32 v7, v8, v71, vcc_lo
; %bb.106:
	s_or_b32 exec_lo, exec_lo, s2
	v_and_b32_e32 v8, 0x7f800000, v72
	s_delay_alu instid0(VALU_DEP_1) | instskip(SKIP_1) | instid1(SALU_CYCLE_1)
	v_cmp_ne_u32_e32 vcc_lo, 0x7f800000, v8
                                        ; implicit-def: $vgpr8
	s_and_saveexec_b32 s2, vcc_lo
	s_xor_b32 s2, exec_lo, s2
; %bb.107:
	v_bfe_u32 v8, v72, 16, 1
	s_delay_alu instid0(VALU_DEP_1)
	v_add3_u32 v8, v72, v8, 0x7fff
                                        ; implicit-def: $vgpr65_vgpr66_vgpr67_vgpr68_vgpr69_vgpr70_vgpr71_vgpr72
; %bb.108:
	s_and_not1_saveexec_b32 s2, s2
; %bb.109:
	v_and_b32_e32 v8, 0xffff, v72
	v_or_b32_e32 v9, 0x10000, v72
	s_delay_alu instid0(VALU_DEP_2) | instskip(NEXT) | instid1(VALU_DEP_2)
	v_cmp_eq_u32_e32 vcc_lo, 0, v8
	v_cndmask_b32_e32 v8, v9, v72, vcc_lo
; %bb.110:
	s_or_b32 exec_lo, exec_lo, s2
	s_delay_alu instid0(VALU_DEP_1)
	v_perm_b32 v7, v8, v7, 0x7060302
	v_perm_b32 v6, v6, v5, 0x7060302
	;; [unrolled: 1-line block ×4, first 2 shown]
	s_barrier
	buffer_gl0_inv
	v_cmp_eq_u32_e32 vcc_lo, 1, v79
	ds_store_b128 v77, v[4:7]
	s_waitcnt lgkmcnt(0)
	s_barrier
	buffer_gl0_inv
	ds_load_b128 v[1:4], v83
	ds_load_b128 v[5:8], v83 offset:16
	v_cmp_eq_u32_e64 s2, 1, v80
	v_cmp_eq_u32_e64 s3, 2, v79
	;; [unrolled: 1-line block ×5, first 2 shown]
	s_waitcnt lgkmcnt(1)
	v_lshrrev_b32_e32 v9, 16, v1
	s_waitcnt lgkmcnt(0)
	v_lshrrev_b32_e32 v13, 16, v5
	v_lshrrev_b32_e32 v10, 16, v2
	v_lshrrev_b32_e32 v14, 16, v6
	v_lshrrev_b32_e32 v11, 16, v3
	v_cndmask_b32_e64 v19, v1, v9, s2
	v_cndmask_b32_e32 v18, v5, v13, vcc_lo
	v_cndmask_b32_e64 v20, v5, v13, s2
	v_cndmask_b32_e32 v17, v1, v9, vcc_lo
	v_cmp_eq_u32_e32 vcc_lo, 2, v80
	v_lshrrev_b32_e32 v15, 16, v7
	v_cmp_eq_u32_e64 s2, 1, v78
	v_lshrrev_b32_e32 v12, 16, v4
	v_lshrrev_b32_e32 v16, 16, v8
	v_cndmask_b32_e32 v20, v20, v6, vcc_lo
	v_cndmask_b32_e64 v17, v17, v2, s3
	v_cndmask_b32_e32 v19, v19, v2, vcc_lo
	v_cndmask_b32_e64 v18, v18, v6, s3
	v_cmp_eq_u32_e32 vcc_lo, 4, v79
	v_cmp_eq_u32_e64 s3, 3, v80
	v_cndmask_b32_e64 v17, v17, v10, s4
	v_cndmask_b32_e64 v21, v1, v9, s2
	;; [unrolled: 1-line block ×5, first 2 shown]
	v_cndmask_b32_e32 v17, v17, v3, vcc_lo
	v_cndmask_b32_e64 v20, v20, v14, s3
	v_cndmask_b32_e32 v18, v18, v7, vcc_lo
	v_cmp_eq_u32_e32 vcc_lo, 4, v80
	v_cmp_eq_u32_e64 s3, 5, v80
	v_cmp_eq_u32_e64 s2, 2, v82
	v_cndmask_b32_e64 v21, v21, v2, s6
	v_cmp_eq_u32_e64 s4, 5, v79
	v_cndmask_b32_e32 v19, v19, v3, vcc_lo
	v_cndmask_b32_e32 v20, v20, v7, vcc_lo
	v_cmp_eq_u32_e32 vcc_lo, 6, v80
	s_delay_alu instid0(VALU_DEP_4) | instskip(NEXT) | instid1(VALU_DEP_4)
	v_cndmask_b32_e64 v17, v17, v11, s4
	v_cndmask_b32_e64 v19, v19, v11, s3
	s_delay_alu instid0(VALU_DEP_4) | instskip(SKIP_1) | instid1(VALU_DEP_3)
	v_cndmask_b32_e64 v20, v20, v15, s3
	v_cmp_eq_u32_e64 s3, 1, v82
	v_cndmask_b32_e32 v19, v19, v4, vcc_lo
	v_cndmask_b32_e64 v18, v18, v15, s4
	s_delay_alu instid0(VALU_DEP_3)
	v_cndmask_b32_e64 v1, v1, v9, s3
	v_cndmask_b32_e64 v5, v5, v13, s3
	v_cmp_eq_u32_e64 s3, 3, v78
	v_cndmask_b32_e64 v13, v22, v6, s6
	v_cmp_eq_u32_e64 s6, 3, v82
	v_cndmask_b32_e64 v1, v1, v2, s2
	v_cndmask_b32_e64 v2, v5, v6, s2
	;; [unrolled: 1-line block ×3, first 2 shown]
	v_cmp_eq_u32_e64 s2, 4, v78
	v_cndmask_b32_e64 v6, v13, v14, s3
	v_cndmask_b32_e64 v1, v1, v10, s6
	v_cmp_eq_u32_e64 s3, 4, v82
	v_cndmask_b32_e64 v2, v2, v14, s6
	v_cndmask_b32_e64 v5, v9, v3, s2
	;; [unrolled: 3-line block ×3, first 2 shown]
	v_cndmask_b32_e64 v2, v2, v7, s3
	v_cmp_eq_u32_e64 s2, 5, v82
	v_cmp_eq_u32_e64 s4, 6, v79
	v_cndmask_b32_e64 v5, v5, v11, s6
	v_cmp_eq_u32_e64 s3, 6, v78
	v_cndmask_b32_e64 v3, v6, v15, s6
	v_cndmask_b32_e64 v1, v1, v11, s2
	v_cmp_eq_u32_e64 s6, 6, v82
	v_cndmask_b32_e64 v2, v2, v15, s2
	v_cndmask_b32_e64 v17, v17, v4, s4
	v_cndmask_b32_e64 v18, v18, v8, s4
	v_cmp_eq_u32_e64 s4, 7, v79
	v_cndmask_b32_e64 v5, v5, v4, s3
	;; [unrolled: 4-line block ×3, first 2 shown]
	v_cmp_eq_u32_e64 s3, 7, v78
	v_cndmask_b32_e32 v4, v20, v8, vcc_lo
	v_cndmask_b32_e64 v17, v17, v12, s4
	v_cndmask_b32_e64 v19, v19, v12, s5
	;; [unrolled: 1-line block ×8, first 2 shown]
	s_delay_alu instid0(VALU_DEP_4) | instskip(NEXT) | instid1(VALU_DEP_4)
	v_perm_b32 v4, v2, v1, 0x5040100
	v_perm_b32 v3, v3, v5, 0x5040100
	s_delay_alu instid0(VALU_DEP_4) | instskip(NEXT) | instid1(VALU_DEP_4)
	v_perm_b32 v2, v6, v19, 0x5040100
	v_perm_b32 v1, v7, v17, 0x5040100
	ds_store_b128 v77, v[1:4]
	s_waitcnt lgkmcnt(0)
	s_barrier
	buffer_gl0_inv
	s_and_saveexec_b32 s2, s29
	s_cbranch_execz .LBB1483_2
; %bb.111:
	s_load_b64 s[0:1], s[0:1], 0x68
	v_lshlrev_b32_e32 v0, 10, v0
	s_lshl_b32 s2, s34, 6
	v_lshlrev_b32_e32 v1, 4, v76
	v_mul_lo_u32 v4, s2, v75
	s_mul_i32 s3, s2, s30
	v_and_b32_e32 v0, 0x3800, v0
	s_mul_i32 s2, s3, s7
	s_delay_alu instid0(SALU_CYCLE_1) | instskip(NEXT) | instid1(VALU_DEP_1)
	s_ashr_i32 s3, s2, 31
	v_or3_b32 v0, v0, v74, v1
	s_lshl_b64 s[2:3], s[2:3], 1
	s_delay_alu instid0(VALU_DEP_3)
	v_ashrrev_i32_e32 v5, 31, v4
	ds_load_b128 v[0:3], v0
	v_lshlrev_b64 v[4:5], 1, v[4:5]
	s_waitcnt lgkmcnt(0)
	s_add_u32 s2, s0, s2
	s_addc_u32 s3, s1, s3
	s_lshl_b32 s0, s14, 6
	s_delay_alu instid0(SALU_CYCLE_1) | instskip(NEXT) | instid1(SALU_CYCLE_1)
	s_ashr_i32 s1, s0, 31
	s_lshl_b64 s[0:1], s[0:1], 1
	s_delay_alu instid0(SALU_CYCLE_1) | instskip(SKIP_3) | instid1(VALU_DEP_2)
	s_add_u32 s0, s2, s0
	s_addc_u32 s1, s3, s1
	v_add_co_u32 v4, vcc_lo, s0, v4
	v_add_co_ci_u32_e32 v5, vcc_lo, s1, v5, vcc_lo
	v_add_co_u32 v4, vcc_lo, v4, v73
	s_delay_alu instid0(VALU_DEP_2)
	v_add_co_ci_u32_e32 v5, vcc_lo, 0, v5, vcc_lo
	global_store_b128 v[4:5], v[0:3], off
	s_nop 0
	s_sendmsg sendmsg(MSG_DEALLOC_VGPRS)
	s_endpgm
	.section	.rodata,"a",@progbits
	.p2align	6, 0x0
	.amdhsa_kernel _Z39paged_attention_ll4mi_QKV_mfma16_kernelI14__hip_bfloat16hLN4vllm18Fp8KVCacheDataTypeE1ES0_Li32ELi64ELi256ELb1ELi2EL8MFMAType1EEvPKT_PKT0_S9_ifPKiSB_SB_iPKfiiiPfSE_PS4_PT2_iSD_SD_
		.amdhsa_group_segment_fixed_size 17472
		.amdhsa_private_segment_fixed_size 0
		.amdhsa_kernarg_size 400
		.amdhsa_user_sgpr_count 13
		.amdhsa_user_sgpr_dispatch_ptr 0
		.amdhsa_user_sgpr_queue_ptr 0
		.amdhsa_user_sgpr_kernarg_segment_ptr 1
		.amdhsa_user_sgpr_dispatch_id 0
		.amdhsa_user_sgpr_private_segment_size 0
		.amdhsa_wavefront_size32 1
		.amdhsa_uses_dynamic_stack 0
		.amdhsa_enable_private_segment 0
		.amdhsa_system_sgpr_workgroup_id_x 1
		.amdhsa_system_sgpr_workgroup_id_y 1
		.amdhsa_system_sgpr_workgroup_id_z 1
		.amdhsa_system_sgpr_workgroup_info 0
		.amdhsa_system_vgpr_workitem_id 0
		.amdhsa_next_free_vgpr 125
		.amdhsa_next_free_sgpr 40
		.amdhsa_reserve_vcc 1
		.amdhsa_float_round_mode_32 0
		.amdhsa_float_round_mode_16_64 0
		.amdhsa_float_denorm_mode_32 3
		.amdhsa_float_denorm_mode_16_64 3
		.amdhsa_dx10_clamp 1
		.amdhsa_ieee_mode 1
		.amdhsa_fp16_overflow 0
		.amdhsa_workgroup_processor_mode 1
		.amdhsa_memory_ordered 1
		.amdhsa_forward_progress 0
		.amdhsa_shared_vgpr_count 0
		.amdhsa_exception_fp_ieee_invalid_op 0
		.amdhsa_exception_fp_denorm_src 0
		.amdhsa_exception_fp_ieee_div_zero 0
		.amdhsa_exception_fp_ieee_overflow 0
		.amdhsa_exception_fp_ieee_underflow 0
		.amdhsa_exception_fp_ieee_inexact 0
		.amdhsa_exception_int_div_zero 0
	.end_amdhsa_kernel
	.section	.text._Z39paged_attention_ll4mi_QKV_mfma16_kernelI14__hip_bfloat16hLN4vllm18Fp8KVCacheDataTypeE1ES0_Li32ELi64ELi256ELb1ELi2EL8MFMAType1EEvPKT_PKT0_S9_ifPKiSB_SB_iPKfiiiPfSE_PS4_PT2_iSD_SD_,"axG",@progbits,_Z39paged_attention_ll4mi_QKV_mfma16_kernelI14__hip_bfloat16hLN4vllm18Fp8KVCacheDataTypeE1ES0_Li32ELi64ELi256ELb1ELi2EL8MFMAType1EEvPKT_PKT0_S9_ifPKiSB_SB_iPKfiiiPfSE_PS4_PT2_iSD_SD_,comdat
.Lfunc_end1483:
	.size	_Z39paged_attention_ll4mi_QKV_mfma16_kernelI14__hip_bfloat16hLN4vllm18Fp8KVCacheDataTypeE1ES0_Li32ELi64ELi256ELb1ELi2EL8MFMAType1EEvPKT_PKT0_S9_ifPKiSB_SB_iPKfiiiPfSE_PS4_PT2_iSD_SD_, .Lfunc_end1483-_Z39paged_attention_ll4mi_QKV_mfma16_kernelI14__hip_bfloat16hLN4vllm18Fp8KVCacheDataTypeE1ES0_Li32ELi64ELi256ELb1ELi2EL8MFMAType1EEvPKT_PKT0_S9_ifPKiSB_SB_iPKfiiiPfSE_PS4_PT2_iSD_SD_
                                        ; -- End function
	.section	.AMDGPU.csdata,"",@progbits
; Kernel info:
; codeLenInByte = 8520
; NumSgprs: 42
; NumVgprs: 125
; ScratchSize: 0
; MemoryBound: 0
; FloatMode: 240
; IeeeMode: 1
; LDSByteSize: 17472 bytes/workgroup (compile time only)
; SGPRBlocks: 5
; VGPRBlocks: 15
; NumSGPRsForWavesPerEU: 42
; NumVGPRsForWavesPerEU: 125
; Occupancy: 10
; WaveLimiterHint : 1
; COMPUTE_PGM_RSRC2:SCRATCH_EN: 0
; COMPUTE_PGM_RSRC2:USER_SGPR: 13
; COMPUTE_PGM_RSRC2:TRAP_HANDLER: 0
; COMPUTE_PGM_RSRC2:TGID_X_EN: 1
; COMPUTE_PGM_RSRC2:TGID_Y_EN: 1
; COMPUTE_PGM_RSRC2:TGID_Z_EN: 1
; COMPUTE_PGM_RSRC2:TIDIG_COMP_CNT: 0
	.section	.text._Z39paged_attention_ll4mi_QKV_mfma16_kernelI14__hip_bfloat16hLN4vllm18Fp8KVCacheDataTypeE1ES0_Li32ELi64ELi256ELb1ELi3EL8MFMAType1EEvPKT_PKT0_S9_ifPKiSB_SB_iPKfiiiPfSE_PS4_PT2_iSD_SD_,"axG",@progbits,_Z39paged_attention_ll4mi_QKV_mfma16_kernelI14__hip_bfloat16hLN4vllm18Fp8KVCacheDataTypeE1ES0_Li32ELi64ELi256ELb1ELi3EL8MFMAType1EEvPKT_PKT0_S9_ifPKiSB_SB_iPKfiiiPfSE_PS4_PT2_iSD_SD_,comdat
	.protected	_Z39paged_attention_ll4mi_QKV_mfma16_kernelI14__hip_bfloat16hLN4vllm18Fp8KVCacheDataTypeE1ES0_Li32ELi64ELi256ELb1ELi3EL8MFMAType1EEvPKT_PKT0_S9_ifPKiSB_SB_iPKfiiiPfSE_PS4_PT2_iSD_SD_ ; -- Begin function _Z39paged_attention_ll4mi_QKV_mfma16_kernelI14__hip_bfloat16hLN4vllm18Fp8KVCacheDataTypeE1ES0_Li32ELi64ELi256ELb1ELi3EL8MFMAType1EEvPKT_PKT0_S9_ifPKiSB_SB_iPKfiiiPfSE_PS4_PT2_iSD_SD_
	.globl	_Z39paged_attention_ll4mi_QKV_mfma16_kernelI14__hip_bfloat16hLN4vllm18Fp8KVCacheDataTypeE1ES0_Li32ELi64ELi256ELb1ELi3EL8MFMAType1EEvPKT_PKT0_S9_ifPKiSB_SB_iPKfiiiPfSE_PS4_PT2_iSD_SD_
	.p2align	8
	.type	_Z39paged_attention_ll4mi_QKV_mfma16_kernelI14__hip_bfloat16hLN4vllm18Fp8KVCacheDataTypeE1ES0_Li32ELi64ELi256ELb1ELi3EL8MFMAType1EEvPKT_PKT0_S9_ifPKiSB_SB_iPKfiiiPfSE_PS4_PT2_iSD_SD_,@function
_Z39paged_attention_ll4mi_QKV_mfma16_kernelI14__hip_bfloat16hLN4vllm18Fp8KVCacheDataTypeE1ES0_Li32ELi64ELi256ELb1ELi3EL8MFMAType1EEvPKT_PKT0_S9_ifPKiSB_SB_iPKfiiiPfSE_PS4_PT2_iSD_SD_: ; @_Z39paged_attention_ll4mi_QKV_mfma16_kernelI14__hip_bfloat16hLN4vllm18Fp8KVCacheDataTypeE1ES0_Li32ELi64ELi256ELb1ELi3EL8MFMAType1EEvPKT_PKT0_S9_ifPKiSB_SB_iPKfiiiPfSE_PS4_PT2_iSD_SD_
; %bb.0:
	s_load_b64 s[2:3], s[0:1], 0x30
	s_mov_b32 s34, s13
	s_waitcnt lgkmcnt(0)
	s_cmp_lg_u64 s[2:3], 0
	s_cselect_b32 s8, -1, 0
	s_ashr_i32 s35, s13, 31
	s_cmp_eq_u64 s[2:3], 0
	s_cbranch_scc1 .LBB1484_3
; %bb.1:
	s_lshl_b64 s[4:5], s[34:35], 2
	s_delay_alu instid0(SALU_CYCLE_1) | instskip(SKIP_4) | instid1(SALU_CYCLE_1)
	s_add_u32 s4, s2, s4
	s_addc_u32 s5, s3, s5
	s_load_b64 s[4:5], s[4:5], 0x0
	s_waitcnt lgkmcnt(0)
	s_sub_i32 s4, s5, s4
	s_cmp_eq_u32 s4, 1
	s_cselect_b32 s4, -1, 0
	s_delay_alu instid0(SALU_CYCLE_1)
	s_and_not1_b32 vcc_lo, exec_lo, s4
	s_cbranch_vccz .LBB1484_4
.LBB1484_2:
	s_nop 0
	s_sendmsg sendmsg(MSG_DEALLOC_VGPRS)
	s_endpgm
.LBB1484_3:
.LBB1484_4:
	s_load_b64 s[4:5], s[0:1], 0x28
	s_lshl_b64 s[6:7], s[34:35], 2
	s_waitcnt lgkmcnt(0)
	s_add_u32 s4, s4, s6
	s_addc_u32 s5, s5, s7
	s_lshl_b32 s12, s14, 8
	s_load_b32 s24, s[4:5], 0x0
	s_waitcnt lgkmcnt(0)
	s_cmp_ge_i32 s12, s24
	s_cbranch_scc1 .LBB1484_2
; %bb.5:
	s_clause 0x1
	s_load_b128 s[20:23], s[0:1], 0x8
	s_load_b64 s[4:5], s[0:1], 0x20
	s_and_not1_b32 vcc_lo, exec_lo, s8
	s_cbranch_vccnz .LBB1484_7
; %bb.6:
	s_add_u32 s2, s2, s6
	s_addc_u32 s3, s3, s7
	s_load_b32 s3, s[2:3], 0x0
	s_branch .LBB1484_8
.LBB1484_7:
	s_mov_b32 s3, s34
.LBB1484_8:
	s_load_b128 s[16:19], s[0:1], 0x48
	v_lshrrev_b32_e32 v66, 5, v0
	v_bfe_u32 v74, v0, 4, 1
	v_and_b32_e32 v65, 15, v0
	v_and_b32_e32 v67, 31, v0
	;; [unrolled: 1-line block ×3, first 2 shown]
	s_mul_i32 s31, s15, 3
	v_lshl_or_b32 v1, v66, 1, v74
	v_lshlrev_b32_e32 v2, 3, v65
	v_cmp_gt_u32_e64 s2, 8, v65
	s_delay_alu instid0(VALU_DEP_3) | instskip(NEXT) | instid1(VALU_DEP_3)
	v_cmp_gt_u32_e32 vcc_lo, 3, v1
	v_lshlrev_b32_e32 v73, 1, v2
	s_delay_alu instid0(VALU_DEP_3) | instskip(NEXT) | instid1(SALU_CYCLE_1)
	s_and_b32 s7, s2, vcc_lo
	s_and_saveexec_b32 s6, s7
	s_cbranch_execz .LBB1484_10
; %bb.9:
	s_load_b64 s[8:9], s[0:1], 0x0
	v_add_lshl_u32 v2, v1, s31, 6
	s_waitcnt lgkmcnt(0)
	s_mul_hi_i32 s11, s3, s16
	s_mul_i32 s10, s3, s16
	v_lshlrev_b32_e32 v6, 10, v65
	s_lshl_b64 s[10:11], s[10:11], 1
	v_ashrrev_i32_e32 v3, 31, v2
	v_lshlrev_b32_e32 v1, 6, v1
	v_lshlrev_b32_e32 v7, 10, v75
	v_and_b32_e32 v6, 0x3800, v6
	s_delay_alu instid0(VALU_DEP_4) | instskip(NEXT) | instid1(VALU_DEP_2)
	v_lshlrev_b64 v[2:3], 1, v[2:3]
	v_or3_b32 v1, v6, v7, v1
	s_add_u32 s3, s8, s10
	s_addc_u32 s7, s9, s11
	s_delay_alu instid0(VALU_DEP_2) | instskip(NEXT) | instid1(VALU_DEP_3)
	v_add_co_u32 v2, vcc_lo, s3, v2
	v_add_co_ci_u32_e32 v3, vcc_lo, s7, v3, vcc_lo
	s_delay_alu instid0(VALU_DEP_2) | instskip(NEXT) | instid1(VALU_DEP_2)
	v_add_co_u32 v2, vcc_lo, v2, v73
	v_add_co_ci_u32_e32 v3, vcc_lo, 0, v3, vcc_lo
	global_load_b128 v[2:5], v[2:3], off
	s_waitcnt vmcnt(0)
	ds_store_b128 v1, v[2:5]
.LBB1484_10:
	s_or_b32 exec_lo, exec_lo, s6
	v_and_b32_e32 v1, 0xef, v0
	s_waitcnt lgkmcnt(0)
	s_add_i32 s3, s24, 31
	s_clause 0x1
	s_load_b32 s6, s[0:1], 0x38
	s_load_b32 s19, s[0:1], 0x1c
	s_ashr_i32 s7, s3, 31
	v_add_nc_u32_e32 v1, s12, v1
	s_lshr_b32 s7, s7, 27
	s_waitcnt lgkmcnt(0)
	s_add_i32 s3, s3, s7
	s_barrier
	v_ashrrev_i32_e32 v2, 31, v1
	v_or_b32_e32 v3, 16, v1
	s_ashr_i32 s3, s3, 5
	v_cmp_gt_i32_e32 vcc_lo, s24, v1
	s_add_i32 s3, s3, -1
	v_lshrrev_b32_e32 v2, 27, v2
	buffer_gl0_inv
	s_mul_i32 s27, s15, s18
	v_add_nc_u32_e32 v4, v1, v2
	s_mul_i32 s6, s34, s6
	s_delay_alu instid0(SALU_CYCLE_1) | instskip(NEXT) | instid1(VALU_DEP_1)
	s_ashr_i32 s7, s6, 31
	v_ashrrev_i32_e32 v4, 5, v4
	v_add_nc_u32_e32 v2, v3, v2
	s_lshl_b64 s[6:7], s[6:7], 2
	s_delay_alu instid0(SALU_CYCLE_1) | instskip(NEXT) | instid1(VALU_DEP_2)
	s_add_u32 s26, s4, s6
	v_cndmask_b32_e32 v1, s3, v4, vcc_lo
	s_delay_alu instid0(VALU_DEP_2)
	v_ashrrev_i32_e32 v2, 5, v2
	v_cmp_gt_i32_e32 vcc_lo, s24, v3
	s_addc_u32 s25, s5, s7
	s_ashr_i32 s28, s27, 31
	s_add_u32 s4, s20, s27
	s_addc_u32 s5, s21, s28
	v_cndmask_b32_e32 v3, s3, v2, vcc_lo
	v_ashrrev_i32_e32 v2, 31, v1
	s_lshl_b32 s6, s14, 3
	s_delay_alu instid0(SALU_CYCLE_1) | instskip(NEXT) | instid1(VALU_DEP_2)
	s_ashr_i32 s7, s6, 31
	v_ashrrev_i32_e32 v4, 31, v3
	s_delay_alu instid0(VALU_DEP_2) | instskip(SKIP_1) | instid1(SALU_CYCLE_1)
	v_lshlrev_b64 v[1:2], 2, v[1:2]
	s_lshl_b64 s[6:7], s[6:7], 2
	s_add_u32 s6, s26, s6
	s_delay_alu instid0(VALU_DEP_2) | instskip(SKIP_1) | instid1(VALU_DEP_2)
	v_lshlrev_b64 v[3:4], 2, v[3:4]
	s_addc_u32 s7, s25, s7
	v_add_co_u32 v1, vcc_lo, s26, v1
	v_add_co_ci_u32_e32 v2, vcc_lo, s25, v2, vcc_lo
	s_delay_alu instid0(VALU_DEP_3) | instskip(NEXT) | instid1(VALU_DEP_4)
	v_add_co_u32 v3, vcc_lo, s26, v3
	v_add_co_ci_u32_e32 v4, vcc_lo, s25, v4, vcc_lo
	s_clause 0x1
	global_load_b32 v5, v[1:2], off
	global_load_b32 v6, v[3:4], off
	s_or_b32 s8, s12, 32
	s_delay_alu instid0(SALU_CYCLE_1) | instskip(SKIP_2) | instid1(SALU_CYCLE_1)
	s_ashr_i32 s9, s8, 5
	s_cmp_lt_i32 s8, s24
	s_cselect_b32 s8, s9, s3
	s_ashr_i32 s9, s8, 31
	s_delay_alu instid0(SALU_CYCLE_1) | instskip(NEXT) | instid1(SALU_CYCLE_1)
	s_lshl_b64 s[8:9], s[8:9], 2
	s_add_u32 s8, s26, s8
	s_addc_u32 s9, s25, s9
	s_or_b32 s10, s12, 64
	s_delay_alu instid0(SALU_CYCLE_1) | instskip(SKIP_2) | instid1(SALU_CYCLE_1)
	s_ashr_i32 s11, s10, 5
	s_cmp_lt_i32 s10, s24
	s_cselect_b32 s10, s11, s3
	s_ashr_i32 s11, s10, 31
	s_delay_alu instid0(SALU_CYCLE_1) | instskip(NEXT) | instid1(SALU_CYCLE_1)
	s_lshl_b64 s[10:11], s[10:11], 2
	s_add_u32 s10, s26, s10
	s_addc_u32 s11, s25, s11
	;; [unrolled: 10-line block ×5, first 2 shown]
	s_clause 0x5
	s_load_b32 s21, s[6:7], 0x0
	s_load_b32 s13, s[8:9], 0x0
	;; [unrolled: 1-line block ×6, first 2 shown]
	s_or_b32 s9, s12, 0xc0
	s_delay_alu instid0(SALU_CYCLE_1) | instskip(SKIP_2) | instid1(SALU_CYCLE_1)
	s_ashr_i32 s10, s9, 5
	s_cmp_lt_i32 s9, s24
	s_cselect_b32 s36, s10, s3
	s_ashr_i32 s37, s36, 31
	s_delay_alu instid0(SALU_CYCLE_1) | instskip(NEXT) | instid1(SALU_CYCLE_1)
	s_lshl_b64 s[36:37], s[36:37], 2
	s_add_u32 s36, s26, s36
	s_addc_u32 s37, s25, s37
	s_or_b32 s29, s12, 0xe0
	s_delay_alu instid0(SALU_CYCLE_1)
	s_ashr_i32 s30, s29, 5
	s_cmp_lt_i32 s29, s24
	s_waitcnt vmcnt(1)
	v_mad_i64_i32 v[1:2], null, v5, s17, s[4:5]
	s_waitcnt vmcnt(0)
	v_mad_i64_i32 v[3:4], null, v6, s17, s[4:5]
	s_mov_b32 s4, 0
	s_delay_alu instid0(SALU_CYCLE_1)
	s_mov_b32 s5, s4
	s_mov_b32 s6, s4
	;; [unrolled: 1-line block ×7, first 2 shown]
	v_lshlrev_b32_e32 v5, 4, v65
	v_dual_mov_b32 v107, s11 :: v_dual_mov_b32 v102, s6
	v_mov_b32_e32 v106, s10
	v_mov_b32_e32 v104, s8
	s_delay_alu instid0(VALU_DEP_4)
	v_add_co_u32 v1, vcc_lo, v1, v5
	v_add_co_ci_u32_e32 v2, vcc_lo, 0, v2, vcc_lo
	v_add_co_u32 v3, vcc_lo, v3, v5
	v_add_co_ci_u32_e32 v4, vcc_lo, 0, v4, vcc_lo
	s_clause 0x7
	global_load_b128 v[49:52], v[1:2], off
	global_load_b128 v[53:56], v[1:2], off offset:512
	global_load_b128 v[76:79], v[3:4], off offset:256
	;; [unrolled: 1-line block ×7, first 2 shown]
	v_mul_lo_u16 v1, 0x56, v65
	v_mov_b32_e32 v103, s7
	v_dual_mov_b32 v101, s5 :: v_dual_lshlrev_b32 v2, 5, v65
	v_mov_b32_e32 v100, s4
	s_delay_alu instid0(VALU_DEP_4) | instskip(NEXT) | instid1(VALU_DEP_3)
	v_lshrrev_b16 v1, 8, v1
	v_lshl_or_b32 v2, v66, 9, v2
	s_delay_alu instid0(VALU_DEP_2) | instskip(NEXT) | instid1(VALU_DEP_1)
	v_mul_lo_u16 v1, v1, 3
	v_sub_nc_u16 v1, v65, v1
	s_delay_alu instid0(VALU_DEP_1)
	v_and_b32_e32 v1, 0xff, v1
	v_mov_b32_e32 v105, s9
	s_cselect_b32 s4, s30, s3
	s_load_b32 s3, s[36:37], 0x0
	s_ashr_i32 s5, s4, 31
	v_lshlrev_b32_e32 v70, 6, v1
	s_lshl_b64 s[4:5], s[4:5], 2
	ds_load_b128 v[108:111], v70
	ds_load_b128 v[112:115], v70 offset:1024
	s_add_u32 s4, s26, s4
	s_addc_u32 s5, s25, s5
	s_add_u32 s6, s22, s27
	s_load_b32 s4, s[4:5], 0x0
	s_addc_u32 s7, s23, s28
	v_add_co_u32 v9, s6, s6, v2
	s_delay_alu instid0(VALU_DEP_1) | instskip(SKIP_1) | instid1(VALU_DEP_1)
	v_add_co_ci_u32_e64 v10, null, s7, 0, s6
	s_waitcnt lgkmcnt(0)
	v_mad_i64_i32 v[1:2], null, s21, s17, v[9:10]
	v_mad_i64_i32 v[3:4], null, s13, s17, v[9:10]
	;; [unrolled: 1-line block ×7, first 2 shown]
	s_clause 0x9
	global_load_b128 v[57:60], v[1:2], off
	global_load_b128 v[61:64], v[1:2], off offset:16
	global_load_b128 v[41:44], v[3:4], off
	global_load_b128 v[45:48], v[3:4], off offset:16
	;; [unrolled: 2-line block ×5, first 2 shown]
	v_mad_i64_i32 v[68:69], null, s4, s17, v[9:10]
	s_clause 0x3
	global_load_b128 v[9:12], v[13:14], off
	global_load_b128 v[13:16], v[13:14], off offset:16
	global_load_b128 v[17:20], v[21:22], off
	global_load_b128 v[21:24], v[21:22], off offset:16
	s_waitcnt vmcnt(20)
	v_wmma_f32_16x16x16_bf16 v[116:123], v[49:56], v[108:115], v[100:107]
	s_clause 0x1
	global_load_b128 v[49:52], v[68:69], off
	global_load_b128 v[53:56], v[68:69], off offset:16
	v_and_b32_e32 v68, 0xe0, v0
	v_mbcnt_lo_u32_b32 v69, -1, 0
	s_delay_alu instid0(VALU_DEP_2)
	v_add_nc_u32_e32 v68, s12, v68
	s_waitcnt vmcnt(20)
	v_wmma_f32_16x16x16_bf16 v[100:107], v[76:83], v[108:115], v[100:107]
	ds_load_b128 v[76:79], v70 offset:2048
	ds_load_b128 v[80:83], v70 offset:3072
	v_xor_b32_e32 v70, 16, v69
	s_waitcnt vmcnt(0) lgkmcnt(0)
	v_or_b32_e32 v68, v68, v74
	s_barrier
	buffer_gl0_inv
	v_cmp_gt_i32_e32 vcc_lo, 32, v70
	v_or_b32_e32 v71, 4, v68
	v_or_b32_e32 v72, 6, v68
	v_cmp_gt_i32_e64 s3, s24, v68
	v_or_b32_e32 v108, 8, v68
	v_or_b32_e32 v109, 10, v68
	v_cmp_gt_i32_e64 s4, s24, v71
	v_cmp_gt_i32_e64 s5, s24, v72
	s_delay_alu instid0(VALU_DEP_4) | instskip(NEXT) | instid1(VALU_DEP_4)
	v_cmp_gt_i32_e64 s6, s24, v108
	v_cmp_gt_i32_e64 s7, s24, v109
	v_wmma_f32_16x16x16_bf16 v[116:123], v[84:91], v[76:83], v[116:123]
	v_cndmask_b32_e32 v69, v69, v70, vcc_lo
	v_or_b32_e32 v70, 2, v68
	v_wmma_f32_16x16x16_bf16 v[100:107], v[92:99], v[76:83], v[100:107]
	v_or_b32_e32 v84, 12, v68
	v_dual_mul_f32 v78, s19, v123 :: v_dual_mul_f32 v83, s19, v118
	v_dual_mul_f32 v92, s19, v117 :: v_dual_mul_f32 v93, s19, v116
	s_delay_alu instid0(VALU_DEP_4) | instskip(SKIP_2) | instid1(VALU_DEP_4)
	v_mul_f32_e32 v94, s19, v107
	v_cmp_gt_i32_e32 vcc_lo, s24, v70
	v_dual_mul_f32 v81, s19, v120 :: v_dual_mul_f32 v82, s19, v119
	v_cndmask_b32_e64 v93, 0xff7fffff, v93, s3
	v_or_b32_e32 v85, 14, v68
	v_cndmask_b32_e32 v92, 0xff7fffff, v92, vcc_lo
	v_dual_mul_f32 v79, s19, v122 :: v_dual_mul_f32 v80, s19, v121
	v_cndmask_b32_e64 v71, 0xff7fffff, v83, s4
	v_cndmask_b32_e64 v72, 0xff7fffff, v82, s5
	s_delay_alu instid0(VALU_DEP_4)
	v_max3_f32 v82, v93, 0xff7fffff, v92
	v_or_b32_e32 v86, 16, v68
	v_or_b32_e32 v87, 18, v68
	v_cndmask_b32_e64 v81, 0xff7fffff, v81, s6
	v_cndmask_b32_e64 v80, 0xff7fffff, v80, s7
	v_max3_f32 v71, v82, v71, v72
	v_cmp_gt_i32_e64 s8, s24, v84
	v_cmp_gt_i32_e64 s9, s24, v85
	v_or_b32_e32 v88, 20, v68
	v_or_b32_e32 v89, 22, v68
	;; [unrolled: 1-line block ×6, first 2 shown]
	v_dual_mul_f32 v99, s19, v102 :: v_dual_mul_f32 v70, s19, v101
	v_mul_f32_e32 v68, s19, v100
	v_cndmask_b32_e64 v72, 0xff7fffff, v79, s8
	v_cndmask_b32_e64 v78, 0xff7fffff, v78, s9
	v_max3_f32 v71, v71, v81, v80
	v_cmp_gt_i32_e64 s10, s24, v86
	v_cmp_gt_i32_e64 s11, s24, v87
	v_dual_mul_f32 v97, s19, v104 :: v_dual_mul_f32 v98, s19, v103
	s_delay_alu instid0(VALU_DEP_4) | instskip(SKIP_1) | instid1(VALU_DEP_4)
	v_max3_f32 v71, v71, v72, v78
	v_cmp_gt_i32_e64 s12, s24, v88
	v_cndmask_b32_e64 v70, 0xff7fffff, v70, s11
	v_cmp_gt_i32_e64 s13, s24, v89
	v_lshlrev_b32_e32 v89, 2, v69
	v_cndmask_b32_e64 v68, 0xff7fffff, v68, s10
	v_dual_mul_f32 v95, s19, v106 :: v_dual_mul_f32 v96, s19, v105
	v_cndmask_b32_e64 v72, 0xff7fffff, v99, s12
	v_cndmask_b32_e64 v78, 0xff7fffff, v98, s13
	s_delay_alu instid0(VALU_DEP_4)
	v_max3_f32 v68, v71, v68, v70
	v_cmp_gt_i32_e64 s15, s24, v90
	v_cmp_gt_i32_e64 s16, s24, v91
	;; [unrolled: 1-line block ×4, first 2 shown]
	v_max3_f32 v68, v68, v72, v78
	v_cndmask_b32_e64 v70, 0xff7fffff, v97, s15
	v_cndmask_b32_e64 v71, 0xff7fffff, v96, s16
	;; [unrolled: 1-line block ×4, first 2 shown]
	s_delay_alu instid0(VALU_DEP_3) | instskip(NEXT) | instid1(VALU_DEP_1)
	v_max3_f32 v68, v68, v70, v71
	v_max3_f32 v68, v68, v72, v76
	ds_bpermute_b32 v69, v89, v68
	s_waitcnt lgkmcnt(0)
	v_max_f32_e32 v69, v69, v69
	s_delay_alu instid0(VALU_DEP_1) | instskip(NEXT) | instid1(VALU_DEP_1)
	v_max_f32_e32 v68, v68, v69
	v_fma_f32 v71, s19, v118, -v68
	s_delay_alu instid0(VALU_DEP_1)
	v_mul_f32_e32 v71, 0x3fb8aa3b, v71
	v_fma_f32 v69, s19, v116, -v68
	v_fma_f32 v70, s19, v117, -v68
	;; [unrolled: 1-line block ×4, first 2 shown]
	v_exp_f32_e32 v71, v71
	s_delay_alu instid0(VALU_DEP_3) | instskip(SKIP_2) | instid1(VALU_DEP_3)
	v_dual_mul_f32 v69, 0x3fb8aa3b, v69 :: v_dual_mul_f32 v70, 0x3fb8aa3b, v70
	v_fma_f32 v78, s19, v122, -v68
	v_fma_f32 v81, s19, v105, -v68
	v_exp_f32_e32 v69, v69
	s_delay_alu instid0(VALU_DEP_3) | instskip(SKIP_1) | instid1(VALU_DEP_2)
	v_exp_f32_e32 v70, v70
	v_mul_f32_e32 v77, 0x3fb8aa3b, v76
	v_mul_f32_e32 v81, 0x3fb8aa3b, v81
	s_delay_alu instid0(TRANS32_DEP_3) | instskip(SKIP_1) | instid1(VALU_DEP_3)
	v_cndmask_b32_e64 v83, 0, v71, s4
	v_fma_f32 v71, s19, v123, -v68
	v_exp_f32_e32 v81, v81
	s_delay_alu instid0(TRANS32_DEP_3) | instskip(NEXT) | instid1(TRANS32_DEP_2)
	v_cndmask_b32_e64 v80, 0, v69, s3
	v_cndmask_b32_e32 v76, 0, v70, vcc_lo
	v_fma_f32 v69, s19, v121, -v68
	v_mul_f32_e32 v72, 0x3fb8aa3b, v72
	v_exp_f32_e32 v77, v77
	v_dual_add_f32 v70, 0, v80 :: v_dual_mul_f32 v71, 0x3fb8aa3b, v71
	s_delay_alu instid0(VALU_DEP_3) | instskip(NEXT) | instid1(VALU_DEP_3)
	v_mul_f32_e32 v69, 0x3fb8aa3b, v69
	v_exp_f32_e32 v72, v72
	v_cmp_gt_u32_e64 s3, 16, v67
	s_delay_alu instid0(VALU_DEP_3) | instskip(NEXT) | instid1(VALU_DEP_2)
	v_exp_f32_e32 v71, v71
	v_exp_f32_e32 v69, v69
	v_cndmask_b32_e64 v86, 0, v77, s6
	v_fma_f32 v77, s19, v101, -v68
	v_add_f32_e32 v70, v70, v76
	s_delay_alu instid0(TRANS32_DEP_3) | instskip(SKIP_1) | instid1(VALU_DEP_3)
	v_cndmask_b32_e64 v85, 0, v72, s5
	v_fma_f32 v72, s19, v100, -v68
	v_dual_mul_f32 v77, 0x3fb8aa3b, v77 :: v_dual_add_f32 v70, v70, v83
	s_delay_alu instid0(TRANS32_DEP_2) | instskip(SKIP_1) | instid1(TRANS32_DEP_1)
	v_cndmask_b32_e64 v88, 0, v71, s9
	v_fma_f32 v71, s19, v104, -v68
	v_cndmask_b32_e64 v87, 0, v69, s7
	s_delay_alu instid0(VALU_DEP_4) | instskip(NEXT) | instid1(VALU_DEP_2)
	v_exp_f32_e32 v77, v77
	v_dual_add_f32 v70, v70, v85 :: v_dual_mul_f32 v71, 0x3fb8aa3b, v71
	s_delay_alu instid0(VALU_DEP_1) | instskip(SKIP_2) | instid1(VALU_DEP_3)
	v_dual_mul_f32 v72, 0x3fb8aa3b, v72 :: v_dual_add_f32 v69, v70, v86
	v_mul_f32_e32 v78, 0x3fb8aa3b, v78
	v_fma_f32 v70, s19, v102, -v68
	v_exp_f32_e32 v72, v72
	v_exp_f32_e32 v82, v71
	v_add_f32_e32 v69, v69, v87
	v_exp_f32_e32 v78, v78
	v_mul_f32_e32 v70, 0x3fb8aa3b, v70
	s_delay_alu instid0(VALU_DEP_1) | instskip(SKIP_4) | instid1(VALU_DEP_2)
	v_exp_f32_e32 v79, v70
	v_cndmask_b32_e64 v70, 0, v72, s10
	s_waitcnt_depctr 0xfff
	v_cndmask_b32_e64 v84, 0, v78, s8
	v_fma_f32 v78, s19, v103, -v68
	v_add_f32_e32 v69, v69, v84
	v_cndmask_b32_e64 v71, 0, v79, s12
	s_delay_alu instid0(VALU_DEP_2) | instskip(SKIP_2) | instid1(VALU_DEP_1)
	v_add_f32_e32 v72, v69, v88
	v_cndmask_b32_e64 v69, 0, v77, s11
	v_fma_f32 v77, s19, v106, -v68
	v_dual_mul_f32 v77, 0x3fb8aa3b, v77 :: v_dual_add_f32 v72, v72, v70
	v_mul_f32_e32 v78, 0x3fb8aa3b, v78
	s_delay_alu instid0(VALU_DEP_2) | instskip(NEXT) | instid1(VALU_DEP_2)
	v_exp_f32_e32 v90, v77
	v_add_f32_e32 v79, v72, v69
	s_delay_alu instid0(VALU_DEP_2)
	v_exp_f32_e32 v78, v78
	v_cndmask_b32_e64 v77, 0, v82, s15
	s_waitcnt_depctr 0xfff
	v_cndmask_b32_e64 v72, 0, v78, s13
	v_add_f32_e32 v78, v79, v71
	v_fma_f32 v79, s19, v107, -v68
	s_delay_alu instid0(VALU_DEP_1) | instskip(SKIP_1) | instid1(VALU_DEP_2)
	v_dual_add_f32 v82, v78, v72 :: v_dual_mul_f32 v79, 0x3fb8aa3b, v79
	v_cndmask_b32_e64 v78, 0, v81, s16
	v_add_f32_e32 v81, v82, v77
	s_delay_alu instid0(VALU_DEP_3) | instskip(SKIP_1) | instid1(VALU_DEP_2)
	v_exp_f32_e32 v82, v79
	v_cndmask_b32_e64 v79, 0, v90, s17
	v_add_f32_e32 v81, v81, v78
	s_delay_alu instid0(VALU_DEP_1) | instskip(SKIP_2) | instid1(VALU_DEP_1)
	v_add_f32_e32 v90, v81, v79
	s_waitcnt_depctr 0xfff
	v_cndmask_b32_e64 v81, 0, v82, s18
	v_add_f32_e32 v82, v90, v81
	ds_bpermute_b32 v89, v89, v82
	s_and_saveexec_b32 s4, s3
	s_cbranch_execz .LBB1484_12
; %bb.11:
	v_mul_u32_u24_e32 v67, 0x44, v66
	s_delay_alu instid0(VALU_DEP_1) | instskip(SKIP_1) | instid1(VALU_DEP_1)
	v_lshl_add_u32 v67, v65, 2, v67
	s_waitcnt lgkmcnt(0)
	v_dual_add_f32 v82, v82, v89 :: v_dual_add_nc_u32 v67, 0x4000, v67
	ds_store_2addr_b32 v67, v68, v82 offset1:136
.LBB1484_12:
	s_or_b32 exec_lo, exec_lo, s4
	v_lshlrev_b32_e32 v67, 2, v65
	s_waitcnt lgkmcnt(0)
	s_barrier
	buffer_gl0_inv
	v_cmp_eq_u32_e32 vcc_lo, 1, v66
	v_add_nc_u32_e32 v82, 0x4000, v67
	v_cmp_eq_u32_e64 s4, 2, v66
	v_cmp_eq_u32_e64 s6, 7, v66
	ds_load_2addr_b32 v[89:90], v82 offset1:17
	ds_load_2addr_b32 v[91:92], v82 offset0:34 offset1:51
	ds_load_2addr_b32 v[93:94], v82 offset0:68 offset1:85
	;; [unrolled: 1-line block ×4, first 2 shown]
	s_waitcnt lgkmcnt(4)
	v_max3_f32 v67, v89, 0xff7fffff, v90
	s_waitcnt lgkmcnt(3)
	s_delay_alu instid0(VALU_DEP_1) | instskip(SKIP_1) | instid1(VALU_DEP_1)
	v_max3_f32 v67, v67, v91, v92
	s_waitcnt lgkmcnt(2)
	v_max3_f32 v67, v67, v93, v94
	s_waitcnt lgkmcnt(1)
	s_delay_alu instid0(VALU_DEP_1) | instskip(NEXT) | instid1(VALU_DEP_1)
	v_max3_f32 v67, v67, v95, v96
	v_sub_f32_e32 v93, v93, v67
	s_delay_alu instid0(VALU_DEP_1) | instskip(NEXT) | instid1(VALU_DEP_1)
	v_dual_sub_f32 v68, v89, v67 :: v_dual_mul_f32 v103, 0x3fb8aa3b, v93
	v_mul_f32_e32 v68, 0x3fb8aa3b, v68
	s_delay_alu instid0(VALU_DEP_1)
	v_exp_f32_e32 v100, v68
	v_sub_f32_e32 v68, v92, v67
	v_sub_f32_e32 v99, v90, v67
	ds_load_2addr_b32 v[89:90], v82 offset0:170 offset1:187
	v_dual_mul_f32 v102, 0x3fb8aa3b, v68 :: v_dual_mul_f32 v99, 0x3fb8aa3b, v99
	s_waitcnt lgkmcnt(1)
	v_fma_f32 v68, v100, v97, 0
	s_delay_alu instid0(VALU_DEP_2) | instskip(NEXT) | instid1(VALU_DEP_2)
	v_exp_f32_e32 v102, v102
	v_exp_f32_e32 v99, v99
	s_waitcnt_depctr 0xfff
	v_fmac_f32_e32 v68, v99, v98
	v_sub_f32_e32 v91, v91, v67
	s_delay_alu instid0(VALU_DEP_1)
	v_mul_f32_e32 v101, 0x3fb8aa3b, v91
	ds_load_2addr_b32 v[91:92], v82 offset0:204 offset1:221
	v_sub_f32_e32 v97, v94, v67
	ds_load_2addr_b32 v[93:94], v82 offset0:238 offset1:255
	s_waitcnt lgkmcnt(0)
	v_exp_f32_e32 v101, v101
	s_barrier
	buffer_gl0_inv
	v_dual_fmac_f32 v68, v101, v89 :: v_dual_sub_f32 v89, v96, v67
	v_dual_sub_f32 v82, v95, v67 :: v_dual_mul_f32 v95, 0x3fb8aa3b, v97
	v_exp_f32_e32 v97, v103
	s_delay_alu instid0(VALU_DEP_2) | instskip(NEXT) | instid1(VALU_DEP_2)
	v_dual_fmac_f32 v68, v102, v90 :: v_dual_mul_f32 v89, 0x3fb8aa3b, v89
	v_mul_f32_e32 v82, 0x3fb8aa3b, v82
	s_delay_alu instid0(VALU_DEP_3) | instskip(NEXT) | instid1(VALU_DEP_2)
	v_exp_f32_e32 v95, v95
	v_exp_f32_e32 v89, v89
	s_delay_alu instid0(VALU_DEP_1)
	v_exp_f32_e32 v82, v82
	v_fmac_f32_e32 v68, v97, v91
	s_delay_alu instid0(TRANS32_DEP_3) | instid1(VALU_DEP_1)
	v_fmac_f32_e32 v68, v95, v92
	s_waitcnt_depctr 0xfff
	v_fmac_f32_e32 v68, v82, v93
	s_delay_alu instid0(VALU_DEP_1) | instskip(NEXT) | instid1(VALU_DEP_1)
	v_fmac_f32_e32 v68, v89, v94
	v_add_f32_e32 v90, 0x358637bd, v68
	s_delay_alu instid0(VALU_DEP_1) | instskip(NEXT) | instid1(VALU_DEP_1)
	v_div_scale_f32 v91, null, v90, v90, 1.0
	v_rcp_f32_e32 v92, v91
	s_waitcnt_depctr 0xfff
	v_fma_f32 v93, -v91, v92, 1.0
	s_delay_alu instid0(VALU_DEP_1) | instskip(SKIP_1) | instid1(VALU_DEP_2)
	v_dual_fmac_f32 v92, v93, v92 :: v_dual_cndmask_b32 v93, v100, v99
	v_cmp_eq_u32_e32 vcc_lo, 3, v66
	v_cndmask_b32_e64 v93, v93, v101, s4
	v_cmp_eq_u32_e64 s4, 4, v66
	s_delay_alu instid0(VALU_DEP_2) | instskip(SKIP_1) | instid1(VALU_DEP_2)
	v_cndmask_b32_e32 v93, v93, v102, vcc_lo
	v_cmp_eq_u32_e32 vcc_lo, 5, v66
	v_cndmask_b32_e64 v93, v93, v97, s4
	v_cmp_eq_u32_e64 s4, 6, v66
	s_delay_alu instid0(VALU_DEP_2) | instskip(SKIP_1) | instid1(VALU_DEP_1)
	v_cndmask_b32_e32 v93, v93, v95, vcc_lo
	v_div_scale_f32 v94, s5, 1.0, v90, 1.0
	s_mov_b32 vcc_lo, s5
	s_delay_alu instid0(VALU_DEP_2) | instskip(NEXT) | instid1(VALU_DEP_2)
	v_cndmask_b32_e64 v82, v93, v82, s4
	v_mul_f32_e32 v96, v94, v92
	s_mov_b32 s4, exec_lo
	s_delay_alu instid0(VALU_DEP_2) | instskip(NEXT) | instid1(VALU_DEP_2)
	v_cndmask_b32_e64 v82, v82, v89, s6
	v_fma_f32 v98, -v91, v96, v94
	s_delay_alu instid0(VALU_DEP_1) | instskip(NEXT) | instid1(VALU_DEP_1)
	v_fmac_f32_e32 v96, v98, v92
	v_fma_f32 v91, -v91, v96, v94
	s_delay_alu instid0(VALU_DEP_1) | instskip(NEXT) | instid1(VALU_DEP_1)
	v_div_fmas_f32 v91, v91, v92, v96
	v_div_fixup_f32 v90, v91, v90, 1.0
	s_delay_alu instid0(VALU_DEP_1) | instskip(NEXT) | instid1(VALU_DEP_1)
	v_mul_f32_e32 v82, v82, v90
	v_mul_f32_e32 v87, v82, v87
	;; [unrolled: 1-line block ×7, first 2 shown]
	v_dual_mul_f32 v86, v82, v83 :: v_dual_and_b32 v91, 0x7f800000, v90
	v_mul_f32_e32 v85, v82, v76
                                        ; implicit-def: $vgpr76
	s_delay_alu instid0(VALU_DEP_2)
	v_cmpx_ne_u32_e32 0x7f800000, v91
	s_xor_b32 s4, exec_lo, s4
; %bb.13:
	v_bfe_u32 v76, v90, 16, 1
	s_delay_alu instid0(VALU_DEP_1)
	v_add3_u32 v76, v90, v76, 0x7fff
                                        ; implicit-def: $vgpr90
; %bb.14:
	s_and_not1_saveexec_b32 s4, s4
; %bb.15:
	v_and_b32_e32 v76, 0xffff, v90
	v_or_b32_e32 v83, 0x10000, v90
	s_delay_alu instid0(VALU_DEP_2) | instskip(NEXT) | instid1(VALU_DEP_2)
	v_cmp_eq_u32_e32 vcc_lo, 0, v76
	v_cndmask_b32_e32 v76, v83, v90, vcc_lo
; %bb.16:
	s_or_b32 exec_lo, exec_lo, s4
	v_and_b32_e32 v83, 0x7f800000, v85
	s_delay_alu instid0(VALU_DEP_1) | instskip(SKIP_1) | instid1(SALU_CYCLE_1)
	v_cmp_ne_u32_e32 vcc_lo, 0x7f800000, v83
                                        ; implicit-def: $vgpr83
	s_and_saveexec_b32 s4, vcc_lo
	s_xor_b32 s4, exec_lo, s4
; %bb.17:
	v_bfe_u32 v83, v85, 16, 1
	s_delay_alu instid0(VALU_DEP_1)
	v_add3_u32 v83, v85, v83, 0x7fff
                                        ; implicit-def: $vgpr85
; %bb.18:
	s_and_not1_saveexec_b32 s4, s4
; %bb.19:
	v_and_b32_e32 v83, 0xffff, v85
	v_or_b32_e32 v90, 0x10000, v85
	s_delay_alu instid0(VALU_DEP_2) | instskip(NEXT) | instid1(VALU_DEP_2)
	v_cmp_eq_u32_e32 vcc_lo, 0, v83
	v_cndmask_b32_e32 v83, v90, v85, vcc_lo
; %bb.20:
	s_or_b32 exec_lo, exec_lo, s4
	v_and_b32_e32 v85, 0x7f800000, v86
	s_delay_alu instid0(VALU_DEP_1) | instskip(SKIP_1) | instid1(SALU_CYCLE_1)
	v_cmp_ne_u32_e32 vcc_lo, 0x7f800000, v85
                                        ; implicit-def: $vgpr85
	s_and_saveexec_b32 s4, vcc_lo
	s_xor_b32 s4, exec_lo, s4
; %bb.21:
	v_bfe_u32 v85, v86, 16, 1
	s_delay_alu instid0(VALU_DEP_1)
	v_add3_u32 v85, v86, v85, 0x7fff
                                        ; implicit-def: $vgpr86
; %bb.22:
	s_and_not1_saveexec_b32 s4, s4
; %bb.23:
	v_and_b32_e32 v85, 0xffff, v86
	v_or_b32_e32 v90, 0x10000, v86
	s_delay_alu instid0(VALU_DEP_2) | instskip(NEXT) | instid1(VALU_DEP_2)
	v_cmp_eq_u32_e32 vcc_lo, 0, v85
	v_cndmask_b32_e32 v85, v90, v86, vcc_lo
; %bb.24:
	s_or_b32 exec_lo, exec_lo, s4
	v_and_b32_e32 v86, 0x7f800000, v89
	s_delay_alu instid0(VALU_DEP_1) | instskip(SKIP_1) | instid1(SALU_CYCLE_1)
	v_cmp_ne_u32_e32 vcc_lo, 0x7f800000, v86
                                        ; implicit-def: $vgpr86
	s_and_saveexec_b32 s4, vcc_lo
	s_xor_b32 s4, exec_lo, s4
; %bb.25:
	v_bfe_u32 v86, v89, 16, 1
	s_delay_alu instid0(VALU_DEP_1)
	v_add3_u32 v86, v89, v86, 0x7fff
                                        ; implicit-def: $vgpr89
; %bb.26:
	s_and_not1_saveexec_b32 s4, s4
; %bb.27:
	v_and_b32_e32 v86, 0xffff, v89
	v_or_b32_e32 v90, 0x10000, v89
	s_delay_alu instid0(VALU_DEP_2) | instskip(NEXT) | instid1(VALU_DEP_2)
	v_cmp_eq_u32_e32 vcc_lo, 0, v86
	v_cndmask_b32_e32 v86, v90, v89, vcc_lo
; %bb.28:
	s_or_b32 exec_lo, exec_lo, s4
	v_and_b32_e32 v89, 0x7f800000, v88
	s_delay_alu instid0(VALU_DEP_1) | instskip(SKIP_1) | instid1(SALU_CYCLE_1)
	v_cmp_ne_u32_e32 vcc_lo, 0x7f800000, v89
                                        ; implicit-def: $vgpr89
	s_and_saveexec_b32 s4, vcc_lo
	s_xor_b32 s4, exec_lo, s4
; %bb.29:
	v_bfe_u32 v89, v88, 16, 1
	s_delay_alu instid0(VALU_DEP_1)
	v_add3_u32 v89, v88, v89, 0x7fff
                                        ; implicit-def: $vgpr88
; %bb.30:
	s_and_not1_saveexec_b32 s4, s4
; %bb.31:
	v_and_b32_e32 v89, 0xffff, v88
	v_or_b32_e32 v90, 0x10000, v88
	s_delay_alu instid0(VALU_DEP_2) | instskip(NEXT) | instid1(VALU_DEP_2)
	v_cmp_eq_u32_e32 vcc_lo, 0, v89
	v_cndmask_b32_e32 v89, v90, v88, vcc_lo
; %bb.32:
	s_or_b32 exec_lo, exec_lo, s4
	v_and_b32_e32 v88, 0x7f800000, v87
	s_delay_alu instid0(VALU_DEP_1) | instskip(SKIP_1) | instid1(SALU_CYCLE_1)
	v_cmp_ne_u32_e32 vcc_lo, 0x7f800000, v88
                                        ; implicit-def: $vgpr88
	s_and_saveexec_b32 s4, vcc_lo
	s_xor_b32 s4, exec_lo, s4
; %bb.33:
	v_bfe_u32 v88, v87, 16, 1
	s_delay_alu instid0(VALU_DEP_1)
	v_add3_u32 v88, v87, v88, 0x7fff
                                        ; implicit-def: $vgpr87
; %bb.34:
	s_and_not1_saveexec_b32 s4, s4
; %bb.35:
	v_and_b32_e32 v88, 0xffff, v87
	v_or_b32_e32 v90, 0x10000, v87
	s_delay_alu instid0(VALU_DEP_2) | instskip(NEXT) | instid1(VALU_DEP_2)
	v_cmp_eq_u32_e32 vcc_lo, 0, v88
	v_cndmask_b32_e32 v88, v90, v87, vcc_lo
; %bb.36:
	s_or_b32 exec_lo, exec_lo, s4
	v_and_b32_e32 v87, 0x7f800000, v84
	s_delay_alu instid0(VALU_DEP_1) | instskip(SKIP_1) | instid1(SALU_CYCLE_1)
	v_cmp_ne_u32_e32 vcc_lo, 0x7f800000, v87
                                        ; implicit-def: $vgpr87
	s_and_saveexec_b32 s4, vcc_lo
	s_xor_b32 s4, exec_lo, s4
; %bb.37:
	v_bfe_u32 v87, v84, 16, 1
	s_delay_alu instid0(VALU_DEP_1)
	v_add3_u32 v87, v84, v87, 0x7fff
                                        ; implicit-def: $vgpr84
; %bb.38:
	s_and_not1_saveexec_b32 s4, s4
; %bb.39:
	v_and_b32_e32 v87, 0xffff, v84
	v_or_b32_e32 v90, 0x10000, v84
	s_delay_alu instid0(VALU_DEP_2) | instskip(NEXT) | instid1(VALU_DEP_2)
	v_cmp_eq_u32_e32 vcc_lo, 0, v87
	v_cndmask_b32_e32 v87, v90, v84, vcc_lo
; %bb.40:
	s_or_b32 exec_lo, exec_lo, s4
	v_and_b32_e32 v84, 0x7f800000, v80
	s_delay_alu instid0(VALU_DEP_1) | instskip(SKIP_1) | instid1(SALU_CYCLE_1)
	v_cmp_ne_u32_e32 vcc_lo, 0x7f800000, v84
                                        ; implicit-def: $vgpr84
	s_and_saveexec_b32 s4, vcc_lo
	s_xor_b32 s4, exec_lo, s4
; %bb.41:
	v_bfe_u32 v84, v80, 16, 1
	s_delay_alu instid0(VALU_DEP_1)
	v_add3_u32 v84, v80, v84, 0x7fff
                                        ; implicit-def: $vgpr80
; %bb.42:
	s_and_not1_saveexec_b32 s4, s4
; %bb.43:
	v_and_b32_e32 v84, 0xffff, v80
	v_or_b32_e32 v90, 0x10000, v80
	s_delay_alu instid0(VALU_DEP_2) | instskip(NEXT) | instid1(VALU_DEP_2)
	v_cmp_eq_u32_e32 vcc_lo, 0, v84
	v_cndmask_b32_e32 v84, v90, v80, vcc_lo
; %bb.44:
	s_or_b32 exec_lo, exec_lo, s4
	s_load_b64 s[36:37], s[0:1], 0x94
	v_lshlrev_b32_e32 v91, 4, v74
	s_delay_alu instid0(VALU_DEP_2)
	v_perm_b32 v90, v84, v87, 0x7060302
	v_dual_mul_f32 v79, v82, v79 :: v_dual_lshlrev_b32 v80, 6, v65
	v_dual_mul_f32 v77, v82, v77 :: v_dual_lshlrev_b32 v92, 11, v66
	v_mul_f32_e32 v84, v82, v70
	v_perm_b32 v89, v88, v89, 0x7060302
	v_perm_b32 v88, v86, v85, 0x7060302
	;; [unrolled: 1-line block ×3, first 2 shown]
	v_mul_f32_e32 v70, v82, v81
	v_or3_b32 v76, v91, v92, v80
	v_dual_mul_f32 v78, v82, v78 :: v_dual_and_b32 v85, 0x7f800000, v84
	v_mul_f32_e32 v83, v82, v72
	v_mul_f32_e32 v81, v82, v71
	;; [unrolled: 1-line block ×3, first 2 shown]
	s_mov_b32 s4, exec_lo
	ds_store_b128 v76, v[87:90]
                                        ; implicit-def: $vgpr69
	v_cmpx_ne_u32_e32 0x7f800000, v85
	s_xor_b32 s4, exec_lo, s4
; %bb.45:
	v_bfe_u32 v69, v84, 16, 1
	s_delay_alu instid0(VALU_DEP_1)
	v_add3_u32 v69, v84, v69, 0x7fff
                                        ; implicit-def: $vgpr84
; %bb.46:
	s_and_not1_saveexec_b32 s4, s4
; %bb.47:
	v_and_b32_e32 v69, 0xffff, v84
	v_or_b32_e32 v71, 0x10000, v84
	s_delay_alu instid0(VALU_DEP_2) | instskip(NEXT) | instid1(VALU_DEP_2)
	v_cmp_eq_u32_e32 vcc_lo, 0, v69
	v_cndmask_b32_e32 v69, v71, v84, vcc_lo
; %bb.48:
	s_or_b32 exec_lo, exec_lo, s4
	v_and_b32_e32 v71, 0x7f800000, v72
	s_delay_alu instid0(VALU_DEP_1) | instskip(SKIP_1) | instid1(SALU_CYCLE_1)
	v_cmp_ne_u32_e32 vcc_lo, 0x7f800000, v71
                                        ; implicit-def: $vgpr71
	s_and_saveexec_b32 s4, vcc_lo
	s_xor_b32 s4, exec_lo, s4
; %bb.49:
	v_bfe_u32 v71, v72, 16, 1
	s_delay_alu instid0(VALU_DEP_1)
	v_add3_u32 v71, v72, v71, 0x7fff
                                        ; implicit-def: $vgpr72
; %bb.50:
	s_and_not1_saveexec_b32 s4, s4
; %bb.51:
	v_and_b32_e32 v71, 0xffff, v72
	v_or_b32_e32 v82, 0x10000, v72
	s_delay_alu instid0(VALU_DEP_2) | instskip(NEXT) | instid1(VALU_DEP_2)
	v_cmp_eq_u32_e32 vcc_lo, 0, v71
	v_cndmask_b32_e32 v71, v82, v72, vcc_lo
; %bb.52:
	s_or_b32 exec_lo, exec_lo, s4
	v_and_b32_e32 v72, 0x7f800000, v81
	s_delay_alu instid0(VALU_DEP_1) | instskip(SKIP_1) | instid1(SALU_CYCLE_1)
	v_cmp_ne_u32_e32 vcc_lo, 0x7f800000, v72
                                        ; implicit-def: $vgpr72
	s_and_saveexec_b32 s4, vcc_lo
	s_xor_b32 s4, exec_lo, s4
; %bb.53:
	v_bfe_u32 v72, v81, 16, 1
	s_delay_alu instid0(VALU_DEP_1)
	v_add3_u32 v72, v81, v72, 0x7fff
                                        ; implicit-def: $vgpr81
; %bb.54:
	s_and_not1_saveexec_b32 s4, s4
; %bb.55:
	v_and_b32_e32 v72, 0xffff, v81
	v_or_b32_e32 v82, 0x10000, v81
	s_delay_alu instid0(VALU_DEP_2) | instskip(NEXT) | instid1(VALU_DEP_2)
	v_cmp_eq_u32_e32 vcc_lo, 0, v72
	v_cndmask_b32_e32 v72, v82, v81, vcc_lo
; %bb.56:
	s_or_b32 exec_lo, exec_lo, s4
	v_and_b32_e32 v81, 0x7f800000, v83
	s_delay_alu instid0(VALU_DEP_1) | instskip(SKIP_1) | instid1(SALU_CYCLE_1)
	v_cmp_ne_u32_e32 vcc_lo, 0x7f800000, v81
                                        ; implicit-def: $vgpr81
	s_and_saveexec_b32 s4, vcc_lo
	s_xor_b32 s4, exec_lo, s4
; %bb.57:
	v_bfe_u32 v81, v83, 16, 1
	s_delay_alu instid0(VALU_DEP_1)
	v_add3_u32 v81, v83, v81, 0x7fff
                                        ; implicit-def: $vgpr83
; %bb.58:
	s_and_not1_saveexec_b32 s4, s4
; %bb.59:
	v_and_b32_e32 v81, 0xffff, v83
	v_or_b32_e32 v82, 0x10000, v83
	s_delay_alu instid0(VALU_DEP_2) | instskip(NEXT) | instid1(VALU_DEP_2)
	v_cmp_eq_u32_e32 vcc_lo, 0, v81
	v_cndmask_b32_e32 v81, v82, v83, vcc_lo
; %bb.60:
	s_or_b32 exec_lo, exec_lo, s4
	v_and_b32_e32 v82, 0x7f800000, v77
	s_delay_alu instid0(VALU_DEP_1) | instskip(SKIP_1) | instid1(SALU_CYCLE_1)
	v_cmp_ne_u32_e32 vcc_lo, 0x7f800000, v82
                                        ; implicit-def: $vgpr82
	s_and_saveexec_b32 s4, vcc_lo
	s_xor_b32 s4, exec_lo, s4
; %bb.61:
	v_bfe_u32 v82, v77, 16, 1
	s_delay_alu instid0(VALU_DEP_1)
	v_add3_u32 v82, v77, v82, 0x7fff
                                        ; implicit-def: $vgpr77
; %bb.62:
	s_and_not1_saveexec_b32 s4, s4
; %bb.63:
	v_and_b32_e32 v82, 0xffff, v77
	v_or_b32_e32 v83, 0x10000, v77
	s_delay_alu instid0(VALU_DEP_2) | instskip(NEXT) | instid1(VALU_DEP_2)
	v_cmp_eq_u32_e32 vcc_lo, 0, v82
	v_cndmask_b32_e32 v82, v83, v77, vcc_lo
; %bb.64:
	s_or_b32 exec_lo, exec_lo, s4
	v_and_b32_e32 v77, 0x7f800000, v78
	s_delay_alu instid0(VALU_DEP_1) | instskip(SKIP_1) | instid1(SALU_CYCLE_1)
	v_cmp_ne_u32_e32 vcc_lo, 0x7f800000, v77
                                        ; implicit-def: $vgpr77
	s_and_saveexec_b32 s4, vcc_lo
	s_xor_b32 s4, exec_lo, s4
; %bb.65:
	v_bfe_u32 v77, v78, 16, 1
	s_delay_alu instid0(VALU_DEP_1)
	v_add3_u32 v77, v78, v77, 0x7fff
                                        ; implicit-def: $vgpr78
; %bb.66:
	s_and_not1_saveexec_b32 s4, s4
; %bb.67:
	v_and_b32_e32 v77, 0xffff, v78
	v_or_b32_e32 v83, 0x10000, v78
	s_delay_alu instid0(VALU_DEP_2) | instskip(NEXT) | instid1(VALU_DEP_2)
	v_cmp_eq_u32_e32 vcc_lo, 0, v77
	v_cndmask_b32_e32 v77, v83, v78, vcc_lo
; %bb.68:
	s_or_b32 exec_lo, exec_lo, s4
	v_and_b32_e32 v78, 0x7f800000, v79
	s_delay_alu instid0(VALU_DEP_1) | instskip(SKIP_1) | instid1(SALU_CYCLE_1)
	v_cmp_ne_u32_e32 vcc_lo, 0x7f800000, v78
                                        ; implicit-def: $vgpr78
	s_and_saveexec_b32 s4, vcc_lo
	s_xor_b32 s4, exec_lo, s4
; %bb.69:
	v_bfe_u32 v78, v79, 16, 1
	s_delay_alu instid0(VALU_DEP_1)
	v_add3_u32 v78, v79, v78, 0x7fff
                                        ; implicit-def: $vgpr79
; %bb.70:
	s_and_not1_saveexec_b32 s4, s4
; %bb.71:
	v_and_b32_e32 v78, 0xffff, v79
	v_or_b32_e32 v83, 0x10000, v79
	s_delay_alu instid0(VALU_DEP_2) | instskip(NEXT) | instid1(VALU_DEP_2)
	v_cmp_eq_u32_e32 vcc_lo, 0, v78
	v_cndmask_b32_e32 v78, v83, v79, vcc_lo
; %bb.72:
	s_or_b32 exec_lo, exec_lo, s4
	v_and_b32_e32 v79, 0x7f800000, v70
	s_delay_alu instid0(VALU_DEP_1) | instskip(SKIP_1) | instid1(SALU_CYCLE_1)
	v_cmp_ne_u32_e32 vcc_lo, 0x7f800000, v79
                                        ; implicit-def: $vgpr79
	s_and_saveexec_b32 s4, vcc_lo
	s_xor_b32 s4, exec_lo, s4
; %bb.73:
	v_bfe_u32 v79, v70, 16, 1
	s_delay_alu instid0(VALU_DEP_1)
	v_add3_u32 v79, v70, v79, 0x7fff
                                        ; implicit-def: $vgpr70
; %bb.74:
	s_and_not1_saveexec_b32 s4, s4
; %bb.75:
	v_and_b32_e32 v79, 0xffff, v70
	v_or_b32_e32 v83, 0x10000, v70
	s_delay_alu instid0(VALU_DEP_2) | instskip(NEXT) | instid1(VALU_DEP_2)
	v_cmp_eq_u32_e32 vcc_lo, 0, v79
	v_cndmask_b32_e32 v79, v83, v70, vcc_lo
; %bb.76:
	s_or_b32 exec_lo, exec_lo, s4
	s_delay_alu instid0(VALU_DEP_1)
	v_perm_b32 v86, v79, v78, 0x7060302
	v_perm_b32 v85, v77, v82, 0x7060302
	;; [unrolled: 1-line block ×4, first 2 shown]
	v_lshl_or_b32 v82, v66, 11, v80
	ds_store_b128 v76, v[83:86] offset:1024
	s_waitcnt lgkmcnt(0)
	s_barrier
	buffer_gl0_inv
	ds_load_b128 v[69:72], v82
	ds_load_b128 v[83:86], v82 offset:16
	s_waitcnt lgkmcnt(1)
	v_lshrrev_b32_e32 v66, 16, v69
	s_waitcnt lgkmcnt(0)
	v_lshrrev_b32_e32 v91, 16, v83
	v_lshlrev_b32_e32 v78, 2, v74
	v_lshrrev_b32_e32 v95, 16, v70
	v_lshrrev_b32_e32 v98, 16, v84
	;; [unrolled: 1-line block ×4, first 2 shown]
	v_cmp_eq_u32_e32 vcc_lo, 1, v78
	v_lshrrev_b32_e32 v97, 16, v72
	v_lshrrev_b32_e32 v100, 16, v86
	v_cndmask_b32_e32 v87, v83, v91, vcc_lo
	v_or_b32_e32 v79, 1, v78
	v_cndmask_b32_e32 v81, v69, v66, vcc_lo
	v_cmp_eq_u32_e64 s5, 2, v78
	v_cmp_eq_u32_e64 s8, 3, v78
	v_cmp_eq_u32_e64 s10, 4, v78
	v_cmp_eq_u32_e64 s4, 1, v79
	v_cmp_eq_u32_e64 s7, 2, v79
	v_cndmask_b32_e64 v81, v81, v70, s5
	v_cndmask_b32_e64 v87, v87, v84, s5
	v_cmp_eq_u32_e64 s9, 3, v79
	v_cndmask_b32_e64 v88, v69, v66, s4
	v_or_b32_e32 v77, 2, v78
	v_cndmask_b32_e64 v81, v81, v95, s8
	v_cndmask_b32_e64 v87, v87, v98, s8
	;; [unrolled: 1-line block ×4, first 2 shown]
	v_cmp_eq_u32_e64 s11, 5, v78
	v_cndmask_b32_e64 v81, v81, v71, s10
	v_cndmask_b32_e64 v87, v87, v85, s10
	v_cmp_eq_u32_e64 s12, 4, v79
	v_cndmask_b32_e64 v88, v88, v95, s9
	v_cmp_eq_u32_e64 s6, 1, v77
	v_cndmask_b32_e64 v89, v89, v84, s7
	v_cndmask_b32_e64 v81, v81, v96, s11
	v_cmp_eq_u32_e64 s13, 6, v78
	v_cndmask_b32_e64 v88, v88, v71, s12
	;; [unrolled: 3-line block ×3, first 2 shown]
	v_cndmask_b32_e64 v89, v89, v98, s9
	v_cndmask_b32_e64 v81, v81, v72, s13
	v_cmp_eq_u32_e64 s16, 7, v78
	v_cndmask_b32_e64 v88, v88, v96, s15
	v_cndmask_b32_e64 v87, v87, v86, s13
	v_cmp_eq_u32_e64 s17, 6, v79
	v_cmp_eq_u32_e64 s18, 2, v77
	v_cndmask_b32_e64 v89, v89, v85, s12
	v_cndmask_b32_e64 v101, v81, v97, s16
	;; [unrolled: 1-line block ×6, first 2 shown]
	v_cmp_eq_u32_e64 s19, 7, v79
	v_cmp_eq_u32_e64 s20, 3, v77
	;; [unrolled: 1-line block ×4, first 2 shown]
	v_cndmask_b32_e64 v87, v87, v84, s18
	v_cndmask_b32_e64 v103, v88, v97, s19
	;; [unrolled: 1-line block ×4, first 2 shown]
	v_or_b32_e32 v81, 3, v78
	v_cndmask_b32_e64 v93, v87, v98, s20
	v_cmp_eq_u32_e64 s25, 6, v77
	v_cndmask_b32_e64 v104, v88, v86, s17
	v_cndmask_b32_e64 v92, v89, v71, s21
	v_cmp_eq_u32_e64 s22, 1, v81
	ds_load_b128 v[87:90], v82 offset:1024
	v_cmp_eq_u32_e64 s24, 2, v81
	v_cmp_eq_u32_e64 s26, 3, v81
	v_cndmask_b32_e64 v105, v92, v96, s23
	v_cndmask_b32_e64 v66, v69, v66, s22
	;; [unrolled: 1-line block ×4, first 2 shown]
	ds_load_b128 v[91:94], v82 offset:1040
	v_cmp_eq_u32_e64 s27, 4, v81
	v_cndmask_b32_e64 v66, v66, v70, s24
	v_cmp_eq_u32_e64 s28, 7, v77
	v_cndmask_b32_e64 v70, v83, v84, s24
	v_cndmask_b32_e64 v84, v105, v72, s25
	v_cmp_eq_u32_e64 s29, 5, v81
	v_cndmask_b32_e64 v66, v66, v95, s26
	v_cmp_eq_u32_e64 s30, 6, v81
	v_cndmask_b32_e64 v70, v70, v98, s26
	v_cndmask_b32_e64 v69, v69, v99, s23
	;; [unrolled: 1-line block ×4, first 2 shown]
	s_waitcnt lgkmcnt(1)
	v_lshrrev_b32_e32 v95, 16, v87
	v_cndmask_b32_e64 v70, v70, v85, s27
	v_cndmask_b32_e64 v71, v84, v97, s28
	;; [unrolled: 1-line block ×4, first 2 shown]
	v_cndmask_b32_e32 v84, v87, v95, vcc_lo
	v_cndmask_b32_e64 v70, v70, v99, s29
	s_waitcnt lgkmcnt(0)
	v_lshrrev_b32_e32 v85, 16, v91
	v_lshrrev_b32_e32 v96, 16, v88
	v_cndmask_b32_e64 v98, v87, v95, s4
	v_cndmask_b32_e64 v84, v84, v88, s5
	;; [unrolled: 1-line block ×3, first 2 shown]
	v_cndmask_b32_e32 v99, v91, v85, vcc_lo
	v_cmp_eq_u32_e32 vcc_lo, 7, v81
	v_cndmask_b32_e64 v66, v66, v72, s30
	v_cndmask_b32_e64 v72, v84, v96, s8
	;; [unrolled: 1-line block ×3, first 2 shown]
	v_lshrrev_b32_e32 v98, 16, v92
	v_cndmask_b32_e32 v70, v70, v100, vcc_lo
	v_cndmask_b32_e64 v86, v99, v92, s5
	v_cndmask_b32_e64 v69, v69, v100, s28
	v_lshrrev_b32_e32 v100, 16, v93
	v_cndmask_b32_e64 v72, v72, v89, s10
	v_lshrrev_b32_e32 v99, 16, v89
	v_cndmask_b32_e64 v86, v86, v98, s8
	v_perm_b32 v71, v69, v71, 0x5040100
	v_cndmask_b32_e64 v84, v84, v96, s9
	s_delay_alu instid0(VALU_DEP_3) | instskip(NEXT) | instid1(VALU_DEP_2)
	v_cndmask_b32_e64 v86, v86, v93, s10
	v_cndmask_b32_e64 v84, v84, v89, s12
	s_delay_alu instid0(VALU_DEP_2) | instskip(NEXT) | instid1(VALU_DEP_1)
	v_cndmask_b32_e64 v86, v86, v100, s11
	v_cndmask_b32_e64 v69, v86, v94, s13
	;; [unrolled: 1-line block ×5, first 2 shown]
	s_delay_alu instid0(VALU_DEP_3) | instskip(NEXT) | instid1(VALU_DEP_3)
	v_cndmask_b32_e64 v86, v86, v88, s18
	v_cndmask_b32_e64 v87, v87, v88, s24
	s_delay_alu instid0(VALU_DEP_3) | instskip(NEXT) | instid1(VALU_DEP_3)
	v_cndmask_b32_e64 v88, v95, v92, s24
	v_cndmask_b32_e64 v86, v86, v96, s20
	;; [unrolled: 3-line block ×7, first 2 shown]
	s_delay_alu instid0(VALU_DEP_3) | instskip(SKIP_2) | instid1(VALU_DEP_2)
	v_cndmask_b32_e64 v88, v88, v94, s30
	v_cndmask_b32_e32 v66, v66, v97, vcc_lo
	v_cndmask_b32_e64 v97, v72, v99, s11
	v_perm_b32 v72, v70, v66, 0x5040100
	v_perm_b32 v70, v83, v103, 0x5040100
	v_cndmask_b32_e64 v103, v91, v85, s6
	v_cndmask_b32_e64 v85, v91, v85, s4
	;; [unrolled: 1-line block ×4, first 2 shown]
	v_lshrrev_b32_e32 v97, 16, v90
	v_cndmask_b32_e64 v91, v103, v92, s18
	v_cndmask_b32_e64 v85, v85, v92, s7
	v_cndmask_b32_e64 v66, v66, v90, s17
	s_mov_b32 s4, exec_lo
	v_cndmask_b32_e64 v83, v84, v97, s16
	v_cndmask_b32_e64 v91, v91, v98, s20
	;; [unrolled: 1-line block ×3, first 2 shown]
	v_lshrrev_b32_e32 v84, 16, v94
	v_cndmask_b32_e64 v66, v66, v97, s19
	v_cndmask_b32_e64 v90, v86, v97, s28
	;; [unrolled: 1-line block ×4, first 2 shown]
	v_dual_cndmask_b32 v86, v87, v97 :: v_dual_cndmask_b32 v87, v88, v84
	v_cndmask_b32_e64 v91, v69, v84, s16
	s_delay_alu instid0(VALU_DEP_4) | instskip(NEXT) | instid1(VALU_DEP_4)
	v_cndmask_b32_e64 v89, v89, v100, s23
	v_cndmask_b32_e64 v85, v85, v100, s15
	v_perm_b32 v69, v102, v101, 0x5040100
	v_perm_b32 v86, v87, v86, 0x5040100
	;; [unrolled: 1-line block ×3, first 2 shown]
	v_cndmask_b32_e64 v89, v89, v94, s25
	v_cndmask_b32_e64 v85, v85, v94, s17
	s_mul_i32 s9, s37, 3
	s_delay_alu instid0(VALU_DEP_2) | instskip(NEXT) | instid1(VALU_DEP_2)
	v_cndmask_b32_e64 v88, v89, v84, s28
	v_cndmask_b32_e64 v89, v85, v84, s19
	s_delay_alu instid0(VALU_DEP_2) | instskip(NEXT) | instid1(VALU_DEP_2)
	v_perm_b32 v85, v88, v90, 0x5040100
	v_perm_b32 v84, v89, v66, 0x5040100
	ds_store_b128 v76, v[69:72]
	ds_store_b128 v76, v[83:86] offset:1024
	v_cmpx_gt_u32_e32 3, v0
	s_cbranch_execz .LBB1484_78
; %bb.77:
	s_mul_i32 s5, s9, s34
	s_load_b128 s[16:19], s[0:1], 0x58
	v_add3_u32 v69, s5, s31, v65
	s_delay_alu instid0(VALU_DEP_1) | instskip(NEXT) | instid1(VALU_DEP_1)
	v_mad_u64_u32 v[65:66], null, v69, s36, s[14:15]
	v_ashrrev_i32_e32 v66, 31, v65
	s_delay_alu instid0(VALU_DEP_1) | instskip(SKIP_1) | instid1(VALU_DEP_1)
	v_lshlrev_b64 v[65:66], 2, v[65:66]
	s_waitcnt lgkmcnt(0)
	v_add_co_u32 v69, vcc_lo, s18, v65
	s_delay_alu instid0(VALU_DEP_2)
	v_add_co_ci_u32_e32 v70, vcc_lo, s19, v66, vcc_lo
	v_add_co_u32 v65, vcc_lo, s16, v65
	v_add_co_ci_u32_e32 v66, vcc_lo, s17, v66, vcc_lo
	global_store_b32 v[69:70], v67, off
	global_store_b32 v[65:66], v68, off
.LBB1484_78:
	s_or_b32 exec_lo, exec_lo, s4
	s_waitcnt lgkmcnt(0)
	s_waitcnt_vscnt null, 0x0
	s_barrier
	buffer_gl0_inv
	ds_load_b128 v[83:86], v80
	ds_load_b128 v[87:90], v80 offset:16
	ds_load_b128 v[95:98], v80 offset:2064
	ds_load_b128 v[91:94], v80 offset:2048
	v_mov_b32_e32 v65, 0
	ds_load_b128 v[103:106], v80 offset:4112
	ds_load_b128 v[99:102], v80 offset:4096
	ds_load_b128 v[111:114], v80 offset:6160
	ds_load_b128 v[107:110], v80 offset:6144
	v_mov_b32_e32 v66, v65
	v_mov_b32_e32 v67, v65
	;; [unrolled: 1-line block ×7, first 2 shown]
	s_waitcnt lgkmcnt(6)
	s_delay_alu instid0(VALU_DEP_1)
	v_wmma_f32_16x16x16_bf16 v[65:72], v[57:64], v[83:90], v[65:72]
	ds_load_b128 v[61:64], v80 offset:8208
	ds_load_b128 v[57:60], v80 offset:8192
	s_waitcnt lgkmcnt(6)
	v_wmma_f32_16x16x16_bf16 v[65:72], v[41:48], v[91:98], v[65:72]
	ds_load_b128 v[45:48], v80 offset:10256
	ds_load_b128 v[41:44], v80 offset:10240
	s_waitcnt lgkmcnt(6)
	;; [unrolled: 4-line block ×4, first 2 shown]
	v_wmma_f32_16x16x16_bf16 v[65:72], v[1:8], v[57:64], v[65:72]
	s_waitcnt lgkmcnt(4)
	s_delay_alu instid0(VALU_DEP_1) | instskip(SKIP_1) | instid1(VALU_DEP_1)
	v_wmma_f32_16x16x16_bf16 v[65:72], v[9:16], v[41:48], v[65:72]
	s_waitcnt lgkmcnt(2)
	v_wmma_f32_16x16x16_bf16 v[65:72], v[17:24], v[33:40], v[65:72]
	s_waitcnt lgkmcnt(0)
	s_delay_alu instid0(VALU_DEP_1) | instskip(NEXT) | instid1(VALU_DEP_1)
	v_wmma_f32_16x16x16_bf16 v[65:72], v[49:56], v[25:32], v[65:72]
	v_and_b32_e32 v1, 0x7f800000, v65
	s_delay_alu instid0(VALU_DEP_1) | instskip(SKIP_1) | instid1(SALU_CYCLE_1)
	v_cmp_ne_u32_e32 vcc_lo, 0x7f800000, v1
                                        ; implicit-def: $vgpr1
	s_and_saveexec_b32 s4, vcc_lo
	s_xor_b32 s4, exec_lo, s4
; %bb.79:
	v_bfe_u32 v1, v65, 16, 1
	s_delay_alu instid0(VALU_DEP_1)
	v_add3_u32 v1, v65, v1, 0x7fff
; %bb.80:
	s_and_not1_saveexec_b32 s4, s4
; %bb.81:
	v_and_b32_e32 v1, 0xffff, v65
	v_or_b32_e32 v2, 0x10000, v65
	s_delay_alu instid0(VALU_DEP_2) | instskip(NEXT) | instid1(VALU_DEP_2)
	v_cmp_eq_u32_e32 vcc_lo, 0, v1
	v_cndmask_b32_e32 v1, v2, v65, vcc_lo
; %bb.82:
	s_or_b32 exec_lo, exec_lo, s4
	v_and_b32_e32 v2, 0x7f800000, v66
	s_delay_alu instid0(VALU_DEP_1) | instskip(SKIP_1) | instid1(SALU_CYCLE_1)
	v_cmp_ne_u32_e32 vcc_lo, 0x7f800000, v2
                                        ; implicit-def: $vgpr2
	s_and_saveexec_b32 s4, vcc_lo
	s_xor_b32 s4, exec_lo, s4
; %bb.83:
	v_bfe_u32 v2, v66, 16, 1
	s_delay_alu instid0(VALU_DEP_1)
	v_add3_u32 v2, v66, v2, 0x7fff
; %bb.84:
	s_and_not1_saveexec_b32 s4, s4
; %bb.85:
	v_and_b32_e32 v2, 0xffff, v66
	v_or_b32_e32 v3, 0x10000, v66
	s_delay_alu instid0(VALU_DEP_2) | instskip(NEXT) | instid1(VALU_DEP_2)
	v_cmp_eq_u32_e32 vcc_lo, 0, v2
	v_cndmask_b32_e32 v2, v3, v66, vcc_lo
; %bb.86:
	s_or_b32 exec_lo, exec_lo, s4
	v_and_b32_e32 v3, 0x7f800000, v67
	s_delay_alu instid0(VALU_DEP_1) | instskip(SKIP_1) | instid1(SALU_CYCLE_1)
	v_cmp_ne_u32_e32 vcc_lo, 0x7f800000, v3
                                        ; implicit-def: $vgpr3
	s_and_saveexec_b32 s4, vcc_lo
	s_xor_b32 s4, exec_lo, s4
; %bb.87:
	v_bfe_u32 v3, v67, 16, 1
	s_delay_alu instid0(VALU_DEP_1)
	v_add3_u32 v3, v67, v3, 0x7fff
; %bb.88:
	s_and_not1_saveexec_b32 s4, s4
; %bb.89:
	v_and_b32_e32 v3, 0xffff, v67
	v_or_b32_e32 v4, 0x10000, v67
	s_delay_alu instid0(VALU_DEP_2) | instskip(NEXT) | instid1(VALU_DEP_2)
	v_cmp_eq_u32_e32 vcc_lo, 0, v3
	v_cndmask_b32_e32 v3, v4, v67, vcc_lo
; %bb.90:
	s_or_b32 exec_lo, exec_lo, s4
	v_and_b32_e32 v4, 0x7f800000, v68
	s_delay_alu instid0(VALU_DEP_1) | instskip(SKIP_1) | instid1(SALU_CYCLE_1)
	v_cmp_ne_u32_e32 vcc_lo, 0x7f800000, v4
                                        ; implicit-def: $vgpr4
	s_and_saveexec_b32 s4, vcc_lo
	s_xor_b32 s4, exec_lo, s4
; %bb.91:
	v_bfe_u32 v4, v68, 16, 1
	s_delay_alu instid0(VALU_DEP_1)
	v_add3_u32 v4, v68, v4, 0x7fff
; %bb.92:
	s_and_not1_saveexec_b32 s4, s4
; %bb.93:
	v_and_b32_e32 v4, 0xffff, v68
	v_or_b32_e32 v5, 0x10000, v68
	s_delay_alu instid0(VALU_DEP_2) | instskip(NEXT) | instid1(VALU_DEP_2)
	v_cmp_eq_u32_e32 vcc_lo, 0, v4
	v_cndmask_b32_e32 v4, v5, v68, vcc_lo
; %bb.94:
	s_or_b32 exec_lo, exec_lo, s4
	v_and_b32_e32 v5, 0x7f800000, v69
	s_delay_alu instid0(VALU_DEP_1) | instskip(SKIP_1) | instid1(SALU_CYCLE_1)
	v_cmp_ne_u32_e32 vcc_lo, 0x7f800000, v5
                                        ; implicit-def: $vgpr5
	s_and_saveexec_b32 s4, vcc_lo
	s_xor_b32 s4, exec_lo, s4
; %bb.95:
	v_bfe_u32 v5, v69, 16, 1
	s_delay_alu instid0(VALU_DEP_1)
	v_add3_u32 v5, v69, v5, 0x7fff
; %bb.96:
	s_and_not1_saveexec_b32 s4, s4
; %bb.97:
	v_and_b32_e32 v5, 0xffff, v69
	v_or_b32_e32 v6, 0x10000, v69
	s_delay_alu instid0(VALU_DEP_2) | instskip(NEXT) | instid1(VALU_DEP_2)
	v_cmp_eq_u32_e32 vcc_lo, 0, v5
	v_cndmask_b32_e32 v5, v6, v69, vcc_lo
; %bb.98:
	s_or_b32 exec_lo, exec_lo, s4
	v_and_b32_e32 v6, 0x7f800000, v70
	s_delay_alu instid0(VALU_DEP_1) | instskip(SKIP_1) | instid1(SALU_CYCLE_1)
	v_cmp_ne_u32_e32 vcc_lo, 0x7f800000, v6
                                        ; implicit-def: $vgpr6
	s_and_saveexec_b32 s4, vcc_lo
	s_xor_b32 s4, exec_lo, s4
; %bb.99:
	v_bfe_u32 v6, v70, 16, 1
	s_delay_alu instid0(VALU_DEP_1)
	v_add3_u32 v6, v70, v6, 0x7fff
; %bb.100:
	s_and_not1_saveexec_b32 s4, s4
; %bb.101:
	v_and_b32_e32 v6, 0xffff, v70
	v_or_b32_e32 v7, 0x10000, v70
	s_delay_alu instid0(VALU_DEP_2) | instskip(NEXT) | instid1(VALU_DEP_2)
	v_cmp_eq_u32_e32 vcc_lo, 0, v6
	v_cndmask_b32_e32 v6, v7, v70, vcc_lo
; %bb.102:
	s_or_b32 exec_lo, exec_lo, s4
	v_and_b32_e32 v7, 0x7f800000, v71
	s_delay_alu instid0(VALU_DEP_1) | instskip(SKIP_1) | instid1(SALU_CYCLE_1)
	v_cmp_ne_u32_e32 vcc_lo, 0x7f800000, v7
                                        ; implicit-def: $vgpr7
	s_and_saveexec_b32 s4, vcc_lo
	s_xor_b32 s4, exec_lo, s4
; %bb.103:
	v_bfe_u32 v7, v71, 16, 1
	s_delay_alu instid0(VALU_DEP_1)
	v_add3_u32 v7, v71, v7, 0x7fff
; %bb.104:
	s_and_not1_saveexec_b32 s4, s4
; %bb.105:
	v_and_b32_e32 v7, 0xffff, v71
	v_or_b32_e32 v8, 0x10000, v71
	s_delay_alu instid0(VALU_DEP_2) | instskip(NEXT) | instid1(VALU_DEP_2)
	v_cmp_eq_u32_e32 vcc_lo, 0, v7
	v_cndmask_b32_e32 v7, v8, v71, vcc_lo
; %bb.106:
	s_or_b32 exec_lo, exec_lo, s4
	v_and_b32_e32 v8, 0x7f800000, v72
	s_delay_alu instid0(VALU_DEP_1) | instskip(SKIP_1) | instid1(SALU_CYCLE_1)
	v_cmp_ne_u32_e32 vcc_lo, 0x7f800000, v8
                                        ; implicit-def: $vgpr8
	s_and_saveexec_b32 s4, vcc_lo
	s_xor_b32 s4, exec_lo, s4
; %bb.107:
	v_bfe_u32 v8, v72, 16, 1
	s_delay_alu instid0(VALU_DEP_1)
	v_add3_u32 v8, v72, v8, 0x7fff
                                        ; implicit-def: $vgpr65_vgpr66_vgpr67_vgpr68_vgpr69_vgpr70_vgpr71_vgpr72
; %bb.108:
	s_and_not1_saveexec_b32 s4, s4
; %bb.109:
	v_and_b32_e32 v8, 0xffff, v72
	v_or_b32_e32 v9, 0x10000, v72
	s_delay_alu instid0(VALU_DEP_2) | instskip(NEXT) | instid1(VALU_DEP_2)
	v_cmp_eq_u32_e32 vcc_lo, 0, v8
	v_cndmask_b32_e32 v8, v9, v72, vcc_lo
; %bb.110:
	s_or_b32 exec_lo, exec_lo, s4
	s_delay_alu instid0(VALU_DEP_1)
	v_perm_b32 v7, v8, v7, 0x7060302
	v_perm_b32 v6, v6, v5, 0x7060302
	;; [unrolled: 1-line block ×4, first 2 shown]
	s_barrier
	buffer_gl0_inv
	v_cmp_eq_u32_e32 vcc_lo, 1, v78
	ds_store_b128 v76, v[4:7]
	s_waitcnt lgkmcnt(0)
	s_barrier
	buffer_gl0_inv
	ds_load_b128 v[1:4], v82
	ds_load_b128 v[5:8], v82 offset:16
	v_cmp_eq_u32_e64 s4, 1, v79
	v_cmp_eq_u32_e64 s5, 2, v78
	v_cmp_eq_u32_e64 s6, 3, v78
	v_cmp_eq_u32_e64 s8, 2, v77
	v_cmp_eq_u32_e64 s7, 7, v79
	s_waitcnt lgkmcnt(1)
	v_lshrrev_b32_e32 v9, 16, v1
	s_waitcnt lgkmcnt(0)
	v_lshrrev_b32_e32 v13, 16, v5
	v_lshrrev_b32_e32 v10, 16, v2
	;; [unrolled: 1-line block ×4, first 2 shown]
	v_cndmask_b32_e64 v19, v1, v9, s4
	v_cndmask_b32_e32 v18, v5, v13, vcc_lo
	v_cndmask_b32_e64 v20, v5, v13, s4
	v_cndmask_b32_e32 v17, v1, v9, vcc_lo
	v_cmp_eq_u32_e32 vcc_lo, 2, v79
	v_lshrrev_b32_e32 v15, 16, v7
	v_cmp_eq_u32_e64 s4, 1, v77
	v_lshrrev_b32_e32 v12, 16, v4
	v_lshrrev_b32_e32 v16, 16, v8
	v_cndmask_b32_e32 v20, v20, v6, vcc_lo
	v_cndmask_b32_e64 v17, v17, v2, s5
	v_cndmask_b32_e32 v19, v19, v2, vcc_lo
	v_cndmask_b32_e64 v18, v18, v6, s5
	v_cmp_eq_u32_e32 vcc_lo, 4, v78
	v_cmp_eq_u32_e64 s5, 3, v79
	v_cndmask_b32_e64 v17, v17, v10, s6
	v_cndmask_b32_e64 v21, v1, v9, s4
	;; [unrolled: 1-line block ×5, first 2 shown]
	v_cndmask_b32_e32 v17, v17, v3, vcc_lo
	v_cndmask_b32_e64 v20, v20, v14, s5
	v_cndmask_b32_e32 v18, v18, v7, vcc_lo
	v_cmp_eq_u32_e32 vcc_lo, 4, v79
	v_cmp_eq_u32_e64 s5, 5, v79
	v_cmp_eq_u32_e64 s4, 2, v81
	v_cndmask_b32_e64 v21, v21, v2, s8
	v_cmp_eq_u32_e64 s6, 5, v78
	v_cndmask_b32_e32 v19, v19, v3, vcc_lo
	v_cndmask_b32_e32 v20, v20, v7, vcc_lo
	v_cmp_eq_u32_e32 vcc_lo, 6, v79
	s_delay_alu instid0(VALU_DEP_4) | instskip(NEXT) | instid1(VALU_DEP_4)
	v_cndmask_b32_e64 v17, v17, v11, s6
	v_cndmask_b32_e64 v19, v19, v11, s5
	s_delay_alu instid0(VALU_DEP_4) | instskip(SKIP_1) | instid1(VALU_DEP_3)
	v_cndmask_b32_e64 v20, v20, v15, s5
	v_cmp_eq_u32_e64 s5, 1, v81
	v_cndmask_b32_e32 v19, v19, v4, vcc_lo
	v_cndmask_b32_e64 v18, v18, v15, s6
	s_delay_alu instid0(VALU_DEP_3)
	v_cndmask_b32_e64 v1, v1, v9, s5
	v_cndmask_b32_e64 v5, v5, v13, s5
	v_cmp_eq_u32_e64 s5, 3, v77
	v_cndmask_b32_e64 v13, v22, v6, s8
	v_cmp_eq_u32_e64 s8, 3, v81
	v_cndmask_b32_e64 v1, v1, v2, s4
	v_cndmask_b32_e64 v2, v5, v6, s4
	;; [unrolled: 1-line block ×3, first 2 shown]
	v_cmp_eq_u32_e64 s4, 4, v77
	v_cndmask_b32_e64 v6, v13, v14, s5
	v_cndmask_b32_e64 v1, v1, v10, s8
	v_cmp_eq_u32_e64 s5, 4, v81
	v_cndmask_b32_e64 v2, v2, v14, s8
	v_cndmask_b32_e64 v5, v9, v3, s4
	;; [unrolled: 3-line block ×3, first 2 shown]
	v_cndmask_b32_e64 v2, v2, v7, s5
	v_cmp_eq_u32_e64 s4, 5, v81
	v_cmp_eq_u32_e64 s6, 6, v78
	v_cndmask_b32_e64 v5, v5, v11, s8
	v_cmp_eq_u32_e64 s5, 6, v77
	v_cndmask_b32_e64 v3, v6, v15, s8
	v_cndmask_b32_e64 v1, v1, v11, s4
	v_cmp_eq_u32_e64 s8, 6, v81
	v_cndmask_b32_e64 v2, v2, v15, s4
	v_cndmask_b32_e64 v17, v17, v4, s6
	v_cndmask_b32_e64 v18, v18, v8, s6
	v_cmp_eq_u32_e64 s6, 7, v78
	v_cndmask_b32_e64 v5, v5, v4, s5
	v_cndmask_b32_e64 v3, v3, v8, s5
	v_cndmask_b32_e64 v1, v1, v4, s8
	v_cmp_eq_u32_e64 s4, 7, v81
	v_cndmask_b32_e64 v2, v2, v8, s8
	v_cmp_eq_u32_e64 s5, 7, v77
	v_cndmask_b32_e32 v4, v20, v8, vcc_lo
	v_cndmask_b32_e64 v17, v17, v12, s6
	v_cndmask_b32_e64 v19, v19, v12, s7
	;; [unrolled: 1-line block ×8, first 2 shown]
	v_cmp_gt_u32_e32 vcc_lo, 32, v0
	v_perm_b32 v4, v2, v1, 0x5040100
	v_perm_b32 v3, v3, v5, 0x5040100
	;; [unrolled: 1-line block ×4, first 2 shown]
	s_and_b32 s2, vcc_lo, s2
	ds_store_b128 v76, v[1:4]
	s_waitcnt lgkmcnt(0)
	s_barrier
	buffer_gl0_inv
	s_and_saveexec_b32 s4, s2
	s_cbranch_execz .LBB1484_2
; %bb.111:
	s_load_b64 s[4:5], s[0:1], 0x68
	v_lshlrev_b32_e32 v0, 10, v0
	v_lshlrev_b32_e32 v2, 4, v75
	v_add_nc_u32_e32 v1, s31, v74
	s_lshl_b32 s0, s36, 6
	s_delay_alu instid0(SALU_CYCLE_1) | instskip(NEXT) | instid1(VALU_DEP_2)
	s_mul_i32 s1, s0, s34
	v_and_or_b32 v0, 0x3800, v0, v2
	s_mul_i32 s6, s1, s9
	v_mul_lo_u32 v1, v1, s0
	s_ashr_i32 s7, s6, 31
	s_delay_alu instid0(VALU_DEP_2) | instskip(SKIP_1) | instid1(VALU_DEP_2)
	v_lshl_or_b32 v3, v74, 6, v0
	s_lshl_b64 s[6:7], s[6:7], 1
	v_ashrrev_i32_e32 v2, 31, v1
	ds_load_b128 v[3:6], v3
	s_waitcnt lgkmcnt(0)
	s_add_u32 s1, s4, s6
	s_addc_u32 s2, s5, s7
	s_lshl_b32 s4, s14, 6
	v_lshlrev_b64 v[7:8], 1, v[1:2]
	s_ashr_i32 s5, s4, 31
	s_delay_alu instid0(SALU_CYCLE_1) | instskip(NEXT) | instid1(SALU_CYCLE_1)
	s_lshl_b64 s[4:5], s[4:5], 1
	s_add_u32 s1, s1, s4
	s_addc_u32 s2, s2, s5
	v_add_co_u32 v1, s1, s1, v73
	s_delay_alu instid0(VALU_DEP_1) | instskip(NEXT) | instid1(VALU_DEP_2)
	v_add_co_ci_u32_e64 v2, null, s2, 0, s1
	v_add_co_u32 v7, vcc_lo, v1, v7
	s_delay_alu instid0(VALU_DEP_2)
	v_add_co_ci_u32_e32 v8, vcc_lo, v2, v8, vcc_lo
	global_store_b128 v[7:8], v[3:6], off
	s_and_b32 exec_lo, exec_lo, s3
	s_cbranch_execz .LBB1484_2
; %bb.112:
	ds_load_b128 v[3:6], v0 offset:128
	s_add_i32 s1, s31, 2
	s_delay_alu instid0(SALU_CYCLE_1) | instskip(NEXT) | instid1(SALU_CYCLE_1)
	s_mul_i32 s0, s1, s0
	s_ashr_i32 s1, s0, 31
	s_delay_alu instid0(SALU_CYCLE_1) | instskip(NEXT) | instid1(SALU_CYCLE_1)
	s_lshl_b64 s[0:1], s[0:1], 1
	v_add_co_u32 v0, vcc_lo, v1, s0
	v_add_co_ci_u32_e32 v1, vcc_lo, s1, v2, vcc_lo
	s_waitcnt lgkmcnt(0)
	global_store_b128 v[0:1], v[3:6], off
	s_nop 0
	s_sendmsg sendmsg(MSG_DEALLOC_VGPRS)
	s_endpgm
	.section	.rodata,"a",@progbits
	.p2align	6, 0x0
	.amdhsa_kernel _Z39paged_attention_ll4mi_QKV_mfma16_kernelI14__hip_bfloat16hLN4vllm18Fp8KVCacheDataTypeE1ES0_Li32ELi64ELi256ELb1ELi3EL8MFMAType1EEvPKT_PKT0_S9_ifPKiSB_SB_iPKfiiiPfSE_PS4_PT2_iSD_SD_
		.amdhsa_group_segment_fixed_size 17472
		.amdhsa_private_segment_fixed_size 0
		.amdhsa_kernarg_size 400
		.amdhsa_user_sgpr_count 13
		.amdhsa_user_sgpr_dispatch_ptr 0
		.amdhsa_user_sgpr_queue_ptr 0
		.amdhsa_user_sgpr_kernarg_segment_ptr 1
		.amdhsa_user_sgpr_dispatch_id 0
		.amdhsa_user_sgpr_private_segment_size 0
		.amdhsa_wavefront_size32 1
		.amdhsa_uses_dynamic_stack 0
		.amdhsa_enable_private_segment 0
		.amdhsa_system_sgpr_workgroup_id_x 1
		.amdhsa_system_sgpr_workgroup_id_y 1
		.amdhsa_system_sgpr_workgroup_id_z 1
		.amdhsa_system_sgpr_workgroup_info 0
		.amdhsa_system_vgpr_workitem_id 0
		.amdhsa_next_free_vgpr 124
		.amdhsa_next_free_sgpr 42
		.amdhsa_reserve_vcc 1
		.amdhsa_float_round_mode_32 0
		.amdhsa_float_round_mode_16_64 0
		.amdhsa_float_denorm_mode_32 3
		.amdhsa_float_denorm_mode_16_64 3
		.amdhsa_dx10_clamp 1
		.amdhsa_ieee_mode 1
		.amdhsa_fp16_overflow 0
		.amdhsa_workgroup_processor_mode 1
		.amdhsa_memory_ordered 1
		.amdhsa_forward_progress 0
		.amdhsa_shared_vgpr_count 0
		.amdhsa_exception_fp_ieee_invalid_op 0
		.amdhsa_exception_fp_denorm_src 0
		.amdhsa_exception_fp_ieee_div_zero 0
		.amdhsa_exception_fp_ieee_overflow 0
		.amdhsa_exception_fp_ieee_underflow 0
		.amdhsa_exception_fp_ieee_inexact 0
		.amdhsa_exception_int_div_zero 0
	.end_amdhsa_kernel
	.section	.text._Z39paged_attention_ll4mi_QKV_mfma16_kernelI14__hip_bfloat16hLN4vllm18Fp8KVCacheDataTypeE1ES0_Li32ELi64ELi256ELb1ELi3EL8MFMAType1EEvPKT_PKT0_S9_ifPKiSB_SB_iPKfiiiPfSE_PS4_PT2_iSD_SD_,"axG",@progbits,_Z39paged_attention_ll4mi_QKV_mfma16_kernelI14__hip_bfloat16hLN4vllm18Fp8KVCacheDataTypeE1ES0_Li32ELi64ELi256ELb1ELi3EL8MFMAType1EEvPKT_PKT0_S9_ifPKiSB_SB_iPKfiiiPfSE_PS4_PT2_iSD_SD_,comdat
.Lfunc_end1484:
	.size	_Z39paged_attention_ll4mi_QKV_mfma16_kernelI14__hip_bfloat16hLN4vllm18Fp8KVCacheDataTypeE1ES0_Li32ELi64ELi256ELb1ELi3EL8MFMAType1EEvPKT_PKT0_S9_ifPKiSB_SB_iPKfiiiPfSE_PS4_PT2_iSD_SD_, .Lfunc_end1484-_Z39paged_attention_ll4mi_QKV_mfma16_kernelI14__hip_bfloat16hLN4vllm18Fp8KVCacheDataTypeE1ES0_Li32ELi64ELi256ELb1ELi3EL8MFMAType1EEvPKT_PKT0_S9_ifPKiSB_SB_iPKfiiiPfSE_PS4_PT2_iSD_SD_
                                        ; -- End function
	.section	.AMDGPU.csdata,"",@progbits
; Kernel info:
; codeLenInByte = 8724
; NumSgprs: 44
; NumVgprs: 124
; ScratchSize: 0
; MemoryBound: 0
; FloatMode: 240
; IeeeMode: 1
; LDSByteSize: 17472 bytes/workgroup (compile time only)
; SGPRBlocks: 5
; VGPRBlocks: 15
; NumSGPRsForWavesPerEU: 44
; NumVGPRsForWavesPerEU: 124
; Occupancy: 10
; WaveLimiterHint : 1
; COMPUTE_PGM_RSRC2:SCRATCH_EN: 0
; COMPUTE_PGM_RSRC2:USER_SGPR: 13
; COMPUTE_PGM_RSRC2:TRAP_HANDLER: 0
; COMPUTE_PGM_RSRC2:TGID_X_EN: 1
; COMPUTE_PGM_RSRC2:TGID_Y_EN: 1
; COMPUTE_PGM_RSRC2:TGID_Z_EN: 1
; COMPUTE_PGM_RSRC2:TIDIG_COMP_CNT: 0
	.section	.text._Z39paged_attention_ll4mi_QKV_mfma16_kernelI14__hip_bfloat16hLN4vllm18Fp8KVCacheDataTypeE1ES0_Li32ELi64ELi256ELb1ELi4EL8MFMAType1EEvPKT_PKT0_S9_ifPKiSB_SB_iPKfiiiPfSE_PS4_PT2_iSD_SD_,"axG",@progbits,_Z39paged_attention_ll4mi_QKV_mfma16_kernelI14__hip_bfloat16hLN4vllm18Fp8KVCacheDataTypeE1ES0_Li32ELi64ELi256ELb1ELi4EL8MFMAType1EEvPKT_PKT0_S9_ifPKiSB_SB_iPKfiiiPfSE_PS4_PT2_iSD_SD_,comdat
	.protected	_Z39paged_attention_ll4mi_QKV_mfma16_kernelI14__hip_bfloat16hLN4vllm18Fp8KVCacheDataTypeE1ES0_Li32ELi64ELi256ELb1ELi4EL8MFMAType1EEvPKT_PKT0_S9_ifPKiSB_SB_iPKfiiiPfSE_PS4_PT2_iSD_SD_ ; -- Begin function _Z39paged_attention_ll4mi_QKV_mfma16_kernelI14__hip_bfloat16hLN4vllm18Fp8KVCacheDataTypeE1ES0_Li32ELi64ELi256ELb1ELi4EL8MFMAType1EEvPKT_PKT0_S9_ifPKiSB_SB_iPKfiiiPfSE_PS4_PT2_iSD_SD_
	.globl	_Z39paged_attention_ll4mi_QKV_mfma16_kernelI14__hip_bfloat16hLN4vllm18Fp8KVCacheDataTypeE1ES0_Li32ELi64ELi256ELb1ELi4EL8MFMAType1EEvPKT_PKT0_S9_ifPKiSB_SB_iPKfiiiPfSE_PS4_PT2_iSD_SD_
	.p2align	8
	.type	_Z39paged_attention_ll4mi_QKV_mfma16_kernelI14__hip_bfloat16hLN4vllm18Fp8KVCacheDataTypeE1ES0_Li32ELi64ELi256ELb1ELi4EL8MFMAType1EEvPKT_PKT0_S9_ifPKiSB_SB_iPKfiiiPfSE_PS4_PT2_iSD_SD_,@function
_Z39paged_attention_ll4mi_QKV_mfma16_kernelI14__hip_bfloat16hLN4vllm18Fp8KVCacheDataTypeE1ES0_Li32ELi64ELi256ELb1ELi4EL8MFMAType1EEvPKT_PKT0_S9_ifPKiSB_SB_iPKfiiiPfSE_PS4_PT2_iSD_SD_: ; @_Z39paged_attention_ll4mi_QKV_mfma16_kernelI14__hip_bfloat16hLN4vllm18Fp8KVCacheDataTypeE1ES0_Li32ELi64ELi256ELb1ELi4EL8MFMAType1EEvPKT_PKT0_S9_ifPKiSB_SB_iPKfiiiPfSE_PS4_PT2_iSD_SD_
; %bb.0:
	s_load_b64 s[2:3], s[0:1], 0x30
	s_mov_b32 s30, s13
	s_waitcnt lgkmcnt(0)
	s_cmp_lg_u64 s[2:3], 0
	s_cselect_b32 s8, -1, 0
	s_ashr_i32 s31, s13, 31
	s_cmp_eq_u64 s[2:3], 0
	s_cbranch_scc1 .LBB1485_3
; %bb.1:
	s_lshl_b64 s[4:5], s[30:31], 2
	s_delay_alu instid0(SALU_CYCLE_1) | instskip(SKIP_4) | instid1(SALU_CYCLE_1)
	s_add_u32 s4, s2, s4
	s_addc_u32 s5, s3, s5
	s_load_b64 s[4:5], s[4:5], 0x0
	s_waitcnt lgkmcnt(0)
	s_sub_i32 s4, s5, s4
	s_cmp_eq_u32 s4, 1
	s_cselect_b32 s4, -1, 0
	s_delay_alu instid0(SALU_CYCLE_1)
	s_and_not1_b32 vcc_lo, exec_lo, s4
	s_cbranch_vccz .LBB1485_4
.LBB1485_2:
	s_endpgm
.LBB1485_3:
.LBB1485_4:
	s_load_b64 s[4:5], s[0:1], 0x28
	s_lshl_b64 s[6:7], s[30:31], 2
	s_waitcnt lgkmcnt(0)
	s_add_u32 s4, s4, s6
	s_addc_u32 s5, s5, s7
	s_lshl_b32 s12, s14, 8
	s_load_b32 s24, s[4:5], 0x0
	s_waitcnt lgkmcnt(0)
	s_cmp_ge_i32 s12, s24
	s_cbranch_scc1 .LBB1485_2
; %bb.5:
	s_clause 0x1
	s_load_b128 s[20:23], s[0:1], 0x8
	s_load_b64 s[4:5], s[0:1], 0x20
	s_and_not1_b32 vcc_lo, exec_lo, s8
	s_cbranch_vccnz .LBB1485_7
; %bb.6:
	s_add_u32 s2, s2, s6
	s_addc_u32 s3, s3, s7
	s_load_b32 s3, s[2:3], 0x0
	s_branch .LBB1485_8
.LBB1485_7:
	s_mov_b32 s3, s30
.LBB1485_8:
	s_load_b128 s[16:19], s[0:1], 0x48
	v_and_b32_e32 v66, 15, v0
	v_cmp_gt_u32_e32 vcc_lo, 64, v0
	v_lshrrev_b32_e32 v65, 5, v0
	v_and_b32_e32 v67, 31, v0
	v_and_b32_e32 v74, 1, v0
	v_lshlrev_b32_e32 v1, 3, v66
	v_cmp_gt_u32_e64 s2, 8, v66
	v_bfe_u32 v75, v0, 4, 1
	s_lshl_b32 s31, s15, 2
	s_delay_alu instid0(VALU_DEP_3) | instskip(NEXT) | instid1(VALU_DEP_3)
	v_lshlrev_b32_e32 v73, 1, v1
	s_and_b32 s7, vcc_lo, s2
	s_delay_alu instid0(SALU_CYCLE_1)
	s_and_saveexec_b32 s6, s7
	s_cbranch_execz .LBB1485_10
; %bb.9:
	v_lshl_or_b32 v5, v65, 1, v75
	s_load_b64 s[8:9], s[0:1], 0x0
	s_waitcnt lgkmcnt(0)
	s_mul_hi_i32 s11, s3, s16
	s_mul_i32 s10, s3, s16
	v_lshlrev_b32_e32 v6, 10, v66
	v_or_b32_e32 v1, s31, v5
	s_lshl_b64 s[10:11], s[10:11], 1
	v_lshlrev_b32_e32 v5, 6, v5
	v_lshlrev_b32_e32 v7, 10, v74
	v_and_b32_e32 v6, 0x3800, v6
	v_lshlrev_b32_e32 v1, 6, v1
	s_delay_alu instid0(VALU_DEP_2) | instskip(NEXT) | instid1(VALU_DEP_2)
	v_or3_b32 v5, v6, v7, v5
	v_ashrrev_i32_e32 v2, 31, v1
	s_delay_alu instid0(VALU_DEP_1) | instskip(SKIP_2) | instid1(VALU_DEP_1)
	v_lshlrev_b64 v[1:2], 1, v[1:2]
	s_add_u32 s3, s8, s10
	s_addc_u32 s7, s9, s11
	v_add_co_u32 v1, vcc_lo, s3, v1
	s_delay_alu instid0(VALU_DEP_2) | instskip(NEXT) | instid1(VALU_DEP_2)
	v_add_co_ci_u32_e32 v2, vcc_lo, s7, v2, vcc_lo
	v_add_co_u32 v1, vcc_lo, v1, v73
	s_delay_alu instid0(VALU_DEP_2)
	v_add_co_ci_u32_e32 v2, vcc_lo, 0, v2, vcc_lo
	global_load_b128 v[1:4], v[1:2], off
	s_waitcnt vmcnt(0)
	ds_store_b128 v5, v[1:4]
.LBB1485_10:
	s_or_b32 exec_lo, exec_lo, s6
	v_and_b32_e32 v1, 0xef, v0
	s_waitcnt lgkmcnt(0)
	s_add_i32 s3, s24, 31
	s_clause 0x1
	s_load_b32 s6, s[0:1], 0x38
	s_load_b32 s19, s[0:1], 0x1c
	s_ashr_i32 s7, s3, 31
	v_add_nc_u32_e32 v1, s12, v1
	s_lshr_b32 s7, s7, 27
	s_waitcnt lgkmcnt(0)
	s_add_i32 s3, s3, s7
	s_barrier
	v_ashrrev_i32_e32 v2, 31, v1
	v_or_b32_e32 v3, 16, v1
	s_ashr_i32 s3, s3, 5
	v_cmp_gt_i32_e32 vcc_lo, s24, v1
	s_add_i32 s3, s3, -1
	v_lshrrev_b32_e32 v2, 27, v2
	buffer_gl0_inv
	s_mul_i32 s27, s15, s18
	v_add_nc_u32_e32 v4, v1, v2
	s_mul_i32 s6, s30, s6
	s_delay_alu instid0(SALU_CYCLE_1) | instskip(NEXT) | instid1(VALU_DEP_1)
	s_ashr_i32 s7, s6, 31
	v_ashrrev_i32_e32 v4, 5, v4
	v_add_nc_u32_e32 v2, v3, v2
	s_lshl_b64 s[6:7], s[6:7], 2
	s_delay_alu instid0(SALU_CYCLE_1) | instskip(NEXT) | instid1(VALU_DEP_2)
	s_add_u32 s26, s4, s6
	v_cndmask_b32_e32 v1, s3, v4, vcc_lo
	s_delay_alu instid0(VALU_DEP_2)
	v_ashrrev_i32_e32 v2, 5, v2
	v_cmp_gt_i32_e32 vcc_lo, s24, v3
	s_addc_u32 s25, s5, s7
	s_ashr_i32 s28, s27, 31
	s_add_u32 s4, s20, s27
	s_addc_u32 s5, s21, s28
	v_cndmask_b32_e32 v3, s3, v2, vcc_lo
	v_ashrrev_i32_e32 v2, 31, v1
	s_lshl_b32 s6, s14, 3
	s_delay_alu instid0(SALU_CYCLE_1) | instskip(NEXT) | instid1(VALU_DEP_2)
	s_ashr_i32 s7, s6, 31
	v_ashrrev_i32_e32 v4, 31, v3
	s_delay_alu instid0(VALU_DEP_2) | instskip(SKIP_1) | instid1(SALU_CYCLE_1)
	v_lshlrev_b64 v[1:2], 2, v[1:2]
	s_lshl_b64 s[6:7], s[6:7], 2
	s_add_u32 s6, s26, s6
	s_delay_alu instid0(VALU_DEP_2) | instskip(SKIP_1) | instid1(VALU_DEP_2)
	v_lshlrev_b64 v[3:4], 2, v[3:4]
	s_addc_u32 s7, s25, s7
	v_add_co_u32 v1, vcc_lo, s26, v1
	v_add_co_ci_u32_e32 v2, vcc_lo, s25, v2, vcc_lo
	s_delay_alu instid0(VALU_DEP_3) | instskip(NEXT) | instid1(VALU_DEP_4)
	v_add_co_u32 v3, vcc_lo, s26, v3
	v_add_co_ci_u32_e32 v4, vcc_lo, s25, v4, vcc_lo
	s_clause 0x1
	global_load_b32 v5, v[1:2], off
	global_load_b32 v6, v[3:4], off
	s_or_b32 s8, s12, 32
	s_delay_alu instid0(SALU_CYCLE_1) | instskip(SKIP_2) | instid1(SALU_CYCLE_1)
	s_ashr_i32 s9, s8, 5
	s_cmp_lt_i32 s8, s24
	s_cselect_b32 s8, s9, s3
	s_ashr_i32 s9, s8, 31
	s_delay_alu instid0(SALU_CYCLE_1) | instskip(NEXT) | instid1(SALU_CYCLE_1)
	s_lshl_b64 s[8:9], s[8:9], 2
	s_add_u32 s8, s26, s8
	s_addc_u32 s9, s25, s9
	s_or_b32 s10, s12, 64
	s_delay_alu instid0(SALU_CYCLE_1) | instskip(SKIP_2) | instid1(SALU_CYCLE_1)
	s_ashr_i32 s11, s10, 5
	s_cmp_lt_i32 s10, s24
	s_cselect_b32 s10, s11, s3
	s_ashr_i32 s11, s10, 31
	s_delay_alu instid0(SALU_CYCLE_1) | instskip(NEXT) | instid1(SALU_CYCLE_1)
	s_lshl_b64 s[10:11], s[10:11], 2
	s_add_u32 s10, s26, s10
	s_addc_u32 s11, s25, s11
	;; [unrolled: 10-line block ×5, first 2 shown]
	s_clause 0x5
	s_load_b32 s21, s[6:7], 0x0
	s_load_b32 s13, s[8:9], 0x0
	;; [unrolled: 1-line block ×6, first 2 shown]
	s_or_b32 s7, s12, 0xc0
	s_delay_alu instid0(SALU_CYCLE_1) | instskip(SKIP_2) | instid1(SALU_CYCLE_1)
	s_ashr_i32 s8, s7, 5
	s_cmp_lt_i32 s7, s24
	s_cselect_b32 s10, s8, s3
	s_ashr_i32 s11, s10, 31
	s_delay_alu instid0(SALU_CYCLE_1) | instskip(NEXT) | instid1(SALU_CYCLE_1)
	s_lshl_b64 s[34:35], s[10:11], 2
	s_add_u32 s34, s26, s34
	s_addc_u32 s35, s25, s35
	s_or_b32 s29, s12, 0xe0
	s_delay_alu instid0(SALU_CYCLE_1)
	s_ashr_i32 s33, s29, 5
	s_cmp_lt_i32 s29, s24
	s_waitcnt vmcnt(1)
	v_mad_i64_i32 v[1:2], null, v5, s17, s[4:5]
	s_waitcnt vmcnt(0)
	v_mad_i64_i32 v[3:4], null, v6, s17, s[4:5]
	s_mov_b32 s4, 0
	s_delay_alu instid0(SALU_CYCLE_1)
	s_mov_b32 s5, s4
	s_mov_b32 s6, s4
	s_mov_b32 s7, s4
	s_mov_b32 s8, s4
	s_mov_b32 s9, s4
	s_mov_b32 s10, s4
	s_mov_b32 s11, s4
	v_lshlrev_b32_e32 v5, 4, v66
	v_dual_mov_b32 v107, s11 :: v_dual_mov_b32 v102, s6
	v_dual_mov_b32 v106, s10 :: v_dual_mov_b32 v105, s9
	s_delay_alu instid0(VALU_DEP_3)
	v_add_co_u32 v1, vcc_lo, v1, v5
	v_add_co_ci_u32_e32 v2, vcc_lo, 0, v2, vcc_lo
	v_add_co_u32 v3, vcc_lo, v3, v5
	v_add_co_ci_u32_e32 v4, vcc_lo, 0, v4, vcc_lo
	s_clause 0x7
	global_load_b128 v[49:52], v[1:2], off
	global_load_b128 v[53:56], v[1:2], off offset:512
	global_load_b128 v[76:79], v[3:4], off offset:256
	;; [unrolled: 1-line block ×7, first 2 shown]
	v_dual_mov_b32 v100, s4 :: v_dual_and_b32 v1, 3, v0
	v_lshlrev_b32_e32 v2, 5, v66
	v_dual_mov_b32 v104, s8 :: v_dual_mov_b32 v103, s7
	v_mov_b32_e32 v101, s5
	s_cselect_b32 s4, s33, s3
	v_lshlrev_b32_e32 v70, 6, v1
	s_ashr_i32 s5, s4, 31
	v_lshl_or_b32 v1, v65, 9, v2
	s_lshl_b64 s[4:5], s[4:5], 2
	s_load_b32 s3, s[34:35], 0x0
	s_add_u32 s4, s26, s4
	s_addc_u32 s5, s25, s5
	ds_load_b128 v[108:111], v70
	ds_load_b128 v[112:115], v70 offset:1024
	s_load_b32 s4, s[4:5], 0x0
	s_add_u32 s6, s22, s27
	s_addc_u32 s7, s23, s28
	v_add_co_u32 v9, s6, s6, v1
	s_delay_alu instid0(VALU_DEP_1) | instskip(SKIP_1) | instid1(VALU_DEP_1)
	v_add_co_ci_u32_e64 v10, null, s7, 0, s6
	s_waitcnt lgkmcnt(0)
	v_mad_i64_i32 v[1:2], null, s21, s17, v[9:10]
	v_mad_i64_i32 v[3:4], null, s13, s17, v[9:10]
	;; [unrolled: 1-line block ×7, first 2 shown]
	s_clause 0x9
	global_load_b128 v[57:60], v[1:2], off
	global_load_b128 v[61:64], v[1:2], off offset:16
	global_load_b128 v[41:44], v[3:4], off
	global_load_b128 v[45:48], v[3:4], off offset:16
	;; [unrolled: 2-line block ×5, first 2 shown]
	v_mad_i64_i32 v[68:69], null, s4, s17, v[9:10]
	s_clause 0x3
	global_load_b128 v[9:12], v[13:14], off
	global_load_b128 v[13:16], v[13:14], off offset:16
	global_load_b128 v[17:20], v[21:22], off
	global_load_b128 v[21:24], v[21:22], off offset:16
	s_waitcnt vmcnt(20)
	v_wmma_f32_16x16x16_bf16 v[116:123], v[49:56], v[108:115], v[100:107]
	s_clause 0x1
	global_load_b128 v[49:52], v[68:69], off
	global_load_b128 v[53:56], v[68:69], off offset:16
	v_and_b32_e32 v68, 0xe0, v0
	v_mbcnt_lo_u32_b32 v69, -1, 0
	s_delay_alu instid0(VALU_DEP_2)
	v_add_nc_u32_e32 v68, s12, v68
	s_waitcnt vmcnt(20)
	v_wmma_f32_16x16x16_bf16 v[100:107], v[76:83], v[108:115], v[100:107]
	ds_load_b128 v[76:79], v70 offset:2048
	ds_load_b128 v[80:83], v70 offset:3072
	v_xor_b32_e32 v70, 16, v69
	s_waitcnt vmcnt(0) lgkmcnt(0)
	v_or_b32_e32 v68, v68, v75
	s_barrier
	buffer_gl0_inv
	v_cmp_gt_i32_e32 vcc_lo, 32, v70
	v_or_b32_e32 v71, 4, v68
	v_or_b32_e32 v72, 6, v68
	v_cmp_gt_i32_e64 s3, s24, v68
	v_or_b32_e32 v108, 8, v68
	v_or_b32_e32 v109, 10, v68
	v_cmp_gt_i32_e64 s4, s24, v71
	v_cmp_gt_i32_e64 s5, s24, v72
	s_delay_alu instid0(VALU_DEP_4) | instskip(NEXT) | instid1(VALU_DEP_4)
	v_cmp_gt_i32_e64 s6, s24, v108
	v_cmp_gt_i32_e64 s7, s24, v109
	v_wmma_f32_16x16x16_bf16 v[116:123], v[84:91], v[76:83], v[116:123]
	v_cndmask_b32_e32 v69, v69, v70, vcc_lo
	v_or_b32_e32 v70, 2, v68
	v_wmma_f32_16x16x16_bf16 v[100:107], v[92:99], v[76:83], v[100:107]
	v_or_b32_e32 v84, 12, v68
	v_dual_mul_f32 v78, s19, v123 :: v_dual_mul_f32 v83, s19, v118
	v_dual_mul_f32 v92, s19, v117 :: v_dual_mul_f32 v93, s19, v116
	s_delay_alu instid0(VALU_DEP_4) | instskip(SKIP_2) | instid1(VALU_DEP_4)
	v_mul_f32_e32 v94, s19, v107
	v_cmp_gt_i32_e32 vcc_lo, s24, v70
	v_dual_mul_f32 v81, s19, v120 :: v_dual_mul_f32 v82, s19, v119
	v_cndmask_b32_e64 v93, 0xff7fffff, v93, s3
	v_or_b32_e32 v85, 14, v68
	v_cndmask_b32_e32 v92, 0xff7fffff, v92, vcc_lo
	v_dual_mul_f32 v79, s19, v122 :: v_dual_mul_f32 v80, s19, v121
	v_cndmask_b32_e64 v71, 0xff7fffff, v83, s4
	v_cndmask_b32_e64 v72, 0xff7fffff, v82, s5
	s_delay_alu instid0(VALU_DEP_4)
	v_max3_f32 v82, v93, 0xff7fffff, v92
	v_or_b32_e32 v86, 16, v68
	v_or_b32_e32 v87, 18, v68
	v_cndmask_b32_e64 v81, 0xff7fffff, v81, s6
	v_cndmask_b32_e64 v80, 0xff7fffff, v80, s7
	v_max3_f32 v71, v82, v71, v72
	v_cmp_gt_i32_e64 s8, s24, v84
	v_cmp_gt_i32_e64 s9, s24, v85
	v_or_b32_e32 v88, 20, v68
	v_or_b32_e32 v89, 22, v68
	;; [unrolled: 1-line block ×6, first 2 shown]
	v_dual_mul_f32 v99, s19, v102 :: v_dual_mul_f32 v70, s19, v101
	v_mul_f32_e32 v68, s19, v100
	v_cndmask_b32_e64 v72, 0xff7fffff, v79, s8
	v_cndmask_b32_e64 v78, 0xff7fffff, v78, s9
	v_max3_f32 v71, v71, v81, v80
	v_cmp_gt_i32_e64 s10, s24, v86
	v_cmp_gt_i32_e64 s11, s24, v87
	v_dual_mul_f32 v97, s19, v104 :: v_dual_mul_f32 v98, s19, v103
	s_delay_alu instid0(VALU_DEP_4) | instskip(SKIP_1) | instid1(VALU_DEP_4)
	v_max3_f32 v71, v71, v72, v78
	v_cmp_gt_i32_e64 s12, s24, v88
	v_cndmask_b32_e64 v70, 0xff7fffff, v70, s11
	v_cmp_gt_i32_e64 s13, s24, v89
	v_lshlrev_b32_e32 v89, 2, v69
	v_cndmask_b32_e64 v68, 0xff7fffff, v68, s10
	v_dual_mul_f32 v95, s19, v106 :: v_dual_mul_f32 v96, s19, v105
	v_cndmask_b32_e64 v72, 0xff7fffff, v99, s12
	v_cndmask_b32_e64 v78, 0xff7fffff, v98, s13
	s_delay_alu instid0(VALU_DEP_4)
	v_max3_f32 v68, v71, v68, v70
	v_cmp_gt_i32_e64 s15, s24, v90
	v_cmp_gt_i32_e64 s16, s24, v91
	;; [unrolled: 1-line block ×4, first 2 shown]
	v_max3_f32 v68, v68, v72, v78
	v_cndmask_b32_e64 v70, 0xff7fffff, v97, s15
	v_cndmask_b32_e64 v71, 0xff7fffff, v96, s16
	;; [unrolled: 1-line block ×4, first 2 shown]
	s_delay_alu instid0(VALU_DEP_3) | instskip(NEXT) | instid1(VALU_DEP_1)
	v_max3_f32 v68, v68, v70, v71
	v_max3_f32 v68, v68, v72, v76
	ds_bpermute_b32 v69, v89, v68
	s_waitcnt lgkmcnt(0)
	v_max_f32_e32 v69, v69, v69
	s_delay_alu instid0(VALU_DEP_1) | instskip(NEXT) | instid1(VALU_DEP_1)
	v_max_f32_e32 v68, v68, v69
	v_fma_f32 v71, s19, v118, -v68
	s_delay_alu instid0(VALU_DEP_1)
	v_mul_f32_e32 v71, 0x3fb8aa3b, v71
	v_fma_f32 v69, s19, v116, -v68
	v_fma_f32 v70, s19, v117, -v68
	;; [unrolled: 1-line block ×4, first 2 shown]
	v_exp_f32_e32 v71, v71
	s_delay_alu instid0(VALU_DEP_3) | instskip(SKIP_2) | instid1(VALU_DEP_3)
	v_dual_mul_f32 v69, 0x3fb8aa3b, v69 :: v_dual_mul_f32 v70, 0x3fb8aa3b, v70
	v_fma_f32 v78, s19, v122, -v68
	v_fma_f32 v81, s19, v105, -v68
	v_exp_f32_e32 v69, v69
	s_delay_alu instid0(VALU_DEP_3) | instskip(SKIP_1) | instid1(VALU_DEP_2)
	v_exp_f32_e32 v70, v70
	v_mul_f32_e32 v77, 0x3fb8aa3b, v76
	v_mul_f32_e32 v81, 0x3fb8aa3b, v81
	s_delay_alu instid0(TRANS32_DEP_3) | instskip(SKIP_1) | instid1(VALU_DEP_3)
	v_cndmask_b32_e64 v83, 0, v71, s4
	v_fma_f32 v71, s19, v123, -v68
	v_exp_f32_e32 v81, v81
	s_delay_alu instid0(TRANS32_DEP_3) | instskip(NEXT) | instid1(TRANS32_DEP_2)
	v_cndmask_b32_e64 v80, 0, v69, s3
	v_cndmask_b32_e32 v76, 0, v70, vcc_lo
	v_fma_f32 v69, s19, v121, -v68
	v_mul_f32_e32 v72, 0x3fb8aa3b, v72
	v_exp_f32_e32 v77, v77
	v_dual_add_f32 v70, 0, v80 :: v_dual_mul_f32 v71, 0x3fb8aa3b, v71
	s_delay_alu instid0(VALU_DEP_3) | instskip(NEXT) | instid1(VALU_DEP_3)
	v_mul_f32_e32 v69, 0x3fb8aa3b, v69
	v_exp_f32_e32 v72, v72
	s_mov_b32 s3, exec_lo
	s_delay_alu instid0(VALU_DEP_2) | instskip(NEXT) | instid1(VALU_DEP_1)
	v_exp_f32_e32 v71, v71
	v_exp_f32_e32 v69, v69
	v_cndmask_b32_e64 v86, 0, v77, s6
	v_fma_f32 v77, s19, v101, -v68
	v_add_f32_e32 v70, v70, v76
	s_delay_alu instid0(TRANS32_DEP_3) | instskip(SKIP_1) | instid1(VALU_DEP_3)
	v_cndmask_b32_e64 v85, 0, v72, s5
	v_fma_f32 v72, s19, v100, -v68
	v_dual_mul_f32 v77, 0x3fb8aa3b, v77 :: v_dual_add_f32 v70, v70, v83
	s_delay_alu instid0(TRANS32_DEP_2) | instskip(SKIP_1) | instid1(TRANS32_DEP_1)
	v_cndmask_b32_e64 v88, 0, v71, s9
	v_fma_f32 v71, s19, v104, -v68
	v_cndmask_b32_e64 v87, 0, v69, s7
	s_delay_alu instid0(VALU_DEP_4) | instskip(NEXT) | instid1(VALU_DEP_2)
	v_exp_f32_e32 v77, v77
	v_dual_add_f32 v70, v70, v85 :: v_dual_mul_f32 v71, 0x3fb8aa3b, v71
	s_delay_alu instid0(VALU_DEP_1) | instskip(SKIP_2) | instid1(VALU_DEP_3)
	v_dual_mul_f32 v72, 0x3fb8aa3b, v72 :: v_dual_add_f32 v69, v70, v86
	v_mul_f32_e32 v78, 0x3fb8aa3b, v78
	v_fma_f32 v70, s19, v102, -v68
	v_exp_f32_e32 v72, v72
	v_exp_f32_e32 v82, v71
	v_add_f32_e32 v69, v69, v87
	v_exp_f32_e32 v78, v78
	v_mul_f32_e32 v70, 0x3fb8aa3b, v70
	s_delay_alu instid0(VALU_DEP_1) | instskip(SKIP_4) | instid1(VALU_DEP_2)
	v_exp_f32_e32 v79, v70
	v_cndmask_b32_e64 v70, 0, v72, s10
	s_waitcnt_depctr 0xfff
	v_cndmask_b32_e64 v84, 0, v78, s8
	v_fma_f32 v78, s19, v103, -v68
	v_add_f32_e32 v69, v69, v84
	v_cndmask_b32_e64 v71, 0, v79, s12
	s_delay_alu instid0(VALU_DEP_2) | instskip(SKIP_2) | instid1(VALU_DEP_1)
	v_add_f32_e32 v72, v69, v88
	v_cndmask_b32_e64 v69, 0, v77, s11
	v_fma_f32 v77, s19, v106, -v68
	v_dual_mul_f32 v77, 0x3fb8aa3b, v77 :: v_dual_add_f32 v72, v72, v70
	v_mul_f32_e32 v78, 0x3fb8aa3b, v78
	s_delay_alu instid0(VALU_DEP_2) | instskip(NEXT) | instid1(VALU_DEP_2)
	v_exp_f32_e32 v90, v77
	v_add_f32_e32 v79, v72, v69
	s_delay_alu instid0(VALU_DEP_2)
	v_exp_f32_e32 v78, v78
	v_cndmask_b32_e64 v77, 0, v82, s15
	s_waitcnt_depctr 0xfff
	v_cndmask_b32_e64 v72, 0, v78, s13
	v_add_f32_e32 v78, v79, v71
	v_fma_f32 v79, s19, v107, -v68
	s_delay_alu instid0(VALU_DEP_1) | instskip(SKIP_1) | instid1(VALU_DEP_2)
	v_dual_add_f32 v82, v78, v72 :: v_dual_mul_f32 v79, 0x3fb8aa3b, v79
	v_cndmask_b32_e64 v78, 0, v81, s16
	v_add_f32_e32 v81, v82, v77
	s_delay_alu instid0(VALU_DEP_3) | instskip(SKIP_1) | instid1(VALU_DEP_2)
	v_exp_f32_e32 v82, v79
	v_cndmask_b32_e64 v79, 0, v90, s17
	v_add_f32_e32 v81, v81, v78
	s_delay_alu instid0(VALU_DEP_1) | instskip(SKIP_2) | instid1(VALU_DEP_1)
	v_add_f32_e32 v90, v81, v79
	s_waitcnt_depctr 0xfff
	v_cndmask_b32_e64 v81, 0, v82, s18
	v_add_f32_e32 v82, v90, v81
	ds_bpermute_b32 v89, v89, v82
	v_cmpx_gt_u32_e32 16, v67
	s_cbranch_execz .LBB1485_12
; %bb.11:
	v_mul_u32_u24_e32 v67, 0x44, v65
	s_delay_alu instid0(VALU_DEP_1) | instskip(SKIP_1) | instid1(VALU_DEP_1)
	v_lshl_add_u32 v67, v66, 2, v67
	s_waitcnt lgkmcnt(0)
	v_dual_add_f32 v82, v82, v89 :: v_dual_add_nc_u32 v67, 0x4000, v67
	ds_store_2addr_b32 v67, v68, v82 offset1:136
.LBB1485_12:
	s_or_b32 exec_lo, exec_lo, s3
	v_lshlrev_b32_e32 v67, 2, v66
	s_waitcnt lgkmcnt(0)
	s_barrier
	buffer_gl0_inv
	v_cmp_eq_u32_e32 vcc_lo, 1, v65
	v_add_nc_u32_e32 v82, 0x4000, v67
	v_cmp_eq_u32_e64 s3, 2, v65
	v_cmp_eq_u32_e64 s5, 7, v65
	ds_load_2addr_b32 v[89:90], v82 offset1:17
	ds_load_2addr_b32 v[91:92], v82 offset0:34 offset1:51
	ds_load_2addr_b32 v[93:94], v82 offset0:68 offset1:85
	;; [unrolled: 1-line block ×4, first 2 shown]
	s_waitcnt lgkmcnt(4)
	v_max3_f32 v67, v89, 0xff7fffff, v90
	s_waitcnt lgkmcnt(3)
	s_delay_alu instid0(VALU_DEP_1) | instskip(SKIP_1) | instid1(VALU_DEP_1)
	v_max3_f32 v67, v67, v91, v92
	s_waitcnt lgkmcnt(2)
	v_max3_f32 v67, v67, v93, v94
	s_waitcnt lgkmcnt(1)
	s_delay_alu instid0(VALU_DEP_1) | instskip(NEXT) | instid1(VALU_DEP_1)
	v_max3_f32 v67, v67, v95, v96
	v_sub_f32_e32 v93, v93, v67
	s_delay_alu instid0(VALU_DEP_1) | instskip(NEXT) | instid1(VALU_DEP_1)
	v_dual_sub_f32 v68, v89, v67 :: v_dual_mul_f32 v103, 0x3fb8aa3b, v93
	v_mul_f32_e32 v68, 0x3fb8aa3b, v68
	s_delay_alu instid0(VALU_DEP_1)
	v_exp_f32_e32 v100, v68
	v_sub_f32_e32 v68, v92, v67
	v_sub_f32_e32 v99, v90, v67
	ds_load_2addr_b32 v[89:90], v82 offset0:170 offset1:187
	v_dual_mul_f32 v102, 0x3fb8aa3b, v68 :: v_dual_mul_f32 v99, 0x3fb8aa3b, v99
	s_waitcnt lgkmcnt(1)
	v_fma_f32 v68, v100, v97, 0
	s_delay_alu instid0(VALU_DEP_2) | instskip(NEXT) | instid1(VALU_DEP_2)
	v_exp_f32_e32 v102, v102
	v_exp_f32_e32 v99, v99
	s_waitcnt_depctr 0xfff
	v_fmac_f32_e32 v68, v99, v98
	v_sub_f32_e32 v91, v91, v67
	s_delay_alu instid0(VALU_DEP_1)
	v_mul_f32_e32 v101, 0x3fb8aa3b, v91
	ds_load_2addr_b32 v[91:92], v82 offset0:204 offset1:221
	v_sub_f32_e32 v97, v94, v67
	ds_load_2addr_b32 v[93:94], v82 offset0:238 offset1:255
	s_waitcnt lgkmcnt(0)
	v_exp_f32_e32 v101, v101
	s_barrier
	buffer_gl0_inv
	v_dual_fmac_f32 v68, v101, v89 :: v_dual_sub_f32 v89, v96, v67
	v_dual_sub_f32 v82, v95, v67 :: v_dual_mul_f32 v95, 0x3fb8aa3b, v97
	v_exp_f32_e32 v97, v103
	s_delay_alu instid0(VALU_DEP_2) | instskip(NEXT) | instid1(VALU_DEP_2)
	v_dual_fmac_f32 v68, v102, v90 :: v_dual_mul_f32 v89, 0x3fb8aa3b, v89
	v_mul_f32_e32 v82, 0x3fb8aa3b, v82
	s_delay_alu instid0(VALU_DEP_3) | instskip(NEXT) | instid1(VALU_DEP_2)
	v_exp_f32_e32 v95, v95
	v_exp_f32_e32 v89, v89
	s_delay_alu instid0(VALU_DEP_1)
	v_exp_f32_e32 v82, v82
	v_fmac_f32_e32 v68, v97, v91
	s_delay_alu instid0(TRANS32_DEP_3) | instid1(VALU_DEP_1)
	v_fmac_f32_e32 v68, v95, v92
	s_waitcnt_depctr 0xfff
	v_fmac_f32_e32 v68, v82, v93
	s_delay_alu instid0(VALU_DEP_1) | instskip(NEXT) | instid1(VALU_DEP_1)
	v_fmac_f32_e32 v68, v89, v94
	v_add_f32_e32 v90, 0x358637bd, v68
	s_delay_alu instid0(VALU_DEP_1) | instskip(NEXT) | instid1(VALU_DEP_1)
	v_div_scale_f32 v91, null, v90, v90, 1.0
	v_rcp_f32_e32 v92, v91
	s_waitcnt_depctr 0xfff
	v_fma_f32 v93, -v91, v92, 1.0
	s_delay_alu instid0(VALU_DEP_1) | instskip(SKIP_1) | instid1(VALU_DEP_2)
	v_dual_fmac_f32 v92, v93, v92 :: v_dual_cndmask_b32 v93, v100, v99
	v_cmp_eq_u32_e32 vcc_lo, 3, v65
	v_cndmask_b32_e64 v93, v93, v101, s3
	v_cmp_eq_u32_e64 s3, 4, v65
	s_delay_alu instid0(VALU_DEP_2) | instskip(SKIP_1) | instid1(VALU_DEP_2)
	v_cndmask_b32_e32 v93, v93, v102, vcc_lo
	v_cmp_eq_u32_e32 vcc_lo, 5, v65
	v_cndmask_b32_e64 v93, v93, v97, s3
	v_cmp_eq_u32_e64 s3, 6, v65
	s_delay_alu instid0(VALU_DEP_2) | instskip(SKIP_1) | instid1(VALU_DEP_1)
	v_cndmask_b32_e32 v93, v93, v95, vcc_lo
	v_div_scale_f32 v94, s4, 1.0, v90, 1.0
	s_mov_b32 vcc_lo, s4
	s_delay_alu instid0(VALU_DEP_2) | instskip(NEXT) | instid1(VALU_DEP_2)
	v_cndmask_b32_e64 v82, v93, v82, s3
	v_mul_f32_e32 v96, v94, v92
	s_mov_b32 s3, exec_lo
	s_delay_alu instid0(VALU_DEP_2) | instskip(NEXT) | instid1(VALU_DEP_2)
	v_cndmask_b32_e64 v82, v82, v89, s5
	v_fma_f32 v98, -v91, v96, v94
	s_delay_alu instid0(VALU_DEP_1) | instskip(NEXT) | instid1(VALU_DEP_1)
	v_fmac_f32_e32 v96, v98, v92
	v_fma_f32 v91, -v91, v96, v94
	s_delay_alu instid0(VALU_DEP_1) | instskip(NEXT) | instid1(VALU_DEP_1)
	v_div_fmas_f32 v91, v91, v92, v96
	v_div_fixup_f32 v90, v91, v90, 1.0
	s_delay_alu instid0(VALU_DEP_1) | instskip(NEXT) | instid1(VALU_DEP_1)
	v_mul_f32_e32 v82, v82, v90
	v_mul_f32_e32 v87, v82, v87
	;; [unrolled: 1-line block ×7, first 2 shown]
	v_dual_mul_f32 v86, v82, v83 :: v_dual_and_b32 v91, 0x7f800000, v90
	v_mul_f32_e32 v85, v82, v76
                                        ; implicit-def: $vgpr76
	s_delay_alu instid0(VALU_DEP_2)
	v_cmpx_ne_u32_e32 0x7f800000, v91
	s_xor_b32 s3, exec_lo, s3
; %bb.13:
	v_bfe_u32 v76, v90, 16, 1
	s_delay_alu instid0(VALU_DEP_1)
	v_add3_u32 v76, v90, v76, 0x7fff
                                        ; implicit-def: $vgpr90
; %bb.14:
	s_and_not1_saveexec_b32 s3, s3
; %bb.15:
	v_and_b32_e32 v76, 0xffff, v90
	v_or_b32_e32 v83, 0x10000, v90
	s_delay_alu instid0(VALU_DEP_2) | instskip(NEXT) | instid1(VALU_DEP_2)
	v_cmp_eq_u32_e32 vcc_lo, 0, v76
	v_cndmask_b32_e32 v76, v83, v90, vcc_lo
; %bb.16:
	s_or_b32 exec_lo, exec_lo, s3
	v_and_b32_e32 v83, 0x7f800000, v85
	s_delay_alu instid0(VALU_DEP_1) | instskip(SKIP_1) | instid1(SALU_CYCLE_1)
	v_cmp_ne_u32_e32 vcc_lo, 0x7f800000, v83
                                        ; implicit-def: $vgpr83
	s_and_saveexec_b32 s3, vcc_lo
	s_xor_b32 s3, exec_lo, s3
; %bb.17:
	v_bfe_u32 v83, v85, 16, 1
	s_delay_alu instid0(VALU_DEP_1)
	v_add3_u32 v83, v85, v83, 0x7fff
                                        ; implicit-def: $vgpr85
; %bb.18:
	s_and_not1_saveexec_b32 s3, s3
; %bb.19:
	v_and_b32_e32 v83, 0xffff, v85
	v_or_b32_e32 v90, 0x10000, v85
	s_delay_alu instid0(VALU_DEP_2) | instskip(NEXT) | instid1(VALU_DEP_2)
	v_cmp_eq_u32_e32 vcc_lo, 0, v83
	v_cndmask_b32_e32 v83, v90, v85, vcc_lo
; %bb.20:
	s_or_b32 exec_lo, exec_lo, s3
	v_and_b32_e32 v85, 0x7f800000, v86
	s_delay_alu instid0(VALU_DEP_1) | instskip(SKIP_1) | instid1(SALU_CYCLE_1)
	v_cmp_ne_u32_e32 vcc_lo, 0x7f800000, v85
                                        ; implicit-def: $vgpr85
	s_and_saveexec_b32 s3, vcc_lo
	s_xor_b32 s3, exec_lo, s3
; %bb.21:
	v_bfe_u32 v85, v86, 16, 1
	s_delay_alu instid0(VALU_DEP_1)
	v_add3_u32 v85, v86, v85, 0x7fff
                                        ; implicit-def: $vgpr86
; %bb.22:
	s_and_not1_saveexec_b32 s3, s3
; %bb.23:
	v_and_b32_e32 v85, 0xffff, v86
	v_or_b32_e32 v90, 0x10000, v86
	s_delay_alu instid0(VALU_DEP_2) | instskip(NEXT) | instid1(VALU_DEP_2)
	v_cmp_eq_u32_e32 vcc_lo, 0, v85
	v_cndmask_b32_e32 v85, v90, v86, vcc_lo
; %bb.24:
	s_or_b32 exec_lo, exec_lo, s3
	v_and_b32_e32 v86, 0x7f800000, v89
	s_delay_alu instid0(VALU_DEP_1) | instskip(SKIP_1) | instid1(SALU_CYCLE_1)
	v_cmp_ne_u32_e32 vcc_lo, 0x7f800000, v86
                                        ; implicit-def: $vgpr86
	s_and_saveexec_b32 s3, vcc_lo
	s_xor_b32 s3, exec_lo, s3
; %bb.25:
	v_bfe_u32 v86, v89, 16, 1
	s_delay_alu instid0(VALU_DEP_1)
	v_add3_u32 v86, v89, v86, 0x7fff
                                        ; implicit-def: $vgpr89
; %bb.26:
	s_and_not1_saveexec_b32 s3, s3
; %bb.27:
	v_and_b32_e32 v86, 0xffff, v89
	v_or_b32_e32 v90, 0x10000, v89
	s_delay_alu instid0(VALU_DEP_2) | instskip(NEXT) | instid1(VALU_DEP_2)
	v_cmp_eq_u32_e32 vcc_lo, 0, v86
	v_cndmask_b32_e32 v86, v90, v89, vcc_lo
; %bb.28:
	s_or_b32 exec_lo, exec_lo, s3
	v_and_b32_e32 v89, 0x7f800000, v88
	s_delay_alu instid0(VALU_DEP_1) | instskip(SKIP_1) | instid1(SALU_CYCLE_1)
	v_cmp_ne_u32_e32 vcc_lo, 0x7f800000, v89
                                        ; implicit-def: $vgpr89
	s_and_saveexec_b32 s3, vcc_lo
	s_xor_b32 s3, exec_lo, s3
; %bb.29:
	v_bfe_u32 v89, v88, 16, 1
	s_delay_alu instid0(VALU_DEP_1)
	v_add3_u32 v89, v88, v89, 0x7fff
                                        ; implicit-def: $vgpr88
; %bb.30:
	s_and_not1_saveexec_b32 s3, s3
; %bb.31:
	v_and_b32_e32 v89, 0xffff, v88
	v_or_b32_e32 v90, 0x10000, v88
	s_delay_alu instid0(VALU_DEP_2) | instskip(NEXT) | instid1(VALU_DEP_2)
	v_cmp_eq_u32_e32 vcc_lo, 0, v89
	v_cndmask_b32_e32 v89, v90, v88, vcc_lo
; %bb.32:
	s_or_b32 exec_lo, exec_lo, s3
	v_and_b32_e32 v88, 0x7f800000, v87
	s_delay_alu instid0(VALU_DEP_1) | instskip(SKIP_1) | instid1(SALU_CYCLE_1)
	v_cmp_ne_u32_e32 vcc_lo, 0x7f800000, v88
                                        ; implicit-def: $vgpr88
	s_and_saveexec_b32 s3, vcc_lo
	s_xor_b32 s3, exec_lo, s3
; %bb.33:
	v_bfe_u32 v88, v87, 16, 1
	s_delay_alu instid0(VALU_DEP_1)
	v_add3_u32 v88, v87, v88, 0x7fff
                                        ; implicit-def: $vgpr87
; %bb.34:
	s_and_not1_saveexec_b32 s3, s3
; %bb.35:
	v_and_b32_e32 v88, 0xffff, v87
	v_or_b32_e32 v90, 0x10000, v87
	s_delay_alu instid0(VALU_DEP_2) | instskip(NEXT) | instid1(VALU_DEP_2)
	v_cmp_eq_u32_e32 vcc_lo, 0, v88
	v_cndmask_b32_e32 v88, v90, v87, vcc_lo
; %bb.36:
	s_or_b32 exec_lo, exec_lo, s3
	v_and_b32_e32 v87, 0x7f800000, v84
	s_delay_alu instid0(VALU_DEP_1) | instskip(SKIP_1) | instid1(SALU_CYCLE_1)
	v_cmp_ne_u32_e32 vcc_lo, 0x7f800000, v87
                                        ; implicit-def: $vgpr87
	s_and_saveexec_b32 s3, vcc_lo
	s_xor_b32 s3, exec_lo, s3
; %bb.37:
	v_bfe_u32 v87, v84, 16, 1
	s_delay_alu instid0(VALU_DEP_1)
	v_add3_u32 v87, v84, v87, 0x7fff
                                        ; implicit-def: $vgpr84
; %bb.38:
	s_and_not1_saveexec_b32 s3, s3
; %bb.39:
	v_and_b32_e32 v87, 0xffff, v84
	v_or_b32_e32 v90, 0x10000, v84
	s_delay_alu instid0(VALU_DEP_2) | instskip(NEXT) | instid1(VALU_DEP_2)
	v_cmp_eq_u32_e32 vcc_lo, 0, v87
	v_cndmask_b32_e32 v87, v90, v84, vcc_lo
; %bb.40:
	s_or_b32 exec_lo, exec_lo, s3
	v_and_b32_e32 v84, 0x7f800000, v80
	s_delay_alu instid0(VALU_DEP_1) | instskip(SKIP_1) | instid1(SALU_CYCLE_1)
	v_cmp_ne_u32_e32 vcc_lo, 0x7f800000, v84
                                        ; implicit-def: $vgpr84
	s_and_saveexec_b32 s3, vcc_lo
	s_xor_b32 s3, exec_lo, s3
; %bb.41:
	v_bfe_u32 v84, v80, 16, 1
	s_delay_alu instid0(VALU_DEP_1)
	v_add3_u32 v84, v80, v84, 0x7fff
                                        ; implicit-def: $vgpr80
; %bb.42:
	s_and_not1_saveexec_b32 s3, s3
; %bb.43:
	v_and_b32_e32 v84, 0xffff, v80
	v_or_b32_e32 v90, 0x10000, v80
	s_delay_alu instid0(VALU_DEP_2) | instskip(NEXT) | instid1(VALU_DEP_2)
	v_cmp_eq_u32_e32 vcc_lo, 0, v84
	v_cndmask_b32_e32 v84, v90, v80, vcc_lo
; %bb.44:
	s_or_b32 exec_lo, exec_lo, s3
	s_load_b64 s[34:35], s[0:1], 0x94
	v_lshlrev_b32_e32 v91, 4, v75
	s_delay_alu instid0(VALU_DEP_2)
	v_perm_b32 v90, v84, v87, 0x7060302
	v_dual_mul_f32 v77, v82, v77 :: v_dual_lshlrev_b32 v80, 6, v66
	v_lshlrev_b32_e32 v66, 11, v65
	v_perm_b32 v87, v83, v76, 0x7060302
	v_mul_f32_e32 v83, v82, v70
	v_perm_b32 v89, v88, v89, 0x7060302
	v_perm_b32 v88, v86, v85, 0x7060302
	v_or3_b32 v76, v91, v66, v80
	v_mul_f32_e32 v66, v82, v81
	v_mul_f32_e32 v70, v82, v79
	;; [unrolled: 1-line block ×3, first 2 shown]
	v_dual_mul_f32 v81, v82, v72 :: v_dual_and_b32 v84, 0x7f800000, v83
	v_mul_f32_e32 v79, v82, v71
	v_mul_f32_e32 v72, v82, v69
	s_mov_b32 s3, exec_lo
	ds_store_b128 v76, v[87:90]
                                        ; implicit-def: $vgpr69
	v_cmpx_ne_u32_e32 0x7f800000, v84
	s_xor_b32 s3, exec_lo, s3
; %bb.45:
	v_bfe_u32 v69, v83, 16, 1
	s_delay_alu instid0(VALU_DEP_1)
	v_add3_u32 v69, v83, v69, 0x7fff
                                        ; implicit-def: $vgpr83
; %bb.46:
	s_and_not1_saveexec_b32 s3, s3
; %bb.47:
	v_and_b32_e32 v69, 0xffff, v83
	v_or_b32_e32 v71, 0x10000, v83
	s_delay_alu instid0(VALU_DEP_2) | instskip(NEXT) | instid1(VALU_DEP_2)
	v_cmp_eq_u32_e32 vcc_lo, 0, v69
	v_cndmask_b32_e32 v69, v71, v83, vcc_lo
; %bb.48:
	s_or_b32 exec_lo, exec_lo, s3
	v_and_b32_e32 v71, 0x7f800000, v72
	s_delay_alu instid0(VALU_DEP_1) | instskip(SKIP_1) | instid1(SALU_CYCLE_1)
	v_cmp_ne_u32_e32 vcc_lo, 0x7f800000, v71
                                        ; implicit-def: $vgpr71
	s_and_saveexec_b32 s3, vcc_lo
	s_xor_b32 s3, exec_lo, s3
; %bb.49:
	v_bfe_u32 v71, v72, 16, 1
	s_delay_alu instid0(VALU_DEP_1)
	v_add3_u32 v71, v72, v71, 0x7fff
                                        ; implicit-def: $vgpr72
; %bb.50:
	s_and_not1_saveexec_b32 s3, s3
; %bb.51:
	v_and_b32_e32 v71, 0xffff, v72
	v_or_b32_e32 v82, 0x10000, v72
	s_delay_alu instid0(VALU_DEP_2) | instskip(NEXT) | instid1(VALU_DEP_2)
	v_cmp_eq_u32_e32 vcc_lo, 0, v71
	v_cndmask_b32_e32 v71, v82, v72, vcc_lo
; %bb.52:
	s_or_b32 exec_lo, exec_lo, s3
	v_and_b32_e32 v72, 0x7f800000, v79
	s_delay_alu instid0(VALU_DEP_1) | instskip(SKIP_1) | instid1(SALU_CYCLE_1)
	v_cmp_ne_u32_e32 vcc_lo, 0x7f800000, v72
                                        ; implicit-def: $vgpr72
	s_and_saveexec_b32 s3, vcc_lo
	s_xor_b32 s3, exec_lo, s3
; %bb.53:
	v_bfe_u32 v72, v79, 16, 1
	s_delay_alu instid0(VALU_DEP_1)
	v_add3_u32 v72, v79, v72, 0x7fff
                                        ; implicit-def: $vgpr79
; %bb.54:
	s_and_not1_saveexec_b32 s3, s3
; %bb.55:
	v_and_b32_e32 v72, 0xffff, v79
	v_or_b32_e32 v82, 0x10000, v79
	s_delay_alu instid0(VALU_DEP_2) | instskip(NEXT) | instid1(VALU_DEP_2)
	v_cmp_eq_u32_e32 vcc_lo, 0, v72
	v_cndmask_b32_e32 v72, v82, v79, vcc_lo
; %bb.56:
	s_or_b32 exec_lo, exec_lo, s3
	v_and_b32_e32 v79, 0x7f800000, v81
	s_delay_alu instid0(VALU_DEP_1) | instskip(SKIP_1) | instid1(SALU_CYCLE_1)
	v_cmp_ne_u32_e32 vcc_lo, 0x7f800000, v79
                                        ; implicit-def: $vgpr79
	s_and_saveexec_b32 s3, vcc_lo
	s_xor_b32 s3, exec_lo, s3
; %bb.57:
	v_bfe_u32 v79, v81, 16, 1
	s_delay_alu instid0(VALU_DEP_1)
	v_add3_u32 v79, v81, v79, 0x7fff
                                        ; implicit-def: $vgpr81
; %bb.58:
	s_and_not1_saveexec_b32 s3, s3
; %bb.59:
	v_and_b32_e32 v79, 0xffff, v81
	v_or_b32_e32 v82, 0x10000, v81
	s_delay_alu instid0(VALU_DEP_2) | instskip(NEXT) | instid1(VALU_DEP_2)
	v_cmp_eq_u32_e32 vcc_lo, 0, v79
	v_cndmask_b32_e32 v79, v82, v81, vcc_lo
; %bb.60:
	s_or_b32 exec_lo, exec_lo, s3
	v_and_b32_e32 v81, 0x7f800000, v77
	s_delay_alu instid0(VALU_DEP_1) | instskip(SKIP_1) | instid1(SALU_CYCLE_1)
	v_cmp_ne_u32_e32 vcc_lo, 0x7f800000, v81
                                        ; implicit-def: $vgpr81
	s_and_saveexec_b32 s3, vcc_lo
	s_xor_b32 s3, exec_lo, s3
; %bb.61:
	v_bfe_u32 v81, v77, 16, 1
	s_delay_alu instid0(VALU_DEP_1)
	v_add3_u32 v81, v77, v81, 0x7fff
                                        ; implicit-def: $vgpr77
; %bb.62:
	s_and_not1_saveexec_b32 s3, s3
; %bb.63:
	v_and_b32_e32 v81, 0xffff, v77
	v_or_b32_e32 v82, 0x10000, v77
	s_delay_alu instid0(VALU_DEP_2) | instskip(NEXT) | instid1(VALU_DEP_2)
	v_cmp_eq_u32_e32 vcc_lo, 0, v81
	v_cndmask_b32_e32 v81, v82, v77, vcc_lo
; %bb.64:
	s_or_b32 exec_lo, exec_lo, s3
	v_and_b32_e32 v77, 0x7f800000, v78
	s_delay_alu instid0(VALU_DEP_1) | instskip(SKIP_1) | instid1(SALU_CYCLE_1)
	v_cmp_ne_u32_e32 vcc_lo, 0x7f800000, v77
                                        ; implicit-def: $vgpr77
	s_and_saveexec_b32 s3, vcc_lo
	s_xor_b32 s3, exec_lo, s3
; %bb.65:
	v_bfe_u32 v77, v78, 16, 1
	s_delay_alu instid0(VALU_DEP_1)
	v_add3_u32 v77, v78, v77, 0x7fff
                                        ; implicit-def: $vgpr78
; %bb.66:
	s_and_not1_saveexec_b32 s3, s3
; %bb.67:
	v_and_b32_e32 v77, 0xffff, v78
	v_or_b32_e32 v82, 0x10000, v78
	s_delay_alu instid0(VALU_DEP_2) | instskip(NEXT) | instid1(VALU_DEP_2)
	v_cmp_eq_u32_e32 vcc_lo, 0, v77
	v_cndmask_b32_e32 v77, v82, v78, vcc_lo
; %bb.68:
	s_or_b32 exec_lo, exec_lo, s3
	v_and_b32_e32 v78, 0x7f800000, v70
	s_delay_alu instid0(VALU_DEP_1) | instskip(SKIP_1) | instid1(SALU_CYCLE_1)
	v_cmp_ne_u32_e32 vcc_lo, 0x7f800000, v78
                                        ; implicit-def: $vgpr78
	s_and_saveexec_b32 s3, vcc_lo
	s_xor_b32 s3, exec_lo, s3
; %bb.69:
	v_bfe_u32 v78, v70, 16, 1
	s_delay_alu instid0(VALU_DEP_1)
	v_add3_u32 v78, v70, v78, 0x7fff
                                        ; implicit-def: $vgpr70
; %bb.70:
	s_and_not1_saveexec_b32 s3, s3
; %bb.71:
	v_and_b32_e32 v78, 0xffff, v70
	v_or_b32_e32 v82, 0x10000, v70
	s_delay_alu instid0(VALU_DEP_2) | instskip(NEXT) | instid1(VALU_DEP_2)
	v_cmp_eq_u32_e32 vcc_lo, 0, v78
	v_cndmask_b32_e32 v78, v82, v70, vcc_lo
; %bb.72:
	s_or_b32 exec_lo, exec_lo, s3
	v_and_b32_e32 v70, 0x7f800000, v66
	s_delay_alu instid0(VALU_DEP_1) | instskip(SKIP_1) | instid1(SALU_CYCLE_1)
	v_cmp_ne_u32_e32 vcc_lo, 0x7f800000, v70
                                        ; implicit-def: $vgpr70
	s_and_saveexec_b32 s3, vcc_lo
	s_xor_b32 s3, exec_lo, s3
; %bb.73:
	v_bfe_u32 v70, v66, 16, 1
	s_delay_alu instid0(VALU_DEP_1)
	v_add3_u32 v70, v66, v70, 0x7fff
                                        ; implicit-def: $vgpr66
; %bb.74:
	s_and_not1_saveexec_b32 s3, s3
; %bb.75:
	v_and_b32_e32 v70, 0xffff, v66
	v_or_b32_e32 v82, 0x10000, v66
	s_delay_alu instid0(VALU_DEP_2) | instskip(NEXT) | instid1(VALU_DEP_2)
	v_cmp_eq_u32_e32 vcc_lo, 0, v70
	v_cndmask_b32_e32 v70, v82, v66, vcc_lo
; %bb.76:
	s_or_b32 exec_lo, exec_lo, s3
	s_delay_alu instid0(VALU_DEP_1)
	v_perm_b32 v86, v70, v78, 0x7060302
	v_perm_b32 v85, v77, v81, 0x7060302
	;; [unrolled: 1-line block ×4, first 2 shown]
	v_lshl_or_b32 v82, v65, 11, v80
	ds_store_b128 v76, v[83:86] offset:1024
	s_waitcnt lgkmcnt(0)
	s_barrier
	buffer_gl0_inv
	ds_load_b128 v[69:72], v82
	ds_load_b128 v[83:86], v82 offset:16
	s_waitcnt lgkmcnt(1)
	v_lshrrev_b32_e32 v65, 16, v69
	v_lshlrev_b32_e32 v78, 2, v75
	s_waitcnt lgkmcnt(0)
	v_lshrrev_b32_e32 v91, 16, v83
	v_lshrrev_b32_e32 v66, 16, v70
	;; [unrolled: 1-line block ×4, first 2 shown]
	v_cmp_eq_u32_e32 vcc_lo, 1, v78
	v_lshrrev_b32_e32 v98, 16, v85
	v_lshrrev_b32_e32 v96, 16, v72
	;; [unrolled: 1-line block ×3, first 2 shown]
	v_cndmask_b32_e32 v81, v69, v65, vcc_lo
	v_or_b32_e32 v79, 1, v78
	v_cmp_eq_u32_e64 s4, 2, v78
	v_cndmask_b32_e32 v87, v83, v91, vcc_lo
	v_cmp_eq_u32_e64 s7, 3, v78
	v_cmp_eq_u32_e64 s9, 4, v78
	;; [unrolled: 1-line block ×3, first 2 shown]
	v_cndmask_b32_e64 v81, v81, v70, s4
	v_cmp_eq_u32_e64 s6, 2, v79
	v_cndmask_b32_e64 v87, v87, v84, s4
	v_cmp_eq_u32_e64 s8, 3, v79
	v_cndmask_b32_e64 v88, v69, v65, s3
	v_cndmask_b32_e64 v81, v81, v66, s7
	v_or_b32_e32 v77, 2, v78
	v_cndmask_b32_e64 v87, v87, v97, s7
	v_cndmask_b32_e64 v89, v83, v91, s3
	;; [unrolled: 1-line block ×4, first 2 shown]
	v_cmp_eq_u32_e64 s10, 5, v78
	v_cndmask_b32_e64 v87, v87, v85, s9
	v_cmp_eq_u32_e64 s11, 4, v79
	v_cndmask_b32_e64 v88, v88, v66, s8
	;; [unrolled: 2-line block ×3, first 2 shown]
	v_cndmask_b32_e64 v81, v81, v95, s10
	v_cmp_eq_u32_e64 s12, 6, v78
	v_cndmask_b32_e64 v88, v88, v71, s11
	v_cndmask_b32_e64 v87, v87, v98, s10
	v_cmp_eq_u32_e64 s13, 5, v79
	v_cndmask_b32_e64 v90, v69, v65, s5
	v_cndmask_b32_e64 v89, v89, v97, s8
	;; [unrolled: 1-line block ×3, first 2 shown]
	v_cmp_eq_u32_e64 s15, 7, v78
	v_cndmask_b32_e64 v88, v88, v95, s13
	v_cndmask_b32_e64 v87, v87, v86, s12
	v_cmp_eq_u32_e64 s16, 6, v79
	v_cmp_eq_u32_e64 s17, 2, v77
	v_cndmask_b32_e64 v89, v89, v85, s11
	v_cndmask_b32_e64 v100, v81, v96, s15
	;; [unrolled: 1-line block ×6, first 2 shown]
	v_cmp_eq_u32_e64 s18, 7, v79
	v_cmp_eq_u32_e64 s19, 3, v77
	;; [unrolled: 1-line block ×4, first 2 shown]
	v_cndmask_b32_e64 v87, v87, v84, s17
	v_cndmask_b32_e64 v102, v88, v96, s18
	;; [unrolled: 1-line block ×4, first 2 shown]
	v_or_b32_e32 v81, 3, v78
	v_cndmask_b32_e64 v93, v87, v97, s19
	v_cmp_eq_u32_e64 s24, 6, v77
	v_cndmask_b32_e64 v103, v88, v86, s16
	v_cndmask_b32_e64 v92, v89, v71, s20
	v_cmp_eq_u32_e64 s21, 1, v81
	ds_load_b128 v[87:90], v82 offset:1024
	v_cmp_eq_u32_e64 s23, 2, v81
	v_cmp_eq_u32_e64 s25, 3, v81
	v_cndmask_b32_e64 v104, v92, v95, s22
	v_cndmask_b32_e64 v65, v69, v65, s21
	;; [unrolled: 1-line block ×4, first 2 shown]
	ds_load_b128 v[91:94], v82 offset:1040
	v_cmp_eq_u32_e64 s26, 4, v81
	v_cndmask_b32_e64 v65, v65, v70, s23
	v_cmp_eq_u32_e64 s28, 5, v81
	v_cndmask_b32_e64 v70, v83, v84, s23
	;; [unrolled: 2-line block ×3, first 2 shown]
	v_cndmask_b32_e64 v65, v65, v66, s25
	v_cndmask_b32_e64 v66, v104, v72, s24
	;; [unrolled: 1-line block ×3, first 2 shown]
	v_cmp_eq_u32_e64 s27, 7, v77
	v_cndmask_b32_e64 v69, v69, v86, s24
	v_cndmask_b32_e64 v65, v65, v71, s26
	s_waitcnt lgkmcnt(1)
	v_lshrrev_b32_e32 v84, 16, v87
	v_cndmask_b32_e64 v70, v70, v85, s26
	v_cndmask_b32_e64 v83, v103, v99, s18
	v_cndmask_b32_e64 v66, v66, v96, s27
	v_cndmask_b32_e64 v65, v65, v95, s28
	v_lshrrev_b32_e32 v95, 16, v88
	v_cndmask_b32_e64 v70, v70, v98, s28
	s_waitcnt lgkmcnt(0)
	v_lshrrev_b32_e32 v85, 16, v91
	v_cndmask_b32_e64 v97, v87, v84, s3
	v_cndmask_b32_e64 v65, v65, v72, s29
	;; [unrolled: 1-line block ×4, first 2 shown]
	v_cndmask_b32_e32 v71, v87, v84, vcc_lo
	v_cndmask_b32_e32 v98, v91, v85, vcc_lo
	v_cmp_eq_u32_e32 vcc_lo, 7, v81
	v_cndmask_b32_e64 v72, v97, v88, s6
	v_lshrrev_b32_e32 v97, 16, v92
	v_lshrrev_b32_e32 v103, 16, v90
	v_dual_cndmask_b32 v65, v65, v96 :: v_dual_cndmask_b32 v70, v70, v99
	v_cndmask_b32_e64 v71, v71, v88, s4
	v_cndmask_b32_e64 v86, v98, v92, s4
	;; [unrolled: 1-line block ×3, first 2 shown]
	v_lshrrev_b32_e32 v98, 16, v89
	v_lshrrev_b32_e32 v99, 16, v93
	v_cndmask_b32_e64 v71, v71, v95, s7
	v_cndmask_b32_e64 v86, v86, v97, s7
	;; [unrolled: 1-line block ×3, first 2 shown]
	v_perm_b32 v72, v70, v65, 0x5040100
	v_perm_b32 v70, v83, v102, 0x5040100
	v_cndmask_b32_e64 v71, v71, v89, s9
	v_cndmask_b32_e64 v86, v86, v93, s9
	;; [unrolled: 1-line block ×3, first 2 shown]
	v_lshrrev_b32_e32 v83, 16, v94
	s_delay_alu instid0(VALU_DEP_4) | instskip(NEXT) | instid1(VALU_DEP_4)
	v_cndmask_b32_e64 v71, v71, v98, s10
	v_cndmask_b32_e64 v86, v86, v99, s10
	s_delay_alu instid0(VALU_DEP_4) | instskip(NEXT) | instid1(VALU_DEP_3)
	v_cndmask_b32_e64 v65, v65, v90, s16
	v_cndmask_b32_e64 v96, v71, v90, s12
	v_perm_b32 v71, v69, v66, 0x5040100
	s_delay_alu instid0(VALU_DEP_4)
	v_cndmask_b32_e64 v69, v86, v94, s12
	v_cndmask_b32_e64 v86, v87, v84, s5
	;; [unrolled: 1-line block ×34, first 2 shown]
	v_cndmask_b32_e32 v84, v84, v103, vcc_lo
	v_cndmask_b32_e32 v86, v87, v83, vcc_lo
	v_cndmask_b32_e64 v87, v88, v83, s27
	v_cndmask_b32_e64 v88, v85, v83, s18
	;; [unrolled: 1-line block ×3, first 2 shown]
	v_perm_b32 v69, v101, v100, 0x5040100
	v_perm_b32 v86, v86, v84, 0x5040100
	;; [unrolled: 1-line block ×5, first 2 shown]
	s_lshl_b32 s8, s35, 2
	s_mov_b32 s3, exec_lo
	ds_store_b128 v76, v[69:72]
	ds_store_b128 v76, v[83:86] offset:1024
	v_cmpx_gt_u32_e32 4, v0
	s_cbranch_execz .LBB1485_78
; %bb.77:
	v_or_b32_e32 v65, s31, v0
	s_load_b128 s[4:7], s[0:1], 0x58
	s_delay_alu instid0(VALU_DEP_1) | instskip(NEXT) | instid1(VALU_DEP_1)
	v_mad_u64_u32 v[69:70], null, s8, s30, v[65:66]
	v_mad_u64_u32 v[65:66], null, v69, s34, s[14:15]
	s_delay_alu instid0(VALU_DEP_1) | instskip(NEXT) | instid1(VALU_DEP_1)
	v_ashrrev_i32_e32 v66, 31, v65
	v_lshlrev_b64 v[65:66], 2, v[65:66]
	s_waitcnt lgkmcnt(0)
	s_delay_alu instid0(VALU_DEP_1) | instskip(NEXT) | instid1(VALU_DEP_2)
	v_add_co_u32 v69, vcc_lo, s6, v65
	v_add_co_ci_u32_e32 v70, vcc_lo, s7, v66, vcc_lo
	v_add_co_u32 v65, vcc_lo, s4, v65
	v_add_co_ci_u32_e32 v66, vcc_lo, s5, v66, vcc_lo
	global_store_b32 v[69:70], v67, off
	global_store_b32 v[65:66], v68, off
.LBB1485_78:
	s_or_b32 exec_lo, exec_lo, s3
	s_waitcnt lgkmcnt(0)
	s_waitcnt_vscnt null, 0x0
	s_barrier
	buffer_gl0_inv
	ds_load_b128 v[83:86], v80
	ds_load_b128 v[87:90], v80 offset:16
	ds_load_b128 v[95:98], v80 offset:2064
	ds_load_b128 v[91:94], v80 offset:2048
	v_mov_b32_e32 v65, 0
	ds_load_b128 v[103:106], v80 offset:4112
	ds_load_b128 v[99:102], v80 offset:4096
	;; [unrolled: 1-line block ×4, first 2 shown]
	v_mov_b32_e32 v66, v65
	v_mov_b32_e32 v67, v65
	;; [unrolled: 1-line block ×7, first 2 shown]
	s_waitcnt lgkmcnt(6)
	s_delay_alu instid0(VALU_DEP_1)
	v_wmma_f32_16x16x16_bf16 v[65:72], v[57:64], v[83:90], v[65:72]
	ds_load_b128 v[61:64], v80 offset:8208
	ds_load_b128 v[57:60], v80 offset:8192
	s_waitcnt lgkmcnt(6)
	v_wmma_f32_16x16x16_bf16 v[65:72], v[41:48], v[91:98], v[65:72]
	ds_load_b128 v[45:48], v80 offset:10256
	ds_load_b128 v[41:44], v80 offset:10240
	s_waitcnt lgkmcnt(6)
	;; [unrolled: 4-line block ×4, first 2 shown]
	v_wmma_f32_16x16x16_bf16 v[65:72], v[1:8], v[57:64], v[65:72]
	s_waitcnt lgkmcnt(4)
	s_delay_alu instid0(VALU_DEP_1) | instskip(SKIP_1) | instid1(VALU_DEP_1)
	v_wmma_f32_16x16x16_bf16 v[65:72], v[9:16], v[41:48], v[65:72]
	s_waitcnt lgkmcnt(2)
	v_wmma_f32_16x16x16_bf16 v[65:72], v[17:24], v[33:40], v[65:72]
	s_waitcnt lgkmcnt(0)
	s_delay_alu instid0(VALU_DEP_1) | instskip(NEXT) | instid1(VALU_DEP_1)
	v_wmma_f32_16x16x16_bf16 v[65:72], v[49:56], v[25:32], v[65:72]
	v_and_b32_e32 v1, 0x7f800000, v65
	s_delay_alu instid0(VALU_DEP_1) | instskip(SKIP_1) | instid1(SALU_CYCLE_1)
	v_cmp_ne_u32_e32 vcc_lo, 0x7f800000, v1
                                        ; implicit-def: $vgpr1
	s_and_saveexec_b32 s3, vcc_lo
	s_xor_b32 s3, exec_lo, s3
; %bb.79:
	v_bfe_u32 v1, v65, 16, 1
	s_delay_alu instid0(VALU_DEP_1)
	v_add3_u32 v1, v65, v1, 0x7fff
; %bb.80:
	s_and_not1_saveexec_b32 s3, s3
; %bb.81:
	v_and_b32_e32 v1, 0xffff, v65
	v_or_b32_e32 v2, 0x10000, v65
	s_delay_alu instid0(VALU_DEP_2) | instskip(NEXT) | instid1(VALU_DEP_2)
	v_cmp_eq_u32_e32 vcc_lo, 0, v1
	v_cndmask_b32_e32 v1, v2, v65, vcc_lo
; %bb.82:
	s_or_b32 exec_lo, exec_lo, s3
	v_and_b32_e32 v2, 0x7f800000, v66
	s_delay_alu instid0(VALU_DEP_1) | instskip(SKIP_1) | instid1(SALU_CYCLE_1)
	v_cmp_ne_u32_e32 vcc_lo, 0x7f800000, v2
                                        ; implicit-def: $vgpr2
	s_and_saveexec_b32 s3, vcc_lo
	s_xor_b32 s3, exec_lo, s3
; %bb.83:
	v_bfe_u32 v2, v66, 16, 1
	s_delay_alu instid0(VALU_DEP_1)
	v_add3_u32 v2, v66, v2, 0x7fff
; %bb.84:
	s_and_not1_saveexec_b32 s3, s3
; %bb.85:
	v_and_b32_e32 v2, 0xffff, v66
	v_or_b32_e32 v3, 0x10000, v66
	s_delay_alu instid0(VALU_DEP_2) | instskip(NEXT) | instid1(VALU_DEP_2)
	v_cmp_eq_u32_e32 vcc_lo, 0, v2
	v_cndmask_b32_e32 v2, v3, v66, vcc_lo
; %bb.86:
	s_or_b32 exec_lo, exec_lo, s3
	v_and_b32_e32 v3, 0x7f800000, v67
	s_delay_alu instid0(VALU_DEP_1) | instskip(SKIP_1) | instid1(SALU_CYCLE_1)
	v_cmp_ne_u32_e32 vcc_lo, 0x7f800000, v3
                                        ; implicit-def: $vgpr3
	s_and_saveexec_b32 s3, vcc_lo
	s_xor_b32 s3, exec_lo, s3
; %bb.87:
	v_bfe_u32 v3, v67, 16, 1
	s_delay_alu instid0(VALU_DEP_1)
	v_add3_u32 v3, v67, v3, 0x7fff
; %bb.88:
	s_and_not1_saveexec_b32 s3, s3
; %bb.89:
	v_and_b32_e32 v3, 0xffff, v67
	v_or_b32_e32 v4, 0x10000, v67
	s_delay_alu instid0(VALU_DEP_2) | instskip(NEXT) | instid1(VALU_DEP_2)
	v_cmp_eq_u32_e32 vcc_lo, 0, v3
	v_cndmask_b32_e32 v3, v4, v67, vcc_lo
; %bb.90:
	s_or_b32 exec_lo, exec_lo, s3
	v_and_b32_e32 v4, 0x7f800000, v68
	s_delay_alu instid0(VALU_DEP_1) | instskip(SKIP_1) | instid1(SALU_CYCLE_1)
	v_cmp_ne_u32_e32 vcc_lo, 0x7f800000, v4
                                        ; implicit-def: $vgpr4
	s_and_saveexec_b32 s3, vcc_lo
	s_xor_b32 s3, exec_lo, s3
; %bb.91:
	v_bfe_u32 v4, v68, 16, 1
	s_delay_alu instid0(VALU_DEP_1)
	v_add3_u32 v4, v68, v4, 0x7fff
; %bb.92:
	s_and_not1_saveexec_b32 s3, s3
; %bb.93:
	v_and_b32_e32 v4, 0xffff, v68
	v_or_b32_e32 v5, 0x10000, v68
	s_delay_alu instid0(VALU_DEP_2) | instskip(NEXT) | instid1(VALU_DEP_2)
	v_cmp_eq_u32_e32 vcc_lo, 0, v4
	v_cndmask_b32_e32 v4, v5, v68, vcc_lo
; %bb.94:
	s_or_b32 exec_lo, exec_lo, s3
	v_and_b32_e32 v5, 0x7f800000, v69
	s_delay_alu instid0(VALU_DEP_1) | instskip(SKIP_1) | instid1(SALU_CYCLE_1)
	v_cmp_ne_u32_e32 vcc_lo, 0x7f800000, v5
                                        ; implicit-def: $vgpr5
	s_and_saveexec_b32 s3, vcc_lo
	s_xor_b32 s3, exec_lo, s3
; %bb.95:
	v_bfe_u32 v5, v69, 16, 1
	s_delay_alu instid0(VALU_DEP_1)
	v_add3_u32 v5, v69, v5, 0x7fff
; %bb.96:
	s_and_not1_saveexec_b32 s3, s3
; %bb.97:
	v_and_b32_e32 v5, 0xffff, v69
	v_or_b32_e32 v6, 0x10000, v69
	s_delay_alu instid0(VALU_DEP_2) | instskip(NEXT) | instid1(VALU_DEP_2)
	v_cmp_eq_u32_e32 vcc_lo, 0, v5
	v_cndmask_b32_e32 v5, v6, v69, vcc_lo
; %bb.98:
	s_or_b32 exec_lo, exec_lo, s3
	v_and_b32_e32 v6, 0x7f800000, v70
	s_delay_alu instid0(VALU_DEP_1) | instskip(SKIP_1) | instid1(SALU_CYCLE_1)
	v_cmp_ne_u32_e32 vcc_lo, 0x7f800000, v6
                                        ; implicit-def: $vgpr6
	s_and_saveexec_b32 s3, vcc_lo
	s_xor_b32 s3, exec_lo, s3
; %bb.99:
	v_bfe_u32 v6, v70, 16, 1
	s_delay_alu instid0(VALU_DEP_1)
	v_add3_u32 v6, v70, v6, 0x7fff
; %bb.100:
	s_and_not1_saveexec_b32 s3, s3
; %bb.101:
	v_and_b32_e32 v6, 0xffff, v70
	v_or_b32_e32 v7, 0x10000, v70
	s_delay_alu instid0(VALU_DEP_2) | instskip(NEXT) | instid1(VALU_DEP_2)
	v_cmp_eq_u32_e32 vcc_lo, 0, v6
	v_cndmask_b32_e32 v6, v7, v70, vcc_lo
; %bb.102:
	s_or_b32 exec_lo, exec_lo, s3
	v_and_b32_e32 v7, 0x7f800000, v71
	s_delay_alu instid0(VALU_DEP_1) | instskip(SKIP_1) | instid1(SALU_CYCLE_1)
	v_cmp_ne_u32_e32 vcc_lo, 0x7f800000, v7
                                        ; implicit-def: $vgpr7
	s_and_saveexec_b32 s3, vcc_lo
	s_xor_b32 s3, exec_lo, s3
; %bb.103:
	v_bfe_u32 v7, v71, 16, 1
	s_delay_alu instid0(VALU_DEP_1)
	v_add3_u32 v7, v71, v7, 0x7fff
; %bb.104:
	s_and_not1_saveexec_b32 s3, s3
; %bb.105:
	v_and_b32_e32 v7, 0xffff, v71
	v_or_b32_e32 v8, 0x10000, v71
	s_delay_alu instid0(VALU_DEP_2) | instskip(NEXT) | instid1(VALU_DEP_2)
	v_cmp_eq_u32_e32 vcc_lo, 0, v7
	v_cndmask_b32_e32 v7, v8, v71, vcc_lo
; %bb.106:
	s_or_b32 exec_lo, exec_lo, s3
	v_and_b32_e32 v8, 0x7f800000, v72
	s_delay_alu instid0(VALU_DEP_1) | instskip(SKIP_1) | instid1(SALU_CYCLE_1)
	v_cmp_ne_u32_e32 vcc_lo, 0x7f800000, v8
                                        ; implicit-def: $vgpr8
	s_and_saveexec_b32 s3, vcc_lo
	s_xor_b32 s3, exec_lo, s3
; %bb.107:
	v_bfe_u32 v8, v72, 16, 1
	s_delay_alu instid0(VALU_DEP_1)
	v_add3_u32 v8, v72, v8, 0x7fff
                                        ; implicit-def: $vgpr65_vgpr66_vgpr67_vgpr68_vgpr69_vgpr70_vgpr71_vgpr72
; %bb.108:
	s_and_not1_saveexec_b32 s3, s3
; %bb.109:
	v_and_b32_e32 v8, 0xffff, v72
	v_or_b32_e32 v9, 0x10000, v72
	s_delay_alu instid0(VALU_DEP_2) | instskip(NEXT) | instid1(VALU_DEP_2)
	v_cmp_eq_u32_e32 vcc_lo, 0, v8
	v_cndmask_b32_e32 v8, v9, v72, vcc_lo
; %bb.110:
	s_or_b32 exec_lo, exec_lo, s3
	s_delay_alu instid0(VALU_DEP_1)
	v_perm_b32 v7, v8, v7, 0x7060302
	v_perm_b32 v6, v6, v5, 0x7060302
	;; [unrolled: 1-line block ×4, first 2 shown]
	s_barrier
	buffer_gl0_inv
	v_cmp_eq_u32_e32 vcc_lo, 1, v78
	ds_store_b128 v76, v[4:7]
	s_waitcnt lgkmcnt(0)
	s_barrier
	buffer_gl0_inv
	ds_load_b128 v[1:4], v82
	ds_load_b128 v[5:8], v82 offset:16
	v_cmp_eq_u32_e64 s3, 1, v79
	v_cmp_eq_u32_e64 s4, 2, v78
	;; [unrolled: 1-line block ×5, first 2 shown]
	s_waitcnt lgkmcnt(1)
	v_lshrrev_b32_e32 v9, 16, v1
	s_waitcnt lgkmcnt(0)
	v_lshrrev_b32_e32 v13, 16, v5
	v_lshrrev_b32_e32 v10, 16, v2
	;; [unrolled: 1-line block ×4, first 2 shown]
	v_cndmask_b32_e64 v19, v1, v9, s3
	v_cndmask_b32_e32 v18, v5, v13, vcc_lo
	v_cndmask_b32_e64 v20, v5, v13, s3
	v_cndmask_b32_e32 v17, v1, v9, vcc_lo
	v_cmp_eq_u32_e32 vcc_lo, 2, v79
	v_lshrrev_b32_e32 v15, 16, v7
	v_cmp_eq_u32_e64 s3, 1, v77
	v_lshrrev_b32_e32 v12, 16, v4
	v_lshrrev_b32_e32 v16, 16, v8
	v_cndmask_b32_e32 v20, v20, v6, vcc_lo
	v_cndmask_b32_e64 v17, v17, v2, s4
	v_cndmask_b32_e32 v19, v19, v2, vcc_lo
	v_cndmask_b32_e64 v18, v18, v6, s4
	v_cmp_eq_u32_e32 vcc_lo, 4, v78
	v_cmp_eq_u32_e64 s4, 3, v79
	v_cndmask_b32_e64 v17, v17, v10, s5
	v_cndmask_b32_e64 v21, v1, v9, s3
	;; [unrolled: 1-line block ×5, first 2 shown]
	v_cndmask_b32_e32 v17, v17, v3, vcc_lo
	v_cndmask_b32_e64 v20, v20, v14, s4
	v_cndmask_b32_e32 v18, v18, v7, vcc_lo
	v_cmp_eq_u32_e32 vcc_lo, 4, v79
	v_cmp_eq_u32_e64 s4, 5, v79
	v_cmp_eq_u32_e64 s3, 2, v81
	v_cndmask_b32_e64 v21, v21, v2, s7
	v_cmp_eq_u32_e64 s5, 5, v78
	v_cndmask_b32_e32 v19, v19, v3, vcc_lo
	v_cndmask_b32_e32 v20, v20, v7, vcc_lo
	v_cmp_eq_u32_e32 vcc_lo, 6, v79
	s_delay_alu instid0(VALU_DEP_4) | instskip(NEXT) | instid1(VALU_DEP_4)
	v_cndmask_b32_e64 v17, v17, v11, s5
	v_cndmask_b32_e64 v19, v19, v11, s4
	s_delay_alu instid0(VALU_DEP_4) | instskip(SKIP_1) | instid1(VALU_DEP_3)
	v_cndmask_b32_e64 v20, v20, v15, s4
	v_cmp_eq_u32_e64 s4, 1, v81
	v_cndmask_b32_e32 v19, v19, v4, vcc_lo
	v_cndmask_b32_e64 v18, v18, v15, s5
	s_delay_alu instid0(VALU_DEP_3)
	v_cndmask_b32_e64 v1, v1, v9, s4
	v_cndmask_b32_e64 v5, v5, v13, s4
	v_cmp_eq_u32_e64 s4, 3, v77
	v_cndmask_b32_e64 v13, v22, v6, s7
	v_cmp_eq_u32_e64 s7, 3, v81
	v_cndmask_b32_e64 v1, v1, v2, s3
	v_cndmask_b32_e64 v2, v5, v6, s3
	;; [unrolled: 1-line block ×3, first 2 shown]
	v_cmp_eq_u32_e64 s3, 4, v77
	v_cndmask_b32_e64 v6, v13, v14, s4
	v_cndmask_b32_e64 v1, v1, v10, s7
	v_cmp_eq_u32_e64 s4, 4, v81
	v_cndmask_b32_e64 v2, v2, v14, s7
	v_cndmask_b32_e64 v5, v9, v3, s3
	;; [unrolled: 3-line block ×3, first 2 shown]
	v_cndmask_b32_e64 v2, v2, v7, s4
	v_cmp_eq_u32_e64 s3, 5, v81
	v_cmp_eq_u32_e64 s5, 6, v78
	v_cndmask_b32_e64 v5, v5, v11, s7
	v_cmp_eq_u32_e64 s4, 6, v77
	v_cndmask_b32_e64 v3, v6, v15, s7
	v_cndmask_b32_e64 v1, v1, v11, s3
	v_cmp_eq_u32_e64 s7, 6, v81
	v_cndmask_b32_e64 v2, v2, v15, s3
	v_cndmask_b32_e64 v17, v17, v4, s5
	v_cndmask_b32_e64 v18, v18, v8, s5
	v_cmp_eq_u32_e64 s5, 7, v78
	v_cndmask_b32_e64 v5, v5, v4, s4
	;; [unrolled: 4-line block ×3, first 2 shown]
	v_cmp_eq_u32_e64 s4, 7, v77
	v_cndmask_b32_e32 v4, v20, v8, vcc_lo
	v_cndmask_b32_e64 v17, v17, v12, s5
	v_cndmask_b32_e64 v19, v19, v12, s6
	;; [unrolled: 1-line block ×8, first 2 shown]
	v_cmp_gt_u32_e32 vcc_lo, 32, v0
	v_perm_b32 v4, v2, v1, 0x5040100
	v_perm_b32 v3, v3, v5, 0x5040100
	;; [unrolled: 1-line block ×4, first 2 shown]
	s_and_b32 s2, vcc_lo, s2
	ds_store_b128 v76, v[1:4]
	s_waitcnt lgkmcnt(0)
	s_barrier
	buffer_gl0_inv
	s_and_saveexec_b32 s3, s2
	s_cbranch_execz .LBB1485_2
; %bb.111:
	s_load_b64 s[0:1], s[0:1], 0x68
	v_lshlrev_b32_e32 v0, 10, v0
	v_or_b32_e32 v1, s31, v75
	s_lshl_b32 s4, s34, 6
	v_lshlrev_b32_e32 v2, 4, v74
	s_mul_i32 s2, s4, s30
	v_lshlrev_b32_e32 v3, 6, v75
	v_mul_lo_u32 v8, v1, s4
	v_and_b32_e32 v0, 0x3800, v0
	v_or_b32_e32 v1, 2, v1
	s_mul_i32 s2, s2, s8
	s_delay_alu instid0(SALU_CYCLE_1) | instskip(NEXT) | instid1(VALU_DEP_2)
	s_ashr_i32 s3, s2, 31
	v_or3_b32 v4, v0, v2, v3
	s_lshl_b64 s[2:3], s[2:3], 1
	v_mul_lo_u32 v10, v1, s4
	v_ashrrev_i32_e32 v9, 31, v8
	ds_load_b128 v[0:3], v4
	ds_load_b128 v[4:7], v4 offset:128
	s_waitcnt lgkmcnt(0)
	s_add_u32 s2, s0, s2
	s_addc_u32 s3, s1, s3
	s_lshl_b32 s0, s14, 6
	v_ashrrev_i32_e32 v11, 31, v10
	s_ashr_i32 s1, s0, 31
	v_lshlrev_b64 v[8:9], 1, v[8:9]
	s_lshl_b64 s[0:1], s[0:1], 1
	s_delay_alu instid0(SALU_CYCLE_1) | instskip(SKIP_2) | instid1(VALU_DEP_1)
	s_add_u32 s0, s2, s0
	s_addc_u32 s1, s3, s1
	v_add_co_u32 v12, s0, s0, v73
	v_add_co_ci_u32_e64 v13, null, s1, 0, s0
	v_lshlrev_b64 v[10:11], 1, v[10:11]
	s_delay_alu instid0(VALU_DEP_3) | instskip(NEXT) | instid1(VALU_DEP_3)
	v_add_co_u32 v8, vcc_lo, v12, v8
	v_add_co_ci_u32_e32 v9, vcc_lo, v13, v9, vcc_lo
	s_delay_alu instid0(VALU_DEP_3) | instskip(NEXT) | instid1(VALU_DEP_4)
	v_add_co_u32 v10, vcc_lo, v12, v10
	v_add_co_ci_u32_e32 v11, vcc_lo, v13, v11, vcc_lo
	s_clause 0x1
	global_store_b128 v[8:9], v[0:3], off
	global_store_b128 v[10:11], v[4:7], off
	s_nop 0
	s_sendmsg sendmsg(MSG_DEALLOC_VGPRS)
	s_endpgm
	.section	.rodata,"a",@progbits
	.p2align	6, 0x0
	.amdhsa_kernel _Z39paged_attention_ll4mi_QKV_mfma16_kernelI14__hip_bfloat16hLN4vllm18Fp8KVCacheDataTypeE1ES0_Li32ELi64ELi256ELb1ELi4EL8MFMAType1EEvPKT_PKT0_S9_ifPKiSB_SB_iPKfiiiPfSE_PS4_PT2_iSD_SD_
		.amdhsa_group_segment_fixed_size 17472
		.amdhsa_private_segment_fixed_size 0
		.amdhsa_kernarg_size 400
		.amdhsa_user_sgpr_count 13
		.amdhsa_user_sgpr_dispatch_ptr 0
		.amdhsa_user_sgpr_queue_ptr 0
		.amdhsa_user_sgpr_kernarg_segment_ptr 1
		.amdhsa_user_sgpr_dispatch_id 0
		.amdhsa_user_sgpr_private_segment_size 0
		.amdhsa_wavefront_size32 1
		.amdhsa_uses_dynamic_stack 0
		.amdhsa_enable_private_segment 0
		.amdhsa_system_sgpr_workgroup_id_x 1
		.amdhsa_system_sgpr_workgroup_id_y 1
		.amdhsa_system_sgpr_workgroup_id_z 1
		.amdhsa_system_sgpr_workgroup_info 0
		.amdhsa_system_vgpr_workitem_id 0
		.amdhsa_next_free_vgpr 124
		.amdhsa_next_free_sgpr 40
		.amdhsa_reserve_vcc 1
		.amdhsa_float_round_mode_32 0
		.amdhsa_float_round_mode_16_64 0
		.amdhsa_float_denorm_mode_32 3
		.amdhsa_float_denorm_mode_16_64 3
		.amdhsa_dx10_clamp 1
		.amdhsa_ieee_mode 1
		.amdhsa_fp16_overflow 0
		.amdhsa_workgroup_processor_mode 1
		.amdhsa_memory_ordered 1
		.amdhsa_forward_progress 0
		.amdhsa_shared_vgpr_count 0
		.amdhsa_exception_fp_ieee_invalid_op 0
		.amdhsa_exception_fp_denorm_src 0
		.amdhsa_exception_fp_ieee_div_zero 0
		.amdhsa_exception_fp_ieee_overflow 0
		.amdhsa_exception_fp_ieee_underflow 0
		.amdhsa_exception_fp_ieee_inexact 0
		.amdhsa_exception_int_div_zero 0
	.end_amdhsa_kernel
	.section	.text._Z39paged_attention_ll4mi_QKV_mfma16_kernelI14__hip_bfloat16hLN4vllm18Fp8KVCacheDataTypeE1ES0_Li32ELi64ELi256ELb1ELi4EL8MFMAType1EEvPKT_PKT0_S9_ifPKiSB_SB_iPKfiiiPfSE_PS4_PT2_iSD_SD_,"axG",@progbits,_Z39paged_attention_ll4mi_QKV_mfma16_kernelI14__hip_bfloat16hLN4vllm18Fp8KVCacheDataTypeE1ES0_Li32ELi64ELi256ELb1ELi4EL8MFMAType1EEvPKT_PKT0_S9_ifPKiSB_SB_iPKfiiiPfSE_PS4_PT2_iSD_SD_,comdat
.Lfunc_end1485:
	.size	_Z39paged_attention_ll4mi_QKV_mfma16_kernelI14__hip_bfloat16hLN4vllm18Fp8KVCacheDataTypeE1ES0_Li32ELi64ELi256ELb1ELi4EL8MFMAType1EEvPKT_PKT0_S9_ifPKiSB_SB_iPKfiiiPfSE_PS4_PT2_iSD_SD_, .Lfunc_end1485-_Z39paged_attention_ll4mi_QKV_mfma16_kernelI14__hip_bfloat16hLN4vllm18Fp8KVCacheDataTypeE1ES0_Li32ELi64ELi256ELb1ELi4EL8MFMAType1EEvPKT_PKT0_S9_ifPKiSB_SB_iPKfiiiPfSE_PS4_PT2_iSD_SD_
                                        ; -- End function
	.section	.AMDGPU.csdata,"",@progbits
; Kernel info:
; codeLenInByte = 8612
; NumSgprs: 42
; NumVgprs: 124
; ScratchSize: 0
; MemoryBound: 0
; FloatMode: 240
; IeeeMode: 1
; LDSByteSize: 17472 bytes/workgroup (compile time only)
; SGPRBlocks: 5
; VGPRBlocks: 15
; NumSGPRsForWavesPerEU: 42
; NumVGPRsForWavesPerEU: 124
; Occupancy: 10
; WaveLimiterHint : 1
; COMPUTE_PGM_RSRC2:SCRATCH_EN: 0
; COMPUTE_PGM_RSRC2:USER_SGPR: 13
; COMPUTE_PGM_RSRC2:TRAP_HANDLER: 0
; COMPUTE_PGM_RSRC2:TGID_X_EN: 1
; COMPUTE_PGM_RSRC2:TGID_Y_EN: 1
; COMPUTE_PGM_RSRC2:TGID_Z_EN: 1
; COMPUTE_PGM_RSRC2:TIDIG_COMP_CNT: 0
	.section	.text._Z38paged_attention_ll4mi_QKV_mfma4_kernelI14__hip_bfloat16hLN4vllm18Fp8KVCacheDataTypeE1ES0_Li32ELi64ELi256ELb0ELi1EEvPKT_PKT0_S8_ifPKiSA_SA_iPKfiiiPfSD_PS3_PT2_iSC_SC_,"axG",@progbits,_Z38paged_attention_ll4mi_QKV_mfma4_kernelI14__hip_bfloat16hLN4vllm18Fp8KVCacheDataTypeE1ES0_Li32ELi64ELi256ELb0ELi1EEvPKT_PKT0_S8_ifPKiSA_SA_iPKfiiiPfSD_PS3_PT2_iSC_SC_,comdat
	.protected	_Z38paged_attention_ll4mi_QKV_mfma4_kernelI14__hip_bfloat16hLN4vllm18Fp8KVCacheDataTypeE1ES0_Li32ELi64ELi256ELb0ELi1EEvPKT_PKT0_S8_ifPKiSA_SA_iPKfiiiPfSD_PS3_PT2_iSC_SC_ ; -- Begin function _Z38paged_attention_ll4mi_QKV_mfma4_kernelI14__hip_bfloat16hLN4vllm18Fp8KVCacheDataTypeE1ES0_Li32ELi64ELi256ELb0ELi1EEvPKT_PKT0_S8_ifPKiSA_SA_iPKfiiiPfSD_PS3_PT2_iSC_SC_
	.globl	_Z38paged_attention_ll4mi_QKV_mfma4_kernelI14__hip_bfloat16hLN4vllm18Fp8KVCacheDataTypeE1ES0_Li32ELi64ELi256ELb0ELi1EEvPKT_PKT0_S8_ifPKiSA_SA_iPKfiiiPfSD_PS3_PT2_iSC_SC_
	.p2align	8
	.type	_Z38paged_attention_ll4mi_QKV_mfma4_kernelI14__hip_bfloat16hLN4vllm18Fp8KVCacheDataTypeE1ES0_Li32ELi64ELi256ELb0ELi1EEvPKT_PKT0_S8_ifPKiSA_SA_iPKfiiiPfSD_PS3_PT2_iSC_SC_,@function
_Z38paged_attention_ll4mi_QKV_mfma4_kernelI14__hip_bfloat16hLN4vllm18Fp8KVCacheDataTypeE1ES0_Li32ELi64ELi256ELb0ELi1EEvPKT_PKT0_S8_ifPKiSA_SA_iPKfiiiPfSD_PS3_PT2_iSC_SC_: ; @_Z38paged_attention_ll4mi_QKV_mfma4_kernelI14__hip_bfloat16hLN4vllm18Fp8KVCacheDataTypeE1ES0_Li32ELi64ELi256ELb0ELi1EEvPKT_PKT0_S8_ifPKiSA_SA_iPKfiiiPfSD_PS3_PT2_iSC_SC_
; %bb.0:
	s_add_u32 s8, s0, 0x90
	s_addc_u32 s9, s1, 0
	s_getpc_b64 s[0:1]
	s_add_u32 s0, s0, __PRETTY_FUNCTION__._Z38paged_attention_ll4mi_QKV_mfma4_kernelI14__hip_bfloat16hLN4vllm18Fp8KVCacheDataTypeE1ES0_Li32ELi64ELi256ELb0ELi1EEvPKT_PKT0_S8_ifPKiSA_SA_iPKfiiiPfSD_PS3_PT2_iSC_SC_@rel32@lo+4
	s_addc_u32 s1, s1, __PRETTY_FUNCTION__._Z38paged_attention_ll4mi_QKV_mfma4_kernelI14__hip_bfloat16hLN4vllm18Fp8KVCacheDataTypeE1ES0_Li32ELi64ELi256ELb0ELi1EEvPKT_PKT0_S8_ifPKiSA_SA_iPKfiiiPfSD_PS3_PT2_iSC_SC_@rel32@hi+12
	s_delay_alu instid0(SALU_CYCLE_1) | instskip(SKIP_4) | instid1(SALU_CYCLE_1)
	v_dual_mov_b32 v0, s0 :: v_dual_mov_b32 v1, s1
	s_mov_b32 s32, 0
	s_getpc_b64 s[2:3]
	s_add_u32 s2, s2, __assert_fail@rel32@lo+4
	s_addc_u32 s3, s3, __assert_fail@rel32@hi+12
	s_swappc_b64 s[30:31], s[2:3]
	.section	.rodata,"a",@progbits
	.p2align	6, 0x0
	.amdhsa_kernel _Z38paged_attention_ll4mi_QKV_mfma4_kernelI14__hip_bfloat16hLN4vllm18Fp8KVCacheDataTypeE1ES0_Li32ELi64ELi256ELb0ELi1EEvPKT_PKT0_S8_ifPKiSA_SA_iPKfiiiPfSD_PS3_PT2_iSC_SC_
		.amdhsa_group_segment_fixed_size 0
		.amdhsa_private_segment_fixed_size 64
		.amdhsa_kernarg_size 400
		.amdhsa_user_sgpr_count 15
		.amdhsa_user_sgpr_dispatch_ptr 0
		.amdhsa_user_sgpr_queue_ptr 0
		.amdhsa_user_sgpr_kernarg_segment_ptr 1
		.amdhsa_user_sgpr_dispatch_id 0
		.amdhsa_user_sgpr_private_segment_size 0
		.amdhsa_wavefront_size32 1
		.amdhsa_uses_dynamic_stack 0
		.amdhsa_enable_private_segment 1
		.amdhsa_system_sgpr_workgroup_id_x 1
		.amdhsa_system_sgpr_workgroup_id_y 0
		.amdhsa_system_sgpr_workgroup_id_z 0
		.amdhsa_system_sgpr_workgroup_info 0
		.amdhsa_system_vgpr_workitem_id 0
		.amdhsa_next_free_vgpr 41
		.amdhsa_next_free_sgpr 34
		.amdhsa_reserve_vcc 1
		.amdhsa_float_round_mode_32 0
		.amdhsa_float_round_mode_16_64 0
		.amdhsa_float_denorm_mode_32 3
		.amdhsa_float_denorm_mode_16_64 3
		.amdhsa_dx10_clamp 1
		.amdhsa_ieee_mode 1
		.amdhsa_fp16_overflow 0
		.amdhsa_workgroup_processor_mode 1
		.amdhsa_memory_ordered 1
		.amdhsa_forward_progress 0
		.amdhsa_shared_vgpr_count 0
		.amdhsa_exception_fp_ieee_invalid_op 0
		.amdhsa_exception_fp_denorm_src 0
		.amdhsa_exception_fp_ieee_div_zero 0
		.amdhsa_exception_fp_ieee_overflow 0
		.amdhsa_exception_fp_ieee_underflow 0
		.amdhsa_exception_fp_ieee_inexact 0
		.amdhsa_exception_int_div_zero 0
	.end_amdhsa_kernel
	.section	.text._Z38paged_attention_ll4mi_QKV_mfma4_kernelI14__hip_bfloat16hLN4vllm18Fp8KVCacheDataTypeE1ES0_Li32ELi64ELi256ELb0ELi1EEvPKT_PKT0_S8_ifPKiSA_SA_iPKfiiiPfSD_PS3_PT2_iSC_SC_,"axG",@progbits,_Z38paged_attention_ll4mi_QKV_mfma4_kernelI14__hip_bfloat16hLN4vllm18Fp8KVCacheDataTypeE1ES0_Li32ELi64ELi256ELb0ELi1EEvPKT_PKT0_S8_ifPKiSA_SA_iPKfiiiPfSD_PS3_PT2_iSC_SC_,comdat
.Lfunc_end1486:
	.size	_Z38paged_attention_ll4mi_QKV_mfma4_kernelI14__hip_bfloat16hLN4vllm18Fp8KVCacheDataTypeE1ES0_Li32ELi64ELi256ELb0ELi1EEvPKT_PKT0_S8_ifPKiSA_SA_iPKfiiiPfSD_PS3_PT2_iSC_SC_, .Lfunc_end1486-_Z38paged_attention_ll4mi_QKV_mfma4_kernelI14__hip_bfloat16hLN4vllm18Fp8KVCacheDataTypeE1ES0_Li32ELi64ELi256ELb0ELi1EEvPKT_PKT0_S8_ifPKiSA_SA_iPKfiiiPfSD_PS3_PT2_iSC_SC_
                                        ; -- End function
	.section	.AMDGPU.csdata,"",@progbits
; Kernel info:
; codeLenInByte = 72
; NumSgprs: 36
; NumVgprs: 41
; ScratchSize: 64
; MemoryBound: 0
; FloatMode: 240
; IeeeMode: 1
; LDSByteSize: 0 bytes/workgroup (compile time only)
; SGPRBlocks: 4
; VGPRBlocks: 5
; NumSGPRsForWavesPerEU: 36
; NumVGPRsForWavesPerEU: 41
; Occupancy: 16
; WaveLimiterHint : 1
; COMPUTE_PGM_RSRC2:SCRATCH_EN: 1
; COMPUTE_PGM_RSRC2:USER_SGPR: 15
; COMPUTE_PGM_RSRC2:TRAP_HANDLER: 0
; COMPUTE_PGM_RSRC2:TGID_X_EN: 1
; COMPUTE_PGM_RSRC2:TGID_Y_EN: 0
; COMPUTE_PGM_RSRC2:TGID_Z_EN: 0
; COMPUTE_PGM_RSRC2:TIDIG_COMP_CNT: 0
	.section	.text._Z38paged_attention_ll4mi_QKV_mfma4_kernelI14__hip_bfloat16hLN4vllm18Fp8KVCacheDataTypeE1ES0_Li32ELi64ELi256ELb0ELi2EEvPKT_PKT0_S8_ifPKiSA_SA_iPKfiiiPfSD_PS3_PT2_iSC_SC_,"axG",@progbits,_Z38paged_attention_ll4mi_QKV_mfma4_kernelI14__hip_bfloat16hLN4vllm18Fp8KVCacheDataTypeE1ES0_Li32ELi64ELi256ELb0ELi2EEvPKT_PKT0_S8_ifPKiSA_SA_iPKfiiiPfSD_PS3_PT2_iSC_SC_,comdat
	.protected	_Z38paged_attention_ll4mi_QKV_mfma4_kernelI14__hip_bfloat16hLN4vllm18Fp8KVCacheDataTypeE1ES0_Li32ELi64ELi256ELb0ELi2EEvPKT_PKT0_S8_ifPKiSA_SA_iPKfiiiPfSD_PS3_PT2_iSC_SC_ ; -- Begin function _Z38paged_attention_ll4mi_QKV_mfma4_kernelI14__hip_bfloat16hLN4vllm18Fp8KVCacheDataTypeE1ES0_Li32ELi64ELi256ELb0ELi2EEvPKT_PKT0_S8_ifPKiSA_SA_iPKfiiiPfSD_PS3_PT2_iSC_SC_
	.globl	_Z38paged_attention_ll4mi_QKV_mfma4_kernelI14__hip_bfloat16hLN4vllm18Fp8KVCacheDataTypeE1ES0_Li32ELi64ELi256ELb0ELi2EEvPKT_PKT0_S8_ifPKiSA_SA_iPKfiiiPfSD_PS3_PT2_iSC_SC_
	.p2align	8
	.type	_Z38paged_attention_ll4mi_QKV_mfma4_kernelI14__hip_bfloat16hLN4vllm18Fp8KVCacheDataTypeE1ES0_Li32ELi64ELi256ELb0ELi2EEvPKT_PKT0_S8_ifPKiSA_SA_iPKfiiiPfSD_PS3_PT2_iSC_SC_,@function
_Z38paged_attention_ll4mi_QKV_mfma4_kernelI14__hip_bfloat16hLN4vllm18Fp8KVCacheDataTypeE1ES0_Li32ELi64ELi256ELb0ELi2EEvPKT_PKT0_S8_ifPKiSA_SA_iPKfiiiPfSD_PS3_PT2_iSC_SC_: ; @_Z38paged_attention_ll4mi_QKV_mfma4_kernelI14__hip_bfloat16hLN4vllm18Fp8KVCacheDataTypeE1ES0_Li32ELi64ELi256ELb0ELi2EEvPKT_PKT0_S8_ifPKiSA_SA_iPKfiiiPfSD_PS3_PT2_iSC_SC_
; %bb.0:
	s_add_u32 s8, s0, 0x90
	s_addc_u32 s9, s1, 0
	s_getpc_b64 s[0:1]
	s_add_u32 s0, s0, __PRETTY_FUNCTION__._Z38paged_attention_ll4mi_QKV_mfma4_kernelI14__hip_bfloat16hLN4vllm18Fp8KVCacheDataTypeE1ES0_Li32ELi64ELi256ELb0ELi2EEvPKT_PKT0_S8_ifPKiSA_SA_iPKfiiiPfSD_PS3_PT2_iSC_SC_@rel32@lo+4
	s_addc_u32 s1, s1, __PRETTY_FUNCTION__._Z38paged_attention_ll4mi_QKV_mfma4_kernelI14__hip_bfloat16hLN4vllm18Fp8KVCacheDataTypeE1ES0_Li32ELi64ELi256ELb0ELi2EEvPKT_PKT0_S8_ifPKiSA_SA_iPKfiiiPfSD_PS3_PT2_iSC_SC_@rel32@hi+12
	s_delay_alu instid0(SALU_CYCLE_1) | instskip(SKIP_4) | instid1(SALU_CYCLE_1)
	v_dual_mov_b32 v0, s0 :: v_dual_mov_b32 v1, s1
	s_mov_b32 s32, 0
	s_getpc_b64 s[2:3]
	s_add_u32 s2, s2, __assert_fail@rel32@lo+4
	s_addc_u32 s3, s3, __assert_fail@rel32@hi+12
	s_swappc_b64 s[30:31], s[2:3]
	.section	.rodata,"a",@progbits
	.p2align	6, 0x0
	.amdhsa_kernel _Z38paged_attention_ll4mi_QKV_mfma4_kernelI14__hip_bfloat16hLN4vllm18Fp8KVCacheDataTypeE1ES0_Li32ELi64ELi256ELb0ELi2EEvPKT_PKT0_S8_ifPKiSA_SA_iPKfiiiPfSD_PS3_PT2_iSC_SC_
		.amdhsa_group_segment_fixed_size 0
		.amdhsa_private_segment_fixed_size 64
		.amdhsa_kernarg_size 400
		.amdhsa_user_sgpr_count 15
		.amdhsa_user_sgpr_dispatch_ptr 0
		.amdhsa_user_sgpr_queue_ptr 0
		.amdhsa_user_sgpr_kernarg_segment_ptr 1
		.amdhsa_user_sgpr_dispatch_id 0
		.amdhsa_user_sgpr_private_segment_size 0
		.amdhsa_wavefront_size32 1
		.amdhsa_uses_dynamic_stack 0
		.amdhsa_enable_private_segment 1
		.amdhsa_system_sgpr_workgroup_id_x 1
		.amdhsa_system_sgpr_workgroup_id_y 0
		.amdhsa_system_sgpr_workgroup_id_z 0
		.amdhsa_system_sgpr_workgroup_info 0
		.amdhsa_system_vgpr_workitem_id 0
		.amdhsa_next_free_vgpr 41
		.amdhsa_next_free_sgpr 34
		.amdhsa_reserve_vcc 1
		.amdhsa_float_round_mode_32 0
		.amdhsa_float_round_mode_16_64 0
		.amdhsa_float_denorm_mode_32 3
		.amdhsa_float_denorm_mode_16_64 3
		.amdhsa_dx10_clamp 1
		.amdhsa_ieee_mode 1
		.amdhsa_fp16_overflow 0
		.amdhsa_workgroup_processor_mode 1
		.amdhsa_memory_ordered 1
		.amdhsa_forward_progress 0
		.amdhsa_shared_vgpr_count 0
		.amdhsa_exception_fp_ieee_invalid_op 0
		.amdhsa_exception_fp_denorm_src 0
		.amdhsa_exception_fp_ieee_div_zero 0
		.amdhsa_exception_fp_ieee_overflow 0
		.amdhsa_exception_fp_ieee_underflow 0
		.amdhsa_exception_fp_ieee_inexact 0
		.amdhsa_exception_int_div_zero 0
	.end_amdhsa_kernel
	.section	.text._Z38paged_attention_ll4mi_QKV_mfma4_kernelI14__hip_bfloat16hLN4vllm18Fp8KVCacheDataTypeE1ES0_Li32ELi64ELi256ELb0ELi2EEvPKT_PKT0_S8_ifPKiSA_SA_iPKfiiiPfSD_PS3_PT2_iSC_SC_,"axG",@progbits,_Z38paged_attention_ll4mi_QKV_mfma4_kernelI14__hip_bfloat16hLN4vllm18Fp8KVCacheDataTypeE1ES0_Li32ELi64ELi256ELb0ELi2EEvPKT_PKT0_S8_ifPKiSA_SA_iPKfiiiPfSD_PS3_PT2_iSC_SC_,comdat
.Lfunc_end1487:
	.size	_Z38paged_attention_ll4mi_QKV_mfma4_kernelI14__hip_bfloat16hLN4vllm18Fp8KVCacheDataTypeE1ES0_Li32ELi64ELi256ELb0ELi2EEvPKT_PKT0_S8_ifPKiSA_SA_iPKfiiiPfSD_PS3_PT2_iSC_SC_, .Lfunc_end1487-_Z38paged_attention_ll4mi_QKV_mfma4_kernelI14__hip_bfloat16hLN4vllm18Fp8KVCacheDataTypeE1ES0_Li32ELi64ELi256ELb0ELi2EEvPKT_PKT0_S8_ifPKiSA_SA_iPKfiiiPfSD_PS3_PT2_iSC_SC_
                                        ; -- End function
	.section	.AMDGPU.csdata,"",@progbits
; Kernel info:
; codeLenInByte = 72
; NumSgprs: 36
; NumVgprs: 41
; ScratchSize: 64
; MemoryBound: 0
; FloatMode: 240
; IeeeMode: 1
; LDSByteSize: 0 bytes/workgroup (compile time only)
; SGPRBlocks: 4
; VGPRBlocks: 5
; NumSGPRsForWavesPerEU: 36
; NumVGPRsForWavesPerEU: 41
; Occupancy: 16
; WaveLimiterHint : 1
; COMPUTE_PGM_RSRC2:SCRATCH_EN: 1
; COMPUTE_PGM_RSRC2:USER_SGPR: 15
; COMPUTE_PGM_RSRC2:TRAP_HANDLER: 0
; COMPUTE_PGM_RSRC2:TGID_X_EN: 1
; COMPUTE_PGM_RSRC2:TGID_Y_EN: 0
; COMPUTE_PGM_RSRC2:TGID_Z_EN: 0
; COMPUTE_PGM_RSRC2:TIDIG_COMP_CNT: 0
	.section	.text._Z38paged_attention_ll4mi_QKV_mfma4_kernelI14__hip_bfloat16hLN4vllm18Fp8KVCacheDataTypeE1ES0_Li32ELi64ELi256ELb0ELi3EEvPKT_PKT0_S8_ifPKiSA_SA_iPKfiiiPfSD_PS3_PT2_iSC_SC_,"axG",@progbits,_Z38paged_attention_ll4mi_QKV_mfma4_kernelI14__hip_bfloat16hLN4vllm18Fp8KVCacheDataTypeE1ES0_Li32ELi64ELi256ELb0ELi3EEvPKT_PKT0_S8_ifPKiSA_SA_iPKfiiiPfSD_PS3_PT2_iSC_SC_,comdat
	.protected	_Z38paged_attention_ll4mi_QKV_mfma4_kernelI14__hip_bfloat16hLN4vllm18Fp8KVCacheDataTypeE1ES0_Li32ELi64ELi256ELb0ELi3EEvPKT_PKT0_S8_ifPKiSA_SA_iPKfiiiPfSD_PS3_PT2_iSC_SC_ ; -- Begin function _Z38paged_attention_ll4mi_QKV_mfma4_kernelI14__hip_bfloat16hLN4vllm18Fp8KVCacheDataTypeE1ES0_Li32ELi64ELi256ELb0ELi3EEvPKT_PKT0_S8_ifPKiSA_SA_iPKfiiiPfSD_PS3_PT2_iSC_SC_
	.globl	_Z38paged_attention_ll4mi_QKV_mfma4_kernelI14__hip_bfloat16hLN4vllm18Fp8KVCacheDataTypeE1ES0_Li32ELi64ELi256ELb0ELi3EEvPKT_PKT0_S8_ifPKiSA_SA_iPKfiiiPfSD_PS3_PT2_iSC_SC_
	.p2align	8
	.type	_Z38paged_attention_ll4mi_QKV_mfma4_kernelI14__hip_bfloat16hLN4vllm18Fp8KVCacheDataTypeE1ES0_Li32ELi64ELi256ELb0ELi3EEvPKT_PKT0_S8_ifPKiSA_SA_iPKfiiiPfSD_PS3_PT2_iSC_SC_,@function
_Z38paged_attention_ll4mi_QKV_mfma4_kernelI14__hip_bfloat16hLN4vllm18Fp8KVCacheDataTypeE1ES0_Li32ELi64ELi256ELb0ELi3EEvPKT_PKT0_S8_ifPKiSA_SA_iPKfiiiPfSD_PS3_PT2_iSC_SC_: ; @_Z38paged_attention_ll4mi_QKV_mfma4_kernelI14__hip_bfloat16hLN4vllm18Fp8KVCacheDataTypeE1ES0_Li32ELi64ELi256ELb0ELi3EEvPKT_PKT0_S8_ifPKiSA_SA_iPKfiiiPfSD_PS3_PT2_iSC_SC_
; %bb.0:
	s_add_u32 s8, s0, 0x90
	s_addc_u32 s9, s1, 0
	s_getpc_b64 s[0:1]
	s_add_u32 s0, s0, __PRETTY_FUNCTION__._Z38paged_attention_ll4mi_QKV_mfma4_kernelI14__hip_bfloat16hLN4vllm18Fp8KVCacheDataTypeE1ES0_Li32ELi64ELi256ELb0ELi3EEvPKT_PKT0_S8_ifPKiSA_SA_iPKfiiiPfSD_PS3_PT2_iSC_SC_@rel32@lo+4
	s_addc_u32 s1, s1, __PRETTY_FUNCTION__._Z38paged_attention_ll4mi_QKV_mfma4_kernelI14__hip_bfloat16hLN4vllm18Fp8KVCacheDataTypeE1ES0_Li32ELi64ELi256ELb0ELi3EEvPKT_PKT0_S8_ifPKiSA_SA_iPKfiiiPfSD_PS3_PT2_iSC_SC_@rel32@hi+12
	s_delay_alu instid0(SALU_CYCLE_1) | instskip(SKIP_4) | instid1(SALU_CYCLE_1)
	v_dual_mov_b32 v0, s0 :: v_dual_mov_b32 v1, s1
	s_mov_b32 s32, 0
	s_getpc_b64 s[2:3]
	s_add_u32 s2, s2, __assert_fail@rel32@lo+4
	s_addc_u32 s3, s3, __assert_fail@rel32@hi+12
	s_swappc_b64 s[30:31], s[2:3]
	.section	.rodata,"a",@progbits
	.p2align	6, 0x0
	.amdhsa_kernel _Z38paged_attention_ll4mi_QKV_mfma4_kernelI14__hip_bfloat16hLN4vllm18Fp8KVCacheDataTypeE1ES0_Li32ELi64ELi256ELb0ELi3EEvPKT_PKT0_S8_ifPKiSA_SA_iPKfiiiPfSD_PS3_PT2_iSC_SC_
		.amdhsa_group_segment_fixed_size 0
		.amdhsa_private_segment_fixed_size 64
		.amdhsa_kernarg_size 400
		.amdhsa_user_sgpr_count 15
		.amdhsa_user_sgpr_dispatch_ptr 0
		.amdhsa_user_sgpr_queue_ptr 0
		.amdhsa_user_sgpr_kernarg_segment_ptr 1
		.amdhsa_user_sgpr_dispatch_id 0
		.amdhsa_user_sgpr_private_segment_size 0
		.amdhsa_wavefront_size32 1
		.amdhsa_uses_dynamic_stack 0
		.amdhsa_enable_private_segment 1
		.amdhsa_system_sgpr_workgroup_id_x 1
		.amdhsa_system_sgpr_workgroup_id_y 0
		.amdhsa_system_sgpr_workgroup_id_z 0
		.amdhsa_system_sgpr_workgroup_info 0
		.amdhsa_system_vgpr_workitem_id 0
		.amdhsa_next_free_vgpr 41
		.amdhsa_next_free_sgpr 34
		.amdhsa_reserve_vcc 1
		.amdhsa_float_round_mode_32 0
		.amdhsa_float_round_mode_16_64 0
		.amdhsa_float_denorm_mode_32 3
		.amdhsa_float_denorm_mode_16_64 3
		.amdhsa_dx10_clamp 1
		.amdhsa_ieee_mode 1
		.amdhsa_fp16_overflow 0
		.amdhsa_workgroup_processor_mode 1
		.amdhsa_memory_ordered 1
		.amdhsa_forward_progress 0
		.amdhsa_shared_vgpr_count 0
		.amdhsa_exception_fp_ieee_invalid_op 0
		.amdhsa_exception_fp_denorm_src 0
		.amdhsa_exception_fp_ieee_div_zero 0
		.amdhsa_exception_fp_ieee_overflow 0
		.amdhsa_exception_fp_ieee_underflow 0
		.amdhsa_exception_fp_ieee_inexact 0
		.amdhsa_exception_int_div_zero 0
	.end_amdhsa_kernel
	.section	.text._Z38paged_attention_ll4mi_QKV_mfma4_kernelI14__hip_bfloat16hLN4vllm18Fp8KVCacheDataTypeE1ES0_Li32ELi64ELi256ELb0ELi3EEvPKT_PKT0_S8_ifPKiSA_SA_iPKfiiiPfSD_PS3_PT2_iSC_SC_,"axG",@progbits,_Z38paged_attention_ll4mi_QKV_mfma4_kernelI14__hip_bfloat16hLN4vllm18Fp8KVCacheDataTypeE1ES0_Li32ELi64ELi256ELb0ELi3EEvPKT_PKT0_S8_ifPKiSA_SA_iPKfiiiPfSD_PS3_PT2_iSC_SC_,comdat
.Lfunc_end1488:
	.size	_Z38paged_attention_ll4mi_QKV_mfma4_kernelI14__hip_bfloat16hLN4vllm18Fp8KVCacheDataTypeE1ES0_Li32ELi64ELi256ELb0ELi3EEvPKT_PKT0_S8_ifPKiSA_SA_iPKfiiiPfSD_PS3_PT2_iSC_SC_, .Lfunc_end1488-_Z38paged_attention_ll4mi_QKV_mfma4_kernelI14__hip_bfloat16hLN4vllm18Fp8KVCacheDataTypeE1ES0_Li32ELi64ELi256ELb0ELi3EEvPKT_PKT0_S8_ifPKiSA_SA_iPKfiiiPfSD_PS3_PT2_iSC_SC_
                                        ; -- End function
	.section	.AMDGPU.csdata,"",@progbits
; Kernel info:
; codeLenInByte = 72
; NumSgprs: 36
; NumVgprs: 41
; ScratchSize: 64
; MemoryBound: 0
; FloatMode: 240
; IeeeMode: 1
; LDSByteSize: 0 bytes/workgroup (compile time only)
; SGPRBlocks: 4
; VGPRBlocks: 5
; NumSGPRsForWavesPerEU: 36
; NumVGPRsForWavesPerEU: 41
; Occupancy: 16
; WaveLimiterHint : 1
; COMPUTE_PGM_RSRC2:SCRATCH_EN: 1
; COMPUTE_PGM_RSRC2:USER_SGPR: 15
; COMPUTE_PGM_RSRC2:TRAP_HANDLER: 0
; COMPUTE_PGM_RSRC2:TGID_X_EN: 1
; COMPUTE_PGM_RSRC2:TGID_Y_EN: 0
; COMPUTE_PGM_RSRC2:TGID_Z_EN: 0
; COMPUTE_PGM_RSRC2:TIDIG_COMP_CNT: 0
	.section	.text._Z38paged_attention_ll4mi_QKV_mfma4_kernelI14__hip_bfloat16hLN4vllm18Fp8KVCacheDataTypeE1ES0_Li32ELi64ELi256ELb0ELi4EEvPKT_PKT0_S8_ifPKiSA_SA_iPKfiiiPfSD_PS3_PT2_iSC_SC_,"axG",@progbits,_Z38paged_attention_ll4mi_QKV_mfma4_kernelI14__hip_bfloat16hLN4vllm18Fp8KVCacheDataTypeE1ES0_Li32ELi64ELi256ELb0ELi4EEvPKT_PKT0_S8_ifPKiSA_SA_iPKfiiiPfSD_PS3_PT2_iSC_SC_,comdat
	.protected	_Z38paged_attention_ll4mi_QKV_mfma4_kernelI14__hip_bfloat16hLN4vllm18Fp8KVCacheDataTypeE1ES0_Li32ELi64ELi256ELb0ELi4EEvPKT_PKT0_S8_ifPKiSA_SA_iPKfiiiPfSD_PS3_PT2_iSC_SC_ ; -- Begin function _Z38paged_attention_ll4mi_QKV_mfma4_kernelI14__hip_bfloat16hLN4vllm18Fp8KVCacheDataTypeE1ES0_Li32ELi64ELi256ELb0ELi4EEvPKT_PKT0_S8_ifPKiSA_SA_iPKfiiiPfSD_PS3_PT2_iSC_SC_
	.globl	_Z38paged_attention_ll4mi_QKV_mfma4_kernelI14__hip_bfloat16hLN4vllm18Fp8KVCacheDataTypeE1ES0_Li32ELi64ELi256ELb0ELi4EEvPKT_PKT0_S8_ifPKiSA_SA_iPKfiiiPfSD_PS3_PT2_iSC_SC_
	.p2align	8
	.type	_Z38paged_attention_ll4mi_QKV_mfma4_kernelI14__hip_bfloat16hLN4vllm18Fp8KVCacheDataTypeE1ES0_Li32ELi64ELi256ELb0ELi4EEvPKT_PKT0_S8_ifPKiSA_SA_iPKfiiiPfSD_PS3_PT2_iSC_SC_,@function
_Z38paged_attention_ll4mi_QKV_mfma4_kernelI14__hip_bfloat16hLN4vllm18Fp8KVCacheDataTypeE1ES0_Li32ELi64ELi256ELb0ELi4EEvPKT_PKT0_S8_ifPKiSA_SA_iPKfiiiPfSD_PS3_PT2_iSC_SC_: ; @_Z38paged_attention_ll4mi_QKV_mfma4_kernelI14__hip_bfloat16hLN4vllm18Fp8KVCacheDataTypeE1ES0_Li32ELi64ELi256ELb0ELi4EEvPKT_PKT0_S8_ifPKiSA_SA_iPKfiiiPfSD_PS3_PT2_iSC_SC_
; %bb.0:
	s_add_u32 s8, s0, 0x90
	s_addc_u32 s9, s1, 0
	s_getpc_b64 s[0:1]
	s_add_u32 s0, s0, __PRETTY_FUNCTION__._Z38paged_attention_ll4mi_QKV_mfma4_kernelI14__hip_bfloat16hLN4vllm18Fp8KVCacheDataTypeE1ES0_Li32ELi64ELi256ELb0ELi4EEvPKT_PKT0_S8_ifPKiSA_SA_iPKfiiiPfSD_PS3_PT2_iSC_SC_@rel32@lo+4
	s_addc_u32 s1, s1, __PRETTY_FUNCTION__._Z38paged_attention_ll4mi_QKV_mfma4_kernelI14__hip_bfloat16hLN4vllm18Fp8KVCacheDataTypeE1ES0_Li32ELi64ELi256ELb0ELi4EEvPKT_PKT0_S8_ifPKiSA_SA_iPKfiiiPfSD_PS3_PT2_iSC_SC_@rel32@hi+12
	s_delay_alu instid0(SALU_CYCLE_1) | instskip(SKIP_4) | instid1(SALU_CYCLE_1)
	v_dual_mov_b32 v0, s0 :: v_dual_mov_b32 v1, s1
	s_mov_b32 s32, 0
	s_getpc_b64 s[2:3]
	s_add_u32 s2, s2, __assert_fail@rel32@lo+4
	s_addc_u32 s3, s3, __assert_fail@rel32@hi+12
	s_swappc_b64 s[30:31], s[2:3]
	.section	.rodata,"a",@progbits
	.p2align	6, 0x0
	.amdhsa_kernel _Z38paged_attention_ll4mi_QKV_mfma4_kernelI14__hip_bfloat16hLN4vllm18Fp8KVCacheDataTypeE1ES0_Li32ELi64ELi256ELb0ELi4EEvPKT_PKT0_S8_ifPKiSA_SA_iPKfiiiPfSD_PS3_PT2_iSC_SC_
		.amdhsa_group_segment_fixed_size 0
		.amdhsa_private_segment_fixed_size 64
		.amdhsa_kernarg_size 400
		.amdhsa_user_sgpr_count 15
		.amdhsa_user_sgpr_dispatch_ptr 0
		.amdhsa_user_sgpr_queue_ptr 0
		.amdhsa_user_sgpr_kernarg_segment_ptr 1
		.amdhsa_user_sgpr_dispatch_id 0
		.amdhsa_user_sgpr_private_segment_size 0
		.amdhsa_wavefront_size32 1
		.amdhsa_uses_dynamic_stack 0
		.amdhsa_enable_private_segment 1
		.amdhsa_system_sgpr_workgroup_id_x 1
		.amdhsa_system_sgpr_workgroup_id_y 0
		.amdhsa_system_sgpr_workgroup_id_z 0
		.amdhsa_system_sgpr_workgroup_info 0
		.amdhsa_system_vgpr_workitem_id 0
		.amdhsa_next_free_vgpr 41
		.amdhsa_next_free_sgpr 34
		.amdhsa_reserve_vcc 1
		.amdhsa_float_round_mode_32 0
		.amdhsa_float_round_mode_16_64 0
		.amdhsa_float_denorm_mode_32 3
		.amdhsa_float_denorm_mode_16_64 3
		.amdhsa_dx10_clamp 1
		.amdhsa_ieee_mode 1
		.amdhsa_fp16_overflow 0
		.amdhsa_workgroup_processor_mode 1
		.amdhsa_memory_ordered 1
		.amdhsa_forward_progress 0
		.amdhsa_shared_vgpr_count 0
		.amdhsa_exception_fp_ieee_invalid_op 0
		.amdhsa_exception_fp_denorm_src 0
		.amdhsa_exception_fp_ieee_div_zero 0
		.amdhsa_exception_fp_ieee_overflow 0
		.amdhsa_exception_fp_ieee_underflow 0
		.amdhsa_exception_fp_ieee_inexact 0
		.amdhsa_exception_int_div_zero 0
	.end_amdhsa_kernel
	.section	.text._Z38paged_attention_ll4mi_QKV_mfma4_kernelI14__hip_bfloat16hLN4vllm18Fp8KVCacheDataTypeE1ES0_Li32ELi64ELi256ELb0ELi4EEvPKT_PKT0_S8_ifPKiSA_SA_iPKfiiiPfSD_PS3_PT2_iSC_SC_,"axG",@progbits,_Z38paged_attention_ll4mi_QKV_mfma4_kernelI14__hip_bfloat16hLN4vllm18Fp8KVCacheDataTypeE1ES0_Li32ELi64ELi256ELb0ELi4EEvPKT_PKT0_S8_ifPKiSA_SA_iPKfiiiPfSD_PS3_PT2_iSC_SC_,comdat
.Lfunc_end1489:
	.size	_Z38paged_attention_ll4mi_QKV_mfma4_kernelI14__hip_bfloat16hLN4vllm18Fp8KVCacheDataTypeE1ES0_Li32ELi64ELi256ELb0ELi4EEvPKT_PKT0_S8_ifPKiSA_SA_iPKfiiiPfSD_PS3_PT2_iSC_SC_, .Lfunc_end1489-_Z38paged_attention_ll4mi_QKV_mfma4_kernelI14__hip_bfloat16hLN4vllm18Fp8KVCacheDataTypeE1ES0_Li32ELi64ELi256ELb0ELi4EEvPKT_PKT0_S8_ifPKiSA_SA_iPKfiiiPfSD_PS3_PT2_iSC_SC_
                                        ; -- End function
	.section	.AMDGPU.csdata,"",@progbits
; Kernel info:
; codeLenInByte = 72
; NumSgprs: 36
; NumVgprs: 41
; ScratchSize: 64
; MemoryBound: 0
; FloatMode: 240
; IeeeMode: 1
; LDSByteSize: 0 bytes/workgroup (compile time only)
; SGPRBlocks: 4
; VGPRBlocks: 5
; NumSGPRsForWavesPerEU: 36
; NumVGPRsForWavesPerEU: 41
; Occupancy: 16
; WaveLimiterHint : 1
; COMPUTE_PGM_RSRC2:SCRATCH_EN: 1
; COMPUTE_PGM_RSRC2:USER_SGPR: 15
; COMPUTE_PGM_RSRC2:TRAP_HANDLER: 0
; COMPUTE_PGM_RSRC2:TGID_X_EN: 1
; COMPUTE_PGM_RSRC2:TGID_Y_EN: 0
; COMPUTE_PGM_RSRC2:TGID_Z_EN: 0
; COMPUTE_PGM_RSRC2:TIDIG_COMP_CNT: 0
	.section	.text._Z39paged_attention_ll4mi_QKV_mfma16_kernelI14__hip_bfloat16hLN4vllm18Fp8KVCacheDataTypeE1ES0_Li32ELi64ELi256ELb0ELi5EL8MFMAType1EEvPKT_PKT0_S9_ifPKiSB_SB_iPKfiiiPfSE_PS4_PT2_iSD_SD_,"axG",@progbits,_Z39paged_attention_ll4mi_QKV_mfma16_kernelI14__hip_bfloat16hLN4vllm18Fp8KVCacheDataTypeE1ES0_Li32ELi64ELi256ELb0ELi5EL8MFMAType1EEvPKT_PKT0_S9_ifPKiSB_SB_iPKfiiiPfSE_PS4_PT2_iSD_SD_,comdat
	.protected	_Z39paged_attention_ll4mi_QKV_mfma16_kernelI14__hip_bfloat16hLN4vllm18Fp8KVCacheDataTypeE1ES0_Li32ELi64ELi256ELb0ELi5EL8MFMAType1EEvPKT_PKT0_S9_ifPKiSB_SB_iPKfiiiPfSE_PS4_PT2_iSD_SD_ ; -- Begin function _Z39paged_attention_ll4mi_QKV_mfma16_kernelI14__hip_bfloat16hLN4vllm18Fp8KVCacheDataTypeE1ES0_Li32ELi64ELi256ELb0ELi5EL8MFMAType1EEvPKT_PKT0_S9_ifPKiSB_SB_iPKfiiiPfSE_PS4_PT2_iSD_SD_
	.globl	_Z39paged_attention_ll4mi_QKV_mfma16_kernelI14__hip_bfloat16hLN4vllm18Fp8KVCacheDataTypeE1ES0_Li32ELi64ELi256ELb0ELi5EL8MFMAType1EEvPKT_PKT0_S9_ifPKiSB_SB_iPKfiiiPfSE_PS4_PT2_iSD_SD_
	.p2align	8
	.type	_Z39paged_attention_ll4mi_QKV_mfma16_kernelI14__hip_bfloat16hLN4vllm18Fp8KVCacheDataTypeE1ES0_Li32ELi64ELi256ELb0ELi5EL8MFMAType1EEvPKT_PKT0_S9_ifPKiSB_SB_iPKfiiiPfSE_PS4_PT2_iSD_SD_,@function
_Z39paged_attention_ll4mi_QKV_mfma16_kernelI14__hip_bfloat16hLN4vllm18Fp8KVCacheDataTypeE1ES0_Li32ELi64ELi256ELb0ELi5EL8MFMAType1EEvPKT_PKT0_S9_ifPKiSB_SB_iPKfiiiPfSE_PS4_PT2_iSD_SD_: ; @_Z39paged_attention_ll4mi_QKV_mfma16_kernelI14__hip_bfloat16hLN4vllm18Fp8KVCacheDataTypeE1ES0_Li32ELi64ELi256ELb0ELi5EL8MFMAType1EEvPKT_PKT0_S9_ifPKiSB_SB_iPKfiiiPfSE_PS4_PT2_iSD_SD_
; %bb.0:
	s_load_b64 s[2:3], s[0:1], 0x30
	s_mov_b32 s34, s13
	s_waitcnt lgkmcnt(0)
	s_cmp_lg_u64 s[2:3], 0
	s_cselect_b32 s8, -1, 0
	s_ashr_i32 s35, s13, 31
	s_cmp_eq_u64 s[2:3], 0
	s_cbranch_scc1 .LBB1490_3
; %bb.1:
	s_lshl_b64 s[4:5], s[34:35], 2
	s_delay_alu instid0(SALU_CYCLE_1) | instskip(SKIP_4) | instid1(SALU_CYCLE_1)
	s_add_u32 s4, s2, s4
	s_addc_u32 s5, s3, s5
	s_load_b64 s[4:5], s[4:5], 0x0
	s_waitcnt lgkmcnt(0)
	s_sub_i32 s4, s5, s4
	s_cmp_eq_u32 s4, 1
	s_cselect_b32 s4, -1, 0
	s_delay_alu instid0(SALU_CYCLE_1)
	s_and_not1_b32 vcc_lo, exec_lo, s4
	s_cbranch_vccz .LBB1490_4
.LBB1490_2:
	s_nop 0
	s_sendmsg sendmsg(MSG_DEALLOC_VGPRS)
	s_endpgm
.LBB1490_3:
.LBB1490_4:
	s_load_b64 s[4:5], s[0:1], 0x28
	s_lshl_b64 s[6:7], s[34:35], 2
	s_waitcnt lgkmcnt(0)
	s_add_u32 s4, s4, s6
	s_addc_u32 s5, s5, s7
	s_lshl_b32 s12, s14, 8
	s_load_b32 s24, s[4:5], 0x0
	s_waitcnt lgkmcnt(0)
	s_cmp_ge_i32 s12, s24
	s_cbranch_scc1 .LBB1490_2
; %bb.5:
	s_clause 0x1
	s_load_b128 s[20:23], s[0:1], 0x8
	s_load_b64 s[4:5], s[0:1], 0x20
	s_and_not1_b32 vcc_lo, exec_lo, s8
	s_cbranch_vccnz .LBB1490_7
; %bb.6:
	s_add_u32 s2, s2, s6
	s_addc_u32 s3, s3, s7
	s_load_b32 s3, s[2:3], 0x0
	s_branch .LBB1490_8
.LBB1490_7:
	s_mov_b32 s3, s34
.LBB1490_8:
	s_load_b128 s[16:19], s[0:1], 0x48
	v_lshrrev_b32_e32 v66, 5, v0
	v_bfe_u32 v74, v0, 4, 1
	v_and_b32_e32 v65, 15, v0
	v_and_b32_e32 v67, 31, v0
	;; [unrolled: 1-line block ×3, first 2 shown]
	s_mul_i32 s31, s15, 5
	v_lshl_or_b32 v1, v66, 1, v74
	v_lshlrev_b32_e32 v2, 3, v65
	v_cmp_gt_u32_e64 s2, 8, v65
	s_delay_alu instid0(VALU_DEP_3) | instskip(NEXT) | instid1(VALU_DEP_3)
	v_cmp_gt_u32_e32 vcc_lo, 5, v1
	v_lshlrev_b32_e32 v73, 1, v2
	s_delay_alu instid0(VALU_DEP_3) | instskip(NEXT) | instid1(SALU_CYCLE_1)
	s_and_b32 s7, s2, vcc_lo
	s_and_saveexec_b32 s6, s7
	s_cbranch_execz .LBB1490_10
; %bb.9:
	s_load_b64 s[8:9], s[0:1], 0x0
	v_add_lshl_u32 v2, v1, s31, 6
	s_waitcnt lgkmcnt(0)
	s_mul_hi_i32 s11, s3, s16
	s_mul_i32 s10, s3, s16
	v_lshlrev_b32_e32 v6, 10, v65
	s_lshl_b64 s[10:11], s[10:11], 1
	v_ashrrev_i32_e32 v3, 31, v2
	v_lshlrev_b32_e32 v1, 6, v1
	v_lshlrev_b32_e32 v7, 10, v75
	v_and_b32_e32 v6, 0x3800, v6
	s_delay_alu instid0(VALU_DEP_4) | instskip(NEXT) | instid1(VALU_DEP_2)
	v_lshlrev_b64 v[2:3], 1, v[2:3]
	v_or3_b32 v1, v6, v7, v1
	s_add_u32 s3, s8, s10
	s_addc_u32 s7, s9, s11
	s_delay_alu instid0(VALU_DEP_2) | instskip(NEXT) | instid1(VALU_DEP_3)
	v_add_co_u32 v2, vcc_lo, s3, v2
	v_add_co_ci_u32_e32 v3, vcc_lo, s7, v3, vcc_lo
	s_delay_alu instid0(VALU_DEP_2) | instskip(NEXT) | instid1(VALU_DEP_2)
	v_add_co_u32 v2, vcc_lo, v2, v73
	v_add_co_ci_u32_e32 v3, vcc_lo, 0, v3, vcc_lo
	global_load_b128 v[2:5], v[2:3], off
	s_waitcnt vmcnt(0)
	ds_store_b128 v1, v[2:5]
.LBB1490_10:
	s_or_b32 exec_lo, exec_lo, s6
	v_and_b32_e32 v1, 0xef, v0
	s_waitcnt lgkmcnt(0)
	s_add_i32 s3, s24, 31
	s_clause 0x1
	s_load_b32 s6, s[0:1], 0x38
	s_load_b32 s19, s[0:1], 0x1c
	s_ashr_i32 s7, s3, 31
	v_add_nc_u32_e32 v1, s12, v1
	s_lshr_b32 s7, s7, 27
	s_waitcnt lgkmcnt(0)
	s_add_i32 s3, s3, s7
	s_barrier
	v_ashrrev_i32_e32 v2, 31, v1
	v_or_b32_e32 v3, 16, v1
	s_ashr_i32 s3, s3, 5
	v_cmp_gt_i32_e32 vcc_lo, s24, v1
	s_add_i32 s3, s3, -1
	v_lshrrev_b32_e32 v2, 27, v2
	buffer_gl0_inv
	s_mul_i32 s27, s15, s18
	v_add_nc_u32_e32 v4, v1, v2
	s_mul_i32 s6, s34, s6
	s_delay_alu instid0(SALU_CYCLE_1) | instskip(NEXT) | instid1(VALU_DEP_1)
	s_ashr_i32 s7, s6, 31
	v_ashrrev_i32_e32 v4, 5, v4
	v_add_nc_u32_e32 v2, v3, v2
	s_lshl_b64 s[6:7], s[6:7], 2
	s_delay_alu instid0(SALU_CYCLE_1) | instskip(NEXT) | instid1(VALU_DEP_2)
	s_add_u32 s26, s4, s6
	v_cndmask_b32_e32 v1, s3, v4, vcc_lo
	s_delay_alu instid0(VALU_DEP_2)
	v_ashrrev_i32_e32 v2, 5, v2
	v_cmp_gt_i32_e32 vcc_lo, s24, v3
	s_addc_u32 s25, s5, s7
	s_ashr_i32 s28, s27, 31
	s_add_u32 s4, s20, s27
	s_addc_u32 s5, s21, s28
	v_cndmask_b32_e32 v3, s3, v2, vcc_lo
	v_ashrrev_i32_e32 v2, 31, v1
	s_lshl_b32 s6, s14, 3
	s_delay_alu instid0(SALU_CYCLE_1) | instskip(NEXT) | instid1(VALU_DEP_2)
	s_ashr_i32 s7, s6, 31
	v_ashrrev_i32_e32 v4, 31, v3
	s_delay_alu instid0(VALU_DEP_2) | instskip(SKIP_1) | instid1(SALU_CYCLE_1)
	v_lshlrev_b64 v[1:2], 2, v[1:2]
	s_lshl_b64 s[6:7], s[6:7], 2
	s_add_u32 s6, s26, s6
	s_delay_alu instid0(VALU_DEP_2) | instskip(SKIP_1) | instid1(VALU_DEP_2)
	v_lshlrev_b64 v[3:4], 2, v[3:4]
	s_addc_u32 s7, s25, s7
	v_add_co_u32 v1, vcc_lo, s26, v1
	v_add_co_ci_u32_e32 v2, vcc_lo, s25, v2, vcc_lo
	s_delay_alu instid0(VALU_DEP_3) | instskip(NEXT) | instid1(VALU_DEP_4)
	v_add_co_u32 v3, vcc_lo, s26, v3
	v_add_co_ci_u32_e32 v4, vcc_lo, s25, v4, vcc_lo
	s_clause 0x1
	global_load_b32 v5, v[1:2], off
	global_load_b32 v6, v[3:4], off
	s_or_b32 s8, s12, 32
	s_delay_alu instid0(SALU_CYCLE_1) | instskip(SKIP_2) | instid1(SALU_CYCLE_1)
	s_ashr_i32 s9, s8, 5
	s_cmp_lt_i32 s8, s24
	s_cselect_b32 s8, s9, s3
	s_ashr_i32 s9, s8, 31
	s_delay_alu instid0(SALU_CYCLE_1) | instskip(NEXT) | instid1(SALU_CYCLE_1)
	s_lshl_b64 s[8:9], s[8:9], 2
	s_add_u32 s8, s26, s8
	s_addc_u32 s9, s25, s9
	s_or_b32 s10, s12, 64
	s_delay_alu instid0(SALU_CYCLE_1) | instskip(SKIP_2) | instid1(SALU_CYCLE_1)
	s_ashr_i32 s11, s10, 5
	s_cmp_lt_i32 s10, s24
	s_cselect_b32 s10, s11, s3
	s_ashr_i32 s11, s10, 31
	s_delay_alu instid0(SALU_CYCLE_1) | instskip(NEXT) | instid1(SALU_CYCLE_1)
	s_lshl_b64 s[10:11], s[10:11], 2
	s_add_u32 s10, s26, s10
	s_addc_u32 s11, s25, s11
	;; [unrolled: 10-line block ×5, first 2 shown]
	s_clause 0x5
	s_load_b32 s21, s[6:7], 0x0
	s_load_b32 s13, s[8:9], 0x0
	;; [unrolled: 1-line block ×6, first 2 shown]
	s_or_b32 s9, s12, 0xc0
	s_delay_alu instid0(SALU_CYCLE_1) | instskip(SKIP_2) | instid1(SALU_CYCLE_1)
	s_ashr_i32 s10, s9, 5
	s_cmp_lt_i32 s9, s24
	s_cselect_b32 s36, s10, s3
	s_ashr_i32 s37, s36, 31
	s_delay_alu instid0(SALU_CYCLE_1) | instskip(NEXT) | instid1(SALU_CYCLE_1)
	s_lshl_b64 s[36:37], s[36:37], 2
	s_add_u32 s36, s26, s36
	s_addc_u32 s37, s25, s37
	s_or_b32 s29, s12, 0xe0
	s_delay_alu instid0(SALU_CYCLE_1)
	s_ashr_i32 s30, s29, 5
	s_cmp_lt_i32 s29, s24
	s_waitcnt vmcnt(1)
	v_mad_i64_i32 v[1:2], null, v5, s17, s[4:5]
	s_waitcnt vmcnt(0)
	v_mad_i64_i32 v[3:4], null, v6, s17, s[4:5]
	s_mov_b32 s4, 0
	s_delay_alu instid0(SALU_CYCLE_1)
	s_mov_b32 s5, s4
	s_mov_b32 s6, s4
	;; [unrolled: 1-line block ×7, first 2 shown]
	v_lshlrev_b32_e32 v5, 4, v65
	v_dual_mov_b32 v107, s11 :: v_dual_mov_b32 v102, s6
	v_mov_b32_e32 v106, s10
	v_mov_b32_e32 v104, s8
	s_delay_alu instid0(VALU_DEP_4)
	v_add_co_u32 v1, vcc_lo, v1, v5
	v_add_co_ci_u32_e32 v2, vcc_lo, 0, v2, vcc_lo
	v_add_co_u32 v3, vcc_lo, v3, v5
	v_add_co_ci_u32_e32 v4, vcc_lo, 0, v4, vcc_lo
	s_clause 0x7
	global_load_b128 v[49:52], v[1:2], off
	global_load_b128 v[53:56], v[1:2], off offset:512
	global_load_b128 v[76:79], v[3:4], off offset:256
	;; [unrolled: 1-line block ×7, first 2 shown]
	v_mul_lo_u16 v1, v65, 52
	v_mov_b32_e32 v103, s7
	v_dual_mov_b32 v101, s5 :: v_dual_lshlrev_b32 v2, 5, v65
	v_mov_b32_e32 v100, s4
	s_delay_alu instid0(VALU_DEP_4) | instskip(NEXT) | instid1(VALU_DEP_3)
	v_lshrrev_b16 v1, 8, v1
	v_lshl_or_b32 v2, v66, 9, v2
	s_delay_alu instid0(VALU_DEP_2) | instskip(NEXT) | instid1(VALU_DEP_1)
	v_mul_lo_u16 v1, v1, 5
	v_sub_nc_u16 v1, v65, v1
	s_delay_alu instid0(VALU_DEP_1)
	v_and_b32_e32 v1, 0xff, v1
	v_mov_b32_e32 v105, s9
	s_cselect_b32 s4, s30, s3
	s_load_b32 s3, s[36:37], 0x0
	s_ashr_i32 s5, s4, 31
	v_lshlrev_b32_e32 v70, 6, v1
	s_lshl_b64 s[4:5], s[4:5], 2
	ds_load_b128 v[108:111], v70
	ds_load_b128 v[112:115], v70 offset:1024
	s_add_u32 s4, s26, s4
	s_addc_u32 s5, s25, s5
	s_add_u32 s6, s22, s27
	s_load_b32 s4, s[4:5], 0x0
	s_addc_u32 s7, s23, s28
	v_add_co_u32 v9, s6, s6, v2
	s_delay_alu instid0(VALU_DEP_1) | instskip(SKIP_1) | instid1(VALU_DEP_1)
	v_add_co_ci_u32_e64 v10, null, s7, 0, s6
	s_waitcnt lgkmcnt(0)
	v_mad_i64_i32 v[1:2], null, s21, s17, v[9:10]
	v_mad_i64_i32 v[3:4], null, s13, s17, v[9:10]
	;; [unrolled: 1-line block ×7, first 2 shown]
	s_clause 0x9
	global_load_b128 v[57:60], v[1:2], off
	global_load_b128 v[61:64], v[1:2], off offset:16
	global_load_b128 v[41:44], v[3:4], off
	global_load_b128 v[45:48], v[3:4], off offset:16
	;; [unrolled: 2-line block ×5, first 2 shown]
	v_mad_i64_i32 v[68:69], null, s4, s17, v[9:10]
	s_clause 0x3
	global_load_b128 v[9:12], v[13:14], off
	global_load_b128 v[13:16], v[13:14], off offset:16
	global_load_b128 v[17:20], v[21:22], off
	global_load_b128 v[21:24], v[21:22], off offset:16
	s_waitcnt vmcnt(20)
	v_wmma_f32_16x16x16_bf16 v[116:123], v[49:56], v[108:115], v[100:107]
	s_clause 0x1
	global_load_b128 v[49:52], v[68:69], off
	global_load_b128 v[53:56], v[68:69], off offset:16
	v_and_b32_e32 v68, 0xe0, v0
	v_mbcnt_lo_u32_b32 v69, -1, 0
	s_delay_alu instid0(VALU_DEP_2)
	v_add_nc_u32_e32 v68, s12, v68
	s_waitcnt vmcnt(20)
	v_wmma_f32_16x16x16_bf16 v[100:107], v[76:83], v[108:115], v[100:107]
	ds_load_b128 v[76:79], v70 offset:2048
	ds_load_b128 v[80:83], v70 offset:3072
	v_xor_b32_e32 v70, 16, v69
	s_waitcnt vmcnt(0) lgkmcnt(0)
	v_or_b32_e32 v68, v68, v74
	s_barrier
	buffer_gl0_inv
	v_cmp_gt_i32_e32 vcc_lo, 32, v70
	v_or_b32_e32 v71, 4, v68
	v_or_b32_e32 v72, 6, v68
	v_cmp_gt_i32_e64 s3, s24, v68
	v_or_b32_e32 v108, 8, v68
	v_or_b32_e32 v109, 10, v68
	v_cmp_gt_i32_e64 s4, s24, v71
	v_cmp_gt_i32_e64 s5, s24, v72
	s_delay_alu instid0(VALU_DEP_4) | instskip(NEXT) | instid1(VALU_DEP_4)
	v_cmp_gt_i32_e64 s6, s24, v108
	v_cmp_gt_i32_e64 s7, s24, v109
	v_wmma_f32_16x16x16_bf16 v[116:123], v[84:91], v[76:83], v[116:123]
	v_cndmask_b32_e32 v69, v69, v70, vcc_lo
	v_or_b32_e32 v70, 2, v68
	v_wmma_f32_16x16x16_bf16 v[100:107], v[92:99], v[76:83], v[100:107]
	v_or_b32_e32 v84, 12, v68
	v_dual_mul_f32 v78, s19, v123 :: v_dual_mul_f32 v83, s19, v118
	v_dual_mul_f32 v92, s19, v117 :: v_dual_mul_f32 v93, s19, v116
	s_delay_alu instid0(VALU_DEP_4) | instskip(SKIP_2) | instid1(VALU_DEP_4)
	v_mul_f32_e32 v94, s19, v107
	v_cmp_gt_i32_e32 vcc_lo, s24, v70
	v_dual_mul_f32 v81, s19, v120 :: v_dual_mul_f32 v82, s19, v119
	v_cndmask_b32_e64 v93, 0xff7fffff, v93, s3
	v_or_b32_e32 v85, 14, v68
	v_cndmask_b32_e32 v92, 0xff7fffff, v92, vcc_lo
	v_dual_mul_f32 v79, s19, v122 :: v_dual_mul_f32 v80, s19, v121
	v_cndmask_b32_e64 v71, 0xff7fffff, v83, s4
	v_cndmask_b32_e64 v72, 0xff7fffff, v82, s5
	s_delay_alu instid0(VALU_DEP_4)
	v_max3_f32 v82, v93, 0xff7fffff, v92
	v_or_b32_e32 v86, 16, v68
	v_or_b32_e32 v87, 18, v68
	v_cndmask_b32_e64 v81, 0xff7fffff, v81, s6
	v_cndmask_b32_e64 v80, 0xff7fffff, v80, s7
	v_max3_f32 v71, v82, v71, v72
	v_cmp_gt_i32_e64 s8, s24, v84
	v_cmp_gt_i32_e64 s9, s24, v85
	v_or_b32_e32 v88, 20, v68
	v_or_b32_e32 v89, 22, v68
	v_or_b32_e32 v90, 24, v68
	v_or_b32_e32 v91, 26, v68
	v_or_b32_e32 v76, 28, v68
	v_or_b32_e32 v77, 30, v68
	v_dual_mul_f32 v99, s19, v102 :: v_dual_mul_f32 v70, s19, v101
	v_mul_f32_e32 v68, s19, v100
	v_cndmask_b32_e64 v72, 0xff7fffff, v79, s8
	v_cndmask_b32_e64 v78, 0xff7fffff, v78, s9
	v_max3_f32 v71, v71, v81, v80
	v_cmp_gt_i32_e64 s10, s24, v86
	v_cmp_gt_i32_e64 s11, s24, v87
	v_dual_mul_f32 v97, s19, v104 :: v_dual_mul_f32 v98, s19, v103
	s_delay_alu instid0(VALU_DEP_4) | instskip(SKIP_1) | instid1(VALU_DEP_4)
	v_max3_f32 v71, v71, v72, v78
	v_cmp_gt_i32_e64 s12, s24, v88
	v_cndmask_b32_e64 v70, 0xff7fffff, v70, s11
	v_cmp_gt_i32_e64 s13, s24, v89
	v_lshlrev_b32_e32 v89, 2, v69
	v_cndmask_b32_e64 v68, 0xff7fffff, v68, s10
	v_dual_mul_f32 v95, s19, v106 :: v_dual_mul_f32 v96, s19, v105
	v_cndmask_b32_e64 v72, 0xff7fffff, v99, s12
	v_cndmask_b32_e64 v78, 0xff7fffff, v98, s13
	s_delay_alu instid0(VALU_DEP_4)
	v_max3_f32 v68, v71, v68, v70
	v_cmp_gt_i32_e64 s15, s24, v90
	v_cmp_gt_i32_e64 s16, s24, v91
	;; [unrolled: 1-line block ×4, first 2 shown]
	v_max3_f32 v68, v68, v72, v78
	v_cndmask_b32_e64 v70, 0xff7fffff, v97, s15
	v_cndmask_b32_e64 v71, 0xff7fffff, v96, s16
	;; [unrolled: 1-line block ×4, first 2 shown]
	s_delay_alu instid0(VALU_DEP_3) | instskip(NEXT) | instid1(VALU_DEP_1)
	v_max3_f32 v68, v68, v70, v71
	v_max3_f32 v68, v68, v72, v76
	ds_bpermute_b32 v69, v89, v68
	s_waitcnt lgkmcnt(0)
	v_max_f32_e32 v69, v69, v69
	s_delay_alu instid0(VALU_DEP_1) | instskip(NEXT) | instid1(VALU_DEP_1)
	v_max_f32_e32 v68, v68, v69
	v_fma_f32 v71, s19, v118, -v68
	s_delay_alu instid0(VALU_DEP_1)
	v_mul_f32_e32 v71, 0x3fb8aa3b, v71
	v_fma_f32 v69, s19, v116, -v68
	v_fma_f32 v70, s19, v117, -v68
	;; [unrolled: 1-line block ×4, first 2 shown]
	v_exp_f32_e32 v71, v71
	s_delay_alu instid0(VALU_DEP_3) | instskip(SKIP_2) | instid1(VALU_DEP_3)
	v_dual_mul_f32 v69, 0x3fb8aa3b, v69 :: v_dual_mul_f32 v70, 0x3fb8aa3b, v70
	v_fma_f32 v78, s19, v122, -v68
	v_fma_f32 v81, s19, v105, -v68
	v_exp_f32_e32 v69, v69
	s_delay_alu instid0(VALU_DEP_3) | instskip(SKIP_1) | instid1(VALU_DEP_2)
	v_exp_f32_e32 v70, v70
	v_mul_f32_e32 v77, 0x3fb8aa3b, v76
	v_mul_f32_e32 v81, 0x3fb8aa3b, v81
	s_delay_alu instid0(TRANS32_DEP_3) | instskip(SKIP_1) | instid1(VALU_DEP_3)
	v_cndmask_b32_e64 v83, 0, v71, s4
	v_fma_f32 v71, s19, v123, -v68
	v_exp_f32_e32 v81, v81
	s_delay_alu instid0(TRANS32_DEP_3) | instskip(NEXT) | instid1(TRANS32_DEP_2)
	v_cndmask_b32_e64 v80, 0, v69, s3
	v_cndmask_b32_e32 v76, 0, v70, vcc_lo
	v_fma_f32 v69, s19, v121, -v68
	v_mul_f32_e32 v72, 0x3fb8aa3b, v72
	v_exp_f32_e32 v77, v77
	v_dual_add_f32 v70, 0, v80 :: v_dual_mul_f32 v71, 0x3fb8aa3b, v71
	s_delay_alu instid0(VALU_DEP_3) | instskip(NEXT) | instid1(VALU_DEP_3)
	v_mul_f32_e32 v69, 0x3fb8aa3b, v69
	v_exp_f32_e32 v72, v72
	v_cmp_gt_u32_e64 s3, 16, v67
	s_delay_alu instid0(VALU_DEP_3) | instskip(NEXT) | instid1(VALU_DEP_2)
	v_exp_f32_e32 v71, v71
	v_exp_f32_e32 v69, v69
	v_cndmask_b32_e64 v86, 0, v77, s6
	v_fma_f32 v77, s19, v101, -v68
	v_add_f32_e32 v70, v70, v76
	s_delay_alu instid0(TRANS32_DEP_3) | instskip(SKIP_1) | instid1(VALU_DEP_3)
	v_cndmask_b32_e64 v85, 0, v72, s5
	v_fma_f32 v72, s19, v100, -v68
	v_dual_mul_f32 v77, 0x3fb8aa3b, v77 :: v_dual_add_f32 v70, v70, v83
	s_delay_alu instid0(TRANS32_DEP_2) | instskip(SKIP_1) | instid1(TRANS32_DEP_1)
	v_cndmask_b32_e64 v88, 0, v71, s9
	v_fma_f32 v71, s19, v104, -v68
	v_cndmask_b32_e64 v87, 0, v69, s7
	s_delay_alu instid0(VALU_DEP_4) | instskip(NEXT) | instid1(VALU_DEP_2)
	v_exp_f32_e32 v77, v77
	v_dual_add_f32 v70, v70, v85 :: v_dual_mul_f32 v71, 0x3fb8aa3b, v71
	s_delay_alu instid0(VALU_DEP_1) | instskip(SKIP_2) | instid1(VALU_DEP_3)
	v_dual_mul_f32 v72, 0x3fb8aa3b, v72 :: v_dual_add_f32 v69, v70, v86
	v_mul_f32_e32 v78, 0x3fb8aa3b, v78
	v_fma_f32 v70, s19, v102, -v68
	v_exp_f32_e32 v72, v72
	v_exp_f32_e32 v82, v71
	v_add_f32_e32 v69, v69, v87
	v_exp_f32_e32 v78, v78
	v_mul_f32_e32 v70, 0x3fb8aa3b, v70
	s_delay_alu instid0(VALU_DEP_1) | instskip(SKIP_4) | instid1(VALU_DEP_2)
	v_exp_f32_e32 v79, v70
	v_cndmask_b32_e64 v70, 0, v72, s10
	s_waitcnt_depctr 0xfff
	v_cndmask_b32_e64 v84, 0, v78, s8
	v_fma_f32 v78, s19, v103, -v68
	v_add_f32_e32 v69, v69, v84
	v_cndmask_b32_e64 v71, 0, v79, s12
	s_delay_alu instid0(VALU_DEP_2) | instskip(SKIP_2) | instid1(VALU_DEP_1)
	v_add_f32_e32 v72, v69, v88
	v_cndmask_b32_e64 v69, 0, v77, s11
	v_fma_f32 v77, s19, v106, -v68
	v_dual_mul_f32 v77, 0x3fb8aa3b, v77 :: v_dual_add_f32 v72, v72, v70
	v_mul_f32_e32 v78, 0x3fb8aa3b, v78
	s_delay_alu instid0(VALU_DEP_2) | instskip(NEXT) | instid1(VALU_DEP_2)
	v_exp_f32_e32 v90, v77
	v_add_f32_e32 v79, v72, v69
	s_delay_alu instid0(VALU_DEP_2)
	v_exp_f32_e32 v78, v78
	v_cndmask_b32_e64 v77, 0, v82, s15
	s_waitcnt_depctr 0xfff
	v_cndmask_b32_e64 v72, 0, v78, s13
	v_add_f32_e32 v78, v79, v71
	v_fma_f32 v79, s19, v107, -v68
	s_delay_alu instid0(VALU_DEP_1) | instskip(SKIP_1) | instid1(VALU_DEP_2)
	v_dual_add_f32 v82, v78, v72 :: v_dual_mul_f32 v79, 0x3fb8aa3b, v79
	v_cndmask_b32_e64 v78, 0, v81, s16
	v_add_f32_e32 v81, v82, v77
	s_delay_alu instid0(VALU_DEP_3) | instskip(SKIP_1) | instid1(VALU_DEP_2)
	v_exp_f32_e32 v82, v79
	v_cndmask_b32_e64 v79, 0, v90, s17
	v_add_f32_e32 v81, v81, v78
	s_delay_alu instid0(VALU_DEP_1) | instskip(SKIP_2) | instid1(VALU_DEP_1)
	v_add_f32_e32 v90, v81, v79
	s_waitcnt_depctr 0xfff
	v_cndmask_b32_e64 v81, 0, v82, s18
	v_add_f32_e32 v82, v90, v81
	ds_bpermute_b32 v89, v89, v82
	s_and_saveexec_b32 s4, s3
	s_cbranch_execz .LBB1490_12
; %bb.11:
	v_mul_u32_u24_e32 v67, 0x44, v66
	s_delay_alu instid0(VALU_DEP_1) | instskip(SKIP_1) | instid1(VALU_DEP_1)
	v_lshl_add_u32 v67, v65, 2, v67
	s_waitcnt lgkmcnt(0)
	v_dual_add_f32 v82, v82, v89 :: v_dual_add_nc_u32 v67, 0x4000, v67
	ds_store_2addr_b32 v67, v68, v82 offset1:136
.LBB1490_12:
	s_or_b32 exec_lo, exec_lo, s4
	v_lshlrev_b32_e32 v67, 2, v65
	s_waitcnt lgkmcnt(0)
	s_barrier
	buffer_gl0_inv
	v_cmp_eq_u32_e32 vcc_lo, 1, v66
	v_add_nc_u32_e32 v82, 0x4000, v67
	v_cmp_eq_u32_e64 s4, 2, v66
	v_cmp_eq_u32_e64 s6, 7, v66
	ds_load_2addr_b32 v[89:90], v82 offset1:17
	ds_load_2addr_b32 v[91:92], v82 offset0:34 offset1:51
	ds_load_2addr_b32 v[93:94], v82 offset0:68 offset1:85
	;; [unrolled: 1-line block ×4, first 2 shown]
	s_waitcnt lgkmcnt(4)
	v_max3_f32 v67, v89, 0xff7fffff, v90
	s_waitcnt lgkmcnt(3)
	s_delay_alu instid0(VALU_DEP_1) | instskip(SKIP_1) | instid1(VALU_DEP_1)
	v_max3_f32 v67, v67, v91, v92
	s_waitcnt lgkmcnt(2)
	v_max3_f32 v67, v67, v93, v94
	s_waitcnt lgkmcnt(1)
	s_delay_alu instid0(VALU_DEP_1) | instskip(NEXT) | instid1(VALU_DEP_1)
	v_max3_f32 v67, v67, v95, v96
	v_sub_f32_e32 v93, v93, v67
	s_delay_alu instid0(VALU_DEP_1) | instskip(NEXT) | instid1(VALU_DEP_1)
	v_dual_sub_f32 v68, v89, v67 :: v_dual_mul_f32 v103, 0x3fb8aa3b, v93
	v_mul_f32_e32 v68, 0x3fb8aa3b, v68
	s_delay_alu instid0(VALU_DEP_1)
	v_exp_f32_e32 v100, v68
	v_sub_f32_e32 v68, v92, v67
	v_sub_f32_e32 v99, v90, v67
	ds_load_2addr_b32 v[89:90], v82 offset0:170 offset1:187
	v_dual_mul_f32 v102, 0x3fb8aa3b, v68 :: v_dual_mul_f32 v99, 0x3fb8aa3b, v99
	s_waitcnt lgkmcnt(1)
	v_fma_f32 v68, v100, v97, 0
	s_delay_alu instid0(VALU_DEP_2) | instskip(NEXT) | instid1(VALU_DEP_2)
	v_exp_f32_e32 v102, v102
	v_exp_f32_e32 v99, v99
	s_waitcnt_depctr 0xfff
	v_fmac_f32_e32 v68, v99, v98
	v_sub_f32_e32 v91, v91, v67
	s_delay_alu instid0(VALU_DEP_1)
	v_mul_f32_e32 v101, 0x3fb8aa3b, v91
	ds_load_2addr_b32 v[91:92], v82 offset0:204 offset1:221
	v_sub_f32_e32 v97, v94, v67
	ds_load_2addr_b32 v[93:94], v82 offset0:238 offset1:255
	s_waitcnt lgkmcnt(0)
	v_exp_f32_e32 v101, v101
	s_barrier
	buffer_gl0_inv
	v_dual_fmac_f32 v68, v101, v89 :: v_dual_sub_f32 v89, v96, v67
	v_dual_sub_f32 v82, v95, v67 :: v_dual_mul_f32 v95, 0x3fb8aa3b, v97
	v_exp_f32_e32 v97, v103
	s_delay_alu instid0(VALU_DEP_2) | instskip(NEXT) | instid1(VALU_DEP_2)
	v_dual_fmac_f32 v68, v102, v90 :: v_dual_mul_f32 v89, 0x3fb8aa3b, v89
	v_mul_f32_e32 v82, 0x3fb8aa3b, v82
	s_delay_alu instid0(VALU_DEP_3) | instskip(NEXT) | instid1(VALU_DEP_2)
	v_exp_f32_e32 v95, v95
	v_exp_f32_e32 v89, v89
	s_delay_alu instid0(VALU_DEP_1)
	v_exp_f32_e32 v82, v82
	v_fmac_f32_e32 v68, v97, v91
	s_delay_alu instid0(TRANS32_DEP_3) | instid1(VALU_DEP_1)
	v_fmac_f32_e32 v68, v95, v92
	s_waitcnt_depctr 0xfff
	v_fmac_f32_e32 v68, v82, v93
	s_delay_alu instid0(VALU_DEP_1) | instskip(NEXT) | instid1(VALU_DEP_1)
	v_fmac_f32_e32 v68, v89, v94
	v_add_f32_e32 v90, 0x358637bd, v68
	s_delay_alu instid0(VALU_DEP_1) | instskip(NEXT) | instid1(VALU_DEP_1)
	v_div_scale_f32 v91, null, v90, v90, 1.0
	v_rcp_f32_e32 v92, v91
	s_waitcnt_depctr 0xfff
	v_fma_f32 v93, -v91, v92, 1.0
	s_delay_alu instid0(VALU_DEP_1) | instskip(SKIP_1) | instid1(VALU_DEP_2)
	v_dual_fmac_f32 v92, v93, v92 :: v_dual_cndmask_b32 v93, v100, v99
	v_cmp_eq_u32_e32 vcc_lo, 3, v66
	v_cndmask_b32_e64 v93, v93, v101, s4
	v_cmp_eq_u32_e64 s4, 4, v66
	s_delay_alu instid0(VALU_DEP_2) | instskip(SKIP_1) | instid1(VALU_DEP_2)
	v_cndmask_b32_e32 v93, v93, v102, vcc_lo
	v_cmp_eq_u32_e32 vcc_lo, 5, v66
	v_cndmask_b32_e64 v93, v93, v97, s4
	v_cmp_eq_u32_e64 s4, 6, v66
	s_delay_alu instid0(VALU_DEP_2) | instskip(SKIP_1) | instid1(VALU_DEP_1)
	v_cndmask_b32_e32 v93, v93, v95, vcc_lo
	v_div_scale_f32 v94, s5, 1.0, v90, 1.0
	s_mov_b32 vcc_lo, s5
	s_delay_alu instid0(VALU_DEP_2) | instskip(NEXT) | instid1(VALU_DEP_2)
	v_cndmask_b32_e64 v82, v93, v82, s4
	v_mul_f32_e32 v96, v94, v92
	s_mov_b32 s4, exec_lo
	s_delay_alu instid0(VALU_DEP_2) | instskip(NEXT) | instid1(VALU_DEP_2)
	v_cndmask_b32_e64 v82, v82, v89, s6
	v_fma_f32 v98, -v91, v96, v94
	s_delay_alu instid0(VALU_DEP_1) | instskip(NEXT) | instid1(VALU_DEP_1)
	v_fmac_f32_e32 v96, v98, v92
	v_fma_f32 v91, -v91, v96, v94
	s_delay_alu instid0(VALU_DEP_1) | instskip(NEXT) | instid1(VALU_DEP_1)
	v_div_fmas_f32 v91, v91, v92, v96
	v_div_fixup_f32 v90, v91, v90, 1.0
	s_delay_alu instid0(VALU_DEP_1) | instskip(NEXT) | instid1(VALU_DEP_1)
	v_mul_f32_e32 v82, v82, v90
	v_mul_f32_e32 v87, v82, v87
	;; [unrolled: 1-line block ×7, first 2 shown]
	v_dual_mul_f32 v86, v82, v83 :: v_dual_and_b32 v91, 0x7f800000, v90
	v_mul_f32_e32 v85, v82, v76
                                        ; implicit-def: $vgpr76
	s_delay_alu instid0(VALU_DEP_2)
	v_cmpx_ne_u32_e32 0x7f800000, v91
	s_xor_b32 s4, exec_lo, s4
; %bb.13:
	v_bfe_u32 v76, v90, 16, 1
	s_delay_alu instid0(VALU_DEP_1)
	v_add3_u32 v76, v90, v76, 0x7fff
                                        ; implicit-def: $vgpr90
; %bb.14:
	s_and_not1_saveexec_b32 s4, s4
; %bb.15:
	v_and_b32_e32 v76, 0xffff, v90
	v_or_b32_e32 v83, 0x10000, v90
	s_delay_alu instid0(VALU_DEP_2) | instskip(NEXT) | instid1(VALU_DEP_2)
	v_cmp_eq_u32_e32 vcc_lo, 0, v76
	v_cndmask_b32_e32 v76, v83, v90, vcc_lo
; %bb.16:
	s_or_b32 exec_lo, exec_lo, s4
	v_and_b32_e32 v83, 0x7f800000, v85
	s_delay_alu instid0(VALU_DEP_1) | instskip(SKIP_1) | instid1(SALU_CYCLE_1)
	v_cmp_ne_u32_e32 vcc_lo, 0x7f800000, v83
                                        ; implicit-def: $vgpr83
	s_and_saveexec_b32 s4, vcc_lo
	s_xor_b32 s4, exec_lo, s4
; %bb.17:
	v_bfe_u32 v83, v85, 16, 1
	s_delay_alu instid0(VALU_DEP_1)
	v_add3_u32 v83, v85, v83, 0x7fff
                                        ; implicit-def: $vgpr85
; %bb.18:
	s_and_not1_saveexec_b32 s4, s4
; %bb.19:
	v_and_b32_e32 v83, 0xffff, v85
	v_or_b32_e32 v90, 0x10000, v85
	s_delay_alu instid0(VALU_DEP_2) | instskip(NEXT) | instid1(VALU_DEP_2)
	v_cmp_eq_u32_e32 vcc_lo, 0, v83
	v_cndmask_b32_e32 v83, v90, v85, vcc_lo
; %bb.20:
	s_or_b32 exec_lo, exec_lo, s4
	v_and_b32_e32 v85, 0x7f800000, v86
	s_delay_alu instid0(VALU_DEP_1) | instskip(SKIP_1) | instid1(SALU_CYCLE_1)
	v_cmp_ne_u32_e32 vcc_lo, 0x7f800000, v85
                                        ; implicit-def: $vgpr85
	s_and_saveexec_b32 s4, vcc_lo
	s_xor_b32 s4, exec_lo, s4
; %bb.21:
	v_bfe_u32 v85, v86, 16, 1
	s_delay_alu instid0(VALU_DEP_1)
	v_add3_u32 v85, v86, v85, 0x7fff
                                        ; implicit-def: $vgpr86
; %bb.22:
	s_and_not1_saveexec_b32 s4, s4
; %bb.23:
	v_and_b32_e32 v85, 0xffff, v86
	v_or_b32_e32 v90, 0x10000, v86
	s_delay_alu instid0(VALU_DEP_2) | instskip(NEXT) | instid1(VALU_DEP_2)
	v_cmp_eq_u32_e32 vcc_lo, 0, v85
	v_cndmask_b32_e32 v85, v90, v86, vcc_lo
; %bb.24:
	s_or_b32 exec_lo, exec_lo, s4
	v_and_b32_e32 v86, 0x7f800000, v89
	s_delay_alu instid0(VALU_DEP_1) | instskip(SKIP_1) | instid1(SALU_CYCLE_1)
	v_cmp_ne_u32_e32 vcc_lo, 0x7f800000, v86
                                        ; implicit-def: $vgpr86
	s_and_saveexec_b32 s4, vcc_lo
	s_xor_b32 s4, exec_lo, s4
; %bb.25:
	v_bfe_u32 v86, v89, 16, 1
	s_delay_alu instid0(VALU_DEP_1)
	v_add3_u32 v86, v89, v86, 0x7fff
                                        ; implicit-def: $vgpr89
; %bb.26:
	s_and_not1_saveexec_b32 s4, s4
; %bb.27:
	v_and_b32_e32 v86, 0xffff, v89
	v_or_b32_e32 v90, 0x10000, v89
	s_delay_alu instid0(VALU_DEP_2) | instskip(NEXT) | instid1(VALU_DEP_2)
	v_cmp_eq_u32_e32 vcc_lo, 0, v86
	v_cndmask_b32_e32 v86, v90, v89, vcc_lo
; %bb.28:
	s_or_b32 exec_lo, exec_lo, s4
	v_and_b32_e32 v89, 0x7f800000, v88
	s_delay_alu instid0(VALU_DEP_1) | instskip(SKIP_1) | instid1(SALU_CYCLE_1)
	v_cmp_ne_u32_e32 vcc_lo, 0x7f800000, v89
                                        ; implicit-def: $vgpr89
	s_and_saveexec_b32 s4, vcc_lo
	s_xor_b32 s4, exec_lo, s4
; %bb.29:
	v_bfe_u32 v89, v88, 16, 1
	s_delay_alu instid0(VALU_DEP_1)
	v_add3_u32 v89, v88, v89, 0x7fff
                                        ; implicit-def: $vgpr88
; %bb.30:
	s_and_not1_saveexec_b32 s4, s4
; %bb.31:
	v_and_b32_e32 v89, 0xffff, v88
	v_or_b32_e32 v90, 0x10000, v88
	s_delay_alu instid0(VALU_DEP_2) | instskip(NEXT) | instid1(VALU_DEP_2)
	v_cmp_eq_u32_e32 vcc_lo, 0, v89
	v_cndmask_b32_e32 v89, v90, v88, vcc_lo
; %bb.32:
	s_or_b32 exec_lo, exec_lo, s4
	v_and_b32_e32 v88, 0x7f800000, v87
	s_delay_alu instid0(VALU_DEP_1) | instskip(SKIP_1) | instid1(SALU_CYCLE_1)
	v_cmp_ne_u32_e32 vcc_lo, 0x7f800000, v88
                                        ; implicit-def: $vgpr88
	s_and_saveexec_b32 s4, vcc_lo
	s_xor_b32 s4, exec_lo, s4
; %bb.33:
	v_bfe_u32 v88, v87, 16, 1
	s_delay_alu instid0(VALU_DEP_1)
	v_add3_u32 v88, v87, v88, 0x7fff
                                        ; implicit-def: $vgpr87
; %bb.34:
	s_and_not1_saveexec_b32 s4, s4
; %bb.35:
	v_and_b32_e32 v88, 0xffff, v87
	v_or_b32_e32 v90, 0x10000, v87
	s_delay_alu instid0(VALU_DEP_2) | instskip(NEXT) | instid1(VALU_DEP_2)
	v_cmp_eq_u32_e32 vcc_lo, 0, v88
	v_cndmask_b32_e32 v88, v90, v87, vcc_lo
; %bb.36:
	s_or_b32 exec_lo, exec_lo, s4
	v_and_b32_e32 v87, 0x7f800000, v84
	s_delay_alu instid0(VALU_DEP_1) | instskip(SKIP_1) | instid1(SALU_CYCLE_1)
	v_cmp_ne_u32_e32 vcc_lo, 0x7f800000, v87
                                        ; implicit-def: $vgpr87
	s_and_saveexec_b32 s4, vcc_lo
	s_xor_b32 s4, exec_lo, s4
; %bb.37:
	v_bfe_u32 v87, v84, 16, 1
	s_delay_alu instid0(VALU_DEP_1)
	v_add3_u32 v87, v84, v87, 0x7fff
                                        ; implicit-def: $vgpr84
; %bb.38:
	s_and_not1_saveexec_b32 s4, s4
; %bb.39:
	v_and_b32_e32 v87, 0xffff, v84
	v_or_b32_e32 v90, 0x10000, v84
	s_delay_alu instid0(VALU_DEP_2) | instskip(NEXT) | instid1(VALU_DEP_2)
	v_cmp_eq_u32_e32 vcc_lo, 0, v87
	v_cndmask_b32_e32 v87, v90, v84, vcc_lo
; %bb.40:
	s_or_b32 exec_lo, exec_lo, s4
	v_and_b32_e32 v84, 0x7f800000, v80
	s_delay_alu instid0(VALU_DEP_1) | instskip(SKIP_1) | instid1(SALU_CYCLE_1)
	v_cmp_ne_u32_e32 vcc_lo, 0x7f800000, v84
                                        ; implicit-def: $vgpr84
	s_and_saveexec_b32 s4, vcc_lo
	s_xor_b32 s4, exec_lo, s4
; %bb.41:
	v_bfe_u32 v84, v80, 16, 1
	s_delay_alu instid0(VALU_DEP_1)
	v_add3_u32 v84, v80, v84, 0x7fff
                                        ; implicit-def: $vgpr80
; %bb.42:
	s_and_not1_saveexec_b32 s4, s4
; %bb.43:
	v_and_b32_e32 v84, 0xffff, v80
	v_or_b32_e32 v90, 0x10000, v80
	s_delay_alu instid0(VALU_DEP_2) | instskip(NEXT) | instid1(VALU_DEP_2)
	v_cmp_eq_u32_e32 vcc_lo, 0, v84
	v_cndmask_b32_e32 v84, v90, v80, vcc_lo
; %bb.44:
	s_or_b32 exec_lo, exec_lo, s4
	s_load_b64 s[36:37], s[0:1], 0x94
	v_lshlrev_b32_e32 v91, 4, v74
	s_delay_alu instid0(VALU_DEP_2)
	v_perm_b32 v90, v84, v87, 0x7060302
	v_dual_mul_f32 v79, v82, v79 :: v_dual_lshlrev_b32 v80, 6, v65
	v_dual_mul_f32 v77, v82, v77 :: v_dual_lshlrev_b32 v92, 11, v66
	v_mul_f32_e32 v84, v82, v70
	v_perm_b32 v89, v88, v89, 0x7060302
	v_perm_b32 v88, v86, v85, 0x7060302
	;; [unrolled: 1-line block ×3, first 2 shown]
	v_mul_f32_e32 v70, v82, v81
	v_or3_b32 v76, v91, v92, v80
	v_dual_mul_f32 v78, v82, v78 :: v_dual_and_b32 v85, 0x7f800000, v84
	v_mul_f32_e32 v83, v82, v72
	v_mul_f32_e32 v81, v82, v71
	;; [unrolled: 1-line block ×3, first 2 shown]
	s_mov_b32 s4, exec_lo
	ds_store_b128 v76, v[87:90]
                                        ; implicit-def: $vgpr69
	v_cmpx_ne_u32_e32 0x7f800000, v85
	s_xor_b32 s4, exec_lo, s4
; %bb.45:
	v_bfe_u32 v69, v84, 16, 1
	s_delay_alu instid0(VALU_DEP_1)
	v_add3_u32 v69, v84, v69, 0x7fff
                                        ; implicit-def: $vgpr84
; %bb.46:
	s_and_not1_saveexec_b32 s4, s4
; %bb.47:
	v_and_b32_e32 v69, 0xffff, v84
	v_or_b32_e32 v71, 0x10000, v84
	s_delay_alu instid0(VALU_DEP_2) | instskip(NEXT) | instid1(VALU_DEP_2)
	v_cmp_eq_u32_e32 vcc_lo, 0, v69
	v_cndmask_b32_e32 v69, v71, v84, vcc_lo
; %bb.48:
	s_or_b32 exec_lo, exec_lo, s4
	v_and_b32_e32 v71, 0x7f800000, v72
	s_delay_alu instid0(VALU_DEP_1) | instskip(SKIP_1) | instid1(SALU_CYCLE_1)
	v_cmp_ne_u32_e32 vcc_lo, 0x7f800000, v71
                                        ; implicit-def: $vgpr71
	s_and_saveexec_b32 s4, vcc_lo
	s_xor_b32 s4, exec_lo, s4
; %bb.49:
	v_bfe_u32 v71, v72, 16, 1
	s_delay_alu instid0(VALU_DEP_1)
	v_add3_u32 v71, v72, v71, 0x7fff
                                        ; implicit-def: $vgpr72
; %bb.50:
	s_and_not1_saveexec_b32 s4, s4
; %bb.51:
	v_and_b32_e32 v71, 0xffff, v72
	v_or_b32_e32 v82, 0x10000, v72
	s_delay_alu instid0(VALU_DEP_2) | instskip(NEXT) | instid1(VALU_DEP_2)
	v_cmp_eq_u32_e32 vcc_lo, 0, v71
	v_cndmask_b32_e32 v71, v82, v72, vcc_lo
; %bb.52:
	s_or_b32 exec_lo, exec_lo, s4
	v_and_b32_e32 v72, 0x7f800000, v81
	s_delay_alu instid0(VALU_DEP_1) | instskip(SKIP_1) | instid1(SALU_CYCLE_1)
	v_cmp_ne_u32_e32 vcc_lo, 0x7f800000, v72
                                        ; implicit-def: $vgpr72
	s_and_saveexec_b32 s4, vcc_lo
	s_xor_b32 s4, exec_lo, s4
; %bb.53:
	v_bfe_u32 v72, v81, 16, 1
	s_delay_alu instid0(VALU_DEP_1)
	v_add3_u32 v72, v81, v72, 0x7fff
                                        ; implicit-def: $vgpr81
; %bb.54:
	s_and_not1_saveexec_b32 s4, s4
; %bb.55:
	v_and_b32_e32 v72, 0xffff, v81
	v_or_b32_e32 v82, 0x10000, v81
	s_delay_alu instid0(VALU_DEP_2) | instskip(NEXT) | instid1(VALU_DEP_2)
	v_cmp_eq_u32_e32 vcc_lo, 0, v72
	v_cndmask_b32_e32 v72, v82, v81, vcc_lo
; %bb.56:
	s_or_b32 exec_lo, exec_lo, s4
	v_and_b32_e32 v81, 0x7f800000, v83
	s_delay_alu instid0(VALU_DEP_1) | instskip(SKIP_1) | instid1(SALU_CYCLE_1)
	v_cmp_ne_u32_e32 vcc_lo, 0x7f800000, v81
                                        ; implicit-def: $vgpr81
	s_and_saveexec_b32 s4, vcc_lo
	s_xor_b32 s4, exec_lo, s4
; %bb.57:
	v_bfe_u32 v81, v83, 16, 1
	s_delay_alu instid0(VALU_DEP_1)
	v_add3_u32 v81, v83, v81, 0x7fff
                                        ; implicit-def: $vgpr83
; %bb.58:
	s_and_not1_saveexec_b32 s4, s4
; %bb.59:
	v_and_b32_e32 v81, 0xffff, v83
	v_or_b32_e32 v82, 0x10000, v83
	s_delay_alu instid0(VALU_DEP_2) | instskip(NEXT) | instid1(VALU_DEP_2)
	v_cmp_eq_u32_e32 vcc_lo, 0, v81
	v_cndmask_b32_e32 v81, v82, v83, vcc_lo
; %bb.60:
	s_or_b32 exec_lo, exec_lo, s4
	v_and_b32_e32 v82, 0x7f800000, v77
	s_delay_alu instid0(VALU_DEP_1) | instskip(SKIP_1) | instid1(SALU_CYCLE_1)
	v_cmp_ne_u32_e32 vcc_lo, 0x7f800000, v82
                                        ; implicit-def: $vgpr82
	s_and_saveexec_b32 s4, vcc_lo
	s_xor_b32 s4, exec_lo, s4
; %bb.61:
	v_bfe_u32 v82, v77, 16, 1
	s_delay_alu instid0(VALU_DEP_1)
	v_add3_u32 v82, v77, v82, 0x7fff
                                        ; implicit-def: $vgpr77
; %bb.62:
	s_and_not1_saveexec_b32 s4, s4
; %bb.63:
	v_and_b32_e32 v82, 0xffff, v77
	v_or_b32_e32 v83, 0x10000, v77
	s_delay_alu instid0(VALU_DEP_2) | instskip(NEXT) | instid1(VALU_DEP_2)
	v_cmp_eq_u32_e32 vcc_lo, 0, v82
	v_cndmask_b32_e32 v82, v83, v77, vcc_lo
; %bb.64:
	s_or_b32 exec_lo, exec_lo, s4
	v_and_b32_e32 v77, 0x7f800000, v78
	s_delay_alu instid0(VALU_DEP_1) | instskip(SKIP_1) | instid1(SALU_CYCLE_1)
	v_cmp_ne_u32_e32 vcc_lo, 0x7f800000, v77
                                        ; implicit-def: $vgpr77
	s_and_saveexec_b32 s4, vcc_lo
	s_xor_b32 s4, exec_lo, s4
; %bb.65:
	v_bfe_u32 v77, v78, 16, 1
	s_delay_alu instid0(VALU_DEP_1)
	v_add3_u32 v77, v78, v77, 0x7fff
                                        ; implicit-def: $vgpr78
; %bb.66:
	s_and_not1_saveexec_b32 s4, s4
; %bb.67:
	v_and_b32_e32 v77, 0xffff, v78
	v_or_b32_e32 v83, 0x10000, v78
	s_delay_alu instid0(VALU_DEP_2) | instskip(NEXT) | instid1(VALU_DEP_2)
	v_cmp_eq_u32_e32 vcc_lo, 0, v77
	v_cndmask_b32_e32 v77, v83, v78, vcc_lo
; %bb.68:
	s_or_b32 exec_lo, exec_lo, s4
	v_and_b32_e32 v78, 0x7f800000, v79
	s_delay_alu instid0(VALU_DEP_1) | instskip(SKIP_1) | instid1(SALU_CYCLE_1)
	v_cmp_ne_u32_e32 vcc_lo, 0x7f800000, v78
                                        ; implicit-def: $vgpr78
	s_and_saveexec_b32 s4, vcc_lo
	s_xor_b32 s4, exec_lo, s4
; %bb.69:
	v_bfe_u32 v78, v79, 16, 1
	s_delay_alu instid0(VALU_DEP_1)
	v_add3_u32 v78, v79, v78, 0x7fff
                                        ; implicit-def: $vgpr79
; %bb.70:
	s_and_not1_saveexec_b32 s4, s4
; %bb.71:
	v_and_b32_e32 v78, 0xffff, v79
	v_or_b32_e32 v83, 0x10000, v79
	s_delay_alu instid0(VALU_DEP_2) | instskip(NEXT) | instid1(VALU_DEP_2)
	v_cmp_eq_u32_e32 vcc_lo, 0, v78
	v_cndmask_b32_e32 v78, v83, v79, vcc_lo
; %bb.72:
	s_or_b32 exec_lo, exec_lo, s4
	v_and_b32_e32 v79, 0x7f800000, v70
	s_delay_alu instid0(VALU_DEP_1) | instskip(SKIP_1) | instid1(SALU_CYCLE_1)
	v_cmp_ne_u32_e32 vcc_lo, 0x7f800000, v79
                                        ; implicit-def: $vgpr79
	s_and_saveexec_b32 s4, vcc_lo
	s_xor_b32 s4, exec_lo, s4
; %bb.73:
	v_bfe_u32 v79, v70, 16, 1
	s_delay_alu instid0(VALU_DEP_1)
	v_add3_u32 v79, v70, v79, 0x7fff
                                        ; implicit-def: $vgpr70
; %bb.74:
	s_and_not1_saveexec_b32 s4, s4
; %bb.75:
	v_and_b32_e32 v79, 0xffff, v70
	v_or_b32_e32 v83, 0x10000, v70
	s_delay_alu instid0(VALU_DEP_2) | instskip(NEXT) | instid1(VALU_DEP_2)
	v_cmp_eq_u32_e32 vcc_lo, 0, v79
	v_cndmask_b32_e32 v79, v83, v70, vcc_lo
; %bb.76:
	s_or_b32 exec_lo, exec_lo, s4
	s_delay_alu instid0(VALU_DEP_1)
	v_perm_b32 v86, v79, v78, 0x7060302
	v_perm_b32 v85, v77, v82, 0x7060302
	;; [unrolled: 1-line block ×4, first 2 shown]
	v_lshl_or_b32 v82, v66, 11, v80
	ds_store_b128 v76, v[83:86] offset:1024
	s_waitcnt lgkmcnt(0)
	s_barrier
	buffer_gl0_inv
	ds_load_b128 v[69:72], v82
	ds_load_b128 v[83:86], v82 offset:16
	s_waitcnt lgkmcnt(1)
	v_lshrrev_b32_e32 v66, 16, v69
	s_waitcnt lgkmcnt(0)
	v_lshrrev_b32_e32 v91, 16, v83
	v_lshlrev_b32_e32 v78, 2, v74
	v_lshrrev_b32_e32 v95, 16, v70
	v_lshrrev_b32_e32 v98, 16, v84
	;; [unrolled: 1-line block ×4, first 2 shown]
	v_cmp_eq_u32_e32 vcc_lo, 1, v78
	v_lshrrev_b32_e32 v97, 16, v72
	v_lshrrev_b32_e32 v100, 16, v86
	v_cndmask_b32_e32 v87, v83, v91, vcc_lo
	v_or_b32_e32 v79, 1, v78
	v_cndmask_b32_e32 v81, v69, v66, vcc_lo
	v_cmp_eq_u32_e64 s5, 2, v78
	v_cmp_eq_u32_e64 s8, 3, v78
	;; [unrolled: 1-line block ×5, first 2 shown]
	v_cndmask_b32_e64 v81, v81, v70, s5
	v_cndmask_b32_e64 v87, v87, v84, s5
	v_cmp_eq_u32_e64 s9, 3, v79
	v_cndmask_b32_e64 v88, v69, v66, s4
	v_or_b32_e32 v77, 2, v78
	v_cndmask_b32_e64 v81, v81, v95, s8
	v_cndmask_b32_e64 v87, v87, v98, s8
	;; [unrolled: 1-line block ×4, first 2 shown]
	v_cmp_eq_u32_e64 s11, 5, v78
	v_cndmask_b32_e64 v81, v81, v71, s10
	v_cndmask_b32_e64 v87, v87, v85, s10
	v_cmp_eq_u32_e64 s12, 4, v79
	v_cndmask_b32_e64 v88, v88, v95, s9
	v_cmp_eq_u32_e64 s6, 1, v77
	v_cndmask_b32_e64 v89, v89, v84, s7
	v_cndmask_b32_e64 v81, v81, v96, s11
	v_cmp_eq_u32_e64 s13, 6, v78
	v_cndmask_b32_e64 v88, v88, v71, s12
	;; [unrolled: 3-line block ×3, first 2 shown]
	v_cndmask_b32_e64 v89, v89, v98, s9
	v_cndmask_b32_e64 v81, v81, v72, s13
	v_cmp_eq_u32_e64 s16, 7, v78
	v_cndmask_b32_e64 v88, v88, v96, s15
	v_cndmask_b32_e64 v87, v87, v86, s13
	v_cmp_eq_u32_e64 s17, 6, v79
	v_cmp_eq_u32_e64 s18, 2, v77
	v_cndmask_b32_e64 v89, v89, v85, s12
	v_cndmask_b32_e64 v101, v81, v97, s16
	;; [unrolled: 1-line block ×6, first 2 shown]
	v_cmp_eq_u32_e64 s19, 7, v79
	v_cmp_eq_u32_e64 s20, 3, v77
	;; [unrolled: 1-line block ×4, first 2 shown]
	v_cndmask_b32_e64 v87, v87, v84, s18
	v_cndmask_b32_e64 v103, v88, v97, s19
	;; [unrolled: 1-line block ×4, first 2 shown]
	v_or_b32_e32 v81, 3, v78
	v_cndmask_b32_e64 v93, v87, v98, s20
	v_cmp_eq_u32_e64 s25, 6, v77
	v_cndmask_b32_e64 v104, v88, v86, s17
	v_cndmask_b32_e64 v92, v89, v71, s21
	v_cmp_eq_u32_e64 s22, 1, v81
	ds_load_b128 v[87:90], v82 offset:1024
	v_cmp_eq_u32_e64 s24, 2, v81
	v_cmp_eq_u32_e64 s26, 3, v81
	v_cndmask_b32_e64 v105, v92, v96, s23
	v_cndmask_b32_e64 v66, v69, v66, s22
	v_cndmask_b32_e64 v69, v93, v85, s21
	v_cndmask_b32_e64 v83, v83, v91, s22
	ds_load_b128 v[91:94], v82 offset:1040
	v_cmp_eq_u32_e64 s27, 4, v81
	v_cndmask_b32_e64 v66, v66, v70, s24
	v_cmp_eq_u32_e64 s28, 7, v77
	v_cndmask_b32_e64 v70, v83, v84, s24
	v_cndmask_b32_e64 v84, v105, v72, s25
	v_cmp_eq_u32_e64 s29, 5, v81
	v_cndmask_b32_e64 v66, v66, v95, s26
	v_cmp_eq_u32_e64 s30, 6, v81
	v_cndmask_b32_e64 v70, v70, v98, s26
	v_cndmask_b32_e64 v69, v69, v99, s23
	;; [unrolled: 1-line block ×4, first 2 shown]
	s_waitcnt lgkmcnt(1)
	v_lshrrev_b32_e32 v95, 16, v87
	v_cndmask_b32_e64 v70, v70, v85, s27
	v_cndmask_b32_e64 v71, v84, v97, s28
	;; [unrolled: 1-line block ×4, first 2 shown]
	v_cndmask_b32_e32 v84, v87, v95, vcc_lo
	v_cndmask_b32_e64 v70, v70, v99, s29
	s_waitcnt lgkmcnt(0)
	v_lshrrev_b32_e32 v85, 16, v91
	v_lshrrev_b32_e32 v96, 16, v88
	v_cndmask_b32_e64 v98, v87, v95, s4
	v_cndmask_b32_e64 v84, v84, v88, s5
	;; [unrolled: 1-line block ×3, first 2 shown]
	v_cndmask_b32_e32 v99, v91, v85, vcc_lo
	v_cmp_eq_u32_e32 vcc_lo, 7, v81
	v_cndmask_b32_e64 v66, v66, v72, s30
	v_cndmask_b32_e64 v72, v84, v96, s8
	;; [unrolled: 1-line block ×3, first 2 shown]
	v_lshrrev_b32_e32 v98, 16, v92
	v_cndmask_b32_e32 v70, v70, v100, vcc_lo
	v_cndmask_b32_e64 v86, v99, v92, s5
	v_cndmask_b32_e64 v69, v69, v100, s28
	v_lshrrev_b32_e32 v100, 16, v93
	v_cndmask_b32_e64 v72, v72, v89, s10
	v_lshrrev_b32_e32 v99, 16, v89
	v_cndmask_b32_e64 v86, v86, v98, s8
	v_perm_b32 v71, v69, v71, 0x5040100
	v_cndmask_b32_e64 v84, v84, v96, s9
	s_delay_alu instid0(VALU_DEP_3) | instskip(NEXT) | instid1(VALU_DEP_2)
	v_cndmask_b32_e64 v86, v86, v93, s10
	v_cndmask_b32_e64 v84, v84, v89, s12
	s_delay_alu instid0(VALU_DEP_2) | instskip(NEXT) | instid1(VALU_DEP_1)
	v_cndmask_b32_e64 v86, v86, v100, s11
	v_cndmask_b32_e64 v69, v86, v94, s13
	;; [unrolled: 1-line block ×5, first 2 shown]
	s_delay_alu instid0(VALU_DEP_3) | instskip(NEXT) | instid1(VALU_DEP_3)
	v_cndmask_b32_e64 v86, v86, v88, s18
	v_cndmask_b32_e64 v87, v87, v88, s24
	s_delay_alu instid0(VALU_DEP_3) | instskip(NEXT) | instid1(VALU_DEP_3)
	v_cndmask_b32_e64 v88, v95, v92, s24
	v_cndmask_b32_e64 v86, v86, v96, s20
	;; [unrolled: 3-line block ×7, first 2 shown]
	s_delay_alu instid0(VALU_DEP_3) | instskip(SKIP_2) | instid1(VALU_DEP_2)
	v_cndmask_b32_e64 v88, v88, v94, s30
	v_cndmask_b32_e32 v66, v66, v97, vcc_lo
	v_cndmask_b32_e64 v97, v72, v99, s11
	v_perm_b32 v72, v70, v66, 0x5040100
	v_perm_b32 v70, v83, v103, 0x5040100
	v_cndmask_b32_e64 v103, v91, v85, s6
	v_cndmask_b32_e64 v85, v91, v85, s4
	;; [unrolled: 1-line block ×4, first 2 shown]
	v_lshrrev_b32_e32 v97, 16, v90
	v_cndmask_b32_e64 v91, v103, v92, s18
	v_cndmask_b32_e64 v85, v85, v92, s7
	;; [unrolled: 1-line block ×3, first 2 shown]
	s_mov_b32 s4, exec_lo
	v_cndmask_b32_e64 v83, v84, v97, s16
	v_cndmask_b32_e64 v91, v91, v98, s20
	;; [unrolled: 1-line block ×3, first 2 shown]
	v_lshrrev_b32_e32 v84, 16, v94
	v_cndmask_b32_e64 v66, v66, v97, s19
	v_cndmask_b32_e64 v90, v86, v97, s28
	v_cndmask_b32_e64 v89, v91, v93, s21
	v_cndmask_b32_e64 v85, v85, v93, s12
	v_dual_cndmask_b32 v86, v87, v97 :: v_dual_cndmask_b32 v87, v88, v84
	v_cndmask_b32_e64 v91, v69, v84, s16
	s_delay_alu instid0(VALU_DEP_4) | instskip(NEXT) | instid1(VALU_DEP_4)
	v_cndmask_b32_e64 v89, v89, v100, s23
	v_cndmask_b32_e64 v85, v85, v100, s15
	v_perm_b32 v69, v102, v101, 0x5040100
	v_perm_b32 v86, v87, v86, 0x5040100
	;; [unrolled: 1-line block ×3, first 2 shown]
	v_cndmask_b32_e64 v89, v89, v94, s25
	v_cndmask_b32_e64 v85, v85, v94, s17
	s_mul_i32 s9, s37, 5
	s_delay_alu instid0(VALU_DEP_2) | instskip(NEXT) | instid1(VALU_DEP_2)
	v_cndmask_b32_e64 v88, v89, v84, s28
	v_cndmask_b32_e64 v89, v85, v84, s19
	s_delay_alu instid0(VALU_DEP_2) | instskip(NEXT) | instid1(VALU_DEP_2)
	v_perm_b32 v85, v88, v90, 0x5040100
	v_perm_b32 v84, v89, v66, 0x5040100
	ds_store_b128 v76, v[69:72]
	ds_store_b128 v76, v[83:86] offset:1024
	v_cmpx_gt_u32_e32 5, v0
	s_cbranch_execz .LBB1490_78
; %bb.77:
	s_mul_i32 s5, s9, s34
	s_load_b128 s[16:19], s[0:1], 0x58
	v_add3_u32 v69, s5, s31, v65
	s_delay_alu instid0(VALU_DEP_1) | instskip(NEXT) | instid1(VALU_DEP_1)
	v_mad_u64_u32 v[65:66], null, v69, s36, s[14:15]
	v_ashrrev_i32_e32 v66, 31, v65
	s_delay_alu instid0(VALU_DEP_1) | instskip(SKIP_1) | instid1(VALU_DEP_1)
	v_lshlrev_b64 v[65:66], 2, v[65:66]
	s_waitcnt lgkmcnt(0)
	v_add_co_u32 v69, vcc_lo, s18, v65
	s_delay_alu instid0(VALU_DEP_2)
	v_add_co_ci_u32_e32 v70, vcc_lo, s19, v66, vcc_lo
	v_add_co_u32 v65, vcc_lo, s16, v65
	v_add_co_ci_u32_e32 v66, vcc_lo, s17, v66, vcc_lo
	global_store_b32 v[69:70], v67, off
	global_store_b32 v[65:66], v68, off
.LBB1490_78:
	s_or_b32 exec_lo, exec_lo, s4
	s_waitcnt lgkmcnt(0)
	s_waitcnt_vscnt null, 0x0
	s_barrier
	buffer_gl0_inv
	ds_load_b128 v[83:86], v80
	ds_load_b128 v[87:90], v80 offset:16
	ds_load_b128 v[95:98], v80 offset:2064
	;; [unrolled: 1-line block ×3, first 2 shown]
	v_mov_b32_e32 v65, 0
	ds_load_b128 v[103:106], v80 offset:4112
	ds_load_b128 v[99:102], v80 offset:4096
	;; [unrolled: 1-line block ×4, first 2 shown]
	v_mov_b32_e32 v66, v65
	v_mov_b32_e32 v67, v65
	;; [unrolled: 1-line block ×7, first 2 shown]
	s_waitcnt lgkmcnt(6)
	s_delay_alu instid0(VALU_DEP_1)
	v_wmma_f32_16x16x16_bf16 v[65:72], v[57:64], v[83:90], v[65:72]
	ds_load_b128 v[61:64], v80 offset:8208
	ds_load_b128 v[57:60], v80 offset:8192
	s_waitcnt lgkmcnt(6)
	v_wmma_f32_16x16x16_bf16 v[65:72], v[41:48], v[91:98], v[65:72]
	ds_load_b128 v[45:48], v80 offset:10256
	ds_load_b128 v[41:44], v80 offset:10240
	s_waitcnt lgkmcnt(6)
	v_wmma_f32_16x16x16_bf16 v[65:72], v[33:40], v[99:106], v[65:72]
	ds_load_b128 v[37:40], v80 offset:12304
	ds_load_b128 v[33:36], v80 offset:12288
	s_waitcnt lgkmcnt(6)
	v_wmma_f32_16x16x16_bf16 v[65:72], v[25:32], v[107:114], v[65:72]
	ds_load_b128 v[29:32], v80 offset:14352
	ds_load_b128 v[25:28], v80 offset:14336
	s_waitcnt lgkmcnt(6)
	v_wmma_f32_16x16x16_bf16 v[65:72], v[1:8], v[57:64], v[65:72]
	s_waitcnt lgkmcnt(4)
	s_delay_alu instid0(VALU_DEP_1) | instskip(SKIP_1) | instid1(VALU_DEP_1)
	v_wmma_f32_16x16x16_bf16 v[65:72], v[9:16], v[41:48], v[65:72]
	s_waitcnt lgkmcnt(2)
	v_wmma_f32_16x16x16_bf16 v[65:72], v[17:24], v[33:40], v[65:72]
	s_waitcnt lgkmcnt(0)
	s_delay_alu instid0(VALU_DEP_1) | instskip(NEXT) | instid1(VALU_DEP_1)
	v_wmma_f32_16x16x16_bf16 v[65:72], v[49:56], v[25:32], v[65:72]
	v_and_b32_e32 v1, 0x7f800000, v65
	s_delay_alu instid0(VALU_DEP_1) | instskip(SKIP_1) | instid1(SALU_CYCLE_1)
	v_cmp_ne_u32_e32 vcc_lo, 0x7f800000, v1
                                        ; implicit-def: $vgpr1
	s_and_saveexec_b32 s4, vcc_lo
	s_xor_b32 s4, exec_lo, s4
; %bb.79:
	v_bfe_u32 v1, v65, 16, 1
	s_delay_alu instid0(VALU_DEP_1)
	v_add3_u32 v1, v65, v1, 0x7fff
; %bb.80:
	s_and_not1_saveexec_b32 s4, s4
; %bb.81:
	v_and_b32_e32 v1, 0xffff, v65
	v_or_b32_e32 v2, 0x10000, v65
	s_delay_alu instid0(VALU_DEP_2) | instskip(NEXT) | instid1(VALU_DEP_2)
	v_cmp_eq_u32_e32 vcc_lo, 0, v1
	v_cndmask_b32_e32 v1, v2, v65, vcc_lo
; %bb.82:
	s_or_b32 exec_lo, exec_lo, s4
	v_and_b32_e32 v2, 0x7f800000, v66
	s_delay_alu instid0(VALU_DEP_1) | instskip(SKIP_1) | instid1(SALU_CYCLE_1)
	v_cmp_ne_u32_e32 vcc_lo, 0x7f800000, v2
                                        ; implicit-def: $vgpr2
	s_and_saveexec_b32 s4, vcc_lo
	s_xor_b32 s4, exec_lo, s4
; %bb.83:
	v_bfe_u32 v2, v66, 16, 1
	s_delay_alu instid0(VALU_DEP_1)
	v_add3_u32 v2, v66, v2, 0x7fff
; %bb.84:
	s_and_not1_saveexec_b32 s4, s4
; %bb.85:
	v_and_b32_e32 v2, 0xffff, v66
	v_or_b32_e32 v3, 0x10000, v66
	s_delay_alu instid0(VALU_DEP_2) | instskip(NEXT) | instid1(VALU_DEP_2)
	v_cmp_eq_u32_e32 vcc_lo, 0, v2
	v_cndmask_b32_e32 v2, v3, v66, vcc_lo
; %bb.86:
	s_or_b32 exec_lo, exec_lo, s4
	v_and_b32_e32 v3, 0x7f800000, v67
	s_delay_alu instid0(VALU_DEP_1) | instskip(SKIP_1) | instid1(SALU_CYCLE_1)
	v_cmp_ne_u32_e32 vcc_lo, 0x7f800000, v3
                                        ; implicit-def: $vgpr3
	s_and_saveexec_b32 s4, vcc_lo
	s_xor_b32 s4, exec_lo, s4
; %bb.87:
	v_bfe_u32 v3, v67, 16, 1
	s_delay_alu instid0(VALU_DEP_1)
	v_add3_u32 v3, v67, v3, 0x7fff
; %bb.88:
	s_and_not1_saveexec_b32 s4, s4
; %bb.89:
	v_and_b32_e32 v3, 0xffff, v67
	v_or_b32_e32 v4, 0x10000, v67
	s_delay_alu instid0(VALU_DEP_2) | instskip(NEXT) | instid1(VALU_DEP_2)
	v_cmp_eq_u32_e32 vcc_lo, 0, v3
	v_cndmask_b32_e32 v3, v4, v67, vcc_lo
; %bb.90:
	s_or_b32 exec_lo, exec_lo, s4
	v_and_b32_e32 v4, 0x7f800000, v68
	s_delay_alu instid0(VALU_DEP_1) | instskip(SKIP_1) | instid1(SALU_CYCLE_1)
	v_cmp_ne_u32_e32 vcc_lo, 0x7f800000, v4
                                        ; implicit-def: $vgpr4
	s_and_saveexec_b32 s4, vcc_lo
	s_xor_b32 s4, exec_lo, s4
; %bb.91:
	v_bfe_u32 v4, v68, 16, 1
	s_delay_alu instid0(VALU_DEP_1)
	v_add3_u32 v4, v68, v4, 0x7fff
; %bb.92:
	s_and_not1_saveexec_b32 s4, s4
; %bb.93:
	v_and_b32_e32 v4, 0xffff, v68
	v_or_b32_e32 v5, 0x10000, v68
	s_delay_alu instid0(VALU_DEP_2) | instskip(NEXT) | instid1(VALU_DEP_2)
	v_cmp_eq_u32_e32 vcc_lo, 0, v4
	v_cndmask_b32_e32 v4, v5, v68, vcc_lo
; %bb.94:
	s_or_b32 exec_lo, exec_lo, s4
	v_and_b32_e32 v5, 0x7f800000, v69
	s_delay_alu instid0(VALU_DEP_1) | instskip(SKIP_1) | instid1(SALU_CYCLE_1)
	v_cmp_ne_u32_e32 vcc_lo, 0x7f800000, v5
                                        ; implicit-def: $vgpr5
	s_and_saveexec_b32 s4, vcc_lo
	s_xor_b32 s4, exec_lo, s4
; %bb.95:
	v_bfe_u32 v5, v69, 16, 1
	s_delay_alu instid0(VALU_DEP_1)
	v_add3_u32 v5, v69, v5, 0x7fff
; %bb.96:
	s_and_not1_saveexec_b32 s4, s4
; %bb.97:
	v_and_b32_e32 v5, 0xffff, v69
	v_or_b32_e32 v6, 0x10000, v69
	s_delay_alu instid0(VALU_DEP_2) | instskip(NEXT) | instid1(VALU_DEP_2)
	v_cmp_eq_u32_e32 vcc_lo, 0, v5
	v_cndmask_b32_e32 v5, v6, v69, vcc_lo
; %bb.98:
	s_or_b32 exec_lo, exec_lo, s4
	v_and_b32_e32 v6, 0x7f800000, v70
	s_delay_alu instid0(VALU_DEP_1) | instskip(SKIP_1) | instid1(SALU_CYCLE_1)
	v_cmp_ne_u32_e32 vcc_lo, 0x7f800000, v6
                                        ; implicit-def: $vgpr6
	s_and_saveexec_b32 s4, vcc_lo
	s_xor_b32 s4, exec_lo, s4
; %bb.99:
	v_bfe_u32 v6, v70, 16, 1
	s_delay_alu instid0(VALU_DEP_1)
	v_add3_u32 v6, v70, v6, 0x7fff
; %bb.100:
	s_and_not1_saveexec_b32 s4, s4
; %bb.101:
	v_and_b32_e32 v6, 0xffff, v70
	v_or_b32_e32 v7, 0x10000, v70
	s_delay_alu instid0(VALU_DEP_2) | instskip(NEXT) | instid1(VALU_DEP_2)
	v_cmp_eq_u32_e32 vcc_lo, 0, v6
	v_cndmask_b32_e32 v6, v7, v70, vcc_lo
; %bb.102:
	s_or_b32 exec_lo, exec_lo, s4
	v_and_b32_e32 v7, 0x7f800000, v71
	s_delay_alu instid0(VALU_DEP_1) | instskip(SKIP_1) | instid1(SALU_CYCLE_1)
	v_cmp_ne_u32_e32 vcc_lo, 0x7f800000, v7
                                        ; implicit-def: $vgpr7
	s_and_saveexec_b32 s4, vcc_lo
	s_xor_b32 s4, exec_lo, s4
; %bb.103:
	v_bfe_u32 v7, v71, 16, 1
	s_delay_alu instid0(VALU_DEP_1)
	v_add3_u32 v7, v71, v7, 0x7fff
; %bb.104:
	s_and_not1_saveexec_b32 s4, s4
; %bb.105:
	v_and_b32_e32 v7, 0xffff, v71
	v_or_b32_e32 v8, 0x10000, v71
	s_delay_alu instid0(VALU_DEP_2) | instskip(NEXT) | instid1(VALU_DEP_2)
	v_cmp_eq_u32_e32 vcc_lo, 0, v7
	v_cndmask_b32_e32 v7, v8, v71, vcc_lo
; %bb.106:
	s_or_b32 exec_lo, exec_lo, s4
	v_and_b32_e32 v8, 0x7f800000, v72
	s_delay_alu instid0(VALU_DEP_1) | instskip(SKIP_1) | instid1(SALU_CYCLE_1)
	v_cmp_ne_u32_e32 vcc_lo, 0x7f800000, v8
                                        ; implicit-def: $vgpr8
	s_and_saveexec_b32 s4, vcc_lo
	s_xor_b32 s4, exec_lo, s4
; %bb.107:
	v_bfe_u32 v8, v72, 16, 1
	s_delay_alu instid0(VALU_DEP_1)
	v_add3_u32 v8, v72, v8, 0x7fff
                                        ; implicit-def: $vgpr65_vgpr66_vgpr67_vgpr68_vgpr69_vgpr70_vgpr71_vgpr72
; %bb.108:
	s_and_not1_saveexec_b32 s4, s4
; %bb.109:
	v_and_b32_e32 v8, 0xffff, v72
	v_or_b32_e32 v9, 0x10000, v72
	s_delay_alu instid0(VALU_DEP_2) | instskip(NEXT) | instid1(VALU_DEP_2)
	v_cmp_eq_u32_e32 vcc_lo, 0, v8
	v_cndmask_b32_e32 v8, v9, v72, vcc_lo
; %bb.110:
	s_or_b32 exec_lo, exec_lo, s4
	s_delay_alu instid0(VALU_DEP_1)
	v_perm_b32 v7, v8, v7, 0x7060302
	v_perm_b32 v6, v6, v5, 0x7060302
	;; [unrolled: 1-line block ×4, first 2 shown]
	s_barrier
	buffer_gl0_inv
	v_cmp_eq_u32_e32 vcc_lo, 1, v78
	ds_store_b128 v76, v[4:7]
	s_waitcnt lgkmcnt(0)
	s_barrier
	buffer_gl0_inv
	ds_load_b128 v[1:4], v82
	ds_load_b128 v[5:8], v82 offset:16
	v_cmp_eq_u32_e64 s4, 1, v79
	v_cmp_eq_u32_e64 s5, 2, v78
	;; [unrolled: 1-line block ×5, first 2 shown]
	s_waitcnt lgkmcnt(1)
	v_lshrrev_b32_e32 v9, 16, v1
	s_waitcnt lgkmcnt(0)
	v_lshrrev_b32_e32 v13, 16, v5
	v_lshrrev_b32_e32 v10, 16, v2
	;; [unrolled: 1-line block ×4, first 2 shown]
	v_cndmask_b32_e64 v19, v1, v9, s4
	v_cndmask_b32_e32 v18, v5, v13, vcc_lo
	v_cndmask_b32_e64 v20, v5, v13, s4
	v_cndmask_b32_e32 v17, v1, v9, vcc_lo
	v_cmp_eq_u32_e32 vcc_lo, 2, v79
	v_lshrrev_b32_e32 v15, 16, v7
	v_cmp_eq_u32_e64 s4, 1, v77
	v_lshrrev_b32_e32 v12, 16, v4
	v_lshrrev_b32_e32 v16, 16, v8
	v_cndmask_b32_e32 v20, v20, v6, vcc_lo
	v_cndmask_b32_e64 v17, v17, v2, s5
	v_cndmask_b32_e32 v19, v19, v2, vcc_lo
	v_cndmask_b32_e64 v18, v18, v6, s5
	v_cmp_eq_u32_e32 vcc_lo, 4, v78
	v_cmp_eq_u32_e64 s5, 3, v79
	v_cndmask_b32_e64 v17, v17, v10, s6
	v_cndmask_b32_e64 v21, v1, v9, s4
	;; [unrolled: 1-line block ×5, first 2 shown]
	v_cndmask_b32_e32 v17, v17, v3, vcc_lo
	v_cndmask_b32_e64 v20, v20, v14, s5
	v_cndmask_b32_e32 v18, v18, v7, vcc_lo
	v_cmp_eq_u32_e32 vcc_lo, 4, v79
	v_cmp_eq_u32_e64 s5, 5, v79
	v_cmp_eq_u32_e64 s4, 2, v81
	v_cndmask_b32_e64 v21, v21, v2, s8
	v_cmp_eq_u32_e64 s6, 5, v78
	v_cndmask_b32_e32 v19, v19, v3, vcc_lo
	v_cndmask_b32_e32 v20, v20, v7, vcc_lo
	v_cmp_eq_u32_e32 vcc_lo, 6, v79
	s_delay_alu instid0(VALU_DEP_4) | instskip(NEXT) | instid1(VALU_DEP_4)
	v_cndmask_b32_e64 v17, v17, v11, s6
	v_cndmask_b32_e64 v19, v19, v11, s5
	s_delay_alu instid0(VALU_DEP_4) | instskip(SKIP_1) | instid1(VALU_DEP_3)
	v_cndmask_b32_e64 v20, v20, v15, s5
	v_cmp_eq_u32_e64 s5, 1, v81
	v_cndmask_b32_e32 v19, v19, v4, vcc_lo
	v_cndmask_b32_e64 v18, v18, v15, s6
	s_delay_alu instid0(VALU_DEP_3)
	v_cndmask_b32_e64 v1, v1, v9, s5
	v_cndmask_b32_e64 v5, v5, v13, s5
	v_cmp_eq_u32_e64 s5, 3, v77
	v_cndmask_b32_e64 v13, v22, v6, s8
	v_cmp_eq_u32_e64 s8, 3, v81
	v_cndmask_b32_e64 v1, v1, v2, s4
	v_cndmask_b32_e64 v2, v5, v6, s4
	;; [unrolled: 1-line block ×3, first 2 shown]
	v_cmp_eq_u32_e64 s4, 4, v77
	v_cndmask_b32_e64 v6, v13, v14, s5
	v_cndmask_b32_e64 v1, v1, v10, s8
	v_cmp_eq_u32_e64 s5, 4, v81
	v_cndmask_b32_e64 v2, v2, v14, s8
	v_cndmask_b32_e64 v5, v9, v3, s4
	;; [unrolled: 3-line block ×3, first 2 shown]
	v_cndmask_b32_e64 v2, v2, v7, s5
	v_cmp_eq_u32_e64 s4, 5, v81
	v_cmp_eq_u32_e64 s6, 6, v78
	v_cndmask_b32_e64 v5, v5, v11, s8
	v_cmp_eq_u32_e64 s5, 6, v77
	v_cndmask_b32_e64 v3, v6, v15, s8
	v_cndmask_b32_e64 v1, v1, v11, s4
	v_cmp_eq_u32_e64 s8, 6, v81
	v_cndmask_b32_e64 v2, v2, v15, s4
	v_cndmask_b32_e64 v17, v17, v4, s6
	v_cndmask_b32_e64 v18, v18, v8, s6
	v_cmp_eq_u32_e64 s6, 7, v78
	v_cndmask_b32_e64 v5, v5, v4, s5
	;; [unrolled: 4-line block ×3, first 2 shown]
	v_cmp_eq_u32_e64 s5, 7, v77
	v_cndmask_b32_e32 v4, v20, v8, vcc_lo
	v_cndmask_b32_e64 v17, v17, v12, s6
	v_cndmask_b32_e64 v19, v19, v12, s7
	;; [unrolled: 1-line block ×8, first 2 shown]
	v_cmp_gt_u32_e32 vcc_lo, 32, v0
	v_perm_b32 v4, v2, v1, 0x5040100
	v_perm_b32 v3, v3, v5, 0x5040100
	;; [unrolled: 1-line block ×4, first 2 shown]
	s_and_b32 s2, vcc_lo, s2
	ds_store_b128 v76, v[1:4]
	s_waitcnt lgkmcnt(0)
	s_barrier
	buffer_gl0_inv
	s_and_saveexec_b32 s4, s2
	s_cbranch_execz .LBB1490_2
; %bb.111:
	s_load_b64 s[4:5], s[0:1], 0x68
	v_lshlrev_b32_e32 v0, 10, v0
	v_add_nc_u32_e32 v2, s31, v74
	v_lshlrev_b32_e32 v3, 4, v75
	s_lshl_b32 s0, s36, 6
	s_delay_alu instid0(SALU_CYCLE_1) | instskip(NEXT) | instid1(VALU_DEP_2)
	s_mul_i32 s1, s0, s34
	v_mul_lo_u32 v1, v2, s0
	s_delay_alu instid0(VALU_DEP_2) | instskip(SKIP_2) | instid1(SALU_CYCLE_1)
	v_and_or_b32 v0, 0x3800, v0, v3
	v_add_nc_u32_e32 v2, 2, v2
	s_mul_i32 s6, s1, s9
	s_ashr_i32 s7, s6, 31
	s_delay_alu instid0(VALU_DEP_2)
	v_lshl_or_b32 v7, v74, 6, v0
	s_lshl_b64 s[6:7], s[6:7], 1
	v_mul_lo_u32 v11, v2, s0
	v_ashrrev_i32_e32 v2, 31, v1
	ds_load_b128 v[3:6], v7
	ds_load_b128 v[7:10], v7 offset:128
	s_waitcnt lgkmcnt(0)
	s_add_u32 s1, s4, s6
	s_addc_u32 s2, s5, s7
	s_lshl_b32 s4, s14, 6
	v_ashrrev_i32_e32 v12, 31, v11
	s_ashr_i32 s5, s4, 31
	v_lshlrev_b64 v[13:14], 1, v[1:2]
	s_lshl_b64 s[4:5], s[4:5], 1
	s_delay_alu instid0(SALU_CYCLE_1) | instskip(SKIP_2) | instid1(VALU_DEP_1)
	s_add_u32 s1, s1, s4
	s_addc_u32 s2, s2, s5
	v_add_co_u32 v1, s1, s1, v73
	v_add_co_ci_u32_e64 v2, null, s2, 0, s1
	v_lshlrev_b64 v[11:12], 1, v[11:12]
	s_delay_alu instid0(VALU_DEP_3) | instskip(NEXT) | instid1(VALU_DEP_3)
	v_add_co_u32 v13, vcc_lo, v1, v13
	v_add_co_ci_u32_e32 v14, vcc_lo, v2, v14, vcc_lo
	s_delay_alu instid0(VALU_DEP_3) | instskip(NEXT) | instid1(VALU_DEP_4)
	v_add_co_u32 v11, vcc_lo, v1, v11
	v_add_co_ci_u32_e32 v12, vcc_lo, v2, v12, vcc_lo
	s_clause 0x1
	global_store_b128 v[13:14], v[3:6], off
	global_store_b128 v[11:12], v[7:10], off
	s_and_b32 exec_lo, exec_lo, s3
	s_cbranch_execz .LBB1490_2
; %bb.112:
	ds_load_b128 v[3:6], v0 offset:256
	s_add_i32 s1, s31, 4
	s_delay_alu instid0(SALU_CYCLE_1) | instskip(NEXT) | instid1(SALU_CYCLE_1)
	s_mul_i32 s0, s1, s0
	s_ashr_i32 s1, s0, 31
	s_delay_alu instid0(SALU_CYCLE_1) | instskip(NEXT) | instid1(SALU_CYCLE_1)
	s_lshl_b64 s[0:1], s[0:1], 1
	v_add_co_u32 v0, vcc_lo, v1, s0
	v_add_co_ci_u32_e32 v1, vcc_lo, s1, v2, vcc_lo
	s_waitcnt lgkmcnt(0)
	global_store_b128 v[0:1], v[3:6], off
	s_nop 0
	s_sendmsg sendmsg(MSG_DEALLOC_VGPRS)
	s_endpgm
	.section	.rodata,"a",@progbits
	.p2align	6, 0x0
	.amdhsa_kernel _Z39paged_attention_ll4mi_QKV_mfma16_kernelI14__hip_bfloat16hLN4vllm18Fp8KVCacheDataTypeE1ES0_Li32ELi64ELi256ELb0ELi5EL8MFMAType1EEvPKT_PKT0_S9_ifPKiSB_SB_iPKfiiiPfSE_PS4_PT2_iSD_SD_
		.amdhsa_group_segment_fixed_size 17472
		.amdhsa_private_segment_fixed_size 0
		.amdhsa_kernarg_size 400
		.amdhsa_user_sgpr_count 13
		.amdhsa_user_sgpr_dispatch_ptr 0
		.amdhsa_user_sgpr_queue_ptr 0
		.amdhsa_user_sgpr_kernarg_segment_ptr 1
		.amdhsa_user_sgpr_dispatch_id 0
		.amdhsa_user_sgpr_private_segment_size 0
		.amdhsa_wavefront_size32 1
		.amdhsa_uses_dynamic_stack 0
		.amdhsa_enable_private_segment 0
		.amdhsa_system_sgpr_workgroup_id_x 1
		.amdhsa_system_sgpr_workgroup_id_y 1
		.amdhsa_system_sgpr_workgroup_id_z 1
		.amdhsa_system_sgpr_workgroup_info 0
		.amdhsa_system_vgpr_workitem_id 0
		.amdhsa_next_free_vgpr 124
		.amdhsa_next_free_sgpr 42
		.amdhsa_reserve_vcc 1
		.amdhsa_float_round_mode_32 0
		.amdhsa_float_round_mode_16_64 0
		.amdhsa_float_denorm_mode_32 3
		.amdhsa_float_denorm_mode_16_64 3
		.amdhsa_dx10_clamp 1
		.amdhsa_ieee_mode 1
		.amdhsa_fp16_overflow 0
		.amdhsa_workgroup_processor_mode 1
		.amdhsa_memory_ordered 1
		.amdhsa_forward_progress 0
		.amdhsa_shared_vgpr_count 0
		.amdhsa_exception_fp_ieee_invalid_op 0
		.amdhsa_exception_fp_denorm_src 0
		.amdhsa_exception_fp_ieee_div_zero 0
		.amdhsa_exception_fp_ieee_overflow 0
		.amdhsa_exception_fp_ieee_underflow 0
		.amdhsa_exception_fp_ieee_inexact 0
		.amdhsa_exception_int_div_zero 0
	.end_amdhsa_kernel
	.section	.text._Z39paged_attention_ll4mi_QKV_mfma16_kernelI14__hip_bfloat16hLN4vllm18Fp8KVCacheDataTypeE1ES0_Li32ELi64ELi256ELb0ELi5EL8MFMAType1EEvPKT_PKT0_S9_ifPKiSB_SB_iPKfiiiPfSE_PS4_PT2_iSD_SD_,"axG",@progbits,_Z39paged_attention_ll4mi_QKV_mfma16_kernelI14__hip_bfloat16hLN4vllm18Fp8KVCacheDataTypeE1ES0_Li32ELi64ELi256ELb0ELi5EL8MFMAType1EEvPKT_PKT0_S9_ifPKiSB_SB_iPKfiiiPfSE_PS4_PT2_iSD_SD_,comdat
.Lfunc_end1490:
	.size	_Z39paged_attention_ll4mi_QKV_mfma16_kernelI14__hip_bfloat16hLN4vllm18Fp8KVCacheDataTypeE1ES0_Li32ELi64ELi256ELb0ELi5EL8MFMAType1EEvPKT_PKT0_S9_ifPKiSB_SB_iPKfiiiPfSE_PS4_PT2_iSD_SD_, .Lfunc_end1490-_Z39paged_attention_ll4mi_QKV_mfma16_kernelI14__hip_bfloat16hLN4vllm18Fp8KVCacheDataTypeE1ES0_Li32ELi64ELi256ELb0ELi5EL8MFMAType1EEvPKT_PKT0_S9_ifPKiSB_SB_iPKfiiiPfSE_PS4_PT2_iSD_SD_
                                        ; -- End function
	.section	.AMDGPU.csdata,"",@progbits
; Kernel info:
; codeLenInByte = 8780
; NumSgprs: 44
; NumVgprs: 124
; ScratchSize: 0
; MemoryBound: 0
; FloatMode: 240
; IeeeMode: 1
; LDSByteSize: 17472 bytes/workgroup (compile time only)
; SGPRBlocks: 5
; VGPRBlocks: 15
; NumSGPRsForWavesPerEU: 44
; NumVGPRsForWavesPerEU: 124
; Occupancy: 10
; WaveLimiterHint : 1
; COMPUTE_PGM_RSRC2:SCRATCH_EN: 0
; COMPUTE_PGM_RSRC2:USER_SGPR: 13
; COMPUTE_PGM_RSRC2:TRAP_HANDLER: 0
; COMPUTE_PGM_RSRC2:TGID_X_EN: 1
; COMPUTE_PGM_RSRC2:TGID_Y_EN: 1
; COMPUTE_PGM_RSRC2:TGID_Z_EN: 1
; COMPUTE_PGM_RSRC2:TIDIG_COMP_CNT: 0
	.section	.text._Z39paged_attention_ll4mi_QKV_mfma16_kernelI14__hip_bfloat16hLN4vllm18Fp8KVCacheDataTypeE1ES0_Li32ELi64ELi256ELb0ELi6EL8MFMAType1EEvPKT_PKT0_S9_ifPKiSB_SB_iPKfiiiPfSE_PS4_PT2_iSD_SD_,"axG",@progbits,_Z39paged_attention_ll4mi_QKV_mfma16_kernelI14__hip_bfloat16hLN4vllm18Fp8KVCacheDataTypeE1ES0_Li32ELi64ELi256ELb0ELi6EL8MFMAType1EEvPKT_PKT0_S9_ifPKiSB_SB_iPKfiiiPfSE_PS4_PT2_iSD_SD_,comdat
	.protected	_Z39paged_attention_ll4mi_QKV_mfma16_kernelI14__hip_bfloat16hLN4vllm18Fp8KVCacheDataTypeE1ES0_Li32ELi64ELi256ELb0ELi6EL8MFMAType1EEvPKT_PKT0_S9_ifPKiSB_SB_iPKfiiiPfSE_PS4_PT2_iSD_SD_ ; -- Begin function _Z39paged_attention_ll4mi_QKV_mfma16_kernelI14__hip_bfloat16hLN4vllm18Fp8KVCacheDataTypeE1ES0_Li32ELi64ELi256ELb0ELi6EL8MFMAType1EEvPKT_PKT0_S9_ifPKiSB_SB_iPKfiiiPfSE_PS4_PT2_iSD_SD_
	.globl	_Z39paged_attention_ll4mi_QKV_mfma16_kernelI14__hip_bfloat16hLN4vllm18Fp8KVCacheDataTypeE1ES0_Li32ELi64ELi256ELb0ELi6EL8MFMAType1EEvPKT_PKT0_S9_ifPKiSB_SB_iPKfiiiPfSE_PS4_PT2_iSD_SD_
	.p2align	8
	.type	_Z39paged_attention_ll4mi_QKV_mfma16_kernelI14__hip_bfloat16hLN4vllm18Fp8KVCacheDataTypeE1ES0_Li32ELi64ELi256ELb0ELi6EL8MFMAType1EEvPKT_PKT0_S9_ifPKiSB_SB_iPKfiiiPfSE_PS4_PT2_iSD_SD_,@function
_Z39paged_attention_ll4mi_QKV_mfma16_kernelI14__hip_bfloat16hLN4vllm18Fp8KVCacheDataTypeE1ES0_Li32ELi64ELi256ELb0ELi6EL8MFMAType1EEvPKT_PKT0_S9_ifPKiSB_SB_iPKfiiiPfSE_PS4_PT2_iSD_SD_: ; @_Z39paged_attention_ll4mi_QKV_mfma16_kernelI14__hip_bfloat16hLN4vllm18Fp8KVCacheDataTypeE1ES0_Li32ELi64ELi256ELb0ELi6EL8MFMAType1EEvPKT_PKT0_S9_ifPKiSB_SB_iPKfiiiPfSE_PS4_PT2_iSD_SD_
; %bb.0:
	s_load_b64 s[2:3], s[0:1], 0x30
	s_mov_b32 s30, s13
	s_waitcnt lgkmcnt(0)
	s_cmp_lg_u64 s[2:3], 0
	s_cselect_b32 s8, -1, 0
	s_ashr_i32 s31, s13, 31
	s_cmp_eq_u64 s[2:3], 0
	s_cbranch_scc1 .LBB1491_3
; %bb.1:
	s_lshl_b64 s[4:5], s[30:31], 2
	s_delay_alu instid0(SALU_CYCLE_1) | instskip(SKIP_4) | instid1(SALU_CYCLE_1)
	s_add_u32 s4, s2, s4
	s_addc_u32 s5, s3, s5
	s_load_b64 s[4:5], s[4:5], 0x0
	s_waitcnt lgkmcnt(0)
	s_sub_i32 s4, s5, s4
	s_cmp_eq_u32 s4, 1
	s_cselect_b32 s4, -1, 0
	s_delay_alu instid0(SALU_CYCLE_1)
	s_and_not1_b32 vcc_lo, exec_lo, s4
	s_cbranch_vccz .LBB1491_4
.LBB1491_2:
	s_endpgm
.LBB1491_3:
.LBB1491_4:
	s_load_b64 s[4:5], s[0:1], 0x28
	s_lshl_b64 s[6:7], s[30:31], 2
	s_waitcnt lgkmcnt(0)
	s_add_u32 s4, s4, s6
	s_addc_u32 s5, s5, s7
	s_lshl_b32 s12, s14, 8
	s_load_b32 s24, s[4:5], 0x0
	s_waitcnt lgkmcnt(0)
	s_cmp_ge_i32 s12, s24
	s_cbranch_scc1 .LBB1491_2
; %bb.5:
	s_clause 0x1
	s_load_b128 s[20:23], s[0:1], 0x8
	s_load_b64 s[4:5], s[0:1], 0x20
	s_and_not1_b32 vcc_lo, exec_lo, s8
	s_cbranch_vccnz .LBB1491_7
; %bb.6:
	s_add_u32 s2, s2, s6
	s_addc_u32 s3, s3, s7
	s_load_b32 s3, s[2:3], 0x0
	s_branch .LBB1491_8
.LBB1491_7:
	s_mov_b32 s3, s30
.LBB1491_8:
	s_load_b128 s[16:19], s[0:1], 0x48
	v_and_b32_e32 v65, 15, v0
	v_cmp_gt_u32_e32 vcc_lo, 0x60, v0
	v_lshrrev_b32_e32 v66, 5, v0
	v_and_b32_e32 v67, 31, v0
	v_and_b32_e32 v75, 1, v0
	v_lshlrev_b32_e32 v1, 3, v65
	v_cmp_gt_u32_e64 s2, 8, v65
	v_bfe_u32 v74, v0, 4, 1
	s_mul_i32 s31, s15, 6
	s_delay_alu instid0(VALU_DEP_3) | instskip(NEXT) | instid1(VALU_DEP_3)
	v_lshlrev_b32_e32 v73, 1, v1
	s_and_b32 s7, vcc_lo, s2
	s_delay_alu instid0(SALU_CYCLE_1)
	s_and_saveexec_b32 s6, s7
	s_cbranch_execz .LBB1491_10
; %bb.9:
	s_load_b64 s[8:9], s[0:1], 0x0
	v_lshl_or_b32 v5, v66, 1, v74
	s_waitcnt lgkmcnt(0)
	s_mul_hi_i32 s11, s3, s16
	s_mul_i32 s10, s3, s16
	v_lshlrev_b32_e32 v6, 10, v65
	s_lshl_b64 s[10:11], s[10:11], 1
	v_add_lshl_u32 v1, v5, s31, 6
	v_lshlrev_b32_e32 v5, 6, v5
	v_lshlrev_b32_e32 v7, 10, v75
	v_and_b32_e32 v6, 0x3800, v6
	s_delay_alu instid0(VALU_DEP_4) | instskip(NEXT) | instid1(VALU_DEP_2)
	v_ashrrev_i32_e32 v2, 31, v1
	v_or3_b32 v5, v6, v7, v5
	s_delay_alu instid0(VALU_DEP_2) | instskip(SKIP_2) | instid1(VALU_DEP_1)
	v_lshlrev_b64 v[1:2], 1, v[1:2]
	s_add_u32 s3, s8, s10
	s_addc_u32 s7, s9, s11
	v_add_co_u32 v1, vcc_lo, s3, v1
	s_delay_alu instid0(VALU_DEP_2) | instskip(NEXT) | instid1(VALU_DEP_2)
	v_add_co_ci_u32_e32 v2, vcc_lo, s7, v2, vcc_lo
	v_add_co_u32 v1, vcc_lo, v1, v73
	s_delay_alu instid0(VALU_DEP_2)
	v_add_co_ci_u32_e32 v2, vcc_lo, 0, v2, vcc_lo
	global_load_b128 v[1:4], v[1:2], off
	s_waitcnt vmcnt(0)
	ds_store_b128 v5, v[1:4]
.LBB1491_10:
	s_or_b32 exec_lo, exec_lo, s6
	v_and_b32_e32 v1, 0xef, v0
	s_waitcnt lgkmcnt(0)
	s_add_i32 s3, s24, 31
	s_clause 0x1
	s_load_b32 s6, s[0:1], 0x38
	s_load_b32 s19, s[0:1], 0x1c
	s_ashr_i32 s7, s3, 31
	v_add_nc_u32_e32 v1, s12, v1
	s_lshr_b32 s7, s7, 27
	s_waitcnt lgkmcnt(0)
	s_add_i32 s3, s3, s7
	s_barrier
	v_ashrrev_i32_e32 v2, 31, v1
	v_or_b32_e32 v3, 16, v1
	s_ashr_i32 s3, s3, 5
	v_cmp_gt_i32_e32 vcc_lo, s24, v1
	s_add_i32 s3, s3, -1
	v_lshrrev_b32_e32 v2, 27, v2
	buffer_gl0_inv
	s_mul_i32 s27, s15, s18
	v_add_nc_u32_e32 v4, v1, v2
	s_mul_i32 s6, s30, s6
	s_delay_alu instid0(SALU_CYCLE_1) | instskip(NEXT) | instid1(VALU_DEP_1)
	s_ashr_i32 s7, s6, 31
	v_ashrrev_i32_e32 v4, 5, v4
	v_add_nc_u32_e32 v2, v3, v2
	s_lshl_b64 s[6:7], s[6:7], 2
	s_delay_alu instid0(SALU_CYCLE_1) | instskip(NEXT) | instid1(VALU_DEP_2)
	s_add_u32 s26, s4, s6
	v_cndmask_b32_e32 v1, s3, v4, vcc_lo
	s_delay_alu instid0(VALU_DEP_2)
	v_ashrrev_i32_e32 v2, 5, v2
	v_cmp_gt_i32_e32 vcc_lo, s24, v3
	s_addc_u32 s25, s5, s7
	s_ashr_i32 s28, s27, 31
	s_add_u32 s4, s20, s27
	s_addc_u32 s5, s21, s28
	v_cndmask_b32_e32 v3, s3, v2, vcc_lo
	v_ashrrev_i32_e32 v2, 31, v1
	s_lshl_b32 s6, s14, 3
	s_delay_alu instid0(SALU_CYCLE_1) | instskip(NEXT) | instid1(VALU_DEP_2)
	s_ashr_i32 s7, s6, 31
	v_ashrrev_i32_e32 v4, 31, v3
	s_delay_alu instid0(VALU_DEP_2) | instskip(SKIP_1) | instid1(SALU_CYCLE_1)
	v_lshlrev_b64 v[1:2], 2, v[1:2]
	s_lshl_b64 s[6:7], s[6:7], 2
	s_add_u32 s6, s26, s6
	s_delay_alu instid0(VALU_DEP_2) | instskip(SKIP_1) | instid1(VALU_DEP_2)
	v_lshlrev_b64 v[3:4], 2, v[3:4]
	s_addc_u32 s7, s25, s7
	v_add_co_u32 v1, vcc_lo, s26, v1
	v_add_co_ci_u32_e32 v2, vcc_lo, s25, v2, vcc_lo
	s_delay_alu instid0(VALU_DEP_3) | instskip(NEXT) | instid1(VALU_DEP_4)
	v_add_co_u32 v3, vcc_lo, s26, v3
	v_add_co_ci_u32_e32 v4, vcc_lo, s25, v4, vcc_lo
	s_clause 0x1
	global_load_b32 v5, v[1:2], off
	global_load_b32 v6, v[3:4], off
	s_or_b32 s8, s12, 32
	s_delay_alu instid0(SALU_CYCLE_1) | instskip(SKIP_2) | instid1(SALU_CYCLE_1)
	s_ashr_i32 s9, s8, 5
	s_cmp_lt_i32 s8, s24
	s_cselect_b32 s8, s9, s3
	s_ashr_i32 s9, s8, 31
	s_delay_alu instid0(SALU_CYCLE_1) | instskip(NEXT) | instid1(SALU_CYCLE_1)
	s_lshl_b64 s[8:9], s[8:9], 2
	s_add_u32 s8, s26, s8
	s_addc_u32 s9, s25, s9
	s_or_b32 s10, s12, 64
	s_delay_alu instid0(SALU_CYCLE_1) | instskip(SKIP_2) | instid1(SALU_CYCLE_1)
	s_ashr_i32 s11, s10, 5
	s_cmp_lt_i32 s10, s24
	s_cselect_b32 s10, s11, s3
	s_ashr_i32 s11, s10, 31
	s_delay_alu instid0(SALU_CYCLE_1) | instskip(NEXT) | instid1(SALU_CYCLE_1)
	s_lshl_b64 s[10:11], s[10:11], 2
	s_add_u32 s10, s26, s10
	s_addc_u32 s11, s25, s11
	;; [unrolled: 10-line block ×5, first 2 shown]
	s_clause 0x5
	s_load_b32 s21, s[6:7], 0x0
	s_load_b32 s13, s[8:9], 0x0
	;; [unrolled: 1-line block ×6, first 2 shown]
	s_or_b32 s9, s12, 0xc0
	s_delay_alu instid0(SALU_CYCLE_1) | instskip(SKIP_2) | instid1(SALU_CYCLE_1)
	s_ashr_i32 s10, s9, 5
	s_cmp_lt_i32 s9, s24
	s_cselect_b32 s34, s10, s3
	s_ashr_i32 s35, s34, 31
	s_delay_alu instid0(SALU_CYCLE_1) | instskip(NEXT) | instid1(SALU_CYCLE_1)
	s_lshl_b64 s[34:35], s[34:35], 2
	s_add_u32 s34, s26, s34
	s_addc_u32 s35, s25, s35
	s_or_b32 s29, s12, 0xe0
	s_delay_alu instid0(SALU_CYCLE_1)
	s_ashr_i32 s33, s29, 5
	s_cmp_lt_i32 s29, s24
	s_waitcnt vmcnt(1)
	v_mad_i64_i32 v[1:2], null, v5, s17, s[4:5]
	s_waitcnt vmcnt(0)
	v_mad_i64_i32 v[3:4], null, v6, s17, s[4:5]
	s_mov_b32 s4, 0
	s_delay_alu instid0(SALU_CYCLE_1)
	s_mov_b32 s5, s4
	s_mov_b32 s6, s4
	s_mov_b32 s7, s4
	s_mov_b32 s8, s4
	s_mov_b32 s9, s4
	s_mov_b32 s10, s4
	s_mov_b32 s11, s4
	v_lshlrev_b32_e32 v5, 4, v65
	v_dual_mov_b32 v107, s11 :: v_dual_mov_b32 v102, s6
	v_mov_b32_e32 v106, s10
	v_mov_b32_e32 v104, s8
	s_delay_alu instid0(VALU_DEP_4)
	v_add_co_u32 v1, vcc_lo, v1, v5
	v_add_co_ci_u32_e32 v2, vcc_lo, 0, v2, vcc_lo
	v_add_co_u32 v3, vcc_lo, v3, v5
	v_add_co_ci_u32_e32 v4, vcc_lo, 0, v4, vcc_lo
	s_clause 0x7
	global_load_b128 v[49:52], v[1:2], off
	global_load_b128 v[53:56], v[1:2], off offset:512
	global_load_b128 v[76:79], v[3:4], off offset:256
	;; [unrolled: 1-line block ×7, first 2 shown]
	v_mul_lo_u16 v1, v65, 43
	v_mov_b32_e32 v103, s7
	v_dual_mov_b32 v101, s5 :: v_dual_lshlrev_b32 v2, 5, v65
	v_mov_b32_e32 v100, s4
	s_delay_alu instid0(VALU_DEP_4) | instskip(NEXT) | instid1(VALU_DEP_3)
	v_lshrrev_b16 v1, 8, v1
	v_lshl_or_b32 v2, v66, 9, v2
	s_delay_alu instid0(VALU_DEP_2) | instskip(NEXT) | instid1(VALU_DEP_1)
	v_mul_lo_u16 v1, v1, 6
	v_sub_nc_u16 v1, v65, v1
	s_delay_alu instid0(VALU_DEP_1)
	v_and_b32_e32 v1, 0xff, v1
	v_mov_b32_e32 v105, s9
	s_cselect_b32 s4, s33, s3
	s_load_b32 s3, s[34:35], 0x0
	s_ashr_i32 s5, s4, 31
	v_lshlrev_b32_e32 v70, 6, v1
	s_lshl_b64 s[4:5], s[4:5], 2
	ds_load_b128 v[108:111], v70
	ds_load_b128 v[112:115], v70 offset:1024
	s_add_u32 s4, s26, s4
	s_addc_u32 s5, s25, s5
	s_add_u32 s6, s22, s27
	s_load_b32 s4, s[4:5], 0x0
	s_addc_u32 s7, s23, s28
	v_add_co_u32 v9, s6, s6, v2
	s_delay_alu instid0(VALU_DEP_1) | instskip(SKIP_1) | instid1(VALU_DEP_1)
	v_add_co_ci_u32_e64 v10, null, s7, 0, s6
	s_waitcnt lgkmcnt(0)
	v_mad_i64_i32 v[1:2], null, s21, s17, v[9:10]
	v_mad_i64_i32 v[3:4], null, s13, s17, v[9:10]
	;; [unrolled: 1-line block ×7, first 2 shown]
	s_clause 0x9
	global_load_b128 v[57:60], v[1:2], off
	global_load_b128 v[61:64], v[1:2], off offset:16
	global_load_b128 v[41:44], v[3:4], off
	global_load_b128 v[45:48], v[3:4], off offset:16
	;; [unrolled: 2-line block ×5, first 2 shown]
	v_mad_i64_i32 v[68:69], null, s4, s17, v[9:10]
	s_clause 0x3
	global_load_b128 v[9:12], v[13:14], off
	global_load_b128 v[13:16], v[13:14], off offset:16
	global_load_b128 v[17:20], v[21:22], off
	global_load_b128 v[21:24], v[21:22], off offset:16
	s_waitcnt vmcnt(20)
	v_wmma_f32_16x16x16_bf16 v[116:123], v[49:56], v[108:115], v[100:107]
	s_clause 0x1
	global_load_b128 v[49:52], v[68:69], off
	global_load_b128 v[53:56], v[68:69], off offset:16
	v_and_b32_e32 v68, 0xe0, v0
	v_mbcnt_lo_u32_b32 v69, -1, 0
	s_delay_alu instid0(VALU_DEP_2)
	v_add_nc_u32_e32 v68, s12, v68
	s_waitcnt vmcnt(20)
	v_wmma_f32_16x16x16_bf16 v[100:107], v[76:83], v[108:115], v[100:107]
	ds_load_b128 v[76:79], v70 offset:2048
	ds_load_b128 v[80:83], v70 offset:3072
	v_xor_b32_e32 v70, 16, v69
	s_waitcnt vmcnt(0) lgkmcnt(0)
	v_or_b32_e32 v68, v68, v74
	s_barrier
	buffer_gl0_inv
	v_cmp_gt_i32_e32 vcc_lo, 32, v70
	v_or_b32_e32 v71, 4, v68
	v_or_b32_e32 v72, 6, v68
	v_cmp_gt_i32_e64 s3, s24, v68
	v_or_b32_e32 v108, 8, v68
	v_or_b32_e32 v109, 10, v68
	v_cmp_gt_i32_e64 s4, s24, v71
	v_cmp_gt_i32_e64 s5, s24, v72
	s_delay_alu instid0(VALU_DEP_4) | instskip(NEXT) | instid1(VALU_DEP_4)
	v_cmp_gt_i32_e64 s6, s24, v108
	v_cmp_gt_i32_e64 s7, s24, v109
	v_wmma_f32_16x16x16_bf16 v[116:123], v[84:91], v[76:83], v[116:123]
	v_cndmask_b32_e32 v69, v69, v70, vcc_lo
	v_or_b32_e32 v70, 2, v68
	v_wmma_f32_16x16x16_bf16 v[100:107], v[92:99], v[76:83], v[100:107]
	v_or_b32_e32 v84, 12, v68
	v_dual_mul_f32 v78, s19, v123 :: v_dual_mul_f32 v83, s19, v118
	v_dual_mul_f32 v92, s19, v117 :: v_dual_mul_f32 v93, s19, v116
	s_delay_alu instid0(VALU_DEP_4) | instskip(SKIP_2) | instid1(VALU_DEP_4)
	v_mul_f32_e32 v94, s19, v107
	v_cmp_gt_i32_e32 vcc_lo, s24, v70
	v_dual_mul_f32 v81, s19, v120 :: v_dual_mul_f32 v82, s19, v119
	v_cndmask_b32_e64 v93, 0xff7fffff, v93, s3
	v_or_b32_e32 v85, 14, v68
	v_cndmask_b32_e32 v92, 0xff7fffff, v92, vcc_lo
	v_dual_mul_f32 v79, s19, v122 :: v_dual_mul_f32 v80, s19, v121
	v_cndmask_b32_e64 v71, 0xff7fffff, v83, s4
	v_cndmask_b32_e64 v72, 0xff7fffff, v82, s5
	s_delay_alu instid0(VALU_DEP_4)
	v_max3_f32 v82, v93, 0xff7fffff, v92
	v_or_b32_e32 v86, 16, v68
	v_or_b32_e32 v87, 18, v68
	v_cndmask_b32_e64 v81, 0xff7fffff, v81, s6
	v_cndmask_b32_e64 v80, 0xff7fffff, v80, s7
	v_max3_f32 v71, v82, v71, v72
	v_cmp_gt_i32_e64 s8, s24, v84
	v_cmp_gt_i32_e64 s9, s24, v85
	v_or_b32_e32 v88, 20, v68
	v_or_b32_e32 v89, 22, v68
	;; [unrolled: 1-line block ×6, first 2 shown]
	v_dual_mul_f32 v99, s19, v102 :: v_dual_mul_f32 v70, s19, v101
	v_mul_f32_e32 v68, s19, v100
	v_cndmask_b32_e64 v72, 0xff7fffff, v79, s8
	v_cndmask_b32_e64 v78, 0xff7fffff, v78, s9
	v_max3_f32 v71, v71, v81, v80
	v_cmp_gt_i32_e64 s10, s24, v86
	v_cmp_gt_i32_e64 s11, s24, v87
	v_dual_mul_f32 v97, s19, v104 :: v_dual_mul_f32 v98, s19, v103
	s_delay_alu instid0(VALU_DEP_4) | instskip(SKIP_1) | instid1(VALU_DEP_4)
	v_max3_f32 v71, v71, v72, v78
	v_cmp_gt_i32_e64 s12, s24, v88
	v_cndmask_b32_e64 v70, 0xff7fffff, v70, s11
	v_cmp_gt_i32_e64 s13, s24, v89
	v_lshlrev_b32_e32 v89, 2, v69
	v_cndmask_b32_e64 v68, 0xff7fffff, v68, s10
	v_dual_mul_f32 v95, s19, v106 :: v_dual_mul_f32 v96, s19, v105
	v_cndmask_b32_e64 v72, 0xff7fffff, v99, s12
	v_cndmask_b32_e64 v78, 0xff7fffff, v98, s13
	s_delay_alu instid0(VALU_DEP_4)
	v_max3_f32 v68, v71, v68, v70
	v_cmp_gt_i32_e64 s15, s24, v90
	v_cmp_gt_i32_e64 s16, s24, v91
	;; [unrolled: 1-line block ×4, first 2 shown]
	v_max3_f32 v68, v68, v72, v78
	v_cndmask_b32_e64 v70, 0xff7fffff, v97, s15
	v_cndmask_b32_e64 v71, 0xff7fffff, v96, s16
	;; [unrolled: 1-line block ×4, first 2 shown]
	s_delay_alu instid0(VALU_DEP_3) | instskip(NEXT) | instid1(VALU_DEP_1)
	v_max3_f32 v68, v68, v70, v71
	v_max3_f32 v68, v68, v72, v76
	ds_bpermute_b32 v69, v89, v68
	s_waitcnt lgkmcnt(0)
	v_max_f32_e32 v69, v69, v69
	s_delay_alu instid0(VALU_DEP_1) | instskip(NEXT) | instid1(VALU_DEP_1)
	v_max_f32_e32 v68, v68, v69
	v_fma_f32 v71, s19, v118, -v68
	s_delay_alu instid0(VALU_DEP_1)
	v_mul_f32_e32 v71, 0x3fb8aa3b, v71
	v_fma_f32 v69, s19, v116, -v68
	v_fma_f32 v70, s19, v117, -v68
	;; [unrolled: 1-line block ×4, first 2 shown]
	v_exp_f32_e32 v71, v71
	s_delay_alu instid0(VALU_DEP_3) | instskip(SKIP_2) | instid1(VALU_DEP_3)
	v_dual_mul_f32 v69, 0x3fb8aa3b, v69 :: v_dual_mul_f32 v70, 0x3fb8aa3b, v70
	v_fma_f32 v78, s19, v122, -v68
	v_fma_f32 v81, s19, v105, -v68
	v_exp_f32_e32 v69, v69
	s_delay_alu instid0(VALU_DEP_3) | instskip(SKIP_1) | instid1(VALU_DEP_2)
	v_exp_f32_e32 v70, v70
	v_mul_f32_e32 v77, 0x3fb8aa3b, v76
	v_mul_f32_e32 v81, 0x3fb8aa3b, v81
	s_delay_alu instid0(TRANS32_DEP_3) | instskip(SKIP_1) | instid1(VALU_DEP_3)
	v_cndmask_b32_e64 v83, 0, v71, s4
	v_fma_f32 v71, s19, v123, -v68
	v_exp_f32_e32 v81, v81
	s_delay_alu instid0(TRANS32_DEP_3) | instskip(NEXT) | instid1(TRANS32_DEP_2)
	v_cndmask_b32_e64 v80, 0, v69, s3
	v_cndmask_b32_e32 v76, 0, v70, vcc_lo
	v_fma_f32 v69, s19, v121, -v68
	v_mul_f32_e32 v72, 0x3fb8aa3b, v72
	v_exp_f32_e32 v77, v77
	v_dual_add_f32 v70, 0, v80 :: v_dual_mul_f32 v71, 0x3fb8aa3b, v71
	s_delay_alu instid0(VALU_DEP_3) | instskip(NEXT) | instid1(VALU_DEP_3)
	v_mul_f32_e32 v69, 0x3fb8aa3b, v69
	v_exp_f32_e32 v72, v72
	s_mov_b32 s3, exec_lo
	s_delay_alu instid0(VALU_DEP_2) | instskip(NEXT) | instid1(VALU_DEP_1)
	v_exp_f32_e32 v71, v71
	v_exp_f32_e32 v69, v69
	v_cndmask_b32_e64 v86, 0, v77, s6
	v_fma_f32 v77, s19, v101, -v68
	v_add_f32_e32 v70, v70, v76
	s_delay_alu instid0(TRANS32_DEP_3) | instskip(SKIP_1) | instid1(VALU_DEP_3)
	v_cndmask_b32_e64 v85, 0, v72, s5
	v_fma_f32 v72, s19, v100, -v68
	v_dual_mul_f32 v77, 0x3fb8aa3b, v77 :: v_dual_add_f32 v70, v70, v83
	s_delay_alu instid0(TRANS32_DEP_2) | instskip(SKIP_1) | instid1(TRANS32_DEP_1)
	v_cndmask_b32_e64 v88, 0, v71, s9
	v_fma_f32 v71, s19, v104, -v68
	v_cndmask_b32_e64 v87, 0, v69, s7
	s_delay_alu instid0(VALU_DEP_4) | instskip(NEXT) | instid1(VALU_DEP_2)
	v_exp_f32_e32 v77, v77
	v_dual_add_f32 v70, v70, v85 :: v_dual_mul_f32 v71, 0x3fb8aa3b, v71
	s_delay_alu instid0(VALU_DEP_1) | instskip(SKIP_2) | instid1(VALU_DEP_3)
	v_dual_mul_f32 v72, 0x3fb8aa3b, v72 :: v_dual_add_f32 v69, v70, v86
	v_mul_f32_e32 v78, 0x3fb8aa3b, v78
	v_fma_f32 v70, s19, v102, -v68
	v_exp_f32_e32 v72, v72
	v_exp_f32_e32 v82, v71
	v_add_f32_e32 v69, v69, v87
	v_exp_f32_e32 v78, v78
	v_mul_f32_e32 v70, 0x3fb8aa3b, v70
	s_delay_alu instid0(VALU_DEP_1) | instskip(SKIP_4) | instid1(VALU_DEP_2)
	v_exp_f32_e32 v79, v70
	v_cndmask_b32_e64 v70, 0, v72, s10
	s_waitcnt_depctr 0xfff
	v_cndmask_b32_e64 v84, 0, v78, s8
	v_fma_f32 v78, s19, v103, -v68
	v_add_f32_e32 v69, v69, v84
	v_cndmask_b32_e64 v71, 0, v79, s12
	s_delay_alu instid0(VALU_DEP_2) | instskip(SKIP_2) | instid1(VALU_DEP_1)
	v_add_f32_e32 v72, v69, v88
	v_cndmask_b32_e64 v69, 0, v77, s11
	v_fma_f32 v77, s19, v106, -v68
	v_dual_mul_f32 v77, 0x3fb8aa3b, v77 :: v_dual_add_f32 v72, v72, v70
	v_mul_f32_e32 v78, 0x3fb8aa3b, v78
	s_delay_alu instid0(VALU_DEP_2) | instskip(NEXT) | instid1(VALU_DEP_2)
	v_exp_f32_e32 v90, v77
	v_add_f32_e32 v79, v72, v69
	s_delay_alu instid0(VALU_DEP_2)
	v_exp_f32_e32 v78, v78
	v_cndmask_b32_e64 v77, 0, v82, s15
	s_waitcnt_depctr 0xfff
	v_cndmask_b32_e64 v72, 0, v78, s13
	v_add_f32_e32 v78, v79, v71
	v_fma_f32 v79, s19, v107, -v68
	s_delay_alu instid0(VALU_DEP_1) | instskip(SKIP_1) | instid1(VALU_DEP_2)
	v_dual_add_f32 v82, v78, v72 :: v_dual_mul_f32 v79, 0x3fb8aa3b, v79
	v_cndmask_b32_e64 v78, 0, v81, s16
	v_add_f32_e32 v81, v82, v77
	s_delay_alu instid0(VALU_DEP_3) | instskip(SKIP_1) | instid1(VALU_DEP_2)
	v_exp_f32_e32 v82, v79
	v_cndmask_b32_e64 v79, 0, v90, s17
	v_add_f32_e32 v81, v81, v78
	s_delay_alu instid0(VALU_DEP_1) | instskip(SKIP_2) | instid1(VALU_DEP_1)
	v_add_f32_e32 v90, v81, v79
	s_waitcnt_depctr 0xfff
	v_cndmask_b32_e64 v81, 0, v82, s18
	v_add_f32_e32 v82, v90, v81
	ds_bpermute_b32 v89, v89, v82
	v_cmpx_gt_u32_e32 16, v67
	s_cbranch_execz .LBB1491_12
; %bb.11:
	v_mul_u32_u24_e32 v67, 0x44, v66
	s_delay_alu instid0(VALU_DEP_1) | instskip(SKIP_1) | instid1(VALU_DEP_1)
	v_lshl_add_u32 v67, v65, 2, v67
	s_waitcnt lgkmcnt(0)
	v_dual_add_f32 v82, v82, v89 :: v_dual_add_nc_u32 v67, 0x4000, v67
	ds_store_2addr_b32 v67, v68, v82 offset1:136
.LBB1491_12:
	s_or_b32 exec_lo, exec_lo, s3
	v_lshlrev_b32_e32 v67, 2, v65
	s_waitcnt lgkmcnt(0)
	s_barrier
	buffer_gl0_inv
	v_cmp_eq_u32_e32 vcc_lo, 1, v66
	v_add_nc_u32_e32 v82, 0x4000, v67
	v_cmp_eq_u32_e64 s3, 2, v66
	v_cmp_eq_u32_e64 s5, 7, v66
	ds_load_2addr_b32 v[89:90], v82 offset1:17
	ds_load_2addr_b32 v[91:92], v82 offset0:34 offset1:51
	ds_load_2addr_b32 v[93:94], v82 offset0:68 offset1:85
	;; [unrolled: 1-line block ×4, first 2 shown]
	s_waitcnt lgkmcnt(4)
	v_max3_f32 v67, v89, 0xff7fffff, v90
	s_waitcnt lgkmcnt(3)
	s_delay_alu instid0(VALU_DEP_1) | instskip(SKIP_1) | instid1(VALU_DEP_1)
	v_max3_f32 v67, v67, v91, v92
	s_waitcnt lgkmcnt(2)
	v_max3_f32 v67, v67, v93, v94
	s_waitcnt lgkmcnt(1)
	s_delay_alu instid0(VALU_DEP_1) | instskip(NEXT) | instid1(VALU_DEP_1)
	v_max3_f32 v67, v67, v95, v96
	v_sub_f32_e32 v93, v93, v67
	s_delay_alu instid0(VALU_DEP_1) | instskip(NEXT) | instid1(VALU_DEP_1)
	v_dual_sub_f32 v68, v89, v67 :: v_dual_mul_f32 v103, 0x3fb8aa3b, v93
	v_mul_f32_e32 v68, 0x3fb8aa3b, v68
	s_delay_alu instid0(VALU_DEP_1)
	v_exp_f32_e32 v100, v68
	v_sub_f32_e32 v68, v92, v67
	v_sub_f32_e32 v99, v90, v67
	ds_load_2addr_b32 v[89:90], v82 offset0:170 offset1:187
	v_dual_mul_f32 v102, 0x3fb8aa3b, v68 :: v_dual_mul_f32 v99, 0x3fb8aa3b, v99
	s_waitcnt lgkmcnt(1)
	v_fma_f32 v68, v100, v97, 0
	s_delay_alu instid0(VALU_DEP_2) | instskip(NEXT) | instid1(VALU_DEP_2)
	v_exp_f32_e32 v102, v102
	v_exp_f32_e32 v99, v99
	s_waitcnt_depctr 0xfff
	v_fmac_f32_e32 v68, v99, v98
	v_sub_f32_e32 v91, v91, v67
	s_delay_alu instid0(VALU_DEP_1)
	v_mul_f32_e32 v101, 0x3fb8aa3b, v91
	ds_load_2addr_b32 v[91:92], v82 offset0:204 offset1:221
	v_sub_f32_e32 v97, v94, v67
	ds_load_2addr_b32 v[93:94], v82 offset0:238 offset1:255
	s_waitcnt lgkmcnt(0)
	v_exp_f32_e32 v101, v101
	s_barrier
	buffer_gl0_inv
	v_dual_fmac_f32 v68, v101, v89 :: v_dual_sub_f32 v89, v96, v67
	v_dual_sub_f32 v82, v95, v67 :: v_dual_mul_f32 v95, 0x3fb8aa3b, v97
	v_exp_f32_e32 v97, v103
	s_delay_alu instid0(VALU_DEP_2) | instskip(NEXT) | instid1(VALU_DEP_2)
	v_dual_fmac_f32 v68, v102, v90 :: v_dual_mul_f32 v89, 0x3fb8aa3b, v89
	v_mul_f32_e32 v82, 0x3fb8aa3b, v82
	s_delay_alu instid0(VALU_DEP_3) | instskip(NEXT) | instid1(VALU_DEP_2)
	v_exp_f32_e32 v95, v95
	v_exp_f32_e32 v89, v89
	s_delay_alu instid0(VALU_DEP_1)
	v_exp_f32_e32 v82, v82
	v_fmac_f32_e32 v68, v97, v91
	s_delay_alu instid0(TRANS32_DEP_3) | instid1(VALU_DEP_1)
	v_fmac_f32_e32 v68, v95, v92
	s_waitcnt_depctr 0xfff
	v_fmac_f32_e32 v68, v82, v93
	s_delay_alu instid0(VALU_DEP_1) | instskip(NEXT) | instid1(VALU_DEP_1)
	v_fmac_f32_e32 v68, v89, v94
	v_add_f32_e32 v90, 0x358637bd, v68
	s_delay_alu instid0(VALU_DEP_1) | instskip(NEXT) | instid1(VALU_DEP_1)
	v_div_scale_f32 v91, null, v90, v90, 1.0
	v_rcp_f32_e32 v92, v91
	s_waitcnt_depctr 0xfff
	v_fma_f32 v93, -v91, v92, 1.0
	s_delay_alu instid0(VALU_DEP_1) | instskip(SKIP_1) | instid1(VALU_DEP_2)
	v_dual_fmac_f32 v92, v93, v92 :: v_dual_cndmask_b32 v93, v100, v99
	v_cmp_eq_u32_e32 vcc_lo, 3, v66
	v_cndmask_b32_e64 v93, v93, v101, s3
	v_cmp_eq_u32_e64 s3, 4, v66
	s_delay_alu instid0(VALU_DEP_2) | instskip(SKIP_1) | instid1(VALU_DEP_2)
	v_cndmask_b32_e32 v93, v93, v102, vcc_lo
	v_cmp_eq_u32_e32 vcc_lo, 5, v66
	v_cndmask_b32_e64 v93, v93, v97, s3
	v_cmp_eq_u32_e64 s3, 6, v66
	s_delay_alu instid0(VALU_DEP_2) | instskip(SKIP_1) | instid1(VALU_DEP_1)
	v_cndmask_b32_e32 v93, v93, v95, vcc_lo
	v_div_scale_f32 v94, s4, 1.0, v90, 1.0
	s_mov_b32 vcc_lo, s4
	s_delay_alu instid0(VALU_DEP_2) | instskip(NEXT) | instid1(VALU_DEP_2)
	v_cndmask_b32_e64 v82, v93, v82, s3
	v_mul_f32_e32 v96, v94, v92
	s_mov_b32 s3, exec_lo
	s_delay_alu instid0(VALU_DEP_2) | instskip(NEXT) | instid1(VALU_DEP_2)
	v_cndmask_b32_e64 v82, v82, v89, s5
	v_fma_f32 v98, -v91, v96, v94
	s_delay_alu instid0(VALU_DEP_1) | instskip(NEXT) | instid1(VALU_DEP_1)
	v_fmac_f32_e32 v96, v98, v92
	v_fma_f32 v91, -v91, v96, v94
	s_delay_alu instid0(VALU_DEP_1) | instskip(NEXT) | instid1(VALU_DEP_1)
	v_div_fmas_f32 v91, v91, v92, v96
	v_div_fixup_f32 v90, v91, v90, 1.0
	s_delay_alu instid0(VALU_DEP_1) | instskip(NEXT) | instid1(VALU_DEP_1)
	v_mul_f32_e32 v82, v82, v90
	v_mul_f32_e32 v87, v82, v87
	;; [unrolled: 1-line block ×7, first 2 shown]
	v_dual_mul_f32 v86, v82, v83 :: v_dual_and_b32 v91, 0x7f800000, v90
	v_mul_f32_e32 v85, v82, v76
                                        ; implicit-def: $vgpr76
	s_delay_alu instid0(VALU_DEP_2)
	v_cmpx_ne_u32_e32 0x7f800000, v91
	s_xor_b32 s3, exec_lo, s3
; %bb.13:
	v_bfe_u32 v76, v90, 16, 1
	s_delay_alu instid0(VALU_DEP_1)
	v_add3_u32 v76, v90, v76, 0x7fff
                                        ; implicit-def: $vgpr90
; %bb.14:
	s_and_not1_saveexec_b32 s3, s3
; %bb.15:
	v_and_b32_e32 v76, 0xffff, v90
	v_or_b32_e32 v83, 0x10000, v90
	s_delay_alu instid0(VALU_DEP_2) | instskip(NEXT) | instid1(VALU_DEP_2)
	v_cmp_eq_u32_e32 vcc_lo, 0, v76
	v_cndmask_b32_e32 v76, v83, v90, vcc_lo
; %bb.16:
	s_or_b32 exec_lo, exec_lo, s3
	v_and_b32_e32 v83, 0x7f800000, v85
	s_delay_alu instid0(VALU_DEP_1) | instskip(SKIP_1) | instid1(SALU_CYCLE_1)
	v_cmp_ne_u32_e32 vcc_lo, 0x7f800000, v83
                                        ; implicit-def: $vgpr83
	s_and_saveexec_b32 s3, vcc_lo
	s_xor_b32 s3, exec_lo, s3
; %bb.17:
	v_bfe_u32 v83, v85, 16, 1
	s_delay_alu instid0(VALU_DEP_1)
	v_add3_u32 v83, v85, v83, 0x7fff
                                        ; implicit-def: $vgpr85
; %bb.18:
	s_and_not1_saveexec_b32 s3, s3
; %bb.19:
	v_and_b32_e32 v83, 0xffff, v85
	v_or_b32_e32 v90, 0x10000, v85
	s_delay_alu instid0(VALU_DEP_2) | instskip(NEXT) | instid1(VALU_DEP_2)
	v_cmp_eq_u32_e32 vcc_lo, 0, v83
	v_cndmask_b32_e32 v83, v90, v85, vcc_lo
; %bb.20:
	s_or_b32 exec_lo, exec_lo, s3
	v_and_b32_e32 v85, 0x7f800000, v86
	s_delay_alu instid0(VALU_DEP_1) | instskip(SKIP_1) | instid1(SALU_CYCLE_1)
	v_cmp_ne_u32_e32 vcc_lo, 0x7f800000, v85
                                        ; implicit-def: $vgpr85
	s_and_saveexec_b32 s3, vcc_lo
	s_xor_b32 s3, exec_lo, s3
; %bb.21:
	v_bfe_u32 v85, v86, 16, 1
	s_delay_alu instid0(VALU_DEP_1)
	v_add3_u32 v85, v86, v85, 0x7fff
                                        ; implicit-def: $vgpr86
; %bb.22:
	s_and_not1_saveexec_b32 s3, s3
; %bb.23:
	v_and_b32_e32 v85, 0xffff, v86
	v_or_b32_e32 v90, 0x10000, v86
	s_delay_alu instid0(VALU_DEP_2) | instskip(NEXT) | instid1(VALU_DEP_2)
	v_cmp_eq_u32_e32 vcc_lo, 0, v85
	v_cndmask_b32_e32 v85, v90, v86, vcc_lo
; %bb.24:
	s_or_b32 exec_lo, exec_lo, s3
	v_and_b32_e32 v86, 0x7f800000, v89
	s_delay_alu instid0(VALU_DEP_1) | instskip(SKIP_1) | instid1(SALU_CYCLE_1)
	v_cmp_ne_u32_e32 vcc_lo, 0x7f800000, v86
                                        ; implicit-def: $vgpr86
	s_and_saveexec_b32 s3, vcc_lo
	s_xor_b32 s3, exec_lo, s3
; %bb.25:
	v_bfe_u32 v86, v89, 16, 1
	s_delay_alu instid0(VALU_DEP_1)
	v_add3_u32 v86, v89, v86, 0x7fff
                                        ; implicit-def: $vgpr89
; %bb.26:
	s_and_not1_saveexec_b32 s3, s3
; %bb.27:
	v_and_b32_e32 v86, 0xffff, v89
	v_or_b32_e32 v90, 0x10000, v89
	s_delay_alu instid0(VALU_DEP_2) | instskip(NEXT) | instid1(VALU_DEP_2)
	v_cmp_eq_u32_e32 vcc_lo, 0, v86
	v_cndmask_b32_e32 v86, v90, v89, vcc_lo
; %bb.28:
	s_or_b32 exec_lo, exec_lo, s3
	v_and_b32_e32 v89, 0x7f800000, v88
	s_delay_alu instid0(VALU_DEP_1) | instskip(SKIP_1) | instid1(SALU_CYCLE_1)
	v_cmp_ne_u32_e32 vcc_lo, 0x7f800000, v89
                                        ; implicit-def: $vgpr89
	s_and_saveexec_b32 s3, vcc_lo
	s_xor_b32 s3, exec_lo, s3
; %bb.29:
	v_bfe_u32 v89, v88, 16, 1
	s_delay_alu instid0(VALU_DEP_1)
	v_add3_u32 v89, v88, v89, 0x7fff
                                        ; implicit-def: $vgpr88
; %bb.30:
	s_and_not1_saveexec_b32 s3, s3
; %bb.31:
	v_and_b32_e32 v89, 0xffff, v88
	v_or_b32_e32 v90, 0x10000, v88
	s_delay_alu instid0(VALU_DEP_2) | instskip(NEXT) | instid1(VALU_DEP_2)
	v_cmp_eq_u32_e32 vcc_lo, 0, v89
	v_cndmask_b32_e32 v89, v90, v88, vcc_lo
; %bb.32:
	s_or_b32 exec_lo, exec_lo, s3
	v_and_b32_e32 v88, 0x7f800000, v87
	s_delay_alu instid0(VALU_DEP_1) | instskip(SKIP_1) | instid1(SALU_CYCLE_1)
	v_cmp_ne_u32_e32 vcc_lo, 0x7f800000, v88
                                        ; implicit-def: $vgpr88
	s_and_saveexec_b32 s3, vcc_lo
	s_xor_b32 s3, exec_lo, s3
; %bb.33:
	v_bfe_u32 v88, v87, 16, 1
	s_delay_alu instid0(VALU_DEP_1)
	v_add3_u32 v88, v87, v88, 0x7fff
                                        ; implicit-def: $vgpr87
; %bb.34:
	s_and_not1_saveexec_b32 s3, s3
; %bb.35:
	v_and_b32_e32 v88, 0xffff, v87
	v_or_b32_e32 v90, 0x10000, v87
	s_delay_alu instid0(VALU_DEP_2) | instskip(NEXT) | instid1(VALU_DEP_2)
	v_cmp_eq_u32_e32 vcc_lo, 0, v88
	v_cndmask_b32_e32 v88, v90, v87, vcc_lo
; %bb.36:
	s_or_b32 exec_lo, exec_lo, s3
	v_and_b32_e32 v87, 0x7f800000, v84
	s_delay_alu instid0(VALU_DEP_1) | instskip(SKIP_1) | instid1(SALU_CYCLE_1)
	v_cmp_ne_u32_e32 vcc_lo, 0x7f800000, v87
                                        ; implicit-def: $vgpr87
	s_and_saveexec_b32 s3, vcc_lo
	s_xor_b32 s3, exec_lo, s3
; %bb.37:
	v_bfe_u32 v87, v84, 16, 1
	s_delay_alu instid0(VALU_DEP_1)
	v_add3_u32 v87, v84, v87, 0x7fff
                                        ; implicit-def: $vgpr84
; %bb.38:
	s_and_not1_saveexec_b32 s3, s3
; %bb.39:
	v_and_b32_e32 v87, 0xffff, v84
	v_or_b32_e32 v90, 0x10000, v84
	s_delay_alu instid0(VALU_DEP_2) | instskip(NEXT) | instid1(VALU_DEP_2)
	v_cmp_eq_u32_e32 vcc_lo, 0, v87
	v_cndmask_b32_e32 v87, v90, v84, vcc_lo
; %bb.40:
	s_or_b32 exec_lo, exec_lo, s3
	v_and_b32_e32 v84, 0x7f800000, v80
	s_delay_alu instid0(VALU_DEP_1) | instskip(SKIP_1) | instid1(SALU_CYCLE_1)
	v_cmp_ne_u32_e32 vcc_lo, 0x7f800000, v84
                                        ; implicit-def: $vgpr84
	s_and_saveexec_b32 s3, vcc_lo
	s_xor_b32 s3, exec_lo, s3
; %bb.41:
	v_bfe_u32 v84, v80, 16, 1
	s_delay_alu instid0(VALU_DEP_1)
	v_add3_u32 v84, v80, v84, 0x7fff
                                        ; implicit-def: $vgpr80
; %bb.42:
	s_and_not1_saveexec_b32 s3, s3
; %bb.43:
	v_and_b32_e32 v84, 0xffff, v80
	v_or_b32_e32 v90, 0x10000, v80
	s_delay_alu instid0(VALU_DEP_2) | instskip(NEXT) | instid1(VALU_DEP_2)
	v_cmp_eq_u32_e32 vcc_lo, 0, v84
	v_cndmask_b32_e32 v84, v90, v80, vcc_lo
; %bb.44:
	s_or_b32 exec_lo, exec_lo, s3
	s_load_b64 s[34:35], s[0:1], 0x94
	v_lshlrev_b32_e32 v91, 4, v74
	s_delay_alu instid0(VALU_DEP_2)
	v_perm_b32 v90, v84, v87, 0x7060302
	v_dual_mul_f32 v79, v82, v79 :: v_dual_lshlrev_b32 v80, 6, v65
	v_dual_mul_f32 v77, v82, v77 :: v_dual_lshlrev_b32 v92, 11, v66
	v_mul_f32_e32 v84, v82, v70
	v_perm_b32 v89, v88, v89, 0x7060302
	v_perm_b32 v88, v86, v85, 0x7060302
	;; [unrolled: 1-line block ×3, first 2 shown]
	v_mul_f32_e32 v70, v82, v81
	v_or3_b32 v76, v91, v92, v80
	v_dual_mul_f32 v78, v82, v78 :: v_dual_and_b32 v85, 0x7f800000, v84
	v_mul_f32_e32 v83, v82, v72
	v_mul_f32_e32 v81, v82, v71
	v_mul_f32_e32 v72, v82, v69
	s_mov_b32 s3, exec_lo
	ds_store_b128 v76, v[87:90]
                                        ; implicit-def: $vgpr69
	v_cmpx_ne_u32_e32 0x7f800000, v85
	s_xor_b32 s3, exec_lo, s3
; %bb.45:
	v_bfe_u32 v69, v84, 16, 1
	s_delay_alu instid0(VALU_DEP_1)
	v_add3_u32 v69, v84, v69, 0x7fff
                                        ; implicit-def: $vgpr84
; %bb.46:
	s_and_not1_saveexec_b32 s3, s3
; %bb.47:
	v_and_b32_e32 v69, 0xffff, v84
	v_or_b32_e32 v71, 0x10000, v84
	s_delay_alu instid0(VALU_DEP_2) | instskip(NEXT) | instid1(VALU_DEP_2)
	v_cmp_eq_u32_e32 vcc_lo, 0, v69
	v_cndmask_b32_e32 v69, v71, v84, vcc_lo
; %bb.48:
	s_or_b32 exec_lo, exec_lo, s3
	v_and_b32_e32 v71, 0x7f800000, v72
	s_delay_alu instid0(VALU_DEP_1) | instskip(SKIP_1) | instid1(SALU_CYCLE_1)
	v_cmp_ne_u32_e32 vcc_lo, 0x7f800000, v71
                                        ; implicit-def: $vgpr71
	s_and_saveexec_b32 s3, vcc_lo
	s_xor_b32 s3, exec_lo, s3
; %bb.49:
	v_bfe_u32 v71, v72, 16, 1
	s_delay_alu instid0(VALU_DEP_1)
	v_add3_u32 v71, v72, v71, 0x7fff
                                        ; implicit-def: $vgpr72
; %bb.50:
	s_and_not1_saveexec_b32 s3, s3
; %bb.51:
	v_and_b32_e32 v71, 0xffff, v72
	v_or_b32_e32 v82, 0x10000, v72
	s_delay_alu instid0(VALU_DEP_2) | instskip(NEXT) | instid1(VALU_DEP_2)
	v_cmp_eq_u32_e32 vcc_lo, 0, v71
	v_cndmask_b32_e32 v71, v82, v72, vcc_lo
; %bb.52:
	s_or_b32 exec_lo, exec_lo, s3
	v_and_b32_e32 v72, 0x7f800000, v81
	s_delay_alu instid0(VALU_DEP_1) | instskip(SKIP_1) | instid1(SALU_CYCLE_1)
	v_cmp_ne_u32_e32 vcc_lo, 0x7f800000, v72
                                        ; implicit-def: $vgpr72
	s_and_saveexec_b32 s3, vcc_lo
	s_xor_b32 s3, exec_lo, s3
; %bb.53:
	v_bfe_u32 v72, v81, 16, 1
	s_delay_alu instid0(VALU_DEP_1)
	v_add3_u32 v72, v81, v72, 0x7fff
                                        ; implicit-def: $vgpr81
; %bb.54:
	s_and_not1_saveexec_b32 s3, s3
; %bb.55:
	v_and_b32_e32 v72, 0xffff, v81
	v_or_b32_e32 v82, 0x10000, v81
	s_delay_alu instid0(VALU_DEP_2) | instskip(NEXT) | instid1(VALU_DEP_2)
	v_cmp_eq_u32_e32 vcc_lo, 0, v72
	v_cndmask_b32_e32 v72, v82, v81, vcc_lo
; %bb.56:
	s_or_b32 exec_lo, exec_lo, s3
	v_and_b32_e32 v81, 0x7f800000, v83
	s_delay_alu instid0(VALU_DEP_1) | instskip(SKIP_1) | instid1(SALU_CYCLE_1)
	v_cmp_ne_u32_e32 vcc_lo, 0x7f800000, v81
                                        ; implicit-def: $vgpr81
	s_and_saveexec_b32 s3, vcc_lo
	s_xor_b32 s3, exec_lo, s3
; %bb.57:
	v_bfe_u32 v81, v83, 16, 1
	s_delay_alu instid0(VALU_DEP_1)
	v_add3_u32 v81, v83, v81, 0x7fff
                                        ; implicit-def: $vgpr83
; %bb.58:
	s_and_not1_saveexec_b32 s3, s3
; %bb.59:
	v_and_b32_e32 v81, 0xffff, v83
	v_or_b32_e32 v82, 0x10000, v83
	s_delay_alu instid0(VALU_DEP_2) | instskip(NEXT) | instid1(VALU_DEP_2)
	v_cmp_eq_u32_e32 vcc_lo, 0, v81
	v_cndmask_b32_e32 v81, v82, v83, vcc_lo
; %bb.60:
	s_or_b32 exec_lo, exec_lo, s3
	v_and_b32_e32 v82, 0x7f800000, v77
	s_delay_alu instid0(VALU_DEP_1) | instskip(SKIP_1) | instid1(SALU_CYCLE_1)
	v_cmp_ne_u32_e32 vcc_lo, 0x7f800000, v82
                                        ; implicit-def: $vgpr82
	s_and_saveexec_b32 s3, vcc_lo
	s_xor_b32 s3, exec_lo, s3
; %bb.61:
	v_bfe_u32 v82, v77, 16, 1
	s_delay_alu instid0(VALU_DEP_1)
	v_add3_u32 v82, v77, v82, 0x7fff
                                        ; implicit-def: $vgpr77
; %bb.62:
	s_and_not1_saveexec_b32 s3, s3
; %bb.63:
	v_and_b32_e32 v82, 0xffff, v77
	v_or_b32_e32 v83, 0x10000, v77
	s_delay_alu instid0(VALU_DEP_2) | instskip(NEXT) | instid1(VALU_DEP_2)
	v_cmp_eq_u32_e32 vcc_lo, 0, v82
	v_cndmask_b32_e32 v82, v83, v77, vcc_lo
; %bb.64:
	s_or_b32 exec_lo, exec_lo, s3
	v_and_b32_e32 v77, 0x7f800000, v78
	s_delay_alu instid0(VALU_DEP_1) | instskip(SKIP_1) | instid1(SALU_CYCLE_1)
	v_cmp_ne_u32_e32 vcc_lo, 0x7f800000, v77
                                        ; implicit-def: $vgpr77
	s_and_saveexec_b32 s3, vcc_lo
	s_xor_b32 s3, exec_lo, s3
; %bb.65:
	v_bfe_u32 v77, v78, 16, 1
	s_delay_alu instid0(VALU_DEP_1)
	v_add3_u32 v77, v78, v77, 0x7fff
                                        ; implicit-def: $vgpr78
; %bb.66:
	s_and_not1_saveexec_b32 s3, s3
; %bb.67:
	v_and_b32_e32 v77, 0xffff, v78
	v_or_b32_e32 v83, 0x10000, v78
	s_delay_alu instid0(VALU_DEP_2) | instskip(NEXT) | instid1(VALU_DEP_2)
	v_cmp_eq_u32_e32 vcc_lo, 0, v77
	v_cndmask_b32_e32 v77, v83, v78, vcc_lo
; %bb.68:
	s_or_b32 exec_lo, exec_lo, s3
	v_and_b32_e32 v78, 0x7f800000, v79
	s_delay_alu instid0(VALU_DEP_1) | instskip(SKIP_1) | instid1(SALU_CYCLE_1)
	v_cmp_ne_u32_e32 vcc_lo, 0x7f800000, v78
                                        ; implicit-def: $vgpr78
	s_and_saveexec_b32 s3, vcc_lo
	s_xor_b32 s3, exec_lo, s3
; %bb.69:
	v_bfe_u32 v78, v79, 16, 1
	s_delay_alu instid0(VALU_DEP_1)
	v_add3_u32 v78, v79, v78, 0x7fff
                                        ; implicit-def: $vgpr79
; %bb.70:
	s_and_not1_saveexec_b32 s3, s3
; %bb.71:
	v_and_b32_e32 v78, 0xffff, v79
	v_or_b32_e32 v83, 0x10000, v79
	s_delay_alu instid0(VALU_DEP_2) | instskip(NEXT) | instid1(VALU_DEP_2)
	v_cmp_eq_u32_e32 vcc_lo, 0, v78
	v_cndmask_b32_e32 v78, v83, v79, vcc_lo
; %bb.72:
	s_or_b32 exec_lo, exec_lo, s3
	v_and_b32_e32 v79, 0x7f800000, v70
	s_delay_alu instid0(VALU_DEP_1) | instskip(SKIP_1) | instid1(SALU_CYCLE_1)
	v_cmp_ne_u32_e32 vcc_lo, 0x7f800000, v79
                                        ; implicit-def: $vgpr79
	s_and_saveexec_b32 s3, vcc_lo
	s_xor_b32 s3, exec_lo, s3
; %bb.73:
	v_bfe_u32 v79, v70, 16, 1
	s_delay_alu instid0(VALU_DEP_1)
	v_add3_u32 v79, v70, v79, 0x7fff
                                        ; implicit-def: $vgpr70
; %bb.74:
	s_and_not1_saveexec_b32 s3, s3
; %bb.75:
	v_and_b32_e32 v79, 0xffff, v70
	v_or_b32_e32 v83, 0x10000, v70
	s_delay_alu instid0(VALU_DEP_2) | instskip(NEXT) | instid1(VALU_DEP_2)
	v_cmp_eq_u32_e32 vcc_lo, 0, v79
	v_cndmask_b32_e32 v79, v83, v70, vcc_lo
; %bb.76:
	s_or_b32 exec_lo, exec_lo, s3
	s_delay_alu instid0(VALU_DEP_1)
	v_perm_b32 v86, v79, v78, 0x7060302
	v_perm_b32 v85, v77, v82, 0x7060302
	v_perm_b32 v84, v81, v72, 0x7060302
	v_perm_b32 v83, v71, v69, 0x7060302
	v_lshl_or_b32 v82, v66, 11, v80
	ds_store_b128 v76, v[83:86] offset:1024
	s_waitcnt lgkmcnt(0)
	s_barrier
	buffer_gl0_inv
	ds_load_b128 v[69:72], v82
	ds_load_b128 v[83:86], v82 offset:16
	s_waitcnt lgkmcnt(1)
	v_lshrrev_b32_e32 v66, 16, v69
	s_waitcnt lgkmcnt(0)
	v_lshrrev_b32_e32 v91, 16, v83
	v_lshlrev_b32_e32 v78, 2, v74
	v_lshrrev_b32_e32 v95, 16, v70
	v_lshrrev_b32_e32 v98, 16, v84
	;; [unrolled: 1-line block ×4, first 2 shown]
	v_cmp_eq_u32_e32 vcc_lo, 1, v78
	v_lshrrev_b32_e32 v97, 16, v72
	v_lshrrev_b32_e32 v100, 16, v86
	v_cndmask_b32_e32 v87, v83, v91, vcc_lo
	v_or_b32_e32 v79, 1, v78
	v_cndmask_b32_e32 v81, v69, v66, vcc_lo
	v_cmp_eq_u32_e64 s4, 2, v78
	v_cmp_eq_u32_e64 s7, 3, v78
	;; [unrolled: 1-line block ×5, first 2 shown]
	v_cndmask_b32_e64 v81, v81, v70, s4
	v_cndmask_b32_e64 v87, v87, v84, s4
	v_cmp_eq_u32_e64 s8, 3, v79
	v_cndmask_b32_e64 v88, v69, v66, s3
	v_or_b32_e32 v77, 2, v78
	v_cndmask_b32_e64 v81, v81, v95, s7
	v_cndmask_b32_e64 v87, v87, v98, s7
	;; [unrolled: 1-line block ×4, first 2 shown]
	v_cmp_eq_u32_e64 s10, 5, v78
	v_cndmask_b32_e64 v81, v81, v71, s9
	v_cndmask_b32_e64 v87, v87, v85, s9
	v_cmp_eq_u32_e64 s11, 4, v79
	v_cndmask_b32_e64 v88, v88, v95, s8
	v_cmp_eq_u32_e64 s5, 1, v77
	v_cndmask_b32_e64 v89, v89, v84, s6
	v_cndmask_b32_e64 v81, v81, v96, s10
	v_cmp_eq_u32_e64 s12, 6, v78
	v_cndmask_b32_e64 v88, v88, v71, s11
	;; [unrolled: 3-line block ×3, first 2 shown]
	v_cndmask_b32_e64 v89, v89, v98, s8
	v_cndmask_b32_e64 v81, v81, v72, s12
	v_cmp_eq_u32_e64 s15, 7, v78
	v_cndmask_b32_e64 v88, v88, v96, s13
	v_cndmask_b32_e64 v87, v87, v86, s12
	v_cmp_eq_u32_e64 s16, 6, v79
	v_cmp_eq_u32_e64 s17, 2, v77
	v_cndmask_b32_e64 v89, v89, v85, s11
	v_cndmask_b32_e64 v101, v81, v97, s15
	;; [unrolled: 1-line block ×6, first 2 shown]
	v_cmp_eq_u32_e64 s18, 7, v79
	v_cmp_eq_u32_e64 s19, 3, v77
	;; [unrolled: 1-line block ×4, first 2 shown]
	v_cndmask_b32_e64 v87, v87, v84, s17
	v_cndmask_b32_e64 v103, v88, v97, s18
	v_cndmask_b32_e64 v88, v89, v99, s13
	v_cndmask_b32_e64 v89, v81, v95, s19
	v_or_b32_e32 v81, 3, v78
	v_cndmask_b32_e64 v93, v87, v98, s19
	v_cmp_eq_u32_e64 s24, 6, v77
	v_cndmask_b32_e64 v104, v88, v86, s16
	v_cndmask_b32_e64 v92, v89, v71, s20
	v_cmp_eq_u32_e64 s21, 1, v81
	ds_load_b128 v[87:90], v82 offset:1024
	v_cmp_eq_u32_e64 s23, 2, v81
	v_cmp_eq_u32_e64 s25, 3, v81
	v_cndmask_b32_e64 v105, v92, v96, s22
	v_cndmask_b32_e64 v66, v69, v66, s21
	;; [unrolled: 1-line block ×4, first 2 shown]
	ds_load_b128 v[91:94], v82 offset:1040
	v_cmp_eq_u32_e64 s26, 4, v81
	v_cndmask_b32_e64 v66, v66, v70, s23
	v_cmp_eq_u32_e64 s27, 7, v77
	v_cndmask_b32_e64 v70, v83, v84, s23
	v_cndmask_b32_e64 v84, v105, v72, s24
	v_cmp_eq_u32_e64 s28, 5, v81
	v_cndmask_b32_e64 v66, v66, v95, s25
	v_cmp_eq_u32_e64 s29, 6, v81
	v_cndmask_b32_e64 v70, v70, v98, s25
	v_cndmask_b32_e64 v69, v69, v99, s22
	;; [unrolled: 1-line block ×4, first 2 shown]
	s_waitcnt lgkmcnt(1)
	v_lshrrev_b32_e32 v95, 16, v87
	v_cndmask_b32_e64 v70, v70, v85, s26
	v_cndmask_b32_e64 v71, v84, v97, s27
	;; [unrolled: 1-line block ×4, first 2 shown]
	v_cndmask_b32_e32 v84, v87, v95, vcc_lo
	v_cndmask_b32_e64 v70, v70, v99, s28
	s_waitcnt lgkmcnt(0)
	v_lshrrev_b32_e32 v85, 16, v91
	v_lshrrev_b32_e32 v96, 16, v88
	v_cndmask_b32_e64 v98, v87, v95, s3
	v_cndmask_b32_e64 v84, v84, v88, s4
	;; [unrolled: 1-line block ×3, first 2 shown]
	v_cndmask_b32_e32 v99, v91, v85, vcc_lo
	v_cmp_eq_u32_e32 vcc_lo, 7, v81
	v_cndmask_b32_e64 v66, v66, v72, s29
	v_cndmask_b32_e64 v72, v84, v96, s7
	;; [unrolled: 1-line block ×3, first 2 shown]
	v_lshrrev_b32_e32 v98, 16, v92
	v_cndmask_b32_e32 v70, v70, v100, vcc_lo
	v_cndmask_b32_e64 v86, v99, v92, s4
	v_cndmask_b32_e64 v69, v69, v100, s27
	v_lshrrev_b32_e32 v100, 16, v93
	v_cndmask_b32_e64 v72, v72, v89, s9
	v_lshrrev_b32_e32 v99, 16, v89
	v_cndmask_b32_e64 v86, v86, v98, s7
	v_perm_b32 v71, v69, v71, 0x5040100
	v_cndmask_b32_e64 v84, v84, v96, s8
	s_delay_alu instid0(VALU_DEP_3) | instskip(NEXT) | instid1(VALU_DEP_2)
	v_cndmask_b32_e64 v86, v86, v93, s9
	v_cndmask_b32_e64 v84, v84, v89, s11
	s_delay_alu instid0(VALU_DEP_2) | instskip(NEXT) | instid1(VALU_DEP_1)
	v_cndmask_b32_e64 v86, v86, v100, s10
	v_cndmask_b32_e64 v69, v86, v94, s12
	;; [unrolled: 1-line block ×5, first 2 shown]
	s_delay_alu instid0(VALU_DEP_3) | instskip(NEXT) | instid1(VALU_DEP_3)
	v_cndmask_b32_e64 v86, v86, v88, s17
	v_cndmask_b32_e64 v87, v87, v88, s23
	s_delay_alu instid0(VALU_DEP_3) | instskip(NEXT) | instid1(VALU_DEP_3)
	v_cndmask_b32_e64 v88, v95, v92, s23
	v_cndmask_b32_e64 v86, v86, v96, s19
	;; [unrolled: 3-line block ×7, first 2 shown]
	s_delay_alu instid0(VALU_DEP_3) | instskip(SKIP_2) | instid1(VALU_DEP_2)
	v_cndmask_b32_e64 v88, v88, v94, s29
	v_cndmask_b32_e32 v66, v66, v97, vcc_lo
	v_cndmask_b32_e64 v97, v72, v99, s10
	v_perm_b32 v72, v70, v66, 0x5040100
	v_perm_b32 v70, v83, v103, 0x5040100
	v_cndmask_b32_e64 v103, v91, v85, s5
	v_cndmask_b32_e64 v85, v91, v85, s3
	;; [unrolled: 1-line block ×4, first 2 shown]
	v_lshrrev_b32_e32 v97, 16, v90
	v_cndmask_b32_e64 v91, v103, v92, s17
	v_cndmask_b32_e64 v85, v85, v92, s6
	;; [unrolled: 1-line block ×3, first 2 shown]
	s_mov_b32 s3, exec_lo
	v_cndmask_b32_e64 v83, v84, v97, s15
	v_cndmask_b32_e64 v91, v91, v98, s19
	;; [unrolled: 1-line block ×3, first 2 shown]
	v_lshrrev_b32_e32 v84, 16, v94
	v_cndmask_b32_e64 v66, v66, v97, s18
	v_cndmask_b32_e64 v90, v86, v97, s27
	;; [unrolled: 1-line block ×4, first 2 shown]
	v_dual_cndmask_b32 v86, v87, v97 :: v_dual_cndmask_b32 v87, v88, v84
	v_cndmask_b32_e64 v91, v69, v84, s15
	s_delay_alu instid0(VALU_DEP_4) | instskip(NEXT) | instid1(VALU_DEP_4)
	v_cndmask_b32_e64 v89, v89, v100, s22
	v_cndmask_b32_e64 v85, v85, v100, s13
	v_perm_b32 v69, v102, v101, 0x5040100
	v_perm_b32 v86, v87, v86, 0x5040100
	;; [unrolled: 1-line block ×3, first 2 shown]
	v_cndmask_b32_e64 v89, v89, v94, s24
	v_cndmask_b32_e64 v85, v85, v94, s16
	s_mul_i32 s8, s35, 6
	s_delay_alu instid0(VALU_DEP_2) | instskip(NEXT) | instid1(VALU_DEP_2)
	v_cndmask_b32_e64 v88, v89, v84, s27
	v_cndmask_b32_e64 v89, v85, v84, s18
	s_delay_alu instid0(VALU_DEP_2) | instskip(NEXT) | instid1(VALU_DEP_2)
	v_perm_b32 v85, v88, v90, 0x5040100
	v_perm_b32 v84, v89, v66, 0x5040100
	ds_store_b128 v76, v[69:72]
	ds_store_b128 v76, v[83:86] offset:1024
	v_cmpx_gt_u32_e32 6, v0
	s_cbranch_execz .LBB1491_78
; %bb.77:
	s_mul_i32 s4, s8, s30
	s_delay_alu instid0(SALU_CYCLE_1) | instskip(SKIP_1) | instid1(VALU_DEP_1)
	v_add3_u32 v69, s4, s31, v65
	s_load_b128 s[4:7], s[0:1], 0x58
	v_mad_u64_u32 v[65:66], null, v69, s34, s[14:15]
	s_delay_alu instid0(VALU_DEP_1) | instskip(NEXT) | instid1(VALU_DEP_1)
	v_ashrrev_i32_e32 v66, 31, v65
	v_lshlrev_b64 v[65:66], 2, v[65:66]
	s_waitcnt lgkmcnt(0)
	s_delay_alu instid0(VALU_DEP_1) | instskip(NEXT) | instid1(VALU_DEP_2)
	v_add_co_u32 v69, vcc_lo, s6, v65
	v_add_co_ci_u32_e32 v70, vcc_lo, s7, v66, vcc_lo
	v_add_co_u32 v65, vcc_lo, s4, v65
	v_add_co_ci_u32_e32 v66, vcc_lo, s5, v66, vcc_lo
	global_store_b32 v[69:70], v67, off
	global_store_b32 v[65:66], v68, off
.LBB1491_78:
	s_or_b32 exec_lo, exec_lo, s3
	s_waitcnt lgkmcnt(0)
	s_waitcnt_vscnt null, 0x0
	s_barrier
	buffer_gl0_inv
	ds_load_b128 v[83:86], v80
	ds_load_b128 v[87:90], v80 offset:16
	ds_load_b128 v[95:98], v80 offset:2064
	;; [unrolled: 1-line block ×3, first 2 shown]
	v_mov_b32_e32 v65, 0
	ds_load_b128 v[103:106], v80 offset:4112
	ds_load_b128 v[99:102], v80 offset:4096
	;; [unrolled: 1-line block ×4, first 2 shown]
	v_mov_b32_e32 v66, v65
	v_mov_b32_e32 v67, v65
	v_mov_b32_e32 v68, v65
	v_mov_b32_e32 v69, v65
	v_mov_b32_e32 v70, v65
	v_mov_b32_e32 v71, v65
	v_mov_b32_e32 v72, v65
	s_waitcnt lgkmcnt(6)
	s_delay_alu instid0(VALU_DEP_1)
	v_wmma_f32_16x16x16_bf16 v[65:72], v[57:64], v[83:90], v[65:72]
	ds_load_b128 v[61:64], v80 offset:8208
	ds_load_b128 v[57:60], v80 offset:8192
	s_waitcnt lgkmcnt(6)
	v_wmma_f32_16x16x16_bf16 v[65:72], v[41:48], v[91:98], v[65:72]
	ds_load_b128 v[45:48], v80 offset:10256
	ds_load_b128 v[41:44], v80 offset:10240
	s_waitcnt lgkmcnt(6)
	;; [unrolled: 4-line block ×4, first 2 shown]
	v_wmma_f32_16x16x16_bf16 v[65:72], v[1:8], v[57:64], v[65:72]
	s_waitcnt lgkmcnt(4)
	s_delay_alu instid0(VALU_DEP_1) | instskip(SKIP_1) | instid1(VALU_DEP_1)
	v_wmma_f32_16x16x16_bf16 v[65:72], v[9:16], v[41:48], v[65:72]
	s_waitcnt lgkmcnt(2)
	v_wmma_f32_16x16x16_bf16 v[65:72], v[17:24], v[33:40], v[65:72]
	s_waitcnt lgkmcnt(0)
	s_delay_alu instid0(VALU_DEP_1) | instskip(NEXT) | instid1(VALU_DEP_1)
	v_wmma_f32_16x16x16_bf16 v[65:72], v[49:56], v[25:32], v[65:72]
	v_and_b32_e32 v1, 0x7f800000, v65
	s_delay_alu instid0(VALU_DEP_1) | instskip(SKIP_1) | instid1(SALU_CYCLE_1)
	v_cmp_ne_u32_e32 vcc_lo, 0x7f800000, v1
                                        ; implicit-def: $vgpr1
	s_and_saveexec_b32 s3, vcc_lo
	s_xor_b32 s3, exec_lo, s3
; %bb.79:
	v_bfe_u32 v1, v65, 16, 1
	s_delay_alu instid0(VALU_DEP_1)
	v_add3_u32 v1, v65, v1, 0x7fff
; %bb.80:
	s_and_not1_saveexec_b32 s3, s3
; %bb.81:
	v_and_b32_e32 v1, 0xffff, v65
	v_or_b32_e32 v2, 0x10000, v65
	s_delay_alu instid0(VALU_DEP_2) | instskip(NEXT) | instid1(VALU_DEP_2)
	v_cmp_eq_u32_e32 vcc_lo, 0, v1
	v_cndmask_b32_e32 v1, v2, v65, vcc_lo
; %bb.82:
	s_or_b32 exec_lo, exec_lo, s3
	v_and_b32_e32 v2, 0x7f800000, v66
	s_delay_alu instid0(VALU_DEP_1) | instskip(SKIP_1) | instid1(SALU_CYCLE_1)
	v_cmp_ne_u32_e32 vcc_lo, 0x7f800000, v2
                                        ; implicit-def: $vgpr2
	s_and_saveexec_b32 s3, vcc_lo
	s_xor_b32 s3, exec_lo, s3
; %bb.83:
	v_bfe_u32 v2, v66, 16, 1
	s_delay_alu instid0(VALU_DEP_1)
	v_add3_u32 v2, v66, v2, 0x7fff
; %bb.84:
	s_and_not1_saveexec_b32 s3, s3
; %bb.85:
	v_and_b32_e32 v2, 0xffff, v66
	v_or_b32_e32 v3, 0x10000, v66
	s_delay_alu instid0(VALU_DEP_2) | instskip(NEXT) | instid1(VALU_DEP_2)
	v_cmp_eq_u32_e32 vcc_lo, 0, v2
	v_cndmask_b32_e32 v2, v3, v66, vcc_lo
; %bb.86:
	s_or_b32 exec_lo, exec_lo, s3
	v_and_b32_e32 v3, 0x7f800000, v67
	s_delay_alu instid0(VALU_DEP_1) | instskip(SKIP_1) | instid1(SALU_CYCLE_1)
	v_cmp_ne_u32_e32 vcc_lo, 0x7f800000, v3
                                        ; implicit-def: $vgpr3
	s_and_saveexec_b32 s3, vcc_lo
	s_xor_b32 s3, exec_lo, s3
; %bb.87:
	v_bfe_u32 v3, v67, 16, 1
	s_delay_alu instid0(VALU_DEP_1)
	v_add3_u32 v3, v67, v3, 0x7fff
; %bb.88:
	s_and_not1_saveexec_b32 s3, s3
; %bb.89:
	v_and_b32_e32 v3, 0xffff, v67
	v_or_b32_e32 v4, 0x10000, v67
	s_delay_alu instid0(VALU_DEP_2) | instskip(NEXT) | instid1(VALU_DEP_2)
	v_cmp_eq_u32_e32 vcc_lo, 0, v3
	v_cndmask_b32_e32 v3, v4, v67, vcc_lo
; %bb.90:
	s_or_b32 exec_lo, exec_lo, s3
	v_and_b32_e32 v4, 0x7f800000, v68
	s_delay_alu instid0(VALU_DEP_1) | instskip(SKIP_1) | instid1(SALU_CYCLE_1)
	v_cmp_ne_u32_e32 vcc_lo, 0x7f800000, v4
                                        ; implicit-def: $vgpr4
	s_and_saveexec_b32 s3, vcc_lo
	s_xor_b32 s3, exec_lo, s3
; %bb.91:
	v_bfe_u32 v4, v68, 16, 1
	s_delay_alu instid0(VALU_DEP_1)
	v_add3_u32 v4, v68, v4, 0x7fff
; %bb.92:
	s_and_not1_saveexec_b32 s3, s3
; %bb.93:
	v_and_b32_e32 v4, 0xffff, v68
	v_or_b32_e32 v5, 0x10000, v68
	s_delay_alu instid0(VALU_DEP_2) | instskip(NEXT) | instid1(VALU_DEP_2)
	v_cmp_eq_u32_e32 vcc_lo, 0, v4
	v_cndmask_b32_e32 v4, v5, v68, vcc_lo
; %bb.94:
	s_or_b32 exec_lo, exec_lo, s3
	v_and_b32_e32 v5, 0x7f800000, v69
	s_delay_alu instid0(VALU_DEP_1) | instskip(SKIP_1) | instid1(SALU_CYCLE_1)
	v_cmp_ne_u32_e32 vcc_lo, 0x7f800000, v5
                                        ; implicit-def: $vgpr5
	s_and_saveexec_b32 s3, vcc_lo
	s_xor_b32 s3, exec_lo, s3
; %bb.95:
	v_bfe_u32 v5, v69, 16, 1
	s_delay_alu instid0(VALU_DEP_1)
	v_add3_u32 v5, v69, v5, 0x7fff
; %bb.96:
	s_and_not1_saveexec_b32 s3, s3
; %bb.97:
	v_and_b32_e32 v5, 0xffff, v69
	v_or_b32_e32 v6, 0x10000, v69
	s_delay_alu instid0(VALU_DEP_2) | instskip(NEXT) | instid1(VALU_DEP_2)
	v_cmp_eq_u32_e32 vcc_lo, 0, v5
	v_cndmask_b32_e32 v5, v6, v69, vcc_lo
; %bb.98:
	s_or_b32 exec_lo, exec_lo, s3
	v_and_b32_e32 v6, 0x7f800000, v70
	s_delay_alu instid0(VALU_DEP_1) | instskip(SKIP_1) | instid1(SALU_CYCLE_1)
	v_cmp_ne_u32_e32 vcc_lo, 0x7f800000, v6
                                        ; implicit-def: $vgpr6
	s_and_saveexec_b32 s3, vcc_lo
	s_xor_b32 s3, exec_lo, s3
; %bb.99:
	v_bfe_u32 v6, v70, 16, 1
	s_delay_alu instid0(VALU_DEP_1)
	v_add3_u32 v6, v70, v6, 0x7fff
; %bb.100:
	s_and_not1_saveexec_b32 s3, s3
; %bb.101:
	v_and_b32_e32 v6, 0xffff, v70
	v_or_b32_e32 v7, 0x10000, v70
	s_delay_alu instid0(VALU_DEP_2) | instskip(NEXT) | instid1(VALU_DEP_2)
	v_cmp_eq_u32_e32 vcc_lo, 0, v6
	v_cndmask_b32_e32 v6, v7, v70, vcc_lo
; %bb.102:
	s_or_b32 exec_lo, exec_lo, s3
	v_and_b32_e32 v7, 0x7f800000, v71
	s_delay_alu instid0(VALU_DEP_1) | instskip(SKIP_1) | instid1(SALU_CYCLE_1)
	v_cmp_ne_u32_e32 vcc_lo, 0x7f800000, v7
                                        ; implicit-def: $vgpr7
	s_and_saveexec_b32 s3, vcc_lo
	s_xor_b32 s3, exec_lo, s3
; %bb.103:
	v_bfe_u32 v7, v71, 16, 1
	s_delay_alu instid0(VALU_DEP_1)
	v_add3_u32 v7, v71, v7, 0x7fff
; %bb.104:
	s_and_not1_saveexec_b32 s3, s3
; %bb.105:
	v_and_b32_e32 v7, 0xffff, v71
	v_or_b32_e32 v8, 0x10000, v71
	s_delay_alu instid0(VALU_DEP_2) | instskip(NEXT) | instid1(VALU_DEP_2)
	v_cmp_eq_u32_e32 vcc_lo, 0, v7
	v_cndmask_b32_e32 v7, v8, v71, vcc_lo
; %bb.106:
	s_or_b32 exec_lo, exec_lo, s3
	v_and_b32_e32 v8, 0x7f800000, v72
	s_delay_alu instid0(VALU_DEP_1) | instskip(SKIP_1) | instid1(SALU_CYCLE_1)
	v_cmp_ne_u32_e32 vcc_lo, 0x7f800000, v8
                                        ; implicit-def: $vgpr8
	s_and_saveexec_b32 s3, vcc_lo
	s_xor_b32 s3, exec_lo, s3
; %bb.107:
	v_bfe_u32 v8, v72, 16, 1
	s_delay_alu instid0(VALU_DEP_1)
	v_add3_u32 v8, v72, v8, 0x7fff
                                        ; implicit-def: $vgpr65_vgpr66_vgpr67_vgpr68_vgpr69_vgpr70_vgpr71_vgpr72
; %bb.108:
	s_and_not1_saveexec_b32 s3, s3
; %bb.109:
	v_and_b32_e32 v8, 0xffff, v72
	v_or_b32_e32 v9, 0x10000, v72
	s_delay_alu instid0(VALU_DEP_2) | instskip(NEXT) | instid1(VALU_DEP_2)
	v_cmp_eq_u32_e32 vcc_lo, 0, v8
	v_cndmask_b32_e32 v8, v9, v72, vcc_lo
; %bb.110:
	s_or_b32 exec_lo, exec_lo, s3
	s_delay_alu instid0(VALU_DEP_1)
	v_perm_b32 v7, v8, v7, 0x7060302
	v_perm_b32 v6, v6, v5, 0x7060302
	;; [unrolled: 1-line block ×4, first 2 shown]
	s_barrier
	buffer_gl0_inv
	v_cmp_eq_u32_e32 vcc_lo, 1, v78
	ds_store_b128 v76, v[4:7]
	s_waitcnt lgkmcnt(0)
	s_barrier
	buffer_gl0_inv
	ds_load_b128 v[1:4], v82
	ds_load_b128 v[5:8], v82 offset:16
	v_cmp_eq_u32_e64 s3, 1, v79
	v_cmp_eq_u32_e64 s4, 2, v78
	;; [unrolled: 1-line block ×5, first 2 shown]
	s_waitcnt lgkmcnt(1)
	v_lshrrev_b32_e32 v9, 16, v1
	s_waitcnt lgkmcnt(0)
	v_lshrrev_b32_e32 v13, 16, v5
	v_lshrrev_b32_e32 v10, 16, v2
	;; [unrolled: 1-line block ×4, first 2 shown]
	v_cndmask_b32_e64 v19, v1, v9, s3
	v_cndmask_b32_e32 v18, v5, v13, vcc_lo
	v_cndmask_b32_e64 v20, v5, v13, s3
	v_cndmask_b32_e32 v17, v1, v9, vcc_lo
	v_cmp_eq_u32_e32 vcc_lo, 2, v79
	v_lshrrev_b32_e32 v15, 16, v7
	v_cmp_eq_u32_e64 s3, 1, v77
	v_lshrrev_b32_e32 v12, 16, v4
	v_lshrrev_b32_e32 v16, 16, v8
	v_cndmask_b32_e32 v20, v20, v6, vcc_lo
	v_cndmask_b32_e64 v17, v17, v2, s4
	v_cndmask_b32_e32 v19, v19, v2, vcc_lo
	v_cndmask_b32_e64 v18, v18, v6, s4
	v_cmp_eq_u32_e32 vcc_lo, 4, v78
	v_cmp_eq_u32_e64 s4, 3, v79
	v_cndmask_b32_e64 v17, v17, v10, s5
	v_cndmask_b32_e64 v21, v1, v9, s3
	v_cndmask_b32_e64 v18, v18, v14, s5
	v_cndmask_b32_e64 v22, v5, v13, s3
	v_cndmask_b32_e64 v19, v19, v10, s4
	v_cndmask_b32_e32 v17, v17, v3, vcc_lo
	v_cndmask_b32_e64 v20, v20, v14, s4
	v_cndmask_b32_e32 v18, v18, v7, vcc_lo
	v_cmp_eq_u32_e32 vcc_lo, 4, v79
	v_cmp_eq_u32_e64 s4, 5, v79
	v_cmp_eq_u32_e64 s3, 2, v81
	v_cndmask_b32_e64 v21, v21, v2, s7
	v_cmp_eq_u32_e64 s5, 5, v78
	v_cndmask_b32_e32 v19, v19, v3, vcc_lo
	v_cndmask_b32_e32 v20, v20, v7, vcc_lo
	v_cmp_eq_u32_e32 vcc_lo, 6, v79
	s_delay_alu instid0(VALU_DEP_4) | instskip(NEXT) | instid1(VALU_DEP_4)
	v_cndmask_b32_e64 v17, v17, v11, s5
	v_cndmask_b32_e64 v19, v19, v11, s4
	s_delay_alu instid0(VALU_DEP_4) | instskip(SKIP_1) | instid1(VALU_DEP_3)
	v_cndmask_b32_e64 v20, v20, v15, s4
	v_cmp_eq_u32_e64 s4, 1, v81
	v_cndmask_b32_e32 v19, v19, v4, vcc_lo
	v_cndmask_b32_e64 v18, v18, v15, s5
	s_delay_alu instid0(VALU_DEP_3)
	v_cndmask_b32_e64 v1, v1, v9, s4
	v_cndmask_b32_e64 v5, v5, v13, s4
	v_cmp_eq_u32_e64 s4, 3, v77
	v_cndmask_b32_e64 v13, v22, v6, s7
	v_cmp_eq_u32_e64 s7, 3, v81
	v_cndmask_b32_e64 v1, v1, v2, s3
	v_cndmask_b32_e64 v2, v5, v6, s3
	;; [unrolled: 1-line block ×3, first 2 shown]
	v_cmp_eq_u32_e64 s3, 4, v77
	v_cndmask_b32_e64 v6, v13, v14, s4
	v_cndmask_b32_e64 v1, v1, v10, s7
	v_cmp_eq_u32_e64 s4, 4, v81
	v_cndmask_b32_e64 v2, v2, v14, s7
	v_cndmask_b32_e64 v5, v9, v3, s3
	;; [unrolled: 3-line block ×3, first 2 shown]
	v_cndmask_b32_e64 v2, v2, v7, s4
	v_cmp_eq_u32_e64 s3, 5, v81
	v_cmp_eq_u32_e64 s5, 6, v78
	v_cndmask_b32_e64 v5, v5, v11, s7
	v_cmp_eq_u32_e64 s4, 6, v77
	v_cndmask_b32_e64 v3, v6, v15, s7
	v_cndmask_b32_e64 v1, v1, v11, s3
	v_cmp_eq_u32_e64 s7, 6, v81
	v_cndmask_b32_e64 v2, v2, v15, s3
	v_cndmask_b32_e64 v17, v17, v4, s5
	v_cndmask_b32_e64 v18, v18, v8, s5
	v_cmp_eq_u32_e64 s5, 7, v78
	v_cndmask_b32_e64 v5, v5, v4, s4
	;; [unrolled: 4-line block ×3, first 2 shown]
	v_cmp_eq_u32_e64 s4, 7, v77
	v_cndmask_b32_e32 v4, v20, v8, vcc_lo
	v_cndmask_b32_e64 v17, v17, v12, s5
	v_cndmask_b32_e64 v19, v19, v12, s6
	;; [unrolled: 1-line block ×8, first 2 shown]
	v_cmp_gt_u32_e32 vcc_lo, 32, v0
	v_perm_b32 v4, v2, v1, 0x5040100
	v_perm_b32 v3, v3, v5, 0x5040100
	;; [unrolled: 1-line block ×4, first 2 shown]
	s_and_b32 s2, vcc_lo, s2
	ds_store_b128 v76, v[1:4]
	s_waitcnt lgkmcnt(0)
	s_barrier
	buffer_gl0_inv
	s_and_saveexec_b32 s3, s2
	s_cbranch_execz .LBB1491_2
; %bb.111:
	s_load_b64 s[0:1], s[0:1], 0x68
	s_lshl_b32 s4, s34, 6
	v_or_b32_e32 v3, s31, v74
	s_mul_i32 s2, s4, s30
	v_lshlrev_b32_e32 v0, 10, v0
	s_mul_i32 s2, s2, s8
	v_lshlrev_b32_e32 v1, 4, v75
	s_ashr_i32 s3, s2, 31
	v_mul_lo_u32 v12, v3, s4
	s_lshl_b64 s[2:3], s[2:3], 1
	v_lshlrev_b32_e32 v2, 6, v74
	v_and_b32_e32 v0, 0x3800, v0
	s_delay_alu instid0(VALU_DEP_1) | instskip(NEXT) | instid1(VALU_DEP_4)
	v_or3_b32 v8, v0, v1, v2
	v_ashrrev_i32_e32 v13, 31, v12
	ds_load_b128 v[0:3], v8
	ds_load_b128 v[4:7], v8 offset:128
	ds_load_b128 v[8:11], v8 offset:256
	s_waitcnt lgkmcnt(0)
	s_add_u32 s2, s0, s2
	s_addc_u32 s3, s1, s3
	s_lshl_b32 s0, s14, 6
	s_delay_alu instid0(SALU_CYCLE_1) | instskip(NEXT) | instid1(SALU_CYCLE_1)
	s_ashr_i32 s1, s0, 31
	s_lshl_b64 s[0:1], s[0:1], 1
	s_delay_alu instid0(SALU_CYCLE_1)
	s_add_u32 s0, s2, s0
	s_addc_u32 s1, s3, s1
	s_lshl_b32 s2, s34, 7
	v_add_co_u32 v18, s0, s0, v73
	v_add_nc_u32_e32 v14, s2, v12
	v_lshlrev_b64 v[12:13], 1, v[12:13]
	v_add_co_ci_u32_e64 v19, null, s1, 0, s0
	s_delay_alu instid0(VALU_DEP_3) | instskip(SKIP_1) | instid1(VALU_DEP_4)
	v_add_nc_u32_e32 v16, s2, v14
	v_ashrrev_i32_e32 v15, 31, v14
	v_add_co_u32 v12, vcc_lo, v18, v12
	s_delay_alu instid0(VALU_DEP_4) | instskip(NEXT) | instid1(VALU_DEP_4)
	v_add_co_ci_u32_e32 v13, vcc_lo, v19, v13, vcc_lo
	v_ashrrev_i32_e32 v17, 31, v16
	s_delay_alu instid0(VALU_DEP_4) | instskip(NEXT) | instid1(VALU_DEP_2)
	v_lshlrev_b64 v[14:15], 1, v[14:15]
	v_lshlrev_b64 v[16:17], 1, v[16:17]
	s_delay_alu instid0(VALU_DEP_2) | instskip(NEXT) | instid1(VALU_DEP_3)
	v_add_co_u32 v14, vcc_lo, v18, v14
	v_add_co_ci_u32_e32 v15, vcc_lo, v19, v15, vcc_lo
	s_delay_alu instid0(VALU_DEP_3) | instskip(NEXT) | instid1(VALU_DEP_4)
	v_add_co_u32 v16, vcc_lo, v18, v16
	v_add_co_ci_u32_e32 v17, vcc_lo, v19, v17, vcc_lo
	s_clause 0x2
	global_store_b128 v[12:13], v[0:3], off
	global_store_b128 v[14:15], v[4:7], off
	global_store_b128 v[16:17], v[8:11], off
	s_nop 0
	s_sendmsg sendmsg(MSG_DEALLOC_VGPRS)
	s_endpgm
	.section	.rodata,"a",@progbits
	.p2align	6, 0x0
	.amdhsa_kernel _Z39paged_attention_ll4mi_QKV_mfma16_kernelI14__hip_bfloat16hLN4vllm18Fp8KVCacheDataTypeE1ES0_Li32ELi64ELi256ELb0ELi6EL8MFMAType1EEvPKT_PKT0_S9_ifPKiSB_SB_iPKfiiiPfSE_PS4_PT2_iSD_SD_
		.amdhsa_group_segment_fixed_size 17472
		.amdhsa_private_segment_fixed_size 0
		.amdhsa_kernarg_size 400
		.amdhsa_user_sgpr_count 13
		.amdhsa_user_sgpr_dispatch_ptr 0
		.amdhsa_user_sgpr_queue_ptr 0
		.amdhsa_user_sgpr_kernarg_segment_ptr 1
		.amdhsa_user_sgpr_dispatch_id 0
		.amdhsa_user_sgpr_private_segment_size 0
		.amdhsa_wavefront_size32 1
		.amdhsa_uses_dynamic_stack 0
		.amdhsa_enable_private_segment 0
		.amdhsa_system_sgpr_workgroup_id_x 1
		.amdhsa_system_sgpr_workgroup_id_y 1
		.amdhsa_system_sgpr_workgroup_id_z 1
		.amdhsa_system_sgpr_workgroup_info 0
		.amdhsa_system_vgpr_workitem_id 0
		.amdhsa_next_free_vgpr 124
		.amdhsa_next_free_sgpr 40
		.amdhsa_reserve_vcc 1
		.amdhsa_float_round_mode_32 0
		.amdhsa_float_round_mode_16_64 0
		.amdhsa_float_denorm_mode_32 3
		.amdhsa_float_denorm_mode_16_64 3
		.amdhsa_dx10_clamp 1
		.amdhsa_ieee_mode 1
		.amdhsa_fp16_overflow 0
		.amdhsa_workgroup_processor_mode 1
		.amdhsa_memory_ordered 1
		.amdhsa_forward_progress 0
		.amdhsa_shared_vgpr_count 0
		.amdhsa_exception_fp_ieee_invalid_op 0
		.amdhsa_exception_fp_denorm_src 0
		.amdhsa_exception_fp_ieee_div_zero 0
		.amdhsa_exception_fp_ieee_overflow 0
		.amdhsa_exception_fp_ieee_underflow 0
		.amdhsa_exception_fp_ieee_inexact 0
		.amdhsa_exception_int_div_zero 0
	.end_amdhsa_kernel
	.section	.text._Z39paged_attention_ll4mi_QKV_mfma16_kernelI14__hip_bfloat16hLN4vllm18Fp8KVCacheDataTypeE1ES0_Li32ELi64ELi256ELb0ELi6EL8MFMAType1EEvPKT_PKT0_S9_ifPKiSB_SB_iPKfiiiPfSE_PS4_PT2_iSD_SD_,"axG",@progbits,_Z39paged_attention_ll4mi_QKV_mfma16_kernelI14__hip_bfloat16hLN4vllm18Fp8KVCacheDataTypeE1ES0_Li32ELi64ELi256ELb0ELi6EL8MFMAType1EEvPKT_PKT0_S9_ifPKiSB_SB_iPKfiiiPfSE_PS4_PT2_iSD_SD_,comdat
.Lfunc_end1491:
	.size	_Z39paged_attention_ll4mi_QKV_mfma16_kernelI14__hip_bfloat16hLN4vllm18Fp8KVCacheDataTypeE1ES0_Li32ELi64ELi256ELb0ELi6EL8MFMAType1EEvPKT_PKT0_S9_ifPKiSB_SB_iPKfiiiPfSE_PS4_PT2_iSD_SD_, .Lfunc_end1491-_Z39paged_attention_ll4mi_QKV_mfma16_kernelI14__hip_bfloat16hLN4vllm18Fp8KVCacheDataTypeE1ES0_Li32ELi64ELi256ELb0ELi6EL8MFMAType1EEvPKT_PKT0_S9_ifPKiSB_SB_iPKfiiiPfSE_PS4_PT2_iSD_SD_
                                        ; -- End function
	.section	.AMDGPU.csdata,"",@progbits
; Kernel info:
; codeLenInByte = 8760
; NumSgprs: 42
; NumVgprs: 124
; ScratchSize: 0
; MemoryBound: 0
; FloatMode: 240
; IeeeMode: 1
; LDSByteSize: 17472 bytes/workgroup (compile time only)
; SGPRBlocks: 5
; VGPRBlocks: 15
; NumSGPRsForWavesPerEU: 42
; NumVGPRsForWavesPerEU: 124
; Occupancy: 10
; WaveLimiterHint : 1
; COMPUTE_PGM_RSRC2:SCRATCH_EN: 0
; COMPUTE_PGM_RSRC2:USER_SGPR: 13
; COMPUTE_PGM_RSRC2:TRAP_HANDLER: 0
; COMPUTE_PGM_RSRC2:TGID_X_EN: 1
; COMPUTE_PGM_RSRC2:TGID_Y_EN: 1
; COMPUTE_PGM_RSRC2:TGID_Z_EN: 1
; COMPUTE_PGM_RSRC2:TIDIG_COMP_CNT: 0
	.section	.text._Z39paged_attention_ll4mi_QKV_mfma16_kernelI14__hip_bfloat16hLN4vllm18Fp8KVCacheDataTypeE1ES0_Li32ELi64ELi256ELb0ELi7EL8MFMAType1EEvPKT_PKT0_S9_ifPKiSB_SB_iPKfiiiPfSE_PS4_PT2_iSD_SD_,"axG",@progbits,_Z39paged_attention_ll4mi_QKV_mfma16_kernelI14__hip_bfloat16hLN4vllm18Fp8KVCacheDataTypeE1ES0_Li32ELi64ELi256ELb0ELi7EL8MFMAType1EEvPKT_PKT0_S9_ifPKiSB_SB_iPKfiiiPfSE_PS4_PT2_iSD_SD_,comdat
	.protected	_Z39paged_attention_ll4mi_QKV_mfma16_kernelI14__hip_bfloat16hLN4vllm18Fp8KVCacheDataTypeE1ES0_Li32ELi64ELi256ELb0ELi7EL8MFMAType1EEvPKT_PKT0_S9_ifPKiSB_SB_iPKfiiiPfSE_PS4_PT2_iSD_SD_ ; -- Begin function _Z39paged_attention_ll4mi_QKV_mfma16_kernelI14__hip_bfloat16hLN4vllm18Fp8KVCacheDataTypeE1ES0_Li32ELi64ELi256ELb0ELi7EL8MFMAType1EEvPKT_PKT0_S9_ifPKiSB_SB_iPKfiiiPfSE_PS4_PT2_iSD_SD_
	.globl	_Z39paged_attention_ll4mi_QKV_mfma16_kernelI14__hip_bfloat16hLN4vllm18Fp8KVCacheDataTypeE1ES0_Li32ELi64ELi256ELb0ELi7EL8MFMAType1EEvPKT_PKT0_S9_ifPKiSB_SB_iPKfiiiPfSE_PS4_PT2_iSD_SD_
	.p2align	8
	.type	_Z39paged_attention_ll4mi_QKV_mfma16_kernelI14__hip_bfloat16hLN4vllm18Fp8KVCacheDataTypeE1ES0_Li32ELi64ELi256ELb0ELi7EL8MFMAType1EEvPKT_PKT0_S9_ifPKiSB_SB_iPKfiiiPfSE_PS4_PT2_iSD_SD_,@function
_Z39paged_attention_ll4mi_QKV_mfma16_kernelI14__hip_bfloat16hLN4vllm18Fp8KVCacheDataTypeE1ES0_Li32ELi64ELi256ELb0ELi7EL8MFMAType1EEvPKT_PKT0_S9_ifPKiSB_SB_iPKfiiiPfSE_PS4_PT2_iSD_SD_: ; @_Z39paged_attention_ll4mi_QKV_mfma16_kernelI14__hip_bfloat16hLN4vllm18Fp8KVCacheDataTypeE1ES0_Li32ELi64ELi256ELb0ELi7EL8MFMAType1EEvPKT_PKT0_S9_ifPKiSB_SB_iPKfiiiPfSE_PS4_PT2_iSD_SD_
; %bb.0:
	s_load_b64 s[2:3], s[0:1], 0x30
	s_mov_b32 s34, s13
	s_waitcnt lgkmcnt(0)
	s_cmp_lg_u64 s[2:3], 0
	s_cselect_b32 s8, -1, 0
	s_ashr_i32 s35, s13, 31
	s_cmp_eq_u64 s[2:3], 0
	s_cbranch_scc1 .LBB1492_3
; %bb.1:
	s_lshl_b64 s[4:5], s[34:35], 2
	s_delay_alu instid0(SALU_CYCLE_1) | instskip(SKIP_4) | instid1(SALU_CYCLE_1)
	s_add_u32 s4, s2, s4
	s_addc_u32 s5, s3, s5
	s_load_b64 s[4:5], s[4:5], 0x0
	s_waitcnt lgkmcnt(0)
	s_sub_i32 s4, s5, s4
	s_cmp_eq_u32 s4, 1
	s_cselect_b32 s4, -1, 0
	s_delay_alu instid0(SALU_CYCLE_1)
	s_and_not1_b32 vcc_lo, exec_lo, s4
	s_cbranch_vccz .LBB1492_4
.LBB1492_2:
	s_nop 0
	s_sendmsg sendmsg(MSG_DEALLOC_VGPRS)
	s_endpgm
.LBB1492_3:
.LBB1492_4:
	s_load_b64 s[4:5], s[0:1], 0x28
	s_lshl_b64 s[6:7], s[34:35], 2
	s_waitcnt lgkmcnt(0)
	s_add_u32 s4, s4, s6
	s_addc_u32 s5, s5, s7
	s_lshl_b32 s12, s14, 8
	s_load_b32 s24, s[4:5], 0x0
	s_waitcnt lgkmcnt(0)
	s_cmp_ge_i32 s12, s24
	s_cbranch_scc1 .LBB1492_2
; %bb.5:
	s_clause 0x1
	s_load_b128 s[20:23], s[0:1], 0x8
	s_load_b64 s[4:5], s[0:1], 0x20
	s_and_not1_b32 vcc_lo, exec_lo, s8
	s_cbranch_vccnz .LBB1492_7
; %bb.6:
	s_add_u32 s2, s2, s6
	s_addc_u32 s3, s3, s7
	s_load_b32 s3, s[2:3], 0x0
	s_branch .LBB1492_8
.LBB1492_7:
	s_mov_b32 s3, s34
.LBB1492_8:
	s_load_b128 s[16:19], s[0:1], 0x48
	v_lshrrev_b32_e32 v66, 5, v0
	v_bfe_u32 v74, v0, 4, 1
	v_and_b32_e32 v65, 15, v0
	v_and_b32_e32 v67, 31, v0
	;; [unrolled: 1-line block ×3, first 2 shown]
	s_mul_i32 s31, s15, 7
	v_lshl_or_b32 v1, v66, 1, v74
	v_lshlrev_b32_e32 v2, 3, v65
	v_cmp_gt_u32_e64 s2, 8, v65
	s_delay_alu instid0(VALU_DEP_3) | instskip(NEXT) | instid1(VALU_DEP_3)
	v_cmp_gt_u32_e32 vcc_lo, 7, v1
	v_lshlrev_b32_e32 v73, 1, v2
	s_delay_alu instid0(VALU_DEP_3) | instskip(NEXT) | instid1(SALU_CYCLE_1)
	s_and_b32 s7, s2, vcc_lo
	s_and_saveexec_b32 s6, s7
	s_cbranch_execz .LBB1492_10
; %bb.9:
	s_load_b64 s[8:9], s[0:1], 0x0
	v_add_lshl_u32 v2, v1, s31, 6
	s_waitcnt lgkmcnt(0)
	s_mul_hi_i32 s11, s3, s16
	s_mul_i32 s10, s3, s16
	v_lshlrev_b32_e32 v6, 10, v65
	s_lshl_b64 s[10:11], s[10:11], 1
	v_ashrrev_i32_e32 v3, 31, v2
	v_lshlrev_b32_e32 v1, 6, v1
	v_lshlrev_b32_e32 v7, 10, v75
	v_and_b32_e32 v6, 0x3800, v6
	s_delay_alu instid0(VALU_DEP_4) | instskip(NEXT) | instid1(VALU_DEP_2)
	v_lshlrev_b64 v[2:3], 1, v[2:3]
	v_or3_b32 v1, v6, v7, v1
	s_add_u32 s3, s8, s10
	s_addc_u32 s7, s9, s11
	s_delay_alu instid0(VALU_DEP_2) | instskip(NEXT) | instid1(VALU_DEP_3)
	v_add_co_u32 v2, vcc_lo, s3, v2
	v_add_co_ci_u32_e32 v3, vcc_lo, s7, v3, vcc_lo
	s_delay_alu instid0(VALU_DEP_2) | instskip(NEXT) | instid1(VALU_DEP_2)
	v_add_co_u32 v2, vcc_lo, v2, v73
	v_add_co_ci_u32_e32 v3, vcc_lo, 0, v3, vcc_lo
	global_load_b128 v[2:5], v[2:3], off
	s_waitcnt vmcnt(0)
	ds_store_b128 v1, v[2:5]
.LBB1492_10:
	s_or_b32 exec_lo, exec_lo, s6
	v_and_b32_e32 v1, 0xef, v0
	s_waitcnt lgkmcnt(0)
	s_add_i32 s3, s24, 31
	s_clause 0x1
	s_load_b32 s6, s[0:1], 0x38
	s_load_b32 s19, s[0:1], 0x1c
	s_ashr_i32 s7, s3, 31
	v_add_nc_u32_e32 v1, s12, v1
	s_lshr_b32 s7, s7, 27
	s_waitcnt lgkmcnt(0)
	s_add_i32 s3, s3, s7
	s_barrier
	v_ashrrev_i32_e32 v2, 31, v1
	v_or_b32_e32 v3, 16, v1
	s_ashr_i32 s3, s3, 5
	v_cmp_gt_i32_e32 vcc_lo, s24, v1
	s_add_i32 s3, s3, -1
	v_lshrrev_b32_e32 v2, 27, v2
	buffer_gl0_inv
	s_mul_i32 s27, s15, s18
	v_add_nc_u32_e32 v4, v1, v2
	s_mul_i32 s6, s34, s6
	s_delay_alu instid0(SALU_CYCLE_1) | instskip(NEXT) | instid1(VALU_DEP_1)
	s_ashr_i32 s7, s6, 31
	v_ashrrev_i32_e32 v4, 5, v4
	v_add_nc_u32_e32 v2, v3, v2
	s_lshl_b64 s[6:7], s[6:7], 2
	s_delay_alu instid0(SALU_CYCLE_1) | instskip(NEXT) | instid1(VALU_DEP_2)
	s_add_u32 s26, s4, s6
	v_cndmask_b32_e32 v1, s3, v4, vcc_lo
	s_delay_alu instid0(VALU_DEP_2)
	v_ashrrev_i32_e32 v2, 5, v2
	v_cmp_gt_i32_e32 vcc_lo, s24, v3
	s_addc_u32 s25, s5, s7
	s_ashr_i32 s28, s27, 31
	s_add_u32 s4, s20, s27
	s_addc_u32 s5, s21, s28
	v_cndmask_b32_e32 v3, s3, v2, vcc_lo
	v_ashrrev_i32_e32 v2, 31, v1
	s_lshl_b32 s6, s14, 3
	s_delay_alu instid0(SALU_CYCLE_1) | instskip(NEXT) | instid1(VALU_DEP_2)
	s_ashr_i32 s7, s6, 31
	v_ashrrev_i32_e32 v4, 31, v3
	s_delay_alu instid0(VALU_DEP_2) | instskip(SKIP_1) | instid1(SALU_CYCLE_1)
	v_lshlrev_b64 v[1:2], 2, v[1:2]
	s_lshl_b64 s[6:7], s[6:7], 2
	s_add_u32 s6, s26, s6
	s_delay_alu instid0(VALU_DEP_2) | instskip(SKIP_1) | instid1(VALU_DEP_2)
	v_lshlrev_b64 v[3:4], 2, v[3:4]
	s_addc_u32 s7, s25, s7
	v_add_co_u32 v1, vcc_lo, s26, v1
	v_add_co_ci_u32_e32 v2, vcc_lo, s25, v2, vcc_lo
	s_delay_alu instid0(VALU_DEP_3) | instskip(NEXT) | instid1(VALU_DEP_4)
	v_add_co_u32 v3, vcc_lo, s26, v3
	v_add_co_ci_u32_e32 v4, vcc_lo, s25, v4, vcc_lo
	s_clause 0x1
	global_load_b32 v5, v[1:2], off
	global_load_b32 v6, v[3:4], off
	s_or_b32 s8, s12, 32
	s_delay_alu instid0(SALU_CYCLE_1) | instskip(SKIP_2) | instid1(SALU_CYCLE_1)
	s_ashr_i32 s9, s8, 5
	s_cmp_lt_i32 s8, s24
	s_cselect_b32 s8, s9, s3
	s_ashr_i32 s9, s8, 31
	s_delay_alu instid0(SALU_CYCLE_1) | instskip(NEXT) | instid1(SALU_CYCLE_1)
	s_lshl_b64 s[8:9], s[8:9], 2
	s_add_u32 s8, s26, s8
	s_addc_u32 s9, s25, s9
	s_or_b32 s10, s12, 64
	s_delay_alu instid0(SALU_CYCLE_1) | instskip(SKIP_2) | instid1(SALU_CYCLE_1)
	s_ashr_i32 s11, s10, 5
	s_cmp_lt_i32 s10, s24
	s_cselect_b32 s10, s11, s3
	s_ashr_i32 s11, s10, 31
	s_delay_alu instid0(SALU_CYCLE_1) | instskip(NEXT) | instid1(SALU_CYCLE_1)
	s_lshl_b64 s[10:11], s[10:11], 2
	s_add_u32 s10, s26, s10
	s_addc_u32 s11, s25, s11
	;; [unrolled: 10-line block ×5, first 2 shown]
	s_clause 0x5
	s_load_b32 s21, s[6:7], 0x0
	s_load_b32 s13, s[8:9], 0x0
	;; [unrolled: 1-line block ×6, first 2 shown]
	s_or_b32 s9, s12, 0xc0
	s_delay_alu instid0(SALU_CYCLE_1) | instskip(SKIP_2) | instid1(SALU_CYCLE_1)
	s_ashr_i32 s10, s9, 5
	s_cmp_lt_i32 s9, s24
	s_cselect_b32 s36, s10, s3
	s_ashr_i32 s37, s36, 31
	s_delay_alu instid0(SALU_CYCLE_1) | instskip(NEXT) | instid1(SALU_CYCLE_1)
	s_lshl_b64 s[36:37], s[36:37], 2
	s_add_u32 s36, s26, s36
	s_addc_u32 s37, s25, s37
	s_or_b32 s29, s12, 0xe0
	s_delay_alu instid0(SALU_CYCLE_1)
	s_ashr_i32 s30, s29, 5
	s_cmp_lt_i32 s29, s24
	s_waitcnt vmcnt(1)
	v_mad_i64_i32 v[1:2], null, v5, s17, s[4:5]
	s_waitcnt vmcnt(0)
	v_mad_i64_i32 v[3:4], null, v6, s17, s[4:5]
	s_mov_b32 s4, 0
	s_delay_alu instid0(SALU_CYCLE_1)
	s_mov_b32 s5, s4
	s_mov_b32 s6, s4
	;; [unrolled: 1-line block ×7, first 2 shown]
	v_lshlrev_b32_e32 v5, 4, v65
	v_dual_mov_b32 v107, s11 :: v_dual_mov_b32 v102, s6
	v_mov_b32_e32 v106, s10
	v_mov_b32_e32 v104, s8
	s_delay_alu instid0(VALU_DEP_4)
	v_add_co_u32 v1, vcc_lo, v1, v5
	v_add_co_ci_u32_e32 v2, vcc_lo, 0, v2, vcc_lo
	v_add_co_u32 v3, vcc_lo, v3, v5
	v_add_co_ci_u32_e32 v4, vcc_lo, 0, v4, vcc_lo
	s_clause 0x7
	global_load_b128 v[49:52], v[1:2], off
	global_load_b128 v[53:56], v[1:2], off offset:512
	global_load_b128 v[76:79], v[3:4], off offset:256
	;; [unrolled: 1-line block ×7, first 2 shown]
	v_mul_lo_u16 v1, v65, 37
	v_mov_b32_e32 v103, s7
	v_dual_mov_b32 v101, s5 :: v_dual_lshlrev_b32 v2, 5, v65
	v_mov_b32_e32 v100, s4
	s_delay_alu instid0(VALU_DEP_4) | instskip(NEXT) | instid1(VALU_DEP_3)
	v_lshrrev_b16 v1, 8, v1
	v_lshl_or_b32 v2, v66, 9, v2
	s_delay_alu instid0(VALU_DEP_2) | instskip(NEXT) | instid1(VALU_DEP_1)
	v_mul_lo_u16 v1, v1, 7
	v_sub_nc_u16 v1, v65, v1
	s_delay_alu instid0(VALU_DEP_1)
	v_and_b32_e32 v1, 0xff, v1
	v_mov_b32_e32 v105, s9
	s_cselect_b32 s4, s30, s3
	s_load_b32 s3, s[36:37], 0x0
	s_ashr_i32 s5, s4, 31
	v_lshlrev_b32_e32 v70, 6, v1
	s_lshl_b64 s[4:5], s[4:5], 2
	ds_load_b128 v[108:111], v70
	ds_load_b128 v[112:115], v70 offset:1024
	s_add_u32 s4, s26, s4
	s_addc_u32 s5, s25, s5
	s_add_u32 s6, s22, s27
	s_load_b32 s4, s[4:5], 0x0
	s_addc_u32 s7, s23, s28
	v_add_co_u32 v9, s6, s6, v2
	s_delay_alu instid0(VALU_DEP_1) | instskip(SKIP_1) | instid1(VALU_DEP_1)
	v_add_co_ci_u32_e64 v10, null, s7, 0, s6
	s_waitcnt lgkmcnt(0)
	v_mad_i64_i32 v[1:2], null, s21, s17, v[9:10]
	v_mad_i64_i32 v[3:4], null, s13, s17, v[9:10]
	;; [unrolled: 1-line block ×7, first 2 shown]
	s_clause 0x9
	global_load_b128 v[57:60], v[1:2], off
	global_load_b128 v[61:64], v[1:2], off offset:16
	global_load_b128 v[41:44], v[3:4], off
	global_load_b128 v[45:48], v[3:4], off offset:16
	;; [unrolled: 2-line block ×5, first 2 shown]
	v_mad_i64_i32 v[68:69], null, s4, s17, v[9:10]
	s_clause 0x3
	global_load_b128 v[9:12], v[13:14], off
	global_load_b128 v[13:16], v[13:14], off offset:16
	global_load_b128 v[17:20], v[21:22], off
	global_load_b128 v[21:24], v[21:22], off offset:16
	s_waitcnt vmcnt(20)
	v_wmma_f32_16x16x16_bf16 v[116:123], v[49:56], v[108:115], v[100:107]
	s_clause 0x1
	global_load_b128 v[49:52], v[68:69], off
	global_load_b128 v[53:56], v[68:69], off offset:16
	v_and_b32_e32 v68, 0xe0, v0
	v_mbcnt_lo_u32_b32 v69, -1, 0
	s_delay_alu instid0(VALU_DEP_2)
	v_add_nc_u32_e32 v68, s12, v68
	s_waitcnt vmcnt(20)
	v_wmma_f32_16x16x16_bf16 v[100:107], v[76:83], v[108:115], v[100:107]
	ds_load_b128 v[76:79], v70 offset:2048
	ds_load_b128 v[80:83], v70 offset:3072
	v_xor_b32_e32 v70, 16, v69
	s_waitcnt vmcnt(0) lgkmcnt(0)
	v_or_b32_e32 v68, v68, v74
	s_barrier
	buffer_gl0_inv
	v_cmp_gt_i32_e32 vcc_lo, 32, v70
	v_or_b32_e32 v71, 4, v68
	v_or_b32_e32 v72, 6, v68
	v_cmp_gt_i32_e64 s3, s24, v68
	v_or_b32_e32 v108, 8, v68
	v_or_b32_e32 v109, 10, v68
	v_cmp_gt_i32_e64 s4, s24, v71
	v_cmp_gt_i32_e64 s5, s24, v72
	s_delay_alu instid0(VALU_DEP_4) | instskip(NEXT) | instid1(VALU_DEP_4)
	v_cmp_gt_i32_e64 s6, s24, v108
	v_cmp_gt_i32_e64 s7, s24, v109
	v_wmma_f32_16x16x16_bf16 v[116:123], v[84:91], v[76:83], v[116:123]
	v_cndmask_b32_e32 v69, v69, v70, vcc_lo
	v_or_b32_e32 v70, 2, v68
	v_wmma_f32_16x16x16_bf16 v[100:107], v[92:99], v[76:83], v[100:107]
	v_or_b32_e32 v84, 12, v68
	v_dual_mul_f32 v78, s19, v123 :: v_dual_mul_f32 v83, s19, v118
	v_dual_mul_f32 v92, s19, v117 :: v_dual_mul_f32 v93, s19, v116
	s_delay_alu instid0(VALU_DEP_4) | instskip(SKIP_2) | instid1(VALU_DEP_4)
	v_mul_f32_e32 v94, s19, v107
	v_cmp_gt_i32_e32 vcc_lo, s24, v70
	v_dual_mul_f32 v81, s19, v120 :: v_dual_mul_f32 v82, s19, v119
	v_cndmask_b32_e64 v93, 0xff7fffff, v93, s3
	v_or_b32_e32 v85, 14, v68
	v_cndmask_b32_e32 v92, 0xff7fffff, v92, vcc_lo
	v_dual_mul_f32 v79, s19, v122 :: v_dual_mul_f32 v80, s19, v121
	v_cndmask_b32_e64 v71, 0xff7fffff, v83, s4
	v_cndmask_b32_e64 v72, 0xff7fffff, v82, s5
	s_delay_alu instid0(VALU_DEP_4)
	v_max3_f32 v82, v93, 0xff7fffff, v92
	v_or_b32_e32 v86, 16, v68
	v_or_b32_e32 v87, 18, v68
	v_cndmask_b32_e64 v81, 0xff7fffff, v81, s6
	v_cndmask_b32_e64 v80, 0xff7fffff, v80, s7
	v_max3_f32 v71, v82, v71, v72
	v_cmp_gt_i32_e64 s8, s24, v84
	v_cmp_gt_i32_e64 s9, s24, v85
	v_or_b32_e32 v88, 20, v68
	v_or_b32_e32 v89, 22, v68
	;; [unrolled: 1-line block ×6, first 2 shown]
	v_dual_mul_f32 v99, s19, v102 :: v_dual_mul_f32 v70, s19, v101
	v_mul_f32_e32 v68, s19, v100
	v_cndmask_b32_e64 v72, 0xff7fffff, v79, s8
	v_cndmask_b32_e64 v78, 0xff7fffff, v78, s9
	v_max3_f32 v71, v71, v81, v80
	v_cmp_gt_i32_e64 s10, s24, v86
	v_cmp_gt_i32_e64 s11, s24, v87
	v_dual_mul_f32 v97, s19, v104 :: v_dual_mul_f32 v98, s19, v103
	s_delay_alu instid0(VALU_DEP_4) | instskip(SKIP_1) | instid1(VALU_DEP_4)
	v_max3_f32 v71, v71, v72, v78
	v_cmp_gt_i32_e64 s12, s24, v88
	v_cndmask_b32_e64 v70, 0xff7fffff, v70, s11
	v_cmp_gt_i32_e64 s13, s24, v89
	v_lshlrev_b32_e32 v89, 2, v69
	v_cndmask_b32_e64 v68, 0xff7fffff, v68, s10
	v_dual_mul_f32 v95, s19, v106 :: v_dual_mul_f32 v96, s19, v105
	v_cndmask_b32_e64 v72, 0xff7fffff, v99, s12
	v_cndmask_b32_e64 v78, 0xff7fffff, v98, s13
	s_delay_alu instid0(VALU_DEP_4)
	v_max3_f32 v68, v71, v68, v70
	v_cmp_gt_i32_e64 s15, s24, v90
	v_cmp_gt_i32_e64 s16, s24, v91
	;; [unrolled: 1-line block ×4, first 2 shown]
	v_max3_f32 v68, v68, v72, v78
	v_cndmask_b32_e64 v70, 0xff7fffff, v97, s15
	v_cndmask_b32_e64 v71, 0xff7fffff, v96, s16
	;; [unrolled: 1-line block ×4, first 2 shown]
	s_delay_alu instid0(VALU_DEP_3) | instskip(NEXT) | instid1(VALU_DEP_1)
	v_max3_f32 v68, v68, v70, v71
	v_max3_f32 v68, v68, v72, v76
	ds_bpermute_b32 v69, v89, v68
	s_waitcnt lgkmcnt(0)
	v_max_f32_e32 v69, v69, v69
	s_delay_alu instid0(VALU_DEP_1) | instskip(NEXT) | instid1(VALU_DEP_1)
	v_max_f32_e32 v68, v68, v69
	v_fma_f32 v71, s19, v118, -v68
	s_delay_alu instid0(VALU_DEP_1)
	v_mul_f32_e32 v71, 0x3fb8aa3b, v71
	v_fma_f32 v69, s19, v116, -v68
	v_fma_f32 v70, s19, v117, -v68
	;; [unrolled: 1-line block ×4, first 2 shown]
	v_exp_f32_e32 v71, v71
	s_delay_alu instid0(VALU_DEP_3) | instskip(SKIP_2) | instid1(VALU_DEP_3)
	v_dual_mul_f32 v69, 0x3fb8aa3b, v69 :: v_dual_mul_f32 v70, 0x3fb8aa3b, v70
	v_fma_f32 v78, s19, v122, -v68
	v_fma_f32 v81, s19, v105, -v68
	v_exp_f32_e32 v69, v69
	s_delay_alu instid0(VALU_DEP_3) | instskip(SKIP_1) | instid1(VALU_DEP_2)
	v_exp_f32_e32 v70, v70
	v_mul_f32_e32 v77, 0x3fb8aa3b, v76
	v_mul_f32_e32 v81, 0x3fb8aa3b, v81
	s_delay_alu instid0(TRANS32_DEP_3) | instskip(SKIP_1) | instid1(VALU_DEP_3)
	v_cndmask_b32_e64 v83, 0, v71, s4
	v_fma_f32 v71, s19, v123, -v68
	v_exp_f32_e32 v81, v81
	s_delay_alu instid0(TRANS32_DEP_3) | instskip(NEXT) | instid1(TRANS32_DEP_2)
	v_cndmask_b32_e64 v80, 0, v69, s3
	v_cndmask_b32_e32 v76, 0, v70, vcc_lo
	v_fma_f32 v69, s19, v121, -v68
	v_mul_f32_e32 v72, 0x3fb8aa3b, v72
	v_exp_f32_e32 v77, v77
	v_dual_add_f32 v70, 0, v80 :: v_dual_mul_f32 v71, 0x3fb8aa3b, v71
	s_delay_alu instid0(VALU_DEP_3) | instskip(NEXT) | instid1(VALU_DEP_3)
	v_mul_f32_e32 v69, 0x3fb8aa3b, v69
	v_exp_f32_e32 v72, v72
	v_cmp_gt_u32_e64 s3, 16, v67
	s_delay_alu instid0(VALU_DEP_3) | instskip(NEXT) | instid1(VALU_DEP_2)
	v_exp_f32_e32 v71, v71
	v_exp_f32_e32 v69, v69
	v_cndmask_b32_e64 v86, 0, v77, s6
	v_fma_f32 v77, s19, v101, -v68
	v_add_f32_e32 v70, v70, v76
	s_delay_alu instid0(TRANS32_DEP_3) | instskip(SKIP_1) | instid1(VALU_DEP_3)
	v_cndmask_b32_e64 v85, 0, v72, s5
	v_fma_f32 v72, s19, v100, -v68
	v_dual_mul_f32 v77, 0x3fb8aa3b, v77 :: v_dual_add_f32 v70, v70, v83
	s_delay_alu instid0(TRANS32_DEP_2) | instskip(SKIP_1) | instid1(TRANS32_DEP_1)
	v_cndmask_b32_e64 v88, 0, v71, s9
	v_fma_f32 v71, s19, v104, -v68
	v_cndmask_b32_e64 v87, 0, v69, s7
	s_delay_alu instid0(VALU_DEP_4) | instskip(NEXT) | instid1(VALU_DEP_2)
	v_exp_f32_e32 v77, v77
	v_dual_add_f32 v70, v70, v85 :: v_dual_mul_f32 v71, 0x3fb8aa3b, v71
	s_delay_alu instid0(VALU_DEP_1) | instskip(SKIP_2) | instid1(VALU_DEP_3)
	v_dual_mul_f32 v72, 0x3fb8aa3b, v72 :: v_dual_add_f32 v69, v70, v86
	v_mul_f32_e32 v78, 0x3fb8aa3b, v78
	v_fma_f32 v70, s19, v102, -v68
	v_exp_f32_e32 v72, v72
	v_exp_f32_e32 v82, v71
	v_add_f32_e32 v69, v69, v87
	v_exp_f32_e32 v78, v78
	v_mul_f32_e32 v70, 0x3fb8aa3b, v70
	s_delay_alu instid0(VALU_DEP_1) | instskip(SKIP_4) | instid1(VALU_DEP_2)
	v_exp_f32_e32 v79, v70
	v_cndmask_b32_e64 v70, 0, v72, s10
	s_waitcnt_depctr 0xfff
	v_cndmask_b32_e64 v84, 0, v78, s8
	v_fma_f32 v78, s19, v103, -v68
	v_add_f32_e32 v69, v69, v84
	v_cndmask_b32_e64 v71, 0, v79, s12
	s_delay_alu instid0(VALU_DEP_2) | instskip(SKIP_2) | instid1(VALU_DEP_1)
	v_add_f32_e32 v72, v69, v88
	v_cndmask_b32_e64 v69, 0, v77, s11
	v_fma_f32 v77, s19, v106, -v68
	v_dual_mul_f32 v77, 0x3fb8aa3b, v77 :: v_dual_add_f32 v72, v72, v70
	v_mul_f32_e32 v78, 0x3fb8aa3b, v78
	s_delay_alu instid0(VALU_DEP_2) | instskip(NEXT) | instid1(VALU_DEP_2)
	v_exp_f32_e32 v90, v77
	v_add_f32_e32 v79, v72, v69
	s_delay_alu instid0(VALU_DEP_2)
	v_exp_f32_e32 v78, v78
	v_cndmask_b32_e64 v77, 0, v82, s15
	s_waitcnt_depctr 0xfff
	v_cndmask_b32_e64 v72, 0, v78, s13
	v_add_f32_e32 v78, v79, v71
	v_fma_f32 v79, s19, v107, -v68
	s_delay_alu instid0(VALU_DEP_1) | instskip(SKIP_1) | instid1(VALU_DEP_2)
	v_dual_add_f32 v82, v78, v72 :: v_dual_mul_f32 v79, 0x3fb8aa3b, v79
	v_cndmask_b32_e64 v78, 0, v81, s16
	v_add_f32_e32 v81, v82, v77
	s_delay_alu instid0(VALU_DEP_3) | instskip(SKIP_1) | instid1(VALU_DEP_2)
	v_exp_f32_e32 v82, v79
	v_cndmask_b32_e64 v79, 0, v90, s17
	v_add_f32_e32 v81, v81, v78
	s_delay_alu instid0(VALU_DEP_1) | instskip(SKIP_2) | instid1(VALU_DEP_1)
	v_add_f32_e32 v90, v81, v79
	s_waitcnt_depctr 0xfff
	v_cndmask_b32_e64 v81, 0, v82, s18
	v_add_f32_e32 v82, v90, v81
	ds_bpermute_b32 v89, v89, v82
	s_and_saveexec_b32 s4, s3
	s_cbranch_execz .LBB1492_12
; %bb.11:
	v_mul_u32_u24_e32 v67, 0x44, v66
	s_delay_alu instid0(VALU_DEP_1) | instskip(SKIP_1) | instid1(VALU_DEP_1)
	v_lshl_add_u32 v67, v65, 2, v67
	s_waitcnt lgkmcnt(0)
	v_dual_add_f32 v82, v82, v89 :: v_dual_add_nc_u32 v67, 0x4000, v67
	ds_store_2addr_b32 v67, v68, v82 offset1:136
.LBB1492_12:
	s_or_b32 exec_lo, exec_lo, s4
	v_lshlrev_b32_e32 v67, 2, v65
	s_waitcnt lgkmcnt(0)
	s_barrier
	buffer_gl0_inv
	v_cmp_eq_u32_e32 vcc_lo, 1, v66
	v_add_nc_u32_e32 v82, 0x4000, v67
	v_cmp_eq_u32_e64 s4, 2, v66
	v_cmp_eq_u32_e64 s6, 7, v66
	ds_load_2addr_b32 v[89:90], v82 offset1:17
	ds_load_2addr_b32 v[91:92], v82 offset0:34 offset1:51
	ds_load_2addr_b32 v[93:94], v82 offset0:68 offset1:85
	;; [unrolled: 1-line block ×4, first 2 shown]
	s_waitcnt lgkmcnt(4)
	v_max3_f32 v67, v89, 0xff7fffff, v90
	s_waitcnt lgkmcnt(3)
	s_delay_alu instid0(VALU_DEP_1) | instskip(SKIP_1) | instid1(VALU_DEP_1)
	v_max3_f32 v67, v67, v91, v92
	s_waitcnt lgkmcnt(2)
	v_max3_f32 v67, v67, v93, v94
	s_waitcnt lgkmcnt(1)
	s_delay_alu instid0(VALU_DEP_1) | instskip(NEXT) | instid1(VALU_DEP_1)
	v_max3_f32 v67, v67, v95, v96
	v_sub_f32_e32 v93, v93, v67
	s_delay_alu instid0(VALU_DEP_1) | instskip(NEXT) | instid1(VALU_DEP_1)
	v_dual_sub_f32 v68, v89, v67 :: v_dual_mul_f32 v103, 0x3fb8aa3b, v93
	v_mul_f32_e32 v68, 0x3fb8aa3b, v68
	s_delay_alu instid0(VALU_DEP_1)
	v_exp_f32_e32 v100, v68
	v_sub_f32_e32 v68, v92, v67
	v_sub_f32_e32 v99, v90, v67
	ds_load_2addr_b32 v[89:90], v82 offset0:170 offset1:187
	v_dual_mul_f32 v102, 0x3fb8aa3b, v68 :: v_dual_mul_f32 v99, 0x3fb8aa3b, v99
	s_waitcnt lgkmcnt(1)
	v_fma_f32 v68, v100, v97, 0
	s_delay_alu instid0(VALU_DEP_2) | instskip(NEXT) | instid1(VALU_DEP_2)
	v_exp_f32_e32 v102, v102
	v_exp_f32_e32 v99, v99
	s_waitcnt_depctr 0xfff
	v_fmac_f32_e32 v68, v99, v98
	v_sub_f32_e32 v91, v91, v67
	s_delay_alu instid0(VALU_DEP_1)
	v_mul_f32_e32 v101, 0x3fb8aa3b, v91
	ds_load_2addr_b32 v[91:92], v82 offset0:204 offset1:221
	v_sub_f32_e32 v97, v94, v67
	ds_load_2addr_b32 v[93:94], v82 offset0:238 offset1:255
	s_waitcnt lgkmcnt(0)
	v_exp_f32_e32 v101, v101
	s_barrier
	buffer_gl0_inv
	v_dual_fmac_f32 v68, v101, v89 :: v_dual_sub_f32 v89, v96, v67
	v_dual_sub_f32 v82, v95, v67 :: v_dual_mul_f32 v95, 0x3fb8aa3b, v97
	v_exp_f32_e32 v97, v103
	s_delay_alu instid0(VALU_DEP_2) | instskip(NEXT) | instid1(VALU_DEP_2)
	v_dual_fmac_f32 v68, v102, v90 :: v_dual_mul_f32 v89, 0x3fb8aa3b, v89
	v_mul_f32_e32 v82, 0x3fb8aa3b, v82
	s_delay_alu instid0(VALU_DEP_3) | instskip(NEXT) | instid1(VALU_DEP_2)
	v_exp_f32_e32 v95, v95
	v_exp_f32_e32 v89, v89
	s_delay_alu instid0(VALU_DEP_1)
	v_exp_f32_e32 v82, v82
	v_fmac_f32_e32 v68, v97, v91
	s_delay_alu instid0(TRANS32_DEP_3) | instid1(VALU_DEP_1)
	v_fmac_f32_e32 v68, v95, v92
	s_waitcnt_depctr 0xfff
	v_fmac_f32_e32 v68, v82, v93
	s_delay_alu instid0(VALU_DEP_1) | instskip(NEXT) | instid1(VALU_DEP_1)
	v_fmac_f32_e32 v68, v89, v94
	v_add_f32_e32 v90, 0x358637bd, v68
	s_delay_alu instid0(VALU_DEP_1) | instskip(NEXT) | instid1(VALU_DEP_1)
	v_div_scale_f32 v91, null, v90, v90, 1.0
	v_rcp_f32_e32 v92, v91
	s_waitcnt_depctr 0xfff
	v_fma_f32 v93, -v91, v92, 1.0
	s_delay_alu instid0(VALU_DEP_1) | instskip(SKIP_1) | instid1(VALU_DEP_2)
	v_dual_fmac_f32 v92, v93, v92 :: v_dual_cndmask_b32 v93, v100, v99
	v_cmp_eq_u32_e32 vcc_lo, 3, v66
	v_cndmask_b32_e64 v93, v93, v101, s4
	v_cmp_eq_u32_e64 s4, 4, v66
	s_delay_alu instid0(VALU_DEP_2) | instskip(SKIP_1) | instid1(VALU_DEP_2)
	v_cndmask_b32_e32 v93, v93, v102, vcc_lo
	v_cmp_eq_u32_e32 vcc_lo, 5, v66
	v_cndmask_b32_e64 v93, v93, v97, s4
	v_cmp_eq_u32_e64 s4, 6, v66
	s_delay_alu instid0(VALU_DEP_2) | instskip(SKIP_1) | instid1(VALU_DEP_1)
	v_cndmask_b32_e32 v93, v93, v95, vcc_lo
	v_div_scale_f32 v94, s5, 1.0, v90, 1.0
	s_mov_b32 vcc_lo, s5
	s_delay_alu instid0(VALU_DEP_2) | instskip(NEXT) | instid1(VALU_DEP_2)
	v_cndmask_b32_e64 v82, v93, v82, s4
	v_mul_f32_e32 v96, v94, v92
	s_mov_b32 s4, exec_lo
	s_delay_alu instid0(VALU_DEP_2) | instskip(NEXT) | instid1(VALU_DEP_2)
	v_cndmask_b32_e64 v82, v82, v89, s6
	v_fma_f32 v98, -v91, v96, v94
	s_delay_alu instid0(VALU_DEP_1) | instskip(NEXT) | instid1(VALU_DEP_1)
	v_fmac_f32_e32 v96, v98, v92
	v_fma_f32 v91, -v91, v96, v94
	s_delay_alu instid0(VALU_DEP_1) | instskip(NEXT) | instid1(VALU_DEP_1)
	v_div_fmas_f32 v91, v91, v92, v96
	v_div_fixup_f32 v90, v91, v90, 1.0
	s_delay_alu instid0(VALU_DEP_1) | instskip(NEXT) | instid1(VALU_DEP_1)
	v_mul_f32_e32 v82, v82, v90
	v_mul_f32_e32 v87, v82, v87
	;; [unrolled: 1-line block ×7, first 2 shown]
	v_dual_mul_f32 v86, v82, v83 :: v_dual_and_b32 v91, 0x7f800000, v90
	v_mul_f32_e32 v85, v82, v76
                                        ; implicit-def: $vgpr76
	s_delay_alu instid0(VALU_DEP_2)
	v_cmpx_ne_u32_e32 0x7f800000, v91
	s_xor_b32 s4, exec_lo, s4
; %bb.13:
	v_bfe_u32 v76, v90, 16, 1
	s_delay_alu instid0(VALU_DEP_1)
	v_add3_u32 v76, v90, v76, 0x7fff
                                        ; implicit-def: $vgpr90
; %bb.14:
	s_and_not1_saveexec_b32 s4, s4
; %bb.15:
	v_and_b32_e32 v76, 0xffff, v90
	v_or_b32_e32 v83, 0x10000, v90
	s_delay_alu instid0(VALU_DEP_2) | instskip(NEXT) | instid1(VALU_DEP_2)
	v_cmp_eq_u32_e32 vcc_lo, 0, v76
	v_cndmask_b32_e32 v76, v83, v90, vcc_lo
; %bb.16:
	s_or_b32 exec_lo, exec_lo, s4
	v_and_b32_e32 v83, 0x7f800000, v85
	s_delay_alu instid0(VALU_DEP_1) | instskip(SKIP_1) | instid1(SALU_CYCLE_1)
	v_cmp_ne_u32_e32 vcc_lo, 0x7f800000, v83
                                        ; implicit-def: $vgpr83
	s_and_saveexec_b32 s4, vcc_lo
	s_xor_b32 s4, exec_lo, s4
; %bb.17:
	v_bfe_u32 v83, v85, 16, 1
	s_delay_alu instid0(VALU_DEP_1)
	v_add3_u32 v83, v85, v83, 0x7fff
                                        ; implicit-def: $vgpr85
; %bb.18:
	s_and_not1_saveexec_b32 s4, s4
; %bb.19:
	v_and_b32_e32 v83, 0xffff, v85
	v_or_b32_e32 v90, 0x10000, v85
	s_delay_alu instid0(VALU_DEP_2) | instskip(NEXT) | instid1(VALU_DEP_2)
	v_cmp_eq_u32_e32 vcc_lo, 0, v83
	v_cndmask_b32_e32 v83, v90, v85, vcc_lo
; %bb.20:
	s_or_b32 exec_lo, exec_lo, s4
	v_and_b32_e32 v85, 0x7f800000, v86
	s_delay_alu instid0(VALU_DEP_1) | instskip(SKIP_1) | instid1(SALU_CYCLE_1)
	v_cmp_ne_u32_e32 vcc_lo, 0x7f800000, v85
                                        ; implicit-def: $vgpr85
	s_and_saveexec_b32 s4, vcc_lo
	s_xor_b32 s4, exec_lo, s4
; %bb.21:
	v_bfe_u32 v85, v86, 16, 1
	s_delay_alu instid0(VALU_DEP_1)
	v_add3_u32 v85, v86, v85, 0x7fff
                                        ; implicit-def: $vgpr86
; %bb.22:
	s_and_not1_saveexec_b32 s4, s4
; %bb.23:
	v_and_b32_e32 v85, 0xffff, v86
	v_or_b32_e32 v90, 0x10000, v86
	s_delay_alu instid0(VALU_DEP_2) | instskip(NEXT) | instid1(VALU_DEP_2)
	v_cmp_eq_u32_e32 vcc_lo, 0, v85
	v_cndmask_b32_e32 v85, v90, v86, vcc_lo
; %bb.24:
	s_or_b32 exec_lo, exec_lo, s4
	v_and_b32_e32 v86, 0x7f800000, v89
	s_delay_alu instid0(VALU_DEP_1) | instskip(SKIP_1) | instid1(SALU_CYCLE_1)
	v_cmp_ne_u32_e32 vcc_lo, 0x7f800000, v86
                                        ; implicit-def: $vgpr86
	s_and_saveexec_b32 s4, vcc_lo
	s_xor_b32 s4, exec_lo, s4
; %bb.25:
	v_bfe_u32 v86, v89, 16, 1
	s_delay_alu instid0(VALU_DEP_1)
	v_add3_u32 v86, v89, v86, 0x7fff
                                        ; implicit-def: $vgpr89
; %bb.26:
	s_and_not1_saveexec_b32 s4, s4
; %bb.27:
	v_and_b32_e32 v86, 0xffff, v89
	v_or_b32_e32 v90, 0x10000, v89
	s_delay_alu instid0(VALU_DEP_2) | instskip(NEXT) | instid1(VALU_DEP_2)
	v_cmp_eq_u32_e32 vcc_lo, 0, v86
	v_cndmask_b32_e32 v86, v90, v89, vcc_lo
; %bb.28:
	s_or_b32 exec_lo, exec_lo, s4
	v_and_b32_e32 v89, 0x7f800000, v88
	s_delay_alu instid0(VALU_DEP_1) | instskip(SKIP_1) | instid1(SALU_CYCLE_1)
	v_cmp_ne_u32_e32 vcc_lo, 0x7f800000, v89
                                        ; implicit-def: $vgpr89
	s_and_saveexec_b32 s4, vcc_lo
	s_xor_b32 s4, exec_lo, s4
; %bb.29:
	v_bfe_u32 v89, v88, 16, 1
	s_delay_alu instid0(VALU_DEP_1)
	v_add3_u32 v89, v88, v89, 0x7fff
                                        ; implicit-def: $vgpr88
; %bb.30:
	s_and_not1_saveexec_b32 s4, s4
; %bb.31:
	v_and_b32_e32 v89, 0xffff, v88
	v_or_b32_e32 v90, 0x10000, v88
	s_delay_alu instid0(VALU_DEP_2) | instskip(NEXT) | instid1(VALU_DEP_2)
	v_cmp_eq_u32_e32 vcc_lo, 0, v89
	v_cndmask_b32_e32 v89, v90, v88, vcc_lo
; %bb.32:
	s_or_b32 exec_lo, exec_lo, s4
	v_and_b32_e32 v88, 0x7f800000, v87
	s_delay_alu instid0(VALU_DEP_1) | instskip(SKIP_1) | instid1(SALU_CYCLE_1)
	v_cmp_ne_u32_e32 vcc_lo, 0x7f800000, v88
                                        ; implicit-def: $vgpr88
	s_and_saveexec_b32 s4, vcc_lo
	s_xor_b32 s4, exec_lo, s4
; %bb.33:
	v_bfe_u32 v88, v87, 16, 1
	s_delay_alu instid0(VALU_DEP_1)
	v_add3_u32 v88, v87, v88, 0x7fff
                                        ; implicit-def: $vgpr87
; %bb.34:
	s_and_not1_saveexec_b32 s4, s4
; %bb.35:
	v_and_b32_e32 v88, 0xffff, v87
	v_or_b32_e32 v90, 0x10000, v87
	s_delay_alu instid0(VALU_DEP_2) | instskip(NEXT) | instid1(VALU_DEP_2)
	v_cmp_eq_u32_e32 vcc_lo, 0, v88
	v_cndmask_b32_e32 v88, v90, v87, vcc_lo
; %bb.36:
	s_or_b32 exec_lo, exec_lo, s4
	v_and_b32_e32 v87, 0x7f800000, v84
	s_delay_alu instid0(VALU_DEP_1) | instskip(SKIP_1) | instid1(SALU_CYCLE_1)
	v_cmp_ne_u32_e32 vcc_lo, 0x7f800000, v87
                                        ; implicit-def: $vgpr87
	s_and_saveexec_b32 s4, vcc_lo
	s_xor_b32 s4, exec_lo, s4
; %bb.37:
	v_bfe_u32 v87, v84, 16, 1
	s_delay_alu instid0(VALU_DEP_1)
	v_add3_u32 v87, v84, v87, 0x7fff
                                        ; implicit-def: $vgpr84
; %bb.38:
	s_and_not1_saveexec_b32 s4, s4
; %bb.39:
	v_and_b32_e32 v87, 0xffff, v84
	v_or_b32_e32 v90, 0x10000, v84
	s_delay_alu instid0(VALU_DEP_2) | instskip(NEXT) | instid1(VALU_DEP_2)
	v_cmp_eq_u32_e32 vcc_lo, 0, v87
	v_cndmask_b32_e32 v87, v90, v84, vcc_lo
; %bb.40:
	s_or_b32 exec_lo, exec_lo, s4
	v_and_b32_e32 v84, 0x7f800000, v80
	s_delay_alu instid0(VALU_DEP_1) | instskip(SKIP_1) | instid1(SALU_CYCLE_1)
	v_cmp_ne_u32_e32 vcc_lo, 0x7f800000, v84
                                        ; implicit-def: $vgpr84
	s_and_saveexec_b32 s4, vcc_lo
	s_xor_b32 s4, exec_lo, s4
; %bb.41:
	v_bfe_u32 v84, v80, 16, 1
	s_delay_alu instid0(VALU_DEP_1)
	v_add3_u32 v84, v80, v84, 0x7fff
                                        ; implicit-def: $vgpr80
; %bb.42:
	s_and_not1_saveexec_b32 s4, s4
; %bb.43:
	v_and_b32_e32 v84, 0xffff, v80
	v_or_b32_e32 v90, 0x10000, v80
	s_delay_alu instid0(VALU_DEP_2) | instskip(NEXT) | instid1(VALU_DEP_2)
	v_cmp_eq_u32_e32 vcc_lo, 0, v84
	v_cndmask_b32_e32 v84, v90, v80, vcc_lo
; %bb.44:
	s_or_b32 exec_lo, exec_lo, s4
	s_load_b64 s[36:37], s[0:1], 0x94
	v_lshlrev_b32_e32 v91, 4, v74
	s_delay_alu instid0(VALU_DEP_2)
	v_perm_b32 v90, v84, v87, 0x7060302
	v_dual_mul_f32 v79, v82, v79 :: v_dual_lshlrev_b32 v80, 6, v65
	v_dual_mul_f32 v77, v82, v77 :: v_dual_lshlrev_b32 v92, 11, v66
	v_mul_f32_e32 v84, v82, v70
	v_perm_b32 v89, v88, v89, 0x7060302
	v_perm_b32 v88, v86, v85, 0x7060302
	;; [unrolled: 1-line block ×3, first 2 shown]
	v_mul_f32_e32 v70, v82, v81
	v_or3_b32 v76, v91, v92, v80
	v_dual_mul_f32 v78, v82, v78 :: v_dual_and_b32 v85, 0x7f800000, v84
	v_mul_f32_e32 v83, v82, v72
	v_mul_f32_e32 v81, v82, v71
	;; [unrolled: 1-line block ×3, first 2 shown]
	s_mov_b32 s4, exec_lo
	ds_store_b128 v76, v[87:90]
                                        ; implicit-def: $vgpr69
	v_cmpx_ne_u32_e32 0x7f800000, v85
	s_xor_b32 s4, exec_lo, s4
; %bb.45:
	v_bfe_u32 v69, v84, 16, 1
	s_delay_alu instid0(VALU_DEP_1)
	v_add3_u32 v69, v84, v69, 0x7fff
                                        ; implicit-def: $vgpr84
; %bb.46:
	s_and_not1_saveexec_b32 s4, s4
; %bb.47:
	v_and_b32_e32 v69, 0xffff, v84
	v_or_b32_e32 v71, 0x10000, v84
	s_delay_alu instid0(VALU_DEP_2) | instskip(NEXT) | instid1(VALU_DEP_2)
	v_cmp_eq_u32_e32 vcc_lo, 0, v69
	v_cndmask_b32_e32 v69, v71, v84, vcc_lo
; %bb.48:
	s_or_b32 exec_lo, exec_lo, s4
	v_and_b32_e32 v71, 0x7f800000, v72
	s_delay_alu instid0(VALU_DEP_1) | instskip(SKIP_1) | instid1(SALU_CYCLE_1)
	v_cmp_ne_u32_e32 vcc_lo, 0x7f800000, v71
                                        ; implicit-def: $vgpr71
	s_and_saveexec_b32 s4, vcc_lo
	s_xor_b32 s4, exec_lo, s4
; %bb.49:
	v_bfe_u32 v71, v72, 16, 1
	s_delay_alu instid0(VALU_DEP_1)
	v_add3_u32 v71, v72, v71, 0x7fff
                                        ; implicit-def: $vgpr72
; %bb.50:
	s_and_not1_saveexec_b32 s4, s4
; %bb.51:
	v_and_b32_e32 v71, 0xffff, v72
	v_or_b32_e32 v82, 0x10000, v72
	s_delay_alu instid0(VALU_DEP_2) | instskip(NEXT) | instid1(VALU_DEP_2)
	v_cmp_eq_u32_e32 vcc_lo, 0, v71
	v_cndmask_b32_e32 v71, v82, v72, vcc_lo
; %bb.52:
	s_or_b32 exec_lo, exec_lo, s4
	v_and_b32_e32 v72, 0x7f800000, v81
	s_delay_alu instid0(VALU_DEP_1) | instskip(SKIP_1) | instid1(SALU_CYCLE_1)
	v_cmp_ne_u32_e32 vcc_lo, 0x7f800000, v72
                                        ; implicit-def: $vgpr72
	s_and_saveexec_b32 s4, vcc_lo
	s_xor_b32 s4, exec_lo, s4
; %bb.53:
	v_bfe_u32 v72, v81, 16, 1
	s_delay_alu instid0(VALU_DEP_1)
	v_add3_u32 v72, v81, v72, 0x7fff
                                        ; implicit-def: $vgpr81
; %bb.54:
	s_and_not1_saveexec_b32 s4, s4
; %bb.55:
	v_and_b32_e32 v72, 0xffff, v81
	v_or_b32_e32 v82, 0x10000, v81
	s_delay_alu instid0(VALU_DEP_2) | instskip(NEXT) | instid1(VALU_DEP_2)
	v_cmp_eq_u32_e32 vcc_lo, 0, v72
	v_cndmask_b32_e32 v72, v82, v81, vcc_lo
; %bb.56:
	s_or_b32 exec_lo, exec_lo, s4
	v_and_b32_e32 v81, 0x7f800000, v83
	s_delay_alu instid0(VALU_DEP_1) | instskip(SKIP_1) | instid1(SALU_CYCLE_1)
	v_cmp_ne_u32_e32 vcc_lo, 0x7f800000, v81
                                        ; implicit-def: $vgpr81
	s_and_saveexec_b32 s4, vcc_lo
	s_xor_b32 s4, exec_lo, s4
; %bb.57:
	v_bfe_u32 v81, v83, 16, 1
	s_delay_alu instid0(VALU_DEP_1)
	v_add3_u32 v81, v83, v81, 0x7fff
                                        ; implicit-def: $vgpr83
; %bb.58:
	s_and_not1_saveexec_b32 s4, s4
; %bb.59:
	v_and_b32_e32 v81, 0xffff, v83
	v_or_b32_e32 v82, 0x10000, v83
	s_delay_alu instid0(VALU_DEP_2) | instskip(NEXT) | instid1(VALU_DEP_2)
	v_cmp_eq_u32_e32 vcc_lo, 0, v81
	v_cndmask_b32_e32 v81, v82, v83, vcc_lo
; %bb.60:
	s_or_b32 exec_lo, exec_lo, s4
	v_and_b32_e32 v82, 0x7f800000, v77
	s_delay_alu instid0(VALU_DEP_1) | instskip(SKIP_1) | instid1(SALU_CYCLE_1)
	v_cmp_ne_u32_e32 vcc_lo, 0x7f800000, v82
                                        ; implicit-def: $vgpr82
	s_and_saveexec_b32 s4, vcc_lo
	s_xor_b32 s4, exec_lo, s4
; %bb.61:
	v_bfe_u32 v82, v77, 16, 1
	s_delay_alu instid0(VALU_DEP_1)
	v_add3_u32 v82, v77, v82, 0x7fff
                                        ; implicit-def: $vgpr77
; %bb.62:
	s_and_not1_saveexec_b32 s4, s4
; %bb.63:
	v_and_b32_e32 v82, 0xffff, v77
	v_or_b32_e32 v83, 0x10000, v77
	s_delay_alu instid0(VALU_DEP_2) | instskip(NEXT) | instid1(VALU_DEP_2)
	v_cmp_eq_u32_e32 vcc_lo, 0, v82
	v_cndmask_b32_e32 v82, v83, v77, vcc_lo
; %bb.64:
	s_or_b32 exec_lo, exec_lo, s4
	v_and_b32_e32 v77, 0x7f800000, v78
	s_delay_alu instid0(VALU_DEP_1) | instskip(SKIP_1) | instid1(SALU_CYCLE_1)
	v_cmp_ne_u32_e32 vcc_lo, 0x7f800000, v77
                                        ; implicit-def: $vgpr77
	s_and_saveexec_b32 s4, vcc_lo
	s_xor_b32 s4, exec_lo, s4
; %bb.65:
	v_bfe_u32 v77, v78, 16, 1
	s_delay_alu instid0(VALU_DEP_1)
	v_add3_u32 v77, v78, v77, 0x7fff
                                        ; implicit-def: $vgpr78
; %bb.66:
	s_and_not1_saveexec_b32 s4, s4
; %bb.67:
	v_and_b32_e32 v77, 0xffff, v78
	v_or_b32_e32 v83, 0x10000, v78
	s_delay_alu instid0(VALU_DEP_2) | instskip(NEXT) | instid1(VALU_DEP_2)
	v_cmp_eq_u32_e32 vcc_lo, 0, v77
	v_cndmask_b32_e32 v77, v83, v78, vcc_lo
; %bb.68:
	s_or_b32 exec_lo, exec_lo, s4
	v_and_b32_e32 v78, 0x7f800000, v79
	s_delay_alu instid0(VALU_DEP_1) | instskip(SKIP_1) | instid1(SALU_CYCLE_1)
	v_cmp_ne_u32_e32 vcc_lo, 0x7f800000, v78
                                        ; implicit-def: $vgpr78
	s_and_saveexec_b32 s4, vcc_lo
	s_xor_b32 s4, exec_lo, s4
; %bb.69:
	v_bfe_u32 v78, v79, 16, 1
	s_delay_alu instid0(VALU_DEP_1)
	v_add3_u32 v78, v79, v78, 0x7fff
                                        ; implicit-def: $vgpr79
; %bb.70:
	s_and_not1_saveexec_b32 s4, s4
; %bb.71:
	v_and_b32_e32 v78, 0xffff, v79
	v_or_b32_e32 v83, 0x10000, v79
	s_delay_alu instid0(VALU_DEP_2) | instskip(NEXT) | instid1(VALU_DEP_2)
	v_cmp_eq_u32_e32 vcc_lo, 0, v78
	v_cndmask_b32_e32 v78, v83, v79, vcc_lo
; %bb.72:
	s_or_b32 exec_lo, exec_lo, s4
	v_and_b32_e32 v79, 0x7f800000, v70
	s_delay_alu instid0(VALU_DEP_1) | instskip(SKIP_1) | instid1(SALU_CYCLE_1)
	v_cmp_ne_u32_e32 vcc_lo, 0x7f800000, v79
                                        ; implicit-def: $vgpr79
	s_and_saveexec_b32 s4, vcc_lo
	s_xor_b32 s4, exec_lo, s4
; %bb.73:
	v_bfe_u32 v79, v70, 16, 1
	s_delay_alu instid0(VALU_DEP_1)
	v_add3_u32 v79, v70, v79, 0x7fff
                                        ; implicit-def: $vgpr70
; %bb.74:
	s_and_not1_saveexec_b32 s4, s4
; %bb.75:
	v_and_b32_e32 v79, 0xffff, v70
	v_or_b32_e32 v83, 0x10000, v70
	s_delay_alu instid0(VALU_DEP_2) | instskip(NEXT) | instid1(VALU_DEP_2)
	v_cmp_eq_u32_e32 vcc_lo, 0, v79
	v_cndmask_b32_e32 v79, v83, v70, vcc_lo
; %bb.76:
	s_or_b32 exec_lo, exec_lo, s4
	s_delay_alu instid0(VALU_DEP_1)
	v_perm_b32 v86, v79, v78, 0x7060302
	v_perm_b32 v85, v77, v82, 0x7060302
	;; [unrolled: 1-line block ×4, first 2 shown]
	v_lshl_or_b32 v82, v66, 11, v80
	ds_store_b128 v76, v[83:86] offset:1024
	s_waitcnt lgkmcnt(0)
	s_barrier
	buffer_gl0_inv
	ds_load_b128 v[69:72], v82
	ds_load_b128 v[83:86], v82 offset:16
	s_waitcnt lgkmcnt(1)
	v_lshrrev_b32_e32 v66, 16, v69
	s_waitcnt lgkmcnt(0)
	v_lshrrev_b32_e32 v91, 16, v83
	v_lshlrev_b32_e32 v78, 2, v74
	v_lshrrev_b32_e32 v95, 16, v70
	v_lshrrev_b32_e32 v98, 16, v84
	;; [unrolled: 1-line block ×4, first 2 shown]
	v_cmp_eq_u32_e32 vcc_lo, 1, v78
	v_lshrrev_b32_e32 v97, 16, v72
	v_lshrrev_b32_e32 v100, 16, v86
	v_cndmask_b32_e32 v87, v83, v91, vcc_lo
	v_or_b32_e32 v79, 1, v78
	v_cndmask_b32_e32 v81, v69, v66, vcc_lo
	v_cmp_eq_u32_e64 s5, 2, v78
	v_cmp_eq_u32_e64 s8, 3, v78
	;; [unrolled: 1-line block ×5, first 2 shown]
	v_cndmask_b32_e64 v81, v81, v70, s5
	v_cndmask_b32_e64 v87, v87, v84, s5
	v_cmp_eq_u32_e64 s9, 3, v79
	v_cndmask_b32_e64 v88, v69, v66, s4
	v_or_b32_e32 v77, 2, v78
	v_cndmask_b32_e64 v81, v81, v95, s8
	v_cndmask_b32_e64 v87, v87, v98, s8
	;; [unrolled: 1-line block ×4, first 2 shown]
	v_cmp_eq_u32_e64 s11, 5, v78
	v_cndmask_b32_e64 v81, v81, v71, s10
	v_cndmask_b32_e64 v87, v87, v85, s10
	v_cmp_eq_u32_e64 s12, 4, v79
	v_cndmask_b32_e64 v88, v88, v95, s9
	v_cmp_eq_u32_e64 s6, 1, v77
	v_cndmask_b32_e64 v89, v89, v84, s7
	v_cndmask_b32_e64 v81, v81, v96, s11
	v_cmp_eq_u32_e64 s13, 6, v78
	v_cndmask_b32_e64 v88, v88, v71, s12
	;; [unrolled: 3-line block ×3, first 2 shown]
	v_cndmask_b32_e64 v89, v89, v98, s9
	v_cndmask_b32_e64 v81, v81, v72, s13
	v_cmp_eq_u32_e64 s16, 7, v78
	v_cndmask_b32_e64 v88, v88, v96, s15
	v_cndmask_b32_e64 v87, v87, v86, s13
	v_cmp_eq_u32_e64 s17, 6, v79
	v_cmp_eq_u32_e64 s18, 2, v77
	v_cndmask_b32_e64 v89, v89, v85, s12
	v_cndmask_b32_e64 v101, v81, v97, s16
	;; [unrolled: 1-line block ×6, first 2 shown]
	v_cmp_eq_u32_e64 s19, 7, v79
	v_cmp_eq_u32_e64 s20, 3, v77
	;; [unrolled: 1-line block ×4, first 2 shown]
	v_cndmask_b32_e64 v87, v87, v84, s18
	v_cndmask_b32_e64 v103, v88, v97, s19
	;; [unrolled: 1-line block ×4, first 2 shown]
	v_or_b32_e32 v81, 3, v78
	v_cndmask_b32_e64 v93, v87, v98, s20
	v_cmp_eq_u32_e64 s25, 6, v77
	v_cndmask_b32_e64 v104, v88, v86, s17
	v_cndmask_b32_e64 v92, v89, v71, s21
	v_cmp_eq_u32_e64 s22, 1, v81
	ds_load_b128 v[87:90], v82 offset:1024
	v_cmp_eq_u32_e64 s24, 2, v81
	v_cmp_eq_u32_e64 s26, 3, v81
	v_cndmask_b32_e64 v105, v92, v96, s23
	v_cndmask_b32_e64 v66, v69, v66, s22
	;; [unrolled: 1-line block ×4, first 2 shown]
	ds_load_b128 v[91:94], v82 offset:1040
	v_cmp_eq_u32_e64 s27, 4, v81
	v_cndmask_b32_e64 v66, v66, v70, s24
	v_cmp_eq_u32_e64 s28, 7, v77
	v_cndmask_b32_e64 v70, v83, v84, s24
	v_cndmask_b32_e64 v84, v105, v72, s25
	v_cmp_eq_u32_e64 s29, 5, v81
	v_cndmask_b32_e64 v66, v66, v95, s26
	v_cmp_eq_u32_e64 s30, 6, v81
	v_cndmask_b32_e64 v70, v70, v98, s26
	v_cndmask_b32_e64 v69, v69, v99, s23
	;; [unrolled: 1-line block ×4, first 2 shown]
	s_waitcnt lgkmcnt(1)
	v_lshrrev_b32_e32 v95, 16, v87
	v_cndmask_b32_e64 v70, v70, v85, s27
	v_cndmask_b32_e64 v71, v84, v97, s28
	;; [unrolled: 1-line block ×4, first 2 shown]
	v_cndmask_b32_e32 v84, v87, v95, vcc_lo
	v_cndmask_b32_e64 v70, v70, v99, s29
	s_waitcnt lgkmcnt(0)
	v_lshrrev_b32_e32 v85, 16, v91
	v_lshrrev_b32_e32 v96, 16, v88
	v_cndmask_b32_e64 v98, v87, v95, s4
	v_cndmask_b32_e64 v84, v84, v88, s5
	;; [unrolled: 1-line block ×3, first 2 shown]
	v_cndmask_b32_e32 v99, v91, v85, vcc_lo
	v_cmp_eq_u32_e32 vcc_lo, 7, v81
	v_cndmask_b32_e64 v66, v66, v72, s30
	v_cndmask_b32_e64 v72, v84, v96, s8
	;; [unrolled: 1-line block ×3, first 2 shown]
	v_lshrrev_b32_e32 v98, 16, v92
	v_cndmask_b32_e32 v70, v70, v100, vcc_lo
	v_cndmask_b32_e64 v86, v99, v92, s5
	v_cndmask_b32_e64 v69, v69, v100, s28
	v_lshrrev_b32_e32 v100, 16, v93
	v_cndmask_b32_e64 v72, v72, v89, s10
	v_lshrrev_b32_e32 v99, 16, v89
	v_cndmask_b32_e64 v86, v86, v98, s8
	v_perm_b32 v71, v69, v71, 0x5040100
	v_cndmask_b32_e64 v84, v84, v96, s9
	s_delay_alu instid0(VALU_DEP_3) | instskip(NEXT) | instid1(VALU_DEP_2)
	v_cndmask_b32_e64 v86, v86, v93, s10
	v_cndmask_b32_e64 v84, v84, v89, s12
	s_delay_alu instid0(VALU_DEP_2) | instskip(NEXT) | instid1(VALU_DEP_1)
	v_cndmask_b32_e64 v86, v86, v100, s11
	v_cndmask_b32_e64 v69, v86, v94, s13
	;; [unrolled: 1-line block ×5, first 2 shown]
	s_delay_alu instid0(VALU_DEP_3) | instskip(NEXT) | instid1(VALU_DEP_3)
	v_cndmask_b32_e64 v86, v86, v88, s18
	v_cndmask_b32_e64 v87, v87, v88, s24
	s_delay_alu instid0(VALU_DEP_3) | instskip(NEXT) | instid1(VALU_DEP_3)
	v_cndmask_b32_e64 v88, v95, v92, s24
	v_cndmask_b32_e64 v86, v86, v96, s20
	;; [unrolled: 3-line block ×7, first 2 shown]
	s_delay_alu instid0(VALU_DEP_3) | instskip(SKIP_2) | instid1(VALU_DEP_2)
	v_cndmask_b32_e64 v88, v88, v94, s30
	v_cndmask_b32_e32 v66, v66, v97, vcc_lo
	v_cndmask_b32_e64 v97, v72, v99, s11
	v_perm_b32 v72, v70, v66, 0x5040100
	v_perm_b32 v70, v83, v103, 0x5040100
	v_cndmask_b32_e64 v103, v91, v85, s6
	v_cndmask_b32_e64 v85, v91, v85, s4
	;; [unrolled: 1-line block ×4, first 2 shown]
	v_lshrrev_b32_e32 v97, 16, v90
	v_cndmask_b32_e64 v91, v103, v92, s18
	v_cndmask_b32_e64 v85, v85, v92, s7
	;; [unrolled: 1-line block ×3, first 2 shown]
	s_mov_b32 s4, exec_lo
	v_cndmask_b32_e64 v83, v84, v97, s16
	v_cndmask_b32_e64 v91, v91, v98, s20
	;; [unrolled: 1-line block ×3, first 2 shown]
	v_lshrrev_b32_e32 v84, 16, v94
	v_cndmask_b32_e64 v66, v66, v97, s19
	v_cndmask_b32_e64 v90, v86, v97, s28
	;; [unrolled: 1-line block ×4, first 2 shown]
	v_dual_cndmask_b32 v86, v87, v97 :: v_dual_cndmask_b32 v87, v88, v84
	v_cndmask_b32_e64 v91, v69, v84, s16
	s_delay_alu instid0(VALU_DEP_4) | instskip(NEXT) | instid1(VALU_DEP_4)
	v_cndmask_b32_e64 v89, v89, v100, s23
	v_cndmask_b32_e64 v85, v85, v100, s15
	v_perm_b32 v69, v102, v101, 0x5040100
	v_perm_b32 v86, v87, v86, 0x5040100
	;; [unrolled: 1-line block ×3, first 2 shown]
	v_cndmask_b32_e64 v89, v89, v94, s25
	v_cndmask_b32_e64 v85, v85, v94, s17
	s_mul_i32 s9, s37, 7
	s_delay_alu instid0(VALU_DEP_2) | instskip(NEXT) | instid1(VALU_DEP_2)
	v_cndmask_b32_e64 v88, v89, v84, s28
	v_cndmask_b32_e64 v89, v85, v84, s19
	s_delay_alu instid0(VALU_DEP_2) | instskip(NEXT) | instid1(VALU_DEP_2)
	v_perm_b32 v85, v88, v90, 0x5040100
	v_perm_b32 v84, v89, v66, 0x5040100
	ds_store_b128 v76, v[69:72]
	ds_store_b128 v76, v[83:86] offset:1024
	v_cmpx_gt_u32_e32 7, v0
	s_cbranch_execz .LBB1492_78
; %bb.77:
	s_mul_i32 s5, s9, s34
	s_load_b128 s[16:19], s[0:1], 0x58
	v_add3_u32 v69, s5, s31, v65
	s_delay_alu instid0(VALU_DEP_1) | instskip(NEXT) | instid1(VALU_DEP_1)
	v_mad_u64_u32 v[65:66], null, v69, s36, s[14:15]
	v_ashrrev_i32_e32 v66, 31, v65
	s_delay_alu instid0(VALU_DEP_1) | instskip(SKIP_1) | instid1(VALU_DEP_1)
	v_lshlrev_b64 v[65:66], 2, v[65:66]
	s_waitcnt lgkmcnt(0)
	v_add_co_u32 v69, vcc_lo, s18, v65
	s_delay_alu instid0(VALU_DEP_2)
	v_add_co_ci_u32_e32 v70, vcc_lo, s19, v66, vcc_lo
	v_add_co_u32 v65, vcc_lo, s16, v65
	v_add_co_ci_u32_e32 v66, vcc_lo, s17, v66, vcc_lo
	global_store_b32 v[69:70], v67, off
	global_store_b32 v[65:66], v68, off
.LBB1492_78:
	s_or_b32 exec_lo, exec_lo, s4
	s_waitcnt lgkmcnt(0)
	s_waitcnt_vscnt null, 0x0
	s_barrier
	buffer_gl0_inv
	ds_load_b128 v[83:86], v80
	ds_load_b128 v[87:90], v80 offset:16
	ds_load_b128 v[95:98], v80 offset:2064
	;; [unrolled: 1-line block ×3, first 2 shown]
	v_mov_b32_e32 v65, 0
	ds_load_b128 v[103:106], v80 offset:4112
	ds_load_b128 v[99:102], v80 offset:4096
	;; [unrolled: 1-line block ×4, first 2 shown]
	v_mov_b32_e32 v66, v65
	v_mov_b32_e32 v67, v65
	;; [unrolled: 1-line block ×7, first 2 shown]
	s_waitcnt lgkmcnt(6)
	s_delay_alu instid0(VALU_DEP_1)
	v_wmma_f32_16x16x16_bf16 v[65:72], v[57:64], v[83:90], v[65:72]
	ds_load_b128 v[61:64], v80 offset:8208
	ds_load_b128 v[57:60], v80 offset:8192
	s_waitcnt lgkmcnt(6)
	v_wmma_f32_16x16x16_bf16 v[65:72], v[41:48], v[91:98], v[65:72]
	ds_load_b128 v[45:48], v80 offset:10256
	ds_load_b128 v[41:44], v80 offset:10240
	s_waitcnt lgkmcnt(6)
	;; [unrolled: 4-line block ×4, first 2 shown]
	v_wmma_f32_16x16x16_bf16 v[65:72], v[1:8], v[57:64], v[65:72]
	s_waitcnt lgkmcnt(4)
	s_delay_alu instid0(VALU_DEP_1) | instskip(SKIP_1) | instid1(VALU_DEP_1)
	v_wmma_f32_16x16x16_bf16 v[65:72], v[9:16], v[41:48], v[65:72]
	s_waitcnt lgkmcnt(2)
	v_wmma_f32_16x16x16_bf16 v[65:72], v[17:24], v[33:40], v[65:72]
	s_waitcnt lgkmcnt(0)
	s_delay_alu instid0(VALU_DEP_1) | instskip(NEXT) | instid1(VALU_DEP_1)
	v_wmma_f32_16x16x16_bf16 v[65:72], v[49:56], v[25:32], v[65:72]
	v_and_b32_e32 v1, 0x7f800000, v65
	s_delay_alu instid0(VALU_DEP_1) | instskip(SKIP_1) | instid1(SALU_CYCLE_1)
	v_cmp_ne_u32_e32 vcc_lo, 0x7f800000, v1
                                        ; implicit-def: $vgpr1
	s_and_saveexec_b32 s4, vcc_lo
	s_xor_b32 s4, exec_lo, s4
; %bb.79:
	v_bfe_u32 v1, v65, 16, 1
	s_delay_alu instid0(VALU_DEP_1)
	v_add3_u32 v1, v65, v1, 0x7fff
; %bb.80:
	s_and_not1_saveexec_b32 s4, s4
; %bb.81:
	v_and_b32_e32 v1, 0xffff, v65
	v_or_b32_e32 v2, 0x10000, v65
	s_delay_alu instid0(VALU_DEP_2) | instskip(NEXT) | instid1(VALU_DEP_2)
	v_cmp_eq_u32_e32 vcc_lo, 0, v1
	v_cndmask_b32_e32 v1, v2, v65, vcc_lo
; %bb.82:
	s_or_b32 exec_lo, exec_lo, s4
	v_and_b32_e32 v2, 0x7f800000, v66
	s_delay_alu instid0(VALU_DEP_1) | instskip(SKIP_1) | instid1(SALU_CYCLE_1)
	v_cmp_ne_u32_e32 vcc_lo, 0x7f800000, v2
                                        ; implicit-def: $vgpr2
	s_and_saveexec_b32 s4, vcc_lo
	s_xor_b32 s4, exec_lo, s4
; %bb.83:
	v_bfe_u32 v2, v66, 16, 1
	s_delay_alu instid0(VALU_DEP_1)
	v_add3_u32 v2, v66, v2, 0x7fff
; %bb.84:
	s_and_not1_saveexec_b32 s4, s4
; %bb.85:
	v_and_b32_e32 v2, 0xffff, v66
	v_or_b32_e32 v3, 0x10000, v66
	s_delay_alu instid0(VALU_DEP_2) | instskip(NEXT) | instid1(VALU_DEP_2)
	v_cmp_eq_u32_e32 vcc_lo, 0, v2
	v_cndmask_b32_e32 v2, v3, v66, vcc_lo
; %bb.86:
	s_or_b32 exec_lo, exec_lo, s4
	v_and_b32_e32 v3, 0x7f800000, v67
	s_delay_alu instid0(VALU_DEP_1) | instskip(SKIP_1) | instid1(SALU_CYCLE_1)
	v_cmp_ne_u32_e32 vcc_lo, 0x7f800000, v3
                                        ; implicit-def: $vgpr3
	s_and_saveexec_b32 s4, vcc_lo
	s_xor_b32 s4, exec_lo, s4
; %bb.87:
	v_bfe_u32 v3, v67, 16, 1
	s_delay_alu instid0(VALU_DEP_1)
	v_add3_u32 v3, v67, v3, 0x7fff
; %bb.88:
	s_and_not1_saveexec_b32 s4, s4
; %bb.89:
	v_and_b32_e32 v3, 0xffff, v67
	v_or_b32_e32 v4, 0x10000, v67
	s_delay_alu instid0(VALU_DEP_2) | instskip(NEXT) | instid1(VALU_DEP_2)
	v_cmp_eq_u32_e32 vcc_lo, 0, v3
	v_cndmask_b32_e32 v3, v4, v67, vcc_lo
; %bb.90:
	s_or_b32 exec_lo, exec_lo, s4
	v_and_b32_e32 v4, 0x7f800000, v68
	s_delay_alu instid0(VALU_DEP_1) | instskip(SKIP_1) | instid1(SALU_CYCLE_1)
	v_cmp_ne_u32_e32 vcc_lo, 0x7f800000, v4
                                        ; implicit-def: $vgpr4
	s_and_saveexec_b32 s4, vcc_lo
	s_xor_b32 s4, exec_lo, s4
; %bb.91:
	v_bfe_u32 v4, v68, 16, 1
	s_delay_alu instid0(VALU_DEP_1)
	v_add3_u32 v4, v68, v4, 0x7fff
; %bb.92:
	s_and_not1_saveexec_b32 s4, s4
; %bb.93:
	v_and_b32_e32 v4, 0xffff, v68
	v_or_b32_e32 v5, 0x10000, v68
	s_delay_alu instid0(VALU_DEP_2) | instskip(NEXT) | instid1(VALU_DEP_2)
	v_cmp_eq_u32_e32 vcc_lo, 0, v4
	v_cndmask_b32_e32 v4, v5, v68, vcc_lo
; %bb.94:
	s_or_b32 exec_lo, exec_lo, s4
	v_and_b32_e32 v5, 0x7f800000, v69
	s_delay_alu instid0(VALU_DEP_1) | instskip(SKIP_1) | instid1(SALU_CYCLE_1)
	v_cmp_ne_u32_e32 vcc_lo, 0x7f800000, v5
                                        ; implicit-def: $vgpr5
	s_and_saveexec_b32 s4, vcc_lo
	s_xor_b32 s4, exec_lo, s4
; %bb.95:
	v_bfe_u32 v5, v69, 16, 1
	s_delay_alu instid0(VALU_DEP_1)
	v_add3_u32 v5, v69, v5, 0x7fff
; %bb.96:
	s_and_not1_saveexec_b32 s4, s4
; %bb.97:
	v_and_b32_e32 v5, 0xffff, v69
	v_or_b32_e32 v6, 0x10000, v69
	s_delay_alu instid0(VALU_DEP_2) | instskip(NEXT) | instid1(VALU_DEP_2)
	v_cmp_eq_u32_e32 vcc_lo, 0, v5
	v_cndmask_b32_e32 v5, v6, v69, vcc_lo
; %bb.98:
	s_or_b32 exec_lo, exec_lo, s4
	v_and_b32_e32 v6, 0x7f800000, v70
	s_delay_alu instid0(VALU_DEP_1) | instskip(SKIP_1) | instid1(SALU_CYCLE_1)
	v_cmp_ne_u32_e32 vcc_lo, 0x7f800000, v6
                                        ; implicit-def: $vgpr6
	s_and_saveexec_b32 s4, vcc_lo
	s_xor_b32 s4, exec_lo, s4
; %bb.99:
	v_bfe_u32 v6, v70, 16, 1
	s_delay_alu instid0(VALU_DEP_1)
	v_add3_u32 v6, v70, v6, 0x7fff
; %bb.100:
	s_and_not1_saveexec_b32 s4, s4
; %bb.101:
	v_and_b32_e32 v6, 0xffff, v70
	v_or_b32_e32 v7, 0x10000, v70
	s_delay_alu instid0(VALU_DEP_2) | instskip(NEXT) | instid1(VALU_DEP_2)
	v_cmp_eq_u32_e32 vcc_lo, 0, v6
	v_cndmask_b32_e32 v6, v7, v70, vcc_lo
; %bb.102:
	s_or_b32 exec_lo, exec_lo, s4
	v_and_b32_e32 v7, 0x7f800000, v71
	s_delay_alu instid0(VALU_DEP_1) | instskip(SKIP_1) | instid1(SALU_CYCLE_1)
	v_cmp_ne_u32_e32 vcc_lo, 0x7f800000, v7
                                        ; implicit-def: $vgpr7
	s_and_saveexec_b32 s4, vcc_lo
	s_xor_b32 s4, exec_lo, s4
; %bb.103:
	v_bfe_u32 v7, v71, 16, 1
	s_delay_alu instid0(VALU_DEP_1)
	v_add3_u32 v7, v71, v7, 0x7fff
; %bb.104:
	s_and_not1_saveexec_b32 s4, s4
; %bb.105:
	v_and_b32_e32 v7, 0xffff, v71
	v_or_b32_e32 v8, 0x10000, v71
	s_delay_alu instid0(VALU_DEP_2) | instskip(NEXT) | instid1(VALU_DEP_2)
	v_cmp_eq_u32_e32 vcc_lo, 0, v7
	v_cndmask_b32_e32 v7, v8, v71, vcc_lo
; %bb.106:
	s_or_b32 exec_lo, exec_lo, s4
	v_and_b32_e32 v8, 0x7f800000, v72
	s_delay_alu instid0(VALU_DEP_1) | instskip(SKIP_1) | instid1(SALU_CYCLE_1)
	v_cmp_ne_u32_e32 vcc_lo, 0x7f800000, v8
                                        ; implicit-def: $vgpr8
	s_and_saveexec_b32 s4, vcc_lo
	s_xor_b32 s4, exec_lo, s4
; %bb.107:
	v_bfe_u32 v8, v72, 16, 1
	s_delay_alu instid0(VALU_DEP_1)
	v_add3_u32 v8, v72, v8, 0x7fff
                                        ; implicit-def: $vgpr65_vgpr66_vgpr67_vgpr68_vgpr69_vgpr70_vgpr71_vgpr72
; %bb.108:
	s_and_not1_saveexec_b32 s4, s4
; %bb.109:
	v_and_b32_e32 v8, 0xffff, v72
	v_or_b32_e32 v9, 0x10000, v72
	s_delay_alu instid0(VALU_DEP_2) | instskip(NEXT) | instid1(VALU_DEP_2)
	v_cmp_eq_u32_e32 vcc_lo, 0, v8
	v_cndmask_b32_e32 v8, v9, v72, vcc_lo
; %bb.110:
	s_or_b32 exec_lo, exec_lo, s4
	s_delay_alu instid0(VALU_DEP_1)
	v_perm_b32 v7, v8, v7, 0x7060302
	v_perm_b32 v6, v6, v5, 0x7060302
	;; [unrolled: 1-line block ×4, first 2 shown]
	s_barrier
	buffer_gl0_inv
	v_cmp_eq_u32_e32 vcc_lo, 1, v78
	ds_store_b128 v76, v[4:7]
	s_waitcnt lgkmcnt(0)
	s_barrier
	buffer_gl0_inv
	ds_load_b128 v[1:4], v82
	ds_load_b128 v[5:8], v82 offset:16
	v_cmp_eq_u32_e64 s4, 1, v79
	v_cmp_eq_u32_e64 s5, 2, v78
	;; [unrolled: 1-line block ×5, first 2 shown]
	s_waitcnt lgkmcnt(1)
	v_lshrrev_b32_e32 v9, 16, v1
	s_waitcnt lgkmcnt(0)
	v_lshrrev_b32_e32 v13, 16, v5
	v_lshrrev_b32_e32 v10, 16, v2
	;; [unrolled: 1-line block ×4, first 2 shown]
	v_cndmask_b32_e64 v19, v1, v9, s4
	v_cndmask_b32_e32 v18, v5, v13, vcc_lo
	v_cndmask_b32_e64 v20, v5, v13, s4
	v_cndmask_b32_e32 v17, v1, v9, vcc_lo
	v_cmp_eq_u32_e32 vcc_lo, 2, v79
	v_lshrrev_b32_e32 v15, 16, v7
	v_cmp_eq_u32_e64 s4, 1, v77
	v_lshrrev_b32_e32 v12, 16, v4
	v_lshrrev_b32_e32 v16, 16, v8
	v_cndmask_b32_e32 v20, v20, v6, vcc_lo
	v_cndmask_b32_e64 v17, v17, v2, s5
	v_cndmask_b32_e32 v19, v19, v2, vcc_lo
	v_cndmask_b32_e64 v18, v18, v6, s5
	v_cmp_eq_u32_e32 vcc_lo, 4, v78
	v_cmp_eq_u32_e64 s5, 3, v79
	v_cndmask_b32_e64 v17, v17, v10, s6
	v_cndmask_b32_e64 v21, v1, v9, s4
	;; [unrolled: 1-line block ×5, first 2 shown]
	v_cndmask_b32_e32 v17, v17, v3, vcc_lo
	v_cndmask_b32_e64 v20, v20, v14, s5
	v_cndmask_b32_e32 v18, v18, v7, vcc_lo
	v_cmp_eq_u32_e32 vcc_lo, 4, v79
	v_cmp_eq_u32_e64 s5, 5, v79
	v_cmp_eq_u32_e64 s4, 2, v81
	v_cndmask_b32_e64 v21, v21, v2, s8
	v_cmp_eq_u32_e64 s6, 5, v78
	v_cndmask_b32_e32 v19, v19, v3, vcc_lo
	v_cndmask_b32_e32 v20, v20, v7, vcc_lo
	v_cmp_eq_u32_e32 vcc_lo, 6, v79
	s_delay_alu instid0(VALU_DEP_4) | instskip(NEXT) | instid1(VALU_DEP_4)
	v_cndmask_b32_e64 v17, v17, v11, s6
	v_cndmask_b32_e64 v19, v19, v11, s5
	s_delay_alu instid0(VALU_DEP_4) | instskip(SKIP_1) | instid1(VALU_DEP_3)
	v_cndmask_b32_e64 v20, v20, v15, s5
	v_cmp_eq_u32_e64 s5, 1, v81
	v_cndmask_b32_e32 v19, v19, v4, vcc_lo
	v_cndmask_b32_e64 v18, v18, v15, s6
	s_delay_alu instid0(VALU_DEP_3)
	v_cndmask_b32_e64 v1, v1, v9, s5
	v_cndmask_b32_e64 v5, v5, v13, s5
	v_cmp_eq_u32_e64 s5, 3, v77
	v_cndmask_b32_e64 v13, v22, v6, s8
	v_cmp_eq_u32_e64 s8, 3, v81
	v_cndmask_b32_e64 v1, v1, v2, s4
	v_cndmask_b32_e64 v2, v5, v6, s4
	;; [unrolled: 1-line block ×3, first 2 shown]
	v_cmp_eq_u32_e64 s4, 4, v77
	v_cndmask_b32_e64 v6, v13, v14, s5
	v_cndmask_b32_e64 v1, v1, v10, s8
	v_cmp_eq_u32_e64 s5, 4, v81
	v_cndmask_b32_e64 v2, v2, v14, s8
	v_cndmask_b32_e64 v5, v9, v3, s4
	;; [unrolled: 3-line block ×3, first 2 shown]
	v_cndmask_b32_e64 v2, v2, v7, s5
	v_cmp_eq_u32_e64 s4, 5, v81
	v_cmp_eq_u32_e64 s6, 6, v78
	v_cndmask_b32_e64 v5, v5, v11, s8
	v_cmp_eq_u32_e64 s5, 6, v77
	v_cndmask_b32_e64 v3, v6, v15, s8
	v_cndmask_b32_e64 v1, v1, v11, s4
	v_cmp_eq_u32_e64 s8, 6, v81
	v_cndmask_b32_e64 v2, v2, v15, s4
	v_cndmask_b32_e64 v17, v17, v4, s6
	v_cndmask_b32_e64 v18, v18, v8, s6
	v_cmp_eq_u32_e64 s6, 7, v78
	v_cndmask_b32_e64 v5, v5, v4, s5
	;; [unrolled: 4-line block ×3, first 2 shown]
	v_cmp_eq_u32_e64 s5, 7, v77
	v_cndmask_b32_e32 v4, v20, v8, vcc_lo
	v_cndmask_b32_e64 v17, v17, v12, s6
	v_cndmask_b32_e64 v19, v19, v12, s7
	v_cndmask_b32_e64 v1, v1, v12, s4
	v_cndmask_b32_e64 v5, v5, v12, s5
	v_cndmask_b32_e64 v2, v2, v16, s4
	v_cndmask_b32_e64 v3, v3, v16, s5
	v_cndmask_b32_e64 v6, v4, v16, s7
	v_cndmask_b32_e64 v7, v18, v16, s6
	v_cmp_gt_u32_e32 vcc_lo, 32, v0
	v_perm_b32 v4, v2, v1, 0x5040100
	v_perm_b32 v3, v3, v5, 0x5040100
	v_perm_b32 v2, v6, v19, 0x5040100
	v_perm_b32 v1, v7, v17, 0x5040100
	s_and_b32 s2, vcc_lo, s2
	ds_store_b128 v76, v[1:4]
	s_waitcnt lgkmcnt(0)
	s_barrier
	buffer_gl0_inv
	s_and_saveexec_b32 s4, s2
	s_cbranch_execz .LBB1492_2
; %bb.111:
	s_load_b64 s[4:5], s[0:1], 0x68
	v_lshlrev_b32_e32 v0, 10, v0
	v_add_nc_u32_e32 v2, s31, v74
	v_lshlrev_b32_e32 v3, 4, v75
	s_lshl_b32 s0, s36, 6
	s_delay_alu instid0(SALU_CYCLE_1) | instskip(NEXT) | instid1(VALU_DEP_2)
	s_mul_i32 s1, s0, s34
	v_mul_lo_u32 v1, v2, s0
	s_delay_alu instid0(VALU_DEP_2)
	v_and_or_b32 v0, 0x3800, v0, v3
	v_add_nc_u32_e32 v3, 2, v2
	s_mul_i32 s6, s1, s9
	v_add_nc_u32_e32 v4, 4, v2
	s_ashr_i32 s7, s6, 31
	v_lshl_or_b32 v11, v74, 6, v0
	s_lshl_b64 s[6:7], s[6:7], 1
	v_mul_lo_u32 v15, v3, s0
	v_mul_lo_u32 v17, v4, s0
	v_ashrrev_i32_e32 v2, 31, v1
	ds_load_b128 v[3:6], v11
	ds_load_b128 v[7:10], v11 offset:128
	ds_load_b128 v[11:14], v11 offset:256
	s_waitcnt lgkmcnt(0)
	s_add_u32 s1, s4, s6
	s_addc_u32 s2, s5, s7
	s_lshl_b32 s4, s14, 6
	v_ashrrev_i32_e32 v16, 31, v15
	s_ashr_i32 s5, s4, 31
	v_lshlrev_b64 v[19:20], 1, v[1:2]
	s_lshl_b64 s[4:5], s[4:5], 1
	v_ashrrev_i32_e32 v18, 31, v17
	s_add_u32 s1, s1, s4
	s_addc_u32 s2, s2, s5
	v_add_co_u32 v1, s1, s1, v73
	s_delay_alu instid0(VALU_DEP_1) | instskip(SKIP_1) | instid1(VALU_DEP_3)
	v_add_co_ci_u32_e64 v2, null, s2, 0, s1
	v_lshlrev_b64 v[15:16], 1, v[15:16]
	v_add_co_u32 v19, vcc_lo, v1, v19
	v_lshlrev_b64 v[17:18], 1, v[17:18]
	s_delay_alu instid0(VALU_DEP_4) | instskip(NEXT) | instid1(VALU_DEP_4)
	v_add_co_ci_u32_e32 v20, vcc_lo, v2, v20, vcc_lo
	v_add_co_u32 v15, vcc_lo, v1, v15
	v_add_co_ci_u32_e32 v16, vcc_lo, v2, v16, vcc_lo
	s_delay_alu instid0(VALU_DEP_4)
	v_add_co_u32 v17, vcc_lo, v1, v17
	v_add_co_ci_u32_e32 v18, vcc_lo, v2, v18, vcc_lo
	s_clause 0x2
	global_store_b128 v[19:20], v[3:6], off
	global_store_b128 v[15:16], v[7:10], off
	;; [unrolled: 1-line block ×3, first 2 shown]
	s_and_b32 exec_lo, exec_lo, s3
	s_cbranch_execz .LBB1492_2
; %bb.112:
	ds_load_b128 v[3:6], v0 offset:384
	s_add_i32 s1, s31, 6
	s_delay_alu instid0(SALU_CYCLE_1) | instskip(NEXT) | instid1(SALU_CYCLE_1)
	s_mul_i32 s0, s1, s0
	s_ashr_i32 s1, s0, 31
	s_delay_alu instid0(SALU_CYCLE_1) | instskip(NEXT) | instid1(SALU_CYCLE_1)
	s_lshl_b64 s[0:1], s[0:1], 1
	v_add_co_u32 v0, vcc_lo, v1, s0
	v_add_co_ci_u32_e32 v1, vcc_lo, s1, v2, vcc_lo
	s_waitcnt lgkmcnt(0)
	global_store_b128 v[0:1], v[3:6], off
	s_nop 0
	s_sendmsg sendmsg(MSG_DEALLOC_VGPRS)
	s_endpgm
	.section	.rodata,"a",@progbits
	.p2align	6, 0x0
	.amdhsa_kernel _Z39paged_attention_ll4mi_QKV_mfma16_kernelI14__hip_bfloat16hLN4vllm18Fp8KVCacheDataTypeE1ES0_Li32ELi64ELi256ELb0ELi7EL8MFMAType1EEvPKT_PKT0_S9_ifPKiSB_SB_iPKfiiiPfSE_PS4_PT2_iSD_SD_
		.amdhsa_group_segment_fixed_size 17472
		.amdhsa_private_segment_fixed_size 0
		.amdhsa_kernarg_size 400
		.amdhsa_user_sgpr_count 13
		.amdhsa_user_sgpr_dispatch_ptr 0
		.amdhsa_user_sgpr_queue_ptr 0
		.amdhsa_user_sgpr_kernarg_segment_ptr 1
		.amdhsa_user_sgpr_dispatch_id 0
		.amdhsa_user_sgpr_private_segment_size 0
		.amdhsa_wavefront_size32 1
		.amdhsa_uses_dynamic_stack 0
		.amdhsa_enable_private_segment 0
		.amdhsa_system_sgpr_workgroup_id_x 1
		.amdhsa_system_sgpr_workgroup_id_y 1
		.amdhsa_system_sgpr_workgroup_id_z 1
		.amdhsa_system_sgpr_workgroup_info 0
		.amdhsa_system_vgpr_workitem_id 0
		.amdhsa_next_free_vgpr 124
		.amdhsa_next_free_sgpr 42
		.amdhsa_reserve_vcc 1
		.amdhsa_float_round_mode_32 0
		.amdhsa_float_round_mode_16_64 0
		.amdhsa_float_denorm_mode_32 3
		.amdhsa_float_denorm_mode_16_64 3
		.amdhsa_dx10_clamp 1
		.amdhsa_ieee_mode 1
		.amdhsa_fp16_overflow 0
		.amdhsa_workgroup_processor_mode 1
		.amdhsa_memory_ordered 1
		.amdhsa_forward_progress 0
		.amdhsa_shared_vgpr_count 0
		.amdhsa_exception_fp_ieee_invalid_op 0
		.amdhsa_exception_fp_denorm_src 0
		.amdhsa_exception_fp_ieee_div_zero 0
		.amdhsa_exception_fp_ieee_overflow 0
		.amdhsa_exception_fp_ieee_underflow 0
		.amdhsa_exception_fp_ieee_inexact 0
		.amdhsa_exception_int_div_zero 0
	.end_amdhsa_kernel
	.section	.text._Z39paged_attention_ll4mi_QKV_mfma16_kernelI14__hip_bfloat16hLN4vllm18Fp8KVCacheDataTypeE1ES0_Li32ELi64ELi256ELb0ELi7EL8MFMAType1EEvPKT_PKT0_S9_ifPKiSB_SB_iPKfiiiPfSE_PS4_PT2_iSD_SD_,"axG",@progbits,_Z39paged_attention_ll4mi_QKV_mfma16_kernelI14__hip_bfloat16hLN4vllm18Fp8KVCacheDataTypeE1ES0_Li32ELi64ELi256ELb0ELi7EL8MFMAType1EEvPKT_PKT0_S9_ifPKiSB_SB_iPKfiiiPfSE_PS4_PT2_iSD_SD_,comdat
.Lfunc_end1492:
	.size	_Z39paged_attention_ll4mi_QKV_mfma16_kernelI14__hip_bfloat16hLN4vllm18Fp8KVCacheDataTypeE1ES0_Li32ELi64ELi256ELb0ELi7EL8MFMAType1EEvPKT_PKT0_S9_ifPKiSB_SB_iPKfiiiPfSE_PS4_PT2_iSD_SD_, .Lfunc_end1492-_Z39paged_attention_ll4mi_QKV_mfma16_kernelI14__hip_bfloat16hLN4vllm18Fp8KVCacheDataTypeE1ES0_Li32ELi64ELi256ELb0ELi7EL8MFMAType1EEvPKT_PKT0_S9_ifPKiSB_SB_iPKfiiiPfSE_PS4_PT2_iSD_SD_
                                        ; -- End function
	.section	.AMDGPU.csdata,"",@progbits
; Kernel info:
; codeLenInByte = 8828
; NumSgprs: 44
; NumVgprs: 124
; ScratchSize: 0
; MemoryBound: 0
; FloatMode: 240
; IeeeMode: 1
; LDSByteSize: 17472 bytes/workgroup (compile time only)
; SGPRBlocks: 5
; VGPRBlocks: 15
; NumSGPRsForWavesPerEU: 44
; NumVGPRsForWavesPerEU: 124
; Occupancy: 10
; WaveLimiterHint : 1
; COMPUTE_PGM_RSRC2:SCRATCH_EN: 0
; COMPUTE_PGM_RSRC2:USER_SGPR: 13
; COMPUTE_PGM_RSRC2:TRAP_HANDLER: 0
; COMPUTE_PGM_RSRC2:TGID_X_EN: 1
; COMPUTE_PGM_RSRC2:TGID_Y_EN: 1
; COMPUTE_PGM_RSRC2:TGID_Z_EN: 1
; COMPUTE_PGM_RSRC2:TIDIG_COMP_CNT: 0
	.section	.text._Z39paged_attention_ll4mi_QKV_mfma16_kernelI14__hip_bfloat16hLN4vllm18Fp8KVCacheDataTypeE1ES0_Li32ELi64ELi256ELb0ELi8EL8MFMAType1EEvPKT_PKT0_S9_ifPKiSB_SB_iPKfiiiPfSE_PS4_PT2_iSD_SD_,"axG",@progbits,_Z39paged_attention_ll4mi_QKV_mfma16_kernelI14__hip_bfloat16hLN4vllm18Fp8KVCacheDataTypeE1ES0_Li32ELi64ELi256ELb0ELi8EL8MFMAType1EEvPKT_PKT0_S9_ifPKiSB_SB_iPKfiiiPfSE_PS4_PT2_iSD_SD_,comdat
	.protected	_Z39paged_attention_ll4mi_QKV_mfma16_kernelI14__hip_bfloat16hLN4vllm18Fp8KVCacheDataTypeE1ES0_Li32ELi64ELi256ELb0ELi8EL8MFMAType1EEvPKT_PKT0_S9_ifPKiSB_SB_iPKfiiiPfSE_PS4_PT2_iSD_SD_ ; -- Begin function _Z39paged_attention_ll4mi_QKV_mfma16_kernelI14__hip_bfloat16hLN4vllm18Fp8KVCacheDataTypeE1ES0_Li32ELi64ELi256ELb0ELi8EL8MFMAType1EEvPKT_PKT0_S9_ifPKiSB_SB_iPKfiiiPfSE_PS4_PT2_iSD_SD_
	.globl	_Z39paged_attention_ll4mi_QKV_mfma16_kernelI14__hip_bfloat16hLN4vllm18Fp8KVCacheDataTypeE1ES0_Li32ELi64ELi256ELb0ELi8EL8MFMAType1EEvPKT_PKT0_S9_ifPKiSB_SB_iPKfiiiPfSE_PS4_PT2_iSD_SD_
	.p2align	8
	.type	_Z39paged_attention_ll4mi_QKV_mfma16_kernelI14__hip_bfloat16hLN4vllm18Fp8KVCacheDataTypeE1ES0_Li32ELi64ELi256ELb0ELi8EL8MFMAType1EEvPKT_PKT0_S9_ifPKiSB_SB_iPKfiiiPfSE_PS4_PT2_iSD_SD_,@function
_Z39paged_attention_ll4mi_QKV_mfma16_kernelI14__hip_bfloat16hLN4vllm18Fp8KVCacheDataTypeE1ES0_Li32ELi64ELi256ELb0ELi8EL8MFMAType1EEvPKT_PKT0_S9_ifPKiSB_SB_iPKfiiiPfSE_PS4_PT2_iSD_SD_: ; @_Z39paged_attention_ll4mi_QKV_mfma16_kernelI14__hip_bfloat16hLN4vllm18Fp8KVCacheDataTypeE1ES0_Li32ELi64ELi256ELb0ELi8EL8MFMAType1EEvPKT_PKT0_S9_ifPKiSB_SB_iPKfiiiPfSE_PS4_PT2_iSD_SD_
; %bb.0:
	s_load_b64 s[2:3], s[0:1], 0x30
	s_mov_b32 s30, s13
	s_waitcnt lgkmcnt(0)
	s_cmp_lg_u64 s[2:3], 0
	s_cselect_b32 s8, -1, 0
	s_ashr_i32 s31, s13, 31
	s_cmp_eq_u64 s[2:3], 0
	s_cbranch_scc1 .LBB1493_3
; %bb.1:
	s_lshl_b64 s[4:5], s[30:31], 2
	s_delay_alu instid0(SALU_CYCLE_1) | instskip(SKIP_4) | instid1(SALU_CYCLE_1)
	s_add_u32 s4, s2, s4
	s_addc_u32 s5, s3, s5
	s_load_b64 s[4:5], s[4:5], 0x0
	s_waitcnt lgkmcnt(0)
	s_sub_i32 s4, s5, s4
	s_cmp_eq_u32 s4, 1
	s_cselect_b32 s4, -1, 0
	s_delay_alu instid0(SALU_CYCLE_1)
	s_and_not1_b32 vcc_lo, exec_lo, s4
	s_cbranch_vccz .LBB1493_4
.LBB1493_2:
	s_endpgm
.LBB1493_3:
.LBB1493_4:
	s_load_b64 s[4:5], s[0:1], 0x28
	s_lshl_b64 s[6:7], s[30:31], 2
	s_waitcnt lgkmcnt(0)
	s_add_u32 s4, s4, s6
	s_addc_u32 s5, s5, s7
	s_lshl_b32 s12, s14, 8
	s_load_b32 s24, s[4:5], 0x0
	s_waitcnt lgkmcnt(0)
	s_cmp_ge_i32 s12, s24
	s_cbranch_scc1 .LBB1493_2
; %bb.5:
	s_clause 0x1
	s_load_b128 s[20:23], s[0:1], 0x8
	s_load_b64 s[4:5], s[0:1], 0x20
	s_and_not1_b32 vcc_lo, exec_lo, s8
	s_cbranch_vccnz .LBB1493_7
; %bb.6:
	s_add_u32 s2, s2, s6
	s_addc_u32 s3, s3, s7
	s_load_b32 s3, s[2:3], 0x0
	s_branch .LBB1493_8
.LBB1493_7:
	s_mov_b32 s3, s30
.LBB1493_8:
	s_load_b128 s[16:19], s[0:1], 0x48
	v_and_b32_e32 v66, 15, v0
	v_cmp_gt_u32_e32 vcc_lo, 0x80, v0
	v_lshrrev_b32_e32 v65, 5, v0
	v_and_b32_e32 v67, 31, v0
	v_and_b32_e32 v74, 1, v0
	v_lshlrev_b32_e32 v1, 3, v66
	v_cmp_gt_u32_e64 s2, 8, v66
	v_bfe_u32 v75, v0, 4, 1
	s_lshl_b32 s31, s15, 3
	s_delay_alu instid0(VALU_DEP_3) | instskip(NEXT) | instid1(VALU_DEP_3)
	v_lshlrev_b32_e32 v73, 1, v1
	s_and_b32 s7, vcc_lo, s2
	s_delay_alu instid0(SALU_CYCLE_1)
	s_and_saveexec_b32 s6, s7
	s_cbranch_execz .LBB1493_10
; %bb.9:
	v_lshl_or_b32 v5, v65, 1, v75
	s_load_b64 s[8:9], s[0:1], 0x0
	s_waitcnt lgkmcnt(0)
	s_mul_hi_i32 s11, s3, s16
	s_mul_i32 s10, s3, s16
	v_lshlrev_b32_e32 v6, 10, v66
	v_or_b32_e32 v1, s31, v5
	s_lshl_b64 s[10:11], s[10:11], 1
	v_lshlrev_b32_e32 v5, 6, v5
	v_lshlrev_b32_e32 v7, 10, v74
	v_and_b32_e32 v6, 0x3800, v6
	v_lshlrev_b32_e32 v1, 6, v1
	s_delay_alu instid0(VALU_DEP_2) | instskip(NEXT) | instid1(VALU_DEP_2)
	v_or3_b32 v5, v6, v7, v5
	v_ashrrev_i32_e32 v2, 31, v1
	s_delay_alu instid0(VALU_DEP_1) | instskip(SKIP_2) | instid1(VALU_DEP_1)
	v_lshlrev_b64 v[1:2], 1, v[1:2]
	s_add_u32 s3, s8, s10
	s_addc_u32 s7, s9, s11
	v_add_co_u32 v1, vcc_lo, s3, v1
	s_delay_alu instid0(VALU_DEP_2) | instskip(NEXT) | instid1(VALU_DEP_2)
	v_add_co_ci_u32_e32 v2, vcc_lo, s7, v2, vcc_lo
	v_add_co_u32 v1, vcc_lo, v1, v73
	s_delay_alu instid0(VALU_DEP_2)
	v_add_co_ci_u32_e32 v2, vcc_lo, 0, v2, vcc_lo
	global_load_b128 v[1:4], v[1:2], off
	s_waitcnt vmcnt(0)
	ds_store_b128 v5, v[1:4]
.LBB1493_10:
	s_or_b32 exec_lo, exec_lo, s6
	v_and_b32_e32 v1, 0xef, v0
	s_waitcnt lgkmcnt(0)
	s_add_i32 s3, s24, 31
	s_clause 0x1
	s_load_b32 s6, s[0:1], 0x38
	s_load_b32 s19, s[0:1], 0x1c
	s_ashr_i32 s7, s3, 31
	v_add_nc_u32_e32 v1, s12, v1
	s_lshr_b32 s7, s7, 27
	s_waitcnt lgkmcnt(0)
	s_add_i32 s3, s3, s7
	s_barrier
	v_ashrrev_i32_e32 v2, 31, v1
	v_or_b32_e32 v3, 16, v1
	s_ashr_i32 s3, s3, 5
	v_cmp_gt_i32_e32 vcc_lo, s24, v1
	s_add_i32 s3, s3, -1
	v_lshrrev_b32_e32 v2, 27, v2
	buffer_gl0_inv
	s_mul_i32 s27, s15, s18
	v_add_nc_u32_e32 v4, v1, v2
	s_mul_i32 s6, s30, s6
	s_delay_alu instid0(SALU_CYCLE_1) | instskip(NEXT) | instid1(VALU_DEP_1)
	s_ashr_i32 s7, s6, 31
	v_ashrrev_i32_e32 v4, 5, v4
	v_add_nc_u32_e32 v2, v3, v2
	s_lshl_b64 s[6:7], s[6:7], 2
	s_delay_alu instid0(SALU_CYCLE_1) | instskip(NEXT) | instid1(VALU_DEP_2)
	s_add_u32 s26, s4, s6
	v_cndmask_b32_e32 v1, s3, v4, vcc_lo
	s_delay_alu instid0(VALU_DEP_2)
	v_ashrrev_i32_e32 v2, 5, v2
	v_cmp_gt_i32_e32 vcc_lo, s24, v3
	s_addc_u32 s25, s5, s7
	s_ashr_i32 s28, s27, 31
	s_add_u32 s4, s20, s27
	s_addc_u32 s5, s21, s28
	v_cndmask_b32_e32 v3, s3, v2, vcc_lo
	v_ashrrev_i32_e32 v2, 31, v1
	s_lshl_b32 s6, s14, 3
	s_delay_alu instid0(SALU_CYCLE_1) | instskip(NEXT) | instid1(VALU_DEP_2)
	s_ashr_i32 s7, s6, 31
	v_ashrrev_i32_e32 v4, 31, v3
	s_delay_alu instid0(VALU_DEP_2) | instskip(SKIP_1) | instid1(SALU_CYCLE_1)
	v_lshlrev_b64 v[1:2], 2, v[1:2]
	s_lshl_b64 s[6:7], s[6:7], 2
	s_add_u32 s6, s26, s6
	s_delay_alu instid0(VALU_DEP_2) | instskip(SKIP_1) | instid1(VALU_DEP_2)
	v_lshlrev_b64 v[3:4], 2, v[3:4]
	s_addc_u32 s7, s25, s7
	v_add_co_u32 v1, vcc_lo, s26, v1
	v_add_co_ci_u32_e32 v2, vcc_lo, s25, v2, vcc_lo
	s_delay_alu instid0(VALU_DEP_3) | instskip(NEXT) | instid1(VALU_DEP_4)
	v_add_co_u32 v3, vcc_lo, s26, v3
	v_add_co_ci_u32_e32 v4, vcc_lo, s25, v4, vcc_lo
	s_clause 0x1
	global_load_b32 v5, v[1:2], off
	global_load_b32 v6, v[3:4], off
	s_or_b32 s8, s12, 32
	s_delay_alu instid0(SALU_CYCLE_1) | instskip(SKIP_2) | instid1(SALU_CYCLE_1)
	s_ashr_i32 s9, s8, 5
	s_cmp_lt_i32 s8, s24
	s_cselect_b32 s8, s9, s3
	s_ashr_i32 s9, s8, 31
	s_delay_alu instid0(SALU_CYCLE_1) | instskip(NEXT) | instid1(SALU_CYCLE_1)
	s_lshl_b64 s[8:9], s[8:9], 2
	s_add_u32 s8, s26, s8
	s_addc_u32 s9, s25, s9
	s_or_b32 s10, s12, 64
	s_delay_alu instid0(SALU_CYCLE_1) | instskip(SKIP_2) | instid1(SALU_CYCLE_1)
	s_ashr_i32 s11, s10, 5
	s_cmp_lt_i32 s10, s24
	s_cselect_b32 s10, s11, s3
	s_ashr_i32 s11, s10, 31
	s_delay_alu instid0(SALU_CYCLE_1) | instskip(NEXT) | instid1(SALU_CYCLE_1)
	s_lshl_b64 s[10:11], s[10:11], 2
	s_add_u32 s10, s26, s10
	s_addc_u32 s11, s25, s11
	;; [unrolled: 10-line block ×5, first 2 shown]
	s_clause 0x5
	s_load_b32 s21, s[6:7], 0x0
	s_load_b32 s13, s[8:9], 0x0
	;; [unrolled: 1-line block ×6, first 2 shown]
	s_or_b32 s7, s12, 0xc0
	s_delay_alu instid0(SALU_CYCLE_1) | instskip(SKIP_2) | instid1(SALU_CYCLE_1)
	s_ashr_i32 s8, s7, 5
	s_cmp_lt_i32 s7, s24
	s_cselect_b32 s10, s8, s3
	s_ashr_i32 s11, s10, 31
	s_delay_alu instid0(SALU_CYCLE_1) | instskip(NEXT) | instid1(SALU_CYCLE_1)
	s_lshl_b64 s[34:35], s[10:11], 2
	s_add_u32 s34, s26, s34
	s_addc_u32 s35, s25, s35
	s_or_b32 s29, s12, 0xe0
	s_delay_alu instid0(SALU_CYCLE_1)
	s_ashr_i32 s33, s29, 5
	s_cmp_lt_i32 s29, s24
	s_waitcnt vmcnt(1)
	v_mad_i64_i32 v[1:2], null, v5, s17, s[4:5]
	s_waitcnt vmcnt(0)
	v_mad_i64_i32 v[3:4], null, v6, s17, s[4:5]
	s_mov_b32 s4, 0
	s_delay_alu instid0(SALU_CYCLE_1)
	s_mov_b32 s5, s4
	s_mov_b32 s6, s4
	;; [unrolled: 1-line block ×7, first 2 shown]
	v_lshlrev_b32_e32 v5, 4, v66
	v_dual_mov_b32 v107, s11 :: v_dual_mov_b32 v102, s6
	v_dual_mov_b32 v106, s10 :: v_dual_mov_b32 v105, s9
	s_delay_alu instid0(VALU_DEP_3)
	v_add_co_u32 v1, vcc_lo, v1, v5
	v_add_co_ci_u32_e32 v2, vcc_lo, 0, v2, vcc_lo
	v_add_co_u32 v3, vcc_lo, v3, v5
	v_add_co_ci_u32_e32 v4, vcc_lo, 0, v4, vcc_lo
	s_clause 0x7
	global_load_b128 v[49:52], v[1:2], off
	global_load_b128 v[53:56], v[1:2], off offset:512
	global_load_b128 v[76:79], v[3:4], off offset:256
	;; [unrolled: 1-line block ×7, first 2 shown]
	v_dual_mov_b32 v100, s4 :: v_dual_and_b32 v1, 7, v0
	v_lshlrev_b32_e32 v2, 5, v66
	v_dual_mov_b32 v104, s8 :: v_dual_mov_b32 v103, s7
	v_mov_b32_e32 v101, s5
	s_cselect_b32 s4, s33, s3
	v_lshlrev_b32_e32 v70, 6, v1
	s_ashr_i32 s5, s4, 31
	v_lshl_or_b32 v1, v65, 9, v2
	s_lshl_b64 s[4:5], s[4:5], 2
	s_load_b32 s3, s[34:35], 0x0
	s_add_u32 s4, s26, s4
	s_addc_u32 s5, s25, s5
	ds_load_b128 v[108:111], v70
	ds_load_b128 v[112:115], v70 offset:1024
	s_load_b32 s4, s[4:5], 0x0
	s_add_u32 s6, s22, s27
	s_addc_u32 s7, s23, s28
	v_add_co_u32 v9, s6, s6, v1
	s_delay_alu instid0(VALU_DEP_1) | instskip(SKIP_1) | instid1(VALU_DEP_1)
	v_add_co_ci_u32_e64 v10, null, s7, 0, s6
	s_waitcnt lgkmcnt(0)
	v_mad_i64_i32 v[1:2], null, s21, s17, v[9:10]
	v_mad_i64_i32 v[3:4], null, s13, s17, v[9:10]
	;; [unrolled: 1-line block ×7, first 2 shown]
	s_clause 0x9
	global_load_b128 v[57:60], v[1:2], off
	global_load_b128 v[61:64], v[1:2], off offset:16
	global_load_b128 v[41:44], v[3:4], off
	global_load_b128 v[45:48], v[3:4], off offset:16
	;; [unrolled: 2-line block ×5, first 2 shown]
	v_mad_i64_i32 v[68:69], null, s4, s17, v[9:10]
	s_clause 0x3
	global_load_b128 v[9:12], v[13:14], off
	global_load_b128 v[13:16], v[13:14], off offset:16
	global_load_b128 v[17:20], v[21:22], off
	global_load_b128 v[21:24], v[21:22], off offset:16
	s_waitcnt vmcnt(20)
	v_wmma_f32_16x16x16_bf16 v[116:123], v[49:56], v[108:115], v[100:107]
	s_clause 0x1
	global_load_b128 v[49:52], v[68:69], off
	global_load_b128 v[53:56], v[68:69], off offset:16
	v_and_b32_e32 v68, 0xe0, v0
	v_mbcnt_lo_u32_b32 v69, -1, 0
	s_delay_alu instid0(VALU_DEP_2)
	v_add_nc_u32_e32 v68, s12, v68
	s_waitcnt vmcnt(20)
	v_wmma_f32_16x16x16_bf16 v[100:107], v[76:83], v[108:115], v[100:107]
	ds_load_b128 v[76:79], v70 offset:2048
	ds_load_b128 v[80:83], v70 offset:3072
	v_xor_b32_e32 v70, 16, v69
	s_waitcnt vmcnt(0) lgkmcnt(0)
	v_or_b32_e32 v68, v68, v75
	s_barrier
	buffer_gl0_inv
	v_cmp_gt_i32_e32 vcc_lo, 32, v70
	v_or_b32_e32 v71, 4, v68
	v_or_b32_e32 v72, 6, v68
	v_cmp_gt_i32_e64 s3, s24, v68
	v_or_b32_e32 v108, 8, v68
	v_or_b32_e32 v109, 10, v68
	v_cmp_gt_i32_e64 s4, s24, v71
	v_cmp_gt_i32_e64 s5, s24, v72
	s_delay_alu instid0(VALU_DEP_4) | instskip(NEXT) | instid1(VALU_DEP_4)
	v_cmp_gt_i32_e64 s6, s24, v108
	v_cmp_gt_i32_e64 s7, s24, v109
	v_wmma_f32_16x16x16_bf16 v[116:123], v[84:91], v[76:83], v[116:123]
	v_cndmask_b32_e32 v69, v69, v70, vcc_lo
	v_or_b32_e32 v70, 2, v68
	v_wmma_f32_16x16x16_bf16 v[100:107], v[92:99], v[76:83], v[100:107]
	v_or_b32_e32 v84, 12, v68
	v_dual_mul_f32 v78, s19, v123 :: v_dual_mul_f32 v83, s19, v118
	v_dual_mul_f32 v92, s19, v117 :: v_dual_mul_f32 v93, s19, v116
	s_delay_alu instid0(VALU_DEP_4) | instskip(SKIP_2) | instid1(VALU_DEP_4)
	v_mul_f32_e32 v94, s19, v107
	v_cmp_gt_i32_e32 vcc_lo, s24, v70
	v_dual_mul_f32 v81, s19, v120 :: v_dual_mul_f32 v82, s19, v119
	v_cndmask_b32_e64 v93, 0xff7fffff, v93, s3
	v_or_b32_e32 v85, 14, v68
	v_cndmask_b32_e32 v92, 0xff7fffff, v92, vcc_lo
	v_dual_mul_f32 v79, s19, v122 :: v_dual_mul_f32 v80, s19, v121
	v_cndmask_b32_e64 v71, 0xff7fffff, v83, s4
	v_cndmask_b32_e64 v72, 0xff7fffff, v82, s5
	s_delay_alu instid0(VALU_DEP_4)
	v_max3_f32 v82, v93, 0xff7fffff, v92
	v_or_b32_e32 v86, 16, v68
	v_or_b32_e32 v87, 18, v68
	v_cndmask_b32_e64 v81, 0xff7fffff, v81, s6
	v_cndmask_b32_e64 v80, 0xff7fffff, v80, s7
	v_max3_f32 v71, v82, v71, v72
	v_cmp_gt_i32_e64 s8, s24, v84
	v_cmp_gt_i32_e64 s9, s24, v85
	v_or_b32_e32 v88, 20, v68
	v_or_b32_e32 v89, 22, v68
	;; [unrolled: 1-line block ×6, first 2 shown]
	v_dual_mul_f32 v99, s19, v102 :: v_dual_mul_f32 v70, s19, v101
	v_mul_f32_e32 v68, s19, v100
	v_cndmask_b32_e64 v72, 0xff7fffff, v79, s8
	v_cndmask_b32_e64 v78, 0xff7fffff, v78, s9
	v_max3_f32 v71, v71, v81, v80
	v_cmp_gt_i32_e64 s10, s24, v86
	v_cmp_gt_i32_e64 s11, s24, v87
	v_dual_mul_f32 v97, s19, v104 :: v_dual_mul_f32 v98, s19, v103
	s_delay_alu instid0(VALU_DEP_4) | instskip(SKIP_1) | instid1(VALU_DEP_4)
	v_max3_f32 v71, v71, v72, v78
	v_cmp_gt_i32_e64 s12, s24, v88
	v_cndmask_b32_e64 v70, 0xff7fffff, v70, s11
	v_cmp_gt_i32_e64 s13, s24, v89
	v_lshlrev_b32_e32 v89, 2, v69
	v_cndmask_b32_e64 v68, 0xff7fffff, v68, s10
	v_dual_mul_f32 v95, s19, v106 :: v_dual_mul_f32 v96, s19, v105
	v_cndmask_b32_e64 v72, 0xff7fffff, v99, s12
	v_cndmask_b32_e64 v78, 0xff7fffff, v98, s13
	s_delay_alu instid0(VALU_DEP_4)
	v_max3_f32 v68, v71, v68, v70
	v_cmp_gt_i32_e64 s15, s24, v90
	v_cmp_gt_i32_e64 s16, s24, v91
	;; [unrolled: 1-line block ×4, first 2 shown]
	v_max3_f32 v68, v68, v72, v78
	v_cndmask_b32_e64 v70, 0xff7fffff, v97, s15
	v_cndmask_b32_e64 v71, 0xff7fffff, v96, s16
	;; [unrolled: 1-line block ×4, first 2 shown]
	s_delay_alu instid0(VALU_DEP_3) | instskip(NEXT) | instid1(VALU_DEP_1)
	v_max3_f32 v68, v68, v70, v71
	v_max3_f32 v68, v68, v72, v76
	ds_bpermute_b32 v69, v89, v68
	s_waitcnt lgkmcnt(0)
	v_max_f32_e32 v69, v69, v69
	s_delay_alu instid0(VALU_DEP_1) | instskip(NEXT) | instid1(VALU_DEP_1)
	v_max_f32_e32 v68, v68, v69
	v_fma_f32 v71, s19, v118, -v68
	s_delay_alu instid0(VALU_DEP_1)
	v_mul_f32_e32 v71, 0x3fb8aa3b, v71
	v_fma_f32 v69, s19, v116, -v68
	v_fma_f32 v70, s19, v117, -v68
	;; [unrolled: 1-line block ×4, first 2 shown]
	v_exp_f32_e32 v71, v71
	s_delay_alu instid0(VALU_DEP_3) | instskip(SKIP_2) | instid1(VALU_DEP_3)
	v_dual_mul_f32 v69, 0x3fb8aa3b, v69 :: v_dual_mul_f32 v70, 0x3fb8aa3b, v70
	v_fma_f32 v78, s19, v122, -v68
	v_fma_f32 v81, s19, v105, -v68
	v_exp_f32_e32 v69, v69
	s_delay_alu instid0(VALU_DEP_3) | instskip(SKIP_1) | instid1(VALU_DEP_2)
	v_exp_f32_e32 v70, v70
	v_mul_f32_e32 v77, 0x3fb8aa3b, v76
	v_mul_f32_e32 v81, 0x3fb8aa3b, v81
	s_delay_alu instid0(TRANS32_DEP_3) | instskip(SKIP_1) | instid1(VALU_DEP_3)
	v_cndmask_b32_e64 v83, 0, v71, s4
	v_fma_f32 v71, s19, v123, -v68
	v_exp_f32_e32 v81, v81
	s_delay_alu instid0(TRANS32_DEP_3) | instskip(NEXT) | instid1(TRANS32_DEP_2)
	v_cndmask_b32_e64 v80, 0, v69, s3
	v_cndmask_b32_e32 v76, 0, v70, vcc_lo
	v_fma_f32 v69, s19, v121, -v68
	v_mul_f32_e32 v72, 0x3fb8aa3b, v72
	v_exp_f32_e32 v77, v77
	v_dual_add_f32 v70, 0, v80 :: v_dual_mul_f32 v71, 0x3fb8aa3b, v71
	s_delay_alu instid0(VALU_DEP_3) | instskip(NEXT) | instid1(VALU_DEP_3)
	v_mul_f32_e32 v69, 0x3fb8aa3b, v69
	v_exp_f32_e32 v72, v72
	s_mov_b32 s3, exec_lo
	s_delay_alu instid0(VALU_DEP_2) | instskip(NEXT) | instid1(VALU_DEP_1)
	v_exp_f32_e32 v71, v71
	v_exp_f32_e32 v69, v69
	v_cndmask_b32_e64 v86, 0, v77, s6
	v_fma_f32 v77, s19, v101, -v68
	v_add_f32_e32 v70, v70, v76
	s_delay_alu instid0(TRANS32_DEP_3) | instskip(SKIP_1) | instid1(VALU_DEP_3)
	v_cndmask_b32_e64 v85, 0, v72, s5
	v_fma_f32 v72, s19, v100, -v68
	v_dual_mul_f32 v77, 0x3fb8aa3b, v77 :: v_dual_add_f32 v70, v70, v83
	s_delay_alu instid0(TRANS32_DEP_2) | instskip(SKIP_1) | instid1(TRANS32_DEP_1)
	v_cndmask_b32_e64 v88, 0, v71, s9
	v_fma_f32 v71, s19, v104, -v68
	v_cndmask_b32_e64 v87, 0, v69, s7
	s_delay_alu instid0(VALU_DEP_4) | instskip(NEXT) | instid1(VALU_DEP_2)
	v_exp_f32_e32 v77, v77
	v_dual_add_f32 v70, v70, v85 :: v_dual_mul_f32 v71, 0x3fb8aa3b, v71
	s_delay_alu instid0(VALU_DEP_1) | instskip(SKIP_2) | instid1(VALU_DEP_3)
	v_dual_mul_f32 v72, 0x3fb8aa3b, v72 :: v_dual_add_f32 v69, v70, v86
	v_mul_f32_e32 v78, 0x3fb8aa3b, v78
	v_fma_f32 v70, s19, v102, -v68
	v_exp_f32_e32 v72, v72
	v_exp_f32_e32 v82, v71
	v_add_f32_e32 v69, v69, v87
	v_exp_f32_e32 v78, v78
	v_mul_f32_e32 v70, 0x3fb8aa3b, v70
	s_delay_alu instid0(VALU_DEP_1) | instskip(SKIP_4) | instid1(VALU_DEP_2)
	v_exp_f32_e32 v79, v70
	v_cndmask_b32_e64 v70, 0, v72, s10
	s_waitcnt_depctr 0xfff
	v_cndmask_b32_e64 v84, 0, v78, s8
	v_fma_f32 v78, s19, v103, -v68
	v_add_f32_e32 v69, v69, v84
	v_cndmask_b32_e64 v71, 0, v79, s12
	s_delay_alu instid0(VALU_DEP_2) | instskip(SKIP_2) | instid1(VALU_DEP_1)
	v_add_f32_e32 v72, v69, v88
	v_cndmask_b32_e64 v69, 0, v77, s11
	v_fma_f32 v77, s19, v106, -v68
	v_dual_mul_f32 v77, 0x3fb8aa3b, v77 :: v_dual_add_f32 v72, v72, v70
	v_mul_f32_e32 v78, 0x3fb8aa3b, v78
	s_delay_alu instid0(VALU_DEP_2) | instskip(NEXT) | instid1(VALU_DEP_2)
	v_exp_f32_e32 v90, v77
	v_add_f32_e32 v79, v72, v69
	s_delay_alu instid0(VALU_DEP_2)
	v_exp_f32_e32 v78, v78
	v_cndmask_b32_e64 v77, 0, v82, s15
	s_waitcnt_depctr 0xfff
	v_cndmask_b32_e64 v72, 0, v78, s13
	v_add_f32_e32 v78, v79, v71
	v_fma_f32 v79, s19, v107, -v68
	s_delay_alu instid0(VALU_DEP_1) | instskip(SKIP_1) | instid1(VALU_DEP_2)
	v_dual_add_f32 v82, v78, v72 :: v_dual_mul_f32 v79, 0x3fb8aa3b, v79
	v_cndmask_b32_e64 v78, 0, v81, s16
	v_add_f32_e32 v81, v82, v77
	s_delay_alu instid0(VALU_DEP_3) | instskip(SKIP_1) | instid1(VALU_DEP_2)
	v_exp_f32_e32 v82, v79
	v_cndmask_b32_e64 v79, 0, v90, s17
	v_add_f32_e32 v81, v81, v78
	s_delay_alu instid0(VALU_DEP_1) | instskip(SKIP_2) | instid1(VALU_DEP_1)
	v_add_f32_e32 v90, v81, v79
	s_waitcnt_depctr 0xfff
	v_cndmask_b32_e64 v81, 0, v82, s18
	v_add_f32_e32 v82, v90, v81
	ds_bpermute_b32 v89, v89, v82
	v_cmpx_gt_u32_e32 16, v67
	s_cbranch_execz .LBB1493_12
; %bb.11:
	v_mul_u32_u24_e32 v67, 0x44, v65
	s_delay_alu instid0(VALU_DEP_1) | instskip(SKIP_1) | instid1(VALU_DEP_1)
	v_lshl_add_u32 v67, v66, 2, v67
	s_waitcnt lgkmcnt(0)
	v_dual_add_f32 v82, v82, v89 :: v_dual_add_nc_u32 v67, 0x4000, v67
	ds_store_2addr_b32 v67, v68, v82 offset1:136
.LBB1493_12:
	s_or_b32 exec_lo, exec_lo, s3
	v_lshlrev_b32_e32 v67, 2, v66
	s_waitcnt lgkmcnt(0)
	s_barrier
	buffer_gl0_inv
	v_cmp_eq_u32_e32 vcc_lo, 1, v65
	v_add_nc_u32_e32 v82, 0x4000, v67
	v_cmp_eq_u32_e64 s3, 2, v65
	v_cmp_eq_u32_e64 s5, 7, v65
	ds_load_2addr_b32 v[89:90], v82 offset1:17
	ds_load_2addr_b32 v[91:92], v82 offset0:34 offset1:51
	ds_load_2addr_b32 v[93:94], v82 offset0:68 offset1:85
	;; [unrolled: 1-line block ×4, first 2 shown]
	s_waitcnt lgkmcnt(4)
	v_max3_f32 v67, v89, 0xff7fffff, v90
	s_waitcnt lgkmcnt(3)
	s_delay_alu instid0(VALU_DEP_1) | instskip(SKIP_1) | instid1(VALU_DEP_1)
	v_max3_f32 v67, v67, v91, v92
	s_waitcnt lgkmcnt(2)
	v_max3_f32 v67, v67, v93, v94
	s_waitcnt lgkmcnt(1)
	s_delay_alu instid0(VALU_DEP_1) | instskip(NEXT) | instid1(VALU_DEP_1)
	v_max3_f32 v67, v67, v95, v96
	v_sub_f32_e32 v93, v93, v67
	s_delay_alu instid0(VALU_DEP_1) | instskip(NEXT) | instid1(VALU_DEP_1)
	v_dual_sub_f32 v68, v89, v67 :: v_dual_mul_f32 v103, 0x3fb8aa3b, v93
	v_mul_f32_e32 v68, 0x3fb8aa3b, v68
	s_delay_alu instid0(VALU_DEP_1)
	v_exp_f32_e32 v100, v68
	v_sub_f32_e32 v68, v92, v67
	v_sub_f32_e32 v99, v90, v67
	ds_load_2addr_b32 v[89:90], v82 offset0:170 offset1:187
	v_dual_mul_f32 v102, 0x3fb8aa3b, v68 :: v_dual_mul_f32 v99, 0x3fb8aa3b, v99
	s_waitcnt lgkmcnt(1)
	v_fma_f32 v68, v100, v97, 0
	s_delay_alu instid0(VALU_DEP_2) | instskip(NEXT) | instid1(VALU_DEP_2)
	v_exp_f32_e32 v102, v102
	v_exp_f32_e32 v99, v99
	s_waitcnt_depctr 0xfff
	v_fmac_f32_e32 v68, v99, v98
	v_sub_f32_e32 v91, v91, v67
	s_delay_alu instid0(VALU_DEP_1)
	v_mul_f32_e32 v101, 0x3fb8aa3b, v91
	ds_load_2addr_b32 v[91:92], v82 offset0:204 offset1:221
	v_sub_f32_e32 v97, v94, v67
	ds_load_2addr_b32 v[93:94], v82 offset0:238 offset1:255
	s_waitcnt lgkmcnt(0)
	v_exp_f32_e32 v101, v101
	s_barrier
	buffer_gl0_inv
	v_dual_fmac_f32 v68, v101, v89 :: v_dual_sub_f32 v89, v96, v67
	v_dual_sub_f32 v82, v95, v67 :: v_dual_mul_f32 v95, 0x3fb8aa3b, v97
	v_exp_f32_e32 v97, v103
	s_delay_alu instid0(VALU_DEP_2) | instskip(NEXT) | instid1(VALU_DEP_2)
	v_dual_fmac_f32 v68, v102, v90 :: v_dual_mul_f32 v89, 0x3fb8aa3b, v89
	v_mul_f32_e32 v82, 0x3fb8aa3b, v82
	s_delay_alu instid0(VALU_DEP_3) | instskip(NEXT) | instid1(VALU_DEP_2)
	v_exp_f32_e32 v95, v95
	v_exp_f32_e32 v89, v89
	s_delay_alu instid0(VALU_DEP_1)
	v_exp_f32_e32 v82, v82
	v_fmac_f32_e32 v68, v97, v91
	s_delay_alu instid0(TRANS32_DEP_3) | instid1(VALU_DEP_1)
	v_fmac_f32_e32 v68, v95, v92
	s_waitcnt_depctr 0xfff
	v_fmac_f32_e32 v68, v82, v93
	s_delay_alu instid0(VALU_DEP_1) | instskip(NEXT) | instid1(VALU_DEP_1)
	v_fmac_f32_e32 v68, v89, v94
	v_add_f32_e32 v90, 0x358637bd, v68
	s_delay_alu instid0(VALU_DEP_1) | instskip(NEXT) | instid1(VALU_DEP_1)
	v_div_scale_f32 v91, null, v90, v90, 1.0
	v_rcp_f32_e32 v92, v91
	s_waitcnt_depctr 0xfff
	v_fma_f32 v93, -v91, v92, 1.0
	s_delay_alu instid0(VALU_DEP_1) | instskip(SKIP_1) | instid1(VALU_DEP_2)
	v_dual_fmac_f32 v92, v93, v92 :: v_dual_cndmask_b32 v93, v100, v99
	v_cmp_eq_u32_e32 vcc_lo, 3, v65
	v_cndmask_b32_e64 v93, v93, v101, s3
	v_cmp_eq_u32_e64 s3, 4, v65
	s_delay_alu instid0(VALU_DEP_2) | instskip(SKIP_1) | instid1(VALU_DEP_2)
	v_cndmask_b32_e32 v93, v93, v102, vcc_lo
	v_cmp_eq_u32_e32 vcc_lo, 5, v65
	v_cndmask_b32_e64 v93, v93, v97, s3
	v_cmp_eq_u32_e64 s3, 6, v65
	s_delay_alu instid0(VALU_DEP_2) | instskip(SKIP_1) | instid1(VALU_DEP_1)
	v_cndmask_b32_e32 v93, v93, v95, vcc_lo
	v_div_scale_f32 v94, s4, 1.0, v90, 1.0
	s_mov_b32 vcc_lo, s4
	s_delay_alu instid0(VALU_DEP_2) | instskip(NEXT) | instid1(VALU_DEP_2)
	v_cndmask_b32_e64 v82, v93, v82, s3
	v_mul_f32_e32 v96, v94, v92
	s_mov_b32 s3, exec_lo
	s_delay_alu instid0(VALU_DEP_2) | instskip(NEXT) | instid1(VALU_DEP_2)
	v_cndmask_b32_e64 v82, v82, v89, s5
	v_fma_f32 v98, -v91, v96, v94
	s_delay_alu instid0(VALU_DEP_1) | instskip(NEXT) | instid1(VALU_DEP_1)
	v_fmac_f32_e32 v96, v98, v92
	v_fma_f32 v91, -v91, v96, v94
	s_delay_alu instid0(VALU_DEP_1) | instskip(NEXT) | instid1(VALU_DEP_1)
	v_div_fmas_f32 v91, v91, v92, v96
	v_div_fixup_f32 v90, v91, v90, 1.0
	s_delay_alu instid0(VALU_DEP_1) | instskip(NEXT) | instid1(VALU_DEP_1)
	v_mul_f32_e32 v82, v82, v90
	v_mul_f32_e32 v87, v82, v87
	;; [unrolled: 1-line block ×7, first 2 shown]
	v_dual_mul_f32 v86, v82, v83 :: v_dual_and_b32 v91, 0x7f800000, v90
	v_mul_f32_e32 v85, v82, v76
                                        ; implicit-def: $vgpr76
	s_delay_alu instid0(VALU_DEP_2)
	v_cmpx_ne_u32_e32 0x7f800000, v91
	s_xor_b32 s3, exec_lo, s3
; %bb.13:
	v_bfe_u32 v76, v90, 16, 1
	s_delay_alu instid0(VALU_DEP_1)
	v_add3_u32 v76, v90, v76, 0x7fff
                                        ; implicit-def: $vgpr90
; %bb.14:
	s_and_not1_saveexec_b32 s3, s3
; %bb.15:
	v_and_b32_e32 v76, 0xffff, v90
	v_or_b32_e32 v83, 0x10000, v90
	s_delay_alu instid0(VALU_DEP_2) | instskip(NEXT) | instid1(VALU_DEP_2)
	v_cmp_eq_u32_e32 vcc_lo, 0, v76
	v_cndmask_b32_e32 v76, v83, v90, vcc_lo
; %bb.16:
	s_or_b32 exec_lo, exec_lo, s3
	v_and_b32_e32 v83, 0x7f800000, v85
	s_delay_alu instid0(VALU_DEP_1) | instskip(SKIP_1) | instid1(SALU_CYCLE_1)
	v_cmp_ne_u32_e32 vcc_lo, 0x7f800000, v83
                                        ; implicit-def: $vgpr83
	s_and_saveexec_b32 s3, vcc_lo
	s_xor_b32 s3, exec_lo, s3
; %bb.17:
	v_bfe_u32 v83, v85, 16, 1
	s_delay_alu instid0(VALU_DEP_1)
	v_add3_u32 v83, v85, v83, 0x7fff
                                        ; implicit-def: $vgpr85
; %bb.18:
	s_and_not1_saveexec_b32 s3, s3
; %bb.19:
	v_and_b32_e32 v83, 0xffff, v85
	v_or_b32_e32 v90, 0x10000, v85
	s_delay_alu instid0(VALU_DEP_2) | instskip(NEXT) | instid1(VALU_DEP_2)
	v_cmp_eq_u32_e32 vcc_lo, 0, v83
	v_cndmask_b32_e32 v83, v90, v85, vcc_lo
; %bb.20:
	s_or_b32 exec_lo, exec_lo, s3
	v_and_b32_e32 v85, 0x7f800000, v86
	s_delay_alu instid0(VALU_DEP_1) | instskip(SKIP_1) | instid1(SALU_CYCLE_1)
	v_cmp_ne_u32_e32 vcc_lo, 0x7f800000, v85
                                        ; implicit-def: $vgpr85
	s_and_saveexec_b32 s3, vcc_lo
	s_xor_b32 s3, exec_lo, s3
; %bb.21:
	v_bfe_u32 v85, v86, 16, 1
	s_delay_alu instid0(VALU_DEP_1)
	v_add3_u32 v85, v86, v85, 0x7fff
                                        ; implicit-def: $vgpr86
; %bb.22:
	s_and_not1_saveexec_b32 s3, s3
; %bb.23:
	v_and_b32_e32 v85, 0xffff, v86
	v_or_b32_e32 v90, 0x10000, v86
	s_delay_alu instid0(VALU_DEP_2) | instskip(NEXT) | instid1(VALU_DEP_2)
	v_cmp_eq_u32_e32 vcc_lo, 0, v85
	v_cndmask_b32_e32 v85, v90, v86, vcc_lo
; %bb.24:
	s_or_b32 exec_lo, exec_lo, s3
	v_and_b32_e32 v86, 0x7f800000, v89
	s_delay_alu instid0(VALU_DEP_1) | instskip(SKIP_1) | instid1(SALU_CYCLE_1)
	v_cmp_ne_u32_e32 vcc_lo, 0x7f800000, v86
                                        ; implicit-def: $vgpr86
	s_and_saveexec_b32 s3, vcc_lo
	s_xor_b32 s3, exec_lo, s3
; %bb.25:
	v_bfe_u32 v86, v89, 16, 1
	s_delay_alu instid0(VALU_DEP_1)
	v_add3_u32 v86, v89, v86, 0x7fff
                                        ; implicit-def: $vgpr89
; %bb.26:
	s_and_not1_saveexec_b32 s3, s3
; %bb.27:
	v_and_b32_e32 v86, 0xffff, v89
	v_or_b32_e32 v90, 0x10000, v89
	s_delay_alu instid0(VALU_DEP_2) | instskip(NEXT) | instid1(VALU_DEP_2)
	v_cmp_eq_u32_e32 vcc_lo, 0, v86
	v_cndmask_b32_e32 v86, v90, v89, vcc_lo
; %bb.28:
	s_or_b32 exec_lo, exec_lo, s3
	v_and_b32_e32 v89, 0x7f800000, v88
	s_delay_alu instid0(VALU_DEP_1) | instskip(SKIP_1) | instid1(SALU_CYCLE_1)
	v_cmp_ne_u32_e32 vcc_lo, 0x7f800000, v89
                                        ; implicit-def: $vgpr89
	s_and_saveexec_b32 s3, vcc_lo
	s_xor_b32 s3, exec_lo, s3
; %bb.29:
	v_bfe_u32 v89, v88, 16, 1
	s_delay_alu instid0(VALU_DEP_1)
	v_add3_u32 v89, v88, v89, 0x7fff
                                        ; implicit-def: $vgpr88
; %bb.30:
	s_and_not1_saveexec_b32 s3, s3
; %bb.31:
	v_and_b32_e32 v89, 0xffff, v88
	v_or_b32_e32 v90, 0x10000, v88
	s_delay_alu instid0(VALU_DEP_2) | instskip(NEXT) | instid1(VALU_DEP_2)
	v_cmp_eq_u32_e32 vcc_lo, 0, v89
	v_cndmask_b32_e32 v89, v90, v88, vcc_lo
; %bb.32:
	s_or_b32 exec_lo, exec_lo, s3
	v_and_b32_e32 v88, 0x7f800000, v87
	s_delay_alu instid0(VALU_DEP_1) | instskip(SKIP_1) | instid1(SALU_CYCLE_1)
	v_cmp_ne_u32_e32 vcc_lo, 0x7f800000, v88
                                        ; implicit-def: $vgpr88
	s_and_saveexec_b32 s3, vcc_lo
	s_xor_b32 s3, exec_lo, s3
; %bb.33:
	v_bfe_u32 v88, v87, 16, 1
	s_delay_alu instid0(VALU_DEP_1)
	v_add3_u32 v88, v87, v88, 0x7fff
                                        ; implicit-def: $vgpr87
; %bb.34:
	s_and_not1_saveexec_b32 s3, s3
; %bb.35:
	v_and_b32_e32 v88, 0xffff, v87
	v_or_b32_e32 v90, 0x10000, v87
	s_delay_alu instid0(VALU_DEP_2) | instskip(NEXT) | instid1(VALU_DEP_2)
	v_cmp_eq_u32_e32 vcc_lo, 0, v88
	v_cndmask_b32_e32 v88, v90, v87, vcc_lo
; %bb.36:
	s_or_b32 exec_lo, exec_lo, s3
	v_and_b32_e32 v87, 0x7f800000, v84
	s_delay_alu instid0(VALU_DEP_1) | instskip(SKIP_1) | instid1(SALU_CYCLE_1)
	v_cmp_ne_u32_e32 vcc_lo, 0x7f800000, v87
                                        ; implicit-def: $vgpr87
	s_and_saveexec_b32 s3, vcc_lo
	s_xor_b32 s3, exec_lo, s3
; %bb.37:
	v_bfe_u32 v87, v84, 16, 1
	s_delay_alu instid0(VALU_DEP_1)
	v_add3_u32 v87, v84, v87, 0x7fff
                                        ; implicit-def: $vgpr84
; %bb.38:
	s_and_not1_saveexec_b32 s3, s3
; %bb.39:
	v_and_b32_e32 v87, 0xffff, v84
	v_or_b32_e32 v90, 0x10000, v84
	s_delay_alu instid0(VALU_DEP_2) | instskip(NEXT) | instid1(VALU_DEP_2)
	v_cmp_eq_u32_e32 vcc_lo, 0, v87
	v_cndmask_b32_e32 v87, v90, v84, vcc_lo
; %bb.40:
	s_or_b32 exec_lo, exec_lo, s3
	v_and_b32_e32 v84, 0x7f800000, v80
	s_delay_alu instid0(VALU_DEP_1) | instskip(SKIP_1) | instid1(SALU_CYCLE_1)
	v_cmp_ne_u32_e32 vcc_lo, 0x7f800000, v84
                                        ; implicit-def: $vgpr84
	s_and_saveexec_b32 s3, vcc_lo
	s_xor_b32 s3, exec_lo, s3
; %bb.41:
	v_bfe_u32 v84, v80, 16, 1
	s_delay_alu instid0(VALU_DEP_1)
	v_add3_u32 v84, v80, v84, 0x7fff
                                        ; implicit-def: $vgpr80
; %bb.42:
	s_and_not1_saveexec_b32 s3, s3
; %bb.43:
	v_and_b32_e32 v84, 0xffff, v80
	v_or_b32_e32 v90, 0x10000, v80
	s_delay_alu instid0(VALU_DEP_2) | instskip(NEXT) | instid1(VALU_DEP_2)
	v_cmp_eq_u32_e32 vcc_lo, 0, v84
	v_cndmask_b32_e32 v84, v90, v80, vcc_lo
; %bb.44:
	s_or_b32 exec_lo, exec_lo, s3
	s_load_b64 s[34:35], s[0:1], 0x94
	v_lshlrev_b32_e32 v91, 4, v75
	s_delay_alu instid0(VALU_DEP_2)
	v_perm_b32 v90, v84, v87, 0x7060302
	v_dual_mul_f32 v77, v82, v77 :: v_dual_lshlrev_b32 v80, 6, v66
	v_lshlrev_b32_e32 v66, 11, v65
	v_perm_b32 v87, v83, v76, 0x7060302
	v_mul_f32_e32 v83, v82, v70
	v_perm_b32 v89, v88, v89, 0x7060302
	v_perm_b32 v88, v86, v85, 0x7060302
	v_or3_b32 v76, v91, v66, v80
	v_mul_f32_e32 v66, v82, v81
	v_mul_f32_e32 v70, v82, v79
	;; [unrolled: 1-line block ×3, first 2 shown]
	v_dual_mul_f32 v81, v82, v72 :: v_dual_and_b32 v84, 0x7f800000, v83
	v_mul_f32_e32 v79, v82, v71
	v_mul_f32_e32 v72, v82, v69
	s_mov_b32 s3, exec_lo
	ds_store_b128 v76, v[87:90]
                                        ; implicit-def: $vgpr69
	v_cmpx_ne_u32_e32 0x7f800000, v84
	s_xor_b32 s3, exec_lo, s3
; %bb.45:
	v_bfe_u32 v69, v83, 16, 1
	s_delay_alu instid0(VALU_DEP_1)
	v_add3_u32 v69, v83, v69, 0x7fff
                                        ; implicit-def: $vgpr83
; %bb.46:
	s_and_not1_saveexec_b32 s3, s3
; %bb.47:
	v_and_b32_e32 v69, 0xffff, v83
	v_or_b32_e32 v71, 0x10000, v83
	s_delay_alu instid0(VALU_DEP_2) | instskip(NEXT) | instid1(VALU_DEP_2)
	v_cmp_eq_u32_e32 vcc_lo, 0, v69
	v_cndmask_b32_e32 v69, v71, v83, vcc_lo
; %bb.48:
	s_or_b32 exec_lo, exec_lo, s3
	v_and_b32_e32 v71, 0x7f800000, v72
	s_delay_alu instid0(VALU_DEP_1) | instskip(SKIP_1) | instid1(SALU_CYCLE_1)
	v_cmp_ne_u32_e32 vcc_lo, 0x7f800000, v71
                                        ; implicit-def: $vgpr71
	s_and_saveexec_b32 s3, vcc_lo
	s_xor_b32 s3, exec_lo, s3
; %bb.49:
	v_bfe_u32 v71, v72, 16, 1
	s_delay_alu instid0(VALU_DEP_1)
	v_add3_u32 v71, v72, v71, 0x7fff
                                        ; implicit-def: $vgpr72
; %bb.50:
	s_and_not1_saveexec_b32 s3, s3
; %bb.51:
	v_and_b32_e32 v71, 0xffff, v72
	v_or_b32_e32 v82, 0x10000, v72
	s_delay_alu instid0(VALU_DEP_2) | instskip(NEXT) | instid1(VALU_DEP_2)
	v_cmp_eq_u32_e32 vcc_lo, 0, v71
	v_cndmask_b32_e32 v71, v82, v72, vcc_lo
; %bb.52:
	s_or_b32 exec_lo, exec_lo, s3
	v_and_b32_e32 v72, 0x7f800000, v79
	s_delay_alu instid0(VALU_DEP_1) | instskip(SKIP_1) | instid1(SALU_CYCLE_1)
	v_cmp_ne_u32_e32 vcc_lo, 0x7f800000, v72
                                        ; implicit-def: $vgpr72
	s_and_saveexec_b32 s3, vcc_lo
	s_xor_b32 s3, exec_lo, s3
; %bb.53:
	v_bfe_u32 v72, v79, 16, 1
	s_delay_alu instid0(VALU_DEP_1)
	v_add3_u32 v72, v79, v72, 0x7fff
                                        ; implicit-def: $vgpr79
; %bb.54:
	s_and_not1_saveexec_b32 s3, s3
; %bb.55:
	v_and_b32_e32 v72, 0xffff, v79
	v_or_b32_e32 v82, 0x10000, v79
	s_delay_alu instid0(VALU_DEP_2) | instskip(NEXT) | instid1(VALU_DEP_2)
	v_cmp_eq_u32_e32 vcc_lo, 0, v72
	v_cndmask_b32_e32 v72, v82, v79, vcc_lo
; %bb.56:
	s_or_b32 exec_lo, exec_lo, s3
	v_and_b32_e32 v79, 0x7f800000, v81
	s_delay_alu instid0(VALU_DEP_1) | instskip(SKIP_1) | instid1(SALU_CYCLE_1)
	v_cmp_ne_u32_e32 vcc_lo, 0x7f800000, v79
                                        ; implicit-def: $vgpr79
	s_and_saveexec_b32 s3, vcc_lo
	s_xor_b32 s3, exec_lo, s3
; %bb.57:
	v_bfe_u32 v79, v81, 16, 1
	s_delay_alu instid0(VALU_DEP_1)
	v_add3_u32 v79, v81, v79, 0x7fff
                                        ; implicit-def: $vgpr81
; %bb.58:
	s_and_not1_saveexec_b32 s3, s3
; %bb.59:
	v_and_b32_e32 v79, 0xffff, v81
	v_or_b32_e32 v82, 0x10000, v81
	s_delay_alu instid0(VALU_DEP_2) | instskip(NEXT) | instid1(VALU_DEP_2)
	v_cmp_eq_u32_e32 vcc_lo, 0, v79
	v_cndmask_b32_e32 v79, v82, v81, vcc_lo
; %bb.60:
	s_or_b32 exec_lo, exec_lo, s3
	v_and_b32_e32 v81, 0x7f800000, v77
	s_delay_alu instid0(VALU_DEP_1) | instskip(SKIP_1) | instid1(SALU_CYCLE_1)
	v_cmp_ne_u32_e32 vcc_lo, 0x7f800000, v81
                                        ; implicit-def: $vgpr81
	s_and_saveexec_b32 s3, vcc_lo
	s_xor_b32 s3, exec_lo, s3
; %bb.61:
	v_bfe_u32 v81, v77, 16, 1
	s_delay_alu instid0(VALU_DEP_1)
	v_add3_u32 v81, v77, v81, 0x7fff
                                        ; implicit-def: $vgpr77
; %bb.62:
	s_and_not1_saveexec_b32 s3, s3
; %bb.63:
	v_and_b32_e32 v81, 0xffff, v77
	v_or_b32_e32 v82, 0x10000, v77
	s_delay_alu instid0(VALU_DEP_2) | instskip(NEXT) | instid1(VALU_DEP_2)
	v_cmp_eq_u32_e32 vcc_lo, 0, v81
	v_cndmask_b32_e32 v81, v82, v77, vcc_lo
; %bb.64:
	s_or_b32 exec_lo, exec_lo, s3
	v_and_b32_e32 v77, 0x7f800000, v78
	s_delay_alu instid0(VALU_DEP_1) | instskip(SKIP_1) | instid1(SALU_CYCLE_1)
	v_cmp_ne_u32_e32 vcc_lo, 0x7f800000, v77
                                        ; implicit-def: $vgpr77
	s_and_saveexec_b32 s3, vcc_lo
	s_xor_b32 s3, exec_lo, s3
; %bb.65:
	v_bfe_u32 v77, v78, 16, 1
	s_delay_alu instid0(VALU_DEP_1)
	v_add3_u32 v77, v78, v77, 0x7fff
                                        ; implicit-def: $vgpr78
; %bb.66:
	s_and_not1_saveexec_b32 s3, s3
; %bb.67:
	v_and_b32_e32 v77, 0xffff, v78
	v_or_b32_e32 v82, 0x10000, v78
	s_delay_alu instid0(VALU_DEP_2) | instskip(NEXT) | instid1(VALU_DEP_2)
	v_cmp_eq_u32_e32 vcc_lo, 0, v77
	v_cndmask_b32_e32 v77, v82, v78, vcc_lo
; %bb.68:
	s_or_b32 exec_lo, exec_lo, s3
	v_and_b32_e32 v78, 0x7f800000, v70
	s_delay_alu instid0(VALU_DEP_1) | instskip(SKIP_1) | instid1(SALU_CYCLE_1)
	v_cmp_ne_u32_e32 vcc_lo, 0x7f800000, v78
                                        ; implicit-def: $vgpr78
	s_and_saveexec_b32 s3, vcc_lo
	s_xor_b32 s3, exec_lo, s3
; %bb.69:
	v_bfe_u32 v78, v70, 16, 1
	s_delay_alu instid0(VALU_DEP_1)
	v_add3_u32 v78, v70, v78, 0x7fff
                                        ; implicit-def: $vgpr70
; %bb.70:
	s_and_not1_saveexec_b32 s3, s3
; %bb.71:
	v_and_b32_e32 v78, 0xffff, v70
	v_or_b32_e32 v82, 0x10000, v70
	s_delay_alu instid0(VALU_DEP_2) | instskip(NEXT) | instid1(VALU_DEP_2)
	v_cmp_eq_u32_e32 vcc_lo, 0, v78
	v_cndmask_b32_e32 v78, v82, v70, vcc_lo
; %bb.72:
	s_or_b32 exec_lo, exec_lo, s3
	v_and_b32_e32 v70, 0x7f800000, v66
	s_delay_alu instid0(VALU_DEP_1) | instskip(SKIP_1) | instid1(SALU_CYCLE_1)
	v_cmp_ne_u32_e32 vcc_lo, 0x7f800000, v70
                                        ; implicit-def: $vgpr70
	s_and_saveexec_b32 s3, vcc_lo
	s_xor_b32 s3, exec_lo, s3
; %bb.73:
	v_bfe_u32 v70, v66, 16, 1
	s_delay_alu instid0(VALU_DEP_1)
	v_add3_u32 v70, v66, v70, 0x7fff
                                        ; implicit-def: $vgpr66
; %bb.74:
	s_and_not1_saveexec_b32 s3, s3
; %bb.75:
	v_and_b32_e32 v70, 0xffff, v66
	v_or_b32_e32 v82, 0x10000, v66
	s_delay_alu instid0(VALU_DEP_2) | instskip(NEXT) | instid1(VALU_DEP_2)
	v_cmp_eq_u32_e32 vcc_lo, 0, v70
	v_cndmask_b32_e32 v70, v82, v66, vcc_lo
; %bb.76:
	s_or_b32 exec_lo, exec_lo, s3
	s_delay_alu instid0(VALU_DEP_1)
	v_perm_b32 v86, v70, v78, 0x7060302
	v_perm_b32 v85, v77, v81, 0x7060302
	;; [unrolled: 1-line block ×4, first 2 shown]
	v_lshl_or_b32 v82, v65, 11, v80
	ds_store_b128 v76, v[83:86] offset:1024
	s_waitcnt lgkmcnt(0)
	s_barrier
	buffer_gl0_inv
	ds_load_b128 v[69:72], v82
	ds_load_b128 v[83:86], v82 offset:16
	s_waitcnt lgkmcnt(1)
	v_lshrrev_b32_e32 v65, 16, v69
	v_lshlrev_b32_e32 v78, 2, v75
	s_waitcnt lgkmcnt(0)
	v_lshrrev_b32_e32 v91, 16, v83
	v_lshrrev_b32_e32 v66, 16, v70
	;; [unrolled: 1-line block ×4, first 2 shown]
	v_cmp_eq_u32_e32 vcc_lo, 1, v78
	v_lshrrev_b32_e32 v98, 16, v85
	v_lshrrev_b32_e32 v96, 16, v72
	;; [unrolled: 1-line block ×3, first 2 shown]
	v_cndmask_b32_e32 v81, v69, v65, vcc_lo
	v_or_b32_e32 v79, 1, v78
	v_cmp_eq_u32_e64 s4, 2, v78
	v_cndmask_b32_e32 v87, v83, v91, vcc_lo
	v_cmp_eq_u32_e64 s7, 3, v78
	v_cmp_eq_u32_e64 s9, 4, v78
	;; [unrolled: 1-line block ×3, first 2 shown]
	v_cndmask_b32_e64 v81, v81, v70, s4
	v_cmp_eq_u32_e64 s6, 2, v79
	v_cndmask_b32_e64 v87, v87, v84, s4
	v_cmp_eq_u32_e64 s8, 3, v79
	v_cndmask_b32_e64 v88, v69, v65, s3
	v_cndmask_b32_e64 v81, v81, v66, s7
	v_or_b32_e32 v77, 2, v78
	v_cndmask_b32_e64 v87, v87, v97, s7
	v_cndmask_b32_e64 v89, v83, v91, s3
	;; [unrolled: 1-line block ×4, first 2 shown]
	v_cmp_eq_u32_e64 s10, 5, v78
	v_cndmask_b32_e64 v87, v87, v85, s9
	v_cmp_eq_u32_e64 s11, 4, v79
	v_cndmask_b32_e64 v88, v88, v66, s8
	;; [unrolled: 2-line block ×3, first 2 shown]
	v_cndmask_b32_e64 v81, v81, v95, s10
	v_cmp_eq_u32_e64 s12, 6, v78
	v_cndmask_b32_e64 v88, v88, v71, s11
	v_cndmask_b32_e64 v87, v87, v98, s10
	v_cmp_eq_u32_e64 s13, 5, v79
	v_cndmask_b32_e64 v90, v69, v65, s5
	v_cndmask_b32_e64 v89, v89, v97, s8
	;; [unrolled: 1-line block ×3, first 2 shown]
	v_cmp_eq_u32_e64 s15, 7, v78
	v_cndmask_b32_e64 v88, v88, v95, s13
	v_cndmask_b32_e64 v87, v87, v86, s12
	v_cmp_eq_u32_e64 s16, 6, v79
	v_cmp_eq_u32_e64 s17, 2, v77
	v_cndmask_b32_e64 v89, v89, v85, s11
	v_cndmask_b32_e64 v100, v81, v96, s15
	;; [unrolled: 1-line block ×6, first 2 shown]
	v_cmp_eq_u32_e64 s18, 7, v79
	v_cmp_eq_u32_e64 s19, 3, v77
	;; [unrolled: 1-line block ×4, first 2 shown]
	v_cndmask_b32_e64 v87, v87, v84, s17
	v_cndmask_b32_e64 v102, v88, v96, s18
	;; [unrolled: 1-line block ×4, first 2 shown]
	v_or_b32_e32 v81, 3, v78
	v_cndmask_b32_e64 v93, v87, v97, s19
	v_cmp_eq_u32_e64 s24, 6, v77
	v_cndmask_b32_e64 v103, v88, v86, s16
	v_cndmask_b32_e64 v92, v89, v71, s20
	v_cmp_eq_u32_e64 s21, 1, v81
	ds_load_b128 v[87:90], v82 offset:1024
	v_cmp_eq_u32_e64 s23, 2, v81
	v_cmp_eq_u32_e64 s25, 3, v81
	v_cndmask_b32_e64 v104, v92, v95, s22
	v_cndmask_b32_e64 v65, v69, v65, s21
	;; [unrolled: 1-line block ×4, first 2 shown]
	ds_load_b128 v[91:94], v82 offset:1040
	v_cmp_eq_u32_e64 s26, 4, v81
	v_cndmask_b32_e64 v65, v65, v70, s23
	v_cmp_eq_u32_e64 s28, 5, v81
	v_cndmask_b32_e64 v70, v83, v84, s23
	;; [unrolled: 2-line block ×3, first 2 shown]
	v_cndmask_b32_e64 v65, v65, v66, s25
	v_cndmask_b32_e64 v66, v104, v72, s24
	;; [unrolled: 1-line block ×3, first 2 shown]
	v_cmp_eq_u32_e64 s27, 7, v77
	v_cndmask_b32_e64 v69, v69, v86, s24
	v_cndmask_b32_e64 v65, v65, v71, s26
	s_waitcnt lgkmcnt(1)
	v_lshrrev_b32_e32 v84, 16, v87
	v_cndmask_b32_e64 v70, v70, v85, s26
	v_cndmask_b32_e64 v83, v103, v99, s18
	;; [unrolled: 1-line block ×4, first 2 shown]
	v_lshrrev_b32_e32 v95, 16, v88
	v_cndmask_b32_e64 v70, v70, v98, s28
	s_waitcnt lgkmcnt(0)
	v_lshrrev_b32_e32 v85, 16, v91
	v_cndmask_b32_e64 v97, v87, v84, s3
	v_cndmask_b32_e64 v65, v65, v72, s29
	;; [unrolled: 1-line block ×4, first 2 shown]
	v_cndmask_b32_e32 v71, v87, v84, vcc_lo
	v_cndmask_b32_e32 v98, v91, v85, vcc_lo
	v_cmp_eq_u32_e32 vcc_lo, 7, v81
	v_cndmask_b32_e64 v72, v97, v88, s6
	v_lshrrev_b32_e32 v97, 16, v92
	v_lshrrev_b32_e32 v103, 16, v90
	v_dual_cndmask_b32 v65, v65, v96 :: v_dual_cndmask_b32 v70, v70, v99
	v_cndmask_b32_e64 v71, v71, v88, s4
	v_cndmask_b32_e64 v86, v98, v92, s4
	;; [unrolled: 1-line block ×3, first 2 shown]
	v_lshrrev_b32_e32 v98, 16, v89
	v_lshrrev_b32_e32 v99, 16, v93
	v_cndmask_b32_e64 v71, v71, v95, s7
	v_cndmask_b32_e64 v86, v86, v97, s7
	;; [unrolled: 1-line block ×3, first 2 shown]
	v_perm_b32 v72, v70, v65, 0x5040100
	v_perm_b32 v70, v83, v102, 0x5040100
	v_cndmask_b32_e64 v71, v71, v89, s9
	v_cndmask_b32_e64 v86, v86, v93, s9
	;; [unrolled: 1-line block ×3, first 2 shown]
	v_lshrrev_b32_e32 v83, 16, v94
	s_delay_alu instid0(VALU_DEP_4) | instskip(NEXT) | instid1(VALU_DEP_4)
	v_cndmask_b32_e64 v71, v71, v98, s10
	v_cndmask_b32_e64 v86, v86, v99, s10
	s_delay_alu instid0(VALU_DEP_4) | instskip(NEXT) | instid1(VALU_DEP_3)
	v_cndmask_b32_e64 v65, v65, v90, s16
	v_cndmask_b32_e64 v96, v71, v90, s12
	v_perm_b32 v71, v69, v66, 0x5040100
	s_delay_alu instid0(VALU_DEP_4)
	v_cndmask_b32_e64 v69, v86, v94, s12
	v_cndmask_b32_e64 v86, v87, v84, s5
	;; [unrolled: 1-line block ×34, first 2 shown]
	v_cndmask_b32_e32 v84, v84, v103, vcc_lo
	v_cndmask_b32_e32 v86, v87, v83, vcc_lo
	v_cndmask_b32_e64 v87, v88, v83, s27
	v_cndmask_b32_e64 v88, v85, v83, s18
	;; [unrolled: 1-line block ×3, first 2 shown]
	v_perm_b32 v69, v101, v100, 0x5040100
	v_perm_b32 v86, v86, v84, 0x5040100
	;; [unrolled: 1-line block ×5, first 2 shown]
	s_lshl_b32 s8, s35, 3
	s_mov_b32 s3, exec_lo
	ds_store_b128 v76, v[69:72]
	ds_store_b128 v76, v[83:86] offset:1024
	v_cmpx_gt_u32_e32 8, v0
	s_cbranch_execz .LBB1493_78
; %bb.77:
	v_or_b32_e32 v65, s31, v0
	s_load_b128 s[4:7], s[0:1], 0x58
	s_delay_alu instid0(VALU_DEP_1) | instskip(NEXT) | instid1(VALU_DEP_1)
	v_mad_u64_u32 v[69:70], null, s8, s30, v[65:66]
	v_mad_u64_u32 v[65:66], null, v69, s34, s[14:15]
	s_delay_alu instid0(VALU_DEP_1) | instskip(NEXT) | instid1(VALU_DEP_1)
	v_ashrrev_i32_e32 v66, 31, v65
	v_lshlrev_b64 v[65:66], 2, v[65:66]
	s_waitcnt lgkmcnt(0)
	s_delay_alu instid0(VALU_DEP_1) | instskip(NEXT) | instid1(VALU_DEP_2)
	v_add_co_u32 v69, vcc_lo, s6, v65
	v_add_co_ci_u32_e32 v70, vcc_lo, s7, v66, vcc_lo
	v_add_co_u32 v65, vcc_lo, s4, v65
	v_add_co_ci_u32_e32 v66, vcc_lo, s5, v66, vcc_lo
	global_store_b32 v[69:70], v67, off
	global_store_b32 v[65:66], v68, off
.LBB1493_78:
	s_or_b32 exec_lo, exec_lo, s3
	s_waitcnt lgkmcnt(0)
	s_waitcnt_vscnt null, 0x0
	s_barrier
	buffer_gl0_inv
	ds_load_b128 v[83:86], v80
	ds_load_b128 v[87:90], v80 offset:16
	ds_load_b128 v[95:98], v80 offset:2064
	;; [unrolled: 1-line block ×3, first 2 shown]
	v_mov_b32_e32 v65, 0
	ds_load_b128 v[103:106], v80 offset:4112
	ds_load_b128 v[99:102], v80 offset:4096
	;; [unrolled: 1-line block ×4, first 2 shown]
	v_mov_b32_e32 v66, v65
	v_mov_b32_e32 v67, v65
	;; [unrolled: 1-line block ×7, first 2 shown]
	s_waitcnt lgkmcnt(6)
	s_delay_alu instid0(VALU_DEP_1)
	v_wmma_f32_16x16x16_bf16 v[65:72], v[57:64], v[83:90], v[65:72]
	ds_load_b128 v[61:64], v80 offset:8208
	ds_load_b128 v[57:60], v80 offset:8192
	s_waitcnt lgkmcnt(6)
	v_wmma_f32_16x16x16_bf16 v[65:72], v[41:48], v[91:98], v[65:72]
	ds_load_b128 v[45:48], v80 offset:10256
	ds_load_b128 v[41:44], v80 offset:10240
	s_waitcnt lgkmcnt(6)
	;; [unrolled: 4-line block ×4, first 2 shown]
	v_wmma_f32_16x16x16_bf16 v[65:72], v[1:8], v[57:64], v[65:72]
	s_waitcnt lgkmcnt(4)
	s_delay_alu instid0(VALU_DEP_1) | instskip(SKIP_1) | instid1(VALU_DEP_1)
	v_wmma_f32_16x16x16_bf16 v[65:72], v[9:16], v[41:48], v[65:72]
	s_waitcnt lgkmcnt(2)
	v_wmma_f32_16x16x16_bf16 v[65:72], v[17:24], v[33:40], v[65:72]
	s_waitcnt lgkmcnt(0)
	s_delay_alu instid0(VALU_DEP_1) | instskip(NEXT) | instid1(VALU_DEP_1)
	v_wmma_f32_16x16x16_bf16 v[65:72], v[49:56], v[25:32], v[65:72]
	v_and_b32_e32 v1, 0x7f800000, v65
	s_delay_alu instid0(VALU_DEP_1) | instskip(SKIP_1) | instid1(SALU_CYCLE_1)
	v_cmp_ne_u32_e32 vcc_lo, 0x7f800000, v1
                                        ; implicit-def: $vgpr1
	s_and_saveexec_b32 s3, vcc_lo
	s_xor_b32 s3, exec_lo, s3
; %bb.79:
	v_bfe_u32 v1, v65, 16, 1
	s_delay_alu instid0(VALU_DEP_1)
	v_add3_u32 v1, v65, v1, 0x7fff
; %bb.80:
	s_and_not1_saveexec_b32 s3, s3
; %bb.81:
	v_and_b32_e32 v1, 0xffff, v65
	v_or_b32_e32 v2, 0x10000, v65
	s_delay_alu instid0(VALU_DEP_2) | instskip(NEXT) | instid1(VALU_DEP_2)
	v_cmp_eq_u32_e32 vcc_lo, 0, v1
	v_cndmask_b32_e32 v1, v2, v65, vcc_lo
; %bb.82:
	s_or_b32 exec_lo, exec_lo, s3
	v_and_b32_e32 v2, 0x7f800000, v66
	s_delay_alu instid0(VALU_DEP_1) | instskip(SKIP_1) | instid1(SALU_CYCLE_1)
	v_cmp_ne_u32_e32 vcc_lo, 0x7f800000, v2
                                        ; implicit-def: $vgpr2
	s_and_saveexec_b32 s3, vcc_lo
	s_xor_b32 s3, exec_lo, s3
; %bb.83:
	v_bfe_u32 v2, v66, 16, 1
	s_delay_alu instid0(VALU_DEP_1)
	v_add3_u32 v2, v66, v2, 0x7fff
; %bb.84:
	s_and_not1_saveexec_b32 s3, s3
; %bb.85:
	v_and_b32_e32 v2, 0xffff, v66
	v_or_b32_e32 v3, 0x10000, v66
	s_delay_alu instid0(VALU_DEP_2) | instskip(NEXT) | instid1(VALU_DEP_2)
	v_cmp_eq_u32_e32 vcc_lo, 0, v2
	v_cndmask_b32_e32 v2, v3, v66, vcc_lo
; %bb.86:
	s_or_b32 exec_lo, exec_lo, s3
	v_and_b32_e32 v3, 0x7f800000, v67
	s_delay_alu instid0(VALU_DEP_1) | instskip(SKIP_1) | instid1(SALU_CYCLE_1)
	v_cmp_ne_u32_e32 vcc_lo, 0x7f800000, v3
                                        ; implicit-def: $vgpr3
	s_and_saveexec_b32 s3, vcc_lo
	s_xor_b32 s3, exec_lo, s3
; %bb.87:
	v_bfe_u32 v3, v67, 16, 1
	s_delay_alu instid0(VALU_DEP_1)
	v_add3_u32 v3, v67, v3, 0x7fff
; %bb.88:
	s_and_not1_saveexec_b32 s3, s3
; %bb.89:
	v_and_b32_e32 v3, 0xffff, v67
	v_or_b32_e32 v4, 0x10000, v67
	s_delay_alu instid0(VALU_DEP_2) | instskip(NEXT) | instid1(VALU_DEP_2)
	v_cmp_eq_u32_e32 vcc_lo, 0, v3
	v_cndmask_b32_e32 v3, v4, v67, vcc_lo
; %bb.90:
	s_or_b32 exec_lo, exec_lo, s3
	v_and_b32_e32 v4, 0x7f800000, v68
	s_delay_alu instid0(VALU_DEP_1) | instskip(SKIP_1) | instid1(SALU_CYCLE_1)
	v_cmp_ne_u32_e32 vcc_lo, 0x7f800000, v4
                                        ; implicit-def: $vgpr4
	s_and_saveexec_b32 s3, vcc_lo
	s_xor_b32 s3, exec_lo, s3
; %bb.91:
	v_bfe_u32 v4, v68, 16, 1
	s_delay_alu instid0(VALU_DEP_1)
	v_add3_u32 v4, v68, v4, 0x7fff
; %bb.92:
	s_and_not1_saveexec_b32 s3, s3
; %bb.93:
	v_and_b32_e32 v4, 0xffff, v68
	v_or_b32_e32 v5, 0x10000, v68
	s_delay_alu instid0(VALU_DEP_2) | instskip(NEXT) | instid1(VALU_DEP_2)
	v_cmp_eq_u32_e32 vcc_lo, 0, v4
	v_cndmask_b32_e32 v4, v5, v68, vcc_lo
; %bb.94:
	s_or_b32 exec_lo, exec_lo, s3
	v_and_b32_e32 v5, 0x7f800000, v69
	s_delay_alu instid0(VALU_DEP_1) | instskip(SKIP_1) | instid1(SALU_CYCLE_1)
	v_cmp_ne_u32_e32 vcc_lo, 0x7f800000, v5
                                        ; implicit-def: $vgpr5
	s_and_saveexec_b32 s3, vcc_lo
	s_xor_b32 s3, exec_lo, s3
; %bb.95:
	v_bfe_u32 v5, v69, 16, 1
	s_delay_alu instid0(VALU_DEP_1)
	v_add3_u32 v5, v69, v5, 0x7fff
; %bb.96:
	s_and_not1_saveexec_b32 s3, s3
; %bb.97:
	v_and_b32_e32 v5, 0xffff, v69
	v_or_b32_e32 v6, 0x10000, v69
	s_delay_alu instid0(VALU_DEP_2) | instskip(NEXT) | instid1(VALU_DEP_2)
	v_cmp_eq_u32_e32 vcc_lo, 0, v5
	v_cndmask_b32_e32 v5, v6, v69, vcc_lo
; %bb.98:
	s_or_b32 exec_lo, exec_lo, s3
	v_and_b32_e32 v6, 0x7f800000, v70
	s_delay_alu instid0(VALU_DEP_1) | instskip(SKIP_1) | instid1(SALU_CYCLE_1)
	v_cmp_ne_u32_e32 vcc_lo, 0x7f800000, v6
                                        ; implicit-def: $vgpr6
	s_and_saveexec_b32 s3, vcc_lo
	s_xor_b32 s3, exec_lo, s3
; %bb.99:
	v_bfe_u32 v6, v70, 16, 1
	s_delay_alu instid0(VALU_DEP_1)
	v_add3_u32 v6, v70, v6, 0x7fff
; %bb.100:
	s_and_not1_saveexec_b32 s3, s3
; %bb.101:
	v_and_b32_e32 v6, 0xffff, v70
	v_or_b32_e32 v7, 0x10000, v70
	s_delay_alu instid0(VALU_DEP_2) | instskip(NEXT) | instid1(VALU_DEP_2)
	v_cmp_eq_u32_e32 vcc_lo, 0, v6
	v_cndmask_b32_e32 v6, v7, v70, vcc_lo
; %bb.102:
	s_or_b32 exec_lo, exec_lo, s3
	v_and_b32_e32 v7, 0x7f800000, v71
	s_delay_alu instid0(VALU_DEP_1) | instskip(SKIP_1) | instid1(SALU_CYCLE_1)
	v_cmp_ne_u32_e32 vcc_lo, 0x7f800000, v7
                                        ; implicit-def: $vgpr7
	s_and_saveexec_b32 s3, vcc_lo
	s_xor_b32 s3, exec_lo, s3
; %bb.103:
	v_bfe_u32 v7, v71, 16, 1
	s_delay_alu instid0(VALU_DEP_1)
	v_add3_u32 v7, v71, v7, 0x7fff
; %bb.104:
	s_and_not1_saveexec_b32 s3, s3
; %bb.105:
	v_and_b32_e32 v7, 0xffff, v71
	v_or_b32_e32 v8, 0x10000, v71
	s_delay_alu instid0(VALU_DEP_2) | instskip(NEXT) | instid1(VALU_DEP_2)
	v_cmp_eq_u32_e32 vcc_lo, 0, v7
	v_cndmask_b32_e32 v7, v8, v71, vcc_lo
; %bb.106:
	s_or_b32 exec_lo, exec_lo, s3
	v_and_b32_e32 v8, 0x7f800000, v72
	s_delay_alu instid0(VALU_DEP_1) | instskip(SKIP_1) | instid1(SALU_CYCLE_1)
	v_cmp_ne_u32_e32 vcc_lo, 0x7f800000, v8
                                        ; implicit-def: $vgpr8
	s_and_saveexec_b32 s3, vcc_lo
	s_xor_b32 s3, exec_lo, s3
; %bb.107:
	v_bfe_u32 v8, v72, 16, 1
	s_delay_alu instid0(VALU_DEP_1)
	v_add3_u32 v8, v72, v8, 0x7fff
                                        ; implicit-def: $vgpr65_vgpr66_vgpr67_vgpr68_vgpr69_vgpr70_vgpr71_vgpr72
; %bb.108:
	s_and_not1_saveexec_b32 s3, s3
; %bb.109:
	v_and_b32_e32 v8, 0xffff, v72
	v_or_b32_e32 v9, 0x10000, v72
	s_delay_alu instid0(VALU_DEP_2) | instskip(NEXT) | instid1(VALU_DEP_2)
	v_cmp_eq_u32_e32 vcc_lo, 0, v8
	v_cndmask_b32_e32 v8, v9, v72, vcc_lo
; %bb.110:
	s_or_b32 exec_lo, exec_lo, s3
	s_delay_alu instid0(VALU_DEP_1)
	v_perm_b32 v7, v8, v7, 0x7060302
	v_perm_b32 v6, v6, v5, 0x7060302
	;; [unrolled: 1-line block ×4, first 2 shown]
	s_barrier
	buffer_gl0_inv
	v_cmp_eq_u32_e32 vcc_lo, 1, v78
	ds_store_b128 v76, v[4:7]
	s_waitcnt lgkmcnt(0)
	s_barrier
	buffer_gl0_inv
	ds_load_b128 v[1:4], v82
	ds_load_b128 v[5:8], v82 offset:16
	v_cmp_eq_u32_e64 s3, 1, v79
	v_cmp_eq_u32_e64 s4, 2, v78
	v_cmp_eq_u32_e64 s5, 3, v78
	v_cmp_eq_u32_e64 s7, 2, v77
	v_cmp_eq_u32_e64 s6, 7, v79
	s_waitcnt lgkmcnt(1)
	v_lshrrev_b32_e32 v9, 16, v1
	s_waitcnt lgkmcnt(0)
	v_lshrrev_b32_e32 v13, 16, v5
	v_lshrrev_b32_e32 v10, 16, v2
	;; [unrolled: 1-line block ×4, first 2 shown]
	v_cndmask_b32_e64 v19, v1, v9, s3
	v_cndmask_b32_e32 v18, v5, v13, vcc_lo
	v_cndmask_b32_e64 v20, v5, v13, s3
	v_cndmask_b32_e32 v17, v1, v9, vcc_lo
	v_cmp_eq_u32_e32 vcc_lo, 2, v79
	v_lshrrev_b32_e32 v15, 16, v7
	v_cmp_eq_u32_e64 s3, 1, v77
	v_lshrrev_b32_e32 v12, 16, v4
	v_lshrrev_b32_e32 v16, 16, v8
	v_cndmask_b32_e32 v20, v20, v6, vcc_lo
	v_cndmask_b32_e64 v17, v17, v2, s4
	v_cndmask_b32_e32 v19, v19, v2, vcc_lo
	v_cndmask_b32_e64 v18, v18, v6, s4
	v_cmp_eq_u32_e32 vcc_lo, 4, v78
	v_cmp_eq_u32_e64 s4, 3, v79
	v_cndmask_b32_e64 v17, v17, v10, s5
	v_cndmask_b32_e64 v21, v1, v9, s3
	;; [unrolled: 1-line block ×5, first 2 shown]
	v_cndmask_b32_e32 v17, v17, v3, vcc_lo
	v_cndmask_b32_e64 v20, v20, v14, s4
	v_cndmask_b32_e32 v18, v18, v7, vcc_lo
	v_cmp_eq_u32_e32 vcc_lo, 4, v79
	v_cmp_eq_u32_e64 s4, 5, v79
	v_cmp_eq_u32_e64 s3, 2, v81
	v_cndmask_b32_e64 v21, v21, v2, s7
	v_cmp_eq_u32_e64 s5, 5, v78
	v_cndmask_b32_e32 v19, v19, v3, vcc_lo
	v_cndmask_b32_e32 v20, v20, v7, vcc_lo
	v_cmp_eq_u32_e32 vcc_lo, 6, v79
	s_delay_alu instid0(VALU_DEP_4) | instskip(NEXT) | instid1(VALU_DEP_4)
	v_cndmask_b32_e64 v17, v17, v11, s5
	v_cndmask_b32_e64 v19, v19, v11, s4
	s_delay_alu instid0(VALU_DEP_4) | instskip(SKIP_1) | instid1(VALU_DEP_3)
	v_cndmask_b32_e64 v20, v20, v15, s4
	v_cmp_eq_u32_e64 s4, 1, v81
	v_cndmask_b32_e32 v19, v19, v4, vcc_lo
	v_cndmask_b32_e64 v18, v18, v15, s5
	s_delay_alu instid0(VALU_DEP_3)
	v_cndmask_b32_e64 v1, v1, v9, s4
	v_cndmask_b32_e64 v5, v5, v13, s4
	v_cmp_eq_u32_e64 s4, 3, v77
	v_cndmask_b32_e64 v13, v22, v6, s7
	v_cmp_eq_u32_e64 s7, 3, v81
	v_cndmask_b32_e64 v1, v1, v2, s3
	v_cndmask_b32_e64 v2, v5, v6, s3
	v_cndmask_b32_e64 v9, v21, v10, s4
	v_cmp_eq_u32_e64 s3, 4, v77
	v_cndmask_b32_e64 v6, v13, v14, s4
	v_cndmask_b32_e64 v1, v1, v10, s7
	v_cmp_eq_u32_e64 s4, 4, v81
	v_cndmask_b32_e64 v2, v2, v14, s7
	v_cndmask_b32_e64 v5, v9, v3, s3
	v_cmp_eq_u32_e64 s7, 5, v77
	v_cndmask_b32_e64 v6, v6, v7, s3
	v_cndmask_b32_e64 v1, v1, v3, s4
	v_cndmask_b32_e64 v2, v2, v7, s4
	v_cmp_eq_u32_e64 s3, 5, v81
	v_cmp_eq_u32_e64 s5, 6, v78
	v_cndmask_b32_e64 v5, v5, v11, s7
	v_cmp_eq_u32_e64 s4, 6, v77
	v_cndmask_b32_e64 v3, v6, v15, s7
	v_cndmask_b32_e64 v1, v1, v11, s3
	v_cmp_eq_u32_e64 s7, 6, v81
	v_cndmask_b32_e64 v2, v2, v15, s3
	v_cndmask_b32_e64 v17, v17, v4, s5
	v_cndmask_b32_e64 v18, v18, v8, s5
	v_cmp_eq_u32_e64 s5, 7, v78
	v_cndmask_b32_e64 v5, v5, v4, s4
	;; [unrolled: 4-line block ×3, first 2 shown]
	v_cmp_eq_u32_e64 s4, 7, v77
	v_cndmask_b32_e32 v4, v20, v8, vcc_lo
	v_cndmask_b32_e64 v17, v17, v12, s5
	v_cndmask_b32_e64 v19, v19, v12, s6
	;; [unrolled: 1-line block ×8, first 2 shown]
	v_cmp_gt_u32_e32 vcc_lo, 32, v0
	v_perm_b32 v4, v2, v1, 0x5040100
	v_perm_b32 v3, v3, v5, 0x5040100
	;; [unrolled: 1-line block ×4, first 2 shown]
	s_and_b32 s2, vcc_lo, s2
	ds_store_b128 v76, v[1:4]
	s_waitcnt lgkmcnt(0)
	s_barrier
	buffer_gl0_inv
	s_and_saveexec_b32 s3, s2
	s_cbranch_execz .LBB1493_2
; %bb.111:
	s_load_b64 s[0:1], s[0:1], 0x68
	s_lshl_b32 s4, s34, 6
	v_or_b32_e32 v2, s31, v75
	s_mul_i32 s2, s4, s30
	v_lshlrev_b32_e32 v1, 10, v0
	s_mul_i32 s2, s2, s8
	v_lshlrev_b32_e32 v3, 4, v74
	v_mul_lo_u32 v0, v2, s4
	s_ashr_i32 s3, s2, 31
	v_lshlrev_b32_e32 v4, 6, v75
	v_and_b32_e32 v1, 0x3800, v1
	v_or_b32_e32 v5, 2, v2
	s_lshl_b64 s[2:3], s[2:3], 1
	v_or_b32_e32 v6, 4, v2
	v_or_b32_e32 v7, 6, v2
	v_or3_b32 v12, v1, v3, v4
	v_ashrrev_i32_e32 v1, 31, v0
	v_mul_lo_u32 v2, v5, s4
	v_mul_lo_u32 v16, v6, s4
	v_mul_lo_u32 v20, v7, s4
	s_waitcnt lgkmcnt(0)
	s_add_u32 s2, s0, s2
	s_addc_u32 s3, s1, s3
	s_lshl_b32 s0, s14, 6
	v_lshlrev_b64 v[0:1], 1, v[0:1]
	s_ashr_i32 s1, s0, 31
	v_ashrrev_i32_e32 v3, 31, v2
	s_lshl_b64 s[0:1], s[0:1], 1
	v_ashrrev_i32_e32 v17, 31, v16
	s_add_u32 s0, s2, s0
	s_addc_u32 s1, s3, s1
	v_add_co_u32 v24, s0, s0, v73
	s_delay_alu instid0(VALU_DEP_1) | instskip(SKIP_1) | instid1(VALU_DEP_3)
	v_add_co_ci_u32_e64 v25, null, s1, 0, s0
	v_lshlrev_b64 v[22:23], 1, v[2:3]
	v_add_co_u32 v18, vcc_lo, v24, v0
	s_delay_alu instid0(VALU_DEP_3)
	v_add_co_ci_u32_e32 v19, vcc_lo, v25, v1, vcc_lo
	ds_load_b128 v[0:3], v12
	ds_load_b128 v[4:7], v12 offset:128
	ds_load_b128 v[8:11], v12 offset:256
	;; [unrolled: 1-line block ×3, first 2 shown]
	v_ashrrev_i32_e32 v21, 31, v20
	v_lshlrev_b64 v[16:17], 1, v[16:17]
	v_add_co_u32 v22, vcc_lo, v24, v22
	v_add_co_ci_u32_e32 v23, vcc_lo, v25, v23, vcc_lo
	s_delay_alu instid0(VALU_DEP_4) | instskip(NEXT) | instid1(VALU_DEP_4)
	v_lshlrev_b64 v[20:21], 1, v[20:21]
	v_add_co_u32 v16, vcc_lo, v24, v16
	v_add_co_ci_u32_e32 v17, vcc_lo, v25, v17, vcc_lo
	s_delay_alu instid0(VALU_DEP_3) | instskip(NEXT) | instid1(VALU_DEP_4)
	v_add_co_u32 v20, vcc_lo, v24, v20
	v_add_co_ci_u32_e32 v21, vcc_lo, v25, v21, vcc_lo
	s_waitcnt lgkmcnt(3)
	global_store_b128 v[18:19], v[0:3], off
	s_waitcnt lgkmcnt(2)
	global_store_b128 v[22:23], v[4:7], off
	;; [unrolled: 2-line block ×4, first 2 shown]
	s_nop 0
	s_sendmsg sendmsg(MSG_DEALLOC_VGPRS)
	s_endpgm
	.section	.rodata,"a",@progbits
	.p2align	6, 0x0
	.amdhsa_kernel _Z39paged_attention_ll4mi_QKV_mfma16_kernelI14__hip_bfloat16hLN4vllm18Fp8KVCacheDataTypeE1ES0_Li32ELi64ELi256ELb0ELi8EL8MFMAType1EEvPKT_PKT0_S9_ifPKiSB_SB_iPKfiiiPfSE_PS4_PT2_iSD_SD_
		.amdhsa_group_segment_fixed_size 17472
		.amdhsa_private_segment_fixed_size 0
		.amdhsa_kernarg_size 400
		.amdhsa_user_sgpr_count 13
		.amdhsa_user_sgpr_dispatch_ptr 0
		.amdhsa_user_sgpr_queue_ptr 0
		.amdhsa_user_sgpr_kernarg_segment_ptr 1
		.amdhsa_user_sgpr_dispatch_id 0
		.amdhsa_user_sgpr_private_segment_size 0
		.amdhsa_wavefront_size32 1
		.amdhsa_uses_dynamic_stack 0
		.amdhsa_enable_private_segment 0
		.amdhsa_system_sgpr_workgroup_id_x 1
		.amdhsa_system_sgpr_workgroup_id_y 1
		.amdhsa_system_sgpr_workgroup_id_z 1
		.amdhsa_system_sgpr_workgroup_info 0
		.amdhsa_system_vgpr_workitem_id 0
		.amdhsa_next_free_vgpr 124
		.amdhsa_next_free_sgpr 40
		.amdhsa_reserve_vcc 1
		.amdhsa_float_round_mode_32 0
		.amdhsa_float_round_mode_16_64 0
		.amdhsa_float_denorm_mode_32 3
		.amdhsa_float_denorm_mode_16_64 3
		.amdhsa_dx10_clamp 1
		.amdhsa_ieee_mode 1
		.amdhsa_fp16_overflow 0
		.amdhsa_workgroup_processor_mode 1
		.amdhsa_memory_ordered 1
		.amdhsa_forward_progress 0
		.amdhsa_shared_vgpr_count 0
		.amdhsa_exception_fp_ieee_invalid_op 0
		.amdhsa_exception_fp_denorm_src 0
		.amdhsa_exception_fp_ieee_div_zero 0
		.amdhsa_exception_fp_ieee_overflow 0
		.amdhsa_exception_fp_ieee_underflow 0
		.amdhsa_exception_fp_ieee_inexact 0
		.amdhsa_exception_int_div_zero 0
	.end_amdhsa_kernel
	.section	.text._Z39paged_attention_ll4mi_QKV_mfma16_kernelI14__hip_bfloat16hLN4vllm18Fp8KVCacheDataTypeE1ES0_Li32ELi64ELi256ELb0ELi8EL8MFMAType1EEvPKT_PKT0_S9_ifPKiSB_SB_iPKfiiiPfSE_PS4_PT2_iSD_SD_,"axG",@progbits,_Z39paged_attention_ll4mi_QKV_mfma16_kernelI14__hip_bfloat16hLN4vllm18Fp8KVCacheDataTypeE1ES0_Li32ELi64ELi256ELb0ELi8EL8MFMAType1EEvPKT_PKT0_S9_ifPKiSB_SB_iPKfiiiPfSE_PS4_PT2_iSD_SD_,comdat
.Lfunc_end1493:
	.size	_Z39paged_attention_ll4mi_QKV_mfma16_kernelI14__hip_bfloat16hLN4vllm18Fp8KVCacheDataTypeE1ES0_Li32ELi64ELi256ELb0ELi8EL8MFMAType1EEvPKT_PKT0_S9_ifPKiSB_SB_iPKfiiiPfSE_PS4_PT2_iSD_SD_, .Lfunc_end1493-_Z39paged_attention_ll4mi_QKV_mfma16_kernelI14__hip_bfloat16hLN4vllm18Fp8KVCacheDataTypeE1ES0_Li32ELi64ELi256ELb0ELi8EL8MFMAType1EEvPKT_PKT0_S9_ifPKiSB_SB_iPKfiiiPfSE_PS4_PT2_iSD_SD_
                                        ; -- End function
	.section	.AMDGPU.csdata,"",@progbits
; Kernel info:
; codeLenInByte = 8732
; NumSgprs: 42
; NumVgprs: 124
; ScratchSize: 0
; MemoryBound: 0
; FloatMode: 240
; IeeeMode: 1
; LDSByteSize: 17472 bytes/workgroup (compile time only)
; SGPRBlocks: 5
; VGPRBlocks: 15
; NumSGPRsForWavesPerEU: 42
; NumVGPRsForWavesPerEU: 124
; Occupancy: 10
; WaveLimiterHint : 1
; COMPUTE_PGM_RSRC2:SCRATCH_EN: 0
; COMPUTE_PGM_RSRC2:USER_SGPR: 13
; COMPUTE_PGM_RSRC2:TRAP_HANDLER: 0
; COMPUTE_PGM_RSRC2:TGID_X_EN: 1
; COMPUTE_PGM_RSRC2:TGID_Y_EN: 1
; COMPUTE_PGM_RSRC2:TGID_Z_EN: 1
; COMPUTE_PGM_RSRC2:TIDIG_COMP_CNT: 0
	.section	.text._Z39paged_attention_ll4mi_QKV_mfma16_kernelI14__hip_bfloat16hLN4vllm18Fp8KVCacheDataTypeE1ES0_Li32ELi64ELi256ELb0ELi9EL8MFMAType1EEvPKT_PKT0_S9_ifPKiSB_SB_iPKfiiiPfSE_PS4_PT2_iSD_SD_,"axG",@progbits,_Z39paged_attention_ll4mi_QKV_mfma16_kernelI14__hip_bfloat16hLN4vllm18Fp8KVCacheDataTypeE1ES0_Li32ELi64ELi256ELb0ELi9EL8MFMAType1EEvPKT_PKT0_S9_ifPKiSB_SB_iPKfiiiPfSE_PS4_PT2_iSD_SD_,comdat
	.protected	_Z39paged_attention_ll4mi_QKV_mfma16_kernelI14__hip_bfloat16hLN4vllm18Fp8KVCacheDataTypeE1ES0_Li32ELi64ELi256ELb0ELi9EL8MFMAType1EEvPKT_PKT0_S9_ifPKiSB_SB_iPKfiiiPfSE_PS4_PT2_iSD_SD_ ; -- Begin function _Z39paged_attention_ll4mi_QKV_mfma16_kernelI14__hip_bfloat16hLN4vllm18Fp8KVCacheDataTypeE1ES0_Li32ELi64ELi256ELb0ELi9EL8MFMAType1EEvPKT_PKT0_S9_ifPKiSB_SB_iPKfiiiPfSE_PS4_PT2_iSD_SD_
	.globl	_Z39paged_attention_ll4mi_QKV_mfma16_kernelI14__hip_bfloat16hLN4vllm18Fp8KVCacheDataTypeE1ES0_Li32ELi64ELi256ELb0ELi9EL8MFMAType1EEvPKT_PKT0_S9_ifPKiSB_SB_iPKfiiiPfSE_PS4_PT2_iSD_SD_
	.p2align	8
	.type	_Z39paged_attention_ll4mi_QKV_mfma16_kernelI14__hip_bfloat16hLN4vllm18Fp8KVCacheDataTypeE1ES0_Li32ELi64ELi256ELb0ELi9EL8MFMAType1EEvPKT_PKT0_S9_ifPKiSB_SB_iPKfiiiPfSE_PS4_PT2_iSD_SD_,@function
_Z39paged_attention_ll4mi_QKV_mfma16_kernelI14__hip_bfloat16hLN4vllm18Fp8KVCacheDataTypeE1ES0_Li32ELi64ELi256ELb0ELi9EL8MFMAType1EEvPKT_PKT0_S9_ifPKiSB_SB_iPKfiiiPfSE_PS4_PT2_iSD_SD_: ; @_Z39paged_attention_ll4mi_QKV_mfma16_kernelI14__hip_bfloat16hLN4vllm18Fp8KVCacheDataTypeE1ES0_Li32ELi64ELi256ELb0ELi9EL8MFMAType1EEvPKT_PKT0_S9_ifPKiSB_SB_iPKfiiiPfSE_PS4_PT2_iSD_SD_
; %bb.0:
	s_load_b64 s[2:3], s[0:1], 0x30
	s_mov_b32 s34, s13
	s_waitcnt lgkmcnt(0)
	s_cmp_lg_u64 s[2:3], 0
	s_cselect_b32 s8, -1, 0
	s_ashr_i32 s35, s13, 31
	s_cmp_eq_u64 s[2:3], 0
	s_cbranch_scc1 .LBB1494_3
; %bb.1:
	s_lshl_b64 s[4:5], s[34:35], 2
	s_delay_alu instid0(SALU_CYCLE_1) | instskip(SKIP_4) | instid1(SALU_CYCLE_1)
	s_add_u32 s4, s2, s4
	s_addc_u32 s5, s3, s5
	s_load_b64 s[4:5], s[4:5], 0x0
	s_waitcnt lgkmcnt(0)
	s_sub_i32 s4, s5, s4
	s_cmp_eq_u32 s4, 1
	s_cselect_b32 s4, -1, 0
	s_delay_alu instid0(SALU_CYCLE_1)
	s_and_not1_b32 vcc_lo, exec_lo, s4
	s_cbranch_vccz .LBB1494_4
.LBB1494_2:
	s_nop 0
	s_sendmsg sendmsg(MSG_DEALLOC_VGPRS)
	s_endpgm
.LBB1494_3:
.LBB1494_4:
	s_load_b64 s[4:5], s[0:1], 0x28
	s_lshl_b64 s[6:7], s[34:35], 2
	s_waitcnt lgkmcnt(0)
	s_add_u32 s4, s4, s6
	s_addc_u32 s5, s5, s7
	s_lshl_b32 s12, s14, 8
	s_load_b32 s24, s[4:5], 0x0
	s_waitcnt lgkmcnt(0)
	s_cmp_ge_i32 s12, s24
	s_cbranch_scc1 .LBB1494_2
; %bb.5:
	s_clause 0x1
	s_load_b128 s[20:23], s[0:1], 0x8
	s_load_b64 s[4:5], s[0:1], 0x20
	s_and_not1_b32 vcc_lo, exec_lo, s8
	s_cbranch_vccnz .LBB1494_7
; %bb.6:
	s_add_u32 s2, s2, s6
	s_addc_u32 s3, s3, s7
	s_load_b32 s3, s[2:3], 0x0
	s_branch .LBB1494_8
.LBB1494_7:
	s_mov_b32 s3, s34
.LBB1494_8:
	s_load_b128 s[16:19], s[0:1], 0x48
	v_lshrrev_b32_e32 v66, 5, v0
	v_bfe_u32 v74, v0, 4, 1
	v_and_b32_e32 v65, 15, v0
	v_and_b32_e32 v67, 31, v0
	;; [unrolled: 1-line block ×3, first 2 shown]
	s_mul_i32 s31, s15, 9
	v_lshl_or_b32 v1, v66, 1, v74
	v_lshlrev_b32_e32 v2, 3, v65
	v_cmp_gt_u32_e64 s2, 8, v65
	s_delay_alu instid0(VALU_DEP_3) | instskip(NEXT) | instid1(VALU_DEP_3)
	v_cmp_gt_u32_e32 vcc_lo, 9, v1
	v_lshlrev_b32_e32 v73, 1, v2
	s_delay_alu instid0(VALU_DEP_3) | instskip(NEXT) | instid1(SALU_CYCLE_1)
	s_and_b32 s7, s2, vcc_lo
	s_and_saveexec_b32 s6, s7
	s_cbranch_execz .LBB1494_10
; %bb.9:
	s_load_b64 s[8:9], s[0:1], 0x0
	v_add_lshl_u32 v2, v1, s31, 6
	s_waitcnt lgkmcnt(0)
	s_mul_hi_i32 s11, s3, s16
	s_mul_i32 s10, s3, s16
	v_lshlrev_b32_e32 v6, 10, v65
	s_lshl_b64 s[10:11], s[10:11], 1
	v_ashrrev_i32_e32 v3, 31, v2
	v_lshlrev_b32_e32 v1, 6, v1
	v_lshlrev_b32_e32 v7, 10, v75
	v_and_b32_e32 v6, 0x3800, v6
	s_delay_alu instid0(VALU_DEP_4) | instskip(NEXT) | instid1(VALU_DEP_2)
	v_lshlrev_b64 v[2:3], 1, v[2:3]
	v_or3_b32 v1, v6, v7, v1
	s_add_u32 s3, s8, s10
	s_addc_u32 s7, s9, s11
	s_delay_alu instid0(VALU_DEP_2) | instskip(NEXT) | instid1(VALU_DEP_3)
	v_add_co_u32 v2, vcc_lo, s3, v2
	v_add_co_ci_u32_e32 v3, vcc_lo, s7, v3, vcc_lo
	s_delay_alu instid0(VALU_DEP_2) | instskip(NEXT) | instid1(VALU_DEP_2)
	v_add_co_u32 v2, vcc_lo, v2, v73
	v_add_co_ci_u32_e32 v3, vcc_lo, 0, v3, vcc_lo
	global_load_b128 v[2:5], v[2:3], off
	s_waitcnt vmcnt(0)
	ds_store_b128 v1, v[2:5]
.LBB1494_10:
	s_or_b32 exec_lo, exec_lo, s6
	v_and_b32_e32 v1, 0xef, v0
	s_waitcnt lgkmcnt(0)
	s_add_i32 s3, s24, 31
	s_clause 0x1
	s_load_b32 s6, s[0:1], 0x38
	s_load_b32 s19, s[0:1], 0x1c
	s_ashr_i32 s7, s3, 31
	v_add_nc_u32_e32 v1, s12, v1
	s_lshr_b32 s7, s7, 27
	s_waitcnt lgkmcnt(0)
	s_add_i32 s3, s3, s7
	s_barrier
	v_ashrrev_i32_e32 v2, 31, v1
	v_or_b32_e32 v3, 16, v1
	s_ashr_i32 s3, s3, 5
	v_cmp_gt_i32_e32 vcc_lo, s24, v1
	s_add_i32 s3, s3, -1
	v_lshrrev_b32_e32 v2, 27, v2
	buffer_gl0_inv
	s_mul_i32 s27, s15, s18
	v_add_nc_u32_e32 v4, v1, v2
	s_mul_i32 s6, s34, s6
	s_delay_alu instid0(SALU_CYCLE_1) | instskip(NEXT) | instid1(VALU_DEP_1)
	s_ashr_i32 s7, s6, 31
	v_ashrrev_i32_e32 v4, 5, v4
	v_add_nc_u32_e32 v2, v3, v2
	s_lshl_b64 s[6:7], s[6:7], 2
	s_delay_alu instid0(SALU_CYCLE_1) | instskip(NEXT) | instid1(VALU_DEP_2)
	s_add_u32 s26, s4, s6
	v_cndmask_b32_e32 v1, s3, v4, vcc_lo
	s_delay_alu instid0(VALU_DEP_2)
	v_ashrrev_i32_e32 v2, 5, v2
	v_cmp_gt_i32_e32 vcc_lo, s24, v3
	s_addc_u32 s25, s5, s7
	s_ashr_i32 s28, s27, 31
	s_add_u32 s4, s20, s27
	s_addc_u32 s5, s21, s28
	v_cndmask_b32_e32 v3, s3, v2, vcc_lo
	v_ashrrev_i32_e32 v2, 31, v1
	s_lshl_b32 s6, s14, 3
	s_delay_alu instid0(SALU_CYCLE_1) | instskip(NEXT) | instid1(VALU_DEP_2)
	s_ashr_i32 s7, s6, 31
	v_ashrrev_i32_e32 v4, 31, v3
	s_delay_alu instid0(VALU_DEP_2) | instskip(SKIP_1) | instid1(SALU_CYCLE_1)
	v_lshlrev_b64 v[1:2], 2, v[1:2]
	s_lshl_b64 s[6:7], s[6:7], 2
	s_add_u32 s6, s26, s6
	s_delay_alu instid0(VALU_DEP_2) | instskip(SKIP_1) | instid1(VALU_DEP_2)
	v_lshlrev_b64 v[3:4], 2, v[3:4]
	s_addc_u32 s7, s25, s7
	v_add_co_u32 v1, vcc_lo, s26, v1
	v_add_co_ci_u32_e32 v2, vcc_lo, s25, v2, vcc_lo
	s_delay_alu instid0(VALU_DEP_3) | instskip(NEXT) | instid1(VALU_DEP_4)
	v_add_co_u32 v3, vcc_lo, s26, v3
	v_add_co_ci_u32_e32 v4, vcc_lo, s25, v4, vcc_lo
	s_clause 0x1
	global_load_b32 v5, v[1:2], off
	global_load_b32 v6, v[3:4], off
	s_or_b32 s8, s12, 32
	s_delay_alu instid0(SALU_CYCLE_1) | instskip(SKIP_2) | instid1(SALU_CYCLE_1)
	s_ashr_i32 s9, s8, 5
	s_cmp_lt_i32 s8, s24
	s_cselect_b32 s8, s9, s3
	s_ashr_i32 s9, s8, 31
	s_delay_alu instid0(SALU_CYCLE_1) | instskip(NEXT) | instid1(SALU_CYCLE_1)
	s_lshl_b64 s[8:9], s[8:9], 2
	s_add_u32 s8, s26, s8
	s_addc_u32 s9, s25, s9
	s_or_b32 s10, s12, 64
	s_delay_alu instid0(SALU_CYCLE_1) | instskip(SKIP_2) | instid1(SALU_CYCLE_1)
	s_ashr_i32 s11, s10, 5
	s_cmp_lt_i32 s10, s24
	s_cselect_b32 s10, s11, s3
	s_ashr_i32 s11, s10, 31
	s_delay_alu instid0(SALU_CYCLE_1) | instskip(NEXT) | instid1(SALU_CYCLE_1)
	s_lshl_b64 s[10:11], s[10:11], 2
	s_add_u32 s10, s26, s10
	s_addc_u32 s11, s25, s11
	;; [unrolled: 10-line block ×5, first 2 shown]
	s_clause 0x5
	s_load_b32 s21, s[6:7], 0x0
	s_load_b32 s13, s[8:9], 0x0
	;; [unrolled: 1-line block ×6, first 2 shown]
	s_or_b32 s8, s12, 0xc0
	s_delay_alu instid0(SALU_CYCLE_1) | instskip(SKIP_2) | instid1(SALU_CYCLE_1)
	s_ashr_i32 s9, s8, 5
	s_cmp_lt_i32 s8, s24
	s_cselect_b32 s36, s9, s3
	s_ashr_i32 s37, s36, 31
	s_delay_alu instid0(SALU_CYCLE_1) | instskip(NEXT) | instid1(SALU_CYCLE_1)
	s_lshl_b64 s[36:37], s[36:37], 2
	s_add_u32 s36, s26, s36
	s_addc_u32 s37, s25, s37
	s_or_b32 s29, s12, 0xe0
	s_delay_alu instid0(SALU_CYCLE_1)
	s_ashr_i32 s30, s29, 5
	s_cmp_lt_i32 s29, s24
	s_waitcnt vmcnt(1)
	v_mad_i64_i32 v[1:2], null, v5, s17, s[4:5]
	s_waitcnt vmcnt(0)
	v_mad_i64_i32 v[3:4], null, v6, s17, s[4:5]
	s_mov_b32 s4, 0
	s_delay_alu instid0(SALU_CYCLE_1)
	s_mov_b32 s5, s4
	s_mov_b32 s6, s4
	;; [unrolled: 1-line block ×7, first 2 shown]
	v_lshlrev_b32_e32 v5, 4, v65
	v_dual_mov_b32 v107, s11 :: v_dual_mov_b32 v102, s6
	v_mov_b32_e32 v100, s4
	v_mov_b32_e32 v106, s10
	s_delay_alu instid0(VALU_DEP_4)
	v_add_co_u32 v1, vcc_lo, v1, v5
	v_add_co_ci_u32_e32 v2, vcc_lo, 0, v2, vcc_lo
	v_add_co_u32 v3, vcc_lo, v3, v5
	v_add_co_ci_u32_e32 v4, vcc_lo, 0, v4, vcc_lo
	s_clause 0x7
	global_load_b128 v[49:52], v[1:2], off
	global_load_b128 v[53:56], v[1:2], off offset:512
	global_load_b128 v[76:79], v[3:4], off offset:256
	;; [unrolled: 1-line block ×7, first 2 shown]
	v_add_nc_u32_e32 v1, -9, v65
	v_cmp_gt_u32_e32 vcc_lo, 9, v65
	v_dual_mov_b32 v104, s8 :: v_dual_mov_b32 v103, s7
	v_dual_mov_b32 v101, s5 :: v_dual_lshlrev_b32 v2, 5, v65
	s_delay_alu instid0(VALU_DEP_4)
	v_cndmask_b32_e32 v1, v1, v65, vcc_lo
	v_mov_b32_e32 v105, s9
	s_cselect_b32 s4, s30, s3
	s_load_b32 s3, s[36:37], 0x0
	s_ashr_i32 s5, s4, 31
	v_lshlrev_b32_e32 v70, 6, v1
	s_lshl_b64 s[4:5], s[4:5], 2
	v_lshl_or_b32 v2, v66, 9, v2
	s_add_u32 s4, s26, s4
	s_addc_u32 s5, s25, s5
	ds_load_b128 v[108:111], v70
	ds_load_b128 v[112:115], v70 offset:1024
	s_load_b32 s4, s[4:5], 0x0
	s_add_u32 s6, s22, s27
	s_addc_u32 s7, s23, s28
	v_add_co_u32 v9, s6, s6, v2
	s_delay_alu instid0(VALU_DEP_1) | instskip(SKIP_1) | instid1(VALU_DEP_1)
	v_add_co_ci_u32_e64 v10, null, s7, 0, s6
	s_waitcnt lgkmcnt(0)
	v_mad_i64_i32 v[1:2], null, s21, s17, v[9:10]
	v_mad_i64_i32 v[3:4], null, s13, s17, v[9:10]
	;; [unrolled: 1-line block ×7, first 2 shown]
	s_clause 0x9
	global_load_b128 v[57:60], v[1:2], off
	global_load_b128 v[61:64], v[1:2], off offset:16
	global_load_b128 v[41:44], v[3:4], off
	global_load_b128 v[45:48], v[3:4], off offset:16
	;; [unrolled: 2-line block ×5, first 2 shown]
	v_mad_i64_i32 v[68:69], null, s4, s17, v[9:10]
	s_clause 0x3
	global_load_b128 v[9:12], v[13:14], off
	global_load_b128 v[13:16], v[13:14], off offset:16
	global_load_b128 v[17:20], v[21:22], off
	global_load_b128 v[21:24], v[21:22], off offset:16
	s_waitcnt vmcnt(20)
	v_wmma_f32_16x16x16_bf16 v[116:123], v[49:56], v[108:115], v[100:107]
	s_clause 0x1
	global_load_b128 v[49:52], v[68:69], off
	global_load_b128 v[53:56], v[68:69], off offset:16
	v_and_b32_e32 v68, 0xe0, v0
	v_mbcnt_lo_u32_b32 v69, -1, 0
	s_delay_alu instid0(VALU_DEP_2)
	v_add_nc_u32_e32 v68, s12, v68
	s_waitcnt vmcnt(20)
	v_wmma_f32_16x16x16_bf16 v[100:107], v[76:83], v[108:115], v[100:107]
	ds_load_b128 v[76:79], v70 offset:2048
	ds_load_b128 v[80:83], v70 offset:3072
	v_xor_b32_e32 v70, 16, v69
	s_waitcnt vmcnt(0) lgkmcnt(0)
	v_or_b32_e32 v68, v68, v74
	s_barrier
	buffer_gl0_inv
	v_cmp_gt_i32_e32 vcc_lo, 32, v70
	v_or_b32_e32 v71, 4, v68
	v_or_b32_e32 v72, 6, v68
	v_cmp_gt_i32_e64 s3, s24, v68
	v_or_b32_e32 v108, 8, v68
	v_or_b32_e32 v109, 10, v68
	v_cmp_gt_i32_e64 s4, s24, v71
	v_cmp_gt_i32_e64 s5, s24, v72
	s_delay_alu instid0(VALU_DEP_4) | instskip(NEXT) | instid1(VALU_DEP_4)
	v_cmp_gt_i32_e64 s6, s24, v108
	v_cmp_gt_i32_e64 s7, s24, v109
	v_wmma_f32_16x16x16_bf16 v[116:123], v[84:91], v[76:83], v[116:123]
	v_cndmask_b32_e32 v69, v69, v70, vcc_lo
	v_or_b32_e32 v70, 2, v68
	v_wmma_f32_16x16x16_bf16 v[100:107], v[92:99], v[76:83], v[100:107]
	v_or_b32_e32 v89, 22, v68
	v_dual_mul_f32 v80, s19, v121 :: v_dual_mul_f32 v81, s19, v120
	v_dual_mul_f32 v92, s19, v117 :: v_dual_mul_f32 v93, s19, v116
	s_delay_alu instid0(VALU_DEP_4)
	v_mul_f32_e32 v96, s19, v105
	v_cmp_gt_i32_e32 vcc_lo, s24, v70
	v_dual_mul_f32 v79, s19, v122 :: v_dual_mul_f32 v82, s19, v119
	v_dual_mul_f32 v83, s19, v118 :: v_dual_mul_f32 v94, s19, v107
	v_cndmask_b32_e64 v93, 0xff7fffff, v93, s3
	v_cndmask_b32_e32 v92, 0xff7fffff, v92, vcc_lo
	v_or_b32_e32 v84, 12, v68
	v_or_b32_e32 v85, 14, v68
	v_cndmask_b32_e64 v71, 0xff7fffff, v83, s4
	v_cndmask_b32_e64 v72, 0xff7fffff, v82, s5
	v_cmp_gt_i32_e64 s13, s24, v89
	v_lshlrev_b32_e32 v89, 2, v69
	v_max3_f32 v82, v93, 0xff7fffff, v92
	v_or_b32_e32 v86, 16, v68
	v_or_b32_e32 v87, 18, v68
	v_mul_f32_e32 v78, s19, v123
	v_cndmask_b32_e64 v81, 0xff7fffff, v81, s6
	v_cndmask_b32_e64 v80, 0xff7fffff, v80, s7
	v_max3_f32 v71, v82, v71, v72
	v_cmp_gt_i32_e64 s8, s24, v84
	v_cmp_gt_i32_e64 s9, s24, v85
	v_or_b32_e32 v88, 20, v68
	v_or_b32_e32 v90, 24, v68
	;; [unrolled: 1-line block ×5, first 2 shown]
	v_dual_mul_f32 v97, s19, v104 :: v_dual_mul_f32 v70, s19, v101
	v_dual_mul_f32 v99, s19, v102 :: v_dual_mul_f32 v68, s19, v100
	v_cndmask_b32_e64 v72, 0xff7fffff, v79, s8
	v_cndmask_b32_e64 v78, 0xff7fffff, v78, s9
	v_max3_f32 v71, v71, v81, v80
	v_cmp_gt_i32_e64 s10, s24, v86
	v_cmp_gt_i32_e64 s11, s24, v87
	v_dual_mul_f32 v95, s19, v106 :: v_dual_mul_f32 v98, s19, v103
	s_delay_alu instid0(VALU_DEP_4) | instskip(NEXT) | instid1(VALU_DEP_4)
	v_max3_f32 v71, v71, v72, v78
	v_cndmask_b32_e64 v68, 0xff7fffff, v68, s10
	s_delay_alu instid0(VALU_DEP_4)
	v_cndmask_b32_e64 v70, 0xff7fffff, v70, s11
	v_cmp_gt_i32_e64 s12, s24, v88
	v_cndmask_b32_e64 v78, 0xff7fffff, v98, s13
	v_cmp_gt_i32_e64 s15, s24, v90
	v_cmp_gt_i32_e64 s16, s24, v91
	v_max3_f32 v68, v71, v68, v70
	v_cndmask_b32_e64 v72, 0xff7fffff, v99, s12
	v_cmp_gt_i32_e64 s17, s24, v76
	v_cndmask_b32_e64 v70, 0xff7fffff, v97, s15
	v_cndmask_b32_e64 v71, 0xff7fffff, v96, s16
	v_cmp_gt_i32_e64 s18, s24, v77
	v_max3_f32 v68, v68, v72, v78
	v_cndmask_b32_e64 v72, 0xff7fffff, v95, s17
	s_delay_alu instid0(VALU_DEP_3) | instskip(NEXT) | instid1(VALU_DEP_3)
	v_cndmask_b32_e64 v76, 0xff7fffff, v94, s18
	v_max3_f32 v68, v68, v70, v71
	s_delay_alu instid0(VALU_DEP_1) | instskip(SKIP_3) | instid1(VALU_DEP_1)
	v_max3_f32 v68, v68, v72, v76
	ds_bpermute_b32 v69, v89, v68
	s_waitcnt lgkmcnt(0)
	v_max_f32_e32 v69, v69, v69
	v_max_f32_e32 v68, v68, v69
	s_delay_alu instid0(VALU_DEP_1) | instskip(NEXT) | instid1(VALU_DEP_1)
	v_fma_f32 v71, s19, v118, -v68
	v_mul_f32_e32 v71, 0x3fb8aa3b, v71
	v_fma_f32 v70, s19, v117, -v68
	v_fma_f32 v69, s19, v116, -v68
	;; [unrolled: 1-line block ×5, first 2 shown]
	s_delay_alu instid0(VALU_DEP_4) | instskip(SKIP_1) | instid1(VALU_DEP_3)
	v_dual_mul_f32 v70, 0x3fb8aa3b, v70 :: v_dual_mul_f32 v69, 0x3fb8aa3b, v69
	v_exp_f32_e32 v71, v71
	v_mul_f32_e32 v72, 0x3fb8aa3b, v72
	v_fma_f32 v81, s19, v105, -v68
	s_delay_alu instid0(VALU_DEP_3)
	v_exp_f32_e32 v70, v70
	v_mul_f32_e32 v77, 0x3fb8aa3b, v76
	v_exp_f32_e32 v69, v69
	v_exp_f32_e32 v72, v72
	v_mul_f32_e32 v81, 0x3fb8aa3b, v81
	v_cndmask_b32_e64 v83, 0, v71, s4
	v_fma_f32 v71, s19, v123, -v68
	s_delay_alu instid0(VALU_DEP_3) | instskip(SKIP_4) | instid1(TRANS32_DEP_3)
	v_exp_f32_e32 v81, v81
	v_cndmask_b32_e32 v76, 0, v70, vcc_lo
	v_exp_f32_e32 v77, v77
	v_cndmask_b32_e64 v80, 0, v69, s3
	v_fma_f32 v69, s19, v121, -v68
	v_cndmask_b32_e64 v85, 0, v72, s5
	v_mul_f32_e32 v71, 0x3fb8aa3b, v71
	v_fma_f32 v72, s19, v100, -v68
	s_delay_alu instid0(VALU_DEP_4) | instskip(SKIP_1) | instid1(VALU_DEP_4)
	v_dual_add_f32 v70, 0, v80 :: v_dual_mul_f32 v69, 0x3fb8aa3b, v69
	v_cmp_gt_u32_e64 s3, 16, v67
	v_exp_f32_e32 v71, v71
	s_delay_alu instid0(TRANS32_DEP_2) | instskip(SKIP_4) | instid1(VALU_DEP_3)
	v_cndmask_b32_e64 v86, 0, v77, s6
	v_fma_f32 v77, s19, v101, -v68
	v_mul_f32_e32 v78, 0x3fb8aa3b, v78
	v_add_f32_e32 v70, v70, v76
	v_exp_f32_e32 v69, v69
	v_mul_f32_e32 v77, 0x3fb8aa3b, v77
	s_delay_alu instid0(VALU_DEP_3) | instskip(NEXT) | instid1(TRANS32_DEP_3)
	v_exp_f32_e32 v78, v78
	v_cndmask_b32_e64 v88, 0, v71, s9
	v_fma_f32 v71, s19, v104, -v68
	s_delay_alu instid0(VALU_DEP_3) | instskip(NEXT) | instid1(TRANS32_DEP_3)
	v_exp_f32_e32 v77, v77
	v_cndmask_b32_e64 v87, 0, v69, s7
	s_delay_alu instid0(VALU_DEP_2)
	v_mul_f32_e32 v71, 0x3fb8aa3b, v71
	s_waitcnt_depctr 0xfff
	v_cndmask_b32_e64 v84, 0, v78, s8
	v_add_f32_e32 v70, v70, v83
	v_fma_f32 v78, s19, v103, -v68
	v_exp_f32_e32 v82, v71
	s_delay_alu instid0(VALU_DEP_2) | instskip(SKIP_1) | instid1(VALU_DEP_3)
	v_add_f32_e32 v70, v70, v85
	v_mul_f32_e32 v72, 0x3fb8aa3b, v72
	v_mul_f32_e32 v78, 0x3fb8aa3b, v78
	s_delay_alu instid0(VALU_DEP_3) | instskip(SKIP_1) | instid1(VALU_DEP_4)
	v_add_f32_e32 v69, v70, v86
	v_fma_f32 v70, s19, v102, -v68
	v_exp_f32_e32 v72, v72
	s_delay_alu instid0(VALU_DEP_3) | instskip(NEXT) | instid1(VALU_DEP_1)
	v_exp_f32_e32 v78, v78
	v_dual_add_f32 v69, v69, v87 :: v_dual_mul_f32 v70, 0x3fb8aa3b, v70
	s_delay_alu instid0(VALU_DEP_1) | instskip(NEXT) | instid1(VALU_DEP_2)
	v_add_f32_e32 v69, v69, v84
	v_exp_f32_e32 v79, v70
	s_delay_alu instid0(TRANS32_DEP_3) | instskip(NEXT) | instid1(VALU_DEP_2)
	v_cndmask_b32_e64 v70, 0, v72, s10
	v_add_f32_e32 v72, v69, v88
	v_cndmask_b32_e64 v69, 0, v77, s11
	v_fma_f32 v77, s19, v106, -v68
	s_waitcnt_depctr 0xfff
	v_cndmask_b32_e64 v71, 0, v79, s12
	v_dual_mul_f32 v77, 0x3fb8aa3b, v77 :: v_dual_add_f32 v72, v72, v70
	s_delay_alu instid0(VALU_DEP_1) | instskip(NEXT) | instid1(VALU_DEP_1)
	v_exp_f32_e32 v90, v77
	v_add_f32_e32 v79, v72, v69
	v_cndmask_b32_e64 v72, 0, v78, s13
	v_cndmask_b32_e64 v77, 0, v82, s15
	s_delay_alu instid0(VALU_DEP_3) | instskip(SKIP_1) | instid1(VALU_DEP_1)
	v_add_f32_e32 v78, v79, v71
	v_fma_f32 v79, s19, v107, -v68
	v_dual_add_f32 v82, v78, v72 :: v_dual_mul_f32 v79, 0x3fb8aa3b, v79
	v_cndmask_b32_e64 v78, 0, v81, s16
	s_delay_alu instid0(VALU_DEP_2) | instskip(NEXT) | instid1(VALU_DEP_3)
	v_add_f32_e32 v81, v82, v77
	v_exp_f32_e32 v82, v79
	v_cndmask_b32_e64 v79, 0, v90, s17
	s_delay_alu instid0(VALU_DEP_2) | instskip(NEXT) | instid1(VALU_DEP_1)
	v_add_f32_e32 v81, v81, v78
	v_add_f32_e32 v90, v81, v79
	s_waitcnt_depctr 0xfff
	v_cndmask_b32_e64 v81, 0, v82, s18
	s_delay_alu instid0(VALU_DEP_1)
	v_add_f32_e32 v82, v90, v81
	ds_bpermute_b32 v89, v89, v82
	s_and_saveexec_b32 s4, s3
	s_cbranch_execz .LBB1494_12
; %bb.11:
	v_mul_u32_u24_e32 v67, 0x44, v66
	s_delay_alu instid0(VALU_DEP_1) | instskip(SKIP_1) | instid1(VALU_DEP_1)
	v_lshl_add_u32 v67, v65, 2, v67
	s_waitcnt lgkmcnt(0)
	v_dual_add_f32 v82, v82, v89 :: v_dual_add_nc_u32 v67, 0x4000, v67
	ds_store_2addr_b32 v67, v68, v82 offset1:136
.LBB1494_12:
	s_or_b32 exec_lo, exec_lo, s4
	v_lshlrev_b32_e32 v67, 2, v65
	s_waitcnt lgkmcnt(0)
	s_barrier
	buffer_gl0_inv
	v_cmp_eq_u32_e32 vcc_lo, 1, v66
	v_add_nc_u32_e32 v82, 0x4000, v67
	v_cmp_eq_u32_e64 s4, 2, v66
	v_cmp_eq_u32_e64 s6, 7, v66
	ds_load_2addr_b32 v[89:90], v82 offset1:17
	ds_load_2addr_b32 v[91:92], v82 offset0:34 offset1:51
	ds_load_2addr_b32 v[93:94], v82 offset0:68 offset1:85
	;; [unrolled: 1-line block ×4, first 2 shown]
	s_waitcnt lgkmcnt(4)
	v_max3_f32 v67, v89, 0xff7fffff, v90
	s_waitcnt lgkmcnt(3)
	s_delay_alu instid0(VALU_DEP_1) | instskip(SKIP_1) | instid1(VALU_DEP_1)
	v_max3_f32 v67, v67, v91, v92
	s_waitcnt lgkmcnt(2)
	v_max3_f32 v67, v67, v93, v94
	s_waitcnt lgkmcnt(1)
	s_delay_alu instid0(VALU_DEP_1) | instskip(NEXT) | instid1(VALU_DEP_1)
	v_max3_f32 v67, v67, v95, v96
	v_sub_f32_e32 v93, v93, v67
	s_delay_alu instid0(VALU_DEP_1) | instskip(NEXT) | instid1(VALU_DEP_1)
	v_dual_sub_f32 v68, v89, v67 :: v_dual_mul_f32 v103, 0x3fb8aa3b, v93
	v_mul_f32_e32 v68, 0x3fb8aa3b, v68
	s_delay_alu instid0(VALU_DEP_1)
	v_exp_f32_e32 v100, v68
	v_sub_f32_e32 v68, v92, v67
	v_sub_f32_e32 v99, v90, v67
	ds_load_2addr_b32 v[89:90], v82 offset0:170 offset1:187
	v_dual_mul_f32 v102, 0x3fb8aa3b, v68 :: v_dual_mul_f32 v99, 0x3fb8aa3b, v99
	s_waitcnt lgkmcnt(1)
	v_fma_f32 v68, v100, v97, 0
	s_delay_alu instid0(VALU_DEP_2) | instskip(NEXT) | instid1(VALU_DEP_2)
	v_exp_f32_e32 v102, v102
	v_exp_f32_e32 v99, v99
	s_waitcnt_depctr 0xfff
	v_fmac_f32_e32 v68, v99, v98
	v_sub_f32_e32 v91, v91, v67
	s_delay_alu instid0(VALU_DEP_1)
	v_mul_f32_e32 v101, 0x3fb8aa3b, v91
	ds_load_2addr_b32 v[91:92], v82 offset0:204 offset1:221
	v_sub_f32_e32 v97, v94, v67
	ds_load_2addr_b32 v[93:94], v82 offset0:238 offset1:255
	s_waitcnt lgkmcnt(0)
	v_exp_f32_e32 v101, v101
	s_barrier
	buffer_gl0_inv
	v_dual_fmac_f32 v68, v101, v89 :: v_dual_sub_f32 v89, v96, v67
	v_dual_sub_f32 v82, v95, v67 :: v_dual_mul_f32 v95, 0x3fb8aa3b, v97
	v_exp_f32_e32 v97, v103
	s_delay_alu instid0(VALU_DEP_2) | instskip(NEXT) | instid1(VALU_DEP_2)
	v_dual_fmac_f32 v68, v102, v90 :: v_dual_mul_f32 v89, 0x3fb8aa3b, v89
	v_mul_f32_e32 v82, 0x3fb8aa3b, v82
	s_delay_alu instid0(VALU_DEP_3) | instskip(NEXT) | instid1(VALU_DEP_2)
	v_exp_f32_e32 v95, v95
	v_exp_f32_e32 v89, v89
	s_delay_alu instid0(VALU_DEP_1)
	v_exp_f32_e32 v82, v82
	v_fmac_f32_e32 v68, v97, v91
	s_delay_alu instid0(TRANS32_DEP_3) | instid1(VALU_DEP_1)
	v_fmac_f32_e32 v68, v95, v92
	s_waitcnt_depctr 0xfff
	v_fmac_f32_e32 v68, v82, v93
	s_delay_alu instid0(VALU_DEP_1) | instskip(NEXT) | instid1(VALU_DEP_1)
	v_fmac_f32_e32 v68, v89, v94
	v_add_f32_e32 v90, 0x358637bd, v68
	s_delay_alu instid0(VALU_DEP_1) | instskip(NEXT) | instid1(VALU_DEP_1)
	v_div_scale_f32 v91, null, v90, v90, 1.0
	v_rcp_f32_e32 v92, v91
	s_waitcnt_depctr 0xfff
	v_fma_f32 v93, -v91, v92, 1.0
	s_delay_alu instid0(VALU_DEP_1) | instskip(SKIP_1) | instid1(VALU_DEP_2)
	v_dual_fmac_f32 v92, v93, v92 :: v_dual_cndmask_b32 v93, v100, v99
	v_cmp_eq_u32_e32 vcc_lo, 3, v66
	v_cndmask_b32_e64 v93, v93, v101, s4
	v_cmp_eq_u32_e64 s4, 4, v66
	s_delay_alu instid0(VALU_DEP_2) | instskip(SKIP_1) | instid1(VALU_DEP_2)
	v_cndmask_b32_e32 v93, v93, v102, vcc_lo
	v_cmp_eq_u32_e32 vcc_lo, 5, v66
	v_cndmask_b32_e64 v93, v93, v97, s4
	v_cmp_eq_u32_e64 s4, 6, v66
	s_delay_alu instid0(VALU_DEP_2) | instskip(SKIP_1) | instid1(VALU_DEP_1)
	v_cndmask_b32_e32 v93, v93, v95, vcc_lo
	v_div_scale_f32 v94, s5, 1.0, v90, 1.0
	s_mov_b32 vcc_lo, s5
	s_delay_alu instid0(VALU_DEP_2) | instskip(NEXT) | instid1(VALU_DEP_2)
	v_cndmask_b32_e64 v82, v93, v82, s4
	v_mul_f32_e32 v96, v94, v92
	s_mov_b32 s4, exec_lo
	s_delay_alu instid0(VALU_DEP_2) | instskip(NEXT) | instid1(VALU_DEP_2)
	v_cndmask_b32_e64 v82, v82, v89, s6
	v_fma_f32 v98, -v91, v96, v94
	s_delay_alu instid0(VALU_DEP_1) | instskip(NEXT) | instid1(VALU_DEP_1)
	v_fmac_f32_e32 v96, v98, v92
	v_fma_f32 v91, -v91, v96, v94
	s_delay_alu instid0(VALU_DEP_1) | instskip(NEXT) | instid1(VALU_DEP_1)
	v_div_fmas_f32 v91, v91, v92, v96
	v_div_fixup_f32 v90, v91, v90, 1.0
	s_delay_alu instid0(VALU_DEP_1) | instskip(NEXT) | instid1(VALU_DEP_1)
	v_mul_f32_e32 v82, v82, v90
	v_mul_f32_e32 v87, v82, v87
	;; [unrolled: 1-line block ×7, first 2 shown]
	v_dual_mul_f32 v86, v82, v83 :: v_dual_and_b32 v91, 0x7f800000, v90
	v_mul_f32_e32 v85, v82, v76
                                        ; implicit-def: $vgpr76
	s_delay_alu instid0(VALU_DEP_2)
	v_cmpx_ne_u32_e32 0x7f800000, v91
	s_xor_b32 s4, exec_lo, s4
; %bb.13:
	v_bfe_u32 v76, v90, 16, 1
	s_delay_alu instid0(VALU_DEP_1)
	v_add3_u32 v76, v90, v76, 0x7fff
                                        ; implicit-def: $vgpr90
; %bb.14:
	s_and_not1_saveexec_b32 s4, s4
; %bb.15:
	v_and_b32_e32 v76, 0xffff, v90
	v_or_b32_e32 v83, 0x10000, v90
	s_delay_alu instid0(VALU_DEP_2) | instskip(NEXT) | instid1(VALU_DEP_2)
	v_cmp_eq_u32_e32 vcc_lo, 0, v76
	v_cndmask_b32_e32 v76, v83, v90, vcc_lo
; %bb.16:
	s_or_b32 exec_lo, exec_lo, s4
	v_and_b32_e32 v83, 0x7f800000, v85
	s_delay_alu instid0(VALU_DEP_1) | instskip(SKIP_1) | instid1(SALU_CYCLE_1)
	v_cmp_ne_u32_e32 vcc_lo, 0x7f800000, v83
                                        ; implicit-def: $vgpr83
	s_and_saveexec_b32 s4, vcc_lo
	s_xor_b32 s4, exec_lo, s4
; %bb.17:
	v_bfe_u32 v83, v85, 16, 1
	s_delay_alu instid0(VALU_DEP_1)
	v_add3_u32 v83, v85, v83, 0x7fff
                                        ; implicit-def: $vgpr85
; %bb.18:
	s_and_not1_saveexec_b32 s4, s4
; %bb.19:
	v_and_b32_e32 v83, 0xffff, v85
	v_or_b32_e32 v90, 0x10000, v85
	s_delay_alu instid0(VALU_DEP_2) | instskip(NEXT) | instid1(VALU_DEP_2)
	v_cmp_eq_u32_e32 vcc_lo, 0, v83
	v_cndmask_b32_e32 v83, v90, v85, vcc_lo
; %bb.20:
	s_or_b32 exec_lo, exec_lo, s4
	v_and_b32_e32 v85, 0x7f800000, v86
	s_delay_alu instid0(VALU_DEP_1) | instskip(SKIP_1) | instid1(SALU_CYCLE_1)
	v_cmp_ne_u32_e32 vcc_lo, 0x7f800000, v85
                                        ; implicit-def: $vgpr85
	s_and_saveexec_b32 s4, vcc_lo
	s_xor_b32 s4, exec_lo, s4
; %bb.21:
	v_bfe_u32 v85, v86, 16, 1
	s_delay_alu instid0(VALU_DEP_1)
	v_add3_u32 v85, v86, v85, 0x7fff
                                        ; implicit-def: $vgpr86
; %bb.22:
	s_and_not1_saveexec_b32 s4, s4
; %bb.23:
	v_and_b32_e32 v85, 0xffff, v86
	v_or_b32_e32 v90, 0x10000, v86
	s_delay_alu instid0(VALU_DEP_2) | instskip(NEXT) | instid1(VALU_DEP_2)
	v_cmp_eq_u32_e32 vcc_lo, 0, v85
	v_cndmask_b32_e32 v85, v90, v86, vcc_lo
; %bb.24:
	s_or_b32 exec_lo, exec_lo, s4
	v_and_b32_e32 v86, 0x7f800000, v89
	s_delay_alu instid0(VALU_DEP_1) | instskip(SKIP_1) | instid1(SALU_CYCLE_1)
	v_cmp_ne_u32_e32 vcc_lo, 0x7f800000, v86
                                        ; implicit-def: $vgpr86
	s_and_saveexec_b32 s4, vcc_lo
	s_xor_b32 s4, exec_lo, s4
; %bb.25:
	v_bfe_u32 v86, v89, 16, 1
	s_delay_alu instid0(VALU_DEP_1)
	v_add3_u32 v86, v89, v86, 0x7fff
                                        ; implicit-def: $vgpr89
; %bb.26:
	s_and_not1_saveexec_b32 s4, s4
; %bb.27:
	v_and_b32_e32 v86, 0xffff, v89
	v_or_b32_e32 v90, 0x10000, v89
	s_delay_alu instid0(VALU_DEP_2) | instskip(NEXT) | instid1(VALU_DEP_2)
	v_cmp_eq_u32_e32 vcc_lo, 0, v86
	v_cndmask_b32_e32 v86, v90, v89, vcc_lo
; %bb.28:
	s_or_b32 exec_lo, exec_lo, s4
	v_and_b32_e32 v89, 0x7f800000, v88
	s_delay_alu instid0(VALU_DEP_1) | instskip(SKIP_1) | instid1(SALU_CYCLE_1)
	v_cmp_ne_u32_e32 vcc_lo, 0x7f800000, v89
                                        ; implicit-def: $vgpr89
	s_and_saveexec_b32 s4, vcc_lo
	s_xor_b32 s4, exec_lo, s4
; %bb.29:
	v_bfe_u32 v89, v88, 16, 1
	s_delay_alu instid0(VALU_DEP_1)
	v_add3_u32 v89, v88, v89, 0x7fff
                                        ; implicit-def: $vgpr88
; %bb.30:
	s_and_not1_saveexec_b32 s4, s4
; %bb.31:
	v_and_b32_e32 v89, 0xffff, v88
	v_or_b32_e32 v90, 0x10000, v88
	s_delay_alu instid0(VALU_DEP_2) | instskip(NEXT) | instid1(VALU_DEP_2)
	v_cmp_eq_u32_e32 vcc_lo, 0, v89
	v_cndmask_b32_e32 v89, v90, v88, vcc_lo
; %bb.32:
	s_or_b32 exec_lo, exec_lo, s4
	v_and_b32_e32 v88, 0x7f800000, v87
	s_delay_alu instid0(VALU_DEP_1) | instskip(SKIP_1) | instid1(SALU_CYCLE_1)
	v_cmp_ne_u32_e32 vcc_lo, 0x7f800000, v88
                                        ; implicit-def: $vgpr88
	s_and_saveexec_b32 s4, vcc_lo
	s_xor_b32 s4, exec_lo, s4
; %bb.33:
	v_bfe_u32 v88, v87, 16, 1
	s_delay_alu instid0(VALU_DEP_1)
	v_add3_u32 v88, v87, v88, 0x7fff
                                        ; implicit-def: $vgpr87
; %bb.34:
	s_and_not1_saveexec_b32 s4, s4
; %bb.35:
	v_and_b32_e32 v88, 0xffff, v87
	v_or_b32_e32 v90, 0x10000, v87
	s_delay_alu instid0(VALU_DEP_2) | instskip(NEXT) | instid1(VALU_DEP_2)
	v_cmp_eq_u32_e32 vcc_lo, 0, v88
	v_cndmask_b32_e32 v88, v90, v87, vcc_lo
; %bb.36:
	s_or_b32 exec_lo, exec_lo, s4
	v_and_b32_e32 v87, 0x7f800000, v84
	s_delay_alu instid0(VALU_DEP_1) | instskip(SKIP_1) | instid1(SALU_CYCLE_1)
	v_cmp_ne_u32_e32 vcc_lo, 0x7f800000, v87
                                        ; implicit-def: $vgpr87
	s_and_saveexec_b32 s4, vcc_lo
	s_xor_b32 s4, exec_lo, s4
; %bb.37:
	v_bfe_u32 v87, v84, 16, 1
	s_delay_alu instid0(VALU_DEP_1)
	v_add3_u32 v87, v84, v87, 0x7fff
                                        ; implicit-def: $vgpr84
; %bb.38:
	s_and_not1_saveexec_b32 s4, s4
; %bb.39:
	v_and_b32_e32 v87, 0xffff, v84
	v_or_b32_e32 v90, 0x10000, v84
	s_delay_alu instid0(VALU_DEP_2) | instskip(NEXT) | instid1(VALU_DEP_2)
	v_cmp_eq_u32_e32 vcc_lo, 0, v87
	v_cndmask_b32_e32 v87, v90, v84, vcc_lo
; %bb.40:
	s_or_b32 exec_lo, exec_lo, s4
	v_and_b32_e32 v84, 0x7f800000, v80
	s_delay_alu instid0(VALU_DEP_1) | instskip(SKIP_1) | instid1(SALU_CYCLE_1)
	v_cmp_ne_u32_e32 vcc_lo, 0x7f800000, v84
                                        ; implicit-def: $vgpr84
	s_and_saveexec_b32 s4, vcc_lo
	s_xor_b32 s4, exec_lo, s4
; %bb.41:
	v_bfe_u32 v84, v80, 16, 1
	s_delay_alu instid0(VALU_DEP_1)
	v_add3_u32 v84, v80, v84, 0x7fff
                                        ; implicit-def: $vgpr80
; %bb.42:
	s_and_not1_saveexec_b32 s4, s4
; %bb.43:
	v_and_b32_e32 v84, 0xffff, v80
	v_or_b32_e32 v90, 0x10000, v80
	s_delay_alu instid0(VALU_DEP_2) | instskip(NEXT) | instid1(VALU_DEP_2)
	v_cmp_eq_u32_e32 vcc_lo, 0, v84
	v_cndmask_b32_e32 v84, v90, v80, vcc_lo
; %bb.44:
	s_or_b32 exec_lo, exec_lo, s4
	s_load_b64 s[36:37], s[0:1], 0x94
	v_lshlrev_b32_e32 v91, 4, v74
	s_delay_alu instid0(VALU_DEP_2)
	v_perm_b32 v90, v84, v87, 0x7060302
	v_dual_mul_f32 v79, v82, v79 :: v_dual_lshlrev_b32 v80, 6, v65
	v_dual_mul_f32 v77, v82, v77 :: v_dual_lshlrev_b32 v92, 11, v66
	v_mul_f32_e32 v84, v82, v70
	v_perm_b32 v89, v88, v89, 0x7060302
	v_perm_b32 v88, v86, v85, 0x7060302
	;; [unrolled: 1-line block ×3, first 2 shown]
	v_mul_f32_e32 v70, v82, v81
	v_or3_b32 v76, v91, v92, v80
	v_dual_mul_f32 v78, v82, v78 :: v_dual_and_b32 v85, 0x7f800000, v84
	v_mul_f32_e32 v83, v82, v72
	v_mul_f32_e32 v81, v82, v71
	;; [unrolled: 1-line block ×3, first 2 shown]
	s_mov_b32 s4, exec_lo
	ds_store_b128 v76, v[87:90]
                                        ; implicit-def: $vgpr69
	v_cmpx_ne_u32_e32 0x7f800000, v85
	s_xor_b32 s4, exec_lo, s4
; %bb.45:
	v_bfe_u32 v69, v84, 16, 1
	s_delay_alu instid0(VALU_DEP_1)
	v_add3_u32 v69, v84, v69, 0x7fff
                                        ; implicit-def: $vgpr84
; %bb.46:
	s_and_not1_saveexec_b32 s4, s4
; %bb.47:
	v_and_b32_e32 v69, 0xffff, v84
	v_or_b32_e32 v71, 0x10000, v84
	s_delay_alu instid0(VALU_DEP_2) | instskip(NEXT) | instid1(VALU_DEP_2)
	v_cmp_eq_u32_e32 vcc_lo, 0, v69
	v_cndmask_b32_e32 v69, v71, v84, vcc_lo
; %bb.48:
	s_or_b32 exec_lo, exec_lo, s4
	v_and_b32_e32 v71, 0x7f800000, v72
	s_delay_alu instid0(VALU_DEP_1) | instskip(SKIP_1) | instid1(SALU_CYCLE_1)
	v_cmp_ne_u32_e32 vcc_lo, 0x7f800000, v71
                                        ; implicit-def: $vgpr71
	s_and_saveexec_b32 s4, vcc_lo
	s_xor_b32 s4, exec_lo, s4
; %bb.49:
	v_bfe_u32 v71, v72, 16, 1
	s_delay_alu instid0(VALU_DEP_1)
	v_add3_u32 v71, v72, v71, 0x7fff
                                        ; implicit-def: $vgpr72
; %bb.50:
	s_and_not1_saveexec_b32 s4, s4
; %bb.51:
	v_and_b32_e32 v71, 0xffff, v72
	v_or_b32_e32 v82, 0x10000, v72
	s_delay_alu instid0(VALU_DEP_2) | instskip(NEXT) | instid1(VALU_DEP_2)
	v_cmp_eq_u32_e32 vcc_lo, 0, v71
	v_cndmask_b32_e32 v71, v82, v72, vcc_lo
; %bb.52:
	s_or_b32 exec_lo, exec_lo, s4
	v_and_b32_e32 v72, 0x7f800000, v81
	s_delay_alu instid0(VALU_DEP_1) | instskip(SKIP_1) | instid1(SALU_CYCLE_1)
	v_cmp_ne_u32_e32 vcc_lo, 0x7f800000, v72
                                        ; implicit-def: $vgpr72
	s_and_saveexec_b32 s4, vcc_lo
	s_xor_b32 s4, exec_lo, s4
; %bb.53:
	v_bfe_u32 v72, v81, 16, 1
	s_delay_alu instid0(VALU_DEP_1)
	v_add3_u32 v72, v81, v72, 0x7fff
                                        ; implicit-def: $vgpr81
; %bb.54:
	s_and_not1_saveexec_b32 s4, s4
; %bb.55:
	v_and_b32_e32 v72, 0xffff, v81
	v_or_b32_e32 v82, 0x10000, v81
	s_delay_alu instid0(VALU_DEP_2) | instskip(NEXT) | instid1(VALU_DEP_2)
	v_cmp_eq_u32_e32 vcc_lo, 0, v72
	v_cndmask_b32_e32 v72, v82, v81, vcc_lo
; %bb.56:
	s_or_b32 exec_lo, exec_lo, s4
	v_and_b32_e32 v81, 0x7f800000, v83
	s_delay_alu instid0(VALU_DEP_1) | instskip(SKIP_1) | instid1(SALU_CYCLE_1)
	v_cmp_ne_u32_e32 vcc_lo, 0x7f800000, v81
                                        ; implicit-def: $vgpr81
	s_and_saveexec_b32 s4, vcc_lo
	s_xor_b32 s4, exec_lo, s4
; %bb.57:
	v_bfe_u32 v81, v83, 16, 1
	s_delay_alu instid0(VALU_DEP_1)
	v_add3_u32 v81, v83, v81, 0x7fff
                                        ; implicit-def: $vgpr83
; %bb.58:
	s_and_not1_saveexec_b32 s4, s4
; %bb.59:
	v_and_b32_e32 v81, 0xffff, v83
	v_or_b32_e32 v82, 0x10000, v83
	s_delay_alu instid0(VALU_DEP_2) | instskip(NEXT) | instid1(VALU_DEP_2)
	v_cmp_eq_u32_e32 vcc_lo, 0, v81
	v_cndmask_b32_e32 v81, v82, v83, vcc_lo
; %bb.60:
	s_or_b32 exec_lo, exec_lo, s4
	v_and_b32_e32 v82, 0x7f800000, v77
	s_delay_alu instid0(VALU_DEP_1) | instskip(SKIP_1) | instid1(SALU_CYCLE_1)
	v_cmp_ne_u32_e32 vcc_lo, 0x7f800000, v82
                                        ; implicit-def: $vgpr82
	s_and_saveexec_b32 s4, vcc_lo
	s_xor_b32 s4, exec_lo, s4
; %bb.61:
	v_bfe_u32 v82, v77, 16, 1
	s_delay_alu instid0(VALU_DEP_1)
	v_add3_u32 v82, v77, v82, 0x7fff
                                        ; implicit-def: $vgpr77
; %bb.62:
	s_and_not1_saveexec_b32 s4, s4
; %bb.63:
	v_and_b32_e32 v82, 0xffff, v77
	v_or_b32_e32 v83, 0x10000, v77
	s_delay_alu instid0(VALU_DEP_2) | instskip(NEXT) | instid1(VALU_DEP_2)
	v_cmp_eq_u32_e32 vcc_lo, 0, v82
	v_cndmask_b32_e32 v82, v83, v77, vcc_lo
; %bb.64:
	s_or_b32 exec_lo, exec_lo, s4
	v_and_b32_e32 v77, 0x7f800000, v78
	s_delay_alu instid0(VALU_DEP_1) | instskip(SKIP_1) | instid1(SALU_CYCLE_1)
	v_cmp_ne_u32_e32 vcc_lo, 0x7f800000, v77
                                        ; implicit-def: $vgpr77
	s_and_saveexec_b32 s4, vcc_lo
	s_xor_b32 s4, exec_lo, s4
; %bb.65:
	v_bfe_u32 v77, v78, 16, 1
	s_delay_alu instid0(VALU_DEP_1)
	v_add3_u32 v77, v78, v77, 0x7fff
                                        ; implicit-def: $vgpr78
; %bb.66:
	s_and_not1_saveexec_b32 s4, s4
; %bb.67:
	v_and_b32_e32 v77, 0xffff, v78
	v_or_b32_e32 v83, 0x10000, v78
	s_delay_alu instid0(VALU_DEP_2) | instskip(NEXT) | instid1(VALU_DEP_2)
	v_cmp_eq_u32_e32 vcc_lo, 0, v77
	v_cndmask_b32_e32 v77, v83, v78, vcc_lo
; %bb.68:
	s_or_b32 exec_lo, exec_lo, s4
	v_and_b32_e32 v78, 0x7f800000, v79
	s_delay_alu instid0(VALU_DEP_1) | instskip(SKIP_1) | instid1(SALU_CYCLE_1)
	v_cmp_ne_u32_e32 vcc_lo, 0x7f800000, v78
                                        ; implicit-def: $vgpr78
	s_and_saveexec_b32 s4, vcc_lo
	s_xor_b32 s4, exec_lo, s4
; %bb.69:
	v_bfe_u32 v78, v79, 16, 1
	s_delay_alu instid0(VALU_DEP_1)
	v_add3_u32 v78, v79, v78, 0x7fff
                                        ; implicit-def: $vgpr79
; %bb.70:
	s_and_not1_saveexec_b32 s4, s4
; %bb.71:
	v_and_b32_e32 v78, 0xffff, v79
	v_or_b32_e32 v83, 0x10000, v79
	s_delay_alu instid0(VALU_DEP_2) | instskip(NEXT) | instid1(VALU_DEP_2)
	v_cmp_eq_u32_e32 vcc_lo, 0, v78
	v_cndmask_b32_e32 v78, v83, v79, vcc_lo
; %bb.72:
	s_or_b32 exec_lo, exec_lo, s4
	v_and_b32_e32 v79, 0x7f800000, v70
	s_delay_alu instid0(VALU_DEP_1) | instskip(SKIP_1) | instid1(SALU_CYCLE_1)
	v_cmp_ne_u32_e32 vcc_lo, 0x7f800000, v79
                                        ; implicit-def: $vgpr79
	s_and_saveexec_b32 s4, vcc_lo
	s_xor_b32 s4, exec_lo, s4
; %bb.73:
	v_bfe_u32 v79, v70, 16, 1
	s_delay_alu instid0(VALU_DEP_1)
	v_add3_u32 v79, v70, v79, 0x7fff
                                        ; implicit-def: $vgpr70
; %bb.74:
	s_and_not1_saveexec_b32 s4, s4
; %bb.75:
	v_and_b32_e32 v79, 0xffff, v70
	v_or_b32_e32 v83, 0x10000, v70
	s_delay_alu instid0(VALU_DEP_2) | instskip(NEXT) | instid1(VALU_DEP_2)
	v_cmp_eq_u32_e32 vcc_lo, 0, v79
	v_cndmask_b32_e32 v79, v83, v70, vcc_lo
; %bb.76:
	s_or_b32 exec_lo, exec_lo, s4
	s_delay_alu instid0(VALU_DEP_1)
	v_perm_b32 v86, v79, v78, 0x7060302
	v_perm_b32 v85, v77, v82, 0x7060302
	;; [unrolled: 1-line block ×4, first 2 shown]
	v_lshl_or_b32 v82, v66, 11, v80
	ds_store_b128 v76, v[83:86] offset:1024
	s_waitcnt lgkmcnt(0)
	s_barrier
	buffer_gl0_inv
	ds_load_b128 v[69:72], v82
	ds_load_b128 v[83:86], v82 offset:16
	s_waitcnt lgkmcnt(1)
	v_lshrrev_b32_e32 v66, 16, v69
	s_waitcnt lgkmcnt(0)
	v_lshrrev_b32_e32 v91, 16, v83
	v_lshlrev_b32_e32 v78, 2, v74
	v_lshrrev_b32_e32 v95, 16, v70
	v_lshrrev_b32_e32 v98, 16, v84
	;; [unrolled: 1-line block ×4, first 2 shown]
	v_cmp_eq_u32_e32 vcc_lo, 1, v78
	v_lshrrev_b32_e32 v97, 16, v72
	v_lshrrev_b32_e32 v100, 16, v86
	v_cndmask_b32_e32 v87, v83, v91, vcc_lo
	v_or_b32_e32 v79, 1, v78
	v_cndmask_b32_e32 v81, v69, v66, vcc_lo
	v_cmp_eq_u32_e64 s5, 2, v78
	v_cmp_eq_u32_e64 s8, 3, v78
	;; [unrolled: 1-line block ×5, first 2 shown]
	v_cndmask_b32_e64 v81, v81, v70, s5
	v_cndmask_b32_e64 v87, v87, v84, s5
	v_cmp_eq_u32_e64 s9, 3, v79
	v_cndmask_b32_e64 v88, v69, v66, s4
	v_or_b32_e32 v77, 2, v78
	v_cndmask_b32_e64 v81, v81, v95, s8
	v_cndmask_b32_e64 v87, v87, v98, s8
	;; [unrolled: 1-line block ×4, first 2 shown]
	v_cmp_eq_u32_e64 s11, 5, v78
	v_cndmask_b32_e64 v81, v81, v71, s10
	v_cndmask_b32_e64 v87, v87, v85, s10
	v_cmp_eq_u32_e64 s12, 4, v79
	v_cndmask_b32_e64 v88, v88, v95, s9
	v_cmp_eq_u32_e64 s6, 1, v77
	v_cndmask_b32_e64 v89, v89, v84, s7
	v_cndmask_b32_e64 v81, v81, v96, s11
	v_cmp_eq_u32_e64 s13, 6, v78
	v_cndmask_b32_e64 v88, v88, v71, s12
	;; [unrolled: 3-line block ×3, first 2 shown]
	v_cndmask_b32_e64 v89, v89, v98, s9
	v_cndmask_b32_e64 v81, v81, v72, s13
	v_cmp_eq_u32_e64 s16, 7, v78
	v_cndmask_b32_e64 v88, v88, v96, s15
	v_cndmask_b32_e64 v87, v87, v86, s13
	v_cmp_eq_u32_e64 s17, 6, v79
	v_cmp_eq_u32_e64 s18, 2, v77
	v_cndmask_b32_e64 v89, v89, v85, s12
	v_cndmask_b32_e64 v101, v81, v97, s16
	;; [unrolled: 1-line block ×6, first 2 shown]
	v_cmp_eq_u32_e64 s19, 7, v79
	v_cmp_eq_u32_e64 s20, 3, v77
	;; [unrolled: 1-line block ×4, first 2 shown]
	v_cndmask_b32_e64 v87, v87, v84, s18
	v_cndmask_b32_e64 v103, v88, v97, s19
	;; [unrolled: 1-line block ×4, first 2 shown]
	v_or_b32_e32 v81, 3, v78
	v_cndmask_b32_e64 v93, v87, v98, s20
	v_cmp_eq_u32_e64 s25, 6, v77
	v_cndmask_b32_e64 v104, v88, v86, s17
	v_cndmask_b32_e64 v92, v89, v71, s21
	v_cmp_eq_u32_e64 s22, 1, v81
	ds_load_b128 v[87:90], v82 offset:1024
	v_cmp_eq_u32_e64 s24, 2, v81
	v_cmp_eq_u32_e64 s26, 3, v81
	v_cndmask_b32_e64 v105, v92, v96, s23
	v_cndmask_b32_e64 v66, v69, v66, s22
	;; [unrolled: 1-line block ×4, first 2 shown]
	ds_load_b128 v[91:94], v82 offset:1040
	v_cmp_eq_u32_e64 s27, 4, v81
	v_cndmask_b32_e64 v66, v66, v70, s24
	v_cmp_eq_u32_e64 s28, 7, v77
	v_cndmask_b32_e64 v70, v83, v84, s24
	v_cndmask_b32_e64 v84, v105, v72, s25
	v_cmp_eq_u32_e64 s29, 5, v81
	v_cndmask_b32_e64 v66, v66, v95, s26
	v_cmp_eq_u32_e64 s30, 6, v81
	v_cndmask_b32_e64 v70, v70, v98, s26
	v_cndmask_b32_e64 v69, v69, v99, s23
	;; [unrolled: 1-line block ×4, first 2 shown]
	s_waitcnt lgkmcnt(1)
	v_lshrrev_b32_e32 v95, 16, v87
	v_cndmask_b32_e64 v70, v70, v85, s27
	v_cndmask_b32_e64 v71, v84, v97, s28
	;; [unrolled: 1-line block ×4, first 2 shown]
	v_cndmask_b32_e32 v84, v87, v95, vcc_lo
	v_cndmask_b32_e64 v70, v70, v99, s29
	s_waitcnt lgkmcnt(0)
	v_lshrrev_b32_e32 v85, 16, v91
	v_lshrrev_b32_e32 v96, 16, v88
	v_cndmask_b32_e64 v98, v87, v95, s4
	v_cndmask_b32_e64 v84, v84, v88, s5
	;; [unrolled: 1-line block ×3, first 2 shown]
	v_cndmask_b32_e32 v99, v91, v85, vcc_lo
	v_cmp_eq_u32_e32 vcc_lo, 7, v81
	v_cndmask_b32_e64 v66, v66, v72, s30
	v_cndmask_b32_e64 v72, v84, v96, s8
	;; [unrolled: 1-line block ×3, first 2 shown]
	v_lshrrev_b32_e32 v98, 16, v92
	v_cndmask_b32_e32 v70, v70, v100, vcc_lo
	v_cndmask_b32_e64 v86, v99, v92, s5
	v_cndmask_b32_e64 v69, v69, v100, s28
	v_lshrrev_b32_e32 v100, 16, v93
	v_cndmask_b32_e64 v72, v72, v89, s10
	v_lshrrev_b32_e32 v99, 16, v89
	v_cndmask_b32_e64 v86, v86, v98, s8
	v_perm_b32 v71, v69, v71, 0x5040100
	v_cndmask_b32_e64 v84, v84, v96, s9
	s_delay_alu instid0(VALU_DEP_3) | instskip(NEXT) | instid1(VALU_DEP_2)
	v_cndmask_b32_e64 v86, v86, v93, s10
	v_cndmask_b32_e64 v84, v84, v89, s12
	s_delay_alu instid0(VALU_DEP_2) | instskip(NEXT) | instid1(VALU_DEP_1)
	v_cndmask_b32_e64 v86, v86, v100, s11
	v_cndmask_b32_e64 v69, v86, v94, s13
	;; [unrolled: 1-line block ×5, first 2 shown]
	s_delay_alu instid0(VALU_DEP_3) | instskip(NEXT) | instid1(VALU_DEP_3)
	v_cndmask_b32_e64 v86, v86, v88, s18
	v_cndmask_b32_e64 v87, v87, v88, s24
	s_delay_alu instid0(VALU_DEP_3) | instskip(NEXT) | instid1(VALU_DEP_3)
	v_cndmask_b32_e64 v88, v95, v92, s24
	v_cndmask_b32_e64 v86, v86, v96, s20
	;; [unrolled: 3-line block ×7, first 2 shown]
	s_delay_alu instid0(VALU_DEP_3) | instskip(SKIP_2) | instid1(VALU_DEP_2)
	v_cndmask_b32_e64 v88, v88, v94, s30
	v_cndmask_b32_e32 v66, v66, v97, vcc_lo
	v_cndmask_b32_e64 v97, v72, v99, s11
	v_perm_b32 v72, v70, v66, 0x5040100
	v_perm_b32 v70, v83, v103, 0x5040100
	v_cndmask_b32_e64 v103, v91, v85, s6
	v_cndmask_b32_e64 v85, v91, v85, s4
	v_cndmask_b32_e64 v66, v84, v99, s15
	v_cndmask_b32_e64 v84, v97, v90, s13
	v_lshrrev_b32_e32 v97, 16, v90
	v_cndmask_b32_e64 v91, v103, v92, s18
	v_cndmask_b32_e64 v85, v85, v92, s7
	;; [unrolled: 1-line block ×3, first 2 shown]
	s_mov_b32 s4, exec_lo
	v_cndmask_b32_e64 v83, v84, v97, s16
	v_cndmask_b32_e64 v91, v91, v98, s20
	;; [unrolled: 1-line block ×3, first 2 shown]
	v_lshrrev_b32_e32 v84, 16, v94
	v_cndmask_b32_e64 v66, v66, v97, s19
	v_cndmask_b32_e64 v90, v86, v97, s28
	;; [unrolled: 1-line block ×4, first 2 shown]
	v_dual_cndmask_b32 v86, v87, v97 :: v_dual_cndmask_b32 v87, v88, v84
	v_cndmask_b32_e64 v91, v69, v84, s16
	s_delay_alu instid0(VALU_DEP_4) | instskip(NEXT) | instid1(VALU_DEP_4)
	v_cndmask_b32_e64 v89, v89, v100, s23
	v_cndmask_b32_e64 v85, v85, v100, s15
	v_perm_b32 v69, v102, v101, 0x5040100
	v_perm_b32 v86, v87, v86, 0x5040100
	;; [unrolled: 1-line block ×3, first 2 shown]
	v_cndmask_b32_e64 v89, v89, v94, s25
	v_cndmask_b32_e64 v85, v85, v94, s17
	s_mul_i32 s9, s37, 9
	s_delay_alu instid0(VALU_DEP_2) | instskip(NEXT) | instid1(VALU_DEP_2)
	v_cndmask_b32_e64 v88, v89, v84, s28
	v_cndmask_b32_e64 v89, v85, v84, s19
	s_delay_alu instid0(VALU_DEP_2) | instskip(NEXT) | instid1(VALU_DEP_2)
	v_perm_b32 v85, v88, v90, 0x5040100
	v_perm_b32 v84, v89, v66, 0x5040100
	ds_store_b128 v76, v[69:72]
	ds_store_b128 v76, v[83:86] offset:1024
	v_cmpx_gt_u32_e32 9, v0
	s_cbranch_execz .LBB1494_78
; %bb.77:
	s_mul_i32 s5, s9, s34
	s_load_b128 s[16:19], s[0:1], 0x58
	v_add3_u32 v69, s5, s31, v65
	s_delay_alu instid0(VALU_DEP_1) | instskip(NEXT) | instid1(VALU_DEP_1)
	v_mad_u64_u32 v[65:66], null, v69, s36, s[14:15]
	v_ashrrev_i32_e32 v66, 31, v65
	s_delay_alu instid0(VALU_DEP_1) | instskip(SKIP_1) | instid1(VALU_DEP_1)
	v_lshlrev_b64 v[65:66], 2, v[65:66]
	s_waitcnt lgkmcnt(0)
	v_add_co_u32 v69, vcc_lo, s18, v65
	s_delay_alu instid0(VALU_DEP_2)
	v_add_co_ci_u32_e32 v70, vcc_lo, s19, v66, vcc_lo
	v_add_co_u32 v65, vcc_lo, s16, v65
	v_add_co_ci_u32_e32 v66, vcc_lo, s17, v66, vcc_lo
	global_store_b32 v[69:70], v67, off
	global_store_b32 v[65:66], v68, off
.LBB1494_78:
	s_or_b32 exec_lo, exec_lo, s4
	s_waitcnt lgkmcnt(0)
	s_waitcnt_vscnt null, 0x0
	s_barrier
	buffer_gl0_inv
	ds_load_b128 v[83:86], v80
	ds_load_b128 v[87:90], v80 offset:16
	ds_load_b128 v[95:98], v80 offset:2064
	;; [unrolled: 1-line block ×3, first 2 shown]
	v_mov_b32_e32 v65, 0
	ds_load_b128 v[103:106], v80 offset:4112
	ds_load_b128 v[99:102], v80 offset:4096
	;; [unrolled: 1-line block ×4, first 2 shown]
	v_mov_b32_e32 v66, v65
	v_mov_b32_e32 v67, v65
	;; [unrolled: 1-line block ×7, first 2 shown]
	s_waitcnt lgkmcnt(6)
	s_delay_alu instid0(VALU_DEP_1)
	v_wmma_f32_16x16x16_bf16 v[65:72], v[57:64], v[83:90], v[65:72]
	ds_load_b128 v[61:64], v80 offset:8208
	ds_load_b128 v[57:60], v80 offset:8192
	s_waitcnt lgkmcnt(6)
	v_wmma_f32_16x16x16_bf16 v[65:72], v[41:48], v[91:98], v[65:72]
	ds_load_b128 v[45:48], v80 offset:10256
	ds_load_b128 v[41:44], v80 offset:10240
	s_waitcnt lgkmcnt(6)
	;; [unrolled: 4-line block ×4, first 2 shown]
	v_wmma_f32_16x16x16_bf16 v[65:72], v[1:8], v[57:64], v[65:72]
	s_waitcnt lgkmcnt(4)
	s_delay_alu instid0(VALU_DEP_1) | instskip(SKIP_1) | instid1(VALU_DEP_1)
	v_wmma_f32_16x16x16_bf16 v[65:72], v[9:16], v[41:48], v[65:72]
	s_waitcnt lgkmcnt(2)
	v_wmma_f32_16x16x16_bf16 v[65:72], v[17:24], v[33:40], v[65:72]
	s_waitcnt lgkmcnt(0)
	s_delay_alu instid0(VALU_DEP_1) | instskip(NEXT) | instid1(VALU_DEP_1)
	v_wmma_f32_16x16x16_bf16 v[65:72], v[49:56], v[25:32], v[65:72]
	v_and_b32_e32 v1, 0x7f800000, v65
	s_delay_alu instid0(VALU_DEP_1) | instskip(SKIP_1) | instid1(SALU_CYCLE_1)
	v_cmp_ne_u32_e32 vcc_lo, 0x7f800000, v1
                                        ; implicit-def: $vgpr1
	s_and_saveexec_b32 s4, vcc_lo
	s_xor_b32 s4, exec_lo, s4
; %bb.79:
	v_bfe_u32 v1, v65, 16, 1
	s_delay_alu instid0(VALU_DEP_1)
	v_add3_u32 v1, v65, v1, 0x7fff
; %bb.80:
	s_and_not1_saveexec_b32 s4, s4
; %bb.81:
	v_and_b32_e32 v1, 0xffff, v65
	v_or_b32_e32 v2, 0x10000, v65
	s_delay_alu instid0(VALU_DEP_2) | instskip(NEXT) | instid1(VALU_DEP_2)
	v_cmp_eq_u32_e32 vcc_lo, 0, v1
	v_cndmask_b32_e32 v1, v2, v65, vcc_lo
; %bb.82:
	s_or_b32 exec_lo, exec_lo, s4
	v_and_b32_e32 v2, 0x7f800000, v66
	s_delay_alu instid0(VALU_DEP_1) | instskip(SKIP_1) | instid1(SALU_CYCLE_1)
	v_cmp_ne_u32_e32 vcc_lo, 0x7f800000, v2
                                        ; implicit-def: $vgpr2
	s_and_saveexec_b32 s4, vcc_lo
	s_xor_b32 s4, exec_lo, s4
; %bb.83:
	v_bfe_u32 v2, v66, 16, 1
	s_delay_alu instid0(VALU_DEP_1)
	v_add3_u32 v2, v66, v2, 0x7fff
; %bb.84:
	s_and_not1_saveexec_b32 s4, s4
; %bb.85:
	v_and_b32_e32 v2, 0xffff, v66
	v_or_b32_e32 v3, 0x10000, v66
	s_delay_alu instid0(VALU_DEP_2) | instskip(NEXT) | instid1(VALU_DEP_2)
	v_cmp_eq_u32_e32 vcc_lo, 0, v2
	v_cndmask_b32_e32 v2, v3, v66, vcc_lo
; %bb.86:
	s_or_b32 exec_lo, exec_lo, s4
	v_and_b32_e32 v3, 0x7f800000, v67
	s_delay_alu instid0(VALU_DEP_1) | instskip(SKIP_1) | instid1(SALU_CYCLE_1)
	v_cmp_ne_u32_e32 vcc_lo, 0x7f800000, v3
                                        ; implicit-def: $vgpr3
	s_and_saveexec_b32 s4, vcc_lo
	s_xor_b32 s4, exec_lo, s4
; %bb.87:
	v_bfe_u32 v3, v67, 16, 1
	s_delay_alu instid0(VALU_DEP_1)
	v_add3_u32 v3, v67, v3, 0x7fff
; %bb.88:
	s_and_not1_saveexec_b32 s4, s4
; %bb.89:
	v_and_b32_e32 v3, 0xffff, v67
	v_or_b32_e32 v4, 0x10000, v67
	s_delay_alu instid0(VALU_DEP_2) | instskip(NEXT) | instid1(VALU_DEP_2)
	v_cmp_eq_u32_e32 vcc_lo, 0, v3
	v_cndmask_b32_e32 v3, v4, v67, vcc_lo
; %bb.90:
	s_or_b32 exec_lo, exec_lo, s4
	v_and_b32_e32 v4, 0x7f800000, v68
	s_delay_alu instid0(VALU_DEP_1) | instskip(SKIP_1) | instid1(SALU_CYCLE_1)
	v_cmp_ne_u32_e32 vcc_lo, 0x7f800000, v4
                                        ; implicit-def: $vgpr4
	s_and_saveexec_b32 s4, vcc_lo
	s_xor_b32 s4, exec_lo, s4
; %bb.91:
	v_bfe_u32 v4, v68, 16, 1
	s_delay_alu instid0(VALU_DEP_1)
	v_add3_u32 v4, v68, v4, 0x7fff
; %bb.92:
	s_and_not1_saveexec_b32 s4, s4
; %bb.93:
	v_and_b32_e32 v4, 0xffff, v68
	v_or_b32_e32 v5, 0x10000, v68
	s_delay_alu instid0(VALU_DEP_2) | instskip(NEXT) | instid1(VALU_DEP_2)
	v_cmp_eq_u32_e32 vcc_lo, 0, v4
	v_cndmask_b32_e32 v4, v5, v68, vcc_lo
; %bb.94:
	s_or_b32 exec_lo, exec_lo, s4
	v_and_b32_e32 v5, 0x7f800000, v69
	s_delay_alu instid0(VALU_DEP_1) | instskip(SKIP_1) | instid1(SALU_CYCLE_1)
	v_cmp_ne_u32_e32 vcc_lo, 0x7f800000, v5
                                        ; implicit-def: $vgpr5
	s_and_saveexec_b32 s4, vcc_lo
	s_xor_b32 s4, exec_lo, s4
; %bb.95:
	v_bfe_u32 v5, v69, 16, 1
	s_delay_alu instid0(VALU_DEP_1)
	v_add3_u32 v5, v69, v5, 0x7fff
; %bb.96:
	s_and_not1_saveexec_b32 s4, s4
; %bb.97:
	v_and_b32_e32 v5, 0xffff, v69
	v_or_b32_e32 v6, 0x10000, v69
	s_delay_alu instid0(VALU_DEP_2) | instskip(NEXT) | instid1(VALU_DEP_2)
	v_cmp_eq_u32_e32 vcc_lo, 0, v5
	v_cndmask_b32_e32 v5, v6, v69, vcc_lo
; %bb.98:
	s_or_b32 exec_lo, exec_lo, s4
	v_and_b32_e32 v6, 0x7f800000, v70
	s_delay_alu instid0(VALU_DEP_1) | instskip(SKIP_1) | instid1(SALU_CYCLE_1)
	v_cmp_ne_u32_e32 vcc_lo, 0x7f800000, v6
                                        ; implicit-def: $vgpr6
	s_and_saveexec_b32 s4, vcc_lo
	s_xor_b32 s4, exec_lo, s4
; %bb.99:
	v_bfe_u32 v6, v70, 16, 1
	s_delay_alu instid0(VALU_DEP_1)
	v_add3_u32 v6, v70, v6, 0x7fff
; %bb.100:
	s_and_not1_saveexec_b32 s4, s4
; %bb.101:
	v_and_b32_e32 v6, 0xffff, v70
	v_or_b32_e32 v7, 0x10000, v70
	s_delay_alu instid0(VALU_DEP_2) | instskip(NEXT) | instid1(VALU_DEP_2)
	v_cmp_eq_u32_e32 vcc_lo, 0, v6
	v_cndmask_b32_e32 v6, v7, v70, vcc_lo
; %bb.102:
	s_or_b32 exec_lo, exec_lo, s4
	v_and_b32_e32 v7, 0x7f800000, v71
	s_delay_alu instid0(VALU_DEP_1) | instskip(SKIP_1) | instid1(SALU_CYCLE_1)
	v_cmp_ne_u32_e32 vcc_lo, 0x7f800000, v7
                                        ; implicit-def: $vgpr7
	s_and_saveexec_b32 s4, vcc_lo
	s_xor_b32 s4, exec_lo, s4
; %bb.103:
	v_bfe_u32 v7, v71, 16, 1
	s_delay_alu instid0(VALU_DEP_1)
	v_add3_u32 v7, v71, v7, 0x7fff
; %bb.104:
	s_and_not1_saveexec_b32 s4, s4
; %bb.105:
	v_and_b32_e32 v7, 0xffff, v71
	v_or_b32_e32 v8, 0x10000, v71
	s_delay_alu instid0(VALU_DEP_2) | instskip(NEXT) | instid1(VALU_DEP_2)
	v_cmp_eq_u32_e32 vcc_lo, 0, v7
	v_cndmask_b32_e32 v7, v8, v71, vcc_lo
; %bb.106:
	s_or_b32 exec_lo, exec_lo, s4
	v_and_b32_e32 v8, 0x7f800000, v72
	s_delay_alu instid0(VALU_DEP_1) | instskip(SKIP_1) | instid1(SALU_CYCLE_1)
	v_cmp_ne_u32_e32 vcc_lo, 0x7f800000, v8
                                        ; implicit-def: $vgpr8
	s_and_saveexec_b32 s4, vcc_lo
	s_xor_b32 s4, exec_lo, s4
; %bb.107:
	v_bfe_u32 v8, v72, 16, 1
	s_delay_alu instid0(VALU_DEP_1)
	v_add3_u32 v8, v72, v8, 0x7fff
                                        ; implicit-def: $vgpr65_vgpr66_vgpr67_vgpr68_vgpr69_vgpr70_vgpr71_vgpr72
; %bb.108:
	s_and_not1_saveexec_b32 s4, s4
; %bb.109:
	v_and_b32_e32 v8, 0xffff, v72
	v_or_b32_e32 v9, 0x10000, v72
	s_delay_alu instid0(VALU_DEP_2) | instskip(NEXT) | instid1(VALU_DEP_2)
	v_cmp_eq_u32_e32 vcc_lo, 0, v8
	v_cndmask_b32_e32 v8, v9, v72, vcc_lo
; %bb.110:
	s_or_b32 exec_lo, exec_lo, s4
	s_delay_alu instid0(VALU_DEP_1)
	v_perm_b32 v7, v8, v7, 0x7060302
	v_perm_b32 v6, v6, v5, 0x7060302
	;; [unrolled: 1-line block ×4, first 2 shown]
	s_barrier
	buffer_gl0_inv
	v_cmp_eq_u32_e32 vcc_lo, 1, v78
	ds_store_b128 v76, v[4:7]
	s_waitcnt lgkmcnt(0)
	s_barrier
	buffer_gl0_inv
	ds_load_b128 v[1:4], v82
	ds_load_b128 v[5:8], v82 offset:16
	v_cmp_eq_u32_e64 s4, 1, v79
	v_cmp_eq_u32_e64 s5, 2, v78
	;; [unrolled: 1-line block ×5, first 2 shown]
	s_waitcnt lgkmcnt(1)
	v_lshrrev_b32_e32 v9, 16, v1
	s_waitcnt lgkmcnt(0)
	v_lshrrev_b32_e32 v13, 16, v5
	v_lshrrev_b32_e32 v10, 16, v2
	;; [unrolled: 1-line block ×4, first 2 shown]
	v_cndmask_b32_e64 v19, v1, v9, s4
	v_cndmask_b32_e32 v18, v5, v13, vcc_lo
	v_cndmask_b32_e64 v20, v5, v13, s4
	v_cndmask_b32_e32 v17, v1, v9, vcc_lo
	v_cmp_eq_u32_e32 vcc_lo, 2, v79
	v_lshrrev_b32_e32 v15, 16, v7
	v_cmp_eq_u32_e64 s4, 1, v77
	v_lshrrev_b32_e32 v12, 16, v4
	v_lshrrev_b32_e32 v16, 16, v8
	v_cndmask_b32_e32 v20, v20, v6, vcc_lo
	v_cndmask_b32_e64 v17, v17, v2, s5
	v_cndmask_b32_e32 v19, v19, v2, vcc_lo
	v_cndmask_b32_e64 v18, v18, v6, s5
	v_cmp_eq_u32_e32 vcc_lo, 4, v78
	v_cmp_eq_u32_e64 s5, 3, v79
	v_cndmask_b32_e64 v17, v17, v10, s6
	v_cndmask_b32_e64 v21, v1, v9, s4
	;; [unrolled: 1-line block ×5, first 2 shown]
	v_cndmask_b32_e32 v17, v17, v3, vcc_lo
	v_cndmask_b32_e64 v20, v20, v14, s5
	v_cndmask_b32_e32 v18, v18, v7, vcc_lo
	v_cmp_eq_u32_e32 vcc_lo, 4, v79
	v_cmp_eq_u32_e64 s5, 5, v79
	v_cmp_eq_u32_e64 s4, 2, v81
	v_cndmask_b32_e64 v21, v21, v2, s8
	v_cmp_eq_u32_e64 s6, 5, v78
	v_cndmask_b32_e32 v19, v19, v3, vcc_lo
	v_cndmask_b32_e32 v20, v20, v7, vcc_lo
	v_cmp_eq_u32_e32 vcc_lo, 6, v79
	s_delay_alu instid0(VALU_DEP_4) | instskip(NEXT) | instid1(VALU_DEP_4)
	v_cndmask_b32_e64 v17, v17, v11, s6
	v_cndmask_b32_e64 v19, v19, v11, s5
	s_delay_alu instid0(VALU_DEP_4) | instskip(SKIP_1) | instid1(VALU_DEP_3)
	v_cndmask_b32_e64 v20, v20, v15, s5
	v_cmp_eq_u32_e64 s5, 1, v81
	v_cndmask_b32_e32 v19, v19, v4, vcc_lo
	v_cndmask_b32_e64 v18, v18, v15, s6
	s_delay_alu instid0(VALU_DEP_3)
	v_cndmask_b32_e64 v1, v1, v9, s5
	v_cndmask_b32_e64 v5, v5, v13, s5
	v_cmp_eq_u32_e64 s5, 3, v77
	v_cndmask_b32_e64 v13, v22, v6, s8
	v_cmp_eq_u32_e64 s8, 3, v81
	v_cndmask_b32_e64 v1, v1, v2, s4
	v_cndmask_b32_e64 v2, v5, v6, s4
	v_cndmask_b32_e64 v9, v21, v10, s5
	v_cmp_eq_u32_e64 s4, 4, v77
	v_cndmask_b32_e64 v6, v13, v14, s5
	v_cndmask_b32_e64 v1, v1, v10, s8
	v_cmp_eq_u32_e64 s5, 4, v81
	v_cndmask_b32_e64 v2, v2, v14, s8
	v_cndmask_b32_e64 v5, v9, v3, s4
	;; [unrolled: 3-line block ×3, first 2 shown]
	v_cndmask_b32_e64 v2, v2, v7, s5
	v_cmp_eq_u32_e64 s4, 5, v81
	v_cmp_eq_u32_e64 s6, 6, v78
	v_cndmask_b32_e64 v5, v5, v11, s8
	v_cmp_eq_u32_e64 s5, 6, v77
	v_cndmask_b32_e64 v3, v6, v15, s8
	v_cndmask_b32_e64 v1, v1, v11, s4
	v_cmp_eq_u32_e64 s8, 6, v81
	v_cndmask_b32_e64 v2, v2, v15, s4
	v_cndmask_b32_e64 v17, v17, v4, s6
	v_cndmask_b32_e64 v18, v18, v8, s6
	v_cmp_eq_u32_e64 s6, 7, v78
	v_cndmask_b32_e64 v5, v5, v4, s5
	;; [unrolled: 4-line block ×3, first 2 shown]
	v_cmp_eq_u32_e64 s5, 7, v77
	v_cndmask_b32_e32 v4, v20, v8, vcc_lo
	v_cndmask_b32_e64 v17, v17, v12, s6
	v_cndmask_b32_e64 v19, v19, v12, s7
	;; [unrolled: 1-line block ×8, first 2 shown]
	v_cmp_gt_u32_e32 vcc_lo, 32, v0
	v_perm_b32 v4, v2, v1, 0x5040100
	v_perm_b32 v3, v3, v5, 0x5040100
	;; [unrolled: 1-line block ×4, first 2 shown]
	s_and_b32 s2, vcc_lo, s2
	ds_store_b128 v76, v[1:4]
	s_waitcnt lgkmcnt(0)
	s_barrier
	buffer_gl0_inv
	s_and_saveexec_b32 s4, s2
	s_cbranch_execz .LBB1494_2
; %bb.111:
	s_load_b64 s[4:5], s[0:1], 0x68
	v_lshlrev_b32_e32 v0, 10, v0
	v_lshlrev_b32_e32 v1, 4, v75
	s_lshl_b32 s0, s36, 6
	v_add_nc_u32_e32 v2, s31, v74
	s_mul_i32 s1, s0, s34
	s_delay_alu instid0(SALU_CYCLE_1) | instskip(SKIP_1) | instid1(VALU_DEP_2)
	s_mul_i32 s6, s1, s9
	v_and_or_b32 v0, 0x3800, v0, v1
	v_mul_lo_u32 v1, v2, s0
	s_ashr_i32 s7, s6, 31
	v_add_nc_u32_e32 v3, 2, v2
	s_lshl_b64 s[6:7], s[6:7], 1
	v_add_nc_u32_e32 v4, 4, v2
	v_add_nc_u32_e32 v5, 6, v2
	v_lshl_or_b32 v15, v74, 6, v0
	v_mul_lo_u32 v3, v3, s0
	v_ashrrev_i32_e32 v2, 31, v1
	v_mul_lo_u32 v19, v4, s0
	v_mul_lo_u32 v21, v5, s0
	s_waitcnt lgkmcnt(0)
	s_add_u32 s1, s4, s6
	s_addc_u32 s2, s5, s7
	s_lshl_b32 s4, s14, 6
	v_lshlrev_b64 v[5:6], 1, v[1:2]
	s_ashr_i32 s5, s4, 31
	v_ashrrev_i32_e32 v4, 31, v3
	s_lshl_b64 s[4:5], s[4:5], 1
	v_ashrrev_i32_e32 v20, 31, v19
	s_add_u32 s1, s1, s4
	s_addc_u32 s2, s2, s5
	v_add_co_u32 v1, s1, s1, v73
	s_delay_alu instid0(VALU_DEP_1) | instskip(SKIP_1) | instid1(VALU_DEP_3)
	v_add_co_ci_u32_e64 v2, null, s2, 0, s1
	v_lshlrev_b64 v[25:26], 1, v[3:4]
	v_add_co_u32 v23, vcc_lo, v1, v5
	s_delay_alu instid0(VALU_DEP_3)
	v_add_co_ci_u32_e32 v24, vcc_lo, v2, v6, vcc_lo
	ds_load_b128 v[3:6], v15
	ds_load_b128 v[7:10], v15 offset:128
	ds_load_b128 v[11:14], v15 offset:256
	;; [unrolled: 1-line block ×3, first 2 shown]
	v_ashrrev_i32_e32 v22, 31, v21
	v_lshlrev_b64 v[19:20], 1, v[19:20]
	v_add_co_u32 v25, vcc_lo, v1, v25
	v_add_co_ci_u32_e32 v26, vcc_lo, v2, v26, vcc_lo
	s_delay_alu instid0(VALU_DEP_4) | instskip(NEXT) | instid1(VALU_DEP_4)
	v_lshlrev_b64 v[21:22], 1, v[21:22]
	v_add_co_u32 v19, vcc_lo, v1, v19
	v_add_co_ci_u32_e32 v20, vcc_lo, v2, v20, vcc_lo
	s_delay_alu instid0(VALU_DEP_3) | instskip(NEXT) | instid1(VALU_DEP_4)
	v_add_co_u32 v21, vcc_lo, v1, v21
	v_add_co_ci_u32_e32 v22, vcc_lo, v2, v22, vcc_lo
	s_waitcnt lgkmcnt(3)
	global_store_b128 v[23:24], v[3:6], off
	s_waitcnt lgkmcnt(2)
	global_store_b128 v[25:26], v[7:10], off
	;; [unrolled: 2-line block ×4, first 2 shown]
	s_and_b32 exec_lo, exec_lo, s3
	s_cbranch_execz .LBB1494_2
; %bb.112:
	ds_load_b128 v[3:6], v0 offset:512
	s_add_i32 s1, s31, 8
	s_delay_alu instid0(SALU_CYCLE_1) | instskip(NEXT) | instid1(SALU_CYCLE_1)
	s_mul_i32 s0, s1, s0
	s_ashr_i32 s1, s0, 31
	s_delay_alu instid0(SALU_CYCLE_1) | instskip(NEXT) | instid1(SALU_CYCLE_1)
	s_lshl_b64 s[0:1], s[0:1], 1
	v_add_co_u32 v0, vcc_lo, v1, s0
	v_add_co_ci_u32_e32 v1, vcc_lo, s1, v2, vcc_lo
	s_waitcnt lgkmcnt(0)
	global_store_b128 v[0:1], v[3:6], off
	s_nop 0
	s_sendmsg sendmsg(MSG_DEALLOC_VGPRS)
	s_endpgm
	.section	.rodata,"a",@progbits
	.p2align	6, 0x0
	.amdhsa_kernel _Z39paged_attention_ll4mi_QKV_mfma16_kernelI14__hip_bfloat16hLN4vllm18Fp8KVCacheDataTypeE1ES0_Li32ELi64ELi256ELb0ELi9EL8MFMAType1EEvPKT_PKT0_S9_ifPKiSB_SB_iPKfiiiPfSE_PS4_PT2_iSD_SD_
		.amdhsa_group_segment_fixed_size 17472
		.amdhsa_private_segment_fixed_size 0
		.amdhsa_kernarg_size 400
		.amdhsa_user_sgpr_count 13
		.amdhsa_user_sgpr_dispatch_ptr 0
		.amdhsa_user_sgpr_queue_ptr 0
		.amdhsa_user_sgpr_kernarg_segment_ptr 1
		.amdhsa_user_sgpr_dispatch_id 0
		.amdhsa_user_sgpr_private_segment_size 0
		.amdhsa_wavefront_size32 1
		.amdhsa_uses_dynamic_stack 0
		.amdhsa_enable_private_segment 0
		.amdhsa_system_sgpr_workgroup_id_x 1
		.amdhsa_system_sgpr_workgroup_id_y 1
		.amdhsa_system_sgpr_workgroup_id_z 1
		.amdhsa_system_sgpr_workgroup_info 0
		.amdhsa_system_vgpr_workitem_id 0
		.amdhsa_next_free_vgpr 124
		.amdhsa_next_free_sgpr 42
		.amdhsa_reserve_vcc 1
		.amdhsa_float_round_mode_32 0
		.amdhsa_float_round_mode_16_64 0
		.amdhsa_float_denorm_mode_32 3
		.amdhsa_float_denorm_mode_16_64 3
		.amdhsa_dx10_clamp 1
		.amdhsa_ieee_mode 1
		.amdhsa_fp16_overflow 0
		.amdhsa_workgroup_processor_mode 1
		.amdhsa_memory_ordered 1
		.amdhsa_forward_progress 0
		.amdhsa_shared_vgpr_count 0
		.amdhsa_exception_fp_ieee_invalid_op 0
		.amdhsa_exception_fp_denorm_src 0
		.amdhsa_exception_fp_ieee_div_zero 0
		.amdhsa_exception_fp_ieee_overflow 0
		.amdhsa_exception_fp_ieee_underflow 0
		.amdhsa_exception_fp_ieee_inexact 0
		.amdhsa_exception_int_div_zero 0
	.end_amdhsa_kernel
	.section	.text._Z39paged_attention_ll4mi_QKV_mfma16_kernelI14__hip_bfloat16hLN4vllm18Fp8KVCacheDataTypeE1ES0_Li32ELi64ELi256ELb0ELi9EL8MFMAType1EEvPKT_PKT0_S9_ifPKiSB_SB_iPKfiiiPfSE_PS4_PT2_iSD_SD_,"axG",@progbits,_Z39paged_attention_ll4mi_QKV_mfma16_kernelI14__hip_bfloat16hLN4vllm18Fp8KVCacheDataTypeE1ES0_Li32ELi64ELi256ELb0ELi9EL8MFMAType1EEvPKT_PKT0_S9_ifPKiSB_SB_iPKfiiiPfSE_PS4_PT2_iSD_SD_,comdat
.Lfunc_end1494:
	.size	_Z39paged_attention_ll4mi_QKV_mfma16_kernelI14__hip_bfloat16hLN4vllm18Fp8KVCacheDataTypeE1ES0_Li32ELi64ELi256ELb0ELi9EL8MFMAType1EEvPKT_PKT0_S9_ifPKiSB_SB_iPKfiiiPfSE_PS4_PT2_iSD_SD_, .Lfunc_end1494-_Z39paged_attention_ll4mi_QKV_mfma16_kernelI14__hip_bfloat16hLN4vllm18Fp8KVCacheDataTypeE1ES0_Li32ELi64ELi256ELb0ELi9EL8MFMAType1EEvPKT_PKT0_S9_ifPKiSB_SB_iPKfiiiPfSE_PS4_PT2_iSD_SD_
                                        ; -- End function
	.section	.AMDGPU.csdata,"",@progbits
; Kernel info:
; codeLenInByte = 8856
; NumSgprs: 44
; NumVgprs: 124
; ScratchSize: 0
; MemoryBound: 0
; FloatMode: 240
; IeeeMode: 1
; LDSByteSize: 17472 bytes/workgroup (compile time only)
; SGPRBlocks: 5
; VGPRBlocks: 15
; NumSGPRsForWavesPerEU: 44
; NumVGPRsForWavesPerEU: 124
; Occupancy: 10
; WaveLimiterHint : 1
; COMPUTE_PGM_RSRC2:SCRATCH_EN: 0
; COMPUTE_PGM_RSRC2:USER_SGPR: 13
; COMPUTE_PGM_RSRC2:TRAP_HANDLER: 0
; COMPUTE_PGM_RSRC2:TGID_X_EN: 1
; COMPUTE_PGM_RSRC2:TGID_Y_EN: 1
; COMPUTE_PGM_RSRC2:TGID_Z_EN: 1
; COMPUTE_PGM_RSRC2:TIDIG_COMP_CNT: 0
	.section	.text._Z39paged_attention_ll4mi_QKV_mfma16_kernelI14__hip_bfloat16hLN4vllm18Fp8KVCacheDataTypeE1ES0_Li32ELi64ELi256ELb0ELi10EL8MFMAType1EEvPKT_PKT0_S9_ifPKiSB_SB_iPKfiiiPfSE_PS4_PT2_iSD_SD_,"axG",@progbits,_Z39paged_attention_ll4mi_QKV_mfma16_kernelI14__hip_bfloat16hLN4vllm18Fp8KVCacheDataTypeE1ES0_Li32ELi64ELi256ELb0ELi10EL8MFMAType1EEvPKT_PKT0_S9_ifPKiSB_SB_iPKfiiiPfSE_PS4_PT2_iSD_SD_,comdat
	.protected	_Z39paged_attention_ll4mi_QKV_mfma16_kernelI14__hip_bfloat16hLN4vllm18Fp8KVCacheDataTypeE1ES0_Li32ELi64ELi256ELb0ELi10EL8MFMAType1EEvPKT_PKT0_S9_ifPKiSB_SB_iPKfiiiPfSE_PS4_PT2_iSD_SD_ ; -- Begin function _Z39paged_attention_ll4mi_QKV_mfma16_kernelI14__hip_bfloat16hLN4vllm18Fp8KVCacheDataTypeE1ES0_Li32ELi64ELi256ELb0ELi10EL8MFMAType1EEvPKT_PKT0_S9_ifPKiSB_SB_iPKfiiiPfSE_PS4_PT2_iSD_SD_
	.globl	_Z39paged_attention_ll4mi_QKV_mfma16_kernelI14__hip_bfloat16hLN4vllm18Fp8KVCacheDataTypeE1ES0_Li32ELi64ELi256ELb0ELi10EL8MFMAType1EEvPKT_PKT0_S9_ifPKiSB_SB_iPKfiiiPfSE_PS4_PT2_iSD_SD_
	.p2align	8
	.type	_Z39paged_attention_ll4mi_QKV_mfma16_kernelI14__hip_bfloat16hLN4vllm18Fp8KVCacheDataTypeE1ES0_Li32ELi64ELi256ELb0ELi10EL8MFMAType1EEvPKT_PKT0_S9_ifPKiSB_SB_iPKfiiiPfSE_PS4_PT2_iSD_SD_,@function
_Z39paged_attention_ll4mi_QKV_mfma16_kernelI14__hip_bfloat16hLN4vllm18Fp8KVCacheDataTypeE1ES0_Li32ELi64ELi256ELb0ELi10EL8MFMAType1EEvPKT_PKT0_S9_ifPKiSB_SB_iPKfiiiPfSE_PS4_PT2_iSD_SD_: ; @_Z39paged_attention_ll4mi_QKV_mfma16_kernelI14__hip_bfloat16hLN4vllm18Fp8KVCacheDataTypeE1ES0_Li32ELi64ELi256ELb0ELi10EL8MFMAType1EEvPKT_PKT0_S9_ifPKiSB_SB_iPKfiiiPfSE_PS4_PT2_iSD_SD_
; %bb.0:
	s_load_b64 s[2:3], s[0:1], 0x30
	s_mov_b32 s30, s13
	s_waitcnt lgkmcnt(0)
	s_cmp_lg_u64 s[2:3], 0
	s_cselect_b32 s8, -1, 0
	s_ashr_i32 s31, s13, 31
	s_cmp_eq_u64 s[2:3], 0
	s_cbranch_scc1 .LBB1495_3
; %bb.1:
	s_lshl_b64 s[4:5], s[30:31], 2
	s_delay_alu instid0(SALU_CYCLE_1) | instskip(SKIP_4) | instid1(SALU_CYCLE_1)
	s_add_u32 s4, s2, s4
	s_addc_u32 s5, s3, s5
	s_load_b64 s[4:5], s[4:5], 0x0
	s_waitcnt lgkmcnt(0)
	s_sub_i32 s4, s5, s4
	s_cmp_eq_u32 s4, 1
	s_cselect_b32 s4, -1, 0
	s_delay_alu instid0(SALU_CYCLE_1)
	s_and_not1_b32 vcc_lo, exec_lo, s4
	s_cbranch_vccz .LBB1495_4
.LBB1495_2:
	s_endpgm
.LBB1495_3:
.LBB1495_4:
	s_load_b64 s[4:5], s[0:1], 0x28
	s_lshl_b64 s[6:7], s[30:31], 2
	s_waitcnt lgkmcnt(0)
	s_add_u32 s4, s4, s6
	s_addc_u32 s5, s5, s7
	s_lshl_b32 s12, s14, 8
	s_load_b32 s24, s[4:5], 0x0
	s_waitcnt lgkmcnt(0)
	s_cmp_ge_i32 s12, s24
	s_cbranch_scc1 .LBB1495_2
; %bb.5:
	s_clause 0x1
	s_load_b128 s[20:23], s[0:1], 0x8
	s_load_b64 s[4:5], s[0:1], 0x20
	s_and_not1_b32 vcc_lo, exec_lo, s8
	s_cbranch_vccnz .LBB1495_7
; %bb.6:
	s_add_u32 s2, s2, s6
	s_addc_u32 s3, s3, s7
	s_load_b32 s3, s[2:3], 0x0
	s_branch .LBB1495_8
.LBB1495_7:
	s_mov_b32 s3, s30
.LBB1495_8:
	s_load_b128 s[16:19], s[0:1], 0x48
	v_and_b32_e32 v65, 15, v0
	v_cmp_gt_u32_e32 vcc_lo, 0xa0, v0
	v_lshrrev_b32_e32 v66, 5, v0
	v_and_b32_e32 v67, 31, v0
	v_and_b32_e32 v75, 1, v0
	v_lshlrev_b32_e32 v1, 3, v65
	v_cmp_gt_u32_e64 s2, 8, v65
	v_bfe_u32 v74, v0, 4, 1
	s_mul_i32 s31, s15, 10
	s_delay_alu instid0(VALU_DEP_3) | instskip(NEXT) | instid1(VALU_DEP_3)
	v_lshlrev_b32_e32 v73, 1, v1
	s_and_b32 s7, vcc_lo, s2
	s_delay_alu instid0(SALU_CYCLE_1)
	s_and_saveexec_b32 s6, s7
	s_cbranch_execz .LBB1495_10
; %bb.9:
	s_load_b64 s[8:9], s[0:1], 0x0
	v_lshl_or_b32 v5, v66, 1, v74
	s_waitcnt lgkmcnt(0)
	s_mul_hi_i32 s11, s3, s16
	s_mul_i32 s10, s3, s16
	v_lshlrev_b32_e32 v6, 10, v65
	s_lshl_b64 s[10:11], s[10:11], 1
	v_add_lshl_u32 v1, v5, s31, 6
	v_lshlrev_b32_e32 v5, 6, v5
	v_lshlrev_b32_e32 v7, 10, v75
	v_and_b32_e32 v6, 0x3800, v6
	s_delay_alu instid0(VALU_DEP_4) | instskip(NEXT) | instid1(VALU_DEP_2)
	v_ashrrev_i32_e32 v2, 31, v1
	v_or3_b32 v5, v6, v7, v5
	s_delay_alu instid0(VALU_DEP_2) | instskip(SKIP_2) | instid1(VALU_DEP_1)
	v_lshlrev_b64 v[1:2], 1, v[1:2]
	s_add_u32 s3, s8, s10
	s_addc_u32 s7, s9, s11
	v_add_co_u32 v1, vcc_lo, s3, v1
	s_delay_alu instid0(VALU_DEP_2) | instskip(NEXT) | instid1(VALU_DEP_2)
	v_add_co_ci_u32_e32 v2, vcc_lo, s7, v2, vcc_lo
	v_add_co_u32 v1, vcc_lo, v1, v73
	s_delay_alu instid0(VALU_DEP_2)
	v_add_co_ci_u32_e32 v2, vcc_lo, 0, v2, vcc_lo
	global_load_b128 v[1:4], v[1:2], off
	s_waitcnt vmcnt(0)
	ds_store_b128 v5, v[1:4]
.LBB1495_10:
	s_or_b32 exec_lo, exec_lo, s6
	v_and_b32_e32 v1, 0xef, v0
	s_waitcnt lgkmcnt(0)
	s_add_i32 s3, s24, 31
	s_clause 0x1
	s_load_b32 s6, s[0:1], 0x38
	s_load_b32 s19, s[0:1], 0x1c
	s_ashr_i32 s7, s3, 31
	v_add_nc_u32_e32 v1, s12, v1
	s_lshr_b32 s7, s7, 27
	s_waitcnt lgkmcnt(0)
	s_add_i32 s3, s3, s7
	s_barrier
	v_ashrrev_i32_e32 v2, 31, v1
	v_or_b32_e32 v3, 16, v1
	s_ashr_i32 s3, s3, 5
	v_cmp_gt_i32_e32 vcc_lo, s24, v1
	s_add_i32 s3, s3, -1
	v_lshrrev_b32_e32 v2, 27, v2
	buffer_gl0_inv
	s_mul_i32 s27, s15, s18
	v_add_nc_u32_e32 v4, v1, v2
	s_mul_i32 s6, s30, s6
	s_delay_alu instid0(SALU_CYCLE_1) | instskip(NEXT) | instid1(VALU_DEP_1)
	s_ashr_i32 s7, s6, 31
	v_ashrrev_i32_e32 v4, 5, v4
	v_add_nc_u32_e32 v2, v3, v2
	s_lshl_b64 s[6:7], s[6:7], 2
	s_delay_alu instid0(SALU_CYCLE_1) | instskip(NEXT) | instid1(VALU_DEP_2)
	s_add_u32 s26, s4, s6
	v_cndmask_b32_e32 v1, s3, v4, vcc_lo
	s_delay_alu instid0(VALU_DEP_2)
	v_ashrrev_i32_e32 v2, 5, v2
	v_cmp_gt_i32_e32 vcc_lo, s24, v3
	s_addc_u32 s25, s5, s7
	s_ashr_i32 s28, s27, 31
	s_add_u32 s4, s20, s27
	s_addc_u32 s5, s21, s28
	v_cndmask_b32_e32 v3, s3, v2, vcc_lo
	v_ashrrev_i32_e32 v2, 31, v1
	s_lshl_b32 s6, s14, 3
	s_delay_alu instid0(SALU_CYCLE_1) | instskip(NEXT) | instid1(VALU_DEP_2)
	s_ashr_i32 s7, s6, 31
	v_ashrrev_i32_e32 v4, 31, v3
	s_delay_alu instid0(VALU_DEP_2) | instskip(SKIP_1) | instid1(SALU_CYCLE_1)
	v_lshlrev_b64 v[1:2], 2, v[1:2]
	s_lshl_b64 s[6:7], s[6:7], 2
	s_add_u32 s6, s26, s6
	s_delay_alu instid0(VALU_DEP_2) | instskip(SKIP_1) | instid1(VALU_DEP_2)
	v_lshlrev_b64 v[3:4], 2, v[3:4]
	s_addc_u32 s7, s25, s7
	v_add_co_u32 v1, vcc_lo, s26, v1
	v_add_co_ci_u32_e32 v2, vcc_lo, s25, v2, vcc_lo
	s_delay_alu instid0(VALU_DEP_3) | instskip(NEXT) | instid1(VALU_DEP_4)
	v_add_co_u32 v3, vcc_lo, s26, v3
	v_add_co_ci_u32_e32 v4, vcc_lo, s25, v4, vcc_lo
	s_clause 0x1
	global_load_b32 v5, v[1:2], off
	global_load_b32 v6, v[3:4], off
	s_or_b32 s8, s12, 32
	s_delay_alu instid0(SALU_CYCLE_1) | instskip(SKIP_2) | instid1(SALU_CYCLE_1)
	s_ashr_i32 s9, s8, 5
	s_cmp_lt_i32 s8, s24
	s_cselect_b32 s8, s9, s3
	s_ashr_i32 s9, s8, 31
	s_delay_alu instid0(SALU_CYCLE_1) | instskip(NEXT) | instid1(SALU_CYCLE_1)
	s_lshl_b64 s[8:9], s[8:9], 2
	s_add_u32 s8, s26, s8
	s_addc_u32 s9, s25, s9
	s_or_b32 s10, s12, 64
	s_delay_alu instid0(SALU_CYCLE_1) | instskip(SKIP_2) | instid1(SALU_CYCLE_1)
	s_ashr_i32 s11, s10, 5
	s_cmp_lt_i32 s10, s24
	s_cselect_b32 s10, s11, s3
	s_ashr_i32 s11, s10, 31
	s_delay_alu instid0(SALU_CYCLE_1) | instskip(NEXT) | instid1(SALU_CYCLE_1)
	s_lshl_b64 s[10:11], s[10:11], 2
	s_add_u32 s10, s26, s10
	s_addc_u32 s11, s25, s11
	;; [unrolled: 10-line block ×5, first 2 shown]
	s_clause 0x5
	s_load_b32 s21, s[6:7], 0x0
	s_load_b32 s13, s[8:9], 0x0
	s_load_b32 s15, s[10:11], 0x0
	s_load_b32 s16, s[34:35], 0x0
	s_load_b32 s18, s[36:37], 0x0
	s_load_b32 s20, s[38:39], 0x0
	s_or_b32 s8, s12, 0xc0
	s_delay_alu instid0(SALU_CYCLE_1) | instskip(SKIP_2) | instid1(SALU_CYCLE_1)
	s_ashr_i32 s9, s8, 5
	s_cmp_lt_i32 s8, s24
	s_cselect_b32 s34, s9, s3
	s_ashr_i32 s35, s34, 31
	s_delay_alu instid0(SALU_CYCLE_1) | instskip(NEXT) | instid1(SALU_CYCLE_1)
	s_lshl_b64 s[34:35], s[34:35], 2
	s_add_u32 s34, s26, s34
	s_addc_u32 s35, s25, s35
	s_or_b32 s29, s12, 0xe0
	s_delay_alu instid0(SALU_CYCLE_1)
	s_ashr_i32 s33, s29, 5
	s_cmp_lt_i32 s29, s24
	s_waitcnt vmcnt(1)
	v_mad_i64_i32 v[1:2], null, v5, s17, s[4:5]
	s_waitcnt vmcnt(0)
	v_mad_i64_i32 v[3:4], null, v6, s17, s[4:5]
	s_mov_b32 s4, 0
	s_delay_alu instid0(SALU_CYCLE_1)
	s_mov_b32 s5, s4
	s_mov_b32 s6, s4
	s_mov_b32 s7, s4
	s_mov_b32 s8, s4
	s_mov_b32 s9, s4
	s_mov_b32 s10, s4
	s_mov_b32 s11, s4
	v_lshlrev_b32_e32 v5, 4, v65
	v_dual_mov_b32 v107, s11 :: v_dual_mov_b32 v102, s6
	v_mov_b32_e32 v100, s4
	v_mov_b32_e32 v106, s10
	s_delay_alu instid0(VALU_DEP_4)
	v_add_co_u32 v1, vcc_lo, v1, v5
	v_add_co_ci_u32_e32 v2, vcc_lo, 0, v2, vcc_lo
	v_add_co_u32 v3, vcc_lo, v3, v5
	v_add_co_ci_u32_e32 v4, vcc_lo, 0, v4, vcc_lo
	s_clause 0x7
	global_load_b128 v[49:52], v[1:2], off
	global_load_b128 v[53:56], v[1:2], off offset:512
	global_load_b128 v[76:79], v[3:4], off offset:256
	;; [unrolled: 1-line block ×7, first 2 shown]
	v_add_nc_u32_e32 v1, -10, v65
	v_cmp_gt_u32_e32 vcc_lo, 10, v65
	v_dual_mov_b32 v104, s8 :: v_dual_mov_b32 v103, s7
	v_dual_mov_b32 v101, s5 :: v_dual_lshlrev_b32 v2, 5, v65
	s_delay_alu instid0(VALU_DEP_4)
	v_cndmask_b32_e32 v1, v1, v65, vcc_lo
	v_mov_b32_e32 v105, s9
	s_cselect_b32 s4, s33, s3
	s_load_b32 s3, s[34:35], 0x0
	s_ashr_i32 s5, s4, 31
	v_lshlrev_b32_e32 v70, 6, v1
	s_lshl_b64 s[4:5], s[4:5], 2
	v_lshl_or_b32 v2, v66, 9, v2
	s_add_u32 s4, s26, s4
	s_addc_u32 s5, s25, s5
	ds_load_b128 v[108:111], v70
	ds_load_b128 v[112:115], v70 offset:1024
	s_load_b32 s4, s[4:5], 0x0
	s_add_u32 s6, s22, s27
	s_addc_u32 s7, s23, s28
	v_add_co_u32 v9, s6, s6, v2
	s_delay_alu instid0(VALU_DEP_1) | instskip(SKIP_1) | instid1(VALU_DEP_1)
	v_add_co_ci_u32_e64 v10, null, s7, 0, s6
	s_waitcnt lgkmcnt(0)
	v_mad_i64_i32 v[1:2], null, s21, s17, v[9:10]
	v_mad_i64_i32 v[3:4], null, s13, s17, v[9:10]
	;; [unrolled: 1-line block ×7, first 2 shown]
	s_clause 0x9
	global_load_b128 v[57:60], v[1:2], off
	global_load_b128 v[61:64], v[1:2], off offset:16
	global_load_b128 v[41:44], v[3:4], off
	global_load_b128 v[45:48], v[3:4], off offset:16
	;; [unrolled: 2-line block ×5, first 2 shown]
	v_mad_i64_i32 v[68:69], null, s4, s17, v[9:10]
	s_clause 0x3
	global_load_b128 v[9:12], v[13:14], off
	global_load_b128 v[13:16], v[13:14], off offset:16
	global_load_b128 v[17:20], v[21:22], off
	global_load_b128 v[21:24], v[21:22], off offset:16
	s_waitcnt vmcnt(20)
	v_wmma_f32_16x16x16_bf16 v[116:123], v[49:56], v[108:115], v[100:107]
	s_clause 0x1
	global_load_b128 v[49:52], v[68:69], off
	global_load_b128 v[53:56], v[68:69], off offset:16
	v_and_b32_e32 v68, 0xe0, v0
	v_mbcnt_lo_u32_b32 v69, -1, 0
	s_delay_alu instid0(VALU_DEP_2)
	v_add_nc_u32_e32 v68, s12, v68
	s_waitcnt vmcnt(20)
	v_wmma_f32_16x16x16_bf16 v[100:107], v[76:83], v[108:115], v[100:107]
	ds_load_b128 v[76:79], v70 offset:2048
	ds_load_b128 v[80:83], v70 offset:3072
	v_xor_b32_e32 v70, 16, v69
	s_waitcnt vmcnt(0) lgkmcnt(0)
	v_or_b32_e32 v68, v68, v74
	s_barrier
	buffer_gl0_inv
	v_cmp_gt_i32_e32 vcc_lo, 32, v70
	v_or_b32_e32 v71, 4, v68
	v_or_b32_e32 v72, 6, v68
	v_cmp_gt_i32_e64 s3, s24, v68
	v_or_b32_e32 v108, 8, v68
	v_or_b32_e32 v109, 10, v68
	v_cmp_gt_i32_e64 s4, s24, v71
	v_cmp_gt_i32_e64 s5, s24, v72
	s_delay_alu instid0(VALU_DEP_4) | instskip(NEXT) | instid1(VALU_DEP_4)
	v_cmp_gt_i32_e64 s6, s24, v108
	v_cmp_gt_i32_e64 s7, s24, v109
	v_wmma_f32_16x16x16_bf16 v[116:123], v[84:91], v[76:83], v[116:123]
	v_cndmask_b32_e32 v69, v69, v70, vcc_lo
	v_or_b32_e32 v70, 2, v68
	v_wmma_f32_16x16x16_bf16 v[100:107], v[92:99], v[76:83], v[100:107]
	v_or_b32_e32 v89, 22, v68
	v_dual_mul_f32 v80, s19, v121 :: v_dual_mul_f32 v81, s19, v120
	v_dual_mul_f32 v92, s19, v117 :: v_dual_mul_f32 v93, s19, v116
	s_delay_alu instid0(VALU_DEP_4)
	v_mul_f32_e32 v96, s19, v105
	v_cmp_gt_i32_e32 vcc_lo, s24, v70
	v_dual_mul_f32 v79, s19, v122 :: v_dual_mul_f32 v82, s19, v119
	v_dual_mul_f32 v83, s19, v118 :: v_dual_mul_f32 v94, s19, v107
	v_cndmask_b32_e64 v93, 0xff7fffff, v93, s3
	v_cndmask_b32_e32 v92, 0xff7fffff, v92, vcc_lo
	v_or_b32_e32 v84, 12, v68
	v_or_b32_e32 v85, 14, v68
	v_cndmask_b32_e64 v71, 0xff7fffff, v83, s4
	v_cndmask_b32_e64 v72, 0xff7fffff, v82, s5
	v_cmp_gt_i32_e64 s13, s24, v89
	v_lshlrev_b32_e32 v89, 2, v69
	v_max3_f32 v82, v93, 0xff7fffff, v92
	v_or_b32_e32 v86, 16, v68
	v_or_b32_e32 v87, 18, v68
	v_mul_f32_e32 v78, s19, v123
	v_cndmask_b32_e64 v81, 0xff7fffff, v81, s6
	v_cndmask_b32_e64 v80, 0xff7fffff, v80, s7
	v_max3_f32 v71, v82, v71, v72
	v_cmp_gt_i32_e64 s8, s24, v84
	v_cmp_gt_i32_e64 s9, s24, v85
	v_or_b32_e32 v88, 20, v68
	v_or_b32_e32 v90, 24, v68
	;; [unrolled: 1-line block ×5, first 2 shown]
	v_dual_mul_f32 v97, s19, v104 :: v_dual_mul_f32 v70, s19, v101
	v_dual_mul_f32 v99, s19, v102 :: v_dual_mul_f32 v68, s19, v100
	v_cndmask_b32_e64 v72, 0xff7fffff, v79, s8
	v_cndmask_b32_e64 v78, 0xff7fffff, v78, s9
	v_max3_f32 v71, v71, v81, v80
	v_cmp_gt_i32_e64 s10, s24, v86
	v_cmp_gt_i32_e64 s11, s24, v87
	v_dual_mul_f32 v95, s19, v106 :: v_dual_mul_f32 v98, s19, v103
	s_delay_alu instid0(VALU_DEP_4) | instskip(NEXT) | instid1(VALU_DEP_4)
	v_max3_f32 v71, v71, v72, v78
	v_cndmask_b32_e64 v68, 0xff7fffff, v68, s10
	s_delay_alu instid0(VALU_DEP_4)
	v_cndmask_b32_e64 v70, 0xff7fffff, v70, s11
	v_cmp_gt_i32_e64 s12, s24, v88
	v_cndmask_b32_e64 v78, 0xff7fffff, v98, s13
	v_cmp_gt_i32_e64 s15, s24, v90
	v_cmp_gt_i32_e64 s16, s24, v91
	v_max3_f32 v68, v71, v68, v70
	v_cndmask_b32_e64 v72, 0xff7fffff, v99, s12
	v_cmp_gt_i32_e64 s17, s24, v76
	v_cndmask_b32_e64 v70, 0xff7fffff, v97, s15
	v_cndmask_b32_e64 v71, 0xff7fffff, v96, s16
	v_cmp_gt_i32_e64 s18, s24, v77
	v_max3_f32 v68, v68, v72, v78
	v_cndmask_b32_e64 v72, 0xff7fffff, v95, s17
	s_delay_alu instid0(VALU_DEP_3) | instskip(NEXT) | instid1(VALU_DEP_3)
	v_cndmask_b32_e64 v76, 0xff7fffff, v94, s18
	v_max3_f32 v68, v68, v70, v71
	s_delay_alu instid0(VALU_DEP_1) | instskip(SKIP_3) | instid1(VALU_DEP_1)
	v_max3_f32 v68, v68, v72, v76
	ds_bpermute_b32 v69, v89, v68
	s_waitcnt lgkmcnt(0)
	v_max_f32_e32 v69, v69, v69
	v_max_f32_e32 v68, v68, v69
	s_delay_alu instid0(VALU_DEP_1) | instskip(NEXT) | instid1(VALU_DEP_1)
	v_fma_f32 v71, s19, v118, -v68
	v_mul_f32_e32 v71, 0x3fb8aa3b, v71
	v_fma_f32 v70, s19, v117, -v68
	v_fma_f32 v69, s19, v116, -v68
	;; [unrolled: 1-line block ×5, first 2 shown]
	s_delay_alu instid0(VALU_DEP_4) | instskip(SKIP_1) | instid1(VALU_DEP_3)
	v_dual_mul_f32 v70, 0x3fb8aa3b, v70 :: v_dual_mul_f32 v69, 0x3fb8aa3b, v69
	v_exp_f32_e32 v71, v71
	v_mul_f32_e32 v72, 0x3fb8aa3b, v72
	v_fma_f32 v81, s19, v105, -v68
	s_delay_alu instid0(VALU_DEP_3)
	v_exp_f32_e32 v70, v70
	v_mul_f32_e32 v77, 0x3fb8aa3b, v76
	v_exp_f32_e32 v69, v69
	v_exp_f32_e32 v72, v72
	v_mul_f32_e32 v81, 0x3fb8aa3b, v81
	v_cndmask_b32_e64 v83, 0, v71, s4
	v_fma_f32 v71, s19, v123, -v68
	s_delay_alu instid0(VALU_DEP_3) | instskip(SKIP_4) | instid1(TRANS32_DEP_3)
	v_exp_f32_e32 v81, v81
	v_cndmask_b32_e32 v76, 0, v70, vcc_lo
	v_exp_f32_e32 v77, v77
	v_cndmask_b32_e64 v80, 0, v69, s3
	v_fma_f32 v69, s19, v121, -v68
	v_cndmask_b32_e64 v85, 0, v72, s5
	v_mul_f32_e32 v71, 0x3fb8aa3b, v71
	v_fma_f32 v72, s19, v100, -v68
	s_delay_alu instid0(VALU_DEP_4) | instskip(SKIP_1) | instid1(VALU_DEP_3)
	v_dual_add_f32 v70, 0, v80 :: v_dual_mul_f32 v69, 0x3fb8aa3b, v69
	s_mov_b32 s3, exec_lo
	v_exp_f32_e32 v71, v71
	s_delay_alu instid0(TRANS32_DEP_2) | instskip(SKIP_4) | instid1(VALU_DEP_3)
	v_cndmask_b32_e64 v86, 0, v77, s6
	v_fma_f32 v77, s19, v101, -v68
	v_mul_f32_e32 v78, 0x3fb8aa3b, v78
	v_add_f32_e32 v70, v70, v76
	v_exp_f32_e32 v69, v69
	v_mul_f32_e32 v77, 0x3fb8aa3b, v77
	s_delay_alu instid0(VALU_DEP_3) | instskip(NEXT) | instid1(TRANS32_DEP_3)
	v_exp_f32_e32 v78, v78
	v_cndmask_b32_e64 v88, 0, v71, s9
	v_fma_f32 v71, s19, v104, -v68
	s_delay_alu instid0(VALU_DEP_3) | instskip(NEXT) | instid1(TRANS32_DEP_3)
	v_exp_f32_e32 v77, v77
	v_cndmask_b32_e64 v87, 0, v69, s7
	s_delay_alu instid0(VALU_DEP_2)
	v_mul_f32_e32 v71, 0x3fb8aa3b, v71
	s_waitcnt_depctr 0xfff
	v_cndmask_b32_e64 v84, 0, v78, s8
	v_add_f32_e32 v70, v70, v83
	v_fma_f32 v78, s19, v103, -v68
	v_exp_f32_e32 v82, v71
	s_delay_alu instid0(VALU_DEP_2) | instskip(SKIP_1) | instid1(VALU_DEP_3)
	v_add_f32_e32 v70, v70, v85
	v_mul_f32_e32 v72, 0x3fb8aa3b, v72
	v_mul_f32_e32 v78, 0x3fb8aa3b, v78
	s_delay_alu instid0(VALU_DEP_3) | instskip(SKIP_1) | instid1(VALU_DEP_4)
	v_add_f32_e32 v69, v70, v86
	v_fma_f32 v70, s19, v102, -v68
	v_exp_f32_e32 v72, v72
	s_delay_alu instid0(VALU_DEP_3) | instskip(NEXT) | instid1(VALU_DEP_1)
	v_exp_f32_e32 v78, v78
	v_dual_add_f32 v69, v69, v87 :: v_dual_mul_f32 v70, 0x3fb8aa3b, v70
	s_delay_alu instid0(VALU_DEP_1) | instskip(NEXT) | instid1(VALU_DEP_2)
	v_add_f32_e32 v69, v69, v84
	v_exp_f32_e32 v79, v70
	s_delay_alu instid0(TRANS32_DEP_3) | instskip(NEXT) | instid1(VALU_DEP_2)
	v_cndmask_b32_e64 v70, 0, v72, s10
	v_add_f32_e32 v72, v69, v88
	v_cndmask_b32_e64 v69, 0, v77, s11
	v_fma_f32 v77, s19, v106, -v68
	s_waitcnt_depctr 0xfff
	v_cndmask_b32_e64 v71, 0, v79, s12
	v_dual_mul_f32 v77, 0x3fb8aa3b, v77 :: v_dual_add_f32 v72, v72, v70
	s_delay_alu instid0(VALU_DEP_1) | instskip(NEXT) | instid1(VALU_DEP_1)
	v_exp_f32_e32 v90, v77
	v_add_f32_e32 v79, v72, v69
	v_cndmask_b32_e64 v72, 0, v78, s13
	v_cndmask_b32_e64 v77, 0, v82, s15
	s_delay_alu instid0(VALU_DEP_3) | instskip(SKIP_1) | instid1(VALU_DEP_1)
	v_add_f32_e32 v78, v79, v71
	v_fma_f32 v79, s19, v107, -v68
	v_dual_add_f32 v82, v78, v72 :: v_dual_mul_f32 v79, 0x3fb8aa3b, v79
	v_cndmask_b32_e64 v78, 0, v81, s16
	s_delay_alu instid0(VALU_DEP_2) | instskip(NEXT) | instid1(VALU_DEP_3)
	v_add_f32_e32 v81, v82, v77
	v_exp_f32_e32 v82, v79
	v_cndmask_b32_e64 v79, 0, v90, s17
	s_delay_alu instid0(VALU_DEP_2) | instskip(NEXT) | instid1(VALU_DEP_1)
	v_add_f32_e32 v81, v81, v78
	v_add_f32_e32 v90, v81, v79
	s_waitcnt_depctr 0xfff
	v_cndmask_b32_e64 v81, 0, v82, s18
	s_delay_alu instid0(VALU_DEP_1)
	v_add_f32_e32 v82, v90, v81
	ds_bpermute_b32 v89, v89, v82
	v_cmpx_gt_u32_e32 16, v67
	s_cbranch_execz .LBB1495_12
; %bb.11:
	v_mul_u32_u24_e32 v67, 0x44, v66
	s_delay_alu instid0(VALU_DEP_1) | instskip(SKIP_1) | instid1(VALU_DEP_1)
	v_lshl_add_u32 v67, v65, 2, v67
	s_waitcnt lgkmcnt(0)
	v_dual_add_f32 v82, v82, v89 :: v_dual_add_nc_u32 v67, 0x4000, v67
	ds_store_2addr_b32 v67, v68, v82 offset1:136
.LBB1495_12:
	s_or_b32 exec_lo, exec_lo, s3
	v_lshlrev_b32_e32 v67, 2, v65
	s_waitcnt lgkmcnt(0)
	s_barrier
	buffer_gl0_inv
	v_cmp_eq_u32_e32 vcc_lo, 1, v66
	v_add_nc_u32_e32 v82, 0x4000, v67
	v_cmp_eq_u32_e64 s3, 2, v66
	v_cmp_eq_u32_e64 s5, 7, v66
	ds_load_2addr_b32 v[89:90], v82 offset1:17
	ds_load_2addr_b32 v[91:92], v82 offset0:34 offset1:51
	ds_load_2addr_b32 v[93:94], v82 offset0:68 offset1:85
	;; [unrolled: 1-line block ×4, first 2 shown]
	s_waitcnt lgkmcnt(4)
	v_max3_f32 v67, v89, 0xff7fffff, v90
	s_waitcnt lgkmcnt(3)
	s_delay_alu instid0(VALU_DEP_1) | instskip(SKIP_1) | instid1(VALU_DEP_1)
	v_max3_f32 v67, v67, v91, v92
	s_waitcnt lgkmcnt(2)
	v_max3_f32 v67, v67, v93, v94
	s_waitcnt lgkmcnt(1)
	s_delay_alu instid0(VALU_DEP_1) | instskip(NEXT) | instid1(VALU_DEP_1)
	v_max3_f32 v67, v67, v95, v96
	v_sub_f32_e32 v93, v93, v67
	s_delay_alu instid0(VALU_DEP_1) | instskip(NEXT) | instid1(VALU_DEP_1)
	v_dual_sub_f32 v68, v89, v67 :: v_dual_mul_f32 v103, 0x3fb8aa3b, v93
	v_mul_f32_e32 v68, 0x3fb8aa3b, v68
	s_delay_alu instid0(VALU_DEP_1)
	v_exp_f32_e32 v100, v68
	v_sub_f32_e32 v68, v92, v67
	v_sub_f32_e32 v99, v90, v67
	ds_load_2addr_b32 v[89:90], v82 offset0:170 offset1:187
	v_dual_mul_f32 v102, 0x3fb8aa3b, v68 :: v_dual_mul_f32 v99, 0x3fb8aa3b, v99
	s_waitcnt lgkmcnt(1)
	v_fma_f32 v68, v100, v97, 0
	s_delay_alu instid0(VALU_DEP_2) | instskip(NEXT) | instid1(VALU_DEP_2)
	v_exp_f32_e32 v102, v102
	v_exp_f32_e32 v99, v99
	s_waitcnt_depctr 0xfff
	v_fmac_f32_e32 v68, v99, v98
	v_sub_f32_e32 v91, v91, v67
	s_delay_alu instid0(VALU_DEP_1)
	v_mul_f32_e32 v101, 0x3fb8aa3b, v91
	ds_load_2addr_b32 v[91:92], v82 offset0:204 offset1:221
	v_sub_f32_e32 v97, v94, v67
	ds_load_2addr_b32 v[93:94], v82 offset0:238 offset1:255
	s_waitcnt lgkmcnt(0)
	v_exp_f32_e32 v101, v101
	s_barrier
	buffer_gl0_inv
	v_dual_fmac_f32 v68, v101, v89 :: v_dual_sub_f32 v89, v96, v67
	v_dual_sub_f32 v82, v95, v67 :: v_dual_mul_f32 v95, 0x3fb8aa3b, v97
	v_exp_f32_e32 v97, v103
	s_delay_alu instid0(VALU_DEP_2) | instskip(NEXT) | instid1(VALU_DEP_2)
	v_dual_fmac_f32 v68, v102, v90 :: v_dual_mul_f32 v89, 0x3fb8aa3b, v89
	v_mul_f32_e32 v82, 0x3fb8aa3b, v82
	s_delay_alu instid0(VALU_DEP_3) | instskip(NEXT) | instid1(VALU_DEP_2)
	v_exp_f32_e32 v95, v95
	v_exp_f32_e32 v89, v89
	s_delay_alu instid0(VALU_DEP_1)
	v_exp_f32_e32 v82, v82
	v_fmac_f32_e32 v68, v97, v91
	s_delay_alu instid0(TRANS32_DEP_3) | instid1(VALU_DEP_1)
	v_fmac_f32_e32 v68, v95, v92
	s_waitcnt_depctr 0xfff
	v_fmac_f32_e32 v68, v82, v93
	s_delay_alu instid0(VALU_DEP_1) | instskip(NEXT) | instid1(VALU_DEP_1)
	v_fmac_f32_e32 v68, v89, v94
	v_add_f32_e32 v90, 0x358637bd, v68
	s_delay_alu instid0(VALU_DEP_1) | instskip(NEXT) | instid1(VALU_DEP_1)
	v_div_scale_f32 v91, null, v90, v90, 1.0
	v_rcp_f32_e32 v92, v91
	s_waitcnt_depctr 0xfff
	v_fma_f32 v93, -v91, v92, 1.0
	s_delay_alu instid0(VALU_DEP_1) | instskip(SKIP_1) | instid1(VALU_DEP_2)
	v_dual_fmac_f32 v92, v93, v92 :: v_dual_cndmask_b32 v93, v100, v99
	v_cmp_eq_u32_e32 vcc_lo, 3, v66
	v_cndmask_b32_e64 v93, v93, v101, s3
	v_cmp_eq_u32_e64 s3, 4, v66
	s_delay_alu instid0(VALU_DEP_2) | instskip(SKIP_1) | instid1(VALU_DEP_2)
	v_cndmask_b32_e32 v93, v93, v102, vcc_lo
	v_cmp_eq_u32_e32 vcc_lo, 5, v66
	v_cndmask_b32_e64 v93, v93, v97, s3
	v_cmp_eq_u32_e64 s3, 6, v66
	s_delay_alu instid0(VALU_DEP_2) | instskip(SKIP_1) | instid1(VALU_DEP_1)
	v_cndmask_b32_e32 v93, v93, v95, vcc_lo
	v_div_scale_f32 v94, s4, 1.0, v90, 1.0
	s_mov_b32 vcc_lo, s4
	s_delay_alu instid0(VALU_DEP_2) | instskip(NEXT) | instid1(VALU_DEP_2)
	v_cndmask_b32_e64 v82, v93, v82, s3
	v_mul_f32_e32 v96, v94, v92
	s_mov_b32 s3, exec_lo
	s_delay_alu instid0(VALU_DEP_2) | instskip(NEXT) | instid1(VALU_DEP_2)
	v_cndmask_b32_e64 v82, v82, v89, s5
	v_fma_f32 v98, -v91, v96, v94
	s_delay_alu instid0(VALU_DEP_1) | instskip(NEXT) | instid1(VALU_DEP_1)
	v_fmac_f32_e32 v96, v98, v92
	v_fma_f32 v91, -v91, v96, v94
	s_delay_alu instid0(VALU_DEP_1) | instskip(NEXT) | instid1(VALU_DEP_1)
	v_div_fmas_f32 v91, v91, v92, v96
	v_div_fixup_f32 v90, v91, v90, 1.0
	s_delay_alu instid0(VALU_DEP_1) | instskip(NEXT) | instid1(VALU_DEP_1)
	v_mul_f32_e32 v82, v82, v90
	v_mul_f32_e32 v87, v82, v87
	;; [unrolled: 1-line block ×7, first 2 shown]
	v_dual_mul_f32 v86, v82, v83 :: v_dual_and_b32 v91, 0x7f800000, v90
	v_mul_f32_e32 v85, v82, v76
                                        ; implicit-def: $vgpr76
	s_delay_alu instid0(VALU_DEP_2)
	v_cmpx_ne_u32_e32 0x7f800000, v91
	s_xor_b32 s3, exec_lo, s3
; %bb.13:
	v_bfe_u32 v76, v90, 16, 1
	s_delay_alu instid0(VALU_DEP_1)
	v_add3_u32 v76, v90, v76, 0x7fff
                                        ; implicit-def: $vgpr90
; %bb.14:
	s_and_not1_saveexec_b32 s3, s3
; %bb.15:
	v_and_b32_e32 v76, 0xffff, v90
	v_or_b32_e32 v83, 0x10000, v90
	s_delay_alu instid0(VALU_DEP_2) | instskip(NEXT) | instid1(VALU_DEP_2)
	v_cmp_eq_u32_e32 vcc_lo, 0, v76
	v_cndmask_b32_e32 v76, v83, v90, vcc_lo
; %bb.16:
	s_or_b32 exec_lo, exec_lo, s3
	v_and_b32_e32 v83, 0x7f800000, v85
	s_delay_alu instid0(VALU_DEP_1) | instskip(SKIP_1) | instid1(SALU_CYCLE_1)
	v_cmp_ne_u32_e32 vcc_lo, 0x7f800000, v83
                                        ; implicit-def: $vgpr83
	s_and_saveexec_b32 s3, vcc_lo
	s_xor_b32 s3, exec_lo, s3
; %bb.17:
	v_bfe_u32 v83, v85, 16, 1
	s_delay_alu instid0(VALU_DEP_1)
	v_add3_u32 v83, v85, v83, 0x7fff
                                        ; implicit-def: $vgpr85
; %bb.18:
	s_and_not1_saveexec_b32 s3, s3
; %bb.19:
	v_and_b32_e32 v83, 0xffff, v85
	v_or_b32_e32 v90, 0x10000, v85
	s_delay_alu instid0(VALU_DEP_2) | instskip(NEXT) | instid1(VALU_DEP_2)
	v_cmp_eq_u32_e32 vcc_lo, 0, v83
	v_cndmask_b32_e32 v83, v90, v85, vcc_lo
; %bb.20:
	s_or_b32 exec_lo, exec_lo, s3
	v_and_b32_e32 v85, 0x7f800000, v86
	s_delay_alu instid0(VALU_DEP_1) | instskip(SKIP_1) | instid1(SALU_CYCLE_1)
	v_cmp_ne_u32_e32 vcc_lo, 0x7f800000, v85
                                        ; implicit-def: $vgpr85
	s_and_saveexec_b32 s3, vcc_lo
	s_xor_b32 s3, exec_lo, s3
; %bb.21:
	v_bfe_u32 v85, v86, 16, 1
	s_delay_alu instid0(VALU_DEP_1)
	v_add3_u32 v85, v86, v85, 0x7fff
                                        ; implicit-def: $vgpr86
; %bb.22:
	s_and_not1_saveexec_b32 s3, s3
; %bb.23:
	v_and_b32_e32 v85, 0xffff, v86
	v_or_b32_e32 v90, 0x10000, v86
	s_delay_alu instid0(VALU_DEP_2) | instskip(NEXT) | instid1(VALU_DEP_2)
	v_cmp_eq_u32_e32 vcc_lo, 0, v85
	v_cndmask_b32_e32 v85, v90, v86, vcc_lo
; %bb.24:
	s_or_b32 exec_lo, exec_lo, s3
	v_and_b32_e32 v86, 0x7f800000, v89
	s_delay_alu instid0(VALU_DEP_1) | instskip(SKIP_1) | instid1(SALU_CYCLE_1)
	v_cmp_ne_u32_e32 vcc_lo, 0x7f800000, v86
                                        ; implicit-def: $vgpr86
	s_and_saveexec_b32 s3, vcc_lo
	s_xor_b32 s3, exec_lo, s3
; %bb.25:
	v_bfe_u32 v86, v89, 16, 1
	s_delay_alu instid0(VALU_DEP_1)
	v_add3_u32 v86, v89, v86, 0x7fff
                                        ; implicit-def: $vgpr89
; %bb.26:
	s_and_not1_saveexec_b32 s3, s3
; %bb.27:
	v_and_b32_e32 v86, 0xffff, v89
	v_or_b32_e32 v90, 0x10000, v89
	s_delay_alu instid0(VALU_DEP_2) | instskip(NEXT) | instid1(VALU_DEP_2)
	v_cmp_eq_u32_e32 vcc_lo, 0, v86
	v_cndmask_b32_e32 v86, v90, v89, vcc_lo
; %bb.28:
	s_or_b32 exec_lo, exec_lo, s3
	v_and_b32_e32 v89, 0x7f800000, v88
	s_delay_alu instid0(VALU_DEP_1) | instskip(SKIP_1) | instid1(SALU_CYCLE_1)
	v_cmp_ne_u32_e32 vcc_lo, 0x7f800000, v89
                                        ; implicit-def: $vgpr89
	s_and_saveexec_b32 s3, vcc_lo
	s_xor_b32 s3, exec_lo, s3
; %bb.29:
	v_bfe_u32 v89, v88, 16, 1
	s_delay_alu instid0(VALU_DEP_1)
	v_add3_u32 v89, v88, v89, 0x7fff
                                        ; implicit-def: $vgpr88
; %bb.30:
	s_and_not1_saveexec_b32 s3, s3
; %bb.31:
	v_and_b32_e32 v89, 0xffff, v88
	v_or_b32_e32 v90, 0x10000, v88
	s_delay_alu instid0(VALU_DEP_2) | instskip(NEXT) | instid1(VALU_DEP_2)
	v_cmp_eq_u32_e32 vcc_lo, 0, v89
	v_cndmask_b32_e32 v89, v90, v88, vcc_lo
; %bb.32:
	s_or_b32 exec_lo, exec_lo, s3
	v_and_b32_e32 v88, 0x7f800000, v87
	s_delay_alu instid0(VALU_DEP_1) | instskip(SKIP_1) | instid1(SALU_CYCLE_1)
	v_cmp_ne_u32_e32 vcc_lo, 0x7f800000, v88
                                        ; implicit-def: $vgpr88
	s_and_saveexec_b32 s3, vcc_lo
	s_xor_b32 s3, exec_lo, s3
; %bb.33:
	v_bfe_u32 v88, v87, 16, 1
	s_delay_alu instid0(VALU_DEP_1)
	v_add3_u32 v88, v87, v88, 0x7fff
                                        ; implicit-def: $vgpr87
; %bb.34:
	s_and_not1_saveexec_b32 s3, s3
; %bb.35:
	v_and_b32_e32 v88, 0xffff, v87
	v_or_b32_e32 v90, 0x10000, v87
	s_delay_alu instid0(VALU_DEP_2) | instskip(NEXT) | instid1(VALU_DEP_2)
	v_cmp_eq_u32_e32 vcc_lo, 0, v88
	v_cndmask_b32_e32 v88, v90, v87, vcc_lo
; %bb.36:
	s_or_b32 exec_lo, exec_lo, s3
	v_and_b32_e32 v87, 0x7f800000, v84
	s_delay_alu instid0(VALU_DEP_1) | instskip(SKIP_1) | instid1(SALU_CYCLE_1)
	v_cmp_ne_u32_e32 vcc_lo, 0x7f800000, v87
                                        ; implicit-def: $vgpr87
	s_and_saveexec_b32 s3, vcc_lo
	s_xor_b32 s3, exec_lo, s3
; %bb.37:
	v_bfe_u32 v87, v84, 16, 1
	s_delay_alu instid0(VALU_DEP_1)
	v_add3_u32 v87, v84, v87, 0x7fff
                                        ; implicit-def: $vgpr84
; %bb.38:
	s_and_not1_saveexec_b32 s3, s3
; %bb.39:
	v_and_b32_e32 v87, 0xffff, v84
	v_or_b32_e32 v90, 0x10000, v84
	s_delay_alu instid0(VALU_DEP_2) | instskip(NEXT) | instid1(VALU_DEP_2)
	v_cmp_eq_u32_e32 vcc_lo, 0, v87
	v_cndmask_b32_e32 v87, v90, v84, vcc_lo
; %bb.40:
	s_or_b32 exec_lo, exec_lo, s3
	v_and_b32_e32 v84, 0x7f800000, v80
	s_delay_alu instid0(VALU_DEP_1) | instskip(SKIP_1) | instid1(SALU_CYCLE_1)
	v_cmp_ne_u32_e32 vcc_lo, 0x7f800000, v84
                                        ; implicit-def: $vgpr84
	s_and_saveexec_b32 s3, vcc_lo
	s_xor_b32 s3, exec_lo, s3
; %bb.41:
	v_bfe_u32 v84, v80, 16, 1
	s_delay_alu instid0(VALU_DEP_1)
	v_add3_u32 v84, v80, v84, 0x7fff
                                        ; implicit-def: $vgpr80
; %bb.42:
	s_and_not1_saveexec_b32 s3, s3
; %bb.43:
	v_and_b32_e32 v84, 0xffff, v80
	v_or_b32_e32 v90, 0x10000, v80
	s_delay_alu instid0(VALU_DEP_2) | instskip(NEXT) | instid1(VALU_DEP_2)
	v_cmp_eq_u32_e32 vcc_lo, 0, v84
	v_cndmask_b32_e32 v84, v90, v80, vcc_lo
; %bb.44:
	s_or_b32 exec_lo, exec_lo, s3
	s_load_b64 s[34:35], s[0:1], 0x94
	v_lshlrev_b32_e32 v91, 4, v74
	s_delay_alu instid0(VALU_DEP_2)
	v_perm_b32 v90, v84, v87, 0x7060302
	v_dual_mul_f32 v79, v82, v79 :: v_dual_lshlrev_b32 v80, 6, v65
	v_dual_mul_f32 v77, v82, v77 :: v_dual_lshlrev_b32 v92, 11, v66
	v_mul_f32_e32 v84, v82, v70
	v_perm_b32 v89, v88, v89, 0x7060302
	v_perm_b32 v88, v86, v85, 0x7060302
	;; [unrolled: 1-line block ×3, first 2 shown]
	v_mul_f32_e32 v70, v82, v81
	v_or3_b32 v76, v91, v92, v80
	v_dual_mul_f32 v78, v82, v78 :: v_dual_and_b32 v85, 0x7f800000, v84
	v_mul_f32_e32 v83, v82, v72
	v_mul_f32_e32 v81, v82, v71
	;; [unrolled: 1-line block ×3, first 2 shown]
	s_mov_b32 s3, exec_lo
	ds_store_b128 v76, v[87:90]
                                        ; implicit-def: $vgpr69
	v_cmpx_ne_u32_e32 0x7f800000, v85
	s_xor_b32 s3, exec_lo, s3
; %bb.45:
	v_bfe_u32 v69, v84, 16, 1
	s_delay_alu instid0(VALU_DEP_1)
	v_add3_u32 v69, v84, v69, 0x7fff
                                        ; implicit-def: $vgpr84
; %bb.46:
	s_and_not1_saveexec_b32 s3, s3
; %bb.47:
	v_and_b32_e32 v69, 0xffff, v84
	v_or_b32_e32 v71, 0x10000, v84
	s_delay_alu instid0(VALU_DEP_2) | instskip(NEXT) | instid1(VALU_DEP_2)
	v_cmp_eq_u32_e32 vcc_lo, 0, v69
	v_cndmask_b32_e32 v69, v71, v84, vcc_lo
; %bb.48:
	s_or_b32 exec_lo, exec_lo, s3
	v_and_b32_e32 v71, 0x7f800000, v72
	s_delay_alu instid0(VALU_DEP_1) | instskip(SKIP_1) | instid1(SALU_CYCLE_1)
	v_cmp_ne_u32_e32 vcc_lo, 0x7f800000, v71
                                        ; implicit-def: $vgpr71
	s_and_saveexec_b32 s3, vcc_lo
	s_xor_b32 s3, exec_lo, s3
; %bb.49:
	v_bfe_u32 v71, v72, 16, 1
	s_delay_alu instid0(VALU_DEP_1)
	v_add3_u32 v71, v72, v71, 0x7fff
                                        ; implicit-def: $vgpr72
; %bb.50:
	s_and_not1_saveexec_b32 s3, s3
; %bb.51:
	v_and_b32_e32 v71, 0xffff, v72
	v_or_b32_e32 v82, 0x10000, v72
	s_delay_alu instid0(VALU_DEP_2) | instskip(NEXT) | instid1(VALU_DEP_2)
	v_cmp_eq_u32_e32 vcc_lo, 0, v71
	v_cndmask_b32_e32 v71, v82, v72, vcc_lo
; %bb.52:
	s_or_b32 exec_lo, exec_lo, s3
	v_and_b32_e32 v72, 0x7f800000, v81
	s_delay_alu instid0(VALU_DEP_1) | instskip(SKIP_1) | instid1(SALU_CYCLE_1)
	v_cmp_ne_u32_e32 vcc_lo, 0x7f800000, v72
                                        ; implicit-def: $vgpr72
	s_and_saveexec_b32 s3, vcc_lo
	s_xor_b32 s3, exec_lo, s3
; %bb.53:
	v_bfe_u32 v72, v81, 16, 1
	s_delay_alu instid0(VALU_DEP_1)
	v_add3_u32 v72, v81, v72, 0x7fff
                                        ; implicit-def: $vgpr81
; %bb.54:
	s_and_not1_saveexec_b32 s3, s3
; %bb.55:
	v_and_b32_e32 v72, 0xffff, v81
	v_or_b32_e32 v82, 0x10000, v81
	s_delay_alu instid0(VALU_DEP_2) | instskip(NEXT) | instid1(VALU_DEP_2)
	v_cmp_eq_u32_e32 vcc_lo, 0, v72
	v_cndmask_b32_e32 v72, v82, v81, vcc_lo
; %bb.56:
	s_or_b32 exec_lo, exec_lo, s3
	v_and_b32_e32 v81, 0x7f800000, v83
	s_delay_alu instid0(VALU_DEP_1) | instskip(SKIP_1) | instid1(SALU_CYCLE_1)
	v_cmp_ne_u32_e32 vcc_lo, 0x7f800000, v81
                                        ; implicit-def: $vgpr81
	s_and_saveexec_b32 s3, vcc_lo
	s_xor_b32 s3, exec_lo, s3
; %bb.57:
	v_bfe_u32 v81, v83, 16, 1
	s_delay_alu instid0(VALU_DEP_1)
	v_add3_u32 v81, v83, v81, 0x7fff
                                        ; implicit-def: $vgpr83
; %bb.58:
	s_and_not1_saveexec_b32 s3, s3
; %bb.59:
	v_and_b32_e32 v81, 0xffff, v83
	v_or_b32_e32 v82, 0x10000, v83
	s_delay_alu instid0(VALU_DEP_2) | instskip(NEXT) | instid1(VALU_DEP_2)
	v_cmp_eq_u32_e32 vcc_lo, 0, v81
	v_cndmask_b32_e32 v81, v82, v83, vcc_lo
; %bb.60:
	s_or_b32 exec_lo, exec_lo, s3
	v_and_b32_e32 v82, 0x7f800000, v77
	s_delay_alu instid0(VALU_DEP_1) | instskip(SKIP_1) | instid1(SALU_CYCLE_1)
	v_cmp_ne_u32_e32 vcc_lo, 0x7f800000, v82
                                        ; implicit-def: $vgpr82
	s_and_saveexec_b32 s3, vcc_lo
	s_xor_b32 s3, exec_lo, s3
; %bb.61:
	v_bfe_u32 v82, v77, 16, 1
	s_delay_alu instid0(VALU_DEP_1)
	v_add3_u32 v82, v77, v82, 0x7fff
                                        ; implicit-def: $vgpr77
; %bb.62:
	s_and_not1_saveexec_b32 s3, s3
; %bb.63:
	v_and_b32_e32 v82, 0xffff, v77
	v_or_b32_e32 v83, 0x10000, v77
	s_delay_alu instid0(VALU_DEP_2) | instskip(NEXT) | instid1(VALU_DEP_2)
	v_cmp_eq_u32_e32 vcc_lo, 0, v82
	v_cndmask_b32_e32 v82, v83, v77, vcc_lo
; %bb.64:
	s_or_b32 exec_lo, exec_lo, s3
	v_and_b32_e32 v77, 0x7f800000, v78
	s_delay_alu instid0(VALU_DEP_1) | instskip(SKIP_1) | instid1(SALU_CYCLE_1)
	v_cmp_ne_u32_e32 vcc_lo, 0x7f800000, v77
                                        ; implicit-def: $vgpr77
	s_and_saveexec_b32 s3, vcc_lo
	s_xor_b32 s3, exec_lo, s3
; %bb.65:
	v_bfe_u32 v77, v78, 16, 1
	s_delay_alu instid0(VALU_DEP_1)
	v_add3_u32 v77, v78, v77, 0x7fff
                                        ; implicit-def: $vgpr78
; %bb.66:
	s_and_not1_saveexec_b32 s3, s3
; %bb.67:
	v_and_b32_e32 v77, 0xffff, v78
	v_or_b32_e32 v83, 0x10000, v78
	s_delay_alu instid0(VALU_DEP_2) | instskip(NEXT) | instid1(VALU_DEP_2)
	v_cmp_eq_u32_e32 vcc_lo, 0, v77
	v_cndmask_b32_e32 v77, v83, v78, vcc_lo
; %bb.68:
	s_or_b32 exec_lo, exec_lo, s3
	v_and_b32_e32 v78, 0x7f800000, v79
	s_delay_alu instid0(VALU_DEP_1) | instskip(SKIP_1) | instid1(SALU_CYCLE_1)
	v_cmp_ne_u32_e32 vcc_lo, 0x7f800000, v78
                                        ; implicit-def: $vgpr78
	s_and_saveexec_b32 s3, vcc_lo
	s_xor_b32 s3, exec_lo, s3
; %bb.69:
	v_bfe_u32 v78, v79, 16, 1
	s_delay_alu instid0(VALU_DEP_1)
	v_add3_u32 v78, v79, v78, 0x7fff
                                        ; implicit-def: $vgpr79
; %bb.70:
	s_and_not1_saveexec_b32 s3, s3
; %bb.71:
	v_and_b32_e32 v78, 0xffff, v79
	v_or_b32_e32 v83, 0x10000, v79
	s_delay_alu instid0(VALU_DEP_2) | instskip(NEXT) | instid1(VALU_DEP_2)
	v_cmp_eq_u32_e32 vcc_lo, 0, v78
	v_cndmask_b32_e32 v78, v83, v79, vcc_lo
; %bb.72:
	s_or_b32 exec_lo, exec_lo, s3
	v_and_b32_e32 v79, 0x7f800000, v70
	s_delay_alu instid0(VALU_DEP_1) | instskip(SKIP_1) | instid1(SALU_CYCLE_1)
	v_cmp_ne_u32_e32 vcc_lo, 0x7f800000, v79
                                        ; implicit-def: $vgpr79
	s_and_saveexec_b32 s3, vcc_lo
	s_xor_b32 s3, exec_lo, s3
; %bb.73:
	v_bfe_u32 v79, v70, 16, 1
	s_delay_alu instid0(VALU_DEP_1)
	v_add3_u32 v79, v70, v79, 0x7fff
                                        ; implicit-def: $vgpr70
; %bb.74:
	s_and_not1_saveexec_b32 s3, s3
; %bb.75:
	v_and_b32_e32 v79, 0xffff, v70
	v_or_b32_e32 v83, 0x10000, v70
	s_delay_alu instid0(VALU_DEP_2) | instskip(NEXT) | instid1(VALU_DEP_2)
	v_cmp_eq_u32_e32 vcc_lo, 0, v79
	v_cndmask_b32_e32 v79, v83, v70, vcc_lo
; %bb.76:
	s_or_b32 exec_lo, exec_lo, s3
	s_delay_alu instid0(VALU_DEP_1)
	v_perm_b32 v86, v79, v78, 0x7060302
	v_perm_b32 v85, v77, v82, 0x7060302
	;; [unrolled: 1-line block ×4, first 2 shown]
	v_lshl_or_b32 v82, v66, 11, v80
	ds_store_b128 v76, v[83:86] offset:1024
	s_waitcnt lgkmcnt(0)
	s_barrier
	buffer_gl0_inv
	ds_load_b128 v[69:72], v82
	ds_load_b128 v[83:86], v82 offset:16
	s_waitcnt lgkmcnt(1)
	v_lshrrev_b32_e32 v66, 16, v69
	s_waitcnt lgkmcnt(0)
	v_lshrrev_b32_e32 v91, 16, v83
	v_lshlrev_b32_e32 v78, 2, v74
	v_lshrrev_b32_e32 v95, 16, v70
	v_lshrrev_b32_e32 v98, 16, v84
	;; [unrolled: 1-line block ×4, first 2 shown]
	v_cmp_eq_u32_e32 vcc_lo, 1, v78
	v_lshrrev_b32_e32 v97, 16, v72
	v_lshrrev_b32_e32 v100, 16, v86
	v_cndmask_b32_e32 v87, v83, v91, vcc_lo
	v_or_b32_e32 v79, 1, v78
	v_cndmask_b32_e32 v81, v69, v66, vcc_lo
	v_cmp_eq_u32_e64 s4, 2, v78
	v_cmp_eq_u32_e64 s7, 3, v78
	;; [unrolled: 1-line block ×5, first 2 shown]
	v_cndmask_b32_e64 v81, v81, v70, s4
	v_cndmask_b32_e64 v87, v87, v84, s4
	v_cmp_eq_u32_e64 s8, 3, v79
	v_cndmask_b32_e64 v88, v69, v66, s3
	v_or_b32_e32 v77, 2, v78
	v_cndmask_b32_e64 v81, v81, v95, s7
	v_cndmask_b32_e64 v87, v87, v98, s7
	;; [unrolled: 1-line block ×4, first 2 shown]
	v_cmp_eq_u32_e64 s10, 5, v78
	v_cndmask_b32_e64 v81, v81, v71, s9
	v_cndmask_b32_e64 v87, v87, v85, s9
	v_cmp_eq_u32_e64 s11, 4, v79
	v_cndmask_b32_e64 v88, v88, v95, s8
	v_cmp_eq_u32_e64 s5, 1, v77
	v_cndmask_b32_e64 v89, v89, v84, s6
	v_cndmask_b32_e64 v81, v81, v96, s10
	v_cmp_eq_u32_e64 s12, 6, v78
	v_cndmask_b32_e64 v88, v88, v71, s11
	v_cndmask_b32_e64 v87, v87, v99, s10
	v_cmp_eq_u32_e64 s13, 5, v79
	v_cndmask_b32_e64 v90, v69, v66, s5
	v_cndmask_b32_e64 v89, v89, v98, s8
	v_cndmask_b32_e64 v81, v81, v72, s12
	v_cmp_eq_u32_e64 s15, 7, v78
	v_cndmask_b32_e64 v88, v88, v96, s13
	v_cndmask_b32_e64 v87, v87, v86, s12
	v_cmp_eq_u32_e64 s16, 6, v79
	v_cmp_eq_u32_e64 s17, 2, v77
	v_cndmask_b32_e64 v89, v89, v85, s11
	v_cndmask_b32_e64 v101, v81, v97, s15
	;; [unrolled: 1-line block ×6, first 2 shown]
	v_cmp_eq_u32_e64 s18, 7, v79
	v_cmp_eq_u32_e64 s19, 3, v77
	;; [unrolled: 1-line block ×4, first 2 shown]
	v_cndmask_b32_e64 v87, v87, v84, s17
	v_cndmask_b32_e64 v103, v88, v97, s18
	;; [unrolled: 1-line block ×4, first 2 shown]
	v_or_b32_e32 v81, 3, v78
	v_cndmask_b32_e64 v93, v87, v98, s19
	v_cmp_eq_u32_e64 s24, 6, v77
	v_cndmask_b32_e64 v104, v88, v86, s16
	v_cndmask_b32_e64 v92, v89, v71, s20
	v_cmp_eq_u32_e64 s21, 1, v81
	ds_load_b128 v[87:90], v82 offset:1024
	v_cmp_eq_u32_e64 s23, 2, v81
	v_cmp_eq_u32_e64 s25, 3, v81
	v_cndmask_b32_e64 v105, v92, v96, s22
	v_cndmask_b32_e64 v66, v69, v66, s21
	;; [unrolled: 1-line block ×4, first 2 shown]
	ds_load_b128 v[91:94], v82 offset:1040
	v_cmp_eq_u32_e64 s26, 4, v81
	v_cndmask_b32_e64 v66, v66, v70, s23
	v_cmp_eq_u32_e64 s27, 7, v77
	v_cndmask_b32_e64 v70, v83, v84, s23
	v_cndmask_b32_e64 v84, v105, v72, s24
	v_cmp_eq_u32_e64 s28, 5, v81
	v_cndmask_b32_e64 v66, v66, v95, s25
	v_cmp_eq_u32_e64 s29, 6, v81
	v_cndmask_b32_e64 v70, v70, v98, s25
	v_cndmask_b32_e64 v69, v69, v99, s22
	;; [unrolled: 1-line block ×4, first 2 shown]
	s_waitcnt lgkmcnt(1)
	v_lshrrev_b32_e32 v95, 16, v87
	v_cndmask_b32_e64 v70, v70, v85, s26
	v_cndmask_b32_e64 v71, v84, v97, s27
	;; [unrolled: 1-line block ×4, first 2 shown]
	v_cndmask_b32_e32 v84, v87, v95, vcc_lo
	v_cndmask_b32_e64 v70, v70, v99, s28
	s_waitcnt lgkmcnt(0)
	v_lshrrev_b32_e32 v85, 16, v91
	v_lshrrev_b32_e32 v96, 16, v88
	v_cndmask_b32_e64 v98, v87, v95, s3
	v_cndmask_b32_e64 v84, v84, v88, s4
	;; [unrolled: 1-line block ×3, first 2 shown]
	v_cndmask_b32_e32 v99, v91, v85, vcc_lo
	v_cmp_eq_u32_e32 vcc_lo, 7, v81
	v_cndmask_b32_e64 v66, v66, v72, s29
	v_cndmask_b32_e64 v72, v84, v96, s7
	;; [unrolled: 1-line block ×3, first 2 shown]
	v_lshrrev_b32_e32 v98, 16, v92
	v_cndmask_b32_e32 v70, v70, v100, vcc_lo
	v_cndmask_b32_e64 v86, v99, v92, s4
	v_cndmask_b32_e64 v69, v69, v100, s27
	v_lshrrev_b32_e32 v100, 16, v93
	v_cndmask_b32_e64 v72, v72, v89, s9
	v_lshrrev_b32_e32 v99, 16, v89
	v_cndmask_b32_e64 v86, v86, v98, s7
	v_perm_b32 v71, v69, v71, 0x5040100
	v_cndmask_b32_e64 v84, v84, v96, s8
	s_delay_alu instid0(VALU_DEP_3) | instskip(NEXT) | instid1(VALU_DEP_2)
	v_cndmask_b32_e64 v86, v86, v93, s9
	v_cndmask_b32_e64 v84, v84, v89, s11
	s_delay_alu instid0(VALU_DEP_2) | instskip(NEXT) | instid1(VALU_DEP_1)
	v_cndmask_b32_e64 v86, v86, v100, s10
	v_cndmask_b32_e64 v69, v86, v94, s12
	;; [unrolled: 1-line block ×5, first 2 shown]
	s_delay_alu instid0(VALU_DEP_3) | instskip(NEXT) | instid1(VALU_DEP_3)
	v_cndmask_b32_e64 v86, v86, v88, s17
	v_cndmask_b32_e64 v87, v87, v88, s23
	s_delay_alu instid0(VALU_DEP_3) | instskip(NEXT) | instid1(VALU_DEP_3)
	v_cndmask_b32_e64 v88, v95, v92, s23
	v_cndmask_b32_e64 v86, v86, v96, s19
	s_delay_alu instid0(VALU_DEP_3) | instskip(NEXT) | instid1(VALU_DEP_3)
	v_cndmask_b32_e64 v87, v87, v96, s25
	v_cndmask_b32_e64 v88, v88, v98, s25
	s_delay_alu instid0(VALU_DEP_3) | instskip(NEXT) | instid1(VALU_DEP_3)
	v_cndmask_b32_e64 v86, v86, v89, s20
	v_cndmask_b32_e64 v87, v87, v89, s26
	s_delay_alu instid0(VALU_DEP_3) | instskip(NEXT) | instid1(VALU_DEP_3)
	v_cndmask_b32_e64 v88, v88, v93, s26
	v_cndmask_b32_e64 v86, v86, v99, s22
	s_delay_alu instid0(VALU_DEP_3) | instskip(NEXT) | instid1(VALU_DEP_3)
	v_cndmask_b32_e64 v87, v87, v99, s28
	v_cndmask_b32_e64 v88, v88, v100, s28
	s_delay_alu instid0(VALU_DEP_3) | instskip(NEXT) | instid1(VALU_DEP_3)
	v_cndmask_b32_e64 v86, v86, v90, s24
	v_cndmask_b32_e64 v87, v87, v90, s29
	s_delay_alu instid0(VALU_DEP_3) | instskip(SKIP_2) | instid1(VALU_DEP_2)
	v_cndmask_b32_e64 v88, v88, v94, s29
	v_cndmask_b32_e32 v66, v66, v97, vcc_lo
	v_cndmask_b32_e64 v97, v72, v99, s10
	v_perm_b32 v72, v70, v66, 0x5040100
	v_perm_b32 v70, v83, v103, 0x5040100
	v_cndmask_b32_e64 v103, v91, v85, s5
	v_cndmask_b32_e64 v85, v91, v85, s3
	;; [unrolled: 1-line block ×4, first 2 shown]
	v_lshrrev_b32_e32 v97, 16, v90
	v_cndmask_b32_e64 v91, v103, v92, s17
	v_cndmask_b32_e64 v85, v85, v92, s6
	;; [unrolled: 1-line block ×3, first 2 shown]
	s_mov_b32 s3, exec_lo
	v_cndmask_b32_e64 v83, v84, v97, s15
	v_cndmask_b32_e64 v91, v91, v98, s19
	;; [unrolled: 1-line block ×3, first 2 shown]
	v_lshrrev_b32_e32 v84, 16, v94
	v_cndmask_b32_e64 v66, v66, v97, s18
	v_cndmask_b32_e64 v90, v86, v97, s27
	;; [unrolled: 1-line block ×4, first 2 shown]
	v_dual_cndmask_b32 v86, v87, v97 :: v_dual_cndmask_b32 v87, v88, v84
	v_cndmask_b32_e64 v91, v69, v84, s15
	s_delay_alu instid0(VALU_DEP_4) | instskip(NEXT) | instid1(VALU_DEP_4)
	v_cndmask_b32_e64 v89, v89, v100, s22
	v_cndmask_b32_e64 v85, v85, v100, s13
	v_perm_b32 v69, v102, v101, 0x5040100
	v_perm_b32 v86, v87, v86, 0x5040100
	;; [unrolled: 1-line block ×3, first 2 shown]
	v_cndmask_b32_e64 v89, v89, v94, s24
	v_cndmask_b32_e64 v85, v85, v94, s16
	s_mul_i32 s8, s35, 10
	s_delay_alu instid0(VALU_DEP_2) | instskip(NEXT) | instid1(VALU_DEP_2)
	v_cndmask_b32_e64 v88, v89, v84, s27
	v_cndmask_b32_e64 v89, v85, v84, s18
	s_delay_alu instid0(VALU_DEP_2) | instskip(NEXT) | instid1(VALU_DEP_2)
	v_perm_b32 v85, v88, v90, 0x5040100
	v_perm_b32 v84, v89, v66, 0x5040100
	ds_store_b128 v76, v[69:72]
	ds_store_b128 v76, v[83:86] offset:1024
	v_cmpx_gt_u32_e32 10, v0
	s_cbranch_execz .LBB1495_78
; %bb.77:
	s_mul_i32 s4, s8, s30
	s_delay_alu instid0(SALU_CYCLE_1) | instskip(SKIP_1) | instid1(VALU_DEP_1)
	v_add3_u32 v69, s4, s31, v65
	s_load_b128 s[4:7], s[0:1], 0x58
	v_mad_u64_u32 v[65:66], null, v69, s34, s[14:15]
	s_delay_alu instid0(VALU_DEP_1) | instskip(NEXT) | instid1(VALU_DEP_1)
	v_ashrrev_i32_e32 v66, 31, v65
	v_lshlrev_b64 v[65:66], 2, v[65:66]
	s_waitcnt lgkmcnt(0)
	s_delay_alu instid0(VALU_DEP_1) | instskip(NEXT) | instid1(VALU_DEP_2)
	v_add_co_u32 v69, vcc_lo, s6, v65
	v_add_co_ci_u32_e32 v70, vcc_lo, s7, v66, vcc_lo
	v_add_co_u32 v65, vcc_lo, s4, v65
	v_add_co_ci_u32_e32 v66, vcc_lo, s5, v66, vcc_lo
	global_store_b32 v[69:70], v67, off
	global_store_b32 v[65:66], v68, off
.LBB1495_78:
	s_or_b32 exec_lo, exec_lo, s3
	s_waitcnt lgkmcnt(0)
	s_waitcnt_vscnt null, 0x0
	s_barrier
	buffer_gl0_inv
	ds_load_b128 v[83:86], v80
	ds_load_b128 v[87:90], v80 offset:16
	ds_load_b128 v[95:98], v80 offset:2064
	;; [unrolled: 1-line block ×3, first 2 shown]
	v_mov_b32_e32 v65, 0
	ds_load_b128 v[103:106], v80 offset:4112
	ds_load_b128 v[99:102], v80 offset:4096
	;; [unrolled: 1-line block ×4, first 2 shown]
	v_mov_b32_e32 v66, v65
	v_mov_b32_e32 v67, v65
	;; [unrolled: 1-line block ×7, first 2 shown]
	s_waitcnt lgkmcnt(6)
	s_delay_alu instid0(VALU_DEP_1)
	v_wmma_f32_16x16x16_bf16 v[65:72], v[57:64], v[83:90], v[65:72]
	ds_load_b128 v[61:64], v80 offset:8208
	ds_load_b128 v[57:60], v80 offset:8192
	s_waitcnt lgkmcnt(6)
	v_wmma_f32_16x16x16_bf16 v[65:72], v[41:48], v[91:98], v[65:72]
	ds_load_b128 v[45:48], v80 offset:10256
	ds_load_b128 v[41:44], v80 offset:10240
	s_waitcnt lgkmcnt(6)
	;; [unrolled: 4-line block ×4, first 2 shown]
	v_wmma_f32_16x16x16_bf16 v[65:72], v[1:8], v[57:64], v[65:72]
	s_waitcnt lgkmcnt(4)
	s_delay_alu instid0(VALU_DEP_1) | instskip(SKIP_1) | instid1(VALU_DEP_1)
	v_wmma_f32_16x16x16_bf16 v[65:72], v[9:16], v[41:48], v[65:72]
	s_waitcnt lgkmcnt(2)
	v_wmma_f32_16x16x16_bf16 v[65:72], v[17:24], v[33:40], v[65:72]
	s_waitcnt lgkmcnt(0)
	s_delay_alu instid0(VALU_DEP_1) | instskip(NEXT) | instid1(VALU_DEP_1)
	v_wmma_f32_16x16x16_bf16 v[65:72], v[49:56], v[25:32], v[65:72]
	v_and_b32_e32 v1, 0x7f800000, v65
	s_delay_alu instid0(VALU_DEP_1) | instskip(SKIP_1) | instid1(SALU_CYCLE_1)
	v_cmp_ne_u32_e32 vcc_lo, 0x7f800000, v1
                                        ; implicit-def: $vgpr1
	s_and_saveexec_b32 s3, vcc_lo
	s_xor_b32 s3, exec_lo, s3
; %bb.79:
	v_bfe_u32 v1, v65, 16, 1
	s_delay_alu instid0(VALU_DEP_1)
	v_add3_u32 v1, v65, v1, 0x7fff
; %bb.80:
	s_and_not1_saveexec_b32 s3, s3
; %bb.81:
	v_and_b32_e32 v1, 0xffff, v65
	v_or_b32_e32 v2, 0x10000, v65
	s_delay_alu instid0(VALU_DEP_2) | instskip(NEXT) | instid1(VALU_DEP_2)
	v_cmp_eq_u32_e32 vcc_lo, 0, v1
	v_cndmask_b32_e32 v1, v2, v65, vcc_lo
; %bb.82:
	s_or_b32 exec_lo, exec_lo, s3
	v_and_b32_e32 v2, 0x7f800000, v66
	s_delay_alu instid0(VALU_DEP_1) | instskip(SKIP_1) | instid1(SALU_CYCLE_1)
	v_cmp_ne_u32_e32 vcc_lo, 0x7f800000, v2
                                        ; implicit-def: $vgpr2
	s_and_saveexec_b32 s3, vcc_lo
	s_xor_b32 s3, exec_lo, s3
; %bb.83:
	v_bfe_u32 v2, v66, 16, 1
	s_delay_alu instid0(VALU_DEP_1)
	v_add3_u32 v2, v66, v2, 0x7fff
; %bb.84:
	s_and_not1_saveexec_b32 s3, s3
; %bb.85:
	v_and_b32_e32 v2, 0xffff, v66
	v_or_b32_e32 v3, 0x10000, v66
	s_delay_alu instid0(VALU_DEP_2) | instskip(NEXT) | instid1(VALU_DEP_2)
	v_cmp_eq_u32_e32 vcc_lo, 0, v2
	v_cndmask_b32_e32 v2, v3, v66, vcc_lo
; %bb.86:
	s_or_b32 exec_lo, exec_lo, s3
	v_and_b32_e32 v3, 0x7f800000, v67
	s_delay_alu instid0(VALU_DEP_1) | instskip(SKIP_1) | instid1(SALU_CYCLE_1)
	v_cmp_ne_u32_e32 vcc_lo, 0x7f800000, v3
                                        ; implicit-def: $vgpr3
	s_and_saveexec_b32 s3, vcc_lo
	s_xor_b32 s3, exec_lo, s3
; %bb.87:
	v_bfe_u32 v3, v67, 16, 1
	s_delay_alu instid0(VALU_DEP_1)
	v_add3_u32 v3, v67, v3, 0x7fff
; %bb.88:
	s_and_not1_saveexec_b32 s3, s3
; %bb.89:
	v_and_b32_e32 v3, 0xffff, v67
	v_or_b32_e32 v4, 0x10000, v67
	s_delay_alu instid0(VALU_DEP_2) | instskip(NEXT) | instid1(VALU_DEP_2)
	v_cmp_eq_u32_e32 vcc_lo, 0, v3
	v_cndmask_b32_e32 v3, v4, v67, vcc_lo
; %bb.90:
	s_or_b32 exec_lo, exec_lo, s3
	v_and_b32_e32 v4, 0x7f800000, v68
	s_delay_alu instid0(VALU_DEP_1) | instskip(SKIP_1) | instid1(SALU_CYCLE_1)
	v_cmp_ne_u32_e32 vcc_lo, 0x7f800000, v4
                                        ; implicit-def: $vgpr4
	s_and_saveexec_b32 s3, vcc_lo
	s_xor_b32 s3, exec_lo, s3
; %bb.91:
	v_bfe_u32 v4, v68, 16, 1
	s_delay_alu instid0(VALU_DEP_1)
	v_add3_u32 v4, v68, v4, 0x7fff
; %bb.92:
	s_and_not1_saveexec_b32 s3, s3
; %bb.93:
	v_and_b32_e32 v4, 0xffff, v68
	v_or_b32_e32 v5, 0x10000, v68
	s_delay_alu instid0(VALU_DEP_2) | instskip(NEXT) | instid1(VALU_DEP_2)
	v_cmp_eq_u32_e32 vcc_lo, 0, v4
	v_cndmask_b32_e32 v4, v5, v68, vcc_lo
; %bb.94:
	s_or_b32 exec_lo, exec_lo, s3
	v_and_b32_e32 v5, 0x7f800000, v69
	s_delay_alu instid0(VALU_DEP_1) | instskip(SKIP_1) | instid1(SALU_CYCLE_1)
	v_cmp_ne_u32_e32 vcc_lo, 0x7f800000, v5
                                        ; implicit-def: $vgpr5
	s_and_saveexec_b32 s3, vcc_lo
	s_xor_b32 s3, exec_lo, s3
; %bb.95:
	v_bfe_u32 v5, v69, 16, 1
	s_delay_alu instid0(VALU_DEP_1)
	v_add3_u32 v5, v69, v5, 0x7fff
; %bb.96:
	s_and_not1_saveexec_b32 s3, s3
; %bb.97:
	v_and_b32_e32 v5, 0xffff, v69
	v_or_b32_e32 v6, 0x10000, v69
	s_delay_alu instid0(VALU_DEP_2) | instskip(NEXT) | instid1(VALU_DEP_2)
	v_cmp_eq_u32_e32 vcc_lo, 0, v5
	v_cndmask_b32_e32 v5, v6, v69, vcc_lo
; %bb.98:
	s_or_b32 exec_lo, exec_lo, s3
	v_and_b32_e32 v6, 0x7f800000, v70
	s_delay_alu instid0(VALU_DEP_1) | instskip(SKIP_1) | instid1(SALU_CYCLE_1)
	v_cmp_ne_u32_e32 vcc_lo, 0x7f800000, v6
                                        ; implicit-def: $vgpr6
	s_and_saveexec_b32 s3, vcc_lo
	s_xor_b32 s3, exec_lo, s3
; %bb.99:
	v_bfe_u32 v6, v70, 16, 1
	s_delay_alu instid0(VALU_DEP_1)
	v_add3_u32 v6, v70, v6, 0x7fff
; %bb.100:
	s_and_not1_saveexec_b32 s3, s3
; %bb.101:
	v_and_b32_e32 v6, 0xffff, v70
	v_or_b32_e32 v7, 0x10000, v70
	s_delay_alu instid0(VALU_DEP_2) | instskip(NEXT) | instid1(VALU_DEP_2)
	v_cmp_eq_u32_e32 vcc_lo, 0, v6
	v_cndmask_b32_e32 v6, v7, v70, vcc_lo
; %bb.102:
	s_or_b32 exec_lo, exec_lo, s3
	v_and_b32_e32 v7, 0x7f800000, v71
	s_delay_alu instid0(VALU_DEP_1) | instskip(SKIP_1) | instid1(SALU_CYCLE_1)
	v_cmp_ne_u32_e32 vcc_lo, 0x7f800000, v7
                                        ; implicit-def: $vgpr7
	s_and_saveexec_b32 s3, vcc_lo
	s_xor_b32 s3, exec_lo, s3
; %bb.103:
	v_bfe_u32 v7, v71, 16, 1
	s_delay_alu instid0(VALU_DEP_1)
	v_add3_u32 v7, v71, v7, 0x7fff
; %bb.104:
	s_and_not1_saveexec_b32 s3, s3
; %bb.105:
	v_and_b32_e32 v7, 0xffff, v71
	v_or_b32_e32 v8, 0x10000, v71
	s_delay_alu instid0(VALU_DEP_2) | instskip(NEXT) | instid1(VALU_DEP_2)
	v_cmp_eq_u32_e32 vcc_lo, 0, v7
	v_cndmask_b32_e32 v7, v8, v71, vcc_lo
; %bb.106:
	s_or_b32 exec_lo, exec_lo, s3
	v_and_b32_e32 v8, 0x7f800000, v72
	s_delay_alu instid0(VALU_DEP_1) | instskip(SKIP_1) | instid1(SALU_CYCLE_1)
	v_cmp_ne_u32_e32 vcc_lo, 0x7f800000, v8
                                        ; implicit-def: $vgpr8
	s_and_saveexec_b32 s3, vcc_lo
	s_xor_b32 s3, exec_lo, s3
; %bb.107:
	v_bfe_u32 v8, v72, 16, 1
	s_delay_alu instid0(VALU_DEP_1)
	v_add3_u32 v8, v72, v8, 0x7fff
                                        ; implicit-def: $vgpr65_vgpr66_vgpr67_vgpr68_vgpr69_vgpr70_vgpr71_vgpr72
; %bb.108:
	s_and_not1_saveexec_b32 s3, s3
; %bb.109:
	v_and_b32_e32 v8, 0xffff, v72
	v_or_b32_e32 v9, 0x10000, v72
	s_delay_alu instid0(VALU_DEP_2) | instskip(NEXT) | instid1(VALU_DEP_2)
	v_cmp_eq_u32_e32 vcc_lo, 0, v8
	v_cndmask_b32_e32 v8, v9, v72, vcc_lo
; %bb.110:
	s_or_b32 exec_lo, exec_lo, s3
	s_delay_alu instid0(VALU_DEP_1)
	v_perm_b32 v7, v8, v7, 0x7060302
	v_perm_b32 v6, v6, v5, 0x7060302
	;; [unrolled: 1-line block ×4, first 2 shown]
	s_barrier
	buffer_gl0_inv
	v_cmp_eq_u32_e32 vcc_lo, 1, v78
	ds_store_b128 v76, v[4:7]
	s_waitcnt lgkmcnt(0)
	s_barrier
	buffer_gl0_inv
	ds_load_b128 v[1:4], v82
	ds_load_b128 v[5:8], v82 offset:16
	v_cmp_eq_u32_e64 s3, 1, v79
	v_cmp_eq_u32_e64 s4, 2, v78
	;; [unrolled: 1-line block ×5, first 2 shown]
	s_waitcnt lgkmcnt(1)
	v_lshrrev_b32_e32 v9, 16, v1
	s_waitcnt lgkmcnt(0)
	v_lshrrev_b32_e32 v13, 16, v5
	v_lshrrev_b32_e32 v10, 16, v2
	;; [unrolled: 1-line block ×4, first 2 shown]
	v_cndmask_b32_e64 v19, v1, v9, s3
	v_cndmask_b32_e32 v18, v5, v13, vcc_lo
	v_cndmask_b32_e64 v20, v5, v13, s3
	v_cndmask_b32_e32 v17, v1, v9, vcc_lo
	v_cmp_eq_u32_e32 vcc_lo, 2, v79
	v_lshrrev_b32_e32 v15, 16, v7
	v_cmp_eq_u32_e64 s3, 1, v77
	v_lshrrev_b32_e32 v12, 16, v4
	v_lshrrev_b32_e32 v16, 16, v8
	v_cndmask_b32_e32 v20, v20, v6, vcc_lo
	v_cndmask_b32_e64 v17, v17, v2, s4
	v_cndmask_b32_e32 v19, v19, v2, vcc_lo
	v_cndmask_b32_e64 v18, v18, v6, s4
	v_cmp_eq_u32_e32 vcc_lo, 4, v78
	v_cmp_eq_u32_e64 s4, 3, v79
	v_cndmask_b32_e64 v17, v17, v10, s5
	v_cndmask_b32_e64 v21, v1, v9, s3
	;; [unrolled: 1-line block ×5, first 2 shown]
	v_cndmask_b32_e32 v17, v17, v3, vcc_lo
	v_cndmask_b32_e64 v20, v20, v14, s4
	v_cndmask_b32_e32 v18, v18, v7, vcc_lo
	v_cmp_eq_u32_e32 vcc_lo, 4, v79
	v_cmp_eq_u32_e64 s4, 5, v79
	v_cmp_eq_u32_e64 s3, 2, v81
	v_cndmask_b32_e64 v21, v21, v2, s7
	v_cmp_eq_u32_e64 s5, 5, v78
	v_cndmask_b32_e32 v19, v19, v3, vcc_lo
	v_cndmask_b32_e32 v20, v20, v7, vcc_lo
	v_cmp_eq_u32_e32 vcc_lo, 6, v79
	s_delay_alu instid0(VALU_DEP_4) | instskip(NEXT) | instid1(VALU_DEP_4)
	v_cndmask_b32_e64 v17, v17, v11, s5
	v_cndmask_b32_e64 v19, v19, v11, s4
	s_delay_alu instid0(VALU_DEP_4) | instskip(SKIP_1) | instid1(VALU_DEP_3)
	v_cndmask_b32_e64 v20, v20, v15, s4
	v_cmp_eq_u32_e64 s4, 1, v81
	v_cndmask_b32_e32 v19, v19, v4, vcc_lo
	v_cndmask_b32_e64 v18, v18, v15, s5
	s_delay_alu instid0(VALU_DEP_3)
	v_cndmask_b32_e64 v1, v1, v9, s4
	v_cndmask_b32_e64 v5, v5, v13, s4
	v_cmp_eq_u32_e64 s4, 3, v77
	v_cndmask_b32_e64 v13, v22, v6, s7
	v_cmp_eq_u32_e64 s7, 3, v81
	v_cndmask_b32_e64 v1, v1, v2, s3
	v_cndmask_b32_e64 v2, v5, v6, s3
	;; [unrolled: 1-line block ×3, first 2 shown]
	v_cmp_eq_u32_e64 s3, 4, v77
	v_cndmask_b32_e64 v6, v13, v14, s4
	v_cndmask_b32_e64 v1, v1, v10, s7
	v_cmp_eq_u32_e64 s4, 4, v81
	v_cndmask_b32_e64 v2, v2, v14, s7
	v_cndmask_b32_e64 v5, v9, v3, s3
	;; [unrolled: 3-line block ×3, first 2 shown]
	v_cndmask_b32_e64 v2, v2, v7, s4
	v_cmp_eq_u32_e64 s3, 5, v81
	v_cmp_eq_u32_e64 s5, 6, v78
	v_cndmask_b32_e64 v5, v5, v11, s7
	v_cmp_eq_u32_e64 s4, 6, v77
	v_cndmask_b32_e64 v3, v6, v15, s7
	v_cndmask_b32_e64 v1, v1, v11, s3
	v_cmp_eq_u32_e64 s7, 6, v81
	v_cndmask_b32_e64 v2, v2, v15, s3
	v_cndmask_b32_e64 v17, v17, v4, s5
	v_cndmask_b32_e64 v18, v18, v8, s5
	v_cmp_eq_u32_e64 s5, 7, v78
	v_cndmask_b32_e64 v5, v5, v4, s4
	;; [unrolled: 4-line block ×3, first 2 shown]
	v_cmp_eq_u32_e64 s4, 7, v77
	v_cndmask_b32_e32 v4, v20, v8, vcc_lo
	v_cndmask_b32_e64 v17, v17, v12, s5
	v_cndmask_b32_e64 v19, v19, v12, s6
	;; [unrolled: 1-line block ×8, first 2 shown]
	v_cmp_gt_u32_e32 vcc_lo, 32, v0
	v_perm_b32 v4, v2, v1, 0x5040100
	v_perm_b32 v3, v3, v5, 0x5040100
	;; [unrolled: 1-line block ×4, first 2 shown]
	s_and_b32 s2, vcc_lo, s2
	ds_store_b128 v76, v[1:4]
	s_waitcnt lgkmcnt(0)
	s_barrier
	buffer_gl0_inv
	s_and_saveexec_b32 s3, s2
	s_cbranch_execz .LBB1495_2
; %bb.111:
	s_load_b64 s[0:1], s[0:1], 0x68
	s_lshl_b32 s4, s34, 6
	v_or_b32_e32 v2, s31, v74
	s_mul_i32 s2, s4, s30
	v_lshlrev_b32_e32 v0, 10, v0
	s_mul_i32 s2, s2, s8
	v_lshlrev_b32_e32 v1, 4, v75
	s_ashr_i32 s3, s2, 31
	v_mul_lo_u32 v20, v2, s4
	s_lshl_b64 s[2:3], s[2:3], 1
	v_lshlrev_b32_e32 v3, 6, v74
	v_and_b32_e32 v0, 0x3800, v0
	s_delay_alu instid0(VALU_DEP_1) | instskip(NEXT) | instid1(VALU_DEP_4)
	v_or3_b32 v16, v0, v1, v3
	v_ashrrev_i32_e32 v21, 31, v20
	ds_load_b128 v[0:3], v16
	ds_load_b128 v[4:7], v16 offset:128
	s_waitcnt lgkmcnt(0)
	s_add_u32 s2, s0, s2
	s_addc_u32 s3, s1, s3
	s_lshl_b32 s0, s14, 6
	ds_load_b128 v[8:11], v16 offset:256
	ds_load_b128 v[12:15], v16 offset:384
	;; [unrolled: 1-line block ×3, first 2 shown]
	s_ashr_i32 s1, s0, 31
	s_delay_alu instid0(SALU_CYCLE_1) | instskip(NEXT) | instid1(SALU_CYCLE_1)
	s_lshl_b64 s[0:1], s[0:1], 1
	s_add_u32 s0, s2, s0
	s_addc_u32 s1, s3, s1
	s_lshl_b32 s2, s34, 7
	v_add_co_u32 v30, s0, s0, v73
	v_add_nc_u32_e32 v22, s2, v20
	v_lshlrev_b64 v[20:21], 1, v[20:21]
	v_add_co_ci_u32_e64 v31, null, s1, 0, s0
	s_delay_alu instid0(VALU_DEP_3) | instskip(SKIP_1) | instid1(VALU_DEP_4)
	v_add_nc_u32_e32 v24, s2, v22
	v_ashrrev_i32_e32 v23, 31, v22
	v_add_co_u32 v20, vcc_lo, v30, v20
	s_delay_alu instid0(VALU_DEP_4) | instskip(NEXT) | instid1(VALU_DEP_4)
	v_add_co_ci_u32_e32 v21, vcc_lo, v31, v21, vcc_lo
	v_add_nc_u32_e32 v26, s2, v24
	v_ashrrev_i32_e32 v25, 31, v24
	v_lshlrev_b64 v[22:23], 1, v[22:23]
	s_delay_alu instid0(VALU_DEP_3) | instskip(SKIP_1) | instid1(VALU_DEP_4)
	v_add_nc_u32_e32 v28, s2, v26
	v_ashrrev_i32_e32 v27, 31, v26
	v_lshlrev_b64 v[24:25], 1, v[24:25]
	s_delay_alu instid0(VALU_DEP_4) | instskip(NEXT) | instid1(VALU_DEP_4)
	v_add_co_u32 v22, vcc_lo, v30, v22
	v_ashrrev_i32_e32 v29, 31, v28
	s_delay_alu instid0(VALU_DEP_4) | instskip(SKIP_2) | instid1(VALU_DEP_4)
	v_lshlrev_b64 v[26:27], 1, v[26:27]
	v_add_co_ci_u32_e32 v23, vcc_lo, v31, v23, vcc_lo
	v_add_co_u32 v24, vcc_lo, v30, v24
	v_lshlrev_b64 v[28:29], 1, v[28:29]
	v_add_co_ci_u32_e32 v25, vcc_lo, v31, v25, vcc_lo
	v_add_co_u32 v26, vcc_lo, v30, v26
	v_add_co_ci_u32_e32 v27, vcc_lo, v31, v27, vcc_lo
	s_delay_alu instid0(VALU_DEP_4)
	v_add_co_u32 v28, vcc_lo, v30, v28
	v_add_co_ci_u32_e32 v29, vcc_lo, v31, v29, vcc_lo
	s_clause 0x1
	global_store_b128 v[20:21], v[0:3], off
	global_store_b128 v[22:23], v[4:7], off
	s_waitcnt lgkmcnt(2)
	global_store_b128 v[24:25], v[8:11], off
	s_waitcnt lgkmcnt(1)
	;; [unrolled: 2-line block ×3, first 2 shown]
	global_store_b128 v[28:29], v[16:19], off
	s_nop 0
	s_sendmsg sendmsg(MSG_DEALLOC_VGPRS)
	s_endpgm
	.section	.rodata,"a",@progbits
	.p2align	6, 0x0
	.amdhsa_kernel _Z39paged_attention_ll4mi_QKV_mfma16_kernelI14__hip_bfloat16hLN4vllm18Fp8KVCacheDataTypeE1ES0_Li32ELi64ELi256ELb0ELi10EL8MFMAType1EEvPKT_PKT0_S9_ifPKiSB_SB_iPKfiiiPfSE_PS4_PT2_iSD_SD_
		.amdhsa_group_segment_fixed_size 17472
		.amdhsa_private_segment_fixed_size 0
		.amdhsa_kernarg_size 400
		.amdhsa_user_sgpr_count 13
		.amdhsa_user_sgpr_dispatch_ptr 0
		.amdhsa_user_sgpr_queue_ptr 0
		.amdhsa_user_sgpr_kernarg_segment_ptr 1
		.amdhsa_user_sgpr_dispatch_id 0
		.amdhsa_user_sgpr_private_segment_size 0
		.amdhsa_wavefront_size32 1
		.amdhsa_uses_dynamic_stack 0
		.amdhsa_enable_private_segment 0
		.amdhsa_system_sgpr_workgroup_id_x 1
		.amdhsa_system_sgpr_workgroup_id_y 1
		.amdhsa_system_sgpr_workgroup_id_z 1
		.amdhsa_system_sgpr_workgroup_info 0
		.amdhsa_system_vgpr_workitem_id 0
		.amdhsa_next_free_vgpr 124
		.amdhsa_next_free_sgpr 40
		.amdhsa_reserve_vcc 1
		.amdhsa_float_round_mode_32 0
		.amdhsa_float_round_mode_16_64 0
		.amdhsa_float_denorm_mode_32 3
		.amdhsa_float_denorm_mode_16_64 3
		.amdhsa_dx10_clamp 1
		.amdhsa_ieee_mode 1
		.amdhsa_fp16_overflow 0
		.amdhsa_workgroup_processor_mode 1
		.amdhsa_memory_ordered 1
		.amdhsa_forward_progress 0
		.amdhsa_shared_vgpr_count 0
		.amdhsa_exception_fp_ieee_invalid_op 0
		.amdhsa_exception_fp_denorm_src 0
		.amdhsa_exception_fp_ieee_div_zero 0
		.amdhsa_exception_fp_ieee_overflow 0
		.amdhsa_exception_fp_ieee_underflow 0
		.amdhsa_exception_fp_ieee_inexact 0
		.amdhsa_exception_int_div_zero 0
	.end_amdhsa_kernel
	.section	.text._Z39paged_attention_ll4mi_QKV_mfma16_kernelI14__hip_bfloat16hLN4vllm18Fp8KVCacheDataTypeE1ES0_Li32ELi64ELi256ELb0ELi10EL8MFMAType1EEvPKT_PKT0_S9_ifPKiSB_SB_iPKfiiiPfSE_PS4_PT2_iSD_SD_,"axG",@progbits,_Z39paged_attention_ll4mi_QKV_mfma16_kernelI14__hip_bfloat16hLN4vllm18Fp8KVCacheDataTypeE1ES0_Li32ELi64ELi256ELb0ELi10EL8MFMAType1EEvPKT_PKT0_S9_ifPKiSB_SB_iPKfiiiPfSE_PS4_PT2_iSD_SD_,comdat
.Lfunc_end1495:
	.size	_Z39paged_attention_ll4mi_QKV_mfma16_kernelI14__hip_bfloat16hLN4vllm18Fp8KVCacheDataTypeE1ES0_Li32ELi64ELi256ELb0ELi10EL8MFMAType1EEvPKT_PKT0_S9_ifPKiSB_SB_iPKfiiiPfSE_PS4_PT2_iSD_SD_, .Lfunc_end1495-_Z39paged_attention_ll4mi_QKV_mfma16_kernelI14__hip_bfloat16hLN4vllm18Fp8KVCacheDataTypeE1ES0_Li32ELi64ELi256ELb0ELi10EL8MFMAType1EEvPKT_PKT0_S9_ifPKiSB_SB_iPKfiiiPfSE_PS4_PT2_iSD_SD_
                                        ; -- End function
	.section	.AMDGPU.csdata,"",@progbits
; Kernel info:
; codeLenInByte = 8824
; NumSgprs: 42
; NumVgprs: 124
; ScratchSize: 0
; MemoryBound: 0
; FloatMode: 240
; IeeeMode: 1
; LDSByteSize: 17472 bytes/workgroup (compile time only)
; SGPRBlocks: 5
; VGPRBlocks: 15
; NumSGPRsForWavesPerEU: 42
; NumVGPRsForWavesPerEU: 124
; Occupancy: 10
; WaveLimiterHint : 1
; COMPUTE_PGM_RSRC2:SCRATCH_EN: 0
; COMPUTE_PGM_RSRC2:USER_SGPR: 13
; COMPUTE_PGM_RSRC2:TRAP_HANDLER: 0
; COMPUTE_PGM_RSRC2:TGID_X_EN: 1
; COMPUTE_PGM_RSRC2:TGID_Y_EN: 1
; COMPUTE_PGM_RSRC2:TGID_Z_EN: 1
; COMPUTE_PGM_RSRC2:TIDIG_COMP_CNT: 0
	.section	.text._Z39paged_attention_ll4mi_QKV_mfma16_kernelI14__hip_bfloat16hLN4vllm18Fp8KVCacheDataTypeE1ES0_Li32ELi64ELi256ELb0ELi11EL8MFMAType1EEvPKT_PKT0_S9_ifPKiSB_SB_iPKfiiiPfSE_PS4_PT2_iSD_SD_,"axG",@progbits,_Z39paged_attention_ll4mi_QKV_mfma16_kernelI14__hip_bfloat16hLN4vllm18Fp8KVCacheDataTypeE1ES0_Li32ELi64ELi256ELb0ELi11EL8MFMAType1EEvPKT_PKT0_S9_ifPKiSB_SB_iPKfiiiPfSE_PS4_PT2_iSD_SD_,comdat
	.protected	_Z39paged_attention_ll4mi_QKV_mfma16_kernelI14__hip_bfloat16hLN4vllm18Fp8KVCacheDataTypeE1ES0_Li32ELi64ELi256ELb0ELi11EL8MFMAType1EEvPKT_PKT0_S9_ifPKiSB_SB_iPKfiiiPfSE_PS4_PT2_iSD_SD_ ; -- Begin function _Z39paged_attention_ll4mi_QKV_mfma16_kernelI14__hip_bfloat16hLN4vllm18Fp8KVCacheDataTypeE1ES0_Li32ELi64ELi256ELb0ELi11EL8MFMAType1EEvPKT_PKT0_S9_ifPKiSB_SB_iPKfiiiPfSE_PS4_PT2_iSD_SD_
	.globl	_Z39paged_attention_ll4mi_QKV_mfma16_kernelI14__hip_bfloat16hLN4vllm18Fp8KVCacheDataTypeE1ES0_Li32ELi64ELi256ELb0ELi11EL8MFMAType1EEvPKT_PKT0_S9_ifPKiSB_SB_iPKfiiiPfSE_PS4_PT2_iSD_SD_
	.p2align	8
	.type	_Z39paged_attention_ll4mi_QKV_mfma16_kernelI14__hip_bfloat16hLN4vllm18Fp8KVCacheDataTypeE1ES0_Li32ELi64ELi256ELb0ELi11EL8MFMAType1EEvPKT_PKT0_S9_ifPKiSB_SB_iPKfiiiPfSE_PS4_PT2_iSD_SD_,@function
_Z39paged_attention_ll4mi_QKV_mfma16_kernelI14__hip_bfloat16hLN4vllm18Fp8KVCacheDataTypeE1ES0_Li32ELi64ELi256ELb0ELi11EL8MFMAType1EEvPKT_PKT0_S9_ifPKiSB_SB_iPKfiiiPfSE_PS4_PT2_iSD_SD_: ; @_Z39paged_attention_ll4mi_QKV_mfma16_kernelI14__hip_bfloat16hLN4vllm18Fp8KVCacheDataTypeE1ES0_Li32ELi64ELi256ELb0ELi11EL8MFMAType1EEvPKT_PKT0_S9_ifPKiSB_SB_iPKfiiiPfSE_PS4_PT2_iSD_SD_
; %bb.0:
	s_load_b64 s[2:3], s[0:1], 0x30
	s_mov_b32 s34, s13
	s_waitcnt lgkmcnt(0)
	s_cmp_lg_u64 s[2:3], 0
	s_cselect_b32 s8, -1, 0
	s_ashr_i32 s35, s13, 31
	s_cmp_eq_u64 s[2:3], 0
	s_cbranch_scc1 .LBB1496_3
; %bb.1:
	s_lshl_b64 s[4:5], s[34:35], 2
	s_delay_alu instid0(SALU_CYCLE_1) | instskip(SKIP_4) | instid1(SALU_CYCLE_1)
	s_add_u32 s4, s2, s4
	s_addc_u32 s5, s3, s5
	s_load_b64 s[4:5], s[4:5], 0x0
	s_waitcnt lgkmcnt(0)
	s_sub_i32 s4, s5, s4
	s_cmp_eq_u32 s4, 1
	s_cselect_b32 s4, -1, 0
	s_delay_alu instid0(SALU_CYCLE_1)
	s_and_not1_b32 vcc_lo, exec_lo, s4
	s_cbranch_vccz .LBB1496_4
.LBB1496_2:
	s_nop 0
	s_sendmsg sendmsg(MSG_DEALLOC_VGPRS)
	s_endpgm
.LBB1496_3:
.LBB1496_4:
	s_load_b64 s[4:5], s[0:1], 0x28
	s_lshl_b64 s[6:7], s[34:35], 2
	s_waitcnt lgkmcnt(0)
	s_add_u32 s4, s4, s6
	s_addc_u32 s5, s5, s7
	s_lshl_b32 s12, s14, 8
	s_load_b32 s24, s[4:5], 0x0
	s_waitcnt lgkmcnt(0)
	s_cmp_ge_i32 s12, s24
	s_cbranch_scc1 .LBB1496_2
; %bb.5:
	s_clause 0x1
	s_load_b128 s[20:23], s[0:1], 0x8
	s_load_b64 s[4:5], s[0:1], 0x20
	s_and_not1_b32 vcc_lo, exec_lo, s8
	s_cbranch_vccnz .LBB1496_7
; %bb.6:
	s_add_u32 s2, s2, s6
	s_addc_u32 s3, s3, s7
	s_load_b32 s3, s[2:3], 0x0
	s_branch .LBB1496_8
.LBB1496_7:
	s_mov_b32 s3, s34
.LBB1496_8:
	s_load_b128 s[16:19], s[0:1], 0x48
	v_lshrrev_b32_e32 v66, 5, v0
	v_bfe_u32 v74, v0, 4, 1
	v_and_b32_e32 v65, 15, v0
	v_and_b32_e32 v67, 31, v0
	;; [unrolled: 1-line block ×3, first 2 shown]
	s_mul_i32 s31, s15, 11
	v_lshl_or_b32 v1, v66, 1, v74
	v_lshlrev_b32_e32 v2, 3, v65
	v_cmp_gt_u32_e64 s2, 8, v65
	s_delay_alu instid0(VALU_DEP_3) | instskip(NEXT) | instid1(VALU_DEP_3)
	v_cmp_gt_u32_e32 vcc_lo, 11, v1
	v_lshlrev_b32_e32 v73, 1, v2
	s_delay_alu instid0(VALU_DEP_3) | instskip(NEXT) | instid1(SALU_CYCLE_1)
	s_and_b32 s7, s2, vcc_lo
	s_and_saveexec_b32 s6, s7
	s_cbranch_execz .LBB1496_10
; %bb.9:
	s_load_b64 s[8:9], s[0:1], 0x0
	v_add_lshl_u32 v2, v1, s31, 6
	s_waitcnt lgkmcnt(0)
	s_mul_hi_i32 s11, s3, s16
	s_mul_i32 s10, s3, s16
	v_lshlrev_b32_e32 v6, 10, v65
	s_lshl_b64 s[10:11], s[10:11], 1
	v_ashrrev_i32_e32 v3, 31, v2
	v_lshlrev_b32_e32 v1, 6, v1
	v_lshlrev_b32_e32 v7, 10, v75
	v_and_b32_e32 v6, 0x3800, v6
	s_delay_alu instid0(VALU_DEP_4) | instskip(NEXT) | instid1(VALU_DEP_2)
	v_lshlrev_b64 v[2:3], 1, v[2:3]
	v_or3_b32 v1, v6, v7, v1
	s_add_u32 s3, s8, s10
	s_addc_u32 s7, s9, s11
	s_delay_alu instid0(VALU_DEP_2) | instskip(NEXT) | instid1(VALU_DEP_3)
	v_add_co_u32 v2, vcc_lo, s3, v2
	v_add_co_ci_u32_e32 v3, vcc_lo, s7, v3, vcc_lo
	s_delay_alu instid0(VALU_DEP_2) | instskip(NEXT) | instid1(VALU_DEP_2)
	v_add_co_u32 v2, vcc_lo, v2, v73
	v_add_co_ci_u32_e32 v3, vcc_lo, 0, v3, vcc_lo
	global_load_b128 v[2:5], v[2:3], off
	s_waitcnt vmcnt(0)
	ds_store_b128 v1, v[2:5]
.LBB1496_10:
	s_or_b32 exec_lo, exec_lo, s6
	v_and_b32_e32 v1, 0xef, v0
	s_waitcnt lgkmcnt(0)
	s_add_i32 s3, s24, 31
	s_clause 0x1
	s_load_b32 s6, s[0:1], 0x38
	s_load_b32 s19, s[0:1], 0x1c
	s_ashr_i32 s7, s3, 31
	v_add_nc_u32_e32 v1, s12, v1
	s_lshr_b32 s7, s7, 27
	s_waitcnt lgkmcnt(0)
	s_add_i32 s3, s3, s7
	s_barrier
	v_ashrrev_i32_e32 v2, 31, v1
	v_or_b32_e32 v3, 16, v1
	s_ashr_i32 s3, s3, 5
	v_cmp_gt_i32_e32 vcc_lo, s24, v1
	s_add_i32 s3, s3, -1
	v_lshrrev_b32_e32 v2, 27, v2
	buffer_gl0_inv
	s_mul_i32 s27, s15, s18
	v_add_nc_u32_e32 v4, v1, v2
	s_mul_i32 s6, s34, s6
	s_delay_alu instid0(SALU_CYCLE_1) | instskip(NEXT) | instid1(VALU_DEP_1)
	s_ashr_i32 s7, s6, 31
	v_ashrrev_i32_e32 v4, 5, v4
	v_add_nc_u32_e32 v2, v3, v2
	s_lshl_b64 s[6:7], s[6:7], 2
	s_delay_alu instid0(SALU_CYCLE_1) | instskip(NEXT) | instid1(VALU_DEP_2)
	s_add_u32 s26, s4, s6
	v_cndmask_b32_e32 v1, s3, v4, vcc_lo
	s_delay_alu instid0(VALU_DEP_2)
	v_ashrrev_i32_e32 v2, 5, v2
	v_cmp_gt_i32_e32 vcc_lo, s24, v3
	s_addc_u32 s25, s5, s7
	s_ashr_i32 s28, s27, 31
	s_add_u32 s4, s20, s27
	s_addc_u32 s5, s21, s28
	v_cndmask_b32_e32 v3, s3, v2, vcc_lo
	v_ashrrev_i32_e32 v2, 31, v1
	s_lshl_b32 s6, s14, 3
	s_delay_alu instid0(SALU_CYCLE_1) | instskip(NEXT) | instid1(VALU_DEP_2)
	s_ashr_i32 s7, s6, 31
	v_ashrrev_i32_e32 v4, 31, v3
	s_delay_alu instid0(VALU_DEP_2) | instskip(SKIP_1) | instid1(SALU_CYCLE_1)
	v_lshlrev_b64 v[1:2], 2, v[1:2]
	s_lshl_b64 s[6:7], s[6:7], 2
	s_add_u32 s6, s26, s6
	s_delay_alu instid0(VALU_DEP_2) | instskip(SKIP_1) | instid1(VALU_DEP_2)
	v_lshlrev_b64 v[3:4], 2, v[3:4]
	s_addc_u32 s7, s25, s7
	v_add_co_u32 v1, vcc_lo, s26, v1
	v_add_co_ci_u32_e32 v2, vcc_lo, s25, v2, vcc_lo
	s_delay_alu instid0(VALU_DEP_3) | instskip(NEXT) | instid1(VALU_DEP_4)
	v_add_co_u32 v3, vcc_lo, s26, v3
	v_add_co_ci_u32_e32 v4, vcc_lo, s25, v4, vcc_lo
	s_clause 0x1
	global_load_b32 v5, v[1:2], off
	global_load_b32 v6, v[3:4], off
	s_or_b32 s8, s12, 32
	s_delay_alu instid0(SALU_CYCLE_1) | instskip(SKIP_2) | instid1(SALU_CYCLE_1)
	s_ashr_i32 s9, s8, 5
	s_cmp_lt_i32 s8, s24
	s_cselect_b32 s8, s9, s3
	s_ashr_i32 s9, s8, 31
	s_delay_alu instid0(SALU_CYCLE_1) | instskip(NEXT) | instid1(SALU_CYCLE_1)
	s_lshl_b64 s[8:9], s[8:9], 2
	s_add_u32 s8, s26, s8
	s_addc_u32 s9, s25, s9
	s_or_b32 s10, s12, 64
	s_delay_alu instid0(SALU_CYCLE_1) | instskip(SKIP_2) | instid1(SALU_CYCLE_1)
	s_ashr_i32 s11, s10, 5
	s_cmp_lt_i32 s10, s24
	s_cselect_b32 s10, s11, s3
	s_ashr_i32 s11, s10, 31
	s_delay_alu instid0(SALU_CYCLE_1) | instskip(NEXT) | instid1(SALU_CYCLE_1)
	s_lshl_b64 s[10:11], s[10:11], 2
	s_add_u32 s10, s26, s10
	s_addc_u32 s11, s25, s11
	;; [unrolled: 10-line block ×5, first 2 shown]
	s_clause 0x5
	s_load_b32 s21, s[6:7], 0x0
	s_load_b32 s13, s[8:9], 0x0
	;; [unrolled: 1-line block ×6, first 2 shown]
	s_or_b32 s8, s12, 0xc0
	s_delay_alu instid0(SALU_CYCLE_1) | instskip(SKIP_2) | instid1(SALU_CYCLE_1)
	s_ashr_i32 s9, s8, 5
	s_cmp_lt_i32 s8, s24
	s_cselect_b32 s36, s9, s3
	s_ashr_i32 s37, s36, 31
	s_delay_alu instid0(SALU_CYCLE_1) | instskip(NEXT) | instid1(SALU_CYCLE_1)
	s_lshl_b64 s[36:37], s[36:37], 2
	s_add_u32 s36, s26, s36
	s_addc_u32 s37, s25, s37
	s_or_b32 s29, s12, 0xe0
	s_delay_alu instid0(SALU_CYCLE_1)
	s_ashr_i32 s30, s29, 5
	s_cmp_lt_i32 s29, s24
	s_waitcnt vmcnt(1)
	v_mad_i64_i32 v[1:2], null, v5, s17, s[4:5]
	s_waitcnt vmcnt(0)
	v_mad_i64_i32 v[3:4], null, v6, s17, s[4:5]
	s_mov_b32 s4, 0
	s_delay_alu instid0(SALU_CYCLE_1)
	s_mov_b32 s5, s4
	s_mov_b32 s6, s4
	;; [unrolled: 1-line block ×7, first 2 shown]
	v_lshlrev_b32_e32 v5, 4, v65
	v_dual_mov_b32 v107, s11 :: v_dual_mov_b32 v102, s6
	v_mov_b32_e32 v100, s4
	v_mov_b32_e32 v106, s10
	s_delay_alu instid0(VALU_DEP_4)
	v_add_co_u32 v1, vcc_lo, v1, v5
	v_add_co_ci_u32_e32 v2, vcc_lo, 0, v2, vcc_lo
	v_add_co_u32 v3, vcc_lo, v3, v5
	v_add_co_ci_u32_e32 v4, vcc_lo, 0, v4, vcc_lo
	s_clause 0x7
	global_load_b128 v[49:52], v[1:2], off
	global_load_b128 v[53:56], v[1:2], off offset:512
	global_load_b128 v[76:79], v[3:4], off offset:256
	;; [unrolled: 1-line block ×7, first 2 shown]
	v_add_nc_u32_e32 v1, -11, v65
	v_cmp_gt_u32_e32 vcc_lo, 11, v65
	v_dual_mov_b32 v104, s8 :: v_dual_mov_b32 v103, s7
	v_dual_mov_b32 v101, s5 :: v_dual_lshlrev_b32 v2, 5, v65
	s_delay_alu instid0(VALU_DEP_4)
	v_cndmask_b32_e32 v1, v1, v65, vcc_lo
	v_mov_b32_e32 v105, s9
	s_cselect_b32 s4, s30, s3
	s_load_b32 s3, s[36:37], 0x0
	s_ashr_i32 s5, s4, 31
	v_lshlrev_b32_e32 v70, 6, v1
	s_lshl_b64 s[4:5], s[4:5], 2
	v_lshl_or_b32 v2, v66, 9, v2
	s_add_u32 s4, s26, s4
	s_addc_u32 s5, s25, s5
	ds_load_b128 v[108:111], v70
	ds_load_b128 v[112:115], v70 offset:1024
	s_load_b32 s4, s[4:5], 0x0
	s_add_u32 s6, s22, s27
	s_addc_u32 s7, s23, s28
	v_add_co_u32 v9, s6, s6, v2
	s_delay_alu instid0(VALU_DEP_1) | instskip(SKIP_1) | instid1(VALU_DEP_1)
	v_add_co_ci_u32_e64 v10, null, s7, 0, s6
	s_waitcnt lgkmcnt(0)
	v_mad_i64_i32 v[1:2], null, s21, s17, v[9:10]
	v_mad_i64_i32 v[3:4], null, s13, s17, v[9:10]
	;; [unrolled: 1-line block ×7, first 2 shown]
	s_clause 0x9
	global_load_b128 v[57:60], v[1:2], off
	global_load_b128 v[61:64], v[1:2], off offset:16
	global_load_b128 v[41:44], v[3:4], off
	global_load_b128 v[45:48], v[3:4], off offset:16
	;; [unrolled: 2-line block ×5, first 2 shown]
	v_mad_i64_i32 v[68:69], null, s4, s17, v[9:10]
	s_clause 0x3
	global_load_b128 v[9:12], v[13:14], off
	global_load_b128 v[13:16], v[13:14], off offset:16
	global_load_b128 v[17:20], v[21:22], off
	global_load_b128 v[21:24], v[21:22], off offset:16
	s_waitcnt vmcnt(20)
	v_wmma_f32_16x16x16_bf16 v[116:123], v[49:56], v[108:115], v[100:107]
	s_clause 0x1
	global_load_b128 v[49:52], v[68:69], off
	global_load_b128 v[53:56], v[68:69], off offset:16
	v_and_b32_e32 v68, 0xe0, v0
	v_mbcnt_lo_u32_b32 v69, -1, 0
	s_delay_alu instid0(VALU_DEP_2)
	v_add_nc_u32_e32 v68, s12, v68
	s_waitcnt vmcnt(20)
	v_wmma_f32_16x16x16_bf16 v[100:107], v[76:83], v[108:115], v[100:107]
	ds_load_b128 v[76:79], v70 offset:2048
	ds_load_b128 v[80:83], v70 offset:3072
	v_xor_b32_e32 v70, 16, v69
	s_waitcnt vmcnt(0) lgkmcnt(0)
	v_or_b32_e32 v68, v68, v74
	s_barrier
	buffer_gl0_inv
	v_cmp_gt_i32_e32 vcc_lo, 32, v70
	v_or_b32_e32 v71, 4, v68
	v_or_b32_e32 v72, 6, v68
	v_cmp_gt_i32_e64 s3, s24, v68
	v_or_b32_e32 v108, 8, v68
	v_or_b32_e32 v109, 10, v68
	v_cmp_gt_i32_e64 s4, s24, v71
	v_cmp_gt_i32_e64 s5, s24, v72
	s_delay_alu instid0(VALU_DEP_4) | instskip(NEXT) | instid1(VALU_DEP_4)
	v_cmp_gt_i32_e64 s6, s24, v108
	v_cmp_gt_i32_e64 s7, s24, v109
	v_wmma_f32_16x16x16_bf16 v[116:123], v[84:91], v[76:83], v[116:123]
	v_cndmask_b32_e32 v69, v69, v70, vcc_lo
	v_or_b32_e32 v70, 2, v68
	v_wmma_f32_16x16x16_bf16 v[100:107], v[92:99], v[76:83], v[100:107]
	v_or_b32_e32 v89, 22, v68
	v_dual_mul_f32 v80, s19, v121 :: v_dual_mul_f32 v81, s19, v120
	v_dual_mul_f32 v92, s19, v117 :: v_dual_mul_f32 v93, s19, v116
	s_delay_alu instid0(VALU_DEP_4)
	v_mul_f32_e32 v96, s19, v105
	v_cmp_gt_i32_e32 vcc_lo, s24, v70
	v_dual_mul_f32 v79, s19, v122 :: v_dual_mul_f32 v82, s19, v119
	v_dual_mul_f32 v83, s19, v118 :: v_dual_mul_f32 v94, s19, v107
	v_cndmask_b32_e64 v93, 0xff7fffff, v93, s3
	v_cndmask_b32_e32 v92, 0xff7fffff, v92, vcc_lo
	v_or_b32_e32 v84, 12, v68
	v_or_b32_e32 v85, 14, v68
	v_cndmask_b32_e64 v71, 0xff7fffff, v83, s4
	v_cndmask_b32_e64 v72, 0xff7fffff, v82, s5
	v_cmp_gt_i32_e64 s13, s24, v89
	v_lshlrev_b32_e32 v89, 2, v69
	v_max3_f32 v82, v93, 0xff7fffff, v92
	v_or_b32_e32 v86, 16, v68
	v_or_b32_e32 v87, 18, v68
	v_mul_f32_e32 v78, s19, v123
	v_cndmask_b32_e64 v81, 0xff7fffff, v81, s6
	v_cndmask_b32_e64 v80, 0xff7fffff, v80, s7
	v_max3_f32 v71, v82, v71, v72
	v_cmp_gt_i32_e64 s8, s24, v84
	v_cmp_gt_i32_e64 s9, s24, v85
	v_or_b32_e32 v88, 20, v68
	v_or_b32_e32 v90, 24, v68
	;; [unrolled: 1-line block ×5, first 2 shown]
	v_dual_mul_f32 v97, s19, v104 :: v_dual_mul_f32 v70, s19, v101
	v_dual_mul_f32 v99, s19, v102 :: v_dual_mul_f32 v68, s19, v100
	v_cndmask_b32_e64 v72, 0xff7fffff, v79, s8
	v_cndmask_b32_e64 v78, 0xff7fffff, v78, s9
	v_max3_f32 v71, v71, v81, v80
	v_cmp_gt_i32_e64 s10, s24, v86
	v_cmp_gt_i32_e64 s11, s24, v87
	v_dual_mul_f32 v95, s19, v106 :: v_dual_mul_f32 v98, s19, v103
	s_delay_alu instid0(VALU_DEP_4) | instskip(NEXT) | instid1(VALU_DEP_4)
	v_max3_f32 v71, v71, v72, v78
	v_cndmask_b32_e64 v68, 0xff7fffff, v68, s10
	s_delay_alu instid0(VALU_DEP_4)
	v_cndmask_b32_e64 v70, 0xff7fffff, v70, s11
	v_cmp_gt_i32_e64 s12, s24, v88
	v_cndmask_b32_e64 v78, 0xff7fffff, v98, s13
	v_cmp_gt_i32_e64 s15, s24, v90
	v_cmp_gt_i32_e64 s16, s24, v91
	v_max3_f32 v68, v71, v68, v70
	v_cndmask_b32_e64 v72, 0xff7fffff, v99, s12
	v_cmp_gt_i32_e64 s17, s24, v76
	v_cndmask_b32_e64 v70, 0xff7fffff, v97, s15
	v_cndmask_b32_e64 v71, 0xff7fffff, v96, s16
	v_cmp_gt_i32_e64 s18, s24, v77
	v_max3_f32 v68, v68, v72, v78
	v_cndmask_b32_e64 v72, 0xff7fffff, v95, s17
	s_delay_alu instid0(VALU_DEP_3) | instskip(NEXT) | instid1(VALU_DEP_3)
	v_cndmask_b32_e64 v76, 0xff7fffff, v94, s18
	v_max3_f32 v68, v68, v70, v71
	s_delay_alu instid0(VALU_DEP_1) | instskip(SKIP_3) | instid1(VALU_DEP_1)
	v_max3_f32 v68, v68, v72, v76
	ds_bpermute_b32 v69, v89, v68
	s_waitcnt lgkmcnt(0)
	v_max_f32_e32 v69, v69, v69
	v_max_f32_e32 v68, v68, v69
	s_delay_alu instid0(VALU_DEP_1) | instskip(NEXT) | instid1(VALU_DEP_1)
	v_fma_f32 v71, s19, v118, -v68
	v_mul_f32_e32 v71, 0x3fb8aa3b, v71
	v_fma_f32 v70, s19, v117, -v68
	v_fma_f32 v69, s19, v116, -v68
	;; [unrolled: 1-line block ×5, first 2 shown]
	s_delay_alu instid0(VALU_DEP_4) | instskip(SKIP_1) | instid1(VALU_DEP_3)
	v_dual_mul_f32 v70, 0x3fb8aa3b, v70 :: v_dual_mul_f32 v69, 0x3fb8aa3b, v69
	v_exp_f32_e32 v71, v71
	v_mul_f32_e32 v72, 0x3fb8aa3b, v72
	v_fma_f32 v81, s19, v105, -v68
	s_delay_alu instid0(VALU_DEP_3)
	v_exp_f32_e32 v70, v70
	v_mul_f32_e32 v77, 0x3fb8aa3b, v76
	v_exp_f32_e32 v69, v69
	v_exp_f32_e32 v72, v72
	v_mul_f32_e32 v81, 0x3fb8aa3b, v81
	v_cndmask_b32_e64 v83, 0, v71, s4
	v_fma_f32 v71, s19, v123, -v68
	s_delay_alu instid0(VALU_DEP_3) | instskip(SKIP_4) | instid1(TRANS32_DEP_3)
	v_exp_f32_e32 v81, v81
	v_cndmask_b32_e32 v76, 0, v70, vcc_lo
	v_exp_f32_e32 v77, v77
	v_cndmask_b32_e64 v80, 0, v69, s3
	v_fma_f32 v69, s19, v121, -v68
	v_cndmask_b32_e64 v85, 0, v72, s5
	v_mul_f32_e32 v71, 0x3fb8aa3b, v71
	v_fma_f32 v72, s19, v100, -v68
	s_delay_alu instid0(VALU_DEP_4) | instskip(SKIP_1) | instid1(VALU_DEP_4)
	v_dual_add_f32 v70, 0, v80 :: v_dual_mul_f32 v69, 0x3fb8aa3b, v69
	v_cmp_gt_u32_e64 s3, 16, v67
	v_exp_f32_e32 v71, v71
	s_delay_alu instid0(TRANS32_DEP_2) | instskip(SKIP_4) | instid1(VALU_DEP_3)
	v_cndmask_b32_e64 v86, 0, v77, s6
	v_fma_f32 v77, s19, v101, -v68
	v_mul_f32_e32 v78, 0x3fb8aa3b, v78
	v_add_f32_e32 v70, v70, v76
	v_exp_f32_e32 v69, v69
	v_mul_f32_e32 v77, 0x3fb8aa3b, v77
	s_delay_alu instid0(VALU_DEP_3) | instskip(NEXT) | instid1(TRANS32_DEP_3)
	v_exp_f32_e32 v78, v78
	v_cndmask_b32_e64 v88, 0, v71, s9
	v_fma_f32 v71, s19, v104, -v68
	s_delay_alu instid0(VALU_DEP_3) | instskip(NEXT) | instid1(TRANS32_DEP_3)
	v_exp_f32_e32 v77, v77
	v_cndmask_b32_e64 v87, 0, v69, s7
	s_delay_alu instid0(VALU_DEP_2)
	v_mul_f32_e32 v71, 0x3fb8aa3b, v71
	s_waitcnt_depctr 0xfff
	v_cndmask_b32_e64 v84, 0, v78, s8
	v_add_f32_e32 v70, v70, v83
	v_fma_f32 v78, s19, v103, -v68
	v_exp_f32_e32 v82, v71
	s_delay_alu instid0(VALU_DEP_2) | instskip(SKIP_1) | instid1(VALU_DEP_3)
	v_add_f32_e32 v70, v70, v85
	v_mul_f32_e32 v72, 0x3fb8aa3b, v72
	v_mul_f32_e32 v78, 0x3fb8aa3b, v78
	s_delay_alu instid0(VALU_DEP_3) | instskip(SKIP_1) | instid1(VALU_DEP_4)
	v_add_f32_e32 v69, v70, v86
	v_fma_f32 v70, s19, v102, -v68
	v_exp_f32_e32 v72, v72
	s_delay_alu instid0(VALU_DEP_3) | instskip(NEXT) | instid1(VALU_DEP_1)
	v_exp_f32_e32 v78, v78
	v_dual_add_f32 v69, v69, v87 :: v_dual_mul_f32 v70, 0x3fb8aa3b, v70
	s_delay_alu instid0(VALU_DEP_1) | instskip(NEXT) | instid1(VALU_DEP_2)
	v_add_f32_e32 v69, v69, v84
	v_exp_f32_e32 v79, v70
	s_delay_alu instid0(TRANS32_DEP_3) | instskip(NEXT) | instid1(VALU_DEP_2)
	v_cndmask_b32_e64 v70, 0, v72, s10
	v_add_f32_e32 v72, v69, v88
	v_cndmask_b32_e64 v69, 0, v77, s11
	v_fma_f32 v77, s19, v106, -v68
	s_waitcnt_depctr 0xfff
	v_cndmask_b32_e64 v71, 0, v79, s12
	v_dual_mul_f32 v77, 0x3fb8aa3b, v77 :: v_dual_add_f32 v72, v72, v70
	s_delay_alu instid0(VALU_DEP_1) | instskip(NEXT) | instid1(VALU_DEP_1)
	v_exp_f32_e32 v90, v77
	v_add_f32_e32 v79, v72, v69
	v_cndmask_b32_e64 v72, 0, v78, s13
	v_cndmask_b32_e64 v77, 0, v82, s15
	s_delay_alu instid0(VALU_DEP_3) | instskip(SKIP_1) | instid1(VALU_DEP_1)
	v_add_f32_e32 v78, v79, v71
	v_fma_f32 v79, s19, v107, -v68
	v_dual_add_f32 v82, v78, v72 :: v_dual_mul_f32 v79, 0x3fb8aa3b, v79
	v_cndmask_b32_e64 v78, 0, v81, s16
	s_delay_alu instid0(VALU_DEP_2) | instskip(NEXT) | instid1(VALU_DEP_3)
	v_add_f32_e32 v81, v82, v77
	v_exp_f32_e32 v82, v79
	v_cndmask_b32_e64 v79, 0, v90, s17
	s_delay_alu instid0(VALU_DEP_2) | instskip(NEXT) | instid1(VALU_DEP_1)
	v_add_f32_e32 v81, v81, v78
	v_add_f32_e32 v90, v81, v79
	s_waitcnt_depctr 0xfff
	v_cndmask_b32_e64 v81, 0, v82, s18
	s_delay_alu instid0(VALU_DEP_1)
	v_add_f32_e32 v82, v90, v81
	ds_bpermute_b32 v89, v89, v82
	s_and_saveexec_b32 s4, s3
	s_cbranch_execz .LBB1496_12
; %bb.11:
	v_mul_u32_u24_e32 v67, 0x44, v66
	s_delay_alu instid0(VALU_DEP_1) | instskip(SKIP_1) | instid1(VALU_DEP_1)
	v_lshl_add_u32 v67, v65, 2, v67
	s_waitcnt lgkmcnt(0)
	v_dual_add_f32 v82, v82, v89 :: v_dual_add_nc_u32 v67, 0x4000, v67
	ds_store_2addr_b32 v67, v68, v82 offset1:136
.LBB1496_12:
	s_or_b32 exec_lo, exec_lo, s4
	v_lshlrev_b32_e32 v67, 2, v65
	s_waitcnt lgkmcnt(0)
	s_barrier
	buffer_gl0_inv
	v_cmp_eq_u32_e32 vcc_lo, 1, v66
	v_add_nc_u32_e32 v82, 0x4000, v67
	v_cmp_eq_u32_e64 s4, 2, v66
	v_cmp_eq_u32_e64 s6, 7, v66
	ds_load_2addr_b32 v[89:90], v82 offset1:17
	ds_load_2addr_b32 v[91:92], v82 offset0:34 offset1:51
	ds_load_2addr_b32 v[93:94], v82 offset0:68 offset1:85
	;; [unrolled: 1-line block ×4, first 2 shown]
	s_waitcnt lgkmcnt(4)
	v_max3_f32 v67, v89, 0xff7fffff, v90
	s_waitcnt lgkmcnt(3)
	s_delay_alu instid0(VALU_DEP_1) | instskip(SKIP_1) | instid1(VALU_DEP_1)
	v_max3_f32 v67, v67, v91, v92
	s_waitcnt lgkmcnt(2)
	v_max3_f32 v67, v67, v93, v94
	s_waitcnt lgkmcnt(1)
	s_delay_alu instid0(VALU_DEP_1) | instskip(NEXT) | instid1(VALU_DEP_1)
	v_max3_f32 v67, v67, v95, v96
	v_sub_f32_e32 v93, v93, v67
	s_delay_alu instid0(VALU_DEP_1) | instskip(NEXT) | instid1(VALU_DEP_1)
	v_dual_sub_f32 v68, v89, v67 :: v_dual_mul_f32 v103, 0x3fb8aa3b, v93
	v_mul_f32_e32 v68, 0x3fb8aa3b, v68
	s_delay_alu instid0(VALU_DEP_1)
	v_exp_f32_e32 v100, v68
	v_sub_f32_e32 v68, v92, v67
	v_sub_f32_e32 v99, v90, v67
	ds_load_2addr_b32 v[89:90], v82 offset0:170 offset1:187
	v_dual_mul_f32 v102, 0x3fb8aa3b, v68 :: v_dual_mul_f32 v99, 0x3fb8aa3b, v99
	s_waitcnt lgkmcnt(1)
	v_fma_f32 v68, v100, v97, 0
	s_delay_alu instid0(VALU_DEP_2) | instskip(NEXT) | instid1(VALU_DEP_2)
	v_exp_f32_e32 v102, v102
	v_exp_f32_e32 v99, v99
	s_waitcnt_depctr 0xfff
	v_fmac_f32_e32 v68, v99, v98
	v_sub_f32_e32 v91, v91, v67
	s_delay_alu instid0(VALU_DEP_1)
	v_mul_f32_e32 v101, 0x3fb8aa3b, v91
	ds_load_2addr_b32 v[91:92], v82 offset0:204 offset1:221
	v_sub_f32_e32 v97, v94, v67
	ds_load_2addr_b32 v[93:94], v82 offset0:238 offset1:255
	s_waitcnt lgkmcnt(0)
	v_exp_f32_e32 v101, v101
	s_barrier
	buffer_gl0_inv
	v_dual_fmac_f32 v68, v101, v89 :: v_dual_sub_f32 v89, v96, v67
	v_dual_sub_f32 v82, v95, v67 :: v_dual_mul_f32 v95, 0x3fb8aa3b, v97
	v_exp_f32_e32 v97, v103
	s_delay_alu instid0(VALU_DEP_2) | instskip(NEXT) | instid1(VALU_DEP_2)
	v_dual_fmac_f32 v68, v102, v90 :: v_dual_mul_f32 v89, 0x3fb8aa3b, v89
	v_mul_f32_e32 v82, 0x3fb8aa3b, v82
	s_delay_alu instid0(VALU_DEP_3) | instskip(NEXT) | instid1(VALU_DEP_2)
	v_exp_f32_e32 v95, v95
	v_exp_f32_e32 v89, v89
	s_delay_alu instid0(VALU_DEP_1)
	v_exp_f32_e32 v82, v82
	v_fmac_f32_e32 v68, v97, v91
	s_delay_alu instid0(TRANS32_DEP_3) | instid1(VALU_DEP_1)
	v_fmac_f32_e32 v68, v95, v92
	s_waitcnt_depctr 0xfff
	v_fmac_f32_e32 v68, v82, v93
	s_delay_alu instid0(VALU_DEP_1) | instskip(NEXT) | instid1(VALU_DEP_1)
	v_fmac_f32_e32 v68, v89, v94
	v_add_f32_e32 v90, 0x358637bd, v68
	s_delay_alu instid0(VALU_DEP_1) | instskip(NEXT) | instid1(VALU_DEP_1)
	v_div_scale_f32 v91, null, v90, v90, 1.0
	v_rcp_f32_e32 v92, v91
	s_waitcnt_depctr 0xfff
	v_fma_f32 v93, -v91, v92, 1.0
	s_delay_alu instid0(VALU_DEP_1) | instskip(SKIP_1) | instid1(VALU_DEP_2)
	v_dual_fmac_f32 v92, v93, v92 :: v_dual_cndmask_b32 v93, v100, v99
	v_cmp_eq_u32_e32 vcc_lo, 3, v66
	v_cndmask_b32_e64 v93, v93, v101, s4
	v_cmp_eq_u32_e64 s4, 4, v66
	s_delay_alu instid0(VALU_DEP_2) | instskip(SKIP_1) | instid1(VALU_DEP_2)
	v_cndmask_b32_e32 v93, v93, v102, vcc_lo
	v_cmp_eq_u32_e32 vcc_lo, 5, v66
	v_cndmask_b32_e64 v93, v93, v97, s4
	v_cmp_eq_u32_e64 s4, 6, v66
	s_delay_alu instid0(VALU_DEP_2) | instskip(SKIP_1) | instid1(VALU_DEP_1)
	v_cndmask_b32_e32 v93, v93, v95, vcc_lo
	v_div_scale_f32 v94, s5, 1.0, v90, 1.0
	s_mov_b32 vcc_lo, s5
	s_delay_alu instid0(VALU_DEP_2) | instskip(NEXT) | instid1(VALU_DEP_2)
	v_cndmask_b32_e64 v82, v93, v82, s4
	v_mul_f32_e32 v96, v94, v92
	s_mov_b32 s4, exec_lo
	s_delay_alu instid0(VALU_DEP_2) | instskip(NEXT) | instid1(VALU_DEP_2)
	v_cndmask_b32_e64 v82, v82, v89, s6
	v_fma_f32 v98, -v91, v96, v94
	s_delay_alu instid0(VALU_DEP_1) | instskip(NEXT) | instid1(VALU_DEP_1)
	v_fmac_f32_e32 v96, v98, v92
	v_fma_f32 v91, -v91, v96, v94
	s_delay_alu instid0(VALU_DEP_1) | instskip(NEXT) | instid1(VALU_DEP_1)
	v_div_fmas_f32 v91, v91, v92, v96
	v_div_fixup_f32 v90, v91, v90, 1.0
	s_delay_alu instid0(VALU_DEP_1) | instskip(NEXT) | instid1(VALU_DEP_1)
	v_mul_f32_e32 v82, v82, v90
	v_mul_f32_e32 v87, v82, v87
	;; [unrolled: 1-line block ×7, first 2 shown]
	v_dual_mul_f32 v86, v82, v83 :: v_dual_and_b32 v91, 0x7f800000, v90
	v_mul_f32_e32 v85, v82, v76
                                        ; implicit-def: $vgpr76
	s_delay_alu instid0(VALU_DEP_2)
	v_cmpx_ne_u32_e32 0x7f800000, v91
	s_xor_b32 s4, exec_lo, s4
; %bb.13:
	v_bfe_u32 v76, v90, 16, 1
	s_delay_alu instid0(VALU_DEP_1)
	v_add3_u32 v76, v90, v76, 0x7fff
                                        ; implicit-def: $vgpr90
; %bb.14:
	s_and_not1_saveexec_b32 s4, s4
; %bb.15:
	v_and_b32_e32 v76, 0xffff, v90
	v_or_b32_e32 v83, 0x10000, v90
	s_delay_alu instid0(VALU_DEP_2) | instskip(NEXT) | instid1(VALU_DEP_2)
	v_cmp_eq_u32_e32 vcc_lo, 0, v76
	v_cndmask_b32_e32 v76, v83, v90, vcc_lo
; %bb.16:
	s_or_b32 exec_lo, exec_lo, s4
	v_and_b32_e32 v83, 0x7f800000, v85
	s_delay_alu instid0(VALU_DEP_1) | instskip(SKIP_1) | instid1(SALU_CYCLE_1)
	v_cmp_ne_u32_e32 vcc_lo, 0x7f800000, v83
                                        ; implicit-def: $vgpr83
	s_and_saveexec_b32 s4, vcc_lo
	s_xor_b32 s4, exec_lo, s4
; %bb.17:
	v_bfe_u32 v83, v85, 16, 1
	s_delay_alu instid0(VALU_DEP_1)
	v_add3_u32 v83, v85, v83, 0x7fff
                                        ; implicit-def: $vgpr85
; %bb.18:
	s_and_not1_saveexec_b32 s4, s4
; %bb.19:
	v_and_b32_e32 v83, 0xffff, v85
	v_or_b32_e32 v90, 0x10000, v85
	s_delay_alu instid0(VALU_DEP_2) | instskip(NEXT) | instid1(VALU_DEP_2)
	v_cmp_eq_u32_e32 vcc_lo, 0, v83
	v_cndmask_b32_e32 v83, v90, v85, vcc_lo
; %bb.20:
	s_or_b32 exec_lo, exec_lo, s4
	v_and_b32_e32 v85, 0x7f800000, v86
	s_delay_alu instid0(VALU_DEP_1) | instskip(SKIP_1) | instid1(SALU_CYCLE_1)
	v_cmp_ne_u32_e32 vcc_lo, 0x7f800000, v85
                                        ; implicit-def: $vgpr85
	s_and_saveexec_b32 s4, vcc_lo
	s_xor_b32 s4, exec_lo, s4
; %bb.21:
	v_bfe_u32 v85, v86, 16, 1
	s_delay_alu instid0(VALU_DEP_1)
	v_add3_u32 v85, v86, v85, 0x7fff
                                        ; implicit-def: $vgpr86
; %bb.22:
	s_and_not1_saveexec_b32 s4, s4
; %bb.23:
	v_and_b32_e32 v85, 0xffff, v86
	v_or_b32_e32 v90, 0x10000, v86
	s_delay_alu instid0(VALU_DEP_2) | instskip(NEXT) | instid1(VALU_DEP_2)
	v_cmp_eq_u32_e32 vcc_lo, 0, v85
	v_cndmask_b32_e32 v85, v90, v86, vcc_lo
; %bb.24:
	s_or_b32 exec_lo, exec_lo, s4
	v_and_b32_e32 v86, 0x7f800000, v89
	s_delay_alu instid0(VALU_DEP_1) | instskip(SKIP_1) | instid1(SALU_CYCLE_1)
	v_cmp_ne_u32_e32 vcc_lo, 0x7f800000, v86
                                        ; implicit-def: $vgpr86
	s_and_saveexec_b32 s4, vcc_lo
	s_xor_b32 s4, exec_lo, s4
; %bb.25:
	v_bfe_u32 v86, v89, 16, 1
	s_delay_alu instid0(VALU_DEP_1)
	v_add3_u32 v86, v89, v86, 0x7fff
                                        ; implicit-def: $vgpr89
; %bb.26:
	s_and_not1_saveexec_b32 s4, s4
; %bb.27:
	v_and_b32_e32 v86, 0xffff, v89
	v_or_b32_e32 v90, 0x10000, v89
	s_delay_alu instid0(VALU_DEP_2) | instskip(NEXT) | instid1(VALU_DEP_2)
	v_cmp_eq_u32_e32 vcc_lo, 0, v86
	v_cndmask_b32_e32 v86, v90, v89, vcc_lo
; %bb.28:
	s_or_b32 exec_lo, exec_lo, s4
	v_and_b32_e32 v89, 0x7f800000, v88
	s_delay_alu instid0(VALU_DEP_1) | instskip(SKIP_1) | instid1(SALU_CYCLE_1)
	v_cmp_ne_u32_e32 vcc_lo, 0x7f800000, v89
                                        ; implicit-def: $vgpr89
	s_and_saveexec_b32 s4, vcc_lo
	s_xor_b32 s4, exec_lo, s4
; %bb.29:
	v_bfe_u32 v89, v88, 16, 1
	s_delay_alu instid0(VALU_DEP_1)
	v_add3_u32 v89, v88, v89, 0x7fff
                                        ; implicit-def: $vgpr88
; %bb.30:
	s_and_not1_saveexec_b32 s4, s4
; %bb.31:
	v_and_b32_e32 v89, 0xffff, v88
	v_or_b32_e32 v90, 0x10000, v88
	s_delay_alu instid0(VALU_DEP_2) | instskip(NEXT) | instid1(VALU_DEP_2)
	v_cmp_eq_u32_e32 vcc_lo, 0, v89
	v_cndmask_b32_e32 v89, v90, v88, vcc_lo
; %bb.32:
	s_or_b32 exec_lo, exec_lo, s4
	v_and_b32_e32 v88, 0x7f800000, v87
	s_delay_alu instid0(VALU_DEP_1) | instskip(SKIP_1) | instid1(SALU_CYCLE_1)
	v_cmp_ne_u32_e32 vcc_lo, 0x7f800000, v88
                                        ; implicit-def: $vgpr88
	s_and_saveexec_b32 s4, vcc_lo
	s_xor_b32 s4, exec_lo, s4
; %bb.33:
	v_bfe_u32 v88, v87, 16, 1
	s_delay_alu instid0(VALU_DEP_1)
	v_add3_u32 v88, v87, v88, 0x7fff
                                        ; implicit-def: $vgpr87
; %bb.34:
	s_and_not1_saveexec_b32 s4, s4
; %bb.35:
	v_and_b32_e32 v88, 0xffff, v87
	v_or_b32_e32 v90, 0x10000, v87
	s_delay_alu instid0(VALU_DEP_2) | instskip(NEXT) | instid1(VALU_DEP_2)
	v_cmp_eq_u32_e32 vcc_lo, 0, v88
	v_cndmask_b32_e32 v88, v90, v87, vcc_lo
; %bb.36:
	s_or_b32 exec_lo, exec_lo, s4
	v_and_b32_e32 v87, 0x7f800000, v84
	s_delay_alu instid0(VALU_DEP_1) | instskip(SKIP_1) | instid1(SALU_CYCLE_1)
	v_cmp_ne_u32_e32 vcc_lo, 0x7f800000, v87
                                        ; implicit-def: $vgpr87
	s_and_saveexec_b32 s4, vcc_lo
	s_xor_b32 s4, exec_lo, s4
; %bb.37:
	v_bfe_u32 v87, v84, 16, 1
	s_delay_alu instid0(VALU_DEP_1)
	v_add3_u32 v87, v84, v87, 0x7fff
                                        ; implicit-def: $vgpr84
; %bb.38:
	s_and_not1_saveexec_b32 s4, s4
; %bb.39:
	v_and_b32_e32 v87, 0xffff, v84
	v_or_b32_e32 v90, 0x10000, v84
	s_delay_alu instid0(VALU_DEP_2) | instskip(NEXT) | instid1(VALU_DEP_2)
	v_cmp_eq_u32_e32 vcc_lo, 0, v87
	v_cndmask_b32_e32 v87, v90, v84, vcc_lo
; %bb.40:
	s_or_b32 exec_lo, exec_lo, s4
	v_and_b32_e32 v84, 0x7f800000, v80
	s_delay_alu instid0(VALU_DEP_1) | instskip(SKIP_1) | instid1(SALU_CYCLE_1)
	v_cmp_ne_u32_e32 vcc_lo, 0x7f800000, v84
                                        ; implicit-def: $vgpr84
	s_and_saveexec_b32 s4, vcc_lo
	s_xor_b32 s4, exec_lo, s4
; %bb.41:
	v_bfe_u32 v84, v80, 16, 1
	s_delay_alu instid0(VALU_DEP_1)
	v_add3_u32 v84, v80, v84, 0x7fff
                                        ; implicit-def: $vgpr80
; %bb.42:
	s_and_not1_saveexec_b32 s4, s4
; %bb.43:
	v_and_b32_e32 v84, 0xffff, v80
	v_or_b32_e32 v90, 0x10000, v80
	s_delay_alu instid0(VALU_DEP_2) | instskip(NEXT) | instid1(VALU_DEP_2)
	v_cmp_eq_u32_e32 vcc_lo, 0, v84
	v_cndmask_b32_e32 v84, v90, v80, vcc_lo
; %bb.44:
	s_or_b32 exec_lo, exec_lo, s4
	s_load_b64 s[36:37], s[0:1], 0x94
	v_lshlrev_b32_e32 v91, 4, v74
	s_delay_alu instid0(VALU_DEP_2)
	v_perm_b32 v90, v84, v87, 0x7060302
	v_dual_mul_f32 v79, v82, v79 :: v_dual_lshlrev_b32 v80, 6, v65
	v_dual_mul_f32 v77, v82, v77 :: v_dual_lshlrev_b32 v92, 11, v66
	v_mul_f32_e32 v84, v82, v70
	v_perm_b32 v89, v88, v89, 0x7060302
	v_perm_b32 v88, v86, v85, 0x7060302
	v_perm_b32 v87, v83, v76, 0x7060302
	v_mul_f32_e32 v70, v82, v81
	v_or3_b32 v76, v91, v92, v80
	v_dual_mul_f32 v78, v82, v78 :: v_dual_and_b32 v85, 0x7f800000, v84
	v_mul_f32_e32 v83, v82, v72
	v_mul_f32_e32 v81, v82, v71
	;; [unrolled: 1-line block ×3, first 2 shown]
	s_mov_b32 s4, exec_lo
	ds_store_b128 v76, v[87:90]
                                        ; implicit-def: $vgpr69
	v_cmpx_ne_u32_e32 0x7f800000, v85
	s_xor_b32 s4, exec_lo, s4
; %bb.45:
	v_bfe_u32 v69, v84, 16, 1
	s_delay_alu instid0(VALU_DEP_1)
	v_add3_u32 v69, v84, v69, 0x7fff
                                        ; implicit-def: $vgpr84
; %bb.46:
	s_and_not1_saveexec_b32 s4, s4
; %bb.47:
	v_and_b32_e32 v69, 0xffff, v84
	v_or_b32_e32 v71, 0x10000, v84
	s_delay_alu instid0(VALU_DEP_2) | instskip(NEXT) | instid1(VALU_DEP_2)
	v_cmp_eq_u32_e32 vcc_lo, 0, v69
	v_cndmask_b32_e32 v69, v71, v84, vcc_lo
; %bb.48:
	s_or_b32 exec_lo, exec_lo, s4
	v_and_b32_e32 v71, 0x7f800000, v72
	s_delay_alu instid0(VALU_DEP_1) | instskip(SKIP_1) | instid1(SALU_CYCLE_1)
	v_cmp_ne_u32_e32 vcc_lo, 0x7f800000, v71
                                        ; implicit-def: $vgpr71
	s_and_saveexec_b32 s4, vcc_lo
	s_xor_b32 s4, exec_lo, s4
; %bb.49:
	v_bfe_u32 v71, v72, 16, 1
	s_delay_alu instid0(VALU_DEP_1)
	v_add3_u32 v71, v72, v71, 0x7fff
                                        ; implicit-def: $vgpr72
; %bb.50:
	s_and_not1_saveexec_b32 s4, s4
; %bb.51:
	v_and_b32_e32 v71, 0xffff, v72
	v_or_b32_e32 v82, 0x10000, v72
	s_delay_alu instid0(VALU_DEP_2) | instskip(NEXT) | instid1(VALU_DEP_2)
	v_cmp_eq_u32_e32 vcc_lo, 0, v71
	v_cndmask_b32_e32 v71, v82, v72, vcc_lo
; %bb.52:
	s_or_b32 exec_lo, exec_lo, s4
	v_and_b32_e32 v72, 0x7f800000, v81
	s_delay_alu instid0(VALU_DEP_1) | instskip(SKIP_1) | instid1(SALU_CYCLE_1)
	v_cmp_ne_u32_e32 vcc_lo, 0x7f800000, v72
                                        ; implicit-def: $vgpr72
	s_and_saveexec_b32 s4, vcc_lo
	s_xor_b32 s4, exec_lo, s4
; %bb.53:
	v_bfe_u32 v72, v81, 16, 1
	s_delay_alu instid0(VALU_DEP_1)
	v_add3_u32 v72, v81, v72, 0x7fff
                                        ; implicit-def: $vgpr81
; %bb.54:
	s_and_not1_saveexec_b32 s4, s4
; %bb.55:
	v_and_b32_e32 v72, 0xffff, v81
	v_or_b32_e32 v82, 0x10000, v81
	s_delay_alu instid0(VALU_DEP_2) | instskip(NEXT) | instid1(VALU_DEP_2)
	v_cmp_eq_u32_e32 vcc_lo, 0, v72
	v_cndmask_b32_e32 v72, v82, v81, vcc_lo
; %bb.56:
	s_or_b32 exec_lo, exec_lo, s4
	v_and_b32_e32 v81, 0x7f800000, v83
	s_delay_alu instid0(VALU_DEP_1) | instskip(SKIP_1) | instid1(SALU_CYCLE_1)
	v_cmp_ne_u32_e32 vcc_lo, 0x7f800000, v81
                                        ; implicit-def: $vgpr81
	s_and_saveexec_b32 s4, vcc_lo
	s_xor_b32 s4, exec_lo, s4
; %bb.57:
	v_bfe_u32 v81, v83, 16, 1
	s_delay_alu instid0(VALU_DEP_1)
	v_add3_u32 v81, v83, v81, 0x7fff
                                        ; implicit-def: $vgpr83
; %bb.58:
	s_and_not1_saveexec_b32 s4, s4
; %bb.59:
	v_and_b32_e32 v81, 0xffff, v83
	v_or_b32_e32 v82, 0x10000, v83
	s_delay_alu instid0(VALU_DEP_2) | instskip(NEXT) | instid1(VALU_DEP_2)
	v_cmp_eq_u32_e32 vcc_lo, 0, v81
	v_cndmask_b32_e32 v81, v82, v83, vcc_lo
; %bb.60:
	s_or_b32 exec_lo, exec_lo, s4
	v_and_b32_e32 v82, 0x7f800000, v77
	s_delay_alu instid0(VALU_DEP_1) | instskip(SKIP_1) | instid1(SALU_CYCLE_1)
	v_cmp_ne_u32_e32 vcc_lo, 0x7f800000, v82
                                        ; implicit-def: $vgpr82
	s_and_saveexec_b32 s4, vcc_lo
	s_xor_b32 s4, exec_lo, s4
; %bb.61:
	v_bfe_u32 v82, v77, 16, 1
	s_delay_alu instid0(VALU_DEP_1)
	v_add3_u32 v82, v77, v82, 0x7fff
                                        ; implicit-def: $vgpr77
; %bb.62:
	s_and_not1_saveexec_b32 s4, s4
; %bb.63:
	v_and_b32_e32 v82, 0xffff, v77
	v_or_b32_e32 v83, 0x10000, v77
	s_delay_alu instid0(VALU_DEP_2) | instskip(NEXT) | instid1(VALU_DEP_2)
	v_cmp_eq_u32_e32 vcc_lo, 0, v82
	v_cndmask_b32_e32 v82, v83, v77, vcc_lo
; %bb.64:
	s_or_b32 exec_lo, exec_lo, s4
	v_and_b32_e32 v77, 0x7f800000, v78
	s_delay_alu instid0(VALU_DEP_1) | instskip(SKIP_1) | instid1(SALU_CYCLE_1)
	v_cmp_ne_u32_e32 vcc_lo, 0x7f800000, v77
                                        ; implicit-def: $vgpr77
	s_and_saveexec_b32 s4, vcc_lo
	s_xor_b32 s4, exec_lo, s4
; %bb.65:
	v_bfe_u32 v77, v78, 16, 1
	s_delay_alu instid0(VALU_DEP_1)
	v_add3_u32 v77, v78, v77, 0x7fff
                                        ; implicit-def: $vgpr78
; %bb.66:
	s_and_not1_saveexec_b32 s4, s4
; %bb.67:
	v_and_b32_e32 v77, 0xffff, v78
	v_or_b32_e32 v83, 0x10000, v78
	s_delay_alu instid0(VALU_DEP_2) | instskip(NEXT) | instid1(VALU_DEP_2)
	v_cmp_eq_u32_e32 vcc_lo, 0, v77
	v_cndmask_b32_e32 v77, v83, v78, vcc_lo
; %bb.68:
	s_or_b32 exec_lo, exec_lo, s4
	v_and_b32_e32 v78, 0x7f800000, v79
	s_delay_alu instid0(VALU_DEP_1) | instskip(SKIP_1) | instid1(SALU_CYCLE_1)
	v_cmp_ne_u32_e32 vcc_lo, 0x7f800000, v78
                                        ; implicit-def: $vgpr78
	s_and_saveexec_b32 s4, vcc_lo
	s_xor_b32 s4, exec_lo, s4
; %bb.69:
	v_bfe_u32 v78, v79, 16, 1
	s_delay_alu instid0(VALU_DEP_1)
	v_add3_u32 v78, v79, v78, 0x7fff
                                        ; implicit-def: $vgpr79
; %bb.70:
	s_and_not1_saveexec_b32 s4, s4
; %bb.71:
	v_and_b32_e32 v78, 0xffff, v79
	v_or_b32_e32 v83, 0x10000, v79
	s_delay_alu instid0(VALU_DEP_2) | instskip(NEXT) | instid1(VALU_DEP_2)
	v_cmp_eq_u32_e32 vcc_lo, 0, v78
	v_cndmask_b32_e32 v78, v83, v79, vcc_lo
; %bb.72:
	s_or_b32 exec_lo, exec_lo, s4
	v_and_b32_e32 v79, 0x7f800000, v70
	s_delay_alu instid0(VALU_DEP_1) | instskip(SKIP_1) | instid1(SALU_CYCLE_1)
	v_cmp_ne_u32_e32 vcc_lo, 0x7f800000, v79
                                        ; implicit-def: $vgpr79
	s_and_saveexec_b32 s4, vcc_lo
	s_xor_b32 s4, exec_lo, s4
; %bb.73:
	v_bfe_u32 v79, v70, 16, 1
	s_delay_alu instid0(VALU_DEP_1)
	v_add3_u32 v79, v70, v79, 0x7fff
                                        ; implicit-def: $vgpr70
; %bb.74:
	s_and_not1_saveexec_b32 s4, s4
; %bb.75:
	v_and_b32_e32 v79, 0xffff, v70
	v_or_b32_e32 v83, 0x10000, v70
	s_delay_alu instid0(VALU_DEP_2) | instskip(NEXT) | instid1(VALU_DEP_2)
	v_cmp_eq_u32_e32 vcc_lo, 0, v79
	v_cndmask_b32_e32 v79, v83, v70, vcc_lo
; %bb.76:
	s_or_b32 exec_lo, exec_lo, s4
	s_delay_alu instid0(VALU_DEP_1)
	v_perm_b32 v86, v79, v78, 0x7060302
	v_perm_b32 v85, v77, v82, 0x7060302
	;; [unrolled: 1-line block ×4, first 2 shown]
	v_lshl_or_b32 v82, v66, 11, v80
	ds_store_b128 v76, v[83:86] offset:1024
	s_waitcnt lgkmcnt(0)
	s_barrier
	buffer_gl0_inv
	ds_load_b128 v[69:72], v82
	ds_load_b128 v[83:86], v82 offset:16
	s_waitcnt lgkmcnt(1)
	v_lshrrev_b32_e32 v66, 16, v69
	s_waitcnt lgkmcnt(0)
	v_lshrrev_b32_e32 v91, 16, v83
	v_lshlrev_b32_e32 v78, 2, v74
	v_lshrrev_b32_e32 v95, 16, v70
	v_lshrrev_b32_e32 v98, 16, v84
	;; [unrolled: 1-line block ×4, first 2 shown]
	v_cmp_eq_u32_e32 vcc_lo, 1, v78
	v_lshrrev_b32_e32 v97, 16, v72
	v_lshrrev_b32_e32 v100, 16, v86
	v_cndmask_b32_e32 v87, v83, v91, vcc_lo
	v_or_b32_e32 v79, 1, v78
	v_cndmask_b32_e32 v81, v69, v66, vcc_lo
	v_cmp_eq_u32_e64 s5, 2, v78
	v_cmp_eq_u32_e64 s8, 3, v78
	;; [unrolled: 1-line block ×5, first 2 shown]
	v_cndmask_b32_e64 v81, v81, v70, s5
	v_cndmask_b32_e64 v87, v87, v84, s5
	v_cmp_eq_u32_e64 s9, 3, v79
	v_cndmask_b32_e64 v88, v69, v66, s4
	v_or_b32_e32 v77, 2, v78
	v_cndmask_b32_e64 v81, v81, v95, s8
	v_cndmask_b32_e64 v87, v87, v98, s8
	;; [unrolled: 1-line block ×4, first 2 shown]
	v_cmp_eq_u32_e64 s11, 5, v78
	v_cndmask_b32_e64 v81, v81, v71, s10
	v_cndmask_b32_e64 v87, v87, v85, s10
	v_cmp_eq_u32_e64 s12, 4, v79
	v_cndmask_b32_e64 v88, v88, v95, s9
	v_cmp_eq_u32_e64 s6, 1, v77
	v_cndmask_b32_e64 v89, v89, v84, s7
	v_cndmask_b32_e64 v81, v81, v96, s11
	v_cmp_eq_u32_e64 s13, 6, v78
	v_cndmask_b32_e64 v88, v88, v71, s12
	;; [unrolled: 3-line block ×3, first 2 shown]
	v_cndmask_b32_e64 v89, v89, v98, s9
	v_cndmask_b32_e64 v81, v81, v72, s13
	v_cmp_eq_u32_e64 s16, 7, v78
	v_cndmask_b32_e64 v88, v88, v96, s15
	v_cndmask_b32_e64 v87, v87, v86, s13
	v_cmp_eq_u32_e64 s17, 6, v79
	v_cmp_eq_u32_e64 s18, 2, v77
	v_cndmask_b32_e64 v89, v89, v85, s12
	v_cndmask_b32_e64 v101, v81, v97, s16
	;; [unrolled: 1-line block ×6, first 2 shown]
	v_cmp_eq_u32_e64 s19, 7, v79
	v_cmp_eq_u32_e64 s20, 3, v77
	;; [unrolled: 1-line block ×4, first 2 shown]
	v_cndmask_b32_e64 v87, v87, v84, s18
	v_cndmask_b32_e64 v103, v88, v97, s19
	;; [unrolled: 1-line block ×4, first 2 shown]
	v_or_b32_e32 v81, 3, v78
	v_cndmask_b32_e64 v93, v87, v98, s20
	v_cmp_eq_u32_e64 s25, 6, v77
	v_cndmask_b32_e64 v104, v88, v86, s17
	v_cndmask_b32_e64 v92, v89, v71, s21
	v_cmp_eq_u32_e64 s22, 1, v81
	ds_load_b128 v[87:90], v82 offset:1024
	v_cmp_eq_u32_e64 s24, 2, v81
	v_cmp_eq_u32_e64 s26, 3, v81
	v_cndmask_b32_e64 v105, v92, v96, s23
	v_cndmask_b32_e64 v66, v69, v66, s22
	;; [unrolled: 1-line block ×4, first 2 shown]
	ds_load_b128 v[91:94], v82 offset:1040
	v_cmp_eq_u32_e64 s27, 4, v81
	v_cndmask_b32_e64 v66, v66, v70, s24
	v_cmp_eq_u32_e64 s28, 7, v77
	v_cndmask_b32_e64 v70, v83, v84, s24
	v_cndmask_b32_e64 v84, v105, v72, s25
	v_cmp_eq_u32_e64 s29, 5, v81
	v_cndmask_b32_e64 v66, v66, v95, s26
	v_cmp_eq_u32_e64 s30, 6, v81
	v_cndmask_b32_e64 v70, v70, v98, s26
	v_cndmask_b32_e64 v69, v69, v99, s23
	;; [unrolled: 1-line block ×4, first 2 shown]
	s_waitcnt lgkmcnt(1)
	v_lshrrev_b32_e32 v95, 16, v87
	v_cndmask_b32_e64 v70, v70, v85, s27
	v_cndmask_b32_e64 v71, v84, v97, s28
	v_cndmask_b32_e64 v69, v69, v86, s25
	v_cndmask_b32_e64 v66, v66, v96, s29
	v_cndmask_b32_e32 v84, v87, v95, vcc_lo
	v_cndmask_b32_e64 v70, v70, v99, s29
	s_waitcnt lgkmcnt(0)
	v_lshrrev_b32_e32 v85, 16, v91
	v_lshrrev_b32_e32 v96, 16, v88
	v_cndmask_b32_e64 v98, v87, v95, s4
	v_cndmask_b32_e64 v84, v84, v88, s5
	;; [unrolled: 1-line block ×3, first 2 shown]
	v_cndmask_b32_e32 v99, v91, v85, vcc_lo
	v_cmp_eq_u32_e32 vcc_lo, 7, v81
	v_cndmask_b32_e64 v66, v66, v72, s30
	v_cndmask_b32_e64 v72, v84, v96, s8
	;; [unrolled: 1-line block ×3, first 2 shown]
	v_lshrrev_b32_e32 v98, 16, v92
	v_cndmask_b32_e32 v70, v70, v100, vcc_lo
	v_cndmask_b32_e64 v86, v99, v92, s5
	v_cndmask_b32_e64 v69, v69, v100, s28
	v_lshrrev_b32_e32 v100, 16, v93
	v_cndmask_b32_e64 v72, v72, v89, s10
	v_lshrrev_b32_e32 v99, 16, v89
	v_cndmask_b32_e64 v86, v86, v98, s8
	v_perm_b32 v71, v69, v71, 0x5040100
	v_cndmask_b32_e64 v84, v84, v96, s9
	s_delay_alu instid0(VALU_DEP_3) | instskip(NEXT) | instid1(VALU_DEP_2)
	v_cndmask_b32_e64 v86, v86, v93, s10
	v_cndmask_b32_e64 v84, v84, v89, s12
	s_delay_alu instid0(VALU_DEP_2) | instskip(NEXT) | instid1(VALU_DEP_1)
	v_cndmask_b32_e64 v86, v86, v100, s11
	v_cndmask_b32_e64 v69, v86, v94, s13
	;; [unrolled: 1-line block ×5, first 2 shown]
	s_delay_alu instid0(VALU_DEP_3) | instskip(NEXT) | instid1(VALU_DEP_3)
	v_cndmask_b32_e64 v86, v86, v88, s18
	v_cndmask_b32_e64 v87, v87, v88, s24
	s_delay_alu instid0(VALU_DEP_3) | instskip(NEXT) | instid1(VALU_DEP_3)
	v_cndmask_b32_e64 v88, v95, v92, s24
	v_cndmask_b32_e64 v86, v86, v96, s20
	;; [unrolled: 3-line block ×7, first 2 shown]
	s_delay_alu instid0(VALU_DEP_3) | instskip(SKIP_2) | instid1(VALU_DEP_2)
	v_cndmask_b32_e64 v88, v88, v94, s30
	v_cndmask_b32_e32 v66, v66, v97, vcc_lo
	v_cndmask_b32_e64 v97, v72, v99, s11
	v_perm_b32 v72, v70, v66, 0x5040100
	v_perm_b32 v70, v83, v103, 0x5040100
	v_cndmask_b32_e64 v103, v91, v85, s6
	v_cndmask_b32_e64 v85, v91, v85, s4
	;; [unrolled: 1-line block ×4, first 2 shown]
	v_lshrrev_b32_e32 v97, 16, v90
	v_cndmask_b32_e64 v91, v103, v92, s18
	v_cndmask_b32_e64 v85, v85, v92, s7
	;; [unrolled: 1-line block ×3, first 2 shown]
	s_mov_b32 s4, exec_lo
	v_cndmask_b32_e64 v83, v84, v97, s16
	v_cndmask_b32_e64 v91, v91, v98, s20
	;; [unrolled: 1-line block ×3, first 2 shown]
	v_lshrrev_b32_e32 v84, 16, v94
	v_cndmask_b32_e64 v66, v66, v97, s19
	v_cndmask_b32_e64 v90, v86, v97, s28
	;; [unrolled: 1-line block ×4, first 2 shown]
	v_dual_cndmask_b32 v86, v87, v97 :: v_dual_cndmask_b32 v87, v88, v84
	v_cndmask_b32_e64 v91, v69, v84, s16
	s_delay_alu instid0(VALU_DEP_4) | instskip(NEXT) | instid1(VALU_DEP_4)
	v_cndmask_b32_e64 v89, v89, v100, s23
	v_cndmask_b32_e64 v85, v85, v100, s15
	v_perm_b32 v69, v102, v101, 0x5040100
	v_perm_b32 v86, v87, v86, 0x5040100
	;; [unrolled: 1-line block ×3, first 2 shown]
	v_cndmask_b32_e64 v89, v89, v94, s25
	v_cndmask_b32_e64 v85, v85, v94, s17
	s_mul_i32 s9, s37, 11
	s_delay_alu instid0(VALU_DEP_2) | instskip(NEXT) | instid1(VALU_DEP_2)
	v_cndmask_b32_e64 v88, v89, v84, s28
	v_cndmask_b32_e64 v89, v85, v84, s19
	s_delay_alu instid0(VALU_DEP_2) | instskip(NEXT) | instid1(VALU_DEP_2)
	v_perm_b32 v85, v88, v90, 0x5040100
	v_perm_b32 v84, v89, v66, 0x5040100
	ds_store_b128 v76, v[69:72]
	ds_store_b128 v76, v[83:86] offset:1024
	v_cmpx_gt_u32_e32 11, v0
	s_cbranch_execz .LBB1496_78
; %bb.77:
	s_mul_i32 s5, s9, s34
	s_load_b128 s[16:19], s[0:1], 0x58
	v_add3_u32 v69, s5, s31, v65
	s_delay_alu instid0(VALU_DEP_1) | instskip(NEXT) | instid1(VALU_DEP_1)
	v_mad_u64_u32 v[65:66], null, v69, s36, s[14:15]
	v_ashrrev_i32_e32 v66, 31, v65
	s_delay_alu instid0(VALU_DEP_1) | instskip(SKIP_1) | instid1(VALU_DEP_1)
	v_lshlrev_b64 v[65:66], 2, v[65:66]
	s_waitcnt lgkmcnt(0)
	v_add_co_u32 v69, vcc_lo, s18, v65
	s_delay_alu instid0(VALU_DEP_2)
	v_add_co_ci_u32_e32 v70, vcc_lo, s19, v66, vcc_lo
	v_add_co_u32 v65, vcc_lo, s16, v65
	v_add_co_ci_u32_e32 v66, vcc_lo, s17, v66, vcc_lo
	global_store_b32 v[69:70], v67, off
	global_store_b32 v[65:66], v68, off
.LBB1496_78:
	s_or_b32 exec_lo, exec_lo, s4
	s_waitcnt lgkmcnt(0)
	s_waitcnt_vscnt null, 0x0
	s_barrier
	buffer_gl0_inv
	ds_load_b128 v[83:86], v80
	ds_load_b128 v[87:90], v80 offset:16
	ds_load_b128 v[95:98], v80 offset:2064
	ds_load_b128 v[91:94], v80 offset:2048
	v_mov_b32_e32 v65, 0
	ds_load_b128 v[103:106], v80 offset:4112
	ds_load_b128 v[99:102], v80 offset:4096
	;; [unrolled: 1-line block ×4, first 2 shown]
	v_mov_b32_e32 v66, v65
	v_mov_b32_e32 v67, v65
	;; [unrolled: 1-line block ×7, first 2 shown]
	s_waitcnt lgkmcnt(6)
	s_delay_alu instid0(VALU_DEP_1)
	v_wmma_f32_16x16x16_bf16 v[65:72], v[57:64], v[83:90], v[65:72]
	ds_load_b128 v[61:64], v80 offset:8208
	ds_load_b128 v[57:60], v80 offset:8192
	s_waitcnt lgkmcnt(6)
	v_wmma_f32_16x16x16_bf16 v[65:72], v[41:48], v[91:98], v[65:72]
	ds_load_b128 v[45:48], v80 offset:10256
	ds_load_b128 v[41:44], v80 offset:10240
	s_waitcnt lgkmcnt(6)
	;; [unrolled: 4-line block ×4, first 2 shown]
	v_wmma_f32_16x16x16_bf16 v[65:72], v[1:8], v[57:64], v[65:72]
	s_waitcnt lgkmcnt(4)
	s_delay_alu instid0(VALU_DEP_1) | instskip(SKIP_1) | instid1(VALU_DEP_1)
	v_wmma_f32_16x16x16_bf16 v[65:72], v[9:16], v[41:48], v[65:72]
	s_waitcnt lgkmcnt(2)
	v_wmma_f32_16x16x16_bf16 v[65:72], v[17:24], v[33:40], v[65:72]
	s_waitcnt lgkmcnt(0)
	s_delay_alu instid0(VALU_DEP_1) | instskip(NEXT) | instid1(VALU_DEP_1)
	v_wmma_f32_16x16x16_bf16 v[65:72], v[49:56], v[25:32], v[65:72]
	v_and_b32_e32 v1, 0x7f800000, v65
	s_delay_alu instid0(VALU_DEP_1) | instskip(SKIP_1) | instid1(SALU_CYCLE_1)
	v_cmp_ne_u32_e32 vcc_lo, 0x7f800000, v1
                                        ; implicit-def: $vgpr1
	s_and_saveexec_b32 s4, vcc_lo
	s_xor_b32 s4, exec_lo, s4
; %bb.79:
	v_bfe_u32 v1, v65, 16, 1
	s_delay_alu instid0(VALU_DEP_1)
	v_add3_u32 v1, v65, v1, 0x7fff
; %bb.80:
	s_and_not1_saveexec_b32 s4, s4
; %bb.81:
	v_and_b32_e32 v1, 0xffff, v65
	v_or_b32_e32 v2, 0x10000, v65
	s_delay_alu instid0(VALU_DEP_2) | instskip(NEXT) | instid1(VALU_DEP_2)
	v_cmp_eq_u32_e32 vcc_lo, 0, v1
	v_cndmask_b32_e32 v1, v2, v65, vcc_lo
; %bb.82:
	s_or_b32 exec_lo, exec_lo, s4
	v_and_b32_e32 v2, 0x7f800000, v66
	s_delay_alu instid0(VALU_DEP_1) | instskip(SKIP_1) | instid1(SALU_CYCLE_1)
	v_cmp_ne_u32_e32 vcc_lo, 0x7f800000, v2
                                        ; implicit-def: $vgpr2
	s_and_saveexec_b32 s4, vcc_lo
	s_xor_b32 s4, exec_lo, s4
; %bb.83:
	v_bfe_u32 v2, v66, 16, 1
	s_delay_alu instid0(VALU_DEP_1)
	v_add3_u32 v2, v66, v2, 0x7fff
; %bb.84:
	s_and_not1_saveexec_b32 s4, s4
; %bb.85:
	v_and_b32_e32 v2, 0xffff, v66
	v_or_b32_e32 v3, 0x10000, v66
	s_delay_alu instid0(VALU_DEP_2) | instskip(NEXT) | instid1(VALU_DEP_2)
	v_cmp_eq_u32_e32 vcc_lo, 0, v2
	v_cndmask_b32_e32 v2, v3, v66, vcc_lo
; %bb.86:
	s_or_b32 exec_lo, exec_lo, s4
	v_and_b32_e32 v3, 0x7f800000, v67
	s_delay_alu instid0(VALU_DEP_1) | instskip(SKIP_1) | instid1(SALU_CYCLE_1)
	v_cmp_ne_u32_e32 vcc_lo, 0x7f800000, v3
                                        ; implicit-def: $vgpr3
	s_and_saveexec_b32 s4, vcc_lo
	s_xor_b32 s4, exec_lo, s4
; %bb.87:
	v_bfe_u32 v3, v67, 16, 1
	s_delay_alu instid0(VALU_DEP_1)
	v_add3_u32 v3, v67, v3, 0x7fff
; %bb.88:
	s_and_not1_saveexec_b32 s4, s4
; %bb.89:
	v_and_b32_e32 v3, 0xffff, v67
	v_or_b32_e32 v4, 0x10000, v67
	s_delay_alu instid0(VALU_DEP_2) | instskip(NEXT) | instid1(VALU_DEP_2)
	v_cmp_eq_u32_e32 vcc_lo, 0, v3
	v_cndmask_b32_e32 v3, v4, v67, vcc_lo
; %bb.90:
	s_or_b32 exec_lo, exec_lo, s4
	v_and_b32_e32 v4, 0x7f800000, v68
	s_delay_alu instid0(VALU_DEP_1) | instskip(SKIP_1) | instid1(SALU_CYCLE_1)
	v_cmp_ne_u32_e32 vcc_lo, 0x7f800000, v4
                                        ; implicit-def: $vgpr4
	s_and_saveexec_b32 s4, vcc_lo
	s_xor_b32 s4, exec_lo, s4
; %bb.91:
	v_bfe_u32 v4, v68, 16, 1
	s_delay_alu instid0(VALU_DEP_1)
	v_add3_u32 v4, v68, v4, 0x7fff
; %bb.92:
	s_and_not1_saveexec_b32 s4, s4
; %bb.93:
	v_and_b32_e32 v4, 0xffff, v68
	v_or_b32_e32 v5, 0x10000, v68
	s_delay_alu instid0(VALU_DEP_2) | instskip(NEXT) | instid1(VALU_DEP_2)
	v_cmp_eq_u32_e32 vcc_lo, 0, v4
	v_cndmask_b32_e32 v4, v5, v68, vcc_lo
; %bb.94:
	s_or_b32 exec_lo, exec_lo, s4
	v_and_b32_e32 v5, 0x7f800000, v69
	s_delay_alu instid0(VALU_DEP_1) | instskip(SKIP_1) | instid1(SALU_CYCLE_1)
	v_cmp_ne_u32_e32 vcc_lo, 0x7f800000, v5
                                        ; implicit-def: $vgpr5
	s_and_saveexec_b32 s4, vcc_lo
	s_xor_b32 s4, exec_lo, s4
; %bb.95:
	v_bfe_u32 v5, v69, 16, 1
	s_delay_alu instid0(VALU_DEP_1)
	v_add3_u32 v5, v69, v5, 0x7fff
; %bb.96:
	s_and_not1_saveexec_b32 s4, s4
; %bb.97:
	v_and_b32_e32 v5, 0xffff, v69
	v_or_b32_e32 v6, 0x10000, v69
	s_delay_alu instid0(VALU_DEP_2) | instskip(NEXT) | instid1(VALU_DEP_2)
	v_cmp_eq_u32_e32 vcc_lo, 0, v5
	v_cndmask_b32_e32 v5, v6, v69, vcc_lo
; %bb.98:
	s_or_b32 exec_lo, exec_lo, s4
	v_and_b32_e32 v6, 0x7f800000, v70
	s_delay_alu instid0(VALU_DEP_1) | instskip(SKIP_1) | instid1(SALU_CYCLE_1)
	v_cmp_ne_u32_e32 vcc_lo, 0x7f800000, v6
                                        ; implicit-def: $vgpr6
	s_and_saveexec_b32 s4, vcc_lo
	s_xor_b32 s4, exec_lo, s4
; %bb.99:
	v_bfe_u32 v6, v70, 16, 1
	s_delay_alu instid0(VALU_DEP_1)
	v_add3_u32 v6, v70, v6, 0x7fff
; %bb.100:
	s_and_not1_saveexec_b32 s4, s4
; %bb.101:
	v_and_b32_e32 v6, 0xffff, v70
	v_or_b32_e32 v7, 0x10000, v70
	s_delay_alu instid0(VALU_DEP_2) | instskip(NEXT) | instid1(VALU_DEP_2)
	v_cmp_eq_u32_e32 vcc_lo, 0, v6
	v_cndmask_b32_e32 v6, v7, v70, vcc_lo
; %bb.102:
	s_or_b32 exec_lo, exec_lo, s4
	v_and_b32_e32 v7, 0x7f800000, v71
	s_delay_alu instid0(VALU_DEP_1) | instskip(SKIP_1) | instid1(SALU_CYCLE_1)
	v_cmp_ne_u32_e32 vcc_lo, 0x7f800000, v7
                                        ; implicit-def: $vgpr7
	s_and_saveexec_b32 s4, vcc_lo
	s_xor_b32 s4, exec_lo, s4
; %bb.103:
	v_bfe_u32 v7, v71, 16, 1
	s_delay_alu instid0(VALU_DEP_1)
	v_add3_u32 v7, v71, v7, 0x7fff
; %bb.104:
	s_and_not1_saveexec_b32 s4, s4
; %bb.105:
	v_and_b32_e32 v7, 0xffff, v71
	v_or_b32_e32 v8, 0x10000, v71
	s_delay_alu instid0(VALU_DEP_2) | instskip(NEXT) | instid1(VALU_DEP_2)
	v_cmp_eq_u32_e32 vcc_lo, 0, v7
	v_cndmask_b32_e32 v7, v8, v71, vcc_lo
; %bb.106:
	s_or_b32 exec_lo, exec_lo, s4
	v_and_b32_e32 v8, 0x7f800000, v72
	s_delay_alu instid0(VALU_DEP_1) | instskip(SKIP_1) | instid1(SALU_CYCLE_1)
	v_cmp_ne_u32_e32 vcc_lo, 0x7f800000, v8
                                        ; implicit-def: $vgpr8
	s_and_saveexec_b32 s4, vcc_lo
	s_xor_b32 s4, exec_lo, s4
; %bb.107:
	v_bfe_u32 v8, v72, 16, 1
	s_delay_alu instid0(VALU_DEP_1)
	v_add3_u32 v8, v72, v8, 0x7fff
                                        ; implicit-def: $vgpr65_vgpr66_vgpr67_vgpr68_vgpr69_vgpr70_vgpr71_vgpr72
; %bb.108:
	s_and_not1_saveexec_b32 s4, s4
; %bb.109:
	v_and_b32_e32 v8, 0xffff, v72
	v_or_b32_e32 v9, 0x10000, v72
	s_delay_alu instid0(VALU_DEP_2) | instskip(NEXT) | instid1(VALU_DEP_2)
	v_cmp_eq_u32_e32 vcc_lo, 0, v8
	v_cndmask_b32_e32 v8, v9, v72, vcc_lo
; %bb.110:
	s_or_b32 exec_lo, exec_lo, s4
	s_delay_alu instid0(VALU_DEP_1)
	v_perm_b32 v7, v8, v7, 0x7060302
	v_perm_b32 v6, v6, v5, 0x7060302
	;; [unrolled: 1-line block ×4, first 2 shown]
	s_barrier
	buffer_gl0_inv
	v_cmp_eq_u32_e32 vcc_lo, 1, v78
	ds_store_b128 v76, v[4:7]
	s_waitcnt lgkmcnt(0)
	s_barrier
	buffer_gl0_inv
	ds_load_b128 v[1:4], v82
	ds_load_b128 v[5:8], v82 offset:16
	v_cmp_eq_u32_e64 s4, 1, v79
	v_cmp_eq_u32_e64 s5, 2, v78
	;; [unrolled: 1-line block ×5, first 2 shown]
	s_waitcnt lgkmcnt(1)
	v_lshrrev_b32_e32 v9, 16, v1
	s_waitcnt lgkmcnt(0)
	v_lshrrev_b32_e32 v13, 16, v5
	v_lshrrev_b32_e32 v10, 16, v2
	;; [unrolled: 1-line block ×4, first 2 shown]
	v_cndmask_b32_e64 v19, v1, v9, s4
	v_cndmask_b32_e32 v18, v5, v13, vcc_lo
	v_cndmask_b32_e64 v20, v5, v13, s4
	v_cndmask_b32_e32 v17, v1, v9, vcc_lo
	v_cmp_eq_u32_e32 vcc_lo, 2, v79
	v_lshrrev_b32_e32 v15, 16, v7
	v_cmp_eq_u32_e64 s4, 1, v77
	v_lshrrev_b32_e32 v12, 16, v4
	v_lshrrev_b32_e32 v16, 16, v8
	v_cndmask_b32_e32 v20, v20, v6, vcc_lo
	v_cndmask_b32_e64 v17, v17, v2, s5
	v_cndmask_b32_e32 v19, v19, v2, vcc_lo
	v_cndmask_b32_e64 v18, v18, v6, s5
	v_cmp_eq_u32_e32 vcc_lo, 4, v78
	v_cmp_eq_u32_e64 s5, 3, v79
	v_cndmask_b32_e64 v17, v17, v10, s6
	v_cndmask_b32_e64 v21, v1, v9, s4
	;; [unrolled: 1-line block ×5, first 2 shown]
	v_cndmask_b32_e32 v17, v17, v3, vcc_lo
	v_cndmask_b32_e64 v20, v20, v14, s5
	v_cndmask_b32_e32 v18, v18, v7, vcc_lo
	v_cmp_eq_u32_e32 vcc_lo, 4, v79
	v_cmp_eq_u32_e64 s5, 5, v79
	v_cmp_eq_u32_e64 s4, 2, v81
	v_cndmask_b32_e64 v21, v21, v2, s8
	v_cmp_eq_u32_e64 s6, 5, v78
	v_cndmask_b32_e32 v19, v19, v3, vcc_lo
	v_cndmask_b32_e32 v20, v20, v7, vcc_lo
	v_cmp_eq_u32_e32 vcc_lo, 6, v79
	s_delay_alu instid0(VALU_DEP_4) | instskip(NEXT) | instid1(VALU_DEP_4)
	v_cndmask_b32_e64 v17, v17, v11, s6
	v_cndmask_b32_e64 v19, v19, v11, s5
	s_delay_alu instid0(VALU_DEP_4) | instskip(SKIP_1) | instid1(VALU_DEP_3)
	v_cndmask_b32_e64 v20, v20, v15, s5
	v_cmp_eq_u32_e64 s5, 1, v81
	v_cndmask_b32_e32 v19, v19, v4, vcc_lo
	v_cndmask_b32_e64 v18, v18, v15, s6
	s_delay_alu instid0(VALU_DEP_3)
	v_cndmask_b32_e64 v1, v1, v9, s5
	v_cndmask_b32_e64 v5, v5, v13, s5
	v_cmp_eq_u32_e64 s5, 3, v77
	v_cndmask_b32_e64 v13, v22, v6, s8
	v_cmp_eq_u32_e64 s8, 3, v81
	v_cndmask_b32_e64 v1, v1, v2, s4
	v_cndmask_b32_e64 v2, v5, v6, s4
	v_cndmask_b32_e64 v9, v21, v10, s5
	v_cmp_eq_u32_e64 s4, 4, v77
	v_cndmask_b32_e64 v6, v13, v14, s5
	v_cndmask_b32_e64 v1, v1, v10, s8
	v_cmp_eq_u32_e64 s5, 4, v81
	v_cndmask_b32_e64 v2, v2, v14, s8
	v_cndmask_b32_e64 v5, v9, v3, s4
	;; [unrolled: 3-line block ×3, first 2 shown]
	v_cndmask_b32_e64 v2, v2, v7, s5
	v_cmp_eq_u32_e64 s4, 5, v81
	v_cmp_eq_u32_e64 s6, 6, v78
	v_cndmask_b32_e64 v5, v5, v11, s8
	v_cmp_eq_u32_e64 s5, 6, v77
	v_cndmask_b32_e64 v3, v6, v15, s8
	v_cndmask_b32_e64 v1, v1, v11, s4
	v_cmp_eq_u32_e64 s8, 6, v81
	v_cndmask_b32_e64 v2, v2, v15, s4
	v_cndmask_b32_e64 v17, v17, v4, s6
	v_cndmask_b32_e64 v18, v18, v8, s6
	v_cmp_eq_u32_e64 s6, 7, v78
	v_cndmask_b32_e64 v5, v5, v4, s5
	;; [unrolled: 4-line block ×3, first 2 shown]
	v_cmp_eq_u32_e64 s5, 7, v77
	v_cndmask_b32_e32 v4, v20, v8, vcc_lo
	v_cndmask_b32_e64 v17, v17, v12, s6
	v_cndmask_b32_e64 v19, v19, v12, s7
	v_cndmask_b32_e64 v1, v1, v12, s4
	v_cndmask_b32_e64 v5, v5, v12, s5
	v_cndmask_b32_e64 v2, v2, v16, s4
	v_cndmask_b32_e64 v3, v3, v16, s5
	v_cndmask_b32_e64 v6, v4, v16, s7
	v_cndmask_b32_e64 v7, v18, v16, s6
	v_cmp_gt_u32_e32 vcc_lo, 32, v0
	v_perm_b32 v4, v2, v1, 0x5040100
	v_perm_b32 v3, v3, v5, 0x5040100
	;; [unrolled: 1-line block ×4, first 2 shown]
	s_and_b32 s2, vcc_lo, s2
	ds_store_b128 v76, v[1:4]
	s_waitcnt lgkmcnt(0)
	s_barrier
	buffer_gl0_inv
	s_and_saveexec_b32 s4, s2
	s_cbranch_execz .LBB1496_2
; %bb.111:
	s_load_b64 s[4:5], s[0:1], 0x68
	v_lshlrev_b32_e32 v0, 10, v0
	v_lshlrev_b32_e32 v1, 4, v75
	s_lshl_b32 s0, s36, 6
	v_add_nc_u32_e32 v7, s31, v74
	s_mul_i32 s1, s0, s34
	s_delay_alu instid0(SALU_CYCLE_1) | instskip(SKIP_1) | instid1(VALU_DEP_2)
	s_mul_i32 s6, s1, s9
	v_and_or_b32 v0, 0x3800, v0, v1
	v_mul_lo_u32 v1, v7, s0
	v_add_nc_u32_e32 v2, 2, v7
	s_ashr_i32 s7, s6, 31
	v_add_nc_u32_e32 v4, 4, v7
	s_lshl_b64 s[6:7], s[6:7], 1
	v_add_nc_u32_e32 v8, 6, v7
	v_mul_lo_u32 v3, v2, s0
	v_lshl_or_b32 v19, v74, 6, v0
	v_ashrrev_i32_e32 v2, 31, v1
	v_mul_lo_u32 v11, v4, s0
	v_mul_lo_u32 v25, v8, s0
	s_waitcnt lgkmcnt(0)
	s_add_u32 s1, s4, s6
	s_addc_u32 s2, s5, s7
	s_lshl_b32 s4, s14, 6
	v_lshlrev_b64 v[5:6], 1, v[1:2]
	s_ashr_i32 s5, s4, 31
	v_ashrrev_i32_e32 v4, 31, v3
	s_lshl_b64 s[4:5], s[4:5], 1
	v_ashrrev_i32_e32 v12, 31, v11
	s_add_u32 s1, s1, s4
	s_addc_u32 s2, s2, s5
	v_add_co_u32 v1, s1, s1, v73
	s_delay_alu instid0(VALU_DEP_1) | instskip(SKIP_1) | instid1(VALU_DEP_3)
	v_add_co_ci_u32_e64 v2, null, s2, 0, s1
	v_lshlrev_b64 v[3:4], 1, v[3:4]
	v_add_co_u32 v23, vcc_lo, v1, v5
	v_add_nc_u32_e32 v5, 8, v7
	s_delay_alu instid0(VALU_DEP_4) | instskip(NEXT) | instid1(VALU_DEP_4)
	v_add_co_ci_u32_e32 v24, vcc_lo, v2, v6, vcc_lo
	v_add_co_u32 v27, vcc_lo, v1, v3
	s_delay_alu instid0(VALU_DEP_3)
	v_mul_lo_u32 v29, v5, s0
	v_add_co_ci_u32_e32 v28, vcc_lo, v2, v4, vcc_lo
	ds_load_b128 v[3:6], v19
	ds_load_b128 v[7:10], v19 offset:128
	v_lshlrev_b64 v[31:32], 1, v[11:12]
	ds_load_b128 v[11:14], v19 offset:256
	ds_load_b128 v[15:18], v19 offset:384
	;; [unrolled: 1-line block ×3, first 2 shown]
	v_ashrrev_i32_e32 v26, 31, v25
	v_ashrrev_i32_e32 v30, 31, v29
	v_add_co_u32 v31, vcc_lo, v1, v31
	s_delay_alu instid0(VALU_DEP_3) | instskip(NEXT) | instid1(VALU_DEP_3)
	v_lshlrev_b64 v[25:26], 1, v[25:26]
	v_lshlrev_b64 v[29:30], 1, v[29:30]
	v_add_co_ci_u32_e32 v32, vcc_lo, v2, v32, vcc_lo
	s_delay_alu instid0(VALU_DEP_3) | instskip(NEXT) | instid1(VALU_DEP_4)
	v_add_co_u32 v25, vcc_lo, v1, v25
	v_add_co_ci_u32_e32 v26, vcc_lo, v2, v26, vcc_lo
	s_delay_alu instid0(VALU_DEP_4)
	v_add_co_u32 v29, vcc_lo, v1, v29
	v_add_co_ci_u32_e32 v30, vcc_lo, v2, v30, vcc_lo
	s_waitcnt lgkmcnt(4)
	global_store_b128 v[23:24], v[3:6], off
	s_waitcnt lgkmcnt(3)
	global_store_b128 v[27:28], v[7:10], off
	;; [unrolled: 2-line block ×5, first 2 shown]
	s_and_b32 exec_lo, exec_lo, s3
	s_cbranch_execz .LBB1496_2
; %bb.112:
	ds_load_b128 v[3:6], v0 offset:640
	s_add_i32 s1, s31, 10
	s_delay_alu instid0(SALU_CYCLE_1) | instskip(NEXT) | instid1(SALU_CYCLE_1)
	s_mul_i32 s0, s1, s0
	s_ashr_i32 s1, s0, 31
	s_delay_alu instid0(SALU_CYCLE_1) | instskip(NEXT) | instid1(SALU_CYCLE_1)
	s_lshl_b64 s[0:1], s[0:1], 1
	v_add_co_u32 v0, vcc_lo, v1, s0
	v_add_co_ci_u32_e32 v1, vcc_lo, s1, v2, vcc_lo
	s_waitcnt lgkmcnt(0)
	global_store_b128 v[0:1], v[3:6], off
	s_nop 0
	s_sendmsg sendmsg(MSG_DEALLOC_VGPRS)
	s_endpgm
	.section	.rodata,"a",@progbits
	.p2align	6, 0x0
	.amdhsa_kernel _Z39paged_attention_ll4mi_QKV_mfma16_kernelI14__hip_bfloat16hLN4vllm18Fp8KVCacheDataTypeE1ES0_Li32ELi64ELi256ELb0ELi11EL8MFMAType1EEvPKT_PKT0_S9_ifPKiSB_SB_iPKfiiiPfSE_PS4_PT2_iSD_SD_
		.amdhsa_group_segment_fixed_size 17472
		.amdhsa_private_segment_fixed_size 0
		.amdhsa_kernarg_size 400
		.amdhsa_user_sgpr_count 13
		.amdhsa_user_sgpr_dispatch_ptr 0
		.amdhsa_user_sgpr_queue_ptr 0
		.amdhsa_user_sgpr_kernarg_segment_ptr 1
		.amdhsa_user_sgpr_dispatch_id 0
		.amdhsa_user_sgpr_private_segment_size 0
		.amdhsa_wavefront_size32 1
		.amdhsa_uses_dynamic_stack 0
		.amdhsa_enable_private_segment 0
		.amdhsa_system_sgpr_workgroup_id_x 1
		.amdhsa_system_sgpr_workgroup_id_y 1
		.amdhsa_system_sgpr_workgroup_id_z 1
		.amdhsa_system_sgpr_workgroup_info 0
		.amdhsa_system_vgpr_workitem_id 0
		.amdhsa_next_free_vgpr 124
		.amdhsa_next_free_sgpr 42
		.amdhsa_reserve_vcc 1
		.amdhsa_float_round_mode_32 0
		.amdhsa_float_round_mode_16_64 0
		.amdhsa_float_denorm_mode_32 3
		.amdhsa_float_denorm_mode_16_64 3
		.amdhsa_dx10_clamp 1
		.amdhsa_ieee_mode 1
		.amdhsa_fp16_overflow 0
		.amdhsa_workgroup_processor_mode 1
		.amdhsa_memory_ordered 1
		.amdhsa_forward_progress 0
		.amdhsa_shared_vgpr_count 0
		.amdhsa_exception_fp_ieee_invalid_op 0
		.amdhsa_exception_fp_denorm_src 0
		.amdhsa_exception_fp_ieee_div_zero 0
		.amdhsa_exception_fp_ieee_overflow 0
		.amdhsa_exception_fp_ieee_underflow 0
		.amdhsa_exception_fp_ieee_inexact 0
		.amdhsa_exception_int_div_zero 0
	.end_amdhsa_kernel
	.section	.text._Z39paged_attention_ll4mi_QKV_mfma16_kernelI14__hip_bfloat16hLN4vllm18Fp8KVCacheDataTypeE1ES0_Li32ELi64ELi256ELb0ELi11EL8MFMAType1EEvPKT_PKT0_S9_ifPKiSB_SB_iPKfiiiPfSE_PS4_PT2_iSD_SD_,"axG",@progbits,_Z39paged_attention_ll4mi_QKV_mfma16_kernelI14__hip_bfloat16hLN4vllm18Fp8KVCacheDataTypeE1ES0_Li32ELi64ELi256ELb0ELi11EL8MFMAType1EEvPKT_PKT0_S9_ifPKiSB_SB_iPKfiiiPfSE_PS4_PT2_iSD_SD_,comdat
.Lfunc_end1496:
	.size	_Z39paged_attention_ll4mi_QKV_mfma16_kernelI14__hip_bfloat16hLN4vllm18Fp8KVCacheDataTypeE1ES0_Li32ELi64ELi256ELb0ELi11EL8MFMAType1EEvPKT_PKT0_S9_ifPKiSB_SB_iPKfiiiPfSE_PS4_PT2_iSD_SD_, .Lfunc_end1496-_Z39paged_attention_ll4mi_QKV_mfma16_kernelI14__hip_bfloat16hLN4vllm18Fp8KVCacheDataTypeE1ES0_Li32ELi64ELi256ELb0ELi11EL8MFMAType1EEvPKT_PKT0_S9_ifPKiSB_SB_iPKfiiiPfSE_PS4_PT2_iSD_SD_
                                        ; -- End function
	.section	.AMDGPU.csdata,"",@progbits
; Kernel info:
; codeLenInByte = 8920
; NumSgprs: 44
; NumVgprs: 124
; ScratchSize: 0
; MemoryBound: 0
; FloatMode: 240
; IeeeMode: 1
; LDSByteSize: 17472 bytes/workgroup (compile time only)
; SGPRBlocks: 5
; VGPRBlocks: 15
; NumSGPRsForWavesPerEU: 44
; NumVGPRsForWavesPerEU: 124
; Occupancy: 10
; WaveLimiterHint : 1
; COMPUTE_PGM_RSRC2:SCRATCH_EN: 0
; COMPUTE_PGM_RSRC2:USER_SGPR: 13
; COMPUTE_PGM_RSRC2:TRAP_HANDLER: 0
; COMPUTE_PGM_RSRC2:TGID_X_EN: 1
; COMPUTE_PGM_RSRC2:TGID_Y_EN: 1
; COMPUTE_PGM_RSRC2:TGID_Z_EN: 1
; COMPUTE_PGM_RSRC2:TIDIG_COMP_CNT: 0
	.section	.text._Z39paged_attention_ll4mi_QKV_mfma16_kernelI14__hip_bfloat16hLN4vllm18Fp8KVCacheDataTypeE1ES0_Li32ELi64ELi256ELb0ELi12EL8MFMAType1EEvPKT_PKT0_S9_ifPKiSB_SB_iPKfiiiPfSE_PS4_PT2_iSD_SD_,"axG",@progbits,_Z39paged_attention_ll4mi_QKV_mfma16_kernelI14__hip_bfloat16hLN4vllm18Fp8KVCacheDataTypeE1ES0_Li32ELi64ELi256ELb0ELi12EL8MFMAType1EEvPKT_PKT0_S9_ifPKiSB_SB_iPKfiiiPfSE_PS4_PT2_iSD_SD_,comdat
	.protected	_Z39paged_attention_ll4mi_QKV_mfma16_kernelI14__hip_bfloat16hLN4vllm18Fp8KVCacheDataTypeE1ES0_Li32ELi64ELi256ELb0ELi12EL8MFMAType1EEvPKT_PKT0_S9_ifPKiSB_SB_iPKfiiiPfSE_PS4_PT2_iSD_SD_ ; -- Begin function _Z39paged_attention_ll4mi_QKV_mfma16_kernelI14__hip_bfloat16hLN4vllm18Fp8KVCacheDataTypeE1ES0_Li32ELi64ELi256ELb0ELi12EL8MFMAType1EEvPKT_PKT0_S9_ifPKiSB_SB_iPKfiiiPfSE_PS4_PT2_iSD_SD_
	.globl	_Z39paged_attention_ll4mi_QKV_mfma16_kernelI14__hip_bfloat16hLN4vllm18Fp8KVCacheDataTypeE1ES0_Li32ELi64ELi256ELb0ELi12EL8MFMAType1EEvPKT_PKT0_S9_ifPKiSB_SB_iPKfiiiPfSE_PS4_PT2_iSD_SD_
	.p2align	8
	.type	_Z39paged_attention_ll4mi_QKV_mfma16_kernelI14__hip_bfloat16hLN4vllm18Fp8KVCacheDataTypeE1ES0_Li32ELi64ELi256ELb0ELi12EL8MFMAType1EEvPKT_PKT0_S9_ifPKiSB_SB_iPKfiiiPfSE_PS4_PT2_iSD_SD_,@function
_Z39paged_attention_ll4mi_QKV_mfma16_kernelI14__hip_bfloat16hLN4vllm18Fp8KVCacheDataTypeE1ES0_Li32ELi64ELi256ELb0ELi12EL8MFMAType1EEvPKT_PKT0_S9_ifPKiSB_SB_iPKfiiiPfSE_PS4_PT2_iSD_SD_: ; @_Z39paged_attention_ll4mi_QKV_mfma16_kernelI14__hip_bfloat16hLN4vllm18Fp8KVCacheDataTypeE1ES0_Li32ELi64ELi256ELb0ELi12EL8MFMAType1EEvPKT_PKT0_S9_ifPKiSB_SB_iPKfiiiPfSE_PS4_PT2_iSD_SD_
; %bb.0:
	s_load_b64 s[2:3], s[0:1], 0x30
	s_mov_b32 s30, s13
	s_waitcnt lgkmcnt(0)
	s_cmp_lg_u64 s[2:3], 0
	s_cselect_b32 s8, -1, 0
	s_ashr_i32 s31, s13, 31
	s_cmp_eq_u64 s[2:3], 0
	s_cbranch_scc1 .LBB1497_3
; %bb.1:
	s_lshl_b64 s[4:5], s[30:31], 2
	s_delay_alu instid0(SALU_CYCLE_1) | instskip(SKIP_4) | instid1(SALU_CYCLE_1)
	s_add_u32 s4, s2, s4
	s_addc_u32 s5, s3, s5
	s_load_b64 s[4:5], s[4:5], 0x0
	s_waitcnt lgkmcnt(0)
	s_sub_i32 s4, s5, s4
	s_cmp_eq_u32 s4, 1
	s_cselect_b32 s4, -1, 0
	s_delay_alu instid0(SALU_CYCLE_1)
	s_and_not1_b32 vcc_lo, exec_lo, s4
	s_cbranch_vccz .LBB1497_4
.LBB1497_2:
	s_endpgm
.LBB1497_3:
.LBB1497_4:
	s_load_b64 s[4:5], s[0:1], 0x28
	s_lshl_b64 s[6:7], s[30:31], 2
	s_waitcnt lgkmcnt(0)
	s_add_u32 s4, s4, s6
	s_addc_u32 s5, s5, s7
	s_lshl_b32 s12, s14, 8
	s_load_b32 s24, s[4:5], 0x0
	s_waitcnt lgkmcnt(0)
	s_cmp_ge_i32 s12, s24
	s_cbranch_scc1 .LBB1497_2
; %bb.5:
	s_clause 0x1
	s_load_b128 s[20:23], s[0:1], 0x8
	s_load_b64 s[4:5], s[0:1], 0x20
	s_and_not1_b32 vcc_lo, exec_lo, s8
	s_cbranch_vccnz .LBB1497_7
; %bb.6:
	s_add_u32 s2, s2, s6
	s_addc_u32 s3, s3, s7
	s_load_b32 s3, s[2:3], 0x0
	s_branch .LBB1497_8
.LBB1497_7:
	s_mov_b32 s3, s30
.LBB1497_8:
	s_load_b128 s[16:19], s[0:1], 0x48
	v_and_b32_e32 v65, 15, v0
	v_cmp_gt_u32_e32 vcc_lo, 0xc0, v0
	v_lshrrev_b32_e32 v66, 5, v0
	v_and_b32_e32 v67, 31, v0
	v_and_b32_e32 v75, 1, v0
	v_lshlrev_b32_e32 v1, 3, v65
	v_cmp_gt_u32_e64 s2, 8, v65
	v_bfe_u32 v74, v0, 4, 1
	s_mul_i32 s31, s15, 12
	s_delay_alu instid0(VALU_DEP_3) | instskip(NEXT) | instid1(VALU_DEP_3)
	v_lshlrev_b32_e32 v73, 1, v1
	s_and_b32 s7, vcc_lo, s2
	s_delay_alu instid0(SALU_CYCLE_1)
	s_and_saveexec_b32 s6, s7
	s_cbranch_execz .LBB1497_10
; %bb.9:
	s_load_b64 s[8:9], s[0:1], 0x0
	v_lshl_or_b32 v5, v66, 1, v74
	s_waitcnt lgkmcnt(0)
	s_mul_hi_i32 s11, s3, s16
	s_mul_i32 s10, s3, s16
	v_lshlrev_b32_e32 v6, 10, v65
	s_lshl_b64 s[10:11], s[10:11], 1
	v_add_lshl_u32 v1, v5, s31, 6
	v_lshlrev_b32_e32 v5, 6, v5
	v_lshlrev_b32_e32 v7, 10, v75
	v_and_b32_e32 v6, 0x3800, v6
	s_delay_alu instid0(VALU_DEP_4) | instskip(NEXT) | instid1(VALU_DEP_2)
	v_ashrrev_i32_e32 v2, 31, v1
	v_or3_b32 v5, v6, v7, v5
	s_delay_alu instid0(VALU_DEP_2) | instskip(SKIP_2) | instid1(VALU_DEP_1)
	v_lshlrev_b64 v[1:2], 1, v[1:2]
	s_add_u32 s3, s8, s10
	s_addc_u32 s7, s9, s11
	v_add_co_u32 v1, vcc_lo, s3, v1
	s_delay_alu instid0(VALU_DEP_2) | instskip(NEXT) | instid1(VALU_DEP_2)
	v_add_co_ci_u32_e32 v2, vcc_lo, s7, v2, vcc_lo
	v_add_co_u32 v1, vcc_lo, v1, v73
	s_delay_alu instid0(VALU_DEP_2)
	v_add_co_ci_u32_e32 v2, vcc_lo, 0, v2, vcc_lo
	global_load_b128 v[1:4], v[1:2], off
	s_waitcnt vmcnt(0)
	ds_store_b128 v5, v[1:4]
.LBB1497_10:
	s_or_b32 exec_lo, exec_lo, s6
	v_and_b32_e32 v1, 0xef, v0
	s_waitcnt lgkmcnt(0)
	s_add_i32 s3, s24, 31
	s_clause 0x1
	s_load_b32 s6, s[0:1], 0x38
	s_load_b32 s19, s[0:1], 0x1c
	s_ashr_i32 s7, s3, 31
	v_add_nc_u32_e32 v1, s12, v1
	s_lshr_b32 s7, s7, 27
	s_waitcnt lgkmcnt(0)
	s_add_i32 s3, s3, s7
	s_barrier
	v_ashrrev_i32_e32 v2, 31, v1
	v_or_b32_e32 v3, 16, v1
	s_ashr_i32 s3, s3, 5
	v_cmp_gt_i32_e32 vcc_lo, s24, v1
	s_add_i32 s3, s3, -1
	v_lshrrev_b32_e32 v2, 27, v2
	buffer_gl0_inv
	s_mul_i32 s27, s15, s18
	v_add_nc_u32_e32 v4, v1, v2
	s_mul_i32 s6, s30, s6
	s_delay_alu instid0(SALU_CYCLE_1) | instskip(NEXT) | instid1(VALU_DEP_1)
	s_ashr_i32 s7, s6, 31
	v_ashrrev_i32_e32 v4, 5, v4
	v_add_nc_u32_e32 v2, v3, v2
	s_lshl_b64 s[6:7], s[6:7], 2
	s_delay_alu instid0(SALU_CYCLE_1) | instskip(NEXT) | instid1(VALU_DEP_2)
	s_add_u32 s26, s4, s6
	v_cndmask_b32_e32 v1, s3, v4, vcc_lo
	s_delay_alu instid0(VALU_DEP_2)
	v_ashrrev_i32_e32 v2, 5, v2
	v_cmp_gt_i32_e32 vcc_lo, s24, v3
	s_addc_u32 s25, s5, s7
	s_ashr_i32 s28, s27, 31
	s_add_u32 s4, s20, s27
	s_addc_u32 s5, s21, s28
	v_cndmask_b32_e32 v3, s3, v2, vcc_lo
	v_ashrrev_i32_e32 v2, 31, v1
	s_lshl_b32 s6, s14, 3
	s_delay_alu instid0(SALU_CYCLE_1) | instskip(NEXT) | instid1(VALU_DEP_2)
	s_ashr_i32 s7, s6, 31
	v_ashrrev_i32_e32 v4, 31, v3
	s_delay_alu instid0(VALU_DEP_2) | instskip(SKIP_1) | instid1(SALU_CYCLE_1)
	v_lshlrev_b64 v[1:2], 2, v[1:2]
	s_lshl_b64 s[6:7], s[6:7], 2
	s_add_u32 s6, s26, s6
	s_delay_alu instid0(VALU_DEP_2) | instskip(SKIP_1) | instid1(VALU_DEP_2)
	v_lshlrev_b64 v[3:4], 2, v[3:4]
	s_addc_u32 s7, s25, s7
	v_add_co_u32 v1, vcc_lo, s26, v1
	v_add_co_ci_u32_e32 v2, vcc_lo, s25, v2, vcc_lo
	s_delay_alu instid0(VALU_DEP_3) | instskip(NEXT) | instid1(VALU_DEP_4)
	v_add_co_u32 v3, vcc_lo, s26, v3
	v_add_co_ci_u32_e32 v4, vcc_lo, s25, v4, vcc_lo
	s_clause 0x1
	global_load_b32 v5, v[1:2], off
	global_load_b32 v6, v[3:4], off
	s_or_b32 s8, s12, 32
	s_delay_alu instid0(SALU_CYCLE_1) | instskip(SKIP_2) | instid1(SALU_CYCLE_1)
	s_ashr_i32 s9, s8, 5
	s_cmp_lt_i32 s8, s24
	s_cselect_b32 s8, s9, s3
	s_ashr_i32 s9, s8, 31
	s_delay_alu instid0(SALU_CYCLE_1) | instskip(NEXT) | instid1(SALU_CYCLE_1)
	s_lshl_b64 s[8:9], s[8:9], 2
	s_add_u32 s8, s26, s8
	s_addc_u32 s9, s25, s9
	s_or_b32 s10, s12, 64
	s_delay_alu instid0(SALU_CYCLE_1) | instskip(SKIP_2) | instid1(SALU_CYCLE_1)
	s_ashr_i32 s11, s10, 5
	s_cmp_lt_i32 s10, s24
	s_cselect_b32 s10, s11, s3
	s_ashr_i32 s11, s10, 31
	s_delay_alu instid0(SALU_CYCLE_1) | instskip(NEXT) | instid1(SALU_CYCLE_1)
	s_lshl_b64 s[10:11], s[10:11], 2
	s_add_u32 s10, s26, s10
	s_addc_u32 s11, s25, s11
	;; [unrolled: 10-line block ×5, first 2 shown]
	s_clause 0x5
	s_load_b32 s21, s[6:7], 0x0
	s_load_b32 s13, s[8:9], 0x0
	;; [unrolled: 1-line block ×6, first 2 shown]
	s_or_b32 s8, s12, 0xc0
	s_delay_alu instid0(SALU_CYCLE_1) | instskip(SKIP_2) | instid1(SALU_CYCLE_1)
	s_ashr_i32 s9, s8, 5
	s_cmp_lt_i32 s8, s24
	s_cselect_b32 s34, s9, s3
	s_ashr_i32 s35, s34, 31
	s_delay_alu instid0(SALU_CYCLE_1) | instskip(NEXT) | instid1(SALU_CYCLE_1)
	s_lshl_b64 s[34:35], s[34:35], 2
	s_add_u32 s34, s26, s34
	s_addc_u32 s35, s25, s35
	s_or_b32 s29, s12, 0xe0
	s_delay_alu instid0(SALU_CYCLE_1)
	s_ashr_i32 s33, s29, 5
	s_cmp_lt_i32 s29, s24
	s_waitcnt vmcnt(1)
	v_mad_i64_i32 v[1:2], null, v5, s17, s[4:5]
	s_waitcnt vmcnt(0)
	v_mad_i64_i32 v[3:4], null, v6, s17, s[4:5]
	s_mov_b32 s4, 0
	s_delay_alu instid0(SALU_CYCLE_1)
	s_mov_b32 s5, s4
	s_mov_b32 s6, s4
	;; [unrolled: 1-line block ×7, first 2 shown]
	v_lshlrev_b32_e32 v5, 4, v65
	v_dual_mov_b32 v107, s11 :: v_dual_mov_b32 v102, s6
	v_mov_b32_e32 v100, s4
	v_mov_b32_e32 v106, s10
	s_delay_alu instid0(VALU_DEP_4)
	v_add_co_u32 v1, vcc_lo, v1, v5
	v_add_co_ci_u32_e32 v2, vcc_lo, 0, v2, vcc_lo
	v_add_co_u32 v3, vcc_lo, v3, v5
	v_add_co_ci_u32_e32 v4, vcc_lo, 0, v4, vcc_lo
	s_clause 0x7
	global_load_b128 v[49:52], v[1:2], off
	global_load_b128 v[53:56], v[1:2], off offset:512
	global_load_b128 v[76:79], v[3:4], off offset:256
	;; [unrolled: 1-line block ×7, first 2 shown]
	v_add_nc_u32_e32 v1, -12, v65
	v_cmp_gt_u32_e32 vcc_lo, 12, v65
	v_dual_mov_b32 v104, s8 :: v_dual_mov_b32 v103, s7
	v_dual_mov_b32 v101, s5 :: v_dual_lshlrev_b32 v2, 5, v65
	s_delay_alu instid0(VALU_DEP_4)
	v_cndmask_b32_e32 v1, v1, v65, vcc_lo
	v_mov_b32_e32 v105, s9
	s_cselect_b32 s4, s33, s3
	s_load_b32 s3, s[34:35], 0x0
	s_ashr_i32 s5, s4, 31
	v_lshlrev_b32_e32 v70, 6, v1
	s_lshl_b64 s[4:5], s[4:5], 2
	v_lshl_or_b32 v2, v66, 9, v2
	s_add_u32 s4, s26, s4
	s_addc_u32 s5, s25, s5
	ds_load_b128 v[108:111], v70
	ds_load_b128 v[112:115], v70 offset:1024
	s_load_b32 s4, s[4:5], 0x0
	s_add_u32 s6, s22, s27
	s_addc_u32 s7, s23, s28
	v_add_co_u32 v9, s6, s6, v2
	s_delay_alu instid0(VALU_DEP_1) | instskip(SKIP_1) | instid1(VALU_DEP_1)
	v_add_co_ci_u32_e64 v10, null, s7, 0, s6
	s_waitcnt lgkmcnt(0)
	v_mad_i64_i32 v[1:2], null, s21, s17, v[9:10]
	v_mad_i64_i32 v[3:4], null, s13, s17, v[9:10]
	;; [unrolled: 1-line block ×7, first 2 shown]
	s_clause 0x9
	global_load_b128 v[57:60], v[1:2], off
	global_load_b128 v[61:64], v[1:2], off offset:16
	global_load_b128 v[41:44], v[3:4], off
	global_load_b128 v[45:48], v[3:4], off offset:16
	;; [unrolled: 2-line block ×5, first 2 shown]
	v_mad_i64_i32 v[68:69], null, s4, s17, v[9:10]
	s_clause 0x3
	global_load_b128 v[9:12], v[13:14], off
	global_load_b128 v[13:16], v[13:14], off offset:16
	global_load_b128 v[17:20], v[21:22], off
	global_load_b128 v[21:24], v[21:22], off offset:16
	s_waitcnt vmcnt(20)
	v_wmma_f32_16x16x16_bf16 v[116:123], v[49:56], v[108:115], v[100:107]
	s_clause 0x1
	global_load_b128 v[49:52], v[68:69], off
	global_load_b128 v[53:56], v[68:69], off offset:16
	v_and_b32_e32 v68, 0xe0, v0
	v_mbcnt_lo_u32_b32 v69, -1, 0
	s_delay_alu instid0(VALU_DEP_2)
	v_add_nc_u32_e32 v68, s12, v68
	s_waitcnt vmcnt(20)
	v_wmma_f32_16x16x16_bf16 v[100:107], v[76:83], v[108:115], v[100:107]
	ds_load_b128 v[76:79], v70 offset:2048
	ds_load_b128 v[80:83], v70 offset:3072
	v_xor_b32_e32 v70, 16, v69
	s_waitcnt vmcnt(0) lgkmcnt(0)
	v_or_b32_e32 v68, v68, v74
	s_barrier
	buffer_gl0_inv
	v_cmp_gt_i32_e32 vcc_lo, 32, v70
	v_or_b32_e32 v71, 4, v68
	v_or_b32_e32 v72, 6, v68
	v_cmp_gt_i32_e64 s3, s24, v68
	v_or_b32_e32 v108, 8, v68
	v_or_b32_e32 v109, 10, v68
	v_cmp_gt_i32_e64 s4, s24, v71
	v_cmp_gt_i32_e64 s5, s24, v72
	s_delay_alu instid0(VALU_DEP_4) | instskip(NEXT) | instid1(VALU_DEP_4)
	v_cmp_gt_i32_e64 s6, s24, v108
	v_cmp_gt_i32_e64 s7, s24, v109
	v_wmma_f32_16x16x16_bf16 v[116:123], v[84:91], v[76:83], v[116:123]
	v_cndmask_b32_e32 v69, v69, v70, vcc_lo
	v_or_b32_e32 v70, 2, v68
	v_wmma_f32_16x16x16_bf16 v[100:107], v[92:99], v[76:83], v[100:107]
	v_or_b32_e32 v89, 22, v68
	v_dual_mul_f32 v80, s19, v121 :: v_dual_mul_f32 v81, s19, v120
	v_dual_mul_f32 v92, s19, v117 :: v_dual_mul_f32 v93, s19, v116
	s_delay_alu instid0(VALU_DEP_4)
	v_mul_f32_e32 v96, s19, v105
	v_cmp_gt_i32_e32 vcc_lo, s24, v70
	v_dual_mul_f32 v79, s19, v122 :: v_dual_mul_f32 v82, s19, v119
	v_dual_mul_f32 v83, s19, v118 :: v_dual_mul_f32 v94, s19, v107
	v_cndmask_b32_e64 v93, 0xff7fffff, v93, s3
	v_cndmask_b32_e32 v92, 0xff7fffff, v92, vcc_lo
	v_or_b32_e32 v84, 12, v68
	v_or_b32_e32 v85, 14, v68
	v_cndmask_b32_e64 v71, 0xff7fffff, v83, s4
	v_cndmask_b32_e64 v72, 0xff7fffff, v82, s5
	v_cmp_gt_i32_e64 s13, s24, v89
	v_lshlrev_b32_e32 v89, 2, v69
	v_max3_f32 v82, v93, 0xff7fffff, v92
	v_or_b32_e32 v86, 16, v68
	v_or_b32_e32 v87, 18, v68
	v_mul_f32_e32 v78, s19, v123
	v_cndmask_b32_e64 v81, 0xff7fffff, v81, s6
	v_cndmask_b32_e64 v80, 0xff7fffff, v80, s7
	v_max3_f32 v71, v82, v71, v72
	v_cmp_gt_i32_e64 s8, s24, v84
	v_cmp_gt_i32_e64 s9, s24, v85
	v_or_b32_e32 v88, 20, v68
	v_or_b32_e32 v90, 24, v68
	;; [unrolled: 1-line block ×5, first 2 shown]
	v_dual_mul_f32 v97, s19, v104 :: v_dual_mul_f32 v70, s19, v101
	v_dual_mul_f32 v99, s19, v102 :: v_dual_mul_f32 v68, s19, v100
	v_cndmask_b32_e64 v72, 0xff7fffff, v79, s8
	v_cndmask_b32_e64 v78, 0xff7fffff, v78, s9
	v_max3_f32 v71, v71, v81, v80
	v_cmp_gt_i32_e64 s10, s24, v86
	v_cmp_gt_i32_e64 s11, s24, v87
	v_dual_mul_f32 v95, s19, v106 :: v_dual_mul_f32 v98, s19, v103
	s_delay_alu instid0(VALU_DEP_4) | instskip(NEXT) | instid1(VALU_DEP_4)
	v_max3_f32 v71, v71, v72, v78
	v_cndmask_b32_e64 v68, 0xff7fffff, v68, s10
	s_delay_alu instid0(VALU_DEP_4)
	v_cndmask_b32_e64 v70, 0xff7fffff, v70, s11
	v_cmp_gt_i32_e64 s12, s24, v88
	v_cndmask_b32_e64 v78, 0xff7fffff, v98, s13
	v_cmp_gt_i32_e64 s15, s24, v90
	v_cmp_gt_i32_e64 s16, s24, v91
	v_max3_f32 v68, v71, v68, v70
	v_cndmask_b32_e64 v72, 0xff7fffff, v99, s12
	v_cmp_gt_i32_e64 s17, s24, v76
	v_cndmask_b32_e64 v70, 0xff7fffff, v97, s15
	v_cndmask_b32_e64 v71, 0xff7fffff, v96, s16
	v_cmp_gt_i32_e64 s18, s24, v77
	v_max3_f32 v68, v68, v72, v78
	v_cndmask_b32_e64 v72, 0xff7fffff, v95, s17
	s_delay_alu instid0(VALU_DEP_3) | instskip(NEXT) | instid1(VALU_DEP_3)
	v_cndmask_b32_e64 v76, 0xff7fffff, v94, s18
	v_max3_f32 v68, v68, v70, v71
	s_delay_alu instid0(VALU_DEP_1) | instskip(SKIP_3) | instid1(VALU_DEP_1)
	v_max3_f32 v68, v68, v72, v76
	ds_bpermute_b32 v69, v89, v68
	s_waitcnt lgkmcnt(0)
	v_max_f32_e32 v69, v69, v69
	v_max_f32_e32 v68, v68, v69
	s_delay_alu instid0(VALU_DEP_1) | instskip(NEXT) | instid1(VALU_DEP_1)
	v_fma_f32 v71, s19, v118, -v68
	v_mul_f32_e32 v71, 0x3fb8aa3b, v71
	v_fma_f32 v70, s19, v117, -v68
	v_fma_f32 v69, s19, v116, -v68
	;; [unrolled: 1-line block ×5, first 2 shown]
	s_delay_alu instid0(VALU_DEP_4) | instskip(SKIP_1) | instid1(VALU_DEP_3)
	v_dual_mul_f32 v70, 0x3fb8aa3b, v70 :: v_dual_mul_f32 v69, 0x3fb8aa3b, v69
	v_exp_f32_e32 v71, v71
	v_mul_f32_e32 v72, 0x3fb8aa3b, v72
	v_fma_f32 v81, s19, v105, -v68
	s_delay_alu instid0(VALU_DEP_3)
	v_exp_f32_e32 v70, v70
	v_mul_f32_e32 v77, 0x3fb8aa3b, v76
	v_exp_f32_e32 v69, v69
	v_exp_f32_e32 v72, v72
	v_mul_f32_e32 v81, 0x3fb8aa3b, v81
	v_cndmask_b32_e64 v83, 0, v71, s4
	v_fma_f32 v71, s19, v123, -v68
	s_delay_alu instid0(VALU_DEP_3) | instskip(SKIP_4) | instid1(TRANS32_DEP_3)
	v_exp_f32_e32 v81, v81
	v_cndmask_b32_e32 v76, 0, v70, vcc_lo
	v_exp_f32_e32 v77, v77
	v_cndmask_b32_e64 v80, 0, v69, s3
	v_fma_f32 v69, s19, v121, -v68
	v_cndmask_b32_e64 v85, 0, v72, s5
	v_mul_f32_e32 v71, 0x3fb8aa3b, v71
	v_fma_f32 v72, s19, v100, -v68
	s_delay_alu instid0(VALU_DEP_4) | instskip(SKIP_1) | instid1(VALU_DEP_3)
	v_dual_add_f32 v70, 0, v80 :: v_dual_mul_f32 v69, 0x3fb8aa3b, v69
	s_mov_b32 s3, exec_lo
	v_exp_f32_e32 v71, v71
	s_delay_alu instid0(TRANS32_DEP_2) | instskip(SKIP_4) | instid1(VALU_DEP_3)
	v_cndmask_b32_e64 v86, 0, v77, s6
	v_fma_f32 v77, s19, v101, -v68
	v_mul_f32_e32 v78, 0x3fb8aa3b, v78
	v_add_f32_e32 v70, v70, v76
	v_exp_f32_e32 v69, v69
	v_mul_f32_e32 v77, 0x3fb8aa3b, v77
	s_delay_alu instid0(VALU_DEP_3) | instskip(NEXT) | instid1(TRANS32_DEP_3)
	v_exp_f32_e32 v78, v78
	v_cndmask_b32_e64 v88, 0, v71, s9
	v_fma_f32 v71, s19, v104, -v68
	s_delay_alu instid0(VALU_DEP_3) | instskip(NEXT) | instid1(TRANS32_DEP_3)
	v_exp_f32_e32 v77, v77
	v_cndmask_b32_e64 v87, 0, v69, s7
	s_delay_alu instid0(VALU_DEP_2)
	v_mul_f32_e32 v71, 0x3fb8aa3b, v71
	s_waitcnt_depctr 0xfff
	v_cndmask_b32_e64 v84, 0, v78, s8
	v_add_f32_e32 v70, v70, v83
	v_fma_f32 v78, s19, v103, -v68
	v_exp_f32_e32 v82, v71
	s_delay_alu instid0(VALU_DEP_2) | instskip(SKIP_1) | instid1(VALU_DEP_3)
	v_add_f32_e32 v70, v70, v85
	v_mul_f32_e32 v72, 0x3fb8aa3b, v72
	v_mul_f32_e32 v78, 0x3fb8aa3b, v78
	s_delay_alu instid0(VALU_DEP_3) | instskip(SKIP_1) | instid1(VALU_DEP_4)
	v_add_f32_e32 v69, v70, v86
	v_fma_f32 v70, s19, v102, -v68
	v_exp_f32_e32 v72, v72
	s_delay_alu instid0(VALU_DEP_3) | instskip(NEXT) | instid1(VALU_DEP_1)
	v_exp_f32_e32 v78, v78
	v_dual_add_f32 v69, v69, v87 :: v_dual_mul_f32 v70, 0x3fb8aa3b, v70
	s_delay_alu instid0(VALU_DEP_1) | instskip(NEXT) | instid1(VALU_DEP_2)
	v_add_f32_e32 v69, v69, v84
	v_exp_f32_e32 v79, v70
	s_delay_alu instid0(TRANS32_DEP_3) | instskip(NEXT) | instid1(VALU_DEP_2)
	v_cndmask_b32_e64 v70, 0, v72, s10
	v_add_f32_e32 v72, v69, v88
	v_cndmask_b32_e64 v69, 0, v77, s11
	v_fma_f32 v77, s19, v106, -v68
	s_waitcnt_depctr 0xfff
	v_cndmask_b32_e64 v71, 0, v79, s12
	v_dual_mul_f32 v77, 0x3fb8aa3b, v77 :: v_dual_add_f32 v72, v72, v70
	s_delay_alu instid0(VALU_DEP_1) | instskip(NEXT) | instid1(VALU_DEP_1)
	v_exp_f32_e32 v90, v77
	v_add_f32_e32 v79, v72, v69
	v_cndmask_b32_e64 v72, 0, v78, s13
	v_cndmask_b32_e64 v77, 0, v82, s15
	s_delay_alu instid0(VALU_DEP_3) | instskip(SKIP_1) | instid1(VALU_DEP_1)
	v_add_f32_e32 v78, v79, v71
	v_fma_f32 v79, s19, v107, -v68
	v_dual_add_f32 v82, v78, v72 :: v_dual_mul_f32 v79, 0x3fb8aa3b, v79
	v_cndmask_b32_e64 v78, 0, v81, s16
	s_delay_alu instid0(VALU_DEP_2) | instskip(NEXT) | instid1(VALU_DEP_3)
	v_add_f32_e32 v81, v82, v77
	v_exp_f32_e32 v82, v79
	v_cndmask_b32_e64 v79, 0, v90, s17
	s_delay_alu instid0(VALU_DEP_2) | instskip(NEXT) | instid1(VALU_DEP_1)
	v_add_f32_e32 v81, v81, v78
	v_add_f32_e32 v90, v81, v79
	s_waitcnt_depctr 0xfff
	v_cndmask_b32_e64 v81, 0, v82, s18
	s_delay_alu instid0(VALU_DEP_1)
	v_add_f32_e32 v82, v90, v81
	ds_bpermute_b32 v89, v89, v82
	v_cmpx_gt_u32_e32 16, v67
	s_cbranch_execz .LBB1497_12
; %bb.11:
	v_mul_u32_u24_e32 v67, 0x44, v66
	s_delay_alu instid0(VALU_DEP_1) | instskip(SKIP_1) | instid1(VALU_DEP_1)
	v_lshl_add_u32 v67, v65, 2, v67
	s_waitcnt lgkmcnt(0)
	v_dual_add_f32 v82, v82, v89 :: v_dual_add_nc_u32 v67, 0x4000, v67
	ds_store_2addr_b32 v67, v68, v82 offset1:136
.LBB1497_12:
	s_or_b32 exec_lo, exec_lo, s3
	v_lshlrev_b32_e32 v67, 2, v65
	s_waitcnt lgkmcnt(0)
	s_barrier
	buffer_gl0_inv
	v_cmp_eq_u32_e32 vcc_lo, 1, v66
	v_add_nc_u32_e32 v82, 0x4000, v67
	v_cmp_eq_u32_e64 s3, 2, v66
	v_cmp_eq_u32_e64 s5, 7, v66
	ds_load_2addr_b32 v[89:90], v82 offset1:17
	ds_load_2addr_b32 v[91:92], v82 offset0:34 offset1:51
	ds_load_2addr_b32 v[93:94], v82 offset0:68 offset1:85
	;; [unrolled: 1-line block ×4, first 2 shown]
	s_waitcnt lgkmcnt(4)
	v_max3_f32 v67, v89, 0xff7fffff, v90
	s_waitcnt lgkmcnt(3)
	s_delay_alu instid0(VALU_DEP_1) | instskip(SKIP_1) | instid1(VALU_DEP_1)
	v_max3_f32 v67, v67, v91, v92
	s_waitcnt lgkmcnt(2)
	v_max3_f32 v67, v67, v93, v94
	s_waitcnt lgkmcnt(1)
	s_delay_alu instid0(VALU_DEP_1) | instskip(NEXT) | instid1(VALU_DEP_1)
	v_max3_f32 v67, v67, v95, v96
	v_sub_f32_e32 v93, v93, v67
	s_delay_alu instid0(VALU_DEP_1) | instskip(NEXT) | instid1(VALU_DEP_1)
	v_dual_sub_f32 v68, v89, v67 :: v_dual_mul_f32 v103, 0x3fb8aa3b, v93
	v_mul_f32_e32 v68, 0x3fb8aa3b, v68
	s_delay_alu instid0(VALU_DEP_1)
	v_exp_f32_e32 v100, v68
	v_sub_f32_e32 v68, v92, v67
	v_sub_f32_e32 v99, v90, v67
	ds_load_2addr_b32 v[89:90], v82 offset0:170 offset1:187
	v_dual_mul_f32 v102, 0x3fb8aa3b, v68 :: v_dual_mul_f32 v99, 0x3fb8aa3b, v99
	s_waitcnt lgkmcnt(1)
	v_fma_f32 v68, v100, v97, 0
	s_delay_alu instid0(VALU_DEP_2) | instskip(NEXT) | instid1(VALU_DEP_2)
	v_exp_f32_e32 v102, v102
	v_exp_f32_e32 v99, v99
	s_waitcnt_depctr 0xfff
	v_fmac_f32_e32 v68, v99, v98
	v_sub_f32_e32 v91, v91, v67
	s_delay_alu instid0(VALU_DEP_1)
	v_mul_f32_e32 v101, 0x3fb8aa3b, v91
	ds_load_2addr_b32 v[91:92], v82 offset0:204 offset1:221
	v_sub_f32_e32 v97, v94, v67
	ds_load_2addr_b32 v[93:94], v82 offset0:238 offset1:255
	s_waitcnt lgkmcnt(0)
	v_exp_f32_e32 v101, v101
	s_barrier
	buffer_gl0_inv
	v_dual_fmac_f32 v68, v101, v89 :: v_dual_sub_f32 v89, v96, v67
	v_dual_sub_f32 v82, v95, v67 :: v_dual_mul_f32 v95, 0x3fb8aa3b, v97
	v_exp_f32_e32 v97, v103
	s_delay_alu instid0(VALU_DEP_2) | instskip(NEXT) | instid1(VALU_DEP_2)
	v_dual_fmac_f32 v68, v102, v90 :: v_dual_mul_f32 v89, 0x3fb8aa3b, v89
	v_mul_f32_e32 v82, 0x3fb8aa3b, v82
	s_delay_alu instid0(VALU_DEP_3) | instskip(NEXT) | instid1(VALU_DEP_2)
	v_exp_f32_e32 v95, v95
	v_exp_f32_e32 v89, v89
	s_delay_alu instid0(VALU_DEP_1)
	v_exp_f32_e32 v82, v82
	v_fmac_f32_e32 v68, v97, v91
	s_delay_alu instid0(TRANS32_DEP_3) | instid1(VALU_DEP_1)
	v_fmac_f32_e32 v68, v95, v92
	s_waitcnt_depctr 0xfff
	v_fmac_f32_e32 v68, v82, v93
	s_delay_alu instid0(VALU_DEP_1) | instskip(NEXT) | instid1(VALU_DEP_1)
	v_fmac_f32_e32 v68, v89, v94
	v_add_f32_e32 v90, 0x358637bd, v68
	s_delay_alu instid0(VALU_DEP_1) | instskip(NEXT) | instid1(VALU_DEP_1)
	v_div_scale_f32 v91, null, v90, v90, 1.0
	v_rcp_f32_e32 v92, v91
	s_waitcnt_depctr 0xfff
	v_fma_f32 v93, -v91, v92, 1.0
	s_delay_alu instid0(VALU_DEP_1) | instskip(SKIP_1) | instid1(VALU_DEP_2)
	v_dual_fmac_f32 v92, v93, v92 :: v_dual_cndmask_b32 v93, v100, v99
	v_cmp_eq_u32_e32 vcc_lo, 3, v66
	v_cndmask_b32_e64 v93, v93, v101, s3
	v_cmp_eq_u32_e64 s3, 4, v66
	s_delay_alu instid0(VALU_DEP_2) | instskip(SKIP_1) | instid1(VALU_DEP_2)
	v_cndmask_b32_e32 v93, v93, v102, vcc_lo
	v_cmp_eq_u32_e32 vcc_lo, 5, v66
	v_cndmask_b32_e64 v93, v93, v97, s3
	v_cmp_eq_u32_e64 s3, 6, v66
	s_delay_alu instid0(VALU_DEP_2) | instskip(SKIP_1) | instid1(VALU_DEP_1)
	v_cndmask_b32_e32 v93, v93, v95, vcc_lo
	v_div_scale_f32 v94, s4, 1.0, v90, 1.0
	s_mov_b32 vcc_lo, s4
	s_delay_alu instid0(VALU_DEP_2) | instskip(NEXT) | instid1(VALU_DEP_2)
	v_cndmask_b32_e64 v82, v93, v82, s3
	v_mul_f32_e32 v96, v94, v92
	s_mov_b32 s3, exec_lo
	s_delay_alu instid0(VALU_DEP_2) | instskip(NEXT) | instid1(VALU_DEP_2)
	v_cndmask_b32_e64 v82, v82, v89, s5
	v_fma_f32 v98, -v91, v96, v94
	s_delay_alu instid0(VALU_DEP_1) | instskip(NEXT) | instid1(VALU_DEP_1)
	v_fmac_f32_e32 v96, v98, v92
	v_fma_f32 v91, -v91, v96, v94
	s_delay_alu instid0(VALU_DEP_1) | instskip(NEXT) | instid1(VALU_DEP_1)
	v_div_fmas_f32 v91, v91, v92, v96
	v_div_fixup_f32 v90, v91, v90, 1.0
	s_delay_alu instid0(VALU_DEP_1) | instskip(NEXT) | instid1(VALU_DEP_1)
	v_mul_f32_e32 v82, v82, v90
	v_mul_f32_e32 v87, v82, v87
	;; [unrolled: 1-line block ×7, first 2 shown]
	v_dual_mul_f32 v86, v82, v83 :: v_dual_and_b32 v91, 0x7f800000, v90
	v_mul_f32_e32 v85, v82, v76
                                        ; implicit-def: $vgpr76
	s_delay_alu instid0(VALU_DEP_2)
	v_cmpx_ne_u32_e32 0x7f800000, v91
	s_xor_b32 s3, exec_lo, s3
; %bb.13:
	v_bfe_u32 v76, v90, 16, 1
	s_delay_alu instid0(VALU_DEP_1)
	v_add3_u32 v76, v90, v76, 0x7fff
                                        ; implicit-def: $vgpr90
; %bb.14:
	s_and_not1_saveexec_b32 s3, s3
; %bb.15:
	v_and_b32_e32 v76, 0xffff, v90
	v_or_b32_e32 v83, 0x10000, v90
	s_delay_alu instid0(VALU_DEP_2) | instskip(NEXT) | instid1(VALU_DEP_2)
	v_cmp_eq_u32_e32 vcc_lo, 0, v76
	v_cndmask_b32_e32 v76, v83, v90, vcc_lo
; %bb.16:
	s_or_b32 exec_lo, exec_lo, s3
	v_and_b32_e32 v83, 0x7f800000, v85
	s_delay_alu instid0(VALU_DEP_1) | instskip(SKIP_1) | instid1(SALU_CYCLE_1)
	v_cmp_ne_u32_e32 vcc_lo, 0x7f800000, v83
                                        ; implicit-def: $vgpr83
	s_and_saveexec_b32 s3, vcc_lo
	s_xor_b32 s3, exec_lo, s3
; %bb.17:
	v_bfe_u32 v83, v85, 16, 1
	s_delay_alu instid0(VALU_DEP_1)
	v_add3_u32 v83, v85, v83, 0x7fff
                                        ; implicit-def: $vgpr85
; %bb.18:
	s_and_not1_saveexec_b32 s3, s3
; %bb.19:
	v_and_b32_e32 v83, 0xffff, v85
	v_or_b32_e32 v90, 0x10000, v85
	s_delay_alu instid0(VALU_DEP_2) | instskip(NEXT) | instid1(VALU_DEP_2)
	v_cmp_eq_u32_e32 vcc_lo, 0, v83
	v_cndmask_b32_e32 v83, v90, v85, vcc_lo
; %bb.20:
	s_or_b32 exec_lo, exec_lo, s3
	v_and_b32_e32 v85, 0x7f800000, v86
	s_delay_alu instid0(VALU_DEP_1) | instskip(SKIP_1) | instid1(SALU_CYCLE_1)
	v_cmp_ne_u32_e32 vcc_lo, 0x7f800000, v85
                                        ; implicit-def: $vgpr85
	s_and_saveexec_b32 s3, vcc_lo
	s_xor_b32 s3, exec_lo, s3
; %bb.21:
	v_bfe_u32 v85, v86, 16, 1
	s_delay_alu instid0(VALU_DEP_1)
	v_add3_u32 v85, v86, v85, 0x7fff
                                        ; implicit-def: $vgpr86
; %bb.22:
	s_and_not1_saveexec_b32 s3, s3
; %bb.23:
	v_and_b32_e32 v85, 0xffff, v86
	v_or_b32_e32 v90, 0x10000, v86
	s_delay_alu instid0(VALU_DEP_2) | instskip(NEXT) | instid1(VALU_DEP_2)
	v_cmp_eq_u32_e32 vcc_lo, 0, v85
	v_cndmask_b32_e32 v85, v90, v86, vcc_lo
; %bb.24:
	s_or_b32 exec_lo, exec_lo, s3
	v_and_b32_e32 v86, 0x7f800000, v89
	s_delay_alu instid0(VALU_DEP_1) | instskip(SKIP_1) | instid1(SALU_CYCLE_1)
	v_cmp_ne_u32_e32 vcc_lo, 0x7f800000, v86
                                        ; implicit-def: $vgpr86
	s_and_saveexec_b32 s3, vcc_lo
	s_xor_b32 s3, exec_lo, s3
; %bb.25:
	v_bfe_u32 v86, v89, 16, 1
	s_delay_alu instid0(VALU_DEP_1)
	v_add3_u32 v86, v89, v86, 0x7fff
                                        ; implicit-def: $vgpr89
; %bb.26:
	s_and_not1_saveexec_b32 s3, s3
; %bb.27:
	v_and_b32_e32 v86, 0xffff, v89
	v_or_b32_e32 v90, 0x10000, v89
	s_delay_alu instid0(VALU_DEP_2) | instskip(NEXT) | instid1(VALU_DEP_2)
	v_cmp_eq_u32_e32 vcc_lo, 0, v86
	v_cndmask_b32_e32 v86, v90, v89, vcc_lo
; %bb.28:
	s_or_b32 exec_lo, exec_lo, s3
	v_and_b32_e32 v89, 0x7f800000, v88
	s_delay_alu instid0(VALU_DEP_1) | instskip(SKIP_1) | instid1(SALU_CYCLE_1)
	v_cmp_ne_u32_e32 vcc_lo, 0x7f800000, v89
                                        ; implicit-def: $vgpr89
	s_and_saveexec_b32 s3, vcc_lo
	s_xor_b32 s3, exec_lo, s3
; %bb.29:
	v_bfe_u32 v89, v88, 16, 1
	s_delay_alu instid0(VALU_DEP_1)
	v_add3_u32 v89, v88, v89, 0x7fff
                                        ; implicit-def: $vgpr88
; %bb.30:
	s_and_not1_saveexec_b32 s3, s3
; %bb.31:
	v_and_b32_e32 v89, 0xffff, v88
	v_or_b32_e32 v90, 0x10000, v88
	s_delay_alu instid0(VALU_DEP_2) | instskip(NEXT) | instid1(VALU_DEP_2)
	v_cmp_eq_u32_e32 vcc_lo, 0, v89
	v_cndmask_b32_e32 v89, v90, v88, vcc_lo
; %bb.32:
	s_or_b32 exec_lo, exec_lo, s3
	v_and_b32_e32 v88, 0x7f800000, v87
	s_delay_alu instid0(VALU_DEP_1) | instskip(SKIP_1) | instid1(SALU_CYCLE_1)
	v_cmp_ne_u32_e32 vcc_lo, 0x7f800000, v88
                                        ; implicit-def: $vgpr88
	s_and_saveexec_b32 s3, vcc_lo
	s_xor_b32 s3, exec_lo, s3
; %bb.33:
	v_bfe_u32 v88, v87, 16, 1
	s_delay_alu instid0(VALU_DEP_1)
	v_add3_u32 v88, v87, v88, 0x7fff
                                        ; implicit-def: $vgpr87
; %bb.34:
	s_and_not1_saveexec_b32 s3, s3
; %bb.35:
	v_and_b32_e32 v88, 0xffff, v87
	v_or_b32_e32 v90, 0x10000, v87
	s_delay_alu instid0(VALU_DEP_2) | instskip(NEXT) | instid1(VALU_DEP_2)
	v_cmp_eq_u32_e32 vcc_lo, 0, v88
	v_cndmask_b32_e32 v88, v90, v87, vcc_lo
; %bb.36:
	s_or_b32 exec_lo, exec_lo, s3
	v_and_b32_e32 v87, 0x7f800000, v84
	s_delay_alu instid0(VALU_DEP_1) | instskip(SKIP_1) | instid1(SALU_CYCLE_1)
	v_cmp_ne_u32_e32 vcc_lo, 0x7f800000, v87
                                        ; implicit-def: $vgpr87
	s_and_saveexec_b32 s3, vcc_lo
	s_xor_b32 s3, exec_lo, s3
; %bb.37:
	v_bfe_u32 v87, v84, 16, 1
	s_delay_alu instid0(VALU_DEP_1)
	v_add3_u32 v87, v84, v87, 0x7fff
                                        ; implicit-def: $vgpr84
; %bb.38:
	s_and_not1_saveexec_b32 s3, s3
; %bb.39:
	v_and_b32_e32 v87, 0xffff, v84
	v_or_b32_e32 v90, 0x10000, v84
	s_delay_alu instid0(VALU_DEP_2) | instskip(NEXT) | instid1(VALU_DEP_2)
	v_cmp_eq_u32_e32 vcc_lo, 0, v87
	v_cndmask_b32_e32 v87, v90, v84, vcc_lo
; %bb.40:
	s_or_b32 exec_lo, exec_lo, s3
	v_and_b32_e32 v84, 0x7f800000, v80
	s_delay_alu instid0(VALU_DEP_1) | instskip(SKIP_1) | instid1(SALU_CYCLE_1)
	v_cmp_ne_u32_e32 vcc_lo, 0x7f800000, v84
                                        ; implicit-def: $vgpr84
	s_and_saveexec_b32 s3, vcc_lo
	s_xor_b32 s3, exec_lo, s3
; %bb.41:
	v_bfe_u32 v84, v80, 16, 1
	s_delay_alu instid0(VALU_DEP_1)
	v_add3_u32 v84, v80, v84, 0x7fff
                                        ; implicit-def: $vgpr80
; %bb.42:
	s_and_not1_saveexec_b32 s3, s3
; %bb.43:
	v_and_b32_e32 v84, 0xffff, v80
	v_or_b32_e32 v90, 0x10000, v80
	s_delay_alu instid0(VALU_DEP_2) | instskip(NEXT) | instid1(VALU_DEP_2)
	v_cmp_eq_u32_e32 vcc_lo, 0, v84
	v_cndmask_b32_e32 v84, v90, v80, vcc_lo
; %bb.44:
	s_or_b32 exec_lo, exec_lo, s3
	s_load_b64 s[34:35], s[0:1], 0x94
	v_lshlrev_b32_e32 v91, 4, v74
	s_delay_alu instid0(VALU_DEP_2)
	v_perm_b32 v90, v84, v87, 0x7060302
	v_dual_mul_f32 v79, v82, v79 :: v_dual_lshlrev_b32 v80, 6, v65
	v_dual_mul_f32 v77, v82, v77 :: v_dual_lshlrev_b32 v92, 11, v66
	v_mul_f32_e32 v84, v82, v70
	v_perm_b32 v89, v88, v89, 0x7060302
	v_perm_b32 v88, v86, v85, 0x7060302
	;; [unrolled: 1-line block ×3, first 2 shown]
	v_mul_f32_e32 v70, v82, v81
	v_or3_b32 v76, v91, v92, v80
	v_dual_mul_f32 v78, v82, v78 :: v_dual_and_b32 v85, 0x7f800000, v84
	v_mul_f32_e32 v83, v82, v72
	v_mul_f32_e32 v81, v82, v71
	v_mul_f32_e32 v72, v82, v69
	s_mov_b32 s3, exec_lo
	ds_store_b128 v76, v[87:90]
                                        ; implicit-def: $vgpr69
	v_cmpx_ne_u32_e32 0x7f800000, v85
	s_xor_b32 s3, exec_lo, s3
; %bb.45:
	v_bfe_u32 v69, v84, 16, 1
	s_delay_alu instid0(VALU_DEP_1)
	v_add3_u32 v69, v84, v69, 0x7fff
                                        ; implicit-def: $vgpr84
; %bb.46:
	s_and_not1_saveexec_b32 s3, s3
; %bb.47:
	v_and_b32_e32 v69, 0xffff, v84
	v_or_b32_e32 v71, 0x10000, v84
	s_delay_alu instid0(VALU_DEP_2) | instskip(NEXT) | instid1(VALU_DEP_2)
	v_cmp_eq_u32_e32 vcc_lo, 0, v69
	v_cndmask_b32_e32 v69, v71, v84, vcc_lo
; %bb.48:
	s_or_b32 exec_lo, exec_lo, s3
	v_and_b32_e32 v71, 0x7f800000, v72
	s_delay_alu instid0(VALU_DEP_1) | instskip(SKIP_1) | instid1(SALU_CYCLE_1)
	v_cmp_ne_u32_e32 vcc_lo, 0x7f800000, v71
                                        ; implicit-def: $vgpr71
	s_and_saveexec_b32 s3, vcc_lo
	s_xor_b32 s3, exec_lo, s3
; %bb.49:
	v_bfe_u32 v71, v72, 16, 1
	s_delay_alu instid0(VALU_DEP_1)
	v_add3_u32 v71, v72, v71, 0x7fff
                                        ; implicit-def: $vgpr72
; %bb.50:
	s_and_not1_saveexec_b32 s3, s3
; %bb.51:
	v_and_b32_e32 v71, 0xffff, v72
	v_or_b32_e32 v82, 0x10000, v72
	s_delay_alu instid0(VALU_DEP_2) | instskip(NEXT) | instid1(VALU_DEP_2)
	v_cmp_eq_u32_e32 vcc_lo, 0, v71
	v_cndmask_b32_e32 v71, v82, v72, vcc_lo
; %bb.52:
	s_or_b32 exec_lo, exec_lo, s3
	v_and_b32_e32 v72, 0x7f800000, v81
	s_delay_alu instid0(VALU_DEP_1) | instskip(SKIP_1) | instid1(SALU_CYCLE_1)
	v_cmp_ne_u32_e32 vcc_lo, 0x7f800000, v72
                                        ; implicit-def: $vgpr72
	s_and_saveexec_b32 s3, vcc_lo
	s_xor_b32 s3, exec_lo, s3
; %bb.53:
	v_bfe_u32 v72, v81, 16, 1
	s_delay_alu instid0(VALU_DEP_1)
	v_add3_u32 v72, v81, v72, 0x7fff
                                        ; implicit-def: $vgpr81
; %bb.54:
	s_and_not1_saveexec_b32 s3, s3
; %bb.55:
	v_and_b32_e32 v72, 0xffff, v81
	v_or_b32_e32 v82, 0x10000, v81
	s_delay_alu instid0(VALU_DEP_2) | instskip(NEXT) | instid1(VALU_DEP_2)
	v_cmp_eq_u32_e32 vcc_lo, 0, v72
	v_cndmask_b32_e32 v72, v82, v81, vcc_lo
; %bb.56:
	s_or_b32 exec_lo, exec_lo, s3
	v_and_b32_e32 v81, 0x7f800000, v83
	s_delay_alu instid0(VALU_DEP_1) | instskip(SKIP_1) | instid1(SALU_CYCLE_1)
	v_cmp_ne_u32_e32 vcc_lo, 0x7f800000, v81
                                        ; implicit-def: $vgpr81
	s_and_saveexec_b32 s3, vcc_lo
	s_xor_b32 s3, exec_lo, s3
; %bb.57:
	v_bfe_u32 v81, v83, 16, 1
	s_delay_alu instid0(VALU_DEP_1)
	v_add3_u32 v81, v83, v81, 0x7fff
                                        ; implicit-def: $vgpr83
; %bb.58:
	s_and_not1_saveexec_b32 s3, s3
; %bb.59:
	v_and_b32_e32 v81, 0xffff, v83
	v_or_b32_e32 v82, 0x10000, v83
	s_delay_alu instid0(VALU_DEP_2) | instskip(NEXT) | instid1(VALU_DEP_2)
	v_cmp_eq_u32_e32 vcc_lo, 0, v81
	v_cndmask_b32_e32 v81, v82, v83, vcc_lo
; %bb.60:
	s_or_b32 exec_lo, exec_lo, s3
	v_and_b32_e32 v82, 0x7f800000, v77
	s_delay_alu instid0(VALU_DEP_1) | instskip(SKIP_1) | instid1(SALU_CYCLE_1)
	v_cmp_ne_u32_e32 vcc_lo, 0x7f800000, v82
                                        ; implicit-def: $vgpr82
	s_and_saveexec_b32 s3, vcc_lo
	s_xor_b32 s3, exec_lo, s3
; %bb.61:
	v_bfe_u32 v82, v77, 16, 1
	s_delay_alu instid0(VALU_DEP_1)
	v_add3_u32 v82, v77, v82, 0x7fff
                                        ; implicit-def: $vgpr77
; %bb.62:
	s_and_not1_saveexec_b32 s3, s3
; %bb.63:
	v_and_b32_e32 v82, 0xffff, v77
	v_or_b32_e32 v83, 0x10000, v77
	s_delay_alu instid0(VALU_DEP_2) | instskip(NEXT) | instid1(VALU_DEP_2)
	v_cmp_eq_u32_e32 vcc_lo, 0, v82
	v_cndmask_b32_e32 v82, v83, v77, vcc_lo
; %bb.64:
	s_or_b32 exec_lo, exec_lo, s3
	v_and_b32_e32 v77, 0x7f800000, v78
	s_delay_alu instid0(VALU_DEP_1) | instskip(SKIP_1) | instid1(SALU_CYCLE_1)
	v_cmp_ne_u32_e32 vcc_lo, 0x7f800000, v77
                                        ; implicit-def: $vgpr77
	s_and_saveexec_b32 s3, vcc_lo
	s_xor_b32 s3, exec_lo, s3
; %bb.65:
	v_bfe_u32 v77, v78, 16, 1
	s_delay_alu instid0(VALU_DEP_1)
	v_add3_u32 v77, v78, v77, 0x7fff
                                        ; implicit-def: $vgpr78
; %bb.66:
	s_and_not1_saveexec_b32 s3, s3
; %bb.67:
	v_and_b32_e32 v77, 0xffff, v78
	v_or_b32_e32 v83, 0x10000, v78
	s_delay_alu instid0(VALU_DEP_2) | instskip(NEXT) | instid1(VALU_DEP_2)
	v_cmp_eq_u32_e32 vcc_lo, 0, v77
	v_cndmask_b32_e32 v77, v83, v78, vcc_lo
; %bb.68:
	s_or_b32 exec_lo, exec_lo, s3
	v_and_b32_e32 v78, 0x7f800000, v79
	s_delay_alu instid0(VALU_DEP_1) | instskip(SKIP_1) | instid1(SALU_CYCLE_1)
	v_cmp_ne_u32_e32 vcc_lo, 0x7f800000, v78
                                        ; implicit-def: $vgpr78
	s_and_saveexec_b32 s3, vcc_lo
	s_xor_b32 s3, exec_lo, s3
; %bb.69:
	v_bfe_u32 v78, v79, 16, 1
	s_delay_alu instid0(VALU_DEP_1)
	v_add3_u32 v78, v79, v78, 0x7fff
                                        ; implicit-def: $vgpr79
; %bb.70:
	s_and_not1_saveexec_b32 s3, s3
; %bb.71:
	v_and_b32_e32 v78, 0xffff, v79
	v_or_b32_e32 v83, 0x10000, v79
	s_delay_alu instid0(VALU_DEP_2) | instskip(NEXT) | instid1(VALU_DEP_2)
	v_cmp_eq_u32_e32 vcc_lo, 0, v78
	v_cndmask_b32_e32 v78, v83, v79, vcc_lo
; %bb.72:
	s_or_b32 exec_lo, exec_lo, s3
	v_and_b32_e32 v79, 0x7f800000, v70
	s_delay_alu instid0(VALU_DEP_1) | instskip(SKIP_1) | instid1(SALU_CYCLE_1)
	v_cmp_ne_u32_e32 vcc_lo, 0x7f800000, v79
                                        ; implicit-def: $vgpr79
	s_and_saveexec_b32 s3, vcc_lo
	s_xor_b32 s3, exec_lo, s3
; %bb.73:
	v_bfe_u32 v79, v70, 16, 1
	s_delay_alu instid0(VALU_DEP_1)
	v_add3_u32 v79, v70, v79, 0x7fff
                                        ; implicit-def: $vgpr70
; %bb.74:
	s_and_not1_saveexec_b32 s3, s3
; %bb.75:
	v_and_b32_e32 v79, 0xffff, v70
	v_or_b32_e32 v83, 0x10000, v70
	s_delay_alu instid0(VALU_DEP_2) | instskip(NEXT) | instid1(VALU_DEP_2)
	v_cmp_eq_u32_e32 vcc_lo, 0, v79
	v_cndmask_b32_e32 v79, v83, v70, vcc_lo
; %bb.76:
	s_or_b32 exec_lo, exec_lo, s3
	s_delay_alu instid0(VALU_DEP_1)
	v_perm_b32 v86, v79, v78, 0x7060302
	v_perm_b32 v85, v77, v82, 0x7060302
	;; [unrolled: 1-line block ×4, first 2 shown]
	v_lshl_or_b32 v82, v66, 11, v80
	ds_store_b128 v76, v[83:86] offset:1024
	s_waitcnt lgkmcnt(0)
	s_barrier
	buffer_gl0_inv
	ds_load_b128 v[69:72], v82
	ds_load_b128 v[83:86], v82 offset:16
	s_waitcnt lgkmcnt(1)
	v_lshrrev_b32_e32 v66, 16, v69
	s_waitcnt lgkmcnt(0)
	v_lshrrev_b32_e32 v91, 16, v83
	v_lshlrev_b32_e32 v78, 2, v74
	v_lshrrev_b32_e32 v95, 16, v70
	v_lshrrev_b32_e32 v98, 16, v84
	;; [unrolled: 1-line block ×4, first 2 shown]
	v_cmp_eq_u32_e32 vcc_lo, 1, v78
	v_lshrrev_b32_e32 v97, 16, v72
	v_lshrrev_b32_e32 v100, 16, v86
	v_cndmask_b32_e32 v87, v83, v91, vcc_lo
	v_or_b32_e32 v79, 1, v78
	v_cndmask_b32_e32 v81, v69, v66, vcc_lo
	v_cmp_eq_u32_e64 s4, 2, v78
	v_cmp_eq_u32_e64 s7, 3, v78
	v_cmp_eq_u32_e64 s9, 4, v78
	v_cmp_eq_u32_e64 s3, 1, v79
	v_cmp_eq_u32_e64 s6, 2, v79
	v_cndmask_b32_e64 v81, v81, v70, s4
	v_cndmask_b32_e64 v87, v87, v84, s4
	v_cmp_eq_u32_e64 s8, 3, v79
	v_cndmask_b32_e64 v88, v69, v66, s3
	v_or_b32_e32 v77, 2, v78
	v_cndmask_b32_e64 v81, v81, v95, s7
	v_cndmask_b32_e64 v87, v87, v98, s7
	;; [unrolled: 1-line block ×4, first 2 shown]
	v_cmp_eq_u32_e64 s10, 5, v78
	v_cndmask_b32_e64 v81, v81, v71, s9
	v_cndmask_b32_e64 v87, v87, v85, s9
	v_cmp_eq_u32_e64 s11, 4, v79
	v_cndmask_b32_e64 v88, v88, v95, s8
	v_cmp_eq_u32_e64 s5, 1, v77
	v_cndmask_b32_e64 v89, v89, v84, s6
	v_cndmask_b32_e64 v81, v81, v96, s10
	v_cmp_eq_u32_e64 s12, 6, v78
	v_cndmask_b32_e64 v88, v88, v71, s11
	;; [unrolled: 3-line block ×3, first 2 shown]
	v_cndmask_b32_e64 v89, v89, v98, s8
	v_cndmask_b32_e64 v81, v81, v72, s12
	v_cmp_eq_u32_e64 s15, 7, v78
	v_cndmask_b32_e64 v88, v88, v96, s13
	v_cndmask_b32_e64 v87, v87, v86, s12
	v_cmp_eq_u32_e64 s16, 6, v79
	v_cmp_eq_u32_e64 s17, 2, v77
	v_cndmask_b32_e64 v89, v89, v85, s11
	v_cndmask_b32_e64 v101, v81, v97, s15
	;; [unrolled: 1-line block ×6, first 2 shown]
	v_cmp_eq_u32_e64 s18, 7, v79
	v_cmp_eq_u32_e64 s19, 3, v77
	;; [unrolled: 1-line block ×4, first 2 shown]
	v_cndmask_b32_e64 v87, v87, v84, s17
	v_cndmask_b32_e64 v103, v88, v97, s18
	;; [unrolled: 1-line block ×4, first 2 shown]
	v_or_b32_e32 v81, 3, v78
	v_cndmask_b32_e64 v93, v87, v98, s19
	v_cmp_eq_u32_e64 s24, 6, v77
	v_cndmask_b32_e64 v104, v88, v86, s16
	v_cndmask_b32_e64 v92, v89, v71, s20
	v_cmp_eq_u32_e64 s21, 1, v81
	ds_load_b128 v[87:90], v82 offset:1024
	v_cmp_eq_u32_e64 s23, 2, v81
	v_cmp_eq_u32_e64 s25, 3, v81
	v_cndmask_b32_e64 v105, v92, v96, s22
	v_cndmask_b32_e64 v66, v69, v66, s21
	;; [unrolled: 1-line block ×4, first 2 shown]
	ds_load_b128 v[91:94], v82 offset:1040
	v_cmp_eq_u32_e64 s26, 4, v81
	v_cndmask_b32_e64 v66, v66, v70, s23
	v_cmp_eq_u32_e64 s27, 7, v77
	v_cndmask_b32_e64 v70, v83, v84, s23
	v_cndmask_b32_e64 v84, v105, v72, s24
	v_cmp_eq_u32_e64 s28, 5, v81
	v_cndmask_b32_e64 v66, v66, v95, s25
	v_cmp_eq_u32_e64 s29, 6, v81
	v_cndmask_b32_e64 v70, v70, v98, s25
	v_cndmask_b32_e64 v69, v69, v99, s22
	v_cndmask_b32_e64 v83, v104, v100, s18
	v_cndmask_b32_e64 v66, v66, v71, s26
	s_waitcnt lgkmcnt(1)
	v_lshrrev_b32_e32 v95, 16, v87
	v_cndmask_b32_e64 v70, v70, v85, s26
	v_cndmask_b32_e64 v71, v84, v97, s27
	;; [unrolled: 1-line block ×4, first 2 shown]
	v_cndmask_b32_e32 v84, v87, v95, vcc_lo
	v_cndmask_b32_e64 v70, v70, v99, s28
	s_waitcnt lgkmcnt(0)
	v_lshrrev_b32_e32 v85, 16, v91
	v_lshrrev_b32_e32 v96, 16, v88
	v_cndmask_b32_e64 v98, v87, v95, s3
	v_cndmask_b32_e64 v84, v84, v88, s4
	;; [unrolled: 1-line block ×3, first 2 shown]
	v_cndmask_b32_e32 v99, v91, v85, vcc_lo
	v_cmp_eq_u32_e32 vcc_lo, 7, v81
	v_cndmask_b32_e64 v66, v66, v72, s29
	v_cndmask_b32_e64 v72, v84, v96, s7
	;; [unrolled: 1-line block ×3, first 2 shown]
	v_lshrrev_b32_e32 v98, 16, v92
	v_cndmask_b32_e32 v70, v70, v100, vcc_lo
	v_cndmask_b32_e64 v86, v99, v92, s4
	v_cndmask_b32_e64 v69, v69, v100, s27
	v_lshrrev_b32_e32 v100, 16, v93
	v_cndmask_b32_e64 v72, v72, v89, s9
	v_lshrrev_b32_e32 v99, 16, v89
	v_cndmask_b32_e64 v86, v86, v98, s7
	v_perm_b32 v71, v69, v71, 0x5040100
	v_cndmask_b32_e64 v84, v84, v96, s8
	s_delay_alu instid0(VALU_DEP_3) | instskip(NEXT) | instid1(VALU_DEP_2)
	v_cndmask_b32_e64 v86, v86, v93, s9
	v_cndmask_b32_e64 v84, v84, v89, s11
	s_delay_alu instid0(VALU_DEP_2) | instskip(NEXT) | instid1(VALU_DEP_1)
	v_cndmask_b32_e64 v86, v86, v100, s10
	v_cndmask_b32_e64 v69, v86, v94, s12
	;; [unrolled: 1-line block ×5, first 2 shown]
	s_delay_alu instid0(VALU_DEP_3) | instskip(NEXT) | instid1(VALU_DEP_3)
	v_cndmask_b32_e64 v86, v86, v88, s17
	v_cndmask_b32_e64 v87, v87, v88, s23
	s_delay_alu instid0(VALU_DEP_3) | instskip(NEXT) | instid1(VALU_DEP_3)
	v_cndmask_b32_e64 v88, v95, v92, s23
	v_cndmask_b32_e64 v86, v86, v96, s19
	;; [unrolled: 3-line block ×7, first 2 shown]
	s_delay_alu instid0(VALU_DEP_3) | instskip(SKIP_2) | instid1(VALU_DEP_2)
	v_cndmask_b32_e64 v88, v88, v94, s29
	v_cndmask_b32_e32 v66, v66, v97, vcc_lo
	v_cndmask_b32_e64 v97, v72, v99, s10
	v_perm_b32 v72, v70, v66, 0x5040100
	v_perm_b32 v70, v83, v103, 0x5040100
	v_cndmask_b32_e64 v103, v91, v85, s5
	v_cndmask_b32_e64 v85, v91, v85, s3
	;; [unrolled: 1-line block ×4, first 2 shown]
	v_lshrrev_b32_e32 v97, 16, v90
	v_cndmask_b32_e64 v91, v103, v92, s17
	v_cndmask_b32_e64 v85, v85, v92, s6
	v_cndmask_b32_e64 v66, v66, v90, s16
	s_mov_b32 s3, exec_lo
	v_cndmask_b32_e64 v83, v84, v97, s15
	v_cndmask_b32_e64 v91, v91, v98, s19
	;; [unrolled: 1-line block ×3, first 2 shown]
	v_lshrrev_b32_e32 v84, 16, v94
	v_cndmask_b32_e64 v66, v66, v97, s18
	v_cndmask_b32_e64 v90, v86, v97, s27
	;; [unrolled: 1-line block ×4, first 2 shown]
	v_dual_cndmask_b32 v86, v87, v97 :: v_dual_cndmask_b32 v87, v88, v84
	v_cndmask_b32_e64 v91, v69, v84, s15
	s_delay_alu instid0(VALU_DEP_4) | instskip(NEXT) | instid1(VALU_DEP_4)
	v_cndmask_b32_e64 v89, v89, v100, s22
	v_cndmask_b32_e64 v85, v85, v100, s13
	v_perm_b32 v69, v102, v101, 0x5040100
	v_perm_b32 v86, v87, v86, 0x5040100
	v_perm_b32 v83, v91, v83, 0x5040100
	v_cndmask_b32_e64 v89, v89, v94, s24
	v_cndmask_b32_e64 v85, v85, v94, s16
	s_mul_i32 s8, s35, 12
	s_delay_alu instid0(VALU_DEP_2) | instskip(NEXT) | instid1(VALU_DEP_2)
	v_cndmask_b32_e64 v88, v89, v84, s27
	v_cndmask_b32_e64 v89, v85, v84, s18
	s_delay_alu instid0(VALU_DEP_2) | instskip(NEXT) | instid1(VALU_DEP_2)
	v_perm_b32 v85, v88, v90, 0x5040100
	v_perm_b32 v84, v89, v66, 0x5040100
	ds_store_b128 v76, v[69:72]
	ds_store_b128 v76, v[83:86] offset:1024
	v_cmpx_gt_u32_e32 12, v0
	s_cbranch_execz .LBB1497_78
; %bb.77:
	s_mul_i32 s4, s8, s30
	s_delay_alu instid0(SALU_CYCLE_1) | instskip(SKIP_1) | instid1(VALU_DEP_1)
	v_add3_u32 v69, s4, s31, v65
	s_load_b128 s[4:7], s[0:1], 0x58
	v_mad_u64_u32 v[65:66], null, v69, s34, s[14:15]
	s_delay_alu instid0(VALU_DEP_1) | instskip(NEXT) | instid1(VALU_DEP_1)
	v_ashrrev_i32_e32 v66, 31, v65
	v_lshlrev_b64 v[65:66], 2, v[65:66]
	s_waitcnt lgkmcnt(0)
	s_delay_alu instid0(VALU_DEP_1) | instskip(NEXT) | instid1(VALU_DEP_2)
	v_add_co_u32 v69, vcc_lo, s6, v65
	v_add_co_ci_u32_e32 v70, vcc_lo, s7, v66, vcc_lo
	v_add_co_u32 v65, vcc_lo, s4, v65
	v_add_co_ci_u32_e32 v66, vcc_lo, s5, v66, vcc_lo
	global_store_b32 v[69:70], v67, off
	global_store_b32 v[65:66], v68, off
.LBB1497_78:
	s_or_b32 exec_lo, exec_lo, s3
	s_waitcnt lgkmcnt(0)
	s_waitcnt_vscnt null, 0x0
	s_barrier
	buffer_gl0_inv
	ds_load_b128 v[83:86], v80
	ds_load_b128 v[87:90], v80 offset:16
	ds_load_b128 v[95:98], v80 offset:2064
	;; [unrolled: 1-line block ×3, first 2 shown]
	v_mov_b32_e32 v65, 0
	ds_load_b128 v[103:106], v80 offset:4112
	ds_load_b128 v[99:102], v80 offset:4096
	;; [unrolled: 1-line block ×4, first 2 shown]
	v_mov_b32_e32 v66, v65
	v_mov_b32_e32 v67, v65
	;; [unrolled: 1-line block ×7, first 2 shown]
	s_waitcnt lgkmcnt(6)
	s_delay_alu instid0(VALU_DEP_1)
	v_wmma_f32_16x16x16_bf16 v[65:72], v[57:64], v[83:90], v[65:72]
	ds_load_b128 v[61:64], v80 offset:8208
	ds_load_b128 v[57:60], v80 offset:8192
	s_waitcnt lgkmcnt(6)
	v_wmma_f32_16x16x16_bf16 v[65:72], v[41:48], v[91:98], v[65:72]
	ds_load_b128 v[45:48], v80 offset:10256
	ds_load_b128 v[41:44], v80 offset:10240
	s_waitcnt lgkmcnt(6)
	;; [unrolled: 4-line block ×4, first 2 shown]
	v_wmma_f32_16x16x16_bf16 v[65:72], v[1:8], v[57:64], v[65:72]
	s_waitcnt lgkmcnt(4)
	s_delay_alu instid0(VALU_DEP_1) | instskip(SKIP_1) | instid1(VALU_DEP_1)
	v_wmma_f32_16x16x16_bf16 v[65:72], v[9:16], v[41:48], v[65:72]
	s_waitcnt lgkmcnt(2)
	v_wmma_f32_16x16x16_bf16 v[65:72], v[17:24], v[33:40], v[65:72]
	s_waitcnt lgkmcnt(0)
	s_delay_alu instid0(VALU_DEP_1) | instskip(NEXT) | instid1(VALU_DEP_1)
	v_wmma_f32_16x16x16_bf16 v[65:72], v[49:56], v[25:32], v[65:72]
	v_and_b32_e32 v1, 0x7f800000, v65
	s_delay_alu instid0(VALU_DEP_1) | instskip(SKIP_1) | instid1(SALU_CYCLE_1)
	v_cmp_ne_u32_e32 vcc_lo, 0x7f800000, v1
                                        ; implicit-def: $vgpr1
	s_and_saveexec_b32 s3, vcc_lo
	s_xor_b32 s3, exec_lo, s3
; %bb.79:
	v_bfe_u32 v1, v65, 16, 1
	s_delay_alu instid0(VALU_DEP_1)
	v_add3_u32 v1, v65, v1, 0x7fff
; %bb.80:
	s_and_not1_saveexec_b32 s3, s3
; %bb.81:
	v_and_b32_e32 v1, 0xffff, v65
	v_or_b32_e32 v2, 0x10000, v65
	s_delay_alu instid0(VALU_DEP_2) | instskip(NEXT) | instid1(VALU_DEP_2)
	v_cmp_eq_u32_e32 vcc_lo, 0, v1
	v_cndmask_b32_e32 v1, v2, v65, vcc_lo
; %bb.82:
	s_or_b32 exec_lo, exec_lo, s3
	v_and_b32_e32 v2, 0x7f800000, v66
	s_delay_alu instid0(VALU_DEP_1) | instskip(SKIP_1) | instid1(SALU_CYCLE_1)
	v_cmp_ne_u32_e32 vcc_lo, 0x7f800000, v2
                                        ; implicit-def: $vgpr2
	s_and_saveexec_b32 s3, vcc_lo
	s_xor_b32 s3, exec_lo, s3
; %bb.83:
	v_bfe_u32 v2, v66, 16, 1
	s_delay_alu instid0(VALU_DEP_1)
	v_add3_u32 v2, v66, v2, 0x7fff
; %bb.84:
	s_and_not1_saveexec_b32 s3, s3
; %bb.85:
	v_and_b32_e32 v2, 0xffff, v66
	v_or_b32_e32 v3, 0x10000, v66
	s_delay_alu instid0(VALU_DEP_2) | instskip(NEXT) | instid1(VALU_DEP_2)
	v_cmp_eq_u32_e32 vcc_lo, 0, v2
	v_cndmask_b32_e32 v2, v3, v66, vcc_lo
; %bb.86:
	s_or_b32 exec_lo, exec_lo, s3
	v_and_b32_e32 v3, 0x7f800000, v67
	s_delay_alu instid0(VALU_DEP_1) | instskip(SKIP_1) | instid1(SALU_CYCLE_1)
	v_cmp_ne_u32_e32 vcc_lo, 0x7f800000, v3
                                        ; implicit-def: $vgpr3
	s_and_saveexec_b32 s3, vcc_lo
	s_xor_b32 s3, exec_lo, s3
; %bb.87:
	v_bfe_u32 v3, v67, 16, 1
	s_delay_alu instid0(VALU_DEP_1)
	v_add3_u32 v3, v67, v3, 0x7fff
; %bb.88:
	s_and_not1_saveexec_b32 s3, s3
; %bb.89:
	v_and_b32_e32 v3, 0xffff, v67
	v_or_b32_e32 v4, 0x10000, v67
	s_delay_alu instid0(VALU_DEP_2) | instskip(NEXT) | instid1(VALU_DEP_2)
	v_cmp_eq_u32_e32 vcc_lo, 0, v3
	v_cndmask_b32_e32 v3, v4, v67, vcc_lo
; %bb.90:
	s_or_b32 exec_lo, exec_lo, s3
	v_and_b32_e32 v4, 0x7f800000, v68
	s_delay_alu instid0(VALU_DEP_1) | instskip(SKIP_1) | instid1(SALU_CYCLE_1)
	v_cmp_ne_u32_e32 vcc_lo, 0x7f800000, v4
                                        ; implicit-def: $vgpr4
	s_and_saveexec_b32 s3, vcc_lo
	s_xor_b32 s3, exec_lo, s3
; %bb.91:
	v_bfe_u32 v4, v68, 16, 1
	s_delay_alu instid0(VALU_DEP_1)
	v_add3_u32 v4, v68, v4, 0x7fff
; %bb.92:
	s_and_not1_saveexec_b32 s3, s3
; %bb.93:
	v_and_b32_e32 v4, 0xffff, v68
	v_or_b32_e32 v5, 0x10000, v68
	s_delay_alu instid0(VALU_DEP_2) | instskip(NEXT) | instid1(VALU_DEP_2)
	v_cmp_eq_u32_e32 vcc_lo, 0, v4
	v_cndmask_b32_e32 v4, v5, v68, vcc_lo
; %bb.94:
	s_or_b32 exec_lo, exec_lo, s3
	v_and_b32_e32 v5, 0x7f800000, v69
	s_delay_alu instid0(VALU_DEP_1) | instskip(SKIP_1) | instid1(SALU_CYCLE_1)
	v_cmp_ne_u32_e32 vcc_lo, 0x7f800000, v5
                                        ; implicit-def: $vgpr5
	s_and_saveexec_b32 s3, vcc_lo
	s_xor_b32 s3, exec_lo, s3
; %bb.95:
	v_bfe_u32 v5, v69, 16, 1
	s_delay_alu instid0(VALU_DEP_1)
	v_add3_u32 v5, v69, v5, 0x7fff
; %bb.96:
	s_and_not1_saveexec_b32 s3, s3
; %bb.97:
	v_and_b32_e32 v5, 0xffff, v69
	v_or_b32_e32 v6, 0x10000, v69
	s_delay_alu instid0(VALU_DEP_2) | instskip(NEXT) | instid1(VALU_DEP_2)
	v_cmp_eq_u32_e32 vcc_lo, 0, v5
	v_cndmask_b32_e32 v5, v6, v69, vcc_lo
; %bb.98:
	s_or_b32 exec_lo, exec_lo, s3
	v_and_b32_e32 v6, 0x7f800000, v70
	s_delay_alu instid0(VALU_DEP_1) | instskip(SKIP_1) | instid1(SALU_CYCLE_1)
	v_cmp_ne_u32_e32 vcc_lo, 0x7f800000, v6
                                        ; implicit-def: $vgpr6
	s_and_saveexec_b32 s3, vcc_lo
	s_xor_b32 s3, exec_lo, s3
; %bb.99:
	v_bfe_u32 v6, v70, 16, 1
	s_delay_alu instid0(VALU_DEP_1)
	v_add3_u32 v6, v70, v6, 0x7fff
; %bb.100:
	s_and_not1_saveexec_b32 s3, s3
; %bb.101:
	v_and_b32_e32 v6, 0xffff, v70
	v_or_b32_e32 v7, 0x10000, v70
	s_delay_alu instid0(VALU_DEP_2) | instskip(NEXT) | instid1(VALU_DEP_2)
	v_cmp_eq_u32_e32 vcc_lo, 0, v6
	v_cndmask_b32_e32 v6, v7, v70, vcc_lo
; %bb.102:
	s_or_b32 exec_lo, exec_lo, s3
	v_and_b32_e32 v7, 0x7f800000, v71
	s_delay_alu instid0(VALU_DEP_1) | instskip(SKIP_1) | instid1(SALU_CYCLE_1)
	v_cmp_ne_u32_e32 vcc_lo, 0x7f800000, v7
                                        ; implicit-def: $vgpr7
	s_and_saveexec_b32 s3, vcc_lo
	s_xor_b32 s3, exec_lo, s3
; %bb.103:
	v_bfe_u32 v7, v71, 16, 1
	s_delay_alu instid0(VALU_DEP_1)
	v_add3_u32 v7, v71, v7, 0x7fff
; %bb.104:
	s_and_not1_saveexec_b32 s3, s3
; %bb.105:
	v_and_b32_e32 v7, 0xffff, v71
	v_or_b32_e32 v8, 0x10000, v71
	s_delay_alu instid0(VALU_DEP_2) | instskip(NEXT) | instid1(VALU_DEP_2)
	v_cmp_eq_u32_e32 vcc_lo, 0, v7
	v_cndmask_b32_e32 v7, v8, v71, vcc_lo
; %bb.106:
	s_or_b32 exec_lo, exec_lo, s3
	v_and_b32_e32 v8, 0x7f800000, v72
	s_delay_alu instid0(VALU_DEP_1) | instskip(SKIP_1) | instid1(SALU_CYCLE_1)
	v_cmp_ne_u32_e32 vcc_lo, 0x7f800000, v8
                                        ; implicit-def: $vgpr8
	s_and_saveexec_b32 s3, vcc_lo
	s_xor_b32 s3, exec_lo, s3
; %bb.107:
	v_bfe_u32 v8, v72, 16, 1
	s_delay_alu instid0(VALU_DEP_1)
	v_add3_u32 v8, v72, v8, 0x7fff
                                        ; implicit-def: $vgpr65_vgpr66_vgpr67_vgpr68_vgpr69_vgpr70_vgpr71_vgpr72
; %bb.108:
	s_and_not1_saveexec_b32 s3, s3
; %bb.109:
	v_and_b32_e32 v8, 0xffff, v72
	v_or_b32_e32 v9, 0x10000, v72
	s_delay_alu instid0(VALU_DEP_2) | instskip(NEXT) | instid1(VALU_DEP_2)
	v_cmp_eq_u32_e32 vcc_lo, 0, v8
	v_cndmask_b32_e32 v8, v9, v72, vcc_lo
; %bb.110:
	s_or_b32 exec_lo, exec_lo, s3
	s_delay_alu instid0(VALU_DEP_1)
	v_perm_b32 v7, v8, v7, 0x7060302
	v_perm_b32 v6, v6, v5, 0x7060302
	;; [unrolled: 1-line block ×4, first 2 shown]
	s_barrier
	buffer_gl0_inv
	v_cmp_eq_u32_e32 vcc_lo, 1, v78
	ds_store_b128 v76, v[4:7]
	s_waitcnt lgkmcnt(0)
	s_barrier
	buffer_gl0_inv
	ds_load_b128 v[1:4], v82
	ds_load_b128 v[5:8], v82 offset:16
	v_cmp_eq_u32_e64 s3, 1, v79
	v_cmp_eq_u32_e64 s4, 2, v78
	;; [unrolled: 1-line block ×5, first 2 shown]
	s_waitcnt lgkmcnt(1)
	v_lshrrev_b32_e32 v9, 16, v1
	s_waitcnt lgkmcnt(0)
	v_lshrrev_b32_e32 v13, 16, v5
	v_lshrrev_b32_e32 v10, 16, v2
	;; [unrolled: 1-line block ×4, first 2 shown]
	v_cndmask_b32_e64 v19, v1, v9, s3
	v_cndmask_b32_e32 v18, v5, v13, vcc_lo
	v_cndmask_b32_e64 v20, v5, v13, s3
	v_cndmask_b32_e32 v17, v1, v9, vcc_lo
	v_cmp_eq_u32_e32 vcc_lo, 2, v79
	v_lshrrev_b32_e32 v15, 16, v7
	v_cmp_eq_u32_e64 s3, 1, v77
	v_lshrrev_b32_e32 v12, 16, v4
	v_lshrrev_b32_e32 v16, 16, v8
	v_cndmask_b32_e32 v20, v20, v6, vcc_lo
	v_cndmask_b32_e64 v17, v17, v2, s4
	v_cndmask_b32_e32 v19, v19, v2, vcc_lo
	v_cndmask_b32_e64 v18, v18, v6, s4
	v_cmp_eq_u32_e32 vcc_lo, 4, v78
	v_cmp_eq_u32_e64 s4, 3, v79
	v_cndmask_b32_e64 v17, v17, v10, s5
	v_cndmask_b32_e64 v21, v1, v9, s3
	;; [unrolled: 1-line block ×5, first 2 shown]
	v_cndmask_b32_e32 v17, v17, v3, vcc_lo
	v_cndmask_b32_e64 v20, v20, v14, s4
	v_cndmask_b32_e32 v18, v18, v7, vcc_lo
	v_cmp_eq_u32_e32 vcc_lo, 4, v79
	v_cmp_eq_u32_e64 s4, 5, v79
	v_cmp_eq_u32_e64 s3, 2, v81
	v_cndmask_b32_e64 v21, v21, v2, s7
	v_cmp_eq_u32_e64 s5, 5, v78
	v_cndmask_b32_e32 v19, v19, v3, vcc_lo
	v_cndmask_b32_e32 v20, v20, v7, vcc_lo
	v_cmp_eq_u32_e32 vcc_lo, 6, v79
	s_delay_alu instid0(VALU_DEP_4) | instskip(NEXT) | instid1(VALU_DEP_4)
	v_cndmask_b32_e64 v17, v17, v11, s5
	v_cndmask_b32_e64 v19, v19, v11, s4
	s_delay_alu instid0(VALU_DEP_4) | instskip(SKIP_1) | instid1(VALU_DEP_3)
	v_cndmask_b32_e64 v20, v20, v15, s4
	v_cmp_eq_u32_e64 s4, 1, v81
	v_cndmask_b32_e32 v19, v19, v4, vcc_lo
	v_cndmask_b32_e64 v18, v18, v15, s5
	s_delay_alu instid0(VALU_DEP_3)
	v_cndmask_b32_e64 v1, v1, v9, s4
	v_cndmask_b32_e64 v5, v5, v13, s4
	v_cmp_eq_u32_e64 s4, 3, v77
	v_cndmask_b32_e64 v13, v22, v6, s7
	v_cmp_eq_u32_e64 s7, 3, v81
	v_cndmask_b32_e64 v1, v1, v2, s3
	v_cndmask_b32_e64 v2, v5, v6, s3
	;; [unrolled: 1-line block ×3, first 2 shown]
	v_cmp_eq_u32_e64 s3, 4, v77
	v_cndmask_b32_e64 v6, v13, v14, s4
	v_cndmask_b32_e64 v1, v1, v10, s7
	v_cmp_eq_u32_e64 s4, 4, v81
	v_cndmask_b32_e64 v2, v2, v14, s7
	v_cndmask_b32_e64 v5, v9, v3, s3
	;; [unrolled: 3-line block ×3, first 2 shown]
	v_cndmask_b32_e64 v2, v2, v7, s4
	v_cmp_eq_u32_e64 s3, 5, v81
	v_cmp_eq_u32_e64 s5, 6, v78
	v_cndmask_b32_e64 v5, v5, v11, s7
	v_cmp_eq_u32_e64 s4, 6, v77
	v_cndmask_b32_e64 v3, v6, v15, s7
	v_cndmask_b32_e64 v1, v1, v11, s3
	v_cmp_eq_u32_e64 s7, 6, v81
	v_cndmask_b32_e64 v2, v2, v15, s3
	v_cndmask_b32_e64 v17, v17, v4, s5
	v_cndmask_b32_e64 v18, v18, v8, s5
	v_cmp_eq_u32_e64 s5, 7, v78
	v_cndmask_b32_e64 v5, v5, v4, s4
	;; [unrolled: 4-line block ×3, first 2 shown]
	v_cmp_eq_u32_e64 s4, 7, v77
	v_cndmask_b32_e32 v4, v20, v8, vcc_lo
	v_cndmask_b32_e64 v17, v17, v12, s5
	v_cndmask_b32_e64 v19, v19, v12, s6
	;; [unrolled: 1-line block ×8, first 2 shown]
	v_cmp_gt_u32_e32 vcc_lo, 32, v0
	v_perm_b32 v4, v2, v1, 0x5040100
	v_perm_b32 v3, v3, v5, 0x5040100
	v_perm_b32 v2, v6, v19, 0x5040100
	v_perm_b32 v1, v7, v17, 0x5040100
	s_and_b32 s2, vcc_lo, s2
	ds_store_b128 v76, v[1:4]
	s_waitcnt lgkmcnt(0)
	s_barrier
	buffer_gl0_inv
	s_and_saveexec_b32 s3, s2
	s_cbranch_execz .LBB1497_2
; %bb.111:
	s_load_b64 s[0:1], s[0:1], 0x68
	v_lshlrev_b32_e32 v0, 10, v0
	s_lshl_b32 s4, s34, 6
	v_or_b32_e32 v3, s31, v74
	s_mul_i32 s2, s4, s30
	v_lshlrev_b32_e32 v1, 4, v75
	s_mul_i32 s2, s2, s8
	v_lshlrev_b32_e32 v2, 6, v74
	v_and_b32_e32 v0, 0x3800, v0
	s_ashr_i32 s3, s2, 31
	v_mul_lo_u32 v4, v3, s4
	s_lshl_b64 s[2:3], s[2:3], 1
	s_delay_alu instid0(VALU_DEP_2) | instskip(NEXT) | instid1(VALU_DEP_2)
	v_or3_b32 v16, v0, v1, v2
	v_ashrrev_i32_e32 v5, 31, v4
	ds_load_b128 v[0:3], v16
	s_waitcnt lgkmcnt(0)
	s_add_u32 s2, s0, s2
	s_addc_u32 s3, s1, s3
	s_lshl_b32 s0, s14, 6
	v_lshlrev_b64 v[5:6], 1, v[4:5]
	s_ashr_i32 s1, s0, 31
	s_delay_alu instid0(SALU_CYCLE_1) | instskip(NEXT) | instid1(SALU_CYCLE_1)
	s_lshl_b64 s[0:1], s[0:1], 1
	s_add_u32 s0, s2, s0
	s_addc_u32 s1, s3, s1
	s_lshl_b32 s2, s34, 7
	v_add_co_u32 v30, s0, s0, v73
	v_add_nc_u32_e32 v8, s2, v4
	v_add_co_ci_u32_e64 v31, null, s1, 0, s0
	s_delay_alu instid0(VALU_DEP_3) | instskip(NEXT) | instid1(VALU_DEP_3)
	v_add_co_u32 v12, vcc_lo, v30, v5
	v_add_nc_u32_e32 v10, s2, v8
	v_ashrrev_i32_e32 v9, 31, v8
	s_delay_alu instid0(VALU_DEP_4)
	v_add_co_ci_u32_e32 v13, vcc_lo, v31, v6, vcc_lo
	ds_load_b128 v[4:7], v16 offset:128
	v_ashrrev_i32_e32 v11, 31, v10
	v_lshlrev_b64 v[8:9], 1, v[8:9]
	v_add_nc_u32_e32 v14, s2, v10
	global_store_b128 v[12:13], v[0:3], off
	v_lshlrev_b64 v[0:1], 1, v[10:11]
	v_ashrrev_i32_e32 v15, 31, v14
	v_add_co_u32 v22, vcc_lo, v30, v8
	v_add_nc_u32_e32 v20, s2, v14
	v_add_co_ci_u32_e32 v23, vcc_lo, v31, v9, vcc_lo
	v_add_co_u32 v26, vcc_lo, v30, v0
	v_lshlrev_b64 v[24:25], 1, v[14:15]
	v_add_co_ci_u32_e32 v27, vcc_lo, v31, v1, vcc_lo
	ds_load_b128 v[0:3], v16 offset:256
	ds_load_b128 v[8:11], v16 offset:384
	;; [unrolled: 1-line block ×4, first 2 shown]
	v_add_nc_u32_e32 v28, s2, v20
	v_ashrrev_i32_e32 v21, 31, v20
	v_add_co_u32 v24, vcc_lo, v30, v24
	v_add_co_ci_u32_e32 v25, vcc_lo, v31, v25, vcc_lo
	s_delay_alu instid0(VALU_DEP_4) | instskip(NEXT) | instid1(VALU_DEP_4)
	v_ashrrev_i32_e32 v29, 31, v28
	v_lshlrev_b64 v[20:21], 1, v[20:21]
	s_delay_alu instid0(VALU_DEP_2) | instskip(NEXT) | instid1(VALU_DEP_2)
	v_lshlrev_b64 v[28:29], 1, v[28:29]
	v_add_co_u32 v20, vcc_lo, v30, v20
	s_delay_alu instid0(VALU_DEP_3) | instskip(NEXT) | instid1(VALU_DEP_3)
	v_add_co_ci_u32_e32 v21, vcc_lo, v31, v21, vcc_lo
	v_add_co_u32 v28, vcc_lo, v30, v28
	s_delay_alu instid0(VALU_DEP_4)
	v_add_co_ci_u32_e32 v29, vcc_lo, v31, v29, vcc_lo
	s_waitcnt lgkmcnt(4)
	global_store_b128 v[22:23], v[4:7], off
	s_waitcnt lgkmcnt(3)
	global_store_b128 v[26:27], v[0:3], off
	;; [unrolled: 2-line block ×5, first 2 shown]
	s_nop 0
	s_sendmsg sendmsg(MSG_DEALLOC_VGPRS)
	s_endpgm
	.section	.rodata,"a",@progbits
	.p2align	6, 0x0
	.amdhsa_kernel _Z39paged_attention_ll4mi_QKV_mfma16_kernelI14__hip_bfloat16hLN4vllm18Fp8KVCacheDataTypeE1ES0_Li32ELi64ELi256ELb0ELi12EL8MFMAType1EEvPKT_PKT0_S9_ifPKiSB_SB_iPKfiiiPfSE_PS4_PT2_iSD_SD_
		.amdhsa_group_segment_fixed_size 17472
		.amdhsa_private_segment_fixed_size 0
		.amdhsa_kernarg_size 400
		.amdhsa_user_sgpr_count 13
		.amdhsa_user_sgpr_dispatch_ptr 0
		.amdhsa_user_sgpr_queue_ptr 0
		.amdhsa_user_sgpr_kernarg_segment_ptr 1
		.amdhsa_user_sgpr_dispatch_id 0
		.amdhsa_user_sgpr_private_segment_size 0
		.amdhsa_wavefront_size32 1
		.amdhsa_uses_dynamic_stack 0
		.amdhsa_enable_private_segment 0
		.amdhsa_system_sgpr_workgroup_id_x 1
		.amdhsa_system_sgpr_workgroup_id_y 1
		.amdhsa_system_sgpr_workgroup_id_z 1
		.amdhsa_system_sgpr_workgroup_info 0
		.amdhsa_system_vgpr_workitem_id 0
		.amdhsa_next_free_vgpr 124
		.amdhsa_next_free_sgpr 40
		.amdhsa_reserve_vcc 1
		.amdhsa_float_round_mode_32 0
		.amdhsa_float_round_mode_16_64 0
		.amdhsa_float_denorm_mode_32 3
		.amdhsa_float_denorm_mode_16_64 3
		.amdhsa_dx10_clamp 1
		.amdhsa_ieee_mode 1
		.amdhsa_fp16_overflow 0
		.amdhsa_workgroup_processor_mode 1
		.amdhsa_memory_ordered 1
		.amdhsa_forward_progress 0
		.amdhsa_shared_vgpr_count 0
		.amdhsa_exception_fp_ieee_invalid_op 0
		.amdhsa_exception_fp_denorm_src 0
		.amdhsa_exception_fp_ieee_div_zero 0
		.amdhsa_exception_fp_ieee_overflow 0
		.amdhsa_exception_fp_ieee_underflow 0
		.amdhsa_exception_fp_ieee_inexact 0
		.amdhsa_exception_int_div_zero 0
	.end_amdhsa_kernel
	.section	.text._Z39paged_attention_ll4mi_QKV_mfma16_kernelI14__hip_bfloat16hLN4vllm18Fp8KVCacheDataTypeE1ES0_Li32ELi64ELi256ELb0ELi12EL8MFMAType1EEvPKT_PKT0_S9_ifPKiSB_SB_iPKfiiiPfSE_PS4_PT2_iSD_SD_,"axG",@progbits,_Z39paged_attention_ll4mi_QKV_mfma16_kernelI14__hip_bfloat16hLN4vllm18Fp8KVCacheDataTypeE1ES0_Li32ELi64ELi256ELb0ELi12EL8MFMAType1EEvPKT_PKT0_S9_ifPKiSB_SB_iPKfiiiPfSE_PS4_PT2_iSD_SD_,comdat
.Lfunc_end1497:
	.size	_Z39paged_attention_ll4mi_QKV_mfma16_kernelI14__hip_bfloat16hLN4vllm18Fp8KVCacheDataTypeE1ES0_Li32ELi64ELi256ELb0ELi12EL8MFMAType1EEvPKT_PKT0_S9_ifPKiSB_SB_iPKfiiiPfSE_PS4_PT2_iSD_SD_, .Lfunc_end1497-_Z39paged_attention_ll4mi_QKV_mfma16_kernelI14__hip_bfloat16hLN4vllm18Fp8KVCacheDataTypeE1ES0_Li32ELi64ELi256ELb0ELi12EL8MFMAType1EEvPKT_PKT0_S9_ifPKiSB_SB_iPKfiiiPfSE_PS4_PT2_iSD_SD_
                                        ; -- End function
	.section	.AMDGPU.csdata,"",@progbits
; Kernel info:
; codeLenInByte = 8872
; NumSgprs: 42
; NumVgprs: 124
; ScratchSize: 0
; MemoryBound: 0
; FloatMode: 240
; IeeeMode: 1
; LDSByteSize: 17472 bytes/workgroup (compile time only)
; SGPRBlocks: 5
; VGPRBlocks: 15
; NumSGPRsForWavesPerEU: 42
; NumVGPRsForWavesPerEU: 124
; Occupancy: 10
; WaveLimiterHint : 1
; COMPUTE_PGM_RSRC2:SCRATCH_EN: 0
; COMPUTE_PGM_RSRC2:USER_SGPR: 13
; COMPUTE_PGM_RSRC2:TRAP_HANDLER: 0
; COMPUTE_PGM_RSRC2:TGID_X_EN: 1
; COMPUTE_PGM_RSRC2:TGID_Y_EN: 1
; COMPUTE_PGM_RSRC2:TGID_Z_EN: 1
; COMPUTE_PGM_RSRC2:TIDIG_COMP_CNT: 0
	.section	.text._Z39paged_attention_ll4mi_QKV_mfma16_kernelI14__hip_bfloat16hLN4vllm18Fp8KVCacheDataTypeE1ES0_Li32ELi64ELi256ELb0ELi13EL8MFMAType1EEvPKT_PKT0_S9_ifPKiSB_SB_iPKfiiiPfSE_PS4_PT2_iSD_SD_,"axG",@progbits,_Z39paged_attention_ll4mi_QKV_mfma16_kernelI14__hip_bfloat16hLN4vllm18Fp8KVCacheDataTypeE1ES0_Li32ELi64ELi256ELb0ELi13EL8MFMAType1EEvPKT_PKT0_S9_ifPKiSB_SB_iPKfiiiPfSE_PS4_PT2_iSD_SD_,comdat
	.protected	_Z39paged_attention_ll4mi_QKV_mfma16_kernelI14__hip_bfloat16hLN4vllm18Fp8KVCacheDataTypeE1ES0_Li32ELi64ELi256ELb0ELi13EL8MFMAType1EEvPKT_PKT0_S9_ifPKiSB_SB_iPKfiiiPfSE_PS4_PT2_iSD_SD_ ; -- Begin function _Z39paged_attention_ll4mi_QKV_mfma16_kernelI14__hip_bfloat16hLN4vllm18Fp8KVCacheDataTypeE1ES0_Li32ELi64ELi256ELb0ELi13EL8MFMAType1EEvPKT_PKT0_S9_ifPKiSB_SB_iPKfiiiPfSE_PS4_PT2_iSD_SD_
	.globl	_Z39paged_attention_ll4mi_QKV_mfma16_kernelI14__hip_bfloat16hLN4vllm18Fp8KVCacheDataTypeE1ES0_Li32ELi64ELi256ELb0ELi13EL8MFMAType1EEvPKT_PKT0_S9_ifPKiSB_SB_iPKfiiiPfSE_PS4_PT2_iSD_SD_
	.p2align	8
	.type	_Z39paged_attention_ll4mi_QKV_mfma16_kernelI14__hip_bfloat16hLN4vllm18Fp8KVCacheDataTypeE1ES0_Li32ELi64ELi256ELb0ELi13EL8MFMAType1EEvPKT_PKT0_S9_ifPKiSB_SB_iPKfiiiPfSE_PS4_PT2_iSD_SD_,@function
_Z39paged_attention_ll4mi_QKV_mfma16_kernelI14__hip_bfloat16hLN4vllm18Fp8KVCacheDataTypeE1ES0_Li32ELi64ELi256ELb0ELi13EL8MFMAType1EEvPKT_PKT0_S9_ifPKiSB_SB_iPKfiiiPfSE_PS4_PT2_iSD_SD_: ; @_Z39paged_attention_ll4mi_QKV_mfma16_kernelI14__hip_bfloat16hLN4vllm18Fp8KVCacheDataTypeE1ES0_Li32ELi64ELi256ELb0ELi13EL8MFMAType1EEvPKT_PKT0_S9_ifPKiSB_SB_iPKfiiiPfSE_PS4_PT2_iSD_SD_
; %bb.0:
	s_load_b64 s[2:3], s[0:1], 0x30
	s_mov_b32 s34, s13
	s_waitcnt lgkmcnt(0)
	s_cmp_lg_u64 s[2:3], 0
	s_cselect_b32 s8, -1, 0
	s_ashr_i32 s35, s13, 31
	s_cmp_eq_u64 s[2:3], 0
	s_cbranch_scc1 .LBB1498_3
; %bb.1:
	s_lshl_b64 s[4:5], s[34:35], 2
	s_delay_alu instid0(SALU_CYCLE_1) | instskip(SKIP_4) | instid1(SALU_CYCLE_1)
	s_add_u32 s4, s2, s4
	s_addc_u32 s5, s3, s5
	s_load_b64 s[4:5], s[4:5], 0x0
	s_waitcnt lgkmcnt(0)
	s_sub_i32 s4, s5, s4
	s_cmp_eq_u32 s4, 1
	s_cselect_b32 s4, -1, 0
	s_delay_alu instid0(SALU_CYCLE_1)
	s_and_not1_b32 vcc_lo, exec_lo, s4
	s_cbranch_vccz .LBB1498_4
.LBB1498_2:
	s_nop 0
	s_sendmsg sendmsg(MSG_DEALLOC_VGPRS)
	s_endpgm
.LBB1498_3:
.LBB1498_4:
	s_load_b64 s[4:5], s[0:1], 0x28
	s_lshl_b64 s[6:7], s[34:35], 2
	s_waitcnt lgkmcnt(0)
	s_add_u32 s4, s4, s6
	s_addc_u32 s5, s5, s7
	s_lshl_b32 s12, s14, 8
	s_load_b32 s24, s[4:5], 0x0
	s_waitcnt lgkmcnt(0)
	s_cmp_ge_i32 s12, s24
	s_cbranch_scc1 .LBB1498_2
; %bb.5:
	s_clause 0x1
	s_load_b128 s[20:23], s[0:1], 0x8
	s_load_b64 s[4:5], s[0:1], 0x20
	s_and_not1_b32 vcc_lo, exec_lo, s8
	s_cbranch_vccnz .LBB1498_7
; %bb.6:
	s_add_u32 s2, s2, s6
	s_addc_u32 s3, s3, s7
	s_load_b32 s3, s[2:3], 0x0
	s_branch .LBB1498_8
.LBB1498_7:
	s_mov_b32 s3, s34
.LBB1498_8:
	s_load_b128 s[16:19], s[0:1], 0x48
	v_lshrrev_b32_e32 v66, 5, v0
	v_bfe_u32 v74, v0, 4, 1
	v_and_b32_e32 v65, 15, v0
	v_and_b32_e32 v67, 31, v0
	;; [unrolled: 1-line block ×3, first 2 shown]
	s_mul_i32 s31, s15, 13
	v_lshl_or_b32 v1, v66, 1, v74
	v_lshlrev_b32_e32 v2, 3, v65
	v_cmp_gt_u32_e64 s2, 8, v65
	s_delay_alu instid0(VALU_DEP_3) | instskip(NEXT) | instid1(VALU_DEP_3)
	v_cmp_gt_u32_e32 vcc_lo, 13, v1
	v_lshlrev_b32_e32 v73, 1, v2
	s_delay_alu instid0(VALU_DEP_3) | instskip(NEXT) | instid1(SALU_CYCLE_1)
	s_and_b32 s7, s2, vcc_lo
	s_and_saveexec_b32 s6, s7
	s_cbranch_execz .LBB1498_10
; %bb.9:
	s_load_b64 s[8:9], s[0:1], 0x0
	v_add_lshl_u32 v2, v1, s31, 6
	s_waitcnt lgkmcnt(0)
	s_mul_hi_i32 s11, s3, s16
	s_mul_i32 s10, s3, s16
	v_lshlrev_b32_e32 v6, 10, v65
	s_lshl_b64 s[10:11], s[10:11], 1
	v_ashrrev_i32_e32 v3, 31, v2
	v_lshlrev_b32_e32 v1, 6, v1
	v_lshlrev_b32_e32 v7, 10, v75
	v_and_b32_e32 v6, 0x3800, v6
	s_delay_alu instid0(VALU_DEP_4) | instskip(NEXT) | instid1(VALU_DEP_2)
	v_lshlrev_b64 v[2:3], 1, v[2:3]
	v_or3_b32 v1, v6, v7, v1
	s_add_u32 s3, s8, s10
	s_addc_u32 s7, s9, s11
	s_delay_alu instid0(VALU_DEP_2) | instskip(NEXT) | instid1(VALU_DEP_3)
	v_add_co_u32 v2, vcc_lo, s3, v2
	v_add_co_ci_u32_e32 v3, vcc_lo, s7, v3, vcc_lo
	s_delay_alu instid0(VALU_DEP_2) | instskip(NEXT) | instid1(VALU_DEP_2)
	v_add_co_u32 v2, vcc_lo, v2, v73
	v_add_co_ci_u32_e32 v3, vcc_lo, 0, v3, vcc_lo
	global_load_b128 v[2:5], v[2:3], off
	s_waitcnt vmcnt(0)
	ds_store_b128 v1, v[2:5]
.LBB1498_10:
	s_or_b32 exec_lo, exec_lo, s6
	v_and_b32_e32 v1, 0xef, v0
	s_waitcnt lgkmcnt(0)
	s_add_i32 s3, s24, 31
	s_clause 0x1
	s_load_b32 s6, s[0:1], 0x38
	s_load_b32 s19, s[0:1], 0x1c
	s_ashr_i32 s7, s3, 31
	v_add_nc_u32_e32 v1, s12, v1
	s_lshr_b32 s7, s7, 27
	s_waitcnt lgkmcnt(0)
	s_add_i32 s3, s3, s7
	s_barrier
	v_ashrrev_i32_e32 v2, 31, v1
	v_or_b32_e32 v3, 16, v1
	s_ashr_i32 s3, s3, 5
	v_cmp_gt_i32_e32 vcc_lo, s24, v1
	s_add_i32 s3, s3, -1
	v_lshrrev_b32_e32 v2, 27, v2
	buffer_gl0_inv
	s_mul_i32 s27, s15, s18
	v_add_nc_u32_e32 v4, v1, v2
	s_mul_i32 s6, s34, s6
	s_delay_alu instid0(SALU_CYCLE_1) | instskip(NEXT) | instid1(VALU_DEP_1)
	s_ashr_i32 s7, s6, 31
	v_ashrrev_i32_e32 v4, 5, v4
	v_add_nc_u32_e32 v2, v3, v2
	s_lshl_b64 s[6:7], s[6:7], 2
	s_delay_alu instid0(SALU_CYCLE_1) | instskip(NEXT) | instid1(VALU_DEP_2)
	s_add_u32 s26, s4, s6
	v_cndmask_b32_e32 v1, s3, v4, vcc_lo
	s_delay_alu instid0(VALU_DEP_2)
	v_ashrrev_i32_e32 v2, 5, v2
	v_cmp_gt_i32_e32 vcc_lo, s24, v3
	s_addc_u32 s25, s5, s7
	s_ashr_i32 s28, s27, 31
	s_add_u32 s4, s20, s27
	s_addc_u32 s5, s21, s28
	v_cndmask_b32_e32 v3, s3, v2, vcc_lo
	v_ashrrev_i32_e32 v2, 31, v1
	s_lshl_b32 s6, s14, 3
	s_delay_alu instid0(SALU_CYCLE_1) | instskip(NEXT) | instid1(VALU_DEP_2)
	s_ashr_i32 s7, s6, 31
	v_ashrrev_i32_e32 v4, 31, v3
	s_delay_alu instid0(VALU_DEP_2) | instskip(SKIP_1) | instid1(SALU_CYCLE_1)
	v_lshlrev_b64 v[1:2], 2, v[1:2]
	s_lshl_b64 s[6:7], s[6:7], 2
	s_add_u32 s6, s26, s6
	s_delay_alu instid0(VALU_DEP_2) | instskip(SKIP_1) | instid1(VALU_DEP_2)
	v_lshlrev_b64 v[3:4], 2, v[3:4]
	s_addc_u32 s7, s25, s7
	v_add_co_u32 v1, vcc_lo, s26, v1
	v_add_co_ci_u32_e32 v2, vcc_lo, s25, v2, vcc_lo
	s_delay_alu instid0(VALU_DEP_3) | instskip(NEXT) | instid1(VALU_DEP_4)
	v_add_co_u32 v3, vcc_lo, s26, v3
	v_add_co_ci_u32_e32 v4, vcc_lo, s25, v4, vcc_lo
	s_clause 0x1
	global_load_b32 v5, v[1:2], off
	global_load_b32 v6, v[3:4], off
	s_or_b32 s8, s12, 32
	s_delay_alu instid0(SALU_CYCLE_1) | instskip(SKIP_2) | instid1(SALU_CYCLE_1)
	s_ashr_i32 s9, s8, 5
	s_cmp_lt_i32 s8, s24
	s_cselect_b32 s8, s9, s3
	s_ashr_i32 s9, s8, 31
	s_delay_alu instid0(SALU_CYCLE_1) | instskip(NEXT) | instid1(SALU_CYCLE_1)
	s_lshl_b64 s[8:9], s[8:9], 2
	s_add_u32 s8, s26, s8
	s_addc_u32 s9, s25, s9
	s_or_b32 s10, s12, 64
	s_delay_alu instid0(SALU_CYCLE_1) | instskip(SKIP_2) | instid1(SALU_CYCLE_1)
	s_ashr_i32 s11, s10, 5
	s_cmp_lt_i32 s10, s24
	s_cselect_b32 s10, s11, s3
	s_ashr_i32 s11, s10, 31
	s_delay_alu instid0(SALU_CYCLE_1) | instskip(NEXT) | instid1(SALU_CYCLE_1)
	s_lshl_b64 s[10:11], s[10:11], 2
	s_add_u32 s10, s26, s10
	s_addc_u32 s11, s25, s11
	;; [unrolled: 10-line block ×5, first 2 shown]
	s_clause 0x5
	s_load_b32 s21, s[6:7], 0x0
	s_load_b32 s13, s[8:9], 0x0
	;; [unrolled: 1-line block ×6, first 2 shown]
	s_or_b32 s8, s12, 0xc0
	s_delay_alu instid0(SALU_CYCLE_1) | instskip(SKIP_2) | instid1(SALU_CYCLE_1)
	s_ashr_i32 s9, s8, 5
	s_cmp_lt_i32 s8, s24
	s_cselect_b32 s36, s9, s3
	s_ashr_i32 s37, s36, 31
	s_delay_alu instid0(SALU_CYCLE_1) | instskip(NEXT) | instid1(SALU_CYCLE_1)
	s_lshl_b64 s[36:37], s[36:37], 2
	s_add_u32 s36, s26, s36
	s_addc_u32 s37, s25, s37
	s_or_b32 s29, s12, 0xe0
	s_delay_alu instid0(SALU_CYCLE_1)
	s_ashr_i32 s30, s29, 5
	s_cmp_lt_i32 s29, s24
	s_waitcnt vmcnt(1)
	v_mad_i64_i32 v[1:2], null, v5, s17, s[4:5]
	s_waitcnt vmcnt(0)
	v_mad_i64_i32 v[3:4], null, v6, s17, s[4:5]
	s_mov_b32 s4, 0
	s_delay_alu instid0(SALU_CYCLE_1)
	s_mov_b32 s5, s4
	s_mov_b32 s6, s4
	;; [unrolled: 1-line block ×7, first 2 shown]
	v_lshlrev_b32_e32 v5, 4, v65
	v_dual_mov_b32 v107, s11 :: v_dual_mov_b32 v102, s6
	v_mov_b32_e32 v100, s4
	v_mov_b32_e32 v106, s10
	s_delay_alu instid0(VALU_DEP_4)
	v_add_co_u32 v1, vcc_lo, v1, v5
	v_add_co_ci_u32_e32 v2, vcc_lo, 0, v2, vcc_lo
	v_add_co_u32 v3, vcc_lo, v3, v5
	v_add_co_ci_u32_e32 v4, vcc_lo, 0, v4, vcc_lo
	s_clause 0x7
	global_load_b128 v[49:52], v[1:2], off
	global_load_b128 v[53:56], v[1:2], off offset:512
	global_load_b128 v[76:79], v[3:4], off offset:256
	;; [unrolled: 1-line block ×7, first 2 shown]
	v_add_nc_u32_e32 v1, -13, v65
	v_cmp_gt_u32_e32 vcc_lo, 13, v65
	v_dual_mov_b32 v104, s8 :: v_dual_mov_b32 v103, s7
	v_dual_mov_b32 v101, s5 :: v_dual_lshlrev_b32 v2, 5, v65
	s_delay_alu instid0(VALU_DEP_4)
	v_cndmask_b32_e32 v1, v1, v65, vcc_lo
	v_mov_b32_e32 v105, s9
	s_cselect_b32 s4, s30, s3
	s_load_b32 s3, s[36:37], 0x0
	s_ashr_i32 s5, s4, 31
	v_lshlrev_b32_e32 v70, 6, v1
	s_lshl_b64 s[4:5], s[4:5], 2
	v_lshl_or_b32 v2, v66, 9, v2
	s_add_u32 s4, s26, s4
	s_addc_u32 s5, s25, s5
	ds_load_b128 v[108:111], v70
	ds_load_b128 v[112:115], v70 offset:1024
	s_load_b32 s4, s[4:5], 0x0
	s_add_u32 s6, s22, s27
	s_addc_u32 s7, s23, s28
	v_add_co_u32 v9, s6, s6, v2
	s_delay_alu instid0(VALU_DEP_1) | instskip(SKIP_1) | instid1(VALU_DEP_1)
	v_add_co_ci_u32_e64 v10, null, s7, 0, s6
	s_waitcnt lgkmcnt(0)
	v_mad_i64_i32 v[1:2], null, s21, s17, v[9:10]
	v_mad_i64_i32 v[3:4], null, s13, s17, v[9:10]
	v_mad_i64_i32 v[5:6], null, s15, s17, v[9:10]
	v_mad_i64_i32 v[7:8], null, s16, s17, v[9:10]
	v_mad_i64_i32 v[13:14], null, s20, s17, v[9:10]
	v_mad_i64_i32 v[11:12], null, s18, s17, v[9:10]
	v_mad_i64_i32 v[21:22], null, s3, s17, v[9:10]
	s_clause 0x9
	global_load_b128 v[57:60], v[1:2], off
	global_load_b128 v[61:64], v[1:2], off offset:16
	global_load_b128 v[41:44], v[3:4], off
	global_load_b128 v[45:48], v[3:4], off offset:16
	;; [unrolled: 2-line block ×5, first 2 shown]
	v_mad_i64_i32 v[68:69], null, s4, s17, v[9:10]
	s_clause 0x3
	global_load_b128 v[9:12], v[13:14], off
	global_load_b128 v[13:16], v[13:14], off offset:16
	global_load_b128 v[17:20], v[21:22], off
	global_load_b128 v[21:24], v[21:22], off offset:16
	s_waitcnt vmcnt(20)
	v_wmma_f32_16x16x16_bf16 v[116:123], v[49:56], v[108:115], v[100:107]
	s_clause 0x1
	global_load_b128 v[49:52], v[68:69], off
	global_load_b128 v[53:56], v[68:69], off offset:16
	v_and_b32_e32 v68, 0xe0, v0
	v_mbcnt_lo_u32_b32 v69, -1, 0
	s_delay_alu instid0(VALU_DEP_2)
	v_add_nc_u32_e32 v68, s12, v68
	s_waitcnt vmcnt(20)
	v_wmma_f32_16x16x16_bf16 v[100:107], v[76:83], v[108:115], v[100:107]
	ds_load_b128 v[76:79], v70 offset:2048
	ds_load_b128 v[80:83], v70 offset:3072
	v_xor_b32_e32 v70, 16, v69
	s_waitcnt vmcnt(0) lgkmcnt(0)
	v_or_b32_e32 v68, v68, v74
	s_barrier
	buffer_gl0_inv
	v_cmp_gt_i32_e32 vcc_lo, 32, v70
	v_or_b32_e32 v71, 4, v68
	v_or_b32_e32 v72, 6, v68
	v_cmp_gt_i32_e64 s3, s24, v68
	v_or_b32_e32 v108, 8, v68
	v_or_b32_e32 v109, 10, v68
	v_cmp_gt_i32_e64 s4, s24, v71
	v_cmp_gt_i32_e64 s5, s24, v72
	s_delay_alu instid0(VALU_DEP_4) | instskip(NEXT) | instid1(VALU_DEP_4)
	v_cmp_gt_i32_e64 s6, s24, v108
	v_cmp_gt_i32_e64 s7, s24, v109
	v_wmma_f32_16x16x16_bf16 v[116:123], v[84:91], v[76:83], v[116:123]
	v_cndmask_b32_e32 v69, v69, v70, vcc_lo
	v_or_b32_e32 v70, 2, v68
	v_wmma_f32_16x16x16_bf16 v[100:107], v[92:99], v[76:83], v[100:107]
	v_or_b32_e32 v89, 22, v68
	v_dual_mul_f32 v80, s19, v121 :: v_dual_mul_f32 v81, s19, v120
	v_dual_mul_f32 v92, s19, v117 :: v_dual_mul_f32 v93, s19, v116
	s_delay_alu instid0(VALU_DEP_4)
	v_mul_f32_e32 v96, s19, v105
	v_cmp_gt_i32_e32 vcc_lo, s24, v70
	v_dual_mul_f32 v79, s19, v122 :: v_dual_mul_f32 v82, s19, v119
	v_dual_mul_f32 v83, s19, v118 :: v_dual_mul_f32 v94, s19, v107
	v_cndmask_b32_e64 v93, 0xff7fffff, v93, s3
	v_cndmask_b32_e32 v92, 0xff7fffff, v92, vcc_lo
	v_or_b32_e32 v84, 12, v68
	v_or_b32_e32 v85, 14, v68
	v_cndmask_b32_e64 v71, 0xff7fffff, v83, s4
	v_cndmask_b32_e64 v72, 0xff7fffff, v82, s5
	v_cmp_gt_i32_e64 s13, s24, v89
	v_lshlrev_b32_e32 v89, 2, v69
	v_max3_f32 v82, v93, 0xff7fffff, v92
	v_or_b32_e32 v86, 16, v68
	v_or_b32_e32 v87, 18, v68
	v_mul_f32_e32 v78, s19, v123
	v_cndmask_b32_e64 v81, 0xff7fffff, v81, s6
	v_cndmask_b32_e64 v80, 0xff7fffff, v80, s7
	v_max3_f32 v71, v82, v71, v72
	v_cmp_gt_i32_e64 s8, s24, v84
	v_cmp_gt_i32_e64 s9, s24, v85
	v_or_b32_e32 v88, 20, v68
	v_or_b32_e32 v90, 24, v68
	v_or_b32_e32 v91, 26, v68
	v_or_b32_e32 v76, 28, v68
	v_or_b32_e32 v77, 30, v68
	v_dual_mul_f32 v97, s19, v104 :: v_dual_mul_f32 v70, s19, v101
	v_dual_mul_f32 v99, s19, v102 :: v_dual_mul_f32 v68, s19, v100
	v_cndmask_b32_e64 v72, 0xff7fffff, v79, s8
	v_cndmask_b32_e64 v78, 0xff7fffff, v78, s9
	v_max3_f32 v71, v71, v81, v80
	v_cmp_gt_i32_e64 s10, s24, v86
	v_cmp_gt_i32_e64 s11, s24, v87
	v_dual_mul_f32 v95, s19, v106 :: v_dual_mul_f32 v98, s19, v103
	s_delay_alu instid0(VALU_DEP_4) | instskip(NEXT) | instid1(VALU_DEP_4)
	v_max3_f32 v71, v71, v72, v78
	v_cndmask_b32_e64 v68, 0xff7fffff, v68, s10
	s_delay_alu instid0(VALU_DEP_4)
	v_cndmask_b32_e64 v70, 0xff7fffff, v70, s11
	v_cmp_gt_i32_e64 s12, s24, v88
	v_cndmask_b32_e64 v78, 0xff7fffff, v98, s13
	v_cmp_gt_i32_e64 s15, s24, v90
	v_cmp_gt_i32_e64 s16, s24, v91
	v_max3_f32 v68, v71, v68, v70
	v_cndmask_b32_e64 v72, 0xff7fffff, v99, s12
	v_cmp_gt_i32_e64 s17, s24, v76
	v_cndmask_b32_e64 v70, 0xff7fffff, v97, s15
	v_cndmask_b32_e64 v71, 0xff7fffff, v96, s16
	v_cmp_gt_i32_e64 s18, s24, v77
	v_max3_f32 v68, v68, v72, v78
	v_cndmask_b32_e64 v72, 0xff7fffff, v95, s17
	s_delay_alu instid0(VALU_DEP_3) | instskip(NEXT) | instid1(VALU_DEP_3)
	v_cndmask_b32_e64 v76, 0xff7fffff, v94, s18
	v_max3_f32 v68, v68, v70, v71
	s_delay_alu instid0(VALU_DEP_1) | instskip(SKIP_3) | instid1(VALU_DEP_1)
	v_max3_f32 v68, v68, v72, v76
	ds_bpermute_b32 v69, v89, v68
	s_waitcnt lgkmcnt(0)
	v_max_f32_e32 v69, v69, v69
	v_max_f32_e32 v68, v68, v69
	s_delay_alu instid0(VALU_DEP_1) | instskip(NEXT) | instid1(VALU_DEP_1)
	v_fma_f32 v71, s19, v118, -v68
	v_mul_f32_e32 v71, 0x3fb8aa3b, v71
	v_fma_f32 v70, s19, v117, -v68
	v_fma_f32 v69, s19, v116, -v68
	;; [unrolled: 1-line block ×5, first 2 shown]
	s_delay_alu instid0(VALU_DEP_4) | instskip(SKIP_1) | instid1(VALU_DEP_3)
	v_dual_mul_f32 v70, 0x3fb8aa3b, v70 :: v_dual_mul_f32 v69, 0x3fb8aa3b, v69
	v_exp_f32_e32 v71, v71
	v_mul_f32_e32 v72, 0x3fb8aa3b, v72
	v_fma_f32 v81, s19, v105, -v68
	s_delay_alu instid0(VALU_DEP_3)
	v_exp_f32_e32 v70, v70
	v_mul_f32_e32 v77, 0x3fb8aa3b, v76
	v_exp_f32_e32 v69, v69
	v_exp_f32_e32 v72, v72
	v_mul_f32_e32 v81, 0x3fb8aa3b, v81
	v_cndmask_b32_e64 v83, 0, v71, s4
	v_fma_f32 v71, s19, v123, -v68
	s_delay_alu instid0(VALU_DEP_3) | instskip(SKIP_4) | instid1(TRANS32_DEP_3)
	v_exp_f32_e32 v81, v81
	v_cndmask_b32_e32 v76, 0, v70, vcc_lo
	v_exp_f32_e32 v77, v77
	v_cndmask_b32_e64 v80, 0, v69, s3
	v_fma_f32 v69, s19, v121, -v68
	v_cndmask_b32_e64 v85, 0, v72, s5
	v_mul_f32_e32 v71, 0x3fb8aa3b, v71
	v_fma_f32 v72, s19, v100, -v68
	s_delay_alu instid0(VALU_DEP_4) | instskip(SKIP_1) | instid1(VALU_DEP_4)
	v_dual_add_f32 v70, 0, v80 :: v_dual_mul_f32 v69, 0x3fb8aa3b, v69
	v_cmp_gt_u32_e64 s3, 16, v67
	v_exp_f32_e32 v71, v71
	s_delay_alu instid0(TRANS32_DEP_2) | instskip(SKIP_4) | instid1(VALU_DEP_3)
	v_cndmask_b32_e64 v86, 0, v77, s6
	v_fma_f32 v77, s19, v101, -v68
	v_mul_f32_e32 v78, 0x3fb8aa3b, v78
	v_add_f32_e32 v70, v70, v76
	v_exp_f32_e32 v69, v69
	v_mul_f32_e32 v77, 0x3fb8aa3b, v77
	s_delay_alu instid0(VALU_DEP_3) | instskip(NEXT) | instid1(TRANS32_DEP_3)
	v_exp_f32_e32 v78, v78
	v_cndmask_b32_e64 v88, 0, v71, s9
	v_fma_f32 v71, s19, v104, -v68
	s_delay_alu instid0(VALU_DEP_3) | instskip(NEXT) | instid1(TRANS32_DEP_3)
	v_exp_f32_e32 v77, v77
	v_cndmask_b32_e64 v87, 0, v69, s7
	s_delay_alu instid0(VALU_DEP_2)
	v_mul_f32_e32 v71, 0x3fb8aa3b, v71
	s_waitcnt_depctr 0xfff
	v_cndmask_b32_e64 v84, 0, v78, s8
	v_add_f32_e32 v70, v70, v83
	v_fma_f32 v78, s19, v103, -v68
	v_exp_f32_e32 v82, v71
	s_delay_alu instid0(VALU_DEP_2) | instskip(SKIP_1) | instid1(VALU_DEP_3)
	v_add_f32_e32 v70, v70, v85
	v_mul_f32_e32 v72, 0x3fb8aa3b, v72
	v_mul_f32_e32 v78, 0x3fb8aa3b, v78
	s_delay_alu instid0(VALU_DEP_3) | instskip(SKIP_1) | instid1(VALU_DEP_4)
	v_add_f32_e32 v69, v70, v86
	v_fma_f32 v70, s19, v102, -v68
	v_exp_f32_e32 v72, v72
	s_delay_alu instid0(VALU_DEP_3) | instskip(NEXT) | instid1(VALU_DEP_1)
	v_exp_f32_e32 v78, v78
	v_dual_add_f32 v69, v69, v87 :: v_dual_mul_f32 v70, 0x3fb8aa3b, v70
	s_delay_alu instid0(VALU_DEP_1) | instskip(NEXT) | instid1(VALU_DEP_2)
	v_add_f32_e32 v69, v69, v84
	v_exp_f32_e32 v79, v70
	s_delay_alu instid0(TRANS32_DEP_3) | instskip(NEXT) | instid1(VALU_DEP_2)
	v_cndmask_b32_e64 v70, 0, v72, s10
	v_add_f32_e32 v72, v69, v88
	v_cndmask_b32_e64 v69, 0, v77, s11
	v_fma_f32 v77, s19, v106, -v68
	s_waitcnt_depctr 0xfff
	v_cndmask_b32_e64 v71, 0, v79, s12
	v_dual_mul_f32 v77, 0x3fb8aa3b, v77 :: v_dual_add_f32 v72, v72, v70
	s_delay_alu instid0(VALU_DEP_1) | instskip(NEXT) | instid1(VALU_DEP_1)
	v_exp_f32_e32 v90, v77
	v_add_f32_e32 v79, v72, v69
	v_cndmask_b32_e64 v72, 0, v78, s13
	v_cndmask_b32_e64 v77, 0, v82, s15
	s_delay_alu instid0(VALU_DEP_3) | instskip(SKIP_1) | instid1(VALU_DEP_1)
	v_add_f32_e32 v78, v79, v71
	v_fma_f32 v79, s19, v107, -v68
	v_dual_add_f32 v82, v78, v72 :: v_dual_mul_f32 v79, 0x3fb8aa3b, v79
	v_cndmask_b32_e64 v78, 0, v81, s16
	s_delay_alu instid0(VALU_DEP_2) | instskip(NEXT) | instid1(VALU_DEP_3)
	v_add_f32_e32 v81, v82, v77
	v_exp_f32_e32 v82, v79
	v_cndmask_b32_e64 v79, 0, v90, s17
	s_delay_alu instid0(VALU_DEP_2) | instskip(NEXT) | instid1(VALU_DEP_1)
	v_add_f32_e32 v81, v81, v78
	v_add_f32_e32 v90, v81, v79
	s_waitcnt_depctr 0xfff
	v_cndmask_b32_e64 v81, 0, v82, s18
	s_delay_alu instid0(VALU_DEP_1)
	v_add_f32_e32 v82, v90, v81
	ds_bpermute_b32 v89, v89, v82
	s_and_saveexec_b32 s4, s3
	s_cbranch_execz .LBB1498_12
; %bb.11:
	v_mul_u32_u24_e32 v67, 0x44, v66
	s_delay_alu instid0(VALU_DEP_1) | instskip(SKIP_1) | instid1(VALU_DEP_1)
	v_lshl_add_u32 v67, v65, 2, v67
	s_waitcnt lgkmcnt(0)
	v_dual_add_f32 v82, v82, v89 :: v_dual_add_nc_u32 v67, 0x4000, v67
	ds_store_2addr_b32 v67, v68, v82 offset1:136
.LBB1498_12:
	s_or_b32 exec_lo, exec_lo, s4
	v_lshlrev_b32_e32 v67, 2, v65
	s_waitcnt lgkmcnt(0)
	s_barrier
	buffer_gl0_inv
	v_cmp_eq_u32_e32 vcc_lo, 1, v66
	v_add_nc_u32_e32 v82, 0x4000, v67
	v_cmp_eq_u32_e64 s4, 2, v66
	v_cmp_eq_u32_e64 s6, 7, v66
	ds_load_2addr_b32 v[89:90], v82 offset1:17
	ds_load_2addr_b32 v[91:92], v82 offset0:34 offset1:51
	ds_load_2addr_b32 v[93:94], v82 offset0:68 offset1:85
	;; [unrolled: 1-line block ×4, first 2 shown]
	s_waitcnt lgkmcnt(4)
	v_max3_f32 v67, v89, 0xff7fffff, v90
	s_waitcnt lgkmcnt(3)
	s_delay_alu instid0(VALU_DEP_1) | instskip(SKIP_1) | instid1(VALU_DEP_1)
	v_max3_f32 v67, v67, v91, v92
	s_waitcnt lgkmcnt(2)
	v_max3_f32 v67, v67, v93, v94
	s_waitcnt lgkmcnt(1)
	s_delay_alu instid0(VALU_DEP_1) | instskip(NEXT) | instid1(VALU_DEP_1)
	v_max3_f32 v67, v67, v95, v96
	v_sub_f32_e32 v93, v93, v67
	s_delay_alu instid0(VALU_DEP_1) | instskip(NEXT) | instid1(VALU_DEP_1)
	v_dual_sub_f32 v68, v89, v67 :: v_dual_mul_f32 v103, 0x3fb8aa3b, v93
	v_mul_f32_e32 v68, 0x3fb8aa3b, v68
	s_delay_alu instid0(VALU_DEP_1)
	v_exp_f32_e32 v100, v68
	v_sub_f32_e32 v68, v92, v67
	v_sub_f32_e32 v99, v90, v67
	ds_load_2addr_b32 v[89:90], v82 offset0:170 offset1:187
	v_dual_mul_f32 v102, 0x3fb8aa3b, v68 :: v_dual_mul_f32 v99, 0x3fb8aa3b, v99
	s_waitcnt lgkmcnt(1)
	v_fma_f32 v68, v100, v97, 0
	s_delay_alu instid0(VALU_DEP_2) | instskip(NEXT) | instid1(VALU_DEP_2)
	v_exp_f32_e32 v102, v102
	v_exp_f32_e32 v99, v99
	s_waitcnt_depctr 0xfff
	v_fmac_f32_e32 v68, v99, v98
	v_sub_f32_e32 v91, v91, v67
	s_delay_alu instid0(VALU_DEP_1)
	v_mul_f32_e32 v101, 0x3fb8aa3b, v91
	ds_load_2addr_b32 v[91:92], v82 offset0:204 offset1:221
	v_sub_f32_e32 v97, v94, v67
	ds_load_2addr_b32 v[93:94], v82 offset0:238 offset1:255
	s_waitcnt lgkmcnt(0)
	v_exp_f32_e32 v101, v101
	s_barrier
	buffer_gl0_inv
	v_dual_fmac_f32 v68, v101, v89 :: v_dual_sub_f32 v89, v96, v67
	v_dual_sub_f32 v82, v95, v67 :: v_dual_mul_f32 v95, 0x3fb8aa3b, v97
	v_exp_f32_e32 v97, v103
	s_delay_alu instid0(VALU_DEP_2) | instskip(NEXT) | instid1(VALU_DEP_2)
	v_dual_fmac_f32 v68, v102, v90 :: v_dual_mul_f32 v89, 0x3fb8aa3b, v89
	v_mul_f32_e32 v82, 0x3fb8aa3b, v82
	s_delay_alu instid0(VALU_DEP_3) | instskip(NEXT) | instid1(VALU_DEP_2)
	v_exp_f32_e32 v95, v95
	v_exp_f32_e32 v89, v89
	s_delay_alu instid0(VALU_DEP_1)
	v_exp_f32_e32 v82, v82
	v_fmac_f32_e32 v68, v97, v91
	s_delay_alu instid0(TRANS32_DEP_3) | instid1(VALU_DEP_1)
	v_fmac_f32_e32 v68, v95, v92
	s_waitcnt_depctr 0xfff
	v_fmac_f32_e32 v68, v82, v93
	s_delay_alu instid0(VALU_DEP_1) | instskip(NEXT) | instid1(VALU_DEP_1)
	v_fmac_f32_e32 v68, v89, v94
	v_add_f32_e32 v90, 0x358637bd, v68
	s_delay_alu instid0(VALU_DEP_1) | instskip(NEXT) | instid1(VALU_DEP_1)
	v_div_scale_f32 v91, null, v90, v90, 1.0
	v_rcp_f32_e32 v92, v91
	s_waitcnt_depctr 0xfff
	v_fma_f32 v93, -v91, v92, 1.0
	s_delay_alu instid0(VALU_DEP_1) | instskip(SKIP_1) | instid1(VALU_DEP_2)
	v_dual_fmac_f32 v92, v93, v92 :: v_dual_cndmask_b32 v93, v100, v99
	v_cmp_eq_u32_e32 vcc_lo, 3, v66
	v_cndmask_b32_e64 v93, v93, v101, s4
	v_cmp_eq_u32_e64 s4, 4, v66
	s_delay_alu instid0(VALU_DEP_2) | instskip(SKIP_1) | instid1(VALU_DEP_2)
	v_cndmask_b32_e32 v93, v93, v102, vcc_lo
	v_cmp_eq_u32_e32 vcc_lo, 5, v66
	v_cndmask_b32_e64 v93, v93, v97, s4
	v_cmp_eq_u32_e64 s4, 6, v66
	s_delay_alu instid0(VALU_DEP_2) | instskip(SKIP_1) | instid1(VALU_DEP_1)
	v_cndmask_b32_e32 v93, v93, v95, vcc_lo
	v_div_scale_f32 v94, s5, 1.0, v90, 1.0
	s_mov_b32 vcc_lo, s5
	s_delay_alu instid0(VALU_DEP_2) | instskip(NEXT) | instid1(VALU_DEP_2)
	v_cndmask_b32_e64 v82, v93, v82, s4
	v_mul_f32_e32 v96, v94, v92
	s_mov_b32 s4, exec_lo
	s_delay_alu instid0(VALU_DEP_2) | instskip(NEXT) | instid1(VALU_DEP_2)
	v_cndmask_b32_e64 v82, v82, v89, s6
	v_fma_f32 v98, -v91, v96, v94
	s_delay_alu instid0(VALU_DEP_1) | instskip(NEXT) | instid1(VALU_DEP_1)
	v_fmac_f32_e32 v96, v98, v92
	v_fma_f32 v91, -v91, v96, v94
	s_delay_alu instid0(VALU_DEP_1) | instskip(NEXT) | instid1(VALU_DEP_1)
	v_div_fmas_f32 v91, v91, v92, v96
	v_div_fixup_f32 v90, v91, v90, 1.0
	s_delay_alu instid0(VALU_DEP_1) | instskip(NEXT) | instid1(VALU_DEP_1)
	v_mul_f32_e32 v82, v82, v90
	v_mul_f32_e32 v87, v82, v87
	;; [unrolled: 1-line block ×7, first 2 shown]
	v_dual_mul_f32 v86, v82, v83 :: v_dual_and_b32 v91, 0x7f800000, v90
	v_mul_f32_e32 v85, v82, v76
                                        ; implicit-def: $vgpr76
	s_delay_alu instid0(VALU_DEP_2)
	v_cmpx_ne_u32_e32 0x7f800000, v91
	s_xor_b32 s4, exec_lo, s4
; %bb.13:
	v_bfe_u32 v76, v90, 16, 1
	s_delay_alu instid0(VALU_DEP_1)
	v_add3_u32 v76, v90, v76, 0x7fff
                                        ; implicit-def: $vgpr90
; %bb.14:
	s_and_not1_saveexec_b32 s4, s4
; %bb.15:
	v_and_b32_e32 v76, 0xffff, v90
	v_or_b32_e32 v83, 0x10000, v90
	s_delay_alu instid0(VALU_DEP_2) | instskip(NEXT) | instid1(VALU_DEP_2)
	v_cmp_eq_u32_e32 vcc_lo, 0, v76
	v_cndmask_b32_e32 v76, v83, v90, vcc_lo
; %bb.16:
	s_or_b32 exec_lo, exec_lo, s4
	v_and_b32_e32 v83, 0x7f800000, v85
	s_delay_alu instid0(VALU_DEP_1) | instskip(SKIP_1) | instid1(SALU_CYCLE_1)
	v_cmp_ne_u32_e32 vcc_lo, 0x7f800000, v83
                                        ; implicit-def: $vgpr83
	s_and_saveexec_b32 s4, vcc_lo
	s_xor_b32 s4, exec_lo, s4
; %bb.17:
	v_bfe_u32 v83, v85, 16, 1
	s_delay_alu instid0(VALU_DEP_1)
	v_add3_u32 v83, v85, v83, 0x7fff
                                        ; implicit-def: $vgpr85
; %bb.18:
	s_and_not1_saveexec_b32 s4, s4
; %bb.19:
	v_and_b32_e32 v83, 0xffff, v85
	v_or_b32_e32 v90, 0x10000, v85
	s_delay_alu instid0(VALU_DEP_2) | instskip(NEXT) | instid1(VALU_DEP_2)
	v_cmp_eq_u32_e32 vcc_lo, 0, v83
	v_cndmask_b32_e32 v83, v90, v85, vcc_lo
; %bb.20:
	s_or_b32 exec_lo, exec_lo, s4
	v_and_b32_e32 v85, 0x7f800000, v86
	s_delay_alu instid0(VALU_DEP_1) | instskip(SKIP_1) | instid1(SALU_CYCLE_1)
	v_cmp_ne_u32_e32 vcc_lo, 0x7f800000, v85
                                        ; implicit-def: $vgpr85
	s_and_saveexec_b32 s4, vcc_lo
	s_xor_b32 s4, exec_lo, s4
; %bb.21:
	v_bfe_u32 v85, v86, 16, 1
	s_delay_alu instid0(VALU_DEP_1)
	v_add3_u32 v85, v86, v85, 0x7fff
                                        ; implicit-def: $vgpr86
; %bb.22:
	s_and_not1_saveexec_b32 s4, s4
; %bb.23:
	v_and_b32_e32 v85, 0xffff, v86
	v_or_b32_e32 v90, 0x10000, v86
	s_delay_alu instid0(VALU_DEP_2) | instskip(NEXT) | instid1(VALU_DEP_2)
	v_cmp_eq_u32_e32 vcc_lo, 0, v85
	v_cndmask_b32_e32 v85, v90, v86, vcc_lo
; %bb.24:
	s_or_b32 exec_lo, exec_lo, s4
	v_and_b32_e32 v86, 0x7f800000, v89
	s_delay_alu instid0(VALU_DEP_1) | instskip(SKIP_1) | instid1(SALU_CYCLE_1)
	v_cmp_ne_u32_e32 vcc_lo, 0x7f800000, v86
                                        ; implicit-def: $vgpr86
	s_and_saveexec_b32 s4, vcc_lo
	s_xor_b32 s4, exec_lo, s4
; %bb.25:
	v_bfe_u32 v86, v89, 16, 1
	s_delay_alu instid0(VALU_DEP_1)
	v_add3_u32 v86, v89, v86, 0x7fff
                                        ; implicit-def: $vgpr89
; %bb.26:
	s_and_not1_saveexec_b32 s4, s4
; %bb.27:
	v_and_b32_e32 v86, 0xffff, v89
	v_or_b32_e32 v90, 0x10000, v89
	s_delay_alu instid0(VALU_DEP_2) | instskip(NEXT) | instid1(VALU_DEP_2)
	v_cmp_eq_u32_e32 vcc_lo, 0, v86
	v_cndmask_b32_e32 v86, v90, v89, vcc_lo
; %bb.28:
	s_or_b32 exec_lo, exec_lo, s4
	v_and_b32_e32 v89, 0x7f800000, v88
	s_delay_alu instid0(VALU_DEP_1) | instskip(SKIP_1) | instid1(SALU_CYCLE_1)
	v_cmp_ne_u32_e32 vcc_lo, 0x7f800000, v89
                                        ; implicit-def: $vgpr89
	s_and_saveexec_b32 s4, vcc_lo
	s_xor_b32 s4, exec_lo, s4
; %bb.29:
	v_bfe_u32 v89, v88, 16, 1
	s_delay_alu instid0(VALU_DEP_1)
	v_add3_u32 v89, v88, v89, 0x7fff
                                        ; implicit-def: $vgpr88
; %bb.30:
	s_and_not1_saveexec_b32 s4, s4
; %bb.31:
	v_and_b32_e32 v89, 0xffff, v88
	v_or_b32_e32 v90, 0x10000, v88
	s_delay_alu instid0(VALU_DEP_2) | instskip(NEXT) | instid1(VALU_DEP_2)
	v_cmp_eq_u32_e32 vcc_lo, 0, v89
	v_cndmask_b32_e32 v89, v90, v88, vcc_lo
; %bb.32:
	s_or_b32 exec_lo, exec_lo, s4
	v_and_b32_e32 v88, 0x7f800000, v87
	s_delay_alu instid0(VALU_DEP_1) | instskip(SKIP_1) | instid1(SALU_CYCLE_1)
	v_cmp_ne_u32_e32 vcc_lo, 0x7f800000, v88
                                        ; implicit-def: $vgpr88
	s_and_saveexec_b32 s4, vcc_lo
	s_xor_b32 s4, exec_lo, s4
; %bb.33:
	v_bfe_u32 v88, v87, 16, 1
	s_delay_alu instid0(VALU_DEP_1)
	v_add3_u32 v88, v87, v88, 0x7fff
                                        ; implicit-def: $vgpr87
; %bb.34:
	s_and_not1_saveexec_b32 s4, s4
; %bb.35:
	v_and_b32_e32 v88, 0xffff, v87
	v_or_b32_e32 v90, 0x10000, v87
	s_delay_alu instid0(VALU_DEP_2) | instskip(NEXT) | instid1(VALU_DEP_2)
	v_cmp_eq_u32_e32 vcc_lo, 0, v88
	v_cndmask_b32_e32 v88, v90, v87, vcc_lo
; %bb.36:
	s_or_b32 exec_lo, exec_lo, s4
	v_and_b32_e32 v87, 0x7f800000, v84
	s_delay_alu instid0(VALU_DEP_1) | instskip(SKIP_1) | instid1(SALU_CYCLE_1)
	v_cmp_ne_u32_e32 vcc_lo, 0x7f800000, v87
                                        ; implicit-def: $vgpr87
	s_and_saveexec_b32 s4, vcc_lo
	s_xor_b32 s4, exec_lo, s4
; %bb.37:
	v_bfe_u32 v87, v84, 16, 1
	s_delay_alu instid0(VALU_DEP_1)
	v_add3_u32 v87, v84, v87, 0x7fff
                                        ; implicit-def: $vgpr84
; %bb.38:
	s_and_not1_saveexec_b32 s4, s4
; %bb.39:
	v_and_b32_e32 v87, 0xffff, v84
	v_or_b32_e32 v90, 0x10000, v84
	s_delay_alu instid0(VALU_DEP_2) | instskip(NEXT) | instid1(VALU_DEP_2)
	v_cmp_eq_u32_e32 vcc_lo, 0, v87
	v_cndmask_b32_e32 v87, v90, v84, vcc_lo
; %bb.40:
	s_or_b32 exec_lo, exec_lo, s4
	v_and_b32_e32 v84, 0x7f800000, v80
	s_delay_alu instid0(VALU_DEP_1) | instskip(SKIP_1) | instid1(SALU_CYCLE_1)
	v_cmp_ne_u32_e32 vcc_lo, 0x7f800000, v84
                                        ; implicit-def: $vgpr84
	s_and_saveexec_b32 s4, vcc_lo
	s_xor_b32 s4, exec_lo, s4
; %bb.41:
	v_bfe_u32 v84, v80, 16, 1
	s_delay_alu instid0(VALU_DEP_1)
	v_add3_u32 v84, v80, v84, 0x7fff
                                        ; implicit-def: $vgpr80
; %bb.42:
	s_and_not1_saveexec_b32 s4, s4
; %bb.43:
	v_and_b32_e32 v84, 0xffff, v80
	v_or_b32_e32 v90, 0x10000, v80
	s_delay_alu instid0(VALU_DEP_2) | instskip(NEXT) | instid1(VALU_DEP_2)
	v_cmp_eq_u32_e32 vcc_lo, 0, v84
	v_cndmask_b32_e32 v84, v90, v80, vcc_lo
; %bb.44:
	s_or_b32 exec_lo, exec_lo, s4
	s_load_b64 s[36:37], s[0:1], 0x94
	v_lshlrev_b32_e32 v91, 4, v74
	s_delay_alu instid0(VALU_DEP_2)
	v_perm_b32 v90, v84, v87, 0x7060302
	v_dual_mul_f32 v79, v82, v79 :: v_dual_lshlrev_b32 v80, 6, v65
	v_dual_mul_f32 v77, v82, v77 :: v_dual_lshlrev_b32 v92, 11, v66
	v_mul_f32_e32 v84, v82, v70
	v_perm_b32 v89, v88, v89, 0x7060302
	v_perm_b32 v88, v86, v85, 0x7060302
	;; [unrolled: 1-line block ×3, first 2 shown]
	v_mul_f32_e32 v70, v82, v81
	v_or3_b32 v76, v91, v92, v80
	v_dual_mul_f32 v78, v82, v78 :: v_dual_and_b32 v85, 0x7f800000, v84
	v_mul_f32_e32 v83, v82, v72
	v_mul_f32_e32 v81, v82, v71
	;; [unrolled: 1-line block ×3, first 2 shown]
	s_mov_b32 s4, exec_lo
	ds_store_b128 v76, v[87:90]
                                        ; implicit-def: $vgpr69
	v_cmpx_ne_u32_e32 0x7f800000, v85
	s_xor_b32 s4, exec_lo, s4
; %bb.45:
	v_bfe_u32 v69, v84, 16, 1
	s_delay_alu instid0(VALU_DEP_1)
	v_add3_u32 v69, v84, v69, 0x7fff
                                        ; implicit-def: $vgpr84
; %bb.46:
	s_and_not1_saveexec_b32 s4, s4
; %bb.47:
	v_and_b32_e32 v69, 0xffff, v84
	v_or_b32_e32 v71, 0x10000, v84
	s_delay_alu instid0(VALU_DEP_2) | instskip(NEXT) | instid1(VALU_DEP_2)
	v_cmp_eq_u32_e32 vcc_lo, 0, v69
	v_cndmask_b32_e32 v69, v71, v84, vcc_lo
; %bb.48:
	s_or_b32 exec_lo, exec_lo, s4
	v_and_b32_e32 v71, 0x7f800000, v72
	s_delay_alu instid0(VALU_DEP_1) | instskip(SKIP_1) | instid1(SALU_CYCLE_1)
	v_cmp_ne_u32_e32 vcc_lo, 0x7f800000, v71
                                        ; implicit-def: $vgpr71
	s_and_saveexec_b32 s4, vcc_lo
	s_xor_b32 s4, exec_lo, s4
; %bb.49:
	v_bfe_u32 v71, v72, 16, 1
	s_delay_alu instid0(VALU_DEP_1)
	v_add3_u32 v71, v72, v71, 0x7fff
                                        ; implicit-def: $vgpr72
; %bb.50:
	s_and_not1_saveexec_b32 s4, s4
; %bb.51:
	v_and_b32_e32 v71, 0xffff, v72
	v_or_b32_e32 v82, 0x10000, v72
	s_delay_alu instid0(VALU_DEP_2) | instskip(NEXT) | instid1(VALU_DEP_2)
	v_cmp_eq_u32_e32 vcc_lo, 0, v71
	v_cndmask_b32_e32 v71, v82, v72, vcc_lo
; %bb.52:
	s_or_b32 exec_lo, exec_lo, s4
	v_and_b32_e32 v72, 0x7f800000, v81
	s_delay_alu instid0(VALU_DEP_1) | instskip(SKIP_1) | instid1(SALU_CYCLE_1)
	v_cmp_ne_u32_e32 vcc_lo, 0x7f800000, v72
                                        ; implicit-def: $vgpr72
	s_and_saveexec_b32 s4, vcc_lo
	s_xor_b32 s4, exec_lo, s4
; %bb.53:
	v_bfe_u32 v72, v81, 16, 1
	s_delay_alu instid0(VALU_DEP_1)
	v_add3_u32 v72, v81, v72, 0x7fff
                                        ; implicit-def: $vgpr81
; %bb.54:
	s_and_not1_saveexec_b32 s4, s4
; %bb.55:
	v_and_b32_e32 v72, 0xffff, v81
	v_or_b32_e32 v82, 0x10000, v81
	s_delay_alu instid0(VALU_DEP_2) | instskip(NEXT) | instid1(VALU_DEP_2)
	v_cmp_eq_u32_e32 vcc_lo, 0, v72
	v_cndmask_b32_e32 v72, v82, v81, vcc_lo
; %bb.56:
	s_or_b32 exec_lo, exec_lo, s4
	v_and_b32_e32 v81, 0x7f800000, v83
	s_delay_alu instid0(VALU_DEP_1) | instskip(SKIP_1) | instid1(SALU_CYCLE_1)
	v_cmp_ne_u32_e32 vcc_lo, 0x7f800000, v81
                                        ; implicit-def: $vgpr81
	s_and_saveexec_b32 s4, vcc_lo
	s_xor_b32 s4, exec_lo, s4
; %bb.57:
	v_bfe_u32 v81, v83, 16, 1
	s_delay_alu instid0(VALU_DEP_1)
	v_add3_u32 v81, v83, v81, 0x7fff
                                        ; implicit-def: $vgpr83
; %bb.58:
	s_and_not1_saveexec_b32 s4, s4
; %bb.59:
	v_and_b32_e32 v81, 0xffff, v83
	v_or_b32_e32 v82, 0x10000, v83
	s_delay_alu instid0(VALU_DEP_2) | instskip(NEXT) | instid1(VALU_DEP_2)
	v_cmp_eq_u32_e32 vcc_lo, 0, v81
	v_cndmask_b32_e32 v81, v82, v83, vcc_lo
; %bb.60:
	s_or_b32 exec_lo, exec_lo, s4
	v_and_b32_e32 v82, 0x7f800000, v77
	s_delay_alu instid0(VALU_DEP_1) | instskip(SKIP_1) | instid1(SALU_CYCLE_1)
	v_cmp_ne_u32_e32 vcc_lo, 0x7f800000, v82
                                        ; implicit-def: $vgpr82
	s_and_saveexec_b32 s4, vcc_lo
	s_xor_b32 s4, exec_lo, s4
; %bb.61:
	v_bfe_u32 v82, v77, 16, 1
	s_delay_alu instid0(VALU_DEP_1)
	v_add3_u32 v82, v77, v82, 0x7fff
                                        ; implicit-def: $vgpr77
; %bb.62:
	s_and_not1_saveexec_b32 s4, s4
; %bb.63:
	v_and_b32_e32 v82, 0xffff, v77
	v_or_b32_e32 v83, 0x10000, v77
	s_delay_alu instid0(VALU_DEP_2) | instskip(NEXT) | instid1(VALU_DEP_2)
	v_cmp_eq_u32_e32 vcc_lo, 0, v82
	v_cndmask_b32_e32 v82, v83, v77, vcc_lo
; %bb.64:
	s_or_b32 exec_lo, exec_lo, s4
	v_and_b32_e32 v77, 0x7f800000, v78
	s_delay_alu instid0(VALU_DEP_1) | instskip(SKIP_1) | instid1(SALU_CYCLE_1)
	v_cmp_ne_u32_e32 vcc_lo, 0x7f800000, v77
                                        ; implicit-def: $vgpr77
	s_and_saveexec_b32 s4, vcc_lo
	s_xor_b32 s4, exec_lo, s4
; %bb.65:
	v_bfe_u32 v77, v78, 16, 1
	s_delay_alu instid0(VALU_DEP_1)
	v_add3_u32 v77, v78, v77, 0x7fff
                                        ; implicit-def: $vgpr78
; %bb.66:
	s_and_not1_saveexec_b32 s4, s4
; %bb.67:
	v_and_b32_e32 v77, 0xffff, v78
	v_or_b32_e32 v83, 0x10000, v78
	s_delay_alu instid0(VALU_DEP_2) | instskip(NEXT) | instid1(VALU_DEP_2)
	v_cmp_eq_u32_e32 vcc_lo, 0, v77
	v_cndmask_b32_e32 v77, v83, v78, vcc_lo
; %bb.68:
	s_or_b32 exec_lo, exec_lo, s4
	v_and_b32_e32 v78, 0x7f800000, v79
	s_delay_alu instid0(VALU_DEP_1) | instskip(SKIP_1) | instid1(SALU_CYCLE_1)
	v_cmp_ne_u32_e32 vcc_lo, 0x7f800000, v78
                                        ; implicit-def: $vgpr78
	s_and_saveexec_b32 s4, vcc_lo
	s_xor_b32 s4, exec_lo, s4
; %bb.69:
	v_bfe_u32 v78, v79, 16, 1
	s_delay_alu instid0(VALU_DEP_1)
	v_add3_u32 v78, v79, v78, 0x7fff
                                        ; implicit-def: $vgpr79
; %bb.70:
	s_and_not1_saveexec_b32 s4, s4
; %bb.71:
	v_and_b32_e32 v78, 0xffff, v79
	v_or_b32_e32 v83, 0x10000, v79
	s_delay_alu instid0(VALU_DEP_2) | instskip(NEXT) | instid1(VALU_DEP_2)
	v_cmp_eq_u32_e32 vcc_lo, 0, v78
	v_cndmask_b32_e32 v78, v83, v79, vcc_lo
; %bb.72:
	s_or_b32 exec_lo, exec_lo, s4
	v_and_b32_e32 v79, 0x7f800000, v70
	s_delay_alu instid0(VALU_DEP_1) | instskip(SKIP_1) | instid1(SALU_CYCLE_1)
	v_cmp_ne_u32_e32 vcc_lo, 0x7f800000, v79
                                        ; implicit-def: $vgpr79
	s_and_saveexec_b32 s4, vcc_lo
	s_xor_b32 s4, exec_lo, s4
; %bb.73:
	v_bfe_u32 v79, v70, 16, 1
	s_delay_alu instid0(VALU_DEP_1)
	v_add3_u32 v79, v70, v79, 0x7fff
                                        ; implicit-def: $vgpr70
; %bb.74:
	s_and_not1_saveexec_b32 s4, s4
; %bb.75:
	v_and_b32_e32 v79, 0xffff, v70
	v_or_b32_e32 v83, 0x10000, v70
	s_delay_alu instid0(VALU_DEP_2) | instskip(NEXT) | instid1(VALU_DEP_2)
	v_cmp_eq_u32_e32 vcc_lo, 0, v79
	v_cndmask_b32_e32 v79, v83, v70, vcc_lo
; %bb.76:
	s_or_b32 exec_lo, exec_lo, s4
	s_delay_alu instid0(VALU_DEP_1)
	v_perm_b32 v86, v79, v78, 0x7060302
	v_perm_b32 v85, v77, v82, 0x7060302
	;; [unrolled: 1-line block ×4, first 2 shown]
	v_lshl_or_b32 v82, v66, 11, v80
	ds_store_b128 v76, v[83:86] offset:1024
	s_waitcnt lgkmcnt(0)
	s_barrier
	buffer_gl0_inv
	ds_load_b128 v[69:72], v82
	ds_load_b128 v[83:86], v82 offset:16
	s_waitcnt lgkmcnt(1)
	v_lshrrev_b32_e32 v66, 16, v69
	s_waitcnt lgkmcnt(0)
	v_lshrrev_b32_e32 v91, 16, v83
	v_lshlrev_b32_e32 v78, 2, v74
	v_lshrrev_b32_e32 v95, 16, v70
	v_lshrrev_b32_e32 v98, 16, v84
	;; [unrolled: 1-line block ×4, first 2 shown]
	v_cmp_eq_u32_e32 vcc_lo, 1, v78
	v_lshrrev_b32_e32 v97, 16, v72
	v_lshrrev_b32_e32 v100, 16, v86
	v_cndmask_b32_e32 v87, v83, v91, vcc_lo
	v_or_b32_e32 v79, 1, v78
	v_cndmask_b32_e32 v81, v69, v66, vcc_lo
	v_cmp_eq_u32_e64 s5, 2, v78
	v_cmp_eq_u32_e64 s8, 3, v78
	;; [unrolled: 1-line block ×5, first 2 shown]
	v_cndmask_b32_e64 v81, v81, v70, s5
	v_cndmask_b32_e64 v87, v87, v84, s5
	v_cmp_eq_u32_e64 s9, 3, v79
	v_cndmask_b32_e64 v88, v69, v66, s4
	v_or_b32_e32 v77, 2, v78
	v_cndmask_b32_e64 v81, v81, v95, s8
	v_cndmask_b32_e64 v87, v87, v98, s8
	;; [unrolled: 1-line block ×4, first 2 shown]
	v_cmp_eq_u32_e64 s11, 5, v78
	v_cndmask_b32_e64 v81, v81, v71, s10
	v_cndmask_b32_e64 v87, v87, v85, s10
	v_cmp_eq_u32_e64 s12, 4, v79
	v_cndmask_b32_e64 v88, v88, v95, s9
	v_cmp_eq_u32_e64 s6, 1, v77
	v_cndmask_b32_e64 v89, v89, v84, s7
	v_cndmask_b32_e64 v81, v81, v96, s11
	v_cmp_eq_u32_e64 s13, 6, v78
	v_cndmask_b32_e64 v88, v88, v71, s12
	;; [unrolled: 3-line block ×3, first 2 shown]
	v_cndmask_b32_e64 v89, v89, v98, s9
	v_cndmask_b32_e64 v81, v81, v72, s13
	v_cmp_eq_u32_e64 s16, 7, v78
	v_cndmask_b32_e64 v88, v88, v96, s15
	v_cndmask_b32_e64 v87, v87, v86, s13
	v_cmp_eq_u32_e64 s17, 6, v79
	v_cmp_eq_u32_e64 s18, 2, v77
	v_cndmask_b32_e64 v89, v89, v85, s12
	v_cndmask_b32_e64 v101, v81, v97, s16
	;; [unrolled: 1-line block ×6, first 2 shown]
	v_cmp_eq_u32_e64 s19, 7, v79
	v_cmp_eq_u32_e64 s20, 3, v77
	;; [unrolled: 1-line block ×4, first 2 shown]
	v_cndmask_b32_e64 v87, v87, v84, s18
	v_cndmask_b32_e64 v103, v88, v97, s19
	;; [unrolled: 1-line block ×4, first 2 shown]
	v_or_b32_e32 v81, 3, v78
	v_cndmask_b32_e64 v93, v87, v98, s20
	v_cmp_eq_u32_e64 s25, 6, v77
	v_cndmask_b32_e64 v104, v88, v86, s17
	v_cndmask_b32_e64 v92, v89, v71, s21
	v_cmp_eq_u32_e64 s22, 1, v81
	ds_load_b128 v[87:90], v82 offset:1024
	v_cmp_eq_u32_e64 s24, 2, v81
	v_cmp_eq_u32_e64 s26, 3, v81
	v_cndmask_b32_e64 v105, v92, v96, s23
	v_cndmask_b32_e64 v66, v69, v66, s22
	;; [unrolled: 1-line block ×4, first 2 shown]
	ds_load_b128 v[91:94], v82 offset:1040
	v_cmp_eq_u32_e64 s27, 4, v81
	v_cndmask_b32_e64 v66, v66, v70, s24
	v_cmp_eq_u32_e64 s28, 7, v77
	v_cndmask_b32_e64 v70, v83, v84, s24
	v_cndmask_b32_e64 v84, v105, v72, s25
	v_cmp_eq_u32_e64 s29, 5, v81
	v_cndmask_b32_e64 v66, v66, v95, s26
	v_cmp_eq_u32_e64 s30, 6, v81
	v_cndmask_b32_e64 v70, v70, v98, s26
	v_cndmask_b32_e64 v69, v69, v99, s23
	v_cndmask_b32_e64 v83, v104, v100, s19
	v_cndmask_b32_e64 v66, v66, v71, s27
	s_waitcnt lgkmcnt(1)
	v_lshrrev_b32_e32 v95, 16, v87
	v_cndmask_b32_e64 v70, v70, v85, s27
	v_cndmask_b32_e64 v71, v84, v97, s28
	;; [unrolled: 1-line block ×4, first 2 shown]
	v_cndmask_b32_e32 v84, v87, v95, vcc_lo
	v_cndmask_b32_e64 v70, v70, v99, s29
	s_waitcnt lgkmcnt(0)
	v_lshrrev_b32_e32 v85, 16, v91
	v_lshrrev_b32_e32 v96, 16, v88
	v_cndmask_b32_e64 v98, v87, v95, s4
	v_cndmask_b32_e64 v84, v84, v88, s5
	;; [unrolled: 1-line block ×3, first 2 shown]
	v_cndmask_b32_e32 v99, v91, v85, vcc_lo
	v_cmp_eq_u32_e32 vcc_lo, 7, v81
	v_cndmask_b32_e64 v66, v66, v72, s30
	v_cndmask_b32_e64 v72, v84, v96, s8
	;; [unrolled: 1-line block ×3, first 2 shown]
	v_lshrrev_b32_e32 v98, 16, v92
	v_cndmask_b32_e32 v70, v70, v100, vcc_lo
	v_cndmask_b32_e64 v86, v99, v92, s5
	v_cndmask_b32_e64 v69, v69, v100, s28
	v_lshrrev_b32_e32 v100, 16, v93
	v_cndmask_b32_e64 v72, v72, v89, s10
	v_lshrrev_b32_e32 v99, 16, v89
	v_cndmask_b32_e64 v86, v86, v98, s8
	v_perm_b32 v71, v69, v71, 0x5040100
	v_cndmask_b32_e64 v84, v84, v96, s9
	s_delay_alu instid0(VALU_DEP_3) | instskip(NEXT) | instid1(VALU_DEP_2)
	v_cndmask_b32_e64 v86, v86, v93, s10
	v_cndmask_b32_e64 v84, v84, v89, s12
	s_delay_alu instid0(VALU_DEP_2) | instskip(NEXT) | instid1(VALU_DEP_1)
	v_cndmask_b32_e64 v86, v86, v100, s11
	v_cndmask_b32_e64 v69, v86, v94, s13
	;; [unrolled: 1-line block ×5, first 2 shown]
	s_delay_alu instid0(VALU_DEP_3) | instskip(NEXT) | instid1(VALU_DEP_3)
	v_cndmask_b32_e64 v86, v86, v88, s18
	v_cndmask_b32_e64 v87, v87, v88, s24
	s_delay_alu instid0(VALU_DEP_3) | instskip(NEXT) | instid1(VALU_DEP_3)
	v_cndmask_b32_e64 v88, v95, v92, s24
	v_cndmask_b32_e64 v86, v86, v96, s20
	;; [unrolled: 3-line block ×7, first 2 shown]
	s_delay_alu instid0(VALU_DEP_3) | instskip(SKIP_2) | instid1(VALU_DEP_2)
	v_cndmask_b32_e64 v88, v88, v94, s30
	v_cndmask_b32_e32 v66, v66, v97, vcc_lo
	v_cndmask_b32_e64 v97, v72, v99, s11
	v_perm_b32 v72, v70, v66, 0x5040100
	v_perm_b32 v70, v83, v103, 0x5040100
	v_cndmask_b32_e64 v103, v91, v85, s6
	v_cndmask_b32_e64 v85, v91, v85, s4
	;; [unrolled: 1-line block ×4, first 2 shown]
	v_lshrrev_b32_e32 v97, 16, v90
	v_cndmask_b32_e64 v91, v103, v92, s18
	v_cndmask_b32_e64 v85, v85, v92, s7
	;; [unrolled: 1-line block ×3, first 2 shown]
	s_mov_b32 s4, exec_lo
	v_cndmask_b32_e64 v83, v84, v97, s16
	v_cndmask_b32_e64 v91, v91, v98, s20
	;; [unrolled: 1-line block ×3, first 2 shown]
	v_lshrrev_b32_e32 v84, 16, v94
	v_cndmask_b32_e64 v66, v66, v97, s19
	v_cndmask_b32_e64 v90, v86, v97, s28
	;; [unrolled: 1-line block ×4, first 2 shown]
	v_dual_cndmask_b32 v86, v87, v97 :: v_dual_cndmask_b32 v87, v88, v84
	v_cndmask_b32_e64 v91, v69, v84, s16
	s_delay_alu instid0(VALU_DEP_4) | instskip(NEXT) | instid1(VALU_DEP_4)
	v_cndmask_b32_e64 v89, v89, v100, s23
	v_cndmask_b32_e64 v85, v85, v100, s15
	v_perm_b32 v69, v102, v101, 0x5040100
	v_perm_b32 v86, v87, v86, 0x5040100
	;; [unrolled: 1-line block ×3, first 2 shown]
	v_cndmask_b32_e64 v89, v89, v94, s25
	v_cndmask_b32_e64 v85, v85, v94, s17
	s_mul_i32 s9, s37, 13
	s_delay_alu instid0(VALU_DEP_2) | instskip(NEXT) | instid1(VALU_DEP_2)
	v_cndmask_b32_e64 v88, v89, v84, s28
	v_cndmask_b32_e64 v89, v85, v84, s19
	s_delay_alu instid0(VALU_DEP_2) | instskip(NEXT) | instid1(VALU_DEP_2)
	v_perm_b32 v85, v88, v90, 0x5040100
	v_perm_b32 v84, v89, v66, 0x5040100
	ds_store_b128 v76, v[69:72]
	ds_store_b128 v76, v[83:86] offset:1024
	v_cmpx_gt_u32_e32 13, v0
	s_cbranch_execz .LBB1498_78
; %bb.77:
	s_mul_i32 s5, s9, s34
	s_load_b128 s[16:19], s[0:1], 0x58
	v_add3_u32 v69, s5, s31, v65
	s_delay_alu instid0(VALU_DEP_1) | instskip(NEXT) | instid1(VALU_DEP_1)
	v_mad_u64_u32 v[65:66], null, v69, s36, s[14:15]
	v_ashrrev_i32_e32 v66, 31, v65
	s_delay_alu instid0(VALU_DEP_1) | instskip(SKIP_1) | instid1(VALU_DEP_1)
	v_lshlrev_b64 v[65:66], 2, v[65:66]
	s_waitcnt lgkmcnt(0)
	v_add_co_u32 v69, vcc_lo, s18, v65
	s_delay_alu instid0(VALU_DEP_2)
	v_add_co_ci_u32_e32 v70, vcc_lo, s19, v66, vcc_lo
	v_add_co_u32 v65, vcc_lo, s16, v65
	v_add_co_ci_u32_e32 v66, vcc_lo, s17, v66, vcc_lo
	global_store_b32 v[69:70], v67, off
	global_store_b32 v[65:66], v68, off
.LBB1498_78:
	s_or_b32 exec_lo, exec_lo, s4
	s_waitcnt lgkmcnt(0)
	s_waitcnt_vscnt null, 0x0
	s_barrier
	buffer_gl0_inv
	ds_load_b128 v[83:86], v80
	ds_load_b128 v[87:90], v80 offset:16
	ds_load_b128 v[95:98], v80 offset:2064
	ds_load_b128 v[91:94], v80 offset:2048
	v_mov_b32_e32 v65, 0
	ds_load_b128 v[103:106], v80 offset:4112
	ds_load_b128 v[99:102], v80 offset:4096
	;; [unrolled: 1-line block ×4, first 2 shown]
	v_mov_b32_e32 v66, v65
	v_mov_b32_e32 v67, v65
	;; [unrolled: 1-line block ×7, first 2 shown]
	s_waitcnt lgkmcnt(6)
	s_delay_alu instid0(VALU_DEP_1)
	v_wmma_f32_16x16x16_bf16 v[65:72], v[57:64], v[83:90], v[65:72]
	ds_load_b128 v[61:64], v80 offset:8208
	ds_load_b128 v[57:60], v80 offset:8192
	s_waitcnt lgkmcnt(6)
	v_wmma_f32_16x16x16_bf16 v[65:72], v[41:48], v[91:98], v[65:72]
	ds_load_b128 v[45:48], v80 offset:10256
	ds_load_b128 v[41:44], v80 offset:10240
	s_waitcnt lgkmcnt(6)
	;; [unrolled: 4-line block ×4, first 2 shown]
	v_wmma_f32_16x16x16_bf16 v[65:72], v[1:8], v[57:64], v[65:72]
	s_waitcnt lgkmcnt(4)
	s_delay_alu instid0(VALU_DEP_1) | instskip(SKIP_1) | instid1(VALU_DEP_1)
	v_wmma_f32_16x16x16_bf16 v[65:72], v[9:16], v[41:48], v[65:72]
	s_waitcnt lgkmcnt(2)
	v_wmma_f32_16x16x16_bf16 v[65:72], v[17:24], v[33:40], v[65:72]
	s_waitcnt lgkmcnt(0)
	s_delay_alu instid0(VALU_DEP_1) | instskip(NEXT) | instid1(VALU_DEP_1)
	v_wmma_f32_16x16x16_bf16 v[65:72], v[49:56], v[25:32], v[65:72]
	v_and_b32_e32 v1, 0x7f800000, v65
	s_delay_alu instid0(VALU_DEP_1) | instskip(SKIP_1) | instid1(SALU_CYCLE_1)
	v_cmp_ne_u32_e32 vcc_lo, 0x7f800000, v1
                                        ; implicit-def: $vgpr1
	s_and_saveexec_b32 s4, vcc_lo
	s_xor_b32 s4, exec_lo, s4
; %bb.79:
	v_bfe_u32 v1, v65, 16, 1
	s_delay_alu instid0(VALU_DEP_1)
	v_add3_u32 v1, v65, v1, 0x7fff
; %bb.80:
	s_and_not1_saveexec_b32 s4, s4
; %bb.81:
	v_and_b32_e32 v1, 0xffff, v65
	v_or_b32_e32 v2, 0x10000, v65
	s_delay_alu instid0(VALU_DEP_2) | instskip(NEXT) | instid1(VALU_DEP_2)
	v_cmp_eq_u32_e32 vcc_lo, 0, v1
	v_cndmask_b32_e32 v1, v2, v65, vcc_lo
; %bb.82:
	s_or_b32 exec_lo, exec_lo, s4
	v_and_b32_e32 v2, 0x7f800000, v66
	s_delay_alu instid0(VALU_DEP_1) | instskip(SKIP_1) | instid1(SALU_CYCLE_1)
	v_cmp_ne_u32_e32 vcc_lo, 0x7f800000, v2
                                        ; implicit-def: $vgpr2
	s_and_saveexec_b32 s4, vcc_lo
	s_xor_b32 s4, exec_lo, s4
; %bb.83:
	v_bfe_u32 v2, v66, 16, 1
	s_delay_alu instid0(VALU_DEP_1)
	v_add3_u32 v2, v66, v2, 0x7fff
; %bb.84:
	s_and_not1_saveexec_b32 s4, s4
; %bb.85:
	v_and_b32_e32 v2, 0xffff, v66
	v_or_b32_e32 v3, 0x10000, v66
	s_delay_alu instid0(VALU_DEP_2) | instskip(NEXT) | instid1(VALU_DEP_2)
	v_cmp_eq_u32_e32 vcc_lo, 0, v2
	v_cndmask_b32_e32 v2, v3, v66, vcc_lo
; %bb.86:
	s_or_b32 exec_lo, exec_lo, s4
	v_and_b32_e32 v3, 0x7f800000, v67
	s_delay_alu instid0(VALU_DEP_1) | instskip(SKIP_1) | instid1(SALU_CYCLE_1)
	v_cmp_ne_u32_e32 vcc_lo, 0x7f800000, v3
                                        ; implicit-def: $vgpr3
	s_and_saveexec_b32 s4, vcc_lo
	s_xor_b32 s4, exec_lo, s4
; %bb.87:
	v_bfe_u32 v3, v67, 16, 1
	s_delay_alu instid0(VALU_DEP_1)
	v_add3_u32 v3, v67, v3, 0x7fff
; %bb.88:
	s_and_not1_saveexec_b32 s4, s4
; %bb.89:
	v_and_b32_e32 v3, 0xffff, v67
	v_or_b32_e32 v4, 0x10000, v67
	s_delay_alu instid0(VALU_DEP_2) | instskip(NEXT) | instid1(VALU_DEP_2)
	v_cmp_eq_u32_e32 vcc_lo, 0, v3
	v_cndmask_b32_e32 v3, v4, v67, vcc_lo
; %bb.90:
	s_or_b32 exec_lo, exec_lo, s4
	v_and_b32_e32 v4, 0x7f800000, v68
	s_delay_alu instid0(VALU_DEP_1) | instskip(SKIP_1) | instid1(SALU_CYCLE_1)
	v_cmp_ne_u32_e32 vcc_lo, 0x7f800000, v4
                                        ; implicit-def: $vgpr4
	s_and_saveexec_b32 s4, vcc_lo
	s_xor_b32 s4, exec_lo, s4
; %bb.91:
	v_bfe_u32 v4, v68, 16, 1
	s_delay_alu instid0(VALU_DEP_1)
	v_add3_u32 v4, v68, v4, 0x7fff
; %bb.92:
	s_and_not1_saveexec_b32 s4, s4
; %bb.93:
	v_and_b32_e32 v4, 0xffff, v68
	v_or_b32_e32 v5, 0x10000, v68
	s_delay_alu instid0(VALU_DEP_2) | instskip(NEXT) | instid1(VALU_DEP_2)
	v_cmp_eq_u32_e32 vcc_lo, 0, v4
	v_cndmask_b32_e32 v4, v5, v68, vcc_lo
; %bb.94:
	s_or_b32 exec_lo, exec_lo, s4
	v_and_b32_e32 v5, 0x7f800000, v69
	s_delay_alu instid0(VALU_DEP_1) | instskip(SKIP_1) | instid1(SALU_CYCLE_1)
	v_cmp_ne_u32_e32 vcc_lo, 0x7f800000, v5
                                        ; implicit-def: $vgpr5
	s_and_saveexec_b32 s4, vcc_lo
	s_xor_b32 s4, exec_lo, s4
; %bb.95:
	v_bfe_u32 v5, v69, 16, 1
	s_delay_alu instid0(VALU_DEP_1)
	v_add3_u32 v5, v69, v5, 0x7fff
; %bb.96:
	s_and_not1_saveexec_b32 s4, s4
; %bb.97:
	v_and_b32_e32 v5, 0xffff, v69
	v_or_b32_e32 v6, 0x10000, v69
	s_delay_alu instid0(VALU_DEP_2) | instskip(NEXT) | instid1(VALU_DEP_2)
	v_cmp_eq_u32_e32 vcc_lo, 0, v5
	v_cndmask_b32_e32 v5, v6, v69, vcc_lo
; %bb.98:
	s_or_b32 exec_lo, exec_lo, s4
	v_and_b32_e32 v6, 0x7f800000, v70
	s_delay_alu instid0(VALU_DEP_1) | instskip(SKIP_1) | instid1(SALU_CYCLE_1)
	v_cmp_ne_u32_e32 vcc_lo, 0x7f800000, v6
                                        ; implicit-def: $vgpr6
	s_and_saveexec_b32 s4, vcc_lo
	s_xor_b32 s4, exec_lo, s4
; %bb.99:
	v_bfe_u32 v6, v70, 16, 1
	s_delay_alu instid0(VALU_DEP_1)
	v_add3_u32 v6, v70, v6, 0x7fff
; %bb.100:
	s_and_not1_saveexec_b32 s4, s4
; %bb.101:
	v_and_b32_e32 v6, 0xffff, v70
	v_or_b32_e32 v7, 0x10000, v70
	s_delay_alu instid0(VALU_DEP_2) | instskip(NEXT) | instid1(VALU_DEP_2)
	v_cmp_eq_u32_e32 vcc_lo, 0, v6
	v_cndmask_b32_e32 v6, v7, v70, vcc_lo
; %bb.102:
	s_or_b32 exec_lo, exec_lo, s4
	v_and_b32_e32 v7, 0x7f800000, v71
	s_delay_alu instid0(VALU_DEP_1) | instskip(SKIP_1) | instid1(SALU_CYCLE_1)
	v_cmp_ne_u32_e32 vcc_lo, 0x7f800000, v7
                                        ; implicit-def: $vgpr7
	s_and_saveexec_b32 s4, vcc_lo
	s_xor_b32 s4, exec_lo, s4
; %bb.103:
	v_bfe_u32 v7, v71, 16, 1
	s_delay_alu instid0(VALU_DEP_1)
	v_add3_u32 v7, v71, v7, 0x7fff
; %bb.104:
	s_and_not1_saveexec_b32 s4, s4
; %bb.105:
	v_and_b32_e32 v7, 0xffff, v71
	v_or_b32_e32 v8, 0x10000, v71
	s_delay_alu instid0(VALU_DEP_2) | instskip(NEXT) | instid1(VALU_DEP_2)
	v_cmp_eq_u32_e32 vcc_lo, 0, v7
	v_cndmask_b32_e32 v7, v8, v71, vcc_lo
; %bb.106:
	s_or_b32 exec_lo, exec_lo, s4
	v_and_b32_e32 v8, 0x7f800000, v72
	s_delay_alu instid0(VALU_DEP_1) | instskip(SKIP_1) | instid1(SALU_CYCLE_1)
	v_cmp_ne_u32_e32 vcc_lo, 0x7f800000, v8
                                        ; implicit-def: $vgpr8
	s_and_saveexec_b32 s4, vcc_lo
	s_xor_b32 s4, exec_lo, s4
; %bb.107:
	v_bfe_u32 v8, v72, 16, 1
	s_delay_alu instid0(VALU_DEP_1)
	v_add3_u32 v8, v72, v8, 0x7fff
                                        ; implicit-def: $vgpr65_vgpr66_vgpr67_vgpr68_vgpr69_vgpr70_vgpr71_vgpr72
; %bb.108:
	s_and_not1_saveexec_b32 s4, s4
; %bb.109:
	v_and_b32_e32 v8, 0xffff, v72
	v_or_b32_e32 v9, 0x10000, v72
	s_delay_alu instid0(VALU_DEP_2) | instskip(NEXT) | instid1(VALU_DEP_2)
	v_cmp_eq_u32_e32 vcc_lo, 0, v8
	v_cndmask_b32_e32 v8, v9, v72, vcc_lo
; %bb.110:
	s_or_b32 exec_lo, exec_lo, s4
	s_delay_alu instid0(VALU_DEP_1)
	v_perm_b32 v7, v8, v7, 0x7060302
	v_perm_b32 v6, v6, v5, 0x7060302
	;; [unrolled: 1-line block ×4, first 2 shown]
	s_barrier
	buffer_gl0_inv
	v_cmp_eq_u32_e32 vcc_lo, 1, v78
	ds_store_b128 v76, v[4:7]
	s_waitcnt lgkmcnt(0)
	s_barrier
	buffer_gl0_inv
	ds_load_b128 v[1:4], v82
	ds_load_b128 v[5:8], v82 offset:16
	v_cmp_eq_u32_e64 s4, 1, v79
	v_cmp_eq_u32_e64 s5, 2, v78
	;; [unrolled: 1-line block ×5, first 2 shown]
	s_waitcnt lgkmcnt(1)
	v_lshrrev_b32_e32 v9, 16, v1
	s_waitcnt lgkmcnt(0)
	v_lshrrev_b32_e32 v13, 16, v5
	v_lshrrev_b32_e32 v10, 16, v2
	;; [unrolled: 1-line block ×4, first 2 shown]
	v_cndmask_b32_e64 v19, v1, v9, s4
	v_cndmask_b32_e32 v18, v5, v13, vcc_lo
	v_cndmask_b32_e64 v20, v5, v13, s4
	v_cndmask_b32_e32 v17, v1, v9, vcc_lo
	v_cmp_eq_u32_e32 vcc_lo, 2, v79
	v_lshrrev_b32_e32 v15, 16, v7
	v_cmp_eq_u32_e64 s4, 1, v77
	v_lshrrev_b32_e32 v12, 16, v4
	v_lshrrev_b32_e32 v16, 16, v8
	v_cndmask_b32_e32 v20, v20, v6, vcc_lo
	v_cndmask_b32_e64 v17, v17, v2, s5
	v_cndmask_b32_e32 v19, v19, v2, vcc_lo
	v_cndmask_b32_e64 v18, v18, v6, s5
	v_cmp_eq_u32_e32 vcc_lo, 4, v78
	v_cmp_eq_u32_e64 s5, 3, v79
	v_cndmask_b32_e64 v17, v17, v10, s6
	v_cndmask_b32_e64 v21, v1, v9, s4
	;; [unrolled: 1-line block ×5, first 2 shown]
	v_cndmask_b32_e32 v17, v17, v3, vcc_lo
	v_cndmask_b32_e64 v20, v20, v14, s5
	v_cndmask_b32_e32 v18, v18, v7, vcc_lo
	v_cmp_eq_u32_e32 vcc_lo, 4, v79
	v_cmp_eq_u32_e64 s5, 5, v79
	v_cmp_eq_u32_e64 s4, 2, v81
	v_cndmask_b32_e64 v21, v21, v2, s8
	v_cmp_eq_u32_e64 s6, 5, v78
	v_cndmask_b32_e32 v19, v19, v3, vcc_lo
	v_cndmask_b32_e32 v20, v20, v7, vcc_lo
	v_cmp_eq_u32_e32 vcc_lo, 6, v79
	s_delay_alu instid0(VALU_DEP_4) | instskip(NEXT) | instid1(VALU_DEP_4)
	v_cndmask_b32_e64 v17, v17, v11, s6
	v_cndmask_b32_e64 v19, v19, v11, s5
	s_delay_alu instid0(VALU_DEP_4) | instskip(SKIP_1) | instid1(VALU_DEP_3)
	v_cndmask_b32_e64 v20, v20, v15, s5
	v_cmp_eq_u32_e64 s5, 1, v81
	v_cndmask_b32_e32 v19, v19, v4, vcc_lo
	v_cndmask_b32_e64 v18, v18, v15, s6
	s_delay_alu instid0(VALU_DEP_3)
	v_cndmask_b32_e64 v1, v1, v9, s5
	v_cndmask_b32_e64 v5, v5, v13, s5
	v_cmp_eq_u32_e64 s5, 3, v77
	v_cndmask_b32_e64 v13, v22, v6, s8
	v_cmp_eq_u32_e64 s8, 3, v81
	v_cndmask_b32_e64 v1, v1, v2, s4
	v_cndmask_b32_e64 v2, v5, v6, s4
	;; [unrolled: 1-line block ×3, first 2 shown]
	v_cmp_eq_u32_e64 s4, 4, v77
	v_cndmask_b32_e64 v6, v13, v14, s5
	v_cndmask_b32_e64 v1, v1, v10, s8
	v_cmp_eq_u32_e64 s5, 4, v81
	v_cndmask_b32_e64 v2, v2, v14, s8
	v_cndmask_b32_e64 v5, v9, v3, s4
	;; [unrolled: 3-line block ×3, first 2 shown]
	v_cndmask_b32_e64 v2, v2, v7, s5
	v_cmp_eq_u32_e64 s4, 5, v81
	v_cmp_eq_u32_e64 s6, 6, v78
	v_cndmask_b32_e64 v5, v5, v11, s8
	v_cmp_eq_u32_e64 s5, 6, v77
	v_cndmask_b32_e64 v3, v6, v15, s8
	v_cndmask_b32_e64 v1, v1, v11, s4
	v_cmp_eq_u32_e64 s8, 6, v81
	v_cndmask_b32_e64 v2, v2, v15, s4
	v_cndmask_b32_e64 v17, v17, v4, s6
	v_cndmask_b32_e64 v18, v18, v8, s6
	v_cmp_eq_u32_e64 s6, 7, v78
	v_cndmask_b32_e64 v5, v5, v4, s5
	;; [unrolled: 4-line block ×3, first 2 shown]
	v_cmp_eq_u32_e64 s5, 7, v77
	v_cndmask_b32_e32 v4, v20, v8, vcc_lo
	v_cndmask_b32_e64 v17, v17, v12, s6
	v_cndmask_b32_e64 v19, v19, v12, s7
	;; [unrolled: 1-line block ×8, first 2 shown]
	v_cmp_gt_u32_e32 vcc_lo, 32, v0
	v_perm_b32 v4, v2, v1, 0x5040100
	v_perm_b32 v3, v3, v5, 0x5040100
	;; [unrolled: 1-line block ×4, first 2 shown]
	s_and_b32 s2, vcc_lo, s2
	ds_store_b128 v76, v[1:4]
	s_waitcnt lgkmcnt(0)
	s_barrier
	buffer_gl0_inv
	s_and_saveexec_b32 s4, s2
	s_cbranch_execz .LBB1498_2
; %bb.111:
	s_load_b64 s[4:5], s[0:1], 0x68
	v_lshlrev_b32_e32 v0, 10, v0
	v_lshlrev_b32_e32 v1, 4, v75
	s_lshl_b32 s0, s36, 6
	v_add_nc_u32_e32 v18, s31, v74
	s_mul_i32 s1, s0, s34
	s_delay_alu instid0(VALU_DEP_2) | instskip(SKIP_1) | instid1(VALU_DEP_2)
	v_and_or_b32 v0, 0x3800, v0, v1
	s_mul_i32 s6, s1, s9
	v_mul_lo_u32 v1, v18, s0
	s_ashr_i32 s7, s6, 31
	v_add_nc_u32_e32 v2, 2, v18
	v_lshl_or_b32 v19, v74, 6, v0
	s_lshl_b64 s[6:7], s[6:7], 1
	v_add_nc_u32_e32 v8, 4, v18
	v_add_nc_u32_e32 v15, 6, v18
	v_mul_lo_u32 v7, v2, s0
	ds_load_b128 v[3:6], v19
	v_ashrrev_i32_e32 v2, 31, v1
	v_mul_lo_u32 v11, v8, s0
	s_waitcnt lgkmcnt(0)
	s_add_u32 s1, s4, s6
	s_addc_u32 s2, s5, s7
	s_lshl_b32 s4, s14, 6
	v_lshlrev_b64 v[9:10], 1, v[1:2]
	s_ashr_i32 s5, s4, 31
	v_ashrrev_i32_e32 v8, 31, v7
	s_lshl_b64 s[4:5], s[4:5], 1
	v_ashrrev_i32_e32 v12, 31, v11
	s_add_u32 s1, s1, s4
	s_addc_u32 s2, s2, s5
	v_add_co_u32 v1, s1, s1, v73
	s_delay_alu instid0(VALU_DEP_1) | instskip(SKIP_1) | instid1(VALU_DEP_3)
	v_add_co_ci_u32_e64 v2, null, s2, 0, s1
	v_mul_lo_u32 v15, v15, s0
	v_add_co_u32 v13, vcc_lo, v1, v9
	s_delay_alu instid0(VALU_DEP_3)
	v_add_co_ci_u32_e32 v14, vcc_lo, v2, v10, vcc_lo
	v_lshlrev_b64 v[16:17], 1, v[7:8]
	ds_load_b128 v[7:10], v19 offset:128
	global_store_b128 v[13:14], v[3:6], off
	v_add_nc_u32_e32 v5, 8, v18
	v_lshlrev_b64 v[3:4], 1, v[11:12]
	v_add_co_u32 v23, vcc_lo, v1, v16
	v_ashrrev_i32_e32 v16, 31, v15
	s_delay_alu instid0(VALU_DEP_4) | instskip(SKIP_3) | instid1(VALU_DEP_3)
	v_mul_lo_u32 v25, v5, s0
	v_add_nc_u32_e32 v5, 10, v18
	v_add_co_ci_u32_e32 v24, vcc_lo, v2, v17, vcc_lo
	v_add_co_u32 v27, vcc_lo, v1, v3
	v_mul_lo_u32 v29, v5, s0
	v_add_co_ci_u32_e32 v28, vcc_lo, v2, v4, vcc_lo
	v_lshlrev_b64 v[31:32], 1, v[15:16]
	ds_load_b128 v[3:6], v19 offset:256
	ds_load_b128 v[11:14], v19 offset:384
	;; [unrolled: 1-line block ×4, first 2 shown]
	v_ashrrev_i32_e32 v26, 31, v25
	v_ashrrev_i32_e32 v30, 31, v29
	v_add_co_u32 v31, vcc_lo, v1, v31
	s_delay_alu instid0(VALU_DEP_3) | instskip(SKIP_1) | instid1(VALU_DEP_4)
	v_lshlrev_b64 v[25:26], 1, v[25:26]
	v_add_co_ci_u32_e32 v32, vcc_lo, v2, v32, vcc_lo
	v_lshlrev_b64 v[29:30], 1, v[29:30]
	s_delay_alu instid0(VALU_DEP_3) | instskip(NEXT) | instid1(VALU_DEP_4)
	v_add_co_u32 v25, vcc_lo, v1, v25
	v_add_co_ci_u32_e32 v26, vcc_lo, v2, v26, vcc_lo
	s_delay_alu instid0(VALU_DEP_3) | instskip(NEXT) | instid1(VALU_DEP_4)
	v_add_co_u32 v29, vcc_lo, v1, v29
	v_add_co_ci_u32_e32 v30, vcc_lo, v2, v30, vcc_lo
	s_waitcnt lgkmcnt(4)
	global_store_b128 v[23:24], v[7:10], off
	s_waitcnt lgkmcnt(3)
	global_store_b128 v[27:28], v[3:6], off
	;; [unrolled: 2-line block ×5, first 2 shown]
	s_and_b32 exec_lo, exec_lo, s3
	s_cbranch_execz .LBB1498_2
; %bb.112:
	ds_load_b128 v[3:6], v0 offset:768
	s_add_i32 s1, s31, 12
	s_delay_alu instid0(SALU_CYCLE_1) | instskip(NEXT) | instid1(SALU_CYCLE_1)
	s_mul_i32 s0, s1, s0
	s_ashr_i32 s1, s0, 31
	s_delay_alu instid0(SALU_CYCLE_1) | instskip(NEXT) | instid1(SALU_CYCLE_1)
	s_lshl_b64 s[0:1], s[0:1], 1
	v_add_co_u32 v0, vcc_lo, v1, s0
	v_add_co_ci_u32_e32 v1, vcc_lo, s1, v2, vcc_lo
	s_waitcnt lgkmcnt(0)
	global_store_b128 v[0:1], v[3:6], off
	s_nop 0
	s_sendmsg sendmsg(MSG_DEALLOC_VGPRS)
	s_endpgm
	.section	.rodata,"a",@progbits
	.p2align	6, 0x0
	.amdhsa_kernel _Z39paged_attention_ll4mi_QKV_mfma16_kernelI14__hip_bfloat16hLN4vllm18Fp8KVCacheDataTypeE1ES0_Li32ELi64ELi256ELb0ELi13EL8MFMAType1EEvPKT_PKT0_S9_ifPKiSB_SB_iPKfiiiPfSE_PS4_PT2_iSD_SD_
		.amdhsa_group_segment_fixed_size 17472
		.amdhsa_private_segment_fixed_size 0
		.amdhsa_kernarg_size 400
		.amdhsa_user_sgpr_count 13
		.amdhsa_user_sgpr_dispatch_ptr 0
		.amdhsa_user_sgpr_queue_ptr 0
		.amdhsa_user_sgpr_kernarg_segment_ptr 1
		.amdhsa_user_sgpr_dispatch_id 0
		.amdhsa_user_sgpr_private_segment_size 0
		.amdhsa_wavefront_size32 1
		.amdhsa_uses_dynamic_stack 0
		.amdhsa_enable_private_segment 0
		.amdhsa_system_sgpr_workgroup_id_x 1
		.amdhsa_system_sgpr_workgroup_id_y 1
		.amdhsa_system_sgpr_workgroup_id_z 1
		.amdhsa_system_sgpr_workgroup_info 0
		.amdhsa_system_vgpr_workitem_id 0
		.amdhsa_next_free_vgpr 124
		.amdhsa_next_free_sgpr 42
		.amdhsa_reserve_vcc 1
		.amdhsa_float_round_mode_32 0
		.amdhsa_float_round_mode_16_64 0
		.amdhsa_float_denorm_mode_32 3
		.amdhsa_float_denorm_mode_16_64 3
		.amdhsa_dx10_clamp 1
		.amdhsa_ieee_mode 1
		.amdhsa_fp16_overflow 0
		.amdhsa_workgroup_processor_mode 1
		.amdhsa_memory_ordered 1
		.amdhsa_forward_progress 0
		.amdhsa_shared_vgpr_count 0
		.amdhsa_exception_fp_ieee_invalid_op 0
		.amdhsa_exception_fp_denorm_src 0
		.amdhsa_exception_fp_ieee_div_zero 0
		.amdhsa_exception_fp_ieee_overflow 0
		.amdhsa_exception_fp_ieee_underflow 0
		.amdhsa_exception_fp_ieee_inexact 0
		.amdhsa_exception_int_div_zero 0
	.end_amdhsa_kernel
	.section	.text._Z39paged_attention_ll4mi_QKV_mfma16_kernelI14__hip_bfloat16hLN4vllm18Fp8KVCacheDataTypeE1ES0_Li32ELi64ELi256ELb0ELi13EL8MFMAType1EEvPKT_PKT0_S9_ifPKiSB_SB_iPKfiiiPfSE_PS4_PT2_iSD_SD_,"axG",@progbits,_Z39paged_attention_ll4mi_QKV_mfma16_kernelI14__hip_bfloat16hLN4vllm18Fp8KVCacheDataTypeE1ES0_Li32ELi64ELi256ELb0ELi13EL8MFMAType1EEvPKT_PKT0_S9_ifPKiSB_SB_iPKfiiiPfSE_PS4_PT2_iSD_SD_,comdat
.Lfunc_end1498:
	.size	_Z39paged_attention_ll4mi_QKV_mfma16_kernelI14__hip_bfloat16hLN4vllm18Fp8KVCacheDataTypeE1ES0_Li32ELi64ELi256ELb0ELi13EL8MFMAType1EEvPKT_PKT0_S9_ifPKiSB_SB_iPKfiiiPfSE_PS4_PT2_iSD_SD_, .Lfunc_end1498-_Z39paged_attention_ll4mi_QKV_mfma16_kernelI14__hip_bfloat16hLN4vllm18Fp8KVCacheDataTypeE1ES0_Li32ELi64ELi256ELb0ELi13EL8MFMAType1EEvPKT_PKT0_S9_ifPKiSB_SB_iPKfiiiPfSE_PS4_PT2_iSD_SD_
                                        ; -- End function
	.section	.AMDGPU.csdata,"",@progbits
; Kernel info:
; codeLenInByte = 8972
; NumSgprs: 44
; NumVgprs: 124
; ScratchSize: 0
; MemoryBound: 0
; FloatMode: 240
; IeeeMode: 1
; LDSByteSize: 17472 bytes/workgroup (compile time only)
; SGPRBlocks: 5
; VGPRBlocks: 15
; NumSGPRsForWavesPerEU: 44
; NumVGPRsForWavesPerEU: 124
; Occupancy: 10
; WaveLimiterHint : 1
; COMPUTE_PGM_RSRC2:SCRATCH_EN: 0
; COMPUTE_PGM_RSRC2:USER_SGPR: 13
; COMPUTE_PGM_RSRC2:TRAP_HANDLER: 0
; COMPUTE_PGM_RSRC2:TGID_X_EN: 1
; COMPUTE_PGM_RSRC2:TGID_Y_EN: 1
; COMPUTE_PGM_RSRC2:TGID_Z_EN: 1
; COMPUTE_PGM_RSRC2:TIDIG_COMP_CNT: 0
	.section	.text._Z39paged_attention_ll4mi_QKV_mfma16_kernelI14__hip_bfloat16hLN4vllm18Fp8KVCacheDataTypeE1ES0_Li32ELi64ELi256ELb0ELi14EL8MFMAType1EEvPKT_PKT0_S9_ifPKiSB_SB_iPKfiiiPfSE_PS4_PT2_iSD_SD_,"axG",@progbits,_Z39paged_attention_ll4mi_QKV_mfma16_kernelI14__hip_bfloat16hLN4vllm18Fp8KVCacheDataTypeE1ES0_Li32ELi64ELi256ELb0ELi14EL8MFMAType1EEvPKT_PKT0_S9_ifPKiSB_SB_iPKfiiiPfSE_PS4_PT2_iSD_SD_,comdat
	.protected	_Z39paged_attention_ll4mi_QKV_mfma16_kernelI14__hip_bfloat16hLN4vllm18Fp8KVCacheDataTypeE1ES0_Li32ELi64ELi256ELb0ELi14EL8MFMAType1EEvPKT_PKT0_S9_ifPKiSB_SB_iPKfiiiPfSE_PS4_PT2_iSD_SD_ ; -- Begin function _Z39paged_attention_ll4mi_QKV_mfma16_kernelI14__hip_bfloat16hLN4vllm18Fp8KVCacheDataTypeE1ES0_Li32ELi64ELi256ELb0ELi14EL8MFMAType1EEvPKT_PKT0_S9_ifPKiSB_SB_iPKfiiiPfSE_PS4_PT2_iSD_SD_
	.globl	_Z39paged_attention_ll4mi_QKV_mfma16_kernelI14__hip_bfloat16hLN4vllm18Fp8KVCacheDataTypeE1ES0_Li32ELi64ELi256ELb0ELi14EL8MFMAType1EEvPKT_PKT0_S9_ifPKiSB_SB_iPKfiiiPfSE_PS4_PT2_iSD_SD_
	.p2align	8
	.type	_Z39paged_attention_ll4mi_QKV_mfma16_kernelI14__hip_bfloat16hLN4vllm18Fp8KVCacheDataTypeE1ES0_Li32ELi64ELi256ELb0ELi14EL8MFMAType1EEvPKT_PKT0_S9_ifPKiSB_SB_iPKfiiiPfSE_PS4_PT2_iSD_SD_,@function
_Z39paged_attention_ll4mi_QKV_mfma16_kernelI14__hip_bfloat16hLN4vllm18Fp8KVCacheDataTypeE1ES0_Li32ELi64ELi256ELb0ELi14EL8MFMAType1EEvPKT_PKT0_S9_ifPKiSB_SB_iPKfiiiPfSE_PS4_PT2_iSD_SD_: ; @_Z39paged_attention_ll4mi_QKV_mfma16_kernelI14__hip_bfloat16hLN4vllm18Fp8KVCacheDataTypeE1ES0_Li32ELi64ELi256ELb0ELi14EL8MFMAType1EEvPKT_PKT0_S9_ifPKiSB_SB_iPKfiiiPfSE_PS4_PT2_iSD_SD_
; %bb.0:
	s_load_b64 s[2:3], s[0:1], 0x30
	s_mov_b32 s30, s13
	s_waitcnt lgkmcnt(0)
	s_cmp_lg_u64 s[2:3], 0
	s_cselect_b32 s8, -1, 0
	s_ashr_i32 s31, s13, 31
	s_cmp_eq_u64 s[2:3], 0
	s_cbranch_scc1 .LBB1499_3
; %bb.1:
	s_lshl_b64 s[4:5], s[30:31], 2
	s_delay_alu instid0(SALU_CYCLE_1) | instskip(SKIP_4) | instid1(SALU_CYCLE_1)
	s_add_u32 s4, s2, s4
	s_addc_u32 s5, s3, s5
	s_load_b64 s[4:5], s[4:5], 0x0
	s_waitcnt lgkmcnt(0)
	s_sub_i32 s4, s5, s4
	s_cmp_eq_u32 s4, 1
	s_cselect_b32 s4, -1, 0
	s_delay_alu instid0(SALU_CYCLE_1)
	s_and_not1_b32 vcc_lo, exec_lo, s4
	s_cbranch_vccz .LBB1499_4
.LBB1499_2:
	s_endpgm
.LBB1499_3:
.LBB1499_4:
	s_load_b64 s[4:5], s[0:1], 0x28
	s_lshl_b64 s[6:7], s[30:31], 2
	s_waitcnt lgkmcnt(0)
	s_add_u32 s4, s4, s6
	s_addc_u32 s5, s5, s7
	s_lshl_b32 s12, s14, 8
	s_load_b32 s24, s[4:5], 0x0
	s_waitcnt lgkmcnt(0)
	s_cmp_ge_i32 s12, s24
	s_cbranch_scc1 .LBB1499_2
; %bb.5:
	s_clause 0x1
	s_load_b128 s[20:23], s[0:1], 0x8
	s_load_b64 s[4:5], s[0:1], 0x20
	s_and_not1_b32 vcc_lo, exec_lo, s8
	s_cbranch_vccnz .LBB1499_7
; %bb.6:
	s_add_u32 s2, s2, s6
	s_addc_u32 s3, s3, s7
	s_load_b32 s3, s[2:3], 0x0
	s_branch .LBB1499_8
.LBB1499_7:
	s_mov_b32 s3, s30
.LBB1499_8:
	s_load_b128 s[16:19], s[0:1], 0x48
	v_and_b32_e32 v65, 15, v0
	v_cmp_gt_u32_e32 vcc_lo, 0xe0, v0
	v_lshrrev_b32_e32 v66, 5, v0
	v_and_b32_e32 v67, 31, v0
	v_and_b32_e32 v75, 1, v0
	v_lshlrev_b32_e32 v1, 3, v65
	v_cmp_gt_u32_e64 s2, 8, v65
	v_bfe_u32 v74, v0, 4, 1
	s_mul_i32 s31, s15, 14
	s_delay_alu instid0(VALU_DEP_3) | instskip(NEXT) | instid1(VALU_DEP_3)
	v_lshlrev_b32_e32 v73, 1, v1
	s_and_b32 s7, vcc_lo, s2
	s_delay_alu instid0(SALU_CYCLE_1)
	s_and_saveexec_b32 s6, s7
	s_cbranch_execz .LBB1499_10
; %bb.9:
	s_load_b64 s[8:9], s[0:1], 0x0
	v_lshl_or_b32 v5, v66, 1, v74
	s_waitcnt lgkmcnt(0)
	s_mul_hi_i32 s11, s3, s16
	s_mul_i32 s10, s3, s16
	v_lshlrev_b32_e32 v6, 10, v65
	s_lshl_b64 s[10:11], s[10:11], 1
	v_add_lshl_u32 v1, v5, s31, 6
	v_lshlrev_b32_e32 v5, 6, v5
	v_lshlrev_b32_e32 v7, 10, v75
	v_and_b32_e32 v6, 0x3800, v6
	s_delay_alu instid0(VALU_DEP_4) | instskip(NEXT) | instid1(VALU_DEP_2)
	v_ashrrev_i32_e32 v2, 31, v1
	v_or3_b32 v5, v6, v7, v5
	s_delay_alu instid0(VALU_DEP_2) | instskip(SKIP_2) | instid1(VALU_DEP_1)
	v_lshlrev_b64 v[1:2], 1, v[1:2]
	s_add_u32 s3, s8, s10
	s_addc_u32 s7, s9, s11
	v_add_co_u32 v1, vcc_lo, s3, v1
	s_delay_alu instid0(VALU_DEP_2) | instskip(NEXT) | instid1(VALU_DEP_2)
	v_add_co_ci_u32_e32 v2, vcc_lo, s7, v2, vcc_lo
	v_add_co_u32 v1, vcc_lo, v1, v73
	s_delay_alu instid0(VALU_DEP_2)
	v_add_co_ci_u32_e32 v2, vcc_lo, 0, v2, vcc_lo
	global_load_b128 v[1:4], v[1:2], off
	s_waitcnt vmcnt(0)
	ds_store_b128 v5, v[1:4]
.LBB1499_10:
	s_or_b32 exec_lo, exec_lo, s6
	v_and_b32_e32 v1, 0xef, v0
	s_waitcnt lgkmcnt(0)
	s_add_i32 s3, s24, 31
	s_clause 0x1
	s_load_b32 s6, s[0:1], 0x38
	s_load_b32 s19, s[0:1], 0x1c
	s_ashr_i32 s7, s3, 31
	v_add_nc_u32_e32 v1, s12, v1
	s_lshr_b32 s7, s7, 27
	s_waitcnt lgkmcnt(0)
	s_add_i32 s3, s3, s7
	s_barrier
	v_ashrrev_i32_e32 v2, 31, v1
	v_or_b32_e32 v3, 16, v1
	s_ashr_i32 s3, s3, 5
	v_cmp_gt_i32_e32 vcc_lo, s24, v1
	s_add_i32 s3, s3, -1
	v_lshrrev_b32_e32 v2, 27, v2
	buffer_gl0_inv
	s_mul_i32 s27, s15, s18
	v_add_nc_u32_e32 v4, v1, v2
	s_mul_i32 s6, s30, s6
	s_delay_alu instid0(SALU_CYCLE_1) | instskip(NEXT) | instid1(VALU_DEP_1)
	s_ashr_i32 s7, s6, 31
	v_ashrrev_i32_e32 v4, 5, v4
	v_add_nc_u32_e32 v2, v3, v2
	s_lshl_b64 s[6:7], s[6:7], 2
	s_delay_alu instid0(SALU_CYCLE_1) | instskip(NEXT) | instid1(VALU_DEP_2)
	s_add_u32 s26, s4, s6
	v_cndmask_b32_e32 v1, s3, v4, vcc_lo
	s_delay_alu instid0(VALU_DEP_2)
	v_ashrrev_i32_e32 v2, 5, v2
	v_cmp_gt_i32_e32 vcc_lo, s24, v3
	s_addc_u32 s25, s5, s7
	s_ashr_i32 s28, s27, 31
	s_add_u32 s4, s20, s27
	s_addc_u32 s5, s21, s28
	v_cndmask_b32_e32 v3, s3, v2, vcc_lo
	v_ashrrev_i32_e32 v2, 31, v1
	s_lshl_b32 s6, s14, 3
	s_delay_alu instid0(SALU_CYCLE_1) | instskip(NEXT) | instid1(VALU_DEP_2)
	s_ashr_i32 s7, s6, 31
	v_ashrrev_i32_e32 v4, 31, v3
	s_delay_alu instid0(VALU_DEP_2) | instskip(SKIP_1) | instid1(SALU_CYCLE_1)
	v_lshlrev_b64 v[1:2], 2, v[1:2]
	s_lshl_b64 s[6:7], s[6:7], 2
	s_add_u32 s6, s26, s6
	s_delay_alu instid0(VALU_DEP_2) | instskip(SKIP_1) | instid1(VALU_DEP_2)
	v_lshlrev_b64 v[3:4], 2, v[3:4]
	s_addc_u32 s7, s25, s7
	v_add_co_u32 v1, vcc_lo, s26, v1
	v_add_co_ci_u32_e32 v2, vcc_lo, s25, v2, vcc_lo
	s_delay_alu instid0(VALU_DEP_3) | instskip(NEXT) | instid1(VALU_DEP_4)
	v_add_co_u32 v3, vcc_lo, s26, v3
	v_add_co_ci_u32_e32 v4, vcc_lo, s25, v4, vcc_lo
	s_clause 0x1
	global_load_b32 v5, v[1:2], off
	global_load_b32 v6, v[3:4], off
	s_or_b32 s8, s12, 32
	s_delay_alu instid0(SALU_CYCLE_1) | instskip(SKIP_2) | instid1(SALU_CYCLE_1)
	s_ashr_i32 s9, s8, 5
	s_cmp_lt_i32 s8, s24
	s_cselect_b32 s8, s9, s3
	s_ashr_i32 s9, s8, 31
	s_delay_alu instid0(SALU_CYCLE_1) | instskip(NEXT) | instid1(SALU_CYCLE_1)
	s_lshl_b64 s[8:9], s[8:9], 2
	s_add_u32 s8, s26, s8
	s_addc_u32 s9, s25, s9
	s_or_b32 s10, s12, 64
	s_delay_alu instid0(SALU_CYCLE_1) | instskip(SKIP_2) | instid1(SALU_CYCLE_1)
	s_ashr_i32 s11, s10, 5
	s_cmp_lt_i32 s10, s24
	s_cselect_b32 s10, s11, s3
	s_ashr_i32 s11, s10, 31
	s_delay_alu instid0(SALU_CYCLE_1) | instskip(NEXT) | instid1(SALU_CYCLE_1)
	s_lshl_b64 s[10:11], s[10:11], 2
	s_add_u32 s10, s26, s10
	s_addc_u32 s11, s25, s11
	;; [unrolled: 10-line block ×5, first 2 shown]
	s_clause 0x5
	s_load_b32 s21, s[6:7], 0x0
	s_load_b32 s13, s[8:9], 0x0
	;; [unrolled: 1-line block ×6, first 2 shown]
	s_or_b32 s8, s12, 0xc0
	s_delay_alu instid0(SALU_CYCLE_1) | instskip(SKIP_2) | instid1(SALU_CYCLE_1)
	s_ashr_i32 s9, s8, 5
	s_cmp_lt_i32 s8, s24
	s_cselect_b32 s34, s9, s3
	s_ashr_i32 s35, s34, 31
	s_delay_alu instid0(SALU_CYCLE_1) | instskip(NEXT) | instid1(SALU_CYCLE_1)
	s_lshl_b64 s[34:35], s[34:35], 2
	s_add_u32 s34, s26, s34
	s_addc_u32 s35, s25, s35
	s_or_b32 s29, s12, 0xe0
	s_delay_alu instid0(SALU_CYCLE_1)
	s_ashr_i32 s33, s29, 5
	s_cmp_lt_i32 s29, s24
	s_waitcnt vmcnt(1)
	v_mad_i64_i32 v[1:2], null, v5, s17, s[4:5]
	s_waitcnt vmcnt(0)
	v_mad_i64_i32 v[3:4], null, v6, s17, s[4:5]
	s_mov_b32 s4, 0
	s_delay_alu instid0(SALU_CYCLE_1)
	s_mov_b32 s5, s4
	s_mov_b32 s6, s4
	;; [unrolled: 1-line block ×7, first 2 shown]
	v_lshlrev_b32_e32 v5, 4, v65
	v_dual_mov_b32 v107, s11 :: v_dual_mov_b32 v102, s6
	v_mov_b32_e32 v100, s4
	v_mov_b32_e32 v106, s10
	s_delay_alu instid0(VALU_DEP_4)
	v_add_co_u32 v1, vcc_lo, v1, v5
	v_add_co_ci_u32_e32 v2, vcc_lo, 0, v2, vcc_lo
	v_add_co_u32 v3, vcc_lo, v3, v5
	v_add_co_ci_u32_e32 v4, vcc_lo, 0, v4, vcc_lo
	s_clause 0x7
	global_load_b128 v[49:52], v[1:2], off
	global_load_b128 v[53:56], v[1:2], off offset:512
	global_load_b128 v[76:79], v[3:4], off offset:256
	;; [unrolled: 1-line block ×7, first 2 shown]
	v_add_nc_u32_e32 v1, -14, v65
	v_cmp_gt_u32_e32 vcc_lo, 14, v65
	v_dual_mov_b32 v104, s8 :: v_dual_mov_b32 v103, s7
	v_dual_mov_b32 v101, s5 :: v_dual_lshlrev_b32 v2, 5, v65
	s_delay_alu instid0(VALU_DEP_4)
	v_cndmask_b32_e32 v1, v1, v65, vcc_lo
	v_mov_b32_e32 v105, s9
	s_cselect_b32 s4, s33, s3
	s_load_b32 s3, s[34:35], 0x0
	s_ashr_i32 s5, s4, 31
	v_lshlrev_b32_e32 v70, 6, v1
	s_lshl_b64 s[4:5], s[4:5], 2
	v_lshl_or_b32 v2, v66, 9, v2
	s_add_u32 s4, s26, s4
	s_addc_u32 s5, s25, s5
	ds_load_b128 v[108:111], v70
	ds_load_b128 v[112:115], v70 offset:1024
	s_load_b32 s4, s[4:5], 0x0
	s_add_u32 s6, s22, s27
	s_addc_u32 s7, s23, s28
	v_add_co_u32 v9, s6, s6, v2
	s_delay_alu instid0(VALU_DEP_1) | instskip(SKIP_1) | instid1(VALU_DEP_1)
	v_add_co_ci_u32_e64 v10, null, s7, 0, s6
	s_waitcnt lgkmcnt(0)
	v_mad_i64_i32 v[1:2], null, s21, s17, v[9:10]
	v_mad_i64_i32 v[3:4], null, s13, s17, v[9:10]
	;; [unrolled: 1-line block ×7, first 2 shown]
	s_clause 0x9
	global_load_b128 v[57:60], v[1:2], off
	global_load_b128 v[61:64], v[1:2], off offset:16
	global_load_b128 v[41:44], v[3:4], off
	global_load_b128 v[45:48], v[3:4], off offset:16
	;; [unrolled: 2-line block ×5, first 2 shown]
	v_mad_i64_i32 v[68:69], null, s4, s17, v[9:10]
	s_clause 0x3
	global_load_b128 v[9:12], v[13:14], off
	global_load_b128 v[13:16], v[13:14], off offset:16
	global_load_b128 v[17:20], v[21:22], off
	global_load_b128 v[21:24], v[21:22], off offset:16
	s_waitcnt vmcnt(20)
	v_wmma_f32_16x16x16_bf16 v[116:123], v[49:56], v[108:115], v[100:107]
	s_clause 0x1
	global_load_b128 v[49:52], v[68:69], off
	global_load_b128 v[53:56], v[68:69], off offset:16
	v_and_b32_e32 v68, 0xe0, v0
	v_mbcnt_lo_u32_b32 v69, -1, 0
	s_delay_alu instid0(VALU_DEP_2)
	v_add_nc_u32_e32 v68, s12, v68
	s_waitcnt vmcnt(20)
	v_wmma_f32_16x16x16_bf16 v[100:107], v[76:83], v[108:115], v[100:107]
	ds_load_b128 v[76:79], v70 offset:2048
	ds_load_b128 v[80:83], v70 offset:3072
	v_xor_b32_e32 v70, 16, v69
	s_waitcnt vmcnt(0) lgkmcnt(0)
	v_or_b32_e32 v68, v68, v74
	s_barrier
	buffer_gl0_inv
	v_cmp_gt_i32_e32 vcc_lo, 32, v70
	v_or_b32_e32 v71, 4, v68
	v_or_b32_e32 v72, 6, v68
	v_cmp_gt_i32_e64 s3, s24, v68
	v_or_b32_e32 v108, 8, v68
	v_or_b32_e32 v109, 10, v68
	v_cmp_gt_i32_e64 s4, s24, v71
	v_cmp_gt_i32_e64 s5, s24, v72
	s_delay_alu instid0(VALU_DEP_4) | instskip(NEXT) | instid1(VALU_DEP_4)
	v_cmp_gt_i32_e64 s6, s24, v108
	v_cmp_gt_i32_e64 s7, s24, v109
	v_wmma_f32_16x16x16_bf16 v[116:123], v[84:91], v[76:83], v[116:123]
	v_cndmask_b32_e32 v69, v69, v70, vcc_lo
	v_or_b32_e32 v70, 2, v68
	v_wmma_f32_16x16x16_bf16 v[100:107], v[92:99], v[76:83], v[100:107]
	v_or_b32_e32 v89, 22, v68
	v_dual_mul_f32 v80, s19, v121 :: v_dual_mul_f32 v81, s19, v120
	v_dual_mul_f32 v92, s19, v117 :: v_dual_mul_f32 v93, s19, v116
	s_delay_alu instid0(VALU_DEP_4)
	v_mul_f32_e32 v96, s19, v105
	v_cmp_gt_i32_e32 vcc_lo, s24, v70
	v_dual_mul_f32 v79, s19, v122 :: v_dual_mul_f32 v82, s19, v119
	v_dual_mul_f32 v83, s19, v118 :: v_dual_mul_f32 v94, s19, v107
	v_cndmask_b32_e64 v93, 0xff7fffff, v93, s3
	v_cndmask_b32_e32 v92, 0xff7fffff, v92, vcc_lo
	v_or_b32_e32 v84, 12, v68
	v_or_b32_e32 v85, 14, v68
	v_cndmask_b32_e64 v71, 0xff7fffff, v83, s4
	v_cndmask_b32_e64 v72, 0xff7fffff, v82, s5
	v_cmp_gt_i32_e64 s13, s24, v89
	v_lshlrev_b32_e32 v89, 2, v69
	v_max3_f32 v82, v93, 0xff7fffff, v92
	v_or_b32_e32 v86, 16, v68
	v_or_b32_e32 v87, 18, v68
	v_mul_f32_e32 v78, s19, v123
	v_cndmask_b32_e64 v81, 0xff7fffff, v81, s6
	v_cndmask_b32_e64 v80, 0xff7fffff, v80, s7
	v_max3_f32 v71, v82, v71, v72
	v_cmp_gt_i32_e64 s8, s24, v84
	v_cmp_gt_i32_e64 s9, s24, v85
	v_or_b32_e32 v88, 20, v68
	v_or_b32_e32 v90, 24, v68
	;; [unrolled: 1-line block ×5, first 2 shown]
	v_dual_mul_f32 v97, s19, v104 :: v_dual_mul_f32 v70, s19, v101
	v_dual_mul_f32 v99, s19, v102 :: v_dual_mul_f32 v68, s19, v100
	v_cndmask_b32_e64 v72, 0xff7fffff, v79, s8
	v_cndmask_b32_e64 v78, 0xff7fffff, v78, s9
	v_max3_f32 v71, v71, v81, v80
	v_cmp_gt_i32_e64 s10, s24, v86
	v_cmp_gt_i32_e64 s11, s24, v87
	v_dual_mul_f32 v95, s19, v106 :: v_dual_mul_f32 v98, s19, v103
	s_delay_alu instid0(VALU_DEP_4) | instskip(NEXT) | instid1(VALU_DEP_4)
	v_max3_f32 v71, v71, v72, v78
	v_cndmask_b32_e64 v68, 0xff7fffff, v68, s10
	s_delay_alu instid0(VALU_DEP_4)
	v_cndmask_b32_e64 v70, 0xff7fffff, v70, s11
	v_cmp_gt_i32_e64 s12, s24, v88
	v_cndmask_b32_e64 v78, 0xff7fffff, v98, s13
	v_cmp_gt_i32_e64 s15, s24, v90
	v_cmp_gt_i32_e64 s16, s24, v91
	v_max3_f32 v68, v71, v68, v70
	v_cndmask_b32_e64 v72, 0xff7fffff, v99, s12
	v_cmp_gt_i32_e64 s17, s24, v76
	v_cndmask_b32_e64 v70, 0xff7fffff, v97, s15
	v_cndmask_b32_e64 v71, 0xff7fffff, v96, s16
	v_cmp_gt_i32_e64 s18, s24, v77
	v_max3_f32 v68, v68, v72, v78
	v_cndmask_b32_e64 v72, 0xff7fffff, v95, s17
	s_delay_alu instid0(VALU_DEP_3) | instskip(NEXT) | instid1(VALU_DEP_3)
	v_cndmask_b32_e64 v76, 0xff7fffff, v94, s18
	v_max3_f32 v68, v68, v70, v71
	s_delay_alu instid0(VALU_DEP_1) | instskip(SKIP_3) | instid1(VALU_DEP_1)
	v_max3_f32 v68, v68, v72, v76
	ds_bpermute_b32 v69, v89, v68
	s_waitcnt lgkmcnt(0)
	v_max_f32_e32 v69, v69, v69
	v_max_f32_e32 v68, v68, v69
	s_delay_alu instid0(VALU_DEP_1) | instskip(NEXT) | instid1(VALU_DEP_1)
	v_fma_f32 v71, s19, v118, -v68
	v_mul_f32_e32 v71, 0x3fb8aa3b, v71
	v_fma_f32 v70, s19, v117, -v68
	v_fma_f32 v69, s19, v116, -v68
	;; [unrolled: 1-line block ×5, first 2 shown]
	s_delay_alu instid0(VALU_DEP_4) | instskip(SKIP_1) | instid1(VALU_DEP_3)
	v_dual_mul_f32 v70, 0x3fb8aa3b, v70 :: v_dual_mul_f32 v69, 0x3fb8aa3b, v69
	v_exp_f32_e32 v71, v71
	v_mul_f32_e32 v72, 0x3fb8aa3b, v72
	v_fma_f32 v81, s19, v105, -v68
	s_delay_alu instid0(VALU_DEP_3)
	v_exp_f32_e32 v70, v70
	v_mul_f32_e32 v77, 0x3fb8aa3b, v76
	v_exp_f32_e32 v69, v69
	v_exp_f32_e32 v72, v72
	v_mul_f32_e32 v81, 0x3fb8aa3b, v81
	v_cndmask_b32_e64 v83, 0, v71, s4
	v_fma_f32 v71, s19, v123, -v68
	s_delay_alu instid0(VALU_DEP_3) | instskip(SKIP_4) | instid1(TRANS32_DEP_3)
	v_exp_f32_e32 v81, v81
	v_cndmask_b32_e32 v76, 0, v70, vcc_lo
	v_exp_f32_e32 v77, v77
	v_cndmask_b32_e64 v80, 0, v69, s3
	v_fma_f32 v69, s19, v121, -v68
	v_cndmask_b32_e64 v85, 0, v72, s5
	v_mul_f32_e32 v71, 0x3fb8aa3b, v71
	v_fma_f32 v72, s19, v100, -v68
	s_delay_alu instid0(VALU_DEP_4) | instskip(SKIP_1) | instid1(VALU_DEP_3)
	v_dual_add_f32 v70, 0, v80 :: v_dual_mul_f32 v69, 0x3fb8aa3b, v69
	s_mov_b32 s3, exec_lo
	v_exp_f32_e32 v71, v71
	s_delay_alu instid0(TRANS32_DEP_2) | instskip(SKIP_4) | instid1(VALU_DEP_3)
	v_cndmask_b32_e64 v86, 0, v77, s6
	v_fma_f32 v77, s19, v101, -v68
	v_mul_f32_e32 v78, 0x3fb8aa3b, v78
	v_add_f32_e32 v70, v70, v76
	v_exp_f32_e32 v69, v69
	v_mul_f32_e32 v77, 0x3fb8aa3b, v77
	s_delay_alu instid0(VALU_DEP_3) | instskip(NEXT) | instid1(TRANS32_DEP_3)
	v_exp_f32_e32 v78, v78
	v_cndmask_b32_e64 v88, 0, v71, s9
	v_fma_f32 v71, s19, v104, -v68
	s_delay_alu instid0(VALU_DEP_3) | instskip(NEXT) | instid1(TRANS32_DEP_3)
	v_exp_f32_e32 v77, v77
	v_cndmask_b32_e64 v87, 0, v69, s7
	s_delay_alu instid0(VALU_DEP_2)
	v_mul_f32_e32 v71, 0x3fb8aa3b, v71
	s_waitcnt_depctr 0xfff
	v_cndmask_b32_e64 v84, 0, v78, s8
	v_add_f32_e32 v70, v70, v83
	v_fma_f32 v78, s19, v103, -v68
	v_exp_f32_e32 v82, v71
	s_delay_alu instid0(VALU_DEP_2) | instskip(SKIP_1) | instid1(VALU_DEP_3)
	v_add_f32_e32 v70, v70, v85
	v_mul_f32_e32 v72, 0x3fb8aa3b, v72
	v_mul_f32_e32 v78, 0x3fb8aa3b, v78
	s_delay_alu instid0(VALU_DEP_3) | instskip(SKIP_1) | instid1(VALU_DEP_4)
	v_add_f32_e32 v69, v70, v86
	v_fma_f32 v70, s19, v102, -v68
	v_exp_f32_e32 v72, v72
	s_delay_alu instid0(VALU_DEP_3) | instskip(NEXT) | instid1(VALU_DEP_1)
	v_exp_f32_e32 v78, v78
	v_dual_add_f32 v69, v69, v87 :: v_dual_mul_f32 v70, 0x3fb8aa3b, v70
	s_delay_alu instid0(VALU_DEP_1) | instskip(NEXT) | instid1(VALU_DEP_2)
	v_add_f32_e32 v69, v69, v84
	v_exp_f32_e32 v79, v70
	s_delay_alu instid0(TRANS32_DEP_3) | instskip(NEXT) | instid1(VALU_DEP_2)
	v_cndmask_b32_e64 v70, 0, v72, s10
	v_add_f32_e32 v72, v69, v88
	v_cndmask_b32_e64 v69, 0, v77, s11
	v_fma_f32 v77, s19, v106, -v68
	s_waitcnt_depctr 0xfff
	v_cndmask_b32_e64 v71, 0, v79, s12
	v_dual_mul_f32 v77, 0x3fb8aa3b, v77 :: v_dual_add_f32 v72, v72, v70
	s_delay_alu instid0(VALU_DEP_1) | instskip(NEXT) | instid1(VALU_DEP_1)
	v_exp_f32_e32 v90, v77
	v_add_f32_e32 v79, v72, v69
	v_cndmask_b32_e64 v72, 0, v78, s13
	v_cndmask_b32_e64 v77, 0, v82, s15
	s_delay_alu instid0(VALU_DEP_3) | instskip(SKIP_1) | instid1(VALU_DEP_1)
	v_add_f32_e32 v78, v79, v71
	v_fma_f32 v79, s19, v107, -v68
	v_dual_add_f32 v82, v78, v72 :: v_dual_mul_f32 v79, 0x3fb8aa3b, v79
	v_cndmask_b32_e64 v78, 0, v81, s16
	s_delay_alu instid0(VALU_DEP_2) | instskip(NEXT) | instid1(VALU_DEP_3)
	v_add_f32_e32 v81, v82, v77
	v_exp_f32_e32 v82, v79
	v_cndmask_b32_e64 v79, 0, v90, s17
	s_delay_alu instid0(VALU_DEP_2) | instskip(NEXT) | instid1(VALU_DEP_1)
	v_add_f32_e32 v81, v81, v78
	v_add_f32_e32 v90, v81, v79
	s_waitcnt_depctr 0xfff
	v_cndmask_b32_e64 v81, 0, v82, s18
	s_delay_alu instid0(VALU_DEP_1)
	v_add_f32_e32 v82, v90, v81
	ds_bpermute_b32 v89, v89, v82
	v_cmpx_gt_u32_e32 16, v67
	s_cbranch_execz .LBB1499_12
; %bb.11:
	v_mul_u32_u24_e32 v67, 0x44, v66
	s_delay_alu instid0(VALU_DEP_1) | instskip(SKIP_1) | instid1(VALU_DEP_1)
	v_lshl_add_u32 v67, v65, 2, v67
	s_waitcnt lgkmcnt(0)
	v_dual_add_f32 v82, v82, v89 :: v_dual_add_nc_u32 v67, 0x4000, v67
	ds_store_2addr_b32 v67, v68, v82 offset1:136
.LBB1499_12:
	s_or_b32 exec_lo, exec_lo, s3
	v_lshlrev_b32_e32 v67, 2, v65
	s_waitcnt lgkmcnt(0)
	s_barrier
	buffer_gl0_inv
	v_cmp_eq_u32_e32 vcc_lo, 1, v66
	v_add_nc_u32_e32 v82, 0x4000, v67
	v_cmp_eq_u32_e64 s3, 2, v66
	v_cmp_eq_u32_e64 s5, 7, v66
	ds_load_2addr_b32 v[89:90], v82 offset1:17
	ds_load_2addr_b32 v[91:92], v82 offset0:34 offset1:51
	ds_load_2addr_b32 v[93:94], v82 offset0:68 offset1:85
	;; [unrolled: 1-line block ×4, first 2 shown]
	s_waitcnt lgkmcnt(4)
	v_max3_f32 v67, v89, 0xff7fffff, v90
	s_waitcnt lgkmcnt(3)
	s_delay_alu instid0(VALU_DEP_1) | instskip(SKIP_1) | instid1(VALU_DEP_1)
	v_max3_f32 v67, v67, v91, v92
	s_waitcnt lgkmcnt(2)
	v_max3_f32 v67, v67, v93, v94
	s_waitcnt lgkmcnt(1)
	s_delay_alu instid0(VALU_DEP_1) | instskip(NEXT) | instid1(VALU_DEP_1)
	v_max3_f32 v67, v67, v95, v96
	v_sub_f32_e32 v93, v93, v67
	s_delay_alu instid0(VALU_DEP_1) | instskip(NEXT) | instid1(VALU_DEP_1)
	v_dual_sub_f32 v68, v89, v67 :: v_dual_mul_f32 v103, 0x3fb8aa3b, v93
	v_mul_f32_e32 v68, 0x3fb8aa3b, v68
	s_delay_alu instid0(VALU_DEP_1)
	v_exp_f32_e32 v100, v68
	v_sub_f32_e32 v68, v92, v67
	v_sub_f32_e32 v99, v90, v67
	ds_load_2addr_b32 v[89:90], v82 offset0:170 offset1:187
	v_dual_mul_f32 v102, 0x3fb8aa3b, v68 :: v_dual_mul_f32 v99, 0x3fb8aa3b, v99
	s_waitcnt lgkmcnt(1)
	v_fma_f32 v68, v100, v97, 0
	s_delay_alu instid0(VALU_DEP_2) | instskip(NEXT) | instid1(VALU_DEP_2)
	v_exp_f32_e32 v102, v102
	v_exp_f32_e32 v99, v99
	s_waitcnt_depctr 0xfff
	v_fmac_f32_e32 v68, v99, v98
	v_sub_f32_e32 v91, v91, v67
	s_delay_alu instid0(VALU_DEP_1)
	v_mul_f32_e32 v101, 0x3fb8aa3b, v91
	ds_load_2addr_b32 v[91:92], v82 offset0:204 offset1:221
	v_sub_f32_e32 v97, v94, v67
	ds_load_2addr_b32 v[93:94], v82 offset0:238 offset1:255
	s_waitcnt lgkmcnt(0)
	v_exp_f32_e32 v101, v101
	s_barrier
	buffer_gl0_inv
	v_dual_fmac_f32 v68, v101, v89 :: v_dual_sub_f32 v89, v96, v67
	v_dual_sub_f32 v82, v95, v67 :: v_dual_mul_f32 v95, 0x3fb8aa3b, v97
	v_exp_f32_e32 v97, v103
	s_delay_alu instid0(VALU_DEP_2) | instskip(NEXT) | instid1(VALU_DEP_2)
	v_dual_fmac_f32 v68, v102, v90 :: v_dual_mul_f32 v89, 0x3fb8aa3b, v89
	v_mul_f32_e32 v82, 0x3fb8aa3b, v82
	s_delay_alu instid0(VALU_DEP_3) | instskip(NEXT) | instid1(VALU_DEP_2)
	v_exp_f32_e32 v95, v95
	v_exp_f32_e32 v89, v89
	s_delay_alu instid0(VALU_DEP_1)
	v_exp_f32_e32 v82, v82
	v_fmac_f32_e32 v68, v97, v91
	s_delay_alu instid0(TRANS32_DEP_3) | instid1(VALU_DEP_1)
	v_fmac_f32_e32 v68, v95, v92
	s_waitcnt_depctr 0xfff
	v_fmac_f32_e32 v68, v82, v93
	s_delay_alu instid0(VALU_DEP_1) | instskip(NEXT) | instid1(VALU_DEP_1)
	v_fmac_f32_e32 v68, v89, v94
	v_add_f32_e32 v90, 0x358637bd, v68
	s_delay_alu instid0(VALU_DEP_1) | instskip(NEXT) | instid1(VALU_DEP_1)
	v_div_scale_f32 v91, null, v90, v90, 1.0
	v_rcp_f32_e32 v92, v91
	s_waitcnt_depctr 0xfff
	v_fma_f32 v93, -v91, v92, 1.0
	s_delay_alu instid0(VALU_DEP_1) | instskip(SKIP_1) | instid1(VALU_DEP_2)
	v_dual_fmac_f32 v92, v93, v92 :: v_dual_cndmask_b32 v93, v100, v99
	v_cmp_eq_u32_e32 vcc_lo, 3, v66
	v_cndmask_b32_e64 v93, v93, v101, s3
	v_cmp_eq_u32_e64 s3, 4, v66
	s_delay_alu instid0(VALU_DEP_2) | instskip(SKIP_1) | instid1(VALU_DEP_2)
	v_cndmask_b32_e32 v93, v93, v102, vcc_lo
	v_cmp_eq_u32_e32 vcc_lo, 5, v66
	v_cndmask_b32_e64 v93, v93, v97, s3
	v_cmp_eq_u32_e64 s3, 6, v66
	s_delay_alu instid0(VALU_DEP_2) | instskip(SKIP_1) | instid1(VALU_DEP_1)
	v_cndmask_b32_e32 v93, v93, v95, vcc_lo
	v_div_scale_f32 v94, s4, 1.0, v90, 1.0
	s_mov_b32 vcc_lo, s4
	s_delay_alu instid0(VALU_DEP_2) | instskip(NEXT) | instid1(VALU_DEP_2)
	v_cndmask_b32_e64 v82, v93, v82, s3
	v_mul_f32_e32 v96, v94, v92
	s_mov_b32 s3, exec_lo
	s_delay_alu instid0(VALU_DEP_2) | instskip(NEXT) | instid1(VALU_DEP_2)
	v_cndmask_b32_e64 v82, v82, v89, s5
	v_fma_f32 v98, -v91, v96, v94
	s_delay_alu instid0(VALU_DEP_1) | instskip(NEXT) | instid1(VALU_DEP_1)
	v_fmac_f32_e32 v96, v98, v92
	v_fma_f32 v91, -v91, v96, v94
	s_delay_alu instid0(VALU_DEP_1) | instskip(NEXT) | instid1(VALU_DEP_1)
	v_div_fmas_f32 v91, v91, v92, v96
	v_div_fixup_f32 v90, v91, v90, 1.0
	s_delay_alu instid0(VALU_DEP_1) | instskip(NEXT) | instid1(VALU_DEP_1)
	v_mul_f32_e32 v82, v82, v90
	v_mul_f32_e32 v87, v82, v87
	;; [unrolled: 1-line block ×7, first 2 shown]
	v_dual_mul_f32 v86, v82, v83 :: v_dual_and_b32 v91, 0x7f800000, v90
	v_mul_f32_e32 v85, v82, v76
                                        ; implicit-def: $vgpr76
	s_delay_alu instid0(VALU_DEP_2)
	v_cmpx_ne_u32_e32 0x7f800000, v91
	s_xor_b32 s3, exec_lo, s3
; %bb.13:
	v_bfe_u32 v76, v90, 16, 1
	s_delay_alu instid0(VALU_DEP_1)
	v_add3_u32 v76, v90, v76, 0x7fff
                                        ; implicit-def: $vgpr90
; %bb.14:
	s_and_not1_saveexec_b32 s3, s3
; %bb.15:
	v_and_b32_e32 v76, 0xffff, v90
	v_or_b32_e32 v83, 0x10000, v90
	s_delay_alu instid0(VALU_DEP_2) | instskip(NEXT) | instid1(VALU_DEP_2)
	v_cmp_eq_u32_e32 vcc_lo, 0, v76
	v_cndmask_b32_e32 v76, v83, v90, vcc_lo
; %bb.16:
	s_or_b32 exec_lo, exec_lo, s3
	v_and_b32_e32 v83, 0x7f800000, v85
	s_delay_alu instid0(VALU_DEP_1) | instskip(SKIP_1) | instid1(SALU_CYCLE_1)
	v_cmp_ne_u32_e32 vcc_lo, 0x7f800000, v83
                                        ; implicit-def: $vgpr83
	s_and_saveexec_b32 s3, vcc_lo
	s_xor_b32 s3, exec_lo, s3
; %bb.17:
	v_bfe_u32 v83, v85, 16, 1
	s_delay_alu instid0(VALU_DEP_1)
	v_add3_u32 v83, v85, v83, 0x7fff
                                        ; implicit-def: $vgpr85
; %bb.18:
	s_and_not1_saveexec_b32 s3, s3
; %bb.19:
	v_and_b32_e32 v83, 0xffff, v85
	v_or_b32_e32 v90, 0x10000, v85
	s_delay_alu instid0(VALU_DEP_2) | instskip(NEXT) | instid1(VALU_DEP_2)
	v_cmp_eq_u32_e32 vcc_lo, 0, v83
	v_cndmask_b32_e32 v83, v90, v85, vcc_lo
; %bb.20:
	s_or_b32 exec_lo, exec_lo, s3
	v_and_b32_e32 v85, 0x7f800000, v86
	s_delay_alu instid0(VALU_DEP_1) | instskip(SKIP_1) | instid1(SALU_CYCLE_1)
	v_cmp_ne_u32_e32 vcc_lo, 0x7f800000, v85
                                        ; implicit-def: $vgpr85
	s_and_saveexec_b32 s3, vcc_lo
	s_xor_b32 s3, exec_lo, s3
; %bb.21:
	v_bfe_u32 v85, v86, 16, 1
	s_delay_alu instid0(VALU_DEP_1)
	v_add3_u32 v85, v86, v85, 0x7fff
                                        ; implicit-def: $vgpr86
; %bb.22:
	s_and_not1_saveexec_b32 s3, s3
; %bb.23:
	v_and_b32_e32 v85, 0xffff, v86
	v_or_b32_e32 v90, 0x10000, v86
	s_delay_alu instid0(VALU_DEP_2) | instskip(NEXT) | instid1(VALU_DEP_2)
	v_cmp_eq_u32_e32 vcc_lo, 0, v85
	v_cndmask_b32_e32 v85, v90, v86, vcc_lo
; %bb.24:
	s_or_b32 exec_lo, exec_lo, s3
	v_and_b32_e32 v86, 0x7f800000, v89
	s_delay_alu instid0(VALU_DEP_1) | instskip(SKIP_1) | instid1(SALU_CYCLE_1)
	v_cmp_ne_u32_e32 vcc_lo, 0x7f800000, v86
                                        ; implicit-def: $vgpr86
	s_and_saveexec_b32 s3, vcc_lo
	s_xor_b32 s3, exec_lo, s3
; %bb.25:
	v_bfe_u32 v86, v89, 16, 1
	s_delay_alu instid0(VALU_DEP_1)
	v_add3_u32 v86, v89, v86, 0x7fff
                                        ; implicit-def: $vgpr89
; %bb.26:
	s_and_not1_saveexec_b32 s3, s3
; %bb.27:
	v_and_b32_e32 v86, 0xffff, v89
	v_or_b32_e32 v90, 0x10000, v89
	s_delay_alu instid0(VALU_DEP_2) | instskip(NEXT) | instid1(VALU_DEP_2)
	v_cmp_eq_u32_e32 vcc_lo, 0, v86
	v_cndmask_b32_e32 v86, v90, v89, vcc_lo
; %bb.28:
	s_or_b32 exec_lo, exec_lo, s3
	v_and_b32_e32 v89, 0x7f800000, v88
	s_delay_alu instid0(VALU_DEP_1) | instskip(SKIP_1) | instid1(SALU_CYCLE_1)
	v_cmp_ne_u32_e32 vcc_lo, 0x7f800000, v89
                                        ; implicit-def: $vgpr89
	s_and_saveexec_b32 s3, vcc_lo
	s_xor_b32 s3, exec_lo, s3
; %bb.29:
	v_bfe_u32 v89, v88, 16, 1
	s_delay_alu instid0(VALU_DEP_1)
	v_add3_u32 v89, v88, v89, 0x7fff
                                        ; implicit-def: $vgpr88
; %bb.30:
	s_and_not1_saveexec_b32 s3, s3
; %bb.31:
	v_and_b32_e32 v89, 0xffff, v88
	v_or_b32_e32 v90, 0x10000, v88
	s_delay_alu instid0(VALU_DEP_2) | instskip(NEXT) | instid1(VALU_DEP_2)
	v_cmp_eq_u32_e32 vcc_lo, 0, v89
	v_cndmask_b32_e32 v89, v90, v88, vcc_lo
; %bb.32:
	s_or_b32 exec_lo, exec_lo, s3
	v_and_b32_e32 v88, 0x7f800000, v87
	s_delay_alu instid0(VALU_DEP_1) | instskip(SKIP_1) | instid1(SALU_CYCLE_1)
	v_cmp_ne_u32_e32 vcc_lo, 0x7f800000, v88
                                        ; implicit-def: $vgpr88
	s_and_saveexec_b32 s3, vcc_lo
	s_xor_b32 s3, exec_lo, s3
; %bb.33:
	v_bfe_u32 v88, v87, 16, 1
	s_delay_alu instid0(VALU_DEP_1)
	v_add3_u32 v88, v87, v88, 0x7fff
                                        ; implicit-def: $vgpr87
; %bb.34:
	s_and_not1_saveexec_b32 s3, s3
; %bb.35:
	v_and_b32_e32 v88, 0xffff, v87
	v_or_b32_e32 v90, 0x10000, v87
	s_delay_alu instid0(VALU_DEP_2) | instskip(NEXT) | instid1(VALU_DEP_2)
	v_cmp_eq_u32_e32 vcc_lo, 0, v88
	v_cndmask_b32_e32 v88, v90, v87, vcc_lo
; %bb.36:
	s_or_b32 exec_lo, exec_lo, s3
	v_and_b32_e32 v87, 0x7f800000, v84
	s_delay_alu instid0(VALU_DEP_1) | instskip(SKIP_1) | instid1(SALU_CYCLE_1)
	v_cmp_ne_u32_e32 vcc_lo, 0x7f800000, v87
                                        ; implicit-def: $vgpr87
	s_and_saveexec_b32 s3, vcc_lo
	s_xor_b32 s3, exec_lo, s3
; %bb.37:
	v_bfe_u32 v87, v84, 16, 1
	s_delay_alu instid0(VALU_DEP_1)
	v_add3_u32 v87, v84, v87, 0x7fff
                                        ; implicit-def: $vgpr84
; %bb.38:
	s_and_not1_saveexec_b32 s3, s3
; %bb.39:
	v_and_b32_e32 v87, 0xffff, v84
	v_or_b32_e32 v90, 0x10000, v84
	s_delay_alu instid0(VALU_DEP_2) | instskip(NEXT) | instid1(VALU_DEP_2)
	v_cmp_eq_u32_e32 vcc_lo, 0, v87
	v_cndmask_b32_e32 v87, v90, v84, vcc_lo
; %bb.40:
	s_or_b32 exec_lo, exec_lo, s3
	v_and_b32_e32 v84, 0x7f800000, v80
	s_delay_alu instid0(VALU_DEP_1) | instskip(SKIP_1) | instid1(SALU_CYCLE_1)
	v_cmp_ne_u32_e32 vcc_lo, 0x7f800000, v84
                                        ; implicit-def: $vgpr84
	s_and_saveexec_b32 s3, vcc_lo
	s_xor_b32 s3, exec_lo, s3
; %bb.41:
	v_bfe_u32 v84, v80, 16, 1
	s_delay_alu instid0(VALU_DEP_1)
	v_add3_u32 v84, v80, v84, 0x7fff
                                        ; implicit-def: $vgpr80
; %bb.42:
	s_and_not1_saveexec_b32 s3, s3
; %bb.43:
	v_and_b32_e32 v84, 0xffff, v80
	v_or_b32_e32 v90, 0x10000, v80
	s_delay_alu instid0(VALU_DEP_2) | instskip(NEXT) | instid1(VALU_DEP_2)
	v_cmp_eq_u32_e32 vcc_lo, 0, v84
	v_cndmask_b32_e32 v84, v90, v80, vcc_lo
; %bb.44:
	s_or_b32 exec_lo, exec_lo, s3
	s_load_b64 s[34:35], s[0:1], 0x94
	v_lshlrev_b32_e32 v91, 4, v74
	s_delay_alu instid0(VALU_DEP_2)
	v_perm_b32 v90, v84, v87, 0x7060302
	v_dual_mul_f32 v79, v82, v79 :: v_dual_lshlrev_b32 v80, 6, v65
	v_dual_mul_f32 v77, v82, v77 :: v_dual_lshlrev_b32 v92, 11, v66
	v_mul_f32_e32 v84, v82, v70
	v_perm_b32 v89, v88, v89, 0x7060302
	v_perm_b32 v88, v86, v85, 0x7060302
	;; [unrolled: 1-line block ×3, first 2 shown]
	v_mul_f32_e32 v70, v82, v81
	v_or3_b32 v76, v91, v92, v80
	v_dual_mul_f32 v78, v82, v78 :: v_dual_and_b32 v85, 0x7f800000, v84
	v_mul_f32_e32 v83, v82, v72
	v_mul_f32_e32 v81, v82, v71
	;; [unrolled: 1-line block ×3, first 2 shown]
	s_mov_b32 s3, exec_lo
	ds_store_b128 v76, v[87:90]
                                        ; implicit-def: $vgpr69
	v_cmpx_ne_u32_e32 0x7f800000, v85
	s_xor_b32 s3, exec_lo, s3
; %bb.45:
	v_bfe_u32 v69, v84, 16, 1
	s_delay_alu instid0(VALU_DEP_1)
	v_add3_u32 v69, v84, v69, 0x7fff
                                        ; implicit-def: $vgpr84
; %bb.46:
	s_and_not1_saveexec_b32 s3, s3
; %bb.47:
	v_and_b32_e32 v69, 0xffff, v84
	v_or_b32_e32 v71, 0x10000, v84
	s_delay_alu instid0(VALU_DEP_2) | instskip(NEXT) | instid1(VALU_DEP_2)
	v_cmp_eq_u32_e32 vcc_lo, 0, v69
	v_cndmask_b32_e32 v69, v71, v84, vcc_lo
; %bb.48:
	s_or_b32 exec_lo, exec_lo, s3
	v_and_b32_e32 v71, 0x7f800000, v72
	s_delay_alu instid0(VALU_DEP_1) | instskip(SKIP_1) | instid1(SALU_CYCLE_1)
	v_cmp_ne_u32_e32 vcc_lo, 0x7f800000, v71
                                        ; implicit-def: $vgpr71
	s_and_saveexec_b32 s3, vcc_lo
	s_xor_b32 s3, exec_lo, s3
; %bb.49:
	v_bfe_u32 v71, v72, 16, 1
	s_delay_alu instid0(VALU_DEP_1)
	v_add3_u32 v71, v72, v71, 0x7fff
                                        ; implicit-def: $vgpr72
; %bb.50:
	s_and_not1_saveexec_b32 s3, s3
; %bb.51:
	v_and_b32_e32 v71, 0xffff, v72
	v_or_b32_e32 v82, 0x10000, v72
	s_delay_alu instid0(VALU_DEP_2) | instskip(NEXT) | instid1(VALU_DEP_2)
	v_cmp_eq_u32_e32 vcc_lo, 0, v71
	v_cndmask_b32_e32 v71, v82, v72, vcc_lo
; %bb.52:
	s_or_b32 exec_lo, exec_lo, s3
	v_and_b32_e32 v72, 0x7f800000, v81
	s_delay_alu instid0(VALU_DEP_1) | instskip(SKIP_1) | instid1(SALU_CYCLE_1)
	v_cmp_ne_u32_e32 vcc_lo, 0x7f800000, v72
                                        ; implicit-def: $vgpr72
	s_and_saveexec_b32 s3, vcc_lo
	s_xor_b32 s3, exec_lo, s3
; %bb.53:
	v_bfe_u32 v72, v81, 16, 1
	s_delay_alu instid0(VALU_DEP_1)
	v_add3_u32 v72, v81, v72, 0x7fff
                                        ; implicit-def: $vgpr81
; %bb.54:
	s_and_not1_saveexec_b32 s3, s3
; %bb.55:
	v_and_b32_e32 v72, 0xffff, v81
	v_or_b32_e32 v82, 0x10000, v81
	s_delay_alu instid0(VALU_DEP_2) | instskip(NEXT) | instid1(VALU_DEP_2)
	v_cmp_eq_u32_e32 vcc_lo, 0, v72
	v_cndmask_b32_e32 v72, v82, v81, vcc_lo
; %bb.56:
	s_or_b32 exec_lo, exec_lo, s3
	v_and_b32_e32 v81, 0x7f800000, v83
	s_delay_alu instid0(VALU_DEP_1) | instskip(SKIP_1) | instid1(SALU_CYCLE_1)
	v_cmp_ne_u32_e32 vcc_lo, 0x7f800000, v81
                                        ; implicit-def: $vgpr81
	s_and_saveexec_b32 s3, vcc_lo
	s_xor_b32 s3, exec_lo, s3
; %bb.57:
	v_bfe_u32 v81, v83, 16, 1
	s_delay_alu instid0(VALU_DEP_1)
	v_add3_u32 v81, v83, v81, 0x7fff
                                        ; implicit-def: $vgpr83
; %bb.58:
	s_and_not1_saveexec_b32 s3, s3
; %bb.59:
	v_and_b32_e32 v81, 0xffff, v83
	v_or_b32_e32 v82, 0x10000, v83
	s_delay_alu instid0(VALU_DEP_2) | instskip(NEXT) | instid1(VALU_DEP_2)
	v_cmp_eq_u32_e32 vcc_lo, 0, v81
	v_cndmask_b32_e32 v81, v82, v83, vcc_lo
; %bb.60:
	s_or_b32 exec_lo, exec_lo, s3
	v_and_b32_e32 v82, 0x7f800000, v77
	s_delay_alu instid0(VALU_DEP_1) | instskip(SKIP_1) | instid1(SALU_CYCLE_1)
	v_cmp_ne_u32_e32 vcc_lo, 0x7f800000, v82
                                        ; implicit-def: $vgpr82
	s_and_saveexec_b32 s3, vcc_lo
	s_xor_b32 s3, exec_lo, s3
; %bb.61:
	v_bfe_u32 v82, v77, 16, 1
	s_delay_alu instid0(VALU_DEP_1)
	v_add3_u32 v82, v77, v82, 0x7fff
                                        ; implicit-def: $vgpr77
; %bb.62:
	s_and_not1_saveexec_b32 s3, s3
; %bb.63:
	v_and_b32_e32 v82, 0xffff, v77
	v_or_b32_e32 v83, 0x10000, v77
	s_delay_alu instid0(VALU_DEP_2) | instskip(NEXT) | instid1(VALU_DEP_2)
	v_cmp_eq_u32_e32 vcc_lo, 0, v82
	v_cndmask_b32_e32 v82, v83, v77, vcc_lo
; %bb.64:
	s_or_b32 exec_lo, exec_lo, s3
	v_and_b32_e32 v77, 0x7f800000, v78
	s_delay_alu instid0(VALU_DEP_1) | instskip(SKIP_1) | instid1(SALU_CYCLE_1)
	v_cmp_ne_u32_e32 vcc_lo, 0x7f800000, v77
                                        ; implicit-def: $vgpr77
	s_and_saveexec_b32 s3, vcc_lo
	s_xor_b32 s3, exec_lo, s3
; %bb.65:
	v_bfe_u32 v77, v78, 16, 1
	s_delay_alu instid0(VALU_DEP_1)
	v_add3_u32 v77, v78, v77, 0x7fff
                                        ; implicit-def: $vgpr78
; %bb.66:
	s_and_not1_saveexec_b32 s3, s3
; %bb.67:
	v_and_b32_e32 v77, 0xffff, v78
	v_or_b32_e32 v83, 0x10000, v78
	s_delay_alu instid0(VALU_DEP_2) | instskip(NEXT) | instid1(VALU_DEP_2)
	v_cmp_eq_u32_e32 vcc_lo, 0, v77
	v_cndmask_b32_e32 v77, v83, v78, vcc_lo
; %bb.68:
	s_or_b32 exec_lo, exec_lo, s3
	v_and_b32_e32 v78, 0x7f800000, v79
	s_delay_alu instid0(VALU_DEP_1) | instskip(SKIP_1) | instid1(SALU_CYCLE_1)
	v_cmp_ne_u32_e32 vcc_lo, 0x7f800000, v78
                                        ; implicit-def: $vgpr78
	s_and_saveexec_b32 s3, vcc_lo
	s_xor_b32 s3, exec_lo, s3
; %bb.69:
	v_bfe_u32 v78, v79, 16, 1
	s_delay_alu instid0(VALU_DEP_1)
	v_add3_u32 v78, v79, v78, 0x7fff
                                        ; implicit-def: $vgpr79
; %bb.70:
	s_and_not1_saveexec_b32 s3, s3
; %bb.71:
	v_and_b32_e32 v78, 0xffff, v79
	v_or_b32_e32 v83, 0x10000, v79
	s_delay_alu instid0(VALU_DEP_2) | instskip(NEXT) | instid1(VALU_DEP_2)
	v_cmp_eq_u32_e32 vcc_lo, 0, v78
	v_cndmask_b32_e32 v78, v83, v79, vcc_lo
; %bb.72:
	s_or_b32 exec_lo, exec_lo, s3
	v_and_b32_e32 v79, 0x7f800000, v70
	s_delay_alu instid0(VALU_DEP_1) | instskip(SKIP_1) | instid1(SALU_CYCLE_1)
	v_cmp_ne_u32_e32 vcc_lo, 0x7f800000, v79
                                        ; implicit-def: $vgpr79
	s_and_saveexec_b32 s3, vcc_lo
	s_xor_b32 s3, exec_lo, s3
; %bb.73:
	v_bfe_u32 v79, v70, 16, 1
	s_delay_alu instid0(VALU_DEP_1)
	v_add3_u32 v79, v70, v79, 0x7fff
                                        ; implicit-def: $vgpr70
; %bb.74:
	s_and_not1_saveexec_b32 s3, s3
; %bb.75:
	v_and_b32_e32 v79, 0xffff, v70
	v_or_b32_e32 v83, 0x10000, v70
	s_delay_alu instid0(VALU_DEP_2) | instskip(NEXT) | instid1(VALU_DEP_2)
	v_cmp_eq_u32_e32 vcc_lo, 0, v79
	v_cndmask_b32_e32 v79, v83, v70, vcc_lo
; %bb.76:
	s_or_b32 exec_lo, exec_lo, s3
	s_delay_alu instid0(VALU_DEP_1)
	v_perm_b32 v86, v79, v78, 0x7060302
	v_perm_b32 v85, v77, v82, 0x7060302
	;; [unrolled: 1-line block ×4, first 2 shown]
	v_lshl_or_b32 v82, v66, 11, v80
	ds_store_b128 v76, v[83:86] offset:1024
	s_waitcnt lgkmcnt(0)
	s_barrier
	buffer_gl0_inv
	ds_load_b128 v[69:72], v82
	ds_load_b128 v[83:86], v82 offset:16
	s_waitcnt lgkmcnt(1)
	v_lshrrev_b32_e32 v66, 16, v69
	s_waitcnt lgkmcnt(0)
	v_lshrrev_b32_e32 v91, 16, v83
	v_lshlrev_b32_e32 v78, 2, v74
	v_lshrrev_b32_e32 v95, 16, v70
	v_lshrrev_b32_e32 v98, 16, v84
	;; [unrolled: 1-line block ×4, first 2 shown]
	v_cmp_eq_u32_e32 vcc_lo, 1, v78
	v_lshrrev_b32_e32 v97, 16, v72
	v_lshrrev_b32_e32 v100, 16, v86
	v_cndmask_b32_e32 v87, v83, v91, vcc_lo
	v_or_b32_e32 v79, 1, v78
	v_cndmask_b32_e32 v81, v69, v66, vcc_lo
	v_cmp_eq_u32_e64 s4, 2, v78
	v_cmp_eq_u32_e64 s7, 3, v78
	;; [unrolled: 1-line block ×5, first 2 shown]
	v_cndmask_b32_e64 v81, v81, v70, s4
	v_cndmask_b32_e64 v87, v87, v84, s4
	v_cmp_eq_u32_e64 s8, 3, v79
	v_cndmask_b32_e64 v88, v69, v66, s3
	v_or_b32_e32 v77, 2, v78
	v_cndmask_b32_e64 v81, v81, v95, s7
	v_cndmask_b32_e64 v87, v87, v98, s7
	;; [unrolled: 1-line block ×4, first 2 shown]
	v_cmp_eq_u32_e64 s10, 5, v78
	v_cndmask_b32_e64 v81, v81, v71, s9
	v_cndmask_b32_e64 v87, v87, v85, s9
	v_cmp_eq_u32_e64 s11, 4, v79
	v_cndmask_b32_e64 v88, v88, v95, s8
	v_cmp_eq_u32_e64 s5, 1, v77
	v_cndmask_b32_e64 v89, v89, v84, s6
	v_cndmask_b32_e64 v81, v81, v96, s10
	v_cmp_eq_u32_e64 s12, 6, v78
	v_cndmask_b32_e64 v88, v88, v71, s11
	;; [unrolled: 3-line block ×3, first 2 shown]
	v_cndmask_b32_e64 v89, v89, v98, s8
	v_cndmask_b32_e64 v81, v81, v72, s12
	v_cmp_eq_u32_e64 s15, 7, v78
	v_cndmask_b32_e64 v88, v88, v96, s13
	v_cndmask_b32_e64 v87, v87, v86, s12
	v_cmp_eq_u32_e64 s16, 6, v79
	v_cmp_eq_u32_e64 s17, 2, v77
	v_cndmask_b32_e64 v89, v89, v85, s11
	v_cndmask_b32_e64 v101, v81, v97, s15
	;; [unrolled: 1-line block ×6, first 2 shown]
	v_cmp_eq_u32_e64 s18, 7, v79
	v_cmp_eq_u32_e64 s19, 3, v77
	;; [unrolled: 1-line block ×4, first 2 shown]
	v_cndmask_b32_e64 v87, v87, v84, s17
	v_cndmask_b32_e64 v103, v88, v97, s18
	;; [unrolled: 1-line block ×4, first 2 shown]
	v_or_b32_e32 v81, 3, v78
	v_cndmask_b32_e64 v93, v87, v98, s19
	v_cmp_eq_u32_e64 s24, 6, v77
	v_cndmask_b32_e64 v104, v88, v86, s16
	v_cndmask_b32_e64 v92, v89, v71, s20
	v_cmp_eq_u32_e64 s21, 1, v81
	ds_load_b128 v[87:90], v82 offset:1024
	v_cmp_eq_u32_e64 s23, 2, v81
	v_cmp_eq_u32_e64 s25, 3, v81
	v_cndmask_b32_e64 v105, v92, v96, s22
	v_cndmask_b32_e64 v66, v69, v66, s21
	;; [unrolled: 1-line block ×4, first 2 shown]
	ds_load_b128 v[91:94], v82 offset:1040
	v_cmp_eq_u32_e64 s26, 4, v81
	v_cndmask_b32_e64 v66, v66, v70, s23
	v_cmp_eq_u32_e64 s27, 7, v77
	v_cndmask_b32_e64 v70, v83, v84, s23
	v_cndmask_b32_e64 v84, v105, v72, s24
	v_cmp_eq_u32_e64 s28, 5, v81
	v_cndmask_b32_e64 v66, v66, v95, s25
	v_cmp_eq_u32_e64 s29, 6, v81
	v_cndmask_b32_e64 v70, v70, v98, s25
	v_cndmask_b32_e64 v69, v69, v99, s22
	;; [unrolled: 1-line block ×4, first 2 shown]
	s_waitcnt lgkmcnt(1)
	v_lshrrev_b32_e32 v95, 16, v87
	v_cndmask_b32_e64 v70, v70, v85, s26
	v_cndmask_b32_e64 v71, v84, v97, s27
	;; [unrolled: 1-line block ×4, first 2 shown]
	v_cndmask_b32_e32 v84, v87, v95, vcc_lo
	v_cndmask_b32_e64 v70, v70, v99, s28
	s_waitcnt lgkmcnt(0)
	v_lshrrev_b32_e32 v85, 16, v91
	v_lshrrev_b32_e32 v96, 16, v88
	v_cndmask_b32_e64 v98, v87, v95, s3
	v_cndmask_b32_e64 v84, v84, v88, s4
	v_cndmask_b32_e64 v70, v70, v86, s29
	v_cndmask_b32_e32 v99, v91, v85, vcc_lo
	v_cmp_eq_u32_e32 vcc_lo, 7, v81
	v_cndmask_b32_e64 v66, v66, v72, s29
	v_cndmask_b32_e64 v72, v84, v96, s7
	;; [unrolled: 1-line block ×3, first 2 shown]
	v_lshrrev_b32_e32 v98, 16, v92
	v_cndmask_b32_e32 v70, v70, v100, vcc_lo
	v_cndmask_b32_e64 v86, v99, v92, s4
	v_cndmask_b32_e64 v69, v69, v100, s27
	v_lshrrev_b32_e32 v100, 16, v93
	v_cndmask_b32_e64 v72, v72, v89, s9
	v_lshrrev_b32_e32 v99, 16, v89
	v_cndmask_b32_e64 v86, v86, v98, s7
	v_perm_b32 v71, v69, v71, 0x5040100
	v_cndmask_b32_e64 v84, v84, v96, s8
	s_delay_alu instid0(VALU_DEP_3) | instskip(NEXT) | instid1(VALU_DEP_2)
	v_cndmask_b32_e64 v86, v86, v93, s9
	v_cndmask_b32_e64 v84, v84, v89, s11
	s_delay_alu instid0(VALU_DEP_2) | instskip(NEXT) | instid1(VALU_DEP_1)
	v_cndmask_b32_e64 v86, v86, v100, s10
	v_cndmask_b32_e64 v69, v86, v94, s12
	;; [unrolled: 1-line block ×5, first 2 shown]
	s_delay_alu instid0(VALU_DEP_3) | instskip(NEXT) | instid1(VALU_DEP_3)
	v_cndmask_b32_e64 v86, v86, v88, s17
	v_cndmask_b32_e64 v87, v87, v88, s23
	s_delay_alu instid0(VALU_DEP_3) | instskip(NEXT) | instid1(VALU_DEP_3)
	v_cndmask_b32_e64 v88, v95, v92, s23
	v_cndmask_b32_e64 v86, v86, v96, s19
	;; [unrolled: 3-line block ×7, first 2 shown]
	s_delay_alu instid0(VALU_DEP_3) | instskip(SKIP_2) | instid1(VALU_DEP_2)
	v_cndmask_b32_e64 v88, v88, v94, s29
	v_cndmask_b32_e32 v66, v66, v97, vcc_lo
	v_cndmask_b32_e64 v97, v72, v99, s10
	v_perm_b32 v72, v70, v66, 0x5040100
	v_perm_b32 v70, v83, v103, 0x5040100
	v_cndmask_b32_e64 v103, v91, v85, s5
	v_cndmask_b32_e64 v85, v91, v85, s3
	;; [unrolled: 1-line block ×4, first 2 shown]
	v_lshrrev_b32_e32 v97, 16, v90
	v_cndmask_b32_e64 v91, v103, v92, s17
	v_cndmask_b32_e64 v85, v85, v92, s6
	;; [unrolled: 1-line block ×3, first 2 shown]
	s_mov_b32 s3, exec_lo
	v_cndmask_b32_e64 v83, v84, v97, s15
	v_cndmask_b32_e64 v91, v91, v98, s19
	;; [unrolled: 1-line block ×3, first 2 shown]
	v_lshrrev_b32_e32 v84, 16, v94
	v_cndmask_b32_e64 v66, v66, v97, s18
	v_cndmask_b32_e64 v90, v86, v97, s27
	v_cndmask_b32_e64 v89, v91, v93, s20
	v_cndmask_b32_e64 v85, v85, v93, s11
	v_dual_cndmask_b32 v86, v87, v97 :: v_dual_cndmask_b32 v87, v88, v84
	v_cndmask_b32_e64 v91, v69, v84, s15
	s_delay_alu instid0(VALU_DEP_4) | instskip(NEXT) | instid1(VALU_DEP_4)
	v_cndmask_b32_e64 v89, v89, v100, s22
	v_cndmask_b32_e64 v85, v85, v100, s13
	v_perm_b32 v69, v102, v101, 0x5040100
	v_perm_b32 v86, v87, v86, 0x5040100
	;; [unrolled: 1-line block ×3, first 2 shown]
	v_cndmask_b32_e64 v89, v89, v94, s24
	v_cndmask_b32_e64 v85, v85, v94, s16
	s_mul_i32 s8, s35, 14
	s_delay_alu instid0(VALU_DEP_2) | instskip(NEXT) | instid1(VALU_DEP_2)
	v_cndmask_b32_e64 v88, v89, v84, s27
	v_cndmask_b32_e64 v89, v85, v84, s18
	s_delay_alu instid0(VALU_DEP_2) | instskip(NEXT) | instid1(VALU_DEP_2)
	v_perm_b32 v85, v88, v90, 0x5040100
	v_perm_b32 v84, v89, v66, 0x5040100
	ds_store_b128 v76, v[69:72]
	ds_store_b128 v76, v[83:86] offset:1024
	v_cmpx_gt_u32_e32 14, v0
	s_cbranch_execz .LBB1499_78
; %bb.77:
	s_mul_i32 s4, s8, s30
	s_delay_alu instid0(SALU_CYCLE_1) | instskip(SKIP_1) | instid1(VALU_DEP_1)
	v_add3_u32 v69, s4, s31, v65
	s_load_b128 s[4:7], s[0:1], 0x58
	v_mad_u64_u32 v[65:66], null, v69, s34, s[14:15]
	s_delay_alu instid0(VALU_DEP_1) | instskip(NEXT) | instid1(VALU_DEP_1)
	v_ashrrev_i32_e32 v66, 31, v65
	v_lshlrev_b64 v[65:66], 2, v[65:66]
	s_waitcnt lgkmcnt(0)
	s_delay_alu instid0(VALU_DEP_1) | instskip(NEXT) | instid1(VALU_DEP_2)
	v_add_co_u32 v69, vcc_lo, s6, v65
	v_add_co_ci_u32_e32 v70, vcc_lo, s7, v66, vcc_lo
	v_add_co_u32 v65, vcc_lo, s4, v65
	v_add_co_ci_u32_e32 v66, vcc_lo, s5, v66, vcc_lo
	global_store_b32 v[69:70], v67, off
	global_store_b32 v[65:66], v68, off
.LBB1499_78:
	s_or_b32 exec_lo, exec_lo, s3
	s_waitcnt lgkmcnt(0)
	s_waitcnt_vscnt null, 0x0
	s_barrier
	buffer_gl0_inv
	ds_load_b128 v[83:86], v80
	ds_load_b128 v[87:90], v80 offset:16
	ds_load_b128 v[95:98], v80 offset:2064
	;; [unrolled: 1-line block ×3, first 2 shown]
	v_mov_b32_e32 v65, 0
	ds_load_b128 v[103:106], v80 offset:4112
	ds_load_b128 v[99:102], v80 offset:4096
	;; [unrolled: 1-line block ×4, first 2 shown]
	v_mov_b32_e32 v66, v65
	v_mov_b32_e32 v67, v65
	;; [unrolled: 1-line block ×7, first 2 shown]
	s_waitcnt lgkmcnt(6)
	s_delay_alu instid0(VALU_DEP_1)
	v_wmma_f32_16x16x16_bf16 v[65:72], v[57:64], v[83:90], v[65:72]
	ds_load_b128 v[61:64], v80 offset:8208
	ds_load_b128 v[57:60], v80 offset:8192
	s_waitcnt lgkmcnt(6)
	v_wmma_f32_16x16x16_bf16 v[65:72], v[41:48], v[91:98], v[65:72]
	ds_load_b128 v[45:48], v80 offset:10256
	ds_load_b128 v[41:44], v80 offset:10240
	s_waitcnt lgkmcnt(6)
	;; [unrolled: 4-line block ×4, first 2 shown]
	v_wmma_f32_16x16x16_bf16 v[65:72], v[1:8], v[57:64], v[65:72]
	s_waitcnt lgkmcnt(4)
	s_delay_alu instid0(VALU_DEP_1) | instskip(SKIP_1) | instid1(VALU_DEP_1)
	v_wmma_f32_16x16x16_bf16 v[65:72], v[9:16], v[41:48], v[65:72]
	s_waitcnt lgkmcnt(2)
	v_wmma_f32_16x16x16_bf16 v[65:72], v[17:24], v[33:40], v[65:72]
	s_waitcnt lgkmcnt(0)
	s_delay_alu instid0(VALU_DEP_1) | instskip(NEXT) | instid1(VALU_DEP_1)
	v_wmma_f32_16x16x16_bf16 v[65:72], v[49:56], v[25:32], v[65:72]
	v_and_b32_e32 v1, 0x7f800000, v65
	s_delay_alu instid0(VALU_DEP_1) | instskip(SKIP_1) | instid1(SALU_CYCLE_1)
	v_cmp_ne_u32_e32 vcc_lo, 0x7f800000, v1
                                        ; implicit-def: $vgpr1
	s_and_saveexec_b32 s3, vcc_lo
	s_xor_b32 s3, exec_lo, s3
; %bb.79:
	v_bfe_u32 v1, v65, 16, 1
	s_delay_alu instid0(VALU_DEP_1)
	v_add3_u32 v1, v65, v1, 0x7fff
; %bb.80:
	s_and_not1_saveexec_b32 s3, s3
; %bb.81:
	v_and_b32_e32 v1, 0xffff, v65
	v_or_b32_e32 v2, 0x10000, v65
	s_delay_alu instid0(VALU_DEP_2) | instskip(NEXT) | instid1(VALU_DEP_2)
	v_cmp_eq_u32_e32 vcc_lo, 0, v1
	v_cndmask_b32_e32 v1, v2, v65, vcc_lo
; %bb.82:
	s_or_b32 exec_lo, exec_lo, s3
	v_and_b32_e32 v2, 0x7f800000, v66
	s_delay_alu instid0(VALU_DEP_1) | instskip(SKIP_1) | instid1(SALU_CYCLE_1)
	v_cmp_ne_u32_e32 vcc_lo, 0x7f800000, v2
                                        ; implicit-def: $vgpr2
	s_and_saveexec_b32 s3, vcc_lo
	s_xor_b32 s3, exec_lo, s3
; %bb.83:
	v_bfe_u32 v2, v66, 16, 1
	s_delay_alu instid0(VALU_DEP_1)
	v_add3_u32 v2, v66, v2, 0x7fff
; %bb.84:
	s_and_not1_saveexec_b32 s3, s3
; %bb.85:
	v_and_b32_e32 v2, 0xffff, v66
	v_or_b32_e32 v3, 0x10000, v66
	s_delay_alu instid0(VALU_DEP_2) | instskip(NEXT) | instid1(VALU_DEP_2)
	v_cmp_eq_u32_e32 vcc_lo, 0, v2
	v_cndmask_b32_e32 v2, v3, v66, vcc_lo
; %bb.86:
	s_or_b32 exec_lo, exec_lo, s3
	v_and_b32_e32 v3, 0x7f800000, v67
	s_delay_alu instid0(VALU_DEP_1) | instskip(SKIP_1) | instid1(SALU_CYCLE_1)
	v_cmp_ne_u32_e32 vcc_lo, 0x7f800000, v3
                                        ; implicit-def: $vgpr3
	s_and_saveexec_b32 s3, vcc_lo
	s_xor_b32 s3, exec_lo, s3
; %bb.87:
	v_bfe_u32 v3, v67, 16, 1
	s_delay_alu instid0(VALU_DEP_1)
	v_add3_u32 v3, v67, v3, 0x7fff
; %bb.88:
	s_and_not1_saveexec_b32 s3, s3
; %bb.89:
	v_and_b32_e32 v3, 0xffff, v67
	v_or_b32_e32 v4, 0x10000, v67
	s_delay_alu instid0(VALU_DEP_2) | instskip(NEXT) | instid1(VALU_DEP_2)
	v_cmp_eq_u32_e32 vcc_lo, 0, v3
	v_cndmask_b32_e32 v3, v4, v67, vcc_lo
; %bb.90:
	s_or_b32 exec_lo, exec_lo, s3
	v_and_b32_e32 v4, 0x7f800000, v68
	s_delay_alu instid0(VALU_DEP_1) | instskip(SKIP_1) | instid1(SALU_CYCLE_1)
	v_cmp_ne_u32_e32 vcc_lo, 0x7f800000, v4
                                        ; implicit-def: $vgpr4
	s_and_saveexec_b32 s3, vcc_lo
	s_xor_b32 s3, exec_lo, s3
; %bb.91:
	v_bfe_u32 v4, v68, 16, 1
	s_delay_alu instid0(VALU_DEP_1)
	v_add3_u32 v4, v68, v4, 0x7fff
; %bb.92:
	s_and_not1_saveexec_b32 s3, s3
; %bb.93:
	v_and_b32_e32 v4, 0xffff, v68
	v_or_b32_e32 v5, 0x10000, v68
	s_delay_alu instid0(VALU_DEP_2) | instskip(NEXT) | instid1(VALU_DEP_2)
	v_cmp_eq_u32_e32 vcc_lo, 0, v4
	v_cndmask_b32_e32 v4, v5, v68, vcc_lo
; %bb.94:
	s_or_b32 exec_lo, exec_lo, s3
	v_and_b32_e32 v5, 0x7f800000, v69
	s_delay_alu instid0(VALU_DEP_1) | instskip(SKIP_1) | instid1(SALU_CYCLE_1)
	v_cmp_ne_u32_e32 vcc_lo, 0x7f800000, v5
                                        ; implicit-def: $vgpr5
	s_and_saveexec_b32 s3, vcc_lo
	s_xor_b32 s3, exec_lo, s3
; %bb.95:
	v_bfe_u32 v5, v69, 16, 1
	s_delay_alu instid0(VALU_DEP_1)
	v_add3_u32 v5, v69, v5, 0x7fff
; %bb.96:
	s_and_not1_saveexec_b32 s3, s3
; %bb.97:
	v_and_b32_e32 v5, 0xffff, v69
	v_or_b32_e32 v6, 0x10000, v69
	s_delay_alu instid0(VALU_DEP_2) | instskip(NEXT) | instid1(VALU_DEP_2)
	v_cmp_eq_u32_e32 vcc_lo, 0, v5
	v_cndmask_b32_e32 v5, v6, v69, vcc_lo
; %bb.98:
	s_or_b32 exec_lo, exec_lo, s3
	v_and_b32_e32 v6, 0x7f800000, v70
	s_delay_alu instid0(VALU_DEP_1) | instskip(SKIP_1) | instid1(SALU_CYCLE_1)
	v_cmp_ne_u32_e32 vcc_lo, 0x7f800000, v6
                                        ; implicit-def: $vgpr6
	s_and_saveexec_b32 s3, vcc_lo
	s_xor_b32 s3, exec_lo, s3
; %bb.99:
	v_bfe_u32 v6, v70, 16, 1
	s_delay_alu instid0(VALU_DEP_1)
	v_add3_u32 v6, v70, v6, 0x7fff
; %bb.100:
	s_and_not1_saveexec_b32 s3, s3
; %bb.101:
	v_and_b32_e32 v6, 0xffff, v70
	v_or_b32_e32 v7, 0x10000, v70
	s_delay_alu instid0(VALU_DEP_2) | instskip(NEXT) | instid1(VALU_DEP_2)
	v_cmp_eq_u32_e32 vcc_lo, 0, v6
	v_cndmask_b32_e32 v6, v7, v70, vcc_lo
; %bb.102:
	s_or_b32 exec_lo, exec_lo, s3
	v_and_b32_e32 v7, 0x7f800000, v71
	s_delay_alu instid0(VALU_DEP_1) | instskip(SKIP_1) | instid1(SALU_CYCLE_1)
	v_cmp_ne_u32_e32 vcc_lo, 0x7f800000, v7
                                        ; implicit-def: $vgpr7
	s_and_saveexec_b32 s3, vcc_lo
	s_xor_b32 s3, exec_lo, s3
; %bb.103:
	v_bfe_u32 v7, v71, 16, 1
	s_delay_alu instid0(VALU_DEP_1)
	v_add3_u32 v7, v71, v7, 0x7fff
; %bb.104:
	s_and_not1_saveexec_b32 s3, s3
; %bb.105:
	v_and_b32_e32 v7, 0xffff, v71
	v_or_b32_e32 v8, 0x10000, v71
	s_delay_alu instid0(VALU_DEP_2) | instskip(NEXT) | instid1(VALU_DEP_2)
	v_cmp_eq_u32_e32 vcc_lo, 0, v7
	v_cndmask_b32_e32 v7, v8, v71, vcc_lo
; %bb.106:
	s_or_b32 exec_lo, exec_lo, s3
	v_and_b32_e32 v8, 0x7f800000, v72
	s_delay_alu instid0(VALU_DEP_1) | instskip(SKIP_1) | instid1(SALU_CYCLE_1)
	v_cmp_ne_u32_e32 vcc_lo, 0x7f800000, v8
                                        ; implicit-def: $vgpr8
	s_and_saveexec_b32 s3, vcc_lo
	s_xor_b32 s3, exec_lo, s3
; %bb.107:
	v_bfe_u32 v8, v72, 16, 1
	s_delay_alu instid0(VALU_DEP_1)
	v_add3_u32 v8, v72, v8, 0x7fff
                                        ; implicit-def: $vgpr65_vgpr66_vgpr67_vgpr68_vgpr69_vgpr70_vgpr71_vgpr72
; %bb.108:
	s_and_not1_saveexec_b32 s3, s3
; %bb.109:
	v_and_b32_e32 v8, 0xffff, v72
	v_or_b32_e32 v9, 0x10000, v72
	s_delay_alu instid0(VALU_DEP_2) | instskip(NEXT) | instid1(VALU_DEP_2)
	v_cmp_eq_u32_e32 vcc_lo, 0, v8
	v_cndmask_b32_e32 v8, v9, v72, vcc_lo
; %bb.110:
	s_or_b32 exec_lo, exec_lo, s3
	s_delay_alu instid0(VALU_DEP_1)
	v_perm_b32 v7, v8, v7, 0x7060302
	v_perm_b32 v6, v6, v5, 0x7060302
	v_perm_b32 v5, v4, v3, 0x7060302
	v_perm_b32 v4, v2, v1, 0x7060302
	s_barrier
	buffer_gl0_inv
	v_cmp_eq_u32_e32 vcc_lo, 1, v78
	ds_store_b128 v76, v[4:7]
	s_waitcnt lgkmcnt(0)
	s_barrier
	buffer_gl0_inv
	ds_load_b128 v[1:4], v82
	ds_load_b128 v[5:8], v82 offset:16
	v_cmp_eq_u32_e64 s3, 1, v79
	v_cmp_eq_u32_e64 s4, 2, v78
	;; [unrolled: 1-line block ×5, first 2 shown]
	s_waitcnt lgkmcnt(1)
	v_lshrrev_b32_e32 v9, 16, v1
	s_waitcnt lgkmcnt(0)
	v_lshrrev_b32_e32 v13, 16, v5
	v_lshrrev_b32_e32 v10, 16, v2
	;; [unrolled: 1-line block ×4, first 2 shown]
	v_cndmask_b32_e64 v19, v1, v9, s3
	v_cndmask_b32_e32 v18, v5, v13, vcc_lo
	v_cndmask_b32_e64 v20, v5, v13, s3
	v_cndmask_b32_e32 v17, v1, v9, vcc_lo
	v_cmp_eq_u32_e32 vcc_lo, 2, v79
	v_lshrrev_b32_e32 v15, 16, v7
	v_cmp_eq_u32_e64 s3, 1, v77
	v_lshrrev_b32_e32 v12, 16, v4
	v_lshrrev_b32_e32 v16, 16, v8
	v_cndmask_b32_e32 v20, v20, v6, vcc_lo
	v_cndmask_b32_e64 v17, v17, v2, s4
	v_cndmask_b32_e32 v19, v19, v2, vcc_lo
	v_cndmask_b32_e64 v18, v18, v6, s4
	v_cmp_eq_u32_e32 vcc_lo, 4, v78
	v_cmp_eq_u32_e64 s4, 3, v79
	v_cndmask_b32_e64 v17, v17, v10, s5
	v_cndmask_b32_e64 v21, v1, v9, s3
	;; [unrolled: 1-line block ×5, first 2 shown]
	v_cndmask_b32_e32 v17, v17, v3, vcc_lo
	v_cndmask_b32_e64 v20, v20, v14, s4
	v_cndmask_b32_e32 v18, v18, v7, vcc_lo
	v_cmp_eq_u32_e32 vcc_lo, 4, v79
	v_cmp_eq_u32_e64 s4, 5, v79
	v_cmp_eq_u32_e64 s3, 2, v81
	v_cndmask_b32_e64 v21, v21, v2, s7
	v_cmp_eq_u32_e64 s5, 5, v78
	v_cndmask_b32_e32 v19, v19, v3, vcc_lo
	v_cndmask_b32_e32 v20, v20, v7, vcc_lo
	v_cmp_eq_u32_e32 vcc_lo, 6, v79
	s_delay_alu instid0(VALU_DEP_4) | instskip(NEXT) | instid1(VALU_DEP_4)
	v_cndmask_b32_e64 v17, v17, v11, s5
	v_cndmask_b32_e64 v19, v19, v11, s4
	s_delay_alu instid0(VALU_DEP_4) | instskip(SKIP_1) | instid1(VALU_DEP_3)
	v_cndmask_b32_e64 v20, v20, v15, s4
	v_cmp_eq_u32_e64 s4, 1, v81
	v_cndmask_b32_e32 v19, v19, v4, vcc_lo
	v_cndmask_b32_e64 v18, v18, v15, s5
	s_delay_alu instid0(VALU_DEP_3)
	v_cndmask_b32_e64 v1, v1, v9, s4
	v_cndmask_b32_e64 v5, v5, v13, s4
	v_cmp_eq_u32_e64 s4, 3, v77
	v_cndmask_b32_e64 v13, v22, v6, s7
	v_cmp_eq_u32_e64 s7, 3, v81
	v_cndmask_b32_e64 v1, v1, v2, s3
	v_cndmask_b32_e64 v2, v5, v6, s3
	;; [unrolled: 1-line block ×3, first 2 shown]
	v_cmp_eq_u32_e64 s3, 4, v77
	v_cndmask_b32_e64 v6, v13, v14, s4
	v_cndmask_b32_e64 v1, v1, v10, s7
	v_cmp_eq_u32_e64 s4, 4, v81
	v_cndmask_b32_e64 v2, v2, v14, s7
	v_cndmask_b32_e64 v5, v9, v3, s3
	;; [unrolled: 3-line block ×3, first 2 shown]
	v_cndmask_b32_e64 v2, v2, v7, s4
	v_cmp_eq_u32_e64 s3, 5, v81
	v_cmp_eq_u32_e64 s5, 6, v78
	v_cndmask_b32_e64 v5, v5, v11, s7
	v_cmp_eq_u32_e64 s4, 6, v77
	v_cndmask_b32_e64 v3, v6, v15, s7
	v_cndmask_b32_e64 v1, v1, v11, s3
	v_cmp_eq_u32_e64 s7, 6, v81
	v_cndmask_b32_e64 v2, v2, v15, s3
	v_cndmask_b32_e64 v17, v17, v4, s5
	v_cndmask_b32_e64 v18, v18, v8, s5
	v_cmp_eq_u32_e64 s5, 7, v78
	v_cndmask_b32_e64 v5, v5, v4, s4
	;; [unrolled: 4-line block ×3, first 2 shown]
	v_cmp_eq_u32_e64 s4, 7, v77
	v_cndmask_b32_e32 v4, v20, v8, vcc_lo
	v_cndmask_b32_e64 v17, v17, v12, s5
	v_cndmask_b32_e64 v19, v19, v12, s6
	;; [unrolled: 1-line block ×8, first 2 shown]
	v_cmp_gt_u32_e32 vcc_lo, 32, v0
	v_perm_b32 v4, v2, v1, 0x5040100
	v_perm_b32 v3, v3, v5, 0x5040100
	v_perm_b32 v2, v6, v19, 0x5040100
	v_perm_b32 v1, v7, v17, 0x5040100
	s_and_b32 s2, vcc_lo, s2
	ds_store_b128 v76, v[1:4]
	s_waitcnt lgkmcnt(0)
	s_barrier
	buffer_gl0_inv
	s_and_saveexec_b32 s3, s2
	s_cbranch_execz .LBB1499_2
; %bb.111:
	s_load_b64 s[0:1], s[0:1], 0x68
	v_lshlrev_b32_e32 v0, 10, v0
	s_lshl_b32 s4, s34, 6
	v_or_b32_e32 v3, s31, v74
	s_mul_i32 s2, s4, s30
	v_lshlrev_b32_e32 v1, 4, v75
	v_lshlrev_b32_e32 v2, 6, v74
	v_and_b32_e32 v0, 0x3800, v0
	s_mul_i32 s2, s2, s8
	v_mul_lo_u32 v8, v3, s4
	s_ashr_i32 s3, s2, 31
	s_delay_alu instid0(SALU_CYCLE_1)
	s_lshl_b64 s[2:3], s[2:3], 1
	v_or3_b32 v16, v0, v1, v2
	ds_load_b128 v[0:3], v16
	ds_load_b128 v[4:7], v16 offset:128
	v_ashrrev_i32_e32 v9, 31, v8
	s_waitcnt lgkmcnt(0)
	s_add_u32 s2, s0, s2
	s_addc_u32 s3, s1, s3
	s_lshl_b32 s0, s14, 6
	s_delay_alu instid0(SALU_CYCLE_1) | instskip(SKIP_2) | instid1(SALU_CYCLE_1)
	s_ashr_i32 s1, s0, 31
	v_lshlrev_b64 v[9:10], 1, v[8:9]
	s_lshl_b64 s[0:1], s[0:1], 1
	s_add_u32 s0, s2, s0
	s_addc_u32 s1, s3, s1
	s_lshl_b32 s2, s34, 7
	v_add_co_u32 v30, s0, s0, v73
	v_add_nc_u32_e32 v11, s2, v8
	v_add_co_ci_u32_e64 v31, null, s1, 0, s0
	s_delay_alu instid0(VALU_DEP_3) | instskip(NEXT) | instid1(VALU_DEP_3)
	v_add_co_u32 v9, vcc_lo, v30, v9
	v_add_nc_u32_e32 v8, s2, v11
	s_delay_alu instid0(VALU_DEP_3) | instskip(SKIP_1) | instid1(VALU_DEP_3)
	v_add_co_ci_u32_e32 v10, vcc_lo, v31, v10, vcc_lo
	v_ashrrev_i32_e32 v12, 31, v11
	v_add_nc_u32_e32 v13, s2, v8
	global_store_b128 v[9:10], v[0:3], off
	v_ashrrev_i32_e32 v9, 31, v8
	v_lshlrev_b64 v[11:12], 1, v[11:12]
	v_ashrrev_i32_e32 v14, 31, v13
	v_add_nc_u32_e32 v10, s2, v13
	s_delay_alu instid0(VALU_DEP_4) | instskip(NEXT) | instid1(VALU_DEP_4)
	v_lshlrev_b64 v[2:3], 1, v[8:9]
	v_add_co_u32 v0, vcc_lo, v30, v11
	s_delay_alu instid0(VALU_DEP_4)
	v_lshlrev_b64 v[8:9], 1, v[13:14]
	v_add_co_ci_u32_e32 v1, vcc_lo, v31, v12, vcc_lo
	v_ashrrev_i32_e32 v11, 31, v10
	v_add_co_u32 v22, vcc_lo, v30, v2
	v_add_nc_u32_e32 v20, s2, v10
	v_add_co_ci_u32_e32 v23, vcc_lo, v31, v3, vcc_lo
	v_add_co_u32 v24, vcc_lo, v30, v8
	global_store_b128 v[0:1], v[4:7], off
	v_add_co_ci_u32_e32 v25, vcc_lo, v31, v9, vcc_lo
	ds_load_b128 v[0:3], v16 offset:256
	ds_load_b128 v[4:7], v16 offset:384
	v_lshlrev_b64 v[26:27], 1, v[10:11]
	ds_load_b128 v[8:11], v16 offset:512
	ds_load_b128 v[12:15], v16 offset:640
	;; [unrolled: 1-line block ×3, first 2 shown]
	v_add_nc_u32_e32 v28, s2, v20
	v_ashrrev_i32_e32 v21, 31, v20
	v_add_co_u32 v26, vcc_lo, v30, v26
	s_delay_alu instid0(VALU_DEP_3) | instskip(NEXT) | instid1(VALU_DEP_3)
	v_ashrrev_i32_e32 v29, 31, v28
	v_lshlrev_b64 v[20:21], 1, v[20:21]
	v_add_co_ci_u32_e32 v27, vcc_lo, v31, v27, vcc_lo
	s_delay_alu instid0(VALU_DEP_3) | instskip(NEXT) | instid1(VALU_DEP_3)
	v_lshlrev_b64 v[28:29], 1, v[28:29]
	v_add_co_u32 v20, vcc_lo, v30, v20
	s_delay_alu instid0(VALU_DEP_4) | instskip(NEXT) | instid1(VALU_DEP_3)
	v_add_co_ci_u32_e32 v21, vcc_lo, v31, v21, vcc_lo
	v_add_co_u32 v28, vcc_lo, v30, v28
	s_delay_alu instid0(VALU_DEP_4)
	v_add_co_ci_u32_e32 v29, vcc_lo, v31, v29, vcc_lo
	s_waitcnt lgkmcnt(4)
	global_store_b128 v[22:23], v[0:3], off
	s_waitcnt lgkmcnt(3)
	global_store_b128 v[24:25], v[4:7], off
	;; [unrolled: 2-line block ×5, first 2 shown]
	s_nop 0
	s_sendmsg sendmsg(MSG_DEALLOC_VGPRS)
	s_endpgm
	.section	.rodata,"a",@progbits
	.p2align	6, 0x0
	.amdhsa_kernel _Z39paged_attention_ll4mi_QKV_mfma16_kernelI14__hip_bfloat16hLN4vllm18Fp8KVCacheDataTypeE1ES0_Li32ELi64ELi256ELb0ELi14EL8MFMAType1EEvPKT_PKT0_S9_ifPKiSB_SB_iPKfiiiPfSE_PS4_PT2_iSD_SD_
		.amdhsa_group_segment_fixed_size 17472
		.amdhsa_private_segment_fixed_size 0
		.amdhsa_kernarg_size 400
		.amdhsa_user_sgpr_count 13
		.amdhsa_user_sgpr_dispatch_ptr 0
		.amdhsa_user_sgpr_queue_ptr 0
		.amdhsa_user_sgpr_kernarg_segment_ptr 1
		.amdhsa_user_sgpr_dispatch_id 0
		.amdhsa_user_sgpr_private_segment_size 0
		.amdhsa_wavefront_size32 1
		.amdhsa_uses_dynamic_stack 0
		.amdhsa_enable_private_segment 0
		.amdhsa_system_sgpr_workgroup_id_x 1
		.amdhsa_system_sgpr_workgroup_id_y 1
		.amdhsa_system_sgpr_workgroup_id_z 1
		.amdhsa_system_sgpr_workgroup_info 0
		.amdhsa_system_vgpr_workitem_id 0
		.amdhsa_next_free_vgpr 124
		.amdhsa_next_free_sgpr 40
		.amdhsa_reserve_vcc 1
		.amdhsa_float_round_mode_32 0
		.amdhsa_float_round_mode_16_64 0
		.amdhsa_float_denorm_mode_32 3
		.amdhsa_float_denorm_mode_16_64 3
		.amdhsa_dx10_clamp 1
		.amdhsa_ieee_mode 1
		.amdhsa_fp16_overflow 0
		.amdhsa_workgroup_processor_mode 1
		.amdhsa_memory_ordered 1
		.amdhsa_forward_progress 0
		.amdhsa_shared_vgpr_count 0
		.amdhsa_exception_fp_ieee_invalid_op 0
		.amdhsa_exception_fp_denorm_src 0
		.amdhsa_exception_fp_ieee_div_zero 0
		.amdhsa_exception_fp_ieee_overflow 0
		.amdhsa_exception_fp_ieee_underflow 0
		.amdhsa_exception_fp_ieee_inexact 0
		.amdhsa_exception_int_div_zero 0
	.end_amdhsa_kernel
	.section	.text._Z39paged_attention_ll4mi_QKV_mfma16_kernelI14__hip_bfloat16hLN4vllm18Fp8KVCacheDataTypeE1ES0_Li32ELi64ELi256ELb0ELi14EL8MFMAType1EEvPKT_PKT0_S9_ifPKiSB_SB_iPKfiiiPfSE_PS4_PT2_iSD_SD_,"axG",@progbits,_Z39paged_attention_ll4mi_QKV_mfma16_kernelI14__hip_bfloat16hLN4vllm18Fp8KVCacheDataTypeE1ES0_Li32ELi64ELi256ELb0ELi14EL8MFMAType1EEvPKT_PKT0_S9_ifPKiSB_SB_iPKfiiiPfSE_PS4_PT2_iSD_SD_,comdat
.Lfunc_end1499:
	.size	_Z39paged_attention_ll4mi_QKV_mfma16_kernelI14__hip_bfloat16hLN4vllm18Fp8KVCacheDataTypeE1ES0_Li32ELi64ELi256ELb0ELi14EL8MFMAType1EEvPKT_PKT0_S9_ifPKiSB_SB_iPKfiiiPfSE_PS4_PT2_iSD_SD_, .Lfunc_end1499-_Z39paged_attention_ll4mi_QKV_mfma16_kernelI14__hip_bfloat16hLN4vllm18Fp8KVCacheDataTypeE1ES0_Li32ELi64ELi256ELb0ELi14EL8MFMAType1EEvPKT_PKT0_S9_ifPKiSB_SB_iPKfiiiPfSE_PS4_PT2_iSD_SD_
                                        ; -- End function
	.section	.AMDGPU.csdata,"",@progbits
; Kernel info:
; codeLenInByte = 8924
; NumSgprs: 42
; NumVgprs: 124
; ScratchSize: 0
; MemoryBound: 0
; FloatMode: 240
; IeeeMode: 1
; LDSByteSize: 17472 bytes/workgroup (compile time only)
; SGPRBlocks: 5
; VGPRBlocks: 15
; NumSGPRsForWavesPerEU: 42
; NumVGPRsForWavesPerEU: 124
; Occupancy: 10
; WaveLimiterHint : 1
; COMPUTE_PGM_RSRC2:SCRATCH_EN: 0
; COMPUTE_PGM_RSRC2:USER_SGPR: 13
; COMPUTE_PGM_RSRC2:TRAP_HANDLER: 0
; COMPUTE_PGM_RSRC2:TGID_X_EN: 1
; COMPUTE_PGM_RSRC2:TGID_Y_EN: 1
; COMPUTE_PGM_RSRC2:TGID_Z_EN: 1
; COMPUTE_PGM_RSRC2:TIDIG_COMP_CNT: 0
	.section	.text._Z39paged_attention_ll4mi_QKV_mfma16_kernelI14__hip_bfloat16hLN4vllm18Fp8KVCacheDataTypeE1ES0_Li32ELi64ELi256ELb0ELi15EL8MFMAType1EEvPKT_PKT0_S9_ifPKiSB_SB_iPKfiiiPfSE_PS4_PT2_iSD_SD_,"axG",@progbits,_Z39paged_attention_ll4mi_QKV_mfma16_kernelI14__hip_bfloat16hLN4vllm18Fp8KVCacheDataTypeE1ES0_Li32ELi64ELi256ELb0ELi15EL8MFMAType1EEvPKT_PKT0_S9_ifPKiSB_SB_iPKfiiiPfSE_PS4_PT2_iSD_SD_,comdat
	.protected	_Z39paged_attention_ll4mi_QKV_mfma16_kernelI14__hip_bfloat16hLN4vllm18Fp8KVCacheDataTypeE1ES0_Li32ELi64ELi256ELb0ELi15EL8MFMAType1EEvPKT_PKT0_S9_ifPKiSB_SB_iPKfiiiPfSE_PS4_PT2_iSD_SD_ ; -- Begin function _Z39paged_attention_ll4mi_QKV_mfma16_kernelI14__hip_bfloat16hLN4vllm18Fp8KVCacheDataTypeE1ES0_Li32ELi64ELi256ELb0ELi15EL8MFMAType1EEvPKT_PKT0_S9_ifPKiSB_SB_iPKfiiiPfSE_PS4_PT2_iSD_SD_
	.globl	_Z39paged_attention_ll4mi_QKV_mfma16_kernelI14__hip_bfloat16hLN4vllm18Fp8KVCacheDataTypeE1ES0_Li32ELi64ELi256ELb0ELi15EL8MFMAType1EEvPKT_PKT0_S9_ifPKiSB_SB_iPKfiiiPfSE_PS4_PT2_iSD_SD_
	.p2align	8
	.type	_Z39paged_attention_ll4mi_QKV_mfma16_kernelI14__hip_bfloat16hLN4vllm18Fp8KVCacheDataTypeE1ES0_Li32ELi64ELi256ELb0ELi15EL8MFMAType1EEvPKT_PKT0_S9_ifPKiSB_SB_iPKfiiiPfSE_PS4_PT2_iSD_SD_,@function
_Z39paged_attention_ll4mi_QKV_mfma16_kernelI14__hip_bfloat16hLN4vllm18Fp8KVCacheDataTypeE1ES0_Li32ELi64ELi256ELb0ELi15EL8MFMAType1EEvPKT_PKT0_S9_ifPKiSB_SB_iPKfiiiPfSE_PS4_PT2_iSD_SD_: ; @_Z39paged_attention_ll4mi_QKV_mfma16_kernelI14__hip_bfloat16hLN4vllm18Fp8KVCacheDataTypeE1ES0_Li32ELi64ELi256ELb0ELi15EL8MFMAType1EEvPKT_PKT0_S9_ifPKiSB_SB_iPKfiiiPfSE_PS4_PT2_iSD_SD_
; %bb.0:
	s_load_b64 s[2:3], s[0:1], 0x30
	s_mov_b32 s34, s13
	s_waitcnt lgkmcnt(0)
	s_cmp_lg_u64 s[2:3], 0
	s_cselect_b32 s8, -1, 0
	s_ashr_i32 s35, s13, 31
	s_cmp_eq_u64 s[2:3], 0
	s_cbranch_scc1 .LBB1500_3
; %bb.1:
	s_lshl_b64 s[4:5], s[34:35], 2
	s_delay_alu instid0(SALU_CYCLE_1) | instskip(SKIP_4) | instid1(SALU_CYCLE_1)
	s_add_u32 s4, s2, s4
	s_addc_u32 s5, s3, s5
	s_load_b64 s[4:5], s[4:5], 0x0
	s_waitcnt lgkmcnt(0)
	s_sub_i32 s4, s5, s4
	s_cmp_eq_u32 s4, 1
	s_cselect_b32 s4, -1, 0
	s_delay_alu instid0(SALU_CYCLE_1)
	s_and_not1_b32 vcc_lo, exec_lo, s4
	s_cbranch_vccz .LBB1500_4
.LBB1500_2:
	s_nop 0
	s_sendmsg sendmsg(MSG_DEALLOC_VGPRS)
	s_endpgm
.LBB1500_3:
.LBB1500_4:
	s_load_b64 s[4:5], s[0:1], 0x28
	s_lshl_b64 s[6:7], s[34:35], 2
	s_waitcnt lgkmcnt(0)
	s_add_u32 s4, s4, s6
	s_addc_u32 s5, s5, s7
	s_lshl_b32 s12, s14, 8
	s_load_b32 s24, s[4:5], 0x0
	s_waitcnt lgkmcnt(0)
	s_cmp_ge_i32 s12, s24
	s_cbranch_scc1 .LBB1500_2
; %bb.5:
	s_clause 0x1
	s_load_b128 s[20:23], s[0:1], 0x8
	s_load_b64 s[4:5], s[0:1], 0x20
	s_and_not1_b32 vcc_lo, exec_lo, s8
	s_cbranch_vccnz .LBB1500_7
; %bb.6:
	s_add_u32 s2, s2, s6
	s_addc_u32 s3, s3, s7
	s_load_b32 s3, s[2:3], 0x0
	s_branch .LBB1500_8
.LBB1500_7:
	s_mov_b32 s3, s34
.LBB1500_8:
	s_load_b128 s[16:19], s[0:1], 0x48
	v_lshrrev_b32_e32 v66, 5, v0
	v_bfe_u32 v74, v0, 4, 1
	v_and_b32_e32 v65, 15, v0
	v_and_b32_e32 v67, 31, v0
	;; [unrolled: 1-line block ×3, first 2 shown]
	s_mul_i32 s31, s15, 15
	v_lshl_or_b32 v1, v66, 1, v74
	v_lshlrev_b32_e32 v2, 3, v65
	v_cmp_gt_u32_e64 s2, 8, v65
	s_delay_alu instid0(VALU_DEP_3) | instskip(NEXT) | instid1(VALU_DEP_3)
	v_cmp_gt_u32_e32 vcc_lo, 15, v1
	v_lshlrev_b32_e32 v73, 1, v2
	s_delay_alu instid0(VALU_DEP_3) | instskip(NEXT) | instid1(SALU_CYCLE_1)
	s_and_b32 s7, s2, vcc_lo
	s_and_saveexec_b32 s6, s7
	s_cbranch_execz .LBB1500_10
; %bb.9:
	s_load_b64 s[8:9], s[0:1], 0x0
	v_add_lshl_u32 v2, v1, s31, 6
	s_waitcnt lgkmcnt(0)
	s_mul_hi_i32 s11, s3, s16
	s_mul_i32 s10, s3, s16
	v_lshlrev_b32_e32 v6, 10, v65
	s_lshl_b64 s[10:11], s[10:11], 1
	v_ashrrev_i32_e32 v3, 31, v2
	v_lshlrev_b32_e32 v1, 6, v1
	v_lshlrev_b32_e32 v7, 10, v75
	v_and_b32_e32 v6, 0x3800, v6
	s_delay_alu instid0(VALU_DEP_4) | instskip(NEXT) | instid1(VALU_DEP_2)
	v_lshlrev_b64 v[2:3], 1, v[2:3]
	v_or3_b32 v1, v6, v7, v1
	s_add_u32 s3, s8, s10
	s_addc_u32 s7, s9, s11
	s_delay_alu instid0(VALU_DEP_2) | instskip(NEXT) | instid1(VALU_DEP_3)
	v_add_co_u32 v2, vcc_lo, s3, v2
	v_add_co_ci_u32_e32 v3, vcc_lo, s7, v3, vcc_lo
	s_delay_alu instid0(VALU_DEP_2) | instskip(NEXT) | instid1(VALU_DEP_2)
	v_add_co_u32 v2, vcc_lo, v2, v73
	v_add_co_ci_u32_e32 v3, vcc_lo, 0, v3, vcc_lo
	global_load_b128 v[2:5], v[2:3], off
	s_waitcnt vmcnt(0)
	ds_store_b128 v1, v[2:5]
.LBB1500_10:
	s_or_b32 exec_lo, exec_lo, s6
	v_and_b32_e32 v1, 0xef, v0
	s_waitcnt lgkmcnt(0)
	s_add_i32 s3, s24, 31
	s_clause 0x1
	s_load_b32 s6, s[0:1], 0x38
	s_load_b32 s19, s[0:1], 0x1c
	s_ashr_i32 s7, s3, 31
	v_add_nc_u32_e32 v1, s12, v1
	s_lshr_b32 s7, s7, 27
	s_waitcnt lgkmcnt(0)
	s_add_i32 s3, s3, s7
	s_barrier
	v_ashrrev_i32_e32 v2, 31, v1
	v_or_b32_e32 v3, 16, v1
	s_ashr_i32 s3, s3, 5
	v_cmp_gt_i32_e32 vcc_lo, s24, v1
	s_add_i32 s3, s3, -1
	v_lshrrev_b32_e32 v2, 27, v2
	buffer_gl0_inv
	s_mul_i32 s27, s15, s18
	v_add_nc_u32_e32 v4, v1, v2
	s_mul_i32 s6, s34, s6
	s_delay_alu instid0(SALU_CYCLE_1) | instskip(NEXT) | instid1(VALU_DEP_1)
	s_ashr_i32 s7, s6, 31
	v_ashrrev_i32_e32 v4, 5, v4
	v_add_nc_u32_e32 v2, v3, v2
	s_lshl_b64 s[6:7], s[6:7], 2
	s_delay_alu instid0(SALU_CYCLE_1) | instskip(NEXT) | instid1(VALU_DEP_2)
	s_add_u32 s26, s4, s6
	v_cndmask_b32_e32 v1, s3, v4, vcc_lo
	s_delay_alu instid0(VALU_DEP_2)
	v_ashrrev_i32_e32 v2, 5, v2
	v_cmp_gt_i32_e32 vcc_lo, s24, v3
	s_addc_u32 s25, s5, s7
	s_ashr_i32 s28, s27, 31
	s_add_u32 s4, s20, s27
	s_addc_u32 s5, s21, s28
	v_cndmask_b32_e32 v3, s3, v2, vcc_lo
	v_ashrrev_i32_e32 v2, 31, v1
	s_lshl_b32 s6, s14, 3
	s_delay_alu instid0(SALU_CYCLE_1) | instskip(NEXT) | instid1(VALU_DEP_2)
	s_ashr_i32 s7, s6, 31
	v_ashrrev_i32_e32 v4, 31, v3
	s_delay_alu instid0(VALU_DEP_2) | instskip(SKIP_1) | instid1(SALU_CYCLE_1)
	v_lshlrev_b64 v[1:2], 2, v[1:2]
	s_lshl_b64 s[6:7], s[6:7], 2
	s_add_u32 s6, s26, s6
	s_delay_alu instid0(VALU_DEP_2) | instskip(SKIP_1) | instid1(VALU_DEP_2)
	v_lshlrev_b64 v[3:4], 2, v[3:4]
	s_addc_u32 s7, s25, s7
	v_add_co_u32 v1, vcc_lo, s26, v1
	v_add_co_ci_u32_e32 v2, vcc_lo, s25, v2, vcc_lo
	s_delay_alu instid0(VALU_DEP_3) | instskip(NEXT) | instid1(VALU_DEP_4)
	v_add_co_u32 v3, vcc_lo, s26, v3
	v_add_co_ci_u32_e32 v4, vcc_lo, s25, v4, vcc_lo
	s_clause 0x1
	global_load_b32 v5, v[1:2], off
	global_load_b32 v6, v[3:4], off
	s_or_b32 s8, s12, 32
	s_delay_alu instid0(SALU_CYCLE_1) | instskip(SKIP_2) | instid1(SALU_CYCLE_1)
	s_ashr_i32 s9, s8, 5
	s_cmp_lt_i32 s8, s24
	s_cselect_b32 s8, s9, s3
	s_ashr_i32 s9, s8, 31
	s_delay_alu instid0(SALU_CYCLE_1) | instskip(NEXT) | instid1(SALU_CYCLE_1)
	s_lshl_b64 s[8:9], s[8:9], 2
	s_add_u32 s8, s26, s8
	s_addc_u32 s9, s25, s9
	s_or_b32 s10, s12, 64
	s_delay_alu instid0(SALU_CYCLE_1) | instskip(SKIP_2) | instid1(SALU_CYCLE_1)
	s_ashr_i32 s11, s10, 5
	s_cmp_lt_i32 s10, s24
	s_cselect_b32 s10, s11, s3
	s_ashr_i32 s11, s10, 31
	s_delay_alu instid0(SALU_CYCLE_1) | instskip(NEXT) | instid1(SALU_CYCLE_1)
	s_lshl_b64 s[10:11], s[10:11], 2
	s_add_u32 s10, s26, s10
	s_addc_u32 s11, s25, s11
	;; [unrolled: 10-line block ×5, first 2 shown]
	s_clause 0x5
	s_load_b32 s21, s[6:7], 0x0
	s_load_b32 s13, s[8:9], 0x0
	;; [unrolled: 1-line block ×6, first 2 shown]
	s_or_b32 s7, s12, 0xc0
	s_delay_alu instid0(SALU_CYCLE_1) | instskip(SKIP_2) | instid1(SALU_CYCLE_1)
	s_ashr_i32 s8, s7, 5
	s_cmp_lt_i32 s7, s24
	s_cselect_b32 s10, s8, s3
	s_ashr_i32 s11, s10, 31
	s_delay_alu instid0(SALU_CYCLE_1) | instskip(NEXT) | instid1(SALU_CYCLE_1)
	s_lshl_b64 s[36:37], s[10:11], 2
	s_add_u32 s36, s26, s36
	s_addc_u32 s37, s25, s37
	s_or_b32 s29, s12, 0xe0
	s_delay_alu instid0(SALU_CYCLE_1)
	s_ashr_i32 s30, s29, 5
	s_cmp_lt_i32 s29, s24
	s_waitcnt vmcnt(1)
	v_mad_i64_i32 v[1:2], null, v5, s17, s[4:5]
	s_waitcnt vmcnt(0)
	v_mad_i64_i32 v[3:4], null, v6, s17, s[4:5]
	s_mov_b32 s4, 0
	s_delay_alu instid0(SALU_CYCLE_1)
	s_mov_b32 s5, s4
	s_mov_b32 s6, s4
	;; [unrolled: 1-line block ×7, first 2 shown]
	v_lshlrev_b32_e32 v5, 4, v65
	v_dual_mov_b32 v107, s11 :: v_dual_mov_b32 v100, s4
	v_mov_b32_e32 v102, s6
	v_mov_b32_e32 v106, s10
	s_delay_alu instid0(VALU_DEP_4)
	v_add_co_u32 v1, vcc_lo, v1, v5
	v_add_co_ci_u32_e32 v2, vcc_lo, 0, v2, vcc_lo
	v_add_co_u32 v3, vcc_lo, v3, v5
	v_add_co_ci_u32_e32 v4, vcc_lo, 0, v4, vcc_lo
	s_clause 0x7
	global_load_b128 v[49:52], v[1:2], off
	global_load_b128 v[53:56], v[1:2], off offset:512
	global_load_b128 v[76:79], v[3:4], off offset:256
	;; [unrolled: 1-line block ×7, first 2 shown]
	v_cmp_ne_u32_e32 vcc_lo, 15, v65
	v_dual_mov_b32 v104, s8 :: v_dual_mov_b32 v103, s7
	v_dual_mov_b32 v101, s5 :: v_dual_lshlrev_b32 v2, 5, v65
	v_cndmask_b32_e32 v1, 0, v65, vcc_lo
	v_mov_b32_e32 v105, s9
	s_cselect_b32 s4, s30, s3
	s_load_b32 s3, s[36:37], 0x0
	s_ashr_i32 s5, s4, 31
	v_lshlrev_b32_e32 v70, 6, v1
	s_lshl_b64 s[4:5], s[4:5], 2
	v_lshl_or_b32 v1, v66, 9, v2
	s_add_u32 s4, s26, s4
	s_addc_u32 s5, s25, s5
	ds_load_b128 v[108:111], v70
	ds_load_b128 v[112:115], v70 offset:1024
	s_load_b32 s4, s[4:5], 0x0
	s_add_u32 s6, s22, s27
	s_addc_u32 s7, s23, s28
	v_add_co_u32 v9, s6, s6, v1
	s_delay_alu instid0(VALU_DEP_1) | instskip(SKIP_1) | instid1(VALU_DEP_1)
	v_add_co_ci_u32_e64 v10, null, s7, 0, s6
	s_waitcnt lgkmcnt(0)
	v_mad_i64_i32 v[1:2], null, s21, s17, v[9:10]
	v_mad_i64_i32 v[3:4], null, s13, s17, v[9:10]
	;; [unrolled: 1-line block ×7, first 2 shown]
	s_clause 0x9
	global_load_b128 v[57:60], v[1:2], off
	global_load_b128 v[61:64], v[1:2], off offset:16
	global_load_b128 v[41:44], v[3:4], off
	global_load_b128 v[45:48], v[3:4], off offset:16
	;; [unrolled: 2-line block ×5, first 2 shown]
	v_mad_i64_i32 v[68:69], null, s4, s17, v[9:10]
	s_clause 0x3
	global_load_b128 v[9:12], v[13:14], off
	global_load_b128 v[13:16], v[13:14], off offset:16
	global_load_b128 v[17:20], v[21:22], off
	global_load_b128 v[21:24], v[21:22], off offset:16
	s_waitcnt vmcnt(20)
	v_wmma_f32_16x16x16_bf16 v[116:123], v[49:56], v[108:115], v[100:107]
	s_clause 0x1
	global_load_b128 v[49:52], v[68:69], off
	global_load_b128 v[53:56], v[68:69], off offset:16
	v_and_b32_e32 v68, 0xe0, v0
	v_mbcnt_lo_u32_b32 v69, -1, 0
	s_delay_alu instid0(VALU_DEP_2)
	v_add_nc_u32_e32 v68, s12, v68
	s_waitcnt vmcnt(20)
	v_wmma_f32_16x16x16_bf16 v[100:107], v[76:83], v[108:115], v[100:107]
	ds_load_b128 v[76:79], v70 offset:2048
	ds_load_b128 v[80:83], v70 offset:3072
	v_xor_b32_e32 v70, 16, v69
	s_waitcnt vmcnt(0) lgkmcnt(0)
	v_or_b32_e32 v68, v68, v74
	s_barrier
	buffer_gl0_inv
	v_cmp_gt_i32_e32 vcc_lo, 32, v70
	v_or_b32_e32 v71, 4, v68
	v_or_b32_e32 v72, 6, v68
	v_cmp_gt_i32_e64 s3, s24, v68
	v_or_b32_e32 v108, 8, v68
	v_or_b32_e32 v109, 10, v68
	v_cmp_gt_i32_e64 s4, s24, v71
	v_cmp_gt_i32_e64 s5, s24, v72
	s_delay_alu instid0(VALU_DEP_4) | instskip(NEXT) | instid1(VALU_DEP_4)
	v_cmp_gt_i32_e64 s6, s24, v108
	v_cmp_gt_i32_e64 s7, s24, v109
	v_wmma_f32_16x16x16_bf16 v[116:123], v[84:91], v[76:83], v[116:123]
	v_cndmask_b32_e32 v69, v69, v70, vcc_lo
	v_or_b32_e32 v70, 2, v68
	v_wmma_f32_16x16x16_bf16 v[100:107], v[92:99], v[76:83], v[100:107]
	v_or_b32_e32 v84, 12, v68
	v_dual_mul_f32 v78, s19, v123 :: v_dual_mul_f32 v83, s19, v118
	v_dual_mul_f32 v92, s19, v117 :: v_dual_mul_f32 v93, s19, v116
	s_delay_alu instid0(VALU_DEP_4) | instskip(SKIP_2) | instid1(VALU_DEP_4)
	v_mul_f32_e32 v94, s19, v107
	v_cmp_gt_i32_e32 vcc_lo, s24, v70
	v_dual_mul_f32 v81, s19, v120 :: v_dual_mul_f32 v82, s19, v119
	v_cndmask_b32_e64 v93, 0xff7fffff, v93, s3
	v_or_b32_e32 v85, 14, v68
	v_cndmask_b32_e32 v92, 0xff7fffff, v92, vcc_lo
	v_dual_mul_f32 v79, s19, v122 :: v_dual_mul_f32 v80, s19, v121
	v_cndmask_b32_e64 v71, 0xff7fffff, v83, s4
	v_cndmask_b32_e64 v72, 0xff7fffff, v82, s5
	s_delay_alu instid0(VALU_DEP_4)
	v_max3_f32 v82, v93, 0xff7fffff, v92
	v_or_b32_e32 v86, 16, v68
	v_or_b32_e32 v87, 18, v68
	v_cndmask_b32_e64 v81, 0xff7fffff, v81, s6
	v_cndmask_b32_e64 v80, 0xff7fffff, v80, s7
	v_max3_f32 v71, v82, v71, v72
	v_cmp_gt_i32_e64 s8, s24, v84
	v_cmp_gt_i32_e64 s9, s24, v85
	v_or_b32_e32 v88, 20, v68
	v_or_b32_e32 v89, 22, v68
	;; [unrolled: 1-line block ×6, first 2 shown]
	v_dual_mul_f32 v99, s19, v102 :: v_dual_mul_f32 v70, s19, v101
	v_mul_f32_e32 v68, s19, v100
	v_cndmask_b32_e64 v72, 0xff7fffff, v79, s8
	v_cndmask_b32_e64 v78, 0xff7fffff, v78, s9
	v_max3_f32 v71, v71, v81, v80
	v_cmp_gt_i32_e64 s10, s24, v86
	v_cmp_gt_i32_e64 s11, s24, v87
	v_dual_mul_f32 v97, s19, v104 :: v_dual_mul_f32 v98, s19, v103
	s_delay_alu instid0(VALU_DEP_4) | instskip(SKIP_1) | instid1(VALU_DEP_4)
	v_max3_f32 v71, v71, v72, v78
	v_cmp_gt_i32_e64 s12, s24, v88
	v_cndmask_b32_e64 v70, 0xff7fffff, v70, s11
	v_cmp_gt_i32_e64 s13, s24, v89
	v_lshlrev_b32_e32 v89, 2, v69
	v_cndmask_b32_e64 v68, 0xff7fffff, v68, s10
	v_dual_mul_f32 v95, s19, v106 :: v_dual_mul_f32 v96, s19, v105
	v_cndmask_b32_e64 v72, 0xff7fffff, v99, s12
	v_cndmask_b32_e64 v78, 0xff7fffff, v98, s13
	s_delay_alu instid0(VALU_DEP_4)
	v_max3_f32 v68, v71, v68, v70
	v_cmp_gt_i32_e64 s15, s24, v90
	v_cmp_gt_i32_e64 s16, s24, v91
	;; [unrolled: 1-line block ×4, first 2 shown]
	v_max3_f32 v68, v68, v72, v78
	v_cndmask_b32_e64 v70, 0xff7fffff, v97, s15
	v_cndmask_b32_e64 v71, 0xff7fffff, v96, s16
	;; [unrolled: 1-line block ×4, first 2 shown]
	s_delay_alu instid0(VALU_DEP_3) | instskip(NEXT) | instid1(VALU_DEP_1)
	v_max3_f32 v68, v68, v70, v71
	v_max3_f32 v68, v68, v72, v76
	ds_bpermute_b32 v69, v89, v68
	s_waitcnt lgkmcnt(0)
	v_max_f32_e32 v69, v69, v69
	s_delay_alu instid0(VALU_DEP_1) | instskip(NEXT) | instid1(VALU_DEP_1)
	v_max_f32_e32 v68, v68, v69
	v_fma_f32 v71, s19, v118, -v68
	s_delay_alu instid0(VALU_DEP_1)
	v_mul_f32_e32 v71, 0x3fb8aa3b, v71
	v_fma_f32 v69, s19, v116, -v68
	v_fma_f32 v70, s19, v117, -v68
	;; [unrolled: 1-line block ×4, first 2 shown]
	v_exp_f32_e32 v71, v71
	s_delay_alu instid0(VALU_DEP_3) | instskip(SKIP_2) | instid1(VALU_DEP_3)
	v_dual_mul_f32 v69, 0x3fb8aa3b, v69 :: v_dual_mul_f32 v70, 0x3fb8aa3b, v70
	v_fma_f32 v78, s19, v122, -v68
	v_fma_f32 v81, s19, v105, -v68
	v_exp_f32_e32 v69, v69
	s_delay_alu instid0(VALU_DEP_3) | instskip(SKIP_1) | instid1(VALU_DEP_2)
	v_exp_f32_e32 v70, v70
	v_mul_f32_e32 v77, 0x3fb8aa3b, v76
	v_mul_f32_e32 v81, 0x3fb8aa3b, v81
	s_delay_alu instid0(TRANS32_DEP_3) | instskip(SKIP_1) | instid1(VALU_DEP_3)
	v_cndmask_b32_e64 v83, 0, v71, s4
	v_fma_f32 v71, s19, v123, -v68
	v_exp_f32_e32 v81, v81
	s_delay_alu instid0(TRANS32_DEP_3) | instskip(NEXT) | instid1(TRANS32_DEP_2)
	v_cndmask_b32_e64 v80, 0, v69, s3
	v_cndmask_b32_e32 v76, 0, v70, vcc_lo
	v_fma_f32 v69, s19, v121, -v68
	v_mul_f32_e32 v72, 0x3fb8aa3b, v72
	v_exp_f32_e32 v77, v77
	v_dual_add_f32 v70, 0, v80 :: v_dual_mul_f32 v71, 0x3fb8aa3b, v71
	s_delay_alu instid0(VALU_DEP_3) | instskip(NEXT) | instid1(VALU_DEP_3)
	v_mul_f32_e32 v69, 0x3fb8aa3b, v69
	v_exp_f32_e32 v72, v72
	v_cmp_gt_u32_e64 s3, 16, v67
	s_delay_alu instid0(VALU_DEP_3) | instskip(NEXT) | instid1(VALU_DEP_2)
	v_exp_f32_e32 v71, v71
	v_exp_f32_e32 v69, v69
	v_cndmask_b32_e64 v86, 0, v77, s6
	v_fma_f32 v77, s19, v101, -v68
	v_add_f32_e32 v70, v70, v76
	s_delay_alu instid0(TRANS32_DEP_3) | instskip(SKIP_1) | instid1(VALU_DEP_3)
	v_cndmask_b32_e64 v85, 0, v72, s5
	v_fma_f32 v72, s19, v100, -v68
	v_dual_mul_f32 v77, 0x3fb8aa3b, v77 :: v_dual_add_f32 v70, v70, v83
	s_delay_alu instid0(TRANS32_DEP_2) | instskip(SKIP_1) | instid1(TRANS32_DEP_1)
	v_cndmask_b32_e64 v88, 0, v71, s9
	v_fma_f32 v71, s19, v104, -v68
	v_cndmask_b32_e64 v87, 0, v69, s7
	s_delay_alu instid0(VALU_DEP_4) | instskip(NEXT) | instid1(VALU_DEP_2)
	v_exp_f32_e32 v77, v77
	v_dual_add_f32 v70, v70, v85 :: v_dual_mul_f32 v71, 0x3fb8aa3b, v71
	s_delay_alu instid0(VALU_DEP_1) | instskip(SKIP_2) | instid1(VALU_DEP_3)
	v_dual_mul_f32 v72, 0x3fb8aa3b, v72 :: v_dual_add_f32 v69, v70, v86
	v_mul_f32_e32 v78, 0x3fb8aa3b, v78
	v_fma_f32 v70, s19, v102, -v68
	v_exp_f32_e32 v72, v72
	v_exp_f32_e32 v82, v71
	v_add_f32_e32 v69, v69, v87
	v_exp_f32_e32 v78, v78
	v_mul_f32_e32 v70, 0x3fb8aa3b, v70
	s_delay_alu instid0(VALU_DEP_1) | instskip(SKIP_4) | instid1(VALU_DEP_2)
	v_exp_f32_e32 v79, v70
	v_cndmask_b32_e64 v70, 0, v72, s10
	s_waitcnt_depctr 0xfff
	v_cndmask_b32_e64 v84, 0, v78, s8
	v_fma_f32 v78, s19, v103, -v68
	v_add_f32_e32 v69, v69, v84
	v_cndmask_b32_e64 v71, 0, v79, s12
	s_delay_alu instid0(VALU_DEP_2) | instskip(SKIP_2) | instid1(VALU_DEP_1)
	v_add_f32_e32 v72, v69, v88
	v_cndmask_b32_e64 v69, 0, v77, s11
	v_fma_f32 v77, s19, v106, -v68
	v_dual_mul_f32 v77, 0x3fb8aa3b, v77 :: v_dual_add_f32 v72, v72, v70
	v_mul_f32_e32 v78, 0x3fb8aa3b, v78
	s_delay_alu instid0(VALU_DEP_2) | instskip(NEXT) | instid1(VALU_DEP_2)
	v_exp_f32_e32 v90, v77
	v_add_f32_e32 v79, v72, v69
	s_delay_alu instid0(VALU_DEP_2)
	v_exp_f32_e32 v78, v78
	v_cndmask_b32_e64 v77, 0, v82, s15
	s_waitcnt_depctr 0xfff
	v_cndmask_b32_e64 v72, 0, v78, s13
	v_add_f32_e32 v78, v79, v71
	v_fma_f32 v79, s19, v107, -v68
	s_delay_alu instid0(VALU_DEP_1) | instskip(SKIP_1) | instid1(VALU_DEP_2)
	v_dual_add_f32 v82, v78, v72 :: v_dual_mul_f32 v79, 0x3fb8aa3b, v79
	v_cndmask_b32_e64 v78, 0, v81, s16
	v_add_f32_e32 v81, v82, v77
	s_delay_alu instid0(VALU_DEP_3) | instskip(SKIP_1) | instid1(VALU_DEP_2)
	v_exp_f32_e32 v82, v79
	v_cndmask_b32_e64 v79, 0, v90, s17
	v_add_f32_e32 v81, v81, v78
	s_delay_alu instid0(VALU_DEP_1) | instskip(SKIP_2) | instid1(VALU_DEP_1)
	v_add_f32_e32 v90, v81, v79
	s_waitcnt_depctr 0xfff
	v_cndmask_b32_e64 v81, 0, v82, s18
	v_add_f32_e32 v82, v90, v81
	ds_bpermute_b32 v89, v89, v82
	s_and_saveexec_b32 s4, s3
	s_cbranch_execz .LBB1500_12
; %bb.11:
	v_mul_u32_u24_e32 v67, 0x44, v66
	s_delay_alu instid0(VALU_DEP_1) | instskip(SKIP_1) | instid1(VALU_DEP_1)
	v_lshl_add_u32 v67, v65, 2, v67
	s_waitcnt lgkmcnt(0)
	v_dual_add_f32 v82, v82, v89 :: v_dual_add_nc_u32 v67, 0x4000, v67
	ds_store_2addr_b32 v67, v68, v82 offset1:136
.LBB1500_12:
	s_or_b32 exec_lo, exec_lo, s4
	v_lshlrev_b32_e32 v67, 2, v65
	s_waitcnt lgkmcnt(0)
	s_barrier
	buffer_gl0_inv
	v_cmp_eq_u32_e32 vcc_lo, 1, v66
	v_add_nc_u32_e32 v82, 0x4000, v67
	v_cmp_eq_u32_e64 s4, 2, v66
	v_cmp_eq_u32_e64 s6, 7, v66
	ds_load_2addr_b32 v[89:90], v82 offset1:17
	ds_load_2addr_b32 v[91:92], v82 offset0:34 offset1:51
	ds_load_2addr_b32 v[93:94], v82 offset0:68 offset1:85
	;; [unrolled: 1-line block ×4, first 2 shown]
	s_waitcnt lgkmcnt(4)
	v_max3_f32 v67, v89, 0xff7fffff, v90
	s_waitcnt lgkmcnt(3)
	s_delay_alu instid0(VALU_DEP_1) | instskip(SKIP_1) | instid1(VALU_DEP_1)
	v_max3_f32 v67, v67, v91, v92
	s_waitcnt lgkmcnt(2)
	v_max3_f32 v67, v67, v93, v94
	s_waitcnt lgkmcnt(1)
	s_delay_alu instid0(VALU_DEP_1) | instskip(NEXT) | instid1(VALU_DEP_1)
	v_max3_f32 v67, v67, v95, v96
	v_sub_f32_e32 v93, v93, v67
	s_delay_alu instid0(VALU_DEP_1) | instskip(NEXT) | instid1(VALU_DEP_1)
	v_dual_sub_f32 v68, v89, v67 :: v_dual_mul_f32 v103, 0x3fb8aa3b, v93
	v_mul_f32_e32 v68, 0x3fb8aa3b, v68
	s_delay_alu instid0(VALU_DEP_1)
	v_exp_f32_e32 v100, v68
	v_sub_f32_e32 v68, v92, v67
	v_sub_f32_e32 v99, v90, v67
	ds_load_2addr_b32 v[89:90], v82 offset0:170 offset1:187
	v_dual_mul_f32 v102, 0x3fb8aa3b, v68 :: v_dual_mul_f32 v99, 0x3fb8aa3b, v99
	s_waitcnt lgkmcnt(1)
	v_fma_f32 v68, v100, v97, 0
	s_delay_alu instid0(VALU_DEP_2) | instskip(NEXT) | instid1(VALU_DEP_2)
	v_exp_f32_e32 v102, v102
	v_exp_f32_e32 v99, v99
	s_waitcnt_depctr 0xfff
	v_fmac_f32_e32 v68, v99, v98
	v_sub_f32_e32 v91, v91, v67
	s_delay_alu instid0(VALU_DEP_1)
	v_mul_f32_e32 v101, 0x3fb8aa3b, v91
	ds_load_2addr_b32 v[91:92], v82 offset0:204 offset1:221
	v_sub_f32_e32 v97, v94, v67
	ds_load_2addr_b32 v[93:94], v82 offset0:238 offset1:255
	s_waitcnt lgkmcnt(0)
	v_exp_f32_e32 v101, v101
	s_barrier
	buffer_gl0_inv
	v_dual_fmac_f32 v68, v101, v89 :: v_dual_sub_f32 v89, v96, v67
	v_dual_sub_f32 v82, v95, v67 :: v_dual_mul_f32 v95, 0x3fb8aa3b, v97
	v_exp_f32_e32 v97, v103
	s_delay_alu instid0(VALU_DEP_2) | instskip(NEXT) | instid1(VALU_DEP_2)
	v_dual_fmac_f32 v68, v102, v90 :: v_dual_mul_f32 v89, 0x3fb8aa3b, v89
	v_mul_f32_e32 v82, 0x3fb8aa3b, v82
	s_delay_alu instid0(VALU_DEP_3) | instskip(NEXT) | instid1(VALU_DEP_2)
	v_exp_f32_e32 v95, v95
	v_exp_f32_e32 v89, v89
	s_delay_alu instid0(VALU_DEP_1)
	v_exp_f32_e32 v82, v82
	v_fmac_f32_e32 v68, v97, v91
	s_delay_alu instid0(TRANS32_DEP_3) | instid1(VALU_DEP_1)
	v_fmac_f32_e32 v68, v95, v92
	s_waitcnt_depctr 0xfff
	v_fmac_f32_e32 v68, v82, v93
	s_delay_alu instid0(VALU_DEP_1) | instskip(NEXT) | instid1(VALU_DEP_1)
	v_fmac_f32_e32 v68, v89, v94
	v_add_f32_e32 v90, 0x358637bd, v68
	s_delay_alu instid0(VALU_DEP_1) | instskip(NEXT) | instid1(VALU_DEP_1)
	v_div_scale_f32 v91, null, v90, v90, 1.0
	v_rcp_f32_e32 v92, v91
	s_waitcnt_depctr 0xfff
	v_fma_f32 v93, -v91, v92, 1.0
	s_delay_alu instid0(VALU_DEP_1) | instskip(SKIP_1) | instid1(VALU_DEP_2)
	v_dual_fmac_f32 v92, v93, v92 :: v_dual_cndmask_b32 v93, v100, v99
	v_cmp_eq_u32_e32 vcc_lo, 3, v66
	v_cndmask_b32_e64 v93, v93, v101, s4
	v_cmp_eq_u32_e64 s4, 4, v66
	s_delay_alu instid0(VALU_DEP_2) | instskip(SKIP_1) | instid1(VALU_DEP_2)
	v_cndmask_b32_e32 v93, v93, v102, vcc_lo
	v_cmp_eq_u32_e32 vcc_lo, 5, v66
	v_cndmask_b32_e64 v93, v93, v97, s4
	v_cmp_eq_u32_e64 s4, 6, v66
	s_delay_alu instid0(VALU_DEP_2) | instskip(SKIP_1) | instid1(VALU_DEP_1)
	v_cndmask_b32_e32 v93, v93, v95, vcc_lo
	v_div_scale_f32 v94, s5, 1.0, v90, 1.0
	s_mov_b32 vcc_lo, s5
	s_delay_alu instid0(VALU_DEP_2) | instskip(NEXT) | instid1(VALU_DEP_2)
	v_cndmask_b32_e64 v82, v93, v82, s4
	v_mul_f32_e32 v96, v94, v92
	s_mov_b32 s4, exec_lo
	s_delay_alu instid0(VALU_DEP_2) | instskip(NEXT) | instid1(VALU_DEP_2)
	v_cndmask_b32_e64 v82, v82, v89, s6
	v_fma_f32 v98, -v91, v96, v94
	s_delay_alu instid0(VALU_DEP_1) | instskip(NEXT) | instid1(VALU_DEP_1)
	v_fmac_f32_e32 v96, v98, v92
	v_fma_f32 v91, -v91, v96, v94
	s_delay_alu instid0(VALU_DEP_1) | instskip(NEXT) | instid1(VALU_DEP_1)
	v_div_fmas_f32 v91, v91, v92, v96
	v_div_fixup_f32 v90, v91, v90, 1.0
	s_delay_alu instid0(VALU_DEP_1) | instskip(NEXT) | instid1(VALU_DEP_1)
	v_mul_f32_e32 v82, v82, v90
	v_mul_f32_e32 v87, v82, v87
	;; [unrolled: 1-line block ×7, first 2 shown]
	v_dual_mul_f32 v86, v82, v83 :: v_dual_and_b32 v91, 0x7f800000, v90
	v_mul_f32_e32 v85, v82, v76
                                        ; implicit-def: $vgpr76
	s_delay_alu instid0(VALU_DEP_2)
	v_cmpx_ne_u32_e32 0x7f800000, v91
	s_xor_b32 s4, exec_lo, s4
; %bb.13:
	v_bfe_u32 v76, v90, 16, 1
	s_delay_alu instid0(VALU_DEP_1)
	v_add3_u32 v76, v90, v76, 0x7fff
                                        ; implicit-def: $vgpr90
; %bb.14:
	s_and_not1_saveexec_b32 s4, s4
; %bb.15:
	v_and_b32_e32 v76, 0xffff, v90
	v_or_b32_e32 v83, 0x10000, v90
	s_delay_alu instid0(VALU_DEP_2) | instskip(NEXT) | instid1(VALU_DEP_2)
	v_cmp_eq_u32_e32 vcc_lo, 0, v76
	v_cndmask_b32_e32 v76, v83, v90, vcc_lo
; %bb.16:
	s_or_b32 exec_lo, exec_lo, s4
	v_and_b32_e32 v83, 0x7f800000, v85
	s_delay_alu instid0(VALU_DEP_1) | instskip(SKIP_1) | instid1(SALU_CYCLE_1)
	v_cmp_ne_u32_e32 vcc_lo, 0x7f800000, v83
                                        ; implicit-def: $vgpr83
	s_and_saveexec_b32 s4, vcc_lo
	s_xor_b32 s4, exec_lo, s4
; %bb.17:
	v_bfe_u32 v83, v85, 16, 1
	s_delay_alu instid0(VALU_DEP_1)
	v_add3_u32 v83, v85, v83, 0x7fff
                                        ; implicit-def: $vgpr85
; %bb.18:
	s_and_not1_saveexec_b32 s4, s4
; %bb.19:
	v_and_b32_e32 v83, 0xffff, v85
	v_or_b32_e32 v90, 0x10000, v85
	s_delay_alu instid0(VALU_DEP_2) | instskip(NEXT) | instid1(VALU_DEP_2)
	v_cmp_eq_u32_e32 vcc_lo, 0, v83
	v_cndmask_b32_e32 v83, v90, v85, vcc_lo
; %bb.20:
	s_or_b32 exec_lo, exec_lo, s4
	v_and_b32_e32 v85, 0x7f800000, v86
	s_delay_alu instid0(VALU_DEP_1) | instskip(SKIP_1) | instid1(SALU_CYCLE_1)
	v_cmp_ne_u32_e32 vcc_lo, 0x7f800000, v85
                                        ; implicit-def: $vgpr85
	s_and_saveexec_b32 s4, vcc_lo
	s_xor_b32 s4, exec_lo, s4
; %bb.21:
	v_bfe_u32 v85, v86, 16, 1
	s_delay_alu instid0(VALU_DEP_1)
	v_add3_u32 v85, v86, v85, 0x7fff
                                        ; implicit-def: $vgpr86
; %bb.22:
	s_and_not1_saveexec_b32 s4, s4
; %bb.23:
	v_and_b32_e32 v85, 0xffff, v86
	v_or_b32_e32 v90, 0x10000, v86
	s_delay_alu instid0(VALU_DEP_2) | instskip(NEXT) | instid1(VALU_DEP_2)
	v_cmp_eq_u32_e32 vcc_lo, 0, v85
	v_cndmask_b32_e32 v85, v90, v86, vcc_lo
; %bb.24:
	s_or_b32 exec_lo, exec_lo, s4
	v_and_b32_e32 v86, 0x7f800000, v89
	s_delay_alu instid0(VALU_DEP_1) | instskip(SKIP_1) | instid1(SALU_CYCLE_1)
	v_cmp_ne_u32_e32 vcc_lo, 0x7f800000, v86
                                        ; implicit-def: $vgpr86
	s_and_saveexec_b32 s4, vcc_lo
	s_xor_b32 s4, exec_lo, s4
; %bb.25:
	v_bfe_u32 v86, v89, 16, 1
	s_delay_alu instid0(VALU_DEP_1)
	v_add3_u32 v86, v89, v86, 0x7fff
                                        ; implicit-def: $vgpr89
; %bb.26:
	s_and_not1_saveexec_b32 s4, s4
; %bb.27:
	v_and_b32_e32 v86, 0xffff, v89
	v_or_b32_e32 v90, 0x10000, v89
	s_delay_alu instid0(VALU_DEP_2) | instskip(NEXT) | instid1(VALU_DEP_2)
	v_cmp_eq_u32_e32 vcc_lo, 0, v86
	v_cndmask_b32_e32 v86, v90, v89, vcc_lo
; %bb.28:
	s_or_b32 exec_lo, exec_lo, s4
	v_and_b32_e32 v89, 0x7f800000, v88
	s_delay_alu instid0(VALU_DEP_1) | instskip(SKIP_1) | instid1(SALU_CYCLE_1)
	v_cmp_ne_u32_e32 vcc_lo, 0x7f800000, v89
                                        ; implicit-def: $vgpr89
	s_and_saveexec_b32 s4, vcc_lo
	s_xor_b32 s4, exec_lo, s4
; %bb.29:
	v_bfe_u32 v89, v88, 16, 1
	s_delay_alu instid0(VALU_DEP_1)
	v_add3_u32 v89, v88, v89, 0x7fff
                                        ; implicit-def: $vgpr88
; %bb.30:
	s_and_not1_saveexec_b32 s4, s4
; %bb.31:
	v_and_b32_e32 v89, 0xffff, v88
	v_or_b32_e32 v90, 0x10000, v88
	s_delay_alu instid0(VALU_DEP_2) | instskip(NEXT) | instid1(VALU_DEP_2)
	v_cmp_eq_u32_e32 vcc_lo, 0, v89
	v_cndmask_b32_e32 v89, v90, v88, vcc_lo
; %bb.32:
	s_or_b32 exec_lo, exec_lo, s4
	v_and_b32_e32 v88, 0x7f800000, v87
	s_delay_alu instid0(VALU_DEP_1) | instskip(SKIP_1) | instid1(SALU_CYCLE_1)
	v_cmp_ne_u32_e32 vcc_lo, 0x7f800000, v88
                                        ; implicit-def: $vgpr88
	s_and_saveexec_b32 s4, vcc_lo
	s_xor_b32 s4, exec_lo, s4
; %bb.33:
	v_bfe_u32 v88, v87, 16, 1
	s_delay_alu instid0(VALU_DEP_1)
	v_add3_u32 v88, v87, v88, 0x7fff
                                        ; implicit-def: $vgpr87
; %bb.34:
	s_and_not1_saveexec_b32 s4, s4
; %bb.35:
	v_and_b32_e32 v88, 0xffff, v87
	v_or_b32_e32 v90, 0x10000, v87
	s_delay_alu instid0(VALU_DEP_2) | instskip(NEXT) | instid1(VALU_DEP_2)
	v_cmp_eq_u32_e32 vcc_lo, 0, v88
	v_cndmask_b32_e32 v88, v90, v87, vcc_lo
; %bb.36:
	s_or_b32 exec_lo, exec_lo, s4
	v_and_b32_e32 v87, 0x7f800000, v84
	s_delay_alu instid0(VALU_DEP_1) | instskip(SKIP_1) | instid1(SALU_CYCLE_1)
	v_cmp_ne_u32_e32 vcc_lo, 0x7f800000, v87
                                        ; implicit-def: $vgpr87
	s_and_saveexec_b32 s4, vcc_lo
	s_xor_b32 s4, exec_lo, s4
; %bb.37:
	v_bfe_u32 v87, v84, 16, 1
	s_delay_alu instid0(VALU_DEP_1)
	v_add3_u32 v87, v84, v87, 0x7fff
                                        ; implicit-def: $vgpr84
; %bb.38:
	s_and_not1_saveexec_b32 s4, s4
; %bb.39:
	v_and_b32_e32 v87, 0xffff, v84
	v_or_b32_e32 v90, 0x10000, v84
	s_delay_alu instid0(VALU_DEP_2) | instskip(NEXT) | instid1(VALU_DEP_2)
	v_cmp_eq_u32_e32 vcc_lo, 0, v87
	v_cndmask_b32_e32 v87, v90, v84, vcc_lo
; %bb.40:
	s_or_b32 exec_lo, exec_lo, s4
	v_and_b32_e32 v84, 0x7f800000, v80
	s_delay_alu instid0(VALU_DEP_1) | instskip(SKIP_1) | instid1(SALU_CYCLE_1)
	v_cmp_ne_u32_e32 vcc_lo, 0x7f800000, v84
                                        ; implicit-def: $vgpr84
	s_and_saveexec_b32 s4, vcc_lo
	s_xor_b32 s4, exec_lo, s4
; %bb.41:
	v_bfe_u32 v84, v80, 16, 1
	s_delay_alu instid0(VALU_DEP_1)
	v_add3_u32 v84, v80, v84, 0x7fff
                                        ; implicit-def: $vgpr80
; %bb.42:
	s_and_not1_saveexec_b32 s4, s4
; %bb.43:
	v_and_b32_e32 v84, 0xffff, v80
	v_or_b32_e32 v90, 0x10000, v80
	s_delay_alu instid0(VALU_DEP_2) | instskip(NEXT) | instid1(VALU_DEP_2)
	v_cmp_eq_u32_e32 vcc_lo, 0, v84
	v_cndmask_b32_e32 v84, v90, v80, vcc_lo
; %bb.44:
	s_or_b32 exec_lo, exec_lo, s4
	s_load_b64 s[36:37], s[0:1], 0x94
	v_lshlrev_b32_e32 v91, 4, v74
	s_delay_alu instid0(VALU_DEP_2)
	v_perm_b32 v90, v84, v87, 0x7060302
	v_dual_mul_f32 v79, v82, v79 :: v_dual_lshlrev_b32 v80, 6, v65
	v_dual_mul_f32 v77, v82, v77 :: v_dual_lshlrev_b32 v92, 11, v66
	v_mul_f32_e32 v84, v82, v70
	v_perm_b32 v89, v88, v89, 0x7060302
	v_perm_b32 v88, v86, v85, 0x7060302
	;; [unrolled: 1-line block ×3, first 2 shown]
	v_mul_f32_e32 v70, v82, v81
	v_or3_b32 v76, v91, v92, v80
	v_dual_mul_f32 v78, v82, v78 :: v_dual_and_b32 v85, 0x7f800000, v84
	v_mul_f32_e32 v83, v82, v72
	v_mul_f32_e32 v81, v82, v71
	;; [unrolled: 1-line block ×3, first 2 shown]
	s_mov_b32 s4, exec_lo
	ds_store_b128 v76, v[87:90]
                                        ; implicit-def: $vgpr69
	v_cmpx_ne_u32_e32 0x7f800000, v85
	s_xor_b32 s4, exec_lo, s4
; %bb.45:
	v_bfe_u32 v69, v84, 16, 1
	s_delay_alu instid0(VALU_DEP_1)
	v_add3_u32 v69, v84, v69, 0x7fff
                                        ; implicit-def: $vgpr84
; %bb.46:
	s_and_not1_saveexec_b32 s4, s4
; %bb.47:
	v_and_b32_e32 v69, 0xffff, v84
	v_or_b32_e32 v71, 0x10000, v84
	s_delay_alu instid0(VALU_DEP_2) | instskip(NEXT) | instid1(VALU_DEP_2)
	v_cmp_eq_u32_e32 vcc_lo, 0, v69
	v_cndmask_b32_e32 v69, v71, v84, vcc_lo
; %bb.48:
	s_or_b32 exec_lo, exec_lo, s4
	v_and_b32_e32 v71, 0x7f800000, v72
	s_delay_alu instid0(VALU_DEP_1) | instskip(SKIP_1) | instid1(SALU_CYCLE_1)
	v_cmp_ne_u32_e32 vcc_lo, 0x7f800000, v71
                                        ; implicit-def: $vgpr71
	s_and_saveexec_b32 s4, vcc_lo
	s_xor_b32 s4, exec_lo, s4
; %bb.49:
	v_bfe_u32 v71, v72, 16, 1
	s_delay_alu instid0(VALU_DEP_1)
	v_add3_u32 v71, v72, v71, 0x7fff
                                        ; implicit-def: $vgpr72
; %bb.50:
	s_and_not1_saveexec_b32 s4, s4
; %bb.51:
	v_and_b32_e32 v71, 0xffff, v72
	v_or_b32_e32 v82, 0x10000, v72
	s_delay_alu instid0(VALU_DEP_2) | instskip(NEXT) | instid1(VALU_DEP_2)
	v_cmp_eq_u32_e32 vcc_lo, 0, v71
	v_cndmask_b32_e32 v71, v82, v72, vcc_lo
; %bb.52:
	s_or_b32 exec_lo, exec_lo, s4
	v_and_b32_e32 v72, 0x7f800000, v81
	s_delay_alu instid0(VALU_DEP_1) | instskip(SKIP_1) | instid1(SALU_CYCLE_1)
	v_cmp_ne_u32_e32 vcc_lo, 0x7f800000, v72
                                        ; implicit-def: $vgpr72
	s_and_saveexec_b32 s4, vcc_lo
	s_xor_b32 s4, exec_lo, s4
; %bb.53:
	v_bfe_u32 v72, v81, 16, 1
	s_delay_alu instid0(VALU_DEP_1)
	v_add3_u32 v72, v81, v72, 0x7fff
                                        ; implicit-def: $vgpr81
; %bb.54:
	s_and_not1_saveexec_b32 s4, s4
; %bb.55:
	v_and_b32_e32 v72, 0xffff, v81
	v_or_b32_e32 v82, 0x10000, v81
	s_delay_alu instid0(VALU_DEP_2) | instskip(NEXT) | instid1(VALU_DEP_2)
	v_cmp_eq_u32_e32 vcc_lo, 0, v72
	v_cndmask_b32_e32 v72, v82, v81, vcc_lo
; %bb.56:
	s_or_b32 exec_lo, exec_lo, s4
	v_and_b32_e32 v81, 0x7f800000, v83
	s_delay_alu instid0(VALU_DEP_1) | instskip(SKIP_1) | instid1(SALU_CYCLE_1)
	v_cmp_ne_u32_e32 vcc_lo, 0x7f800000, v81
                                        ; implicit-def: $vgpr81
	s_and_saveexec_b32 s4, vcc_lo
	s_xor_b32 s4, exec_lo, s4
; %bb.57:
	v_bfe_u32 v81, v83, 16, 1
	s_delay_alu instid0(VALU_DEP_1)
	v_add3_u32 v81, v83, v81, 0x7fff
                                        ; implicit-def: $vgpr83
; %bb.58:
	s_and_not1_saveexec_b32 s4, s4
; %bb.59:
	v_and_b32_e32 v81, 0xffff, v83
	v_or_b32_e32 v82, 0x10000, v83
	s_delay_alu instid0(VALU_DEP_2) | instskip(NEXT) | instid1(VALU_DEP_2)
	v_cmp_eq_u32_e32 vcc_lo, 0, v81
	v_cndmask_b32_e32 v81, v82, v83, vcc_lo
; %bb.60:
	s_or_b32 exec_lo, exec_lo, s4
	v_and_b32_e32 v82, 0x7f800000, v77
	s_delay_alu instid0(VALU_DEP_1) | instskip(SKIP_1) | instid1(SALU_CYCLE_1)
	v_cmp_ne_u32_e32 vcc_lo, 0x7f800000, v82
                                        ; implicit-def: $vgpr82
	s_and_saveexec_b32 s4, vcc_lo
	s_xor_b32 s4, exec_lo, s4
; %bb.61:
	v_bfe_u32 v82, v77, 16, 1
	s_delay_alu instid0(VALU_DEP_1)
	v_add3_u32 v82, v77, v82, 0x7fff
                                        ; implicit-def: $vgpr77
; %bb.62:
	s_and_not1_saveexec_b32 s4, s4
; %bb.63:
	v_and_b32_e32 v82, 0xffff, v77
	v_or_b32_e32 v83, 0x10000, v77
	s_delay_alu instid0(VALU_DEP_2) | instskip(NEXT) | instid1(VALU_DEP_2)
	v_cmp_eq_u32_e32 vcc_lo, 0, v82
	v_cndmask_b32_e32 v82, v83, v77, vcc_lo
; %bb.64:
	s_or_b32 exec_lo, exec_lo, s4
	v_and_b32_e32 v77, 0x7f800000, v78
	s_delay_alu instid0(VALU_DEP_1) | instskip(SKIP_1) | instid1(SALU_CYCLE_1)
	v_cmp_ne_u32_e32 vcc_lo, 0x7f800000, v77
                                        ; implicit-def: $vgpr77
	s_and_saveexec_b32 s4, vcc_lo
	s_xor_b32 s4, exec_lo, s4
; %bb.65:
	v_bfe_u32 v77, v78, 16, 1
	s_delay_alu instid0(VALU_DEP_1)
	v_add3_u32 v77, v78, v77, 0x7fff
                                        ; implicit-def: $vgpr78
; %bb.66:
	s_and_not1_saveexec_b32 s4, s4
; %bb.67:
	v_and_b32_e32 v77, 0xffff, v78
	v_or_b32_e32 v83, 0x10000, v78
	s_delay_alu instid0(VALU_DEP_2) | instskip(NEXT) | instid1(VALU_DEP_2)
	v_cmp_eq_u32_e32 vcc_lo, 0, v77
	v_cndmask_b32_e32 v77, v83, v78, vcc_lo
; %bb.68:
	s_or_b32 exec_lo, exec_lo, s4
	v_and_b32_e32 v78, 0x7f800000, v79
	s_delay_alu instid0(VALU_DEP_1) | instskip(SKIP_1) | instid1(SALU_CYCLE_1)
	v_cmp_ne_u32_e32 vcc_lo, 0x7f800000, v78
                                        ; implicit-def: $vgpr78
	s_and_saveexec_b32 s4, vcc_lo
	s_xor_b32 s4, exec_lo, s4
; %bb.69:
	v_bfe_u32 v78, v79, 16, 1
	s_delay_alu instid0(VALU_DEP_1)
	v_add3_u32 v78, v79, v78, 0x7fff
                                        ; implicit-def: $vgpr79
; %bb.70:
	s_and_not1_saveexec_b32 s4, s4
; %bb.71:
	v_and_b32_e32 v78, 0xffff, v79
	v_or_b32_e32 v83, 0x10000, v79
	s_delay_alu instid0(VALU_DEP_2) | instskip(NEXT) | instid1(VALU_DEP_2)
	v_cmp_eq_u32_e32 vcc_lo, 0, v78
	v_cndmask_b32_e32 v78, v83, v79, vcc_lo
; %bb.72:
	s_or_b32 exec_lo, exec_lo, s4
	v_and_b32_e32 v79, 0x7f800000, v70
	s_delay_alu instid0(VALU_DEP_1) | instskip(SKIP_1) | instid1(SALU_CYCLE_1)
	v_cmp_ne_u32_e32 vcc_lo, 0x7f800000, v79
                                        ; implicit-def: $vgpr79
	s_and_saveexec_b32 s4, vcc_lo
	s_xor_b32 s4, exec_lo, s4
; %bb.73:
	v_bfe_u32 v79, v70, 16, 1
	s_delay_alu instid0(VALU_DEP_1)
	v_add3_u32 v79, v70, v79, 0x7fff
                                        ; implicit-def: $vgpr70
; %bb.74:
	s_and_not1_saveexec_b32 s4, s4
; %bb.75:
	v_and_b32_e32 v79, 0xffff, v70
	v_or_b32_e32 v83, 0x10000, v70
	s_delay_alu instid0(VALU_DEP_2) | instskip(NEXT) | instid1(VALU_DEP_2)
	v_cmp_eq_u32_e32 vcc_lo, 0, v79
	v_cndmask_b32_e32 v79, v83, v70, vcc_lo
; %bb.76:
	s_or_b32 exec_lo, exec_lo, s4
	s_delay_alu instid0(VALU_DEP_1)
	v_perm_b32 v86, v79, v78, 0x7060302
	v_perm_b32 v85, v77, v82, 0x7060302
	;; [unrolled: 1-line block ×4, first 2 shown]
	v_lshl_or_b32 v82, v66, 11, v80
	ds_store_b128 v76, v[83:86] offset:1024
	s_waitcnt lgkmcnt(0)
	s_barrier
	buffer_gl0_inv
	ds_load_b128 v[69:72], v82
	ds_load_b128 v[83:86], v82 offset:16
	s_waitcnt lgkmcnt(1)
	v_lshrrev_b32_e32 v66, 16, v69
	s_waitcnt lgkmcnt(0)
	v_lshrrev_b32_e32 v91, 16, v83
	v_lshlrev_b32_e32 v78, 2, v74
	v_lshrrev_b32_e32 v95, 16, v70
	v_lshrrev_b32_e32 v98, 16, v84
	;; [unrolled: 1-line block ×4, first 2 shown]
	v_cmp_eq_u32_e32 vcc_lo, 1, v78
	v_lshrrev_b32_e32 v97, 16, v72
	v_lshrrev_b32_e32 v100, 16, v86
	v_cndmask_b32_e32 v87, v83, v91, vcc_lo
	v_or_b32_e32 v79, 1, v78
	v_cndmask_b32_e32 v81, v69, v66, vcc_lo
	v_cmp_eq_u32_e64 s5, 2, v78
	v_cmp_eq_u32_e64 s8, 3, v78
	;; [unrolled: 1-line block ×5, first 2 shown]
	v_cndmask_b32_e64 v81, v81, v70, s5
	v_cndmask_b32_e64 v87, v87, v84, s5
	v_cmp_eq_u32_e64 s9, 3, v79
	v_cndmask_b32_e64 v88, v69, v66, s4
	v_or_b32_e32 v77, 2, v78
	v_cndmask_b32_e64 v81, v81, v95, s8
	v_cndmask_b32_e64 v87, v87, v98, s8
	;; [unrolled: 1-line block ×4, first 2 shown]
	v_cmp_eq_u32_e64 s11, 5, v78
	v_cndmask_b32_e64 v81, v81, v71, s10
	v_cndmask_b32_e64 v87, v87, v85, s10
	v_cmp_eq_u32_e64 s12, 4, v79
	v_cndmask_b32_e64 v88, v88, v95, s9
	v_cmp_eq_u32_e64 s6, 1, v77
	v_cndmask_b32_e64 v89, v89, v84, s7
	v_cndmask_b32_e64 v81, v81, v96, s11
	v_cmp_eq_u32_e64 s13, 6, v78
	v_cndmask_b32_e64 v88, v88, v71, s12
	;; [unrolled: 3-line block ×3, first 2 shown]
	v_cndmask_b32_e64 v89, v89, v98, s9
	v_cndmask_b32_e64 v81, v81, v72, s13
	v_cmp_eq_u32_e64 s16, 7, v78
	v_cndmask_b32_e64 v88, v88, v96, s15
	v_cndmask_b32_e64 v87, v87, v86, s13
	v_cmp_eq_u32_e64 s17, 6, v79
	v_cmp_eq_u32_e64 s18, 2, v77
	v_cndmask_b32_e64 v89, v89, v85, s12
	v_cndmask_b32_e64 v101, v81, v97, s16
	;; [unrolled: 1-line block ×6, first 2 shown]
	v_cmp_eq_u32_e64 s19, 7, v79
	v_cmp_eq_u32_e64 s20, 3, v77
	;; [unrolled: 1-line block ×4, first 2 shown]
	v_cndmask_b32_e64 v87, v87, v84, s18
	v_cndmask_b32_e64 v103, v88, v97, s19
	;; [unrolled: 1-line block ×4, first 2 shown]
	v_or_b32_e32 v81, 3, v78
	v_cndmask_b32_e64 v93, v87, v98, s20
	v_cmp_eq_u32_e64 s25, 6, v77
	v_cndmask_b32_e64 v104, v88, v86, s17
	v_cndmask_b32_e64 v92, v89, v71, s21
	v_cmp_eq_u32_e64 s22, 1, v81
	ds_load_b128 v[87:90], v82 offset:1024
	v_cmp_eq_u32_e64 s24, 2, v81
	v_cmp_eq_u32_e64 s26, 3, v81
	v_cndmask_b32_e64 v105, v92, v96, s23
	v_cndmask_b32_e64 v66, v69, v66, s22
	;; [unrolled: 1-line block ×4, first 2 shown]
	ds_load_b128 v[91:94], v82 offset:1040
	v_cmp_eq_u32_e64 s27, 4, v81
	v_cndmask_b32_e64 v66, v66, v70, s24
	v_cmp_eq_u32_e64 s28, 7, v77
	v_cndmask_b32_e64 v70, v83, v84, s24
	v_cndmask_b32_e64 v84, v105, v72, s25
	v_cmp_eq_u32_e64 s29, 5, v81
	v_cndmask_b32_e64 v66, v66, v95, s26
	v_cmp_eq_u32_e64 s30, 6, v81
	v_cndmask_b32_e64 v70, v70, v98, s26
	v_cndmask_b32_e64 v69, v69, v99, s23
	;; [unrolled: 1-line block ×4, first 2 shown]
	s_waitcnt lgkmcnt(1)
	v_lshrrev_b32_e32 v95, 16, v87
	v_cndmask_b32_e64 v70, v70, v85, s27
	v_cndmask_b32_e64 v71, v84, v97, s28
	;; [unrolled: 1-line block ×4, first 2 shown]
	v_cndmask_b32_e32 v84, v87, v95, vcc_lo
	v_cndmask_b32_e64 v70, v70, v99, s29
	s_waitcnt lgkmcnt(0)
	v_lshrrev_b32_e32 v85, 16, v91
	v_lshrrev_b32_e32 v96, 16, v88
	v_cndmask_b32_e64 v98, v87, v95, s4
	v_cndmask_b32_e64 v84, v84, v88, s5
	;; [unrolled: 1-line block ×3, first 2 shown]
	v_cndmask_b32_e32 v99, v91, v85, vcc_lo
	v_cmp_eq_u32_e32 vcc_lo, 7, v81
	v_cndmask_b32_e64 v66, v66, v72, s30
	v_cndmask_b32_e64 v72, v84, v96, s8
	;; [unrolled: 1-line block ×3, first 2 shown]
	v_lshrrev_b32_e32 v98, 16, v92
	v_cndmask_b32_e32 v70, v70, v100, vcc_lo
	v_cndmask_b32_e64 v86, v99, v92, s5
	v_cndmask_b32_e64 v69, v69, v100, s28
	v_lshrrev_b32_e32 v100, 16, v93
	v_cndmask_b32_e64 v72, v72, v89, s10
	v_lshrrev_b32_e32 v99, 16, v89
	v_cndmask_b32_e64 v86, v86, v98, s8
	v_perm_b32 v71, v69, v71, 0x5040100
	v_cndmask_b32_e64 v84, v84, v96, s9
	s_delay_alu instid0(VALU_DEP_3) | instskip(NEXT) | instid1(VALU_DEP_2)
	v_cndmask_b32_e64 v86, v86, v93, s10
	v_cndmask_b32_e64 v84, v84, v89, s12
	s_delay_alu instid0(VALU_DEP_2) | instskip(NEXT) | instid1(VALU_DEP_1)
	v_cndmask_b32_e64 v86, v86, v100, s11
	v_cndmask_b32_e64 v69, v86, v94, s13
	;; [unrolled: 1-line block ×5, first 2 shown]
	s_delay_alu instid0(VALU_DEP_3) | instskip(NEXT) | instid1(VALU_DEP_3)
	v_cndmask_b32_e64 v86, v86, v88, s18
	v_cndmask_b32_e64 v87, v87, v88, s24
	s_delay_alu instid0(VALU_DEP_3) | instskip(NEXT) | instid1(VALU_DEP_3)
	v_cndmask_b32_e64 v88, v95, v92, s24
	v_cndmask_b32_e64 v86, v86, v96, s20
	;; [unrolled: 3-line block ×7, first 2 shown]
	s_delay_alu instid0(VALU_DEP_3) | instskip(SKIP_2) | instid1(VALU_DEP_2)
	v_cndmask_b32_e64 v88, v88, v94, s30
	v_cndmask_b32_e32 v66, v66, v97, vcc_lo
	v_cndmask_b32_e64 v97, v72, v99, s11
	v_perm_b32 v72, v70, v66, 0x5040100
	v_perm_b32 v70, v83, v103, 0x5040100
	v_cndmask_b32_e64 v103, v91, v85, s6
	v_cndmask_b32_e64 v85, v91, v85, s4
	;; [unrolled: 1-line block ×4, first 2 shown]
	v_lshrrev_b32_e32 v97, 16, v90
	v_cndmask_b32_e64 v91, v103, v92, s18
	v_cndmask_b32_e64 v85, v85, v92, s7
	v_cndmask_b32_e64 v66, v66, v90, s17
	s_mov_b32 s4, exec_lo
	v_cndmask_b32_e64 v83, v84, v97, s16
	v_cndmask_b32_e64 v91, v91, v98, s20
	v_cndmask_b32_e64 v85, v85, v98, s9
	v_lshrrev_b32_e32 v84, 16, v94
	v_cndmask_b32_e64 v66, v66, v97, s19
	v_cndmask_b32_e64 v90, v86, v97, s28
	;; [unrolled: 1-line block ×4, first 2 shown]
	v_dual_cndmask_b32 v86, v87, v97 :: v_dual_cndmask_b32 v87, v88, v84
	v_cndmask_b32_e64 v91, v69, v84, s16
	s_delay_alu instid0(VALU_DEP_4) | instskip(NEXT) | instid1(VALU_DEP_4)
	v_cndmask_b32_e64 v89, v89, v100, s23
	v_cndmask_b32_e64 v85, v85, v100, s15
	v_perm_b32 v69, v102, v101, 0x5040100
	v_perm_b32 v86, v87, v86, 0x5040100
	;; [unrolled: 1-line block ×3, first 2 shown]
	v_cndmask_b32_e64 v89, v89, v94, s25
	v_cndmask_b32_e64 v85, v85, v94, s17
	s_mul_i32 s9, s37, 15
	s_delay_alu instid0(VALU_DEP_2) | instskip(NEXT) | instid1(VALU_DEP_2)
	v_cndmask_b32_e64 v88, v89, v84, s28
	v_cndmask_b32_e64 v89, v85, v84, s19
	s_delay_alu instid0(VALU_DEP_2) | instskip(NEXT) | instid1(VALU_DEP_2)
	v_perm_b32 v85, v88, v90, 0x5040100
	v_perm_b32 v84, v89, v66, 0x5040100
	ds_store_b128 v76, v[69:72]
	ds_store_b128 v76, v[83:86] offset:1024
	v_cmpx_gt_u32_e32 15, v0
	s_cbranch_execz .LBB1500_78
; %bb.77:
	s_mul_i32 s5, s9, s34
	s_load_b128 s[16:19], s[0:1], 0x58
	v_add3_u32 v69, s5, s31, v65
	s_delay_alu instid0(VALU_DEP_1) | instskip(NEXT) | instid1(VALU_DEP_1)
	v_mad_u64_u32 v[65:66], null, v69, s36, s[14:15]
	v_ashrrev_i32_e32 v66, 31, v65
	s_delay_alu instid0(VALU_DEP_1) | instskip(SKIP_1) | instid1(VALU_DEP_1)
	v_lshlrev_b64 v[65:66], 2, v[65:66]
	s_waitcnt lgkmcnt(0)
	v_add_co_u32 v69, vcc_lo, s18, v65
	s_delay_alu instid0(VALU_DEP_2)
	v_add_co_ci_u32_e32 v70, vcc_lo, s19, v66, vcc_lo
	v_add_co_u32 v65, vcc_lo, s16, v65
	v_add_co_ci_u32_e32 v66, vcc_lo, s17, v66, vcc_lo
	global_store_b32 v[69:70], v67, off
	global_store_b32 v[65:66], v68, off
.LBB1500_78:
	s_or_b32 exec_lo, exec_lo, s4
	s_waitcnt lgkmcnt(0)
	s_waitcnt_vscnt null, 0x0
	s_barrier
	buffer_gl0_inv
	ds_load_b128 v[83:86], v80
	ds_load_b128 v[87:90], v80 offset:16
	ds_load_b128 v[95:98], v80 offset:2064
	;; [unrolled: 1-line block ×3, first 2 shown]
	v_mov_b32_e32 v65, 0
	ds_load_b128 v[103:106], v80 offset:4112
	ds_load_b128 v[99:102], v80 offset:4096
	;; [unrolled: 1-line block ×4, first 2 shown]
	v_mov_b32_e32 v66, v65
	v_mov_b32_e32 v67, v65
	;; [unrolled: 1-line block ×7, first 2 shown]
	s_waitcnt lgkmcnt(6)
	s_delay_alu instid0(VALU_DEP_1)
	v_wmma_f32_16x16x16_bf16 v[65:72], v[57:64], v[83:90], v[65:72]
	ds_load_b128 v[61:64], v80 offset:8208
	ds_load_b128 v[57:60], v80 offset:8192
	s_waitcnt lgkmcnt(6)
	v_wmma_f32_16x16x16_bf16 v[65:72], v[41:48], v[91:98], v[65:72]
	ds_load_b128 v[45:48], v80 offset:10256
	ds_load_b128 v[41:44], v80 offset:10240
	s_waitcnt lgkmcnt(6)
	;; [unrolled: 4-line block ×4, first 2 shown]
	v_wmma_f32_16x16x16_bf16 v[65:72], v[1:8], v[57:64], v[65:72]
	s_waitcnt lgkmcnt(4)
	s_delay_alu instid0(VALU_DEP_1) | instskip(SKIP_1) | instid1(VALU_DEP_1)
	v_wmma_f32_16x16x16_bf16 v[65:72], v[9:16], v[41:48], v[65:72]
	s_waitcnt lgkmcnt(2)
	v_wmma_f32_16x16x16_bf16 v[65:72], v[17:24], v[33:40], v[65:72]
	s_waitcnt lgkmcnt(0)
	s_delay_alu instid0(VALU_DEP_1) | instskip(NEXT) | instid1(VALU_DEP_1)
	v_wmma_f32_16x16x16_bf16 v[65:72], v[49:56], v[25:32], v[65:72]
	v_and_b32_e32 v1, 0x7f800000, v65
	s_delay_alu instid0(VALU_DEP_1) | instskip(SKIP_1) | instid1(SALU_CYCLE_1)
	v_cmp_ne_u32_e32 vcc_lo, 0x7f800000, v1
                                        ; implicit-def: $vgpr1
	s_and_saveexec_b32 s4, vcc_lo
	s_xor_b32 s4, exec_lo, s4
; %bb.79:
	v_bfe_u32 v1, v65, 16, 1
	s_delay_alu instid0(VALU_DEP_1)
	v_add3_u32 v1, v65, v1, 0x7fff
; %bb.80:
	s_and_not1_saveexec_b32 s4, s4
; %bb.81:
	v_and_b32_e32 v1, 0xffff, v65
	v_or_b32_e32 v2, 0x10000, v65
	s_delay_alu instid0(VALU_DEP_2) | instskip(NEXT) | instid1(VALU_DEP_2)
	v_cmp_eq_u32_e32 vcc_lo, 0, v1
	v_cndmask_b32_e32 v1, v2, v65, vcc_lo
; %bb.82:
	s_or_b32 exec_lo, exec_lo, s4
	v_and_b32_e32 v2, 0x7f800000, v66
	s_delay_alu instid0(VALU_DEP_1) | instskip(SKIP_1) | instid1(SALU_CYCLE_1)
	v_cmp_ne_u32_e32 vcc_lo, 0x7f800000, v2
                                        ; implicit-def: $vgpr2
	s_and_saveexec_b32 s4, vcc_lo
	s_xor_b32 s4, exec_lo, s4
; %bb.83:
	v_bfe_u32 v2, v66, 16, 1
	s_delay_alu instid0(VALU_DEP_1)
	v_add3_u32 v2, v66, v2, 0x7fff
; %bb.84:
	s_and_not1_saveexec_b32 s4, s4
; %bb.85:
	v_and_b32_e32 v2, 0xffff, v66
	v_or_b32_e32 v3, 0x10000, v66
	s_delay_alu instid0(VALU_DEP_2) | instskip(NEXT) | instid1(VALU_DEP_2)
	v_cmp_eq_u32_e32 vcc_lo, 0, v2
	v_cndmask_b32_e32 v2, v3, v66, vcc_lo
; %bb.86:
	s_or_b32 exec_lo, exec_lo, s4
	v_and_b32_e32 v3, 0x7f800000, v67
	s_delay_alu instid0(VALU_DEP_1) | instskip(SKIP_1) | instid1(SALU_CYCLE_1)
	v_cmp_ne_u32_e32 vcc_lo, 0x7f800000, v3
                                        ; implicit-def: $vgpr3
	s_and_saveexec_b32 s4, vcc_lo
	s_xor_b32 s4, exec_lo, s4
; %bb.87:
	v_bfe_u32 v3, v67, 16, 1
	s_delay_alu instid0(VALU_DEP_1)
	v_add3_u32 v3, v67, v3, 0x7fff
; %bb.88:
	s_and_not1_saveexec_b32 s4, s4
; %bb.89:
	v_and_b32_e32 v3, 0xffff, v67
	v_or_b32_e32 v4, 0x10000, v67
	s_delay_alu instid0(VALU_DEP_2) | instskip(NEXT) | instid1(VALU_DEP_2)
	v_cmp_eq_u32_e32 vcc_lo, 0, v3
	v_cndmask_b32_e32 v3, v4, v67, vcc_lo
; %bb.90:
	s_or_b32 exec_lo, exec_lo, s4
	v_and_b32_e32 v4, 0x7f800000, v68
	s_delay_alu instid0(VALU_DEP_1) | instskip(SKIP_1) | instid1(SALU_CYCLE_1)
	v_cmp_ne_u32_e32 vcc_lo, 0x7f800000, v4
                                        ; implicit-def: $vgpr4
	s_and_saveexec_b32 s4, vcc_lo
	s_xor_b32 s4, exec_lo, s4
; %bb.91:
	v_bfe_u32 v4, v68, 16, 1
	s_delay_alu instid0(VALU_DEP_1)
	v_add3_u32 v4, v68, v4, 0x7fff
; %bb.92:
	s_and_not1_saveexec_b32 s4, s4
; %bb.93:
	v_and_b32_e32 v4, 0xffff, v68
	v_or_b32_e32 v5, 0x10000, v68
	s_delay_alu instid0(VALU_DEP_2) | instskip(NEXT) | instid1(VALU_DEP_2)
	v_cmp_eq_u32_e32 vcc_lo, 0, v4
	v_cndmask_b32_e32 v4, v5, v68, vcc_lo
; %bb.94:
	s_or_b32 exec_lo, exec_lo, s4
	v_and_b32_e32 v5, 0x7f800000, v69
	s_delay_alu instid0(VALU_DEP_1) | instskip(SKIP_1) | instid1(SALU_CYCLE_1)
	v_cmp_ne_u32_e32 vcc_lo, 0x7f800000, v5
                                        ; implicit-def: $vgpr5
	s_and_saveexec_b32 s4, vcc_lo
	s_xor_b32 s4, exec_lo, s4
; %bb.95:
	v_bfe_u32 v5, v69, 16, 1
	s_delay_alu instid0(VALU_DEP_1)
	v_add3_u32 v5, v69, v5, 0x7fff
; %bb.96:
	s_and_not1_saveexec_b32 s4, s4
; %bb.97:
	v_and_b32_e32 v5, 0xffff, v69
	v_or_b32_e32 v6, 0x10000, v69
	s_delay_alu instid0(VALU_DEP_2) | instskip(NEXT) | instid1(VALU_DEP_2)
	v_cmp_eq_u32_e32 vcc_lo, 0, v5
	v_cndmask_b32_e32 v5, v6, v69, vcc_lo
; %bb.98:
	s_or_b32 exec_lo, exec_lo, s4
	v_and_b32_e32 v6, 0x7f800000, v70
	s_delay_alu instid0(VALU_DEP_1) | instskip(SKIP_1) | instid1(SALU_CYCLE_1)
	v_cmp_ne_u32_e32 vcc_lo, 0x7f800000, v6
                                        ; implicit-def: $vgpr6
	s_and_saveexec_b32 s4, vcc_lo
	s_xor_b32 s4, exec_lo, s4
; %bb.99:
	v_bfe_u32 v6, v70, 16, 1
	s_delay_alu instid0(VALU_DEP_1)
	v_add3_u32 v6, v70, v6, 0x7fff
; %bb.100:
	s_and_not1_saveexec_b32 s4, s4
; %bb.101:
	v_and_b32_e32 v6, 0xffff, v70
	v_or_b32_e32 v7, 0x10000, v70
	s_delay_alu instid0(VALU_DEP_2) | instskip(NEXT) | instid1(VALU_DEP_2)
	v_cmp_eq_u32_e32 vcc_lo, 0, v6
	v_cndmask_b32_e32 v6, v7, v70, vcc_lo
; %bb.102:
	s_or_b32 exec_lo, exec_lo, s4
	v_and_b32_e32 v7, 0x7f800000, v71
	s_delay_alu instid0(VALU_DEP_1) | instskip(SKIP_1) | instid1(SALU_CYCLE_1)
	v_cmp_ne_u32_e32 vcc_lo, 0x7f800000, v7
                                        ; implicit-def: $vgpr7
	s_and_saveexec_b32 s4, vcc_lo
	s_xor_b32 s4, exec_lo, s4
; %bb.103:
	v_bfe_u32 v7, v71, 16, 1
	s_delay_alu instid0(VALU_DEP_1)
	v_add3_u32 v7, v71, v7, 0x7fff
; %bb.104:
	s_and_not1_saveexec_b32 s4, s4
; %bb.105:
	v_and_b32_e32 v7, 0xffff, v71
	v_or_b32_e32 v8, 0x10000, v71
	s_delay_alu instid0(VALU_DEP_2) | instskip(NEXT) | instid1(VALU_DEP_2)
	v_cmp_eq_u32_e32 vcc_lo, 0, v7
	v_cndmask_b32_e32 v7, v8, v71, vcc_lo
; %bb.106:
	s_or_b32 exec_lo, exec_lo, s4
	v_and_b32_e32 v8, 0x7f800000, v72
	s_delay_alu instid0(VALU_DEP_1) | instskip(SKIP_1) | instid1(SALU_CYCLE_1)
	v_cmp_ne_u32_e32 vcc_lo, 0x7f800000, v8
                                        ; implicit-def: $vgpr8
	s_and_saveexec_b32 s4, vcc_lo
	s_xor_b32 s4, exec_lo, s4
; %bb.107:
	v_bfe_u32 v8, v72, 16, 1
	s_delay_alu instid0(VALU_DEP_1)
	v_add3_u32 v8, v72, v8, 0x7fff
                                        ; implicit-def: $vgpr65_vgpr66_vgpr67_vgpr68_vgpr69_vgpr70_vgpr71_vgpr72
; %bb.108:
	s_and_not1_saveexec_b32 s4, s4
; %bb.109:
	v_and_b32_e32 v8, 0xffff, v72
	v_or_b32_e32 v9, 0x10000, v72
	s_delay_alu instid0(VALU_DEP_2) | instskip(NEXT) | instid1(VALU_DEP_2)
	v_cmp_eq_u32_e32 vcc_lo, 0, v8
	v_cndmask_b32_e32 v8, v9, v72, vcc_lo
; %bb.110:
	s_or_b32 exec_lo, exec_lo, s4
	s_delay_alu instid0(VALU_DEP_1)
	v_perm_b32 v7, v8, v7, 0x7060302
	v_perm_b32 v6, v6, v5, 0x7060302
	;; [unrolled: 1-line block ×4, first 2 shown]
	s_barrier
	buffer_gl0_inv
	v_cmp_eq_u32_e32 vcc_lo, 1, v78
	ds_store_b128 v76, v[4:7]
	s_waitcnt lgkmcnt(0)
	s_barrier
	buffer_gl0_inv
	ds_load_b128 v[1:4], v82
	ds_load_b128 v[5:8], v82 offset:16
	v_cmp_eq_u32_e64 s4, 1, v79
	v_cmp_eq_u32_e64 s5, 2, v78
	;; [unrolled: 1-line block ×5, first 2 shown]
	s_waitcnt lgkmcnt(1)
	v_lshrrev_b32_e32 v9, 16, v1
	s_waitcnt lgkmcnt(0)
	v_lshrrev_b32_e32 v13, 16, v5
	v_lshrrev_b32_e32 v10, 16, v2
	;; [unrolled: 1-line block ×4, first 2 shown]
	v_cndmask_b32_e64 v19, v1, v9, s4
	v_cndmask_b32_e32 v18, v5, v13, vcc_lo
	v_cndmask_b32_e64 v20, v5, v13, s4
	v_cndmask_b32_e32 v17, v1, v9, vcc_lo
	v_cmp_eq_u32_e32 vcc_lo, 2, v79
	v_lshrrev_b32_e32 v15, 16, v7
	v_cmp_eq_u32_e64 s4, 1, v77
	v_lshrrev_b32_e32 v12, 16, v4
	v_lshrrev_b32_e32 v16, 16, v8
	v_cndmask_b32_e32 v20, v20, v6, vcc_lo
	v_cndmask_b32_e64 v17, v17, v2, s5
	v_cndmask_b32_e32 v19, v19, v2, vcc_lo
	v_cndmask_b32_e64 v18, v18, v6, s5
	v_cmp_eq_u32_e32 vcc_lo, 4, v78
	v_cmp_eq_u32_e64 s5, 3, v79
	v_cndmask_b32_e64 v17, v17, v10, s6
	v_cndmask_b32_e64 v21, v1, v9, s4
	;; [unrolled: 1-line block ×5, first 2 shown]
	v_cndmask_b32_e32 v17, v17, v3, vcc_lo
	v_cndmask_b32_e64 v20, v20, v14, s5
	v_cndmask_b32_e32 v18, v18, v7, vcc_lo
	v_cmp_eq_u32_e32 vcc_lo, 4, v79
	v_cmp_eq_u32_e64 s5, 5, v79
	v_cmp_eq_u32_e64 s4, 2, v81
	v_cndmask_b32_e64 v21, v21, v2, s8
	v_cmp_eq_u32_e64 s6, 5, v78
	v_cndmask_b32_e32 v19, v19, v3, vcc_lo
	v_cndmask_b32_e32 v20, v20, v7, vcc_lo
	v_cmp_eq_u32_e32 vcc_lo, 6, v79
	s_delay_alu instid0(VALU_DEP_4) | instskip(NEXT) | instid1(VALU_DEP_4)
	v_cndmask_b32_e64 v17, v17, v11, s6
	v_cndmask_b32_e64 v19, v19, v11, s5
	s_delay_alu instid0(VALU_DEP_4) | instskip(SKIP_1) | instid1(VALU_DEP_3)
	v_cndmask_b32_e64 v20, v20, v15, s5
	v_cmp_eq_u32_e64 s5, 1, v81
	v_cndmask_b32_e32 v19, v19, v4, vcc_lo
	v_cndmask_b32_e64 v18, v18, v15, s6
	s_delay_alu instid0(VALU_DEP_3)
	v_cndmask_b32_e64 v1, v1, v9, s5
	v_cndmask_b32_e64 v5, v5, v13, s5
	v_cmp_eq_u32_e64 s5, 3, v77
	v_cndmask_b32_e64 v13, v22, v6, s8
	v_cmp_eq_u32_e64 s8, 3, v81
	v_cndmask_b32_e64 v1, v1, v2, s4
	v_cndmask_b32_e64 v2, v5, v6, s4
	;; [unrolled: 1-line block ×3, first 2 shown]
	v_cmp_eq_u32_e64 s4, 4, v77
	v_cndmask_b32_e64 v6, v13, v14, s5
	v_cndmask_b32_e64 v1, v1, v10, s8
	v_cmp_eq_u32_e64 s5, 4, v81
	v_cndmask_b32_e64 v2, v2, v14, s8
	v_cndmask_b32_e64 v5, v9, v3, s4
	;; [unrolled: 3-line block ×3, first 2 shown]
	v_cndmask_b32_e64 v2, v2, v7, s5
	v_cmp_eq_u32_e64 s4, 5, v81
	v_cmp_eq_u32_e64 s6, 6, v78
	v_cndmask_b32_e64 v5, v5, v11, s8
	v_cmp_eq_u32_e64 s5, 6, v77
	v_cndmask_b32_e64 v3, v6, v15, s8
	v_cndmask_b32_e64 v1, v1, v11, s4
	v_cmp_eq_u32_e64 s8, 6, v81
	v_cndmask_b32_e64 v2, v2, v15, s4
	v_cndmask_b32_e64 v17, v17, v4, s6
	v_cndmask_b32_e64 v18, v18, v8, s6
	v_cmp_eq_u32_e64 s6, 7, v78
	v_cndmask_b32_e64 v5, v5, v4, s5
	;; [unrolled: 4-line block ×3, first 2 shown]
	v_cmp_eq_u32_e64 s5, 7, v77
	v_cndmask_b32_e32 v4, v20, v8, vcc_lo
	v_cndmask_b32_e64 v17, v17, v12, s6
	v_cndmask_b32_e64 v19, v19, v12, s7
	;; [unrolled: 1-line block ×8, first 2 shown]
	v_cmp_gt_u32_e32 vcc_lo, 32, v0
	v_perm_b32 v4, v2, v1, 0x5040100
	v_perm_b32 v3, v3, v5, 0x5040100
	;; [unrolled: 1-line block ×4, first 2 shown]
	s_and_b32 s2, vcc_lo, s2
	ds_store_b128 v76, v[1:4]
	s_waitcnt lgkmcnt(0)
	s_barrier
	buffer_gl0_inv
	s_and_saveexec_b32 s4, s2
	s_cbranch_execz .LBB1500_2
; %bb.111:
	s_load_b64 s[4:5], s[0:1], 0x68
	v_add_nc_u32_e32 v20, s31, v74
	v_lshlrev_b32_e32 v0, 10, v0
	v_lshlrev_b32_e32 v1, 4, v75
	s_lshl_b32 s0, s36, 6
	s_delay_alu instid0(SALU_CYCLE_1)
	s_mul_i32 s1, s0, s34
	v_add_nc_u32_e32 v2, 2, v20
	s_mul_i32 s6, s1, s9
	v_and_or_b32 v0, 0x3800, v0, v1
	v_mul_lo_u32 v1, v20, s0
	s_ashr_i32 s7, s6, 31
	v_mul_lo_u32 v11, v2, s0
	s_lshl_b64 s[6:7], s[6:7], 1
	v_add_nc_u32_e32 v3, 4, v20
	v_lshl_or_b32 v21, v74, 6, v0
	v_add_nc_u32_e32 v16, 6, v20
	v_ashrrev_i32_e32 v2, 31, v1
	s_delay_alu instid0(VALU_DEP_4)
	v_mul_lo_u32 v13, v3, s0
	s_waitcnt lgkmcnt(0)
	s_add_u32 s1, s4, s6
	s_addc_u32 s2, s5, s7
	s_lshl_b32 s4, s14, 6
	ds_load_b128 v[3:6], v21
	ds_load_b128 v[7:10], v21 offset:128
	s_ashr_i32 s5, s4, 31
	v_ashrrev_i32_e32 v12, 31, v11
	s_lshl_b64 s[4:5], s[4:5], 1
	v_lshlrev_b64 v[14:15], 1, v[1:2]
	s_add_u32 s1, s1, s4
	s_addc_u32 s2, s2, s5
	v_add_co_u32 v1, s1, s1, v73
	s_delay_alu instid0(VALU_DEP_1) | instskip(SKIP_1) | instid1(VALU_DEP_3)
	v_add_co_ci_u32_e64 v2, null, s2, 0, s1
	v_lshlrev_b64 v[11:12], 1, v[11:12]
	v_add_co_u32 v18, vcc_lo, v1, v14
	v_mul_lo_u32 v16, v16, s0
	s_delay_alu instid0(VALU_DEP_4) | instskip(NEXT) | instid1(VALU_DEP_4)
	v_add_co_ci_u32_e32 v19, vcc_lo, v2, v15, vcc_lo
	v_add_co_u32 v11, vcc_lo, v1, v11
	v_ashrrev_i32_e32 v14, 31, v13
	v_add_co_ci_u32_e32 v12, vcc_lo, v2, v12, vcc_lo
	v_add_nc_u32_e32 v15, 8, v20
	v_ashrrev_i32_e32 v17, 31, v16
	s_waitcnt lgkmcnt(1)
	global_store_b128 v[18:19], v[3:6], off
	v_lshlrev_b64 v[3:4], 1, v[13:14]
	s_waitcnt lgkmcnt(0)
	global_store_b128 v[11:12], v[7:10], off
	v_mul_lo_u32 v11, v15, s0
	v_add_nc_u32_e32 v7, 10, v20
	v_lshlrev_b64 v[5:6], 1, v[16:17]
	v_add_co_u32 v23, vcc_lo, v1, v3
	v_add_nc_u32_e32 v3, 12, v20
	s_delay_alu instid0(VALU_DEP_4)
	v_mul_lo_u32 v25, v7, s0
	v_ashrrev_i32_e32 v12, 31, v11
	v_add_co_ci_u32_e32 v24, vcc_lo, v2, v4, vcc_lo
	v_add_co_u32 v27, vcc_lo, v1, v5
	v_mul_lo_u32 v29, v3, s0
	v_add_co_ci_u32_e32 v28, vcc_lo, v2, v6, vcc_lo
	ds_load_b128 v[3:6], v21 offset:256
	ds_load_b128 v[7:10], v21 offset:384
	v_lshlrev_b64 v[31:32], 1, v[11:12]
	ds_load_b128 v[11:14], v21 offset:512
	ds_load_b128 v[15:18], v21 offset:640
	;; [unrolled: 1-line block ×3, first 2 shown]
	v_ashrrev_i32_e32 v26, 31, v25
	v_ashrrev_i32_e32 v30, 31, v29
	v_add_co_u32 v31, vcc_lo, v1, v31
	s_delay_alu instid0(VALU_DEP_3) | instskip(NEXT) | instid1(VALU_DEP_3)
	v_lshlrev_b64 v[25:26], 1, v[25:26]
	v_lshlrev_b64 v[29:30], 1, v[29:30]
	v_add_co_ci_u32_e32 v32, vcc_lo, v2, v32, vcc_lo
	s_delay_alu instid0(VALU_DEP_3) | instskip(NEXT) | instid1(VALU_DEP_4)
	v_add_co_u32 v25, vcc_lo, v1, v25
	v_add_co_ci_u32_e32 v26, vcc_lo, v2, v26, vcc_lo
	s_delay_alu instid0(VALU_DEP_4)
	v_add_co_u32 v29, vcc_lo, v1, v29
	v_add_co_ci_u32_e32 v30, vcc_lo, v2, v30, vcc_lo
	s_waitcnt lgkmcnt(4)
	global_store_b128 v[23:24], v[3:6], off
	s_waitcnt lgkmcnt(3)
	global_store_b128 v[27:28], v[7:10], off
	;; [unrolled: 2-line block ×5, first 2 shown]
	s_and_b32 exec_lo, exec_lo, s3
	s_cbranch_execz .LBB1500_2
; %bb.112:
	ds_load_b128 v[3:6], v0 offset:896
	s_add_i32 s1, s31, 14
	s_delay_alu instid0(SALU_CYCLE_1) | instskip(NEXT) | instid1(SALU_CYCLE_1)
	s_mul_i32 s0, s1, s0
	s_ashr_i32 s1, s0, 31
	s_delay_alu instid0(SALU_CYCLE_1) | instskip(NEXT) | instid1(SALU_CYCLE_1)
	s_lshl_b64 s[0:1], s[0:1], 1
	v_add_co_u32 v0, vcc_lo, v1, s0
	v_add_co_ci_u32_e32 v1, vcc_lo, s1, v2, vcc_lo
	s_waitcnt lgkmcnt(0)
	global_store_b128 v[0:1], v[3:6], off
	s_nop 0
	s_sendmsg sendmsg(MSG_DEALLOC_VGPRS)
	s_endpgm
	.section	.rodata,"a",@progbits
	.p2align	6, 0x0
	.amdhsa_kernel _Z39paged_attention_ll4mi_QKV_mfma16_kernelI14__hip_bfloat16hLN4vllm18Fp8KVCacheDataTypeE1ES0_Li32ELi64ELi256ELb0ELi15EL8MFMAType1EEvPKT_PKT0_S9_ifPKiSB_SB_iPKfiiiPfSE_PS4_PT2_iSD_SD_
		.amdhsa_group_segment_fixed_size 17472
		.amdhsa_private_segment_fixed_size 0
		.amdhsa_kernarg_size 400
		.amdhsa_user_sgpr_count 13
		.amdhsa_user_sgpr_dispatch_ptr 0
		.amdhsa_user_sgpr_queue_ptr 0
		.amdhsa_user_sgpr_kernarg_segment_ptr 1
		.amdhsa_user_sgpr_dispatch_id 0
		.amdhsa_user_sgpr_private_segment_size 0
		.amdhsa_wavefront_size32 1
		.amdhsa_uses_dynamic_stack 0
		.amdhsa_enable_private_segment 0
		.amdhsa_system_sgpr_workgroup_id_x 1
		.amdhsa_system_sgpr_workgroup_id_y 1
		.amdhsa_system_sgpr_workgroup_id_z 1
		.amdhsa_system_sgpr_workgroup_info 0
		.amdhsa_system_vgpr_workitem_id 0
		.amdhsa_next_free_vgpr 124
		.amdhsa_next_free_sgpr 42
		.amdhsa_reserve_vcc 1
		.amdhsa_float_round_mode_32 0
		.amdhsa_float_round_mode_16_64 0
		.amdhsa_float_denorm_mode_32 3
		.amdhsa_float_denorm_mode_16_64 3
		.amdhsa_dx10_clamp 1
		.amdhsa_ieee_mode 1
		.amdhsa_fp16_overflow 0
		.amdhsa_workgroup_processor_mode 1
		.amdhsa_memory_ordered 1
		.amdhsa_forward_progress 0
		.amdhsa_shared_vgpr_count 0
		.amdhsa_exception_fp_ieee_invalid_op 0
		.amdhsa_exception_fp_denorm_src 0
		.amdhsa_exception_fp_ieee_div_zero 0
		.amdhsa_exception_fp_ieee_overflow 0
		.amdhsa_exception_fp_ieee_underflow 0
		.amdhsa_exception_fp_ieee_inexact 0
		.amdhsa_exception_int_div_zero 0
	.end_amdhsa_kernel
	.section	.text._Z39paged_attention_ll4mi_QKV_mfma16_kernelI14__hip_bfloat16hLN4vllm18Fp8KVCacheDataTypeE1ES0_Li32ELi64ELi256ELb0ELi15EL8MFMAType1EEvPKT_PKT0_S9_ifPKiSB_SB_iPKfiiiPfSE_PS4_PT2_iSD_SD_,"axG",@progbits,_Z39paged_attention_ll4mi_QKV_mfma16_kernelI14__hip_bfloat16hLN4vllm18Fp8KVCacheDataTypeE1ES0_Li32ELi64ELi256ELb0ELi15EL8MFMAType1EEvPKT_PKT0_S9_ifPKiSB_SB_iPKfiiiPfSE_PS4_PT2_iSD_SD_,comdat
.Lfunc_end1500:
	.size	_Z39paged_attention_ll4mi_QKV_mfma16_kernelI14__hip_bfloat16hLN4vllm18Fp8KVCacheDataTypeE1ES0_Li32ELi64ELi256ELb0ELi15EL8MFMAType1EEvPKT_PKT0_S9_ifPKiSB_SB_iPKfiiiPfSE_PS4_PT2_iSD_SD_, .Lfunc_end1500-_Z39paged_attention_ll4mi_QKV_mfma16_kernelI14__hip_bfloat16hLN4vllm18Fp8KVCacheDataTypeE1ES0_Li32ELi64ELi256ELb0ELi15EL8MFMAType1EEvPKT_PKT0_S9_ifPKiSB_SB_iPKfiiiPfSE_PS4_PT2_iSD_SD_
                                        ; -- End function
	.section	.AMDGPU.csdata,"",@progbits
; Kernel info:
; codeLenInByte = 9028
; NumSgprs: 44
; NumVgprs: 124
; ScratchSize: 0
; MemoryBound: 0
; FloatMode: 240
; IeeeMode: 1
; LDSByteSize: 17472 bytes/workgroup (compile time only)
; SGPRBlocks: 5
; VGPRBlocks: 15
; NumSGPRsForWavesPerEU: 44
; NumVGPRsForWavesPerEU: 124
; Occupancy: 10
; WaveLimiterHint : 1
; COMPUTE_PGM_RSRC2:SCRATCH_EN: 0
; COMPUTE_PGM_RSRC2:USER_SGPR: 13
; COMPUTE_PGM_RSRC2:TRAP_HANDLER: 0
; COMPUTE_PGM_RSRC2:TGID_X_EN: 1
; COMPUTE_PGM_RSRC2:TGID_Y_EN: 1
; COMPUTE_PGM_RSRC2:TGID_Z_EN: 1
; COMPUTE_PGM_RSRC2:TIDIG_COMP_CNT: 0
	.section	.text._Z39paged_attention_ll4mi_QKV_mfma16_kernelI14__hip_bfloat16hLN4vllm18Fp8KVCacheDataTypeE1ES0_Li32ELi64ELi256ELb0ELi16EL8MFMAType1EEvPKT_PKT0_S9_ifPKiSB_SB_iPKfiiiPfSE_PS4_PT2_iSD_SD_,"axG",@progbits,_Z39paged_attention_ll4mi_QKV_mfma16_kernelI14__hip_bfloat16hLN4vllm18Fp8KVCacheDataTypeE1ES0_Li32ELi64ELi256ELb0ELi16EL8MFMAType1EEvPKT_PKT0_S9_ifPKiSB_SB_iPKfiiiPfSE_PS4_PT2_iSD_SD_,comdat
	.protected	_Z39paged_attention_ll4mi_QKV_mfma16_kernelI14__hip_bfloat16hLN4vllm18Fp8KVCacheDataTypeE1ES0_Li32ELi64ELi256ELb0ELi16EL8MFMAType1EEvPKT_PKT0_S9_ifPKiSB_SB_iPKfiiiPfSE_PS4_PT2_iSD_SD_ ; -- Begin function _Z39paged_attention_ll4mi_QKV_mfma16_kernelI14__hip_bfloat16hLN4vllm18Fp8KVCacheDataTypeE1ES0_Li32ELi64ELi256ELb0ELi16EL8MFMAType1EEvPKT_PKT0_S9_ifPKiSB_SB_iPKfiiiPfSE_PS4_PT2_iSD_SD_
	.globl	_Z39paged_attention_ll4mi_QKV_mfma16_kernelI14__hip_bfloat16hLN4vllm18Fp8KVCacheDataTypeE1ES0_Li32ELi64ELi256ELb0ELi16EL8MFMAType1EEvPKT_PKT0_S9_ifPKiSB_SB_iPKfiiiPfSE_PS4_PT2_iSD_SD_
	.p2align	8
	.type	_Z39paged_attention_ll4mi_QKV_mfma16_kernelI14__hip_bfloat16hLN4vllm18Fp8KVCacheDataTypeE1ES0_Li32ELi64ELi256ELb0ELi16EL8MFMAType1EEvPKT_PKT0_S9_ifPKiSB_SB_iPKfiiiPfSE_PS4_PT2_iSD_SD_,@function
_Z39paged_attention_ll4mi_QKV_mfma16_kernelI14__hip_bfloat16hLN4vllm18Fp8KVCacheDataTypeE1ES0_Li32ELi64ELi256ELb0ELi16EL8MFMAType1EEvPKT_PKT0_S9_ifPKiSB_SB_iPKfiiiPfSE_PS4_PT2_iSD_SD_: ; @_Z39paged_attention_ll4mi_QKV_mfma16_kernelI14__hip_bfloat16hLN4vllm18Fp8KVCacheDataTypeE1ES0_Li32ELi64ELi256ELb0ELi16EL8MFMAType1EEvPKT_PKT0_S9_ifPKiSB_SB_iPKfiiiPfSE_PS4_PT2_iSD_SD_
; %bb.0:
	s_load_b64 s[2:3], s[0:1], 0x30
	s_mov_b32 s30, s13
	s_waitcnt lgkmcnt(0)
	s_cmp_lg_u64 s[2:3], 0
	s_cselect_b32 s8, -1, 0
	s_ashr_i32 s31, s13, 31
	s_cmp_eq_u64 s[2:3], 0
	s_cbranch_scc1 .LBB1501_3
; %bb.1:
	s_lshl_b64 s[4:5], s[30:31], 2
	s_delay_alu instid0(SALU_CYCLE_1) | instskip(SKIP_4) | instid1(SALU_CYCLE_1)
	s_add_u32 s4, s2, s4
	s_addc_u32 s5, s3, s5
	s_load_b64 s[4:5], s[4:5], 0x0
	s_waitcnt lgkmcnt(0)
	s_sub_i32 s4, s5, s4
	s_cmp_eq_u32 s4, 1
	s_cselect_b32 s4, -1, 0
	s_delay_alu instid0(SALU_CYCLE_1)
	s_and_not1_b32 vcc_lo, exec_lo, s4
	s_cbranch_vccz .LBB1501_4
.LBB1501_2:
	s_endpgm
.LBB1501_3:
.LBB1501_4:
	s_load_b64 s[4:5], s[0:1], 0x28
	s_lshl_b64 s[6:7], s[30:31], 2
	s_waitcnt lgkmcnt(0)
	s_add_u32 s4, s4, s6
	s_addc_u32 s5, s5, s7
	s_lshl_b32 s12, s14, 8
	s_load_b32 s24, s[4:5], 0x0
	s_waitcnt lgkmcnt(0)
	s_cmp_ge_i32 s12, s24
	s_cbranch_scc1 .LBB1501_2
; %bb.5:
	s_clause 0x1
	s_load_b128 s[20:23], s[0:1], 0x8
	s_load_b64 s[4:5], s[0:1], 0x20
	s_and_not1_b32 vcc_lo, exec_lo, s8
	s_cbranch_vccnz .LBB1501_7
; %bb.6:
	s_add_u32 s2, s2, s6
	s_addc_u32 s3, s3, s7
	s_load_b32 s3, s[2:3], 0x0
	s_branch .LBB1501_8
.LBB1501_7:
	s_mov_b32 s3, s30
.LBB1501_8:
	s_load_b128 s[16:19], s[0:1], 0x48
	v_and_b32_e32 v66, 15, v0
	v_cmp_gt_u32_e32 vcc_lo, 0x100, v0
	v_lshrrev_b32_e32 v65, 5, v0
	v_and_b32_e32 v67, 31, v0
	v_and_b32_e32 v75, 1, v0
	v_lshlrev_b32_e32 v1, 3, v66
	v_cmp_gt_u32_e64 s2, 8, v66
	v_bfe_u32 v74, v0, 4, 1
	s_lshl_b32 s31, s15, 4
	s_delay_alu instid0(VALU_DEP_3) | instskip(NEXT) | instid1(VALU_DEP_3)
	v_lshlrev_b32_e32 v73, 1, v1
	s_and_b32 s7, vcc_lo, s2
	s_delay_alu instid0(SALU_CYCLE_1)
	s_and_saveexec_b32 s6, s7
	s_cbranch_execz .LBB1501_10
; %bb.9:
	v_lshl_or_b32 v5, v65, 1, v74
	s_load_b64 s[8:9], s[0:1], 0x0
	s_waitcnt lgkmcnt(0)
	s_mul_hi_i32 s11, s3, s16
	s_mul_i32 s10, s3, s16
	v_lshlrev_b32_e32 v6, 10, v66
	v_or_b32_e32 v1, s31, v5
	s_lshl_b64 s[10:11], s[10:11], 1
	v_lshlrev_b32_e32 v5, 6, v5
	v_lshlrev_b32_e32 v7, 10, v75
	v_and_b32_e32 v6, 0x3800, v6
	v_lshlrev_b32_e32 v1, 6, v1
	s_delay_alu instid0(VALU_DEP_2) | instskip(NEXT) | instid1(VALU_DEP_2)
	v_or3_b32 v5, v6, v7, v5
	v_ashrrev_i32_e32 v2, 31, v1
	s_delay_alu instid0(VALU_DEP_1) | instskip(SKIP_2) | instid1(VALU_DEP_1)
	v_lshlrev_b64 v[1:2], 1, v[1:2]
	s_add_u32 s3, s8, s10
	s_addc_u32 s7, s9, s11
	v_add_co_u32 v1, vcc_lo, s3, v1
	s_delay_alu instid0(VALU_DEP_2) | instskip(NEXT) | instid1(VALU_DEP_2)
	v_add_co_ci_u32_e32 v2, vcc_lo, s7, v2, vcc_lo
	v_add_co_u32 v1, vcc_lo, v1, v73
	s_delay_alu instid0(VALU_DEP_2)
	v_add_co_ci_u32_e32 v2, vcc_lo, 0, v2, vcc_lo
	global_load_b128 v[1:4], v[1:2], off
	s_waitcnt vmcnt(0)
	ds_store_b128 v5, v[1:4]
.LBB1501_10:
	s_or_b32 exec_lo, exec_lo, s6
	v_and_b32_e32 v1, 0xef, v0
	s_waitcnt lgkmcnt(0)
	s_add_i32 s3, s24, 31
	s_clause 0x1
	s_load_b32 s6, s[0:1], 0x38
	s_load_b32 s19, s[0:1], 0x1c
	s_ashr_i32 s7, s3, 31
	v_add_nc_u32_e32 v1, s12, v1
	s_lshr_b32 s7, s7, 27
	s_waitcnt lgkmcnt(0)
	s_add_i32 s3, s3, s7
	s_barrier
	v_ashrrev_i32_e32 v2, 31, v1
	v_or_b32_e32 v3, 16, v1
	s_ashr_i32 s3, s3, 5
	v_cmp_gt_i32_e32 vcc_lo, s24, v1
	s_add_i32 s3, s3, -1
	v_lshrrev_b32_e32 v2, 27, v2
	buffer_gl0_inv
	s_mul_i32 s27, s15, s18
	v_add_nc_u32_e32 v4, v1, v2
	s_mul_i32 s6, s30, s6
	s_delay_alu instid0(SALU_CYCLE_1) | instskip(NEXT) | instid1(VALU_DEP_1)
	s_ashr_i32 s7, s6, 31
	v_ashrrev_i32_e32 v4, 5, v4
	v_add_nc_u32_e32 v2, v3, v2
	s_lshl_b64 s[6:7], s[6:7], 2
	s_delay_alu instid0(SALU_CYCLE_1) | instskip(NEXT) | instid1(VALU_DEP_2)
	s_add_u32 s26, s4, s6
	v_cndmask_b32_e32 v1, s3, v4, vcc_lo
	s_delay_alu instid0(VALU_DEP_2)
	v_ashrrev_i32_e32 v2, 5, v2
	v_cmp_gt_i32_e32 vcc_lo, s24, v3
	s_addc_u32 s25, s5, s7
	s_ashr_i32 s28, s27, 31
	s_add_u32 s4, s20, s27
	s_addc_u32 s5, s21, s28
	v_cndmask_b32_e32 v3, s3, v2, vcc_lo
	v_ashrrev_i32_e32 v2, 31, v1
	s_lshl_b32 s6, s14, 3
	s_delay_alu instid0(SALU_CYCLE_1) | instskip(NEXT) | instid1(VALU_DEP_2)
	s_ashr_i32 s7, s6, 31
	v_ashrrev_i32_e32 v4, 31, v3
	s_delay_alu instid0(VALU_DEP_2) | instskip(SKIP_1) | instid1(SALU_CYCLE_1)
	v_lshlrev_b64 v[1:2], 2, v[1:2]
	s_lshl_b64 s[6:7], s[6:7], 2
	s_add_u32 s6, s26, s6
	s_delay_alu instid0(VALU_DEP_2) | instskip(SKIP_1) | instid1(VALU_DEP_2)
	v_lshlrev_b64 v[3:4], 2, v[3:4]
	s_addc_u32 s7, s25, s7
	v_add_co_u32 v1, vcc_lo, s26, v1
	v_add_co_ci_u32_e32 v2, vcc_lo, s25, v2, vcc_lo
	s_delay_alu instid0(VALU_DEP_3) | instskip(NEXT) | instid1(VALU_DEP_4)
	v_add_co_u32 v3, vcc_lo, s26, v3
	v_add_co_ci_u32_e32 v4, vcc_lo, s25, v4, vcc_lo
	s_clause 0x1
	global_load_b32 v5, v[1:2], off
	global_load_b32 v6, v[3:4], off
	s_or_b32 s8, s12, 32
	s_delay_alu instid0(SALU_CYCLE_1) | instskip(SKIP_2) | instid1(SALU_CYCLE_1)
	s_ashr_i32 s9, s8, 5
	s_cmp_lt_i32 s8, s24
	s_cselect_b32 s8, s9, s3
	s_ashr_i32 s9, s8, 31
	s_delay_alu instid0(SALU_CYCLE_1) | instskip(NEXT) | instid1(SALU_CYCLE_1)
	s_lshl_b64 s[8:9], s[8:9], 2
	s_add_u32 s8, s26, s8
	s_addc_u32 s9, s25, s9
	s_or_b32 s10, s12, 64
	s_delay_alu instid0(SALU_CYCLE_1) | instskip(SKIP_2) | instid1(SALU_CYCLE_1)
	s_ashr_i32 s11, s10, 5
	s_cmp_lt_i32 s10, s24
	s_cselect_b32 s10, s11, s3
	s_ashr_i32 s11, s10, 31
	s_delay_alu instid0(SALU_CYCLE_1) | instskip(NEXT) | instid1(SALU_CYCLE_1)
	s_lshl_b64 s[10:11], s[10:11], 2
	s_add_u32 s10, s26, s10
	s_addc_u32 s11, s25, s11
	;; [unrolled: 10-line block ×5, first 2 shown]
	s_clause 0x5
	s_load_b32 s21, s[6:7], 0x0
	s_load_b32 s13, s[8:9], 0x0
	;; [unrolled: 1-line block ×6, first 2 shown]
	s_or_b32 s6, s12, 0xc0
	s_delay_alu instid0(SALU_CYCLE_1) | instskip(SKIP_2) | instid1(SALU_CYCLE_1)
	s_ashr_i32 s7, s6, 5
	s_cmp_lt_i32 s6, s24
	s_cselect_b32 s10, s7, s3
	s_ashr_i32 s11, s10, 31
	s_delay_alu instid0(SALU_CYCLE_1) | instskip(NEXT) | instid1(SALU_CYCLE_1)
	s_lshl_b64 s[10:11], s[10:11], 2
	s_add_u32 s34, s26, s10
	s_addc_u32 s35, s25, s11
	s_or_b32 s11, s12, 0xe0
	s_delay_alu instid0(SALU_CYCLE_1) | instskip(SKIP_2) | instid1(SALU_CYCLE_1)
	s_ashr_i32 s29, s11, 5
	s_cmp_lt_i32 s11, s24
	s_cselect_b32 s36, s29, s3
	s_ashr_i32 s37, s36, 31
	s_waitcnt vmcnt(1)
	v_mad_i64_i32 v[1:2], null, v5, s17, s[4:5]
	s_waitcnt vmcnt(0)
	v_mad_i64_i32 v[3:4], null, v6, s17, s[4:5]
	s_mov_b32 s4, 0
	s_delay_alu instid0(SALU_CYCLE_1)
	s_mov_b32 s5, s4
	s_mov_b32 s6, s4
	;; [unrolled: 1-line block ×7, first 2 shown]
	s_delay_alu instid0(SALU_CYCLE_1) | instskip(SKIP_2) | instid1(VALU_DEP_3)
	v_dual_mov_b32 v108, s11 :: v_dual_lshlrev_b32 v5, 4, v66
	v_mov_b32_e32 v104, s7
	v_dual_mov_b32 v105, s8 :: v_dual_lshlrev_b32 v76, 6, v66
	v_add_co_u32 v1, vcc_lo, v1, v5
	v_add_co_ci_u32_e32 v2, vcc_lo, 0, v2, vcc_lo
	v_add_co_u32 v3, vcc_lo, v3, v5
	v_add_co_ci_u32_e32 v4, vcc_lo, 0, v4, vcc_lo
	s_clause 0x7
	global_load_b128 v[49:52], v[1:2], off
	global_load_b128 v[53:56], v[1:2], off offset:512
	global_load_b128 v[77:80], v[3:4], off offset:256
	;; [unrolled: 1-line block ×7, first 2 shown]
	v_dual_mov_b32 v102, s5 :: v_dual_lshlrev_b32 v1, 5, v66
	v_dual_mov_b32 v107, s10 :: v_dual_mov_b32 v106, s9
	v_mov_b32_e32 v103, s6
	v_mov_b32_e32 v101, s4
	s_lshl_b64 s[4:5], s[36:37], 2
	v_lshl_or_b32 v1, v65, 9, v1
	s_add_u32 s4, s26, s4
	s_addc_u32 s5, s25, s5
	s_load_b32 s3, s[34:35], 0x0
	ds_load_b128 v[109:112], v76
	ds_load_b128 v[113:116], v76 offset:1024
	s_load_b32 s4, s[4:5], 0x0
	s_add_u32 s6, s22, s27
	s_addc_u32 s7, s23, s28
	v_add_co_u32 v9, s6, s6, v1
	s_delay_alu instid0(VALU_DEP_1) | instskip(SKIP_1) | instid1(VALU_DEP_1)
	v_add_co_ci_u32_e64 v10, null, s7, 0, s6
	s_waitcnt lgkmcnt(0)
	v_mad_i64_i32 v[1:2], null, s21, s17, v[9:10]
	v_mad_i64_i32 v[3:4], null, s13, s17, v[9:10]
	;; [unrolled: 1-line block ×7, first 2 shown]
	s_clause 0x9
	global_load_b128 v[57:60], v[1:2], off
	global_load_b128 v[61:64], v[1:2], off offset:16
	global_load_b128 v[41:44], v[3:4], off
	global_load_b128 v[45:48], v[3:4], off offset:16
	;; [unrolled: 2-line block ×5, first 2 shown]
	v_mad_i64_i32 v[68:69], null, s4, s17, v[9:10]
	s_clause 0x3
	global_load_b128 v[9:12], v[13:14], off
	global_load_b128 v[13:16], v[13:14], off offset:16
	global_load_b128 v[17:20], v[21:22], off
	global_load_b128 v[21:24], v[21:22], off offset:16
	s_waitcnt vmcnt(20)
	v_wmma_f32_16x16x16_bf16 v[117:124], v[49:56], v[109:116], v[101:108]
	s_clause 0x1
	global_load_b128 v[49:52], v[68:69], off
	global_load_b128 v[53:56], v[68:69], off offset:16
	v_and_b32_e32 v68, 0xe0, v0
	v_mbcnt_lo_u32_b32 v69, -1, 0
	s_delay_alu instid0(VALU_DEP_2)
	v_add_nc_u32_e32 v68, s12, v68
	s_waitcnt vmcnt(20)
	v_wmma_f32_16x16x16_bf16 v[101:108], v[77:84], v[109:116], v[101:108]
	ds_load_b128 v[77:80], v76 offset:2048
	ds_load_b128 v[81:84], v76 offset:3072
	v_xor_b32_e32 v70, 16, v69
	s_waitcnt vmcnt(0) lgkmcnt(0)
	v_or_b32_e32 v68, v68, v74
	s_barrier
	buffer_gl0_inv
	v_cmp_gt_i32_e32 vcc_lo, 32, v70
	v_or_b32_e32 v71, 4, v68
	v_or_b32_e32 v72, 6, v68
	v_cmp_gt_i32_e64 s3, s24, v68
	v_or_b32_e32 v109, 8, v68
	s_delay_alu instid0(VALU_DEP_4) | instskip(NEXT) | instid1(VALU_DEP_4)
	v_cmp_gt_i32_e64 s4, s24, v71
	v_cmp_gt_i32_e64 s5, s24, v72
	s_delay_alu instid0(VALU_DEP_3)
	v_cmp_gt_i32_e64 s6, s24, v109
	v_wmma_f32_16x16x16_bf16 v[117:124], v[85:92], v[77:84], v[117:124]
	v_cndmask_b32_e32 v69, v69, v70, vcc_lo
	v_or_b32_e32 v70, 2, v68
	v_wmma_f32_16x16x16_bf16 v[101:108], v[93:100], v[77:84], v[101:108]
	v_or_b32_e32 v85, 10, v68
	v_dual_mul_f32 v80, s19, v124 :: v_dual_mul_f32 v93, s19, v119
	v_dual_mul_f32 v94, s19, v118 :: v_dual_mul_f32 v95, s19, v117
	s_delay_alu instid0(VALU_DEP_4) | instskip(SKIP_2) | instid1(VALU_DEP_4)
	v_mul_f32_e32 v96, s19, v108
	v_cmp_gt_i32_e32 vcc_lo, s24, v70
	v_dual_mul_f32 v83, s19, v121 :: v_dual_mul_f32 v84, s19, v120
	v_cndmask_b32_e64 v95, 0xff7fffff, v95, s3
	v_or_b32_e32 v86, 12, v68
	v_cndmask_b32_e32 v94, 0xff7fffff, v94, vcc_lo
	v_or_b32_e32 v87, 14, v68
	v_dual_mul_f32 v81, s19, v123 :: v_dual_mul_f32 v82, s19, v122
	v_cndmask_b32_e64 v93, 0xff7fffff, v93, s4
	v_cndmask_b32_e64 v72, 0xff7fffff, v84, s5
	v_max3_f32 v84, v95, 0xff7fffff, v94
	v_cmp_gt_i32_e64 s7, s24, v85
	v_or_b32_e32 v88, 16, v68
	v_or_b32_e32 v89, 18, v68
	v_cndmask_b32_e64 v83, 0xff7fffff, v83, s6
	v_max3_f32 v72, v84, v93, v72
	v_cndmask_b32_e64 v82, 0xff7fffff, v82, s7
	v_cmp_gt_i32_e64 s8, s24, v86
	v_cmp_gt_i32_e64 s9, s24, v87
	v_or_b32_e32 v90, 20, v68
	v_or_b32_e32 v91, 22, v68
	;; [unrolled: 1-line block ×6, first 2 shown]
	v_dual_mul_f32 v70, s19, v103 :: v_dual_mul_f32 v71, s19, v101
	v_mul_f32_e32 v68, s19, v102
	v_cndmask_b32_e64 v81, 0xff7fffff, v81, s8
	v_cndmask_b32_e64 v80, 0xff7fffff, v80, s9
	v_max3_f32 v72, v72, v83, v82
	v_cmp_gt_i32_e64 s10, s24, v88
	v_cmp_gt_i32_e64 s11, s24, v89
	v_dual_mul_f32 v99, s19, v105 :: v_dual_mul_f32 v100, s19, v104
	s_delay_alu instid0(VALU_DEP_4) | instskip(NEXT) | instid1(VALU_DEP_4)
	v_max3_f32 v72, v72, v81, v80
	v_cndmask_b32_e64 v71, 0xff7fffff, v71, s10
	s_delay_alu instid0(VALU_DEP_4) | instskip(SKIP_3) | instid1(VALU_DEP_4)
	v_cndmask_b32_e64 v68, 0xff7fffff, v68, s11
	v_cmp_gt_i32_e64 s12, s24, v90
	v_cmp_gt_i32_e64 s13, s24, v91
	v_dual_mul_f32 v97, s19, v107 :: v_dual_mul_f32 v98, s19, v106
	v_max3_f32 v68, v72, v71, v68
	s_delay_alu instid0(VALU_DEP_4) | instskip(NEXT) | instid1(VALU_DEP_4)
	v_cndmask_b32_e64 v70, 0xff7fffff, v70, s12
	v_cndmask_b32_e64 v80, 0xff7fffff, v100, s13
	v_cmp_gt_i32_e64 s15, s24, v92
	v_cmp_gt_i32_e64 s16, s24, v77
	;; [unrolled: 1-line block ×4, first 2 shown]
	v_max3_f32 v68, v68, v70, v80
	v_cndmask_b32_e64 v71, 0xff7fffff, v99, s15
	v_cndmask_b32_e64 v72, 0xff7fffff, v98, s16
	;; [unrolled: 1-line block ×4, first 2 shown]
	v_lshlrev_b32_e32 v90, 2, v69
	s_delay_alu instid0(VALU_DEP_4) | instskip(NEXT) | instid1(VALU_DEP_1)
	v_max3_f32 v68, v68, v71, v72
	v_max3_f32 v68, v68, v70, v77
	ds_bpermute_b32 v69, v90, v68
	s_waitcnt lgkmcnt(0)
	v_max_f32_e32 v69, v69, v69
	s_delay_alu instid0(VALU_DEP_1) | instskip(NEXT) | instid1(VALU_DEP_1)
	v_max_f32_e32 v81, v68, v69
	v_fma_f32 v68, s19, v117, -v81
	v_fma_f32 v69, s19, v118, -v81
	;; [unrolled: 1-line block ×5, first 2 shown]
	s_delay_alu instid0(VALU_DEP_4) | instskip(NEXT) | instid1(VALU_DEP_3)
	v_dual_mul_f32 v68, 0x3fb8aa3b, v68 :: v_dual_mul_f32 v69, 0x3fb8aa3b, v69
	v_dual_mul_f32 v70, 0x3fb8aa3b, v70 :: v_dual_mul_f32 v71, 0x3fb8aa3b, v71
	v_fma_f32 v78, s19, v123, -v81
	s_delay_alu instid0(VALU_DEP_3) | instskip(NEXT) | instid1(VALU_DEP_3)
	v_exp_f32_e32 v68, v68
	v_exp_f32_e32 v69, v69
	s_delay_alu instid0(VALU_DEP_2)
	v_exp_f32_e32 v70, v70
	v_mul_f32_e32 v72, 0x3fb8aa3b, v72
	v_exp_f32_e32 v71, v71
	v_mul_f32_e32 v78, 0x3fb8aa3b, v78
	v_fma_f32 v80, s19, v106, -v81
	v_cndmask_b32_e64 v82, 0, v68, s3
	s_delay_alu instid0(TRANS32_DEP_3) | instskip(SKIP_2) | instid1(TRANS32_DEP_3)
	v_cndmask_b32_e32 v77, 0, v69, vcc_lo
	v_fma_f32 v68, s19, v122, -v81
	v_exp_f32_e32 v72, v72
	v_cndmask_b32_e64 v83, 0, v70, s4
	v_add_f32_e32 v69, 0, v82
	v_fma_f32 v70, s19, v124, -v81
	v_mul_f32_e32 v68, 0x3fb8aa3b, v68
	v_cndmask_b32_e64 v85, 0, v71, s5
	v_fma_f32 v71, s19, v101, -v81
	s_delay_alu instid0(VALU_DEP_4) | instskip(NEXT) | instid1(VALU_DEP_4)
	v_dual_add_f32 v69, v69, v77 :: v_dual_mul_f32 v70, 0x3fb8aa3b, v70
	v_exp_f32_e32 v68, v68
	s_delay_alu instid0(TRANS32_DEP_2) | instskip(SKIP_1) | instid1(VALU_DEP_3)
	v_cndmask_b32_e64 v86, 0, v72, s6
	v_fma_f32 v72, s19, v102, -v81
	v_add_f32_e32 v69, v69, v83
	v_exp_f32_e32 v78, v78
	v_exp_f32_e32 v70, v70
	s_mov_b32 s3, exec_lo
	s_delay_alu instid0(VALU_DEP_1) | instskip(SKIP_1) | instid1(TRANS32_DEP_3)
	v_dual_mul_f32 v72, 0x3fb8aa3b, v72 :: v_dual_add_f32 v69, v69, v85
	v_mul_f32_e32 v71, 0x3fb8aa3b, v71
	v_cndmask_b32_e64 v87, 0, v68, s7
	s_delay_alu instid0(VALU_DEP_3) | instskip(NEXT) | instid1(VALU_DEP_3)
	v_exp_f32_e32 v72, v72
	v_add_f32_e32 v68, v69, v86
	v_fma_f32 v69, s19, v103, -v81
	v_exp_f32_e32 v71, v71
	v_cndmask_b32_e64 v84, 0, v78, s8
	v_fma_f32 v78, s19, v104, -v81
	s_delay_alu instid0(VALU_DEP_3) | instskip(SKIP_2) | instid1(VALU_DEP_3)
	v_dual_add_f32 v68, v68, v87 :: v_dual_mul_f32 v69, 0x3fb8aa3b, v69
	v_cndmask_b32_e64 v88, 0, v70, s9
	v_fma_f32 v70, s19, v105, -v81
	v_exp_f32_e32 v79, v69
	s_delay_alu instid0(TRANS32_DEP_2) | instskip(SKIP_1) | instid1(VALU_DEP_1)
	v_cndmask_b32_e64 v69, 0, v71, s10
	v_add_f32_e32 v68, v68, v84
	v_dual_mul_f32 v78, 0x3fb8aa3b, v78 :: v_dual_add_f32 v71, v68, v88
	s_delay_alu instid0(VALU_DEP_1) | instskip(SKIP_2) | instid1(VALU_DEP_3)
	v_exp_f32_e32 v78, v78
	v_cndmask_b32_e64 v68, 0, v72, s11
	v_fma_f32 v72, s19, v107, -v81
	v_dual_add_f32 v71, v71, v69 :: v_dual_mul_f32 v70, 0x3fb8aa3b, v70
	s_delay_alu instid0(VALU_DEP_1) | instskip(NEXT) | instid1(TRANS32_DEP_3)
	v_exp_f32_e32 v89, v70
	v_cndmask_b32_e64 v70, 0, v79, s12
	s_delay_alu instid0(VALU_DEP_2) | instskip(NEXT) | instid1(TRANS32_DEP_2)
	v_add_f32_e32 v79, v71, v68
	v_cndmask_b32_e64 v71, 0, v78, s13
	s_delay_alu instid0(VALU_DEP_2) | instskip(SKIP_2) | instid1(VALU_DEP_1)
	v_add_f32_e32 v78, v79, v70
	v_mul_f32_e32 v80, 0x3fb8aa3b, v80
	v_fma_f32 v79, s19, v108, -v81
	v_dual_mul_f32 v72, 0x3fb8aa3b, v72 :: v_dual_mul_f32 v79, 0x3fb8aa3b, v79
	s_delay_alu instid0(VALU_DEP_1) | instskip(NEXT) | instid1(TRANS32_DEP_2)
	v_exp_f32_e32 v91, v72
	v_cndmask_b32_e64 v72, 0, v89, s15
	v_add_f32_e32 v89, v78, v71
	v_exp_f32_e32 v80, v80
	s_waitcnt_depctr 0xfff
	v_cndmask_b32_e64 v78, 0, v80, s16
	v_add_f32_e32 v80, v89, v72
	v_exp_f32_e32 v89, v79
	v_cndmask_b32_e64 v79, 0, v91, s17
	s_delay_alu instid0(VALU_DEP_2) | instskip(NEXT) | instid1(VALU_DEP_1)
	v_add_f32_e32 v80, v80, v78
	v_add_f32_e32 v91, v80, v79
	s_waitcnt_depctr 0xfff
	v_cndmask_b32_e64 v80, 0, v89, s18
	s_delay_alu instid0(VALU_DEP_1)
	v_add_f32_e32 v89, v91, v80
	ds_bpermute_b32 v90, v90, v89
	v_cmpx_gt_u32_e32 16, v67
	s_cbranch_execz .LBB1501_12
; %bb.11:
	v_mul_u32_u24_e32 v67, 0x44, v65
	s_waitcnt lgkmcnt(0)
	v_add_f32_e32 v89, v89, v90
	s_delay_alu instid0(VALU_DEP_2) | instskip(NEXT) | instid1(VALU_DEP_1)
	v_lshl_add_u32 v67, v66, 2, v67
	v_add_nc_u32_e32 v67, 0x4000, v67
	ds_store_2addr_b32 v67, v81, v89 offset1:136
.LBB1501_12:
	s_or_b32 exec_lo, exec_lo, s3
	v_lshlrev_b32_e32 v66, 2, v66
	s_waitcnt lgkmcnt(0)
	s_barrier
	buffer_gl0_inv
	v_cmp_eq_u32_e32 vcc_lo, 1, v65
	v_add_nc_u32_e32 v81, 0x4000, v66
	v_cmp_eq_u32_e64 s3, 2, v65
	v_cmp_eq_u32_e64 s5, 7, v65
	ds_load_2addr_b32 v[89:90], v81 offset1:17
	ds_load_2addr_b32 v[91:92], v81 offset0:34 offset1:51
	ds_load_2addr_b32 v[93:94], v81 offset0:68 offset1:85
	;; [unrolled: 1-line block ×4, first 2 shown]
	s_waitcnt lgkmcnt(4)
	v_max3_f32 v66, v89, 0xff7fffff, v90
	s_waitcnt lgkmcnt(3)
	s_delay_alu instid0(VALU_DEP_1) | instskip(SKIP_1) | instid1(VALU_DEP_1)
	v_max3_f32 v66, v66, v91, v92
	s_waitcnt lgkmcnt(2)
	v_max3_f32 v66, v66, v93, v94
	s_waitcnt lgkmcnt(1)
	s_delay_alu instid0(VALU_DEP_1) | instskip(NEXT) | instid1(VALU_DEP_1)
	v_max3_f32 v66, v66, v95, v96
	v_sub_f32_e32 v67, v89, v66
	v_sub_f32_e32 v91, v91, v66
	;; [unrolled: 1-line block ×3, first 2 shown]
	s_delay_alu instid0(VALU_DEP_3) | instskip(NEXT) | instid1(VALU_DEP_3)
	v_mul_f32_e32 v67, 0x3fb8aa3b, v67
	v_mul_f32_e32 v101, 0x3fb8aa3b, v91
	s_delay_alu instid0(VALU_DEP_3) | instskip(NEXT) | instid1(VALU_DEP_3)
	v_mul_f32_e32 v103, 0x3fb8aa3b, v93
	v_exp_f32_e32 v100, v67
	v_sub_f32_e32 v67, v92, v66
	v_sub_f32_e32 v99, v90, v66
	ds_load_2addr_b32 v[89:90], v81 offset0:170 offset1:187
	ds_load_2addr_b32 v[91:92], v81 offset0:204 offset1:221
	v_exp_f32_e32 v101, v101
	v_mul_f32_e32 v102, 0x3fb8aa3b, v67
	v_mul_f32_e32 v99, 0x3fb8aa3b, v99
	s_waitcnt lgkmcnt(2)
	v_fma_f32 v67, v100, v97, 0
	v_sub_f32_e32 v97, v94, v66
	s_delay_alu instid0(VALU_DEP_3)
	v_exp_f32_e32 v99, v99
	v_exp_f32_e32 v102, v102
	ds_load_2addr_b32 v[93:94], v81 offset0:238 offset1:255
	v_sub_f32_e32 v81, v95, v66
	v_mul_f32_e32 v95, 0x3fb8aa3b, v97
	v_exp_f32_e32 v97, v103
	s_waitcnt lgkmcnt(0)
	s_barrier
	v_mul_f32_e32 v81, 0x3fb8aa3b, v81
	v_exp_f32_e32 v95, v95
	v_fmac_f32_e32 v67, v99, v98
	buffer_gl0_inv
	v_exp_f32_e32 v81, v81
	v_fmac_f32_e32 v67, v101, v89
	v_sub_f32_e32 v89, v96, v66
	s_delay_alu instid0(VALU_DEP_2) | instskip(NEXT) | instid1(VALU_DEP_2)
	v_fmac_f32_e32 v67, v102, v90
	v_mul_f32_e32 v89, 0x3fb8aa3b, v89
	s_delay_alu instid0(VALU_DEP_2) | instskip(NEXT) | instid1(VALU_DEP_2)
	v_fmac_f32_e32 v67, v97, v91
	v_exp_f32_e32 v89, v89
	s_delay_alu instid0(VALU_DEP_1)
	v_fmac_f32_e32 v67, v95, v92
	s_delay_alu instid0(TRANS32_DEP_2) | instid1(VALU_DEP_1)
	v_fmac_f32_e32 v67, v81, v93
	s_waitcnt_depctr 0xfff
	v_fmac_f32_e32 v67, v89, v94
	s_delay_alu instid0(VALU_DEP_1) | instskip(NEXT) | instid1(VALU_DEP_1)
	v_add_f32_e32 v90, 0x358637bd, v67
	v_div_scale_f32 v91, null, v90, v90, 1.0
	v_div_scale_f32 v94, s4, 1.0, v90, 1.0
	s_delay_alu instid0(VALU_DEP_2) | instskip(SKIP_2) | instid1(VALU_DEP_1)
	v_rcp_f32_e32 v92, v91
	s_waitcnt_depctr 0xfff
	v_fma_f32 v93, -v91, v92, 1.0
	v_dual_fmac_f32 v92, v93, v92 :: v_dual_cndmask_b32 v93, v100, v99
	v_cmp_eq_u32_e32 vcc_lo, 3, v65
	s_delay_alu instid0(VALU_DEP_2) | instskip(NEXT) | instid1(VALU_DEP_3)
	v_mul_f32_e32 v96, v94, v92
	v_cndmask_b32_e64 v93, v93, v101, s3
	v_cmp_eq_u32_e64 s3, 4, v65
	s_delay_alu instid0(VALU_DEP_3) | instskip(NEXT) | instid1(VALU_DEP_3)
	v_fma_f32 v98, -v91, v96, v94
	v_cndmask_b32_e32 v93, v93, v102, vcc_lo
	v_cmp_eq_u32_e32 vcc_lo, 5, v65
	s_delay_alu instid0(VALU_DEP_3) | instskip(NEXT) | instid1(VALU_DEP_3)
	v_fmac_f32_e32 v96, v98, v92
	v_cndmask_b32_e64 v93, v93, v97, s3
	v_cmp_eq_u32_e64 s3, 6, v65
	s_delay_alu instid0(VALU_DEP_3) | instskip(NEXT) | instid1(VALU_DEP_3)
	v_fma_f32 v91, -v91, v96, v94
	v_cndmask_b32_e32 v93, v93, v95, vcc_lo
	s_mov_b32 vcc_lo, s4
	s_delay_alu instid0(VALU_DEP_2) | instskip(NEXT) | instid1(VALU_DEP_2)
	v_div_fmas_f32 v91, v91, v92, v96
	v_cndmask_b32_e64 v81, v93, v81, s3
	s_mov_b32 s3, exec_lo
	s_delay_alu instid0(VALU_DEP_2) | instskip(NEXT) | instid1(VALU_DEP_2)
	v_div_fixup_f32 v90, v91, v90, 1.0
	v_cndmask_b32_e64 v81, v81, v89, s5
	s_delay_alu instid0(VALU_DEP_1) | instskip(NEXT) | instid1(VALU_DEP_1)
	v_mul_f32_e32 v81, v81, v90
	v_mul_f32_e32 v90, v81, v82
	;; [unrolled: 1-line block ×6, first 2 shown]
	v_dual_mul_f32 v86, v81, v83 :: v_dual_and_b32 v91, 0x7f800000, v90
	v_mul_f32_e32 v89, v81, v85
	v_mul_f32_e32 v85, v81, v77
                                        ; implicit-def: $vgpr77
	s_delay_alu instid0(VALU_DEP_3)
	v_cmpx_ne_u32_e32 0x7f800000, v91
	s_xor_b32 s3, exec_lo, s3
; %bb.13:
	v_bfe_u32 v77, v90, 16, 1
	s_delay_alu instid0(VALU_DEP_1)
	v_add3_u32 v77, v90, v77, 0x7fff
                                        ; implicit-def: $vgpr90
; %bb.14:
	s_and_not1_saveexec_b32 s3, s3
; %bb.15:
	v_and_b32_e32 v77, 0xffff, v90
	v_or_b32_e32 v83, 0x10000, v90
	s_delay_alu instid0(VALU_DEP_2) | instskip(NEXT) | instid1(VALU_DEP_2)
	v_cmp_eq_u32_e32 vcc_lo, 0, v77
	v_cndmask_b32_e32 v77, v83, v90, vcc_lo
; %bb.16:
	s_or_b32 exec_lo, exec_lo, s3
	v_and_b32_e32 v83, 0x7f800000, v85
	s_delay_alu instid0(VALU_DEP_1) | instskip(SKIP_1) | instid1(SALU_CYCLE_1)
	v_cmp_ne_u32_e32 vcc_lo, 0x7f800000, v83
                                        ; implicit-def: $vgpr83
	s_and_saveexec_b32 s3, vcc_lo
	s_xor_b32 s3, exec_lo, s3
; %bb.17:
	v_bfe_u32 v83, v85, 16, 1
	s_delay_alu instid0(VALU_DEP_1)
	v_add3_u32 v83, v85, v83, 0x7fff
                                        ; implicit-def: $vgpr85
; %bb.18:
	s_and_not1_saveexec_b32 s3, s3
; %bb.19:
	v_and_b32_e32 v83, 0xffff, v85
	v_or_b32_e32 v90, 0x10000, v85
	s_delay_alu instid0(VALU_DEP_2) | instskip(NEXT) | instid1(VALU_DEP_2)
	v_cmp_eq_u32_e32 vcc_lo, 0, v83
	v_cndmask_b32_e32 v83, v90, v85, vcc_lo
; %bb.20:
	s_or_b32 exec_lo, exec_lo, s3
	v_and_b32_e32 v85, 0x7f800000, v86
	s_delay_alu instid0(VALU_DEP_1) | instskip(SKIP_1) | instid1(SALU_CYCLE_1)
	v_cmp_ne_u32_e32 vcc_lo, 0x7f800000, v85
                                        ; implicit-def: $vgpr85
	s_and_saveexec_b32 s3, vcc_lo
	s_xor_b32 s3, exec_lo, s3
; %bb.21:
	v_bfe_u32 v85, v86, 16, 1
	s_delay_alu instid0(VALU_DEP_1)
	v_add3_u32 v85, v86, v85, 0x7fff
                                        ; implicit-def: $vgpr86
; %bb.22:
	s_and_not1_saveexec_b32 s3, s3
; %bb.23:
	v_and_b32_e32 v85, 0xffff, v86
	v_or_b32_e32 v90, 0x10000, v86
	s_delay_alu instid0(VALU_DEP_2) | instskip(NEXT) | instid1(VALU_DEP_2)
	v_cmp_eq_u32_e32 vcc_lo, 0, v85
	v_cndmask_b32_e32 v85, v90, v86, vcc_lo
; %bb.24:
	s_or_b32 exec_lo, exec_lo, s3
	v_and_b32_e32 v86, 0x7f800000, v89
	s_delay_alu instid0(VALU_DEP_1) | instskip(SKIP_1) | instid1(SALU_CYCLE_1)
	v_cmp_ne_u32_e32 vcc_lo, 0x7f800000, v86
                                        ; implicit-def: $vgpr86
	s_and_saveexec_b32 s3, vcc_lo
	s_xor_b32 s3, exec_lo, s3
; %bb.25:
	v_bfe_u32 v86, v89, 16, 1
	s_delay_alu instid0(VALU_DEP_1)
	v_add3_u32 v86, v89, v86, 0x7fff
                                        ; implicit-def: $vgpr89
; %bb.26:
	s_and_not1_saveexec_b32 s3, s3
; %bb.27:
	v_and_b32_e32 v86, 0xffff, v89
	v_or_b32_e32 v90, 0x10000, v89
	s_delay_alu instid0(VALU_DEP_2) | instskip(NEXT) | instid1(VALU_DEP_2)
	v_cmp_eq_u32_e32 vcc_lo, 0, v86
	v_cndmask_b32_e32 v86, v90, v89, vcc_lo
; %bb.28:
	s_or_b32 exec_lo, exec_lo, s3
	v_and_b32_e32 v89, 0x7f800000, v88
	s_delay_alu instid0(VALU_DEP_1) | instskip(SKIP_1) | instid1(SALU_CYCLE_1)
	v_cmp_ne_u32_e32 vcc_lo, 0x7f800000, v89
                                        ; implicit-def: $vgpr89
	s_and_saveexec_b32 s3, vcc_lo
	s_xor_b32 s3, exec_lo, s3
; %bb.29:
	v_bfe_u32 v89, v88, 16, 1
	s_delay_alu instid0(VALU_DEP_1)
	v_add3_u32 v89, v88, v89, 0x7fff
                                        ; implicit-def: $vgpr88
; %bb.30:
	s_and_not1_saveexec_b32 s3, s3
; %bb.31:
	v_and_b32_e32 v89, 0xffff, v88
	v_or_b32_e32 v90, 0x10000, v88
	s_delay_alu instid0(VALU_DEP_2) | instskip(NEXT) | instid1(VALU_DEP_2)
	v_cmp_eq_u32_e32 vcc_lo, 0, v89
	v_cndmask_b32_e32 v89, v90, v88, vcc_lo
; %bb.32:
	s_or_b32 exec_lo, exec_lo, s3
	v_and_b32_e32 v88, 0x7f800000, v87
	s_delay_alu instid0(VALU_DEP_1) | instskip(SKIP_1) | instid1(SALU_CYCLE_1)
	v_cmp_ne_u32_e32 vcc_lo, 0x7f800000, v88
                                        ; implicit-def: $vgpr88
	s_and_saveexec_b32 s3, vcc_lo
	s_xor_b32 s3, exec_lo, s3
; %bb.33:
	v_bfe_u32 v88, v87, 16, 1
	s_delay_alu instid0(VALU_DEP_1)
	v_add3_u32 v88, v87, v88, 0x7fff
                                        ; implicit-def: $vgpr87
; %bb.34:
	s_and_not1_saveexec_b32 s3, s3
; %bb.35:
	v_and_b32_e32 v88, 0xffff, v87
	v_or_b32_e32 v90, 0x10000, v87
	s_delay_alu instid0(VALU_DEP_2) | instskip(NEXT) | instid1(VALU_DEP_2)
	v_cmp_eq_u32_e32 vcc_lo, 0, v88
	v_cndmask_b32_e32 v88, v90, v87, vcc_lo
; %bb.36:
	s_or_b32 exec_lo, exec_lo, s3
	v_and_b32_e32 v87, 0x7f800000, v84
	s_delay_alu instid0(VALU_DEP_1) | instskip(SKIP_1) | instid1(SALU_CYCLE_1)
	v_cmp_ne_u32_e32 vcc_lo, 0x7f800000, v87
                                        ; implicit-def: $vgpr87
	s_and_saveexec_b32 s3, vcc_lo
	s_xor_b32 s3, exec_lo, s3
; %bb.37:
	v_bfe_u32 v87, v84, 16, 1
	s_delay_alu instid0(VALU_DEP_1)
	v_add3_u32 v87, v84, v87, 0x7fff
                                        ; implicit-def: $vgpr84
; %bb.38:
	s_and_not1_saveexec_b32 s3, s3
; %bb.39:
	v_and_b32_e32 v87, 0xffff, v84
	v_or_b32_e32 v90, 0x10000, v84
	s_delay_alu instid0(VALU_DEP_2) | instskip(NEXT) | instid1(VALU_DEP_2)
	v_cmp_eq_u32_e32 vcc_lo, 0, v87
	v_cndmask_b32_e32 v87, v90, v84, vcc_lo
; %bb.40:
	s_or_b32 exec_lo, exec_lo, s3
	v_and_b32_e32 v84, 0x7f800000, v82
	s_delay_alu instid0(VALU_DEP_1) | instskip(SKIP_1) | instid1(SALU_CYCLE_1)
	v_cmp_ne_u32_e32 vcc_lo, 0x7f800000, v84
                                        ; implicit-def: $vgpr84
	s_and_saveexec_b32 s3, vcc_lo
	s_xor_b32 s3, exec_lo, s3
; %bb.41:
	v_bfe_u32 v84, v82, 16, 1
	s_delay_alu instid0(VALU_DEP_1)
	v_add3_u32 v84, v82, v84, 0x7fff
                                        ; implicit-def: $vgpr82
; %bb.42:
	s_and_not1_saveexec_b32 s3, s3
; %bb.43:
	v_and_b32_e32 v84, 0xffff, v82
	v_or_b32_e32 v90, 0x10000, v82
	s_delay_alu instid0(VALU_DEP_2) | instskip(NEXT) | instid1(VALU_DEP_2)
	v_cmp_eq_u32_e32 vcc_lo, 0, v84
	v_cndmask_b32_e32 v84, v90, v82, vcc_lo
; %bb.44:
	s_or_b32 exec_lo, exec_lo, s3
	s_load_b64 s[34:35], s[0:1], 0x94
	v_lshlrev_b32_e32 v82, 4, v74
	s_delay_alu instid0(VALU_DEP_2)
	v_perm_b32 v90, v84, v87, 0x7060302
	v_lshlrev_b32_e32 v84, 11, v65
	v_perm_b32 v87, v83, v77, 0x7060302
	v_mul_f32_e32 v83, v81, v69
	v_mul_f32_e32 v69, v81, v80
	v_perm_b32 v89, v88, v89, 0x7060302
	v_perm_b32 v88, v86, v85, 0x7060302
	v_or3_b32 v77, v82, v84, v76
	v_mul_f32_e32 v79, v81, v79
	v_mul_f32_e32 v78, v81, v78
	v_and_b32_e32 v84, 0x7f800000, v83
	v_mul_f32_e32 v72, v81, v72
	v_mul_f32_e32 v82, v81, v71
	;; [unrolled: 1-line block ×4, first 2 shown]
	s_mov_b32 s3, exec_lo
	ds_store_b128 v77, v[87:90]
                                        ; implicit-def: $vgpr68
	v_cmpx_ne_u32_e32 0x7f800000, v84
	s_xor_b32 s3, exec_lo, s3
; %bb.45:
	v_bfe_u32 v68, v83, 16, 1
	s_delay_alu instid0(VALU_DEP_1)
	v_add3_u32 v68, v83, v68, 0x7fff
                                        ; implicit-def: $vgpr83
; %bb.46:
	s_and_not1_saveexec_b32 s3, s3
; %bb.47:
	v_and_b32_e32 v68, 0xffff, v83
	v_or_b32_e32 v70, 0x10000, v83
	s_delay_alu instid0(VALU_DEP_2) | instskip(NEXT) | instid1(VALU_DEP_2)
	v_cmp_eq_u32_e32 vcc_lo, 0, v68
	v_cndmask_b32_e32 v68, v70, v83, vcc_lo
; %bb.48:
	s_or_b32 exec_lo, exec_lo, s3
	v_and_b32_e32 v70, 0x7f800000, v71
	s_delay_alu instid0(VALU_DEP_1) | instskip(SKIP_1) | instid1(SALU_CYCLE_1)
	v_cmp_ne_u32_e32 vcc_lo, 0x7f800000, v70
                                        ; implicit-def: $vgpr70
	s_and_saveexec_b32 s3, vcc_lo
	s_xor_b32 s3, exec_lo, s3
; %bb.49:
	v_bfe_u32 v70, v71, 16, 1
	s_delay_alu instid0(VALU_DEP_1)
	v_add3_u32 v70, v71, v70, 0x7fff
                                        ; implicit-def: $vgpr71
; %bb.50:
	s_and_not1_saveexec_b32 s3, s3
; %bb.51:
	v_and_b32_e32 v70, 0xffff, v71
	v_or_b32_e32 v81, 0x10000, v71
	s_delay_alu instid0(VALU_DEP_2) | instskip(NEXT) | instid1(VALU_DEP_2)
	v_cmp_eq_u32_e32 vcc_lo, 0, v70
	v_cndmask_b32_e32 v70, v81, v71, vcc_lo
; %bb.52:
	s_or_b32 exec_lo, exec_lo, s3
	v_and_b32_e32 v71, 0x7f800000, v80
	s_delay_alu instid0(VALU_DEP_1) | instskip(SKIP_1) | instid1(SALU_CYCLE_1)
	v_cmp_ne_u32_e32 vcc_lo, 0x7f800000, v71
                                        ; implicit-def: $vgpr71
	s_and_saveexec_b32 s3, vcc_lo
	s_xor_b32 s3, exec_lo, s3
; %bb.53:
	v_bfe_u32 v71, v80, 16, 1
	s_delay_alu instid0(VALU_DEP_1)
	v_add3_u32 v71, v80, v71, 0x7fff
                                        ; implicit-def: $vgpr80
; %bb.54:
	s_and_not1_saveexec_b32 s3, s3
; %bb.55:
	v_and_b32_e32 v71, 0xffff, v80
	v_or_b32_e32 v81, 0x10000, v80
	s_delay_alu instid0(VALU_DEP_2) | instskip(NEXT) | instid1(VALU_DEP_2)
	v_cmp_eq_u32_e32 vcc_lo, 0, v71
	v_cndmask_b32_e32 v71, v81, v80, vcc_lo
; %bb.56:
	s_or_b32 exec_lo, exec_lo, s3
	v_and_b32_e32 v80, 0x7f800000, v82
	s_delay_alu instid0(VALU_DEP_1) | instskip(SKIP_1) | instid1(SALU_CYCLE_1)
	v_cmp_ne_u32_e32 vcc_lo, 0x7f800000, v80
                                        ; implicit-def: $vgpr80
	s_and_saveexec_b32 s3, vcc_lo
	s_xor_b32 s3, exec_lo, s3
; %bb.57:
	v_bfe_u32 v80, v82, 16, 1
	s_delay_alu instid0(VALU_DEP_1)
	v_add3_u32 v80, v82, v80, 0x7fff
                                        ; implicit-def: $vgpr82
; %bb.58:
	s_and_not1_saveexec_b32 s3, s3
; %bb.59:
	v_and_b32_e32 v80, 0xffff, v82
	v_or_b32_e32 v81, 0x10000, v82
	s_delay_alu instid0(VALU_DEP_2) | instskip(NEXT) | instid1(VALU_DEP_2)
	v_cmp_eq_u32_e32 vcc_lo, 0, v80
	v_cndmask_b32_e32 v80, v81, v82, vcc_lo
; %bb.60:
	s_or_b32 exec_lo, exec_lo, s3
	v_and_b32_e32 v81, 0x7f800000, v72
	s_delay_alu instid0(VALU_DEP_1) | instskip(SKIP_1) | instid1(SALU_CYCLE_1)
	v_cmp_ne_u32_e32 vcc_lo, 0x7f800000, v81
                                        ; implicit-def: $vgpr81
	s_and_saveexec_b32 s3, vcc_lo
	s_xor_b32 s3, exec_lo, s3
; %bb.61:
	v_bfe_u32 v81, v72, 16, 1
	s_delay_alu instid0(VALU_DEP_1)
	v_add3_u32 v81, v72, v81, 0x7fff
                                        ; implicit-def: $vgpr72
; %bb.62:
	s_and_not1_saveexec_b32 s3, s3
; %bb.63:
	v_and_b32_e32 v81, 0xffff, v72
	v_or_b32_e32 v82, 0x10000, v72
	s_delay_alu instid0(VALU_DEP_2) | instskip(NEXT) | instid1(VALU_DEP_2)
	v_cmp_eq_u32_e32 vcc_lo, 0, v81
	v_cndmask_b32_e32 v81, v82, v72, vcc_lo
; %bb.64:
	s_or_b32 exec_lo, exec_lo, s3
	v_and_b32_e32 v72, 0x7f800000, v78
	s_delay_alu instid0(VALU_DEP_1) | instskip(SKIP_1) | instid1(SALU_CYCLE_1)
	v_cmp_ne_u32_e32 vcc_lo, 0x7f800000, v72
                                        ; implicit-def: $vgpr72
	s_and_saveexec_b32 s3, vcc_lo
	s_xor_b32 s3, exec_lo, s3
; %bb.65:
	v_bfe_u32 v72, v78, 16, 1
	s_delay_alu instid0(VALU_DEP_1)
	v_add3_u32 v72, v78, v72, 0x7fff
                                        ; implicit-def: $vgpr78
; %bb.66:
	s_and_not1_saveexec_b32 s3, s3
; %bb.67:
	v_and_b32_e32 v72, 0xffff, v78
	v_or_b32_e32 v82, 0x10000, v78
	s_delay_alu instid0(VALU_DEP_2) | instskip(NEXT) | instid1(VALU_DEP_2)
	v_cmp_eq_u32_e32 vcc_lo, 0, v72
	v_cndmask_b32_e32 v72, v82, v78, vcc_lo
; %bb.68:
	s_or_b32 exec_lo, exec_lo, s3
	v_and_b32_e32 v78, 0x7f800000, v79
	s_delay_alu instid0(VALU_DEP_1) | instskip(SKIP_1) | instid1(SALU_CYCLE_1)
	v_cmp_ne_u32_e32 vcc_lo, 0x7f800000, v78
                                        ; implicit-def: $vgpr78
	s_and_saveexec_b32 s3, vcc_lo
	s_xor_b32 s3, exec_lo, s3
; %bb.69:
	v_bfe_u32 v78, v79, 16, 1
	s_delay_alu instid0(VALU_DEP_1)
	v_add3_u32 v78, v79, v78, 0x7fff
                                        ; implicit-def: $vgpr79
; %bb.70:
	s_and_not1_saveexec_b32 s3, s3
; %bb.71:
	v_and_b32_e32 v78, 0xffff, v79
	v_or_b32_e32 v82, 0x10000, v79
	s_delay_alu instid0(VALU_DEP_2) | instskip(NEXT) | instid1(VALU_DEP_2)
	v_cmp_eq_u32_e32 vcc_lo, 0, v78
	v_cndmask_b32_e32 v78, v82, v79, vcc_lo
; %bb.72:
	s_or_b32 exec_lo, exec_lo, s3
	v_and_b32_e32 v79, 0x7f800000, v69
	s_delay_alu instid0(VALU_DEP_1) | instskip(SKIP_1) | instid1(SALU_CYCLE_1)
	v_cmp_ne_u32_e32 vcc_lo, 0x7f800000, v79
                                        ; implicit-def: $vgpr79
	s_and_saveexec_b32 s3, vcc_lo
	s_xor_b32 s3, exec_lo, s3
; %bb.73:
	v_bfe_u32 v79, v69, 16, 1
	s_delay_alu instid0(VALU_DEP_1)
	v_add3_u32 v79, v69, v79, 0x7fff
                                        ; implicit-def: $vgpr69
; %bb.74:
	s_and_not1_saveexec_b32 s3, s3
; %bb.75:
	v_and_b32_e32 v79, 0xffff, v69
	v_or_b32_e32 v82, 0x10000, v69
	s_delay_alu instid0(VALU_DEP_2) | instskip(NEXT) | instid1(VALU_DEP_2)
	v_cmp_eq_u32_e32 vcc_lo, 0, v79
	v_cndmask_b32_e32 v79, v82, v69, vcc_lo
; %bb.76:
	s_or_b32 exec_lo, exec_lo, s3
	s_delay_alu instid0(VALU_DEP_1)
	v_perm_b32 v86, v79, v78, 0x7060302
	v_perm_b32 v85, v72, v81, 0x7060302
	;; [unrolled: 1-line block ×4, first 2 shown]
	v_lshl_or_b32 v82, v65, 11, v76
	v_lshlrev_b32_e32 v79, 2, v74
	ds_store_b128 v77, v[83:86] offset:1024
	s_waitcnt lgkmcnt(0)
	s_barrier
	buffer_gl0_inv
	ds_load_b128 v[68:71], v82
	ds_load_b128 v[83:86], v82 offset:16
	v_or_b32_e32 v80, 1, v79
	v_cmp_eq_u32_e32 vcc_lo, 1, v79
	v_cmp_eq_u32_e64 s4, 2, v79
	v_cmp_eq_u32_e64 s7, 3, v79
	;; [unrolled: 1-line block ×6, first 2 shown]
	v_or_b32_e32 v78, 2, v79
	v_cmp_eq_u32_e64 s10, 5, v79
	v_cmp_eq_u32_e64 s11, 4, v80
	;; [unrolled: 1-line block ×9, first 2 shown]
	s_waitcnt lgkmcnt(1)
	v_lshrrev_b32_e32 v65, 16, v68
	s_waitcnt lgkmcnt(0)
	v_lshrrev_b32_e32 v91, 16, v83
	v_lshrrev_b32_e32 v72, 16, v69
	;; [unrolled: 1-line block ×4, first 2 shown]
	v_cndmask_b32_e32 v81, v68, v65, vcc_lo
	v_cndmask_b32_e32 v87, v83, v91, vcc_lo
	v_cndmask_b32_e64 v88, v68, v65, s3
	v_lshrrev_b32_e32 v98, 16, v85
	v_cndmask_b32_e64 v89, v83, v91, s3
	v_cndmask_b32_e64 v81, v81, v69, s4
	v_cndmask_b32_e64 v87, v87, v84, s4
	v_cndmask_b32_e64 v88, v88, v69, s6
	v_lshrrev_b32_e32 v96, 16, v71
	v_cndmask_b32_e64 v89, v89, v84, s6
	v_cndmask_b32_e64 v81, v81, v72, s7
	v_cndmask_b32_e64 v87, v87, v97, s7
	;; [unrolled: 5-line block ×3, first 2 shown]
	v_cndmask_b32_e64 v88, v88, v70, s11
	v_cndmask_b32_e64 v89, v89, v97, s8
	v_cmp_eq_u32_e64 s19, 3, v78
	v_cndmask_b32_e64 v81, v81, v95, s10
	v_cndmask_b32_e64 v87, v87, v98, s10
	;; [unrolled: 1-line block ×4, first 2 shown]
	v_cmp_eq_u32_e64 s20, 4, v78
	v_cndmask_b32_e64 v81, v81, v71, s12
	v_cndmask_b32_e64 v87, v87, v86, s12
	;; [unrolled: 1-line block ×3, first 2 shown]
	v_cmp_eq_u32_e64 s22, 5, v78
	v_cmp_eq_u32_e64 s24, 6, v78
	v_cndmask_b32_e64 v100, v81, v96, s15
	v_cndmask_b32_e64 v101, v87, v99, s15
	;; [unrolled: 1-line block ×6, first 2 shown]
	v_cmp_eq_u32_e64 s27, 7, v78
	v_cndmask_b32_e64 v89, v81, v72, s19
	v_cndmask_b32_e64 v87, v87, v84, s17
	v_or_b32_e32 v81, 3, v79
	v_cndmask_b32_e64 v103, v88, v86, s16
	s_delay_alu instid0(VALU_DEP_4) | instskip(NEXT) | instid1(VALU_DEP_4)
	v_cndmask_b32_e64 v92, v89, v70, s20
	v_cndmask_b32_e64 v93, v87, v97, s19
	s_delay_alu instid0(VALU_DEP_4)
	v_cmp_eq_u32_e64 s21, 1, v81
	ds_load_b128 v[87:90], v82 offset:1024
	v_cmp_eq_u32_e64 s23, 2, v81
	v_cndmask_b32_e64 v104, v92, v95, s22
	v_cmp_eq_u32_e64 s25, 3, v81
	v_cndmask_b32_e64 v65, v68, v65, s21
	v_cndmask_b32_e64 v68, v93, v85, s20
	;; [unrolled: 1-line block ×3, first 2 shown]
	ds_load_b128 v[91:94], v82 offset:1040
	v_cmp_eq_u32_e64 s26, 4, v81
	v_cndmask_b32_e64 v65, v65, v69, s23
	v_cmp_eq_u32_e64 s28, 5, v81
	v_cndmask_b32_e64 v69, v83, v84, s23
	;; [unrolled: 2-line block ×3, first 2 shown]
	v_cndmask_b32_e64 v65, v65, v72, s25
	v_cndmask_b32_e64 v72, v104, v71, s24
	;; [unrolled: 1-line block ×6, first 2 shown]
	s_waitcnt lgkmcnt(1)
	v_lshrrev_b32_e32 v84, 16, v87
	v_cndmask_b32_e64 v69, v69, v85, s26
	v_cndmask_b32_e64 v70, v72, v96, s27
	;; [unrolled: 1-line block ×4, first 2 shown]
	v_cndmask_b32_e32 v72, v87, v84, vcc_lo
	v_cndmask_b32_e64 v69, v69, v98, s28
	s_waitcnt lgkmcnt(0)
	v_lshrrev_b32_e32 v85, 16, v91
	v_lshrrev_b32_e32 v95, 16, v88
	v_cndmask_b32_e64 v97, v87, v84, s3
	v_cndmask_b32_e64 v72, v72, v88, s4
	;; [unrolled: 1-line block ×3, first 2 shown]
	v_cndmask_b32_e32 v98, v91, v85, vcc_lo
	v_cmp_eq_u32_e32 vcc_lo, 7, v81
	v_cndmask_b32_e64 v69, v69, v86, s29
	v_cndmask_b32_e64 v71, v72, v95, s7
	;; [unrolled: 1-line block ×3, first 2 shown]
	v_lshrrev_b32_e32 v97, 16, v92
	v_cndmask_b32_e32 v65, v65, v96, vcc_lo
	v_cndmask_b32_e64 v86, v98, v92, s4
	v_cndmask_b32_e32 v69, v69, v99, vcc_lo
	v_lshrrev_b32_e32 v99, 16, v93
	v_cndmask_b32_e64 v71, v71, v89, s9
	v_lshrrev_b32_e32 v98, 16, v89
	v_cndmask_b32_e64 v86, v86, v97, s7
	v_perm_b32 v70, v68, v70, 0x5040100
	v_cndmask_b32_e64 v72, v72, v95, s8
	s_delay_alu instid0(VALU_DEP_4) | instskip(NEXT) | instid1(VALU_DEP_4)
	v_cndmask_b32_e64 v96, v71, v98, s10
	v_cndmask_b32_e64 v86, v86, v93, s9
	v_perm_b32 v71, v69, v65, 0x5040100
	v_perm_b32 v69, v83, v102, 0x5040100
	v_cndmask_b32_e64 v102, v91, v85, s5
	v_cndmask_b32_e64 v72, v72, v89, s11
	;; [unrolled: 1-line block ×3, first 2 shown]
	v_lshrrev_b32_e32 v83, 16, v94
	s_delay_alu instid0(VALU_DEP_3) | instskip(NEXT) | instid1(VALU_DEP_3)
	v_cndmask_b32_e64 v65, v72, v98, s13
	v_cndmask_b32_e64 v68, v86, v94, s12
	;; [unrolled: 1-line block ×27, first 2 shown]
	v_lshrrev_b32_e32 v96, 16, v90
	v_cndmask_b32_e64 v65, v65, v90, s16
	v_cndmask_b32_e64 v86, v86, v90, s24
	;; [unrolled: 1-line block ×9, first 2 shown]
	v_cndmask_b32_e32 v84, v84, v96, vcc_lo
	v_cndmask_b32_e32 v86, v87, v83, vcc_lo
	v_cndmask_b32_e64 v87, v88, v83, s27
	v_cndmask_b32_e64 v88, v85, v83, s18
	;; [unrolled: 1-line block ×3, first 2 shown]
	v_perm_b32 v68, v101, v100, 0x5040100
	v_perm_b32 v86, v86, v84, 0x5040100
	;; [unrolled: 1-line block ×5, first 2 shown]
	s_lshl_b32 s8, s35, 4
	s_mov_b32 s3, exec_lo
	ds_store_b128 v77, v[68:71]
	ds_store_b128 v77, v[83:86] offset:1024
	v_cmpx_gt_u32_e32 16, v0
	s_cbranch_execz .LBB1501_78
; %bb.77:
	v_or_b32_e32 v65, s31, v0
	s_load_b128 s[4:7], s[0:1], 0x58
	s_delay_alu instid0(VALU_DEP_1) | instskip(NEXT) | instid1(VALU_DEP_1)
	v_mad_u64_u32 v[68:69], null, s8, s30, v[65:66]
	v_mad_u64_u32 v[69:70], null, v68, s34, s[14:15]
	s_delay_alu instid0(VALU_DEP_1) | instskip(NEXT) | instid1(VALU_DEP_1)
	v_ashrrev_i32_e32 v70, 31, v69
	v_lshlrev_b64 v[68:69], 2, v[69:70]
	s_waitcnt lgkmcnt(0)
	s_delay_alu instid0(VALU_DEP_1) | instskip(NEXT) | instid1(VALU_DEP_2)
	v_add_co_u32 v70, vcc_lo, s6, v68
	v_add_co_ci_u32_e32 v71, vcc_lo, s7, v69, vcc_lo
	v_add_co_u32 v68, vcc_lo, s4, v68
	v_add_co_ci_u32_e32 v69, vcc_lo, s5, v69, vcc_lo
	global_store_b32 v[70:71], v66, off
	global_store_b32 v[68:69], v67, off
.LBB1501_78:
	s_or_b32 exec_lo, exec_lo, s3
	s_waitcnt lgkmcnt(0)
	s_waitcnt_vscnt null, 0x0
	s_barrier
	buffer_gl0_inv
	ds_load_b128 v[83:86], v76
	ds_load_b128 v[87:90], v76 offset:16
	ds_load_b128 v[95:98], v76 offset:2064
	;; [unrolled: 1-line block ×3, first 2 shown]
	v_mov_b32_e32 v65, 0
	ds_load_b128 v[103:106], v76 offset:4112
	ds_load_b128 v[99:102], v76 offset:4096
	;; [unrolled: 1-line block ×4, first 2 shown]
	v_mov_b32_e32 v66, v65
	v_mov_b32_e32 v67, v65
	;; [unrolled: 1-line block ×7, first 2 shown]
	s_waitcnt lgkmcnt(6)
	s_delay_alu instid0(VALU_DEP_1)
	v_wmma_f32_16x16x16_bf16 v[65:72], v[57:64], v[83:90], v[65:72]
	ds_load_b128 v[61:64], v76 offset:8208
	ds_load_b128 v[57:60], v76 offset:8192
	s_waitcnt lgkmcnt(6)
	v_wmma_f32_16x16x16_bf16 v[65:72], v[41:48], v[91:98], v[65:72]
	ds_load_b128 v[45:48], v76 offset:10256
	ds_load_b128 v[41:44], v76 offset:10240
	s_waitcnt lgkmcnt(6)
	v_wmma_f32_16x16x16_bf16 v[65:72], v[33:40], v[99:106], v[65:72]
	ds_load_b128 v[37:40], v76 offset:12304
	ds_load_b128 v[33:36], v76 offset:12288
	s_waitcnt lgkmcnt(6)
	v_wmma_f32_16x16x16_bf16 v[65:72], v[25:32], v[107:114], v[65:72]
	ds_load_b128 v[29:32], v76 offset:14352
	ds_load_b128 v[25:28], v76 offset:14336
	s_waitcnt lgkmcnt(6)
	v_wmma_f32_16x16x16_bf16 v[65:72], v[1:8], v[57:64], v[65:72]
	s_waitcnt lgkmcnt(4)
	s_delay_alu instid0(VALU_DEP_1) | instskip(SKIP_1) | instid1(VALU_DEP_1)
	v_wmma_f32_16x16x16_bf16 v[65:72], v[9:16], v[41:48], v[65:72]
	s_waitcnt lgkmcnt(2)
	v_wmma_f32_16x16x16_bf16 v[65:72], v[17:24], v[33:40], v[65:72]
	s_waitcnt lgkmcnt(0)
	s_delay_alu instid0(VALU_DEP_1) | instskip(NEXT) | instid1(VALU_DEP_1)
	v_wmma_f32_16x16x16_bf16 v[65:72], v[49:56], v[25:32], v[65:72]
	v_and_b32_e32 v1, 0x7f800000, v65
	s_delay_alu instid0(VALU_DEP_1) | instskip(SKIP_1) | instid1(SALU_CYCLE_1)
	v_cmp_ne_u32_e32 vcc_lo, 0x7f800000, v1
                                        ; implicit-def: $vgpr1
	s_and_saveexec_b32 s3, vcc_lo
	s_xor_b32 s3, exec_lo, s3
; %bb.79:
	v_bfe_u32 v1, v65, 16, 1
	s_delay_alu instid0(VALU_DEP_1)
	v_add3_u32 v1, v65, v1, 0x7fff
; %bb.80:
	s_and_not1_saveexec_b32 s3, s3
; %bb.81:
	v_and_b32_e32 v1, 0xffff, v65
	v_or_b32_e32 v2, 0x10000, v65
	s_delay_alu instid0(VALU_DEP_2) | instskip(NEXT) | instid1(VALU_DEP_2)
	v_cmp_eq_u32_e32 vcc_lo, 0, v1
	v_cndmask_b32_e32 v1, v2, v65, vcc_lo
; %bb.82:
	s_or_b32 exec_lo, exec_lo, s3
	v_and_b32_e32 v2, 0x7f800000, v66
	s_delay_alu instid0(VALU_DEP_1) | instskip(SKIP_1) | instid1(SALU_CYCLE_1)
	v_cmp_ne_u32_e32 vcc_lo, 0x7f800000, v2
                                        ; implicit-def: $vgpr2
	s_and_saveexec_b32 s3, vcc_lo
	s_xor_b32 s3, exec_lo, s3
; %bb.83:
	v_bfe_u32 v2, v66, 16, 1
	s_delay_alu instid0(VALU_DEP_1)
	v_add3_u32 v2, v66, v2, 0x7fff
; %bb.84:
	s_and_not1_saveexec_b32 s3, s3
; %bb.85:
	v_and_b32_e32 v2, 0xffff, v66
	v_or_b32_e32 v3, 0x10000, v66
	s_delay_alu instid0(VALU_DEP_2) | instskip(NEXT) | instid1(VALU_DEP_2)
	v_cmp_eq_u32_e32 vcc_lo, 0, v2
	v_cndmask_b32_e32 v2, v3, v66, vcc_lo
; %bb.86:
	s_or_b32 exec_lo, exec_lo, s3
	v_and_b32_e32 v3, 0x7f800000, v67
	s_delay_alu instid0(VALU_DEP_1) | instskip(SKIP_1) | instid1(SALU_CYCLE_1)
	v_cmp_ne_u32_e32 vcc_lo, 0x7f800000, v3
                                        ; implicit-def: $vgpr3
	s_and_saveexec_b32 s3, vcc_lo
	s_xor_b32 s3, exec_lo, s3
; %bb.87:
	v_bfe_u32 v3, v67, 16, 1
	s_delay_alu instid0(VALU_DEP_1)
	v_add3_u32 v3, v67, v3, 0x7fff
; %bb.88:
	s_and_not1_saveexec_b32 s3, s3
; %bb.89:
	v_and_b32_e32 v3, 0xffff, v67
	v_or_b32_e32 v4, 0x10000, v67
	s_delay_alu instid0(VALU_DEP_2) | instskip(NEXT) | instid1(VALU_DEP_2)
	v_cmp_eq_u32_e32 vcc_lo, 0, v3
	v_cndmask_b32_e32 v3, v4, v67, vcc_lo
; %bb.90:
	s_or_b32 exec_lo, exec_lo, s3
	v_and_b32_e32 v4, 0x7f800000, v68
	s_delay_alu instid0(VALU_DEP_1) | instskip(SKIP_1) | instid1(SALU_CYCLE_1)
	v_cmp_ne_u32_e32 vcc_lo, 0x7f800000, v4
                                        ; implicit-def: $vgpr4
	s_and_saveexec_b32 s3, vcc_lo
	s_xor_b32 s3, exec_lo, s3
; %bb.91:
	v_bfe_u32 v4, v68, 16, 1
	s_delay_alu instid0(VALU_DEP_1)
	v_add3_u32 v4, v68, v4, 0x7fff
; %bb.92:
	s_and_not1_saveexec_b32 s3, s3
; %bb.93:
	v_and_b32_e32 v4, 0xffff, v68
	v_or_b32_e32 v5, 0x10000, v68
	s_delay_alu instid0(VALU_DEP_2) | instskip(NEXT) | instid1(VALU_DEP_2)
	v_cmp_eq_u32_e32 vcc_lo, 0, v4
	v_cndmask_b32_e32 v4, v5, v68, vcc_lo
; %bb.94:
	s_or_b32 exec_lo, exec_lo, s3
	v_and_b32_e32 v5, 0x7f800000, v69
	s_delay_alu instid0(VALU_DEP_1) | instskip(SKIP_1) | instid1(SALU_CYCLE_1)
	v_cmp_ne_u32_e32 vcc_lo, 0x7f800000, v5
                                        ; implicit-def: $vgpr5
	s_and_saveexec_b32 s3, vcc_lo
	s_xor_b32 s3, exec_lo, s3
; %bb.95:
	v_bfe_u32 v5, v69, 16, 1
	s_delay_alu instid0(VALU_DEP_1)
	v_add3_u32 v5, v69, v5, 0x7fff
; %bb.96:
	s_and_not1_saveexec_b32 s3, s3
; %bb.97:
	v_and_b32_e32 v5, 0xffff, v69
	v_or_b32_e32 v6, 0x10000, v69
	s_delay_alu instid0(VALU_DEP_2) | instskip(NEXT) | instid1(VALU_DEP_2)
	v_cmp_eq_u32_e32 vcc_lo, 0, v5
	v_cndmask_b32_e32 v5, v6, v69, vcc_lo
; %bb.98:
	s_or_b32 exec_lo, exec_lo, s3
	v_and_b32_e32 v6, 0x7f800000, v70
	s_delay_alu instid0(VALU_DEP_1) | instskip(SKIP_1) | instid1(SALU_CYCLE_1)
	v_cmp_ne_u32_e32 vcc_lo, 0x7f800000, v6
                                        ; implicit-def: $vgpr6
	s_and_saveexec_b32 s3, vcc_lo
	s_xor_b32 s3, exec_lo, s3
; %bb.99:
	v_bfe_u32 v6, v70, 16, 1
	s_delay_alu instid0(VALU_DEP_1)
	v_add3_u32 v6, v70, v6, 0x7fff
; %bb.100:
	s_and_not1_saveexec_b32 s3, s3
; %bb.101:
	v_and_b32_e32 v6, 0xffff, v70
	v_or_b32_e32 v7, 0x10000, v70
	s_delay_alu instid0(VALU_DEP_2) | instskip(NEXT) | instid1(VALU_DEP_2)
	v_cmp_eq_u32_e32 vcc_lo, 0, v6
	v_cndmask_b32_e32 v6, v7, v70, vcc_lo
; %bb.102:
	s_or_b32 exec_lo, exec_lo, s3
	v_and_b32_e32 v7, 0x7f800000, v71
	s_delay_alu instid0(VALU_DEP_1) | instskip(SKIP_1) | instid1(SALU_CYCLE_1)
	v_cmp_ne_u32_e32 vcc_lo, 0x7f800000, v7
                                        ; implicit-def: $vgpr7
	s_and_saveexec_b32 s3, vcc_lo
	s_xor_b32 s3, exec_lo, s3
; %bb.103:
	v_bfe_u32 v7, v71, 16, 1
	s_delay_alu instid0(VALU_DEP_1)
	v_add3_u32 v7, v71, v7, 0x7fff
; %bb.104:
	s_and_not1_saveexec_b32 s3, s3
; %bb.105:
	v_and_b32_e32 v7, 0xffff, v71
	v_or_b32_e32 v8, 0x10000, v71
	s_delay_alu instid0(VALU_DEP_2) | instskip(NEXT) | instid1(VALU_DEP_2)
	v_cmp_eq_u32_e32 vcc_lo, 0, v7
	v_cndmask_b32_e32 v7, v8, v71, vcc_lo
; %bb.106:
	s_or_b32 exec_lo, exec_lo, s3
	v_and_b32_e32 v8, 0x7f800000, v72
	s_delay_alu instid0(VALU_DEP_1) | instskip(SKIP_1) | instid1(SALU_CYCLE_1)
	v_cmp_ne_u32_e32 vcc_lo, 0x7f800000, v8
                                        ; implicit-def: $vgpr8
	s_and_saveexec_b32 s3, vcc_lo
	s_xor_b32 s3, exec_lo, s3
; %bb.107:
	v_bfe_u32 v8, v72, 16, 1
	s_delay_alu instid0(VALU_DEP_1)
	v_add3_u32 v8, v72, v8, 0x7fff
                                        ; implicit-def: $vgpr65_vgpr66_vgpr67_vgpr68_vgpr69_vgpr70_vgpr71_vgpr72
; %bb.108:
	s_and_not1_saveexec_b32 s3, s3
; %bb.109:
	v_and_b32_e32 v8, 0xffff, v72
	v_or_b32_e32 v9, 0x10000, v72
	s_delay_alu instid0(VALU_DEP_2) | instskip(NEXT) | instid1(VALU_DEP_2)
	v_cmp_eq_u32_e32 vcc_lo, 0, v8
	v_cndmask_b32_e32 v8, v9, v72, vcc_lo
; %bb.110:
	s_or_b32 exec_lo, exec_lo, s3
	s_delay_alu instid0(VALU_DEP_1)
	v_perm_b32 v7, v8, v7, 0x7060302
	v_perm_b32 v6, v6, v5, 0x7060302
	;; [unrolled: 1-line block ×4, first 2 shown]
	s_barrier
	buffer_gl0_inv
	v_cmp_eq_u32_e32 vcc_lo, 1, v79
	ds_store_b128 v77, v[4:7]
	s_waitcnt lgkmcnt(0)
	s_barrier
	buffer_gl0_inv
	ds_load_b128 v[1:4], v82
	ds_load_b128 v[5:8], v82 offset:16
	v_cmp_eq_u32_e64 s3, 1, v80
	v_cmp_eq_u32_e64 s4, 2, v79
	;; [unrolled: 1-line block ×5, first 2 shown]
	s_waitcnt lgkmcnt(1)
	v_lshrrev_b32_e32 v9, 16, v1
	s_waitcnt lgkmcnt(0)
	v_lshrrev_b32_e32 v13, 16, v5
	v_lshrrev_b32_e32 v10, 16, v2
	;; [unrolled: 1-line block ×4, first 2 shown]
	v_cndmask_b32_e64 v19, v1, v9, s3
	v_cndmask_b32_e32 v18, v5, v13, vcc_lo
	v_cndmask_b32_e64 v20, v5, v13, s3
	v_cndmask_b32_e32 v17, v1, v9, vcc_lo
	v_cmp_eq_u32_e32 vcc_lo, 2, v80
	v_lshrrev_b32_e32 v15, 16, v7
	v_cmp_eq_u32_e64 s3, 1, v78
	v_lshrrev_b32_e32 v12, 16, v4
	v_lshrrev_b32_e32 v16, 16, v8
	v_cndmask_b32_e32 v20, v20, v6, vcc_lo
	v_cndmask_b32_e64 v17, v17, v2, s4
	v_cndmask_b32_e32 v19, v19, v2, vcc_lo
	v_cndmask_b32_e64 v18, v18, v6, s4
	v_cmp_eq_u32_e32 vcc_lo, 4, v79
	v_cmp_eq_u32_e64 s4, 3, v80
	v_cndmask_b32_e64 v17, v17, v10, s5
	v_cndmask_b32_e64 v21, v1, v9, s3
	;; [unrolled: 1-line block ×5, first 2 shown]
	v_cndmask_b32_e32 v17, v17, v3, vcc_lo
	v_cndmask_b32_e64 v20, v20, v14, s4
	v_cndmask_b32_e32 v18, v18, v7, vcc_lo
	v_cmp_eq_u32_e32 vcc_lo, 4, v80
	v_cmp_eq_u32_e64 s4, 5, v80
	v_cmp_eq_u32_e64 s3, 2, v81
	v_cndmask_b32_e64 v21, v21, v2, s7
	v_cmp_eq_u32_e64 s5, 5, v79
	v_cndmask_b32_e32 v19, v19, v3, vcc_lo
	v_cndmask_b32_e32 v20, v20, v7, vcc_lo
	v_cmp_eq_u32_e32 vcc_lo, 6, v80
	s_delay_alu instid0(VALU_DEP_4) | instskip(NEXT) | instid1(VALU_DEP_4)
	v_cndmask_b32_e64 v17, v17, v11, s5
	v_cndmask_b32_e64 v19, v19, v11, s4
	s_delay_alu instid0(VALU_DEP_4) | instskip(SKIP_1) | instid1(VALU_DEP_3)
	v_cndmask_b32_e64 v20, v20, v15, s4
	v_cmp_eq_u32_e64 s4, 1, v81
	v_cndmask_b32_e32 v19, v19, v4, vcc_lo
	v_cndmask_b32_e64 v18, v18, v15, s5
	s_delay_alu instid0(VALU_DEP_3)
	v_cndmask_b32_e64 v1, v1, v9, s4
	v_cndmask_b32_e64 v5, v5, v13, s4
	v_cmp_eq_u32_e64 s4, 3, v78
	v_cndmask_b32_e64 v13, v22, v6, s7
	v_cmp_eq_u32_e64 s7, 3, v81
	v_cndmask_b32_e64 v1, v1, v2, s3
	v_cndmask_b32_e64 v2, v5, v6, s3
	;; [unrolled: 1-line block ×3, first 2 shown]
	v_cmp_eq_u32_e64 s3, 4, v78
	v_cndmask_b32_e64 v6, v13, v14, s4
	v_cndmask_b32_e64 v1, v1, v10, s7
	v_cmp_eq_u32_e64 s4, 4, v81
	v_cndmask_b32_e64 v2, v2, v14, s7
	v_cndmask_b32_e64 v5, v9, v3, s3
	;; [unrolled: 3-line block ×3, first 2 shown]
	v_cndmask_b32_e64 v2, v2, v7, s4
	v_cmp_eq_u32_e64 s3, 5, v81
	v_cmp_eq_u32_e64 s5, 6, v79
	v_cndmask_b32_e64 v5, v5, v11, s7
	v_cmp_eq_u32_e64 s4, 6, v78
	v_cndmask_b32_e64 v3, v6, v15, s7
	v_cndmask_b32_e64 v1, v1, v11, s3
	v_cmp_eq_u32_e64 s7, 6, v81
	v_cndmask_b32_e64 v2, v2, v15, s3
	v_cndmask_b32_e64 v17, v17, v4, s5
	v_cndmask_b32_e64 v18, v18, v8, s5
	v_cmp_eq_u32_e64 s5, 7, v79
	v_cndmask_b32_e64 v5, v5, v4, s4
	;; [unrolled: 4-line block ×3, first 2 shown]
	v_cmp_eq_u32_e64 s4, 7, v78
	v_cndmask_b32_e32 v4, v20, v8, vcc_lo
	v_cndmask_b32_e64 v17, v17, v12, s5
	v_cndmask_b32_e64 v19, v19, v12, s6
	;; [unrolled: 1-line block ×8, first 2 shown]
	v_cmp_gt_u32_e32 vcc_lo, 32, v0
	v_perm_b32 v4, v2, v1, 0x5040100
	v_perm_b32 v3, v3, v5, 0x5040100
	;; [unrolled: 1-line block ×4, first 2 shown]
	s_and_b32 s2, vcc_lo, s2
	ds_store_b128 v77, v[1:4]
	s_waitcnt lgkmcnt(0)
	s_barrier
	buffer_gl0_inv
	s_and_saveexec_b32 s3, s2
	s_cbranch_execz .LBB1501_2
; %bb.111:
	s_load_b64 s[0:1], s[0:1], 0x68
	v_lshlrev_b32_e32 v0, 10, v0
	s_lshl_b32 s4, s34, 6
	v_or_b32_e32 v23, s31, v74
	s_mul_i32 s2, s4, s30
	v_lshlrev_b32_e32 v1, 4, v75
	v_lshlrev_b32_e32 v2, 6, v74
	s_mul_i32 s2, s2, s8
	v_and_b32_e32 v0, 0x3800, v0
	v_mul_lo_u32 v8, v23, s4
	s_ashr_i32 s3, s2, 31
	v_or_b32_e32 v3, 2, v23
	s_lshl_b64 s[2:3], s[2:3], 1
	v_or3_b32 v27, v0, v1, v2
	v_or_b32_e32 v11, 4, v23
	v_or_b32_e32 v18, 6, v23
	v_mul_lo_u32 v10, v3, s4
	v_ashrrev_i32_e32 v9, 31, v8
	ds_load_b128 v[0:3], v27
	ds_load_b128 v[4:7], v27 offset:128
	v_mul_lo_u32 v12, v11, s4
	s_waitcnt lgkmcnt(0)
	s_add_u32 s2, s0, s2
	s_addc_u32 s3, s1, s3
	s_lshl_b32 s0, s14, 6
	v_lshlrev_b64 v[8:9], 1, v[8:9]
	s_ashr_i32 s1, s0, 31
	v_ashrrev_i32_e32 v11, 31, v10
	s_lshl_b64 s[0:1], s[0:1], 1
	v_ashrrev_i32_e32 v13, 31, v12
	s_add_u32 s0, s2, s0
	s_addc_u32 s1, s3, s1
	v_add_co_u32 v30, s0, s0, v73
	s_delay_alu instid0(VALU_DEP_1) | instskip(SKIP_1) | instid1(VALU_DEP_3)
	v_add_co_ci_u32_e64 v31, null, s1, 0, s0
	v_lshlrev_b64 v[16:17], 1, v[10:11]
	v_add_co_u32 v14, vcc_lo, v30, v8
	s_delay_alu instid0(VALU_DEP_3)
	v_add_co_ci_u32_e32 v15, vcc_lo, v31, v9, vcc_lo
	ds_load_b128 v[8:11], v27 offset:256
	v_mul_lo_u32 v18, v18, s4
	v_or_b32_e32 v19, 8, v23
	v_add_co_u32 v16, vcc_lo, v30, v16
	global_store_b128 v[14:15], v[0:3], off
	v_lshlrev_b64 v[0:1], 1, v[12:13]
	v_add_co_ci_u32_e32 v17, vcc_lo, v31, v17, vcc_lo
	v_mul_lo_u32 v12, v19, s4
	v_ashrrev_i32_e32 v19, 31, v18
	v_or_b32_e32 v14, 10, v23
	global_store_b128 v[16:17], v[4:7], off
	v_add_co_u32 v4, vcc_lo, v30, v0
	v_add_co_ci_u32_e32 v5, vcc_lo, v31, v1, vcc_lo
	ds_load_b128 v[0:3], v27 offset:384
	v_ashrrev_i32_e32 v13, 31, v12
	v_lshlrev_b64 v[6:7], 1, v[18:19]
	v_mul_lo_u32 v14, v14, s4
	s_waitcnt lgkmcnt(1)
	global_store_b128 v[4:5], v[8:11], off
	v_or_b32_e32 v8, 12, v23
	v_lshlrev_b64 v[4:5], 1, v[12:13]
	v_add_co_u32 v20, vcc_lo, v30, v6
	v_or_b32_e32 v6, 14, v23
	v_ashrrev_i32_e32 v15, 31, v14
	v_mul_lo_u32 v22, v8, s4
	v_add_co_ci_u32_e32 v21, vcc_lo, v31, v7, vcc_lo
	v_add_co_u32 v24, vcc_lo, v30, v4
	v_mul_lo_u32 v26, v6, s4
	v_add_co_ci_u32_e32 v25, vcc_lo, v31, v5, vcc_lo
	v_lshlrev_b64 v[28:29], 1, v[14:15]
	ds_load_b128 v[4:7], v27 offset:512
	ds_load_b128 v[8:11], v27 offset:640
	;; [unrolled: 1-line block ×4, first 2 shown]
	v_ashrrev_i32_e32 v23, 31, v22
	v_ashrrev_i32_e32 v27, 31, v26
	v_add_co_u32 v28, vcc_lo, v30, v28
	s_delay_alu instid0(VALU_DEP_3) | instskip(SKIP_1) | instid1(VALU_DEP_4)
	v_lshlrev_b64 v[22:23], 1, v[22:23]
	v_add_co_ci_u32_e32 v29, vcc_lo, v31, v29, vcc_lo
	v_lshlrev_b64 v[26:27], 1, v[26:27]
	s_delay_alu instid0(VALU_DEP_3) | instskip(NEXT) | instid1(VALU_DEP_4)
	v_add_co_u32 v22, vcc_lo, v30, v22
	v_add_co_ci_u32_e32 v23, vcc_lo, v31, v23, vcc_lo
	s_delay_alu instid0(VALU_DEP_3) | instskip(NEXT) | instid1(VALU_DEP_4)
	v_add_co_u32 v26, vcc_lo, v30, v26
	v_add_co_ci_u32_e32 v27, vcc_lo, v31, v27, vcc_lo
	s_waitcnt lgkmcnt(4)
	global_store_b128 v[20:21], v[0:3], off
	s_waitcnt lgkmcnt(3)
	global_store_b128 v[24:25], v[4:7], off
	;; [unrolled: 2-line block ×5, first 2 shown]
	s_nop 0
	s_sendmsg sendmsg(MSG_DEALLOC_VGPRS)
	s_endpgm
	.section	.rodata,"a",@progbits
	.p2align	6, 0x0
	.amdhsa_kernel _Z39paged_attention_ll4mi_QKV_mfma16_kernelI14__hip_bfloat16hLN4vllm18Fp8KVCacheDataTypeE1ES0_Li32ELi64ELi256ELb0ELi16EL8MFMAType1EEvPKT_PKT0_S9_ifPKiSB_SB_iPKfiiiPfSE_PS4_PT2_iSD_SD_
		.amdhsa_group_segment_fixed_size 17472
		.amdhsa_private_segment_fixed_size 0
		.amdhsa_kernarg_size 400
		.amdhsa_user_sgpr_count 13
		.amdhsa_user_sgpr_dispatch_ptr 0
		.amdhsa_user_sgpr_queue_ptr 0
		.amdhsa_user_sgpr_kernarg_segment_ptr 1
		.amdhsa_user_sgpr_dispatch_id 0
		.amdhsa_user_sgpr_private_segment_size 0
		.amdhsa_wavefront_size32 1
		.amdhsa_uses_dynamic_stack 0
		.amdhsa_enable_private_segment 0
		.amdhsa_system_sgpr_workgroup_id_x 1
		.amdhsa_system_sgpr_workgroup_id_y 1
		.amdhsa_system_sgpr_workgroup_id_z 1
		.amdhsa_system_sgpr_workgroup_info 0
		.amdhsa_system_vgpr_workitem_id 0
		.amdhsa_next_free_vgpr 125
		.amdhsa_next_free_sgpr 40
		.amdhsa_reserve_vcc 1
		.amdhsa_float_round_mode_32 0
		.amdhsa_float_round_mode_16_64 0
		.amdhsa_float_denorm_mode_32 3
		.amdhsa_float_denorm_mode_16_64 3
		.amdhsa_dx10_clamp 1
		.amdhsa_ieee_mode 1
		.amdhsa_fp16_overflow 0
		.amdhsa_workgroup_processor_mode 1
		.amdhsa_memory_ordered 1
		.amdhsa_forward_progress 0
		.amdhsa_shared_vgpr_count 0
		.amdhsa_exception_fp_ieee_invalid_op 0
		.amdhsa_exception_fp_denorm_src 0
		.amdhsa_exception_fp_ieee_div_zero 0
		.amdhsa_exception_fp_ieee_overflow 0
		.amdhsa_exception_fp_ieee_underflow 0
		.amdhsa_exception_fp_ieee_inexact 0
		.amdhsa_exception_int_div_zero 0
	.end_amdhsa_kernel
	.section	.text._Z39paged_attention_ll4mi_QKV_mfma16_kernelI14__hip_bfloat16hLN4vllm18Fp8KVCacheDataTypeE1ES0_Li32ELi64ELi256ELb0ELi16EL8MFMAType1EEvPKT_PKT0_S9_ifPKiSB_SB_iPKfiiiPfSE_PS4_PT2_iSD_SD_,"axG",@progbits,_Z39paged_attention_ll4mi_QKV_mfma16_kernelI14__hip_bfloat16hLN4vllm18Fp8KVCacheDataTypeE1ES0_Li32ELi64ELi256ELb0ELi16EL8MFMAType1EEvPKT_PKT0_S9_ifPKiSB_SB_iPKfiiiPfSE_PS4_PT2_iSD_SD_,comdat
.Lfunc_end1501:
	.size	_Z39paged_attention_ll4mi_QKV_mfma16_kernelI14__hip_bfloat16hLN4vllm18Fp8KVCacheDataTypeE1ES0_Li32ELi64ELi256ELb0ELi16EL8MFMAType1EEvPKT_PKT0_S9_ifPKiSB_SB_iPKfiiiPfSE_PS4_PT2_iSD_SD_, .Lfunc_end1501-_Z39paged_attention_ll4mi_QKV_mfma16_kernelI14__hip_bfloat16hLN4vllm18Fp8KVCacheDataTypeE1ES0_Li32ELi64ELi256ELb0ELi16EL8MFMAType1EEvPKT_PKT0_S9_ifPKiSB_SB_iPKfiiiPfSE_PS4_PT2_iSD_SD_
                                        ; -- End function
	.section	.AMDGPU.csdata,"",@progbits
; Kernel info:
; codeLenInByte = 8928
; NumSgprs: 42
; NumVgprs: 125
; ScratchSize: 0
; MemoryBound: 0
; FloatMode: 240
; IeeeMode: 1
; LDSByteSize: 17472 bytes/workgroup (compile time only)
; SGPRBlocks: 5
; VGPRBlocks: 15
; NumSGPRsForWavesPerEU: 42
; NumVGPRsForWavesPerEU: 125
; Occupancy: 10
; WaveLimiterHint : 1
; COMPUTE_PGM_RSRC2:SCRATCH_EN: 0
; COMPUTE_PGM_RSRC2:USER_SGPR: 13
; COMPUTE_PGM_RSRC2:TRAP_HANDLER: 0
; COMPUTE_PGM_RSRC2:TGID_X_EN: 1
; COMPUTE_PGM_RSRC2:TGID_Y_EN: 1
; COMPUTE_PGM_RSRC2:TGID_Z_EN: 1
; COMPUTE_PGM_RSRC2:TIDIG_COMP_CNT: 0
	.section	.text._Z39paged_attention_ll4mi_QKV_mfma16_kernelI14__hip_bfloat16hLN4vllm18Fp8KVCacheDataTypeE1ES0_Li32ELi64ELi256ELb0ELi1EL8MFMAType1EEvPKT_PKT0_S9_ifPKiSB_SB_iPKfiiiPfSE_PS4_PT2_iSD_SD_,"axG",@progbits,_Z39paged_attention_ll4mi_QKV_mfma16_kernelI14__hip_bfloat16hLN4vllm18Fp8KVCacheDataTypeE1ES0_Li32ELi64ELi256ELb0ELi1EL8MFMAType1EEvPKT_PKT0_S9_ifPKiSB_SB_iPKfiiiPfSE_PS4_PT2_iSD_SD_,comdat
	.protected	_Z39paged_attention_ll4mi_QKV_mfma16_kernelI14__hip_bfloat16hLN4vllm18Fp8KVCacheDataTypeE1ES0_Li32ELi64ELi256ELb0ELi1EL8MFMAType1EEvPKT_PKT0_S9_ifPKiSB_SB_iPKfiiiPfSE_PS4_PT2_iSD_SD_ ; -- Begin function _Z39paged_attention_ll4mi_QKV_mfma16_kernelI14__hip_bfloat16hLN4vllm18Fp8KVCacheDataTypeE1ES0_Li32ELi64ELi256ELb0ELi1EL8MFMAType1EEvPKT_PKT0_S9_ifPKiSB_SB_iPKfiiiPfSE_PS4_PT2_iSD_SD_
	.globl	_Z39paged_attention_ll4mi_QKV_mfma16_kernelI14__hip_bfloat16hLN4vllm18Fp8KVCacheDataTypeE1ES0_Li32ELi64ELi256ELb0ELi1EL8MFMAType1EEvPKT_PKT0_S9_ifPKiSB_SB_iPKfiiiPfSE_PS4_PT2_iSD_SD_
	.p2align	8
	.type	_Z39paged_attention_ll4mi_QKV_mfma16_kernelI14__hip_bfloat16hLN4vllm18Fp8KVCacheDataTypeE1ES0_Li32ELi64ELi256ELb0ELi1EL8MFMAType1EEvPKT_PKT0_S9_ifPKiSB_SB_iPKfiiiPfSE_PS4_PT2_iSD_SD_,@function
_Z39paged_attention_ll4mi_QKV_mfma16_kernelI14__hip_bfloat16hLN4vllm18Fp8KVCacheDataTypeE1ES0_Li32ELi64ELi256ELb0ELi1EL8MFMAType1EEvPKT_PKT0_S9_ifPKiSB_SB_iPKfiiiPfSE_PS4_PT2_iSD_SD_: ; @_Z39paged_attention_ll4mi_QKV_mfma16_kernelI14__hip_bfloat16hLN4vllm18Fp8KVCacheDataTypeE1ES0_Li32ELi64ELi256ELb0ELi1EL8MFMAType1EEvPKT_PKT0_S9_ifPKiSB_SB_iPKfiiiPfSE_PS4_PT2_iSD_SD_
; %bb.0:
	s_load_b64 s[4:5], s[0:1], 0x30
	s_mov_b32 s34, s13
	s_waitcnt lgkmcnt(0)
	s_cmp_lg_u64 s[4:5], 0
	s_cselect_b32 s6, -1, 0
	s_ashr_i32 s35, s13, 31
	s_cmp_eq_u64 s[4:5], 0
	s_cbranch_scc1 .LBB1502_3
; %bb.1:
	s_lshl_b64 s[2:3], s[34:35], 2
	s_delay_alu instid0(SALU_CYCLE_1) | instskip(SKIP_4) | instid1(SALU_CYCLE_1)
	s_add_u32 s2, s4, s2
	s_addc_u32 s3, s5, s3
	s_load_b64 s[2:3], s[2:3], 0x0
	s_waitcnt lgkmcnt(0)
	s_sub_i32 s2, s3, s2
	s_cmp_eq_u32 s2, 1
	s_cselect_b32 s2, -1, 0
	s_delay_alu instid0(SALU_CYCLE_1)
	s_and_not1_b32 vcc_lo, exec_lo, s2
	s_cbranch_vccz .LBB1502_4
.LBB1502_2:
	s_endpgm
.LBB1502_3:
.LBB1502_4:
	s_load_b64 s[2:3], s[0:1], 0x28
	s_lshl_b64 s[8:9], s[34:35], 2
	s_waitcnt lgkmcnt(0)
	s_add_u32 s2, s2, s8
	s_addc_u32 s3, s3, s9
	s_lshl_b32 s12, s14, 8
	s_load_b32 s33, s[2:3], 0x0
	s_waitcnt lgkmcnt(0)
	s_cmp_ge_i32 s12, s33
	s_cbranch_scc1 .LBB1502_2
; %bb.5:
	s_clause 0x1
	s_load_b128 s[28:31], s[0:1], 0x8
	s_load_b64 s[2:3], s[0:1], 0x20
	s_and_not1_b32 vcc_lo, exec_lo, s6
	s_mov_b64 s[6:7], s[34:35]
	s_cbranch_vccnz .LBB1502_7
; %bb.6:
	s_add_u32 s4, s4, s8
	s_addc_u32 s5, s5, s9
	s_load_b32 s6, s[4:5], 0x0
.LBB1502_7:
	s_load_b128 s[24:27], s[0:1], 0x48
	v_and_b32_e32 v73, 15, v0
	s_mov_b32 s13, exec_lo
                                        ; implicit-def: $sgpr16
                                        ; implicit-def: $sgpr4
	s_delay_alu instid0(VALU_DEP_1)
	v_cmpx_eq_u32_e32 0, v73
	s_cbranch_execz .LBB1502_9
; %bb.8:
	s_load_b64 s[4:5], s[0:1], 0x0
	s_waitcnt lgkmcnt(0)
	s_mul_hi_i32 s7, s6, s24
	s_mul_i32 s6, s6, s24
	s_delay_alu instid0(SALU_CYCLE_1) | instskip(NEXT) | instid1(SALU_CYCLE_1)
	s_lshl_b64 s[6:7], s[6:7], 1
	s_add_u32 s6, s4, s6
	s_addc_u32 s7, s5, s7
	s_lshl_b32 s4, s15, 6
	s_delay_alu instid0(SALU_CYCLE_1) | instskip(NEXT) | instid1(SALU_CYCLE_1)
	s_ashr_i32 s5, s4, 31
	s_lshl_b64 s[4:5], s[4:5], 1
	s_delay_alu instid0(SALU_CYCLE_1)
	s_add_u32 s4, s6, s4
	s_addc_u32 s5, s7, s5
	s_clause 0x1
	s_load_b256 s[16:23], s[4:5], 0x0
	s_load_b256 s[4:11], s[4:5], 0x40
.LBB1502_9:
	s_or_b32 exec_lo, exec_lo, s13
	s_waitcnt lgkmcnt(0)
	v_dual_mov_b32 v114, s23 :: v_dual_and_b32 v1, 0xef, v0
	s_add_i32 s13, s33, 31
	s_load_b32 s27, s[0:1], 0x38
	s_ashr_i32 s24, s13, 31
	s_delay_alu instid0(VALU_DEP_1) | instskip(SKIP_3) | instid1(VALU_DEP_2)
	v_dual_mov_b32 v112, s21 :: v_dual_add_nc_u32 v1, s12, v1
	s_lshr_b32 s24, s24, 27
	v_lshrrev_b32_e32 v65, 5, v0
	s_add_i32 s13, s13, s24
	v_ashrrev_i32_e32 v2, 31, v1
	v_or_b32_e32 v3, 16, v1
	s_ashr_i32 s13, s13, 5
	v_cmp_gt_i32_e32 vcc_lo, s33, v1
	s_add_i32 s13, s13, -1
	v_lshrrev_b32_e32 v2, 27, v2
	s_load_b32 s24, s[0:1], 0x1c
	v_dual_mov_b32 v111, s20 :: v_dual_mov_b32 v108, s17
	v_mbcnt_lo_u32_b32 v67, -1, 0
	s_delay_alu instid0(VALU_DEP_3)
	v_dual_mov_b32 v113, s22 :: v_dual_add_nc_u32 v4, v1, v2
	v_lshlrev_b32_e32 v74, 4, v73
	s_waitcnt lgkmcnt(0)
	s_mul_i32 s36, s34, s27
	v_xor_b32_e32 v68, 16, v67
	v_ashrrev_i32_e32 v4, 5, v4
	v_add_nc_u32_e32 v2, v3, v2
	s_ashr_i32 s37, s36, 31
	v_mov_b32_e32 v110, s19
	s_lshl_b64 s[36:37], s[36:37], 2
	v_cndmask_b32_e32 v1, s13, v4, vcc_lo
	v_ashrrev_i32_e32 v2, 5, v2
	v_cmp_gt_i32_e32 vcc_lo, s33, v3
	s_add_u32 s36, s2, s36
	s_addc_u32 s35, s3, s37
	s_mul_i32 s37, s15, s26
	v_and_b32_e32 v66, 0xe0, v0
	v_cndmask_b32_e32 v3, s13, v2, vcc_lo
	v_ashrrev_i32_e32 v2, 31, v1
	s_ashr_i32 s38, s37, 31
	s_add_u32 s40, s28, s37
	s_addc_u32 s41, s29, s38
	v_ashrrev_i32_e32 v4, 31, v3
	v_lshlrev_b64 v[1:2], 2, v[1:2]
	s_lshl_b32 s2, s14, 3
	v_add_nc_u32_e32 v66, s12, v66
	s_ashr_i32 s3, s2, 31
	v_lshlrev_b64 v[3:4], 2, v[3:4]
	s_lshl_b64 s[2:3], s[2:3], 2
	v_add_co_u32 v1, vcc_lo, s36, v1
	v_add_co_ci_u32_e32 v2, vcc_lo, s35, v2, vcc_lo
	s_delay_alu instid0(VALU_DEP_3) | instskip(NEXT) | instid1(VALU_DEP_4)
	v_add_co_u32 v3, vcc_lo, s36, v3
	v_add_co_ci_u32_e32 v4, vcc_lo, s35, v4, vcc_lo
	s_clause 0x1
	global_load_b32 v5, v[1:2], off
	global_load_b32 v6, v[3:4], off
	s_add_u32 s2, s36, s2
	s_addc_u32 s3, s35, s3
	s_or_b32 s26, s12, 32
	s_delay_alu instid0(SALU_CYCLE_1) | instskip(SKIP_2) | instid1(SALU_CYCLE_1)
	s_ashr_i32 s27, s26, 5
	s_cmp_lt_i32 s26, s33
	s_cselect_b32 s26, s27, s13
	s_ashr_i32 s27, s26, 31
	s_delay_alu instid0(SALU_CYCLE_1) | instskip(NEXT) | instid1(SALU_CYCLE_1)
	s_lshl_b64 s[26:27], s[26:27], 2
	s_add_u32 s26, s36, s26
	s_addc_u32 s27, s35, s27
	s_or_b32 s28, s12, 64
	s_delay_alu instid0(SALU_CYCLE_1) | instskip(SKIP_2) | instid1(SALU_CYCLE_1)
	s_ashr_i32 s29, s28, 5
	s_cmp_lt_i32 s28, s33
	s_cselect_b32 s28, s29, s13
	s_ashr_i32 s29, s28, 31
	s_delay_alu instid0(SALU_CYCLE_1) | instskip(NEXT) | instid1(SALU_CYCLE_1)
	s_lshl_b64 s[28:29], s[28:29], 2
	;; [unrolled: 10-line block ×5, first 2 shown]
	s_add_u32 s48, s36, s28
	s_addc_u32 s49, s35, s29
	s_clause 0x5
	s_load_b32 s29, s[2:3], 0x0
	s_load_b32 s2, s[26:27], 0x0
	;; [unrolled: 1-line block ×6, first 2 shown]
	s_or_b32 s39, s12, 0xc0
	s_waitcnt vmcnt(1)
	v_mad_i64_i32 v[1:2], null, v5, s25, s[40:41]
	s_waitcnt vmcnt(0)
	v_mad_i64_i32 v[3:4], null, v6, s25, s[40:41]
	s_ashr_i32 s40, s39, 5
	s_cmp_lt_i32 s39, s33
	s_cselect_b32 s40, s40, s13
	s_delay_alu instid0(VALU_DEP_2) | instskip(NEXT) | instid1(VALU_DEP_3)
	v_add_co_u32 v1, vcc_lo, v1, v74
	v_add_co_ci_u32_e32 v2, vcc_lo, 0, v2, vcc_lo
	s_delay_alu instid0(VALU_DEP_3) | instskip(NEXT) | instid1(VALU_DEP_4)
	v_add_co_u32 v3, vcc_lo, v3, v74
	v_add_co_ci_u32_e32 v4, vcc_lo, 0, v4, vcc_lo
	s_clause 0x7
	global_load_b128 v[75:78], v[1:2], off
	global_load_b128 v[79:82], v[1:2], off offset:512
	global_load_b128 v[83:86], v[3:4], off offset:256
	;; [unrolled: 1-line block ×7, first 2 shown]
	s_ashr_i32 s41, s40, 31
	v_lshlrev_b32_e32 v1, 5, v73
	s_lshl_b64 s[40:41], s[40:41], 2
	v_cmp_gt_i32_e32 vcc_lo, 32, v68
	s_add_u32 s40, s36, s40
	s_addc_u32 s41, s35, s41
	s_or_b32 s39, s12, 0xe0
	v_lshl_or_b32 v1, v65, 9, v1
	s_ashr_i32 s42, s39, 5
	s_cmp_lt_i32 s39, s33
	s_cselect_b32 s42, s42, s13
	s_load_b32 s13, s[40:41], 0x0
	s_ashr_i32 s43, s42, 31
	s_delay_alu instid0(SALU_CYCLE_1) | instskip(NEXT) | instid1(SALU_CYCLE_1)
	s_lshl_b64 s[42:43], s[42:43], 2
	s_add_u32 s40, s36, s42
	s_addc_u32 s41, s35, s43
	s_add_u32 s30, s30, s37
	s_addc_u32 s31, s31, s38
	v_add_co_u32 v1, s30, s30, v1
	s_delay_alu instid0(VALU_DEP_1) | instskip(SKIP_3) | instid1(VALU_DEP_1)
	v_add_co_ci_u32_e64 v2, null, s31, 0, s30
	s_load_b32 s30, s[40:41], 0x0
	s_mov_b32 s36, 0
	s_waitcnt lgkmcnt(0)
	v_mad_i64_i32 v[3:4], null, s29, s25, v[1:2]
	v_mad_i64_i32 v[9:10], null, s26, s25, v[1:2]
	;; [unrolled: 1-line block ×7, first 2 shown]
	s_clause 0x5
	global_load_b128 v[49:52], v[3:4], off
	global_load_b128 v[53:56], v[3:4], off offset:16
	global_load_b128 v[41:44], v[5:6], off
	global_load_b128 v[45:48], v[5:6], off offset:16
	;; [unrolled: 2-line block ×3, first 2 shown]
	s_mov_b32 s43, s36
	s_mov_b32 s37, s36
	v_mad_i64_i32 v[61:62], null, s30, s25, v[1:2]
	s_clause 0x9
	global_load_b128 v[25:28], v[9:10], off
	global_load_b128 v[29:32], v[9:10], off offset:16
	global_load_b128 v[1:4], v[11:12], off
	global_load_b128 v[5:8], v[11:12], off offset:16
	;; [unrolled: 2-line block ×5, first 2 shown]
	s_mov_b32 s38, s36
	s_mov_b32 s39, s36
	;; [unrolled: 1-line block ×5, first 2 shown]
	v_dual_mov_b32 v109, s18 :: v_dual_mov_b32 v122, s43
	v_dual_mov_b32 v107, s16 :: v_dual_mov_b32 v120, s41
	;; [unrolled: 1-line block ×4, first 2 shown]
	v_mov_b32_e32 v117, s38
	v_mov_b32_e32 v115, s36
	s_waitcnt vmcnt(0)
	s_barrier
	buffer_gl0_inv
	v_wmma_f32_16x16x16_bf16 v[123:130], v[75:82], v[107:114], v[115:122]
	v_bfe_u32 v75, v0, 4, 1
	v_wmma_f32_16x16x16_bf16 v[115:122], v[83:90], v[107:114], v[115:122]
	v_dual_mov_b32 v83, s11 :: v_dual_mov_b32 v82, s10
	v_dual_mov_b32 v81, s9 :: v_dual_mov_b32 v80, s8
	s_delay_alu instid0(VALU_DEP_4) | instskip(SKIP_2) | instid1(VALU_DEP_3)
	v_or_b32_e32 v66, v66, v75
	v_dual_mov_b32 v79, s7 :: v_dual_mov_b32 v78, s6
	v_dual_mov_b32 v77, s5 :: v_dual_mov_b32 v76, s4
	v_or_b32_e32 v69, 4, v66
	v_or_b32_e32 v70, 6, v66
	;; [unrolled: 1-line block ×3, first 2 shown]
	v_cmp_gt_i32_e64 s2, s33, v66
	v_wmma_f32_16x16x16_bf16 v[123:130], v[91:98], v[76:83], v[123:130]
	v_cndmask_b32_e32 v67, v67, v68, vcc_lo
	v_or_b32_e32 v68, 2, v66
	v_wmma_f32_16x16x16_bf16 v[115:122], v[99:106], v[76:83], v[115:122]
	v_or_b32_e32 v72, 10, v66
	v_dual_mul_f32 v78, s24, v130 :: v_dual_mul_f32 v83, s24, v125
	v_dual_mul_f32 v92, s24, v124 :: v_dual_mul_f32 v93, s24, v123
	s_delay_alu instid0(VALU_DEP_4) | instskip(SKIP_2) | instid1(VALU_DEP_4)
	v_mul_f32_e32 v94, s24, v122
	v_cmp_gt_i32_e32 vcc_lo, s33, v68
	v_dual_mul_f32 v81, s24, v127 :: v_dual_mul_f32 v82, s24, v126
	v_cndmask_b32_e64 v93, 0xff7fffff, v93, s2
	v_cmp_gt_i32_e64 s3, s33, v69
	v_cndmask_b32_e32 v92, 0xff7fffff, v92, vcc_lo
	v_cmp_gt_i32_e64 s4, s33, v70
	v_cmp_gt_i32_e64 s5, s33, v71
	v_or_b32_e32 v84, 12, v66
	v_or_b32_e32 v85, 14, v66
	v_dual_mul_f32 v79, s24, v129 :: v_dual_mul_f32 v80, s24, v128
	v_cndmask_b32_e64 v69, 0xff7fffff, v83, s3
	v_cndmask_b32_e64 v70, 0xff7fffff, v82, s4
	;; [unrolled: 1-line block ×3, first 2 shown]
	v_cmp_gt_i32_e64 s6, s33, v72
	v_lshlrev_b32_e32 v81, 2, v67
	v_max3_f32 v82, v93, 0xff7fffff, v92
	v_or_b32_e32 v86, 16, v66
	v_or_b32_e32 v87, 18, v66
	v_cndmask_b32_e64 v72, 0xff7fffff, v80, s6
	v_cmp_gt_i32_e64 s7, s33, v84
	v_max3_f32 v69, v82, v69, v70
	v_cmp_gt_i32_e64 s8, s33, v85
	v_or_b32_e32 v88, 20, v66
	v_or_b32_e32 v89, 22, v66
	;; [unrolled: 1-line block ×6, first 2 shown]
	v_dual_mul_f32 v99, s24, v117 :: v_dual_mul_f32 v68, s24, v116
	v_mul_f32_e32 v66, s24, v115
	v_cndmask_b32_e64 v70, 0xff7fffff, v79, s7
	v_cndmask_b32_e64 v78, 0xff7fffff, v78, s8
	v_max3_f32 v69, v69, v71, v72
	v_cmp_gt_i32_e64 s9, s33, v86
	v_cmp_gt_i32_e64 s10, s33, v87
	v_dual_mul_f32 v97, s24, v119 :: v_dual_mul_f32 v98, s24, v118
	s_delay_alu instid0(VALU_DEP_4) | instskip(NEXT) | instid1(VALU_DEP_4)
	v_max3_f32 v69, v69, v70, v78
	v_cndmask_b32_e64 v66, 0xff7fffff, v66, s9
	s_delay_alu instid0(VALU_DEP_4) | instskip(SKIP_3) | instid1(VALU_DEP_4)
	v_cndmask_b32_e64 v68, 0xff7fffff, v68, s10
	v_cmp_gt_i32_e64 s11, s33, v88
	v_cmp_gt_i32_e64 s12, s33, v89
	v_dual_mul_f32 v95, s24, v121 :: v_dual_mul_f32 v96, s24, v120
	v_max3_f32 v66, v69, v66, v68
	s_delay_alu instid0(VALU_DEP_4) | instskip(NEXT) | instid1(VALU_DEP_4)
	v_cndmask_b32_e64 v70, 0xff7fffff, v99, s11
	v_cndmask_b32_e64 v71, 0xff7fffff, v98, s12
	v_cmp_gt_i32_e64 s13, s33, v90
	v_cmp_gt_i32_e64 s16, s33, v91
	v_cmp_gt_i32_e64 s17, s33, v76
	v_cmp_gt_i32_e64 s18, s33, v77
	v_max3_f32 v66, v66, v70, v71
	v_cndmask_b32_e64 v68, 0xff7fffff, v97, s13
	v_cndmask_b32_e64 v69, 0xff7fffff, v96, s16
	v_cndmask_b32_e64 v70, 0xff7fffff, v95, s17
	v_cndmask_b32_e64 v71, 0xff7fffff, v94, s18
	s_delay_alu instid0(VALU_DEP_3) | instskip(NEXT) | instid1(VALU_DEP_1)
	v_max3_f32 v66, v66, v68, v69
	v_max3_f32 v66, v66, v70, v71
	ds_bpermute_b32 v67, v81, v66
	s_waitcnt lgkmcnt(0)
	v_max_f32_e32 v67, v67, v67
	s_delay_alu instid0(VALU_DEP_1) | instskip(NEXT) | instid1(VALU_DEP_1)
	v_max_f32_e32 v66, v66, v67
	v_fma_f32 v69, s24, v125, -v66
	s_delay_alu instid0(VALU_DEP_1) | instskip(NEXT) | instid1(VALU_DEP_1)
	v_mul_f32_e32 v69, 0x3fb8aa3b, v69
	v_exp_f32_e32 v69, v69
	s_waitcnt_depctr 0xfff
	v_cndmask_b32_e64 v82, 0, v69, s3
	v_fma_f32 v69, s24, v130, -v66
	s_mov_b32 s3, exec_lo
	s_delay_alu instid0(VALU_DEP_1)
	v_mul_f32_e32 v69, 0x3fb8aa3b, v69
	v_fma_f32 v67, s24, v123, -v66
	v_fma_f32 v68, s24, v124, -v66
	;; [unrolled: 1-line block ×5, first 2 shown]
	s_delay_alu instid0(VALU_DEP_4) | instskip(NEXT) | instid1(VALU_DEP_4)
	v_dual_mul_f32 v67, 0x3fb8aa3b, v67 :: v_dual_mul_f32 v68, 0x3fb8aa3b, v68
	v_mul_f32_e32 v70, 0x3fb8aa3b, v70
	v_exp_f32_e32 v69, v69
	v_fma_f32 v77, s24, v119, -v66
	s_delay_alu instid0(VALU_DEP_3)
	v_exp_f32_e32 v67, v67
	v_exp_f32_e32 v68, v68
	v_mul_f32_e32 v71, 0x3fb8aa3b, v71
	v_exp_f32_e32 v70, v70
	v_mul_f32_e32 v77, 0x3fb8aa3b, v77
	v_fma_f32 v88, s24, v122, -v66
	v_cndmask_b32_e64 v87, 0, v69, s8
	s_delay_alu instid0(VALU_DEP_3) | instskip(SKIP_1) | instid1(TRANS32_DEP_3)
	v_exp_f32_e32 v77, v77
	v_cndmask_b32_e64 v80, 0, v67, s2
	v_cndmask_b32_e32 v76, 0, v68, vcc_lo
	v_fma_f32 v67, s24, v128, -v66
	v_exp_f32_e32 v71, v71
	s_delay_alu instid0(TRANS32_DEP_3) | instskip(SKIP_3) | instid1(VALU_DEP_1)
	v_cndmask_b32_e64 v84, 0, v70, s4
	v_add_f32_e32 v68, 0, v80
	v_fma_f32 v70, s24, v115, -v66
	v_dual_mul_f32 v67, 0x3fb8aa3b, v67 :: v_dual_mul_f32 v88, 0x3fb8aa3b, v88
	v_exp_f32_e32 v67, v67
	s_waitcnt_depctr 0xfff
	v_cndmask_b32_e64 v85, 0, v71, s5
	v_fma_f32 v71, s24, v116, -v66
	s_delay_alu instid0(VALU_DEP_1) | instskip(NEXT) | instid1(VALU_DEP_1)
	v_dual_add_f32 v68, v68, v76 :: v_dual_mul_f32 v71, 0x3fb8aa3b, v71
	v_add_f32_e32 v68, v68, v82
	v_cndmask_b32_e64 v86, 0, v67, s6
	s_delay_alu instid0(VALU_DEP_3) | instskip(NEXT) | instid1(VALU_DEP_2)
	v_exp_f32_e32 v71, v71
	v_add_f32_e32 v68, v68, v84
	s_delay_alu instid0(VALU_DEP_1) | instskip(NEXT) | instid1(VALU_DEP_1)
	v_dual_mul_f32 v72, 0x3fb8aa3b, v72 :: v_dual_add_f32 v67, v68, v85
	v_exp_f32_e32 v72, v72
	v_fma_f32 v68, s24, v117, -v66
	s_delay_alu instid0(VALU_DEP_1)
	v_dual_add_f32 v67, v67, v86 :: v_dual_mul_f32 v68, 0x3fb8aa3b, v68
	s_waitcnt_depctr 0xfff
	v_cndmask_b32_e64 v83, 0, v72, s7
	v_fma_f32 v72, s24, v118, -v66
	v_exp_f32_e32 v78, v68
	v_cndmask_b32_e64 v68, 0, v71, s10
	v_fma_f32 v71, s24, v121, -v66
	v_dual_add_f32 v67, v67, v83 :: v_dual_mul_f32 v70, 0x3fb8aa3b, v70
	s_delay_alu instid0(VALU_DEP_1) | instskip(NEXT) | instid1(VALU_DEP_2)
	v_add_f32_e32 v67, v67, v87
	v_exp_f32_e32 v70, v70
	s_waitcnt_depctr 0xfff
	v_cndmask_b32_e64 v69, 0, v70, s9
	v_mul_f32_e32 v72, 0x3fb8aa3b, v72
	v_fma_f32 v70, s24, v120, -v66
	s_delay_alu instid0(VALU_DEP_3) | instskip(NEXT) | instid1(VALU_DEP_3)
	v_add_f32_e32 v67, v67, v69
	v_exp_f32_e32 v72, v72
	s_delay_alu instid0(VALU_DEP_2) | instskip(SKIP_1) | instid1(VALU_DEP_3)
	v_mul_f32_e32 v79, 0x3fb8aa3b, v70
	v_cndmask_b32_e64 v70, 0, v78, s11
	v_dual_mul_f32 v78, 0x3fb8aa3b, v71 :: v_dual_add_f32 v67, v67, v68
	s_delay_alu instid0(VALU_DEP_3) | instskip(NEXT) | instid1(VALU_DEP_1)
	v_exp_f32_e32 v79, v79
	v_exp_f32_e32 v78, v78
	s_delay_alu instid0(VALU_DEP_1) | instskip(NEXT) | instid1(TRANS32_DEP_3)
	v_add_f32_e32 v67, v67, v70
	v_cndmask_b32_e64 v71, 0, v72, s12
	v_cndmask_b32_e64 v72, 0, v77, s13
	s_delay_alu instid0(VALU_DEP_2)
	v_add_f32_e32 v67, v67, v71
	s_waitcnt_depctr 0xfff
	v_cndmask_b32_e64 v77, 0, v79, s16
	v_exp_f32_e32 v79, v88
	v_and_b32_e32 v88, 31, v0
	v_cndmask_b32_e64 v78, 0, v78, s17
	v_add_f32_e32 v67, v67, v72
	s_delay_alu instid0(VALU_DEP_3) | instskip(NEXT) | instid1(VALU_DEP_2)
	v_cmp_lt_u32_e64 s2, 15, v88
	v_add_f32_e32 v67, v67, v77
	s_waitcnt_depctr 0xfff
	v_cndmask_b32_e64 v79, 0, v79, s18
	v_add_f32_e32 v67, v67, v78
	s_delay_alu instid0(VALU_DEP_1)
	v_add_f32_e32 v67, v67, v79
	ds_bpermute_b32 v81, v81, v67
	v_cmpx_gt_u32_e32 16, v88
	s_cbranch_execz .LBB1502_11
; %bb.10:
	v_mul_u32_u24_e32 v88, 0x44, v65
	s_waitcnt lgkmcnt(0)
	v_add_f32_e32 v67, v67, v81
	s_delay_alu instid0(VALU_DEP_2) | instskip(NEXT) | instid1(VALU_DEP_1)
	v_lshl_add_u32 v88, v73, 2, v88
	v_add_nc_u32_e32 v81, 0x4000, v88
	ds_store_2addr_b32 v81, v66, v67 offset1:136
.LBB1502_11:
	s_or_b32 exec_lo, exec_lo, s3
	v_lshlrev_b32_e32 v66, 2, v73
	s_waitcnt lgkmcnt(0)
	s_barrier
	buffer_gl0_inv
	v_cmp_eq_u32_e32 vcc_lo, 1, v65
	v_add_nc_u32_e32 v81, 0x4000, v66
	v_cmp_eq_u32_e64 s3, 2, v65
	v_cmp_eq_u32_e64 s5, 7, v65
	ds_load_2addr_b32 v[88:89], v81 offset1:17
	ds_load_2addr_b32 v[90:91], v81 offset0:34 offset1:51
	ds_load_2addr_b32 v[92:93], v81 offset0:68 offset1:85
	;; [unrolled: 1-line block ×4, first 2 shown]
	s_waitcnt lgkmcnt(4)
	v_max3_f32 v66, v88, 0xff7fffff, v89
	s_waitcnt lgkmcnt(3)
	s_delay_alu instid0(VALU_DEP_1) | instskip(SKIP_1) | instid1(VALU_DEP_1)
	v_max3_f32 v66, v66, v90, v91
	s_waitcnt lgkmcnt(2)
	v_max3_f32 v66, v66, v92, v93
	s_waitcnt lgkmcnt(1)
	s_delay_alu instid0(VALU_DEP_1) | instskip(NEXT) | instid1(VALU_DEP_1)
	v_max3_f32 v66, v66, v94, v95
	v_sub_f32_e32 v92, v92, v66
	s_delay_alu instid0(VALU_DEP_1) | instskip(NEXT) | instid1(VALU_DEP_1)
	v_dual_sub_f32 v67, v88, v66 :: v_dual_mul_f32 v102, 0x3fb8aa3b, v92
	v_mul_f32_e32 v67, 0x3fb8aa3b, v67
	s_delay_alu instid0(VALU_DEP_1)
	v_exp_f32_e32 v99, v67
	v_sub_f32_e32 v67, v91, v66
	v_sub_f32_e32 v98, v89, v66
	ds_load_2addr_b32 v[88:89], v81 offset0:170 offset1:187
	v_dual_mul_f32 v101, 0x3fb8aa3b, v67 :: v_dual_mul_f32 v98, 0x3fb8aa3b, v98
	s_waitcnt lgkmcnt(1)
	v_fma_f32 v67, v99, v96, 0
	s_delay_alu instid0(VALU_DEP_2) | instskip(NEXT) | instid1(VALU_DEP_2)
	v_exp_f32_e32 v101, v101
	v_exp_f32_e32 v98, v98
	s_waitcnt_depctr 0xfff
	v_fmac_f32_e32 v67, v98, v97
	v_sub_f32_e32 v90, v90, v66
	s_delay_alu instid0(VALU_DEP_1)
	v_mul_f32_e32 v100, 0x3fb8aa3b, v90
	ds_load_2addr_b32 v[90:91], v81 offset0:204 offset1:221
	v_sub_f32_e32 v96, v93, v66
	ds_load_2addr_b32 v[92:93], v81 offset0:238 offset1:255
	s_waitcnt lgkmcnt(0)
	v_exp_f32_e32 v100, v100
	s_barrier
	buffer_gl0_inv
	v_dual_fmac_f32 v67, v100, v88 :: v_dual_sub_f32 v88, v95, v66
	v_dual_sub_f32 v81, v94, v66 :: v_dual_mul_f32 v94, 0x3fb8aa3b, v96
	v_exp_f32_e32 v96, v102
	s_delay_alu instid0(VALU_DEP_2) | instskip(NEXT) | instid1(VALU_DEP_2)
	v_dual_fmac_f32 v67, v101, v89 :: v_dual_mul_f32 v88, 0x3fb8aa3b, v88
	v_mul_f32_e32 v81, 0x3fb8aa3b, v81
	s_delay_alu instid0(VALU_DEP_3) | instskip(NEXT) | instid1(VALU_DEP_2)
	v_exp_f32_e32 v94, v94
	v_exp_f32_e32 v88, v88
	s_delay_alu instid0(VALU_DEP_1)
	v_exp_f32_e32 v81, v81
	v_fmac_f32_e32 v67, v96, v90
	s_delay_alu instid0(TRANS32_DEP_3) | instid1(VALU_DEP_1)
	v_fmac_f32_e32 v67, v94, v91
	s_waitcnt_depctr 0xfff
	v_fmac_f32_e32 v67, v81, v92
	s_delay_alu instid0(VALU_DEP_1) | instskip(NEXT) | instid1(VALU_DEP_1)
	v_fmac_f32_e32 v67, v88, v93
	v_add_f32_e32 v89, 0x358637bd, v67
	s_delay_alu instid0(VALU_DEP_1) | instskip(NEXT) | instid1(VALU_DEP_1)
	v_div_scale_f32 v90, null, v89, v89, 1.0
	v_rcp_f32_e32 v91, v90
	s_waitcnt_depctr 0xfff
	v_fma_f32 v92, -v90, v91, 1.0
	s_delay_alu instid0(VALU_DEP_1) | instskip(SKIP_1) | instid1(VALU_DEP_2)
	v_dual_fmac_f32 v91, v92, v91 :: v_dual_cndmask_b32 v92, v99, v98
	v_cmp_eq_u32_e32 vcc_lo, 3, v65
	v_cndmask_b32_e64 v92, v92, v100, s3
	v_cmp_eq_u32_e64 s3, 4, v65
	s_delay_alu instid0(VALU_DEP_2) | instskip(SKIP_1) | instid1(VALU_DEP_2)
	v_cndmask_b32_e32 v92, v92, v101, vcc_lo
	v_cmp_eq_u32_e32 vcc_lo, 5, v65
	v_cndmask_b32_e64 v92, v92, v96, s3
	v_cmp_eq_u32_e64 s3, 6, v65
	s_delay_alu instid0(VALU_DEP_2) | instskip(SKIP_1) | instid1(VALU_DEP_1)
	v_cndmask_b32_e32 v92, v92, v94, vcc_lo
	v_div_scale_f32 v93, s4, 1.0, v89, 1.0
	s_mov_b32 vcc_lo, s4
	s_delay_alu instid0(VALU_DEP_2) | instskip(NEXT) | instid1(VALU_DEP_2)
	v_cndmask_b32_e64 v81, v92, v81, s3
	v_mul_f32_e32 v95, v93, v91
	s_mov_b32 s3, exec_lo
	s_delay_alu instid0(VALU_DEP_2) | instskip(NEXT) | instid1(VALU_DEP_2)
	v_cndmask_b32_e64 v81, v81, v88, s5
	v_fma_f32 v97, -v90, v95, v93
	s_delay_alu instid0(VALU_DEP_1) | instskip(NEXT) | instid1(VALU_DEP_1)
	v_fmac_f32_e32 v95, v97, v91
	v_fma_f32 v90, -v90, v95, v93
	s_delay_alu instid0(VALU_DEP_1) | instskip(NEXT) | instid1(VALU_DEP_1)
	v_div_fmas_f32 v90, v90, v91, v95
	v_div_fixup_f32 v89, v90, v89, 1.0
	s_delay_alu instid0(VALU_DEP_1) | instskip(NEXT) | instid1(VALU_DEP_1)
	v_mul_f32_e32 v81, v81, v89
	v_mul_f32_e32 v89, v81, v80
	;; [unrolled: 1-line block ×6, first 2 shown]
	v_and_b32_e32 v90, 0x7f800000, v89
	v_mul_f32_e32 v88, v81, v84
	v_mul_f32_e32 v85, v81, v82
	;; [unrolled: 1-line block ×3, first 2 shown]
                                        ; implicit-def: $vgpr76
	s_delay_alu instid0(VALU_DEP_4)
	v_cmpx_ne_u32_e32 0x7f800000, v90
	s_xor_b32 s3, exec_lo, s3
; %bb.12:
	v_bfe_u32 v76, v89, 16, 1
	s_delay_alu instid0(VALU_DEP_1)
	v_add3_u32 v76, v89, v76, 0x7fff
                                        ; implicit-def: $vgpr89
; %bb.13:
	s_and_not1_saveexec_b32 s3, s3
; %bb.14:
	v_and_b32_e32 v76, 0xffff, v89
	v_or_b32_e32 v82, 0x10000, v89
	s_delay_alu instid0(VALU_DEP_2) | instskip(NEXT) | instid1(VALU_DEP_2)
	v_cmp_eq_u32_e32 vcc_lo, 0, v76
	v_cndmask_b32_e32 v76, v82, v89, vcc_lo
; %bb.15:
	s_or_b32 exec_lo, exec_lo, s3
	v_and_b32_e32 v82, 0x7f800000, v84
	s_delay_alu instid0(VALU_DEP_1) | instskip(SKIP_1) | instid1(SALU_CYCLE_1)
	v_cmp_ne_u32_e32 vcc_lo, 0x7f800000, v82
                                        ; implicit-def: $vgpr82
	s_and_saveexec_b32 s3, vcc_lo
	s_xor_b32 s3, exec_lo, s3
; %bb.16:
	v_bfe_u32 v82, v84, 16, 1
	s_delay_alu instid0(VALU_DEP_1)
	v_add3_u32 v82, v84, v82, 0x7fff
                                        ; implicit-def: $vgpr84
; %bb.17:
	s_and_not1_saveexec_b32 s3, s3
; %bb.18:
	v_and_b32_e32 v82, 0xffff, v84
	v_or_b32_e32 v89, 0x10000, v84
	s_delay_alu instid0(VALU_DEP_2) | instskip(NEXT) | instid1(VALU_DEP_2)
	v_cmp_eq_u32_e32 vcc_lo, 0, v82
	v_cndmask_b32_e32 v82, v89, v84, vcc_lo
; %bb.19:
	s_or_b32 exec_lo, exec_lo, s3
	v_and_b32_e32 v84, 0x7f800000, v85
	s_delay_alu instid0(VALU_DEP_1) | instskip(SKIP_1) | instid1(SALU_CYCLE_1)
	v_cmp_ne_u32_e32 vcc_lo, 0x7f800000, v84
                                        ; implicit-def: $vgpr84
	s_and_saveexec_b32 s3, vcc_lo
	s_xor_b32 s3, exec_lo, s3
; %bb.20:
	v_bfe_u32 v84, v85, 16, 1
	s_delay_alu instid0(VALU_DEP_1)
	v_add3_u32 v84, v85, v84, 0x7fff
                                        ; implicit-def: $vgpr85
; %bb.21:
	s_and_not1_saveexec_b32 s3, s3
; %bb.22:
	v_and_b32_e32 v84, 0xffff, v85
	v_or_b32_e32 v89, 0x10000, v85
	s_delay_alu instid0(VALU_DEP_2) | instskip(NEXT) | instid1(VALU_DEP_2)
	v_cmp_eq_u32_e32 vcc_lo, 0, v84
	v_cndmask_b32_e32 v84, v89, v85, vcc_lo
; %bb.23:
	s_or_b32 exec_lo, exec_lo, s3
	v_and_b32_e32 v85, 0x7f800000, v88
	s_delay_alu instid0(VALU_DEP_1) | instskip(SKIP_1) | instid1(SALU_CYCLE_1)
	v_cmp_ne_u32_e32 vcc_lo, 0x7f800000, v85
                                        ; implicit-def: $vgpr85
	s_and_saveexec_b32 s3, vcc_lo
	s_xor_b32 s3, exec_lo, s3
; %bb.24:
	v_bfe_u32 v85, v88, 16, 1
	s_delay_alu instid0(VALU_DEP_1)
	v_add3_u32 v85, v88, v85, 0x7fff
                                        ; implicit-def: $vgpr88
; %bb.25:
	s_and_not1_saveexec_b32 s3, s3
; %bb.26:
	v_and_b32_e32 v85, 0xffff, v88
	v_or_b32_e32 v89, 0x10000, v88
	s_delay_alu instid0(VALU_DEP_2) | instskip(NEXT) | instid1(VALU_DEP_2)
	v_cmp_eq_u32_e32 vcc_lo, 0, v85
	v_cndmask_b32_e32 v85, v89, v88, vcc_lo
; %bb.27:
	s_or_b32 exec_lo, exec_lo, s3
	v_and_b32_e32 v88, 0x7f800000, v87
	s_delay_alu instid0(VALU_DEP_1) | instskip(SKIP_1) | instid1(SALU_CYCLE_1)
	v_cmp_ne_u32_e32 vcc_lo, 0x7f800000, v88
                                        ; implicit-def: $vgpr88
	s_and_saveexec_b32 s3, vcc_lo
	s_xor_b32 s3, exec_lo, s3
; %bb.28:
	v_bfe_u32 v88, v87, 16, 1
	s_delay_alu instid0(VALU_DEP_1)
	v_add3_u32 v88, v87, v88, 0x7fff
                                        ; implicit-def: $vgpr87
; %bb.29:
	s_and_not1_saveexec_b32 s3, s3
; %bb.30:
	v_and_b32_e32 v88, 0xffff, v87
	v_or_b32_e32 v89, 0x10000, v87
	s_delay_alu instid0(VALU_DEP_2) | instskip(NEXT) | instid1(VALU_DEP_2)
	v_cmp_eq_u32_e32 vcc_lo, 0, v88
	v_cndmask_b32_e32 v88, v89, v87, vcc_lo
; %bb.31:
	s_or_b32 exec_lo, exec_lo, s3
	v_and_b32_e32 v87, 0x7f800000, v86
	s_delay_alu instid0(VALU_DEP_1) | instskip(SKIP_1) | instid1(SALU_CYCLE_1)
	v_cmp_ne_u32_e32 vcc_lo, 0x7f800000, v87
                                        ; implicit-def: $vgpr87
	s_and_saveexec_b32 s3, vcc_lo
	s_xor_b32 s3, exec_lo, s3
; %bb.32:
	v_bfe_u32 v87, v86, 16, 1
	s_delay_alu instid0(VALU_DEP_1)
	v_add3_u32 v87, v86, v87, 0x7fff
                                        ; implicit-def: $vgpr86
; %bb.33:
	s_and_not1_saveexec_b32 s3, s3
; %bb.34:
	v_and_b32_e32 v87, 0xffff, v86
	v_or_b32_e32 v89, 0x10000, v86
	s_delay_alu instid0(VALU_DEP_2) | instskip(NEXT) | instid1(VALU_DEP_2)
	v_cmp_eq_u32_e32 vcc_lo, 0, v87
	v_cndmask_b32_e32 v87, v89, v86, vcc_lo
; %bb.35:
	s_or_b32 exec_lo, exec_lo, s3
	v_and_b32_e32 v86, 0x7f800000, v83
	s_delay_alu instid0(VALU_DEP_1) | instskip(SKIP_1) | instid1(SALU_CYCLE_1)
	v_cmp_ne_u32_e32 vcc_lo, 0x7f800000, v86
                                        ; implicit-def: $vgpr86
	s_and_saveexec_b32 s3, vcc_lo
	s_xor_b32 s3, exec_lo, s3
; %bb.36:
	v_bfe_u32 v86, v83, 16, 1
	s_delay_alu instid0(VALU_DEP_1)
	v_add3_u32 v86, v83, v86, 0x7fff
                                        ; implicit-def: $vgpr83
; %bb.37:
	s_and_not1_saveexec_b32 s3, s3
; %bb.38:
	v_and_b32_e32 v86, 0xffff, v83
	v_or_b32_e32 v89, 0x10000, v83
	s_delay_alu instid0(VALU_DEP_2) | instskip(NEXT) | instid1(VALU_DEP_2)
	v_cmp_eq_u32_e32 vcc_lo, 0, v86
	v_cndmask_b32_e32 v86, v89, v83, vcc_lo
; %bb.39:
	s_or_b32 exec_lo, exec_lo, s3
	v_and_b32_e32 v83, 0x7f800000, v80
	s_delay_alu instid0(VALU_DEP_1) | instskip(SKIP_1) | instid1(SALU_CYCLE_1)
	v_cmp_ne_u32_e32 vcc_lo, 0x7f800000, v83
                                        ; implicit-def: $vgpr83
	s_and_saveexec_b32 s3, vcc_lo
	s_xor_b32 s3, exec_lo, s3
; %bb.40:
	v_bfe_u32 v83, v80, 16, 1
	s_delay_alu instid0(VALU_DEP_1)
	v_add3_u32 v83, v80, v83, 0x7fff
                                        ; implicit-def: $vgpr80
; %bb.41:
	s_and_not1_saveexec_b32 s3, s3
; %bb.42:
	v_and_b32_e32 v83, 0xffff, v80
	v_or_b32_e32 v89, 0x10000, v80
	s_delay_alu instid0(VALU_DEP_2) | instskip(NEXT) | instid1(VALU_DEP_2)
	v_cmp_eq_u32_e32 vcc_lo, 0, v83
	v_cndmask_b32_e32 v83, v89, v80, vcc_lo
; %bb.43:
	s_or_b32 exec_lo, exec_lo, s3
	s_load_b64 s[36:37], s[0:1], 0x94
	v_lshlrev_b32_e32 v90, 4, v75
	s_delay_alu instid0(VALU_DEP_2)
	v_perm_b32 v89, v83, v86, 0x7060302
	v_mul_f32_e32 v83, v81, v69
	v_dual_mul_f32 v69, v81, v79 :: v_dual_lshlrev_b32 v80, 6, v73
	v_dual_mul_f32 v78, v81, v78 :: v_dual_lshlrev_b32 v91, 11, v65
	v_perm_b32 v88, v87, v88, 0x7060302
	v_perm_b32 v87, v85, v84, 0x7060302
	;; [unrolled: 1-line block ×3, first 2 shown]
	s_delay_alu instid0(VALU_DEP_4)
	v_or3_b32 v76, v90, v91, v80
	v_dual_mul_f32 v77, v81, v77 :: v_dual_and_b32 v84, 0x7f800000, v83
	v_mul_f32_e32 v72, v81, v72
	v_mul_f32_e32 v82, v81, v71
	;; [unrolled: 1-line block ×4, first 2 shown]
	s_mov_b32 s3, exec_lo
	ds_store_b128 v76, v[86:89]
                                        ; implicit-def: $vgpr68
	v_cmpx_ne_u32_e32 0x7f800000, v84
	s_xor_b32 s3, exec_lo, s3
; %bb.44:
	v_bfe_u32 v68, v83, 16, 1
	s_delay_alu instid0(VALU_DEP_1)
	v_add3_u32 v68, v83, v68, 0x7fff
                                        ; implicit-def: $vgpr83
; %bb.45:
	s_and_not1_saveexec_b32 s3, s3
; %bb.46:
	v_and_b32_e32 v68, 0xffff, v83
	v_or_b32_e32 v70, 0x10000, v83
	s_delay_alu instid0(VALU_DEP_2) | instskip(NEXT) | instid1(VALU_DEP_2)
	v_cmp_eq_u32_e32 vcc_lo, 0, v68
	v_cndmask_b32_e32 v68, v70, v83, vcc_lo
; %bb.47:
	s_or_b32 exec_lo, exec_lo, s3
	v_and_b32_e32 v70, 0x7f800000, v71
	s_delay_alu instid0(VALU_DEP_1) | instskip(SKIP_1) | instid1(SALU_CYCLE_1)
	v_cmp_ne_u32_e32 vcc_lo, 0x7f800000, v70
                                        ; implicit-def: $vgpr70
	s_and_saveexec_b32 s3, vcc_lo
	s_xor_b32 s3, exec_lo, s3
; %bb.48:
	v_bfe_u32 v70, v71, 16, 1
	s_delay_alu instid0(VALU_DEP_1)
	v_add3_u32 v70, v71, v70, 0x7fff
                                        ; implicit-def: $vgpr71
; %bb.49:
	s_and_not1_saveexec_b32 s3, s3
; %bb.50:
	v_and_b32_e32 v70, 0xffff, v71
	v_or_b32_e32 v81, 0x10000, v71
	s_delay_alu instid0(VALU_DEP_2) | instskip(NEXT) | instid1(VALU_DEP_2)
	v_cmp_eq_u32_e32 vcc_lo, 0, v70
	v_cndmask_b32_e32 v70, v81, v71, vcc_lo
; %bb.51:
	s_or_b32 exec_lo, exec_lo, s3
	v_and_b32_e32 v71, 0x7f800000, v79
	s_delay_alu instid0(VALU_DEP_1) | instskip(SKIP_1) | instid1(SALU_CYCLE_1)
	v_cmp_ne_u32_e32 vcc_lo, 0x7f800000, v71
                                        ; implicit-def: $vgpr71
	s_and_saveexec_b32 s3, vcc_lo
	s_xor_b32 s3, exec_lo, s3
; %bb.52:
	v_bfe_u32 v71, v79, 16, 1
	s_delay_alu instid0(VALU_DEP_1)
	v_add3_u32 v71, v79, v71, 0x7fff
                                        ; implicit-def: $vgpr79
; %bb.53:
	s_and_not1_saveexec_b32 s3, s3
; %bb.54:
	v_and_b32_e32 v71, 0xffff, v79
	v_or_b32_e32 v81, 0x10000, v79
	s_delay_alu instid0(VALU_DEP_2) | instskip(NEXT) | instid1(VALU_DEP_2)
	v_cmp_eq_u32_e32 vcc_lo, 0, v71
	v_cndmask_b32_e32 v71, v81, v79, vcc_lo
; %bb.55:
	s_or_b32 exec_lo, exec_lo, s3
	v_and_b32_e32 v79, 0x7f800000, v82
	s_delay_alu instid0(VALU_DEP_1) | instskip(SKIP_1) | instid1(SALU_CYCLE_1)
	v_cmp_ne_u32_e32 vcc_lo, 0x7f800000, v79
                                        ; implicit-def: $vgpr79
	s_and_saveexec_b32 s3, vcc_lo
	s_xor_b32 s3, exec_lo, s3
; %bb.56:
	v_bfe_u32 v79, v82, 16, 1
	s_delay_alu instid0(VALU_DEP_1)
	v_add3_u32 v79, v82, v79, 0x7fff
                                        ; implicit-def: $vgpr82
; %bb.57:
	s_and_not1_saveexec_b32 s3, s3
; %bb.58:
	v_and_b32_e32 v79, 0xffff, v82
	v_or_b32_e32 v81, 0x10000, v82
	s_delay_alu instid0(VALU_DEP_2) | instskip(NEXT) | instid1(VALU_DEP_2)
	v_cmp_eq_u32_e32 vcc_lo, 0, v79
	v_cndmask_b32_e32 v79, v81, v82, vcc_lo
; %bb.59:
	s_or_b32 exec_lo, exec_lo, s3
	v_and_b32_e32 v81, 0x7f800000, v72
	s_delay_alu instid0(VALU_DEP_1) | instskip(SKIP_1) | instid1(SALU_CYCLE_1)
	v_cmp_ne_u32_e32 vcc_lo, 0x7f800000, v81
                                        ; implicit-def: $vgpr81
	s_and_saveexec_b32 s3, vcc_lo
	s_xor_b32 s3, exec_lo, s3
; %bb.60:
	v_bfe_u32 v81, v72, 16, 1
	s_delay_alu instid0(VALU_DEP_1)
	v_add3_u32 v81, v72, v81, 0x7fff
                                        ; implicit-def: $vgpr72
; %bb.61:
	s_and_not1_saveexec_b32 s3, s3
; %bb.62:
	v_and_b32_e32 v81, 0xffff, v72
	v_or_b32_e32 v82, 0x10000, v72
	s_delay_alu instid0(VALU_DEP_2) | instskip(NEXT) | instid1(VALU_DEP_2)
	v_cmp_eq_u32_e32 vcc_lo, 0, v81
	v_cndmask_b32_e32 v81, v82, v72, vcc_lo
; %bb.63:
	s_or_b32 exec_lo, exec_lo, s3
	v_and_b32_e32 v72, 0x7f800000, v77
	s_delay_alu instid0(VALU_DEP_1) | instskip(SKIP_1) | instid1(SALU_CYCLE_1)
	v_cmp_ne_u32_e32 vcc_lo, 0x7f800000, v72
                                        ; implicit-def: $vgpr72
	s_and_saveexec_b32 s3, vcc_lo
	s_xor_b32 s3, exec_lo, s3
; %bb.64:
	v_bfe_u32 v72, v77, 16, 1
	s_delay_alu instid0(VALU_DEP_1)
	v_add3_u32 v72, v77, v72, 0x7fff
                                        ; implicit-def: $vgpr77
; %bb.65:
	s_and_not1_saveexec_b32 s3, s3
; %bb.66:
	v_and_b32_e32 v72, 0xffff, v77
	v_or_b32_e32 v82, 0x10000, v77
	s_delay_alu instid0(VALU_DEP_2) | instskip(NEXT) | instid1(VALU_DEP_2)
	v_cmp_eq_u32_e32 vcc_lo, 0, v72
	v_cndmask_b32_e32 v72, v82, v77, vcc_lo
; %bb.67:
	s_or_b32 exec_lo, exec_lo, s3
	v_and_b32_e32 v77, 0x7f800000, v78
	s_delay_alu instid0(VALU_DEP_1) | instskip(SKIP_1) | instid1(SALU_CYCLE_1)
	v_cmp_ne_u32_e32 vcc_lo, 0x7f800000, v77
                                        ; implicit-def: $vgpr77
	s_and_saveexec_b32 s3, vcc_lo
	s_xor_b32 s3, exec_lo, s3
; %bb.68:
	v_bfe_u32 v77, v78, 16, 1
	s_delay_alu instid0(VALU_DEP_1)
	v_add3_u32 v77, v78, v77, 0x7fff
                                        ; implicit-def: $vgpr78
; %bb.69:
	s_and_not1_saveexec_b32 s3, s3
; %bb.70:
	v_and_b32_e32 v77, 0xffff, v78
	v_or_b32_e32 v82, 0x10000, v78
	s_delay_alu instid0(VALU_DEP_2) | instskip(NEXT) | instid1(VALU_DEP_2)
	v_cmp_eq_u32_e32 vcc_lo, 0, v77
	v_cndmask_b32_e32 v77, v82, v78, vcc_lo
; %bb.71:
	s_or_b32 exec_lo, exec_lo, s3
	v_and_b32_e32 v78, 0x7f800000, v69
	s_delay_alu instid0(VALU_DEP_1) | instskip(SKIP_1) | instid1(SALU_CYCLE_1)
	v_cmp_ne_u32_e32 vcc_lo, 0x7f800000, v78
                                        ; implicit-def: $vgpr78
	s_and_saveexec_b32 s3, vcc_lo
	s_xor_b32 s3, exec_lo, s3
; %bb.72:
	v_bfe_u32 v78, v69, 16, 1
	s_delay_alu instid0(VALU_DEP_1)
	v_add3_u32 v78, v69, v78, 0x7fff
                                        ; implicit-def: $vgpr69
; %bb.73:
	s_and_not1_saveexec_b32 s3, s3
; %bb.74:
	v_and_b32_e32 v78, 0xffff, v69
	v_or_b32_e32 v82, 0x10000, v69
	s_delay_alu instid0(VALU_DEP_2) | instskip(NEXT) | instid1(VALU_DEP_2)
	v_cmp_eq_u32_e32 vcc_lo, 0, v78
	v_cndmask_b32_e32 v78, v82, v69, vcc_lo
; %bb.75:
	s_or_b32 exec_lo, exec_lo, s3
	s_delay_alu instid0(VALU_DEP_1)
	v_perm_b32 v86, v78, v77, 0x7060302
	v_perm_b32 v85, v72, v81, 0x7060302
	;; [unrolled: 1-line block ×4, first 2 shown]
	v_lshl_or_b32 v82, v65, 11, v80
	ds_store_b128 v76, v[83:86] offset:1024
	s_waitcnt lgkmcnt(0)
	s_barrier
	buffer_gl0_inv
	ds_load_b128 v[68:71], v82
	ds_load_b128 v[83:86], v82 offset:16
	s_waitcnt lgkmcnt(1)
	v_lshrrev_b32_e32 v65, 16, v68
	v_lshlrev_b32_e32 v78, 2, v75
	s_waitcnt lgkmcnt(0)
	v_lshrrev_b32_e32 v91, 16, v83
	v_lshrrev_b32_e32 v72, 16, v69
	v_lshrrev_b32_e32 v97, 16, v84
	v_lshrrev_b32_e32 v95, 16, v70
	v_cmp_eq_u32_e32 vcc_lo, 1, v78
	v_lshrrev_b32_e32 v98, 16, v85
	v_lshrrev_b32_e32 v96, 16, v71
	;; [unrolled: 1-line block ×3, first 2 shown]
	v_cndmask_b32_e32 v81, v68, v65, vcc_lo
	v_or_b32_e32 v79, 1, v78
	v_cmp_eq_u32_e64 s4, 2, v78
	v_cndmask_b32_e32 v87, v83, v91, vcc_lo
	v_cmp_eq_u32_e64 s7, 3, v78
	v_cmp_eq_u32_e64 s9, 4, v78
	;; [unrolled: 1-line block ×3, first 2 shown]
	v_cndmask_b32_e64 v81, v81, v69, s4
	v_cmp_eq_u32_e64 s6, 2, v79
	v_cndmask_b32_e64 v87, v87, v84, s4
	v_cmp_eq_u32_e64 s8, 3, v79
	v_cndmask_b32_e64 v88, v68, v65, s3
	v_cndmask_b32_e64 v81, v81, v72, s7
	v_or_b32_e32 v77, 2, v78
	v_cndmask_b32_e64 v87, v87, v97, s7
	v_cndmask_b32_e64 v89, v83, v91, s3
	;; [unrolled: 1-line block ×4, first 2 shown]
	v_cmp_eq_u32_e64 s10, 5, v78
	v_cndmask_b32_e64 v87, v87, v85, s9
	v_cmp_eq_u32_e64 s11, 4, v79
	v_cndmask_b32_e64 v88, v88, v72, s8
	;; [unrolled: 2-line block ×3, first 2 shown]
	v_cndmask_b32_e64 v81, v81, v95, s10
	v_cmp_eq_u32_e64 s12, 6, v78
	v_cndmask_b32_e64 v88, v88, v70, s11
	v_cndmask_b32_e64 v87, v87, v98, s10
	v_cmp_eq_u32_e64 s13, 5, v79
	v_cndmask_b32_e64 v90, v68, v65, s5
	v_cndmask_b32_e64 v89, v89, v97, s8
	;; [unrolled: 1-line block ×3, first 2 shown]
	v_cmp_eq_u32_e64 s16, 7, v78
	v_cndmask_b32_e64 v88, v88, v95, s13
	v_cndmask_b32_e64 v87, v87, v86, s12
	v_cmp_eq_u32_e64 s17, 6, v79
	v_cmp_eq_u32_e64 s18, 2, v77
	v_cndmask_b32_e64 v89, v89, v85, s11
	v_cndmask_b32_e64 v100, v81, v96, s16
	;; [unrolled: 1-line block ×6, first 2 shown]
	v_cmp_eq_u32_e64 s19, 7, v79
	v_cmp_eq_u32_e64 s20, 3, v77
	;; [unrolled: 1-line block ×4, first 2 shown]
	v_cndmask_b32_e64 v87, v87, v84, s18
	v_cndmask_b32_e64 v102, v88, v96, s19
	;; [unrolled: 1-line block ×4, first 2 shown]
	v_or_b32_e32 v81, 3, v78
	v_cndmask_b32_e64 v93, v87, v97, s20
	v_cmp_eq_u32_e64 s25, 6, v77
	v_cndmask_b32_e64 v103, v88, v86, s17
	v_cndmask_b32_e64 v92, v89, v70, s21
	v_cmp_eq_u32_e64 s22, 1, v81
	ds_load_b128 v[87:90], v82 offset:1024
	v_cmp_eq_u32_e64 s24, 2, v81
	v_cmp_eq_u32_e64 s26, 3, v81
	v_cndmask_b32_e64 v104, v92, v95, s23
	v_cndmask_b32_e64 v65, v68, v65, s22
	;; [unrolled: 1-line block ×4, first 2 shown]
	ds_load_b128 v[91:94], v82 offset:1040
	v_cmp_eq_u32_e64 s27, 4, v81
	v_cndmask_b32_e64 v65, v65, v69, s24
	v_cmp_eq_u32_e64 s29, 5, v81
	v_cndmask_b32_e64 v69, v83, v84, s24
	v_cmp_eq_u32_e64 s28, 7, v77
	v_cmp_eq_u32_e64 s30, 6, v81
	v_cndmask_b32_e64 v65, v65, v72, s26
	v_cndmask_b32_e64 v72, v104, v71, s25
	;; [unrolled: 1-line block ×6, first 2 shown]
	s_waitcnt lgkmcnt(1)
	v_lshrrev_b32_e32 v84, 16, v87
	v_cndmask_b32_e64 v69, v69, v85, s27
	v_cndmask_b32_e64 v70, v72, v96, s28
	;; [unrolled: 1-line block ×4, first 2 shown]
	v_lshrrev_b32_e32 v95, 16, v88
	v_cndmask_b32_e64 v69, v69, v98, s29
	s_waitcnt lgkmcnt(0)
	v_lshrrev_b32_e32 v85, 16, v91
	v_cndmask_b32_e64 v97, v87, v84, s3
	v_cndmask_b32_e64 v65, v65, v71, s30
	;; [unrolled: 1-line block ×4, first 2 shown]
	v_cndmask_b32_e32 v72, v87, v84, vcc_lo
	v_cndmask_b32_e32 v98, v91, v85, vcc_lo
	v_cmp_eq_u32_e32 vcc_lo, 7, v81
	v_perm_b32 v70, v68, v70, 0x5040100
	v_cndmask_b32_e32 v65, v65, v96, vcc_lo
	v_cndmask_b32_e32 v69, v69, v99, vcc_lo
	v_cndmask_b32_e64 v72, v72, v88, s4
	v_cndmask_b32_e64 v86, v98, v92, s4
	v_lshrrev_b32_e32 v99, 16, v93
	v_lshrrev_b32_e32 v98, 16, v89
	s_delay_alu instid0(VALU_DEP_4) | instskip(SKIP_2) | instid1(VALU_DEP_3)
	v_cndmask_b32_e64 v71, v72, v95, s7
	v_cndmask_b32_e64 v72, v97, v88, s6
	v_lshrrev_b32_e32 v97, 16, v92
	v_cndmask_b32_e64 v71, v71, v89, s9
	s_delay_alu instid0(VALU_DEP_3) | instskip(NEXT) | instid1(VALU_DEP_3)
	v_cndmask_b32_e64 v72, v72, v95, s8
	v_cndmask_b32_e64 v86, v86, v97, s7
	s_delay_alu instid0(VALU_DEP_3) | instskip(SKIP_1) | instid1(VALU_DEP_3)
	v_cndmask_b32_e64 v96, v71, v98, s10
	v_perm_b32 v71, v69, v65, 0x5040100
	v_cndmask_b32_e64 v86, v86, v93, s9
	v_perm_b32 v69, v83, v102, 0x5040100
	v_cndmask_b32_e64 v102, v91, v85, s5
	v_cndmask_b32_e64 v72, v72, v89, s11
	v_lshrrev_b32_e32 v83, 16, v94
	v_cndmask_b32_e64 v86, v86, v99, s10
	s_delay_alu instid0(VALU_DEP_3) | instskip(SKIP_1) | instid1(VALU_DEP_3)
	v_cndmask_b32_e64 v65, v72, v98, s13
	v_cndmask_b32_e64 v72, v96, v90, s12
	;; [unrolled: 1-line block ×7, first 2 shown]
	v_lshrrev_b32_e32 v96, 16, v90
	v_cndmask_b32_e64 v86, v86, v88, s18
	v_cndmask_b32_e64 v84, v84, v88, s24
	;; [unrolled: 1-line block ×29, first 2 shown]
	v_cndmask_b32_e32 v84, v84, v96, vcc_lo
	v_cndmask_b32_e32 v86, v87, v83, vcc_lo
	v_cndmask_b32_e64 v87, v88, v83, s28
	v_cndmask_b32_e64 v88, v85, v83, s19
	v_cndmask_b32_e64 v83, v68, v83, s16
	v_perm_b32 v68, v101, v100, 0x5040100
	v_perm_b32 v86, v86, v84, 0x5040100
	;; [unrolled: 1-line block ×5, first 2 shown]
	s_mov_b32 s3, exec_lo
	ds_store_b128 v76, v[68:71]
	ds_store_b128 v76, v[83:86] offset:1024
	v_cmpx_eq_u32_e32 0, v0
	s_cbranch_execz .LBB1502_77
; %bb.76:
	s_load_b128 s[4:7], s[0:1], 0x58
	s_mul_i32 s8, s37, s34
	v_mov_b32_e32 v65, 0
	s_add_i32 s8, s8, s15
	s_delay_alu instid0(SALU_CYCLE_1) | instskip(NEXT) | instid1(SALU_CYCLE_1)
	s_mul_i32 s8, s8, s36
	s_add_i32 s8, s8, s14
	s_delay_alu instid0(SALU_CYCLE_1) | instskip(NEXT) | instid1(SALU_CYCLE_1)
	s_ashr_i32 s9, s8, 31
	s_lshl_b64 s[8:9], s[8:9], 2
	s_waitcnt lgkmcnt(0)
	s_add_u32 s6, s6, s8
	s_addc_u32 s7, s7, s9
	s_add_u32 s4, s4, s8
	s_addc_u32 s5, s5, s9
	s_clause 0x1
	global_store_b32 v65, v66, s[6:7]
	global_store_b32 v65, v67, s[4:5]
.LBB1502_77:
	s_or_b32 exec_lo, exec_lo, s3
	s_waitcnt lgkmcnt(0)
	s_waitcnt_vscnt null, 0x0
	s_barrier
	buffer_gl0_inv
	ds_load_b128 v[83:86], v80
	ds_load_b128 v[87:90], v80 offset:16
	ds_load_b128 v[95:98], v80 offset:2064
	;; [unrolled: 1-line block ×3, first 2 shown]
	v_mov_b32_e32 v65, 0
	ds_load_b128 v[103:106], v80 offset:4112
	ds_load_b128 v[99:102], v80 offset:4096
	ds_load_b128 v[111:114], v80 offset:6160
	ds_load_b128 v[107:110], v80 offset:6144
	v_mov_b32_e32 v66, v65
	v_mov_b32_e32 v67, v65
	;; [unrolled: 1-line block ×7, first 2 shown]
	s_waitcnt lgkmcnt(6)
	s_delay_alu instid0(VALU_DEP_1)
	v_wmma_f32_16x16x16_bf16 v[65:72], v[49:56], v[83:90], v[65:72]
	ds_load_b128 v[53:56], v80 offset:8208
	ds_load_b128 v[49:52], v80 offset:8192
	s_waitcnt lgkmcnt(6)
	v_wmma_f32_16x16x16_bf16 v[65:72], v[41:48], v[91:98], v[65:72]
	ds_load_b128 v[45:48], v80 offset:10256
	ds_load_b128 v[41:44], v80 offset:10240
	s_waitcnt lgkmcnt(6)
	;; [unrolled: 4-line block ×4, first 2 shown]
	v_wmma_f32_16x16x16_bf16 v[65:72], v[1:8], v[49:56], v[65:72]
	s_waitcnt lgkmcnt(4)
	s_delay_alu instid0(VALU_DEP_1) | instskip(SKIP_1) | instid1(VALU_DEP_1)
	v_wmma_f32_16x16x16_bf16 v[65:72], v[9:16], v[41:48], v[65:72]
	s_waitcnt lgkmcnt(2)
	v_wmma_f32_16x16x16_bf16 v[65:72], v[17:24], v[33:40], v[65:72]
	s_waitcnt lgkmcnt(0)
	s_delay_alu instid0(VALU_DEP_1) | instskip(NEXT) | instid1(VALU_DEP_1)
	v_wmma_f32_16x16x16_bf16 v[65:72], v[57:64], v[25:32], v[65:72]
	v_and_b32_e32 v1, 0x7f800000, v65
	s_delay_alu instid0(VALU_DEP_1) | instskip(SKIP_1) | instid1(SALU_CYCLE_1)
	v_cmp_ne_u32_e32 vcc_lo, 0x7f800000, v1
                                        ; implicit-def: $vgpr1
	s_and_saveexec_b32 s3, vcc_lo
	s_xor_b32 s3, exec_lo, s3
; %bb.78:
	v_bfe_u32 v1, v65, 16, 1
	s_delay_alu instid0(VALU_DEP_1)
	v_add3_u32 v1, v65, v1, 0x7fff
; %bb.79:
	s_and_not1_saveexec_b32 s3, s3
; %bb.80:
	v_and_b32_e32 v1, 0xffff, v65
	v_or_b32_e32 v2, 0x10000, v65
	s_delay_alu instid0(VALU_DEP_2) | instskip(NEXT) | instid1(VALU_DEP_2)
	v_cmp_eq_u32_e32 vcc_lo, 0, v1
	v_cndmask_b32_e32 v1, v2, v65, vcc_lo
; %bb.81:
	s_or_b32 exec_lo, exec_lo, s3
	v_and_b32_e32 v2, 0x7f800000, v66
	s_delay_alu instid0(VALU_DEP_1) | instskip(SKIP_1) | instid1(SALU_CYCLE_1)
	v_cmp_ne_u32_e32 vcc_lo, 0x7f800000, v2
                                        ; implicit-def: $vgpr2
	s_and_saveexec_b32 s3, vcc_lo
	s_xor_b32 s3, exec_lo, s3
; %bb.82:
	v_bfe_u32 v2, v66, 16, 1
	s_delay_alu instid0(VALU_DEP_1)
	v_add3_u32 v2, v66, v2, 0x7fff
; %bb.83:
	s_and_not1_saveexec_b32 s3, s3
; %bb.84:
	v_and_b32_e32 v2, 0xffff, v66
	v_or_b32_e32 v3, 0x10000, v66
	s_delay_alu instid0(VALU_DEP_2) | instskip(NEXT) | instid1(VALU_DEP_2)
	v_cmp_eq_u32_e32 vcc_lo, 0, v2
	v_cndmask_b32_e32 v2, v3, v66, vcc_lo
; %bb.85:
	s_or_b32 exec_lo, exec_lo, s3
	v_and_b32_e32 v3, 0x7f800000, v67
	s_delay_alu instid0(VALU_DEP_1) | instskip(SKIP_1) | instid1(SALU_CYCLE_1)
	v_cmp_ne_u32_e32 vcc_lo, 0x7f800000, v3
                                        ; implicit-def: $vgpr3
	s_and_saveexec_b32 s3, vcc_lo
	s_xor_b32 s3, exec_lo, s3
; %bb.86:
	v_bfe_u32 v3, v67, 16, 1
	s_delay_alu instid0(VALU_DEP_1)
	v_add3_u32 v3, v67, v3, 0x7fff
; %bb.87:
	s_and_not1_saveexec_b32 s3, s3
; %bb.88:
	v_and_b32_e32 v3, 0xffff, v67
	v_or_b32_e32 v4, 0x10000, v67
	s_delay_alu instid0(VALU_DEP_2) | instskip(NEXT) | instid1(VALU_DEP_2)
	v_cmp_eq_u32_e32 vcc_lo, 0, v3
	v_cndmask_b32_e32 v3, v4, v67, vcc_lo
; %bb.89:
	s_or_b32 exec_lo, exec_lo, s3
	v_and_b32_e32 v4, 0x7f800000, v68
	s_delay_alu instid0(VALU_DEP_1) | instskip(SKIP_1) | instid1(SALU_CYCLE_1)
	v_cmp_ne_u32_e32 vcc_lo, 0x7f800000, v4
                                        ; implicit-def: $vgpr4
	s_and_saveexec_b32 s3, vcc_lo
	s_xor_b32 s3, exec_lo, s3
; %bb.90:
	v_bfe_u32 v4, v68, 16, 1
	s_delay_alu instid0(VALU_DEP_1)
	v_add3_u32 v4, v68, v4, 0x7fff
; %bb.91:
	s_and_not1_saveexec_b32 s3, s3
; %bb.92:
	v_and_b32_e32 v4, 0xffff, v68
	v_or_b32_e32 v5, 0x10000, v68
	s_delay_alu instid0(VALU_DEP_2) | instskip(NEXT) | instid1(VALU_DEP_2)
	v_cmp_eq_u32_e32 vcc_lo, 0, v4
	v_cndmask_b32_e32 v4, v5, v68, vcc_lo
; %bb.93:
	s_or_b32 exec_lo, exec_lo, s3
	v_and_b32_e32 v5, 0x7f800000, v69
	s_delay_alu instid0(VALU_DEP_1) | instskip(SKIP_1) | instid1(SALU_CYCLE_1)
	v_cmp_ne_u32_e32 vcc_lo, 0x7f800000, v5
                                        ; implicit-def: $vgpr5
	s_and_saveexec_b32 s3, vcc_lo
	s_xor_b32 s3, exec_lo, s3
; %bb.94:
	v_bfe_u32 v5, v69, 16, 1
	s_delay_alu instid0(VALU_DEP_1)
	v_add3_u32 v5, v69, v5, 0x7fff
; %bb.95:
	s_and_not1_saveexec_b32 s3, s3
; %bb.96:
	v_and_b32_e32 v5, 0xffff, v69
	v_or_b32_e32 v6, 0x10000, v69
	s_delay_alu instid0(VALU_DEP_2) | instskip(NEXT) | instid1(VALU_DEP_2)
	v_cmp_eq_u32_e32 vcc_lo, 0, v5
	v_cndmask_b32_e32 v5, v6, v69, vcc_lo
; %bb.97:
	s_or_b32 exec_lo, exec_lo, s3
	v_and_b32_e32 v6, 0x7f800000, v70
	s_delay_alu instid0(VALU_DEP_1) | instskip(SKIP_1) | instid1(SALU_CYCLE_1)
	v_cmp_ne_u32_e32 vcc_lo, 0x7f800000, v6
                                        ; implicit-def: $vgpr6
	s_and_saveexec_b32 s3, vcc_lo
	s_xor_b32 s3, exec_lo, s3
; %bb.98:
	v_bfe_u32 v6, v70, 16, 1
	s_delay_alu instid0(VALU_DEP_1)
	v_add3_u32 v6, v70, v6, 0x7fff
; %bb.99:
	s_and_not1_saveexec_b32 s3, s3
; %bb.100:
	v_and_b32_e32 v6, 0xffff, v70
	v_or_b32_e32 v7, 0x10000, v70
	s_delay_alu instid0(VALU_DEP_2) | instskip(NEXT) | instid1(VALU_DEP_2)
	v_cmp_eq_u32_e32 vcc_lo, 0, v6
	v_cndmask_b32_e32 v6, v7, v70, vcc_lo
; %bb.101:
	s_or_b32 exec_lo, exec_lo, s3
	v_and_b32_e32 v7, 0x7f800000, v71
	s_delay_alu instid0(VALU_DEP_1) | instskip(SKIP_1) | instid1(SALU_CYCLE_1)
	v_cmp_ne_u32_e32 vcc_lo, 0x7f800000, v7
                                        ; implicit-def: $vgpr7
	s_and_saveexec_b32 s3, vcc_lo
	s_xor_b32 s3, exec_lo, s3
; %bb.102:
	v_bfe_u32 v7, v71, 16, 1
	s_delay_alu instid0(VALU_DEP_1)
	v_add3_u32 v7, v71, v7, 0x7fff
; %bb.103:
	s_and_not1_saveexec_b32 s3, s3
; %bb.104:
	v_and_b32_e32 v7, 0xffff, v71
	v_or_b32_e32 v8, 0x10000, v71
	s_delay_alu instid0(VALU_DEP_2) | instskip(NEXT) | instid1(VALU_DEP_2)
	v_cmp_eq_u32_e32 vcc_lo, 0, v7
	v_cndmask_b32_e32 v7, v8, v71, vcc_lo
; %bb.105:
	s_or_b32 exec_lo, exec_lo, s3
	v_and_b32_e32 v8, 0x7f800000, v72
	s_delay_alu instid0(VALU_DEP_1) | instskip(SKIP_1) | instid1(SALU_CYCLE_1)
	v_cmp_ne_u32_e32 vcc_lo, 0x7f800000, v8
                                        ; implicit-def: $vgpr8
	s_and_saveexec_b32 s3, vcc_lo
	s_xor_b32 s3, exec_lo, s3
; %bb.106:
	v_bfe_u32 v8, v72, 16, 1
	s_delay_alu instid0(VALU_DEP_1)
	v_add3_u32 v8, v72, v8, 0x7fff
                                        ; implicit-def: $vgpr65_vgpr66_vgpr67_vgpr68_vgpr69_vgpr70_vgpr71_vgpr72
; %bb.107:
	s_and_not1_saveexec_b32 s3, s3
; %bb.108:
	v_and_b32_e32 v8, 0xffff, v72
	v_or_b32_e32 v9, 0x10000, v72
	s_delay_alu instid0(VALU_DEP_2) | instskip(NEXT) | instid1(VALU_DEP_2)
	v_cmp_eq_u32_e32 vcc_lo, 0, v8
	v_cndmask_b32_e32 v8, v9, v72, vcc_lo
; %bb.109:
	s_or_b32 exec_lo, exec_lo, s3
	s_delay_alu instid0(VALU_DEP_1)
	v_perm_b32 v7, v8, v7, 0x7060302
	v_perm_b32 v6, v6, v5, 0x7060302
	;; [unrolled: 1-line block ×4, first 2 shown]
	s_barrier
	buffer_gl0_inv
	v_cmp_eq_u32_e32 vcc_lo, 1, v78
	ds_store_b128 v76, v[4:7]
	s_waitcnt lgkmcnt(0)
	s_barrier
	buffer_gl0_inv
	ds_load_b128 v[1:4], v82
	ds_load_b128 v[5:8], v82 offset:16
	v_cmp_eq_u32_e64 s3, 1, v79
	v_cmp_eq_u32_e64 s4, 2, v78
	;; [unrolled: 1-line block ×5, first 2 shown]
	s_waitcnt lgkmcnt(1)
	v_lshrrev_b32_e32 v9, 16, v1
	s_waitcnt lgkmcnt(0)
	v_lshrrev_b32_e32 v13, 16, v5
	v_lshrrev_b32_e32 v10, 16, v2
	;; [unrolled: 1-line block ×4, first 2 shown]
	v_cndmask_b32_e64 v19, v1, v9, s3
	v_cndmask_b32_e32 v18, v5, v13, vcc_lo
	v_cndmask_b32_e64 v20, v5, v13, s3
	v_cndmask_b32_e32 v17, v1, v9, vcc_lo
	v_cmp_eq_u32_e32 vcc_lo, 2, v79
	v_lshrrev_b32_e32 v15, 16, v7
	v_cmp_eq_u32_e64 s3, 1, v77
	v_lshrrev_b32_e32 v12, 16, v4
	v_lshrrev_b32_e32 v16, 16, v8
	v_cndmask_b32_e32 v20, v20, v6, vcc_lo
	v_cndmask_b32_e64 v17, v17, v2, s4
	v_cndmask_b32_e32 v19, v19, v2, vcc_lo
	v_cndmask_b32_e64 v18, v18, v6, s4
	v_cmp_eq_u32_e32 vcc_lo, 4, v78
	v_cmp_eq_u32_e64 s4, 3, v79
	v_cndmask_b32_e64 v17, v17, v10, s5
	v_cndmask_b32_e64 v21, v1, v9, s3
	;; [unrolled: 1-line block ×5, first 2 shown]
	v_cndmask_b32_e32 v17, v17, v3, vcc_lo
	v_cndmask_b32_e64 v20, v20, v14, s4
	v_cndmask_b32_e32 v18, v18, v7, vcc_lo
	v_cmp_eq_u32_e32 vcc_lo, 4, v79
	v_cmp_eq_u32_e64 s4, 5, v79
	v_cmp_eq_u32_e64 s3, 2, v81
	v_cndmask_b32_e64 v21, v21, v2, s7
	v_cmp_eq_u32_e64 s5, 5, v78
	v_cndmask_b32_e32 v19, v19, v3, vcc_lo
	v_cndmask_b32_e32 v20, v20, v7, vcc_lo
	v_cmp_eq_u32_e32 vcc_lo, 6, v79
	s_delay_alu instid0(VALU_DEP_4) | instskip(NEXT) | instid1(VALU_DEP_4)
	v_cndmask_b32_e64 v17, v17, v11, s5
	v_cndmask_b32_e64 v19, v19, v11, s4
	s_delay_alu instid0(VALU_DEP_4) | instskip(SKIP_1) | instid1(VALU_DEP_3)
	v_cndmask_b32_e64 v20, v20, v15, s4
	v_cmp_eq_u32_e64 s4, 1, v81
	v_cndmask_b32_e32 v19, v19, v4, vcc_lo
	v_cndmask_b32_e64 v18, v18, v15, s5
	s_delay_alu instid0(VALU_DEP_3)
	v_cndmask_b32_e64 v1, v1, v9, s4
	v_cndmask_b32_e64 v5, v5, v13, s4
	v_cmp_eq_u32_e64 s4, 3, v77
	v_cndmask_b32_e64 v13, v22, v6, s7
	v_cmp_eq_u32_e64 s7, 3, v81
	v_cndmask_b32_e64 v1, v1, v2, s3
	v_cndmask_b32_e64 v2, v5, v6, s3
	;; [unrolled: 1-line block ×3, first 2 shown]
	v_cmp_eq_u32_e64 s3, 4, v77
	v_cndmask_b32_e64 v6, v13, v14, s4
	v_cndmask_b32_e64 v1, v1, v10, s7
	v_cmp_eq_u32_e64 s4, 4, v81
	v_cndmask_b32_e64 v2, v2, v14, s7
	v_cndmask_b32_e64 v5, v9, v3, s3
	;; [unrolled: 3-line block ×3, first 2 shown]
	v_cndmask_b32_e64 v2, v2, v7, s4
	v_cmp_eq_u32_e64 s3, 5, v81
	v_cndmask_b32_e64 v5, v5, v11, s7
	v_cndmask_b32_e64 v3, v6, v15, s7
	v_cmp_eq_u32_e64 s7, 6, v81
	v_cmp_eq_u32_e64 s5, 6, v78
	v_cndmask_b32_e64 v1, v1, v11, s3
	v_cndmask_b32_e64 v2, v2, v15, s3
	v_cmp_eq_u32_e64 s4, 6, v77
	v_cmp_eq_u32_e64 s3, 7, v81
	v_cndmask_b32_e64 v17, v17, v4, s5
	v_cndmask_b32_e64 v1, v1, v4, s7
	;; [unrolled: 1-line block ×4, first 2 shown]
	v_cmp_eq_u32_e64 s5, 7, v78
	v_cndmask_b32_e64 v5, v5, v4, s4
	v_cndmask_b32_e64 v3, v3, v8, s4
	v_cmp_eq_u32_e64 s4, 7, v77
	v_cndmask_b32_e32 v4, v20, v8, vcc_lo
	v_cndmask_b32_e64 v1, v1, v12, s3
	v_cndmask_b32_e64 v2, v2, v16, s3
	v_cmp_lt_u32_e32 vcc_lo, 31, v0
	v_cmp_lt_u32_e64 s3, 7, v73
	v_cndmask_b32_e64 v17, v17, v12, s5
	v_cndmask_b32_e64 v19, v19, v12, s6
	;; [unrolled: 1-line block ×6, first 2 shown]
	s_or_b32 s3, vcc_lo, s3
	v_perm_b32 v4, v2, v1, 0x5040100
	v_perm_b32 v3, v3, v5, 0x5040100
	;; [unrolled: 1-line block ×4, first 2 shown]
	s_or_b32 s2, s2, s3
	s_delay_alu instid0(SALU_CYCLE_1)
	s_xor_b32 s2, s2, -1
	ds_store_b128 v76, v[1:4]
	s_waitcnt lgkmcnt(0)
	s_barrier
	buffer_gl0_inv
	s_and_saveexec_b32 s3, s2
	s_cbranch_execz .LBB1502_2
; %bb.110:
	s_load_b64 s[0:1], s[0:1], 0x68
	v_lshlrev_b32_e32 v1, 10, v0
	v_and_b32_e32 v0, 1, v0
	v_lshlrev_b32_e32 v2, 6, v75
	s_lshl_b32 s4, s36, 6
	s_delay_alu instid0(VALU_DEP_3) | instskip(NEXT) | instid1(VALU_DEP_3)
	v_and_b32_e32 v1, 0x3800, v1
	v_lshlrev_b32_e32 v0, 4, v0
	s_mul_i32 s2, s4, s34
	s_delay_alu instid0(SALU_CYCLE_1) | instskip(NEXT) | instid1(VALU_DEP_1)
	s_mul_i32 s2, s2, s37
	v_or3_b32 v0, v1, v2, v0
	s_ashr_i32 s3, s2, 31
	s_delay_alu instid0(SALU_CYCLE_1)
	s_lshl_b64 s[2:3], s[2:3], 1
	ds_load_b128 v[0:3], v0
	s_waitcnt lgkmcnt(0)
	s_add_u32 s5, s0, s2
	s_addc_u32 s3, s1, s3
	s_lshl_b32 s0, s14, 6
	s_mul_i32 s2, s4, s15
	s_ashr_i32 s1, s0, 31
	s_delay_alu instid0(SALU_CYCLE_1) | instskip(NEXT) | instid1(SALU_CYCLE_1)
	s_lshl_b64 s[0:1], s[0:1], 1
	s_add_u32 s4, s5, s0
	s_addc_u32 s5, s3, s1
	s_ashr_i32 s3, s2, 31
	s_delay_alu instid0(SALU_CYCLE_1) | instskip(NEXT) | instid1(SALU_CYCLE_1)
	s_lshl_b64 s[0:1], s[2:3], 1
	s_add_u32 s0, s4, s0
	s_addc_u32 s1, s5, s1
	global_store_b128 v74, v[0:3], s[0:1]
	s_nop 0
	s_sendmsg sendmsg(MSG_DEALLOC_VGPRS)
	s_endpgm
	.section	.rodata,"a",@progbits
	.p2align	6, 0x0
	.amdhsa_kernel _Z39paged_attention_ll4mi_QKV_mfma16_kernelI14__hip_bfloat16hLN4vllm18Fp8KVCacheDataTypeE1ES0_Li32ELi64ELi256ELb0ELi1EL8MFMAType1EEvPKT_PKT0_S9_ifPKiSB_SB_iPKfiiiPfSE_PS4_PT2_iSD_SD_
		.amdhsa_group_segment_fixed_size 17472
		.amdhsa_private_segment_fixed_size 0
		.amdhsa_kernarg_size 400
		.amdhsa_user_sgpr_count 13
		.amdhsa_user_sgpr_dispatch_ptr 0
		.amdhsa_user_sgpr_queue_ptr 0
		.amdhsa_user_sgpr_kernarg_segment_ptr 1
		.amdhsa_user_sgpr_dispatch_id 0
		.amdhsa_user_sgpr_private_segment_size 0
		.amdhsa_wavefront_size32 1
		.amdhsa_uses_dynamic_stack 0
		.amdhsa_enable_private_segment 0
		.amdhsa_system_sgpr_workgroup_id_x 1
		.amdhsa_system_sgpr_workgroup_id_y 1
		.amdhsa_system_sgpr_workgroup_id_z 1
		.amdhsa_system_sgpr_workgroup_info 0
		.amdhsa_system_vgpr_workitem_id 0
		.amdhsa_next_free_vgpr 131
		.amdhsa_next_free_sgpr 50
		.amdhsa_reserve_vcc 1
		.amdhsa_float_round_mode_32 0
		.amdhsa_float_round_mode_16_64 0
		.amdhsa_float_denorm_mode_32 3
		.amdhsa_float_denorm_mode_16_64 3
		.amdhsa_dx10_clamp 1
		.amdhsa_ieee_mode 1
		.amdhsa_fp16_overflow 0
		.amdhsa_workgroup_processor_mode 1
		.amdhsa_memory_ordered 1
		.amdhsa_forward_progress 0
		.amdhsa_shared_vgpr_count 0
		.amdhsa_exception_fp_ieee_invalid_op 0
		.amdhsa_exception_fp_denorm_src 0
		.amdhsa_exception_fp_ieee_div_zero 0
		.amdhsa_exception_fp_ieee_overflow 0
		.amdhsa_exception_fp_ieee_underflow 0
		.amdhsa_exception_fp_ieee_inexact 0
		.amdhsa_exception_int_div_zero 0
	.end_amdhsa_kernel
	.section	.text._Z39paged_attention_ll4mi_QKV_mfma16_kernelI14__hip_bfloat16hLN4vllm18Fp8KVCacheDataTypeE1ES0_Li32ELi64ELi256ELb0ELi1EL8MFMAType1EEvPKT_PKT0_S9_ifPKiSB_SB_iPKfiiiPfSE_PS4_PT2_iSD_SD_,"axG",@progbits,_Z39paged_attention_ll4mi_QKV_mfma16_kernelI14__hip_bfloat16hLN4vllm18Fp8KVCacheDataTypeE1ES0_Li32ELi64ELi256ELb0ELi1EL8MFMAType1EEvPKT_PKT0_S9_ifPKiSB_SB_iPKfiiiPfSE_PS4_PT2_iSD_SD_,comdat
.Lfunc_end1502:
	.size	_Z39paged_attention_ll4mi_QKV_mfma16_kernelI14__hip_bfloat16hLN4vllm18Fp8KVCacheDataTypeE1ES0_Li32ELi64ELi256ELb0ELi1EL8MFMAType1EEvPKT_PKT0_S9_ifPKiSB_SB_iPKfiiiPfSE_PS4_PT2_iSD_SD_, .Lfunc_end1502-_Z39paged_attention_ll4mi_QKV_mfma16_kernelI14__hip_bfloat16hLN4vllm18Fp8KVCacheDataTypeE1ES0_Li32ELi64ELi256ELb0ELi1EL8MFMAType1EEvPKT_PKT0_S9_ifPKiSB_SB_iPKfiiiPfSE_PS4_PT2_iSD_SD_
                                        ; -- End function
	.section	.AMDGPU.csdata,"",@progbits
; Kernel info:
; codeLenInByte = 8428
; NumSgprs: 52
; NumVgprs: 131
; ScratchSize: 0
; MemoryBound: 1
; FloatMode: 240
; IeeeMode: 1
; LDSByteSize: 17472 bytes/workgroup (compile time only)
; SGPRBlocks: 6
; VGPRBlocks: 16
; NumSGPRsForWavesPerEU: 52
; NumVGPRsForWavesPerEU: 131
; Occupancy: 10
; WaveLimiterHint : 1
; COMPUTE_PGM_RSRC2:SCRATCH_EN: 0
; COMPUTE_PGM_RSRC2:USER_SGPR: 13
; COMPUTE_PGM_RSRC2:TRAP_HANDLER: 0
; COMPUTE_PGM_RSRC2:TGID_X_EN: 1
; COMPUTE_PGM_RSRC2:TGID_Y_EN: 1
; COMPUTE_PGM_RSRC2:TGID_Z_EN: 1
; COMPUTE_PGM_RSRC2:TIDIG_COMP_CNT: 0
	.section	.text._Z39paged_attention_ll4mi_QKV_mfma16_kernelI14__hip_bfloat16hLN4vllm18Fp8KVCacheDataTypeE1ES0_Li32ELi64ELi256ELb0ELi2EL8MFMAType1EEvPKT_PKT0_S9_ifPKiSB_SB_iPKfiiiPfSE_PS4_PT2_iSD_SD_,"axG",@progbits,_Z39paged_attention_ll4mi_QKV_mfma16_kernelI14__hip_bfloat16hLN4vllm18Fp8KVCacheDataTypeE1ES0_Li32ELi64ELi256ELb0ELi2EL8MFMAType1EEvPKT_PKT0_S9_ifPKiSB_SB_iPKfiiiPfSE_PS4_PT2_iSD_SD_,comdat
	.protected	_Z39paged_attention_ll4mi_QKV_mfma16_kernelI14__hip_bfloat16hLN4vllm18Fp8KVCacheDataTypeE1ES0_Li32ELi64ELi256ELb0ELi2EL8MFMAType1EEvPKT_PKT0_S9_ifPKiSB_SB_iPKfiiiPfSE_PS4_PT2_iSD_SD_ ; -- Begin function _Z39paged_attention_ll4mi_QKV_mfma16_kernelI14__hip_bfloat16hLN4vllm18Fp8KVCacheDataTypeE1ES0_Li32ELi64ELi256ELb0ELi2EL8MFMAType1EEvPKT_PKT0_S9_ifPKiSB_SB_iPKfiiiPfSE_PS4_PT2_iSD_SD_
	.globl	_Z39paged_attention_ll4mi_QKV_mfma16_kernelI14__hip_bfloat16hLN4vllm18Fp8KVCacheDataTypeE1ES0_Li32ELi64ELi256ELb0ELi2EL8MFMAType1EEvPKT_PKT0_S9_ifPKiSB_SB_iPKfiiiPfSE_PS4_PT2_iSD_SD_
	.p2align	8
	.type	_Z39paged_attention_ll4mi_QKV_mfma16_kernelI14__hip_bfloat16hLN4vllm18Fp8KVCacheDataTypeE1ES0_Li32ELi64ELi256ELb0ELi2EL8MFMAType1EEvPKT_PKT0_S9_ifPKiSB_SB_iPKfiiiPfSE_PS4_PT2_iSD_SD_,@function
_Z39paged_attention_ll4mi_QKV_mfma16_kernelI14__hip_bfloat16hLN4vllm18Fp8KVCacheDataTypeE1ES0_Li32ELi64ELi256ELb0ELi2EL8MFMAType1EEvPKT_PKT0_S9_ifPKiSB_SB_iPKfiiiPfSE_PS4_PT2_iSD_SD_: ; @_Z39paged_attention_ll4mi_QKV_mfma16_kernelI14__hip_bfloat16hLN4vllm18Fp8KVCacheDataTypeE1ES0_Li32ELi64ELi256ELb0ELi2EL8MFMAType1EEvPKT_PKT0_S9_ifPKiSB_SB_iPKfiiiPfSE_PS4_PT2_iSD_SD_
; %bb.0:
	s_load_b64 s[2:3], s[0:1], 0x30
	s_mov_b32 s30, s13
	s_waitcnt lgkmcnt(0)
	s_cmp_lg_u64 s[2:3], 0
	s_cselect_b32 s8, -1, 0
	s_ashr_i32 s31, s13, 31
	s_cmp_eq_u64 s[2:3], 0
	s_cbranch_scc1 .LBB1503_3
; %bb.1:
	s_lshl_b64 s[4:5], s[30:31], 2
	s_delay_alu instid0(SALU_CYCLE_1) | instskip(SKIP_4) | instid1(SALU_CYCLE_1)
	s_add_u32 s4, s2, s4
	s_addc_u32 s5, s3, s5
	s_load_b64 s[4:5], s[4:5], 0x0
	s_waitcnt lgkmcnt(0)
	s_sub_i32 s4, s5, s4
	s_cmp_eq_u32 s4, 1
	s_cselect_b32 s4, -1, 0
	s_delay_alu instid0(SALU_CYCLE_1)
	s_and_not1_b32 vcc_lo, exec_lo, s4
	s_cbranch_vccz .LBB1503_4
.LBB1503_2:
	s_endpgm
.LBB1503_3:
.LBB1503_4:
	s_load_b64 s[4:5], s[0:1], 0x28
	s_lshl_b64 s[6:7], s[30:31], 2
	s_waitcnt lgkmcnt(0)
	s_add_u32 s4, s4, s6
	s_addc_u32 s5, s5, s7
	s_lshl_b32 s12, s14, 8
	s_load_b32 s24, s[4:5], 0x0
	s_waitcnt lgkmcnt(0)
	s_cmp_ge_i32 s12, s24
	s_cbranch_scc1 .LBB1503_2
; %bb.5:
	s_clause 0x1
	s_load_b128 s[20:23], s[0:1], 0x8
	s_load_b64 s[4:5], s[0:1], 0x20
	s_and_not1_b32 vcc_lo, exec_lo, s8
	s_cbranch_vccnz .LBB1503_7
; %bb.6:
	s_add_u32 s2, s2, s6
	s_addc_u32 s3, s3, s7
	s_load_b32 s3, s[2:3], 0x0
	s_branch .LBB1503_8
.LBB1503_7:
	s_mov_b32 s3, s30
.LBB1503_8:
	s_load_b128 s[16:19], s[0:1], 0x48
	v_and_b32_e32 v66, 15, v0
	v_bfe_u32 v65, v0, 4, 1
	s_lshl_b32 s31, s15, 1
	v_cmp_gt_u32_e32 vcc_lo, 32, v0
	v_and_b32_e32 v68, 31, v0
	v_lshlrev_b32_e32 v1, 3, v66
	v_cmp_gt_u32_e64 s2, 8, v66
	v_and_b32_e32 v76, 1, v0
	v_or_b32_e32 v75, s31, v65
	v_lshlrev_b32_e32 v74, 6, v65
	v_lshlrev_b32_e32 v73, 1, v1
	s_and_b32 s29, vcc_lo, s2
	s_delay_alu instid0(SALU_CYCLE_1)
	s_and_saveexec_b32 s2, s29
	s_cbranch_execz .LBB1503_10
; %bb.9:
	s_load_b64 s[6:7], s[0:1], 0x0
	v_lshlrev_b32_e32 v1, 6, v75
	s_waitcnt lgkmcnt(0)
	s_mul_hi_i32 s9, s3, s16
	s_mul_i32 s8, s3, s16
	v_lshlrev_b32_e32 v5, 10, v66
	s_lshl_b64 s[8:9], s[8:9], 1
	v_ashrrev_i32_e32 v2, 31, v1
	v_lshlrev_b32_e32 v6, 10, v76
	s_delay_alu instid0(VALU_DEP_3) | instskip(NEXT) | instid1(VALU_DEP_3)
	v_and_b32_e32 v5, 0x3800, v5
	v_lshlrev_b64 v[1:2], 1, v[1:2]
	s_delay_alu instid0(VALU_DEP_2) | instskip(SKIP_2) | instid1(VALU_DEP_2)
	v_or3_b32 v5, v5, v6, v74
	s_add_u32 s3, s6, s8
	s_addc_u32 s6, s7, s9
	v_add_co_u32 v1, vcc_lo, s3, v1
	s_delay_alu instid0(VALU_DEP_3) | instskip(NEXT) | instid1(VALU_DEP_2)
	v_add_co_ci_u32_e32 v2, vcc_lo, s6, v2, vcc_lo
	v_add_co_u32 v1, vcc_lo, v1, v73
	s_delay_alu instid0(VALU_DEP_2)
	v_add_co_ci_u32_e32 v2, vcc_lo, 0, v2, vcc_lo
	global_load_b128 v[1:4], v[1:2], off
	s_waitcnt vmcnt(0)
	ds_store_b128 v5, v[1:4]
.LBB1503_10:
	s_or_b32 exec_lo, exec_lo, s2
	v_and_b32_e32 v1, 0xef, v0
	s_add_i32 s2, s24, 31
	s_waitcnt lgkmcnt(0)
	s_clause 0x1
	s_load_b32 s3, s[0:1], 0x38
	s_load_b32 s19, s[0:1], 0x1c
	s_ashr_i32 s6, s2, 31
	v_add_nc_u32_e32 v1, s12, v1
	s_lshr_b32 s6, s6, 27
	s_waitcnt lgkmcnt(0)
	s_add_i32 s2, s2, s6
	s_barrier
	v_ashrrev_i32_e32 v2, 31, v1
	v_or_b32_e32 v3, 16, v1
	s_ashr_i32 s2, s2, 5
	v_cmp_gt_i32_e32 vcc_lo, s24, v1
	s_add_i32 s2, s2, -1
	v_lshrrev_b32_e32 v2, 27, v2
	buffer_gl0_inv
	s_mul_i32 s27, s15, s18
	v_lshrrev_b32_e32 v67, 5, v0
	v_add_nc_u32_e32 v4, v1, v2
	s_mul_i32 s6, s30, s3
	s_delay_alu instid0(SALU_CYCLE_1) | instskip(NEXT) | instid1(VALU_DEP_1)
	s_ashr_i32 s7, s6, 31
	v_ashrrev_i32_e32 v4, 5, v4
	v_add_nc_u32_e32 v2, v3, v2
	s_lshl_b64 s[6:7], s[6:7], 2
	s_delay_alu instid0(SALU_CYCLE_1) | instskip(NEXT) | instid1(VALU_DEP_2)
	s_add_u32 s26, s4, s6
	v_cndmask_b32_e32 v1, s2, v4, vcc_lo
	s_delay_alu instid0(VALU_DEP_2)
	v_ashrrev_i32_e32 v2, 5, v2
	v_cmp_gt_i32_e32 vcc_lo, s24, v3
	s_addc_u32 s25, s5, s7
	s_ashr_i32 s28, s27, 31
	s_add_u32 s4, s20, s27
	s_addc_u32 s5, s21, s28
	v_cndmask_b32_e32 v3, s2, v2, vcc_lo
	v_ashrrev_i32_e32 v2, 31, v1
	s_lshl_b32 s6, s14, 3
	s_delay_alu instid0(SALU_CYCLE_1) | instskip(NEXT) | instid1(VALU_DEP_2)
	s_ashr_i32 s7, s6, 31
	v_ashrrev_i32_e32 v4, 31, v3
	s_delay_alu instid0(VALU_DEP_2) | instskip(SKIP_1) | instid1(SALU_CYCLE_1)
	v_lshlrev_b64 v[1:2], 2, v[1:2]
	s_lshl_b64 s[6:7], s[6:7], 2
	s_add_u32 s6, s26, s6
	s_delay_alu instid0(VALU_DEP_2) | instskip(SKIP_1) | instid1(VALU_DEP_2)
	v_lshlrev_b64 v[3:4], 2, v[3:4]
	s_addc_u32 s7, s25, s7
	v_add_co_u32 v1, vcc_lo, s26, v1
	v_add_co_ci_u32_e32 v2, vcc_lo, s25, v2, vcc_lo
	s_delay_alu instid0(VALU_DEP_3) | instskip(NEXT) | instid1(VALU_DEP_4)
	v_add_co_u32 v3, vcc_lo, s26, v3
	v_add_co_ci_u32_e32 v4, vcc_lo, s25, v4, vcc_lo
	s_clause 0x1
	global_load_b32 v5, v[1:2], off
	global_load_b32 v6, v[3:4], off
	s_or_b32 s3, s12, 32
	s_delay_alu instid0(SALU_CYCLE_1) | instskip(SKIP_2) | instid1(SALU_CYCLE_1)
	s_ashr_i32 s8, s3, 5
	s_cmp_lt_i32 s3, s24
	s_cselect_b32 s8, s8, s2
	s_ashr_i32 s9, s8, 31
	s_delay_alu instid0(SALU_CYCLE_1) | instskip(NEXT) | instid1(SALU_CYCLE_1)
	s_lshl_b64 s[8:9], s[8:9], 2
	s_add_u32 s8, s26, s8
	s_addc_u32 s9, s25, s9
	s_or_b32 s3, s12, 64
	s_delay_alu instid0(SALU_CYCLE_1) | instskip(SKIP_2) | instid1(SALU_CYCLE_1)
	s_ashr_i32 s10, s3, 5
	s_cmp_lt_i32 s3, s24
	s_cselect_b32 s10, s10, s2
	s_ashr_i32 s11, s10, 31
	s_delay_alu instid0(SALU_CYCLE_1) | instskip(NEXT) | instid1(SALU_CYCLE_1)
	s_lshl_b64 s[10:11], s[10:11], 2
	s_add_u32 s10, s26, s10
	s_addc_u32 s11, s25, s11
	;; [unrolled: 10-line block ×5, first 2 shown]
	s_clause 0x5
	s_load_b32 s20, s[6:7], 0x0
	s_load_b32 s3, s[8:9], 0x0
	;; [unrolled: 1-line block ×6, first 2 shown]
	s_or_b32 s6, s12, 0xc0
	s_delay_alu instid0(SALU_CYCLE_1) | instskip(SKIP_2) | instid1(SALU_CYCLE_1)
	s_ashr_i32 s7, s6, 5
	s_cmp_lt_i32 s6, s24
	s_cselect_b32 s10, s7, s2
	s_ashr_i32 s11, s10, 31
	s_delay_alu instid0(SALU_CYCLE_1) | instskip(NEXT) | instid1(SALU_CYCLE_1)
	s_lshl_b64 s[10:11], s[10:11], 2
	s_add_u32 s34, s26, s10
	s_addc_u32 s35, s25, s11
	s_or_b32 s11, s12, 0xe0
	s_delay_alu instid0(SALU_CYCLE_1) | instskip(SKIP_2) | instid1(SALU_CYCLE_1)
	s_ashr_i32 s21, s11, 5
	s_cmp_lt_i32 s11, s24
	s_cselect_b32 s36, s21, s2
	s_ashr_i32 s37, s36, 31
	s_waitcnt vmcnt(1)
	v_mad_i64_i32 v[1:2], null, v5, s17, s[4:5]
	s_waitcnt vmcnt(0)
	v_mad_i64_i32 v[3:4], null, v6, s17, s[4:5]
	s_mov_b32 s4, 0
	s_delay_alu instid0(SALU_CYCLE_1)
	s_mov_b32 s5, s4
	s_mov_b32 s6, s4
	;; [unrolled: 1-line block ×7, first 2 shown]
	s_delay_alu instid0(SALU_CYCLE_1) | instskip(SKIP_2) | instid1(VALU_DEP_3)
	v_dual_mov_b32 v108, s11 :: v_dual_lshlrev_b32 v5, 4, v66
	v_dual_mov_b32 v104, s7 :: v_dual_lshlrev_b32 v71, 6, v76
	v_mov_b32_e32 v102, s5
	v_add_co_u32 v1, vcc_lo, v1, v5
	v_add_co_ci_u32_e32 v2, vcc_lo, 0, v2, vcc_lo
	v_add_co_u32 v3, vcc_lo, v3, v5
	v_add_co_ci_u32_e32 v4, vcc_lo, 0, v4, vcc_lo
	s_clause 0x7
	global_load_b128 v[49:52], v[1:2], off
	global_load_b128 v[53:56], v[1:2], off offset:512
	global_load_b128 v[77:80], v[3:4], off offset:256
	;; [unrolled: 1-line block ×7, first 2 shown]
	v_lshlrev_b32_e32 v1, 5, v66
	v_dual_mov_b32 v107, s10 :: v_dual_mov_b32 v106, s9
	v_mov_b32_e32 v105, s8
	v_mov_b32_e32 v103, s6
	;; [unrolled: 1-line block ×3, first 2 shown]
	s_lshl_b64 s[4:5], s[36:37], 2
	v_lshl_or_b32 v1, v67, 9, v1
	s_add_u32 s4, s26, s4
	s_addc_u32 s5, s25, s5
	s_load_b32 s2, s[34:35], 0x0
	ds_load_b128 v[109:112], v71
	ds_load_b128 v[113:116], v71 offset:1024
	s_load_b32 s4, s[4:5], 0x0
	s_add_u32 s6, s22, s27
	s_addc_u32 s7, s23, s28
	v_add_co_u32 v9, s6, s6, v1
	s_delay_alu instid0(VALU_DEP_1) | instskip(SKIP_1) | instid1(VALU_DEP_1)
	v_add_co_ci_u32_e64 v10, null, s7, 0, s6
	s_waitcnt lgkmcnt(0)
	v_mad_i64_i32 v[1:2], null, s20, s17, v[9:10]
	v_mad_i64_i32 v[3:4], null, s3, s17, v[9:10]
	;; [unrolled: 1-line block ×7, first 2 shown]
	s_clause 0x9
	global_load_b128 v[57:60], v[1:2], off
	global_load_b128 v[61:64], v[1:2], off offset:16
	global_load_b128 v[41:44], v[3:4], off
	global_load_b128 v[45:48], v[3:4], off offset:16
	;; [unrolled: 2-line block ×5, first 2 shown]
	v_mad_i64_i32 v[69:70], null, s4, s17, v[9:10]
	s_clause 0x3
	global_load_b128 v[9:12], v[13:14], off
	global_load_b128 v[13:16], v[13:14], off offset:16
	global_load_b128 v[17:20], v[21:22], off
	global_load_b128 v[21:24], v[21:22], off offset:16
	s_waitcnt vmcnt(20)
	v_wmma_f32_16x16x16_bf16 v[117:124], v[49:56], v[109:116], v[101:108]
	s_clause 0x1
	global_load_b128 v[49:52], v[69:70], off
	global_load_b128 v[53:56], v[69:70], off offset:16
	s_waitcnt vmcnt(20)
	v_wmma_f32_16x16x16_bf16 v[101:108], v[77:84], v[109:116], v[101:108]
	ds_load_b128 v[77:80], v71 offset:2048
	ds_load_b128 v[81:84], v71 offset:3072
	v_mbcnt_lo_u32_b32 v70, -1, 0
	s_waitcnt vmcnt(0) lgkmcnt(0)
	s_barrier
	buffer_gl0_inv
	v_xor_b32_e32 v71, 16, v70
	s_delay_alu instid0(VALU_DEP_1) | instskip(SKIP_4) | instid1(VALU_DEP_2)
	v_cmp_gt_i32_e32 vcc_lo, 32, v71
	v_cndmask_b32_e32 v70, v70, v71, vcc_lo
	v_wmma_f32_16x16x16_bf16 v[117:124], v[85:92], v[77:84], v[117:124]
	v_and_b32_e32 v69, 0xe0, v0
	v_wmma_f32_16x16x16_bf16 v[101:108], v[93:100], v[77:84], v[101:108]
	v_dual_mul_f32 v94, s19, v118 :: v_dual_add_nc_u32 v69, s12, v69
	s_delay_alu instid0(VALU_DEP_2) | instskip(SKIP_1) | instid1(VALU_DEP_3)
	v_dual_mul_f32 v96, s19, v108 :: v_dual_mul_f32 v95, s19, v117
	v_dual_mul_f32 v84, s19, v120 :: v_dual_mul_f32 v93, s19, v119
	v_or_b32_e32 v69, v69, v65
	v_dual_mul_f32 v82, s19, v122 :: v_dual_mul_f32 v83, s19, v121
	v_mul_f32_e32 v100, s19, v104
	v_mul_f32_e32 v80, s19, v124
	s_delay_alu instid0(VALU_DEP_4)
	v_or_b32_e32 v71, 2, v69
	v_or_b32_e32 v72, 4, v69
	;; [unrolled: 1-line block ×3, first 2 shown]
	v_cmp_gt_i32_e64 s2, s24, v69
	v_or_b32_e32 v110, 8, v69
	v_cmp_gt_i32_e32 vcc_lo, s24, v71
	v_or_b32_e32 v85, 10, v69
	v_cmp_gt_i32_e64 s3, s24, v72
	v_cndmask_b32_e64 v95, 0xff7fffff, v95, s2
	v_cmp_gt_i32_e64 s4, s24, v109
	v_cndmask_b32_e32 v94, 0xff7fffff, v94, vcc_lo
	v_or_b32_e32 v86, 12, v69
	v_or_b32_e32 v87, 14, v69
	v_mul_f32_e32 v72, s19, v101
	v_cndmask_b32_e64 v93, 0xff7fffff, v93, s3
	v_cndmask_b32_e64 v84, 0xff7fffff, v84, s4
	v_max3_f32 v94, v95, 0xff7fffff, v94
	v_cmp_gt_i32_e64 s5, s24, v110
	v_cmp_gt_i32_e64 s6, s24, v85
	v_or_b32_e32 v88, 16, v69
	v_or_b32_e32 v89, 18, v69
	v_dual_mul_f32 v81, s19, v123 :: v_dual_mul_f32 v98, s19, v106
	v_cndmask_b32_e64 v83, 0xff7fffff, v83, s5
	v_cndmask_b32_e64 v82, 0xff7fffff, v82, s6
	v_max3_f32 v84, v94, v93, v84
	v_cmp_gt_i32_e64 s7, s24, v86
	v_cmp_gt_i32_e64 s8, s24, v87
	v_or_b32_e32 v90, 20, v69
	v_or_b32_e32 v91, 22, v69
	v_or_b32_e32 v92, 24, v69
	v_or_b32_e32 v77, 26, v69
	v_or_b32_e32 v78, 28, v69
	v_or_b32_e32 v79, 30, v69
	v_mul_f32_e32 v69, s19, v102
	v_cndmask_b32_e64 v81, 0xff7fffff, v81, s7
	v_cndmask_b32_e64 v80, 0xff7fffff, v80, s8
	v_max3_f32 v82, v84, v83, v82
	v_cmp_gt_i32_e64 s9, s24, v88
	v_cmp_gt_i32_e64 s10, s24, v89
	v_mul_f32_e32 v71, s19, v103
	v_cmp_gt_i32_e64 s11, s24, v90
	v_max3_f32 v80, v82, v81, v80
	v_cndmask_b32_e64 v72, 0xff7fffff, v72, s9
	v_cndmask_b32_e64 v69, 0xff7fffff, v69, s10
	v_cmp_gt_i32_e64 s12, s24, v91
	v_mul_f32_e32 v99, s19, v105
	v_cndmask_b32_e64 v71, 0xff7fffff, v71, s11
	v_cmp_gt_i32_e64 s13, s24, v92
	v_max3_f32 v69, v80, v72, v69
	v_cndmask_b32_e64 v81, 0xff7fffff, v100, s12
	v_cmp_gt_i32_e64 s15, s24, v77
	v_mul_f32_e32 v97, s19, v107
	v_cndmask_b32_e64 v72, 0xff7fffff, v99, s13
	v_cmp_gt_i32_e64 s16, s24, v78
	v_max3_f32 v69, v69, v71, v81
	v_cndmask_b32_e64 v77, 0xff7fffff, v98, s15
	v_cmp_gt_i32_e64 s17, s24, v79
	v_lshlrev_b32_e32 v91, 2, v70
	v_cndmask_b32_e64 v71, 0xff7fffff, v97, s16
	s_delay_alu instid0(VALU_DEP_4) | instskip(NEXT) | instid1(VALU_DEP_4)
	v_max3_f32 v69, v69, v72, v77
	v_cndmask_b32_e64 v78, 0xff7fffff, v96, s17
	s_delay_alu instid0(VALU_DEP_1) | instskip(SKIP_3) | instid1(VALU_DEP_1)
	v_max3_f32 v69, v69, v71, v78
	ds_bpermute_b32 v70, v91, v69
	s_waitcnt lgkmcnt(0)
	v_max_f32_e32 v70, v70, v70
	v_max_f32_e32 v69, v69, v70
	s_delay_alu instid0(VALU_DEP_1)
	v_fma_f32 v70, s19, v117, -v69
	v_fma_f32 v71, s19, v118, -v69
	;; [unrolled: 1-line block ×5, first 2 shown]
	v_mul_f32_e32 v70, 0x3fb8aa3b, v70
	s_delay_alu instid0(VALU_DEP_3) | instskip(NEXT) | instid1(VALU_DEP_3)
	v_dual_mul_f32 v72, 0x3fb8aa3b, v72 :: v_dual_mul_f32 v77, 0x3fb8aa3b, v77
	v_mul_f32_e32 v78, 0x3fb8aa3b, v78
	s_delay_alu instid0(VALU_DEP_3) | instskip(NEXT) | instid1(VALU_DEP_2)
	v_exp_f32_e32 v70, v70
	v_exp_f32_e32 v72, v72
	s_delay_alu instid0(VALU_DEP_2) | instskip(NEXT) | instid1(VALU_DEP_1)
	v_exp_f32_e32 v79, v77
	v_exp_f32_e32 v78, v78
	v_cndmask_b32_e64 v81, 0, v70, s2
	v_fma_f32 v70, s19, v122, -v69
	v_mul_f32_e32 v71, 0x3fb8aa3b, v71
	s_delay_alu instid0(TRANS32_DEP_3)
	v_cndmask_b32_e64 v85, 0, v72, s3
	s_waitcnt_depctr 0xfff
	v_cndmask_b32_e64 v87, 0, v79, s4
	v_cndmask_b32_e64 v88, 0, v78, s5
	v_mul_f32_e32 v70, 0x3fb8aa3b, v70
	v_exp_f32_e32 v71, v71
	s_mov_b32 s2, exec_lo
	s_delay_alu instid0(VALU_DEP_1) | instskip(SKIP_4) | instid1(VALU_DEP_2)
	v_exp_f32_e32 v70, v70
	s_waitcnt_depctr 0xfff
	v_cndmask_b32_e32 v77, 0, v71, vcc_lo
	v_add_f32_e32 v71, 0, v81
	v_cndmask_b32_e64 v89, 0, v70, s6
	v_add_f32_e32 v71, v71, v77
	s_delay_alu instid0(VALU_DEP_1) | instskip(NEXT) | instid1(VALU_DEP_1)
	v_add_f32_e32 v71, v71, v85
	v_add_f32_e32 v71, v71, v87
	s_delay_alu instid0(VALU_DEP_1) | instskip(NEXT) | instid1(VALU_DEP_1)
	v_add_f32_e32 v70, v71, v88
	v_add_f32_e32 v70, v70, v89
	v_fma_f32 v72, s19, v124, -v69
	v_fma_f32 v71, s19, v103, -v69
	;; [unrolled: 1-line block ×5, first 2 shown]
	s_delay_alu instid0(VALU_DEP_4) | instskip(NEXT) | instid1(VALU_DEP_4)
	v_dual_mul_f32 v72, 0x3fb8aa3b, v72 :: v_dual_mul_f32 v71, 0x3fb8aa3b, v71
	v_mul_f32_e32 v80, 0x3fb8aa3b, v80
	v_fma_f32 v83, s19, v106, -v69
	s_delay_alu instid0(VALU_DEP_4) | instskip(NEXT) | instid1(VALU_DEP_4)
	v_mul_f32_e32 v78, 0x3fb8aa3b, v78
	v_exp_f32_e32 v72, v72
	v_exp_f32_e32 v82, v71
	;; [unrolled: 1-line block ×3, first 2 shown]
	s_delay_alu instid0(VALU_DEP_1)
	v_exp_f32_e32 v78, v78
	v_cndmask_b32_e64 v90, 0, v72, s8
	v_fma_f32 v72, s19, v105, -v69
	s_waitcnt_depctr 0xfff
	v_cndmask_b32_e64 v86, 0, v80, s7
	v_fma_f32 v80, s19, v104, -v69
	v_mul_f32_e32 v72, 0x3fb8aa3b, v72
	s_delay_alu instid0(VALU_DEP_3) | instskip(NEXT) | instid1(VALU_DEP_3)
	v_add_f32_e32 v70, v70, v86
	v_mul_f32_e32 v80, 0x3fb8aa3b, v80
	s_delay_alu instid0(VALU_DEP_3) | instskip(SKIP_2) | instid1(VALU_DEP_3)
	v_exp_f32_e32 v84, v72
	v_cndmask_b32_e64 v72, 0, v82, s11
	v_mul_f32_e32 v79, 0x3fb8aa3b, v79
	v_exp_f32_e32 v80, v80
	s_delay_alu instid0(VALU_DEP_1) | instskip(SKIP_4) | instid1(VALU_DEP_2)
	v_exp_f32_e32 v79, v79
	s_waitcnt_depctr 0xfff
	v_cndmask_b32_e64 v71, 0, v79, s9
	v_add_f32_e32 v79, v70, v90
	v_cndmask_b32_e64 v70, 0, v78, s10
	v_add_f32_e32 v78, v79, v71
	v_fma_f32 v79, s19, v107, -v69
	s_delay_alu instid0(VALU_DEP_2) | instskip(SKIP_1) | instid1(VALU_DEP_2)
	v_add_f32_e32 v82, v78, v70
	v_cndmask_b32_e64 v78, 0, v80, s12
	v_dual_mul_f32 v79, 0x3fb8aa3b, v79 :: v_dual_add_f32 v80, v82, v72
	v_fma_f32 v82, s19, v108, -v69
	v_mul_f32_e32 v83, 0x3fb8aa3b, v83
	s_delay_alu instid0(VALU_DEP_3)
	v_exp_f32_e32 v92, v79
	v_cndmask_b32_e64 v79, 0, v84, s13
	v_add_f32_e32 v84, v80, v78
	v_mul_f32_e32 v82, 0x3fb8aa3b, v82
	v_exp_f32_e32 v83, v83
	s_waitcnt_depctr 0xfff
	v_cndmask_b32_e64 v80, 0, v83, s15
	v_add_f32_e32 v83, v84, v79
	v_exp_f32_e32 v84, v82
	v_cndmask_b32_e64 v82, 0, v92, s16
	s_delay_alu instid0(VALU_DEP_2) | instskip(NEXT) | instid1(VALU_DEP_1)
	v_add_f32_e32 v83, v83, v80
	v_add_f32_e32 v92, v83, v82
	s_waitcnt_depctr 0xfff
	v_cndmask_b32_e64 v83, 0, v84, s17
	s_delay_alu instid0(VALU_DEP_1)
	v_add_f32_e32 v84, v92, v83
	ds_bpermute_b32 v91, v91, v84
	v_cmpx_gt_u32_e32 16, v68
	s_cbranch_execz .LBB1503_12
; %bb.11:
	v_mul_u32_u24_e32 v68, 0x44, v67
	s_waitcnt lgkmcnt(0)
	v_add_f32_e32 v84, v84, v91
	s_delay_alu instid0(VALU_DEP_2) | instskip(NEXT) | instid1(VALU_DEP_1)
	v_lshl_add_u32 v68, v66, 2, v68
	v_add_nc_u32_e32 v68, 0x4000, v68
	ds_store_2addr_b32 v68, v69, v84 offset1:136
.LBB1503_12:
	s_or_b32 exec_lo, exec_lo, s2
	v_lshlrev_b32_e32 v68, 2, v66
	s_waitcnt lgkmcnt(0)
	s_barrier
	buffer_gl0_inv
	v_cmp_eq_u32_e32 vcc_lo, 1, v67
	v_add_nc_u32_e32 v84, 0x4000, v68
	v_cmp_eq_u32_e64 s2, 2, v67
	v_cmp_eq_u32_e64 s4, 7, v67
	ds_load_2addr_b32 v[91:92], v84 offset1:17
	ds_load_2addr_b32 v[93:94], v84 offset0:34 offset1:51
	ds_load_2addr_b32 v[95:96], v84 offset0:68 offset1:85
	;; [unrolled: 1-line block ×4, first 2 shown]
	s_waitcnt lgkmcnt(4)
	v_max3_f32 v68, v91, 0xff7fffff, v92
	s_waitcnt lgkmcnt(3)
	s_delay_alu instid0(VALU_DEP_1) | instskip(SKIP_1) | instid1(VALU_DEP_1)
	v_max3_f32 v68, v68, v93, v94
	s_waitcnt lgkmcnt(2)
	v_max3_f32 v68, v68, v95, v96
	s_waitcnt lgkmcnt(1)
	s_delay_alu instid0(VALU_DEP_1) | instskip(NEXT) | instid1(VALU_DEP_1)
	v_max3_f32 v68, v68, v97, v98
	v_sub_f32_e32 v69, v91, v68
	v_sub_f32_e32 v93, v93, v68
	;; [unrolled: 1-line block ×3, first 2 shown]
	s_delay_alu instid0(VALU_DEP_3) | instskip(NEXT) | instid1(VALU_DEP_3)
	v_mul_f32_e32 v69, 0x3fb8aa3b, v69
	v_mul_f32_e32 v103, 0x3fb8aa3b, v93
	s_delay_alu instid0(VALU_DEP_3) | instskip(NEXT) | instid1(VALU_DEP_3)
	v_mul_f32_e32 v105, 0x3fb8aa3b, v95
	v_exp_f32_e32 v102, v69
	v_sub_f32_e32 v69, v94, v68
	v_sub_f32_e32 v101, v92, v68
	ds_load_2addr_b32 v[91:92], v84 offset0:170 offset1:187
	v_exp_f32_e32 v103, v103
	v_mul_f32_e32 v104, 0x3fb8aa3b, v69
	v_mul_f32_e32 v101, 0x3fb8aa3b, v101
	s_waitcnt lgkmcnt(1)
	v_fma_f32 v69, v102, v99, 0
	v_sub_f32_e32 v99, v96, v68
	s_delay_alu instid0(VALU_DEP_3) | instskip(SKIP_4) | instid1(VALU_DEP_1)
	v_exp_f32_e32 v101, v101
	v_exp_f32_e32 v104, v104
	s_waitcnt_depctr 0xfff
	v_fmac_f32_e32 v69, v101, v100
	s_waitcnt lgkmcnt(0)
	v_fmac_f32_e32 v69, v103, v91
	ds_load_2addr_b32 v[93:94], v84 offset0:204 offset1:221
	ds_load_2addr_b32 v[95:96], v84 offset0:238 offset1:255
	v_dual_sub_f32 v84, v97, v68 :: v_dual_mul_f32 v97, 0x3fb8aa3b, v99
	v_exp_f32_e32 v99, v105
	v_sub_f32_e32 v91, v98, v68
	v_fmac_f32_e32 v69, v104, v92
	s_delay_alu instid0(VALU_DEP_3)
	v_mul_f32_e32 v84, 0x3fb8aa3b, v84
	v_exp_f32_e32 v97, v97
	s_waitcnt lgkmcnt(0)
	v_mul_f32_e32 v91, 0x3fb8aa3b, v91
	s_barrier
	v_exp_f32_e32 v84, v84
	buffer_gl0_inv
	v_exp_f32_e32 v91, v91
	v_fmac_f32_e32 v69, v99, v93
	s_delay_alu instid0(VALU_DEP_1) | instskip(NEXT) | instid1(VALU_DEP_1)
	v_fmac_f32_e32 v69, v97, v94
	v_fmac_f32_e32 v69, v84, v95
	s_waitcnt_depctr 0xfff
	v_fmac_f32_e32 v69, v91, v96
	s_delay_alu instid0(VALU_DEP_1) | instskip(NEXT) | instid1(VALU_DEP_1)
	v_add_f32_e32 v92, 0x358637bd, v69
	v_div_scale_f32 v93, null, v92, v92, 1.0
	v_div_scale_f32 v96, s3, 1.0, v92, 1.0
	s_delay_alu instid0(VALU_DEP_2) | instskip(SKIP_2) | instid1(VALU_DEP_1)
	v_rcp_f32_e32 v94, v93
	s_waitcnt_depctr 0xfff
	v_fma_f32 v95, -v93, v94, 1.0
	v_dual_fmac_f32 v94, v95, v94 :: v_dual_cndmask_b32 v95, v102, v101
	v_cmp_eq_u32_e32 vcc_lo, 3, v67
	s_delay_alu instid0(VALU_DEP_2) | instskip(NEXT) | instid1(VALU_DEP_3)
	v_mul_f32_e32 v98, v96, v94
	v_cndmask_b32_e64 v95, v95, v103, s2
	v_cmp_eq_u32_e64 s2, 4, v67
	s_delay_alu instid0(VALU_DEP_3) | instskip(NEXT) | instid1(VALU_DEP_3)
	v_fma_f32 v100, -v93, v98, v96
	v_cndmask_b32_e32 v95, v95, v104, vcc_lo
	v_cmp_eq_u32_e32 vcc_lo, 5, v67
	s_delay_alu instid0(VALU_DEP_3) | instskip(NEXT) | instid1(VALU_DEP_3)
	v_fmac_f32_e32 v98, v100, v94
	v_cndmask_b32_e64 v95, v95, v99, s2
	v_cmp_eq_u32_e64 s2, 6, v67
	s_delay_alu instid0(VALU_DEP_3) | instskip(NEXT) | instid1(VALU_DEP_3)
	v_fma_f32 v93, -v93, v98, v96
	v_cndmask_b32_e32 v95, v95, v97, vcc_lo
	s_mov_b32 vcc_lo, s3
	s_delay_alu instid0(VALU_DEP_2) | instskip(NEXT) | instid1(VALU_DEP_2)
	v_div_fmas_f32 v93, v93, v94, v98
	v_cndmask_b32_e64 v84, v95, v84, s2
	s_mov_b32 s2, exec_lo
	s_delay_alu instid0(VALU_DEP_2) | instskip(NEXT) | instid1(VALU_DEP_2)
	v_div_fixup_f32 v92, v93, v92, 1.0
	v_cndmask_b32_e64 v84, v84, v91, s4
	s_delay_alu instid0(VALU_DEP_1) | instskip(NEXT) | instid1(VALU_DEP_1)
	v_mul_f32_e32 v84, v84, v92
	v_mul_f32_e32 v92, v84, v81
	;; [unrolled: 1-line block ×6, first 2 shown]
	v_and_b32_e32 v93, 0x7f800000, v92
	v_mul_f32_e32 v91, v84, v87
	v_mul_f32_e32 v88, v84, v85
	;; [unrolled: 1-line block ×3, first 2 shown]
                                        ; implicit-def: $vgpr77
	s_delay_alu instid0(VALU_DEP_4)
	v_cmpx_ne_u32_e32 0x7f800000, v93
	s_xor_b32 s2, exec_lo, s2
; %bb.13:
	v_bfe_u32 v77, v92, 16, 1
	s_delay_alu instid0(VALU_DEP_1)
	v_add3_u32 v77, v92, v77, 0x7fff
                                        ; implicit-def: $vgpr92
; %bb.14:
	s_and_not1_saveexec_b32 s2, s2
; %bb.15:
	v_and_b32_e32 v77, 0xffff, v92
	v_or_b32_e32 v85, 0x10000, v92
	s_delay_alu instid0(VALU_DEP_2) | instskip(NEXT) | instid1(VALU_DEP_2)
	v_cmp_eq_u32_e32 vcc_lo, 0, v77
	v_cndmask_b32_e32 v77, v85, v92, vcc_lo
; %bb.16:
	s_or_b32 exec_lo, exec_lo, s2
	v_and_b32_e32 v85, 0x7f800000, v87
	s_delay_alu instid0(VALU_DEP_1) | instskip(SKIP_1) | instid1(SALU_CYCLE_1)
	v_cmp_ne_u32_e32 vcc_lo, 0x7f800000, v85
                                        ; implicit-def: $vgpr85
	s_and_saveexec_b32 s2, vcc_lo
	s_xor_b32 s2, exec_lo, s2
; %bb.17:
	v_bfe_u32 v85, v87, 16, 1
	s_delay_alu instid0(VALU_DEP_1)
	v_add3_u32 v85, v87, v85, 0x7fff
                                        ; implicit-def: $vgpr87
; %bb.18:
	s_and_not1_saveexec_b32 s2, s2
; %bb.19:
	v_and_b32_e32 v85, 0xffff, v87
	v_or_b32_e32 v92, 0x10000, v87
	s_delay_alu instid0(VALU_DEP_2) | instskip(NEXT) | instid1(VALU_DEP_2)
	v_cmp_eq_u32_e32 vcc_lo, 0, v85
	v_cndmask_b32_e32 v85, v92, v87, vcc_lo
; %bb.20:
	s_or_b32 exec_lo, exec_lo, s2
	v_and_b32_e32 v87, 0x7f800000, v88
	s_delay_alu instid0(VALU_DEP_1) | instskip(SKIP_1) | instid1(SALU_CYCLE_1)
	v_cmp_ne_u32_e32 vcc_lo, 0x7f800000, v87
                                        ; implicit-def: $vgpr87
	s_and_saveexec_b32 s2, vcc_lo
	s_xor_b32 s2, exec_lo, s2
; %bb.21:
	v_bfe_u32 v87, v88, 16, 1
	s_delay_alu instid0(VALU_DEP_1)
	v_add3_u32 v87, v88, v87, 0x7fff
                                        ; implicit-def: $vgpr88
; %bb.22:
	s_and_not1_saveexec_b32 s2, s2
; %bb.23:
	v_and_b32_e32 v87, 0xffff, v88
	v_or_b32_e32 v92, 0x10000, v88
	s_delay_alu instid0(VALU_DEP_2) | instskip(NEXT) | instid1(VALU_DEP_2)
	v_cmp_eq_u32_e32 vcc_lo, 0, v87
	v_cndmask_b32_e32 v87, v92, v88, vcc_lo
; %bb.24:
	s_or_b32 exec_lo, exec_lo, s2
	v_and_b32_e32 v88, 0x7f800000, v91
	s_delay_alu instid0(VALU_DEP_1) | instskip(SKIP_1) | instid1(SALU_CYCLE_1)
	v_cmp_ne_u32_e32 vcc_lo, 0x7f800000, v88
                                        ; implicit-def: $vgpr88
	s_and_saveexec_b32 s2, vcc_lo
	s_xor_b32 s2, exec_lo, s2
; %bb.25:
	v_bfe_u32 v88, v91, 16, 1
	s_delay_alu instid0(VALU_DEP_1)
	v_add3_u32 v88, v91, v88, 0x7fff
                                        ; implicit-def: $vgpr91
; %bb.26:
	s_and_not1_saveexec_b32 s2, s2
; %bb.27:
	v_and_b32_e32 v88, 0xffff, v91
	v_or_b32_e32 v92, 0x10000, v91
	s_delay_alu instid0(VALU_DEP_2) | instskip(NEXT) | instid1(VALU_DEP_2)
	v_cmp_eq_u32_e32 vcc_lo, 0, v88
	v_cndmask_b32_e32 v88, v92, v91, vcc_lo
; %bb.28:
	s_or_b32 exec_lo, exec_lo, s2
	v_and_b32_e32 v91, 0x7f800000, v90
	s_delay_alu instid0(VALU_DEP_1) | instskip(SKIP_1) | instid1(SALU_CYCLE_1)
	v_cmp_ne_u32_e32 vcc_lo, 0x7f800000, v91
                                        ; implicit-def: $vgpr91
	s_and_saveexec_b32 s2, vcc_lo
	s_xor_b32 s2, exec_lo, s2
; %bb.29:
	v_bfe_u32 v91, v90, 16, 1
	s_delay_alu instid0(VALU_DEP_1)
	v_add3_u32 v91, v90, v91, 0x7fff
                                        ; implicit-def: $vgpr90
; %bb.30:
	s_and_not1_saveexec_b32 s2, s2
; %bb.31:
	v_and_b32_e32 v91, 0xffff, v90
	v_or_b32_e32 v92, 0x10000, v90
	s_delay_alu instid0(VALU_DEP_2) | instskip(NEXT) | instid1(VALU_DEP_2)
	v_cmp_eq_u32_e32 vcc_lo, 0, v91
	v_cndmask_b32_e32 v91, v92, v90, vcc_lo
; %bb.32:
	s_or_b32 exec_lo, exec_lo, s2
	v_and_b32_e32 v90, 0x7f800000, v89
	s_delay_alu instid0(VALU_DEP_1) | instskip(SKIP_1) | instid1(SALU_CYCLE_1)
	v_cmp_ne_u32_e32 vcc_lo, 0x7f800000, v90
                                        ; implicit-def: $vgpr90
	s_and_saveexec_b32 s2, vcc_lo
	s_xor_b32 s2, exec_lo, s2
; %bb.33:
	v_bfe_u32 v90, v89, 16, 1
	s_delay_alu instid0(VALU_DEP_1)
	v_add3_u32 v90, v89, v90, 0x7fff
                                        ; implicit-def: $vgpr89
; %bb.34:
	s_and_not1_saveexec_b32 s2, s2
; %bb.35:
	v_and_b32_e32 v90, 0xffff, v89
	v_or_b32_e32 v92, 0x10000, v89
	s_delay_alu instid0(VALU_DEP_2) | instskip(NEXT) | instid1(VALU_DEP_2)
	v_cmp_eq_u32_e32 vcc_lo, 0, v90
	v_cndmask_b32_e32 v90, v92, v89, vcc_lo
; %bb.36:
	s_or_b32 exec_lo, exec_lo, s2
	v_and_b32_e32 v89, 0x7f800000, v86
	s_delay_alu instid0(VALU_DEP_1) | instskip(SKIP_1) | instid1(SALU_CYCLE_1)
	v_cmp_ne_u32_e32 vcc_lo, 0x7f800000, v89
                                        ; implicit-def: $vgpr89
	s_and_saveexec_b32 s2, vcc_lo
	s_xor_b32 s2, exec_lo, s2
; %bb.37:
	v_bfe_u32 v89, v86, 16, 1
	s_delay_alu instid0(VALU_DEP_1)
	v_add3_u32 v89, v86, v89, 0x7fff
                                        ; implicit-def: $vgpr86
; %bb.38:
	s_and_not1_saveexec_b32 s2, s2
; %bb.39:
	v_and_b32_e32 v89, 0xffff, v86
	v_or_b32_e32 v92, 0x10000, v86
	s_delay_alu instid0(VALU_DEP_2) | instskip(NEXT) | instid1(VALU_DEP_2)
	v_cmp_eq_u32_e32 vcc_lo, 0, v89
	v_cndmask_b32_e32 v89, v92, v86, vcc_lo
; %bb.40:
	s_or_b32 exec_lo, exec_lo, s2
	v_and_b32_e32 v86, 0x7f800000, v81
	s_delay_alu instid0(VALU_DEP_1) | instskip(SKIP_1) | instid1(SALU_CYCLE_1)
	v_cmp_ne_u32_e32 vcc_lo, 0x7f800000, v86
                                        ; implicit-def: $vgpr86
	s_and_saveexec_b32 s2, vcc_lo
	s_xor_b32 s2, exec_lo, s2
; %bb.41:
	v_bfe_u32 v86, v81, 16, 1
	s_delay_alu instid0(VALU_DEP_1)
	v_add3_u32 v86, v81, v86, 0x7fff
                                        ; implicit-def: $vgpr81
; %bb.42:
	s_and_not1_saveexec_b32 s2, s2
; %bb.43:
	v_and_b32_e32 v86, 0xffff, v81
	v_or_b32_e32 v92, 0x10000, v81
	s_delay_alu instid0(VALU_DEP_2) | instskip(NEXT) | instid1(VALU_DEP_2)
	v_cmp_eq_u32_e32 vcc_lo, 0, v86
	v_cndmask_b32_e32 v86, v92, v81, vcc_lo
; %bb.44:
	s_or_b32 exec_lo, exec_lo, s2
	s_load_b64 s[34:35], s[0:1], 0x94
	v_lshlrev_b32_e32 v93, 4, v65
	s_delay_alu instid0(VALU_DEP_2)
	v_perm_b32 v92, v86, v89, 0x7060302
	v_dual_mul_f32 v80, v84, v80 :: v_dual_lshlrev_b32 v81, 6, v66
	v_lshlrev_b32_e32 v66, 11, v67
	v_perm_b32 v89, v85, v77, 0x7060302
	v_mul_f32_e32 v85, v84, v71
	v_mul_f32_e32 v71, v84, v82
	v_perm_b32 v91, v90, v91, 0x7060302
	v_perm_b32 v90, v88, v87, 0x7060302
	v_or3_b32 v77, v93, v66, v81
	v_mul_f32_e32 v66, v84, v83
	v_dual_mul_f32 v79, v84, v79 :: v_dual_and_b32 v86, 0x7f800000, v85
	v_mul_f32_e32 v83, v84, v78
	v_mul_f32_e32 v82, v84, v72
	v_mul_f32_e32 v78, v84, v70
	s_mov_b32 s2, exec_lo
	ds_store_b128 v77, v[89:92]
                                        ; implicit-def: $vgpr70
	v_cmpx_ne_u32_e32 0x7f800000, v86
	s_xor_b32 s2, exec_lo, s2
; %bb.45:
	v_bfe_u32 v70, v85, 16, 1
	s_delay_alu instid0(VALU_DEP_1)
	v_add3_u32 v70, v85, v70, 0x7fff
                                        ; implicit-def: $vgpr85
; %bb.46:
	s_and_not1_saveexec_b32 s2, s2
; %bb.47:
	v_and_b32_e32 v70, 0xffff, v85
	v_or_b32_e32 v72, 0x10000, v85
	s_delay_alu instid0(VALU_DEP_2) | instskip(NEXT) | instid1(VALU_DEP_2)
	v_cmp_eq_u32_e32 vcc_lo, 0, v70
	v_cndmask_b32_e32 v70, v72, v85, vcc_lo
; %bb.48:
	s_or_b32 exec_lo, exec_lo, s2
	v_and_b32_e32 v72, 0x7f800000, v78
	s_delay_alu instid0(VALU_DEP_1) | instskip(SKIP_1) | instid1(SALU_CYCLE_1)
	v_cmp_ne_u32_e32 vcc_lo, 0x7f800000, v72
                                        ; implicit-def: $vgpr72
	s_and_saveexec_b32 s2, vcc_lo
	s_xor_b32 s2, exec_lo, s2
; %bb.49:
	v_bfe_u32 v72, v78, 16, 1
	s_delay_alu instid0(VALU_DEP_1)
	v_add3_u32 v72, v78, v72, 0x7fff
                                        ; implicit-def: $vgpr78
; %bb.50:
	s_and_not1_saveexec_b32 s2, s2
; %bb.51:
	v_and_b32_e32 v72, 0xffff, v78
	v_or_b32_e32 v84, 0x10000, v78
	s_delay_alu instid0(VALU_DEP_2) | instskip(NEXT) | instid1(VALU_DEP_2)
	v_cmp_eq_u32_e32 vcc_lo, 0, v72
	v_cndmask_b32_e32 v72, v84, v78, vcc_lo
; %bb.52:
	s_or_b32 exec_lo, exec_lo, s2
	v_and_b32_e32 v78, 0x7f800000, v82
	s_delay_alu instid0(VALU_DEP_1) | instskip(SKIP_1) | instid1(SALU_CYCLE_1)
	v_cmp_ne_u32_e32 vcc_lo, 0x7f800000, v78
                                        ; implicit-def: $vgpr78
	s_and_saveexec_b32 s2, vcc_lo
	s_xor_b32 s2, exec_lo, s2
; %bb.53:
	v_bfe_u32 v78, v82, 16, 1
	s_delay_alu instid0(VALU_DEP_1)
	v_add3_u32 v78, v82, v78, 0x7fff
                                        ; implicit-def: $vgpr82
; %bb.54:
	s_and_not1_saveexec_b32 s2, s2
; %bb.55:
	v_and_b32_e32 v78, 0xffff, v82
	v_or_b32_e32 v84, 0x10000, v82
	s_delay_alu instid0(VALU_DEP_2) | instskip(NEXT) | instid1(VALU_DEP_2)
	v_cmp_eq_u32_e32 vcc_lo, 0, v78
	v_cndmask_b32_e32 v78, v84, v82, vcc_lo
; %bb.56:
	s_or_b32 exec_lo, exec_lo, s2
	v_and_b32_e32 v82, 0x7f800000, v83
	s_delay_alu instid0(VALU_DEP_1) | instskip(SKIP_1) | instid1(SALU_CYCLE_1)
	v_cmp_ne_u32_e32 vcc_lo, 0x7f800000, v82
                                        ; implicit-def: $vgpr82
	s_and_saveexec_b32 s2, vcc_lo
	s_xor_b32 s2, exec_lo, s2
; %bb.57:
	v_bfe_u32 v82, v83, 16, 1
	s_delay_alu instid0(VALU_DEP_1)
	v_add3_u32 v82, v83, v82, 0x7fff
                                        ; implicit-def: $vgpr83
; %bb.58:
	s_and_not1_saveexec_b32 s2, s2
; %bb.59:
	v_and_b32_e32 v82, 0xffff, v83
	v_or_b32_e32 v84, 0x10000, v83
	s_delay_alu instid0(VALU_DEP_2) | instskip(NEXT) | instid1(VALU_DEP_2)
	v_cmp_eq_u32_e32 vcc_lo, 0, v82
	v_cndmask_b32_e32 v82, v84, v83, vcc_lo
; %bb.60:
	s_or_b32 exec_lo, exec_lo, s2
	v_and_b32_e32 v83, 0x7f800000, v79
	s_delay_alu instid0(VALU_DEP_1) | instskip(SKIP_1) | instid1(SALU_CYCLE_1)
	v_cmp_ne_u32_e32 vcc_lo, 0x7f800000, v83
                                        ; implicit-def: $vgpr83
	s_and_saveexec_b32 s2, vcc_lo
	s_xor_b32 s2, exec_lo, s2
; %bb.61:
	v_bfe_u32 v83, v79, 16, 1
	s_delay_alu instid0(VALU_DEP_1)
	v_add3_u32 v83, v79, v83, 0x7fff
                                        ; implicit-def: $vgpr79
; %bb.62:
	s_and_not1_saveexec_b32 s2, s2
; %bb.63:
	v_and_b32_e32 v83, 0xffff, v79
	v_or_b32_e32 v84, 0x10000, v79
	s_delay_alu instid0(VALU_DEP_2) | instskip(NEXT) | instid1(VALU_DEP_2)
	v_cmp_eq_u32_e32 vcc_lo, 0, v83
	v_cndmask_b32_e32 v83, v84, v79, vcc_lo
; %bb.64:
	s_or_b32 exec_lo, exec_lo, s2
	v_and_b32_e32 v79, 0x7f800000, v80
	s_delay_alu instid0(VALU_DEP_1) | instskip(SKIP_1) | instid1(SALU_CYCLE_1)
	v_cmp_ne_u32_e32 vcc_lo, 0x7f800000, v79
                                        ; implicit-def: $vgpr79
	s_and_saveexec_b32 s2, vcc_lo
	s_xor_b32 s2, exec_lo, s2
; %bb.65:
	v_bfe_u32 v79, v80, 16, 1
	s_delay_alu instid0(VALU_DEP_1)
	v_add3_u32 v79, v80, v79, 0x7fff
                                        ; implicit-def: $vgpr80
; %bb.66:
	s_and_not1_saveexec_b32 s2, s2
; %bb.67:
	v_and_b32_e32 v79, 0xffff, v80
	v_or_b32_e32 v84, 0x10000, v80
	s_delay_alu instid0(VALU_DEP_2) | instskip(NEXT) | instid1(VALU_DEP_2)
	v_cmp_eq_u32_e32 vcc_lo, 0, v79
	v_cndmask_b32_e32 v79, v84, v80, vcc_lo
; %bb.68:
	s_or_b32 exec_lo, exec_lo, s2
	v_and_b32_e32 v80, 0x7f800000, v71
	s_delay_alu instid0(VALU_DEP_1) | instskip(SKIP_1) | instid1(SALU_CYCLE_1)
	v_cmp_ne_u32_e32 vcc_lo, 0x7f800000, v80
                                        ; implicit-def: $vgpr80
	s_and_saveexec_b32 s2, vcc_lo
	s_xor_b32 s2, exec_lo, s2
; %bb.69:
	v_bfe_u32 v80, v71, 16, 1
	s_delay_alu instid0(VALU_DEP_1)
	v_add3_u32 v80, v71, v80, 0x7fff
                                        ; implicit-def: $vgpr71
; %bb.70:
	s_and_not1_saveexec_b32 s2, s2
; %bb.71:
	v_and_b32_e32 v80, 0xffff, v71
	v_or_b32_e32 v84, 0x10000, v71
	s_delay_alu instid0(VALU_DEP_2) | instskip(NEXT) | instid1(VALU_DEP_2)
	v_cmp_eq_u32_e32 vcc_lo, 0, v80
	v_cndmask_b32_e32 v80, v84, v71, vcc_lo
; %bb.72:
	s_or_b32 exec_lo, exec_lo, s2
	v_and_b32_e32 v71, 0x7f800000, v66
	s_delay_alu instid0(VALU_DEP_1) | instskip(SKIP_1) | instid1(SALU_CYCLE_1)
	v_cmp_ne_u32_e32 vcc_lo, 0x7f800000, v71
                                        ; implicit-def: $vgpr71
	s_and_saveexec_b32 s2, vcc_lo
	s_xor_b32 s2, exec_lo, s2
; %bb.73:
	v_bfe_u32 v71, v66, 16, 1
	s_delay_alu instid0(VALU_DEP_1)
	v_add3_u32 v71, v66, v71, 0x7fff
                                        ; implicit-def: $vgpr66
; %bb.74:
	s_and_not1_saveexec_b32 s2, s2
; %bb.75:
	v_and_b32_e32 v71, 0xffff, v66
	v_or_b32_e32 v84, 0x10000, v66
	s_delay_alu instid0(VALU_DEP_2) | instskip(NEXT) | instid1(VALU_DEP_2)
	v_cmp_eq_u32_e32 vcc_lo, 0, v71
	v_cndmask_b32_e32 v71, v84, v66, vcc_lo
; %bb.76:
	s_or_b32 exec_lo, exec_lo, s2
	s_delay_alu instid0(VALU_DEP_1)
	v_perm_b32 v87, v71, v80, 0x7060302
	v_perm_b32 v86, v79, v83, 0x7060302
	;; [unrolled: 1-line block ×4, first 2 shown]
	v_lshl_or_b32 v83, v67, 11, v81
	ds_store_b128 v77, v[84:87] offset:1024
	s_waitcnt lgkmcnt(0)
	s_barrier
	buffer_gl0_inv
	ds_load_b128 v[84:87], v83
	ds_load_b128 v[88:91], v83 offset:16
	s_waitcnt lgkmcnt(1)
	v_lshrrev_b32_e32 v70, 16, v87
	s_waitcnt lgkmcnt(0)
	v_lshrrev_b32_e32 v71, 16, v88
	v_lshlrev_b32_e32 v79, 2, v65
	v_lshrrev_b32_e32 v65, 16, v84
	v_lshrrev_b32_e32 v66, 16, v85
	;; [unrolled: 1-line block ×4, first 2 shown]
	v_cmp_eq_u32_e32 vcc_lo, 1, v79
	v_lshrrev_b32_e32 v100, 16, v90
	v_lshrrev_b32_e32 v101, 16, v91
	v_cndmask_b32_e32 v92, v88, v71, vcc_lo
	v_or_b32_e32 v80, 1, v79
	v_cndmask_b32_e32 v82, v84, v65, vcc_lo
	v_cmp_eq_u32_e64 s3, 2, v79
	v_cmp_eq_u32_e64 s6, 3, v79
	;; [unrolled: 1-line block ×5, first 2 shown]
	v_cndmask_b32_e64 v82, v82, v85, s3
	v_cndmask_b32_e64 v92, v92, v89, s3
	v_cmp_eq_u32_e64 s7, 3, v80
	v_cndmask_b32_e64 v93, v84, v65, s2
	v_or_b32_e32 v78, 2, v79
	v_cndmask_b32_e64 v82, v82, v66, s6
	v_cndmask_b32_e64 v92, v92, v72, s6
	v_cndmask_b32_e64 v94, v88, v71, s2
	v_cndmask_b32_e64 v93, v93, v85, s5
	v_cmp_eq_u32_e64 s9, 5, v79
	v_cndmask_b32_e64 v82, v82, v86, s8
	v_cndmask_b32_e64 v92, v92, v90, s8
	v_cmp_eq_u32_e64 s10, 4, v80
	v_cndmask_b32_e64 v93, v93, v66, s7
	v_cmp_eq_u32_e64 s4, 1, v78
	v_cndmask_b32_e64 v94, v94, v89, s5
	v_cndmask_b32_e64 v82, v82, v67, s9
	v_cmp_eq_u32_e64 s11, 6, v79
	v_cndmask_b32_e64 v93, v93, v86, s10
	;; [unrolled: 3-line block ×3, first 2 shown]
	v_cndmask_b32_e64 v94, v94, v72, s7
	v_cndmask_b32_e64 v82, v82, v87, s11
	v_cmp_eq_u32_e64 s13, 7, v79
	v_cndmask_b32_e64 v93, v93, v67, s12
	v_cndmask_b32_e64 v92, v92, v91, s11
	v_cmp_eq_u32_e64 s15, 6, v80
	v_cmp_eq_u32_e64 s16, 2, v78
	v_cndmask_b32_e64 v94, v94, v90, s10
	v_cndmask_b32_e64 v102, v82, v70, s13
	;; [unrolled: 1-line block ×6, first 2 shown]
	v_cmp_eq_u32_e64 s17, 7, v80
	v_cmp_eq_u32_e64 s18, 3, v78
	;; [unrolled: 1-line block ×4, first 2 shown]
	v_cndmask_b32_e64 v92, v92, v89, s16
	v_cndmask_b32_e64 v104, v93, v70, s17
	;; [unrolled: 1-line block ×4, first 2 shown]
	v_or_b32_e32 v82, 3, v79
	v_cndmask_b32_e64 v97, v92, v72, s18
	v_cmp_eq_u32_e64 s23, 6, v78
	v_cndmask_b32_e64 v105, v93, v91, s15
	v_cndmask_b32_e64 v96, v94, v86, s19
	v_cmp_eq_u32_e64 s20, 1, v82
	ds_load_b128 v[92:95], v83 offset:1024
	v_cmp_eq_u32_e64 s22, 2, v82
	v_cmp_eq_u32_e64 s24, 3, v82
	v_cndmask_b32_e64 v106, v96, v67, s21
	v_cndmask_b32_e64 v65, v84, v65, s20
	;; [unrolled: 1-line block ×3, first 2 shown]
	ds_load_b128 v[96:99], v83 offset:1040
	v_cndmask_b32_e64 v71, v88, v71, s20
	v_cmp_eq_u32_e64 s25, 4, v82
	v_cndmask_b32_e64 v65, v65, v85, s22
	v_cmp_eq_u32_e64 s27, 5, v82
	v_cmp_eq_u32_e64 s28, 6, v82
	v_cndmask_b32_e64 v71, v71, v89, s22
	v_cndmask_b32_e64 v84, v84, v100, s21
	;; [unrolled: 1-line block ×4, first 2 shown]
	v_cmp_eq_u32_e64 s26, 7, v78
	v_cndmask_b32_e64 v71, v71, v72, s24
	v_cndmask_b32_e64 v84, v84, v91, s23
	;; [unrolled: 1-line block ×3, first 2 shown]
	s_waitcnt lgkmcnt(1)
	v_lshrrev_b32_e32 v72, 16, v92
	v_lshrrev_b32_e32 v88, 16, v93
	v_cndmask_b32_e64 v71, v71, v90, s25
	v_cndmask_b32_e64 v66, v66, v70, s26
	;; [unrolled: 1-line block ×6, first 2 shown]
	s_waitcnt lgkmcnt(0)
	v_lshrrev_b32_e32 v71, 16, v96
	v_cndmask_b32_e64 v65, v65, v87, s28
	v_cndmask_b32_e64 v87, v89, v93, s5
	v_lshrrev_b32_e32 v100, 16, v98
	v_cndmask_b32_e64 v67, v67, v91, s28
	v_cndmask_b32_e32 v86, v92, v72, vcc_lo
	v_cndmask_b32_e32 v90, v96, v71, vcc_lo
	v_cmp_eq_u32_e32 vcc_lo, 7, v82
	v_cndmask_b32_e64 v87, v87, v88, s7
	v_lshrrev_b32_e32 v91, 16, v94
	v_cndmask_b32_e64 v85, v105, v101, s17
	v_cndmask_b32_e64 v89, v90, v97, s3
	v_cndmask_b32_e32 v67, v67, v101, vcc_lo
	v_cndmask_b32_e64 v86, v86, v93, s3
	v_lshrrev_b32_e32 v90, 16, v97
	v_cndmask_b32_e32 v65, v65, v70, vcc_lo
	v_cndmask_b32_e64 v70, v87, v94, s10
	v_cndmask_b32_e64 v101, v96, v71, s4
	;; [unrolled: 1-line block ×4, first 2 shown]
	v_perm_b32 v87, v67, v65, 0x5040100
	v_cndmask_b32_e64 v65, v70, v91, s12
	v_lshrrev_b32_e32 v70, 16, v95
	v_cndmask_b32_e64 v86, v86, v94, s8
	v_cndmask_b32_e64 v89, v89, v98, s8
	v_perm_b32 v85, v85, v104, 0x5040100
	v_cndmask_b32_e64 v65, v65, v95, s15
	s_delay_alu instid0(VALU_DEP_4) | instskip(NEXT) | instid1(VALU_DEP_4)
	v_cndmask_b32_e64 v86, v86, v91, s9
	v_cndmask_b32_e64 v89, v89, v100, s9
	s_delay_alu instid0(VALU_DEP_3) | instskip(NEXT) | instid1(VALU_DEP_3)
	v_cndmask_b32_e64 v65, v65, v70, s17
	v_cndmask_b32_e64 v67, v86, v95, s11
	v_perm_b32 v86, v84, v66, 0x5040100
	v_lshrrev_b32_e32 v84, 16, v99
	s_delay_alu instid0(VALU_DEP_3)
	v_cndmask_b32_e64 v66, v67, v70, s13
	v_cndmask_b32_e64 v67, v89, v99, s11
	;; [unrolled: 1-line block ×33, first 2 shown]
	v_cndmask_b32_e32 v70, v72, v70, vcc_lo
	v_cndmask_b32_e32 v72, v88, v84, vcc_lo
	v_cndmask_b32_e64 v88, v90, v84, s26
	v_cndmask_b32_e64 v71, v71, v84, s17
	v_perm_b32 v84, v103, v102, 0x5040100
	s_lshl_b32 s7, s35, 1
	v_perm_b32 v91, v72, v70, 0x5040100
	v_perm_b32 v90, v88, v89, 0x5040100
	;; [unrolled: 1-line block ×4, first 2 shown]
	s_mov_b32 s2, exec_lo
	ds_store_b128 v77, v[84:87]
	ds_store_b128 v77, v[88:91] offset:1024
	v_cmpx_gt_u32_e32 2, v0
	s_cbranch_execz .LBB1503_78
; %bb.77:
	v_or_b32_e32 v65, s31, v0
	s_load_b128 s[8:11], s[0:1], 0x58
	s_delay_alu instid0(VALU_DEP_1) | instskip(NEXT) | instid1(VALU_DEP_1)
	v_mad_u64_u32 v[66:67], null, s7, s30, v[65:66]
	v_mad_u64_u32 v[70:71], null, v66, s34, s[14:15]
	s_delay_alu instid0(VALU_DEP_1) | instskip(NEXT) | instid1(VALU_DEP_1)
	v_ashrrev_i32_e32 v71, 31, v70
	v_lshlrev_b64 v[65:66], 2, v[70:71]
	s_waitcnt lgkmcnt(0)
	s_delay_alu instid0(VALU_DEP_1) | instskip(NEXT) | instid1(VALU_DEP_2)
	v_add_co_u32 v70, vcc_lo, s10, v65
	v_add_co_ci_u32_e32 v71, vcc_lo, s11, v66, vcc_lo
	v_add_co_u32 v65, vcc_lo, s8, v65
	v_add_co_ci_u32_e32 v66, vcc_lo, s9, v66, vcc_lo
	global_store_b32 v[70:71], v68, off
	global_store_b32 v[65:66], v69, off
.LBB1503_78:
	s_or_b32 exec_lo, exec_lo, s2
	s_waitcnt lgkmcnt(0)
	s_waitcnt_vscnt null, 0x0
	s_barrier
	buffer_gl0_inv
	ds_load_b128 v[84:87], v81
	ds_load_b128 v[88:91], v81 offset:16
	ds_load_b128 v[96:99], v81 offset:2064
	;; [unrolled: 1-line block ×3, first 2 shown]
	v_mov_b32_e32 v65, 0
	ds_load_b128 v[104:107], v81 offset:4112
	ds_load_b128 v[100:103], v81 offset:4096
	;; [unrolled: 1-line block ×4, first 2 shown]
	v_mov_b32_e32 v66, v65
	v_mov_b32_e32 v67, v65
	;; [unrolled: 1-line block ×7, first 2 shown]
	s_waitcnt lgkmcnt(6)
	s_delay_alu instid0(VALU_DEP_1)
	v_wmma_f32_16x16x16_bf16 v[65:72], v[57:64], v[84:91], v[65:72]
	ds_load_b128 v[61:64], v81 offset:8208
	ds_load_b128 v[57:60], v81 offset:8192
	s_waitcnt lgkmcnt(6)
	v_wmma_f32_16x16x16_bf16 v[65:72], v[41:48], v[92:99], v[65:72]
	ds_load_b128 v[45:48], v81 offset:10256
	ds_load_b128 v[41:44], v81 offset:10240
	s_waitcnt lgkmcnt(6)
	;; [unrolled: 4-line block ×4, first 2 shown]
	v_wmma_f32_16x16x16_bf16 v[65:72], v[1:8], v[57:64], v[65:72]
	s_waitcnt lgkmcnt(4)
	s_delay_alu instid0(VALU_DEP_1) | instskip(SKIP_1) | instid1(VALU_DEP_1)
	v_wmma_f32_16x16x16_bf16 v[65:72], v[9:16], v[41:48], v[65:72]
	s_waitcnt lgkmcnt(2)
	v_wmma_f32_16x16x16_bf16 v[65:72], v[17:24], v[33:40], v[65:72]
	s_waitcnt lgkmcnt(0)
	s_delay_alu instid0(VALU_DEP_1) | instskip(NEXT) | instid1(VALU_DEP_1)
	v_wmma_f32_16x16x16_bf16 v[65:72], v[49:56], v[25:32], v[65:72]
	v_and_b32_e32 v1, 0x7f800000, v65
	s_delay_alu instid0(VALU_DEP_1) | instskip(SKIP_1) | instid1(SALU_CYCLE_1)
	v_cmp_ne_u32_e32 vcc_lo, 0x7f800000, v1
                                        ; implicit-def: $vgpr1
	s_and_saveexec_b32 s2, vcc_lo
	s_xor_b32 s2, exec_lo, s2
; %bb.79:
	v_bfe_u32 v1, v65, 16, 1
	s_delay_alu instid0(VALU_DEP_1)
	v_add3_u32 v1, v65, v1, 0x7fff
; %bb.80:
	s_and_not1_saveexec_b32 s2, s2
; %bb.81:
	v_and_b32_e32 v1, 0xffff, v65
	v_or_b32_e32 v2, 0x10000, v65
	s_delay_alu instid0(VALU_DEP_2) | instskip(NEXT) | instid1(VALU_DEP_2)
	v_cmp_eq_u32_e32 vcc_lo, 0, v1
	v_cndmask_b32_e32 v1, v2, v65, vcc_lo
; %bb.82:
	s_or_b32 exec_lo, exec_lo, s2
	v_and_b32_e32 v2, 0x7f800000, v66
	s_delay_alu instid0(VALU_DEP_1) | instskip(SKIP_1) | instid1(SALU_CYCLE_1)
	v_cmp_ne_u32_e32 vcc_lo, 0x7f800000, v2
                                        ; implicit-def: $vgpr2
	s_and_saveexec_b32 s2, vcc_lo
	s_xor_b32 s2, exec_lo, s2
; %bb.83:
	v_bfe_u32 v2, v66, 16, 1
	s_delay_alu instid0(VALU_DEP_1)
	v_add3_u32 v2, v66, v2, 0x7fff
; %bb.84:
	s_and_not1_saveexec_b32 s2, s2
; %bb.85:
	v_and_b32_e32 v2, 0xffff, v66
	v_or_b32_e32 v3, 0x10000, v66
	s_delay_alu instid0(VALU_DEP_2) | instskip(NEXT) | instid1(VALU_DEP_2)
	v_cmp_eq_u32_e32 vcc_lo, 0, v2
	v_cndmask_b32_e32 v2, v3, v66, vcc_lo
; %bb.86:
	s_or_b32 exec_lo, exec_lo, s2
	v_and_b32_e32 v3, 0x7f800000, v67
	s_delay_alu instid0(VALU_DEP_1) | instskip(SKIP_1) | instid1(SALU_CYCLE_1)
	v_cmp_ne_u32_e32 vcc_lo, 0x7f800000, v3
                                        ; implicit-def: $vgpr3
	s_and_saveexec_b32 s2, vcc_lo
	s_xor_b32 s2, exec_lo, s2
; %bb.87:
	v_bfe_u32 v3, v67, 16, 1
	s_delay_alu instid0(VALU_DEP_1)
	v_add3_u32 v3, v67, v3, 0x7fff
; %bb.88:
	s_and_not1_saveexec_b32 s2, s2
; %bb.89:
	v_and_b32_e32 v3, 0xffff, v67
	v_or_b32_e32 v4, 0x10000, v67
	s_delay_alu instid0(VALU_DEP_2) | instskip(NEXT) | instid1(VALU_DEP_2)
	v_cmp_eq_u32_e32 vcc_lo, 0, v3
	v_cndmask_b32_e32 v3, v4, v67, vcc_lo
; %bb.90:
	s_or_b32 exec_lo, exec_lo, s2
	v_and_b32_e32 v4, 0x7f800000, v68
	s_delay_alu instid0(VALU_DEP_1) | instskip(SKIP_1) | instid1(SALU_CYCLE_1)
	v_cmp_ne_u32_e32 vcc_lo, 0x7f800000, v4
                                        ; implicit-def: $vgpr4
	s_and_saveexec_b32 s2, vcc_lo
	s_xor_b32 s2, exec_lo, s2
; %bb.91:
	v_bfe_u32 v4, v68, 16, 1
	s_delay_alu instid0(VALU_DEP_1)
	v_add3_u32 v4, v68, v4, 0x7fff
; %bb.92:
	s_and_not1_saveexec_b32 s2, s2
; %bb.93:
	v_and_b32_e32 v4, 0xffff, v68
	v_or_b32_e32 v5, 0x10000, v68
	s_delay_alu instid0(VALU_DEP_2) | instskip(NEXT) | instid1(VALU_DEP_2)
	v_cmp_eq_u32_e32 vcc_lo, 0, v4
	v_cndmask_b32_e32 v4, v5, v68, vcc_lo
; %bb.94:
	s_or_b32 exec_lo, exec_lo, s2
	v_and_b32_e32 v5, 0x7f800000, v69
	s_delay_alu instid0(VALU_DEP_1) | instskip(SKIP_1) | instid1(SALU_CYCLE_1)
	v_cmp_ne_u32_e32 vcc_lo, 0x7f800000, v5
                                        ; implicit-def: $vgpr5
	s_and_saveexec_b32 s2, vcc_lo
	s_xor_b32 s2, exec_lo, s2
; %bb.95:
	v_bfe_u32 v5, v69, 16, 1
	s_delay_alu instid0(VALU_DEP_1)
	v_add3_u32 v5, v69, v5, 0x7fff
; %bb.96:
	s_and_not1_saveexec_b32 s2, s2
; %bb.97:
	v_and_b32_e32 v5, 0xffff, v69
	v_or_b32_e32 v6, 0x10000, v69
	s_delay_alu instid0(VALU_DEP_2) | instskip(NEXT) | instid1(VALU_DEP_2)
	v_cmp_eq_u32_e32 vcc_lo, 0, v5
	v_cndmask_b32_e32 v5, v6, v69, vcc_lo
; %bb.98:
	s_or_b32 exec_lo, exec_lo, s2
	v_and_b32_e32 v6, 0x7f800000, v70
	s_delay_alu instid0(VALU_DEP_1) | instskip(SKIP_1) | instid1(SALU_CYCLE_1)
	v_cmp_ne_u32_e32 vcc_lo, 0x7f800000, v6
                                        ; implicit-def: $vgpr6
	s_and_saveexec_b32 s2, vcc_lo
	s_xor_b32 s2, exec_lo, s2
; %bb.99:
	v_bfe_u32 v6, v70, 16, 1
	s_delay_alu instid0(VALU_DEP_1)
	v_add3_u32 v6, v70, v6, 0x7fff
; %bb.100:
	s_and_not1_saveexec_b32 s2, s2
; %bb.101:
	v_and_b32_e32 v6, 0xffff, v70
	v_or_b32_e32 v7, 0x10000, v70
	s_delay_alu instid0(VALU_DEP_2) | instskip(NEXT) | instid1(VALU_DEP_2)
	v_cmp_eq_u32_e32 vcc_lo, 0, v6
	v_cndmask_b32_e32 v6, v7, v70, vcc_lo
; %bb.102:
	s_or_b32 exec_lo, exec_lo, s2
	v_and_b32_e32 v7, 0x7f800000, v71
	s_delay_alu instid0(VALU_DEP_1) | instskip(SKIP_1) | instid1(SALU_CYCLE_1)
	v_cmp_ne_u32_e32 vcc_lo, 0x7f800000, v7
                                        ; implicit-def: $vgpr7
	s_and_saveexec_b32 s2, vcc_lo
	s_xor_b32 s2, exec_lo, s2
; %bb.103:
	v_bfe_u32 v7, v71, 16, 1
	s_delay_alu instid0(VALU_DEP_1)
	v_add3_u32 v7, v71, v7, 0x7fff
; %bb.104:
	s_and_not1_saveexec_b32 s2, s2
; %bb.105:
	v_and_b32_e32 v7, 0xffff, v71
	v_or_b32_e32 v8, 0x10000, v71
	s_delay_alu instid0(VALU_DEP_2) | instskip(NEXT) | instid1(VALU_DEP_2)
	v_cmp_eq_u32_e32 vcc_lo, 0, v7
	v_cndmask_b32_e32 v7, v8, v71, vcc_lo
; %bb.106:
	s_or_b32 exec_lo, exec_lo, s2
	v_and_b32_e32 v8, 0x7f800000, v72
	s_delay_alu instid0(VALU_DEP_1) | instskip(SKIP_1) | instid1(SALU_CYCLE_1)
	v_cmp_ne_u32_e32 vcc_lo, 0x7f800000, v8
                                        ; implicit-def: $vgpr8
	s_and_saveexec_b32 s2, vcc_lo
	s_xor_b32 s2, exec_lo, s2
; %bb.107:
	v_bfe_u32 v8, v72, 16, 1
	s_delay_alu instid0(VALU_DEP_1)
	v_add3_u32 v8, v72, v8, 0x7fff
                                        ; implicit-def: $vgpr65_vgpr66_vgpr67_vgpr68_vgpr69_vgpr70_vgpr71_vgpr72
; %bb.108:
	s_and_not1_saveexec_b32 s2, s2
; %bb.109:
	v_and_b32_e32 v8, 0xffff, v72
	v_or_b32_e32 v9, 0x10000, v72
	s_delay_alu instid0(VALU_DEP_2) | instskip(NEXT) | instid1(VALU_DEP_2)
	v_cmp_eq_u32_e32 vcc_lo, 0, v8
	v_cndmask_b32_e32 v8, v9, v72, vcc_lo
; %bb.110:
	s_or_b32 exec_lo, exec_lo, s2
	s_delay_alu instid0(VALU_DEP_1)
	v_perm_b32 v7, v8, v7, 0x7060302
	v_perm_b32 v6, v6, v5, 0x7060302
	;; [unrolled: 1-line block ×4, first 2 shown]
	s_barrier
	buffer_gl0_inv
	v_cmp_eq_u32_e32 vcc_lo, 1, v79
	ds_store_b128 v77, v[4:7]
	s_waitcnt lgkmcnt(0)
	s_barrier
	buffer_gl0_inv
	ds_load_b128 v[1:4], v83
	ds_load_b128 v[5:8], v83 offset:16
	v_cmp_eq_u32_e64 s2, 1, v80
	v_cmp_eq_u32_e64 s3, 2, v79
	;; [unrolled: 1-line block ×5, first 2 shown]
	s_waitcnt lgkmcnt(1)
	v_lshrrev_b32_e32 v9, 16, v1
	s_waitcnt lgkmcnt(0)
	v_lshrrev_b32_e32 v13, 16, v5
	v_lshrrev_b32_e32 v10, 16, v2
	;; [unrolled: 1-line block ×4, first 2 shown]
	v_cndmask_b32_e64 v19, v1, v9, s2
	v_cndmask_b32_e32 v18, v5, v13, vcc_lo
	v_cndmask_b32_e64 v20, v5, v13, s2
	v_cndmask_b32_e32 v17, v1, v9, vcc_lo
	v_cmp_eq_u32_e32 vcc_lo, 2, v80
	v_lshrrev_b32_e32 v15, 16, v7
	v_cmp_eq_u32_e64 s2, 1, v78
	v_lshrrev_b32_e32 v12, 16, v4
	v_lshrrev_b32_e32 v16, 16, v8
	v_cndmask_b32_e32 v20, v20, v6, vcc_lo
	v_cndmask_b32_e64 v17, v17, v2, s3
	v_cndmask_b32_e32 v19, v19, v2, vcc_lo
	v_cndmask_b32_e64 v18, v18, v6, s3
	v_cmp_eq_u32_e32 vcc_lo, 4, v79
	v_cmp_eq_u32_e64 s3, 3, v80
	v_cndmask_b32_e64 v17, v17, v10, s4
	v_cndmask_b32_e64 v21, v1, v9, s2
	;; [unrolled: 1-line block ×5, first 2 shown]
	v_cndmask_b32_e32 v17, v17, v3, vcc_lo
	v_cndmask_b32_e64 v20, v20, v14, s3
	v_cndmask_b32_e32 v18, v18, v7, vcc_lo
	v_cmp_eq_u32_e32 vcc_lo, 4, v80
	v_cmp_eq_u32_e64 s3, 5, v80
	v_cmp_eq_u32_e64 s2, 2, v82
	v_cndmask_b32_e64 v21, v21, v2, s6
	v_cmp_eq_u32_e64 s4, 5, v79
	v_cndmask_b32_e32 v19, v19, v3, vcc_lo
	v_cndmask_b32_e32 v20, v20, v7, vcc_lo
	v_cmp_eq_u32_e32 vcc_lo, 6, v80
	s_delay_alu instid0(VALU_DEP_4) | instskip(NEXT) | instid1(VALU_DEP_4)
	v_cndmask_b32_e64 v17, v17, v11, s4
	v_cndmask_b32_e64 v19, v19, v11, s3
	s_delay_alu instid0(VALU_DEP_4) | instskip(SKIP_1) | instid1(VALU_DEP_3)
	v_cndmask_b32_e64 v20, v20, v15, s3
	v_cmp_eq_u32_e64 s3, 1, v82
	v_cndmask_b32_e32 v19, v19, v4, vcc_lo
	v_cndmask_b32_e64 v18, v18, v15, s4
	s_delay_alu instid0(VALU_DEP_3)
	v_cndmask_b32_e64 v1, v1, v9, s3
	v_cndmask_b32_e64 v5, v5, v13, s3
	v_cmp_eq_u32_e64 s3, 3, v78
	v_cndmask_b32_e64 v13, v22, v6, s6
	v_cmp_eq_u32_e64 s6, 3, v82
	v_cndmask_b32_e64 v1, v1, v2, s2
	v_cndmask_b32_e64 v2, v5, v6, s2
	;; [unrolled: 1-line block ×3, first 2 shown]
	v_cmp_eq_u32_e64 s2, 4, v78
	v_cndmask_b32_e64 v6, v13, v14, s3
	v_cndmask_b32_e64 v1, v1, v10, s6
	v_cmp_eq_u32_e64 s3, 4, v82
	v_cndmask_b32_e64 v2, v2, v14, s6
	v_cndmask_b32_e64 v5, v9, v3, s2
	;; [unrolled: 3-line block ×3, first 2 shown]
	v_cndmask_b32_e64 v2, v2, v7, s3
	v_cmp_eq_u32_e64 s2, 5, v82
	v_cmp_eq_u32_e64 s4, 6, v79
	v_cndmask_b32_e64 v5, v5, v11, s6
	v_cmp_eq_u32_e64 s3, 6, v78
	v_cndmask_b32_e64 v3, v6, v15, s6
	v_cndmask_b32_e64 v1, v1, v11, s2
	v_cmp_eq_u32_e64 s6, 6, v82
	v_cndmask_b32_e64 v2, v2, v15, s2
	v_cndmask_b32_e64 v17, v17, v4, s4
	v_cndmask_b32_e64 v18, v18, v8, s4
	v_cmp_eq_u32_e64 s4, 7, v79
	v_cndmask_b32_e64 v5, v5, v4, s3
	;; [unrolled: 4-line block ×3, first 2 shown]
	v_cmp_eq_u32_e64 s3, 7, v78
	v_cndmask_b32_e32 v4, v20, v8, vcc_lo
	v_cndmask_b32_e64 v17, v17, v12, s4
	v_cndmask_b32_e64 v19, v19, v12, s5
	;; [unrolled: 1-line block ×8, first 2 shown]
	s_delay_alu instid0(VALU_DEP_4) | instskip(NEXT) | instid1(VALU_DEP_4)
	v_perm_b32 v4, v2, v1, 0x5040100
	v_perm_b32 v3, v3, v5, 0x5040100
	s_delay_alu instid0(VALU_DEP_4) | instskip(NEXT) | instid1(VALU_DEP_4)
	v_perm_b32 v2, v6, v19, 0x5040100
	v_perm_b32 v1, v7, v17, 0x5040100
	ds_store_b128 v77, v[1:4]
	s_waitcnt lgkmcnt(0)
	s_barrier
	buffer_gl0_inv
	s_and_saveexec_b32 s2, s29
	s_cbranch_execz .LBB1503_2
; %bb.111:
	s_load_b64 s[0:1], s[0:1], 0x68
	v_lshlrev_b32_e32 v0, 10, v0
	s_lshl_b32 s2, s34, 6
	v_lshlrev_b32_e32 v1, 4, v76
	v_mul_lo_u32 v4, s2, v75
	s_mul_i32 s3, s2, s30
	v_and_b32_e32 v0, 0x3800, v0
	s_mul_i32 s2, s3, s7
	s_delay_alu instid0(SALU_CYCLE_1) | instskip(NEXT) | instid1(VALU_DEP_1)
	s_ashr_i32 s3, s2, 31
	v_or3_b32 v0, v0, v74, v1
	s_lshl_b64 s[2:3], s[2:3], 1
	s_delay_alu instid0(VALU_DEP_3)
	v_ashrrev_i32_e32 v5, 31, v4
	ds_load_b128 v[0:3], v0
	v_lshlrev_b64 v[4:5], 1, v[4:5]
	s_waitcnt lgkmcnt(0)
	s_add_u32 s2, s0, s2
	s_addc_u32 s3, s1, s3
	s_lshl_b32 s0, s14, 6
	s_delay_alu instid0(SALU_CYCLE_1) | instskip(NEXT) | instid1(SALU_CYCLE_1)
	s_ashr_i32 s1, s0, 31
	s_lshl_b64 s[0:1], s[0:1], 1
	s_delay_alu instid0(SALU_CYCLE_1) | instskip(SKIP_3) | instid1(VALU_DEP_2)
	s_add_u32 s0, s2, s0
	s_addc_u32 s1, s3, s1
	v_add_co_u32 v4, vcc_lo, s0, v4
	v_add_co_ci_u32_e32 v5, vcc_lo, s1, v5, vcc_lo
	v_add_co_u32 v4, vcc_lo, v4, v73
	s_delay_alu instid0(VALU_DEP_2)
	v_add_co_ci_u32_e32 v5, vcc_lo, 0, v5, vcc_lo
	global_store_b128 v[4:5], v[0:3], off
	s_nop 0
	s_sendmsg sendmsg(MSG_DEALLOC_VGPRS)
	s_endpgm
	.section	.rodata,"a",@progbits
	.p2align	6, 0x0
	.amdhsa_kernel _Z39paged_attention_ll4mi_QKV_mfma16_kernelI14__hip_bfloat16hLN4vllm18Fp8KVCacheDataTypeE1ES0_Li32ELi64ELi256ELb0ELi2EL8MFMAType1EEvPKT_PKT0_S9_ifPKiSB_SB_iPKfiiiPfSE_PS4_PT2_iSD_SD_
		.amdhsa_group_segment_fixed_size 17472
		.amdhsa_private_segment_fixed_size 0
		.amdhsa_kernarg_size 400
		.amdhsa_user_sgpr_count 13
		.amdhsa_user_sgpr_dispatch_ptr 0
		.amdhsa_user_sgpr_queue_ptr 0
		.amdhsa_user_sgpr_kernarg_segment_ptr 1
		.amdhsa_user_sgpr_dispatch_id 0
		.amdhsa_user_sgpr_private_segment_size 0
		.amdhsa_wavefront_size32 1
		.amdhsa_uses_dynamic_stack 0
		.amdhsa_enable_private_segment 0
		.amdhsa_system_sgpr_workgroup_id_x 1
		.amdhsa_system_sgpr_workgroup_id_y 1
		.amdhsa_system_sgpr_workgroup_id_z 1
		.amdhsa_system_sgpr_workgroup_info 0
		.amdhsa_system_vgpr_workitem_id 0
		.amdhsa_next_free_vgpr 125
		.amdhsa_next_free_sgpr 40
		.amdhsa_reserve_vcc 1
		.amdhsa_float_round_mode_32 0
		.amdhsa_float_round_mode_16_64 0
		.amdhsa_float_denorm_mode_32 3
		.amdhsa_float_denorm_mode_16_64 3
		.amdhsa_dx10_clamp 1
		.amdhsa_ieee_mode 1
		.amdhsa_fp16_overflow 0
		.amdhsa_workgroup_processor_mode 1
		.amdhsa_memory_ordered 1
		.amdhsa_forward_progress 0
		.amdhsa_shared_vgpr_count 0
		.amdhsa_exception_fp_ieee_invalid_op 0
		.amdhsa_exception_fp_denorm_src 0
		.amdhsa_exception_fp_ieee_div_zero 0
		.amdhsa_exception_fp_ieee_overflow 0
		.amdhsa_exception_fp_ieee_underflow 0
		.amdhsa_exception_fp_ieee_inexact 0
		.amdhsa_exception_int_div_zero 0
	.end_amdhsa_kernel
	.section	.text._Z39paged_attention_ll4mi_QKV_mfma16_kernelI14__hip_bfloat16hLN4vllm18Fp8KVCacheDataTypeE1ES0_Li32ELi64ELi256ELb0ELi2EL8MFMAType1EEvPKT_PKT0_S9_ifPKiSB_SB_iPKfiiiPfSE_PS4_PT2_iSD_SD_,"axG",@progbits,_Z39paged_attention_ll4mi_QKV_mfma16_kernelI14__hip_bfloat16hLN4vllm18Fp8KVCacheDataTypeE1ES0_Li32ELi64ELi256ELb0ELi2EL8MFMAType1EEvPKT_PKT0_S9_ifPKiSB_SB_iPKfiiiPfSE_PS4_PT2_iSD_SD_,comdat
.Lfunc_end1503:
	.size	_Z39paged_attention_ll4mi_QKV_mfma16_kernelI14__hip_bfloat16hLN4vllm18Fp8KVCacheDataTypeE1ES0_Li32ELi64ELi256ELb0ELi2EL8MFMAType1EEvPKT_PKT0_S9_ifPKiSB_SB_iPKfiiiPfSE_PS4_PT2_iSD_SD_, .Lfunc_end1503-_Z39paged_attention_ll4mi_QKV_mfma16_kernelI14__hip_bfloat16hLN4vllm18Fp8KVCacheDataTypeE1ES0_Li32ELi64ELi256ELb0ELi2EL8MFMAType1EEvPKT_PKT0_S9_ifPKiSB_SB_iPKfiiiPfSE_PS4_PT2_iSD_SD_
                                        ; -- End function
	.section	.AMDGPU.csdata,"",@progbits
; Kernel info:
; codeLenInByte = 8520
; NumSgprs: 42
; NumVgprs: 125
; ScratchSize: 0
; MemoryBound: 0
; FloatMode: 240
; IeeeMode: 1
; LDSByteSize: 17472 bytes/workgroup (compile time only)
; SGPRBlocks: 5
; VGPRBlocks: 15
; NumSGPRsForWavesPerEU: 42
; NumVGPRsForWavesPerEU: 125
; Occupancy: 10
; WaveLimiterHint : 1
; COMPUTE_PGM_RSRC2:SCRATCH_EN: 0
; COMPUTE_PGM_RSRC2:USER_SGPR: 13
; COMPUTE_PGM_RSRC2:TRAP_HANDLER: 0
; COMPUTE_PGM_RSRC2:TGID_X_EN: 1
; COMPUTE_PGM_RSRC2:TGID_Y_EN: 1
; COMPUTE_PGM_RSRC2:TGID_Z_EN: 1
; COMPUTE_PGM_RSRC2:TIDIG_COMP_CNT: 0
	.section	.text._Z39paged_attention_ll4mi_QKV_mfma16_kernelI14__hip_bfloat16hLN4vllm18Fp8KVCacheDataTypeE1ES0_Li32ELi64ELi256ELb0ELi3EL8MFMAType1EEvPKT_PKT0_S9_ifPKiSB_SB_iPKfiiiPfSE_PS4_PT2_iSD_SD_,"axG",@progbits,_Z39paged_attention_ll4mi_QKV_mfma16_kernelI14__hip_bfloat16hLN4vllm18Fp8KVCacheDataTypeE1ES0_Li32ELi64ELi256ELb0ELi3EL8MFMAType1EEvPKT_PKT0_S9_ifPKiSB_SB_iPKfiiiPfSE_PS4_PT2_iSD_SD_,comdat
	.protected	_Z39paged_attention_ll4mi_QKV_mfma16_kernelI14__hip_bfloat16hLN4vllm18Fp8KVCacheDataTypeE1ES0_Li32ELi64ELi256ELb0ELi3EL8MFMAType1EEvPKT_PKT0_S9_ifPKiSB_SB_iPKfiiiPfSE_PS4_PT2_iSD_SD_ ; -- Begin function _Z39paged_attention_ll4mi_QKV_mfma16_kernelI14__hip_bfloat16hLN4vllm18Fp8KVCacheDataTypeE1ES0_Li32ELi64ELi256ELb0ELi3EL8MFMAType1EEvPKT_PKT0_S9_ifPKiSB_SB_iPKfiiiPfSE_PS4_PT2_iSD_SD_
	.globl	_Z39paged_attention_ll4mi_QKV_mfma16_kernelI14__hip_bfloat16hLN4vllm18Fp8KVCacheDataTypeE1ES0_Li32ELi64ELi256ELb0ELi3EL8MFMAType1EEvPKT_PKT0_S9_ifPKiSB_SB_iPKfiiiPfSE_PS4_PT2_iSD_SD_
	.p2align	8
	.type	_Z39paged_attention_ll4mi_QKV_mfma16_kernelI14__hip_bfloat16hLN4vllm18Fp8KVCacheDataTypeE1ES0_Li32ELi64ELi256ELb0ELi3EL8MFMAType1EEvPKT_PKT0_S9_ifPKiSB_SB_iPKfiiiPfSE_PS4_PT2_iSD_SD_,@function
_Z39paged_attention_ll4mi_QKV_mfma16_kernelI14__hip_bfloat16hLN4vllm18Fp8KVCacheDataTypeE1ES0_Li32ELi64ELi256ELb0ELi3EL8MFMAType1EEvPKT_PKT0_S9_ifPKiSB_SB_iPKfiiiPfSE_PS4_PT2_iSD_SD_: ; @_Z39paged_attention_ll4mi_QKV_mfma16_kernelI14__hip_bfloat16hLN4vllm18Fp8KVCacheDataTypeE1ES0_Li32ELi64ELi256ELb0ELi3EL8MFMAType1EEvPKT_PKT0_S9_ifPKiSB_SB_iPKfiiiPfSE_PS4_PT2_iSD_SD_
; %bb.0:
	s_load_b64 s[2:3], s[0:1], 0x30
	s_mov_b32 s34, s13
	s_waitcnt lgkmcnt(0)
	s_cmp_lg_u64 s[2:3], 0
	s_cselect_b32 s8, -1, 0
	s_ashr_i32 s35, s13, 31
	s_cmp_eq_u64 s[2:3], 0
	s_cbranch_scc1 .LBB1504_3
; %bb.1:
	s_lshl_b64 s[4:5], s[34:35], 2
	s_delay_alu instid0(SALU_CYCLE_1) | instskip(SKIP_4) | instid1(SALU_CYCLE_1)
	s_add_u32 s4, s2, s4
	s_addc_u32 s5, s3, s5
	s_load_b64 s[4:5], s[4:5], 0x0
	s_waitcnt lgkmcnt(0)
	s_sub_i32 s4, s5, s4
	s_cmp_eq_u32 s4, 1
	s_cselect_b32 s4, -1, 0
	s_delay_alu instid0(SALU_CYCLE_1)
	s_and_not1_b32 vcc_lo, exec_lo, s4
	s_cbranch_vccz .LBB1504_4
.LBB1504_2:
	s_nop 0
	s_sendmsg sendmsg(MSG_DEALLOC_VGPRS)
	s_endpgm
.LBB1504_3:
.LBB1504_4:
	s_load_b64 s[4:5], s[0:1], 0x28
	s_lshl_b64 s[6:7], s[34:35], 2
	s_waitcnt lgkmcnt(0)
	s_add_u32 s4, s4, s6
	s_addc_u32 s5, s5, s7
	s_lshl_b32 s12, s14, 8
	s_load_b32 s24, s[4:5], 0x0
	s_waitcnt lgkmcnt(0)
	s_cmp_ge_i32 s12, s24
	s_cbranch_scc1 .LBB1504_2
; %bb.5:
	s_clause 0x1
	s_load_b128 s[20:23], s[0:1], 0x8
	s_load_b64 s[4:5], s[0:1], 0x20
	s_and_not1_b32 vcc_lo, exec_lo, s8
	s_cbranch_vccnz .LBB1504_7
; %bb.6:
	s_add_u32 s2, s2, s6
	s_addc_u32 s3, s3, s7
	s_load_b32 s3, s[2:3], 0x0
	s_branch .LBB1504_8
.LBB1504_7:
	s_mov_b32 s3, s34
.LBB1504_8:
	s_load_b128 s[16:19], s[0:1], 0x48
	v_lshrrev_b32_e32 v66, 5, v0
	v_bfe_u32 v74, v0, 4, 1
	v_and_b32_e32 v65, 15, v0
	v_and_b32_e32 v67, 31, v0
	;; [unrolled: 1-line block ×3, first 2 shown]
	s_mul_i32 s31, s15, 3
	v_lshl_or_b32 v1, v66, 1, v74
	v_lshlrev_b32_e32 v2, 3, v65
	v_cmp_gt_u32_e64 s2, 8, v65
	s_delay_alu instid0(VALU_DEP_3) | instskip(NEXT) | instid1(VALU_DEP_3)
	v_cmp_gt_u32_e32 vcc_lo, 3, v1
	v_lshlrev_b32_e32 v73, 1, v2
	s_delay_alu instid0(VALU_DEP_3) | instskip(NEXT) | instid1(SALU_CYCLE_1)
	s_and_b32 s7, s2, vcc_lo
	s_and_saveexec_b32 s6, s7
	s_cbranch_execz .LBB1504_10
; %bb.9:
	s_load_b64 s[8:9], s[0:1], 0x0
	v_add_lshl_u32 v2, v1, s31, 6
	s_waitcnt lgkmcnt(0)
	s_mul_hi_i32 s11, s3, s16
	s_mul_i32 s10, s3, s16
	v_lshlrev_b32_e32 v6, 10, v65
	s_lshl_b64 s[10:11], s[10:11], 1
	v_ashrrev_i32_e32 v3, 31, v2
	v_lshlrev_b32_e32 v1, 6, v1
	v_lshlrev_b32_e32 v7, 10, v75
	v_and_b32_e32 v6, 0x3800, v6
	s_delay_alu instid0(VALU_DEP_4) | instskip(NEXT) | instid1(VALU_DEP_2)
	v_lshlrev_b64 v[2:3], 1, v[2:3]
	v_or3_b32 v1, v6, v7, v1
	s_add_u32 s3, s8, s10
	s_addc_u32 s7, s9, s11
	s_delay_alu instid0(VALU_DEP_2) | instskip(NEXT) | instid1(VALU_DEP_3)
	v_add_co_u32 v2, vcc_lo, s3, v2
	v_add_co_ci_u32_e32 v3, vcc_lo, s7, v3, vcc_lo
	s_delay_alu instid0(VALU_DEP_2) | instskip(NEXT) | instid1(VALU_DEP_2)
	v_add_co_u32 v2, vcc_lo, v2, v73
	v_add_co_ci_u32_e32 v3, vcc_lo, 0, v3, vcc_lo
	global_load_b128 v[2:5], v[2:3], off
	s_waitcnt vmcnt(0)
	ds_store_b128 v1, v[2:5]
.LBB1504_10:
	s_or_b32 exec_lo, exec_lo, s6
	v_and_b32_e32 v1, 0xef, v0
	s_waitcnt lgkmcnt(0)
	s_add_i32 s3, s24, 31
	s_clause 0x1
	s_load_b32 s6, s[0:1], 0x38
	s_load_b32 s19, s[0:1], 0x1c
	s_ashr_i32 s7, s3, 31
	v_add_nc_u32_e32 v1, s12, v1
	s_lshr_b32 s7, s7, 27
	s_waitcnt lgkmcnt(0)
	s_add_i32 s3, s3, s7
	s_barrier
	v_ashrrev_i32_e32 v2, 31, v1
	v_or_b32_e32 v3, 16, v1
	s_ashr_i32 s3, s3, 5
	v_cmp_gt_i32_e32 vcc_lo, s24, v1
	s_add_i32 s3, s3, -1
	v_lshrrev_b32_e32 v2, 27, v2
	buffer_gl0_inv
	s_mul_i32 s27, s15, s18
	v_add_nc_u32_e32 v4, v1, v2
	s_mul_i32 s6, s34, s6
	s_delay_alu instid0(SALU_CYCLE_1) | instskip(NEXT) | instid1(VALU_DEP_1)
	s_ashr_i32 s7, s6, 31
	v_ashrrev_i32_e32 v4, 5, v4
	v_add_nc_u32_e32 v2, v3, v2
	s_lshl_b64 s[6:7], s[6:7], 2
	s_delay_alu instid0(SALU_CYCLE_1) | instskip(NEXT) | instid1(VALU_DEP_2)
	s_add_u32 s26, s4, s6
	v_cndmask_b32_e32 v1, s3, v4, vcc_lo
	s_delay_alu instid0(VALU_DEP_2)
	v_ashrrev_i32_e32 v2, 5, v2
	v_cmp_gt_i32_e32 vcc_lo, s24, v3
	s_addc_u32 s25, s5, s7
	s_ashr_i32 s28, s27, 31
	s_add_u32 s4, s20, s27
	s_addc_u32 s5, s21, s28
	v_cndmask_b32_e32 v3, s3, v2, vcc_lo
	v_ashrrev_i32_e32 v2, 31, v1
	s_lshl_b32 s6, s14, 3
	s_delay_alu instid0(SALU_CYCLE_1) | instskip(NEXT) | instid1(VALU_DEP_2)
	s_ashr_i32 s7, s6, 31
	v_ashrrev_i32_e32 v4, 31, v3
	s_delay_alu instid0(VALU_DEP_2) | instskip(SKIP_1) | instid1(SALU_CYCLE_1)
	v_lshlrev_b64 v[1:2], 2, v[1:2]
	s_lshl_b64 s[6:7], s[6:7], 2
	s_add_u32 s6, s26, s6
	s_delay_alu instid0(VALU_DEP_2) | instskip(SKIP_1) | instid1(VALU_DEP_2)
	v_lshlrev_b64 v[3:4], 2, v[3:4]
	s_addc_u32 s7, s25, s7
	v_add_co_u32 v1, vcc_lo, s26, v1
	v_add_co_ci_u32_e32 v2, vcc_lo, s25, v2, vcc_lo
	s_delay_alu instid0(VALU_DEP_3) | instskip(NEXT) | instid1(VALU_DEP_4)
	v_add_co_u32 v3, vcc_lo, s26, v3
	v_add_co_ci_u32_e32 v4, vcc_lo, s25, v4, vcc_lo
	s_clause 0x1
	global_load_b32 v5, v[1:2], off
	global_load_b32 v6, v[3:4], off
	s_or_b32 s8, s12, 32
	s_delay_alu instid0(SALU_CYCLE_1) | instskip(SKIP_2) | instid1(SALU_CYCLE_1)
	s_ashr_i32 s9, s8, 5
	s_cmp_lt_i32 s8, s24
	s_cselect_b32 s8, s9, s3
	s_ashr_i32 s9, s8, 31
	s_delay_alu instid0(SALU_CYCLE_1) | instskip(NEXT) | instid1(SALU_CYCLE_1)
	s_lshl_b64 s[8:9], s[8:9], 2
	s_add_u32 s8, s26, s8
	s_addc_u32 s9, s25, s9
	s_or_b32 s10, s12, 64
	s_delay_alu instid0(SALU_CYCLE_1) | instskip(SKIP_2) | instid1(SALU_CYCLE_1)
	s_ashr_i32 s11, s10, 5
	s_cmp_lt_i32 s10, s24
	s_cselect_b32 s10, s11, s3
	s_ashr_i32 s11, s10, 31
	s_delay_alu instid0(SALU_CYCLE_1) | instskip(NEXT) | instid1(SALU_CYCLE_1)
	s_lshl_b64 s[10:11], s[10:11], 2
	s_add_u32 s10, s26, s10
	s_addc_u32 s11, s25, s11
	;; [unrolled: 10-line block ×5, first 2 shown]
	s_clause 0x5
	s_load_b32 s21, s[6:7], 0x0
	s_load_b32 s13, s[8:9], 0x0
	s_load_b32 s15, s[10:11], 0x0
	s_load_b32 s16, s[36:37], 0x0
	s_load_b32 s18, s[38:39], 0x0
	s_load_b32 s20, s[40:41], 0x0
	s_or_b32 s9, s12, 0xc0
	s_delay_alu instid0(SALU_CYCLE_1) | instskip(SKIP_2) | instid1(SALU_CYCLE_1)
	s_ashr_i32 s10, s9, 5
	s_cmp_lt_i32 s9, s24
	s_cselect_b32 s36, s10, s3
	s_ashr_i32 s37, s36, 31
	s_delay_alu instid0(SALU_CYCLE_1) | instskip(NEXT) | instid1(SALU_CYCLE_1)
	s_lshl_b64 s[36:37], s[36:37], 2
	s_add_u32 s36, s26, s36
	s_addc_u32 s37, s25, s37
	s_or_b32 s29, s12, 0xe0
	s_delay_alu instid0(SALU_CYCLE_1)
	s_ashr_i32 s30, s29, 5
	s_cmp_lt_i32 s29, s24
	s_waitcnt vmcnt(1)
	v_mad_i64_i32 v[1:2], null, v5, s17, s[4:5]
	s_waitcnt vmcnt(0)
	v_mad_i64_i32 v[3:4], null, v6, s17, s[4:5]
	s_mov_b32 s4, 0
	s_delay_alu instid0(SALU_CYCLE_1)
	s_mov_b32 s5, s4
	s_mov_b32 s6, s4
	;; [unrolled: 1-line block ×7, first 2 shown]
	v_lshlrev_b32_e32 v5, 4, v65
	v_dual_mov_b32 v107, s11 :: v_dual_mov_b32 v102, s6
	v_mov_b32_e32 v106, s10
	v_mov_b32_e32 v104, s8
	s_delay_alu instid0(VALU_DEP_4)
	v_add_co_u32 v1, vcc_lo, v1, v5
	v_add_co_ci_u32_e32 v2, vcc_lo, 0, v2, vcc_lo
	v_add_co_u32 v3, vcc_lo, v3, v5
	v_add_co_ci_u32_e32 v4, vcc_lo, 0, v4, vcc_lo
	s_clause 0x7
	global_load_b128 v[49:52], v[1:2], off
	global_load_b128 v[53:56], v[1:2], off offset:512
	global_load_b128 v[76:79], v[3:4], off offset:256
	;; [unrolled: 1-line block ×7, first 2 shown]
	v_mul_lo_u16 v1, 0x56, v65
	v_mov_b32_e32 v103, s7
	v_dual_mov_b32 v101, s5 :: v_dual_lshlrev_b32 v2, 5, v65
	v_mov_b32_e32 v100, s4
	s_delay_alu instid0(VALU_DEP_4) | instskip(NEXT) | instid1(VALU_DEP_3)
	v_lshrrev_b16 v1, 8, v1
	v_lshl_or_b32 v2, v66, 9, v2
	s_delay_alu instid0(VALU_DEP_2) | instskip(NEXT) | instid1(VALU_DEP_1)
	v_mul_lo_u16 v1, v1, 3
	v_sub_nc_u16 v1, v65, v1
	s_delay_alu instid0(VALU_DEP_1)
	v_and_b32_e32 v1, 0xff, v1
	v_mov_b32_e32 v105, s9
	s_cselect_b32 s4, s30, s3
	s_load_b32 s3, s[36:37], 0x0
	s_ashr_i32 s5, s4, 31
	v_lshlrev_b32_e32 v70, 6, v1
	s_lshl_b64 s[4:5], s[4:5], 2
	ds_load_b128 v[108:111], v70
	ds_load_b128 v[112:115], v70 offset:1024
	s_add_u32 s4, s26, s4
	s_addc_u32 s5, s25, s5
	s_add_u32 s6, s22, s27
	s_load_b32 s4, s[4:5], 0x0
	s_addc_u32 s7, s23, s28
	v_add_co_u32 v9, s6, s6, v2
	s_delay_alu instid0(VALU_DEP_1) | instskip(SKIP_1) | instid1(VALU_DEP_1)
	v_add_co_ci_u32_e64 v10, null, s7, 0, s6
	s_waitcnt lgkmcnt(0)
	v_mad_i64_i32 v[1:2], null, s21, s17, v[9:10]
	v_mad_i64_i32 v[3:4], null, s13, s17, v[9:10]
	;; [unrolled: 1-line block ×7, first 2 shown]
	s_clause 0x9
	global_load_b128 v[57:60], v[1:2], off
	global_load_b128 v[61:64], v[1:2], off offset:16
	global_load_b128 v[41:44], v[3:4], off
	global_load_b128 v[45:48], v[3:4], off offset:16
	;; [unrolled: 2-line block ×5, first 2 shown]
	v_mad_i64_i32 v[68:69], null, s4, s17, v[9:10]
	s_clause 0x3
	global_load_b128 v[9:12], v[13:14], off
	global_load_b128 v[13:16], v[13:14], off offset:16
	global_load_b128 v[17:20], v[21:22], off
	global_load_b128 v[21:24], v[21:22], off offset:16
	s_waitcnt vmcnt(20)
	v_wmma_f32_16x16x16_bf16 v[116:123], v[49:56], v[108:115], v[100:107]
	s_clause 0x1
	global_load_b128 v[49:52], v[68:69], off
	global_load_b128 v[53:56], v[68:69], off offset:16
	v_and_b32_e32 v68, 0xe0, v0
	v_mbcnt_lo_u32_b32 v69, -1, 0
	s_delay_alu instid0(VALU_DEP_2)
	v_add_nc_u32_e32 v68, s12, v68
	s_waitcnt vmcnt(20)
	v_wmma_f32_16x16x16_bf16 v[100:107], v[76:83], v[108:115], v[100:107]
	ds_load_b128 v[76:79], v70 offset:2048
	ds_load_b128 v[80:83], v70 offset:3072
	v_xor_b32_e32 v70, 16, v69
	s_waitcnt vmcnt(0) lgkmcnt(0)
	v_or_b32_e32 v68, v68, v74
	s_barrier
	buffer_gl0_inv
	v_cmp_gt_i32_e32 vcc_lo, 32, v70
	v_or_b32_e32 v71, 4, v68
	v_or_b32_e32 v72, 6, v68
	v_cmp_gt_i32_e64 s3, s24, v68
	v_or_b32_e32 v108, 8, v68
	v_or_b32_e32 v109, 10, v68
	v_cmp_gt_i32_e64 s4, s24, v71
	v_cmp_gt_i32_e64 s5, s24, v72
	s_delay_alu instid0(VALU_DEP_4) | instskip(NEXT) | instid1(VALU_DEP_4)
	v_cmp_gt_i32_e64 s6, s24, v108
	v_cmp_gt_i32_e64 s7, s24, v109
	v_wmma_f32_16x16x16_bf16 v[116:123], v[84:91], v[76:83], v[116:123]
	v_cndmask_b32_e32 v69, v69, v70, vcc_lo
	v_or_b32_e32 v70, 2, v68
	v_wmma_f32_16x16x16_bf16 v[100:107], v[92:99], v[76:83], v[100:107]
	v_or_b32_e32 v84, 12, v68
	v_dual_mul_f32 v78, s19, v123 :: v_dual_mul_f32 v83, s19, v118
	v_dual_mul_f32 v92, s19, v117 :: v_dual_mul_f32 v93, s19, v116
	s_delay_alu instid0(VALU_DEP_4) | instskip(SKIP_2) | instid1(VALU_DEP_4)
	v_mul_f32_e32 v94, s19, v107
	v_cmp_gt_i32_e32 vcc_lo, s24, v70
	v_dual_mul_f32 v81, s19, v120 :: v_dual_mul_f32 v82, s19, v119
	v_cndmask_b32_e64 v93, 0xff7fffff, v93, s3
	v_or_b32_e32 v85, 14, v68
	v_cndmask_b32_e32 v92, 0xff7fffff, v92, vcc_lo
	v_dual_mul_f32 v79, s19, v122 :: v_dual_mul_f32 v80, s19, v121
	v_cndmask_b32_e64 v71, 0xff7fffff, v83, s4
	v_cndmask_b32_e64 v72, 0xff7fffff, v82, s5
	s_delay_alu instid0(VALU_DEP_4)
	v_max3_f32 v82, v93, 0xff7fffff, v92
	v_or_b32_e32 v86, 16, v68
	v_or_b32_e32 v87, 18, v68
	v_cndmask_b32_e64 v81, 0xff7fffff, v81, s6
	v_cndmask_b32_e64 v80, 0xff7fffff, v80, s7
	v_max3_f32 v71, v82, v71, v72
	v_cmp_gt_i32_e64 s8, s24, v84
	v_cmp_gt_i32_e64 s9, s24, v85
	v_or_b32_e32 v88, 20, v68
	v_or_b32_e32 v89, 22, v68
	;; [unrolled: 1-line block ×6, first 2 shown]
	v_dual_mul_f32 v99, s19, v102 :: v_dual_mul_f32 v70, s19, v101
	v_mul_f32_e32 v68, s19, v100
	v_cndmask_b32_e64 v72, 0xff7fffff, v79, s8
	v_cndmask_b32_e64 v78, 0xff7fffff, v78, s9
	v_max3_f32 v71, v71, v81, v80
	v_cmp_gt_i32_e64 s10, s24, v86
	v_cmp_gt_i32_e64 s11, s24, v87
	v_dual_mul_f32 v97, s19, v104 :: v_dual_mul_f32 v98, s19, v103
	s_delay_alu instid0(VALU_DEP_4) | instskip(SKIP_1) | instid1(VALU_DEP_4)
	v_max3_f32 v71, v71, v72, v78
	v_cmp_gt_i32_e64 s12, s24, v88
	v_cndmask_b32_e64 v70, 0xff7fffff, v70, s11
	v_cmp_gt_i32_e64 s13, s24, v89
	v_lshlrev_b32_e32 v89, 2, v69
	v_cndmask_b32_e64 v68, 0xff7fffff, v68, s10
	v_dual_mul_f32 v95, s19, v106 :: v_dual_mul_f32 v96, s19, v105
	v_cndmask_b32_e64 v72, 0xff7fffff, v99, s12
	v_cndmask_b32_e64 v78, 0xff7fffff, v98, s13
	s_delay_alu instid0(VALU_DEP_4)
	v_max3_f32 v68, v71, v68, v70
	v_cmp_gt_i32_e64 s15, s24, v90
	v_cmp_gt_i32_e64 s16, s24, v91
	;; [unrolled: 1-line block ×4, first 2 shown]
	v_max3_f32 v68, v68, v72, v78
	v_cndmask_b32_e64 v70, 0xff7fffff, v97, s15
	v_cndmask_b32_e64 v71, 0xff7fffff, v96, s16
	v_cndmask_b32_e64 v72, 0xff7fffff, v95, s17
	v_cndmask_b32_e64 v76, 0xff7fffff, v94, s18
	s_delay_alu instid0(VALU_DEP_3) | instskip(NEXT) | instid1(VALU_DEP_1)
	v_max3_f32 v68, v68, v70, v71
	v_max3_f32 v68, v68, v72, v76
	ds_bpermute_b32 v69, v89, v68
	s_waitcnt lgkmcnt(0)
	v_max_f32_e32 v69, v69, v69
	s_delay_alu instid0(VALU_DEP_1) | instskip(NEXT) | instid1(VALU_DEP_1)
	v_max_f32_e32 v68, v68, v69
	v_fma_f32 v71, s19, v118, -v68
	s_delay_alu instid0(VALU_DEP_1)
	v_mul_f32_e32 v71, 0x3fb8aa3b, v71
	v_fma_f32 v69, s19, v116, -v68
	v_fma_f32 v70, s19, v117, -v68
	;; [unrolled: 1-line block ×4, first 2 shown]
	v_exp_f32_e32 v71, v71
	s_delay_alu instid0(VALU_DEP_3) | instskip(SKIP_2) | instid1(VALU_DEP_3)
	v_dual_mul_f32 v69, 0x3fb8aa3b, v69 :: v_dual_mul_f32 v70, 0x3fb8aa3b, v70
	v_fma_f32 v78, s19, v122, -v68
	v_fma_f32 v81, s19, v105, -v68
	v_exp_f32_e32 v69, v69
	s_delay_alu instid0(VALU_DEP_3) | instskip(SKIP_1) | instid1(VALU_DEP_2)
	v_exp_f32_e32 v70, v70
	v_mul_f32_e32 v77, 0x3fb8aa3b, v76
	v_mul_f32_e32 v81, 0x3fb8aa3b, v81
	s_delay_alu instid0(TRANS32_DEP_3) | instskip(SKIP_1) | instid1(VALU_DEP_3)
	v_cndmask_b32_e64 v83, 0, v71, s4
	v_fma_f32 v71, s19, v123, -v68
	v_exp_f32_e32 v81, v81
	s_delay_alu instid0(TRANS32_DEP_3) | instskip(NEXT) | instid1(TRANS32_DEP_2)
	v_cndmask_b32_e64 v80, 0, v69, s3
	v_cndmask_b32_e32 v76, 0, v70, vcc_lo
	v_fma_f32 v69, s19, v121, -v68
	v_mul_f32_e32 v72, 0x3fb8aa3b, v72
	v_exp_f32_e32 v77, v77
	v_dual_add_f32 v70, 0, v80 :: v_dual_mul_f32 v71, 0x3fb8aa3b, v71
	s_delay_alu instid0(VALU_DEP_3) | instskip(NEXT) | instid1(VALU_DEP_3)
	v_mul_f32_e32 v69, 0x3fb8aa3b, v69
	v_exp_f32_e32 v72, v72
	v_cmp_gt_u32_e64 s3, 16, v67
	s_delay_alu instid0(VALU_DEP_3) | instskip(NEXT) | instid1(VALU_DEP_2)
	v_exp_f32_e32 v71, v71
	v_exp_f32_e32 v69, v69
	v_cndmask_b32_e64 v86, 0, v77, s6
	v_fma_f32 v77, s19, v101, -v68
	v_add_f32_e32 v70, v70, v76
	s_delay_alu instid0(TRANS32_DEP_3) | instskip(SKIP_1) | instid1(VALU_DEP_3)
	v_cndmask_b32_e64 v85, 0, v72, s5
	v_fma_f32 v72, s19, v100, -v68
	v_dual_mul_f32 v77, 0x3fb8aa3b, v77 :: v_dual_add_f32 v70, v70, v83
	s_delay_alu instid0(TRANS32_DEP_2) | instskip(SKIP_1) | instid1(TRANS32_DEP_1)
	v_cndmask_b32_e64 v88, 0, v71, s9
	v_fma_f32 v71, s19, v104, -v68
	v_cndmask_b32_e64 v87, 0, v69, s7
	s_delay_alu instid0(VALU_DEP_4) | instskip(NEXT) | instid1(VALU_DEP_2)
	v_exp_f32_e32 v77, v77
	v_dual_add_f32 v70, v70, v85 :: v_dual_mul_f32 v71, 0x3fb8aa3b, v71
	s_delay_alu instid0(VALU_DEP_1) | instskip(SKIP_2) | instid1(VALU_DEP_3)
	v_dual_mul_f32 v72, 0x3fb8aa3b, v72 :: v_dual_add_f32 v69, v70, v86
	v_mul_f32_e32 v78, 0x3fb8aa3b, v78
	v_fma_f32 v70, s19, v102, -v68
	v_exp_f32_e32 v72, v72
	v_exp_f32_e32 v82, v71
	v_add_f32_e32 v69, v69, v87
	v_exp_f32_e32 v78, v78
	v_mul_f32_e32 v70, 0x3fb8aa3b, v70
	s_delay_alu instid0(VALU_DEP_1) | instskip(SKIP_4) | instid1(VALU_DEP_2)
	v_exp_f32_e32 v79, v70
	v_cndmask_b32_e64 v70, 0, v72, s10
	s_waitcnt_depctr 0xfff
	v_cndmask_b32_e64 v84, 0, v78, s8
	v_fma_f32 v78, s19, v103, -v68
	v_add_f32_e32 v69, v69, v84
	v_cndmask_b32_e64 v71, 0, v79, s12
	s_delay_alu instid0(VALU_DEP_2) | instskip(SKIP_2) | instid1(VALU_DEP_1)
	v_add_f32_e32 v72, v69, v88
	v_cndmask_b32_e64 v69, 0, v77, s11
	v_fma_f32 v77, s19, v106, -v68
	v_dual_mul_f32 v77, 0x3fb8aa3b, v77 :: v_dual_add_f32 v72, v72, v70
	v_mul_f32_e32 v78, 0x3fb8aa3b, v78
	s_delay_alu instid0(VALU_DEP_2) | instskip(NEXT) | instid1(VALU_DEP_2)
	v_exp_f32_e32 v90, v77
	v_add_f32_e32 v79, v72, v69
	s_delay_alu instid0(VALU_DEP_2)
	v_exp_f32_e32 v78, v78
	v_cndmask_b32_e64 v77, 0, v82, s15
	s_waitcnt_depctr 0xfff
	v_cndmask_b32_e64 v72, 0, v78, s13
	v_add_f32_e32 v78, v79, v71
	v_fma_f32 v79, s19, v107, -v68
	s_delay_alu instid0(VALU_DEP_1) | instskip(SKIP_1) | instid1(VALU_DEP_2)
	v_dual_add_f32 v82, v78, v72 :: v_dual_mul_f32 v79, 0x3fb8aa3b, v79
	v_cndmask_b32_e64 v78, 0, v81, s16
	v_add_f32_e32 v81, v82, v77
	s_delay_alu instid0(VALU_DEP_3) | instskip(SKIP_1) | instid1(VALU_DEP_2)
	v_exp_f32_e32 v82, v79
	v_cndmask_b32_e64 v79, 0, v90, s17
	v_add_f32_e32 v81, v81, v78
	s_delay_alu instid0(VALU_DEP_1) | instskip(SKIP_2) | instid1(VALU_DEP_1)
	v_add_f32_e32 v90, v81, v79
	s_waitcnt_depctr 0xfff
	v_cndmask_b32_e64 v81, 0, v82, s18
	v_add_f32_e32 v82, v90, v81
	ds_bpermute_b32 v89, v89, v82
	s_and_saveexec_b32 s4, s3
	s_cbranch_execz .LBB1504_12
; %bb.11:
	v_mul_u32_u24_e32 v67, 0x44, v66
	s_delay_alu instid0(VALU_DEP_1) | instskip(SKIP_1) | instid1(VALU_DEP_1)
	v_lshl_add_u32 v67, v65, 2, v67
	s_waitcnt lgkmcnt(0)
	v_dual_add_f32 v82, v82, v89 :: v_dual_add_nc_u32 v67, 0x4000, v67
	ds_store_2addr_b32 v67, v68, v82 offset1:136
.LBB1504_12:
	s_or_b32 exec_lo, exec_lo, s4
	v_lshlrev_b32_e32 v67, 2, v65
	s_waitcnt lgkmcnt(0)
	s_barrier
	buffer_gl0_inv
	v_cmp_eq_u32_e32 vcc_lo, 1, v66
	v_add_nc_u32_e32 v82, 0x4000, v67
	v_cmp_eq_u32_e64 s4, 2, v66
	v_cmp_eq_u32_e64 s6, 7, v66
	ds_load_2addr_b32 v[89:90], v82 offset1:17
	ds_load_2addr_b32 v[91:92], v82 offset0:34 offset1:51
	ds_load_2addr_b32 v[93:94], v82 offset0:68 offset1:85
	;; [unrolled: 1-line block ×4, first 2 shown]
	s_waitcnt lgkmcnt(4)
	v_max3_f32 v67, v89, 0xff7fffff, v90
	s_waitcnt lgkmcnt(3)
	s_delay_alu instid0(VALU_DEP_1) | instskip(SKIP_1) | instid1(VALU_DEP_1)
	v_max3_f32 v67, v67, v91, v92
	s_waitcnt lgkmcnt(2)
	v_max3_f32 v67, v67, v93, v94
	s_waitcnt lgkmcnt(1)
	s_delay_alu instid0(VALU_DEP_1) | instskip(NEXT) | instid1(VALU_DEP_1)
	v_max3_f32 v67, v67, v95, v96
	v_sub_f32_e32 v93, v93, v67
	s_delay_alu instid0(VALU_DEP_1) | instskip(NEXT) | instid1(VALU_DEP_1)
	v_dual_sub_f32 v68, v89, v67 :: v_dual_mul_f32 v103, 0x3fb8aa3b, v93
	v_mul_f32_e32 v68, 0x3fb8aa3b, v68
	s_delay_alu instid0(VALU_DEP_1)
	v_exp_f32_e32 v100, v68
	v_sub_f32_e32 v68, v92, v67
	v_sub_f32_e32 v99, v90, v67
	ds_load_2addr_b32 v[89:90], v82 offset0:170 offset1:187
	v_dual_mul_f32 v102, 0x3fb8aa3b, v68 :: v_dual_mul_f32 v99, 0x3fb8aa3b, v99
	s_waitcnt lgkmcnt(1)
	v_fma_f32 v68, v100, v97, 0
	s_delay_alu instid0(VALU_DEP_2) | instskip(NEXT) | instid1(VALU_DEP_2)
	v_exp_f32_e32 v102, v102
	v_exp_f32_e32 v99, v99
	s_waitcnt_depctr 0xfff
	v_fmac_f32_e32 v68, v99, v98
	v_sub_f32_e32 v91, v91, v67
	s_delay_alu instid0(VALU_DEP_1)
	v_mul_f32_e32 v101, 0x3fb8aa3b, v91
	ds_load_2addr_b32 v[91:92], v82 offset0:204 offset1:221
	v_sub_f32_e32 v97, v94, v67
	ds_load_2addr_b32 v[93:94], v82 offset0:238 offset1:255
	s_waitcnt lgkmcnt(0)
	v_exp_f32_e32 v101, v101
	s_barrier
	buffer_gl0_inv
	v_dual_fmac_f32 v68, v101, v89 :: v_dual_sub_f32 v89, v96, v67
	v_dual_sub_f32 v82, v95, v67 :: v_dual_mul_f32 v95, 0x3fb8aa3b, v97
	v_exp_f32_e32 v97, v103
	s_delay_alu instid0(VALU_DEP_2) | instskip(NEXT) | instid1(VALU_DEP_2)
	v_dual_fmac_f32 v68, v102, v90 :: v_dual_mul_f32 v89, 0x3fb8aa3b, v89
	v_mul_f32_e32 v82, 0x3fb8aa3b, v82
	s_delay_alu instid0(VALU_DEP_3) | instskip(NEXT) | instid1(VALU_DEP_2)
	v_exp_f32_e32 v95, v95
	v_exp_f32_e32 v89, v89
	s_delay_alu instid0(VALU_DEP_1)
	v_exp_f32_e32 v82, v82
	v_fmac_f32_e32 v68, v97, v91
	s_delay_alu instid0(TRANS32_DEP_3) | instid1(VALU_DEP_1)
	v_fmac_f32_e32 v68, v95, v92
	s_waitcnt_depctr 0xfff
	v_fmac_f32_e32 v68, v82, v93
	s_delay_alu instid0(VALU_DEP_1) | instskip(NEXT) | instid1(VALU_DEP_1)
	v_fmac_f32_e32 v68, v89, v94
	v_add_f32_e32 v90, 0x358637bd, v68
	s_delay_alu instid0(VALU_DEP_1) | instskip(NEXT) | instid1(VALU_DEP_1)
	v_div_scale_f32 v91, null, v90, v90, 1.0
	v_rcp_f32_e32 v92, v91
	s_waitcnt_depctr 0xfff
	v_fma_f32 v93, -v91, v92, 1.0
	s_delay_alu instid0(VALU_DEP_1) | instskip(SKIP_1) | instid1(VALU_DEP_2)
	v_dual_fmac_f32 v92, v93, v92 :: v_dual_cndmask_b32 v93, v100, v99
	v_cmp_eq_u32_e32 vcc_lo, 3, v66
	v_cndmask_b32_e64 v93, v93, v101, s4
	v_cmp_eq_u32_e64 s4, 4, v66
	s_delay_alu instid0(VALU_DEP_2) | instskip(SKIP_1) | instid1(VALU_DEP_2)
	v_cndmask_b32_e32 v93, v93, v102, vcc_lo
	v_cmp_eq_u32_e32 vcc_lo, 5, v66
	v_cndmask_b32_e64 v93, v93, v97, s4
	v_cmp_eq_u32_e64 s4, 6, v66
	s_delay_alu instid0(VALU_DEP_2) | instskip(SKIP_1) | instid1(VALU_DEP_1)
	v_cndmask_b32_e32 v93, v93, v95, vcc_lo
	v_div_scale_f32 v94, s5, 1.0, v90, 1.0
	s_mov_b32 vcc_lo, s5
	s_delay_alu instid0(VALU_DEP_2) | instskip(NEXT) | instid1(VALU_DEP_2)
	v_cndmask_b32_e64 v82, v93, v82, s4
	v_mul_f32_e32 v96, v94, v92
	s_mov_b32 s4, exec_lo
	s_delay_alu instid0(VALU_DEP_2) | instskip(NEXT) | instid1(VALU_DEP_2)
	v_cndmask_b32_e64 v82, v82, v89, s6
	v_fma_f32 v98, -v91, v96, v94
	s_delay_alu instid0(VALU_DEP_1) | instskip(NEXT) | instid1(VALU_DEP_1)
	v_fmac_f32_e32 v96, v98, v92
	v_fma_f32 v91, -v91, v96, v94
	s_delay_alu instid0(VALU_DEP_1) | instskip(NEXT) | instid1(VALU_DEP_1)
	v_div_fmas_f32 v91, v91, v92, v96
	v_div_fixup_f32 v90, v91, v90, 1.0
	s_delay_alu instid0(VALU_DEP_1) | instskip(NEXT) | instid1(VALU_DEP_1)
	v_mul_f32_e32 v82, v82, v90
	v_mul_f32_e32 v87, v82, v87
	;; [unrolled: 1-line block ×7, first 2 shown]
	v_dual_mul_f32 v86, v82, v83 :: v_dual_and_b32 v91, 0x7f800000, v90
	v_mul_f32_e32 v85, v82, v76
                                        ; implicit-def: $vgpr76
	s_delay_alu instid0(VALU_DEP_2)
	v_cmpx_ne_u32_e32 0x7f800000, v91
	s_xor_b32 s4, exec_lo, s4
; %bb.13:
	v_bfe_u32 v76, v90, 16, 1
	s_delay_alu instid0(VALU_DEP_1)
	v_add3_u32 v76, v90, v76, 0x7fff
                                        ; implicit-def: $vgpr90
; %bb.14:
	s_and_not1_saveexec_b32 s4, s4
; %bb.15:
	v_and_b32_e32 v76, 0xffff, v90
	v_or_b32_e32 v83, 0x10000, v90
	s_delay_alu instid0(VALU_DEP_2) | instskip(NEXT) | instid1(VALU_DEP_2)
	v_cmp_eq_u32_e32 vcc_lo, 0, v76
	v_cndmask_b32_e32 v76, v83, v90, vcc_lo
; %bb.16:
	s_or_b32 exec_lo, exec_lo, s4
	v_and_b32_e32 v83, 0x7f800000, v85
	s_delay_alu instid0(VALU_DEP_1) | instskip(SKIP_1) | instid1(SALU_CYCLE_1)
	v_cmp_ne_u32_e32 vcc_lo, 0x7f800000, v83
                                        ; implicit-def: $vgpr83
	s_and_saveexec_b32 s4, vcc_lo
	s_xor_b32 s4, exec_lo, s4
; %bb.17:
	v_bfe_u32 v83, v85, 16, 1
	s_delay_alu instid0(VALU_DEP_1)
	v_add3_u32 v83, v85, v83, 0x7fff
                                        ; implicit-def: $vgpr85
; %bb.18:
	s_and_not1_saveexec_b32 s4, s4
; %bb.19:
	v_and_b32_e32 v83, 0xffff, v85
	v_or_b32_e32 v90, 0x10000, v85
	s_delay_alu instid0(VALU_DEP_2) | instskip(NEXT) | instid1(VALU_DEP_2)
	v_cmp_eq_u32_e32 vcc_lo, 0, v83
	v_cndmask_b32_e32 v83, v90, v85, vcc_lo
; %bb.20:
	s_or_b32 exec_lo, exec_lo, s4
	v_and_b32_e32 v85, 0x7f800000, v86
	s_delay_alu instid0(VALU_DEP_1) | instskip(SKIP_1) | instid1(SALU_CYCLE_1)
	v_cmp_ne_u32_e32 vcc_lo, 0x7f800000, v85
                                        ; implicit-def: $vgpr85
	s_and_saveexec_b32 s4, vcc_lo
	s_xor_b32 s4, exec_lo, s4
; %bb.21:
	v_bfe_u32 v85, v86, 16, 1
	s_delay_alu instid0(VALU_DEP_1)
	v_add3_u32 v85, v86, v85, 0x7fff
                                        ; implicit-def: $vgpr86
; %bb.22:
	s_and_not1_saveexec_b32 s4, s4
; %bb.23:
	v_and_b32_e32 v85, 0xffff, v86
	v_or_b32_e32 v90, 0x10000, v86
	s_delay_alu instid0(VALU_DEP_2) | instskip(NEXT) | instid1(VALU_DEP_2)
	v_cmp_eq_u32_e32 vcc_lo, 0, v85
	v_cndmask_b32_e32 v85, v90, v86, vcc_lo
; %bb.24:
	s_or_b32 exec_lo, exec_lo, s4
	v_and_b32_e32 v86, 0x7f800000, v89
	s_delay_alu instid0(VALU_DEP_1) | instskip(SKIP_1) | instid1(SALU_CYCLE_1)
	v_cmp_ne_u32_e32 vcc_lo, 0x7f800000, v86
                                        ; implicit-def: $vgpr86
	s_and_saveexec_b32 s4, vcc_lo
	s_xor_b32 s4, exec_lo, s4
; %bb.25:
	v_bfe_u32 v86, v89, 16, 1
	s_delay_alu instid0(VALU_DEP_1)
	v_add3_u32 v86, v89, v86, 0x7fff
                                        ; implicit-def: $vgpr89
; %bb.26:
	s_and_not1_saveexec_b32 s4, s4
; %bb.27:
	v_and_b32_e32 v86, 0xffff, v89
	v_or_b32_e32 v90, 0x10000, v89
	s_delay_alu instid0(VALU_DEP_2) | instskip(NEXT) | instid1(VALU_DEP_2)
	v_cmp_eq_u32_e32 vcc_lo, 0, v86
	v_cndmask_b32_e32 v86, v90, v89, vcc_lo
; %bb.28:
	s_or_b32 exec_lo, exec_lo, s4
	v_and_b32_e32 v89, 0x7f800000, v88
	s_delay_alu instid0(VALU_DEP_1) | instskip(SKIP_1) | instid1(SALU_CYCLE_1)
	v_cmp_ne_u32_e32 vcc_lo, 0x7f800000, v89
                                        ; implicit-def: $vgpr89
	s_and_saveexec_b32 s4, vcc_lo
	s_xor_b32 s4, exec_lo, s4
; %bb.29:
	v_bfe_u32 v89, v88, 16, 1
	s_delay_alu instid0(VALU_DEP_1)
	v_add3_u32 v89, v88, v89, 0x7fff
                                        ; implicit-def: $vgpr88
; %bb.30:
	s_and_not1_saveexec_b32 s4, s4
; %bb.31:
	v_and_b32_e32 v89, 0xffff, v88
	v_or_b32_e32 v90, 0x10000, v88
	s_delay_alu instid0(VALU_DEP_2) | instskip(NEXT) | instid1(VALU_DEP_2)
	v_cmp_eq_u32_e32 vcc_lo, 0, v89
	v_cndmask_b32_e32 v89, v90, v88, vcc_lo
; %bb.32:
	s_or_b32 exec_lo, exec_lo, s4
	v_and_b32_e32 v88, 0x7f800000, v87
	s_delay_alu instid0(VALU_DEP_1) | instskip(SKIP_1) | instid1(SALU_CYCLE_1)
	v_cmp_ne_u32_e32 vcc_lo, 0x7f800000, v88
                                        ; implicit-def: $vgpr88
	s_and_saveexec_b32 s4, vcc_lo
	s_xor_b32 s4, exec_lo, s4
; %bb.33:
	v_bfe_u32 v88, v87, 16, 1
	s_delay_alu instid0(VALU_DEP_1)
	v_add3_u32 v88, v87, v88, 0x7fff
                                        ; implicit-def: $vgpr87
; %bb.34:
	s_and_not1_saveexec_b32 s4, s4
; %bb.35:
	v_and_b32_e32 v88, 0xffff, v87
	v_or_b32_e32 v90, 0x10000, v87
	s_delay_alu instid0(VALU_DEP_2) | instskip(NEXT) | instid1(VALU_DEP_2)
	v_cmp_eq_u32_e32 vcc_lo, 0, v88
	v_cndmask_b32_e32 v88, v90, v87, vcc_lo
; %bb.36:
	s_or_b32 exec_lo, exec_lo, s4
	v_and_b32_e32 v87, 0x7f800000, v84
	s_delay_alu instid0(VALU_DEP_1) | instskip(SKIP_1) | instid1(SALU_CYCLE_1)
	v_cmp_ne_u32_e32 vcc_lo, 0x7f800000, v87
                                        ; implicit-def: $vgpr87
	s_and_saveexec_b32 s4, vcc_lo
	s_xor_b32 s4, exec_lo, s4
; %bb.37:
	v_bfe_u32 v87, v84, 16, 1
	s_delay_alu instid0(VALU_DEP_1)
	v_add3_u32 v87, v84, v87, 0x7fff
                                        ; implicit-def: $vgpr84
; %bb.38:
	s_and_not1_saveexec_b32 s4, s4
; %bb.39:
	v_and_b32_e32 v87, 0xffff, v84
	v_or_b32_e32 v90, 0x10000, v84
	s_delay_alu instid0(VALU_DEP_2) | instskip(NEXT) | instid1(VALU_DEP_2)
	v_cmp_eq_u32_e32 vcc_lo, 0, v87
	v_cndmask_b32_e32 v87, v90, v84, vcc_lo
; %bb.40:
	s_or_b32 exec_lo, exec_lo, s4
	v_and_b32_e32 v84, 0x7f800000, v80
	s_delay_alu instid0(VALU_DEP_1) | instskip(SKIP_1) | instid1(SALU_CYCLE_1)
	v_cmp_ne_u32_e32 vcc_lo, 0x7f800000, v84
                                        ; implicit-def: $vgpr84
	s_and_saveexec_b32 s4, vcc_lo
	s_xor_b32 s4, exec_lo, s4
; %bb.41:
	v_bfe_u32 v84, v80, 16, 1
	s_delay_alu instid0(VALU_DEP_1)
	v_add3_u32 v84, v80, v84, 0x7fff
                                        ; implicit-def: $vgpr80
; %bb.42:
	s_and_not1_saveexec_b32 s4, s4
; %bb.43:
	v_and_b32_e32 v84, 0xffff, v80
	v_or_b32_e32 v90, 0x10000, v80
	s_delay_alu instid0(VALU_DEP_2) | instskip(NEXT) | instid1(VALU_DEP_2)
	v_cmp_eq_u32_e32 vcc_lo, 0, v84
	v_cndmask_b32_e32 v84, v90, v80, vcc_lo
; %bb.44:
	s_or_b32 exec_lo, exec_lo, s4
	s_load_b64 s[36:37], s[0:1], 0x94
	v_lshlrev_b32_e32 v91, 4, v74
	s_delay_alu instid0(VALU_DEP_2)
	v_perm_b32 v90, v84, v87, 0x7060302
	v_dual_mul_f32 v79, v82, v79 :: v_dual_lshlrev_b32 v80, 6, v65
	v_dual_mul_f32 v77, v82, v77 :: v_dual_lshlrev_b32 v92, 11, v66
	v_mul_f32_e32 v84, v82, v70
	v_perm_b32 v89, v88, v89, 0x7060302
	v_perm_b32 v88, v86, v85, 0x7060302
	;; [unrolled: 1-line block ×3, first 2 shown]
	v_mul_f32_e32 v70, v82, v81
	v_or3_b32 v76, v91, v92, v80
	v_dual_mul_f32 v78, v82, v78 :: v_dual_and_b32 v85, 0x7f800000, v84
	v_mul_f32_e32 v83, v82, v72
	v_mul_f32_e32 v81, v82, v71
	;; [unrolled: 1-line block ×3, first 2 shown]
	s_mov_b32 s4, exec_lo
	ds_store_b128 v76, v[87:90]
                                        ; implicit-def: $vgpr69
	v_cmpx_ne_u32_e32 0x7f800000, v85
	s_xor_b32 s4, exec_lo, s4
; %bb.45:
	v_bfe_u32 v69, v84, 16, 1
	s_delay_alu instid0(VALU_DEP_1)
	v_add3_u32 v69, v84, v69, 0x7fff
                                        ; implicit-def: $vgpr84
; %bb.46:
	s_and_not1_saveexec_b32 s4, s4
; %bb.47:
	v_and_b32_e32 v69, 0xffff, v84
	v_or_b32_e32 v71, 0x10000, v84
	s_delay_alu instid0(VALU_DEP_2) | instskip(NEXT) | instid1(VALU_DEP_2)
	v_cmp_eq_u32_e32 vcc_lo, 0, v69
	v_cndmask_b32_e32 v69, v71, v84, vcc_lo
; %bb.48:
	s_or_b32 exec_lo, exec_lo, s4
	v_and_b32_e32 v71, 0x7f800000, v72
	s_delay_alu instid0(VALU_DEP_1) | instskip(SKIP_1) | instid1(SALU_CYCLE_1)
	v_cmp_ne_u32_e32 vcc_lo, 0x7f800000, v71
                                        ; implicit-def: $vgpr71
	s_and_saveexec_b32 s4, vcc_lo
	s_xor_b32 s4, exec_lo, s4
; %bb.49:
	v_bfe_u32 v71, v72, 16, 1
	s_delay_alu instid0(VALU_DEP_1)
	v_add3_u32 v71, v72, v71, 0x7fff
                                        ; implicit-def: $vgpr72
; %bb.50:
	s_and_not1_saveexec_b32 s4, s4
; %bb.51:
	v_and_b32_e32 v71, 0xffff, v72
	v_or_b32_e32 v82, 0x10000, v72
	s_delay_alu instid0(VALU_DEP_2) | instskip(NEXT) | instid1(VALU_DEP_2)
	v_cmp_eq_u32_e32 vcc_lo, 0, v71
	v_cndmask_b32_e32 v71, v82, v72, vcc_lo
; %bb.52:
	s_or_b32 exec_lo, exec_lo, s4
	v_and_b32_e32 v72, 0x7f800000, v81
	s_delay_alu instid0(VALU_DEP_1) | instskip(SKIP_1) | instid1(SALU_CYCLE_1)
	v_cmp_ne_u32_e32 vcc_lo, 0x7f800000, v72
                                        ; implicit-def: $vgpr72
	s_and_saveexec_b32 s4, vcc_lo
	s_xor_b32 s4, exec_lo, s4
; %bb.53:
	v_bfe_u32 v72, v81, 16, 1
	s_delay_alu instid0(VALU_DEP_1)
	v_add3_u32 v72, v81, v72, 0x7fff
                                        ; implicit-def: $vgpr81
; %bb.54:
	s_and_not1_saveexec_b32 s4, s4
; %bb.55:
	v_and_b32_e32 v72, 0xffff, v81
	v_or_b32_e32 v82, 0x10000, v81
	s_delay_alu instid0(VALU_DEP_2) | instskip(NEXT) | instid1(VALU_DEP_2)
	v_cmp_eq_u32_e32 vcc_lo, 0, v72
	v_cndmask_b32_e32 v72, v82, v81, vcc_lo
; %bb.56:
	s_or_b32 exec_lo, exec_lo, s4
	v_and_b32_e32 v81, 0x7f800000, v83
	s_delay_alu instid0(VALU_DEP_1) | instskip(SKIP_1) | instid1(SALU_CYCLE_1)
	v_cmp_ne_u32_e32 vcc_lo, 0x7f800000, v81
                                        ; implicit-def: $vgpr81
	s_and_saveexec_b32 s4, vcc_lo
	s_xor_b32 s4, exec_lo, s4
; %bb.57:
	v_bfe_u32 v81, v83, 16, 1
	s_delay_alu instid0(VALU_DEP_1)
	v_add3_u32 v81, v83, v81, 0x7fff
                                        ; implicit-def: $vgpr83
; %bb.58:
	s_and_not1_saveexec_b32 s4, s4
; %bb.59:
	v_and_b32_e32 v81, 0xffff, v83
	v_or_b32_e32 v82, 0x10000, v83
	s_delay_alu instid0(VALU_DEP_2) | instskip(NEXT) | instid1(VALU_DEP_2)
	v_cmp_eq_u32_e32 vcc_lo, 0, v81
	v_cndmask_b32_e32 v81, v82, v83, vcc_lo
; %bb.60:
	s_or_b32 exec_lo, exec_lo, s4
	v_and_b32_e32 v82, 0x7f800000, v77
	s_delay_alu instid0(VALU_DEP_1) | instskip(SKIP_1) | instid1(SALU_CYCLE_1)
	v_cmp_ne_u32_e32 vcc_lo, 0x7f800000, v82
                                        ; implicit-def: $vgpr82
	s_and_saveexec_b32 s4, vcc_lo
	s_xor_b32 s4, exec_lo, s4
; %bb.61:
	v_bfe_u32 v82, v77, 16, 1
	s_delay_alu instid0(VALU_DEP_1)
	v_add3_u32 v82, v77, v82, 0x7fff
                                        ; implicit-def: $vgpr77
; %bb.62:
	s_and_not1_saveexec_b32 s4, s4
; %bb.63:
	v_and_b32_e32 v82, 0xffff, v77
	v_or_b32_e32 v83, 0x10000, v77
	s_delay_alu instid0(VALU_DEP_2) | instskip(NEXT) | instid1(VALU_DEP_2)
	v_cmp_eq_u32_e32 vcc_lo, 0, v82
	v_cndmask_b32_e32 v82, v83, v77, vcc_lo
; %bb.64:
	s_or_b32 exec_lo, exec_lo, s4
	v_and_b32_e32 v77, 0x7f800000, v78
	s_delay_alu instid0(VALU_DEP_1) | instskip(SKIP_1) | instid1(SALU_CYCLE_1)
	v_cmp_ne_u32_e32 vcc_lo, 0x7f800000, v77
                                        ; implicit-def: $vgpr77
	s_and_saveexec_b32 s4, vcc_lo
	s_xor_b32 s4, exec_lo, s4
; %bb.65:
	v_bfe_u32 v77, v78, 16, 1
	s_delay_alu instid0(VALU_DEP_1)
	v_add3_u32 v77, v78, v77, 0x7fff
                                        ; implicit-def: $vgpr78
; %bb.66:
	s_and_not1_saveexec_b32 s4, s4
; %bb.67:
	v_and_b32_e32 v77, 0xffff, v78
	v_or_b32_e32 v83, 0x10000, v78
	s_delay_alu instid0(VALU_DEP_2) | instskip(NEXT) | instid1(VALU_DEP_2)
	v_cmp_eq_u32_e32 vcc_lo, 0, v77
	v_cndmask_b32_e32 v77, v83, v78, vcc_lo
; %bb.68:
	s_or_b32 exec_lo, exec_lo, s4
	v_and_b32_e32 v78, 0x7f800000, v79
	s_delay_alu instid0(VALU_DEP_1) | instskip(SKIP_1) | instid1(SALU_CYCLE_1)
	v_cmp_ne_u32_e32 vcc_lo, 0x7f800000, v78
                                        ; implicit-def: $vgpr78
	s_and_saveexec_b32 s4, vcc_lo
	s_xor_b32 s4, exec_lo, s4
; %bb.69:
	v_bfe_u32 v78, v79, 16, 1
	s_delay_alu instid0(VALU_DEP_1)
	v_add3_u32 v78, v79, v78, 0x7fff
                                        ; implicit-def: $vgpr79
; %bb.70:
	s_and_not1_saveexec_b32 s4, s4
; %bb.71:
	v_and_b32_e32 v78, 0xffff, v79
	v_or_b32_e32 v83, 0x10000, v79
	s_delay_alu instid0(VALU_DEP_2) | instskip(NEXT) | instid1(VALU_DEP_2)
	v_cmp_eq_u32_e32 vcc_lo, 0, v78
	v_cndmask_b32_e32 v78, v83, v79, vcc_lo
; %bb.72:
	s_or_b32 exec_lo, exec_lo, s4
	v_and_b32_e32 v79, 0x7f800000, v70
	s_delay_alu instid0(VALU_DEP_1) | instskip(SKIP_1) | instid1(SALU_CYCLE_1)
	v_cmp_ne_u32_e32 vcc_lo, 0x7f800000, v79
                                        ; implicit-def: $vgpr79
	s_and_saveexec_b32 s4, vcc_lo
	s_xor_b32 s4, exec_lo, s4
; %bb.73:
	v_bfe_u32 v79, v70, 16, 1
	s_delay_alu instid0(VALU_DEP_1)
	v_add3_u32 v79, v70, v79, 0x7fff
                                        ; implicit-def: $vgpr70
; %bb.74:
	s_and_not1_saveexec_b32 s4, s4
; %bb.75:
	v_and_b32_e32 v79, 0xffff, v70
	v_or_b32_e32 v83, 0x10000, v70
	s_delay_alu instid0(VALU_DEP_2) | instskip(NEXT) | instid1(VALU_DEP_2)
	v_cmp_eq_u32_e32 vcc_lo, 0, v79
	v_cndmask_b32_e32 v79, v83, v70, vcc_lo
; %bb.76:
	s_or_b32 exec_lo, exec_lo, s4
	s_delay_alu instid0(VALU_DEP_1)
	v_perm_b32 v86, v79, v78, 0x7060302
	v_perm_b32 v85, v77, v82, 0x7060302
	;; [unrolled: 1-line block ×4, first 2 shown]
	v_lshl_or_b32 v82, v66, 11, v80
	ds_store_b128 v76, v[83:86] offset:1024
	s_waitcnt lgkmcnt(0)
	s_barrier
	buffer_gl0_inv
	ds_load_b128 v[69:72], v82
	ds_load_b128 v[83:86], v82 offset:16
	s_waitcnt lgkmcnt(1)
	v_lshrrev_b32_e32 v66, 16, v69
	s_waitcnt lgkmcnt(0)
	v_lshrrev_b32_e32 v91, 16, v83
	v_lshlrev_b32_e32 v78, 2, v74
	v_lshrrev_b32_e32 v95, 16, v70
	v_lshrrev_b32_e32 v98, 16, v84
	;; [unrolled: 1-line block ×4, first 2 shown]
	v_cmp_eq_u32_e32 vcc_lo, 1, v78
	v_lshrrev_b32_e32 v97, 16, v72
	v_lshrrev_b32_e32 v100, 16, v86
	v_cndmask_b32_e32 v87, v83, v91, vcc_lo
	v_or_b32_e32 v79, 1, v78
	v_cndmask_b32_e32 v81, v69, v66, vcc_lo
	v_cmp_eq_u32_e64 s5, 2, v78
	v_cmp_eq_u32_e64 s8, 3, v78
	;; [unrolled: 1-line block ×5, first 2 shown]
	v_cndmask_b32_e64 v81, v81, v70, s5
	v_cndmask_b32_e64 v87, v87, v84, s5
	v_cmp_eq_u32_e64 s9, 3, v79
	v_cndmask_b32_e64 v88, v69, v66, s4
	v_or_b32_e32 v77, 2, v78
	v_cndmask_b32_e64 v81, v81, v95, s8
	v_cndmask_b32_e64 v87, v87, v98, s8
	;; [unrolled: 1-line block ×4, first 2 shown]
	v_cmp_eq_u32_e64 s11, 5, v78
	v_cndmask_b32_e64 v81, v81, v71, s10
	v_cndmask_b32_e64 v87, v87, v85, s10
	v_cmp_eq_u32_e64 s12, 4, v79
	v_cndmask_b32_e64 v88, v88, v95, s9
	v_cmp_eq_u32_e64 s6, 1, v77
	v_cndmask_b32_e64 v89, v89, v84, s7
	v_cndmask_b32_e64 v81, v81, v96, s11
	v_cmp_eq_u32_e64 s13, 6, v78
	v_cndmask_b32_e64 v88, v88, v71, s12
	;; [unrolled: 3-line block ×3, first 2 shown]
	v_cndmask_b32_e64 v89, v89, v98, s9
	v_cndmask_b32_e64 v81, v81, v72, s13
	v_cmp_eq_u32_e64 s16, 7, v78
	v_cndmask_b32_e64 v88, v88, v96, s15
	v_cndmask_b32_e64 v87, v87, v86, s13
	v_cmp_eq_u32_e64 s17, 6, v79
	v_cmp_eq_u32_e64 s18, 2, v77
	v_cndmask_b32_e64 v89, v89, v85, s12
	v_cndmask_b32_e64 v101, v81, v97, s16
	;; [unrolled: 1-line block ×6, first 2 shown]
	v_cmp_eq_u32_e64 s19, 7, v79
	v_cmp_eq_u32_e64 s20, 3, v77
	;; [unrolled: 1-line block ×4, first 2 shown]
	v_cndmask_b32_e64 v87, v87, v84, s18
	v_cndmask_b32_e64 v103, v88, v97, s19
	;; [unrolled: 1-line block ×4, first 2 shown]
	v_or_b32_e32 v81, 3, v78
	v_cndmask_b32_e64 v93, v87, v98, s20
	v_cmp_eq_u32_e64 s25, 6, v77
	v_cndmask_b32_e64 v104, v88, v86, s17
	v_cndmask_b32_e64 v92, v89, v71, s21
	v_cmp_eq_u32_e64 s22, 1, v81
	ds_load_b128 v[87:90], v82 offset:1024
	v_cmp_eq_u32_e64 s24, 2, v81
	v_cmp_eq_u32_e64 s26, 3, v81
	v_cndmask_b32_e64 v105, v92, v96, s23
	v_cndmask_b32_e64 v66, v69, v66, s22
	;; [unrolled: 1-line block ×4, first 2 shown]
	ds_load_b128 v[91:94], v82 offset:1040
	v_cmp_eq_u32_e64 s27, 4, v81
	v_cndmask_b32_e64 v66, v66, v70, s24
	v_cmp_eq_u32_e64 s28, 7, v77
	v_cndmask_b32_e64 v70, v83, v84, s24
	v_cndmask_b32_e64 v84, v105, v72, s25
	v_cmp_eq_u32_e64 s29, 5, v81
	v_cndmask_b32_e64 v66, v66, v95, s26
	v_cmp_eq_u32_e64 s30, 6, v81
	v_cndmask_b32_e64 v70, v70, v98, s26
	v_cndmask_b32_e64 v69, v69, v99, s23
	;; [unrolled: 1-line block ×4, first 2 shown]
	s_waitcnt lgkmcnt(1)
	v_lshrrev_b32_e32 v95, 16, v87
	v_cndmask_b32_e64 v70, v70, v85, s27
	v_cndmask_b32_e64 v71, v84, v97, s28
	;; [unrolled: 1-line block ×4, first 2 shown]
	v_cndmask_b32_e32 v84, v87, v95, vcc_lo
	v_cndmask_b32_e64 v70, v70, v99, s29
	s_waitcnt lgkmcnt(0)
	v_lshrrev_b32_e32 v85, 16, v91
	v_lshrrev_b32_e32 v96, 16, v88
	v_cndmask_b32_e64 v98, v87, v95, s4
	v_cndmask_b32_e64 v84, v84, v88, s5
	;; [unrolled: 1-line block ×3, first 2 shown]
	v_cndmask_b32_e32 v99, v91, v85, vcc_lo
	v_cmp_eq_u32_e32 vcc_lo, 7, v81
	v_cndmask_b32_e64 v66, v66, v72, s30
	v_cndmask_b32_e64 v72, v84, v96, s8
	;; [unrolled: 1-line block ×3, first 2 shown]
	v_lshrrev_b32_e32 v98, 16, v92
	v_cndmask_b32_e32 v70, v70, v100, vcc_lo
	v_cndmask_b32_e64 v86, v99, v92, s5
	v_cndmask_b32_e64 v69, v69, v100, s28
	v_lshrrev_b32_e32 v100, 16, v93
	v_cndmask_b32_e64 v72, v72, v89, s10
	v_lshrrev_b32_e32 v99, 16, v89
	v_cndmask_b32_e64 v86, v86, v98, s8
	v_perm_b32 v71, v69, v71, 0x5040100
	v_cndmask_b32_e64 v84, v84, v96, s9
	s_delay_alu instid0(VALU_DEP_3) | instskip(NEXT) | instid1(VALU_DEP_2)
	v_cndmask_b32_e64 v86, v86, v93, s10
	v_cndmask_b32_e64 v84, v84, v89, s12
	s_delay_alu instid0(VALU_DEP_2) | instskip(NEXT) | instid1(VALU_DEP_1)
	v_cndmask_b32_e64 v86, v86, v100, s11
	v_cndmask_b32_e64 v69, v86, v94, s13
	;; [unrolled: 1-line block ×5, first 2 shown]
	s_delay_alu instid0(VALU_DEP_3) | instskip(NEXT) | instid1(VALU_DEP_3)
	v_cndmask_b32_e64 v86, v86, v88, s18
	v_cndmask_b32_e64 v87, v87, v88, s24
	s_delay_alu instid0(VALU_DEP_3) | instskip(NEXT) | instid1(VALU_DEP_3)
	v_cndmask_b32_e64 v88, v95, v92, s24
	v_cndmask_b32_e64 v86, v86, v96, s20
	;; [unrolled: 3-line block ×7, first 2 shown]
	s_delay_alu instid0(VALU_DEP_3) | instskip(SKIP_2) | instid1(VALU_DEP_2)
	v_cndmask_b32_e64 v88, v88, v94, s30
	v_cndmask_b32_e32 v66, v66, v97, vcc_lo
	v_cndmask_b32_e64 v97, v72, v99, s11
	v_perm_b32 v72, v70, v66, 0x5040100
	v_perm_b32 v70, v83, v103, 0x5040100
	v_cndmask_b32_e64 v103, v91, v85, s6
	v_cndmask_b32_e64 v85, v91, v85, s4
	;; [unrolled: 1-line block ×4, first 2 shown]
	v_lshrrev_b32_e32 v97, 16, v90
	v_cndmask_b32_e64 v91, v103, v92, s18
	v_cndmask_b32_e64 v85, v85, v92, s7
	;; [unrolled: 1-line block ×3, first 2 shown]
	s_mov_b32 s4, exec_lo
	v_cndmask_b32_e64 v83, v84, v97, s16
	v_cndmask_b32_e64 v91, v91, v98, s20
	;; [unrolled: 1-line block ×3, first 2 shown]
	v_lshrrev_b32_e32 v84, 16, v94
	v_cndmask_b32_e64 v66, v66, v97, s19
	v_cndmask_b32_e64 v90, v86, v97, s28
	;; [unrolled: 1-line block ×4, first 2 shown]
	v_dual_cndmask_b32 v86, v87, v97 :: v_dual_cndmask_b32 v87, v88, v84
	v_cndmask_b32_e64 v91, v69, v84, s16
	s_delay_alu instid0(VALU_DEP_4) | instskip(NEXT) | instid1(VALU_DEP_4)
	v_cndmask_b32_e64 v89, v89, v100, s23
	v_cndmask_b32_e64 v85, v85, v100, s15
	v_perm_b32 v69, v102, v101, 0x5040100
	v_perm_b32 v86, v87, v86, 0x5040100
	;; [unrolled: 1-line block ×3, first 2 shown]
	v_cndmask_b32_e64 v89, v89, v94, s25
	v_cndmask_b32_e64 v85, v85, v94, s17
	s_mul_i32 s9, s37, 3
	s_delay_alu instid0(VALU_DEP_2) | instskip(NEXT) | instid1(VALU_DEP_2)
	v_cndmask_b32_e64 v88, v89, v84, s28
	v_cndmask_b32_e64 v89, v85, v84, s19
	s_delay_alu instid0(VALU_DEP_2) | instskip(NEXT) | instid1(VALU_DEP_2)
	v_perm_b32 v85, v88, v90, 0x5040100
	v_perm_b32 v84, v89, v66, 0x5040100
	ds_store_b128 v76, v[69:72]
	ds_store_b128 v76, v[83:86] offset:1024
	v_cmpx_gt_u32_e32 3, v0
	s_cbranch_execz .LBB1504_78
; %bb.77:
	s_mul_i32 s5, s9, s34
	s_load_b128 s[16:19], s[0:1], 0x58
	v_add3_u32 v69, s5, s31, v65
	s_delay_alu instid0(VALU_DEP_1) | instskip(NEXT) | instid1(VALU_DEP_1)
	v_mad_u64_u32 v[65:66], null, v69, s36, s[14:15]
	v_ashrrev_i32_e32 v66, 31, v65
	s_delay_alu instid0(VALU_DEP_1) | instskip(SKIP_1) | instid1(VALU_DEP_1)
	v_lshlrev_b64 v[65:66], 2, v[65:66]
	s_waitcnt lgkmcnt(0)
	v_add_co_u32 v69, vcc_lo, s18, v65
	s_delay_alu instid0(VALU_DEP_2)
	v_add_co_ci_u32_e32 v70, vcc_lo, s19, v66, vcc_lo
	v_add_co_u32 v65, vcc_lo, s16, v65
	v_add_co_ci_u32_e32 v66, vcc_lo, s17, v66, vcc_lo
	global_store_b32 v[69:70], v67, off
	global_store_b32 v[65:66], v68, off
.LBB1504_78:
	s_or_b32 exec_lo, exec_lo, s4
	s_waitcnt lgkmcnt(0)
	s_waitcnt_vscnt null, 0x0
	s_barrier
	buffer_gl0_inv
	ds_load_b128 v[83:86], v80
	ds_load_b128 v[87:90], v80 offset:16
	ds_load_b128 v[95:98], v80 offset:2064
	;; [unrolled: 1-line block ×3, first 2 shown]
	v_mov_b32_e32 v65, 0
	ds_load_b128 v[103:106], v80 offset:4112
	ds_load_b128 v[99:102], v80 offset:4096
	;; [unrolled: 1-line block ×4, first 2 shown]
	v_mov_b32_e32 v66, v65
	v_mov_b32_e32 v67, v65
	;; [unrolled: 1-line block ×7, first 2 shown]
	s_waitcnt lgkmcnt(6)
	s_delay_alu instid0(VALU_DEP_1)
	v_wmma_f32_16x16x16_bf16 v[65:72], v[57:64], v[83:90], v[65:72]
	ds_load_b128 v[61:64], v80 offset:8208
	ds_load_b128 v[57:60], v80 offset:8192
	s_waitcnt lgkmcnt(6)
	v_wmma_f32_16x16x16_bf16 v[65:72], v[41:48], v[91:98], v[65:72]
	ds_load_b128 v[45:48], v80 offset:10256
	ds_load_b128 v[41:44], v80 offset:10240
	s_waitcnt lgkmcnt(6)
	;; [unrolled: 4-line block ×4, first 2 shown]
	v_wmma_f32_16x16x16_bf16 v[65:72], v[1:8], v[57:64], v[65:72]
	s_waitcnt lgkmcnt(4)
	s_delay_alu instid0(VALU_DEP_1) | instskip(SKIP_1) | instid1(VALU_DEP_1)
	v_wmma_f32_16x16x16_bf16 v[65:72], v[9:16], v[41:48], v[65:72]
	s_waitcnt lgkmcnt(2)
	v_wmma_f32_16x16x16_bf16 v[65:72], v[17:24], v[33:40], v[65:72]
	s_waitcnt lgkmcnt(0)
	s_delay_alu instid0(VALU_DEP_1) | instskip(NEXT) | instid1(VALU_DEP_1)
	v_wmma_f32_16x16x16_bf16 v[65:72], v[49:56], v[25:32], v[65:72]
	v_and_b32_e32 v1, 0x7f800000, v65
	s_delay_alu instid0(VALU_DEP_1) | instskip(SKIP_1) | instid1(SALU_CYCLE_1)
	v_cmp_ne_u32_e32 vcc_lo, 0x7f800000, v1
                                        ; implicit-def: $vgpr1
	s_and_saveexec_b32 s4, vcc_lo
	s_xor_b32 s4, exec_lo, s4
; %bb.79:
	v_bfe_u32 v1, v65, 16, 1
	s_delay_alu instid0(VALU_DEP_1)
	v_add3_u32 v1, v65, v1, 0x7fff
; %bb.80:
	s_and_not1_saveexec_b32 s4, s4
; %bb.81:
	v_and_b32_e32 v1, 0xffff, v65
	v_or_b32_e32 v2, 0x10000, v65
	s_delay_alu instid0(VALU_DEP_2) | instskip(NEXT) | instid1(VALU_DEP_2)
	v_cmp_eq_u32_e32 vcc_lo, 0, v1
	v_cndmask_b32_e32 v1, v2, v65, vcc_lo
; %bb.82:
	s_or_b32 exec_lo, exec_lo, s4
	v_and_b32_e32 v2, 0x7f800000, v66
	s_delay_alu instid0(VALU_DEP_1) | instskip(SKIP_1) | instid1(SALU_CYCLE_1)
	v_cmp_ne_u32_e32 vcc_lo, 0x7f800000, v2
                                        ; implicit-def: $vgpr2
	s_and_saveexec_b32 s4, vcc_lo
	s_xor_b32 s4, exec_lo, s4
; %bb.83:
	v_bfe_u32 v2, v66, 16, 1
	s_delay_alu instid0(VALU_DEP_1)
	v_add3_u32 v2, v66, v2, 0x7fff
; %bb.84:
	s_and_not1_saveexec_b32 s4, s4
; %bb.85:
	v_and_b32_e32 v2, 0xffff, v66
	v_or_b32_e32 v3, 0x10000, v66
	s_delay_alu instid0(VALU_DEP_2) | instskip(NEXT) | instid1(VALU_DEP_2)
	v_cmp_eq_u32_e32 vcc_lo, 0, v2
	v_cndmask_b32_e32 v2, v3, v66, vcc_lo
; %bb.86:
	s_or_b32 exec_lo, exec_lo, s4
	v_and_b32_e32 v3, 0x7f800000, v67
	s_delay_alu instid0(VALU_DEP_1) | instskip(SKIP_1) | instid1(SALU_CYCLE_1)
	v_cmp_ne_u32_e32 vcc_lo, 0x7f800000, v3
                                        ; implicit-def: $vgpr3
	s_and_saveexec_b32 s4, vcc_lo
	s_xor_b32 s4, exec_lo, s4
; %bb.87:
	v_bfe_u32 v3, v67, 16, 1
	s_delay_alu instid0(VALU_DEP_1)
	v_add3_u32 v3, v67, v3, 0x7fff
; %bb.88:
	s_and_not1_saveexec_b32 s4, s4
; %bb.89:
	v_and_b32_e32 v3, 0xffff, v67
	v_or_b32_e32 v4, 0x10000, v67
	s_delay_alu instid0(VALU_DEP_2) | instskip(NEXT) | instid1(VALU_DEP_2)
	v_cmp_eq_u32_e32 vcc_lo, 0, v3
	v_cndmask_b32_e32 v3, v4, v67, vcc_lo
; %bb.90:
	s_or_b32 exec_lo, exec_lo, s4
	v_and_b32_e32 v4, 0x7f800000, v68
	s_delay_alu instid0(VALU_DEP_1) | instskip(SKIP_1) | instid1(SALU_CYCLE_1)
	v_cmp_ne_u32_e32 vcc_lo, 0x7f800000, v4
                                        ; implicit-def: $vgpr4
	s_and_saveexec_b32 s4, vcc_lo
	s_xor_b32 s4, exec_lo, s4
; %bb.91:
	v_bfe_u32 v4, v68, 16, 1
	s_delay_alu instid0(VALU_DEP_1)
	v_add3_u32 v4, v68, v4, 0x7fff
; %bb.92:
	s_and_not1_saveexec_b32 s4, s4
; %bb.93:
	v_and_b32_e32 v4, 0xffff, v68
	v_or_b32_e32 v5, 0x10000, v68
	s_delay_alu instid0(VALU_DEP_2) | instskip(NEXT) | instid1(VALU_DEP_2)
	v_cmp_eq_u32_e32 vcc_lo, 0, v4
	v_cndmask_b32_e32 v4, v5, v68, vcc_lo
; %bb.94:
	s_or_b32 exec_lo, exec_lo, s4
	v_and_b32_e32 v5, 0x7f800000, v69
	s_delay_alu instid0(VALU_DEP_1) | instskip(SKIP_1) | instid1(SALU_CYCLE_1)
	v_cmp_ne_u32_e32 vcc_lo, 0x7f800000, v5
                                        ; implicit-def: $vgpr5
	s_and_saveexec_b32 s4, vcc_lo
	s_xor_b32 s4, exec_lo, s4
; %bb.95:
	v_bfe_u32 v5, v69, 16, 1
	s_delay_alu instid0(VALU_DEP_1)
	v_add3_u32 v5, v69, v5, 0x7fff
; %bb.96:
	s_and_not1_saveexec_b32 s4, s4
; %bb.97:
	v_and_b32_e32 v5, 0xffff, v69
	v_or_b32_e32 v6, 0x10000, v69
	s_delay_alu instid0(VALU_DEP_2) | instskip(NEXT) | instid1(VALU_DEP_2)
	v_cmp_eq_u32_e32 vcc_lo, 0, v5
	v_cndmask_b32_e32 v5, v6, v69, vcc_lo
; %bb.98:
	s_or_b32 exec_lo, exec_lo, s4
	v_and_b32_e32 v6, 0x7f800000, v70
	s_delay_alu instid0(VALU_DEP_1) | instskip(SKIP_1) | instid1(SALU_CYCLE_1)
	v_cmp_ne_u32_e32 vcc_lo, 0x7f800000, v6
                                        ; implicit-def: $vgpr6
	s_and_saveexec_b32 s4, vcc_lo
	s_xor_b32 s4, exec_lo, s4
; %bb.99:
	v_bfe_u32 v6, v70, 16, 1
	s_delay_alu instid0(VALU_DEP_1)
	v_add3_u32 v6, v70, v6, 0x7fff
; %bb.100:
	s_and_not1_saveexec_b32 s4, s4
; %bb.101:
	v_and_b32_e32 v6, 0xffff, v70
	v_or_b32_e32 v7, 0x10000, v70
	s_delay_alu instid0(VALU_DEP_2) | instskip(NEXT) | instid1(VALU_DEP_2)
	v_cmp_eq_u32_e32 vcc_lo, 0, v6
	v_cndmask_b32_e32 v6, v7, v70, vcc_lo
; %bb.102:
	s_or_b32 exec_lo, exec_lo, s4
	v_and_b32_e32 v7, 0x7f800000, v71
	s_delay_alu instid0(VALU_DEP_1) | instskip(SKIP_1) | instid1(SALU_CYCLE_1)
	v_cmp_ne_u32_e32 vcc_lo, 0x7f800000, v7
                                        ; implicit-def: $vgpr7
	s_and_saveexec_b32 s4, vcc_lo
	s_xor_b32 s4, exec_lo, s4
; %bb.103:
	v_bfe_u32 v7, v71, 16, 1
	s_delay_alu instid0(VALU_DEP_1)
	v_add3_u32 v7, v71, v7, 0x7fff
; %bb.104:
	s_and_not1_saveexec_b32 s4, s4
; %bb.105:
	v_and_b32_e32 v7, 0xffff, v71
	v_or_b32_e32 v8, 0x10000, v71
	s_delay_alu instid0(VALU_DEP_2) | instskip(NEXT) | instid1(VALU_DEP_2)
	v_cmp_eq_u32_e32 vcc_lo, 0, v7
	v_cndmask_b32_e32 v7, v8, v71, vcc_lo
; %bb.106:
	s_or_b32 exec_lo, exec_lo, s4
	v_and_b32_e32 v8, 0x7f800000, v72
	s_delay_alu instid0(VALU_DEP_1) | instskip(SKIP_1) | instid1(SALU_CYCLE_1)
	v_cmp_ne_u32_e32 vcc_lo, 0x7f800000, v8
                                        ; implicit-def: $vgpr8
	s_and_saveexec_b32 s4, vcc_lo
	s_xor_b32 s4, exec_lo, s4
; %bb.107:
	v_bfe_u32 v8, v72, 16, 1
	s_delay_alu instid0(VALU_DEP_1)
	v_add3_u32 v8, v72, v8, 0x7fff
                                        ; implicit-def: $vgpr65_vgpr66_vgpr67_vgpr68_vgpr69_vgpr70_vgpr71_vgpr72
; %bb.108:
	s_and_not1_saveexec_b32 s4, s4
; %bb.109:
	v_and_b32_e32 v8, 0xffff, v72
	v_or_b32_e32 v9, 0x10000, v72
	s_delay_alu instid0(VALU_DEP_2) | instskip(NEXT) | instid1(VALU_DEP_2)
	v_cmp_eq_u32_e32 vcc_lo, 0, v8
	v_cndmask_b32_e32 v8, v9, v72, vcc_lo
; %bb.110:
	s_or_b32 exec_lo, exec_lo, s4
	s_delay_alu instid0(VALU_DEP_1)
	v_perm_b32 v7, v8, v7, 0x7060302
	v_perm_b32 v6, v6, v5, 0x7060302
	;; [unrolled: 1-line block ×4, first 2 shown]
	s_barrier
	buffer_gl0_inv
	v_cmp_eq_u32_e32 vcc_lo, 1, v78
	ds_store_b128 v76, v[4:7]
	s_waitcnt lgkmcnt(0)
	s_barrier
	buffer_gl0_inv
	ds_load_b128 v[1:4], v82
	ds_load_b128 v[5:8], v82 offset:16
	v_cmp_eq_u32_e64 s4, 1, v79
	v_cmp_eq_u32_e64 s5, 2, v78
	;; [unrolled: 1-line block ×5, first 2 shown]
	s_waitcnt lgkmcnt(1)
	v_lshrrev_b32_e32 v9, 16, v1
	s_waitcnt lgkmcnt(0)
	v_lshrrev_b32_e32 v13, 16, v5
	v_lshrrev_b32_e32 v10, 16, v2
	;; [unrolled: 1-line block ×4, first 2 shown]
	v_cndmask_b32_e64 v19, v1, v9, s4
	v_cndmask_b32_e32 v18, v5, v13, vcc_lo
	v_cndmask_b32_e64 v20, v5, v13, s4
	v_cndmask_b32_e32 v17, v1, v9, vcc_lo
	v_cmp_eq_u32_e32 vcc_lo, 2, v79
	v_lshrrev_b32_e32 v15, 16, v7
	v_cmp_eq_u32_e64 s4, 1, v77
	v_lshrrev_b32_e32 v12, 16, v4
	v_lshrrev_b32_e32 v16, 16, v8
	v_cndmask_b32_e32 v20, v20, v6, vcc_lo
	v_cndmask_b32_e64 v17, v17, v2, s5
	v_cndmask_b32_e32 v19, v19, v2, vcc_lo
	v_cndmask_b32_e64 v18, v18, v6, s5
	v_cmp_eq_u32_e32 vcc_lo, 4, v78
	v_cmp_eq_u32_e64 s5, 3, v79
	v_cndmask_b32_e64 v17, v17, v10, s6
	v_cndmask_b32_e64 v21, v1, v9, s4
	;; [unrolled: 1-line block ×5, first 2 shown]
	v_cndmask_b32_e32 v17, v17, v3, vcc_lo
	v_cndmask_b32_e64 v20, v20, v14, s5
	v_cndmask_b32_e32 v18, v18, v7, vcc_lo
	v_cmp_eq_u32_e32 vcc_lo, 4, v79
	v_cmp_eq_u32_e64 s5, 5, v79
	v_cmp_eq_u32_e64 s4, 2, v81
	v_cndmask_b32_e64 v21, v21, v2, s8
	v_cmp_eq_u32_e64 s6, 5, v78
	v_cndmask_b32_e32 v19, v19, v3, vcc_lo
	v_cndmask_b32_e32 v20, v20, v7, vcc_lo
	v_cmp_eq_u32_e32 vcc_lo, 6, v79
	s_delay_alu instid0(VALU_DEP_4) | instskip(NEXT) | instid1(VALU_DEP_4)
	v_cndmask_b32_e64 v17, v17, v11, s6
	v_cndmask_b32_e64 v19, v19, v11, s5
	s_delay_alu instid0(VALU_DEP_4) | instskip(SKIP_1) | instid1(VALU_DEP_3)
	v_cndmask_b32_e64 v20, v20, v15, s5
	v_cmp_eq_u32_e64 s5, 1, v81
	v_cndmask_b32_e32 v19, v19, v4, vcc_lo
	v_cndmask_b32_e64 v18, v18, v15, s6
	s_delay_alu instid0(VALU_DEP_3)
	v_cndmask_b32_e64 v1, v1, v9, s5
	v_cndmask_b32_e64 v5, v5, v13, s5
	v_cmp_eq_u32_e64 s5, 3, v77
	v_cndmask_b32_e64 v13, v22, v6, s8
	v_cmp_eq_u32_e64 s8, 3, v81
	v_cndmask_b32_e64 v1, v1, v2, s4
	v_cndmask_b32_e64 v2, v5, v6, s4
	;; [unrolled: 1-line block ×3, first 2 shown]
	v_cmp_eq_u32_e64 s4, 4, v77
	v_cndmask_b32_e64 v6, v13, v14, s5
	v_cndmask_b32_e64 v1, v1, v10, s8
	v_cmp_eq_u32_e64 s5, 4, v81
	v_cndmask_b32_e64 v2, v2, v14, s8
	v_cndmask_b32_e64 v5, v9, v3, s4
	;; [unrolled: 3-line block ×3, first 2 shown]
	v_cndmask_b32_e64 v2, v2, v7, s5
	v_cmp_eq_u32_e64 s4, 5, v81
	v_cmp_eq_u32_e64 s6, 6, v78
	v_cndmask_b32_e64 v5, v5, v11, s8
	v_cmp_eq_u32_e64 s5, 6, v77
	v_cndmask_b32_e64 v3, v6, v15, s8
	v_cndmask_b32_e64 v1, v1, v11, s4
	v_cmp_eq_u32_e64 s8, 6, v81
	v_cndmask_b32_e64 v2, v2, v15, s4
	v_cndmask_b32_e64 v17, v17, v4, s6
	v_cndmask_b32_e64 v18, v18, v8, s6
	v_cmp_eq_u32_e64 s6, 7, v78
	v_cndmask_b32_e64 v5, v5, v4, s5
	;; [unrolled: 4-line block ×3, first 2 shown]
	v_cmp_eq_u32_e64 s5, 7, v77
	v_cndmask_b32_e32 v4, v20, v8, vcc_lo
	v_cndmask_b32_e64 v17, v17, v12, s6
	v_cndmask_b32_e64 v19, v19, v12, s7
	;; [unrolled: 1-line block ×8, first 2 shown]
	v_cmp_gt_u32_e32 vcc_lo, 32, v0
	v_perm_b32 v4, v2, v1, 0x5040100
	v_perm_b32 v3, v3, v5, 0x5040100
	v_perm_b32 v2, v6, v19, 0x5040100
	v_perm_b32 v1, v7, v17, 0x5040100
	s_and_b32 s2, vcc_lo, s2
	ds_store_b128 v76, v[1:4]
	s_waitcnt lgkmcnt(0)
	s_barrier
	buffer_gl0_inv
	s_and_saveexec_b32 s4, s2
	s_cbranch_execz .LBB1504_2
; %bb.111:
	s_load_b64 s[4:5], s[0:1], 0x68
	v_lshlrev_b32_e32 v0, 10, v0
	v_lshlrev_b32_e32 v2, 4, v75
	v_add_nc_u32_e32 v1, s31, v74
	s_lshl_b32 s0, s36, 6
	s_delay_alu instid0(SALU_CYCLE_1) | instskip(NEXT) | instid1(VALU_DEP_2)
	s_mul_i32 s1, s0, s34
	v_and_or_b32 v0, 0x3800, v0, v2
	s_mul_i32 s6, s1, s9
	v_mul_lo_u32 v1, v1, s0
	s_ashr_i32 s7, s6, 31
	s_delay_alu instid0(VALU_DEP_2) | instskip(SKIP_1) | instid1(VALU_DEP_2)
	v_lshl_or_b32 v3, v74, 6, v0
	s_lshl_b64 s[6:7], s[6:7], 1
	v_ashrrev_i32_e32 v2, 31, v1
	ds_load_b128 v[3:6], v3
	s_waitcnt lgkmcnt(0)
	s_add_u32 s1, s4, s6
	s_addc_u32 s2, s5, s7
	s_lshl_b32 s4, s14, 6
	v_lshlrev_b64 v[7:8], 1, v[1:2]
	s_ashr_i32 s5, s4, 31
	s_delay_alu instid0(SALU_CYCLE_1) | instskip(NEXT) | instid1(SALU_CYCLE_1)
	s_lshl_b64 s[4:5], s[4:5], 1
	s_add_u32 s1, s1, s4
	s_addc_u32 s2, s2, s5
	v_add_co_u32 v1, s1, s1, v73
	s_delay_alu instid0(VALU_DEP_1) | instskip(NEXT) | instid1(VALU_DEP_2)
	v_add_co_ci_u32_e64 v2, null, s2, 0, s1
	v_add_co_u32 v7, vcc_lo, v1, v7
	s_delay_alu instid0(VALU_DEP_2)
	v_add_co_ci_u32_e32 v8, vcc_lo, v2, v8, vcc_lo
	global_store_b128 v[7:8], v[3:6], off
	s_and_b32 exec_lo, exec_lo, s3
	s_cbranch_execz .LBB1504_2
; %bb.112:
	ds_load_b128 v[3:6], v0 offset:128
	s_add_i32 s1, s31, 2
	s_delay_alu instid0(SALU_CYCLE_1) | instskip(NEXT) | instid1(SALU_CYCLE_1)
	s_mul_i32 s0, s1, s0
	s_ashr_i32 s1, s0, 31
	s_delay_alu instid0(SALU_CYCLE_1) | instskip(NEXT) | instid1(SALU_CYCLE_1)
	s_lshl_b64 s[0:1], s[0:1], 1
	v_add_co_u32 v0, vcc_lo, v1, s0
	v_add_co_ci_u32_e32 v1, vcc_lo, s1, v2, vcc_lo
	s_waitcnt lgkmcnt(0)
	global_store_b128 v[0:1], v[3:6], off
	s_nop 0
	s_sendmsg sendmsg(MSG_DEALLOC_VGPRS)
	s_endpgm
	.section	.rodata,"a",@progbits
	.p2align	6, 0x0
	.amdhsa_kernel _Z39paged_attention_ll4mi_QKV_mfma16_kernelI14__hip_bfloat16hLN4vllm18Fp8KVCacheDataTypeE1ES0_Li32ELi64ELi256ELb0ELi3EL8MFMAType1EEvPKT_PKT0_S9_ifPKiSB_SB_iPKfiiiPfSE_PS4_PT2_iSD_SD_
		.amdhsa_group_segment_fixed_size 17472
		.amdhsa_private_segment_fixed_size 0
		.amdhsa_kernarg_size 400
		.amdhsa_user_sgpr_count 13
		.amdhsa_user_sgpr_dispatch_ptr 0
		.amdhsa_user_sgpr_queue_ptr 0
		.amdhsa_user_sgpr_kernarg_segment_ptr 1
		.amdhsa_user_sgpr_dispatch_id 0
		.amdhsa_user_sgpr_private_segment_size 0
		.amdhsa_wavefront_size32 1
		.amdhsa_uses_dynamic_stack 0
		.amdhsa_enable_private_segment 0
		.amdhsa_system_sgpr_workgroup_id_x 1
		.amdhsa_system_sgpr_workgroup_id_y 1
		.amdhsa_system_sgpr_workgroup_id_z 1
		.amdhsa_system_sgpr_workgroup_info 0
		.amdhsa_system_vgpr_workitem_id 0
		.amdhsa_next_free_vgpr 124
		.amdhsa_next_free_sgpr 42
		.amdhsa_reserve_vcc 1
		.amdhsa_float_round_mode_32 0
		.amdhsa_float_round_mode_16_64 0
		.amdhsa_float_denorm_mode_32 3
		.amdhsa_float_denorm_mode_16_64 3
		.amdhsa_dx10_clamp 1
		.amdhsa_ieee_mode 1
		.amdhsa_fp16_overflow 0
		.amdhsa_workgroup_processor_mode 1
		.amdhsa_memory_ordered 1
		.amdhsa_forward_progress 0
		.amdhsa_shared_vgpr_count 0
		.amdhsa_exception_fp_ieee_invalid_op 0
		.amdhsa_exception_fp_denorm_src 0
		.amdhsa_exception_fp_ieee_div_zero 0
		.amdhsa_exception_fp_ieee_overflow 0
		.amdhsa_exception_fp_ieee_underflow 0
		.amdhsa_exception_fp_ieee_inexact 0
		.amdhsa_exception_int_div_zero 0
	.end_amdhsa_kernel
	.section	.text._Z39paged_attention_ll4mi_QKV_mfma16_kernelI14__hip_bfloat16hLN4vllm18Fp8KVCacheDataTypeE1ES0_Li32ELi64ELi256ELb0ELi3EL8MFMAType1EEvPKT_PKT0_S9_ifPKiSB_SB_iPKfiiiPfSE_PS4_PT2_iSD_SD_,"axG",@progbits,_Z39paged_attention_ll4mi_QKV_mfma16_kernelI14__hip_bfloat16hLN4vllm18Fp8KVCacheDataTypeE1ES0_Li32ELi64ELi256ELb0ELi3EL8MFMAType1EEvPKT_PKT0_S9_ifPKiSB_SB_iPKfiiiPfSE_PS4_PT2_iSD_SD_,comdat
.Lfunc_end1504:
	.size	_Z39paged_attention_ll4mi_QKV_mfma16_kernelI14__hip_bfloat16hLN4vllm18Fp8KVCacheDataTypeE1ES0_Li32ELi64ELi256ELb0ELi3EL8MFMAType1EEvPKT_PKT0_S9_ifPKiSB_SB_iPKfiiiPfSE_PS4_PT2_iSD_SD_, .Lfunc_end1504-_Z39paged_attention_ll4mi_QKV_mfma16_kernelI14__hip_bfloat16hLN4vllm18Fp8KVCacheDataTypeE1ES0_Li32ELi64ELi256ELb0ELi3EL8MFMAType1EEvPKT_PKT0_S9_ifPKiSB_SB_iPKfiiiPfSE_PS4_PT2_iSD_SD_
                                        ; -- End function
	.section	.AMDGPU.csdata,"",@progbits
; Kernel info:
; codeLenInByte = 8724
; NumSgprs: 44
; NumVgprs: 124
; ScratchSize: 0
; MemoryBound: 0
; FloatMode: 240
; IeeeMode: 1
; LDSByteSize: 17472 bytes/workgroup (compile time only)
; SGPRBlocks: 5
; VGPRBlocks: 15
; NumSGPRsForWavesPerEU: 44
; NumVGPRsForWavesPerEU: 124
; Occupancy: 10
; WaveLimiterHint : 1
; COMPUTE_PGM_RSRC2:SCRATCH_EN: 0
; COMPUTE_PGM_RSRC2:USER_SGPR: 13
; COMPUTE_PGM_RSRC2:TRAP_HANDLER: 0
; COMPUTE_PGM_RSRC2:TGID_X_EN: 1
; COMPUTE_PGM_RSRC2:TGID_Y_EN: 1
; COMPUTE_PGM_RSRC2:TGID_Z_EN: 1
; COMPUTE_PGM_RSRC2:TIDIG_COMP_CNT: 0
	.section	.text._Z39paged_attention_ll4mi_QKV_mfma16_kernelI14__hip_bfloat16hLN4vllm18Fp8KVCacheDataTypeE1ES0_Li32ELi64ELi256ELb0ELi4EL8MFMAType1EEvPKT_PKT0_S9_ifPKiSB_SB_iPKfiiiPfSE_PS4_PT2_iSD_SD_,"axG",@progbits,_Z39paged_attention_ll4mi_QKV_mfma16_kernelI14__hip_bfloat16hLN4vllm18Fp8KVCacheDataTypeE1ES0_Li32ELi64ELi256ELb0ELi4EL8MFMAType1EEvPKT_PKT0_S9_ifPKiSB_SB_iPKfiiiPfSE_PS4_PT2_iSD_SD_,comdat
	.protected	_Z39paged_attention_ll4mi_QKV_mfma16_kernelI14__hip_bfloat16hLN4vllm18Fp8KVCacheDataTypeE1ES0_Li32ELi64ELi256ELb0ELi4EL8MFMAType1EEvPKT_PKT0_S9_ifPKiSB_SB_iPKfiiiPfSE_PS4_PT2_iSD_SD_ ; -- Begin function _Z39paged_attention_ll4mi_QKV_mfma16_kernelI14__hip_bfloat16hLN4vllm18Fp8KVCacheDataTypeE1ES0_Li32ELi64ELi256ELb0ELi4EL8MFMAType1EEvPKT_PKT0_S9_ifPKiSB_SB_iPKfiiiPfSE_PS4_PT2_iSD_SD_
	.globl	_Z39paged_attention_ll4mi_QKV_mfma16_kernelI14__hip_bfloat16hLN4vllm18Fp8KVCacheDataTypeE1ES0_Li32ELi64ELi256ELb0ELi4EL8MFMAType1EEvPKT_PKT0_S9_ifPKiSB_SB_iPKfiiiPfSE_PS4_PT2_iSD_SD_
	.p2align	8
	.type	_Z39paged_attention_ll4mi_QKV_mfma16_kernelI14__hip_bfloat16hLN4vllm18Fp8KVCacheDataTypeE1ES0_Li32ELi64ELi256ELb0ELi4EL8MFMAType1EEvPKT_PKT0_S9_ifPKiSB_SB_iPKfiiiPfSE_PS4_PT2_iSD_SD_,@function
_Z39paged_attention_ll4mi_QKV_mfma16_kernelI14__hip_bfloat16hLN4vllm18Fp8KVCacheDataTypeE1ES0_Li32ELi64ELi256ELb0ELi4EL8MFMAType1EEvPKT_PKT0_S9_ifPKiSB_SB_iPKfiiiPfSE_PS4_PT2_iSD_SD_: ; @_Z39paged_attention_ll4mi_QKV_mfma16_kernelI14__hip_bfloat16hLN4vllm18Fp8KVCacheDataTypeE1ES0_Li32ELi64ELi256ELb0ELi4EL8MFMAType1EEvPKT_PKT0_S9_ifPKiSB_SB_iPKfiiiPfSE_PS4_PT2_iSD_SD_
; %bb.0:
	s_load_b64 s[2:3], s[0:1], 0x30
	s_mov_b32 s30, s13
	s_waitcnt lgkmcnt(0)
	s_cmp_lg_u64 s[2:3], 0
	s_cselect_b32 s8, -1, 0
	s_ashr_i32 s31, s13, 31
	s_cmp_eq_u64 s[2:3], 0
	s_cbranch_scc1 .LBB1505_3
; %bb.1:
	s_lshl_b64 s[4:5], s[30:31], 2
	s_delay_alu instid0(SALU_CYCLE_1) | instskip(SKIP_4) | instid1(SALU_CYCLE_1)
	s_add_u32 s4, s2, s4
	s_addc_u32 s5, s3, s5
	s_load_b64 s[4:5], s[4:5], 0x0
	s_waitcnt lgkmcnt(0)
	s_sub_i32 s4, s5, s4
	s_cmp_eq_u32 s4, 1
	s_cselect_b32 s4, -1, 0
	s_delay_alu instid0(SALU_CYCLE_1)
	s_and_not1_b32 vcc_lo, exec_lo, s4
	s_cbranch_vccz .LBB1505_4
.LBB1505_2:
	s_endpgm
.LBB1505_3:
.LBB1505_4:
	s_load_b64 s[4:5], s[0:1], 0x28
	s_lshl_b64 s[6:7], s[30:31], 2
	s_waitcnt lgkmcnt(0)
	s_add_u32 s4, s4, s6
	s_addc_u32 s5, s5, s7
	s_lshl_b32 s12, s14, 8
	s_load_b32 s24, s[4:5], 0x0
	s_waitcnt lgkmcnt(0)
	s_cmp_ge_i32 s12, s24
	s_cbranch_scc1 .LBB1505_2
; %bb.5:
	s_clause 0x1
	s_load_b128 s[20:23], s[0:1], 0x8
	s_load_b64 s[4:5], s[0:1], 0x20
	s_and_not1_b32 vcc_lo, exec_lo, s8
	s_cbranch_vccnz .LBB1505_7
; %bb.6:
	s_add_u32 s2, s2, s6
	s_addc_u32 s3, s3, s7
	s_load_b32 s3, s[2:3], 0x0
	s_branch .LBB1505_8
.LBB1505_7:
	s_mov_b32 s3, s30
.LBB1505_8:
	s_load_b128 s[16:19], s[0:1], 0x48
	v_and_b32_e32 v66, 15, v0
	v_cmp_gt_u32_e32 vcc_lo, 64, v0
	v_lshrrev_b32_e32 v65, 5, v0
	v_and_b32_e32 v67, 31, v0
	v_and_b32_e32 v74, 1, v0
	v_lshlrev_b32_e32 v1, 3, v66
	v_cmp_gt_u32_e64 s2, 8, v66
	v_bfe_u32 v75, v0, 4, 1
	s_lshl_b32 s31, s15, 2
	s_delay_alu instid0(VALU_DEP_3) | instskip(NEXT) | instid1(VALU_DEP_3)
	v_lshlrev_b32_e32 v73, 1, v1
	s_and_b32 s7, vcc_lo, s2
	s_delay_alu instid0(SALU_CYCLE_1)
	s_and_saveexec_b32 s6, s7
	s_cbranch_execz .LBB1505_10
; %bb.9:
	v_lshl_or_b32 v5, v65, 1, v75
	s_load_b64 s[8:9], s[0:1], 0x0
	s_waitcnt lgkmcnt(0)
	s_mul_hi_i32 s11, s3, s16
	s_mul_i32 s10, s3, s16
	v_lshlrev_b32_e32 v6, 10, v66
	v_or_b32_e32 v1, s31, v5
	s_lshl_b64 s[10:11], s[10:11], 1
	v_lshlrev_b32_e32 v5, 6, v5
	v_lshlrev_b32_e32 v7, 10, v74
	v_and_b32_e32 v6, 0x3800, v6
	v_lshlrev_b32_e32 v1, 6, v1
	s_delay_alu instid0(VALU_DEP_2) | instskip(NEXT) | instid1(VALU_DEP_2)
	v_or3_b32 v5, v6, v7, v5
	v_ashrrev_i32_e32 v2, 31, v1
	s_delay_alu instid0(VALU_DEP_1) | instskip(SKIP_2) | instid1(VALU_DEP_1)
	v_lshlrev_b64 v[1:2], 1, v[1:2]
	s_add_u32 s3, s8, s10
	s_addc_u32 s7, s9, s11
	v_add_co_u32 v1, vcc_lo, s3, v1
	s_delay_alu instid0(VALU_DEP_2) | instskip(NEXT) | instid1(VALU_DEP_2)
	v_add_co_ci_u32_e32 v2, vcc_lo, s7, v2, vcc_lo
	v_add_co_u32 v1, vcc_lo, v1, v73
	s_delay_alu instid0(VALU_DEP_2)
	v_add_co_ci_u32_e32 v2, vcc_lo, 0, v2, vcc_lo
	global_load_b128 v[1:4], v[1:2], off
	s_waitcnt vmcnt(0)
	ds_store_b128 v5, v[1:4]
.LBB1505_10:
	s_or_b32 exec_lo, exec_lo, s6
	v_and_b32_e32 v1, 0xef, v0
	s_waitcnt lgkmcnt(0)
	s_add_i32 s3, s24, 31
	s_clause 0x1
	s_load_b32 s6, s[0:1], 0x38
	s_load_b32 s19, s[0:1], 0x1c
	s_ashr_i32 s7, s3, 31
	v_add_nc_u32_e32 v1, s12, v1
	s_lshr_b32 s7, s7, 27
	s_waitcnt lgkmcnt(0)
	s_add_i32 s3, s3, s7
	s_barrier
	v_ashrrev_i32_e32 v2, 31, v1
	v_or_b32_e32 v3, 16, v1
	s_ashr_i32 s3, s3, 5
	v_cmp_gt_i32_e32 vcc_lo, s24, v1
	s_add_i32 s3, s3, -1
	v_lshrrev_b32_e32 v2, 27, v2
	buffer_gl0_inv
	s_mul_i32 s27, s15, s18
	v_add_nc_u32_e32 v4, v1, v2
	s_mul_i32 s6, s30, s6
	s_delay_alu instid0(SALU_CYCLE_1) | instskip(NEXT) | instid1(VALU_DEP_1)
	s_ashr_i32 s7, s6, 31
	v_ashrrev_i32_e32 v4, 5, v4
	v_add_nc_u32_e32 v2, v3, v2
	s_lshl_b64 s[6:7], s[6:7], 2
	s_delay_alu instid0(SALU_CYCLE_1) | instskip(NEXT) | instid1(VALU_DEP_2)
	s_add_u32 s26, s4, s6
	v_cndmask_b32_e32 v1, s3, v4, vcc_lo
	s_delay_alu instid0(VALU_DEP_2)
	v_ashrrev_i32_e32 v2, 5, v2
	v_cmp_gt_i32_e32 vcc_lo, s24, v3
	s_addc_u32 s25, s5, s7
	s_ashr_i32 s28, s27, 31
	s_add_u32 s4, s20, s27
	s_addc_u32 s5, s21, s28
	v_cndmask_b32_e32 v3, s3, v2, vcc_lo
	v_ashrrev_i32_e32 v2, 31, v1
	s_lshl_b32 s6, s14, 3
	s_delay_alu instid0(SALU_CYCLE_1) | instskip(NEXT) | instid1(VALU_DEP_2)
	s_ashr_i32 s7, s6, 31
	v_ashrrev_i32_e32 v4, 31, v3
	s_delay_alu instid0(VALU_DEP_2) | instskip(SKIP_1) | instid1(SALU_CYCLE_1)
	v_lshlrev_b64 v[1:2], 2, v[1:2]
	s_lshl_b64 s[6:7], s[6:7], 2
	s_add_u32 s6, s26, s6
	s_delay_alu instid0(VALU_DEP_2) | instskip(SKIP_1) | instid1(VALU_DEP_2)
	v_lshlrev_b64 v[3:4], 2, v[3:4]
	s_addc_u32 s7, s25, s7
	v_add_co_u32 v1, vcc_lo, s26, v1
	v_add_co_ci_u32_e32 v2, vcc_lo, s25, v2, vcc_lo
	s_delay_alu instid0(VALU_DEP_3) | instskip(NEXT) | instid1(VALU_DEP_4)
	v_add_co_u32 v3, vcc_lo, s26, v3
	v_add_co_ci_u32_e32 v4, vcc_lo, s25, v4, vcc_lo
	s_clause 0x1
	global_load_b32 v5, v[1:2], off
	global_load_b32 v6, v[3:4], off
	s_or_b32 s8, s12, 32
	s_delay_alu instid0(SALU_CYCLE_1) | instskip(SKIP_2) | instid1(SALU_CYCLE_1)
	s_ashr_i32 s9, s8, 5
	s_cmp_lt_i32 s8, s24
	s_cselect_b32 s8, s9, s3
	s_ashr_i32 s9, s8, 31
	s_delay_alu instid0(SALU_CYCLE_1) | instskip(NEXT) | instid1(SALU_CYCLE_1)
	s_lshl_b64 s[8:9], s[8:9], 2
	s_add_u32 s8, s26, s8
	s_addc_u32 s9, s25, s9
	s_or_b32 s10, s12, 64
	s_delay_alu instid0(SALU_CYCLE_1) | instskip(SKIP_2) | instid1(SALU_CYCLE_1)
	s_ashr_i32 s11, s10, 5
	s_cmp_lt_i32 s10, s24
	s_cselect_b32 s10, s11, s3
	s_ashr_i32 s11, s10, 31
	s_delay_alu instid0(SALU_CYCLE_1) | instskip(NEXT) | instid1(SALU_CYCLE_1)
	s_lshl_b64 s[10:11], s[10:11], 2
	s_add_u32 s10, s26, s10
	s_addc_u32 s11, s25, s11
	;; [unrolled: 10-line block ×5, first 2 shown]
	s_clause 0x5
	s_load_b32 s21, s[6:7], 0x0
	s_load_b32 s13, s[8:9], 0x0
	;; [unrolled: 1-line block ×6, first 2 shown]
	s_or_b32 s7, s12, 0xc0
	s_delay_alu instid0(SALU_CYCLE_1) | instskip(SKIP_2) | instid1(SALU_CYCLE_1)
	s_ashr_i32 s8, s7, 5
	s_cmp_lt_i32 s7, s24
	s_cselect_b32 s10, s8, s3
	s_ashr_i32 s11, s10, 31
	s_delay_alu instid0(SALU_CYCLE_1) | instskip(NEXT) | instid1(SALU_CYCLE_1)
	s_lshl_b64 s[34:35], s[10:11], 2
	s_add_u32 s34, s26, s34
	s_addc_u32 s35, s25, s35
	s_or_b32 s29, s12, 0xe0
	s_delay_alu instid0(SALU_CYCLE_1)
	s_ashr_i32 s33, s29, 5
	s_cmp_lt_i32 s29, s24
	s_waitcnt vmcnt(1)
	v_mad_i64_i32 v[1:2], null, v5, s17, s[4:5]
	s_waitcnt vmcnt(0)
	v_mad_i64_i32 v[3:4], null, v6, s17, s[4:5]
	s_mov_b32 s4, 0
	s_delay_alu instid0(SALU_CYCLE_1)
	s_mov_b32 s5, s4
	s_mov_b32 s6, s4
	;; [unrolled: 1-line block ×7, first 2 shown]
	v_lshlrev_b32_e32 v5, 4, v66
	v_dual_mov_b32 v107, s11 :: v_dual_mov_b32 v102, s6
	v_dual_mov_b32 v106, s10 :: v_dual_mov_b32 v105, s9
	s_delay_alu instid0(VALU_DEP_3)
	v_add_co_u32 v1, vcc_lo, v1, v5
	v_add_co_ci_u32_e32 v2, vcc_lo, 0, v2, vcc_lo
	v_add_co_u32 v3, vcc_lo, v3, v5
	v_add_co_ci_u32_e32 v4, vcc_lo, 0, v4, vcc_lo
	s_clause 0x7
	global_load_b128 v[49:52], v[1:2], off
	global_load_b128 v[53:56], v[1:2], off offset:512
	global_load_b128 v[76:79], v[3:4], off offset:256
	;; [unrolled: 1-line block ×7, first 2 shown]
	v_dual_mov_b32 v100, s4 :: v_dual_and_b32 v1, 3, v0
	v_lshlrev_b32_e32 v2, 5, v66
	v_dual_mov_b32 v104, s8 :: v_dual_mov_b32 v103, s7
	v_mov_b32_e32 v101, s5
	s_cselect_b32 s4, s33, s3
	v_lshlrev_b32_e32 v70, 6, v1
	s_ashr_i32 s5, s4, 31
	v_lshl_or_b32 v1, v65, 9, v2
	s_lshl_b64 s[4:5], s[4:5], 2
	s_load_b32 s3, s[34:35], 0x0
	s_add_u32 s4, s26, s4
	s_addc_u32 s5, s25, s5
	ds_load_b128 v[108:111], v70
	ds_load_b128 v[112:115], v70 offset:1024
	s_load_b32 s4, s[4:5], 0x0
	s_add_u32 s6, s22, s27
	s_addc_u32 s7, s23, s28
	v_add_co_u32 v9, s6, s6, v1
	s_delay_alu instid0(VALU_DEP_1) | instskip(SKIP_1) | instid1(VALU_DEP_1)
	v_add_co_ci_u32_e64 v10, null, s7, 0, s6
	s_waitcnt lgkmcnt(0)
	v_mad_i64_i32 v[1:2], null, s21, s17, v[9:10]
	v_mad_i64_i32 v[3:4], null, s13, s17, v[9:10]
	v_mad_i64_i32 v[5:6], null, s15, s17, v[9:10]
	v_mad_i64_i32 v[7:8], null, s16, s17, v[9:10]
	v_mad_i64_i32 v[13:14], null, s20, s17, v[9:10]
	v_mad_i64_i32 v[11:12], null, s18, s17, v[9:10]
	v_mad_i64_i32 v[21:22], null, s3, s17, v[9:10]
	s_clause 0x9
	global_load_b128 v[57:60], v[1:2], off
	global_load_b128 v[61:64], v[1:2], off offset:16
	global_load_b128 v[41:44], v[3:4], off
	global_load_b128 v[45:48], v[3:4], off offset:16
	;; [unrolled: 2-line block ×5, first 2 shown]
	v_mad_i64_i32 v[68:69], null, s4, s17, v[9:10]
	s_clause 0x3
	global_load_b128 v[9:12], v[13:14], off
	global_load_b128 v[13:16], v[13:14], off offset:16
	global_load_b128 v[17:20], v[21:22], off
	global_load_b128 v[21:24], v[21:22], off offset:16
	s_waitcnt vmcnt(20)
	v_wmma_f32_16x16x16_bf16 v[116:123], v[49:56], v[108:115], v[100:107]
	s_clause 0x1
	global_load_b128 v[49:52], v[68:69], off
	global_load_b128 v[53:56], v[68:69], off offset:16
	v_and_b32_e32 v68, 0xe0, v0
	v_mbcnt_lo_u32_b32 v69, -1, 0
	s_delay_alu instid0(VALU_DEP_2)
	v_add_nc_u32_e32 v68, s12, v68
	s_waitcnt vmcnt(20)
	v_wmma_f32_16x16x16_bf16 v[100:107], v[76:83], v[108:115], v[100:107]
	ds_load_b128 v[76:79], v70 offset:2048
	ds_load_b128 v[80:83], v70 offset:3072
	v_xor_b32_e32 v70, 16, v69
	s_waitcnt vmcnt(0) lgkmcnt(0)
	v_or_b32_e32 v68, v68, v75
	s_barrier
	buffer_gl0_inv
	v_cmp_gt_i32_e32 vcc_lo, 32, v70
	v_or_b32_e32 v71, 4, v68
	v_or_b32_e32 v72, 6, v68
	v_cmp_gt_i32_e64 s3, s24, v68
	v_or_b32_e32 v108, 8, v68
	v_or_b32_e32 v109, 10, v68
	v_cmp_gt_i32_e64 s4, s24, v71
	v_cmp_gt_i32_e64 s5, s24, v72
	s_delay_alu instid0(VALU_DEP_4) | instskip(NEXT) | instid1(VALU_DEP_4)
	v_cmp_gt_i32_e64 s6, s24, v108
	v_cmp_gt_i32_e64 s7, s24, v109
	v_wmma_f32_16x16x16_bf16 v[116:123], v[84:91], v[76:83], v[116:123]
	v_cndmask_b32_e32 v69, v69, v70, vcc_lo
	v_or_b32_e32 v70, 2, v68
	v_wmma_f32_16x16x16_bf16 v[100:107], v[92:99], v[76:83], v[100:107]
	v_or_b32_e32 v84, 12, v68
	v_dual_mul_f32 v78, s19, v123 :: v_dual_mul_f32 v83, s19, v118
	v_dual_mul_f32 v92, s19, v117 :: v_dual_mul_f32 v93, s19, v116
	s_delay_alu instid0(VALU_DEP_4) | instskip(SKIP_2) | instid1(VALU_DEP_4)
	v_mul_f32_e32 v94, s19, v107
	v_cmp_gt_i32_e32 vcc_lo, s24, v70
	v_dual_mul_f32 v81, s19, v120 :: v_dual_mul_f32 v82, s19, v119
	v_cndmask_b32_e64 v93, 0xff7fffff, v93, s3
	v_or_b32_e32 v85, 14, v68
	v_cndmask_b32_e32 v92, 0xff7fffff, v92, vcc_lo
	v_dual_mul_f32 v79, s19, v122 :: v_dual_mul_f32 v80, s19, v121
	v_cndmask_b32_e64 v71, 0xff7fffff, v83, s4
	v_cndmask_b32_e64 v72, 0xff7fffff, v82, s5
	s_delay_alu instid0(VALU_DEP_4)
	v_max3_f32 v82, v93, 0xff7fffff, v92
	v_or_b32_e32 v86, 16, v68
	v_or_b32_e32 v87, 18, v68
	v_cndmask_b32_e64 v81, 0xff7fffff, v81, s6
	v_cndmask_b32_e64 v80, 0xff7fffff, v80, s7
	v_max3_f32 v71, v82, v71, v72
	v_cmp_gt_i32_e64 s8, s24, v84
	v_cmp_gt_i32_e64 s9, s24, v85
	v_or_b32_e32 v88, 20, v68
	v_or_b32_e32 v89, 22, v68
	;; [unrolled: 1-line block ×6, first 2 shown]
	v_dual_mul_f32 v99, s19, v102 :: v_dual_mul_f32 v70, s19, v101
	v_mul_f32_e32 v68, s19, v100
	v_cndmask_b32_e64 v72, 0xff7fffff, v79, s8
	v_cndmask_b32_e64 v78, 0xff7fffff, v78, s9
	v_max3_f32 v71, v71, v81, v80
	v_cmp_gt_i32_e64 s10, s24, v86
	v_cmp_gt_i32_e64 s11, s24, v87
	v_dual_mul_f32 v97, s19, v104 :: v_dual_mul_f32 v98, s19, v103
	s_delay_alu instid0(VALU_DEP_4) | instskip(SKIP_1) | instid1(VALU_DEP_4)
	v_max3_f32 v71, v71, v72, v78
	v_cmp_gt_i32_e64 s12, s24, v88
	v_cndmask_b32_e64 v70, 0xff7fffff, v70, s11
	v_cmp_gt_i32_e64 s13, s24, v89
	v_lshlrev_b32_e32 v89, 2, v69
	v_cndmask_b32_e64 v68, 0xff7fffff, v68, s10
	v_dual_mul_f32 v95, s19, v106 :: v_dual_mul_f32 v96, s19, v105
	v_cndmask_b32_e64 v72, 0xff7fffff, v99, s12
	v_cndmask_b32_e64 v78, 0xff7fffff, v98, s13
	s_delay_alu instid0(VALU_DEP_4)
	v_max3_f32 v68, v71, v68, v70
	v_cmp_gt_i32_e64 s15, s24, v90
	v_cmp_gt_i32_e64 s16, s24, v91
	;; [unrolled: 1-line block ×4, first 2 shown]
	v_max3_f32 v68, v68, v72, v78
	v_cndmask_b32_e64 v70, 0xff7fffff, v97, s15
	v_cndmask_b32_e64 v71, 0xff7fffff, v96, s16
	;; [unrolled: 1-line block ×4, first 2 shown]
	s_delay_alu instid0(VALU_DEP_3) | instskip(NEXT) | instid1(VALU_DEP_1)
	v_max3_f32 v68, v68, v70, v71
	v_max3_f32 v68, v68, v72, v76
	ds_bpermute_b32 v69, v89, v68
	s_waitcnt lgkmcnt(0)
	v_max_f32_e32 v69, v69, v69
	s_delay_alu instid0(VALU_DEP_1) | instskip(NEXT) | instid1(VALU_DEP_1)
	v_max_f32_e32 v68, v68, v69
	v_fma_f32 v71, s19, v118, -v68
	s_delay_alu instid0(VALU_DEP_1)
	v_mul_f32_e32 v71, 0x3fb8aa3b, v71
	v_fma_f32 v69, s19, v116, -v68
	v_fma_f32 v70, s19, v117, -v68
	;; [unrolled: 1-line block ×4, first 2 shown]
	v_exp_f32_e32 v71, v71
	s_delay_alu instid0(VALU_DEP_3) | instskip(SKIP_2) | instid1(VALU_DEP_3)
	v_dual_mul_f32 v69, 0x3fb8aa3b, v69 :: v_dual_mul_f32 v70, 0x3fb8aa3b, v70
	v_fma_f32 v78, s19, v122, -v68
	v_fma_f32 v81, s19, v105, -v68
	v_exp_f32_e32 v69, v69
	s_delay_alu instid0(VALU_DEP_3) | instskip(SKIP_1) | instid1(VALU_DEP_2)
	v_exp_f32_e32 v70, v70
	v_mul_f32_e32 v77, 0x3fb8aa3b, v76
	v_mul_f32_e32 v81, 0x3fb8aa3b, v81
	s_delay_alu instid0(TRANS32_DEP_3) | instskip(SKIP_1) | instid1(VALU_DEP_3)
	v_cndmask_b32_e64 v83, 0, v71, s4
	v_fma_f32 v71, s19, v123, -v68
	v_exp_f32_e32 v81, v81
	s_delay_alu instid0(TRANS32_DEP_3) | instskip(NEXT) | instid1(TRANS32_DEP_2)
	v_cndmask_b32_e64 v80, 0, v69, s3
	v_cndmask_b32_e32 v76, 0, v70, vcc_lo
	v_fma_f32 v69, s19, v121, -v68
	v_mul_f32_e32 v72, 0x3fb8aa3b, v72
	v_exp_f32_e32 v77, v77
	v_dual_add_f32 v70, 0, v80 :: v_dual_mul_f32 v71, 0x3fb8aa3b, v71
	s_delay_alu instid0(VALU_DEP_3) | instskip(NEXT) | instid1(VALU_DEP_3)
	v_mul_f32_e32 v69, 0x3fb8aa3b, v69
	v_exp_f32_e32 v72, v72
	s_mov_b32 s3, exec_lo
	s_delay_alu instid0(VALU_DEP_2) | instskip(NEXT) | instid1(VALU_DEP_1)
	v_exp_f32_e32 v71, v71
	v_exp_f32_e32 v69, v69
	v_cndmask_b32_e64 v86, 0, v77, s6
	v_fma_f32 v77, s19, v101, -v68
	v_add_f32_e32 v70, v70, v76
	s_delay_alu instid0(TRANS32_DEP_3) | instskip(SKIP_1) | instid1(VALU_DEP_3)
	v_cndmask_b32_e64 v85, 0, v72, s5
	v_fma_f32 v72, s19, v100, -v68
	v_dual_mul_f32 v77, 0x3fb8aa3b, v77 :: v_dual_add_f32 v70, v70, v83
	s_delay_alu instid0(TRANS32_DEP_2) | instskip(SKIP_1) | instid1(TRANS32_DEP_1)
	v_cndmask_b32_e64 v88, 0, v71, s9
	v_fma_f32 v71, s19, v104, -v68
	v_cndmask_b32_e64 v87, 0, v69, s7
	s_delay_alu instid0(VALU_DEP_4) | instskip(NEXT) | instid1(VALU_DEP_2)
	v_exp_f32_e32 v77, v77
	v_dual_add_f32 v70, v70, v85 :: v_dual_mul_f32 v71, 0x3fb8aa3b, v71
	s_delay_alu instid0(VALU_DEP_1) | instskip(SKIP_2) | instid1(VALU_DEP_3)
	v_dual_mul_f32 v72, 0x3fb8aa3b, v72 :: v_dual_add_f32 v69, v70, v86
	v_mul_f32_e32 v78, 0x3fb8aa3b, v78
	v_fma_f32 v70, s19, v102, -v68
	v_exp_f32_e32 v72, v72
	v_exp_f32_e32 v82, v71
	v_add_f32_e32 v69, v69, v87
	v_exp_f32_e32 v78, v78
	v_mul_f32_e32 v70, 0x3fb8aa3b, v70
	s_delay_alu instid0(VALU_DEP_1) | instskip(SKIP_4) | instid1(VALU_DEP_2)
	v_exp_f32_e32 v79, v70
	v_cndmask_b32_e64 v70, 0, v72, s10
	s_waitcnt_depctr 0xfff
	v_cndmask_b32_e64 v84, 0, v78, s8
	v_fma_f32 v78, s19, v103, -v68
	v_add_f32_e32 v69, v69, v84
	v_cndmask_b32_e64 v71, 0, v79, s12
	s_delay_alu instid0(VALU_DEP_2) | instskip(SKIP_2) | instid1(VALU_DEP_1)
	v_add_f32_e32 v72, v69, v88
	v_cndmask_b32_e64 v69, 0, v77, s11
	v_fma_f32 v77, s19, v106, -v68
	v_dual_mul_f32 v77, 0x3fb8aa3b, v77 :: v_dual_add_f32 v72, v72, v70
	v_mul_f32_e32 v78, 0x3fb8aa3b, v78
	s_delay_alu instid0(VALU_DEP_2) | instskip(NEXT) | instid1(VALU_DEP_2)
	v_exp_f32_e32 v90, v77
	v_add_f32_e32 v79, v72, v69
	s_delay_alu instid0(VALU_DEP_2)
	v_exp_f32_e32 v78, v78
	v_cndmask_b32_e64 v77, 0, v82, s15
	s_waitcnt_depctr 0xfff
	v_cndmask_b32_e64 v72, 0, v78, s13
	v_add_f32_e32 v78, v79, v71
	v_fma_f32 v79, s19, v107, -v68
	s_delay_alu instid0(VALU_DEP_1) | instskip(SKIP_1) | instid1(VALU_DEP_2)
	v_dual_add_f32 v82, v78, v72 :: v_dual_mul_f32 v79, 0x3fb8aa3b, v79
	v_cndmask_b32_e64 v78, 0, v81, s16
	v_add_f32_e32 v81, v82, v77
	s_delay_alu instid0(VALU_DEP_3) | instskip(SKIP_1) | instid1(VALU_DEP_2)
	v_exp_f32_e32 v82, v79
	v_cndmask_b32_e64 v79, 0, v90, s17
	v_add_f32_e32 v81, v81, v78
	s_delay_alu instid0(VALU_DEP_1) | instskip(SKIP_2) | instid1(VALU_DEP_1)
	v_add_f32_e32 v90, v81, v79
	s_waitcnt_depctr 0xfff
	v_cndmask_b32_e64 v81, 0, v82, s18
	v_add_f32_e32 v82, v90, v81
	ds_bpermute_b32 v89, v89, v82
	v_cmpx_gt_u32_e32 16, v67
	s_cbranch_execz .LBB1505_12
; %bb.11:
	v_mul_u32_u24_e32 v67, 0x44, v65
	s_delay_alu instid0(VALU_DEP_1) | instskip(SKIP_1) | instid1(VALU_DEP_1)
	v_lshl_add_u32 v67, v66, 2, v67
	s_waitcnt lgkmcnt(0)
	v_dual_add_f32 v82, v82, v89 :: v_dual_add_nc_u32 v67, 0x4000, v67
	ds_store_2addr_b32 v67, v68, v82 offset1:136
.LBB1505_12:
	s_or_b32 exec_lo, exec_lo, s3
	v_lshlrev_b32_e32 v67, 2, v66
	s_waitcnt lgkmcnt(0)
	s_barrier
	buffer_gl0_inv
	v_cmp_eq_u32_e32 vcc_lo, 1, v65
	v_add_nc_u32_e32 v82, 0x4000, v67
	v_cmp_eq_u32_e64 s3, 2, v65
	v_cmp_eq_u32_e64 s5, 7, v65
	ds_load_2addr_b32 v[89:90], v82 offset1:17
	ds_load_2addr_b32 v[91:92], v82 offset0:34 offset1:51
	ds_load_2addr_b32 v[93:94], v82 offset0:68 offset1:85
	;; [unrolled: 1-line block ×4, first 2 shown]
	s_waitcnt lgkmcnt(4)
	v_max3_f32 v67, v89, 0xff7fffff, v90
	s_waitcnt lgkmcnt(3)
	s_delay_alu instid0(VALU_DEP_1) | instskip(SKIP_1) | instid1(VALU_DEP_1)
	v_max3_f32 v67, v67, v91, v92
	s_waitcnt lgkmcnt(2)
	v_max3_f32 v67, v67, v93, v94
	s_waitcnt lgkmcnt(1)
	s_delay_alu instid0(VALU_DEP_1) | instskip(NEXT) | instid1(VALU_DEP_1)
	v_max3_f32 v67, v67, v95, v96
	v_sub_f32_e32 v93, v93, v67
	s_delay_alu instid0(VALU_DEP_1) | instskip(NEXT) | instid1(VALU_DEP_1)
	v_dual_sub_f32 v68, v89, v67 :: v_dual_mul_f32 v103, 0x3fb8aa3b, v93
	v_mul_f32_e32 v68, 0x3fb8aa3b, v68
	s_delay_alu instid0(VALU_DEP_1)
	v_exp_f32_e32 v100, v68
	v_sub_f32_e32 v68, v92, v67
	v_sub_f32_e32 v99, v90, v67
	ds_load_2addr_b32 v[89:90], v82 offset0:170 offset1:187
	v_dual_mul_f32 v102, 0x3fb8aa3b, v68 :: v_dual_mul_f32 v99, 0x3fb8aa3b, v99
	s_waitcnt lgkmcnt(1)
	v_fma_f32 v68, v100, v97, 0
	s_delay_alu instid0(VALU_DEP_2) | instskip(NEXT) | instid1(VALU_DEP_2)
	v_exp_f32_e32 v102, v102
	v_exp_f32_e32 v99, v99
	s_waitcnt_depctr 0xfff
	v_fmac_f32_e32 v68, v99, v98
	v_sub_f32_e32 v91, v91, v67
	s_delay_alu instid0(VALU_DEP_1)
	v_mul_f32_e32 v101, 0x3fb8aa3b, v91
	ds_load_2addr_b32 v[91:92], v82 offset0:204 offset1:221
	v_sub_f32_e32 v97, v94, v67
	ds_load_2addr_b32 v[93:94], v82 offset0:238 offset1:255
	s_waitcnt lgkmcnt(0)
	v_exp_f32_e32 v101, v101
	s_barrier
	buffer_gl0_inv
	v_dual_fmac_f32 v68, v101, v89 :: v_dual_sub_f32 v89, v96, v67
	v_dual_sub_f32 v82, v95, v67 :: v_dual_mul_f32 v95, 0x3fb8aa3b, v97
	v_exp_f32_e32 v97, v103
	s_delay_alu instid0(VALU_DEP_2) | instskip(NEXT) | instid1(VALU_DEP_2)
	v_dual_fmac_f32 v68, v102, v90 :: v_dual_mul_f32 v89, 0x3fb8aa3b, v89
	v_mul_f32_e32 v82, 0x3fb8aa3b, v82
	s_delay_alu instid0(VALU_DEP_3) | instskip(NEXT) | instid1(VALU_DEP_2)
	v_exp_f32_e32 v95, v95
	v_exp_f32_e32 v89, v89
	s_delay_alu instid0(VALU_DEP_1)
	v_exp_f32_e32 v82, v82
	v_fmac_f32_e32 v68, v97, v91
	s_delay_alu instid0(TRANS32_DEP_3) | instid1(VALU_DEP_1)
	v_fmac_f32_e32 v68, v95, v92
	s_waitcnt_depctr 0xfff
	v_fmac_f32_e32 v68, v82, v93
	s_delay_alu instid0(VALU_DEP_1) | instskip(NEXT) | instid1(VALU_DEP_1)
	v_fmac_f32_e32 v68, v89, v94
	v_add_f32_e32 v90, 0x358637bd, v68
	s_delay_alu instid0(VALU_DEP_1) | instskip(NEXT) | instid1(VALU_DEP_1)
	v_div_scale_f32 v91, null, v90, v90, 1.0
	v_rcp_f32_e32 v92, v91
	s_waitcnt_depctr 0xfff
	v_fma_f32 v93, -v91, v92, 1.0
	s_delay_alu instid0(VALU_DEP_1) | instskip(SKIP_1) | instid1(VALU_DEP_2)
	v_dual_fmac_f32 v92, v93, v92 :: v_dual_cndmask_b32 v93, v100, v99
	v_cmp_eq_u32_e32 vcc_lo, 3, v65
	v_cndmask_b32_e64 v93, v93, v101, s3
	v_cmp_eq_u32_e64 s3, 4, v65
	s_delay_alu instid0(VALU_DEP_2) | instskip(SKIP_1) | instid1(VALU_DEP_2)
	v_cndmask_b32_e32 v93, v93, v102, vcc_lo
	v_cmp_eq_u32_e32 vcc_lo, 5, v65
	v_cndmask_b32_e64 v93, v93, v97, s3
	v_cmp_eq_u32_e64 s3, 6, v65
	s_delay_alu instid0(VALU_DEP_2) | instskip(SKIP_1) | instid1(VALU_DEP_1)
	v_cndmask_b32_e32 v93, v93, v95, vcc_lo
	v_div_scale_f32 v94, s4, 1.0, v90, 1.0
	s_mov_b32 vcc_lo, s4
	s_delay_alu instid0(VALU_DEP_2) | instskip(NEXT) | instid1(VALU_DEP_2)
	v_cndmask_b32_e64 v82, v93, v82, s3
	v_mul_f32_e32 v96, v94, v92
	s_mov_b32 s3, exec_lo
	s_delay_alu instid0(VALU_DEP_2) | instskip(NEXT) | instid1(VALU_DEP_2)
	v_cndmask_b32_e64 v82, v82, v89, s5
	v_fma_f32 v98, -v91, v96, v94
	s_delay_alu instid0(VALU_DEP_1) | instskip(NEXT) | instid1(VALU_DEP_1)
	v_fmac_f32_e32 v96, v98, v92
	v_fma_f32 v91, -v91, v96, v94
	s_delay_alu instid0(VALU_DEP_1) | instskip(NEXT) | instid1(VALU_DEP_1)
	v_div_fmas_f32 v91, v91, v92, v96
	v_div_fixup_f32 v90, v91, v90, 1.0
	s_delay_alu instid0(VALU_DEP_1) | instskip(NEXT) | instid1(VALU_DEP_1)
	v_mul_f32_e32 v82, v82, v90
	v_mul_f32_e32 v87, v82, v87
	v_mul_f32_e32 v90, v82, v80
	v_mul_f32_e32 v80, v82, v88
	v_mul_f32_e32 v84, v82, v84
	v_mul_f32_e32 v88, v82, v86
	v_mul_f32_e32 v89, v82, v85
	v_dual_mul_f32 v86, v82, v83 :: v_dual_and_b32 v91, 0x7f800000, v90
	v_mul_f32_e32 v85, v82, v76
                                        ; implicit-def: $vgpr76
	s_delay_alu instid0(VALU_DEP_2)
	v_cmpx_ne_u32_e32 0x7f800000, v91
	s_xor_b32 s3, exec_lo, s3
; %bb.13:
	v_bfe_u32 v76, v90, 16, 1
	s_delay_alu instid0(VALU_DEP_1)
	v_add3_u32 v76, v90, v76, 0x7fff
                                        ; implicit-def: $vgpr90
; %bb.14:
	s_and_not1_saveexec_b32 s3, s3
; %bb.15:
	v_and_b32_e32 v76, 0xffff, v90
	v_or_b32_e32 v83, 0x10000, v90
	s_delay_alu instid0(VALU_DEP_2) | instskip(NEXT) | instid1(VALU_DEP_2)
	v_cmp_eq_u32_e32 vcc_lo, 0, v76
	v_cndmask_b32_e32 v76, v83, v90, vcc_lo
; %bb.16:
	s_or_b32 exec_lo, exec_lo, s3
	v_and_b32_e32 v83, 0x7f800000, v85
	s_delay_alu instid0(VALU_DEP_1) | instskip(SKIP_1) | instid1(SALU_CYCLE_1)
	v_cmp_ne_u32_e32 vcc_lo, 0x7f800000, v83
                                        ; implicit-def: $vgpr83
	s_and_saveexec_b32 s3, vcc_lo
	s_xor_b32 s3, exec_lo, s3
; %bb.17:
	v_bfe_u32 v83, v85, 16, 1
	s_delay_alu instid0(VALU_DEP_1)
	v_add3_u32 v83, v85, v83, 0x7fff
                                        ; implicit-def: $vgpr85
; %bb.18:
	s_and_not1_saveexec_b32 s3, s3
; %bb.19:
	v_and_b32_e32 v83, 0xffff, v85
	v_or_b32_e32 v90, 0x10000, v85
	s_delay_alu instid0(VALU_DEP_2) | instskip(NEXT) | instid1(VALU_DEP_2)
	v_cmp_eq_u32_e32 vcc_lo, 0, v83
	v_cndmask_b32_e32 v83, v90, v85, vcc_lo
; %bb.20:
	s_or_b32 exec_lo, exec_lo, s3
	v_and_b32_e32 v85, 0x7f800000, v86
	s_delay_alu instid0(VALU_DEP_1) | instskip(SKIP_1) | instid1(SALU_CYCLE_1)
	v_cmp_ne_u32_e32 vcc_lo, 0x7f800000, v85
                                        ; implicit-def: $vgpr85
	s_and_saveexec_b32 s3, vcc_lo
	s_xor_b32 s3, exec_lo, s3
; %bb.21:
	v_bfe_u32 v85, v86, 16, 1
	s_delay_alu instid0(VALU_DEP_1)
	v_add3_u32 v85, v86, v85, 0x7fff
                                        ; implicit-def: $vgpr86
; %bb.22:
	s_and_not1_saveexec_b32 s3, s3
; %bb.23:
	v_and_b32_e32 v85, 0xffff, v86
	v_or_b32_e32 v90, 0x10000, v86
	s_delay_alu instid0(VALU_DEP_2) | instskip(NEXT) | instid1(VALU_DEP_2)
	v_cmp_eq_u32_e32 vcc_lo, 0, v85
	v_cndmask_b32_e32 v85, v90, v86, vcc_lo
; %bb.24:
	s_or_b32 exec_lo, exec_lo, s3
	v_and_b32_e32 v86, 0x7f800000, v89
	s_delay_alu instid0(VALU_DEP_1) | instskip(SKIP_1) | instid1(SALU_CYCLE_1)
	v_cmp_ne_u32_e32 vcc_lo, 0x7f800000, v86
                                        ; implicit-def: $vgpr86
	s_and_saveexec_b32 s3, vcc_lo
	s_xor_b32 s3, exec_lo, s3
; %bb.25:
	v_bfe_u32 v86, v89, 16, 1
	s_delay_alu instid0(VALU_DEP_1)
	v_add3_u32 v86, v89, v86, 0x7fff
                                        ; implicit-def: $vgpr89
; %bb.26:
	s_and_not1_saveexec_b32 s3, s3
; %bb.27:
	v_and_b32_e32 v86, 0xffff, v89
	v_or_b32_e32 v90, 0x10000, v89
	s_delay_alu instid0(VALU_DEP_2) | instskip(NEXT) | instid1(VALU_DEP_2)
	v_cmp_eq_u32_e32 vcc_lo, 0, v86
	v_cndmask_b32_e32 v86, v90, v89, vcc_lo
; %bb.28:
	s_or_b32 exec_lo, exec_lo, s3
	v_and_b32_e32 v89, 0x7f800000, v88
	s_delay_alu instid0(VALU_DEP_1) | instskip(SKIP_1) | instid1(SALU_CYCLE_1)
	v_cmp_ne_u32_e32 vcc_lo, 0x7f800000, v89
                                        ; implicit-def: $vgpr89
	s_and_saveexec_b32 s3, vcc_lo
	s_xor_b32 s3, exec_lo, s3
; %bb.29:
	v_bfe_u32 v89, v88, 16, 1
	s_delay_alu instid0(VALU_DEP_1)
	v_add3_u32 v89, v88, v89, 0x7fff
                                        ; implicit-def: $vgpr88
; %bb.30:
	s_and_not1_saveexec_b32 s3, s3
; %bb.31:
	v_and_b32_e32 v89, 0xffff, v88
	v_or_b32_e32 v90, 0x10000, v88
	s_delay_alu instid0(VALU_DEP_2) | instskip(NEXT) | instid1(VALU_DEP_2)
	v_cmp_eq_u32_e32 vcc_lo, 0, v89
	v_cndmask_b32_e32 v89, v90, v88, vcc_lo
; %bb.32:
	s_or_b32 exec_lo, exec_lo, s3
	v_and_b32_e32 v88, 0x7f800000, v87
	s_delay_alu instid0(VALU_DEP_1) | instskip(SKIP_1) | instid1(SALU_CYCLE_1)
	v_cmp_ne_u32_e32 vcc_lo, 0x7f800000, v88
                                        ; implicit-def: $vgpr88
	s_and_saveexec_b32 s3, vcc_lo
	s_xor_b32 s3, exec_lo, s3
; %bb.33:
	v_bfe_u32 v88, v87, 16, 1
	s_delay_alu instid0(VALU_DEP_1)
	v_add3_u32 v88, v87, v88, 0x7fff
                                        ; implicit-def: $vgpr87
; %bb.34:
	s_and_not1_saveexec_b32 s3, s3
; %bb.35:
	v_and_b32_e32 v88, 0xffff, v87
	v_or_b32_e32 v90, 0x10000, v87
	s_delay_alu instid0(VALU_DEP_2) | instskip(NEXT) | instid1(VALU_DEP_2)
	v_cmp_eq_u32_e32 vcc_lo, 0, v88
	v_cndmask_b32_e32 v88, v90, v87, vcc_lo
; %bb.36:
	s_or_b32 exec_lo, exec_lo, s3
	v_and_b32_e32 v87, 0x7f800000, v84
	s_delay_alu instid0(VALU_DEP_1) | instskip(SKIP_1) | instid1(SALU_CYCLE_1)
	v_cmp_ne_u32_e32 vcc_lo, 0x7f800000, v87
                                        ; implicit-def: $vgpr87
	s_and_saveexec_b32 s3, vcc_lo
	s_xor_b32 s3, exec_lo, s3
; %bb.37:
	v_bfe_u32 v87, v84, 16, 1
	s_delay_alu instid0(VALU_DEP_1)
	v_add3_u32 v87, v84, v87, 0x7fff
                                        ; implicit-def: $vgpr84
; %bb.38:
	s_and_not1_saveexec_b32 s3, s3
; %bb.39:
	v_and_b32_e32 v87, 0xffff, v84
	v_or_b32_e32 v90, 0x10000, v84
	s_delay_alu instid0(VALU_DEP_2) | instskip(NEXT) | instid1(VALU_DEP_2)
	v_cmp_eq_u32_e32 vcc_lo, 0, v87
	v_cndmask_b32_e32 v87, v90, v84, vcc_lo
; %bb.40:
	s_or_b32 exec_lo, exec_lo, s3
	v_and_b32_e32 v84, 0x7f800000, v80
	s_delay_alu instid0(VALU_DEP_1) | instskip(SKIP_1) | instid1(SALU_CYCLE_1)
	v_cmp_ne_u32_e32 vcc_lo, 0x7f800000, v84
                                        ; implicit-def: $vgpr84
	s_and_saveexec_b32 s3, vcc_lo
	s_xor_b32 s3, exec_lo, s3
; %bb.41:
	v_bfe_u32 v84, v80, 16, 1
	s_delay_alu instid0(VALU_DEP_1)
	v_add3_u32 v84, v80, v84, 0x7fff
                                        ; implicit-def: $vgpr80
; %bb.42:
	s_and_not1_saveexec_b32 s3, s3
; %bb.43:
	v_and_b32_e32 v84, 0xffff, v80
	v_or_b32_e32 v90, 0x10000, v80
	s_delay_alu instid0(VALU_DEP_2) | instskip(NEXT) | instid1(VALU_DEP_2)
	v_cmp_eq_u32_e32 vcc_lo, 0, v84
	v_cndmask_b32_e32 v84, v90, v80, vcc_lo
; %bb.44:
	s_or_b32 exec_lo, exec_lo, s3
	s_load_b64 s[34:35], s[0:1], 0x94
	v_lshlrev_b32_e32 v91, 4, v75
	s_delay_alu instid0(VALU_DEP_2)
	v_perm_b32 v90, v84, v87, 0x7060302
	v_dual_mul_f32 v77, v82, v77 :: v_dual_lshlrev_b32 v80, 6, v66
	v_lshlrev_b32_e32 v66, 11, v65
	v_perm_b32 v87, v83, v76, 0x7060302
	v_mul_f32_e32 v83, v82, v70
	v_perm_b32 v89, v88, v89, 0x7060302
	v_perm_b32 v88, v86, v85, 0x7060302
	v_or3_b32 v76, v91, v66, v80
	v_mul_f32_e32 v66, v82, v81
	v_mul_f32_e32 v70, v82, v79
	;; [unrolled: 1-line block ×3, first 2 shown]
	v_dual_mul_f32 v81, v82, v72 :: v_dual_and_b32 v84, 0x7f800000, v83
	v_mul_f32_e32 v79, v82, v71
	v_mul_f32_e32 v72, v82, v69
	s_mov_b32 s3, exec_lo
	ds_store_b128 v76, v[87:90]
                                        ; implicit-def: $vgpr69
	v_cmpx_ne_u32_e32 0x7f800000, v84
	s_xor_b32 s3, exec_lo, s3
; %bb.45:
	v_bfe_u32 v69, v83, 16, 1
	s_delay_alu instid0(VALU_DEP_1)
	v_add3_u32 v69, v83, v69, 0x7fff
                                        ; implicit-def: $vgpr83
; %bb.46:
	s_and_not1_saveexec_b32 s3, s3
; %bb.47:
	v_and_b32_e32 v69, 0xffff, v83
	v_or_b32_e32 v71, 0x10000, v83
	s_delay_alu instid0(VALU_DEP_2) | instskip(NEXT) | instid1(VALU_DEP_2)
	v_cmp_eq_u32_e32 vcc_lo, 0, v69
	v_cndmask_b32_e32 v69, v71, v83, vcc_lo
; %bb.48:
	s_or_b32 exec_lo, exec_lo, s3
	v_and_b32_e32 v71, 0x7f800000, v72
	s_delay_alu instid0(VALU_DEP_1) | instskip(SKIP_1) | instid1(SALU_CYCLE_1)
	v_cmp_ne_u32_e32 vcc_lo, 0x7f800000, v71
                                        ; implicit-def: $vgpr71
	s_and_saveexec_b32 s3, vcc_lo
	s_xor_b32 s3, exec_lo, s3
; %bb.49:
	v_bfe_u32 v71, v72, 16, 1
	s_delay_alu instid0(VALU_DEP_1)
	v_add3_u32 v71, v72, v71, 0x7fff
                                        ; implicit-def: $vgpr72
; %bb.50:
	s_and_not1_saveexec_b32 s3, s3
; %bb.51:
	v_and_b32_e32 v71, 0xffff, v72
	v_or_b32_e32 v82, 0x10000, v72
	s_delay_alu instid0(VALU_DEP_2) | instskip(NEXT) | instid1(VALU_DEP_2)
	v_cmp_eq_u32_e32 vcc_lo, 0, v71
	v_cndmask_b32_e32 v71, v82, v72, vcc_lo
; %bb.52:
	s_or_b32 exec_lo, exec_lo, s3
	v_and_b32_e32 v72, 0x7f800000, v79
	s_delay_alu instid0(VALU_DEP_1) | instskip(SKIP_1) | instid1(SALU_CYCLE_1)
	v_cmp_ne_u32_e32 vcc_lo, 0x7f800000, v72
                                        ; implicit-def: $vgpr72
	s_and_saveexec_b32 s3, vcc_lo
	s_xor_b32 s3, exec_lo, s3
; %bb.53:
	v_bfe_u32 v72, v79, 16, 1
	s_delay_alu instid0(VALU_DEP_1)
	v_add3_u32 v72, v79, v72, 0x7fff
                                        ; implicit-def: $vgpr79
; %bb.54:
	s_and_not1_saveexec_b32 s3, s3
; %bb.55:
	v_and_b32_e32 v72, 0xffff, v79
	v_or_b32_e32 v82, 0x10000, v79
	s_delay_alu instid0(VALU_DEP_2) | instskip(NEXT) | instid1(VALU_DEP_2)
	v_cmp_eq_u32_e32 vcc_lo, 0, v72
	v_cndmask_b32_e32 v72, v82, v79, vcc_lo
; %bb.56:
	s_or_b32 exec_lo, exec_lo, s3
	v_and_b32_e32 v79, 0x7f800000, v81
	s_delay_alu instid0(VALU_DEP_1) | instskip(SKIP_1) | instid1(SALU_CYCLE_1)
	v_cmp_ne_u32_e32 vcc_lo, 0x7f800000, v79
                                        ; implicit-def: $vgpr79
	s_and_saveexec_b32 s3, vcc_lo
	s_xor_b32 s3, exec_lo, s3
; %bb.57:
	v_bfe_u32 v79, v81, 16, 1
	s_delay_alu instid0(VALU_DEP_1)
	v_add3_u32 v79, v81, v79, 0x7fff
                                        ; implicit-def: $vgpr81
; %bb.58:
	s_and_not1_saveexec_b32 s3, s3
; %bb.59:
	v_and_b32_e32 v79, 0xffff, v81
	v_or_b32_e32 v82, 0x10000, v81
	s_delay_alu instid0(VALU_DEP_2) | instskip(NEXT) | instid1(VALU_DEP_2)
	v_cmp_eq_u32_e32 vcc_lo, 0, v79
	v_cndmask_b32_e32 v79, v82, v81, vcc_lo
; %bb.60:
	s_or_b32 exec_lo, exec_lo, s3
	v_and_b32_e32 v81, 0x7f800000, v77
	s_delay_alu instid0(VALU_DEP_1) | instskip(SKIP_1) | instid1(SALU_CYCLE_1)
	v_cmp_ne_u32_e32 vcc_lo, 0x7f800000, v81
                                        ; implicit-def: $vgpr81
	s_and_saveexec_b32 s3, vcc_lo
	s_xor_b32 s3, exec_lo, s3
; %bb.61:
	v_bfe_u32 v81, v77, 16, 1
	s_delay_alu instid0(VALU_DEP_1)
	v_add3_u32 v81, v77, v81, 0x7fff
                                        ; implicit-def: $vgpr77
; %bb.62:
	s_and_not1_saveexec_b32 s3, s3
; %bb.63:
	v_and_b32_e32 v81, 0xffff, v77
	v_or_b32_e32 v82, 0x10000, v77
	s_delay_alu instid0(VALU_DEP_2) | instskip(NEXT) | instid1(VALU_DEP_2)
	v_cmp_eq_u32_e32 vcc_lo, 0, v81
	v_cndmask_b32_e32 v81, v82, v77, vcc_lo
; %bb.64:
	s_or_b32 exec_lo, exec_lo, s3
	v_and_b32_e32 v77, 0x7f800000, v78
	s_delay_alu instid0(VALU_DEP_1) | instskip(SKIP_1) | instid1(SALU_CYCLE_1)
	v_cmp_ne_u32_e32 vcc_lo, 0x7f800000, v77
                                        ; implicit-def: $vgpr77
	s_and_saveexec_b32 s3, vcc_lo
	s_xor_b32 s3, exec_lo, s3
; %bb.65:
	v_bfe_u32 v77, v78, 16, 1
	s_delay_alu instid0(VALU_DEP_1)
	v_add3_u32 v77, v78, v77, 0x7fff
                                        ; implicit-def: $vgpr78
; %bb.66:
	s_and_not1_saveexec_b32 s3, s3
; %bb.67:
	v_and_b32_e32 v77, 0xffff, v78
	v_or_b32_e32 v82, 0x10000, v78
	s_delay_alu instid0(VALU_DEP_2) | instskip(NEXT) | instid1(VALU_DEP_2)
	v_cmp_eq_u32_e32 vcc_lo, 0, v77
	v_cndmask_b32_e32 v77, v82, v78, vcc_lo
; %bb.68:
	s_or_b32 exec_lo, exec_lo, s3
	v_and_b32_e32 v78, 0x7f800000, v70
	s_delay_alu instid0(VALU_DEP_1) | instskip(SKIP_1) | instid1(SALU_CYCLE_1)
	v_cmp_ne_u32_e32 vcc_lo, 0x7f800000, v78
                                        ; implicit-def: $vgpr78
	s_and_saveexec_b32 s3, vcc_lo
	s_xor_b32 s3, exec_lo, s3
; %bb.69:
	v_bfe_u32 v78, v70, 16, 1
	s_delay_alu instid0(VALU_DEP_1)
	v_add3_u32 v78, v70, v78, 0x7fff
                                        ; implicit-def: $vgpr70
; %bb.70:
	s_and_not1_saveexec_b32 s3, s3
; %bb.71:
	v_and_b32_e32 v78, 0xffff, v70
	v_or_b32_e32 v82, 0x10000, v70
	s_delay_alu instid0(VALU_DEP_2) | instskip(NEXT) | instid1(VALU_DEP_2)
	v_cmp_eq_u32_e32 vcc_lo, 0, v78
	v_cndmask_b32_e32 v78, v82, v70, vcc_lo
; %bb.72:
	s_or_b32 exec_lo, exec_lo, s3
	v_and_b32_e32 v70, 0x7f800000, v66
	s_delay_alu instid0(VALU_DEP_1) | instskip(SKIP_1) | instid1(SALU_CYCLE_1)
	v_cmp_ne_u32_e32 vcc_lo, 0x7f800000, v70
                                        ; implicit-def: $vgpr70
	s_and_saveexec_b32 s3, vcc_lo
	s_xor_b32 s3, exec_lo, s3
; %bb.73:
	v_bfe_u32 v70, v66, 16, 1
	s_delay_alu instid0(VALU_DEP_1)
	v_add3_u32 v70, v66, v70, 0x7fff
                                        ; implicit-def: $vgpr66
; %bb.74:
	s_and_not1_saveexec_b32 s3, s3
; %bb.75:
	v_and_b32_e32 v70, 0xffff, v66
	v_or_b32_e32 v82, 0x10000, v66
	s_delay_alu instid0(VALU_DEP_2) | instskip(NEXT) | instid1(VALU_DEP_2)
	v_cmp_eq_u32_e32 vcc_lo, 0, v70
	v_cndmask_b32_e32 v70, v82, v66, vcc_lo
; %bb.76:
	s_or_b32 exec_lo, exec_lo, s3
	s_delay_alu instid0(VALU_DEP_1)
	v_perm_b32 v86, v70, v78, 0x7060302
	v_perm_b32 v85, v77, v81, 0x7060302
	v_perm_b32 v84, v79, v72, 0x7060302
	v_perm_b32 v83, v71, v69, 0x7060302
	v_lshl_or_b32 v82, v65, 11, v80
	ds_store_b128 v76, v[83:86] offset:1024
	s_waitcnt lgkmcnt(0)
	s_barrier
	buffer_gl0_inv
	ds_load_b128 v[69:72], v82
	ds_load_b128 v[83:86], v82 offset:16
	s_waitcnt lgkmcnt(1)
	v_lshrrev_b32_e32 v65, 16, v69
	v_lshlrev_b32_e32 v78, 2, v75
	s_waitcnt lgkmcnt(0)
	v_lshrrev_b32_e32 v91, 16, v83
	v_lshrrev_b32_e32 v66, 16, v70
	;; [unrolled: 1-line block ×4, first 2 shown]
	v_cmp_eq_u32_e32 vcc_lo, 1, v78
	v_lshrrev_b32_e32 v98, 16, v85
	v_lshrrev_b32_e32 v96, 16, v72
	;; [unrolled: 1-line block ×3, first 2 shown]
	v_cndmask_b32_e32 v81, v69, v65, vcc_lo
	v_or_b32_e32 v79, 1, v78
	v_cmp_eq_u32_e64 s4, 2, v78
	v_cndmask_b32_e32 v87, v83, v91, vcc_lo
	v_cmp_eq_u32_e64 s7, 3, v78
	v_cmp_eq_u32_e64 s9, 4, v78
	;; [unrolled: 1-line block ×3, first 2 shown]
	v_cndmask_b32_e64 v81, v81, v70, s4
	v_cmp_eq_u32_e64 s6, 2, v79
	v_cndmask_b32_e64 v87, v87, v84, s4
	v_cmp_eq_u32_e64 s8, 3, v79
	v_cndmask_b32_e64 v88, v69, v65, s3
	v_cndmask_b32_e64 v81, v81, v66, s7
	v_or_b32_e32 v77, 2, v78
	v_cndmask_b32_e64 v87, v87, v97, s7
	v_cndmask_b32_e64 v89, v83, v91, s3
	;; [unrolled: 1-line block ×4, first 2 shown]
	v_cmp_eq_u32_e64 s10, 5, v78
	v_cndmask_b32_e64 v87, v87, v85, s9
	v_cmp_eq_u32_e64 s11, 4, v79
	v_cndmask_b32_e64 v88, v88, v66, s8
	;; [unrolled: 2-line block ×3, first 2 shown]
	v_cndmask_b32_e64 v81, v81, v95, s10
	v_cmp_eq_u32_e64 s12, 6, v78
	v_cndmask_b32_e64 v88, v88, v71, s11
	v_cndmask_b32_e64 v87, v87, v98, s10
	v_cmp_eq_u32_e64 s13, 5, v79
	v_cndmask_b32_e64 v90, v69, v65, s5
	v_cndmask_b32_e64 v89, v89, v97, s8
	;; [unrolled: 1-line block ×3, first 2 shown]
	v_cmp_eq_u32_e64 s15, 7, v78
	v_cndmask_b32_e64 v88, v88, v95, s13
	v_cndmask_b32_e64 v87, v87, v86, s12
	v_cmp_eq_u32_e64 s16, 6, v79
	v_cmp_eq_u32_e64 s17, 2, v77
	v_cndmask_b32_e64 v89, v89, v85, s11
	v_cndmask_b32_e64 v100, v81, v96, s15
	;; [unrolled: 1-line block ×6, first 2 shown]
	v_cmp_eq_u32_e64 s18, 7, v79
	v_cmp_eq_u32_e64 s19, 3, v77
	;; [unrolled: 1-line block ×4, first 2 shown]
	v_cndmask_b32_e64 v87, v87, v84, s17
	v_cndmask_b32_e64 v102, v88, v96, s18
	;; [unrolled: 1-line block ×4, first 2 shown]
	v_or_b32_e32 v81, 3, v78
	v_cndmask_b32_e64 v93, v87, v97, s19
	v_cmp_eq_u32_e64 s24, 6, v77
	v_cndmask_b32_e64 v103, v88, v86, s16
	v_cndmask_b32_e64 v92, v89, v71, s20
	v_cmp_eq_u32_e64 s21, 1, v81
	ds_load_b128 v[87:90], v82 offset:1024
	v_cmp_eq_u32_e64 s23, 2, v81
	v_cmp_eq_u32_e64 s25, 3, v81
	v_cndmask_b32_e64 v104, v92, v95, s22
	v_cndmask_b32_e64 v65, v69, v65, s21
	;; [unrolled: 1-line block ×4, first 2 shown]
	ds_load_b128 v[91:94], v82 offset:1040
	v_cmp_eq_u32_e64 s26, 4, v81
	v_cndmask_b32_e64 v65, v65, v70, s23
	v_cmp_eq_u32_e64 s28, 5, v81
	v_cndmask_b32_e64 v70, v83, v84, s23
	;; [unrolled: 2-line block ×3, first 2 shown]
	v_cndmask_b32_e64 v65, v65, v66, s25
	v_cndmask_b32_e64 v66, v104, v72, s24
	;; [unrolled: 1-line block ×3, first 2 shown]
	v_cmp_eq_u32_e64 s27, 7, v77
	v_cndmask_b32_e64 v69, v69, v86, s24
	v_cndmask_b32_e64 v65, v65, v71, s26
	s_waitcnt lgkmcnt(1)
	v_lshrrev_b32_e32 v84, 16, v87
	v_cndmask_b32_e64 v70, v70, v85, s26
	v_cndmask_b32_e64 v83, v103, v99, s18
	;; [unrolled: 1-line block ×4, first 2 shown]
	v_lshrrev_b32_e32 v95, 16, v88
	v_cndmask_b32_e64 v70, v70, v98, s28
	s_waitcnt lgkmcnt(0)
	v_lshrrev_b32_e32 v85, 16, v91
	v_cndmask_b32_e64 v97, v87, v84, s3
	v_cndmask_b32_e64 v65, v65, v72, s29
	;; [unrolled: 1-line block ×4, first 2 shown]
	v_cndmask_b32_e32 v71, v87, v84, vcc_lo
	v_cndmask_b32_e32 v98, v91, v85, vcc_lo
	v_cmp_eq_u32_e32 vcc_lo, 7, v81
	v_cndmask_b32_e64 v72, v97, v88, s6
	v_lshrrev_b32_e32 v97, 16, v92
	v_lshrrev_b32_e32 v103, 16, v90
	v_dual_cndmask_b32 v65, v65, v96 :: v_dual_cndmask_b32 v70, v70, v99
	v_cndmask_b32_e64 v71, v71, v88, s4
	v_cndmask_b32_e64 v86, v98, v92, s4
	;; [unrolled: 1-line block ×3, first 2 shown]
	v_lshrrev_b32_e32 v98, 16, v89
	v_lshrrev_b32_e32 v99, 16, v93
	v_cndmask_b32_e64 v71, v71, v95, s7
	v_cndmask_b32_e64 v86, v86, v97, s7
	;; [unrolled: 1-line block ×3, first 2 shown]
	v_perm_b32 v72, v70, v65, 0x5040100
	v_perm_b32 v70, v83, v102, 0x5040100
	v_cndmask_b32_e64 v71, v71, v89, s9
	v_cndmask_b32_e64 v86, v86, v93, s9
	;; [unrolled: 1-line block ×3, first 2 shown]
	v_lshrrev_b32_e32 v83, 16, v94
	s_delay_alu instid0(VALU_DEP_4) | instskip(NEXT) | instid1(VALU_DEP_4)
	v_cndmask_b32_e64 v71, v71, v98, s10
	v_cndmask_b32_e64 v86, v86, v99, s10
	s_delay_alu instid0(VALU_DEP_4) | instskip(NEXT) | instid1(VALU_DEP_3)
	v_cndmask_b32_e64 v65, v65, v90, s16
	v_cndmask_b32_e64 v96, v71, v90, s12
	v_perm_b32 v71, v69, v66, 0x5040100
	s_delay_alu instid0(VALU_DEP_4)
	v_cndmask_b32_e64 v69, v86, v94, s12
	v_cndmask_b32_e64 v86, v87, v84, s5
	v_cndmask_b32_e64 v84, v87, v84, s21
	v_cndmask_b32_e64 v66, v96, v103, s15
	v_cndmask_b32_e64 v87, v91, v85, s21
	v_cndmask_b32_e64 v96, v91, v85, s5
	v_cndmask_b32_e64 v85, v91, v85, s3
	v_cndmask_b32_e64 v86, v86, v88, s17
	v_cndmask_b32_e64 v84, v84, v88, s23
	v_cndmask_b32_e64 v87, v87, v92, s23
	v_cndmask_b32_e64 v88, v96, v92, s17
	v_cndmask_b32_e64 v85, v85, v92, s6
	v_cndmask_b32_e64 v86, v86, v95, s19
	v_cndmask_b32_e64 v84, v84, v95, s25
	v_cndmask_b32_e64 v87, v87, v97, s25
	v_cndmask_b32_e64 v88, v88, v97, s19
	v_cndmask_b32_e64 v85, v85, v97, s8
	v_cndmask_b32_e64 v86, v86, v89, s20
	v_cndmask_b32_e64 v84, v84, v89, s26
	v_cndmask_b32_e64 v87, v87, v93, s26
	v_cndmask_b32_e64 v88, v88, v93, s20
	v_cndmask_b32_e64 v85, v85, v93, s11
	v_cndmask_b32_e64 v86, v86, v98, s22
	v_cndmask_b32_e64 v84, v84, v98, s28
	v_cndmask_b32_e64 v87, v87, v99, s28
	v_cndmask_b32_e64 v88, v88, v99, s22
	v_cndmask_b32_e64 v85, v85, v99, s13
	v_cndmask_b32_e64 v86, v86, v90, s24
	v_cndmask_b32_e64 v84, v84, v90, s29
	v_cndmask_b32_e64 v87, v87, v94, s29
	v_cndmask_b32_e64 v88, v88, v94, s24
	v_cndmask_b32_e64 v85, v85, v94, s16
	v_cndmask_b32_e64 v65, v65, v103, s18
	v_cndmask_b32_e64 v89, v86, v103, s27
	v_cndmask_b32_e32 v84, v84, v103, vcc_lo
	v_cndmask_b32_e32 v86, v87, v83, vcc_lo
	v_cndmask_b32_e64 v87, v88, v83, s27
	v_cndmask_b32_e64 v88, v85, v83, s18
	;; [unrolled: 1-line block ×3, first 2 shown]
	v_perm_b32 v69, v101, v100, 0x5040100
	v_perm_b32 v86, v86, v84, 0x5040100
	;; [unrolled: 1-line block ×5, first 2 shown]
	s_lshl_b32 s8, s35, 2
	s_mov_b32 s3, exec_lo
	ds_store_b128 v76, v[69:72]
	ds_store_b128 v76, v[83:86] offset:1024
	v_cmpx_gt_u32_e32 4, v0
	s_cbranch_execz .LBB1505_78
; %bb.77:
	v_or_b32_e32 v65, s31, v0
	s_load_b128 s[4:7], s[0:1], 0x58
	s_delay_alu instid0(VALU_DEP_1) | instskip(NEXT) | instid1(VALU_DEP_1)
	v_mad_u64_u32 v[69:70], null, s8, s30, v[65:66]
	v_mad_u64_u32 v[65:66], null, v69, s34, s[14:15]
	s_delay_alu instid0(VALU_DEP_1) | instskip(NEXT) | instid1(VALU_DEP_1)
	v_ashrrev_i32_e32 v66, 31, v65
	v_lshlrev_b64 v[65:66], 2, v[65:66]
	s_waitcnt lgkmcnt(0)
	s_delay_alu instid0(VALU_DEP_1) | instskip(NEXT) | instid1(VALU_DEP_2)
	v_add_co_u32 v69, vcc_lo, s6, v65
	v_add_co_ci_u32_e32 v70, vcc_lo, s7, v66, vcc_lo
	v_add_co_u32 v65, vcc_lo, s4, v65
	v_add_co_ci_u32_e32 v66, vcc_lo, s5, v66, vcc_lo
	global_store_b32 v[69:70], v67, off
	global_store_b32 v[65:66], v68, off
.LBB1505_78:
	s_or_b32 exec_lo, exec_lo, s3
	s_waitcnt lgkmcnt(0)
	s_waitcnt_vscnt null, 0x0
	s_barrier
	buffer_gl0_inv
	ds_load_b128 v[83:86], v80
	ds_load_b128 v[87:90], v80 offset:16
	ds_load_b128 v[95:98], v80 offset:2064
	;; [unrolled: 1-line block ×3, first 2 shown]
	v_mov_b32_e32 v65, 0
	ds_load_b128 v[103:106], v80 offset:4112
	ds_load_b128 v[99:102], v80 offset:4096
	;; [unrolled: 1-line block ×4, first 2 shown]
	v_mov_b32_e32 v66, v65
	v_mov_b32_e32 v67, v65
	;; [unrolled: 1-line block ×7, first 2 shown]
	s_waitcnt lgkmcnt(6)
	s_delay_alu instid0(VALU_DEP_1)
	v_wmma_f32_16x16x16_bf16 v[65:72], v[57:64], v[83:90], v[65:72]
	ds_load_b128 v[61:64], v80 offset:8208
	ds_load_b128 v[57:60], v80 offset:8192
	s_waitcnt lgkmcnt(6)
	v_wmma_f32_16x16x16_bf16 v[65:72], v[41:48], v[91:98], v[65:72]
	ds_load_b128 v[45:48], v80 offset:10256
	ds_load_b128 v[41:44], v80 offset:10240
	s_waitcnt lgkmcnt(6)
	;; [unrolled: 4-line block ×4, first 2 shown]
	v_wmma_f32_16x16x16_bf16 v[65:72], v[1:8], v[57:64], v[65:72]
	s_waitcnt lgkmcnt(4)
	s_delay_alu instid0(VALU_DEP_1) | instskip(SKIP_1) | instid1(VALU_DEP_1)
	v_wmma_f32_16x16x16_bf16 v[65:72], v[9:16], v[41:48], v[65:72]
	s_waitcnt lgkmcnt(2)
	v_wmma_f32_16x16x16_bf16 v[65:72], v[17:24], v[33:40], v[65:72]
	s_waitcnt lgkmcnt(0)
	s_delay_alu instid0(VALU_DEP_1) | instskip(NEXT) | instid1(VALU_DEP_1)
	v_wmma_f32_16x16x16_bf16 v[65:72], v[49:56], v[25:32], v[65:72]
	v_and_b32_e32 v1, 0x7f800000, v65
	s_delay_alu instid0(VALU_DEP_1) | instskip(SKIP_1) | instid1(SALU_CYCLE_1)
	v_cmp_ne_u32_e32 vcc_lo, 0x7f800000, v1
                                        ; implicit-def: $vgpr1
	s_and_saveexec_b32 s3, vcc_lo
	s_xor_b32 s3, exec_lo, s3
; %bb.79:
	v_bfe_u32 v1, v65, 16, 1
	s_delay_alu instid0(VALU_DEP_1)
	v_add3_u32 v1, v65, v1, 0x7fff
; %bb.80:
	s_and_not1_saveexec_b32 s3, s3
; %bb.81:
	v_and_b32_e32 v1, 0xffff, v65
	v_or_b32_e32 v2, 0x10000, v65
	s_delay_alu instid0(VALU_DEP_2) | instskip(NEXT) | instid1(VALU_DEP_2)
	v_cmp_eq_u32_e32 vcc_lo, 0, v1
	v_cndmask_b32_e32 v1, v2, v65, vcc_lo
; %bb.82:
	s_or_b32 exec_lo, exec_lo, s3
	v_and_b32_e32 v2, 0x7f800000, v66
	s_delay_alu instid0(VALU_DEP_1) | instskip(SKIP_1) | instid1(SALU_CYCLE_1)
	v_cmp_ne_u32_e32 vcc_lo, 0x7f800000, v2
                                        ; implicit-def: $vgpr2
	s_and_saveexec_b32 s3, vcc_lo
	s_xor_b32 s3, exec_lo, s3
; %bb.83:
	v_bfe_u32 v2, v66, 16, 1
	s_delay_alu instid0(VALU_DEP_1)
	v_add3_u32 v2, v66, v2, 0x7fff
; %bb.84:
	s_and_not1_saveexec_b32 s3, s3
; %bb.85:
	v_and_b32_e32 v2, 0xffff, v66
	v_or_b32_e32 v3, 0x10000, v66
	s_delay_alu instid0(VALU_DEP_2) | instskip(NEXT) | instid1(VALU_DEP_2)
	v_cmp_eq_u32_e32 vcc_lo, 0, v2
	v_cndmask_b32_e32 v2, v3, v66, vcc_lo
; %bb.86:
	s_or_b32 exec_lo, exec_lo, s3
	v_and_b32_e32 v3, 0x7f800000, v67
	s_delay_alu instid0(VALU_DEP_1) | instskip(SKIP_1) | instid1(SALU_CYCLE_1)
	v_cmp_ne_u32_e32 vcc_lo, 0x7f800000, v3
                                        ; implicit-def: $vgpr3
	s_and_saveexec_b32 s3, vcc_lo
	s_xor_b32 s3, exec_lo, s3
; %bb.87:
	v_bfe_u32 v3, v67, 16, 1
	s_delay_alu instid0(VALU_DEP_1)
	v_add3_u32 v3, v67, v3, 0x7fff
; %bb.88:
	s_and_not1_saveexec_b32 s3, s3
; %bb.89:
	v_and_b32_e32 v3, 0xffff, v67
	v_or_b32_e32 v4, 0x10000, v67
	s_delay_alu instid0(VALU_DEP_2) | instskip(NEXT) | instid1(VALU_DEP_2)
	v_cmp_eq_u32_e32 vcc_lo, 0, v3
	v_cndmask_b32_e32 v3, v4, v67, vcc_lo
; %bb.90:
	s_or_b32 exec_lo, exec_lo, s3
	v_and_b32_e32 v4, 0x7f800000, v68
	s_delay_alu instid0(VALU_DEP_1) | instskip(SKIP_1) | instid1(SALU_CYCLE_1)
	v_cmp_ne_u32_e32 vcc_lo, 0x7f800000, v4
                                        ; implicit-def: $vgpr4
	s_and_saveexec_b32 s3, vcc_lo
	s_xor_b32 s3, exec_lo, s3
; %bb.91:
	v_bfe_u32 v4, v68, 16, 1
	s_delay_alu instid0(VALU_DEP_1)
	v_add3_u32 v4, v68, v4, 0x7fff
; %bb.92:
	s_and_not1_saveexec_b32 s3, s3
; %bb.93:
	v_and_b32_e32 v4, 0xffff, v68
	v_or_b32_e32 v5, 0x10000, v68
	s_delay_alu instid0(VALU_DEP_2) | instskip(NEXT) | instid1(VALU_DEP_2)
	v_cmp_eq_u32_e32 vcc_lo, 0, v4
	v_cndmask_b32_e32 v4, v5, v68, vcc_lo
; %bb.94:
	s_or_b32 exec_lo, exec_lo, s3
	v_and_b32_e32 v5, 0x7f800000, v69
	s_delay_alu instid0(VALU_DEP_1) | instskip(SKIP_1) | instid1(SALU_CYCLE_1)
	v_cmp_ne_u32_e32 vcc_lo, 0x7f800000, v5
                                        ; implicit-def: $vgpr5
	s_and_saveexec_b32 s3, vcc_lo
	s_xor_b32 s3, exec_lo, s3
; %bb.95:
	v_bfe_u32 v5, v69, 16, 1
	s_delay_alu instid0(VALU_DEP_1)
	v_add3_u32 v5, v69, v5, 0x7fff
; %bb.96:
	s_and_not1_saveexec_b32 s3, s3
; %bb.97:
	v_and_b32_e32 v5, 0xffff, v69
	v_or_b32_e32 v6, 0x10000, v69
	s_delay_alu instid0(VALU_DEP_2) | instskip(NEXT) | instid1(VALU_DEP_2)
	v_cmp_eq_u32_e32 vcc_lo, 0, v5
	v_cndmask_b32_e32 v5, v6, v69, vcc_lo
; %bb.98:
	s_or_b32 exec_lo, exec_lo, s3
	v_and_b32_e32 v6, 0x7f800000, v70
	s_delay_alu instid0(VALU_DEP_1) | instskip(SKIP_1) | instid1(SALU_CYCLE_1)
	v_cmp_ne_u32_e32 vcc_lo, 0x7f800000, v6
                                        ; implicit-def: $vgpr6
	s_and_saveexec_b32 s3, vcc_lo
	s_xor_b32 s3, exec_lo, s3
; %bb.99:
	v_bfe_u32 v6, v70, 16, 1
	s_delay_alu instid0(VALU_DEP_1)
	v_add3_u32 v6, v70, v6, 0x7fff
; %bb.100:
	s_and_not1_saveexec_b32 s3, s3
; %bb.101:
	v_and_b32_e32 v6, 0xffff, v70
	v_or_b32_e32 v7, 0x10000, v70
	s_delay_alu instid0(VALU_DEP_2) | instskip(NEXT) | instid1(VALU_DEP_2)
	v_cmp_eq_u32_e32 vcc_lo, 0, v6
	v_cndmask_b32_e32 v6, v7, v70, vcc_lo
; %bb.102:
	s_or_b32 exec_lo, exec_lo, s3
	v_and_b32_e32 v7, 0x7f800000, v71
	s_delay_alu instid0(VALU_DEP_1) | instskip(SKIP_1) | instid1(SALU_CYCLE_1)
	v_cmp_ne_u32_e32 vcc_lo, 0x7f800000, v7
                                        ; implicit-def: $vgpr7
	s_and_saveexec_b32 s3, vcc_lo
	s_xor_b32 s3, exec_lo, s3
; %bb.103:
	v_bfe_u32 v7, v71, 16, 1
	s_delay_alu instid0(VALU_DEP_1)
	v_add3_u32 v7, v71, v7, 0x7fff
; %bb.104:
	s_and_not1_saveexec_b32 s3, s3
; %bb.105:
	v_and_b32_e32 v7, 0xffff, v71
	v_or_b32_e32 v8, 0x10000, v71
	s_delay_alu instid0(VALU_DEP_2) | instskip(NEXT) | instid1(VALU_DEP_2)
	v_cmp_eq_u32_e32 vcc_lo, 0, v7
	v_cndmask_b32_e32 v7, v8, v71, vcc_lo
; %bb.106:
	s_or_b32 exec_lo, exec_lo, s3
	v_and_b32_e32 v8, 0x7f800000, v72
	s_delay_alu instid0(VALU_DEP_1) | instskip(SKIP_1) | instid1(SALU_CYCLE_1)
	v_cmp_ne_u32_e32 vcc_lo, 0x7f800000, v8
                                        ; implicit-def: $vgpr8
	s_and_saveexec_b32 s3, vcc_lo
	s_xor_b32 s3, exec_lo, s3
; %bb.107:
	v_bfe_u32 v8, v72, 16, 1
	s_delay_alu instid0(VALU_DEP_1)
	v_add3_u32 v8, v72, v8, 0x7fff
                                        ; implicit-def: $vgpr65_vgpr66_vgpr67_vgpr68_vgpr69_vgpr70_vgpr71_vgpr72
; %bb.108:
	s_and_not1_saveexec_b32 s3, s3
; %bb.109:
	v_and_b32_e32 v8, 0xffff, v72
	v_or_b32_e32 v9, 0x10000, v72
	s_delay_alu instid0(VALU_DEP_2) | instskip(NEXT) | instid1(VALU_DEP_2)
	v_cmp_eq_u32_e32 vcc_lo, 0, v8
	v_cndmask_b32_e32 v8, v9, v72, vcc_lo
; %bb.110:
	s_or_b32 exec_lo, exec_lo, s3
	s_delay_alu instid0(VALU_DEP_1)
	v_perm_b32 v7, v8, v7, 0x7060302
	v_perm_b32 v6, v6, v5, 0x7060302
	;; [unrolled: 1-line block ×4, first 2 shown]
	s_barrier
	buffer_gl0_inv
	v_cmp_eq_u32_e32 vcc_lo, 1, v78
	ds_store_b128 v76, v[4:7]
	s_waitcnt lgkmcnt(0)
	s_barrier
	buffer_gl0_inv
	ds_load_b128 v[1:4], v82
	ds_load_b128 v[5:8], v82 offset:16
	v_cmp_eq_u32_e64 s3, 1, v79
	v_cmp_eq_u32_e64 s4, 2, v78
	;; [unrolled: 1-line block ×5, first 2 shown]
	s_waitcnt lgkmcnt(1)
	v_lshrrev_b32_e32 v9, 16, v1
	s_waitcnt lgkmcnt(0)
	v_lshrrev_b32_e32 v13, 16, v5
	v_lshrrev_b32_e32 v10, 16, v2
	v_lshrrev_b32_e32 v14, 16, v6
	v_lshrrev_b32_e32 v11, 16, v3
	v_cndmask_b32_e64 v19, v1, v9, s3
	v_cndmask_b32_e32 v18, v5, v13, vcc_lo
	v_cndmask_b32_e64 v20, v5, v13, s3
	v_cndmask_b32_e32 v17, v1, v9, vcc_lo
	v_cmp_eq_u32_e32 vcc_lo, 2, v79
	v_lshrrev_b32_e32 v15, 16, v7
	v_cmp_eq_u32_e64 s3, 1, v77
	v_lshrrev_b32_e32 v12, 16, v4
	v_lshrrev_b32_e32 v16, 16, v8
	v_cndmask_b32_e32 v20, v20, v6, vcc_lo
	v_cndmask_b32_e64 v17, v17, v2, s4
	v_cndmask_b32_e32 v19, v19, v2, vcc_lo
	v_cndmask_b32_e64 v18, v18, v6, s4
	v_cmp_eq_u32_e32 vcc_lo, 4, v78
	v_cmp_eq_u32_e64 s4, 3, v79
	v_cndmask_b32_e64 v17, v17, v10, s5
	v_cndmask_b32_e64 v21, v1, v9, s3
	;; [unrolled: 1-line block ×5, first 2 shown]
	v_cndmask_b32_e32 v17, v17, v3, vcc_lo
	v_cndmask_b32_e64 v20, v20, v14, s4
	v_cndmask_b32_e32 v18, v18, v7, vcc_lo
	v_cmp_eq_u32_e32 vcc_lo, 4, v79
	v_cmp_eq_u32_e64 s4, 5, v79
	v_cmp_eq_u32_e64 s3, 2, v81
	v_cndmask_b32_e64 v21, v21, v2, s7
	v_cmp_eq_u32_e64 s5, 5, v78
	v_cndmask_b32_e32 v19, v19, v3, vcc_lo
	v_cndmask_b32_e32 v20, v20, v7, vcc_lo
	v_cmp_eq_u32_e32 vcc_lo, 6, v79
	s_delay_alu instid0(VALU_DEP_4) | instskip(NEXT) | instid1(VALU_DEP_4)
	v_cndmask_b32_e64 v17, v17, v11, s5
	v_cndmask_b32_e64 v19, v19, v11, s4
	s_delay_alu instid0(VALU_DEP_4) | instskip(SKIP_1) | instid1(VALU_DEP_3)
	v_cndmask_b32_e64 v20, v20, v15, s4
	v_cmp_eq_u32_e64 s4, 1, v81
	v_cndmask_b32_e32 v19, v19, v4, vcc_lo
	v_cndmask_b32_e64 v18, v18, v15, s5
	s_delay_alu instid0(VALU_DEP_3)
	v_cndmask_b32_e64 v1, v1, v9, s4
	v_cndmask_b32_e64 v5, v5, v13, s4
	v_cmp_eq_u32_e64 s4, 3, v77
	v_cndmask_b32_e64 v13, v22, v6, s7
	v_cmp_eq_u32_e64 s7, 3, v81
	v_cndmask_b32_e64 v1, v1, v2, s3
	v_cndmask_b32_e64 v2, v5, v6, s3
	;; [unrolled: 1-line block ×3, first 2 shown]
	v_cmp_eq_u32_e64 s3, 4, v77
	v_cndmask_b32_e64 v6, v13, v14, s4
	v_cndmask_b32_e64 v1, v1, v10, s7
	v_cmp_eq_u32_e64 s4, 4, v81
	v_cndmask_b32_e64 v2, v2, v14, s7
	v_cndmask_b32_e64 v5, v9, v3, s3
	;; [unrolled: 3-line block ×3, first 2 shown]
	v_cndmask_b32_e64 v2, v2, v7, s4
	v_cmp_eq_u32_e64 s3, 5, v81
	v_cmp_eq_u32_e64 s5, 6, v78
	v_cndmask_b32_e64 v5, v5, v11, s7
	v_cmp_eq_u32_e64 s4, 6, v77
	v_cndmask_b32_e64 v3, v6, v15, s7
	v_cndmask_b32_e64 v1, v1, v11, s3
	v_cmp_eq_u32_e64 s7, 6, v81
	v_cndmask_b32_e64 v2, v2, v15, s3
	v_cndmask_b32_e64 v17, v17, v4, s5
	v_cndmask_b32_e64 v18, v18, v8, s5
	v_cmp_eq_u32_e64 s5, 7, v78
	v_cndmask_b32_e64 v5, v5, v4, s4
	;; [unrolled: 4-line block ×3, first 2 shown]
	v_cmp_eq_u32_e64 s4, 7, v77
	v_cndmask_b32_e32 v4, v20, v8, vcc_lo
	v_cndmask_b32_e64 v17, v17, v12, s5
	v_cndmask_b32_e64 v19, v19, v12, s6
	;; [unrolled: 1-line block ×8, first 2 shown]
	v_cmp_gt_u32_e32 vcc_lo, 32, v0
	v_perm_b32 v4, v2, v1, 0x5040100
	v_perm_b32 v3, v3, v5, 0x5040100
	;; [unrolled: 1-line block ×4, first 2 shown]
	s_and_b32 s2, vcc_lo, s2
	ds_store_b128 v76, v[1:4]
	s_waitcnt lgkmcnt(0)
	s_barrier
	buffer_gl0_inv
	s_and_saveexec_b32 s3, s2
	s_cbranch_execz .LBB1505_2
; %bb.111:
	s_load_b64 s[0:1], s[0:1], 0x68
	v_lshlrev_b32_e32 v0, 10, v0
	v_or_b32_e32 v1, s31, v75
	s_lshl_b32 s4, s34, 6
	v_lshlrev_b32_e32 v2, 4, v74
	s_mul_i32 s2, s4, s30
	v_lshlrev_b32_e32 v3, 6, v75
	v_mul_lo_u32 v8, v1, s4
	v_and_b32_e32 v0, 0x3800, v0
	v_or_b32_e32 v1, 2, v1
	s_mul_i32 s2, s2, s8
	s_delay_alu instid0(SALU_CYCLE_1) | instskip(NEXT) | instid1(VALU_DEP_2)
	s_ashr_i32 s3, s2, 31
	v_or3_b32 v4, v0, v2, v3
	s_lshl_b64 s[2:3], s[2:3], 1
	v_mul_lo_u32 v10, v1, s4
	v_ashrrev_i32_e32 v9, 31, v8
	ds_load_b128 v[0:3], v4
	ds_load_b128 v[4:7], v4 offset:128
	s_waitcnt lgkmcnt(0)
	s_add_u32 s2, s0, s2
	s_addc_u32 s3, s1, s3
	s_lshl_b32 s0, s14, 6
	v_ashrrev_i32_e32 v11, 31, v10
	s_ashr_i32 s1, s0, 31
	v_lshlrev_b64 v[8:9], 1, v[8:9]
	s_lshl_b64 s[0:1], s[0:1], 1
	s_delay_alu instid0(SALU_CYCLE_1) | instskip(SKIP_2) | instid1(VALU_DEP_1)
	s_add_u32 s0, s2, s0
	s_addc_u32 s1, s3, s1
	v_add_co_u32 v12, s0, s0, v73
	v_add_co_ci_u32_e64 v13, null, s1, 0, s0
	v_lshlrev_b64 v[10:11], 1, v[10:11]
	s_delay_alu instid0(VALU_DEP_3) | instskip(NEXT) | instid1(VALU_DEP_3)
	v_add_co_u32 v8, vcc_lo, v12, v8
	v_add_co_ci_u32_e32 v9, vcc_lo, v13, v9, vcc_lo
	s_delay_alu instid0(VALU_DEP_3) | instskip(NEXT) | instid1(VALU_DEP_4)
	v_add_co_u32 v10, vcc_lo, v12, v10
	v_add_co_ci_u32_e32 v11, vcc_lo, v13, v11, vcc_lo
	s_clause 0x1
	global_store_b128 v[8:9], v[0:3], off
	global_store_b128 v[10:11], v[4:7], off
	s_nop 0
	s_sendmsg sendmsg(MSG_DEALLOC_VGPRS)
	s_endpgm
	.section	.rodata,"a",@progbits
	.p2align	6, 0x0
	.amdhsa_kernel _Z39paged_attention_ll4mi_QKV_mfma16_kernelI14__hip_bfloat16hLN4vllm18Fp8KVCacheDataTypeE1ES0_Li32ELi64ELi256ELb0ELi4EL8MFMAType1EEvPKT_PKT0_S9_ifPKiSB_SB_iPKfiiiPfSE_PS4_PT2_iSD_SD_
		.amdhsa_group_segment_fixed_size 17472
		.amdhsa_private_segment_fixed_size 0
		.amdhsa_kernarg_size 400
		.amdhsa_user_sgpr_count 13
		.amdhsa_user_sgpr_dispatch_ptr 0
		.amdhsa_user_sgpr_queue_ptr 0
		.amdhsa_user_sgpr_kernarg_segment_ptr 1
		.amdhsa_user_sgpr_dispatch_id 0
		.amdhsa_user_sgpr_private_segment_size 0
		.amdhsa_wavefront_size32 1
		.amdhsa_uses_dynamic_stack 0
		.amdhsa_enable_private_segment 0
		.amdhsa_system_sgpr_workgroup_id_x 1
		.amdhsa_system_sgpr_workgroup_id_y 1
		.amdhsa_system_sgpr_workgroup_id_z 1
		.amdhsa_system_sgpr_workgroup_info 0
		.amdhsa_system_vgpr_workitem_id 0
		.amdhsa_next_free_vgpr 124
		.amdhsa_next_free_sgpr 40
		.amdhsa_reserve_vcc 1
		.amdhsa_float_round_mode_32 0
		.amdhsa_float_round_mode_16_64 0
		.amdhsa_float_denorm_mode_32 3
		.amdhsa_float_denorm_mode_16_64 3
		.amdhsa_dx10_clamp 1
		.amdhsa_ieee_mode 1
		.amdhsa_fp16_overflow 0
		.amdhsa_workgroup_processor_mode 1
		.amdhsa_memory_ordered 1
		.amdhsa_forward_progress 0
		.amdhsa_shared_vgpr_count 0
		.amdhsa_exception_fp_ieee_invalid_op 0
		.amdhsa_exception_fp_denorm_src 0
		.amdhsa_exception_fp_ieee_div_zero 0
		.amdhsa_exception_fp_ieee_overflow 0
		.amdhsa_exception_fp_ieee_underflow 0
		.amdhsa_exception_fp_ieee_inexact 0
		.amdhsa_exception_int_div_zero 0
	.end_amdhsa_kernel
	.section	.text._Z39paged_attention_ll4mi_QKV_mfma16_kernelI14__hip_bfloat16hLN4vllm18Fp8KVCacheDataTypeE1ES0_Li32ELi64ELi256ELb0ELi4EL8MFMAType1EEvPKT_PKT0_S9_ifPKiSB_SB_iPKfiiiPfSE_PS4_PT2_iSD_SD_,"axG",@progbits,_Z39paged_attention_ll4mi_QKV_mfma16_kernelI14__hip_bfloat16hLN4vllm18Fp8KVCacheDataTypeE1ES0_Li32ELi64ELi256ELb0ELi4EL8MFMAType1EEvPKT_PKT0_S9_ifPKiSB_SB_iPKfiiiPfSE_PS4_PT2_iSD_SD_,comdat
.Lfunc_end1505:
	.size	_Z39paged_attention_ll4mi_QKV_mfma16_kernelI14__hip_bfloat16hLN4vllm18Fp8KVCacheDataTypeE1ES0_Li32ELi64ELi256ELb0ELi4EL8MFMAType1EEvPKT_PKT0_S9_ifPKiSB_SB_iPKfiiiPfSE_PS4_PT2_iSD_SD_, .Lfunc_end1505-_Z39paged_attention_ll4mi_QKV_mfma16_kernelI14__hip_bfloat16hLN4vllm18Fp8KVCacheDataTypeE1ES0_Li32ELi64ELi256ELb0ELi4EL8MFMAType1EEvPKT_PKT0_S9_ifPKiSB_SB_iPKfiiiPfSE_PS4_PT2_iSD_SD_
                                        ; -- End function
	.section	.AMDGPU.csdata,"",@progbits
; Kernel info:
; codeLenInByte = 8612
; NumSgprs: 42
; NumVgprs: 124
; ScratchSize: 0
; MemoryBound: 0
; FloatMode: 240
; IeeeMode: 1
; LDSByteSize: 17472 bytes/workgroup (compile time only)
; SGPRBlocks: 5
; VGPRBlocks: 15
; NumSGPRsForWavesPerEU: 42
; NumVGPRsForWavesPerEU: 124
; Occupancy: 10
; WaveLimiterHint : 1
; COMPUTE_PGM_RSRC2:SCRATCH_EN: 0
; COMPUTE_PGM_RSRC2:USER_SGPR: 13
; COMPUTE_PGM_RSRC2:TRAP_HANDLER: 0
; COMPUTE_PGM_RSRC2:TGID_X_EN: 1
; COMPUTE_PGM_RSRC2:TGID_Y_EN: 1
; COMPUTE_PGM_RSRC2:TGID_Z_EN: 1
; COMPUTE_PGM_RSRC2:TIDIG_COMP_CNT: 0
	.section	.text._Z38paged_attention_ll4mi_QKV_mfma4_kernelI14__hip_bfloat16hLN4vllm18Fp8KVCacheDataTypeE1EhLi16ELi128ELi256ELb1ELi1EEvPKT_PKT0_S8_ifPKiSA_SA_iPKfiiiPfSD_PS3_PT2_iSC_SC_,"axG",@progbits,_Z38paged_attention_ll4mi_QKV_mfma4_kernelI14__hip_bfloat16hLN4vllm18Fp8KVCacheDataTypeE1EhLi16ELi128ELi256ELb1ELi1EEvPKT_PKT0_S8_ifPKiSA_SA_iPKfiiiPfSD_PS3_PT2_iSC_SC_,comdat
	.protected	_Z38paged_attention_ll4mi_QKV_mfma4_kernelI14__hip_bfloat16hLN4vllm18Fp8KVCacheDataTypeE1EhLi16ELi128ELi256ELb1ELi1EEvPKT_PKT0_S8_ifPKiSA_SA_iPKfiiiPfSD_PS3_PT2_iSC_SC_ ; -- Begin function _Z38paged_attention_ll4mi_QKV_mfma4_kernelI14__hip_bfloat16hLN4vllm18Fp8KVCacheDataTypeE1EhLi16ELi128ELi256ELb1ELi1EEvPKT_PKT0_S8_ifPKiSA_SA_iPKfiiiPfSD_PS3_PT2_iSC_SC_
	.globl	_Z38paged_attention_ll4mi_QKV_mfma4_kernelI14__hip_bfloat16hLN4vllm18Fp8KVCacheDataTypeE1EhLi16ELi128ELi256ELb1ELi1EEvPKT_PKT0_S8_ifPKiSA_SA_iPKfiiiPfSD_PS3_PT2_iSC_SC_
	.p2align	8
	.type	_Z38paged_attention_ll4mi_QKV_mfma4_kernelI14__hip_bfloat16hLN4vllm18Fp8KVCacheDataTypeE1EhLi16ELi128ELi256ELb1ELi1EEvPKT_PKT0_S8_ifPKiSA_SA_iPKfiiiPfSD_PS3_PT2_iSC_SC_,@function
_Z38paged_attention_ll4mi_QKV_mfma4_kernelI14__hip_bfloat16hLN4vllm18Fp8KVCacheDataTypeE1EhLi16ELi128ELi256ELb1ELi1EEvPKT_PKT0_S8_ifPKiSA_SA_iPKfiiiPfSD_PS3_PT2_iSC_SC_: ; @_Z38paged_attention_ll4mi_QKV_mfma4_kernelI14__hip_bfloat16hLN4vllm18Fp8KVCacheDataTypeE1EhLi16ELi128ELi256ELb1ELi1EEvPKT_PKT0_S8_ifPKiSA_SA_iPKfiiiPfSD_PS3_PT2_iSC_SC_
; %bb.0:
	s_add_u32 s8, s0, 0x90
	s_addc_u32 s9, s1, 0
	s_getpc_b64 s[0:1]
	s_add_u32 s0, s0, __PRETTY_FUNCTION__._Z38paged_attention_ll4mi_QKV_mfma4_kernelI14__hip_bfloat16hLN4vllm18Fp8KVCacheDataTypeE1EhLi16ELi128ELi256ELb1ELi1EEvPKT_PKT0_S8_ifPKiSA_SA_iPKfiiiPfSD_PS3_PT2_iSC_SC_@rel32@lo+4
	s_addc_u32 s1, s1, __PRETTY_FUNCTION__._Z38paged_attention_ll4mi_QKV_mfma4_kernelI14__hip_bfloat16hLN4vllm18Fp8KVCacheDataTypeE1EhLi16ELi128ELi256ELb1ELi1EEvPKT_PKT0_S8_ifPKiSA_SA_iPKfiiiPfSD_PS3_PT2_iSC_SC_@rel32@hi+12
	s_delay_alu instid0(SALU_CYCLE_1) | instskip(SKIP_4) | instid1(SALU_CYCLE_1)
	v_dual_mov_b32 v0, s0 :: v_dual_mov_b32 v1, s1
	s_mov_b32 s32, 0
	s_getpc_b64 s[2:3]
	s_add_u32 s2, s2, __assert_fail@rel32@lo+4
	s_addc_u32 s3, s3, __assert_fail@rel32@hi+12
	s_swappc_b64 s[30:31], s[2:3]
	.section	.rodata,"a",@progbits
	.p2align	6, 0x0
	.amdhsa_kernel _Z38paged_attention_ll4mi_QKV_mfma4_kernelI14__hip_bfloat16hLN4vllm18Fp8KVCacheDataTypeE1EhLi16ELi128ELi256ELb1ELi1EEvPKT_PKT0_S8_ifPKiSA_SA_iPKfiiiPfSD_PS3_PT2_iSC_SC_
		.amdhsa_group_segment_fixed_size 0
		.amdhsa_private_segment_fixed_size 64
		.amdhsa_kernarg_size 400
		.amdhsa_user_sgpr_count 15
		.amdhsa_user_sgpr_dispatch_ptr 0
		.amdhsa_user_sgpr_queue_ptr 0
		.amdhsa_user_sgpr_kernarg_segment_ptr 1
		.amdhsa_user_sgpr_dispatch_id 0
		.amdhsa_user_sgpr_private_segment_size 0
		.amdhsa_wavefront_size32 1
		.amdhsa_uses_dynamic_stack 0
		.amdhsa_enable_private_segment 1
		.amdhsa_system_sgpr_workgroup_id_x 1
		.amdhsa_system_sgpr_workgroup_id_y 0
		.amdhsa_system_sgpr_workgroup_id_z 0
		.amdhsa_system_sgpr_workgroup_info 0
		.amdhsa_system_vgpr_workitem_id 0
		.amdhsa_next_free_vgpr 41
		.amdhsa_next_free_sgpr 34
		.amdhsa_reserve_vcc 1
		.amdhsa_float_round_mode_32 0
		.amdhsa_float_round_mode_16_64 0
		.amdhsa_float_denorm_mode_32 3
		.amdhsa_float_denorm_mode_16_64 3
		.amdhsa_dx10_clamp 1
		.amdhsa_ieee_mode 1
		.amdhsa_fp16_overflow 0
		.amdhsa_workgroup_processor_mode 1
		.amdhsa_memory_ordered 1
		.amdhsa_forward_progress 0
		.amdhsa_shared_vgpr_count 0
		.amdhsa_exception_fp_ieee_invalid_op 0
		.amdhsa_exception_fp_denorm_src 0
		.amdhsa_exception_fp_ieee_div_zero 0
		.amdhsa_exception_fp_ieee_overflow 0
		.amdhsa_exception_fp_ieee_underflow 0
		.amdhsa_exception_fp_ieee_inexact 0
		.amdhsa_exception_int_div_zero 0
	.end_amdhsa_kernel
	.section	.text._Z38paged_attention_ll4mi_QKV_mfma4_kernelI14__hip_bfloat16hLN4vllm18Fp8KVCacheDataTypeE1EhLi16ELi128ELi256ELb1ELi1EEvPKT_PKT0_S8_ifPKiSA_SA_iPKfiiiPfSD_PS3_PT2_iSC_SC_,"axG",@progbits,_Z38paged_attention_ll4mi_QKV_mfma4_kernelI14__hip_bfloat16hLN4vllm18Fp8KVCacheDataTypeE1EhLi16ELi128ELi256ELb1ELi1EEvPKT_PKT0_S8_ifPKiSA_SA_iPKfiiiPfSD_PS3_PT2_iSC_SC_,comdat
.Lfunc_end1506:
	.size	_Z38paged_attention_ll4mi_QKV_mfma4_kernelI14__hip_bfloat16hLN4vllm18Fp8KVCacheDataTypeE1EhLi16ELi128ELi256ELb1ELi1EEvPKT_PKT0_S8_ifPKiSA_SA_iPKfiiiPfSD_PS3_PT2_iSC_SC_, .Lfunc_end1506-_Z38paged_attention_ll4mi_QKV_mfma4_kernelI14__hip_bfloat16hLN4vllm18Fp8KVCacheDataTypeE1EhLi16ELi128ELi256ELb1ELi1EEvPKT_PKT0_S8_ifPKiSA_SA_iPKfiiiPfSD_PS3_PT2_iSC_SC_
                                        ; -- End function
	.section	.AMDGPU.csdata,"",@progbits
; Kernel info:
; codeLenInByte = 72
; NumSgprs: 36
; NumVgprs: 41
; ScratchSize: 64
; MemoryBound: 0
; FloatMode: 240
; IeeeMode: 1
; LDSByteSize: 0 bytes/workgroup (compile time only)
; SGPRBlocks: 4
; VGPRBlocks: 5
; NumSGPRsForWavesPerEU: 36
; NumVGPRsForWavesPerEU: 41
; Occupancy: 16
; WaveLimiterHint : 1
; COMPUTE_PGM_RSRC2:SCRATCH_EN: 1
; COMPUTE_PGM_RSRC2:USER_SGPR: 15
; COMPUTE_PGM_RSRC2:TRAP_HANDLER: 0
; COMPUTE_PGM_RSRC2:TGID_X_EN: 1
; COMPUTE_PGM_RSRC2:TGID_Y_EN: 0
; COMPUTE_PGM_RSRC2:TGID_Z_EN: 0
; COMPUTE_PGM_RSRC2:TIDIG_COMP_CNT: 0
	.section	.text._Z38paged_attention_ll4mi_QKV_mfma4_kernelI14__hip_bfloat16hLN4vllm18Fp8KVCacheDataTypeE1EhLi16ELi128ELi256ELb1ELi2EEvPKT_PKT0_S8_ifPKiSA_SA_iPKfiiiPfSD_PS3_PT2_iSC_SC_,"axG",@progbits,_Z38paged_attention_ll4mi_QKV_mfma4_kernelI14__hip_bfloat16hLN4vllm18Fp8KVCacheDataTypeE1EhLi16ELi128ELi256ELb1ELi2EEvPKT_PKT0_S8_ifPKiSA_SA_iPKfiiiPfSD_PS3_PT2_iSC_SC_,comdat
	.protected	_Z38paged_attention_ll4mi_QKV_mfma4_kernelI14__hip_bfloat16hLN4vllm18Fp8KVCacheDataTypeE1EhLi16ELi128ELi256ELb1ELi2EEvPKT_PKT0_S8_ifPKiSA_SA_iPKfiiiPfSD_PS3_PT2_iSC_SC_ ; -- Begin function _Z38paged_attention_ll4mi_QKV_mfma4_kernelI14__hip_bfloat16hLN4vllm18Fp8KVCacheDataTypeE1EhLi16ELi128ELi256ELb1ELi2EEvPKT_PKT0_S8_ifPKiSA_SA_iPKfiiiPfSD_PS3_PT2_iSC_SC_
	.globl	_Z38paged_attention_ll4mi_QKV_mfma4_kernelI14__hip_bfloat16hLN4vllm18Fp8KVCacheDataTypeE1EhLi16ELi128ELi256ELb1ELi2EEvPKT_PKT0_S8_ifPKiSA_SA_iPKfiiiPfSD_PS3_PT2_iSC_SC_
	.p2align	8
	.type	_Z38paged_attention_ll4mi_QKV_mfma4_kernelI14__hip_bfloat16hLN4vllm18Fp8KVCacheDataTypeE1EhLi16ELi128ELi256ELb1ELi2EEvPKT_PKT0_S8_ifPKiSA_SA_iPKfiiiPfSD_PS3_PT2_iSC_SC_,@function
_Z38paged_attention_ll4mi_QKV_mfma4_kernelI14__hip_bfloat16hLN4vllm18Fp8KVCacheDataTypeE1EhLi16ELi128ELi256ELb1ELi2EEvPKT_PKT0_S8_ifPKiSA_SA_iPKfiiiPfSD_PS3_PT2_iSC_SC_: ; @_Z38paged_attention_ll4mi_QKV_mfma4_kernelI14__hip_bfloat16hLN4vllm18Fp8KVCacheDataTypeE1EhLi16ELi128ELi256ELb1ELi2EEvPKT_PKT0_S8_ifPKiSA_SA_iPKfiiiPfSD_PS3_PT2_iSC_SC_
; %bb.0:
	s_add_u32 s8, s0, 0x90
	s_addc_u32 s9, s1, 0
	s_getpc_b64 s[0:1]
	s_add_u32 s0, s0, __PRETTY_FUNCTION__._Z38paged_attention_ll4mi_QKV_mfma4_kernelI14__hip_bfloat16hLN4vllm18Fp8KVCacheDataTypeE1EhLi16ELi128ELi256ELb1ELi2EEvPKT_PKT0_S8_ifPKiSA_SA_iPKfiiiPfSD_PS3_PT2_iSC_SC_@rel32@lo+4
	s_addc_u32 s1, s1, __PRETTY_FUNCTION__._Z38paged_attention_ll4mi_QKV_mfma4_kernelI14__hip_bfloat16hLN4vllm18Fp8KVCacheDataTypeE1EhLi16ELi128ELi256ELb1ELi2EEvPKT_PKT0_S8_ifPKiSA_SA_iPKfiiiPfSD_PS3_PT2_iSC_SC_@rel32@hi+12
	s_delay_alu instid0(SALU_CYCLE_1) | instskip(SKIP_4) | instid1(SALU_CYCLE_1)
	v_dual_mov_b32 v0, s0 :: v_dual_mov_b32 v1, s1
	s_mov_b32 s32, 0
	s_getpc_b64 s[2:3]
	s_add_u32 s2, s2, __assert_fail@rel32@lo+4
	s_addc_u32 s3, s3, __assert_fail@rel32@hi+12
	s_swappc_b64 s[30:31], s[2:3]
	.section	.rodata,"a",@progbits
	.p2align	6, 0x0
	.amdhsa_kernel _Z38paged_attention_ll4mi_QKV_mfma4_kernelI14__hip_bfloat16hLN4vllm18Fp8KVCacheDataTypeE1EhLi16ELi128ELi256ELb1ELi2EEvPKT_PKT0_S8_ifPKiSA_SA_iPKfiiiPfSD_PS3_PT2_iSC_SC_
		.amdhsa_group_segment_fixed_size 0
		.amdhsa_private_segment_fixed_size 64
		.amdhsa_kernarg_size 400
		.amdhsa_user_sgpr_count 15
		.amdhsa_user_sgpr_dispatch_ptr 0
		.amdhsa_user_sgpr_queue_ptr 0
		.amdhsa_user_sgpr_kernarg_segment_ptr 1
		.amdhsa_user_sgpr_dispatch_id 0
		.amdhsa_user_sgpr_private_segment_size 0
		.amdhsa_wavefront_size32 1
		.amdhsa_uses_dynamic_stack 0
		.amdhsa_enable_private_segment 1
		.amdhsa_system_sgpr_workgroup_id_x 1
		.amdhsa_system_sgpr_workgroup_id_y 0
		.amdhsa_system_sgpr_workgroup_id_z 0
		.amdhsa_system_sgpr_workgroup_info 0
		.amdhsa_system_vgpr_workitem_id 0
		.amdhsa_next_free_vgpr 41
		.amdhsa_next_free_sgpr 34
		.amdhsa_reserve_vcc 1
		.amdhsa_float_round_mode_32 0
		.amdhsa_float_round_mode_16_64 0
		.amdhsa_float_denorm_mode_32 3
		.amdhsa_float_denorm_mode_16_64 3
		.amdhsa_dx10_clamp 1
		.amdhsa_ieee_mode 1
		.amdhsa_fp16_overflow 0
		.amdhsa_workgroup_processor_mode 1
		.amdhsa_memory_ordered 1
		.amdhsa_forward_progress 0
		.amdhsa_shared_vgpr_count 0
		.amdhsa_exception_fp_ieee_invalid_op 0
		.amdhsa_exception_fp_denorm_src 0
		.amdhsa_exception_fp_ieee_div_zero 0
		.amdhsa_exception_fp_ieee_overflow 0
		.amdhsa_exception_fp_ieee_underflow 0
		.amdhsa_exception_fp_ieee_inexact 0
		.amdhsa_exception_int_div_zero 0
	.end_amdhsa_kernel
	.section	.text._Z38paged_attention_ll4mi_QKV_mfma4_kernelI14__hip_bfloat16hLN4vllm18Fp8KVCacheDataTypeE1EhLi16ELi128ELi256ELb1ELi2EEvPKT_PKT0_S8_ifPKiSA_SA_iPKfiiiPfSD_PS3_PT2_iSC_SC_,"axG",@progbits,_Z38paged_attention_ll4mi_QKV_mfma4_kernelI14__hip_bfloat16hLN4vllm18Fp8KVCacheDataTypeE1EhLi16ELi128ELi256ELb1ELi2EEvPKT_PKT0_S8_ifPKiSA_SA_iPKfiiiPfSD_PS3_PT2_iSC_SC_,comdat
.Lfunc_end1507:
	.size	_Z38paged_attention_ll4mi_QKV_mfma4_kernelI14__hip_bfloat16hLN4vllm18Fp8KVCacheDataTypeE1EhLi16ELi128ELi256ELb1ELi2EEvPKT_PKT0_S8_ifPKiSA_SA_iPKfiiiPfSD_PS3_PT2_iSC_SC_, .Lfunc_end1507-_Z38paged_attention_ll4mi_QKV_mfma4_kernelI14__hip_bfloat16hLN4vllm18Fp8KVCacheDataTypeE1EhLi16ELi128ELi256ELb1ELi2EEvPKT_PKT0_S8_ifPKiSA_SA_iPKfiiiPfSD_PS3_PT2_iSC_SC_
                                        ; -- End function
	.section	.AMDGPU.csdata,"",@progbits
; Kernel info:
; codeLenInByte = 72
; NumSgprs: 36
; NumVgprs: 41
; ScratchSize: 64
; MemoryBound: 0
; FloatMode: 240
; IeeeMode: 1
; LDSByteSize: 0 bytes/workgroup (compile time only)
; SGPRBlocks: 4
; VGPRBlocks: 5
; NumSGPRsForWavesPerEU: 36
; NumVGPRsForWavesPerEU: 41
; Occupancy: 16
; WaveLimiterHint : 1
; COMPUTE_PGM_RSRC2:SCRATCH_EN: 1
; COMPUTE_PGM_RSRC2:USER_SGPR: 15
; COMPUTE_PGM_RSRC2:TRAP_HANDLER: 0
; COMPUTE_PGM_RSRC2:TGID_X_EN: 1
; COMPUTE_PGM_RSRC2:TGID_Y_EN: 0
; COMPUTE_PGM_RSRC2:TGID_Z_EN: 0
; COMPUTE_PGM_RSRC2:TIDIG_COMP_CNT: 0
	.section	.text._Z38paged_attention_ll4mi_QKV_mfma4_kernelI14__hip_bfloat16hLN4vllm18Fp8KVCacheDataTypeE1EhLi16ELi128ELi256ELb1ELi3EEvPKT_PKT0_S8_ifPKiSA_SA_iPKfiiiPfSD_PS3_PT2_iSC_SC_,"axG",@progbits,_Z38paged_attention_ll4mi_QKV_mfma4_kernelI14__hip_bfloat16hLN4vllm18Fp8KVCacheDataTypeE1EhLi16ELi128ELi256ELb1ELi3EEvPKT_PKT0_S8_ifPKiSA_SA_iPKfiiiPfSD_PS3_PT2_iSC_SC_,comdat
	.protected	_Z38paged_attention_ll4mi_QKV_mfma4_kernelI14__hip_bfloat16hLN4vllm18Fp8KVCacheDataTypeE1EhLi16ELi128ELi256ELb1ELi3EEvPKT_PKT0_S8_ifPKiSA_SA_iPKfiiiPfSD_PS3_PT2_iSC_SC_ ; -- Begin function _Z38paged_attention_ll4mi_QKV_mfma4_kernelI14__hip_bfloat16hLN4vllm18Fp8KVCacheDataTypeE1EhLi16ELi128ELi256ELb1ELi3EEvPKT_PKT0_S8_ifPKiSA_SA_iPKfiiiPfSD_PS3_PT2_iSC_SC_
	.globl	_Z38paged_attention_ll4mi_QKV_mfma4_kernelI14__hip_bfloat16hLN4vllm18Fp8KVCacheDataTypeE1EhLi16ELi128ELi256ELb1ELi3EEvPKT_PKT0_S8_ifPKiSA_SA_iPKfiiiPfSD_PS3_PT2_iSC_SC_
	.p2align	8
	.type	_Z38paged_attention_ll4mi_QKV_mfma4_kernelI14__hip_bfloat16hLN4vllm18Fp8KVCacheDataTypeE1EhLi16ELi128ELi256ELb1ELi3EEvPKT_PKT0_S8_ifPKiSA_SA_iPKfiiiPfSD_PS3_PT2_iSC_SC_,@function
_Z38paged_attention_ll4mi_QKV_mfma4_kernelI14__hip_bfloat16hLN4vllm18Fp8KVCacheDataTypeE1EhLi16ELi128ELi256ELb1ELi3EEvPKT_PKT0_S8_ifPKiSA_SA_iPKfiiiPfSD_PS3_PT2_iSC_SC_: ; @_Z38paged_attention_ll4mi_QKV_mfma4_kernelI14__hip_bfloat16hLN4vllm18Fp8KVCacheDataTypeE1EhLi16ELi128ELi256ELb1ELi3EEvPKT_PKT0_S8_ifPKiSA_SA_iPKfiiiPfSD_PS3_PT2_iSC_SC_
; %bb.0:
	s_add_u32 s8, s0, 0x90
	s_addc_u32 s9, s1, 0
	s_getpc_b64 s[0:1]
	s_add_u32 s0, s0, __PRETTY_FUNCTION__._Z38paged_attention_ll4mi_QKV_mfma4_kernelI14__hip_bfloat16hLN4vllm18Fp8KVCacheDataTypeE1EhLi16ELi128ELi256ELb1ELi3EEvPKT_PKT0_S8_ifPKiSA_SA_iPKfiiiPfSD_PS3_PT2_iSC_SC_@rel32@lo+4
	s_addc_u32 s1, s1, __PRETTY_FUNCTION__._Z38paged_attention_ll4mi_QKV_mfma4_kernelI14__hip_bfloat16hLN4vllm18Fp8KVCacheDataTypeE1EhLi16ELi128ELi256ELb1ELi3EEvPKT_PKT0_S8_ifPKiSA_SA_iPKfiiiPfSD_PS3_PT2_iSC_SC_@rel32@hi+12
	s_delay_alu instid0(SALU_CYCLE_1) | instskip(SKIP_4) | instid1(SALU_CYCLE_1)
	v_dual_mov_b32 v0, s0 :: v_dual_mov_b32 v1, s1
	s_mov_b32 s32, 0
	s_getpc_b64 s[2:3]
	s_add_u32 s2, s2, __assert_fail@rel32@lo+4
	s_addc_u32 s3, s3, __assert_fail@rel32@hi+12
	s_swappc_b64 s[30:31], s[2:3]
	.section	.rodata,"a",@progbits
	.p2align	6, 0x0
	.amdhsa_kernel _Z38paged_attention_ll4mi_QKV_mfma4_kernelI14__hip_bfloat16hLN4vllm18Fp8KVCacheDataTypeE1EhLi16ELi128ELi256ELb1ELi3EEvPKT_PKT0_S8_ifPKiSA_SA_iPKfiiiPfSD_PS3_PT2_iSC_SC_
		.amdhsa_group_segment_fixed_size 0
		.amdhsa_private_segment_fixed_size 64
		.amdhsa_kernarg_size 400
		.amdhsa_user_sgpr_count 15
		.amdhsa_user_sgpr_dispatch_ptr 0
		.amdhsa_user_sgpr_queue_ptr 0
		.amdhsa_user_sgpr_kernarg_segment_ptr 1
		.amdhsa_user_sgpr_dispatch_id 0
		.amdhsa_user_sgpr_private_segment_size 0
		.amdhsa_wavefront_size32 1
		.amdhsa_uses_dynamic_stack 0
		.amdhsa_enable_private_segment 1
		.amdhsa_system_sgpr_workgroup_id_x 1
		.amdhsa_system_sgpr_workgroup_id_y 0
		.amdhsa_system_sgpr_workgroup_id_z 0
		.amdhsa_system_sgpr_workgroup_info 0
		.amdhsa_system_vgpr_workitem_id 0
		.amdhsa_next_free_vgpr 41
		.amdhsa_next_free_sgpr 34
		.amdhsa_reserve_vcc 1
		.amdhsa_float_round_mode_32 0
		.amdhsa_float_round_mode_16_64 0
		.amdhsa_float_denorm_mode_32 3
		.amdhsa_float_denorm_mode_16_64 3
		.amdhsa_dx10_clamp 1
		.amdhsa_ieee_mode 1
		.amdhsa_fp16_overflow 0
		.amdhsa_workgroup_processor_mode 1
		.amdhsa_memory_ordered 1
		.amdhsa_forward_progress 0
		.amdhsa_shared_vgpr_count 0
		.amdhsa_exception_fp_ieee_invalid_op 0
		.amdhsa_exception_fp_denorm_src 0
		.amdhsa_exception_fp_ieee_div_zero 0
		.amdhsa_exception_fp_ieee_overflow 0
		.amdhsa_exception_fp_ieee_underflow 0
		.amdhsa_exception_fp_ieee_inexact 0
		.amdhsa_exception_int_div_zero 0
	.end_amdhsa_kernel
	.section	.text._Z38paged_attention_ll4mi_QKV_mfma4_kernelI14__hip_bfloat16hLN4vllm18Fp8KVCacheDataTypeE1EhLi16ELi128ELi256ELb1ELi3EEvPKT_PKT0_S8_ifPKiSA_SA_iPKfiiiPfSD_PS3_PT2_iSC_SC_,"axG",@progbits,_Z38paged_attention_ll4mi_QKV_mfma4_kernelI14__hip_bfloat16hLN4vllm18Fp8KVCacheDataTypeE1EhLi16ELi128ELi256ELb1ELi3EEvPKT_PKT0_S8_ifPKiSA_SA_iPKfiiiPfSD_PS3_PT2_iSC_SC_,comdat
.Lfunc_end1508:
	.size	_Z38paged_attention_ll4mi_QKV_mfma4_kernelI14__hip_bfloat16hLN4vllm18Fp8KVCacheDataTypeE1EhLi16ELi128ELi256ELb1ELi3EEvPKT_PKT0_S8_ifPKiSA_SA_iPKfiiiPfSD_PS3_PT2_iSC_SC_, .Lfunc_end1508-_Z38paged_attention_ll4mi_QKV_mfma4_kernelI14__hip_bfloat16hLN4vllm18Fp8KVCacheDataTypeE1EhLi16ELi128ELi256ELb1ELi3EEvPKT_PKT0_S8_ifPKiSA_SA_iPKfiiiPfSD_PS3_PT2_iSC_SC_
                                        ; -- End function
	.section	.AMDGPU.csdata,"",@progbits
; Kernel info:
; codeLenInByte = 72
; NumSgprs: 36
; NumVgprs: 41
; ScratchSize: 64
; MemoryBound: 0
; FloatMode: 240
; IeeeMode: 1
; LDSByteSize: 0 bytes/workgroup (compile time only)
; SGPRBlocks: 4
; VGPRBlocks: 5
; NumSGPRsForWavesPerEU: 36
; NumVGPRsForWavesPerEU: 41
; Occupancy: 16
; WaveLimiterHint : 1
; COMPUTE_PGM_RSRC2:SCRATCH_EN: 1
; COMPUTE_PGM_RSRC2:USER_SGPR: 15
; COMPUTE_PGM_RSRC2:TRAP_HANDLER: 0
; COMPUTE_PGM_RSRC2:TGID_X_EN: 1
; COMPUTE_PGM_RSRC2:TGID_Y_EN: 0
; COMPUTE_PGM_RSRC2:TGID_Z_EN: 0
; COMPUTE_PGM_RSRC2:TIDIG_COMP_CNT: 0
	.section	.text._Z38paged_attention_ll4mi_QKV_mfma4_kernelI14__hip_bfloat16hLN4vllm18Fp8KVCacheDataTypeE1EhLi16ELi128ELi256ELb1ELi4EEvPKT_PKT0_S8_ifPKiSA_SA_iPKfiiiPfSD_PS3_PT2_iSC_SC_,"axG",@progbits,_Z38paged_attention_ll4mi_QKV_mfma4_kernelI14__hip_bfloat16hLN4vllm18Fp8KVCacheDataTypeE1EhLi16ELi128ELi256ELb1ELi4EEvPKT_PKT0_S8_ifPKiSA_SA_iPKfiiiPfSD_PS3_PT2_iSC_SC_,comdat
	.protected	_Z38paged_attention_ll4mi_QKV_mfma4_kernelI14__hip_bfloat16hLN4vllm18Fp8KVCacheDataTypeE1EhLi16ELi128ELi256ELb1ELi4EEvPKT_PKT0_S8_ifPKiSA_SA_iPKfiiiPfSD_PS3_PT2_iSC_SC_ ; -- Begin function _Z38paged_attention_ll4mi_QKV_mfma4_kernelI14__hip_bfloat16hLN4vllm18Fp8KVCacheDataTypeE1EhLi16ELi128ELi256ELb1ELi4EEvPKT_PKT0_S8_ifPKiSA_SA_iPKfiiiPfSD_PS3_PT2_iSC_SC_
	.globl	_Z38paged_attention_ll4mi_QKV_mfma4_kernelI14__hip_bfloat16hLN4vllm18Fp8KVCacheDataTypeE1EhLi16ELi128ELi256ELb1ELi4EEvPKT_PKT0_S8_ifPKiSA_SA_iPKfiiiPfSD_PS3_PT2_iSC_SC_
	.p2align	8
	.type	_Z38paged_attention_ll4mi_QKV_mfma4_kernelI14__hip_bfloat16hLN4vllm18Fp8KVCacheDataTypeE1EhLi16ELi128ELi256ELb1ELi4EEvPKT_PKT0_S8_ifPKiSA_SA_iPKfiiiPfSD_PS3_PT2_iSC_SC_,@function
_Z38paged_attention_ll4mi_QKV_mfma4_kernelI14__hip_bfloat16hLN4vllm18Fp8KVCacheDataTypeE1EhLi16ELi128ELi256ELb1ELi4EEvPKT_PKT0_S8_ifPKiSA_SA_iPKfiiiPfSD_PS3_PT2_iSC_SC_: ; @_Z38paged_attention_ll4mi_QKV_mfma4_kernelI14__hip_bfloat16hLN4vllm18Fp8KVCacheDataTypeE1EhLi16ELi128ELi256ELb1ELi4EEvPKT_PKT0_S8_ifPKiSA_SA_iPKfiiiPfSD_PS3_PT2_iSC_SC_
; %bb.0:
	s_add_u32 s8, s0, 0x90
	s_addc_u32 s9, s1, 0
	s_getpc_b64 s[0:1]
	s_add_u32 s0, s0, __PRETTY_FUNCTION__._Z38paged_attention_ll4mi_QKV_mfma4_kernelI14__hip_bfloat16hLN4vllm18Fp8KVCacheDataTypeE1EhLi16ELi128ELi256ELb1ELi4EEvPKT_PKT0_S8_ifPKiSA_SA_iPKfiiiPfSD_PS3_PT2_iSC_SC_@rel32@lo+4
	s_addc_u32 s1, s1, __PRETTY_FUNCTION__._Z38paged_attention_ll4mi_QKV_mfma4_kernelI14__hip_bfloat16hLN4vllm18Fp8KVCacheDataTypeE1EhLi16ELi128ELi256ELb1ELi4EEvPKT_PKT0_S8_ifPKiSA_SA_iPKfiiiPfSD_PS3_PT2_iSC_SC_@rel32@hi+12
	s_delay_alu instid0(SALU_CYCLE_1) | instskip(SKIP_4) | instid1(SALU_CYCLE_1)
	v_dual_mov_b32 v0, s0 :: v_dual_mov_b32 v1, s1
	s_mov_b32 s32, 0
	s_getpc_b64 s[2:3]
	s_add_u32 s2, s2, __assert_fail@rel32@lo+4
	s_addc_u32 s3, s3, __assert_fail@rel32@hi+12
	s_swappc_b64 s[30:31], s[2:3]
	.section	.rodata,"a",@progbits
	.p2align	6, 0x0
	.amdhsa_kernel _Z38paged_attention_ll4mi_QKV_mfma4_kernelI14__hip_bfloat16hLN4vllm18Fp8KVCacheDataTypeE1EhLi16ELi128ELi256ELb1ELi4EEvPKT_PKT0_S8_ifPKiSA_SA_iPKfiiiPfSD_PS3_PT2_iSC_SC_
		.amdhsa_group_segment_fixed_size 0
		.amdhsa_private_segment_fixed_size 64
		.amdhsa_kernarg_size 400
		.amdhsa_user_sgpr_count 15
		.amdhsa_user_sgpr_dispatch_ptr 0
		.amdhsa_user_sgpr_queue_ptr 0
		.amdhsa_user_sgpr_kernarg_segment_ptr 1
		.amdhsa_user_sgpr_dispatch_id 0
		.amdhsa_user_sgpr_private_segment_size 0
		.amdhsa_wavefront_size32 1
		.amdhsa_uses_dynamic_stack 0
		.amdhsa_enable_private_segment 1
		.amdhsa_system_sgpr_workgroup_id_x 1
		.amdhsa_system_sgpr_workgroup_id_y 0
		.amdhsa_system_sgpr_workgroup_id_z 0
		.amdhsa_system_sgpr_workgroup_info 0
		.amdhsa_system_vgpr_workitem_id 0
		.amdhsa_next_free_vgpr 41
		.amdhsa_next_free_sgpr 34
		.amdhsa_reserve_vcc 1
		.amdhsa_float_round_mode_32 0
		.amdhsa_float_round_mode_16_64 0
		.amdhsa_float_denorm_mode_32 3
		.amdhsa_float_denorm_mode_16_64 3
		.amdhsa_dx10_clamp 1
		.amdhsa_ieee_mode 1
		.amdhsa_fp16_overflow 0
		.amdhsa_workgroup_processor_mode 1
		.amdhsa_memory_ordered 1
		.amdhsa_forward_progress 0
		.amdhsa_shared_vgpr_count 0
		.amdhsa_exception_fp_ieee_invalid_op 0
		.amdhsa_exception_fp_denorm_src 0
		.amdhsa_exception_fp_ieee_div_zero 0
		.amdhsa_exception_fp_ieee_overflow 0
		.amdhsa_exception_fp_ieee_underflow 0
		.amdhsa_exception_fp_ieee_inexact 0
		.amdhsa_exception_int_div_zero 0
	.end_amdhsa_kernel
	.section	.text._Z38paged_attention_ll4mi_QKV_mfma4_kernelI14__hip_bfloat16hLN4vllm18Fp8KVCacheDataTypeE1EhLi16ELi128ELi256ELb1ELi4EEvPKT_PKT0_S8_ifPKiSA_SA_iPKfiiiPfSD_PS3_PT2_iSC_SC_,"axG",@progbits,_Z38paged_attention_ll4mi_QKV_mfma4_kernelI14__hip_bfloat16hLN4vllm18Fp8KVCacheDataTypeE1EhLi16ELi128ELi256ELb1ELi4EEvPKT_PKT0_S8_ifPKiSA_SA_iPKfiiiPfSD_PS3_PT2_iSC_SC_,comdat
.Lfunc_end1509:
	.size	_Z38paged_attention_ll4mi_QKV_mfma4_kernelI14__hip_bfloat16hLN4vllm18Fp8KVCacheDataTypeE1EhLi16ELi128ELi256ELb1ELi4EEvPKT_PKT0_S8_ifPKiSA_SA_iPKfiiiPfSD_PS3_PT2_iSC_SC_, .Lfunc_end1509-_Z38paged_attention_ll4mi_QKV_mfma4_kernelI14__hip_bfloat16hLN4vllm18Fp8KVCacheDataTypeE1EhLi16ELi128ELi256ELb1ELi4EEvPKT_PKT0_S8_ifPKiSA_SA_iPKfiiiPfSD_PS3_PT2_iSC_SC_
                                        ; -- End function
	.section	.AMDGPU.csdata,"",@progbits
; Kernel info:
; codeLenInByte = 72
; NumSgprs: 36
; NumVgprs: 41
; ScratchSize: 64
; MemoryBound: 0
; FloatMode: 240
; IeeeMode: 1
; LDSByteSize: 0 bytes/workgroup (compile time only)
; SGPRBlocks: 4
; VGPRBlocks: 5
; NumSGPRsForWavesPerEU: 36
; NumVGPRsForWavesPerEU: 41
; Occupancy: 16
; WaveLimiterHint : 1
; COMPUTE_PGM_RSRC2:SCRATCH_EN: 1
; COMPUTE_PGM_RSRC2:USER_SGPR: 15
; COMPUTE_PGM_RSRC2:TRAP_HANDLER: 0
; COMPUTE_PGM_RSRC2:TGID_X_EN: 1
; COMPUTE_PGM_RSRC2:TGID_Y_EN: 0
; COMPUTE_PGM_RSRC2:TGID_Z_EN: 0
; COMPUTE_PGM_RSRC2:TIDIG_COMP_CNT: 0
	.section	.text._Z39paged_attention_ll4mi_QKV_mfma16_kernelI14__hip_bfloat16hLN4vllm18Fp8KVCacheDataTypeE1EhLi16ELi128ELi256ELb1ELi5EL8MFMAType1EEvPKT_PKT0_S9_ifPKiSB_SB_iPKfiiiPfSE_PS4_PT2_iSD_SD_,"axG",@progbits,_Z39paged_attention_ll4mi_QKV_mfma16_kernelI14__hip_bfloat16hLN4vllm18Fp8KVCacheDataTypeE1EhLi16ELi128ELi256ELb1ELi5EL8MFMAType1EEvPKT_PKT0_S9_ifPKiSB_SB_iPKfiiiPfSE_PS4_PT2_iSD_SD_,comdat
	.protected	_Z39paged_attention_ll4mi_QKV_mfma16_kernelI14__hip_bfloat16hLN4vllm18Fp8KVCacheDataTypeE1EhLi16ELi128ELi256ELb1ELi5EL8MFMAType1EEvPKT_PKT0_S9_ifPKiSB_SB_iPKfiiiPfSE_PS4_PT2_iSD_SD_ ; -- Begin function _Z39paged_attention_ll4mi_QKV_mfma16_kernelI14__hip_bfloat16hLN4vllm18Fp8KVCacheDataTypeE1EhLi16ELi128ELi256ELb1ELi5EL8MFMAType1EEvPKT_PKT0_S9_ifPKiSB_SB_iPKfiiiPfSE_PS4_PT2_iSD_SD_
	.globl	_Z39paged_attention_ll4mi_QKV_mfma16_kernelI14__hip_bfloat16hLN4vllm18Fp8KVCacheDataTypeE1EhLi16ELi128ELi256ELb1ELi5EL8MFMAType1EEvPKT_PKT0_S9_ifPKiSB_SB_iPKfiiiPfSE_PS4_PT2_iSD_SD_
	.p2align	8
	.type	_Z39paged_attention_ll4mi_QKV_mfma16_kernelI14__hip_bfloat16hLN4vllm18Fp8KVCacheDataTypeE1EhLi16ELi128ELi256ELb1ELi5EL8MFMAType1EEvPKT_PKT0_S9_ifPKiSB_SB_iPKfiiiPfSE_PS4_PT2_iSD_SD_,@function
_Z39paged_attention_ll4mi_QKV_mfma16_kernelI14__hip_bfloat16hLN4vllm18Fp8KVCacheDataTypeE1EhLi16ELi128ELi256ELb1ELi5EL8MFMAType1EEvPKT_PKT0_S9_ifPKiSB_SB_iPKfiiiPfSE_PS4_PT2_iSD_SD_: ; @_Z39paged_attention_ll4mi_QKV_mfma16_kernelI14__hip_bfloat16hLN4vllm18Fp8KVCacheDataTypeE1EhLi16ELi128ELi256ELb1ELi5EL8MFMAType1EEvPKT_PKT0_S9_ifPKiSB_SB_iPKfiiiPfSE_PS4_PT2_iSD_SD_
; %bb.0:
	s_load_b64 s[4:5], s[0:1], 0x30
	s_mov_b32 s30, s13
	s_waitcnt lgkmcnt(0)
	s_cmp_lg_u64 s[4:5], 0
	s_cselect_b32 s13, -1, 0
	s_ashr_i32 s31, s30, 31
	s_cmp_eq_u64 s[4:5], 0
	s_cbranch_scc1 .LBB1510_3
; %bb.1:
	s_lshl_b64 s[2:3], s[30:31], 2
	s_delay_alu instid0(SALU_CYCLE_1) | instskip(SKIP_4) | instid1(SALU_CYCLE_1)
	s_add_u32 s2, s4, s2
	s_addc_u32 s3, s5, s3
	s_load_b64 s[2:3], s[2:3], 0x0
	s_waitcnt lgkmcnt(0)
	s_sub_i32 s2, s3, s2
	s_cmp_eq_u32 s2, 1
	s_cselect_b32 s2, -1, 0
	s_delay_alu instid0(SALU_CYCLE_1)
	s_and_not1_b32 vcc_lo, exec_lo, s2
	s_cbranch_vccz .LBB1510_4
.LBB1510_2:
	s_nop 0
	s_sendmsg sendmsg(MSG_DEALLOC_VGPRS)
	s_endpgm
.LBB1510_3:
.LBB1510_4:
	s_load_b64 s[2:3], s[0:1], 0x28
	s_lshl_b64 s[6:7], s[30:31], 2
	s_waitcnt lgkmcnt(0)
	s_add_u32 s2, s2, s6
	s_addc_u32 s3, s3, s7
	s_lshl_b32 s12, s14, 8
	s_load_b32 s17, s[2:3], 0x0
	s_waitcnt lgkmcnt(0)
	s_cmp_ge_i32 s12, s17
	s_cbranch_scc1 .LBB1510_2
; %bb.5:
	s_clause 0x1
	s_load_b128 s[8:11], s[0:1], 0x8
	s_load_b64 s[2:3], s[0:1], 0x20
	s_and_not1_b32 vcc_lo, exec_lo, s13
	s_cbranch_vccnz .LBB1510_7
; %bb.6:
	s_add_u32 s4, s4, s6
	s_addc_u32 s5, s5, s7
	s_load_b32 s13, s[4:5], 0x0
	s_branch .LBB1510_8
.LBB1510_7:
	s_mov_b32 s13, s30
.LBB1510_8:
	s_load_b128 s[4:7], s[0:1], 0x48
	v_and_b32_e32 v65, 15, v0
	v_lshrrev_b32_e32 v66, 5, v0
	v_bfe_u32 v74, v0, 4, 1
	v_and_b32_e32 v67, 31, v0
	v_and_b32_e32 v75, 1, v0
	v_lshlrev_b32_e32 v2, 3, v65
	s_mul_i32 s31, s15, 5
	v_lshl_or_b32 v1, v66, 1, v74
	s_waitcnt lgkmcnt(0)
	s_mov_b32 s7, exec_lo
	v_lshlrev_b32_e32 v73, 1, v2
	s_delay_alu instid0(VALU_DEP_2)
	v_cmpx_gt_u32_e32 5, v1
	s_cbranch_execz .LBB1510_10
; %bb.9:
	s_load_b64 s[18:19], s[0:1], 0x0
	v_add_lshl_u32 v2, v1, s31, 7
	s_mul_hi_i32 s21, s13, s4
	s_mul_i32 s20, s13, s4
	v_lshlrev_b32_e32 v6, 10, v65
	s_lshl_b64 s[20:21], s[20:21], 1
	v_ashrrev_i32_e32 v3, 31, v2
	v_lshlrev_b32_e32 v1, 6, v1
	v_lshlrev_b32_e32 v7, 10, v75
	v_and_b32_e32 v6, 0x3800, v6
	s_delay_alu instid0(VALU_DEP_4) | instskip(NEXT) | instid1(VALU_DEP_2)
	v_lshlrev_b64 v[2:3], 1, v[2:3]
	v_or3_b32 v1, v6, v7, v1
	s_waitcnt lgkmcnt(0)
	s_add_u32 s4, s18, s20
	s_addc_u32 s13, s19, s21
	s_delay_alu instid0(VALU_DEP_2) | instskip(SKIP_1) | instid1(VALU_DEP_2)
	v_add_co_u32 v2, vcc_lo, s4, v2
	v_add_co_ci_u32_e32 v3, vcc_lo, s13, v3, vcc_lo
	v_add_co_u32 v2, vcc_lo, v2, v73
	s_delay_alu instid0(VALU_DEP_2)
	v_add_co_ci_u32_e32 v3, vcc_lo, 0, v3, vcc_lo
	global_load_b128 v[2:5], v[2:3], off
	s_waitcnt vmcnt(0)
	ds_store_b128 v1, v[2:5]
.LBB1510_10:
	s_or_b32 exec_lo, exec_lo, s7
	v_and_b32_e32 v1, 0xef, v0
	s_add_i32 s4, s17, 15
	s_clause 0x1
	s_load_b32 s7, s[0:1], 0x38
	s_load_b32 s18, s[0:1], 0x1c
	s_ashr_i32 s13, s4, 31
	v_add_nc_u32_e32 v2, s12, v1
	s_lshr_b32 s13, s13, 28
	s_waitcnt lgkmcnt(0)
	s_add_i32 s4, s4, s13
	s_barrier
	v_ashrrev_i32_e32 v1, 31, v2
	s_ashr_i32 s4, s4, 4
	v_cmp_gt_i32_e32 vcc_lo, s17, v2
	s_add_i32 s4, s4, -1
	buffer_gl0_inv
	v_lshrrev_b32_e32 v3, 28, v1
	v_or_b32_e32 v1, 16, v2
	s_mul_i32 s15, s15, s6
	s_delay_alu instid0(VALU_DEP_2) | instskip(SKIP_1) | instid1(SALU_CYCLE_1)
	v_add_nc_u32_e32 v4, v2, v3
	s_mul_i32 s20, s30, s7
	s_ashr_i32 s21, s20, 31
	s_delay_alu instid0(VALU_DEP_1) | instskip(SKIP_2) | instid1(SALU_CYCLE_1)
	v_ashrrev_i32_e32 v4, 4, v4
	v_add_nc_u32_e32 v3, v1, v3
	s_lshl_b64 s[20:21], s[20:21], 2
	s_add_u32 s2, s2, s20
	s_delay_alu instid0(VALU_DEP_2) | instskip(NEXT) | instid1(VALU_DEP_2)
	v_cndmask_b32_e32 v2, s4, v4, vcc_lo
	v_ashrrev_i32_e32 v3, 4, v3
	v_cmp_gt_i32_e32 vcc_lo, s17, v1
	s_addc_u32 s3, s3, s21
	s_ashr_i32 s6, s15, 31
	s_add_u32 s7, s8, s15
	s_addc_u32 s13, s9, s6
	v_cndmask_b32_e32 v4, s4, v3, vcc_lo
	v_ashrrev_i32_e32 v3, 31, v2
	s_lshl_b32 s8, s14, 4
	s_delay_alu instid0(SALU_CYCLE_1) | instskip(NEXT) | instid1(VALU_DEP_2)
	s_ashr_i32 s9, s8, 31
	v_ashrrev_i32_e32 v5, 31, v4
	s_delay_alu instid0(VALU_DEP_2) | instskip(SKIP_1) | instid1(SALU_CYCLE_1)
	v_lshlrev_b64 v[1:2], 2, v[2:3]
	s_lshl_b64 s[8:9], s[8:9], 2
	s_add_u32 s8, s2, s8
	s_delay_alu instid0(VALU_DEP_2) | instskip(SKIP_1) | instid1(VALU_DEP_2)
	v_lshlrev_b64 v[3:4], 2, v[4:5]
	s_addc_u32 s9, s3, s9
	v_add_co_u32 v1, vcc_lo, s2, v1
	v_add_co_ci_u32_e32 v2, vcc_lo, s3, v2, vcc_lo
	s_delay_alu instid0(VALU_DEP_3) | instskip(NEXT) | instid1(VALU_DEP_4)
	v_add_co_u32 v3, vcc_lo, s2, v3
	v_add_co_ci_u32_e32 v4, vcc_lo, s3, v4, vcc_lo
	s_clause 0x1
	global_load_b32 v5, v[1:2], off
	global_load_b32 v3, v[3:4], off
	v_lshlrev_b32_e32 v1, 4, v0
	s_or_b32 s16, s12, 32
	s_delay_alu instid0(SALU_CYCLE_1) | instskip(SKIP_1) | instid1(VALU_DEP_1)
	s_ashr_i32 s19, s16, 4
	s_cmp_lt_i32 s16, s17
	v_and_b32_e32 v1, 0xf0, v1
	s_cselect_b32 s20, s19, s4
	s_delay_alu instid0(SALU_CYCLE_1) | instskip(NEXT) | instid1(SALU_CYCLE_1)
	s_ashr_i32 s21, s20, 31
	s_lshl_b64 s[20:21], s[20:21], 2
	s_delay_alu instid0(VALU_DEP_1)
	v_add_co_u32 v1, s7, s7, v1
	s_add_u32 s20, s2, s20
	s_addc_u32 s21, s3, s21
	s_or_b32 s16, s12, 64
	v_add_co_ci_u32_e64 v2, null, s13, 0, s7
	s_ashr_i32 s19, s16, 4
	s_cmp_lt_i32 s16, s17
	s_cselect_b32 s22, s19, s4
	s_delay_alu instid0(SALU_CYCLE_1) | instskip(NEXT) | instid1(SALU_CYCLE_1)
	s_ashr_i32 s23, s22, 31
	s_lshl_b64 s[22:23], s[22:23], 2
	s_delay_alu instid0(SALU_CYCLE_1) | instskip(SKIP_2) | instid1(SALU_CYCLE_1)
	s_add_u32 s22, s2, s22
	s_addc_u32 s23, s3, s23
	s_or_b32 s16, s12, 0x60
	s_ashr_i32 s19, s16, 4
	s_cmp_lt_i32 s16, s17
	s_cselect_b32 s24, s19, s4
	s_delay_alu instid0(SALU_CYCLE_1) | instskip(NEXT) | instid1(SALU_CYCLE_1)
	s_ashr_i32 s25, s24, 31
	s_lshl_b64 s[24:25], s[24:25], 2
	s_delay_alu instid0(SALU_CYCLE_1) | instskip(SKIP_2) | instid1(SALU_CYCLE_1)
	s_add_u32 s24, s2, s24
	s_addc_u32 s25, s3, s25
	s_or_b32 s16, s12, 0x80
	;; [unrolled: 10-line block ×3, first 2 shown]
	s_ashr_i32 s19, s16, 4
	s_cmp_lt_i32 s16, s17
	s_cselect_b32 s28, s19, s4
	s_delay_alu instid0(SALU_CYCLE_1) | instskip(NEXT) | instid1(SALU_CYCLE_1)
	s_ashr_i32 s29, s28, 31
	s_lshl_b64 s[28:29], s[28:29], 2
	s_delay_alu instid0(SALU_CYCLE_1)
	s_add_u32 s28, s2, s28
	s_addc_u32 s29, s3, s29
	s_clause 0x5
	s_load_b32 s7, s[8:9], 0x0
	s_load_b32 s13, s[20:21], 0x0
	;; [unrolled: 1-line block ×6, first 2 shown]
	s_or_b32 s8, s12, 0xc0
	s_mov_b32 s20, 0
	s_ashr_i32 s9, s8, 4
	s_cmp_lt_i32 s8, s17
	s_mov_b32 s27, s20
	s_cselect_b32 s8, s9, s4
	s_mov_b32 s21, s20
	s_ashr_i32 s9, s8, 31
	s_mov_b32 s22, s20
	s_lshl_b64 s[8:9], s[8:9], 2
	s_mov_b32 s23, s20
	s_mov_b32 s24, s20
	;; [unrolled: 1-line block ×4, first 2 shown]
	v_dual_mov_b32 v107, s27 :: v_dual_mov_b32 v104, s24
	s_add_u32 s8, s2, s8
	v_dual_mov_b32 v106, s26 :: v_dual_mov_b32 v105, s25
	v_dual_mov_b32 v101, s21 :: v_dual_mov_b32 v100, s20
	s_addc_u32 s9, s3, s9
	v_dual_mov_b32 v103, s23 :: v_dual_mov_b32 v102, s22
	s_or_b32 s20, s12, 0xe0
	s_delay_alu instid0(SALU_CYCLE_1) | instskip(SKIP_2) | instid1(SALU_CYCLE_1)
	s_ashr_i32 s21, s20, 4
	s_cmp_lt_i32 s20, s17
	s_cselect_b32 s20, s21, s4
	s_ashr_i32 s21, s20, 31
	s_delay_alu instid0(SALU_CYCLE_1) | instskip(NEXT) | instid1(SALU_CYCLE_1)
	s_lshl_b64 s[20:21], s[20:21], 2
	s_add_u32 s2, s2, s20
	s_addc_u32 s3, s3, s21
	s_waitcnt vmcnt(1)
	v_mad_i64_i32 v[25:26], null, v5, s5, v[1:2]
	s_waitcnt vmcnt(0)
	v_mad_i64_i32 v[27:28], null, v3, s5, v[1:2]
	s_clause 0xf
	global_load_b128 v[1:4], v[25:26], off
	global_load_b128 v[5:8], v[25:26], off offset:256
	global_load_b128 v[9:12], v[27:28], off
	global_load_b128 v[13:16], v[27:28], off offset:256
	global_load_b128 v[17:20], v[25:26], off offset:512
	;; [unrolled: 1-line block ×13, first 2 shown]
	v_mul_lo_u16 v25, v65, 52
	v_lshlrev_b32_e32 v26, 4, v65
	s_delay_alu instid0(VALU_DEP_2) | instskip(NEXT) | instid1(VALU_DEP_2)
	v_lshrrev_b16 v25, 8, v25
	v_lshl_or_b32 v33, v66, 8, v26
	s_delay_alu instid0(VALU_DEP_2) | instskip(NEXT) | instid1(VALU_DEP_1)
	v_mul_lo_u16 v25, v25, 5
	v_sub_nc_u16 v25, v65, v25
	s_delay_alu instid0(VALU_DEP_1) | instskip(NEXT) | instid1(VALU_DEP_1)
	v_and_b32_e32 v25, 0xff, v25
	v_lshlrev_b32_e32 v72, 6, v25
	ds_load_b128 v[25:28], v72
	ds_load_b128 v[29:32], v72 offset:1024
	ds_load_b128 v[108:111], v72 offset:2048
	;; [unrolled: 1-line block ×3, first 2 shown]
	s_load_b32 s4, s[8:9], 0x0
	ds_load_b128 v[116:119], v72 offset:4096
	ds_load_b128 v[120:123], v72 offset:5120
	s_load_b32 s2, s[2:3], 0x0
	s_add_u32 s8, s10, s15
	s_addc_u32 s6, s11, s6
	v_add_co_u32 v68, s8, s8, v33
	s_delay_alu instid0(VALU_DEP_1) | instskip(SKIP_1) | instid1(VALU_DEP_1)
	v_add_co_ci_u32_e64 v69, null, s6, 0, s8
	s_waitcnt lgkmcnt(0)
	v_mad_i64_i32 v[33:34], null, s7, s5, v[68:69]
	v_mad_i64_i32 v[70:71], null, s16, s5, v[68:69]
	;; [unrolled: 1-line block ×7, first 2 shown]
	s_clause 0x3
	global_load_b128 v[41:44], v[33:34], off
	global_load_b128 v[45:48], v[33:34], off offset:16
	global_load_b128 v[33:36], v[37:38], off
	global_load_b128 v[37:40], v[37:38], off offset:16
	s_waitcnt vmcnt(18)
	v_wmma_f32_16x16x16_bf16 v[124:131], v[1:8], v[25:32], v[100:107]
	s_waitcnt vmcnt(16)
	v_wmma_f32_16x16x16_bf16 v[100:107], v[9:16], v[25:32], v[100:107]
	s_clause 0x1
	global_load_b128 v[25:28], v[70:71], off
	global_load_b128 v[29:32], v[70:71], off offset:16
	s_waitcnt vmcnt(16)
	v_wmma_f32_16x16x16_bf16 v[124:131], v[17:24], v[108:115], v[124:131]
	s_clause 0x1
	global_load_b128 v[17:20], v[132:133], off
	global_load_b128 v[21:24], v[132:133], off offset:16
	s_waitcnt vmcnt(16)
	v_wmma_f32_16x16x16_bf16 v[100:107], v[49:56], v[108:115], v[100:107]
	v_mad_i64_i32 v[53:54], null, s2, s5, v[68:69]
	s_clause 0x3
	global_load_b128 v[1:4], v[134:135], off
	global_load_b128 v[5:8], v[134:135], off offset:16
	global_load_b128 v[9:12], v[136:137], off
	global_load_b128 v[13:16], v[136:137], off offset:16
	s_waitcnt vmcnt(18)
	v_wmma_f32_16x16x16_bf16 v[124:131], v[57:64], v[116:123], v[124:131]
	s_clause 0x3
	global_load_b128 v[57:60], v[138:139], off
	global_load_b128 v[61:64], v[138:139], off offset:16
	global_load_b128 v[49:52], v[53:54], off
	global_load_b128 v[53:56], v[53:54], off offset:16
	v_mbcnt_lo_u32_b32 v69, -1, 0
	s_waitcnt vmcnt(20)
	v_wmma_f32_16x16x16_bf16 v[100:107], v[76:83], v[116:123], v[100:107]
	s_delay_alu instid0(VALU_DEP_2) | instskip(NEXT) | instid1(VALU_DEP_1)
	v_xor_b32_e32 v70, 16, v69
	v_cmp_gt_i32_e32 vcc_lo, 32, v70
	v_cndmask_b32_e32 v69, v69, v70, vcc_lo
	ds_load_b128 v[76:79], v72 offset:6144
	ds_load_b128 v[80:83], v72 offset:7168
	s_waitcnt vmcnt(0) lgkmcnt(0)
	s_barrier
	buffer_gl0_inv
	v_wmma_f32_16x16x16_bf16 v[124:131], v[84:91], v[76:83], v[124:131]
	v_and_b32_e32 v68, 0xe0, v0
	v_wmma_f32_16x16x16_bf16 v[100:107], v[92:99], v[76:83], v[100:107]
	s_delay_alu instid0(VALU_DEP_2) | instskip(NEXT) | instid1(VALU_DEP_4)
	v_dual_mul_f32 v79, s18, v127 :: v_dual_add_nc_u32 v68, s12, v68
	v_mul_f32_e32 v81, s18, v129
	v_dual_mul_f32 v78, s18, v125 :: v_dual_mul_f32 v83, s18, v131
	s_delay_alu instid0(VALU_DEP_4) | instskip(NEXT) | instid1(VALU_DEP_4)
	v_dual_mul_f32 v80, s18, v126 :: v_dual_mul_f32 v95, s18, v103
	v_or_b32_e32 v68, v68, v74
	v_dual_mul_f32 v93, s18, v101 :: v_dual_mul_f32 v82, s18, v128
	v_dual_mul_f32 v97, s18, v105 :: v_dual_mul_f32 v92, s18, v130
	v_mul_f32_e32 v99, s18, v107
	s_delay_alu instid0(VALU_DEP_4)
	v_or_b32_e32 v70, 2, v68
	v_or_b32_e32 v71, 4, v68
	;; [unrolled: 1-line block ×3, first 2 shown]
	v_cmp_gt_i32_e64 s2, s17, v68
	v_or_b32_e32 v108, 8, v68
	v_cmp_gt_i32_e32 vcc_lo, s17, v70
	v_mul_f32_e32 v70, s18, v124
	v_or_b32_e32 v109, 10, v68
	v_cmp_gt_i32_e64 s3, s17, v71
	v_cmp_gt_i32_e64 s4, s17, v72
	v_cndmask_b32_e32 v78, 0xff7fffff, v78, vcc_lo
	v_cndmask_b32_e64 v70, 0xff7fffff, v70, s2
	v_or_b32_e32 v84, 12, v68
	v_or_b32_e32 v85, 14, v68
	v_cndmask_b32_e64 v71, 0xff7fffff, v80, s3
	v_cndmask_b32_e64 v72, 0xff7fffff, v79, s4
	v_max3_f32 v70, v70, 0xff7fffff, v78
	v_cmp_gt_i32_e64 s5, s17, v108
	v_cmp_gt_i32_e64 s6, s17, v109
	v_or_b32_e32 v86, 16, v68
	v_or_b32_e32 v87, 18, v68
	v_max3_f32 v70, v70, v71, v72
	v_cndmask_b32_e64 v78, 0xff7fffff, v82, s5
	v_cndmask_b32_e64 v79, 0xff7fffff, v81, s6
	v_cmp_gt_i32_e64 s7, s17, v84
	v_cmp_gt_i32_e64 s8, s17, v85
	v_or_b32_e32 v88, 20, v68
	v_or_b32_e32 v89, 22, v68
	v_mul_f32_e32 v94, s18, v100
	v_cndmask_b32_e64 v71, 0xff7fffff, v92, s7
	v_cndmask_b32_e64 v72, 0xff7fffff, v83, s8
	v_max3_f32 v70, v70, v78, v79
	v_cmp_gt_i32_e64 s9, s17, v86
	v_cmp_gt_i32_e64 s10, s17, v87
	v_or_b32_e32 v90, 24, v68
	v_or_b32_e32 v91, 26, v68
	v_mul_f32_e32 v96, s18, v102
	v_max3_f32 v70, v70, v71, v72
	v_cndmask_b32_e64 v79, 0xff7fffff, v93, s10
	v_cmp_gt_i32_e64 s11, s17, v88
	v_cmp_gt_i32_e64 s12, s17, v89
	v_lshlrev_b32_e32 v89, 2, v69
	v_cndmask_b32_e64 v78, 0xff7fffff, v94, s9
	v_or_b32_e32 v76, 28, v68
	v_or_b32_e32 v77, 30, v68
	v_mul_f32_e32 v98, s18, v104
	v_cndmask_b32_e64 v71, 0xff7fffff, v96, s11
	v_cndmask_b32_e64 v72, 0xff7fffff, v95, s12
	v_max3_f32 v70, v70, v78, v79
	v_cmp_gt_i32_e64 s13, s17, v90
	v_cmp_gt_i32_e64 s15, s17, v91
	v_mul_f32_e32 v68, s18, v106
	v_cmp_gt_i32_e64 s16, s17, v76
	v_max3_f32 v70, v70, v71, v72
	v_cndmask_b32_e64 v78, 0xff7fffff, v98, s13
	v_cndmask_b32_e64 v79, 0xff7fffff, v97, s15
	v_cmp_gt_i32_e64 s17, s17, v77
	v_cndmask_b32_e64 v68, 0xff7fffff, v68, s16
	s_delay_alu instid0(VALU_DEP_3) | instskip(NEXT) | instid1(VALU_DEP_3)
	v_max3_f32 v70, v70, v78, v79
	v_cndmask_b32_e64 v71, 0xff7fffff, v99, s17
	s_delay_alu instid0(VALU_DEP_1) | instskip(SKIP_3) | instid1(VALU_DEP_1)
	v_max3_f32 v68, v70, v68, v71
	ds_bpermute_b32 v69, v89, v68
	s_waitcnt lgkmcnt(0)
	v_max_f32_e32 v69, v69, v69
	v_max_f32_e32 v68, v68, v69
	s_delay_alu instid0(VALU_DEP_1) | instskip(NEXT) | instid1(VALU_DEP_1)
	v_fma_f32 v76, s18, v128, -v68
	v_mul_f32_e32 v77, 0x3fb8aa3b, v76
	v_fma_f32 v71, s18, v126, -v68
	v_fma_f32 v69, s18, v124, -v68
	;; [unrolled: 1-line block ×4, first 2 shown]
	v_exp_f32_e32 v77, v77
	v_mul_f32_e32 v71, 0x3fb8aa3b, v71
	v_mul_f32_e32 v69, 0x3fb8aa3b, v69
	v_fma_f32 v81, s18, v105, -v68
	v_fma_f32 v78, s18, v130, -v68
	s_delay_alu instid0(VALU_DEP_4) | instskip(NEXT) | instid1(VALU_DEP_3)
	v_exp_f32_e32 v71, v71
	v_exp_f32_e32 v69, v69
	s_delay_alu instid0(VALU_DEP_2) | instskip(NEXT) | instid1(TRANS32_DEP_3)
	v_mul_f32_e32 v81, 0x3fb8aa3b, v81
	v_cndmask_b32_e64 v86, 0, v77, s5
	v_fma_f32 v77, s18, v101, -v68
	s_delay_alu instid0(VALU_DEP_3) | instskip(NEXT) | instid1(TRANS32_DEP_3)
	v_exp_f32_e32 v81, v81
	v_cndmask_b32_e64 v83, 0, v71, s3
	v_fma_f32 v71, s18, v131, -v68
	v_mul_f32_e32 v72, 0x3fb8aa3b, v72
	s_delay_alu instid0(TRANS32_DEP_2) | instskip(SKIP_1) | instid1(VALU_DEP_4)
	v_cndmask_b32_e64 v80, 0, v69, s2
	v_fma_f32 v69, s18, v129, -v68
	v_dual_mul_f32 v70, 0x3fb8aa3b, v70 :: v_dual_mul_f32 v71, 0x3fb8aa3b, v71
	s_delay_alu instid0(VALU_DEP_4) | instskip(SKIP_1) | instid1(VALU_DEP_3)
	v_exp_f32_e32 v72, v72
	v_mul_f32_e32 v77, 0x3fb8aa3b, v77
	v_mul_f32_e32 v69, 0x3fb8aa3b, v69
	s_delay_alu instid0(VALU_DEP_3)
	v_exp_f32_e32 v70, v70
	v_exp_f32_e32 v71, v71
	v_cmp_gt_u32_e64 s2, 16, v67
	v_exp_f32_e32 v77, v77
	v_exp_f32_e32 v69, v69
	v_cndmask_b32_e64 v85, 0, v72, s4
	v_fma_f32 v72, s18, v100, -v68
	v_cndmask_b32_e32 v76, 0, v70, vcc_lo
	s_delay_alu instid0(TRANS32_DEP_3) | instskip(SKIP_2) | instid1(TRANS32_DEP_1)
	v_cndmask_b32_e64 v88, 0, v71, s8
	v_fma_f32 v71, s18, v104, -v68
	v_add_f32_e32 v70, 0, v80
	v_cndmask_b32_e64 v87, 0, v69, s6
	s_delay_alu instid0(VALU_DEP_2) | instskip(NEXT) | instid1(VALU_DEP_1)
	v_dual_mul_f32 v71, 0x3fb8aa3b, v71 :: v_dual_add_f32 v70, v70, v76
	v_exp_f32_e32 v82, v71
	s_delay_alu instid0(VALU_DEP_1) | instskip(NEXT) | instid1(VALU_DEP_1)
	v_add_f32_e32 v70, v70, v83
	v_add_f32_e32 v70, v70, v85
	s_delay_alu instid0(VALU_DEP_1) | instskip(SKIP_1) | instid1(VALU_DEP_2)
	v_dual_mul_f32 v72, 0x3fb8aa3b, v72 :: v_dual_add_f32 v69, v70, v86
	v_fma_f32 v70, s18, v102, -v68
	v_exp_f32_e32 v72, v72
	s_delay_alu instid0(VALU_DEP_2) | instskip(NEXT) | instid1(VALU_DEP_2)
	v_dual_add_f32 v69, v69, v87 :: v_dual_mul_f32 v78, 0x3fb8aa3b, v78
	v_mul_f32_e32 v70, 0x3fb8aa3b, v70
	s_delay_alu instid0(VALU_DEP_2) | instskip(NEXT) | instid1(VALU_DEP_1)
	v_exp_f32_e32 v78, v78
	v_exp_f32_e32 v79, v70
	s_delay_alu instid0(TRANS32_DEP_3) | instskip(SKIP_4) | instid1(VALU_DEP_3)
	v_cndmask_b32_e64 v70, 0, v72, s9
	s_waitcnt_depctr 0xfff
	v_cndmask_b32_e64 v84, 0, v78, s7
	v_fma_f32 v78, s18, v103, -v68
	v_cndmask_b32_e64 v71, 0, v79, s11
	v_add_f32_e32 v69, v69, v84
	s_delay_alu instid0(VALU_DEP_1) | instskip(SKIP_2) | instid1(VALU_DEP_1)
	v_add_f32_e32 v72, v69, v88
	v_cndmask_b32_e64 v69, 0, v77, s10
	v_fma_f32 v77, s18, v106, -v68
	v_dual_add_f32 v72, v72, v70 :: v_dual_mul_f32 v77, 0x3fb8aa3b, v77
	s_delay_alu instid0(VALU_DEP_1) | instskip(NEXT) | instid1(VALU_DEP_2)
	v_add_f32_e32 v79, v72, v69
	v_exp_f32_e32 v90, v77
	v_cndmask_b32_e64 v77, 0, v82, s13
	v_mul_f32_e32 v78, 0x3fb8aa3b, v78
	s_delay_alu instid0(VALU_DEP_1) | instskip(SKIP_4) | instid1(VALU_DEP_1)
	v_exp_f32_e32 v78, v78
	s_waitcnt_depctr 0xfff
	v_cndmask_b32_e64 v72, 0, v78, s12
	v_add_f32_e32 v78, v79, v71
	v_fma_f32 v79, s18, v107, -v68
	v_dual_add_f32 v82, v78, v72 :: v_dual_mul_f32 v79, 0x3fb8aa3b, v79
	v_cndmask_b32_e64 v78, 0, v81, s15
	s_delay_alu instid0(VALU_DEP_2) | instskip(NEXT) | instid1(VALU_DEP_3)
	v_add_f32_e32 v81, v82, v77
	v_exp_f32_e32 v82, v79
	v_cndmask_b32_e64 v79, 0, v90, s16
	s_delay_alu instid0(VALU_DEP_2) | instskip(NEXT) | instid1(VALU_DEP_1)
	v_add_f32_e32 v81, v81, v78
	v_add_f32_e32 v90, v81, v79
	s_waitcnt_depctr 0xfff
	v_cndmask_b32_e64 v81, 0, v82, s17
	s_delay_alu instid0(VALU_DEP_1)
	v_add_f32_e32 v82, v90, v81
	ds_bpermute_b32 v89, v89, v82
	s_and_saveexec_b32 s3, s2
	s_cbranch_execz .LBB1510_12
; %bb.11:
	v_mul_u32_u24_e32 v67, 0x44, v66
	s_delay_alu instid0(VALU_DEP_1) | instskip(SKIP_1) | instid1(VALU_DEP_1)
	v_lshl_add_u32 v67, v65, 2, v67
	s_waitcnt lgkmcnt(0)
	v_dual_add_f32 v82, v82, v89 :: v_dual_add_nc_u32 v67, 0x4000, v67
	ds_store_2addr_b32 v67, v68, v82 offset1:136
.LBB1510_12:
	s_or_b32 exec_lo, exec_lo, s3
	v_lshlrev_b32_e32 v67, 2, v65
	s_waitcnt lgkmcnt(0)
	s_barrier
	buffer_gl0_inv
	v_cmp_eq_u32_e32 vcc_lo, 1, v66
	v_add_nc_u32_e32 v82, 0x4000, v67
	v_cmp_eq_u32_e64 s3, 2, v66
	v_cmp_eq_u32_e64 s5, 7, v66
	ds_load_2addr_b32 v[89:90], v82 offset1:17
	ds_load_2addr_b32 v[91:92], v82 offset0:34 offset1:51
	ds_load_2addr_b32 v[93:94], v82 offset0:68 offset1:85
	;; [unrolled: 1-line block ×4, first 2 shown]
	s_waitcnt lgkmcnt(4)
	v_max3_f32 v67, v89, 0xff7fffff, v90
	s_waitcnt lgkmcnt(3)
	s_delay_alu instid0(VALU_DEP_1) | instskip(SKIP_1) | instid1(VALU_DEP_1)
	v_max3_f32 v67, v67, v91, v92
	s_waitcnt lgkmcnt(2)
	v_max3_f32 v67, v67, v93, v94
	s_waitcnt lgkmcnt(1)
	s_delay_alu instid0(VALU_DEP_1) | instskip(NEXT) | instid1(VALU_DEP_1)
	v_max3_f32 v67, v67, v95, v96
	v_sub_f32_e32 v93, v93, v67
	s_delay_alu instid0(VALU_DEP_1) | instskip(NEXT) | instid1(VALU_DEP_1)
	v_dual_sub_f32 v68, v89, v67 :: v_dual_mul_f32 v103, 0x3fb8aa3b, v93
	v_mul_f32_e32 v68, 0x3fb8aa3b, v68
	s_delay_alu instid0(VALU_DEP_1)
	v_exp_f32_e32 v100, v68
	v_sub_f32_e32 v68, v92, v67
	v_sub_f32_e32 v99, v90, v67
	ds_load_2addr_b32 v[89:90], v82 offset0:170 offset1:187
	v_dual_mul_f32 v102, 0x3fb8aa3b, v68 :: v_dual_mul_f32 v99, 0x3fb8aa3b, v99
	s_waitcnt lgkmcnt(1)
	v_fma_f32 v68, v100, v97, 0
	s_delay_alu instid0(VALU_DEP_2) | instskip(NEXT) | instid1(VALU_DEP_2)
	v_exp_f32_e32 v102, v102
	v_exp_f32_e32 v99, v99
	s_waitcnt_depctr 0xfff
	v_fmac_f32_e32 v68, v99, v98
	v_sub_f32_e32 v91, v91, v67
	s_delay_alu instid0(VALU_DEP_1)
	v_mul_f32_e32 v101, 0x3fb8aa3b, v91
	ds_load_2addr_b32 v[91:92], v82 offset0:204 offset1:221
	v_sub_f32_e32 v97, v94, v67
	ds_load_2addr_b32 v[93:94], v82 offset0:238 offset1:255
	s_waitcnt lgkmcnt(0)
	v_exp_f32_e32 v101, v101
	s_barrier
	buffer_gl0_inv
	v_dual_fmac_f32 v68, v101, v89 :: v_dual_sub_f32 v89, v96, v67
	v_dual_sub_f32 v82, v95, v67 :: v_dual_mul_f32 v95, 0x3fb8aa3b, v97
	v_exp_f32_e32 v97, v103
	s_delay_alu instid0(VALU_DEP_2) | instskip(NEXT) | instid1(VALU_DEP_2)
	v_dual_fmac_f32 v68, v102, v90 :: v_dual_mul_f32 v89, 0x3fb8aa3b, v89
	v_mul_f32_e32 v82, 0x3fb8aa3b, v82
	s_delay_alu instid0(VALU_DEP_3) | instskip(NEXT) | instid1(VALU_DEP_2)
	v_exp_f32_e32 v95, v95
	v_exp_f32_e32 v89, v89
	s_delay_alu instid0(VALU_DEP_1)
	v_exp_f32_e32 v82, v82
	v_fmac_f32_e32 v68, v97, v91
	s_delay_alu instid0(TRANS32_DEP_3) | instid1(VALU_DEP_1)
	v_fmac_f32_e32 v68, v95, v92
	s_waitcnt_depctr 0xfff
	v_fmac_f32_e32 v68, v82, v93
	s_delay_alu instid0(VALU_DEP_1) | instskip(NEXT) | instid1(VALU_DEP_1)
	v_fmac_f32_e32 v68, v89, v94
	v_add_f32_e32 v90, 0x358637bd, v68
	s_delay_alu instid0(VALU_DEP_1) | instskip(NEXT) | instid1(VALU_DEP_1)
	v_div_scale_f32 v91, null, v90, v90, 1.0
	v_rcp_f32_e32 v92, v91
	s_waitcnt_depctr 0xfff
	v_fma_f32 v93, -v91, v92, 1.0
	s_delay_alu instid0(VALU_DEP_1) | instskip(SKIP_1) | instid1(VALU_DEP_2)
	v_dual_fmac_f32 v92, v93, v92 :: v_dual_cndmask_b32 v93, v100, v99
	v_cmp_eq_u32_e32 vcc_lo, 3, v66
	v_cndmask_b32_e64 v93, v93, v101, s3
	v_cmp_eq_u32_e64 s3, 4, v66
	s_delay_alu instid0(VALU_DEP_2) | instskip(SKIP_1) | instid1(VALU_DEP_2)
	v_cndmask_b32_e32 v93, v93, v102, vcc_lo
	v_cmp_eq_u32_e32 vcc_lo, 5, v66
	v_cndmask_b32_e64 v93, v93, v97, s3
	v_cmp_eq_u32_e64 s3, 6, v66
	s_delay_alu instid0(VALU_DEP_2) | instskip(SKIP_1) | instid1(VALU_DEP_1)
	v_cndmask_b32_e32 v93, v93, v95, vcc_lo
	v_div_scale_f32 v94, s4, 1.0, v90, 1.0
	s_mov_b32 vcc_lo, s4
	s_delay_alu instid0(VALU_DEP_2) | instskip(NEXT) | instid1(VALU_DEP_2)
	v_cndmask_b32_e64 v82, v93, v82, s3
	v_mul_f32_e32 v96, v94, v92
	s_mov_b32 s3, exec_lo
	s_delay_alu instid0(VALU_DEP_2) | instskip(NEXT) | instid1(VALU_DEP_2)
	v_cndmask_b32_e64 v82, v82, v89, s5
	v_fma_f32 v98, -v91, v96, v94
	s_delay_alu instid0(VALU_DEP_1) | instskip(NEXT) | instid1(VALU_DEP_1)
	v_fmac_f32_e32 v96, v98, v92
	v_fma_f32 v91, -v91, v96, v94
	s_delay_alu instid0(VALU_DEP_1) | instskip(NEXT) | instid1(VALU_DEP_1)
	v_div_fmas_f32 v91, v91, v92, v96
	v_div_fixup_f32 v90, v91, v90, 1.0
	s_delay_alu instid0(VALU_DEP_1) | instskip(NEXT) | instid1(VALU_DEP_1)
	v_mul_f32_e32 v82, v82, v90
	v_mul_f32_e32 v87, v82, v87
	;; [unrolled: 1-line block ×7, first 2 shown]
	v_dual_mul_f32 v86, v82, v83 :: v_dual_and_b32 v91, 0x7f800000, v90
	v_mul_f32_e32 v85, v82, v76
                                        ; implicit-def: $vgpr76
	s_delay_alu instid0(VALU_DEP_2)
	v_cmpx_ne_u32_e32 0x7f800000, v91
	s_xor_b32 s3, exec_lo, s3
; %bb.13:
	v_bfe_u32 v76, v90, 16, 1
	s_delay_alu instid0(VALU_DEP_1)
	v_add3_u32 v76, v90, v76, 0x7fff
                                        ; implicit-def: $vgpr90
; %bb.14:
	s_and_not1_saveexec_b32 s3, s3
; %bb.15:
	v_and_b32_e32 v76, 0xffff, v90
	v_or_b32_e32 v83, 0x10000, v90
	s_delay_alu instid0(VALU_DEP_2) | instskip(NEXT) | instid1(VALU_DEP_2)
	v_cmp_eq_u32_e32 vcc_lo, 0, v76
	v_cndmask_b32_e32 v76, v83, v90, vcc_lo
; %bb.16:
	s_or_b32 exec_lo, exec_lo, s3
	v_and_b32_e32 v83, 0x7f800000, v85
	s_delay_alu instid0(VALU_DEP_1) | instskip(SKIP_1) | instid1(SALU_CYCLE_1)
	v_cmp_ne_u32_e32 vcc_lo, 0x7f800000, v83
                                        ; implicit-def: $vgpr83
	s_and_saveexec_b32 s3, vcc_lo
	s_xor_b32 s3, exec_lo, s3
; %bb.17:
	v_bfe_u32 v83, v85, 16, 1
	s_delay_alu instid0(VALU_DEP_1)
	v_add3_u32 v83, v85, v83, 0x7fff
                                        ; implicit-def: $vgpr85
; %bb.18:
	s_and_not1_saveexec_b32 s3, s3
; %bb.19:
	v_and_b32_e32 v83, 0xffff, v85
	v_or_b32_e32 v90, 0x10000, v85
	s_delay_alu instid0(VALU_DEP_2) | instskip(NEXT) | instid1(VALU_DEP_2)
	v_cmp_eq_u32_e32 vcc_lo, 0, v83
	v_cndmask_b32_e32 v83, v90, v85, vcc_lo
; %bb.20:
	s_or_b32 exec_lo, exec_lo, s3
	v_and_b32_e32 v85, 0x7f800000, v86
	s_delay_alu instid0(VALU_DEP_1) | instskip(SKIP_1) | instid1(SALU_CYCLE_1)
	v_cmp_ne_u32_e32 vcc_lo, 0x7f800000, v85
                                        ; implicit-def: $vgpr85
	s_and_saveexec_b32 s3, vcc_lo
	s_xor_b32 s3, exec_lo, s3
; %bb.21:
	v_bfe_u32 v85, v86, 16, 1
	s_delay_alu instid0(VALU_DEP_1)
	v_add3_u32 v85, v86, v85, 0x7fff
                                        ; implicit-def: $vgpr86
; %bb.22:
	s_and_not1_saveexec_b32 s3, s3
; %bb.23:
	v_and_b32_e32 v85, 0xffff, v86
	v_or_b32_e32 v90, 0x10000, v86
	s_delay_alu instid0(VALU_DEP_2) | instskip(NEXT) | instid1(VALU_DEP_2)
	v_cmp_eq_u32_e32 vcc_lo, 0, v85
	v_cndmask_b32_e32 v85, v90, v86, vcc_lo
; %bb.24:
	s_or_b32 exec_lo, exec_lo, s3
	v_and_b32_e32 v86, 0x7f800000, v89
	s_delay_alu instid0(VALU_DEP_1) | instskip(SKIP_1) | instid1(SALU_CYCLE_1)
	v_cmp_ne_u32_e32 vcc_lo, 0x7f800000, v86
                                        ; implicit-def: $vgpr86
	s_and_saveexec_b32 s3, vcc_lo
	s_xor_b32 s3, exec_lo, s3
; %bb.25:
	v_bfe_u32 v86, v89, 16, 1
	s_delay_alu instid0(VALU_DEP_1)
	v_add3_u32 v86, v89, v86, 0x7fff
                                        ; implicit-def: $vgpr89
; %bb.26:
	s_and_not1_saveexec_b32 s3, s3
; %bb.27:
	v_and_b32_e32 v86, 0xffff, v89
	v_or_b32_e32 v90, 0x10000, v89
	s_delay_alu instid0(VALU_DEP_2) | instskip(NEXT) | instid1(VALU_DEP_2)
	v_cmp_eq_u32_e32 vcc_lo, 0, v86
	v_cndmask_b32_e32 v86, v90, v89, vcc_lo
; %bb.28:
	s_or_b32 exec_lo, exec_lo, s3
	v_and_b32_e32 v89, 0x7f800000, v88
	s_delay_alu instid0(VALU_DEP_1) | instskip(SKIP_1) | instid1(SALU_CYCLE_1)
	v_cmp_ne_u32_e32 vcc_lo, 0x7f800000, v89
                                        ; implicit-def: $vgpr89
	s_and_saveexec_b32 s3, vcc_lo
	s_xor_b32 s3, exec_lo, s3
; %bb.29:
	v_bfe_u32 v89, v88, 16, 1
	s_delay_alu instid0(VALU_DEP_1)
	v_add3_u32 v89, v88, v89, 0x7fff
                                        ; implicit-def: $vgpr88
; %bb.30:
	s_and_not1_saveexec_b32 s3, s3
; %bb.31:
	v_and_b32_e32 v89, 0xffff, v88
	v_or_b32_e32 v90, 0x10000, v88
	s_delay_alu instid0(VALU_DEP_2) | instskip(NEXT) | instid1(VALU_DEP_2)
	v_cmp_eq_u32_e32 vcc_lo, 0, v89
	v_cndmask_b32_e32 v89, v90, v88, vcc_lo
; %bb.32:
	s_or_b32 exec_lo, exec_lo, s3
	v_and_b32_e32 v88, 0x7f800000, v87
	s_delay_alu instid0(VALU_DEP_1) | instskip(SKIP_1) | instid1(SALU_CYCLE_1)
	v_cmp_ne_u32_e32 vcc_lo, 0x7f800000, v88
                                        ; implicit-def: $vgpr88
	s_and_saveexec_b32 s3, vcc_lo
	s_xor_b32 s3, exec_lo, s3
; %bb.33:
	v_bfe_u32 v88, v87, 16, 1
	s_delay_alu instid0(VALU_DEP_1)
	v_add3_u32 v88, v87, v88, 0x7fff
                                        ; implicit-def: $vgpr87
; %bb.34:
	s_and_not1_saveexec_b32 s3, s3
; %bb.35:
	v_and_b32_e32 v88, 0xffff, v87
	v_or_b32_e32 v90, 0x10000, v87
	s_delay_alu instid0(VALU_DEP_2) | instskip(NEXT) | instid1(VALU_DEP_2)
	v_cmp_eq_u32_e32 vcc_lo, 0, v88
	v_cndmask_b32_e32 v88, v90, v87, vcc_lo
; %bb.36:
	s_or_b32 exec_lo, exec_lo, s3
	v_and_b32_e32 v87, 0x7f800000, v84
	s_delay_alu instid0(VALU_DEP_1) | instskip(SKIP_1) | instid1(SALU_CYCLE_1)
	v_cmp_ne_u32_e32 vcc_lo, 0x7f800000, v87
                                        ; implicit-def: $vgpr87
	s_and_saveexec_b32 s3, vcc_lo
	s_xor_b32 s3, exec_lo, s3
; %bb.37:
	v_bfe_u32 v87, v84, 16, 1
	s_delay_alu instid0(VALU_DEP_1)
	v_add3_u32 v87, v84, v87, 0x7fff
                                        ; implicit-def: $vgpr84
; %bb.38:
	s_and_not1_saveexec_b32 s3, s3
; %bb.39:
	v_and_b32_e32 v87, 0xffff, v84
	v_or_b32_e32 v90, 0x10000, v84
	s_delay_alu instid0(VALU_DEP_2) | instskip(NEXT) | instid1(VALU_DEP_2)
	v_cmp_eq_u32_e32 vcc_lo, 0, v87
	v_cndmask_b32_e32 v87, v90, v84, vcc_lo
; %bb.40:
	s_or_b32 exec_lo, exec_lo, s3
	v_and_b32_e32 v84, 0x7f800000, v80
	s_delay_alu instid0(VALU_DEP_1) | instskip(SKIP_1) | instid1(SALU_CYCLE_1)
	v_cmp_ne_u32_e32 vcc_lo, 0x7f800000, v84
                                        ; implicit-def: $vgpr84
	s_and_saveexec_b32 s3, vcc_lo
	s_xor_b32 s3, exec_lo, s3
; %bb.41:
	v_bfe_u32 v84, v80, 16, 1
	s_delay_alu instid0(VALU_DEP_1)
	v_add3_u32 v84, v80, v84, 0x7fff
                                        ; implicit-def: $vgpr80
; %bb.42:
	s_and_not1_saveexec_b32 s3, s3
; %bb.43:
	v_and_b32_e32 v84, 0xffff, v80
	v_or_b32_e32 v90, 0x10000, v80
	s_delay_alu instid0(VALU_DEP_2) | instskip(NEXT) | instid1(VALU_DEP_2)
	v_cmp_eq_u32_e32 vcc_lo, 0, v84
	v_cndmask_b32_e32 v84, v90, v80, vcc_lo
; %bb.44:
	s_or_b32 exec_lo, exec_lo, s3
	s_load_b64 s[34:35], s[0:1], 0x94
	v_lshlrev_b32_e32 v91, 4, v74
	s_delay_alu instid0(VALU_DEP_2)
	v_perm_b32 v90, v84, v87, 0x7060302
	v_dual_mul_f32 v79, v82, v79 :: v_dual_lshlrev_b32 v80, 6, v65
	v_dual_mul_f32 v77, v82, v77 :: v_dual_lshlrev_b32 v92, 11, v66
	v_mul_f32_e32 v84, v82, v70
	v_perm_b32 v89, v88, v89, 0x7060302
	v_perm_b32 v88, v86, v85, 0x7060302
	v_perm_b32 v87, v83, v76, 0x7060302
	v_mul_f32_e32 v70, v82, v81
	v_or3_b32 v76, v91, v92, v80
	v_dual_mul_f32 v78, v82, v78 :: v_dual_and_b32 v85, 0x7f800000, v84
	v_mul_f32_e32 v83, v82, v72
	v_mul_f32_e32 v81, v82, v71
	;; [unrolled: 1-line block ×3, first 2 shown]
	s_mov_b32 s3, exec_lo
	ds_store_b128 v76, v[87:90]
                                        ; implicit-def: $vgpr69
	v_cmpx_ne_u32_e32 0x7f800000, v85
	s_xor_b32 s3, exec_lo, s3
; %bb.45:
	v_bfe_u32 v69, v84, 16, 1
	s_delay_alu instid0(VALU_DEP_1)
	v_add3_u32 v69, v84, v69, 0x7fff
                                        ; implicit-def: $vgpr84
; %bb.46:
	s_and_not1_saveexec_b32 s3, s3
; %bb.47:
	v_and_b32_e32 v69, 0xffff, v84
	v_or_b32_e32 v71, 0x10000, v84
	s_delay_alu instid0(VALU_DEP_2) | instskip(NEXT) | instid1(VALU_DEP_2)
	v_cmp_eq_u32_e32 vcc_lo, 0, v69
	v_cndmask_b32_e32 v69, v71, v84, vcc_lo
; %bb.48:
	s_or_b32 exec_lo, exec_lo, s3
	v_and_b32_e32 v71, 0x7f800000, v72
	s_delay_alu instid0(VALU_DEP_1) | instskip(SKIP_1) | instid1(SALU_CYCLE_1)
	v_cmp_ne_u32_e32 vcc_lo, 0x7f800000, v71
                                        ; implicit-def: $vgpr71
	s_and_saveexec_b32 s3, vcc_lo
	s_xor_b32 s3, exec_lo, s3
; %bb.49:
	v_bfe_u32 v71, v72, 16, 1
	s_delay_alu instid0(VALU_DEP_1)
	v_add3_u32 v71, v72, v71, 0x7fff
                                        ; implicit-def: $vgpr72
; %bb.50:
	s_and_not1_saveexec_b32 s3, s3
; %bb.51:
	v_and_b32_e32 v71, 0xffff, v72
	v_or_b32_e32 v82, 0x10000, v72
	s_delay_alu instid0(VALU_DEP_2) | instskip(NEXT) | instid1(VALU_DEP_2)
	v_cmp_eq_u32_e32 vcc_lo, 0, v71
	v_cndmask_b32_e32 v71, v82, v72, vcc_lo
; %bb.52:
	s_or_b32 exec_lo, exec_lo, s3
	v_and_b32_e32 v72, 0x7f800000, v81
	s_delay_alu instid0(VALU_DEP_1) | instskip(SKIP_1) | instid1(SALU_CYCLE_1)
	v_cmp_ne_u32_e32 vcc_lo, 0x7f800000, v72
                                        ; implicit-def: $vgpr72
	s_and_saveexec_b32 s3, vcc_lo
	s_xor_b32 s3, exec_lo, s3
; %bb.53:
	v_bfe_u32 v72, v81, 16, 1
	s_delay_alu instid0(VALU_DEP_1)
	v_add3_u32 v72, v81, v72, 0x7fff
                                        ; implicit-def: $vgpr81
; %bb.54:
	s_and_not1_saveexec_b32 s3, s3
; %bb.55:
	v_and_b32_e32 v72, 0xffff, v81
	v_or_b32_e32 v82, 0x10000, v81
	s_delay_alu instid0(VALU_DEP_2) | instskip(NEXT) | instid1(VALU_DEP_2)
	v_cmp_eq_u32_e32 vcc_lo, 0, v72
	v_cndmask_b32_e32 v72, v82, v81, vcc_lo
; %bb.56:
	s_or_b32 exec_lo, exec_lo, s3
	v_and_b32_e32 v81, 0x7f800000, v83
	s_delay_alu instid0(VALU_DEP_1) | instskip(SKIP_1) | instid1(SALU_CYCLE_1)
	v_cmp_ne_u32_e32 vcc_lo, 0x7f800000, v81
                                        ; implicit-def: $vgpr81
	s_and_saveexec_b32 s3, vcc_lo
	s_xor_b32 s3, exec_lo, s3
; %bb.57:
	v_bfe_u32 v81, v83, 16, 1
	s_delay_alu instid0(VALU_DEP_1)
	v_add3_u32 v81, v83, v81, 0x7fff
                                        ; implicit-def: $vgpr83
; %bb.58:
	s_and_not1_saveexec_b32 s3, s3
; %bb.59:
	v_and_b32_e32 v81, 0xffff, v83
	v_or_b32_e32 v82, 0x10000, v83
	s_delay_alu instid0(VALU_DEP_2) | instskip(NEXT) | instid1(VALU_DEP_2)
	v_cmp_eq_u32_e32 vcc_lo, 0, v81
	v_cndmask_b32_e32 v81, v82, v83, vcc_lo
; %bb.60:
	s_or_b32 exec_lo, exec_lo, s3
	v_and_b32_e32 v82, 0x7f800000, v77
	s_delay_alu instid0(VALU_DEP_1) | instskip(SKIP_1) | instid1(SALU_CYCLE_1)
	v_cmp_ne_u32_e32 vcc_lo, 0x7f800000, v82
                                        ; implicit-def: $vgpr82
	s_and_saveexec_b32 s3, vcc_lo
	s_xor_b32 s3, exec_lo, s3
; %bb.61:
	v_bfe_u32 v82, v77, 16, 1
	s_delay_alu instid0(VALU_DEP_1)
	v_add3_u32 v82, v77, v82, 0x7fff
                                        ; implicit-def: $vgpr77
; %bb.62:
	s_and_not1_saveexec_b32 s3, s3
; %bb.63:
	v_and_b32_e32 v82, 0xffff, v77
	v_or_b32_e32 v83, 0x10000, v77
	s_delay_alu instid0(VALU_DEP_2) | instskip(NEXT) | instid1(VALU_DEP_2)
	v_cmp_eq_u32_e32 vcc_lo, 0, v82
	v_cndmask_b32_e32 v82, v83, v77, vcc_lo
; %bb.64:
	s_or_b32 exec_lo, exec_lo, s3
	v_and_b32_e32 v77, 0x7f800000, v78
	s_delay_alu instid0(VALU_DEP_1) | instskip(SKIP_1) | instid1(SALU_CYCLE_1)
	v_cmp_ne_u32_e32 vcc_lo, 0x7f800000, v77
                                        ; implicit-def: $vgpr77
	s_and_saveexec_b32 s3, vcc_lo
	s_xor_b32 s3, exec_lo, s3
; %bb.65:
	v_bfe_u32 v77, v78, 16, 1
	s_delay_alu instid0(VALU_DEP_1)
	v_add3_u32 v77, v78, v77, 0x7fff
                                        ; implicit-def: $vgpr78
; %bb.66:
	s_and_not1_saveexec_b32 s3, s3
; %bb.67:
	v_and_b32_e32 v77, 0xffff, v78
	v_or_b32_e32 v83, 0x10000, v78
	s_delay_alu instid0(VALU_DEP_2) | instskip(NEXT) | instid1(VALU_DEP_2)
	v_cmp_eq_u32_e32 vcc_lo, 0, v77
	v_cndmask_b32_e32 v77, v83, v78, vcc_lo
; %bb.68:
	s_or_b32 exec_lo, exec_lo, s3
	v_and_b32_e32 v78, 0x7f800000, v79
	s_delay_alu instid0(VALU_DEP_1) | instskip(SKIP_1) | instid1(SALU_CYCLE_1)
	v_cmp_ne_u32_e32 vcc_lo, 0x7f800000, v78
                                        ; implicit-def: $vgpr78
	s_and_saveexec_b32 s3, vcc_lo
	s_xor_b32 s3, exec_lo, s3
; %bb.69:
	v_bfe_u32 v78, v79, 16, 1
	s_delay_alu instid0(VALU_DEP_1)
	v_add3_u32 v78, v79, v78, 0x7fff
                                        ; implicit-def: $vgpr79
; %bb.70:
	s_and_not1_saveexec_b32 s3, s3
; %bb.71:
	v_and_b32_e32 v78, 0xffff, v79
	v_or_b32_e32 v83, 0x10000, v79
	s_delay_alu instid0(VALU_DEP_2) | instskip(NEXT) | instid1(VALU_DEP_2)
	v_cmp_eq_u32_e32 vcc_lo, 0, v78
	v_cndmask_b32_e32 v78, v83, v79, vcc_lo
; %bb.72:
	s_or_b32 exec_lo, exec_lo, s3
	v_and_b32_e32 v79, 0x7f800000, v70
	s_delay_alu instid0(VALU_DEP_1) | instskip(SKIP_1) | instid1(SALU_CYCLE_1)
	v_cmp_ne_u32_e32 vcc_lo, 0x7f800000, v79
                                        ; implicit-def: $vgpr79
	s_and_saveexec_b32 s3, vcc_lo
	s_xor_b32 s3, exec_lo, s3
; %bb.73:
	v_bfe_u32 v79, v70, 16, 1
	s_delay_alu instid0(VALU_DEP_1)
	v_add3_u32 v79, v70, v79, 0x7fff
                                        ; implicit-def: $vgpr70
; %bb.74:
	s_and_not1_saveexec_b32 s3, s3
; %bb.75:
	v_and_b32_e32 v79, 0xffff, v70
	v_or_b32_e32 v83, 0x10000, v70
	s_delay_alu instid0(VALU_DEP_2) | instskip(NEXT) | instid1(VALU_DEP_2)
	v_cmp_eq_u32_e32 vcc_lo, 0, v79
	v_cndmask_b32_e32 v79, v83, v70, vcc_lo
; %bb.76:
	s_or_b32 exec_lo, exec_lo, s3
	s_delay_alu instid0(VALU_DEP_1)
	v_perm_b32 v86, v79, v78, 0x7060302
	v_perm_b32 v85, v77, v82, 0x7060302
	;; [unrolled: 1-line block ×4, first 2 shown]
	v_lshl_or_b32 v82, v66, 11, v80
	ds_store_b128 v76, v[83:86] offset:1024
	s_waitcnt lgkmcnt(0)
	s_barrier
	buffer_gl0_inv
	ds_load_b128 v[69:72], v82
	ds_load_b128 v[83:86], v82 offset:16
	s_waitcnt lgkmcnt(1)
	v_lshrrev_b32_e32 v66, 16, v69
	s_waitcnt lgkmcnt(0)
	v_lshrrev_b32_e32 v91, 16, v83
	v_lshlrev_b32_e32 v78, 2, v74
	v_lshrrev_b32_e32 v95, 16, v70
	v_lshrrev_b32_e32 v98, 16, v84
	;; [unrolled: 1-line block ×4, first 2 shown]
	v_cmp_eq_u32_e32 vcc_lo, 1, v78
	v_lshrrev_b32_e32 v97, 16, v72
	v_lshrrev_b32_e32 v100, 16, v86
	v_cndmask_b32_e32 v87, v83, v91, vcc_lo
	v_or_b32_e32 v79, 1, v78
	v_cndmask_b32_e32 v81, v69, v66, vcc_lo
	v_cmp_eq_u32_e64 s4, 2, v78
	v_cmp_eq_u32_e64 s7, 3, v78
	;; [unrolled: 1-line block ×5, first 2 shown]
	v_cndmask_b32_e64 v81, v81, v70, s4
	v_cndmask_b32_e64 v87, v87, v84, s4
	v_cmp_eq_u32_e64 s8, 3, v79
	v_cndmask_b32_e64 v88, v69, v66, s3
	v_or_b32_e32 v77, 2, v78
	v_cndmask_b32_e64 v81, v81, v95, s7
	v_cndmask_b32_e64 v87, v87, v98, s7
	;; [unrolled: 1-line block ×4, first 2 shown]
	v_cmp_eq_u32_e64 s10, 5, v78
	v_cndmask_b32_e64 v81, v81, v71, s9
	v_cndmask_b32_e64 v87, v87, v85, s9
	v_cmp_eq_u32_e64 s11, 4, v79
	v_cndmask_b32_e64 v88, v88, v95, s8
	v_cmp_eq_u32_e64 s5, 1, v77
	v_cndmask_b32_e64 v89, v89, v84, s6
	v_cndmask_b32_e64 v81, v81, v96, s10
	v_cmp_eq_u32_e64 s12, 6, v78
	v_cndmask_b32_e64 v88, v88, v71, s11
	;; [unrolled: 3-line block ×3, first 2 shown]
	v_cndmask_b32_e64 v89, v89, v98, s8
	v_cndmask_b32_e64 v81, v81, v72, s12
	v_cmp_eq_u32_e64 s15, 7, v78
	v_cndmask_b32_e64 v88, v88, v96, s13
	v_cndmask_b32_e64 v87, v87, v86, s12
	v_cmp_eq_u32_e64 s16, 6, v79
	v_cmp_eq_u32_e64 s17, 2, v77
	v_cndmask_b32_e64 v89, v89, v85, s11
	v_cndmask_b32_e64 v101, v81, v97, s15
	;; [unrolled: 1-line block ×6, first 2 shown]
	v_cmp_eq_u32_e64 s18, 7, v79
	v_cmp_eq_u32_e64 s19, 3, v77
	;; [unrolled: 1-line block ×4, first 2 shown]
	v_cndmask_b32_e64 v87, v87, v84, s17
	v_cndmask_b32_e64 v103, v88, v97, s18
	;; [unrolled: 1-line block ×4, first 2 shown]
	v_or_b32_e32 v81, 3, v78
	v_cndmask_b32_e64 v93, v87, v98, s19
	v_cmp_eq_u32_e64 s24, 6, v77
	v_cndmask_b32_e64 v104, v88, v86, s16
	v_cndmask_b32_e64 v92, v89, v71, s20
	v_cmp_eq_u32_e64 s21, 1, v81
	ds_load_b128 v[87:90], v82 offset:1024
	v_cmp_eq_u32_e64 s23, 2, v81
	v_cmp_eq_u32_e64 s25, 3, v81
	v_cndmask_b32_e64 v105, v92, v96, s22
	v_cndmask_b32_e64 v66, v69, v66, s21
	;; [unrolled: 1-line block ×4, first 2 shown]
	ds_load_b128 v[91:94], v82 offset:1040
	v_cmp_eq_u32_e64 s26, 4, v81
	v_cndmask_b32_e64 v66, v66, v70, s23
	v_cmp_eq_u32_e64 s27, 7, v77
	v_cndmask_b32_e64 v70, v83, v84, s23
	v_cndmask_b32_e64 v84, v105, v72, s24
	v_cmp_eq_u32_e64 s28, 5, v81
	v_cndmask_b32_e64 v66, v66, v95, s25
	v_cmp_eq_u32_e64 s29, 6, v81
	v_cndmask_b32_e64 v70, v70, v98, s25
	v_cndmask_b32_e64 v69, v69, v99, s22
	;; [unrolled: 1-line block ×4, first 2 shown]
	s_waitcnt lgkmcnt(1)
	v_lshrrev_b32_e32 v95, 16, v87
	v_cndmask_b32_e64 v70, v70, v85, s26
	v_cndmask_b32_e64 v71, v84, v97, s27
	;; [unrolled: 1-line block ×4, first 2 shown]
	v_cndmask_b32_e32 v84, v87, v95, vcc_lo
	v_cndmask_b32_e64 v70, v70, v99, s28
	s_waitcnt lgkmcnt(0)
	v_lshrrev_b32_e32 v85, 16, v91
	v_lshrrev_b32_e32 v96, 16, v88
	v_cndmask_b32_e64 v98, v87, v95, s3
	v_cndmask_b32_e64 v84, v84, v88, s4
	;; [unrolled: 1-line block ×3, first 2 shown]
	v_cndmask_b32_e32 v99, v91, v85, vcc_lo
	v_cmp_eq_u32_e32 vcc_lo, 7, v81
	v_cndmask_b32_e64 v66, v66, v72, s29
	v_cndmask_b32_e64 v72, v84, v96, s7
	;; [unrolled: 1-line block ×3, first 2 shown]
	v_lshrrev_b32_e32 v98, 16, v92
	v_cndmask_b32_e32 v70, v70, v100, vcc_lo
	v_cndmask_b32_e64 v86, v99, v92, s4
	v_cndmask_b32_e64 v69, v69, v100, s27
	v_lshrrev_b32_e32 v100, 16, v93
	v_cndmask_b32_e64 v72, v72, v89, s9
	v_lshrrev_b32_e32 v99, 16, v89
	v_cndmask_b32_e64 v86, v86, v98, s7
	v_perm_b32 v71, v69, v71, 0x5040100
	v_cndmask_b32_e64 v84, v84, v96, s8
	s_delay_alu instid0(VALU_DEP_3) | instskip(NEXT) | instid1(VALU_DEP_2)
	v_cndmask_b32_e64 v86, v86, v93, s9
	v_cndmask_b32_e64 v84, v84, v89, s11
	s_delay_alu instid0(VALU_DEP_2) | instskip(NEXT) | instid1(VALU_DEP_1)
	v_cndmask_b32_e64 v86, v86, v100, s10
	v_cndmask_b32_e64 v69, v86, v94, s12
	;; [unrolled: 1-line block ×5, first 2 shown]
	s_delay_alu instid0(VALU_DEP_3) | instskip(NEXT) | instid1(VALU_DEP_3)
	v_cndmask_b32_e64 v86, v86, v88, s17
	v_cndmask_b32_e64 v87, v87, v88, s23
	s_delay_alu instid0(VALU_DEP_3) | instskip(NEXT) | instid1(VALU_DEP_3)
	v_cndmask_b32_e64 v88, v95, v92, s23
	v_cndmask_b32_e64 v86, v86, v96, s19
	s_delay_alu instid0(VALU_DEP_3) | instskip(NEXT) | instid1(VALU_DEP_3)
	v_cndmask_b32_e64 v87, v87, v96, s25
	v_cndmask_b32_e64 v88, v88, v98, s25
	s_delay_alu instid0(VALU_DEP_3) | instskip(NEXT) | instid1(VALU_DEP_3)
	v_cndmask_b32_e64 v86, v86, v89, s20
	v_cndmask_b32_e64 v87, v87, v89, s26
	s_delay_alu instid0(VALU_DEP_3) | instskip(NEXT) | instid1(VALU_DEP_3)
	v_cndmask_b32_e64 v88, v88, v93, s26
	v_cndmask_b32_e64 v86, v86, v99, s22
	s_delay_alu instid0(VALU_DEP_3) | instskip(NEXT) | instid1(VALU_DEP_3)
	v_cndmask_b32_e64 v87, v87, v99, s28
	v_cndmask_b32_e64 v88, v88, v100, s28
	s_delay_alu instid0(VALU_DEP_3) | instskip(NEXT) | instid1(VALU_DEP_3)
	v_cndmask_b32_e64 v86, v86, v90, s24
	v_cndmask_b32_e64 v87, v87, v90, s29
	s_delay_alu instid0(VALU_DEP_3) | instskip(SKIP_2) | instid1(VALU_DEP_2)
	v_cndmask_b32_e64 v88, v88, v94, s29
	v_cndmask_b32_e32 v66, v66, v97, vcc_lo
	v_cndmask_b32_e64 v97, v72, v99, s10
	v_perm_b32 v72, v70, v66, 0x5040100
	v_perm_b32 v70, v83, v103, 0x5040100
	v_cndmask_b32_e64 v103, v91, v85, s5
	v_cndmask_b32_e64 v85, v91, v85, s3
	;; [unrolled: 1-line block ×4, first 2 shown]
	v_lshrrev_b32_e32 v97, 16, v90
	v_cndmask_b32_e64 v91, v103, v92, s17
	v_cndmask_b32_e64 v85, v85, v92, s6
	;; [unrolled: 1-line block ×3, first 2 shown]
	s_mov_b32 s3, exec_lo
	v_cndmask_b32_e64 v83, v84, v97, s15
	v_cndmask_b32_e64 v91, v91, v98, s19
	;; [unrolled: 1-line block ×3, first 2 shown]
	v_lshrrev_b32_e32 v84, 16, v94
	v_cndmask_b32_e64 v66, v66, v97, s18
	v_cndmask_b32_e64 v90, v86, v97, s27
	;; [unrolled: 1-line block ×4, first 2 shown]
	v_dual_cndmask_b32 v86, v87, v97 :: v_dual_cndmask_b32 v87, v88, v84
	v_cndmask_b32_e64 v91, v69, v84, s15
	s_delay_alu instid0(VALU_DEP_4) | instskip(NEXT) | instid1(VALU_DEP_4)
	v_cndmask_b32_e64 v89, v89, v100, s22
	v_cndmask_b32_e64 v85, v85, v100, s13
	v_perm_b32 v69, v102, v101, 0x5040100
	v_perm_b32 v86, v87, v86, 0x5040100
	;; [unrolled: 1-line block ×3, first 2 shown]
	v_cndmask_b32_e64 v89, v89, v94, s24
	v_cndmask_b32_e64 v85, v85, v94, s16
	s_mul_i32 s8, s35, 5
	s_delay_alu instid0(VALU_DEP_2) | instskip(NEXT) | instid1(VALU_DEP_2)
	v_cndmask_b32_e64 v88, v89, v84, s27
	v_cndmask_b32_e64 v89, v85, v84, s18
	s_delay_alu instid0(VALU_DEP_2) | instskip(NEXT) | instid1(VALU_DEP_2)
	v_perm_b32 v85, v88, v90, 0x5040100
	v_perm_b32 v84, v89, v66, 0x5040100
	ds_store_b128 v76, v[69:72]
	ds_store_b128 v76, v[83:86] offset:1024
	v_cmpx_gt_u32_e32 5, v0
	s_cbranch_execz .LBB1510_78
; %bb.77:
	s_mul_i32 s4, s8, s30
	s_delay_alu instid0(SALU_CYCLE_1) | instskip(SKIP_1) | instid1(VALU_DEP_1)
	v_add3_u32 v69, s4, s31, v65
	s_load_b128 s[4:7], s[0:1], 0x58
	v_mad_u64_u32 v[65:66], null, v69, s34, s[14:15]
	s_delay_alu instid0(VALU_DEP_1) | instskip(NEXT) | instid1(VALU_DEP_1)
	v_ashrrev_i32_e32 v66, 31, v65
	v_lshlrev_b64 v[65:66], 2, v[65:66]
	s_waitcnt lgkmcnt(0)
	s_delay_alu instid0(VALU_DEP_1) | instskip(NEXT) | instid1(VALU_DEP_2)
	v_add_co_u32 v69, vcc_lo, s6, v65
	v_add_co_ci_u32_e32 v70, vcc_lo, s7, v66, vcc_lo
	v_add_co_u32 v65, vcc_lo, s4, v65
	v_add_co_ci_u32_e32 v66, vcc_lo, s5, v66, vcc_lo
	global_store_b32 v[69:70], v67, off
	global_store_b32 v[65:66], v68, off
.LBB1510_78:
	s_or_b32 exec_lo, exec_lo, s3
	s_waitcnt lgkmcnt(0)
	s_waitcnt_vscnt null, 0x0
	s_barrier
	buffer_gl0_inv
	ds_load_b128 v[83:86], v80
	ds_load_b128 v[87:90], v80 offset:16
	ds_load_b128 v[95:98], v80 offset:2064
	;; [unrolled: 1-line block ×3, first 2 shown]
	v_mov_b32_e32 v65, 0
	ds_load_b128 v[103:106], v80 offset:4112
	ds_load_b128 v[99:102], v80 offset:4096
	ds_load_b128 v[111:114], v80 offset:6160
	ds_load_b128 v[107:110], v80 offset:6144
	v_mov_b32_e32 v66, v65
	v_mov_b32_e32 v67, v65
	;; [unrolled: 1-line block ×7, first 2 shown]
	s_waitcnt lgkmcnt(6)
	s_delay_alu instid0(VALU_DEP_1)
	v_wmma_f32_16x16x16_bf16 v[65:72], v[41:48], v[83:90], v[65:72]
	ds_load_b128 v[45:48], v80 offset:8208
	ds_load_b128 v[41:44], v80 offset:8192
	s_waitcnt lgkmcnt(6)
	v_wmma_f32_16x16x16_bf16 v[65:72], v[33:40], v[91:98], v[65:72]
	ds_load_b128 v[37:40], v80 offset:10256
	ds_load_b128 v[33:36], v80 offset:10240
	s_waitcnt lgkmcnt(6)
	;; [unrolled: 4-line block ×4, first 2 shown]
	v_wmma_f32_16x16x16_bf16 v[65:72], v[1:8], v[41:48], v[65:72]
	s_waitcnt lgkmcnt(4)
	s_delay_alu instid0(VALU_DEP_1) | instskip(SKIP_1) | instid1(VALU_DEP_1)
	v_wmma_f32_16x16x16_bf16 v[65:72], v[9:16], v[33:40], v[65:72]
	s_waitcnt lgkmcnt(2)
	v_wmma_f32_16x16x16_bf16 v[65:72], v[57:64], v[25:32], v[65:72]
	s_waitcnt lgkmcnt(0)
	s_delay_alu instid0(VALU_DEP_1) | instskip(NEXT) | instid1(VALU_DEP_1)
	v_wmma_f32_16x16x16_bf16 v[65:72], v[49:56], v[17:24], v[65:72]
	v_and_b32_e32 v1, 0x7f800000, v65
	s_delay_alu instid0(VALU_DEP_1) | instskip(SKIP_1) | instid1(SALU_CYCLE_1)
	v_cmp_ne_u32_e32 vcc_lo, 0x7f800000, v1
                                        ; implicit-def: $vgpr1
	s_and_saveexec_b32 s3, vcc_lo
	s_xor_b32 s3, exec_lo, s3
; %bb.79:
	v_bfe_u32 v1, v65, 16, 1
	s_delay_alu instid0(VALU_DEP_1)
	v_add3_u32 v1, v65, v1, 0x7fff
; %bb.80:
	s_and_not1_saveexec_b32 s3, s3
; %bb.81:
	v_and_b32_e32 v1, 0xffff, v65
	v_or_b32_e32 v2, 0x10000, v65
	s_delay_alu instid0(VALU_DEP_2) | instskip(NEXT) | instid1(VALU_DEP_2)
	v_cmp_eq_u32_e32 vcc_lo, 0, v1
	v_cndmask_b32_e32 v1, v2, v65, vcc_lo
; %bb.82:
	s_or_b32 exec_lo, exec_lo, s3
	v_and_b32_e32 v2, 0x7f800000, v66
	s_delay_alu instid0(VALU_DEP_1) | instskip(SKIP_1) | instid1(SALU_CYCLE_1)
	v_cmp_ne_u32_e32 vcc_lo, 0x7f800000, v2
                                        ; implicit-def: $vgpr2
	s_and_saveexec_b32 s3, vcc_lo
	s_xor_b32 s3, exec_lo, s3
; %bb.83:
	v_bfe_u32 v2, v66, 16, 1
	s_delay_alu instid0(VALU_DEP_1)
	v_add3_u32 v2, v66, v2, 0x7fff
; %bb.84:
	s_and_not1_saveexec_b32 s3, s3
; %bb.85:
	v_and_b32_e32 v2, 0xffff, v66
	v_or_b32_e32 v3, 0x10000, v66
	s_delay_alu instid0(VALU_DEP_2) | instskip(NEXT) | instid1(VALU_DEP_2)
	v_cmp_eq_u32_e32 vcc_lo, 0, v2
	v_cndmask_b32_e32 v2, v3, v66, vcc_lo
; %bb.86:
	s_or_b32 exec_lo, exec_lo, s3
	v_and_b32_e32 v3, 0x7f800000, v67
	s_delay_alu instid0(VALU_DEP_1) | instskip(SKIP_1) | instid1(SALU_CYCLE_1)
	v_cmp_ne_u32_e32 vcc_lo, 0x7f800000, v3
                                        ; implicit-def: $vgpr3
	s_and_saveexec_b32 s3, vcc_lo
	s_xor_b32 s3, exec_lo, s3
; %bb.87:
	v_bfe_u32 v3, v67, 16, 1
	s_delay_alu instid0(VALU_DEP_1)
	v_add3_u32 v3, v67, v3, 0x7fff
; %bb.88:
	s_and_not1_saveexec_b32 s3, s3
; %bb.89:
	v_and_b32_e32 v3, 0xffff, v67
	v_or_b32_e32 v4, 0x10000, v67
	s_delay_alu instid0(VALU_DEP_2) | instskip(NEXT) | instid1(VALU_DEP_2)
	v_cmp_eq_u32_e32 vcc_lo, 0, v3
	v_cndmask_b32_e32 v3, v4, v67, vcc_lo
; %bb.90:
	s_or_b32 exec_lo, exec_lo, s3
	v_and_b32_e32 v4, 0x7f800000, v68
	s_delay_alu instid0(VALU_DEP_1) | instskip(SKIP_1) | instid1(SALU_CYCLE_1)
	v_cmp_ne_u32_e32 vcc_lo, 0x7f800000, v4
                                        ; implicit-def: $vgpr4
	s_and_saveexec_b32 s3, vcc_lo
	s_xor_b32 s3, exec_lo, s3
; %bb.91:
	v_bfe_u32 v4, v68, 16, 1
	s_delay_alu instid0(VALU_DEP_1)
	v_add3_u32 v4, v68, v4, 0x7fff
; %bb.92:
	s_and_not1_saveexec_b32 s3, s3
; %bb.93:
	v_and_b32_e32 v4, 0xffff, v68
	v_or_b32_e32 v5, 0x10000, v68
	s_delay_alu instid0(VALU_DEP_2) | instskip(NEXT) | instid1(VALU_DEP_2)
	v_cmp_eq_u32_e32 vcc_lo, 0, v4
	v_cndmask_b32_e32 v4, v5, v68, vcc_lo
; %bb.94:
	s_or_b32 exec_lo, exec_lo, s3
	v_and_b32_e32 v5, 0x7f800000, v69
	s_delay_alu instid0(VALU_DEP_1) | instskip(SKIP_1) | instid1(SALU_CYCLE_1)
	v_cmp_ne_u32_e32 vcc_lo, 0x7f800000, v5
                                        ; implicit-def: $vgpr5
	s_and_saveexec_b32 s3, vcc_lo
	s_xor_b32 s3, exec_lo, s3
; %bb.95:
	v_bfe_u32 v5, v69, 16, 1
	s_delay_alu instid0(VALU_DEP_1)
	v_add3_u32 v5, v69, v5, 0x7fff
; %bb.96:
	s_and_not1_saveexec_b32 s3, s3
; %bb.97:
	v_and_b32_e32 v5, 0xffff, v69
	v_or_b32_e32 v6, 0x10000, v69
	s_delay_alu instid0(VALU_DEP_2) | instskip(NEXT) | instid1(VALU_DEP_2)
	v_cmp_eq_u32_e32 vcc_lo, 0, v5
	v_cndmask_b32_e32 v5, v6, v69, vcc_lo
; %bb.98:
	s_or_b32 exec_lo, exec_lo, s3
	v_and_b32_e32 v6, 0x7f800000, v70
	s_delay_alu instid0(VALU_DEP_1) | instskip(SKIP_1) | instid1(SALU_CYCLE_1)
	v_cmp_ne_u32_e32 vcc_lo, 0x7f800000, v6
                                        ; implicit-def: $vgpr6
	s_and_saveexec_b32 s3, vcc_lo
	s_xor_b32 s3, exec_lo, s3
; %bb.99:
	v_bfe_u32 v6, v70, 16, 1
	s_delay_alu instid0(VALU_DEP_1)
	v_add3_u32 v6, v70, v6, 0x7fff
; %bb.100:
	s_and_not1_saveexec_b32 s3, s3
; %bb.101:
	v_and_b32_e32 v6, 0xffff, v70
	v_or_b32_e32 v7, 0x10000, v70
	s_delay_alu instid0(VALU_DEP_2) | instskip(NEXT) | instid1(VALU_DEP_2)
	v_cmp_eq_u32_e32 vcc_lo, 0, v6
	v_cndmask_b32_e32 v6, v7, v70, vcc_lo
; %bb.102:
	s_or_b32 exec_lo, exec_lo, s3
	v_and_b32_e32 v7, 0x7f800000, v71
	s_delay_alu instid0(VALU_DEP_1) | instskip(SKIP_1) | instid1(SALU_CYCLE_1)
	v_cmp_ne_u32_e32 vcc_lo, 0x7f800000, v7
                                        ; implicit-def: $vgpr7
	s_and_saveexec_b32 s3, vcc_lo
	s_xor_b32 s3, exec_lo, s3
; %bb.103:
	v_bfe_u32 v7, v71, 16, 1
	s_delay_alu instid0(VALU_DEP_1)
	v_add3_u32 v7, v71, v7, 0x7fff
; %bb.104:
	s_and_not1_saveexec_b32 s3, s3
; %bb.105:
	v_and_b32_e32 v7, 0xffff, v71
	v_or_b32_e32 v8, 0x10000, v71
	s_delay_alu instid0(VALU_DEP_2) | instskip(NEXT) | instid1(VALU_DEP_2)
	v_cmp_eq_u32_e32 vcc_lo, 0, v7
	v_cndmask_b32_e32 v7, v8, v71, vcc_lo
; %bb.106:
	s_or_b32 exec_lo, exec_lo, s3
	v_and_b32_e32 v8, 0x7f800000, v72
	s_delay_alu instid0(VALU_DEP_1) | instskip(SKIP_1) | instid1(SALU_CYCLE_1)
	v_cmp_ne_u32_e32 vcc_lo, 0x7f800000, v8
                                        ; implicit-def: $vgpr8
	s_and_saveexec_b32 s3, vcc_lo
	s_xor_b32 s3, exec_lo, s3
; %bb.107:
	v_bfe_u32 v8, v72, 16, 1
	s_delay_alu instid0(VALU_DEP_1)
	v_add3_u32 v8, v72, v8, 0x7fff
                                        ; implicit-def: $vgpr65_vgpr66_vgpr67_vgpr68_vgpr69_vgpr70_vgpr71_vgpr72
; %bb.108:
	s_and_not1_saveexec_b32 s3, s3
; %bb.109:
	v_and_b32_e32 v8, 0xffff, v72
	v_or_b32_e32 v9, 0x10000, v72
	s_delay_alu instid0(VALU_DEP_2) | instskip(NEXT) | instid1(VALU_DEP_2)
	v_cmp_eq_u32_e32 vcc_lo, 0, v8
	v_cndmask_b32_e32 v8, v9, v72, vcc_lo
; %bb.110:
	s_or_b32 exec_lo, exec_lo, s3
	s_delay_alu instid0(VALU_DEP_1)
	v_perm_b32 v7, v8, v7, 0x7060302
	v_perm_b32 v6, v6, v5, 0x7060302
	;; [unrolled: 1-line block ×4, first 2 shown]
	s_barrier
	buffer_gl0_inv
	v_cmp_eq_u32_e32 vcc_lo, 1, v78
	ds_store_b128 v76, v[4:7]
	s_waitcnt lgkmcnt(0)
	s_barrier
	buffer_gl0_inv
	ds_load_b128 v[1:4], v82
	ds_load_b128 v[5:8], v82 offset:16
	v_cmp_eq_u32_e64 s3, 1, v79
	v_cmp_eq_u32_e64 s4, 2, v78
	;; [unrolled: 1-line block ×5, first 2 shown]
	s_waitcnt lgkmcnt(1)
	v_lshrrev_b32_e32 v9, 16, v1
	s_waitcnt lgkmcnt(0)
	v_lshrrev_b32_e32 v13, 16, v5
	v_lshrrev_b32_e32 v10, 16, v2
	;; [unrolled: 1-line block ×4, first 2 shown]
	v_cndmask_b32_e64 v19, v1, v9, s3
	v_cndmask_b32_e32 v18, v5, v13, vcc_lo
	v_cndmask_b32_e64 v20, v5, v13, s3
	v_cndmask_b32_e32 v17, v1, v9, vcc_lo
	v_cmp_eq_u32_e32 vcc_lo, 2, v79
	v_lshrrev_b32_e32 v15, 16, v7
	v_cmp_eq_u32_e64 s3, 1, v77
	v_lshrrev_b32_e32 v12, 16, v4
	v_lshrrev_b32_e32 v16, 16, v8
	v_cndmask_b32_e32 v20, v20, v6, vcc_lo
	v_cndmask_b32_e64 v17, v17, v2, s4
	v_cndmask_b32_e32 v19, v19, v2, vcc_lo
	v_cndmask_b32_e64 v18, v18, v6, s4
	v_cmp_eq_u32_e32 vcc_lo, 4, v78
	v_cmp_eq_u32_e64 s4, 3, v79
	v_cndmask_b32_e64 v17, v17, v10, s5
	v_cndmask_b32_e64 v21, v1, v9, s3
	;; [unrolled: 1-line block ×5, first 2 shown]
	v_cndmask_b32_e32 v17, v17, v3, vcc_lo
	v_cndmask_b32_e64 v20, v20, v14, s4
	v_cndmask_b32_e32 v18, v18, v7, vcc_lo
	v_cmp_eq_u32_e32 vcc_lo, 4, v79
	v_cmp_eq_u32_e64 s4, 5, v79
	v_cmp_eq_u32_e64 s3, 2, v81
	v_cndmask_b32_e64 v21, v21, v2, s7
	v_cmp_eq_u32_e64 s5, 5, v78
	v_cndmask_b32_e32 v19, v19, v3, vcc_lo
	v_cndmask_b32_e32 v20, v20, v7, vcc_lo
	v_cmp_eq_u32_e32 vcc_lo, 6, v79
	s_delay_alu instid0(VALU_DEP_4) | instskip(NEXT) | instid1(VALU_DEP_4)
	v_cndmask_b32_e64 v17, v17, v11, s5
	v_cndmask_b32_e64 v19, v19, v11, s4
	s_delay_alu instid0(VALU_DEP_4) | instskip(SKIP_1) | instid1(VALU_DEP_3)
	v_cndmask_b32_e64 v20, v20, v15, s4
	v_cmp_eq_u32_e64 s4, 1, v81
	v_cndmask_b32_e32 v19, v19, v4, vcc_lo
	v_cndmask_b32_e64 v18, v18, v15, s5
	s_delay_alu instid0(VALU_DEP_3)
	v_cndmask_b32_e64 v1, v1, v9, s4
	v_cndmask_b32_e64 v5, v5, v13, s4
	v_cmp_eq_u32_e64 s4, 3, v77
	v_cndmask_b32_e64 v13, v22, v6, s7
	v_cmp_eq_u32_e64 s7, 3, v81
	v_cndmask_b32_e64 v1, v1, v2, s3
	v_cndmask_b32_e64 v2, v5, v6, s3
	;; [unrolled: 1-line block ×3, first 2 shown]
	v_cmp_eq_u32_e64 s3, 4, v77
	v_cndmask_b32_e64 v6, v13, v14, s4
	v_cndmask_b32_e64 v1, v1, v10, s7
	v_cmp_eq_u32_e64 s4, 4, v81
	v_cndmask_b32_e64 v2, v2, v14, s7
	v_cndmask_b32_e64 v5, v9, v3, s3
	;; [unrolled: 3-line block ×3, first 2 shown]
	v_cndmask_b32_e64 v2, v2, v7, s4
	v_cmp_eq_u32_e64 s3, 5, v81
	v_cmp_eq_u32_e64 s5, 6, v78
	v_cndmask_b32_e64 v5, v5, v11, s7
	v_cmp_eq_u32_e64 s4, 6, v77
	v_cndmask_b32_e64 v3, v6, v15, s7
	v_cndmask_b32_e64 v1, v1, v11, s3
	v_cmp_eq_u32_e64 s7, 6, v81
	v_cndmask_b32_e64 v2, v2, v15, s3
	v_cndmask_b32_e64 v17, v17, v4, s5
	v_cndmask_b32_e64 v18, v18, v8, s5
	v_cmp_eq_u32_e64 s5, 7, v78
	v_cndmask_b32_e64 v5, v5, v4, s4
	;; [unrolled: 4-line block ×3, first 2 shown]
	v_cmp_eq_u32_e64 s4, 7, v77
	v_cndmask_b32_e32 v4, v20, v8, vcc_lo
	v_cndmask_b32_e64 v17, v17, v12, s5
	v_cndmask_b32_e64 v19, v19, v12, s6
	;; [unrolled: 1-line block ×8, first 2 shown]
	s_mov_b32 s3, exec_lo
	v_perm_b32 v4, v2, v1, 0x5040100
	v_perm_b32 v3, v3, v5, 0x5040100
	;; [unrolled: 1-line block ×4, first 2 shown]
	ds_store_b128 v76, v[1:4]
	s_waitcnt lgkmcnt(0)
	s_barrier
	buffer_gl0_inv
	v_cmpx_gt_u32_e32 32, v0
	s_cbranch_execz .LBB1510_2
; %bb.111:
	s_load_b64 s[4:5], s[0:1], 0x68
	v_lshlrev_b32_e32 v0, 10, v0
	v_add_nc_u32_e32 v2, s31, v74
	v_lshlrev_b32_e32 v3, 4, v75
	s_lshl_b32 s0, s34, 7
	s_delay_alu instid0(SALU_CYCLE_1) | instskip(NEXT) | instid1(VALU_DEP_2)
	s_mul_i32 s1, s0, s30
	v_mul_lo_u32 v1, v2, s0
	s_delay_alu instid0(VALU_DEP_2) | instskip(SKIP_2) | instid1(SALU_CYCLE_1)
	v_and_or_b32 v0, 0x3800, v0, v3
	v_add_nc_u32_e32 v2, 2, v2
	s_mul_i32 s6, s1, s8
	s_ashr_i32 s7, s6, 31
	s_delay_alu instid0(VALU_DEP_2)
	v_lshl_or_b32 v7, v74, 6, v0
	s_lshl_b64 s[6:7], s[6:7], 1
	v_mul_lo_u32 v11, v2, s0
	v_ashrrev_i32_e32 v2, 31, v1
	ds_load_b128 v[3:6], v7
	ds_load_b128 v[7:10], v7 offset:128
	s_waitcnt lgkmcnt(0)
	s_add_u32 s1, s4, s6
	s_addc_u32 s3, s5, s7
	s_lshl_b32 s4, s14, 7
	v_ashrrev_i32_e32 v12, 31, v11
	s_ashr_i32 s5, s4, 31
	v_lshlrev_b64 v[13:14], 1, v[1:2]
	s_lshl_b64 s[4:5], s[4:5], 1
	s_delay_alu instid0(SALU_CYCLE_1) | instskip(SKIP_2) | instid1(VALU_DEP_1)
	s_add_u32 s1, s1, s4
	s_addc_u32 s3, s3, s5
	v_add_co_u32 v1, s1, s1, v73
	v_add_co_ci_u32_e64 v2, null, s3, 0, s1
	v_lshlrev_b64 v[11:12], 1, v[11:12]
	s_delay_alu instid0(VALU_DEP_3) | instskip(NEXT) | instid1(VALU_DEP_3)
	v_add_co_u32 v13, vcc_lo, v1, v13
	v_add_co_ci_u32_e32 v14, vcc_lo, v2, v14, vcc_lo
	s_delay_alu instid0(VALU_DEP_3) | instskip(NEXT) | instid1(VALU_DEP_4)
	v_add_co_u32 v11, vcc_lo, v1, v11
	v_add_co_ci_u32_e32 v12, vcc_lo, v2, v12, vcc_lo
	s_clause 0x1
	global_store_b128 v[13:14], v[3:6], off
	global_store_b128 v[11:12], v[7:10], off
	s_and_b32 exec_lo, exec_lo, s2
	s_cbranch_execz .LBB1510_2
; %bb.112:
	ds_load_b128 v[3:6], v0 offset:256
	s_add_i32 s1, s31, 4
	s_delay_alu instid0(SALU_CYCLE_1) | instskip(NEXT) | instid1(SALU_CYCLE_1)
	s_mul_i32 s0, s1, s0
	s_ashr_i32 s1, s0, 31
	s_delay_alu instid0(SALU_CYCLE_1) | instskip(NEXT) | instid1(SALU_CYCLE_1)
	s_lshl_b64 s[0:1], s[0:1], 1
	v_add_co_u32 v0, vcc_lo, v1, s0
	v_add_co_ci_u32_e32 v1, vcc_lo, s1, v2, vcc_lo
	s_waitcnt lgkmcnt(0)
	global_store_b128 v[0:1], v[3:6], off
	s_nop 0
	s_sendmsg sendmsg(MSG_DEALLOC_VGPRS)
	s_endpgm
	.section	.rodata,"a",@progbits
	.p2align	6, 0x0
	.amdhsa_kernel _Z39paged_attention_ll4mi_QKV_mfma16_kernelI14__hip_bfloat16hLN4vllm18Fp8KVCacheDataTypeE1EhLi16ELi128ELi256ELb1ELi5EL8MFMAType1EEvPKT_PKT0_S9_ifPKiSB_SB_iPKfiiiPfSE_PS4_PT2_iSD_SD_
		.amdhsa_group_segment_fixed_size 17472
		.amdhsa_private_segment_fixed_size 0
		.amdhsa_kernarg_size 400
		.amdhsa_user_sgpr_count 13
		.amdhsa_user_sgpr_dispatch_ptr 0
		.amdhsa_user_sgpr_queue_ptr 0
		.amdhsa_user_sgpr_kernarg_segment_ptr 1
		.amdhsa_user_sgpr_dispatch_id 0
		.amdhsa_user_sgpr_private_segment_size 0
		.amdhsa_wavefront_size32 1
		.amdhsa_uses_dynamic_stack 0
		.amdhsa_enable_private_segment 0
		.amdhsa_system_sgpr_workgroup_id_x 1
		.amdhsa_system_sgpr_workgroup_id_y 1
		.amdhsa_system_sgpr_workgroup_id_z 1
		.amdhsa_system_sgpr_workgroup_info 0
		.amdhsa_system_vgpr_workitem_id 0
		.amdhsa_next_free_vgpr 140
		.amdhsa_next_free_sgpr 36
		.amdhsa_reserve_vcc 1
		.amdhsa_float_round_mode_32 0
		.amdhsa_float_round_mode_16_64 0
		.amdhsa_float_denorm_mode_32 3
		.amdhsa_float_denorm_mode_16_64 3
		.amdhsa_dx10_clamp 1
		.amdhsa_ieee_mode 1
		.amdhsa_fp16_overflow 0
		.amdhsa_workgroup_processor_mode 1
		.amdhsa_memory_ordered 1
		.amdhsa_forward_progress 0
		.amdhsa_shared_vgpr_count 0
		.amdhsa_exception_fp_ieee_invalid_op 0
		.amdhsa_exception_fp_denorm_src 0
		.amdhsa_exception_fp_ieee_div_zero 0
		.amdhsa_exception_fp_ieee_overflow 0
		.amdhsa_exception_fp_ieee_underflow 0
		.amdhsa_exception_fp_ieee_inexact 0
		.amdhsa_exception_int_div_zero 0
	.end_amdhsa_kernel
	.section	.text._Z39paged_attention_ll4mi_QKV_mfma16_kernelI14__hip_bfloat16hLN4vllm18Fp8KVCacheDataTypeE1EhLi16ELi128ELi256ELb1ELi5EL8MFMAType1EEvPKT_PKT0_S9_ifPKiSB_SB_iPKfiiiPfSE_PS4_PT2_iSD_SD_,"axG",@progbits,_Z39paged_attention_ll4mi_QKV_mfma16_kernelI14__hip_bfloat16hLN4vllm18Fp8KVCacheDataTypeE1EhLi16ELi128ELi256ELb1ELi5EL8MFMAType1EEvPKT_PKT0_S9_ifPKiSB_SB_iPKfiiiPfSE_PS4_PT2_iSD_SD_,comdat
.Lfunc_end1510:
	.size	_Z39paged_attention_ll4mi_QKV_mfma16_kernelI14__hip_bfloat16hLN4vllm18Fp8KVCacheDataTypeE1EhLi16ELi128ELi256ELb1ELi5EL8MFMAType1EEvPKT_PKT0_S9_ifPKiSB_SB_iPKfiiiPfSE_PS4_PT2_iSD_SD_, .Lfunc_end1510-_Z39paged_attention_ll4mi_QKV_mfma16_kernelI14__hip_bfloat16hLN4vllm18Fp8KVCacheDataTypeE1EhLi16ELi128ELi256ELb1ELi5EL8MFMAType1EEvPKT_PKT0_S9_ifPKiSB_SB_iPKfiiiPfSE_PS4_PT2_iSD_SD_
                                        ; -- End function
	.section	.AMDGPU.csdata,"",@progbits
; Kernel info:
; codeLenInByte = 8904
; NumSgprs: 38
; NumVgprs: 140
; ScratchSize: 0
; MemoryBound: 0
; FloatMode: 240
; IeeeMode: 1
; LDSByteSize: 17472 bytes/workgroup (compile time only)
; SGPRBlocks: 4
; VGPRBlocks: 17
; NumSGPRsForWavesPerEU: 38
; NumVGPRsForWavesPerEU: 140
; Occupancy: 10
; WaveLimiterHint : 1
; COMPUTE_PGM_RSRC2:SCRATCH_EN: 0
; COMPUTE_PGM_RSRC2:USER_SGPR: 13
; COMPUTE_PGM_RSRC2:TRAP_HANDLER: 0
; COMPUTE_PGM_RSRC2:TGID_X_EN: 1
; COMPUTE_PGM_RSRC2:TGID_Y_EN: 1
; COMPUTE_PGM_RSRC2:TGID_Z_EN: 1
; COMPUTE_PGM_RSRC2:TIDIG_COMP_CNT: 0
	.section	.text._Z39paged_attention_ll4mi_QKV_mfma16_kernelI14__hip_bfloat16hLN4vllm18Fp8KVCacheDataTypeE1EhLi16ELi128ELi256ELb1ELi6EL8MFMAType1EEvPKT_PKT0_S9_ifPKiSB_SB_iPKfiiiPfSE_PS4_PT2_iSD_SD_,"axG",@progbits,_Z39paged_attention_ll4mi_QKV_mfma16_kernelI14__hip_bfloat16hLN4vllm18Fp8KVCacheDataTypeE1EhLi16ELi128ELi256ELb1ELi6EL8MFMAType1EEvPKT_PKT0_S9_ifPKiSB_SB_iPKfiiiPfSE_PS4_PT2_iSD_SD_,comdat
	.protected	_Z39paged_attention_ll4mi_QKV_mfma16_kernelI14__hip_bfloat16hLN4vllm18Fp8KVCacheDataTypeE1EhLi16ELi128ELi256ELb1ELi6EL8MFMAType1EEvPKT_PKT0_S9_ifPKiSB_SB_iPKfiiiPfSE_PS4_PT2_iSD_SD_ ; -- Begin function _Z39paged_attention_ll4mi_QKV_mfma16_kernelI14__hip_bfloat16hLN4vllm18Fp8KVCacheDataTypeE1EhLi16ELi128ELi256ELb1ELi6EL8MFMAType1EEvPKT_PKT0_S9_ifPKiSB_SB_iPKfiiiPfSE_PS4_PT2_iSD_SD_
	.globl	_Z39paged_attention_ll4mi_QKV_mfma16_kernelI14__hip_bfloat16hLN4vllm18Fp8KVCacheDataTypeE1EhLi16ELi128ELi256ELb1ELi6EL8MFMAType1EEvPKT_PKT0_S9_ifPKiSB_SB_iPKfiiiPfSE_PS4_PT2_iSD_SD_
	.p2align	8
	.type	_Z39paged_attention_ll4mi_QKV_mfma16_kernelI14__hip_bfloat16hLN4vllm18Fp8KVCacheDataTypeE1EhLi16ELi128ELi256ELb1ELi6EL8MFMAType1EEvPKT_PKT0_S9_ifPKiSB_SB_iPKfiiiPfSE_PS4_PT2_iSD_SD_,@function
_Z39paged_attention_ll4mi_QKV_mfma16_kernelI14__hip_bfloat16hLN4vllm18Fp8KVCacheDataTypeE1EhLi16ELi128ELi256ELb1ELi6EL8MFMAType1EEvPKT_PKT0_S9_ifPKiSB_SB_iPKfiiiPfSE_PS4_PT2_iSD_SD_: ; @_Z39paged_attention_ll4mi_QKV_mfma16_kernelI14__hip_bfloat16hLN4vllm18Fp8KVCacheDataTypeE1EhLi16ELi128ELi256ELb1ELi6EL8MFMAType1EEvPKT_PKT0_S9_ifPKiSB_SB_iPKfiiiPfSE_PS4_PT2_iSD_SD_
; %bb.0:
	s_load_b64 s[4:5], s[0:1], 0x30
	s_mov_b32 s30, s13
	s_waitcnt lgkmcnt(0)
	s_cmp_lg_u64 s[4:5], 0
	s_cselect_b32 s13, -1, 0
	s_ashr_i32 s31, s30, 31
	s_cmp_eq_u64 s[4:5], 0
	s_cbranch_scc1 .LBB1511_3
; %bb.1:
	s_lshl_b64 s[2:3], s[30:31], 2
	s_delay_alu instid0(SALU_CYCLE_1) | instskip(SKIP_4) | instid1(SALU_CYCLE_1)
	s_add_u32 s2, s4, s2
	s_addc_u32 s3, s5, s3
	s_load_b64 s[2:3], s[2:3], 0x0
	s_waitcnt lgkmcnt(0)
	s_sub_i32 s2, s3, s2
	s_cmp_eq_u32 s2, 1
	s_cselect_b32 s2, -1, 0
	s_delay_alu instid0(SALU_CYCLE_1)
	s_and_not1_b32 vcc_lo, exec_lo, s2
	s_cbranch_vccz .LBB1511_4
.LBB1511_2:
	s_endpgm
.LBB1511_3:
.LBB1511_4:
	s_load_b64 s[2:3], s[0:1], 0x28
	s_lshl_b64 s[6:7], s[30:31], 2
	s_waitcnt lgkmcnt(0)
	s_add_u32 s2, s2, s6
	s_addc_u32 s3, s3, s7
	s_lshl_b32 s12, s14, 8
	s_load_b32 s17, s[2:3], 0x0
	s_waitcnt lgkmcnt(0)
	s_cmp_ge_i32 s12, s17
	s_cbranch_scc1 .LBB1511_2
; %bb.5:
	s_clause 0x1
	s_load_b128 s[8:11], s[0:1], 0x8
	s_load_b64 s[2:3], s[0:1], 0x20
	s_and_not1_b32 vcc_lo, exec_lo, s13
	s_cbranch_vccnz .LBB1511_7
; %bb.6:
	s_add_u32 s4, s4, s6
	s_addc_u32 s5, s5, s7
	s_load_b32 s13, s[4:5], 0x0
	s_branch .LBB1511_8
.LBB1511_7:
	s_mov_b32 s13, s30
.LBB1511_8:
	s_load_b128 s[4:7], s[0:1], 0x48
	v_and_b32_e32 v65, 15, v0
	v_lshrrev_b32_e32 v66, 5, v0
	v_and_b32_e32 v67, 31, v0
	v_and_b32_e32 v75, 1, v0
	v_bfe_u32 v74, v0, 4, 1
	v_lshlrev_b32_e32 v1, 3, v65
	s_mul_i32 s29, s15, 6
	s_waitcnt lgkmcnt(0)
	s_mov_b32 s7, exec_lo
	s_delay_alu instid0(VALU_DEP_1)
	v_lshlrev_b32_e32 v73, 1, v1
	v_cmpx_gt_u32_e32 0x60, v0
	s_cbranch_execz .LBB1511_10
; %bb.9:
	s_load_b64 s[18:19], s[0:1], 0x0
	v_lshl_or_b32 v5, v66, 1, v74
	s_mul_hi_i32 s21, s13, s4
	s_mul_i32 s20, s13, s4
	v_lshlrev_b32_e32 v6, 10, v65
	s_lshl_b64 s[20:21], s[20:21], 1
	v_add_lshl_u32 v1, v5, s29, 7
	v_lshlrev_b32_e32 v5, 6, v5
	v_lshlrev_b32_e32 v7, 10, v75
	v_and_b32_e32 v6, 0x3800, v6
	s_delay_alu instid0(VALU_DEP_4) | instskip(NEXT) | instid1(VALU_DEP_2)
	v_ashrrev_i32_e32 v2, 31, v1
	v_or3_b32 v5, v6, v7, v5
	s_delay_alu instid0(VALU_DEP_2) | instskip(SKIP_3) | instid1(VALU_DEP_1)
	v_lshlrev_b64 v[1:2], 1, v[1:2]
	s_waitcnt lgkmcnt(0)
	s_add_u32 s4, s18, s20
	s_addc_u32 s13, s19, s21
	v_add_co_u32 v1, vcc_lo, s4, v1
	s_delay_alu instid0(VALU_DEP_2) | instskip(NEXT) | instid1(VALU_DEP_2)
	v_add_co_ci_u32_e32 v2, vcc_lo, s13, v2, vcc_lo
	v_add_co_u32 v1, vcc_lo, v1, v73
	s_delay_alu instid0(VALU_DEP_2)
	v_add_co_ci_u32_e32 v2, vcc_lo, 0, v2, vcc_lo
	global_load_b128 v[1:4], v[1:2], off
	s_waitcnt vmcnt(0)
	ds_store_b128 v5, v[1:4]
.LBB1511_10:
	s_or_b32 exec_lo, exec_lo, s7
	v_and_b32_e32 v1, 0xef, v0
	s_add_i32 s4, s17, 15
	s_clause 0x1
	s_load_b32 s7, s[0:1], 0x38
	s_load_b32 s18, s[0:1], 0x1c
	s_ashr_i32 s13, s4, 31
	v_add_nc_u32_e32 v2, s12, v1
	s_lshr_b32 s13, s13, 28
	s_waitcnt lgkmcnt(0)
	s_add_i32 s4, s4, s13
	s_barrier
	v_ashrrev_i32_e32 v1, 31, v2
	s_ashr_i32 s4, s4, 4
	v_cmp_gt_i32_e32 vcc_lo, s17, v2
	s_add_i32 s4, s4, -1
	buffer_gl0_inv
	v_lshrrev_b32_e32 v3, 28, v1
	v_or_b32_e32 v1, 16, v2
	s_mul_i32 s15, s15, s6
	s_delay_alu instid0(VALU_DEP_2) | instskip(SKIP_1) | instid1(SALU_CYCLE_1)
	v_add_nc_u32_e32 v4, v2, v3
	s_mul_i32 s20, s30, s7
	s_ashr_i32 s21, s20, 31
	s_delay_alu instid0(VALU_DEP_1) | instskip(SKIP_2) | instid1(SALU_CYCLE_1)
	v_ashrrev_i32_e32 v4, 4, v4
	v_add_nc_u32_e32 v3, v1, v3
	s_lshl_b64 s[20:21], s[20:21], 2
	s_add_u32 s2, s2, s20
	s_delay_alu instid0(VALU_DEP_2) | instskip(NEXT) | instid1(VALU_DEP_2)
	v_cndmask_b32_e32 v2, s4, v4, vcc_lo
	v_ashrrev_i32_e32 v3, 4, v3
	v_cmp_gt_i32_e32 vcc_lo, s17, v1
	s_addc_u32 s3, s3, s21
	s_ashr_i32 s6, s15, 31
	s_add_u32 s7, s8, s15
	s_addc_u32 s13, s9, s6
	v_cndmask_b32_e32 v4, s4, v3, vcc_lo
	v_ashrrev_i32_e32 v3, 31, v2
	s_lshl_b32 s8, s14, 4
	s_delay_alu instid0(SALU_CYCLE_1) | instskip(NEXT) | instid1(VALU_DEP_2)
	s_ashr_i32 s9, s8, 31
	v_ashrrev_i32_e32 v5, 31, v4
	s_delay_alu instid0(VALU_DEP_2) | instskip(SKIP_1) | instid1(SALU_CYCLE_1)
	v_lshlrev_b64 v[1:2], 2, v[2:3]
	s_lshl_b64 s[8:9], s[8:9], 2
	s_add_u32 s8, s2, s8
	s_delay_alu instid0(VALU_DEP_2) | instskip(SKIP_1) | instid1(VALU_DEP_2)
	v_lshlrev_b64 v[3:4], 2, v[4:5]
	s_addc_u32 s9, s3, s9
	v_add_co_u32 v1, vcc_lo, s2, v1
	v_add_co_ci_u32_e32 v2, vcc_lo, s3, v2, vcc_lo
	s_delay_alu instid0(VALU_DEP_3) | instskip(NEXT) | instid1(VALU_DEP_4)
	v_add_co_u32 v3, vcc_lo, s2, v3
	v_add_co_ci_u32_e32 v4, vcc_lo, s3, v4, vcc_lo
	s_clause 0x1
	global_load_b32 v5, v[1:2], off
	global_load_b32 v3, v[3:4], off
	v_lshlrev_b32_e32 v1, 4, v0
	s_or_b32 s16, s12, 32
	s_delay_alu instid0(SALU_CYCLE_1) | instskip(SKIP_1) | instid1(VALU_DEP_1)
	s_ashr_i32 s19, s16, 4
	s_cmp_lt_i32 s16, s17
	v_and_b32_e32 v1, 0xf0, v1
	s_cselect_b32 s20, s19, s4
	s_delay_alu instid0(SALU_CYCLE_1) | instskip(NEXT) | instid1(SALU_CYCLE_1)
	s_ashr_i32 s21, s20, 31
	s_lshl_b64 s[20:21], s[20:21], 2
	s_delay_alu instid0(VALU_DEP_1)
	v_add_co_u32 v1, s7, s7, v1
	s_add_u32 s20, s2, s20
	s_addc_u32 s21, s3, s21
	s_or_b32 s16, s12, 64
	v_add_co_ci_u32_e64 v2, null, s13, 0, s7
	s_ashr_i32 s19, s16, 4
	s_cmp_lt_i32 s16, s17
	s_cselect_b32 s22, s19, s4
	s_delay_alu instid0(SALU_CYCLE_1) | instskip(NEXT) | instid1(SALU_CYCLE_1)
	s_ashr_i32 s23, s22, 31
	s_lshl_b64 s[22:23], s[22:23], 2
	s_delay_alu instid0(SALU_CYCLE_1) | instskip(SKIP_2) | instid1(SALU_CYCLE_1)
	s_add_u32 s22, s2, s22
	s_addc_u32 s23, s3, s23
	s_or_b32 s16, s12, 0x60
	s_ashr_i32 s19, s16, 4
	s_cmp_lt_i32 s16, s17
	s_cselect_b32 s24, s19, s4
	s_delay_alu instid0(SALU_CYCLE_1) | instskip(NEXT) | instid1(SALU_CYCLE_1)
	s_ashr_i32 s25, s24, 31
	s_lshl_b64 s[24:25], s[24:25], 2
	s_delay_alu instid0(SALU_CYCLE_1) | instskip(SKIP_2) | instid1(SALU_CYCLE_1)
	s_add_u32 s24, s2, s24
	s_addc_u32 s25, s3, s25
	s_or_b32 s16, s12, 0x80
	;; [unrolled: 10-line block ×3, first 2 shown]
	s_ashr_i32 s19, s16, 4
	s_cmp_lt_i32 s16, s17
	s_cselect_b32 s34, s19, s4
	s_delay_alu instid0(SALU_CYCLE_1) | instskip(NEXT) | instid1(SALU_CYCLE_1)
	s_ashr_i32 s35, s34, 31
	s_lshl_b64 s[34:35], s[34:35], 2
	s_delay_alu instid0(SALU_CYCLE_1)
	s_add_u32 s34, s2, s34
	s_addc_u32 s35, s3, s35
	s_clause 0x5
	s_load_b32 s7, s[8:9], 0x0
	s_load_b32 s13, s[20:21], 0x0
	s_load_b32 s16, s[22:23], 0x0
	s_load_b32 s19, s[24:25], 0x0
	s_load_b32 s28, s[26:27], 0x0
	s_load_b32 s31, s[34:35], 0x0
	s_or_b32 s8, s12, 0xc0
	s_mov_b32 s20, 0
	s_ashr_i32 s9, s8, 4
	s_cmp_lt_i32 s8, s17
	s_mov_b32 s27, s20
	s_cselect_b32 s8, s9, s4
	s_mov_b32 s21, s20
	s_ashr_i32 s9, s8, 31
	s_mov_b32 s22, s20
	s_lshl_b64 s[8:9], s[8:9], 2
	s_mov_b32 s23, s20
	s_mov_b32 s24, s20
	;; [unrolled: 1-line block ×4, first 2 shown]
	v_dual_mov_b32 v107, s27 :: v_dual_mov_b32 v104, s24
	s_add_u32 s8, s2, s8
	v_dual_mov_b32 v106, s26 :: v_dual_mov_b32 v105, s25
	v_dual_mov_b32 v101, s21 :: v_dual_mov_b32 v100, s20
	s_addc_u32 s9, s3, s9
	v_dual_mov_b32 v103, s23 :: v_dual_mov_b32 v102, s22
	s_or_b32 s20, s12, 0xe0
	s_delay_alu instid0(SALU_CYCLE_1) | instskip(SKIP_2) | instid1(SALU_CYCLE_1)
	s_ashr_i32 s21, s20, 4
	s_cmp_lt_i32 s20, s17
	s_cselect_b32 s20, s21, s4
	s_ashr_i32 s21, s20, 31
	s_delay_alu instid0(SALU_CYCLE_1) | instskip(NEXT) | instid1(SALU_CYCLE_1)
	s_lshl_b64 s[20:21], s[20:21], 2
	s_add_u32 s2, s2, s20
	s_addc_u32 s3, s3, s21
	s_waitcnt vmcnt(1)
	v_mad_i64_i32 v[25:26], null, v5, s5, v[1:2]
	s_waitcnt vmcnt(0)
	v_mad_i64_i32 v[27:28], null, v3, s5, v[1:2]
	s_clause 0xf
	global_load_b128 v[1:4], v[25:26], off
	global_load_b128 v[5:8], v[25:26], off offset:256
	global_load_b128 v[9:12], v[27:28], off
	global_load_b128 v[13:16], v[27:28], off offset:256
	global_load_b128 v[17:20], v[25:26], off offset:512
	;; [unrolled: 1-line block ×13, first 2 shown]
	v_mul_lo_u16 v25, v65, 43
	v_lshlrev_b32_e32 v26, 4, v65
	s_delay_alu instid0(VALU_DEP_2) | instskip(NEXT) | instid1(VALU_DEP_2)
	v_lshrrev_b16 v25, 8, v25
	v_lshl_or_b32 v33, v66, 8, v26
	s_delay_alu instid0(VALU_DEP_2) | instskip(NEXT) | instid1(VALU_DEP_1)
	v_mul_lo_u16 v25, v25, 6
	v_sub_nc_u16 v25, v65, v25
	s_delay_alu instid0(VALU_DEP_1) | instskip(NEXT) | instid1(VALU_DEP_1)
	v_and_b32_e32 v25, 0xff, v25
	v_lshlrev_b32_e32 v72, 6, v25
	ds_load_b128 v[25:28], v72
	ds_load_b128 v[29:32], v72 offset:1024
	ds_load_b128 v[108:111], v72 offset:2048
	;; [unrolled: 1-line block ×3, first 2 shown]
	s_load_b32 s4, s[8:9], 0x0
	ds_load_b128 v[116:119], v72 offset:4096
	ds_load_b128 v[120:123], v72 offset:5120
	s_load_b32 s2, s[2:3], 0x0
	s_add_u32 s8, s10, s15
	s_addc_u32 s6, s11, s6
	v_add_co_u32 v68, s8, s8, v33
	s_delay_alu instid0(VALU_DEP_1) | instskip(SKIP_1) | instid1(VALU_DEP_1)
	v_add_co_ci_u32_e64 v69, null, s6, 0, s8
	s_waitcnt lgkmcnt(0)
	v_mad_i64_i32 v[33:34], null, s7, s5, v[68:69]
	v_mad_i64_i32 v[70:71], null, s16, s5, v[68:69]
	;; [unrolled: 1-line block ×7, first 2 shown]
	s_clause 0x3
	global_load_b128 v[41:44], v[33:34], off
	global_load_b128 v[45:48], v[33:34], off offset:16
	global_load_b128 v[33:36], v[37:38], off
	global_load_b128 v[37:40], v[37:38], off offset:16
	s_waitcnt vmcnt(18)
	v_wmma_f32_16x16x16_bf16 v[124:131], v[1:8], v[25:32], v[100:107]
	s_waitcnt vmcnt(16)
	v_wmma_f32_16x16x16_bf16 v[100:107], v[9:16], v[25:32], v[100:107]
	s_clause 0x1
	global_load_b128 v[25:28], v[70:71], off
	global_load_b128 v[29:32], v[70:71], off offset:16
	s_waitcnt vmcnt(16)
	v_wmma_f32_16x16x16_bf16 v[124:131], v[17:24], v[108:115], v[124:131]
	s_clause 0x1
	global_load_b128 v[17:20], v[132:133], off
	global_load_b128 v[21:24], v[132:133], off offset:16
	s_waitcnt vmcnt(16)
	v_wmma_f32_16x16x16_bf16 v[100:107], v[49:56], v[108:115], v[100:107]
	v_mad_i64_i32 v[53:54], null, s2, s5, v[68:69]
	s_clause 0x3
	global_load_b128 v[1:4], v[134:135], off
	global_load_b128 v[5:8], v[134:135], off offset:16
	global_load_b128 v[9:12], v[136:137], off
	global_load_b128 v[13:16], v[136:137], off offset:16
	s_waitcnt vmcnt(18)
	v_wmma_f32_16x16x16_bf16 v[124:131], v[57:64], v[116:123], v[124:131]
	s_clause 0x3
	global_load_b128 v[57:60], v[138:139], off
	global_load_b128 v[61:64], v[138:139], off offset:16
	global_load_b128 v[49:52], v[53:54], off
	global_load_b128 v[53:56], v[53:54], off offset:16
	v_mbcnt_lo_u32_b32 v69, -1, 0
	s_waitcnt vmcnt(20)
	v_wmma_f32_16x16x16_bf16 v[100:107], v[76:83], v[116:123], v[100:107]
	s_delay_alu instid0(VALU_DEP_2) | instskip(NEXT) | instid1(VALU_DEP_1)
	v_xor_b32_e32 v70, 16, v69
	v_cmp_gt_i32_e32 vcc_lo, 32, v70
	v_cndmask_b32_e32 v69, v69, v70, vcc_lo
	ds_load_b128 v[76:79], v72 offset:6144
	ds_load_b128 v[80:83], v72 offset:7168
	s_waitcnt vmcnt(0) lgkmcnt(0)
	s_barrier
	buffer_gl0_inv
	v_wmma_f32_16x16x16_bf16 v[124:131], v[84:91], v[76:83], v[124:131]
	v_and_b32_e32 v68, 0xe0, v0
	v_wmma_f32_16x16x16_bf16 v[100:107], v[92:99], v[76:83], v[100:107]
	s_delay_alu instid0(VALU_DEP_2) | instskip(NEXT) | instid1(VALU_DEP_4)
	v_dual_mul_f32 v79, s18, v127 :: v_dual_add_nc_u32 v68, s12, v68
	v_mul_f32_e32 v81, s18, v129
	v_dual_mul_f32 v78, s18, v125 :: v_dual_mul_f32 v83, s18, v131
	s_delay_alu instid0(VALU_DEP_4) | instskip(NEXT) | instid1(VALU_DEP_4)
	v_dual_mul_f32 v80, s18, v126 :: v_dual_mul_f32 v95, s18, v103
	v_or_b32_e32 v68, v68, v74
	v_dual_mul_f32 v93, s18, v101 :: v_dual_mul_f32 v82, s18, v128
	v_dual_mul_f32 v97, s18, v105 :: v_dual_mul_f32 v92, s18, v130
	v_mul_f32_e32 v99, s18, v107
	s_delay_alu instid0(VALU_DEP_4)
	v_or_b32_e32 v70, 2, v68
	v_or_b32_e32 v71, 4, v68
	;; [unrolled: 1-line block ×3, first 2 shown]
	v_cmp_gt_i32_e64 s2, s17, v68
	v_or_b32_e32 v108, 8, v68
	v_cmp_gt_i32_e32 vcc_lo, s17, v70
	v_mul_f32_e32 v70, s18, v124
	v_or_b32_e32 v109, 10, v68
	v_cmp_gt_i32_e64 s3, s17, v71
	v_cmp_gt_i32_e64 s4, s17, v72
	v_cndmask_b32_e32 v78, 0xff7fffff, v78, vcc_lo
	v_cndmask_b32_e64 v70, 0xff7fffff, v70, s2
	v_or_b32_e32 v84, 12, v68
	v_or_b32_e32 v85, 14, v68
	v_cndmask_b32_e64 v71, 0xff7fffff, v80, s3
	v_cndmask_b32_e64 v72, 0xff7fffff, v79, s4
	v_max3_f32 v70, v70, 0xff7fffff, v78
	v_cmp_gt_i32_e64 s5, s17, v108
	v_cmp_gt_i32_e64 s6, s17, v109
	v_or_b32_e32 v86, 16, v68
	v_or_b32_e32 v87, 18, v68
	v_max3_f32 v70, v70, v71, v72
	v_cndmask_b32_e64 v78, 0xff7fffff, v82, s5
	v_cndmask_b32_e64 v79, 0xff7fffff, v81, s6
	v_cmp_gt_i32_e64 s7, s17, v84
	v_cmp_gt_i32_e64 s8, s17, v85
	v_or_b32_e32 v88, 20, v68
	v_or_b32_e32 v89, 22, v68
	v_mul_f32_e32 v94, s18, v100
	v_cndmask_b32_e64 v71, 0xff7fffff, v92, s7
	v_cndmask_b32_e64 v72, 0xff7fffff, v83, s8
	v_max3_f32 v70, v70, v78, v79
	v_cmp_gt_i32_e64 s9, s17, v86
	v_cmp_gt_i32_e64 s10, s17, v87
	v_or_b32_e32 v90, 24, v68
	v_or_b32_e32 v91, 26, v68
	v_mul_f32_e32 v96, s18, v102
	v_max3_f32 v70, v70, v71, v72
	v_cndmask_b32_e64 v79, 0xff7fffff, v93, s10
	v_cmp_gt_i32_e64 s11, s17, v88
	v_cmp_gt_i32_e64 s12, s17, v89
	v_lshlrev_b32_e32 v89, 2, v69
	v_cndmask_b32_e64 v78, 0xff7fffff, v94, s9
	v_or_b32_e32 v76, 28, v68
	v_or_b32_e32 v77, 30, v68
	v_mul_f32_e32 v98, s18, v104
	v_cndmask_b32_e64 v71, 0xff7fffff, v96, s11
	v_cndmask_b32_e64 v72, 0xff7fffff, v95, s12
	v_max3_f32 v70, v70, v78, v79
	v_cmp_gt_i32_e64 s13, s17, v90
	v_cmp_gt_i32_e64 s15, s17, v91
	v_mul_f32_e32 v68, s18, v106
	v_cmp_gt_i32_e64 s16, s17, v76
	v_max3_f32 v70, v70, v71, v72
	v_cndmask_b32_e64 v78, 0xff7fffff, v98, s13
	v_cndmask_b32_e64 v79, 0xff7fffff, v97, s15
	v_cmp_gt_i32_e64 s17, s17, v77
	v_cndmask_b32_e64 v68, 0xff7fffff, v68, s16
	s_delay_alu instid0(VALU_DEP_3) | instskip(NEXT) | instid1(VALU_DEP_3)
	v_max3_f32 v70, v70, v78, v79
	v_cndmask_b32_e64 v71, 0xff7fffff, v99, s17
	s_delay_alu instid0(VALU_DEP_1) | instskip(SKIP_3) | instid1(VALU_DEP_1)
	v_max3_f32 v68, v70, v68, v71
	ds_bpermute_b32 v69, v89, v68
	s_waitcnt lgkmcnt(0)
	v_max_f32_e32 v69, v69, v69
	v_max_f32_e32 v68, v68, v69
	s_delay_alu instid0(VALU_DEP_1) | instskip(NEXT) | instid1(VALU_DEP_1)
	v_fma_f32 v76, s18, v128, -v68
	v_mul_f32_e32 v77, 0x3fb8aa3b, v76
	v_fma_f32 v71, s18, v126, -v68
	v_fma_f32 v69, s18, v124, -v68
	;; [unrolled: 1-line block ×4, first 2 shown]
	v_exp_f32_e32 v77, v77
	v_mul_f32_e32 v71, 0x3fb8aa3b, v71
	v_mul_f32_e32 v69, 0x3fb8aa3b, v69
	v_fma_f32 v81, s18, v105, -v68
	v_fma_f32 v78, s18, v130, -v68
	s_delay_alu instid0(VALU_DEP_4) | instskip(NEXT) | instid1(VALU_DEP_3)
	v_exp_f32_e32 v71, v71
	v_exp_f32_e32 v69, v69
	s_delay_alu instid0(VALU_DEP_2) | instskip(NEXT) | instid1(TRANS32_DEP_3)
	v_mul_f32_e32 v81, 0x3fb8aa3b, v81
	v_cndmask_b32_e64 v86, 0, v77, s5
	v_fma_f32 v77, s18, v101, -v68
	s_delay_alu instid0(VALU_DEP_3) | instskip(NEXT) | instid1(TRANS32_DEP_3)
	v_exp_f32_e32 v81, v81
	v_cndmask_b32_e64 v83, 0, v71, s3
	v_fma_f32 v71, s18, v131, -v68
	v_mul_f32_e32 v72, 0x3fb8aa3b, v72
	s_delay_alu instid0(TRANS32_DEP_2) | instskip(SKIP_1) | instid1(VALU_DEP_4)
	v_cndmask_b32_e64 v80, 0, v69, s2
	v_fma_f32 v69, s18, v129, -v68
	v_dual_mul_f32 v70, 0x3fb8aa3b, v70 :: v_dual_mul_f32 v71, 0x3fb8aa3b, v71
	s_delay_alu instid0(VALU_DEP_4) | instskip(SKIP_1) | instid1(VALU_DEP_3)
	v_exp_f32_e32 v72, v72
	v_mul_f32_e32 v77, 0x3fb8aa3b, v77
	v_mul_f32_e32 v69, 0x3fb8aa3b, v69
	s_delay_alu instid0(VALU_DEP_3)
	v_exp_f32_e32 v70, v70
	v_exp_f32_e32 v71, v71
	s_mov_b32 s2, exec_lo
	v_exp_f32_e32 v77, v77
	v_exp_f32_e32 v69, v69
	v_cndmask_b32_e64 v85, 0, v72, s4
	v_fma_f32 v72, s18, v100, -v68
	v_cndmask_b32_e32 v76, 0, v70, vcc_lo
	s_delay_alu instid0(TRANS32_DEP_3) | instskip(SKIP_2) | instid1(TRANS32_DEP_1)
	v_cndmask_b32_e64 v88, 0, v71, s8
	v_fma_f32 v71, s18, v104, -v68
	v_add_f32_e32 v70, 0, v80
	v_cndmask_b32_e64 v87, 0, v69, s6
	s_delay_alu instid0(VALU_DEP_2) | instskip(NEXT) | instid1(VALU_DEP_1)
	v_dual_mul_f32 v71, 0x3fb8aa3b, v71 :: v_dual_add_f32 v70, v70, v76
	v_exp_f32_e32 v82, v71
	s_delay_alu instid0(VALU_DEP_1) | instskip(NEXT) | instid1(VALU_DEP_1)
	v_add_f32_e32 v70, v70, v83
	v_add_f32_e32 v70, v70, v85
	s_delay_alu instid0(VALU_DEP_1) | instskip(SKIP_1) | instid1(VALU_DEP_2)
	v_dual_mul_f32 v72, 0x3fb8aa3b, v72 :: v_dual_add_f32 v69, v70, v86
	v_fma_f32 v70, s18, v102, -v68
	v_exp_f32_e32 v72, v72
	s_delay_alu instid0(VALU_DEP_2) | instskip(NEXT) | instid1(VALU_DEP_2)
	v_dual_add_f32 v69, v69, v87 :: v_dual_mul_f32 v78, 0x3fb8aa3b, v78
	v_mul_f32_e32 v70, 0x3fb8aa3b, v70
	s_delay_alu instid0(VALU_DEP_2) | instskip(NEXT) | instid1(VALU_DEP_1)
	v_exp_f32_e32 v78, v78
	v_exp_f32_e32 v79, v70
	s_delay_alu instid0(TRANS32_DEP_3) | instskip(SKIP_4) | instid1(VALU_DEP_3)
	v_cndmask_b32_e64 v70, 0, v72, s9
	s_waitcnt_depctr 0xfff
	v_cndmask_b32_e64 v84, 0, v78, s7
	v_fma_f32 v78, s18, v103, -v68
	v_cndmask_b32_e64 v71, 0, v79, s11
	v_add_f32_e32 v69, v69, v84
	s_delay_alu instid0(VALU_DEP_1) | instskip(SKIP_2) | instid1(VALU_DEP_1)
	v_add_f32_e32 v72, v69, v88
	v_cndmask_b32_e64 v69, 0, v77, s10
	v_fma_f32 v77, s18, v106, -v68
	v_dual_add_f32 v72, v72, v70 :: v_dual_mul_f32 v77, 0x3fb8aa3b, v77
	s_delay_alu instid0(VALU_DEP_1) | instskip(NEXT) | instid1(VALU_DEP_2)
	v_add_f32_e32 v79, v72, v69
	v_exp_f32_e32 v90, v77
	v_cndmask_b32_e64 v77, 0, v82, s13
	v_mul_f32_e32 v78, 0x3fb8aa3b, v78
	s_delay_alu instid0(VALU_DEP_1) | instskip(SKIP_4) | instid1(VALU_DEP_1)
	v_exp_f32_e32 v78, v78
	s_waitcnt_depctr 0xfff
	v_cndmask_b32_e64 v72, 0, v78, s12
	v_add_f32_e32 v78, v79, v71
	v_fma_f32 v79, s18, v107, -v68
	v_dual_add_f32 v82, v78, v72 :: v_dual_mul_f32 v79, 0x3fb8aa3b, v79
	v_cndmask_b32_e64 v78, 0, v81, s15
	s_delay_alu instid0(VALU_DEP_2) | instskip(NEXT) | instid1(VALU_DEP_3)
	v_add_f32_e32 v81, v82, v77
	v_exp_f32_e32 v82, v79
	v_cndmask_b32_e64 v79, 0, v90, s16
	s_delay_alu instid0(VALU_DEP_2) | instskip(NEXT) | instid1(VALU_DEP_1)
	v_add_f32_e32 v81, v81, v78
	v_add_f32_e32 v90, v81, v79
	s_waitcnt_depctr 0xfff
	v_cndmask_b32_e64 v81, 0, v82, s17
	s_delay_alu instid0(VALU_DEP_1)
	v_add_f32_e32 v82, v90, v81
	ds_bpermute_b32 v89, v89, v82
	v_cmpx_gt_u32_e32 16, v67
	s_cbranch_execz .LBB1511_12
; %bb.11:
	v_mul_u32_u24_e32 v67, 0x44, v66
	s_delay_alu instid0(VALU_DEP_1) | instskip(SKIP_1) | instid1(VALU_DEP_1)
	v_lshl_add_u32 v67, v65, 2, v67
	s_waitcnt lgkmcnt(0)
	v_dual_add_f32 v82, v82, v89 :: v_dual_add_nc_u32 v67, 0x4000, v67
	ds_store_2addr_b32 v67, v68, v82 offset1:136
.LBB1511_12:
	s_or_b32 exec_lo, exec_lo, s2
	v_lshlrev_b32_e32 v67, 2, v65
	s_waitcnt lgkmcnt(0)
	s_barrier
	buffer_gl0_inv
	v_cmp_eq_u32_e32 vcc_lo, 1, v66
	v_add_nc_u32_e32 v82, 0x4000, v67
	v_cmp_eq_u32_e64 s2, 2, v66
	v_cmp_eq_u32_e64 s4, 7, v66
	ds_load_2addr_b32 v[89:90], v82 offset1:17
	ds_load_2addr_b32 v[91:92], v82 offset0:34 offset1:51
	ds_load_2addr_b32 v[93:94], v82 offset0:68 offset1:85
	;; [unrolled: 1-line block ×4, first 2 shown]
	s_waitcnt lgkmcnt(4)
	v_max3_f32 v67, v89, 0xff7fffff, v90
	s_waitcnt lgkmcnt(3)
	s_delay_alu instid0(VALU_DEP_1) | instskip(SKIP_1) | instid1(VALU_DEP_1)
	v_max3_f32 v67, v67, v91, v92
	s_waitcnt lgkmcnt(2)
	v_max3_f32 v67, v67, v93, v94
	s_waitcnt lgkmcnt(1)
	s_delay_alu instid0(VALU_DEP_1) | instskip(NEXT) | instid1(VALU_DEP_1)
	v_max3_f32 v67, v67, v95, v96
	v_sub_f32_e32 v93, v93, v67
	s_delay_alu instid0(VALU_DEP_1) | instskip(NEXT) | instid1(VALU_DEP_1)
	v_dual_sub_f32 v68, v89, v67 :: v_dual_mul_f32 v103, 0x3fb8aa3b, v93
	v_mul_f32_e32 v68, 0x3fb8aa3b, v68
	s_delay_alu instid0(VALU_DEP_1)
	v_exp_f32_e32 v100, v68
	v_sub_f32_e32 v68, v92, v67
	v_sub_f32_e32 v99, v90, v67
	ds_load_2addr_b32 v[89:90], v82 offset0:170 offset1:187
	v_dual_mul_f32 v102, 0x3fb8aa3b, v68 :: v_dual_mul_f32 v99, 0x3fb8aa3b, v99
	s_waitcnt lgkmcnt(1)
	v_fma_f32 v68, v100, v97, 0
	s_delay_alu instid0(VALU_DEP_2) | instskip(NEXT) | instid1(VALU_DEP_2)
	v_exp_f32_e32 v102, v102
	v_exp_f32_e32 v99, v99
	s_waitcnt_depctr 0xfff
	v_fmac_f32_e32 v68, v99, v98
	v_sub_f32_e32 v91, v91, v67
	s_delay_alu instid0(VALU_DEP_1)
	v_mul_f32_e32 v101, 0x3fb8aa3b, v91
	ds_load_2addr_b32 v[91:92], v82 offset0:204 offset1:221
	v_sub_f32_e32 v97, v94, v67
	ds_load_2addr_b32 v[93:94], v82 offset0:238 offset1:255
	s_waitcnt lgkmcnt(0)
	v_exp_f32_e32 v101, v101
	s_barrier
	buffer_gl0_inv
	v_dual_fmac_f32 v68, v101, v89 :: v_dual_sub_f32 v89, v96, v67
	v_dual_sub_f32 v82, v95, v67 :: v_dual_mul_f32 v95, 0x3fb8aa3b, v97
	v_exp_f32_e32 v97, v103
	s_delay_alu instid0(VALU_DEP_2) | instskip(NEXT) | instid1(VALU_DEP_2)
	v_dual_fmac_f32 v68, v102, v90 :: v_dual_mul_f32 v89, 0x3fb8aa3b, v89
	v_mul_f32_e32 v82, 0x3fb8aa3b, v82
	s_delay_alu instid0(VALU_DEP_3) | instskip(NEXT) | instid1(VALU_DEP_2)
	v_exp_f32_e32 v95, v95
	v_exp_f32_e32 v89, v89
	s_delay_alu instid0(VALU_DEP_1)
	v_exp_f32_e32 v82, v82
	v_fmac_f32_e32 v68, v97, v91
	s_delay_alu instid0(TRANS32_DEP_3) | instid1(VALU_DEP_1)
	v_fmac_f32_e32 v68, v95, v92
	s_waitcnt_depctr 0xfff
	v_fmac_f32_e32 v68, v82, v93
	s_delay_alu instid0(VALU_DEP_1) | instskip(NEXT) | instid1(VALU_DEP_1)
	v_fmac_f32_e32 v68, v89, v94
	v_add_f32_e32 v90, 0x358637bd, v68
	s_delay_alu instid0(VALU_DEP_1) | instskip(NEXT) | instid1(VALU_DEP_1)
	v_div_scale_f32 v91, null, v90, v90, 1.0
	v_rcp_f32_e32 v92, v91
	s_waitcnt_depctr 0xfff
	v_fma_f32 v93, -v91, v92, 1.0
	s_delay_alu instid0(VALU_DEP_1) | instskip(SKIP_1) | instid1(VALU_DEP_2)
	v_dual_fmac_f32 v92, v93, v92 :: v_dual_cndmask_b32 v93, v100, v99
	v_cmp_eq_u32_e32 vcc_lo, 3, v66
	v_cndmask_b32_e64 v93, v93, v101, s2
	v_cmp_eq_u32_e64 s2, 4, v66
	s_delay_alu instid0(VALU_DEP_2) | instskip(SKIP_1) | instid1(VALU_DEP_2)
	v_cndmask_b32_e32 v93, v93, v102, vcc_lo
	v_cmp_eq_u32_e32 vcc_lo, 5, v66
	v_cndmask_b32_e64 v93, v93, v97, s2
	v_cmp_eq_u32_e64 s2, 6, v66
	s_delay_alu instid0(VALU_DEP_2) | instskip(SKIP_1) | instid1(VALU_DEP_1)
	v_cndmask_b32_e32 v93, v93, v95, vcc_lo
	v_div_scale_f32 v94, s3, 1.0, v90, 1.0
	s_mov_b32 vcc_lo, s3
	s_delay_alu instid0(VALU_DEP_2) | instskip(NEXT) | instid1(VALU_DEP_2)
	v_cndmask_b32_e64 v82, v93, v82, s2
	v_mul_f32_e32 v96, v94, v92
	s_mov_b32 s2, exec_lo
	s_delay_alu instid0(VALU_DEP_2) | instskip(NEXT) | instid1(VALU_DEP_2)
	v_cndmask_b32_e64 v82, v82, v89, s4
	v_fma_f32 v98, -v91, v96, v94
	s_delay_alu instid0(VALU_DEP_1) | instskip(NEXT) | instid1(VALU_DEP_1)
	v_fmac_f32_e32 v96, v98, v92
	v_fma_f32 v91, -v91, v96, v94
	s_delay_alu instid0(VALU_DEP_1) | instskip(NEXT) | instid1(VALU_DEP_1)
	v_div_fmas_f32 v91, v91, v92, v96
	v_div_fixup_f32 v90, v91, v90, 1.0
	s_delay_alu instid0(VALU_DEP_1) | instskip(NEXT) | instid1(VALU_DEP_1)
	v_mul_f32_e32 v82, v82, v90
	v_mul_f32_e32 v87, v82, v87
	;; [unrolled: 1-line block ×7, first 2 shown]
	v_dual_mul_f32 v86, v82, v83 :: v_dual_and_b32 v91, 0x7f800000, v90
	v_mul_f32_e32 v85, v82, v76
                                        ; implicit-def: $vgpr76
	s_delay_alu instid0(VALU_DEP_2)
	v_cmpx_ne_u32_e32 0x7f800000, v91
	s_xor_b32 s2, exec_lo, s2
; %bb.13:
	v_bfe_u32 v76, v90, 16, 1
	s_delay_alu instid0(VALU_DEP_1)
	v_add3_u32 v76, v90, v76, 0x7fff
                                        ; implicit-def: $vgpr90
; %bb.14:
	s_and_not1_saveexec_b32 s2, s2
; %bb.15:
	v_and_b32_e32 v76, 0xffff, v90
	v_or_b32_e32 v83, 0x10000, v90
	s_delay_alu instid0(VALU_DEP_2) | instskip(NEXT) | instid1(VALU_DEP_2)
	v_cmp_eq_u32_e32 vcc_lo, 0, v76
	v_cndmask_b32_e32 v76, v83, v90, vcc_lo
; %bb.16:
	s_or_b32 exec_lo, exec_lo, s2
	v_and_b32_e32 v83, 0x7f800000, v85
	s_delay_alu instid0(VALU_DEP_1) | instskip(SKIP_1) | instid1(SALU_CYCLE_1)
	v_cmp_ne_u32_e32 vcc_lo, 0x7f800000, v83
                                        ; implicit-def: $vgpr83
	s_and_saveexec_b32 s2, vcc_lo
	s_xor_b32 s2, exec_lo, s2
; %bb.17:
	v_bfe_u32 v83, v85, 16, 1
	s_delay_alu instid0(VALU_DEP_1)
	v_add3_u32 v83, v85, v83, 0x7fff
                                        ; implicit-def: $vgpr85
; %bb.18:
	s_and_not1_saveexec_b32 s2, s2
; %bb.19:
	v_and_b32_e32 v83, 0xffff, v85
	v_or_b32_e32 v90, 0x10000, v85
	s_delay_alu instid0(VALU_DEP_2) | instskip(NEXT) | instid1(VALU_DEP_2)
	v_cmp_eq_u32_e32 vcc_lo, 0, v83
	v_cndmask_b32_e32 v83, v90, v85, vcc_lo
; %bb.20:
	s_or_b32 exec_lo, exec_lo, s2
	v_and_b32_e32 v85, 0x7f800000, v86
	s_delay_alu instid0(VALU_DEP_1) | instskip(SKIP_1) | instid1(SALU_CYCLE_1)
	v_cmp_ne_u32_e32 vcc_lo, 0x7f800000, v85
                                        ; implicit-def: $vgpr85
	s_and_saveexec_b32 s2, vcc_lo
	s_xor_b32 s2, exec_lo, s2
; %bb.21:
	v_bfe_u32 v85, v86, 16, 1
	s_delay_alu instid0(VALU_DEP_1)
	v_add3_u32 v85, v86, v85, 0x7fff
                                        ; implicit-def: $vgpr86
; %bb.22:
	s_and_not1_saveexec_b32 s2, s2
; %bb.23:
	v_and_b32_e32 v85, 0xffff, v86
	v_or_b32_e32 v90, 0x10000, v86
	s_delay_alu instid0(VALU_DEP_2) | instskip(NEXT) | instid1(VALU_DEP_2)
	v_cmp_eq_u32_e32 vcc_lo, 0, v85
	v_cndmask_b32_e32 v85, v90, v86, vcc_lo
; %bb.24:
	s_or_b32 exec_lo, exec_lo, s2
	v_and_b32_e32 v86, 0x7f800000, v89
	s_delay_alu instid0(VALU_DEP_1) | instskip(SKIP_1) | instid1(SALU_CYCLE_1)
	v_cmp_ne_u32_e32 vcc_lo, 0x7f800000, v86
                                        ; implicit-def: $vgpr86
	s_and_saveexec_b32 s2, vcc_lo
	s_xor_b32 s2, exec_lo, s2
; %bb.25:
	v_bfe_u32 v86, v89, 16, 1
	s_delay_alu instid0(VALU_DEP_1)
	v_add3_u32 v86, v89, v86, 0x7fff
                                        ; implicit-def: $vgpr89
; %bb.26:
	s_and_not1_saveexec_b32 s2, s2
; %bb.27:
	v_and_b32_e32 v86, 0xffff, v89
	v_or_b32_e32 v90, 0x10000, v89
	s_delay_alu instid0(VALU_DEP_2) | instskip(NEXT) | instid1(VALU_DEP_2)
	v_cmp_eq_u32_e32 vcc_lo, 0, v86
	v_cndmask_b32_e32 v86, v90, v89, vcc_lo
; %bb.28:
	s_or_b32 exec_lo, exec_lo, s2
	v_and_b32_e32 v89, 0x7f800000, v88
	s_delay_alu instid0(VALU_DEP_1) | instskip(SKIP_1) | instid1(SALU_CYCLE_1)
	v_cmp_ne_u32_e32 vcc_lo, 0x7f800000, v89
                                        ; implicit-def: $vgpr89
	s_and_saveexec_b32 s2, vcc_lo
	s_xor_b32 s2, exec_lo, s2
; %bb.29:
	v_bfe_u32 v89, v88, 16, 1
	s_delay_alu instid0(VALU_DEP_1)
	v_add3_u32 v89, v88, v89, 0x7fff
                                        ; implicit-def: $vgpr88
; %bb.30:
	s_and_not1_saveexec_b32 s2, s2
; %bb.31:
	v_and_b32_e32 v89, 0xffff, v88
	v_or_b32_e32 v90, 0x10000, v88
	s_delay_alu instid0(VALU_DEP_2) | instskip(NEXT) | instid1(VALU_DEP_2)
	v_cmp_eq_u32_e32 vcc_lo, 0, v89
	v_cndmask_b32_e32 v89, v90, v88, vcc_lo
; %bb.32:
	s_or_b32 exec_lo, exec_lo, s2
	v_and_b32_e32 v88, 0x7f800000, v87
	s_delay_alu instid0(VALU_DEP_1) | instskip(SKIP_1) | instid1(SALU_CYCLE_1)
	v_cmp_ne_u32_e32 vcc_lo, 0x7f800000, v88
                                        ; implicit-def: $vgpr88
	s_and_saveexec_b32 s2, vcc_lo
	s_xor_b32 s2, exec_lo, s2
; %bb.33:
	v_bfe_u32 v88, v87, 16, 1
	s_delay_alu instid0(VALU_DEP_1)
	v_add3_u32 v88, v87, v88, 0x7fff
                                        ; implicit-def: $vgpr87
; %bb.34:
	s_and_not1_saveexec_b32 s2, s2
; %bb.35:
	v_and_b32_e32 v88, 0xffff, v87
	v_or_b32_e32 v90, 0x10000, v87
	s_delay_alu instid0(VALU_DEP_2) | instskip(NEXT) | instid1(VALU_DEP_2)
	v_cmp_eq_u32_e32 vcc_lo, 0, v88
	v_cndmask_b32_e32 v88, v90, v87, vcc_lo
; %bb.36:
	s_or_b32 exec_lo, exec_lo, s2
	v_and_b32_e32 v87, 0x7f800000, v84
	s_delay_alu instid0(VALU_DEP_1) | instskip(SKIP_1) | instid1(SALU_CYCLE_1)
	v_cmp_ne_u32_e32 vcc_lo, 0x7f800000, v87
                                        ; implicit-def: $vgpr87
	s_and_saveexec_b32 s2, vcc_lo
	s_xor_b32 s2, exec_lo, s2
; %bb.37:
	v_bfe_u32 v87, v84, 16, 1
	s_delay_alu instid0(VALU_DEP_1)
	v_add3_u32 v87, v84, v87, 0x7fff
                                        ; implicit-def: $vgpr84
; %bb.38:
	s_and_not1_saveexec_b32 s2, s2
; %bb.39:
	v_and_b32_e32 v87, 0xffff, v84
	v_or_b32_e32 v90, 0x10000, v84
	s_delay_alu instid0(VALU_DEP_2) | instskip(NEXT) | instid1(VALU_DEP_2)
	v_cmp_eq_u32_e32 vcc_lo, 0, v87
	v_cndmask_b32_e32 v87, v90, v84, vcc_lo
; %bb.40:
	s_or_b32 exec_lo, exec_lo, s2
	v_and_b32_e32 v84, 0x7f800000, v80
	s_delay_alu instid0(VALU_DEP_1) | instskip(SKIP_1) | instid1(SALU_CYCLE_1)
	v_cmp_ne_u32_e32 vcc_lo, 0x7f800000, v84
                                        ; implicit-def: $vgpr84
	s_and_saveexec_b32 s2, vcc_lo
	s_xor_b32 s2, exec_lo, s2
; %bb.41:
	v_bfe_u32 v84, v80, 16, 1
	s_delay_alu instid0(VALU_DEP_1)
	v_add3_u32 v84, v80, v84, 0x7fff
                                        ; implicit-def: $vgpr80
; %bb.42:
	s_and_not1_saveexec_b32 s2, s2
; %bb.43:
	v_and_b32_e32 v84, 0xffff, v80
	v_or_b32_e32 v90, 0x10000, v80
	s_delay_alu instid0(VALU_DEP_2) | instskip(NEXT) | instid1(VALU_DEP_2)
	v_cmp_eq_u32_e32 vcc_lo, 0, v84
	v_cndmask_b32_e32 v84, v90, v80, vcc_lo
; %bb.44:
	s_or_b32 exec_lo, exec_lo, s2
	s_load_b64 s[34:35], s[0:1], 0x94
	v_lshlrev_b32_e32 v91, 4, v74
	s_delay_alu instid0(VALU_DEP_2)
	v_perm_b32 v90, v84, v87, 0x7060302
	v_dual_mul_f32 v79, v82, v79 :: v_dual_lshlrev_b32 v80, 6, v65
	v_dual_mul_f32 v77, v82, v77 :: v_dual_lshlrev_b32 v92, 11, v66
	v_mul_f32_e32 v84, v82, v70
	v_perm_b32 v89, v88, v89, 0x7060302
	v_perm_b32 v88, v86, v85, 0x7060302
	;; [unrolled: 1-line block ×3, first 2 shown]
	v_mul_f32_e32 v70, v82, v81
	v_or3_b32 v76, v91, v92, v80
	v_dual_mul_f32 v78, v82, v78 :: v_dual_and_b32 v85, 0x7f800000, v84
	v_mul_f32_e32 v83, v82, v72
	v_mul_f32_e32 v81, v82, v71
	;; [unrolled: 1-line block ×3, first 2 shown]
	s_mov_b32 s2, exec_lo
	ds_store_b128 v76, v[87:90]
                                        ; implicit-def: $vgpr69
	v_cmpx_ne_u32_e32 0x7f800000, v85
	s_xor_b32 s2, exec_lo, s2
; %bb.45:
	v_bfe_u32 v69, v84, 16, 1
	s_delay_alu instid0(VALU_DEP_1)
	v_add3_u32 v69, v84, v69, 0x7fff
                                        ; implicit-def: $vgpr84
; %bb.46:
	s_and_not1_saveexec_b32 s2, s2
; %bb.47:
	v_and_b32_e32 v69, 0xffff, v84
	v_or_b32_e32 v71, 0x10000, v84
	s_delay_alu instid0(VALU_DEP_2) | instskip(NEXT) | instid1(VALU_DEP_2)
	v_cmp_eq_u32_e32 vcc_lo, 0, v69
	v_cndmask_b32_e32 v69, v71, v84, vcc_lo
; %bb.48:
	s_or_b32 exec_lo, exec_lo, s2
	v_and_b32_e32 v71, 0x7f800000, v72
	s_delay_alu instid0(VALU_DEP_1) | instskip(SKIP_1) | instid1(SALU_CYCLE_1)
	v_cmp_ne_u32_e32 vcc_lo, 0x7f800000, v71
                                        ; implicit-def: $vgpr71
	s_and_saveexec_b32 s2, vcc_lo
	s_xor_b32 s2, exec_lo, s2
; %bb.49:
	v_bfe_u32 v71, v72, 16, 1
	s_delay_alu instid0(VALU_DEP_1)
	v_add3_u32 v71, v72, v71, 0x7fff
                                        ; implicit-def: $vgpr72
; %bb.50:
	s_and_not1_saveexec_b32 s2, s2
; %bb.51:
	v_and_b32_e32 v71, 0xffff, v72
	v_or_b32_e32 v82, 0x10000, v72
	s_delay_alu instid0(VALU_DEP_2) | instskip(NEXT) | instid1(VALU_DEP_2)
	v_cmp_eq_u32_e32 vcc_lo, 0, v71
	v_cndmask_b32_e32 v71, v82, v72, vcc_lo
; %bb.52:
	s_or_b32 exec_lo, exec_lo, s2
	v_and_b32_e32 v72, 0x7f800000, v81
	s_delay_alu instid0(VALU_DEP_1) | instskip(SKIP_1) | instid1(SALU_CYCLE_1)
	v_cmp_ne_u32_e32 vcc_lo, 0x7f800000, v72
                                        ; implicit-def: $vgpr72
	s_and_saveexec_b32 s2, vcc_lo
	s_xor_b32 s2, exec_lo, s2
; %bb.53:
	v_bfe_u32 v72, v81, 16, 1
	s_delay_alu instid0(VALU_DEP_1)
	v_add3_u32 v72, v81, v72, 0x7fff
                                        ; implicit-def: $vgpr81
; %bb.54:
	s_and_not1_saveexec_b32 s2, s2
; %bb.55:
	v_and_b32_e32 v72, 0xffff, v81
	v_or_b32_e32 v82, 0x10000, v81
	s_delay_alu instid0(VALU_DEP_2) | instskip(NEXT) | instid1(VALU_DEP_2)
	v_cmp_eq_u32_e32 vcc_lo, 0, v72
	v_cndmask_b32_e32 v72, v82, v81, vcc_lo
; %bb.56:
	s_or_b32 exec_lo, exec_lo, s2
	v_and_b32_e32 v81, 0x7f800000, v83
	s_delay_alu instid0(VALU_DEP_1) | instskip(SKIP_1) | instid1(SALU_CYCLE_1)
	v_cmp_ne_u32_e32 vcc_lo, 0x7f800000, v81
                                        ; implicit-def: $vgpr81
	s_and_saveexec_b32 s2, vcc_lo
	s_xor_b32 s2, exec_lo, s2
; %bb.57:
	v_bfe_u32 v81, v83, 16, 1
	s_delay_alu instid0(VALU_DEP_1)
	v_add3_u32 v81, v83, v81, 0x7fff
                                        ; implicit-def: $vgpr83
; %bb.58:
	s_and_not1_saveexec_b32 s2, s2
; %bb.59:
	v_and_b32_e32 v81, 0xffff, v83
	v_or_b32_e32 v82, 0x10000, v83
	s_delay_alu instid0(VALU_DEP_2) | instskip(NEXT) | instid1(VALU_DEP_2)
	v_cmp_eq_u32_e32 vcc_lo, 0, v81
	v_cndmask_b32_e32 v81, v82, v83, vcc_lo
; %bb.60:
	s_or_b32 exec_lo, exec_lo, s2
	v_and_b32_e32 v82, 0x7f800000, v77
	s_delay_alu instid0(VALU_DEP_1) | instskip(SKIP_1) | instid1(SALU_CYCLE_1)
	v_cmp_ne_u32_e32 vcc_lo, 0x7f800000, v82
                                        ; implicit-def: $vgpr82
	s_and_saveexec_b32 s2, vcc_lo
	s_xor_b32 s2, exec_lo, s2
; %bb.61:
	v_bfe_u32 v82, v77, 16, 1
	s_delay_alu instid0(VALU_DEP_1)
	v_add3_u32 v82, v77, v82, 0x7fff
                                        ; implicit-def: $vgpr77
; %bb.62:
	s_and_not1_saveexec_b32 s2, s2
; %bb.63:
	v_and_b32_e32 v82, 0xffff, v77
	v_or_b32_e32 v83, 0x10000, v77
	s_delay_alu instid0(VALU_DEP_2) | instskip(NEXT) | instid1(VALU_DEP_2)
	v_cmp_eq_u32_e32 vcc_lo, 0, v82
	v_cndmask_b32_e32 v82, v83, v77, vcc_lo
; %bb.64:
	s_or_b32 exec_lo, exec_lo, s2
	v_and_b32_e32 v77, 0x7f800000, v78
	s_delay_alu instid0(VALU_DEP_1) | instskip(SKIP_1) | instid1(SALU_CYCLE_1)
	v_cmp_ne_u32_e32 vcc_lo, 0x7f800000, v77
                                        ; implicit-def: $vgpr77
	s_and_saveexec_b32 s2, vcc_lo
	s_xor_b32 s2, exec_lo, s2
; %bb.65:
	v_bfe_u32 v77, v78, 16, 1
	s_delay_alu instid0(VALU_DEP_1)
	v_add3_u32 v77, v78, v77, 0x7fff
                                        ; implicit-def: $vgpr78
; %bb.66:
	s_and_not1_saveexec_b32 s2, s2
; %bb.67:
	v_and_b32_e32 v77, 0xffff, v78
	v_or_b32_e32 v83, 0x10000, v78
	s_delay_alu instid0(VALU_DEP_2) | instskip(NEXT) | instid1(VALU_DEP_2)
	v_cmp_eq_u32_e32 vcc_lo, 0, v77
	v_cndmask_b32_e32 v77, v83, v78, vcc_lo
; %bb.68:
	s_or_b32 exec_lo, exec_lo, s2
	v_and_b32_e32 v78, 0x7f800000, v79
	s_delay_alu instid0(VALU_DEP_1) | instskip(SKIP_1) | instid1(SALU_CYCLE_1)
	v_cmp_ne_u32_e32 vcc_lo, 0x7f800000, v78
                                        ; implicit-def: $vgpr78
	s_and_saveexec_b32 s2, vcc_lo
	s_xor_b32 s2, exec_lo, s2
; %bb.69:
	v_bfe_u32 v78, v79, 16, 1
	s_delay_alu instid0(VALU_DEP_1)
	v_add3_u32 v78, v79, v78, 0x7fff
                                        ; implicit-def: $vgpr79
; %bb.70:
	s_and_not1_saveexec_b32 s2, s2
; %bb.71:
	v_and_b32_e32 v78, 0xffff, v79
	v_or_b32_e32 v83, 0x10000, v79
	s_delay_alu instid0(VALU_DEP_2) | instskip(NEXT) | instid1(VALU_DEP_2)
	v_cmp_eq_u32_e32 vcc_lo, 0, v78
	v_cndmask_b32_e32 v78, v83, v79, vcc_lo
; %bb.72:
	s_or_b32 exec_lo, exec_lo, s2
	v_and_b32_e32 v79, 0x7f800000, v70
	s_delay_alu instid0(VALU_DEP_1) | instskip(SKIP_1) | instid1(SALU_CYCLE_1)
	v_cmp_ne_u32_e32 vcc_lo, 0x7f800000, v79
                                        ; implicit-def: $vgpr79
	s_and_saveexec_b32 s2, vcc_lo
	s_xor_b32 s2, exec_lo, s2
; %bb.73:
	v_bfe_u32 v79, v70, 16, 1
	s_delay_alu instid0(VALU_DEP_1)
	v_add3_u32 v79, v70, v79, 0x7fff
                                        ; implicit-def: $vgpr70
; %bb.74:
	s_and_not1_saveexec_b32 s2, s2
; %bb.75:
	v_and_b32_e32 v79, 0xffff, v70
	v_or_b32_e32 v83, 0x10000, v70
	s_delay_alu instid0(VALU_DEP_2) | instskip(NEXT) | instid1(VALU_DEP_2)
	v_cmp_eq_u32_e32 vcc_lo, 0, v79
	v_cndmask_b32_e32 v79, v83, v70, vcc_lo
; %bb.76:
	s_or_b32 exec_lo, exec_lo, s2
	s_delay_alu instid0(VALU_DEP_1)
	v_perm_b32 v86, v79, v78, 0x7060302
	v_perm_b32 v85, v77, v82, 0x7060302
	;; [unrolled: 1-line block ×4, first 2 shown]
	v_lshl_or_b32 v82, v66, 11, v80
	ds_store_b128 v76, v[83:86] offset:1024
	s_waitcnt lgkmcnt(0)
	s_barrier
	buffer_gl0_inv
	ds_load_b128 v[69:72], v82
	ds_load_b128 v[83:86], v82 offset:16
	s_waitcnt lgkmcnt(1)
	v_lshrrev_b32_e32 v66, 16, v69
	s_waitcnt lgkmcnt(0)
	v_lshrrev_b32_e32 v91, 16, v83
	v_lshlrev_b32_e32 v78, 2, v74
	v_lshrrev_b32_e32 v95, 16, v70
	v_lshrrev_b32_e32 v98, 16, v84
	;; [unrolled: 1-line block ×4, first 2 shown]
	v_cmp_eq_u32_e32 vcc_lo, 1, v78
	v_lshrrev_b32_e32 v97, 16, v72
	v_lshrrev_b32_e32 v100, 16, v86
	v_cndmask_b32_e32 v87, v83, v91, vcc_lo
	v_or_b32_e32 v79, 1, v78
	v_cndmask_b32_e32 v81, v69, v66, vcc_lo
	v_cmp_eq_u32_e64 s3, 2, v78
	v_cmp_eq_u32_e64 s6, 3, v78
	;; [unrolled: 1-line block ×5, first 2 shown]
	v_cndmask_b32_e64 v81, v81, v70, s3
	v_cndmask_b32_e64 v87, v87, v84, s3
	v_cmp_eq_u32_e64 s7, 3, v79
	v_cndmask_b32_e64 v88, v69, v66, s2
	v_or_b32_e32 v77, 2, v78
	v_cndmask_b32_e64 v81, v81, v95, s6
	v_cndmask_b32_e64 v87, v87, v98, s6
	;; [unrolled: 1-line block ×4, first 2 shown]
	v_cmp_eq_u32_e64 s9, 5, v78
	v_cndmask_b32_e64 v81, v81, v71, s8
	v_cndmask_b32_e64 v87, v87, v85, s8
	v_cmp_eq_u32_e64 s10, 4, v79
	v_cndmask_b32_e64 v88, v88, v95, s7
	v_cmp_eq_u32_e64 s4, 1, v77
	v_cndmask_b32_e64 v89, v89, v84, s5
	v_cndmask_b32_e64 v81, v81, v96, s9
	v_cmp_eq_u32_e64 s11, 6, v78
	v_cndmask_b32_e64 v88, v88, v71, s10
	;; [unrolled: 3-line block ×3, first 2 shown]
	v_cndmask_b32_e64 v89, v89, v98, s7
	v_cndmask_b32_e64 v81, v81, v72, s11
	v_cmp_eq_u32_e64 s13, 7, v78
	v_cndmask_b32_e64 v88, v88, v96, s12
	v_cndmask_b32_e64 v87, v87, v86, s11
	v_cmp_eq_u32_e64 s15, 6, v79
	v_cmp_eq_u32_e64 s16, 2, v77
	v_cndmask_b32_e64 v89, v89, v85, s10
	v_cndmask_b32_e64 v101, v81, v97, s13
	;; [unrolled: 1-line block ×6, first 2 shown]
	v_cmp_eq_u32_e64 s17, 7, v79
	v_cmp_eq_u32_e64 s18, 3, v77
	;; [unrolled: 1-line block ×4, first 2 shown]
	v_cndmask_b32_e64 v87, v87, v84, s16
	v_cndmask_b32_e64 v103, v88, v97, s17
	;; [unrolled: 1-line block ×4, first 2 shown]
	v_or_b32_e32 v81, 3, v78
	v_cndmask_b32_e64 v93, v87, v98, s18
	v_cmp_eq_u32_e64 s23, 6, v77
	v_cndmask_b32_e64 v104, v88, v86, s15
	v_cndmask_b32_e64 v92, v89, v71, s19
	v_cmp_eq_u32_e64 s20, 1, v81
	ds_load_b128 v[87:90], v82 offset:1024
	v_cmp_eq_u32_e64 s22, 2, v81
	v_cmp_eq_u32_e64 s24, 3, v81
	v_cndmask_b32_e64 v105, v92, v96, s21
	v_cndmask_b32_e64 v66, v69, v66, s20
	;; [unrolled: 1-line block ×4, first 2 shown]
	ds_load_b128 v[91:94], v82 offset:1040
	v_cmp_eq_u32_e64 s25, 4, v81
	v_cndmask_b32_e64 v66, v66, v70, s22
	v_cmp_eq_u32_e64 s26, 7, v77
	v_cndmask_b32_e64 v70, v83, v84, s22
	v_cndmask_b32_e64 v84, v105, v72, s23
	v_cmp_eq_u32_e64 s27, 5, v81
	v_cndmask_b32_e64 v66, v66, v95, s24
	v_cmp_eq_u32_e64 s28, 6, v81
	v_cndmask_b32_e64 v70, v70, v98, s24
	v_cndmask_b32_e64 v69, v69, v99, s21
	;; [unrolled: 1-line block ×4, first 2 shown]
	s_waitcnt lgkmcnt(1)
	v_lshrrev_b32_e32 v95, 16, v87
	v_cndmask_b32_e64 v70, v70, v85, s25
	v_cndmask_b32_e64 v71, v84, v97, s26
	;; [unrolled: 1-line block ×4, first 2 shown]
	v_cndmask_b32_e32 v84, v87, v95, vcc_lo
	v_cndmask_b32_e64 v70, v70, v99, s27
	s_waitcnt lgkmcnt(0)
	v_lshrrev_b32_e32 v85, 16, v91
	v_lshrrev_b32_e32 v96, 16, v88
	v_cndmask_b32_e64 v98, v87, v95, s2
	v_cndmask_b32_e64 v84, v84, v88, s3
	;; [unrolled: 1-line block ×3, first 2 shown]
	v_cndmask_b32_e32 v99, v91, v85, vcc_lo
	v_cmp_eq_u32_e32 vcc_lo, 7, v81
	v_cndmask_b32_e64 v66, v66, v72, s28
	v_cndmask_b32_e64 v72, v84, v96, s6
	;; [unrolled: 1-line block ×3, first 2 shown]
	v_lshrrev_b32_e32 v98, 16, v92
	v_cndmask_b32_e32 v70, v70, v100, vcc_lo
	v_cndmask_b32_e64 v86, v99, v92, s3
	v_cndmask_b32_e64 v69, v69, v100, s26
	v_lshrrev_b32_e32 v100, 16, v93
	v_cndmask_b32_e64 v72, v72, v89, s8
	v_lshrrev_b32_e32 v99, 16, v89
	v_cndmask_b32_e64 v86, v86, v98, s6
	v_perm_b32 v71, v69, v71, 0x5040100
	v_cndmask_b32_e64 v84, v84, v96, s7
	s_delay_alu instid0(VALU_DEP_3) | instskip(NEXT) | instid1(VALU_DEP_2)
	v_cndmask_b32_e64 v86, v86, v93, s8
	v_cndmask_b32_e64 v84, v84, v89, s10
	s_delay_alu instid0(VALU_DEP_2) | instskip(NEXT) | instid1(VALU_DEP_1)
	v_cndmask_b32_e64 v86, v86, v100, s9
	v_cndmask_b32_e64 v69, v86, v94, s11
	;; [unrolled: 1-line block ×5, first 2 shown]
	s_delay_alu instid0(VALU_DEP_3) | instskip(NEXT) | instid1(VALU_DEP_3)
	v_cndmask_b32_e64 v86, v86, v88, s16
	v_cndmask_b32_e64 v87, v87, v88, s22
	s_delay_alu instid0(VALU_DEP_3) | instskip(NEXT) | instid1(VALU_DEP_3)
	v_cndmask_b32_e64 v88, v95, v92, s22
	v_cndmask_b32_e64 v86, v86, v96, s18
	;; [unrolled: 3-line block ×7, first 2 shown]
	s_delay_alu instid0(VALU_DEP_3) | instskip(SKIP_2) | instid1(VALU_DEP_2)
	v_cndmask_b32_e64 v88, v88, v94, s28
	v_cndmask_b32_e32 v66, v66, v97, vcc_lo
	v_cndmask_b32_e64 v97, v72, v99, s9
	v_perm_b32 v72, v70, v66, 0x5040100
	v_perm_b32 v70, v83, v103, 0x5040100
	v_cndmask_b32_e64 v103, v91, v85, s4
	v_cndmask_b32_e64 v85, v91, v85, s2
	;; [unrolled: 1-line block ×4, first 2 shown]
	v_lshrrev_b32_e32 v97, 16, v90
	v_cndmask_b32_e64 v91, v103, v92, s16
	v_cndmask_b32_e64 v85, v85, v92, s5
	;; [unrolled: 1-line block ×3, first 2 shown]
	s_mov_b32 s2, exec_lo
	v_cndmask_b32_e64 v83, v84, v97, s13
	v_cndmask_b32_e64 v91, v91, v98, s18
	;; [unrolled: 1-line block ×3, first 2 shown]
	v_lshrrev_b32_e32 v84, 16, v94
	v_cndmask_b32_e64 v66, v66, v97, s17
	v_cndmask_b32_e64 v90, v86, v97, s26
	;; [unrolled: 1-line block ×4, first 2 shown]
	v_dual_cndmask_b32 v86, v87, v97 :: v_dual_cndmask_b32 v87, v88, v84
	v_cndmask_b32_e64 v91, v69, v84, s13
	s_delay_alu instid0(VALU_DEP_4) | instskip(NEXT) | instid1(VALU_DEP_4)
	v_cndmask_b32_e64 v89, v89, v100, s21
	v_cndmask_b32_e64 v85, v85, v100, s12
	v_perm_b32 v69, v102, v101, 0x5040100
	v_perm_b32 v86, v87, v86, 0x5040100
	;; [unrolled: 1-line block ×3, first 2 shown]
	v_cndmask_b32_e64 v89, v89, v94, s23
	v_cndmask_b32_e64 v85, v85, v94, s15
	s_mul_i32 s7, s35, 6
	s_delay_alu instid0(VALU_DEP_2) | instskip(NEXT) | instid1(VALU_DEP_2)
	v_cndmask_b32_e64 v88, v89, v84, s26
	v_cndmask_b32_e64 v89, v85, v84, s17
	s_delay_alu instid0(VALU_DEP_2) | instskip(NEXT) | instid1(VALU_DEP_2)
	v_perm_b32 v85, v88, v90, 0x5040100
	v_perm_b32 v84, v89, v66, 0x5040100
	ds_store_b128 v76, v[69:72]
	ds_store_b128 v76, v[83:86] offset:1024
	v_cmpx_gt_u32_e32 6, v0
	s_cbranch_execz .LBB1511_78
; %bb.77:
	s_mul_i32 s3, s7, s30
	s_load_b128 s[8:11], s[0:1], 0x58
	v_add3_u32 v69, s3, s29, v65
	s_delay_alu instid0(VALU_DEP_1) | instskip(NEXT) | instid1(VALU_DEP_1)
	v_mad_u64_u32 v[65:66], null, v69, s34, s[14:15]
	v_ashrrev_i32_e32 v66, 31, v65
	s_delay_alu instid0(VALU_DEP_1) | instskip(SKIP_1) | instid1(VALU_DEP_1)
	v_lshlrev_b64 v[65:66], 2, v[65:66]
	s_waitcnt lgkmcnt(0)
	v_add_co_u32 v69, vcc_lo, s10, v65
	s_delay_alu instid0(VALU_DEP_2)
	v_add_co_ci_u32_e32 v70, vcc_lo, s11, v66, vcc_lo
	v_add_co_u32 v65, vcc_lo, s8, v65
	v_add_co_ci_u32_e32 v66, vcc_lo, s9, v66, vcc_lo
	global_store_b32 v[69:70], v67, off
	global_store_b32 v[65:66], v68, off
.LBB1511_78:
	s_or_b32 exec_lo, exec_lo, s2
	s_waitcnt lgkmcnt(0)
	s_waitcnt_vscnt null, 0x0
	s_barrier
	buffer_gl0_inv
	ds_load_b128 v[83:86], v80
	ds_load_b128 v[87:90], v80 offset:16
	ds_load_b128 v[95:98], v80 offset:2064
	;; [unrolled: 1-line block ×3, first 2 shown]
	v_mov_b32_e32 v65, 0
	ds_load_b128 v[103:106], v80 offset:4112
	ds_load_b128 v[99:102], v80 offset:4096
	;; [unrolled: 1-line block ×4, first 2 shown]
	v_mov_b32_e32 v66, v65
	v_mov_b32_e32 v67, v65
	;; [unrolled: 1-line block ×7, first 2 shown]
	s_waitcnt lgkmcnt(6)
	s_delay_alu instid0(VALU_DEP_1)
	v_wmma_f32_16x16x16_bf16 v[65:72], v[41:48], v[83:90], v[65:72]
	ds_load_b128 v[45:48], v80 offset:8208
	ds_load_b128 v[41:44], v80 offset:8192
	s_waitcnt lgkmcnt(6)
	v_wmma_f32_16x16x16_bf16 v[65:72], v[33:40], v[91:98], v[65:72]
	ds_load_b128 v[37:40], v80 offset:10256
	ds_load_b128 v[33:36], v80 offset:10240
	s_waitcnt lgkmcnt(6)
	;; [unrolled: 4-line block ×4, first 2 shown]
	v_wmma_f32_16x16x16_bf16 v[65:72], v[1:8], v[41:48], v[65:72]
	s_waitcnt lgkmcnt(4)
	s_delay_alu instid0(VALU_DEP_1) | instskip(SKIP_1) | instid1(VALU_DEP_1)
	v_wmma_f32_16x16x16_bf16 v[65:72], v[9:16], v[33:40], v[65:72]
	s_waitcnt lgkmcnt(2)
	v_wmma_f32_16x16x16_bf16 v[65:72], v[57:64], v[25:32], v[65:72]
	s_waitcnt lgkmcnt(0)
	s_delay_alu instid0(VALU_DEP_1) | instskip(NEXT) | instid1(VALU_DEP_1)
	v_wmma_f32_16x16x16_bf16 v[65:72], v[49:56], v[17:24], v[65:72]
	v_and_b32_e32 v1, 0x7f800000, v65
	s_delay_alu instid0(VALU_DEP_1) | instskip(SKIP_1) | instid1(SALU_CYCLE_1)
	v_cmp_ne_u32_e32 vcc_lo, 0x7f800000, v1
                                        ; implicit-def: $vgpr1
	s_and_saveexec_b32 s2, vcc_lo
	s_xor_b32 s2, exec_lo, s2
; %bb.79:
	v_bfe_u32 v1, v65, 16, 1
	s_delay_alu instid0(VALU_DEP_1)
	v_add3_u32 v1, v65, v1, 0x7fff
; %bb.80:
	s_and_not1_saveexec_b32 s2, s2
; %bb.81:
	v_and_b32_e32 v1, 0xffff, v65
	v_or_b32_e32 v2, 0x10000, v65
	s_delay_alu instid0(VALU_DEP_2) | instskip(NEXT) | instid1(VALU_DEP_2)
	v_cmp_eq_u32_e32 vcc_lo, 0, v1
	v_cndmask_b32_e32 v1, v2, v65, vcc_lo
; %bb.82:
	s_or_b32 exec_lo, exec_lo, s2
	v_and_b32_e32 v2, 0x7f800000, v66
	s_delay_alu instid0(VALU_DEP_1) | instskip(SKIP_1) | instid1(SALU_CYCLE_1)
	v_cmp_ne_u32_e32 vcc_lo, 0x7f800000, v2
                                        ; implicit-def: $vgpr2
	s_and_saveexec_b32 s2, vcc_lo
	s_xor_b32 s2, exec_lo, s2
; %bb.83:
	v_bfe_u32 v2, v66, 16, 1
	s_delay_alu instid0(VALU_DEP_1)
	v_add3_u32 v2, v66, v2, 0x7fff
; %bb.84:
	s_and_not1_saveexec_b32 s2, s2
; %bb.85:
	v_and_b32_e32 v2, 0xffff, v66
	v_or_b32_e32 v3, 0x10000, v66
	s_delay_alu instid0(VALU_DEP_2) | instskip(NEXT) | instid1(VALU_DEP_2)
	v_cmp_eq_u32_e32 vcc_lo, 0, v2
	v_cndmask_b32_e32 v2, v3, v66, vcc_lo
; %bb.86:
	s_or_b32 exec_lo, exec_lo, s2
	v_and_b32_e32 v3, 0x7f800000, v67
	s_delay_alu instid0(VALU_DEP_1) | instskip(SKIP_1) | instid1(SALU_CYCLE_1)
	v_cmp_ne_u32_e32 vcc_lo, 0x7f800000, v3
                                        ; implicit-def: $vgpr3
	s_and_saveexec_b32 s2, vcc_lo
	s_xor_b32 s2, exec_lo, s2
; %bb.87:
	v_bfe_u32 v3, v67, 16, 1
	s_delay_alu instid0(VALU_DEP_1)
	v_add3_u32 v3, v67, v3, 0x7fff
; %bb.88:
	s_and_not1_saveexec_b32 s2, s2
; %bb.89:
	v_and_b32_e32 v3, 0xffff, v67
	v_or_b32_e32 v4, 0x10000, v67
	s_delay_alu instid0(VALU_DEP_2) | instskip(NEXT) | instid1(VALU_DEP_2)
	v_cmp_eq_u32_e32 vcc_lo, 0, v3
	v_cndmask_b32_e32 v3, v4, v67, vcc_lo
; %bb.90:
	s_or_b32 exec_lo, exec_lo, s2
	v_and_b32_e32 v4, 0x7f800000, v68
	s_delay_alu instid0(VALU_DEP_1) | instskip(SKIP_1) | instid1(SALU_CYCLE_1)
	v_cmp_ne_u32_e32 vcc_lo, 0x7f800000, v4
                                        ; implicit-def: $vgpr4
	s_and_saveexec_b32 s2, vcc_lo
	s_xor_b32 s2, exec_lo, s2
; %bb.91:
	v_bfe_u32 v4, v68, 16, 1
	s_delay_alu instid0(VALU_DEP_1)
	v_add3_u32 v4, v68, v4, 0x7fff
; %bb.92:
	s_and_not1_saveexec_b32 s2, s2
; %bb.93:
	v_and_b32_e32 v4, 0xffff, v68
	v_or_b32_e32 v5, 0x10000, v68
	s_delay_alu instid0(VALU_DEP_2) | instskip(NEXT) | instid1(VALU_DEP_2)
	v_cmp_eq_u32_e32 vcc_lo, 0, v4
	v_cndmask_b32_e32 v4, v5, v68, vcc_lo
; %bb.94:
	s_or_b32 exec_lo, exec_lo, s2
	v_and_b32_e32 v5, 0x7f800000, v69
	s_delay_alu instid0(VALU_DEP_1) | instskip(SKIP_1) | instid1(SALU_CYCLE_1)
	v_cmp_ne_u32_e32 vcc_lo, 0x7f800000, v5
                                        ; implicit-def: $vgpr5
	s_and_saveexec_b32 s2, vcc_lo
	s_xor_b32 s2, exec_lo, s2
; %bb.95:
	v_bfe_u32 v5, v69, 16, 1
	s_delay_alu instid0(VALU_DEP_1)
	v_add3_u32 v5, v69, v5, 0x7fff
; %bb.96:
	s_and_not1_saveexec_b32 s2, s2
; %bb.97:
	v_and_b32_e32 v5, 0xffff, v69
	v_or_b32_e32 v6, 0x10000, v69
	s_delay_alu instid0(VALU_DEP_2) | instskip(NEXT) | instid1(VALU_DEP_2)
	v_cmp_eq_u32_e32 vcc_lo, 0, v5
	v_cndmask_b32_e32 v5, v6, v69, vcc_lo
; %bb.98:
	s_or_b32 exec_lo, exec_lo, s2
	v_and_b32_e32 v6, 0x7f800000, v70
	s_delay_alu instid0(VALU_DEP_1) | instskip(SKIP_1) | instid1(SALU_CYCLE_1)
	v_cmp_ne_u32_e32 vcc_lo, 0x7f800000, v6
                                        ; implicit-def: $vgpr6
	s_and_saveexec_b32 s2, vcc_lo
	s_xor_b32 s2, exec_lo, s2
; %bb.99:
	v_bfe_u32 v6, v70, 16, 1
	s_delay_alu instid0(VALU_DEP_1)
	v_add3_u32 v6, v70, v6, 0x7fff
; %bb.100:
	s_and_not1_saveexec_b32 s2, s2
; %bb.101:
	v_and_b32_e32 v6, 0xffff, v70
	v_or_b32_e32 v7, 0x10000, v70
	s_delay_alu instid0(VALU_DEP_2) | instskip(NEXT) | instid1(VALU_DEP_2)
	v_cmp_eq_u32_e32 vcc_lo, 0, v6
	v_cndmask_b32_e32 v6, v7, v70, vcc_lo
; %bb.102:
	s_or_b32 exec_lo, exec_lo, s2
	v_and_b32_e32 v7, 0x7f800000, v71
	s_delay_alu instid0(VALU_DEP_1) | instskip(SKIP_1) | instid1(SALU_CYCLE_1)
	v_cmp_ne_u32_e32 vcc_lo, 0x7f800000, v7
                                        ; implicit-def: $vgpr7
	s_and_saveexec_b32 s2, vcc_lo
	s_xor_b32 s2, exec_lo, s2
; %bb.103:
	v_bfe_u32 v7, v71, 16, 1
	s_delay_alu instid0(VALU_DEP_1)
	v_add3_u32 v7, v71, v7, 0x7fff
; %bb.104:
	s_and_not1_saveexec_b32 s2, s2
; %bb.105:
	v_and_b32_e32 v7, 0xffff, v71
	v_or_b32_e32 v8, 0x10000, v71
	s_delay_alu instid0(VALU_DEP_2) | instskip(NEXT) | instid1(VALU_DEP_2)
	v_cmp_eq_u32_e32 vcc_lo, 0, v7
	v_cndmask_b32_e32 v7, v8, v71, vcc_lo
; %bb.106:
	s_or_b32 exec_lo, exec_lo, s2
	v_and_b32_e32 v8, 0x7f800000, v72
	s_delay_alu instid0(VALU_DEP_1) | instskip(SKIP_1) | instid1(SALU_CYCLE_1)
	v_cmp_ne_u32_e32 vcc_lo, 0x7f800000, v8
                                        ; implicit-def: $vgpr8
	s_and_saveexec_b32 s2, vcc_lo
	s_xor_b32 s2, exec_lo, s2
; %bb.107:
	v_bfe_u32 v8, v72, 16, 1
	s_delay_alu instid0(VALU_DEP_1)
	v_add3_u32 v8, v72, v8, 0x7fff
                                        ; implicit-def: $vgpr65_vgpr66_vgpr67_vgpr68_vgpr69_vgpr70_vgpr71_vgpr72
; %bb.108:
	s_and_not1_saveexec_b32 s2, s2
; %bb.109:
	v_and_b32_e32 v8, 0xffff, v72
	v_or_b32_e32 v9, 0x10000, v72
	s_delay_alu instid0(VALU_DEP_2) | instskip(NEXT) | instid1(VALU_DEP_2)
	v_cmp_eq_u32_e32 vcc_lo, 0, v8
	v_cndmask_b32_e32 v8, v9, v72, vcc_lo
; %bb.110:
	s_or_b32 exec_lo, exec_lo, s2
	s_delay_alu instid0(VALU_DEP_1)
	v_perm_b32 v7, v8, v7, 0x7060302
	v_perm_b32 v6, v6, v5, 0x7060302
	;; [unrolled: 1-line block ×4, first 2 shown]
	s_barrier
	buffer_gl0_inv
	v_cmp_eq_u32_e32 vcc_lo, 1, v78
	ds_store_b128 v76, v[4:7]
	s_waitcnt lgkmcnt(0)
	s_barrier
	buffer_gl0_inv
	ds_load_b128 v[1:4], v82
	ds_load_b128 v[5:8], v82 offset:16
	v_cmp_eq_u32_e64 s2, 1, v79
	v_cmp_eq_u32_e64 s3, 2, v78
	;; [unrolled: 1-line block ×5, first 2 shown]
	s_waitcnt lgkmcnt(1)
	v_lshrrev_b32_e32 v9, 16, v1
	s_waitcnt lgkmcnt(0)
	v_lshrrev_b32_e32 v13, 16, v5
	v_lshrrev_b32_e32 v10, 16, v2
	;; [unrolled: 1-line block ×4, first 2 shown]
	v_cndmask_b32_e64 v19, v1, v9, s2
	v_cndmask_b32_e32 v18, v5, v13, vcc_lo
	v_cndmask_b32_e64 v20, v5, v13, s2
	v_cndmask_b32_e32 v17, v1, v9, vcc_lo
	v_cmp_eq_u32_e32 vcc_lo, 2, v79
	v_lshrrev_b32_e32 v15, 16, v7
	v_cmp_eq_u32_e64 s2, 1, v77
	v_lshrrev_b32_e32 v12, 16, v4
	v_lshrrev_b32_e32 v16, 16, v8
	v_cndmask_b32_e32 v20, v20, v6, vcc_lo
	v_cndmask_b32_e64 v17, v17, v2, s3
	v_cndmask_b32_e32 v19, v19, v2, vcc_lo
	v_cndmask_b32_e64 v18, v18, v6, s3
	v_cmp_eq_u32_e32 vcc_lo, 4, v78
	v_cmp_eq_u32_e64 s3, 3, v79
	v_cndmask_b32_e64 v17, v17, v10, s4
	v_cndmask_b32_e64 v21, v1, v9, s2
	;; [unrolled: 1-line block ×5, first 2 shown]
	v_cndmask_b32_e32 v17, v17, v3, vcc_lo
	v_cndmask_b32_e64 v20, v20, v14, s3
	v_cndmask_b32_e32 v18, v18, v7, vcc_lo
	v_cmp_eq_u32_e32 vcc_lo, 4, v79
	v_cmp_eq_u32_e64 s3, 5, v79
	v_cmp_eq_u32_e64 s2, 2, v81
	v_cndmask_b32_e64 v21, v21, v2, s6
	v_cmp_eq_u32_e64 s4, 5, v78
	v_cndmask_b32_e32 v19, v19, v3, vcc_lo
	v_cndmask_b32_e32 v20, v20, v7, vcc_lo
	v_cmp_eq_u32_e32 vcc_lo, 6, v79
	s_delay_alu instid0(VALU_DEP_4) | instskip(NEXT) | instid1(VALU_DEP_4)
	v_cndmask_b32_e64 v17, v17, v11, s4
	v_cndmask_b32_e64 v19, v19, v11, s3
	s_delay_alu instid0(VALU_DEP_4) | instskip(SKIP_1) | instid1(VALU_DEP_3)
	v_cndmask_b32_e64 v20, v20, v15, s3
	v_cmp_eq_u32_e64 s3, 1, v81
	v_cndmask_b32_e32 v19, v19, v4, vcc_lo
	v_cndmask_b32_e64 v18, v18, v15, s4
	s_delay_alu instid0(VALU_DEP_3)
	v_cndmask_b32_e64 v1, v1, v9, s3
	v_cndmask_b32_e64 v5, v5, v13, s3
	v_cmp_eq_u32_e64 s3, 3, v77
	v_cndmask_b32_e64 v13, v22, v6, s6
	v_cmp_eq_u32_e64 s6, 3, v81
	v_cndmask_b32_e64 v1, v1, v2, s2
	v_cndmask_b32_e64 v2, v5, v6, s2
	;; [unrolled: 1-line block ×3, first 2 shown]
	v_cmp_eq_u32_e64 s2, 4, v77
	v_cndmask_b32_e64 v6, v13, v14, s3
	v_cndmask_b32_e64 v1, v1, v10, s6
	v_cmp_eq_u32_e64 s3, 4, v81
	v_cndmask_b32_e64 v2, v2, v14, s6
	v_cndmask_b32_e64 v5, v9, v3, s2
	;; [unrolled: 3-line block ×3, first 2 shown]
	v_cndmask_b32_e64 v2, v2, v7, s3
	v_cmp_eq_u32_e64 s2, 5, v81
	v_cmp_eq_u32_e64 s4, 6, v78
	v_cndmask_b32_e64 v5, v5, v11, s6
	v_cmp_eq_u32_e64 s3, 6, v77
	v_cndmask_b32_e64 v3, v6, v15, s6
	v_cndmask_b32_e64 v1, v1, v11, s2
	v_cmp_eq_u32_e64 s6, 6, v81
	v_cndmask_b32_e64 v2, v2, v15, s2
	v_cndmask_b32_e64 v17, v17, v4, s4
	v_cndmask_b32_e64 v18, v18, v8, s4
	v_cmp_eq_u32_e64 s4, 7, v78
	v_cndmask_b32_e64 v5, v5, v4, s3
	;; [unrolled: 4-line block ×3, first 2 shown]
	v_cmp_eq_u32_e64 s3, 7, v77
	v_cndmask_b32_e32 v4, v20, v8, vcc_lo
	v_cndmask_b32_e64 v17, v17, v12, s4
	v_cndmask_b32_e64 v19, v19, v12, s5
	;; [unrolled: 1-line block ×8, first 2 shown]
	s_mov_b32 s2, exec_lo
	v_perm_b32 v4, v2, v1, 0x5040100
	v_perm_b32 v3, v3, v5, 0x5040100
	;; [unrolled: 1-line block ×4, first 2 shown]
	ds_store_b128 v76, v[1:4]
	s_waitcnt lgkmcnt(0)
	s_barrier
	buffer_gl0_inv
	v_cmpx_gt_u32_e32 32, v0
	s_cbranch_execz .LBB1511_2
; %bb.111:
	s_load_b64 s[0:1], s[0:1], 0x68
	s_lshl_b32 s4, s34, 7
	v_or_b32_e32 v3, s29, v74
	s_mul_i32 s2, s4, s30
	v_lshlrev_b32_e32 v0, 10, v0
	s_mul_i32 s2, s2, s7
	v_lshlrev_b32_e32 v1, 4, v75
	s_ashr_i32 s3, s2, 31
	v_mul_lo_u32 v12, v3, s4
	s_lshl_b64 s[2:3], s[2:3], 1
	v_lshlrev_b32_e32 v2, 6, v74
	v_and_b32_e32 v0, 0x3800, v0
	s_delay_alu instid0(VALU_DEP_1) | instskip(NEXT) | instid1(VALU_DEP_4)
	v_or3_b32 v8, v0, v1, v2
	v_ashrrev_i32_e32 v13, 31, v12
	ds_load_b128 v[0:3], v8
	ds_load_b128 v[4:7], v8 offset:128
	ds_load_b128 v[8:11], v8 offset:256
	s_waitcnt lgkmcnt(0)
	s_add_u32 s2, s0, s2
	s_addc_u32 s3, s1, s3
	s_lshl_b32 s0, s14, 7
	s_delay_alu instid0(SALU_CYCLE_1) | instskip(NEXT) | instid1(SALU_CYCLE_1)
	s_ashr_i32 s1, s0, 31
	s_lshl_b64 s[0:1], s[0:1], 1
	s_delay_alu instid0(SALU_CYCLE_1)
	s_add_u32 s0, s2, s0
	s_addc_u32 s1, s3, s1
	s_lshl_b32 s2, s34, 8
	v_add_co_u32 v18, s0, s0, v73
	v_add_nc_u32_e32 v14, s2, v12
	v_lshlrev_b64 v[12:13], 1, v[12:13]
	v_add_co_ci_u32_e64 v19, null, s1, 0, s0
	s_delay_alu instid0(VALU_DEP_3) | instskip(SKIP_1) | instid1(VALU_DEP_4)
	v_add_nc_u32_e32 v16, s2, v14
	v_ashrrev_i32_e32 v15, 31, v14
	v_add_co_u32 v12, vcc_lo, v18, v12
	s_delay_alu instid0(VALU_DEP_4) | instskip(NEXT) | instid1(VALU_DEP_4)
	v_add_co_ci_u32_e32 v13, vcc_lo, v19, v13, vcc_lo
	v_ashrrev_i32_e32 v17, 31, v16
	s_delay_alu instid0(VALU_DEP_4) | instskip(NEXT) | instid1(VALU_DEP_2)
	v_lshlrev_b64 v[14:15], 1, v[14:15]
	v_lshlrev_b64 v[16:17], 1, v[16:17]
	s_delay_alu instid0(VALU_DEP_2) | instskip(NEXT) | instid1(VALU_DEP_3)
	v_add_co_u32 v14, vcc_lo, v18, v14
	v_add_co_ci_u32_e32 v15, vcc_lo, v19, v15, vcc_lo
	s_delay_alu instid0(VALU_DEP_3) | instskip(NEXT) | instid1(VALU_DEP_4)
	v_add_co_u32 v16, vcc_lo, v18, v16
	v_add_co_ci_u32_e32 v17, vcc_lo, v19, v17, vcc_lo
	s_clause 0x2
	global_store_b128 v[12:13], v[0:3], off
	global_store_b128 v[14:15], v[4:7], off
	;; [unrolled: 1-line block ×3, first 2 shown]
	s_nop 0
	s_sendmsg sendmsg(MSG_DEALLOC_VGPRS)
	s_endpgm
	.section	.rodata,"a",@progbits
	.p2align	6, 0x0
	.amdhsa_kernel _Z39paged_attention_ll4mi_QKV_mfma16_kernelI14__hip_bfloat16hLN4vllm18Fp8KVCacheDataTypeE1EhLi16ELi128ELi256ELb1ELi6EL8MFMAType1EEvPKT_PKT0_S9_ifPKiSB_SB_iPKfiiiPfSE_PS4_PT2_iSD_SD_
		.amdhsa_group_segment_fixed_size 17472
		.amdhsa_private_segment_fixed_size 0
		.amdhsa_kernarg_size 400
		.amdhsa_user_sgpr_count 13
		.amdhsa_user_sgpr_dispatch_ptr 0
		.amdhsa_user_sgpr_queue_ptr 0
		.amdhsa_user_sgpr_kernarg_segment_ptr 1
		.amdhsa_user_sgpr_dispatch_id 0
		.amdhsa_user_sgpr_private_segment_size 0
		.amdhsa_wavefront_size32 1
		.amdhsa_uses_dynamic_stack 0
		.amdhsa_enable_private_segment 0
		.amdhsa_system_sgpr_workgroup_id_x 1
		.amdhsa_system_sgpr_workgroup_id_y 1
		.amdhsa_system_sgpr_workgroup_id_z 1
		.amdhsa_system_sgpr_workgroup_info 0
		.amdhsa_system_vgpr_workitem_id 0
		.amdhsa_next_free_vgpr 140
		.amdhsa_next_free_sgpr 36
		.amdhsa_reserve_vcc 1
		.amdhsa_float_round_mode_32 0
		.amdhsa_float_round_mode_16_64 0
		.amdhsa_float_denorm_mode_32 3
		.amdhsa_float_denorm_mode_16_64 3
		.amdhsa_dx10_clamp 1
		.amdhsa_ieee_mode 1
		.amdhsa_fp16_overflow 0
		.amdhsa_workgroup_processor_mode 1
		.amdhsa_memory_ordered 1
		.amdhsa_forward_progress 0
		.amdhsa_shared_vgpr_count 0
		.amdhsa_exception_fp_ieee_invalid_op 0
		.amdhsa_exception_fp_denorm_src 0
		.amdhsa_exception_fp_ieee_div_zero 0
		.amdhsa_exception_fp_ieee_overflow 0
		.amdhsa_exception_fp_ieee_underflow 0
		.amdhsa_exception_fp_ieee_inexact 0
		.amdhsa_exception_int_div_zero 0
	.end_amdhsa_kernel
	.section	.text._Z39paged_attention_ll4mi_QKV_mfma16_kernelI14__hip_bfloat16hLN4vllm18Fp8KVCacheDataTypeE1EhLi16ELi128ELi256ELb1ELi6EL8MFMAType1EEvPKT_PKT0_S9_ifPKiSB_SB_iPKfiiiPfSE_PS4_PT2_iSD_SD_,"axG",@progbits,_Z39paged_attention_ll4mi_QKV_mfma16_kernelI14__hip_bfloat16hLN4vllm18Fp8KVCacheDataTypeE1EhLi16ELi128ELi256ELb1ELi6EL8MFMAType1EEvPKT_PKT0_S9_ifPKiSB_SB_iPKfiiiPfSE_PS4_PT2_iSD_SD_,comdat
.Lfunc_end1511:
	.size	_Z39paged_attention_ll4mi_QKV_mfma16_kernelI14__hip_bfloat16hLN4vllm18Fp8KVCacheDataTypeE1EhLi16ELi128ELi256ELb1ELi6EL8MFMAType1EEvPKT_PKT0_S9_ifPKiSB_SB_iPKfiiiPfSE_PS4_PT2_iSD_SD_, .Lfunc_end1511-_Z39paged_attention_ll4mi_QKV_mfma16_kernelI14__hip_bfloat16hLN4vllm18Fp8KVCacheDataTypeE1EhLi16ELi128ELi256ELb1ELi6EL8MFMAType1EEvPKT_PKT0_S9_ifPKiSB_SB_iPKfiiiPfSE_PS4_PT2_iSD_SD_
                                        ; -- End function
	.section	.AMDGPU.csdata,"",@progbits
; Kernel info:
; codeLenInByte = 8884
; NumSgprs: 38
; NumVgprs: 140
; ScratchSize: 0
; MemoryBound: 0
; FloatMode: 240
; IeeeMode: 1
; LDSByteSize: 17472 bytes/workgroup (compile time only)
; SGPRBlocks: 4
; VGPRBlocks: 17
; NumSGPRsForWavesPerEU: 38
; NumVGPRsForWavesPerEU: 140
; Occupancy: 10
; WaveLimiterHint : 1
; COMPUTE_PGM_RSRC2:SCRATCH_EN: 0
; COMPUTE_PGM_RSRC2:USER_SGPR: 13
; COMPUTE_PGM_RSRC2:TRAP_HANDLER: 0
; COMPUTE_PGM_RSRC2:TGID_X_EN: 1
; COMPUTE_PGM_RSRC2:TGID_Y_EN: 1
; COMPUTE_PGM_RSRC2:TGID_Z_EN: 1
; COMPUTE_PGM_RSRC2:TIDIG_COMP_CNT: 0
	.section	.text._Z39paged_attention_ll4mi_QKV_mfma16_kernelI14__hip_bfloat16hLN4vllm18Fp8KVCacheDataTypeE1EhLi16ELi128ELi256ELb1ELi7EL8MFMAType1EEvPKT_PKT0_S9_ifPKiSB_SB_iPKfiiiPfSE_PS4_PT2_iSD_SD_,"axG",@progbits,_Z39paged_attention_ll4mi_QKV_mfma16_kernelI14__hip_bfloat16hLN4vllm18Fp8KVCacheDataTypeE1EhLi16ELi128ELi256ELb1ELi7EL8MFMAType1EEvPKT_PKT0_S9_ifPKiSB_SB_iPKfiiiPfSE_PS4_PT2_iSD_SD_,comdat
	.protected	_Z39paged_attention_ll4mi_QKV_mfma16_kernelI14__hip_bfloat16hLN4vllm18Fp8KVCacheDataTypeE1EhLi16ELi128ELi256ELb1ELi7EL8MFMAType1EEvPKT_PKT0_S9_ifPKiSB_SB_iPKfiiiPfSE_PS4_PT2_iSD_SD_ ; -- Begin function _Z39paged_attention_ll4mi_QKV_mfma16_kernelI14__hip_bfloat16hLN4vllm18Fp8KVCacheDataTypeE1EhLi16ELi128ELi256ELb1ELi7EL8MFMAType1EEvPKT_PKT0_S9_ifPKiSB_SB_iPKfiiiPfSE_PS4_PT2_iSD_SD_
	.globl	_Z39paged_attention_ll4mi_QKV_mfma16_kernelI14__hip_bfloat16hLN4vllm18Fp8KVCacheDataTypeE1EhLi16ELi128ELi256ELb1ELi7EL8MFMAType1EEvPKT_PKT0_S9_ifPKiSB_SB_iPKfiiiPfSE_PS4_PT2_iSD_SD_
	.p2align	8
	.type	_Z39paged_attention_ll4mi_QKV_mfma16_kernelI14__hip_bfloat16hLN4vllm18Fp8KVCacheDataTypeE1EhLi16ELi128ELi256ELb1ELi7EL8MFMAType1EEvPKT_PKT0_S9_ifPKiSB_SB_iPKfiiiPfSE_PS4_PT2_iSD_SD_,@function
_Z39paged_attention_ll4mi_QKV_mfma16_kernelI14__hip_bfloat16hLN4vllm18Fp8KVCacheDataTypeE1EhLi16ELi128ELi256ELb1ELi7EL8MFMAType1EEvPKT_PKT0_S9_ifPKiSB_SB_iPKfiiiPfSE_PS4_PT2_iSD_SD_: ; @_Z39paged_attention_ll4mi_QKV_mfma16_kernelI14__hip_bfloat16hLN4vllm18Fp8KVCacheDataTypeE1EhLi16ELi128ELi256ELb1ELi7EL8MFMAType1EEvPKT_PKT0_S9_ifPKiSB_SB_iPKfiiiPfSE_PS4_PT2_iSD_SD_
; %bb.0:
	s_load_b64 s[4:5], s[0:1], 0x30
	s_mov_b32 s30, s13
	s_waitcnt lgkmcnt(0)
	s_cmp_lg_u64 s[4:5], 0
	s_cselect_b32 s13, -1, 0
	s_ashr_i32 s31, s30, 31
	s_cmp_eq_u64 s[4:5], 0
	s_cbranch_scc1 .LBB1512_3
; %bb.1:
	s_lshl_b64 s[2:3], s[30:31], 2
	s_delay_alu instid0(SALU_CYCLE_1) | instskip(SKIP_4) | instid1(SALU_CYCLE_1)
	s_add_u32 s2, s4, s2
	s_addc_u32 s3, s5, s3
	s_load_b64 s[2:3], s[2:3], 0x0
	s_waitcnt lgkmcnt(0)
	s_sub_i32 s2, s3, s2
	s_cmp_eq_u32 s2, 1
	s_cselect_b32 s2, -1, 0
	s_delay_alu instid0(SALU_CYCLE_1)
	s_and_not1_b32 vcc_lo, exec_lo, s2
	s_cbranch_vccz .LBB1512_4
.LBB1512_2:
	s_nop 0
	s_sendmsg sendmsg(MSG_DEALLOC_VGPRS)
	s_endpgm
.LBB1512_3:
.LBB1512_4:
	s_load_b64 s[2:3], s[0:1], 0x28
	s_lshl_b64 s[6:7], s[30:31], 2
	s_waitcnt lgkmcnt(0)
	s_add_u32 s2, s2, s6
	s_addc_u32 s3, s3, s7
	s_lshl_b32 s12, s14, 8
	s_load_b32 s17, s[2:3], 0x0
	s_waitcnt lgkmcnt(0)
	s_cmp_ge_i32 s12, s17
	s_cbranch_scc1 .LBB1512_2
; %bb.5:
	s_clause 0x1
	s_load_b128 s[8:11], s[0:1], 0x8
	s_load_b64 s[2:3], s[0:1], 0x20
	s_and_not1_b32 vcc_lo, exec_lo, s13
	s_cbranch_vccnz .LBB1512_7
; %bb.6:
	s_add_u32 s4, s4, s6
	s_addc_u32 s5, s5, s7
	s_load_b32 s13, s[4:5], 0x0
	s_branch .LBB1512_8
.LBB1512_7:
	s_mov_b32 s13, s30
.LBB1512_8:
	s_load_b128 s[4:7], s[0:1], 0x48
	v_and_b32_e32 v65, 15, v0
	v_lshrrev_b32_e32 v66, 5, v0
	v_bfe_u32 v74, v0, 4, 1
	v_and_b32_e32 v67, 31, v0
	v_and_b32_e32 v75, 1, v0
	v_lshlrev_b32_e32 v2, 3, v65
	s_mul_i32 s31, s15, 7
	v_lshl_or_b32 v1, v66, 1, v74
	s_waitcnt lgkmcnt(0)
	s_mov_b32 s7, exec_lo
	v_lshlrev_b32_e32 v73, 1, v2
	s_delay_alu instid0(VALU_DEP_2)
	v_cmpx_gt_u32_e32 7, v1
	s_cbranch_execz .LBB1512_10
; %bb.9:
	s_load_b64 s[18:19], s[0:1], 0x0
	v_add_lshl_u32 v2, v1, s31, 7
	s_mul_hi_i32 s21, s13, s4
	s_mul_i32 s20, s13, s4
	v_lshlrev_b32_e32 v6, 10, v65
	s_lshl_b64 s[20:21], s[20:21], 1
	v_ashrrev_i32_e32 v3, 31, v2
	v_lshlrev_b32_e32 v1, 6, v1
	v_lshlrev_b32_e32 v7, 10, v75
	v_and_b32_e32 v6, 0x3800, v6
	s_delay_alu instid0(VALU_DEP_4) | instskip(NEXT) | instid1(VALU_DEP_2)
	v_lshlrev_b64 v[2:3], 1, v[2:3]
	v_or3_b32 v1, v6, v7, v1
	s_waitcnt lgkmcnt(0)
	s_add_u32 s4, s18, s20
	s_addc_u32 s13, s19, s21
	s_delay_alu instid0(VALU_DEP_2) | instskip(SKIP_1) | instid1(VALU_DEP_2)
	v_add_co_u32 v2, vcc_lo, s4, v2
	v_add_co_ci_u32_e32 v3, vcc_lo, s13, v3, vcc_lo
	v_add_co_u32 v2, vcc_lo, v2, v73
	s_delay_alu instid0(VALU_DEP_2)
	v_add_co_ci_u32_e32 v3, vcc_lo, 0, v3, vcc_lo
	global_load_b128 v[2:5], v[2:3], off
	s_waitcnt vmcnt(0)
	ds_store_b128 v1, v[2:5]
.LBB1512_10:
	s_or_b32 exec_lo, exec_lo, s7
	v_and_b32_e32 v1, 0xef, v0
	s_add_i32 s4, s17, 15
	s_clause 0x1
	s_load_b32 s7, s[0:1], 0x38
	s_load_b32 s18, s[0:1], 0x1c
	s_ashr_i32 s13, s4, 31
	v_add_nc_u32_e32 v2, s12, v1
	s_lshr_b32 s13, s13, 28
	s_waitcnt lgkmcnt(0)
	s_add_i32 s4, s4, s13
	s_barrier
	v_ashrrev_i32_e32 v1, 31, v2
	s_ashr_i32 s4, s4, 4
	v_cmp_gt_i32_e32 vcc_lo, s17, v2
	s_add_i32 s4, s4, -1
	buffer_gl0_inv
	v_lshrrev_b32_e32 v3, 28, v1
	v_or_b32_e32 v1, 16, v2
	s_mul_i32 s15, s15, s6
	s_delay_alu instid0(VALU_DEP_2) | instskip(SKIP_1) | instid1(SALU_CYCLE_1)
	v_add_nc_u32_e32 v4, v2, v3
	s_mul_i32 s20, s30, s7
	s_ashr_i32 s21, s20, 31
	s_delay_alu instid0(VALU_DEP_1) | instskip(SKIP_2) | instid1(SALU_CYCLE_1)
	v_ashrrev_i32_e32 v4, 4, v4
	v_add_nc_u32_e32 v3, v1, v3
	s_lshl_b64 s[20:21], s[20:21], 2
	s_add_u32 s2, s2, s20
	s_delay_alu instid0(VALU_DEP_2) | instskip(NEXT) | instid1(VALU_DEP_2)
	v_cndmask_b32_e32 v2, s4, v4, vcc_lo
	v_ashrrev_i32_e32 v3, 4, v3
	v_cmp_gt_i32_e32 vcc_lo, s17, v1
	s_addc_u32 s3, s3, s21
	s_ashr_i32 s6, s15, 31
	s_add_u32 s7, s8, s15
	s_addc_u32 s13, s9, s6
	v_cndmask_b32_e32 v4, s4, v3, vcc_lo
	v_ashrrev_i32_e32 v3, 31, v2
	s_lshl_b32 s8, s14, 4
	s_delay_alu instid0(SALU_CYCLE_1) | instskip(NEXT) | instid1(VALU_DEP_2)
	s_ashr_i32 s9, s8, 31
	v_ashrrev_i32_e32 v5, 31, v4
	s_delay_alu instid0(VALU_DEP_2) | instskip(SKIP_1) | instid1(SALU_CYCLE_1)
	v_lshlrev_b64 v[1:2], 2, v[2:3]
	s_lshl_b64 s[8:9], s[8:9], 2
	s_add_u32 s8, s2, s8
	s_delay_alu instid0(VALU_DEP_2) | instskip(SKIP_1) | instid1(VALU_DEP_2)
	v_lshlrev_b64 v[3:4], 2, v[4:5]
	s_addc_u32 s9, s3, s9
	v_add_co_u32 v1, vcc_lo, s2, v1
	v_add_co_ci_u32_e32 v2, vcc_lo, s3, v2, vcc_lo
	s_delay_alu instid0(VALU_DEP_3) | instskip(NEXT) | instid1(VALU_DEP_4)
	v_add_co_u32 v3, vcc_lo, s2, v3
	v_add_co_ci_u32_e32 v4, vcc_lo, s3, v4, vcc_lo
	s_clause 0x1
	global_load_b32 v5, v[1:2], off
	global_load_b32 v3, v[3:4], off
	v_lshlrev_b32_e32 v1, 4, v0
	s_or_b32 s16, s12, 32
	s_delay_alu instid0(SALU_CYCLE_1) | instskip(SKIP_1) | instid1(VALU_DEP_1)
	s_ashr_i32 s19, s16, 4
	s_cmp_lt_i32 s16, s17
	v_and_b32_e32 v1, 0xf0, v1
	s_cselect_b32 s20, s19, s4
	s_delay_alu instid0(SALU_CYCLE_1) | instskip(NEXT) | instid1(SALU_CYCLE_1)
	s_ashr_i32 s21, s20, 31
	s_lshl_b64 s[20:21], s[20:21], 2
	s_delay_alu instid0(VALU_DEP_1)
	v_add_co_u32 v1, s7, s7, v1
	s_add_u32 s20, s2, s20
	s_addc_u32 s21, s3, s21
	s_or_b32 s16, s12, 64
	v_add_co_ci_u32_e64 v2, null, s13, 0, s7
	s_ashr_i32 s19, s16, 4
	s_cmp_lt_i32 s16, s17
	s_cselect_b32 s22, s19, s4
	s_delay_alu instid0(SALU_CYCLE_1) | instskip(NEXT) | instid1(SALU_CYCLE_1)
	s_ashr_i32 s23, s22, 31
	s_lshl_b64 s[22:23], s[22:23], 2
	s_delay_alu instid0(SALU_CYCLE_1) | instskip(SKIP_2) | instid1(SALU_CYCLE_1)
	s_add_u32 s22, s2, s22
	s_addc_u32 s23, s3, s23
	s_or_b32 s16, s12, 0x60
	s_ashr_i32 s19, s16, 4
	s_cmp_lt_i32 s16, s17
	s_cselect_b32 s24, s19, s4
	s_delay_alu instid0(SALU_CYCLE_1) | instskip(NEXT) | instid1(SALU_CYCLE_1)
	s_ashr_i32 s25, s24, 31
	s_lshl_b64 s[24:25], s[24:25], 2
	s_delay_alu instid0(SALU_CYCLE_1) | instskip(SKIP_2) | instid1(SALU_CYCLE_1)
	s_add_u32 s24, s2, s24
	s_addc_u32 s25, s3, s25
	s_or_b32 s16, s12, 0x80
	;; [unrolled: 10-line block ×3, first 2 shown]
	s_ashr_i32 s19, s16, 4
	s_cmp_lt_i32 s16, s17
	s_cselect_b32 s28, s19, s4
	s_delay_alu instid0(SALU_CYCLE_1) | instskip(NEXT) | instid1(SALU_CYCLE_1)
	s_ashr_i32 s29, s28, 31
	s_lshl_b64 s[28:29], s[28:29], 2
	s_delay_alu instid0(SALU_CYCLE_1)
	s_add_u32 s28, s2, s28
	s_addc_u32 s29, s3, s29
	s_clause 0x5
	s_load_b32 s7, s[8:9], 0x0
	s_load_b32 s13, s[20:21], 0x0
	;; [unrolled: 1-line block ×6, first 2 shown]
	s_or_b32 s8, s12, 0xc0
	s_mov_b32 s20, 0
	s_ashr_i32 s9, s8, 4
	s_cmp_lt_i32 s8, s17
	s_mov_b32 s27, s20
	s_cselect_b32 s8, s9, s4
	s_mov_b32 s21, s20
	s_ashr_i32 s9, s8, 31
	s_mov_b32 s22, s20
	s_lshl_b64 s[8:9], s[8:9], 2
	s_mov_b32 s23, s20
	s_mov_b32 s24, s20
	s_mov_b32 s25, s20
	s_mov_b32 s26, s20
	v_dual_mov_b32 v107, s27 :: v_dual_mov_b32 v104, s24
	s_add_u32 s8, s2, s8
	v_dual_mov_b32 v106, s26 :: v_dual_mov_b32 v105, s25
	v_dual_mov_b32 v101, s21 :: v_dual_mov_b32 v100, s20
	s_addc_u32 s9, s3, s9
	v_dual_mov_b32 v103, s23 :: v_dual_mov_b32 v102, s22
	s_or_b32 s20, s12, 0xe0
	s_delay_alu instid0(SALU_CYCLE_1) | instskip(SKIP_2) | instid1(SALU_CYCLE_1)
	s_ashr_i32 s21, s20, 4
	s_cmp_lt_i32 s20, s17
	s_cselect_b32 s20, s21, s4
	s_ashr_i32 s21, s20, 31
	s_delay_alu instid0(SALU_CYCLE_1) | instskip(NEXT) | instid1(SALU_CYCLE_1)
	s_lshl_b64 s[20:21], s[20:21], 2
	s_add_u32 s2, s2, s20
	s_addc_u32 s3, s3, s21
	s_waitcnt vmcnt(1)
	v_mad_i64_i32 v[25:26], null, v5, s5, v[1:2]
	s_waitcnt vmcnt(0)
	v_mad_i64_i32 v[27:28], null, v3, s5, v[1:2]
	s_clause 0xf
	global_load_b128 v[1:4], v[25:26], off
	global_load_b128 v[5:8], v[25:26], off offset:256
	global_load_b128 v[9:12], v[27:28], off
	global_load_b128 v[13:16], v[27:28], off offset:256
	global_load_b128 v[17:20], v[25:26], off offset:512
	global_load_b128 v[21:24], v[25:26], off offset:768
	global_load_b128 v[49:52], v[27:28], off offset:512
	global_load_b128 v[53:56], v[27:28], off offset:768
	global_load_b128 v[57:60], v[25:26], off offset:1024
	global_load_b128 v[61:64], v[25:26], off offset:1280
	global_load_b128 v[76:79], v[27:28], off offset:1024
	global_load_b128 v[80:83], v[27:28], off offset:1280
	global_load_b128 v[84:87], v[25:26], off offset:1536
	global_load_b128 v[88:91], v[25:26], off offset:1792
	global_load_b128 v[92:95], v[27:28], off offset:1536
	global_load_b128 v[96:99], v[27:28], off offset:1792
	v_mul_lo_u16 v25, v65, 37
	v_lshlrev_b32_e32 v26, 4, v65
	s_delay_alu instid0(VALU_DEP_2) | instskip(NEXT) | instid1(VALU_DEP_2)
	v_lshrrev_b16 v25, 8, v25
	v_lshl_or_b32 v33, v66, 8, v26
	s_delay_alu instid0(VALU_DEP_2) | instskip(NEXT) | instid1(VALU_DEP_1)
	v_mul_lo_u16 v25, v25, 7
	v_sub_nc_u16 v25, v65, v25
	s_delay_alu instid0(VALU_DEP_1) | instskip(NEXT) | instid1(VALU_DEP_1)
	v_and_b32_e32 v25, 0xff, v25
	v_lshlrev_b32_e32 v72, 6, v25
	ds_load_b128 v[25:28], v72
	ds_load_b128 v[29:32], v72 offset:1024
	ds_load_b128 v[108:111], v72 offset:2048
	;; [unrolled: 1-line block ×3, first 2 shown]
	s_load_b32 s4, s[8:9], 0x0
	ds_load_b128 v[116:119], v72 offset:4096
	ds_load_b128 v[120:123], v72 offset:5120
	s_load_b32 s2, s[2:3], 0x0
	s_add_u32 s8, s10, s15
	s_addc_u32 s6, s11, s6
	v_add_co_u32 v68, s8, s8, v33
	s_delay_alu instid0(VALU_DEP_1) | instskip(SKIP_1) | instid1(VALU_DEP_1)
	v_add_co_ci_u32_e64 v69, null, s6, 0, s8
	s_waitcnt lgkmcnt(0)
	v_mad_i64_i32 v[33:34], null, s7, s5, v[68:69]
	v_mad_i64_i32 v[70:71], null, s16, s5, v[68:69]
	;; [unrolled: 1-line block ×7, first 2 shown]
	s_clause 0x3
	global_load_b128 v[41:44], v[33:34], off
	global_load_b128 v[45:48], v[33:34], off offset:16
	global_load_b128 v[33:36], v[37:38], off
	global_load_b128 v[37:40], v[37:38], off offset:16
	s_waitcnt vmcnt(18)
	v_wmma_f32_16x16x16_bf16 v[124:131], v[1:8], v[25:32], v[100:107]
	s_waitcnt vmcnt(16)
	v_wmma_f32_16x16x16_bf16 v[100:107], v[9:16], v[25:32], v[100:107]
	s_clause 0x1
	global_load_b128 v[25:28], v[70:71], off
	global_load_b128 v[29:32], v[70:71], off offset:16
	s_waitcnt vmcnt(16)
	v_wmma_f32_16x16x16_bf16 v[124:131], v[17:24], v[108:115], v[124:131]
	s_clause 0x1
	global_load_b128 v[17:20], v[132:133], off
	global_load_b128 v[21:24], v[132:133], off offset:16
	s_waitcnt vmcnt(16)
	v_wmma_f32_16x16x16_bf16 v[100:107], v[49:56], v[108:115], v[100:107]
	v_mad_i64_i32 v[53:54], null, s2, s5, v[68:69]
	s_clause 0x3
	global_load_b128 v[1:4], v[134:135], off
	global_load_b128 v[5:8], v[134:135], off offset:16
	global_load_b128 v[9:12], v[136:137], off
	global_load_b128 v[13:16], v[136:137], off offset:16
	s_waitcnt vmcnt(18)
	v_wmma_f32_16x16x16_bf16 v[124:131], v[57:64], v[116:123], v[124:131]
	s_clause 0x3
	global_load_b128 v[57:60], v[138:139], off
	global_load_b128 v[61:64], v[138:139], off offset:16
	global_load_b128 v[49:52], v[53:54], off
	global_load_b128 v[53:56], v[53:54], off offset:16
	v_mbcnt_lo_u32_b32 v69, -1, 0
	s_waitcnt vmcnt(20)
	v_wmma_f32_16x16x16_bf16 v[100:107], v[76:83], v[116:123], v[100:107]
	s_delay_alu instid0(VALU_DEP_2) | instskip(NEXT) | instid1(VALU_DEP_1)
	v_xor_b32_e32 v70, 16, v69
	v_cmp_gt_i32_e32 vcc_lo, 32, v70
	v_cndmask_b32_e32 v69, v69, v70, vcc_lo
	ds_load_b128 v[76:79], v72 offset:6144
	ds_load_b128 v[80:83], v72 offset:7168
	s_waitcnt vmcnt(0) lgkmcnt(0)
	s_barrier
	buffer_gl0_inv
	v_wmma_f32_16x16x16_bf16 v[124:131], v[84:91], v[76:83], v[124:131]
	v_and_b32_e32 v68, 0xe0, v0
	v_wmma_f32_16x16x16_bf16 v[100:107], v[92:99], v[76:83], v[100:107]
	s_delay_alu instid0(VALU_DEP_2) | instskip(NEXT) | instid1(VALU_DEP_4)
	v_dual_mul_f32 v79, s18, v127 :: v_dual_add_nc_u32 v68, s12, v68
	v_mul_f32_e32 v81, s18, v129
	v_dual_mul_f32 v78, s18, v125 :: v_dual_mul_f32 v83, s18, v131
	s_delay_alu instid0(VALU_DEP_4) | instskip(NEXT) | instid1(VALU_DEP_4)
	v_dual_mul_f32 v80, s18, v126 :: v_dual_mul_f32 v95, s18, v103
	v_or_b32_e32 v68, v68, v74
	v_dual_mul_f32 v93, s18, v101 :: v_dual_mul_f32 v82, s18, v128
	v_dual_mul_f32 v97, s18, v105 :: v_dual_mul_f32 v92, s18, v130
	v_mul_f32_e32 v99, s18, v107
	s_delay_alu instid0(VALU_DEP_4)
	v_or_b32_e32 v70, 2, v68
	v_or_b32_e32 v71, 4, v68
	;; [unrolled: 1-line block ×3, first 2 shown]
	v_cmp_gt_i32_e64 s2, s17, v68
	v_or_b32_e32 v108, 8, v68
	v_cmp_gt_i32_e32 vcc_lo, s17, v70
	v_mul_f32_e32 v70, s18, v124
	v_or_b32_e32 v109, 10, v68
	v_cmp_gt_i32_e64 s3, s17, v71
	v_cmp_gt_i32_e64 s4, s17, v72
	v_cndmask_b32_e32 v78, 0xff7fffff, v78, vcc_lo
	v_cndmask_b32_e64 v70, 0xff7fffff, v70, s2
	v_or_b32_e32 v84, 12, v68
	v_or_b32_e32 v85, 14, v68
	v_cndmask_b32_e64 v71, 0xff7fffff, v80, s3
	v_cndmask_b32_e64 v72, 0xff7fffff, v79, s4
	v_max3_f32 v70, v70, 0xff7fffff, v78
	v_cmp_gt_i32_e64 s5, s17, v108
	v_cmp_gt_i32_e64 s6, s17, v109
	v_or_b32_e32 v86, 16, v68
	v_or_b32_e32 v87, 18, v68
	v_max3_f32 v70, v70, v71, v72
	v_cndmask_b32_e64 v78, 0xff7fffff, v82, s5
	v_cndmask_b32_e64 v79, 0xff7fffff, v81, s6
	v_cmp_gt_i32_e64 s7, s17, v84
	v_cmp_gt_i32_e64 s8, s17, v85
	v_or_b32_e32 v88, 20, v68
	v_or_b32_e32 v89, 22, v68
	v_mul_f32_e32 v94, s18, v100
	v_cndmask_b32_e64 v71, 0xff7fffff, v92, s7
	v_cndmask_b32_e64 v72, 0xff7fffff, v83, s8
	v_max3_f32 v70, v70, v78, v79
	v_cmp_gt_i32_e64 s9, s17, v86
	v_cmp_gt_i32_e64 s10, s17, v87
	v_or_b32_e32 v90, 24, v68
	v_or_b32_e32 v91, 26, v68
	v_mul_f32_e32 v96, s18, v102
	v_max3_f32 v70, v70, v71, v72
	v_cndmask_b32_e64 v79, 0xff7fffff, v93, s10
	v_cmp_gt_i32_e64 s11, s17, v88
	v_cmp_gt_i32_e64 s12, s17, v89
	v_lshlrev_b32_e32 v89, 2, v69
	v_cndmask_b32_e64 v78, 0xff7fffff, v94, s9
	v_or_b32_e32 v76, 28, v68
	v_or_b32_e32 v77, 30, v68
	v_mul_f32_e32 v98, s18, v104
	v_cndmask_b32_e64 v71, 0xff7fffff, v96, s11
	v_cndmask_b32_e64 v72, 0xff7fffff, v95, s12
	v_max3_f32 v70, v70, v78, v79
	v_cmp_gt_i32_e64 s13, s17, v90
	v_cmp_gt_i32_e64 s15, s17, v91
	v_mul_f32_e32 v68, s18, v106
	v_cmp_gt_i32_e64 s16, s17, v76
	v_max3_f32 v70, v70, v71, v72
	v_cndmask_b32_e64 v78, 0xff7fffff, v98, s13
	v_cndmask_b32_e64 v79, 0xff7fffff, v97, s15
	v_cmp_gt_i32_e64 s17, s17, v77
	v_cndmask_b32_e64 v68, 0xff7fffff, v68, s16
	s_delay_alu instid0(VALU_DEP_3) | instskip(NEXT) | instid1(VALU_DEP_3)
	v_max3_f32 v70, v70, v78, v79
	v_cndmask_b32_e64 v71, 0xff7fffff, v99, s17
	s_delay_alu instid0(VALU_DEP_1) | instskip(SKIP_3) | instid1(VALU_DEP_1)
	v_max3_f32 v68, v70, v68, v71
	ds_bpermute_b32 v69, v89, v68
	s_waitcnt lgkmcnt(0)
	v_max_f32_e32 v69, v69, v69
	v_max_f32_e32 v68, v68, v69
	s_delay_alu instid0(VALU_DEP_1) | instskip(NEXT) | instid1(VALU_DEP_1)
	v_fma_f32 v76, s18, v128, -v68
	v_mul_f32_e32 v77, 0x3fb8aa3b, v76
	v_fma_f32 v71, s18, v126, -v68
	v_fma_f32 v69, s18, v124, -v68
	;; [unrolled: 1-line block ×4, first 2 shown]
	v_exp_f32_e32 v77, v77
	v_mul_f32_e32 v71, 0x3fb8aa3b, v71
	v_mul_f32_e32 v69, 0x3fb8aa3b, v69
	v_fma_f32 v81, s18, v105, -v68
	v_fma_f32 v78, s18, v130, -v68
	s_delay_alu instid0(VALU_DEP_4) | instskip(NEXT) | instid1(VALU_DEP_3)
	v_exp_f32_e32 v71, v71
	v_exp_f32_e32 v69, v69
	s_delay_alu instid0(VALU_DEP_2) | instskip(NEXT) | instid1(TRANS32_DEP_3)
	v_mul_f32_e32 v81, 0x3fb8aa3b, v81
	v_cndmask_b32_e64 v86, 0, v77, s5
	v_fma_f32 v77, s18, v101, -v68
	s_delay_alu instid0(VALU_DEP_3) | instskip(NEXT) | instid1(TRANS32_DEP_3)
	v_exp_f32_e32 v81, v81
	v_cndmask_b32_e64 v83, 0, v71, s3
	v_fma_f32 v71, s18, v131, -v68
	v_mul_f32_e32 v72, 0x3fb8aa3b, v72
	s_delay_alu instid0(TRANS32_DEP_2) | instskip(SKIP_1) | instid1(VALU_DEP_4)
	v_cndmask_b32_e64 v80, 0, v69, s2
	v_fma_f32 v69, s18, v129, -v68
	v_dual_mul_f32 v70, 0x3fb8aa3b, v70 :: v_dual_mul_f32 v71, 0x3fb8aa3b, v71
	s_delay_alu instid0(VALU_DEP_4) | instskip(SKIP_1) | instid1(VALU_DEP_3)
	v_exp_f32_e32 v72, v72
	v_mul_f32_e32 v77, 0x3fb8aa3b, v77
	v_mul_f32_e32 v69, 0x3fb8aa3b, v69
	s_delay_alu instid0(VALU_DEP_3)
	v_exp_f32_e32 v70, v70
	v_exp_f32_e32 v71, v71
	v_cmp_gt_u32_e64 s2, 16, v67
	v_exp_f32_e32 v77, v77
	v_exp_f32_e32 v69, v69
	v_cndmask_b32_e64 v85, 0, v72, s4
	v_fma_f32 v72, s18, v100, -v68
	v_cndmask_b32_e32 v76, 0, v70, vcc_lo
	s_delay_alu instid0(TRANS32_DEP_3) | instskip(SKIP_2) | instid1(TRANS32_DEP_1)
	v_cndmask_b32_e64 v88, 0, v71, s8
	v_fma_f32 v71, s18, v104, -v68
	v_add_f32_e32 v70, 0, v80
	v_cndmask_b32_e64 v87, 0, v69, s6
	s_delay_alu instid0(VALU_DEP_2) | instskip(NEXT) | instid1(VALU_DEP_1)
	v_dual_mul_f32 v71, 0x3fb8aa3b, v71 :: v_dual_add_f32 v70, v70, v76
	v_exp_f32_e32 v82, v71
	s_delay_alu instid0(VALU_DEP_1) | instskip(NEXT) | instid1(VALU_DEP_1)
	v_add_f32_e32 v70, v70, v83
	v_add_f32_e32 v70, v70, v85
	s_delay_alu instid0(VALU_DEP_1) | instskip(SKIP_1) | instid1(VALU_DEP_2)
	v_dual_mul_f32 v72, 0x3fb8aa3b, v72 :: v_dual_add_f32 v69, v70, v86
	v_fma_f32 v70, s18, v102, -v68
	v_exp_f32_e32 v72, v72
	s_delay_alu instid0(VALU_DEP_2) | instskip(NEXT) | instid1(VALU_DEP_2)
	v_dual_add_f32 v69, v69, v87 :: v_dual_mul_f32 v78, 0x3fb8aa3b, v78
	v_mul_f32_e32 v70, 0x3fb8aa3b, v70
	s_delay_alu instid0(VALU_DEP_2) | instskip(NEXT) | instid1(VALU_DEP_1)
	v_exp_f32_e32 v78, v78
	v_exp_f32_e32 v79, v70
	s_delay_alu instid0(TRANS32_DEP_3) | instskip(SKIP_4) | instid1(VALU_DEP_3)
	v_cndmask_b32_e64 v70, 0, v72, s9
	s_waitcnt_depctr 0xfff
	v_cndmask_b32_e64 v84, 0, v78, s7
	v_fma_f32 v78, s18, v103, -v68
	v_cndmask_b32_e64 v71, 0, v79, s11
	v_add_f32_e32 v69, v69, v84
	s_delay_alu instid0(VALU_DEP_1) | instskip(SKIP_2) | instid1(VALU_DEP_1)
	v_add_f32_e32 v72, v69, v88
	v_cndmask_b32_e64 v69, 0, v77, s10
	v_fma_f32 v77, s18, v106, -v68
	v_dual_add_f32 v72, v72, v70 :: v_dual_mul_f32 v77, 0x3fb8aa3b, v77
	s_delay_alu instid0(VALU_DEP_1) | instskip(NEXT) | instid1(VALU_DEP_2)
	v_add_f32_e32 v79, v72, v69
	v_exp_f32_e32 v90, v77
	v_cndmask_b32_e64 v77, 0, v82, s13
	v_mul_f32_e32 v78, 0x3fb8aa3b, v78
	s_delay_alu instid0(VALU_DEP_1) | instskip(SKIP_4) | instid1(VALU_DEP_1)
	v_exp_f32_e32 v78, v78
	s_waitcnt_depctr 0xfff
	v_cndmask_b32_e64 v72, 0, v78, s12
	v_add_f32_e32 v78, v79, v71
	v_fma_f32 v79, s18, v107, -v68
	v_dual_add_f32 v82, v78, v72 :: v_dual_mul_f32 v79, 0x3fb8aa3b, v79
	v_cndmask_b32_e64 v78, 0, v81, s15
	s_delay_alu instid0(VALU_DEP_2) | instskip(NEXT) | instid1(VALU_DEP_3)
	v_add_f32_e32 v81, v82, v77
	v_exp_f32_e32 v82, v79
	v_cndmask_b32_e64 v79, 0, v90, s16
	s_delay_alu instid0(VALU_DEP_2) | instskip(NEXT) | instid1(VALU_DEP_1)
	v_add_f32_e32 v81, v81, v78
	v_add_f32_e32 v90, v81, v79
	s_waitcnt_depctr 0xfff
	v_cndmask_b32_e64 v81, 0, v82, s17
	s_delay_alu instid0(VALU_DEP_1)
	v_add_f32_e32 v82, v90, v81
	ds_bpermute_b32 v89, v89, v82
	s_and_saveexec_b32 s3, s2
	s_cbranch_execz .LBB1512_12
; %bb.11:
	v_mul_u32_u24_e32 v67, 0x44, v66
	s_delay_alu instid0(VALU_DEP_1) | instskip(SKIP_1) | instid1(VALU_DEP_1)
	v_lshl_add_u32 v67, v65, 2, v67
	s_waitcnt lgkmcnt(0)
	v_dual_add_f32 v82, v82, v89 :: v_dual_add_nc_u32 v67, 0x4000, v67
	ds_store_2addr_b32 v67, v68, v82 offset1:136
.LBB1512_12:
	s_or_b32 exec_lo, exec_lo, s3
	v_lshlrev_b32_e32 v67, 2, v65
	s_waitcnt lgkmcnt(0)
	s_barrier
	buffer_gl0_inv
	v_cmp_eq_u32_e32 vcc_lo, 1, v66
	v_add_nc_u32_e32 v82, 0x4000, v67
	v_cmp_eq_u32_e64 s3, 2, v66
	v_cmp_eq_u32_e64 s5, 7, v66
	ds_load_2addr_b32 v[89:90], v82 offset1:17
	ds_load_2addr_b32 v[91:92], v82 offset0:34 offset1:51
	ds_load_2addr_b32 v[93:94], v82 offset0:68 offset1:85
	;; [unrolled: 1-line block ×4, first 2 shown]
	s_waitcnt lgkmcnt(4)
	v_max3_f32 v67, v89, 0xff7fffff, v90
	s_waitcnt lgkmcnt(3)
	s_delay_alu instid0(VALU_DEP_1) | instskip(SKIP_1) | instid1(VALU_DEP_1)
	v_max3_f32 v67, v67, v91, v92
	s_waitcnt lgkmcnt(2)
	v_max3_f32 v67, v67, v93, v94
	s_waitcnt lgkmcnt(1)
	s_delay_alu instid0(VALU_DEP_1) | instskip(NEXT) | instid1(VALU_DEP_1)
	v_max3_f32 v67, v67, v95, v96
	v_sub_f32_e32 v93, v93, v67
	s_delay_alu instid0(VALU_DEP_1) | instskip(NEXT) | instid1(VALU_DEP_1)
	v_dual_sub_f32 v68, v89, v67 :: v_dual_mul_f32 v103, 0x3fb8aa3b, v93
	v_mul_f32_e32 v68, 0x3fb8aa3b, v68
	s_delay_alu instid0(VALU_DEP_1)
	v_exp_f32_e32 v100, v68
	v_sub_f32_e32 v68, v92, v67
	v_sub_f32_e32 v99, v90, v67
	ds_load_2addr_b32 v[89:90], v82 offset0:170 offset1:187
	v_dual_mul_f32 v102, 0x3fb8aa3b, v68 :: v_dual_mul_f32 v99, 0x3fb8aa3b, v99
	s_waitcnt lgkmcnt(1)
	v_fma_f32 v68, v100, v97, 0
	s_delay_alu instid0(VALU_DEP_2) | instskip(NEXT) | instid1(VALU_DEP_2)
	v_exp_f32_e32 v102, v102
	v_exp_f32_e32 v99, v99
	s_waitcnt_depctr 0xfff
	v_fmac_f32_e32 v68, v99, v98
	v_sub_f32_e32 v91, v91, v67
	s_delay_alu instid0(VALU_DEP_1)
	v_mul_f32_e32 v101, 0x3fb8aa3b, v91
	ds_load_2addr_b32 v[91:92], v82 offset0:204 offset1:221
	v_sub_f32_e32 v97, v94, v67
	ds_load_2addr_b32 v[93:94], v82 offset0:238 offset1:255
	s_waitcnt lgkmcnt(0)
	v_exp_f32_e32 v101, v101
	s_barrier
	buffer_gl0_inv
	v_dual_fmac_f32 v68, v101, v89 :: v_dual_sub_f32 v89, v96, v67
	v_dual_sub_f32 v82, v95, v67 :: v_dual_mul_f32 v95, 0x3fb8aa3b, v97
	v_exp_f32_e32 v97, v103
	s_delay_alu instid0(VALU_DEP_2) | instskip(NEXT) | instid1(VALU_DEP_2)
	v_dual_fmac_f32 v68, v102, v90 :: v_dual_mul_f32 v89, 0x3fb8aa3b, v89
	v_mul_f32_e32 v82, 0x3fb8aa3b, v82
	s_delay_alu instid0(VALU_DEP_3) | instskip(NEXT) | instid1(VALU_DEP_2)
	v_exp_f32_e32 v95, v95
	v_exp_f32_e32 v89, v89
	s_delay_alu instid0(VALU_DEP_1)
	v_exp_f32_e32 v82, v82
	v_fmac_f32_e32 v68, v97, v91
	s_delay_alu instid0(TRANS32_DEP_3) | instid1(VALU_DEP_1)
	v_fmac_f32_e32 v68, v95, v92
	s_waitcnt_depctr 0xfff
	v_fmac_f32_e32 v68, v82, v93
	s_delay_alu instid0(VALU_DEP_1) | instskip(NEXT) | instid1(VALU_DEP_1)
	v_fmac_f32_e32 v68, v89, v94
	v_add_f32_e32 v90, 0x358637bd, v68
	s_delay_alu instid0(VALU_DEP_1) | instskip(NEXT) | instid1(VALU_DEP_1)
	v_div_scale_f32 v91, null, v90, v90, 1.0
	v_rcp_f32_e32 v92, v91
	s_waitcnt_depctr 0xfff
	v_fma_f32 v93, -v91, v92, 1.0
	s_delay_alu instid0(VALU_DEP_1) | instskip(SKIP_1) | instid1(VALU_DEP_2)
	v_dual_fmac_f32 v92, v93, v92 :: v_dual_cndmask_b32 v93, v100, v99
	v_cmp_eq_u32_e32 vcc_lo, 3, v66
	v_cndmask_b32_e64 v93, v93, v101, s3
	v_cmp_eq_u32_e64 s3, 4, v66
	s_delay_alu instid0(VALU_DEP_2) | instskip(SKIP_1) | instid1(VALU_DEP_2)
	v_cndmask_b32_e32 v93, v93, v102, vcc_lo
	v_cmp_eq_u32_e32 vcc_lo, 5, v66
	v_cndmask_b32_e64 v93, v93, v97, s3
	v_cmp_eq_u32_e64 s3, 6, v66
	s_delay_alu instid0(VALU_DEP_2) | instskip(SKIP_1) | instid1(VALU_DEP_1)
	v_cndmask_b32_e32 v93, v93, v95, vcc_lo
	v_div_scale_f32 v94, s4, 1.0, v90, 1.0
	s_mov_b32 vcc_lo, s4
	s_delay_alu instid0(VALU_DEP_2) | instskip(NEXT) | instid1(VALU_DEP_2)
	v_cndmask_b32_e64 v82, v93, v82, s3
	v_mul_f32_e32 v96, v94, v92
	s_mov_b32 s3, exec_lo
	s_delay_alu instid0(VALU_DEP_2) | instskip(NEXT) | instid1(VALU_DEP_2)
	v_cndmask_b32_e64 v82, v82, v89, s5
	v_fma_f32 v98, -v91, v96, v94
	s_delay_alu instid0(VALU_DEP_1) | instskip(NEXT) | instid1(VALU_DEP_1)
	v_fmac_f32_e32 v96, v98, v92
	v_fma_f32 v91, -v91, v96, v94
	s_delay_alu instid0(VALU_DEP_1) | instskip(NEXT) | instid1(VALU_DEP_1)
	v_div_fmas_f32 v91, v91, v92, v96
	v_div_fixup_f32 v90, v91, v90, 1.0
	s_delay_alu instid0(VALU_DEP_1) | instskip(NEXT) | instid1(VALU_DEP_1)
	v_mul_f32_e32 v82, v82, v90
	v_mul_f32_e32 v87, v82, v87
	;; [unrolled: 1-line block ×7, first 2 shown]
	v_dual_mul_f32 v86, v82, v83 :: v_dual_and_b32 v91, 0x7f800000, v90
	v_mul_f32_e32 v85, v82, v76
                                        ; implicit-def: $vgpr76
	s_delay_alu instid0(VALU_DEP_2)
	v_cmpx_ne_u32_e32 0x7f800000, v91
	s_xor_b32 s3, exec_lo, s3
; %bb.13:
	v_bfe_u32 v76, v90, 16, 1
	s_delay_alu instid0(VALU_DEP_1)
	v_add3_u32 v76, v90, v76, 0x7fff
                                        ; implicit-def: $vgpr90
; %bb.14:
	s_and_not1_saveexec_b32 s3, s3
; %bb.15:
	v_and_b32_e32 v76, 0xffff, v90
	v_or_b32_e32 v83, 0x10000, v90
	s_delay_alu instid0(VALU_DEP_2) | instskip(NEXT) | instid1(VALU_DEP_2)
	v_cmp_eq_u32_e32 vcc_lo, 0, v76
	v_cndmask_b32_e32 v76, v83, v90, vcc_lo
; %bb.16:
	s_or_b32 exec_lo, exec_lo, s3
	v_and_b32_e32 v83, 0x7f800000, v85
	s_delay_alu instid0(VALU_DEP_1) | instskip(SKIP_1) | instid1(SALU_CYCLE_1)
	v_cmp_ne_u32_e32 vcc_lo, 0x7f800000, v83
                                        ; implicit-def: $vgpr83
	s_and_saveexec_b32 s3, vcc_lo
	s_xor_b32 s3, exec_lo, s3
; %bb.17:
	v_bfe_u32 v83, v85, 16, 1
	s_delay_alu instid0(VALU_DEP_1)
	v_add3_u32 v83, v85, v83, 0x7fff
                                        ; implicit-def: $vgpr85
; %bb.18:
	s_and_not1_saveexec_b32 s3, s3
; %bb.19:
	v_and_b32_e32 v83, 0xffff, v85
	v_or_b32_e32 v90, 0x10000, v85
	s_delay_alu instid0(VALU_DEP_2) | instskip(NEXT) | instid1(VALU_DEP_2)
	v_cmp_eq_u32_e32 vcc_lo, 0, v83
	v_cndmask_b32_e32 v83, v90, v85, vcc_lo
; %bb.20:
	s_or_b32 exec_lo, exec_lo, s3
	v_and_b32_e32 v85, 0x7f800000, v86
	s_delay_alu instid0(VALU_DEP_1) | instskip(SKIP_1) | instid1(SALU_CYCLE_1)
	v_cmp_ne_u32_e32 vcc_lo, 0x7f800000, v85
                                        ; implicit-def: $vgpr85
	s_and_saveexec_b32 s3, vcc_lo
	s_xor_b32 s3, exec_lo, s3
; %bb.21:
	v_bfe_u32 v85, v86, 16, 1
	s_delay_alu instid0(VALU_DEP_1)
	v_add3_u32 v85, v86, v85, 0x7fff
                                        ; implicit-def: $vgpr86
; %bb.22:
	s_and_not1_saveexec_b32 s3, s3
; %bb.23:
	v_and_b32_e32 v85, 0xffff, v86
	v_or_b32_e32 v90, 0x10000, v86
	s_delay_alu instid0(VALU_DEP_2) | instskip(NEXT) | instid1(VALU_DEP_2)
	v_cmp_eq_u32_e32 vcc_lo, 0, v85
	v_cndmask_b32_e32 v85, v90, v86, vcc_lo
; %bb.24:
	s_or_b32 exec_lo, exec_lo, s3
	v_and_b32_e32 v86, 0x7f800000, v89
	s_delay_alu instid0(VALU_DEP_1) | instskip(SKIP_1) | instid1(SALU_CYCLE_1)
	v_cmp_ne_u32_e32 vcc_lo, 0x7f800000, v86
                                        ; implicit-def: $vgpr86
	s_and_saveexec_b32 s3, vcc_lo
	s_xor_b32 s3, exec_lo, s3
; %bb.25:
	v_bfe_u32 v86, v89, 16, 1
	s_delay_alu instid0(VALU_DEP_1)
	v_add3_u32 v86, v89, v86, 0x7fff
                                        ; implicit-def: $vgpr89
; %bb.26:
	s_and_not1_saveexec_b32 s3, s3
; %bb.27:
	v_and_b32_e32 v86, 0xffff, v89
	v_or_b32_e32 v90, 0x10000, v89
	s_delay_alu instid0(VALU_DEP_2) | instskip(NEXT) | instid1(VALU_DEP_2)
	v_cmp_eq_u32_e32 vcc_lo, 0, v86
	v_cndmask_b32_e32 v86, v90, v89, vcc_lo
; %bb.28:
	s_or_b32 exec_lo, exec_lo, s3
	v_and_b32_e32 v89, 0x7f800000, v88
	s_delay_alu instid0(VALU_DEP_1) | instskip(SKIP_1) | instid1(SALU_CYCLE_1)
	v_cmp_ne_u32_e32 vcc_lo, 0x7f800000, v89
                                        ; implicit-def: $vgpr89
	s_and_saveexec_b32 s3, vcc_lo
	s_xor_b32 s3, exec_lo, s3
; %bb.29:
	v_bfe_u32 v89, v88, 16, 1
	s_delay_alu instid0(VALU_DEP_1)
	v_add3_u32 v89, v88, v89, 0x7fff
                                        ; implicit-def: $vgpr88
; %bb.30:
	s_and_not1_saveexec_b32 s3, s3
; %bb.31:
	v_and_b32_e32 v89, 0xffff, v88
	v_or_b32_e32 v90, 0x10000, v88
	s_delay_alu instid0(VALU_DEP_2) | instskip(NEXT) | instid1(VALU_DEP_2)
	v_cmp_eq_u32_e32 vcc_lo, 0, v89
	v_cndmask_b32_e32 v89, v90, v88, vcc_lo
; %bb.32:
	s_or_b32 exec_lo, exec_lo, s3
	v_and_b32_e32 v88, 0x7f800000, v87
	s_delay_alu instid0(VALU_DEP_1) | instskip(SKIP_1) | instid1(SALU_CYCLE_1)
	v_cmp_ne_u32_e32 vcc_lo, 0x7f800000, v88
                                        ; implicit-def: $vgpr88
	s_and_saveexec_b32 s3, vcc_lo
	s_xor_b32 s3, exec_lo, s3
; %bb.33:
	v_bfe_u32 v88, v87, 16, 1
	s_delay_alu instid0(VALU_DEP_1)
	v_add3_u32 v88, v87, v88, 0x7fff
                                        ; implicit-def: $vgpr87
; %bb.34:
	s_and_not1_saveexec_b32 s3, s3
; %bb.35:
	v_and_b32_e32 v88, 0xffff, v87
	v_or_b32_e32 v90, 0x10000, v87
	s_delay_alu instid0(VALU_DEP_2) | instskip(NEXT) | instid1(VALU_DEP_2)
	v_cmp_eq_u32_e32 vcc_lo, 0, v88
	v_cndmask_b32_e32 v88, v90, v87, vcc_lo
; %bb.36:
	s_or_b32 exec_lo, exec_lo, s3
	v_and_b32_e32 v87, 0x7f800000, v84
	s_delay_alu instid0(VALU_DEP_1) | instskip(SKIP_1) | instid1(SALU_CYCLE_1)
	v_cmp_ne_u32_e32 vcc_lo, 0x7f800000, v87
                                        ; implicit-def: $vgpr87
	s_and_saveexec_b32 s3, vcc_lo
	s_xor_b32 s3, exec_lo, s3
; %bb.37:
	v_bfe_u32 v87, v84, 16, 1
	s_delay_alu instid0(VALU_DEP_1)
	v_add3_u32 v87, v84, v87, 0x7fff
                                        ; implicit-def: $vgpr84
; %bb.38:
	s_and_not1_saveexec_b32 s3, s3
; %bb.39:
	v_and_b32_e32 v87, 0xffff, v84
	v_or_b32_e32 v90, 0x10000, v84
	s_delay_alu instid0(VALU_DEP_2) | instskip(NEXT) | instid1(VALU_DEP_2)
	v_cmp_eq_u32_e32 vcc_lo, 0, v87
	v_cndmask_b32_e32 v87, v90, v84, vcc_lo
; %bb.40:
	s_or_b32 exec_lo, exec_lo, s3
	v_and_b32_e32 v84, 0x7f800000, v80
	s_delay_alu instid0(VALU_DEP_1) | instskip(SKIP_1) | instid1(SALU_CYCLE_1)
	v_cmp_ne_u32_e32 vcc_lo, 0x7f800000, v84
                                        ; implicit-def: $vgpr84
	s_and_saveexec_b32 s3, vcc_lo
	s_xor_b32 s3, exec_lo, s3
; %bb.41:
	v_bfe_u32 v84, v80, 16, 1
	s_delay_alu instid0(VALU_DEP_1)
	v_add3_u32 v84, v80, v84, 0x7fff
                                        ; implicit-def: $vgpr80
; %bb.42:
	s_and_not1_saveexec_b32 s3, s3
; %bb.43:
	v_and_b32_e32 v84, 0xffff, v80
	v_or_b32_e32 v90, 0x10000, v80
	s_delay_alu instid0(VALU_DEP_2) | instskip(NEXT) | instid1(VALU_DEP_2)
	v_cmp_eq_u32_e32 vcc_lo, 0, v84
	v_cndmask_b32_e32 v84, v90, v80, vcc_lo
; %bb.44:
	s_or_b32 exec_lo, exec_lo, s3
	s_load_b64 s[34:35], s[0:1], 0x94
	v_lshlrev_b32_e32 v91, 4, v74
	s_delay_alu instid0(VALU_DEP_2)
	v_perm_b32 v90, v84, v87, 0x7060302
	v_dual_mul_f32 v79, v82, v79 :: v_dual_lshlrev_b32 v80, 6, v65
	v_dual_mul_f32 v77, v82, v77 :: v_dual_lshlrev_b32 v92, 11, v66
	v_mul_f32_e32 v84, v82, v70
	v_perm_b32 v89, v88, v89, 0x7060302
	v_perm_b32 v88, v86, v85, 0x7060302
	v_perm_b32 v87, v83, v76, 0x7060302
	v_mul_f32_e32 v70, v82, v81
	v_or3_b32 v76, v91, v92, v80
	v_dual_mul_f32 v78, v82, v78 :: v_dual_and_b32 v85, 0x7f800000, v84
	v_mul_f32_e32 v83, v82, v72
	v_mul_f32_e32 v81, v82, v71
	;; [unrolled: 1-line block ×3, first 2 shown]
	s_mov_b32 s3, exec_lo
	ds_store_b128 v76, v[87:90]
                                        ; implicit-def: $vgpr69
	v_cmpx_ne_u32_e32 0x7f800000, v85
	s_xor_b32 s3, exec_lo, s3
; %bb.45:
	v_bfe_u32 v69, v84, 16, 1
	s_delay_alu instid0(VALU_DEP_1)
	v_add3_u32 v69, v84, v69, 0x7fff
                                        ; implicit-def: $vgpr84
; %bb.46:
	s_and_not1_saveexec_b32 s3, s3
; %bb.47:
	v_and_b32_e32 v69, 0xffff, v84
	v_or_b32_e32 v71, 0x10000, v84
	s_delay_alu instid0(VALU_DEP_2) | instskip(NEXT) | instid1(VALU_DEP_2)
	v_cmp_eq_u32_e32 vcc_lo, 0, v69
	v_cndmask_b32_e32 v69, v71, v84, vcc_lo
; %bb.48:
	s_or_b32 exec_lo, exec_lo, s3
	v_and_b32_e32 v71, 0x7f800000, v72
	s_delay_alu instid0(VALU_DEP_1) | instskip(SKIP_1) | instid1(SALU_CYCLE_1)
	v_cmp_ne_u32_e32 vcc_lo, 0x7f800000, v71
                                        ; implicit-def: $vgpr71
	s_and_saveexec_b32 s3, vcc_lo
	s_xor_b32 s3, exec_lo, s3
; %bb.49:
	v_bfe_u32 v71, v72, 16, 1
	s_delay_alu instid0(VALU_DEP_1)
	v_add3_u32 v71, v72, v71, 0x7fff
                                        ; implicit-def: $vgpr72
; %bb.50:
	s_and_not1_saveexec_b32 s3, s3
; %bb.51:
	v_and_b32_e32 v71, 0xffff, v72
	v_or_b32_e32 v82, 0x10000, v72
	s_delay_alu instid0(VALU_DEP_2) | instskip(NEXT) | instid1(VALU_DEP_2)
	v_cmp_eq_u32_e32 vcc_lo, 0, v71
	v_cndmask_b32_e32 v71, v82, v72, vcc_lo
; %bb.52:
	s_or_b32 exec_lo, exec_lo, s3
	v_and_b32_e32 v72, 0x7f800000, v81
	s_delay_alu instid0(VALU_DEP_1) | instskip(SKIP_1) | instid1(SALU_CYCLE_1)
	v_cmp_ne_u32_e32 vcc_lo, 0x7f800000, v72
                                        ; implicit-def: $vgpr72
	s_and_saveexec_b32 s3, vcc_lo
	s_xor_b32 s3, exec_lo, s3
; %bb.53:
	v_bfe_u32 v72, v81, 16, 1
	s_delay_alu instid0(VALU_DEP_1)
	v_add3_u32 v72, v81, v72, 0x7fff
                                        ; implicit-def: $vgpr81
; %bb.54:
	s_and_not1_saveexec_b32 s3, s3
; %bb.55:
	v_and_b32_e32 v72, 0xffff, v81
	v_or_b32_e32 v82, 0x10000, v81
	s_delay_alu instid0(VALU_DEP_2) | instskip(NEXT) | instid1(VALU_DEP_2)
	v_cmp_eq_u32_e32 vcc_lo, 0, v72
	v_cndmask_b32_e32 v72, v82, v81, vcc_lo
; %bb.56:
	s_or_b32 exec_lo, exec_lo, s3
	v_and_b32_e32 v81, 0x7f800000, v83
	s_delay_alu instid0(VALU_DEP_1) | instskip(SKIP_1) | instid1(SALU_CYCLE_1)
	v_cmp_ne_u32_e32 vcc_lo, 0x7f800000, v81
                                        ; implicit-def: $vgpr81
	s_and_saveexec_b32 s3, vcc_lo
	s_xor_b32 s3, exec_lo, s3
; %bb.57:
	v_bfe_u32 v81, v83, 16, 1
	s_delay_alu instid0(VALU_DEP_1)
	v_add3_u32 v81, v83, v81, 0x7fff
                                        ; implicit-def: $vgpr83
; %bb.58:
	s_and_not1_saveexec_b32 s3, s3
; %bb.59:
	v_and_b32_e32 v81, 0xffff, v83
	v_or_b32_e32 v82, 0x10000, v83
	s_delay_alu instid0(VALU_DEP_2) | instskip(NEXT) | instid1(VALU_DEP_2)
	v_cmp_eq_u32_e32 vcc_lo, 0, v81
	v_cndmask_b32_e32 v81, v82, v83, vcc_lo
; %bb.60:
	s_or_b32 exec_lo, exec_lo, s3
	v_and_b32_e32 v82, 0x7f800000, v77
	s_delay_alu instid0(VALU_DEP_1) | instskip(SKIP_1) | instid1(SALU_CYCLE_1)
	v_cmp_ne_u32_e32 vcc_lo, 0x7f800000, v82
                                        ; implicit-def: $vgpr82
	s_and_saveexec_b32 s3, vcc_lo
	s_xor_b32 s3, exec_lo, s3
; %bb.61:
	v_bfe_u32 v82, v77, 16, 1
	s_delay_alu instid0(VALU_DEP_1)
	v_add3_u32 v82, v77, v82, 0x7fff
                                        ; implicit-def: $vgpr77
; %bb.62:
	s_and_not1_saveexec_b32 s3, s3
; %bb.63:
	v_and_b32_e32 v82, 0xffff, v77
	v_or_b32_e32 v83, 0x10000, v77
	s_delay_alu instid0(VALU_DEP_2) | instskip(NEXT) | instid1(VALU_DEP_2)
	v_cmp_eq_u32_e32 vcc_lo, 0, v82
	v_cndmask_b32_e32 v82, v83, v77, vcc_lo
; %bb.64:
	s_or_b32 exec_lo, exec_lo, s3
	v_and_b32_e32 v77, 0x7f800000, v78
	s_delay_alu instid0(VALU_DEP_1) | instskip(SKIP_1) | instid1(SALU_CYCLE_1)
	v_cmp_ne_u32_e32 vcc_lo, 0x7f800000, v77
                                        ; implicit-def: $vgpr77
	s_and_saveexec_b32 s3, vcc_lo
	s_xor_b32 s3, exec_lo, s3
; %bb.65:
	v_bfe_u32 v77, v78, 16, 1
	s_delay_alu instid0(VALU_DEP_1)
	v_add3_u32 v77, v78, v77, 0x7fff
                                        ; implicit-def: $vgpr78
; %bb.66:
	s_and_not1_saveexec_b32 s3, s3
; %bb.67:
	v_and_b32_e32 v77, 0xffff, v78
	v_or_b32_e32 v83, 0x10000, v78
	s_delay_alu instid0(VALU_DEP_2) | instskip(NEXT) | instid1(VALU_DEP_2)
	v_cmp_eq_u32_e32 vcc_lo, 0, v77
	v_cndmask_b32_e32 v77, v83, v78, vcc_lo
; %bb.68:
	s_or_b32 exec_lo, exec_lo, s3
	v_and_b32_e32 v78, 0x7f800000, v79
	s_delay_alu instid0(VALU_DEP_1) | instskip(SKIP_1) | instid1(SALU_CYCLE_1)
	v_cmp_ne_u32_e32 vcc_lo, 0x7f800000, v78
                                        ; implicit-def: $vgpr78
	s_and_saveexec_b32 s3, vcc_lo
	s_xor_b32 s3, exec_lo, s3
; %bb.69:
	v_bfe_u32 v78, v79, 16, 1
	s_delay_alu instid0(VALU_DEP_1)
	v_add3_u32 v78, v79, v78, 0x7fff
                                        ; implicit-def: $vgpr79
; %bb.70:
	s_and_not1_saveexec_b32 s3, s3
; %bb.71:
	v_and_b32_e32 v78, 0xffff, v79
	v_or_b32_e32 v83, 0x10000, v79
	s_delay_alu instid0(VALU_DEP_2) | instskip(NEXT) | instid1(VALU_DEP_2)
	v_cmp_eq_u32_e32 vcc_lo, 0, v78
	v_cndmask_b32_e32 v78, v83, v79, vcc_lo
; %bb.72:
	s_or_b32 exec_lo, exec_lo, s3
	v_and_b32_e32 v79, 0x7f800000, v70
	s_delay_alu instid0(VALU_DEP_1) | instskip(SKIP_1) | instid1(SALU_CYCLE_1)
	v_cmp_ne_u32_e32 vcc_lo, 0x7f800000, v79
                                        ; implicit-def: $vgpr79
	s_and_saveexec_b32 s3, vcc_lo
	s_xor_b32 s3, exec_lo, s3
; %bb.73:
	v_bfe_u32 v79, v70, 16, 1
	s_delay_alu instid0(VALU_DEP_1)
	v_add3_u32 v79, v70, v79, 0x7fff
                                        ; implicit-def: $vgpr70
; %bb.74:
	s_and_not1_saveexec_b32 s3, s3
; %bb.75:
	v_and_b32_e32 v79, 0xffff, v70
	v_or_b32_e32 v83, 0x10000, v70
	s_delay_alu instid0(VALU_DEP_2) | instskip(NEXT) | instid1(VALU_DEP_2)
	v_cmp_eq_u32_e32 vcc_lo, 0, v79
	v_cndmask_b32_e32 v79, v83, v70, vcc_lo
; %bb.76:
	s_or_b32 exec_lo, exec_lo, s3
	s_delay_alu instid0(VALU_DEP_1)
	v_perm_b32 v86, v79, v78, 0x7060302
	v_perm_b32 v85, v77, v82, 0x7060302
	;; [unrolled: 1-line block ×4, first 2 shown]
	v_lshl_or_b32 v82, v66, 11, v80
	ds_store_b128 v76, v[83:86] offset:1024
	s_waitcnt lgkmcnt(0)
	s_barrier
	buffer_gl0_inv
	ds_load_b128 v[69:72], v82
	ds_load_b128 v[83:86], v82 offset:16
	s_waitcnt lgkmcnt(1)
	v_lshrrev_b32_e32 v66, 16, v69
	s_waitcnt lgkmcnt(0)
	v_lshrrev_b32_e32 v91, 16, v83
	v_lshlrev_b32_e32 v78, 2, v74
	v_lshrrev_b32_e32 v95, 16, v70
	v_lshrrev_b32_e32 v98, 16, v84
	v_lshrrev_b32_e32 v96, 16, v71
	v_lshrrev_b32_e32 v99, 16, v85
	v_cmp_eq_u32_e32 vcc_lo, 1, v78
	v_lshrrev_b32_e32 v97, 16, v72
	v_lshrrev_b32_e32 v100, 16, v86
	v_cndmask_b32_e32 v87, v83, v91, vcc_lo
	v_or_b32_e32 v79, 1, v78
	v_cndmask_b32_e32 v81, v69, v66, vcc_lo
	v_cmp_eq_u32_e64 s4, 2, v78
	v_cmp_eq_u32_e64 s7, 3, v78
	;; [unrolled: 1-line block ×5, first 2 shown]
	v_cndmask_b32_e64 v81, v81, v70, s4
	v_cndmask_b32_e64 v87, v87, v84, s4
	v_cmp_eq_u32_e64 s8, 3, v79
	v_cndmask_b32_e64 v88, v69, v66, s3
	v_or_b32_e32 v77, 2, v78
	v_cndmask_b32_e64 v81, v81, v95, s7
	v_cndmask_b32_e64 v87, v87, v98, s7
	;; [unrolled: 1-line block ×4, first 2 shown]
	v_cmp_eq_u32_e64 s10, 5, v78
	v_cndmask_b32_e64 v81, v81, v71, s9
	v_cndmask_b32_e64 v87, v87, v85, s9
	v_cmp_eq_u32_e64 s11, 4, v79
	v_cndmask_b32_e64 v88, v88, v95, s8
	v_cmp_eq_u32_e64 s5, 1, v77
	v_cndmask_b32_e64 v89, v89, v84, s6
	v_cndmask_b32_e64 v81, v81, v96, s10
	v_cmp_eq_u32_e64 s12, 6, v78
	v_cndmask_b32_e64 v88, v88, v71, s11
	;; [unrolled: 3-line block ×3, first 2 shown]
	v_cndmask_b32_e64 v89, v89, v98, s8
	v_cndmask_b32_e64 v81, v81, v72, s12
	v_cmp_eq_u32_e64 s15, 7, v78
	v_cndmask_b32_e64 v88, v88, v96, s13
	v_cndmask_b32_e64 v87, v87, v86, s12
	v_cmp_eq_u32_e64 s16, 6, v79
	v_cmp_eq_u32_e64 s17, 2, v77
	v_cndmask_b32_e64 v89, v89, v85, s11
	v_cndmask_b32_e64 v101, v81, v97, s15
	;; [unrolled: 1-line block ×6, first 2 shown]
	v_cmp_eq_u32_e64 s18, 7, v79
	v_cmp_eq_u32_e64 s19, 3, v77
	;; [unrolled: 1-line block ×4, first 2 shown]
	v_cndmask_b32_e64 v87, v87, v84, s17
	v_cndmask_b32_e64 v103, v88, v97, s18
	;; [unrolled: 1-line block ×4, first 2 shown]
	v_or_b32_e32 v81, 3, v78
	v_cndmask_b32_e64 v93, v87, v98, s19
	v_cmp_eq_u32_e64 s24, 6, v77
	v_cndmask_b32_e64 v104, v88, v86, s16
	v_cndmask_b32_e64 v92, v89, v71, s20
	v_cmp_eq_u32_e64 s21, 1, v81
	ds_load_b128 v[87:90], v82 offset:1024
	v_cmp_eq_u32_e64 s23, 2, v81
	v_cmp_eq_u32_e64 s25, 3, v81
	v_cndmask_b32_e64 v105, v92, v96, s22
	v_cndmask_b32_e64 v66, v69, v66, s21
	;; [unrolled: 1-line block ×4, first 2 shown]
	ds_load_b128 v[91:94], v82 offset:1040
	v_cmp_eq_u32_e64 s26, 4, v81
	v_cndmask_b32_e64 v66, v66, v70, s23
	v_cmp_eq_u32_e64 s27, 7, v77
	v_cndmask_b32_e64 v70, v83, v84, s23
	v_cndmask_b32_e64 v84, v105, v72, s24
	v_cmp_eq_u32_e64 s28, 5, v81
	v_cndmask_b32_e64 v66, v66, v95, s25
	v_cmp_eq_u32_e64 s29, 6, v81
	v_cndmask_b32_e64 v70, v70, v98, s25
	v_cndmask_b32_e64 v69, v69, v99, s22
	;; [unrolled: 1-line block ×4, first 2 shown]
	s_waitcnt lgkmcnt(1)
	v_lshrrev_b32_e32 v95, 16, v87
	v_cndmask_b32_e64 v70, v70, v85, s26
	v_cndmask_b32_e64 v71, v84, v97, s27
	;; [unrolled: 1-line block ×4, first 2 shown]
	v_cndmask_b32_e32 v84, v87, v95, vcc_lo
	v_cndmask_b32_e64 v70, v70, v99, s28
	s_waitcnt lgkmcnt(0)
	v_lshrrev_b32_e32 v85, 16, v91
	v_lshrrev_b32_e32 v96, 16, v88
	v_cndmask_b32_e64 v98, v87, v95, s3
	v_cndmask_b32_e64 v84, v84, v88, s4
	;; [unrolled: 1-line block ×3, first 2 shown]
	v_cndmask_b32_e32 v99, v91, v85, vcc_lo
	v_cmp_eq_u32_e32 vcc_lo, 7, v81
	v_cndmask_b32_e64 v66, v66, v72, s29
	v_cndmask_b32_e64 v72, v84, v96, s7
	;; [unrolled: 1-line block ×3, first 2 shown]
	v_lshrrev_b32_e32 v98, 16, v92
	v_cndmask_b32_e32 v70, v70, v100, vcc_lo
	v_cndmask_b32_e64 v86, v99, v92, s4
	v_cndmask_b32_e64 v69, v69, v100, s27
	v_lshrrev_b32_e32 v100, 16, v93
	v_cndmask_b32_e64 v72, v72, v89, s9
	v_lshrrev_b32_e32 v99, 16, v89
	v_cndmask_b32_e64 v86, v86, v98, s7
	v_perm_b32 v71, v69, v71, 0x5040100
	v_cndmask_b32_e64 v84, v84, v96, s8
	s_delay_alu instid0(VALU_DEP_3) | instskip(NEXT) | instid1(VALU_DEP_2)
	v_cndmask_b32_e64 v86, v86, v93, s9
	v_cndmask_b32_e64 v84, v84, v89, s11
	s_delay_alu instid0(VALU_DEP_2) | instskip(NEXT) | instid1(VALU_DEP_1)
	v_cndmask_b32_e64 v86, v86, v100, s10
	v_cndmask_b32_e64 v69, v86, v94, s12
	;; [unrolled: 1-line block ×5, first 2 shown]
	s_delay_alu instid0(VALU_DEP_3) | instskip(NEXT) | instid1(VALU_DEP_3)
	v_cndmask_b32_e64 v86, v86, v88, s17
	v_cndmask_b32_e64 v87, v87, v88, s23
	s_delay_alu instid0(VALU_DEP_3) | instskip(NEXT) | instid1(VALU_DEP_3)
	v_cndmask_b32_e64 v88, v95, v92, s23
	v_cndmask_b32_e64 v86, v86, v96, s19
	;; [unrolled: 3-line block ×7, first 2 shown]
	s_delay_alu instid0(VALU_DEP_3) | instskip(SKIP_2) | instid1(VALU_DEP_2)
	v_cndmask_b32_e64 v88, v88, v94, s29
	v_cndmask_b32_e32 v66, v66, v97, vcc_lo
	v_cndmask_b32_e64 v97, v72, v99, s10
	v_perm_b32 v72, v70, v66, 0x5040100
	v_perm_b32 v70, v83, v103, 0x5040100
	v_cndmask_b32_e64 v103, v91, v85, s5
	v_cndmask_b32_e64 v85, v91, v85, s3
	v_cndmask_b32_e64 v66, v84, v99, s13
	v_cndmask_b32_e64 v84, v97, v90, s12
	v_lshrrev_b32_e32 v97, 16, v90
	v_cndmask_b32_e64 v91, v103, v92, s17
	v_cndmask_b32_e64 v85, v85, v92, s6
	;; [unrolled: 1-line block ×3, first 2 shown]
	s_mov_b32 s3, exec_lo
	v_cndmask_b32_e64 v83, v84, v97, s15
	v_cndmask_b32_e64 v91, v91, v98, s19
	;; [unrolled: 1-line block ×3, first 2 shown]
	v_lshrrev_b32_e32 v84, 16, v94
	v_cndmask_b32_e64 v66, v66, v97, s18
	v_cndmask_b32_e64 v90, v86, v97, s27
	;; [unrolled: 1-line block ×4, first 2 shown]
	v_dual_cndmask_b32 v86, v87, v97 :: v_dual_cndmask_b32 v87, v88, v84
	v_cndmask_b32_e64 v91, v69, v84, s15
	s_delay_alu instid0(VALU_DEP_4) | instskip(NEXT) | instid1(VALU_DEP_4)
	v_cndmask_b32_e64 v89, v89, v100, s22
	v_cndmask_b32_e64 v85, v85, v100, s13
	v_perm_b32 v69, v102, v101, 0x5040100
	v_perm_b32 v86, v87, v86, 0x5040100
	;; [unrolled: 1-line block ×3, first 2 shown]
	v_cndmask_b32_e64 v89, v89, v94, s24
	v_cndmask_b32_e64 v85, v85, v94, s16
	s_mul_i32 s8, s35, 7
	s_delay_alu instid0(VALU_DEP_2) | instskip(NEXT) | instid1(VALU_DEP_2)
	v_cndmask_b32_e64 v88, v89, v84, s27
	v_cndmask_b32_e64 v89, v85, v84, s18
	s_delay_alu instid0(VALU_DEP_2) | instskip(NEXT) | instid1(VALU_DEP_2)
	v_perm_b32 v85, v88, v90, 0x5040100
	v_perm_b32 v84, v89, v66, 0x5040100
	ds_store_b128 v76, v[69:72]
	ds_store_b128 v76, v[83:86] offset:1024
	v_cmpx_gt_u32_e32 7, v0
	s_cbranch_execz .LBB1512_78
; %bb.77:
	s_mul_i32 s4, s8, s30
	s_delay_alu instid0(SALU_CYCLE_1) | instskip(SKIP_1) | instid1(VALU_DEP_1)
	v_add3_u32 v69, s4, s31, v65
	s_load_b128 s[4:7], s[0:1], 0x58
	v_mad_u64_u32 v[65:66], null, v69, s34, s[14:15]
	s_delay_alu instid0(VALU_DEP_1) | instskip(NEXT) | instid1(VALU_DEP_1)
	v_ashrrev_i32_e32 v66, 31, v65
	v_lshlrev_b64 v[65:66], 2, v[65:66]
	s_waitcnt lgkmcnt(0)
	s_delay_alu instid0(VALU_DEP_1) | instskip(NEXT) | instid1(VALU_DEP_2)
	v_add_co_u32 v69, vcc_lo, s6, v65
	v_add_co_ci_u32_e32 v70, vcc_lo, s7, v66, vcc_lo
	v_add_co_u32 v65, vcc_lo, s4, v65
	v_add_co_ci_u32_e32 v66, vcc_lo, s5, v66, vcc_lo
	global_store_b32 v[69:70], v67, off
	global_store_b32 v[65:66], v68, off
.LBB1512_78:
	s_or_b32 exec_lo, exec_lo, s3
	s_waitcnt lgkmcnt(0)
	s_waitcnt_vscnt null, 0x0
	s_barrier
	buffer_gl0_inv
	ds_load_b128 v[83:86], v80
	ds_load_b128 v[87:90], v80 offset:16
	ds_load_b128 v[95:98], v80 offset:2064
	;; [unrolled: 1-line block ×3, first 2 shown]
	v_mov_b32_e32 v65, 0
	ds_load_b128 v[103:106], v80 offset:4112
	ds_load_b128 v[99:102], v80 offset:4096
	;; [unrolled: 1-line block ×4, first 2 shown]
	v_mov_b32_e32 v66, v65
	v_mov_b32_e32 v67, v65
	;; [unrolled: 1-line block ×7, first 2 shown]
	s_waitcnt lgkmcnt(6)
	s_delay_alu instid0(VALU_DEP_1)
	v_wmma_f32_16x16x16_bf16 v[65:72], v[41:48], v[83:90], v[65:72]
	ds_load_b128 v[45:48], v80 offset:8208
	ds_load_b128 v[41:44], v80 offset:8192
	s_waitcnt lgkmcnt(6)
	v_wmma_f32_16x16x16_bf16 v[65:72], v[33:40], v[91:98], v[65:72]
	ds_load_b128 v[37:40], v80 offset:10256
	ds_load_b128 v[33:36], v80 offset:10240
	s_waitcnt lgkmcnt(6)
	;; [unrolled: 4-line block ×4, first 2 shown]
	v_wmma_f32_16x16x16_bf16 v[65:72], v[1:8], v[41:48], v[65:72]
	s_waitcnt lgkmcnt(4)
	s_delay_alu instid0(VALU_DEP_1) | instskip(SKIP_1) | instid1(VALU_DEP_1)
	v_wmma_f32_16x16x16_bf16 v[65:72], v[9:16], v[33:40], v[65:72]
	s_waitcnt lgkmcnt(2)
	v_wmma_f32_16x16x16_bf16 v[65:72], v[57:64], v[25:32], v[65:72]
	s_waitcnt lgkmcnt(0)
	s_delay_alu instid0(VALU_DEP_1) | instskip(NEXT) | instid1(VALU_DEP_1)
	v_wmma_f32_16x16x16_bf16 v[65:72], v[49:56], v[17:24], v[65:72]
	v_and_b32_e32 v1, 0x7f800000, v65
	s_delay_alu instid0(VALU_DEP_1) | instskip(SKIP_1) | instid1(SALU_CYCLE_1)
	v_cmp_ne_u32_e32 vcc_lo, 0x7f800000, v1
                                        ; implicit-def: $vgpr1
	s_and_saveexec_b32 s3, vcc_lo
	s_xor_b32 s3, exec_lo, s3
; %bb.79:
	v_bfe_u32 v1, v65, 16, 1
	s_delay_alu instid0(VALU_DEP_1)
	v_add3_u32 v1, v65, v1, 0x7fff
; %bb.80:
	s_and_not1_saveexec_b32 s3, s3
; %bb.81:
	v_and_b32_e32 v1, 0xffff, v65
	v_or_b32_e32 v2, 0x10000, v65
	s_delay_alu instid0(VALU_DEP_2) | instskip(NEXT) | instid1(VALU_DEP_2)
	v_cmp_eq_u32_e32 vcc_lo, 0, v1
	v_cndmask_b32_e32 v1, v2, v65, vcc_lo
; %bb.82:
	s_or_b32 exec_lo, exec_lo, s3
	v_and_b32_e32 v2, 0x7f800000, v66
	s_delay_alu instid0(VALU_DEP_1) | instskip(SKIP_1) | instid1(SALU_CYCLE_1)
	v_cmp_ne_u32_e32 vcc_lo, 0x7f800000, v2
                                        ; implicit-def: $vgpr2
	s_and_saveexec_b32 s3, vcc_lo
	s_xor_b32 s3, exec_lo, s3
; %bb.83:
	v_bfe_u32 v2, v66, 16, 1
	s_delay_alu instid0(VALU_DEP_1)
	v_add3_u32 v2, v66, v2, 0x7fff
; %bb.84:
	s_and_not1_saveexec_b32 s3, s3
; %bb.85:
	v_and_b32_e32 v2, 0xffff, v66
	v_or_b32_e32 v3, 0x10000, v66
	s_delay_alu instid0(VALU_DEP_2) | instskip(NEXT) | instid1(VALU_DEP_2)
	v_cmp_eq_u32_e32 vcc_lo, 0, v2
	v_cndmask_b32_e32 v2, v3, v66, vcc_lo
; %bb.86:
	s_or_b32 exec_lo, exec_lo, s3
	v_and_b32_e32 v3, 0x7f800000, v67
	s_delay_alu instid0(VALU_DEP_1) | instskip(SKIP_1) | instid1(SALU_CYCLE_1)
	v_cmp_ne_u32_e32 vcc_lo, 0x7f800000, v3
                                        ; implicit-def: $vgpr3
	s_and_saveexec_b32 s3, vcc_lo
	s_xor_b32 s3, exec_lo, s3
; %bb.87:
	v_bfe_u32 v3, v67, 16, 1
	s_delay_alu instid0(VALU_DEP_1)
	v_add3_u32 v3, v67, v3, 0x7fff
; %bb.88:
	s_and_not1_saveexec_b32 s3, s3
; %bb.89:
	v_and_b32_e32 v3, 0xffff, v67
	v_or_b32_e32 v4, 0x10000, v67
	s_delay_alu instid0(VALU_DEP_2) | instskip(NEXT) | instid1(VALU_DEP_2)
	v_cmp_eq_u32_e32 vcc_lo, 0, v3
	v_cndmask_b32_e32 v3, v4, v67, vcc_lo
; %bb.90:
	s_or_b32 exec_lo, exec_lo, s3
	v_and_b32_e32 v4, 0x7f800000, v68
	s_delay_alu instid0(VALU_DEP_1) | instskip(SKIP_1) | instid1(SALU_CYCLE_1)
	v_cmp_ne_u32_e32 vcc_lo, 0x7f800000, v4
                                        ; implicit-def: $vgpr4
	s_and_saveexec_b32 s3, vcc_lo
	s_xor_b32 s3, exec_lo, s3
; %bb.91:
	v_bfe_u32 v4, v68, 16, 1
	s_delay_alu instid0(VALU_DEP_1)
	v_add3_u32 v4, v68, v4, 0x7fff
; %bb.92:
	s_and_not1_saveexec_b32 s3, s3
; %bb.93:
	v_and_b32_e32 v4, 0xffff, v68
	v_or_b32_e32 v5, 0x10000, v68
	s_delay_alu instid0(VALU_DEP_2) | instskip(NEXT) | instid1(VALU_DEP_2)
	v_cmp_eq_u32_e32 vcc_lo, 0, v4
	v_cndmask_b32_e32 v4, v5, v68, vcc_lo
; %bb.94:
	s_or_b32 exec_lo, exec_lo, s3
	v_and_b32_e32 v5, 0x7f800000, v69
	s_delay_alu instid0(VALU_DEP_1) | instskip(SKIP_1) | instid1(SALU_CYCLE_1)
	v_cmp_ne_u32_e32 vcc_lo, 0x7f800000, v5
                                        ; implicit-def: $vgpr5
	s_and_saveexec_b32 s3, vcc_lo
	s_xor_b32 s3, exec_lo, s3
; %bb.95:
	v_bfe_u32 v5, v69, 16, 1
	s_delay_alu instid0(VALU_DEP_1)
	v_add3_u32 v5, v69, v5, 0x7fff
; %bb.96:
	s_and_not1_saveexec_b32 s3, s3
; %bb.97:
	v_and_b32_e32 v5, 0xffff, v69
	v_or_b32_e32 v6, 0x10000, v69
	s_delay_alu instid0(VALU_DEP_2) | instskip(NEXT) | instid1(VALU_DEP_2)
	v_cmp_eq_u32_e32 vcc_lo, 0, v5
	v_cndmask_b32_e32 v5, v6, v69, vcc_lo
; %bb.98:
	s_or_b32 exec_lo, exec_lo, s3
	v_and_b32_e32 v6, 0x7f800000, v70
	s_delay_alu instid0(VALU_DEP_1) | instskip(SKIP_1) | instid1(SALU_CYCLE_1)
	v_cmp_ne_u32_e32 vcc_lo, 0x7f800000, v6
                                        ; implicit-def: $vgpr6
	s_and_saveexec_b32 s3, vcc_lo
	s_xor_b32 s3, exec_lo, s3
; %bb.99:
	v_bfe_u32 v6, v70, 16, 1
	s_delay_alu instid0(VALU_DEP_1)
	v_add3_u32 v6, v70, v6, 0x7fff
; %bb.100:
	s_and_not1_saveexec_b32 s3, s3
; %bb.101:
	v_and_b32_e32 v6, 0xffff, v70
	v_or_b32_e32 v7, 0x10000, v70
	s_delay_alu instid0(VALU_DEP_2) | instskip(NEXT) | instid1(VALU_DEP_2)
	v_cmp_eq_u32_e32 vcc_lo, 0, v6
	v_cndmask_b32_e32 v6, v7, v70, vcc_lo
; %bb.102:
	s_or_b32 exec_lo, exec_lo, s3
	v_and_b32_e32 v7, 0x7f800000, v71
	s_delay_alu instid0(VALU_DEP_1) | instskip(SKIP_1) | instid1(SALU_CYCLE_1)
	v_cmp_ne_u32_e32 vcc_lo, 0x7f800000, v7
                                        ; implicit-def: $vgpr7
	s_and_saveexec_b32 s3, vcc_lo
	s_xor_b32 s3, exec_lo, s3
; %bb.103:
	v_bfe_u32 v7, v71, 16, 1
	s_delay_alu instid0(VALU_DEP_1)
	v_add3_u32 v7, v71, v7, 0x7fff
; %bb.104:
	s_and_not1_saveexec_b32 s3, s3
; %bb.105:
	v_and_b32_e32 v7, 0xffff, v71
	v_or_b32_e32 v8, 0x10000, v71
	s_delay_alu instid0(VALU_DEP_2) | instskip(NEXT) | instid1(VALU_DEP_2)
	v_cmp_eq_u32_e32 vcc_lo, 0, v7
	v_cndmask_b32_e32 v7, v8, v71, vcc_lo
; %bb.106:
	s_or_b32 exec_lo, exec_lo, s3
	v_and_b32_e32 v8, 0x7f800000, v72
	s_delay_alu instid0(VALU_DEP_1) | instskip(SKIP_1) | instid1(SALU_CYCLE_1)
	v_cmp_ne_u32_e32 vcc_lo, 0x7f800000, v8
                                        ; implicit-def: $vgpr8
	s_and_saveexec_b32 s3, vcc_lo
	s_xor_b32 s3, exec_lo, s3
; %bb.107:
	v_bfe_u32 v8, v72, 16, 1
	s_delay_alu instid0(VALU_DEP_1)
	v_add3_u32 v8, v72, v8, 0x7fff
                                        ; implicit-def: $vgpr65_vgpr66_vgpr67_vgpr68_vgpr69_vgpr70_vgpr71_vgpr72
; %bb.108:
	s_and_not1_saveexec_b32 s3, s3
; %bb.109:
	v_and_b32_e32 v8, 0xffff, v72
	v_or_b32_e32 v9, 0x10000, v72
	s_delay_alu instid0(VALU_DEP_2) | instskip(NEXT) | instid1(VALU_DEP_2)
	v_cmp_eq_u32_e32 vcc_lo, 0, v8
	v_cndmask_b32_e32 v8, v9, v72, vcc_lo
; %bb.110:
	s_or_b32 exec_lo, exec_lo, s3
	s_delay_alu instid0(VALU_DEP_1)
	v_perm_b32 v7, v8, v7, 0x7060302
	v_perm_b32 v6, v6, v5, 0x7060302
	;; [unrolled: 1-line block ×4, first 2 shown]
	s_barrier
	buffer_gl0_inv
	v_cmp_eq_u32_e32 vcc_lo, 1, v78
	ds_store_b128 v76, v[4:7]
	s_waitcnt lgkmcnt(0)
	s_barrier
	buffer_gl0_inv
	ds_load_b128 v[1:4], v82
	ds_load_b128 v[5:8], v82 offset:16
	v_cmp_eq_u32_e64 s3, 1, v79
	v_cmp_eq_u32_e64 s4, 2, v78
	;; [unrolled: 1-line block ×5, first 2 shown]
	s_waitcnt lgkmcnt(1)
	v_lshrrev_b32_e32 v9, 16, v1
	s_waitcnt lgkmcnt(0)
	v_lshrrev_b32_e32 v13, 16, v5
	v_lshrrev_b32_e32 v10, 16, v2
	;; [unrolled: 1-line block ×4, first 2 shown]
	v_cndmask_b32_e64 v19, v1, v9, s3
	v_cndmask_b32_e32 v18, v5, v13, vcc_lo
	v_cndmask_b32_e64 v20, v5, v13, s3
	v_cndmask_b32_e32 v17, v1, v9, vcc_lo
	v_cmp_eq_u32_e32 vcc_lo, 2, v79
	v_lshrrev_b32_e32 v15, 16, v7
	v_cmp_eq_u32_e64 s3, 1, v77
	v_lshrrev_b32_e32 v12, 16, v4
	v_lshrrev_b32_e32 v16, 16, v8
	v_cndmask_b32_e32 v20, v20, v6, vcc_lo
	v_cndmask_b32_e64 v17, v17, v2, s4
	v_cndmask_b32_e32 v19, v19, v2, vcc_lo
	v_cndmask_b32_e64 v18, v18, v6, s4
	v_cmp_eq_u32_e32 vcc_lo, 4, v78
	v_cmp_eq_u32_e64 s4, 3, v79
	v_cndmask_b32_e64 v17, v17, v10, s5
	v_cndmask_b32_e64 v21, v1, v9, s3
	;; [unrolled: 1-line block ×5, first 2 shown]
	v_cndmask_b32_e32 v17, v17, v3, vcc_lo
	v_cndmask_b32_e64 v20, v20, v14, s4
	v_cndmask_b32_e32 v18, v18, v7, vcc_lo
	v_cmp_eq_u32_e32 vcc_lo, 4, v79
	v_cmp_eq_u32_e64 s4, 5, v79
	v_cmp_eq_u32_e64 s3, 2, v81
	v_cndmask_b32_e64 v21, v21, v2, s7
	v_cmp_eq_u32_e64 s5, 5, v78
	v_cndmask_b32_e32 v19, v19, v3, vcc_lo
	v_cndmask_b32_e32 v20, v20, v7, vcc_lo
	v_cmp_eq_u32_e32 vcc_lo, 6, v79
	s_delay_alu instid0(VALU_DEP_4) | instskip(NEXT) | instid1(VALU_DEP_4)
	v_cndmask_b32_e64 v17, v17, v11, s5
	v_cndmask_b32_e64 v19, v19, v11, s4
	s_delay_alu instid0(VALU_DEP_4) | instskip(SKIP_1) | instid1(VALU_DEP_3)
	v_cndmask_b32_e64 v20, v20, v15, s4
	v_cmp_eq_u32_e64 s4, 1, v81
	v_cndmask_b32_e32 v19, v19, v4, vcc_lo
	v_cndmask_b32_e64 v18, v18, v15, s5
	s_delay_alu instid0(VALU_DEP_3)
	v_cndmask_b32_e64 v1, v1, v9, s4
	v_cndmask_b32_e64 v5, v5, v13, s4
	v_cmp_eq_u32_e64 s4, 3, v77
	v_cndmask_b32_e64 v13, v22, v6, s7
	v_cmp_eq_u32_e64 s7, 3, v81
	v_cndmask_b32_e64 v1, v1, v2, s3
	v_cndmask_b32_e64 v2, v5, v6, s3
	;; [unrolled: 1-line block ×3, first 2 shown]
	v_cmp_eq_u32_e64 s3, 4, v77
	v_cndmask_b32_e64 v6, v13, v14, s4
	v_cndmask_b32_e64 v1, v1, v10, s7
	v_cmp_eq_u32_e64 s4, 4, v81
	v_cndmask_b32_e64 v2, v2, v14, s7
	v_cndmask_b32_e64 v5, v9, v3, s3
	;; [unrolled: 3-line block ×3, first 2 shown]
	v_cndmask_b32_e64 v2, v2, v7, s4
	v_cmp_eq_u32_e64 s3, 5, v81
	v_cmp_eq_u32_e64 s5, 6, v78
	v_cndmask_b32_e64 v5, v5, v11, s7
	v_cmp_eq_u32_e64 s4, 6, v77
	v_cndmask_b32_e64 v3, v6, v15, s7
	v_cndmask_b32_e64 v1, v1, v11, s3
	v_cmp_eq_u32_e64 s7, 6, v81
	v_cndmask_b32_e64 v2, v2, v15, s3
	v_cndmask_b32_e64 v17, v17, v4, s5
	v_cndmask_b32_e64 v18, v18, v8, s5
	v_cmp_eq_u32_e64 s5, 7, v78
	v_cndmask_b32_e64 v5, v5, v4, s4
	;; [unrolled: 4-line block ×3, first 2 shown]
	v_cmp_eq_u32_e64 s4, 7, v77
	v_cndmask_b32_e32 v4, v20, v8, vcc_lo
	v_cndmask_b32_e64 v17, v17, v12, s5
	v_cndmask_b32_e64 v19, v19, v12, s6
	;; [unrolled: 1-line block ×8, first 2 shown]
	s_mov_b32 s3, exec_lo
	v_perm_b32 v4, v2, v1, 0x5040100
	v_perm_b32 v3, v3, v5, 0x5040100
	;; [unrolled: 1-line block ×4, first 2 shown]
	ds_store_b128 v76, v[1:4]
	s_waitcnt lgkmcnt(0)
	s_barrier
	buffer_gl0_inv
	v_cmpx_gt_u32_e32 32, v0
	s_cbranch_execz .LBB1512_2
; %bb.111:
	s_load_b64 s[4:5], s[0:1], 0x68
	v_lshlrev_b32_e32 v0, 10, v0
	v_add_nc_u32_e32 v2, s31, v74
	v_lshlrev_b32_e32 v3, 4, v75
	s_lshl_b32 s0, s34, 7
	s_delay_alu instid0(SALU_CYCLE_1) | instskip(NEXT) | instid1(VALU_DEP_2)
	s_mul_i32 s1, s0, s30
	v_mul_lo_u32 v1, v2, s0
	s_delay_alu instid0(VALU_DEP_2)
	v_and_or_b32 v0, 0x3800, v0, v3
	v_add_nc_u32_e32 v3, 2, v2
	s_mul_i32 s6, s1, s8
	v_add_nc_u32_e32 v4, 4, v2
	s_ashr_i32 s7, s6, 31
	v_lshl_or_b32 v11, v74, 6, v0
	s_lshl_b64 s[6:7], s[6:7], 1
	v_mul_lo_u32 v15, v3, s0
	v_mul_lo_u32 v17, v4, s0
	v_ashrrev_i32_e32 v2, 31, v1
	ds_load_b128 v[3:6], v11
	ds_load_b128 v[7:10], v11 offset:128
	ds_load_b128 v[11:14], v11 offset:256
	s_waitcnt lgkmcnt(0)
	s_add_u32 s1, s4, s6
	s_addc_u32 s3, s5, s7
	s_lshl_b32 s4, s14, 7
	v_ashrrev_i32_e32 v16, 31, v15
	s_ashr_i32 s5, s4, 31
	v_lshlrev_b64 v[19:20], 1, v[1:2]
	s_lshl_b64 s[4:5], s[4:5], 1
	v_ashrrev_i32_e32 v18, 31, v17
	s_add_u32 s1, s1, s4
	s_addc_u32 s3, s3, s5
	v_add_co_u32 v1, s1, s1, v73
	s_delay_alu instid0(VALU_DEP_1) | instskip(SKIP_1) | instid1(VALU_DEP_3)
	v_add_co_ci_u32_e64 v2, null, s3, 0, s1
	v_lshlrev_b64 v[15:16], 1, v[15:16]
	v_add_co_u32 v19, vcc_lo, v1, v19
	v_lshlrev_b64 v[17:18], 1, v[17:18]
	s_delay_alu instid0(VALU_DEP_4) | instskip(NEXT) | instid1(VALU_DEP_4)
	v_add_co_ci_u32_e32 v20, vcc_lo, v2, v20, vcc_lo
	v_add_co_u32 v15, vcc_lo, v1, v15
	v_add_co_ci_u32_e32 v16, vcc_lo, v2, v16, vcc_lo
	s_delay_alu instid0(VALU_DEP_4)
	v_add_co_u32 v17, vcc_lo, v1, v17
	v_add_co_ci_u32_e32 v18, vcc_lo, v2, v18, vcc_lo
	s_clause 0x2
	global_store_b128 v[19:20], v[3:6], off
	global_store_b128 v[15:16], v[7:10], off
	;; [unrolled: 1-line block ×3, first 2 shown]
	s_and_b32 exec_lo, exec_lo, s2
	s_cbranch_execz .LBB1512_2
; %bb.112:
	ds_load_b128 v[3:6], v0 offset:384
	s_add_i32 s1, s31, 6
	s_delay_alu instid0(SALU_CYCLE_1) | instskip(NEXT) | instid1(SALU_CYCLE_1)
	s_mul_i32 s0, s1, s0
	s_ashr_i32 s1, s0, 31
	s_delay_alu instid0(SALU_CYCLE_1) | instskip(NEXT) | instid1(SALU_CYCLE_1)
	s_lshl_b64 s[0:1], s[0:1], 1
	v_add_co_u32 v0, vcc_lo, v1, s0
	v_add_co_ci_u32_e32 v1, vcc_lo, s1, v2, vcc_lo
	s_waitcnt lgkmcnt(0)
	global_store_b128 v[0:1], v[3:6], off
	s_nop 0
	s_sendmsg sendmsg(MSG_DEALLOC_VGPRS)
	s_endpgm
	.section	.rodata,"a",@progbits
	.p2align	6, 0x0
	.amdhsa_kernel _Z39paged_attention_ll4mi_QKV_mfma16_kernelI14__hip_bfloat16hLN4vllm18Fp8KVCacheDataTypeE1EhLi16ELi128ELi256ELb1ELi7EL8MFMAType1EEvPKT_PKT0_S9_ifPKiSB_SB_iPKfiiiPfSE_PS4_PT2_iSD_SD_
		.amdhsa_group_segment_fixed_size 17472
		.amdhsa_private_segment_fixed_size 0
		.amdhsa_kernarg_size 400
		.amdhsa_user_sgpr_count 13
		.amdhsa_user_sgpr_dispatch_ptr 0
		.amdhsa_user_sgpr_queue_ptr 0
		.amdhsa_user_sgpr_kernarg_segment_ptr 1
		.amdhsa_user_sgpr_dispatch_id 0
		.amdhsa_user_sgpr_private_segment_size 0
		.amdhsa_wavefront_size32 1
		.amdhsa_uses_dynamic_stack 0
		.amdhsa_enable_private_segment 0
		.amdhsa_system_sgpr_workgroup_id_x 1
		.amdhsa_system_sgpr_workgroup_id_y 1
		.amdhsa_system_sgpr_workgroup_id_z 1
		.amdhsa_system_sgpr_workgroup_info 0
		.amdhsa_system_vgpr_workitem_id 0
		.amdhsa_next_free_vgpr 140
		.amdhsa_next_free_sgpr 36
		.amdhsa_reserve_vcc 1
		.amdhsa_float_round_mode_32 0
		.amdhsa_float_round_mode_16_64 0
		.amdhsa_float_denorm_mode_32 3
		.amdhsa_float_denorm_mode_16_64 3
		.amdhsa_dx10_clamp 1
		.amdhsa_ieee_mode 1
		.amdhsa_fp16_overflow 0
		.amdhsa_workgroup_processor_mode 1
		.amdhsa_memory_ordered 1
		.amdhsa_forward_progress 0
		.amdhsa_shared_vgpr_count 0
		.amdhsa_exception_fp_ieee_invalid_op 0
		.amdhsa_exception_fp_denorm_src 0
		.amdhsa_exception_fp_ieee_div_zero 0
		.amdhsa_exception_fp_ieee_overflow 0
		.amdhsa_exception_fp_ieee_underflow 0
		.amdhsa_exception_fp_ieee_inexact 0
		.amdhsa_exception_int_div_zero 0
	.end_amdhsa_kernel
	.section	.text._Z39paged_attention_ll4mi_QKV_mfma16_kernelI14__hip_bfloat16hLN4vllm18Fp8KVCacheDataTypeE1EhLi16ELi128ELi256ELb1ELi7EL8MFMAType1EEvPKT_PKT0_S9_ifPKiSB_SB_iPKfiiiPfSE_PS4_PT2_iSD_SD_,"axG",@progbits,_Z39paged_attention_ll4mi_QKV_mfma16_kernelI14__hip_bfloat16hLN4vllm18Fp8KVCacheDataTypeE1EhLi16ELi128ELi256ELb1ELi7EL8MFMAType1EEvPKT_PKT0_S9_ifPKiSB_SB_iPKfiiiPfSE_PS4_PT2_iSD_SD_,comdat
.Lfunc_end1512:
	.size	_Z39paged_attention_ll4mi_QKV_mfma16_kernelI14__hip_bfloat16hLN4vllm18Fp8KVCacheDataTypeE1EhLi16ELi128ELi256ELb1ELi7EL8MFMAType1EEvPKT_PKT0_S9_ifPKiSB_SB_iPKfiiiPfSE_PS4_PT2_iSD_SD_, .Lfunc_end1512-_Z39paged_attention_ll4mi_QKV_mfma16_kernelI14__hip_bfloat16hLN4vllm18Fp8KVCacheDataTypeE1EhLi16ELi128ELi256ELb1ELi7EL8MFMAType1EEvPKT_PKT0_S9_ifPKiSB_SB_iPKfiiiPfSE_PS4_PT2_iSD_SD_
                                        ; -- End function
	.section	.AMDGPU.csdata,"",@progbits
; Kernel info:
; codeLenInByte = 8952
; NumSgprs: 38
; NumVgprs: 140
; ScratchSize: 0
; MemoryBound: 0
; FloatMode: 240
; IeeeMode: 1
; LDSByteSize: 17472 bytes/workgroup (compile time only)
; SGPRBlocks: 4
; VGPRBlocks: 17
; NumSGPRsForWavesPerEU: 38
; NumVGPRsForWavesPerEU: 140
; Occupancy: 10
; WaveLimiterHint : 1
; COMPUTE_PGM_RSRC2:SCRATCH_EN: 0
; COMPUTE_PGM_RSRC2:USER_SGPR: 13
; COMPUTE_PGM_RSRC2:TRAP_HANDLER: 0
; COMPUTE_PGM_RSRC2:TGID_X_EN: 1
; COMPUTE_PGM_RSRC2:TGID_Y_EN: 1
; COMPUTE_PGM_RSRC2:TGID_Z_EN: 1
; COMPUTE_PGM_RSRC2:TIDIG_COMP_CNT: 0
	.section	.text._Z39paged_attention_ll4mi_QKV_mfma16_kernelI14__hip_bfloat16hLN4vllm18Fp8KVCacheDataTypeE1EhLi16ELi128ELi256ELb1ELi8EL8MFMAType1EEvPKT_PKT0_S9_ifPKiSB_SB_iPKfiiiPfSE_PS4_PT2_iSD_SD_,"axG",@progbits,_Z39paged_attention_ll4mi_QKV_mfma16_kernelI14__hip_bfloat16hLN4vllm18Fp8KVCacheDataTypeE1EhLi16ELi128ELi256ELb1ELi8EL8MFMAType1EEvPKT_PKT0_S9_ifPKiSB_SB_iPKfiiiPfSE_PS4_PT2_iSD_SD_,comdat
	.protected	_Z39paged_attention_ll4mi_QKV_mfma16_kernelI14__hip_bfloat16hLN4vllm18Fp8KVCacheDataTypeE1EhLi16ELi128ELi256ELb1ELi8EL8MFMAType1EEvPKT_PKT0_S9_ifPKiSB_SB_iPKfiiiPfSE_PS4_PT2_iSD_SD_ ; -- Begin function _Z39paged_attention_ll4mi_QKV_mfma16_kernelI14__hip_bfloat16hLN4vllm18Fp8KVCacheDataTypeE1EhLi16ELi128ELi256ELb1ELi8EL8MFMAType1EEvPKT_PKT0_S9_ifPKiSB_SB_iPKfiiiPfSE_PS4_PT2_iSD_SD_
	.globl	_Z39paged_attention_ll4mi_QKV_mfma16_kernelI14__hip_bfloat16hLN4vllm18Fp8KVCacheDataTypeE1EhLi16ELi128ELi256ELb1ELi8EL8MFMAType1EEvPKT_PKT0_S9_ifPKiSB_SB_iPKfiiiPfSE_PS4_PT2_iSD_SD_
	.p2align	8
	.type	_Z39paged_attention_ll4mi_QKV_mfma16_kernelI14__hip_bfloat16hLN4vllm18Fp8KVCacheDataTypeE1EhLi16ELi128ELi256ELb1ELi8EL8MFMAType1EEvPKT_PKT0_S9_ifPKiSB_SB_iPKfiiiPfSE_PS4_PT2_iSD_SD_,@function
_Z39paged_attention_ll4mi_QKV_mfma16_kernelI14__hip_bfloat16hLN4vllm18Fp8KVCacheDataTypeE1EhLi16ELi128ELi256ELb1ELi8EL8MFMAType1EEvPKT_PKT0_S9_ifPKiSB_SB_iPKfiiiPfSE_PS4_PT2_iSD_SD_: ; @_Z39paged_attention_ll4mi_QKV_mfma16_kernelI14__hip_bfloat16hLN4vllm18Fp8KVCacheDataTypeE1EhLi16ELi128ELi256ELb1ELi8EL8MFMAType1EEvPKT_PKT0_S9_ifPKiSB_SB_iPKfiiiPfSE_PS4_PT2_iSD_SD_
; %bb.0:
	s_load_b64 s[4:5], s[0:1], 0x30
	s_mov_b32 s30, s13
	s_waitcnt lgkmcnt(0)
	s_cmp_lg_u64 s[4:5], 0
	s_cselect_b32 s13, -1, 0
	s_ashr_i32 s31, s30, 31
	s_cmp_eq_u64 s[4:5], 0
	s_cbranch_scc1 .LBB1513_3
; %bb.1:
	s_lshl_b64 s[2:3], s[30:31], 2
	s_delay_alu instid0(SALU_CYCLE_1) | instskip(SKIP_4) | instid1(SALU_CYCLE_1)
	s_add_u32 s2, s4, s2
	s_addc_u32 s3, s5, s3
	s_load_b64 s[2:3], s[2:3], 0x0
	s_waitcnt lgkmcnt(0)
	s_sub_i32 s2, s3, s2
	s_cmp_eq_u32 s2, 1
	s_cselect_b32 s2, -1, 0
	s_delay_alu instid0(SALU_CYCLE_1)
	s_and_not1_b32 vcc_lo, exec_lo, s2
	s_cbranch_vccz .LBB1513_4
.LBB1513_2:
	s_endpgm
.LBB1513_3:
.LBB1513_4:
	s_load_b64 s[2:3], s[0:1], 0x28
	s_lshl_b64 s[6:7], s[30:31], 2
	s_waitcnt lgkmcnt(0)
	s_add_u32 s2, s2, s6
	s_addc_u32 s3, s3, s7
	s_lshl_b32 s12, s14, 8
	s_load_b32 s17, s[2:3], 0x0
	s_waitcnt lgkmcnt(0)
	s_cmp_ge_i32 s12, s17
	s_cbranch_scc1 .LBB1513_2
; %bb.5:
	s_clause 0x1
	s_load_b128 s[8:11], s[0:1], 0x8
	s_load_b64 s[2:3], s[0:1], 0x20
	s_and_not1_b32 vcc_lo, exec_lo, s13
	s_cbranch_vccnz .LBB1513_7
; %bb.6:
	s_add_u32 s4, s4, s6
	s_addc_u32 s5, s5, s7
	s_load_b32 s13, s[4:5], 0x0
	s_branch .LBB1513_8
.LBB1513_7:
	s_mov_b32 s13, s30
.LBB1513_8:
	s_load_b128 s[4:7], s[0:1], 0x48
	v_and_b32_e32 v66, 15, v0
	v_lshrrev_b32_e32 v65, 5, v0
	v_and_b32_e32 v67, 31, v0
	v_and_b32_e32 v75, 1, v0
	v_bfe_u32 v74, v0, 4, 1
	v_lshlrev_b32_e32 v1, 3, v66
	s_lshl_b32 s29, s15, 3
	s_waitcnt lgkmcnt(0)
	s_mov_b32 s7, exec_lo
	s_delay_alu instid0(VALU_DEP_1)
	v_lshlrev_b32_e32 v73, 1, v1
	v_cmpx_gt_u32_e32 0x80, v0
	s_cbranch_execz .LBB1513_10
; %bb.9:
	v_lshl_or_b32 v5, v65, 1, v74
	s_load_b64 s[18:19], s[0:1], 0x0
	s_mul_hi_i32 s21, s13, s4
	s_mul_i32 s20, s13, s4
	v_lshlrev_b32_e32 v6, 10, v66
	v_or_b32_e32 v1, s29, v5
	s_lshl_b64 s[20:21], s[20:21], 1
	v_lshlrev_b32_e32 v5, 6, v5
	v_lshlrev_b32_e32 v7, 10, v75
	v_and_b32_e32 v6, 0x3800, v6
	v_lshlrev_b32_e32 v1, 7, v1
	s_delay_alu instid0(VALU_DEP_2) | instskip(NEXT) | instid1(VALU_DEP_2)
	v_or3_b32 v5, v6, v7, v5
	v_ashrrev_i32_e32 v2, 31, v1
	s_delay_alu instid0(VALU_DEP_1) | instskip(SKIP_3) | instid1(VALU_DEP_1)
	v_lshlrev_b64 v[1:2], 1, v[1:2]
	s_waitcnt lgkmcnt(0)
	s_add_u32 s4, s18, s20
	s_addc_u32 s13, s19, s21
	v_add_co_u32 v1, vcc_lo, s4, v1
	s_delay_alu instid0(VALU_DEP_2) | instskip(NEXT) | instid1(VALU_DEP_2)
	v_add_co_ci_u32_e32 v2, vcc_lo, s13, v2, vcc_lo
	v_add_co_u32 v1, vcc_lo, v1, v73
	s_delay_alu instid0(VALU_DEP_2)
	v_add_co_ci_u32_e32 v2, vcc_lo, 0, v2, vcc_lo
	global_load_b128 v[1:4], v[1:2], off
	s_waitcnt vmcnt(0)
	ds_store_b128 v5, v[1:4]
.LBB1513_10:
	s_or_b32 exec_lo, exec_lo, s7
	v_and_b32_e32 v1, 0xef, v0
	s_add_i32 s4, s17, 15
	s_clause 0x1
	s_load_b32 s7, s[0:1], 0x38
	s_load_b32 s18, s[0:1], 0x1c
	s_ashr_i32 s13, s4, 31
	v_add_nc_u32_e32 v1, s12, v1
	s_lshr_b32 s13, s13, 28
	s_waitcnt lgkmcnt(0)
	s_add_i32 s4, s4, s13
	s_barrier
	v_ashrrev_i32_e32 v2, 31, v1
	v_or_b32_e32 v3, 16, v1
	s_ashr_i32 s4, s4, 4
	v_cmp_gt_i32_e32 vcc_lo, s17, v1
	s_add_i32 s4, s4, -1
	v_lshrrev_b32_e32 v2, 28, v2
	buffer_gl0_inv
	s_mul_i32 s15, s15, s6
	v_add_nc_u32_e32 v4, v1, v2
	s_mul_i32 s20, s30, s7
	s_delay_alu instid0(SALU_CYCLE_1) | instskip(NEXT) | instid1(VALU_DEP_1)
	s_ashr_i32 s21, s20, 31
	v_ashrrev_i32_e32 v4, 4, v4
	v_add_nc_u32_e32 v2, v3, v2
	s_lshl_b64 s[20:21], s[20:21], 2
	s_delay_alu instid0(SALU_CYCLE_1) | instskip(NEXT) | instid1(VALU_DEP_2)
	s_add_u32 s13, s2, s20
	v_cndmask_b32_e32 v1, s4, v4, vcc_lo
	s_delay_alu instid0(VALU_DEP_2)
	v_ashrrev_i32_e32 v2, 4, v2
	v_cmp_gt_i32_e32 vcc_lo, s17, v3
	s_addc_u32 s16, s3, s21
	s_ashr_i32 s19, s15, 31
	s_add_u32 s26, s8, s15
	s_addc_u32 s27, s9, s19
	v_cndmask_b32_e32 v3, s4, v2, vcc_lo
	v_ashrrev_i32_e32 v2, 31, v1
	s_lshl_b32 s2, s14, 4
	s_delay_alu instid0(SALU_CYCLE_1) | instskip(NEXT) | instid1(VALU_DEP_2)
	s_ashr_i32 s3, s2, 31
	v_ashrrev_i32_e32 v4, 31, v3
	s_delay_alu instid0(VALU_DEP_2) | instskip(SKIP_1) | instid1(SALU_CYCLE_1)
	v_lshlrev_b64 v[1:2], 2, v[1:2]
	s_lshl_b64 s[2:3], s[2:3], 2
	s_add_u32 s2, s13, s2
	s_delay_alu instid0(VALU_DEP_2) | instskip(SKIP_1) | instid1(VALU_DEP_2)
	v_lshlrev_b64 v[3:4], 2, v[3:4]
	s_addc_u32 s3, s16, s3
	v_add_co_u32 v1, vcc_lo, s13, v1
	v_add_co_ci_u32_e32 v2, vcc_lo, s16, v2, vcc_lo
	s_delay_alu instid0(VALU_DEP_3) | instskip(NEXT) | instid1(VALU_DEP_4)
	v_add_co_u32 v3, vcc_lo, s13, v3
	v_add_co_ci_u32_e32 v4, vcc_lo, s16, v4, vcc_lo
	s_clause 0x1
	global_load_b32 v5, v[1:2], off
	global_load_b32 v3, v[3:4], off
	s_or_b32 s6, s12, 32
	s_delay_alu instid0(SALU_CYCLE_1) | instskip(SKIP_2) | instid1(SALU_CYCLE_1)
	s_ashr_i32 s7, s6, 4
	s_cmp_lt_i32 s6, s17
	s_cselect_b32 s6, s7, s4
	s_ashr_i32 s7, s6, 31
	s_delay_alu instid0(SALU_CYCLE_1) | instskip(NEXT) | instid1(SALU_CYCLE_1)
	s_lshl_b64 s[6:7], s[6:7], 2
	s_add_u32 s6, s13, s6
	s_addc_u32 s7, s16, s7
	s_or_b32 s8, s12, 64
	s_delay_alu instid0(SALU_CYCLE_1) | instskip(SKIP_2) | instid1(SALU_CYCLE_1)
	s_ashr_i32 s9, s8, 4
	s_cmp_lt_i32 s8, s17
	s_cselect_b32 s8, s9, s4
	s_ashr_i32 s9, s8, 31
	s_delay_alu instid0(SALU_CYCLE_1) | instskip(NEXT) | instid1(SALU_CYCLE_1)
	s_lshl_b64 s[8:9], s[8:9], 2
	s_add_u32 s8, s13, s8
	s_addc_u32 s9, s16, s9
	;; [unrolled: 10-line block ×5, first 2 shown]
	s_clause 0x5
	s_load_b32 s28, s[2:3], 0x0
	s_load_b32 s31, s[6:7], 0x0
	;; [unrolled: 1-line block ×6, first 2 shown]
	s_mov_b32 s20, 0
	s_or_b32 s2, s12, 0xc0
	s_mov_b32 s21, s20
	s_mov_b32 s22, s20
	;; [unrolled: 1-line block ×5, first 2 shown]
	v_lshlrev_b32_e32 v1, 4, v0
	s_ashr_i32 s3, s2, 4
	s_cmp_lt_i32 s2, s17
	s_cselect_b32 s2, s3, s4
	s_delay_alu instid0(VALU_DEP_1) | instskip(SKIP_1) | instid1(SALU_CYCLE_1)
	v_and_b32_e32 v1, 0xf0, v1
	s_ashr_i32 s3, s2, 31
	s_lshl_b64 s[2:3], s[2:3], 2
	s_delay_alu instid0(VALU_DEP_1) | instskip(NEXT) | instid1(VALU_DEP_1)
	v_add_co_u32 v1, s26, s26, v1
	v_add_co_ci_u32_e64 v2, null, s27, 0, s26
	s_add_u32 s2, s13, s2
	s_addc_u32 s3, s16, s3
	s_or_b32 s6, s12, 0xe0
	s_mov_b32 s26, s20
	s_ashr_i32 s7, s6, 4
	s_cmp_lt_i32 s6, s17
	s_mov_b32 s27, s20
	s_cselect_b32 s6, s7, s4
	v_dual_mov_b32 v107, s27 :: v_dual_mov_b32 v100, s20
	s_ashr_i32 s7, s6, 31
	v_mov_b32_e32 v106, s26
	s_lshl_b64 s[6:7], s[6:7], 2
	v_dual_mov_b32 v104, s24 :: v_dual_mov_b32 v103, s23
	v_dual_mov_b32 v102, s22 :: v_dual_mov_b32 v101, s21
	v_mov_b32_e32 v105, s25
	s_waitcnt vmcnt(1)
	v_mad_i64_i32 v[33:34], null, v5, s5, v[1:2]
	s_waitcnt vmcnt(0)
	v_mad_i64_i32 v[35:36], null, v3, s5, v[1:2]
	s_clause 0xf
	global_load_b128 v[1:4], v[33:34], off
	global_load_b128 v[5:8], v[33:34], off offset:256
	global_load_b128 v[9:12], v[35:36], off
	global_load_b128 v[13:16], v[35:36], off offset:256
	global_load_b128 v[17:20], v[33:34], off offset:512
	;; [unrolled: 1-line block ×13, first 2 shown]
	v_and_b32_e32 v33, 7, v0
	v_lshlrev_b32_e32 v34, 4, v66
	s_delay_alu instid0(VALU_DEP_2) | instskip(NEXT) | instid1(VALU_DEP_2)
	v_lshlrev_b32_e32 v72, 6, v33
	v_lshl_or_b32 v41, v65, 8, v34
	ds_load_b128 v[33:36], v72
	ds_load_b128 v[37:40], v72 offset:1024
	ds_load_b128 v[108:111], v72 offset:2048
	;; [unrolled: 1-line block ×3, first 2 shown]
	s_load_b32 s4, s[2:3], 0x0
	s_add_u32 s2, s13, s6
	s_addc_u32 s3, s16, s7
	ds_load_b128 v[116:119], v72 offset:4096
	ds_load_b128 v[120:123], v72 offset:5120
	s_load_b32 s2, s[2:3], 0x0
	s_add_u32 s6, s10, s15
	s_addc_u32 s7, s11, s19
	v_add_co_u32 v68, s6, s6, v41
	s_delay_alu instid0(VALU_DEP_1) | instskip(SKIP_1) | instid1(VALU_DEP_1)
	v_add_co_ci_u32_e64 v69, null, s7, 0, s6
	s_waitcnt lgkmcnt(0)
	v_mad_i64_i32 v[41:42], null, s28, s5, v[68:69]
	v_mad_i64_i32 v[70:71], null, s8, s5, v[68:69]
	;; [unrolled: 1-line block ×7, first 2 shown]
	s_clause 0x3
	global_load_b128 v[49:52], v[41:42], off
	global_load_b128 v[53:56], v[41:42], off offset:16
	global_load_b128 v[41:44], v[45:46], off
	global_load_b128 v[45:48], v[45:46], off offset:16
	s_waitcnt vmcnt(18)
	v_wmma_f32_16x16x16_bf16 v[124:131], v[1:8], v[33:40], v[100:107]
	s_waitcnt vmcnt(16)
	v_wmma_f32_16x16x16_bf16 v[100:107], v[9:16], v[33:40], v[100:107]
	s_clause 0x1
	global_load_b128 v[33:36], v[70:71], off
	global_load_b128 v[37:40], v[70:71], off offset:16
	v_mad_i64_i32 v[70:71], null, s2, s5, v[68:69]
	s_waitcnt vmcnt(16)
	v_wmma_f32_16x16x16_bf16 v[124:131], v[17:24], v[108:115], v[124:131]
	s_waitcnt vmcnt(14)
	v_wmma_f32_16x16x16_bf16 v[100:107], v[25:32], v[108:115], v[100:107]
	s_clause 0x7
	global_load_b128 v[25:28], v[132:133], off
	global_load_b128 v[29:32], v[132:133], off offset:16
	global_load_b128 v[1:4], v[134:135], off
	global_load_b128 v[5:8], v[134:135], off offset:16
	;; [unrolled: 2-line block ×4, first 2 shown]
	s_waitcnt vmcnt(20)
	v_wmma_f32_16x16x16_bf16 v[124:131], v[57:64], v[116:123], v[124:131]
	s_clause 0x1
	global_load_b128 v[57:60], v[70:71], off
	global_load_b128 v[61:64], v[70:71], off offset:16
	s_waitcnt vmcnt(20)
	v_wmma_f32_16x16x16_bf16 v[100:107], v[76:83], v[116:123], v[100:107]
	ds_load_b128 v[76:79], v72 offset:6144
	ds_load_b128 v[80:83], v72 offset:7168
	v_and_b32_e32 v68, 0xe0, v0
	v_mbcnt_lo_u32_b32 v69, -1, 0
	s_waitcnt vmcnt(0) lgkmcnt(0)
	s_barrier
	buffer_gl0_inv
	v_add_nc_u32_e32 v68, s12, v68
	v_xor_b32_e32 v70, 16, v69
	s_delay_alu instid0(VALU_DEP_2) | instskip(NEXT) | instid1(VALU_DEP_2)
	v_or_b32_e32 v68, v68, v74
	v_cmp_gt_i32_e32 vcc_lo, 32, v70
	s_delay_alu instid0(VALU_DEP_2)
	v_or_b32_e32 v71, 4, v68
	v_or_b32_e32 v72, 6, v68
	v_cmp_gt_i32_e64 s2, s17, v68
	v_or_b32_e32 v108, 8, v68
	v_wmma_f32_16x16x16_bf16 v[124:131], v[84:91], v[76:83], v[124:131]
	v_cndmask_b32_e32 v69, v69, v70, vcc_lo
	v_or_b32_e32 v70, 2, v68
	v_wmma_f32_16x16x16_bf16 v[100:107], v[92:99], v[76:83], v[100:107]
	v_or_b32_e32 v109, 10, v68
	v_dual_mul_f32 v80, s18, v129 :: v_dual_mul_f32 v81, s18, v128
	v_dual_mul_f32 v92, s18, v125 :: v_dual_mul_f32 v93, s18, v124
	s_delay_alu instid0(VALU_DEP_4)
	v_mul_f32_e32 v96, s18, v105
	v_cmp_gt_i32_e32 vcc_lo, s17, v70
	v_or_b32_e32 v89, 22, v68
	v_dual_mul_f32 v79, s18, v130 :: v_dual_mul_f32 v82, s18, v127
	v_dual_mul_f32 v83, s18, v126 :: v_dual_mul_f32 v94, s18, v107
	v_cndmask_b32_e64 v93, 0xff7fffff, v93, s2
	v_cndmask_b32_e32 v92, 0xff7fffff, v92, vcc_lo
	v_cmp_gt_i32_e64 s3, s17, v71
	v_cmp_gt_i32_e64 s4, s17, v72
	v_or_b32_e32 v84, 12, v68
	v_or_b32_e32 v85, 14, v68
	v_cmp_gt_i32_e64 s5, s17, v108
	v_cndmask_b32_e64 v71, 0xff7fffff, v83, s3
	v_cndmask_b32_e64 v72, 0xff7fffff, v82, s4
	v_cmp_gt_i32_e64 s6, s17, v109
	v_cmp_gt_i32_e64 s12, s17, v89
	v_lshlrev_b32_e32 v89, 2, v69
	v_max3_f32 v82, v93, 0xff7fffff, v92
	v_or_b32_e32 v86, 16, v68
	v_or_b32_e32 v87, 18, v68
	v_mul_f32_e32 v78, s18, v131
	v_cndmask_b32_e64 v81, 0xff7fffff, v81, s5
	v_cndmask_b32_e64 v80, 0xff7fffff, v80, s6
	v_max3_f32 v71, v82, v71, v72
	v_cmp_gt_i32_e64 s7, s17, v84
	v_cmp_gt_i32_e64 s8, s17, v85
	v_or_b32_e32 v88, 20, v68
	v_or_b32_e32 v90, 24, v68
	;; [unrolled: 1-line block ×5, first 2 shown]
	v_dual_mul_f32 v97, s18, v104 :: v_dual_mul_f32 v70, s18, v101
	v_dual_mul_f32 v99, s18, v102 :: v_dual_mul_f32 v68, s18, v100
	v_cndmask_b32_e64 v72, 0xff7fffff, v79, s7
	v_cndmask_b32_e64 v78, 0xff7fffff, v78, s8
	v_max3_f32 v71, v71, v81, v80
	v_cmp_gt_i32_e64 s9, s17, v86
	v_cmp_gt_i32_e64 s10, s17, v87
	v_dual_mul_f32 v95, s18, v106 :: v_dual_mul_f32 v98, s18, v103
	s_delay_alu instid0(VALU_DEP_4) | instskip(NEXT) | instid1(VALU_DEP_4)
	v_max3_f32 v71, v71, v72, v78
	v_cndmask_b32_e64 v68, 0xff7fffff, v68, s9
	s_delay_alu instid0(VALU_DEP_4)
	v_cndmask_b32_e64 v70, 0xff7fffff, v70, s10
	v_cmp_gt_i32_e64 s11, s17, v88
	v_cndmask_b32_e64 v78, 0xff7fffff, v98, s12
	v_cmp_gt_i32_e64 s13, s17, v90
	v_cmp_gt_i32_e64 s15, s17, v91
	v_max3_f32 v68, v71, v68, v70
	v_cndmask_b32_e64 v72, 0xff7fffff, v99, s11
	v_cmp_gt_i32_e64 s16, s17, v76
	v_cndmask_b32_e64 v70, 0xff7fffff, v97, s13
	v_cndmask_b32_e64 v71, 0xff7fffff, v96, s15
	v_cmp_gt_i32_e64 s17, s17, v77
	v_max3_f32 v68, v68, v72, v78
	v_cndmask_b32_e64 v72, 0xff7fffff, v95, s16
	s_delay_alu instid0(VALU_DEP_3) | instskip(NEXT) | instid1(VALU_DEP_3)
	v_cndmask_b32_e64 v76, 0xff7fffff, v94, s17
	v_max3_f32 v68, v68, v70, v71
	s_delay_alu instid0(VALU_DEP_1) | instskip(SKIP_3) | instid1(VALU_DEP_1)
	v_max3_f32 v68, v68, v72, v76
	ds_bpermute_b32 v69, v89, v68
	s_waitcnt lgkmcnt(0)
	v_max_f32_e32 v69, v69, v69
	v_max_f32_e32 v68, v68, v69
	s_delay_alu instid0(VALU_DEP_1) | instskip(NEXT) | instid1(VALU_DEP_1)
	v_fma_f32 v71, s18, v126, -v68
	v_mul_f32_e32 v71, 0x3fb8aa3b, v71
	v_fma_f32 v70, s18, v125, -v68
	v_fma_f32 v69, s18, v124, -v68
	;; [unrolled: 1-line block ×5, first 2 shown]
	s_delay_alu instid0(VALU_DEP_4) | instskip(SKIP_1) | instid1(VALU_DEP_3)
	v_dual_mul_f32 v70, 0x3fb8aa3b, v70 :: v_dual_mul_f32 v69, 0x3fb8aa3b, v69
	v_exp_f32_e32 v71, v71
	v_mul_f32_e32 v72, 0x3fb8aa3b, v72
	v_fma_f32 v81, s18, v105, -v68
	s_delay_alu instid0(VALU_DEP_3)
	v_exp_f32_e32 v70, v70
	v_mul_f32_e32 v77, 0x3fb8aa3b, v76
	v_exp_f32_e32 v69, v69
	v_exp_f32_e32 v72, v72
	v_mul_f32_e32 v81, 0x3fb8aa3b, v81
	v_cndmask_b32_e64 v83, 0, v71, s3
	v_fma_f32 v71, s18, v131, -v68
	s_delay_alu instid0(VALU_DEP_3) | instskip(SKIP_4) | instid1(TRANS32_DEP_3)
	v_exp_f32_e32 v81, v81
	v_cndmask_b32_e32 v76, 0, v70, vcc_lo
	v_exp_f32_e32 v77, v77
	v_cndmask_b32_e64 v80, 0, v69, s2
	v_fma_f32 v69, s18, v129, -v68
	v_cndmask_b32_e64 v85, 0, v72, s4
	v_mul_f32_e32 v71, 0x3fb8aa3b, v71
	v_fma_f32 v72, s18, v100, -v68
	s_delay_alu instid0(VALU_DEP_4) | instskip(SKIP_1) | instid1(VALU_DEP_3)
	v_dual_add_f32 v70, 0, v80 :: v_dual_mul_f32 v69, 0x3fb8aa3b, v69
	s_mov_b32 s2, exec_lo
	v_exp_f32_e32 v71, v71
	s_delay_alu instid0(TRANS32_DEP_2) | instskip(SKIP_4) | instid1(VALU_DEP_3)
	v_cndmask_b32_e64 v86, 0, v77, s5
	v_fma_f32 v77, s18, v101, -v68
	v_mul_f32_e32 v78, 0x3fb8aa3b, v78
	v_add_f32_e32 v70, v70, v76
	v_exp_f32_e32 v69, v69
	v_mul_f32_e32 v77, 0x3fb8aa3b, v77
	s_delay_alu instid0(VALU_DEP_3) | instskip(NEXT) | instid1(TRANS32_DEP_3)
	v_exp_f32_e32 v78, v78
	v_cndmask_b32_e64 v88, 0, v71, s8
	v_fma_f32 v71, s18, v104, -v68
	s_delay_alu instid0(VALU_DEP_3) | instskip(NEXT) | instid1(TRANS32_DEP_3)
	v_exp_f32_e32 v77, v77
	v_cndmask_b32_e64 v87, 0, v69, s6
	s_delay_alu instid0(VALU_DEP_2)
	v_mul_f32_e32 v71, 0x3fb8aa3b, v71
	s_waitcnt_depctr 0xfff
	v_cndmask_b32_e64 v84, 0, v78, s7
	v_add_f32_e32 v70, v70, v83
	v_fma_f32 v78, s18, v103, -v68
	v_exp_f32_e32 v82, v71
	s_delay_alu instid0(VALU_DEP_2) | instskip(SKIP_1) | instid1(VALU_DEP_3)
	v_add_f32_e32 v70, v70, v85
	v_mul_f32_e32 v72, 0x3fb8aa3b, v72
	v_mul_f32_e32 v78, 0x3fb8aa3b, v78
	s_delay_alu instid0(VALU_DEP_3) | instskip(SKIP_1) | instid1(VALU_DEP_4)
	v_add_f32_e32 v69, v70, v86
	v_fma_f32 v70, s18, v102, -v68
	v_exp_f32_e32 v72, v72
	s_delay_alu instid0(VALU_DEP_3) | instskip(NEXT) | instid1(VALU_DEP_1)
	v_exp_f32_e32 v78, v78
	v_dual_add_f32 v69, v69, v87 :: v_dual_mul_f32 v70, 0x3fb8aa3b, v70
	s_delay_alu instid0(VALU_DEP_1) | instskip(NEXT) | instid1(VALU_DEP_2)
	v_add_f32_e32 v69, v69, v84
	v_exp_f32_e32 v79, v70
	s_delay_alu instid0(TRANS32_DEP_3) | instskip(NEXT) | instid1(VALU_DEP_2)
	v_cndmask_b32_e64 v70, 0, v72, s9
	v_add_f32_e32 v72, v69, v88
	v_cndmask_b32_e64 v69, 0, v77, s10
	v_fma_f32 v77, s18, v106, -v68
	s_waitcnt_depctr 0xfff
	v_cndmask_b32_e64 v71, 0, v79, s11
	v_dual_mul_f32 v77, 0x3fb8aa3b, v77 :: v_dual_add_f32 v72, v72, v70
	s_delay_alu instid0(VALU_DEP_1) | instskip(NEXT) | instid1(VALU_DEP_1)
	v_exp_f32_e32 v90, v77
	v_add_f32_e32 v79, v72, v69
	v_cndmask_b32_e64 v72, 0, v78, s12
	v_cndmask_b32_e64 v77, 0, v82, s13
	s_delay_alu instid0(VALU_DEP_3) | instskip(SKIP_1) | instid1(VALU_DEP_1)
	v_add_f32_e32 v78, v79, v71
	v_fma_f32 v79, s18, v107, -v68
	v_dual_add_f32 v82, v78, v72 :: v_dual_mul_f32 v79, 0x3fb8aa3b, v79
	v_cndmask_b32_e64 v78, 0, v81, s15
	s_delay_alu instid0(VALU_DEP_2) | instskip(NEXT) | instid1(VALU_DEP_3)
	v_add_f32_e32 v81, v82, v77
	v_exp_f32_e32 v82, v79
	v_cndmask_b32_e64 v79, 0, v90, s16
	s_delay_alu instid0(VALU_DEP_2) | instskip(NEXT) | instid1(VALU_DEP_1)
	v_add_f32_e32 v81, v81, v78
	v_add_f32_e32 v90, v81, v79
	s_waitcnt_depctr 0xfff
	v_cndmask_b32_e64 v81, 0, v82, s17
	s_delay_alu instid0(VALU_DEP_1)
	v_add_f32_e32 v82, v90, v81
	ds_bpermute_b32 v89, v89, v82
	v_cmpx_gt_u32_e32 16, v67
	s_cbranch_execz .LBB1513_12
; %bb.11:
	v_mul_u32_u24_e32 v67, 0x44, v65
	s_delay_alu instid0(VALU_DEP_1) | instskip(SKIP_1) | instid1(VALU_DEP_1)
	v_lshl_add_u32 v67, v66, 2, v67
	s_waitcnt lgkmcnt(0)
	v_dual_add_f32 v82, v82, v89 :: v_dual_add_nc_u32 v67, 0x4000, v67
	ds_store_2addr_b32 v67, v68, v82 offset1:136
.LBB1513_12:
	s_or_b32 exec_lo, exec_lo, s2
	v_lshlrev_b32_e32 v67, 2, v66
	s_waitcnt lgkmcnt(0)
	s_barrier
	buffer_gl0_inv
	v_cmp_eq_u32_e32 vcc_lo, 1, v65
	v_add_nc_u32_e32 v82, 0x4000, v67
	v_cmp_eq_u32_e64 s2, 2, v65
	v_cmp_eq_u32_e64 s4, 7, v65
	ds_load_2addr_b32 v[89:90], v82 offset1:17
	ds_load_2addr_b32 v[91:92], v82 offset0:34 offset1:51
	ds_load_2addr_b32 v[93:94], v82 offset0:68 offset1:85
	;; [unrolled: 1-line block ×4, first 2 shown]
	s_waitcnt lgkmcnt(4)
	v_max3_f32 v67, v89, 0xff7fffff, v90
	s_waitcnt lgkmcnt(3)
	s_delay_alu instid0(VALU_DEP_1) | instskip(SKIP_1) | instid1(VALU_DEP_1)
	v_max3_f32 v67, v67, v91, v92
	s_waitcnt lgkmcnt(2)
	v_max3_f32 v67, v67, v93, v94
	s_waitcnt lgkmcnt(1)
	s_delay_alu instid0(VALU_DEP_1) | instskip(NEXT) | instid1(VALU_DEP_1)
	v_max3_f32 v67, v67, v95, v96
	v_sub_f32_e32 v93, v93, v67
	s_delay_alu instid0(VALU_DEP_1) | instskip(NEXT) | instid1(VALU_DEP_1)
	v_dual_sub_f32 v68, v89, v67 :: v_dual_mul_f32 v103, 0x3fb8aa3b, v93
	v_mul_f32_e32 v68, 0x3fb8aa3b, v68
	s_delay_alu instid0(VALU_DEP_1)
	v_exp_f32_e32 v100, v68
	v_sub_f32_e32 v68, v92, v67
	v_sub_f32_e32 v99, v90, v67
	ds_load_2addr_b32 v[89:90], v82 offset0:170 offset1:187
	v_dual_mul_f32 v102, 0x3fb8aa3b, v68 :: v_dual_mul_f32 v99, 0x3fb8aa3b, v99
	s_waitcnt lgkmcnt(1)
	v_fma_f32 v68, v100, v97, 0
	s_delay_alu instid0(VALU_DEP_2) | instskip(NEXT) | instid1(VALU_DEP_2)
	v_exp_f32_e32 v102, v102
	v_exp_f32_e32 v99, v99
	s_waitcnt_depctr 0xfff
	v_fmac_f32_e32 v68, v99, v98
	v_sub_f32_e32 v91, v91, v67
	s_delay_alu instid0(VALU_DEP_1)
	v_mul_f32_e32 v101, 0x3fb8aa3b, v91
	ds_load_2addr_b32 v[91:92], v82 offset0:204 offset1:221
	v_sub_f32_e32 v97, v94, v67
	ds_load_2addr_b32 v[93:94], v82 offset0:238 offset1:255
	s_waitcnt lgkmcnt(0)
	v_exp_f32_e32 v101, v101
	s_barrier
	buffer_gl0_inv
	v_dual_fmac_f32 v68, v101, v89 :: v_dual_sub_f32 v89, v96, v67
	v_dual_sub_f32 v82, v95, v67 :: v_dual_mul_f32 v95, 0x3fb8aa3b, v97
	v_exp_f32_e32 v97, v103
	s_delay_alu instid0(VALU_DEP_2) | instskip(NEXT) | instid1(VALU_DEP_2)
	v_dual_fmac_f32 v68, v102, v90 :: v_dual_mul_f32 v89, 0x3fb8aa3b, v89
	v_mul_f32_e32 v82, 0x3fb8aa3b, v82
	s_delay_alu instid0(VALU_DEP_3) | instskip(NEXT) | instid1(VALU_DEP_2)
	v_exp_f32_e32 v95, v95
	v_exp_f32_e32 v89, v89
	s_delay_alu instid0(VALU_DEP_1)
	v_exp_f32_e32 v82, v82
	v_fmac_f32_e32 v68, v97, v91
	s_delay_alu instid0(TRANS32_DEP_3) | instid1(VALU_DEP_1)
	v_fmac_f32_e32 v68, v95, v92
	s_waitcnt_depctr 0xfff
	v_fmac_f32_e32 v68, v82, v93
	s_delay_alu instid0(VALU_DEP_1) | instskip(NEXT) | instid1(VALU_DEP_1)
	v_fmac_f32_e32 v68, v89, v94
	v_add_f32_e32 v90, 0x358637bd, v68
	s_delay_alu instid0(VALU_DEP_1) | instskip(NEXT) | instid1(VALU_DEP_1)
	v_div_scale_f32 v91, null, v90, v90, 1.0
	v_rcp_f32_e32 v92, v91
	s_waitcnt_depctr 0xfff
	v_fma_f32 v93, -v91, v92, 1.0
	s_delay_alu instid0(VALU_DEP_1) | instskip(SKIP_1) | instid1(VALU_DEP_2)
	v_dual_fmac_f32 v92, v93, v92 :: v_dual_cndmask_b32 v93, v100, v99
	v_cmp_eq_u32_e32 vcc_lo, 3, v65
	v_cndmask_b32_e64 v93, v93, v101, s2
	v_cmp_eq_u32_e64 s2, 4, v65
	s_delay_alu instid0(VALU_DEP_2) | instskip(SKIP_1) | instid1(VALU_DEP_2)
	v_cndmask_b32_e32 v93, v93, v102, vcc_lo
	v_cmp_eq_u32_e32 vcc_lo, 5, v65
	v_cndmask_b32_e64 v93, v93, v97, s2
	v_cmp_eq_u32_e64 s2, 6, v65
	s_delay_alu instid0(VALU_DEP_2) | instskip(SKIP_1) | instid1(VALU_DEP_1)
	v_cndmask_b32_e32 v93, v93, v95, vcc_lo
	v_div_scale_f32 v94, s3, 1.0, v90, 1.0
	s_mov_b32 vcc_lo, s3
	s_delay_alu instid0(VALU_DEP_2) | instskip(NEXT) | instid1(VALU_DEP_2)
	v_cndmask_b32_e64 v82, v93, v82, s2
	v_mul_f32_e32 v96, v94, v92
	s_mov_b32 s2, exec_lo
	s_delay_alu instid0(VALU_DEP_2) | instskip(NEXT) | instid1(VALU_DEP_2)
	v_cndmask_b32_e64 v82, v82, v89, s4
	v_fma_f32 v98, -v91, v96, v94
	s_delay_alu instid0(VALU_DEP_1) | instskip(NEXT) | instid1(VALU_DEP_1)
	v_fmac_f32_e32 v96, v98, v92
	v_fma_f32 v91, -v91, v96, v94
	s_delay_alu instid0(VALU_DEP_1) | instskip(NEXT) | instid1(VALU_DEP_1)
	v_div_fmas_f32 v91, v91, v92, v96
	v_div_fixup_f32 v90, v91, v90, 1.0
	s_delay_alu instid0(VALU_DEP_1) | instskip(NEXT) | instid1(VALU_DEP_1)
	v_mul_f32_e32 v82, v82, v90
	v_mul_f32_e32 v87, v82, v87
	;; [unrolled: 1-line block ×7, first 2 shown]
	v_dual_mul_f32 v86, v82, v83 :: v_dual_and_b32 v91, 0x7f800000, v90
	v_mul_f32_e32 v85, v82, v76
                                        ; implicit-def: $vgpr76
	s_delay_alu instid0(VALU_DEP_2)
	v_cmpx_ne_u32_e32 0x7f800000, v91
	s_xor_b32 s2, exec_lo, s2
; %bb.13:
	v_bfe_u32 v76, v90, 16, 1
	s_delay_alu instid0(VALU_DEP_1)
	v_add3_u32 v76, v90, v76, 0x7fff
                                        ; implicit-def: $vgpr90
; %bb.14:
	s_and_not1_saveexec_b32 s2, s2
; %bb.15:
	v_and_b32_e32 v76, 0xffff, v90
	v_or_b32_e32 v83, 0x10000, v90
	s_delay_alu instid0(VALU_DEP_2) | instskip(NEXT) | instid1(VALU_DEP_2)
	v_cmp_eq_u32_e32 vcc_lo, 0, v76
	v_cndmask_b32_e32 v76, v83, v90, vcc_lo
; %bb.16:
	s_or_b32 exec_lo, exec_lo, s2
	v_and_b32_e32 v83, 0x7f800000, v85
	s_delay_alu instid0(VALU_DEP_1) | instskip(SKIP_1) | instid1(SALU_CYCLE_1)
	v_cmp_ne_u32_e32 vcc_lo, 0x7f800000, v83
                                        ; implicit-def: $vgpr83
	s_and_saveexec_b32 s2, vcc_lo
	s_xor_b32 s2, exec_lo, s2
; %bb.17:
	v_bfe_u32 v83, v85, 16, 1
	s_delay_alu instid0(VALU_DEP_1)
	v_add3_u32 v83, v85, v83, 0x7fff
                                        ; implicit-def: $vgpr85
; %bb.18:
	s_and_not1_saveexec_b32 s2, s2
; %bb.19:
	v_and_b32_e32 v83, 0xffff, v85
	v_or_b32_e32 v90, 0x10000, v85
	s_delay_alu instid0(VALU_DEP_2) | instskip(NEXT) | instid1(VALU_DEP_2)
	v_cmp_eq_u32_e32 vcc_lo, 0, v83
	v_cndmask_b32_e32 v83, v90, v85, vcc_lo
; %bb.20:
	s_or_b32 exec_lo, exec_lo, s2
	v_and_b32_e32 v85, 0x7f800000, v86
	s_delay_alu instid0(VALU_DEP_1) | instskip(SKIP_1) | instid1(SALU_CYCLE_1)
	v_cmp_ne_u32_e32 vcc_lo, 0x7f800000, v85
                                        ; implicit-def: $vgpr85
	s_and_saveexec_b32 s2, vcc_lo
	s_xor_b32 s2, exec_lo, s2
; %bb.21:
	v_bfe_u32 v85, v86, 16, 1
	s_delay_alu instid0(VALU_DEP_1)
	v_add3_u32 v85, v86, v85, 0x7fff
                                        ; implicit-def: $vgpr86
; %bb.22:
	s_and_not1_saveexec_b32 s2, s2
; %bb.23:
	v_and_b32_e32 v85, 0xffff, v86
	v_or_b32_e32 v90, 0x10000, v86
	s_delay_alu instid0(VALU_DEP_2) | instskip(NEXT) | instid1(VALU_DEP_2)
	v_cmp_eq_u32_e32 vcc_lo, 0, v85
	v_cndmask_b32_e32 v85, v90, v86, vcc_lo
; %bb.24:
	s_or_b32 exec_lo, exec_lo, s2
	v_and_b32_e32 v86, 0x7f800000, v89
	s_delay_alu instid0(VALU_DEP_1) | instskip(SKIP_1) | instid1(SALU_CYCLE_1)
	v_cmp_ne_u32_e32 vcc_lo, 0x7f800000, v86
                                        ; implicit-def: $vgpr86
	s_and_saveexec_b32 s2, vcc_lo
	s_xor_b32 s2, exec_lo, s2
; %bb.25:
	v_bfe_u32 v86, v89, 16, 1
	s_delay_alu instid0(VALU_DEP_1)
	v_add3_u32 v86, v89, v86, 0x7fff
                                        ; implicit-def: $vgpr89
; %bb.26:
	s_and_not1_saveexec_b32 s2, s2
; %bb.27:
	v_and_b32_e32 v86, 0xffff, v89
	v_or_b32_e32 v90, 0x10000, v89
	s_delay_alu instid0(VALU_DEP_2) | instskip(NEXT) | instid1(VALU_DEP_2)
	v_cmp_eq_u32_e32 vcc_lo, 0, v86
	v_cndmask_b32_e32 v86, v90, v89, vcc_lo
; %bb.28:
	s_or_b32 exec_lo, exec_lo, s2
	v_and_b32_e32 v89, 0x7f800000, v88
	s_delay_alu instid0(VALU_DEP_1) | instskip(SKIP_1) | instid1(SALU_CYCLE_1)
	v_cmp_ne_u32_e32 vcc_lo, 0x7f800000, v89
                                        ; implicit-def: $vgpr89
	s_and_saveexec_b32 s2, vcc_lo
	s_xor_b32 s2, exec_lo, s2
; %bb.29:
	v_bfe_u32 v89, v88, 16, 1
	s_delay_alu instid0(VALU_DEP_1)
	v_add3_u32 v89, v88, v89, 0x7fff
                                        ; implicit-def: $vgpr88
; %bb.30:
	s_and_not1_saveexec_b32 s2, s2
; %bb.31:
	v_and_b32_e32 v89, 0xffff, v88
	v_or_b32_e32 v90, 0x10000, v88
	s_delay_alu instid0(VALU_DEP_2) | instskip(NEXT) | instid1(VALU_DEP_2)
	v_cmp_eq_u32_e32 vcc_lo, 0, v89
	v_cndmask_b32_e32 v89, v90, v88, vcc_lo
; %bb.32:
	s_or_b32 exec_lo, exec_lo, s2
	v_and_b32_e32 v88, 0x7f800000, v87
	s_delay_alu instid0(VALU_DEP_1) | instskip(SKIP_1) | instid1(SALU_CYCLE_1)
	v_cmp_ne_u32_e32 vcc_lo, 0x7f800000, v88
                                        ; implicit-def: $vgpr88
	s_and_saveexec_b32 s2, vcc_lo
	s_xor_b32 s2, exec_lo, s2
; %bb.33:
	v_bfe_u32 v88, v87, 16, 1
	s_delay_alu instid0(VALU_DEP_1)
	v_add3_u32 v88, v87, v88, 0x7fff
                                        ; implicit-def: $vgpr87
; %bb.34:
	s_and_not1_saveexec_b32 s2, s2
; %bb.35:
	v_and_b32_e32 v88, 0xffff, v87
	v_or_b32_e32 v90, 0x10000, v87
	s_delay_alu instid0(VALU_DEP_2) | instskip(NEXT) | instid1(VALU_DEP_2)
	v_cmp_eq_u32_e32 vcc_lo, 0, v88
	v_cndmask_b32_e32 v88, v90, v87, vcc_lo
; %bb.36:
	s_or_b32 exec_lo, exec_lo, s2
	v_and_b32_e32 v87, 0x7f800000, v84
	s_delay_alu instid0(VALU_DEP_1) | instskip(SKIP_1) | instid1(SALU_CYCLE_1)
	v_cmp_ne_u32_e32 vcc_lo, 0x7f800000, v87
                                        ; implicit-def: $vgpr87
	s_and_saveexec_b32 s2, vcc_lo
	s_xor_b32 s2, exec_lo, s2
; %bb.37:
	v_bfe_u32 v87, v84, 16, 1
	s_delay_alu instid0(VALU_DEP_1)
	v_add3_u32 v87, v84, v87, 0x7fff
                                        ; implicit-def: $vgpr84
; %bb.38:
	s_and_not1_saveexec_b32 s2, s2
; %bb.39:
	v_and_b32_e32 v87, 0xffff, v84
	v_or_b32_e32 v90, 0x10000, v84
	s_delay_alu instid0(VALU_DEP_2) | instskip(NEXT) | instid1(VALU_DEP_2)
	v_cmp_eq_u32_e32 vcc_lo, 0, v87
	v_cndmask_b32_e32 v87, v90, v84, vcc_lo
; %bb.40:
	s_or_b32 exec_lo, exec_lo, s2
	v_and_b32_e32 v84, 0x7f800000, v80
	s_delay_alu instid0(VALU_DEP_1) | instskip(SKIP_1) | instid1(SALU_CYCLE_1)
	v_cmp_ne_u32_e32 vcc_lo, 0x7f800000, v84
                                        ; implicit-def: $vgpr84
	s_and_saveexec_b32 s2, vcc_lo
	s_xor_b32 s2, exec_lo, s2
; %bb.41:
	v_bfe_u32 v84, v80, 16, 1
	s_delay_alu instid0(VALU_DEP_1)
	v_add3_u32 v84, v80, v84, 0x7fff
                                        ; implicit-def: $vgpr80
; %bb.42:
	s_and_not1_saveexec_b32 s2, s2
; %bb.43:
	v_and_b32_e32 v84, 0xffff, v80
	v_or_b32_e32 v90, 0x10000, v80
	s_delay_alu instid0(VALU_DEP_2) | instskip(NEXT) | instid1(VALU_DEP_2)
	v_cmp_eq_u32_e32 vcc_lo, 0, v84
	v_cndmask_b32_e32 v84, v90, v80, vcc_lo
; %bb.44:
	s_or_b32 exec_lo, exec_lo, s2
	s_load_b64 s[34:35], s[0:1], 0x94
	v_lshlrev_b32_e32 v91, 4, v74
	s_delay_alu instid0(VALU_DEP_2)
	v_perm_b32 v90, v84, v87, 0x7060302
	v_dual_mul_f32 v77, v82, v77 :: v_dual_lshlrev_b32 v80, 6, v66
	v_lshlrev_b32_e32 v66, 11, v65
	v_perm_b32 v87, v83, v76, 0x7060302
	v_mul_f32_e32 v83, v82, v70
	v_perm_b32 v89, v88, v89, 0x7060302
	v_perm_b32 v88, v86, v85, 0x7060302
	v_or3_b32 v76, v91, v66, v80
	v_mul_f32_e32 v66, v82, v81
	v_mul_f32_e32 v70, v82, v79
	v_mul_f32_e32 v78, v82, v78
	v_dual_mul_f32 v81, v82, v72 :: v_dual_and_b32 v84, 0x7f800000, v83
	v_mul_f32_e32 v79, v82, v71
	v_mul_f32_e32 v72, v82, v69
	s_mov_b32 s2, exec_lo
	ds_store_b128 v76, v[87:90]
                                        ; implicit-def: $vgpr69
	v_cmpx_ne_u32_e32 0x7f800000, v84
	s_xor_b32 s2, exec_lo, s2
; %bb.45:
	v_bfe_u32 v69, v83, 16, 1
	s_delay_alu instid0(VALU_DEP_1)
	v_add3_u32 v69, v83, v69, 0x7fff
                                        ; implicit-def: $vgpr83
; %bb.46:
	s_and_not1_saveexec_b32 s2, s2
; %bb.47:
	v_and_b32_e32 v69, 0xffff, v83
	v_or_b32_e32 v71, 0x10000, v83
	s_delay_alu instid0(VALU_DEP_2) | instskip(NEXT) | instid1(VALU_DEP_2)
	v_cmp_eq_u32_e32 vcc_lo, 0, v69
	v_cndmask_b32_e32 v69, v71, v83, vcc_lo
; %bb.48:
	s_or_b32 exec_lo, exec_lo, s2
	v_and_b32_e32 v71, 0x7f800000, v72
	s_delay_alu instid0(VALU_DEP_1) | instskip(SKIP_1) | instid1(SALU_CYCLE_1)
	v_cmp_ne_u32_e32 vcc_lo, 0x7f800000, v71
                                        ; implicit-def: $vgpr71
	s_and_saveexec_b32 s2, vcc_lo
	s_xor_b32 s2, exec_lo, s2
; %bb.49:
	v_bfe_u32 v71, v72, 16, 1
	s_delay_alu instid0(VALU_DEP_1)
	v_add3_u32 v71, v72, v71, 0x7fff
                                        ; implicit-def: $vgpr72
; %bb.50:
	s_and_not1_saveexec_b32 s2, s2
; %bb.51:
	v_and_b32_e32 v71, 0xffff, v72
	v_or_b32_e32 v82, 0x10000, v72
	s_delay_alu instid0(VALU_DEP_2) | instskip(NEXT) | instid1(VALU_DEP_2)
	v_cmp_eq_u32_e32 vcc_lo, 0, v71
	v_cndmask_b32_e32 v71, v82, v72, vcc_lo
; %bb.52:
	s_or_b32 exec_lo, exec_lo, s2
	v_and_b32_e32 v72, 0x7f800000, v79
	s_delay_alu instid0(VALU_DEP_1) | instskip(SKIP_1) | instid1(SALU_CYCLE_1)
	v_cmp_ne_u32_e32 vcc_lo, 0x7f800000, v72
                                        ; implicit-def: $vgpr72
	s_and_saveexec_b32 s2, vcc_lo
	s_xor_b32 s2, exec_lo, s2
; %bb.53:
	v_bfe_u32 v72, v79, 16, 1
	s_delay_alu instid0(VALU_DEP_1)
	v_add3_u32 v72, v79, v72, 0x7fff
                                        ; implicit-def: $vgpr79
; %bb.54:
	s_and_not1_saveexec_b32 s2, s2
; %bb.55:
	v_and_b32_e32 v72, 0xffff, v79
	v_or_b32_e32 v82, 0x10000, v79
	s_delay_alu instid0(VALU_DEP_2) | instskip(NEXT) | instid1(VALU_DEP_2)
	v_cmp_eq_u32_e32 vcc_lo, 0, v72
	v_cndmask_b32_e32 v72, v82, v79, vcc_lo
; %bb.56:
	s_or_b32 exec_lo, exec_lo, s2
	v_and_b32_e32 v79, 0x7f800000, v81
	s_delay_alu instid0(VALU_DEP_1) | instskip(SKIP_1) | instid1(SALU_CYCLE_1)
	v_cmp_ne_u32_e32 vcc_lo, 0x7f800000, v79
                                        ; implicit-def: $vgpr79
	s_and_saveexec_b32 s2, vcc_lo
	s_xor_b32 s2, exec_lo, s2
; %bb.57:
	v_bfe_u32 v79, v81, 16, 1
	s_delay_alu instid0(VALU_DEP_1)
	v_add3_u32 v79, v81, v79, 0x7fff
                                        ; implicit-def: $vgpr81
; %bb.58:
	s_and_not1_saveexec_b32 s2, s2
; %bb.59:
	v_and_b32_e32 v79, 0xffff, v81
	v_or_b32_e32 v82, 0x10000, v81
	s_delay_alu instid0(VALU_DEP_2) | instskip(NEXT) | instid1(VALU_DEP_2)
	v_cmp_eq_u32_e32 vcc_lo, 0, v79
	v_cndmask_b32_e32 v79, v82, v81, vcc_lo
; %bb.60:
	s_or_b32 exec_lo, exec_lo, s2
	v_and_b32_e32 v81, 0x7f800000, v77
	s_delay_alu instid0(VALU_DEP_1) | instskip(SKIP_1) | instid1(SALU_CYCLE_1)
	v_cmp_ne_u32_e32 vcc_lo, 0x7f800000, v81
                                        ; implicit-def: $vgpr81
	s_and_saveexec_b32 s2, vcc_lo
	s_xor_b32 s2, exec_lo, s2
; %bb.61:
	v_bfe_u32 v81, v77, 16, 1
	s_delay_alu instid0(VALU_DEP_1)
	v_add3_u32 v81, v77, v81, 0x7fff
                                        ; implicit-def: $vgpr77
; %bb.62:
	s_and_not1_saveexec_b32 s2, s2
; %bb.63:
	v_and_b32_e32 v81, 0xffff, v77
	v_or_b32_e32 v82, 0x10000, v77
	s_delay_alu instid0(VALU_DEP_2) | instskip(NEXT) | instid1(VALU_DEP_2)
	v_cmp_eq_u32_e32 vcc_lo, 0, v81
	v_cndmask_b32_e32 v81, v82, v77, vcc_lo
; %bb.64:
	s_or_b32 exec_lo, exec_lo, s2
	v_and_b32_e32 v77, 0x7f800000, v78
	s_delay_alu instid0(VALU_DEP_1) | instskip(SKIP_1) | instid1(SALU_CYCLE_1)
	v_cmp_ne_u32_e32 vcc_lo, 0x7f800000, v77
                                        ; implicit-def: $vgpr77
	s_and_saveexec_b32 s2, vcc_lo
	s_xor_b32 s2, exec_lo, s2
; %bb.65:
	v_bfe_u32 v77, v78, 16, 1
	s_delay_alu instid0(VALU_DEP_1)
	v_add3_u32 v77, v78, v77, 0x7fff
                                        ; implicit-def: $vgpr78
; %bb.66:
	s_and_not1_saveexec_b32 s2, s2
; %bb.67:
	v_and_b32_e32 v77, 0xffff, v78
	v_or_b32_e32 v82, 0x10000, v78
	s_delay_alu instid0(VALU_DEP_2) | instskip(NEXT) | instid1(VALU_DEP_2)
	v_cmp_eq_u32_e32 vcc_lo, 0, v77
	v_cndmask_b32_e32 v77, v82, v78, vcc_lo
; %bb.68:
	s_or_b32 exec_lo, exec_lo, s2
	v_and_b32_e32 v78, 0x7f800000, v70
	s_delay_alu instid0(VALU_DEP_1) | instskip(SKIP_1) | instid1(SALU_CYCLE_1)
	v_cmp_ne_u32_e32 vcc_lo, 0x7f800000, v78
                                        ; implicit-def: $vgpr78
	s_and_saveexec_b32 s2, vcc_lo
	s_xor_b32 s2, exec_lo, s2
; %bb.69:
	v_bfe_u32 v78, v70, 16, 1
	s_delay_alu instid0(VALU_DEP_1)
	v_add3_u32 v78, v70, v78, 0x7fff
                                        ; implicit-def: $vgpr70
; %bb.70:
	s_and_not1_saveexec_b32 s2, s2
; %bb.71:
	v_and_b32_e32 v78, 0xffff, v70
	v_or_b32_e32 v82, 0x10000, v70
	s_delay_alu instid0(VALU_DEP_2) | instskip(NEXT) | instid1(VALU_DEP_2)
	v_cmp_eq_u32_e32 vcc_lo, 0, v78
	v_cndmask_b32_e32 v78, v82, v70, vcc_lo
; %bb.72:
	s_or_b32 exec_lo, exec_lo, s2
	v_and_b32_e32 v70, 0x7f800000, v66
	s_delay_alu instid0(VALU_DEP_1) | instskip(SKIP_1) | instid1(SALU_CYCLE_1)
	v_cmp_ne_u32_e32 vcc_lo, 0x7f800000, v70
                                        ; implicit-def: $vgpr70
	s_and_saveexec_b32 s2, vcc_lo
	s_xor_b32 s2, exec_lo, s2
; %bb.73:
	v_bfe_u32 v70, v66, 16, 1
	s_delay_alu instid0(VALU_DEP_1)
	v_add3_u32 v70, v66, v70, 0x7fff
                                        ; implicit-def: $vgpr66
; %bb.74:
	s_and_not1_saveexec_b32 s2, s2
; %bb.75:
	v_and_b32_e32 v70, 0xffff, v66
	v_or_b32_e32 v82, 0x10000, v66
	s_delay_alu instid0(VALU_DEP_2) | instskip(NEXT) | instid1(VALU_DEP_2)
	v_cmp_eq_u32_e32 vcc_lo, 0, v70
	v_cndmask_b32_e32 v70, v82, v66, vcc_lo
; %bb.76:
	s_or_b32 exec_lo, exec_lo, s2
	s_delay_alu instid0(VALU_DEP_1)
	v_perm_b32 v86, v70, v78, 0x7060302
	v_perm_b32 v85, v77, v81, 0x7060302
	;; [unrolled: 1-line block ×4, first 2 shown]
	v_lshl_or_b32 v82, v65, 11, v80
	ds_store_b128 v76, v[83:86] offset:1024
	s_waitcnt lgkmcnt(0)
	s_barrier
	buffer_gl0_inv
	ds_load_b128 v[69:72], v82
	ds_load_b128 v[83:86], v82 offset:16
	s_waitcnt lgkmcnt(1)
	v_lshrrev_b32_e32 v65, 16, v69
	v_lshlrev_b32_e32 v78, 2, v74
	s_waitcnt lgkmcnt(0)
	v_lshrrev_b32_e32 v91, 16, v83
	v_lshrrev_b32_e32 v66, 16, v70
	;; [unrolled: 1-line block ×4, first 2 shown]
	v_cmp_eq_u32_e32 vcc_lo, 1, v78
	v_lshrrev_b32_e32 v98, 16, v85
	v_lshrrev_b32_e32 v96, 16, v72
	;; [unrolled: 1-line block ×3, first 2 shown]
	v_cndmask_b32_e32 v81, v69, v65, vcc_lo
	v_or_b32_e32 v79, 1, v78
	v_cmp_eq_u32_e64 s3, 2, v78
	v_cndmask_b32_e32 v87, v83, v91, vcc_lo
	v_cmp_eq_u32_e64 s6, 3, v78
	v_cmp_eq_u32_e64 s8, 4, v78
	;; [unrolled: 1-line block ×3, first 2 shown]
	v_cndmask_b32_e64 v81, v81, v70, s3
	v_cmp_eq_u32_e64 s5, 2, v79
	v_cndmask_b32_e64 v87, v87, v84, s3
	v_cmp_eq_u32_e64 s7, 3, v79
	v_cndmask_b32_e64 v88, v69, v65, s2
	v_cndmask_b32_e64 v81, v81, v66, s6
	v_or_b32_e32 v77, 2, v78
	v_cndmask_b32_e64 v87, v87, v97, s6
	v_cndmask_b32_e64 v89, v83, v91, s2
	;; [unrolled: 1-line block ×4, first 2 shown]
	v_cmp_eq_u32_e64 s9, 5, v78
	v_cndmask_b32_e64 v87, v87, v85, s8
	v_cmp_eq_u32_e64 s10, 4, v79
	v_cndmask_b32_e64 v88, v88, v66, s7
	;; [unrolled: 2-line block ×3, first 2 shown]
	v_cndmask_b32_e64 v81, v81, v95, s9
	v_cmp_eq_u32_e64 s11, 6, v78
	v_cndmask_b32_e64 v88, v88, v71, s10
	v_cndmask_b32_e64 v87, v87, v98, s9
	v_cmp_eq_u32_e64 s12, 5, v79
	v_cndmask_b32_e64 v90, v69, v65, s4
	v_cndmask_b32_e64 v89, v89, v97, s7
	;; [unrolled: 1-line block ×3, first 2 shown]
	v_cmp_eq_u32_e64 s13, 7, v78
	v_cndmask_b32_e64 v88, v88, v95, s12
	v_cndmask_b32_e64 v87, v87, v86, s11
	v_cmp_eq_u32_e64 s15, 6, v79
	v_cmp_eq_u32_e64 s16, 2, v77
	v_cndmask_b32_e64 v89, v89, v85, s10
	v_cndmask_b32_e64 v100, v81, v96, s13
	;; [unrolled: 1-line block ×6, first 2 shown]
	v_cmp_eq_u32_e64 s17, 7, v79
	v_cmp_eq_u32_e64 s18, 3, v77
	;; [unrolled: 1-line block ×4, first 2 shown]
	v_cndmask_b32_e64 v87, v87, v84, s16
	v_cndmask_b32_e64 v102, v88, v96, s17
	;; [unrolled: 1-line block ×4, first 2 shown]
	v_or_b32_e32 v81, 3, v78
	v_cndmask_b32_e64 v93, v87, v97, s18
	v_cmp_eq_u32_e64 s23, 6, v77
	v_cndmask_b32_e64 v103, v88, v86, s15
	v_cndmask_b32_e64 v92, v89, v71, s19
	v_cmp_eq_u32_e64 s20, 1, v81
	ds_load_b128 v[87:90], v82 offset:1024
	v_cmp_eq_u32_e64 s22, 2, v81
	v_cmp_eq_u32_e64 s24, 3, v81
	v_cndmask_b32_e64 v104, v92, v95, s21
	v_cndmask_b32_e64 v65, v69, v65, s20
	;; [unrolled: 1-line block ×4, first 2 shown]
	ds_load_b128 v[91:94], v82 offset:1040
	v_cmp_eq_u32_e64 s25, 4, v81
	v_cndmask_b32_e64 v65, v65, v70, s22
	v_cmp_eq_u32_e64 s27, 5, v81
	v_cndmask_b32_e64 v70, v83, v84, s22
	;; [unrolled: 2-line block ×3, first 2 shown]
	v_cndmask_b32_e64 v65, v65, v66, s24
	v_cndmask_b32_e64 v66, v104, v72, s23
	;; [unrolled: 1-line block ×3, first 2 shown]
	v_cmp_eq_u32_e64 s26, 7, v77
	v_cndmask_b32_e64 v69, v69, v86, s23
	v_cndmask_b32_e64 v65, v65, v71, s25
	s_waitcnt lgkmcnt(1)
	v_lshrrev_b32_e32 v84, 16, v87
	v_cndmask_b32_e64 v70, v70, v85, s25
	v_cndmask_b32_e64 v83, v103, v99, s17
	v_cndmask_b32_e64 v66, v66, v96, s26
	v_cndmask_b32_e64 v65, v65, v95, s27
	v_lshrrev_b32_e32 v95, 16, v88
	v_cndmask_b32_e64 v70, v70, v98, s27
	s_waitcnt lgkmcnt(0)
	v_lshrrev_b32_e32 v85, 16, v91
	v_cndmask_b32_e64 v97, v87, v84, s2
	v_cndmask_b32_e64 v65, v65, v72, s28
	;; [unrolled: 1-line block ×4, first 2 shown]
	v_cndmask_b32_e32 v71, v87, v84, vcc_lo
	v_cndmask_b32_e32 v98, v91, v85, vcc_lo
	v_cmp_eq_u32_e32 vcc_lo, 7, v81
	v_cndmask_b32_e64 v72, v97, v88, s5
	v_lshrrev_b32_e32 v97, 16, v92
	v_lshrrev_b32_e32 v103, 16, v90
	v_dual_cndmask_b32 v65, v65, v96 :: v_dual_cndmask_b32 v70, v70, v99
	v_cndmask_b32_e64 v71, v71, v88, s3
	v_cndmask_b32_e64 v86, v98, v92, s3
	;; [unrolled: 1-line block ×3, first 2 shown]
	v_lshrrev_b32_e32 v98, 16, v89
	v_lshrrev_b32_e32 v99, 16, v93
	v_cndmask_b32_e64 v71, v71, v95, s6
	v_cndmask_b32_e64 v86, v86, v97, s6
	;; [unrolled: 1-line block ×3, first 2 shown]
	v_perm_b32 v72, v70, v65, 0x5040100
	v_perm_b32 v70, v83, v102, 0x5040100
	v_cndmask_b32_e64 v71, v71, v89, s8
	v_cndmask_b32_e64 v86, v86, v93, s8
	;; [unrolled: 1-line block ×3, first 2 shown]
	v_lshrrev_b32_e32 v83, 16, v94
	s_delay_alu instid0(VALU_DEP_4) | instskip(NEXT) | instid1(VALU_DEP_4)
	v_cndmask_b32_e64 v71, v71, v98, s9
	v_cndmask_b32_e64 v86, v86, v99, s9
	s_delay_alu instid0(VALU_DEP_4) | instskip(NEXT) | instid1(VALU_DEP_3)
	v_cndmask_b32_e64 v65, v65, v90, s15
	v_cndmask_b32_e64 v96, v71, v90, s11
	v_perm_b32 v71, v69, v66, 0x5040100
	s_delay_alu instid0(VALU_DEP_4)
	v_cndmask_b32_e64 v69, v86, v94, s11
	v_cndmask_b32_e64 v86, v87, v84, s4
	;; [unrolled: 1-line block ×34, first 2 shown]
	v_cndmask_b32_e32 v84, v84, v103, vcc_lo
	v_cndmask_b32_e32 v86, v87, v83, vcc_lo
	v_cndmask_b32_e64 v87, v88, v83, s26
	v_cndmask_b32_e64 v88, v85, v83, s17
	;; [unrolled: 1-line block ×3, first 2 shown]
	v_perm_b32 v69, v101, v100, 0x5040100
	v_perm_b32 v86, v86, v84, 0x5040100
	;; [unrolled: 1-line block ×5, first 2 shown]
	s_lshl_b32 s7, s35, 3
	s_mov_b32 s2, exec_lo
	ds_store_b128 v76, v[69:72]
	ds_store_b128 v76, v[83:86] offset:1024
	v_cmpx_gt_u32_e32 8, v0
	s_cbranch_execz .LBB1513_78
; %bb.77:
	v_or_b32_e32 v65, s29, v0
	s_load_b128 s[8:11], s[0:1], 0x58
	s_delay_alu instid0(VALU_DEP_1) | instskip(NEXT) | instid1(VALU_DEP_1)
	v_mad_u64_u32 v[69:70], null, s7, s30, v[65:66]
	v_mad_u64_u32 v[65:66], null, v69, s34, s[14:15]
	s_delay_alu instid0(VALU_DEP_1) | instskip(NEXT) | instid1(VALU_DEP_1)
	v_ashrrev_i32_e32 v66, 31, v65
	v_lshlrev_b64 v[65:66], 2, v[65:66]
	s_waitcnt lgkmcnt(0)
	s_delay_alu instid0(VALU_DEP_1) | instskip(NEXT) | instid1(VALU_DEP_2)
	v_add_co_u32 v69, vcc_lo, s10, v65
	v_add_co_ci_u32_e32 v70, vcc_lo, s11, v66, vcc_lo
	v_add_co_u32 v65, vcc_lo, s8, v65
	v_add_co_ci_u32_e32 v66, vcc_lo, s9, v66, vcc_lo
	global_store_b32 v[69:70], v67, off
	global_store_b32 v[65:66], v68, off
.LBB1513_78:
	s_or_b32 exec_lo, exec_lo, s2
	s_waitcnt lgkmcnt(0)
	s_waitcnt_vscnt null, 0x0
	s_barrier
	buffer_gl0_inv
	ds_load_b128 v[83:86], v80
	ds_load_b128 v[87:90], v80 offset:16
	ds_load_b128 v[95:98], v80 offset:2064
	;; [unrolled: 1-line block ×3, first 2 shown]
	v_mov_b32_e32 v65, 0
	ds_load_b128 v[103:106], v80 offset:4112
	ds_load_b128 v[99:102], v80 offset:4096
	;; [unrolled: 1-line block ×4, first 2 shown]
	v_mov_b32_e32 v66, v65
	v_mov_b32_e32 v67, v65
	;; [unrolled: 1-line block ×7, first 2 shown]
	s_waitcnt lgkmcnt(6)
	s_delay_alu instid0(VALU_DEP_1)
	v_wmma_f32_16x16x16_bf16 v[65:72], v[49:56], v[83:90], v[65:72]
	ds_load_b128 v[53:56], v80 offset:8208
	ds_load_b128 v[49:52], v80 offset:8192
	s_waitcnt lgkmcnt(6)
	v_wmma_f32_16x16x16_bf16 v[65:72], v[41:48], v[91:98], v[65:72]
	ds_load_b128 v[45:48], v80 offset:10256
	ds_load_b128 v[41:44], v80 offset:10240
	s_waitcnt lgkmcnt(6)
	v_wmma_f32_16x16x16_bf16 v[65:72], v[33:40], v[99:106], v[65:72]
	ds_load_b128 v[37:40], v80 offset:12304
	ds_load_b128 v[33:36], v80 offset:12288
	s_waitcnt lgkmcnt(6)
	v_wmma_f32_16x16x16_bf16 v[65:72], v[25:32], v[107:114], v[65:72]
	ds_load_b128 v[29:32], v80 offset:14352
	ds_load_b128 v[25:28], v80 offset:14336
	s_waitcnt lgkmcnt(6)
	v_wmma_f32_16x16x16_bf16 v[65:72], v[1:8], v[49:56], v[65:72]
	s_waitcnt lgkmcnt(4)
	s_delay_alu instid0(VALU_DEP_1) | instskip(SKIP_1) | instid1(VALU_DEP_1)
	v_wmma_f32_16x16x16_bf16 v[65:72], v[9:16], v[41:48], v[65:72]
	s_waitcnt lgkmcnt(2)
	v_wmma_f32_16x16x16_bf16 v[65:72], v[17:24], v[33:40], v[65:72]
	s_waitcnt lgkmcnt(0)
	s_delay_alu instid0(VALU_DEP_1) | instskip(NEXT) | instid1(VALU_DEP_1)
	v_wmma_f32_16x16x16_bf16 v[65:72], v[57:64], v[25:32], v[65:72]
	v_and_b32_e32 v1, 0x7f800000, v65
	s_delay_alu instid0(VALU_DEP_1) | instskip(SKIP_1) | instid1(SALU_CYCLE_1)
	v_cmp_ne_u32_e32 vcc_lo, 0x7f800000, v1
                                        ; implicit-def: $vgpr1
	s_and_saveexec_b32 s2, vcc_lo
	s_xor_b32 s2, exec_lo, s2
; %bb.79:
	v_bfe_u32 v1, v65, 16, 1
	s_delay_alu instid0(VALU_DEP_1)
	v_add3_u32 v1, v65, v1, 0x7fff
; %bb.80:
	s_and_not1_saveexec_b32 s2, s2
; %bb.81:
	v_and_b32_e32 v1, 0xffff, v65
	v_or_b32_e32 v2, 0x10000, v65
	s_delay_alu instid0(VALU_DEP_2) | instskip(NEXT) | instid1(VALU_DEP_2)
	v_cmp_eq_u32_e32 vcc_lo, 0, v1
	v_cndmask_b32_e32 v1, v2, v65, vcc_lo
; %bb.82:
	s_or_b32 exec_lo, exec_lo, s2
	v_and_b32_e32 v2, 0x7f800000, v66
	s_delay_alu instid0(VALU_DEP_1) | instskip(SKIP_1) | instid1(SALU_CYCLE_1)
	v_cmp_ne_u32_e32 vcc_lo, 0x7f800000, v2
                                        ; implicit-def: $vgpr2
	s_and_saveexec_b32 s2, vcc_lo
	s_xor_b32 s2, exec_lo, s2
; %bb.83:
	v_bfe_u32 v2, v66, 16, 1
	s_delay_alu instid0(VALU_DEP_1)
	v_add3_u32 v2, v66, v2, 0x7fff
; %bb.84:
	s_and_not1_saveexec_b32 s2, s2
; %bb.85:
	v_and_b32_e32 v2, 0xffff, v66
	v_or_b32_e32 v3, 0x10000, v66
	s_delay_alu instid0(VALU_DEP_2) | instskip(NEXT) | instid1(VALU_DEP_2)
	v_cmp_eq_u32_e32 vcc_lo, 0, v2
	v_cndmask_b32_e32 v2, v3, v66, vcc_lo
; %bb.86:
	s_or_b32 exec_lo, exec_lo, s2
	v_and_b32_e32 v3, 0x7f800000, v67
	s_delay_alu instid0(VALU_DEP_1) | instskip(SKIP_1) | instid1(SALU_CYCLE_1)
	v_cmp_ne_u32_e32 vcc_lo, 0x7f800000, v3
                                        ; implicit-def: $vgpr3
	s_and_saveexec_b32 s2, vcc_lo
	s_xor_b32 s2, exec_lo, s2
; %bb.87:
	v_bfe_u32 v3, v67, 16, 1
	s_delay_alu instid0(VALU_DEP_1)
	v_add3_u32 v3, v67, v3, 0x7fff
; %bb.88:
	s_and_not1_saveexec_b32 s2, s2
; %bb.89:
	v_and_b32_e32 v3, 0xffff, v67
	v_or_b32_e32 v4, 0x10000, v67
	s_delay_alu instid0(VALU_DEP_2) | instskip(NEXT) | instid1(VALU_DEP_2)
	v_cmp_eq_u32_e32 vcc_lo, 0, v3
	v_cndmask_b32_e32 v3, v4, v67, vcc_lo
; %bb.90:
	s_or_b32 exec_lo, exec_lo, s2
	v_and_b32_e32 v4, 0x7f800000, v68
	s_delay_alu instid0(VALU_DEP_1) | instskip(SKIP_1) | instid1(SALU_CYCLE_1)
	v_cmp_ne_u32_e32 vcc_lo, 0x7f800000, v4
                                        ; implicit-def: $vgpr4
	s_and_saveexec_b32 s2, vcc_lo
	s_xor_b32 s2, exec_lo, s2
; %bb.91:
	v_bfe_u32 v4, v68, 16, 1
	s_delay_alu instid0(VALU_DEP_1)
	v_add3_u32 v4, v68, v4, 0x7fff
; %bb.92:
	s_and_not1_saveexec_b32 s2, s2
; %bb.93:
	v_and_b32_e32 v4, 0xffff, v68
	v_or_b32_e32 v5, 0x10000, v68
	s_delay_alu instid0(VALU_DEP_2) | instskip(NEXT) | instid1(VALU_DEP_2)
	v_cmp_eq_u32_e32 vcc_lo, 0, v4
	v_cndmask_b32_e32 v4, v5, v68, vcc_lo
; %bb.94:
	s_or_b32 exec_lo, exec_lo, s2
	v_and_b32_e32 v5, 0x7f800000, v69
	s_delay_alu instid0(VALU_DEP_1) | instskip(SKIP_1) | instid1(SALU_CYCLE_1)
	v_cmp_ne_u32_e32 vcc_lo, 0x7f800000, v5
                                        ; implicit-def: $vgpr5
	s_and_saveexec_b32 s2, vcc_lo
	s_xor_b32 s2, exec_lo, s2
; %bb.95:
	v_bfe_u32 v5, v69, 16, 1
	s_delay_alu instid0(VALU_DEP_1)
	v_add3_u32 v5, v69, v5, 0x7fff
; %bb.96:
	s_and_not1_saveexec_b32 s2, s2
; %bb.97:
	v_and_b32_e32 v5, 0xffff, v69
	v_or_b32_e32 v6, 0x10000, v69
	s_delay_alu instid0(VALU_DEP_2) | instskip(NEXT) | instid1(VALU_DEP_2)
	v_cmp_eq_u32_e32 vcc_lo, 0, v5
	v_cndmask_b32_e32 v5, v6, v69, vcc_lo
; %bb.98:
	s_or_b32 exec_lo, exec_lo, s2
	v_and_b32_e32 v6, 0x7f800000, v70
	s_delay_alu instid0(VALU_DEP_1) | instskip(SKIP_1) | instid1(SALU_CYCLE_1)
	v_cmp_ne_u32_e32 vcc_lo, 0x7f800000, v6
                                        ; implicit-def: $vgpr6
	s_and_saveexec_b32 s2, vcc_lo
	s_xor_b32 s2, exec_lo, s2
; %bb.99:
	v_bfe_u32 v6, v70, 16, 1
	s_delay_alu instid0(VALU_DEP_1)
	v_add3_u32 v6, v70, v6, 0x7fff
; %bb.100:
	s_and_not1_saveexec_b32 s2, s2
; %bb.101:
	v_and_b32_e32 v6, 0xffff, v70
	v_or_b32_e32 v7, 0x10000, v70
	s_delay_alu instid0(VALU_DEP_2) | instskip(NEXT) | instid1(VALU_DEP_2)
	v_cmp_eq_u32_e32 vcc_lo, 0, v6
	v_cndmask_b32_e32 v6, v7, v70, vcc_lo
; %bb.102:
	s_or_b32 exec_lo, exec_lo, s2
	v_and_b32_e32 v7, 0x7f800000, v71
	s_delay_alu instid0(VALU_DEP_1) | instskip(SKIP_1) | instid1(SALU_CYCLE_1)
	v_cmp_ne_u32_e32 vcc_lo, 0x7f800000, v7
                                        ; implicit-def: $vgpr7
	s_and_saveexec_b32 s2, vcc_lo
	s_xor_b32 s2, exec_lo, s2
; %bb.103:
	v_bfe_u32 v7, v71, 16, 1
	s_delay_alu instid0(VALU_DEP_1)
	v_add3_u32 v7, v71, v7, 0x7fff
; %bb.104:
	s_and_not1_saveexec_b32 s2, s2
; %bb.105:
	v_and_b32_e32 v7, 0xffff, v71
	v_or_b32_e32 v8, 0x10000, v71
	s_delay_alu instid0(VALU_DEP_2) | instskip(NEXT) | instid1(VALU_DEP_2)
	v_cmp_eq_u32_e32 vcc_lo, 0, v7
	v_cndmask_b32_e32 v7, v8, v71, vcc_lo
; %bb.106:
	s_or_b32 exec_lo, exec_lo, s2
	v_and_b32_e32 v8, 0x7f800000, v72
	s_delay_alu instid0(VALU_DEP_1) | instskip(SKIP_1) | instid1(SALU_CYCLE_1)
	v_cmp_ne_u32_e32 vcc_lo, 0x7f800000, v8
                                        ; implicit-def: $vgpr8
	s_and_saveexec_b32 s2, vcc_lo
	s_xor_b32 s2, exec_lo, s2
; %bb.107:
	v_bfe_u32 v8, v72, 16, 1
	s_delay_alu instid0(VALU_DEP_1)
	v_add3_u32 v8, v72, v8, 0x7fff
                                        ; implicit-def: $vgpr65_vgpr66_vgpr67_vgpr68_vgpr69_vgpr70_vgpr71_vgpr72
; %bb.108:
	s_and_not1_saveexec_b32 s2, s2
; %bb.109:
	v_and_b32_e32 v8, 0xffff, v72
	v_or_b32_e32 v9, 0x10000, v72
	s_delay_alu instid0(VALU_DEP_2) | instskip(NEXT) | instid1(VALU_DEP_2)
	v_cmp_eq_u32_e32 vcc_lo, 0, v8
	v_cndmask_b32_e32 v8, v9, v72, vcc_lo
; %bb.110:
	s_or_b32 exec_lo, exec_lo, s2
	s_delay_alu instid0(VALU_DEP_1)
	v_perm_b32 v7, v8, v7, 0x7060302
	v_perm_b32 v6, v6, v5, 0x7060302
	;; [unrolled: 1-line block ×4, first 2 shown]
	s_barrier
	buffer_gl0_inv
	v_cmp_eq_u32_e32 vcc_lo, 1, v78
	ds_store_b128 v76, v[4:7]
	s_waitcnt lgkmcnt(0)
	s_barrier
	buffer_gl0_inv
	ds_load_b128 v[1:4], v82
	ds_load_b128 v[5:8], v82 offset:16
	v_cmp_eq_u32_e64 s2, 1, v79
	v_cmp_eq_u32_e64 s3, 2, v78
	;; [unrolled: 1-line block ×5, first 2 shown]
	s_waitcnt lgkmcnt(1)
	v_lshrrev_b32_e32 v9, 16, v1
	s_waitcnt lgkmcnt(0)
	v_lshrrev_b32_e32 v13, 16, v5
	v_lshrrev_b32_e32 v10, 16, v2
	;; [unrolled: 1-line block ×4, first 2 shown]
	v_cndmask_b32_e64 v19, v1, v9, s2
	v_cndmask_b32_e32 v18, v5, v13, vcc_lo
	v_cndmask_b32_e64 v20, v5, v13, s2
	v_cndmask_b32_e32 v17, v1, v9, vcc_lo
	v_cmp_eq_u32_e32 vcc_lo, 2, v79
	v_lshrrev_b32_e32 v15, 16, v7
	v_cmp_eq_u32_e64 s2, 1, v77
	v_lshrrev_b32_e32 v12, 16, v4
	v_lshrrev_b32_e32 v16, 16, v8
	v_cndmask_b32_e32 v20, v20, v6, vcc_lo
	v_cndmask_b32_e64 v17, v17, v2, s3
	v_cndmask_b32_e32 v19, v19, v2, vcc_lo
	v_cndmask_b32_e64 v18, v18, v6, s3
	v_cmp_eq_u32_e32 vcc_lo, 4, v78
	v_cmp_eq_u32_e64 s3, 3, v79
	v_cndmask_b32_e64 v17, v17, v10, s4
	v_cndmask_b32_e64 v21, v1, v9, s2
	;; [unrolled: 1-line block ×5, first 2 shown]
	v_cndmask_b32_e32 v17, v17, v3, vcc_lo
	v_cndmask_b32_e64 v20, v20, v14, s3
	v_cndmask_b32_e32 v18, v18, v7, vcc_lo
	v_cmp_eq_u32_e32 vcc_lo, 4, v79
	v_cmp_eq_u32_e64 s3, 5, v79
	v_cmp_eq_u32_e64 s2, 2, v81
	v_cndmask_b32_e64 v21, v21, v2, s6
	v_cmp_eq_u32_e64 s4, 5, v78
	v_cndmask_b32_e32 v19, v19, v3, vcc_lo
	v_cndmask_b32_e32 v20, v20, v7, vcc_lo
	v_cmp_eq_u32_e32 vcc_lo, 6, v79
	s_delay_alu instid0(VALU_DEP_4) | instskip(NEXT) | instid1(VALU_DEP_4)
	v_cndmask_b32_e64 v17, v17, v11, s4
	v_cndmask_b32_e64 v19, v19, v11, s3
	s_delay_alu instid0(VALU_DEP_4) | instskip(SKIP_1) | instid1(VALU_DEP_3)
	v_cndmask_b32_e64 v20, v20, v15, s3
	v_cmp_eq_u32_e64 s3, 1, v81
	v_cndmask_b32_e32 v19, v19, v4, vcc_lo
	v_cndmask_b32_e64 v18, v18, v15, s4
	s_delay_alu instid0(VALU_DEP_3)
	v_cndmask_b32_e64 v1, v1, v9, s3
	v_cndmask_b32_e64 v5, v5, v13, s3
	v_cmp_eq_u32_e64 s3, 3, v77
	v_cndmask_b32_e64 v13, v22, v6, s6
	v_cmp_eq_u32_e64 s6, 3, v81
	v_cndmask_b32_e64 v1, v1, v2, s2
	v_cndmask_b32_e64 v2, v5, v6, s2
	v_cndmask_b32_e64 v9, v21, v10, s3
	v_cmp_eq_u32_e64 s2, 4, v77
	v_cndmask_b32_e64 v6, v13, v14, s3
	v_cndmask_b32_e64 v1, v1, v10, s6
	v_cmp_eq_u32_e64 s3, 4, v81
	v_cndmask_b32_e64 v2, v2, v14, s6
	v_cndmask_b32_e64 v5, v9, v3, s2
	;; [unrolled: 3-line block ×3, first 2 shown]
	v_cndmask_b32_e64 v2, v2, v7, s3
	v_cmp_eq_u32_e64 s2, 5, v81
	v_cmp_eq_u32_e64 s4, 6, v78
	v_cndmask_b32_e64 v5, v5, v11, s6
	v_cmp_eq_u32_e64 s3, 6, v77
	v_cndmask_b32_e64 v3, v6, v15, s6
	v_cndmask_b32_e64 v1, v1, v11, s2
	v_cmp_eq_u32_e64 s6, 6, v81
	v_cndmask_b32_e64 v2, v2, v15, s2
	v_cndmask_b32_e64 v17, v17, v4, s4
	v_cndmask_b32_e64 v18, v18, v8, s4
	v_cmp_eq_u32_e64 s4, 7, v78
	v_cndmask_b32_e64 v5, v5, v4, s3
	;; [unrolled: 4-line block ×3, first 2 shown]
	v_cmp_eq_u32_e64 s3, 7, v77
	v_cndmask_b32_e32 v4, v20, v8, vcc_lo
	v_cndmask_b32_e64 v17, v17, v12, s4
	v_cndmask_b32_e64 v19, v19, v12, s5
	;; [unrolled: 1-line block ×8, first 2 shown]
	s_mov_b32 s2, exec_lo
	v_perm_b32 v4, v2, v1, 0x5040100
	v_perm_b32 v3, v3, v5, 0x5040100
	;; [unrolled: 1-line block ×4, first 2 shown]
	ds_store_b128 v76, v[1:4]
	s_waitcnt lgkmcnt(0)
	s_barrier
	buffer_gl0_inv
	v_cmpx_gt_u32_e32 32, v0
	s_cbranch_execz .LBB1513_2
; %bb.111:
	s_load_b64 s[0:1], s[0:1], 0x68
	s_lshl_b32 s4, s34, 7
	v_or_b32_e32 v2, s29, v74
	s_mul_i32 s2, s4, s30
	v_lshlrev_b32_e32 v1, 10, v0
	s_mul_i32 s2, s2, s7
	v_lshlrev_b32_e32 v3, 4, v75
	v_mul_lo_u32 v0, v2, s4
	s_ashr_i32 s3, s2, 31
	v_lshlrev_b32_e32 v4, 6, v74
	v_and_b32_e32 v1, 0x3800, v1
	v_or_b32_e32 v5, 2, v2
	s_lshl_b64 s[2:3], s[2:3], 1
	v_or_b32_e32 v6, 4, v2
	v_or_b32_e32 v7, 6, v2
	v_or3_b32 v12, v1, v3, v4
	v_ashrrev_i32_e32 v1, 31, v0
	v_mul_lo_u32 v2, v5, s4
	v_mul_lo_u32 v16, v6, s4
	;; [unrolled: 1-line block ×3, first 2 shown]
	s_waitcnt lgkmcnt(0)
	s_add_u32 s2, s0, s2
	s_addc_u32 s3, s1, s3
	s_lshl_b32 s0, s14, 7
	v_lshlrev_b64 v[0:1], 1, v[0:1]
	s_ashr_i32 s1, s0, 31
	v_ashrrev_i32_e32 v3, 31, v2
	s_lshl_b64 s[0:1], s[0:1], 1
	v_ashrrev_i32_e32 v17, 31, v16
	s_add_u32 s0, s2, s0
	s_addc_u32 s1, s3, s1
	v_add_co_u32 v24, s0, s0, v73
	s_delay_alu instid0(VALU_DEP_1) | instskip(SKIP_1) | instid1(VALU_DEP_3)
	v_add_co_ci_u32_e64 v25, null, s1, 0, s0
	v_lshlrev_b64 v[22:23], 1, v[2:3]
	v_add_co_u32 v18, vcc_lo, v24, v0
	s_delay_alu instid0(VALU_DEP_3)
	v_add_co_ci_u32_e32 v19, vcc_lo, v25, v1, vcc_lo
	ds_load_b128 v[0:3], v12
	ds_load_b128 v[4:7], v12 offset:128
	ds_load_b128 v[8:11], v12 offset:256
	;; [unrolled: 1-line block ×3, first 2 shown]
	v_ashrrev_i32_e32 v21, 31, v20
	v_lshlrev_b64 v[16:17], 1, v[16:17]
	v_add_co_u32 v22, vcc_lo, v24, v22
	v_add_co_ci_u32_e32 v23, vcc_lo, v25, v23, vcc_lo
	s_delay_alu instid0(VALU_DEP_4) | instskip(NEXT) | instid1(VALU_DEP_4)
	v_lshlrev_b64 v[20:21], 1, v[20:21]
	v_add_co_u32 v16, vcc_lo, v24, v16
	v_add_co_ci_u32_e32 v17, vcc_lo, v25, v17, vcc_lo
	s_delay_alu instid0(VALU_DEP_3) | instskip(NEXT) | instid1(VALU_DEP_4)
	v_add_co_u32 v20, vcc_lo, v24, v20
	v_add_co_ci_u32_e32 v21, vcc_lo, v25, v21, vcc_lo
	s_waitcnt lgkmcnt(3)
	global_store_b128 v[18:19], v[0:3], off
	s_waitcnt lgkmcnt(2)
	global_store_b128 v[22:23], v[4:7], off
	;; [unrolled: 2-line block ×4, first 2 shown]
	s_nop 0
	s_sendmsg sendmsg(MSG_DEALLOC_VGPRS)
	s_endpgm
	.section	.rodata,"a",@progbits
	.p2align	6, 0x0
	.amdhsa_kernel _Z39paged_attention_ll4mi_QKV_mfma16_kernelI14__hip_bfloat16hLN4vllm18Fp8KVCacheDataTypeE1EhLi16ELi128ELi256ELb1ELi8EL8MFMAType1EEvPKT_PKT0_S9_ifPKiSB_SB_iPKfiiiPfSE_PS4_PT2_iSD_SD_
		.amdhsa_group_segment_fixed_size 17472
		.amdhsa_private_segment_fixed_size 0
		.amdhsa_kernarg_size 400
		.amdhsa_user_sgpr_count 13
		.amdhsa_user_sgpr_dispatch_ptr 0
		.amdhsa_user_sgpr_queue_ptr 0
		.amdhsa_user_sgpr_kernarg_segment_ptr 1
		.amdhsa_user_sgpr_dispatch_id 0
		.amdhsa_user_sgpr_private_segment_size 0
		.amdhsa_wavefront_size32 1
		.amdhsa_uses_dynamic_stack 0
		.amdhsa_enable_private_segment 0
		.amdhsa_system_sgpr_workgroup_id_x 1
		.amdhsa_system_sgpr_workgroup_id_y 1
		.amdhsa_system_sgpr_workgroup_id_z 1
		.amdhsa_system_sgpr_workgroup_info 0
		.amdhsa_system_vgpr_workitem_id 0
		.amdhsa_next_free_vgpr 140
		.amdhsa_next_free_sgpr 36
		.amdhsa_reserve_vcc 1
		.amdhsa_float_round_mode_32 0
		.amdhsa_float_round_mode_16_64 0
		.amdhsa_float_denorm_mode_32 3
		.amdhsa_float_denorm_mode_16_64 3
		.amdhsa_dx10_clamp 1
		.amdhsa_ieee_mode 1
		.amdhsa_fp16_overflow 0
		.amdhsa_workgroup_processor_mode 1
		.amdhsa_memory_ordered 1
		.amdhsa_forward_progress 0
		.amdhsa_shared_vgpr_count 0
		.amdhsa_exception_fp_ieee_invalid_op 0
		.amdhsa_exception_fp_denorm_src 0
		.amdhsa_exception_fp_ieee_div_zero 0
		.amdhsa_exception_fp_ieee_overflow 0
		.amdhsa_exception_fp_ieee_underflow 0
		.amdhsa_exception_fp_ieee_inexact 0
		.amdhsa_exception_int_div_zero 0
	.end_amdhsa_kernel
	.section	.text._Z39paged_attention_ll4mi_QKV_mfma16_kernelI14__hip_bfloat16hLN4vllm18Fp8KVCacheDataTypeE1EhLi16ELi128ELi256ELb1ELi8EL8MFMAType1EEvPKT_PKT0_S9_ifPKiSB_SB_iPKfiiiPfSE_PS4_PT2_iSD_SD_,"axG",@progbits,_Z39paged_attention_ll4mi_QKV_mfma16_kernelI14__hip_bfloat16hLN4vllm18Fp8KVCacheDataTypeE1EhLi16ELi128ELi256ELb1ELi8EL8MFMAType1EEvPKT_PKT0_S9_ifPKiSB_SB_iPKfiiiPfSE_PS4_PT2_iSD_SD_,comdat
.Lfunc_end1513:
	.size	_Z39paged_attention_ll4mi_QKV_mfma16_kernelI14__hip_bfloat16hLN4vllm18Fp8KVCacheDataTypeE1EhLi16ELi128ELi256ELb1ELi8EL8MFMAType1EEvPKT_PKT0_S9_ifPKiSB_SB_iPKfiiiPfSE_PS4_PT2_iSD_SD_, .Lfunc_end1513-_Z39paged_attention_ll4mi_QKV_mfma16_kernelI14__hip_bfloat16hLN4vllm18Fp8KVCacheDataTypeE1EhLi16ELi128ELi256ELb1ELi8EL8MFMAType1EEvPKT_PKT0_S9_ifPKiSB_SB_iPKfiiiPfSE_PS4_PT2_iSD_SD_
                                        ; -- End function
	.section	.AMDGPU.csdata,"",@progbits
; Kernel info:
; codeLenInByte = 8852
; NumSgprs: 38
; NumVgprs: 140
; ScratchSize: 0
; MemoryBound: 0
; FloatMode: 240
; IeeeMode: 1
; LDSByteSize: 17472 bytes/workgroup (compile time only)
; SGPRBlocks: 4
; VGPRBlocks: 17
; NumSGPRsForWavesPerEU: 38
; NumVGPRsForWavesPerEU: 140
; Occupancy: 10
; WaveLimiterHint : 1
; COMPUTE_PGM_RSRC2:SCRATCH_EN: 0
; COMPUTE_PGM_RSRC2:USER_SGPR: 13
; COMPUTE_PGM_RSRC2:TRAP_HANDLER: 0
; COMPUTE_PGM_RSRC2:TGID_X_EN: 1
; COMPUTE_PGM_RSRC2:TGID_Y_EN: 1
; COMPUTE_PGM_RSRC2:TGID_Z_EN: 1
; COMPUTE_PGM_RSRC2:TIDIG_COMP_CNT: 0
	.section	.text._Z39paged_attention_ll4mi_QKV_mfma16_kernelI14__hip_bfloat16hLN4vllm18Fp8KVCacheDataTypeE1EhLi16ELi128ELi256ELb1ELi9EL8MFMAType1EEvPKT_PKT0_S9_ifPKiSB_SB_iPKfiiiPfSE_PS4_PT2_iSD_SD_,"axG",@progbits,_Z39paged_attention_ll4mi_QKV_mfma16_kernelI14__hip_bfloat16hLN4vllm18Fp8KVCacheDataTypeE1EhLi16ELi128ELi256ELb1ELi9EL8MFMAType1EEvPKT_PKT0_S9_ifPKiSB_SB_iPKfiiiPfSE_PS4_PT2_iSD_SD_,comdat
	.protected	_Z39paged_attention_ll4mi_QKV_mfma16_kernelI14__hip_bfloat16hLN4vllm18Fp8KVCacheDataTypeE1EhLi16ELi128ELi256ELb1ELi9EL8MFMAType1EEvPKT_PKT0_S9_ifPKiSB_SB_iPKfiiiPfSE_PS4_PT2_iSD_SD_ ; -- Begin function _Z39paged_attention_ll4mi_QKV_mfma16_kernelI14__hip_bfloat16hLN4vllm18Fp8KVCacheDataTypeE1EhLi16ELi128ELi256ELb1ELi9EL8MFMAType1EEvPKT_PKT0_S9_ifPKiSB_SB_iPKfiiiPfSE_PS4_PT2_iSD_SD_
	.globl	_Z39paged_attention_ll4mi_QKV_mfma16_kernelI14__hip_bfloat16hLN4vllm18Fp8KVCacheDataTypeE1EhLi16ELi128ELi256ELb1ELi9EL8MFMAType1EEvPKT_PKT0_S9_ifPKiSB_SB_iPKfiiiPfSE_PS4_PT2_iSD_SD_
	.p2align	8
	.type	_Z39paged_attention_ll4mi_QKV_mfma16_kernelI14__hip_bfloat16hLN4vllm18Fp8KVCacheDataTypeE1EhLi16ELi128ELi256ELb1ELi9EL8MFMAType1EEvPKT_PKT0_S9_ifPKiSB_SB_iPKfiiiPfSE_PS4_PT2_iSD_SD_,@function
_Z39paged_attention_ll4mi_QKV_mfma16_kernelI14__hip_bfloat16hLN4vllm18Fp8KVCacheDataTypeE1EhLi16ELi128ELi256ELb1ELi9EL8MFMAType1EEvPKT_PKT0_S9_ifPKiSB_SB_iPKfiiiPfSE_PS4_PT2_iSD_SD_: ; @_Z39paged_attention_ll4mi_QKV_mfma16_kernelI14__hip_bfloat16hLN4vllm18Fp8KVCacheDataTypeE1EhLi16ELi128ELi256ELb1ELi9EL8MFMAType1EEvPKT_PKT0_S9_ifPKiSB_SB_iPKfiiiPfSE_PS4_PT2_iSD_SD_
; %bb.0:
	s_load_b64 s[4:5], s[0:1], 0x30
	s_mov_b32 s30, s13
	s_waitcnt lgkmcnt(0)
	s_cmp_lg_u64 s[4:5], 0
	s_cselect_b32 s13, -1, 0
	s_ashr_i32 s31, s30, 31
	s_cmp_eq_u64 s[4:5], 0
	s_cbranch_scc1 .LBB1514_3
; %bb.1:
	s_lshl_b64 s[2:3], s[30:31], 2
	s_delay_alu instid0(SALU_CYCLE_1) | instskip(SKIP_4) | instid1(SALU_CYCLE_1)
	s_add_u32 s2, s4, s2
	s_addc_u32 s3, s5, s3
	s_load_b64 s[2:3], s[2:3], 0x0
	s_waitcnt lgkmcnt(0)
	s_sub_i32 s2, s3, s2
	s_cmp_eq_u32 s2, 1
	s_cselect_b32 s2, -1, 0
	s_delay_alu instid0(SALU_CYCLE_1)
	s_and_not1_b32 vcc_lo, exec_lo, s2
	s_cbranch_vccz .LBB1514_4
.LBB1514_2:
	s_nop 0
	s_sendmsg sendmsg(MSG_DEALLOC_VGPRS)
	s_endpgm
.LBB1514_3:
.LBB1514_4:
	s_load_b64 s[2:3], s[0:1], 0x28
	s_lshl_b64 s[6:7], s[30:31], 2
	s_waitcnt lgkmcnt(0)
	s_add_u32 s2, s2, s6
	s_addc_u32 s3, s3, s7
	s_lshl_b32 s12, s14, 8
	s_load_b32 s17, s[2:3], 0x0
	s_waitcnt lgkmcnt(0)
	s_cmp_ge_i32 s12, s17
	s_cbranch_scc1 .LBB1514_2
; %bb.5:
	s_clause 0x1
	s_load_b128 s[8:11], s[0:1], 0x8
	s_load_b64 s[2:3], s[0:1], 0x20
	s_and_not1_b32 vcc_lo, exec_lo, s13
	s_cbranch_vccnz .LBB1514_7
; %bb.6:
	s_add_u32 s4, s4, s6
	s_addc_u32 s5, s5, s7
	s_load_b32 s13, s[4:5], 0x0
	s_branch .LBB1514_8
.LBB1514_7:
	s_mov_b32 s13, s30
.LBB1514_8:
	s_load_b128 s[4:7], s[0:1], 0x48
	v_and_b32_e32 v65, 15, v0
	v_lshrrev_b32_e32 v66, 5, v0
	v_bfe_u32 v74, v0, 4, 1
	v_and_b32_e32 v67, 31, v0
	v_and_b32_e32 v75, 1, v0
	v_lshlrev_b32_e32 v2, 3, v65
	s_mul_i32 s31, s15, 9
	v_lshl_or_b32 v1, v66, 1, v74
	s_waitcnt lgkmcnt(0)
	s_mov_b32 s7, exec_lo
	v_lshlrev_b32_e32 v73, 1, v2
	s_delay_alu instid0(VALU_DEP_2)
	v_cmpx_gt_u32_e32 9, v1
	s_cbranch_execz .LBB1514_10
; %bb.9:
	s_load_b64 s[18:19], s[0:1], 0x0
	v_add_lshl_u32 v2, v1, s31, 7
	s_mul_hi_i32 s21, s13, s4
	s_mul_i32 s20, s13, s4
	v_lshlrev_b32_e32 v6, 10, v65
	s_lshl_b64 s[20:21], s[20:21], 1
	v_ashrrev_i32_e32 v3, 31, v2
	v_lshlrev_b32_e32 v1, 6, v1
	v_lshlrev_b32_e32 v7, 10, v75
	v_and_b32_e32 v6, 0x3800, v6
	s_delay_alu instid0(VALU_DEP_4) | instskip(NEXT) | instid1(VALU_DEP_2)
	v_lshlrev_b64 v[2:3], 1, v[2:3]
	v_or3_b32 v1, v6, v7, v1
	s_waitcnt lgkmcnt(0)
	s_add_u32 s4, s18, s20
	s_addc_u32 s13, s19, s21
	s_delay_alu instid0(VALU_DEP_2) | instskip(SKIP_1) | instid1(VALU_DEP_2)
	v_add_co_u32 v2, vcc_lo, s4, v2
	v_add_co_ci_u32_e32 v3, vcc_lo, s13, v3, vcc_lo
	v_add_co_u32 v2, vcc_lo, v2, v73
	s_delay_alu instid0(VALU_DEP_2)
	v_add_co_ci_u32_e32 v3, vcc_lo, 0, v3, vcc_lo
	global_load_b128 v[2:5], v[2:3], off
	s_waitcnt vmcnt(0)
	ds_store_b128 v1, v[2:5]
.LBB1514_10:
	s_or_b32 exec_lo, exec_lo, s7
	v_and_b32_e32 v1, 0xef, v0
	s_add_i32 s4, s17, 15
	s_clause 0x1
	s_load_b32 s7, s[0:1], 0x38
	s_load_b32 s18, s[0:1], 0x1c
	s_ashr_i32 s13, s4, 31
	v_add_nc_u32_e32 v1, s12, v1
	s_lshr_b32 s13, s13, 28
	s_waitcnt lgkmcnt(0)
	s_add_i32 s4, s4, s13
	s_barrier
	v_ashrrev_i32_e32 v2, 31, v1
	v_or_b32_e32 v3, 16, v1
	s_ashr_i32 s4, s4, 4
	v_cmp_gt_i32_e32 vcc_lo, s17, v1
	s_add_i32 s4, s4, -1
	v_lshrrev_b32_e32 v2, 28, v2
	buffer_gl0_inv
	s_mul_i32 s15, s15, s6
	v_add_nc_u32_e32 v4, v1, v2
	s_mul_i32 s20, s30, s7
	s_delay_alu instid0(SALU_CYCLE_1) | instskip(NEXT) | instid1(VALU_DEP_1)
	s_ashr_i32 s21, s20, 31
	v_ashrrev_i32_e32 v4, 4, v4
	v_add_nc_u32_e32 v2, v3, v2
	s_lshl_b64 s[20:21], s[20:21], 2
	s_delay_alu instid0(SALU_CYCLE_1) | instskip(NEXT) | instid1(VALU_DEP_2)
	s_add_u32 s13, s2, s20
	v_cndmask_b32_e32 v1, s4, v4, vcc_lo
	s_delay_alu instid0(VALU_DEP_2)
	v_ashrrev_i32_e32 v2, 4, v2
	v_cmp_gt_i32_e32 vcc_lo, s17, v3
	s_addc_u32 s16, s3, s21
	s_ashr_i32 s19, s15, 31
	s_add_u32 s26, s8, s15
	s_addc_u32 s27, s9, s19
	v_cndmask_b32_e32 v3, s4, v2, vcc_lo
	v_ashrrev_i32_e32 v2, 31, v1
	s_lshl_b32 s2, s14, 4
	s_delay_alu instid0(SALU_CYCLE_1) | instskip(NEXT) | instid1(VALU_DEP_2)
	s_ashr_i32 s3, s2, 31
	v_ashrrev_i32_e32 v4, 31, v3
	s_delay_alu instid0(VALU_DEP_2) | instskip(SKIP_1) | instid1(SALU_CYCLE_1)
	v_lshlrev_b64 v[1:2], 2, v[1:2]
	s_lshl_b64 s[2:3], s[2:3], 2
	s_add_u32 s2, s13, s2
	s_delay_alu instid0(VALU_DEP_2) | instskip(SKIP_1) | instid1(VALU_DEP_2)
	v_lshlrev_b64 v[3:4], 2, v[3:4]
	s_addc_u32 s3, s16, s3
	v_add_co_u32 v1, vcc_lo, s13, v1
	v_add_co_ci_u32_e32 v2, vcc_lo, s16, v2, vcc_lo
	s_delay_alu instid0(VALU_DEP_3) | instskip(NEXT) | instid1(VALU_DEP_4)
	v_add_co_u32 v3, vcc_lo, s13, v3
	v_add_co_ci_u32_e32 v4, vcc_lo, s16, v4, vcc_lo
	s_clause 0x1
	global_load_b32 v5, v[1:2], off
	global_load_b32 v3, v[3:4], off
	s_or_b32 s6, s12, 32
	v_cmp_gt_u32_e32 vcc_lo, 9, v65
	s_ashr_i32 s7, s6, 4
	s_cmp_lt_i32 s6, s17
	s_cselect_b32 s6, s7, s4
	s_delay_alu instid0(SALU_CYCLE_1) | instskip(NEXT) | instid1(SALU_CYCLE_1)
	s_ashr_i32 s7, s6, 31
	s_lshl_b64 s[6:7], s[6:7], 2
	s_delay_alu instid0(SALU_CYCLE_1) | instskip(SKIP_2) | instid1(SALU_CYCLE_1)
	s_add_u32 s6, s13, s6
	s_addc_u32 s7, s16, s7
	s_or_b32 s8, s12, 64
	s_ashr_i32 s9, s8, 4
	s_cmp_lt_i32 s8, s17
	s_cselect_b32 s8, s9, s4
	s_delay_alu instid0(SALU_CYCLE_1) | instskip(NEXT) | instid1(SALU_CYCLE_1)
	s_ashr_i32 s9, s8, 31
	s_lshl_b64 s[8:9], s[8:9], 2
	s_delay_alu instid0(SALU_CYCLE_1) | instskip(SKIP_2) | instid1(SALU_CYCLE_1)
	s_add_u32 s8, s13, s8
	s_addc_u32 s9, s16, s9
	s_or_b32 s20, s12, 0x60
	;; [unrolled: 10-line block ×4, first 2 shown]
	s_ashr_i32 s25, s24, 4
	s_cmp_lt_i32 s24, s17
	s_cselect_b32 s24, s25, s4
	s_delay_alu instid0(SALU_CYCLE_1) | instskip(NEXT) | instid1(SALU_CYCLE_1)
	s_ashr_i32 s25, s24, 31
	s_lshl_b64 s[24:25], s[24:25], 2
	s_delay_alu instid0(SALU_CYCLE_1)
	s_add_u32 s24, s13, s24
	s_addc_u32 s25, s16, s25
	s_clause 0x5
	s_load_b32 s28, s[2:3], 0x0
	s_load_b32 s29, s[6:7], 0x0
	;; [unrolled: 1-line block ×6, first 2 shown]
	s_mov_b32 s20, 0
	s_or_b32 s2, s12, 0xc0
	s_mov_b32 s21, s20
	s_mov_b32 s22, s20
	;; [unrolled: 1-line block ×5, first 2 shown]
	v_lshlrev_b32_e32 v1, 4, v0
	s_ashr_i32 s3, s2, 4
	s_cmp_lt_i32 s2, s17
	s_cselect_b32 s2, s3, s4
	s_delay_alu instid0(VALU_DEP_1) | instskip(SKIP_1) | instid1(SALU_CYCLE_1)
	v_and_b32_e32 v1, 0xf0, v1
	s_ashr_i32 s3, s2, 31
	s_lshl_b64 s[2:3], s[2:3], 2
	s_delay_alu instid0(VALU_DEP_1) | instskip(NEXT) | instid1(VALU_DEP_1)
	v_add_co_u32 v1, s26, s26, v1
	v_add_co_ci_u32_e64 v2, null, s27, 0, s26
	s_add_u32 s2, s13, s2
	s_addc_u32 s3, s16, s3
	s_or_b32 s6, s12, 0xe0
	s_mov_b32 s27, s20
	s_ashr_i32 s7, s6, 4
	s_cmp_lt_i32 s6, s17
	s_mov_b32 s26, s20
	v_dual_mov_b32 v107, s27 :: v_dual_mov_b32 v100, s20
	s_cselect_b32 s6, s7, s4
	v_mov_b32_e32 v106, s26
	s_ashr_i32 s7, s6, 31
	v_mov_b32_e32 v104, s24
	s_lshl_b64 s[6:7], s[6:7], 2
	v_dual_mov_b32 v103, s23 :: v_dual_mov_b32 v102, s22
	v_mov_b32_e32 v101, s21
	s_waitcnt vmcnt(1)
	v_mad_i64_i32 v[33:34], null, v5, s5, v[1:2]
	s_waitcnt vmcnt(0)
	v_mad_i64_i32 v[35:36], null, v3, s5, v[1:2]
	s_clause 0xf
	global_load_b128 v[1:4], v[33:34], off
	global_load_b128 v[5:8], v[33:34], off offset:256
	global_load_b128 v[9:12], v[35:36], off
	global_load_b128 v[13:16], v[35:36], off offset:256
	global_load_b128 v[17:20], v[33:34], off offset:512
	global_load_b128 v[21:24], v[33:34], off offset:768
	global_load_b128 v[25:28], v[35:36], off offset:512
	global_load_b128 v[29:32], v[35:36], off offset:768
	global_load_b128 v[57:60], v[33:34], off offset:1024
	global_load_b128 v[61:64], v[33:34], off offset:1280
	global_load_b128 v[76:79], v[35:36], off offset:1024
	global_load_b128 v[80:83], v[35:36], off offset:1280
	global_load_b128 v[84:87], v[33:34], off offset:1536
	global_load_b128 v[88:91], v[33:34], off offset:1792
	global_load_b128 v[92:95], v[35:36], off offset:1536
	global_load_b128 v[96:99], v[35:36], off offset:1792
	v_add_nc_u32_e32 v33, -9, v65
	v_lshlrev_b32_e32 v34, 4, v65
	s_delay_alu instid0(VALU_DEP_2) | instskip(SKIP_1) | instid1(VALU_DEP_3)
	v_cndmask_b32_e32 v33, v33, v65, vcc_lo
	v_mov_b32_e32 v105, s25
	v_lshl_or_b32 v41, v66, 8, v34
	s_delay_alu instid0(VALU_DEP_3)
	v_lshlrev_b32_e32 v72, 6, v33
	ds_load_b128 v[33:36], v72
	ds_load_b128 v[37:40], v72 offset:1024
	ds_load_b128 v[108:111], v72 offset:2048
	ds_load_b128 v[112:115], v72 offset:3072
	s_load_b32 s4, s[2:3], 0x0
	s_add_u32 s2, s13, s6
	s_addc_u32 s3, s16, s7
	ds_load_b128 v[116:119], v72 offset:4096
	ds_load_b128 v[120:123], v72 offset:5120
	s_load_b32 s2, s[2:3], 0x0
	s_add_u32 s6, s10, s15
	s_addc_u32 s7, s11, s19
	v_add_co_u32 v68, s6, s6, v41
	s_delay_alu instid0(VALU_DEP_1) | instskip(SKIP_1) | instid1(VALU_DEP_1)
	v_add_co_ci_u32_e64 v69, null, s7, 0, s6
	s_waitcnt lgkmcnt(0)
	v_mad_i64_i32 v[41:42], null, s28, s5, v[68:69]
	v_mad_i64_i32 v[70:71], null, s8, s5, v[68:69]
	;; [unrolled: 1-line block ×7, first 2 shown]
	s_clause 0x3
	global_load_b128 v[49:52], v[41:42], off
	global_load_b128 v[53:56], v[41:42], off offset:16
	global_load_b128 v[41:44], v[45:46], off
	global_load_b128 v[45:48], v[45:46], off offset:16
	s_waitcnt vmcnt(18)
	v_wmma_f32_16x16x16_bf16 v[124:131], v[1:8], v[33:40], v[100:107]
	s_waitcnt vmcnt(16)
	v_wmma_f32_16x16x16_bf16 v[100:107], v[9:16], v[33:40], v[100:107]
	s_clause 0x1
	global_load_b128 v[33:36], v[70:71], off
	global_load_b128 v[37:40], v[70:71], off offset:16
	v_mad_i64_i32 v[70:71], null, s2, s5, v[68:69]
	s_waitcnt vmcnt(16)
	v_wmma_f32_16x16x16_bf16 v[124:131], v[17:24], v[108:115], v[124:131]
	s_waitcnt vmcnt(14)
	v_wmma_f32_16x16x16_bf16 v[100:107], v[25:32], v[108:115], v[100:107]
	s_clause 0x7
	global_load_b128 v[25:28], v[132:133], off
	global_load_b128 v[29:32], v[132:133], off offset:16
	global_load_b128 v[1:4], v[134:135], off
	global_load_b128 v[5:8], v[134:135], off offset:16
	global_load_b128 v[9:12], v[136:137], off
	global_load_b128 v[13:16], v[136:137], off offset:16
	global_load_b128 v[17:20], v[138:139], off
	global_load_b128 v[21:24], v[138:139], off offset:16
	s_waitcnt vmcnt(20)
	v_wmma_f32_16x16x16_bf16 v[124:131], v[57:64], v[116:123], v[124:131]
	s_clause 0x1
	global_load_b128 v[57:60], v[70:71], off
	global_load_b128 v[61:64], v[70:71], off offset:16
	s_waitcnt vmcnt(20)
	v_wmma_f32_16x16x16_bf16 v[100:107], v[76:83], v[116:123], v[100:107]
	ds_load_b128 v[76:79], v72 offset:6144
	ds_load_b128 v[80:83], v72 offset:7168
	v_and_b32_e32 v68, 0xe0, v0
	v_mbcnt_lo_u32_b32 v69, -1, 0
	s_waitcnt vmcnt(0) lgkmcnt(0)
	s_barrier
	buffer_gl0_inv
	v_add_nc_u32_e32 v68, s12, v68
	v_xor_b32_e32 v70, 16, v69
	s_delay_alu instid0(VALU_DEP_2) | instskip(NEXT) | instid1(VALU_DEP_2)
	v_or_b32_e32 v68, v68, v74
	v_cmp_gt_i32_e32 vcc_lo, 32, v70
	s_delay_alu instid0(VALU_DEP_2)
	v_or_b32_e32 v71, 4, v68
	v_or_b32_e32 v72, 6, v68
	v_cmp_gt_i32_e64 s2, s17, v68
	v_or_b32_e32 v108, 8, v68
	v_wmma_f32_16x16x16_bf16 v[124:131], v[84:91], v[76:83], v[124:131]
	v_cndmask_b32_e32 v69, v69, v70, vcc_lo
	v_or_b32_e32 v70, 2, v68
	v_wmma_f32_16x16x16_bf16 v[100:107], v[92:99], v[76:83], v[100:107]
	v_or_b32_e32 v109, 10, v68
	v_dual_mul_f32 v82, s18, v127 :: v_dual_mul_f32 v79, s18, v130
	v_dual_mul_f32 v92, s18, v125 :: v_dual_mul_f32 v93, s18, v124
	s_delay_alu instid0(VALU_DEP_4)
	v_mul_f32_e32 v98, s18, v103
	v_cmp_gt_i32_e32 vcc_lo, s17, v70
	v_or_b32_e32 v89, 22, v68
	v_dual_mul_f32 v83, s18, v126 :: v_dual_mul_f32 v96, s18, v105
	v_cndmask_b32_e64 v93, 0xff7fffff, v93, s2
	v_cndmask_b32_e32 v92, 0xff7fffff, v92, vcc_lo
	v_cmp_gt_i32_e64 s3, s17, v71
	v_cmp_gt_i32_e64 s4, s17, v72
	v_or_b32_e32 v84, 12, v68
	v_or_b32_e32 v85, 14, v68
	v_dual_mul_f32 v80, s18, v129 :: v_dual_mul_f32 v81, s18, v128
	v_mul_f32_e32 v94, s18, v107
	v_cndmask_b32_e64 v71, 0xff7fffff, v83, s3
	v_cndmask_b32_e64 v72, 0xff7fffff, v82, s4
	v_cmp_gt_i32_e64 s5, s17, v108
	v_cmp_gt_i32_e64 s6, s17, v109
	;; [unrolled: 1-line block ×3, first 2 shown]
	v_lshlrev_b32_e32 v89, 2, v69
	v_max3_f32 v82, v93, 0xff7fffff, v92
	v_or_b32_e32 v86, 16, v68
	v_or_b32_e32 v87, 18, v68
	v_mul_f32_e32 v78, s18, v131
	v_cndmask_b32_e64 v81, 0xff7fffff, v81, s5
	v_cndmask_b32_e64 v80, 0xff7fffff, v80, s6
	v_max3_f32 v71, v82, v71, v72
	v_cmp_gt_i32_e64 s7, s17, v84
	v_cmp_gt_i32_e64 s8, s17, v85
	v_or_b32_e32 v88, 20, v68
	v_or_b32_e32 v90, 24, v68
	;; [unrolled: 1-line block ×5, first 2 shown]
	v_dual_mul_f32 v95, s18, v106 :: v_dual_mul_f32 v70, s18, v101
	v_dual_mul_f32 v99, s18, v102 :: v_dual_mul_f32 v68, s18, v100
	v_cndmask_b32_e64 v72, 0xff7fffff, v79, s7
	v_cndmask_b32_e64 v78, 0xff7fffff, v78, s8
	v_max3_f32 v71, v71, v81, v80
	v_cmp_gt_i32_e64 s9, s17, v86
	v_cmp_gt_i32_e64 s10, s17, v87
	;; [unrolled: 1-line block ×3, first 2 shown]
	v_mul_f32_e32 v97, s18, v104
	v_max3_f32 v71, v71, v72, v78
	v_cndmask_b32_e64 v68, 0xff7fffff, v68, s9
	v_cndmask_b32_e64 v70, 0xff7fffff, v70, s10
	;; [unrolled: 1-line block ×4, first 2 shown]
	v_cmp_gt_i32_e64 s13, s17, v90
	v_cmp_gt_i32_e64 s15, s17, v91
	v_max3_f32 v68, v71, v68, v70
	v_cmp_gt_i32_e64 s16, s17, v76
	v_cmp_gt_i32_e64 s17, s17, v77
	v_cndmask_b32_e64 v70, 0xff7fffff, v97, s13
	v_cndmask_b32_e64 v71, 0xff7fffff, v96, s15
	v_max3_f32 v68, v68, v72, v78
	v_cndmask_b32_e64 v72, 0xff7fffff, v95, s16
	v_cndmask_b32_e64 v76, 0xff7fffff, v94, s17
	s_delay_alu instid0(VALU_DEP_3) | instskip(NEXT) | instid1(VALU_DEP_1)
	v_max3_f32 v68, v68, v70, v71
	v_max3_f32 v68, v68, v72, v76
	ds_bpermute_b32 v69, v89, v68
	s_waitcnt lgkmcnt(0)
	v_max_f32_e32 v69, v69, v69
	s_delay_alu instid0(VALU_DEP_1) | instskip(NEXT) | instid1(VALU_DEP_1)
	v_max_f32_e32 v68, v68, v69
	v_fma_f32 v69, s18, v124, -v68
	v_fma_f32 v70, s18, v125, -v68
	v_fma_f32 v72, s18, v127, -v68
	v_fma_f32 v71, s18, v126, -v68
	v_fma_f32 v76, s18, v128, -v68
	s_delay_alu instid0(VALU_DEP_4) | instskip(NEXT) | instid1(VALU_DEP_4)
	v_dual_mul_f32 v69, 0x3fb8aa3b, v69 :: v_dual_mul_f32 v70, 0x3fb8aa3b, v70
	v_mul_f32_e32 v72, 0x3fb8aa3b, v72
	v_fma_f32 v78, s18, v130, -v68
	s_delay_alu instid0(VALU_DEP_4) | instskip(NEXT) | instid1(VALU_DEP_4)
	v_mul_f32_e32 v77, 0x3fb8aa3b, v76
	v_exp_f32_e32 v69, v69
	v_exp_f32_e32 v70, v70
	v_mul_f32_e32 v71, 0x3fb8aa3b, v71
	v_exp_f32_e32 v72, v72
	v_mul_f32_e32 v78, 0x3fb8aa3b, v78
	v_exp_f32_e32 v77, v77
	v_fma_f32 v81, s18, v105, -v68
	s_delay_alu instid0(VALU_DEP_2)
	v_exp_f32_e32 v78, v78
	v_cndmask_b32_e64 v80, 0, v69, s2
	v_cndmask_b32_e32 v76, 0, v70, vcc_lo
	v_exp_f32_e32 v71, v71
	v_fma_f32 v69, s18, v129, -v68
	v_cndmask_b32_e64 v85, 0, v72, s4
	v_add_f32_e32 v70, 0, v80
	s_delay_alu instid0(TRANS32_DEP_3)
	v_cndmask_b32_e64 v86, 0, v77, s5
	v_fma_f32 v77, s18, v101, -v68
	v_mul_f32_e32 v69, 0x3fb8aa3b, v69
	v_fma_f32 v72, s18, v100, -v68
	v_cndmask_b32_e64 v84, 0, v78, s7
	v_fma_f32 v78, s18, v103, -v68
	v_cndmask_b32_e64 v83, 0, v71, s3
	v_fma_f32 v71, s18, v131, -v68
	v_add_f32_e32 v70, v70, v76
	v_exp_f32_e32 v69, v69
	v_mul_f32_e32 v77, 0x3fb8aa3b, v77
	v_mul_f32_e32 v81, 0x3fb8aa3b, v81
	;; [unrolled: 1-line block ×3, first 2 shown]
	v_add_f32_e32 v70, v70, v83
	v_cmp_gt_u32_e64 s2, 16, v67
	v_exp_f32_e32 v77, v77
	v_exp_f32_e32 v81, v81
	;; [unrolled: 1-line block ×3, first 2 shown]
	v_cndmask_b32_e64 v87, 0, v69, s6
	v_add_f32_e32 v70, v70, v85
	s_delay_alu instid0(VALU_DEP_1) | instskip(SKIP_1) | instid1(VALU_DEP_2)
	v_dual_mul_f32 v72, 0x3fb8aa3b, v72 :: v_dual_add_f32 v69, v70, v86
	v_fma_f32 v70, s18, v102, -v68
	v_exp_f32_e32 v72, v72
	s_waitcnt_depctr 0xfff
	v_cndmask_b32_e64 v88, 0, v71, s8
	v_fma_f32 v71, s18, v104, -v68
	v_dual_add_f32 v69, v69, v87 :: v_dual_mul_f32 v70, 0x3fb8aa3b, v70
	s_delay_alu instid0(VALU_DEP_2) | instskip(NEXT) | instid1(VALU_DEP_2)
	v_dual_mul_f32 v78, 0x3fb8aa3b, v78 :: v_dual_mul_f32 v71, 0x3fb8aa3b, v71
	v_add_f32_e32 v69, v69, v84
	s_delay_alu instid0(VALU_DEP_3) | instskip(SKIP_1) | instid1(VALU_DEP_3)
	v_exp_f32_e32 v79, v70
	v_cndmask_b32_e64 v70, 0, v72, s9
	v_exp_f32_e32 v78, v78
	v_exp_f32_e32 v82, v71
	v_add_f32_e32 v72, v69, v88
	v_cndmask_b32_e64 v69, 0, v77, s10
	v_fma_f32 v77, s18, v106, -v68
	s_delay_alu instid0(VALU_DEP_3) | instskip(NEXT) | instid1(TRANS32_DEP_3)
	v_add_f32_e32 v72, v72, v70
	v_cndmask_b32_e64 v71, 0, v79, s11
	s_delay_alu instid0(VALU_DEP_3) | instskip(NEXT) | instid1(VALU_DEP_3)
	v_mul_f32_e32 v77, 0x3fb8aa3b, v77
	v_add_f32_e32 v79, v72, v69
	s_delay_alu instid0(TRANS32_DEP_2) | instskip(NEXT) | instid1(VALU_DEP_3)
	v_cndmask_b32_e64 v72, 0, v78, s12
	v_exp_f32_e32 v90, v77
	v_cndmask_b32_e64 v77, 0, v82, s13
	s_delay_alu instid0(VALU_DEP_3) | instskip(SKIP_1) | instid1(VALU_DEP_1)
	v_add_f32_e32 v78, v79, v71
	v_fma_f32 v79, s18, v107, -v68
	v_dual_add_f32 v82, v78, v72 :: v_dual_mul_f32 v79, 0x3fb8aa3b, v79
	v_cndmask_b32_e64 v78, 0, v81, s15
	s_delay_alu instid0(VALU_DEP_2) | instskip(NEXT) | instid1(VALU_DEP_3)
	v_add_f32_e32 v81, v82, v77
	v_exp_f32_e32 v82, v79
	s_delay_alu instid0(TRANS32_DEP_2) | instskip(NEXT) | instid1(VALU_DEP_2)
	v_cndmask_b32_e64 v79, 0, v90, s16
	v_add_f32_e32 v81, v81, v78
	s_delay_alu instid0(VALU_DEP_1) | instskip(SKIP_2) | instid1(VALU_DEP_1)
	v_add_f32_e32 v90, v81, v79
	s_waitcnt_depctr 0xfff
	v_cndmask_b32_e64 v81, 0, v82, s17
	v_add_f32_e32 v82, v90, v81
	ds_bpermute_b32 v89, v89, v82
	s_and_saveexec_b32 s3, s2
	s_cbranch_execz .LBB1514_12
; %bb.11:
	v_mul_u32_u24_e32 v67, 0x44, v66
	s_delay_alu instid0(VALU_DEP_1) | instskip(SKIP_1) | instid1(VALU_DEP_1)
	v_lshl_add_u32 v67, v65, 2, v67
	s_waitcnt lgkmcnt(0)
	v_dual_add_f32 v82, v82, v89 :: v_dual_add_nc_u32 v67, 0x4000, v67
	ds_store_2addr_b32 v67, v68, v82 offset1:136
.LBB1514_12:
	s_or_b32 exec_lo, exec_lo, s3
	v_lshlrev_b32_e32 v67, 2, v65
	s_waitcnt lgkmcnt(0)
	s_barrier
	buffer_gl0_inv
	v_cmp_eq_u32_e32 vcc_lo, 1, v66
	v_add_nc_u32_e32 v82, 0x4000, v67
	v_cmp_eq_u32_e64 s3, 2, v66
	v_cmp_eq_u32_e64 s5, 7, v66
	ds_load_2addr_b32 v[89:90], v82 offset1:17
	ds_load_2addr_b32 v[91:92], v82 offset0:34 offset1:51
	ds_load_2addr_b32 v[93:94], v82 offset0:68 offset1:85
	;; [unrolled: 1-line block ×4, first 2 shown]
	s_waitcnt lgkmcnt(4)
	v_max3_f32 v67, v89, 0xff7fffff, v90
	s_waitcnt lgkmcnt(3)
	s_delay_alu instid0(VALU_DEP_1) | instskip(SKIP_1) | instid1(VALU_DEP_1)
	v_max3_f32 v67, v67, v91, v92
	s_waitcnt lgkmcnt(2)
	v_max3_f32 v67, v67, v93, v94
	s_waitcnt lgkmcnt(1)
	s_delay_alu instid0(VALU_DEP_1) | instskip(NEXT) | instid1(VALU_DEP_1)
	v_max3_f32 v67, v67, v95, v96
	v_sub_f32_e32 v93, v93, v67
	s_delay_alu instid0(VALU_DEP_1) | instskip(NEXT) | instid1(VALU_DEP_1)
	v_dual_sub_f32 v68, v89, v67 :: v_dual_mul_f32 v103, 0x3fb8aa3b, v93
	v_mul_f32_e32 v68, 0x3fb8aa3b, v68
	s_delay_alu instid0(VALU_DEP_1)
	v_exp_f32_e32 v100, v68
	v_sub_f32_e32 v68, v92, v67
	v_sub_f32_e32 v99, v90, v67
	ds_load_2addr_b32 v[89:90], v82 offset0:170 offset1:187
	v_dual_mul_f32 v102, 0x3fb8aa3b, v68 :: v_dual_mul_f32 v99, 0x3fb8aa3b, v99
	s_waitcnt lgkmcnt(1)
	v_fma_f32 v68, v100, v97, 0
	s_delay_alu instid0(VALU_DEP_2) | instskip(NEXT) | instid1(VALU_DEP_2)
	v_exp_f32_e32 v102, v102
	v_exp_f32_e32 v99, v99
	s_waitcnt_depctr 0xfff
	v_fmac_f32_e32 v68, v99, v98
	v_sub_f32_e32 v91, v91, v67
	s_delay_alu instid0(VALU_DEP_1)
	v_mul_f32_e32 v101, 0x3fb8aa3b, v91
	ds_load_2addr_b32 v[91:92], v82 offset0:204 offset1:221
	v_sub_f32_e32 v97, v94, v67
	ds_load_2addr_b32 v[93:94], v82 offset0:238 offset1:255
	s_waitcnt lgkmcnt(0)
	v_exp_f32_e32 v101, v101
	s_barrier
	buffer_gl0_inv
	v_dual_fmac_f32 v68, v101, v89 :: v_dual_sub_f32 v89, v96, v67
	v_dual_sub_f32 v82, v95, v67 :: v_dual_mul_f32 v95, 0x3fb8aa3b, v97
	v_exp_f32_e32 v97, v103
	s_delay_alu instid0(VALU_DEP_2) | instskip(NEXT) | instid1(VALU_DEP_2)
	v_dual_fmac_f32 v68, v102, v90 :: v_dual_mul_f32 v89, 0x3fb8aa3b, v89
	v_mul_f32_e32 v82, 0x3fb8aa3b, v82
	s_delay_alu instid0(VALU_DEP_3) | instskip(NEXT) | instid1(VALU_DEP_2)
	v_exp_f32_e32 v95, v95
	v_exp_f32_e32 v89, v89
	s_delay_alu instid0(VALU_DEP_1)
	v_exp_f32_e32 v82, v82
	v_fmac_f32_e32 v68, v97, v91
	s_delay_alu instid0(TRANS32_DEP_3) | instid1(VALU_DEP_1)
	v_fmac_f32_e32 v68, v95, v92
	s_waitcnt_depctr 0xfff
	v_fmac_f32_e32 v68, v82, v93
	s_delay_alu instid0(VALU_DEP_1) | instskip(NEXT) | instid1(VALU_DEP_1)
	v_fmac_f32_e32 v68, v89, v94
	v_add_f32_e32 v90, 0x358637bd, v68
	s_delay_alu instid0(VALU_DEP_1) | instskip(NEXT) | instid1(VALU_DEP_1)
	v_div_scale_f32 v91, null, v90, v90, 1.0
	v_rcp_f32_e32 v92, v91
	s_waitcnt_depctr 0xfff
	v_fma_f32 v93, -v91, v92, 1.0
	s_delay_alu instid0(VALU_DEP_1) | instskip(SKIP_1) | instid1(VALU_DEP_2)
	v_dual_fmac_f32 v92, v93, v92 :: v_dual_cndmask_b32 v93, v100, v99
	v_cmp_eq_u32_e32 vcc_lo, 3, v66
	v_cndmask_b32_e64 v93, v93, v101, s3
	v_cmp_eq_u32_e64 s3, 4, v66
	s_delay_alu instid0(VALU_DEP_2) | instskip(SKIP_1) | instid1(VALU_DEP_2)
	v_cndmask_b32_e32 v93, v93, v102, vcc_lo
	v_cmp_eq_u32_e32 vcc_lo, 5, v66
	v_cndmask_b32_e64 v93, v93, v97, s3
	v_cmp_eq_u32_e64 s3, 6, v66
	s_delay_alu instid0(VALU_DEP_2) | instskip(SKIP_1) | instid1(VALU_DEP_1)
	v_cndmask_b32_e32 v93, v93, v95, vcc_lo
	v_div_scale_f32 v94, s4, 1.0, v90, 1.0
	s_mov_b32 vcc_lo, s4
	s_delay_alu instid0(VALU_DEP_2) | instskip(NEXT) | instid1(VALU_DEP_2)
	v_cndmask_b32_e64 v82, v93, v82, s3
	v_mul_f32_e32 v96, v94, v92
	s_mov_b32 s3, exec_lo
	s_delay_alu instid0(VALU_DEP_2) | instskip(NEXT) | instid1(VALU_DEP_2)
	v_cndmask_b32_e64 v82, v82, v89, s5
	v_fma_f32 v98, -v91, v96, v94
	s_delay_alu instid0(VALU_DEP_1) | instskip(NEXT) | instid1(VALU_DEP_1)
	v_fmac_f32_e32 v96, v98, v92
	v_fma_f32 v91, -v91, v96, v94
	s_delay_alu instid0(VALU_DEP_1) | instskip(NEXT) | instid1(VALU_DEP_1)
	v_div_fmas_f32 v91, v91, v92, v96
	v_div_fixup_f32 v90, v91, v90, 1.0
	s_delay_alu instid0(VALU_DEP_1) | instskip(NEXT) | instid1(VALU_DEP_1)
	v_mul_f32_e32 v82, v82, v90
	v_mul_f32_e32 v87, v82, v87
	;; [unrolled: 1-line block ×7, first 2 shown]
	v_dual_mul_f32 v86, v82, v83 :: v_dual_and_b32 v91, 0x7f800000, v90
	v_mul_f32_e32 v85, v82, v76
                                        ; implicit-def: $vgpr76
	s_delay_alu instid0(VALU_DEP_2)
	v_cmpx_ne_u32_e32 0x7f800000, v91
	s_xor_b32 s3, exec_lo, s3
; %bb.13:
	v_bfe_u32 v76, v90, 16, 1
	s_delay_alu instid0(VALU_DEP_1)
	v_add3_u32 v76, v90, v76, 0x7fff
                                        ; implicit-def: $vgpr90
; %bb.14:
	s_and_not1_saveexec_b32 s3, s3
; %bb.15:
	v_and_b32_e32 v76, 0xffff, v90
	v_or_b32_e32 v83, 0x10000, v90
	s_delay_alu instid0(VALU_DEP_2) | instskip(NEXT) | instid1(VALU_DEP_2)
	v_cmp_eq_u32_e32 vcc_lo, 0, v76
	v_cndmask_b32_e32 v76, v83, v90, vcc_lo
; %bb.16:
	s_or_b32 exec_lo, exec_lo, s3
	v_and_b32_e32 v83, 0x7f800000, v85
	s_delay_alu instid0(VALU_DEP_1) | instskip(SKIP_1) | instid1(SALU_CYCLE_1)
	v_cmp_ne_u32_e32 vcc_lo, 0x7f800000, v83
                                        ; implicit-def: $vgpr83
	s_and_saveexec_b32 s3, vcc_lo
	s_xor_b32 s3, exec_lo, s3
; %bb.17:
	v_bfe_u32 v83, v85, 16, 1
	s_delay_alu instid0(VALU_DEP_1)
	v_add3_u32 v83, v85, v83, 0x7fff
                                        ; implicit-def: $vgpr85
; %bb.18:
	s_and_not1_saveexec_b32 s3, s3
; %bb.19:
	v_and_b32_e32 v83, 0xffff, v85
	v_or_b32_e32 v90, 0x10000, v85
	s_delay_alu instid0(VALU_DEP_2) | instskip(NEXT) | instid1(VALU_DEP_2)
	v_cmp_eq_u32_e32 vcc_lo, 0, v83
	v_cndmask_b32_e32 v83, v90, v85, vcc_lo
; %bb.20:
	s_or_b32 exec_lo, exec_lo, s3
	v_and_b32_e32 v85, 0x7f800000, v86
	s_delay_alu instid0(VALU_DEP_1) | instskip(SKIP_1) | instid1(SALU_CYCLE_1)
	v_cmp_ne_u32_e32 vcc_lo, 0x7f800000, v85
                                        ; implicit-def: $vgpr85
	s_and_saveexec_b32 s3, vcc_lo
	s_xor_b32 s3, exec_lo, s3
; %bb.21:
	v_bfe_u32 v85, v86, 16, 1
	s_delay_alu instid0(VALU_DEP_1)
	v_add3_u32 v85, v86, v85, 0x7fff
                                        ; implicit-def: $vgpr86
; %bb.22:
	s_and_not1_saveexec_b32 s3, s3
; %bb.23:
	v_and_b32_e32 v85, 0xffff, v86
	v_or_b32_e32 v90, 0x10000, v86
	s_delay_alu instid0(VALU_DEP_2) | instskip(NEXT) | instid1(VALU_DEP_2)
	v_cmp_eq_u32_e32 vcc_lo, 0, v85
	v_cndmask_b32_e32 v85, v90, v86, vcc_lo
; %bb.24:
	s_or_b32 exec_lo, exec_lo, s3
	v_and_b32_e32 v86, 0x7f800000, v89
	s_delay_alu instid0(VALU_DEP_1) | instskip(SKIP_1) | instid1(SALU_CYCLE_1)
	v_cmp_ne_u32_e32 vcc_lo, 0x7f800000, v86
                                        ; implicit-def: $vgpr86
	s_and_saveexec_b32 s3, vcc_lo
	s_xor_b32 s3, exec_lo, s3
; %bb.25:
	v_bfe_u32 v86, v89, 16, 1
	s_delay_alu instid0(VALU_DEP_1)
	v_add3_u32 v86, v89, v86, 0x7fff
                                        ; implicit-def: $vgpr89
; %bb.26:
	s_and_not1_saveexec_b32 s3, s3
; %bb.27:
	v_and_b32_e32 v86, 0xffff, v89
	v_or_b32_e32 v90, 0x10000, v89
	s_delay_alu instid0(VALU_DEP_2) | instskip(NEXT) | instid1(VALU_DEP_2)
	v_cmp_eq_u32_e32 vcc_lo, 0, v86
	v_cndmask_b32_e32 v86, v90, v89, vcc_lo
; %bb.28:
	s_or_b32 exec_lo, exec_lo, s3
	v_and_b32_e32 v89, 0x7f800000, v88
	s_delay_alu instid0(VALU_DEP_1) | instskip(SKIP_1) | instid1(SALU_CYCLE_1)
	v_cmp_ne_u32_e32 vcc_lo, 0x7f800000, v89
                                        ; implicit-def: $vgpr89
	s_and_saveexec_b32 s3, vcc_lo
	s_xor_b32 s3, exec_lo, s3
; %bb.29:
	v_bfe_u32 v89, v88, 16, 1
	s_delay_alu instid0(VALU_DEP_1)
	v_add3_u32 v89, v88, v89, 0x7fff
                                        ; implicit-def: $vgpr88
; %bb.30:
	s_and_not1_saveexec_b32 s3, s3
; %bb.31:
	v_and_b32_e32 v89, 0xffff, v88
	v_or_b32_e32 v90, 0x10000, v88
	s_delay_alu instid0(VALU_DEP_2) | instskip(NEXT) | instid1(VALU_DEP_2)
	v_cmp_eq_u32_e32 vcc_lo, 0, v89
	v_cndmask_b32_e32 v89, v90, v88, vcc_lo
; %bb.32:
	s_or_b32 exec_lo, exec_lo, s3
	v_and_b32_e32 v88, 0x7f800000, v87
	s_delay_alu instid0(VALU_DEP_1) | instskip(SKIP_1) | instid1(SALU_CYCLE_1)
	v_cmp_ne_u32_e32 vcc_lo, 0x7f800000, v88
                                        ; implicit-def: $vgpr88
	s_and_saveexec_b32 s3, vcc_lo
	s_xor_b32 s3, exec_lo, s3
; %bb.33:
	v_bfe_u32 v88, v87, 16, 1
	s_delay_alu instid0(VALU_DEP_1)
	v_add3_u32 v88, v87, v88, 0x7fff
                                        ; implicit-def: $vgpr87
; %bb.34:
	s_and_not1_saveexec_b32 s3, s3
; %bb.35:
	v_and_b32_e32 v88, 0xffff, v87
	v_or_b32_e32 v90, 0x10000, v87
	s_delay_alu instid0(VALU_DEP_2) | instskip(NEXT) | instid1(VALU_DEP_2)
	v_cmp_eq_u32_e32 vcc_lo, 0, v88
	v_cndmask_b32_e32 v88, v90, v87, vcc_lo
; %bb.36:
	s_or_b32 exec_lo, exec_lo, s3
	v_and_b32_e32 v87, 0x7f800000, v84
	s_delay_alu instid0(VALU_DEP_1) | instskip(SKIP_1) | instid1(SALU_CYCLE_1)
	v_cmp_ne_u32_e32 vcc_lo, 0x7f800000, v87
                                        ; implicit-def: $vgpr87
	s_and_saveexec_b32 s3, vcc_lo
	s_xor_b32 s3, exec_lo, s3
; %bb.37:
	v_bfe_u32 v87, v84, 16, 1
	s_delay_alu instid0(VALU_DEP_1)
	v_add3_u32 v87, v84, v87, 0x7fff
                                        ; implicit-def: $vgpr84
; %bb.38:
	s_and_not1_saveexec_b32 s3, s3
; %bb.39:
	v_and_b32_e32 v87, 0xffff, v84
	v_or_b32_e32 v90, 0x10000, v84
	s_delay_alu instid0(VALU_DEP_2) | instskip(NEXT) | instid1(VALU_DEP_2)
	v_cmp_eq_u32_e32 vcc_lo, 0, v87
	v_cndmask_b32_e32 v87, v90, v84, vcc_lo
; %bb.40:
	s_or_b32 exec_lo, exec_lo, s3
	v_and_b32_e32 v84, 0x7f800000, v80
	s_delay_alu instid0(VALU_DEP_1) | instskip(SKIP_1) | instid1(SALU_CYCLE_1)
	v_cmp_ne_u32_e32 vcc_lo, 0x7f800000, v84
                                        ; implicit-def: $vgpr84
	s_and_saveexec_b32 s3, vcc_lo
	s_xor_b32 s3, exec_lo, s3
; %bb.41:
	v_bfe_u32 v84, v80, 16, 1
	s_delay_alu instid0(VALU_DEP_1)
	v_add3_u32 v84, v80, v84, 0x7fff
                                        ; implicit-def: $vgpr80
; %bb.42:
	s_and_not1_saveexec_b32 s3, s3
; %bb.43:
	v_and_b32_e32 v84, 0xffff, v80
	v_or_b32_e32 v90, 0x10000, v80
	s_delay_alu instid0(VALU_DEP_2) | instskip(NEXT) | instid1(VALU_DEP_2)
	v_cmp_eq_u32_e32 vcc_lo, 0, v84
	v_cndmask_b32_e32 v84, v90, v80, vcc_lo
; %bb.44:
	s_or_b32 exec_lo, exec_lo, s3
	s_load_b64 s[34:35], s[0:1], 0x94
	v_lshlrev_b32_e32 v91, 4, v74
	s_delay_alu instid0(VALU_DEP_2)
	v_perm_b32 v90, v84, v87, 0x7060302
	v_dual_mul_f32 v79, v82, v79 :: v_dual_lshlrev_b32 v80, 6, v65
	v_dual_mul_f32 v77, v82, v77 :: v_dual_lshlrev_b32 v92, 11, v66
	v_mul_f32_e32 v84, v82, v70
	v_perm_b32 v89, v88, v89, 0x7060302
	v_perm_b32 v88, v86, v85, 0x7060302
	;; [unrolled: 1-line block ×3, first 2 shown]
	v_mul_f32_e32 v70, v82, v81
	v_or3_b32 v76, v91, v92, v80
	v_dual_mul_f32 v78, v82, v78 :: v_dual_and_b32 v85, 0x7f800000, v84
	v_mul_f32_e32 v83, v82, v72
	v_mul_f32_e32 v81, v82, v71
	;; [unrolled: 1-line block ×3, first 2 shown]
	s_mov_b32 s3, exec_lo
	ds_store_b128 v76, v[87:90]
                                        ; implicit-def: $vgpr69
	v_cmpx_ne_u32_e32 0x7f800000, v85
	s_xor_b32 s3, exec_lo, s3
; %bb.45:
	v_bfe_u32 v69, v84, 16, 1
	s_delay_alu instid0(VALU_DEP_1)
	v_add3_u32 v69, v84, v69, 0x7fff
                                        ; implicit-def: $vgpr84
; %bb.46:
	s_and_not1_saveexec_b32 s3, s3
; %bb.47:
	v_and_b32_e32 v69, 0xffff, v84
	v_or_b32_e32 v71, 0x10000, v84
	s_delay_alu instid0(VALU_DEP_2) | instskip(NEXT) | instid1(VALU_DEP_2)
	v_cmp_eq_u32_e32 vcc_lo, 0, v69
	v_cndmask_b32_e32 v69, v71, v84, vcc_lo
; %bb.48:
	s_or_b32 exec_lo, exec_lo, s3
	v_and_b32_e32 v71, 0x7f800000, v72
	s_delay_alu instid0(VALU_DEP_1) | instskip(SKIP_1) | instid1(SALU_CYCLE_1)
	v_cmp_ne_u32_e32 vcc_lo, 0x7f800000, v71
                                        ; implicit-def: $vgpr71
	s_and_saveexec_b32 s3, vcc_lo
	s_xor_b32 s3, exec_lo, s3
; %bb.49:
	v_bfe_u32 v71, v72, 16, 1
	s_delay_alu instid0(VALU_DEP_1)
	v_add3_u32 v71, v72, v71, 0x7fff
                                        ; implicit-def: $vgpr72
; %bb.50:
	s_and_not1_saveexec_b32 s3, s3
; %bb.51:
	v_and_b32_e32 v71, 0xffff, v72
	v_or_b32_e32 v82, 0x10000, v72
	s_delay_alu instid0(VALU_DEP_2) | instskip(NEXT) | instid1(VALU_DEP_2)
	v_cmp_eq_u32_e32 vcc_lo, 0, v71
	v_cndmask_b32_e32 v71, v82, v72, vcc_lo
; %bb.52:
	s_or_b32 exec_lo, exec_lo, s3
	v_and_b32_e32 v72, 0x7f800000, v81
	s_delay_alu instid0(VALU_DEP_1) | instskip(SKIP_1) | instid1(SALU_CYCLE_1)
	v_cmp_ne_u32_e32 vcc_lo, 0x7f800000, v72
                                        ; implicit-def: $vgpr72
	s_and_saveexec_b32 s3, vcc_lo
	s_xor_b32 s3, exec_lo, s3
; %bb.53:
	v_bfe_u32 v72, v81, 16, 1
	s_delay_alu instid0(VALU_DEP_1)
	v_add3_u32 v72, v81, v72, 0x7fff
                                        ; implicit-def: $vgpr81
; %bb.54:
	s_and_not1_saveexec_b32 s3, s3
; %bb.55:
	v_and_b32_e32 v72, 0xffff, v81
	v_or_b32_e32 v82, 0x10000, v81
	s_delay_alu instid0(VALU_DEP_2) | instskip(NEXT) | instid1(VALU_DEP_2)
	v_cmp_eq_u32_e32 vcc_lo, 0, v72
	v_cndmask_b32_e32 v72, v82, v81, vcc_lo
; %bb.56:
	s_or_b32 exec_lo, exec_lo, s3
	v_and_b32_e32 v81, 0x7f800000, v83
	s_delay_alu instid0(VALU_DEP_1) | instskip(SKIP_1) | instid1(SALU_CYCLE_1)
	v_cmp_ne_u32_e32 vcc_lo, 0x7f800000, v81
                                        ; implicit-def: $vgpr81
	s_and_saveexec_b32 s3, vcc_lo
	s_xor_b32 s3, exec_lo, s3
; %bb.57:
	v_bfe_u32 v81, v83, 16, 1
	s_delay_alu instid0(VALU_DEP_1)
	v_add3_u32 v81, v83, v81, 0x7fff
                                        ; implicit-def: $vgpr83
; %bb.58:
	s_and_not1_saveexec_b32 s3, s3
; %bb.59:
	v_and_b32_e32 v81, 0xffff, v83
	v_or_b32_e32 v82, 0x10000, v83
	s_delay_alu instid0(VALU_DEP_2) | instskip(NEXT) | instid1(VALU_DEP_2)
	v_cmp_eq_u32_e32 vcc_lo, 0, v81
	v_cndmask_b32_e32 v81, v82, v83, vcc_lo
; %bb.60:
	s_or_b32 exec_lo, exec_lo, s3
	v_and_b32_e32 v82, 0x7f800000, v77
	s_delay_alu instid0(VALU_DEP_1) | instskip(SKIP_1) | instid1(SALU_CYCLE_1)
	v_cmp_ne_u32_e32 vcc_lo, 0x7f800000, v82
                                        ; implicit-def: $vgpr82
	s_and_saveexec_b32 s3, vcc_lo
	s_xor_b32 s3, exec_lo, s3
; %bb.61:
	v_bfe_u32 v82, v77, 16, 1
	s_delay_alu instid0(VALU_DEP_1)
	v_add3_u32 v82, v77, v82, 0x7fff
                                        ; implicit-def: $vgpr77
; %bb.62:
	s_and_not1_saveexec_b32 s3, s3
; %bb.63:
	v_and_b32_e32 v82, 0xffff, v77
	v_or_b32_e32 v83, 0x10000, v77
	s_delay_alu instid0(VALU_DEP_2) | instskip(NEXT) | instid1(VALU_DEP_2)
	v_cmp_eq_u32_e32 vcc_lo, 0, v82
	v_cndmask_b32_e32 v82, v83, v77, vcc_lo
; %bb.64:
	s_or_b32 exec_lo, exec_lo, s3
	v_and_b32_e32 v77, 0x7f800000, v78
	s_delay_alu instid0(VALU_DEP_1) | instskip(SKIP_1) | instid1(SALU_CYCLE_1)
	v_cmp_ne_u32_e32 vcc_lo, 0x7f800000, v77
                                        ; implicit-def: $vgpr77
	s_and_saveexec_b32 s3, vcc_lo
	s_xor_b32 s3, exec_lo, s3
; %bb.65:
	v_bfe_u32 v77, v78, 16, 1
	s_delay_alu instid0(VALU_DEP_1)
	v_add3_u32 v77, v78, v77, 0x7fff
                                        ; implicit-def: $vgpr78
; %bb.66:
	s_and_not1_saveexec_b32 s3, s3
; %bb.67:
	v_and_b32_e32 v77, 0xffff, v78
	v_or_b32_e32 v83, 0x10000, v78
	s_delay_alu instid0(VALU_DEP_2) | instskip(NEXT) | instid1(VALU_DEP_2)
	v_cmp_eq_u32_e32 vcc_lo, 0, v77
	v_cndmask_b32_e32 v77, v83, v78, vcc_lo
; %bb.68:
	s_or_b32 exec_lo, exec_lo, s3
	v_and_b32_e32 v78, 0x7f800000, v79
	s_delay_alu instid0(VALU_DEP_1) | instskip(SKIP_1) | instid1(SALU_CYCLE_1)
	v_cmp_ne_u32_e32 vcc_lo, 0x7f800000, v78
                                        ; implicit-def: $vgpr78
	s_and_saveexec_b32 s3, vcc_lo
	s_xor_b32 s3, exec_lo, s3
; %bb.69:
	v_bfe_u32 v78, v79, 16, 1
	s_delay_alu instid0(VALU_DEP_1)
	v_add3_u32 v78, v79, v78, 0x7fff
                                        ; implicit-def: $vgpr79
; %bb.70:
	s_and_not1_saveexec_b32 s3, s3
; %bb.71:
	v_and_b32_e32 v78, 0xffff, v79
	v_or_b32_e32 v83, 0x10000, v79
	s_delay_alu instid0(VALU_DEP_2) | instskip(NEXT) | instid1(VALU_DEP_2)
	v_cmp_eq_u32_e32 vcc_lo, 0, v78
	v_cndmask_b32_e32 v78, v83, v79, vcc_lo
; %bb.72:
	s_or_b32 exec_lo, exec_lo, s3
	v_and_b32_e32 v79, 0x7f800000, v70
	s_delay_alu instid0(VALU_DEP_1) | instskip(SKIP_1) | instid1(SALU_CYCLE_1)
	v_cmp_ne_u32_e32 vcc_lo, 0x7f800000, v79
                                        ; implicit-def: $vgpr79
	s_and_saveexec_b32 s3, vcc_lo
	s_xor_b32 s3, exec_lo, s3
; %bb.73:
	v_bfe_u32 v79, v70, 16, 1
	s_delay_alu instid0(VALU_DEP_1)
	v_add3_u32 v79, v70, v79, 0x7fff
                                        ; implicit-def: $vgpr70
; %bb.74:
	s_and_not1_saveexec_b32 s3, s3
; %bb.75:
	v_and_b32_e32 v79, 0xffff, v70
	v_or_b32_e32 v83, 0x10000, v70
	s_delay_alu instid0(VALU_DEP_2) | instskip(NEXT) | instid1(VALU_DEP_2)
	v_cmp_eq_u32_e32 vcc_lo, 0, v79
	v_cndmask_b32_e32 v79, v83, v70, vcc_lo
; %bb.76:
	s_or_b32 exec_lo, exec_lo, s3
	s_delay_alu instid0(VALU_DEP_1)
	v_perm_b32 v86, v79, v78, 0x7060302
	v_perm_b32 v85, v77, v82, 0x7060302
	;; [unrolled: 1-line block ×4, first 2 shown]
	v_lshl_or_b32 v82, v66, 11, v80
	ds_store_b128 v76, v[83:86] offset:1024
	s_waitcnt lgkmcnt(0)
	s_barrier
	buffer_gl0_inv
	ds_load_b128 v[69:72], v82
	ds_load_b128 v[83:86], v82 offset:16
	s_waitcnt lgkmcnt(1)
	v_lshrrev_b32_e32 v66, 16, v69
	s_waitcnt lgkmcnt(0)
	v_lshrrev_b32_e32 v91, 16, v83
	v_lshlrev_b32_e32 v78, 2, v74
	v_lshrrev_b32_e32 v95, 16, v70
	v_lshrrev_b32_e32 v98, 16, v84
	;; [unrolled: 1-line block ×4, first 2 shown]
	v_cmp_eq_u32_e32 vcc_lo, 1, v78
	v_lshrrev_b32_e32 v97, 16, v72
	v_lshrrev_b32_e32 v100, 16, v86
	v_cndmask_b32_e32 v87, v83, v91, vcc_lo
	v_or_b32_e32 v79, 1, v78
	v_cndmask_b32_e32 v81, v69, v66, vcc_lo
	v_cmp_eq_u32_e64 s4, 2, v78
	v_cmp_eq_u32_e64 s7, 3, v78
	;; [unrolled: 1-line block ×5, first 2 shown]
	v_cndmask_b32_e64 v81, v81, v70, s4
	v_cndmask_b32_e64 v87, v87, v84, s4
	v_cmp_eq_u32_e64 s8, 3, v79
	v_cndmask_b32_e64 v88, v69, v66, s3
	v_or_b32_e32 v77, 2, v78
	v_cndmask_b32_e64 v81, v81, v95, s7
	v_cndmask_b32_e64 v87, v87, v98, s7
	;; [unrolled: 1-line block ×4, first 2 shown]
	v_cmp_eq_u32_e64 s10, 5, v78
	v_cndmask_b32_e64 v81, v81, v71, s9
	v_cndmask_b32_e64 v87, v87, v85, s9
	v_cmp_eq_u32_e64 s11, 4, v79
	v_cndmask_b32_e64 v88, v88, v95, s8
	v_cmp_eq_u32_e64 s5, 1, v77
	v_cndmask_b32_e64 v89, v89, v84, s6
	v_cndmask_b32_e64 v81, v81, v96, s10
	v_cmp_eq_u32_e64 s12, 6, v78
	v_cndmask_b32_e64 v88, v88, v71, s11
	;; [unrolled: 3-line block ×3, first 2 shown]
	v_cndmask_b32_e64 v89, v89, v98, s8
	v_cndmask_b32_e64 v81, v81, v72, s12
	v_cmp_eq_u32_e64 s15, 7, v78
	v_cndmask_b32_e64 v88, v88, v96, s13
	v_cndmask_b32_e64 v87, v87, v86, s12
	v_cmp_eq_u32_e64 s16, 6, v79
	v_cmp_eq_u32_e64 s17, 2, v77
	v_cndmask_b32_e64 v89, v89, v85, s11
	v_cndmask_b32_e64 v101, v81, v97, s15
	;; [unrolled: 1-line block ×6, first 2 shown]
	v_cmp_eq_u32_e64 s18, 7, v79
	v_cmp_eq_u32_e64 s19, 3, v77
	;; [unrolled: 1-line block ×4, first 2 shown]
	v_cndmask_b32_e64 v87, v87, v84, s17
	v_cndmask_b32_e64 v103, v88, v97, s18
	;; [unrolled: 1-line block ×4, first 2 shown]
	v_or_b32_e32 v81, 3, v78
	v_cndmask_b32_e64 v93, v87, v98, s19
	v_cmp_eq_u32_e64 s24, 6, v77
	v_cndmask_b32_e64 v104, v88, v86, s16
	v_cndmask_b32_e64 v92, v89, v71, s20
	v_cmp_eq_u32_e64 s21, 1, v81
	ds_load_b128 v[87:90], v82 offset:1024
	v_cmp_eq_u32_e64 s23, 2, v81
	v_cmp_eq_u32_e64 s25, 3, v81
	v_cndmask_b32_e64 v105, v92, v96, s22
	v_cndmask_b32_e64 v66, v69, v66, s21
	;; [unrolled: 1-line block ×4, first 2 shown]
	ds_load_b128 v[91:94], v82 offset:1040
	v_cmp_eq_u32_e64 s26, 4, v81
	v_cndmask_b32_e64 v66, v66, v70, s23
	v_cmp_eq_u32_e64 s27, 7, v77
	v_cndmask_b32_e64 v70, v83, v84, s23
	v_cndmask_b32_e64 v84, v105, v72, s24
	v_cmp_eq_u32_e64 s28, 5, v81
	v_cndmask_b32_e64 v66, v66, v95, s25
	v_cmp_eq_u32_e64 s29, 6, v81
	v_cndmask_b32_e64 v70, v70, v98, s25
	v_cndmask_b32_e64 v69, v69, v99, s22
	;; [unrolled: 1-line block ×4, first 2 shown]
	s_waitcnt lgkmcnt(1)
	v_lshrrev_b32_e32 v95, 16, v87
	v_cndmask_b32_e64 v70, v70, v85, s26
	v_cndmask_b32_e64 v71, v84, v97, s27
	;; [unrolled: 1-line block ×4, first 2 shown]
	v_cndmask_b32_e32 v84, v87, v95, vcc_lo
	v_cndmask_b32_e64 v70, v70, v99, s28
	s_waitcnt lgkmcnt(0)
	v_lshrrev_b32_e32 v85, 16, v91
	v_lshrrev_b32_e32 v96, 16, v88
	v_cndmask_b32_e64 v98, v87, v95, s3
	v_cndmask_b32_e64 v84, v84, v88, s4
	v_cndmask_b32_e64 v70, v70, v86, s29
	v_cndmask_b32_e32 v99, v91, v85, vcc_lo
	v_cmp_eq_u32_e32 vcc_lo, 7, v81
	v_cndmask_b32_e64 v66, v66, v72, s29
	v_cndmask_b32_e64 v72, v84, v96, s7
	;; [unrolled: 1-line block ×3, first 2 shown]
	v_lshrrev_b32_e32 v98, 16, v92
	v_cndmask_b32_e32 v70, v70, v100, vcc_lo
	v_cndmask_b32_e64 v86, v99, v92, s4
	v_cndmask_b32_e64 v69, v69, v100, s27
	v_lshrrev_b32_e32 v100, 16, v93
	v_cndmask_b32_e64 v72, v72, v89, s9
	v_lshrrev_b32_e32 v99, 16, v89
	v_cndmask_b32_e64 v86, v86, v98, s7
	v_perm_b32 v71, v69, v71, 0x5040100
	v_cndmask_b32_e64 v84, v84, v96, s8
	s_delay_alu instid0(VALU_DEP_3) | instskip(NEXT) | instid1(VALU_DEP_2)
	v_cndmask_b32_e64 v86, v86, v93, s9
	v_cndmask_b32_e64 v84, v84, v89, s11
	s_delay_alu instid0(VALU_DEP_2) | instskip(NEXT) | instid1(VALU_DEP_1)
	v_cndmask_b32_e64 v86, v86, v100, s10
	v_cndmask_b32_e64 v69, v86, v94, s12
	;; [unrolled: 1-line block ×5, first 2 shown]
	s_delay_alu instid0(VALU_DEP_3) | instskip(NEXT) | instid1(VALU_DEP_3)
	v_cndmask_b32_e64 v86, v86, v88, s17
	v_cndmask_b32_e64 v87, v87, v88, s23
	s_delay_alu instid0(VALU_DEP_3) | instskip(NEXT) | instid1(VALU_DEP_3)
	v_cndmask_b32_e64 v88, v95, v92, s23
	v_cndmask_b32_e64 v86, v86, v96, s19
	;; [unrolled: 3-line block ×7, first 2 shown]
	s_delay_alu instid0(VALU_DEP_3) | instskip(SKIP_2) | instid1(VALU_DEP_2)
	v_cndmask_b32_e64 v88, v88, v94, s29
	v_cndmask_b32_e32 v66, v66, v97, vcc_lo
	v_cndmask_b32_e64 v97, v72, v99, s10
	v_perm_b32 v72, v70, v66, 0x5040100
	v_perm_b32 v70, v83, v103, 0x5040100
	v_cndmask_b32_e64 v103, v91, v85, s5
	v_cndmask_b32_e64 v85, v91, v85, s3
	;; [unrolled: 1-line block ×4, first 2 shown]
	v_lshrrev_b32_e32 v97, 16, v90
	v_cndmask_b32_e64 v91, v103, v92, s17
	v_cndmask_b32_e64 v85, v85, v92, s6
	;; [unrolled: 1-line block ×3, first 2 shown]
	s_mov_b32 s3, exec_lo
	v_cndmask_b32_e64 v83, v84, v97, s15
	v_cndmask_b32_e64 v91, v91, v98, s19
	v_cndmask_b32_e64 v85, v85, v98, s8
	v_lshrrev_b32_e32 v84, 16, v94
	v_cndmask_b32_e64 v66, v66, v97, s18
	v_cndmask_b32_e64 v90, v86, v97, s27
	;; [unrolled: 1-line block ×4, first 2 shown]
	v_dual_cndmask_b32 v86, v87, v97 :: v_dual_cndmask_b32 v87, v88, v84
	v_cndmask_b32_e64 v91, v69, v84, s15
	s_delay_alu instid0(VALU_DEP_4) | instskip(NEXT) | instid1(VALU_DEP_4)
	v_cndmask_b32_e64 v89, v89, v100, s22
	v_cndmask_b32_e64 v85, v85, v100, s13
	v_perm_b32 v69, v102, v101, 0x5040100
	v_perm_b32 v86, v87, v86, 0x5040100
	;; [unrolled: 1-line block ×3, first 2 shown]
	v_cndmask_b32_e64 v89, v89, v94, s24
	v_cndmask_b32_e64 v85, v85, v94, s16
	s_mul_i32 s8, s35, 9
	s_delay_alu instid0(VALU_DEP_2) | instskip(NEXT) | instid1(VALU_DEP_2)
	v_cndmask_b32_e64 v88, v89, v84, s27
	v_cndmask_b32_e64 v89, v85, v84, s18
	s_delay_alu instid0(VALU_DEP_2) | instskip(NEXT) | instid1(VALU_DEP_2)
	v_perm_b32 v85, v88, v90, 0x5040100
	v_perm_b32 v84, v89, v66, 0x5040100
	ds_store_b128 v76, v[69:72]
	ds_store_b128 v76, v[83:86] offset:1024
	v_cmpx_gt_u32_e32 9, v0
	s_cbranch_execz .LBB1514_78
; %bb.77:
	s_mul_i32 s4, s8, s30
	s_delay_alu instid0(SALU_CYCLE_1) | instskip(SKIP_1) | instid1(VALU_DEP_1)
	v_add3_u32 v69, s4, s31, v65
	s_load_b128 s[4:7], s[0:1], 0x58
	v_mad_u64_u32 v[65:66], null, v69, s34, s[14:15]
	s_delay_alu instid0(VALU_DEP_1) | instskip(NEXT) | instid1(VALU_DEP_1)
	v_ashrrev_i32_e32 v66, 31, v65
	v_lshlrev_b64 v[65:66], 2, v[65:66]
	s_waitcnt lgkmcnt(0)
	s_delay_alu instid0(VALU_DEP_1) | instskip(NEXT) | instid1(VALU_DEP_2)
	v_add_co_u32 v69, vcc_lo, s6, v65
	v_add_co_ci_u32_e32 v70, vcc_lo, s7, v66, vcc_lo
	v_add_co_u32 v65, vcc_lo, s4, v65
	v_add_co_ci_u32_e32 v66, vcc_lo, s5, v66, vcc_lo
	global_store_b32 v[69:70], v67, off
	global_store_b32 v[65:66], v68, off
.LBB1514_78:
	s_or_b32 exec_lo, exec_lo, s3
	s_waitcnt lgkmcnt(0)
	s_waitcnt_vscnt null, 0x0
	s_barrier
	buffer_gl0_inv
	ds_load_b128 v[83:86], v80
	ds_load_b128 v[87:90], v80 offset:16
	ds_load_b128 v[95:98], v80 offset:2064
	;; [unrolled: 1-line block ×3, first 2 shown]
	v_mov_b32_e32 v65, 0
	ds_load_b128 v[103:106], v80 offset:4112
	ds_load_b128 v[99:102], v80 offset:4096
	;; [unrolled: 1-line block ×4, first 2 shown]
	v_mov_b32_e32 v66, v65
	v_mov_b32_e32 v67, v65
	;; [unrolled: 1-line block ×7, first 2 shown]
	s_waitcnt lgkmcnt(6)
	s_delay_alu instid0(VALU_DEP_1)
	v_wmma_f32_16x16x16_bf16 v[65:72], v[49:56], v[83:90], v[65:72]
	ds_load_b128 v[53:56], v80 offset:8208
	ds_load_b128 v[49:52], v80 offset:8192
	s_waitcnt lgkmcnt(6)
	v_wmma_f32_16x16x16_bf16 v[65:72], v[41:48], v[91:98], v[65:72]
	ds_load_b128 v[45:48], v80 offset:10256
	ds_load_b128 v[41:44], v80 offset:10240
	s_waitcnt lgkmcnt(6)
	;; [unrolled: 4-line block ×4, first 2 shown]
	v_wmma_f32_16x16x16_bf16 v[65:72], v[1:8], v[49:56], v[65:72]
	s_waitcnt lgkmcnt(4)
	s_delay_alu instid0(VALU_DEP_1) | instskip(SKIP_1) | instid1(VALU_DEP_1)
	v_wmma_f32_16x16x16_bf16 v[65:72], v[9:16], v[41:48], v[65:72]
	s_waitcnt lgkmcnt(2)
	v_wmma_f32_16x16x16_bf16 v[65:72], v[17:24], v[33:40], v[65:72]
	s_waitcnt lgkmcnt(0)
	s_delay_alu instid0(VALU_DEP_1) | instskip(NEXT) | instid1(VALU_DEP_1)
	v_wmma_f32_16x16x16_bf16 v[65:72], v[57:64], v[25:32], v[65:72]
	v_and_b32_e32 v1, 0x7f800000, v65
	s_delay_alu instid0(VALU_DEP_1) | instskip(SKIP_1) | instid1(SALU_CYCLE_1)
	v_cmp_ne_u32_e32 vcc_lo, 0x7f800000, v1
                                        ; implicit-def: $vgpr1
	s_and_saveexec_b32 s3, vcc_lo
	s_xor_b32 s3, exec_lo, s3
; %bb.79:
	v_bfe_u32 v1, v65, 16, 1
	s_delay_alu instid0(VALU_DEP_1)
	v_add3_u32 v1, v65, v1, 0x7fff
; %bb.80:
	s_and_not1_saveexec_b32 s3, s3
; %bb.81:
	v_and_b32_e32 v1, 0xffff, v65
	v_or_b32_e32 v2, 0x10000, v65
	s_delay_alu instid0(VALU_DEP_2) | instskip(NEXT) | instid1(VALU_DEP_2)
	v_cmp_eq_u32_e32 vcc_lo, 0, v1
	v_cndmask_b32_e32 v1, v2, v65, vcc_lo
; %bb.82:
	s_or_b32 exec_lo, exec_lo, s3
	v_and_b32_e32 v2, 0x7f800000, v66
	s_delay_alu instid0(VALU_DEP_1) | instskip(SKIP_1) | instid1(SALU_CYCLE_1)
	v_cmp_ne_u32_e32 vcc_lo, 0x7f800000, v2
                                        ; implicit-def: $vgpr2
	s_and_saveexec_b32 s3, vcc_lo
	s_xor_b32 s3, exec_lo, s3
; %bb.83:
	v_bfe_u32 v2, v66, 16, 1
	s_delay_alu instid0(VALU_DEP_1)
	v_add3_u32 v2, v66, v2, 0x7fff
; %bb.84:
	s_and_not1_saveexec_b32 s3, s3
; %bb.85:
	v_and_b32_e32 v2, 0xffff, v66
	v_or_b32_e32 v3, 0x10000, v66
	s_delay_alu instid0(VALU_DEP_2) | instskip(NEXT) | instid1(VALU_DEP_2)
	v_cmp_eq_u32_e32 vcc_lo, 0, v2
	v_cndmask_b32_e32 v2, v3, v66, vcc_lo
; %bb.86:
	s_or_b32 exec_lo, exec_lo, s3
	v_and_b32_e32 v3, 0x7f800000, v67
	s_delay_alu instid0(VALU_DEP_1) | instskip(SKIP_1) | instid1(SALU_CYCLE_1)
	v_cmp_ne_u32_e32 vcc_lo, 0x7f800000, v3
                                        ; implicit-def: $vgpr3
	s_and_saveexec_b32 s3, vcc_lo
	s_xor_b32 s3, exec_lo, s3
; %bb.87:
	v_bfe_u32 v3, v67, 16, 1
	s_delay_alu instid0(VALU_DEP_1)
	v_add3_u32 v3, v67, v3, 0x7fff
; %bb.88:
	s_and_not1_saveexec_b32 s3, s3
; %bb.89:
	v_and_b32_e32 v3, 0xffff, v67
	v_or_b32_e32 v4, 0x10000, v67
	s_delay_alu instid0(VALU_DEP_2) | instskip(NEXT) | instid1(VALU_DEP_2)
	v_cmp_eq_u32_e32 vcc_lo, 0, v3
	v_cndmask_b32_e32 v3, v4, v67, vcc_lo
; %bb.90:
	s_or_b32 exec_lo, exec_lo, s3
	v_and_b32_e32 v4, 0x7f800000, v68
	s_delay_alu instid0(VALU_DEP_1) | instskip(SKIP_1) | instid1(SALU_CYCLE_1)
	v_cmp_ne_u32_e32 vcc_lo, 0x7f800000, v4
                                        ; implicit-def: $vgpr4
	s_and_saveexec_b32 s3, vcc_lo
	s_xor_b32 s3, exec_lo, s3
; %bb.91:
	v_bfe_u32 v4, v68, 16, 1
	s_delay_alu instid0(VALU_DEP_1)
	v_add3_u32 v4, v68, v4, 0x7fff
; %bb.92:
	s_and_not1_saveexec_b32 s3, s3
; %bb.93:
	v_and_b32_e32 v4, 0xffff, v68
	v_or_b32_e32 v5, 0x10000, v68
	s_delay_alu instid0(VALU_DEP_2) | instskip(NEXT) | instid1(VALU_DEP_2)
	v_cmp_eq_u32_e32 vcc_lo, 0, v4
	v_cndmask_b32_e32 v4, v5, v68, vcc_lo
; %bb.94:
	s_or_b32 exec_lo, exec_lo, s3
	v_and_b32_e32 v5, 0x7f800000, v69
	s_delay_alu instid0(VALU_DEP_1) | instskip(SKIP_1) | instid1(SALU_CYCLE_1)
	v_cmp_ne_u32_e32 vcc_lo, 0x7f800000, v5
                                        ; implicit-def: $vgpr5
	s_and_saveexec_b32 s3, vcc_lo
	s_xor_b32 s3, exec_lo, s3
; %bb.95:
	v_bfe_u32 v5, v69, 16, 1
	s_delay_alu instid0(VALU_DEP_1)
	v_add3_u32 v5, v69, v5, 0x7fff
; %bb.96:
	s_and_not1_saveexec_b32 s3, s3
; %bb.97:
	v_and_b32_e32 v5, 0xffff, v69
	v_or_b32_e32 v6, 0x10000, v69
	s_delay_alu instid0(VALU_DEP_2) | instskip(NEXT) | instid1(VALU_DEP_2)
	v_cmp_eq_u32_e32 vcc_lo, 0, v5
	v_cndmask_b32_e32 v5, v6, v69, vcc_lo
; %bb.98:
	s_or_b32 exec_lo, exec_lo, s3
	v_and_b32_e32 v6, 0x7f800000, v70
	s_delay_alu instid0(VALU_DEP_1) | instskip(SKIP_1) | instid1(SALU_CYCLE_1)
	v_cmp_ne_u32_e32 vcc_lo, 0x7f800000, v6
                                        ; implicit-def: $vgpr6
	s_and_saveexec_b32 s3, vcc_lo
	s_xor_b32 s3, exec_lo, s3
; %bb.99:
	v_bfe_u32 v6, v70, 16, 1
	s_delay_alu instid0(VALU_DEP_1)
	v_add3_u32 v6, v70, v6, 0x7fff
; %bb.100:
	s_and_not1_saveexec_b32 s3, s3
; %bb.101:
	v_and_b32_e32 v6, 0xffff, v70
	v_or_b32_e32 v7, 0x10000, v70
	s_delay_alu instid0(VALU_DEP_2) | instskip(NEXT) | instid1(VALU_DEP_2)
	v_cmp_eq_u32_e32 vcc_lo, 0, v6
	v_cndmask_b32_e32 v6, v7, v70, vcc_lo
; %bb.102:
	s_or_b32 exec_lo, exec_lo, s3
	v_and_b32_e32 v7, 0x7f800000, v71
	s_delay_alu instid0(VALU_DEP_1) | instskip(SKIP_1) | instid1(SALU_CYCLE_1)
	v_cmp_ne_u32_e32 vcc_lo, 0x7f800000, v7
                                        ; implicit-def: $vgpr7
	s_and_saveexec_b32 s3, vcc_lo
	s_xor_b32 s3, exec_lo, s3
; %bb.103:
	v_bfe_u32 v7, v71, 16, 1
	s_delay_alu instid0(VALU_DEP_1)
	v_add3_u32 v7, v71, v7, 0x7fff
; %bb.104:
	s_and_not1_saveexec_b32 s3, s3
; %bb.105:
	v_and_b32_e32 v7, 0xffff, v71
	v_or_b32_e32 v8, 0x10000, v71
	s_delay_alu instid0(VALU_DEP_2) | instskip(NEXT) | instid1(VALU_DEP_2)
	v_cmp_eq_u32_e32 vcc_lo, 0, v7
	v_cndmask_b32_e32 v7, v8, v71, vcc_lo
; %bb.106:
	s_or_b32 exec_lo, exec_lo, s3
	v_and_b32_e32 v8, 0x7f800000, v72
	s_delay_alu instid0(VALU_DEP_1) | instskip(SKIP_1) | instid1(SALU_CYCLE_1)
	v_cmp_ne_u32_e32 vcc_lo, 0x7f800000, v8
                                        ; implicit-def: $vgpr8
	s_and_saveexec_b32 s3, vcc_lo
	s_xor_b32 s3, exec_lo, s3
; %bb.107:
	v_bfe_u32 v8, v72, 16, 1
	s_delay_alu instid0(VALU_DEP_1)
	v_add3_u32 v8, v72, v8, 0x7fff
                                        ; implicit-def: $vgpr65_vgpr66_vgpr67_vgpr68_vgpr69_vgpr70_vgpr71_vgpr72
; %bb.108:
	s_and_not1_saveexec_b32 s3, s3
; %bb.109:
	v_and_b32_e32 v8, 0xffff, v72
	v_or_b32_e32 v9, 0x10000, v72
	s_delay_alu instid0(VALU_DEP_2) | instskip(NEXT) | instid1(VALU_DEP_2)
	v_cmp_eq_u32_e32 vcc_lo, 0, v8
	v_cndmask_b32_e32 v8, v9, v72, vcc_lo
; %bb.110:
	s_or_b32 exec_lo, exec_lo, s3
	s_delay_alu instid0(VALU_DEP_1)
	v_perm_b32 v7, v8, v7, 0x7060302
	v_perm_b32 v6, v6, v5, 0x7060302
	;; [unrolled: 1-line block ×4, first 2 shown]
	s_barrier
	buffer_gl0_inv
	v_cmp_eq_u32_e32 vcc_lo, 1, v78
	ds_store_b128 v76, v[4:7]
	s_waitcnt lgkmcnt(0)
	s_barrier
	buffer_gl0_inv
	ds_load_b128 v[1:4], v82
	ds_load_b128 v[5:8], v82 offset:16
	v_cmp_eq_u32_e64 s3, 1, v79
	v_cmp_eq_u32_e64 s4, 2, v78
	;; [unrolled: 1-line block ×5, first 2 shown]
	s_waitcnt lgkmcnt(1)
	v_lshrrev_b32_e32 v9, 16, v1
	s_waitcnt lgkmcnt(0)
	v_lshrrev_b32_e32 v13, 16, v5
	v_lshrrev_b32_e32 v10, 16, v2
	;; [unrolled: 1-line block ×4, first 2 shown]
	v_cndmask_b32_e64 v19, v1, v9, s3
	v_cndmask_b32_e32 v18, v5, v13, vcc_lo
	v_cndmask_b32_e64 v20, v5, v13, s3
	v_cndmask_b32_e32 v17, v1, v9, vcc_lo
	v_cmp_eq_u32_e32 vcc_lo, 2, v79
	v_lshrrev_b32_e32 v15, 16, v7
	v_cmp_eq_u32_e64 s3, 1, v77
	v_lshrrev_b32_e32 v12, 16, v4
	v_lshrrev_b32_e32 v16, 16, v8
	v_cndmask_b32_e32 v20, v20, v6, vcc_lo
	v_cndmask_b32_e64 v17, v17, v2, s4
	v_cndmask_b32_e32 v19, v19, v2, vcc_lo
	v_cndmask_b32_e64 v18, v18, v6, s4
	v_cmp_eq_u32_e32 vcc_lo, 4, v78
	v_cmp_eq_u32_e64 s4, 3, v79
	v_cndmask_b32_e64 v17, v17, v10, s5
	v_cndmask_b32_e64 v21, v1, v9, s3
	;; [unrolled: 1-line block ×5, first 2 shown]
	v_cndmask_b32_e32 v17, v17, v3, vcc_lo
	v_cndmask_b32_e64 v20, v20, v14, s4
	v_cndmask_b32_e32 v18, v18, v7, vcc_lo
	v_cmp_eq_u32_e32 vcc_lo, 4, v79
	v_cmp_eq_u32_e64 s4, 5, v79
	v_cmp_eq_u32_e64 s3, 2, v81
	v_cndmask_b32_e64 v21, v21, v2, s7
	v_cmp_eq_u32_e64 s5, 5, v78
	v_cndmask_b32_e32 v19, v19, v3, vcc_lo
	v_cndmask_b32_e32 v20, v20, v7, vcc_lo
	v_cmp_eq_u32_e32 vcc_lo, 6, v79
	s_delay_alu instid0(VALU_DEP_4) | instskip(NEXT) | instid1(VALU_DEP_4)
	v_cndmask_b32_e64 v17, v17, v11, s5
	v_cndmask_b32_e64 v19, v19, v11, s4
	s_delay_alu instid0(VALU_DEP_4) | instskip(SKIP_1) | instid1(VALU_DEP_3)
	v_cndmask_b32_e64 v20, v20, v15, s4
	v_cmp_eq_u32_e64 s4, 1, v81
	v_cndmask_b32_e32 v19, v19, v4, vcc_lo
	v_cndmask_b32_e64 v18, v18, v15, s5
	s_delay_alu instid0(VALU_DEP_3)
	v_cndmask_b32_e64 v1, v1, v9, s4
	v_cndmask_b32_e64 v5, v5, v13, s4
	v_cmp_eq_u32_e64 s4, 3, v77
	v_cndmask_b32_e64 v13, v22, v6, s7
	v_cmp_eq_u32_e64 s7, 3, v81
	v_cndmask_b32_e64 v1, v1, v2, s3
	v_cndmask_b32_e64 v2, v5, v6, s3
	;; [unrolled: 1-line block ×3, first 2 shown]
	v_cmp_eq_u32_e64 s3, 4, v77
	v_cndmask_b32_e64 v6, v13, v14, s4
	v_cndmask_b32_e64 v1, v1, v10, s7
	v_cmp_eq_u32_e64 s4, 4, v81
	v_cndmask_b32_e64 v2, v2, v14, s7
	v_cndmask_b32_e64 v5, v9, v3, s3
	;; [unrolled: 3-line block ×3, first 2 shown]
	v_cndmask_b32_e64 v2, v2, v7, s4
	v_cmp_eq_u32_e64 s3, 5, v81
	v_cmp_eq_u32_e64 s5, 6, v78
	v_cndmask_b32_e64 v5, v5, v11, s7
	v_cmp_eq_u32_e64 s4, 6, v77
	v_cndmask_b32_e64 v3, v6, v15, s7
	v_cndmask_b32_e64 v1, v1, v11, s3
	v_cmp_eq_u32_e64 s7, 6, v81
	v_cndmask_b32_e64 v2, v2, v15, s3
	v_cndmask_b32_e64 v17, v17, v4, s5
	v_cndmask_b32_e64 v18, v18, v8, s5
	v_cmp_eq_u32_e64 s5, 7, v78
	v_cndmask_b32_e64 v5, v5, v4, s4
	;; [unrolled: 4-line block ×3, first 2 shown]
	v_cmp_eq_u32_e64 s4, 7, v77
	v_cndmask_b32_e32 v4, v20, v8, vcc_lo
	v_cndmask_b32_e64 v17, v17, v12, s5
	v_cndmask_b32_e64 v19, v19, v12, s6
	;; [unrolled: 1-line block ×8, first 2 shown]
	s_mov_b32 s3, exec_lo
	v_perm_b32 v4, v2, v1, 0x5040100
	v_perm_b32 v3, v3, v5, 0x5040100
	;; [unrolled: 1-line block ×4, first 2 shown]
	ds_store_b128 v76, v[1:4]
	s_waitcnt lgkmcnt(0)
	s_barrier
	buffer_gl0_inv
	v_cmpx_gt_u32_e32 32, v0
	s_cbranch_execz .LBB1514_2
; %bb.111:
	s_load_b64 s[4:5], s[0:1], 0x68
	v_lshlrev_b32_e32 v0, 10, v0
	v_lshlrev_b32_e32 v1, 4, v75
	s_lshl_b32 s0, s34, 7
	v_add_nc_u32_e32 v2, s31, v74
	s_mul_i32 s1, s0, s30
	s_delay_alu instid0(SALU_CYCLE_1) | instskip(SKIP_1) | instid1(VALU_DEP_2)
	s_mul_i32 s6, s1, s8
	v_and_or_b32 v0, 0x3800, v0, v1
	v_mul_lo_u32 v1, v2, s0
	s_ashr_i32 s7, s6, 31
	v_add_nc_u32_e32 v3, 2, v2
	s_lshl_b64 s[6:7], s[6:7], 1
	v_add_nc_u32_e32 v4, 4, v2
	v_add_nc_u32_e32 v5, 6, v2
	v_lshl_or_b32 v15, v74, 6, v0
	v_mul_lo_u32 v3, v3, s0
	v_ashrrev_i32_e32 v2, 31, v1
	v_mul_lo_u32 v19, v4, s0
	v_mul_lo_u32 v21, v5, s0
	s_waitcnt lgkmcnt(0)
	s_add_u32 s1, s4, s6
	s_addc_u32 s3, s5, s7
	s_lshl_b32 s4, s14, 7
	v_lshlrev_b64 v[5:6], 1, v[1:2]
	s_ashr_i32 s5, s4, 31
	v_ashrrev_i32_e32 v4, 31, v3
	s_lshl_b64 s[4:5], s[4:5], 1
	v_ashrrev_i32_e32 v20, 31, v19
	s_add_u32 s1, s1, s4
	s_addc_u32 s3, s3, s5
	v_add_co_u32 v1, s1, s1, v73
	s_delay_alu instid0(VALU_DEP_1) | instskip(SKIP_1) | instid1(VALU_DEP_3)
	v_add_co_ci_u32_e64 v2, null, s3, 0, s1
	v_lshlrev_b64 v[25:26], 1, v[3:4]
	v_add_co_u32 v23, vcc_lo, v1, v5
	s_delay_alu instid0(VALU_DEP_3)
	v_add_co_ci_u32_e32 v24, vcc_lo, v2, v6, vcc_lo
	ds_load_b128 v[3:6], v15
	ds_load_b128 v[7:10], v15 offset:128
	ds_load_b128 v[11:14], v15 offset:256
	;; [unrolled: 1-line block ×3, first 2 shown]
	v_ashrrev_i32_e32 v22, 31, v21
	v_lshlrev_b64 v[19:20], 1, v[19:20]
	v_add_co_u32 v25, vcc_lo, v1, v25
	v_add_co_ci_u32_e32 v26, vcc_lo, v2, v26, vcc_lo
	s_delay_alu instid0(VALU_DEP_4) | instskip(NEXT) | instid1(VALU_DEP_4)
	v_lshlrev_b64 v[21:22], 1, v[21:22]
	v_add_co_u32 v19, vcc_lo, v1, v19
	v_add_co_ci_u32_e32 v20, vcc_lo, v2, v20, vcc_lo
	s_delay_alu instid0(VALU_DEP_3) | instskip(NEXT) | instid1(VALU_DEP_4)
	v_add_co_u32 v21, vcc_lo, v1, v21
	v_add_co_ci_u32_e32 v22, vcc_lo, v2, v22, vcc_lo
	s_waitcnt lgkmcnt(3)
	global_store_b128 v[23:24], v[3:6], off
	s_waitcnt lgkmcnt(2)
	global_store_b128 v[25:26], v[7:10], off
	;; [unrolled: 2-line block ×4, first 2 shown]
	s_and_b32 exec_lo, exec_lo, s2
	s_cbranch_execz .LBB1514_2
; %bb.112:
	ds_load_b128 v[3:6], v0 offset:512
	s_add_i32 s1, s31, 8
	s_delay_alu instid0(SALU_CYCLE_1) | instskip(NEXT) | instid1(SALU_CYCLE_1)
	s_mul_i32 s0, s1, s0
	s_ashr_i32 s1, s0, 31
	s_delay_alu instid0(SALU_CYCLE_1) | instskip(NEXT) | instid1(SALU_CYCLE_1)
	s_lshl_b64 s[0:1], s[0:1], 1
	v_add_co_u32 v0, vcc_lo, v1, s0
	v_add_co_ci_u32_e32 v1, vcc_lo, s1, v2, vcc_lo
	s_waitcnt lgkmcnt(0)
	global_store_b128 v[0:1], v[3:6], off
	s_nop 0
	s_sendmsg sendmsg(MSG_DEALLOC_VGPRS)
	s_endpgm
	.section	.rodata,"a",@progbits
	.p2align	6, 0x0
	.amdhsa_kernel _Z39paged_attention_ll4mi_QKV_mfma16_kernelI14__hip_bfloat16hLN4vllm18Fp8KVCacheDataTypeE1EhLi16ELi128ELi256ELb1ELi9EL8MFMAType1EEvPKT_PKT0_S9_ifPKiSB_SB_iPKfiiiPfSE_PS4_PT2_iSD_SD_
		.amdhsa_group_segment_fixed_size 17472
		.amdhsa_private_segment_fixed_size 0
		.amdhsa_kernarg_size 400
		.amdhsa_user_sgpr_count 13
		.amdhsa_user_sgpr_dispatch_ptr 0
		.amdhsa_user_sgpr_queue_ptr 0
		.amdhsa_user_sgpr_kernarg_segment_ptr 1
		.amdhsa_user_sgpr_dispatch_id 0
		.amdhsa_user_sgpr_private_segment_size 0
		.amdhsa_wavefront_size32 1
		.amdhsa_uses_dynamic_stack 0
		.amdhsa_enable_private_segment 0
		.amdhsa_system_sgpr_workgroup_id_x 1
		.amdhsa_system_sgpr_workgroup_id_y 1
		.amdhsa_system_sgpr_workgroup_id_z 1
		.amdhsa_system_sgpr_workgroup_info 0
		.amdhsa_system_vgpr_workitem_id 0
		.amdhsa_next_free_vgpr 140
		.amdhsa_next_free_sgpr 36
		.amdhsa_reserve_vcc 1
		.amdhsa_float_round_mode_32 0
		.amdhsa_float_round_mode_16_64 0
		.amdhsa_float_denorm_mode_32 3
		.amdhsa_float_denorm_mode_16_64 3
		.amdhsa_dx10_clamp 1
		.amdhsa_ieee_mode 1
		.amdhsa_fp16_overflow 0
		.amdhsa_workgroup_processor_mode 1
		.amdhsa_memory_ordered 1
		.amdhsa_forward_progress 0
		.amdhsa_shared_vgpr_count 0
		.amdhsa_exception_fp_ieee_invalid_op 0
		.amdhsa_exception_fp_denorm_src 0
		.amdhsa_exception_fp_ieee_div_zero 0
		.amdhsa_exception_fp_ieee_overflow 0
		.amdhsa_exception_fp_ieee_underflow 0
		.amdhsa_exception_fp_ieee_inexact 0
		.amdhsa_exception_int_div_zero 0
	.end_amdhsa_kernel
	.section	.text._Z39paged_attention_ll4mi_QKV_mfma16_kernelI14__hip_bfloat16hLN4vllm18Fp8KVCacheDataTypeE1EhLi16ELi128ELi256ELb1ELi9EL8MFMAType1EEvPKT_PKT0_S9_ifPKiSB_SB_iPKfiiiPfSE_PS4_PT2_iSD_SD_,"axG",@progbits,_Z39paged_attention_ll4mi_QKV_mfma16_kernelI14__hip_bfloat16hLN4vllm18Fp8KVCacheDataTypeE1EhLi16ELi128ELi256ELb1ELi9EL8MFMAType1EEvPKT_PKT0_S9_ifPKiSB_SB_iPKfiiiPfSE_PS4_PT2_iSD_SD_,comdat
.Lfunc_end1514:
	.size	_Z39paged_attention_ll4mi_QKV_mfma16_kernelI14__hip_bfloat16hLN4vllm18Fp8KVCacheDataTypeE1EhLi16ELi128ELi256ELb1ELi9EL8MFMAType1EEvPKT_PKT0_S9_ifPKiSB_SB_iPKfiiiPfSE_PS4_PT2_iSD_SD_, .Lfunc_end1514-_Z39paged_attention_ll4mi_QKV_mfma16_kernelI14__hip_bfloat16hLN4vllm18Fp8KVCacheDataTypeE1EhLi16ELi128ELi256ELb1ELi9EL8MFMAType1EEvPKT_PKT0_S9_ifPKiSB_SB_iPKfiiiPfSE_PS4_PT2_iSD_SD_
                                        ; -- End function
	.section	.AMDGPU.csdata,"",@progbits
; Kernel info:
; codeLenInByte = 8940
; NumSgprs: 38
; NumVgprs: 140
; ScratchSize: 0
; MemoryBound: 0
; FloatMode: 240
; IeeeMode: 1
; LDSByteSize: 17472 bytes/workgroup (compile time only)
; SGPRBlocks: 4
; VGPRBlocks: 17
; NumSGPRsForWavesPerEU: 38
; NumVGPRsForWavesPerEU: 140
; Occupancy: 10
; WaveLimiterHint : 1
; COMPUTE_PGM_RSRC2:SCRATCH_EN: 0
; COMPUTE_PGM_RSRC2:USER_SGPR: 13
; COMPUTE_PGM_RSRC2:TRAP_HANDLER: 0
; COMPUTE_PGM_RSRC2:TGID_X_EN: 1
; COMPUTE_PGM_RSRC2:TGID_Y_EN: 1
; COMPUTE_PGM_RSRC2:TGID_Z_EN: 1
; COMPUTE_PGM_RSRC2:TIDIG_COMP_CNT: 0
	.section	.text._Z39paged_attention_ll4mi_QKV_mfma16_kernelI14__hip_bfloat16hLN4vllm18Fp8KVCacheDataTypeE1EhLi16ELi128ELi256ELb1ELi10EL8MFMAType1EEvPKT_PKT0_S9_ifPKiSB_SB_iPKfiiiPfSE_PS4_PT2_iSD_SD_,"axG",@progbits,_Z39paged_attention_ll4mi_QKV_mfma16_kernelI14__hip_bfloat16hLN4vllm18Fp8KVCacheDataTypeE1EhLi16ELi128ELi256ELb1ELi10EL8MFMAType1EEvPKT_PKT0_S9_ifPKiSB_SB_iPKfiiiPfSE_PS4_PT2_iSD_SD_,comdat
	.protected	_Z39paged_attention_ll4mi_QKV_mfma16_kernelI14__hip_bfloat16hLN4vllm18Fp8KVCacheDataTypeE1EhLi16ELi128ELi256ELb1ELi10EL8MFMAType1EEvPKT_PKT0_S9_ifPKiSB_SB_iPKfiiiPfSE_PS4_PT2_iSD_SD_ ; -- Begin function _Z39paged_attention_ll4mi_QKV_mfma16_kernelI14__hip_bfloat16hLN4vllm18Fp8KVCacheDataTypeE1EhLi16ELi128ELi256ELb1ELi10EL8MFMAType1EEvPKT_PKT0_S9_ifPKiSB_SB_iPKfiiiPfSE_PS4_PT2_iSD_SD_
	.globl	_Z39paged_attention_ll4mi_QKV_mfma16_kernelI14__hip_bfloat16hLN4vllm18Fp8KVCacheDataTypeE1EhLi16ELi128ELi256ELb1ELi10EL8MFMAType1EEvPKT_PKT0_S9_ifPKiSB_SB_iPKfiiiPfSE_PS4_PT2_iSD_SD_
	.p2align	8
	.type	_Z39paged_attention_ll4mi_QKV_mfma16_kernelI14__hip_bfloat16hLN4vllm18Fp8KVCacheDataTypeE1EhLi16ELi128ELi256ELb1ELi10EL8MFMAType1EEvPKT_PKT0_S9_ifPKiSB_SB_iPKfiiiPfSE_PS4_PT2_iSD_SD_,@function
_Z39paged_attention_ll4mi_QKV_mfma16_kernelI14__hip_bfloat16hLN4vllm18Fp8KVCacheDataTypeE1EhLi16ELi128ELi256ELb1ELi10EL8MFMAType1EEvPKT_PKT0_S9_ifPKiSB_SB_iPKfiiiPfSE_PS4_PT2_iSD_SD_: ; @_Z39paged_attention_ll4mi_QKV_mfma16_kernelI14__hip_bfloat16hLN4vllm18Fp8KVCacheDataTypeE1EhLi16ELi128ELi256ELb1ELi10EL8MFMAType1EEvPKT_PKT0_S9_ifPKiSB_SB_iPKfiiiPfSE_PS4_PT2_iSD_SD_
; %bb.0:
	s_load_b64 s[4:5], s[0:1], 0x30
	s_mov_b32 s30, s13
	s_waitcnt lgkmcnt(0)
	s_cmp_lg_u64 s[4:5], 0
	s_cselect_b32 s13, -1, 0
	s_ashr_i32 s31, s30, 31
	s_cmp_eq_u64 s[4:5], 0
	s_cbranch_scc1 .LBB1515_3
; %bb.1:
	s_lshl_b64 s[2:3], s[30:31], 2
	s_delay_alu instid0(SALU_CYCLE_1) | instskip(SKIP_4) | instid1(SALU_CYCLE_1)
	s_add_u32 s2, s4, s2
	s_addc_u32 s3, s5, s3
	s_load_b64 s[2:3], s[2:3], 0x0
	s_waitcnt lgkmcnt(0)
	s_sub_i32 s2, s3, s2
	s_cmp_eq_u32 s2, 1
	s_cselect_b32 s2, -1, 0
	s_delay_alu instid0(SALU_CYCLE_1)
	s_and_not1_b32 vcc_lo, exec_lo, s2
	s_cbranch_vccz .LBB1515_4
.LBB1515_2:
	s_endpgm
.LBB1515_3:
.LBB1515_4:
	s_load_b64 s[2:3], s[0:1], 0x28
	s_lshl_b64 s[6:7], s[30:31], 2
	s_waitcnt lgkmcnt(0)
	s_add_u32 s2, s2, s6
	s_addc_u32 s3, s3, s7
	s_lshl_b32 s12, s14, 8
	s_load_b32 s17, s[2:3], 0x0
	s_waitcnt lgkmcnt(0)
	s_cmp_ge_i32 s12, s17
	s_cbranch_scc1 .LBB1515_2
; %bb.5:
	s_clause 0x1
	s_load_b128 s[8:11], s[0:1], 0x8
	s_load_b64 s[2:3], s[0:1], 0x20
	s_and_not1_b32 vcc_lo, exec_lo, s13
	s_cbranch_vccnz .LBB1515_7
; %bb.6:
	s_add_u32 s4, s4, s6
	s_addc_u32 s5, s5, s7
	s_load_b32 s13, s[4:5], 0x0
	s_branch .LBB1515_8
.LBB1515_7:
	s_mov_b32 s13, s30
.LBB1515_8:
	s_load_b128 s[4:7], s[0:1], 0x48
	v_and_b32_e32 v65, 15, v0
	v_lshrrev_b32_e32 v66, 5, v0
	v_and_b32_e32 v67, 31, v0
	v_and_b32_e32 v75, 1, v0
	v_bfe_u32 v74, v0, 4, 1
	v_lshlrev_b32_e32 v1, 3, v65
	s_mul_i32 s29, s15, 10
	s_waitcnt lgkmcnt(0)
	s_mov_b32 s7, exec_lo
	s_delay_alu instid0(VALU_DEP_1)
	v_lshlrev_b32_e32 v73, 1, v1
	v_cmpx_gt_u32_e32 0xa0, v0
	s_cbranch_execz .LBB1515_10
; %bb.9:
	s_load_b64 s[18:19], s[0:1], 0x0
	v_lshl_or_b32 v5, v66, 1, v74
	s_mul_hi_i32 s21, s13, s4
	s_mul_i32 s20, s13, s4
	v_lshlrev_b32_e32 v6, 10, v65
	s_lshl_b64 s[20:21], s[20:21], 1
	v_add_lshl_u32 v1, v5, s29, 7
	v_lshlrev_b32_e32 v5, 6, v5
	v_lshlrev_b32_e32 v7, 10, v75
	v_and_b32_e32 v6, 0x3800, v6
	s_delay_alu instid0(VALU_DEP_4) | instskip(NEXT) | instid1(VALU_DEP_2)
	v_ashrrev_i32_e32 v2, 31, v1
	v_or3_b32 v5, v6, v7, v5
	s_delay_alu instid0(VALU_DEP_2) | instskip(SKIP_3) | instid1(VALU_DEP_1)
	v_lshlrev_b64 v[1:2], 1, v[1:2]
	s_waitcnt lgkmcnt(0)
	s_add_u32 s4, s18, s20
	s_addc_u32 s13, s19, s21
	v_add_co_u32 v1, vcc_lo, s4, v1
	s_delay_alu instid0(VALU_DEP_2) | instskip(NEXT) | instid1(VALU_DEP_2)
	v_add_co_ci_u32_e32 v2, vcc_lo, s13, v2, vcc_lo
	v_add_co_u32 v1, vcc_lo, v1, v73
	s_delay_alu instid0(VALU_DEP_2)
	v_add_co_ci_u32_e32 v2, vcc_lo, 0, v2, vcc_lo
	global_load_b128 v[1:4], v[1:2], off
	s_waitcnt vmcnt(0)
	ds_store_b128 v5, v[1:4]
.LBB1515_10:
	s_or_b32 exec_lo, exec_lo, s7
	v_and_b32_e32 v1, 0xef, v0
	s_add_i32 s4, s17, 15
	s_clause 0x1
	s_load_b32 s7, s[0:1], 0x38
	s_load_b32 s18, s[0:1], 0x1c
	s_ashr_i32 s13, s4, 31
	v_add_nc_u32_e32 v1, s12, v1
	s_lshr_b32 s13, s13, 28
	s_waitcnt lgkmcnt(0)
	s_add_i32 s4, s4, s13
	s_barrier
	v_ashrrev_i32_e32 v2, 31, v1
	v_or_b32_e32 v3, 16, v1
	s_ashr_i32 s4, s4, 4
	v_cmp_gt_i32_e32 vcc_lo, s17, v1
	s_add_i32 s4, s4, -1
	v_lshrrev_b32_e32 v2, 28, v2
	buffer_gl0_inv
	s_mul_i32 s15, s15, s6
	v_add_nc_u32_e32 v4, v1, v2
	s_mul_i32 s20, s30, s7
	s_delay_alu instid0(SALU_CYCLE_1) | instskip(NEXT) | instid1(VALU_DEP_1)
	s_ashr_i32 s21, s20, 31
	v_ashrrev_i32_e32 v4, 4, v4
	v_add_nc_u32_e32 v2, v3, v2
	s_lshl_b64 s[20:21], s[20:21], 2
	s_delay_alu instid0(SALU_CYCLE_1) | instskip(NEXT) | instid1(VALU_DEP_2)
	s_add_u32 s13, s2, s20
	v_cndmask_b32_e32 v1, s4, v4, vcc_lo
	s_delay_alu instid0(VALU_DEP_2)
	v_ashrrev_i32_e32 v2, 4, v2
	v_cmp_gt_i32_e32 vcc_lo, s17, v3
	s_addc_u32 s16, s3, s21
	s_ashr_i32 s19, s15, 31
	s_add_u32 s26, s8, s15
	s_addc_u32 s27, s9, s19
	v_cndmask_b32_e32 v3, s4, v2, vcc_lo
	v_ashrrev_i32_e32 v2, 31, v1
	s_lshl_b32 s2, s14, 4
	s_delay_alu instid0(SALU_CYCLE_1) | instskip(NEXT) | instid1(VALU_DEP_2)
	s_ashr_i32 s3, s2, 31
	v_ashrrev_i32_e32 v4, 31, v3
	s_delay_alu instid0(VALU_DEP_2) | instskip(SKIP_1) | instid1(SALU_CYCLE_1)
	v_lshlrev_b64 v[1:2], 2, v[1:2]
	s_lshl_b64 s[2:3], s[2:3], 2
	s_add_u32 s2, s13, s2
	s_delay_alu instid0(VALU_DEP_2) | instskip(SKIP_1) | instid1(VALU_DEP_2)
	v_lshlrev_b64 v[3:4], 2, v[3:4]
	s_addc_u32 s3, s16, s3
	v_add_co_u32 v1, vcc_lo, s13, v1
	v_add_co_ci_u32_e32 v2, vcc_lo, s16, v2, vcc_lo
	s_delay_alu instid0(VALU_DEP_3) | instskip(NEXT) | instid1(VALU_DEP_4)
	v_add_co_u32 v3, vcc_lo, s13, v3
	v_add_co_ci_u32_e32 v4, vcc_lo, s16, v4, vcc_lo
	s_clause 0x1
	global_load_b32 v5, v[1:2], off
	global_load_b32 v3, v[3:4], off
	s_or_b32 s6, s12, 32
	v_cmp_gt_u32_e32 vcc_lo, 10, v65
	s_ashr_i32 s7, s6, 4
	s_cmp_lt_i32 s6, s17
	s_cselect_b32 s6, s7, s4
	s_delay_alu instid0(SALU_CYCLE_1) | instskip(NEXT) | instid1(SALU_CYCLE_1)
	s_ashr_i32 s7, s6, 31
	s_lshl_b64 s[6:7], s[6:7], 2
	s_delay_alu instid0(SALU_CYCLE_1) | instskip(SKIP_2) | instid1(SALU_CYCLE_1)
	s_add_u32 s6, s13, s6
	s_addc_u32 s7, s16, s7
	s_or_b32 s8, s12, 64
	s_ashr_i32 s9, s8, 4
	s_cmp_lt_i32 s8, s17
	s_cselect_b32 s8, s9, s4
	s_delay_alu instid0(SALU_CYCLE_1) | instskip(NEXT) | instid1(SALU_CYCLE_1)
	s_ashr_i32 s9, s8, 31
	s_lshl_b64 s[8:9], s[8:9], 2
	s_delay_alu instid0(SALU_CYCLE_1) | instskip(SKIP_2) | instid1(SALU_CYCLE_1)
	s_add_u32 s8, s13, s8
	s_addc_u32 s9, s16, s9
	s_or_b32 s20, s12, 0x60
	;; [unrolled: 10-line block ×4, first 2 shown]
	s_ashr_i32 s25, s24, 4
	s_cmp_lt_i32 s24, s17
	s_cselect_b32 s24, s25, s4
	s_delay_alu instid0(SALU_CYCLE_1) | instskip(NEXT) | instid1(SALU_CYCLE_1)
	s_ashr_i32 s25, s24, 31
	s_lshl_b64 s[24:25], s[24:25], 2
	s_delay_alu instid0(SALU_CYCLE_1)
	s_add_u32 s24, s13, s24
	s_addc_u32 s25, s16, s25
	s_clause 0x5
	s_load_b32 s28, s[2:3], 0x0
	s_load_b32 s31, s[6:7], 0x0
	;; [unrolled: 1-line block ×6, first 2 shown]
	s_mov_b32 s20, 0
	s_or_b32 s2, s12, 0xc0
	s_mov_b32 s21, s20
	s_mov_b32 s22, s20
	;; [unrolled: 1-line block ×5, first 2 shown]
	v_lshlrev_b32_e32 v1, 4, v0
	s_ashr_i32 s3, s2, 4
	s_cmp_lt_i32 s2, s17
	s_cselect_b32 s2, s3, s4
	s_delay_alu instid0(VALU_DEP_1) | instskip(SKIP_1) | instid1(SALU_CYCLE_1)
	v_and_b32_e32 v1, 0xf0, v1
	s_ashr_i32 s3, s2, 31
	s_lshl_b64 s[2:3], s[2:3], 2
	s_delay_alu instid0(VALU_DEP_1) | instskip(NEXT) | instid1(VALU_DEP_1)
	v_add_co_u32 v1, s26, s26, v1
	v_add_co_ci_u32_e64 v2, null, s27, 0, s26
	s_add_u32 s2, s13, s2
	s_addc_u32 s3, s16, s3
	s_or_b32 s6, s12, 0xe0
	s_mov_b32 s27, s20
	s_ashr_i32 s7, s6, 4
	s_cmp_lt_i32 s6, s17
	s_mov_b32 s26, s20
	v_dual_mov_b32 v107, s27 :: v_dual_mov_b32 v100, s20
	s_cselect_b32 s6, s7, s4
	v_mov_b32_e32 v106, s26
	s_ashr_i32 s7, s6, 31
	v_mov_b32_e32 v104, s24
	s_lshl_b64 s[6:7], s[6:7], 2
	v_dual_mov_b32 v103, s23 :: v_dual_mov_b32 v102, s22
	v_mov_b32_e32 v101, s21
	s_waitcnt vmcnt(1)
	v_mad_i64_i32 v[33:34], null, v5, s5, v[1:2]
	s_waitcnt vmcnt(0)
	v_mad_i64_i32 v[35:36], null, v3, s5, v[1:2]
	s_clause 0xf
	global_load_b128 v[1:4], v[33:34], off
	global_load_b128 v[5:8], v[33:34], off offset:256
	global_load_b128 v[9:12], v[35:36], off
	global_load_b128 v[13:16], v[35:36], off offset:256
	global_load_b128 v[17:20], v[33:34], off offset:512
	;; [unrolled: 1-line block ×13, first 2 shown]
	v_add_nc_u32_e32 v33, -10, v65
	v_lshlrev_b32_e32 v34, 4, v65
	s_delay_alu instid0(VALU_DEP_2) | instskip(SKIP_1) | instid1(VALU_DEP_3)
	v_cndmask_b32_e32 v33, v33, v65, vcc_lo
	v_mov_b32_e32 v105, s25
	v_lshl_or_b32 v41, v66, 8, v34
	s_delay_alu instid0(VALU_DEP_3)
	v_lshlrev_b32_e32 v72, 6, v33
	ds_load_b128 v[33:36], v72
	ds_load_b128 v[37:40], v72 offset:1024
	ds_load_b128 v[108:111], v72 offset:2048
	ds_load_b128 v[112:115], v72 offset:3072
	s_load_b32 s4, s[2:3], 0x0
	s_add_u32 s2, s13, s6
	s_addc_u32 s3, s16, s7
	ds_load_b128 v[116:119], v72 offset:4096
	ds_load_b128 v[120:123], v72 offset:5120
	s_load_b32 s2, s[2:3], 0x0
	s_add_u32 s6, s10, s15
	s_addc_u32 s7, s11, s19
	v_add_co_u32 v68, s6, s6, v41
	s_delay_alu instid0(VALU_DEP_1) | instskip(SKIP_1) | instid1(VALU_DEP_1)
	v_add_co_ci_u32_e64 v69, null, s7, 0, s6
	s_waitcnt lgkmcnt(0)
	v_mad_i64_i32 v[41:42], null, s28, s5, v[68:69]
	v_mad_i64_i32 v[70:71], null, s8, s5, v[68:69]
	;; [unrolled: 1-line block ×7, first 2 shown]
	s_clause 0x3
	global_load_b128 v[49:52], v[41:42], off
	global_load_b128 v[53:56], v[41:42], off offset:16
	global_load_b128 v[41:44], v[45:46], off
	global_load_b128 v[45:48], v[45:46], off offset:16
	s_waitcnt vmcnt(18)
	v_wmma_f32_16x16x16_bf16 v[124:131], v[1:8], v[33:40], v[100:107]
	s_waitcnt vmcnt(16)
	v_wmma_f32_16x16x16_bf16 v[100:107], v[9:16], v[33:40], v[100:107]
	s_clause 0x1
	global_load_b128 v[33:36], v[70:71], off
	global_load_b128 v[37:40], v[70:71], off offset:16
	v_mad_i64_i32 v[70:71], null, s2, s5, v[68:69]
	s_waitcnt vmcnt(16)
	v_wmma_f32_16x16x16_bf16 v[124:131], v[17:24], v[108:115], v[124:131]
	s_waitcnt vmcnt(14)
	v_wmma_f32_16x16x16_bf16 v[100:107], v[25:32], v[108:115], v[100:107]
	s_clause 0x7
	global_load_b128 v[25:28], v[132:133], off
	global_load_b128 v[29:32], v[132:133], off offset:16
	global_load_b128 v[1:4], v[134:135], off
	global_load_b128 v[5:8], v[134:135], off offset:16
	;; [unrolled: 2-line block ×4, first 2 shown]
	s_waitcnt vmcnt(20)
	v_wmma_f32_16x16x16_bf16 v[124:131], v[57:64], v[116:123], v[124:131]
	s_clause 0x1
	global_load_b128 v[57:60], v[70:71], off
	global_load_b128 v[61:64], v[70:71], off offset:16
	s_waitcnt vmcnt(20)
	v_wmma_f32_16x16x16_bf16 v[100:107], v[76:83], v[116:123], v[100:107]
	ds_load_b128 v[76:79], v72 offset:6144
	ds_load_b128 v[80:83], v72 offset:7168
	v_and_b32_e32 v68, 0xe0, v0
	v_mbcnt_lo_u32_b32 v69, -1, 0
	s_waitcnt vmcnt(0) lgkmcnt(0)
	s_barrier
	buffer_gl0_inv
	v_add_nc_u32_e32 v68, s12, v68
	v_xor_b32_e32 v70, 16, v69
	s_delay_alu instid0(VALU_DEP_2) | instskip(NEXT) | instid1(VALU_DEP_2)
	v_or_b32_e32 v68, v68, v74
	v_cmp_gt_i32_e32 vcc_lo, 32, v70
	s_delay_alu instid0(VALU_DEP_2)
	v_or_b32_e32 v71, 4, v68
	v_or_b32_e32 v72, 6, v68
	v_cmp_gt_i32_e64 s2, s17, v68
	v_or_b32_e32 v108, 8, v68
	v_wmma_f32_16x16x16_bf16 v[124:131], v[84:91], v[76:83], v[124:131]
	v_cndmask_b32_e32 v69, v69, v70, vcc_lo
	v_or_b32_e32 v70, 2, v68
	v_wmma_f32_16x16x16_bf16 v[100:107], v[92:99], v[76:83], v[100:107]
	v_or_b32_e32 v109, 10, v68
	v_dual_mul_f32 v82, s18, v127 :: v_dual_mul_f32 v79, s18, v130
	v_dual_mul_f32 v92, s18, v125 :: v_dual_mul_f32 v93, s18, v124
	s_delay_alu instid0(VALU_DEP_4)
	v_mul_f32_e32 v98, s18, v103
	v_cmp_gt_i32_e32 vcc_lo, s17, v70
	v_or_b32_e32 v89, 22, v68
	v_dual_mul_f32 v83, s18, v126 :: v_dual_mul_f32 v96, s18, v105
	v_cndmask_b32_e64 v93, 0xff7fffff, v93, s2
	v_cndmask_b32_e32 v92, 0xff7fffff, v92, vcc_lo
	v_cmp_gt_i32_e64 s3, s17, v71
	v_cmp_gt_i32_e64 s4, s17, v72
	v_or_b32_e32 v84, 12, v68
	v_or_b32_e32 v85, 14, v68
	v_dual_mul_f32 v80, s18, v129 :: v_dual_mul_f32 v81, s18, v128
	v_mul_f32_e32 v94, s18, v107
	v_cndmask_b32_e64 v71, 0xff7fffff, v83, s3
	v_cndmask_b32_e64 v72, 0xff7fffff, v82, s4
	v_cmp_gt_i32_e64 s5, s17, v108
	v_cmp_gt_i32_e64 s6, s17, v109
	;; [unrolled: 1-line block ×3, first 2 shown]
	v_lshlrev_b32_e32 v89, 2, v69
	v_max3_f32 v82, v93, 0xff7fffff, v92
	v_or_b32_e32 v86, 16, v68
	v_or_b32_e32 v87, 18, v68
	v_mul_f32_e32 v78, s18, v131
	v_cndmask_b32_e64 v81, 0xff7fffff, v81, s5
	v_cndmask_b32_e64 v80, 0xff7fffff, v80, s6
	v_max3_f32 v71, v82, v71, v72
	v_cmp_gt_i32_e64 s7, s17, v84
	v_cmp_gt_i32_e64 s8, s17, v85
	v_or_b32_e32 v88, 20, v68
	v_or_b32_e32 v90, 24, v68
	;; [unrolled: 1-line block ×5, first 2 shown]
	v_dual_mul_f32 v95, s18, v106 :: v_dual_mul_f32 v70, s18, v101
	v_dual_mul_f32 v99, s18, v102 :: v_dual_mul_f32 v68, s18, v100
	v_cndmask_b32_e64 v72, 0xff7fffff, v79, s7
	v_cndmask_b32_e64 v78, 0xff7fffff, v78, s8
	v_max3_f32 v71, v71, v81, v80
	v_cmp_gt_i32_e64 s9, s17, v86
	v_cmp_gt_i32_e64 s10, s17, v87
	;; [unrolled: 1-line block ×3, first 2 shown]
	v_mul_f32_e32 v97, s18, v104
	v_max3_f32 v71, v71, v72, v78
	v_cndmask_b32_e64 v68, 0xff7fffff, v68, s9
	v_cndmask_b32_e64 v70, 0xff7fffff, v70, s10
	;; [unrolled: 1-line block ×4, first 2 shown]
	v_cmp_gt_i32_e64 s13, s17, v90
	v_cmp_gt_i32_e64 s15, s17, v91
	v_max3_f32 v68, v71, v68, v70
	v_cmp_gt_i32_e64 s16, s17, v76
	v_cmp_gt_i32_e64 s17, s17, v77
	v_cndmask_b32_e64 v70, 0xff7fffff, v97, s13
	v_cndmask_b32_e64 v71, 0xff7fffff, v96, s15
	v_max3_f32 v68, v68, v72, v78
	v_cndmask_b32_e64 v72, 0xff7fffff, v95, s16
	v_cndmask_b32_e64 v76, 0xff7fffff, v94, s17
	s_delay_alu instid0(VALU_DEP_3) | instskip(NEXT) | instid1(VALU_DEP_1)
	v_max3_f32 v68, v68, v70, v71
	v_max3_f32 v68, v68, v72, v76
	ds_bpermute_b32 v69, v89, v68
	s_waitcnt lgkmcnt(0)
	v_max_f32_e32 v69, v69, v69
	s_delay_alu instid0(VALU_DEP_1) | instskip(NEXT) | instid1(VALU_DEP_1)
	v_max_f32_e32 v68, v68, v69
	v_fma_f32 v69, s18, v124, -v68
	v_fma_f32 v70, s18, v125, -v68
	;; [unrolled: 1-line block ×5, first 2 shown]
	s_delay_alu instid0(VALU_DEP_4) | instskip(NEXT) | instid1(VALU_DEP_4)
	v_dual_mul_f32 v69, 0x3fb8aa3b, v69 :: v_dual_mul_f32 v70, 0x3fb8aa3b, v70
	v_mul_f32_e32 v72, 0x3fb8aa3b, v72
	v_fma_f32 v78, s18, v130, -v68
	s_delay_alu instid0(VALU_DEP_4) | instskip(NEXT) | instid1(VALU_DEP_4)
	v_mul_f32_e32 v77, 0x3fb8aa3b, v76
	v_exp_f32_e32 v69, v69
	v_exp_f32_e32 v70, v70
	v_mul_f32_e32 v71, 0x3fb8aa3b, v71
	v_exp_f32_e32 v72, v72
	v_mul_f32_e32 v78, 0x3fb8aa3b, v78
	v_exp_f32_e32 v77, v77
	v_fma_f32 v81, s18, v105, -v68
	s_delay_alu instid0(VALU_DEP_2)
	v_exp_f32_e32 v78, v78
	v_cndmask_b32_e64 v80, 0, v69, s2
	v_cndmask_b32_e32 v76, 0, v70, vcc_lo
	v_exp_f32_e32 v71, v71
	v_fma_f32 v69, s18, v129, -v68
	v_cndmask_b32_e64 v85, 0, v72, s4
	v_add_f32_e32 v70, 0, v80
	s_delay_alu instid0(TRANS32_DEP_3)
	v_cndmask_b32_e64 v86, 0, v77, s5
	v_fma_f32 v77, s18, v101, -v68
	v_mul_f32_e32 v69, 0x3fb8aa3b, v69
	v_fma_f32 v72, s18, v100, -v68
	v_cndmask_b32_e64 v84, 0, v78, s7
	v_fma_f32 v78, s18, v103, -v68
	v_cndmask_b32_e64 v83, 0, v71, s3
	v_fma_f32 v71, s18, v131, -v68
	v_add_f32_e32 v70, v70, v76
	v_exp_f32_e32 v69, v69
	v_mul_f32_e32 v77, 0x3fb8aa3b, v77
	v_mul_f32_e32 v81, 0x3fb8aa3b, v81
	;; [unrolled: 1-line block ×3, first 2 shown]
	v_add_f32_e32 v70, v70, v83
	s_mov_b32 s2, exec_lo
	v_exp_f32_e32 v77, v77
	v_exp_f32_e32 v81, v81
	;; [unrolled: 1-line block ×3, first 2 shown]
	v_cndmask_b32_e64 v87, 0, v69, s6
	v_add_f32_e32 v70, v70, v85
	s_delay_alu instid0(VALU_DEP_1) | instskip(SKIP_1) | instid1(VALU_DEP_2)
	v_dual_mul_f32 v72, 0x3fb8aa3b, v72 :: v_dual_add_f32 v69, v70, v86
	v_fma_f32 v70, s18, v102, -v68
	v_exp_f32_e32 v72, v72
	s_waitcnt_depctr 0xfff
	v_cndmask_b32_e64 v88, 0, v71, s8
	v_fma_f32 v71, s18, v104, -v68
	v_dual_add_f32 v69, v69, v87 :: v_dual_mul_f32 v70, 0x3fb8aa3b, v70
	s_delay_alu instid0(VALU_DEP_2) | instskip(NEXT) | instid1(VALU_DEP_2)
	v_dual_mul_f32 v78, 0x3fb8aa3b, v78 :: v_dual_mul_f32 v71, 0x3fb8aa3b, v71
	v_add_f32_e32 v69, v69, v84
	s_delay_alu instid0(VALU_DEP_3) | instskip(SKIP_1) | instid1(VALU_DEP_3)
	v_exp_f32_e32 v79, v70
	v_cndmask_b32_e64 v70, 0, v72, s9
	v_exp_f32_e32 v78, v78
	v_exp_f32_e32 v82, v71
	v_add_f32_e32 v72, v69, v88
	v_cndmask_b32_e64 v69, 0, v77, s10
	v_fma_f32 v77, s18, v106, -v68
	s_delay_alu instid0(VALU_DEP_3) | instskip(NEXT) | instid1(TRANS32_DEP_3)
	v_add_f32_e32 v72, v72, v70
	v_cndmask_b32_e64 v71, 0, v79, s11
	s_delay_alu instid0(VALU_DEP_3) | instskip(NEXT) | instid1(VALU_DEP_3)
	v_mul_f32_e32 v77, 0x3fb8aa3b, v77
	v_add_f32_e32 v79, v72, v69
	s_delay_alu instid0(TRANS32_DEP_2) | instskip(NEXT) | instid1(VALU_DEP_3)
	v_cndmask_b32_e64 v72, 0, v78, s12
	v_exp_f32_e32 v90, v77
	v_cndmask_b32_e64 v77, 0, v82, s13
	s_delay_alu instid0(VALU_DEP_3) | instskip(SKIP_1) | instid1(VALU_DEP_1)
	v_add_f32_e32 v78, v79, v71
	v_fma_f32 v79, s18, v107, -v68
	v_dual_add_f32 v82, v78, v72 :: v_dual_mul_f32 v79, 0x3fb8aa3b, v79
	v_cndmask_b32_e64 v78, 0, v81, s15
	s_delay_alu instid0(VALU_DEP_2) | instskip(NEXT) | instid1(VALU_DEP_3)
	v_add_f32_e32 v81, v82, v77
	v_exp_f32_e32 v82, v79
	s_delay_alu instid0(TRANS32_DEP_2) | instskip(NEXT) | instid1(VALU_DEP_2)
	v_cndmask_b32_e64 v79, 0, v90, s16
	v_add_f32_e32 v81, v81, v78
	s_delay_alu instid0(VALU_DEP_1) | instskip(SKIP_2) | instid1(VALU_DEP_1)
	v_add_f32_e32 v90, v81, v79
	s_waitcnt_depctr 0xfff
	v_cndmask_b32_e64 v81, 0, v82, s17
	v_add_f32_e32 v82, v90, v81
	ds_bpermute_b32 v89, v89, v82
	v_cmpx_gt_u32_e32 16, v67
	s_cbranch_execz .LBB1515_12
; %bb.11:
	v_mul_u32_u24_e32 v67, 0x44, v66
	s_delay_alu instid0(VALU_DEP_1) | instskip(SKIP_1) | instid1(VALU_DEP_1)
	v_lshl_add_u32 v67, v65, 2, v67
	s_waitcnt lgkmcnt(0)
	v_dual_add_f32 v82, v82, v89 :: v_dual_add_nc_u32 v67, 0x4000, v67
	ds_store_2addr_b32 v67, v68, v82 offset1:136
.LBB1515_12:
	s_or_b32 exec_lo, exec_lo, s2
	v_lshlrev_b32_e32 v67, 2, v65
	s_waitcnt lgkmcnt(0)
	s_barrier
	buffer_gl0_inv
	v_cmp_eq_u32_e32 vcc_lo, 1, v66
	v_add_nc_u32_e32 v82, 0x4000, v67
	v_cmp_eq_u32_e64 s2, 2, v66
	v_cmp_eq_u32_e64 s4, 7, v66
	ds_load_2addr_b32 v[89:90], v82 offset1:17
	ds_load_2addr_b32 v[91:92], v82 offset0:34 offset1:51
	ds_load_2addr_b32 v[93:94], v82 offset0:68 offset1:85
	;; [unrolled: 1-line block ×4, first 2 shown]
	s_waitcnt lgkmcnt(4)
	v_max3_f32 v67, v89, 0xff7fffff, v90
	s_waitcnt lgkmcnt(3)
	s_delay_alu instid0(VALU_DEP_1) | instskip(SKIP_1) | instid1(VALU_DEP_1)
	v_max3_f32 v67, v67, v91, v92
	s_waitcnt lgkmcnt(2)
	v_max3_f32 v67, v67, v93, v94
	s_waitcnt lgkmcnt(1)
	s_delay_alu instid0(VALU_DEP_1) | instskip(NEXT) | instid1(VALU_DEP_1)
	v_max3_f32 v67, v67, v95, v96
	v_sub_f32_e32 v93, v93, v67
	s_delay_alu instid0(VALU_DEP_1) | instskip(NEXT) | instid1(VALU_DEP_1)
	v_dual_sub_f32 v68, v89, v67 :: v_dual_mul_f32 v103, 0x3fb8aa3b, v93
	v_mul_f32_e32 v68, 0x3fb8aa3b, v68
	s_delay_alu instid0(VALU_DEP_1)
	v_exp_f32_e32 v100, v68
	v_sub_f32_e32 v68, v92, v67
	v_sub_f32_e32 v99, v90, v67
	ds_load_2addr_b32 v[89:90], v82 offset0:170 offset1:187
	v_dual_mul_f32 v102, 0x3fb8aa3b, v68 :: v_dual_mul_f32 v99, 0x3fb8aa3b, v99
	s_waitcnt lgkmcnt(1)
	v_fma_f32 v68, v100, v97, 0
	s_delay_alu instid0(VALU_DEP_2) | instskip(NEXT) | instid1(VALU_DEP_2)
	v_exp_f32_e32 v102, v102
	v_exp_f32_e32 v99, v99
	s_waitcnt_depctr 0xfff
	v_fmac_f32_e32 v68, v99, v98
	v_sub_f32_e32 v91, v91, v67
	s_delay_alu instid0(VALU_DEP_1)
	v_mul_f32_e32 v101, 0x3fb8aa3b, v91
	ds_load_2addr_b32 v[91:92], v82 offset0:204 offset1:221
	v_sub_f32_e32 v97, v94, v67
	ds_load_2addr_b32 v[93:94], v82 offset0:238 offset1:255
	s_waitcnt lgkmcnt(0)
	v_exp_f32_e32 v101, v101
	s_barrier
	buffer_gl0_inv
	v_dual_fmac_f32 v68, v101, v89 :: v_dual_sub_f32 v89, v96, v67
	v_dual_sub_f32 v82, v95, v67 :: v_dual_mul_f32 v95, 0x3fb8aa3b, v97
	v_exp_f32_e32 v97, v103
	s_delay_alu instid0(VALU_DEP_2) | instskip(NEXT) | instid1(VALU_DEP_2)
	v_dual_fmac_f32 v68, v102, v90 :: v_dual_mul_f32 v89, 0x3fb8aa3b, v89
	v_mul_f32_e32 v82, 0x3fb8aa3b, v82
	s_delay_alu instid0(VALU_DEP_3) | instskip(NEXT) | instid1(VALU_DEP_2)
	v_exp_f32_e32 v95, v95
	v_exp_f32_e32 v89, v89
	s_delay_alu instid0(VALU_DEP_1)
	v_exp_f32_e32 v82, v82
	v_fmac_f32_e32 v68, v97, v91
	s_delay_alu instid0(TRANS32_DEP_3) | instid1(VALU_DEP_1)
	v_fmac_f32_e32 v68, v95, v92
	s_waitcnt_depctr 0xfff
	v_fmac_f32_e32 v68, v82, v93
	s_delay_alu instid0(VALU_DEP_1) | instskip(NEXT) | instid1(VALU_DEP_1)
	v_fmac_f32_e32 v68, v89, v94
	v_add_f32_e32 v90, 0x358637bd, v68
	s_delay_alu instid0(VALU_DEP_1) | instskip(NEXT) | instid1(VALU_DEP_1)
	v_div_scale_f32 v91, null, v90, v90, 1.0
	v_rcp_f32_e32 v92, v91
	s_waitcnt_depctr 0xfff
	v_fma_f32 v93, -v91, v92, 1.0
	s_delay_alu instid0(VALU_DEP_1) | instskip(SKIP_1) | instid1(VALU_DEP_2)
	v_dual_fmac_f32 v92, v93, v92 :: v_dual_cndmask_b32 v93, v100, v99
	v_cmp_eq_u32_e32 vcc_lo, 3, v66
	v_cndmask_b32_e64 v93, v93, v101, s2
	v_cmp_eq_u32_e64 s2, 4, v66
	s_delay_alu instid0(VALU_DEP_2) | instskip(SKIP_1) | instid1(VALU_DEP_2)
	v_cndmask_b32_e32 v93, v93, v102, vcc_lo
	v_cmp_eq_u32_e32 vcc_lo, 5, v66
	v_cndmask_b32_e64 v93, v93, v97, s2
	v_cmp_eq_u32_e64 s2, 6, v66
	s_delay_alu instid0(VALU_DEP_2) | instskip(SKIP_1) | instid1(VALU_DEP_1)
	v_cndmask_b32_e32 v93, v93, v95, vcc_lo
	v_div_scale_f32 v94, s3, 1.0, v90, 1.0
	s_mov_b32 vcc_lo, s3
	s_delay_alu instid0(VALU_DEP_2) | instskip(NEXT) | instid1(VALU_DEP_2)
	v_cndmask_b32_e64 v82, v93, v82, s2
	v_mul_f32_e32 v96, v94, v92
	s_mov_b32 s2, exec_lo
	s_delay_alu instid0(VALU_DEP_2) | instskip(NEXT) | instid1(VALU_DEP_2)
	v_cndmask_b32_e64 v82, v82, v89, s4
	v_fma_f32 v98, -v91, v96, v94
	s_delay_alu instid0(VALU_DEP_1) | instskip(NEXT) | instid1(VALU_DEP_1)
	v_fmac_f32_e32 v96, v98, v92
	v_fma_f32 v91, -v91, v96, v94
	s_delay_alu instid0(VALU_DEP_1) | instskip(NEXT) | instid1(VALU_DEP_1)
	v_div_fmas_f32 v91, v91, v92, v96
	v_div_fixup_f32 v90, v91, v90, 1.0
	s_delay_alu instid0(VALU_DEP_1) | instskip(NEXT) | instid1(VALU_DEP_1)
	v_mul_f32_e32 v82, v82, v90
	v_mul_f32_e32 v87, v82, v87
	;; [unrolled: 1-line block ×7, first 2 shown]
	v_dual_mul_f32 v86, v82, v83 :: v_dual_and_b32 v91, 0x7f800000, v90
	v_mul_f32_e32 v85, v82, v76
                                        ; implicit-def: $vgpr76
	s_delay_alu instid0(VALU_DEP_2)
	v_cmpx_ne_u32_e32 0x7f800000, v91
	s_xor_b32 s2, exec_lo, s2
; %bb.13:
	v_bfe_u32 v76, v90, 16, 1
	s_delay_alu instid0(VALU_DEP_1)
	v_add3_u32 v76, v90, v76, 0x7fff
                                        ; implicit-def: $vgpr90
; %bb.14:
	s_and_not1_saveexec_b32 s2, s2
; %bb.15:
	v_and_b32_e32 v76, 0xffff, v90
	v_or_b32_e32 v83, 0x10000, v90
	s_delay_alu instid0(VALU_DEP_2) | instskip(NEXT) | instid1(VALU_DEP_2)
	v_cmp_eq_u32_e32 vcc_lo, 0, v76
	v_cndmask_b32_e32 v76, v83, v90, vcc_lo
; %bb.16:
	s_or_b32 exec_lo, exec_lo, s2
	v_and_b32_e32 v83, 0x7f800000, v85
	s_delay_alu instid0(VALU_DEP_1) | instskip(SKIP_1) | instid1(SALU_CYCLE_1)
	v_cmp_ne_u32_e32 vcc_lo, 0x7f800000, v83
                                        ; implicit-def: $vgpr83
	s_and_saveexec_b32 s2, vcc_lo
	s_xor_b32 s2, exec_lo, s2
; %bb.17:
	v_bfe_u32 v83, v85, 16, 1
	s_delay_alu instid0(VALU_DEP_1)
	v_add3_u32 v83, v85, v83, 0x7fff
                                        ; implicit-def: $vgpr85
; %bb.18:
	s_and_not1_saveexec_b32 s2, s2
; %bb.19:
	v_and_b32_e32 v83, 0xffff, v85
	v_or_b32_e32 v90, 0x10000, v85
	s_delay_alu instid0(VALU_DEP_2) | instskip(NEXT) | instid1(VALU_DEP_2)
	v_cmp_eq_u32_e32 vcc_lo, 0, v83
	v_cndmask_b32_e32 v83, v90, v85, vcc_lo
; %bb.20:
	s_or_b32 exec_lo, exec_lo, s2
	v_and_b32_e32 v85, 0x7f800000, v86
	s_delay_alu instid0(VALU_DEP_1) | instskip(SKIP_1) | instid1(SALU_CYCLE_1)
	v_cmp_ne_u32_e32 vcc_lo, 0x7f800000, v85
                                        ; implicit-def: $vgpr85
	s_and_saveexec_b32 s2, vcc_lo
	s_xor_b32 s2, exec_lo, s2
; %bb.21:
	v_bfe_u32 v85, v86, 16, 1
	s_delay_alu instid0(VALU_DEP_1)
	v_add3_u32 v85, v86, v85, 0x7fff
                                        ; implicit-def: $vgpr86
; %bb.22:
	s_and_not1_saveexec_b32 s2, s2
; %bb.23:
	v_and_b32_e32 v85, 0xffff, v86
	v_or_b32_e32 v90, 0x10000, v86
	s_delay_alu instid0(VALU_DEP_2) | instskip(NEXT) | instid1(VALU_DEP_2)
	v_cmp_eq_u32_e32 vcc_lo, 0, v85
	v_cndmask_b32_e32 v85, v90, v86, vcc_lo
; %bb.24:
	s_or_b32 exec_lo, exec_lo, s2
	v_and_b32_e32 v86, 0x7f800000, v89
	s_delay_alu instid0(VALU_DEP_1) | instskip(SKIP_1) | instid1(SALU_CYCLE_1)
	v_cmp_ne_u32_e32 vcc_lo, 0x7f800000, v86
                                        ; implicit-def: $vgpr86
	s_and_saveexec_b32 s2, vcc_lo
	s_xor_b32 s2, exec_lo, s2
; %bb.25:
	v_bfe_u32 v86, v89, 16, 1
	s_delay_alu instid0(VALU_DEP_1)
	v_add3_u32 v86, v89, v86, 0x7fff
                                        ; implicit-def: $vgpr89
; %bb.26:
	s_and_not1_saveexec_b32 s2, s2
; %bb.27:
	v_and_b32_e32 v86, 0xffff, v89
	v_or_b32_e32 v90, 0x10000, v89
	s_delay_alu instid0(VALU_DEP_2) | instskip(NEXT) | instid1(VALU_DEP_2)
	v_cmp_eq_u32_e32 vcc_lo, 0, v86
	v_cndmask_b32_e32 v86, v90, v89, vcc_lo
; %bb.28:
	s_or_b32 exec_lo, exec_lo, s2
	v_and_b32_e32 v89, 0x7f800000, v88
	s_delay_alu instid0(VALU_DEP_1) | instskip(SKIP_1) | instid1(SALU_CYCLE_1)
	v_cmp_ne_u32_e32 vcc_lo, 0x7f800000, v89
                                        ; implicit-def: $vgpr89
	s_and_saveexec_b32 s2, vcc_lo
	s_xor_b32 s2, exec_lo, s2
; %bb.29:
	v_bfe_u32 v89, v88, 16, 1
	s_delay_alu instid0(VALU_DEP_1)
	v_add3_u32 v89, v88, v89, 0x7fff
                                        ; implicit-def: $vgpr88
; %bb.30:
	s_and_not1_saveexec_b32 s2, s2
; %bb.31:
	v_and_b32_e32 v89, 0xffff, v88
	v_or_b32_e32 v90, 0x10000, v88
	s_delay_alu instid0(VALU_DEP_2) | instskip(NEXT) | instid1(VALU_DEP_2)
	v_cmp_eq_u32_e32 vcc_lo, 0, v89
	v_cndmask_b32_e32 v89, v90, v88, vcc_lo
; %bb.32:
	s_or_b32 exec_lo, exec_lo, s2
	v_and_b32_e32 v88, 0x7f800000, v87
	s_delay_alu instid0(VALU_DEP_1) | instskip(SKIP_1) | instid1(SALU_CYCLE_1)
	v_cmp_ne_u32_e32 vcc_lo, 0x7f800000, v88
                                        ; implicit-def: $vgpr88
	s_and_saveexec_b32 s2, vcc_lo
	s_xor_b32 s2, exec_lo, s2
; %bb.33:
	v_bfe_u32 v88, v87, 16, 1
	s_delay_alu instid0(VALU_DEP_1)
	v_add3_u32 v88, v87, v88, 0x7fff
                                        ; implicit-def: $vgpr87
; %bb.34:
	s_and_not1_saveexec_b32 s2, s2
; %bb.35:
	v_and_b32_e32 v88, 0xffff, v87
	v_or_b32_e32 v90, 0x10000, v87
	s_delay_alu instid0(VALU_DEP_2) | instskip(NEXT) | instid1(VALU_DEP_2)
	v_cmp_eq_u32_e32 vcc_lo, 0, v88
	v_cndmask_b32_e32 v88, v90, v87, vcc_lo
; %bb.36:
	s_or_b32 exec_lo, exec_lo, s2
	v_and_b32_e32 v87, 0x7f800000, v84
	s_delay_alu instid0(VALU_DEP_1) | instskip(SKIP_1) | instid1(SALU_CYCLE_1)
	v_cmp_ne_u32_e32 vcc_lo, 0x7f800000, v87
                                        ; implicit-def: $vgpr87
	s_and_saveexec_b32 s2, vcc_lo
	s_xor_b32 s2, exec_lo, s2
; %bb.37:
	v_bfe_u32 v87, v84, 16, 1
	s_delay_alu instid0(VALU_DEP_1)
	v_add3_u32 v87, v84, v87, 0x7fff
                                        ; implicit-def: $vgpr84
; %bb.38:
	s_and_not1_saveexec_b32 s2, s2
; %bb.39:
	v_and_b32_e32 v87, 0xffff, v84
	v_or_b32_e32 v90, 0x10000, v84
	s_delay_alu instid0(VALU_DEP_2) | instskip(NEXT) | instid1(VALU_DEP_2)
	v_cmp_eq_u32_e32 vcc_lo, 0, v87
	v_cndmask_b32_e32 v87, v90, v84, vcc_lo
; %bb.40:
	s_or_b32 exec_lo, exec_lo, s2
	v_and_b32_e32 v84, 0x7f800000, v80
	s_delay_alu instid0(VALU_DEP_1) | instskip(SKIP_1) | instid1(SALU_CYCLE_1)
	v_cmp_ne_u32_e32 vcc_lo, 0x7f800000, v84
                                        ; implicit-def: $vgpr84
	s_and_saveexec_b32 s2, vcc_lo
	s_xor_b32 s2, exec_lo, s2
; %bb.41:
	v_bfe_u32 v84, v80, 16, 1
	s_delay_alu instid0(VALU_DEP_1)
	v_add3_u32 v84, v80, v84, 0x7fff
                                        ; implicit-def: $vgpr80
; %bb.42:
	s_and_not1_saveexec_b32 s2, s2
; %bb.43:
	v_and_b32_e32 v84, 0xffff, v80
	v_or_b32_e32 v90, 0x10000, v80
	s_delay_alu instid0(VALU_DEP_2) | instskip(NEXT) | instid1(VALU_DEP_2)
	v_cmp_eq_u32_e32 vcc_lo, 0, v84
	v_cndmask_b32_e32 v84, v90, v80, vcc_lo
; %bb.44:
	s_or_b32 exec_lo, exec_lo, s2
	s_load_b64 s[34:35], s[0:1], 0x94
	v_lshlrev_b32_e32 v91, 4, v74
	s_delay_alu instid0(VALU_DEP_2)
	v_perm_b32 v90, v84, v87, 0x7060302
	v_dual_mul_f32 v79, v82, v79 :: v_dual_lshlrev_b32 v80, 6, v65
	v_dual_mul_f32 v77, v82, v77 :: v_dual_lshlrev_b32 v92, 11, v66
	v_mul_f32_e32 v84, v82, v70
	v_perm_b32 v89, v88, v89, 0x7060302
	v_perm_b32 v88, v86, v85, 0x7060302
	;; [unrolled: 1-line block ×3, first 2 shown]
	v_mul_f32_e32 v70, v82, v81
	v_or3_b32 v76, v91, v92, v80
	v_dual_mul_f32 v78, v82, v78 :: v_dual_and_b32 v85, 0x7f800000, v84
	v_mul_f32_e32 v83, v82, v72
	v_mul_f32_e32 v81, v82, v71
	v_mul_f32_e32 v72, v82, v69
	s_mov_b32 s2, exec_lo
	ds_store_b128 v76, v[87:90]
                                        ; implicit-def: $vgpr69
	v_cmpx_ne_u32_e32 0x7f800000, v85
	s_xor_b32 s2, exec_lo, s2
; %bb.45:
	v_bfe_u32 v69, v84, 16, 1
	s_delay_alu instid0(VALU_DEP_1)
	v_add3_u32 v69, v84, v69, 0x7fff
                                        ; implicit-def: $vgpr84
; %bb.46:
	s_and_not1_saveexec_b32 s2, s2
; %bb.47:
	v_and_b32_e32 v69, 0xffff, v84
	v_or_b32_e32 v71, 0x10000, v84
	s_delay_alu instid0(VALU_DEP_2) | instskip(NEXT) | instid1(VALU_DEP_2)
	v_cmp_eq_u32_e32 vcc_lo, 0, v69
	v_cndmask_b32_e32 v69, v71, v84, vcc_lo
; %bb.48:
	s_or_b32 exec_lo, exec_lo, s2
	v_and_b32_e32 v71, 0x7f800000, v72
	s_delay_alu instid0(VALU_DEP_1) | instskip(SKIP_1) | instid1(SALU_CYCLE_1)
	v_cmp_ne_u32_e32 vcc_lo, 0x7f800000, v71
                                        ; implicit-def: $vgpr71
	s_and_saveexec_b32 s2, vcc_lo
	s_xor_b32 s2, exec_lo, s2
; %bb.49:
	v_bfe_u32 v71, v72, 16, 1
	s_delay_alu instid0(VALU_DEP_1)
	v_add3_u32 v71, v72, v71, 0x7fff
                                        ; implicit-def: $vgpr72
; %bb.50:
	s_and_not1_saveexec_b32 s2, s2
; %bb.51:
	v_and_b32_e32 v71, 0xffff, v72
	v_or_b32_e32 v82, 0x10000, v72
	s_delay_alu instid0(VALU_DEP_2) | instskip(NEXT) | instid1(VALU_DEP_2)
	v_cmp_eq_u32_e32 vcc_lo, 0, v71
	v_cndmask_b32_e32 v71, v82, v72, vcc_lo
; %bb.52:
	s_or_b32 exec_lo, exec_lo, s2
	v_and_b32_e32 v72, 0x7f800000, v81
	s_delay_alu instid0(VALU_DEP_1) | instskip(SKIP_1) | instid1(SALU_CYCLE_1)
	v_cmp_ne_u32_e32 vcc_lo, 0x7f800000, v72
                                        ; implicit-def: $vgpr72
	s_and_saveexec_b32 s2, vcc_lo
	s_xor_b32 s2, exec_lo, s2
; %bb.53:
	v_bfe_u32 v72, v81, 16, 1
	s_delay_alu instid0(VALU_DEP_1)
	v_add3_u32 v72, v81, v72, 0x7fff
                                        ; implicit-def: $vgpr81
; %bb.54:
	s_and_not1_saveexec_b32 s2, s2
; %bb.55:
	v_and_b32_e32 v72, 0xffff, v81
	v_or_b32_e32 v82, 0x10000, v81
	s_delay_alu instid0(VALU_DEP_2) | instskip(NEXT) | instid1(VALU_DEP_2)
	v_cmp_eq_u32_e32 vcc_lo, 0, v72
	v_cndmask_b32_e32 v72, v82, v81, vcc_lo
; %bb.56:
	s_or_b32 exec_lo, exec_lo, s2
	v_and_b32_e32 v81, 0x7f800000, v83
	s_delay_alu instid0(VALU_DEP_1) | instskip(SKIP_1) | instid1(SALU_CYCLE_1)
	v_cmp_ne_u32_e32 vcc_lo, 0x7f800000, v81
                                        ; implicit-def: $vgpr81
	s_and_saveexec_b32 s2, vcc_lo
	s_xor_b32 s2, exec_lo, s2
; %bb.57:
	v_bfe_u32 v81, v83, 16, 1
	s_delay_alu instid0(VALU_DEP_1)
	v_add3_u32 v81, v83, v81, 0x7fff
                                        ; implicit-def: $vgpr83
; %bb.58:
	s_and_not1_saveexec_b32 s2, s2
; %bb.59:
	v_and_b32_e32 v81, 0xffff, v83
	v_or_b32_e32 v82, 0x10000, v83
	s_delay_alu instid0(VALU_DEP_2) | instskip(NEXT) | instid1(VALU_DEP_2)
	v_cmp_eq_u32_e32 vcc_lo, 0, v81
	v_cndmask_b32_e32 v81, v82, v83, vcc_lo
; %bb.60:
	s_or_b32 exec_lo, exec_lo, s2
	v_and_b32_e32 v82, 0x7f800000, v77
	s_delay_alu instid0(VALU_DEP_1) | instskip(SKIP_1) | instid1(SALU_CYCLE_1)
	v_cmp_ne_u32_e32 vcc_lo, 0x7f800000, v82
                                        ; implicit-def: $vgpr82
	s_and_saveexec_b32 s2, vcc_lo
	s_xor_b32 s2, exec_lo, s2
; %bb.61:
	v_bfe_u32 v82, v77, 16, 1
	s_delay_alu instid0(VALU_DEP_1)
	v_add3_u32 v82, v77, v82, 0x7fff
                                        ; implicit-def: $vgpr77
; %bb.62:
	s_and_not1_saveexec_b32 s2, s2
; %bb.63:
	v_and_b32_e32 v82, 0xffff, v77
	v_or_b32_e32 v83, 0x10000, v77
	s_delay_alu instid0(VALU_DEP_2) | instskip(NEXT) | instid1(VALU_DEP_2)
	v_cmp_eq_u32_e32 vcc_lo, 0, v82
	v_cndmask_b32_e32 v82, v83, v77, vcc_lo
; %bb.64:
	s_or_b32 exec_lo, exec_lo, s2
	v_and_b32_e32 v77, 0x7f800000, v78
	s_delay_alu instid0(VALU_DEP_1) | instskip(SKIP_1) | instid1(SALU_CYCLE_1)
	v_cmp_ne_u32_e32 vcc_lo, 0x7f800000, v77
                                        ; implicit-def: $vgpr77
	s_and_saveexec_b32 s2, vcc_lo
	s_xor_b32 s2, exec_lo, s2
; %bb.65:
	v_bfe_u32 v77, v78, 16, 1
	s_delay_alu instid0(VALU_DEP_1)
	v_add3_u32 v77, v78, v77, 0x7fff
                                        ; implicit-def: $vgpr78
; %bb.66:
	s_and_not1_saveexec_b32 s2, s2
; %bb.67:
	v_and_b32_e32 v77, 0xffff, v78
	v_or_b32_e32 v83, 0x10000, v78
	s_delay_alu instid0(VALU_DEP_2) | instskip(NEXT) | instid1(VALU_DEP_2)
	v_cmp_eq_u32_e32 vcc_lo, 0, v77
	v_cndmask_b32_e32 v77, v83, v78, vcc_lo
; %bb.68:
	s_or_b32 exec_lo, exec_lo, s2
	v_and_b32_e32 v78, 0x7f800000, v79
	s_delay_alu instid0(VALU_DEP_1) | instskip(SKIP_1) | instid1(SALU_CYCLE_1)
	v_cmp_ne_u32_e32 vcc_lo, 0x7f800000, v78
                                        ; implicit-def: $vgpr78
	s_and_saveexec_b32 s2, vcc_lo
	s_xor_b32 s2, exec_lo, s2
; %bb.69:
	v_bfe_u32 v78, v79, 16, 1
	s_delay_alu instid0(VALU_DEP_1)
	v_add3_u32 v78, v79, v78, 0x7fff
                                        ; implicit-def: $vgpr79
; %bb.70:
	s_and_not1_saveexec_b32 s2, s2
; %bb.71:
	v_and_b32_e32 v78, 0xffff, v79
	v_or_b32_e32 v83, 0x10000, v79
	s_delay_alu instid0(VALU_DEP_2) | instskip(NEXT) | instid1(VALU_DEP_2)
	v_cmp_eq_u32_e32 vcc_lo, 0, v78
	v_cndmask_b32_e32 v78, v83, v79, vcc_lo
; %bb.72:
	s_or_b32 exec_lo, exec_lo, s2
	v_and_b32_e32 v79, 0x7f800000, v70
	s_delay_alu instid0(VALU_DEP_1) | instskip(SKIP_1) | instid1(SALU_CYCLE_1)
	v_cmp_ne_u32_e32 vcc_lo, 0x7f800000, v79
                                        ; implicit-def: $vgpr79
	s_and_saveexec_b32 s2, vcc_lo
	s_xor_b32 s2, exec_lo, s2
; %bb.73:
	v_bfe_u32 v79, v70, 16, 1
	s_delay_alu instid0(VALU_DEP_1)
	v_add3_u32 v79, v70, v79, 0x7fff
                                        ; implicit-def: $vgpr70
; %bb.74:
	s_and_not1_saveexec_b32 s2, s2
; %bb.75:
	v_and_b32_e32 v79, 0xffff, v70
	v_or_b32_e32 v83, 0x10000, v70
	s_delay_alu instid0(VALU_DEP_2) | instskip(NEXT) | instid1(VALU_DEP_2)
	v_cmp_eq_u32_e32 vcc_lo, 0, v79
	v_cndmask_b32_e32 v79, v83, v70, vcc_lo
; %bb.76:
	s_or_b32 exec_lo, exec_lo, s2
	s_delay_alu instid0(VALU_DEP_1)
	v_perm_b32 v86, v79, v78, 0x7060302
	v_perm_b32 v85, v77, v82, 0x7060302
	;; [unrolled: 1-line block ×4, first 2 shown]
	v_lshl_or_b32 v82, v66, 11, v80
	ds_store_b128 v76, v[83:86] offset:1024
	s_waitcnt lgkmcnt(0)
	s_barrier
	buffer_gl0_inv
	ds_load_b128 v[69:72], v82
	ds_load_b128 v[83:86], v82 offset:16
	s_waitcnt lgkmcnt(1)
	v_lshrrev_b32_e32 v66, 16, v69
	s_waitcnt lgkmcnt(0)
	v_lshrrev_b32_e32 v91, 16, v83
	v_lshlrev_b32_e32 v78, 2, v74
	v_lshrrev_b32_e32 v95, 16, v70
	v_lshrrev_b32_e32 v98, 16, v84
	;; [unrolled: 1-line block ×4, first 2 shown]
	v_cmp_eq_u32_e32 vcc_lo, 1, v78
	v_lshrrev_b32_e32 v97, 16, v72
	v_lshrrev_b32_e32 v100, 16, v86
	v_cndmask_b32_e32 v87, v83, v91, vcc_lo
	v_or_b32_e32 v79, 1, v78
	v_cndmask_b32_e32 v81, v69, v66, vcc_lo
	v_cmp_eq_u32_e64 s3, 2, v78
	v_cmp_eq_u32_e64 s6, 3, v78
	v_cmp_eq_u32_e64 s8, 4, v78
	v_cmp_eq_u32_e64 s2, 1, v79
	v_cmp_eq_u32_e64 s5, 2, v79
	v_cndmask_b32_e64 v81, v81, v70, s3
	v_cndmask_b32_e64 v87, v87, v84, s3
	v_cmp_eq_u32_e64 s7, 3, v79
	v_cndmask_b32_e64 v88, v69, v66, s2
	v_or_b32_e32 v77, 2, v78
	v_cndmask_b32_e64 v81, v81, v95, s6
	v_cndmask_b32_e64 v87, v87, v98, s6
	;; [unrolled: 1-line block ×4, first 2 shown]
	v_cmp_eq_u32_e64 s9, 5, v78
	v_cndmask_b32_e64 v81, v81, v71, s8
	v_cndmask_b32_e64 v87, v87, v85, s8
	v_cmp_eq_u32_e64 s10, 4, v79
	v_cndmask_b32_e64 v88, v88, v95, s7
	v_cmp_eq_u32_e64 s4, 1, v77
	v_cndmask_b32_e64 v89, v89, v84, s5
	v_cndmask_b32_e64 v81, v81, v96, s9
	v_cmp_eq_u32_e64 s11, 6, v78
	v_cndmask_b32_e64 v88, v88, v71, s10
	;; [unrolled: 3-line block ×3, first 2 shown]
	v_cndmask_b32_e64 v89, v89, v98, s7
	v_cndmask_b32_e64 v81, v81, v72, s11
	v_cmp_eq_u32_e64 s13, 7, v78
	v_cndmask_b32_e64 v88, v88, v96, s12
	v_cndmask_b32_e64 v87, v87, v86, s11
	v_cmp_eq_u32_e64 s15, 6, v79
	v_cmp_eq_u32_e64 s16, 2, v77
	v_cndmask_b32_e64 v89, v89, v85, s10
	v_cndmask_b32_e64 v101, v81, v97, s13
	;; [unrolled: 1-line block ×6, first 2 shown]
	v_cmp_eq_u32_e64 s17, 7, v79
	v_cmp_eq_u32_e64 s18, 3, v77
	;; [unrolled: 1-line block ×4, first 2 shown]
	v_cndmask_b32_e64 v87, v87, v84, s16
	v_cndmask_b32_e64 v103, v88, v97, s17
	v_cndmask_b32_e64 v88, v89, v99, s12
	v_cndmask_b32_e64 v89, v81, v95, s18
	v_or_b32_e32 v81, 3, v78
	v_cndmask_b32_e64 v93, v87, v98, s18
	v_cmp_eq_u32_e64 s23, 6, v77
	v_cndmask_b32_e64 v104, v88, v86, s15
	v_cndmask_b32_e64 v92, v89, v71, s19
	v_cmp_eq_u32_e64 s20, 1, v81
	ds_load_b128 v[87:90], v82 offset:1024
	v_cmp_eq_u32_e64 s22, 2, v81
	v_cmp_eq_u32_e64 s24, 3, v81
	v_cndmask_b32_e64 v105, v92, v96, s21
	v_cndmask_b32_e64 v66, v69, v66, s20
	;; [unrolled: 1-line block ×4, first 2 shown]
	ds_load_b128 v[91:94], v82 offset:1040
	v_cmp_eq_u32_e64 s25, 4, v81
	v_cndmask_b32_e64 v66, v66, v70, s22
	v_cmp_eq_u32_e64 s26, 7, v77
	v_cndmask_b32_e64 v70, v83, v84, s22
	v_cndmask_b32_e64 v84, v105, v72, s23
	v_cmp_eq_u32_e64 s27, 5, v81
	v_cndmask_b32_e64 v66, v66, v95, s24
	v_cmp_eq_u32_e64 s28, 6, v81
	v_cndmask_b32_e64 v70, v70, v98, s24
	v_cndmask_b32_e64 v69, v69, v99, s21
	;; [unrolled: 1-line block ×4, first 2 shown]
	s_waitcnt lgkmcnt(1)
	v_lshrrev_b32_e32 v95, 16, v87
	v_cndmask_b32_e64 v70, v70, v85, s25
	v_cndmask_b32_e64 v71, v84, v97, s26
	;; [unrolled: 1-line block ×4, first 2 shown]
	v_cndmask_b32_e32 v84, v87, v95, vcc_lo
	v_cndmask_b32_e64 v70, v70, v99, s27
	s_waitcnt lgkmcnt(0)
	v_lshrrev_b32_e32 v85, 16, v91
	v_lshrrev_b32_e32 v96, 16, v88
	v_cndmask_b32_e64 v98, v87, v95, s2
	v_cndmask_b32_e64 v84, v84, v88, s3
	;; [unrolled: 1-line block ×3, first 2 shown]
	v_cndmask_b32_e32 v99, v91, v85, vcc_lo
	v_cmp_eq_u32_e32 vcc_lo, 7, v81
	v_cndmask_b32_e64 v66, v66, v72, s28
	v_cndmask_b32_e64 v72, v84, v96, s6
	;; [unrolled: 1-line block ×3, first 2 shown]
	v_lshrrev_b32_e32 v98, 16, v92
	v_cndmask_b32_e32 v70, v70, v100, vcc_lo
	v_cndmask_b32_e64 v86, v99, v92, s3
	v_cndmask_b32_e64 v69, v69, v100, s26
	v_lshrrev_b32_e32 v100, 16, v93
	v_cndmask_b32_e64 v72, v72, v89, s8
	v_lshrrev_b32_e32 v99, 16, v89
	v_cndmask_b32_e64 v86, v86, v98, s6
	v_perm_b32 v71, v69, v71, 0x5040100
	v_cndmask_b32_e64 v84, v84, v96, s7
	s_delay_alu instid0(VALU_DEP_3) | instskip(NEXT) | instid1(VALU_DEP_2)
	v_cndmask_b32_e64 v86, v86, v93, s8
	v_cndmask_b32_e64 v84, v84, v89, s10
	s_delay_alu instid0(VALU_DEP_2) | instskip(NEXT) | instid1(VALU_DEP_1)
	v_cndmask_b32_e64 v86, v86, v100, s9
	v_cndmask_b32_e64 v69, v86, v94, s11
	;; [unrolled: 1-line block ×5, first 2 shown]
	s_delay_alu instid0(VALU_DEP_3) | instskip(NEXT) | instid1(VALU_DEP_3)
	v_cndmask_b32_e64 v86, v86, v88, s16
	v_cndmask_b32_e64 v87, v87, v88, s22
	s_delay_alu instid0(VALU_DEP_3) | instskip(NEXT) | instid1(VALU_DEP_3)
	v_cndmask_b32_e64 v88, v95, v92, s22
	v_cndmask_b32_e64 v86, v86, v96, s18
	;; [unrolled: 3-line block ×7, first 2 shown]
	s_delay_alu instid0(VALU_DEP_3) | instskip(SKIP_2) | instid1(VALU_DEP_2)
	v_cndmask_b32_e64 v88, v88, v94, s28
	v_cndmask_b32_e32 v66, v66, v97, vcc_lo
	v_cndmask_b32_e64 v97, v72, v99, s9
	v_perm_b32 v72, v70, v66, 0x5040100
	v_perm_b32 v70, v83, v103, 0x5040100
	v_cndmask_b32_e64 v103, v91, v85, s4
	v_cndmask_b32_e64 v85, v91, v85, s2
	;; [unrolled: 1-line block ×4, first 2 shown]
	v_lshrrev_b32_e32 v97, 16, v90
	v_cndmask_b32_e64 v91, v103, v92, s16
	v_cndmask_b32_e64 v85, v85, v92, s5
	;; [unrolled: 1-line block ×3, first 2 shown]
	s_mov_b32 s2, exec_lo
	v_cndmask_b32_e64 v83, v84, v97, s13
	v_cndmask_b32_e64 v91, v91, v98, s18
	;; [unrolled: 1-line block ×3, first 2 shown]
	v_lshrrev_b32_e32 v84, 16, v94
	v_cndmask_b32_e64 v66, v66, v97, s17
	v_cndmask_b32_e64 v90, v86, v97, s26
	;; [unrolled: 1-line block ×4, first 2 shown]
	v_dual_cndmask_b32 v86, v87, v97 :: v_dual_cndmask_b32 v87, v88, v84
	v_cndmask_b32_e64 v91, v69, v84, s13
	s_delay_alu instid0(VALU_DEP_4) | instskip(NEXT) | instid1(VALU_DEP_4)
	v_cndmask_b32_e64 v89, v89, v100, s21
	v_cndmask_b32_e64 v85, v85, v100, s12
	v_perm_b32 v69, v102, v101, 0x5040100
	v_perm_b32 v86, v87, v86, 0x5040100
	;; [unrolled: 1-line block ×3, first 2 shown]
	v_cndmask_b32_e64 v89, v89, v94, s23
	v_cndmask_b32_e64 v85, v85, v94, s15
	s_mul_i32 s7, s35, 10
	s_delay_alu instid0(VALU_DEP_2) | instskip(NEXT) | instid1(VALU_DEP_2)
	v_cndmask_b32_e64 v88, v89, v84, s26
	v_cndmask_b32_e64 v89, v85, v84, s17
	s_delay_alu instid0(VALU_DEP_2) | instskip(NEXT) | instid1(VALU_DEP_2)
	v_perm_b32 v85, v88, v90, 0x5040100
	v_perm_b32 v84, v89, v66, 0x5040100
	ds_store_b128 v76, v[69:72]
	ds_store_b128 v76, v[83:86] offset:1024
	v_cmpx_gt_u32_e32 10, v0
	s_cbranch_execz .LBB1515_78
; %bb.77:
	s_mul_i32 s3, s7, s30
	s_load_b128 s[8:11], s[0:1], 0x58
	v_add3_u32 v69, s3, s29, v65
	s_delay_alu instid0(VALU_DEP_1) | instskip(NEXT) | instid1(VALU_DEP_1)
	v_mad_u64_u32 v[65:66], null, v69, s34, s[14:15]
	v_ashrrev_i32_e32 v66, 31, v65
	s_delay_alu instid0(VALU_DEP_1) | instskip(SKIP_1) | instid1(VALU_DEP_1)
	v_lshlrev_b64 v[65:66], 2, v[65:66]
	s_waitcnt lgkmcnt(0)
	v_add_co_u32 v69, vcc_lo, s10, v65
	s_delay_alu instid0(VALU_DEP_2)
	v_add_co_ci_u32_e32 v70, vcc_lo, s11, v66, vcc_lo
	v_add_co_u32 v65, vcc_lo, s8, v65
	v_add_co_ci_u32_e32 v66, vcc_lo, s9, v66, vcc_lo
	global_store_b32 v[69:70], v67, off
	global_store_b32 v[65:66], v68, off
.LBB1515_78:
	s_or_b32 exec_lo, exec_lo, s2
	s_waitcnt lgkmcnt(0)
	s_waitcnt_vscnt null, 0x0
	s_barrier
	buffer_gl0_inv
	ds_load_b128 v[83:86], v80
	ds_load_b128 v[87:90], v80 offset:16
	ds_load_b128 v[95:98], v80 offset:2064
	;; [unrolled: 1-line block ×3, first 2 shown]
	v_mov_b32_e32 v65, 0
	ds_load_b128 v[103:106], v80 offset:4112
	ds_load_b128 v[99:102], v80 offset:4096
	;; [unrolled: 1-line block ×4, first 2 shown]
	v_mov_b32_e32 v66, v65
	v_mov_b32_e32 v67, v65
	v_mov_b32_e32 v68, v65
	v_mov_b32_e32 v69, v65
	v_mov_b32_e32 v70, v65
	v_mov_b32_e32 v71, v65
	v_mov_b32_e32 v72, v65
	s_waitcnt lgkmcnt(6)
	s_delay_alu instid0(VALU_DEP_1)
	v_wmma_f32_16x16x16_bf16 v[65:72], v[49:56], v[83:90], v[65:72]
	ds_load_b128 v[53:56], v80 offset:8208
	ds_load_b128 v[49:52], v80 offset:8192
	s_waitcnt lgkmcnt(6)
	v_wmma_f32_16x16x16_bf16 v[65:72], v[41:48], v[91:98], v[65:72]
	ds_load_b128 v[45:48], v80 offset:10256
	ds_load_b128 v[41:44], v80 offset:10240
	s_waitcnt lgkmcnt(6)
	;; [unrolled: 4-line block ×4, first 2 shown]
	v_wmma_f32_16x16x16_bf16 v[65:72], v[1:8], v[49:56], v[65:72]
	s_waitcnt lgkmcnt(4)
	s_delay_alu instid0(VALU_DEP_1) | instskip(SKIP_1) | instid1(VALU_DEP_1)
	v_wmma_f32_16x16x16_bf16 v[65:72], v[9:16], v[41:48], v[65:72]
	s_waitcnt lgkmcnt(2)
	v_wmma_f32_16x16x16_bf16 v[65:72], v[17:24], v[33:40], v[65:72]
	s_waitcnt lgkmcnt(0)
	s_delay_alu instid0(VALU_DEP_1) | instskip(NEXT) | instid1(VALU_DEP_1)
	v_wmma_f32_16x16x16_bf16 v[65:72], v[57:64], v[25:32], v[65:72]
	v_and_b32_e32 v1, 0x7f800000, v65
	s_delay_alu instid0(VALU_DEP_1) | instskip(SKIP_1) | instid1(SALU_CYCLE_1)
	v_cmp_ne_u32_e32 vcc_lo, 0x7f800000, v1
                                        ; implicit-def: $vgpr1
	s_and_saveexec_b32 s2, vcc_lo
	s_xor_b32 s2, exec_lo, s2
; %bb.79:
	v_bfe_u32 v1, v65, 16, 1
	s_delay_alu instid0(VALU_DEP_1)
	v_add3_u32 v1, v65, v1, 0x7fff
; %bb.80:
	s_and_not1_saveexec_b32 s2, s2
; %bb.81:
	v_and_b32_e32 v1, 0xffff, v65
	v_or_b32_e32 v2, 0x10000, v65
	s_delay_alu instid0(VALU_DEP_2) | instskip(NEXT) | instid1(VALU_DEP_2)
	v_cmp_eq_u32_e32 vcc_lo, 0, v1
	v_cndmask_b32_e32 v1, v2, v65, vcc_lo
; %bb.82:
	s_or_b32 exec_lo, exec_lo, s2
	v_and_b32_e32 v2, 0x7f800000, v66
	s_delay_alu instid0(VALU_DEP_1) | instskip(SKIP_1) | instid1(SALU_CYCLE_1)
	v_cmp_ne_u32_e32 vcc_lo, 0x7f800000, v2
                                        ; implicit-def: $vgpr2
	s_and_saveexec_b32 s2, vcc_lo
	s_xor_b32 s2, exec_lo, s2
; %bb.83:
	v_bfe_u32 v2, v66, 16, 1
	s_delay_alu instid0(VALU_DEP_1)
	v_add3_u32 v2, v66, v2, 0x7fff
; %bb.84:
	s_and_not1_saveexec_b32 s2, s2
; %bb.85:
	v_and_b32_e32 v2, 0xffff, v66
	v_or_b32_e32 v3, 0x10000, v66
	s_delay_alu instid0(VALU_DEP_2) | instskip(NEXT) | instid1(VALU_DEP_2)
	v_cmp_eq_u32_e32 vcc_lo, 0, v2
	v_cndmask_b32_e32 v2, v3, v66, vcc_lo
; %bb.86:
	s_or_b32 exec_lo, exec_lo, s2
	v_and_b32_e32 v3, 0x7f800000, v67
	s_delay_alu instid0(VALU_DEP_1) | instskip(SKIP_1) | instid1(SALU_CYCLE_1)
	v_cmp_ne_u32_e32 vcc_lo, 0x7f800000, v3
                                        ; implicit-def: $vgpr3
	s_and_saveexec_b32 s2, vcc_lo
	s_xor_b32 s2, exec_lo, s2
; %bb.87:
	v_bfe_u32 v3, v67, 16, 1
	s_delay_alu instid0(VALU_DEP_1)
	v_add3_u32 v3, v67, v3, 0x7fff
; %bb.88:
	s_and_not1_saveexec_b32 s2, s2
; %bb.89:
	v_and_b32_e32 v3, 0xffff, v67
	v_or_b32_e32 v4, 0x10000, v67
	s_delay_alu instid0(VALU_DEP_2) | instskip(NEXT) | instid1(VALU_DEP_2)
	v_cmp_eq_u32_e32 vcc_lo, 0, v3
	v_cndmask_b32_e32 v3, v4, v67, vcc_lo
; %bb.90:
	s_or_b32 exec_lo, exec_lo, s2
	v_and_b32_e32 v4, 0x7f800000, v68
	s_delay_alu instid0(VALU_DEP_1) | instskip(SKIP_1) | instid1(SALU_CYCLE_1)
	v_cmp_ne_u32_e32 vcc_lo, 0x7f800000, v4
                                        ; implicit-def: $vgpr4
	s_and_saveexec_b32 s2, vcc_lo
	s_xor_b32 s2, exec_lo, s2
; %bb.91:
	v_bfe_u32 v4, v68, 16, 1
	s_delay_alu instid0(VALU_DEP_1)
	v_add3_u32 v4, v68, v4, 0x7fff
; %bb.92:
	s_and_not1_saveexec_b32 s2, s2
; %bb.93:
	v_and_b32_e32 v4, 0xffff, v68
	v_or_b32_e32 v5, 0x10000, v68
	s_delay_alu instid0(VALU_DEP_2) | instskip(NEXT) | instid1(VALU_DEP_2)
	v_cmp_eq_u32_e32 vcc_lo, 0, v4
	v_cndmask_b32_e32 v4, v5, v68, vcc_lo
; %bb.94:
	s_or_b32 exec_lo, exec_lo, s2
	v_and_b32_e32 v5, 0x7f800000, v69
	s_delay_alu instid0(VALU_DEP_1) | instskip(SKIP_1) | instid1(SALU_CYCLE_1)
	v_cmp_ne_u32_e32 vcc_lo, 0x7f800000, v5
                                        ; implicit-def: $vgpr5
	s_and_saveexec_b32 s2, vcc_lo
	s_xor_b32 s2, exec_lo, s2
; %bb.95:
	v_bfe_u32 v5, v69, 16, 1
	s_delay_alu instid0(VALU_DEP_1)
	v_add3_u32 v5, v69, v5, 0x7fff
; %bb.96:
	s_and_not1_saveexec_b32 s2, s2
; %bb.97:
	v_and_b32_e32 v5, 0xffff, v69
	v_or_b32_e32 v6, 0x10000, v69
	s_delay_alu instid0(VALU_DEP_2) | instskip(NEXT) | instid1(VALU_DEP_2)
	v_cmp_eq_u32_e32 vcc_lo, 0, v5
	v_cndmask_b32_e32 v5, v6, v69, vcc_lo
; %bb.98:
	s_or_b32 exec_lo, exec_lo, s2
	v_and_b32_e32 v6, 0x7f800000, v70
	s_delay_alu instid0(VALU_DEP_1) | instskip(SKIP_1) | instid1(SALU_CYCLE_1)
	v_cmp_ne_u32_e32 vcc_lo, 0x7f800000, v6
                                        ; implicit-def: $vgpr6
	s_and_saveexec_b32 s2, vcc_lo
	s_xor_b32 s2, exec_lo, s2
; %bb.99:
	v_bfe_u32 v6, v70, 16, 1
	s_delay_alu instid0(VALU_DEP_1)
	v_add3_u32 v6, v70, v6, 0x7fff
; %bb.100:
	s_and_not1_saveexec_b32 s2, s2
; %bb.101:
	v_and_b32_e32 v6, 0xffff, v70
	v_or_b32_e32 v7, 0x10000, v70
	s_delay_alu instid0(VALU_DEP_2) | instskip(NEXT) | instid1(VALU_DEP_2)
	v_cmp_eq_u32_e32 vcc_lo, 0, v6
	v_cndmask_b32_e32 v6, v7, v70, vcc_lo
; %bb.102:
	s_or_b32 exec_lo, exec_lo, s2
	v_and_b32_e32 v7, 0x7f800000, v71
	s_delay_alu instid0(VALU_DEP_1) | instskip(SKIP_1) | instid1(SALU_CYCLE_1)
	v_cmp_ne_u32_e32 vcc_lo, 0x7f800000, v7
                                        ; implicit-def: $vgpr7
	s_and_saveexec_b32 s2, vcc_lo
	s_xor_b32 s2, exec_lo, s2
; %bb.103:
	v_bfe_u32 v7, v71, 16, 1
	s_delay_alu instid0(VALU_DEP_1)
	v_add3_u32 v7, v71, v7, 0x7fff
; %bb.104:
	s_and_not1_saveexec_b32 s2, s2
; %bb.105:
	v_and_b32_e32 v7, 0xffff, v71
	v_or_b32_e32 v8, 0x10000, v71
	s_delay_alu instid0(VALU_DEP_2) | instskip(NEXT) | instid1(VALU_DEP_2)
	v_cmp_eq_u32_e32 vcc_lo, 0, v7
	v_cndmask_b32_e32 v7, v8, v71, vcc_lo
; %bb.106:
	s_or_b32 exec_lo, exec_lo, s2
	v_and_b32_e32 v8, 0x7f800000, v72
	s_delay_alu instid0(VALU_DEP_1) | instskip(SKIP_1) | instid1(SALU_CYCLE_1)
	v_cmp_ne_u32_e32 vcc_lo, 0x7f800000, v8
                                        ; implicit-def: $vgpr8
	s_and_saveexec_b32 s2, vcc_lo
	s_xor_b32 s2, exec_lo, s2
; %bb.107:
	v_bfe_u32 v8, v72, 16, 1
	s_delay_alu instid0(VALU_DEP_1)
	v_add3_u32 v8, v72, v8, 0x7fff
                                        ; implicit-def: $vgpr65_vgpr66_vgpr67_vgpr68_vgpr69_vgpr70_vgpr71_vgpr72
; %bb.108:
	s_and_not1_saveexec_b32 s2, s2
; %bb.109:
	v_and_b32_e32 v8, 0xffff, v72
	v_or_b32_e32 v9, 0x10000, v72
	s_delay_alu instid0(VALU_DEP_2) | instskip(NEXT) | instid1(VALU_DEP_2)
	v_cmp_eq_u32_e32 vcc_lo, 0, v8
	v_cndmask_b32_e32 v8, v9, v72, vcc_lo
; %bb.110:
	s_or_b32 exec_lo, exec_lo, s2
	s_delay_alu instid0(VALU_DEP_1)
	v_perm_b32 v7, v8, v7, 0x7060302
	v_perm_b32 v6, v6, v5, 0x7060302
	;; [unrolled: 1-line block ×4, first 2 shown]
	s_barrier
	buffer_gl0_inv
	v_cmp_eq_u32_e32 vcc_lo, 1, v78
	ds_store_b128 v76, v[4:7]
	s_waitcnt lgkmcnt(0)
	s_barrier
	buffer_gl0_inv
	ds_load_b128 v[1:4], v82
	ds_load_b128 v[5:8], v82 offset:16
	v_cmp_eq_u32_e64 s2, 1, v79
	v_cmp_eq_u32_e64 s3, 2, v78
	;; [unrolled: 1-line block ×5, first 2 shown]
	s_waitcnt lgkmcnt(1)
	v_lshrrev_b32_e32 v9, 16, v1
	s_waitcnt lgkmcnt(0)
	v_lshrrev_b32_e32 v13, 16, v5
	v_lshrrev_b32_e32 v10, 16, v2
	;; [unrolled: 1-line block ×4, first 2 shown]
	v_cndmask_b32_e64 v19, v1, v9, s2
	v_cndmask_b32_e32 v18, v5, v13, vcc_lo
	v_cndmask_b32_e64 v20, v5, v13, s2
	v_cndmask_b32_e32 v17, v1, v9, vcc_lo
	v_cmp_eq_u32_e32 vcc_lo, 2, v79
	v_lshrrev_b32_e32 v15, 16, v7
	v_cmp_eq_u32_e64 s2, 1, v77
	v_lshrrev_b32_e32 v12, 16, v4
	v_lshrrev_b32_e32 v16, 16, v8
	v_cndmask_b32_e32 v20, v20, v6, vcc_lo
	v_cndmask_b32_e64 v17, v17, v2, s3
	v_cndmask_b32_e32 v19, v19, v2, vcc_lo
	v_cndmask_b32_e64 v18, v18, v6, s3
	v_cmp_eq_u32_e32 vcc_lo, 4, v78
	v_cmp_eq_u32_e64 s3, 3, v79
	v_cndmask_b32_e64 v17, v17, v10, s4
	v_cndmask_b32_e64 v21, v1, v9, s2
	;; [unrolled: 1-line block ×5, first 2 shown]
	v_cndmask_b32_e32 v17, v17, v3, vcc_lo
	v_cndmask_b32_e64 v20, v20, v14, s3
	v_cndmask_b32_e32 v18, v18, v7, vcc_lo
	v_cmp_eq_u32_e32 vcc_lo, 4, v79
	v_cmp_eq_u32_e64 s3, 5, v79
	v_cmp_eq_u32_e64 s2, 2, v81
	v_cndmask_b32_e64 v21, v21, v2, s6
	v_cmp_eq_u32_e64 s4, 5, v78
	v_cndmask_b32_e32 v19, v19, v3, vcc_lo
	v_cndmask_b32_e32 v20, v20, v7, vcc_lo
	v_cmp_eq_u32_e32 vcc_lo, 6, v79
	s_delay_alu instid0(VALU_DEP_4) | instskip(NEXT) | instid1(VALU_DEP_4)
	v_cndmask_b32_e64 v17, v17, v11, s4
	v_cndmask_b32_e64 v19, v19, v11, s3
	s_delay_alu instid0(VALU_DEP_4) | instskip(SKIP_1) | instid1(VALU_DEP_3)
	v_cndmask_b32_e64 v20, v20, v15, s3
	v_cmp_eq_u32_e64 s3, 1, v81
	v_cndmask_b32_e32 v19, v19, v4, vcc_lo
	v_cndmask_b32_e64 v18, v18, v15, s4
	s_delay_alu instid0(VALU_DEP_3)
	v_cndmask_b32_e64 v1, v1, v9, s3
	v_cndmask_b32_e64 v5, v5, v13, s3
	v_cmp_eq_u32_e64 s3, 3, v77
	v_cndmask_b32_e64 v13, v22, v6, s6
	v_cmp_eq_u32_e64 s6, 3, v81
	v_cndmask_b32_e64 v1, v1, v2, s2
	v_cndmask_b32_e64 v2, v5, v6, s2
	;; [unrolled: 1-line block ×3, first 2 shown]
	v_cmp_eq_u32_e64 s2, 4, v77
	v_cndmask_b32_e64 v6, v13, v14, s3
	v_cndmask_b32_e64 v1, v1, v10, s6
	v_cmp_eq_u32_e64 s3, 4, v81
	v_cndmask_b32_e64 v2, v2, v14, s6
	v_cndmask_b32_e64 v5, v9, v3, s2
	;; [unrolled: 3-line block ×3, first 2 shown]
	v_cndmask_b32_e64 v2, v2, v7, s3
	v_cmp_eq_u32_e64 s2, 5, v81
	v_cmp_eq_u32_e64 s4, 6, v78
	v_cndmask_b32_e64 v5, v5, v11, s6
	v_cmp_eq_u32_e64 s3, 6, v77
	v_cndmask_b32_e64 v3, v6, v15, s6
	v_cndmask_b32_e64 v1, v1, v11, s2
	v_cmp_eq_u32_e64 s6, 6, v81
	v_cndmask_b32_e64 v2, v2, v15, s2
	v_cndmask_b32_e64 v17, v17, v4, s4
	v_cndmask_b32_e64 v18, v18, v8, s4
	v_cmp_eq_u32_e64 s4, 7, v78
	v_cndmask_b32_e64 v5, v5, v4, s3
	;; [unrolled: 4-line block ×3, first 2 shown]
	v_cmp_eq_u32_e64 s3, 7, v77
	v_cndmask_b32_e32 v4, v20, v8, vcc_lo
	v_cndmask_b32_e64 v17, v17, v12, s4
	v_cndmask_b32_e64 v19, v19, v12, s5
	;; [unrolled: 1-line block ×8, first 2 shown]
	s_mov_b32 s2, exec_lo
	v_perm_b32 v4, v2, v1, 0x5040100
	v_perm_b32 v3, v3, v5, 0x5040100
	;; [unrolled: 1-line block ×4, first 2 shown]
	ds_store_b128 v76, v[1:4]
	s_waitcnt lgkmcnt(0)
	s_barrier
	buffer_gl0_inv
	v_cmpx_gt_u32_e32 32, v0
	s_cbranch_execz .LBB1515_2
; %bb.111:
	s_load_b64 s[0:1], s[0:1], 0x68
	s_lshl_b32 s4, s34, 7
	v_or_b32_e32 v2, s29, v74
	s_mul_i32 s2, s4, s30
	v_lshlrev_b32_e32 v0, 10, v0
	s_mul_i32 s2, s2, s7
	v_lshlrev_b32_e32 v1, 4, v75
	s_ashr_i32 s3, s2, 31
	v_mul_lo_u32 v20, v2, s4
	s_lshl_b64 s[2:3], s[2:3], 1
	v_lshlrev_b32_e32 v3, 6, v74
	v_and_b32_e32 v0, 0x3800, v0
	s_delay_alu instid0(VALU_DEP_1) | instskip(NEXT) | instid1(VALU_DEP_4)
	v_or3_b32 v16, v0, v1, v3
	v_ashrrev_i32_e32 v21, 31, v20
	ds_load_b128 v[0:3], v16
	ds_load_b128 v[4:7], v16 offset:128
	s_waitcnt lgkmcnt(0)
	s_add_u32 s2, s0, s2
	s_addc_u32 s3, s1, s3
	s_lshl_b32 s0, s14, 7
	ds_load_b128 v[8:11], v16 offset:256
	ds_load_b128 v[12:15], v16 offset:384
	;; [unrolled: 1-line block ×3, first 2 shown]
	s_ashr_i32 s1, s0, 31
	s_delay_alu instid0(SALU_CYCLE_1) | instskip(NEXT) | instid1(SALU_CYCLE_1)
	s_lshl_b64 s[0:1], s[0:1], 1
	s_add_u32 s0, s2, s0
	s_addc_u32 s1, s3, s1
	s_lshl_b32 s2, s34, 8
	v_add_co_u32 v30, s0, s0, v73
	v_add_nc_u32_e32 v22, s2, v20
	v_lshlrev_b64 v[20:21], 1, v[20:21]
	v_add_co_ci_u32_e64 v31, null, s1, 0, s0
	s_delay_alu instid0(VALU_DEP_3) | instskip(SKIP_1) | instid1(VALU_DEP_4)
	v_add_nc_u32_e32 v24, s2, v22
	v_ashrrev_i32_e32 v23, 31, v22
	v_add_co_u32 v20, vcc_lo, v30, v20
	s_delay_alu instid0(VALU_DEP_4) | instskip(NEXT) | instid1(VALU_DEP_4)
	v_add_co_ci_u32_e32 v21, vcc_lo, v31, v21, vcc_lo
	v_add_nc_u32_e32 v26, s2, v24
	v_ashrrev_i32_e32 v25, 31, v24
	v_lshlrev_b64 v[22:23], 1, v[22:23]
	s_delay_alu instid0(VALU_DEP_3) | instskip(SKIP_1) | instid1(VALU_DEP_4)
	v_add_nc_u32_e32 v28, s2, v26
	v_ashrrev_i32_e32 v27, 31, v26
	v_lshlrev_b64 v[24:25], 1, v[24:25]
	s_delay_alu instid0(VALU_DEP_4) | instskip(NEXT) | instid1(VALU_DEP_4)
	v_add_co_u32 v22, vcc_lo, v30, v22
	v_ashrrev_i32_e32 v29, 31, v28
	s_delay_alu instid0(VALU_DEP_4) | instskip(SKIP_2) | instid1(VALU_DEP_4)
	v_lshlrev_b64 v[26:27], 1, v[26:27]
	v_add_co_ci_u32_e32 v23, vcc_lo, v31, v23, vcc_lo
	v_add_co_u32 v24, vcc_lo, v30, v24
	v_lshlrev_b64 v[28:29], 1, v[28:29]
	v_add_co_ci_u32_e32 v25, vcc_lo, v31, v25, vcc_lo
	v_add_co_u32 v26, vcc_lo, v30, v26
	v_add_co_ci_u32_e32 v27, vcc_lo, v31, v27, vcc_lo
	s_delay_alu instid0(VALU_DEP_4)
	v_add_co_u32 v28, vcc_lo, v30, v28
	v_add_co_ci_u32_e32 v29, vcc_lo, v31, v29, vcc_lo
	s_clause 0x1
	global_store_b128 v[20:21], v[0:3], off
	global_store_b128 v[22:23], v[4:7], off
	s_waitcnt lgkmcnt(2)
	global_store_b128 v[24:25], v[8:11], off
	s_waitcnt lgkmcnt(1)
	;; [unrolled: 2-line block ×3, first 2 shown]
	global_store_b128 v[28:29], v[16:19], off
	s_nop 0
	s_sendmsg sendmsg(MSG_DEALLOC_VGPRS)
	s_endpgm
	.section	.rodata,"a",@progbits
	.p2align	6, 0x0
	.amdhsa_kernel _Z39paged_attention_ll4mi_QKV_mfma16_kernelI14__hip_bfloat16hLN4vllm18Fp8KVCacheDataTypeE1EhLi16ELi128ELi256ELb1ELi10EL8MFMAType1EEvPKT_PKT0_S9_ifPKiSB_SB_iPKfiiiPfSE_PS4_PT2_iSD_SD_
		.amdhsa_group_segment_fixed_size 17472
		.amdhsa_private_segment_fixed_size 0
		.amdhsa_kernarg_size 400
		.amdhsa_user_sgpr_count 13
		.amdhsa_user_sgpr_dispatch_ptr 0
		.amdhsa_user_sgpr_queue_ptr 0
		.amdhsa_user_sgpr_kernarg_segment_ptr 1
		.amdhsa_user_sgpr_dispatch_id 0
		.amdhsa_user_sgpr_private_segment_size 0
		.amdhsa_wavefront_size32 1
		.amdhsa_uses_dynamic_stack 0
		.amdhsa_enable_private_segment 0
		.amdhsa_system_sgpr_workgroup_id_x 1
		.amdhsa_system_sgpr_workgroup_id_y 1
		.amdhsa_system_sgpr_workgroup_id_z 1
		.amdhsa_system_sgpr_workgroup_info 0
		.amdhsa_system_vgpr_workitem_id 0
		.amdhsa_next_free_vgpr 140
		.amdhsa_next_free_sgpr 36
		.amdhsa_reserve_vcc 1
		.amdhsa_float_round_mode_32 0
		.amdhsa_float_round_mode_16_64 0
		.amdhsa_float_denorm_mode_32 3
		.amdhsa_float_denorm_mode_16_64 3
		.amdhsa_dx10_clamp 1
		.amdhsa_ieee_mode 1
		.amdhsa_fp16_overflow 0
		.amdhsa_workgroup_processor_mode 1
		.amdhsa_memory_ordered 1
		.amdhsa_forward_progress 0
		.amdhsa_shared_vgpr_count 0
		.amdhsa_exception_fp_ieee_invalid_op 0
		.amdhsa_exception_fp_denorm_src 0
		.amdhsa_exception_fp_ieee_div_zero 0
		.amdhsa_exception_fp_ieee_overflow 0
		.amdhsa_exception_fp_ieee_underflow 0
		.amdhsa_exception_fp_ieee_inexact 0
		.amdhsa_exception_int_div_zero 0
	.end_amdhsa_kernel
	.section	.text._Z39paged_attention_ll4mi_QKV_mfma16_kernelI14__hip_bfloat16hLN4vllm18Fp8KVCacheDataTypeE1EhLi16ELi128ELi256ELb1ELi10EL8MFMAType1EEvPKT_PKT0_S9_ifPKiSB_SB_iPKfiiiPfSE_PS4_PT2_iSD_SD_,"axG",@progbits,_Z39paged_attention_ll4mi_QKV_mfma16_kernelI14__hip_bfloat16hLN4vllm18Fp8KVCacheDataTypeE1EhLi16ELi128ELi256ELb1ELi10EL8MFMAType1EEvPKT_PKT0_S9_ifPKiSB_SB_iPKfiiiPfSE_PS4_PT2_iSD_SD_,comdat
.Lfunc_end1515:
	.size	_Z39paged_attention_ll4mi_QKV_mfma16_kernelI14__hip_bfloat16hLN4vllm18Fp8KVCacheDataTypeE1EhLi16ELi128ELi256ELb1ELi10EL8MFMAType1EEvPKT_PKT0_S9_ifPKiSB_SB_iPKfiiiPfSE_PS4_PT2_iSD_SD_, .Lfunc_end1515-_Z39paged_attention_ll4mi_QKV_mfma16_kernelI14__hip_bfloat16hLN4vllm18Fp8KVCacheDataTypeE1EhLi16ELi128ELi256ELb1ELi10EL8MFMAType1EEvPKT_PKT0_S9_ifPKiSB_SB_iPKfiiiPfSE_PS4_PT2_iSD_SD_
                                        ; -- End function
	.section	.AMDGPU.csdata,"",@progbits
; Kernel info:
; codeLenInByte = 8908
; NumSgprs: 38
; NumVgprs: 140
; ScratchSize: 0
; MemoryBound: 0
; FloatMode: 240
; IeeeMode: 1
; LDSByteSize: 17472 bytes/workgroup (compile time only)
; SGPRBlocks: 4
; VGPRBlocks: 17
; NumSGPRsForWavesPerEU: 38
; NumVGPRsForWavesPerEU: 140
; Occupancy: 10
; WaveLimiterHint : 1
; COMPUTE_PGM_RSRC2:SCRATCH_EN: 0
; COMPUTE_PGM_RSRC2:USER_SGPR: 13
; COMPUTE_PGM_RSRC2:TRAP_HANDLER: 0
; COMPUTE_PGM_RSRC2:TGID_X_EN: 1
; COMPUTE_PGM_RSRC2:TGID_Y_EN: 1
; COMPUTE_PGM_RSRC2:TGID_Z_EN: 1
; COMPUTE_PGM_RSRC2:TIDIG_COMP_CNT: 0
	.section	.text._Z39paged_attention_ll4mi_QKV_mfma16_kernelI14__hip_bfloat16hLN4vllm18Fp8KVCacheDataTypeE1EhLi16ELi128ELi256ELb1ELi11EL8MFMAType1EEvPKT_PKT0_S9_ifPKiSB_SB_iPKfiiiPfSE_PS4_PT2_iSD_SD_,"axG",@progbits,_Z39paged_attention_ll4mi_QKV_mfma16_kernelI14__hip_bfloat16hLN4vllm18Fp8KVCacheDataTypeE1EhLi16ELi128ELi256ELb1ELi11EL8MFMAType1EEvPKT_PKT0_S9_ifPKiSB_SB_iPKfiiiPfSE_PS4_PT2_iSD_SD_,comdat
	.protected	_Z39paged_attention_ll4mi_QKV_mfma16_kernelI14__hip_bfloat16hLN4vllm18Fp8KVCacheDataTypeE1EhLi16ELi128ELi256ELb1ELi11EL8MFMAType1EEvPKT_PKT0_S9_ifPKiSB_SB_iPKfiiiPfSE_PS4_PT2_iSD_SD_ ; -- Begin function _Z39paged_attention_ll4mi_QKV_mfma16_kernelI14__hip_bfloat16hLN4vllm18Fp8KVCacheDataTypeE1EhLi16ELi128ELi256ELb1ELi11EL8MFMAType1EEvPKT_PKT0_S9_ifPKiSB_SB_iPKfiiiPfSE_PS4_PT2_iSD_SD_
	.globl	_Z39paged_attention_ll4mi_QKV_mfma16_kernelI14__hip_bfloat16hLN4vllm18Fp8KVCacheDataTypeE1EhLi16ELi128ELi256ELb1ELi11EL8MFMAType1EEvPKT_PKT0_S9_ifPKiSB_SB_iPKfiiiPfSE_PS4_PT2_iSD_SD_
	.p2align	8
	.type	_Z39paged_attention_ll4mi_QKV_mfma16_kernelI14__hip_bfloat16hLN4vllm18Fp8KVCacheDataTypeE1EhLi16ELi128ELi256ELb1ELi11EL8MFMAType1EEvPKT_PKT0_S9_ifPKiSB_SB_iPKfiiiPfSE_PS4_PT2_iSD_SD_,@function
_Z39paged_attention_ll4mi_QKV_mfma16_kernelI14__hip_bfloat16hLN4vllm18Fp8KVCacheDataTypeE1EhLi16ELi128ELi256ELb1ELi11EL8MFMAType1EEvPKT_PKT0_S9_ifPKiSB_SB_iPKfiiiPfSE_PS4_PT2_iSD_SD_: ; @_Z39paged_attention_ll4mi_QKV_mfma16_kernelI14__hip_bfloat16hLN4vllm18Fp8KVCacheDataTypeE1EhLi16ELi128ELi256ELb1ELi11EL8MFMAType1EEvPKT_PKT0_S9_ifPKiSB_SB_iPKfiiiPfSE_PS4_PT2_iSD_SD_
; %bb.0:
	s_load_b64 s[4:5], s[0:1], 0x30
	s_mov_b32 s30, s13
	s_waitcnt lgkmcnt(0)
	s_cmp_lg_u64 s[4:5], 0
	s_cselect_b32 s13, -1, 0
	s_ashr_i32 s31, s30, 31
	s_cmp_eq_u64 s[4:5], 0
	s_cbranch_scc1 .LBB1516_3
; %bb.1:
	s_lshl_b64 s[2:3], s[30:31], 2
	s_delay_alu instid0(SALU_CYCLE_1) | instskip(SKIP_4) | instid1(SALU_CYCLE_1)
	s_add_u32 s2, s4, s2
	s_addc_u32 s3, s5, s3
	s_load_b64 s[2:3], s[2:3], 0x0
	s_waitcnt lgkmcnt(0)
	s_sub_i32 s2, s3, s2
	s_cmp_eq_u32 s2, 1
	s_cselect_b32 s2, -1, 0
	s_delay_alu instid0(SALU_CYCLE_1)
	s_and_not1_b32 vcc_lo, exec_lo, s2
	s_cbranch_vccz .LBB1516_4
.LBB1516_2:
	s_nop 0
	s_sendmsg sendmsg(MSG_DEALLOC_VGPRS)
	s_endpgm
.LBB1516_3:
.LBB1516_4:
	s_load_b64 s[2:3], s[0:1], 0x28
	s_lshl_b64 s[6:7], s[30:31], 2
	s_waitcnt lgkmcnt(0)
	s_add_u32 s2, s2, s6
	s_addc_u32 s3, s3, s7
	s_lshl_b32 s12, s14, 8
	s_load_b32 s17, s[2:3], 0x0
	s_waitcnt lgkmcnt(0)
	s_cmp_ge_i32 s12, s17
	s_cbranch_scc1 .LBB1516_2
; %bb.5:
	s_clause 0x1
	s_load_b128 s[8:11], s[0:1], 0x8
	s_load_b64 s[2:3], s[0:1], 0x20
	s_and_not1_b32 vcc_lo, exec_lo, s13
	s_cbranch_vccnz .LBB1516_7
; %bb.6:
	s_add_u32 s4, s4, s6
	s_addc_u32 s5, s5, s7
	s_load_b32 s13, s[4:5], 0x0
	s_branch .LBB1516_8
.LBB1516_7:
	s_mov_b32 s13, s30
.LBB1516_8:
	s_load_b128 s[4:7], s[0:1], 0x48
	v_and_b32_e32 v65, 15, v0
	v_lshrrev_b32_e32 v66, 5, v0
	v_bfe_u32 v74, v0, 4, 1
	v_and_b32_e32 v67, 31, v0
	v_and_b32_e32 v75, 1, v0
	v_lshlrev_b32_e32 v2, 3, v65
	s_mul_i32 s31, s15, 11
	v_lshl_or_b32 v1, v66, 1, v74
	s_waitcnt lgkmcnt(0)
	s_mov_b32 s7, exec_lo
	v_lshlrev_b32_e32 v73, 1, v2
	s_delay_alu instid0(VALU_DEP_2)
	v_cmpx_gt_u32_e32 11, v1
	s_cbranch_execz .LBB1516_10
; %bb.9:
	s_load_b64 s[18:19], s[0:1], 0x0
	v_add_lshl_u32 v2, v1, s31, 7
	s_mul_hi_i32 s21, s13, s4
	s_mul_i32 s20, s13, s4
	v_lshlrev_b32_e32 v6, 10, v65
	s_lshl_b64 s[20:21], s[20:21], 1
	v_ashrrev_i32_e32 v3, 31, v2
	v_lshlrev_b32_e32 v1, 6, v1
	v_lshlrev_b32_e32 v7, 10, v75
	v_and_b32_e32 v6, 0x3800, v6
	s_delay_alu instid0(VALU_DEP_4) | instskip(NEXT) | instid1(VALU_DEP_2)
	v_lshlrev_b64 v[2:3], 1, v[2:3]
	v_or3_b32 v1, v6, v7, v1
	s_waitcnt lgkmcnt(0)
	s_add_u32 s4, s18, s20
	s_addc_u32 s13, s19, s21
	s_delay_alu instid0(VALU_DEP_2) | instskip(SKIP_1) | instid1(VALU_DEP_2)
	v_add_co_u32 v2, vcc_lo, s4, v2
	v_add_co_ci_u32_e32 v3, vcc_lo, s13, v3, vcc_lo
	v_add_co_u32 v2, vcc_lo, v2, v73
	s_delay_alu instid0(VALU_DEP_2)
	v_add_co_ci_u32_e32 v3, vcc_lo, 0, v3, vcc_lo
	global_load_b128 v[2:5], v[2:3], off
	s_waitcnt vmcnt(0)
	ds_store_b128 v1, v[2:5]
.LBB1516_10:
	s_or_b32 exec_lo, exec_lo, s7
	v_and_b32_e32 v1, 0xef, v0
	s_add_i32 s4, s17, 15
	s_clause 0x1
	s_load_b32 s7, s[0:1], 0x38
	s_load_b32 s18, s[0:1], 0x1c
	s_ashr_i32 s13, s4, 31
	v_add_nc_u32_e32 v1, s12, v1
	s_lshr_b32 s13, s13, 28
	s_waitcnt lgkmcnt(0)
	s_add_i32 s4, s4, s13
	s_barrier
	v_ashrrev_i32_e32 v2, 31, v1
	v_or_b32_e32 v3, 16, v1
	s_ashr_i32 s4, s4, 4
	v_cmp_gt_i32_e32 vcc_lo, s17, v1
	s_add_i32 s4, s4, -1
	v_lshrrev_b32_e32 v2, 28, v2
	buffer_gl0_inv
	s_mul_i32 s15, s15, s6
	v_add_nc_u32_e32 v4, v1, v2
	s_mul_i32 s20, s30, s7
	s_delay_alu instid0(SALU_CYCLE_1) | instskip(NEXT) | instid1(VALU_DEP_1)
	s_ashr_i32 s21, s20, 31
	v_ashrrev_i32_e32 v4, 4, v4
	v_add_nc_u32_e32 v2, v3, v2
	s_lshl_b64 s[20:21], s[20:21], 2
	s_delay_alu instid0(SALU_CYCLE_1) | instskip(NEXT) | instid1(VALU_DEP_2)
	s_add_u32 s13, s2, s20
	v_cndmask_b32_e32 v1, s4, v4, vcc_lo
	s_delay_alu instid0(VALU_DEP_2)
	v_ashrrev_i32_e32 v2, 4, v2
	v_cmp_gt_i32_e32 vcc_lo, s17, v3
	s_addc_u32 s16, s3, s21
	s_ashr_i32 s19, s15, 31
	s_add_u32 s26, s8, s15
	s_addc_u32 s27, s9, s19
	v_cndmask_b32_e32 v3, s4, v2, vcc_lo
	v_ashrrev_i32_e32 v2, 31, v1
	s_lshl_b32 s2, s14, 4
	s_delay_alu instid0(SALU_CYCLE_1) | instskip(NEXT) | instid1(VALU_DEP_2)
	s_ashr_i32 s3, s2, 31
	v_ashrrev_i32_e32 v4, 31, v3
	s_delay_alu instid0(VALU_DEP_2) | instskip(SKIP_1) | instid1(SALU_CYCLE_1)
	v_lshlrev_b64 v[1:2], 2, v[1:2]
	s_lshl_b64 s[2:3], s[2:3], 2
	s_add_u32 s2, s13, s2
	s_delay_alu instid0(VALU_DEP_2) | instskip(SKIP_1) | instid1(VALU_DEP_2)
	v_lshlrev_b64 v[3:4], 2, v[3:4]
	s_addc_u32 s3, s16, s3
	v_add_co_u32 v1, vcc_lo, s13, v1
	v_add_co_ci_u32_e32 v2, vcc_lo, s16, v2, vcc_lo
	s_delay_alu instid0(VALU_DEP_3) | instskip(NEXT) | instid1(VALU_DEP_4)
	v_add_co_u32 v3, vcc_lo, s13, v3
	v_add_co_ci_u32_e32 v4, vcc_lo, s16, v4, vcc_lo
	s_clause 0x1
	global_load_b32 v5, v[1:2], off
	global_load_b32 v3, v[3:4], off
	s_or_b32 s6, s12, 32
	v_cmp_gt_u32_e32 vcc_lo, 11, v65
	s_ashr_i32 s7, s6, 4
	s_cmp_lt_i32 s6, s17
	s_cselect_b32 s6, s7, s4
	s_delay_alu instid0(SALU_CYCLE_1) | instskip(NEXT) | instid1(SALU_CYCLE_1)
	s_ashr_i32 s7, s6, 31
	s_lshl_b64 s[6:7], s[6:7], 2
	s_delay_alu instid0(SALU_CYCLE_1) | instskip(SKIP_2) | instid1(SALU_CYCLE_1)
	s_add_u32 s6, s13, s6
	s_addc_u32 s7, s16, s7
	s_or_b32 s8, s12, 64
	s_ashr_i32 s9, s8, 4
	s_cmp_lt_i32 s8, s17
	s_cselect_b32 s8, s9, s4
	s_delay_alu instid0(SALU_CYCLE_1) | instskip(NEXT) | instid1(SALU_CYCLE_1)
	s_ashr_i32 s9, s8, 31
	s_lshl_b64 s[8:9], s[8:9], 2
	s_delay_alu instid0(SALU_CYCLE_1) | instskip(SKIP_2) | instid1(SALU_CYCLE_1)
	s_add_u32 s8, s13, s8
	s_addc_u32 s9, s16, s9
	s_or_b32 s20, s12, 0x60
	;; [unrolled: 10-line block ×4, first 2 shown]
	s_ashr_i32 s25, s24, 4
	s_cmp_lt_i32 s24, s17
	s_cselect_b32 s24, s25, s4
	s_delay_alu instid0(SALU_CYCLE_1) | instskip(NEXT) | instid1(SALU_CYCLE_1)
	s_ashr_i32 s25, s24, 31
	s_lshl_b64 s[24:25], s[24:25], 2
	s_delay_alu instid0(SALU_CYCLE_1)
	s_add_u32 s24, s13, s24
	s_addc_u32 s25, s16, s25
	s_clause 0x5
	s_load_b32 s28, s[2:3], 0x0
	s_load_b32 s29, s[6:7], 0x0
	;; [unrolled: 1-line block ×6, first 2 shown]
	s_mov_b32 s20, 0
	s_or_b32 s2, s12, 0xc0
	s_mov_b32 s21, s20
	s_mov_b32 s22, s20
	;; [unrolled: 1-line block ×5, first 2 shown]
	v_lshlrev_b32_e32 v1, 4, v0
	s_ashr_i32 s3, s2, 4
	s_cmp_lt_i32 s2, s17
	s_cselect_b32 s2, s3, s4
	s_delay_alu instid0(VALU_DEP_1) | instskip(SKIP_1) | instid1(SALU_CYCLE_1)
	v_and_b32_e32 v1, 0xf0, v1
	s_ashr_i32 s3, s2, 31
	s_lshl_b64 s[2:3], s[2:3], 2
	s_delay_alu instid0(VALU_DEP_1) | instskip(NEXT) | instid1(VALU_DEP_1)
	v_add_co_u32 v1, s26, s26, v1
	v_add_co_ci_u32_e64 v2, null, s27, 0, s26
	s_add_u32 s2, s13, s2
	s_addc_u32 s3, s16, s3
	s_or_b32 s6, s12, 0xe0
	s_mov_b32 s27, s20
	s_ashr_i32 s7, s6, 4
	s_cmp_lt_i32 s6, s17
	s_mov_b32 s26, s20
	v_dual_mov_b32 v107, s27 :: v_dual_mov_b32 v100, s20
	s_cselect_b32 s6, s7, s4
	v_mov_b32_e32 v106, s26
	s_ashr_i32 s7, s6, 31
	v_mov_b32_e32 v104, s24
	s_lshl_b64 s[6:7], s[6:7], 2
	v_dual_mov_b32 v103, s23 :: v_dual_mov_b32 v102, s22
	v_mov_b32_e32 v101, s21
	s_waitcnt vmcnt(1)
	v_mad_i64_i32 v[33:34], null, v5, s5, v[1:2]
	s_waitcnt vmcnt(0)
	v_mad_i64_i32 v[35:36], null, v3, s5, v[1:2]
	s_clause 0xf
	global_load_b128 v[1:4], v[33:34], off
	global_load_b128 v[5:8], v[33:34], off offset:256
	global_load_b128 v[9:12], v[35:36], off
	global_load_b128 v[13:16], v[35:36], off offset:256
	global_load_b128 v[17:20], v[33:34], off offset:512
	;; [unrolled: 1-line block ×13, first 2 shown]
	v_add_nc_u32_e32 v33, -11, v65
	v_lshlrev_b32_e32 v34, 4, v65
	s_delay_alu instid0(VALU_DEP_2) | instskip(SKIP_1) | instid1(VALU_DEP_3)
	v_cndmask_b32_e32 v33, v33, v65, vcc_lo
	v_mov_b32_e32 v105, s25
	v_lshl_or_b32 v41, v66, 8, v34
	s_delay_alu instid0(VALU_DEP_3)
	v_lshlrev_b32_e32 v72, 6, v33
	ds_load_b128 v[33:36], v72
	ds_load_b128 v[37:40], v72 offset:1024
	ds_load_b128 v[108:111], v72 offset:2048
	;; [unrolled: 1-line block ×3, first 2 shown]
	s_load_b32 s4, s[2:3], 0x0
	s_add_u32 s2, s13, s6
	s_addc_u32 s3, s16, s7
	ds_load_b128 v[116:119], v72 offset:4096
	ds_load_b128 v[120:123], v72 offset:5120
	s_load_b32 s2, s[2:3], 0x0
	s_add_u32 s6, s10, s15
	s_addc_u32 s7, s11, s19
	v_add_co_u32 v68, s6, s6, v41
	s_delay_alu instid0(VALU_DEP_1) | instskip(SKIP_1) | instid1(VALU_DEP_1)
	v_add_co_ci_u32_e64 v69, null, s7, 0, s6
	s_waitcnt lgkmcnt(0)
	v_mad_i64_i32 v[41:42], null, s28, s5, v[68:69]
	v_mad_i64_i32 v[70:71], null, s8, s5, v[68:69]
	;; [unrolled: 1-line block ×7, first 2 shown]
	s_clause 0x3
	global_load_b128 v[49:52], v[41:42], off
	global_load_b128 v[53:56], v[41:42], off offset:16
	global_load_b128 v[41:44], v[45:46], off
	global_load_b128 v[45:48], v[45:46], off offset:16
	s_waitcnt vmcnt(18)
	v_wmma_f32_16x16x16_bf16 v[124:131], v[1:8], v[33:40], v[100:107]
	s_waitcnt vmcnt(16)
	v_wmma_f32_16x16x16_bf16 v[100:107], v[9:16], v[33:40], v[100:107]
	s_clause 0x1
	global_load_b128 v[33:36], v[70:71], off
	global_load_b128 v[37:40], v[70:71], off offset:16
	v_mad_i64_i32 v[70:71], null, s2, s5, v[68:69]
	s_waitcnt vmcnt(16)
	v_wmma_f32_16x16x16_bf16 v[124:131], v[17:24], v[108:115], v[124:131]
	s_waitcnt vmcnt(14)
	v_wmma_f32_16x16x16_bf16 v[100:107], v[25:32], v[108:115], v[100:107]
	s_clause 0x7
	global_load_b128 v[25:28], v[132:133], off
	global_load_b128 v[29:32], v[132:133], off offset:16
	global_load_b128 v[1:4], v[134:135], off
	global_load_b128 v[5:8], v[134:135], off offset:16
	;; [unrolled: 2-line block ×4, first 2 shown]
	s_waitcnt vmcnt(20)
	v_wmma_f32_16x16x16_bf16 v[124:131], v[57:64], v[116:123], v[124:131]
	s_clause 0x1
	global_load_b128 v[57:60], v[70:71], off
	global_load_b128 v[61:64], v[70:71], off offset:16
	s_waitcnt vmcnt(20)
	v_wmma_f32_16x16x16_bf16 v[100:107], v[76:83], v[116:123], v[100:107]
	ds_load_b128 v[76:79], v72 offset:6144
	ds_load_b128 v[80:83], v72 offset:7168
	v_and_b32_e32 v68, 0xe0, v0
	v_mbcnt_lo_u32_b32 v69, -1, 0
	s_waitcnt vmcnt(0) lgkmcnt(0)
	s_barrier
	buffer_gl0_inv
	v_add_nc_u32_e32 v68, s12, v68
	v_xor_b32_e32 v70, 16, v69
	s_delay_alu instid0(VALU_DEP_2) | instskip(NEXT) | instid1(VALU_DEP_2)
	v_or_b32_e32 v68, v68, v74
	v_cmp_gt_i32_e32 vcc_lo, 32, v70
	s_delay_alu instid0(VALU_DEP_2)
	v_or_b32_e32 v71, 4, v68
	v_or_b32_e32 v72, 6, v68
	v_cmp_gt_i32_e64 s2, s17, v68
	v_or_b32_e32 v108, 8, v68
	v_wmma_f32_16x16x16_bf16 v[124:131], v[84:91], v[76:83], v[124:131]
	v_cndmask_b32_e32 v69, v69, v70, vcc_lo
	v_or_b32_e32 v70, 2, v68
	v_wmma_f32_16x16x16_bf16 v[100:107], v[92:99], v[76:83], v[100:107]
	v_or_b32_e32 v109, 10, v68
	v_dual_mul_f32 v82, s18, v127 :: v_dual_mul_f32 v79, s18, v130
	v_dual_mul_f32 v92, s18, v125 :: v_dual_mul_f32 v93, s18, v124
	s_delay_alu instid0(VALU_DEP_4)
	v_mul_f32_e32 v98, s18, v103
	v_cmp_gt_i32_e32 vcc_lo, s17, v70
	v_or_b32_e32 v89, 22, v68
	v_dual_mul_f32 v83, s18, v126 :: v_dual_mul_f32 v96, s18, v105
	v_cndmask_b32_e64 v93, 0xff7fffff, v93, s2
	v_cndmask_b32_e32 v92, 0xff7fffff, v92, vcc_lo
	v_cmp_gt_i32_e64 s3, s17, v71
	v_cmp_gt_i32_e64 s4, s17, v72
	v_or_b32_e32 v84, 12, v68
	v_or_b32_e32 v85, 14, v68
	v_dual_mul_f32 v80, s18, v129 :: v_dual_mul_f32 v81, s18, v128
	v_mul_f32_e32 v94, s18, v107
	v_cndmask_b32_e64 v71, 0xff7fffff, v83, s3
	v_cndmask_b32_e64 v72, 0xff7fffff, v82, s4
	v_cmp_gt_i32_e64 s5, s17, v108
	v_cmp_gt_i32_e64 s6, s17, v109
	;; [unrolled: 1-line block ×3, first 2 shown]
	v_lshlrev_b32_e32 v89, 2, v69
	v_max3_f32 v82, v93, 0xff7fffff, v92
	v_or_b32_e32 v86, 16, v68
	v_or_b32_e32 v87, 18, v68
	v_mul_f32_e32 v78, s18, v131
	v_cndmask_b32_e64 v81, 0xff7fffff, v81, s5
	v_cndmask_b32_e64 v80, 0xff7fffff, v80, s6
	v_max3_f32 v71, v82, v71, v72
	v_cmp_gt_i32_e64 s7, s17, v84
	v_cmp_gt_i32_e64 s8, s17, v85
	v_or_b32_e32 v88, 20, v68
	v_or_b32_e32 v90, 24, v68
	;; [unrolled: 1-line block ×5, first 2 shown]
	v_dual_mul_f32 v95, s18, v106 :: v_dual_mul_f32 v70, s18, v101
	v_dual_mul_f32 v99, s18, v102 :: v_dual_mul_f32 v68, s18, v100
	v_cndmask_b32_e64 v72, 0xff7fffff, v79, s7
	v_cndmask_b32_e64 v78, 0xff7fffff, v78, s8
	v_max3_f32 v71, v71, v81, v80
	v_cmp_gt_i32_e64 s9, s17, v86
	v_cmp_gt_i32_e64 s10, s17, v87
	;; [unrolled: 1-line block ×3, first 2 shown]
	v_mul_f32_e32 v97, s18, v104
	v_max3_f32 v71, v71, v72, v78
	v_cndmask_b32_e64 v68, 0xff7fffff, v68, s9
	v_cndmask_b32_e64 v70, 0xff7fffff, v70, s10
	v_cndmask_b32_e64 v72, 0xff7fffff, v99, s11
	v_cndmask_b32_e64 v78, 0xff7fffff, v98, s12
	v_cmp_gt_i32_e64 s13, s17, v90
	v_cmp_gt_i32_e64 s15, s17, v91
	v_max3_f32 v68, v71, v68, v70
	v_cmp_gt_i32_e64 s16, s17, v76
	v_cmp_gt_i32_e64 s17, s17, v77
	v_cndmask_b32_e64 v70, 0xff7fffff, v97, s13
	v_cndmask_b32_e64 v71, 0xff7fffff, v96, s15
	v_max3_f32 v68, v68, v72, v78
	v_cndmask_b32_e64 v72, 0xff7fffff, v95, s16
	v_cndmask_b32_e64 v76, 0xff7fffff, v94, s17
	s_delay_alu instid0(VALU_DEP_3) | instskip(NEXT) | instid1(VALU_DEP_1)
	v_max3_f32 v68, v68, v70, v71
	v_max3_f32 v68, v68, v72, v76
	ds_bpermute_b32 v69, v89, v68
	s_waitcnt lgkmcnt(0)
	v_max_f32_e32 v69, v69, v69
	s_delay_alu instid0(VALU_DEP_1) | instskip(NEXT) | instid1(VALU_DEP_1)
	v_max_f32_e32 v68, v68, v69
	v_fma_f32 v69, s18, v124, -v68
	v_fma_f32 v70, s18, v125, -v68
	;; [unrolled: 1-line block ×5, first 2 shown]
	s_delay_alu instid0(VALU_DEP_4) | instskip(NEXT) | instid1(VALU_DEP_4)
	v_dual_mul_f32 v69, 0x3fb8aa3b, v69 :: v_dual_mul_f32 v70, 0x3fb8aa3b, v70
	v_mul_f32_e32 v72, 0x3fb8aa3b, v72
	v_fma_f32 v78, s18, v130, -v68
	s_delay_alu instid0(VALU_DEP_4) | instskip(NEXT) | instid1(VALU_DEP_4)
	v_mul_f32_e32 v77, 0x3fb8aa3b, v76
	v_exp_f32_e32 v69, v69
	v_exp_f32_e32 v70, v70
	v_mul_f32_e32 v71, 0x3fb8aa3b, v71
	v_exp_f32_e32 v72, v72
	v_mul_f32_e32 v78, 0x3fb8aa3b, v78
	v_exp_f32_e32 v77, v77
	v_fma_f32 v81, s18, v105, -v68
	s_delay_alu instid0(VALU_DEP_2)
	v_exp_f32_e32 v78, v78
	v_cndmask_b32_e64 v80, 0, v69, s2
	v_cndmask_b32_e32 v76, 0, v70, vcc_lo
	v_exp_f32_e32 v71, v71
	v_fma_f32 v69, s18, v129, -v68
	v_cndmask_b32_e64 v85, 0, v72, s4
	v_add_f32_e32 v70, 0, v80
	s_delay_alu instid0(TRANS32_DEP_3)
	v_cndmask_b32_e64 v86, 0, v77, s5
	v_fma_f32 v77, s18, v101, -v68
	v_mul_f32_e32 v69, 0x3fb8aa3b, v69
	v_fma_f32 v72, s18, v100, -v68
	v_cndmask_b32_e64 v84, 0, v78, s7
	v_fma_f32 v78, s18, v103, -v68
	v_cndmask_b32_e64 v83, 0, v71, s3
	v_fma_f32 v71, s18, v131, -v68
	v_add_f32_e32 v70, v70, v76
	v_exp_f32_e32 v69, v69
	v_mul_f32_e32 v77, 0x3fb8aa3b, v77
	v_mul_f32_e32 v81, 0x3fb8aa3b, v81
	;; [unrolled: 1-line block ×3, first 2 shown]
	v_add_f32_e32 v70, v70, v83
	v_cmp_gt_u32_e64 s2, 16, v67
	v_exp_f32_e32 v77, v77
	v_exp_f32_e32 v81, v81
	;; [unrolled: 1-line block ×3, first 2 shown]
	v_cndmask_b32_e64 v87, 0, v69, s6
	v_add_f32_e32 v70, v70, v85
	s_delay_alu instid0(VALU_DEP_1) | instskip(SKIP_1) | instid1(VALU_DEP_2)
	v_dual_mul_f32 v72, 0x3fb8aa3b, v72 :: v_dual_add_f32 v69, v70, v86
	v_fma_f32 v70, s18, v102, -v68
	v_exp_f32_e32 v72, v72
	s_waitcnt_depctr 0xfff
	v_cndmask_b32_e64 v88, 0, v71, s8
	v_fma_f32 v71, s18, v104, -v68
	v_dual_add_f32 v69, v69, v87 :: v_dual_mul_f32 v70, 0x3fb8aa3b, v70
	s_delay_alu instid0(VALU_DEP_2) | instskip(NEXT) | instid1(VALU_DEP_2)
	v_dual_mul_f32 v78, 0x3fb8aa3b, v78 :: v_dual_mul_f32 v71, 0x3fb8aa3b, v71
	v_add_f32_e32 v69, v69, v84
	s_delay_alu instid0(VALU_DEP_3) | instskip(SKIP_1) | instid1(VALU_DEP_3)
	v_exp_f32_e32 v79, v70
	v_cndmask_b32_e64 v70, 0, v72, s9
	v_exp_f32_e32 v78, v78
	v_exp_f32_e32 v82, v71
	v_add_f32_e32 v72, v69, v88
	v_cndmask_b32_e64 v69, 0, v77, s10
	v_fma_f32 v77, s18, v106, -v68
	s_delay_alu instid0(VALU_DEP_3) | instskip(NEXT) | instid1(TRANS32_DEP_3)
	v_add_f32_e32 v72, v72, v70
	v_cndmask_b32_e64 v71, 0, v79, s11
	s_delay_alu instid0(VALU_DEP_3) | instskip(NEXT) | instid1(VALU_DEP_3)
	v_mul_f32_e32 v77, 0x3fb8aa3b, v77
	v_add_f32_e32 v79, v72, v69
	s_delay_alu instid0(TRANS32_DEP_2) | instskip(NEXT) | instid1(VALU_DEP_3)
	v_cndmask_b32_e64 v72, 0, v78, s12
	v_exp_f32_e32 v90, v77
	v_cndmask_b32_e64 v77, 0, v82, s13
	s_delay_alu instid0(VALU_DEP_3) | instskip(SKIP_1) | instid1(VALU_DEP_1)
	v_add_f32_e32 v78, v79, v71
	v_fma_f32 v79, s18, v107, -v68
	v_dual_add_f32 v82, v78, v72 :: v_dual_mul_f32 v79, 0x3fb8aa3b, v79
	v_cndmask_b32_e64 v78, 0, v81, s15
	s_delay_alu instid0(VALU_DEP_2) | instskip(NEXT) | instid1(VALU_DEP_3)
	v_add_f32_e32 v81, v82, v77
	v_exp_f32_e32 v82, v79
	s_delay_alu instid0(TRANS32_DEP_2) | instskip(NEXT) | instid1(VALU_DEP_2)
	v_cndmask_b32_e64 v79, 0, v90, s16
	v_add_f32_e32 v81, v81, v78
	s_delay_alu instid0(VALU_DEP_1) | instskip(SKIP_2) | instid1(VALU_DEP_1)
	v_add_f32_e32 v90, v81, v79
	s_waitcnt_depctr 0xfff
	v_cndmask_b32_e64 v81, 0, v82, s17
	v_add_f32_e32 v82, v90, v81
	ds_bpermute_b32 v89, v89, v82
	s_and_saveexec_b32 s3, s2
	s_cbranch_execz .LBB1516_12
; %bb.11:
	v_mul_u32_u24_e32 v67, 0x44, v66
	s_delay_alu instid0(VALU_DEP_1) | instskip(SKIP_1) | instid1(VALU_DEP_1)
	v_lshl_add_u32 v67, v65, 2, v67
	s_waitcnt lgkmcnt(0)
	v_dual_add_f32 v82, v82, v89 :: v_dual_add_nc_u32 v67, 0x4000, v67
	ds_store_2addr_b32 v67, v68, v82 offset1:136
.LBB1516_12:
	s_or_b32 exec_lo, exec_lo, s3
	v_lshlrev_b32_e32 v67, 2, v65
	s_waitcnt lgkmcnt(0)
	s_barrier
	buffer_gl0_inv
	v_cmp_eq_u32_e32 vcc_lo, 1, v66
	v_add_nc_u32_e32 v82, 0x4000, v67
	v_cmp_eq_u32_e64 s3, 2, v66
	v_cmp_eq_u32_e64 s5, 7, v66
	ds_load_2addr_b32 v[89:90], v82 offset1:17
	ds_load_2addr_b32 v[91:92], v82 offset0:34 offset1:51
	ds_load_2addr_b32 v[93:94], v82 offset0:68 offset1:85
	;; [unrolled: 1-line block ×4, first 2 shown]
	s_waitcnt lgkmcnt(4)
	v_max3_f32 v67, v89, 0xff7fffff, v90
	s_waitcnt lgkmcnt(3)
	s_delay_alu instid0(VALU_DEP_1) | instskip(SKIP_1) | instid1(VALU_DEP_1)
	v_max3_f32 v67, v67, v91, v92
	s_waitcnt lgkmcnt(2)
	v_max3_f32 v67, v67, v93, v94
	s_waitcnt lgkmcnt(1)
	s_delay_alu instid0(VALU_DEP_1) | instskip(NEXT) | instid1(VALU_DEP_1)
	v_max3_f32 v67, v67, v95, v96
	v_sub_f32_e32 v93, v93, v67
	s_delay_alu instid0(VALU_DEP_1) | instskip(NEXT) | instid1(VALU_DEP_1)
	v_dual_sub_f32 v68, v89, v67 :: v_dual_mul_f32 v103, 0x3fb8aa3b, v93
	v_mul_f32_e32 v68, 0x3fb8aa3b, v68
	s_delay_alu instid0(VALU_DEP_1)
	v_exp_f32_e32 v100, v68
	v_sub_f32_e32 v68, v92, v67
	v_sub_f32_e32 v99, v90, v67
	ds_load_2addr_b32 v[89:90], v82 offset0:170 offset1:187
	v_dual_mul_f32 v102, 0x3fb8aa3b, v68 :: v_dual_mul_f32 v99, 0x3fb8aa3b, v99
	s_waitcnt lgkmcnt(1)
	v_fma_f32 v68, v100, v97, 0
	s_delay_alu instid0(VALU_DEP_2) | instskip(NEXT) | instid1(VALU_DEP_2)
	v_exp_f32_e32 v102, v102
	v_exp_f32_e32 v99, v99
	s_waitcnt_depctr 0xfff
	v_fmac_f32_e32 v68, v99, v98
	v_sub_f32_e32 v91, v91, v67
	s_delay_alu instid0(VALU_DEP_1)
	v_mul_f32_e32 v101, 0x3fb8aa3b, v91
	ds_load_2addr_b32 v[91:92], v82 offset0:204 offset1:221
	v_sub_f32_e32 v97, v94, v67
	ds_load_2addr_b32 v[93:94], v82 offset0:238 offset1:255
	s_waitcnt lgkmcnt(0)
	v_exp_f32_e32 v101, v101
	s_barrier
	buffer_gl0_inv
	v_dual_fmac_f32 v68, v101, v89 :: v_dual_sub_f32 v89, v96, v67
	v_dual_sub_f32 v82, v95, v67 :: v_dual_mul_f32 v95, 0x3fb8aa3b, v97
	v_exp_f32_e32 v97, v103
	s_delay_alu instid0(VALU_DEP_2) | instskip(NEXT) | instid1(VALU_DEP_2)
	v_dual_fmac_f32 v68, v102, v90 :: v_dual_mul_f32 v89, 0x3fb8aa3b, v89
	v_mul_f32_e32 v82, 0x3fb8aa3b, v82
	s_delay_alu instid0(VALU_DEP_3) | instskip(NEXT) | instid1(VALU_DEP_2)
	v_exp_f32_e32 v95, v95
	v_exp_f32_e32 v89, v89
	s_delay_alu instid0(VALU_DEP_1)
	v_exp_f32_e32 v82, v82
	v_fmac_f32_e32 v68, v97, v91
	s_delay_alu instid0(TRANS32_DEP_3) | instid1(VALU_DEP_1)
	v_fmac_f32_e32 v68, v95, v92
	s_waitcnt_depctr 0xfff
	v_fmac_f32_e32 v68, v82, v93
	s_delay_alu instid0(VALU_DEP_1) | instskip(NEXT) | instid1(VALU_DEP_1)
	v_fmac_f32_e32 v68, v89, v94
	v_add_f32_e32 v90, 0x358637bd, v68
	s_delay_alu instid0(VALU_DEP_1) | instskip(NEXT) | instid1(VALU_DEP_1)
	v_div_scale_f32 v91, null, v90, v90, 1.0
	v_rcp_f32_e32 v92, v91
	s_waitcnt_depctr 0xfff
	v_fma_f32 v93, -v91, v92, 1.0
	s_delay_alu instid0(VALU_DEP_1) | instskip(SKIP_1) | instid1(VALU_DEP_2)
	v_dual_fmac_f32 v92, v93, v92 :: v_dual_cndmask_b32 v93, v100, v99
	v_cmp_eq_u32_e32 vcc_lo, 3, v66
	v_cndmask_b32_e64 v93, v93, v101, s3
	v_cmp_eq_u32_e64 s3, 4, v66
	s_delay_alu instid0(VALU_DEP_2) | instskip(SKIP_1) | instid1(VALU_DEP_2)
	v_cndmask_b32_e32 v93, v93, v102, vcc_lo
	v_cmp_eq_u32_e32 vcc_lo, 5, v66
	v_cndmask_b32_e64 v93, v93, v97, s3
	v_cmp_eq_u32_e64 s3, 6, v66
	s_delay_alu instid0(VALU_DEP_2) | instskip(SKIP_1) | instid1(VALU_DEP_1)
	v_cndmask_b32_e32 v93, v93, v95, vcc_lo
	v_div_scale_f32 v94, s4, 1.0, v90, 1.0
	s_mov_b32 vcc_lo, s4
	s_delay_alu instid0(VALU_DEP_2) | instskip(NEXT) | instid1(VALU_DEP_2)
	v_cndmask_b32_e64 v82, v93, v82, s3
	v_mul_f32_e32 v96, v94, v92
	s_mov_b32 s3, exec_lo
	s_delay_alu instid0(VALU_DEP_2) | instskip(NEXT) | instid1(VALU_DEP_2)
	v_cndmask_b32_e64 v82, v82, v89, s5
	v_fma_f32 v98, -v91, v96, v94
	s_delay_alu instid0(VALU_DEP_1) | instskip(NEXT) | instid1(VALU_DEP_1)
	v_fmac_f32_e32 v96, v98, v92
	v_fma_f32 v91, -v91, v96, v94
	s_delay_alu instid0(VALU_DEP_1) | instskip(NEXT) | instid1(VALU_DEP_1)
	v_div_fmas_f32 v91, v91, v92, v96
	v_div_fixup_f32 v90, v91, v90, 1.0
	s_delay_alu instid0(VALU_DEP_1) | instskip(NEXT) | instid1(VALU_DEP_1)
	v_mul_f32_e32 v82, v82, v90
	v_mul_f32_e32 v87, v82, v87
	;; [unrolled: 1-line block ×7, first 2 shown]
	v_dual_mul_f32 v86, v82, v83 :: v_dual_and_b32 v91, 0x7f800000, v90
	v_mul_f32_e32 v85, v82, v76
                                        ; implicit-def: $vgpr76
	s_delay_alu instid0(VALU_DEP_2)
	v_cmpx_ne_u32_e32 0x7f800000, v91
	s_xor_b32 s3, exec_lo, s3
; %bb.13:
	v_bfe_u32 v76, v90, 16, 1
	s_delay_alu instid0(VALU_DEP_1)
	v_add3_u32 v76, v90, v76, 0x7fff
                                        ; implicit-def: $vgpr90
; %bb.14:
	s_and_not1_saveexec_b32 s3, s3
; %bb.15:
	v_and_b32_e32 v76, 0xffff, v90
	v_or_b32_e32 v83, 0x10000, v90
	s_delay_alu instid0(VALU_DEP_2) | instskip(NEXT) | instid1(VALU_DEP_2)
	v_cmp_eq_u32_e32 vcc_lo, 0, v76
	v_cndmask_b32_e32 v76, v83, v90, vcc_lo
; %bb.16:
	s_or_b32 exec_lo, exec_lo, s3
	v_and_b32_e32 v83, 0x7f800000, v85
	s_delay_alu instid0(VALU_DEP_1) | instskip(SKIP_1) | instid1(SALU_CYCLE_1)
	v_cmp_ne_u32_e32 vcc_lo, 0x7f800000, v83
                                        ; implicit-def: $vgpr83
	s_and_saveexec_b32 s3, vcc_lo
	s_xor_b32 s3, exec_lo, s3
; %bb.17:
	v_bfe_u32 v83, v85, 16, 1
	s_delay_alu instid0(VALU_DEP_1)
	v_add3_u32 v83, v85, v83, 0x7fff
                                        ; implicit-def: $vgpr85
; %bb.18:
	s_and_not1_saveexec_b32 s3, s3
; %bb.19:
	v_and_b32_e32 v83, 0xffff, v85
	v_or_b32_e32 v90, 0x10000, v85
	s_delay_alu instid0(VALU_DEP_2) | instskip(NEXT) | instid1(VALU_DEP_2)
	v_cmp_eq_u32_e32 vcc_lo, 0, v83
	v_cndmask_b32_e32 v83, v90, v85, vcc_lo
; %bb.20:
	s_or_b32 exec_lo, exec_lo, s3
	v_and_b32_e32 v85, 0x7f800000, v86
	s_delay_alu instid0(VALU_DEP_1) | instskip(SKIP_1) | instid1(SALU_CYCLE_1)
	v_cmp_ne_u32_e32 vcc_lo, 0x7f800000, v85
                                        ; implicit-def: $vgpr85
	s_and_saveexec_b32 s3, vcc_lo
	s_xor_b32 s3, exec_lo, s3
; %bb.21:
	v_bfe_u32 v85, v86, 16, 1
	s_delay_alu instid0(VALU_DEP_1)
	v_add3_u32 v85, v86, v85, 0x7fff
                                        ; implicit-def: $vgpr86
; %bb.22:
	s_and_not1_saveexec_b32 s3, s3
; %bb.23:
	v_and_b32_e32 v85, 0xffff, v86
	v_or_b32_e32 v90, 0x10000, v86
	s_delay_alu instid0(VALU_DEP_2) | instskip(NEXT) | instid1(VALU_DEP_2)
	v_cmp_eq_u32_e32 vcc_lo, 0, v85
	v_cndmask_b32_e32 v85, v90, v86, vcc_lo
; %bb.24:
	s_or_b32 exec_lo, exec_lo, s3
	v_and_b32_e32 v86, 0x7f800000, v89
	s_delay_alu instid0(VALU_DEP_1) | instskip(SKIP_1) | instid1(SALU_CYCLE_1)
	v_cmp_ne_u32_e32 vcc_lo, 0x7f800000, v86
                                        ; implicit-def: $vgpr86
	s_and_saveexec_b32 s3, vcc_lo
	s_xor_b32 s3, exec_lo, s3
; %bb.25:
	v_bfe_u32 v86, v89, 16, 1
	s_delay_alu instid0(VALU_DEP_1)
	v_add3_u32 v86, v89, v86, 0x7fff
                                        ; implicit-def: $vgpr89
; %bb.26:
	s_and_not1_saveexec_b32 s3, s3
; %bb.27:
	v_and_b32_e32 v86, 0xffff, v89
	v_or_b32_e32 v90, 0x10000, v89
	s_delay_alu instid0(VALU_DEP_2) | instskip(NEXT) | instid1(VALU_DEP_2)
	v_cmp_eq_u32_e32 vcc_lo, 0, v86
	v_cndmask_b32_e32 v86, v90, v89, vcc_lo
; %bb.28:
	s_or_b32 exec_lo, exec_lo, s3
	v_and_b32_e32 v89, 0x7f800000, v88
	s_delay_alu instid0(VALU_DEP_1) | instskip(SKIP_1) | instid1(SALU_CYCLE_1)
	v_cmp_ne_u32_e32 vcc_lo, 0x7f800000, v89
                                        ; implicit-def: $vgpr89
	s_and_saveexec_b32 s3, vcc_lo
	s_xor_b32 s3, exec_lo, s3
; %bb.29:
	v_bfe_u32 v89, v88, 16, 1
	s_delay_alu instid0(VALU_DEP_1)
	v_add3_u32 v89, v88, v89, 0x7fff
                                        ; implicit-def: $vgpr88
; %bb.30:
	s_and_not1_saveexec_b32 s3, s3
; %bb.31:
	v_and_b32_e32 v89, 0xffff, v88
	v_or_b32_e32 v90, 0x10000, v88
	s_delay_alu instid0(VALU_DEP_2) | instskip(NEXT) | instid1(VALU_DEP_2)
	v_cmp_eq_u32_e32 vcc_lo, 0, v89
	v_cndmask_b32_e32 v89, v90, v88, vcc_lo
; %bb.32:
	s_or_b32 exec_lo, exec_lo, s3
	v_and_b32_e32 v88, 0x7f800000, v87
	s_delay_alu instid0(VALU_DEP_1) | instskip(SKIP_1) | instid1(SALU_CYCLE_1)
	v_cmp_ne_u32_e32 vcc_lo, 0x7f800000, v88
                                        ; implicit-def: $vgpr88
	s_and_saveexec_b32 s3, vcc_lo
	s_xor_b32 s3, exec_lo, s3
; %bb.33:
	v_bfe_u32 v88, v87, 16, 1
	s_delay_alu instid0(VALU_DEP_1)
	v_add3_u32 v88, v87, v88, 0x7fff
                                        ; implicit-def: $vgpr87
; %bb.34:
	s_and_not1_saveexec_b32 s3, s3
; %bb.35:
	v_and_b32_e32 v88, 0xffff, v87
	v_or_b32_e32 v90, 0x10000, v87
	s_delay_alu instid0(VALU_DEP_2) | instskip(NEXT) | instid1(VALU_DEP_2)
	v_cmp_eq_u32_e32 vcc_lo, 0, v88
	v_cndmask_b32_e32 v88, v90, v87, vcc_lo
; %bb.36:
	s_or_b32 exec_lo, exec_lo, s3
	v_and_b32_e32 v87, 0x7f800000, v84
	s_delay_alu instid0(VALU_DEP_1) | instskip(SKIP_1) | instid1(SALU_CYCLE_1)
	v_cmp_ne_u32_e32 vcc_lo, 0x7f800000, v87
                                        ; implicit-def: $vgpr87
	s_and_saveexec_b32 s3, vcc_lo
	s_xor_b32 s3, exec_lo, s3
; %bb.37:
	v_bfe_u32 v87, v84, 16, 1
	s_delay_alu instid0(VALU_DEP_1)
	v_add3_u32 v87, v84, v87, 0x7fff
                                        ; implicit-def: $vgpr84
; %bb.38:
	s_and_not1_saveexec_b32 s3, s3
; %bb.39:
	v_and_b32_e32 v87, 0xffff, v84
	v_or_b32_e32 v90, 0x10000, v84
	s_delay_alu instid0(VALU_DEP_2) | instskip(NEXT) | instid1(VALU_DEP_2)
	v_cmp_eq_u32_e32 vcc_lo, 0, v87
	v_cndmask_b32_e32 v87, v90, v84, vcc_lo
; %bb.40:
	s_or_b32 exec_lo, exec_lo, s3
	v_and_b32_e32 v84, 0x7f800000, v80
	s_delay_alu instid0(VALU_DEP_1) | instskip(SKIP_1) | instid1(SALU_CYCLE_1)
	v_cmp_ne_u32_e32 vcc_lo, 0x7f800000, v84
                                        ; implicit-def: $vgpr84
	s_and_saveexec_b32 s3, vcc_lo
	s_xor_b32 s3, exec_lo, s3
; %bb.41:
	v_bfe_u32 v84, v80, 16, 1
	s_delay_alu instid0(VALU_DEP_1)
	v_add3_u32 v84, v80, v84, 0x7fff
                                        ; implicit-def: $vgpr80
; %bb.42:
	s_and_not1_saveexec_b32 s3, s3
; %bb.43:
	v_and_b32_e32 v84, 0xffff, v80
	v_or_b32_e32 v90, 0x10000, v80
	s_delay_alu instid0(VALU_DEP_2) | instskip(NEXT) | instid1(VALU_DEP_2)
	v_cmp_eq_u32_e32 vcc_lo, 0, v84
	v_cndmask_b32_e32 v84, v90, v80, vcc_lo
; %bb.44:
	s_or_b32 exec_lo, exec_lo, s3
	s_load_b64 s[34:35], s[0:1], 0x94
	v_lshlrev_b32_e32 v91, 4, v74
	s_delay_alu instid0(VALU_DEP_2)
	v_perm_b32 v90, v84, v87, 0x7060302
	v_dual_mul_f32 v79, v82, v79 :: v_dual_lshlrev_b32 v80, 6, v65
	v_dual_mul_f32 v77, v82, v77 :: v_dual_lshlrev_b32 v92, 11, v66
	v_mul_f32_e32 v84, v82, v70
	v_perm_b32 v89, v88, v89, 0x7060302
	v_perm_b32 v88, v86, v85, 0x7060302
	;; [unrolled: 1-line block ×3, first 2 shown]
	v_mul_f32_e32 v70, v82, v81
	v_or3_b32 v76, v91, v92, v80
	v_dual_mul_f32 v78, v82, v78 :: v_dual_and_b32 v85, 0x7f800000, v84
	v_mul_f32_e32 v83, v82, v72
	v_mul_f32_e32 v81, v82, v71
	v_mul_f32_e32 v72, v82, v69
	s_mov_b32 s3, exec_lo
	ds_store_b128 v76, v[87:90]
                                        ; implicit-def: $vgpr69
	v_cmpx_ne_u32_e32 0x7f800000, v85
	s_xor_b32 s3, exec_lo, s3
; %bb.45:
	v_bfe_u32 v69, v84, 16, 1
	s_delay_alu instid0(VALU_DEP_1)
	v_add3_u32 v69, v84, v69, 0x7fff
                                        ; implicit-def: $vgpr84
; %bb.46:
	s_and_not1_saveexec_b32 s3, s3
; %bb.47:
	v_and_b32_e32 v69, 0xffff, v84
	v_or_b32_e32 v71, 0x10000, v84
	s_delay_alu instid0(VALU_DEP_2) | instskip(NEXT) | instid1(VALU_DEP_2)
	v_cmp_eq_u32_e32 vcc_lo, 0, v69
	v_cndmask_b32_e32 v69, v71, v84, vcc_lo
; %bb.48:
	s_or_b32 exec_lo, exec_lo, s3
	v_and_b32_e32 v71, 0x7f800000, v72
	s_delay_alu instid0(VALU_DEP_1) | instskip(SKIP_1) | instid1(SALU_CYCLE_1)
	v_cmp_ne_u32_e32 vcc_lo, 0x7f800000, v71
                                        ; implicit-def: $vgpr71
	s_and_saveexec_b32 s3, vcc_lo
	s_xor_b32 s3, exec_lo, s3
; %bb.49:
	v_bfe_u32 v71, v72, 16, 1
	s_delay_alu instid0(VALU_DEP_1)
	v_add3_u32 v71, v72, v71, 0x7fff
                                        ; implicit-def: $vgpr72
; %bb.50:
	s_and_not1_saveexec_b32 s3, s3
; %bb.51:
	v_and_b32_e32 v71, 0xffff, v72
	v_or_b32_e32 v82, 0x10000, v72
	s_delay_alu instid0(VALU_DEP_2) | instskip(NEXT) | instid1(VALU_DEP_2)
	v_cmp_eq_u32_e32 vcc_lo, 0, v71
	v_cndmask_b32_e32 v71, v82, v72, vcc_lo
; %bb.52:
	s_or_b32 exec_lo, exec_lo, s3
	v_and_b32_e32 v72, 0x7f800000, v81
	s_delay_alu instid0(VALU_DEP_1) | instskip(SKIP_1) | instid1(SALU_CYCLE_1)
	v_cmp_ne_u32_e32 vcc_lo, 0x7f800000, v72
                                        ; implicit-def: $vgpr72
	s_and_saveexec_b32 s3, vcc_lo
	s_xor_b32 s3, exec_lo, s3
; %bb.53:
	v_bfe_u32 v72, v81, 16, 1
	s_delay_alu instid0(VALU_DEP_1)
	v_add3_u32 v72, v81, v72, 0x7fff
                                        ; implicit-def: $vgpr81
; %bb.54:
	s_and_not1_saveexec_b32 s3, s3
; %bb.55:
	v_and_b32_e32 v72, 0xffff, v81
	v_or_b32_e32 v82, 0x10000, v81
	s_delay_alu instid0(VALU_DEP_2) | instskip(NEXT) | instid1(VALU_DEP_2)
	v_cmp_eq_u32_e32 vcc_lo, 0, v72
	v_cndmask_b32_e32 v72, v82, v81, vcc_lo
; %bb.56:
	s_or_b32 exec_lo, exec_lo, s3
	v_and_b32_e32 v81, 0x7f800000, v83
	s_delay_alu instid0(VALU_DEP_1) | instskip(SKIP_1) | instid1(SALU_CYCLE_1)
	v_cmp_ne_u32_e32 vcc_lo, 0x7f800000, v81
                                        ; implicit-def: $vgpr81
	s_and_saveexec_b32 s3, vcc_lo
	s_xor_b32 s3, exec_lo, s3
; %bb.57:
	v_bfe_u32 v81, v83, 16, 1
	s_delay_alu instid0(VALU_DEP_1)
	v_add3_u32 v81, v83, v81, 0x7fff
                                        ; implicit-def: $vgpr83
; %bb.58:
	s_and_not1_saveexec_b32 s3, s3
; %bb.59:
	v_and_b32_e32 v81, 0xffff, v83
	v_or_b32_e32 v82, 0x10000, v83
	s_delay_alu instid0(VALU_DEP_2) | instskip(NEXT) | instid1(VALU_DEP_2)
	v_cmp_eq_u32_e32 vcc_lo, 0, v81
	v_cndmask_b32_e32 v81, v82, v83, vcc_lo
; %bb.60:
	s_or_b32 exec_lo, exec_lo, s3
	v_and_b32_e32 v82, 0x7f800000, v77
	s_delay_alu instid0(VALU_DEP_1) | instskip(SKIP_1) | instid1(SALU_CYCLE_1)
	v_cmp_ne_u32_e32 vcc_lo, 0x7f800000, v82
                                        ; implicit-def: $vgpr82
	s_and_saveexec_b32 s3, vcc_lo
	s_xor_b32 s3, exec_lo, s3
; %bb.61:
	v_bfe_u32 v82, v77, 16, 1
	s_delay_alu instid0(VALU_DEP_1)
	v_add3_u32 v82, v77, v82, 0x7fff
                                        ; implicit-def: $vgpr77
; %bb.62:
	s_and_not1_saveexec_b32 s3, s3
; %bb.63:
	v_and_b32_e32 v82, 0xffff, v77
	v_or_b32_e32 v83, 0x10000, v77
	s_delay_alu instid0(VALU_DEP_2) | instskip(NEXT) | instid1(VALU_DEP_2)
	v_cmp_eq_u32_e32 vcc_lo, 0, v82
	v_cndmask_b32_e32 v82, v83, v77, vcc_lo
; %bb.64:
	s_or_b32 exec_lo, exec_lo, s3
	v_and_b32_e32 v77, 0x7f800000, v78
	s_delay_alu instid0(VALU_DEP_1) | instskip(SKIP_1) | instid1(SALU_CYCLE_1)
	v_cmp_ne_u32_e32 vcc_lo, 0x7f800000, v77
                                        ; implicit-def: $vgpr77
	s_and_saveexec_b32 s3, vcc_lo
	s_xor_b32 s3, exec_lo, s3
; %bb.65:
	v_bfe_u32 v77, v78, 16, 1
	s_delay_alu instid0(VALU_DEP_1)
	v_add3_u32 v77, v78, v77, 0x7fff
                                        ; implicit-def: $vgpr78
; %bb.66:
	s_and_not1_saveexec_b32 s3, s3
; %bb.67:
	v_and_b32_e32 v77, 0xffff, v78
	v_or_b32_e32 v83, 0x10000, v78
	s_delay_alu instid0(VALU_DEP_2) | instskip(NEXT) | instid1(VALU_DEP_2)
	v_cmp_eq_u32_e32 vcc_lo, 0, v77
	v_cndmask_b32_e32 v77, v83, v78, vcc_lo
; %bb.68:
	s_or_b32 exec_lo, exec_lo, s3
	v_and_b32_e32 v78, 0x7f800000, v79
	s_delay_alu instid0(VALU_DEP_1) | instskip(SKIP_1) | instid1(SALU_CYCLE_1)
	v_cmp_ne_u32_e32 vcc_lo, 0x7f800000, v78
                                        ; implicit-def: $vgpr78
	s_and_saveexec_b32 s3, vcc_lo
	s_xor_b32 s3, exec_lo, s3
; %bb.69:
	v_bfe_u32 v78, v79, 16, 1
	s_delay_alu instid0(VALU_DEP_1)
	v_add3_u32 v78, v79, v78, 0x7fff
                                        ; implicit-def: $vgpr79
; %bb.70:
	s_and_not1_saveexec_b32 s3, s3
; %bb.71:
	v_and_b32_e32 v78, 0xffff, v79
	v_or_b32_e32 v83, 0x10000, v79
	s_delay_alu instid0(VALU_DEP_2) | instskip(NEXT) | instid1(VALU_DEP_2)
	v_cmp_eq_u32_e32 vcc_lo, 0, v78
	v_cndmask_b32_e32 v78, v83, v79, vcc_lo
; %bb.72:
	s_or_b32 exec_lo, exec_lo, s3
	v_and_b32_e32 v79, 0x7f800000, v70
	s_delay_alu instid0(VALU_DEP_1) | instskip(SKIP_1) | instid1(SALU_CYCLE_1)
	v_cmp_ne_u32_e32 vcc_lo, 0x7f800000, v79
                                        ; implicit-def: $vgpr79
	s_and_saveexec_b32 s3, vcc_lo
	s_xor_b32 s3, exec_lo, s3
; %bb.73:
	v_bfe_u32 v79, v70, 16, 1
	s_delay_alu instid0(VALU_DEP_1)
	v_add3_u32 v79, v70, v79, 0x7fff
                                        ; implicit-def: $vgpr70
; %bb.74:
	s_and_not1_saveexec_b32 s3, s3
; %bb.75:
	v_and_b32_e32 v79, 0xffff, v70
	v_or_b32_e32 v83, 0x10000, v70
	s_delay_alu instid0(VALU_DEP_2) | instskip(NEXT) | instid1(VALU_DEP_2)
	v_cmp_eq_u32_e32 vcc_lo, 0, v79
	v_cndmask_b32_e32 v79, v83, v70, vcc_lo
; %bb.76:
	s_or_b32 exec_lo, exec_lo, s3
	s_delay_alu instid0(VALU_DEP_1)
	v_perm_b32 v86, v79, v78, 0x7060302
	v_perm_b32 v85, v77, v82, 0x7060302
	v_perm_b32 v84, v81, v72, 0x7060302
	v_perm_b32 v83, v71, v69, 0x7060302
	v_lshl_or_b32 v82, v66, 11, v80
	ds_store_b128 v76, v[83:86] offset:1024
	s_waitcnt lgkmcnt(0)
	s_barrier
	buffer_gl0_inv
	ds_load_b128 v[69:72], v82
	ds_load_b128 v[83:86], v82 offset:16
	s_waitcnt lgkmcnt(1)
	v_lshrrev_b32_e32 v66, 16, v69
	s_waitcnt lgkmcnt(0)
	v_lshrrev_b32_e32 v91, 16, v83
	v_lshlrev_b32_e32 v78, 2, v74
	v_lshrrev_b32_e32 v95, 16, v70
	v_lshrrev_b32_e32 v98, 16, v84
	;; [unrolled: 1-line block ×4, first 2 shown]
	v_cmp_eq_u32_e32 vcc_lo, 1, v78
	v_lshrrev_b32_e32 v97, 16, v72
	v_lshrrev_b32_e32 v100, 16, v86
	v_cndmask_b32_e32 v87, v83, v91, vcc_lo
	v_or_b32_e32 v79, 1, v78
	v_cndmask_b32_e32 v81, v69, v66, vcc_lo
	v_cmp_eq_u32_e64 s4, 2, v78
	v_cmp_eq_u32_e64 s7, 3, v78
	;; [unrolled: 1-line block ×5, first 2 shown]
	v_cndmask_b32_e64 v81, v81, v70, s4
	v_cndmask_b32_e64 v87, v87, v84, s4
	v_cmp_eq_u32_e64 s8, 3, v79
	v_cndmask_b32_e64 v88, v69, v66, s3
	v_or_b32_e32 v77, 2, v78
	v_cndmask_b32_e64 v81, v81, v95, s7
	v_cndmask_b32_e64 v87, v87, v98, s7
	;; [unrolled: 1-line block ×4, first 2 shown]
	v_cmp_eq_u32_e64 s10, 5, v78
	v_cndmask_b32_e64 v81, v81, v71, s9
	v_cndmask_b32_e64 v87, v87, v85, s9
	v_cmp_eq_u32_e64 s11, 4, v79
	v_cndmask_b32_e64 v88, v88, v95, s8
	v_cmp_eq_u32_e64 s5, 1, v77
	v_cndmask_b32_e64 v89, v89, v84, s6
	v_cndmask_b32_e64 v81, v81, v96, s10
	v_cmp_eq_u32_e64 s12, 6, v78
	v_cndmask_b32_e64 v88, v88, v71, s11
	;; [unrolled: 3-line block ×3, first 2 shown]
	v_cndmask_b32_e64 v89, v89, v98, s8
	v_cndmask_b32_e64 v81, v81, v72, s12
	v_cmp_eq_u32_e64 s15, 7, v78
	v_cndmask_b32_e64 v88, v88, v96, s13
	v_cndmask_b32_e64 v87, v87, v86, s12
	v_cmp_eq_u32_e64 s16, 6, v79
	v_cmp_eq_u32_e64 s17, 2, v77
	v_cndmask_b32_e64 v89, v89, v85, s11
	v_cndmask_b32_e64 v101, v81, v97, s15
	v_cndmask_b32_e64 v102, v87, v100, s15
	v_cndmask_b32_e64 v88, v88, v72, s16
	v_cndmask_b32_e64 v81, v90, v70, s17
	v_cndmask_b32_e64 v87, v83, v91, s5
	v_cmp_eq_u32_e64 s18, 7, v79
	v_cmp_eq_u32_e64 s19, 3, v77
	;; [unrolled: 1-line block ×4, first 2 shown]
	v_cndmask_b32_e64 v87, v87, v84, s17
	v_cndmask_b32_e64 v103, v88, v97, s18
	;; [unrolled: 1-line block ×4, first 2 shown]
	v_or_b32_e32 v81, 3, v78
	v_cndmask_b32_e64 v93, v87, v98, s19
	v_cmp_eq_u32_e64 s24, 6, v77
	v_cndmask_b32_e64 v104, v88, v86, s16
	v_cndmask_b32_e64 v92, v89, v71, s20
	v_cmp_eq_u32_e64 s21, 1, v81
	ds_load_b128 v[87:90], v82 offset:1024
	v_cmp_eq_u32_e64 s23, 2, v81
	v_cmp_eq_u32_e64 s25, 3, v81
	v_cndmask_b32_e64 v105, v92, v96, s22
	v_cndmask_b32_e64 v66, v69, v66, s21
	;; [unrolled: 1-line block ×4, first 2 shown]
	ds_load_b128 v[91:94], v82 offset:1040
	v_cmp_eq_u32_e64 s26, 4, v81
	v_cndmask_b32_e64 v66, v66, v70, s23
	v_cmp_eq_u32_e64 s27, 7, v77
	v_cndmask_b32_e64 v70, v83, v84, s23
	v_cndmask_b32_e64 v84, v105, v72, s24
	v_cmp_eq_u32_e64 s28, 5, v81
	v_cndmask_b32_e64 v66, v66, v95, s25
	v_cmp_eq_u32_e64 s29, 6, v81
	v_cndmask_b32_e64 v70, v70, v98, s25
	v_cndmask_b32_e64 v69, v69, v99, s22
	;; [unrolled: 1-line block ×4, first 2 shown]
	s_waitcnt lgkmcnt(1)
	v_lshrrev_b32_e32 v95, 16, v87
	v_cndmask_b32_e64 v70, v70, v85, s26
	v_cndmask_b32_e64 v71, v84, v97, s27
	;; [unrolled: 1-line block ×4, first 2 shown]
	v_cndmask_b32_e32 v84, v87, v95, vcc_lo
	v_cndmask_b32_e64 v70, v70, v99, s28
	s_waitcnt lgkmcnt(0)
	v_lshrrev_b32_e32 v85, 16, v91
	v_lshrrev_b32_e32 v96, 16, v88
	v_cndmask_b32_e64 v98, v87, v95, s3
	v_cndmask_b32_e64 v84, v84, v88, s4
	;; [unrolled: 1-line block ×3, first 2 shown]
	v_cndmask_b32_e32 v99, v91, v85, vcc_lo
	v_cmp_eq_u32_e32 vcc_lo, 7, v81
	v_cndmask_b32_e64 v66, v66, v72, s29
	v_cndmask_b32_e64 v72, v84, v96, s7
	;; [unrolled: 1-line block ×3, first 2 shown]
	v_lshrrev_b32_e32 v98, 16, v92
	v_cndmask_b32_e32 v70, v70, v100, vcc_lo
	v_cndmask_b32_e64 v86, v99, v92, s4
	v_cndmask_b32_e64 v69, v69, v100, s27
	v_lshrrev_b32_e32 v100, 16, v93
	v_cndmask_b32_e64 v72, v72, v89, s9
	v_lshrrev_b32_e32 v99, 16, v89
	v_cndmask_b32_e64 v86, v86, v98, s7
	v_perm_b32 v71, v69, v71, 0x5040100
	v_cndmask_b32_e64 v84, v84, v96, s8
	s_delay_alu instid0(VALU_DEP_3) | instskip(NEXT) | instid1(VALU_DEP_2)
	v_cndmask_b32_e64 v86, v86, v93, s9
	v_cndmask_b32_e64 v84, v84, v89, s11
	s_delay_alu instid0(VALU_DEP_2) | instskip(NEXT) | instid1(VALU_DEP_1)
	v_cndmask_b32_e64 v86, v86, v100, s10
	v_cndmask_b32_e64 v69, v86, v94, s12
	v_cndmask_b32_e64 v86, v87, v95, s5
	v_cndmask_b32_e64 v87, v87, v95, s21
	v_cndmask_b32_e64 v95, v91, v85, s21
	s_delay_alu instid0(VALU_DEP_3) | instskip(NEXT) | instid1(VALU_DEP_3)
	v_cndmask_b32_e64 v86, v86, v88, s17
	v_cndmask_b32_e64 v87, v87, v88, s23
	s_delay_alu instid0(VALU_DEP_3) | instskip(NEXT) | instid1(VALU_DEP_3)
	v_cndmask_b32_e64 v88, v95, v92, s23
	v_cndmask_b32_e64 v86, v86, v96, s19
	;; [unrolled: 3-line block ×7, first 2 shown]
	s_delay_alu instid0(VALU_DEP_3) | instskip(SKIP_2) | instid1(VALU_DEP_2)
	v_cndmask_b32_e64 v88, v88, v94, s29
	v_cndmask_b32_e32 v66, v66, v97, vcc_lo
	v_cndmask_b32_e64 v97, v72, v99, s10
	v_perm_b32 v72, v70, v66, 0x5040100
	v_perm_b32 v70, v83, v103, 0x5040100
	v_cndmask_b32_e64 v103, v91, v85, s5
	v_cndmask_b32_e64 v85, v91, v85, s3
	;; [unrolled: 1-line block ×4, first 2 shown]
	v_lshrrev_b32_e32 v97, 16, v90
	v_cndmask_b32_e64 v91, v103, v92, s17
	v_cndmask_b32_e64 v85, v85, v92, s6
	;; [unrolled: 1-line block ×3, first 2 shown]
	s_mov_b32 s3, exec_lo
	v_cndmask_b32_e64 v83, v84, v97, s15
	v_cndmask_b32_e64 v91, v91, v98, s19
	;; [unrolled: 1-line block ×3, first 2 shown]
	v_lshrrev_b32_e32 v84, 16, v94
	v_cndmask_b32_e64 v66, v66, v97, s18
	v_cndmask_b32_e64 v90, v86, v97, s27
	;; [unrolled: 1-line block ×4, first 2 shown]
	v_dual_cndmask_b32 v86, v87, v97 :: v_dual_cndmask_b32 v87, v88, v84
	v_cndmask_b32_e64 v91, v69, v84, s15
	s_delay_alu instid0(VALU_DEP_4) | instskip(NEXT) | instid1(VALU_DEP_4)
	v_cndmask_b32_e64 v89, v89, v100, s22
	v_cndmask_b32_e64 v85, v85, v100, s13
	v_perm_b32 v69, v102, v101, 0x5040100
	v_perm_b32 v86, v87, v86, 0x5040100
	;; [unrolled: 1-line block ×3, first 2 shown]
	v_cndmask_b32_e64 v89, v89, v94, s24
	v_cndmask_b32_e64 v85, v85, v94, s16
	s_mul_i32 s8, s35, 11
	s_delay_alu instid0(VALU_DEP_2) | instskip(NEXT) | instid1(VALU_DEP_2)
	v_cndmask_b32_e64 v88, v89, v84, s27
	v_cndmask_b32_e64 v89, v85, v84, s18
	s_delay_alu instid0(VALU_DEP_2) | instskip(NEXT) | instid1(VALU_DEP_2)
	v_perm_b32 v85, v88, v90, 0x5040100
	v_perm_b32 v84, v89, v66, 0x5040100
	ds_store_b128 v76, v[69:72]
	ds_store_b128 v76, v[83:86] offset:1024
	v_cmpx_gt_u32_e32 11, v0
	s_cbranch_execz .LBB1516_78
; %bb.77:
	s_mul_i32 s4, s8, s30
	s_delay_alu instid0(SALU_CYCLE_1) | instskip(SKIP_1) | instid1(VALU_DEP_1)
	v_add3_u32 v69, s4, s31, v65
	s_load_b128 s[4:7], s[0:1], 0x58
	v_mad_u64_u32 v[65:66], null, v69, s34, s[14:15]
	s_delay_alu instid0(VALU_DEP_1) | instskip(NEXT) | instid1(VALU_DEP_1)
	v_ashrrev_i32_e32 v66, 31, v65
	v_lshlrev_b64 v[65:66], 2, v[65:66]
	s_waitcnt lgkmcnt(0)
	s_delay_alu instid0(VALU_DEP_1) | instskip(NEXT) | instid1(VALU_DEP_2)
	v_add_co_u32 v69, vcc_lo, s6, v65
	v_add_co_ci_u32_e32 v70, vcc_lo, s7, v66, vcc_lo
	v_add_co_u32 v65, vcc_lo, s4, v65
	v_add_co_ci_u32_e32 v66, vcc_lo, s5, v66, vcc_lo
	global_store_b32 v[69:70], v67, off
	global_store_b32 v[65:66], v68, off
.LBB1516_78:
	s_or_b32 exec_lo, exec_lo, s3
	s_waitcnt lgkmcnt(0)
	s_waitcnt_vscnt null, 0x0
	s_barrier
	buffer_gl0_inv
	ds_load_b128 v[83:86], v80
	ds_load_b128 v[87:90], v80 offset:16
	ds_load_b128 v[95:98], v80 offset:2064
	;; [unrolled: 1-line block ×3, first 2 shown]
	v_mov_b32_e32 v65, 0
	ds_load_b128 v[103:106], v80 offset:4112
	ds_load_b128 v[99:102], v80 offset:4096
	;; [unrolled: 1-line block ×4, first 2 shown]
	v_mov_b32_e32 v66, v65
	v_mov_b32_e32 v67, v65
	;; [unrolled: 1-line block ×7, first 2 shown]
	s_waitcnt lgkmcnt(6)
	s_delay_alu instid0(VALU_DEP_1)
	v_wmma_f32_16x16x16_bf16 v[65:72], v[49:56], v[83:90], v[65:72]
	ds_load_b128 v[53:56], v80 offset:8208
	ds_load_b128 v[49:52], v80 offset:8192
	s_waitcnt lgkmcnt(6)
	v_wmma_f32_16x16x16_bf16 v[65:72], v[41:48], v[91:98], v[65:72]
	ds_load_b128 v[45:48], v80 offset:10256
	ds_load_b128 v[41:44], v80 offset:10240
	s_waitcnt lgkmcnt(6)
	;; [unrolled: 4-line block ×4, first 2 shown]
	v_wmma_f32_16x16x16_bf16 v[65:72], v[1:8], v[49:56], v[65:72]
	s_waitcnt lgkmcnt(4)
	s_delay_alu instid0(VALU_DEP_1) | instskip(SKIP_1) | instid1(VALU_DEP_1)
	v_wmma_f32_16x16x16_bf16 v[65:72], v[9:16], v[41:48], v[65:72]
	s_waitcnt lgkmcnt(2)
	v_wmma_f32_16x16x16_bf16 v[65:72], v[17:24], v[33:40], v[65:72]
	s_waitcnt lgkmcnt(0)
	s_delay_alu instid0(VALU_DEP_1) | instskip(NEXT) | instid1(VALU_DEP_1)
	v_wmma_f32_16x16x16_bf16 v[65:72], v[57:64], v[25:32], v[65:72]
	v_and_b32_e32 v1, 0x7f800000, v65
	s_delay_alu instid0(VALU_DEP_1) | instskip(SKIP_1) | instid1(SALU_CYCLE_1)
	v_cmp_ne_u32_e32 vcc_lo, 0x7f800000, v1
                                        ; implicit-def: $vgpr1
	s_and_saveexec_b32 s3, vcc_lo
	s_xor_b32 s3, exec_lo, s3
; %bb.79:
	v_bfe_u32 v1, v65, 16, 1
	s_delay_alu instid0(VALU_DEP_1)
	v_add3_u32 v1, v65, v1, 0x7fff
; %bb.80:
	s_and_not1_saveexec_b32 s3, s3
; %bb.81:
	v_and_b32_e32 v1, 0xffff, v65
	v_or_b32_e32 v2, 0x10000, v65
	s_delay_alu instid0(VALU_DEP_2) | instskip(NEXT) | instid1(VALU_DEP_2)
	v_cmp_eq_u32_e32 vcc_lo, 0, v1
	v_cndmask_b32_e32 v1, v2, v65, vcc_lo
; %bb.82:
	s_or_b32 exec_lo, exec_lo, s3
	v_and_b32_e32 v2, 0x7f800000, v66
	s_delay_alu instid0(VALU_DEP_1) | instskip(SKIP_1) | instid1(SALU_CYCLE_1)
	v_cmp_ne_u32_e32 vcc_lo, 0x7f800000, v2
                                        ; implicit-def: $vgpr2
	s_and_saveexec_b32 s3, vcc_lo
	s_xor_b32 s3, exec_lo, s3
; %bb.83:
	v_bfe_u32 v2, v66, 16, 1
	s_delay_alu instid0(VALU_DEP_1)
	v_add3_u32 v2, v66, v2, 0x7fff
; %bb.84:
	s_and_not1_saveexec_b32 s3, s3
; %bb.85:
	v_and_b32_e32 v2, 0xffff, v66
	v_or_b32_e32 v3, 0x10000, v66
	s_delay_alu instid0(VALU_DEP_2) | instskip(NEXT) | instid1(VALU_DEP_2)
	v_cmp_eq_u32_e32 vcc_lo, 0, v2
	v_cndmask_b32_e32 v2, v3, v66, vcc_lo
; %bb.86:
	s_or_b32 exec_lo, exec_lo, s3
	v_and_b32_e32 v3, 0x7f800000, v67
	s_delay_alu instid0(VALU_DEP_1) | instskip(SKIP_1) | instid1(SALU_CYCLE_1)
	v_cmp_ne_u32_e32 vcc_lo, 0x7f800000, v3
                                        ; implicit-def: $vgpr3
	s_and_saveexec_b32 s3, vcc_lo
	s_xor_b32 s3, exec_lo, s3
; %bb.87:
	v_bfe_u32 v3, v67, 16, 1
	s_delay_alu instid0(VALU_DEP_1)
	v_add3_u32 v3, v67, v3, 0x7fff
; %bb.88:
	s_and_not1_saveexec_b32 s3, s3
; %bb.89:
	v_and_b32_e32 v3, 0xffff, v67
	v_or_b32_e32 v4, 0x10000, v67
	s_delay_alu instid0(VALU_DEP_2) | instskip(NEXT) | instid1(VALU_DEP_2)
	v_cmp_eq_u32_e32 vcc_lo, 0, v3
	v_cndmask_b32_e32 v3, v4, v67, vcc_lo
; %bb.90:
	s_or_b32 exec_lo, exec_lo, s3
	v_and_b32_e32 v4, 0x7f800000, v68
	s_delay_alu instid0(VALU_DEP_1) | instskip(SKIP_1) | instid1(SALU_CYCLE_1)
	v_cmp_ne_u32_e32 vcc_lo, 0x7f800000, v4
                                        ; implicit-def: $vgpr4
	s_and_saveexec_b32 s3, vcc_lo
	s_xor_b32 s3, exec_lo, s3
; %bb.91:
	v_bfe_u32 v4, v68, 16, 1
	s_delay_alu instid0(VALU_DEP_1)
	v_add3_u32 v4, v68, v4, 0x7fff
; %bb.92:
	s_and_not1_saveexec_b32 s3, s3
; %bb.93:
	v_and_b32_e32 v4, 0xffff, v68
	v_or_b32_e32 v5, 0x10000, v68
	s_delay_alu instid0(VALU_DEP_2) | instskip(NEXT) | instid1(VALU_DEP_2)
	v_cmp_eq_u32_e32 vcc_lo, 0, v4
	v_cndmask_b32_e32 v4, v5, v68, vcc_lo
; %bb.94:
	s_or_b32 exec_lo, exec_lo, s3
	v_and_b32_e32 v5, 0x7f800000, v69
	s_delay_alu instid0(VALU_DEP_1) | instskip(SKIP_1) | instid1(SALU_CYCLE_1)
	v_cmp_ne_u32_e32 vcc_lo, 0x7f800000, v5
                                        ; implicit-def: $vgpr5
	s_and_saveexec_b32 s3, vcc_lo
	s_xor_b32 s3, exec_lo, s3
; %bb.95:
	v_bfe_u32 v5, v69, 16, 1
	s_delay_alu instid0(VALU_DEP_1)
	v_add3_u32 v5, v69, v5, 0x7fff
; %bb.96:
	s_and_not1_saveexec_b32 s3, s3
; %bb.97:
	v_and_b32_e32 v5, 0xffff, v69
	v_or_b32_e32 v6, 0x10000, v69
	s_delay_alu instid0(VALU_DEP_2) | instskip(NEXT) | instid1(VALU_DEP_2)
	v_cmp_eq_u32_e32 vcc_lo, 0, v5
	v_cndmask_b32_e32 v5, v6, v69, vcc_lo
; %bb.98:
	s_or_b32 exec_lo, exec_lo, s3
	v_and_b32_e32 v6, 0x7f800000, v70
	s_delay_alu instid0(VALU_DEP_1) | instskip(SKIP_1) | instid1(SALU_CYCLE_1)
	v_cmp_ne_u32_e32 vcc_lo, 0x7f800000, v6
                                        ; implicit-def: $vgpr6
	s_and_saveexec_b32 s3, vcc_lo
	s_xor_b32 s3, exec_lo, s3
; %bb.99:
	v_bfe_u32 v6, v70, 16, 1
	s_delay_alu instid0(VALU_DEP_1)
	v_add3_u32 v6, v70, v6, 0x7fff
; %bb.100:
	s_and_not1_saveexec_b32 s3, s3
; %bb.101:
	v_and_b32_e32 v6, 0xffff, v70
	v_or_b32_e32 v7, 0x10000, v70
	s_delay_alu instid0(VALU_DEP_2) | instskip(NEXT) | instid1(VALU_DEP_2)
	v_cmp_eq_u32_e32 vcc_lo, 0, v6
	v_cndmask_b32_e32 v6, v7, v70, vcc_lo
; %bb.102:
	s_or_b32 exec_lo, exec_lo, s3
	v_and_b32_e32 v7, 0x7f800000, v71
	s_delay_alu instid0(VALU_DEP_1) | instskip(SKIP_1) | instid1(SALU_CYCLE_1)
	v_cmp_ne_u32_e32 vcc_lo, 0x7f800000, v7
                                        ; implicit-def: $vgpr7
	s_and_saveexec_b32 s3, vcc_lo
	s_xor_b32 s3, exec_lo, s3
; %bb.103:
	v_bfe_u32 v7, v71, 16, 1
	s_delay_alu instid0(VALU_DEP_1)
	v_add3_u32 v7, v71, v7, 0x7fff
; %bb.104:
	s_and_not1_saveexec_b32 s3, s3
; %bb.105:
	v_and_b32_e32 v7, 0xffff, v71
	v_or_b32_e32 v8, 0x10000, v71
	s_delay_alu instid0(VALU_DEP_2) | instskip(NEXT) | instid1(VALU_DEP_2)
	v_cmp_eq_u32_e32 vcc_lo, 0, v7
	v_cndmask_b32_e32 v7, v8, v71, vcc_lo
; %bb.106:
	s_or_b32 exec_lo, exec_lo, s3
	v_and_b32_e32 v8, 0x7f800000, v72
	s_delay_alu instid0(VALU_DEP_1) | instskip(SKIP_1) | instid1(SALU_CYCLE_1)
	v_cmp_ne_u32_e32 vcc_lo, 0x7f800000, v8
                                        ; implicit-def: $vgpr8
	s_and_saveexec_b32 s3, vcc_lo
	s_xor_b32 s3, exec_lo, s3
; %bb.107:
	v_bfe_u32 v8, v72, 16, 1
	s_delay_alu instid0(VALU_DEP_1)
	v_add3_u32 v8, v72, v8, 0x7fff
                                        ; implicit-def: $vgpr65_vgpr66_vgpr67_vgpr68_vgpr69_vgpr70_vgpr71_vgpr72
; %bb.108:
	s_and_not1_saveexec_b32 s3, s3
; %bb.109:
	v_and_b32_e32 v8, 0xffff, v72
	v_or_b32_e32 v9, 0x10000, v72
	s_delay_alu instid0(VALU_DEP_2) | instskip(NEXT) | instid1(VALU_DEP_2)
	v_cmp_eq_u32_e32 vcc_lo, 0, v8
	v_cndmask_b32_e32 v8, v9, v72, vcc_lo
; %bb.110:
	s_or_b32 exec_lo, exec_lo, s3
	s_delay_alu instid0(VALU_DEP_1)
	v_perm_b32 v7, v8, v7, 0x7060302
	v_perm_b32 v6, v6, v5, 0x7060302
	;; [unrolled: 1-line block ×4, first 2 shown]
	s_barrier
	buffer_gl0_inv
	v_cmp_eq_u32_e32 vcc_lo, 1, v78
	ds_store_b128 v76, v[4:7]
	s_waitcnt lgkmcnt(0)
	s_barrier
	buffer_gl0_inv
	ds_load_b128 v[1:4], v82
	ds_load_b128 v[5:8], v82 offset:16
	v_cmp_eq_u32_e64 s3, 1, v79
	v_cmp_eq_u32_e64 s4, 2, v78
	;; [unrolled: 1-line block ×5, first 2 shown]
	s_waitcnt lgkmcnt(1)
	v_lshrrev_b32_e32 v9, 16, v1
	s_waitcnt lgkmcnt(0)
	v_lshrrev_b32_e32 v13, 16, v5
	v_lshrrev_b32_e32 v10, 16, v2
	;; [unrolled: 1-line block ×4, first 2 shown]
	v_cndmask_b32_e64 v19, v1, v9, s3
	v_cndmask_b32_e32 v18, v5, v13, vcc_lo
	v_cndmask_b32_e64 v20, v5, v13, s3
	v_cndmask_b32_e32 v17, v1, v9, vcc_lo
	v_cmp_eq_u32_e32 vcc_lo, 2, v79
	v_lshrrev_b32_e32 v15, 16, v7
	v_cmp_eq_u32_e64 s3, 1, v77
	v_lshrrev_b32_e32 v12, 16, v4
	v_lshrrev_b32_e32 v16, 16, v8
	v_cndmask_b32_e32 v20, v20, v6, vcc_lo
	v_cndmask_b32_e64 v17, v17, v2, s4
	v_cndmask_b32_e32 v19, v19, v2, vcc_lo
	v_cndmask_b32_e64 v18, v18, v6, s4
	v_cmp_eq_u32_e32 vcc_lo, 4, v78
	v_cmp_eq_u32_e64 s4, 3, v79
	v_cndmask_b32_e64 v17, v17, v10, s5
	v_cndmask_b32_e64 v21, v1, v9, s3
	;; [unrolled: 1-line block ×5, first 2 shown]
	v_cndmask_b32_e32 v17, v17, v3, vcc_lo
	v_cndmask_b32_e64 v20, v20, v14, s4
	v_cndmask_b32_e32 v18, v18, v7, vcc_lo
	v_cmp_eq_u32_e32 vcc_lo, 4, v79
	v_cmp_eq_u32_e64 s4, 5, v79
	v_cmp_eq_u32_e64 s3, 2, v81
	v_cndmask_b32_e64 v21, v21, v2, s7
	v_cmp_eq_u32_e64 s5, 5, v78
	v_cndmask_b32_e32 v19, v19, v3, vcc_lo
	v_cndmask_b32_e32 v20, v20, v7, vcc_lo
	v_cmp_eq_u32_e32 vcc_lo, 6, v79
	s_delay_alu instid0(VALU_DEP_4) | instskip(NEXT) | instid1(VALU_DEP_4)
	v_cndmask_b32_e64 v17, v17, v11, s5
	v_cndmask_b32_e64 v19, v19, v11, s4
	s_delay_alu instid0(VALU_DEP_4) | instskip(SKIP_1) | instid1(VALU_DEP_3)
	v_cndmask_b32_e64 v20, v20, v15, s4
	v_cmp_eq_u32_e64 s4, 1, v81
	v_cndmask_b32_e32 v19, v19, v4, vcc_lo
	v_cndmask_b32_e64 v18, v18, v15, s5
	s_delay_alu instid0(VALU_DEP_3)
	v_cndmask_b32_e64 v1, v1, v9, s4
	v_cndmask_b32_e64 v5, v5, v13, s4
	v_cmp_eq_u32_e64 s4, 3, v77
	v_cndmask_b32_e64 v13, v22, v6, s7
	v_cmp_eq_u32_e64 s7, 3, v81
	v_cndmask_b32_e64 v1, v1, v2, s3
	v_cndmask_b32_e64 v2, v5, v6, s3
	;; [unrolled: 1-line block ×3, first 2 shown]
	v_cmp_eq_u32_e64 s3, 4, v77
	v_cndmask_b32_e64 v6, v13, v14, s4
	v_cndmask_b32_e64 v1, v1, v10, s7
	v_cmp_eq_u32_e64 s4, 4, v81
	v_cndmask_b32_e64 v2, v2, v14, s7
	v_cndmask_b32_e64 v5, v9, v3, s3
	;; [unrolled: 3-line block ×3, first 2 shown]
	v_cndmask_b32_e64 v2, v2, v7, s4
	v_cmp_eq_u32_e64 s3, 5, v81
	v_cmp_eq_u32_e64 s5, 6, v78
	v_cndmask_b32_e64 v5, v5, v11, s7
	v_cmp_eq_u32_e64 s4, 6, v77
	v_cndmask_b32_e64 v3, v6, v15, s7
	v_cndmask_b32_e64 v1, v1, v11, s3
	v_cmp_eq_u32_e64 s7, 6, v81
	v_cndmask_b32_e64 v2, v2, v15, s3
	v_cndmask_b32_e64 v17, v17, v4, s5
	v_cndmask_b32_e64 v18, v18, v8, s5
	v_cmp_eq_u32_e64 s5, 7, v78
	v_cndmask_b32_e64 v5, v5, v4, s4
	;; [unrolled: 4-line block ×3, first 2 shown]
	v_cmp_eq_u32_e64 s4, 7, v77
	v_cndmask_b32_e32 v4, v20, v8, vcc_lo
	v_cndmask_b32_e64 v17, v17, v12, s5
	v_cndmask_b32_e64 v19, v19, v12, s6
	;; [unrolled: 1-line block ×8, first 2 shown]
	s_mov_b32 s3, exec_lo
	v_perm_b32 v4, v2, v1, 0x5040100
	v_perm_b32 v3, v3, v5, 0x5040100
	;; [unrolled: 1-line block ×4, first 2 shown]
	ds_store_b128 v76, v[1:4]
	s_waitcnt lgkmcnt(0)
	s_barrier
	buffer_gl0_inv
	v_cmpx_gt_u32_e32 32, v0
	s_cbranch_execz .LBB1516_2
; %bb.111:
	s_load_b64 s[4:5], s[0:1], 0x68
	v_lshlrev_b32_e32 v0, 10, v0
	v_lshlrev_b32_e32 v1, 4, v75
	s_lshl_b32 s0, s34, 7
	v_add_nc_u32_e32 v7, s31, v74
	s_mul_i32 s1, s0, s30
	s_delay_alu instid0(SALU_CYCLE_1) | instskip(SKIP_1) | instid1(VALU_DEP_2)
	s_mul_i32 s6, s1, s8
	v_and_or_b32 v0, 0x3800, v0, v1
	v_mul_lo_u32 v1, v7, s0
	v_add_nc_u32_e32 v2, 2, v7
	s_ashr_i32 s7, s6, 31
	v_add_nc_u32_e32 v4, 4, v7
	s_lshl_b64 s[6:7], s[6:7], 1
	v_add_nc_u32_e32 v8, 6, v7
	v_mul_lo_u32 v3, v2, s0
	v_lshl_or_b32 v19, v74, 6, v0
	v_ashrrev_i32_e32 v2, 31, v1
	v_mul_lo_u32 v11, v4, s0
	v_mul_lo_u32 v25, v8, s0
	s_waitcnt lgkmcnt(0)
	s_add_u32 s1, s4, s6
	s_addc_u32 s3, s5, s7
	s_lshl_b32 s4, s14, 7
	v_lshlrev_b64 v[5:6], 1, v[1:2]
	s_ashr_i32 s5, s4, 31
	v_ashrrev_i32_e32 v4, 31, v3
	s_lshl_b64 s[4:5], s[4:5], 1
	v_ashrrev_i32_e32 v12, 31, v11
	s_add_u32 s1, s1, s4
	s_addc_u32 s3, s3, s5
	v_add_co_u32 v1, s1, s1, v73
	s_delay_alu instid0(VALU_DEP_1) | instskip(SKIP_1) | instid1(VALU_DEP_3)
	v_add_co_ci_u32_e64 v2, null, s3, 0, s1
	v_lshlrev_b64 v[3:4], 1, v[3:4]
	v_add_co_u32 v23, vcc_lo, v1, v5
	v_add_nc_u32_e32 v5, 8, v7
	s_delay_alu instid0(VALU_DEP_4) | instskip(NEXT) | instid1(VALU_DEP_4)
	v_add_co_ci_u32_e32 v24, vcc_lo, v2, v6, vcc_lo
	v_add_co_u32 v27, vcc_lo, v1, v3
	s_delay_alu instid0(VALU_DEP_3)
	v_mul_lo_u32 v29, v5, s0
	v_add_co_ci_u32_e32 v28, vcc_lo, v2, v4, vcc_lo
	ds_load_b128 v[3:6], v19
	ds_load_b128 v[7:10], v19 offset:128
	v_lshlrev_b64 v[31:32], 1, v[11:12]
	ds_load_b128 v[11:14], v19 offset:256
	ds_load_b128 v[15:18], v19 offset:384
	;; [unrolled: 1-line block ×3, first 2 shown]
	v_ashrrev_i32_e32 v26, 31, v25
	v_ashrrev_i32_e32 v30, 31, v29
	v_add_co_u32 v31, vcc_lo, v1, v31
	s_delay_alu instid0(VALU_DEP_3) | instskip(NEXT) | instid1(VALU_DEP_3)
	v_lshlrev_b64 v[25:26], 1, v[25:26]
	v_lshlrev_b64 v[29:30], 1, v[29:30]
	v_add_co_ci_u32_e32 v32, vcc_lo, v2, v32, vcc_lo
	s_delay_alu instid0(VALU_DEP_3) | instskip(NEXT) | instid1(VALU_DEP_4)
	v_add_co_u32 v25, vcc_lo, v1, v25
	v_add_co_ci_u32_e32 v26, vcc_lo, v2, v26, vcc_lo
	s_delay_alu instid0(VALU_DEP_4)
	v_add_co_u32 v29, vcc_lo, v1, v29
	v_add_co_ci_u32_e32 v30, vcc_lo, v2, v30, vcc_lo
	s_waitcnt lgkmcnt(4)
	global_store_b128 v[23:24], v[3:6], off
	s_waitcnt lgkmcnt(3)
	global_store_b128 v[27:28], v[7:10], off
	;; [unrolled: 2-line block ×5, first 2 shown]
	s_and_b32 exec_lo, exec_lo, s2
	s_cbranch_execz .LBB1516_2
; %bb.112:
	ds_load_b128 v[3:6], v0 offset:640
	s_add_i32 s1, s31, 10
	s_delay_alu instid0(SALU_CYCLE_1) | instskip(NEXT) | instid1(SALU_CYCLE_1)
	s_mul_i32 s0, s1, s0
	s_ashr_i32 s1, s0, 31
	s_delay_alu instid0(SALU_CYCLE_1) | instskip(NEXT) | instid1(SALU_CYCLE_1)
	s_lshl_b64 s[0:1], s[0:1], 1
	v_add_co_u32 v0, vcc_lo, v1, s0
	v_add_co_ci_u32_e32 v1, vcc_lo, s1, v2, vcc_lo
	s_waitcnt lgkmcnt(0)
	global_store_b128 v[0:1], v[3:6], off
	s_nop 0
	s_sendmsg sendmsg(MSG_DEALLOC_VGPRS)
	s_endpgm
	.section	.rodata,"a",@progbits
	.p2align	6, 0x0
	.amdhsa_kernel _Z39paged_attention_ll4mi_QKV_mfma16_kernelI14__hip_bfloat16hLN4vllm18Fp8KVCacheDataTypeE1EhLi16ELi128ELi256ELb1ELi11EL8MFMAType1EEvPKT_PKT0_S9_ifPKiSB_SB_iPKfiiiPfSE_PS4_PT2_iSD_SD_
		.amdhsa_group_segment_fixed_size 17472
		.amdhsa_private_segment_fixed_size 0
		.amdhsa_kernarg_size 400
		.amdhsa_user_sgpr_count 13
		.amdhsa_user_sgpr_dispatch_ptr 0
		.amdhsa_user_sgpr_queue_ptr 0
		.amdhsa_user_sgpr_kernarg_segment_ptr 1
		.amdhsa_user_sgpr_dispatch_id 0
		.amdhsa_user_sgpr_private_segment_size 0
		.amdhsa_wavefront_size32 1
		.amdhsa_uses_dynamic_stack 0
		.amdhsa_enable_private_segment 0
		.amdhsa_system_sgpr_workgroup_id_x 1
		.amdhsa_system_sgpr_workgroup_id_y 1
		.amdhsa_system_sgpr_workgroup_id_z 1
		.amdhsa_system_sgpr_workgroup_info 0
		.amdhsa_system_vgpr_workitem_id 0
		.amdhsa_next_free_vgpr 140
		.amdhsa_next_free_sgpr 36
		.amdhsa_reserve_vcc 1
		.amdhsa_float_round_mode_32 0
		.amdhsa_float_round_mode_16_64 0
		.amdhsa_float_denorm_mode_32 3
		.amdhsa_float_denorm_mode_16_64 3
		.amdhsa_dx10_clamp 1
		.amdhsa_ieee_mode 1
		.amdhsa_fp16_overflow 0
		.amdhsa_workgroup_processor_mode 1
		.amdhsa_memory_ordered 1
		.amdhsa_forward_progress 0
		.amdhsa_shared_vgpr_count 0
		.amdhsa_exception_fp_ieee_invalid_op 0
		.amdhsa_exception_fp_denorm_src 0
		.amdhsa_exception_fp_ieee_div_zero 0
		.amdhsa_exception_fp_ieee_overflow 0
		.amdhsa_exception_fp_ieee_underflow 0
		.amdhsa_exception_fp_ieee_inexact 0
		.amdhsa_exception_int_div_zero 0
	.end_amdhsa_kernel
	.section	.text._Z39paged_attention_ll4mi_QKV_mfma16_kernelI14__hip_bfloat16hLN4vllm18Fp8KVCacheDataTypeE1EhLi16ELi128ELi256ELb1ELi11EL8MFMAType1EEvPKT_PKT0_S9_ifPKiSB_SB_iPKfiiiPfSE_PS4_PT2_iSD_SD_,"axG",@progbits,_Z39paged_attention_ll4mi_QKV_mfma16_kernelI14__hip_bfloat16hLN4vllm18Fp8KVCacheDataTypeE1EhLi16ELi128ELi256ELb1ELi11EL8MFMAType1EEvPKT_PKT0_S9_ifPKiSB_SB_iPKfiiiPfSE_PS4_PT2_iSD_SD_,comdat
.Lfunc_end1516:
	.size	_Z39paged_attention_ll4mi_QKV_mfma16_kernelI14__hip_bfloat16hLN4vllm18Fp8KVCacheDataTypeE1EhLi16ELi128ELi256ELb1ELi11EL8MFMAType1EEvPKT_PKT0_S9_ifPKiSB_SB_iPKfiiiPfSE_PS4_PT2_iSD_SD_, .Lfunc_end1516-_Z39paged_attention_ll4mi_QKV_mfma16_kernelI14__hip_bfloat16hLN4vllm18Fp8KVCacheDataTypeE1EhLi16ELi128ELi256ELb1ELi11EL8MFMAType1EEvPKT_PKT0_S9_ifPKiSB_SB_iPKfiiiPfSE_PS4_PT2_iSD_SD_
                                        ; -- End function
	.section	.AMDGPU.csdata,"",@progbits
; Kernel info:
; codeLenInByte = 9004
; NumSgprs: 38
; NumVgprs: 140
; ScratchSize: 0
; MemoryBound: 0
; FloatMode: 240
; IeeeMode: 1
; LDSByteSize: 17472 bytes/workgroup (compile time only)
; SGPRBlocks: 4
; VGPRBlocks: 17
; NumSGPRsForWavesPerEU: 38
; NumVGPRsForWavesPerEU: 140
; Occupancy: 10
; WaveLimiterHint : 1
; COMPUTE_PGM_RSRC2:SCRATCH_EN: 0
; COMPUTE_PGM_RSRC2:USER_SGPR: 13
; COMPUTE_PGM_RSRC2:TRAP_HANDLER: 0
; COMPUTE_PGM_RSRC2:TGID_X_EN: 1
; COMPUTE_PGM_RSRC2:TGID_Y_EN: 1
; COMPUTE_PGM_RSRC2:TGID_Z_EN: 1
; COMPUTE_PGM_RSRC2:TIDIG_COMP_CNT: 0
	.section	.text._Z39paged_attention_ll4mi_QKV_mfma16_kernelI14__hip_bfloat16hLN4vllm18Fp8KVCacheDataTypeE1EhLi16ELi128ELi256ELb1ELi12EL8MFMAType1EEvPKT_PKT0_S9_ifPKiSB_SB_iPKfiiiPfSE_PS4_PT2_iSD_SD_,"axG",@progbits,_Z39paged_attention_ll4mi_QKV_mfma16_kernelI14__hip_bfloat16hLN4vllm18Fp8KVCacheDataTypeE1EhLi16ELi128ELi256ELb1ELi12EL8MFMAType1EEvPKT_PKT0_S9_ifPKiSB_SB_iPKfiiiPfSE_PS4_PT2_iSD_SD_,comdat
	.protected	_Z39paged_attention_ll4mi_QKV_mfma16_kernelI14__hip_bfloat16hLN4vllm18Fp8KVCacheDataTypeE1EhLi16ELi128ELi256ELb1ELi12EL8MFMAType1EEvPKT_PKT0_S9_ifPKiSB_SB_iPKfiiiPfSE_PS4_PT2_iSD_SD_ ; -- Begin function _Z39paged_attention_ll4mi_QKV_mfma16_kernelI14__hip_bfloat16hLN4vllm18Fp8KVCacheDataTypeE1EhLi16ELi128ELi256ELb1ELi12EL8MFMAType1EEvPKT_PKT0_S9_ifPKiSB_SB_iPKfiiiPfSE_PS4_PT2_iSD_SD_
	.globl	_Z39paged_attention_ll4mi_QKV_mfma16_kernelI14__hip_bfloat16hLN4vllm18Fp8KVCacheDataTypeE1EhLi16ELi128ELi256ELb1ELi12EL8MFMAType1EEvPKT_PKT0_S9_ifPKiSB_SB_iPKfiiiPfSE_PS4_PT2_iSD_SD_
	.p2align	8
	.type	_Z39paged_attention_ll4mi_QKV_mfma16_kernelI14__hip_bfloat16hLN4vllm18Fp8KVCacheDataTypeE1EhLi16ELi128ELi256ELb1ELi12EL8MFMAType1EEvPKT_PKT0_S9_ifPKiSB_SB_iPKfiiiPfSE_PS4_PT2_iSD_SD_,@function
_Z39paged_attention_ll4mi_QKV_mfma16_kernelI14__hip_bfloat16hLN4vllm18Fp8KVCacheDataTypeE1EhLi16ELi128ELi256ELb1ELi12EL8MFMAType1EEvPKT_PKT0_S9_ifPKiSB_SB_iPKfiiiPfSE_PS4_PT2_iSD_SD_: ; @_Z39paged_attention_ll4mi_QKV_mfma16_kernelI14__hip_bfloat16hLN4vllm18Fp8KVCacheDataTypeE1EhLi16ELi128ELi256ELb1ELi12EL8MFMAType1EEvPKT_PKT0_S9_ifPKiSB_SB_iPKfiiiPfSE_PS4_PT2_iSD_SD_
; %bb.0:
	s_load_b64 s[4:5], s[0:1], 0x30
	s_mov_b32 s30, s13
	s_waitcnt lgkmcnt(0)
	s_cmp_lg_u64 s[4:5], 0
	s_cselect_b32 s13, -1, 0
	s_ashr_i32 s31, s30, 31
	s_cmp_eq_u64 s[4:5], 0
	s_cbranch_scc1 .LBB1517_3
; %bb.1:
	s_lshl_b64 s[2:3], s[30:31], 2
	s_delay_alu instid0(SALU_CYCLE_1) | instskip(SKIP_4) | instid1(SALU_CYCLE_1)
	s_add_u32 s2, s4, s2
	s_addc_u32 s3, s5, s3
	s_load_b64 s[2:3], s[2:3], 0x0
	s_waitcnt lgkmcnt(0)
	s_sub_i32 s2, s3, s2
	s_cmp_eq_u32 s2, 1
	s_cselect_b32 s2, -1, 0
	s_delay_alu instid0(SALU_CYCLE_1)
	s_and_not1_b32 vcc_lo, exec_lo, s2
	s_cbranch_vccz .LBB1517_4
.LBB1517_2:
	s_endpgm
.LBB1517_3:
.LBB1517_4:
	s_load_b64 s[2:3], s[0:1], 0x28
	s_lshl_b64 s[6:7], s[30:31], 2
	s_waitcnt lgkmcnt(0)
	s_add_u32 s2, s2, s6
	s_addc_u32 s3, s3, s7
	s_lshl_b32 s12, s14, 8
	s_load_b32 s17, s[2:3], 0x0
	s_waitcnt lgkmcnt(0)
	s_cmp_ge_i32 s12, s17
	s_cbranch_scc1 .LBB1517_2
; %bb.5:
	s_clause 0x1
	s_load_b128 s[8:11], s[0:1], 0x8
	s_load_b64 s[2:3], s[0:1], 0x20
	s_and_not1_b32 vcc_lo, exec_lo, s13
	s_cbranch_vccnz .LBB1517_7
; %bb.6:
	s_add_u32 s4, s4, s6
	s_addc_u32 s5, s5, s7
	s_load_b32 s13, s[4:5], 0x0
	s_branch .LBB1517_8
.LBB1517_7:
	s_mov_b32 s13, s30
.LBB1517_8:
	s_load_b128 s[4:7], s[0:1], 0x48
	v_and_b32_e32 v65, 15, v0
	v_lshrrev_b32_e32 v66, 5, v0
	v_and_b32_e32 v67, 31, v0
	v_and_b32_e32 v75, 1, v0
	v_bfe_u32 v74, v0, 4, 1
	v_lshlrev_b32_e32 v1, 3, v65
	s_mul_i32 s29, s15, 12
	s_waitcnt lgkmcnt(0)
	s_mov_b32 s7, exec_lo
	s_delay_alu instid0(VALU_DEP_1)
	v_lshlrev_b32_e32 v73, 1, v1
	v_cmpx_gt_u32_e32 0xc0, v0
	s_cbranch_execz .LBB1517_10
; %bb.9:
	s_load_b64 s[18:19], s[0:1], 0x0
	v_lshl_or_b32 v5, v66, 1, v74
	s_mul_hi_i32 s21, s13, s4
	s_mul_i32 s20, s13, s4
	v_lshlrev_b32_e32 v6, 10, v65
	s_lshl_b64 s[20:21], s[20:21], 1
	v_add_lshl_u32 v1, v5, s29, 7
	v_lshlrev_b32_e32 v5, 6, v5
	v_lshlrev_b32_e32 v7, 10, v75
	v_and_b32_e32 v6, 0x3800, v6
	s_delay_alu instid0(VALU_DEP_4) | instskip(NEXT) | instid1(VALU_DEP_2)
	v_ashrrev_i32_e32 v2, 31, v1
	v_or3_b32 v5, v6, v7, v5
	s_delay_alu instid0(VALU_DEP_2) | instskip(SKIP_3) | instid1(VALU_DEP_1)
	v_lshlrev_b64 v[1:2], 1, v[1:2]
	s_waitcnt lgkmcnt(0)
	s_add_u32 s4, s18, s20
	s_addc_u32 s13, s19, s21
	v_add_co_u32 v1, vcc_lo, s4, v1
	s_delay_alu instid0(VALU_DEP_2) | instskip(NEXT) | instid1(VALU_DEP_2)
	v_add_co_ci_u32_e32 v2, vcc_lo, s13, v2, vcc_lo
	v_add_co_u32 v1, vcc_lo, v1, v73
	s_delay_alu instid0(VALU_DEP_2)
	v_add_co_ci_u32_e32 v2, vcc_lo, 0, v2, vcc_lo
	global_load_b128 v[1:4], v[1:2], off
	s_waitcnt vmcnt(0)
	ds_store_b128 v5, v[1:4]
.LBB1517_10:
	s_or_b32 exec_lo, exec_lo, s7
	v_and_b32_e32 v1, 0xef, v0
	s_add_i32 s4, s17, 15
	s_clause 0x1
	s_load_b32 s7, s[0:1], 0x38
	s_load_b32 s18, s[0:1], 0x1c
	s_ashr_i32 s13, s4, 31
	v_add_nc_u32_e32 v1, s12, v1
	s_lshr_b32 s13, s13, 28
	s_waitcnt lgkmcnt(0)
	s_add_i32 s4, s4, s13
	s_barrier
	v_ashrrev_i32_e32 v2, 31, v1
	v_or_b32_e32 v3, 16, v1
	s_ashr_i32 s4, s4, 4
	v_cmp_gt_i32_e32 vcc_lo, s17, v1
	s_add_i32 s4, s4, -1
	v_lshrrev_b32_e32 v2, 28, v2
	buffer_gl0_inv
	s_mul_i32 s15, s15, s6
	v_add_nc_u32_e32 v4, v1, v2
	s_mul_i32 s20, s30, s7
	s_delay_alu instid0(SALU_CYCLE_1) | instskip(NEXT) | instid1(VALU_DEP_1)
	s_ashr_i32 s21, s20, 31
	v_ashrrev_i32_e32 v4, 4, v4
	v_add_nc_u32_e32 v2, v3, v2
	s_lshl_b64 s[20:21], s[20:21], 2
	s_delay_alu instid0(SALU_CYCLE_1) | instskip(NEXT) | instid1(VALU_DEP_2)
	s_add_u32 s13, s2, s20
	v_cndmask_b32_e32 v1, s4, v4, vcc_lo
	s_delay_alu instid0(VALU_DEP_2)
	v_ashrrev_i32_e32 v2, 4, v2
	v_cmp_gt_i32_e32 vcc_lo, s17, v3
	s_addc_u32 s16, s3, s21
	s_ashr_i32 s19, s15, 31
	s_add_u32 s26, s8, s15
	s_addc_u32 s27, s9, s19
	v_cndmask_b32_e32 v3, s4, v2, vcc_lo
	v_ashrrev_i32_e32 v2, 31, v1
	s_lshl_b32 s2, s14, 4
	s_delay_alu instid0(SALU_CYCLE_1) | instskip(NEXT) | instid1(VALU_DEP_2)
	s_ashr_i32 s3, s2, 31
	v_ashrrev_i32_e32 v4, 31, v3
	s_delay_alu instid0(VALU_DEP_2) | instskip(SKIP_1) | instid1(SALU_CYCLE_1)
	v_lshlrev_b64 v[1:2], 2, v[1:2]
	s_lshl_b64 s[2:3], s[2:3], 2
	s_add_u32 s2, s13, s2
	s_delay_alu instid0(VALU_DEP_2) | instskip(SKIP_1) | instid1(VALU_DEP_2)
	v_lshlrev_b64 v[3:4], 2, v[3:4]
	s_addc_u32 s3, s16, s3
	v_add_co_u32 v1, vcc_lo, s13, v1
	v_add_co_ci_u32_e32 v2, vcc_lo, s16, v2, vcc_lo
	s_delay_alu instid0(VALU_DEP_3) | instskip(NEXT) | instid1(VALU_DEP_4)
	v_add_co_u32 v3, vcc_lo, s13, v3
	v_add_co_ci_u32_e32 v4, vcc_lo, s16, v4, vcc_lo
	s_clause 0x1
	global_load_b32 v5, v[1:2], off
	global_load_b32 v3, v[3:4], off
	s_or_b32 s6, s12, 32
	v_cmp_gt_u32_e32 vcc_lo, 12, v65
	s_ashr_i32 s7, s6, 4
	s_cmp_lt_i32 s6, s17
	s_cselect_b32 s6, s7, s4
	s_delay_alu instid0(SALU_CYCLE_1) | instskip(NEXT) | instid1(SALU_CYCLE_1)
	s_ashr_i32 s7, s6, 31
	s_lshl_b64 s[6:7], s[6:7], 2
	s_delay_alu instid0(SALU_CYCLE_1) | instskip(SKIP_2) | instid1(SALU_CYCLE_1)
	s_add_u32 s6, s13, s6
	s_addc_u32 s7, s16, s7
	s_or_b32 s8, s12, 64
	s_ashr_i32 s9, s8, 4
	s_cmp_lt_i32 s8, s17
	s_cselect_b32 s8, s9, s4
	s_delay_alu instid0(SALU_CYCLE_1) | instskip(NEXT) | instid1(SALU_CYCLE_1)
	s_ashr_i32 s9, s8, 31
	s_lshl_b64 s[8:9], s[8:9], 2
	s_delay_alu instid0(SALU_CYCLE_1) | instskip(SKIP_2) | instid1(SALU_CYCLE_1)
	s_add_u32 s8, s13, s8
	s_addc_u32 s9, s16, s9
	s_or_b32 s20, s12, 0x60
	;; [unrolled: 10-line block ×4, first 2 shown]
	s_ashr_i32 s25, s24, 4
	s_cmp_lt_i32 s24, s17
	s_cselect_b32 s24, s25, s4
	s_delay_alu instid0(SALU_CYCLE_1) | instskip(NEXT) | instid1(SALU_CYCLE_1)
	s_ashr_i32 s25, s24, 31
	s_lshl_b64 s[24:25], s[24:25], 2
	s_delay_alu instid0(SALU_CYCLE_1)
	s_add_u32 s24, s13, s24
	s_addc_u32 s25, s16, s25
	s_clause 0x5
	s_load_b32 s28, s[2:3], 0x0
	s_load_b32 s31, s[6:7], 0x0
	;; [unrolled: 1-line block ×6, first 2 shown]
	s_mov_b32 s20, 0
	s_or_b32 s2, s12, 0xc0
	s_mov_b32 s21, s20
	s_mov_b32 s22, s20
	;; [unrolled: 1-line block ×5, first 2 shown]
	v_lshlrev_b32_e32 v1, 4, v0
	s_ashr_i32 s3, s2, 4
	s_cmp_lt_i32 s2, s17
	s_cselect_b32 s2, s3, s4
	s_delay_alu instid0(VALU_DEP_1) | instskip(SKIP_1) | instid1(SALU_CYCLE_1)
	v_and_b32_e32 v1, 0xf0, v1
	s_ashr_i32 s3, s2, 31
	s_lshl_b64 s[2:3], s[2:3], 2
	s_delay_alu instid0(VALU_DEP_1) | instskip(NEXT) | instid1(VALU_DEP_1)
	v_add_co_u32 v1, s26, s26, v1
	v_add_co_ci_u32_e64 v2, null, s27, 0, s26
	s_add_u32 s2, s13, s2
	s_addc_u32 s3, s16, s3
	s_or_b32 s6, s12, 0xe0
	s_mov_b32 s27, s20
	s_ashr_i32 s7, s6, 4
	s_cmp_lt_i32 s6, s17
	s_mov_b32 s26, s20
	v_dual_mov_b32 v107, s27 :: v_dual_mov_b32 v100, s20
	s_cselect_b32 s6, s7, s4
	v_mov_b32_e32 v106, s26
	s_ashr_i32 s7, s6, 31
	v_mov_b32_e32 v104, s24
	s_lshl_b64 s[6:7], s[6:7], 2
	v_dual_mov_b32 v103, s23 :: v_dual_mov_b32 v102, s22
	v_mov_b32_e32 v101, s21
	s_waitcnt vmcnt(1)
	v_mad_i64_i32 v[33:34], null, v5, s5, v[1:2]
	s_waitcnt vmcnt(0)
	v_mad_i64_i32 v[35:36], null, v3, s5, v[1:2]
	s_clause 0xf
	global_load_b128 v[1:4], v[33:34], off
	global_load_b128 v[5:8], v[33:34], off offset:256
	global_load_b128 v[9:12], v[35:36], off
	global_load_b128 v[13:16], v[35:36], off offset:256
	global_load_b128 v[17:20], v[33:34], off offset:512
	global_load_b128 v[21:24], v[33:34], off offset:768
	global_load_b128 v[25:28], v[35:36], off offset:512
	global_load_b128 v[29:32], v[35:36], off offset:768
	global_load_b128 v[57:60], v[33:34], off offset:1024
	global_load_b128 v[61:64], v[33:34], off offset:1280
	global_load_b128 v[76:79], v[35:36], off offset:1024
	global_load_b128 v[80:83], v[35:36], off offset:1280
	global_load_b128 v[84:87], v[33:34], off offset:1536
	global_load_b128 v[88:91], v[33:34], off offset:1792
	global_load_b128 v[92:95], v[35:36], off offset:1536
	global_load_b128 v[96:99], v[35:36], off offset:1792
	v_add_nc_u32_e32 v33, -12, v65
	v_lshlrev_b32_e32 v34, 4, v65
	s_delay_alu instid0(VALU_DEP_2) | instskip(SKIP_1) | instid1(VALU_DEP_3)
	v_cndmask_b32_e32 v33, v33, v65, vcc_lo
	v_mov_b32_e32 v105, s25
	v_lshl_or_b32 v41, v66, 8, v34
	s_delay_alu instid0(VALU_DEP_3)
	v_lshlrev_b32_e32 v72, 6, v33
	ds_load_b128 v[33:36], v72
	ds_load_b128 v[37:40], v72 offset:1024
	ds_load_b128 v[108:111], v72 offset:2048
	;; [unrolled: 1-line block ×3, first 2 shown]
	s_load_b32 s4, s[2:3], 0x0
	s_add_u32 s2, s13, s6
	s_addc_u32 s3, s16, s7
	ds_load_b128 v[116:119], v72 offset:4096
	ds_load_b128 v[120:123], v72 offset:5120
	s_load_b32 s2, s[2:3], 0x0
	s_add_u32 s6, s10, s15
	s_addc_u32 s7, s11, s19
	v_add_co_u32 v68, s6, s6, v41
	s_delay_alu instid0(VALU_DEP_1) | instskip(SKIP_1) | instid1(VALU_DEP_1)
	v_add_co_ci_u32_e64 v69, null, s7, 0, s6
	s_waitcnt lgkmcnt(0)
	v_mad_i64_i32 v[41:42], null, s28, s5, v[68:69]
	v_mad_i64_i32 v[70:71], null, s8, s5, v[68:69]
	;; [unrolled: 1-line block ×7, first 2 shown]
	s_clause 0x3
	global_load_b128 v[49:52], v[41:42], off
	global_load_b128 v[53:56], v[41:42], off offset:16
	global_load_b128 v[41:44], v[45:46], off
	global_load_b128 v[45:48], v[45:46], off offset:16
	s_waitcnt vmcnt(18)
	v_wmma_f32_16x16x16_bf16 v[124:131], v[1:8], v[33:40], v[100:107]
	s_waitcnt vmcnt(16)
	v_wmma_f32_16x16x16_bf16 v[100:107], v[9:16], v[33:40], v[100:107]
	s_clause 0x1
	global_load_b128 v[33:36], v[70:71], off
	global_load_b128 v[37:40], v[70:71], off offset:16
	v_mad_i64_i32 v[70:71], null, s2, s5, v[68:69]
	s_waitcnt vmcnt(16)
	v_wmma_f32_16x16x16_bf16 v[124:131], v[17:24], v[108:115], v[124:131]
	s_waitcnt vmcnt(14)
	v_wmma_f32_16x16x16_bf16 v[100:107], v[25:32], v[108:115], v[100:107]
	s_clause 0x7
	global_load_b128 v[25:28], v[132:133], off
	global_load_b128 v[29:32], v[132:133], off offset:16
	global_load_b128 v[1:4], v[134:135], off
	global_load_b128 v[5:8], v[134:135], off offset:16
	global_load_b128 v[9:12], v[136:137], off
	global_load_b128 v[13:16], v[136:137], off offset:16
	global_load_b128 v[17:20], v[138:139], off
	global_load_b128 v[21:24], v[138:139], off offset:16
	s_waitcnt vmcnt(20)
	v_wmma_f32_16x16x16_bf16 v[124:131], v[57:64], v[116:123], v[124:131]
	s_clause 0x1
	global_load_b128 v[57:60], v[70:71], off
	global_load_b128 v[61:64], v[70:71], off offset:16
	s_waitcnt vmcnt(20)
	v_wmma_f32_16x16x16_bf16 v[100:107], v[76:83], v[116:123], v[100:107]
	ds_load_b128 v[76:79], v72 offset:6144
	ds_load_b128 v[80:83], v72 offset:7168
	v_and_b32_e32 v68, 0xe0, v0
	v_mbcnt_lo_u32_b32 v69, -1, 0
	s_waitcnt vmcnt(0) lgkmcnt(0)
	s_barrier
	buffer_gl0_inv
	v_add_nc_u32_e32 v68, s12, v68
	v_xor_b32_e32 v70, 16, v69
	s_delay_alu instid0(VALU_DEP_2) | instskip(NEXT) | instid1(VALU_DEP_2)
	v_or_b32_e32 v68, v68, v74
	v_cmp_gt_i32_e32 vcc_lo, 32, v70
	s_delay_alu instid0(VALU_DEP_2)
	v_or_b32_e32 v71, 4, v68
	v_or_b32_e32 v72, 6, v68
	v_cmp_gt_i32_e64 s2, s17, v68
	v_or_b32_e32 v108, 8, v68
	v_wmma_f32_16x16x16_bf16 v[124:131], v[84:91], v[76:83], v[124:131]
	v_cndmask_b32_e32 v69, v69, v70, vcc_lo
	v_or_b32_e32 v70, 2, v68
	v_wmma_f32_16x16x16_bf16 v[100:107], v[92:99], v[76:83], v[100:107]
	v_or_b32_e32 v109, 10, v68
	v_dual_mul_f32 v82, s18, v127 :: v_dual_mul_f32 v79, s18, v130
	v_dual_mul_f32 v92, s18, v125 :: v_dual_mul_f32 v93, s18, v124
	s_delay_alu instid0(VALU_DEP_4)
	v_mul_f32_e32 v98, s18, v103
	v_cmp_gt_i32_e32 vcc_lo, s17, v70
	v_or_b32_e32 v89, 22, v68
	v_dual_mul_f32 v83, s18, v126 :: v_dual_mul_f32 v96, s18, v105
	v_cndmask_b32_e64 v93, 0xff7fffff, v93, s2
	v_cndmask_b32_e32 v92, 0xff7fffff, v92, vcc_lo
	v_cmp_gt_i32_e64 s3, s17, v71
	v_cmp_gt_i32_e64 s4, s17, v72
	v_or_b32_e32 v84, 12, v68
	v_or_b32_e32 v85, 14, v68
	v_dual_mul_f32 v80, s18, v129 :: v_dual_mul_f32 v81, s18, v128
	v_mul_f32_e32 v94, s18, v107
	v_cndmask_b32_e64 v71, 0xff7fffff, v83, s3
	v_cndmask_b32_e64 v72, 0xff7fffff, v82, s4
	v_cmp_gt_i32_e64 s5, s17, v108
	v_cmp_gt_i32_e64 s6, s17, v109
	;; [unrolled: 1-line block ×3, first 2 shown]
	v_lshlrev_b32_e32 v89, 2, v69
	v_max3_f32 v82, v93, 0xff7fffff, v92
	v_or_b32_e32 v86, 16, v68
	v_or_b32_e32 v87, 18, v68
	v_mul_f32_e32 v78, s18, v131
	v_cndmask_b32_e64 v81, 0xff7fffff, v81, s5
	v_cndmask_b32_e64 v80, 0xff7fffff, v80, s6
	v_max3_f32 v71, v82, v71, v72
	v_cmp_gt_i32_e64 s7, s17, v84
	v_cmp_gt_i32_e64 s8, s17, v85
	v_or_b32_e32 v88, 20, v68
	v_or_b32_e32 v90, 24, v68
	;; [unrolled: 1-line block ×5, first 2 shown]
	v_dual_mul_f32 v95, s18, v106 :: v_dual_mul_f32 v70, s18, v101
	v_dual_mul_f32 v99, s18, v102 :: v_dual_mul_f32 v68, s18, v100
	v_cndmask_b32_e64 v72, 0xff7fffff, v79, s7
	v_cndmask_b32_e64 v78, 0xff7fffff, v78, s8
	v_max3_f32 v71, v71, v81, v80
	v_cmp_gt_i32_e64 s9, s17, v86
	v_cmp_gt_i32_e64 s10, s17, v87
	;; [unrolled: 1-line block ×3, first 2 shown]
	v_mul_f32_e32 v97, s18, v104
	v_max3_f32 v71, v71, v72, v78
	v_cndmask_b32_e64 v68, 0xff7fffff, v68, s9
	v_cndmask_b32_e64 v70, 0xff7fffff, v70, s10
	;; [unrolled: 1-line block ×4, first 2 shown]
	v_cmp_gt_i32_e64 s13, s17, v90
	v_cmp_gt_i32_e64 s15, s17, v91
	v_max3_f32 v68, v71, v68, v70
	v_cmp_gt_i32_e64 s16, s17, v76
	v_cmp_gt_i32_e64 s17, s17, v77
	v_cndmask_b32_e64 v70, 0xff7fffff, v97, s13
	v_cndmask_b32_e64 v71, 0xff7fffff, v96, s15
	v_max3_f32 v68, v68, v72, v78
	v_cndmask_b32_e64 v72, 0xff7fffff, v95, s16
	v_cndmask_b32_e64 v76, 0xff7fffff, v94, s17
	s_delay_alu instid0(VALU_DEP_3) | instskip(NEXT) | instid1(VALU_DEP_1)
	v_max3_f32 v68, v68, v70, v71
	v_max3_f32 v68, v68, v72, v76
	ds_bpermute_b32 v69, v89, v68
	s_waitcnt lgkmcnt(0)
	v_max_f32_e32 v69, v69, v69
	s_delay_alu instid0(VALU_DEP_1) | instskip(NEXT) | instid1(VALU_DEP_1)
	v_max_f32_e32 v68, v68, v69
	v_fma_f32 v69, s18, v124, -v68
	v_fma_f32 v70, s18, v125, -v68
	v_fma_f32 v72, s18, v127, -v68
	v_fma_f32 v71, s18, v126, -v68
	v_fma_f32 v76, s18, v128, -v68
	s_delay_alu instid0(VALU_DEP_4) | instskip(NEXT) | instid1(VALU_DEP_4)
	v_dual_mul_f32 v69, 0x3fb8aa3b, v69 :: v_dual_mul_f32 v70, 0x3fb8aa3b, v70
	v_mul_f32_e32 v72, 0x3fb8aa3b, v72
	v_fma_f32 v78, s18, v130, -v68
	s_delay_alu instid0(VALU_DEP_4) | instskip(NEXT) | instid1(VALU_DEP_4)
	v_mul_f32_e32 v77, 0x3fb8aa3b, v76
	v_exp_f32_e32 v69, v69
	v_exp_f32_e32 v70, v70
	v_mul_f32_e32 v71, 0x3fb8aa3b, v71
	v_exp_f32_e32 v72, v72
	v_mul_f32_e32 v78, 0x3fb8aa3b, v78
	v_exp_f32_e32 v77, v77
	v_fma_f32 v81, s18, v105, -v68
	s_delay_alu instid0(VALU_DEP_2)
	v_exp_f32_e32 v78, v78
	v_cndmask_b32_e64 v80, 0, v69, s2
	v_cndmask_b32_e32 v76, 0, v70, vcc_lo
	v_exp_f32_e32 v71, v71
	v_fma_f32 v69, s18, v129, -v68
	v_cndmask_b32_e64 v85, 0, v72, s4
	v_add_f32_e32 v70, 0, v80
	s_delay_alu instid0(TRANS32_DEP_3)
	v_cndmask_b32_e64 v86, 0, v77, s5
	v_fma_f32 v77, s18, v101, -v68
	v_mul_f32_e32 v69, 0x3fb8aa3b, v69
	v_fma_f32 v72, s18, v100, -v68
	v_cndmask_b32_e64 v84, 0, v78, s7
	v_fma_f32 v78, s18, v103, -v68
	v_cndmask_b32_e64 v83, 0, v71, s3
	v_fma_f32 v71, s18, v131, -v68
	v_add_f32_e32 v70, v70, v76
	v_exp_f32_e32 v69, v69
	v_mul_f32_e32 v77, 0x3fb8aa3b, v77
	v_mul_f32_e32 v81, 0x3fb8aa3b, v81
	;; [unrolled: 1-line block ×3, first 2 shown]
	v_add_f32_e32 v70, v70, v83
	s_mov_b32 s2, exec_lo
	v_exp_f32_e32 v77, v77
	v_exp_f32_e32 v81, v81
	;; [unrolled: 1-line block ×3, first 2 shown]
	v_cndmask_b32_e64 v87, 0, v69, s6
	v_add_f32_e32 v70, v70, v85
	s_delay_alu instid0(VALU_DEP_1) | instskip(SKIP_1) | instid1(VALU_DEP_2)
	v_dual_mul_f32 v72, 0x3fb8aa3b, v72 :: v_dual_add_f32 v69, v70, v86
	v_fma_f32 v70, s18, v102, -v68
	v_exp_f32_e32 v72, v72
	s_waitcnt_depctr 0xfff
	v_cndmask_b32_e64 v88, 0, v71, s8
	v_fma_f32 v71, s18, v104, -v68
	v_dual_add_f32 v69, v69, v87 :: v_dual_mul_f32 v70, 0x3fb8aa3b, v70
	s_delay_alu instid0(VALU_DEP_2) | instskip(NEXT) | instid1(VALU_DEP_2)
	v_dual_mul_f32 v78, 0x3fb8aa3b, v78 :: v_dual_mul_f32 v71, 0x3fb8aa3b, v71
	v_add_f32_e32 v69, v69, v84
	s_delay_alu instid0(VALU_DEP_3) | instskip(SKIP_1) | instid1(VALU_DEP_3)
	v_exp_f32_e32 v79, v70
	v_cndmask_b32_e64 v70, 0, v72, s9
	v_exp_f32_e32 v78, v78
	v_exp_f32_e32 v82, v71
	v_add_f32_e32 v72, v69, v88
	v_cndmask_b32_e64 v69, 0, v77, s10
	v_fma_f32 v77, s18, v106, -v68
	s_delay_alu instid0(VALU_DEP_3) | instskip(NEXT) | instid1(TRANS32_DEP_3)
	v_add_f32_e32 v72, v72, v70
	v_cndmask_b32_e64 v71, 0, v79, s11
	s_delay_alu instid0(VALU_DEP_3) | instskip(NEXT) | instid1(VALU_DEP_3)
	v_mul_f32_e32 v77, 0x3fb8aa3b, v77
	v_add_f32_e32 v79, v72, v69
	s_delay_alu instid0(TRANS32_DEP_2) | instskip(NEXT) | instid1(VALU_DEP_3)
	v_cndmask_b32_e64 v72, 0, v78, s12
	v_exp_f32_e32 v90, v77
	v_cndmask_b32_e64 v77, 0, v82, s13
	s_delay_alu instid0(VALU_DEP_3) | instskip(SKIP_1) | instid1(VALU_DEP_1)
	v_add_f32_e32 v78, v79, v71
	v_fma_f32 v79, s18, v107, -v68
	v_dual_add_f32 v82, v78, v72 :: v_dual_mul_f32 v79, 0x3fb8aa3b, v79
	v_cndmask_b32_e64 v78, 0, v81, s15
	s_delay_alu instid0(VALU_DEP_2) | instskip(NEXT) | instid1(VALU_DEP_3)
	v_add_f32_e32 v81, v82, v77
	v_exp_f32_e32 v82, v79
	s_delay_alu instid0(TRANS32_DEP_2) | instskip(NEXT) | instid1(VALU_DEP_2)
	v_cndmask_b32_e64 v79, 0, v90, s16
	v_add_f32_e32 v81, v81, v78
	s_delay_alu instid0(VALU_DEP_1) | instskip(SKIP_2) | instid1(VALU_DEP_1)
	v_add_f32_e32 v90, v81, v79
	s_waitcnt_depctr 0xfff
	v_cndmask_b32_e64 v81, 0, v82, s17
	v_add_f32_e32 v82, v90, v81
	ds_bpermute_b32 v89, v89, v82
	v_cmpx_gt_u32_e32 16, v67
	s_cbranch_execz .LBB1517_12
; %bb.11:
	v_mul_u32_u24_e32 v67, 0x44, v66
	s_delay_alu instid0(VALU_DEP_1) | instskip(SKIP_1) | instid1(VALU_DEP_1)
	v_lshl_add_u32 v67, v65, 2, v67
	s_waitcnt lgkmcnt(0)
	v_dual_add_f32 v82, v82, v89 :: v_dual_add_nc_u32 v67, 0x4000, v67
	ds_store_2addr_b32 v67, v68, v82 offset1:136
.LBB1517_12:
	s_or_b32 exec_lo, exec_lo, s2
	v_lshlrev_b32_e32 v67, 2, v65
	s_waitcnt lgkmcnt(0)
	s_barrier
	buffer_gl0_inv
	v_cmp_eq_u32_e32 vcc_lo, 1, v66
	v_add_nc_u32_e32 v82, 0x4000, v67
	v_cmp_eq_u32_e64 s2, 2, v66
	v_cmp_eq_u32_e64 s4, 7, v66
	ds_load_2addr_b32 v[89:90], v82 offset1:17
	ds_load_2addr_b32 v[91:92], v82 offset0:34 offset1:51
	ds_load_2addr_b32 v[93:94], v82 offset0:68 offset1:85
	;; [unrolled: 1-line block ×4, first 2 shown]
	s_waitcnt lgkmcnt(4)
	v_max3_f32 v67, v89, 0xff7fffff, v90
	s_waitcnt lgkmcnt(3)
	s_delay_alu instid0(VALU_DEP_1) | instskip(SKIP_1) | instid1(VALU_DEP_1)
	v_max3_f32 v67, v67, v91, v92
	s_waitcnt lgkmcnt(2)
	v_max3_f32 v67, v67, v93, v94
	s_waitcnt lgkmcnt(1)
	s_delay_alu instid0(VALU_DEP_1) | instskip(NEXT) | instid1(VALU_DEP_1)
	v_max3_f32 v67, v67, v95, v96
	v_sub_f32_e32 v93, v93, v67
	s_delay_alu instid0(VALU_DEP_1) | instskip(NEXT) | instid1(VALU_DEP_1)
	v_dual_sub_f32 v68, v89, v67 :: v_dual_mul_f32 v103, 0x3fb8aa3b, v93
	v_mul_f32_e32 v68, 0x3fb8aa3b, v68
	s_delay_alu instid0(VALU_DEP_1)
	v_exp_f32_e32 v100, v68
	v_sub_f32_e32 v68, v92, v67
	v_sub_f32_e32 v99, v90, v67
	ds_load_2addr_b32 v[89:90], v82 offset0:170 offset1:187
	v_dual_mul_f32 v102, 0x3fb8aa3b, v68 :: v_dual_mul_f32 v99, 0x3fb8aa3b, v99
	s_waitcnt lgkmcnt(1)
	v_fma_f32 v68, v100, v97, 0
	s_delay_alu instid0(VALU_DEP_2) | instskip(NEXT) | instid1(VALU_DEP_2)
	v_exp_f32_e32 v102, v102
	v_exp_f32_e32 v99, v99
	s_waitcnt_depctr 0xfff
	v_fmac_f32_e32 v68, v99, v98
	v_sub_f32_e32 v91, v91, v67
	s_delay_alu instid0(VALU_DEP_1)
	v_mul_f32_e32 v101, 0x3fb8aa3b, v91
	ds_load_2addr_b32 v[91:92], v82 offset0:204 offset1:221
	v_sub_f32_e32 v97, v94, v67
	ds_load_2addr_b32 v[93:94], v82 offset0:238 offset1:255
	s_waitcnt lgkmcnt(0)
	v_exp_f32_e32 v101, v101
	s_barrier
	buffer_gl0_inv
	v_dual_fmac_f32 v68, v101, v89 :: v_dual_sub_f32 v89, v96, v67
	v_dual_sub_f32 v82, v95, v67 :: v_dual_mul_f32 v95, 0x3fb8aa3b, v97
	v_exp_f32_e32 v97, v103
	s_delay_alu instid0(VALU_DEP_2) | instskip(NEXT) | instid1(VALU_DEP_2)
	v_dual_fmac_f32 v68, v102, v90 :: v_dual_mul_f32 v89, 0x3fb8aa3b, v89
	v_mul_f32_e32 v82, 0x3fb8aa3b, v82
	s_delay_alu instid0(VALU_DEP_3) | instskip(NEXT) | instid1(VALU_DEP_2)
	v_exp_f32_e32 v95, v95
	v_exp_f32_e32 v89, v89
	s_delay_alu instid0(VALU_DEP_1)
	v_exp_f32_e32 v82, v82
	v_fmac_f32_e32 v68, v97, v91
	s_delay_alu instid0(TRANS32_DEP_3) | instid1(VALU_DEP_1)
	v_fmac_f32_e32 v68, v95, v92
	s_waitcnt_depctr 0xfff
	v_fmac_f32_e32 v68, v82, v93
	s_delay_alu instid0(VALU_DEP_1) | instskip(NEXT) | instid1(VALU_DEP_1)
	v_fmac_f32_e32 v68, v89, v94
	v_add_f32_e32 v90, 0x358637bd, v68
	s_delay_alu instid0(VALU_DEP_1) | instskip(NEXT) | instid1(VALU_DEP_1)
	v_div_scale_f32 v91, null, v90, v90, 1.0
	v_rcp_f32_e32 v92, v91
	s_waitcnt_depctr 0xfff
	v_fma_f32 v93, -v91, v92, 1.0
	s_delay_alu instid0(VALU_DEP_1) | instskip(SKIP_1) | instid1(VALU_DEP_2)
	v_dual_fmac_f32 v92, v93, v92 :: v_dual_cndmask_b32 v93, v100, v99
	v_cmp_eq_u32_e32 vcc_lo, 3, v66
	v_cndmask_b32_e64 v93, v93, v101, s2
	v_cmp_eq_u32_e64 s2, 4, v66
	s_delay_alu instid0(VALU_DEP_2) | instskip(SKIP_1) | instid1(VALU_DEP_2)
	v_cndmask_b32_e32 v93, v93, v102, vcc_lo
	v_cmp_eq_u32_e32 vcc_lo, 5, v66
	v_cndmask_b32_e64 v93, v93, v97, s2
	v_cmp_eq_u32_e64 s2, 6, v66
	s_delay_alu instid0(VALU_DEP_2) | instskip(SKIP_1) | instid1(VALU_DEP_1)
	v_cndmask_b32_e32 v93, v93, v95, vcc_lo
	v_div_scale_f32 v94, s3, 1.0, v90, 1.0
	s_mov_b32 vcc_lo, s3
	s_delay_alu instid0(VALU_DEP_2) | instskip(NEXT) | instid1(VALU_DEP_2)
	v_cndmask_b32_e64 v82, v93, v82, s2
	v_mul_f32_e32 v96, v94, v92
	s_mov_b32 s2, exec_lo
	s_delay_alu instid0(VALU_DEP_2) | instskip(NEXT) | instid1(VALU_DEP_2)
	v_cndmask_b32_e64 v82, v82, v89, s4
	v_fma_f32 v98, -v91, v96, v94
	s_delay_alu instid0(VALU_DEP_1) | instskip(NEXT) | instid1(VALU_DEP_1)
	v_fmac_f32_e32 v96, v98, v92
	v_fma_f32 v91, -v91, v96, v94
	s_delay_alu instid0(VALU_DEP_1) | instskip(NEXT) | instid1(VALU_DEP_1)
	v_div_fmas_f32 v91, v91, v92, v96
	v_div_fixup_f32 v90, v91, v90, 1.0
	s_delay_alu instid0(VALU_DEP_1) | instskip(NEXT) | instid1(VALU_DEP_1)
	v_mul_f32_e32 v82, v82, v90
	v_mul_f32_e32 v87, v82, v87
	;; [unrolled: 1-line block ×7, first 2 shown]
	v_dual_mul_f32 v86, v82, v83 :: v_dual_and_b32 v91, 0x7f800000, v90
	v_mul_f32_e32 v85, v82, v76
                                        ; implicit-def: $vgpr76
	s_delay_alu instid0(VALU_DEP_2)
	v_cmpx_ne_u32_e32 0x7f800000, v91
	s_xor_b32 s2, exec_lo, s2
; %bb.13:
	v_bfe_u32 v76, v90, 16, 1
	s_delay_alu instid0(VALU_DEP_1)
	v_add3_u32 v76, v90, v76, 0x7fff
                                        ; implicit-def: $vgpr90
; %bb.14:
	s_and_not1_saveexec_b32 s2, s2
; %bb.15:
	v_and_b32_e32 v76, 0xffff, v90
	v_or_b32_e32 v83, 0x10000, v90
	s_delay_alu instid0(VALU_DEP_2) | instskip(NEXT) | instid1(VALU_DEP_2)
	v_cmp_eq_u32_e32 vcc_lo, 0, v76
	v_cndmask_b32_e32 v76, v83, v90, vcc_lo
; %bb.16:
	s_or_b32 exec_lo, exec_lo, s2
	v_and_b32_e32 v83, 0x7f800000, v85
	s_delay_alu instid0(VALU_DEP_1) | instskip(SKIP_1) | instid1(SALU_CYCLE_1)
	v_cmp_ne_u32_e32 vcc_lo, 0x7f800000, v83
                                        ; implicit-def: $vgpr83
	s_and_saveexec_b32 s2, vcc_lo
	s_xor_b32 s2, exec_lo, s2
; %bb.17:
	v_bfe_u32 v83, v85, 16, 1
	s_delay_alu instid0(VALU_DEP_1)
	v_add3_u32 v83, v85, v83, 0x7fff
                                        ; implicit-def: $vgpr85
; %bb.18:
	s_and_not1_saveexec_b32 s2, s2
; %bb.19:
	v_and_b32_e32 v83, 0xffff, v85
	v_or_b32_e32 v90, 0x10000, v85
	s_delay_alu instid0(VALU_DEP_2) | instskip(NEXT) | instid1(VALU_DEP_2)
	v_cmp_eq_u32_e32 vcc_lo, 0, v83
	v_cndmask_b32_e32 v83, v90, v85, vcc_lo
; %bb.20:
	s_or_b32 exec_lo, exec_lo, s2
	v_and_b32_e32 v85, 0x7f800000, v86
	s_delay_alu instid0(VALU_DEP_1) | instskip(SKIP_1) | instid1(SALU_CYCLE_1)
	v_cmp_ne_u32_e32 vcc_lo, 0x7f800000, v85
                                        ; implicit-def: $vgpr85
	s_and_saveexec_b32 s2, vcc_lo
	s_xor_b32 s2, exec_lo, s2
; %bb.21:
	v_bfe_u32 v85, v86, 16, 1
	s_delay_alu instid0(VALU_DEP_1)
	v_add3_u32 v85, v86, v85, 0x7fff
                                        ; implicit-def: $vgpr86
; %bb.22:
	s_and_not1_saveexec_b32 s2, s2
; %bb.23:
	v_and_b32_e32 v85, 0xffff, v86
	v_or_b32_e32 v90, 0x10000, v86
	s_delay_alu instid0(VALU_DEP_2) | instskip(NEXT) | instid1(VALU_DEP_2)
	v_cmp_eq_u32_e32 vcc_lo, 0, v85
	v_cndmask_b32_e32 v85, v90, v86, vcc_lo
; %bb.24:
	s_or_b32 exec_lo, exec_lo, s2
	v_and_b32_e32 v86, 0x7f800000, v89
	s_delay_alu instid0(VALU_DEP_1) | instskip(SKIP_1) | instid1(SALU_CYCLE_1)
	v_cmp_ne_u32_e32 vcc_lo, 0x7f800000, v86
                                        ; implicit-def: $vgpr86
	s_and_saveexec_b32 s2, vcc_lo
	s_xor_b32 s2, exec_lo, s2
; %bb.25:
	v_bfe_u32 v86, v89, 16, 1
	s_delay_alu instid0(VALU_DEP_1)
	v_add3_u32 v86, v89, v86, 0x7fff
                                        ; implicit-def: $vgpr89
; %bb.26:
	s_and_not1_saveexec_b32 s2, s2
; %bb.27:
	v_and_b32_e32 v86, 0xffff, v89
	v_or_b32_e32 v90, 0x10000, v89
	s_delay_alu instid0(VALU_DEP_2) | instskip(NEXT) | instid1(VALU_DEP_2)
	v_cmp_eq_u32_e32 vcc_lo, 0, v86
	v_cndmask_b32_e32 v86, v90, v89, vcc_lo
; %bb.28:
	s_or_b32 exec_lo, exec_lo, s2
	v_and_b32_e32 v89, 0x7f800000, v88
	s_delay_alu instid0(VALU_DEP_1) | instskip(SKIP_1) | instid1(SALU_CYCLE_1)
	v_cmp_ne_u32_e32 vcc_lo, 0x7f800000, v89
                                        ; implicit-def: $vgpr89
	s_and_saveexec_b32 s2, vcc_lo
	s_xor_b32 s2, exec_lo, s2
; %bb.29:
	v_bfe_u32 v89, v88, 16, 1
	s_delay_alu instid0(VALU_DEP_1)
	v_add3_u32 v89, v88, v89, 0x7fff
                                        ; implicit-def: $vgpr88
; %bb.30:
	s_and_not1_saveexec_b32 s2, s2
; %bb.31:
	v_and_b32_e32 v89, 0xffff, v88
	v_or_b32_e32 v90, 0x10000, v88
	s_delay_alu instid0(VALU_DEP_2) | instskip(NEXT) | instid1(VALU_DEP_2)
	v_cmp_eq_u32_e32 vcc_lo, 0, v89
	v_cndmask_b32_e32 v89, v90, v88, vcc_lo
; %bb.32:
	s_or_b32 exec_lo, exec_lo, s2
	v_and_b32_e32 v88, 0x7f800000, v87
	s_delay_alu instid0(VALU_DEP_1) | instskip(SKIP_1) | instid1(SALU_CYCLE_1)
	v_cmp_ne_u32_e32 vcc_lo, 0x7f800000, v88
                                        ; implicit-def: $vgpr88
	s_and_saveexec_b32 s2, vcc_lo
	s_xor_b32 s2, exec_lo, s2
; %bb.33:
	v_bfe_u32 v88, v87, 16, 1
	s_delay_alu instid0(VALU_DEP_1)
	v_add3_u32 v88, v87, v88, 0x7fff
                                        ; implicit-def: $vgpr87
; %bb.34:
	s_and_not1_saveexec_b32 s2, s2
; %bb.35:
	v_and_b32_e32 v88, 0xffff, v87
	v_or_b32_e32 v90, 0x10000, v87
	s_delay_alu instid0(VALU_DEP_2) | instskip(NEXT) | instid1(VALU_DEP_2)
	v_cmp_eq_u32_e32 vcc_lo, 0, v88
	v_cndmask_b32_e32 v88, v90, v87, vcc_lo
; %bb.36:
	s_or_b32 exec_lo, exec_lo, s2
	v_and_b32_e32 v87, 0x7f800000, v84
	s_delay_alu instid0(VALU_DEP_1) | instskip(SKIP_1) | instid1(SALU_CYCLE_1)
	v_cmp_ne_u32_e32 vcc_lo, 0x7f800000, v87
                                        ; implicit-def: $vgpr87
	s_and_saveexec_b32 s2, vcc_lo
	s_xor_b32 s2, exec_lo, s2
; %bb.37:
	v_bfe_u32 v87, v84, 16, 1
	s_delay_alu instid0(VALU_DEP_1)
	v_add3_u32 v87, v84, v87, 0x7fff
                                        ; implicit-def: $vgpr84
; %bb.38:
	s_and_not1_saveexec_b32 s2, s2
; %bb.39:
	v_and_b32_e32 v87, 0xffff, v84
	v_or_b32_e32 v90, 0x10000, v84
	s_delay_alu instid0(VALU_DEP_2) | instskip(NEXT) | instid1(VALU_DEP_2)
	v_cmp_eq_u32_e32 vcc_lo, 0, v87
	v_cndmask_b32_e32 v87, v90, v84, vcc_lo
; %bb.40:
	s_or_b32 exec_lo, exec_lo, s2
	v_and_b32_e32 v84, 0x7f800000, v80
	s_delay_alu instid0(VALU_DEP_1) | instskip(SKIP_1) | instid1(SALU_CYCLE_1)
	v_cmp_ne_u32_e32 vcc_lo, 0x7f800000, v84
                                        ; implicit-def: $vgpr84
	s_and_saveexec_b32 s2, vcc_lo
	s_xor_b32 s2, exec_lo, s2
; %bb.41:
	v_bfe_u32 v84, v80, 16, 1
	s_delay_alu instid0(VALU_DEP_1)
	v_add3_u32 v84, v80, v84, 0x7fff
                                        ; implicit-def: $vgpr80
; %bb.42:
	s_and_not1_saveexec_b32 s2, s2
; %bb.43:
	v_and_b32_e32 v84, 0xffff, v80
	v_or_b32_e32 v90, 0x10000, v80
	s_delay_alu instid0(VALU_DEP_2) | instskip(NEXT) | instid1(VALU_DEP_2)
	v_cmp_eq_u32_e32 vcc_lo, 0, v84
	v_cndmask_b32_e32 v84, v90, v80, vcc_lo
; %bb.44:
	s_or_b32 exec_lo, exec_lo, s2
	s_load_b64 s[34:35], s[0:1], 0x94
	v_lshlrev_b32_e32 v91, 4, v74
	s_delay_alu instid0(VALU_DEP_2)
	v_perm_b32 v90, v84, v87, 0x7060302
	v_dual_mul_f32 v79, v82, v79 :: v_dual_lshlrev_b32 v80, 6, v65
	v_dual_mul_f32 v77, v82, v77 :: v_dual_lshlrev_b32 v92, 11, v66
	v_mul_f32_e32 v84, v82, v70
	v_perm_b32 v89, v88, v89, 0x7060302
	v_perm_b32 v88, v86, v85, 0x7060302
	;; [unrolled: 1-line block ×3, first 2 shown]
	v_mul_f32_e32 v70, v82, v81
	v_or3_b32 v76, v91, v92, v80
	v_dual_mul_f32 v78, v82, v78 :: v_dual_and_b32 v85, 0x7f800000, v84
	v_mul_f32_e32 v83, v82, v72
	v_mul_f32_e32 v81, v82, v71
	;; [unrolled: 1-line block ×3, first 2 shown]
	s_mov_b32 s2, exec_lo
	ds_store_b128 v76, v[87:90]
                                        ; implicit-def: $vgpr69
	v_cmpx_ne_u32_e32 0x7f800000, v85
	s_xor_b32 s2, exec_lo, s2
; %bb.45:
	v_bfe_u32 v69, v84, 16, 1
	s_delay_alu instid0(VALU_DEP_1)
	v_add3_u32 v69, v84, v69, 0x7fff
                                        ; implicit-def: $vgpr84
; %bb.46:
	s_and_not1_saveexec_b32 s2, s2
; %bb.47:
	v_and_b32_e32 v69, 0xffff, v84
	v_or_b32_e32 v71, 0x10000, v84
	s_delay_alu instid0(VALU_DEP_2) | instskip(NEXT) | instid1(VALU_DEP_2)
	v_cmp_eq_u32_e32 vcc_lo, 0, v69
	v_cndmask_b32_e32 v69, v71, v84, vcc_lo
; %bb.48:
	s_or_b32 exec_lo, exec_lo, s2
	v_and_b32_e32 v71, 0x7f800000, v72
	s_delay_alu instid0(VALU_DEP_1) | instskip(SKIP_1) | instid1(SALU_CYCLE_1)
	v_cmp_ne_u32_e32 vcc_lo, 0x7f800000, v71
                                        ; implicit-def: $vgpr71
	s_and_saveexec_b32 s2, vcc_lo
	s_xor_b32 s2, exec_lo, s2
; %bb.49:
	v_bfe_u32 v71, v72, 16, 1
	s_delay_alu instid0(VALU_DEP_1)
	v_add3_u32 v71, v72, v71, 0x7fff
                                        ; implicit-def: $vgpr72
; %bb.50:
	s_and_not1_saveexec_b32 s2, s2
; %bb.51:
	v_and_b32_e32 v71, 0xffff, v72
	v_or_b32_e32 v82, 0x10000, v72
	s_delay_alu instid0(VALU_DEP_2) | instskip(NEXT) | instid1(VALU_DEP_2)
	v_cmp_eq_u32_e32 vcc_lo, 0, v71
	v_cndmask_b32_e32 v71, v82, v72, vcc_lo
; %bb.52:
	s_or_b32 exec_lo, exec_lo, s2
	v_and_b32_e32 v72, 0x7f800000, v81
	s_delay_alu instid0(VALU_DEP_1) | instskip(SKIP_1) | instid1(SALU_CYCLE_1)
	v_cmp_ne_u32_e32 vcc_lo, 0x7f800000, v72
                                        ; implicit-def: $vgpr72
	s_and_saveexec_b32 s2, vcc_lo
	s_xor_b32 s2, exec_lo, s2
; %bb.53:
	v_bfe_u32 v72, v81, 16, 1
	s_delay_alu instid0(VALU_DEP_1)
	v_add3_u32 v72, v81, v72, 0x7fff
                                        ; implicit-def: $vgpr81
; %bb.54:
	s_and_not1_saveexec_b32 s2, s2
; %bb.55:
	v_and_b32_e32 v72, 0xffff, v81
	v_or_b32_e32 v82, 0x10000, v81
	s_delay_alu instid0(VALU_DEP_2) | instskip(NEXT) | instid1(VALU_DEP_2)
	v_cmp_eq_u32_e32 vcc_lo, 0, v72
	v_cndmask_b32_e32 v72, v82, v81, vcc_lo
; %bb.56:
	s_or_b32 exec_lo, exec_lo, s2
	v_and_b32_e32 v81, 0x7f800000, v83
	s_delay_alu instid0(VALU_DEP_1) | instskip(SKIP_1) | instid1(SALU_CYCLE_1)
	v_cmp_ne_u32_e32 vcc_lo, 0x7f800000, v81
                                        ; implicit-def: $vgpr81
	s_and_saveexec_b32 s2, vcc_lo
	s_xor_b32 s2, exec_lo, s2
; %bb.57:
	v_bfe_u32 v81, v83, 16, 1
	s_delay_alu instid0(VALU_DEP_1)
	v_add3_u32 v81, v83, v81, 0x7fff
                                        ; implicit-def: $vgpr83
; %bb.58:
	s_and_not1_saveexec_b32 s2, s2
; %bb.59:
	v_and_b32_e32 v81, 0xffff, v83
	v_or_b32_e32 v82, 0x10000, v83
	s_delay_alu instid0(VALU_DEP_2) | instskip(NEXT) | instid1(VALU_DEP_2)
	v_cmp_eq_u32_e32 vcc_lo, 0, v81
	v_cndmask_b32_e32 v81, v82, v83, vcc_lo
; %bb.60:
	s_or_b32 exec_lo, exec_lo, s2
	v_and_b32_e32 v82, 0x7f800000, v77
	s_delay_alu instid0(VALU_DEP_1) | instskip(SKIP_1) | instid1(SALU_CYCLE_1)
	v_cmp_ne_u32_e32 vcc_lo, 0x7f800000, v82
                                        ; implicit-def: $vgpr82
	s_and_saveexec_b32 s2, vcc_lo
	s_xor_b32 s2, exec_lo, s2
; %bb.61:
	v_bfe_u32 v82, v77, 16, 1
	s_delay_alu instid0(VALU_DEP_1)
	v_add3_u32 v82, v77, v82, 0x7fff
                                        ; implicit-def: $vgpr77
; %bb.62:
	s_and_not1_saveexec_b32 s2, s2
; %bb.63:
	v_and_b32_e32 v82, 0xffff, v77
	v_or_b32_e32 v83, 0x10000, v77
	s_delay_alu instid0(VALU_DEP_2) | instskip(NEXT) | instid1(VALU_DEP_2)
	v_cmp_eq_u32_e32 vcc_lo, 0, v82
	v_cndmask_b32_e32 v82, v83, v77, vcc_lo
; %bb.64:
	s_or_b32 exec_lo, exec_lo, s2
	v_and_b32_e32 v77, 0x7f800000, v78
	s_delay_alu instid0(VALU_DEP_1) | instskip(SKIP_1) | instid1(SALU_CYCLE_1)
	v_cmp_ne_u32_e32 vcc_lo, 0x7f800000, v77
                                        ; implicit-def: $vgpr77
	s_and_saveexec_b32 s2, vcc_lo
	s_xor_b32 s2, exec_lo, s2
; %bb.65:
	v_bfe_u32 v77, v78, 16, 1
	s_delay_alu instid0(VALU_DEP_1)
	v_add3_u32 v77, v78, v77, 0x7fff
                                        ; implicit-def: $vgpr78
; %bb.66:
	s_and_not1_saveexec_b32 s2, s2
; %bb.67:
	v_and_b32_e32 v77, 0xffff, v78
	v_or_b32_e32 v83, 0x10000, v78
	s_delay_alu instid0(VALU_DEP_2) | instskip(NEXT) | instid1(VALU_DEP_2)
	v_cmp_eq_u32_e32 vcc_lo, 0, v77
	v_cndmask_b32_e32 v77, v83, v78, vcc_lo
; %bb.68:
	s_or_b32 exec_lo, exec_lo, s2
	v_and_b32_e32 v78, 0x7f800000, v79
	s_delay_alu instid0(VALU_DEP_1) | instskip(SKIP_1) | instid1(SALU_CYCLE_1)
	v_cmp_ne_u32_e32 vcc_lo, 0x7f800000, v78
                                        ; implicit-def: $vgpr78
	s_and_saveexec_b32 s2, vcc_lo
	s_xor_b32 s2, exec_lo, s2
; %bb.69:
	v_bfe_u32 v78, v79, 16, 1
	s_delay_alu instid0(VALU_DEP_1)
	v_add3_u32 v78, v79, v78, 0x7fff
                                        ; implicit-def: $vgpr79
; %bb.70:
	s_and_not1_saveexec_b32 s2, s2
; %bb.71:
	v_and_b32_e32 v78, 0xffff, v79
	v_or_b32_e32 v83, 0x10000, v79
	s_delay_alu instid0(VALU_DEP_2) | instskip(NEXT) | instid1(VALU_DEP_2)
	v_cmp_eq_u32_e32 vcc_lo, 0, v78
	v_cndmask_b32_e32 v78, v83, v79, vcc_lo
; %bb.72:
	s_or_b32 exec_lo, exec_lo, s2
	v_and_b32_e32 v79, 0x7f800000, v70
	s_delay_alu instid0(VALU_DEP_1) | instskip(SKIP_1) | instid1(SALU_CYCLE_1)
	v_cmp_ne_u32_e32 vcc_lo, 0x7f800000, v79
                                        ; implicit-def: $vgpr79
	s_and_saveexec_b32 s2, vcc_lo
	s_xor_b32 s2, exec_lo, s2
; %bb.73:
	v_bfe_u32 v79, v70, 16, 1
	s_delay_alu instid0(VALU_DEP_1)
	v_add3_u32 v79, v70, v79, 0x7fff
                                        ; implicit-def: $vgpr70
; %bb.74:
	s_and_not1_saveexec_b32 s2, s2
; %bb.75:
	v_and_b32_e32 v79, 0xffff, v70
	v_or_b32_e32 v83, 0x10000, v70
	s_delay_alu instid0(VALU_DEP_2) | instskip(NEXT) | instid1(VALU_DEP_2)
	v_cmp_eq_u32_e32 vcc_lo, 0, v79
	v_cndmask_b32_e32 v79, v83, v70, vcc_lo
; %bb.76:
	s_or_b32 exec_lo, exec_lo, s2
	s_delay_alu instid0(VALU_DEP_1)
	v_perm_b32 v86, v79, v78, 0x7060302
	v_perm_b32 v85, v77, v82, 0x7060302
	;; [unrolled: 1-line block ×4, first 2 shown]
	v_lshl_or_b32 v82, v66, 11, v80
	ds_store_b128 v76, v[83:86] offset:1024
	s_waitcnt lgkmcnt(0)
	s_barrier
	buffer_gl0_inv
	ds_load_b128 v[69:72], v82
	ds_load_b128 v[83:86], v82 offset:16
	s_waitcnt lgkmcnt(1)
	v_lshrrev_b32_e32 v66, 16, v69
	s_waitcnt lgkmcnt(0)
	v_lshrrev_b32_e32 v91, 16, v83
	v_lshlrev_b32_e32 v78, 2, v74
	v_lshrrev_b32_e32 v95, 16, v70
	v_lshrrev_b32_e32 v98, 16, v84
	;; [unrolled: 1-line block ×4, first 2 shown]
	v_cmp_eq_u32_e32 vcc_lo, 1, v78
	v_lshrrev_b32_e32 v97, 16, v72
	v_lshrrev_b32_e32 v100, 16, v86
	v_cndmask_b32_e32 v87, v83, v91, vcc_lo
	v_or_b32_e32 v79, 1, v78
	v_cndmask_b32_e32 v81, v69, v66, vcc_lo
	v_cmp_eq_u32_e64 s3, 2, v78
	v_cmp_eq_u32_e64 s6, 3, v78
	;; [unrolled: 1-line block ×5, first 2 shown]
	v_cndmask_b32_e64 v81, v81, v70, s3
	v_cndmask_b32_e64 v87, v87, v84, s3
	v_cmp_eq_u32_e64 s7, 3, v79
	v_cndmask_b32_e64 v88, v69, v66, s2
	v_or_b32_e32 v77, 2, v78
	v_cndmask_b32_e64 v81, v81, v95, s6
	v_cndmask_b32_e64 v87, v87, v98, s6
	;; [unrolled: 1-line block ×4, first 2 shown]
	v_cmp_eq_u32_e64 s9, 5, v78
	v_cndmask_b32_e64 v81, v81, v71, s8
	v_cndmask_b32_e64 v87, v87, v85, s8
	v_cmp_eq_u32_e64 s10, 4, v79
	v_cndmask_b32_e64 v88, v88, v95, s7
	v_cmp_eq_u32_e64 s4, 1, v77
	v_cndmask_b32_e64 v89, v89, v84, s5
	v_cndmask_b32_e64 v81, v81, v96, s9
	v_cmp_eq_u32_e64 s11, 6, v78
	v_cndmask_b32_e64 v88, v88, v71, s10
	;; [unrolled: 3-line block ×3, first 2 shown]
	v_cndmask_b32_e64 v89, v89, v98, s7
	v_cndmask_b32_e64 v81, v81, v72, s11
	v_cmp_eq_u32_e64 s13, 7, v78
	v_cndmask_b32_e64 v88, v88, v96, s12
	v_cndmask_b32_e64 v87, v87, v86, s11
	v_cmp_eq_u32_e64 s15, 6, v79
	v_cmp_eq_u32_e64 s16, 2, v77
	v_cndmask_b32_e64 v89, v89, v85, s10
	v_cndmask_b32_e64 v101, v81, v97, s13
	;; [unrolled: 1-line block ×6, first 2 shown]
	v_cmp_eq_u32_e64 s17, 7, v79
	v_cmp_eq_u32_e64 s18, 3, v77
	;; [unrolled: 1-line block ×4, first 2 shown]
	v_cndmask_b32_e64 v87, v87, v84, s16
	v_cndmask_b32_e64 v103, v88, v97, s17
	;; [unrolled: 1-line block ×4, first 2 shown]
	v_or_b32_e32 v81, 3, v78
	v_cndmask_b32_e64 v93, v87, v98, s18
	v_cmp_eq_u32_e64 s23, 6, v77
	v_cndmask_b32_e64 v104, v88, v86, s15
	v_cndmask_b32_e64 v92, v89, v71, s19
	v_cmp_eq_u32_e64 s20, 1, v81
	ds_load_b128 v[87:90], v82 offset:1024
	v_cmp_eq_u32_e64 s22, 2, v81
	v_cmp_eq_u32_e64 s24, 3, v81
	v_cndmask_b32_e64 v105, v92, v96, s21
	v_cndmask_b32_e64 v66, v69, v66, s20
	;; [unrolled: 1-line block ×4, first 2 shown]
	ds_load_b128 v[91:94], v82 offset:1040
	v_cmp_eq_u32_e64 s25, 4, v81
	v_cndmask_b32_e64 v66, v66, v70, s22
	v_cmp_eq_u32_e64 s26, 7, v77
	v_cndmask_b32_e64 v70, v83, v84, s22
	v_cndmask_b32_e64 v84, v105, v72, s23
	v_cmp_eq_u32_e64 s27, 5, v81
	v_cndmask_b32_e64 v66, v66, v95, s24
	v_cmp_eq_u32_e64 s28, 6, v81
	v_cndmask_b32_e64 v70, v70, v98, s24
	v_cndmask_b32_e64 v69, v69, v99, s21
	;; [unrolled: 1-line block ×4, first 2 shown]
	s_waitcnt lgkmcnt(1)
	v_lshrrev_b32_e32 v95, 16, v87
	v_cndmask_b32_e64 v70, v70, v85, s25
	v_cndmask_b32_e64 v71, v84, v97, s26
	;; [unrolled: 1-line block ×4, first 2 shown]
	v_cndmask_b32_e32 v84, v87, v95, vcc_lo
	v_cndmask_b32_e64 v70, v70, v99, s27
	s_waitcnt lgkmcnt(0)
	v_lshrrev_b32_e32 v85, 16, v91
	v_lshrrev_b32_e32 v96, 16, v88
	v_cndmask_b32_e64 v98, v87, v95, s2
	v_cndmask_b32_e64 v84, v84, v88, s3
	;; [unrolled: 1-line block ×3, first 2 shown]
	v_cndmask_b32_e32 v99, v91, v85, vcc_lo
	v_cmp_eq_u32_e32 vcc_lo, 7, v81
	v_cndmask_b32_e64 v66, v66, v72, s28
	v_cndmask_b32_e64 v72, v84, v96, s6
	;; [unrolled: 1-line block ×3, first 2 shown]
	v_lshrrev_b32_e32 v98, 16, v92
	v_cndmask_b32_e32 v70, v70, v100, vcc_lo
	v_cndmask_b32_e64 v86, v99, v92, s3
	v_cndmask_b32_e64 v69, v69, v100, s26
	v_lshrrev_b32_e32 v100, 16, v93
	v_cndmask_b32_e64 v72, v72, v89, s8
	v_lshrrev_b32_e32 v99, 16, v89
	v_cndmask_b32_e64 v86, v86, v98, s6
	v_perm_b32 v71, v69, v71, 0x5040100
	v_cndmask_b32_e64 v84, v84, v96, s7
	s_delay_alu instid0(VALU_DEP_3) | instskip(NEXT) | instid1(VALU_DEP_2)
	v_cndmask_b32_e64 v86, v86, v93, s8
	v_cndmask_b32_e64 v84, v84, v89, s10
	s_delay_alu instid0(VALU_DEP_2) | instskip(NEXT) | instid1(VALU_DEP_1)
	v_cndmask_b32_e64 v86, v86, v100, s9
	v_cndmask_b32_e64 v69, v86, v94, s11
	;; [unrolled: 1-line block ×5, first 2 shown]
	s_delay_alu instid0(VALU_DEP_3) | instskip(NEXT) | instid1(VALU_DEP_3)
	v_cndmask_b32_e64 v86, v86, v88, s16
	v_cndmask_b32_e64 v87, v87, v88, s22
	s_delay_alu instid0(VALU_DEP_3) | instskip(NEXT) | instid1(VALU_DEP_3)
	v_cndmask_b32_e64 v88, v95, v92, s22
	v_cndmask_b32_e64 v86, v86, v96, s18
	;; [unrolled: 3-line block ×7, first 2 shown]
	s_delay_alu instid0(VALU_DEP_3) | instskip(SKIP_2) | instid1(VALU_DEP_2)
	v_cndmask_b32_e64 v88, v88, v94, s28
	v_cndmask_b32_e32 v66, v66, v97, vcc_lo
	v_cndmask_b32_e64 v97, v72, v99, s9
	v_perm_b32 v72, v70, v66, 0x5040100
	v_perm_b32 v70, v83, v103, 0x5040100
	v_cndmask_b32_e64 v103, v91, v85, s4
	v_cndmask_b32_e64 v85, v91, v85, s2
	;; [unrolled: 1-line block ×4, first 2 shown]
	v_lshrrev_b32_e32 v97, 16, v90
	v_cndmask_b32_e64 v91, v103, v92, s16
	v_cndmask_b32_e64 v85, v85, v92, s5
	;; [unrolled: 1-line block ×3, first 2 shown]
	s_mov_b32 s2, exec_lo
	v_cndmask_b32_e64 v83, v84, v97, s13
	v_cndmask_b32_e64 v91, v91, v98, s18
	;; [unrolled: 1-line block ×3, first 2 shown]
	v_lshrrev_b32_e32 v84, 16, v94
	v_cndmask_b32_e64 v66, v66, v97, s17
	v_cndmask_b32_e64 v90, v86, v97, s26
	;; [unrolled: 1-line block ×4, first 2 shown]
	v_dual_cndmask_b32 v86, v87, v97 :: v_dual_cndmask_b32 v87, v88, v84
	v_cndmask_b32_e64 v91, v69, v84, s13
	s_delay_alu instid0(VALU_DEP_4) | instskip(NEXT) | instid1(VALU_DEP_4)
	v_cndmask_b32_e64 v89, v89, v100, s21
	v_cndmask_b32_e64 v85, v85, v100, s12
	v_perm_b32 v69, v102, v101, 0x5040100
	v_perm_b32 v86, v87, v86, 0x5040100
	;; [unrolled: 1-line block ×3, first 2 shown]
	v_cndmask_b32_e64 v89, v89, v94, s23
	v_cndmask_b32_e64 v85, v85, v94, s15
	s_mul_i32 s7, s35, 12
	s_delay_alu instid0(VALU_DEP_2) | instskip(NEXT) | instid1(VALU_DEP_2)
	v_cndmask_b32_e64 v88, v89, v84, s26
	v_cndmask_b32_e64 v89, v85, v84, s17
	s_delay_alu instid0(VALU_DEP_2) | instskip(NEXT) | instid1(VALU_DEP_2)
	v_perm_b32 v85, v88, v90, 0x5040100
	v_perm_b32 v84, v89, v66, 0x5040100
	ds_store_b128 v76, v[69:72]
	ds_store_b128 v76, v[83:86] offset:1024
	v_cmpx_gt_u32_e32 12, v0
	s_cbranch_execz .LBB1517_78
; %bb.77:
	s_mul_i32 s3, s7, s30
	s_load_b128 s[8:11], s[0:1], 0x58
	v_add3_u32 v69, s3, s29, v65
	s_delay_alu instid0(VALU_DEP_1) | instskip(NEXT) | instid1(VALU_DEP_1)
	v_mad_u64_u32 v[65:66], null, v69, s34, s[14:15]
	v_ashrrev_i32_e32 v66, 31, v65
	s_delay_alu instid0(VALU_DEP_1) | instskip(SKIP_1) | instid1(VALU_DEP_1)
	v_lshlrev_b64 v[65:66], 2, v[65:66]
	s_waitcnt lgkmcnt(0)
	v_add_co_u32 v69, vcc_lo, s10, v65
	s_delay_alu instid0(VALU_DEP_2)
	v_add_co_ci_u32_e32 v70, vcc_lo, s11, v66, vcc_lo
	v_add_co_u32 v65, vcc_lo, s8, v65
	v_add_co_ci_u32_e32 v66, vcc_lo, s9, v66, vcc_lo
	global_store_b32 v[69:70], v67, off
	global_store_b32 v[65:66], v68, off
.LBB1517_78:
	s_or_b32 exec_lo, exec_lo, s2
	s_waitcnt lgkmcnt(0)
	s_waitcnt_vscnt null, 0x0
	s_barrier
	buffer_gl0_inv
	ds_load_b128 v[83:86], v80
	ds_load_b128 v[87:90], v80 offset:16
	ds_load_b128 v[95:98], v80 offset:2064
	;; [unrolled: 1-line block ×3, first 2 shown]
	v_mov_b32_e32 v65, 0
	ds_load_b128 v[103:106], v80 offset:4112
	ds_load_b128 v[99:102], v80 offset:4096
	;; [unrolled: 1-line block ×4, first 2 shown]
	v_mov_b32_e32 v66, v65
	v_mov_b32_e32 v67, v65
	v_mov_b32_e32 v68, v65
	v_mov_b32_e32 v69, v65
	v_mov_b32_e32 v70, v65
	v_mov_b32_e32 v71, v65
	v_mov_b32_e32 v72, v65
	s_waitcnt lgkmcnt(6)
	s_delay_alu instid0(VALU_DEP_1)
	v_wmma_f32_16x16x16_bf16 v[65:72], v[49:56], v[83:90], v[65:72]
	ds_load_b128 v[53:56], v80 offset:8208
	ds_load_b128 v[49:52], v80 offset:8192
	s_waitcnt lgkmcnt(6)
	v_wmma_f32_16x16x16_bf16 v[65:72], v[41:48], v[91:98], v[65:72]
	ds_load_b128 v[45:48], v80 offset:10256
	ds_load_b128 v[41:44], v80 offset:10240
	s_waitcnt lgkmcnt(6)
	;; [unrolled: 4-line block ×4, first 2 shown]
	v_wmma_f32_16x16x16_bf16 v[65:72], v[1:8], v[49:56], v[65:72]
	s_waitcnt lgkmcnt(4)
	s_delay_alu instid0(VALU_DEP_1) | instskip(SKIP_1) | instid1(VALU_DEP_1)
	v_wmma_f32_16x16x16_bf16 v[65:72], v[9:16], v[41:48], v[65:72]
	s_waitcnt lgkmcnt(2)
	v_wmma_f32_16x16x16_bf16 v[65:72], v[17:24], v[33:40], v[65:72]
	s_waitcnt lgkmcnt(0)
	s_delay_alu instid0(VALU_DEP_1) | instskip(NEXT) | instid1(VALU_DEP_1)
	v_wmma_f32_16x16x16_bf16 v[65:72], v[57:64], v[25:32], v[65:72]
	v_and_b32_e32 v1, 0x7f800000, v65
	s_delay_alu instid0(VALU_DEP_1) | instskip(SKIP_1) | instid1(SALU_CYCLE_1)
	v_cmp_ne_u32_e32 vcc_lo, 0x7f800000, v1
                                        ; implicit-def: $vgpr1
	s_and_saveexec_b32 s2, vcc_lo
	s_xor_b32 s2, exec_lo, s2
; %bb.79:
	v_bfe_u32 v1, v65, 16, 1
	s_delay_alu instid0(VALU_DEP_1)
	v_add3_u32 v1, v65, v1, 0x7fff
; %bb.80:
	s_and_not1_saveexec_b32 s2, s2
; %bb.81:
	v_and_b32_e32 v1, 0xffff, v65
	v_or_b32_e32 v2, 0x10000, v65
	s_delay_alu instid0(VALU_DEP_2) | instskip(NEXT) | instid1(VALU_DEP_2)
	v_cmp_eq_u32_e32 vcc_lo, 0, v1
	v_cndmask_b32_e32 v1, v2, v65, vcc_lo
; %bb.82:
	s_or_b32 exec_lo, exec_lo, s2
	v_and_b32_e32 v2, 0x7f800000, v66
	s_delay_alu instid0(VALU_DEP_1) | instskip(SKIP_1) | instid1(SALU_CYCLE_1)
	v_cmp_ne_u32_e32 vcc_lo, 0x7f800000, v2
                                        ; implicit-def: $vgpr2
	s_and_saveexec_b32 s2, vcc_lo
	s_xor_b32 s2, exec_lo, s2
; %bb.83:
	v_bfe_u32 v2, v66, 16, 1
	s_delay_alu instid0(VALU_DEP_1)
	v_add3_u32 v2, v66, v2, 0x7fff
; %bb.84:
	s_and_not1_saveexec_b32 s2, s2
; %bb.85:
	v_and_b32_e32 v2, 0xffff, v66
	v_or_b32_e32 v3, 0x10000, v66
	s_delay_alu instid0(VALU_DEP_2) | instskip(NEXT) | instid1(VALU_DEP_2)
	v_cmp_eq_u32_e32 vcc_lo, 0, v2
	v_cndmask_b32_e32 v2, v3, v66, vcc_lo
; %bb.86:
	s_or_b32 exec_lo, exec_lo, s2
	v_and_b32_e32 v3, 0x7f800000, v67
	s_delay_alu instid0(VALU_DEP_1) | instskip(SKIP_1) | instid1(SALU_CYCLE_1)
	v_cmp_ne_u32_e32 vcc_lo, 0x7f800000, v3
                                        ; implicit-def: $vgpr3
	s_and_saveexec_b32 s2, vcc_lo
	s_xor_b32 s2, exec_lo, s2
; %bb.87:
	v_bfe_u32 v3, v67, 16, 1
	s_delay_alu instid0(VALU_DEP_1)
	v_add3_u32 v3, v67, v3, 0x7fff
; %bb.88:
	s_and_not1_saveexec_b32 s2, s2
; %bb.89:
	v_and_b32_e32 v3, 0xffff, v67
	v_or_b32_e32 v4, 0x10000, v67
	s_delay_alu instid0(VALU_DEP_2) | instskip(NEXT) | instid1(VALU_DEP_2)
	v_cmp_eq_u32_e32 vcc_lo, 0, v3
	v_cndmask_b32_e32 v3, v4, v67, vcc_lo
; %bb.90:
	s_or_b32 exec_lo, exec_lo, s2
	v_and_b32_e32 v4, 0x7f800000, v68
	s_delay_alu instid0(VALU_DEP_1) | instskip(SKIP_1) | instid1(SALU_CYCLE_1)
	v_cmp_ne_u32_e32 vcc_lo, 0x7f800000, v4
                                        ; implicit-def: $vgpr4
	s_and_saveexec_b32 s2, vcc_lo
	s_xor_b32 s2, exec_lo, s2
; %bb.91:
	v_bfe_u32 v4, v68, 16, 1
	s_delay_alu instid0(VALU_DEP_1)
	v_add3_u32 v4, v68, v4, 0x7fff
; %bb.92:
	s_and_not1_saveexec_b32 s2, s2
; %bb.93:
	v_and_b32_e32 v4, 0xffff, v68
	v_or_b32_e32 v5, 0x10000, v68
	s_delay_alu instid0(VALU_DEP_2) | instskip(NEXT) | instid1(VALU_DEP_2)
	v_cmp_eq_u32_e32 vcc_lo, 0, v4
	v_cndmask_b32_e32 v4, v5, v68, vcc_lo
; %bb.94:
	s_or_b32 exec_lo, exec_lo, s2
	v_and_b32_e32 v5, 0x7f800000, v69
	s_delay_alu instid0(VALU_DEP_1) | instskip(SKIP_1) | instid1(SALU_CYCLE_1)
	v_cmp_ne_u32_e32 vcc_lo, 0x7f800000, v5
                                        ; implicit-def: $vgpr5
	s_and_saveexec_b32 s2, vcc_lo
	s_xor_b32 s2, exec_lo, s2
; %bb.95:
	v_bfe_u32 v5, v69, 16, 1
	s_delay_alu instid0(VALU_DEP_1)
	v_add3_u32 v5, v69, v5, 0x7fff
; %bb.96:
	s_and_not1_saveexec_b32 s2, s2
; %bb.97:
	v_and_b32_e32 v5, 0xffff, v69
	v_or_b32_e32 v6, 0x10000, v69
	s_delay_alu instid0(VALU_DEP_2) | instskip(NEXT) | instid1(VALU_DEP_2)
	v_cmp_eq_u32_e32 vcc_lo, 0, v5
	v_cndmask_b32_e32 v5, v6, v69, vcc_lo
; %bb.98:
	s_or_b32 exec_lo, exec_lo, s2
	v_and_b32_e32 v6, 0x7f800000, v70
	s_delay_alu instid0(VALU_DEP_1) | instskip(SKIP_1) | instid1(SALU_CYCLE_1)
	v_cmp_ne_u32_e32 vcc_lo, 0x7f800000, v6
                                        ; implicit-def: $vgpr6
	s_and_saveexec_b32 s2, vcc_lo
	s_xor_b32 s2, exec_lo, s2
; %bb.99:
	v_bfe_u32 v6, v70, 16, 1
	s_delay_alu instid0(VALU_DEP_1)
	v_add3_u32 v6, v70, v6, 0x7fff
; %bb.100:
	s_and_not1_saveexec_b32 s2, s2
; %bb.101:
	v_and_b32_e32 v6, 0xffff, v70
	v_or_b32_e32 v7, 0x10000, v70
	s_delay_alu instid0(VALU_DEP_2) | instskip(NEXT) | instid1(VALU_DEP_2)
	v_cmp_eq_u32_e32 vcc_lo, 0, v6
	v_cndmask_b32_e32 v6, v7, v70, vcc_lo
; %bb.102:
	s_or_b32 exec_lo, exec_lo, s2
	v_and_b32_e32 v7, 0x7f800000, v71
	s_delay_alu instid0(VALU_DEP_1) | instskip(SKIP_1) | instid1(SALU_CYCLE_1)
	v_cmp_ne_u32_e32 vcc_lo, 0x7f800000, v7
                                        ; implicit-def: $vgpr7
	s_and_saveexec_b32 s2, vcc_lo
	s_xor_b32 s2, exec_lo, s2
; %bb.103:
	v_bfe_u32 v7, v71, 16, 1
	s_delay_alu instid0(VALU_DEP_1)
	v_add3_u32 v7, v71, v7, 0x7fff
; %bb.104:
	s_and_not1_saveexec_b32 s2, s2
; %bb.105:
	v_and_b32_e32 v7, 0xffff, v71
	v_or_b32_e32 v8, 0x10000, v71
	s_delay_alu instid0(VALU_DEP_2) | instskip(NEXT) | instid1(VALU_DEP_2)
	v_cmp_eq_u32_e32 vcc_lo, 0, v7
	v_cndmask_b32_e32 v7, v8, v71, vcc_lo
; %bb.106:
	s_or_b32 exec_lo, exec_lo, s2
	v_and_b32_e32 v8, 0x7f800000, v72
	s_delay_alu instid0(VALU_DEP_1) | instskip(SKIP_1) | instid1(SALU_CYCLE_1)
	v_cmp_ne_u32_e32 vcc_lo, 0x7f800000, v8
                                        ; implicit-def: $vgpr8
	s_and_saveexec_b32 s2, vcc_lo
	s_xor_b32 s2, exec_lo, s2
; %bb.107:
	v_bfe_u32 v8, v72, 16, 1
	s_delay_alu instid0(VALU_DEP_1)
	v_add3_u32 v8, v72, v8, 0x7fff
                                        ; implicit-def: $vgpr65_vgpr66_vgpr67_vgpr68_vgpr69_vgpr70_vgpr71_vgpr72
; %bb.108:
	s_and_not1_saveexec_b32 s2, s2
; %bb.109:
	v_and_b32_e32 v8, 0xffff, v72
	v_or_b32_e32 v9, 0x10000, v72
	s_delay_alu instid0(VALU_DEP_2) | instskip(NEXT) | instid1(VALU_DEP_2)
	v_cmp_eq_u32_e32 vcc_lo, 0, v8
	v_cndmask_b32_e32 v8, v9, v72, vcc_lo
; %bb.110:
	s_or_b32 exec_lo, exec_lo, s2
	s_delay_alu instid0(VALU_DEP_1)
	v_perm_b32 v7, v8, v7, 0x7060302
	v_perm_b32 v6, v6, v5, 0x7060302
	;; [unrolled: 1-line block ×4, first 2 shown]
	s_barrier
	buffer_gl0_inv
	v_cmp_eq_u32_e32 vcc_lo, 1, v78
	ds_store_b128 v76, v[4:7]
	s_waitcnt lgkmcnt(0)
	s_barrier
	buffer_gl0_inv
	ds_load_b128 v[1:4], v82
	ds_load_b128 v[5:8], v82 offset:16
	v_cmp_eq_u32_e64 s2, 1, v79
	v_cmp_eq_u32_e64 s3, 2, v78
	;; [unrolled: 1-line block ×5, first 2 shown]
	s_waitcnt lgkmcnt(1)
	v_lshrrev_b32_e32 v9, 16, v1
	s_waitcnt lgkmcnt(0)
	v_lshrrev_b32_e32 v13, 16, v5
	v_lshrrev_b32_e32 v10, 16, v2
	;; [unrolled: 1-line block ×4, first 2 shown]
	v_cndmask_b32_e64 v19, v1, v9, s2
	v_cndmask_b32_e32 v18, v5, v13, vcc_lo
	v_cndmask_b32_e64 v20, v5, v13, s2
	v_cndmask_b32_e32 v17, v1, v9, vcc_lo
	v_cmp_eq_u32_e32 vcc_lo, 2, v79
	v_lshrrev_b32_e32 v15, 16, v7
	v_cmp_eq_u32_e64 s2, 1, v77
	v_lshrrev_b32_e32 v12, 16, v4
	v_lshrrev_b32_e32 v16, 16, v8
	v_cndmask_b32_e32 v20, v20, v6, vcc_lo
	v_cndmask_b32_e64 v17, v17, v2, s3
	v_cndmask_b32_e32 v19, v19, v2, vcc_lo
	v_cndmask_b32_e64 v18, v18, v6, s3
	v_cmp_eq_u32_e32 vcc_lo, 4, v78
	v_cmp_eq_u32_e64 s3, 3, v79
	v_cndmask_b32_e64 v17, v17, v10, s4
	v_cndmask_b32_e64 v21, v1, v9, s2
	;; [unrolled: 1-line block ×5, first 2 shown]
	v_cndmask_b32_e32 v17, v17, v3, vcc_lo
	v_cndmask_b32_e64 v20, v20, v14, s3
	v_cndmask_b32_e32 v18, v18, v7, vcc_lo
	v_cmp_eq_u32_e32 vcc_lo, 4, v79
	v_cmp_eq_u32_e64 s3, 5, v79
	v_cmp_eq_u32_e64 s2, 2, v81
	v_cndmask_b32_e64 v21, v21, v2, s6
	v_cmp_eq_u32_e64 s4, 5, v78
	v_cndmask_b32_e32 v19, v19, v3, vcc_lo
	v_cndmask_b32_e32 v20, v20, v7, vcc_lo
	v_cmp_eq_u32_e32 vcc_lo, 6, v79
	s_delay_alu instid0(VALU_DEP_4) | instskip(NEXT) | instid1(VALU_DEP_4)
	v_cndmask_b32_e64 v17, v17, v11, s4
	v_cndmask_b32_e64 v19, v19, v11, s3
	s_delay_alu instid0(VALU_DEP_4) | instskip(SKIP_1) | instid1(VALU_DEP_3)
	v_cndmask_b32_e64 v20, v20, v15, s3
	v_cmp_eq_u32_e64 s3, 1, v81
	v_cndmask_b32_e32 v19, v19, v4, vcc_lo
	v_cndmask_b32_e64 v18, v18, v15, s4
	s_delay_alu instid0(VALU_DEP_3)
	v_cndmask_b32_e64 v1, v1, v9, s3
	v_cndmask_b32_e64 v5, v5, v13, s3
	v_cmp_eq_u32_e64 s3, 3, v77
	v_cndmask_b32_e64 v13, v22, v6, s6
	v_cmp_eq_u32_e64 s6, 3, v81
	v_cndmask_b32_e64 v1, v1, v2, s2
	v_cndmask_b32_e64 v2, v5, v6, s2
	;; [unrolled: 1-line block ×3, first 2 shown]
	v_cmp_eq_u32_e64 s2, 4, v77
	v_cndmask_b32_e64 v6, v13, v14, s3
	v_cndmask_b32_e64 v1, v1, v10, s6
	v_cmp_eq_u32_e64 s3, 4, v81
	v_cndmask_b32_e64 v2, v2, v14, s6
	v_cndmask_b32_e64 v5, v9, v3, s2
	;; [unrolled: 3-line block ×3, first 2 shown]
	v_cndmask_b32_e64 v2, v2, v7, s3
	v_cmp_eq_u32_e64 s2, 5, v81
	v_cmp_eq_u32_e64 s4, 6, v78
	v_cndmask_b32_e64 v5, v5, v11, s6
	v_cmp_eq_u32_e64 s3, 6, v77
	v_cndmask_b32_e64 v3, v6, v15, s6
	v_cndmask_b32_e64 v1, v1, v11, s2
	v_cmp_eq_u32_e64 s6, 6, v81
	v_cndmask_b32_e64 v2, v2, v15, s2
	v_cndmask_b32_e64 v17, v17, v4, s4
	v_cndmask_b32_e64 v18, v18, v8, s4
	v_cmp_eq_u32_e64 s4, 7, v78
	v_cndmask_b32_e64 v5, v5, v4, s3
	;; [unrolled: 4-line block ×3, first 2 shown]
	v_cmp_eq_u32_e64 s3, 7, v77
	v_cndmask_b32_e32 v4, v20, v8, vcc_lo
	v_cndmask_b32_e64 v17, v17, v12, s4
	v_cndmask_b32_e64 v19, v19, v12, s5
	;; [unrolled: 1-line block ×8, first 2 shown]
	s_mov_b32 s2, exec_lo
	v_perm_b32 v4, v2, v1, 0x5040100
	v_perm_b32 v3, v3, v5, 0x5040100
	;; [unrolled: 1-line block ×4, first 2 shown]
	ds_store_b128 v76, v[1:4]
	s_waitcnt lgkmcnt(0)
	s_barrier
	buffer_gl0_inv
	v_cmpx_gt_u32_e32 32, v0
	s_cbranch_execz .LBB1517_2
; %bb.111:
	s_load_b64 s[0:1], s[0:1], 0x68
	v_lshlrev_b32_e32 v0, 10, v0
	s_lshl_b32 s4, s34, 7
	v_or_b32_e32 v3, s29, v74
	s_mul_i32 s2, s4, s30
	v_lshlrev_b32_e32 v1, 4, v75
	s_mul_i32 s2, s2, s7
	v_lshlrev_b32_e32 v2, 6, v74
	v_and_b32_e32 v0, 0x3800, v0
	s_ashr_i32 s3, s2, 31
	v_mul_lo_u32 v4, v3, s4
	s_lshl_b64 s[2:3], s[2:3], 1
	s_delay_alu instid0(VALU_DEP_2) | instskip(NEXT) | instid1(VALU_DEP_2)
	v_or3_b32 v16, v0, v1, v2
	v_ashrrev_i32_e32 v5, 31, v4
	ds_load_b128 v[0:3], v16
	s_waitcnt lgkmcnt(0)
	s_add_u32 s2, s0, s2
	s_addc_u32 s3, s1, s3
	s_lshl_b32 s0, s14, 7
	v_lshlrev_b64 v[5:6], 1, v[4:5]
	s_ashr_i32 s1, s0, 31
	s_delay_alu instid0(SALU_CYCLE_1) | instskip(NEXT) | instid1(SALU_CYCLE_1)
	s_lshl_b64 s[0:1], s[0:1], 1
	s_add_u32 s0, s2, s0
	s_addc_u32 s1, s3, s1
	s_lshl_b32 s2, s34, 8
	v_add_co_u32 v30, s0, s0, v73
	v_add_nc_u32_e32 v8, s2, v4
	v_add_co_ci_u32_e64 v31, null, s1, 0, s0
	s_delay_alu instid0(VALU_DEP_3) | instskip(NEXT) | instid1(VALU_DEP_3)
	v_add_co_u32 v12, vcc_lo, v30, v5
	v_add_nc_u32_e32 v10, s2, v8
	v_ashrrev_i32_e32 v9, 31, v8
	s_delay_alu instid0(VALU_DEP_4)
	v_add_co_ci_u32_e32 v13, vcc_lo, v31, v6, vcc_lo
	ds_load_b128 v[4:7], v16 offset:128
	v_ashrrev_i32_e32 v11, 31, v10
	v_lshlrev_b64 v[8:9], 1, v[8:9]
	v_add_nc_u32_e32 v14, s2, v10
	global_store_b128 v[12:13], v[0:3], off
	v_lshlrev_b64 v[0:1], 1, v[10:11]
	v_ashrrev_i32_e32 v15, 31, v14
	v_add_co_u32 v22, vcc_lo, v30, v8
	v_add_nc_u32_e32 v20, s2, v14
	v_add_co_ci_u32_e32 v23, vcc_lo, v31, v9, vcc_lo
	v_add_co_u32 v26, vcc_lo, v30, v0
	v_lshlrev_b64 v[24:25], 1, v[14:15]
	v_add_co_ci_u32_e32 v27, vcc_lo, v31, v1, vcc_lo
	ds_load_b128 v[0:3], v16 offset:256
	ds_load_b128 v[8:11], v16 offset:384
	;; [unrolled: 1-line block ×4, first 2 shown]
	v_add_nc_u32_e32 v28, s2, v20
	v_ashrrev_i32_e32 v21, 31, v20
	v_add_co_u32 v24, vcc_lo, v30, v24
	v_add_co_ci_u32_e32 v25, vcc_lo, v31, v25, vcc_lo
	s_delay_alu instid0(VALU_DEP_4) | instskip(NEXT) | instid1(VALU_DEP_4)
	v_ashrrev_i32_e32 v29, 31, v28
	v_lshlrev_b64 v[20:21], 1, v[20:21]
	s_delay_alu instid0(VALU_DEP_2) | instskip(NEXT) | instid1(VALU_DEP_2)
	v_lshlrev_b64 v[28:29], 1, v[28:29]
	v_add_co_u32 v20, vcc_lo, v30, v20
	s_delay_alu instid0(VALU_DEP_3) | instskip(NEXT) | instid1(VALU_DEP_3)
	v_add_co_ci_u32_e32 v21, vcc_lo, v31, v21, vcc_lo
	v_add_co_u32 v28, vcc_lo, v30, v28
	s_delay_alu instid0(VALU_DEP_4)
	v_add_co_ci_u32_e32 v29, vcc_lo, v31, v29, vcc_lo
	s_waitcnt lgkmcnt(4)
	global_store_b128 v[22:23], v[4:7], off
	s_waitcnt lgkmcnt(3)
	global_store_b128 v[26:27], v[0:3], off
	;; [unrolled: 2-line block ×5, first 2 shown]
	s_nop 0
	s_sendmsg sendmsg(MSG_DEALLOC_VGPRS)
	s_endpgm
	.section	.rodata,"a",@progbits
	.p2align	6, 0x0
	.amdhsa_kernel _Z39paged_attention_ll4mi_QKV_mfma16_kernelI14__hip_bfloat16hLN4vllm18Fp8KVCacheDataTypeE1EhLi16ELi128ELi256ELb1ELi12EL8MFMAType1EEvPKT_PKT0_S9_ifPKiSB_SB_iPKfiiiPfSE_PS4_PT2_iSD_SD_
		.amdhsa_group_segment_fixed_size 17472
		.amdhsa_private_segment_fixed_size 0
		.amdhsa_kernarg_size 400
		.amdhsa_user_sgpr_count 13
		.amdhsa_user_sgpr_dispatch_ptr 0
		.amdhsa_user_sgpr_queue_ptr 0
		.amdhsa_user_sgpr_kernarg_segment_ptr 1
		.amdhsa_user_sgpr_dispatch_id 0
		.amdhsa_user_sgpr_private_segment_size 0
		.amdhsa_wavefront_size32 1
		.amdhsa_uses_dynamic_stack 0
		.amdhsa_enable_private_segment 0
		.amdhsa_system_sgpr_workgroup_id_x 1
		.amdhsa_system_sgpr_workgroup_id_y 1
		.amdhsa_system_sgpr_workgroup_id_z 1
		.amdhsa_system_sgpr_workgroup_info 0
		.amdhsa_system_vgpr_workitem_id 0
		.amdhsa_next_free_vgpr 140
		.amdhsa_next_free_sgpr 36
		.amdhsa_reserve_vcc 1
		.amdhsa_float_round_mode_32 0
		.amdhsa_float_round_mode_16_64 0
		.amdhsa_float_denorm_mode_32 3
		.amdhsa_float_denorm_mode_16_64 3
		.amdhsa_dx10_clamp 1
		.amdhsa_ieee_mode 1
		.amdhsa_fp16_overflow 0
		.amdhsa_workgroup_processor_mode 1
		.amdhsa_memory_ordered 1
		.amdhsa_forward_progress 0
		.amdhsa_shared_vgpr_count 0
		.amdhsa_exception_fp_ieee_invalid_op 0
		.amdhsa_exception_fp_denorm_src 0
		.amdhsa_exception_fp_ieee_div_zero 0
		.amdhsa_exception_fp_ieee_overflow 0
		.amdhsa_exception_fp_ieee_underflow 0
		.amdhsa_exception_fp_ieee_inexact 0
		.amdhsa_exception_int_div_zero 0
	.end_amdhsa_kernel
	.section	.text._Z39paged_attention_ll4mi_QKV_mfma16_kernelI14__hip_bfloat16hLN4vllm18Fp8KVCacheDataTypeE1EhLi16ELi128ELi256ELb1ELi12EL8MFMAType1EEvPKT_PKT0_S9_ifPKiSB_SB_iPKfiiiPfSE_PS4_PT2_iSD_SD_,"axG",@progbits,_Z39paged_attention_ll4mi_QKV_mfma16_kernelI14__hip_bfloat16hLN4vllm18Fp8KVCacheDataTypeE1EhLi16ELi128ELi256ELb1ELi12EL8MFMAType1EEvPKT_PKT0_S9_ifPKiSB_SB_iPKfiiiPfSE_PS4_PT2_iSD_SD_,comdat
.Lfunc_end1517:
	.size	_Z39paged_attention_ll4mi_QKV_mfma16_kernelI14__hip_bfloat16hLN4vllm18Fp8KVCacheDataTypeE1EhLi16ELi128ELi256ELb1ELi12EL8MFMAType1EEvPKT_PKT0_S9_ifPKiSB_SB_iPKfiiiPfSE_PS4_PT2_iSD_SD_, .Lfunc_end1517-_Z39paged_attention_ll4mi_QKV_mfma16_kernelI14__hip_bfloat16hLN4vllm18Fp8KVCacheDataTypeE1EhLi16ELi128ELi256ELb1ELi12EL8MFMAType1EEvPKT_PKT0_S9_ifPKiSB_SB_iPKfiiiPfSE_PS4_PT2_iSD_SD_
                                        ; -- End function
	.section	.AMDGPU.csdata,"",@progbits
; Kernel info:
; codeLenInByte = 8956
; NumSgprs: 38
; NumVgprs: 140
; ScratchSize: 0
; MemoryBound: 0
; FloatMode: 240
; IeeeMode: 1
; LDSByteSize: 17472 bytes/workgroup (compile time only)
; SGPRBlocks: 4
; VGPRBlocks: 17
; NumSGPRsForWavesPerEU: 38
; NumVGPRsForWavesPerEU: 140
; Occupancy: 10
; WaveLimiterHint : 1
; COMPUTE_PGM_RSRC2:SCRATCH_EN: 0
; COMPUTE_PGM_RSRC2:USER_SGPR: 13
; COMPUTE_PGM_RSRC2:TRAP_HANDLER: 0
; COMPUTE_PGM_RSRC2:TGID_X_EN: 1
; COMPUTE_PGM_RSRC2:TGID_Y_EN: 1
; COMPUTE_PGM_RSRC2:TGID_Z_EN: 1
; COMPUTE_PGM_RSRC2:TIDIG_COMP_CNT: 0
	.section	.text._Z39paged_attention_ll4mi_QKV_mfma16_kernelI14__hip_bfloat16hLN4vllm18Fp8KVCacheDataTypeE1EhLi16ELi128ELi256ELb1ELi13EL8MFMAType1EEvPKT_PKT0_S9_ifPKiSB_SB_iPKfiiiPfSE_PS4_PT2_iSD_SD_,"axG",@progbits,_Z39paged_attention_ll4mi_QKV_mfma16_kernelI14__hip_bfloat16hLN4vllm18Fp8KVCacheDataTypeE1EhLi16ELi128ELi256ELb1ELi13EL8MFMAType1EEvPKT_PKT0_S9_ifPKiSB_SB_iPKfiiiPfSE_PS4_PT2_iSD_SD_,comdat
	.protected	_Z39paged_attention_ll4mi_QKV_mfma16_kernelI14__hip_bfloat16hLN4vllm18Fp8KVCacheDataTypeE1EhLi16ELi128ELi256ELb1ELi13EL8MFMAType1EEvPKT_PKT0_S9_ifPKiSB_SB_iPKfiiiPfSE_PS4_PT2_iSD_SD_ ; -- Begin function _Z39paged_attention_ll4mi_QKV_mfma16_kernelI14__hip_bfloat16hLN4vllm18Fp8KVCacheDataTypeE1EhLi16ELi128ELi256ELb1ELi13EL8MFMAType1EEvPKT_PKT0_S9_ifPKiSB_SB_iPKfiiiPfSE_PS4_PT2_iSD_SD_
	.globl	_Z39paged_attention_ll4mi_QKV_mfma16_kernelI14__hip_bfloat16hLN4vllm18Fp8KVCacheDataTypeE1EhLi16ELi128ELi256ELb1ELi13EL8MFMAType1EEvPKT_PKT0_S9_ifPKiSB_SB_iPKfiiiPfSE_PS4_PT2_iSD_SD_
	.p2align	8
	.type	_Z39paged_attention_ll4mi_QKV_mfma16_kernelI14__hip_bfloat16hLN4vllm18Fp8KVCacheDataTypeE1EhLi16ELi128ELi256ELb1ELi13EL8MFMAType1EEvPKT_PKT0_S9_ifPKiSB_SB_iPKfiiiPfSE_PS4_PT2_iSD_SD_,@function
_Z39paged_attention_ll4mi_QKV_mfma16_kernelI14__hip_bfloat16hLN4vllm18Fp8KVCacheDataTypeE1EhLi16ELi128ELi256ELb1ELi13EL8MFMAType1EEvPKT_PKT0_S9_ifPKiSB_SB_iPKfiiiPfSE_PS4_PT2_iSD_SD_: ; @_Z39paged_attention_ll4mi_QKV_mfma16_kernelI14__hip_bfloat16hLN4vllm18Fp8KVCacheDataTypeE1EhLi16ELi128ELi256ELb1ELi13EL8MFMAType1EEvPKT_PKT0_S9_ifPKiSB_SB_iPKfiiiPfSE_PS4_PT2_iSD_SD_
; %bb.0:
	s_load_b64 s[4:5], s[0:1], 0x30
	s_mov_b32 s30, s13
	s_waitcnt lgkmcnt(0)
	s_cmp_lg_u64 s[4:5], 0
	s_cselect_b32 s13, -1, 0
	s_ashr_i32 s31, s30, 31
	s_cmp_eq_u64 s[4:5], 0
	s_cbranch_scc1 .LBB1518_3
; %bb.1:
	s_lshl_b64 s[2:3], s[30:31], 2
	s_delay_alu instid0(SALU_CYCLE_1) | instskip(SKIP_4) | instid1(SALU_CYCLE_1)
	s_add_u32 s2, s4, s2
	s_addc_u32 s3, s5, s3
	s_load_b64 s[2:3], s[2:3], 0x0
	s_waitcnt lgkmcnt(0)
	s_sub_i32 s2, s3, s2
	s_cmp_eq_u32 s2, 1
	s_cselect_b32 s2, -1, 0
	s_delay_alu instid0(SALU_CYCLE_1)
	s_and_not1_b32 vcc_lo, exec_lo, s2
	s_cbranch_vccz .LBB1518_4
.LBB1518_2:
	s_nop 0
	s_sendmsg sendmsg(MSG_DEALLOC_VGPRS)
	s_endpgm
.LBB1518_3:
.LBB1518_4:
	s_load_b64 s[2:3], s[0:1], 0x28
	s_lshl_b64 s[6:7], s[30:31], 2
	s_waitcnt lgkmcnt(0)
	s_add_u32 s2, s2, s6
	s_addc_u32 s3, s3, s7
	s_lshl_b32 s12, s14, 8
	s_load_b32 s17, s[2:3], 0x0
	s_waitcnt lgkmcnt(0)
	s_cmp_ge_i32 s12, s17
	s_cbranch_scc1 .LBB1518_2
; %bb.5:
	s_clause 0x1
	s_load_b128 s[8:11], s[0:1], 0x8
	s_load_b64 s[2:3], s[0:1], 0x20
	s_and_not1_b32 vcc_lo, exec_lo, s13
	s_cbranch_vccnz .LBB1518_7
; %bb.6:
	s_add_u32 s4, s4, s6
	s_addc_u32 s5, s5, s7
	s_load_b32 s13, s[4:5], 0x0
	s_branch .LBB1518_8
.LBB1518_7:
	s_mov_b32 s13, s30
.LBB1518_8:
	s_load_b128 s[4:7], s[0:1], 0x48
	v_and_b32_e32 v65, 15, v0
	v_lshrrev_b32_e32 v66, 5, v0
	v_bfe_u32 v74, v0, 4, 1
	v_and_b32_e32 v67, 31, v0
	v_and_b32_e32 v75, 1, v0
	v_lshlrev_b32_e32 v2, 3, v65
	s_mul_i32 s31, s15, 13
	v_lshl_or_b32 v1, v66, 1, v74
	s_waitcnt lgkmcnt(0)
	s_mov_b32 s7, exec_lo
	v_lshlrev_b32_e32 v73, 1, v2
	s_delay_alu instid0(VALU_DEP_2)
	v_cmpx_gt_u32_e32 13, v1
	s_cbranch_execz .LBB1518_10
; %bb.9:
	s_load_b64 s[18:19], s[0:1], 0x0
	v_add_lshl_u32 v2, v1, s31, 7
	s_mul_hi_i32 s21, s13, s4
	s_mul_i32 s20, s13, s4
	v_lshlrev_b32_e32 v6, 10, v65
	s_lshl_b64 s[20:21], s[20:21], 1
	v_ashrrev_i32_e32 v3, 31, v2
	v_lshlrev_b32_e32 v1, 6, v1
	v_lshlrev_b32_e32 v7, 10, v75
	v_and_b32_e32 v6, 0x3800, v6
	s_delay_alu instid0(VALU_DEP_4) | instskip(NEXT) | instid1(VALU_DEP_2)
	v_lshlrev_b64 v[2:3], 1, v[2:3]
	v_or3_b32 v1, v6, v7, v1
	s_waitcnt lgkmcnt(0)
	s_add_u32 s4, s18, s20
	s_addc_u32 s13, s19, s21
	s_delay_alu instid0(VALU_DEP_2) | instskip(SKIP_1) | instid1(VALU_DEP_2)
	v_add_co_u32 v2, vcc_lo, s4, v2
	v_add_co_ci_u32_e32 v3, vcc_lo, s13, v3, vcc_lo
	v_add_co_u32 v2, vcc_lo, v2, v73
	s_delay_alu instid0(VALU_DEP_2)
	v_add_co_ci_u32_e32 v3, vcc_lo, 0, v3, vcc_lo
	global_load_b128 v[2:5], v[2:3], off
	s_waitcnt vmcnt(0)
	ds_store_b128 v1, v[2:5]
.LBB1518_10:
	s_or_b32 exec_lo, exec_lo, s7
	v_and_b32_e32 v1, 0xef, v0
	s_add_i32 s4, s17, 15
	s_clause 0x1
	s_load_b32 s7, s[0:1], 0x38
	s_load_b32 s18, s[0:1], 0x1c
	s_ashr_i32 s13, s4, 31
	v_add_nc_u32_e32 v1, s12, v1
	s_lshr_b32 s13, s13, 28
	s_waitcnt lgkmcnt(0)
	s_add_i32 s4, s4, s13
	s_barrier
	v_ashrrev_i32_e32 v2, 31, v1
	v_or_b32_e32 v3, 16, v1
	s_ashr_i32 s4, s4, 4
	v_cmp_gt_i32_e32 vcc_lo, s17, v1
	s_add_i32 s4, s4, -1
	v_lshrrev_b32_e32 v2, 28, v2
	buffer_gl0_inv
	s_mul_i32 s15, s15, s6
	v_add_nc_u32_e32 v4, v1, v2
	s_mul_i32 s20, s30, s7
	s_delay_alu instid0(SALU_CYCLE_1) | instskip(NEXT) | instid1(VALU_DEP_1)
	s_ashr_i32 s21, s20, 31
	v_ashrrev_i32_e32 v4, 4, v4
	v_add_nc_u32_e32 v2, v3, v2
	s_lshl_b64 s[20:21], s[20:21], 2
	s_delay_alu instid0(SALU_CYCLE_1) | instskip(NEXT) | instid1(VALU_DEP_2)
	s_add_u32 s13, s2, s20
	v_cndmask_b32_e32 v1, s4, v4, vcc_lo
	s_delay_alu instid0(VALU_DEP_2)
	v_ashrrev_i32_e32 v2, 4, v2
	v_cmp_gt_i32_e32 vcc_lo, s17, v3
	s_addc_u32 s16, s3, s21
	s_ashr_i32 s19, s15, 31
	s_add_u32 s26, s8, s15
	s_addc_u32 s27, s9, s19
	v_cndmask_b32_e32 v3, s4, v2, vcc_lo
	v_ashrrev_i32_e32 v2, 31, v1
	s_lshl_b32 s2, s14, 4
	s_delay_alu instid0(SALU_CYCLE_1) | instskip(NEXT) | instid1(VALU_DEP_2)
	s_ashr_i32 s3, s2, 31
	v_ashrrev_i32_e32 v4, 31, v3
	s_delay_alu instid0(VALU_DEP_2) | instskip(SKIP_1) | instid1(SALU_CYCLE_1)
	v_lshlrev_b64 v[1:2], 2, v[1:2]
	s_lshl_b64 s[2:3], s[2:3], 2
	s_add_u32 s2, s13, s2
	s_delay_alu instid0(VALU_DEP_2) | instskip(SKIP_1) | instid1(VALU_DEP_2)
	v_lshlrev_b64 v[3:4], 2, v[3:4]
	s_addc_u32 s3, s16, s3
	v_add_co_u32 v1, vcc_lo, s13, v1
	v_add_co_ci_u32_e32 v2, vcc_lo, s16, v2, vcc_lo
	s_delay_alu instid0(VALU_DEP_3) | instskip(NEXT) | instid1(VALU_DEP_4)
	v_add_co_u32 v3, vcc_lo, s13, v3
	v_add_co_ci_u32_e32 v4, vcc_lo, s16, v4, vcc_lo
	s_clause 0x1
	global_load_b32 v5, v[1:2], off
	global_load_b32 v3, v[3:4], off
	s_or_b32 s6, s12, 32
	v_cmp_gt_u32_e32 vcc_lo, 13, v65
	s_ashr_i32 s7, s6, 4
	s_cmp_lt_i32 s6, s17
	s_cselect_b32 s6, s7, s4
	s_delay_alu instid0(SALU_CYCLE_1) | instskip(NEXT) | instid1(SALU_CYCLE_1)
	s_ashr_i32 s7, s6, 31
	s_lshl_b64 s[6:7], s[6:7], 2
	s_delay_alu instid0(SALU_CYCLE_1) | instskip(SKIP_2) | instid1(SALU_CYCLE_1)
	s_add_u32 s6, s13, s6
	s_addc_u32 s7, s16, s7
	s_or_b32 s8, s12, 64
	s_ashr_i32 s9, s8, 4
	s_cmp_lt_i32 s8, s17
	s_cselect_b32 s8, s9, s4
	s_delay_alu instid0(SALU_CYCLE_1) | instskip(NEXT) | instid1(SALU_CYCLE_1)
	s_ashr_i32 s9, s8, 31
	s_lshl_b64 s[8:9], s[8:9], 2
	s_delay_alu instid0(SALU_CYCLE_1) | instskip(SKIP_2) | instid1(SALU_CYCLE_1)
	s_add_u32 s8, s13, s8
	s_addc_u32 s9, s16, s9
	s_or_b32 s20, s12, 0x60
	;; [unrolled: 10-line block ×4, first 2 shown]
	s_ashr_i32 s25, s24, 4
	s_cmp_lt_i32 s24, s17
	s_cselect_b32 s24, s25, s4
	s_delay_alu instid0(SALU_CYCLE_1) | instskip(NEXT) | instid1(SALU_CYCLE_1)
	s_ashr_i32 s25, s24, 31
	s_lshl_b64 s[24:25], s[24:25], 2
	s_delay_alu instid0(SALU_CYCLE_1)
	s_add_u32 s24, s13, s24
	s_addc_u32 s25, s16, s25
	s_clause 0x5
	s_load_b32 s28, s[2:3], 0x0
	s_load_b32 s29, s[6:7], 0x0
	s_load_b32 s8, s[8:9], 0x0
	s_load_b32 s9, s[20:21], 0x0
	s_load_b32 s33, s[22:23], 0x0
	s_load_b32 s34, s[24:25], 0x0
	s_mov_b32 s20, 0
	s_or_b32 s2, s12, 0xc0
	s_mov_b32 s21, s20
	s_mov_b32 s22, s20
	;; [unrolled: 1-line block ×5, first 2 shown]
	v_lshlrev_b32_e32 v1, 4, v0
	s_ashr_i32 s3, s2, 4
	s_cmp_lt_i32 s2, s17
	s_cselect_b32 s2, s3, s4
	s_delay_alu instid0(VALU_DEP_1) | instskip(SKIP_1) | instid1(SALU_CYCLE_1)
	v_and_b32_e32 v1, 0xf0, v1
	s_ashr_i32 s3, s2, 31
	s_lshl_b64 s[2:3], s[2:3], 2
	s_delay_alu instid0(VALU_DEP_1) | instskip(NEXT) | instid1(VALU_DEP_1)
	v_add_co_u32 v1, s26, s26, v1
	v_add_co_ci_u32_e64 v2, null, s27, 0, s26
	s_add_u32 s2, s13, s2
	s_addc_u32 s3, s16, s3
	s_or_b32 s6, s12, 0xe0
	s_mov_b32 s27, s20
	s_ashr_i32 s7, s6, 4
	s_cmp_lt_i32 s6, s17
	s_mov_b32 s26, s20
	v_dual_mov_b32 v107, s27 :: v_dual_mov_b32 v100, s20
	s_cselect_b32 s6, s7, s4
	v_mov_b32_e32 v106, s26
	s_ashr_i32 s7, s6, 31
	v_mov_b32_e32 v104, s24
	s_lshl_b64 s[6:7], s[6:7], 2
	v_dual_mov_b32 v103, s23 :: v_dual_mov_b32 v102, s22
	v_mov_b32_e32 v101, s21
	s_waitcnt vmcnt(1)
	v_mad_i64_i32 v[33:34], null, v5, s5, v[1:2]
	s_waitcnt vmcnt(0)
	v_mad_i64_i32 v[35:36], null, v3, s5, v[1:2]
	s_clause 0xf
	global_load_b128 v[1:4], v[33:34], off
	global_load_b128 v[5:8], v[33:34], off offset:256
	global_load_b128 v[9:12], v[35:36], off
	global_load_b128 v[13:16], v[35:36], off offset:256
	global_load_b128 v[17:20], v[33:34], off offset:512
	global_load_b128 v[21:24], v[33:34], off offset:768
	global_load_b128 v[25:28], v[35:36], off offset:512
	global_load_b128 v[29:32], v[35:36], off offset:768
	global_load_b128 v[57:60], v[33:34], off offset:1024
	global_load_b128 v[61:64], v[33:34], off offset:1280
	global_load_b128 v[76:79], v[35:36], off offset:1024
	global_load_b128 v[80:83], v[35:36], off offset:1280
	global_load_b128 v[84:87], v[33:34], off offset:1536
	global_load_b128 v[88:91], v[33:34], off offset:1792
	global_load_b128 v[92:95], v[35:36], off offset:1536
	global_load_b128 v[96:99], v[35:36], off offset:1792
	v_add_nc_u32_e32 v33, -13, v65
	v_lshlrev_b32_e32 v34, 4, v65
	s_delay_alu instid0(VALU_DEP_2) | instskip(SKIP_1) | instid1(VALU_DEP_3)
	v_cndmask_b32_e32 v33, v33, v65, vcc_lo
	v_mov_b32_e32 v105, s25
	v_lshl_or_b32 v41, v66, 8, v34
	s_delay_alu instid0(VALU_DEP_3)
	v_lshlrev_b32_e32 v72, 6, v33
	ds_load_b128 v[33:36], v72
	ds_load_b128 v[37:40], v72 offset:1024
	ds_load_b128 v[108:111], v72 offset:2048
	;; [unrolled: 1-line block ×3, first 2 shown]
	s_load_b32 s4, s[2:3], 0x0
	s_add_u32 s2, s13, s6
	s_addc_u32 s3, s16, s7
	ds_load_b128 v[116:119], v72 offset:4096
	ds_load_b128 v[120:123], v72 offset:5120
	s_load_b32 s2, s[2:3], 0x0
	s_add_u32 s6, s10, s15
	s_addc_u32 s7, s11, s19
	v_add_co_u32 v68, s6, s6, v41
	s_delay_alu instid0(VALU_DEP_1) | instskip(SKIP_1) | instid1(VALU_DEP_1)
	v_add_co_ci_u32_e64 v69, null, s7, 0, s6
	s_waitcnt lgkmcnt(0)
	v_mad_i64_i32 v[41:42], null, s28, s5, v[68:69]
	v_mad_i64_i32 v[70:71], null, s8, s5, v[68:69]
	;; [unrolled: 1-line block ×7, first 2 shown]
	s_clause 0x3
	global_load_b128 v[49:52], v[41:42], off
	global_load_b128 v[53:56], v[41:42], off offset:16
	global_load_b128 v[41:44], v[45:46], off
	global_load_b128 v[45:48], v[45:46], off offset:16
	s_waitcnt vmcnt(18)
	v_wmma_f32_16x16x16_bf16 v[124:131], v[1:8], v[33:40], v[100:107]
	s_waitcnt vmcnt(16)
	v_wmma_f32_16x16x16_bf16 v[100:107], v[9:16], v[33:40], v[100:107]
	s_clause 0x1
	global_load_b128 v[33:36], v[70:71], off
	global_load_b128 v[37:40], v[70:71], off offset:16
	v_mad_i64_i32 v[70:71], null, s2, s5, v[68:69]
	s_waitcnt vmcnt(16)
	v_wmma_f32_16x16x16_bf16 v[124:131], v[17:24], v[108:115], v[124:131]
	s_waitcnt vmcnt(14)
	v_wmma_f32_16x16x16_bf16 v[100:107], v[25:32], v[108:115], v[100:107]
	s_clause 0x7
	global_load_b128 v[25:28], v[132:133], off
	global_load_b128 v[29:32], v[132:133], off offset:16
	global_load_b128 v[1:4], v[134:135], off
	global_load_b128 v[5:8], v[134:135], off offset:16
	;; [unrolled: 2-line block ×4, first 2 shown]
	s_waitcnt vmcnt(20)
	v_wmma_f32_16x16x16_bf16 v[124:131], v[57:64], v[116:123], v[124:131]
	s_clause 0x1
	global_load_b128 v[57:60], v[70:71], off
	global_load_b128 v[61:64], v[70:71], off offset:16
	s_waitcnt vmcnt(20)
	v_wmma_f32_16x16x16_bf16 v[100:107], v[76:83], v[116:123], v[100:107]
	ds_load_b128 v[76:79], v72 offset:6144
	ds_load_b128 v[80:83], v72 offset:7168
	v_and_b32_e32 v68, 0xe0, v0
	v_mbcnt_lo_u32_b32 v69, -1, 0
	s_waitcnt vmcnt(0) lgkmcnt(0)
	s_barrier
	buffer_gl0_inv
	v_add_nc_u32_e32 v68, s12, v68
	v_xor_b32_e32 v70, 16, v69
	s_delay_alu instid0(VALU_DEP_2) | instskip(NEXT) | instid1(VALU_DEP_2)
	v_or_b32_e32 v68, v68, v74
	v_cmp_gt_i32_e32 vcc_lo, 32, v70
	s_delay_alu instid0(VALU_DEP_2)
	v_or_b32_e32 v71, 4, v68
	v_or_b32_e32 v72, 6, v68
	v_cmp_gt_i32_e64 s2, s17, v68
	v_or_b32_e32 v108, 8, v68
	v_wmma_f32_16x16x16_bf16 v[124:131], v[84:91], v[76:83], v[124:131]
	v_cndmask_b32_e32 v69, v69, v70, vcc_lo
	v_or_b32_e32 v70, 2, v68
	v_wmma_f32_16x16x16_bf16 v[100:107], v[92:99], v[76:83], v[100:107]
	v_or_b32_e32 v109, 10, v68
	v_dual_mul_f32 v82, s18, v127 :: v_dual_mul_f32 v79, s18, v130
	v_dual_mul_f32 v92, s18, v125 :: v_dual_mul_f32 v93, s18, v124
	s_delay_alu instid0(VALU_DEP_4)
	v_mul_f32_e32 v98, s18, v103
	v_cmp_gt_i32_e32 vcc_lo, s17, v70
	v_or_b32_e32 v89, 22, v68
	v_dual_mul_f32 v83, s18, v126 :: v_dual_mul_f32 v96, s18, v105
	v_cndmask_b32_e64 v93, 0xff7fffff, v93, s2
	v_cndmask_b32_e32 v92, 0xff7fffff, v92, vcc_lo
	v_cmp_gt_i32_e64 s3, s17, v71
	v_cmp_gt_i32_e64 s4, s17, v72
	v_or_b32_e32 v84, 12, v68
	v_or_b32_e32 v85, 14, v68
	v_dual_mul_f32 v80, s18, v129 :: v_dual_mul_f32 v81, s18, v128
	v_mul_f32_e32 v94, s18, v107
	v_cndmask_b32_e64 v71, 0xff7fffff, v83, s3
	v_cndmask_b32_e64 v72, 0xff7fffff, v82, s4
	v_cmp_gt_i32_e64 s5, s17, v108
	v_cmp_gt_i32_e64 s6, s17, v109
	;; [unrolled: 1-line block ×3, first 2 shown]
	v_lshlrev_b32_e32 v89, 2, v69
	v_max3_f32 v82, v93, 0xff7fffff, v92
	v_or_b32_e32 v86, 16, v68
	v_or_b32_e32 v87, 18, v68
	v_mul_f32_e32 v78, s18, v131
	v_cndmask_b32_e64 v81, 0xff7fffff, v81, s5
	v_cndmask_b32_e64 v80, 0xff7fffff, v80, s6
	v_max3_f32 v71, v82, v71, v72
	v_cmp_gt_i32_e64 s7, s17, v84
	v_cmp_gt_i32_e64 s8, s17, v85
	v_or_b32_e32 v88, 20, v68
	v_or_b32_e32 v90, 24, v68
	;; [unrolled: 1-line block ×5, first 2 shown]
	v_dual_mul_f32 v95, s18, v106 :: v_dual_mul_f32 v70, s18, v101
	v_dual_mul_f32 v99, s18, v102 :: v_dual_mul_f32 v68, s18, v100
	v_cndmask_b32_e64 v72, 0xff7fffff, v79, s7
	v_cndmask_b32_e64 v78, 0xff7fffff, v78, s8
	v_max3_f32 v71, v71, v81, v80
	v_cmp_gt_i32_e64 s9, s17, v86
	v_cmp_gt_i32_e64 s10, s17, v87
	;; [unrolled: 1-line block ×3, first 2 shown]
	v_mul_f32_e32 v97, s18, v104
	v_max3_f32 v71, v71, v72, v78
	v_cndmask_b32_e64 v68, 0xff7fffff, v68, s9
	v_cndmask_b32_e64 v70, 0xff7fffff, v70, s10
	;; [unrolled: 1-line block ×4, first 2 shown]
	v_cmp_gt_i32_e64 s13, s17, v90
	v_cmp_gt_i32_e64 s15, s17, v91
	v_max3_f32 v68, v71, v68, v70
	v_cmp_gt_i32_e64 s16, s17, v76
	v_cmp_gt_i32_e64 s17, s17, v77
	v_cndmask_b32_e64 v70, 0xff7fffff, v97, s13
	v_cndmask_b32_e64 v71, 0xff7fffff, v96, s15
	v_max3_f32 v68, v68, v72, v78
	v_cndmask_b32_e64 v72, 0xff7fffff, v95, s16
	v_cndmask_b32_e64 v76, 0xff7fffff, v94, s17
	s_delay_alu instid0(VALU_DEP_3) | instskip(NEXT) | instid1(VALU_DEP_1)
	v_max3_f32 v68, v68, v70, v71
	v_max3_f32 v68, v68, v72, v76
	ds_bpermute_b32 v69, v89, v68
	s_waitcnt lgkmcnt(0)
	v_max_f32_e32 v69, v69, v69
	s_delay_alu instid0(VALU_DEP_1) | instskip(NEXT) | instid1(VALU_DEP_1)
	v_max_f32_e32 v68, v68, v69
	v_fma_f32 v69, s18, v124, -v68
	v_fma_f32 v70, s18, v125, -v68
	;; [unrolled: 1-line block ×5, first 2 shown]
	s_delay_alu instid0(VALU_DEP_4) | instskip(NEXT) | instid1(VALU_DEP_4)
	v_dual_mul_f32 v69, 0x3fb8aa3b, v69 :: v_dual_mul_f32 v70, 0x3fb8aa3b, v70
	v_mul_f32_e32 v72, 0x3fb8aa3b, v72
	v_fma_f32 v78, s18, v130, -v68
	s_delay_alu instid0(VALU_DEP_4) | instskip(NEXT) | instid1(VALU_DEP_4)
	v_mul_f32_e32 v77, 0x3fb8aa3b, v76
	v_exp_f32_e32 v69, v69
	v_exp_f32_e32 v70, v70
	v_mul_f32_e32 v71, 0x3fb8aa3b, v71
	v_exp_f32_e32 v72, v72
	v_mul_f32_e32 v78, 0x3fb8aa3b, v78
	v_exp_f32_e32 v77, v77
	v_fma_f32 v81, s18, v105, -v68
	s_delay_alu instid0(VALU_DEP_2)
	v_exp_f32_e32 v78, v78
	v_cndmask_b32_e64 v80, 0, v69, s2
	v_cndmask_b32_e32 v76, 0, v70, vcc_lo
	v_exp_f32_e32 v71, v71
	v_fma_f32 v69, s18, v129, -v68
	v_cndmask_b32_e64 v85, 0, v72, s4
	v_add_f32_e32 v70, 0, v80
	s_delay_alu instid0(TRANS32_DEP_3)
	v_cndmask_b32_e64 v86, 0, v77, s5
	v_fma_f32 v77, s18, v101, -v68
	v_mul_f32_e32 v69, 0x3fb8aa3b, v69
	v_fma_f32 v72, s18, v100, -v68
	v_cndmask_b32_e64 v84, 0, v78, s7
	v_fma_f32 v78, s18, v103, -v68
	v_cndmask_b32_e64 v83, 0, v71, s3
	v_fma_f32 v71, s18, v131, -v68
	v_add_f32_e32 v70, v70, v76
	v_exp_f32_e32 v69, v69
	v_mul_f32_e32 v77, 0x3fb8aa3b, v77
	v_mul_f32_e32 v81, 0x3fb8aa3b, v81
	;; [unrolled: 1-line block ×3, first 2 shown]
	v_add_f32_e32 v70, v70, v83
	v_cmp_gt_u32_e64 s2, 16, v67
	v_exp_f32_e32 v77, v77
	v_exp_f32_e32 v81, v81
	;; [unrolled: 1-line block ×3, first 2 shown]
	v_cndmask_b32_e64 v87, 0, v69, s6
	v_add_f32_e32 v70, v70, v85
	s_delay_alu instid0(VALU_DEP_1) | instskip(SKIP_1) | instid1(VALU_DEP_2)
	v_dual_mul_f32 v72, 0x3fb8aa3b, v72 :: v_dual_add_f32 v69, v70, v86
	v_fma_f32 v70, s18, v102, -v68
	v_exp_f32_e32 v72, v72
	s_waitcnt_depctr 0xfff
	v_cndmask_b32_e64 v88, 0, v71, s8
	v_fma_f32 v71, s18, v104, -v68
	v_dual_add_f32 v69, v69, v87 :: v_dual_mul_f32 v70, 0x3fb8aa3b, v70
	s_delay_alu instid0(VALU_DEP_2) | instskip(NEXT) | instid1(VALU_DEP_2)
	v_dual_mul_f32 v78, 0x3fb8aa3b, v78 :: v_dual_mul_f32 v71, 0x3fb8aa3b, v71
	v_add_f32_e32 v69, v69, v84
	s_delay_alu instid0(VALU_DEP_3) | instskip(SKIP_1) | instid1(VALU_DEP_3)
	v_exp_f32_e32 v79, v70
	v_cndmask_b32_e64 v70, 0, v72, s9
	v_exp_f32_e32 v78, v78
	v_exp_f32_e32 v82, v71
	v_add_f32_e32 v72, v69, v88
	v_cndmask_b32_e64 v69, 0, v77, s10
	v_fma_f32 v77, s18, v106, -v68
	s_delay_alu instid0(VALU_DEP_3) | instskip(NEXT) | instid1(TRANS32_DEP_3)
	v_add_f32_e32 v72, v72, v70
	v_cndmask_b32_e64 v71, 0, v79, s11
	s_delay_alu instid0(VALU_DEP_3) | instskip(NEXT) | instid1(VALU_DEP_3)
	v_mul_f32_e32 v77, 0x3fb8aa3b, v77
	v_add_f32_e32 v79, v72, v69
	s_delay_alu instid0(TRANS32_DEP_2) | instskip(NEXT) | instid1(VALU_DEP_3)
	v_cndmask_b32_e64 v72, 0, v78, s12
	v_exp_f32_e32 v90, v77
	v_cndmask_b32_e64 v77, 0, v82, s13
	s_delay_alu instid0(VALU_DEP_3) | instskip(SKIP_1) | instid1(VALU_DEP_1)
	v_add_f32_e32 v78, v79, v71
	v_fma_f32 v79, s18, v107, -v68
	v_dual_add_f32 v82, v78, v72 :: v_dual_mul_f32 v79, 0x3fb8aa3b, v79
	v_cndmask_b32_e64 v78, 0, v81, s15
	s_delay_alu instid0(VALU_DEP_2) | instskip(NEXT) | instid1(VALU_DEP_3)
	v_add_f32_e32 v81, v82, v77
	v_exp_f32_e32 v82, v79
	s_delay_alu instid0(TRANS32_DEP_2) | instskip(NEXT) | instid1(VALU_DEP_2)
	v_cndmask_b32_e64 v79, 0, v90, s16
	v_add_f32_e32 v81, v81, v78
	s_delay_alu instid0(VALU_DEP_1) | instskip(SKIP_2) | instid1(VALU_DEP_1)
	v_add_f32_e32 v90, v81, v79
	s_waitcnt_depctr 0xfff
	v_cndmask_b32_e64 v81, 0, v82, s17
	v_add_f32_e32 v82, v90, v81
	ds_bpermute_b32 v89, v89, v82
	s_and_saveexec_b32 s3, s2
	s_cbranch_execz .LBB1518_12
; %bb.11:
	v_mul_u32_u24_e32 v67, 0x44, v66
	s_delay_alu instid0(VALU_DEP_1) | instskip(SKIP_1) | instid1(VALU_DEP_1)
	v_lshl_add_u32 v67, v65, 2, v67
	s_waitcnt lgkmcnt(0)
	v_dual_add_f32 v82, v82, v89 :: v_dual_add_nc_u32 v67, 0x4000, v67
	ds_store_2addr_b32 v67, v68, v82 offset1:136
.LBB1518_12:
	s_or_b32 exec_lo, exec_lo, s3
	v_lshlrev_b32_e32 v67, 2, v65
	s_waitcnt lgkmcnt(0)
	s_barrier
	buffer_gl0_inv
	v_cmp_eq_u32_e32 vcc_lo, 1, v66
	v_add_nc_u32_e32 v82, 0x4000, v67
	v_cmp_eq_u32_e64 s3, 2, v66
	v_cmp_eq_u32_e64 s5, 7, v66
	ds_load_2addr_b32 v[89:90], v82 offset1:17
	ds_load_2addr_b32 v[91:92], v82 offset0:34 offset1:51
	ds_load_2addr_b32 v[93:94], v82 offset0:68 offset1:85
	ds_load_2addr_b32 v[95:96], v82 offset0:102 offset1:119
	ds_load_2addr_b32 v[97:98], v82 offset0:136 offset1:153
	s_waitcnt lgkmcnt(4)
	v_max3_f32 v67, v89, 0xff7fffff, v90
	s_waitcnt lgkmcnt(3)
	s_delay_alu instid0(VALU_DEP_1) | instskip(SKIP_1) | instid1(VALU_DEP_1)
	v_max3_f32 v67, v67, v91, v92
	s_waitcnt lgkmcnt(2)
	v_max3_f32 v67, v67, v93, v94
	s_waitcnt lgkmcnt(1)
	s_delay_alu instid0(VALU_DEP_1) | instskip(NEXT) | instid1(VALU_DEP_1)
	v_max3_f32 v67, v67, v95, v96
	v_sub_f32_e32 v93, v93, v67
	s_delay_alu instid0(VALU_DEP_1) | instskip(NEXT) | instid1(VALU_DEP_1)
	v_dual_sub_f32 v68, v89, v67 :: v_dual_mul_f32 v103, 0x3fb8aa3b, v93
	v_mul_f32_e32 v68, 0x3fb8aa3b, v68
	s_delay_alu instid0(VALU_DEP_1)
	v_exp_f32_e32 v100, v68
	v_sub_f32_e32 v68, v92, v67
	v_sub_f32_e32 v99, v90, v67
	ds_load_2addr_b32 v[89:90], v82 offset0:170 offset1:187
	v_dual_mul_f32 v102, 0x3fb8aa3b, v68 :: v_dual_mul_f32 v99, 0x3fb8aa3b, v99
	s_waitcnt lgkmcnt(1)
	v_fma_f32 v68, v100, v97, 0
	s_delay_alu instid0(VALU_DEP_2) | instskip(NEXT) | instid1(VALU_DEP_2)
	v_exp_f32_e32 v102, v102
	v_exp_f32_e32 v99, v99
	s_waitcnt_depctr 0xfff
	v_fmac_f32_e32 v68, v99, v98
	v_sub_f32_e32 v91, v91, v67
	s_delay_alu instid0(VALU_DEP_1)
	v_mul_f32_e32 v101, 0x3fb8aa3b, v91
	ds_load_2addr_b32 v[91:92], v82 offset0:204 offset1:221
	v_sub_f32_e32 v97, v94, v67
	ds_load_2addr_b32 v[93:94], v82 offset0:238 offset1:255
	s_waitcnt lgkmcnt(0)
	v_exp_f32_e32 v101, v101
	s_barrier
	buffer_gl0_inv
	v_dual_fmac_f32 v68, v101, v89 :: v_dual_sub_f32 v89, v96, v67
	v_dual_sub_f32 v82, v95, v67 :: v_dual_mul_f32 v95, 0x3fb8aa3b, v97
	v_exp_f32_e32 v97, v103
	s_delay_alu instid0(VALU_DEP_2) | instskip(NEXT) | instid1(VALU_DEP_2)
	v_dual_fmac_f32 v68, v102, v90 :: v_dual_mul_f32 v89, 0x3fb8aa3b, v89
	v_mul_f32_e32 v82, 0x3fb8aa3b, v82
	s_delay_alu instid0(VALU_DEP_3) | instskip(NEXT) | instid1(VALU_DEP_2)
	v_exp_f32_e32 v95, v95
	v_exp_f32_e32 v89, v89
	s_delay_alu instid0(VALU_DEP_1)
	v_exp_f32_e32 v82, v82
	v_fmac_f32_e32 v68, v97, v91
	s_delay_alu instid0(TRANS32_DEP_3) | instid1(VALU_DEP_1)
	v_fmac_f32_e32 v68, v95, v92
	s_waitcnt_depctr 0xfff
	v_fmac_f32_e32 v68, v82, v93
	s_delay_alu instid0(VALU_DEP_1) | instskip(NEXT) | instid1(VALU_DEP_1)
	v_fmac_f32_e32 v68, v89, v94
	v_add_f32_e32 v90, 0x358637bd, v68
	s_delay_alu instid0(VALU_DEP_1) | instskip(NEXT) | instid1(VALU_DEP_1)
	v_div_scale_f32 v91, null, v90, v90, 1.0
	v_rcp_f32_e32 v92, v91
	s_waitcnt_depctr 0xfff
	v_fma_f32 v93, -v91, v92, 1.0
	s_delay_alu instid0(VALU_DEP_1) | instskip(SKIP_1) | instid1(VALU_DEP_2)
	v_dual_fmac_f32 v92, v93, v92 :: v_dual_cndmask_b32 v93, v100, v99
	v_cmp_eq_u32_e32 vcc_lo, 3, v66
	v_cndmask_b32_e64 v93, v93, v101, s3
	v_cmp_eq_u32_e64 s3, 4, v66
	s_delay_alu instid0(VALU_DEP_2) | instskip(SKIP_1) | instid1(VALU_DEP_2)
	v_cndmask_b32_e32 v93, v93, v102, vcc_lo
	v_cmp_eq_u32_e32 vcc_lo, 5, v66
	v_cndmask_b32_e64 v93, v93, v97, s3
	v_cmp_eq_u32_e64 s3, 6, v66
	s_delay_alu instid0(VALU_DEP_2) | instskip(SKIP_1) | instid1(VALU_DEP_1)
	v_cndmask_b32_e32 v93, v93, v95, vcc_lo
	v_div_scale_f32 v94, s4, 1.0, v90, 1.0
	s_mov_b32 vcc_lo, s4
	s_delay_alu instid0(VALU_DEP_2) | instskip(NEXT) | instid1(VALU_DEP_2)
	v_cndmask_b32_e64 v82, v93, v82, s3
	v_mul_f32_e32 v96, v94, v92
	s_mov_b32 s3, exec_lo
	s_delay_alu instid0(VALU_DEP_2) | instskip(NEXT) | instid1(VALU_DEP_2)
	v_cndmask_b32_e64 v82, v82, v89, s5
	v_fma_f32 v98, -v91, v96, v94
	s_delay_alu instid0(VALU_DEP_1) | instskip(NEXT) | instid1(VALU_DEP_1)
	v_fmac_f32_e32 v96, v98, v92
	v_fma_f32 v91, -v91, v96, v94
	s_delay_alu instid0(VALU_DEP_1) | instskip(NEXT) | instid1(VALU_DEP_1)
	v_div_fmas_f32 v91, v91, v92, v96
	v_div_fixup_f32 v90, v91, v90, 1.0
	s_delay_alu instid0(VALU_DEP_1) | instskip(NEXT) | instid1(VALU_DEP_1)
	v_mul_f32_e32 v82, v82, v90
	v_mul_f32_e32 v87, v82, v87
	;; [unrolled: 1-line block ×7, first 2 shown]
	v_dual_mul_f32 v86, v82, v83 :: v_dual_and_b32 v91, 0x7f800000, v90
	v_mul_f32_e32 v85, v82, v76
                                        ; implicit-def: $vgpr76
	s_delay_alu instid0(VALU_DEP_2)
	v_cmpx_ne_u32_e32 0x7f800000, v91
	s_xor_b32 s3, exec_lo, s3
; %bb.13:
	v_bfe_u32 v76, v90, 16, 1
	s_delay_alu instid0(VALU_DEP_1)
	v_add3_u32 v76, v90, v76, 0x7fff
                                        ; implicit-def: $vgpr90
; %bb.14:
	s_and_not1_saveexec_b32 s3, s3
; %bb.15:
	v_and_b32_e32 v76, 0xffff, v90
	v_or_b32_e32 v83, 0x10000, v90
	s_delay_alu instid0(VALU_DEP_2) | instskip(NEXT) | instid1(VALU_DEP_2)
	v_cmp_eq_u32_e32 vcc_lo, 0, v76
	v_cndmask_b32_e32 v76, v83, v90, vcc_lo
; %bb.16:
	s_or_b32 exec_lo, exec_lo, s3
	v_and_b32_e32 v83, 0x7f800000, v85
	s_delay_alu instid0(VALU_DEP_1) | instskip(SKIP_1) | instid1(SALU_CYCLE_1)
	v_cmp_ne_u32_e32 vcc_lo, 0x7f800000, v83
                                        ; implicit-def: $vgpr83
	s_and_saveexec_b32 s3, vcc_lo
	s_xor_b32 s3, exec_lo, s3
; %bb.17:
	v_bfe_u32 v83, v85, 16, 1
	s_delay_alu instid0(VALU_DEP_1)
	v_add3_u32 v83, v85, v83, 0x7fff
                                        ; implicit-def: $vgpr85
; %bb.18:
	s_and_not1_saveexec_b32 s3, s3
; %bb.19:
	v_and_b32_e32 v83, 0xffff, v85
	v_or_b32_e32 v90, 0x10000, v85
	s_delay_alu instid0(VALU_DEP_2) | instskip(NEXT) | instid1(VALU_DEP_2)
	v_cmp_eq_u32_e32 vcc_lo, 0, v83
	v_cndmask_b32_e32 v83, v90, v85, vcc_lo
; %bb.20:
	s_or_b32 exec_lo, exec_lo, s3
	v_and_b32_e32 v85, 0x7f800000, v86
	s_delay_alu instid0(VALU_DEP_1) | instskip(SKIP_1) | instid1(SALU_CYCLE_1)
	v_cmp_ne_u32_e32 vcc_lo, 0x7f800000, v85
                                        ; implicit-def: $vgpr85
	s_and_saveexec_b32 s3, vcc_lo
	s_xor_b32 s3, exec_lo, s3
; %bb.21:
	v_bfe_u32 v85, v86, 16, 1
	s_delay_alu instid0(VALU_DEP_1)
	v_add3_u32 v85, v86, v85, 0x7fff
                                        ; implicit-def: $vgpr86
; %bb.22:
	s_and_not1_saveexec_b32 s3, s3
; %bb.23:
	v_and_b32_e32 v85, 0xffff, v86
	v_or_b32_e32 v90, 0x10000, v86
	s_delay_alu instid0(VALU_DEP_2) | instskip(NEXT) | instid1(VALU_DEP_2)
	v_cmp_eq_u32_e32 vcc_lo, 0, v85
	v_cndmask_b32_e32 v85, v90, v86, vcc_lo
; %bb.24:
	s_or_b32 exec_lo, exec_lo, s3
	v_and_b32_e32 v86, 0x7f800000, v89
	s_delay_alu instid0(VALU_DEP_1) | instskip(SKIP_1) | instid1(SALU_CYCLE_1)
	v_cmp_ne_u32_e32 vcc_lo, 0x7f800000, v86
                                        ; implicit-def: $vgpr86
	s_and_saveexec_b32 s3, vcc_lo
	s_xor_b32 s3, exec_lo, s3
; %bb.25:
	v_bfe_u32 v86, v89, 16, 1
	s_delay_alu instid0(VALU_DEP_1)
	v_add3_u32 v86, v89, v86, 0x7fff
                                        ; implicit-def: $vgpr89
; %bb.26:
	s_and_not1_saveexec_b32 s3, s3
; %bb.27:
	v_and_b32_e32 v86, 0xffff, v89
	v_or_b32_e32 v90, 0x10000, v89
	s_delay_alu instid0(VALU_DEP_2) | instskip(NEXT) | instid1(VALU_DEP_2)
	v_cmp_eq_u32_e32 vcc_lo, 0, v86
	v_cndmask_b32_e32 v86, v90, v89, vcc_lo
; %bb.28:
	s_or_b32 exec_lo, exec_lo, s3
	v_and_b32_e32 v89, 0x7f800000, v88
	s_delay_alu instid0(VALU_DEP_1) | instskip(SKIP_1) | instid1(SALU_CYCLE_1)
	v_cmp_ne_u32_e32 vcc_lo, 0x7f800000, v89
                                        ; implicit-def: $vgpr89
	s_and_saveexec_b32 s3, vcc_lo
	s_xor_b32 s3, exec_lo, s3
; %bb.29:
	v_bfe_u32 v89, v88, 16, 1
	s_delay_alu instid0(VALU_DEP_1)
	v_add3_u32 v89, v88, v89, 0x7fff
                                        ; implicit-def: $vgpr88
; %bb.30:
	s_and_not1_saveexec_b32 s3, s3
; %bb.31:
	v_and_b32_e32 v89, 0xffff, v88
	v_or_b32_e32 v90, 0x10000, v88
	s_delay_alu instid0(VALU_DEP_2) | instskip(NEXT) | instid1(VALU_DEP_2)
	v_cmp_eq_u32_e32 vcc_lo, 0, v89
	v_cndmask_b32_e32 v89, v90, v88, vcc_lo
; %bb.32:
	s_or_b32 exec_lo, exec_lo, s3
	v_and_b32_e32 v88, 0x7f800000, v87
	s_delay_alu instid0(VALU_DEP_1) | instskip(SKIP_1) | instid1(SALU_CYCLE_1)
	v_cmp_ne_u32_e32 vcc_lo, 0x7f800000, v88
                                        ; implicit-def: $vgpr88
	s_and_saveexec_b32 s3, vcc_lo
	s_xor_b32 s3, exec_lo, s3
; %bb.33:
	v_bfe_u32 v88, v87, 16, 1
	s_delay_alu instid0(VALU_DEP_1)
	v_add3_u32 v88, v87, v88, 0x7fff
                                        ; implicit-def: $vgpr87
; %bb.34:
	s_and_not1_saveexec_b32 s3, s3
; %bb.35:
	v_and_b32_e32 v88, 0xffff, v87
	v_or_b32_e32 v90, 0x10000, v87
	s_delay_alu instid0(VALU_DEP_2) | instskip(NEXT) | instid1(VALU_DEP_2)
	v_cmp_eq_u32_e32 vcc_lo, 0, v88
	v_cndmask_b32_e32 v88, v90, v87, vcc_lo
; %bb.36:
	s_or_b32 exec_lo, exec_lo, s3
	v_and_b32_e32 v87, 0x7f800000, v84
	s_delay_alu instid0(VALU_DEP_1) | instskip(SKIP_1) | instid1(SALU_CYCLE_1)
	v_cmp_ne_u32_e32 vcc_lo, 0x7f800000, v87
                                        ; implicit-def: $vgpr87
	s_and_saveexec_b32 s3, vcc_lo
	s_xor_b32 s3, exec_lo, s3
; %bb.37:
	v_bfe_u32 v87, v84, 16, 1
	s_delay_alu instid0(VALU_DEP_1)
	v_add3_u32 v87, v84, v87, 0x7fff
                                        ; implicit-def: $vgpr84
; %bb.38:
	s_and_not1_saveexec_b32 s3, s3
; %bb.39:
	v_and_b32_e32 v87, 0xffff, v84
	v_or_b32_e32 v90, 0x10000, v84
	s_delay_alu instid0(VALU_DEP_2) | instskip(NEXT) | instid1(VALU_DEP_2)
	v_cmp_eq_u32_e32 vcc_lo, 0, v87
	v_cndmask_b32_e32 v87, v90, v84, vcc_lo
; %bb.40:
	s_or_b32 exec_lo, exec_lo, s3
	v_and_b32_e32 v84, 0x7f800000, v80
	s_delay_alu instid0(VALU_DEP_1) | instskip(SKIP_1) | instid1(SALU_CYCLE_1)
	v_cmp_ne_u32_e32 vcc_lo, 0x7f800000, v84
                                        ; implicit-def: $vgpr84
	s_and_saveexec_b32 s3, vcc_lo
	s_xor_b32 s3, exec_lo, s3
; %bb.41:
	v_bfe_u32 v84, v80, 16, 1
	s_delay_alu instid0(VALU_DEP_1)
	v_add3_u32 v84, v80, v84, 0x7fff
                                        ; implicit-def: $vgpr80
; %bb.42:
	s_and_not1_saveexec_b32 s3, s3
; %bb.43:
	v_and_b32_e32 v84, 0xffff, v80
	v_or_b32_e32 v90, 0x10000, v80
	s_delay_alu instid0(VALU_DEP_2) | instskip(NEXT) | instid1(VALU_DEP_2)
	v_cmp_eq_u32_e32 vcc_lo, 0, v84
	v_cndmask_b32_e32 v84, v90, v80, vcc_lo
; %bb.44:
	s_or_b32 exec_lo, exec_lo, s3
	s_load_b64 s[34:35], s[0:1], 0x94
	v_lshlrev_b32_e32 v91, 4, v74
	s_delay_alu instid0(VALU_DEP_2)
	v_perm_b32 v90, v84, v87, 0x7060302
	v_dual_mul_f32 v79, v82, v79 :: v_dual_lshlrev_b32 v80, 6, v65
	v_dual_mul_f32 v77, v82, v77 :: v_dual_lshlrev_b32 v92, 11, v66
	v_mul_f32_e32 v84, v82, v70
	v_perm_b32 v89, v88, v89, 0x7060302
	v_perm_b32 v88, v86, v85, 0x7060302
	;; [unrolled: 1-line block ×3, first 2 shown]
	v_mul_f32_e32 v70, v82, v81
	v_or3_b32 v76, v91, v92, v80
	v_dual_mul_f32 v78, v82, v78 :: v_dual_and_b32 v85, 0x7f800000, v84
	v_mul_f32_e32 v83, v82, v72
	v_mul_f32_e32 v81, v82, v71
	;; [unrolled: 1-line block ×3, first 2 shown]
	s_mov_b32 s3, exec_lo
	ds_store_b128 v76, v[87:90]
                                        ; implicit-def: $vgpr69
	v_cmpx_ne_u32_e32 0x7f800000, v85
	s_xor_b32 s3, exec_lo, s3
; %bb.45:
	v_bfe_u32 v69, v84, 16, 1
	s_delay_alu instid0(VALU_DEP_1)
	v_add3_u32 v69, v84, v69, 0x7fff
                                        ; implicit-def: $vgpr84
; %bb.46:
	s_and_not1_saveexec_b32 s3, s3
; %bb.47:
	v_and_b32_e32 v69, 0xffff, v84
	v_or_b32_e32 v71, 0x10000, v84
	s_delay_alu instid0(VALU_DEP_2) | instskip(NEXT) | instid1(VALU_DEP_2)
	v_cmp_eq_u32_e32 vcc_lo, 0, v69
	v_cndmask_b32_e32 v69, v71, v84, vcc_lo
; %bb.48:
	s_or_b32 exec_lo, exec_lo, s3
	v_and_b32_e32 v71, 0x7f800000, v72
	s_delay_alu instid0(VALU_DEP_1) | instskip(SKIP_1) | instid1(SALU_CYCLE_1)
	v_cmp_ne_u32_e32 vcc_lo, 0x7f800000, v71
                                        ; implicit-def: $vgpr71
	s_and_saveexec_b32 s3, vcc_lo
	s_xor_b32 s3, exec_lo, s3
; %bb.49:
	v_bfe_u32 v71, v72, 16, 1
	s_delay_alu instid0(VALU_DEP_1)
	v_add3_u32 v71, v72, v71, 0x7fff
                                        ; implicit-def: $vgpr72
; %bb.50:
	s_and_not1_saveexec_b32 s3, s3
; %bb.51:
	v_and_b32_e32 v71, 0xffff, v72
	v_or_b32_e32 v82, 0x10000, v72
	s_delay_alu instid0(VALU_DEP_2) | instskip(NEXT) | instid1(VALU_DEP_2)
	v_cmp_eq_u32_e32 vcc_lo, 0, v71
	v_cndmask_b32_e32 v71, v82, v72, vcc_lo
; %bb.52:
	s_or_b32 exec_lo, exec_lo, s3
	v_and_b32_e32 v72, 0x7f800000, v81
	s_delay_alu instid0(VALU_DEP_1) | instskip(SKIP_1) | instid1(SALU_CYCLE_1)
	v_cmp_ne_u32_e32 vcc_lo, 0x7f800000, v72
                                        ; implicit-def: $vgpr72
	s_and_saveexec_b32 s3, vcc_lo
	s_xor_b32 s3, exec_lo, s3
; %bb.53:
	v_bfe_u32 v72, v81, 16, 1
	s_delay_alu instid0(VALU_DEP_1)
	v_add3_u32 v72, v81, v72, 0x7fff
                                        ; implicit-def: $vgpr81
; %bb.54:
	s_and_not1_saveexec_b32 s3, s3
; %bb.55:
	v_and_b32_e32 v72, 0xffff, v81
	v_or_b32_e32 v82, 0x10000, v81
	s_delay_alu instid0(VALU_DEP_2) | instskip(NEXT) | instid1(VALU_DEP_2)
	v_cmp_eq_u32_e32 vcc_lo, 0, v72
	v_cndmask_b32_e32 v72, v82, v81, vcc_lo
; %bb.56:
	s_or_b32 exec_lo, exec_lo, s3
	v_and_b32_e32 v81, 0x7f800000, v83
	s_delay_alu instid0(VALU_DEP_1) | instskip(SKIP_1) | instid1(SALU_CYCLE_1)
	v_cmp_ne_u32_e32 vcc_lo, 0x7f800000, v81
                                        ; implicit-def: $vgpr81
	s_and_saveexec_b32 s3, vcc_lo
	s_xor_b32 s3, exec_lo, s3
; %bb.57:
	v_bfe_u32 v81, v83, 16, 1
	s_delay_alu instid0(VALU_DEP_1)
	v_add3_u32 v81, v83, v81, 0x7fff
                                        ; implicit-def: $vgpr83
; %bb.58:
	s_and_not1_saveexec_b32 s3, s3
; %bb.59:
	v_and_b32_e32 v81, 0xffff, v83
	v_or_b32_e32 v82, 0x10000, v83
	s_delay_alu instid0(VALU_DEP_2) | instskip(NEXT) | instid1(VALU_DEP_2)
	v_cmp_eq_u32_e32 vcc_lo, 0, v81
	v_cndmask_b32_e32 v81, v82, v83, vcc_lo
; %bb.60:
	s_or_b32 exec_lo, exec_lo, s3
	v_and_b32_e32 v82, 0x7f800000, v77
	s_delay_alu instid0(VALU_DEP_1) | instskip(SKIP_1) | instid1(SALU_CYCLE_1)
	v_cmp_ne_u32_e32 vcc_lo, 0x7f800000, v82
                                        ; implicit-def: $vgpr82
	s_and_saveexec_b32 s3, vcc_lo
	s_xor_b32 s3, exec_lo, s3
; %bb.61:
	v_bfe_u32 v82, v77, 16, 1
	s_delay_alu instid0(VALU_DEP_1)
	v_add3_u32 v82, v77, v82, 0x7fff
                                        ; implicit-def: $vgpr77
; %bb.62:
	s_and_not1_saveexec_b32 s3, s3
; %bb.63:
	v_and_b32_e32 v82, 0xffff, v77
	v_or_b32_e32 v83, 0x10000, v77
	s_delay_alu instid0(VALU_DEP_2) | instskip(NEXT) | instid1(VALU_DEP_2)
	v_cmp_eq_u32_e32 vcc_lo, 0, v82
	v_cndmask_b32_e32 v82, v83, v77, vcc_lo
; %bb.64:
	s_or_b32 exec_lo, exec_lo, s3
	v_and_b32_e32 v77, 0x7f800000, v78
	s_delay_alu instid0(VALU_DEP_1) | instskip(SKIP_1) | instid1(SALU_CYCLE_1)
	v_cmp_ne_u32_e32 vcc_lo, 0x7f800000, v77
                                        ; implicit-def: $vgpr77
	s_and_saveexec_b32 s3, vcc_lo
	s_xor_b32 s3, exec_lo, s3
; %bb.65:
	v_bfe_u32 v77, v78, 16, 1
	s_delay_alu instid0(VALU_DEP_1)
	v_add3_u32 v77, v78, v77, 0x7fff
                                        ; implicit-def: $vgpr78
; %bb.66:
	s_and_not1_saveexec_b32 s3, s3
; %bb.67:
	v_and_b32_e32 v77, 0xffff, v78
	v_or_b32_e32 v83, 0x10000, v78
	s_delay_alu instid0(VALU_DEP_2) | instskip(NEXT) | instid1(VALU_DEP_2)
	v_cmp_eq_u32_e32 vcc_lo, 0, v77
	v_cndmask_b32_e32 v77, v83, v78, vcc_lo
; %bb.68:
	s_or_b32 exec_lo, exec_lo, s3
	v_and_b32_e32 v78, 0x7f800000, v79
	s_delay_alu instid0(VALU_DEP_1) | instskip(SKIP_1) | instid1(SALU_CYCLE_1)
	v_cmp_ne_u32_e32 vcc_lo, 0x7f800000, v78
                                        ; implicit-def: $vgpr78
	s_and_saveexec_b32 s3, vcc_lo
	s_xor_b32 s3, exec_lo, s3
; %bb.69:
	v_bfe_u32 v78, v79, 16, 1
	s_delay_alu instid0(VALU_DEP_1)
	v_add3_u32 v78, v79, v78, 0x7fff
                                        ; implicit-def: $vgpr79
; %bb.70:
	s_and_not1_saveexec_b32 s3, s3
; %bb.71:
	v_and_b32_e32 v78, 0xffff, v79
	v_or_b32_e32 v83, 0x10000, v79
	s_delay_alu instid0(VALU_DEP_2) | instskip(NEXT) | instid1(VALU_DEP_2)
	v_cmp_eq_u32_e32 vcc_lo, 0, v78
	v_cndmask_b32_e32 v78, v83, v79, vcc_lo
; %bb.72:
	s_or_b32 exec_lo, exec_lo, s3
	v_and_b32_e32 v79, 0x7f800000, v70
	s_delay_alu instid0(VALU_DEP_1) | instskip(SKIP_1) | instid1(SALU_CYCLE_1)
	v_cmp_ne_u32_e32 vcc_lo, 0x7f800000, v79
                                        ; implicit-def: $vgpr79
	s_and_saveexec_b32 s3, vcc_lo
	s_xor_b32 s3, exec_lo, s3
; %bb.73:
	v_bfe_u32 v79, v70, 16, 1
	s_delay_alu instid0(VALU_DEP_1)
	v_add3_u32 v79, v70, v79, 0x7fff
                                        ; implicit-def: $vgpr70
; %bb.74:
	s_and_not1_saveexec_b32 s3, s3
; %bb.75:
	v_and_b32_e32 v79, 0xffff, v70
	v_or_b32_e32 v83, 0x10000, v70
	s_delay_alu instid0(VALU_DEP_2) | instskip(NEXT) | instid1(VALU_DEP_2)
	v_cmp_eq_u32_e32 vcc_lo, 0, v79
	v_cndmask_b32_e32 v79, v83, v70, vcc_lo
; %bb.76:
	s_or_b32 exec_lo, exec_lo, s3
	s_delay_alu instid0(VALU_DEP_1)
	v_perm_b32 v86, v79, v78, 0x7060302
	v_perm_b32 v85, v77, v82, 0x7060302
	;; [unrolled: 1-line block ×4, first 2 shown]
	v_lshl_or_b32 v82, v66, 11, v80
	ds_store_b128 v76, v[83:86] offset:1024
	s_waitcnt lgkmcnt(0)
	s_barrier
	buffer_gl0_inv
	ds_load_b128 v[69:72], v82
	ds_load_b128 v[83:86], v82 offset:16
	s_waitcnt lgkmcnt(1)
	v_lshrrev_b32_e32 v66, 16, v69
	s_waitcnt lgkmcnt(0)
	v_lshrrev_b32_e32 v91, 16, v83
	v_lshlrev_b32_e32 v78, 2, v74
	v_lshrrev_b32_e32 v95, 16, v70
	v_lshrrev_b32_e32 v98, 16, v84
	;; [unrolled: 1-line block ×4, first 2 shown]
	v_cmp_eq_u32_e32 vcc_lo, 1, v78
	v_lshrrev_b32_e32 v97, 16, v72
	v_lshrrev_b32_e32 v100, 16, v86
	v_cndmask_b32_e32 v87, v83, v91, vcc_lo
	v_or_b32_e32 v79, 1, v78
	v_cndmask_b32_e32 v81, v69, v66, vcc_lo
	v_cmp_eq_u32_e64 s4, 2, v78
	v_cmp_eq_u32_e64 s7, 3, v78
	;; [unrolled: 1-line block ×5, first 2 shown]
	v_cndmask_b32_e64 v81, v81, v70, s4
	v_cndmask_b32_e64 v87, v87, v84, s4
	v_cmp_eq_u32_e64 s8, 3, v79
	v_cndmask_b32_e64 v88, v69, v66, s3
	v_or_b32_e32 v77, 2, v78
	v_cndmask_b32_e64 v81, v81, v95, s7
	v_cndmask_b32_e64 v87, v87, v98, s7
	v_cndmask_b32_e64 v89, v83, v91, s3
	v_cndmask_b32_e64 v88, v88, v70, s6
	v_cmp_eq_u32_e64 s10, 5, v78
	v_cndmask_b32_e64 v81, v81, v71, s9
	v_cndmask_b32_e64 v87, v87, v85, s9
	v_cmp_eq_u32_e64 s11, 4, v79
	v_cndmask_b32_e64 v88, v88, v95, s8
	v_cmp_eq_u32_e64 s5, 1, v77
	v_cndmask_b32_e64 v89, v89, v84, s6
	v_cndmask_b32_e64 v81, v81, v96, s10
	v_cmp_eq_u32_e64 s12, 6, v78
	v_cndmask_b32_e64 v88, v88, v71, s11
	;; [unrolled: 3-line block ×3, first 2 shown]
	v_cndmask_b32_e64 v89, v89, v98, s8
	v_cndmask_b32_e64 v81, v81, v72, s12
	v_cmp_eq_u32_e64 s15, 7, v78
	v_cndmask_b32_e64 v88, v88, v96, s13
	v_cndmask_b32_e64 v87, v87, v86, s12
	v_cmp_eq_u32_e64 s16, 6, v79
	v_cmp_eq_u32_e64 s17, 2, v77
	v_cndmask_b32_e64 v89, v89, v85, s11
	v_cndmask_b32_e64 v101, v81, v97, s15
	;; [unrolled: 1-line block ×6, first 2 shown]
	v_cmp_eq_u32_e64 s18, 7, v79
	v_cmp_eq_u32_e64 s19, 3, v77
	;; [unrolled: 1-line block ×4, first 2 shown]
	v_cndmask_b32_e64 v87, v87, v84, s17
	v_cndmask_b32_e64 v103, v88, v97, s18
	;; [unrolled: 1-line block ×4, first 2 shown]
	v_or_b32_e32 v81, 3, v78
	v_cndmask_b32_e64 v93, v87, v98, s19
	v_cmp_eq_u32_e64 s24, 6, v77
	v_cndmask_b32_e64 v104, v88, v86, s16
	v_cndmask_b32_e64 v92, v89, v71, s20
	v_cmp_eq_u32_e64 s21, 1, v81
	ds_load_b128 v[87:90], v82 offset:1024
	v_cmp_eq_u32_e64 s23, 2, v81
	v_cmp_eq_u32_e64 s25, 3, v81
	v_cndmask_b32_e64 v105, v92, v96, s22
	v_cndmask_b32_e64 v66, v69, v66, s21
	;; [unrolled: 1-line block ×4, first 2 shown]
	ds_load_b128 v[91:94], v82 offset:1040
	v_cmp_eq_u32_e64 s26, 4, v81
	v_cndmask_b32_e64 v66, v66, v70, s23
	v_cmp_eq_u32_e64 s27, 7, v77
	v_cndmask_b32_e64 v70, v83, v84, s23
	v_cndmask_b32_e64 v84, v105, v72, s24
	v_cmp_eq_u32_e64 s28, 5, v81
	v_cndmask_b32_e64 v66, v66, v95, s25
	v_cmp_eq_u32_e64 s29, 6, v81
	v_cndmask_b32_e64 v70, v70, v98, s25
	v_cndmask_b32_e64 v69, v69, v99, s22
	v_cndmask_b32_e64 v83, v104, v100, s18
	v_cndmask_b32_e64 v66, v66, v71, s26
	s_waitcnt lgkmcnt(1)
	v_lshrrev_b32_e32 v95, 16, v87
	v_cndmask_b32_e64 v70, v70, v85, s26
	v_cndmask_b32_e64 v71, v84, v97, s27
	;; [unrolled: 1-line block ×4, first 2 shown]
	v_cndmask_b32_e32 v84, v87, v95, vcc_lo
	v_cndmask_b32_e64 v70, v70, v99, s28
	s_waitcnt lgkmcnt(0)
	v_lshrrev_b32_e32 v85, 16, v91
	v_lshrrev_b32_e32 v96, 16, v88
	v_cndmask_b32_e64 v98, v87, v95, s3
	v_cndmask_b32_e64 v84, v84, v88, s4
	;; [unrolled: 1-line block ×3, first 2 shown]
	v_cndmask_b32_e32 v99, v91, v85, vcc_lo
	v_cmp_eq_u32_e32 vcc_lo, 7, v81
	v_cndmask_b32_e64 v66, v66, v72, s29
	v_cndmask_b32_e64 v72, v84, v96, s7
	;; [unrolled: 1-line block ×3, first 2 shown]
	v_lshrrev_b32_e32 v98, 16, v92
	v_cndmask_b32_e32 v70, v70, v100, vcc_lo
	v_cndmask_b32_e64 v86, v99, v92, s4
	v_cndmask_b32_e64 v69, v69, v100, s27
	v_lshrrev_b32_e32 v100, 16, v93
	v_cndmask_b32_e64 v72, v72, v89, s9
	v_lshrrev_b32_e32 v99, 16, v89
	v_cndmask_b32_e64 v86, v86, v98, s7
	v_perm_b32 v71, v69, v71, 0x5040100
	v_cndmask_b32_e64 v84, v84, v96, s8
	s_delay_alu instid0(VALU_DEP_3) | instskip(NEXT) | instid1(VALU_DEP_2)
	v_cndmask_b32_e64 v86, v86, v93, s9
	v_cndmask_b32_e64 v84, v84, v89, s11
	s_delay_alu instid0(VALU_DEP_2) | instskip(NEXT) | instid1(VALU_DEP_1)
	v_cndmask_b32_e64 v86, v86, v100, s10
	v_cndmask_b32_e64 v69, v86, v94, s12
	v_cndmask_b32_e64 v86, v87, v95, s5
	v_cndmask_b32_e64 v87, v87, v95, s21
	v_cndmask_b32_e64 v95, v91, v85, s21
	s_delay_alu instid0(VALU_DEP_3) | instskip(NEXT) | instid1(VALU_DEP_3)
	v_cndmask_b32_e64 v86, v86, v88, s17
	v_cndmask_b32_e64 v87, v87, v88, s23
	s_delay_alu instid0(VALU_DEP_3) | instskip(NEXT) | instid1(VALU_DEP_3)
	v_cndmask_b32_e64 v88, v95, v92, s23
	v_cndmask_b32_e64 v86, v86, v96, s19
	s_delay_alu instid0(VALU_DEP_3) | instskip(NEXT) | instid1(VALU_DEP_3)
	v_cndmask_b32_e64 v87, v87, v96, s25
	v_cndmask_b32_e64 v88, v88, v98, s25
	s_delay_alu instid0(VALU_DEP_3) | instskip(NEXT) | instid1(VALU_DEP_3)
	v_cndmask_b32_e64 v86, v86, v89, s20
	v_cndmask_b32_e64 v87, v87, v89, s26
	s_delay_alu instid0(VALU_DEP_3) | instskip(NEXT) | instid1(VALU_DEP_3)
	v_cndmask_b32_e64 v88, v88, v93, s26
	v_cndmask_b32_e64 v86, v86, v99, s22
	s_delay_alu instid0(VALU_DEP_3) | instskip(NEXT) | instid1(VALU_DEP_3)
	v_cndmask_b32_e64 v87, v87, v99, s28
	v_cndmask_b32_e64 v88, v88, v100, s28
	s_delay_alu instid0(VALU_DEP_3) | instskip(NEXT) | instid1(VALU_DEP_3)
	v_cndmask_b32_e64 v86, v86, v90, s24
	v_cndmask_b32_e64 v87, v87, v90, s29
	s_delay_alu instid0(VALU_DEP_3) | instskip(SKIP_2) | instid1(VALU_DEP_2)
	v_cndmask_b32_e64 v88, v88, v94, s29
	v_cndmask_b32_e32 v66, v66, v97, vcc_lo
	v_cndmask_b32_e64 v97, v72, v99, s10
	v_perm_b32 v72, v70, v66, 0x5040100
	v_perm_b32 v70, v83, v103, 0x5040100
	v_cndmask_b32_e64 v103, v91, v85, s5
	v_cndmask_b32_e64 v85, v91, v85, s3
	;; [unrolled: 1-line block ×4, first 2 shown]
	v_lshrrev_b32_e32 v97, 16, v90
	v_cndmask_b32_e64 v91, v103, v92, s17
	v_cndmask_b32_e64 v85, v85, v92, s6
	;; [unrolled: 1-line block ×3, first 2 shown]
	s_mov_b32 s3, exec_lo
	v_cndmask_b32_e64 v83, v84, v97, s15
	v_cndmask_b32_e64 v91, v91, v98, s19
	;; [unrolled: 1-line block ×3, first 2 shown]
	v_lshrrev_b32_e32 v84, 16, v94
	v_cndmask_b32_e64 v66, v66, v97, s18
	v_cndmask_b32_e64 v90, v86, v97, s27
	;; [unrolled: 1-line block ×4, first 2 shown]
	v_dual_cndmask_b32 v86, v87, v97 :: v_dual_cndmask_b32 v87, v88, v84
	v_cndmask_b32_e64 v91, v69, v84, s15
	s_delay_alu instid0(VALU_DEP_4) | instskip(NEXT) | instid1(VALU_DEP_4)
	v_cndmask_b32_e64 v89, v89, v100, s22
	v_cndmask_b32_e64 v85, v85, v100, s13
	v_perm_b32 v69, v102, v101, 0x5040100
	v_perm_b32 v86, v87, v86, 0x5040100
	;; [unrolled: 1-line block ×3, first 2 shown]
	v_cndmask_b32_e64 v89, v89, v94, s24
	v_cndmask_b32_e64 v85, v85, v94, s16
	s_mul_i32 s8, s35, 13
	s_delay_alu instid0(VALU_DEP_2) | instskip(NEXT) | instid1(VALU_DEP_2)
	v_cndmask_b32_e64 v88, v89, v84, s27
	v_cndmask_b32_e64 v89, v85, v84, s18
	s_delay_alu instid0(VALU_DEP_2) | instskip(NEXT) | instid1(VALU_DEP_2)
	v_perm_b32 v85, v88, v90, 0x5040100
	v_perm_b32 v84, v89, v66, 0x5040100
	ds_store_b128 v76, v[69:72]
	ds_store_b128 v76, v[83:86] offset:1024
	v_cmpx_gt_u32_e32 13, v0
	s_cbranch_execz .LBB1518_78
; %bb.77:
	s_mul_i32 s4, s8, s30
	s_delay_alu instid0(SALU_CYCLE_1) | instskip(SKIP_1) | instid1(VALU_DEP_1)
	v_add3_u32 v69, s4, s31, v65
	s_load_b128 s[4:7], s[0:1], 0x58
	v_mad_u64_u32 v[65:66], null, v69, s34, s[14:15]
	s_delay_alu instid0(VALU_DEP_1) | instskip(NEXT) | instid1(VALU_DEP_1)
	v_ashrrev_i32_e32 v66, 31, v65
	v_lshlrev_b64 v[65:66], 2, v[65:66]
	s_waitcnt lgkmcnt(0)
	s_delay_alu instid0(VALU_DEP_1) | instskip(NEXT) | instid1(VALU_DEP_2)
	v_add_co_u32 v69, vcc_lo, s6, v65
	v_add_co_ci_u32_e32 v70, vcc_lo, s7, v66, vcc_lo
	v_add_co_u32 v65, vcc_lo, s4, v65
	v_add_co_ci_u32_e32 v66, vcc_lo, s5, v66, vcc_lo
	global_store_b32 v[69:70], v67, off
	global_store_b32 v[65:66], v68, off
.LBB1518_78:
	s_or_b32 exec_lo, exec_lo, s3
	s_waitcnt lgkmcnt(0)
	s_waitcnt_vscnt null, 0x0
	s_barrier
	buffer_gl0_inv
	ds_load_b128 v[83:86], v80
	ds_load_b128 v[87:90], v80 offset:16
	ds_load_b128 v[95:98], v80 offset:2064
	;; [unrolled: 1-line block ×3, first 2 shown]
	v_mov_b32_e32 v65, 0
	ds_load_b128 v[103:106], v80 offset:4112
	ds_load_b128 v[99:102], v80 offset:4096
	;; [unrolled: 1-line block ×4, first 2 shown]
	v_mov_b32_e32 v66, v65
	v_mov_b32_e32 v67, v65
	;; [unrolled: 1-line block ×7, first 2 shown]
	s_waitcnt lgkmcnt(6)
	s_delay_alu instid0(VALU_DEP_1)
	v_wmma_f32_16x16x16_bf16 v[65:72], v[49:56], v[83:90], v[65:72]
	ds_load_b128 v[53:56], v80 offset:8208
	ds_load_b128 v[49:52], v80 offset:8192
	s_waitcnt lgkmcnt(6)
	v_wmma_f32_16x16x16_bf16 v[65:72], v[41:48], v[91:98], v[65:72]
	ds_load_b128 v[45:48], v80 offset:10256
	ds_load_b128 v[41:44], v80 offset:10240
	s_waitcnt lgkmcnt(6)
	;; [unrolled: 4-line block ×4, first 2 shown]
	v_wmma_f32_16x16x16_bf16 v[65:72], v[1:8], v[49:56], v[65:72]
	s_waitcnt lgkmcnt(4)
	s_delay_alu instid0(VALU_DEP_1) | instskip(SKIP_1) | instid1(VALU_DEP_1)
	v_wmma_f32_16x16x16_bf16 v[65:72], v[9:16], v[41:48], v[65:72]
	s_waitcnt lgkmcnt(2)
	v_wmma_f32_16x16x16_bf16 v[65:72], v[17:24], v[33:40], v[65:72]
	s_waitcnt lgkmcnt(0)
	s_delay_alu instid0(VALU_DEP_1) | instskip(NEXT) | instid1(VALU_DEP_1)
	v_wmma_f32_16x16x16_bf16 v[65:72], v[57:64], v[25:32], v[65:72]
	v_and_b32_e32 v1, 0x7f800000, v65
	s_delay_alu instid0(VALU_DEP_1) | instskip(SKIP_1) | instid1(SALU_CYCLE_1)
	v_cmp_ne_u32_e32 vcc_lo, 0x7f800000, v1
                                        ; implicit-def: $vgpr1
	s_and_saveexec_b32 s3, vcc_lo
	s_xor_b32 s3, exec_lo, s3
; %bb.79:
	v_bfe_u32 v1, v65, 16, 1
	s_delay_alu instid0(VALU_DEP_1)
	v_add3_u32 v1, v65, v1, 0x7fff
; %bb.80:
	s_and_not1_saveexec_b32 s3, s3
; %bb.81:
	v_and_b32_e32 v1, 0xffff, v65
	v_or_b32_e32 v2, 0x10000, v65
	s_delay_alu instid0(VALU_DEP_2) | instskip(NEXT) | instid1(VALU_DEP_2)
	v_cmp_eq_u32_e32 vcc_lo, 0, v1
	v_cndmask_b32_e32 v1, v2, v65, vcc_lo
; %bb.82:
	s_or_b32 exec_lo, exec_lo, s3
	v_and_b32_e32 v2, 0x7f800000, v66
	s_delay_alu instid0(VALU_DEP_1) | instskip(SKIP_1) | instid1(SALU_CYCLE_1)
	v_cmp_ne_u32_e32 vcc_lo, 0x7f800000, v2
                                        ; implicit-def: $vgpr2
	s_and_saveexec_b32 s3, vcc_lo
	s_xor_b32 s3, exec_lo, s3
; %bb.83:
	v_bfe_u32 v2, v66, 16, 1
	s_delay_alu instid0(VALU_DEP_1)
	v_add3_u32 v2, v66, v2, 0x7fff
; %bb.84:
	s_and_not1_saveexec_b32 s3, s3
; %bb.85:
	v_and_b32_e32 v2, 0xffff, v66
	v_or_b32_e32 v3, 0x10000, v66
	s_delay_alu instid0(VALU_DEP_2) | instskip(NEXT) | instid1(VALU_DEP_2)
	v_cmp_eq_u32_e32 vcc_lo, 0, v2
	v_cndmask_b32_e32 v2, v3, v66, vcc_lo
; %bb.86:
	s_or_b32 exec_lo, exec_lo, s3
	v_and_b32_e32 v3, 0x7f800000, v67
	s_delay_alu instid0(VALU_DEP_1) | instskip(SKIP_1) | instid1(SALU_CYCLE_1)
	v_cmp_ne_u32_e32 vcc_lo, 0x7f800000, v3
                                        ; implicit-def: $vgpr3
	s_and_saveexec_b32 s3, vcc_lo
	s_xor_b32 s3, exec_lo, s3
; %bb.87:
	v_bfe_u32 v3, v67, 16, 1
	s_delay_alu instid0(VALU_DEP_1)
	v_add3_u32 v3, v67, v3, 0x7fff
; %bb.88:
	s_and_not1_saveexec_b32 s3, s3
; %bb.89:
	v_and_b32_e32 v3, 0xffff, v67
	v_or_b32_e32 v4, 0x10000, v67
	s_delay_alu instid0(VALU_DEP_2) | instskip(NEXT) | instid1(VALU_DEP_2)
	v_cmp_eq_u32_e32 vcc_lo, 0, v3
	v_cndmask_b32_e32 v3, v4, v67, vcc_lo
; %bb.90:
	s_or_b32 exec_lo, exec_lo, s3
	v_and_b32_e32 v4, 0x7f800000, v68
	s_delay_alu instid0(VALU_DEP_1) | instskip(SKIP_1) | instid1(SALU_CYCLE_1)
	v_cmp_ne_u32_e32 vcc_lo, 0x7f800000, v4
                                        ; implicit-def: $vgpr4
	s_and_saveexec_b32 s3, vcc_lo
	s_xor_b32 s3, exec_lo, s3
; %bb.91:
	v_bfe_u32 v4, v68, 16, 1
	s_delay_alu instid0(VALU_DEP_1)
	v_add3_u32 v4, v68, v4, 0x7fff
; %bb.92:
	s_and_not1_saveexec_b32 s3, s3
; %bb.93:
	v_and_b32_e32 v4, 0xffff, v68
	v_or_b32_e32 v5, 0x10000, v68
	s_delay_alu instid0(VALU_DEP_2) | instskip(NEXT) | instid1(VALU_DEP_2)
	v_cmp_eq_u32_e32 vcc_lo, 0, v4
	v_cndmask_b32_e32 v4, v5, v68, vcc_lo
; %bb.94:
	s_or_b32 exec_lo, exec_lo, s3
	v_and_b32_e32 v5, 0x7f800000, v69
	s_delay_alu instid0(VALU_DEP_1) | instskip(SKIP_1) | instid1(SALU_CYCLE_1)
	v_cmp_ne_u32_e32 vcc_lo, 0x7f800000, v5
                                        ; implicit-def: $vgpr5
	s_and_saveexec_b32 s3, vcc_lo
	s_xor_b32 s3, exec_lo, s3
; %bb.95:
	v_bfe_u32 v5, v69, 16, 1
	s_delay_alu instid0(VALU_DEP_1)
	v_add3_u32 v5, v69, v5, 0x7fff
; %bb.96:
	s_and_not1_saveexec_b32 s3, s3
; %bb.97:
	v_and_b32_e32 v5, 0xffff, v69
	v_or_b32_e32 v6, 0x10000, v69
	s_delay_alu instid0(VALU_DEP_2) | instskip(NEXT) | instid1(VALU_DEP_2)
	v_cmp_eq_u32_e32 vcc_lo, 0, v5
	v_cndmask_b32_e32 v5, v6, v69, vcc_lo
; %bb.98:
	s_or_b32 exec_lo, exec_lo, s3
	v_and_b32_e32 v6, 0x7f800000, v70
	s_delay_alu instid0(VALU_DEP_1) | instskip(SKIP_1) | instid1(SALU_CYCLE_1)
	v_cmp_ne_u32_e32 vcc_lo, 0x7f800000, v6
                                        ; implicit-def: $vgpr6
	s_and_saveexec_b32 s3, vcc_lo
	s_xor_b32 s3, exec_lo, s3
; %bb.99:
	v_bfe_u32 v6, v70, 16, 1
	s_delay_alu instid0(VALU_DEP_1)
	v_add3_u32 v6, v70, v6, 0x7fff
; %bb.100:
	s_and_not1_saveexec_b32 s3, s3
; %bb.101:
	v_and_b32_e32 v6, 0xffff, v70
	v_or_b32_e32 v7, 0x10000, v70
	s_delay_alu instid0(VALU_DEP_2) | instskip(NEXT) | instid1(VALU_DEP_2)
	v_cmp_eq_u32_e32 vcc_lo, 0, v6
	v_cndmask_b32_e32 v6, v7, v70, vcc_lo
; %bb.102:
	s_or_b32 exec_lo, exec_lo, s3
	v_and_b32_e32 v7, 0x7f800000, v71
	s_delay_alu instid0(VALU_DEP_1) | instskip(SKIP_1) | instid1(SALU_CYCLE_1)
	v_cmp_ne_u32_e32 vcc_lo, 0x7f800000, v7
                                        ; implicit-def: $vgpr7
	s_and_saveexec_b32 s3, vcc_lo
	s_xor_b32 s3, exec_lo, s3
; %bb.103:
	v_bfe_u32 v7, v71, 16, 1
	s_delay_alu instid0(VALU_DEP_1)
	v_add3_u32 v7, v71, v7, 0x7fff
; %bb.104:
	s_and_not1_saveexec_b32 s3, s3
; %bb.105:
	v_and_b32_e32 v7, 0xffff, v71
	v_or_b32_e32 v8, 0x10000, v71
	s_delay_alu instid0(VALU_DEP_2) | instskip(NEXT) | instid1(VALU_DEP_2)
	v_cmp_eq_u32_e32 vcc_lo, 0, v7
	v_cndmask_b32_e32 v7, v8, v71, vcc_lo
; %bb.106:
	s_or_b32 exec_lo, exec_lo, s3
	v_and_b32_e32 v8, 0x7f800000, v72
	s_delay_alu instid0(VALU_DEP_1) | instskip(SKIP_1) | instid1(SALU_CYCLE_1)
	v_cmp_ne_u32_e32 vcc_lo, 0x7f800000, v8
                                        ; implicit-def: $vgpr8
	s_and_saveexec_b32 s3, vcc_lo
	s_xor_b32 s3, exec_lo, s3
; %bb.107:
	v_bfe_u32 v8, v72, 16, 1
	s_delay_alu instid0(VALU_DEP_1)
	v_add3_u32 v8, v72, v8, 0x7fff
                                        ; implicit-def: $vgpr65_vgpr66_vgpr67_vgpr68_vgpr69_vgpr70_vgpr71_vgpr72
; %bb.108:
	s_and_not1_saveexec_b32 s3, s3
; %bb.109:
	v_and_b32_e32 v8, 0xffff, v72
	v_or_b32_e32 v9, 0x10000, v72
	s_delay_alu instid0(VALU_DEP_2) | instskip(NEXT) | instid1(VALU_DEP_2)
	v_cmp_eq_u32_e32 vcc_lo, 0, v8
	v_cndmask_b32_e32 v8, v9, v72, vcc_lo
; %bb.110:
	s_or_b32 exec_lo, exec_lo, s3
	s_delay_alu instid0(VALU_DEP_1)
	v_perm_b32 v7, v8, v7, 0x7060302
	v_perm_b32 v6, v6, v5, 0x7060302
	;; [unrolled: 1-line block ×4, first 2 shown]
	s_barrier
	buffer_gl0_inv
	v_cmp_eq_u32_e32 vcc_lo, 1, v78
	ds_store_b128 v76, v[4:7]
	s_waitcnt lgkmcnt(0)
	s_barrier
	buffer_gl0_inv
	ds_load_b128 v[1:4], v82
	ds_load_b128 v[5:8], v82 offset:16
	v_cmp_eq_u32_e64 s3, 1, v79
	v_cmp_eq_u32_e64 s4, 2, v78
	;; [unrolled: 1-line block ×5, first 2 shown]
	s_waitcnt lgkmcnt(1)
	v_lshrrev_b32_e32 v9, 16, v1
	s_waitcnt lgkmcnt(0)
	v_lshrrev_b32_e32 v13, 16, v5
	v_lshrrev_b32_e32 v10, 16, v2
	;; [unrolled: 1-line block ×4, first 2 shown]
	v_cndmask_b32_e64 v19, v1, v9, s3
	v_cndmask_b32_e32 v18, v5, v13, vcc_lo
	v_cndmask_b32_e64 v20, v5, v13, s3
	v_cndmask_b32_e32 v17, v1, v9, vcc_lo
	v_cmp_eq_u32_e32 vcc_lo, 2, v79
	v_lshrrev_b32_e32 v15, 16, v7
	v_cmp_eq_u32_e64 s3, 1, v77
	v_lshrrev_b32_e32 v12, 16, v4
	v_lshrrev_b32_e32 v16, 16, v8
	v_cndmask_b32_e32 v20, v20, v6, vcc_lo
	v_cndmask_b32_e64 v17, v17, v2, s4
	v_cndmask_b32_e32 v19, v19, v2, vcc_lo
	v_cndmask_b32_e64 v18, v18, v6, s4
	v_cmp_eq_u32_e32 vcc_lo, 4, v78
	v_cmp_eq_u32_e64 s4, 3, v79
	v_cndmask_b32_e64 v17, v17, v10, s5
	v_cndmask_b32_e64 v21, v1, v9, s3
	;; [unrolled: 1-line block ×5, first 2 shown]
	v_cndmask_b32_e32 v17, v17, v3, vcc_lo
	v_cndmask_b32_e64 v20, v20, v14, s4
	v_cndmask_b32_e32 v18, v18, v7, vcc_lo
	v_cmp_eq_u32_e32 vcc_lo, 4, v79
	v_cmp_eq_u32_e64 s4, 5, v79
	v_cmp_eq_u32_e64 s3, 2, v81
	v_cndmask_b32_e64 v21, v21, v2, s7
	v_cmp_eq_u32_e64 s5, 5, v78
	v_cndmask_b32_e32 v19, v19, v3, vcc_lo
	v_cndmask_b32_e32 v20, v20, v7, vcc_lo
	v_cmp_eq_u32_e32 vcc_lo, 6, v79
	s_delay_alu instid0(VALU_DEP_4) | instskip(NEXT) | instid1(VALU_DEP_4)
	v_cndmask_b32_e64 v17, v17, v11, s5
	v_cndmask_b32_e64 v19, v19, v11, s4
	s_delay_alu instid0(VALU_DEP_4) | instskip(SKIP_1) | instid1(VALU_DEP_3)
	v_cndmask_b32_e64 v20, v20, v15, s4
	v_cmp_eq_u32_e64 s4, 1, v81
	v_cndmask_b32_e32 v19, v19, v4, vcc_lo
	v_cndmask_b32_e64 v18, v18, v15, s5
	s_delay_alu instid0(VALU_DEP_3)
	v_cndmask_b32_e64 v1, v1, v9, s4
	v_cndmask_b32_e64 v5, v5, v13, s4
	v_cmp_eq_u32_e64 s4, 3, v77
	v_cndmask_b32_e64 v13, v22, v6, s7
	v_cmp_eq_u32_e64 s7, 3, v81
	v_cndmask_b32_e64 v1, v1, v2, s3
	v_cndmask_b32_e64 v2, v5, v6, s3
	;; [unrolled: 1-line block ×3, first 2 shown]
	v_cmp_eq_u32_e64 s3, 4, v77
	v_cndmask_b32_e64 v6, v13, v14, s4
	v_cndmask_b32_e64 v1, v1, v10, s7
	v_cmp_eq_u32_e64 s4, 4, v81
	v_cndmask_b32_e64 v2, v2, v14, s7
	v_cndmask_b32_e64 v5, v9, v3, s3
	;; [unrolled: 3-line block ×3, first 2 shown]
	v_cndmask_b32_e64 v2, v2, v7, s4
	v_cmp_eq_u32_e64 s3, 5, v81
	v_cmp_eq_u32_e64 s5, 6, v78
	v_cndmask_b32_e64 v5, v5, v11, s7
	v_cmp_eq_u32_e64 s4, 6, v77
	v_cndmask_b32_e64 v3, v6, v15, s7
	v_cndmask_b32_e64 v1, v1, v11, s3
	v_cmp_eq_u32_e64 s7, 6, v81
	v_cndmask_b32_e64 v2, v2, v15, s3
	v_cndmask_b32_e64 v17, v17, v4, s5
	v_cndmask_b32_e64 v18, v18, v8, s5
	v_cmp_eq_u32_e64 s5, 7, v78
	v_cndmask_b32_e64 v5, v5, v4, s4
	;; [unrolled: 4-line block ×3, first 2 shown]
	v_cmp_eq_u32_e64 s4, 7, v77
	v_cndmask_b32_e32 v4, v20, v8, vcc_lo
	v_cndmask_b32_e64 v17, v17, v12, s5
	v_cndmask_b32_e64 v19, v19, v12, s6
	;; [unrolled: 1-line block ×8, first 2 shown]
	s_mov_b32 s3, exec_lo
	v_perm_b32 v4, v2, v1, 0x5040100
	v_perm_b32 v3, v3, v5, 0x5040100
	;; [unrolled: 1-line block ×4, first 2 shown]
	ds_store_b128 v76, v[1:4]
	s_waitcnt lgkmcnt(0)
	s_barrier
	buffer_gl0_inv
	v_cmpx_gt_u32_e32 32, v0
	s_cbranch_execz .LBB1518_2
; %bb.111:
	s_load_b64 s[4:5], s[0:1], 0x68
	v_lshlrev_b32_e32 v0, 10, v0
	v_lshlrev_b32_e32 v1, 4, v75
	s_lshl_b32 s0, s34, 7
	v_add_nc_u32_e32 v18, s31, v74
	s_mul_i32 s1, s0, s30
	s_delay_alu instid0(VALU_DEP_2) | instskip(SKIP_1) | instid1(VALU_DEP_2)
	v_and_or_b32 v0, 0x3800, v0, v1
	s_mul_i32 s6, s1, s8
	v_mul_lo_u32 v1, v18, s0
	s_ashr_i32 s7, s6, 31
	v_add_nc_u32_e32 v2, 2, v18
	v_lshl_or_b32 v19, v74, 6, v0
	s_lshl_b64 s[6:7], s[6:7], 1
	v_add_nc_u32_e32 v8, 4, v18
	v_add_nc_u32_e32 v15, 6, v18
	v_mul_lo_u32 v7, v2, s0
	ds_load_b128 v[3:6], v19
	v_ashrrev_i32_e32 v2, 31, v1
	v_mul_lo_u32 v11, v8, s0
	s_waitcnt lgkmcnt(0)
	s_add_u32 s1, s4, s6
	s_addc_u32 s3, s5, s7
	s_lshl_b32 s4, s14, 7
	v_lshlrev_b64 v[9:10], 1, v[1:2]
	s_ashr_i32 s5, s4, 31
	v_ashrrev_i32_e32 v8, 31, v7
	s_lshl_b64 s[4:5], s[4:5], 1
	v_ashrrev_i32_e32 v12, 31, v11
	s_add_u32 s1, s1, s4
	s_addc_u32 s3, s3, s5
	v_add_co_u32 v1, s1, s1, v73
	s_delay_alu instid0(VALU_DEP_1) | instskip(SKIP_1) | instid1(VALU_DEP_3)
	v_add_co_ci_u32_e64 v2, null, s3, 0, s1
	v_mul_lo_u32 v15, v15, s0
	v_add_co_u32 v13, vcc_lo, v1, v9
	s_delay_alu instid0(VALU_DEP_3)
	v_add_co_ci_u32_e32 v14, vcc_lo, v2, v10, vcc_lo
	v_lshlrev_b64 v[16:17], 1, v[7:8]
	ds_load_b128 v[7:10], v19 offset:128
	global_store_b128 v[13:14], v[3:6], off
	v_add_nc_u32_e32 v5, 8, v18
	v_lshlrev_b64 v[3:4], 1, v[11:12]
	v_add_co_u32 v23, vcc_lo, v1, v16
	v_ashrrev_i32_e32 v16, 31, v15
	s_delay_alu instid0(VALU_DEP_4) | instskip(SKIP_3) | instid1(VALU_DEP_3)
	v_mul_lo_u32 v25, v5, s0
	v_add_nc_u32_e32 v5, 10, v18
	v_add_co_ci_u32_e32 v24, vcc_lo, v2, v17, vcc_lo
	v_add_co_u32 v27, vcc_lo, v1, v3
	v_mul_lo_u32 v29, v5, s0
	v_add_co_ci_u32_e32 v28, vcc_lo, v2, v4, vcc_lo
	v_lshlrev_b64 v[31:32], 1, v[15:16]
	ds_load_b128 v[3:6], v19 offset:256
	ds_load_b128 v[11:14], v19 offset:384
	;; [unrolled: 1-line block ×4, first 2 shown]
	v_ashrrev_i32_e32 v26, 31, v25
	v_ashrrev_i32_e32 v30, 31, v29
	v_add_co_u32 v31, vcc_lo, v1, v31
	s_delay_alu instid0(VALU_DEP_3) | instskip(SKIP_1) | instid1(VALU_DEP_4)
	v_lshlrev_b64 v[25:26], 1, v[25:26]
	v_add_co_ci_u32_e32 v32, vcc_lo, v2, v32, vcc_lo
	v_lshlrev_b64 v[29:30], 1, v[29:30]
	s_delay_alu instid0(VALU_DEP_3) | instskip(NEXT) | instid1(VALU_DEP_4)
	v_add_co_u32 v25, vcc_lo, v1, v25
	v_add_co_ci_u32_e32 v26, vcc_lo, v2, v26, vcc_lo
	s_delay_alu instid0(VALU_DEP_3) | instskip(NEXT) | instid1(VALU_DEP_4)
	v_add_co_u32 v29, vcc_lo, v1, v29
	v_add_co_ci_u32_e32 v30, vcc_lo, v2, v30, vcc_lo
	s_waitcnt lgkmcnt(4)
	global_store_b128 v[23:24], v[7:10], off
	s_waitcnt lgkmcnt(3)
	global_store_b128 v[27:28], v[3:6], off
	;; [unrolled: 2-line block ×5, first 2 shown]
	s_and_b32 exec_lo, exec_lo, s2
	s_cbranch_execz .LBB1518_2
; %bb.112:
	ds_load_b128 v[3:6], v0 offset:768
	s_add_i32 s1, s31, 12
	s_delay_alu instid0(SALU_CYCLE_1) | instskip(NEXT) | instid1(SALU_CYCLE_1)
	s_mul_i32 s0, s1, s0
	s_ashr_i32 s1, s0, 31
	s_delay_alu instid0(SALU_CYCLE_1) | instskip(NEXT) | instid1(SALU_CYCLE_1)
	s_lshl_b64 s[0:1], s[0:1], 1
	v_add_co_u32 v0, vcc_lo, v1, s0
	v_add_co_ci_u32_e32 v1, vcc_lo, s1, v2, vcc_lo
	s_waitcnt lgkmcnt(0)
	global_store_b128 v[0:1], v[3:6], off
	s_nop 0
	s_sendmsg sendmsg(MSG_DEALLOC_VGPRS)
	s_endpgm
	.section	.rodata,"a",@progbits
	.p2align	6, 0x0
	.amdhsa_kernel _Z39paged_attention_ll4mi_QKV_mfma16_kernelI14__hip_bfloat16hLN4vllm18Fp8KVCacheDataTypeE1EhLi16ELi128ELi256ELb1ELi13EL8MFMAType1EEvPKT_PKT0_S9_ifPKiSB_SB_iPKfiiiPfSE_PS4_PT2_iSD_SD_
		.amdhsa_group_segment_fixed_size 17472
		.amdhsa_private_segment_fixed_size 0
		.amdhsa_kernarg_size 400
		.amdhsa_user_sgpr_count 13
		.amdhsa_user_sgpr_dispatch_ptr 0
		.amdhsa_user_sgpr_queue_ptr 0
		.amdhsa_user_sgpr_kernarg_segment_ptr 1
		.amdhsa_user_sgpr_dispatch_id 0
		.amdhsa_user_sgpr_private_segment_size 0
		.amdhsa_wavefront_size32 1
		.amdhsa_uses_dynamic_stack 0
		.amdhsa_enable_private_segment 0
		.amdhsa_system_sgpr_workgroup_id_x 1
		.amdhsa_system_sgpr_workgroup_id_y 1
		.amdhsa_system_sgpr_workgroup_id_z 1
		.amdhsa_system_sgpr_workgroup_info 0
		.amdhsa_system_vgpr_workitem_id 0
		.amdhsa_next_free_vgpr 140
		.amdhsa_next_free_sgpr 36
		.amdhsa_reserve_vcc 1
		.amdhsa_float_round_mode_32 0
		.amdhsa_float_round_mode_16_64 0
		.amdhsa_float_denorm_mode_32 3
		.amdhsa_float_denorm_mode_16_64 3
		.amdhsa_dx10_clamp 1
		.amdhsa_ieee_mode 1
		.amdhsa_fp16_overflow 0
		.amdhsa_workgroup_processor_mode 1
		.amdhsa_memory_ordered 1
		.amdhsa_forward_progress 0
		.amdhsa_shared_vgpr_count 0
		.amdhsa_exception_fp_ieee_invalid_op 0
		.amdhsa_exception_fp_denorm_src 0
		.amdhsa_exception_fp_ieee_div_zero 0
		.amdhsa_exception_fp_ieee_overflow 0
		.amdhsa_exception_fp_ieee_underflow 0
		.amdhsa_exception_fp_ieee_inexact 0
		.amdhsa_exception_int_div_zero 0
	.end_amdhsa_kernel
	.section	.text._Z39paged_attention_ll4mi_QKV_mfma16_kernelI14__hip_bfloat16hLN4vllm18Fp8KVCacheDataTypeE1EhLi16ELi128ELi256ELb1ELi13EL8MFMAType1EEvPKT_PKT0_S9_ifPKiSB_SB_iPKfiiiPfSE_PS4_PT2_iSD_SD_,"axG",@progbits,_Z39paged_attention_ll4mi_QKV_mfma16_kernelI14__hip_bfloat16hLN4vllm18Fp8KVCacheDataTypeE1EhLi16ELi128ELi256ELb1ELi13EL8MFMAType1EEvPKT_PKT0_S9_ifPKiSB_SB_iPKfiiiPfSE_PS4_PT2_iSD_SD_,comdat
.Lfunc_end1518:
	.size	_Z39paged_attention_ll4mi_QKV_mfma16_kernelI14__hip_bfloat16hLN4vllm18Fp8KVCacheDataTypeE1EhLi16ELi128ELi256ELb1ELi13EL8MFMAType1EEvPKT_PKT0_S9_ifPKiSB_SB_iPKfiiiPfSE_PS4_PT2_iSD_SD_, .Lfunc_end1518-_Z39paged_attention_ll4mi_QKV_mfma16_kernelI14__hip_bfloat16hLN4vllm18Fp8KVCacheDataTypeE1EhLi16ELi128ELi256ELb1ELi13EL8MFMAType1EEvPKT_PKT0_S9_ifPKiSB_SB_iPKfiiiPfSE_PS4_PT2_iSD_SD_
                                        ; -- End function
	.section	.AMDGPU.csdata,"",@progbits
; Kernel info:
; codeLenInByte = 9056
; NumSgprs: 38
; NumVgprs: 140
; ScratchSize: 0
; MemoryBound: 0
; FloatMode: 240
; IeeeMode: 1
; LDSByteSize: 17472 bytes/workgroup (compile time only)
; SGPRBlocks: 4
; VGPRBlocks: 17
; NumSGPRsForWavesPerEU: 38
; NumVGPRsForWavesPerEU: 140
; Occupancy: 10
; WaveLimiterHint : 1
; COMPUTE_PGM_RSRC2:SCRATCH_EN: 0
; COMPUTE_PGM_RSRC2:USER_SGPR: 13
; COMPUTE_PGM_RSRC2:TRAP_HANDLER: 0
; COMPUTE_PGM_RSRC2:TGID_X_EN: 1
; COMPUTE_PGM_RSRC2:TGID_Y_EN: 1
; COMPUTE_PGM_RSRC2:TGID_Z_EN: 1
; COMPUTE_PGM_RSRC2:TIDIG_COMP_CNT: 0
	.section	.text._Z39paged_attention_ll4mi_QKV_mfma16_kernelI14__hip_bfloat16hLN4vllm18Fp8KVCacheDataTypeE1EhLi16ELi128ELi256ELb1ELi14EL8MFMAType1EEvPKT_PKT0_S9_ifPKiSB_SB_iPKfiiiPfSE_PS4_PT2_iSD_SD_,"axG",@progbits,_Z39paged_attention_ll4mi_QKV_mfma16_kernelI14__hip_bfloat16hLN4vllm18Fp8KVCacheDataTypeE1EhLi16ELi128ELi256ELb1ELi14EL8MFMAType1EEvPKT_PKT0_S9_ifPKiSB_SB_iPKfiiiPfSE_PS4_PT2_iSD_SD_,comdat
	.protected	_Z39paged_attention_ll4mi_QKV_mfma16_kernelI14__hip_bfloat16hLN4vllm18Fp8KVCacheDataTypeE1EhLi16ELi128ELi256ELb1ELi14EL8MFMAType1EEvPKT_PKT0_S9_ifPKiSB_SB_iPKfiiiPfSE_PS4_PT2_iSD_SD_ ; -- Begin function _Z39paged_attention_ll4mi_QKV_mfma16_kernelI14__hip_bfloat16hLN4vllm18Fp8KVCacheDataTypeE1EhLi16ELi128ELi256ELb1ELi14EL8MFMAType1EEvPKT_PKT0_S9_ifPKiSB_SB_iPKfiiiPfSE_PS4_PT2_iSD_SD_
	.globl	_Z39paged_attention_ll4mi_QKV_mfma16_kernelI14__hip_bfloat16hLN4vllm18Fp8KVCacheDataTypeE1EhLi16ELi128ELi256ELb1ELi14EL8MFMAType1EEvPKT_PKT0_S9_ifPKiSB_SB_iPKfiiiPfSE_PS4_PT2_iSD_SD_
	.p2align	8
	.type	_Z39paged_attention_ll4mi_QKV_mfma16_kernelI14__hip_bfloat16hLN4vllm18Fp8KVCacheDataTypeE1EhLi16ELi128ELi256ELb1ELi14EL8MFMAType1EEvPKT_PKT0_S9_ifPKiSB_SB_iPKfiiiPfSE_PS4_PT2_iSD_SD_,@function
_Z39paged_attention_ll4mi_QKV_mfma16_kernelI14__hip_bfloat16hLN4vllm18Fp8KVCacheDataTypeE1EhLi16ELi128ELi256ELb1ELi14EL8MFMAType1EEvPKT_PKT0_S9_ifPKiSB_SB_iPKfiiiPfSE_PS4_PT2_iSD_SD_: ; @_Z39paged_attention_ll4mi_QKV_mfma16_kernelI14__hip_bfloat16hLN4vllm18Fp8KVCacheDataTypeE1EhLi16ELi128ELi256ELb1ELi14EL8MFMAType1EEvPKT_PKT0_S9_ifPKiSB_SB_iPKfiiiPfSE_PS4_PT2_iSD_SD_
; %bb.0:
	s_load_b64 s[4:5], s[0:1], 0x30
	s_mov_b32 s30, s13
	s_waitcnt lgkmcnt(0)
	s_cmp_lg_u64 s[4:5], 0
	s_cselect_b32 s13, -1, 0
	s_ashr_i32 s31, s30, 31
	s_cmp_eq_u64 s[4:5], 0
	s_cbranch_scc1 .LBB1519_3
; %bb.1:
	s_lshl_b64 s[2:3], s[30:31], 2
	s_delay_alu instid0(SALU_CYCLE_1) | instskip(SKIP_4) | instid1(SALU_CYCLE_1)
	s_add_u32 s2, s4, s2
	s_addc_u32 s3, s5, s3
	s_load_b64 s[2:3], s[2:3], 0x0
	s_waitcnt lgkmcnt(0)
	s_sub_i32 s2, s3, s2
	s_cmp_eq_u32 s2, 1
	s_cselect_b32 s2, -1, 0
	s_delay_alu instid0(SALU_CYCLE_1)
	s_and_not1_b32 vcc_lo, exec_lo, s2
	s_cbranch_vccz .LBB1519_4
.LBB1519_2:
	s_endpgm
.LBB1519_3:
.LBB1519_4:
	s_load_b64 s[2:3], s[0:1], 0x28
	s_lshl_b64 s[6:7], s[30:31], 2
	s_waitcnt lgkmcnt(0)
	s_add_u32 s2, s2, s6
	s_addc_u32 s3, s3, s7
	s_lshl_b32 s12, s14, 8
	s_load_b32 s17, s[2:3], 0x0
	s_waitcnt lgkmcnt(0)
	s_cmp_ge_i32 s12, s17
	s_cbranch_scc1 .LBB1519_2
; %bb.5:
	s_clause 0x1
	s_load_b128 s[8:11], s[0:1], 0x8
	s_load_b64 s[2:3], s[0:1], 0x20
	s_and_not1_b32 vcc_lo, exec_lo, s13
	s_cbranch_vccnz .LBB1519_7
; %bb.6:
	s_add_u32 s4, s4, s6
	s_addc_u32 s5, s5, s7
	s_load_b32 s13, s[4:5], 0x0
	s_branch .LBB1519_8
.LBB1519_7:
	s_mov_b32 s13, s30
.LBB1519_8:
	s_load_b128 s[4:7], s[0:1], 0x48
	v_and_b32_e32 v65, 15, v0
	v_lshrrev_b32_e32 v66, 5, v0
	v_and_b32_e32 v67, 31, v0
	v_and_b32_e32 v75, 1, v0
	v_bfe_u32 v74, v0, 4, 1
	v_lshlrev_b32_e32 v1, 3, v65
	s_mul_i32 s29, s15, 14
	s_waitcnt lgkmcnt(0)
	s_mov_b32 s7, exec_lo
	s_delay_alu instid0(VALU_DEP_1)
	v_lshlrev_b32_e32 v73, 1, v1
	v_cmpx_gt_u32_e32 0xe0, v0
	s_cbranch_execz .LBB1519_10
; %bb.9:
	s_load_b64 s[18:19], s[0:1], 0x0
	v_lshl_or_b32 v5, v66, 1, v74
	s_mul_hi_i32 s21, s13, s4
	s_mul_i32 s20, s13, s4
	v_lshlrev_b32_e32 v6, 10, v65
	s_lshl_b64 s[20:21], s[20:21], 1
	v_add_lshl_u32 v1, v5, s29, 7
	v_lshlrev_b32_e32 v5, 6, v5
	v_lshlrev_b32_e32 v7, 10, v75
	v_and_b32_e32 v6, 0x3800, v6
	s_delay_alu instid0(VALU_DEP_4) | instskip(NEXT) | instid1(VALU_DEP_2)
	v_ashrrev_i32_e32 v2, 31, v1
	v_or3_b32 v5, v6, v7, v5
	s_delay_alu instid0(VALU_DEP_2) | instskip(SKIP_3) | instid1(VALU_DEP_1)
	v_lshlrev_b64 v[1:2], 1, v[1:2]
	s_waitcnt lgkmcnt(0)
	s_add_u32 s4, s18, s20
	s_addc_u32 s13, s19, s21
	v_add_co_u32 v1, vcc_lo, s4, v1
	s_delay_alu instid0(VALU_DEP_2) | instskip(NEXT) | instid1(VALU_DEP_2)
	v_add_co_ci_u32_e32 v2, vcc_lo, s13, v2, vcc_lo
	v_add_co_u32 v1, vcc_lo, v1, v73
	s_delay_alu instid0(VALU_DEP_2)
	v_add_co_ci_u32_e32 v2, vcc_lo, 0, v2, vcc_lo
	global_load_b128 v[1:4], v[1:2], off
	s_waitcnt vmcnt(0)
	ds_store_b128 v5, v[1:4]
.LBB1519_10:
	s_or_b32 exec_lo, exec_lo, s7
	v_and_b32_e32 v1, 0xef, v0
	s_add_i32 s4, s17, 15
	s_clause 0x1
	s_load_b32 s7, s[0:1], 0x38
	s_load_b32 s18, s[0:1], 0x1c
	s_ashr_i32 s13, s4, 31
	v_add_nc_u32_e32 v1, s12, v1
	s_lshr_b32 s13, s13, 28
	s_waitcnt lgkmcnt(0)
	s_add_i32 s4, s4, s13
	s_barrier
	v_ashrrev_i32_e32 v2, 31, v1
	v_or_b32_e32 v3, 16, v1
	s_ashr_i32 s4, s4, 4
	v_cmp_gt_i32_e32 vcc_lo, s17, v1
	s_add_i32 s4, s4, -1
	v_lshrrev_b32_e32 v2, 28, v2
	buffer_gl0_inv
	s_mul_i32 s15, s15, s6
	v_add_nc_u32_e32 v4, v1, v2
	s_mul_i32 s20, s30, s7
	s_delay_alu instid0(SALU_CYCLE_1) | instskip(NEXT) | instid1(VALU_DEP_1)
	s_ashr_i32 s21, s20, 31
	v_ashrrev_i32_e32 v4, 4, v4
	v_add_nc_u32_e32 v2, v3, v2
	s_lshl_b64 s[20:21], s[20:21], 2
	s_delay_alu instid0(SALU_CYCLE_1) | instskip(NEXT) | instid1(VALU_DEP_2)
	s_add_u32 s13, s2, s20
	v_cndmask_b32_e32 v1, s4, v4, vcc_lo
	s_delay_alu instid0(VALU_DEP_2)
	v_ashrrev_i32_e32 v2, 4, v2
	v_cmp_gt_i32_e32 vcc_lo, s17, v3
	s_addc_u32 s16, s3, s21
	s_ashr_i32 s19, s15, 31
	s_add_u32 s26, s8, s15
	s_addc_u32 s27, s9, s19
	v_cndmask_b32_e32 v3, s4, v2, vcc_lo
	v_ashrrev_i32_e32 v2, 31, v1
	s_lshl_b32 s2, s14, 4
	s_delay_alu instid0(SALU_CYCLE_1) | instskip(NEXT) | instid1(VALU_DEP_2)
	s_ashr_i32 s3, s2, 31
	v_ashrrev_i32_e32 v4, 31, v3
	s_delay_alu instid0(VALU_DEP_2) | instskip(SKIP_1) | instid1(SALU_CYCLE_1)
	v_lshlrev_b64 v[1:2], 2, v[1:2]
	s_lshl_b64 s[2:3], s[2:3], 2
	s_add_u32 s2, s13, s2
	s_delay_alu instid0(VALU_DEP_2) | instskip(SKIP_1) | instid1(VALU_DEP_2)
	v_lshlrev_b64 v[3:4], 2, v[3:4]
	s_addc_u32 s3, s16, s3
	v_add_co_u32 v1, vcc_lo, s13, v1
	v_add_co_ci_u32_e32 v2, vcc_lo, s16, v2, vcc_lo
	s_delay_alu instid0(VALU_DEP_3) | instskip(NEXT) | instid1(VALU_DEP_4)
	v_add_co_u32 v3, vcc_lo, s13, v3
	v_add_co_ci_u32_e32 v4, vcc_lo, s16, v4, vcc_lo
	s_clause 0x1
	global_load_b32 v5, v[1:2], off
	global_load_b32 v3, v[3:4], off
	s_or_b32 s6, s12, 32
	v_cmp_gt_u32_e32 vcc_lo, 14, v65
	s_ashr_i32 s7, s6, 4
	s_cmp_lt_i32 s6, s17
	s_cselect_b32 s6, s7, s4
	s_delay_alu instid0(SALU_CYCLE_1) | instskip(NEXT) | instid1(SALU_CYCLE_1)
	s_ashr_i32 s7, s6, 31
	s_lshl_b64 s[6:7], s[6:7], 2
	s_delay_alu instid0(SALU_CYCLE_1) | instskip(SKIP_2) | instid1(SALU_CYCLE_1)
	s_add_u32 s6, s13, s6
	s_addc_u32 s7, s16, s7
	s_or_b32 s8, s12, 64
	s_ashr_i32 s9, s8, 4
	s_cmp_lt_i32 s8, s17
	s_cselect_b32 s8, s9, s4
	s_delay_alu instid0(SALU_CYCLE_1) | instskip(NEXT) | instid1(SALU_CYCLE_1)
	s_ashr_i32 s9, s8, 31
	s_lshl_b64 s[8:9], s[8:9], 2
	s_delay_alu instid0(SALU_CYCLE_1) | instskip(SKIP_2) | instid1(SALU_CYCLE_1)
	s_add_u32 s8, s13, s8
	s_addc_u32 s9, s16, s9
	s_or_b32 s20, s12, 0x60
	;; [unrolled: 10-line block ×4, first 2 shown]
	s_ashr_i32 s25, s24, 4
	s_cmp_lt_i32 s24, s17
	s_cselect_b32 s24, s25, s4
	s_delay_alu instid0(SALU_CYCLE_1) | instskip(NEXT) | instid1(SALU_CYCLE_1)
	s_ashr_i32 s25, s24, 31
	s_lshl_b64 s[24:25], s[24:25], 2
	s_delay_alu instid0(SALU_CYCLE_1)
	s_add_u32 s24, s13, s24
	s_addc_u32 s25, s16, s25
	s_clause 0x5
	s_load_b32 s28, s[2:3], 0x0
	s_load_b32 s31, s[6:7], 0x0
	;; [unrolled: 1-line block ×6, first 2 shown]
	s_mov_b32 s20, 0
	s_or_b32 s2, s12, 0xc0
	s_mov_b32 s21, s20
	s_mov_b32 s22, s20
	;; [unrolled: 1-line block ×5, first 2 shown]
	v_lshlrev_b32_e32 v1, 4, v0
	s_ashr_i32 s3, s2, 4
	s_cmp_lt_i32 s2, s17
	s_cselect_b32 s2, s3, s4
	s_delay_alu instid0(VALU_DEP_1) | instskip(SKIP_1) | instid1(SALU_CYCLE_1)
	v_and_b32_e32 v1, 0xf0, v1
	s_ashr_i32 s3, s2, 31
	s_lshl_b64 s[2:3], s[2:3], 2
	s_delay_alu instid0(VALU_DEP_1) | instskip(NEXT) | instid1(VALU_DEP_1)
	v_add_co_u32 v1, s26, s26, v1
	v_add_co_ci_u32_e64 v2, null, s27, 0, s26
	s_add_u32 s2, s13, s2
	s_addc_u32 s3, s16, s3
	s_or_b32 s6, s12, 0xe0
	s_mov_b32 s27, s20
	s_ashr_i32 s7, s6, 4
	s_cmp_lt_i32 s6, s17
	s_mov_b32 s26, s20
	v_dual_mov_b32 v107, s27 :: v_dual_mov_b32 v100, s20
	s_cselect_b32 s6, s7, s4
	v_mov_b32_e32 v106, s26
	s_ashr_i32 s7, s6, 31
	v_mov_b32_e32 v104, s24
	s_lshl_b64 s[6:7], s[6:7], 2
	v_dual_mov_b32 v103, s23 :: v_dual_mov_b32 v102, s22
	v_mov_b32_e32 v101, s21
	s_waitcnt vmcnt(1)
	v_mad_i64_i32 v[33:34], null, v5, s5, v[1:2]
	s_waitcnt vmcnt(0)
	v_mad_i64_i32 v[35:36], null, v3, s5, v[1:2]
	s_clause 0xf
	global_load_b128 v[1:4], v[33:34], off
	global_load_b128 v[5:8], v[33:34], off offset:256
	global_load_b128 v[9:12], v[35:36], off
	global_load_b128 v[13:16], v[35:36], off offset:256
	global_load_b128 v[17:20], v[33:34], off offset:512
	;; [unrolled: 1-line block ×13, first 2 shown]
	v_add_nc_u32_e32 v33, -14, v65
	v_lshlrev_b32_e32 v34, 4, v65
	s_delay_alu instid0(VALU_DEP_2) | instskip(SKIP_1) | instid1(VALU_DEP_3)
	v_cndmask_b32_e32 v33, v33, v65, vcc_lo
	v_mov_b32_e32 v105, s25
	v_lshl_or_b32 v41, v66, 8, v34
	s_delay_alu instid0(VALU_DEP_3)
	v_lshlrev_b32_e32 v72, 6, v33
	ds_load_b128 v[33:36], v72
	ds_load_b128 v[37:40], v72 offset:1024
	ds_load_b128 v[108:111], v72 offset:2048
	;; [unrolled: 1-line block ×3, first 2 shown]
	s_load_b32 s4, s[2:3], 0x0
	s_add_u32 s2, s13, s6
	s_addc_u32 s3, s16, s7
	ds_load_b128 v[116:119], v72 offset:4096
	ds_load_b128 v[120:123], v72 offset:5120
	s_load_b32 s2, s[2:3], 0x0
	s_add_u32 s6, s10, s15
	s_addc_u32 s7, s11, s19
	v_add_co_u32 v68, s6, s6, v41
	s_delay_alu instid0(VALU_DEP_1) | instskip(SKIP_1) | instid1(VALU_DEP_1)
	v_add_co_ci_u32_e64 v69, null, s7, 0, s6
	s_waitcnt lgkmcnt(0)
	v_mad_i64_i32 v[41:42], null, s28, s5, v[68:69]
	v_mad_i64_i32 v[70:71], null, s8, s5, v[68:69]
	;; [unrolled: 1-line block ×7, first 2 shown]
	s_clause 0x3
	global_load_b128 v[49:52], v[41:42], off
	global_load_b128 v[53:56], v[41:42], off offset:16
	global_load_b128 v[41:44], v[45:46], off
	global_load_b128 v[45:48], v[45:46], off offset:16
	s_waitcnt vmcnt(18)
	v_wmma_f32_16x16x16_bf16 v[124:131], v[1:8], v[33:40], v[100:107]
	s_waitcnt vmcnt(16)
	v_wmma_f32_16x16x16_bf16 v[100:107], v[9:16], v[33:40], v[100:107]
	s_clause 0x1
	global_load_b128 v[33:36], v[70:71], off
	global_load_b128 v[37:40], v[70:71], off offset:16
	v_mad_i64_i32 v[70:71], null, s2, s5, v[68:69]
	s_waitcnt vmcnt(16)
	v_wmma_f32_16x16x16_bf16 v[124:131], v[17:24], v[108:115], v[124:131]
	s_waitcnt vmcnt(14)
	v_wmma_f32_16x16x16_bf16 v[100:107], v[25:32], v[108:115], v[100:107]
	s_clause 0x7
	global_load_b128 v[25:28], v[132:133], off
	global_load_b128 v[29:32], v[132:133], off offset:16
	global_load_b128 v[1:4], v[134:135], off
	global_load_b128 v[5:8], v[134:135], off offset:16
	;; [unrolled: 2-line block ×4, first 2 shown]
	s_waitcnt vmcnt(20)
	v_wmma_f32_16x16x16_bf16 v[124:131], v[57:64], v[116:123], v[124:131]
	s_clause 0x1
	global_load_b128 v[57:60], v[70:71], off
	global_load_b128 v[61:64], v[70:71], off offset:16
	s_waitcnt vmcnt(20)
	v_wmma_f32_16x16x16_bf16 v[100:107], v[76:83], v[116:123], v[100:107]
	ds_load_b128 v[76:79], v72 offset:6144
	ds_load_b128 v[80:83], v72 offset:7168
	v_and_b32_e32 v68, 0xe0, v0
	v_mbcnt_lo_u32_b32 v69, -1, 0
	s_waitcnt vmcnt(0) lgkmcnt(0)
	s_barrier
	buffer_gl0_inv
	v_add_nc_u32_e32 v68, s12, v68
	v_xor_b32_e32 v70, 16, v69
	s_delay_alu instid0(VALU_DEP_2) | instskip(NEXT) | instid1(VALU_DEP_2)
	v_or_b32_e32 v68, v68, v74
	v_cmp_gt_i32_e32 vcc_lo, 32, v70
	s_delay_alu instid0(VALU_DEP_2)
	v_or_b32_e32 v71, 4, v68
	v_or_b32_e32 v72, 6, v68
	v_cmp_gt_i32_e64 s2, s17, v68
	v_or_b32_e32 v108, 8, v68
	v_wmma_f32_16x16x16_bf16 v[124:131], v[84:91], v[76:83], v[124:131]
	v_cndmask_b32_e32 v69, v69, v70, vcc_lo
	v_or_b32_e32 v70, 2, v68
	v_wmma_f32_16x16x16_bf16 v[100:107], v[92:99], v[76:83], v[100:107]
	v_or_b32_e32 v109, 10, v68
	v_dual_mul_f32 v82, s18, v127 :: v_dual_mul_f32 v79, s18, v130
	v_dual_mul_f32 v92, s18, v125 :: v_dual_mul_f32 v93, s18, v124
	s_delay_alu instid0(VALU_DEP_4)
	v_mul_f32_e32 v98, s18, v103
	v_cmp_gt_i32_e32 vcc_lo, s17, v70
	v_or_b32_e32 v89, 22, v68
	v_dual_mul_f32 v83, s18, v126 :: v_dual_mul_f32 v96, s18, v105
	v_cndmask_b32_e64 v93, 0xff7fffff, v93, s2
	v_cndmask_b32_e32 v92, 0xff7fffff, v92, vcc_lo
	v_cmp_gt_i32_e64 s3, s17, v71
	v_cmp_gt_i32_e64 s4, s17, v72
	v_or_b32_e32 v84, 12, v68
	v_or_b32_e32 v85, 14, v68
	v_dual_mul_f32 v80, s18, v129 :: v_dual_mul_f32 v81, s18, v128
	v_mul_f32_e32 v94, s18, v107
	v_cndmask_b32_e64 v71, 0xff7fffff, v83, s3
	v_cndmask_b32_e64 v72, 0xff7fffff, v82, s4
	v_cmp_gt_i32_e64 s5, s17, v108
	v_cmp_gt_i32_e64 s6, s17, v109
	;; [unrolled: 1-line block ×3, first 2 shown]
	v_lshlrev_b32_e32 v89, 2, v69
	v_max3_f32 v82, v93, 0xff7fffff, v92
	v_or_b32_e32 v86, 16, v68
	v_or_b32_e32 v87, 18, v68
	v_mul_f32_e32 v78, s18, v131
	v_cndmask_b32_e64 v81, 0xff7fffff, v81, s5
	v_cndmask_b32_e64 v80, 0xff7fffff, v80, s6
	v_max3_f32 v71, v82, v71, v72
	v_cmp_gt_i32_e64 s7, s17, v84
	v_cmp_gt_i32_e64 s8, s17, v85
	v_or_b32_e32 v88, 20, v68
	v_or_b32_e32 v90, 24, v68
	;; [unrolled: 1-line block ×5, first 2 shown]
	v_dual_mul_f32 v95, s18, v106 :: v_dual_mul_f32 v70, s18, v101
	v_dual_mul_f32 v99, s18, v102 :: v_dual_mul_f32 v68, s18, v100
	v_cndmask_b32_e64 v72, 0xff7fffff, v79, s7
	v_cndmask_b32_e64 v78, 0xff7fffff, v78, s8
	v_max3_f32 v71, v71, v81, v80
	v_cmp_gt_i32_e64 s9, s17, v86
	v_cmp_gt_i32_e64 s10, s17, v87
	;; [unrolled: 1-line block ×3, first 2 shown]
	v_mul_f32_e32 v97, s18, v104
	v_max3_f32 v71, v71, v72, v78
	v_cndmask_b32_e64 v68, 0xff7fffff, v68, s9
	v_cndmask_b32_e64 v70, 0xff7fffff, v70, s10
	;; [unrolled: 1-line block ×4, first 2 shown]
	v_cmp_gt_i32_e64 s13, s17, v90
	v_cmp_gt_i32_e64 s15, s17, v91
	v_max3_f32 v68, v71, v68, v70
	v_cmp_gt_i32_e64 s16, s17, v76
	v_cmp_gt_i32_e64 s17, s17, v77
	v_cndmask_b32_e64 v70, 0xff7fffff, v97, s13
	v_cndmask_b32_e64 v71, 0xff7fffff, v96, s15
	v_max3_f32 v68, v68, v72, v78
	v_cndmask_b32_e64 v72, 0xff7fffff, v95, s16
	v_cndmask_b32_e64 v76, 0xff7fffff, v94, s17
	s_delay_alu instid0(VALU_DEP_3) | instskip(NEXT) | instid1(VALU_DEP_1)
	v_max3_f32 v68, v68, v70, v71
	v_max3_f32 v68, v68, v72, v76
	ds_bpermute_b32 v69, v89, v68
	s_waitcnt lgkmcnt(0)
	v_max_f32_e32 v69, v69, v69
	s_delay_alu instid0(VALU_DEP_1) | instskip(NEXT) | instid1(VALU_DEP_1)
	v_max_f32_e32 v68, v68, v69
	v_fma_f32 v69, s18, v124, -v68
	v_fma_f32 v70, s18, v125, -v68
	;; [unrolled: 1-line block ×5, first 2 shown]
	s_delay_alu instid0(VALU_DEP_4) | instskip(NEXT) | instid1(VALU_DEP_4)
	v_dual_mul_f32 v69, 0x3fb8aa3b, v69 :: v_dual_mul_f32 v70, 0x3fb8aa3b, v70
	v_mul_f32_e32 v72, 0x3fb8aa3b, v72
	v_fma_f32 v78, s18, v130, -v68
	s_delay_alu instid0(VALU_DEP_4) | instskip(NEXT) | instid1(VALU_DEP_4)
	v_mul_f32_e32 v77, 0x3fb8aa3b, v76
	v_exp_f32_e32 v69, v69
	v_exp_f32_e32 v70, v70
	v_mul_f32_e32 v71, 0x3fb8aa3b, v71
	v_exp_f32_e32 v72, v72
	v_mul_f32_e32 v78, 0x3fb8aa3b, v78
	v_exp_f32_e32 v77, v77
	v_fma_f32 v81, s18, v105, -v68
	s_delay_alu instid0(VALU_DEP_2)
	v_exp_f32_e32 v78, v78
	v_cndmask_b32_e64 v80, 0, v69, s2
	v_cndmask_b32_e32 v76, 0, v70, vcc_lo
	v_exp_f32_e32 v71, v71
	v_fma_f32 v69, s18, v129, -v68
	v_cndmask_b32_e64 v85, 0, v72, s4
	v_add_f32_e32 v70, 0, v80
	s_delay_alu instid0(TRANS32_DEP_3)
	v_cndmask_b32_e64 v86, 0, v77, s5
	v_fma_f32 v77, s18, v101, -v68
	v_mul_f32_e32 v69, 0x3fb8aa3b, v69
	v_fma_f32 v72, s18, v100, -v68
	v_cndmask_b32_e64 v84, 0, v78, s7
	v_fma_f32 v78, s18, v103, -v68
	v_cndmask_b32_e64 v83, 0, v71, s3
	v_fma_f32 v71, s18, v131, -v68
	v_add_f32_e32 v70, v70, v76
	v_exp_f32_e32 v69, v69
	v_mul_f32_e32 v77, 0x3fb8aa3b, v77
	v_mul_f32_e32 v81, 0x3fb8aa3b, v81
	;; [unrolled: 1-line block ×3, first 2 shown]
	v_add_f32_e32 v70, v70, v83
	s_mov_b32 s2, exec_lo
	v_exp_f32_e32 v77, v77
	v_exp_f32_e32 v81, v81
	;; [unrolled: 1-line block ×3, first 2 shown]
	v_cndmask_b32_e64 v87, 0, v69, s6
	v_add_f32_e32 v70, v70, v85
	s_delay_alu instid0(VALU_DEP_1) | instskip(SKIP_1) | instid1(VALU_DEP_2)
	v_dual_mul_f32 v72, 0x3fb8aa3b, v72 :: v_dual_add_f32 v69, v70, v86
	v_fma_f32 v70, s18, v102, -v68
	v_exp_f32_e32 v72, v72
	s_waitcnt_depctr 0xfff
	v_cndmask_b32_e64 v88, 0, v71, s8
	v_fma_f32 v71, s18, v104, -v68
	v_dual_add_f32 v69, v69, v87 :: v_dual_mul_f32 v70, 0x3fb8aa3b, v70
	s_delay_alu instid0(VALU_DEP_2) | instskip(NEXT) | instid1(VALU_DEP_2)
	v_dual_mul_f32 v78, 0x3fb8aa3b, v78 :: v_dual_mul_f32 v71, 0x3fb8aa3b, v71
	v_add_f32_e32 v69, v69, v84
	s_delay_alu instid0(VALU_DEP_3) | instskip(SKIP_1) | instid1(VALU_DEP_3)
	v_exp_f32_e32 v79, v70
	v_cndmask_b32_e64 v70, 0, v72, s9
	v_exp_f32_e32 v78, v78
	v_exp_f32_e32 v82, v71
	v_add_f32_e32 v72, v69, v88
	v_cndmask_b32_e64 v69, 0, v77, s10
	v_fma_f32 v77, s18, v106, -v68
	s_delay_alu instid0(VALU_DEP_3) | instskip(NEXT) | instid1(TRANS32_DEP_3)
	v_add_f32_e32 v72, v72, v70
	v_cndmask_b32_e64 v71, 0, v79, s11
	s_delay_alu instid0(VALU_DEP_3) | instskip(NEXT) | instid1(VALU_DEP_3)
	v_mul_f32_e32 v77, 0x3fb8aa3b, v77
	v_add_f32_e32 v79, v72, v69
	s_delay_alu instid0(TRANS32_DEP_2) | instskip(NEXT) | instid1(VALU_DEP_3)
	v_cndmask_b32_e64 v72, 0, v78, s12
	v_exp_f32_e32 v90, v77
	v_cndmask_b32_e64 v77, 0, v82, s13
	s_delay_alu instid0(VALU_DEP_3) | instskip(SKIP_1) | instid1(VALU_DEP_1)
	v_add_f32_e32 v78, v79, v71
	v_fma_f32 v79, s18, v107, -v68
	v_dual_add_f32 v82, v78, v72 :: v_dual_mul_f32 v79, 0x3fb8aa3b, v79
	v_cndmask_b32_e64 v78, 0, v81, s15
	s_delay_alu instid0(VALU_DEP_2) | instskip(NEXT) | instid1(VALU_DEP_3)
	v_add_f32_e32 v81, v82, v77
	v_exp_f32_e32 v82, v79
	s_delay_alu instid0(TRANS32_DEP_2) | instskip(NEXT) | instid1(VALU_DEP_2)
	v_cndmask_b32_e64 v79, 0, v90, s16
	v_add_f32_e32 v81, v81, v78
	s_delay_alu instid0(VALU_DEP_1) | instskip(SKIP_2) | instid1(VALU_DEP_1)
	v_add_f32_e32 v90, v81, v79
	s_waitcnt_depctr 0xfff
	v_cndmask_b32_e64 v81, 0, v82, s17
	v_add_f32_e32 v82, v90, v81
	ds_bpermute_b32 v89, v89, v82
	v_cmpx_gt_u32_e32 16, v67
	s_cbranch_execz .LBB1519_12
; %bb.11:
	v_mul_u32_u24_e32 v67, 0x44, v66
	s_delay_alu instid0(VALU_DEP_1) | instskip(SKIP_1) | instid1(VALU_DEP_1)
	v_lshl_add_u32 v67, v65, 2, v67
	s_waitcnt lgkmcnt(0)
	v_dual_add_f32 v82, v82, v89 :: v_dual_add_nc_u32 v67, 0x4000, v67
	ds_store_2addr_b32 v67, v68, v82 offset1:136
.LBB1519_12:
	s_or_b32 exec_lo, exec_lo, s2
	v_lshlrev_b32_e32 v67, 2, v65
	s_waitcnt lgkmcnt(0)
	s_barrier
	buffer_gl0_inv
	v_cmp_eq_u32_e32 vcc_lo, 1, v66
	v_add_nc_u32_e32 v82, 0x4000, v67
	v_cmp_eq_u32_e64 s2, 2, v66
	v_cmp_eq_u32_e64 s4, 7, v66
	ds_load_2addr_b32 v[89:90], v82 offset1:17
	ds_load_2addr_b32 v[91:92], v82 offset0:34 offset1:51
	ds_load_2addr_b32 v[93:94], v82 offset0:68 offset1:85
	;; [unrolled: 1-line block ×4, first 2 shown]
	s_waitcnt lgkmcnt(4)
	v_max3_f32 v67, v89, 0xff7fffff, v90
	s_waitcnt lgkmcnt(3)
	s_delay_alu instid0(VALU_DEP_1) | instskip(SKIP_1) | instid1(VALU_DEP_1)
	v_max3_f32 v67, v67, v91, v92
	s_waitcnt lgkmcnt(2)
	v_max3_f32 v67, v67, v93, v94
	s_waitcnt lgkmcnt(1)
	s_delay_alu instid0(VALU_DEP_1) | instskip(NEXT) | instid1(VALU_DEP_1)
	v_max3_f32 v67, v67, v95, v96
	v_sub_f32_e32 v93, v93, v67
	s_delay_alu instid0(VALU_DEP_1) | instskip(NEXT) | instid1(VALU_DEP_1)
	v_dual_sub_f32 v68, v89, v67 :: v_dual_mul_f32 v103, 0x3fb8aa3b, v93
	v_mul_f32_e32 v68, 0x3fb8aa3b, v68
	s_delay_alu instid0(VALU_DEP_1)
	v_exp_f32_e32 v100, v68
	v_sub_f32_e32 v68, v92, v67
	v_sub_f32_e32 v99, v90, v67
	ds_load_2addr_b32 v[89:90], v82 offset0:170 offset1:187
	v_dual_mul_f32 v102, 0x3fb8aa3b, v68 :: v_dual_mul_f32 v99, 0x3fb8aa3b, v99
	s_waitcnt lgkmcnt(1)
	v_fma_f32 v68, v100, v97, 0
	s_delay_alu instid0(VALU_DEP_2) | instskip(NEXT) | instid1(VALU_DEP_2)
	v_exp_f32_e32 v102, v102
	v_exp_f32_e32 v99, v99
	s_waitcnt_depctr 0xfff
	v_fmac_f32_e32 v68, v99, v98
	v_sub_f32_e32 v91, v91, v67
	s_delay_alu instid0(VALU_DEP_1)
	v_mul_f32_e32 v101, 0x3fb8aa3b, v91
	ds_load_2addr_b32 v[91:92], v82 offset0:204 offset1:221
	v_sub_f32_e32 v97, v94, v67
	ds_load_2addr_b32 v[93:94], v82 offset0:238 offset1:255
	s_waitcnt lgkmcnt(0)
	v_exp_f32_e32 v101, v101
	s_barrier
	buffer_gl0_inv
	v_dual_fmac_f32 v68, v101, v89 :: v_dual_sub_f32 v89, v96, v67
	v_dual_sub_f32 v82, v95, v67 :: v_dual_mul_f32 v95, 0x3fb8aa3b, v97
	v_exp_f32_e32 v97, v103
	s_delay_alu instid0(VALU_DEP_2) | instskip(NEXT) | instid1(VALU_DEP_2)
	v_dual_fmac_f32 v68, v102, v90 :: v_dual_mul_f32 v89, 0x3fb8aa3b, v89
	v_mul_f32_e32 v82, 0x3fb8aa3b, v82
	s_delay_alu instid0(VALU_DEP_3) | instskip(NEXT) | instid1(VALU_DEP_2)
	v_exp_f32_e32 v95, v95
	v_exp_f32_e32 v89, v89
	s_delay_alu instid0(VALU_DEP_1)
	v_exp_f32_e32 v82, v82
	v_fmac_f32_e32 v68, v97, v91
	s_delay_alu instid0(TRANS32_DEP_3) | instid1(VALU_DEP_1)
	v_fmac_f32_e32 v68, v95, v92
	s_waitcnt_depctr 0xfff
	v_fmac_f32_e32 v68, v82, v93
	s_delay_alu instid0(VALU_DEP_1) | instskip(NEXT) | instid1(VALU_DEP_1)
	v_fmac_f32_e32 v68, v89, v94
	v_add_f32_e32 v90, 0x358637bd, v68
	s_delay_alu instid0(VALU_DEP_1) | instskip(NEXT) | instid1(VALU_DEP_1)
	v_div_scale_f32 v91, null, v90, v90, 1.0
	v_rcp_f32_e32 v92, v91
	s_waitcnt_depctr 0xfff
	v_fma_f32 v93, -v91, v92, 1.0
	s_delay_alu instid0(VALU_DEP_1) | instskip(SKIP_1) | instid1(VALU_DEP_2)
	v_dual_fmac_f32 v92, v93, v92 :: v_dual_cndmask_b32 v93, v100, v99
	v_cmp_eq_u32_e32 vcc_lo, 3, v66
	v_cndmask_b32_e64 v93, v93, v101, s2
	v_cmp_eq_u32_e64 s2, 4, v66
	s_delay_alu instid0(VALU_DEP_2) | instskip(SKIP_1) | instid1(VALU_DEP_2)
	v_cndmask_b32_e32 v93, v93, v102, vcc_lo
	v_cmp_eq_u32_e32 vcc_lo, 5, v66
	v_cndmask_b32_e64 v93, v93, v97, s2
	v_cmp_eq_u32_e64 s2, 6, v66
	s_delay_alu instid0(VALU_DEP_2) | instskip(SKIP_1) | instid1(VALU_DEP_1)
	v_cndmask_b32_e32 v93, v93, v95, vcc_lo
	v_div_scale_f32 v94, s3, 1.0, v90, 1.0
	s_mov_b32 vcc_lo, s3
	s_delay_alu instid0(VALU_DEP_2) | instskip(NEXT) | instid1(VALU_DEP_2)
	v_cndmask_b32_e64 v82, v93, v82, s2
	v_mul_f32_e32 v96, v94, v92
	s_mov_b32 s2, exec_lo
	s_delay_alu instid0(VALU_DEP_2) | instskip(NEXT) | instid1(VALU_DEP_2)
	v_cndmask_b32_e64 v82, v82, v89, s4
	v_fma_f32 v98, -v91, v96, v94
	s_delay_alu instid0(VALU_DEP_1) | instskip(NEXT) | instid1(VALU_DEP_1)
	v_fmac_f32_e32 v96, v98, v92
	v_fma_f32 v91, -v91, v96, v94
	s_delay_alu instid0(VALU_DEP_1) | instskip(NEXT) | instid1(VALU_DEP_1)
	v_div_fmas_f32 v91, v91, v92, v96
	v_div_fixup_f32 v90, v91, v90, 1.0
	s_delay_alu instid0(VALU_DEP_1) | instskip(NEXT) | instid1(VALU_DEP_1)
	v_mul_f32_e32 v82, v82, v90
	v_mul_f32_e32 v87, v82, v87
	;; [unrolled: 1-line block ×7, first 2 shown]
	v_dual_mul_f32 v86, v82, v83 :: v_dual_and_b32 v91, 0x7f800000, v90
	v_mul_f32_e32 v85, v82, v76
                                        ; implicit-def: $vgpr76
	s_delay_alu instid0(VALU_DEP_2)
	v_cmpx_ne_u32_e32 0x7f800000, v91
	s_xor_b32 s2, exec_lo, s2
; %bb.13:
	v_bfe_u32 v76, v90, 16, 1
	s_delay_alu instid0(VALU_DEP_1)
	v_add3_u32 v76, v90, v76, 0x7fff
                                        ; implicit-def: $vgpr90
; %bb.14:
	s_and_not1_saveexec_b32 s2, s2
; %bb.15:
	v_and_b32_e32 v76, 0xffff, v90
	v_or_b32_e32 v83, 0x10000, v90
	s_delay_alu instid0(VALU_DEP_2) | instskip(NEXT) | instid1(VALU_DEP_2)
	v_cmp_eq_u32_e32 vcc_lo, 0, v76
	v_cndmask_b32_e32 v76, v83, v90, vcc_lo
; %bb.16:
	s_or_b32 exec_lo, exec_lo, s2
	v_and_b32_e32 v83, 0x7f800000, v85
	s_delay_alu instid0(VALU_DEP_1) | instskip(SKIP_1) | instid1(SALU_CYCLE_1)
	v_cmp_ne_u32_e32 vcc_lo, 0x7f800000, v83
                                        ; implicit-def: $vgpr83
	s_and_saveexec_b32 s2, vcc_lo
	s_xor_b32 s2, exec_lo, s2
; %bb.17:
	v_bfe_u32 v83, v85, 16, 1
	s_delay_alu instid0(VALU_DEP_1)
	v_add3_u32 v83, v85, v83, 0x7fff
                                        ; implicit-def: $vgpr85
; %bb.18:
	s_and_not1_saveexec_b32 s2, s2
; %bb.19:
	v_and_b32_e32 v83, 0xffff, v85
	v_or_b32_e32 v90, 0x10000, v85
	s_delay_alu instid0(VALU_DEP_2) | instskip(NEXT) | instid1(VALU_DEP_2)
	v_cmp_eq_u32_e32 vcc_lo, 0, v83
	v_cndmask_b32_e32 v83, v90, v85, vcc_lo
; %bb.20:
	s_or_b32 exec_lo, exec_lo, s2
	v_and_b32_e32 v85, 0x7f800000, v86
	s_delay_alu instid0(VALU_DEP_1) | instskip(SKIP_1) | instid1(SALU_CYCLE_1)
	v_cmp_ne_u32_e32 vcc_lo, 0x7f800000, v85
                                        ; implicit-def: $vgpr85
	s_and_saveexec_b32 s2, vcc_lo
	s_xor_b32 s2, exec_lo, s2
; %bb.21:
	v_bfe_u32 v85, v86, 16, 1
	s_delay_alu instid0(VALU_DEP_1)
	v_add3_u32 v85, v86, v85, 0x7fff
                                        ; implicit-def: $vgpr86
; %bb.22:
	s_and_not1_saveexec_b32 s2, s2
; %bb.23:
	v_and_b32_e32 v85, 0xffff, v86
	v_or_b32_e32 v90, 0x10000, v86
	s_delay_alu instid0(VALU_DEP_2) | instskip(NEXT) | instid1(VALU_DEP_2)
	v_cmp_eq_u32_e32 vcc_lo, 0, v85
	v_cndmask_b32_e32 v85, v90, v86, vcc_lo
; %bb.24:
	s_or_b32 exec_lo, exec_lo, s2
	v_and_b32_e32 v86, 0x7f800000, v89
	s_delay_alu instid0(VALU_DEP_1) | instskip(SKIP_1) | instid1(SALU_CYCLE_1)
	v_cmp_ne_u32_e32 vcc_lo, 0x7f800000, v86
                                        ; implicit-def: $vgpr86
	s_and_saveexec_b32 s2, vcc_lo
	s_xor_b32 s2, exec_lo, s2
; %bb.25:
	v_bfe_u32 v86, v89, 16, 1
	s_delay_alu instid0(VALU_DEP_1)
	v_add3_u32 v86, v89, v86, 0x7fff
                                        ; implicit-def: $vgpr89
; %bb.26:
	s_and_not1_saveexec_b32 s2, s2
; %bb.27:
	v_and_b32_e32 v86, 0xffff, v89
	v_or_b32_e32 v90, 0x10000, v89
	s_delay_alu instid0(VALU_DEP_2) | instskip(NEXT) | instid1(VALU_DEP_2)
	v_cmp_eq_u32_e32 vcc_lo, 0, v86
	v_cndmask_b32_e32 v86, v90, v89, vcc_lo
; %bb.28:
	s_or_b32 exec_lo, exec_lo, s2
	v_and_b32_e32 v89, 0x7f800000, v88
	s_delay_alu instid0(VALU_DEP_1) | instskip(SKIP_1) | instid1(SALU_CYCLE_1)
	v_cmp_ne_u32_e32 vcc_lo, 0x7f800000, v89
                                        ; implicit-def: $vgpr89
	s_and_saveexec_b32 s2, vcc_lo
	s_xor_b32 s2, exec_lo, s2
; %bb.29:
	v_bfe_u32 v89, v88, 16, 1
	s_delay_alu instid0(VALU_DEP_1)
	v_add3_u32 v89, v88, v89, 0x7fff
                                        ; implicit-def: $vgpr88
; %bb.30:
	s_and_not1_saveexec_b32 s2, s2
; %bb.31:
	v_and_b32_e32 v89, 0xffff, v88
	v_or_b32_e32 v90, 0x10000, v88
	s_delay_alu instid0(VALU_DEP_2) | instskip(NEXT) | instid1(VALU_DEP_2)
	v_cmp_eq_u32_e32 vcc_lo, 0, v89
	v_cndmask_b32_e32 v89, v90, v88, vcc_lo
; %bb.32:
	s_or_b32 exec_lo, exec_lo, s2
	v_and_b32_e32 v88, 0x7f800000, v87
	s_delay_alu instid0(VALU_DEP_1) | instskip(SKIP_1) | instid1(SALU_CYCLE_1)
	v_cmp_ne_u32_e32 vcc_lo, 0x7f800000, v88
                                        ; implicit-def: $vgpr88
	s_and_saveexec_b32 s2, vcc_lo
	s_xor_b32 s2, exec_lo, s2
; %bb.33:
	v_bfe_u32 v88, v87, 16, 1
	s_delay_alu instid0(VALU_DEP_1)
	v_add3_u32 v88, v87, v88, 0x7fff
                                        ; implicit-def: $vgpr87
; %bb.34:
	s_and_not1_saveexec_b32 s2, s2
; %bb.35:
	v_and_b32_e32 v88, 0xffff, v87
	v_or_b32_e32 v90, 0x10000, v87
	s_delay_alu instid0(VALU_DEP_2) | instskip(NEXT) | instid1(VALU_DEP_2)
	v_cmp_eq_u32_e32 vcc_lo, 0, v88
	v_cndmask_b32_e32 v88, v90, v87, vcc_lo
; %bb.36:
	s_or_b32 exec_lo, exec_lo, s2
	v_and_b32_e32 v87, 0x7f800000, v84
	s_delay_alu instid0(VALU_DEP_1) | instskip(SKIP_1) | instid1(SALU_CYCLE_1)
	v_cmp_ne_u32_e32 vcc_lo, 0x7f800000, v87
                                        ; implicit-def: $vgpr87
	s_and_saveexec_b32 s2, vcc_lo
	s_xor_b32 s2, exec_lo, s2
; %bb.37:
	v_bfe_u32 v87, v84, 16, 1
	s_delay_alu instid0(VALU_DEP_1)
	v_add3_u32 v87, v84, v87, 0x7fff
                                        ; implicit-def: $vgpr84
; %bb.38:
	s_and_not1_saveexec_b32 s2, s2
; %bb.39:
	v_and_b32_e32 v87, 0xffff, v84
	v_or_b32_e32 v90, 0x10000, v84
	s_delay_alu instid0(VALU_DEP_2) | instskip(NEXT) | instid1(VALU_DEP_2)
	v_cmp_eq_u32_e32 vcc_lo, 0, v87
	v_cndmask_b32_e32 v87, v90, v84, vcc_lo
; %bb.40:
	s_or_b32 exec_lo, exec_lo, s2
	v_and_b32_e32 v84, 0x7f800000, v80
	s_delay_alu instid0(VALU_DEP_1) | instskip(SKIP_1) | instid1(SALU_CYCLE_1)
	v_cmp_ne_u32_e32 vcc_lo, 0x7f800000, v84
                                        ; implicit-def: $vgpr84
	s_and_saveexec_b32 s2, vcc_lo
	s_xor_b32 s2, exec_lo, s2
; %bb.41:
	v_bfe_u32 v84, v80, 16, 1
	s_delay_alu instid0(VALU_DEP_1)
	v_add3_u32 v84, v80, v84, 0x7fff
                                        ; implicit-def: $vgpr80
; %bb.42:
	s_and_not1_saveexec_b32 s2, s2
; %bb.43:
	v_and_b32_e32 v84, 0xffff, v80
	v_or_b32_e32 v90, 0x10000, v80
	s_delay_alu instid0(VALU_DEP_2) | instskip(NEXT) | instid1(VALU_DEP_2)
	v_cmp_eq_u32_e32 vcc_lo, 0, v84
	v_cndmask_b32_e32 v84, v90, v80, vcc_lo
; %bb.44:
	s_or_b32 exec_lo, exec_lo, s2
	s_load_b64 s[34:35], s[0:1], 0x94
	v_lshlrev_b32_e32 v91, 4, v74
	s_delay_alu instid0(VALU_DEP_2)
	v_perm_b32 v90, v84, v87, 0x7060302
	v_dual_mul_f32 v79, v82, v79 :: v_dual_lshlrev_b32 v80, 6, v65
	v_dual_mul_f32 v77, v82, v77 :: v_dual_lshlrev_b32 v92, 11, v66
	v_mul_f32_e32 v84, v82, v70
	v_perm_b32 v89, v88, v89, 0x7060302
	v_perm_b32 v88, v86, v85, 0x7060302
	;; [unrolled: 1-line block ×3, first 2 shown]
	v_mul_f32_e32 v70, v82, v81
	v_or3_b32 v76, v91, v92, v80
	v_dual_mul_f32 v78, v82, v78 :: v_dual_and_b32 v85, 0x7f800000, v84
	v_mul_f32_e32 v83, v82, v72
	v_mul_f32_e32 v81, v82, v71
	;; [unrolled: 1-line block ×3, first 2 shown]
	s_mov_b32 s2, exec_lo
	ds_store_b128 v76, v[87:90]
                                        ; implicit-def: $vgpr69
	v_cmpx_ne_u32_e32 0x7f800000, v85
	s_xor_b32 s2, exec_lo, s2
; %bb.45:
	v_bfe_u32 v69, v84, 16, 1
	s_delay_alu instid0(VALU_DEP_1)
	v_add3_u32 v69, v84, v69, 0x7fff
                                        ; implicit-def: $vgpr84
; %bb.46:
	s_and_not1_saveexec_b32 s2, s2
; %bb.47:
	v_and_b32_e32 v69, 0xffff, v84
	v_or_b32_e32 v71, 0x10000, v84
	s_delay_alu instid0(VALU_DEP_2) | instskip(NEXT) | instid1(VALU_DEP_2)
	v_cmp_eq_u32_e32 vcc_lo, 0, v69
	v_cndmask_b32_e32 v69, v71, v84, vcc_lo
; %bb.48:
	s_or_b32 exec_lo, exec_lo, s2
	v_and_b32_e32 v71, 0x7f800000, v72
	s_delay_alu instid0(VALU_DEP_1) | instskip(SKIP_1) | instid1(SALU_CYCLE_1)
	v_cmp_ne_u32_e32 vcc_lo, 0x7f800000, v71
                                        ; implicit-def: $vgpr71
	s_and_saveexec_b32 s2, vcc_lo
	s_xor_b32 s2, exec_lo, s2
; %bb.49:
	v_bfe_u32 v71, v72, 16, 1
	s_delay_alu instid0(VALU_DEP_1)
	v_add3_u32 v71, v72, v71, 0x7fff
                                        ; implicit-def: $vgpr72
; %bb.50:
	s_and_not1_saveexec_b32 s2, s2
; %bb.51:
	v_and_b32_e32 v71, 0xffff, v72
	v_or_b32_e32 v82, 0x10000, v72
	s_delay_alu instid0(VALU_DEP_2) | instskip(NEXT) | instid1(VALU_DEP_2)
	v_cmp_eq_u32_e32 vcc_lo, 0, v71
	v_cndmask_b32_e32 v71, v82, v72, vcc_lo
; %bb.52:
	s_or_b32 exec_lo, exec_lo, s2
	v_and_b32_e32 v72, 0x7f800000, v81
	s_delay_alu instid0(VALU_DEP_1) | instskip(SKIP_1) | instid1(SALU_CYCLE_1)
	v_cmp_ne_u32_e32 vcc_lo, 0x7f800000, v72
                                        ; implicit-def: $vgpr72
	s_and_saveexec_b32 s2, vcc_lo
	s_xor_b32 s2, exec_lo, s2
; %bb.53:
	v_bfe_u32 v72, v81, 16, 1
	s_delay_alu instid0(VALU_DEP_1)
	v_add3_u32 v72, v81, v72, 0x7fff
                                        ; implicit-def: $vgpr81
; %bb.54:
	s_and_not1_saveexec_b32 s2, s2
; %bb.55:
	v_and_b32_e32 v72, 0xffff, v81
	v_or_b32_e32 v82, 0x10000, v81
	s_delay_alu instid0(VALU_DEP_2) | instskip(NEXT) | instid1(VALU_DEP_2)
	v_cmp_eq_u32_e32 vcc_lo, 0, v72
	v_cndmask_b32_e32 v72, v82, v81, vcc_lo
; %bb.56:
	s_or_b32 exec_lo, exec_lo, s2
	v_and_b32_e32 v81, 0x7f800000, v83
	s_delay_alu instid0(VALU_DEP_1) | instskip(SKIP_1) | instid1(SALU_CYCLE_1)
	v_cmp_ne_u32_e32 vcc_lo, 0x7f800000, v81
                                        ; implicit-def: $vgpr81
	s_and_saveexec_b32 s2, vcc_lo
	s_xor_b32 s2, exec_lo, s2
; %bb.57:
	v_bfe_u32 v81, v83, 16, 1
	s_delay_alu instid0(VALU_DEP_1)
	v_add3_u32 v81, v83, v81, 0x7fff
                                        ; implicit-def: $vgpr83
; %bb.58:
	s_and_not1_saveexec_b32 s2, s2
; %bb.59:
	v_and_b32_e32 v81, 0xffff, v83
	v_or_b32_e32 v82, 0x10000, v83
	s_delay_alu instid0(VALU_DEP_2) | instskip(NEXT) | instid1(VALU_DEP_2)
	v_cmp_eq_u32_e32 vcc_lo, 0, v81
	v_cndmask_b32_e32 v81, v82, v83, vcc_lo
; %bb.60:
	s_or_b32 exec_lo, exec_lo, s2
	v_and_b32_e32 v82, 0x7f800000, v77
	s_delay_alu instid0(VALU_DEP_1) | instskip(SKIP_1) | instid1(SALU_CYCLE_1)
	v_cmp_ne_u32_e32 vcc_lo, 0x7f800000, v82
                                        ; implicit-def: $vgpr82
	s_and_saveexec_b32 s2, vcc_lo
	s_xor_b32 s2, exec_lo, s2
; %bb.61:
	v_bfe_u32 v82, v77, 16, 1
	s_delay_alu instid0(VALU_DEP_1)
	v_add3_u32 v82, v77, v82, 0x7fff
                                        ; implicit-def: $vgpr77
; %bb.62:
	s_and_not1_saveexec_b32 s2, s2
; %bb.63:
	v_and_b32_e32 v82, 0xffff, v77
	v_or_b32_e32 v83, 0x10000, v77
	s_delay_alu instid0(VALU_DEP_2) | instskip(NEXT) | instid1(VALU_DEP_2)
	v_cmp_eq_u32_e32 vcc_lo, 0, v82
	v_cndmask_b32_e32 v82, v83, v77, vcc_lo
; %bb.64:
	s_or_b32 exec_lo, exec_lo, s2
	v_and_b32_e32 v77, 0x7f800000, v78
	s_delay_alu instid0(VALU_DEP_1) | instskip(SKIP_1) | instid1(SALU_CYCLE_1)
	v_cmp_ne_u32_e32 vcc_lo, 0x7f800000, v77
                                        ; implicit-def: $vgpr77
	s_and_saveexec_b32 s2, vcc_lo
	s_xor_b32 s2, exec_lo, s2
; %bb.65:
	v_bfe_u32 v77, v78, 16, 1
	s_delay_alu instid0(VALU_DEP_1)
	v_add3_u32 v77, v78, v77, 0x7fff
                                        ; implicit-def: $vgpr78
; %bb.66:
	s_and_not1_saveexec_b32 s2, s2
; %bb.67:
	v_and_b32_e32 v77, 0xffff, v78
	v_or_b32_e32 v83, 0x10000, v78
	s_delay_alu instid0(VALU_DEP_2) | instskip(NEXT) | instid1(VALU_DEP_2)
	v_cmp_eq_u32_e32 vcc_lo, 0, v77
	v_cndmask_b32_e32 v77, v83, v78, vcc_lo
; %bb.68:
	s_or_b32 exec_lo, exec_lo, s2
	v_and_b32_e32 v78, 0x7f800000, v79
	s_delay_alu instid0(VALU_DEP_1) | instskip(SKIP_1) | instid1(SALU_CYCLE_1)
	v_cmp_ne_u32_e32 vcc_lo, 0x7f800000, v78
                                        ; implicit-def: $vgpr78
	s_and_saveexec_b32 s2, vcc_lo
	s_xor_b32 s2, exec_lo, s2
; %bb.69:
	v_bfe_u32 v78, v79, 16, 1
	s_delay_alu instid0(VALU_DEP_1)
	v_add3_u32 v78, v79, v78, 0x7fff
                                        ; implicit-def: $vgpr79
; %bb.70:
	s_and_not1_saveexec_b32 s2, s2
; %bb.71:
	v_and_b32_e32 v78, 0xffff, v79
	v_or_b32_e32 v83, 0x10000, v79
	s_delay_alu instid0(VALU_DEP_2) | instskip(NEXT) | instid1(VALU_DEP_2)
	v_cmp_eq_u32_e32 vcc_lo, 0, v78
	v_cndmask_b32_e32 v78, v83, v79, vcc_lo
; %bb.72:
	s_or_b32 exec_lo, exec_lo, s2
	v_and_b32_e32 v79, 0x7f800000, v70
	s_delay_alu instid0(VALU_DEP_1) | instskip(SKIP_1) | instid1(SALU_CYCLE_1)
	v_cmp_ne_u32_e32 vcc_lo, 0x7f800000, v79
                                        ; implicit-def: $vgpr79
	s_and_saveexec_b32 s2, vcc_lo
	s_xor_b32 s2, exec_lo, s2
; %bb.73:
	v_bfe_u32 v79, v70, 16, 1
	s_delay_alu instid0(VALU_DEP_1)
	v_add3_u32 v79, v70, v79, 0x7fff
                                        ; implicit-def: $vgpr70
; %bb.74:
	s_and_not1_saveexec_b32 s2, s2
; %bb.75:
	v_and_b32_e32 v79, 0xffff, v70
	v_or_b32_e32 v83, 0x10000, v70
	s_delay_alu instid0(VALU_DEP_2) | instskip(NEXT) | instid1(VALU_DEP_2)
	v_cmp_eq_u32_e32 vcc_lo, 0, v79
	v_cndmask_b32_e32 v79, v83, v70, vcc_lo
; %bb.76:
	s_or_b32 exec_lo, exec_lo, s2
	s_delay_alu instid0(VALU_DEP_1)
	v_perm_b32 v86, v79, v78, 0x7060302
	v_perm_b32 v85, v77, v82, 0x7060302
	;; [unrolled: 1-line block ×4, first 2 shown]
	v_lshl_or_b32 v82, v66, 11, v80
	ds_store_b128 v76, v[83:86] offset:1024
	s_waitcnt lgkmcnt(0)
	s_barrier
	buffer_gl0_inv
	ds_load_b128 v[69:72], v82
	ds_load_b128 v[83:86], v82 offset:16
	s_waitcnt lgkmcnt(1)
	v_lshrrev_b32_e32 v66, 16, v69
	s_waitcnt lgkmcnt(0)
	v_lshrrev_b32_e32 v91, 16, v83
	v_lshlrev_b32_e32 v78, 2, v74
	v_lshrrev_b32_e32 v95, 16, v70
	v_lshrrev_b32_e32 v98, 16, v84
	;; [unrolled: 1-line block ×4, first 2 shown]
	v_cmp_eq_u32_e32 vcc_lo, 1, v78
	v_lshrrev_b32_e32 v97, 16, v72
	v_lshrrev_b32_e32 v100, 16, v86
	v_cndmask_b32_e32 v87, v83, v91, vcc_lo
	v_or_b32_e32 v79, 1, v78
	v_cndmask_b32_e32 v81, v69, v66, vcc_lo
	v_cmp_eq_u32_e64 s3, 2, v78
	v_cmp_eq_u32_e64 s6, 3, v78
	;; [unrolled: 1-line block ×5, first 2 shown]
	v_cndmask_b32_e64 v81, v81, v70, s3
	v_cndmask_b32_e64 v87, v87, v84, s3
	v_cmp_eq_u32_e64 s7, 3, v79
	v_cndmask_b32_e64 v88, v69, v66, s2
	v_or_b32_e32 v77, 2, v78
	v_cndmask_b32_e64 v81, v81, v95, s6
	v_cndmask_b32_e64 v87, v87, v98, s6
	;; [unrolled: 1-line block ×4, first 2 shown]
	v_cmp_eq_u32_e64 s9, 5, v78
	v_cndmask_b32_e64 v81, v81, v71, s8
	v_cndmask_b32_e64 v87, v87, v85, s8
	v_cmp_eq_u32_e64 s10, 4, v79
	v_cndmask_b32_e64 v88, v88, v95, s7
	v_cmp_eq_u32_e64 s4, 1, v77
	v_cndmask_b32_e64 v89, v89, v84, s5
	v_cndmask_b32_e64 v81, v81, v96, s9
	v_cmp_eq_u32_e64 s11, 6, v78
	v_cndmask_b32_e64 v88, v88, v71, s10
	;; [unrolled: 3-line block ×3, first 2 shown]
	v_cndmask_b32_e64 v89, v89, v98, s7
	v_cndmask_b32_e64 v81, v81, v72, s11
	v_cmp_eq_u32_e64 s13, 7, v78
	v_cndmask_b32_e64 v88, v88, v96, s12
	v_cndmask_b32_e64 v87, v87, v86, s11
	v_cmp_eq_u32_e64 s15, 6, v79
	v_cmp_eq_u32_e64 s16, 2, v77
	v_cndmask_b32_e64 v89, v89, v85, s10
	v_cndmask_b32_e64 v101, v81, v97, s13
	;; [unrolled: 1-line block ×6, first 2 shown]
	v_cmp_eq_u32_e64 s17, 7, v79
	v_cmp_eq_u32_e64 s18, 3, v77
	;; [unrolled: 1-line block ×4, first 2 shown]
	v_cndmask_b32_e64 v87, v87, v84, s16
	v_cndmask_b32_e64 v103, v88, v97, s17
	;; [unrolled: 1-line block ×4, first 2 shown]
	v_or_b32_e32 v81, 3, v78
	v_cndmask_b32_e64 v93, v87, v98, s18
	v_cmp_eq_u32_e64 s23, 6, v77
	v_cndmask_b32_e64 v104, v88, v86, s15
	v_cndmask_b32_e64 v92, v89, v71, s19
	v_cmp_eq_u32_e64 s20, 1, v81
	ds_load_b128 v[87:90], v82 offset:1024
	v_cmp_eq_u32_e64 s22, 2, v81
	v_cmp_eq_u32_e64 s24, 3, v81
	v_cndmask_b32_e64 v105, v92, v96, s21
	v_cndmask_b32_e64 v66, v69, v66, s20
	v_cndmask_b32_e64 v69, v93, v85, s19
	v_cndmask_b32_e64 v83, v83, v91, s20
	ds_load_b128 v[91:94], v82 offset:1040
	v_cmp_eq_u32_e64 s25, 4, v81
	v_cndmask_b32_e64 v66, v66, v70, s22
	v_cmp_eq_u32_e64 s26, 7, v77
	v_cndmask_b32_e64 v70, v83, v84, s22
	v_cndmask_b32_e64 v84, v105, v72, s23
	v_cmp_eq_u32_e64 s27, 5, v81
	v_cndmask_b32_e64 v66, v66, v95, s24
	v_cmp_eq_u32_e64 s28, 6, v81
	v_cndmask_b32_e64 v70, v70, v98, s24
	v_cndmask_b32_e64 v69, v69, v99, s21
	;; [unrolled: 1-line block ×4, first 2 shown]
	s_waitcnt lgkmcnt(1)
	v_lshrrev_b32_e32 v95, 16, v87
	v_cndmask_b32_e64 v70, v70, v85, s25
	v_cndmask_b32_e64 v71, v84, v97, s26
	;; [unrolled: 1-line block ×4, first 2 shown]
	v_cndmask_b32_e32 v84, v87, v95, vcc_lo
	v_cndmask_b32_e64 v70, v70, v99, s27
	s_waitcnt lgkmcnt(0)
	v_lshrrev_b32_e32 v85, 16, v91
	v_lshrrev_b32_e32 v96, 16, v88
	v_cndmask_b32_e64 v98, v87, v95, s2
	v_cndmask_b32_e64 v84, v84, v88, s3
	;; [unrolled: 1-line block ×3, first 2 shown]
	v_cndmask_b32_e32 v99, v91, v85, vcc_lo
	v_cmp_eq_u32_e32 vcc_lo, 7, v81
	v_cndmask_b32_e64 v66, v66, v72, s28
	v_cndmask_b32_e64 v72, v84, v96, s6
	;; [unrolled: 1-line block ×3, first 2 shown]
	v_lshrrev_b32_e32 v98, 16, v92
	v_cndmask_b32_e32 v70, v70, v100, vcc_lo
	v_cndmask_b32_e64 v86, v99, v92, s3
	v_cndmask_b32_e64 v69, v69, v100, s26
	v_lshrrev_b32_e32 v100, 16, v93
	v_cndmask_b32_e64 v72, v72, v89, s8
	v_lshrrev_b32_e32 v99, 16, v89
	v_cndmask_b32_e64 v86, v86, v98, s6
	v_perm_b32 v71, v69, v71, 0x5040100
	v_cndmask_b32_e64 v84, v84, v96, s7
	s_delay_alu instid0(VALU_DEP_3) | instskip(NEXT) | instid1(VALU_DEP_2)
	v_cndmask_b32_e64 v86, v86, v93, s8
	v_cndmask_b32_e64 v84, v84, v89, s10
	s_delay_alu instid0(VALU_DEP_2) | instskip(NEXT) | instid1(VALU_DEP_1)
	v_cndmask_b32_e64 v86, v86, v100, s9
	v_cndmask_b32_e64 v69, v86, v94, s11
	;; [unrolled: 1-line block ×5, first 2 shown]
	s_delay_alu instid0(VALU_DEP_3) | instskip(NEXT) | instid1(VALU_DEP_3)
	v_cndmask_b32_e64 v86, v86, v88, s16
	v_cndmask_b32_e64 v87, v87, v88, s22
	s_delay_alu instid0(VALU_DEP_3) | instskip(NEXT) | instid1(VALU_DEP_3)
	v_cndmask_b32_e64 v88, v95, v92, s22
	v_cndmask_b32_e64 v86, v86, v96, s18
	;; [unrolled: 3-line block ×7, first 2 shown]
	s_delay_alu instid0(VALU_DEP_3) | instskip(SKIP_2) | instid1(VALU_DEP_2)
	v_cndmask_b32_e64 v88, v88, v94, s28
	v_cndmask_b32_e32 v66, v66, v97, vcc_lo
	v_cndmask_b32_e64 v97, v72, v99, s9
	v_perm_b32 v72, v70, v66, 0x5040100
	v_perm_b32 v70, v83, v103, 0x5040100
	v_cndmask_b32_e64 v103, v91, v85, s4
	v_cndmask_b32_e64 v85, v91, v85, s2
	;; [unrolled: 1-line block ×4, first 2 shown]
	v_lshrrev_b32_e32 v97, 16, v90
	v_cndmask_b32_e64 v91, v103, v92, s16
	v_cndmask_b32_e64 v85, v85, v92, s5
	;; [unrolled: 1-line block ×3, first 2 shown]
	s_mov_b32 s2, exec_lo
	v_cndmask_b32_e64 v83, v84, v97, s13
	v_cndmask_b32_e64 v91, v91, v98, s18
	;; [unrolled: 1-line block ×3, first 2 shown]
	v_lshrrev_b32_e32 v84, 16, v94
	v_cndmask_b32_e64 v66, v66, v97, s17
	v_cndmask_b32_e64 v90, v86, v97, s26
	;; [unrolled: 1-line block ×4, first 2 shown]
	v_dual_cndmask_b32 v86, v87, v97 :: v_dual_cndmask_b32 v87, v88, v84
	v_cndmask_b32_e64 v91, v69, v84, s13
	s_delay_alu instid0(VALU_DEP_4) | instskip(NEXT) | instid1(VALU_DEP_4)
	v_cndmask_b32_e64 v89, v89, v100, s21
	v_cndmask_b32_e64 v85, v85, v100, s12
	v_perm_b32 v69, v102, v101, 0x5040100
	v_perm_b32 v86, v87, v86, 0x5040100
	;; [unrolled: 1-line block ×3, first 2 shown]
	v_cndmask_b32_e64 v89, v89, v94, s23
	v_cndmask_b32_e64 v85, v85, v94, s15
	s_mul_i32 s7, s35, 14
	s_delay_alu instid0(VALU_DEP_2) | instskip(NEXT) | instid1(VALU_DEP_2)
	v_cndmask_b32_e64 v88, v89, v84, s26
	v_cndmask_b32_e64 v89, v85, v84, s17
	s_delay_alu instid0(VALU_DEP_2) | instskip(NEXT) | instid1(VALU_DEP_2)
	v_perm_b32 v85, v88, v90, 0x5040100
	v_perm_b32 v84, v89, v66, 0x5040100
	ds_store_b128 v76, v[69:72]
	ds_store_b128 v76, v[83:86] offset:1024
	v_cmpx_gt_u32_e32 14, v0
	s_cbranch_execz .LBB1519_78
; %bb.77:
	s_mul_i32 s3, s7, s30
	s_load_b128 s[8:11], s[0:1], 0x58
	v_add3_u32 v69, s3, s29, v65
	s_delay_alu instid0(VALU_DEP_1) | instskip(NEXT) | instid1(VALU_DEP_1)
	v_mad_u64_u32 v[65:66], null, v69, s34, s[14:15]
	v_ashrrev_i32_e32 v66, 31, v65
	s_delay_alu instid0(VALU_DEP_1) | instskip(SKIP_1) | instid1(VALU_DEP_1)
	v_lshlrev_b64 v[65:66], 2, v[65:66]
	s_waitcnt lgkmcnt(0)
	v_add_co_u32 v69, vcc_lo, s10, v65
	s_delay_alu instid0(VALU_DEP_2)
	v_add_co_ci_u32_e32 v70, vcc_lo, s11, v66, vcc_lo
	v_add_co_u32 v65, vcc_lo, s8, v65
	v_add_co_ci_u32_e32 v66, vcc_lo, s9, v66, vcc_lo
	global_store_b32 v[69:70], v67, off
	global_store_b32 v[65:66], v68, off
.LBB1519_78:
	s_or_b32 exec_lo, exec_lo, s2
	s_waitcnt lgkmcnt(0)
	s_waitcnt_vscnt null, 0x0
	s_barrier
	buffer_gl0_inv
	ds_load_b128 v[83:86], v80
	ds_load_b128 v[87:90], v80 offset:16
	ds_load_b128 v[95:98], v80 offset:2064
	;; [unrolled: 1-line block ×3, first 2 shown]
	v_mov_b32_e32 v65, 0
	ds_load_b128 v[103:106], v80 offset:4112
	ds_load_b128 v[99:102], v80 offset:4096
	;; [unrolled: 1-line block ×4, first 2 shown]
	v_mov_b32_e32 v66, v65
	v_mov_b32_e32 v67, v65
	v_mov_b32_e32 v68, v65
	v_mov_b32_e32 v69, v65
	v_mov_b32_e32 v70, v65
	v_mov_b32_e32 v71, v65
	v_mov_b32_e32 v72, v65
	s_waitcnt lgkmcnt(6)
	s_delay_alu instid0(VALU_DEP_1)
	v_wmma_f32_16x16x16_bf16 v[65:72], v[49:56], v[83:90], v[65:72]
	ds_load_b128 v[53:56], v80 offset:8208
	ds_load_b128 v[49:52], v80 offset:8192
	s_waitcnt lgkmcnt(6)
	v_wmma_f32_16x16x16_bf16 v[65:72], v[41:48], v[91:98], v[65:72]
	ds_load_b128 v[45:48], v80 offset:10256
	ds_load_b128 v[41:44], v80 offset:10240
	s_waitcnt lgkmcnt(6)
	;; [unrolled: 4-line block ×4, first 2 shown]
	v_wmma_f32_16x16x16_bf16 v[65:72], v[1:8], v[49:56], v[65:72]
	s_waitcnt lgkmcnt(4)
	s_delay_alu instid0(VALU_DEP_1) | instskip(SKIP_1) | instid1(VALU_DEP_1)
	v_wmma_f32_16x16x16_bf16 v[65:72], v[9:16], v[41:48], v[65:72]
	s_waitcnt lgkmcnt(2)
	v_wmma_f32_16x16x16_bf16 v[65:72], v[17:24], v[33:40], v[65:72]
	s_waitcnt lgkmcnt(0)
	s_delay_alu instid0(VALU_DEP_1) | instskip(NEXT) | instid1(VALU_DEP_1)
	v_wmma_f32_16x16x16_bf16 v[65:72], v[57:64], v[25:32], v[65:72]
	v_and_b32_e32 v1, 0x7f800000, v65
	s_delay_alu instid0(VALU_DEP_1) | instskip(SKIP_1) | instid1(SALU_CYCLE_1)
	v_cmp_ne_u32_e32 vcc_lo, 0x7f800000, v1
                                        ; implicit-def: $vgpr1
	s_and_saveexec_b32 s2, vcc_lo
	s_xor_b32 s2, exec_lo, s2
; %bb.79:
	v_bfe_u32 v1, v65, 16, 1
	s_delay_alu instid0(VALU_DEP_1)
	v_add3_u32 v1, v65, v1, 0x7fff
; %bb.80:
	s_and_not1_saveexec_b32 s2, s2
; %bb.81:
	v_and_b32_e32 v1, 0xffff, v65
	v_or_b32_e32 v2, 0x10000, v65
	s_delay_alu instid0(VALU_DEP_2) | instskip(NEXT) | instid1(VALU_DEP_2)
	v_cmp_eq_u32_e32 vcc_lo, 0, v1
	v_cndmask_b32_e32 v1, v2, v65, vcc_lo
; %bb.82:
	s_or_b32 exec_lo, exec_lo, s2
	v_and_b32_e32 v2, 0x7f800000, v66
	s_delay_alu instid0(VALU_DEP_1) | instskip(SKIP_1) | instid1(SALU_CYCLE_1)
	v_cmp_ne_u32_e32 vcc_lo, 0x7f800000, v2
                                        ; implicit-def: $vgpr2
	s_and_saveexec_b32 s2, vcc_lo
	s_xor_b32 s2, exec_lo, s2
; %bb.83:
	v_bfe_u32 v2, v66, 16, 1
	s_delay_alu instid0(VALU_DEP_1)
	v_add3_u32 v2, v66, v2, 0x7fff
; %bb.84:
	s_and_not1_saveexec_b32 s2, s2
; %bb.85:
	v_and_b32_e32 v2, 0xffff, v66
	v_or_b32_e32 v3, 0x10000, v66
	s_delay_alu instid0(VALU_DEP_2) | instskip(NEXT) | instid1(VALU_DEP_2)
	v_cmp_eq_u32_e32 vcc_lo, 0, v2
	v_cndmask_b32_e32 v2, v3, v66, vcc_lo
; %bb.86:
	s_or_b32 exec_lo, exec_lo, s2
	v_and_b32_e32 v3, 0x7f800000, v67
	s_delay_alu instid0(VALU_DEP_1) | instskip(SKIP_1) | instid1(SALU_CYCLE_1)
	v_cmp_ne_u32_e32 vcc_lo, 0x7f800000, v3
                                        ; implicit-def: $vgpr3
	s_and_saveexec_b32 s2, vcc_lo
	s_xor_b32 s2, exec_lo, s2
; %bb.87:
	v_bfe_u32 v3, v67, 16, 1
	s_delay_alu instid0(VALU_DEP_1)
	v_add3_u32 v3, v67, v3, 0x7fff
; %bb.88:
	s_and_not1_saveexec_b32 s2, s2
; %bb.89:
	v_and_b32_e32 v3, 0xffff, v67
	v_or_b32_e32 v4, 0x10000, v67
	s_delay_alu instid0(VALU_DEP_2) | instskip(NEXT) | instid1(VALU_DEP_2)
	v_cmp_eq_u32_e32 vcc_lo, 0, v3
	v_cndmask_b32_e32 v3, v4, v67, vcc_lo
; %bb.90:
	s_or_b32 exec_lo, exec_lo, s2
	v_and_b32_e32 v4, 0x7f800000, v68
	s_delay_alu instid0(VALU_DEP_1) | instskip(SKIP_1) | instid1(SALU_CYCLE_1)
	v_cmp_ne_u32_e32 vcc_lo, 0x7f800000, v4
                                        ; implicit-def: $vgpr4
	s_and_saveexec_b32 s2, vcc_lo
	s_xor_b32 s2, exec_lo, s2
; %bb.91:
	v_bfe_u32 v4, v68, 16, 1
	s_delay_alu instid0(VALU_DEP_1)
	v_add3_u32 v4, v68, v4, 0x7fff
; %bb.92:
	s_and_not1_saveexec_b32 s2, s2
; %bb.93:
	v_and_b32_e32 v4, 0xffff, v68
	v_or_b32_e32 v5, 0x10000, v68
	s_delay_alu instid0(VALU_DEP_2) | instskip(NEXT) | instid1(VALU_DEP_2)
	v_cmp_eq_u32_e32 vcc_lo, 0, v4
	v_cndmask_b32_e32 v4, v5, v68, vcc_lo
; %bb.94:
	s_or_b32 exec_lo, exec_lo, s2
	v_and_b32_e32 v5, 0x7f800000, v69
	s_delay_alu instid0(VALU_DEP_1) | instskip(SKIP_1) | instid1(SALU_CYCLE_1)
	v_cmp_ne_u32_e32 vcc_lo, 0x7f800000, v5
                                        ; implicit-def: $vgpr5
	s_and_saveexec_b32 s2, vcc_lo
	s_xor_b32 s2, exec_lo, s2
; %bb.95:
	v_bfe_u32 v5, v69, 16, 1
	s_delay_alu instid0(VALU_DEP_1)
	v_add3_u32 v5, v69, v5, 0x7fff
; %bb.96:
	s_and_not1_saveexec_b32 s2, s2
; %bb.97:
	v_and_b32_e32 v5, 0xffff, v69
	v_or_b32_e32 v6, 0x10000, v69
	s_delay_alu instid0(VALU_DEP_2) | instskip(NEXT) | instid1(VALU_DEP_2)
	v_cmp_eq_u32_e32 vcc_lo, 0, v5
	v_cndmask_b32_e32 v5, v6, v69, vcc_lo
; %bb.98:
	s_or_b32 exec_lo, exec_lo, s2
	v_and_b32_e32 v6, 0x7f800000, v70
	s_delay_alu instid0(VALU_DEP_1) | instskip(SKIP_1) | instid1(SALU_CYCLE_1)
	v_cmp_ne_u32_e32 vcc_lo, 0x7f800000, v6
                                        ; implicit-def: $vgpr6
	s_and_saveexec_b32 s2, vcc_lo
	s_xor_b32 s2, exec_lo, s2
; %bb.99:
	v_bfe_u32 v6, v70, 16, 1
	s_delay_alu instid0(VALU_DEP_1)
	v_add3_u32 v6, v70, v6, 0x7fff
; %bb.100:
	s_and_not1_saveexec_b32 s2, s2
; %bb.101:
	v_and_b32_e32 v6, 0xffff, v70
	v_or_b32_e32 v7, 0x10000, v70
	s_delay_alu instid0(VALU_DEP_2) | instskip(NEXT) | instid1(VALU_DEP_2)
	v_cmp_eq_u32_e32 vcc_lo, 0, v6
	v_cndmask_b32_e32 v6, v7, v70, vcc_lo
; %bb.102:
	s_or_b32 exec_lo, exec_lo, s2
	v_and_b32_e32 v7, 0x7f800000, v71
	s_delay_alu instid0(VALU_DEP_1) | instskip(SKIP_1) | instid1(SALU_CYCLE_1)
	v_cmp_ne_u32_e32 vcc_lo, 0x7f800000, v7
                                        ; implicit-def: $vgpr7
	s_and_saveexec_b32 s2, vcc_lo
	s_xor_b32 s2, exec_lo, s2
; %bb.103:
	v_bfe_u32 v7, v71, 16, 1
	s_delay_alu instid0(VALU_DEP_1)
	v_add3_u32 v7, v71, v7, 0x7fff
; %bb.104:
	s_and_not1_saveexec_b32 s2, s2
; %bb.105:
	v_and_b32_e32 v7, 0xffff, v71
	v_or_b32_e32 v8, 0x10000, v71
	s_delay_alu instid0(VALU_DEP_2) | instskip(NEXT) | instid1(VALU_DEP_2)
	v_cmp_eq_u32_e32 vcc_lo, 0, v7
	v_cndmask_b32_e32 v7, v8, v71, vcc_lo
; %bb.106:
	s_or_b32 exec_lo, exec_lo, s2
	v_and_b32_e32 v8, 0x7f800000, v72
	s_delay_alu instid0(VALU_DEP_1) | instskip(SKIP_1) | instid1(SALU_CYCLE_1)
	v_cmp_ne_u32_e32 vcc_lo, 0x7f800000, v8
                                        ; implicit-def: $vgpr8
	s_and_saveexec_b32 s2, vcc_lo
	s_xor_b32 s2, exec_lo, s2
; %bb.107:
	v_bfe_u32 v8, v72, 16, 1
	s_delay_alu instid0(VALU_DEP_1)
	v_add3_u32 v8, v72, v8, 0x7fff
                                        ; implicit-def: $vgpr65_vgpr66_vgpr67_vgpr68_vgpr69_vgpr70_vgpr71_vgpr72
; %bb.108:
	s_and_not1_saveexec_b32 s2, s2
; %bb.109:
	v_and_b32_e32 v8, 0xffff, v72
	v_or_b32_e32 v9, 0x10000, v72
	s_delay_alu instid0(VALU_DEP_2) | instskip(NEXT) | instid1(VALU_DEP_2)
	v_cmp_eq_u32_e32 vcc_lo, 0, v8
	v_cndmask_b32_e32 v8, v9, v72, vcc_lo
; %bb.110:
	s_or_b32 exec_lo, exec_lo, s2
	s_delay_alu instid0(VALU_DEP_1)
	v_perm_b32 v7, v8, v7, 0x7060302
	v_perm_b32 v6, v6, v5, 0x7060302
	;; [unrolled: 1-line block ×4, first 2 shown]
	s_barrier
	buffer_gl0_inv
	v_cmp_eq_u32_e32 vcc_lo, 1, v78
	ds_store_b128 v76, v[4:7]
	s_waitcnt lgkmcnt(0)
	s_barrier
	buffer_gl0_inv
	ds_load_b128 v[1:4], v82
	ds_load_b128 v[5:8], v82 offset:16
	v_cmp_eq_u32_e64 s2, 1, v79
	v_cmp_eq_u32_e64 s3, 2, v78
	;; [unrolled: 1-line block ×5, first 2 shown]
	s_waitcnt lgkmcnt(1)
	v_lshrrev_b32_e32 v9, 16, v1
	s_waitcnt lgkmcnt(0)
	v_lshrrev_b32_e32 v13, 16, v5
	v_lshrrev_b32_e32 v10, 16, v2
	;; [unrolled: 1-line block ×4, first 2 shown]
	v_cndmask_b32_e64 v19, v1, v9, s2
	v_cndmask_b32_e32 v18, v5, v13, vcc_lo
	v_cndmask_b32_e64 v20, v5, v13, s2
	v_cndmask_b32_e32 v17, v1, v9, vcc_lo
	v_cmp_eq_u32_e32 vcc_lo, 2, v79
	v_lshrrev_b32_e32 v15, 16, v7
	v_cmp_eq_u32_e64 s2, 1, v77
	v_lshrrev_b32_e32 v12, 16, v4
	v_lshrrev_b32_e32 v16, 16, v8
	v_cndmask_b32_e32 v20, v20, v6, vcc_lo
	v_cndmask_b32_e64 v17, v17, v2, s3
	v_cndmask_b32_e32 v19, v19, v2, vcc_lo
	v_cndmask_b32_e64 v18, v18, v6, s3
	v_cmp_eq_u32_e32 vcc_lo, 4, v78
	v_cmp_eq_u32_e64 s3, 3, v79
	v_cndmask_b32_e64 v17, v17, v10, s4
	v_cndmask_b32_e64 v21, v1, v9, s2
	;; [unrolled: 1-line block ×5, first 2 shown]
	v_cndmask_b32_e32 v17, v17, v3, vcc_lo
	v_cndmask_b32_e64 v20, v20, v14, s3
	v_cndmask_b32_e32 v18, v18, v7, vcc_lo
	v_cmp_eq_u32_e32 vcc_lo, 4, v79
	v_cmp_eq_u32_e64 s3, 5, v79
	v_cmp_eq_u32_e64 s2, 2, v81
	v_cndmask_b32_e64 v21, v21, v2, s6
	v_cmp_eq_u32_e64 s4, 5, v78
	v_cndmask_b32_e32 v19, v19, v3, vcc_lo
	v_cndmask_b32_e32 v20, v20, v7, vcc_lo
	v_cmp_eq_u32_e32 vcc_lo, 6, v79
	s_delay_alu instid0(VALU_DEP_4) | instskip(NEXT) | instid1(VALU_DEP_4)
	v_cndmask_b32_e64 v17, v17, v11, s4
	v_cndmask_b32_e64 v19, v19, v11, s3
	s_delay_alu instid0(VALU_DEP_4) | instskip(SKIP_1) | instid1(VALU_DEP_3)
	v_cndmask_b32_e64 v20, v20, v15, s3
	v_cmp_eq_u32_e64 s3, 1, v81
	v_cndmask_b32_e32 v19, v19, v4, vcc_lo
	v_cndmask_b32_e64 v18, v18, v15, s4
	s_delay_alu instid0(VALU_DEP_3)
	v_cndmask_b32_e64 v1, v1, v9, s3
	v_cndmask_b32_e64 v5, v5, v13, s3
	v_cmp_eq_u32_e64 s3, 3, v77
	v_cndmask_b32_e64 v13, v22, v6, s6
	v_cmp_eq_u32_e64 s6, 3, v81
	v_cndmask_b32_e64 v1, v1, v2, s2
	v_cndmask_b32_e64 v2, v5, v6, s2
	v_cndmask_b32_e64 v9, v21, v10, s3
	v_cmp_eq_u32_e64 s2, 4, v77
	v_cndmask_b32_e64 v6, v13, v14, s3
	v_cndmask_b32_e64 v1, v1, v10, s6
	v_cmp_eq_u32_e64 s3, 4, v81
	v_cndmask_b32_e64 v2, v2, v14, s6
	v_cndmask_b32_e64 v5, v9, v3, s2
	;; [unrolled: 3-line block ×3, first 2 shown]
	v_cndmask_b32_e64 v2, v2, v7, s3
	v_cmp_eq_u32_e64 s2, 5, v81
	v_cmp_eq_u32_e64 s4, 6, v78
	v_cndmask_b32_e64 v5, v5, v11, s6
	v_cmp_eq_u32_e64 s3, 6, v77
	v_cndmask_b32_e64 v3, v6, v15, s6
	v_cndmask_b32_e64 v1, v1, v11, s2
	v_cmp_eq_u32_e64 s6, 6, v81
	v_cndmask_b32_e64 v2, v2, v15, s2
	v_cndmask_b32_e64 v17, v17, v4, s4
	v_cndmask_b32_e64 v18, v18, v8, s4
	v_cmp_eq_u32_e64 s4, 7, v78
	v_cndmask_b32_e64 v5, v5, v4, s3
	;; [unrolled: 4-line block ×3, first 2 shown]
	v_cmp_eq_u32_e64 s3, 7, v77
	v_cndmask_b32_e32 v4, v20, v8, vcc_lo
	v_cndmask_b32_e64 v17, v17, v12, s4
	v_cndmask_b32_e64 v19, v19, v12, s5
	;; [unrolled: 1-line block ×8, first 2 shown]
	s_mov_b32 s2, exec_lo
	v_perm_b32 v4, v2, v1, 0x5040100
	v_perm_b32 v3, v3, v5, 0x5040100
	;; [unrolled: 1-line block ×4, first 2 shown]
	ds_store_b128 v76, v[1:4]
	s_waitcnt lgkmcnt(0)
	s_barrier
	buffer_gl0_inv
	v_cmpx_gt_u32_e32 32, v0
	s_cbranch_execz .LBB1519_2
; %bb.111:
	s_load_b64 s[0:1], s[0:1], 0x68
	v_lshlrev_b32_e32 v0, 10, v0
	s_lshl_b32 s4, s34, 7
	v_or_b32_e32 v3, s29, v74
	s_mul_i32 s2, s4, s30
	v_lshlrev_b32_e32 v1, 4, v75
	v_lshlrev_b32_e32 v2, 6, v74
	v_and_b32_e32 v0, 0x3800, v0
	s_mul_i32 s2, s2, s7
	v_mul_lo_u32 v8, v3, s4
	s_ashr_i32 s3, s2, 31
	s_delay_alu instid0(SALU_CYCLE_1)
	s_lshl_b64 s[2:3], s[2:3], 1
	v_or3_b32 v16, v0, v1, v2
	ds_load_b128 v[0:3], v16
	ds_load_b128 v[4:7], v16 offset:128
	v_ashrrev_i32_e32 v9, 31, v8
	s_waitcnt lgkmcnt(0)
	s_add_u32 s2, s0, s2
	s_addc_u32 s3, s1, s3
	s_lshl_b32 s0, s14, 7
	s_delay_alu instid0(SALU_CYCLE_1) | instskip(SKIP_2) | instid1(SALU_CYCLE_1)
	s_ashr_i32 s1, s0, 31
	v_lshlrev_b64 v[9:10], 1, v[8:9]
	s_lshl_b64 s[0:1], s[0:1], 1
	s_add_u32 s0, s2, s0
	s_addc_u32 s1, s3, s1
	s_lshl_b32 s2, s34, 8
	v_add_co_u32 v30, s0, s0, v73
	v_add_nc_u32_e32 v11, s2, v8
	v_add_co_ci_u32_e64 v31, null, s1, 0, s0
	s_delay_alu instid0(VALU_DEP_3) | instskip(NEXT) | instid1(VALU_DEP_3)
	v_add_co_u32 v9, vcc_lo, v30, v9
	v_add_nc_u32_e32 v8, s2, v11
	s_delay_alu instid0(VALU_DEP_3) | instskip(SKIP_1) | instid1(VALU_DEP_3)
	v_add_co_ci_u32_e32 v10, vcc_lo, v31, v10, vcc_lo
	v_ashrrev_i32_e32 v12, 31, v11
	v_add_nc_u32_e32 v13, s2, v8
	global_store_b128 v[9:10], v[0:3], off
	v_ashrrev_i32_e32 v9, 31, v8
	v_lshlrev_b64 v[11:12], 1, v[11:12]
	v_ashrrev_i32_e32 v14, 31, v13
	v_add_nc_u32_e32 v10, s2, v13
	s_delay_alu instid0(VALU_DEP_4) | instskip(NEXT) | instid1(VALU_DEP_4)
	v_lshlrev_b64 v[2:3], 1, v[8:9]
	v_add_co_u32 v0, vcc_lo, v30, v11
	s_delay_alu instid0(VALU_DEP_4)
	v_lshlrev_b64 v[8:9], 1, v[13:14]
	v_add_co_ci_u32_e32 v1, vcc_lo, v31, v12, vcc_lo
	v_ashrrev_i32_e32 v11, 31, v10
	v_add_co_u32 v22, vcc_lo, v30, v2
	v_add_nc_u32_e32 v20, s2, v10
	v_add_co_ci_u32_e32 v23, vcc_lo, v31, v3, vcc_lo
	v_add_co_u32 v24, vcc_lo, v30, v8
	global_store_b128 v[0:1], v[4:7], off
	v_add_co_ci_u32_e32 v25, vcc_lo, v31, v9, vcc_lo
	ds_load_b128 v[0:3], v16 offset:256
	ds_load_b128 v[4:7], v16 offset:384
	v_lshlrev_b64 v[26:27], 1, v[10:11]
	ds_load_b128 v[8:11], v16 offset:512
	ds_load_b128 v[12:15], v16 offset:640
	;; [unrolled: 1-line block ×3, first 2 shown]
	v_add_nc_u32_e32 v28, s2, v20
	v_ashrrev_i32_e32 v21, 31, v20
	v_add_co_u32 v26, vcc_lo, v30, v26
	s_delay_alu instid0(VALU_DEP_3) | instskip(NEXT) | instid1(VALU_DEP_3)
	v_ashrrev_i32_e32 v29, 31, v28
	v_lshlrev_b64 v[20:21], 1, v[20:21]
	v_add_co_ci_u32_e32 v27, vcc_lo, v31, v27, vcc_lo
	s_delay_alu instid0(VALU_DEP_3) | instskip(NEXT) | instid1(VALU_DEP_3)
	v_lshlrev_b64 v[28:29], 1, v[28:29]
	v_add_co_u32 v20, vcc_lo, v30, v20
	s_delay_alu instid0(VALU_DEP_4) | instskip(NEXT) | instid1(VALU_DEP_3)
	v_add_co_ci_u32_e32 v21, vcc_lo, v31, v21, vcc_lo
	v_add_co_u32 v28, vcc_lo, v30, v28
	s_delay_alu instid0(VALU_DEP_4)
	v_add_co_ci_u32_e32 v29, vcc_lo, v31, v29, vcc_lo
	s_waitcnt lgkmcnt(4)
	global_store_b128 v[22:23], v[0:3], off
	s_waitcnt lgkmcnt(3)
	global_store_b128 v[24:25], v[4:7], off
	;; [unrolled: 2-line block ×5, first 2 shown]
	s_nop 0
	s_sendmsg sendmsg(MSG_DEALLOC_VGPRS)
	s_endpgm
	.section	.rodata,"a",@progbits
	.p2align	6, 0x0
	.amdhsa_kernel _Z39paged_attention_ll4mi_QKV_mfma16_kernelI14__hip_bfloat16hLN4vllm18Fp8KVCacheDataTypeE1EhLi16ELi128ELi256ELb1ELi14EL8MFMAType1EEvPKT_PKT0_S9_ifPKiSB_SB_iPKfiiiPfSE_PS4_PT2_iSD_SD_
		.amdhsa_group_segment_fixed_size 17472
		.amdhsa_private_segment_fixed_size 0
		.amdhsa_kernarg_size 400
		.amdhsa_user_sgpr_count 13
		.amdhsa_user_sgpr_dispatch_ptr 0
		.amdhsa_user_sgpr_queue_ptr 0
		.amdhsa_user_sgpr_kernarg_segment_ptr 1
		.amdhsa_user_sgpr_dispatch_id 0
		.amdhsa_user_sgpr_private_segment_size 0
		.amdhsa_wavefront_size32 1
		.amdhsa_uses_dynamic_stack 0
		.amdhsa_enable_private_segment 0
		.amdhsa_system_sgpr_workgroup_id_x 1
		.amdhsa_system_sgpr_workgroup_id_y 1
		.amdhsa_system_sgpr_workgroup_id_z 1
		.amdhsa_system_sgpr_workgroup_info 0
		.amdhsa_system_vgpr_workitem_id 0
		.amdhsa_next_free_vgpr 140
		.amdhsa_next_free_sgpr 36
		.amdhsa_reserve_vcc 1
		.amdhsa_float_round_mode_32 0
		.amdhsa_float_round_mode_16_64 0
		.amdhsa_float_denorm_mode_32 3
		.amdhsa_float_denorm_mode_16_64 3
		.amdhsa_dx10_clamp 1
		.amdhsa_ieee_mode 1
		.amdhsa_fp16_overflow 0
		.amdhsa_workgroup_processor_mode 1
		.amdhsa_memory_ordered 1
		.amdhsa_forward_progress 0
		.amdhsa_shared_vgpr_count 0
		.amdhsa_exception_fp_ieee_invalid_op 0
		.amdhsa_exception_fp_denorm_src 0
		.amdhsa_exception_fp_ieee_div_zero 0
		.amdhsa_exception_fp_ieee_overflow 0
		.amdhsa_exception_fp_ieee_underflow 0
		.amdhsa_exception_fp_ieee_inexact 0
		.amdhsa_exception_int_div_zero 0
	.end_amdhsa_kernel
	.section	.text._Z39paged_attention_ll4mi_QKV_mfma16_kernelI14__hip_bfloat16hLN4vllm18Fp8KVCacheDataTypeE1EhLi16ELi128ELi256ELb1ELi14EL8MFMAType1EEvPKT_PKT0_S9_ifPKiSB_SB_iPKfiiiPfSE_PS4_PT2_iSD_SD_,"axG",@progbits,_Z39paged_attention_ll4mi_QKV_mfma16_kernelI14__hip_bfloat16hLN4vllm18Fp8KVCacheDataTypeE1EhLi16ELi128ELi256ELb1ELi14EL8MFMAType1EEvPKT_PKT0_S9_ifPKiSB_SB_iPKfiiiPfSE_PS4_PT2_iSD_SD_,comdat
.Lfunc_end1519:
	.size	_Z39paged_attention_ll4mi_QKV_mfma16_kernelI14__hip_bfloat16hLN4vllm18Fp8KVCacheDataTypeE1EhLi16ELi128ELi256ELb1ELi14EL8MFMAType1EEvPKT_PKT0_S9_ifPKiSB_SB_iPKfiiiPfSE_PS4_PT2_iSD_SD_, .Lfunc_end1519-_Z39paged_attention_ll4mi_QKV_mfma16_kernelI14__hip_bfloat16hLN4vllm18Fp8KVCacheDataTypeE1EhLi16ELi128ELi256ELb1ELi14EL8MFMAType1EEvPKT_PKT0_S9_ifPKiSB_SB_iPKfiiiPfSE_PS4_PT2_iSD_SD_
                                        ; -- End function
	.section	.AMDGPU.csdata,"",@progbits
; Kernel info:
; codeLenInByte = 9008
; NumSgprs: 38
; NumVgprs: 140
; ScratchSize: 0
; MemoryBound: 0
; FloatMode: 240
; IeeeMode: 1
; LDSByteSize: 17472 bytes/workgroup (compile time only)
; SGPRBlocks: 4
; VGPRBlocks: 17
; NumSGPRsForWavesPerEU: 38
; NumVGPRsForWavesPerEU: 140
; Occupancy: 10
; WaveLimiterHint : 1
; COMPUTE_PGM_RSRC2:SCRATCH_EN: 0
; COMPUTE_PGM_RSRC2:USER_SGPR: 13
; COMPUTE_PGM_RSRC2:TRAP_HANDLER: 0
; COMPUTE_PGM_RSRC2:TGID_X_EN: 1
; COMPUTE_PGM_RSRC2:TGID_Y_EN: 1
; COMPUTE_PGM_RSRC2:TGID_Z_EN: 1
; COMPUTE_PGM_RSRC2:TIDIG_COMP_CNT: 0
	.section	.text._Z39paged_attention_ll4mi_QKV_mfma16_kernelI14__hip_bfloat16hLN4vllm18Fp8KVCacheDataTypeE1EhLi16ELi128ELi256ELb1ELi15EL8MFMAType1EEvPKT_PKT0_S9_ifPKiSB_SB_iPKfiiiPfSE_PS4_PT2_iSD_SD_,"axG",@progbits,_Z39paged_attention_ll4mi_QKV_mfma16_kernelI14__hip_bfloat16hLN4vllm18Fp8KVCacheDataTypeE1EhLi16ELi128ELi256ELb1ELi15EL8MFMAType1EEvPKT_PKT0_S9_ifPKiSB_SB_iPKfiiiPfSE_PS4_PT2_iSD_SD_,comdat
	.protected	_Z39paged_attention_ll4mi_QKV_mfma16_kernelI14__hip_bfloat16hLN4vllm18Fp8KVCacheDataTypeE1EhLi16ELi128ELi256ELb1ELi15EL8MFMAType1EEvPKT_PKT0_S9_ifPKiSB_SB_iPKfiiiPfSE_PS4_PT2_iSD_SD_ ; -- Begin function _Z39paged_attention_ll4mi_QKV_mfma16_kernelI14__hip_bfloat16hLN4vllm18Fp8KVCacheDataTypeE1EhLi16ELi128ELi256ELb1ELi15EL8MFMAType1EEvPKT_PKT0_S9_ifPKiSB_SB_iPKfiiiPfSE_PS4_PT2_iSD_SD_
	.globl	_Z39paged_attention_ll4mi_QKV_mfma16_kernelI14__hip_bfloat16hLN4vllm18Fp8KVCacheDataTypeE1EhLi16ELi128ELi256ELb1ELi15EL8MFMAType1EEvPKT_PKT0_S9_ifPKiSB_SB_iPKfiiiPfSE_PS4_PT2_iSD_SD_
	.p2align	8
	.type	_Z39paged_attention_ll4mi_QKV_mfma16_kernelI14__hip_bfloat16hLN4vllm18Fp8KVCacheDataTypeE1EhLi16ELi128ELi256ELb1ELi15EL8MFMAType1EEvPKT_PKT0_S9_ifPKiSB_SB_iPKfiiiPfSE_PS4_PT2_iSD_SD_,@function
_Z39paged_attention_ll4mi_QKV_mfma16_kernelI14__hip_bfloat16hLN4vllm18Fp8KVCacheDataTypeE1EhLi16ELi128ELi256ELb1ELi15EL8MFMAType1EEvPKT_PKT0_S9_ifPKiSB_SB_iPKfiiiPfSE_PS4_PT2_iSD_SD_: ; @_Z39paged_attention_ll4mi_QKV_mfma16_kernelI14__hip_bfloat16hLN4vllm18Fp8KVCacheDataTypeE1EhLi16ELi128ELi256ELb1ELi15EL8MFMAType1EEvPKT_PKT0_S9_ifPKiSB_SB_iPKfiiiPfSE_PS4_PT2_iSD_SD_
; %bb.0:
	s_load_b64 s[4:5], s[0:1], 0x30
	s_mov_b32 s30, s13
	s_waitcnt lgkmcnt(0)
	s_cmp_lg_u64 s[4:5], 0
	s_cselect_b32 s13, -1, 0
	s_ashr_i32 s31, s30, 31
	s_cmp_eq_u64 s[4:5], 0
	s_cbranch_scc1 .LBB1520_3
; %bb.1:
	s_lshl_b64 s[2:3], s[30:31], 2
	s_delay_alu instid0(SALU_CYCLE_1) | instskip(SKIP_4) | instid1(SALU_CYCLE_1)
	s_add_u32 s2, s4, s2
	s_addc_u32 s3, s5, s3
	s_load_b64 s[2:3], s[2:3], 0x0
	s_waitcnt lgkmcnt(0)
	s_sub_i32 s2, s3, s2
	s_cmp_eq_u32 s2, 1
	s_cselect_b32 s2, -1, 0
	s_delay_alu instid0(SALU_CYCLE_1)
	s_and_not1_b32 vcc_lo, exec_lo, s2
	s_cbranch_vccz .LBB1520_4
.LBB1520_2:
	s_nop 0
	s_sendmsg sendmsg(MSG_DEALLOC_VGPRS)
	s_endpgm
.LBB1520_3:
.LBB1520_4:
	s_load_b64 s[2:3], s[0:1], 0x28
	s_lshl_b64 s[6:7], s[30:31], 2
	s_waitcnt lgkmcnt(0)
	s_add_u32 s2, s2, s6
	s_addc_u32 s3, s3, s7
	s_lshl_b32 s12, s14, 8
	s_load_b32 s17, s[2:3], 0x0
	s_waitcnt lgkmcnt(0)
	s_cmp_ge_i32 s12, s17
	s_cbranch_scc1 .LBB1520_2
; %bb.5:
	s_clause 0x1
	s_load_b128 s[8:11], s[0:1], 0x8
	s_load_b64 s[2:3], s[0:1], 0x20
	s_and_not1_b32 vcc_lo, exec_lo, s13
	s_cbranch_vccnz .LBB1520_7
; %bb.6:
	s_add_u32 s4, s4, s6
	s_addc_u32 s5, s5, s7
	s_load_b32 s13, s[4:5], 0x0
	s_branch .LBB1520_8
.LBB1520_7:
	s_mov_b32 s13, s30
.LBB1520_8:
	s_load_b128 s[4:7], s[0:1], 0x48
	v_and_b32_e32 v65, 15, v0
	v_lshrrev_b32_e32 v66, 5, v0
	v_bfe_u32 v74, v0, 4, 1
	v_and_b32_e32 v67, 31, v0
	v_and_b32_e32 v75, 1, v0
	v_lshlrev_b32_e32 v2, 3, v65
	s_mul_i32 s31, s15, 15
	v_lshl_or_b32 v1, v66, 1, v74
	s_waitcnt lgkmcnt(0)
	s_mov_b32 s7, exec_lo
	v_lshlrev_b32_e32 v73, 1, v2
	s_delay_alu instid0(VALU_DEP_2)
	v_cmpx_gt_u32_e32 15, v1
	s_cbranch_execz .LBB1520_10
; %bb.9:
	s_load_b64 s[18:19], s[0:1], 0x0
	v_add_lshl_u32 v2, v1, s31, 7
	s_mul_hi_i32 s21, s13, s4
	s_mul_i32 s20, s13, s4
	v_lshlrev_b32_e32 v6, 10, v65
	s_lshl_b64 s[20:21], s[20:21], 1
	v_ashrrev_i32_e32 v3, 31, v2
	v_lshlrev_b32_e32 v1, 6, v1
	v_lshlrev_b32_e32 v7, 10, v75
	v_and_b32_e32 v6, 0x3800, v6
	s_delay_alu instid0(VALU_DEP_4) | instskip(NEXT) | instid1(VALU_DEP_2)
	v_lshlrev_b64 v[2:3], 1, v[2:3]
	v_or3_b32 v1, v6, v7, v1
	s_waitcnt lgkmcnt(0)
	s_add_u32 s4, s18, s20
	s_addc_u32 s13, s19, s21
	s_delay_alu instid0(VALU_DEP_2) | instskip(SKIP_1) | instid1(VALU_DEP_2)
	v_add_co_u32 v2, vcc_lo, s4, v2
	v_add_co_ci_u32_e32 v3, vcc_lo, s13, v3, vcc_lo
	v_add_co_u32 v2, vcc_lo, v2, v73
	s_delay_alu instid0(VALU_DEP_2)
	v_add_co_ci_u32_e32 v3, vcc_lo, 0, v3, vcc_lo
	global_load_b128 v[2:5], v[2:3], off
	s_waitcnt vmcnt(0)
	ds_store_b128 v1, v[2:5]
.LBB1520_10:
	s_or_b32 exec_lo, exec_lo, s7
	v_and_b32_e32 v1, 0xef, v0
	s_add_i32 s4, s17, 15
	s_clause 0x1
	s_load_b32 s7, s[0:1], 0x38
	s_load_b32 s18, s[0:1], 0x1c
	s_ashr_i32 s13, s4, 31
	v_add_nc_u32_e32 v1, s12, v1
	s_lshr_b32 s13, s13, 28
	s_waitcnt lgkmcnt(0)
	s_add_i32 s4, s4, s13
	s_barrier
	v_ashrrev_i32_e32 v2, 31, v1
	v_or_b32_e32 v3, 16, v1
	s_ashr_i32 s4, s4, 4
	v_cmp_gt_i32_e32 vcc_lo, s17, v1
	s_add_i32 s4, s4, -1
	v_lshrrev_b32_e32 v2, 28, v2
	buffer_gl0_inv
	s_mul_i32 s15, s15, s6
	v_add_nc_u32_e32 v4, v1, v2
	s_mul_i32 s20, s30, s7
	s_delay_alu instid0(SALU_CYCLE_1) | instskip(NEXT) | instid1(VALU_DEP_1)
	s_ashr_i32 s21, s20, 31
	v_ashrrev_i32_e32 v4, 4, v4
	v_add_nc_u32_e32 v2, v3, v2
	s_lshl_b64 s[20:21], s[20:21], 2
	s_delay_alu instid0(SALU_CYCLE_1) | instskip(NEXT) | instid1(VALU_DEP_2)
	s_add_u32 s13, s2, s20
	v_cndmask_b32_e32 v1, s4, v4, vcc_lo
	s_delay_alu instid0(VALU_DEP_2)
	v_ashrrev_i32_e32 v2, 4, v2
	v_cmp_gt_i32_e32 vcc_lo, s17, v3
	s_addc_u32 s16, s3, s21
	s_ashr_i32 s19, s15, 31
	s_add_u32 s26, s8, s15
	s_addc_u32 s27, s9, s19
	v_cndmask_b32_e32 v3, s4, v2, vcc_lo
	v_ashrrev_i32_e32 v2, 31, v1
	s_lshl_b32 s2, s14, 4
	s_delay_alu instid0(SALU_CYCLE_1) | instskip(NEXT) | instid1(VALU_DEP_2)
	s_ashr_i32 s3, s2, 31
	v_ashrrev_i32_e32 v4, 31, v3
	s_delay_alu instid0(VALU_DEP_2) | instskip(SKIP_1) | instid1(SALU_CYCLE_1)
	v_lshlrev_b64 v[1:2], 2, v[1:2]
	s_lshl_b64 s[2:3], s[2:3], 2
	s_add_u32 s2, s13, s2
	s_delay_alu instid0(VALU_DEP_2) | instskip(SKIP_1) | instid1(VALU_DEP_2)
	v_lshlrev_b64 v[3:4], 2, v[3:4]
	s_addc_u32 s3, s16, s3
	v_add_co_u32 v1, vcc_lo, s13, v1
	v_add_co_ci_u32_e32 v2, vcc_lo, s16, v2, vcc_lo
	s_delay_alu instid0(VALU_DEP_3) | instskip(NEXT) | instid1(VALU_DEP_4)
	v_add_co_u32 v3, vcc_lo, s13, v3
	v_add_co_ci_u32_e32 v4, vcc_lo, s16, v4, vcc_lo
	s_clause 0x1
	global_load_b32 v5, v[1:2], off
	global_load_b32 v3, v[3:4], off
	s_or_b32 s6, s12, 32
	v_cmp_ne_u32_e32 vcc_lo, 15, v65
	s_ashr_i32 s7, s6, 4
	s_cmp_lt_i32 s6, s17
	s_cselect_b32 s6, s7, s4
	s_delay_alu instid0(SALU_CYCLE_1) | instskip(NEXT) | instid1(SALU_CYCLE_1)
	s_ashr_i32 s7, s6, 31
	s_lshl_b64 s[6:7], s[6:7], 2
	s_delay_alu instid0(SALU_CYCLE_1) | instskip(SKIP_2) | instid1(SALU_CYCLE_1)
	s_add_u32 s6, s13, s6
	s_addc_u32 s7, s16, s7
	s_or_b32 s8, s12, 64
	s_ashr_i32 s9, s8, 4
	s_cmp_lt_i32 s8, s17
	s_cselect_b32 s8, s9, s4
	s_delay_alu instid0(SALU_CYCLE_1) | instskip(NEXT) | instid1(SALU_CYCLE_1)
	s_ashr_i32 s9, s8, 31
	s_lshl_b64 s[8:9], s[8:9], 2
	s_delay_alu instid0(SALU_CYCLE_1) | instskip(SKIP_2) | instid1(SALU_CYCLE_1)
	s_add_u32 s8, s13, s8
	s_addc_u32 s9, s16, s9
	s_or_b32 s20, s12, 0x60
	;; [unrolled: 10-line block ×4, first 2 shown]
	s_ashr_i32 s25, s24, 4
	s_cmp_lt_i32 s24, s17
	s_cselect_b32 s24, s25, s4
	s_delay_alu instid0(SALU_CYCLE_1) | instskip(NEXT) | instid1(SALU_CYCLE_1)
	s_ashr_i32 s25, s24, 31
	s_lshl_b64 s[24:25], s[24:25], 2
	s_delay_alu instid0(SALU_CYCLE_1)
	s_add_u32 s24, s13, s24
	s_addc_u32 s25, s16, s25
	s_clause 0x5
	s_load_b32 s28, s[2:3], 0x0
	s_load_b32 s29, s[6:7], 0x0
	;; [unrolled: 1-line block ×6, first 2 shown]
	s_mov_b32 s20, 0
	s_or_b32 s2, s12, 0xc0
	s_mov_b32 s21, s20
	s_mov_b32 s22, s20
	;; [unrolled: 1-line block ×5, first 2 shown]
	v_lshlrev_b32_e32 v1, 4, v0
	s_ashr_i32 s3, s2, 4
	s_cmp_lt_i32 s2, s17
	s_cselect_b32 s2, s3, s4
	s_delay_alu instid0(VALU_DEP_1) | instskip(SKIP_1) | instid1(SALU_CYCLE_1)
	v_and_b32_e32 v1, 0xf0, v1
	s_ashr_i32 s3, s2, 31
	s_lshl_b64 s[2:3], s[2:3], 2
	s_delay_alu instid0(VALU_DEP_1) | instskip(NEXT) | instid1(VALU_DEP_1)
	v_add_co_u32 v1, s26, s26, v1
	v_add_co_ci_u32_e64 v2, null, s27, 0, s26
	s_add_u32 s2, s13, s2
	s_addc_u32 s3, s16, s3
	s_or_b32 s6, s12, 0xe0
	s_mov_b32 s27, s20
	s_ashr_i32 s7, s6, 4
	s_cmp_lt_i32 s6, s17
	s_mov_b32 s26, s20
	s_cselect_b32 s6, s7, s4
	s_delay_alu instid0(SALU_CYCLE_1) | instskip(NEXT) | instid1(SALU_CYCLE_1)
	s_ashr_i32 s7, s6, 31
	s_lshl_b64 s[6:7], s[6:7], 2
	s_waitcnt vmcnt(1)
	v_mad_i64_i32 v[33:34], null, v5, s5, v[1:2]
	s_waitcnt vmcnt(0)
	v_mad_i64_i32 v[35:36], null, v3, s5, v[1:2]
	s_clause 0xf
	global_load_b128 v[1:4], v[33:34], off
	global_load_b128 v[5:8], v[33:34], off offset:256
	global_load_b128 v[9:12], v[35:36], off
	global_load_b128 v[13:16], v[35:36], off offset:256
	global_load_b128 v[17:20], v[33:34], off offset:512
	;; [unrolled: 1-line block ×13, first 2 shown]
	v_cndmask_b32_e32 v33, 0, v65, vcc_lo
	v_dual_mov_b32 v107, s27 :: v_dual_lshlrev_b32 v34, 4, v65
	v_dual_mov_b32 v106, s26 :: v_dual_mov_b32 v105, s25
	s_delay_alu instid0(VALU_DEP_3) | instskip(NEXT) | instid1(VALU_DEP_3)
	v_lshlrev_b32_e32 v72, 6, v33
	v_lshl_or_b32 v41, v66, 8, v34
	ds_load_b128 v[33:36], v72
	ds_load_b128 v[37:40], v72 offset:1024
	ds_load_b128 v[108:111], v72 offset:2048
	;; [unrolled: 1-line block ×3, first 2 shown]
	s_load_b32 s4, s[2:3], 0x0
	s_add_u32 s2, s13, s6
	s_addc_u32 s3, s16, s7
	ds_load_b128 v[116:119], v72 offset:4096
	ds_load_b128 v[120:123], v72 offset:5120
	s_load_b32 s2, s[2:3], 0x0
	s_add_u32 s6, s10, s15
	s_addc_u32 s7, s11, s19
	v_add_co_u32 v68, s6, s6, v41
	s_delay_alu instid0(VALU_DEP_1) | instskip(SKIP_3) | instid1(VALU_DEP_3)
	v_add_co_ci_u32_e64 v69, null, s7, 0, s6
	v_dual_mov_b32 v104, s24 :: v_dual_mov_b32 v103, s23
	v_mov_b32_e32 v102, s22
	s_waitcnt lgkmcnt(0)
	v_mad_i64_i32 v[41:42], null, s28, s5, v[68:69]
	v_mad_i64_i32 v[70:71], null, s8, s5, v[68:69]
	v_dual_mov_b32 v101, s21 :: v_dual_mov_b32 v100, s20
	v_mad_i64_i32 v[45:46], null, s29, s5, v[68:69]
	v_mad_i64_i32 v[132:133], null, s9, s5, v[68:69]
	;; [unrolled: 1-line block ×5, first 2 shown]
	s_clause 0x3
	global_load_b128 v[49:52], v[41:42], off
	global_load_b128 v[53:56], v[41:42], off offset:16
	global_load_b128 v[41:44], v[45:46], off
	global_load_b128 v[45:48], v[45:46], off offset:16
	s_waitcnt vmcnt(18)
	v_wmma_f32_16x16x16_bf16 v[124:131], v[1:8], v[33:40], v[100:107]
	s_waitcnt vmcnt(16)
	v_wmma_f32_16x16x16_bf16 v[100:107], v[9:16], v[33:40], v[100:107]
	s_clause 0x1
	global_load_b128 v[33:36], v[70:71], off
	global_load_b128 v[37:40], v[70:71], off offset:16
	v_mad_i64_i32 v[70:71], null, s2, s5, v[68:69]
	s_waitcnt vmcnt(16)
	v_wmma_f32_16x16x16_bf16 v[124:131], v[17:24], v[108:115], v[124:131]
	s_waitcnt vmcnt(14)
	v_wmma_f32_16x16x16_bf16 v[100:107], v[25:32], v[108:115], v[100:107]
	s_clause 0x7
	global_load_b128 v[25:28], v[132:133], off
	global_load_b128 v[29:32], v[132:133], off offset:16
	global_load_b128 v[1:4], v[134:135], off
	global_load_b128 v[5:8], v[134:135], off offset:16
	;; [unrolled: 2-line block ×4, first 2 shown]
	s_waitcnt vmcnt(20)
	v_wmma_f32_16x16x16_bf16 v[124:131], v[57:64], v[116:123], v[124:131]
	s_clause 0x1
	global_load_b128 v[57:60], v[70:71], off
	global_load_b128 v[61:64], v[70:71], off offset:16
	s_waitcnt vmcnt(20)
	v_wmma_f32_16x16x16_bf16 v[100:107], v[76:83], v[116:123], v[100:107]
	ds_load_b128 v[76:79], v72 offset:6144
	ds_load_b128 v[80:83], v72 offset:7168
	v_and_b32_e32 v68, 0xe0, v0
	v_mbcnt_lo_u32_b32 v69, -1, 0
	s_waitcnt vmcnt(0) lgkmcnt(0)
	s_barrier
	buffer_gl0_inv
	v_add_nc_u32_e32 v68, s12, v68
	v_xor_b32_e32 v70, 16, v69
	s_delay_alu instid0(VALU_DEP_2) | instskip(NEXT) | instid1(VALU_DEP_2)
	v_or_b32_e32 v68, v68, v74
	v_cmp_gt_i32_e32 vcc_lo, 32, v70
	s_delay_alu instid0(VALU_DEP_2)
	v_or_b32_e32 v71, 4, v68
	v_or_b32_e32 v72, 6, v68
	v_cmp_gt_i32_e64 s2, s17, v68
	v_or_b32_e32 v108, 8, v68
	v_wmma_f32_16x16x16_bf16 v[124:131], v[84:91], v[76:83], v[124:131]
	v_cndmask_b32_e32 v69, v69, v70, vcc_lo
	v_or_b32_e32 v70, 2, v68
	v_wmma_f32_16x16x16_bf16 v[100:107], v[92:99], v[76:83], v[100:107]
	v_or_b32_e32 v109, 10, v68
	v_dual_mul_f32 v80, s18, v129 :: v_dual_mul_f32 v81, s18, v128
	v_dual_mul_f32 v92, s18, v125 :: v_dual_mul_f32 v93, s18, v124
	s_delay_alu instid0(VALU_DEP_4)
	v_mul_f32_e32 v96, s18, v105
	v_cmp_gt_i32_e32 vcc_lo, s17, v70
	v_or_b32_e32 v89, 22, v68
	v_dual_mul_f32 v79, s18, v130 :: v_dual_mul_f32 v82, s18, v127
	v_dual_mul_f32 v83, s18, v126 :: v_dual_mul_f32 v94, s18, v107
	v_cndmask_b32_e64 v93, 0xff7fffff, v93, s2
	v_cndmask_b32_e32 v92, 0xff7fffff, v92, vcc_lo
	v_cmp_gt_i32_e64 s3, s17, v71
	v_cmp_gt_i32_e64 s4, s17, v72
	v_or_b32_e32 v84, 12, v68
	v_or_b32_e32 v85, 14, v68
	v_cmp_gt_i32_e64 s5, s17, v108
	v_cndmask_b32_e64 v71, 0xff7fffff, v83, s3
	v_cndmask_b32_e64 v72, 0xff7fffff, v82, s4
	v_cmp_gt_i32_e64 s6, s17, v109
	v_cmp_gt_i32_e64 s12, s17, v89
	v_lshlrev_b32_e32 v89, 2, v69
	v_max3_f32 v82, v93, 0xff7fffff, v92
	v_or_b32_e32 v86, 16, v68
	v_or_b32_e32 v87, 18, v68
	v_mul_f32_e32 v78, s18, v131
	v_cndmask_b32_e64 v81, 0xff7fffff, v81, s5
	v_cndmask_b32_e64 v80, 0xff7fffff, v80, s6
	v_max3_f32 v71, v82, v71, v72
	v_cmp_gt_i32_e64 s7, s17, v84
	v_cmp_gt_i32_e64 s8, s17, v85
	v_or_b32_e32 v88, 20, v68
	v_or_b32_e32 v90, 24, v68
	;; [unrolled: 1-line block ×5, first 2 shown]
	v_dual_mul_f32 v97, s18, v104 :: v_dual_mul_f32 v70, s18, v101
	v_dual_mul_f32 v99, s18, v102 :: v_dual_mul_f32 v68, s18, v100
	v_cndmask_b32_e64 v72, 0xff7fffff, v79, s7
	v_cndmask_b32_e64 v78, 0xff7fffff, v78, s8
	v_max3_f32 v71, v71, v81, v80
	v_cmp_gt_i32_e64 s9, s17, v86
	v_cmp_gt_i32_e64 s10, s17, v87
	v_dual_mul_f32 v95, s18, v106 :: v_dual_mul_f32 v98, s18, v103
	s_delay_alu instid0(VALU_DEP_4) | instskip(NEXT) | instid1(VALU_DEP_4)
	v_max3_f32 v71, v71, v72, v78
	v_cndmask_b32_e64 v68, 0xff7fffff, v68, s9
	s_delay_alu instid0(VALU_DEP_4)
	v_cndmask_b32_e64 v70, 0xff7fffff, v70, s10
	v_cmp_gt_i32_e64 s11, s17, v88
	v_cndmask_b32_e64 v78, 0xff7fffff, v98, s12
	v_cmp_gt_i32_e64 s13, s17, v90
	v_cmp_gt_i32_e64 s15, s17, v91
	v_max3_f32 v68, v71, v68, v70
	v_cndmask_b32_e64 v72, 0xff7fffff, v99, s11
	v_cmp_gt_i32_e64 s16, s17, v76
	v_cndmask_b32_e64 v70, 0xff7fffff, v97, s13
	v_cndmask_b32_e64 v71, 0xff7fffff, v96, s15
	v_cmp_gt_i32_e64 s17, s17, v77
	v_max3_f32 v68, v68, v72, v78
	v_cndmask_b32_e64 v72, 0xff7fffff, v95, s16
	s_delay_alu instid0(VALU_DEP_3) | instskip(NEXT) | instid1(VALU_DEP_3)
	v_cndmask_b32_e64 v76, 0xff7fffff, v94, s17
	v_max3_f32 v68, v68, v70, v71
	s_delay_alu instid0(VALU_DEP_1) | instskip(SKIP_3) | instid1(VALU_DEP_1)
	v_max3_f32 v68, v68, v72, v76
	ds_bpermute_b32 v69, v89, v68
	s_waitcnt lgkmcnt(0)
	v_max_f32_e32 v69, v69, v69
	v_max_f32_e32 v68, v68, v69
	s_delay_alu instid0(VALU_DEP_1) | instskip(NEXT) | instid1(VALU_DEP_1)
	v_fma_f32 v71, s18, v126, -v68
	v_mul_f32_e32 v71, 0x3fb8aa3b, v71
	v_fma_f32 v70, s18, v125, -v68
	v_fma_f32 v69, s18, v124, -v68
	v_fma_f32 v76, s18, v128, -v68
	v_fma_f32 v72, s18, v127, -v68
	v_fma_f32 v78, s18, v130, -v68
	s_delay_alu instid0(VALU_DEP_4) | instskip(SKIP_1) | instid1(VALU_DEP_3)
	v_dual_mul_f32 v70, 0x3fb8aa3b, v70 :: v_dual_mul_f32 v69, 0x3fb8aa3b, v69
	v_exp_f32_e32 v71, v71
	v_mul_f32_e32 v72, 0x3fb8aa3b, v72
	v_fma_f32 v81, s18, v105, -v68
	s_delay_alu instid0(VALU_DEP_3)
	v_exp_f32_e32 v70, v70
	v_mul_f32_e32 v77, 0x3fb8aa3b, v76
	v_exp_f32_e32 v69, v69
	v_exp_f32_e32 v72, v72
	v_mul_f32_e32 v81, 0x3fb8aa3b, v81
	v_cndmask_b32_e64 v83, 0, v71, s3
	v_fma_f32 v71, s18, v131, -v68
	s_delay_alu instid0(VALU_DEP_3) | instskip(SKIP_4) | instid1(TRANS32_DEP_3)
	v_exp_f32_e32 v81, v81
	v_cndmask_b32_e32 v76, 0, v70, vcc_lo
	v_exp_f32_e32 v77, v77
	v_cndmask_b32_e64 v80, 0, v69, s2
	v_fma_f32 v69, s18, v129, -v68
	v_cndmask_b32_e64 v85, 0, v72, s4
	v_mul_f32_e32 v71, 0x3fb8aa3b, v71
	v_fma_f32 v72, s18, v100, -v68
	s_delay_alu instid0(VALU_DEP_4) | instskip(SKIP_1) | instid1(VALU_DEP_4)
	v_dual_add_f32 v70, 0, v80 :: v_dual_mul_f32 v69, 0x3fb8aa3b, v69
	v_cmp_gt_u32_e64 s2, 16, v67
	v_exp_f32_e32 v71, v71
	s_delay_alu instid0(TRANS32_DEP_2) | instskip(SKIP_4) | instid1(VALU_DEP_3)
	v_cndmask_b32_e64 v86, 0, v77, s5
	v_fma_f32 v77, s18, v101, -v68
	v_mul_f32_e32 v78, 0x3fb8aa3b, v78
	v_add_f32_e32 v70, v70, v76
	v_exp_f32_e32 v69, v69
	v_mul_f32_e32 v77, 0x3fb8aa3b, v77
	s_delay_alu instid0(VALU_DEP_3) | instskip(NEXT) | instid1(TRANS32_DEP_3)
	v_exp_f32_e32 v78, v78
	v_cndmask_b32_e64 v88, 0, v71, s8
	v_fma_f32 v71, s18, v104, -v68
	s_delay_alu instid0(VALU_DEP_3) | instskip(NEXT) | instid1(TRANS32_DEP_3)
	v_exp_f32_e32 v77, v77
	v_cndmask_b32_e64 v87, 0, v69, s6
	s_delay_alu instid0(VALU_DEP_2)
	v_mul_f32_e32 v71, 0x3fb8aa3b, v71
	s_waitcnt_depctr 0xfff
	v_cndmask_b32_e64 v84, 0, v78, s7
	v_add_f32_e32 v70, v70, v83
	v_fma_f32 v78, s18, v103, -v68
	v_exp_f32_e32 v82, v71
	s_delay_alu instid0(VALU_DEP_2) | instskip(SKIP_1) | instid1(VALU_DEP_3)
	v_add_f32_e32 v70, v70, v85
	v_mul_f32_e32 v72, 0x3fb8aa3b, v72
	v_mul_f32_e32 v78, 0x3fb8aa3b, v78
	s_delay_alu instid0(VALU_DEP_3) | instskip(SKIP_1) | instid1(VALU_DEP_4)
	v_add_f32_e32 v69, v70, v86
	v_fma_f32 v70, s18, v102, -v68
	v_exp_f32_e32 v72, v72
	s_delay_alu instid0(VALU_DEP_3) | instskip(NEXT) | instid1(VALU_DEP_1)
	v_exp_f32_e32 v78, v78
	v_dual_add_f32 v69, v69, v87 :: v_dual_mul_f32 v70, 0x3fb8aa3b, v70
	s_delay_alu instid0(VALU_DEP_1) | instskip(NEXT) | instid1(VALU_DEP_2)
	v_add_f32_e32 v69, v69, v84
	v_exp_f32_e32 v79, v70
	s_delay_alu instid0(TRANS32_DEP_3) | instskip(NEXT) | instid1(VALU_DEP_2)
	v_cndmask_b32_e64 v70, 0, v72, s9
	v_add_f32_e32 v72, v69, v88
	v_cndmask_b32_e64 v69, 0, v77, s10
	v_fma_f32 v77, s18, v106, -v68
	s_waitcnt_depctr 0xfff
	v_cndmask_b32_e64 v71, 0, v79, s11
	v_dual_mul_f32 v77, 0x3fb8aa3b, v77 :: v_dual_add_f32 v72, v72, v70
	s_delay_alu instid0(VALU_DEP_1) | instskip(NEXT) | instid1(VALU_DEP_1)
	v_exp_f32_e32 v90, v77
	v_add_f32_e32 v79, v72, v69
	v_cndmask_b32_e64 v72, 0, v78, s12
	v_cndmask_b32_e64 v77, 0, v82, s13
	s_delay_alu instid0(VALU_DEP_3) | instskip(SKIP_1) | instid1(VALU_DEP_1)
	v_add_f32_e32 v78, v79, v71
	v_fma_f32 v79, s18, v107, -v68
	v_dual_add_f32 v82, v78, v72 :: v_dual_mul_f32 v79, 0x3fb8aa3b, v79
	v_cndmask_b32_e64 v78, 0, v81, s15
	s_delay_alu instid0(VALU_DEP_2) | instskip(NEXT) | instid1(VALU_DEP_3)
	v_add_f32_e32 v81, v82, v77
	v_exp_f32_e32 v82, v79
	v_cndmask_b32_e64 v79, 0, v90, s16
	s_delay_alu instid0(VALU_DEP_2) | instskip(NEXT) | instid1(VALU_DEP_1)
	v_add_f32_e32 v81, v81, v78
	v_add_f32_e32 v90, v81, v79
	s_waitcnt_depctr 0xfff
	v_cndmask_b32_e64 v81, 0, v82, s17
	s_delay_alu instid0(VALU_DEP_1)
	v_add_f32_e32 v82, v90, v81
	ds_bpermute_b32 v89, v89, v82
	s_and_saveexec_b32 s3, s2
	s_cbranch_execz .LBB1520_12
; %bb.11:
	v_mul_u32_u24_e32 v67, 0x44, v66
	s_delay_alu instid0(VALU_DEP_1) | instskip(SKIP_1) | instid1(VALU_DEP_1)
	v_lshl_add_u32 v67, v65, 2, v67
	s_waitcnt lgkmcnt(0)
	v_dual_add_f32 v82, v82, v89 :: v_dual_add_nc_u32 v67, 0x4000, v67
	ds_store_2addr_b32 v67, v68, v82 offset1:136
.LBB1520_12:
	s_or_b32 exec_lo, exec_lo, s3
	v_lshlrev_b32_e32 v67, 2, v65
	s_waitcnt lgkmcnt(0)
	s_barrier
	buffer_gl0_inv
	v_cmp_eq_u32_e32 vcc_lo, 1, v66
	v_add_nc_u32_e32 v82, 0x4000, v67
	v_cmp_eq_u32_e64 s3, 2, v66
	v_cmp_eq_u32_e64 s5, 7, v66
	ds_load_2addr_b32 v[89:90], v82 offset1:17
	ds_load_2addr_b32 v[91:92], v82 offset0:34 offset1:51
	ds_load_2addr_b32 v[93:94], v82 offset0:68 offset1:85
	;; [unrolled: 1-line block ×4, first 2 shown]
	s_waitcnt lgkmcnt(4)
	v_max3_f32 v67, v89, 0xff7fffff, v90
	s_waitcnt lgkmcnt(3)
	s_delay_alu instid0(VALU_DEP_1) | instskip(SKIP_1) | instid1(VALU_DEP_1)
	v_max3_f32 v67, v67, v91, v92
	s_waitcnt lgkmcnt(2)
	v_max3_f32 v67, v67, v93, v94
	s_waitcnt lgkmcnt(1)
	s_delay_alu instid0(VALU_DEP_1) | instskip(NEXT) | instid1(VALU_DEP_1)
	v_max3_f32 v67, v67, v95, v96
	v_sub_f32_e32 v93, v93, v67
	s_delay_alu instid0(VALU_DEP_1) | instskip(NEXT) | instid1(VALU_DEP_1)
	v_dual_sub_f32 v68, v89, v67 :: v_dual_mul_f32 v103, 0x3fb8aa3b, v93
	v_mul_f32_e32 v68, 0x3fb8aa3b, v68
	s_delay_alu instid0(VALU_DEP_1)
	v_exp_f32_e32 v100, v68
	v_sub_f32_e32 v68, v92, v67
	v_sub_f32_e32 v99, v90, v67
	ds_load_2addr_b32 v[89:90], v82 offset0:170 offset1:187
	v_dual_mul_f32 v102, 0x3fb8aa3b, v68 :: v_dual_mul_f32 v99, 0x3fb8aa3b, v99
	s_waitcnt lgkmcnt(1)
	v_fma_f32 v68, v100, v97, 0
	s_delay_alu instid0(VALU_DEP_2) | instskip(NEXT) | instid1(VALU_DEP_2)
	v_exp_f32_e32 v102, v102
	v_exp_f32_e32 v99, v99
	s_waitcnt_depctr 0xfff
	v_fmac_f32_e32 v68, v99, v98
	v_sub_f32_e32 v91, v91, v67
	s_delay_alu instid0(VALU_DEP_1)
	v_mul_f32_e32 v101, 0x3fb8aa3b, v91
	ds_load_2addr_b32 v[91:92], v82 offset0:204 offset1:221
	v_sub_f32_e32 v97, v94, v67
	ds_load_2addr_b32 v[93:94], v82 offset0:238 offset1:255
	s_waitcnt lgkmcnt(0)
	v_exp_f32_e32 v101, v101
	s_barrier
	buffer_gl0_inv
	v_dual_fmac_f32 v68, v101, v89 :: v_dual_sub_f32 v89, v96, v67
	v_dual_sub_f32 v82, v95, v67 :: v_dual_mul_f32 v95, 0x3fb8aa3b, v97
	v_exp_f32_e32 v97, v103
	s_delay_alu instid0(VALU_DEP_2) | instskip(NEXT) | instid1(VALU_DEP_2)
	v_dual_fmac_f32 v68, v102, v90 :: v_dual_mul_f32 v89, 0x3fb8aa3b, v89
	v_mul_f32_e32 v82, 0x3fb8aa3b, v82
	s_delay_alu instid0(VALU_DEP_3) | instskip(NEXT) | instid1(VALU_DEP_2)
	v_exp_f32_e32 v95, v95
	v_exp_f32_e32 v89, v89
	s_delay_alu instid0(VALU_DEP_1)
	v_exp_f32_e32 v82, v82
	v_fmac_f32_e32 v68, v97, v91
	s_delay_alu instid0(TRANS32_DEP_3) | instid1(VALU_DEP_1)
	v_fmac_f32_e32 v68, v95, v92
	s_waitcnt_depctr 0xfff
	v_fmac_f32_e32 v68, v82, v93
	s_delay_alu instid0(VALU_DEP_1) | instskip(NEXT) | instid1(VALU_DEP_1)
	v_fmac_f32_e32 v68, v89, v94
	v_add_f32_e32 v90, 0x358637bd, v68
	s_delay_alu instid0(VALU_DEP_1) | instskip(NEXT) | instid1(VALU_DEP_1)
	v_div_scale_f32 v91, null, v90, v90, 1.0
	v_rcp_f32_e32 v92, v91
	s_waitcnt_depctr 0xfff
	v_fma_f32 v93, -v91, v92, 1.0
	s_delay_alu instid0(VALU_DEP_1) | instskip(SKIP_1) | instid1(VALU_DEP_2)
	v_dual_fmac_f32 v92, v93, v92 :: v_dual_cndmask_b32 v93, v100, v99
	v_cmp_eq_u32_e32 vcc_lo, 3, v66
	v_cndmask_b32_e64 v93, v93, v101, s3
	v_cmp_eq_u32_e64 s3, 4, v66
	s_delay_alu instid0(VALU_DEP_2) | instskip(SKIP_1) | instid1(VALU_DEP_2)
	v_cndmask_b32_e32 v93, v93, v102, vcc_lo
	v_cmp_eq_u32_e32 vcc_lo, 5, v66
	v_cndmask_b32_e64 v93, v93, v97, s3
	v_cmp_eq_u32_e64 s3, 6, v66
	s_delay_alu instid0(VALU_DEP_2) | instskip(SKIP_1) | instid1(VALU_DEP_1)
	v_cndmask_b32_e32 v93, v93, v95, vcc_lo
	v_div_scale_f32 v94, s4, 1.0, v90, 1.0
	s_mov_b32 vcc_lo, s4
	s_delay_alu instid0(VALU_DEP_2) | instskip(NEXT) | instid1(VALU_DEP_2)
	v_cndmask_b32_e64 v82, v93, v82, s3
	v_mul_f32_e32 v96, v94, v92
	s_mov_b32 s3, exec_lo
	s_delay_alu instid0(VALU_DEP_2) | instskip(NEXT) | instid1(VALU_DEP_2)
	v_cndmask_b32_e64 v82, v82, v89, s5
	v_fma_f32 v98, -v91, v96, v94
	s_delay_alu instid0(VALU_DEP_1) | instskip(NEXT) | instid1(VALU_DEP_1)
	v_fmac_f32_e32 v96, v98, v92
	v_fma_f32 v91, -v91, v96, v94
	s_delay_alu instid0(VALU_DEP_1) | instskip(NEXT) | instid1(VALU_DEP_1)
	v_div_fmas_f32 v91, v91, v92, v96
	v_div_fixup_f32 v90, v91, v90, 1.0
	s_delay_alu instid0(VALU_DEP_1) | instskip(NEXT) | instid1(VALU_DEP_1)
	v_mul_f32_e32 v82, v82, v90
	v_mul_f32_e32 v87, v82, v87
	;; [unrolled: 1-line block ×7, first 2 shown]
	v_dual_mul_f32 v86, v82, v83 :: v_dual_and_b32 v91, 0x7f800000, v90
	v_mul_f32_e32 v85, v82, v76
                                        ; implicit-def: $vgpr76
	s_delay_alu instid0(VALU_DEP_2)
	v_cmpx_ne_u32_e32 0x7f800000, v91
	s_xor_b32 s3, exec_lo, s3
; %bb.13:
	v_bfe_u32 v76, v90, 16, 1
	s_delay_alu instid0(VALU_DEP_1)
	v_add3_u32 v76, v90, v76, 0x7fff
                                        ; implicit-def: $vgpr90
; %bb.14:
	s_and_not1_saveexec_b32 s3, s3
; %bb.15:
	v_and_b32_e32 v76, 0xffff, v90
	v_or_b32_e32 v83, 0x10000, v90
	s_delay_alu instid0(VALU_DEP_2) | instskip(NEXT) | instid1(VALU_DEP_2)
	v_cmp_eq_u32_e32 vcc_lo, 0, v76
	v_cndmask_b32_e32 v76, v83, v90, vcc_lo
; %bb.16:
	s_or_b32 exec_lo, exec_lo, s3
	v_and_b32_e32 v83, 0x7f800000, v85
	s_delay_alu instid0(VALU_DEP_1) | instskip(SKIP_1) | instid1(SALU_CYCLE_1)
	v_cmp_ne_u32_e32 vcc_lo, 0x7f800000, v83
                                        ; implicit-def: $vgpr83
	s_and_saveexec_b32 s3, vcc_lo
	s_xor_b32 s3, exec_lo, s3
; %bb.17:
	v_bfe_u32 v83, v85, 16, 1
	s_delay_alu instid0(VALU_DEP_1)
	v_add3_u32 v83, v85, v83, 0x7fff
                                        ; implicit-def: $vgpr85
; %bb.18:
	s_and_not1_saveexec_b32 s3, s3
; %bb.19:
	v_and_b32_e32 v83, 0xffff, v85
	v_or_b32_e32 v90, 0x10000, v85
	s_delay_alu instid0(VALU_DEP_2) | instskip(NEXT) | instid1(VALU_DEP_2)
	v_cmp_eq_u32_e32 vcc_lo, 0, v83
	v_cndmask_b32_e32 v83, v90, v85, vcc_lo
; %bb.20:
	s_or_b32 exec_lo, exec_lo, s3
	v_and_b32_e32 v85, 0x7f800000, v86
	s_delay_alu instid0(VALU_DEP_1) | instskip(SKIP_1) | instid1(SALU_CYCLE_1)
	v_cmp_ne_u32_e32 vcc_lo, 0x7f800000, v85
                                        ; implicit-def: $vgpr85
	s_and_saveexec_b32 s3, vcc_lo
	s_xor_b32 s3, exec_lo, s3
; %bb.21:
	v_bfe_u32 v85, v86, 16, 1
	s_delay_alu instid0(VALU_DEP_1)
	v_add3_u32 v85, v86, v85, 0x7fff
                                        ; implicit-def: $vgpr86
; %bb.22:
	s_and_not1_saveexec_b32 s3, s3
; %bb.23:
	v_and_b32_e32 v85, 0xffff, v86
	v_or_b32_e32 v90, 0x10000, v86
	s_delay_alu instid0(VALU_DEP_2) | instskip(NEXT) | instid1(VALU_DEP_2)
	v_cmp_eq_u32_e32 vcc_lo, 0, v85
	v_cndmask_b32_e32 v85, v90, v86, vcc_lo
; %bb.24:
	s_or_b32 exec_lo, exec_lo, s3
	v_and_b32_e32 v86, 0x7f800000, v89
	s_delay_alu instid0(VALU_DEP_1) | instskip(SKIP_1) | instid1(SALU_CYCLE_1)
	v_cmp_ne_u32_e32 vcc_lo, 0x7f800000, v86
                                        ; implicit-def: $vgpr86
	s_and_saveexec_b32 s3, vcc_lo
	s_xor_b32 s3, exec_lo, s3
; %bb.25:
	v_bfe_u32 v86, v89, 16, 1
	s_delay_alu instid0(VALU_DEP_1)
	v_add3_u32 v86, v89, v86, 0x7fff
                                        ; implicit-def: $vgpr89
; %bb.26:
	s_and_not1_saveexec_b32 s3, s3
; %bb.27:
	v_and_b32_e32 v86, 0xffff, v89
	v_or_b32_e32 v90, 0x10000, v89
	s_delay_alu instid0(VALU_DEP_2) | instskip(NEXT) | instid1(VALU_DEP_2)
	v_cmp_eq_u32_e32 vcc_lo, 0, v86
	v_cndmask_b32_e32 v86, v90, v89, vcc_lo
; %bb.28:
	s_or_b32 exec_lo, exec_lo, s3
	v_and_b32_e32 v89, 0x7f800000, v88
	s_delay_alu instid0(VALU_DEP_1) | instskip(SKIP_1) | instid1(SALU_CYCLE_1)
	v_cmp_ne_u32_e32 vcc_lo, 0x7f800000, v89
                                        ; implicit-def: $vgpr89
	s_and_saveexec_b32 s3, vcc_lo
	s_xor_b32 s3, exec_lo, s3
; %bb.29:
	v_bfe_u32 v89, v88, 16, 1
	s_delay_alu instid0(VALU_DEP_1)
	v_add3_u32 v89, v88, v89, 0x7fff
                                        ; implicit-def: $vgpr88
; %bb.30:
	s_and_not1_saveexec_b32 s3, s3
; %bb.31:
	v_and_b32_e32 v89, 0xffff, v88
	v_or_b32_e32 v90, 0x10000, v88
	s_delay_alu instid0(VALU_DEP_2) | instskip(NEXT) | instid1(VALU_DEP_2)
	v_cmp_eq_u32_e32 vcc_lo, 0, v89
	v_cndmask_b32_e32 v89, v90, v88, vcc_lo
; %bb.32:
	s_or_b32 exec_lo, exec_lo, s3
	v_and_b32_e32 v88, 0x7f800000, v87
	s_delay_alu instid0(VALU_DEP_1) | instskip(SKIP_1) | instid1(SALU_CYCLE_1)
	v_cmp_ne_u32_e32 vcc_lo, 0x7f800000, v88
                                        ; implicit-def: $vgpr88
	s_and_saveexec_b32 s3, vcc_lo
	s_xor_b32 s3, exec_lo, s3
; %bb.33:
	v_bfe_u32 v88, v87, 16, 1
	s_delay_alu instid0(VALU_DEP_1)
	v_add3_u32 v88, v87, v88, 0x7fff
                                        ; implicit-def: $vgpr87
; %bb.34:
	s_and_not1_saveexec_b32 s3, s3
; %bb.35:
	v_and_b32_e32 v88, 0xffff, v87
	v_or_b32_e32 v90, 0x10000, v87
	s_delay_alu instid0(VALU_DEP_2) | instskip(NEXT) | instid1(VALU_DEP_2)
	v_cmp_eq_u32_e32 vcc_lo, 0, v88
	v_cndmask_b32_e32 v88, v90, v87, vcc_lo
; %bb.36:
	s_or_b32 exec_lo, exec_lo, s3
	v_and_b32_e32 v87, 0x7f800000, v84
	s_delay_alu instid0(VALU_DEP_1) | instskip(SKIP_1) | instid1(SALU_CYCLE_1)
	v_cmp_ne_u32_e32 vcc_lo, 0x7f800000, v87
                                        ; implicit-def: $vgpr87
	s_and_saveexec_b32 s3, vcc_lo
	s_xor_b32 s3, exec_lo, s3
; %bb.37:
	v_bfe_u32 v87, v84, 16, 1
	s_delay_alu instid0(VALU_DEP_1)
	v_add3_u32 v87, v84, v87, 0x7fff
                                        ; implicit-def: $vgpr84
; %bb.38:
	s_and_not1_saveexec_b32 s3, s3
; %bb.39:
	v_and_b32_e32 v87, 0xffff, v84
	v_or_b32_e32 v90, 0x10000, v84
	s_delay_alu instid0(VALU_DEP_2) | instskip(NEXT) | instid1(VALU_DEP_2)
	v_cmp_eq_u32_e32 vcc_lo, 0, v87
	v_cndmask_b32_e32 v87, v90, v84, vcc_lo
; %bb.40:
	s_or_b32 exec_lo, exec_lo, s3
	v_and_b32_e32 v84, 0x7f800000, v80
	s_delay_alu instid0(VALU_DEP_1) | instskip(SKIP_1) | instid1(SALU_CYCLE_1)
	v_cmp_ne_u32_e32 vcc_lo, 0x7f800000, v84
                                        ; implicit-def: $vgpr84
	s_and_saveexec_b32 s3, vcc_lo
	s_xor_b32 s3, exec_lo, s3
; %bb.41:
	v_bfe_u32 v84, v80, 16, 1
	s_delay_alu instid0(VALU_DEP_1)
	v_add3_u32 v84, v80, v84, 0x7fff
                                        ; implicit-def: $vgpr80
; %bb.42:
	s_and_not1_saveexec_b32 s3, s3
; %bb.43:
	v_and_b32_e32 v84, 0xffff, v80
	v_or_b32_e32 v90, 0x10000, v80
	s_delay_alu instid0(VALU_DEP_2) | instskip(NEXT) | instid1(VALU_DEP_2)
	v_cmp_eq_u32_e32 vcc_lo, 0, v84
	v_cndmask_b32_e32 v84, v90, v80, vcc_lo
; %bb.44:
	s_or_b32 exec_lo, exec_lo, s3
	s_load_b64 s[34:35], s[0:1], 0x94
	v_lshlrev_b32_e32 v91, 4, v74
	s_delay_alu instid0(VALU_DEP_2)
	v_perm_b32 v90, v84, v87, 0x7060302
	v_dual_mul_f32 v79, v82, v79 :: v_dual_lshlrev_b32 v80, 6, v65
	v_dual_mul_f32 v77, v82, v77 :: v_dual_lshlrev_b32 v92, 11, v66
	v_mul_f32_e32 v84, v82, v70
	v_perm_b32 v89, v88, v89, 0x7060302
	v_perm_b32 v88, v86, v85, 0x7060302
	;; [unrolled: 1-line block ×3, first 2 shown]
	v_mul_f32_e32 v70, v82, v81
	v_or3_b32 v76, v91, v92, v80
	v_dual_mul_f32 v78, v82, v78 :: v_dual_and_b32 v85, 0x7f800000, v84
	v_mul_f32_e32 v83, v82, v72
	v_mul_f32_e32 v81, v82, v71
	;; [unrolled: 1-line block ×3, first 2 shown]
	s_mov_b32 s3, exec_lo
	ds_store_b128 v76, v[87:90]
                                        ; implicit-def: $vgpr69
	v_cmpx_ne_u32_e32 0x7f800000, v85
	s_xor_b32 s3, exec_lo, s3
; %bb.45:
	v_bfe_u32 v69, v84, 16, 1
	s_delay_alu instid0(VALU_DEP_1)
	v_add3_u32 v69, v84, v69, 0x7fff
                                        ; implicit-def: $vgpr84
; %bb.46:
	s_and_not1_saveexec_b32 s3, s3
; %bb.47:
	v_and_b32_e32 v69, 0xffff, v84
	v_or_b32_e32 v71, 0x10000, v84
	s_delay_alu instid0(VALU_DEP_2) | instskip(NEXT) | instid1(VALU_DEP_2)
	v_cmp_eq_u32_e32 vcc_lo, 0, v69
	v_cndmask_b32_e32 v69, v71, v84, vcc_lo
; %bb.48:
	s_or_b32 exec_lo, exec_lo, s3
	v_and_b32_e32 v71, 0x7f800000, v72
	s_delay_alu instid0(VALU_DEP_1) | instskip(SKIP_1) | instid1(SALU_CYCLE_1)
	v_cmp_ne_u32_e32 vcc_lo, 0x7f800000, v71
                                        ; implicit-def: $vgpr71
	s_and_saveexec_b32 s3, vcc_lo
	s_xor_b32 s3, exec_lo, s3
; %bb.49:
	v_bfe_u32 v71, v72, 16, 1
	s_delay_alu instid0(VALU_DEP_1)
	v_add3_u32 v71, v72, v71, 0x7fff
                                        ; implicit-def: $vgpr72
; %bb.50:
	s_and_not1_saveexec_b32 s3, s3
; %bb.51:
	v_and_b32_e32 v71, 0xffff, v72
	v_or_b32_e32 v82, 0x10000, v72
	s_delay_alu instid0(VALU_DEP_2) | instskip(NEXT) | instid1(VALU_DEP_2)
	v_cmp_eq_u32_e32 vcc_lo, 0, v71
	v_cndmask_b32_e32 v71, v82, v72, vcc_lo
; %bb.52:
	s_or_b32 exec_lo, exec_lo, s3
	v_and_b32_e32 v72, 0x7f800000, v81
	s_delay_alu instid0(VALU_DEP_1) | instskip(SKIP_1) | instid1(SALU_CYCLE_1)
	v_cmp_ne_u32_e32 vcc_lo, 0x7f800000, v72
                                        ; implicit-def: $vgpr72
	s_and_saveexec_b32 s3, vcc_lo
	s_xor_b32 s3, exec_lo, s3
; %bb.53:
	v_bfe_u32 v72, v81, 16, 1
	s_delay_alu instid0(VALU_DEP_1)
	v_add3_u32 v72, v81, v72, 0x7fff
                                        ; implicit-def: $vgpr81
; %bb.54:
	s_and_not1_saveexec_b32 s3, s3
; %bb.55:
	v_and_b32_e32 v72, 0xffff, v81
	v_or_b32_e32 v82, 0x10000, v81
	s_delay_alu instid0(VALU_DEP_2) | instskip(NEXT) | instid1(VALU_DEP_2)
	v_cmp_eq_u32_e32 vcc_lo, 0, v72
	v_cndmask_b32_e32 v72, v82, v81, vcc_lo
; %bb.56:
	s_or_b32 exec_lo, exec_lo, s3
	v_and_b32_e32 v81, 0x7f800000, v83
	s_delay_alu instid0(VALU_DEP_1) | instskip(SKIP_1) | instid1(SALU_CYCLE_1)
	v_cmp_ne_u32_e32 vcc_lo, 0x7f800000, v81
                                        ; implicit-def: $vgpr81
	s_and_saveexec_b32 s3, vcc_lo
	s_xor_b32 s3, exec_lo, s3
; %bb.57:
	v_bfe_u32 v81, v83, 16, 1
	s_delay_alu instid0(VALU_DEP_1)
	v_add3_u32 v81, v83, v81, 0x7fff
                                        ; implicit-def: $vgpr83
; %bb.58:
	s_and_not1_saveexec_b32 s3, s3
; %bb.59:
	v_and_b32_e32 v81, 0xffff, v83
	v_or_b32_e32 v82, 0x10000, v83
	s_delay_alu instid0(VALU_DEP_2) | instskip(NEXT) | instid1(VALU_DEP_2)
	v_cmp_eq_u32_e32 vcc_lo, 0, v81
	v_cndmask_b32_e32 v81, v82, v83, vcc_lo
; %bb.60:
	s_or_b32 exec_lo, exec_lo, s3
	v_and_b32_e32 v82, 0x7f800000, v77
	s_delay_alu instid0(VALU_DEP_1) | instskip(SKIP_1) | instid1(SALU_CYCLE_1)
	v_cmp_ne_u32_e32 vcc_lo, 0x7f800000, v82
                                        ; implicit-def: $vgpr82
	s_and_saveexec_b32 s3, vcc_lo
	s_xor_b32 s3, exec_lo, s3
; %bb.61:
	v_bfe_u32 v82, v77, 16, 1
	s_delay_alu instid0(VALU_DEP_1)
	v_add3_u32 v82, v77, v82, 0x7fff
                                        ; implicit-def: $vgpr77
; %bb.62:
	s_and_not1_saveexec_b32 s3, s3
; %bb.63:
	v_and_b32_e32 v82, 0xffff, v77
	v_or_b32_e32 v83, 0x10000, v77
	s_delay_alu instid0(VALU_DEP_2) | instskip(NEXT) | instid1(VALU_DEP_2)
	v_cmp_eq_u32_e32 vcc_lo, 0, v82
	v_cndmask_b32_e32 v82, v83, v77, vcc_lo
; %bb.64:
	s_or_b32 exec_lo, exec_lo, s3
	v_and_b32_e32 v77, 0x7f800000, v78
	s_delay_alu instid0(VALU_DEP_1) | instskip(SKIP_1) | instid1(SALU_CYCLE_1)
	v_cmp_ne_u32_e32 vcc_lo, 0x7f800000, v77
                                        ; implicit-def: $vgpr77
	s_and_saveexec_b32 s3, vcc_lo
	s_xor_b32 s3, exec_lo, s3
; %bb.65:
	v_bfe_u32 v77, v78, 16, 1
	s_delay_alu instid0(VALU_DEP_1)
	v_add3_u32 v77, v78, v77, 0x7fff
                                        ; implicit-def: $vgpr78
; %bb.66:
	s_and_not1_saveexec_b32 s3, s3
; %bb.67:
	v_and_b32_e32 v77, 0xffff, v78
	v_or_b32_e32 v83, 0x10000, v78
	s_delay_alu instid0(VALU_DEP_2) | instskip(NEXT) | instid1(VALU_DEP_2)
	v_cmp_eq_u32_e32 vcc_lo, 0, v77
	v_cndmask_b32_e32 v77, v83, v78, vcc_lo
; %bb.68:
	s_or_b32 exec_lo, exec_lo, s3
	v_and_b32_e32 v78, 0x7f800000, v79
	s_delay_alu instid0(VALU_DEP_1) | instskip(SKIP_1) | instid1(SALU_CYCLE_1)
	v_cmp_ne_u32_e32 vcc_lo, 0x7f800000, v78
                                        ; implicit-def: $vgpr78
	s_and_saveexec_b32 s3, vcc_lo
	s_xor_b32 s3, exec_lo, s3
; %bb.69:
	v_bfe_u32 v78, v79, 16, 1
	s_delay_alu instid0(VALU_DEP_1)
	v_add3_u32 v78, v79, v78, 0x7fff
                                        ; implicit-def: $vgpr79
; %bb.70:
	s_and_not1_saveexec_b32 s3, s3
; %bb.71:
	v_and_b32_e32 v78, 0xffff, v79
	v_or_b32_e32 v83, 0x10000, v79
	s_delay_alu instid0(VALU_DEP_2) | instskip(NEXT) | instid1(VALU_DEP_2)
	v_cmp_eq_u32_e32 vcc_lo, 0, v78
	v_cndmask_b32_e32 v78, v83, v79, vcc_lo
; %bb.72:
	s_or_b32 exec_lo, exec_lo, s3
	v_and_b32_e32 v79, 0x7f800000, v70
	s_delay_alu instid0(VALU_DEP_1) | instskip(SKIP_1) | instid1(SALU_CYCLE_1)
	v_cmp_ne_u32_e32 vcc_lo, 0x7f800000, v79
                                        ; implicit-def: $vgpr79
	s_and_saveexec_b32 s3, vcc_lo
	s_xor_b32 s3, exec_lo, s3
; %bb.73:
	v_bfe_u32 v79, v70, 16, 1
	s_delay_alu instid0(VALU_DEP_1)
	v_add3_u32 v79, v70, v79, 0x7fff
                                        ; implicit-def: $vgpr70
; %bb.74:
	s_and_not1_saveexec_b32 s3, s3
; %bb.75:
	v_and_b32_e32 v79, 0xffff, v70
	v_or_b32_e32 v83, 0x10000, v70
	s_delay_alu instid0(VALU_DEP_2) | instskip(NEXT) | instid1(VALU_DEP_2)
	v_cmp_eq_u32_e32 vcc_lo, 0, v79
	v_cndmask_b32_e32 v79, v83, v70, vcc_lo
; %bb.76:
	s_or_b32 exec_lo, exec_lo, s3
	s_delay_alu instid0(VALU_DEP_1)
	v_perm_b32 v86, v79, v78, 0x7060302
	v_perm_b32 v85, v77, v82, 0x7060302
	;; [unrolled: 1-line block ×4, first 2 shown]
	v_lshl_or_b32 v82, v66, 11, v80
	ds_store_b128 v76, v[83:86] offset:1024
	s_waitcnt lgkmcnt(0)
	s_barrier
	buffer_gl0_inv
	ds_load_b128 v[69:72], v82
	ds_load_b128 v[83:86], v82 offset:16
	s_waitcnt lgkmcnt(1)
	v_lshrrev_b32_e32 v66, 16, v69
	s_waitcnt lgkmcnt(0)
	v_lshrrev_b32_e32 v91, 16, v83
	v_lshlrev_b32_e32 v78, 2, v74
	v_lshrrev_b32_e32 v95, 16, v70
	v_lshrrev_b32_e32 v98, 16, v84
	;; [unrolled: 1-line block ×4, first 2 shown]
	v_cmp_eq_u32_e32 vcc_lo, 1, v78
	v_lshrrev_b32_e32 v97, 16, v72
	v_lshrrev_b32_e32 v100, 16, v86
	v_cndmask_b32_e32 v87, v83, v91, vcc_lo
	v_or_b32_e32 v79, 1, v78
	v_cndmask_b32_e32 v81, v69, v66, vcc_lo
	v_cmp_eq_u32_e64 s4, 2, v78
	v_cmp_eq_u32_e64 s7, 3, v78
	;; [unrolled: 1-line block ×5, first 2 shown]
	v_cndmask_b32_e64 v81, v81, v70, s4
	v_cndmask_b32_e64 v87, v87, v84, s4
	v_cmp_eq_u32_e64 s8, 3, v79
	v_cndmask_b32_e64 v88, v69, v66, s3
	v_or_b32_e32 v77, 2, v78
	v_cndmask_b32_e64 v81, v81, v95, s7
	v_cndmask_b32_e64 v87, v87, v98, s7
	;; [unrolled: 1-line block ×4, first 2 shown]
	v_cmp_eq_u32_e64 s10, 5, v78
	v_cndmask_b32_e64 v81, v81, v71, s9
	v_cndmask_b32_e64 v87, v87, v85, s9
	v_cmp_eq_u32_e64 s11, 4, v79
	v_cndmask_b32_e64 v88, v88, v95, s8
	v_cmp_eq_u32_e64 s5, 1, v77
	v_cndmask_b32_e64 v89, v89, v84, s6
	v_cndmask_b32_e64 v81, v81, v96, s10
	v_cmp_eq_u32_e64 s12, 6, v78
	v_cndmask_b32_e64 v88, v88, v71, s11
	;; [unrolled: 3-line block ×3, first 2 shown]
	v_cndmask_b32_e64 v89, v89, v98, s8
	v_cndmask_b32_e64 v81, v81, v72, s12
	v_cmp_eq_u32_e64 s15, 7, v78
	v_cndmask_b32_e64 v88, v88, v96, s13
	v_cndmask_b32_e64 v87, v87, v86, s12
	v_cmp_eq_u32_e64 s16, 6, v79
	v_cmp_eq_u32_e64 s17, 2, v77
	v_cndmask_b32_e64 v89, v89, v85, s11
	v_cndmask_b32_e64 v101, v81, v97, s15
	;; [unrolled: 1-line block ×6, first 2 shown]
	v_cmp_eq_u32_e64 s18, 7, v79
	v_cmp_eq_u32_e64 s19, 3, v77
	;; [unrolled: 1-line block ×4, first 2 shown]
	v_cndmask_b32_e64 v87, v87, v84, s17
	v_cndmask_b32_e64 v103, v88, v97, s18
	;; [unrolled: 1-line block ×4, first 2 shown]
	v_or_b32_e32 v81, 3, v78
	v_cndmask_b32_e64 v93, v87, v98, s19
	v_cmp_eq_u32_e64 s24, 6, v77
	v_cndmask_b32_e64 v104, v88, v86, s16
	v_cndmask_b32_e64 v92, v89, v71, s20
	v_cmp_eq_u32_e64 s21, 1, v81
	ds_load_b128 v[87:90], v82 offset:1024
	v_cmp_eq_u32_e64 s23, 2, v81
	v_cmp_eq_u32_e64 s25, 3, v81
	v_cndmask_b32_e64 v105, v92, v96, s22
	v_cndmask_b32_e64 v66, v69, v66, s21
	;; [unrolled: 1-line block ×4, first 2 shown]
	ds_load_b128 v[91:94], v82 offset:1040
	v_cmp_eq_u32_e64 s26, 4, v81
	v_cndmask_b32_e64 v66, v66, v70, s23
	v_cmp_eq_u32_e64 s27, 7, v77
	v_cndmask_b32_e64 v70, v83, v84, s23
	v_cndmask_b32_e64 v84, v105, v72, s24
	v_cmp_eq_u32_e64 s28, 5, v81
	v_cndmask_b32_e64 v66, v66, v95, s25
	v_cmp_eq_u32_e64 s29, 6, v81
	v_cndmask_b32_e64 v70, v70, v98, s25
	v_cndmask_b32_e64 v69, v69, v99, s22
	;; [unrolled: 1-line block ×4, first 2 shown]
	s_waitcnt lgkmcnt(1)
	v_lshrrev_b32_e32 v95, 16, v87
	v_cndmask_b32_e64 v70, v70, v85, s26
	v_cndmask_b32_e64 v71, v84, v97, s27
	;; [unrolled: 1-line block ×4, first 2 shown]
	v_cndmask_b32_e32 v84, v87, v95, vcc_lo
	v_cndmask_b32_e64 v70, v70, v99, s28
	s_waitcnt lgkmcnt(0)
	v_lshrrev_b32_e32 v85, 16, v91
	v_lshrrev_b32_e32 v96, 16, v88
	v_cndmask_b32_e64 v98, v87, v95, s3
	v_cndmask_b32_e64 v84, v84, v88, s4
	;; [unrolled: 1-line block ×3, first 2 shown]
	v_cndmask_b32_e32 v99, v91, v85, vcc_lo
	v_cmp_eq_u32_e32 vcc_lo, 7, v81
	v_cndmask_b32_e64 v66, v66, v72, s29
	v_cndmask_b32_e64 v72, v84, v96, s7
	;; [unrolled: 1-line block ×3, first 2 shown]
	v_lshrrev_b32_e32 v98, 16, v92
	v_cndmask_b32_e32 v70, v70, v100, vcc_lo
	v_cndmask_b32_e64 v86, v99, v92, s4
	v_cndmask_b32_e64 v69, v69, v100, s27
	v_lshrrev_b32_e32 v100, 16, v93
	v_cndmask_b32_e64 v72, v72, v89, s9
	v_lshrrev_b32_e32 v99, 16, v89
	v_cndmask_b32_e64 v86, v86, v98, s7
	v_perm_b32 v71, v69, v71, 0x5040100
	v_cndmask_b32_e64 v84, v84, v96, s8
	s_delay_alu instid0(VALU_DEP_3) | instskip(NEXT) | instid1(VALU_DEP_2)
	v_cndmask_b32_e64 v86, v86, v93, s9
	v_cndmask_b32_e64 v84, v84, v89, s11
	s_delay_alu instid0(VALU_DEP_2) | instskip(NEXT) | instid1(VALU_DEP_1)
	v_cndmask_b32_e64 v86, v86, v100, s10
	v_cndmask_b32_e64 v69, v86, v94, s12
	;; [unrolled: 1-line block ×5, first 2 shown]
	s_delay_alu instid0(VALU_DEP_3) | instskip(NEXT) | instid1(VALU_DEP_3)
	v_cndmask_b32_e64 v86, v86, v88, s17
	v_cndmask_b32_e64 v87, v87, v88, s23
	s_delay_alu instid0(VALU_DEP_3) | instskip(NEXT) | instid1(VALU_DEP_3)
	v_cndmask_b32_e64 v88, v95, v92, s23
	v_cndmask_b32_e64 v86, v86, v96, s19
	;; [unrolled: 3-line block ×7, first 2 shown]
	s_delay_alu instid0(VALU_DEP_3) | instskip(SKIP_2) | instid1(VALU_DEP_2)
	v_cndmask_b32_e64 v88, v88, v94, s29
	v_cndmask_b32_e32 v66, v66, v97, vcc_lo
	v_cndmask_b32_e64 v97, v72, v99, s10
	v_perm_b32 v72, v70, v66, 0x5040100
	v_perm_b32 v70, v83, v103, 0x5040100
	v_cndmask_b32_e64 v103, v91, v85, s5
	v_cndmask_b32_e64 v85, v91, v85, s3
	;; [unrolled: 1-line block ×4, first 2 shown]
	v_lshrrev_b32_e32 v97, 16, v90
	v_cndmask_b32_e64 v91, v103, v92, s17
	v_cndmask_b32_e64 v85, v85, v92, s6
	;; [unrolled: 1-line block ×3, first 2 shown]
	s_mov_b32 s3, exec_lo
	v_cndmask_b32_e64 v83, v84, v97, s15
	v_cndmask_b32_e64 v91, v91, v98, s19
	;; [unrolled: 1-line block ×3, first 2 shown]
	v_lshrrev_b32_e32 v84, 16, v94
	v_cndmask_b32_e64 v66, v66, v97, s18
	v_cndmask_b32_e64 v90, v86, v97, s27
	;; [unrolled: 1-line block ×4, first 2 shown]
	v_dual_cndmask_b32 v86, v87, v97 :: v_dual_cndmask_b32 v87, v88, v84
	v_cndmask_b32_e64 v91, v69, v84, s15
	s_delay_alu instid0(VALU_DEP_4) | instskip(NEXT) | instid1(VALU_DEP_4)
	v_cndmask_b32_e64 v89, v89, v100, s22
	v_cndmask_b32_e64 v85, v85, v100, s13
	v_perm_b32 v69, v102, v101, 0x5040100
	v_perm_b32 v86, v87, v86, 0x5040100
	;; [unrolled: 1-line block ×3, first 2 shown]
	v_cndmask_b32_e64 v89, v89, v94, s24
	v_cndmask_b32_e64 v85, v85, v94, s16
	s_mul_i32 s8, s35, 15
	s_delay_alu instid0(VALU_DEP_2) | instskip(NEXT) | instid1(VALU_DEP_2)
	v_cndmask_b32_e64 v88, v89, v84, s27
	v_cndmask_b32_e64 v89, v85, v84, s18
	s_delay_alu instid0(VALU_DEP_2) | instskip(NEXT) | instid1(VALU_DEP_2)
	v_perm_b32 v85, v88, v90, 0x5040100
	v_perm_b32 v84, v89, v66, 0x5040100
	ds_store_b128 v76, v[69:72]
	ds_store_b128 v76, v[83:86] offset:1024
	v_cmpx_gt_u32_e32 15, v0
	s_cbranch_execz .LBB1520_78
; %bb.77:
	s_mul_i32 s4, s8, s30
	s_delay_alu instid0(SALU_CYCLE_1) | instskip(SKIP_1) | instid1(VALU_DEP_1)
	v_add3_u32 v69, s4, s31, v65
	s_load_b128 s[4:7], s[0:1], 0x58
	v_mad_u64_u32 v[65:66], null, v69, s34, s[14:15]
	s_delay_alu instid0(VALU_DEP_1) | instskip(NEXT) | instid1(VALU_DEP_1)
	v_ashrrev_i32_e32 v66, 31, v65
	v_lshlrev_b64 v[65:66], 2, v[65:66]
	s_waitcnt lgkmcnt(0)
	s_delay_alu instid0(VALU_DEP_1) | instskip(NEXT) | instid1(VALU_DEP_2)
	v_add_co_u32 v69, vcc_lo, s6, v65
	v_add_co_ci_u32_e32 v70, vcc_lo, s7, v66, vcc_lo
	v_add_co_u32 v65, vcc_lo, s4, v65
	v_add_co_ci_u32_e32 v66, vcc_lo, s5, v66, vcc_lo
	global_store_b32 v[69:70], v67, off
	global_store_b32 v[65:66], v68, off
.LBB1520_78:
	s_or_b32 exec_lo, exec_lo, s3
	s_waitcnt lgkmcnt(0)
	s_waitcnt_vscnt null, 0x0
	s_barrier
	buffer_gl0_inv
	ds_load_b128 v[83:86], v80
	ds_load_b128 v[87:90], v80 offset:16
	ds_load_b128 v[95:98], v80 offset:2064
	;; [unrolled: 1-line block ×3, first 2 shown]
	v_mov_b32_e32 v65, 0
	ds_load_b128 v[103:106], v80 offset:4112
	ds_load_b128 v[99:102], v80 offset:4096
	;; [unrolled: 1-line block ×4, first 2 shown]
	v_mov_b32_e32 v66, v65
	v_mov_b32_e32 v67, v65
	;; [unrolled: 1-line block ×7, first 2 shown]
	s_waitcnt lgkmcnt(6)
	s_delay_alu instid0(VALU_DEP_1)
	v_wmma_f32_16x16x16_bf16 v[65:72], v[49:56], v[83:90], v[65:72]
	ds_load_b128 v[53:56], v80 offset:8208
	ds_load_b128 v[49:52], v80 offset:8192
	s_waitcnt lgkmcnt(6)
	v_wmma_f32_16x16x16_bf16 v[65:72], v[41:48], v[91:98], v[65:72]
	ds_load_b128 v[45:48], v80 offset:10256
	ds_load_b128 v[41:44], v80 offset:10240
	s_waitcnt lgkmcnt(6)
	;; [unrolled: 4-line block ×4, first 2 shown]
	v_wmma_f32_16x16x16_bf16 v[65:72], v[1:8], v[49:56], v[65:72]
	s_waitcnt lgkmcnt(4)
	s_delay_alu instid0(VALU_DEP_1) | instskip(SKIP_1) | instid1(VALU_DEP_1)
	v_wmma_f32_16x16x16_bf16 v[65:72], v[9:16], v[41:48], v[65:72]
	s_waitcnt lgkmcnt(2)
	v_wmma_f32_16x16x16_bf16 v[65:72], v[17:24], v[33:40], v[65:72]
	s_waitcnt lgkmcnt(0)
	s_delay_alu instid0(VALU_DEP_1) | instskip(NEXT) | instid1(VALU_DEP_1)
	v_wmma_f32_16x16x16_bf16 v[65:72], v[57:64], v[25:32], v[65:72]
	v_and_b32_e32 v1, 0x7f800000, v65
	s_delay_alu instid0(VALU_DEP_1) | instskip(SKIP_1) | instid1(SALU_CYCLE_1)
	v_cmp_ne_u32_e32 vcc_lo, 0x7f800000, v1
                                        ; implicit-def: $vgpr1
	s_and_saveexec_b32 s3, vcc_lo
	s_xor_b32 s3, exec_lo, s3
; %bb.79:
	v_bfe_u32 v1, v65, 16, 1
	s_delay_alu instid0(VALU_DEP_1)
	v_add3_u32 v1, v65, v1, 0x7fff
; %bb.80:
	s_and_not1_saveexec_b32 s3, s3
; %bb.81:
	v_and_b32_e32 v1, 0xffff, v65
	v_or_b32_e32 v2, 0x10000, v65
	s_delay_alu instid0(VALU_DEP_2) | instskip(NEXT) | instid1(VALU_DEP_2)
	v_cmp_eq_u32_e32 vcc_lo, 0, v1
	v_cndmask_b32_e32 v1, v2, v65, vcc_lo
; %bb.82:
	s_or_b32 exec_lo, exec_lo, s3
	v_and_b32_e32 v2, 0x7f800000, v66
	s_delay_alu instid0(VALU_DEP_1) | instskip(SKIP_1) | instid1(SALU_CYCLE_1)
	v_cmp_ne_u32_e32 vcc_lo, 0x7f800000, v2
                                        ; implicit-def: $vgpr2
	s_and_saveexec_b32 s3, vcc_lo
	s_xor_b32 s3, exec_lo, s3
; %bb.83:
	v_bfe_u32 v2, v66, 16, 1
	s_delay_alu instid0(VALU_DEP_1)
	v_add3_u32 v2, v66, v2, 0x7fff
; %bb.84:
	s_and_not1_saveexec_b32 s3, s3
; %bb.85:
	v_and_b32_e32 v2, 0xffff, v66
	v_or_b32_e32 v3, 0x10000, v66
	s_delay_alu instid0(VALU_DEP_2) | instskip(NEXT) | instid1(VALU_DEP_2)
	v_cmp_eq_u32_e32 vcc_lo, 0, v2
	v_cndmask_b32_e32 v2, v3, v66, vcc_lo
; %bb.86:
	s_or_b32 exec_lo, exec_lo, s3
	v_and_b32_e32 v3, 0x7f800000, v67
	s_delay_alu instid0(VALU_DEP_1) | instskip(SKIP_1) | instid1(SALU_CYCLE_1)
	v_cmp_ne_u32_e32 vcc_lo, 0x7f800000, v3
                                        ; implicit-def: $vgpr3
	s_and_saveexec_b32 s3, vcc_lo
	s_xor_b32 s3, exec_lo, s3
; %bb.87:
	v_bfe_u32 v3, v67, 16, 1
	s_delay_alu instid0(VALU_DEP_1)
	v_add3_u32 v3, v67, v3, 0x7fff
; %bb.88:
	s_and_not1_saveexec_b32 s3, s3
; %bb.89:
	v_and_b32_e32 v3, 0xffff, v67
	v_or_b32_e32 v4, 0x10000, v67
	s_delay_alu instid0(VALU_DEP_2) | instskip(NEXT) | instid1(VALU_DEP_2)
	v_cmp_eq_u32_e32 vcc_lo, 0, v3
	v_cndmask_b32_e32 v3, v4, v67, vcc_lo
; %bb.90:
	s_or_b32 exec_lo, exec_lo, s3
	v_and_b32_e32 v4, 0x7f800000, v68
	s_delay_alu instid0(VALU_DEP_1) | instskip(SKIP_1) | instid1(SALU_CYCLE_1)
	v_cmp_ne_u32_e32 vcc_lo, 0x7f800000, v4
                                        ; implicit-def: $vgpr4
	s_and_saveexec_b32 s3, vcc_lo
	s_xor_b32 s3, exec_lo, s3
; %bb.91:
	v_bfe_u32 v4, v68, 16, 1
	s_delay_alu instid0(VALU_DEP_1)
	v_add3_u32 v4, v68, v4, 0x7fff
; %bb.92:
	s_and_not1_saveexec_b32 s3, s3
; %bb.93:
	v_and_b32_e32 v4, 0xffff, v68
	v_or_b32_e32 v5, 0x10000, v68
	s_delay_alu instid0(VALU_DEP_2) | instskip(NEXT) | instid1(VALU_DEP_2)
	v_cmp_eq_u32_e32 vcc_lo, 0, v4
	v_cndmask_b32_e32 v4, v5, v68, vcc_lo
; %bb.94:
	s_or_b32 exec_lo, exec_lo, s3
	v_and_b32_e32 v5, 0x7f800000, v69
	s_delay_alu instid0(VALU_DEP_1) | instskip(SKIP_1) | instid1(SALU_CYCLE_1)
	v_cmp_ne_u32_e32 vcc_lo, 0x7f800000, v5
                                        ; implicit-def: $vgpr5
	s_and_saveexec_b32 s3, vcc_lo
	s_xor_b32 s3, exec_lo, s3
; %bb.95:
	v_bfe_u32 v5, v69, 16, 1
	s_delay_alu instid0(VALU_DEP_1)
	v_add3_u32 v5, v69, v5, 0x7fff
; %bb.96:
	s_and_not1_saveexec_b32 s3, s3
; %bb.97:
	v_and_b32_e32 v5, 0xffff, v69
	v_or_b32_e32 v6, 0x10000, v69
	s_delay_alu instid0(VALU_DEP_2) | instskip(NEXT) | instid1(VALU_DEP_2)
	v_cmp_eq_u32_e32 vcc_lo, 0, v5
	v_cndmask_b32_e32 v5, v6, v69, vcc_lo
; %bb.98:
	s_or_b32 exec_lo, exec_lo, s3
	v_and_b32_e32 v6, 0x7f800000, v70
	s_delay_alu instid0(VALU_DEP_1) | instskip(SKIP_1) | instid1(SALU_CYCLE_1)
	v_cmp_ne_u32_e32 vcc_lo, 0x7f800000, v6
                                        ; implicit-def: $vgpr6
	s_and_saveexec_b32 s3, vcc_lo
	s_xor_b32 s3, exec_lo, s3
; %bb.99:
	v_bfe_u32 v6, v70, 16, 1
	s_delay_alu instid0(VALU_DEP_1)
	v_add3_u32 v6, v70, v6, 0x7fff
; %bb.100:
	s_and_not1_saveexec_b32 s3, s3
; %bb.101:
	v_and_b32_e32 v6, 0xffff, v70
	v_or_b32_e32 v7, 0x10000, v70
	s_delay_alu instid0(VALU_DEP_2) | instskip(NEXT) | instid1(VALU_DEP_2)
	v_cmp_eq_u32_e32 vcc_lo, 0, v6
	v_cndmask_b32_e32 v6, v7, v70, vcc_lo
; %bb.102:
	s_or_b32 exec_lo, exec_lo, s3
	v_and_b32_e32 v7, 0x7f800000, v71
	s_delay_alu instid0(VALU_DEP_1) | instskip(SKIP_1) | instid1(SALU_CYCLE_1)
	v_cmp_ne_u32_e32 vcc_lo, 0x7f800000, v7
                                        ; implicit-def: $vgpr7
	s_and_saveexec_b32 s3, vcc_lo
	s_xor_b32 s3, exec_lo, s3
; %bb.103:
	v_bfe_u32 v7, v71, 16, 1
	s_delay_alu instid0(VALU_DEP_1)
	v_add3_u32 v7, v71, v7, 0x7fff
; %bb.104:
	s_and_not1_saveexec_b32 s3, s3
; %bb.105:
	v_and_b32_e32 v7, 0xffff, v71
	v_or_b32_e32 v8, 0x10000, v71
	s_delay_alu instid0(VALU_DEP_2) | instskip(NEXT) | instid1(VALU_DEP_2)
	v_cmp_eq_u32_e32 vcc_lo, 0, v7
	v_cndmask_b32_e32 v7, v8, v71, vcc_lo
; %bb.106:
	s_or_b32 exec_lo, exec_lo, s3
	v_and_b32_e32 v8, 0x7f800000, v72
	s_delay_alu instid0(VALU_DEP_1) | instskip(SKIP_1) | instid1(SALU_CYCLE_1)
	v_cmp_ne_u32_e32 vcc_lo, 0x7f800000, v8
                                        ; implicit-def: $vgpr8
	s_and_saveexec_b32 s3, vcc_lo
	s_xor_b32 s3, exec_lo, s3
; %bb.107:
	v_bfe_u32 v8, v72, 16, 1
	s_delay_alu instid0(VALU_DEP_1)
	v_add3_u32 v8, v72, v8, 0x7fff
                                        ; implicit-def: $vgpr65_vgpr66_vgpr67_vgpr68_vgpr69_vgpr70_vgpr71_vgpr72
; %bb.108:
	s_and_not1_saveexec_b32 s3, s3
; %bb.109:
	v_and_b32_e32 v8, 0xffff, v72
	v_or_b32_e32 v9, 0x10000, v72
	s_delay_alu instid0(VALU_DEP_2) | instskip(NEXT) | instid1(VALU_DEP_2)
	v_cmp_eq_u32_e32 vcc_lo, 0, v8
	v_cndmask_b32_e32 v8, v9, v72, vcc_lo
; %bb.110:
	s_or_b32 exec_lo, exec_lo, s3
	s_delay_alu instid0(VALU_DEP_1)
	v_perm_b32 v7, v8, v7, 0x7060302
	v_perm_b32 v6, v6, v5, 0x7060302
	;; [unrolled: 1-line block ×4, first 2 shown]
	s_barrier
	buffer_gl0_inv
	v_cmp_eq_u32_e32 vcc_lo, 1, v78
	ds_store_b128 v76, v[4:7]
	s_waitcnt lgkmcnt(0)
	s_barrier
	buffer_gl0_inv
	ds_load_b128 v[1:4], v82
	ds_load_b128 v[5:8], v82 offset:16
	v_cmp_eq_u32_e64 s3, 1, v79
	v_cmp_eq_u32_e64 s4, 2, v78
	;; [unrolled: 1-line block ×5, first 2 shown]
	s_waitcnt lgkmcnt(1)
	v_lshrrev_b32_e32 v9, 16, v1
	s_waitcnt lgkmcnt(0)
	v_lshrrev_b32_e32 v13, 16, v5
	v_lshrrev_b32_e32 v10, 16, v2
	;; [unrolled: 1-line block ×4, first 2 shown]
	v_cndmask_b32_e64 v19, v1, v9, s3
	v_cndmask_b32_e32 v18, v5, v13, vcc_lo
	v_cndmask_b32_e64 v20, v5, v13, s3
	v_cndmask_b32_e32 v17, v1, v9, vcc_lo
	v_cmp_eq_u32_e32 vcc_lo, 2, v79
	v_lshrrev_b32_e32 v15, 16, v7
	v_cmp_eq_u32_e64 s3, 1, v77
	v_lshrrev_b32_e32 v12, 16, v4
	v_lshrrev_b32_e32 v16, 16, v8
	v_cndmask_b32_e32 v20, v20, v6, vcc_lo
	v_cndmask_b32_e64 v17, v17, v2, s4
	v_cndmask_b32_e32 v19, v19, v2, vcc_lo
	v_cndmask_b32_e64 v18, v18, v6, s4
	v_cmp_eq_u32_e32 vcc_lo, 4, v78
	v_cmp_eq_u32_e64 s4, 3, v79
	v_cndmask_b32_e64 v17, v17, v10, s5
	v_cndmask_b32_e64 v21, v1, v9, s3
	;; [unrolled: 1-line block ×5, first 2 shown]
	v_cndmask_b32_e32 v17, v17, v3, vcc_lo
	v_cndmask_b32_e64 v20, v20, v14, s4
	v_cndmask_b32_e32 v18, v18, v7, vcc_lo
	v_cmp_eq_u32_e32 vcc_lo, 4, v79
	v_cmp_eq_u32_e64 s4, 5, v79
	v_cmp_eq_u32_e64 s3, 2, v81
	v_cndmask_b32_e64 v21, v21, v2, s7
	v_cmp_eq_u32_e64 s5, 5, v78
	v_cndmask_b32_e32 v19, v19, v3, vcc_lo
	v_cndmask_b32_e32 v20, v20, v7, vcc_lo
	v_cmp_eq_u32_e32 vcc_lo, 6, v79
	s_delay_alu instid0(VALU_DEP_4) | instskip(NEXT) | instid1(VALU_DEP_4)
	v_cndmask_b32_e64 v17, v17, v11, s5
	v_cndmask_b32_e64 v19, v19, v11, s4
	s_delay_alu instid0(VALU_DEP_4) | instskip(SKIP_1) | instid1(VALU_DEP_3)
	v_cndmask_b32_e64 v20, v20, v15, s4
	v_cmp_eq_u32_e64 s4, 1, v81
	v_cndmask_b32_e32 v19, v19, v4, vcc_lo
	v_cndmask_b32_e64 v18, v18, v15, s5
	s_delay_alu instid0(VALU_DEP_3)
	v_cndmask_b32_e64 v1, v1, v9, s4
	v_cndmask_b32_e64 v5, v5, v13, s4
	v_cmp_eq_u32_e64 s4, 3, v77
	v_cndmask_b32_e64 v13, v22, v6, s7
	v_cmp_eq_u32_e64 s7, 3, v81
	v_cndmask_b32_e64 v1, v1, v2, s3
	v_cndmask_b32_e64 v2, v5, v6, s3
	;; [unrolled: 1-line block ×3, first 2 shown]
	v_cmp_eq_u32_e64 s3, 4, v77
	v_cndmask_b32_e64 v6, v13, v14, s4
	v_cndmask_b32_e64 v1, v1, v10, s7
	v_cmp_eq_u32_e64 s4, 4, v81
	v_cndmask_b32_e64 v2, v2, v14, s7
	v_cndmask_b32_e64 v5, v9, v3, s3
	;; [unrolled: 3-line block ×3, first 2 shown]
	v_cndmask_b32_e64 v2, v2, v7, s4
	v_cmp_eq_u32_e64 s3, 5, v81
	v_cmp_eq_u32_e64 s5, 6, v78
	v_cndmask_b32_e64 v5, v5, v11, s7
	v_cmp_eq_u32_e64 s4, 6, v77
	v_cndmask_b32_e64 v3, v6, v15, s7
	v_cndmask_b32_e64 v1, v1, v11, s3
	v_cmp_eq_u32_e64 s7, 6, v81
	v_cndmask_b32_e64 v2, v2, v15, s3
	v_cndmask_b32_e64 v17, v17, v4, s5
	v_cndmask_b32_e64 v18, v18, v8, s5
	v_cmp_eq_u32_e64 s5, 7, v78
	v_cndmask_b32_e64 v5, v5, v4, s4
	;; [unrolled: 4-line block ×3, first 2 shown]
	v_cmp_eq_u32_e64 s4, 7, v77
	v_cndmask_b32_e32 v4, v20, v8, vcc_lo
	v_cndmask_b32_e64 v17, v17, v12, s5
	v_cndmask_b32_e64 v19, v19, v12, s6
	;; [unrolled: 1-line block ×8, first 2 shown]
	s_mov_b32 s3, exec_lo
	v_perm_b32 v4, v2, v1, 0x5040100
	v_perm_b32 v3, v3, v5, 0x5040100
	;; [unrolled: 1-line block ×4, first 2 shown]
	ds_store_b128 v76, v[1:4]
	s_waitcnt lgkmcnt(0)
	s_barrier
	buffer_gl0_inv
	v_cmpx_gt_u32_e32 32, v0
	s_cbranch_execz .LBB1520_2
; %bb.111:
	s_load_b64 s[4:5], s[0:1], 0x68
	v_add_nc_u32_e32 v20, s31, v74
	v_lshlrev_b32_e32 v0, 10, v0
	v_lshlrev_b32_e32 v1, 4, v75
	s_lshl_b32 s0, s34, 7
	s_delay_alu instid0(SALU_CYCLE_1)
	s_mul_i32 s1, s0, s30
	v_add_nc_u32_e32 v2, 2, v20
	s_mul_i32 s6, s1, s8
	v_and_or_b32 v0, 0x3800, v0, v1
	v_mul_lo_u32 v1, v20, s0
	s_ashr_i32 s7, s6, 31
	v_mul_lo_u32 v11, v2, s0
	s_lshl_b64 s[6:7], s[6:7], 1
	v_add_nc_u32_e32 v3, 4, v20
	v_lshl_or_b32 v21, v74, 6, v0
	v_add_nc_u32_e32 v16, 6, v20
	v_ashrrev_i32_e32 v2, 31, v1
	s_delay_alu instid0(VALU_DEP_4)
	v_mul_lo_u32 v13, v3, s0
	s_waitcnt lgkmcnt(0)
	s_add_u32 s1, s4, s6
	s_addc_u32 s3, s5, s7
	s_lshl_b32 s4, s14, 7
	ds_load_b128 v[3:6], v21
	ds_load_b128 v[7:10], v21 offset:128
	s_ashr_i32 s5, s4, 31
	v_ashrrev_i32_e32 v12, 31, v11
	s_lshl_b64 s[4:5], s[4:5], 1
	v_lshlrev_b64 v[14:15], 1, v[1:2]
	s_add_u32 s1, s1, s4
	s_addc_u32 s3, s3, s5
	v_add_co_u32 v1, s1, s1, v73
	s_delay_alu instid0(VALU_DEP_1) | instskip(SKIP_1) | instid1(VALU_DEP_3)
	v_add_co_ci_u32_e64 v2, null, s3, 0, s1
	v_lshlrev_b64 v[11:12], 1, v[11:12]
	v_add_co_u32 v18, vcc_lo, v1, v14
	v_mul_lo_u32 v16, v16, s0
	s_delay_alu instid0(VALU_DEP_4) | instskip(NEXT) | instid1(VALU_DEP_4)
	v_add_co_ci_u32_e32 v19, vcc_lo, v2, v15, vcc_lo
	v_add_co_u32 v11, vcc_lo, v1, v11
	v_ashrrev_i32_e32 v14, 31, v13
	v_add_co_ci_u32_e32 v12, vcc_lo, v2, v12, vcc_lo
	v_add_nc_u32_e32 v15, 8, v20
	v_ashrrev_i32_e32 v17, 31, v16
	s_waitcnt lgkmcnt(1)
	global_store_b128 v[18:19], v[3:6], off
	v_lshlrev_b64 v[3:4], 1, v[13:14]
	s_waitcnt lgkmcnt(0)
	global_store_b128 v[11:12], v[7:10], off
	v_mul_lo_u32 v11, v15, s0
	v_add_nc_u32_e32 v7, 10, v20
	v_lshlrev_b64 v[5:6], 1, v[16:17]
	v_add_co_u32 v23, vcc_lo, v1, v3
	v_add_nc_u32_e32 v3, 12, v20
	s_delay_alu instid0(VALU_DEP_4)
	v_mul_lo_u32 v25, v7, s0
	v_ashrrev_i32_e32 v12, 31, v11
	v_add_co_ci_u32_e32 v24, vcc_lo, v2, v4, vcc_lo
	v_add_co_u32 v27, vcc_lo, v1, v5
	v_mul_lo_u32 v29, v3, s0
	v_add_co_ci_u32_e32 v28, vcc_lo, v2, v6, vcc_lo
	ds_load_b128 v[3:6], v21 offset:256
	ds_load_b128 v[7:10], v21 offset:384
	v_lshlrev_b64 v[31:32], 1, v[11:12]
	ds_load_b128 v[11:14], v21 offset:512
	ds_load_b128 v[15:18], v21 offset:640
	;; [unrolled: 1-line block ×3, first 2 shown]
	v_ashrrev_i32_e32 v26, 31, v25
	v_ashrrev_i32_e32 v30, 31, v29
	v_add_co_u32 v31, vcc_lo, v1, v31
	s_delay_alu instid0(VALU_DEP_3) | instskip(NEXT) | instid1(VALU_DEP_3)
	v_lshlrev_b64 v[25:26], 1, v[25:26]
	v_lshlrev_b64 v[29:30], 1, v[29:30]
	v_add_co_ci_u32_e32 v32, vcc_lo, v2, v32, vcc_lo
	s_delay_alu instid0(VALU_DEP_3) | instskip(NEXT) | instid1(VALU_DEP_4)
	v_add_co_u32 v25, vcc_lo, v1, v25
	v_add_co_ci_u32_e32 v26, vcc_lo, v2, v26, vcc_lo
	s_delay_alu instid0(VALU_DEP_4)
	v_add_co_u32 v29, vcc_lo, v1, v29
	v_add_co_ci_u32_e32 v30, vcc_lo, v2, v30, vcc_lo
	s_waitcnt lgkmcnt(4)
	global_store_b128 v[23:24], v[3:6], off
	s_waitcnt lgkmcnt(3)
	global_store_b128 v[27:28], v[7:10], off
	;; [unrolled: 2-line block ×5, first 2 shown]
	s_and_b32 exec_lo, exec_lo, s2
	s_cbranch_execz .LBB1520_2
; %bb.112:
	ds_load_b128 v[3:6], v0 offset:896
	s_add_i32 s1, s31, 14
	s_delay_alu instid0(SALU_CYCLE_1) | instskip(NEXT) | instid1(SALU_CYCLE_1)
	s_mul_i32 s0, s1, s0
	s_ashr_i32 s1, s0, 31
	s_delay_alu instid0(SALU_CYCLE_1) | instskip(NEXT) | instid1(SALU_CYCLE_1)
	s_lshl_b64 s[0:1], s[0:1], 1
	v_add_co_u32 v0, vcc_lo, v1, s0
	v_add_co_ci_u32_e32 v1, vcc_lo, s1, v2, vcc_lo
	s_waitcnt lgkmcnt(0)
	global_store_b128 v[0:1], v[3:6], off
	s_nop 0
	s_sendmsg sendmsg(MSG_DEALLOC_VGPRS)
	s_endpgm
	.section	.rodata,"a",@progbits
	.p2align	6, 0x0
	.amdhsa_kernel _Z39paged_attention_ll4mi_QKV_mfma16_kernelI14__hip_bfloat16hLN4vllm18Fp8KVCacheDataTypeE1EhLi16ELi128ELi256ELb1ELi15EL8MFMAType1EEvPKT_PKT0_S9_ifPKiSB_SB_iPKfiiiPfSE_PS4_PT2_iSD_SD_
		.amdhsa_group_segment_fixed_size 17472
		.amdhsa_private_segment_fixed_size 0
		.amdhsa_kernarg_size 400
		.amdhsa_user_sgpr_count 13
		.amdhsa_user_sgpr_dispatch_ptr 0
		.amdhsa_user_sgpr_queue_ptr 0
		.amdhsa_user_sgpr_kernarg_segment_ptr 1
		.amdhsa_user_sgpr_dispatch_id 0
		.amdhsa_user_sgpr_private_segment_size 0
		.amdhsa_wavefront_size32 1
		.amdhsa_uses_dynamic_stack 0
		.amdhsa_enable_private_segment 0
		.amdhsa_system_sgpr_workgroup_id_x 1
		.amdhsa_system_sgpr_workgroup_id_y 1
		.amdhsa_system_sgpr_workgroup_id_z 1
		.amdhsa_system_sgpr_workgroup_info 0
		.amdhsa_system_vgpr_workitem_id 0
		.amdhsa_next_free_vgpr 140
		.amdhsa_next_free_sgpr 36
		.amdhsa_reserve_vcc 1
		.amdhsa_float_round_mode_32 0
		.amdhsa_float_round_mode_16_64 0
		.amdhsa_float_denorm_mode_32 3
		.amdhsa_float_denorm_mode_16_64 3
		.amdhsa_dx10_clamp 1
		.amdhsa_ieee_mode 1
		.amdhsa_fp16_overflow 0
		.amdhsa_workgroup_processor_mode 1
		.amdhsa_memory_ordered 1
		.amdhsa_forward_progress 0
		.amdhsa_shared_vgpr_count 0
		.amdhsa_exception_fp_ieee_invalid_op 0
		.amdhsa_exception_fp_denorm_src 0
		.amdhsa_exception_fp_ieee_div_zero 0
		.amdhsa_exception_fp_ieee_overflow 0
		.amdhsa_exception_fp_ieee_underflow 0
		.amdhsa_exception_fp_ieee_inexact 0
		.amdhsa_exception_int_div_zero 0
	.end_amdhsa_kernel
	.section	.text._Z39paged_attention_ll4mi_QKV_mfma16_kernelI14__hip_bfloat16hLN4vllm18Fp8KVCacheDataTypeE1EhLi16ELi128ELi256ELb1ELi15EL8MFMAType1EEvPKT_PKT0_S9_ifPKiSB_SB_iPKfiiiPfSE_PS4_PT2_iSD_SD_,"axG",@progbits,_Z39paged_attention_ll4mi_QKV_mfma16_kernelI14__hip_bfloat16hLN4vllm18Fp8KVCacheDataTypeE1EhLi16ELi128ELi256ELb1ELi15EL8MFMAType1EEvPKT_PKT0_S9_ifPKiSB_SB_iPKfiiiPfSE_PS4_PT2_iSD_SD_,comdat
.Lfunc_end1520:
	.size	_Z39paged_attention_ll4mi_QKV_mfma16_kernelI14__hip_bfloat16hLN4vllm18Fp8KVCacheDataTypeE1EhLi16ELi128ELi256ELb1ELi15EL8MFMAType1EEvPKT_PKT0_S9_ifPKiSB_SB_iPKfiiiPfSE_PS4_PT2_iSD_SD_, .Lfunc_end1520-_Z39paged_attention_ll4mi_QKV_mfma16_kernelI14__hip_bfloat16hLN4vllm18Fp8KVCacheDataTypeE1EhLi16ELi128ELi256ELb1ELi15EL8MFMAType1EEvPKT_PKT0_S9_ifPKiSB_SB_iPKfiiiPfSE_PS4_PT2_iSD_SD_
                                        ; -- End function
	.section	.AMDGPU.csdata,"",@progbits
; Kernel info:
; codeLenInByte = 9152
; NumSgprs: 38
; NumVgprs: 140
; ScratchSize: 0
; MemoryBound: 0
; FloatMode: 240
; IeeeMode: 1
; LDSByteSize: 17472 bytes/workgroup (compile time only)
; SGPRBlocks: 4
; VGPRBlocks: 17
; NumSGPRsForWavesPerEU: 38
; NumVGPRsForWavesPerEU: 140
; Occupancy: 10
; WaveLimiterHint : 1
; COMPUTE_PGM_RSRC2:SCRATCH_EN: 0
; COMPUTE_PGM_RSRC2:USER_SGPR: 13
; COMPUTE_PGM_RSRC2:TRAP_HANDLER: 0
; COMPUTE_PGM_RSRC2:TGID_X_EN: 1
; COMPUTE_PGM_RSRC2:TGID_Y_EN: 1
; COMPUTE_PGM_RSRC2:TGID_Z_EN: 1
; COMPUTE_PGM_RSRC2:TIDIG_COMP_CNT: 0
	.section	.text._Z39paged_attention_ll4mi_QKV_mfma16_kernelI14__hip_bfloat16hLN4vllm18Fp8KVCacheDataTypeE1EhLi16ELi128ELi256ELb1ELi16EL8MFMAType1EEvPKT_PKT0_S9_ifPKiSB_SB_iPKfiiiPfSE_PS4_PT2_iSD_SD_,"axG",@progbits,_Z39paged_attention_ll4mi_QKV_mfma16_kernelI14__hip_bfloat16hLN4vllm18Fp8KVCacheDataTypeE1EhLi16ELi128ELi256ELb1ELi16EL8MFMAType1EEvPKT_PKT0_S9_ifPKiSB_SB_iPKfiiiPfSE_PS4_PT2_iSD_SD_,comdat
	.protected	_Z39paged_attention_ll4mi_QKV_mfma16_kernelI14__hip_bfloat16hLN4vllm18Fp8KVCacheDataTypeE1EhLi16ELi128ELi256ELb1ELi16EL8MFMAType1EEvPKT_PKT0_S9_ifPKiSB_SB_iPKfiiiPfSE_PS4_PT2_iSD_SD_ ; -- Begin function _Z39paged_attention_ll4mi_QKV_mfma16_kernelI14__hip_bfloat16hLN4vllm18Fp8KVCacheDataTypeE1EhLi16ELi128ELi256ELb1ELi16EL8MFMAType1EEvPKT_PKT0_S9_ifPKiSB_SB_iPKfiiiPfSE_PS4_PT2_iSD_SD_
	.globl	_Z39paged_attention_ll4mi_QKV_mfma16_kernelI14__hip_bfloat16hLN4vllm18Fp8KVCacheDataTypeE1EhLi16ELi128ELi256ELb1ELi16EL8MFMAType1EEvPKT_PKT0_S9_ifPKiSB_SB_iPKfiiiPfSE_PS4_PT2_iSD_SD_
	.p2align	8
	.type	_Z39paged_attention_ll4mi_QKV_mfma16_kernelI14__hip_bfloat16hLN4vllm18Fp8KVCacheDataTypeE1EhLi16ELi128ELi256ELb1ELi16EL8MFMAType1EEvPKT_PKT0_S9_ifPKiSB_SB_iPKfiiiPfSE_PS4_PT2_iSD_SD_,@function
_Z39paged_attention_ll4mi_QKV_mfma16_kernelI14__hip_bfloat16hLN4vllm18Fp8KVCacheDataTypeE1EhLi16ELi128ELi256ELb1ELi16EL8MFMAType1EEvPKT_PKT0_S9_ifPKiSB_SB_iPKfiiiPfSE_PS4_PT2_iSD_SD_: ; @_Z39paged_attention_ll4mi_QKV_mfma16_kernelI14__hip_bfloat16hLN4vllm18Fp8KVCacheDataTypeE1EhLi16ELi128ELi256ELb1ELi16EL8MFMAType1EEvPKT_PKT0_S9_ifPKiSB_SB_iPKfiiiPfSE_PS4_PT2_iSD_SD_
; %bb.0:
	s_load_b64 s[4:5], s[0:1], 0x30
	s_mov_b32 s30, s13
	s_waitcnt lgkmcnt(0)
	s_cmp_lg_u64 s[4:5], 0
	s_cselect_b32 s8, -1, 0
	s_ashr_i32 s31, s13, 31
	s_cmp_eq_u64 s[4:5], 0
	s_cbranch_scc1 .LBB1521_3
; %bb.1:
	s_lshl_b64 s[2:3], s[30:31], 2
	s_delay_alu instid0(SALU_CYCLE_1) | instskip(SKIP_4) | instid1(SALU_CYCLE_1)
	s_add_u32 s2, s4, s2
	s_addc_u32 s3, s5, s3
	s_load_b64 s[2:3], s[2:3], 0x0
	s_waitcnt lgkmcnt(0)
	s_sub_i32 s2, s3, s2
	s_cmp_eq_u32 s2, 1
	s_cselect_b32 s2, -1, 0
	s_delay_alu instid0(SALU_CYCLE_1)
	s_and_not1_b32 vcc_lo, exec_lo, s2
	s_cbranch_vccz .LBB1521_4
.LBB1521_2:
	s_endpgm
.LBB1521_3:
.LBB1521_4:
	s_load_b64 s[2:3], s[0:1], 0x28
	s_lshl_b64 s[6:7], s[30:31], 2
	s_waitcnt lgkmcnt(0)
	s_add_u32 s2, s2, s6
	s_addc_u32 s3, s3, s7
	s_lshl_b32 s12, s14, 8
	s_load_b32 s24, s[2:3], 0x0
	s_waitcnt lgkmcnt(0)
	s_cmp_ge_i32 s12, s24
	s_cbranch_scc1 .LBB1521_2
; %bb.5:
	s_clause 0x1
	s_load_b128 s[20:23], s[0:1], 0x8
	s_load_b64 s[2:3], s[0:1], 0x20
	s_and_not1_b32 vcc_lo, exec_lo, s8
	s_cbranch_vccnz .LBB1521_7
; %bb.6:
	s_add_u32 s4, s4, s6
	s_addc_u32 s5, s5, s7
	s_load_b32 s5, s[4:5], 0x0
	s_branch .LBB1521_8
.LBB1521_7:
	s_mov_b32 s5, s30
.LBB1521_8:
	s_load_b128 s[16:19], s[0:1], 0x48
	v_and_b32_e32 v66, 15, v0
	v_lshrrev_b32_e32 v65, 5, v0
	v_and_b32_e32 v67, 31, v0
	v_and_b32_e32 v75, 1, v0
	v_bfe_u32 v74, v0, 4, 1
	v_lshlrev_b32_e32 v1, 3, v66
	s_lshl_b32 s29, s15, 4
	s_mov_b32 s4, exec_lo
	s_delay_alu instid0(VALU_DEP_1)
	v_lshlrev_b32_e32 v73, 1, v1
	v_cmpx_gt_u32_e32 0x100, v0
	s_cbranch_execz .LBB1521_10
; %bb.9:
	v_lshl_or_b32 v5, v65, 1, v74
	s_load_b64 s[6:7], s[0:1], 0x0
	s_waitcnt lgkmcnt(0)
	s_mul_hi_i32 s9, s5, s16
	s_mul_i32 s8, s5, s16
	v_lshlrev_b32_e32 v6, 10, v66
	v_or_b32_e32 v1, s29, v5
	s_lshl_b64 s[8:9], s[8:9], 1
	v_lshlrev_b32_e32 v5, 6, v5
	v_lshlrev_b32_e32 v7, 10, v75
	v_and_b32_e32 v6, 0x3800, v6
	v_lshlrev_b32_e32 v1, 7, v1
	s_delay_alu instid0(VALU_DEP_2) | instskip(NEXT) | instid1(VALU_DEP_2)
	v_or3_b32 v5, v6, v7, v5
	v_ashrrev_i32_e32 v2, 31, v1
	s_delay_alu instid0(VALU_DEP_1) | instskip(SKIP_2) | instid1(VALU_DEP_1)
	v_lshlrev_b64 v[1:2], 1, v[1:2]
	s_add_u32 s5, s6, s8
	s_addc_u32 s6, s7, s9
	v_add_co_u32 v1, vcc_lo, s5, v1
	s_delay_alu instid0(VALU_DEP_2) | instskip(NEXT) | instid1(VALU_DEP_2)
	v_add_co_ci_u32_e32 v2, vcc_lo, s6, v2, vcc_lo
	v_add_co_u32 v1, vcc_lo, v1, v73
	s_delay_alu instid0(VALU_DEP_2)
	v_add_co_ci_u32_e32 v2, vcc_lo, 0, v2, vcc_lo
	global_load_b128 v[1:4], v[1:2], off
	s_waitcnt vmcnt(0)
	ds_store_b128 v5, v[1:4]
.LBB1521_10:
	s_or_b32 exec_lo, exec_lo, s4
	v_and_b32_e32 v1, 0xef, v0
	s_waitcnt lgkmcnt(0)
	s_add_i32 s5, s24, 15
	s_clause 0x1
	s_load_b32 s4, s[0:1], 0x38
	s_load_b32 s19, s[0:1], 0x1c
	s_ashr_i32 s6, s5, 31
	v_add_nc_u32_e32 v1, s12, v1
	s_lshr_b32 s6, s6, 28
	s_waitcnt lgkmcnt(0)
	s_add_i32 s5, s5, s6
	s_barrier
	v_ashrrev_i32_e32 v2, 31, v1
	v_or_b32_e32 v3, 16, v1
	s_ashr_i32 s13, s5, 4
	v_cmp_gt_i32_e32 vcc_lo, s24, v1
	s_add_i32 s13, s13, -1
	v_lshrrev_b32_e32 v2, 28, v2
	buffer_gl0_inv
	s_mul_i32 s15, s15, s18
	v_lshlrev_b32_e32 v41, 4, v66
	v_add_nc_u32_e32 v4, v1, v2
	s_mul_i32 s4, s30, s4
	s_delay_alu instid0(VALU_DEP_2) | instskip(SKIP_1) | instid1(VALU_DEP_2)
	v_lshl_or_b32 v41, v65, 8, v41
	s_ashr_i32 s5, s4, 31
	v_ashrrev_i32_e32 v4, 4, v4
	v_add_nc_u32_e32 v2, v3, v2
	s_lshl_b64 s[4:5], s[4:5], 2
	s_delay_alu instid0(SALU_CYCLE_1) | instskip(NEXT) | instid1(VALU_DEP_2)
	s_add_u32 s16, s2, s4
	v_cndmask_b32_e32 v1, s13, v4, vcc_lo
	s_delay_alu instid0(VALU_DEP_2)
	v_ashrrev_i32_e32 v2, 4, v2
	v_cmp_gt_i32_e32 vcc_lo, s24, v3
	s_addc_u32 s25, s3, s5
	s_ashr_i32 s18, s15, 31
	s_add_u32 s26, s20, s15
	s_addc_u32 s27, s21, s18
	v_cndmask_b32_e32 v3, s13, v2, vcc_lo
	v_ashrrev_i32_e32 v2, 31, v1
	s_lshl_b32 s2, s14, 4
	s_delay_alu instid0(SALU_CYCLE_1) | instskip(NEXT) | instid1(VALU_DEP_2)
	s_ashr_i32 s3, s2, 31
	v_ashrrev_i32_e32 v4, 31, v3
	s_delay_alu instid0(VALU_DEP_2) | instskip(SKIP_1) | instid1(SALU_CYCLE_1)
	v_lshlrev_b64 v[1:2], 2, v[1:2]
	s_lshl_b64 s[2:3], s[2:3], 2
	s_add_u32 s2, s16, s2
	s_delay_alu instid0(VALU_DEP_2) | instskip(SKIP_1) | instid1(VALU_DEP_2)
	v_lshlrev_b64 v[3:4], 2, v[3:4]
	s_addc_u32 s3, s25, s3
	v_add_co_u32 v1, vcc_lo, s16, v1
	v_add_co_ci_u32_e32 v2, vcc_lo, s25, v2, vcc_lo
	s_delay_alu instid0(VALU_DEP_3) | instskip(NEXT) | instid1(VALU_DEP_4)
	v_add_co_u32 v3, vcc_lo, s16, v3
	v_add_co_ci_u32_e32 v4, vcc_lo, s25, v4, vcc_lo
	s_clause 0x1
	global_load_b32 v5, v[1:2], off
	global_load_b32 v3, v[3:4], off
	s_or_b32 s4, s12, 32
	v_lshlrev_b32_e32 v1, 4, v0
	s_ashr_i32 s5, s4, 4
	s_cmp_lt_i32 s4, s24
	s_cselect_b32 s4, s5, s13
	s_delay_alu instid0(VALU_DEP_1) | instskip(SKIP_1) | instid1(SALU_CYCLE_1)
	v_and_b32_e32 v1, 0xf0, v1
	s_ashr_i32 s5, s4, 31
	s_lshl_b64 s[4:5], s[4:5], 2
	s_delay_alu instid0(SALU_CYCLE_1)
	s_add_u32 s4, s16, s4
	s_addc_u32 s5, s25, s5
	s_or_b32 s6, s12, 64
	v_add_co_u32 v1, s26, s26, v1
	s_ashr_i32 s7, s6, 4
	s_cmp_lt_i32 s6, s24
	v_add_co_ci_u32_e64 v2, null, s27, 0, s26
	s_cselect_b32 s6, s7, s13
	s_delay_alu instid0(SALU_CYCLE_1) | instskip(NEXT) | instid1(SALU_CYCLE_1)
	s_ashr_i32 s7, s6, 31
	s_lshl_b64 s[6:7], s[6:7], 2
	s_delay_alu instid0(SALU_CYCLE_1) | instskip(SKIP_2) | instid1(SALU_CYCLE_1)
	s_add_u32 s6, s16, s6
	s_addc_u32 s7, s25, s7
	s_or_b32 s8, s12, 0x60
	s_ashr_i32 s9, s8, 4
	s_cmp_lt_i32 s8, s24
	s_cselect_b32 s8, s9, s13
	s_delay_alu instid0(SALU_CYCLE_1) | instskip(NEXT) | instid1(SALU_CYCLE_1)
	s_ashr_i32 s9, s8, 31
	s_lshl_b64 s[8:9], s[8:9], 2
	s_delay_alu instid0(SALU_CYCLE_1) | instskip(SKIP_2) | instid1(SALU_CYCLE_1)
	s_add_u32 s8, s16, s8
	s_addc_u32 s9, s25, s9
	s_or_b32 s10, s12, 0x80
	s_ashr_i32 s11, s10, 4
	s_cmp_lt_i32 s10, s24
	;; [unrolled: 10-line block ×3, first 2 shown]
	s_cselect_b32 s20, s21, s13
	s_delay_alu instid0(SALU_CYCLE_1) | instskip(NEXT) | instid1(SALU_CYCLE_1)
	s_ashr_i32 s21, s20, 31
	s_lshl_b64 s[20:21], s[20:21], 2
	s_delay_alu instid0(SALU_CYCLE_1)
	s_add_u32 s20, s16, s20
	s_addc_u32 s21, s25, s21
	s_clause 0x5
	s_load_b32 s26, s[2:3], 0x0
	s_load_b32 s27, s[4:5], 0x0
	;; [unrolled: 1-line block ×6, first 2 shown]
	s_or_b32 s2, s12, 0xc0
	s_mov_b32 s4, 0
	s_ashr_i32 s3, s2, 4
	s_cmp_lt_i32 s2, s24
	s_mov_b32 s11, s4
	s_cselect_b32 s2, s3, s13
	s_mov_b32 s5, s4
	s_ashr_i32 s3, s2, 31
	s_mov_b32 s6, s4
	s_lshl_b64 s[2:3], s[2:3], 2
	s_mov_b32 s7, s4
	s_add_u32 s2, s16, s2
	s_mov_b32 s8, s4
	s_mov_b32 s9, s4
	;; [unrolled: 1-line block ×3, first 2 shown]
	s_addc_u32 s3, s25, s3
	s_or_b32 s21, s12, 0xe0
	v_mov_b32_e32 v108, s11
	v_mov_b32_e32 v102, s5
	v_dual_mov_b32 v105, s8 :: v_dual_lshlrev_b32 v76, 6, v66
	v_dual_mov_b32 v107, s10 :: v_dual_mov_b32 v106, s9
	v_dual_mov_b32 v104, s7 :: v_dual_mov_b32 v103, s6
	v_mov_b32_e32 v101, s4
	s_ashr_i32 s4, s21, 4
	s_cmp_lt_i32 s21, s24
	s_cselect_b32 s4, s4, s13
	s_delay_alu instid0(SALU_CYCLE_1) | instskip(NEXT) | instid1(SALU_CYCLE_1)
	s_ashr_i32 s5, s4, 31
	s_lshl_b64 s[4:5], s[4:5], 2
	s_waitcnt vmcnt(1)
	v_mad_i64_i32 v[33:34], null, v5, s17, v[1:2]
	s_waitcnt vmcnt(0)
	v_mad_i64_i32 v[35:36], null, v3, s17, v[1:2]
	s_clause 0xf
	global_load_b128 v[1:4], v[33:34], off
	global_load_b128 v[5:8], v[33:34], off offset:256
	global_load_b128 v[9:12], v[35:36], off
	global_load_b128 v[13:16], v[35:36], off offset:256
	global_load_b128 v[17:20], v[33:34], off offset:512
	global_load_b128 v[21:24], v[33:34], off offset:768
	global_load_b128 v[25:28], v[35:36], off offset:512
	global_load_b128 v[29:32], v[35:36], off offset:768
	global_load_b128 v[57:60], v[33:34], off offset:1024
	global_load_b128 v[61:64], v[33:34], off offset:1280
	global_load_b128 v[77:80], v[35:36], off offset:1024
	global_load_b128 v[81:84], v[35:36], off offset:1280
	global_load_b128 v[85:88], v[33:34], off offset:1536
	global_load_b128 v[89:92], v[33:34], off offset:1792
	global_load_b128 v[93:96], v[35:36], off offset:1536
	global_load_b128 v[97:100], v[35:36], off offset:1792
	ds_load_b128 v[33:36], v76
	ds_load_b128 v[37:40], v76 offset:1024
	ds_load_b128 v[109:112], v76 offset:2048
	ds_load_b128 v[113:116], v76 offset:3072
	s_load_b32 s6, s[2:3], 0x0
	s_add_u32 s2, s16, s4
	s_addc_u32 s3, s25, s5
	ds_load_b128 v[117:120], v76 offset:4096
	ds_load_b128 v[121:124], v76 offset:5120
	s_load_b32 s2, s[2:3], 0x0
	s_add_u32 s4, s22, s15
	s_addc_u32 s5, s23, s18
	v_add_co_u32 v68, s4, s4, v41
	s_delay_alu instid0(VALU_DEP_1) | instskip(SKIP_1) | instid1(VALU_DEP_1)
	v_add_co_ci_u32_e64 v69, null, s5, 0, s4
	s_waitcnt lgkmcnt(0)
	v_mad_i64_i32 v[41:42], null, s26, s17, v[68:69]
	v_mad_i64_i32 v[70:71], null, s28, s17, v[68:69]
	;; [unrolled: 1-line block ×7, first 2 shown]
	s_clause 0x3
	global_load_b128 v[49:52], v[41:42], off
	global_load_b128 v[53:56], v[41:42], off offset:16
	global_load_b128 v[41:44], v[45:46], off
	global_load_b128 v[45:48], v[45:46], off offset:16
	s_waitcnt vmcnt(18)
	v_wmma_f32_16x16x16_bf16 v[125:132], v[1:8], v[33:40], v[101:108]
	s_waitcnt vmcnt(16)
	v_wmma_f32_16x16x16_bf16 v[101:108], v[9:16], v[33:40], v[101:108]
	s_clause 0x1
	global_load_b128 v[33:36], v[70:71], off
	global_load_b128 v[37:40], v[70:71], off offset:16
	v_mad_i64_i32 v[70:71], null, s2, s17, v[68:69]
	s_waitcnt vmcnt(16)
	v_wmma_f32_16x16x16_bf16 v[125:132], v[17:24], v[109:116], v[125:132]
	s_waitcnt vmcnt(14)
	v_wmma_f32_16x16x16_bf16 v[101:108], v[25:32], v[109:116], v[101:108]
	s_clause 0x7
	global_load_b128 v[25:28], v[133:134], off
	global_load_b128 v[29:32], v[133:134], off offset:16
	global_load_b128 v[1:4], v[135:136], off
	global_load_b128 v[5:8], v[135:136], off offset:16
	;; [unrolled: 2-line block ×4, first 2 shown]
	s_waitcnt vmcnt(20)
	v_wmma_f32_16x16x16_bf16 v[125:132], v[57:64], v[117:124], v[125:132]
	s_clause 0x1
	global_load_b128 v[57:60], v[70:71], off
	global_load_b128 v[61:64], v[70:71], off offset:16
	s_waitcnt vmcnt(20)
	v_wmma_f32_16x16x16_bf16 v[101:108], v[77:84], v[117:124], v[101:108]
	ds_load_b128 v[77:80], v76 offset:6144
	ds_load_b128 v[81:84], v76 offset:7168
	v_and_b32_e32 v68, 0xe0, v0
	v_mbcnt_lo_u32_b32 v69, -1, 0
	s_waitcnt vmcnt(0) lgkmcnt(0)
	s_barrier
	buffer_gl0_inv
	v_add_nc_u32_e32 v68, s12, v68
	v_xor_b32_e32 v70, 16, v69
	s_delay_alu instid0(VALU_DEP_2) | instskip(NEXT) | instid1(VALU_DEP_2)
	v_or_b32_e32 v68, v68, v74
	v_cmp_gt_i32_e32 vcc_lo, 32, v70
	s_delay_alu instid0(VALU_DEP_2)
	v_or_b32_e32 v71, 4, v68
	v_or_b32_e32 v72, 6, v68
	v_cmp_gt_i32_e64 s2, s24, v68
	v_or_b32_e32 v109, 8, v68
	v_wmma_f32_16x16x16_bf16 v[125:132], v[85:92], v[77:84], v[125:132]
	v_cndmask_b32_e32 v69, v69, v70, vcc_lo
	v_or_b32_e32 v70, 2, v68
	v_wmma_f32_16x16x16_bf16 v[101:108], v[93:100], v[77:84], v[101:108]
	v_or_b32_e32 v85, 10, v68
	v_dual_mul_f32 v84, s19, v128 :: v_dual_mul_f32 v83, s19, v129
	v_dual_mul_f32 v94, s19, v126 :: v_dual_mul_f32 v95, s19, v125
	s_delay_alu instid0(VALU_DEP_4) | instskip(SKIP_2) | instid1(VALU_DEP_4)
	v_mul_f32_e32 v98, s19, v106
	v_cmp_gt_i32_e32 vcc_lo, s24, v70
	v_dual_mul_f32 v93, s19, v127 :: v_dual_mul_f32 v96, s19, v108
	v_cndmask_b32_e64 v95, 0xff7fffff, v95, s2
	v_cmp_gt_i32_e64 s3, s24, v71
	v_cndmask_b32_e32 v94, 0xff7fffff, v94, vcc_lo
	v_cmp_gt_i32_e64 s4, s24, v72
	v_or_b32_e32 v86, 12, v68
	v_or_b32_e32 v87, 14, v68
	v_dual_mul_f32 v81, s19, v131 :: v_dual_mul_f32 v82, s19, v130
	v_cndmask_b32_e64 v93, 0xff7fffff, v93, s3
	v_cndmask_b32_e64 v72, 0xff7fffff, v84, s4
	v_max3_f32 v84, v95, 0xff7fffff, v94
	v_cmp_gt_i32_e64 s5, s24, v109
	v_cmp_gt_i32_e64 s6, s24, v85
	v_or_b32_e32 v88, 16, v68
	v_or_b32_e32 v89, 18, v68
	v_mul_f32_e32 v80, s19, v132
	v_cndmask_b32_e64 v83, 0xff7fffff, v83, s5
	v_cndmask_b32_e64 v82, 0xff7fffff, v82, s6
	v_max3_f32 v72, v84, v93, v72
	v_cmp_gt_i32_e64 s7, s24, v86
	v_cmp_gt_i32_e64 s8, s24, v87
	v_or_b32_e32 v90, 20, v68
	v_or_b32_e32 v91, 22, v68
	;; [unrolled: 1-line block ×6, first 2 shown]
	v_dual_mul_f32 v68, s19, v102 :: v_dual_mul_f32 v71, s19, v101
	v_cndmask_b32_e64 v81, 0xff7fffff, v81, s7
	v_cndmask_b32_e64 v80, 0xff7fffff, v80, s8
	v_max3_f32 v72, v72, v83, v82
	v_cmp_gt_i32_e64 s9, s24, v88
	v_cmp_gt_i32_e64 s10, s24, v89
	v_dual_mul_f32 v97, s19, v107 :: v_dual_mul_f32 v100, s19, v104
	v_dual_mul_f32 v99, s19, v105 :: v_dual_mul_f32 v70, s19, v103
	s_delay_alu instid0(VALU_DEP_4) | instskip(NEXT) | instid1(VALU_DEP_4)
	v_cndmask_b32_e64 v71, 0xff7fffff, v71, s9
	v_cndmask_b32_e64 v68, 0xff7fffff, v68, s10
	v_max3_f32 v72, v72, v81, v80
	v_cmp_gt_i32_e64 s11, s24, v90
	v_cmp_gt_i32_e64 s12, s24, v91
	;; [unrolled: 1-line block ×4, first 2 shown]
	v_max3_f32 v68, v72, v71, v68
	v_cndmask_b32_e64 v70, 0xff7fffff, v70, s11
	v_cndmask_b32_e64 v80, 0xff7fffff, v100, s12
	;; [unrolled: 1-line block ×4, first 2 shown]
	v_cmp_gt_i32_e64 s16, s24, v78
	v_cmp_gt_i32_e64 s17, s24, v79
	v_max3_f32 v68, v68, v70, v80
	v_lshlrev_b32_e32 v90, 2, v69
	s_delay_alu instid0(VALU_DEP_4) | instskip(NEXT) | instid1(VALU_DEP_4)
	v_cndmask_b32_e64 v70, 0xff7fffff, v97, s16
	v_cndmask_b32_e64 v77, 0xff7fffff, v96, s17
	s_delay_alu instid0(VALU_DEP_4) | instskip(NEXT) | instid1(VALU_DEP_1)
	v_max3_f32 v68, v68, v71, v72
	v_max3_f32 v68, v68, v70, v77
	ds_bpermute_b32 v69, v90, v68
	s_waitcnt lgkmcnt(0)
	v_max_f32_e32 v69, v69, v69
	s_delay_alu instid0(VALU_DEP_1) | instskip(NEXT) | instid1(VALU_DEP_1)
	v_max_f32_e32 v81, v68, v69
	v_fma_f32 v68, s19, v125, -v81
	s_delay_alu instid0(VALU_DEP_1)
	v_mul_f32_e32 v68, 0x3fb8aa3b, v68
	v_fma_f32 v69, s19, v126, -v81
	v_fma_f32 v71, s19, v128, -v81
	;; [unrolled: 1-line block ×4, first 2 shown]
	v_exp_f32_e32 v68, v68
	v_mul_f32_e32 v69, 0x3fb8aa3b, v69
	s_delay_alu instid0(VALU_DEP_3) | instskip(NEXT) | instid1(VALU_DEP_3)
	v_dual_mul_f32 v71, 0x3fb8aa3b, v71 :: v_dual_mul_f32 v72, 0x3fb8aa3b, v72
	v_mul_f32_e32 v70, 0x3fb8aa3b, v70
	v_fma_f32 v78, s19, v131, -v81
	s_delay_alu instid0(VALU_DEP_4) | instskip(NEXT) | instid1(VALU_DEP_3)
	v_exp_f32_e32 v69, v69
	v_exp_f32_e32 v71, v71
	;; [unrolled: 1-line block ×4, first 2 shown]
	v_cndmask_b32_e64 v82, 0, v68, s2
	v_fma_f32 v68, s19, v130, -v81
	v_mul_f32_e32 v78, 0x3fb8aa3b, v78
	v_fma_f32 v80, s19, v106, -v81
	s_mov_b32 s2, exec_lo
	s_delay_alu instid0(VALU_DEP_3) | instskip(NEXT) | instid1(TRANS32_DEP_2)
	v_dual_cndmask_b32 v77, 0, v69 :: v_dual_mul_f32 v68, 0x3fb8aa3b, v68
	v_cndmask_b32_e64 v86, 0, v72, s5
	v_fma_f32 v72, s19, v102, -v81
	v_add_f32_e32 v69, 0, v82
	v_cndmask_b32_e64 v83, 0, v70, s3
	v_exp_f32_e32 v68, v68
	v_fma_f32 v70, s19, v132, -v81
	s_delay_alu instid0(VALU_DEP_3) | instskip(SKIP_2) | instid1(VALU_DEP_4)
	v_dual_mul_f32 v72, 0x3fb8aa3b, v72 :: v_dual_add_f32 v69, v69, v77
	v_cndmask_b32_e64 v85, 0, v71, s4
	v_fma_f32 v71, s19, v101, -v81
	v_mul_f32_e32 v70, 0x3fb8aa3b, v70
	v_exp_f32_e32 v78, v78
	v_add_f32_e32 v69, v69, v83
	v_exp_f32_e32 v72, v72
	s_delay_alu instid0(TRANS32_DEP_3) | instskip(SKIP_1) | instid1(VALU_DEP_2)
	v_cndmask_b32_e64 v87, 0, v68, s6
	v_exp_f32_e32 v70, v70
	v_add_f32_e32 v69, v69, v85
	v_mul_f32_e32 v71, 0x3fb8aa3b, v71
	s_delay_alu instid0(TRANS32_DEP_3) | instskip(NEXT) | instid1(VALU_DEP_3)
	v_cndmask_b32_e64 v84, 0, v78, s7
	v_add_f32_e32 v68, v69, v86
	v_fma_f32 v69, s19, v103, -v81
	s_delay_alu instid0(VALU_DEP_4) | instskip(SKIP_1) | instid1(TRANS32_DEP_2)
	v_exp_f32_e32 v71, v71
	v_fma_f32 v78, s19, v104, -v81
	v_cndmask_b32_e64 v88, 0, v70, s8
	s_delay_alu instid0(VALU_DEP_3) | instskip(SKIP_1) | instid1(VALU_DEP_2)
	v_dual_add_f32 v68, v68, v87 :: v_dual_mul_f32 v69, 0x3fb8aa3b, v69
	v_fma_f32 v70, s19, v105, -v81
	v_add_f32_e32 v68, v68, v84
	v_mul_f32_e32 v78, 0x3fb8aa3b, v78
	s_delay_alu instid0(VALU_DEP_4) | instskip(NEXT) | instid1(TRANS32_DEP_2)
	v_exp_f32_e32 v79, v69
	v_cndmask_b32_e64 v69, 0, v71, s9
	s_delay_alu instid0(VALU_DEP_3) | instskip(NEXT) | instid1(VALU_DEP_3)
	v_dual_add_f32 v71, v68, v88 :: v_dual_mul_f32 v70, 0x3fb8aa3b, v70
	v_exp_f32_e32 v78, v78
	v_cndmask_b32_e64 v68, 0, v72, s10
	v_fma_f32 v72, s19, v107, -v81
	s_delay_alu instid0(VALU_DEP_3) | instskip(SKIP_1) | instid1(TRANS32_DEP_3)
	v_add_f32_e32 v71, v71, v69
	v_exp_f32_e32 v89, v70
	v_cndmask_b32_e64 v70, 0, v79, s11
	s_delay_alu instid0(VALU_DEP_2) | instskip(NEXT) | instid1(TRANS32_DEP_2)
	v_add_f32_e32 v79, v71, v68
	v_cndmask_b32_e64 v71, 0, v78, s12
	s_delay_alu instid0(VALU_DEP_2) | instskip(SKIP_2) | instid1(VALU_DEP_1)
	v_add_f32_e32 v78, v79, v70
	v_mul_f32_e32 v80, 0x3fb8aa3b, v80
	v_fma_f32 v79, s19, v108, -v81
	v_dual_mul_f32 v72, 0x3fb8aa3b, v72 :: v_dual_mul_f32 v79, 0x3fb8aa3b, v79
	s_delay_alu instid0(VALU_DEP_1) | instskip(NEXT) | instid1(TRANS32_DEP_2)
	v_exp_f32_e32 v91, v72
	v_cndmask_b32_e64 v72, 0, v89, s13
	v_add_f32_e32 v89, v78, v71
	v_exp_f32_e32 v80, v80
	s_waitcnt_depctr 0xfff
	v_cndmask_b32_e64 v78, 0, v80, s15
	v_add_f32_e32 v80, v89, v72
	v_exp_f32_e32 v89, v79
	v_cndmask_b32_e64 v79, 0, v91, s16
	s_delay_alu instid0(VALU_DEP_2) | instskip(NEXT) | instid1(VALU_DEP_1)
	v_add_f32_e32 v80, v80, v78
	v_add_f32_e32 v91, v80, v79
	s_waitcnt_depctr 0xfff
	v_cndmask_b32_e64 v80, 0, v89, s17
	s_delay_alu instid0(VALU_DEP_1)
	v_add_f32_e32 v89, v91, v80
	ds_bpermute_b32 v90, v90, v89
	v_cmpx_gt_u32_e32 16, v67
	s_cbranch_execz .LBB1521_12
; %bb.11:
	v_mul_u32_u24_e32 v67, 0x44, v65
	s_waitcnt lgkmcnt(0)
	v_add_f32_e32 v89, v89, v90
	s_delay_alu instid0(VALU_DEP_2) | instskip(NEXT) | instid1(VALU_DEP_1)
	v_lshl_add_u32 v67, v66, 2, v67
	v_add_nc_u32_e32 v67, 0x4000, v67
	ds_store_2addr_b32 v67, v81, v89 offset1:136
.LBB1521_12:
	s_or_b32 exec_lo, exec_lo, s2
	v_lshlrev_b32_e32 v66, 2, v66
	s_waitcnt lgkmcnt(0)
	s_barrier
	buffer_gl0_inv
	v_cmp_eq_u32_e32 vcc_lo, 1, v65
	v_add_nc_u32_e32 v81, 0x4000, v66
	v_cmp_eq_u32_e64 s2, 2, v65
	v_cmp_eq_u32_e64 s4, 7, v65
	ds_load_2addr_b32 v[89:90], v81 offset1:17
	ds_load_2addr_b32 v[91:92], v81 offset0:34 offset1:51
	ds_load_2addr_b32 v[93:94], v81 offset0:68 offset1:85
	ds_load_2addr_b32 v[95:96], v81 offset0:102 offset1:119
	ds_load_2addr_b32 v[97:98], v81 offset0:136 offset1:153
	s_waitcnt lgkmcnt(4)
	v_max3_f32 v66, v89, 0xff7fffff, v90
	s_waitcnt lgkmcnt(3)
	s_delay_alu instid0(VALU_DEP_1) | instskip(SKIP_1) | instid1(VALU_DEP_1)
	v_max3_f32 v66, v66, v91, v92
	s_waitcnt lgkmcnt(2)
	v_max3_f32 v66, v66, v93, v94
	s_waitcnt lgkmcnt(1)
	s_delay_alu instid0(VALU_DEP_1) | instskip(NEXT) | instid1(VALU_DEP_1)
	v_max3_f32 v66, v66, v95, v96
	v_sub_f32_e32 v67, v89, v66
	v_sub_f32_e32 v91, v91, v66
	;; [unrolled: 1-line block ×3, first 2 shown]
	s_delay_alu instid0(VALU_DEP_3) | instskip(NEXT) | instid1(VALU_DEP_3)
	v_mul_f32_e32 v67, 0x3fb8aa3b, v67
	v_mul_f32_e32 v101, 0x3fb8aa3b, v91
	s_delay_alu instid0(VALU_DEP_3) | instskip(NEXT) | instid1(VALU_DEP_3)
	v_mul_f32_e32 v103, 0x3fb8aa3b, v93
	v_exp_f32_e32 v100, v67
	v_sub_f32_e32 v67, v92, v66
	v_sub_f32_e32 v99, v90, v66
	ds_load_2addr_b32 v[89:90], v81 offset0:170 offset1:187
	ds_load_2addr_b32 v[91:92], v81 offset0:204 offset1:221
	v_exp_f32_e32 v101, v101
	v_mul_f32_e32 v102, 0x3fb8aa3b, v67
	v_mul_f32_e32 v99, 0x3fb8aa3b, v99
	s_waitcnt lgkmcnt(2)
	v_fma_f32 v67, v100, v97, 0
	v_sub_f32_e32 v97, v94, v66
	s_delay_alu instid0(VALU_DEP_3)
	v_exp_f32_e32 v99, v99
	v_exp_f32_e32 v102, v102
	ds_load_2addr_b32 v[93:94], v81 offset0:238 offset1:255
	v_sub_f32_e32 v81, v95, v66
	v_mul_f32_e32 v95, 0x3fb8aa3b, v97
	v_exp_f32_e32 v97, v103
	s_waitcnt lgkmcnt(0)
	s_barrier
	v_mul_f32_e32 v81, 0x3fb8aa3b, v81
	v_exp_f32_e32 v95, v95
	v_fmac_f32_e32 v67, v99, v98
	buffer_gl0_inv
	v_exp_f32_e32 v81, v81
	v_fmac_f32_e32 v67, v101, v89
	v_sub_f32_e32 v89, v96, v66
	s_delay_alu instid0(VALU_DEP_2) | instskip(NEXT) | instid1(VALU_DEP_2)
	v_fmac_f32_e32 v67, v102, v90
	v_mul_f32_e32 v89, 0x3fb8aa3b, v89
	s_delay_alu instid0(VALU_DEP_2) | instskip(NEXT) | instid1(VALU_DEP_2)
	v_fmac_f32_e32 v67, v97, v91
	v_exp_f32_e32 v89, v89
	s_delay_alu instid0(VALU_DEP_1)
	v_fmac_f32_e32 v67, v95, v92
	s_delay_alu instid0(TRANS32_DEP_2) | instid1(VALU_DEP_1)
	v_fmac_f32_e32 v67, v81, v93
	s_waitcnt_depctr 0xfff
	v_fmac_f32_e32 v67, v89, v94
	s_delay_alu instid0(VALU_DEP_1) | instskip(NEXT) | instid1(VALU_DEP_1)
	v_add_f32_e32 v90, 0x358637bd, v67
	v_div_scale_f32 v91, null, v90, v90, 1.0
	v_div_scale_f32 v94, s3, 1.0, v90, 1.0
	s_delay_alu instid0(VALU_DEP_2) | instskip(SKIP_2) | instid1(VALU_DEP_1)
	v_rcp_f32_e32 v92, v91
	s_waitcnt_depctr 0xfff
	v_fma_f32 v93, -v91, v92, 1.0
	v_dual_fmac_f32 v92, v93, v92 :: v_dual_cndmask_b32 v93, v100, v99
	v_cmp_eq_u32_e32 vcc_lo, 3, v65
	s_delay_alu instid0(VALU_DEP_2) | instskip(NEXT) | instid1(VALU_DEP_3)
	v_mul_f32_e32 v96, v94, v92
	v_cndmask_b32_e64 v93, v93, v101, s2
	v_cmp_eq_u32_e64 s2, 4, v65
	s_delay_alu instid0(VALU_DEP_3) | instskip(NEXT) | instid1(VALU_DEP_3)
	v_fma_f32 v98, -v91, v96, v94
	v_cndmask_b32_e32 v93, v93, v102, vcc_lo
	v_cmp_eq_u32_e32 vcc_lo, 5, v65
	s_delay_alu instid0(VALU_DEP_3) | instskip(NEXT) | instid1(VALU_DEP_3)
	v_fmac_f32_e32 v96, v98, v92
	v_cndmask_b32_e64 v93, v93, v97, s2
	v_cmp_eq_u32_e64 s2, 6, v65
	s_delay_alu instid0(VALU_DEP_3) | instskip(NEXT) | instid1(VALU_DEP_3)
	v_fma_f32 v91, -v91, v96, v94
	v_cndmask_b32_e32 v93, v93, v95, vcc_lo
	s_mov_b32 vcc_lo, s3
	s_delay_alu instid0(VALU_DEP_2) | instskip(NEXT) | instid1(VALU_DEP_2)
	v_div_fmas_f32 v91, v91, v92, v96
	v_cndmask_b32_e64 v81, v93, v81, s2
	s_mov_b32 s2, exec_lo
	s_delay_alu instid0(VALU_DEP_2) | instskip(NEXT) | instid1(VALU_DEP_2)
	v_div_fixup_f32 v90, v91, v90, 1.0
	v_cndmask_b32_e64 v81, v81, v89, s4
	s_delay_alu instid0(VALU_DEP_1) | instskip(NEXT) | instid1(VALU_DEP_1)
	v_mul_f32_e32 v81, v81, v90
	v_mul_f32_e32 v90, v81, v82
	;; [unrolled: 1-line block ×6, first 2 shown]
	v_dual_mul_f32 v86, v81, v83 :: v_dual_and_b32 v91, 0x7f800000, v90
	v_mul_f32_e32 v89, v81, v85
	v_mul_f32_e32 v85, v81, v77
                                        ; implicit-def: $vgpr77
	s_delay_alu instid0(VALU_DEP_3)
	v_cmpx_ne_u32_e32 0x7f800000, v91
	s_xor_b32 s2, exec_lo, s2
; %bb.13:
	v_bfe_u32 v77, v90, 16, 1
	s_delay_alu instid0(VALU_DEP_1)
	v_add3_u32 v77, v90, v77, 0x7fff
                                        ; implicit-def: $vgpr90
; %bb.14:
	s_and_not1_saveexec_b32 s2, s2
; %bb.15:
	v_and_b32_e32 v77, 0xffff, v90
	v_or_b32_e32 v83, 0x10000, v90
	s_delay_alu instid0(VALU_DEP_2) | instskip(NEXT) | instid1(VALU_DEP_2)
	v_cmp_eq_u32_e32 vcc_lo, 0, v77
	v_cndmask_b32_e32 v77, v83, v90, vcc_lo
; %bb.16:
	s_or_b32 exec_lo, exec_lo, s2
	v_and_b32_e32 v83, 0x7f800000, v85
	s_delay_alu instid0(VALU_DEP_1) | instskip(SKIP_1) | instid1(SALU_CYCLE_1)
	v_cmp_ne_u32_e32 vcc_lo, 0x7f800000, v83
                                        ; implicit-def: $vgpr83
	s_and_saveexec_b32 s2, vcc_lo
	s_xor_b32 s2, exec_lo, s2
; %bb.17:
	v_bfe_u32 v83, v85, 16, 1
	s_delay_alu instid0(VALU_DEP_1)
	v_add3_u32 v83, v85, v83, 0x7fff
                                        ; implicit-def: $vgpr85
; %bb.18:
	s_and_not1_saveexec_b32 s2, s2
; %bb.19:
	v_and_b32_e32 v83, 0xffff, v85
	v_or_b32_e32 v90, 0x10000, v85
	s_delay_alu instid0(VALU_DEP_2) | instskip(NEXT) | instid1(VALU_DEP_2)
	v_cmp_eq_u32_e32 vcc_lo, 0, v83
	v_cndmask_b32_e32 v83, v90, v85, vcc_lo
; %bb.20:
	s_or_b32 exec_lo, exec_lo, s2
	v_and_b32_e32 v85, 0x7f800000, v86
	s_delay_alu instid0(VALU_DEP_1) | instskip(SKIP_1) | instid1(SALU_CYCLE_1)
	v_cmp_ne_u32_e32 vcc_lo, 0x7f800000, v85
                                        ; implicit-def: $vgpr85
	s_and_saveexec_b32 s2, vcc_lo
	s_xor_b32 s2, exec_lo, s2
; %bb.21:
	v_bfe_u32 v85, v86, 16, 1
	s_delay_alu instid0(VALU_DEP_1)
	v_add3_u32 v85, v86, v85, 0x7fff
                                        ; implicit-def: $vgpr86
; %bb.22:
	s_and_not1_saveexec_b32 s2, s2
; %bb.23:
	v_and_b32_e32 v85, 0xffff, v86
	v_or_b32_e32 v90, 0x10000, v86
	s_delay_alu instid0(VALU_DEP_2) | instskip(NEXT) | instid1(VALU_DEP_2)
	v_cmp_eq_u32_e32 vcc_lo, 0, v85
	v_cndmask_b32_e32 v85, v90, v86, vcc_lo
; %bb.24:
	s_or_b32 exec_lo, exec_lo, s2
	v_and_b32_e32 v86, 0x7f800000, v89
	s_delay_alu instid0(VALU_DEP_1) | instskip(SKIP_1) | instid1(SALU_CYCLE_1)
	v_cmp_ne_u32_e32 vcc_lo, 0x7f800000, v86
                                        ; implicit-def: $vgpr86
	s_and_saveexec_b32 s2, vcc_lo
	s_xor_b32 s2, exec_lo, s2
; %bb.25:
	v_bfe_u32 v86, v89, 16, 1
	s_delay_alu instid0(VALU_DEP_1)
	v_add3_u32 v86, v89, v86, 0x7fff
                                        ; implicit-def: $vgpr89
; %bb.26:
	s_and_not1_saveexec_b32 s2, s2
; %bb.27:
	v_and_b32_e32 v86, 0xffff, v89
	v_or_b32_e32 v90, 0x10000, v89
	s_delay_alu instid0(VALU_DEP_2) | instskip(NEXT) | instid1(VALU_DEP_2)
	v_cmp_eq_u32_e32 vcc_lo, 0, v86
	v_cndmask_b32_e32 v86, v90, v89, vcc_lo
; %bb.28:
	s_or_b32 exec_lo, exec_lo, s2
	v_and_b32_e32 v89, 0x7f800000, v88
	s_delay_alu instid0(VALU_DEP_1) | instskip(SKIP_1) | instid1(SALU_CYCLE_1)
	v_cmp_ne_u32_e32 vcc_lo, 0x7f800000, v89
                                        ; implicit-def: $vgpr89
	s_and_saveexec_b32 s2, vcc_lo
	s_xor_b32 s2, exec_lo, s2
; %bb.29:
	v_bfe_u32 v89, v88, 16, 1
	s_delay_alu instid0(VALU_DEP_1)
	v_add3_u32 v89, v88, v89, 0x7fff
                                        ; implicit-def: $vgpr88
; %bb.30:
	s_and_not1_saveexec_b32 s2, s2
; %bb.31:
	v_and_b32_e32 v89, 0xffff, v88
	v_or_b32_e32 v90, 0x10000, v88
	s_delay_alu instid0(VALU_DEP_2) | instskip(NEXT) | instid1(VALU_DEP_2)
	v_cmp_eq_u32_e32 vcc_lo, 0, v89
	v_cndmask_b32_e32 v89, v90, v88, vcc_lo
; %bb.32:
	s_or_b32 exec_lo, exec_lo, s2
	v_and_b32_e32 v88, 0x7f800000, v87
	s_delay_alu instid0(VALU_DEP_1) | instskip(SKIP_1) | instid1(SALU_CYCLE_1)
	v_cmp_ne_u32_e32 vcc_lo, 0x7f800000, v88
                                        ; implicit-def: $vgpr88
	s_and_saveexec_b32 s2, vcc_lo
	s_xor_b32 s2, exec_lo, s2
; %bb.33:
	v_bfe_u32 v88, v87, 16, 1
	s_delay_alu instid0(VALU_DEP_1)
	v_add3_u32 v88, v87, v88, 0x7fff
                                        ; implicit-def: $vgpr87
; %bb.34:
	s_and_not1_saveexec_b32 s2, s2
; %bb.35:
	v_and_b32_e32 v88, 0xffff, v87
	v_or_b32_e32 v90, 0x10000, v87
	s_delay_alu instid0(VALU_DEP_2) | instskip(NEXT) | instid1(VALU_DEP_2)
	v_cmp_eq_u32_e32 vcc_lo, 0, v88
	v_cndmask_b32_e32 v88, v90, v87, vcc_lo
; %bb.36:
	s_or_b32 exec_lo, exec_lo, s2
	v_and_b32_e32 v87, 0x7f800000, v84
	s_delay_alu instid0(VALU_DEP_1) | instskip(SKIP_1) | instid1(SALU_CYCLE_1)
	v_cmp_ne_u32_e32 vcc_lo, 0x7f800000, v87
                                        ; implicit-def: $vgpr87
	s_and_saveexec_b32 s2, vcc_lo
	s_xor_b32 s2, exec_lo, s2
; %bb.37:
	v_bfe_u32 v87, v84, 16, 1
	s_delay_alu instid0(VALU_DEP_1)
	v_add3_u32 v87, v84, v87, 0x7fff
                                        ; implicit-def: $vgpr84
; %bb.38:
	s_and_not1_saveexec_b32 s2, s2
; %bb.39:
	v_and_b32_e32 v87, 0xffff, v84
	v_or_b32_e32 v90, 0x10000, v84
	s_delay_alu instid0(VALU_DEP_2) | instskip(NEXT) | instid1(VALU_DEP_2)
	v_cmp_eq_u32_e32 vcc_lo, 0, v87
	v_cndmask_b32_e32 v87, v90, v84, vcc_lo
; %bb.40:
	s_or_b32 exec_lo, exec_lo, s2
	v_and_b32_e32 v84, 0x7f800000, v82
	s_delay_alu instid0(VALU_DEP_1) | instskip(SKIP_1) | instid1(SALU_CYCLE_1)
	v_cmp_ne_u32_e32 vcc_lo, 0x7f800000, v84
                                        ; implicit-def: $vgpr84
	s_and_saveexec_b32 s2, vcc_lo
	s_xor_b32 s2, exec_lo, s2
; %bb.41:
	v_bfe_u32 v84, v82, 16, 1
	s_delay_alu instid0(VALU_DEP_1)
	v_add3_u32 v84, v82, v84, 0x7fff
                                        ; implicit-def: $vgpr82
; %bb.42:
	s_and_not1_saveexec_b32 s2, s2
; %bb.43:
	v_and_b32_e32 v84, 0xffff, v82
	v_or_b32_e32 v90, 0x10000, v82
	s_delay_alu instid0(VALU_DEP_2) | instskip(NEXT) | instid1(VALU_DEP_2)
	v_cmp_eq_u32_e32 vcc_lo, 0, v84
	v_cndmask_b32_e32 v84, v90, v82, vcc_lo
; %bb.44:
	s_or_b32 exec_lo, exec_lo, s2
	s_load_b64 s[34:35], s[0:1], 0x94
	v_lshlrev_b32_e32 v82, 4, v74
	s_delay_alu instid0(VALU_DEP_2)
	v_perm_b32 v90, v84, v87, 0x7060302
	v_lshlrev_b32_e32 v84, 11, v65
	v_perm_b32 v87, v83, v77, 0x7060302
	v_mul_f32_e32 v83, v81, v69
	v_mul_f32_e32 v69, v81, v80
	v_perm_b32 v89, v88, v89, 0x7060302
	v_perm_b32 v88, v86, v85, 0x7060302
	v_or3_b32 v77, v82, v84, v76
	v_mul_f32_e32 v79, v81, v79
	v_mul_f32_e32 v78, v81, v78
	v_and_b32_e32 v84, 0x7f800000, v83
	v_mul_f32_e32 v72, v81, v72
	v_mul_f32_e32 v82, v81, v71
	;; [unrolled: 1-line block ×4, first 2 shown]
	s_mov_b32 s2, exec_lo
	ds_store_b128 v77, v[87:90]
                                        ; implicit-def: $vgpr68
	v_cmpx_ne_u32_e32 0x7f800000, v84
	s_xor_b32 s2, exec_lo, s2
; %bb.45:
	v_bfe_u32 v68, v83, 16, 1
	s_delay_alu instid0(VALU_DEP_1)
	v_add3_u32 v68, v83, v68, 0x7fff
                                        ; implicit-def: $vgpr83
; %bb.46:
	s_and_not1_saveexec_b32 s2, s2
; %bb.47:
	v_and_b32_e32 v68, 0xffff, v83
	v_or_b32_e32 v70, 0x10000, v83
	s_delay_alu instid0(VALU_DEP_2) | instskip(NEXT) | instid1(VALU_DEP_2)
	v_cmp_eq_u32_e32 vcc_lo, 0, v68
	v_cndmask_b32_e32 v68, v70, v83, vcc_lo
; %bb.48:
	s_or_b32 exec_lo, exec_lo, s2
	v_and_b32_e32 v70, 0x7f800000, v71
	s_delay_alu instid0(VALU_DEP_1) | instskip(SKIP_1) | instid1(SALU_CYCLE_1)
	v_cmp_ne_u32_e32 vcc_lo, 0x7f800000, v70
                                        ; implicit-def: $vgpr70
	s_and_saveexec_b32 s2, vcc_lo
	s_xor_b32 s2, exec_lo, s2
; %bb.49:
	v_bfe_u32 v70, v71, 16, 1
	s_delay_alu instid0(VALU_DEP_1)
	v_add3_u32 v70, v71, v70, 0x7fff
                                        ; implicit-def: $vgpr71
; %bb.50:
	s_and_not1_saveexec_b32 s2, s2
; %bb.51:
	v_and_b32_e32 v70, 0xffff, v71
	v_or_b32_e32 v81, 0x10000, v71
	s_delay_alu instid0(VALU_DEP_2) | instskip(NEXT) | instid1(VALU_DEP_2)
	v_cmp_eq_u32_e32 vcc_lo, 0, v70
	v_cndmask_b32_e32 v70, v81, v71, vcc_lo
; %bb.52:
	s_or_b32 exec_lo, exec_lo, s2
	v_and_b32_e32 v71, 0x7f800000, v80
	s_delay_alu instid0(VALU_DEP_1) | instskip(SKIP_1) | instid1(SALU_CYCLE_1)
	v_cmp_ne_u32_e32 vcc_lo, 0x7f800000, v71
                                        ; implicit-def: $vgpr71
	s_and_saveexec_b32 s2, vcc_lo
	s_xor_b32 s2, exec_lo, s2
; %bb.53:
	v_bfe_u32 v71, v80, 16, 1
	s_delay_alu instid0(VALU_DEP_1)
	v_add3_u32 v71, v80, v71, 0x7fff
                                        ; implicit-def: $vgpr80
; %bb.54:
	s_and_not1_saveexec_b32 s2, s2
; %bb.55:
	v_and_b32_e32 v71, 0xffff, v80
	v_or_b32_e32 v81, 0x10000, v80
	s_delay_alu instid0(VALU_DEP_2) | instskip(NEXT) | instid1(VALU_DEP_2)
	v_cmp_eq_u32_e32 vcc_lo, 0, v71
	v_cndmask_b32_e32 v71, v81, v80, vcc_lo
; %bb.56:
	s_or_b32 exec_lo, exec_lo, s2
	v_and_b32_e32 v80, 0x7f800000, v82
	s_delay_alu instid0(VALU_DEP_1) | instskip(SKIP_1) | instid1(SALU_CYCLE_1)
	v_cmp_ne_u32_e32 vcc_lo, 0x7f800000, v80
                                        ; implicit-def: $vgpr80
	s_and_saveexec_b32 s2, vcc_lo
	s_xor_b32 s2, exec_lo, s2
; %bb.57:
	v_bfe_u32 v80, v82, 16, 1
	s_delay_alu instid0(VALU_DEP_1)
	v_add3_u32 v80, v82, v80, 0x7fff
                                        ; implicit-def: $vgpr82
; %bb.58:
	s_and_not1_saveexec_b32 s2, s2
; %bb.59:
	v_and_b32_e32 v80, 0xffff, v82
	v_or_b32_e32 v81, 0x10000, v82
	s_delay_alu instid0(VALU_DEP_2) | instskip(NEXT) | instid1(VALU_DEP_2)
	v_cmp_eq_u32_e32 vcc_lo, 0, v80
	v_cndmask_b32_e32 v80, v81, v82, vcc_lo
; %bb.60:
	s_or_b32 exec_lo, exec_lo, s2
	v_and_b32_e32 v81, 0x7f800000, v72
	s_delay_alu instid0(VALU_DEP_1) | instskip(SKIP_1) | instid1(SALU_CYCLE_1)
	v_cmp_ne_u32_e32 vcc_lo, 0x7f800000, v81
                                        ; implicit-def: $vgpr81
	s_and_saveexec_b32 s2, vcc_lo
	s_xor_b32 s2, exec_lo, s2
; %bb.61:
	v_bfe_u32 v81, v72, 16, 1
	s_delay_alu instid0(VALU_DEP_1)
	v_add3_u32 v81, v72, v81, 0x7fff
                                        ; implicit-def: $vgpr72
; %bb.62:
	s_and_not1_saveexec_b32 s2, s2
; %bb.63:
	v_and_b32_e32 v81, 0xffff, v72
	v_or_b32_e32 v82, 0x10000, v72
	s_delay_alu instid0(VALU_DEP_2) | instskip(NEXT) | instid1(VALU_DEP_2)
	v_cmp_eq_u32_e32 vcc_lo, 0, v81
	v_cndmask_b32_e32 v81, v82, v72, vcc_lo
; %bb.64:
	s_or_b32 exec_lo, exec_lo, s2
	v_and_b32_e32 v72, 0x7f800000, v78
	s_delay_alu instid0(VALU_DEP_1) | instskip(SKIP_1) | instid1(SALU_CYCLE_1)
	v_cmp_ne_u32_e32 vcc_lo, 0x7f800000, v72
                                        ; implicit-def: $vgpr72
	s_and_saveexec_b32 s2, vcc_lo
	s_xor_b32 s2, exec_lo, s2
; %bb.65:
	v_bfe_u32 v72, v78, 16, 1
	s_delay_alu instid0(VALU_DEP_1)
	v_add3_u32 v72, v78, v72, 0x7fff
                                        ; implicit-def: $vgpr78
; %bb.66:
	s_and_not1_saveexec_b32 s2, s2
; %bb.67:
	v_and_b32_e32 v72, 0xffff, v78
	v_or_b32_e32 v82, 0x10000, v78
	s_delay_alu instid0(VALU_DEP_2) | instskip(NEXT) | instid1(VALU_DEP_2)
	v_cmp_eq_u32_e32 vcc_lo, 0, v72
	v_cndmask_b32_e32 v72, v82, v78, vcc_lo
; %bb.68:
	s_or_b32 exec_lo, exec_lo, s2
	v_and_b32_e32 v78, 0x7f800000, v79
	s_delay_alu instid0(VALU_DEP_1) | instskip(SKIP_1) | instid1(SALU_CYCLE_1)
	v_cmp_ne_u32_e32 vcc_lo, 0x7f800000, v78
                                        ; implicit-def: $vgpr78
	s_and_saveexec_b32 s2, vcc_lo
	s_xor_b32 s2, exec_lo, s2
; %bb.69:
	v_bfe_u32 v78, v79, 16, 1
	s_delay_alu instid0(VALU_DEP_1)
	v_add3_u32 v78, v79, v78, 0x7fff
                                        ; implicit-def: $vgpr79
; %bb.70:
	s_and_not1_saveexec_b32 s2, s2
; %bb.71:
	v_and_b32_e32 v78, 0xffff, v79
	v_or_b32_e32 v82, 0x10000, v79
	s_delay_alu instid0(VALU_DEP_2) | instskip(NEXT) | instid1(VALU_DEP_2)
	v_cmp_eq_u32_e32 vcc_lo, 0, v78
	v_cndmask_b32_e32 v78, v82, v79, vcc_lo
; %bb.72:
	s_or_b32 exec_lo, exec_lo, s2
	v_and_b32_e32 v79, 0x7f800000, v69
	s_delay_alu instid0(VALU_DEP_1) | instskip(SKIP_1) | instid1(SALU_CYCLE_1)
	v_cmp_ne_u32_e32 vcc_lo, 0x7f800000, v79
                                        ; implicit-def: $vgpr79
	s_and_saveexec_b32 s2, vcc_lo
	s_xor_b32 s2, exec_lo, s2
; %bb.73:
	v_bfe_u32 v79, v69, 16, 1
	s_delay_alu instid0(VALU_DEP_1)
	v_add3_u32 v79, v69, v79, 0x7fff
                                        ; implicit-def: $vgpr69
; %bb.74:
	s_and_not1_saveexec_b32 s2, s2
; %bb.75:
	v_and_b32_e32 v79, 0xffff, v69
	v_or_b32_e32 v82, 0x10000, v69
	s_delay_alu instid0(VALU_DEP_2) | instskip(NEXT) | instid1(VALU_DEP_2)
	v_cmp_eq_u32_e32 vcc_lo, 0, v79
	v_cndmask_b32_e32 v79, v82, v69, vcc_lo
; %bb.76:
	s_or_b32 exec_lo, exec_lo, s2
	s_delay_alu instid0(VALU_DEP_1)
	v_perm_b32 v86, v79, v78, 0x7060302
	v_perm_b32 v85, v72, v81, 0x7060302
	;; [unrolled: 1-line block ×4, first 2 shown]
	v_lshl_or_b32 v82, v65, 11, v76
	v_lshlrev_b32_e32 v79, 2, v74
	ds_store_b128 v77, v[83:86] offset:1024
	s_waitcnt lgkmcnt(0)
	s_barrier
	buffer_gl0_inv
	ds_load_b128 v[68:71], v82
	ds_load_b128 v[83:86], v82 offset:16
	v_or_b32_e32 v80, 1, v79
	v_cmp_eq_u32_e32 vcc_lo, 1, v79
	v_cmp_eq_u32_e64 s3, 2, v79
	v_cmp_eq_u32_e64 s6, 3, v79
	;; [unrolled: 1-line block ×6, first 2 shown]
	v_or_b32_e32 v78, 2, v79
	v_cmp_eq_u32_e64 s9, 5, v79
	v_cmp_eq_u32_e64 s10, 4, v80
	;; [unrolled: 1-line block ×9, first 2 shown]
	s_waitcnt lgkmcnt(1)
	v_lshrrev_b32_e32 v65, 16, v68
	s_waitcnt lgkmcnt(0)
	v_lshrrev_b32_e32 v91, 16, v83
	v_lshrrev_b32_e32 v72, 16, v69
	;; [unrolled: 1-line block ×4, first 2 shown]
	v_cndmask_b32_e32 v81, v68, v65, vcc_lo
	v_cndmask_b32_e32 v87, v83, v91, vcc_lo
	v_cndmask_b32_e64 v88, v68, v65, s2
	v_lshrrev_b32_e32 v98, 16, v85
	v_cndmask_b32_e64 v89, v83, v91, s2
	v_cndmask_b32_e64 v81, v81, v69, s3
	v_cndmask_b32_e64 v87, v87, v84, s3
	v_cndmask_b32_e64 v88, v88, v69, s5
	v_lshrrev_b32_e32 v96, 16, v71
	v_cndmask_b32_e64 v89, v89, v84, s5
	v_cndmask_b32_e64 v81, v81, v72, s6
	v_cndmask_b32_e64 v87, v87, v97, s6
	;; [unrolled: 5-line block ×3, first 2 shown]
	v_cndmask_b32_e64 v88, v88, v70, s10
	v_cndmask_b32_e64 v89, v89, v97, s7
	v_cmp_eq_u32_e64 s18, 3, v78
	v_cndmask_b32_e64 v81, v81, v95, s9
	v_cndmask_b32_e64 v87, v87, v98, s9
	;; [unrolled: 1-line block ×4, first 2 shown]
	v_cmp_eq_u32_e64 s19, 4, v78
	v_cndmask_b32_e64 v81, v81, v71, s11
	v_cndmask_b32_e64 v87, v87, v86, s11
	;; [unrolled: 1-line block ×3, first 2 shown]
	v_cmp_eq_u32_e64 s21, 5, v78
	v_cmp_eq_u32_e64 s23, 6, v78
	v_cndmask_b32_e64 v100, v81, v96, s13
	v_cndmask_b32_e64 v101, v87, v99, s13
	;; [unrolled: 1-line block ×6, first 2 shown]
	v_cmp_eq_u32_e64 s26, 7, v78
	v_cndmask_b32_e64 v89, v81, v72, s18
	v_cndmask_b32_e64 v87, v87, v84, s16
	v_or_b32_e32 v81, 3, v79
	v_cndmask_b32_e64 v103, v88, v86, s15
	s_delay_alu instid0(VALU_DEP_4) | instskip(NEXT) | instid1(VALU_DEP_4)
	v_cndmask_b32_e64 v92, v89, v70, s19
	v_cndmask_b32_e64 v93, v87, v97, s18
	s_delay_alu instid0(VALU_DEP_4)
	v_cmp_eq_u32_e64 s20, 1, v81
	ds_load_b128 v[87:90], v82 offset:1024
	v_cmp_eq_u32_e64 s22, 2, v81
	v_cndmask_b32_e64 v104, v92, v95, s21
	v_cmp_eq_u32_e64 s24, 3, v81
	v_cndmask_b32_e64 v65, v68, v65, s20
	v_cndmask_b32_e64 v68, v93, v85, s19
	;; [unrolled: 1-line block ×3, first 2 shown]
	ds_load_b128 v[91:94], v82 offset:1040
	v_cmp_eq_u32_e64 s25, 4, v81
	v_cndmask_b32_e64 v65, v65, v69, s22
	v_cmp_eq_u32_e64 s27, 5, v81
	v_cndmask_b32_e64 v69, v83, v84, s22
	;; [unrolled: 2-line block ×3, first 2 shown]
	v_cndmask_b32_e64 v65, v65, v72, s24
	v_cndmask_b32_e64 v72, v104, v71, s23
	;; [unrolled: 1-line block ×6, first 2 shown]
	s_waitcnt lgkmcnt(1)
	v_lshrrev_b32_e32 v84, 16, v87
	v_cndmask_b32_e64 v69, v69, v85, s25
	v_cndmask_b32_e64 v70, v72, v96, s26
	;; [unrolled: 1-line block ×4, first 2 shown]
	v_cndmask_b32_e32 v72, v87, v84, vcc_lo
	v_cndmask_b32_e64 v69, v69, v98, s27
	s_waitcnt lgkmcnt(0)
	v_lshrrev_b32_e32 v85, 16, v91
	v_lshrrev_b32_e32 v95, 16, v88
	v_cndmask_b32_e64 v97, v87, v84, s2
	v_cndmask_b32_e64 v72, v72, v88, s3
	;; [unrolled: 1-line block ×3, first 2 shown]
	v_cndmask_b32_e32 v98, v91, v85, vcc_lo
	v_cmp_eq_u32_e32 vcc_lo, 7, v81
	v_cndmask_b32_e64 v69, v69, v86, s28
	v_cndmask_b32_e64 v71, v72, v95, s6
	;; [unrolled: 1-line block ×3, first 2 shown]
	v_lshrrev_b32_e32 v97, 16, v92
	v_cndmask_b32_e32 v65, v65, v96, vcc_lo
	v_cndmask_b32_e64 v86, v98, v92, s3
	v_cndmask_b32_e32 v69, v69, v99, vcc_lo
	v_lshrrev_b32_e32 v99, 16, v93
	v_cndmask_b32_e64 v71, v71, v89, s8
	v_lshrrev_b32_e32 v98, 16, v89
	v_cndmask_b32_e64 v86, v86, v97, s6
	v_perm_b32 v70, v68, v70, 0x5040100
	v_cndmask_b32_e64 v72, v72, v95, s7
	s_delay_alu instid0(VALU_DEP_4) | instskip(NEXT) | instid1(VALU_DEP_4)
	v_cndmask_b32_e64 v96, v71, v98, s9
	v_cndmask_b32_e64 v86, v86, v93, s8
	v_perm_b32 v71, v69, v65, 0x5040100
	v_perm_b32 v69, v83, v102, 0x5040100
	v_cndmask_b32_e64 v102, v91, v85, s4
	v_cndmask_b32_e64 v72, v72, v89, s10
	v_cndmask_b32_e64 v86, v86, v99, s9
	v_lshrrev_b32_e32 v83, 16, v94
	s_delay_alu instid0(VALU_DEP_3) | instskip(NEXT) | instid1(VALU_DEP_3)
	v_cndmask_b32_e64 v65, v72, v98, s12
	v_cndmask_b32_e64 v68, v86, v94, s11
	;; [unrolled: 1-line block ×27, first 2 shown]
	v_lshrrev_b32_e32 v96, 16, v90
	v_cndmask_b32_e64 v65, v65, v90, s15
	v_cndmask_b32_e64 v86, v86, v90, s23
	;; [unrolled: 1-line block ×9, first 2 shown]
	v_cndmask_b32_e32 v84, v84, v96, vcc_lo
	v_cndmask_b32_e32 v86, v87, v83, vcc_lo
	v_cndmask_b32_e64 v87, v88, v83, s26
	v_cndmask_b32_e64 v88, v85, v83, s17
	;; [unrolled: 1-line block ×3, first 2 shown]
	v_perm_b32 v68, v101, v100, 0x5040100
	v_perm_b32 v86, v86, v84, 0x5040100
	;; [unrolled: 1-line block ×5, first 2 shown]
	s_lshl_b32 s7, s35, 4
	s_mov_b32 s2, exec_lo
	ds_store_b128 v77, v[68:71]
	ds_store_b128 v77, v[83:86] offset:1024
	v_cmpx_gt_u32_e32 16, v0
	s_cbranch_execz .LBB1521_78
; %bb.77:
	v_or_b32_e32 v65, s29, v0
	s_load_b128 s[8:11], s[0:1], 0x58
	s_delay_alu instid0(VALU_DEP_1) | instskip(NEXT) | instid1(VALU_DEP_1)
	v_mad_u64_u32 v[68:69], null, s7, s30, v[65:66]
	v_mad_u64_u32 v[69:70], null, v68, s34, s[14:15]
	s_delay_alu instid0(VALU_DEP_1) | instskip(NEXT) | instid1(VALU_DEP_1)
	v_ashrrev_i32_e32 v70, 31, v69
	v_lshlrev_b64 v[68:69], 2, v[69:70]
	s_waitcnt lgkmcnt(0)
	s_delay_alu instid0(VALU_DEP_1) | instskip(NEXT) | instid1(VALU_DEP_2)
	v_add_co_u32 v70, vcc_lo, s10, v68
	v_add_co_ci_u32_e32 v71, vcc_lo, s11, v69, vcc_lo
	v_add_co_u32 v68, vcc_lo, s8, v68
	v_add_co_ci_u32_e32 v69, vcc_lo, s9, v69, vcc_lo
	global_store_b32 v[70:71], v66, off
	global_store_b32 v[68:69], v67, off
.LBB1521_78:
	s_or_b32 exec_lo, exec_lo, s2
	s_waitcnt lgkmcnt(0)
	s_waitcnt_vscnt null, 0x0
	s_barrier
	buffer_gl0_inv
	ds_load_b128 v[83:86], v76
	ds_load_b128 v[87:90], v76 offset:16
	ds_load_b128 v[95:98], v76 offset:2064
	;; [unrolled: 1-line block ×3, first 2 shown]
	v_mov_b32_e32 v65, 0
	ds_load_b128 v[103:106], v76 offset:4112
	ds_load_b128 v[99:102], v76 offset:4096
	;; [unrolled: 1-line block ×4, first 2 shown]
	v_mov_b32_e32 v66, v65
	v_mov_b32_e32 v67, v65
	;; [unrolled: 1-line block ×7, first 2 shown]
	s_waitcnt lgkmcnt(6)
	s_delay_alu instid0(VALU_DEP_1)
	v_wmma_f32_16x16x16_bf16 v[65:72], v[49:56], v[83:90], v[65:72]
	ds_load_b128 v[53:56], v76 offset:8208
	ds_load_b128 v[49:52], v76 offset:8192
	s_waitcnt lgkmcnt(6)
	v_wmma_f32_16x16x16_bf16 v[65:72], v[41:48], v[91:98], v[65:72]
	ds_load_b128 v[45:48], v76 offset:10256
	ds_load_b128 v[41:44], v76 offset:10240
	s_waitcnt lgkmcnt(6)
	;; [unrolled: 4-line block ×4, first 2 shown]
	v_wmma_f32_16x16x16_bf16 v[65:72], v[1:8], v[49:56], v[65:72]
	s_waitcnt lgkmcnt(4)
	s_delay_alu instid0(VALU_DEP_1) | instskip(SKIP_1) | instid1(VALU_DEP_1)
	v_wmma_f32_16x16x16_bf16 v[65:72], v[9:16], v[41:48], v[65:72]
	s_waitcnt lgkmcnt(2)
	v_wmma_f32_16x16x16_bf16 v[65:72], v[17:24], v[33:40], v[65:72]
	s_waitcnt lgkmcnt(0)
	s_delay_alu instid0(VALU_DEP_1) | instskip(NEXT) | instid1(VALU_DEP_1)
	v_wmma_f32_16x16x16_bf16 v[65:72], v[57:64], v[25:32], v[65:72]
	v_and_b32_e32 v1, 0x7f800000, v65
	s_delay_alu instid0(VALU_DEP_1) | instskip(SKIP_1) | instid1(SALU_CYCLE_1)
	v_cmp_ne_u32_e32 vcc_lo, 0x7f800000, v1
                                        ; implicit-def: $vgpr1
	s_and_saveexec_b32 s2, vcc_lo
	s_xor_b32 s2, exec_lo, s2
; %bb.79:
	v_bfe_u32 v1, v65, 16, 1
	s_delay_alu instid0(VALU_DEP_1)
	v_add3_u32 v1, v65, v1, 0x7fff
; %bb.80:
	s_and_not1_saveexec_b32 s2, s2
; %bb.81:
	v_and_b32_e32 v1, 0xffff, v65
	v_or_b32_e32 v2, 0x10000, v65
	s_delay_alu instid0(VALU_DEP_2) | instskip(NEXT) | instid1(VALU_DEP_2)
	v_cmp_eq_u32_e32 vcc_lo, 0, v1
	v_cndmask_b32_e32 v1, v2, v65, vcc_lo
; %bb.82:
	s_or_b32 exec_lo, exec_lo, s2
	v_and_b32_e32 v2, 0x7f800000, v66
	s_delay_alu instid0(VALU_DEP_1) | instskip(SKIP_1) | instid1(SALU_CYCLE_1)
	v_cmp_ne_u32_e32 vcc_lo, 0x7f800000, v2
                                        ; implicit-def: $vgpr2
	s_and_saveexec_b32 s2, vcc_lo
	s_xor_b32 s2, exec_lo, s2
; %bb.83:
	v_bfe_u32 v2, v66, 16, 1
	s_delay_alu instid0(VALU_DEP_1)
	v_add3_u32 v2, v66, v2, 0x7fff
; %bb.84:
	s_and_not1_saveexec_b32 s2, s2
; %bb.85:
	v_and_b32_e32 v2, 0xffff, v66
	v_or_b32_e32 v3, 0x10000, v66
	s_delay_alu instid0(VALU_DEP_2) | instskip(NEXT) | instid1(VALU_DEP_2)
	v_cmp_eq_u32_e32 vcc_lo, 0, v2
	v_cndmask_b32_e32 v2, v3, v66, vcc_lo
; %bb.86:
	s_or_b32 exec_lo, exec_lo, s2
	v_and_b32_e32 v3, 0x7f800000, v67
	s_delay_alu instid0(VALU_DEP_1) | instskip(SKIP_1) | instid1(SALU_CYCLE_1)
	v_cmp_ne_u32_e32 vcc_lo, 0x7f800000, v3
                                        ; implicit-def: $vgpr3
	s_and_saveexec_b32 s2, vcc_lo
	s_xor_b32 s2, exec_lo, s2
; %bb.87:
	v_bfe_u32 v3, v67, 16, 1
	s_delay_alu instid0(VALU_DEP_1)
	v_add3_u32 v3, v67, v3, 0x7fff
; %bb.88:
	s_and_not1_saveexec_b32 s2, s2
; %bb.89:
	v_and_b32_e32 v3, 0xffff, v67
	v_or_b32_e32 v4, 0x10000, v67
	s_delay_alu instid0(VALU_DEP_2) | instskip(NEXT) | instid1(VALU_DEP_2)
	v_cmp_eq_u32_e32 vcc_lo, 0, v3
	v_cndmask_b32_e32 v3, v4, v67, vcc_lo
; %bb.90:
	s_or_b32 exec_lo, exec_lo, s2
	v_and_b32_e32 v4, 0x7f800000, v68
	s_delay_alu instid0(VALU_DEP_1) | instskip(SKIP_1) | instid1(SALU_CYCLE_1)
	v_cmp_ne_u32_e32 vcc_lo, 0x7f800000, v4
                                        ; implicit-def: $vgpr4
	s_and_saveexec_b32 s2, vcc_lo
	s_xor_b32 s2, exec_lo, s2
; %bb.91:
	v_bfe_u32 v4, v68, 16, 1
	s_delay_alu instid0(VALU_DEP_1)
	v_add3_u32 v4, v68, v4, 0x7fff
; %bb.92:
	s_and_not1_saveexec_b32 s2, s2
; %bb.93:
	v_and_b32_e32 v4, 0xffff, v68
	v_or_b32_e32 v5, 0x10000, v68
	s_delay_alu instid0(VALU_DEP_2) | instskip(NEXT) | instid1(VALU_DEP_2)
	v_cmp_eq_u32_e32 vcc_lo, 0, v4
	v_cndmask_b32_e32 v4, v5, v68, vcc_lo
; %bb.94:
	s_or_b32 exec_lo, exec_lo, s2
	v_and_b32_e32 v5, 0x7f800000, v69
	s_delay_alu instid0(VALU_DEP_1) | instskip(SKIP_1) | instid1(SALU_CYCLE_1)
	v_cmp_ne_u32_e32 vcc_lo, 0x7f800000, v5
                                        ; implicit-def: $vgpr5
	s_and_saveexec_b32 s2, vcc_lo
	s_xor_b32 s2, exec_lo, s2
; %bb.95:
	v_bfe_u32 v5, v69, 16, 1
	s_delay_alu instid0(VALU_DEP_1)
	v_add3_u32 v5, v69, v5, 0x7fff
; %bb.96:
	s_and_not1_saveexec_b32 s2, s2
; %bb.97:
	v_and_b32_e32 v5, 0xffff, v69
	v_or_b32_e32 v6, 0x10000, v69
	s_delay_alu instid0(VALU_DEP_2) | instskip(NEXT) | instid1(VALU_DEP_2)
	v_cmp_eq_u32_e32 vcc_lo, 0, v5
	v_cndmask_b32_e32 v5, v6, v69, vcc_lo
; %bb.98:
	s_or_b32 exec_lo, exec_lo, s2
	v_and_b32_e32 v6, 0x7f800000, v70
	s_delay_alu instid0(VALU_DEP_1) | instskip(SKIP_1) | instid1(SALU_CYCLE_1)
	v_cmp_ne_u32_e32 vcc_lo, 0x7f800000, v6
                                        ; implicit-def: $vgpr6
	s_and_saveexec_b32 s2, vcc_lo
	s_xor_b32 s2, exec_lo, s2
; %bb.99:
	v_bfe_u32 v6, v70, 16, 1
	s_delay_alu instid0(VALU_DEP_1)
	v_add3_u32 v6, v70, v6, 0x7fff
; %bb.100:
	s_and_not1_saveexec_b32 s2, s2
; %bb.101:
	v_and_b32_e32 v6, 0xffff, v70
	v_or_b32_e32 v7, 0x10000, v70
	s_delay_alu instid0(VALU_DEP_2) | instskip(NEXT) | instid1(VALU_DEP_2)
	v_cmp_eq_u32_e32 vcc_lo, 0, v6
	v_cndmask_b32_e32 v6, v7, v70, vcc_lo
; %bb.102:
	s_or_b32 exec_lo, exec_lo, s2
	v_and_b32_e32 v7, 0x7f800000, v71
	s_delay_alu instid0(VALU_DEP_1) | instskip(SKIP_1) | instid1(SALU_CYCLE_1)
	v_cmp_ne_u32_e32 vcc_lo, 0x7f800000, v7
                                        ; implicit-def: $vgpr7
	s_and_saveexec_b32 s2, vcc_lo
	s_xor_b32 s2, exec_lo, s2
; %bb.103:
	v_bfe_u32 v7, v71, 16, 1
	s_delay_alu instid0(VALU_DEP_1)
	v_add3_u32 v7, v71, v7, 0x7fff
; %bb.104:
	s_and_not1_saveexec_b32 s2, s2
; %bb.105:
	v_and_b32_e32 v7, 0xffff, v71
	v_or_b32_e32 v8, 0x10000, v71
	s_delay_alu instid0(VALU_DEP_2) | instskip(NEXT) | instid1(VALU_DEP_2)
	v_cmp_eq_u32_e32 vcc_lo, 0, v7
	v_cndmask_b32_e32 v7, v8, v71, vcc_lo
; %bb.106:
	s_or_b32 exec_lo, exec_lo, s2
	v_and_b32_e32 v8, 0x7f800000, v72
	s_delay_alu instid0(VALU_DEP_1) | instskip(SKIP_1) | instid1(SALU_CYCLE_1)
	v_cmp_ne_u32_e32 vcc_lo, 0x7f800000, v8
                                        ; implicit-def: $vgpr8
	s_and_saveexec_b32 s2, vcc_lo
	s_xor_b32 s2, exec_lo, s2
; %bb.107:
	v_bfe_u32 v8, v72, 16, 1
	s_delay_alu instid0(VALU_DEP_1)
	v_add3_u32 v8, v72, v8, 0x7fff
                                        ; implicit-def: $vgpr65_vgpr66_vgpr67_vgpr68_vgpr69_vgpr70_vgpr71_vgpr72
; %bb.108:
	s_and_not1_saveexec_b32 s2, s2
; %bb.109:
	v_and_b32_e32 v8, 0xffff, v72
	v_or_b32_e32 v9, 0x10000, v72
	s_delay_alu instid0(VALU_DEP_2) | instskip(NEXT) | instid1(VALU_DEP_2)
	v_cmp_eq_u32_e32 vcc_lo, 0, v8
	v_cndmask_b32_e32 v8, v9, v72, vcc_lo
; %bb.110:
	s_or_b32 exec_lo, exec_lo, s2
	s_delay_alu instid0(VALU_DEP_1)
	v_perm_b32 v7, v8, v7, 0x7060302
	v_perm_b32 v6, v6, v5, 0x7060302
	;; [unrolled: 1-line block ×4, first 2 shown]
	s_barrier
	buffer_gl0_inv
	v_cmp_eq_u32_e32 vcc_lo, 1, v79
	ds_store_b128 v77, v[4:7]
	s_waitcnt lgkmcnt(0)
	s_barrier
	buffer_gl0_inv
	ds_load_b128 v[1:4], v82
	ds_load_b128 v[5:8], v82 offset:16
	v_cmp_eq_u32_e64 s2, 1, v80
	v_cmp_eq_u32_e64 s3, 2, v79
	;; [unrolled: 1-line block ×5, first 2 shown]
	s_waitcnt lgkmcnt(1)
	v_lshrrev_b32_e32 v9, 16, v1
	s_waitcnt lgkmcnt(0)
	v_lshrrev_b32_e32 v13, 16, v5
	v_lshrrev_b32_e32 v10, 16, v2
	;; [unrolled: 1-line block ×4, first 2 shown]
	v_cndmask_b32_e64 v19, v1, v9, s2
	v_cndmask_b32_e32 v18, v5, v13, vcc_lo
	v_cndmask_b32_e64 v20, v5, v13, s2
	v_cndmask_b32_e32 v17, v1, v9, vcc_lo
	v_cmp_eq_u32_e32 vcc_lo, 2, v80
	v_lshrrev_b32_e32 v15, 16, v7
	v_cmp_eq_u32_e64 s2, 1, v78
	v_lshrrev_b32_e32 v12, 16, v4
	v_lshrrev_b32_e32 v16, 16, v8
	v_cndmask_b32_e32 v20, v20, v6, vcc_lo
	v_cndmask_b32_e64 v17, v17, v2, s3
	v_cndmask_b32_e32 v19, v19, v2, vcc_lo
	v_cndmask_b32_e64 v18, v18, v6, s3
	v_cmp_eq_u32_e32 vcc_lo, 4, v79
	v_cmp_eq_u32_e64 s3, 3, v80
	v_cndmask_b32_e64 v17, v17, v10, s4
	v_cndmask_b32_e64 v21, v1, v9, s2
	v_cndmask_b32_e64 v18, v18, v14, s4
	v_cndmask_b32_e64 v22, v5, v13, s2
	v_cndmask_b32_e64 v19, v19, v10, s3
	v_cndmask_b32_e32 v17, v17, v3, vcc_lo
	v_cndmask_b32_e64 v20, v20, v14, s3
	v_cndmask_b32_e32 v18, v18, v7, vcc_lo
	v_cmp_eq_u32_e32 vcc_lo, 4, v80
	v_cmp_eq_u32_e64 s3, 5, v80
	v_cmp_eq_u32_e64 s2, 2, v81
	v_cndmask_b32_e64 v21, v21, v2, s6
	v_cmp_eq_u32_e64 s4, 5, v79
	v_cndmask_b32_e32 v19, v19, v3, vcc_lo
	v_cndmask_b32_e32 v20, v20, v7, vcc_lo
	v_cmp_eq_u32_e32 vcc_lo, 6, v80
	s_delay_alu instid0(VALU_DEP_4) | instskip(NEXT) | instid1(VALU_DEP_4)
	v_cndmask_b32_e64 v17, v17, v11, s4
	v_cndmask_b32_e64 v19, v19, v11, s3
	s_delay_alu instid0(VALU_DEP_4) | instskip(SKIP_1) | instid1(VALU_DEP_3)
	v_cndmask_b32_e64 v20, v20, v15, s3
	v_cmp_eq_u32_e64 s3, 1, v81
	v_cndmask_b32_e32 v19, v19, v4, vcc_lo
	v_cndmask_b32_e64 v18, v18, v15, s4
	s_delay_alu instid0(VALU_DEP_3)
	v_cndmask_b32_e64 v1, v1, v9, s3
	v_cndmask_b32_e64 v5, v5, v13, s3
	v_cmp_eq_u32_e64 s3, 3, v78
	v_cndmask_b32_e64 v13, v22, v6, s6
	v_cmp_eq_u32_e64 s6, 3, v81
	v_cndmask_b32_e64 v1, v1, v2, s2
	v_cndmask_b32_e64 v2, v5, v6, s2
	;; [unrolled: 1-line block ×3, first 2 shown]
	v_cmp_eq_u32_e64 s2, 4, v78
	v_cndmask_b32_e64 v6, v13, v14, s3
	v_cndmask_b32_e64 v1, v1, v10, s6
	v_cmp_eq_u32_e64 s3, 4, v81
	v_cndmask_b32_e64 v2, v2, v14, s6
	v_cndmask_b32_e64 v5, v9, v3, s2
	;; [unrolled: 3-line block ×3, first 2 shown]
	v_cndmask_b32_e64 v2, v2, v7, s3
	v_cmp_eq_u32_e64 s2, 5, v81
	v_cmp_eq_u32_e64 s4, 6, v79
	v_cndmask_b32_e64 v5, v5, v11, s6
	v_cmp_eq_u32_e64 s3, 6, v78
	v_cndmask_b32_e64 v3, v6, v15, s6
	v_cndmask_b32_e64 v1, v1, v11, s2
	v_cmp_eq_u32_e64 s6, 6, v81
	v_cndmask_b32_e64 v2, v2, v15, s2
	v_cndmask_b32_e64 v17, v17, v4, s4
	v_cndmask_b32_e64 v18, v18, v8, s4
	v_cmp_eq_u32_e64 s4, 7, v79
	v_cndmask_b32_e64 v5, v5, v4, s3
	;; [unrolled: 4-line block ×3, first 2 shown]
	v_cmp_eq_u32_e64 s3, 7, v78
	v_cndmask_b32_e32 v4, v20, v8, vcc_lo
	v_cndmask_b32_e64 v17, v17, v12, s4
	v_cndmask_b32_e64 v19, v19, v12, s5
	v_cndmask_b32_e64 v1, v1, v12, s2
	v_cndmask_b32_e64 v5, v5, v12, s3
	v_cndmask_b32_e64 v2, v2, v16, s2
	v_cndmask_b32_e64 v3, v3, v16, s3
	v_cndmask_b32_e64 v6, v4, v16, s5
	v_cndmask_b32_e64 v7, v18, v16, s4
	s_mov_b32 s2, exec_lo
	v_perm_b32 v4, v2, v1, 0x5040100
	v_perm_b32 v3, v3, v5, 0x5040100
	;; [unrolled: 1-line block ×4, first 2 shown]
	ds_store_b128 v77, v[1:4]
	s_waitcnt lgkmcnt(0)
	s_barrier
	buffer_gl0_inv
	v_cmpx_gt_u32_e32 32, v0
	s_cbranch_execz .LBB1521_2
; %bb.111:
	s_load_b64 s[0:1], s[0:1], 0x68
	v_lshlrev_b32_e32 v0, 10, v0
	s_lshl_b32 s4, s34, 7
	v_or_b32_e32 v23, s29, v74
	s_mul_i32 s2, s4, s30
	v_lshlrev_b32_e32 v1, 4, v75
	v_lshlrev_b32_e32 v2, 6, v74
	s_mul_i32 s2, s2, s7
	v_and_b32_e32 v0, 0x3800, v0
	v_mul_lo_u32 v8, v23, s4
	s_ashr_i32 s3, s2, 31
	v_or_b32_e32 v3, 2, v23
	s_lshl_b64 s[2:3], s[2:3], 1
	v_or3_b32 v27, v0, v1, v2
	v_or_b32_e32 v11, 4, v23
	v_or_b32_e32 v18, 6, v23
	v_mul_lo_u32 v10, v3, s4
	v_ashrrev_i32_e32 v9, 31, v8
	ds_load_b128 v[0:3], v27
	ds_load_b128 v[4:7], v27 offset:128
	v_mul_lo_u32 v12, v11, s4
	s_waitcnt lgkmcnt(0)
	s_add_u32 s2, s0, s2
	s_addc_u32 s3, s1, s3
	s_lshl_b32 s0, s14, 7
	v_lshlrev_b64 v[8:9], 1, v[8:9]
	s_ashr_i32 s1, s0, 31
	v_ashrrev_i32_e32 v11, 31, v10
	s_lshl_b64 s[0:1], s[0:1], 1
	v_ashrrev_i32_e32 v13, 31, v12
	s_add_u32 s0, s2, s0
	s_addc_u32 s1, s3, s1
	v_add_co_u32 v30, s0, s0, v73
	s_delay_alu instid0(VALU_DEP_1) | instskip(SKIP_1) | instid1(VALU_DEP_3)
	v_add_co_ci_u32_e64 v31, null, s1, 0, s0
	v_lshlrev_b64 v[16:17], 1, v[10:11]
	v_add_co_u32 v14, vcc_lo, v30, v8
	s_delay_alu instid0(VALU_DEP_3)
	v_add_co_ci_u32_e32 v15, vcc_lo, v31, v9, vcc_lo
	ds_load_b128 v[8:11], v27 offset:256
	v_mul_lo_u32 v18, v18, s4
	v_or_b32_e32 v19, 8, v23
	v_add_co_u32 v16, vcc_lo, v30, v16
	global_store_b128 v[14:15], v[0:3], off
	v_lshlrev_b64 v[0:1], 1, v[12:13]
	v_add_co_ci_u32_e32 v17, vcc_lo, v31, v17, vcc_lo
	v_mul_lo_u32 v12, v19, s4
	v_ashrrev_i32_e32 v19, 31, v18
	v_or_b32_e32 v14, 10, v23
	global_store_b128 v[16:17], v[4:7], off
	v_add_co_u32 v4, vcc_lo, v30, v0
	v_add_co_ci_u32_e32 v5, vcc_lo, v31, v1, vcc_lo
	ds_load_b128 v[0:3], v27 offset:384
	v_ashrrev_i32_e32 v13, 31, v12
	v_lshlrev_b64 v[6:7], 1, v[18:19]
	v_mul_lo_u32 v14, v14, s4
	s_waitcnt lgkmcnt(1)
	global_store_b128 v[4:5], v[8:11], off
	v_or_b32_e32 v8, 12, v23
	v_lshlrev_b64 v[4:5], 1, v[12:13]
	v_add_co_u32 v20, vcc_lo, v30, v6
	v_or_b32_e32 v6, 14, v23
	v_ashrrev_i32_e32 v15, 31, v14
	v_mul_lo_u32 v22, v8, s4
	v_add_co_ci_u32_e32 v21, vcc_lo, v31, v7, vcc_lo
	v_add_co_u32 v24, vcc_lo, v30, v4
	v_mul_lo_u32 v26, v6, s4
	v_add_co_ci_u32_e32 v25, vcc_lo, v31, v5, vcc_lo
	v_lshlrev_b64 v[28:29], 1, v[14:15]
	ds_load_b128 v[4:7], v27 offset:512
	ds_load_b128 v[8:11], v27 offset:640
	;; [unrolled: 1-line block ×4, first 2 shown]
	v_ashrrev_i32_e32 v23, 31, v22
	v_ashrrev_i32_e32 v27, 31, v26
	v_add_co_u32 v28, vcc_lo, v30, v28
	s_delay_alu instid0(VALU_DEP_3) | instskip(SKIP_1) | instid1(VALU_DEP_4)
	v_lshlrev_b64 v[22:23], 1, v[22:23]
	v_add_co_ci_u32_e32 v29, vcc_lo, v31, v29, vcc_lo
	v_lshlrev_b64 v[26:27], 1, v[26:27]
	s_delay_alu instid0(VALU_DEP_3) | instskip(NEXT) | instid1(VALU_DEP_4)
	v_add_co_u32 v22, vcc_lo, v30, v22
	v_add_co_ci_u32_e32 v23, vcc_lo, v31, v23, vcc_lo
	s_delay_alu instid0(VALU_DEP_3) | instskip(NEXT) | instid1(VALU_DEP_4)
	v_add_co_u32 v26, vcc_lo, v30, v26
	v_add_co_ci_u32_e32 v27, vcc_lo, v31, v27, vcc_lo
	s_waitcnt lgkmcnt(4)
	global_store_b128 v[20:21], v[0:3], off
	s_waitcnt lgkmcnt(3)
	global_store_b128 v[24:25], v[4:7], off
	;; [unrolled: 2-line block ×5, first 2 shown]
	s_nop 0
	s_sendmsg sendmsg(MSG_DEALLOC_VGPRS)
	s_endpgm
	.section	.rodata,"a",@progbits
	.p2align	6, 0x0
	.amdhsa_kernel _Z39paged_attention_ll4mi_QKV_mfma16_kernelI14__hip_bfloat16hLN4vllm18Fp8KVCacheDataTypeE1EhLi16ELi128ELi256ELb1ELi16EL8MFMAType1EEvPKT_PKT0_S9_ifPKiSB_SB_iPKfiiiPfSE_PS4_PT2_iSD_SD_
		.amdhsa_group_segment_fixed_size 17472
		.amdhsa_private_segment_fixed_size 0
		.amdhsa_kernarg_size 400
		.amdhsa_user_sgpr_count 13
		.amdhsa_user_sgpr_dispatch_ptr 0
		.amdhsa_user_sgpr_queue_ptr 0
		.amdhsa_user_sgpr_kernarg_segment_ptr 1
		.amdhsa_user_sgpr_dispatch_id 0
		.amdhsa_user_sgpr_private_segment_size 0
		.amdhsa_wavefront_size32 1
		.amdhsa_uses_dynamic_stack 0
		.amdhsa_enable_private_segment 0
		.amdhsa_system_sgpr_workgroup_id_x 1
		.amdhsa_system_sgpr_workgroup_id_y 1
		.amdhsa_system_sgpr_workgroup_id_z 1
		.amdhsa_system_sgpr_workgroup_info 0
		.amdhsa_system_vgpr_workitem_id 0
		.amdhsa_next_free_vgpr 141
		.amdhsa_next_free_sgpr 36
		.amdhsa_reserve_vcc 1
		.amdhsa_float_round_mode_32 0
		.amdhsa_float_round_mode_16_64 0
		.amdhsa_float_denorm_mode_32 3
		.amdhsa_float_denorm_mode_16_64 3
		.amdhsa_dx10_clamp 1
		.amdhsa_ieee_mode 1
		.amdhsa_fp16_overflow 0
		.amdhsa_workgroup_processor_mode 1
		.amdhsa_memory_ordered 1
		.amdhsa_forward_progress 0
		.amdhsa_shared_vgpr_count 0
		.amdhsa_exception_fp_ieee_invalid_op 0
		.amdhsa_exception_fp_denorm_src 0
		.amdhsa_exception_fp_ieee_div_zero 0
		.amdhsa_exception_fp_ieee_overflow 0
		.amdhsa_exception_fp_ieee_underflow 0
		.amdhsa_exception_fp_ieee_inexact 0
		.amdhsa_exception_int_div_zero 0
	.end_amdhsa_kernel
	.section	.text._Z39paged_attention_ll4mi_QKV_mfma16_kernelI14__hip_bfloat16hLN4vllm18Fp8KVCacheDataTypeE1EhLi16ELi128ELi256ELb1ELi16EL8MFMAType1EEvPKT_PKT0_S9_ifPKiSB_SB_iPKfiiiPfSE_PS4_PT2_iSD_SD_,"axG",@progbits,_Z39paged_attention_ll4mi_QKV_mfma16_kernelI14__hip_bfloat16hLN4vllm18Fp8KVCacheDataTypeE1EhLi16ELi128ELi256ELb1ELi16EL8MFMAType1EEvPKT_PKT0_S9_ifPKiSB_SB_iPKfiiiPfSE_PS4_PT2_iSD_SD_,comdat
.Lfunc_end1521:
	.size	_Z39paged_attention_ll4mi_QKV_mfma16_kernelI14__hip_bfloat16hLN4vllm18Fp8KVCacheDataTypeE1EhLi16ELi128ELi256ELb1ELi16EL8MFMAType1EEvPKT_PKT0_S9_ifPKiSB_SB_iPKfiiiPfSE_PS4_PT2_iSD_SD_, .Lfunc_end1521-_Z39paged_attention_ll4mi_QKV_mfma16_kernelI14__hip_bfloat16hLN4vllm18Fp8KVCacheDataTypeE1EhLi16ELi128ELi256ELb1ELi16EL8MFMAType1EEvPKT_PKT0_S9_ifPKiSB_SB_iPKfiiiPfSE_PS4_PT2_iSD_SD_
                                        ; -- End function
	.section	.AMDGPU.csdata,"",@progbits
; Kernel info:
; codeLenInByte = 9036
; NumSgprs: 38
; NumVgprs: 141
; ScratchSize: 0
; MemoryBound: 0
; FloatMode: 240
; IeeeMode: 1
; LDSByteSize: 17472 bytes/workgroup (compile time only)
; SGPRBlocks: 4
; VGPRBlocks: 17
; NumSGPRsForWavesPerEU: 38
; NumVGPRsForWavesPerEU: 141
; Occupancy: 10
; WaveLimiterHint : 1
; COMPUTE_PGM_RSRC2:SCRATCH_EN: 0
; COMPUTE_PGM_RSRC2:USER_SGPR: 13
; COMPUTE_PGM_RSRC2:TRAP_HANDLER: 0
; COMPUTE_PGM_RSRC2:TGID_X_EN: 1
; COMPUTE_PGM_RSRC2:TGID_Y_EN: 1
; COMPUTE_PGM_RSRC2:TGID_Z_EN: 1
; COMPUTE_PGM_RSRC2:TIDIG_COMP_CNT: 0
	.section	.text._Z39paged_attention_ll4mi_QKV_mfma16_kernelI14__hip_bfloat16hLN4vllm18Fp8KVCacheDataTypeE1EhLi16ELi128ELi256ELb1ELi1EL8MFMAType1EEvPKT_PKT0_S9_ifPKiSB_SB_iPKfiiiPfSE_PS4_PT2_iSD_SD_,"axG",@progbits,_Z39paged_attention_ll4mi_QKV_mfma16_kernelI14__hip_bfloat16hLN4vllm18Fp8KVCacheDataTypeE1EhLi16ELi128ELi256ELb1ELi1EL8MFMAType1EEvPKT_PKT0_S9_ifPKiSB_SB_iPKfiiiPfSE_PS4_PT2_iSD_SD_,comdat
	.protected	_Z39paged_attention_ll4mi_QKV_mfma16_kernelI14__hip_bfloat16hLN4vllm18Fp8KVCacheDataTypeE1EhLi16ELi128ELi256ELb1ELi1EL8MFMAType1EEvPKT_PKT0_S9_ifPKiSB_SB_iPKfiiiPfSE_PS4_PT2_iSD_SD_ ; -- Begin function _Z39paged_attention_ll4mi_QKV_mfma16_kernelI14__hip_bfloat16hLN4vllm18Fp8KVCacheDataTypeE1EhLi16ELi128ELi256ELb1ELi1EL8MFMAType1EEvPKT_PKT0_S9_ifPKiSB_SB_iPKfiiiPfSE_PS4_PT2_iSD_SD_
	.globl	_Z39paged_attention_ll4mi_QKV_mfma16_kernelI14__hip_bfloat16hLN4vllm18Fp8KVCacheDataTypeE1EhLi16ELi128ELi256ELb1ELi1EL8MFMAType1EEvPKT_PKT0_S9_ifPKiSB_SB_iPKfiiiPfSE_PS4_PT2_iSD_SD_
	.p2align	8
	.type	_Z39paged_attention_ll4mi_QKV_mfma16_kernelI14__hip_bfloat16hLN4vllm18Fp8KVCacheDataTypeE1EhLi16ELi128ELi256ELb1ELi1EL8MFMAType1EEvPKT_PKT0_S9_ifPKiSB_SB_iPKfiiiPfSE_PS4_PT2_iSD_SD_,@function
_Z39paged_attention_ll4mi_QKV_mfma16_kernelI14__hip_bfloat16hLN4vllm18Fp8KVCacheDataTypeE1EhLi16ELi128ELi256ELb1ELi1EL8MFMAType1EEvPKT_PKT0_S9_ifPKiSB_SB_iPKfiiiPfSE_PS4_PT2_iSD_SD_: ; @_Z39paged_attention_ll4mi_QKV_mfma16_kernelI14__hip_bfloat16hLN4vllm18Fp8KVCacheDataTypeE1EhLi16ELi128ELi256ELb1ELi1EL8MFMAType1EEvPKT_PKT0_S9_ifPKiSB_SB_iPKfiiiPfSE_PS4_PT2_iSD_SD_
; %bb.0:
	s_load_b64 s[4:5], s[0:1], 0x30
	s_mov_b32 s34, s13
	s_waitcnt lgkmcnt(0)
	s_cmp_lg_u64 s[4:5], 0
	s_cselect_b32 s6, -1, 0
	s_ashr_i32 s35, s13, 31
	s_cmp_eq_u64 s[4:5], 0
	s_cbranch_scc1 .LBB1522_3
; %bb.1:
	s_lshl_b64 s[2:3], s[34:35], 2
	s_delay_alu instid0(SALU_CYCLE_1) | instskip(SKIP_4) | instid1(SALU_CYCLE_1)
	s_add_u32 s2, s4, s2
	s_addc_u32 s3, s5, s3
	s_load_b64 s[2:3], s[2:3], 0x0
	s_waitcnt lgkmcnt(0)
	s_sub_i32 s2, s3, s2
	s_cmp_eq_u32 s2, 1
	s_cselect_b32 s2, -1, 0
	s_delay_alu instid0(SALU_CYCLE_1)
	s_and_not1_b32 vcc_lo, exec_lo, s2
	s_cbranch_vccz .LBB1522_4
.LBB1522_2:
	s_endpgm
.LBB1522_3:
.LBB1522_4:
	s_load_b64 s[2:3], s[0:1], 0x28
	s_lshl_b64 s[8:9], s[34:35], 2
	s_waitcnt lgkmcnt(0)
	s_add_u32 s2, s2, s8
	s_addc_u32 s3, s3, s9
	s_lshl_b32 s12, s14, 8
	s_load_b32 s33, s[2:3], 0x0
	s_waitcnt lgkmcnt(0)
	s_cmp_ge_i32 s12, s33
	s_cbranch_scc1 .LBB1522_2
; %bb.5:
	s_clause 0x1
	s_load_b128 s[56:59], s[0:1], 0x8
	s_load_b64 s[2:3], s[0:1], 0x20
	s_and_not1_b32 vcc_lo, exec_lo, s6
	s_mov_b64 s[6:7], s[34:35]
	s_cbranch_vccnz .LBB1522_7
; %bb.6:
	s_add_u32 s4, s4, s8
	s_addc_u32 s5, s5, s9
	s_load_b32 s6, s[4:5], 0x0
.LBB1522_7:
	s_load_b128 s[52:55], s[0:1], 0x48
	v_and_b32_e32 v65, 15, v0
	s_mov_b32 s13, exec_lo
                                        ; implicit-def: $sgpr36
                                        ; implicit-def: $sgpr24
                                        ; implicit-def: $sgpr16
                                        ; implicit-def: $sgpr4
	s_delay_alu instid0(VALU_DEP_1)
	v_cmpx_eq_u32_e32 0, v65
	s_cbranch_execz .LBB1522_9
; %bb.8:
	s_load_b64 s[4:5], s[0:1], 0x0
	s_waitcnt lgkmcnt(0)
	s_mul_hi_i32 s7, s6, s52
	s_mul_i32 s6, s6, s52
	s_delay_alu instid0(SALU_CYCLE_1) | instskip(NEXT) | instid1(SALU_CYCLE_1)
	s_lshl_b64 s[6:7], s[6:7], 1
	s_add_u32 s6, s4, s6
	s_addc_u32 s7, s5, s7
	s_lshl_b32 s4, s15, 7
	s_delay_alu instid0(SALU_CYCLE_1) | instskip(NEXT) | instid1(SALU_CYCLE_1)
	s_ashr_i32 s5, s4, 31
	s_lshl_b64 s[4:5], s[4:5], 1
	s_delay_alu instid0(SALU_CYCLE_1)
	s_add_u32 s4, s6, s4
	s_addc_u32 s5, s7, s5
	s_clause 0x3
	s_load_b256 s[36:43], s[4:5], 0x0
	s_load_b256 s[24:31], s[4:5], 0x40
	;; [unrolled: 1-line block ×4, first 2 shown]
.LBB1522_9:
	s_or_b32 exec_lo, exec_lo, s13
	v_and_b32_e32 v1, 0xef, v0
	s_add_i32 s13, s33, 15
	s_load_b32 s44, s[0:1], 0x38
	s_ashr_i32 s35, s13, 31
	s_waitcnt lgkmcnt(0)
	s_mul_i32 s62, s15, s54
	v_add_nc_u32_e32 v1, s12, v1
	s_lshr_b32 s35, s35, 28
	v_dual_mov_b32 v113, s31 :: v_dual_mov_b32 v106, s24
	s_add_i32 s13, s13, s35
	s_delay_alu instid0(VALU_DEP_2)
	v_ashrrev_i32_e32 v2, 31, v1
	v_or_b32_e32 v3, 16, v1
	s_ashr_i32 s13, s13, 4
	v_cmp_gt_i32_e32 vcc_lo, s33, v1
	s_add_i32 s13, s13, -1
	v_lshrrev_b32_e32 v2, 28, v2
	s_load_b32 s35, s[0:1], 0x1c
	v_mov_b32_e32 v111, s29
	v_mov_b32_e32 v109, s27
	s_delay_alu instid0(VALU_DEP_3)
	v_dual_mov_b32 v107, s25 :: v_dual_add_nc_u32 v4, v1, v2
	v_lshlrev_b32_e32 v73, 4, v65
	s_mul_i32 s44, s34, s44
	v_lshrrev_b32_e32 v66, 5, v0
	s_ashr_i32 s45, s44, 31
	v_ashrrev_i32_e32 v4, 4, v4
	v_add_nc_u32_e32 v2, v3, v2
	s_lshl_b64 s[44:45], s[44:45], 2
	v_mov_b32_e32 v112, s30
	s_add_u32 s61, s2, s44
	v_cndmask_b32_e32 v1, s13, v4, vcc_lo
	v_ashrrev_i32_e32 v2, 4, v2
	v_cmp_gt_i32_e32 vcc_lo, s33, v3
	s_addc_u32 s60, s3, s45
	s_ashr_i32 s63, s62, 31
	s_add_u32 s52, s56, s62
	s_addc_u32 s56, s57, s63
	v_cndmask_b32_e32 v3, s13, v2, vcc_lo
	v_ashrrev_i32_e32 v2, 31, v1
	s_lshl_b32 s2, s14, 4
	v_mov_b32_e32 v110, s28
	s_ashr_i32 s3, s2, 31
	v_ashrrev_i32_e32 v4, 31, v3
	v_lshlrev_b64 v[1:2], 2, v[1:2]
	s_lshl_b64 s[2:3], s[2:3], 2
	v_mov_b32_e32 v108, s26
	s_add_u32 s2, s61, s2
	v_lshlrev_b64 v[3:4], 2, v[3:4]
	s_addc_u32 s3, s60, s3
	v_add_co_u32 v1, vcc_lo, s61, v1
	v_add_co_ci_u32_e32 v2, vcc_lo, s60, v2, vcc_lo
	s_delay_alu instid0(VALU_DEP_3) | instskip(NEXT) | instid1(VALU_DEP_4)
	v_add_co_u32 v3, vcc_lo, s61, v3
	v_add_co_ci_u32_e32 v4, vcc_lo, s60, v4, vcc_lo
	s_clause 0x1
	global_load_b32 v5, v[1:2], off
	global_load_b32 v3, v[3:4], off
	s_or_b32 s44, s12, 32
	v_lshlrev_b32_e32 v1, 4, v0
	s_ashr_i32 s45, s44, 4
	s_cmp_lt_i32 s44, s33
	s_cselect_b32 s44, s45, s13
	s_delay_alu instid0(VALU_DEP_1) | instskip(SKIP_1) | instid1(SALU_CYCLE_1)
	v_and_b32_e32 v1, 0xf0, v1
	s_ashr_i32 s45, s44, 31
	s_lshl_b64 s[44:45], s[44:45], 2
	s_delay_alu instid0(SALU_CYCLE_1)
	s_add_u32 s44, s61, s44
	s_addc_u32 s45, s60, s45
	s_or_b32 s46, s12, 64
	v_add_co_u32 v1, s52, s52, v1
	s_ashr_i32 s47, s46, 4
	s_cmp_lt_i32 s46, s33
	v_add_co_ci_u32_e64 v2, null, s56, 0, s52
	s_cselect_b32 s46, s47, s13
	s_delay_alu instid0(SALU_CYCLE_1) | instskip(NEXT) | instid1(SALU_CYCLE_1)
	s_ashr_i32 s47, s46, 31
	s_lshl_b64 s[46:47], s[46:47], 2
	s_delay_alu instid0(SALU_CYCLE_1) | instskip(SKIP_2) | instid1(SALU_CYCLE_1)
	s_add_u32 s46, s61, s46
	s_addc_u32 s47, s60, s47
	s_or_b32 s48, s12, 0x60
	s_ashr_i32 s49, s48, 4
	s_cmp_lt_i32 s48, s33
	s_cselect_b32 s48, s49, s13
	s_delay_alu instid0(SALU_CYCLE_1) | instskip(NEXT) | instid1(SALU_CYCLE_1)
	s_ashr_i32 s49, s48, 31
	s_lshl_b64 s[48:49], s[48:49], 2
	s_delay_alu instid0(SALU_CYCLE_1) | instskip(SKIP_2) | instid1(SALU_CYCLE_1)
	s_add_u32 s48, s61, s48
	s_addc_u32 s49, s60, s49
	s_or_b32 s50, s12, 0x80
	s_ashr_i32 s51, s50, 4
	s_cmp_lt_i32 s50, s33
	;; [unrolled: 10-line block ×3, first 2 shown]
	s_cselect_b32 s54, s55, s13
	s_delay_alu instid0(SALU_CYCLE_1) | instskip(NEXT) | instid1(SALU_CYCLE_1)
	s_ashr_i32 s55, s54, 31
	s_lshl_b64 s[54:55], s[54:55], 2
	s_delay_alu instid0(SALU_CYCLE_1)
	s_add_u32 s64, s61, s54
	s_addc_u32 s65, s60, s55
	s_clause 0x5
	s_load_b32 s56, s[2:3], 0x0
	s_load_b32 s3, s[44:45], 0x0
	;; [unrolled: 1-line block ×6, first 2 shown]
	s_or_b32 s24, s12, 0xc0
	s_mov_b32 s44, 0
	s_ashr_i32 s25, s24, 4
	s_mov_b32 s45, s44
	s_mov_b32 s46, s44
	;; [unrolled: 1-line block ×7, first 2 shown]
	v_dual_mov_b32 v121, s23 :: v_dual_mov_b32 v120, s22
	v_dual_mov_b32 v119, s21 :: v_dual_mov_b32 v118, s20
	;; [unrolled: 1-line block ×4, first 2 shown]
	v_lshl_or_b32 v33, v66, 8, v73
	v_dual_mov_b32 v129, s51 :: v_dual_mov_b32 v128, s50
	v_dual_mov_b32 v127, s49 :: v_dual_mov_b32 v126, s48
	;; [unrolled: 1-line block ×4, first 2 shown]
	s_cmp_lt_i32 s24, s33
	s_cselect_b32 s16, s25, s13
	s_delay_alu instid0(SALU_CYCLE_1) | instskip(NEXT) | instid1(SALU_CYCLE_1)
	s_ashr_i32 s17, s16, 31
	s_lshl_b64 s[16:17], s[16:17], 2
	s_delay_alu instid0(SALU_CYCLE_1) | instskip(SKIP_2) | instid1(SALU_CYCLE_1)
	s_add_u32 s16, s61, s16
	s_addc_u32 s17, s60, s17
	s_or_b32 s18, s12, 0xe0
	s_ashr_i32 s19, s18, 4
	s_cmp_lt_i32 s18, s33
	s_cselect_b32 s18, s19, s13
	s_delay_alu instid0(SALU_CYCLE_1) | instskip(NEXT) | instid1(SALU_CYCLE_1)
	s_ashr_i32 s19, s18, 31
	s_lshl_b64 s[18:19], s[18:19], 2
	s_delay_alu instid0(SALU_CYCLE_1) | instskip(SKIP_4) | instid1(VALU_DEP_1)
	s_add_u32 s18, s61, s18
	s_addc_u32 s19, s60, s19
	s_add_u32 s13, s58, s62
	s_addc_u32 s20, s59, s63
	v_add_co_u32 v67, s13, s13, v33
	v_add_co_ci_u32_e64 v68, null, s20, 0, s13
	s_waitcnt lgkmcnt(0)
	s_delay_alu instid0(VALU_DEP_1)
	v_mad_i64_i32 v[33:34], null, s56, s53, v[67:68]
	v_mad_i64_i32 v[69:70], null, s54, s53, v[67:68]
	;; [unrolled: 1-line block ×5, first 2 shown]
	s_waitcnt vmcnt(1)
	v_mad_i64_i32 v[25:26], null, v5, s53, v[1:2]
	s_waitcnt vmcnt(0)
	v_mad_i64_i32 v[27:28], null, v3, s53, v[1:2]
	s_clause 0xf
	global_load_b128 v[1:4], v[25:26], off
	global_load_b128 v[5:8], v[25:26], off offset:256
	global_load_b128 v[9:12], v[27:28], off
	global_load_b128 v[13:16], v[27:28], off offset:256
	global_load_b128 v[17:20], v[25:26], off offset:512
	;; [unrolled: 1-line block ×13, first 2 shown]
	v_mov_b32_e32 v25, s36
	v_mov_b32_e32 v27, s38
	v_mov_b32_e32 v29, s40
	v_mov_b32_e32 v31, s42
	s_clause 0x1
	s_load_b32 s13, s[16:17], 0x0
	s_load_b32 s16, s[18:19], 0x0
	v_mov_b32_e32 v26, s37
	v_mov_b32_e32 v28, s39
	;; [unrolled: 1-line block ×4, first 2 shown]
	s_clause 0x5
	global_load_b128 v[49:52], v[33:34], off
	global_load_b128 v[53:56], v[33:34], off offset:16
	global_load_b128 v[41:44], v[35:36], off
	global_load_b128 v[45:48], v[35:36], off offset:16
	;; [unrolled: 2-line block ×3, first 2 shown]
	s_waitcnt vmcnt(20)
	v_wmma_f32_16x16x16_bf16 v[130:137], v[1:8], v[25:32], v[122:129]
	s_waitcnt vmcnt(18)
	v_wmma_f32_16x16x16_bf16 v[122:129], v[9:16], v[25:32], v[122:129]
	v_mad_i64_i32 v[13:14], null, s2, s53, v[67:68]
	s_waitcnt vmcnt(16)
	v_wmma_f32_16x16x16_bf16 v[130:137], v[17:24], v[106:113], v[130:137]
	s_waitcnt lgkmcnt(0)
	v_mad_i64_i32 v[21:22], null, s13, s53, v[67:68]
	s_clause 0x1
	global_load_b128 v[25:28], v[69:70], off
	global_load_b128 v[29:32], v[69:70], off offset:16
	v_mad_i64_i32 v[69:70], null, s16, s53, v[67:68]
	s_waitcnt vmcnt(16)
	v_wmma_f32_16x16x16_bf16 v[122:129], v[57:64], v[106:113], v[122:129]
	s_clause 0x7
	global_load_b128 v[1:4], v[71:72], off
	global_load_b128 v[5:8], v[71:72], off offset:16
	global_load_b128 v[9:12], v[13:14], off
	global_load_b128 v[13:16], v[13:14], off offset:16
	;; [unrolled: 2-line block ×4, first 2 shown]
	v_mbcnt_lo_u32_b32 v68, -1, 0
	s_waitcnt vmcnt(22)
	v_wmma_f32_16x16x16_bf16 v[130:137], v[74:81], v[114:121], v[130:137]
	s_waitcnt vmcnt(20)
	v_wmma_f32_16x16x16_bf16 v[122:129], v[82:89], v[114:121], v[122:129]
	v_dual_mov_b32 v82, s11 :: v_dual_mov_b32 v81, s10
	v_xor_b32_e32 v69, 16, v68
	v_dual_mov_b32 v80, s9 :: v_dual_mov_b32 v79, s8
	v_dual_mov_b32 v78, s7 :: v_dual_mov_b32 v77, s6
	;; [unrolled: 1-line block ×3, first 2 shown]
	s_delay_alu instid0(VALU_DEP_4) | instskip(SKIP_4) | instid1(VALU_DEP_3)
	v_cmp_gt_i32_e32 vcc_lo, 32, v69
	v_and_b32_e32 v67, 0xe0, v0
	v_bfe_u32 v74, v0, 4, 1
	s_waitcnt vmcnt(0)
	v_wmma_f32_16x16x16_bf16 v[130:137], v[90:97], v[75:82], v[130:137]
	v_dual_cndmask_b32 v68, v68, v69 :: v_dual_add_nc_u32 v67, s12, v67
	s_barrier
	buffer_gl0_inv
	v_mul_f32_e32 v92, s35, v131
	v_wmma_f32_16x16x16_bf16 v[122:129], v[98:105], v[75:82], v[122:129]
	v_mul_f32_e32 v78, s35, v136
	v_or_b32_e32 v67, v67, v74
	v_mul_f32_e32 v93, s35, v130
	v_dual_mul_f32 v81, s35, v133 :: v_dual_mul_f32 v82, s35, v132
	v_dual_mul_f32 v79, s35, v135 :: v_dual_mul_f32 v98, s35, v125
	s_delay_alu instid0(VALU_DEP_4)
	v_or_b32_e32 v69, 2, v67
	v_or_b32_e32 v70, 4, v67
	;; [unrolled: 1-line block ×3, first 2 shown]
	v_cmp_gt_i32_e64 s2, s33, v67
	v_or_b32_e32 v72, 8, v67
	v_cmp_gt_i32_e32 vcc_lo, s33, v69
	v_or_b32_e32 v83, 10, v67
	v_cmp_gt_i32_e64 s3, s33, v70
	v_cndmask_b32_e64 v93, 0xff7fffff, v93, s2
	v_cmp_gt_i32_e64 s4, s33, v71
	v_cndmask_b32_e32 v92, 0xff7fffff, v92, vcc_lo
	v_or_b32_e32 v84, 12, v67
	v_or_b32_e32 v85, 14, v67
	v_mul_f32_e32 v80, s35, v134
	v_cndmask_b32_e64 v70, 0xff7fffff, v82, s3
	v_cndmask_b32_e64 v71, 0xff7fffff, v81, s4
	v_max3_f32 v81, v93, 0xff7fffff, v92
	v_cmp_gt_i32_e64 s5, s33, v72
	v_cmp_gt_i32_e64 s6, s33, v83
	v_or_b32_e32 v86, 16, v67
	v_or_b32_e32 v87, 18, v67
	v_dual_mul_f32 v77, s35, v137 :: v_dual_mul_f32 v96, s35, v127
	v_cndmask_b32_e64 v72, 0xff7fffff, v80, s5
	v_cndmask_b32_e64 v79, 0xff7fffff, v79, s6
	v_max3_f32 v70, v81, v70, v71
	v_cmp_gt_i32_e64 s7, s33, v84
	v_cmp_gt_i32_e64 s8, s33, v85
	v_or_b32_e32 v88, 20, v67
	v_or_b32_e32 v89, 22, v67
	;; [unrolled: 1-line block ×6, first 2 shown]
	v_mul_f32_e32 v69, s35, v123
	v_mul_f32_e32 v67, s35, v122
	v_cndmask_b32_e64 v71, 0xff7fffff, v78, s7
	v_cndmask_b32_e64 v77, 0xff7fffff, v77, s8
	v_max3_f32 v70, v70, v72, v79
	v_cmp_gt_i32_e64 s9, s33, v86
	v_cmp_gt_i32_e64 s10, s33, v87
	v_mul_f32_e32 v99, s35, v124
	v_cmp_gt_i32_e64 s11, s33, v88
	v_max3_f32 v70, v70, v71, v77
	v_cndmask_b32_e64 v67, 0xff7fffff, v67, s9
	v_cndmask_b32_e64 v69, 0xff7fffff, v69, s10
	v_cmp_gt_i32_e64 s12, s33, v89
	v_mul_f32_e32 v97, s35, v126
	v_cndmask_b32_e64 v71, 0xff7fffff, v99, s11
	v_cmp_gt_i32_e64 s13, s33, v90
	v_max3_f32 v67, v70, v67, v69
	v_cndmask_b32_e64 v72, 0xff7fffff, v98, s12
	v_cmp_gt_i32_e64 s16, s33, v91
	v_dual_mul_f32 v94, s35, v129 :: v_dual_mul_f32 v95, s35, v128
	v_cndmask_b32_e64 v69, 0xff7fffff, v97, s13
	s_delay_alu instid0(VALU_DEP_4) | instskip(NEXT) | instid1(VALU_DEP_4)
	v_max3_f32 v67, v67, v71, v72
	v_cndmask_b32_e64 v70, 0xff7fffff, v96, s16
	v_cmp_gt_i32_e64 s17, s33, v75
	v_cmp_gt_i32_e64 s18, s33, v76
	v_lshlrev_b32_e32 v81, 2, v68
	s_delay_alu instid0(VALU_DEP_4) | instskip(NEXT) | instid1(VALU_DEP_4)
	v_max3_f32 v67, v67, v69, v70
	v_cndmask_b32_e64 v71, 0xff7fffff, v95, s17
	s_delay_alu instid0(VALU_DEP_4) | instskip(NEXT) | instid1(VALU_DEP_1)
	v_cndmask_b32_e64 v72, 0xff7fffff, v94, s18
	v_max3_f32 v67, v67, v71, v72
	ds_bpermute_b32 v68, v81, v67
	s_waitcnt lgkmcnt(0)
	v_max_f32_e32 v68, v68, v68
	s_delay_alu instid0(VALU_DEP_1) | instskip(NEXT) | instid1(VALU_DEP_1)
	v_max_f32_e32 v67, v67, v68
	v_fma_f32 v68, s35, v130, -v67
	v_fma_f32 v69, s35, v131, -v67
	;; [unrolled: 1-line block ×5, first 2 shown]
	s_delay_alu instid0(VALU_DEP_4) | instskip(NEXT) | instid1(VALU_DEP_3)
	v_dual_mul_f32 v68, 0x3fb8aa3b, v68 :: v_dual_mul_f32 v69, 0x3fb8aa3b, v69
	v_dual_mul_f32 v70, 0x3fb8aa3b, v70 :: v_dual_mul_f32 v71, 0x3fb8aa3b, v71
	s_delay_alu instid0(VALU_DEP_3) | instskip(NEXT) | instid1(VALU_DEP_3)
	v_mul_f32_e32 v72, 0x3fb8aa3b, v72
	v_exp_f32_e32 v68, v68
	s_delay_alu instid0(VALU_DEP_3) | instskip(NEXT) | instid1(VALU_DEP_2)
	v_exp_f32_e32 v69, v69
	v_exp_f32_e32 v70, v70
	;; [unrolled: 1-line block ×3, first 2 shown]
	v_fma_f32 v76, s35, v136, -v67
	v_exp_f32_e32 v72, v72
	s_delay_alu instid0(VALU_DEP_1) | instskip(SKIP_3) | instid1(TRANS32_DEP_3)
	v_mul_f32_e32 v76, 0x3fb8aa3b, v76
	v_cndmask_b32_e64 v79, 0, v68, s2
	v_fma_f32 v68, s35, v135, -v67
	v_cndmask_b32_e32 v75, 0, v69, vcc_lo
	v_cndmask_b32_e64 v82, 0, v70, s3
	s_delay_alu instid0(TRANS32_DEP_2) | instskip(NEXT) | instid1(VALU_DEP_4)
	v_cndmask_b32_e64 v84, 0, v71, s4
	v_dual_add_f32 v69, 0, v79 :: v_dual_mul_f32 v68, 0x3fb8aa3b, v68
	v_exp_f32_e32 v76, v76
	s_delay_alu instid0(TRANS32_DEP_2) | instskip(SKIP_1) | instid1(VALU_DEP_2)
	v_cndmask_b32_e64 v85, 0, v72, s5
	s_mov_b32 s3, exec_lo
	v_add_f32_e32 v69, v69, v75
	v_exp_f32_e32 v68, v68
	s_delay_alu instid0(VALU_DEP_1) | instskip(SKIP_4) | instid1(VALU_DEP_2)
	v_add_f32_e32 v69, v69, v82
	s_waitcnt_depctr 0xfff
	v_cndmask_b32_e64 v83, 0, v76, s7
	v_add_f32_e32 v69, v69, v84
	v_cndmask_b32_e64 v86, 0, v68, s6
	v_add_f32_e32 v68, v69, v85
	s_delay_alu instid0(VALU_DEP_1) | instskip(NEXT) | instid1(VALU_DEP_1)
	v_add_f32_e32 v68, v68, v86
	v_add_f32_e32 v68, v68, v83
	v_fma_f32 v72, s35, v123, -v67
	v_fma_f32 v70, s35, v137, -v67
	;; [unrolled: 1-line block ×5, first 2 shown]
	v_mul_f32_e32 v72, 0x3fb8aa3b, v72
	s_delay_alu instid0(VALU_DEP_4) | instskip(SKIP_1) | instid1(VALU_DEP_4)
	v_dual_mul_f32 v70, 0x3fb8aa3b, v70 :: v_dual_mul_f32 v69, 0x3fb8aa3b, v69
	v_fma_f32 v77, s35, v126, -v67
	v_mul_f32_e32 v76, 0x3fb8aa3b, v76
	s_delay_alu instid0(VALU_DEP_4) | instskip(NEXT) | instid1(VALU_DEP_3)
	v_exp_f32_e32 v72, v72
	v_exp_f32_e32 v70, v70
	;; [unrolled: 1-line block ×3, first 2 shown]
	v_fma_f32 v88, s35, v129, -v67
	v_exp_f32_e32 v76, v76
	s_delay_alu instid0(VALU_DEP_1) | instskip(SKIP_2) | instid1(TRANS32_DEP_3)
	v_mul_f32_e32 v88, 0x3fb8aa3b, v88
	v_cndmask_b32_e64 v69, 0, v72, s10
	v_mul_f32_e32 v71, 0x3fb8aa3b, v71
	v_cndmask_b32_e64 v87, 0, v70, s8
	v_fma_f32 v72, s35, v128, -v67
	s_delay_alu instid0(VALU_DEP_3) | instskip(NEXT) | instid1(VALU_DEP_2)
	v_exp_f32_e32 v71, v71
	v_add_f32_e32 v68, v68, v87
	s_waitcnt_depctr 0xfff
	v_cndmask_b32_e64 v70, 0, v71, s9
	v_fma_f32 v71, s35, v127, -v67
	s_delay_alu instid0(VALU_DEP_2) | instskip(NEXT) | instid1(VALU_DEP_2)
	v_add_f32_e32 v68, v68, v70
	v_mul_f32_e32 v80, 0x3fb8aa3b, v71
	v_cndmask_b32_e64 v71, 0, v78, s11
	v_mul_f32_e32 v78, 0x3fb8aa3b, v72
	v_cndmask_b32_e64 v72, 0, v76, s12
	v_add_f32_e32 v68, v68, v69
	v_exp_f32_e32 v80, v80
	s_delay_alu instid0(VALU_DEP_3) | instskip(NEXT) | instid1(VALU_DEP_1)
	v_exp_f32_e32 v78, v78
	v_dual_add_f32 v68, v68, v71 :: v_dual_mul_f32 v77, 0x3fb8aa3b, v77
	s_delay_alu instid0(VALU_DEP_1) | instskip(NEXT) | instid1(VALU_DEP_2)
	v_add_f32_e32 v68, v68, v72
	v_exp_f32_e32 v77, v77
	s_waitcnt_depctr 0xfff
	v_cndmask_b32_e64 v78, 0, v78, s17
	v_cndmask_b32_e64 v76, 0, v77, s13
	v_cndmask_b32_e64 v77, 0, v80, s16
	v_exp_f32_e32 v80, v88
	v_and_b32_e32 v88, 31, v0
	s_delay_alu instid0(VALU_DEP_3) | instskip(NEXT) | instid1(VALU_DEP_2)
	v_add_f32_e32 v68, v68, v76
	v_cmp_lt_u32_e64 s2, 15, v88
	s_delay_alu instid0(VALU_DEP_2) | instskip(SKIP_3) | instid1(VALU_DEP_1)
	v_add_f32_e32 v68, v68, v77
	s_waitcnt_depctr 0xfff
	v_cndmask_b32_e64 v80, 0, v80, s18
	v_add_f32_e32 v68, v68, v78
	v_add_f32_e32 v68, v68, v80
	ds_bpermute_b32 v81, v81, v68
	v_cmpx_gt_u32_e32 16, v88
	s_cbranch_execz .LBB1522_11
; %bb.10:
	v_mul_u32_u24_e32 v88, 0x44, v66
	s_delay_alu instid0(VALU_DEP_1) | instskip(SKIP_1) | instid1(VALU_DEP_1)
	v_lshl_add_u32 v88, v65, 2, v88
	s_waitcnt lgkmcnt(0)
	v_dual_add_f32 v68, v68, v81 :: v_dual_add_nc_u32 v81, 0x4000, v88
	ds_store_2addr_b32 v81, v67, v68 offset1:136
.LBB1522_11:
	s_or_b32 exec_lo, exec_lo, s3
	v_lshlrev_b32_e32 v67, 2, v65
	s_waitcnt lgkmcnt(0)
	s_barrier
	buffer_gl0_inv
	v_cmp_eq_u32_e32 vcc_lo, 1, v66
	v_add_nc_u32_e32 v81, 0x4000, v67
	v_cmp_eq_u32_e64 s3, 2, v66
	v_cmp_eq_u32_e64 s5, 7, v66
	ds_load_2addr_b32 v[88:89], v81 offset1:17
	ds_load_2addr_b32 v[90:91], v81 offset0:34 offset1:51
	ds_load_2addr_b32 v[92:93], v81 offset0:68 offset1:85
	;; [unrolled: 1-line block ×4, first 2 shown]
	s_waitcnt lgkmcnt(4)
	v_max3_f32 v67, v88, 0xff7fffff, v89
	s_waitcnt lgkmcnt(3)
	s_delay_alu instid0(VALU_DEP_1) | instskip(SKIP_1) | instid1(VALU_DEP_1)
	v_max3_f32 v67, v67, v90, v91
	s_waitcnt lgkmcnt(2)
	v_max3_f32 v67, v67, v92, v93
	s_waitcnt lgkmcnt(1)
	s_delay_alu instid0(VALU_DEP_1) | instskip(NEXT) | instid1(VALU_DEP_1)
	v_max3_f32 v67, v67, v94, v95
	v_sub_f32_e32 v68, v88, v67
	v_sub_f32_e32 v90, v90, v67
	;; [unrolled: 1-line block ×3, first 2 shown]
	s_delay_alu instid0(VALU_DEP_3) | instskip(NEXT) | instid1(VALU_DEP_3)
	v_mul_f32_e32 v68, 0x3fb8aa3b, v68
	v_mul_f32_e32 v100, 0x3fb8aa3b, v90
	s_delay_alu instid0(VALU_DEP_3) | instskip(NEXT) | instid1(VALU_DEP_3)
	v_mul_f32_e32 v102, 0x3fb8aa3b, v92
	v_exp_f32_e32 v99, v68
	v_sub_f32_e32 v68, v91, v67
	v_sub_f32_e32 v98, v89, v67
	v_exp_f32_e32 v100, v100
	s_delay_alu instid0(VALU_DEP_1)
	v_dual_mul_f32 v101, 0x3fb8aa3b, v68 :: v_dual_mul_f32 v98, 0x3fb8aa3b, v98
	s_waitcnt lgkmcnt(0)
	s_waitcnt_depctr 0xfff
	v_fma_f32 v68, v99, v96, 0
	v_sub_f32_e32 v96, v93, v67
	v_exp_f32_e32 v98, v98
	v_exp_f32_e32 v101, v101
	s_waitcnt_depctr 0xfff
	v_fmac_f32_e32 v68, v98, v97
	ds_load_2addr_b32 v[88:89], v81 offset0:170 offset1:187
	ds_load_2addr_b32 v[90:91], v81 offset0:204 offset1:221
	;; [unrolled: 1-line block ×3, first 2 shown]
	v_dual_sub_f32 v81, v94, v67 :: v_dual_mul_f32 v94, 0x3fb8aa3b, v96
	v_exp_f32_e32 v96, v102
	s_waitcnt lgkmcnt(0)
	s_barrier
	s_delay_alu instid0(VALU_DEP_1)
	v_mul_f32_e32 v81, 0x3fb8aa3b, v81
	v_exp_f32_e32 v94, v94
	buffer_gl0_inv
	v_exp_f32_e32 v81, v81
	v_fmac_f32_e32 v68, v100, v88
	v_sub_f32_e32 v88, v95, v67
	s_delay_alu instid0(VALU_DEP_2) | instskip(NEXT) | instid1(VALU_DEP_2)
	v_fmac_f32_e32 v68, v101, v89
	v_mul_f32_e32 v88, 0x3fb8aa3b, v88
	s_delay_alu instid0(VALU_DEP_2) | instskip(NEXT) | instid1(VALU_DEP_2)
	v_fmac_f32_e32 v68, v96, v90
	v_exp_f32_e32 v88, v88
	s_delay_alu instid0(VALU_DEP_1)
	v_fmac_f32_e32 v68, v94, v91
	s_delay_alu instid0(TRANS32_DEP_2) | instid1(VALU_DEP_1)
	v_fmac_f32_e32 v68, v81, v92
	s_waitcnt_depctr 0xfff
	v_fmac_f32_e32 v68, v88, v93
	s_delay_alu instid0(VALU_DEP_1) | instskip(NEXT) | instid1(VALU_DEP_1)
	v_add_f32_e32 v89, 0x358637bd, v68
	v_div_scale_f32 v90, null, v89, v89, 1.0
	v_div_scale_f32 v93, s4, 1.0, v89, 1.0
	s_delay_alu instid0(VALU_DEP_2) | instskip(SKIP_2) | instid1(VALU_DEP_1)
	v_rcp_f32_e32 v91, v90
	s_waitcnt_depctr 0xfff
	v_fma_f32 v92, -v90, v91, 1.0
	v_dual_fmac_f32 v91, v92, v91 :: v_dual_cndmask_b32 v92, v99, v98
	v_cmp_eq_u32_e32 vcc_lo, 3, v66
	s_delay_alu instid0(VALU_DEP_2) | instskip(NEXT) | instid1(VALU_DEP_3)
	v_mul_f32_e32 v95, v93, v91
	v_cndmask_b32_e64 v92, v92, v100, s3
	v_cmp_eq_u32_e64 s3, 4, v66
	s_delay_alu instid0(VALU_DEP_3) | instskip(NEXT) | instid1(VALU_DEP_3)
	v_fma_f32 v97, -v90, v95, v93
	v_cndmask_b32_e32 v92, v92, v101, vcc_lo
	v_cmp_eq_u32_e32 vcc_lo, 5, v66
	s_delay_alu instid0(VALU_DEP_3) | instskip(NEXT) | instid1(VALU_DEP_3)
	v_fmac_f32_e32 v95, v97, v91
	v_cndmask_b32_e64 v92, v92, v96, s3
	v_cmp_eq_u32_e64 s3, 6, v66
	s_delay_alu instid0(VALU_DEP_3) | instskip(NEXT) | instid1(VALU_DEP_3)
	v_fma_f32 v90, -v90, v95, v93
	v_cndmask_b32_e32 v92, v92, v94, vcc_lo
	s_mov_b32 vcc_lo, s4
	s_delay_alu instid0(VALU_DEP_2) | instskip(NEXT) | instid1(VALU_DEP_2)
	v_div_fmas_f32 v90, v90, v91, v95
	v_cndmask_b32_e64 v81, v92, v81, s3
	s_mov_b32 s3, exec_lo
	s_delay_alu instid0(VALU_DEP_2) | instskip(NEXT) | instid1(VALU_DEP_2)
	v_div_fixup_f32 v89, v90, v89, 1.0
	v_cndmask_b32_e64 v81, v81, v88, s5
	s_delay_alu instid0(VALU_DEP_1) | instskip(NEXT) | instid1(VALU_DEP_1)
	v_mul_f32_e32 v81, v81, v89
	v_mul_f32_e32 v83, v81, v83
	;; [unrolled: 1-line block ×7, first 2 shown]
	v_dual_mul_f32 v85, v81, v82 :: v_dual_and_b32 v90, 0x7f800000, v89
	v_mul_f32_e32 v84, v81, v75
                                        ; implicit-def: $vgpr75
	s_delay_alu instid0(VALU_DEP_2)
	v_cmpx_ne_u32_e32 0x7f800000, v90
	s_xor_b32 s3, exec_lo, s3
; %bb.12:
	v_bfe_u32 v75, v89, 16, 1
	s_delay_alu instid0(VALU_DEP_1)
	v_add3_u32 v75, v89, v75, 0x7fff
                                        ; implicit-def: $vgpr89
; %bb.13:
	s_and_not1_saveexec_b32 s3, s3
; %bb.14:
	v_and_b32_e32 v75, 0xffff, v89
	v_or_b32_e32 v82, 0x10000, v89
	s_delay_alu instid0(VALU_DEP_2) | instskip(NEXT) | instid1(VALU_DEP_2)
	v_cmp_eq_u32_e32 vcc_lo, 0, v75
	v_cndmask_b32_e32 v75, v82, v89, vcc_lo
; %bb.15:
	s_or_b32 exec_lo, exec_lo, s3
	v_and_b32_e32 v82, 0x7f800000, v84
	s_delay_alu instid0(VALU_DEP_1) | instskip(SKIP_1) | instid1(SALU_CYCLE_1)
	v_cmp_ne_u32_e32 vcc_lo, 0x7f800000, v82
                                        ; implicit-def: $vgpr82
	s_and_saveexec_b32 s3, vcc_lo
	s_xor_b32 s3, exec_lo, s3
; %bb.16:
	v_bfe_u32 v82, v84, 16, 1
	s_delay_alu instid0(VALU_DEP_1)
	v_add3_u32 v82, v84, v82, 0x7fff
                                        ; implicit-def: $vgpr84
; %bb.17:
	s_and_not1_saveexec_b32 s3, s3
; %bb.18:
	v_and_b32_e32 v82, 0xffff, v84
	v_or_b32_e32 v89, 0x10000, v84
	s_delay_alu instid0(VALU_DEP_2) | instskip(NEXT) | instid1(VALU_DEP_2)
	v_cmp_eq_u32_e32 vcc_lo, 0, v82
	v_cndmask_b32_e32 v82, v89, v84, vcc_lo
; %bb.19:
	s_or_b32 exec_lo, exec_lo, s3
	v_and_b32_e32 v84, 0x7f800000, v85
	s_delay_alu instid0(VALU_DEP_1) | instskip(SKIP_1) | instid1(SALU_CYCLE_1)
	v_cmp_ne_u32_e32 vcc_lo, 0x7f800000, v84
                                        ; implicit-def: $vgpr84
	s_and_saveexec_b32 s3, vcc_lo
	s_xor_b32 s3, exec_lo, s3
; %bb.20:
	v_bfe_u32 v84, v85, 16, 1
	s_delay_alu instid0(VALU_DEP_1)
	v_add3_u32 v84, v85, v84, 0x7fff
                                        ; implicit-def: $vgpr85
; %bb.21:
	s_and_not1_saveexec_b32 s3, s3
; %bb.22:
	v_and_b32_e32 v84, 0xffff, v85
	v_or_b32_e32 v89, 0x10000, v85
	s_delay_alu instid0(VALU_DEP_2) | instskip(NEXT) | instid1(VALU_DEP_2)
	v_cmp_eq_u32_e32 vcc_lo, 0, v84
	v_cndmask_b32_e32 v84, v89, v85, vcc_lo
; %bb.23:
	s_or_b32 exec_lo, exec_lo, s3
	v_and_b32_e32 v85, 0x7f800000, v88
	s_delay_alu instid0(VALU_DEP_1) | instskip(SKIP_1) | instid1(SALU_CYCLE_1)
	v_cmp_ne_u32_e32 vcc_lo, 0x7f800000, v85
                                        ; implicit-def: $vgpr85
	s_and_saveexec_b32 s3, vcc_lo
	s_xor_b32 s3, exec_lo, s3
; %bb.24:
	v_bfe_u32 v85, v88, 16, 1
	s_delay_alu instid0(VALU_DEP_1)
	v_add3_u32 v85, v88, v85, 0x7fff
                                        ; implicit-def: $vgpr88
; %bb.25:
	s_and_not1_saveexec_b32 s3, s3
; %bb.26:
	v_and_b32_e32 v85, 0xffff, v88
	v_or_b32_e32 v89, 0x10000, v88
	s_delay_alu instid0(VALU_DEP_2) | instskip(NEXT) | instid1(VALU_DEP_2)
	v_cmp_eq_u32_e32 vcc_lo, 0, v85
	v_cndmask_b32_e32 v85, v89, v88, vcc_lo
; %bb.27:
	s_or_b32 exec_lo, exec_lo, s3
	v_and_b32_e32 v88, 0x7f800000, v87
	s_delay_alu instid0(VALU_DEP_1) | instskip(SKIP_1) | instid1(SALU_CYCLE_1)
	v_cmp_ne_u32_e32 vcc_lo, 0x7f800000, v88
                                        ; implicit-def: $vgpr88
	s_and_saveexec_b32 s3, vcc_lo
	s_xor_b32 s3, exec_lo, s3
; %bb.28:
	v_bfe_u32 v88, v87, 16, 1
	s_delay_alu instid0(VALU_DEP_1)
	v_add3_u32 v88, v87, v88, 0x7fff
                                        ; implicit-def: $vgpr87
; %bb.29:
	s_and_not1_saveexec_b32 s3, s3
; %bb.30:
	v_and_b32_e32 v88, 0xffff, v87
	v_or_b32_e32 v89, 0x10000, v87
	s_delay_alu instid0(VALU_DEP_2) | instskip(NEXT) | instid1(VALU_DEP_2)
	v_cmp_eq_u32_e32 vcc_lo, 0, v88
	v_cndmask_b32_e32 v88, v89, v87, vcc_lo
; %bb.31:
	s_or_b32 exec_lo, exec_lo, s3
	v_and_b32_e32 v87, 0x7f800000, v86
	s_delay_alu instid0(VALU_DEP_1) | instskip(SKIP_1) | instid1(SALU_CYCLE_1)
	v_cmp_ne_u32_e32 vcc_lo, 0x7f800000, v87
                                        ; implicit-def: $vgpr87
	s_and_saveexec_b32 s3, vcc_lo
	s_xor_b32 s3, exec_lo, s3
; %bb.32:
	v_bfe_u32 v87, v86, 16, 1
	s_delay_alu instid0(VALU_DEP_1)
	v_add3_u32 v87, v86, v87, 0x7fff
                                        ; implicit-def: $vgpr86
; %bb.33:
	s_and_not1_saveexec_b32 s3, s3
; %bb.34:
	v_and_b32_e32 v87, 0xffff, v86
	v_or_b32_e32 v89, 0x10000, v86
	s_delay_alu instid0(VALU_DEP_2) | instskip(NEXT) | instid1(VALU_DEP_2)
	v_cmp_eq_u32_e32 vcc_lo, 0, v87
	v_cndmask_b32_e32 v87, v89, v86, vcc_lo
; %bb.35:
	s_or_b32 exec_lo, exec_lo, s3
	v_and_b32_e32 v86, 0x7f800000, v83
	s_delay_alu instid0(VALU_DEP_1) | instskip(SKIP_1) | instid1(SALU_CYCLE_1)
	v_cmp_ne_u32_e32 vcc_lo, 0x7f800000, v86
                                        ; implicit-def: $vgpr86
	s_and_saveexec_b32 s3, vcc_lo
	s_xor_b32 s3, exec_lo, s3
; %bb.36:
	v_bfe_u32 v86, v83, 16, 1
	s_delay_alu instid0(VALU_DEP_1)
	v_add3_u32 v86, v83, v86, 0x7fff
                                        ; implicit-def: $vgpr83
; %bb.37:
	s_and_not1_saveexec_b32 s3, s3
; %bb.38:
	v_and_b32_e32 v86, 0xffff, v83
	v_or_b32_e32 v89, 0x10000, v83
	s_delay_alu instid0(VALU_DEP_2) | instskip(NEXT) | instid1(VALU_DEP_2)
	v_cmp_eq_u32_e32 vcc_lo, 0, v86
	v_cndmask_b32_e32 v86, v89, v83, vcc_lo
; %bb.39:
	s_or_b32 exec_lo, exec_lo, s3
	v_and_b32_e32 v83, 0x7f800000, v79
	s_delay_alu instid0(VALU_DEP_1) | instskip(SKIP_1) | instid1(SALU_CYCLE_1)
	v_cmp_ne_u32_e32 vcc_lo, 0x7f800000, v83
                                        ; implicit-def: $vgpr83
	s_and_saveexec_b32 s3, vcc_lo
	s_xor_b32 s3, exec_lo, s3
; %bb.40:
	v_bfe_u32 v83, v79, 16, 1
	s_delay_alu instid0(VALU_DEP_1)
	v_add3_u32 v83, v79, v83, 0x7fff
                                        ; implicit-def: $vgpr79
; %bb.41:
	s_and_not1_saveexec_b32 s3, s3
; %bb.42:
	v_and_b32_e32 v83, 0xffff, v79
	v_or_b32_e32 v89, 0x10000, v79
	s_delay_alu instid0(VALU_DEP_2) | instskip(NEXT) | instid1(VALU_DEP_2)
	v_cmp_eq_u32_e32 vcc_lo, 0, v83
	v_cndmask_b32_e32 v83, v89, v79, vcc_lo
; %bb.43:
	s_or_b32 exec_lo, exec_lo, s3
	s_load_b64 s[36:37], s[0:1], 0x94
	v_lshlrev_b32_e32 v90, 4, v74
	s_delay_alu instid0(VALU_DEP_2)
	v_perm_b32 v89, v83, v86, 0x7060302
	v_lshlrev_b32_e32 v79, 6, v65
	v_dual_mul_f32 v76, v81, v76 :: v_dual_lshlrev_b32 v65, 11, v66
	v_perm_b32 v86, v82, v75, 0x7060302
	v_mul_f32_e32 v82, v81, v70
	v_perm_b32 v88, v87, v88, 0x7060302
	v_perm_b32 v87, v85, v84, 0x7060302
	v_or3_b32 v75, v90, v65, v79
	v_mul_f32_e32 v65, v81, v80
	v_mul_f32_e32 v70, v81, v78
	;; [unrolled: 1-line block ×3, first 2 shown]
	v_dual_mul_f32 v80, v81, v72 :: v_dual_and_b32 v83, 0x7f800000, v82
	v_mul_f32_e32 v78, v81, v71
	v_mul_f32_e32 v72, v81, v69
	s_mov_b32 s3, exec_lo
	ds_store_b128 v75, v[86:89]
                                        ; implicit-def: $vgpr69
	v_cmpx_ne_u32_e32 0x7f800000, v83
	s_xor_b32 s3, exec_lo, s3
; %bb.44:
	v_bfe_u32 v69, v82, 16, 1
	s_delay_alu instid0(VALU_DEP_1)
	v_add3_u32 v69, v82, v69, 0x7fff
                                        ; implicit-def: $vgpr82
; %bb.45:
	s_and_not1_saveexec_b32 s3, s3
; %bb.46:
	v_and_b32_e32 v69, 0xffff, v82
	v_or_b32_e32 v71, 0x10000, v82
	s_delay_alu instid0(VALU_DEP_2) | instskip(NEXT) | instid1(VALU_DEP_2)
	v_cmp_eq_u32_e32 vcc_lo, 0, v69
	v_cndmask_b32_e32 v69, v71, v82, vcc_lo
; %bb.47:
	s_or_b32 exec_lo, exec_lo, s3
	v_and_b32_e32 v71, 0x7f800000, v72
	s_delay_alu instid0(VALU_DEP_1) | instskip(SKIP_1) | instid1(SALU_CYCLE_1)
	v_cmp_ne_u32_e32 vcc_lo, 0x7f800000, v71
                                        ; implicit-def: $vgpr71
	s_and_saveexec_b32 s3, vcc_lo
	s_xor_b32 s3, exec_lo, s3
; %bb.48:
	v_bfe_u32 v71, v72, 16, 1
	s_delay_alu instid0(VALU_DEP_1)
	v_add3_u32 v71, v72, v71, 0x7fff
                                        ; implicit-def: $vgpr72
; %bb.49:
	s_and_not1_saveexec_b32 s3, s3
; %bb.50:
	v_and_b32_e32 v71, 0xffff, v72
	v_or_b32_e32 v81, 0x10000, v72
	s_delay_alu instid0(VALU_DEP_2) | instskip(NEXT) | instid1(VALU_DEP_2)
	v_cmp_eq_u32_e32 vcc_lo, 0, v71
	v_cndmask_b32_e32 v71, v81, v72, vcc_lo
; %bb.51:
	s_or_b32 exec_lo, exec_lo, s3
	v_and_b32_e32 v72, 0x7f800000, v78
	s_delay_alu instid0(VALU_DEP_1) | instskip(SKIP_1) | instid1(SALU_CYCLE_1)
	v_cmp_ne_u32_e32 vcc_lo, 0x7f800000, v72
                                        ; implicit-def: $vgpr72
	s_and_saveexec_b32 s3, vcc_lo
	s_xor_b32 s3, exec_lo, s3
; %bb.52:
	v_bfe_u32 v72, v78, 16, 1
	s_delay_alu instid0(VALU_DEP_1)
	v_add3_u32 v72, v78, v72, 0x7fff
                                        ; implicit-def: $vgpr78
; %bb.53:
	s_and_not1_saveexec_b32 s3, s3
; %bb.54:
	v_and_b32_e32 v72, 0xffff, v78
	v_or_b32_e32 v81, 0x10000, v78
	s_delay_alu instid0(VALU_DEP_2) | instskip(NEXT) | instid1(VALU_DEP_2)
	v_cmp_eq_u32_e32 vcc_lo, 0, v72
	v_cndmask_b32_e32 v72, v81, v78, vcc_lo
; %bb.55:
	s_or_b32 exec_lo, exec_lo, s3
	v_and_b32_e32 v78, 0x7f800000, v80
	s_delay_alu instid0(VALU_DEP_1) | instskip(SKIP_1) | instid1(SALU_CYCLE_1)
	v_cmp_ne_u32_e32 vcc_lo, 0x7f800000, v78
                                        ; implicit-def: $vgpr78
	s_and_saveexec_b32 s3, vcc_lo
	s_xor_b32 s3, exec_lo, s3
; %bb.56:
	v_bfe_u32 v78, v80, 16, 1
	s_delay_alu instid0(VALU_DEP_1)
	v_add3_u32 v78, v80, v78, 0x7fff
                                        ; implicit-def: $vgpr80
; %bb.57:
	s_and_not1_saveexec_b32 s3, s3
; %bb.58:
	v_and_b32_e32 v78, 0xffff, v80
	v_or_b32_e32 v81, 0x10000, v80
	s_delay_alu instid0(VALU_DEP_2) | instskip(NEXT) | instid1(VALU_DEP_2)
	v_cmp_eq_u32_e32 vcc_lo, 0, v78
	v_cndmask_b32_e32 v78, v81, v80, vcc_lo
; %bb.59:
	s_or_b32 exec_lo, exec_lo, s3
	v_and_b32_e32 v80, 0x7f800000, v76
	s_delay_alu instid0(VALU_DEP_1) | instskip(SKIP_1) | instid1(SALU_CYCLE_1)
	v_cmp_ne_u32_e32 vcc_lo, 0x7f800000, v80
                                        ; implicit-def: $vgpr80
	s_and_saveexec_b32 s3, vcc_lo
	s_xor_b32 s3, exec_lo, s3
; %bb.60:
	v_bfe_u32 v80, v76, 16, 1
	s_delay_alu instid0(VALU_DEP_1)
	v_add3_u32 v80, v76, v80, 0x7fff
                                        ; implicit-def: $vgpr76
; %bb.61:
	s_and_not1_saveexec_b32 s3, s3
; %bb.62:
	v_and_b32_e32 v80, 0xffff, v76
	v_or_b32_e32 v81, 0x10000, v76
	s_delay_alu instid0(VALU_DEP_2) | instskip(NEXT) | instid1(VALU_DEP_2)
	v_cmp_eq_u32_e32 vcc_lo, 0, v80
	v_cndmask_b32_e32 v80, v81, v76, vcc_lo
; %bb.63:
	s_or_b32 exec_lo, exec_lo, s3
	v_and_b32_e32 v76, 0x7f800000, v77
	s_delay_alu instid0(VALU_DEP_1) | instskip(SKIP_1) | instid1(SALU_CYCLE_1)
	v_cmp_ne_u32_e32 vcc_lo, 0x7f800000, v76
                                        ; implicit-def: $vgpr76
	s_and_saveexec_b32 s3, vcc_lo
	s_xor_b32 s3, exec_lo, s3
; %bb.64:
	v_bfe_u32 v76, v77, 16, 1
	s_delay_alu instid0(VALU_DEP_1)
	v_add3_u32 v76, v77, v76, 0x7fff
                                        ; implicit-def: $vgpr77
; %bb.65:
	s_and_not1_saveexec_b32 s3, s3
; %bb.66:
	v_and_b32_e32 v76, 0xffff, v77
	v_or_b32_e32 v81, 0x10000, v77
	s_delay_alu instid0(VALU_DEP_2) | instskip(NEXT) | instid1(VALU_DEP_2)
	v_cmp_eq_u32_e32 vcc_lo, 0, v76
	v_cndmask_b32_e32 v76, v81, v77, vcc_lo
; %bb.67:
	s_or_b32 exec_lo, exec_lo, s3
	v_and_b32_e32 v77, 0x7f800000, v70
	s_delay_alu instid0(VALU_DEP_1) | instskip(SKIP_1) | instid1(SALU_CYCLE_1)
	v_cmp_ne_u32_e32 vcc_lo, 0x7f800000, v77
                                        ; implicit-def: $vgpr77
	s_and_saveexec_b32 s3, vcc_lo
	s_xor_b32 s3, exec_lo, s3
; %bb.68:
	v_bfe_u32 v77, v70, 16, 1
	s_delay_alu instid0(VALU_DEP_1)
	v_add3_u32 v77, v70, v77, 0x7fff
                                        ; implicit-def: $vgpr70
; %bb.69:
	s_and_not1_saveexec_b32 s3, s3
; %bb.70:
	v_and_b32_e32 v77, 0xffff, v70
	v_or_b32_e32 v81, 0x10000, v70
	s_delay_alu instid0(VALU_DEP_2) | instskip(NEXT) | instid1(VALU_DEP_2)
	v_cmp_eq_u32_e32 vcc_lo, 0, v77
	v_cndmask_b32_e32 v77, v81, v70, vcc_lo
; %bb.71:
	s_or_b32 exec_lo, exec_lo, s3
	v_and_b32_e32 v70, 0x7f800000, v65
	s_delay_alu instid0(VALU_DEP_1) | instskip(SKIP_1) | instid1(SALU_CYCLE_1)
	v_cmp_ne_u32_e32 vcc_lo, 0x7f800000, v70
                                        ; implicit-def: $vgpr70
	s_and_saveexec_b32 s3, vcc_lo
	s_xor_b32 s3, exec_lo, s3
; %bb.72:
	v_bfe_u32 v70, v65, 16, 1
	s_delay_alu instid0(VALU_DEP_1)
	v_add3_u32 v70, v65, v70, 0x7fff
                                        ; implicit-def: $vgpr65
; %bb.73:
	s_and_not1_saveexec_b32 s3, s3
; %bb.74:
	v_and_b32_e32 v70, 0xffff, v65
	v_or_b32_e32 v81, 0x10000, v65
	s_delay_alu instid0(VALU_DEP_2) | instskip(NEXT) | instid1(VALU_DEP_2)
	v_cmp_eq_u32_e32 vcc_lo, 0, v70
	v_cndmask_b32_e32 v70, v81, v65, vcc_lo
; %bb.75:
	s_or_b32 exec_lo, exec_lo, s3
	s_delay_alu instid0(VALU_DEP_1)
	v_perm_b32 v85, v70, v77, 0x7060302
	v_perm_b32 v84, v76, v80, 0x7060302
	;; [unrolled: 1-line block ×4, first 2 shown]
	v_lshl_or_b32 v81, v66, 11, v79
	ds_store_b128 v75, v[82:85] offset:1024
	s_waitcnt lgkmcnt(0)
	s_barrier
	buffer_gl0_inv
	ds_load_b128 v[69:72], v81
	ds_load_b128 v[82:85], v81 offset:16
	s_waitcnt lgkmcnt(1)
	v_lshrrev_b32_e32 v65, 16, v69
	v_lshlrev_b32_e32 v77, 2, v74
	v_lshrrev_b32_e32 v66, 16, v70
	s_waitcnt lgkmcnt(0)
	v_lshrrev_b32_e32 v90, 16, v82
	v_lshrrev_b32_e32 v94, 16, v71
	;; [unrolled: 1-line block ×3, first 2 shown]
	v_cmp_eq_u32_e32 vcc_lo, 1, v77
	v_lshrrev_b32_e32 v95, 16, v72
	v_lshrrev_b32_e32 v97, 16, v84
	;; [unrolled: 1-line block ×3, first 2 shown]
	v_cndmask_b32_e32 v80, v69, v65, vcc_lo
	v_or_b32_e32 v78, 1, v77
	v_cmp_eq_u32_e64 s4, 2, v77
	v_cmp_eq_u32_e64 s7, 3, v77
	;; [unrolled: 1-line block ×3, first 2 shown]
	v_or_b32_e32 v76, 2, v77
	v_cmp_eq_u32_e64 s3, 1, v78
	v_cndmask_b32_e64 v80, v80, v70, s4
	v_cmp_eq_u32_e64 s6, 2, v78
	v_cmp_eq_u32_e64 s8, 3, v78
	;; [unrolled: 1-line block ×3, first 2 shown]
	v_cndmask_b32_e64 v87, v69, v65, s3
	v_cndmask_b32_e64 v80, v80, v66, s7
	;; [unrolled: 1-line block ×3, first 2 shown]
	v_cmp_eq_u32_e64 s11, 4, v78
	v_cmp_eq_u32_e64 s5, 1, v76
	v_cndmask_b32_e64 v87, v87, v70, s6
	v_cndmask_b32_e64 v80, v80, v71, s9
	;; [unrolled: 1-line block ×3, first 2 shown]
	v_cmp_eq_u32_e64 s12, 6, v77
	v_cmp_eq_u32_e64 s13, 5, v78
	v_cndmask_b32_e64 v87, v87, v66, s8
	v_cndmask_b32_e64 v80, v80, v94, s10
	;; [unrolled: 1-line block ×4, first 2 shown]
	v_cmp_eq_u32_e64 s16, 7, v77
	v_cndmask_b32_e64 v87, v87, v71, s11
	v_cndmask_b32_e64 v80, v80, v72, s12
	v_cmp_eq_u32_e64 s17, 6, v78
	v_cmp_eq_u32_e64 s18, 2, v76
	v_cndmask_b32_e64 v88, v88, v84, s11
	v_cndmask_b32_e64 v87, v87, v94, s13
	;; [unrolled: 1-line block ×3, first 2 shown]
	v_cmp_eq_u32_e64 s19, 7, v78
	v_cndmask_b32_e64 v80, v89, v70, s18
	v_cmp_eq_u32_e64 s20, 3, v76
	v_cndmask_b32_e64 v87, v87, v72, s17
	v_cmp_eq_u32_e64 s21, 4, v76
	v_cmp_eq_u32_e64 s23, 5, v76
	;; [unrolled: 1-line block ×4, first 2 shown]
	v_cndmask_b32_e64 v101, v87, v95, s19
	v_cndmask_b32_e64 v87, v88, v97, s13
	;; [unrolled: 1-line block ×3, first 2 shown]
	v_or_b32_e32 v80, 3, v77
	s_delay_alu instid0(VALU_DEP_3) | instskip(NEXT) | instid1(VALU_DEP_3)
	v_cndmask_b32_e64 v102, v87, v85, s17
	v_cndmask_b32_e64 v91, v88, v71, s21
	s_delay_alu instid0(VALU_DEP_3)
	v_cmp_eq_u32_e64 s22, 1, v80
	v_cmp_eq_u32_e64 s24, 2, v80
	;; [unrolled: 1-line block ×5, first 2 shown]
	v_cndmask_b32_e64 v65, v69, v65, s22
	v_cmp_eq_u32_e64 s30, 6, v80
	v_cndmask_b32_e64 v103, v91, v94, s23
	s_delay_alu instid0(VALU_DEP_3) | instskip(NEXT) | instid1(VALU_DEP_1)
	v_cndmask_b32_e64 v65, v65, v70, s24
	v_cndmask_b32_e64 v65, v65, v66, s26
	s_delay_alu instid0(VALU_DEP_3) | instskip(NEXT) | instid1(VALU_DEP_2)
	v_cndmask_b32_e64 v66, v103, v72, s25
	v_cndmask_b32_e64 v65, v65, v71, s27
	s_delay_alu instid0(VALU_DEP_2) | instskip(NEXT) | instid1(VALU_DEP_2)
	v_cndmask_b32_e64 v66, v66, v95, s28
	v_cndmask_b32_e64 v65, v65, v94, s29
	s_delay_alu instid0(VALU_DEP_1) | instskip(SKIP_1) | instid1(VALU_DEP_1)
	v_cndmask_b32_e64 v65, v65, v72, s30
	v_cndmask_b32_e32 v86, v82, v90, vcc_lo
	v_cndmask_b32_e64 v86, v86, v83, s4
	s_delay_alu instid0(VALU_DEP_1) | instskip(NEXT) | instid1(VALU_DEP_1)
	v_cndmask_b32_e64 v86, v86, v96, s7
	v_cndmask_b32_e64 v86, v86, v84, s9
	s_delay_alu instid0(VALU_DEP_1) | instskip(NEXT) | instid1(VALU_DEP_1)
	v_cndmask_b32_e64 v86, v86, v97, s10
	v_cndmask_b32_e64 v86, v86, v85, s12
	s_delay_alu instid0(VALU_DEP_1) | instskip(SKIP_2) | instid1(VALU_DEP_2)
	v_cndmask_b32_e64 v100, v86, v98, s16
	v_cndmask_b32_e64 v86, v82, v90, s5
	;; [unrolled: 1-line block ×4, first 2 shown]
	s_delay_alu instid0(VALU_DEP_2) | instskip(SKIP_1) | instid1(VALU_DEP_3)
	v_cndmask_b32_e64 v70, v82, v83, s24
	v_cndmask_b32_e64 v82, v102, v98, s19
	;; [unrolled: 1-line block ×3, first 2 shown]
	ds_load_b128 v[86:89], v81 offset:1024
	v_cndmask_b32_e64 v70, v70, v96, s26
	v_cndmask_b32_e64 v69, v92, v84, s21
	ds_load_b128 v[90:93], v81 offset:1040
	v_cndmask_b32_e64 v70, v70, v84, s27
	v_cndmask_b32_e64 v69, v69, v97, s23
	s_delay_alu instid0(VALU_DEP_2) | instskip(NEXT) | instid1(VALU_DEP_2)
	v_cndmask_b32_e64 v70, v70, v97, s29
	v_cndmask_b32_e64 v69, v69, v85, s25
	s_delay_alu instid0(VALU_DEP_2) | instskip(NEXT) | instid1(VALU_DEP_2)
	v_cndmask_b32_e64 v70, v70, v85, s30
	v_cndmask_b32_e64 v69, v69, v98, s28
	s_waitcnt lgkmcnt(1)
	v_lshrrev_b32_e32 v83, 16, v86
	v_lshrrev_b32_e32 v94, 16, v87
	v_lshrrev_b32_e32 v102, 16, v89
	s_delay_alu instid0(VALU_DEP_3) | instskip(SKIP_3) | instid1(VALU_DEP_3)
	v_cndmask_b32_e32 v71, v86, v83, vcc_lo
	s_waitcnt lgkmcnt(0)
	v_lshrrev_b32_e32 v84, 16, v90
	v_cndmask_b32_e64 v96, v86, v83, s3
	v_cndmask_b32_e64 v71, v71, v87, s4
	s_delay_alu instid0(VALU_DEP_3) | instskip(NEXT) | instid1(VALU_DEP_3)
	v_cndmask_b32_e32 v97, v90, v84, vcc_lo
	v_cndmask_b32_e64 v72, v96, v87, s6
	v_lshrrev_b32_e32 v96, 16, v91
	v_cmp_eq_u32_e32 vcc_lo, 7, v80
	v_cndmask_b32_e64 v71, v71, v94, s7
	v_cndmask_b32_e64 v85, v97, v91, s4
	;; [unrolled: 1-line block ×3, first 2 shown]
	v_lshrrev_b32_e32 v97, 16, v88
	v_cndmask_b32_e32 v65, v65, v95, vcc_lo
	v_cndmask_b32_e64 v71, v71, v88, s9
	v_cndmask_b32_e64 v85, v85, v96, s7
	v_cndmask_b32_e32 v70, v70, v98, vcc_lo
	v_cndmask_b32_e64 v95, v72, v88, s11
	v_lshrrev_b32_e32 v98, 16, v92
	v_cndmask_b32_e64 v71, v71, v97, s10
	v_cndmask_b32_e64 v85, v85, v92, s9
	v_perm_b32 v72, v70, v65, 0x5040100
	v_cndmask_b32_e64 v65, v95, v97, s13
	v_perm_b32 v70, v82, v101, 0x5040100
	v_cndmask_b32_e64 v95, v71, v89, s12
	v_cndmask_b32_e64 v85, v85, v98, s10
	v_perm_b32 v71, v69, v66, 0x5040100
	v_cndmask_b32_e64 v65, v65, v89, s17
	v_lshrrev_b32_e32 v82, 16, v93
	v_cndmask_b32_e64 v66, v95, v102, s16
	v_cndmask_b32_e64 v69, v85, v93, s12
	;; [unrolled: 1-line block ×34, first 2 shown]
	v_cndmask_b32_e32 v83, v83, v102, vcc_lo
	v_cndmask_b32_e32 v85, v86, v82, vcc_lo
	v_cndmask_b32_e64 v86, v87, v82, s28
	v_cndmask_b32_e64 v87, v84, v82, s19
	;; [unrolled: 1-line block ×3, first 2 shown]
	v_perm_b32 v69, v100, v99, 0x5040100
	v_perm_b32 v85, v85, v83, 0x5040100
	;; [unrolled: 1-line block ×5, first 2 shown]
	s_mov_b32 s3, exec_lo
	ds_store_b128 v75, v[69:72]
	ds_store_b128 v75, v[82:85] offset:1024
	v_cmpx_eq_u32_e32 0, v0
	s_cbranch_execz .LBB1522_77
; %bb.76:
	s_load_b128 s[4:7], s[0:1], 0x58
	s_mul_i32 s8, s37, s34
	v_mov_b32_e32 v65, 0
	s_add_i32 s8, s8, s15
	s_delay_alu instid0(SALU_CYCLE_1) | instskip(NEXT) | instid1(SALU_CYCLE_1)
	s_mul_i32 s8, s8, s36
	s_add_i32 s8, s8, s14
	s_delay_alu instid0(SALU_CYCLE_1) | instskip(NEXT) | instid1(SALU_CYCLE_1)
	s_ashr_i32 s9, s8, 31
	s_lshl_b64 s[8:9], s[8:9], 2
	s_waitcnt lgkmcnt(0)
	s_add_u32 s6, s6, s8
	s_addc_u32 s7, s7, s9
	s_add_u32 s4, s4, s8
	s_addc_u32 s5, s5, s9
	s_clause 0x1
	global_store_b32 v65, v67, s[6:7]
	global_store_b32 v65, v68, s[4:5]
.LBB1522_77:
	s_or_b32 exec_lo, exec_lo, s3
	s_waitcnt lgkmcnt(0)
	s_waitcnt_vscnt null, 0x0
	s_barrier
	buffer_gl0_inv
	ds_load_b128 v[82:85], v79
	ds_load_b128 v[86:89], v79 offset:16
	ds_load_b128 v[94:97], v79 offset:2064
	;; [unrolled: 1-line block ×3, first 2 shown]
	v_mov_b32_e32 v65, 0
	ds_load_b128 v[102:105], v79 offset:4112
	ds_load_b128 v[98:101], v79 offset:4096
	ds_load_b128 v[110:113], v79 offset:6160
	ds_load_b128 v[106:109], v79 offset:6144
	v_mov_b32_e32 v66, v65
	v_mov_b32_e32 v67, v65
	;; [unrolled: 1-line block ×7, first 2 shown]
	s_waitcnt lgkmcnt(6)
	s_delay_alu instid0(VALU_DEP_1)
	v_wmma_f32_16x16x16_bf16 v[65:72], v[49:56], v[82:89], v[65:72]
	ds_load_b128 v[53:56], v79 offset:8208
	ds_load_b128 v[49:52], v79 offset:8192
	s_waitcnt lgkmcnt(6)
	v_wmma_f32_16x16x16_bf16 v[65:72], v[41:48], v[90:97], v[65:72]
	ds_load_b128 v[45:48], v79 offset:10256
	ds_load_b128 v[41:44], v79 offset:10240
	s_waitcnt lgkmcnt(6)
	;; [unrolled: 4-line block ×4, first 2 shown]
	v_wmma_f32_16x16x16_bf16 v[65:72], v[1:8], v[49:56], v[65:72]
	s_waitcnt lgkmcnt(4)
	s_delay_alu instid0(VALU_DEP_1) | instskip(SKIP_1) | instid1(VALU_DEP_1)
	v_wmma_f32_16x16x16_bf16 v[65:72], v[9:16], v[41:48], v[65:72]
	s_waitcnt lgkmcnt(2)
	v_wmma_f32_16x16x16_bf16 v[65:72], v[17:24], v[33:40], v[65:72]
	s_waitcnt lgkmcnt(0)
	s_delay_alu instid0(VALU_DEP_1) | instskip(NEXT) | instid1(VALU_DEP_1)
	v_wmma_f32_16x16x16_bf16 v[65:72], v[57:64], v[25:32], v[65:72]
	v_and_b32_e32 v1, 0x7f800000, v65
	s_delay_alu instid0(VALU_DEP_1) | instskip(SKIP_1) | instid1(SALU_CYCLE_1)
	v_cmp_ne_u32_e32 vcc_lo, 0x7f800000, v1
                                        ; implicit-def: $vgpr1
	s_and_saveexec_b32 s3, vcc_lo
	s_xor_b32 s3, exec_lo, s3
; %bb.78:
	v_bfe_u32 v1, v65, 16, 1
	s_delay_alu instid0(VALU_DEP_1)
	v_add3_u32 v1, v65, v1, 0x7fff
; %bb.79:
	s_and_not1_saveexec_b32 s3, s3
; %bb.80:
	v_and_b32_e32 v1, 0xffff, v65
	v_or_b32_e32 v2, 0x10000, v65
	s_delay_alu instid0(VALU_DEP_2) | instskip(NEXT) | instid1(VALU_DEP_2)
	v_cmp_eq_u32_e32 vcc_lo, 0, v1
	v_cndmask_b32_e32 v1, v2, v65, vcc_lo
; %bb.81:
	s_or_b32 exec_lo, exec_lo, s3
	v_and_b32_e32 v2, 0x7f800000, v66
	s_delay_alu instid0(VALU_DEP_1) | instskip(SKIP_1) | instid1(SALU_CYCLE_1)
	v_cmp_ne_u32_e32 vcc_lo, 0x7f800000, v2
                                        ; implicit-def: $vgpr2
	s_and_saveexec_b32 s3, vcc_lo
	s_xor_b32 s3, exec_lo, s3
; %bb.82:
	v_bfe_u32 v2, v66, 16, 1
	s_delay_alu instid0(VALU_DEP_1)
	v_add3_u32 v2, v66, v2, 0x7fff
; %bb.83:
	s_and_not1_saveexec_b32 s3, s3
; %bb.84:
	v_and_b32_e32 v2, 0xffff, v66
	v_or_b32_e32 v3, 0x10000, v66
	s_delay_alu instid0(VALU_DEP_2) | instskip(NEXT) | instid1(VALU_DEP_2)
	v_cmp_eq_u32_e32 vcc_lo, 0, v2
	v_cndmask_b32_e32 v2, v3, v66, vcc_lo
; %bb.85:
	s_or_b32 exec_lo, exec_lo, s3
	v_and_b32_e32 v3, 0x7f800000, v67
	s_delay_alu instid0(VALU_DEP_1) | instskip(SKIP_1) | instid1(SALU_CYCLE_1)
	v_cmp_ne_u32_e32 vcc_lo, 0x7f800000, v3
                                        ; implicit-def: $vgpr3
	s_and_saveexec_b32 s3, vcc_lo
	s_xor_b32 s3, exec_lo, s3
; %bb.86:
	v_bfe_u32 v3, v67, 16, 1
	s_delay_alu instid0(VALU_DEP_1)
	v_add3_u32 v3, v67, v3, 0x7fff
; %bb.87:
	s_and_not1_saveexec_b32 s3, s3
; %bb.88:
	v_and_b32_e32 v3, 0xffff, v67
	v_or_b32_e32 v4, 0x10000, v67
	s_delay_alu instid0(VALU_DEP_2) | instskip(NEXT) | instid1(VALU_DEP_2)
	v_cmp_eq_u32_e32 vcc_lo, 0, v3
	v_cndmask_b32_e32 v3, v4, v67, vcc_lo
; %bb.89:
	s_or_b32 exec_lo, exec_lo, s3
	v_and_b32_e32 v4, 0x7f800000, v68
	s_delay_alu instid0(VALU_DEP_1) | instskip(SKIP_1) | instid1(SALU_CYCLE_1)
	v_cmp_ne_u32_e32 vcc_lo, 0x7f800000, v4
                                        ; implicit-def: $vgpr4
	s_and_saveexec_b32 s3, vcc_lo
	s_xor_b32 s3, exec_lo, s3
; %bb.90:
	v_bfe_u32 v4, v68, 16, 1
	s_delay_alu instid0(VALU_DEP_1)
	v_add3_u32 v4, v68, v4, 0x7fff
; %bb.91:
	s_and_not1_saveexec_b32 s3, s3
; %bb.92:
	v_and_b32_e32 v4, 0xffff, v68
	v_or_b32_e32 v5, 0x10000, v68
	s_delay_alu instid0(VALU_DEP_2) | instskip(NEXT) | instid1(VALU_DEP_2)
	v_cmp_eq_u32_e32 vcc_lo, 0, v4
	v_cndmask_b32_e32 v4, v5, v68, vcc_lo
; %bb.93:
	s_or_b32 exec_lo, exec_lo, s3
	v_and_b32_e32 v5, 0x7f800000, v69
	s_delay_alu instid0(VALU_DEP_1) | instskip(SKIP_1) | instid1(SALU_CYCLE_1)
	v_cmp_ne_u32_e32 vcc_lo, 0x7f800000, v5
                                        ; implicit-def: $vgpr5
	s_and_saveexec_b32 s3, vcc_lo
	s_xor_b32 s3, exec_lo, s3
; %bb.94:
	v_bfe_u32 v5, v69, 16, 1
	s_delay_alu instid0(VALU_DEP_1)
	v_add3_u32 v5, v69, v5, 0x7fff
; %bb.95:
	s_and_not1_saveexec_b32 s3, s3
; %bb.96:
	v_and_b32_e32 v5, 0xffff, v69
	v_or_b32_e32 v6, 0x10000, v69
	s_delay_alu instid0(VALU_DEP_2) | instskip(NEXT) | instid1(VALU_DEP_2)
	v_cmp_eq_u32_e32 vcc_lo, 0, v5
	v_cndmask_b32_e32 v5, v6, v69, vcc_lo
; %bb.97:
	s_or_b32 exec_lo, exec_lo, s3
	v_and_b32_e32 v6, 0x7f800000, v70
	s_delay_alu instid0(VALU_DEP_1) | instskip(SKIP_1) | instid1(SALU_CYCLE_1)
	v_cmp_ne_u32_e32 vcc_lo, 0x7f800000, v6
                                        ; implicit-def: $vgpr6
	s_and_saveexec_b32 s3, vcc_lo
	s_xor_b32 s3, exec_lo, s3
; %bb.98:
	v_bfe_u32 v6, v70, 16, 1
	s_delay_alu instid0(VALU_DEP_1)
	v_add3_u32 v6, v70, v6, 0x7fff
; %bb.99:
	s_and_not1_saveexec_b32 s3, s3
; %bb.100:
	v_and_b32_e32 v6, 0xffff, v70
	v_or_b32_e32 v7, 0x10000, v70
	s_delay_alu instid0(VALU_DEP_2) | instskip(NEXT) | instid1(VALU_DEP_2)
	v_cmp_eq_u32_e32 vcc_lo, 0, v6
	v_cndmask_b32_e32 v6, v7, v70, vcc_lo
; %bb.101:
	s_or_b32 exec_lo, exec_lo, s3
	v_and_b32_e32 v7, 0x7f800000, v71
	s_delay_alu instid0(VALU_DEP_1) | instskip(SKIP_1) | instid1(SALU_CYCLE_1)
	v_cmp_ne_u32_e32 vcc_lo, 0x7f800000, v7
                                        ; implicit-def: $vgpr7
	s_and_saveexec_b32 s3, vcc_lo
	s_xor_b32 s3, exec_lo, s3
; %bb.102:
	v_bfe_u32 v7, v71, 16, 1
	s_delay_alu instid0(VALU_DEP_1)
	v_add3_u32 v7, v71, v7, 0x7fff
; %bb.103:
	s_and_not1_saveexec_b32 s3, s3
; %bb.104:
	v_and_b32_e32 v7, 0xffff, v71
	v_or_b32_e32 v8, 0x10000, v71
	s_delay_alu instid0(VALU_DEP_2) | instskip(NEXT) | instid1(VALU_DEP_2)
	v_cmp_eq_u32_e32 vcc_lo, 0, v7
	v_cndmask_b32_e32 v7, v8, v71, vcc_lo
; %bb.105:
	s_or_b32 exec_lo, exec_lo, s3
	v_and_b32_e32 v8, 0x7f800000, v72
	s_delay_alu instid0(VALU_DEP_1) | instskip(SKIP_1) | instid1(SALU_CYCLE_1)
	v_cmp_ne_u32_e32 vcc_lo, 0x7f800000, v8
                                        ; implicit-def: $vgpr8
	s_and_saveexec_b32 s3, vcc_lo
	s_xor_b32 s3, exec_lo, s3
; %bb.106:
	v_bfe_u32 v8, v72, 16, 1
	s_delay_alu instid0(VALU_DEP_1)
	v_add3_u32 v8, v72, v8, 0x7fff
                                        ; implicit-def: $vgpr65_vgpr66_vgpr67_vgpr68_vgpr69_vgpr70_vgpr71_vgpr72
; %bb.107:
	s_and_not1_saveexec_b32 s3, s3
; %bb.108:
	v_and_b32_e32 v8, 0xffff, v72
	v_or_b32_e32 v9, 0x10000, v72
	s_delay_alu instid0(VALU_DEP_2) | instskip(NEXT) | instid1(VALU_DEP_2)
	v_cmp_eq_u32_e32 vcc_lo, 0, v8
	v_cndmask_b32_e32 v8, v9, v72, vcc_lo
; %bb.109:
	s_or_b32 exec_lo, exec_lo, s3
	s_delay_alu instid0(VALU_DEP_1)
	v_perm_b32 v7, v8, v7, 0x7060302
	v_perm_b32 v6, v6, v5, 0x7060302
	;; [unrolled: 1-line block ×4, first 2 shown]
	s_barrier
	buffer_gl0_inv
	v_cmp_eq_u32_e32 vcc_lo, 1, v77
	ds_store_b128 v75, v[4:7]
	s_waitcnt lgkmcnt(0)
	s_barrier
	buffer_gl0_inv
	ds_load_b128 v[1:4], v81
	ds_load_b128 v[5:8], v81 offset:16
	v_cmp_eq_u32_e64 s3, 1, v78
	v_cmp_eq_u32_e64 s4, 2, v77
	;; [unrolled: 1-line block ×5, first 2 shown]
	s_xor_b32 s2, s2, -1
	s_waitcnt lgkmcnt(1)
	v_lshrrev_b32_e32 v9, 16, v1
	s_waitcnt lgkmcnt(0)
	v_lshrrev_b32_e32 v13, 16, v5
	v_lshrrev_b32_e32 v10, 16, v2
	;; [unrolled: 1-line block ×4, first 2 shown]
	v_cndmask_b32_e64 v19, v1, v9, s3
	v_cndmask_b32_e32 v18, v5, v13, vcc_lo
	v_cndmask_b32_e64 v20, v5, v13, s3
	v_cndmask_b32_e32 v17, v1, v9, vcc_lo
	v_cmp_eq_u32_e32 vcc_lo, 2, v78
	v_lshrrev_b32_e32 v15, 16, v7
	v_cmp_eq_u32_e64 s3, 1, v76
	v_lshrrev_b32_e32 v12, 16, v4
	v_lshrrev_b32_e32 v16, 16, v8
	v_cndmask_b32_e32 v20, v20, v6, vcc_lo
	v_cndmask_b32_e64 v17, v17, v2, s4
	v_cndmask_b32_e32 v19, v19, v2, vcc_lo
	v_cndmask_b32_e64 v18, v18, v6, s4
	v_cmp_eq_u32_e32 vcc_lo, 4, v77
	v_cmp_eq_u32_e64 s4, 3, v78
	v_cndmask_b32_e64 v17, v17, v10, s5
	v_cndmask_b32_e64 v21, v1, v9, s3
	;; [unrolled: 1-line block ×5, first 2 shown]
	v_cndmask_b32_e32 v17, v17, v3, vcc_lo
	v_cndmask_b32_e64 v20, v20, v14, s4
	v_cndmask_b32_e32 v18, v18, v7, vcc_lo
	v_cmp_eq_u32_e32 vcc_lo, 4, v78
	v_cmp_eq_u32_e64 s4, 5, v78
	v_cmp_eq_u32_e64 s3, 2, v80
	v_cndmask_b32_e64 v21, v21, v2, s7
	v_cmp_eq_u32_e64 s5, 5, v77
	v_cndmask_b32_e32 v19, v19, v3, vcc_lo
	v_cndmask_b32_e32 v20, v20, v7, vcc_lo
	v_cmp_eq_u32_e32 vcc_lo, 6, v78
	s_delay_alu instid0(VALU_DEP_4) | instskip(NEXT) | instid1(VALU_DEP_4)
	v_cndmask_b32_e64 v17, v17, v11, s5
	v_cndmask_b32_e64 v19, v19, v11, s4
	s_delay_alu instid0(VALU_DEP_4) | instskip(SKIP_1) | instid1(VALU_DEP_3)
	v_cndmask_b32_e64 v20, v20, v15, s4
	v_cmp_eq_u32_e64 s4, 1, v80
	v_cndmask_b32_e32 v19, v19, v4, vcc_lo
	v_cndmask_b32_e64 v18, v18, v15, s5
	s_delay_alu instid0(VALU_DEP_3)
	v_cndmask_b32_e64 v1, v1, v9, s4
	v_cndmask_b32_e64 v5, v5, v13, s4
	v_cmp_eq_u32_e64 s4, 3, v76
	v_cndmask_b32_e64 v13, v22, v6, s7
	v_cmp_eq_u32_e64 s7, 3, v80
	v_cndmask_b32_e64 v1, v1, v2, s3
	v_cndmask_b32_e64 v2, v5, v6, s3
	;; [unrolled: 1-line block ×3, first 2 shown]
	v_cmp_eq_u32_e64 s3, 4, v76
	v_cndmask_b32_e64 v6, v13, v14, s4
	v_cndmask_b32_e64 v1, v1, v10, s7
	v_cmp_eq_u32_e64 s4, 4, v80
	v_cndmask_b32_e64 v2, v2, v14, s7
	v_cndmask_b32_e64 v5, v9, v3, s3
	;; [unrolled: 3-line block ×3, first 2 shown]
	v_cndmask_b32_e64 v2, v2, v7, s4
	v_cmp_eq_u32_e64 s3, 5, v80
	v_cmp_eq_u32_e64 s5, 6, v77
	v_cndmask_b32_e64 v5, v5, v11, s7
	v_cmp_eq_u32_e64 s4, 6, v76
	v_cndmask_b32_e64 v3, v6, v15, s7
	v_cndmask_b32_e64 v1, v1, v11, s3
	v_cmp_eq_u32_e64 s7, 6, v80
	v_cndmask_b32_e64 v2, v2, v15, s3
	v_cndmask_b32_e64 v17, v17, v4, s5
	v_cndmask_b32_e64 v18, v18, v8, s5
	v_cmp_eq_u32_e64 s5, 7, v77
	v_cndmask_b32_e64 v5, v5, v4, s4
	;; [unrolled: 4-line block ×3, first 2 shown]
	v_cmp_eq_u32_e64 s4, 7, v76
	v_cndmask_b32_e32 v4, v20, v8, vcc_lo
	v_cndmask_b32_e64 v17, v17, v12, s5
	v_cndmask_b32_e64 v19, v19, v12, s6
	;; [unrolled: 1-line block ×8, first 2 shown]
	v_cmp_gt_u32_e32 vcc_lo, 32, v0
	v_perm_b32 v4, v2, v1, 0x5040100
	v_perm_b32 v3, v3, v5, 0x5040100
	;; [unrolled: 1-line block ×4, first 2 shown]
	s_and_b32 s2, vcc_lo, s2
	ds_store_b128 v75, v[1:4]
	s_waitcnt lgkmcnt(0)
	s_barrier
	buffer_gl0_inv
	s_and_saveexec_b32 s3, s2
	s_cbranch_execz .LBB1522_2
; %bb.110:
	s_load_b64 s[0:1], s[0:1], 0x68
	v_lshlrev_b32_e32 v1, 10, v0
	v_and_b32_e32 v0, 1, v0
	v_lshlrev_b32_e32 v2, 6, v74
	s_lshl_b32 s4, s36, 7
	s_delay_alu instid0(VALU_DEP_3) | instskip(NEXT) | instid1(VALU_DEP_3)
	v_and_b32_e32 v1, 0x3800, v1
	v_lshlrev_b32_e32 v0, 4, v0
	s_mul_i32 s2, s4, s34
	s_delay_alu instid0(SALU_CYCLE_1) | instskip(NEXT) | instid1(VALU_DEP_1)
	s_mul_i32 s2, s2, s37
	v_or3_b32 v0, v1, v2, v0
	s_ashr_i32 s3, s2, 31
	s_delay_alu instid0(SALU_CYCLE_1)
	s_lshl_b64 s[2:3], s[2:3], 1
	ds_load_b128 v[0:3], v0
	s_waitcnt lgkmcnt(0)
	s_add_u32 s5, s0, s2
	s_addc_u32 s3, s1, s3
	s_lshl_b32 s0, s14, 7
	s_mul_i32 s2, s4, s15
	s_ashr_i32 s1, s0, 31
	s_delay_alu instid0(SALU_CYCLE_1) | instskip(NEXT) | instid1(SALU_CYCLE_1)
	s_lshl_b64 s[0:1], s[0:1], 1
	s_add_u32 s4, s5, s0
	s_addc_u32 s5, s3, s1
	s_ashr_i32 s3, s2, 31
	s_delay_alu instid0(SALU_CYCLE_1) | instskip(NEXT) | instid1(SALU_CYCLE_1)
	s_lshl_b64 s[0:1], s[2:3], 1
	s_add_u32 s0, s4, s0
	s_addc_u32 s1, s5, s1
	global_store_b128 v73, v[0:3], s[0:1]
	s_nop 0
	s_sendmsg sendmsg(MSG_DEALLOC_VGPRS)
	s_endpgm
	.section	.rodata,"a",@progbits
	.p2align	6, 0x0
	.amdhsa_kernel _Z39paged_attention_ll4mi_QKV_mfma16_kernelI14__hip_bfloat16hLN4vllm18Fp8KVCacheDataTypeE1EhLi16ELi128ELi256ELb1ELi1EL8MFMAType1EEvPKT_PKT0_S9_ifPKiSB_SB_iPKfiiiPfSE_PS4_PT2_iSD_SD_
		.amdhsa_group_segment_fixed_size 17472
		.amdhsa_private_segment_fixed_size 0
		.amdhsa_kernarg_size 400
		.amdhsa_user_sgpr_count 13
		.amdhsa_user_sgpr_dispatch_ptr 0
		.amdhsa_user_sgpr_queue_ptr 0
		.amdhsa_user_sgpr_kernarg_segment_ptr 1
		.amdhsa_user_sgpr_dispatch_id 0
		.amdhsa_user_sgpr_private_segment_size 0
		.amdhsa_wavefront_size32 1
		.amdhsa_uses_dynamic_stack 0
		.amdhsa_enable_private_segment 0
		.amdhsa_system_sgpr_workgroup_id_x 1
		.amdhsa_system_sgpr_workgroup_id_y 1
		.amdhsa_system_sgpr_workgroup_id_z 1
		.amdhsa_system_sgpr_workgroup_info 0
		.amdhsa_system_vgpr_workitem_id 0
		.amdhsa_next_free_vgpr 138
		.amdhsa_next_free_sgpr 66
		.amdhsa_reserve_vcc 1
		.amdhsa_float_round_mode_32 0
		.amdhsa_float_round_mode_16_64 0
		.amdhsa_float_denorm_mode_32 3
		.amdhsa_float_denorm_mode_16_64 3
		.amdhsa_dx10_clamp 1
		.amdhsa_ieee_mode 1
		.amdhsa_fp16_overflow 0
		.amdhsa_workgroup_processor_mode 1
		.amdhsa_memory_ordered 1
		.amdhsa_forward_progress 0
		.amdhsa_shared_vgpr_count 0
		.amdhsa_exception_fp_ieee_invalid_op 0
		.amdhsa_exception_fp_denorm_src 0
		.amdhsa_exception_fp_ieee_div_zero 0
		.amdhsa_exception_fp_ieee_overflow 0
		.amdhsa_exception_fp_ieee_underflow 0
		.amdhsa_exception_fp_ieee_inexact 0
		.amdhsa_exception_int_div_zero 0
	.end_amdhsa_kernel
	.section	.text._Z39paged_attention_ll4mi_QKV_mfma16_kernelI14__hip_bfloat16hLN4vllm18Fp8KVCacheDataTypeE1EhLi16ELi128ELi256ELb1ELi1EL8MFMAType1EEvPKT_PKT0_S9_ifPKiSB_SB_iPKfiiiPfSE_PS4_PT2_iSD_SD_,"axG",@progbits,_Z39paged_attention_ll4mi_QKV_mfma16_kernelI14__hip_bfloat16hLN4vllm18Fp8KVCacheDataTypeE1EhLi16ELi128ELi256ELb1ELi1EL8MFMAType1EEvPKT_PKT0_S9_ifPKiSB_SB_iPKfiiiPfSE_PS4_PT2_iSD_SD_,comdat
.Lfunc_end1522:
	.size	_Z39paged_attention_ll4mi_QKV_mfma16_kernelI14__hip_bfloat16hLN4vllm18Fp8KVCacheDataTypeE1EhLi16ELi128ELi256ELb1ELi1EL8MFMAType1EEvPKT_PKT0_S9_ifPKiSB_SB_iPKfiiiPfSE_PS4_PT2_iSD_SD_, .Lfunc_end1522-_Z39paged_attention_ll4mi_QKV_mfma16_kernelI14__hip_bfloat16hLN4vllm18Fp8KVCacheDataTypeE1EhLi16ELi128ELi256ELb1ELi1EL8MFMAType1EEvPKT_PKT0_S9_ifPKiSB_SB_iPKfiiiPfSE_PS4_PT2_iSD_SD_
                                        ; -- End function
	.section	.AMDGPU.csdata,"",@progbits
; Kernel info:
; codeLenInByte = 8640
; NumSgprs: 68
; NumVgprs: 138
; ScratchSize: 0
; MemoryBound: 1
; FloatMode: 240
; IeeeMode: 1
; LDSByteSize: 17472 bytes/workgroup (compile time only)
; SGPRBlocks: 8
; VGPRBlocks: 17
; NumSGPRsForWavesPerEU: 68
; NumVGPRsForWavesPerEU: 138
; Occupancy: 10
; WaveLimiterHint : 1
; COMPUTE_PGM_RSRC2:SCRATCH_EN: 0
; COMPUTE_PGM_RSRC2:USER_SGPR: 13
; COMPUTE_PGM_RSRC2:TRAP_HANDLER: 0
; COMPUTE_PGM_RSRC2:TGID_X_EN: 1
; COMPUTE_PGM_RSRC2:TGID_Y_EN: 1
; COMPUTE_PGM_RSRC2:TGID_Z_EN: 1
; COMPUTE_PGM_RSRC2:TIDIG_COMP_CNT: 0
	.section	.text._Z39paged_attention_ll4mi_QKV_mfma16_kernelI14__hip_bfloat16hLN4vllm18Fp8KVCacheDataTypeE1EhLi16ELi128ELi256ELb1ELi2EL8MFMAType1EEvPKT_PKT0_S9_ifPKiSB_SB_iPKfiiiPfSE_PS4_PT2_iSD_SD_,"axG",@progbits,_Z39paged_attention_ll4mi_QKV_mfma16_kernelI14__hip_bfloat16hLN4vllm18Fp8KVCacheDataTypeE1EhLi16ELi128ELi256ELb1ELi2EL8MFMAType1EEvPKT_PKT0_S9_ifPKiSB_SB_iPKfiiiPfSE_PS4_PT2_iSD_SD_,comdat
	.protected	_Z39paged_attention_ll4mi_QKV_mfma16_kernelI14__hip_bfloat16hLN4vllm18Fp8KVCacheDataTypeE1EhLi16ELi128ELi256ELb1ELi2EL8MFMAType1EEvPKT_PKT0_S9_ifPKiSB_SB_iPKfiiiPfSE_PS4_PT2_iSD_SD_ ; -- Begin function _Z39paged_attention_ll4mi_QKV_mfma16_kernelI14__hip_bfloat16hLN4vllm18Fp8KVCacheDataTypeE1EhLi16ELi128ELi256ELb1ELi2EL8MFMAType1EEvPKT_PKT0_S9_ifPKiSB_SB_iPKfiiiPfSE_PS4_PT2_iSD_SD_
	.globl	_Z39paged_attention_ll4mi_QKV_mfma16_kernelI14__hip_bfloat16hLN4vllm18Fp8KVCacheDataTypeE1EhLi16ELi128ELi256ELb1ELi2EL8MFMAType1EEvPKT_PKT0_S9_ifPKiSB_SB_iPKfiiiPfSE_PS4_PT2_iSD_SD_
	.p2align	8
	.type	_Z39paged_attention_ll4mi_QKV_mfma16_kernelI14__hip_bfloat16hLN4vllm18Fp8KVCacheDataTypeE1EhLi16ELi128ELi256ELb1ELi2EL8MFMAType1EEvPKT_PKT0_S9_ifPKiSB_SB_iPKfiiiPfSE_PS4_PT2_iSD_SD_,@function
_Z39paged_attention_ll4mi_QKV_mfma16_kernelI14__hip_bfloat16hLN4vllm18Fp8KVCacheDataTypeE1EhLi16ELi128ELi256ELb1ELi2EL8MFMAType1EEvPKT_PKT0_S9_ifPKiSB_SB_iPKfiiiPfSE_PS4_PT2_iSD_SD_: ; @_Z39paged_attention_ll4mi_QKV_mfma16_kernelI14__hip_bfloat16hLN4vllm18Fp8KVCacheDataTypeE1EhLi16ELi128ELi256ELb1ELi2EL8MFMAType1EEvPKT_PKT0_S9_ifPKiSB_SB_iPKfiiiPfSE_PS4_PT2_iSD_SD_
; %bb.0:
	s_load_b64 s[2:3], s[0:1], 0x30
	s_mov_b32 s30, s13
	s_waitcnt lgkmcnt(0)
	s_cmp_lg_u64 s[2:3], 0
	s_cselect_b32 s6, -1, 0
	s_ashr_i32 s31, s13, 31
	s_cmp_eq_u64 s[2:3], 0
	s_cbranch_scc1 .LBB1523_3
; %bb.1:
	s_lshl_b64 s[4:5], s[30:31], 2
	s_delay_alu instid0(SALU_CYCLE_1) | instskip(SKIP_4) | instid1(SALU_CYCLE_1)
	s_add_u32 s4, s2, s4
	s_addc_u32 s5, s3, s5
	s_load_b64 s[4:5], s[4:5], 0x0
	s_waitcnt lgkmcnt(0)
	s_sub_i32 s4, s5, s4
	s_cmp_eq_u32 s4, 1
	s_cselect_b32 s4, -1, 0
	s_delay_alu instid0(SALU_CYCLE_1)
	s_and_not1_b32 vcc_lo, exec_lo, s4
	s_cbranch_vccz .LBB1523_4
.LBB1523_2:
	s_endpgm
.LBB1523_3:
.LBB1523_4:
	s_load_b64 s[8:9], s[0:1], 0x28
	s_lshl_b64 s[4:5], s[30:31], 2
	s_waitcnt lgkmcnt(0)
	s_add_u32 s8, s8, s4
	s_addc_u32 s9, s9, s5
	s_lshl_b32 s16, s14, 8
	s_load_b32 s18, s[8:9], 0x0
	s_waitcnt lgkmcnt(0)
	s_cmp_ge_i32 s16, s18
	s_cbranch_scc1 .LBB1523_2
; %bb.5:
	s_clause 0x1
	s_load_b128 s[8:11], s[0:1], 0x8
	s_load_b64 s[12:13], s[0:1], 0x20
	s_and_not1_b32 vcc_lo, exec_lo, s6
	s_cbranch_vccnz .LBB1523_7
; %bb.6:
	s_add_u32 s2, s2, s4
	s_addc_u32 s3, s3, s5
	s_load_b32 s3, s[2:3], 0x0
	s_branch .LBB1523_8
.LBB1523_7:
	s_mov_b32 s3, s30
.LBB1523_8:
	s_load_b128 s[4:7], s[0:1], 0x48
	v_and_b32_e32 v66, 15, v0
	v_bfe_u32 v65, v0, 4, 1
	s_lshl_b32 s31, s15, 1
	v_and_b32_e32 v67, 31, v0
	v_and_b32_e32 v76, 1, v0
	v_lshlrev_b32_e32 v1, 3, v66
	v_cmp_gt_u32_e64 s2, 32, v0
	v_or_b32_e32 v75, s31, v65
	v_lshlrev_b32_e32 v74, 6, v65
	s_delay_alu instid0(VALU_DEP_4)
	v_lshlrev_b32_e32 v73, 1, v1
	s_waitcnt lgkmcnt(0)
	s_and_saveexec_b32 s7, s2
	s_cbranch_execz .LBB1523_10
; %bb.9:
	s_load_b64 s[20:21], s[0:1], 0x0
	v_lshlrev_b32_e32 v1, 7, v75
	s_mul_hi_i32 s23, s3, s4
	s_mul_i32 s22, s3, s4
	v_lshlrev_b32_e32 v5, 10, v66
	s_lshl_b64 s[22:23], s[22:23], 1
	v_ashrrev_i32_e32 v2, 31, v1
	v_lshlrev_b32_e32 v6, 10, v76
	s_delay_alu instid0(VALU_DEP_3) | instskip(NEXT) | instid1(VALU_DEP_3)
	v_and_b32_e32 v5, 0x3800, v5
	v_lshlrev_b64 v[1:2], 1, v[1:2]
	s_delay_alu instid0(VALU_DEP_2) | instskip(SKIP_3) | instid1(VALU_DEP_2)
	v_or3_b32 v5, v5, v6, v74
	s_waitcnt lgkmcnt(0)
	s_add_u32 s3, s20, s22
	s_addc_u32 s4, s21, s23
	v_add_co_u32 v1, vcc_lo, s3, v1
	v_add_co_ci_u32_e32 v2, vcc_lo, s4, v2, vcc_lo
	s_delay_alu instid0(VALU_DEP_2) | instskip(NEXT) | instid1(VALU_DEP_2)
	v_add_co_u32 v1, vcc_lo, v1, v73
	v_add_co_ci_u32_e32 v2, vcc_lo, 0, v2, vcc_lo
	global_load_b128 v[1:4], v[1:2], off
	s_waitcnt vmcnt(0)
	ds_store_b128 v5, v[1:4]
.LBB1523_10:
	s_or_b32 exec_lo, exec_lo, s7
	v_and_b32_e32 v1, 0xef, v0
	s_add_i32 s3, s18, 15
	s_clause 0x1
	s_load_b32 s4, s[0:1], 0x38
	s_load_b32 s19, s[0:1], 0x1c
	s_ashr_i32 s7, s3, 31
	v_add_nc_u32_e32 v1, s16, v1
	s_lshr_b32 s7, s7, 28
	s_waitcnt lgkmcnt(0)
	s_add_i32 s3, s3, s7
	s_barrier
	v_ashrrev_i32_e32 v2, 31, v1
	v_or_b32_e32 v3, 16, v1
	s_ashr_i32 s3, s3, 4
	v_cmp_gt_i32_e32 vcc_lo, s18, v1
	s_add_i32 s3, s3, -1
	v_lshrrev_b32_e32 v2, 28, v2
	buffer_gl0_inv
	s_mul_i32 s15, s15, s6
	v_lshrrev_b32_e32 v68, 5, v0
	v_lshlrev_b32_e32 v33, 4, v66
	v_add_nc_u32_e32 v4, v1, v2
	v_lshlrev_b32_e32 v137, 6, v76
	s_mul_i32 s20, s30, s4
	s_delay_alu instid0(SALU_CYCLE_1) | instskip(NEXT) | instid1(VALU_DEP_2)
	s_ashr_i32 s21, s20, 31
	v_ashrrev_i32_e32 v4, 4, v4
	v_add_nc_u32_e32 v2, v3, v2
	s_lshl_b64 s[20:21], s[20:21], 2
	v_lshl_or_b32 v33, v68, 8, v33
	s_add_u32 s4, s12, s20
	v_cndmask_b32_e32 v1, s3, v4, vcc_lo
	v_ashrrev_i32_e32 v2, 4, v2
	v_cmp_gt_i32_e32 vcc_lo, s18, v3
	s_addc_u32 s7, s13, s21
	s_ashr_i32 s6, s15, 31
	s_add_u32 s17, s8, s15
	s_addc_u32 s28, s9, s6
	v_cndmask_b32_e32 v3, s3, v2, vcc_lo
	v_ashrrev_i32_e32 v2, 31, v1
	s_lshl_b32 s8, s14, 4
	s_delay_alu instid0(SALU_CYCLE_1) | instskip(NEXT) | instid1(VALU_DEP_2)
	s_ashr_i32 s9, s8, 31
	v_ashrrev_i32_e32 v4, 31, v3
	s_delay_alu instid0(VALU_DEP_2) | instskip(SKIP_1) | instid1(SALU_CYCLE_1)
	v_lshlrev_b64 v[1:2], 2, v[1:2]
	s_lshl_b64 s[8:9], s[8:9], 2
	s_add_u32 s8, s4, s8
	s_delay_alu instid0(VALU_DEP_2) | instskip(SKIP_1) | instid1(VALU_DEP_2)
	v_lshlrev_b64 v[3:4], 2, v[3:4]
	s_addc_u32 s9, s7, s9
	v_add_co_u32 v1, vcc_lo, s4, v1
	v_add_co_ci_u32_e32 v2, vcc_lo, s7, v2, vcc_lo
	s_delay_alu instid0(VALU_DEP_3) | instskip(NEXT) | instid1(VALU_DEP_4)
	v_add_co_u32 v3, vcc_lo, s4, v3
	v_add_co_ci_u32_e32 v4, vcc_lo, s7, v4, vcc_lo
	s_clause 0x1
	global_load_b32 v5, v[1:2], off
	global_load_b32 v3, v[3:4], off
	s_or_b32 s12, s16, 32
	v_lshlrev_b32_e32 v1, 4, v0
	s_ashr_i32 s13, s12, 4
	s_cmp_lt_i32 s12, s18
	s_cselect_b32 s12, s13, s3
	s_delay_alu instid0(VALU_DEP_1) | instskip(SKIP_1) | instid1(SALU_CYCLE_1)
	v_and_b32_e32 v1, 0xf0, v1
	s_ashr_i32 s13, s12, 31
	s_lshl_b64 s[12:13], s[12:13], 2
	s_delay_alu instid0(SALU_CYCLE_1)
	s_add_u32 s12, s4, s12
	s_addc_u32 s13, s7, s13
	s_or_b32 s20, s16, 64
	v_add_co_u32 v1, s17, s17, v1
	s_ashr_i32 s21, s20, 4
	s_cmp_lt_i32 s20, s18
	v_add_co_ci_u32_e64 v2, null, s28, 0, s17
	s_cselect_b32 s20, s21, s3
	s_delay_alu instid0(SALU_CYCLE_1) | instskip(NEXT) | instid1(SALU_CYCLE_1)
	s_ashr_i32 s21, s20, 31
	s_lshl_b64 s[20:21], s[20:21], 2
	s_delay_alu instid0(SALU_CYCLE_1) | instskip(SKIP_2) | instid1(SALU_CYCLE_1)
	s_add_u32 s20, s4, s20
	s_addc_u32 s21, s7, s21
	s_or_b32 s22, s16, 0x60
	s_ashr_i32 s23, s22, 4
	s_cmp_lt_i32 s22, s18
	s_cselect_b32 s22, s23, s3
	s_delay_alu instid0(SALU_CYCLE_1) | instskip(NEXT) | instid1(SALU_CYCLE_1)
	s_ashr_i32 s23, s22, 31
	s_lshl_b64 s[22:23], s[22:23], 2
	s_delay_alu instid0(SALU_CYCLE_1) | instskip(SKIP_2) | instid1(SALU_CYCLE_1)
	s_add_u32 s22, s4, s22
	s_addc_u32 s23, s7, s23
	s_or_b32 s24, s16, 0x80
	s_ashr_i32 s25, s24, 4
	s_cmp_lt_i32 s24, s18
	;; [unrolled: 10-line block ×3, first 2 shown]
	s_cselect_b32 s26, s27, s3
	s_delay_alu instid0(SALU_CYCLE_1) | instskip(NEXT) | instid1(SALU_CYCLE_1)
	s_ashr_i32 s27, s26, 31
	s_lshl_b64 s[26:27], s[26:27], 2
	s_delay_alu instid0(SALU_CYCLE_1)
	s_add_u32 s26, s4, s26
	s_addc_u32 s27, s7, s27
	s_clause 0x5
	s_load_b32 s17, s[8:9], 0x0
	s_load_b32 s28, s[12:13], 0x0
	;; [unrolled: 1-line block ×6, first 2 shown]
	s_or_b32 s8, s16, 0xc0
	s_mov_b32 s20, 0
	s_ashr_i32 s9, s8, 4
	s_cmp_lt_i32 s8, s18
	s_mov_b32 s27, s20
	s_cselect_b32 s8, s9, s3
	s_mov_b32 s21, s20
	s_ashr_i32 s9, s8, 31
	s_mov_b32 s22, s20
	s_lshl_b64 s[8:9], s[8:9], 2
	s_mov_b32 s23, s20
	s_add_u32 s8, s4, s8
	s_addc_u32 s9, s7, s9
	s_or_b32 s12, s16, 0xe0
	s_mov_b32 s24, s20
	s_ashr_i32 s13, s12, 4
	s_cmp_lt_i32 s12, s18
	s_mov_b32 s25, s20
	s_cselect_b32 s12, s13, s3
	s_mov_b32 s26, s20
	s_ashr_i32 s13, s12, 31
	v_mov_b32_e32 v108, s27
	v_mov_b32_e32 v102, s21
	s_lshl_b64 s[12:13], s[12:13], 2
	v_mov_b32_e32 v107, s26
	s_add_u32 s12, s4, s12
	s_addc_u32 s13, s7, s13
	s_add_u32 s3, s10, s15
	s_addc_u32 s4, s11, s6
	v_add_co_u32 v69, s3, s3, v33
	s_delay_alu instid0(VALU_DEP_1)
	v_add_co_ci_u32_e64 v70, null, s4, 0, s3
	v_dual_mov_b32 v106, s25 :: v_dual_mov_b32 v105, s24
	v_dual_mov_b32 v104, s23 :: v_dual_mov_b32 v103, s22
	v_mov_b32_e32 v101, s20
	s_waitcnt lgkmcnt(0)
	v_mad_i64_i32 v[33:34], null, s17, s5, v[69:70]
	v_mad_i64_i32 v[71:72], null, s29, s5, v[69:70]
	;; [unrolled: 1-line block ×5, first 2 shown]
	s_waitcnt vmcnt(1)
	v_mad_i64_i32 v[25:26], null, v5, s5, v[1:2]
	s_waitcnt vmcnt(0)
	v_mad_i64_i32 v[27:28], null, v3, s5, v[1:2]
	s_clause 0xf
	global_load_b128 v[1:4], v[25:26], off
	global_load_b128 v[5:8], v[25:26], off offset:256
	global_load_b128 v[9:12], v[27:28], off
	global_load_b128 v[13:16], v[27:28], off offset:256
	global_load_b128 v[17:20], v[25:26], off offset:512
	;; [unrolled: 1-line block ×13, first 2 shown]
	ds_load_b128 v[25:28], v137
	ds_load_b128 v[29:32], v137 offset:1024
	ds_load_b128 v[109:112], v137 offset:2048
	;; [unrolled: 1-line block ×5, first 2 shown]
	s_clause 0x1
	s_load_b32 s3, s[8:9], 0x0
	s_load_b32 s4, s[12:13], 0x0
	s_clause 0x3
	global_load_b128 v[41:44], v[33:34], off
	global_load_b128 v[45:48], v[33:34], off offset:16
	global_load_b128 v[33:36], v[37:38], off
	global_load_b128 v[37:40], v[37:38], off offset:16
	s_waitcnt vmcnt(18) lgkmcnt(0)
	v_wmma_f32_16x16x16_bf16 v[125:132], v[1:8], v[25:32], v[101:108]
	s_waitcnt vmcnt(16)
	v_wmma_f32_16x16x16_bf16 v[101:108], v[9:16], v[25:32], v[101:108]
	v_mad_i64_i32 v[13:14], null, s35, s5, v[69:70]
	s_waitcnt vmcnt(14)
	v_wmma_f32_16x16x16_bf16 v[125:132], v[17:24], v[109:116], v[125:132]
	s_clause 0x1
	global_load_b128 v[25:28], v[71:72], off
	global_load_b128 v[29:32], v[71:72], off offset:16
	s_waitcnt vmcnt(14)
	v_wmma_f32_16x16x16_bf16 v[101:108], v[49:56], v[109:116], v[101:108]
	v_mad_i64_i32 v[49:50], null, s3, s5, v[69:70]
	v_mad_i64_i32 v[53:54], null, s4, s5, v[69:70]
	s_clause 0x5
	global_load_b128 v[17:20], v[133:134], off
	global_load_b128 v[21:24], v[133:134], off offset:16
	global_load_b128 v[1:4], v[135:136], off
	global_load_b128 v[5:8], v[135:136], off offset:16
	;; [unrolled: 2-line block ×3, first 2 shown]
	s_waitcnt vmcnt(18)
	v_wmma_f32_16x16x16_bf16 v[125:132], v[57:64], v[117:124], v[125:132]
	s_clause 0x3
	global_load_b128 v[57:60], v[49:50], off
	global_load_b128 v[61:64], v[49:50], off offset:16
	global_load_b128 v[49:52], v[53:54], off
	global_load_b128 v[53:56], v[53:54], off offset:16
	v_mbcnt_lo_u32_b32 v70, -1, 0
	s_waitcnt vmcnt(20)
	v_wmma_f32_16x16x16_bf16 v[101:108], v[77:84], v[117:124], v[101:108]
	s_delay_alu instid0(VALU_DEP_2) | instskip(NEXT) | instid1(VALU_DEP_1)
	v_xor_b32_e32 v71, 16, v70
	v_cmp_gt_i32_e32 vcc_lo, 32, v71
	v_cndmask_b32_e32 v70, v70, v71, vcc_lo
	ds_load_b128 v[77:80], v137 offset:6144
	ds_load_b128 v[81:84], v137 offset:7168
	s_waitcnt vmcnt(0) lgkmcnt(0)
	s_barrier
	buffer_gl0_inv
	v_wmma_f32_16x16x16_bf16 v[101:108], v[93:100], v[77:84], v[101:108]
	v_and_b32_e32 v69, 0xe0, v0
	v_wmma_f32_16x16x16_bf16 v[125:132], v[85:92], v[77:84], v[125:132]
	s_delay_alu instid0(VALU_DEP_3) | instskip(NEXT) | instid1(VALU_DEP_3)
	v_mul_f32_e32 v96, s19, v101
	v_dual_mul_f32 v98, s19, v103 :: v_dual_add_nc_u32 v69, s16, v69
	s_delay_alu instid0(VALU_DEP_3) | instskip(SKIP_1) | instid1(VALU_DEP_3)
	v_dual_mul_f32 v80, s19, v126 :: v_dual_mul_f32 v81, s19, v128
	v_mul_f32_e32 v100, s19, v105
	v_or_b32_e32 v69, v69, v65
	v_dual_mul_f32 v82, s19, v127 :: v_dual_mul_f32 v83, s19, v130
	v_dual_mul_f32 v84, s19, v129 :: v_dual_mul_f32 v93, s19, v132
	s_delay_alu instid0(VALU_DEP_3)
	v_or_b32_e32 v71, 2, v69
	v_or_b32_e32 v72, 4, v69
	;; [unrolled: 1-line block ×3, first 2 shown]
	v_cmp_gt_i32_e64 s3, s18, v69
	v_or_b32_e32 v110, 8, v69
	v_cmp_gt_i32_e32 vcc_lo, s18, v71
	v_mul_f32_e32 v71, s19, v125
	v_or_b32_e32 v85, 10, v69
	v_or_b32_e32 v91, 22, v69
	v_cmp_gt_i32_e64 s4, s18, v72
	v_mul_f32_e32 v72, s19, v107
	v_cndmask_b32_e64 v71, 0xff7fffff, v71, s3
	v_cndmask_b32_e32 v80, 0xff7fffff, v80, vcc_lo
	v_cmp_gt_i32_e64 s5, s18, v109
	v_or_b32_e32 v86, 12, v69
	v_or_b32_e32 v87, 14, v69
	v_cndmask_b32_e64 v82, 0xff7fffff, v82, s4
	v_cmp_gt_i32_e64 s6, s18, v110
	v_cndmask_b32_e64 v81, 0xff7fffff, v81, s5
	v_cmp_gt_i32_e64 s7, s18, v85
	v_cmp_gt_i32_e64 s13, s18, v91
	v_lshlrev_b32_e32 v91, 2, v70
	v_max3_f32 v71, v71, 0xff7fffff, v80
	v_or_b32_e32 v88, 16, v69
	v_or_b32_e32 v89, 18, v69
	v_mul_f32_e32 v94, s19, v131
	v_cndmask_b32_e64 v80, 0xff7fffff, v84, s6
	v_cndmask_b32_e64 v83, 0xff7fffff, v83, s7
	v_max3_f32 v71, v71, v82, v81
	v_cmp_gt_i32_e64 s8, s18, v86
	v_cmp_gt_i32_e64 s9, s18, v87
	v_or_b32_e32 v90, 20, v69
	v_mul_f32_e32 v95, s19, v102
	v_max3_f32 v71, v71, v80, v83
	v_cndmask_b32_e64 v81, 0xff7fffff, v94, s8
	v_cndmask_b32_e64 v82, 0xff7fffff, v93, s9
	v_cmp_gt_i32_e64 s10, s18, v88
	v_cmp_gt_i32_e64 s11, s18, v89
	v_or_b32_e32 v92, 24, v69
	v_or_b32_e32 v77, 26, v69
	v_mul_f32_e32 v97, s19, v104
	v_cndmask_b32_e64 v80, 0xff7fffff, v96, s10
	v_cndmask_b32_e64 v83, 0xff7fffff, v95, s11
	v_max3_f32 v71, v71, v81, v82
	v_cmp_gt_i32_e64 s12, s18, v90
	v_or_b32_e32 v78, 28, v69
	v_or_b32_e32 v79, 30, v69
	v_mul_f32_e32 v99, s19, v106
	v_cndmask_b32_e64 v82, 0xff7fffff, v97, s13
	v_cndmask_b32_e64 v81, 0xff7fffff, v98, s12
	v_max3_f32 v71, v71, v80, v83
	v_cmp_gt_i32_e64 s15, s18, v92
	v_cmp_gt_i32_e64 s16, s18, v77
	v_mul_f32_e32 v69, s19, v108
	v_cmp_gt_i32_e64 s17, s18, v78
	v_max3_f32 v71, v71, v81, v82
	v_cndmask_b32_e64 v80, 0xff7fffff, v100, s15
	v_cndmask_b32_e64 v77, 0xff7fffff, v99, s16
	v_cmp_gt_i32_e64 s18, s18, v79
	v_cndmask_b32_e64 v72, 0xff7fffff, v72, s17
	s_delay_alu instid0(VALU_DEP_3) | instskip(NEXT) | instid1(VALU_DEP_3)
	v_max3_f32 v71, v71, v80, v77
	v_cndmask_b32_e64 v69, 0xff7fffff, v69, s18
	s_delay_alu instid0(VALU_DEP_1) | instskip(SKIP_3) | instid1(VALU_DEP_1)
	v_max3_f32 v69, v71, v72, v69
	ds_bpermute_b32 v70, v91, v69
	s_waitcnt lgkmcnt(0)
	v_max_f32_e32 v70, v70, v70
	v_max_f32_e32 v69, v69, v70
	s_delay_alu instid0(VALU_DEP_1)
	v_fma_f32 v70, s19, v125, -v69
	v_fma_f32 v71, s19, v126, -v69
	v_fma_f32 v72, s19, v127, -v69
	v_fma_f32 v77, s19, v128, -v69
	v_fma_f32 v78, s19, v129, -v69
	v_mul_f32_e32 v70, 0x3fb8aa3b, v70
	s_delay_alu instid0(VALU_DEP_3) | instskip(NEXT) | instid1(VALU_DEP_3)
	v_dual_mul_f32 v72, 0x3fb8aa3b, v72 :: v_dual_mul_f32 v77, 0x3fb8aa3b, v77
	v_mul_f32_e32 v78, 0x3fb8aa3b, v78
	s_delay_alu instid0(VALU_DEP_3) | instskip(NEXT) | instid1(VALU_DEP_2)
	v_exp_f32_e32 v70, v70
	v_exp_f32_e32 v72, v72
	s_delay_alu instid0(VALU_DEP_2) | instskip(NEXT) | instid1(VALU_DEP_1)
	v_exp_f32_e32 v79, v77
	v_exp_f32_e32 v78, v78
	v_cndmask_b32_e64 v81, 0, v70, s3
	v_fma_f32 v70, s19, v130, -v69
	v_mul_f32_e32 v71, 0x3fb8aa3b, v71
	s_delay_alu instid0(TRANS32_DEP_3)
	v_cndmask_b32_e64 v85, 0, v72, s4
	s_waitcnt_depctr 0xfff
	v_cndmask_b32_e64 v87, 0, v79, s5
	v_cndmask_b32_e64 v88, 0, v78, s6
	v_mul_f32_e32 v70, 0x3fb8aa3b, v70
	v_exp_f32_e32 v71, v71
	s_mov_b32 s3, exec_lo
	s_delay_alu instid0(VALU_DEP_1) | instskip(SKIP_4) | instid1(VALU_DEP_2)
	v_exp_f32_e32 v70, v70
	s_waitcnt_depctr 0xfff
	v_cndmask_b32_e32 v77, 0, v71, vcc_lo
	v_add_f32_e32 v71, 0, v81
	v_cndmask_b32_e64 v89, 0, v70, s7
	v_add_f32_e32 v71, v71, v77
	s_delay_alu instid0(VALU_DEP_1) | instskip(NEXT) | instid1(VALU_DEP_1)
	v_add_f32_e32 v71, v71, v85
	v_add_f32_e32 v71, v71, v87
	s_delay_alu instid0(VALU_DEP_1) | instskip(NEXT) | instid1(VALU_DEP_1)
	v_add_f32_e32 v70, v71, v88
	v_add_f32_e32 v70, v70, v89
	v_fma_f32 v80, s19, v131, -v69
	v_fma_f32 v72, s19, v132, -v69
	;; [unrolled: 1-line block ×5, first 2 shown]
	v_mul_f32_e32 v80, 0x3fb8aa3b, v80
	s_delay_alu instid0(VALU_DEP_4) | instskip(NEXT) | instid1(VALU_DEP_3)
	v_dual_mul_f32 v72, 0x3fb8aa3b, v72 :: v_dual_mul_f32 v79, 0x3fb8aa3b, v79
	v_dual_mul_f32 v78, 0x3fb8aa3b, v78 :: v_dual_mul_f32 v71, 0x3fb8aa3b, v71
	s_delay_alu instid0(VALU_DEP_3) | instskip(NEXT) | instid1(VALU_DEP_2)
	v_exp_f32_e32 v80, v80
	v_exp_f32_e32 v72, v72
	s_delay_alu instid0(VALU_DEP_2) | instskip(NEXT) | instid1(VALU_DEP_1)
	v_exp_f32_e32 v79, v79
	v_exp_f32_e32 v78, v78
	;; [unrolled: 1-line block ×3, first 2 shown]
	v_fma_f32 v83, s19, v106, -v69
	v_cndmask_b32_e64 v86, 0, v80, s8
	v_fma_f32 v80, s19, v104, -v69
	v_cndmask_b32_e64 v90, 0, v72, s9
	v_fma_f32 v72, s19, v105, -v69
	s_delay_alu instid0(TRANS32_DEP_3) | instskip(SKIP_2) | instid1(VALU_DEP_2)
	v_cndmask_b32_e64 v71, 0, v79, s10
	v_add_f32_e32 v70, v70, v86
	v_dual_mul_f32 v80, 0x3fb8aa3b, v80 :: v_dual_mul_f32 v83, 0x3fb8aa3b, v83
	v_dual_mul_f32 v72, 0x3fb8aa3b, v72 :: v_dual_add_f32 v79, v70, v90
	s_delay_alu instid0(VALU_DEP_2) | instskip(SKIP_1) | instid1(VALU_DEP_2)
	v_exp_f32_e32 v80, v80
	v_cndmask_b32_e64 v70, 0, v78, s11
	v_exp_f32_e32 v84, v72
	v_cndmask_b32_e64 v72, 0, v82, s12
	v_add_f32_e32 v78, v79, v71
	v_fma_f32 v79, s19, v107, -v69
	v_exp_f32_e32 v83, v83
	s_delay_alu instid0(VALU_DEP_1) | instskip(NEXT) | instid1(TRANS32_DEP_3)
	v_dual_add_f32 v82, v78, v70 :: v_dual_mul_f32 v79, 0x3fb8aa3b, v79
	v_cndmask_b32_e64 v78, 0, v80, s13
	s_delay_alu instid0(VALU_DEP_2) | instskip(SKIP_1) | instid1(VALU_DEP_4)
	v_add_f32_e32 v80, v82, v72
	v_fma_f32 v82, s19, v108, -v69
	v_exp_f32_e32 v92, v79
	v_cndmask_b32_e64 v79, 0, v84, s15
	s_delay_alu instid0(VALU_DEP_3) | instskip(NEXT) | instid1(VALU_DEP_3)
	v_add_f32_e32 v84, v80, v78
	v_mul_f32_e32 v82, 0x3fb8aa3b, v82
	s_delay_alu instid0(TRANS32_DEP_2) | instskip(NEXT) | instid1(VALU_DEP_3)
	v_cndmask_b32_e64 v80, 0, v83, s16
	v_add_f32_e32 v83, v84, v79
	s_delay_alu instid0(VALU_DEP_3) | instskip(NEXT) | instid1(TRANS32_DEP_2)
	v_exp_f32_e32 v84, v82
	v_cndmask_b32_e64 v82, 0, v92, s17
	s_delay_alu instid0(VALU_DEP_2) | instskip(NEXT) | instid1(VALU_DEP_1)
	v_add_f32_e32 v83, v83, v80
	v_add_f32_e32 v92, v83, v82
	s_waitcnt_depctr 0xfff
	v_cndmask_b32_e64 v83, 0, v84, s18
	s_delay_alu instid0(VALU_DEP_1)
	v_add_f32_e32 v84, v92, v83
	ds_bpermute_b32 v91, v91, v84
	v_cmpx_gt_u32_e32 16, v67
	s_cbranch_execz .LBB1523_12
; %bb.11:
	v_mul_u32_u24_e32 v67, 0x44, v68
	s_waitcnt lgkmcnt(0)
	v_add_f32_e32 v84, v84, v91
	s_delay_alu instid0(VALU_DEP_2) | instskip(NEXT) | instid1(VALU_DEP_1)
	v_lshl_add_u32 v67, v66, 2, v67
	v_add_nc_u32_e32 v67, 0x4000, v67
	ds_store_2addr_b32 v67, v69, v84 offset1:136
.LBB1523_12:
	s_or_b32 exec_lo, exec_lo, s3
	v_lshlrev_b32_e32 v67, 2, v66
	s_waitcnt lgkmcnt(0)
	s_barrier
	buffer_gl0_inv
	v_cmp_eq_u32_e32 vcc_lo, 1, v68
	v_add_nc_u32_e32 v84, 0x4000, v67
	v_cmp_eq_u32_e64 s3, 2, v68
	v_cmp_eq_u32_e64 s5, 7, v68
	ds_load_2addr_b32 v[91:92], v84 offset1:17
	ds_load_2addr_b32 v[93:94], v84 offset0:34 offset1:51
	ds_load_2addr_b32 v[95:96], v84 offset0:68 offset1:85
	;; [unrolled: 1-line block ×4, first 2 shown]
	s_waitcnt lgkmcnt(4)
	v_max3_f32 v67, v91, 0xff7fffff, v92
	s_waitcnt lgkmcnt(3)
	s_delay_alu instid0(VALU_DEP_1) | instskip(SKIP_1) | instid1(VALU_DEP_1)
	v_max3_f32 v67, v67, v93, v94
	s_waitcnt lgkmcnt(2)
	v_max3_f32 v67, v67, v95, v96
	s_waitcnt lgkmcnt(1)
	s_delay_alu instid0(VALU_DEP_1) | instskip(NEXT) | instid1(VALU_DEP_1)
	v_max3_f32 v67, v67, v97, v98
	v_sub_f32_e32 v69, v91, v67
	v_sub_f32_e32 v101, v92, v67
	;; [unrolled: 1-line block ×4, first 2 shown]
	s_delay_alu instid0(VALU_DEP_4) | instskip(NEXT) | instid1(VALU_DEP_4)
	v_mul_f32_e32 v69, 0x3fb8aa3b, v69
	v_mul_f32_e32 v101, 0x3fb8aa3b, v101
	s_delay_alu instid0(VALU_DEP_4) | instskip(NEXT) | instid1(VALU_DEP_4)
	v_mul_f32_e32 v103, 0x3fb8aa3b, v93
	v_mul_f32_e32 v105, 0x3fb8aa3b, v95
	s_delay_alu instid0(VALU_DEP_4) | instskip(SKIP_3) | instid1(VALU_DEP_1)
	v_exp_f32_e32 v102, v69
	v_sub_f32_e32 v69, v94, v67
	v_exp_f32_e32 v101, v101
	v_exp_f32_e32 v103, v103
	v_mul_f32_e32 v104, 0x3fb8aa3b, v69
	s_waitcnt lgkmcnt(0)
	s_delay_alu instid0(TRANS32_DEP_3) | instskip(SKIP_1) | instid1(VALU_DEP_3)
	v_fma_f32 v69, v102, v99, 0
	v_sub_f32_e32 v99, v96, v67
	v_exp_f32_e32 v104, v104
	s_delay_alu instid0(TRANS32_DEP_3) | instid1(VALU_DEP_2)
	v_fmac_f32_e32 v69, v101, v100
	ds_load_2addr_b32 v[91:92], v84 offset0:170 offset1:187
	ds_load_2addr_b32 v[93:94], v84 offset0:204 offset1:221
	;; [unrolled: 1-line block ×3, first 2 shown]
	v_sub_f32_e32 v84, v97, v67
	v_mul_f32_e32 v97, 0x3fb8aa3b, v99
	v_exp_f32_e32 v99, v105
	s_waitcnt lgkmcnt(0)
	s_barrier
	v_mul_f32_e32 v84, 0x3fb8aa3b, v84
	v_exp_f32_e32 v97, v97
	buffer_gl0_inv
	v_exp_f32_e32 v84, v84
	v_fmac_f32_e32 v69, v103, v91
	v_sub_f32_e32 v91, v98, v67
	s_delay_alu instid0(VALU_DEP_2) | instskip(NEXT) | instid1(VALU_DEP_2)
	v_fmac_f32_e32 v69, v104, v92
	v_mul_f32_e32 v91, 0x3fb8aa3b, v91
	s_delay_alu instid0(VALU_DEP_2) | instskip(NEXT) | instid1(VALU_DEP_2)
	v_fmac_f32_e32 v69, v99, v93
	v_exp_f32_e32 v91, v91
	s_delay_alu instid0(VALU_DEP_1)
	v_fmac_f32_e32 v69, v97, v94
	s_delay_alu instid0(TRANS32_DEP_2) | instid1(VALU_DEP_1)
	v_fmac_f32_e32 v69, v84, v95
	s_waitcnt_depctr 0xfff
	v_fmac_f32_e32 v69, v91, v96
	s_delay_alu instid0(VALU_DEP_1) | instskip(NEXT) | instid1(VALU_DEP_1)
	v_add_f32_e32 v92, 0x358637bd, v69
	v_div_scale_f32 v93, null, v92, v92, 1.0
	v_div_scale_f32 v96, s4, 1.0, v92, 1.0
	s_delay_alu instid0(VALU_DEP_2) | instskip(SKIP_2) | instid1(VALU_DEP_1)
	v_rcp_f32_e32 v94, v93
	s_waitcnt_depctr 0xfff
	v_fma_f32 v95, -v93, v94, 1.0
	v_dual_fmac_f32 v94, v95, v94 :: v_dual_cndmask_b32 v95, v102, v101
	v_cmp_eq_u32_e32 vcc_lo, 3, v68
	s_delay_alu instid0(VALU_DEP_2) | instskip(NEXT) | instid1(VALU_DEP_3)
	v_mul_f32_e32 v98, v96, v94
	v_cndmask_b32_e64 v95, v95, v103, s3
	v_cmp_eq_u32_e64 s3, 4, v68
	s_delay_alu instid0(VALU_DEP_3) | instskip(NEXT) | instid1(VALU_DEP_3)
	v_fma_f32 v100, -v93, v98, v96
	v_cndmask_b32_e32 v95, v95, v104, vcc_lo
	v_cmp_eq_u32_e32 vcc_lo, 5, v68
	s_delay_alu instid0(VALU_DEP_3) | instskip(NEXT) | instid1(VALU_DEP_3)
	v_fmac_f32_e32 v98, v100, v94
	v_cndmask_b32_e64 v95, v95, v99, s3
	v_cmp_eq_u32_e64 s3, 6, v68
	s_delay_alu instid0(VALU_DEP_3) | instskip(NEXT) | instid1(VALU_DEP_3)
	v_fma_f32 v93, -v93, v98, v96
	v_cndmask_b32_e32 v95, v95, v97, vcc_lo
	s_mov_b32 vcc_lo, s4
	s_delay_alu instid0(VALU_DEP_2) | instskip(NEXT) | instid1(VALU_DEP_2)
	v_div_fmas_f32 v93, v93, v94, v98
	v_cndmask_b32_e64 v84, v95, v84, s3
	s_mov_b32 s3, exec_lo
	s_delay_alu instid0(VALU_DEP_2) | instskip(NEXT) | instid1(VALU_DEP_2)
	v_div_fixup_f32 v92, v93, v92, 1.0
	v_cndmask_b32_e64 v84, v84, v91, s5
	s_delay_alu instid0(VALU_DEP_1) | instskip(NEXT) | instid1(VALU_DEP_1)
	v_mul_f32_e32 v84, v84, v92
	v_mul_f32_e32 v92, v84, v81
	;; [unrolled: 1-line block ×6, first 2 shown]
	v_dual_mul_f32 v88, v84, v85 :: v_dual_and_b32 v93, 0x7f800000, v92
	v_mul_f32_e32 v91, v84, v87
	v_mul_f32_e32 v87, v84, v77
                                        ; implicit-def: $vgpr77
	s_delay_alu instid0(VALU_DEP_3)
	v_cmpx_ne_u32_e32 0x7f800000, v93
	s_xor_b32 s3, exec_lo, s3
; %bb.13:
	v_bfe_u32 v77, v92, 16, 1
	s_delay_alu instid0(VALU_DEP_1)
	v_add3_u32 v77, v92, v77, 0x7fff
                                        ; implicit-def: $vgpr92
; %bb.14:
	s_and_not1_saveexec_b32 s3, s3
; %bb.15:
	v_and_b32_e32 v77, 0xffff, v92
	v_or_b32_e32 v85, 0x10000, v92
	s_delay_alu instid0(VALU_DEP_2) | instskip(NEXT) | instid1(VALU_DEP_2)
	v_cmp_eq_u32_e32 vcc_lo, 0, v77
	v_cndmask_b32_e32 v77, v85, v92, vcc_lo
; %bb.16:
	s_or_b32 exec_lo, exec_lo, s3
	v_and_b32_e32 v85, 0x7f800000, v87
	s_delay_alu instid0(VALU_DEP_1) | instskip(SKIP_1) | instid1(SALU_CYCLE_1)
	v_cmp_ne_u32_e32 vcc_lo, 0x7f800000, v85
                                        ; implicit-def: $vgpr85
	s_and_saveexec_b32 s3, vcc_lo
	s_xor_b32 s3, exec_lo, s3
; %bb.17:
	v_bfe_u32 v85, v87, 16, 1
	s_delay_alu instid0(VALU_DEP_1)
	v_add3_u32 v85, v87, v85, 0x7fff
                                        ; implicit-def: $vgpr87
; %bb.18:
	s_and_not1_saveexec_b32 s3, s3
; %bb.19:
	v_and_b32_e32 v85, 0xffff, v87
	v_or_b32_e32 v92, 0x10000, v87
	s_delay_alu instid0(VALU_DEP_2) | instskip(NEXT) | instid1(VALU_DEP_2)
	v_cmp_eq_u32_e32 vcc_lo, 0, v85
	v_cndmask_b32_e32 v85, v92, v87, vcc_lo
; %bb.20:
	s_or_b32 exec_lo, exec_lo, s3
	v_and_b32_e32 v87, 0x7f800000, v88
	s_delay_alu instid0(VALU_DEP_1) | instskip(SKIP_1) | instid1(SALU_CYCLE_1)
	v_cmp_ne_u32_e32 vcc_lo, 0x7f800000, v87
                                        ; implicit-def: $vgpr87
	s_and_saveexec_b32 s3, vcc_lo
	s_xor_b32 s3, exec_lo, s3
; %bb.21:
	v_bfe_u32 v87, v88, 16, 1
	s_delay_alu instid0(VALU_DEP_1)
	v_add3_u32 v87, v88, v87, 0x7fff
                                        ; implicit-def: $vgpr88
; %bb.22:
	s_and_not1_saveexec_b32 s3, s3
; %bb.23:
	v_and_b32_e32 v87, 0xffff, v88
	v_or_b32_e32 v92, 0x10000, v88
	s_delay_alu instid0(VALU_DEP_2) | instskip(NEXT) | instid1(VALU_DEP_2)
	v_cmp_eq_u32_e32 vcc_lo, 0, v87
	v_cndmask_b32_e32 v87, v92, v88, vcc_lo
; %bb.24:
	s_or_b32 exec_lo, exec_lo, s3
	v_and_b32_e32 v88, 0x7f800000, v91
	s_delay_alu instid0(VALU_DEP_1) | instskip(SKIP_1) | instid1(SALU_CYCLE_1)
	v_cmp_ne_u32_e32 vcc_lo, 0x7f800000, v88
                                        ; implicit-def: $vgpr88
	s_and_saveexec_b32 s3, vcc_lo
	s_xor_b32 s3, exec_lo, s3
; %bb.25:
	v_bfe_u32 v88, v91, 16, 1
	s_delay_alu instid0(VALU_DEP_1)
	v_add3_u32 v88, v91, v88, 0x7fff
                                        ; implicit-def: $vgpr91
; %bb.26:
	s_and_not1_saveexec_b32 s3, s3
; %bb.27:
	v_and_b32_e32 v88, 0xffff, v91
	v_or_b32_e32 v92, 0x10000, v91
	s_delay_alu instid0(VALU_DEP_2) | instskip(NEXT) | instid1(VALU_DEP_2)
	v_cmp_eq_u32_e32 vcc_lo, 0, v88
	v_cndmask_b32_e32 v88, v92, v91, vcc_lo
; %bb.28:
	s_or_b32 exec_lo, exec_lo, s3
	v_and_b32_e32 v91, 0x7f800000, v90
	s_delay_alu instid0(VALU_DEP_1) | instskip(SKIP_1) | instid1(SALU_CYCLE_1)
	v_cmp_ne_u32_e32 vcc_lo, 0x7f800000, v91
                                        ; implicit-def: $vgpr91
	s_and_saveexec_b32 s3, vcc_lo
	s_xor_b32 s3, exec_lo, s3
; %bb.29:
	v_bfe_u32 v91, v90, 16, 1
	s_delay_alu instid0(VALU_DEP_1)
	v_add3_u32 v91, v90, v91, 0x7fff
                                        ; implicit-def: $vgpr90
; %bb.30:
	s_and_not1_saveexec_b32 s3, s3
; %bb.31:
	v_and_b32_e32 v91, 0xffff, v90
	v_or_b32_e32 v92, 0x10000, v90
	s_delay_alu instid0(VALU_DEP_2) | instskip(NEXT) | instid1(VALU_DEP_2)
	v_cmp_eq_u32_e32 vcc_lo, 0, v91
	v_cndmask_b32_e32 v91, v92, v90, vcc_lo
; %bb.32:
	s_or_b32 exec_lo, exec_lo, s3
	v_and_b32_e32 v90, 0x7f800000, v89
	s_delay_alu instid0(VALU_DEP_1) | instskip(SKIP_1) | instid1(SALU_CYCLE_1)
	v_cmp_ne_u32_e32 vcc_lo, 0x7f800000, v90
                                        ; implicit-def: $vgpr90
	s_and_saveexec_b32 s3, vcc_lo
	s_xor_b32 s3, exec_lo, s3
; %bb.33:
	v_bfe_u32 v90, v89, 16, 1
	s_delay_alu instid0(VALU_DEP_1)
	v_add3_u32 v90, v89, v90, 0x7fff
                                        ; implicit-def: $vgpr89
; %bb.34:
	s_and_not1_saveexec_b32 s3, s3
; %bb.35:
	v_and_b32_e32 v90, 0xffff, v89
	v_or_b32_e32 v92, 0x10000, v89
	s_delay_alu instid0(VALU_DEP_2) | instskip(NEXT) | instid1(VALU_DEP_2)
	v_cmp_eq_u32_e32 vcc_lo, 0, v90
	v_cndmask_b32_e32 v90, v92, v89, vcc_lo
; %bb.36:
	s_or_b32 exec_lo, exec_lo, s3
	v_and_b32_e32 v89, 0x7f800000, v86
	s_delay_alu instid0(VALU_DEP_1) | instskip(SKIP_1) | instid1(SALU_CYCLE_1)
	v_cmp_ne_u32_e32 vcc_lo, 0x7f800000, v89
                                        ; implicit-def: $vgpr89
	s_and_saveexec_b32 s3, vcc_lo
	s_xor_b32 s3, exec_lo, s3
; %bb.37:
	v_bfe_u32 v89, v86, 16, 1
	s_delay_alu instid0(VALU_DEP_1)
	v_add3_u32 v89, v86, v89, 0x7fff
                                        ; implicit-def: $vgpr86
; %bb.38:
	s_and_not1_saveexec_b32 s3, s3
; %bb.39:
	v_and_b32_e32 v89, 0xffff, v86
	v_or_b32_e32 v92, 0x10000, v86
	s_delay_alu instid0(VALU_DEP_2) | instskip(NEXT) | instid1(VALU_DEP_2)
	v_cmp_eq_u32_e32 vcc_lo, 0, v89
	v_cndmask_b32_e32 v89, v92, v86, vcc_lo
; %bb.40:
	s_or_b32 exec_lo, exec_lo, s3
	v_and_b32_e32 v86, 0x7f800000, v81
	s_delay_alu instid0(VALU_DEP_1) | instskip(SKIP_1) | instid1(SALU_CYCLE_1)
	v_cmp_ne_u32_e32 vcc_lo, 0x7f800000, v86
                                        ; implicit-def: $vgpr86
	s_and_saveexec_b32 s3, vcc_lo
	s_xor_b32 s3, exec_lo, s3
; %bb.41:
	v_bfe_u32 v86, v81, 16, 1
	s_delay_alu instid0(VALU_DEP_1)
	v_add3_u32 v86, v81, v86, 0x7fff
                                        ; implicit-def: $vgpr81
; %bb.42:
	s_and_not1_saveexec_b32 s3, s3
; %bb.43:
	v_and_b32_e32 v86, 0xffff, v81
	v_or_b32_e32 v92, 0x10000, v81
	s_delay_alu instid0(VALU_DEP_2) | instskip(NEXT) | instid1(VALU_DEP_2)
	v_cmp_eq_u32_e32 vcc_lo, 0, v86
	v_cndmask_b32_e32 v86, v92, v81, vcc_lo
; %bb.44:
	s_or_b32 exec_lo, exec_lo, s3
	s_load_b64 s[34:35], s[0:1], 0x94
	v_lshlrev_b32_e32 v93, 4, v65
	s_delay_alu instid0(VALU_DEP_2)
	v_perm_b32 v92, v86, v89, 0x7060302
	v_dual_mul_f32 v80, v84, v80 :: v_dual_lshlrev_b32 v81, 6, v66
	v_lshlrev_b32_e32 v66, 11, v68
	v_perm_b32 v89, v85, v77, 0x7060302
	v_mul_f32_e32 v85, v84, v71
	v_perm_b32 v91, v90, v91, 0x7060302
	v_perm_b32 v90, v88, v87, 0x7060302
	v_or3_b32 v77, v93, v66, v81
	v_mul_f32_e32 v66, v84, v83
	v_dual_mul_f32 v71, v84, v82 :: v_dual_and_b32 v86, 0x7f800000, v85
	v_mul_f32_e32 v79, v84, v79
	v_mul_f32_e32 v83, v84, v78
	;; [unrolled: 1-line block ×4, first 2 shown]
	s_mov_b32 s3, exec_lo
	ds_store_b128 v77, v[89:92]
                                        ; implicit-def: $vgpr70
	v_cmpx_ne_u32_e32 0x7f800000, v86
	s_xor_b32 s3, exec_lo, s3
; %bb.45:
	v_bfe_u32 v70, v85, 16, 1
	s_delay_alu instid0(VALU_DEP_1)
	v_add3_u32 v70, v85, v70, 0x7fff
                                        ; implicit-def: $vgpr85
; %bb.46:
	s_and_not1_saveexec_b32 s3, s3
; %bb.47:
	v_and_b32_e32 v70, 0xffff, v85
	v_or_b32_e32 v72, 0x10000, v85
	s_delay_alu instid0(VALU_DEP_2) | instskip(NEXT) | instid1(VALU_DEP_2)
	v_cmp_eq_u32_e32 vcc_lo, 0, v70
	v_cndmask_b32_e32 v70, v72, v85, vcc_lo
; %bb.48:
	s_or_b32 exec_lo, exec_lo, s3
	v_and_b32_e32 v72, 0x7f800000, v78
	s_delay_alu instid0(VALU_DEP_1) | instskip(SKIP_1) | instid1(SALU_CYCLE_1)
	v_cmp_ne_u32_e32 vcc_lo, 0x7f800000, v72
                                        ; implicit-def: $vgpr72
	s_and_saveexec_b32 s3, vcc_lo
	s_xor_b32 s3, exec_lo, s3
; %bb.49:
	v_bfe_u32 v72, v78, 16, 1
	s_delay_alu instid0(VALU_DEP_1)
	v_add3_u32 v72, v78, v72, 0x7fff
                                        ; implicit-def: $vgpr78
; %bb.50:
	s_and_not1_saveexec_b32 s3, s3
; %bb.51:
	v_and_b32_e32 v72, 0xffff, v78
	v_or_b32_e32 v84, 0x10000, v78
	s_delay_alu instid0(VALU_DEP_2) | instskip(NEXT) | instid1(VALU_DEP_2)
	v_cmp_eq_u32_e32 vcc_lo, 0, v72
	v_cndmask_b32_e32 v72, v84, v78, vcc_lo
; %bb.52:
	s_or_b32 exec_lo, exec_lo, s3
	v_and_b32_e32 v78, 0x7f800000, v82
	s_delay_alu instid0(VALU_DEP_1) | instskip(SKIP_1) | instid1(SALU_CYCLE_1)
	v_cmp_ne_u32_e32 vcc_lo, 0x7f800000, v78
                                        ; implicit-def: $vgpr78
	s_and_saveexec_b32 s3, vcc_lo
	s_xor_b32 s3, exec_lo, s3
; %bb.53:
	v_bfe_u32 v78, v82, 16, 1
	s_delay_alu instid0(VALU_DEP_1)
	v_add3_u32 v78, v82, v78, 0x7fff
                                        ; implicit-def: $vgpr82
; %bb.54:
	s_and_not1_saveexec_b32 s3, s3
; %bb.55:
	v_and_b32_e32 v78, 0xffff, v82
	v_or_b32_e32 v84, 0x10000, v82
	s_delay_alu instid0(VALU_DEP_2) | instskip(NEXT) | instid1(VALU_DEP_2)
	v_cmp_eq_u32_e32 vcc_lo, 0, v78
	v_cndmask_b32_e32 v78, v84, v82, vcc_lo
; %bb.56:
	s_or_b32 exec_lo, exec_lo, s3
	v_and_b32_e32 v82, 0x7f800000, v83
	s_delay_alu instid0(VALU_DEP_1) | instskip(SKIP_1) | instid1(SALU_CYCLE_1)
	v_cmp_ne_u32_e32 vcc_lo, 0x7f800000, v82
                                        ; implicit-def: $vgpr82
	s_and_saveexec_b32 s3, vcc_lo
	s_xor_b32 s3, exec_lo, s3
; %bb.57:
	v_bfe_u32 v82, v83, 16, 1
	s_delay_alu instid0(VALU_DEP_1)
	v_add3_u32 v82, v83, v82, 0x7fff
                                        ; implicit-def: $vgpr83
; %bb.58:
	s_and_not1_saveexec_b32 s3, s3
; %bb.59:
	v_and_b32_e32 v82, 0xffff, v83
	v_or_b32_e32 v84, 0x10000, v83
	s_delay_alu instid0(VALU_DEP_2) | instskip(NEXT) | instid1(VALU_DEP_2)
	v_cmp_eq_u32_e32 vcc_lo, 0, v82
	v_cndmask_b32_e32 v82, v84, v83, vcc_lo
; %bb.60:
	s_or_b32 exec_lo, exec_lo, s3
	v_and_b32_e32 v83, 0x7f800000, v79
	s_delay_alu instid0(VALU_DEP_1) | instskip(SKIP_1) | instid1(SALU_CYCLE_1)
	v_cmp_ne_u32_e32 vcc_lo, 0x7f800000, v83
                                        ; implicit-def: $vgpr83
	s_and_saveexec_b32 s3, vcc_lo
	s_xor_b32 s3, exec_lo, s3
; %bb.61:
	v_bfe_u32 v83, v79, 16, 1
	s_delay_alu instid0(VALU_DEP_1)
	v_add3_u32 v83, v79, v83, 0x7fff
                                        ; implicit-def: $vgpr79
; %bb.62:
	s_and_not1_saveexec_b32 s3, s3
; %bb.63:
	v_and_b32_e32 v83, 0xffff, v79
	v_or_b32_e32 v84, 0x10000, v79
	s_delay_alu instid0(VALU_DEP_2) | instskip(NEXT) | instid1(VALU_DEP_2)
	v_cmp_eq_u32_e32 vcc_lo, 0, v83
	v_cndmask_b32_e32 v83, v84, v79, vcc_lo
; %bb.64:
	s_or_b32 exec_lo, exec_lo, s3
	v_and_b32_e32 v79, 0x7f800000, v80
	s_delay_alu instid0(VALU_DEP_1) | instskip(SKIP_1) | instid1(SALU_CYCLE_1)
	v_cmp_ne_u32_e32 vcc_lo, 0x7f800000, v79
                                        ; implicit-def: $vgpr79
	s_and_saveexec_b32 s3, vcc_lo
	s_xor_b32 s3, exec_lo, s3
; %bb.65:
	v_bfe_u32 v79, v80, 16, 1
	s_delay_alu instid0(VALU_DEP_1)
	v_add3_u32 v79, v80, v79, 0x7fff
                                        ; implicit-def: $vgpr80
; %bb.66:
	s_and_not1_saveexec_b32 s3, s3
; %bb.67:
	v_and_b32_e32 v79, 0xffff, v80
	v_or_b32_e32 v84, 0x10000, v80
	s_delay_alu instid0(VALU_DEP_2) | instskip(NEXT) | instid1(VALU_DEP_2)
	v_cmp_eq_u32_e32 vcc_lo, 0, v79
	v_cndmask_b32_e32 v79, v84, v80, vcc_lo
; %bb.68:
	s_or_b32 exec_lo, exec_lo, s3
	v_and_b32_e32 v80, 0x7f800000, v71
	s_delay_alu instid0(VALU_DEP_1) | instskip(SKIP_1) | instid1(SALU_CYCLE_1)
	v_cmp_ne_u32_e32 vcc_lo, 0x7f800000, v80
                                        ; implicit-def: $vgpr80
	s_and_saveexec_b32 s3, vcc_lo
	s_xor_b32 s3, exec_lo, s3
; %bb.69:
	v_bfe_u32 v80, v71, 16, 1
	s_delay_alu instid0(VALU_DEP_1)
	v_add3_u32 v80, v71, v80, 0x7fff
                                        ; implicit-def: $vgpr71
; %bb.70:
	s_and_not1_saveexec_b32 s3, s3
; %bb.71:
	v_and_b32_e32 v80, 0xffff, v71
	v_or_b32_e32 v84, 0x10000, v71
	s_delay_alu instid0(VALU_DEP_2) | instskip(NEXT) | instid1(VALU_DEP_2)
	v_cmp_eq_u32_e32 vcc_lo, 0, v80
	v_cndmask_b32_e32 v80, v84, v71, vcc_lo
; %bb.72:
	s_or_b32 exec_lo, exec_lo, s3
	v_and_b32_e32 v71, 0x7f800000, v66
	s_delay_alu instid0(VALU_DEP_1) | instskip(SKIP_1) | instid1(SALU_CYCLE_1)
	v_cmp_ne_u32_e32 vcc_lo, 0x7f800000, v71
                                        ; implicit-def: $vgpr71
	s_and_saveexec_b32 s3, vcc_lo
	s_xor_b32 s3, exec_lo, s3
; %bb.73:
	v_bfe_u32 v71, v66, 16, 1
	s_delay_alu instid0(VALU_DEP_1)
	v_add3_u32 v71, v66, v71, 0x7fff
                                        ; implicit-def: $vgpr66
; %bb.74:
	s_and_not1_saveexec_b32 s3, s3
; %bb.75:
	v_and_b32_e32 v71, 0xffff, v66
	v_or_b32_e32 v84, 0x10000, v66
	s_delay_alu instid0(VALU_DEP_2) | instskip(NEXT) | instid1(VALU_DEP_2)
	v_cmp_eq_u32_e32 vcc_lo, 0, v71
	v_cndmask_b32_e32 v71, v84, v66, vcc_lo
; %bb.76:
	s_or_b32 exec_lo, exec_lo, s3
	s_delay_alu instid0(VALU_DEP_1)
	v_perm_b32 v87, v71, v80, 0x7060302
	v_perm_b32 v86, v79, v83, 0x7060302
	;; [unrolled: 1-line block ×4, first 2 shown]
	v_lshl_or_b32 v83, v68, 11, v81
	ds_store_b128 v77, v[84:87] offset:1024
	s_waitcnt lgkmcnt(0)
	s_barrier
	buffer_gl0_inv
	ds_load_b128 v[84:87], v83
	ds_load_b128 v[88:91], v83 offset:16
	s_waitcnt lgkmcnt(1)
	v_lshrrev_b32_e32 v70, 16, v87
	s_waitcnt lgkmcnt(0)
	v_lshrrev_b32_e32 v71, 16, v88
	v_lshlrev_b32_e32 v79, 2, v65
	v_lshrrev_b32_e32 v65, 16, v84
	v_lshrrev_b32_e32 v66, 16, v85
	;; [unrolled: 1-line block ×4, first 2 shown]
	v_cmp_eq_u32_e32 vcc_lo, 1, v79
	v_lshrrev_b32_e32 v100, 16, v90
	v_lshrrev_b32_e32 v101, 16, v91
	v_cndmask_b32_e32 v92, v88, v71, vcc_lo
	v_or_b32_e32 v80, 1, v79
	v_cndmask_b32_e32 v82, v84, v65, vcc_lo
	v_cmp_eq_u32_e64 s4, 2, v79
	v_cmp_eq_u32_e64 s7, 3, v79
	v_cmp_eq_u32_e64 s9, 4, v79
	v_cmp_eq_u32_e64 s3, 1, v80
	v_cmp_eq_u32_e64 s6, 2, v80
	v_cndmask_b32_e64 v82, v82, v85, s4
	v_cndmask_b32_e64 v92, v92, v89, s4
	v_cmp_eq_u32_e64 s8, 3, v80
	v_cndmask_b32_e64 v93, v84, v65, s3
	v_or_b32_e32 v78, 2, v79
	v_cndmask_b32_e64 v82, v82, v66, s7
	v_cndmask_b32_e64 v92, v92, v72, s7
	;; [unrolled: 1-line block ×4, first 2 shown]
	v_cmp_eq_u32_e64 s10, 5, v79
	v_cndmask_b32_e64 v82, v82, v86, s9
	v_cndmask_b32_e64 v92, v92, v90, s9
	v_cmp_eq_u32_e64 s11, 4, v80
	v_cndmask_b32_e64 v93, v93, v66, s8
	v_cmp_eq_u32_e64 s5, 1, v78
	v_cndmask_b32_e64 v94, v94, v89, s6
	v_cndmask_b32_e64 v82, v82, v68, s10
	v_cmp_eq_u32_e64 s12, 6, v79
	v_cndmask_b32_e64 v93, v93, v86, s11
	;; [unrolled: 3-line block ×3, first 2 shown]
	v_cndmask_b32_e64 v94, v94, v72, s8
	v_cndmask_b32_e64 v82, v82, v87, s12
	v_cmp_eq_u32_e64 s15, 7, v79
	v_cndmask_b32_e64 v93, v93, v68, s13
	v_cndmask_b32_e64 v92, v92, v91, s12
	v_cmp_eq_u32_e64 s16, 6, v80
	v_cmp_eq_u32_e64 s17, 2, v78
	v_cndmask_b32_e64 v94, v94, v90, s11
	v_cndmask_b32_e64 v102, v82, v70, s15
	;; [unrolled: 1-line block ×6, first 2 shown]
	v_cmp_eq_u32_e64 s18, 7, v80
	v_cmp_eq_u32_e64 s19, 3, v78
	;; [unrolled: 1-line block ×4, first 2 shown]
	v_cndmask_b32_e64 v92, v92, v89, s17
	v_cndmask_b32_e64 v104, v93, v70, s18
	;; [unrolled: 1-line block ×4, first 2 shown]
	v_or_b32_e32 v82, 3, v79
	v_cndmask_b32_e64 v97, v92, v72, s19
	v_cmp_eq_u32_e64 s24, 6, v78
	v_cndmask_b32_e64 v105, v93, v91, s16
	v_cndmask_b32_e64 v96, v94, v86, s20
	v_cmp_eq_u32_e64 s21, 1, v82
	ds_load_b128 v[92:95], v83 offset:1024
	v_cmp_eq_u32_e64 s23, 2, v82
	v_cmp_eq_u32_e64 s25, 3, v82
	v_cndmask_b32_e64 v106, v96, v68, s22
	v_cndmask_b32_e64 v65, v84, v65, s21
	;; [unrolled: 1-line block ×3, first 2 shown]
	ds_load_b128 v[96:99], v83 offset:1040
	v_cndmask_b32_e64 v71, v88, v71, s21
	v_cmp_eq_u32_e64 s26, 4, v82
	v_cndmask_b32_e64 v65, v65, v85, s23
	v_cmp_eq_u32_e64 s28, 5, v82
	v_cmp_eq_u32_e64 s29, 6, v82
	v_cndmask_b32_e64 v71, v71, v89, s23
	v_cndmask_b32_e64 v84, v84, v100, s22
	;; [unrolled: 1-line block ×4, first 2 shown]
	v_cmp_eq_u32_e64 s27, 7, v78
	v_cndmask_b32_e64 v71, v71, v72, s25
	v_cndmask_b32_e64 v84, v84, v91, s24
	;; [unrolled: 1-line block ×3, first 2 shown]
	s_waitcnt lgkmcnt(1)
	v_lshrrev_b32_e32 v72, 16, v92
	v_lshrrev_b32_e32 v88, 16, v93
	v_cndmask_b32_e64 v71, v71, v90, s26
	v_cndmask_b32_e64 v66, v66, v70, s27
	;; [unrolled: 1-line block ×3, first 2 shown]
	v_cndmask_b32_e32 v86, v92, v72, vcc_lo
	v_cndmask_b32_e64 v89, v92, v72, s3
	v_cndmask_b32_e64 v68, v71, v100, s28
	s_waitcnt lgkmcnt(0)
	v_lshrrev_b32_e32 v71, 16, v96
	v_cndmask_b32_e64 v65, v65, v87, s29
	v_cndmask_b32_e64 v86, v86, v93, s4
	;; [unrolled: 1-line block ×4, first 2 shown]
	v_cndmask_b32_e32 v90, v96, v71, vcc_lo
	v_cmp_eq_u32_e32 vcc_lo, 7, v82
	v_cndmask_b32_e64 v86, v86, v88, s7
	v_cndmask_b32_e64 v87, v87, v88, s8
	v_lshrrev_b32_e32 v91, 16, v94
	v_cndmask_b32_e64 v89, v90, v97, s4
	v_lshrrev_b32_e32 v90, 16, v97
	v_cndmask_b32_e64 v86, v86, v94, s9
	v_dual_cndmask_b32 v65, v65, v70 :: v_dual_cndmask_b32 v68, v68, v101
	v_cndmask_b32_e64 v70, v87, v94, s11
	s_delay_alu instid0(VALU_DEP_4) | instskip(NEXT) | instid1(VALU_DEP_4)
	v_cndmask_b32_e64 v89, v89, v90, s7
	v_cndmask_b32_e64 v86, v86, v91, s10
	v_lshrrev_b32_e32 v100, 16, v98
	v_cndmask_b32_e64 v84, v84, v101, s27
	v_perm_b32 v87, v68, v65, 0x5040100
	v_cndmask_b32_e64 v89, v89, v98, s9
	v_cndmask_b32_e64 v65, v70, v91, s13
	;; [unrolled: 1-line block ×3, first 2 shown]
	v_lshrrev_b32_e32 v70, 16, v95
	v_cndmask_b32_e64 v85, v105, v101, s18
	v_cndmask_b32_e64 v89, v89, v100, s10
	v_perm_b32 v86, v84, v66, 0x5040100
	v_cndmask_b32_e64 v101, v96, v71, s5
	v_cndmask_b32_e64 v66, v68, v70, s15
	v_cndmask_b32_e64 v65, v65, v95, s16
	v_cndmask_b32_e64 v68, v89, v99, s12
	v_cndmask_b32_e64 v89, v92, v72, s5
	v_cndmask_b32_e64 v72, v92, v72, s21
	v_cndmask_b32_e64 v92, v96, v71, s21
	v_cndmask_b32_e64 v71, v96, v71, s3
	v_lshrrev_b32_e32 v84, 16, v99
	v_cndmask_b32_e64 v89, v89, v93, s17
	v_cndmask_b32_e64 v72, v72, v93, s23
	;; [unrolled: 1-line block ×27, first 2 shown]
	v_cndmask_b32_e32 v70, v72, v70, vcc_lo
	v_cndmask_b32_e32 v72, v88, v84, vcc_lo
	v_cndmask_b32_e64 v88, v90, v84, s27
	v_cndmask_b32_e64 v71, v71, v84, s18
	;; [unrolled: 1-line block ×3, first 2 shown]
	v_perm_b32 v85, v85, v104, 0x5040100
	v_perm_b32 v84, v103, v102, 0x5040100
	;; [unrolled: 1-line block ×6, first 2 shown]
	s_lshl_b32 s8, s35, 1
	s_mov_b32 s3, exec_lo
	ds_store_b128 v77, v[84:87]
	ds_store_b128 v77, v[88:91] offset:1024
	v_cmpx_gt_u32_e32 2, v0
	s_cbranch_execz .LBB1523_78
; %bb.77:
	v_or_b32_e32 v65, s31, v0
	s_load_b128 s[4:7], s[0:1], 0x58
	s_delay_alu instid0(VALU_DEP_1) | instskip(NEXT) | instid1(VALU_DEP_1)
	v_mad_u64_u32 v[70:71], null, s8, s30, v[65:66]
	v_mad_u64_u32 v[65:66], null, v70, s34, s[14:15]
	s_delay_alu instid0(VALU_DEP_1) | instskip(NEXT) | instid1(VALU_DEP_1)
	v_ashrrev_i32_e32 v66, 31, v65
	v_lshlrev_b64 v[65:66], 2, v[65:66]
	s_waitcnt lgkmcnt(0)
	s_delay_alu instid0(VALU_DEP_1) | instskip(NEXT) | instid1(VALU_DEP_2)
	v_add_co_u32 v70, vcc_lo, s6, v65
	v_add_co_ci_u32_e32 v71, vcc_lo, s7, v66, vcc_lo
	v_add_co_u32 v65, vcc_lo, s4, v65
	v_add_co_ci_u32_e32 v66, vcc_lo, s5, v66, vcc_lo
	global_store_b32 v[70:71], v67, off
	global_store_b32 v[65:66], v69, off
.LBB1523_78:
	s_or_b32 exec_lo, exec_lo, s3
	s_waitcnt lgkmcnt(0)
	s_waitcnt_vscnt null, 0x0
	s_barrier
	buffer_gl0_inv
	ds_load_b128 v[84:87], v81
	ds_load_b128 v[88:91], v81 offset:16
	ds_load_b128 v[96:99], v81 offset:2064
	;; [unrolled: 1-line block ×3, first 2 shown]
	v_mov_b32_e32 v65, 0
	ds_load_b128 v[104:107], v81 offset:4112
	ds_load_b128 v[100:103], v81 offset:4096
	;; [unrolled: 1-line block ×4, first 2 shown]
	v_mov_b32_e32 v66, v65
	v_mov_b32_e32 v67, v65
	;; [unrolled: 1-line block ×7, first 2 shown]
	s_waitcnt lgkmcnt(6)
	s_delay_alu instid0(VALU_DEP_1)
	v_wmma_f32_16x16x16_bf16 v[65:72], v[41:48], v[84:91], v[65:72]
	ds_load_b128 v[45:48], v81 offset:8208
	ds_load_b128 v[41:44], v81 offset:8192
	s_waitcnt lgkmcnt(6)
	v_wmma_f32_16x16x16_bf16 v[65:72], v[33:40], v[92:99], v[65:72]
	ds_load_b128 v[37:40], v81 offset:10256
	ds_load_b128 v[33:36], v81 offset:10240
	s_waitcnt lgkmcnt(6)
	;; [unrolled: 4-line block ×4, first 2 shown]
	v_wmma_f32_16x16x16_bf16 v[65:72], v[1:8], v[41:48], v[65:72]
	s_waitcnt lgkmcnt(4)
	s_delay_alu instid0(VALU_DEP_1) | instskip(SKIP_1) | instid1(VALU_DEP_1)
	v_wmma_f32_16x16x16_bf16 v[65:72], v[9:16], v[33:40], v[65:72]
	s_waitcnt lgkmcnt(2)
	v_wmma_f32_16x16x16_bf16 v[65:72], v[57:64], v[25:32], v[65:72]
	s_waitcnt lgkmcnt(0)
	s_delay_alu instid0(VALU_DEP_1) | instskip(NEXT) | instid1(VALU_DEP_1)
	v_wmma_f32_16x16x16_bf16 v[65:72], v[49:56], v[17:24], v[65:72]
	v_and_b32_e32 v1, 0x7f800000, v65
	s_delay_alu instid0(VALU_DEP_1) | instskip(SKIP_1) | instid1(SALU_CYCLE_1)
	v_cmp_ne_u32_e32 vcc_lo, 0x7f800000, v1
                                        ; implicit-def: $vgpr1
	s_and_saveexec_b32 s3, vcc_lo
	s_xor_b32 s3, exec_lo, s3
; %bb.79:
	v_bfe_u32 v1, v65, 16, 1
	s_delay_alu instid0(VALU_DEP_1)
	v_add3_u32 v1, v65, v1, 0x7fff
; %bb.80:
	s_and_not1_saveexec_b32 s3, s3
; %bb.81:
	v_and_b32_e32 v1, 0xffff, v65
	v_or_b32_e32 v2, 0x10000, v65
	s_delay_alu instid0(VALU_DEP_2) | instskip(NEXT) | instid1(VALU_DEP_2)
	v_cmp_eq_u32_e32 vcc_lo, 0, v1
	v_cndmask_b32_e32 v1, v2, v65, vcc_lo
; %bb.82:
	s_or_b32 exec_lo, exec_lo, s3
	v_and_b32_e32 v2, 0x7f800000, v66
	s_delay_alu instid0(VALU_DEP_1) | instskip(SKIP_1) | instid1(SALU_CYCLE_1)
	v_cmp_ne_u32_e32 vcc_lo, 0x7f800000, v2
                                        ; implicit-def: $vgpr2
	s_and_saveexec_b32 s3, vcc_lo
	s_xor_b32 s3, exec_lo, s3
; %bb.83:
	v_bfe_u32 v2, v66, 16, 1
	s_delay_alu instid0(VALU_DEP_1)
	v_add3_u32 v2, v66, v2, 0x7fff
; %bb.84:
	s_and_not1_saveexec_b32 s3, s3
; %bb.85:
	v_and_b32_e32 v2, 0xffff, v66
	v_or_b32_e32 v3, 0x10000, v66
	s_delay_alu instid0(VALU_DEP_2) | instskip(NEXT) | instid1(VALU_DEP_2)
	v_cmp_eq_u32_e32 vcc_lo, 0, v2
	v_cndmask_b32_e32 v2, v3, v66, vcc_lo
; %bb.86:
	s_or_b32 exec_lo, exec_lo, s3
	v_and_b32_e32 v3, 0x7f800000, v67
	s_delay_alu instid0(VALU_DEP_1) | instskip(SKIP_1) | instid1(SALU_CYCLE_1)
	v_cmp_ne_u32_e32 vcc_lo, 0x7f800000, v3
                                        ; implicit-def: $vgpr3
	s_and_saveexec_b32 s3, vcc_lo
	s_xor_b32 s3, exec_lo, s3
; %bb.87:
	v_bfe_u32 v3, v67, 16, 1
	s_delay_alu instid0(VALU_DEP_1)
	v_add3_u32 v3, v67, v3, 0x7fff
; %bb.88:
	s_and_not1_saveexec_b32 s3, s3
; %bb.89:
	v_and_b32_e32 v3, 0xffff, v67
	v_or_b32_e32 v4, 0x10000, v67
	s_delay_alu instid0(VALU_DEP_2) | instskip(NEXT) | instid1(VALU_DEP_2)
	v_cmp_eq_u32_e32 vcc_lo, 0, v3
	v_cndmask_b32_e32 v3, v4, v67, vcc_lo
; %bb.90:
	s_or_b32 exec_lo, exec_lo, s3
	v_and_b32_e32 v4, 0x7f800000, v68
	s_delay_alu instid0(VALU_DEP_1) | instskip(SKIP_1) | instid1(SALU_CYCLE_1)
	v_cmp_ne_u32_e32 vcc_lo, 0x7f800000, v4
                                        ; implicit-def: $vgpr4
	s_and_saveexec_b32 s3, vcc_lo
	s_xor_b32 s3, exec_lo, s3
; %bb.91:
	v_bfe_u32 v4, v68, 16, 1
	s_delay_alu instid0(VALU_DEP_1)
	v_add3_u32 v4, v68, v4, 0x7fff
; %bb.92:
	s_and_not1_saveexec_b32 s3, s3
; %bb.93:
	v_and_b32_e32 v4, 0xffff, v68
	v_or_b32_e32 v5, 0x10000, v68
	s_delay_alu instid0(VALU_DEP_2) | instskip(NEXT) | instid1(VALU_DEP_2)
	v_cmp_eq_u32_e32 vcc_lo, 0, v4
	v_cndmask_b32_e32 v4, v5, v68, vcc_lo
; %bb.94:
	s_or_b32 exec_lo, exec_lo, s3
	v_and_b32_e32 v5, 0x7f800000, v69
	s_delay_alu instid0(VALU_DEP_1) | instskip(SKIP_1) | instid1(SALU_CYCLE_1)
	v_cmp_ne_u32_e32 vcc_lo, 0x7f800000, v5
                                        ; implicit-def: $vgpr5
	s_and_saveexec_b32 s3, vcc_lo
	s_xor_b32 s3, exec_lo, s3
; %bb.95:
	v_bfe_u32 v5, v69, 16, 1
	s_delay_alu instid0(VALU_DEP_1)
	v_add3_u32 v5, v69, v5, 0x7fff
; %bb.96:
	s_and_not1_saveexec_b32 s3, s3
; %bb.97:
	v_and_b32_e32 v5, 0xffff, v69
	v_or_b32_e32 v6, 0x10000, v69
	s_delay_alu instid0(VALU_DEP_2) | instskip(NEXT) | instid1(VALU_DEP_2)
	v_cmp_eq_u32_e32 vcc_lo, 0, v5
	v_cndmask_b32_e32 v5, v6, v69, vcc_lo
; %bb.98:
	s_or_b32 exec_lo, exec_lo, s3
	v_and_b32_e32 v6, 0x7f800000, v70
	s_delay_alu instid0(VALU_DEP_1) | instskip(SKIP_1) | instid1(SALU_CYCLE_1)
	v_cmp_ne_u32_e32 vcc_lo, 0x7f800000, v6
                                        ; implicit-def: $vgpr6
	s_and_saveexec_b32 s3, vcc_lo
	s_xor_b32 s3, exec_lo, s3
; %bb.99:
	v_bfe_u32 v6, v70, 16, 1
	s_delay_alu instid0(VALU_DEP_1)
	v_add3_u32 v6, v70, v6, 0x7fff
; %bb.100:
	s_and_not1_saveexec_b32 s3, s3
; %bb.101:
	v_and_b32_e32 v6, 0xffff, v70
	v_or_b32_e32 v7, 0x10000, v70
	s_delay_alu instid0(VALU_DEP_2) | instskip(NEXT) | instid1(VALU_DEP_2)
	v_cmp_eq_u32_e32 vcc_lo, 0, v6
	v_cndmask_b32_e32 v6, v7, v70, vcc_lo
; %bb.102:
	s_or_b32 exec_lo, exec_lo, s3
	v_and_b32_e32 v7, 0x7f800000, v71
	s_delay_alu instid0(VALU_DEP_1) | instskip(SKIP_1) | instid1(SALU_CYCLE_1)
	v_cmp_ne_u32_e32 vcc_lo, 0x7f800000, v7
                                        ; implicit-def: $vgpr7
	s_and_saveexec_b32 s3, vcc_lo
	s_xor_b32 s3, exec_lo, s3
; %bb.103:
	v_bfe_u32 v7, v71, 16, 1
	s_delay_alu instid0(VALU_DEP_1)
	v_add3_u32 v7, v71, v7, 0x7fff
; %bb.104:
	s_and_not1_saveexec_b32 s3, s3
; %bb.105:
	v_and_b32_e32 v7, 0xffff, v71
	v_or_b32_e32 v8, 0x10000, v71
	s_delay_alu instid0(VALU_DEP_2) | instskip(NEXT) | instid1(VALU_DEP_2)
	v_cmp_eq_u32_e32 vcc_lo, 0, v7
	v_cndmask_b32_e32 v7, v8, v71, vcc_lo
; %bb.106:
	s_or_b32 exec_lo, exec_lo, s3
	v_and_b32_e32 v8, 0x7f800000, v72
	s_delay_alu instid0(VALU_DEP_1) | instskip(SKIP_1) | instid1(SALU_CYCLE_1)
	v_cmp_ne_u32_e32 vcc_lo, 0x7f800000, v8
                                        ; implicit-def: $vgpr8
	s_and_saveexec_b32 s3, vcc_lo
	s_xor_b32 s3, exec_lo, s3
; %bb.107:
	v_bfe_u32 v8, v72, 16, 1
	s_delay_alu instid0(VALU_DEP_1)
	v_add3_u32 v8, v72, v8, 0x7fff
                                        ; implicit-def: $vgpr65_vgpr66_vgpr67_vgpr68_vgpr69_vgpr70_vgpr71_vgpr72
; %bb.108:
	s_and_not1_saveexec_b32 s3, s3
; %bb.109:
	v_and_b32_e32 v8, 0xffff, v72
	v_or_b32_e32 v9, 0x10000, v72
	s_delay_alu instid0(VALU_DEP_2) | instskip(NEXT) | instid1(VALU_DEP_2)
	v_cmp_eq_u32_e32 vcc_lo, 0, v8
	v_cndmask_b32_e32 v8, v9, v72, vcc_lo
; %bb.110:
	s_or_b32 exec_lo, exec_lo, s3
	s_delay_alu instid0(VALU_DEP_1)
	v_perm_b32 v7, v8, v7, 0x7060302
	v_perm_b32 v6, v6, v5, 0x7060302
	;; [unrolled: 1-line block ×4, first 2 shown]
	s_barrier
	buffer_gl0_inv
	v_cmp_eq_u32_e32 vcc_lo, 1, v79
	ds_store_b128 v77, v[4:7]
	s_waitcnt lgkmcnt(0)
	s_barrier
	buffer_gl0_inv
	ds_load_b128 v[1:4], v83
	ds_load_b128 v[5:8], v83 offset:16
	v_cmp_eq_u32_e64 s3, 1, v80
	v_cmp_eq_u32_e64 s4, 2, v79
	v_cmp_eq_u32_e64 s5, 3, v79
	v_cmp_eq_u32_e64 s7, 2, v78
	v_cmp_eq_u32_e64 s6, 7, v80
	s_waitcnt lgkmcnt(1)
	v_lshrrev_b32_e32 v9, 16, v1
	s_waitcnt lgkmcnt(0)
	v_lshrrev_b32_e32 v13, 16, v5
	v_lshrrev_b32_e32 v10, 16, v2
	v_lshrrev_b32_e32 v14, 16, v6
	v_lshrrev_b32_e32 v11, 16, v3
	v_cndmask_b32_e64 v19, v1, v9, s3
	v_cndmask_b32_e32 v18, v5, v13, vcc_lo
	v_cndmask_b32_e64 v20, v5, v13, s3
	v_cndmask_b32_e32 v17, v1, v9, vcc_lo
	v_cmp_eq_u32_e32 vcc_lo, 2, v80
	v_lshrrev_b32_e32 v15, 16, v7
	v_cmp_eq_u32_e64 s3, 1, v78
	v_lshrrev_b32_e32 v12, 16, v4
	v_lshrrev_b32_e32 v16, 16, v8
	v_cndmask_b32_e32 v20, v20, v6, vcc_lo
	v_cndmask_b32_e64 v17, v17, v2, s4
	v_cndmask_b32_e32 v19, v19, v2, vcc_lo
	v_cndmask_b32_e64 v18, v18, v6, s4
	v_cmp_eq_u32_e32 vcc_lo, 4, v79
	v_cmp_eq_u32_e64 s4, 3, v80
	v_cndmask_b32_e64 v17, v17, v10, s5
	v_cndmask_b32_e64 v21, v1, v9, s3
	v_cndmask_b32_e64 v18, v18, v14, s5
	v_cndmask_b32_e64 v22, v5, v13, s3
	v_cndmask_b32_e64 v19, v19, v10, s4
	v_cndmask_b32_e32 v17, v17, v3, vcc_lo
	v_cndmask_b32_e64 v20, v20, v14, s4
	v_cndmask_b32_e32 v18, v18, v7, vcc_lo
	v_cmp_eq_u32_e32 vcc_lo, 4, v80
	v_cmp_eq_u32_e64 s4, 5, v80
	v_cmp_eq_u32_e64 s3, 2, v82
	v_cndmask_b32_e64 v21, v21, v2, s7
	v_cmp_eq_u32_e64 s5, 5, v79
	v_cndmask_b32_e32 v19, v19, v3, vcc_lo
	v_cndmask_b32_e32 v20, v20, v7, vcc_lo
	v_cmp_eq_u32_e32 vcc_lo, 6, v80
	s_delay_alu instid0(VALU_DEP_4) | instskip(NEXT) | instid1(VALU_DEP_4)
	v_cndmask_b32_e64 v17, v17, v11, s5
	v_cndmask_b32_e64 v19, v19, v11, s4
	s_delay_alu instid0(VALU_DEP_4) | instskip(SKIP_1) | instid1(VALU_DEP_3)
	v_cndmask_b32_e64 v20, v20, v15, s4
	v_cmp_eq_u32_e64 s4, 1, v82
	v_cndmask_b32_e32 v19, v19, v4, vcc_lo
	v_cndmask_b32_e64 v18, v18, v15, s5
	s_delay_alu instid0(VALU_DEP_3)
	v_cndmask_b32_e64 v1, v1, v9, s4
	v_cndmask_b32_e64 v5, v5, v13, s4
	v_cmp_eq_u32_e64 s4, 3, v78
	v_cndmask_b32_e64 v13, v22, v6, s7
	v_cmp_eq_u32_e64 s7, 3, v82
	v_cndmask_b32_e64 v1, v1, v2, s3
	v_cndmask_b32_e64 v2, v5, v6, s3
	;; [unrolled: 1-line block ×3, first 2 shown]
	v_cmp_eq_u32_e64 s3, 4, v78
	v_cndmask_b32_e64 v6, v13, v14, s4
	v_cndmask_b32_e64 v1, v1, v10, s7
	v_cmp_eq_u32_e64 s4, 4, v82
	v_cndmask_b32_e64 v2, v2, v14, s7
	v_cndmask_b32_e64 v5, v9, v3, s3
	;; [unrolled: 3-line block ×3, first 2 shown]
	v_cndmask_b32_e64 v2, v2, v7, s4
	v_cmp_eq_u32_e64 s3, 5, v82
	v_cmp_eq_u32_e64 s5, 6, v79
	v_cndmask_b32_e64 v5, v5, v11, s7
	v_cmp_eq_u32_e64 s4, 6, v78
	v_cndmask_b32_e64 v3, v6, v15, s7
	v_cndmask_b32_e64 v1, v1, v11, s3
	v_cmp_eq_u32_e64 s7, 6, v82
	v_cndmask_b32_e64 v2, v2, v15, s3
	v_cndmask_b32_e64 v17, v17, v4, s5
	v_cndmask_b32_e64 v18, v18, v8, s5
	v_cmp_eq_u32_e64 s5, 7, v79
	v_cndmask_b32_e64 v5, v5, v4, s4
	v_cndmask_b32_e64 v3, v3, v8, s4
	v_cndmask_b32_e64 v1, v1, v4, s7
	v_cmp_eq_u32_e64 s3, 7, v82
	v_cndmask_b32_e64 v2, v2, v8, s7
	v_cmp_eq_u32_e64 s4, 7, v78
	v_cndmask_b32_e32 v4, v20, v8, vcc_lo
	v_cndmask_b32_e64 v17, v17, v12, s5
	v_cndmask_b32_e64 v19, v19, v12, s6
	;; [unrolled: 1-line block ×8, first 2 shown]
	s_delay_alu instid0(VALU_DEP_4) | instskip(NEXT) | instid1(VALU_DEP_4)
	v_perm_b32 v4, v2, v1, 0x5040100
	v_perm_b32 v3, v3, v5, 0x5040100
	s_delay_alu instid0(VALU_DEP_4) | instskip(NEXT) | instid1(VALU_DEP_4)
	v_perm_b32 v2, v6, v19, 0x5040100
	v_perm_b32 v1, v7, v17, 0x5040100
	ds_store_b128 v77, v[1:4]
	s_waitcnt lgkmcnt(0)
	s_barrier
	buffer_gl0_inv
	s_and_saveexec_b32 s3, s2
	s_cbranch_execz .LBB1523_2
; %bb.111:
	s_load_b64 s[0:1], s[0:1], 0x68
	v_lshlrev_b32_e32 v0, 10, v0
	s_lshl_b32 s2, s34, 7
	v_lshlrev_b32_e32 v1, 4, v76
	v_mul_lo_u32 v4, s2, v75
	s_mul_i32 s3, s2, s30
	v_and_b32_e32 v0, 0x3800, v0
	s_mul_i32 s2, s3, s8
	s_delay_alu instid0(SALU_CYCLE_1) | instskip(NEXT) | instid1(VALU_DEP_1)
	s_ashr_i32 s3, s2, 31
	v_or3_b32 v0, v0, v74, v1
	s_lshl_b64 s[2:3], s[2:3], 1
	s_delay_alu instid0(VALU_DEP_3)
	v_ashrrev_i32_e32 v5, 31, v4
	ds_load_b128 v[0:3], v0
	v_lshlrev_b64 v[4:5], 1, v[4:5]
	s_waitcnt lgkmcnt(0)
	s_add_u32 s2, s0, s2
	s_addc_u32 s3, s1, s3
	s_lshl_b32 s0, s14, 7
	s_delay_alu instid0(SALU_CYCLE_1) | instskip(NEXT) | instid1(SALU_CYCLE_1)
	s_ashr_i32 s1, s0, 31
	s_lshl_b64 s[0:1], s[0:1], 1
	s_delay_alu instid0(SALU_CYCLE_1) | instskip(SKIP_3) | instid1(VALU_DEP_2)
	s_add_u32 s0, s2, s0
	s_addc_u32 s1, s3, s1
	v_add_co_u32 v4, vcc_lo, s0, v4
	v_add_co_ci_u32_e32 v5, vcc_lo, s1, v5, vcc_lo
	v_add_co_u32 v4, vcc_lo, v4, v73
	s_delay_alu instid0(VALU_DEP_2)
	v_add_co_ci_u32_e32 v5, vcc_lo, 0, v5, vcc_lo
	global_store_b128 v[4:5], v[0:3], off
	s_nop 0
	s_sendmsg sendmsg(MSG_DEALLOC_VGPRS)
	s_endpgm
	.section	.rodata,"a",@progbits
	.p2align	6, 0x0
	.amdhsa_kernel _Z39paged_attention_ll4mi_QKV_mfma16_kernelI14__hip_bfloat16hLN4vllm18Fp8KVCacheDataTypeE1EhLi16ELi128ELi256ELb1ELi2EL8MFMAType1EEvPKT_PKT0_S9_ifPKiSB_SB_iPKfiiiPfSE_PS4_PT2_iSD_SD_
		.amdhsa_group_segment_fixed_size 17472
		.amdhsa_private_segment_fixed_size 0
		.amdhsa_kernarg_size 400
		.amdhsa_user_sgpr_count 13
		.amdhsa_user_sgpr_dispatch_ptr 0
		.amdhsa_user_sgpr_queue_ptr 0
		.amdhsa_user_sgpr_kernarg_segment_ptr 1
		.amdhsa_user_sgpr_dispatch_id 0
		.amdhsa_user_sgpr_private_segment_size 0
		.amdhsa_wavefront_size32 1
		.amdhsa_uses_dynamic_stack 0
		.amdhsa_enable_private_segment 0
		.amdhsa_system_sgpr_workgroup_id_x 1
		.amdhsa_system_sgpr_workgroup_id_y 1
		.amdhsa_system_sgpr_workgroup_id_z 1
		.amdhsa_system_sgpr_workgroup_info 0
		.amdhsa_system_vgpr_workitem_id 0
		.amdhsa_next_free_vgpr 138
		.amdhsa_next_free_sgpr 36
		.amdhsa_reserve_vcc 1
		.amdhsa_float_round_mode_32 0
		.amdhsa_float_round_mode_16_64 0
		.amdhsa_float_denorm_mode_32 3
		.amdhsa_float_denorm_mode_16_64 3
		.amdhsa_dx10_clamp 1
		.amdhsa_ieee_mode 1
		.amdhsa_fp16_overflow 0
		.amdhsa_workgroup_processor_mode 1
		.amdhsa_memory_ordered 1
		.amdhsa_forward_progress 0
		.amdhsa_shared_vgpr_count 0
		.amdhsa_exception_fp_ieee_invalid_op 0
		.amdhsa_exception_fp_denorm_src 0
		.amdhsa_exception_fp_ieee_div_zero 0
		.amdhsa_exception_fp_ieee_overflow 0
		.amdhsa_exception_fp_ieee_underflow 0
		.amdhsa_exception_fp_ieee_inexact 0
		.amdhsa_exception_int_div_zero 0
	.end_amdhsa_kernel
	.section	.text._Z39paged_attention_ll4mi_QKV_mfma16_kernelI14__hip_bfloat16hLN4vllm18Fp8KVCacheDataTypeE1EhLi16ELi128ELi256ELb1ELi2EL8MFMAType1EEvPKT_PKT0_S9_ifPKiSB_SB_iPKfiiiPfSE_PS4_PT2_iSD_SD_,"axG",@progbits,_Z39paged_attention_ll4mi_QKV_mfma16_kernelI14__hip_bfloat16hLN4vllm18Fp8KVCacheDataTypeE1EhLi16ELi128ELi256ELb1ELi2EL8MFMAType1EEvPKT_PKT0_S9_ifPKiSB_SB_iPKfiiiPfSE_PS4_PT2_iSD_SD_,comdat
.Lfunc_end1523:
	.size	_Z39paged_attention_ll4mi_QKV_mfma16_kernelI14__hip_bfloat16hLN4vllm18Fp8KVCacheDataTypeE1EhLi16ELi128ELi256ELb1ELi2EL8MFMAType1EEvPKT_PKT0_S9_ifPKiSB_SB_iPKfiiiPfSE_PS4_PT2_iSD_SD_, .Lfunc_end1523-_Z39paged_attention_ll4mi_QKV_mfma16_kernelI14__hip_bfloat16hLN4vllm18Fp8KVCacheDataTypeE1EhLi16ELi128ELi256ELb1ELi2EL8MFMAType1EEvPKT_PKT0_S9_ifPKiSB_SB_iPKfiiiPfSE_PS4_PT2_iSD_SD_
                                        ; -- End function
	.section	.AMDGPU.csdata,"",@progbits
; Kernel info:
; codeLenInByte = 8624
; NumSgprs: 38
; NumVgprs: 138
; ScratchSize: 0
; MemoryBound: 0
; FloatMode: 240
; IeeeMode: 1
; LDSByteSize: 17472 bytes/workgroup (compile time only)
; SGPRBlocks: 4
; VGPRBlocks: 17
; NumSGPRsForWavesPerEU: 38
; NumVGPRsForWavesPerEU: 138
; Occupancy: 10
; WaveLimiterHint : 1
; COMPUTE_PGM_RSRC2:SCRATCH_EN: 0
; COMPUTE_PGM_RSRC2:USER_SGPR: 13
; COMPUTE_PGM_RSRC2:TRAP_HANDLER: 0
; COMPUTE_PGM_RSRC2:TGID_X_EN: 1
; COMPUTE_PGM_RSRC2:TGID_Y_EN: 1
; COMPUTE_PGM_RSRC2:TGID_Z_EN: 1
; COMPUTE_PGM_RSRC2:TIDIG_COMP_CNT: 0
	.section	.text._Z39paged_attention_ll4mi_QKV_mfma16_kernelI14__hip_bfloat16hLN4vllm18Fp8KVCacheDataTypeE1EhLi16ELi128ELi256ELb1ELi3EL8MFMAType1EEvPKT_PKT0_S9_ifPKiSB_SB_iPKfiiiPfSE_PS4_PT2_iSD_SD_,"axG",@progbits,_Z39paged_attention_ll4mi_QKV_mfma16_kernelI14__hip_bfloat16hLN4vllm18Fp8KVCacheDataTypeE1EhLi16ELi128ELi256ELb1ELi3EL8MFMAType1EEvPKT_PKT0_S9_ifPKiSB_SB_iPKfiiiPfSE_PS4_PT2_iSD_SD_,comdat
	.protected	_Z39paged_attention_ll4mi_QKV_mfma16_kernelI14__hip_bfloat16hLN4vllm18Fp8KVCacheDataTypeE1EhLi16ELi128ELi256ELb1ELi3EL8MFMAType1EEvPKT_PKT0_S9_ifPKiSB_SB_iPKfiiiPfSE_PS4_PT2_iSD_SD_ ; -- Begin function _Z39paged_attention_ll4mi_QKV_mfma16_kernelI14__hip_bfloat16hLN4vllm18Fp8KVCacheDataTypeE1EhLi16ELi128ELi256ELb1ELi3EL8MFMAType1EEvPKT_PKT0_S9_ifPKiSB_SB_iPKfiiiPfSE_PS4_PT2_iSD_SD_
	.globl	_Z39paged_attention_ll4mi_QKV_mfma16_kernelI14__hip_bfloat16hLN4vllm18Fp8KVCacheDataTypeE1EhLi16ELi128ELi256ELb1ELi3EL8MFMAType1EEvPKT_PKT0_S9_ifPKiSB_SB_iPKfiiiPfSE_PS4_PT2_iSD_SD_
	.p2align	8
	.type	_Z39paged_attention_ll4mi_QKV_mfma16_kernelI14__hip_bfloat16hLN4vllm18Fp8KVCacheDataTypeE1EhLi16ELi128ELi256ELb1ELi3EL8MFMAType1EEvPKT_PKT0_S9_ifPKiSB_SB_iPKfiiiPfSE_PS4_PT2_iSD_SD_,@function
_Z39paged_attention_ll4mi_QKV_mfma16_kernelI14__hip_bfloat16hLN4vllm18Fp8KVCacheDataTypeE1EhLi16ELi128ELi256ELb1ELi3EL8MFMAType1EEvPKT_PKT0_S9_ifPKiSB_SB_iPKfiiiPfSE_PS4_PT2_iSD_SD_: ; @_Z39paged_attention_ll4mi_QKV_mfma16_kernelI14__hip_bfloat16hLN4vllm18Fp8KVCacheDataTypeE1EhLi16ELi128ELi256ELb1ELi3EL8MFMAType1EEvPKT_PKT0_S9_ifPKiSB_SB_iPKfiiiPfSE_PS4_PT2_iSD_SD_
; %bb.0:
	s_load_b64 s[4:5], s[0:1], 0x30
	s_mov_b32 s30, s13
	s_waitcnt lgkmcnt(0)
	s_cmp_lg_u64 s[4:5], 0
	s_cselect_b32 s13, -1, 0
	s_ashr_i32 s31, s30, 31
	s_cmp_eq_u64 s[4:5], 0
	s_cbranch_scc1 .LBB1524_3
; %bb.1:
	s_lshl_b64 s[2:3], s[30:31], 2
	s_delay_alu instid0(SALU_CYCLE_1) | instskip(SKIP_4) | instid1(SALU_CYCLE_1)
	s_add_u32 s2, s4, s2
	s_addc_u32 s3, s5, s3
	s_load_b64 s[2:3], s[2:3], 0x0
	s_waitcnt lgkmcnt(0)
	s_sub_i32 s2, s3, s2
	s_cmp_eq_u32 s2, 1
	s_cselect_b32 s2, -1, 0
	s_delay_alu instid0(SALU_CYCLE_1)
	s_and_not1_b32 vcc_lo, exec_lo, s2
	s_cbranch_vccz .LBB1524_4
.LBB1524_2:
	s_nop 0
	s_sendmsg sendmsg(MSG_DEALLOC_VGPRS)
	s_endpgm
.LBB1524_3:
.LBB1524_4:
	s_load_b64 s[2:3], s[0:1], 0x28
	s_lshl_b64 s[6:7], s[30:31], 2
	s_waitcnt lgkmcnt(0)
	s_add_u32 s2, s2, s6
	s_addc_u32 s3, s3, s7
	s_lshl_b32 s12, s14, 8
	s_load_b32 s17, s[2:3], 0x0
	s_waitcnt lgkmcnt(0)
	s_cmp_ge_i32 s12, s17
	s_cbranch_scc1 .LBB1524_2
; %bb.5:
	s_clause 0x1
	s_load_b128 s[8:11], s[0:1], 0x8
	s_load_b64 s[2:3], s[0:1], 0x20
	s_and_not1_b32 vcc_lo, exec_lo, s13
	s_cbranch_vccnz .LBB1524_7
; %bb.6:
	s_add_u32 s4, s4, s6
	s_addc_u32 s5, s5, s7
	s_load_b32 s13, s[4:5], 0x0
	s_branch .LBB1524_8
.LBB1524_7:
	s_mov_b32 s13, s30
.LBB1524_8:
	s_load_b128 s[4:7], s[0:1], 0x48
	v_and_b32_e32 v65, 15, v0
	v_lshrrev_b32_e32 v66, 5, v0
	v_bfe_u32 v74, v0, 4, 1
	v_and_b32_e32 v67, 31, v0
	v_and_b32_e32 v75, 1, v0
	v_lshlrev_b32_e32 v2, 3, v65
	s_mul_i32 s31, s15, 3
	v_lshl_or_b32 v1, v66, 1, v74
	s_waitcnt lgkmcnt(0)
	s_mov_b32 s7, exec_lo
	v_lshlrev_b32_e32 v73, 1, v2
	s_delay_alu instid0(VALU_DEP_2)
	v_cmpx_gt_u32_e32 3, v1
	s_cbranch_execz .LBB1524_10
; %bb.9:
	s_load_b64 s[18:19], s[0:1], 0x0
	v_add_lshl_u32 v2, v1, s31, 7
	s_mul_hi_i32 s21, s13, s4
	s_mul_i32 s20, s13, s4
	v_lshlrev_b32_e32 v6, 10, v65
	s_lshl_b64 s[20:21], s[20:21], 1
	v_ashrrev_i32_e32 v3, 31, v2
	v_lshlrev_b32_e32 v1, 6, v1
	v_lshlrev_b32_e32 v7, 10, v75
	v_and_b32_e32 v6, 0x3800, v6
	s_delay_alu instid0(VALU_DEP_4) | instskip(NEXT) | instid1(VALU_DEP_2)
	v_lshlrev_b64 v[2:3], 1, v[2:3]
	v_or3_b32 v1, v6, v7, v1
	s_waitcnt lgkmcnt(0)
	s_add_u32 s4, s18, s20
	s_addc_u32 s13, s19, s21
	s_delay_alu instid0(VALU_DEP_2) | instskip(SKIP_1) | instid1(VALU_DEP_2)
	v_add_co_u32 v2, vcc_lo, s4, v2
	v_add_co_ci_u32_e32 v3, vcc_lo, s13, v3, vcc_lo
	v_add_co_u32 v2, vcc_lo, v2, v73
	s_delay_alu instid0(VALU_DEP_2)
	v_add_co_ci_u32_e32 v3, vcc_lo, 0, v3, vcc_lo
	global_load_b128 v[2:5], v[2:3], off
	s_waitcnt vmcnt(0)
	ds_store_b128 v1, v[2:5]
.LBB1524_10:
	s_or_b32 exec_lo, exec_lo, s7
	v_and_b32_e32 v1, 0xef, v0
	s_add_i32 s4, s17, 15
	s_clause 0x1
	s_load_b32 s7, s[0:1], 0x38
	s_load_b32 s18, s[0:1], 0x1c
	s_ashr_i32 s13, s4, 31
	v_add_nc_u32_e32 v2, s12, v1
	s_lshr_b32 s13, s13, 28
	s_waitcnt lgkmcnt(0)
	s_add_i32 s4, s4, s13
	s_barrier
	v_ashrrev_i32_e32 v1, 31, v2
	s_ashr_i32 s4, s4, 4
	v_cmp_gt_i32_e32 vcc_lo, s17, v2
	s_add_i32 s4, s4, -1
	buffer_gl0_inv
	v_lshrrev_b32_e32 v3, 28, v1
	v_or_b32_e32 v1, 16, v2
	s_mul_i32 s15, s15, s6
	s_delay_alu instid0(VALU_DEP_2) | instskip(SKIP_1) | instid1(SALU_CYCLE_1)
	v_add_nc_u32_e32 v4, v2, v3
	s_mul_i32 s20, s30, s7
	s_ashr_i32 s21, s20, 31
	s_delay_alu instid0(VALU_DEP_1) | instskip(SKIP_2) | instid1(SALU_CYCLE_1)
	v_ashrrev_i32_e32 v4, 4, v4
	v_add_nc_u32_e32 v3, v1, v3
	s_lshl_b64 s[20:21], s[20:21], 2
	s_add_u32 s2, s2, s20
	s_delay_alu instid0(VALU_DEP_2) | instskip(NEXT) | instid1(VALU_DEP_2)
	v_cndmask_b32_e32 v2, s4, v4, vcc_lo
	v_ashrrev_i32_e32 v3, 4, v3
	v_cmp_gt_i32_e32 vcc_lo, s17, v1
	s_addc_u32 s3, s3, s21
	s_ashr_i32 s6, s15, 31
	s_add_u32 s7, s8, s15
	s_addc_u32 s13, s9, s6
	v_cndmask_b32_e32 v4, s4, v3, vcc_lo
	v_ashrrev_i32_e32 v3, 31, v2
	s_lshl_b32 s8, s14, 4
	s_delay_alu instid0(SALU_CYCLE_1) | instskip(NEXT) | instid1(VALU_DEP_2)
	s_ashr_i32 s9, s8, 31
	v_ashrrev_i32_e32 v5, 31, v4
	s_delay_alu instid0(VALU_DEP_2) | instskip(SKIP_1) | instid1(SALU_CYCLE_1)
	v_lshlrev_b64 v[1:2], 2, v[2:3]
	s_lshl_b64 s[8:9], s[8:9], 2
	s_add_u32 s8, s2, s8
	s_delay_alu instid0(VALU_DEP_2) | instskip(SKIP_1) | instid1(VALU_DEP_2)
	v_lshlrev_b64 v[3:4], 2, v[4:5]
	s_addc_u32 s9, s3, s9
	v_add_co_u32 v1, vcc_lo, s2, v1
	v_add_co_ci_u32_e32 v2, vcc_lo, s3, v2, vcc_lo
	s_delay_alu instid0(VALU_DEP_3) | instskip(NEXT) | instid1(VALU_DEP_4)
	v_add_co_u32 v3, vcc_lo, s2, v3
	v_add_co_ci_u32_e32 v4, vcc_lo, s3, v4, vcc_lo
	s_clause 0x1
	global_load_b32 v5, v[1:2], off
	global_load_b32 v3, v[3:4], off
	v_lshlrev_b32_e32 v1, 4, v0
	s_or_b32 s16, s12, 32
	s_delay_alu instid0(SALU_CYCLE_1) | instskip(SKIP_1) | instid1(VALU_DEP_1)
	s_ashr_i32 s19, s16, 4
	s_cmp_lt_i32 s16, s17
	v_and_b32_e32 v1, 0xf0, v1
	s_cselect_b32 s20, s19, s4
	s_delay_alu instid0(SALU_CYCLE_1) | instskip(NEXT) | instid1(SALU_CYCLE_1)
	s_ashr_i32 s21, s20, 31
	s_lshl_b64 s[20:21], s[20:21], 2
	s_delay_alu instid0(VALU_DEP_1)
	v_add_co_u32 v1, s7, s7, v1
	s_add_u32 s20, s2, s20
	s_addc_u32 s21, s3, s21
	s_or_b32 s16, s12, 64
	v_add_co_ci_u32_e64 v2, null, s13, 0, s7
	s_ashr_i32 s19, s16, 4
	s_cmp_lt_i32 s16, s17
	s_cselect_b32 s22, s19, s4
	s_delay_alu instid0(SALU_CYCLE_1) | instskip(NEXT) | instid1(SALU_CYCLE_1)
	s_ashr_i32 s23, s22, 31
	s_lshl_b64 s[22:23], s[22:23], 2
	s_delay_alu instid0(SALU_CYCLE_1) | instskip(SKIP_2) | instid1(SALU_CYCLE_1)
	s_add_u32 s22, s2, s22
	s_addc_u32 s23, s3, s23
	s_or_b32 s16, s12, 0x60
	s_ashr_i32 s19, s16, 4
	s_cmp_lt_i32 s16, s17
	s_cselect_b32 s24, s19, s4
	s_delay_alu instid0(SALU_CYCLE_1) | instskip(NEXT) | instid1(SALU_CYCLE_1)
	s_ashr_i32 s25, s24, 31
	s_lshl_b64 s[24:25], s[24:25], 2
	s_delay_alu instid0(SALU_CYCLE_1) | instskip(SKIP_2) | instid1(SALU_CYCLE_1)
	s_add_u32 s24, s2, s24
	s_addc_u32 s25, s3, s25
	s_or_b32 s16, s12, 0x80
	;; [unrolled: 10-line block ×3, first 2 shown]
	s_ashr_i32 s19, s16, 4
	s_cmp_lt_i32 s16, s17
	s_cselect_b32 s28, s19, s4
	s_delay_alu instid0(SALU_CYCLE_1) | instskip(NEXT) | instid1(SALU_CYCLE_1)
	s_ashr_i32 s29, s28, 31
	s_lshl_b64 s[28:29], s[28:29], 2
	s_delay_alu instid0(SALU_CYCLE_1)
	s_add_u32 s28, s2, s28
	s_addc_u32 s29, s3, s29
	s_clause 0x5
	s_load_b32 s7, s[8:9], 0x0
	s_load_b32 s13, s[20:21], 0x0
	;; [unrolled: 1-line block ×6, first 2 shown]
	s_or_b32 s8, s12, 0xc0
	s_mov_b32 s20, 0
	s_ashr_i32 s9, s8, 4
	s_cmp_lt_i32 s8, s17
	s_mov_b32 s27, s20
	s_cselect_b32 s8, s9, s4
	s_mov_b32 s21, s20
	s_ashr_i32 s9, s8, 31
	s_mov_b32 s22, s20
	s_lshl_b64 s[8:9], s[8:9], 2
	s_mov_b32 s23, s20
	s_mov_b32 s24, s20
	;; [unrolled: 1-line block ×4, first 2 shown]
	v_dual_mov_b32 v107, s27 :: v_dual_mov_b32 v104, s24
	s_add_u32 s8, s2, s8
	v_dual_mov_b32 v106, s26 :: v_dual_mov_b32 v105, s25
	v_dual_mov_b32 v101, s21 :: v_dual_mov_b32 v100, s20
	s_addc_u32 s9, s3, s9
	v_dual_mov_b32 v103, s23 :: v_dual_mov_b32 v102, s22
	s_or_b32 s20, s12, 0xe0
	s_delay_alu instid0(SALU_CYCLE_1) | instskip(SKIP_2) | instid1(SALU_CYCLE_1)
	s_ashr_i32 s21, s20, 4
	s_cmp_lt_i32 s20, s17
	s_cselect_b32 s20, s21, s4
	s_ashr_i32 s21, s20, 31
	s_delay_alu instid0(SALU_CYCLE_1) | instskip(NEXT) | instid1(SALU_CYCLE_1)
	s_lshl_b64 s[20:21], s[20:21], 2
	s_add_u32 s2, s2, s20
	s_addc_u32 s3, s3, s21
	s_waitcnt vmcnt(1)
	v_mad_i64_i32 v[25:26], null, v5, s5, v[1:2]
	s_waitcnt vmcnt(0)
	v_mad_i64_i32 v[27:28], null, v3, s5, v[1:2]
	s_clause 0xf
	global_load_b128 v[1:4], v[25:26], off
	global_load_b128 v[5:8], v[25:26], off offset:256
	global_load_b128 v[9:12], v[27:28], off
	global_load_b128 v[13:16], v[27:28], off offset:256
	global_load_b128 v[17:20], v[25:26], off offset:512
	global_load_b128 v[21:24], v[25:26], off offset:768
	global_load_b128 v[49:52], v[27:28], off offset:512
	global_load_b128 v[53:56], v[27:28], off offset:768
	global_load_b128 v[57:60], v[25:26], off offset:1024
	global_load_b128 v[61:64], v[25:26], off offset:1280
	global_load_b128 v[76:79], v[27:28], off offset:1024
	global_load_b128 v[80:83], v[27:28], off offset:1280
	global_load_b128 v[84:87], v[25:26], off offset:1536
	global_load_b128 v[88:91], v[25:26], off offset:1792
	global_load_b128 v[92:95], v[27:28], off offset:1536
	global_load_b128 v[96:99], v[27:28], off offset:1792
	v_mul_lo_u16 v25, 0x56, v65
	v_lshlrev_b32_e32 v26, 4, v65
	s_delay_alu instid0(VALU_DEP_2) | instskip(NEXT) | instid1(VALU_DEP_2)
	v_lshrrev_b16 v25, 8, v25
	v_lshl_or_b32 v33, v66, 8, v26
	s_delay_alu instid0(VALU_DEP_2) | instskip(NEXT) | instid1(VALU_DEP_1)
	v_mul_lo_u16 v25, v25, 3
	v_sub_nc_u16 v25, v65, v25
	s_delay_alu instid0(VALU_DEP_1) | instskip(NEXT) | instid1(VALU_DEP_1)
	v_and_b32_e32 v25, 0xff, v25
	v_lshlrev_b32_e32 v72, 6, v25
	ds_load_b128 v[25:28], v72
	ds_load_b128 v[29:32], v72 offset:1024
	ds_load_b128 v[108:111], v72 offset:2048
	;; [unrolled: 1-line block ×3, first 2 shown]
	s_load_b32 s4, s[8:9], 0x0
	ds_load_b128 v[116:119], v72 offset:4096
	ds_load_b128 v[120:123], v72 offset:5120
	s_load_b32 s2, s[2:3], 0x0
	s_add_u32 s8, s10, s15
	s_addc_u32 s6, s11, s6
	v_add_co_u32 v68, s8, s8, v33
	s_delay_alu instid0(VALU_DEP_1) | instskip(SKIP_1) | instid1(VALU_DEP_1)
	v_add_co_ci_u32_e64 v69, null, s6, 0, s8
	s_waitcnt lgkmcnt(0)
	v_mad_i64_i32 v[33:34], null, s7, s5, v[68:69]
	v_mad_i64_i32 v[70:71], null, s16, s5, v[68:69]
	;; [unrolled: 1-line block ×7, first 2 shown]
	s_clause 0x3
	global_load_b128 v[41:44], v[33:34], off
	global_load_b128 v[45:48], v[33:34], off offset:16
	global_load_b128 v[33:36], v[37:38], off
	global_load_b128 v[37:40], v[37:38], off offset:16
	s_waitcnt vmcnt(18)
	v_wmma_f32_16x16x16_bf16 v[124:131], v[1:8], v[25:32], v[100:107]
	s_waitcnt vmcnt(16)
	v_wmma_f32_16x16x16_bf16 v[100:107], v[9:16], v[25:32], v[100:107]
	s_clause 0x1
	global_load_b128 v[25:28], v[70:71], off
	global_load_b128 v[29:32], v[70:71], off offset:16
	s_waitcnt vmcnt(16)
	v_wmma_f32_16x16x16_bf16 v[124:131], v[17:24], v[108:115], v[124:131]
	s_clause 0x1
	global_load_b128 v[17:20], v[132:133], off
	global_load_b128 v[21:24], v[132:133], off offset:16
	s_waitcnt vmcnt(16)
	v_wmma_f32_16x16x16_bf16 v[100:107], v[49:56], v[108:115], v[100:107]
	v_mad_i64_i32 v[53:54], null, s2, s5, v[68:69]
	s_clause 0x3
	global_load_b128 v[1:4], v[134:135], off
	global_load_b128 v[5:8], v[134:135], off offset:16
	global_load_b128 v[9:12], v[136:137], off
	global_load_b128 v[13:16], v[136:137], off offset:16
	s_waitcnt vmcnt(18)
	v_wmma_f32_16x16x16_bf16 v[124:131], v[57:64], v[116:123], v[124:131]
	s_clause 0x3
	global_load_b128 v[57:60], v[138:139], off
	global_load_b128 v[61:64], v[138:139], off offset:16
	global_load_b128 v[49:52], v[53:54], off
	global_load_b128 v[53:56], v[53:54], off offset:16
	v_mbcnt_lo_u32_b32 v69, -1, 0
	s_waitcnt vmcnt(20)
	v_wmma_f32_16x16x16_bf16 v[100:107], v[76:83], v[116:123], v[100:107]
	s_delay_alu instid0(VALU_DEP_2) | instskip(NEXT) | instid1(VALU_DEP_1)
	v_xor_b32_e32 v70, 16, v69
	v_cmp_gt_i32_e32 vcc_lo, 32, v70
	v_cndmask_b32_e32 v69, v69, v70, vcc_lo
	ds_load_b128 v[76:79], v72 offset:6144
	ds_load_b128 v[80:83], v72 offset:7168
	s_waitcnt vmcnt(0) lgkmcnt(0)
	s_barrier
	buffer_gl0_inv
	v_wmma_f32_16x16x16_bf16 v[124:131], v[84:91], v[76:83], v[124:131]
	v_and_b32_e32 v68, 0xe0, v0
	v_wmma_f32_16x16x16_bf16 v[100:107], v[92:99], v[76:83], v[100:107]
	s_delay_alu instid0(VALU_DEP_2) | instskip(NEXT) | instid1(VALU_DEP_4)
	v_dual_mul_f32 v79, s18, v127 :: v_dual_add_nc_u32 v68, s12, v68
	v_mul_f32_e32 v81, s18, v129
	v_dual_mul_f32 v78, s18, v125 :: v_dual_mul_f32 v83, s18, v131
	s_delay_alu instid0(VALU_DEP_4) | instskip(NEXT) | instid1(VALU_DEP_4)
	v_dual_mul_f32 v80, s18, v126 :: v_dual_mul_f32 v95, s18, v103
	v_or_b32_e32 v68, v68, v74
	v_dual_mul_f32 v93, s18, v101 :: v_dual_mul_f32 v82, s18, v128
	v_dual_mul_f32 v97, s18, v105 :: v_dual_mul_f32 v92, s18, v130
	v_mul_f32_e32 v99, s18, v107
	s_delay_alu instid0(VALU_DEP_4)
	v_or_b32_e32 v70, 2, v68
	v_or_b32_e32 v71, 4, v68
	;; [unrolled: 1-line block ×3, first 2 shown]
	v_cmp_gt_i32_e64 s2, s17, v68
	v_or_b32_e32 v108, 8, v68
	v_cmp_gt_i32_e32 vcc_lo, s17, v70
	v_mul_f32_e32 v70, s18, v124
	v_or_b32_e32 v109, 10, v68
	v_cmp_gt_i32_e64 s3, s17, v71
	v_cmp_gt_i32_e64 s4, s17, v72
	v_cndmask_b32_e32 v78, 0xff7fffff, v78, vcc_lo
	v_cndmask_b32_e64 v70, 0xff7fffff, v70, s2
	v_or_b32_e32 v84, 12, v68
	v_or_b32_e32 v85, 14, v68
	v_cndmask_b32_e64 v71, 0xff7fffff, v80, s3
	v_cndmask_b32_e64 v72, 0xff7fffff, v79, s4
	v_max3_f32 v70, v70, 0xff7fffff, v78
	v_cmp_gt_i32_e64 s5, s17, v108
	v_cmp_gt_i32_e64 s6, s17, v109
	v_or_b32_e32 v86, 16, v68
	v_or_b32_e32 v87, 18, v68
	v_max3_f32 v70, v70, v71, v72
	v_cndmask_b32_e64 v78, 0xff7fffff, v82, s5
	v_cndmask_b32_e64 v79, 0xff7fffff, v81, s6
	v_cmp_gt_i32_e64 s7, s17, v84
	v_cmp_gt_i32_e64 s8, s17, v85
	v_or_b32_e32 v88, 20, v68
	v_or_b32_e32 v89, 22, v68
	v_mul_f32_e32 v94, s18, v100
	v_cndmask_b32_e64 v71, 0xff7fffff, v92, s7
	v_cndmask_b32_e64 v72, 0xff7fffff, v83, s8
	v_max3_f32 v70, v70, v78, v79
	v_cmp_gt_i32_e64 s9, s17, v86
	v_cmp_gt_i32_e64 s10, s17, v87
	v_or_b32_e32 v90, 24, v68
	v_or_b32_e32 v91, 26, v68
	v_mul_f32_e32 v96, s18, v102
	v_max3_f32 v70, v70, v71, v72
	v_cndmask_b32_e64 v79, 0xff7fffff, v93, s10
	v_cmp_gt_i32_e64 s11, s17, v88
	v_cmp_gt_i32_e64 s12, s17, v89
	v_lshlrev_b32_e32 v89, 2, v69
	v_cndmask_b32_e64 v78, 0xff7fffff, v94, s9
	v_or_b32_e32 v76, 28, v68
	v_or_b32_e32 v77, 30, v68
	v_mul_f32_e32 v98, s18, v104
	v_cndmask_b32_e64 v71, 0xff7fffff, v96, s11
	v_cndmask_b32_e64 v72, 0xff7fffff, v95, s12
	v_max3_f32 v70, v70, v78, v79
	v_cmp_gt_i32_e64 s13, s17, v90
	v_cmp_gt_i32_e64 s15, s17, v91
	v_mul_f32_e32 v68, s18, v106
	v_cmp_gt_i32_e64 s16, s17, v76
	v_max3_f32 v70, v70, v71, v72
	v_cndmask_b32_e64 v78, 0xff7fffff, v98, s13
	v_cndmask_b32_e64 v79, 0xff7fffff, v97, s15
	v_cmp_gt_i32_e64 s17, s17, v77
	v_cndmask_b32_e64 v68, 0xff7fffff, v68, s16
	s_delay_alu instid0(VALU_DEP_3) | instskip(NEXT) | instid1(VALU_DEP_3)
	v_max3_f32 v70, v70, v78, v79
	v_cndmask_b32_e64 v71, 0xff7fffff, v99, s17
	s_delay_alu instid0(VALU_DEP_1) | instskip(SKIP_3) | instid1(VALU_DEP_1)
	v_max3_f32 v68, v70, v68, v71
	ds_bpermute_b32 v69, v89, v68
	s_waitcnt lgkmcnt(0)
	v_max_f32_e32 v69, v69, v69
	v_max_f32_e32 v68, v68, v69
	s_delay_alu instid0(VALU_DEP_1) | instskip(NEXT) | instid1(VALU_DEP_1)
	v_fma_f32 v76, s18, v128, -v68
	v_mul_f32_e32 v77, 0x3fb8aa3b, v76
	v_fma_f32 v71, s18, v126, -v68
	v_fma_f32 v69, s18, v124, -v68
	;; [unrolled: 1-line block ×4, first 2 shown]
	v_exp_f32_e32 v77, v77
	v_mul_f32_e32 v71, 0x3fb8aa3b, v71
	v_mul_f32_e32 v69, 0x3fb8aa3b, v69
	v_fma_f32 v81, s18, v105, -v68
	v_fma_f32 v78, s18, v130, -v68
	s_delay_alu instid0(VALU_DEP_4) | instskip(NEXT) | instid1(VALU_DEP_3)
	v_exp_f32_e32 v71, v71
	v_exp_f32_e32 v69, v69
	s_delay_alu instid0(VALU_DEP_2) | instskip(NEXT) | instid1(TRANS32_DEP_3)
	v_mul_f32_e32 v81, 0x3fb8aa3b, v81
	v_cndmask_b32_e64 v86, 0, v77, s5
	v_fma_f32 v77, s18, v101, -v68
	s_delay_alu instid0(VALU_DEP_3) | instskip(NEXT) | instid1(TRANS32_DEP_3)
	v_exp_f32_e32 v81, v81
	v_cndmask_b32_e64 v83, 0, v71, s3
	v_fma_f32 v71, s18, v131, -v68
	v_mul_f32_e32 v72, 0x3fb8aa3b, v72
	s_delay_alu instid0(TRANS32_DEP_2) | instskip(SKIP_1) | instid1(VALU_DEP_4)
	v_cndmask_b32_e64 v80, 0, v69, s2
	v_fma_f32 v69, s18, v129, -v68
	v_dual_mul_f32 v70, 0x3fb8aa3b, v70 :: v_dual_mul_f32 v71, 0x3fb8aa3b, v71
	s_delay_alu instid0(VALU_DEP_4) | instskip(SKIP_1) | instid1(VALU_DEP_3)
	v_exp_f32_e32 v72, v72
	v_mul_f32_e32 v77, 0x3fb8aa3b, v77
	v_mul_f32_e32 v69, 0x3fb8aa3b, v69
	s_delay_alu instid0(VALU_DEP_3)
	v_exp_f32_e32 v70, v70
	v_exp_f32_e32 v71, v71
	v_cmp_gt_u32_e64 s2, 16, v67
	v_exp_f32_e32 v77, v77
	v_exp_f32_e32 v69, v69
	v_cndmask_b32_e64 v85, 0, v72, s4
	v_fma_f32 v72, s18, v100, -v68
	v_cndmask_b32_e32 v76, 0, v70, vcc_lo
	s_delay_alu instid0(TRANS32_DEP_3) | instskip(SKIP_2) | instid1(TRANS32_DEP_1)
	v_cndmask_b32_e64 v88, 0, v71, s8
	v_fma_f32 v71, s18, v104, -v68
	v_add_f32_e32 v70, 0, v80
	v_cndmask_b32_e64 v87, 0, v69, s6
	s_delay_alu instid0(VALU_DEP_2) | instskip(NEXT) | instid1(VALU_DEP_1)
	v_dual_mul_f32 v71, 0x3fb8aa3b, v71 :: v_dual_add_f32 v70, v70, v76
	v_exp_f32_e32 v82, v71
	s_delay_alu instid0(VALU_DEP_1) | instskip(NEXT) | instid1(VALU_DEP_1)
	v_add_f32_e32 v70, v70, v83
	v_add_f32_e32 v70, v70, v85
	s_delay_alu instid0(VALU_DEP_1) | instskip(SKIP_1) | instid1(VALU_DEP_2)
	v_dual_mul_f32 v72, 0x3fb8aa3b, v72 :: v_dual_add_f32 v69, v70, v86
	v_fma_f32 v70, s18, v102, -v68
	v_exp_f32_e32 v72, v72
	s_delay_alu instid0(VALU_DEP_2) | instskip(NEXT) | instid1(VALU_DEP_2)
	v_dual_add_f32 v69, v69, v87 :: v_dual_mul_f32 v78, 0x3fb8aa3b, v78
	v_mul_f32_e32 v70, 0x3fb8aa3b, v70
	s_delay_alu instid0(VALU_DEP_2) | instskip(NEXT) | instid1(VALU_DEP_1)
	v_exp_f32_e32 v78, v78
	v_exp_f32_e32 v79, v70
	s_delay_alu instid0(TRANS32_DEP_3) | instskip(SKIP_4) | instid1(VALU_DEP_3)
	v_cndmask_b32_e64 v70, 0, v72, s9
	s_waitcnt_depctr 0xfff
	v_cndmask_b32_e64 v84, 0, v78, s7
	v_fma_f32 v78, s18, v103, -v68
	v_cndmask_b32_e64 v71, 0, v79, s11
	v_add_f32_e32 v69, v69, v84
	s_delay_alu instid0(VALU_DEP_1) | instskip(SKIP_2) | instid1(VALU_DEP_1)
	v_add_f32_e32 v72, v69, v88
	v_cndmask_b32_e64 v69, 0, v77, s10
	v_fma_f32 v77, s18, v106, -v68
	v_dual_add_f32 v72, v72, v70 :: v_dual_mul_f32 v77, 0x3fb8aa3b, v77
	s_delay_alu instid0(VALU_DEP_1) | instskip(NEXT) | instid1(VALU_DEP_2)
	v_add_f32_e32 v79, v72, v69
	v_exp_f32_e32 v90, v77
	v_cndmask_b32_e64 v77, 0, v82, s13
	v_mul_f32_e32 v78, 0x3fb8aa3b, v78
	s_delay_alu instid0(VALU_DEP_1) | instskip(SKIP_4) | instid1(VALU_DEP_1)
	v_exp_f32_e32 v78, v78
	s_waitcnt_depctr 0xfff
	v_cndmask_b32_e64 v72, 0, v78, s12
	v_add_f32_e32 v78, v79, v71
	v_fma_f32 v79, s18, v107, -v68
	v_dual_add_f32 v82, v78, v72 :: v_dual_mul_f32 v79, 0x3fb8aa3b, v79
	v_cndmask_b32_e64 v78, 0, v81, s15
	s_delay_alu instid0(VALU_DEP_2) | instskip(NEXT) | instid1(VALU_DEP_3)
	v_add_f32_e32 v81, v82, v77
	v_exp_f32_e32 v82, v79
	v_cndmask_b32_e64 v79, 0, v90, s16
	s_delay_alu instid0(VALU_DEP_2) | instskip(NEXT) | instid1(VALU_DEP_1)
	v_add_f32_e32 v81, v81, v78
	v_add_f32_e32 v90, v81, v79
	s_waitcnt_depctr 0xfff
	v_cndmask_b32_e64 v81, 0, v82, s17
	s_delay_alu instid0(VALU_DEP_1)
	v_add_f32_e32 v82, v90, v81
	ds_bpermute_b32 v89, v89, v82
	s_and_saveexec_b32 s3, s2
	s_cbranch_execz .LBB1524_12
; %bb.11:
	v_mul_u32_u24_e32 v67, 0x44, v66
	s_delay_alu instid0(VALU_DEP_1) | instskip(SKIP_1) | instid1(VALU_DEP_1)
	v_lshl_add_u32 v67, v65, 2, v67
	s_waitcnt lgkmcnt(0)
	v_dual_add_f32 v82, v82, v89 :: v_dual_add_nc_u32 v67, 0x4000, v67
	ds_store_2addr_b32 v67, v68, v82 offset1:136
.LBB1524_12:
	s_or_b32 exec_lo, exec_lo, s3
	v_lshlrev_b32_e32 v67, 2, v65
	s_waitcnt lgkmcnt(0)
	s_barrier
	buffer_gl0_inv
	v_cmp_eq_u32_e32 vcc_lo, 1, v66
	v_add_nc_u32_e32 v82, 0x4000, v67
	v_cmp_eq_u32_e64 s3, 2, v66
	v_cmp_eq_u32_e64 s5, 7, v66
	ds_load_2addr_b32 v[89:90], v82 offset1:17
	ds_load_2addr_b32 v[91:92], v82 offset0:34 offset1:51
	ds_load_2addr_b32 v[93:94], v82 offset0:68 offset1:85
	;; [unrolled: 1-line block ×4, first 2 shown]
	s_waitcnt lgkmcnt(4)
	v_max3_f32 v67, v89, 0xff7fffff, v90
	s_waitcnt lgkmcnt(3)
	s_delay_alu instid0(VALU_DEP_1) | instskip(SKIP_1) | instid1(VALU_DEP_1)
	v_max3_f32 v67, v67, v91, v92
	s_waitcnt lgkmcnt(2)
	v_max3_f32 v67, v67, v93, v94
	s_waitcnt lgkmcnt(1)
	s_delay_alu instid0(VALU_DEP_1) | instskip(NEXT) | instid1(VALU_DEP_1)
	v_max3_f32 v67, v67, v95, v96
	v_sub_f32_e32 v93, v93, v67
	s_delay_alu instid0(VALU_DEP_1) | instskip(NEXT) | instid1(VALU_DEP_1)
	v_dual_sub_f32 v68, v89, v67 :: v_dual_mul_f32 v103, 0x3fb8aa3b, v93
	v_mul_f32_e32 v68, 0x3fb8aa3b, v68
	s_delay_alu instid0(VALU_DEP_1)
	v_exp_f32_e32 v100, v68
	v_sub_f32_e32 v68, v92, v67
	v_sub_f32_e32 v99, v90, v67
	ds_load_2addr_b32 v[89:90], v82 offset0:170 offset1:187
	v_dual_mul_f32 v102, 0x3fb8aa3b, v68 :: v_dual_mul_f32 v99, 0x3fb8aa3b, v99
	s_waitcnt lgkmcnt(1)
	v_fma_f32 v68, v100, v97, 0
	s_delay_alu instid0(VALU_DEP_2) | instskip(NEXT) | instid1(VALU_DEP_2)
	v_exp_f32_e32 v102, v102
	v_exp_f32_e32 v99, v99
	s_waitcnt_depctr 0xfff
	v_fmac_f32_e32 v68, v99, v98
	v_sub_f32_e32 v91, v91, v67
	s_delay_alu instid0(VALU_DEP_1)
	v_mul_f32_e32 v101, 0x3fb8aa3b, v91
	ds_load_2addr_b32 v[91:92], v82 offset0:204 offset1:221
	v_sub_f32_e32 v97, v94, v67
	ds_load_2addr_b32 v[93:94], v82 offset0:238 offset1:255
	s_waitcnt lgkmcnt(0)
	v_exp_f32_e32 v101, v101
	s_barrier
	buffer_gl0_inv
	v_dual_fmac_f32 v68, v101, v89 :: v_dual_sub_f32 v89, v96, v67
	v_dual_sub_f32 v82, v95, v67 :: v_dual_mul_f32 v95, 0x3fb8aa3b, v97
	v_exp_f32_e32 v97, v103
	s_delay_alu instid0(VALU_DEP_2) | instskip(NEXT) | instid1(VALU_DEP_2)
	v_dual_fmac_f32 v68, v102, v90 :: v_dual_mul_f32 v89, 0x3fb8aa3b, v89
	v_mul_f32_e32 v82, 0x3fb8aa3b, v82
	s_delay_alu instid0(VALU_DEP_3) | instskip(NEXT) | instid1(VALU_DEP_2)
	v_exp_f32_e32 v95, v95
	v_exp_f32_e32 v89, v89
	s_delay_alu instid0(VALU_DEP_1)
	v_exp_f32_e32 v82, v82
	v_fmac_f32_e32 v68, v97, v91
	s_delay_alu instid0(TRANS32_DEP_3) | instid1(VALU_DEP_1)
	v_fmac_f32_e32 v68, v95, v92
	s_waitcnt_depctr 0xfff
	v_fmac_f32_e32 v68, v82, v93
	s_delay_alu instid0(VALU_DEP_1) | instskip(NEXT) | instid1(VALU_DEP_1)
	v_fmac_f32_e32 v68, v89, v94
	v_add_f32_e32 v90, 0x358637bd, v68
	s_delay_alu instid0(VALU_DEP_1) | instskip(NEXT) | instid1(VALU_DEP_1)
	v_div_scale_f32 v91, null, v90, v90, 1.0
	v_rcp_f32_e32 v92, v91
	s_waitcnt_depctr 0xfff
	v_fma_f32 v93, -v91, v92, 1.0
	s_delay_alu instid0(VALU_DEP_1) | instskip(SKIP_1) | instid1(VALU_DEP_2)
	v_dual_fmac_f32 v92, v93, v92 :: v_dual_cndmask_b32 v93, v100, v99
	v_cmp_eq_u32_e32 vcc_lo, 3, v66
	v_cndmask_b32_e64 v93, v93, v101, s3
	v_cmp_eq_u32_e64 s3, 4, v66
	s_delay_alu instid0(VALU_DEP_2) | instskip(SKIP_1) | instid1(VALU_DEP_2)
	v_cndmask_b32_e32 v93, v93, v102, vcc_lo
	v_cmp_eq_u32_e32 vcc_lo, 5, v66
	v_cndmask_b32_e64 v93, v93, v97, s3
	v_cmp_eq_u32_e64 s3, 6, v66
	s_delay_alu instid0(VALU_DEP_2) | instskip(SKIP_1) | instid1(VALU_DEP_1)
	v_cndmask_b32_e32 v93, v93, v95, vcc_lo
	v_div_scale_f32 v94, s4, 1.0, v90, 1.0
	s_mov_b32 vcc_lo, s4
	s_delay_alu instid0(VALU_DEP_2) | instskip(NEXT) | instid1(VALU_DEP_2)
	v_cndmask_b32_e64 v82, v93, v82, s3
	v_mul_f32_e32 v96, v94, v92
	s_mov_b32 s3, exec_lo
	s_delay_alu instid0(VALU_DEP_2) | instskip(NEXT) | instid1(VALU_DEP_2)
	v_cndmask_b32_e64 v82, v82, v89, s5
	v_fma_f32 v98, -v91, v96, v94
	s_delay_alu instid0(VALU_DEP_1) | instskip(NEXT) | instid1(VALU_DEP_1)
	v_fmac_f32_e32 v96, v98, v92
	v_fma_f32 v91, -v91, v96, v94
	s_delay_alu instid0(VALU_DEP_1) | instskip(NEXT) | instid1(VALU_DEP_1)
	v_div_fmas_f32 v91, v91, v92, v96
	v_div_fixup_f32 v90, v91, v90, 1.0
	s_delay_alu instid0(VALU_DEP_1) | instskip(NEXT) | instid1(VALU_DEP_1)
	v_mul_f32_e32 v82, v82, v90
	v_mul_f32_e32 v87, v82, v87
	;; [unrolled: 1-line block ×7, first 2 shown]
	v_dual_mul_f32 v86, v82, v83 :: v_dual_and_b32 v91, 0x7f800000, v90
	v_mul_f32_e32 v85, v82, v76
                                        ; implicit-def: $vgpr76
	s_delay_alu instid0(VALU_DEP_2)
	v_cmpx_ne_u32_e32 0x7f800000, v91
	s_xor_b32 s3, exec_lo, s3
; %bb.13:
	v_bfe_u32 v76, v90, 16, 1
	s_delay_alu instid0(VALU_DEP_1)
	v_add3_u32 v76, v90, v76, 0x7fff
                                        ; implicit-def: $vgpr90
; %bb.14:
	s_and_not1_saveexec_b32 s3, s3
; %bb.15:
	v_and_b32_e32 v76, 0xffff, v90
	v_or_b32_e32 v83, 0x10000, v90
	s_delay_alu instid0(VALU_DEP_2) | instskip(NEXT) | instid1(VALU_DEP_2)
	v_cmp_eq_u32_e32 vcc_lo, 0, v76
	v_cndmask_b32_e32 v76, v83, v90, vcc_lo
; %bb.16:
	s_or_b32 exec_lo, exec_lo, s3
	v_and_b32_e32 v83, 0x7f800000, v85
	s_delay_alu instid0(VALU_DEP_1) | instskip(SKIP_1) | instid1(SALU_CYCLE_1)
	v_cmp_ne_u32_e32 vcc_lo, 0x7f800000, v83
                                        ; implicit-def: $vgpr83
	s_and_saveexec_b32 s3, vcc_lo
	s_xor_b32 s3, exec_lo, s3
; %bb.17:
	v_bfe_u32 v83, v85, 16, 1
	s_delay_alu instid0(VALU_DEP_1)
	v_add3_u32 v83, v85, v83, 0x7fff
                                        ; implicit-def: $vgpr85
; %bb.18:
	s_and_not1_saveexec_b32 s3, s3
; %bb.19:
	v_and_b32_e32 v83, 0xffff, v85
	v_or_b32_e32 v90, 0x10000, v85
	s_delay_alu instid0(VALU_DEP_2) | instskip(NEXT) | instid1(VALU_DEP_2)
	v_cmp_eq_u32_e32 vcc_lo, 0, v83
	v_cndmask_b32_e32 v83, v90, v85, vcc_lo
; %bb.20:
	s_or_b32 exec_lo, exec_lo, s3
	v_and_b32_e32 v85, 0x7f800000, v86
	s_delay_alu instid0(VALU_DEP_1) | instskip(SKIP_1) | instid1(SALU_CYCLE_1)
	v_cmp_ne_u32_e32 vcc_lo, 0x7f800000, v85
                                        ; implicit-def: $vgpr85
	s_and_saveexec_b32 s3, vcc_lo
	s_xor_b32 s3, exec_lo, s3
; %bb.21:
	v_bfe_u32 v85, v86, 16, 1
	s_delay_alu instid0(VALU_DEP_1)
	v_add3_u32 v85, v86, v85, 0x7fff
                                        ; implicit-def: $vgpr86
; %bb.22:
	s_and_not1_saveexec_b32 s3, s3
; %bb.23:
	v_and_b32_e32 v85, 0xffff, v86
	v_or_b32_e32 v90, 0x10000, v86
	s_delay_alu instid0(VALU_DEP_2) | instskip(NEXT) | instid1(VALU_DEP_2)
	v_cmp_eq_u32_e32 vcc_lo, 0, v85
	v_cndmask_b32_e32 v85, v90, v86, vcc_lo
; %bb.24:
	s_or_b32 exec_lo, exec_lo, s3
	v_and_b32_e32 v86, 0x7f800000, v89
	s_delay_alu instid0(VALU_DEP_1) | instskip(SKIP_1) | instid1(SALU_CYCLE_1)
	v_cmp_ne_u32_e32 vcc_lo, 0x7f800000, v86
                                        ; implicit-def: $vgpr86
	s_and_saveexec_b32 s3, vcc_lo
	s_xor_b32 s3, exec_lo, s3
; %bb.25:
	v_bfe_u32 v86, v89, 16, 1
	s_delay_alu instid0(VALU_DEP_1)
	v_add3_u32 v86, v89, v86, 0x7fff
                                        ; implicit-def: $vgpr89
; %bb.26:
	s_and_not1_saveexec_b32 s3, s3
; %bb.27:
	v_and_b32_e32 v86, 0xffff, v89
	v_or_b32_e32 v90, 0x10000, v89
	s_delay_alu instid0(VALU_DEP_2) | instskip(NEXT) | instid1(VALU_DEP_2)
	v_cmp_eq_u32_e32 vcc_lo, 0, v86
	v_cndmask_b32_e32 v86, v90, v89, vcc_lo
; %bb.28:
	s_or_b32 exec_lo, exec_lo, s3
	v_and_b32_e32 v89, 0x7f800000, v88
	s_delay_alu instid0(VALU_DEP_1) | instskip(SKIP_1) | instid1(SALU_CYCLE_1)
	v_cmp_ne_u32_e32 vcc_lo, 0x7f800000, v89
                                        ; implicit-def: $vgpr89
	s_and_saveexec_b32 s3, vcc_lo
	s_xor_b32 s3, exec_lo, s3
; %bb.29:
	v_bfe_u32 v89, v88, 16, 1
	s_delay_alu instid0(VALU_DEP_1)
	v_add3_u32 v89, v88, v89, 0x7fff
                                        ; implicit-def: $vgpr88
; %bb.30:
	s_and_not1_saveexec_b32 s3, s3
; %bb.31:
	v_and_b32_e32 v89, 0xffff, v88
	v_or_b32_e32 v90, 0x10000, v88
	s_delay_alu instid0(VALU_DEP_2) | instskip(NEXT) | instid1(VALU_DEP_2)
	v_cmp_eq_u32_e32 vcc_lo, 0, v89
	v_cndmask_b32_e32 v89, v90, v88, vcc_lo
; %bb.32:
	s_or_b32 exec_lo, exec_lo, s3
	v_and_b32_e32 v88, 0x7f800000, v87
	s_delay_alu instid0(VALU_DEP_1) | instskip(SKIP_1) | instid1(SALU_CYCLE_1)
	v_cmp_ne_u32_e32 vcc_lo, 0x7f800000, v88
                                        ; implicit-def: $vgpr88
	s_and_saveexec_b32 s3, vcc_lo
	s_xor_b32 s3, exec_lo, s3
; %bb.33:
	v_bfe_u32 v88, v87, 16, 1
	s_delay_alu instid0(VALU_DEP_1)
	v_add3_u32 v88, v87, v88, 0x7fff
                                        ; implicit-def: $vgpr87
; %bb.34:
	s_and_not1_saveexec_b32 s3, s3
; %bb.35:
	v_and_b32_e32 v88, 0xffff, v87
	v_or_b32_e32 v90, 0x10000, v87
	s_delay_alu instid0(VALU_DEP_2) | instskip(NEXT) | instid1(VALU_DEP_2)
	v_cmp_eq_u32_e32 vcc_lo, 0, v88
	v_cndmask_b32_e32 v88, v90, v87, vcc_lo
; %bb.36:
	s_or_b32 exec_lo, exec_lo, s3
	v_and_b32_e32 v87, 0x7f800000, v84
	s_delay_alu instid0(VALU_DEP_1) | instskip(SKIP_1) | instid1(SALU_CYCLE_1)
	v_cmp_ne_u32_e32 vcc_lo, 0x7f800000, v87
                                        ; implicit-def: $vgpr87
	s_and_saveexec_b32 s3, vcc_lo
	s_xor_b32 s3, exec_lo, s3
; %bb.37:
	v_bfe_u32 v87, v84, 16, 1
	s_delay_alu instid0(VALU_DEP_1)
	v_add3_u32 v87, v84, v87, 0x7fff
                                        ; implicit-def: $vgpr84
; %bb.38:
	s_and_not1_saveexec_b32 s3, s3
; %bb.39:
	v_and_b32_e32 v87, 0xffff, v84
	v_or_b32_e32 v90, 0x10000, v84
	s_delay_alu instid0(VALU_DEP_2) | instskip(NEXT) | instid1(VALU_DEP_2)
	v_cmp_eq_u32_e32 vcc_lo, 0, v87
	v_cndmask_b32_e32 v87, v90, v84, vcc_lo
; %bb.40:
	s_or_b32 exec_lo, exec_lo, s3
	v_and_b32_e32 v84, 0x7f800000, v80
	s_delay_alu instid0(VALU_DEP_1) | instskip(SKIP_1) | instid1(SALU_CYCLE_1)
	v_cmp_ne_u32_e32 vcc_lo, 0x7f800000, v84
                                        ; implicit-def: $vgpr84
	s_and_saveexec_b32 s3, vcc_lo
	s_xor_b32 s3, exec_lo, s3
; %bb.41:
	v_bfe_u32 v84, v80, 16, 1
	s_delay_alu instid0(VALU_DEP_1)
	v_add3_u32 v84, v80, v84, 0x7fff
                                        ; implicit-def: $vgpr80
; %bb.42:
	s_and_not1_saveexec_b32 s3, s3
; %bb.43:
	v_and_b32_e32 v84, 0xffff, v80
	v_or_b32_e32 v90, 0x10000, v80
	s_delay_alu instid0(VALU_DEP_2) | instskip(NEXT) | instid1(VALU_DEP_2)
	v_cmp_eq_u32_e32 vcc_lo, 0, v84
	v_cndmask_b32_e32 v84, v90, v80, vcc_lo
; %bb.44:
	s_or_b32 exec_lo, exec_lo, s3
	s_load_b64 s[34:35], s[0:1], 0x94
	v_lshlrev_b32_e32 v91, 4, v74
	s_delay_alu instid0(VALU_DEP_2)
	v_perm_b32 v90, v84, v87, 0x7060302
	v_dual_mul_f32 v79, v82, v79 :: v_dual_lshlrev_b32 v80, 6, v65
	v_dual_mul_f32 v77, v82, v77 :: v_dual_lshlrev_b32 v92, 11, v66
	v_mul_f32_e32 v84, v82, v70
	v_perm_b32 v89, v88, v89, 0x7060302
	v_perm_b32 v88, v86, v85, 0x7060302
	;; [unrolled: 1-line block ×3, first 2 shown]
	v_mul_f32_e32 v70, v82, v81
	v_or3_b32 v76, v91, v92, v80
	v_dual_mul_f32 v78, v82, v78 :: v_dual_and_b32 v85, 0x7f800000, v84
	v_mul_f32_e32 v83, v82, v72
	v_mul_f32_e32 v81, v82, v71
	;; [unrolled: 1-line block ×3, first 2 shown]
	s_mov_b32 s3, exec_lo
	ds_store_b128 v76, v[87:90]
                                        ; implicit-def: $vgpr69
	v_cmpx_ne_u32_e32 0x7f800000, v85
	s_xor_b32 s3, exec_lo, s3
; %bb.45:
	v_bfe_u32 v69, v84, 16, 1
	s_delay_alu instid0(VALU_DEP_1)
	v_add3_u32 v69, v84, v69, 0x7fff
                                        ; implicit-def: $vgpr84
; %bb.46:
	s_and_not1_saveexec_b32 s3, s3
; %bb.47:
	v_and_b32_e32 v69, 0xffff, v84
	v_or_b32_e32 v71, 0x10000, v84
	s_delay_alu instid0(VALU_DEP_2) | instskip(NEXT) | instid1(VALU_DEP_2)
	v_cmp_eq_u32_e32 vcc_lo, 0, v69
	v_cndmask_b32_e32 v69, v71, v84, vcc_lo
; %bb.48:
	s_or_b32 exec_lo, exec_lo, s3
	v_and_b32_e32 v71, 0x7f800000, v72
	s_delay_alu instid0(VALU_DEP_1) | instskip(SKIP_1) | instid1(SALU_CYCLE_1)
	v_cmp_ne_u32_e32 vcc_lo, 0x7f800000, v71
                                        ; implicit-def: $vgpr71
	s_and_saveexec_b32 s3, vcc_lo
	s_xor_b32 s3, exec_lo, s3
; %bb.49:
	v_bfe_u32 v71, v72, 16, 1
	s_delay_alu instid0(VALU_DEP_1)
	v_add3_u32 v71, v72, v71, 0x7fff
                                        ; implicit-def: $vgpr72
; %bb.50:
	s_and_not1_saveexec_b32 s3, s3
; %bb.51:
	v_and_b32_e32 v71, 0xffff, v72
	v_or_b32_e32 v82, 0x10000, v72
	s_delay_alu instid0(VALU_DEP_2) | instskip(NEXT) | instid1(VALU_DEP_2)
	v_cmp_eq_u32_e32 vcc_lo, 0, v71
	v_cndmask_b32_e32 v71, v82, v72, vcc_lo
; %bb.52:
	s_or_b32 exec_lo, exec_lo, s3
	v_and_b32_e32 v72, 0x7f800000, v81
	s_delay_alu instid0(VALU_DEP_1) | instskip(SKIP_1) | instid1(SALU_CYCLE_1)
	v_cmp_ne_u32_e32 vcc_lo, 0x7f800000, v72
                                        ; implicit-def: $vgpr72
	s_and_saveexec_b32 s3, vcc_lo
	s_xor_b32 s3, exec_lo, s3
; %bb.53:
	v_bfe_u32 v72, v81, 16, 1
	s_delay_alu instid0(VALU_DEP_1)
	v_add3_u32 v72, v81, v72, 0x7fff
                                        ; implicit-def: $vgpr81
; %bb.54:
	s_and_not1_saveexec_b32 s3, s3
; %bb.55:
	v_and_b32_e32 v72, 0xffff, v81
	v_or_b32_e32 v82, 0x10000, v81
	s_delay_alu instid0(VALU_DEP_2) | instskip(NEXT) | instid1(VALU_DEP_2)
	v_cmp_eq_u32_e32 vcc_lo, 0, v72
	v_cndmask_b32_e32 v72, v82, v81, vcc_lo
; %bb.56:
	s_or_b32 exec_lo, exec_lo, s3
	v_and_b32_e32 v81, 0x7f800000, v83
	s_delay_alu instid0(VALU_DEP_1) | instskip(SKIP_1) | instid1(SALU_CYCLE_1)
	v_cmp_ne_u32_e32 vcc_lo, 0x7f800000, v81
                                        ; implicit-def: $vgpr81
	s_and_saveexec_b32 s3, vcc_lo
	s_xor_b32 s3, exec_lo, s3
; %bb.57:
	v_bfe_u32 v81, v83, 16, 1
	s_delay_alu instid0(VALU_DEP_1)
	v_add3_u32 v81, v83, v81, 0x7fff
                                        ; implicit-def: $vgpr83
; %bb.58:
	s_and_not1_saveexec_b32 s3, s3
; %bb.59:
	v_and_b32_e32 v81, 0xffff, v83
	v_or_b32_e32 v82, 0x10000, v83
	s_delay_alu instid0(VALU_DEP_2) | instskip(NEXT) | instid1(VALU_DEP_2)
	v_cmp_eq_u32_e32 vcc_lo, 0, v81
	v_cndmask_b32_e32 v81, v82, v83, vcc_lo
; %bb.60:
	s_or_b32 exec_lo, exec_lo, s3
	v_and_b32_e32 v82, 0x7f800000, v77
	s_delay_alu instid0(VALU_DEP_1) | instskip(SKIP_1) | instid1(SALU_CYCLE_1)
	v_cmp_ne_u32_e32 vcc_lo, 0x7f800000, v82
                                        ; implicit-def: $vgpr82
	s_and_saveexec_b32 s3, vcc_lo
	s_xor_b32 s3, exec_lo, s3
; %bb.61:
	v_bfe_u32 v82, v77, 16, 1
	s_delay_alu instid0(VALU_DEP_1)
	v_add3_u32 v82, v77, v82, 0x7fff
                                        ; implicit-def: $vgpr77
; %bb.62:
	s_and_not1_saveexec_b32 s3, s3
; %bb.63:
	v_and_b32_e32 v82, 0xffff, v77
	v_or_b32_e32 v83, 0x10000, v77
	s_delay_alu instid0(VALU_DEP_2) | instskip(NEXT) | instid1(VALU_DEP_2)
	v_cmp_eq_u32_e32 vcc_lo, 0, v82
	v_cndmask_b32_e32 v82, v83, v77, vcc_lo
; %bb.64:
	s_or_b32 exec_lo, exec_lo, s3
	v_and_b32_e32 v77, 0x7f800000, v78
	s_delay_alu instid0(VALU_DEP_1) | instskip(SKIP_1) | instid1(SALU_CYCLE_1)
	v_cmp_ne_u32_e32 vcc_lo, 0x7f800000, v77
                                        ; implicit-def: $vgpr77
	s_and_saveexec_b32 s3, vcc_lo
	s_xor_b32 s3, exec_lo, s3
; %bb.65:
	v_bfe_u32 v77, v78, 16, 1
	s_delay_alu instid0(VALU_DEP_1)
	v_add3_u32 v77, v78, v77, 0x7fff
                                        ; implicit-def: $vgpr78
; %bb.66:
	s_and_not1_saveexec_b32 s3, s3
; %bb.67:
	v_and_b32_e32 v77, 0xffff, v78
	v_or_b32_e32 v83, 0x10000, v78
	s_delay_alu instid0(VALU_DEP_2) | instskip(NEXT) | instid1(VALU_DEP_2)
	v_cmp_eq_u32_e32 vcc_lo, 0, v77
	v_cndmask_b32_e32 v77, v83, v78, vcc_lo
; %bb.68:
	s_or_b32 exec_lo, exec_lo, s3
	v_and_b32_e32 v78, 0x7f800000, v79
	s_delay_alu instid0(VALU_DEP_1) | instskip(SKIP_1) | instid1(SALU_CYCLE_1)
	v_cmp_ne_u32_e32 vcc_lo, 0x7f800000, v78
                                        ; implicit-def: $vgpr78
	s_and_saveexec_b32 s3, vcc_lo
	s_xor_b32 s3, exec_lo, s3
; %bb.69:
	v_bfe_u32 v78, v79, 16, 1
	s_delay_alu instid0(VALU_DEP_1)
	v_add3_u32 v78, v79, v78, 0x7fff
                                        ; implicit-def: $vgpr79
; %bb.70:
	s_and_not1_saveexec_b32 s3, s3
; %bb.71:
	v_and_b32_e32 v78, 0xffff, v79
	v_or_b32_e32 v83, 0x10000, v79
	s_delay_alu instid0(VALU_DEP_2) | instskip(NEXT) | instid1(VALU_DEP_2)
	v_cmp_eq_u32_e32 vcc_lo, 0, v78
	v_cndmask_b32_e32 v78, v83, v79, vcc_lo
; %bb.72:
	s_or_b32 exec_lo, exec_lo, s3
	v_and_b32_e32 v79, 0x7f800000, v70
	s_delay_alu instid0(VALU_DEP_1) | instskip(SKIP_1) | instid1(SALU_CYCLE_1)
	v_cmp_ne_u32_e32 vcc_lo, 0x7f800000, v79
                                        ; implicit-def: $vgpr79
	s_and_saveexec_b32 s3, vcc_lo
	s_xor_b32 s3, exec_lo, s3
; %bb.73:
	v_bfe_u32 v79, v70, 16, 1
	s_delay_alu instid0(VALU_DEP_1)
	v_add3_u32 v79, v70, v79, 0x7fff
                                        ; implicit-def: $vgpr70
; %bb.74:
	s_and_not1_saveexec_b32 s3, s3
; %bb.75:
	v_and_b32_e32 v79, 0xffff, v70
	v_or_b32_e32 v83, 0x10000, v70
	s_delay_alu instid0(VALU_DEP_2) | instskip(NEXT) | instid1(VALU_DEP_2)
	v_cmp_eq_u32_e32 vcc_lo, 0, v79
	v_cndmask_b32_e32 v79, v83, v70, vcc_lo
; %bb.76:
	s_or_b32 exec_lo, exec_lo, s3
	s_delay_alu instid0(VALU_DEP_1)
	v_perm_b32 v86, v79, v78, 0x7060302
	v_perm_b32 v85, v77, v82, 0x7060302
	v_perm_b32 v84, v81, v72, 0x7060302
	v_perm_b32 v83, v71, v69, 0x7060302
	v_lshl_or_b32 v82, v66, 11, v80
	ds_store_b128 v76, v[83:86] offset:1024
	s_waitcnt lgkmcnt(0)
	s_barrier
	buffer_gl0_inv
	ds_load_b128 v[69:72], v82
	ds_load_b128 v[83:86], v82 offset:16
	s_waitcnt lgkmcnt(1)
	v_lshrrev_b32_e32 v66, 16, v69
	s_waitcnt lgkmcnt(0)
	v_lshrrev_b32_e32 v91, 16, v83
	v_lshlrev_b32_e32 v78, 2, v74
	v_lshrrev_b32_e32 v95, 16, v70
	v_lshrrev_b32_e32 v98, 16, v84
	;; [unrolled: 1-line block ×4, first 2 shown]
	v_cmp_eq_u32_e32 vcc_lo, 1, v78
	v_lshrrev_b32_e32 v97, 16, v72
	v_lshrrev_b32_e32 v100, 16, v86
	v_cndmask_b32_e32 v87, v83, v91, vcc_lo
	v_or_b32_e32 v79, 1, v78
	v_cndmask_b32_e32 v81, v69, v66, vcc_lo
	v_cmp_eq_u32_e64 s4, 2, v78
	v_cmp_eq_u32_e64 s7, 3, v78
	;; [unrolled: 1-line block ×5, first 2 shown]
	v_cndmask_b32_e64 v81, v81, v70, s4
	v_cndmask_b32_e64 v87, v87, v84, s4
	v_cmp_eq_u32_e64 s8, 3, v79
	v_cndmask_b32_e64 v88, v69, v66, s3
	v_or_b32_e32 v77, 2, v78
	v_cndmask_b32_e64 v81, v81, v95, s7
	v_cndmask_b32_e64 v87, v87, v98, s7
	;; [unrolled: 1-line block ×4, first 2 shown]
	v_cmp_eq_u32_e64 s10, 5, v78
	v_cndmask_b32_e64 v81, v81, v71, s9
	v_cndmask_b32_e64 v87, v87, v85, s9
	v_cmp_eq_u32_e64 s11, 4, v79
	v_cndmask_b32_e64 v88, v88, v95, s8
	v_cmp_eq_u32_e64 s5, 1, v77
	v_cndmask_b32_e64 v89, v89, v84, s6
	v_cndmask_b32_e64 v81, v81, v96, s10
	v_cmp_eq_u32_e64 s12, 6, v78
	v_cndmask_b32_e64 v88, v88, v71, s11
	;; [unrolled: 3-line block ×3, first 2 shown]
	v_cndmask_b32_e64 v89, v89, v98, s8
	v_cndmask_b32_e64 v81, v81, v72, s12
	v_cmp_eq_u32_e64 s15, 7, v78
	v_cndmask_b32_e64 v88, v88, v96, s13
	v_cndmask_b32_e64 v87, v87, v86, s12
	v_cmp_eq_u32_e64 s16, 6, v79
	v_cmp_eq_u32_e64 s17, 2, v77
	v_cndmask_b32_e64 v89, v89, v85, s11
	v_cndmask_b32_e64 v101, v81, v97, s15
	;; [unrolled: 1-line block ×6, first 2 shown]
	v_cmp_eq_u32_e64 s18, 7, v79
	v_cmp_eq_u32_e64 s19, 3, v77
	;; [unrolled: 1-line block ×4, first 2 shown]
	v_cndmask_b32_e64 v87, v87, v84, s17
	v_cndmask_b32_e64 v103, v88, v97, s18
	;; [unrolled: 1-line block ×4, first 2 shown]
	v_or_b32_e32 v81, 3, v78
	v_cndmask_b32_e64 v93, v87, v98, s19
	v_cmp_eq_u32_e64 s24, 6, v77
	v_cndmask_b32_e64 v104, v88, v86, s16
	v_cndmask_b32_e64 v92, v89, v71, s20
	v_cmp_eq_u32_e64 s21, 1, v81
	ds_load_b128 v[87:90], v82 offset:1024
	v_cmp_eq_u32_e64 s23, 2, v81
	v_cmp_eq_u32_e64 s25, 3, v81
	v_cndmask_b32_e64 v105, v92, v96, s22
	v_cndmask_b32_e64 v66, v69, v66, s21
	;; [unrolled: 1-line block ×4, first 2 shown]
	ds_load_b128 v[91:94], v82 offset:1040
	v_cmp_eq_u32_e64 s26, 4, v81
	v_cndmask_b32_e64 v66, v66, v70, s23
	v_cmp_eq_u32_e64 s27, 7, v77
	v_cndmask_b32_e64 v70, v83, v84, s23
	v_cndmask_b32_e64 v84, v105, v72, s24
	v_cmp_eq_u32_e64 s28, 5, v81
	v_cndmask_b32_e64 v66, v66, v95, s25
	v_cmp_eq_u32_e64 s29, 6, v81
	v_cndmask_b32_e64 v70, v70, v98, s25
	v_cndmask_b32_e64 v69, v69, v99, s22
	v_cndmask_b32_e64 v83, v104, v100, s18
	v_cndmask_b32_e64 v66, v66, v71, s26
	s_waitcnt lgkmcnt(1)
	v_lshrrev_b32_e32 v95, 16, v87
	v_cndmask_b32_e64 v70, v70, v85, s26
	v_cndmask_b32_e64 v71, v84, v97, s27
	v_cndmask_b32_e64 v69, v69, v86, s24
	v_cndmask_b32_e64 v66, v66, v96, s28
	v_cndmask_b32_e32 v84, v87, v95, vcc_lo
	v_cndmask_b32_e64 v70, v70, v99, s28
	s_waitcnt lgkmcnt(0)
	v_lshrrev_b32_e32 v85, 16, v91
	v_lshrrev_b32_e32 v96, 16, v88
	v_cndmask_b32_e64 v98, v87, v95, s3
	v_cndmask_b32_e64 v84, v84, v88, s4
	;; [unrolled: 1-line block ×3, first 2 shown]
	v_cndmask_b32_e32 v99, v91, v85, vcc_lo
	v_cmp_eq_u32_e32 vcc_lo, 7, v81
	v_cndmask_b32_e64 v66, v66, v72, s29
	v_cndmask_b32_e64 v72, v84, v96, s7
	;; [unrolled: 1-line block ×3, first 2 shown]
	v_lshrrev_b32_e32 v98, 16, v92
	v_cndmask_b32_e32 v70, v70, v100, vcc_lo
	v_cndmask_b32_e64 v86, v99, v92, s4
	v_cndmask_b32_e64 v69, v69, v100, s27
	v_lshrrev_b32_e32 v100, 16, v93
	v_cndmask_b32_e64 v72, v72, v89, s9
	v_lshrrev_b32_e32 v99, 16, v89
	v_cndmask_b32_e64 v86, v86, v98, s7
	v_perm_b32 v71, v69, v71, 0x5040100
	v_cndmask_b32_e64 v84, v84, v96, s8
	s_delay_alu instid0(VALU_DEP_3) | instskip(NEXT) | instid1(VALU_DEP_2)
	v_cndmask_b32_e64 v86, v86, v93, s9
	v_cndmask_b32_e64 v84, v84, v89, s11
	s_delay_alu instid0(VALU_DEP_2) | instskip(NEXT) | instid1(VALU_DEP_1)
	v_cndmask_b32_e64 v86, v86, v100, s10
	v_cndmask_b32_e64 v69, v86, v94, s12
	;; [unrolled: 1-line block ×5, first 2 shown]
	s_delay_alu instid0(VALU_DEP_3) | instskip(NEXT) | instid1(VALU_DEP_3)
	v_cndmask_b32_e64 v86, v86, v88, s17
	v_cndmask_b32_e64 v87, v87, v88, s23
	s_delay_alu instid0(VALU_DEP_3) | instskip(NEXT) | instid1(VALU_DEP_3)
	v_cndmask_b32_e64 v88, v95, v92, s23
	v_cndmask_b32_e64 v86, v86, v96, s19
	;; [unrolled: 3-line block ×7, first 2 shown]
	s_delay_alu instid0(VALU_DEP_3) | instskip(SKIP_2) | instid1(VALU_DEP_2)
	v_cndmask_b32_e64 v88, v88, v94, s29
	v_cndmask_b32_e32 v66, v66, v97, vcc_lo
	v_cndmask_b32_e64 v97, v72, v99, s10
	v_perm_b32 v72, v70, v66, 0x5040100
	v_perm_b32 v70, v83, v103, 0x5040100
	v_cndmask_b32_e64 v103, v91, v85, s5
	v_cndmask_b32_e64 v85, v91, v85, s3
	;; [unrolled: 1-line block ×4, first 2 shown]
	v_lshrrev_b32_e32 v97, 16, v90
	v_cndmask_b32_e64 v91, v103, v92, s17
	v_cndmask_b32_e64 v85, v85, v92, s6
	;; [unrolled: 1-line block ×3, first 2 shown]
	s_mov_b32 s3, exec_lo
	v_cndmask_b32_e64 v83, v84, v97, s15
	v_cndmask_b32_e64 v91, v91, v98, s19
	;; [unrolled: 1-line block ×3, first 2 shown]
	v_lshrrev_b32_e32 v84, 16, v94
	v_cndmask_b32_e64 v66, v66, v97, s18
	v_cndmask_b32_e64 v90, v86, v97, s27
	;; [unrolled: 1-line block ×4, first 2 shown]
	v_dual_cndmask_b32 v86, v87, v97 :: v_dual_cndmask_b32 v87, v88, v84
	v_cndmask_b32_e64 v91, v69, v84, s15
	s_delay_alu instid0(VALU_DEP_4) | instskip(NEXT) | instid1(VALU_DEP_4)
	v_cndmask_b32_e64 v89, v89, v100, s22
	v_cndmask_b32_e64 v85, v85, v100, s13
	v_perm_b32 v69, v102, v101, 0x5040100
	v_perm_b32 v86, v87, v86, 0x5040100
	;; [unrolled: 1-line block ×3, first 2 shown]
	v_cndmask_b32_e64 v89, v89, v94, s24
	v_cndmask_b32_e64 v85, v85, v94, s16
	s_mul_i32 s8, s35, 3
	s_delay_alu instid0(VALU_DEP_2) | instskip(NEXT) | instid1(VALU_DEP_2)
	v_cndmask_b32_e64 v88, v89, v84, s27
	v_cndmask_b32_e64 v89, v85, v84, s18
	s_delay_alu instid0(VALU_DEP_2) | instskip(NEXT) | instid1(VALU_DEP_2)
	v_perm_b32 v85, v88, v90, 0x5040100
	v_perm_b32 v84, v89, v66, 0x5040100
	ds_store_b128 v76, v[69:72]
	ds_store_b128 v76, v[83:86] offset:1024
	v_cmpx_gt_u32_e32 3, v0
	s_cbranch_execz .LBB1524_78
; %bb.77:
	s_mul_i32 s4, s8, s30
	s_delay_alu instid0(SALU_CYCLE_1) | instskip(SKIP_1) | instid1(VALU_DEP_1)
	v_add3_u32 v69, s4, s31, v65
	s_load_b128 s[4:7], s[0:1], 0x58
	v_mad_u64_u32 v[65:66], null, v69, s34, s[14:15]
	s_delay_alu instid0(VALU_DEP_1) | instskip(NEXT) | instid1(VALU_DEP_1)
	v_ashrrev_i32_e32 v66, 31, v65
	v_lshlrev_b64 v[65:66], 2, v[65:66]
	s_waitcnt lgkmcnt(0)
	s_delay_alu instid0(VALU_DEP_1) | instskip(NEXT) | instid1(VALU_DEP_2)
	v_add_co_u32 v69, vcc_lo, s6, v65
	v_add_co_ci_u32_e32 v70, vcc_lo, s7, v66, vcc_lo
	v_add_co_u32 v65, vcc_lo, s4, v65
	v_add_co_ci_u32_e32 v66, vcc_lo, s5, v66, vcc_lo
	global_store_b32 v[69:70], v67, off
	global_store_b32 v[65:66], v68, off
.LBB1524_78:
	s_or_b32 exec_lo, exec_lo, s3
	s_waitcnt lgkmcnt(0)
	s_waitcnt_vscnt null, 0x0
	s_barrier
	buffer_gl0_inv
	ds_load_b128 v[83:86], v80
	ds_load_b128 v[87:90], v80 offset:16
	ds_load_b128 v[95:98], v80 offset:2064
	;; [unrolled: 1-line block ×3, first 2 shown]
	v_mov_b32_e32 v65, 0
	ds_load_b128 v[103:106], v80 offset:4112
	ds_load_b128 v[99:102], v80 offset:4096
	;; [unrolled: 1-line block ×4, first 2 shown]
	v_mov_b32_e32 v66, v65
	v_mov_b32_e32 v67, v65
	;; [unrolled: 1-line block ×7, first 2 shown]
	s_waitcnt lgkmcnt(6)
	s_delay_alu instid0(VALU_DEP_1)
	v_wmma_f32_16x16x16_bf16 v[65:72], v[41:48], v[83:90], v[65:72]
	ds_load_b128 v[45:48], v80 offset:8208
	ds_load_b128 v[41:44], v80 offset:8192
	s_waitcnt lgkmcnt(6)
	v_wmma_f32_16x16x16_bf16 v[65:72], v[33:40], v[91:98], v[65:72]
	ds_load_b128 v[37:40], v80 offset:10256
	ds_load_b128 v[33:36], v80 offset:10240
	s_waitcnt lgkmcnt(6)
	;; [unrolled: 4-line block ×4, first 2 shown]
	v_wmma_f32_16x16x16_bf16 v[65:72], v[1:8], v[41:48], v[65:72]
	s_waitcnt lgkmcnt(4)
	s_delay_alu instid0(VALU_DEP_1) | instskip(SKIP_1) | instid1(VALU_DEP_1)
	v_wmma_f32_16x16x16_bf16 v[65:72], v[9:16], v[33:40], v[65:72]
	s_waitcnt lgkmcnt(2)
	v_wmma_f32_16x16x16_bf16 v[65:72], v[57:64], v[25:32], v[65:72]
	s_waitcnt lgkmcnt(0)
	s_delay_alu instid0(VALU_DEP_1) | instskip(NEXT) | instid1(VALU_DEP_1)
	v_wmma_f32_16x16x16_bf16 v[65:72], v[49:56], v[17:24], v[65:72]
	v_and_b32_e32 v1, 0x7f800000, v65
	s_delay_alu instid0(VALU_DEP_1) | instskip(SKIP_1) | instid1(SALU_CYCLE_1)
	v_cmp_ne_u32_e32 vcc_lo, 0x7f800000, v1
                                        ; implicit-def: $vgpr1
	s_and_saveexec_b32 s3, vcc_lo
	s_xor_b32 s3, exec_lo, s3
; %bb.79:
	v_bfe_u32 v1, v65, 16, 1
	s_delay_alu instid0(VALU_DEP_1)
	v_add3_u32 v1, v65, v1, 0x7fff
; %bb.80:
	s_and_not1_saveexec_b32 s3, s3
; %bb.81:
	v_and_b32_e32 v1, 0xffff, v65
	v_or_b32_e32 v2, 0x10000, v65
	s_delay_alu instid0(VALU_DEP_2) | instskip(NEXT) | instid1(VALU_DEP_2)
	v_cmp_eq_u32_e32 vcc_lo, 0, v1
	v_cndmask_b32_e32 v1, v2, v65, vcc_lo
; %bb.82:
	s_or_b32 exec_lo, exec_lo, s3
	v_and_b32_e32 v2, 0x7f800000, v66
	s_delay_alu instid0(VALU_DEP_1) | instskip(SKIP_1) | instid1(SALU_CYCLE_1)
	v_cmp_ne_u32_e32 vcc_lo, 0x7f800000, v2
                                        ; implicit-def: $vgpr2
	s_and_saveexec_b32 s3, vcc_lo
	s_xor_b32 s3, exec_lo, s3
; %bb.83:
	v_bfe_u32 v2, v66, 16, 1
	s_delay_alu instid0(VALU_DEP_1)
	v_add3_u32 v2, v66, v2, 0x7fff
; %bb.84:
	s_and_not1_saveexec_b32 s3, s3
; %bb.85:
	v_and_b32_e32 v2, 0xffff, v66
	v_or_b32_e32 v3, 0x10000, v66
	s_delay_alu instid0(VALU_DEP_2) | instskip(NEXT) | instid1(VALU_DEP_2)
	v_cmp_eq_u32_e32 vcc_lo, 0, v2
	v_cndmask_b32_e32 v2, v3, v66, vcc_lo
; %bb.86:
	s_or_b32 exec_lo, exec_lo, s3
	v_and_b32_e32 v3, 0x7f800000, v67
	s_delay_alu instid0(VALU_DEP_1) | instskip(SKIP_1) | instid1(SALU_CYCLE_1)
	v_cmp_ne_u32_e32 vcc_lo, 0x7f800000, v3
                                        ; implicit-def: $vgpr3
	s_and_saveexec_b32 s3, vcc_lo
	s_xor_b32 s3, exec_lo, s3
; %bb.87:
	v_bfe_u32 v3, v67, 16, 1
	s_delay_alu instid0(VALU_DEP_1)
	v_add3_u32 v3, v67, v3, 0x7fff
; %bb.88:
	s_and_not1_saveexec_b32 s3, s3
; %bb.89:
	v_and_b32_e32 v3, 0xffff, v67
	v_or_b32_e32 v4, 0x10000, v67
	s_delay_alu instid0(VALU_DEP_2) | instskip(NEXT) | instid1(VALU_DEP_2)
	v_cmp_eq_u32_e32 vcc_lo, 0, v3
	v_cndmask_b32_e32 v3, v4, v67, vcc_lo
; %bb.90:
	s_or_b32 exec_lo, exec_lo, s3
	v_and_b32_e32 v4, 0x7f800000, v68
	s_delay_alu instid0(VALU_DEP_1) | instskip(SKIP_1) | instid1(SALU_CYCLE_1)
	v_cmp_ne_u32_e32 vcc_lo, 0x7f800000, v4
                                        ; implicit-def: $vgpr4
	s_and_saveexec_b32 s3, vcc_lo
	s_xor_b32 s3, exec_lo, s3
; %bb.91:
	v_bfe_u32 v4, v68, 16, 1
	s_delay_alu instid0(VALU_DEP_1)
	v_add3_u32 v4, v68, v4, 0x7fff
; %bb.92:
	s_and_not1_saveexec_b32 s3, s3
; %bb.93:
	v_and_b32_e32 v4, 0xffff, v68
	v_or_b32_e32 v5, 0x10000, v68
	s_delay_alu instid0(VALU_DEP_2) | instskip(NEXT) | instid1(VALU_DEP_2)
	v_cmp_eq_u32_e32 vcc_lo, 0, v4
	v_cndmask_b32_e32 v4, v5, v68, vcc_lo
; %bb.94:
	s_or_b32 exec_lo, exec_lo, s3
	v_and_b32_e32 v5, 0x7f800000, v69
	s_delay_alu instid0(VALU_DEP_1) | instskip(SKIP_1) | instid1(SALU_CYCLE_1)
	v_cmp_ne_u32_e32 vcc_lo, 0x7f800000, v5
                                        ; implicit-def: $vgpr5
	s_and_saveexec_b32 s3, vcc_lo
	s_xor_b32 s3, exec_lo, s3
; %bb.95:
	v_bfe_u32 v5, v69, 16, 1
	s_delay_alu instid0(VALU_DEP_1)
	v_add3_u32 v5, v69, v5, 0x7fff
; %bb.96:
	s_and_not1_saveexec_b32 s3, s3
; %bb.97:
	v_and_b32_e32 v5, 0xffff, v69
	v_or_b32_e32 v6, 0x10000, v69
	s_delay_alu instid0(VALU_DEP_2) | instskip(NEXT) | instid1(VALU_DEP_2)
	v_cmp_eq_u32_e32 vcc_lo, 0, v5
	v_cndmask_b32_e32 v5, v6, v69, vcc_lo
; %bb.98:
	s_or_b32 exec_lo, exec_lo, s3
	v_and_b32_e32 v6, 0x7f800000, v70
	s_delay_alu instid0(VALU_DEP_1) | instskip(SKIP_1) | instid1(SALU_CYCLE_1)
	v_cmp_ne_u32_e32 vcc_lo, 0x7f800000, v6
                                        ; implicit-def: $vgpr6
	s_and_saveexec_b32 s3, vcc_lo
	s_xor_b32 s3, exec_lo, s3
; %bb.99:
	v_bfe_u32 v6, v70, 16, 1
	s_delay_alu instid0(VALU_DEP_1)
	v_add3_u32 v6, v70, v6, 0x7fff
; %bb.100:
	s_and_not1_saveexec_b32 s3, s3
; %bb.101:
	v_and_b32_e32 v6, 0xffff, v70
	v_or_b32_e32 v7, 0x10000, v70
	s_delay_alu instid0(VALU_DEP_2) | instskip(NEXT) | instid1(VALU_DEP_2)
	v_cmp_eq_u32_e32 vcc_lo, 0, v6
	v_cndmask_b32_e32 v6, v7, v70, vcc_lo
; %bb.102:
	s_or_b32 exec_lo, exec_lo, s3
	v_and_b32_e32 v7, 0x7f800000, v71
	s_delay_alu instid0(VALU_DEP_1) | instskip(SKIP_1) | instid1(SALU_CYCLE_1)
	v_cmp_ne_u32_e32 vcc_lo, 0x7f800000, v7
                                        ; implicit-def: $vgpr7
	s_and_saveexec_b32 s3, vcc_lo
	s_xor_b32 s3, exec_lo, s3
; %bb.103:
	v_bfe_u32 v7, v71, 16, 1
	s_delay_alu instid0(VALU_DEP_1)
	v_add3_u32 v7, v71, v7, 0x7fff
; %bb.104:
	s_and_not1_saveexec_b32 s3, s3
; %bb.105:
	v_and_b32_e32 v7, 0xffff, v71
	v_or_b32_e32 v8, 0x10000, v71
	s_delay_alu instid0(VALU_DEP_2) | instskip(NEXT) | instid1(VALU_DEP_2)
	v_cmp_eq_u32_e32 vcc_lo, 0, v7
	v_cndmask_b32_e32 v7, v8, v71, vcc_lo
; %bb.106:
	s_or_b32 exec_lo, exec_lo, s3
	v_and_b32_e32 v8, 0x7f800000, v72
	s_delay_alu instid0(VALU_DEP_1) | instskip(SKIP_1) | instid1(SALU_CYCLE_1)
	v_cmp_ne_u32_e32 vcc_lo, 0x7f800000, v8
                                        ; implicit-def: $vgpr8
	s_and_saveexec_b32 s3, vcc_lo
	s_xor_b32 s3, exec_lo, s3
; %bb.107:
	v_bfe_u32 v8, v72, 16, 1
	s_delay_alu instid0(VALU_DEP_1)
	v_add3_u32 v8, v72, v8, 0x7fff
                                        ; implicit-def: $vgpr65_vgpr66_vgpr67_vgpr68_vgpr69_vgpr70_vgpr71_vgpr72
; %bb.108:
	s_and_not1_saveexec_b32 s3, s3
; %bb.109:
	v_and_b32_e32 v8, 0xffff, v72
	v_or_b32_e32 v9, 0x10000, v72
	s_delay_alu instid0(VALU_DEP_2) | instskip(NEXT) | instid1(VALU_DEP_2)
	v_cmp_eq_u32_e32 vcc_lo, 0, v8
	v_cndmask_b32_e32 v8, v9, v72, vcc_lo
; %bb.110:
	s_or_b32 exec_lo, exec_lo, s3
	s_delay_alu instid0(VALU_DEP_1)
	v_perm_b32 v7, v8, v7, 0x7060302
	v_perm_b32 v6, v6, v5, 0x7060302
	;; [unrolled: 1-line block ×4, first 2 shown]
	s_barrier
	buffer_gl0_inv
	v_cmp_eq_u32_e32 vcc_lo, 1, v78
	ds_store_b128 v76, v[4:7]
	s_waitcnt lgkmcnt(0)
	s_barrier
	buffer_gl0_inv
	ds_load_b128 v[1:4], v82
	ds_load_b128 v[5:8], v82 offset:16
	v_cmp_eq_u32_e64 s3, 1, v79
	v_cmp_eq_u32_e64 s4, 2, v78
	;; [unrolled: 1-line block ×5, first 2 shown]
	s_waitcnt lgkmcnt(1)
	v_lshrrev_b32_e32 v9, 16, v1
	s_waitcnt lgkmcnt(0)
	v_lshrrev_b32_e32 v13, 16, v5
	v_lshrrev_b32_e32 v10, 16, v2
	;; [unrolled: 1-line block ×4, first 2 shown]
	v_cndmask_b32_e64 v19, v1, v9, s3
	v_cndmask_b32_e32 v18, v5, v13, vcc_lo
	v_cndmask_b32_e64 v20, v5, v13, s3
	v_cndmask_b32_e32 v17, v1, v9, vcc_lo
	v_cmp_eq_u32_e32 vcc_lo, 2, v79
	v_lshrrev_b32_e32 v15, 16, v7
	v_cmp_eq_u32_e64 s3, 1, v77
	v_lshrrev_b32_e32 v12, 16, v4
	v_lshrrev_b32_e32 v16, 16, v8
	v_cndmask_b32_e32 v20, v20, v6, vcc_lo
	v_cndmask_b32_e64 v17, v17, v2, s4
	v_cndmask_b32_e32 v19, v19, v2, vcc_lo
	v_cndmask_b32_e64 v18, v18, v6, s4
	v_cmp_eq_u32_e32 vcc_lo, 4, v78
	v_cmp_eq_u32_e64 s4, 3, v79
	v_cndmask_b32_e64 v17, v17, v10, s5
	v_cndmask_b32_e64 v21, v1, v9, s3
	;; [unrolled: 1-line block ×5, first 2 shown]
	v_cndmask_b32_e32 v17, v17, v3, vcc_lo
	v_cndmask_b32_e64 v20, v20, v14, s4
	v_cndmask_b32_e32 v18, v18, v7, vcc_lo
	v_cmp_eq_u32_e32 vcc_lo, 4, v79
	v_cmp_eq_u32_e64 s4, 5, v79
	v_cmp_eq_u32_e64 s3, 2, v81
	v_cndmask_b32_e64 v21, v21, v2, s7
	v_cmp_eq_u32_e64 s5, 5, v78
	v_cndmask_b32_e32 v19, v19, v3, vcc_lo
	v_cndmask_b32_e32 v20, v20, v7, vcc_lo
	v_cmp_eq_u32_e32 vcc_lo, 6, v79
	s_delay_alu instid0(VALU_DEP_4) | instskip(NEXT) | instid1(VALU_DEP_4)
	v_cndmask_b32_e64 v17, v17, v11, s5
	v_cndmask_b32_e64 v19, v19, v11, s4
	s_delay_alu instid0(VALU_DEP_4) | instskip(SKIP_1) | instid1(VALU_DEP_3)
	v_cndmask_b32_e64 v20, v20, v15, s4
	v_cmp_eq_u32_e64 s4, 1, v81
	v_cndmask_b32_e32 v19, v19, v4, vcc_lo
	v_cndmask_b32_e64 v18, v18, v15, s5
	s_delay_alu instid0(VALU_DEP_3)
	v_cndmask_b32_e64 v1, v1, v9, s4
	v_cndmask_b32_e64 v5, v5, v13, s4
	v_cmp_eq_u32_e64 s4, 3, v77
	v_cndmask_b32_e64 v13, v22, v6, s7
	v_cmp_eq_u32_e64 s7, 3, v81
	v_cndmask_b32_e64 v1, v1, v2, s3
	v_cndmask_b32_e64 v2, v5, v6, s3
	;; [unrolled: 1-line block ×3, first 2 shown]
	v_cmp_eq_u32_e64 s3, 4, v77
	v_cndmask_b32_e64 v6, v13, v14, s4
	v_cndmask_b32_e64 v1, v1, v10, s7
	v_cmp_eq_u32_e64 s4, 4, v81
	v_cndmask_b32_e64 v2, v2, v14, s7
	v_cndmask_b32_e64 v5, v9, v3, s3
	;; [unrolled: 3-line block ×3, first 2 shown]
	v_cndmask_b32_e64 v2, v2, v7, s4
	v_cmp_eq_u32_e64 s3, 5, v81
	v_cmp_eq_u32_e64 s5, 6, v78
	v_cndmask_b32_e64 v5, v5, v11, s7
	v_cmp_eq_u32_e64 s4, 6, v77
	v_cndmask_b32_e64 v3, v6, v15, s7
	v_cndmask_b32_e64 v1, v1, v11, s3
	v_cmp_eq_u32_e64 s7, 6, v81
	v_cndmask_b32_e64 v2, v2, v15, s3
	v_cndmask_b32_e64 v17, v17, v4, s5
	v_cndmask_b32_e64 v18, v18, v8, s5
	v_cmp_eq_u32_e64 s5, 7, v78
	v_cndmask_b32_e64 v5, v5, v4, s4
	;; [unrolled: 4-line block ×3, first 2 shown]
	v_cmp_eq_u32_e64 s4, 7, v77
	v_cndmask_b32_e32 v4, v20, v8, vcc_lo
	v_cndmask_b32_e64 v17, v17, v12, s5
	v_cndmask_b32_e64 v19, v19, v12, s6
	;; [unrolled: 1-line block ×8, first 2 shown]
	s_mov_b32 s3, exec_lo
	v_perm_b32 v4, v2, v1, 0x5040100
	v_perm_b32 v3, v3, v5, 0x5040100
	;; [unrolled: 1-line block ×4, first 2 shown]
	ds_store_b128 v76, v[1:4]
	s_waitcnt lgkmcnt(0)
	s_barrier
	buffer_gl0_inv
	v_cmpx_gt_u32_e32 32, v0
	s_cbranch_execz .LBB1524_2
; %bb.111:
	s_load_b64 s[4:5], s[0:1], 0x68
	v_lshlrev_b32_e32 v0, 10, v0
	v_lshlrev_b32_e32 v2, 4, v75
	v_add_nc_u32_e32 v1, s31, v74
	s_lshl_b32 s0, s34, 7
	s_delay_alu instid0(SALU_CYCLE_1) | instskip(NEXT) | instid1(VALU_DEP_2)
	s_mul_i32 s1, s0, s30
	v_and_or_b32 v0, 0x3800, v0, v2
	s_mul_i32 s6, s1, s8
	v_mul_lo_u32 v1, v1, s0
	s_ashr_i32 s7, s6, 31
	s_delay_alu instid0(VALU_DEP_2) | instskip(SKIP_1) | instid1(VALU_DEP_2)
	v_lshl_or_b32 v3, v74, 6, v0
	s_lshl_b64 s[6:7], s[6:7], 1
	v_ashrrev_i32_e32 v2, 31, v1
	ds_load_b128 v[3:6], v3
	s_waitcnt lgkmcnt(0)
	s_add_u32 s1, s4, s6
	s_addc_u32 s3, s5, s7
	s_lshl_b32 s4, s14, 7
	v_lshlrev_b64 v[7:8], 1, v[1:2]
	s_ashr_i32 s5, s4, 31
	s_delay_alu instid0(SALU_CYCLE_1) | instskip(NEXT) | instid1(SALU_CYCLE_1)
	s_lshl_b64 s[4:5], s[4:5], 1
	s_add_u32 s1, s1, s4
	s_addc_u32 s3, s3, s5
	v_add_co_u32 v1, s1, s1, v73
	s_delay_alu instid0(VALU_DEP_1) | instskip(NEXT) | instid1(VALU_DEP_2)
	v_add_co_ci_u32_e64 v2, null, s3, 0, s1
	v_add_co_u32 v7, vcc_lo, v1, v7
	s_delay_alu instid0(VALU_DEP_2)
	v_add_co_ci_u32_e32 v8, vcc_lo, v2, v8, vcc_lo
	global_store_b128 v[7:8], v[3:6], off
	s_and_b32 exec_lo, exec_lo, s2
	s_cbranch_execz .LBB1524_2
; %bb.112:
	ds_load_b128 v[3:6], v0 offset:128
	s_add_i32 s1, s31, 2
	s_delay_alu instid0(SALU_CYCLE_1) | instskip(NEXT) | instid1(SALU_CYCLE_1)
	s_mul_i32 s0, s1, s0
	s_ashr_i32 s1, s0, 31
	s_delay_alu instid0(SALU_CYCLE_1) | instskip(NEXT) | instid1(SALU_CYCLE_1)
	s_lshl_b64 s[0:1], s[0:1], 1
	v_add_co_u32 v0, vcc_lo, v1, s0
	v_add_co_ci_u32_e32 v1, vcc_lo, s1, v2, vcc_lo
	s_waitcnt lgkmcnt(0)
	global_store_b128 v[0:1], v[3:6], off
	s_nop 0
	s_sendmsg sendmsg(MSG_DEALLOC_VGPRS)
	s_endpgm
	.section	.rodata,"a",@progbits
	.p2align	6, 0x0
	.amdhsa_kernel _Z39paged_attention_ll4mi_QKV_mfma16_kernelI14__hip_bfloat16hLN4vllm18Fp8KVCacheDataTypeE1EhLi16ELi128ELi256ELb1ELi3EL8MFMAType1EEvPKT_PKT0_S9_ifPKiSB_SB_iPKfiiiPfSE_PS4_PT2_iSD_SD_
		.amdhsa_group_segment_fixed_size 17472
		.amdhsa_private_segment_fixed_size 0
		.amdhsa_kernarg_size 400
		.amdhsa_user_sgpr_count 13
		.amdhsa_user_sgpr_dispatch_ptr 0
		.amdhsa_user_sgpr_queue_ptr 0
		.amdhsa_user_sgpr_kernarg_segment_ptr 1
		.amdhsa_user_sgpr_dispatch_id 0
		.amdhsa_user_sgpr_private_segment_size 0
		.amdhsa_wavefront_size32 1
		.amdhsa_uses_dynamic_stack 0
		.amdhsa_enable_private_segment 0
		.amdhsa_system_sgpr_workgroup_id_x 1
		.amdhsa_system_sgpr_workgroup_id_y 1
		.amdhsa_system_sgpr_workgroup_id_z 1
		.amdhsa_system_sgpr_workgroup_info 0
		.amdhsa_system_vgpr_workitem_id 0
		.amdhsa_next_free_vgpr 140
		.amdhsa_next_free_sgpr 36
		.amdhsa_reserve_vcc 1
		.amdhsa_float_round_mode_32 0
		.amdhsa_float_round_mode_16_64 0
		.amdhsa_float_denorm_mode_32 3
		.amdhsa_float_denorm_mode_16_64 3
		.amdhsa_dx10_clamp 1
		.amdhsa_ieee_mode 1
		.amdhsa_fp16_overflow 0
		.amdhsa_workgroup_processor_mode 1
		.amdhsa_memory_ordered 1
		.amdhsa_forward_progress 0
		.amdhsa_shared_vgpr_count 0
		.amdhsa_exception_fp_ieee_invalid_op 0
		.amdhsa_exception_fp_denorm_src 0
		.amdhsa_exception_fp_ieee_div_zero 0
		.amdhsa_exception_fp_ieee_overflow 0
		.amdhsa_exception_fp_ieee_underflow 0
		.amdhsa_exception_fp_ieee_inexact 0
		.amdhsa_exception_int_div_zero 0
	.end_amdhsa_kernel
	.section	.text._Z39paged_attention_ll4mi_QKV_mfma16_kernelI14__hip_bfloat16hLN4vllm18Fp8KVCacheDataTypeE1EhLi16ELi128ELi256ELb1ELi3EL8MFMAType1EEvPKT_PKT0_S9_ifPKiSB_SB_iPKfiiiPfSE_PS4_PT2_iSD_SD_,"axG",@progbits,_Z39paged_attention_ll4mi_QKV_mfma16_kernelI14__hip_bfloat16hLN4vllm18Fp8KVCacheDataTypeE1EhLi16ELi128ELi256ELb1ELi3EL8MFMAType1EEvPKT_PKT0_S9_ifPKiSB_SB_iPKfiiiPfSE_PS4_PT2_iSD_SD_,comdat
.Lfunc_end1524:
	.size	_Z39paged_attention_ll4mi_QKV_mfma16_kernelI14__hip_bfloat16hLN4vllm18Fp8KVCacheDataTypeE1EhLi16ELi128ELi256ELb1ELi3EL8MFMAType1EEvPKT_PKT0_S9_ifPKiSB_SB_iPKfiiiPfSE_PS4_PT2_iSD_SD_, .Lfunc_end1524-_Z39paged_attention_ll4mi_QKV_mfma16_kernelI14__hip_bfloat16hLN4vllm18Fp8KVCacheDataTypeE1EhLi16ELi128ELi256ELb1ELi3EL8MFMAType1EEvPKT_PKT0_S9_ifPKiSB_SB_iPKfiiiPfSE_PS4_PT2_iSD_SD_
                                        ; -- End function
	.section	.AMDGPU.csdata,"",@progbits
; Kernel info:
; codeLenInByte = 8848
; NumSgprs: 38
; NumVgprs: 140
; ScratchSize: 0
; MemoryBound: 0
; FloatMode: 240
; IeeeMode: 1
; LDSByteSize: 17472 bytes/workgroup (compile time only)
; SGPRBlocks: 4
; VGPRBlocks: 17
; NumSGPRsForWavesPerEU: 38
; NumVGPRsForWavesPerEU: 140
; Occupancy: 10
; WaveLimiterHint : 1
; COMPUTE_PGM_RSRC2:SCRATCH_EN: 0
; COMPUTE_PGM_RSRC2:USER_SGPR: 13
; COMPUTE_PGM_RSRC2:TRAP_HANDLER: 0
; COMPUTE_PGM_RSRC2:TGID_X_EN: 1
; COMPUTE_PGM_RSRC2:TGID_Y_EN: 1
; COMPUTE_PGM_RSRC2:TGID_Z_EN: 1
; COMPUTE_PGM_RSRC2:TIDIG_COMP_CNT: 0
	.section	.text._Z39paged_attention_ll4mi_QKV_mfma16_kernelI14__hip_bfloat16hLN4vllm18Fp8KVCacheDataTypeE1EhLi16ELi128ELi256ELb1ELi4EL8MFMAType1EEvPKT_PKT0_S9_ifPKiSB_SB_iPKfiiiPfSE_PS4_PT2_iSD_SD_,"axG",@progbits,_Z39paged_attention_ll4mi_QKV_mfma16_kernelI14__hip_bfloat16hLN4vllm18Fp8KVCacheDataTypeE1EhLi16ELi128ELi256ELb1ELi4EL8MFMAType1EEvPKT_PKT0_S9_ifPKiSB_SB_iPKfiiiPfSE_PS4_PT2_iSD_SD_,comdat
	.protected	_Z39paged_attention_ll4mi_QKV_mfma16_kernelI14__hip_bfloat16hLN4vllm18Fp8KVCacheDataTypeE1EhLi16ELi128ELi256ELb1ELi4EL8MFMAType1EEvPKT_PKT0_S9_ifPKiSB_SB_iPKfiiiPfSE_PS4_PT2_iSD_SD_ ; -- Begin function _Z39paged_attention_ll4mi_QKV_mfma16_kernelI14__hip_bfloat16hLN4vllm18Fp8KVCacheDataTypeE1EhLi16ELi128ELi256ELb1ELi4EL8MFMAType1EEvPKT_PKT0_S9_ifPKiSB_SB_iPKfiiiPfSE_PS4_PT2_iSD_SD_
	.globl	_Z39paged_attention_ll4mi_QKV_mfma16_kernelI14__hip_bfloat16hLN4vllm18Fp8KVCacheDataTypeE1EhLi16ELi128ELi256ELb1ELi4EL8MFMAType1EEvPKT_PKT0_S9_ifPKiSB_SB_iPKfiiiPfSE_PS4_PT2_iSD_SD_
	.p2align	8
	.type	_Z39paged_attention_ll4mi_QKV_mfma16_kernelI14__hip_bfloat16hLN4vllm18Fp8KVCacheDataTypeE1EhLi16ELi128ELi256ELb1ELi4EL8MFMAType1EEvPKT_PKT0_S9_ifPKiSB_SB_iPKfiiiPfSE_PS4_PT2_iSD_SD_,@function
_Z39paged_attention_ll4mi_QKV_mfma16_kernelI14__hip_bfloat16hLN4vllm18Fp8KVCacheDataTypeE1EhLi16ELi128ELi256ELb1ELi4EL8MFMAType1EEvPKT_PKT0_S9_ifPKiSB_SB_iPKfiiiPfSE_PS4_PT2_iSD_SD_: ; @_Z39paged_attention_ll4mi_QKV_mfma16_kernelI14__hip_bfloat16hLN4vllm18Fp8KVCacheDataTypeE1EhLi16ELi128ELi256ELb1ELi4EL8MFMAType1EEvPKT_PKT0_S9_ifPKiSB_SB_iPKfiiiPfSE_PS4_PT2_iSD_SD_
; %bb.0:
	s_load_b64 s[4:5], s[0:1], 0x30
	s_mov_b32 s30, s13
	s_waitcnt lgkmcnt(0)
	s_cmp_lg_u64 s[4:5], 0
	s_cselect_b32 s13, -1, 0
	s_ashr_i32 s31, s30, 31
	s_cmp_eq_u64 s[4:5], 0
	s_cbranch_scc1 .LBB1525_3
; %bb.1:
	s_lshl_b64 s[2:3], s[30:31], 2
	s_delay_alu instid0(SALU_CYCLE_1) | instskip(SKIP_4) | instid1(SALU_CYCLE_1)
	s_add_u32 s2, s4, s2
	s_addc_u32 s3, s5, s3
	s_load_b64 s[2:3], s[2:3], 0x0
	s_waitcnt lgkmcnt(0)
	s_sub_i32 s2, s3, s2
	s_cmp_eq_u32 s2, 1
	s_cselect_b32 s2, -1, 0
	s_delay_alu instid0(SALU_CYCLE_1)
	s_and_not1_b32 vcc_lo, exec_lo, s2
	s_cbranch_vccz .LBB1525_4
.LBB1525_2:
	s_endpgm
.LBB1525_3:
.LBB1525_4:
	s_load_b64 s[2:3], s[0:1], 0x28
	s_lshl_b64 s[6:7], s[30:31], 2
	s_waitcnt lgkmcnt(0)
	s_add_u32 s2, s2, s6
	s_addc_u32 s3, s3, s7
	s_lshl_b32 s12, s14, 8
	s_load_b32 s17, s[2:3], 0x0
	s_waitcnt lgkmcnt(0)
	s_cmp_ge_i32 s12, s17
	s_cbranch_scc1 .LBB1525_2
; %bb.5:
	s_clause 0x1
	s_load_b128 s[8:11], s[0:1], 0x8
	s_load_b64 s[2:3], s[0:1], 0x20
	s_and_not1_b32 vcc_lo, exec_lo, s13
	s_cbranch_vccnz .LBB1525_7
; %bb.6:
	s_add_u32 s4, s4, s6
	s_addc_u32 s5, s5, s7
	s_load_b32 s13, s[4:5], 0x0
	s_branch .LBB1525_8
.LBB1525_7:
	s_mov_b32 s13, s30
.LBB1525_8:
	s_load_b128 s[4:7], s[0:1], 0x48
	v_and_b32_e32 v66, 15, v0
	v_lshrrev_b32_e32 v65, 5, v0
	v_and_b32_e32 v67, 31, v0
	v_and_b32_e32 v75, 1, v0
	v_bfe_u32 v74, v0, 4, 1
	v_lshlrev_b32_e32 v1, 3, v66
	s_lshl_b32 s29, s15, 2
	s_waitcnt lgkmcnt(0)
	s_mov_b32 s7, exec_lo
	s_delay_alu instid0(VALU_DEP_1)
	v_lshlrev_b32_e32 v73, 1, v1
	v_cmpx_gt_u32_e32 64, v0
	s_cbranch_execz .LBB1525_10
; %bb.9:
	v_lshl_or_b32 v5, v65, 1, v74
	s_load_b64 s[18:19], s[0:1], 0x0
	s_mul_hi_i32 s21, s13, s4
	s_mul_i32 s20, s13, s4
	v_lshlrev_b32_e32 v6, 10, v66
	v_or_b32_e32 v1, s29, v5
	s_lshl_b64 s[20:21], s[20:21], 1
	v_lshlrev_b32_e32 v5, 6, v5
	v_lshlrev_b32_e32 v7, 10, v75
	v_and_b32_e32 v6, 0x3800, v6
	v_lshlrev_b32_e32 v1, 7, v1
	s_delay_alu instid0(VALU_DEP_2) | instskip(NEXT) | instid1(VALU_DEP_2)
	v_or3_b32 v5, v6, v7, v5
	v_ashrrev_i32_e32 v2, 31, v1
	s_delay_alu instid0(VALU_DEP_1) | instskip(SKIP_3) | instid1(VALU_DEP_1)
	v_lshlrev_b64 v[1:2], 1, v[1:2]
	s_waitcnt lgkmcnt(0)
	s_add_u32 s4, s18, s20
	s_addc_u32 s13, s19, s21
	v_add_co_u32 v1, vcc_lo, s4, v1
	s_delay_alu instid0(VALU_DEP_2) | instskip(NEXT) | instid1(VALU_DEP_2)
	v_add_co_ci_u32_e32 v2, vcc_lo, s13, v2, vcc_lo
	v_add_co_u32 v1, vcc_lo, v1, v73
	s_delay_alu instid0(VALU_DEP_2)
	v_add_co_ci_u32_e32 v2, vcc_lo, 0, v2, vcc_lo
	global_load_b128 v[1:4], v[1:2], off
	s_waitcnt vmcnt(0)
	ds_store_b128 v5, v[1:4]
.LBB1525_10:
	s_or_b32 exec_lo, exec_lo, s7
	v_and_b32_e32 v1, 0xef, v0
	s_add_i32 s4, s17, 15
	s_clause 0x1
	s_load_b32 s7, s[0:1], 0x38
	s_load_b32 s18, s[0:1], 0x1c
	s_ashr_i32 s13, s4, 31
	v_add_nc_u32_e32 v1, s12, v1
	s_lshr_b32 s13, s13, 28
	s_waitcnt lgkmcnt(0)
	s_add_i32 s4, s4, s13
	s_barrier
	v_ashrrev_i32_e32 v2, 31, v1
	v_or_b32_e32 v3, 16, v1
	s_ashr_i32 s4, s4, 4
	v_cmp_gt_i32_e32 vcc_lo, s17, v1
	s_add_i32 s4, s4, -1
	v_lshrrev_b32_e32 v2, 28, v2
	buffer_gl0_inv
	s_mul_i32 s15, s15, s6
	v_add_nc_u32_e32 v4, v1, v2
	s_mul_i32 s20, s30, s7
	s_delay_alu instid0(SALU_CYCLE_1) | instskip(NEXT) | instid1(VALU_DEP_1)
	s_ashr_i32 s21, s20, 31
	v_ashrrev_i32_e32 v4, 4, v4
	v_add_nc_u32_e32 v2, v3, v2
	s_lshl_b64 s[20:21], s[20:21], 2
	s_delay_alu instid0(SALU_CYCLE_1) | instskip(NEXT) | instid1(VALU_DEP_2)
	s_add_u32 s13, s2, s20
	v_cndmask_b32_e32 v1, s4, v4, vcc_lo
	s_delay_alu instid0(VALU_DEP_2)
	v_ashrrev_i32_e32 v2, 4, v2
	v_cmp_gt_i32_e32 vcc_lo, s17, v3
	s_addc_u32 s16, s3, s21
	s_ashr_i32 s19, s15, 31
	s_add_u32 s26, s8, s15
	s_addc_u32 s27, s9, s19
	v_cndmask_b32_e32 v3, s4, v2, vcc_lo
	v_ashrrev_i32_e32 v2, 31, v1
	s_lshl_b32 s2, s14, 4
	s_delay_alu instid0(SALU_CYCLE_1) | instskip(NEXT) | instid1(VALU_DEP_2)
	s_ashr_i32 s3, s2, 31
	v_ashrrev_i32_e32 v4, 31, v3
	s_delay_alu instid0(VALU_DEP_2) | instskip(SKIP_1) | instid1(SALU_CYCLE_1)
	v_lshlrev_b64 v[1:2], 2, v[1:2]
	s_lshl_b64 s[2:3], s[2:3], 2
	s_add_u32 s2, s13, s2
	s_delay_alu instid0(VALU_DEP_2) | instskip(SKIP_1) | instid1(VALU_DEP_2)
	v_lshlrev_b64 v[3:4], 2, v[3:4]
	s_addc_u32 s3, s16, s3
	v_add_co_u32 v1, vcc_lo, s13, v1
	v_add_co_ci_u32_e32 v2, vcc_lo, s16, v2, vcc_lo
	s_delay_alu instid0(VALU_DEP_3) | instskip(NEXT) | instid1(VALU_DEP_4)
	v_add_co_u32 v3, vcc_lo, s13, v3
	v_add_co_ci_u32_e32 v4, vcc_lo, s16, v4, vcc_lo
	s_clause 0x1
	global_load_b32 v5, v[1:2], off
	global_load_b32 v3, v[3:4], off
	s_or_b32 s6, s12, 32
	s_delay_alu instid0(SALU_CYCLE_1) | instskip(SKIP_2) | instid1(SALU_CYCLE_1)
	s_ashr_i32 s7, s6, 4
	s_cmp_lt_i32 s6, s17
	s_cselect_b32 s6, s7, s4
	s_ashr_i32 s7, s6, 31
	s_delay_alu instid0(SALU_CYCLE_1) | instskip(NEXT) | instid1(SALU_CYCLE_1)
	s_lshl_b64 s[6:7], s[6:7], 2
	s_add_u32 s6, s13, s6
	s_addc_u32 s7, s16, s7
	s_or_b32 s8, s12, 64
	s_delay_alu instid0(SALU_CYCLE_1) | instskip(SKIP_2) | instid1(SALU_CYCLE_1)
	s_ashr_i32 s9, s8, 4
	s_cmp_lt_i32 s8, s17
	s_cselect_b32 s8, s9, s4
	s_ashr_i32 s9, s8, 31
	s_delay_alu instid0(SALU_CYCLE_1) | instskip(NEXT) | instid1(SALU_CYCLE_1)
	s_lshl_b64 s[8:9], s[8:9], 2
	s_add_u32 s8, s13, s8
	s_addc_u32 s9, s16, s9
	;; [unrolled: 10-line block ×5, first 2 shown]
	s_clause 0x5
	s_load_b32 s28, s[2:3], 0x0
	s_load_b32 s31, s[6:7], 0x0
	s_load_b32 s8, s[8:9], 0x0
	s_load_b32 s9, s[20:21], 0x0
	s_load_b32 s33, s[22:23], 0x0
	s_load_b32 s34, s[24:25], 0x0
	s_mov_b32 s20, 0
	s_or_b32 s2, s12, 0xc0
	s_mov_b32 s21, s20
	s_mov_b32 s22, s20
	;; [unrolled: 1-line block ×5, first 2 shown]
	v_lshlrev_b32_e32 v1, 4, v0
	s_ashr_i32 s3, s2, 4
	s_cmp_lt_i32 s2, s17
	s_cselect_b32 s2, s3, s4
	s_delay_alu instid0(VALU_DEP_1) | instskip(SKIP_1) | instid1(SALU_CYCLE_1)
	v_and_b32_e32 v1, 0xf0, v1
	s_ashr_i32 s3, s2, 31
	s_lshl_b64 s[2:3], s[2:3], 2
	s_delay_alu instid0(VALU_DEP_1) | instskip(NEXT) | instid1(VALU_DEP_1)
	v_add_co_u32 v1, s26, s26, v1
	v_add_co_ci_u32_e64 v2, null, s27, 0, s26
	s_add_u32 s2, s13, s2
	s_addc_u32 s3, s16, s3
	s_or_b32 s6, s12, 0xe0
	s_mov_b32 s26, s20
	s_ashr_i32 s7, s6, 4
	s_cmp_lt_i32 s6, s17
	s_mov_b32 s27, s20
	s_cselect_b32 s6, s7, s4
	v_dual_mov_b32 v107, s27 :: v_dual_mov_b32 v100, s20
	s_ashr_i32 s7, s6, 31
	v_mov_b32_e32 v106, s26
	s_lshl_b64 s[6:7], s[6:7], 2
	v_dual_mov_b32 v104, s24 :: v_dual_mov_b32 v103, s23
	v_dual_mov_b32 v102, s22 :: v_dual_mov_b32 v101, s21
	v_mov_b32_e32 v105, s25
	s_waitcnt vmcnt(1)
	v_mad_i64_i32 v[33:34], null, v5, s5, v[1:2]
	s_waitcnt vmcnt(0)
	v_mad_i64_i32 v[35:36], null, v3, s5, v[1:2]
	s_clause 0xf
	global_load_b128 v[1:4], v[33:34], off
	global_load_b128 v[5:8], v[33:34], off offset:256
	global_load_b128 v[9:12], v[35:36], off
	global_load_b128 v[13:16], v[35:36], off offset:256
	global_load_b128 v[17:20], v[33:34], off offset:512
	;; [unrolled: 1-line block ×13, first 2 shown]
	v_and_b32_e32 v33, 3, v0
	v_lshlrev_b32_e32 v34, 4, v66
	s_delay_alu instid0(VALU_DEP_2) | instskip(NEXT) | instid1(VALU_DEP_2)
	v_lshlrev_b32_e32 v72, 6, v33
	v_lshl_or_b32 v41, v65, 8, v34
	ds_load_b128 v[33:36], v72
	ds_load_b128 v[37:40], v72 offset:1024
	ds_load_b128 v[108:111], v72 offset:2048
	;; [unrolled: 1-line block ×3, first 2 shown]
	s_load_b32 s4, s[2:3], 0x0
	s_add_u32 s2, s13, s6
	s_addc_u32 s3, s16, s7
	ds_load_b128 v[116:119], v72 offset:4096
	ds_load_b128 v[120:123], v72 offset:5120
	s_load_b32 s2, s[2:3], 0x0
	s_add_u32 s6, s10, s15
	s_addc_u32 s7, s11, s19
	v_add_co_u32 v68, s6, s6, v41
	s_delay_alu instid0(VALU_DEP_1) | instskip(SKIP_1) | instid1(VALU_DEP_1)
	v_add_co_ci_u32_e64 v69, null, s7, 0, s6
	s_waitcnt lgkmcnt(0)
	v_mad_i64_i32 v[41:42], null, s28, s5, v[68:69]
	v_mad_i64_i32 v[70:71], null, s8, s5, v[68:69]
	;; [unrolled: 1-line block ×7, first 2 shown]
	s_clause 0x3
	global_load_b128 v[49:52], v[41:42], off
	global_load_b128 v[53:56], v[41:42], off offset:16
	global_load_b128 v[41:44], v[45:46], off
	global_load_b128 v[45:48], v[45:46], off offset:16
	s_waitcnt vmcnt(18)
	v_wmma_f32_16x16x16_bf16 v[124:131], v[1:8], v[33:40], v[100:107]
	s_waitcnt vmcnt(16)
	v_wmma_f32_16x16x16_bf16 v[100:107], v[9:16], v[33:40], v[100:107]
	s_clause 0x1
	global_load_b128 v[33:36], v[70:71], off
	global_load_b128 v[37:40], v[70:71], off offset:16
	v_mad_i64_i32 v[70:71], null, s2, s5, v[68:69]
	s_waitcnt vmcnt(16)
	v_wmma_f32_16x16x16_bf16 v[124:131], v[17:24], v[108:115], v[124:131]
	s_waitcnt vmcnt(14)
	v_wmma_f32_16x16x16_bf16 v[100:107], v[25:32], v[108:115], v[100:107]
	s_clause 0x7
	global_load_b128 v[25:28], v[132:133], off
	global_load_b128 v[29:32], v[132:133], off offset:16
	global_load_b128 v[1:4], v[134:135], off
	global_load_b128 v[5:8], v[134:135], off offset:16
	;; [unrolled: 2-line block ×4, first 2 shown]
	s_waitcnt vmcnt(20)
	v_wmma_f32_16x16x16_bf16 v[124:131], v[57:64], v[116:123], v[124:131]
	s_clause 0x1
	global_load_b128 v[57:60], v[70:71], off
	global_load_b128 v[61:64], v[70:71], off offset:16
	s_waitcnt vmcnt(20)
	v_wmma_f32_16x16x16_bf16 v[100:107], v[76:83], v[116:123], v[100:107]
	ds_load_b128 v[76:79], v72 offset:6144
	ds_load_b128 v[80:83], v72 offset:7168
	v_and_b32_e32 v68, 0xe0, v0
	v_mbcnt_lo_u32_b32 v69, -1, 0
	s_waitcnt vmcnt(0) lgkmcnt(0)
	s_barrier
	buffer_gl0_inv
	v_add_nc_u32_e32 v68, s12, v68
	v_xor_b32_e32 v70, 16, v69
	s_delay_alu instid0(VALU_DEP_2) | instskip(NEXT) | instid1(VALU_DEP_2)
	v_or_b32_e32 v68, v68, v74
	v_cmp_gt_i32_e32 vcc_lo, 32, v70
	s_delay_alu instid0(VALU_DEP_2)
	v_or_b32_e32 v71, 4, v68
	v_or_b32_e32 v72, 6, v68
	v_cmp_gt_i32_e64 s2, s17, v68
	v_or_b32_e32 v108, 8, v68
	v_wmma_f32_16x16x16_bf16 v[124:131], v[84:91], v[76:83], v[124:131]
	v_cndmask_b32_e32 v69, v69, v70, vcc_lo
	v_or_b32_e32 v70, 2, v68
	v_wmma_f32_16x16x16_bf16 v[100:107], v[92:99], v[76:83], v[100:107]
	v_or_b32_e32 v109, 10, v68
	v_dual_mul_f32 v80, s18, v129 :: v_dual_mul_f32 v81, s18, v128
	v_dual_mul_f32 v92, s18, v125 :: v_dual_mul_f32 v93, s18, v124
	s_delay_alu instid0(VALU_DEP_4)
	v_mul_f32_e32 v96, s18, v105
	v_cmp_gt_i32_e32 vcc_lo, s17, v70
	v_or_b32_e32 v89, 22, v68
	v_dual_mul_f32 v79, s18, v130 :: v_dual_mul_f32 v82, s18, v127
	v_dual_mul_f32 v83, s18, v126 :: v_dual_mul_f32 v94, s18, v107
	v_cndmask_b32_e64 v93, 0xff7fffff, v93, s2
	v_cndmask_b32_e32 v92, 0xff7fffff, v92, vcc_lo
	v_cmp_gt_i32_e64 s3, s17, v71
	v_cmp_gt_i32_e64 s4, s17, v72
	v_or_b32_e32 v84, 12, v68
	v_or_b32_e32 v85, 14, v68
	v_cmp_gt_i32_e64 s5, s17, v108
	v_cndmask_b32_e64 v71, 0xff7fffff, v83, s3
	v_cndmask_b32_e64 v72, 0xff7fffff, v82, s4
	v_cmp_gt_i32_e64 s6, s17, v109
	v_cmp_gt_i32_e64 s12, s17, v89
	v_lshlrev_b32_e32 v89, 2, v69
	v_max3_f32 v82, v93, 0xff7fffff, v92
	v_or_b32_e32 v86, 16, v68
	v_or_b32_e32 v87, 18, v68
	v_mul_f32_e32 v78, s18, v131
	v_cndmask_b32_e64 v81, 0xff7fffff, v81, s5
	v_cndmask_b32_e64 v80, 0xff7fffff, v80, s6
	v_max3_f32 v71, v82, v71, v72
	v_cmp_gt_i32_e64 s7, s17, v84
	v_cmp_gt_i32_e64 s8, s17, v85
	v_or_b32_e32 v88, 20, v68
	v_or_b32_e32 v90, 24, v68
	v_or_b32_e32 v91, 26, v68
	v_or_b32_e32 v76, 28, v68
	v_or_b32_e32 v77, 30, v68
	v_dual_mul_f32 v97, s18, v104 :: v_dual_mul_f32 v70, s18, v101
	v_dual_mul_f32 v99, s18, v102 :: v_dual_mul_f32 v68, s18, v100
	v_cndmask_b32_e64 v72, 0xff7fffff, v79, s7
	v_cndmask_b32_e64 v78, 0xff7fffff, v78, s8
	v_max3_f32 v71, v71, v81, v80
	v_cmp_gt_i32_e64 s9, s17, v86
	v_cmp_gt_i32_e64 s10, s17, v87
	v_dual_mul_f32 v95, s18, v106 :: v_dual_mul_f32 v98, s18, v103
	s_delay_alu instid0(VALU_DEP_4) | instskip(NEXT) | instid1(VALU_DEP_4)
	v_max3_f32 v71, v71, v72, v78
	v_cndmask_b32_e64 v68, 0xff7fffff, v68, s9
	s_delay_alu instid0(VALU_DEP_4)
	v_cndmask_b32_e64 v70, 0xff7fffff, v70, s10
	v_cmp_gt_i32_e64 s11, s17, v88
	v_cndmask_b32_e64 v78, 0xff7fffff, v98, s12
	v_cmp_gt_i32_e64 s13, s17, v90
	v_cmp_gt_i32_e64 s15, s17, v91
	v_max3_f32 v68, v71, v68, v70
	v_cndmask_b32_e64 v72, 0xff7fffff, v99, s11
	v_cmp_gt_i32_e64 s16, s17, v76
	v_cndmask_b32_e64 v70, 0xff7fffff, v97, s13
	v_cndmask_b32_e64 v71, 0xff7fffff, v96, s15
	v_cmp_gt_i32_e64 s17, s17, v77
	v_max3_f32 v68, v68, v72, v78
	v_cndmask_b32_e64 v72, 0xff7fffff, v95, s16
	s_delay_alu instid0(VALU_DEP_3) | instskip(NEXT) | instid1(VALU_DEP_3)
	v_cndmask_b32_e64 v76, 0xff7fffff, v94, s17
	v_max3_f32 v68, v68, v70, v71
	s_delay_alu instid0(VALU_DEP_1) | instskip(SKIP_3) | instid1(VALU_DEP_1)
	v_max3_f32 v68, v68, v72, v76
	ds_bpermute_b32 v69, v89, v68
	s_waitcnt lgkmcnt(0)
	v_max_f32_e32 v69, v69, v69
	v_max_f32_e32 v68, v68, v69
	s_delay_alu instid0(VALU_DEP_1) | instskip(NEXT) | instid1(VALU_DEP_1)
	v_fma_f32 v71, s18, v126, -v68
	v_mul_f32_e32 v71, 0x3fb8aa3b, v71
	v_fma_f32 v70, s18, v125, -v68
	v_fma_f32 v69, s18, v124, -v68
	;; [unrolled: 1-line block ×5, first 2 shown]
	s_delay_alu instid0(VALU_DEP_4) | instskip(SKIP_1) | instid1(VALU_DEP_3)
	v_dual_mul_f32 v70, 0x3fb8aa3b, v70 :: v_dual_mul_f32 v69, 0x3fb8aa3b, v69
	v_exp_f32_e32 v71, v71
	v_mul_f32_e32 v72, 0x3fb8aa3b, v72
	v_fma_f32 v81, s18, v105, -v68
	s_delay_alu instid0(VALU_DEP_3)
	v_exp_f32_e32 v70, v70
	v_mul_f32_e32 v77, 0x3fb8aa3b, v76
	v_exp_f32_e32 v69, v69
	v_exp_f32_e32 v72, v72
	v_mul_f32_e32 v81, 0x3fb8aa3b, v81
	v_cndmask_b32_e64 v83, 0, v71, s3
	v_fma_f32 v71, s18, v131, -v68
	s_delay_alu instid0(VALU_DEP_3) | instskip(SKIP_4) | instid1(TRANS32_DEP_3)
	v_exp_f32_e32 v81, v81
	v_cndmask_b32_e32 v76, 0, v70, vcc_lo
	v_exp_f32_e32 v77, v77
	v_cndmask_b32_e64 v80, 0, v69, s2
	v_fma_f32 v69, s18, v129, -v68
	v_cndmask_b32_e64 v85, 0, v72, s4
	v_mul_f32_e32 v71, 0x3fb8aa3b, v71
	v_fma_f32 v72, s18, v100, -v68
	s_delay_alu instid0(VALU_DEP_4) | instskip(SKIP_1) | instid1(VALU_DEP_3)
	v_dual_add_f32 v70, 0, v80 :: v_dual_mul_f32 v69, 0x3fb8aa3b, v69
	s_mov_b32 s2, exec_lo
	v_exp_f32_e32 v71, v71
	s_delay_alu instid0(TRANS32_DEP_2) | instskip(SKIP_4) | instid1(VALU_DEP_3)
	v_cndmask_b32_e64 v86, 0, v77, s5
	v_fma_f32 v77, s18, v101, -v68
	v_mul_f32_e32 v78, 0x3fb8aa3b, v78
	v_add_f32_e32 v70, v70, v76
	v_exp_f32_e32 v69, v69
	v_mul_f32_e32 v77, 0x3fb8aa3b, v77
	s_delay_alu instid0(VALU_DEP_3) | instskip(NEXT) | instid1(TRANS32_DEP_3)
	v_exp_f32_e32 v78, v78
	v_cndmask_b32_e64 v88, 0, v71, s8
	v_fma_f32 v71, s18, v104, -v68
	s_delay_alu instid0(VALU_DEP_3) | instskip(NEXT) | instid1(TRANS32_DEP_3)
	v_exp_f32_e32 v77, v77
	v_cndmask_b32_e64 v87, 0, v69, s6
	s_delay_alu instid0(VALU_DEP_2)
	v_mul_f32_e32 v71, 0x3fb8aa3b, v71
	s_waitcnt_depctr 0xfff
	v_cndmask_b32_e64 v84, 0, v78, s7
	v_add_f32_e32 v70, v70, v83
	v_fma_f32 v78, s18, v103, -v68
	v_exp_f32_e32 v82, v71
	s_delay_alu instid0(VALU_DEP_2) | instskip(SKIP_1) | instid1(VALU_DEP_3)
	v_add_f32_e32 v70, v70, v85
	v_mul_f32_e32 v72, 0x3fb8aa3b, v72
	v_mul_f32_e32 v78, 0x3fb8aa3b, v78
	s_delay_alu instid0(VALU_DEP_3) | instskip(SKIP_1) | instid1(VALU_DEP_4)
	v_add_f32_e32 v69, v70, v86
	v_fma_f32 v70, s18, v102, -v68
	v_exp_f32_e32 v72, v72
	s_delay_alu instid0(VALU_DEP_3) | instskip(NEXT) | instid1(VALU_DEP_1)
	v_exp_f32_e32 v78, v78
	v_dual_add_f32 v69, v69, v87 :: v_dual_mul_f32 v70, 0x3fb8aa3b, v70
	s_delay_alu instid0(VALU_DEP_1) | instskip(NEXT) | instid1(VALU_DEP_2)
	v_add_f32_e32 v69, v69, v84
	v_exp_f32_e32 v79, v70
	s_delay_alu instid0(TRANS32_DEP_3) | instskip(NEXT) | instid1(VALU_DEP_2)
	v_cndmask_b32_e64 v70, 0, v72, s9
	v_add_f32_e32 v72, v69, v88
	v_cndmask_b32_e64 v69, 0, v77, s10
	v_fma_f32 v77, s18, v106, -v68
	s_waitcnt_depctr 0xfff
	v_cndmask_b32_e64 v71, 0, v79, s11
	v_dual_mul_f32 v77, 0x3fb8aa3b, v77 :: v_dual_add_f32 v72, v72, v70
	s_delay_alu instid0(VALU_DEP_1) | instskip(NEXT) | instid1(VALU_DEP_1)
	v_exp_f32_e32 v90, v77
	v_add_f32_e32 v79, v72, v69
	v_cndmask_b32_e64 v72, 0, v78, s12
	v_cndmask_b32_e64 v77, 0, v82, s13
	s_delay_alu instid0(VALU_DEP_3) | instskip(SKIP_1) | instid1(VALU_DEP_1)
	v_add_f32_e32 v78, v79, v71
	v_fma_f32 v79, s18, v107, -v68
	v_dual_add_f32 v82, v78, v72 :: v_dual_mul_f32 v79, 0x3fb8aa3b, v79
	v_cndmask_b32_e64 v78, 0, v81, s15
	s_delay_alu instid0(VALU_DEP_2) | instskip(NEXT) | instid1(VALU_DEP_3)
	v_add_f32_e32 v81, v82, v77
	v_exp_f32_e32 v82, v79
	v_cndmask_b32_e64 v79, 0, v90, s16
	s_delay_alu instid0(VALU_DEP_2) | instskip(NEXT) | instid1(VALU_DEP_1)
	v_add_f32_e32 v81, v81, v78
	v_add_f32_e32 v90, v81, v79
	s_waitcnt_depctr 0xfff
	v_cndmask_b32_e64 v81, 0, v82, s17
	s_delay_alu instid0(VALU_DEP_1)
	v_add_f32_e32 v82, v90, v81
	ds_bpermute_b32 v89, v89, v82
	v_cmpx_gt_u32_e32 16, v67
	s_cbranch_execz .LBB1525_12
; %bb.11:
	v_mul_u32_u24_e32 v67, 0x44, v65
	s_delay_alu instid0(VALU_DEP_1) | instskip(SKIP_1) | instid1(VALU_DEP_1)
	v_lshl_add_u32 v67, v66, 2, v67
	s_waitcnt lgkmcnt(0)
	v_dual_add_f32 v82, v82, v89 :: v_dual_add_nc_u32 v67, 0x4000, v67
	ds_store_2addr_b32 v67, v68, v82 offset1:136
.LBB1525_12:
	s_or_b32 exec_lo, exec_lo, s2
	v_lshlrev_b32_e32 v67, 2, v66
	s_waitcnt lgkmcnt(0)
	s_barrier
	buffer_gl0_inv
	v_cmp_eq_u32_e32 vcc_lo, 1, v65
	v_add_nc_u32_e32 v82, 0x4000, v67
	v_cmp_eq_u32_e64 s2, 2, v65
	v_cmp_eq_u32_e64 s4, 7, v65
	ds_load_2addr_b32 v[89:90], v82 offset1:17
	ds_load_2addr_b32 v[91:92], v82 offset0:34 offset1:51
	ds_load_2addr_b32 v[93:94], v82 offset0:68 offset1:85
	;; [unrolled: 1-line block ×4, first 2 shown]
	s_waitcnt lgkmcnt(4)
	v_max3_f32 v67, v89, 0xff7fffff, v90
	s_waitcnt lgkmcnt(3)
	s_delay_alu instid0(VALU_DEP_1) | instskip(SKIP_1) | instid1(VALU_DEP_1)
	v_max3_f32 v67, v67, v91, v92
	s_waitcnt lgkmcnt(2)
	v_max3_f32 v67, v67, v93, v94
	s_waitcnt lgkmcnt(1)
	s_delay_alu instid0(VALU_DEP_1) | instskip(NEXT) | instid1(VALU_DEP_1)
	v_max3_f32 v67, v67, v95, v96
	v_sub_f32_e32 v93, v93, v67
	s_delay_alu instid0(VALU_DEP_1) | instskip(NEXT) | instid1(VALU_DEP_1)
	v_dual_sub_f32 v68, v89, v67 :: v_dual_mul_f32 v103, 0x3fb8aa3b, v93
	v_mul_f32_e32 v68, 0x3fb8aa3b, v68
	s_delay_alu instid0(VALU_DEP_1)
	v_exp_f32_e32 v100, v68
	v_sub_f32_e32 v68, v92, v67
	v_sub_f32_e32 v99, v90, v67
	ds_load_2addr_b32 v[89:90], v82 offset0:170 offset1:187
	v_dual_mul_f32 v102, 0x3fb8aa3b, v68 :: v_dual_mul_f32 v99, 0x3fb8aa3b, v99
	s_waitcnt lgkmcnt(1)
	v_fma_f32 v68, v100, v97, 0
	s_delay_alu instid0(VALU_DEP_2) | instskip(NEXT) | instid1(VALU_DEP_2)
	v_exp_f32_e32 v102, v102
	v_exp_f32_e32 v99, v99
	s_waitcnt_depctr 0xfff
	v_fmac_f32_e32 v68, v99, v98
	v_sub_f32_e32 v91, v91, v67
	s_delay_alu instid0(VALU_DEP_1)
	v_mul_f32_e32 v101, 0x3fb8aa3b, v91
	ds_load_2addr_b32 v[91:92], v82 offset0:204 offset1:221
	v_sub_f32_e32 v97, v94, v67
	ds_load_2addr_b32 v[93:94], v82 offset0:238 offset1:255
	s_waitcnt lgkmcnt(0)
	v_exp_f32_e32 v101, v101
	s_barrier
	buffer_gl0_inv
	v_dual_fmac_f32 v68, v101, v89 :: v_dual_sub_f32 v89, v96, v67
	v_dual_sub_f32 v82, v95, v67 :: v_dual_mul_f32 v95, 0x3fb8aa3b, v97
	v_exp_f32_e32 v97, v103
	s_delay_alu instid0(VALU_DEP_2) | instskip(NEXT) | instid1(VALU_DEP_2)
	v_dual_fmac_f32 v68, v102, v90 :: v_dual_mul_f32 v89, 0x3fb8aa3b, v89
	v_mul_f32_e32 v82, 0x3fb8aa3b, v82
	s_delay_alu instid0(VALU_DEP_3) | instskip(NEXT) | instid1(VALU_DEP_2)
	v_exp_f32_e32 v95, v95
	v_exp_f32_e32 v89, v89
	s_delay_alu instid0(VALU_DEP_1)
	v_exp_f32_e32 v82, v82
	v_fmac_f32_e32 v68, v97, v91
	s_delay_alu instid0(TRANS32_DEP_3) | instid1(VALU_DEP_1)
	v_fmac_f32_e32 v68, v95, v92
	s_waitcnt_depctr 0xfff
	v_fmac_f32_e32 v68, v82, v93
	s_delay_alu instid0(VALU_DEP_1) | instskip(NEXT) | instid1(VALU_DEP_1)
	v_fmac_f32_e32 v68, v89, v94
	v_add_f32_e32 v90, 0x358637bd, v68
	s_delay_alu instid0(VALU_DEP_1) | instskip(NEXT) | instid1(VALU_DEP_1)
	v_div_scale_f32 v91, null, v90, v90, 1.0
	v_rcp_f32_e32 v92, v91
	s_waitcnt_depctr 0xfff
	v_fma_f32 v93, -v91, v92, 1.0
	s_delay_alu instid0(VALU_DEP_1) | instskip(SKIP_1) | instid1(VALU_DEP_2)
	v_dual_fmac_f32 v92, v93, v92 :: v_dual_cndmask_b32 v93, v100, v99
	v_cmp_eq_u32_e32 vcc_lo, 3, v65
	v_cndmask_b32_e64 v93, v93, v101, s2
	v_cmp_eq_u32_e64 s2, 4, v65
	s_delay_alu instid0(VALU_DEP_2) | instskip(SKIP_1) | instid1(VALU_DEP_2)
	v_cndmask_b32_e32 v93, v93, v102, vcc_lo
	v_cmp_eq_u32_e32 vcc_lo, 5, v65
	v_cndmask_b32_e64 v93, v93, v97, s2
	v_cmp_eq_u32_e64 s2, 6, v65
	s_delay_alu instid0(VALU_DEP_2) | instskip(SKIP_1) | instid1(VALU_DEP_1)
	v_cndmask_b32_e32 v93, v93, v95, vcc_lo
	v_div_scale_f32 v94, s3, 1.0, v90, 1.0
	s_mov_b32 vcc_lo, s3
	s_delay_alu instid0(VALU_DEP_2) | instskip(NEXT) | instid1(VALU_DEP_2)
	v_cndmask_b32_e64 v82, v93, v82, s2
	v_mul_f32_e32 v96, v94, v92
	s_mov_b32 s2, exec_lo
	s_delay_alu instid0(VALU_DEP_2) | instskip(NEXT) | instid1(VALU_DEP_2)
	v_cndmask_b32_e64 v82, v82, v89, s4
	v_fma_f32 v98, -v91, v96, v94
	s_delay_alu instid0(VALU_DEP_1) | instskip(NEXT) | instid1(VALU_DEP_1)
	v_fmac_f32_e32 v96, v98, v92
	v_fma_f32 v91, -v91, v96, v94
	s_delay_alu instid0(VALU_DEP_1) | instskip(NEXT) | instid1(VALU_DEP_1)
	v_div_fmas_f32 v91, v91, v92, v96
	v_div_fixup_f32 v90, v91, v90, 1.0
	s_delay_alu instid0(VALU_DEP_1) | instskip(NEXT) | instid1(VALU_DEP_1)
	v_mul_f32_e32 v82, v82, v90
	v_mul_f32_e32 v87, v82, v87
	;; [unrolled: 1-line block ×7, first 2 shown]
	v_dual_mul_f32 v86, v82, v83 :: v_dual_and_b32 v91, 0x7f800000, v90
	v_mul_f32_e32 v85, v82, v76
                                        ; implicit-def: $vgpr76
	s_delay_alu instid0(VALU_DEP_2)
	v_cmpx_ne_u32_e32 0x7f800000, v91
	s_xor_b32 s2, exec_lo, s2
; %bb.13:
	v_bfe_u32 v76, v90, 16, 1
	s_delay_alu instid0(VALU_DEP_1)
	v_add3_u32 v76, v90, v76, 0x7fff
                                        ; implicit-def: $vgpr90
; %bb.14:
	s_and_not1_saveexec_b32 s2, s2
; %bb.15:
	v_and_b32_e32 v76, 0xffff, v90
	v_or_b32_e32 v83, 0x10000, v90
	s_delay_alu instid0(VALU_DEP_2) | instskip(NEXT) | instid1(VALU_DEP_2)
	v_cmp_eq_u32_e32 vcc_lo, 0, v76
	v_cndmask_b32_e32 v76, v83, v90, vcc_lo
; %bb.16:
	s_or_b32 exec_lo, exec_lo, s2
	v_and_b32_e32 v83, 0x7f800000, v85
	s_delay_alu instid0(VALU_DEP_1) | instskip(SKIP_1) | instid1(SALU_CYCLE_1)
	v_cmp_ne_u32_e32 vcc_lo, 0x7f800000, v83
                                        ; implicit-def: $vgpr83
	s_and_saveexec_b32 s2, vcc_lo
	s_xor_b32 s2, exec_lo, s2
; %bb.17:
	v_bfe_u32 v83, v85, 16, 1
	s_delay_alu instid0(VALU_DEP_1)
	v_add3_u32 v83, v85, v83, 0x7fff
                                        ; implicit-def: $vgpr85
; %bb.18:
	s_and_not1_saveexec_b32 s2, s2
; %bb.19:
	v_and_b32_e32 v83, 0xffff, v85
	v_or_b32_e32 v90, 0x10000, v85
	s_delay_alu instid0(VALU_DEP_2) | instskip(NEXT) | instid1(VALU_DEP_2)
	v_cmp_eq_u32_e32 vcc_lo, 0, v83
	v_cndmask_b32_e32 v83, v90, v85, vcc_lo
; %bb.20:
	s_or_b32 exec_lo, exec_lo, s2
	v_and_b32_e32 v85, 0x7f800000, v86
	s_delay_alu instid0(VALU_DEP_1) | instskip(SKIP_1) | instid1(SALU_CYCLE_1)
	v_cmp_ne_u32_e32 vcc_lo, 0x7f800000, v85
                                        ; implicit-def: $vgpr85
	s_and_saveexec_b32 s2, vcc_lo
	s_xor_b32 s2, exec_lo, s2
; %bb.21:
	v_bfe_u32 v85, v86, 16, 1
	s_delay_alu instid0(VALU_DEP_1)
	v_add3_u32 v85, v86, v85, 0x7fff
                                        ; implicit-def: $vgpr86
; %bb.22:
	s_and_not1_saveexec_b32 s2, s2
; %bb.23:
	v_and_b32_e32 v85, 0xffff, v86
	v_or_b32_e32 v90, 0x10000, v86
	s_delay_alu instid0(VALU_DEP_2) | instskip(NEXT) | instid1(VALU_DEP_2)
	v_cmp_eq_u32_e32 vcc_lo, 0, v85
	v_cndmask_b32_e32 v85, v90, v86, vcc_lo
; %bb.24:
	s_or_b32 exec_lo, exec_lo, s2
	v_and_b32_e32 v86, 0x7f800000, v89
	s_delay_alu instid0(VALU_DEP_1) | instskip(SKIP_1) | instid1(SALU_CYCLE_1)
	v_cmp_ne_u32_e32 vcc_lo, 0x7f800000, v86
                                        ; implicit-def: $vgpr86
	s_and_saveexec_b32 s2, vcc_lo
	s_xor_b32 s2, exec_lo, s2
; %bb.25:
	v_bfe_u32 v86, v89, 16, 1
	s_delay_alu instid0(VALU_DEP_1)
	v_add3_u32 v86, v89, v86, 0x7fff
                                        ; implicit-def: $vgpr89
; %bb.26:
	s_and_not1_saveexec_b32 s2, s2
; %bb.27:
	v_and_b32_e32 v86, 0xffff, v89
	v_or_b32_e32 v90, 0x10000, v89
	s_delay_alu instid0(VALU_DEP_2) | instskip(NEXT) | instid1(VALU_DEP_2)
	v_cmp_eq_u32_e32 vcc_lo, 0, v86
	v_cndmask_b32_e32 v86, v90, v89, vcc_lo
; %bb.28:
	s_or_b32 exec_lo, exec_lo, s2
	v_and_b32_e32 v89, 0x7f800000, v88
	s_delay_alu instid0(VALU_DEP_1) | instskip(SKIP_1) | instid1(SALU_CYCLE_1)
	v_cmp_ne_u32_e32 vcc_lo, 0x7f800000, v89
                                        ; implicit-def: $vgpr89
	s_and_saveexec_b32 s2, vcc_lo
	s_xor_b32 s2, exec_lo, s2
; %bb.29:
	v_bfe_u32 v89, v88, 16, 1
	s_delay_alu instid0(VALU_DEP_1)
	v_add3_u32 v89, v88, v89, 0x7fff
                                        ; implicit-def: $vgpr88
; %bb.30:
	s_and_not1_saveexec_b32 s2, s2
; %bb.31:
	v_and_b32_e32 v89, 0xffff, v88
	v_or_b32_e32 v90, 0x10000, v88
	s_delay_alu instid0(VALU_DEP_2) | instskip(NEXT) | instid1(VALU_DEP_2)
	v_cmp_eq_u32_e32 vcc_lo, 0, v89
	v_cndmask_b32_e32 v89, v90, v88, vcc_lo
; %bb.32:
	s_or_b32 exec_lo, exec_lo, s2
	v_and_b32_e32 v88, 0x7f800000, v87
	s_delay_alu instid0(VALU_DEP_1) | instskip(SKIP_1) | instid1(SALU_CYCLE_1)
	v_cmp_ne_u32_e32 vcc_lo, 0x7f800000, v88
                                        ; implicit-def: $vgpr88
	s_and_saveexec_b32 s2, vcc_lo
	s_xor_b32 s2, exec_lo, s2
; %bb.33:
	v_bfe_u32 v88, v87, 16, 1
	s_delay_alu instid0(VALU_DEP_1)
	v_add3_u32 v88, v87, v88, 0x7fff
                                        ; implicit-def: $vgpr87
; %bb.34:
	s_and_not1_saveexec_b32 s2, s2
; %bb.35:
	v_and_b32_e32 v88, 0xffff, v87
	v_or_b32_e32 v90, 0x10000, v87
	s_delay_alu instid0(VALU_DEP_2) | instskip(NEXT) | instid1(VALU_DEP_2)
	v_cmp_eq_u32_e32 vcc_lo, 0, v88
	v_cndmask_b32_e32 v88, v90, v87, vcc_lo
; %bb.36:
	s_or_b32 exec_lo, exec_lo, s2
	v_and_b32_e32 v87, 0x7f800000, v84
	s_delay_alu instid0(VALU_DEP_1) | instskip(SKIP_1) | instid1(SALU_CYCLE_1)
	v_cmp_ne_u32_e32 vcc_lo, 0x7f800000, v87
                                        ; implicit-def: $vgpr87
	s_and_saveexec_b32 s2, vcc_lo
	s_xor_b32 s2, exec_lo, s2
; %bb.37:
	v_bfe_u32 v87, v84, 16, 1
	s_delay_alu instid0(VALU_DEP_1)
	v_add3_u32 v87, v84, v87, 0x7fff
                                        ; implicit-def: $vgpr84
; %bb.38:
	s_and_not1_saveexec_b32 s2, s2
; %bb.39:
	v_and_b32_e32 v87, 0xffff, v84
	v_or_b32_e32 v90, 0x10000, v84
	s_delay_alu instid0(VALU_DEP_2) | instskip(NEXT) | instid1(VALU_DEP_2)
	v_cmp_eq_u32_e32 vcc_lo, 0, v87
	v_cndmask_b32_e32 v87, v90, v84, vcc_lo
; %bb.40:
	s_or_b32 exec_lo, exec_lo, s2
	v_and_b32_e32 v84, 0x7f800000, v80
	s_delay_alu instid0(VALU_DEP_1) | instskip(SKIP_1) | instid1(SALU_CYCLE_1)
	v_cmp_ne_u32_e32 vcc_lo, 0x7f800000, v84
                                        ; implicit-def: $vgpr84
	s_and_saveexec_b32 s2, vcc_lo
	s_xor_b32 s2, exec_lo, s2
; %bb.41:
	v_bfe_u32 v84, v80, 16, 1
	s_delay_alu instid0(VALU_DEP_1)
	v_add3_u32 v84, v80, v84, 0x7fff
                                        ; implicit-def: $vgpr80
; %bb.42:
	s_and_not1_saveexec_b32 s2, s2
; %bb.43:
	v_and_b32_e32 v84, 0xffff, v80
	v_or_b32_e32 v90, 0x10000, v80
	s_delay_alu instid0(VALU_DEP_2) | instskip(NEXT) | instid1(VALU_DEP_2)
	v_cmp_eq_u32_e32 vcc_lo, 0, v84
	v_cndmask_b32_e32 v84, v90, v80, vcc_lo
; %bb.44:
	s_or_b32 exec_lo, exec_lo, s2
	s_load_b64 s[34:35], s[0:1], 0x94
	v_lshlrev_b32_e32 v91, 4, v74
	s_delay_alu instid0(VALU_DEP_2)
	v_perm_b32 v90, v84, v87, 0x7060302
	v_dual_mul_f32 v77, v82, v77 :: v_dual_lshlrev_b32 v80, 6, v66
	v_lshlrev_b32_e32 v66, 11, v65
	v_perm_b32 v87, v83, v76, 0x7060302
	v_mul_f32_e32 v83, v82, v70
	v_perm_b32 v89, v88, v89, 0x7060302
	v_perm_b32 v88, v86, v85, 0x7060302
	v_or3_b32 v76, v91, v66, v80
	v_mul_f32_e32 v66, v82, v81
	v_mul_f32_e32 v70, v82, v79
	;; [unrolled: 1-line block ×3, first 2 shown]
	v_dual_mul_f32 v81, v82, v72 :: v_dual_and_b32 v84, 0x7f800000, v83
	v_mul_f32_e32 v79, v82, v71
	v_mul_f32_e32 v72, v82, v69
	s_mov_b32 s2, exec_lo
	ds_store_b128 v76, v[87:90]
                                        ; implicit-def: $vgpr69
	v_cmpx_ne_u32_e32 0x7f800000, v84
	s_xor_b32 s2, exec_lo, s2
; %bb.45:
	v_bfe_u32 v69, v83, 16, 1
	s_delay_alu instid0(VALU_DEP_1)
	v_add3_u32 v69, v83, v69, 0x7fff
                                        ; implicit-def: $vgpr83
; %bb.46:
	s_and_not1_saveexec_b32 s2, s2
; %bb.47:
	v_and_b32_e32 v69, 0xffff, v83
	v_or_b32_e32 v71, 0x10000, v83
	s_delay_alu instid0(VALU_DEP_2) | instskip(NEXT) | instid1(VALU_DEP_2)
	v_cmp_eq_u32_e32 vcc_lo, 0, v69
	v_cndmask_b32_e32 v69, v71, v83, vcc_lo
; %bb.48:
	s_or_b32 exec_lo, exec_lo, s2
	v_and_b32_e32 v71, 0x7f800000, v72
	s_delay_alu instid0(VALU_DEP_1) | instskip(SKIP_1) | instid1(SALU_CYCLE_1)
	v_cmp_ne_u32_e32 vcc_lo, 0x7f800000, v71
                                        ; implicit-def: $vgpr71
	s_and_saveexec_b32 s2, vcc_lo
	s_xor_b32 s2, exec_lo, s2
; %bb.49:
	v_bfe_u32 v71, v72, 16, 1
	s_delay_alu instid0(VALU_DEP_1)
	v_add3_u32 v71, v72, v71, 0x7fff
                                        ; implicit-def: $vgpr72
; %bb.50:
	s_and_not1_saveexec_b32 s2, s2
; %bb.51:
	v_and_b32_e32 v71, 0xffff, v72
	v_or_b32_e32 v82, 0x10000, v72
	s_delay_alu instid0(VALU_DEP_2) | instskip(NEXT) | instid1(VALU_DEP_2)
	v_cmp_eq_u32_e32 vcc_lo, 0, v71
	v_cndmask_b32_e32 v71, v82, v72, vcc_lo
; %bb.52:
	s_or_b32 exec_lo, exec_lo, s2
	v_and_b32_e32 v72, 0x7f800000, v79
	s_delay_alu instid0(VALU_DEP_1) | instskip(SKIP_1) | instid1(SALU_CYCLE_1)
	v_cmp_ne_u32_e32 vcc_lo, 0x7f800000, v72
                                        ; implicit-def: $vgpr72
	s_and_saveexec_b32 s2, vcc_lo
	s_xor_b32 s2, exec_lo, s2
; %bb.53:
	v_bfe_u32 v72, v79, 16, 1
	s_delay_alu instid0(VALU_DEP_1)
	v_add3_u32 v72, v79, v72, 0x7fff
                                        ; implicit-def: $vgpr79
; %bb.54:
	s_and_not1_saveexec_b32 s2, s2
; %bb.55:
	v_and_b32_e32 v72, 0xffff, v79
	v_or_b32_e32 v82, 0x10000, v79
	s_delay_alu instid0(VALU_DEP_2) | instskip(NEXT) | instid1(VALU_DEP_2)
	v_cmp_eq_u32_e32 vcc_lo, 0, v72
	v_cndmask_b32_e32 v72, v82, v79, vcc_lo
; %bb.56:
	s_or_b32 exec_lo, exec_lo, s2
	v_and_b32_e32 v79, 0x7f800000, v81
	s_delay_alu instid0(VALU_DEP_1) | instskip(SKIP_1) | instid1(SALU_CYCLE_1)
	v_cmp_ne_u32_e32 vcc_lo, 0x7f800000, v79
                                        ; implicit-def: $vgpr79
	s_and_saveexec_b32 s2, vcc_lo
	s_xor_b32 s2, exec_lo, s2
; %bb.57:
	v_bfe_u32 v79, v81, 16, 1
	s_delay_alu instid0(VALU_DEP_1)
	v_add3_u32 v79, v81, v79, 0x7fff
                                        ; implicit-def: $vgpr81
; %bb.58:
	s_and_not1_saveexec_b32 s2, s2
; %bb.59:
	v_and_b32_e32 v79, 0xffff, v81
	v_or_b32_e32 v82, 0x10000, v81
	s_delay_alu instid0(VALU_DEP_2) | instskip(NEXT) | instid1(VALU_DEP_2)
	v_cmp_eq_u32_e32 vcc_lo, 0, v79
	v_cndmask_b32_e32 v79, v82, v81, vcc_lo
; %bb.60:
	s_or_b32 exec_lo, exec_lo, s2
	v_and_b32_e32 v81, 0x7f800000, v77
	s_delay_alu instid0(VALU_DEP_1) | instskip(SKIP_1) | instid1(SALU_CYCLE_1)
	v_cmp_ne_u32_e32 vcc_lo, 0x7f800000, v81
                                        ; implicit-def: $vgpr81
	s_and_saveexec_b32 s2, vcc_lo
	s_xor_b32 s2, exec_lo, s2
; %bb.61:
	v_bfe_u32 v81, v77, 16, 1
	s_delay_alu instid0(VALU_DEP_1)
	v_add3_u32 v81, v77, v81, 0x7fff
                                        ; implicit-def: $vgpr77
; %bb.62:
	s_and_not1_saveexec_b32 s2, s2
; %bb.63:
	v_and_b32_e32 v81, 0xffff, v77
	v_or_b32_e32 v82, 0x10000, v77
	s_delay_alu instid0(VALU_DEP_2) | instskip(NEXT) | instid1(VALU_DEP_2)
	v_cmp_eq_u32_e32 vcc_lo, 0, v81
	v_cndmask_b32_e32 v81, v82, v77, vcc_lo
; %bb.64:
	s_or_b32 exec_lo, exec_lo, s2
	v_and_b32_e32 v77, 0x7f800000, v78
	s_delay_alu instid0(VALU_DEP_1) | instskip(SKIP_1) | instid1(SALU_CYCLE_1)
	v_cmp_ne_u32_e32 vcc_lo, 0x7f800000, v77
                                        ; implicit-def: $vgpr77
	s_and_saveexec_b32 s2, vcc_lo
	s_xor_b32 s2, exec_lo, s2
; %bb.65:
	v_bfe_u32 v77, v78, 16, 1
	s_delay_alu instid0(VALU_DEP_1)
	v_add3_u32 v77, v78, v77, 0x7fff
                                        ; implicit-def: $vgpr78
; %bb.66:
	s_and_not1_saveexec_b32 s2, s2
; %bb.67:
	v_and_b32_e32 v77, 0xffff, v78
	v_or_b32_e32 v82, 0x10000, v78
	s_delay_alu instid0(VALU_DEP_2) | instskip(NEXT) | instid1(VALU_DEP_2)
	v_cmp_eq_u32_e32 vcc_lo, 0, v77
	v_cndmask_b32_e32 v77, v82, v78, vcc_lo
; %bb.68:
	s_or_b32 exec_lo, exec_lo, s2
	v_and_b32_e32 v78, 0x7f800000, v70
	s_delay_alu instid0(VALU_DEP_1) | instskip(SKIP_1) | instid1(SALU_CYCLE_1)
	v_cmp_ne_u32_e32 vcc_lo, 0x7f800000, v78
                                        ; implicit-def: $vgpr78
	s_and_saveexec_b32 s2, vcc_lo
	s_xor_b32 s2, exec_lo, s2
; %bb.69:
	v_bfe_u32 v78, v70, 16, 1
	s_delay_alu instid0(VALU_DEP_1)
	v_add3_u32 v78, v70, v78, 0x7fff
                                        ; implicit-def: $vgpr70
; %bb.70:
	s_and_not1_saveexec_b32 s2, s2
; %bb.71:
	v_and_b32_e32 v78, 0xffff, v70
	v_or_b32_e32 v82, 0x10000, v70
	s_delay_alu instid0(VALU_DEP_2) | instskip(NEXT) | instid1(VALU_DEP_2)
	v_cmp_eq_u32_e32 vcc_lo, 0, v78
	v_cndmask_b32_e32 v78, v82, v70, vcc_lo
; %bb.72:
	s_or_b32 exec_lo, exec_lo, s2
	v_and_b32_e32 v70, 0x7f800000, v66
	s_delay_alu instid0(VALU_DEP_1) | instskip(SKIP_1) | instid1(SALU_CYCLE_1)
	v_cmp_ne_u32_e32 vcc_lo, 0x7f800000, v70
                                        ; implicit-def: $vgpr70
	s_and_saveexec_b32 s2, vcc_lo
	s_xor_b32 s2, exec_lo, s2
; %bb.73:
	v_bfe_u32 v70, v66, 16, 1
	s_delay_alu instid0(VALU_DEP_1)
	v_add3_u32 v70, v66, v70, 0x7fff
                                        ; implicit-def: $vgpr66
; %bb.74:
	s_and_not1_saveexec_b32 s2, s2
; %bb.75:
	v_and_b32_e32 v70, 0xffff, v66
	v_or_b32_e32 v82, 0x10000, v66
	s_delay_alu instid0(VALU_DEP_2) | instskip(NEXT) | instid1(VALU_DEP_2)
	v_cmp_eq_u32_e32 vcc_lo, 0, v70
	v_cndmask_b32_e32 v70, v82, v66, vcc_lo
; %bb.76:
	s_or_b32 exec_lo, exec_lo, s2
	s_delay_alu instid0(VALU_DEP_1)
	v_perm_b32 v86, v70, v78, 0x7060302
	v_perm_b32 v85, v77, v81, 0x7060302
	;; [unrolled: 1-line block ×4, first 2 shown]
	v_lshl_or_b32 v82, v65, 11, v80
	ds_store_b128 v76, v[83:86] offset:1024
	s_waitcnt lgkmcnt(0)
	s_barrier
	buffer_gl0_inv
	ds_load_b128 v[69:72], v82
	ds_load_b128 v[83:86], v82 offset:16
	s_waitcnt lgkmcnt(1)
	v_lshrrev_b32_e32 v65, 16, v69
	v_lshlrev_b32_e32 v78, 2, v74
	s_waitcnt lgkmcnt(0)
	v_lshrrev_b32_e32 v91, 16, v83
	v_lshrrev_b32_e32 v66, 16, v70
	;; [unrolled: 1-line block ×4, first 2 shown]
	v_cmp_eq_u32_e32 vcc_lo, 1, v78
	v_lshrrev_b32_e32 v98, 16, v85
	v_lshrrev_b32_e32 v96, 16, v72
	;; [unrolled: 1-line block ×3, first 2 shown]
	v_cndmask_b32_e32 v81, v69, v65, vcc_lo
	v_or_b32_e32 v79, 1, v78
	v_cmp_eq_u32_e64 s3, 2, v78
	v_cndmask_b32_e32 v87, v83, v91, vcc_lo
	v_cmp_eq_u32_e64 s6, 3, v78
	v_cmp_eq_u32_e64 s8, 4, v78
	;; [unrolled: 1-line block ×3, first 2 shown]
	v_cndmask_b32_e64 v81, v81, v70, s3
	v_cmp_eq_u32_e64 s5, 2, v79
	v_cndmask_b32_e64 v87, v87, v84, s3
	v_cmp_eq_u32_e64 s7, 3, v79
	v_cndmask_b32_e64 v88, v69, v65, s2
	v_cndmask_b32_e64 v81, v81, v66, s6
	v_or_b32_e32 v77, 2, v78
	v_cndmask_b32_e64 v87, v87, v97, s6
	v_cndmask_b32_e64 v89, v83, v91, s2
	;; [unrolled: 1-line block ×4, first 2 shown]
	v_cmp_eq_u32_e64 s9, 5, v78
	v_cndmask_b32_e64 v87, v87, v85, s8
	v_cmp_eq_u32_e64 s10, 4, v79
	v_cndmask_b32_e64 v88, v88, v66, s7
	;; [unrolled: 2-line block ×3, first 2 shown]
	v_cndmask_b32_e64 v81, v81, v95, s9
	v_cmp_eq_u32_e64 s11, 6, v78
	v_cndmask_b32_e64 v88, v88, v71, s10
	v_cndmask_b32_e64 v87, v87, v98, s9
	v_cmp_eq_u32_e64 s12, 5, v79
	v_cndmask_b32_e64 v90, v69, v65, s4
	v_cndmask_b32_e64 v89, v89, v97, s7
	;; [unrolled: 1-line block ×3, first 2 shown]
	v_cmp_eq_u32_e64 s13, 7, v78
	v_cndmask_b32_e64 v88, v88, v95, s12
	v_cndmask_b32_e64 v87, v87, v86, s11
	v_cmp_eq_u32_e64 s15, 6, v79
	v_cmp_eq_u32_e64 s16, 2, v77
	v_cndmask_b32_e64 v89, v89, v85, s10
	v_cndmask_b32_e64 v100, v81, v96, s13
	;; [unrolled: 1-line block ×6, first 2 shown]
	v_cmp_eq_u32_e64 s17, 7, v79
	v_cmp_eq_u32_e64 s18, 3, v77
	;; [unrolled: 1-line block ×4, first 2 shown]
	v_cndmask_b32_e64 v87, v87, v84, s16
	v_cndmask_b32_e64 v102, v88, v96, s17
	;; [unrolled: 1-line block ×4, first 2 shown]
	v_or_b32_e32 v81, 3, v78
	v_cndmask_b32_e64 v93, v87, v97, s18
	v_cmp_eq_u32_e64 s23, 6, v77
	v_cndmask_b32_e64 v103, v88, v86, s15
	v_cndmask_b32_e64 v92, v89, v71, s19
	v_cmp_eq_u32_e64 s20, 1, v81
	ds_load_b128 v[87:90], v82 offset:1024
	v_cmp_eq_u32_e64 s22, 2, v81
	v_cmp_eq_u32_e64 s24, 3, v81
	v_cndmask_b32_e64 v104, v92, v95, s21
	v_cndmask_b32_e64 v65, v69, v65, s20
	;; [unrolled: 1-line block ×4, first 2 shown]
	ds_load_b128 v[91:94], v82 offset:1040
	v_cmp_eq_u32_e64 s25, 4, v81
	v_cndmask_b32_e64 v65, v65, v70, s22
	v_cmp_eq_u32_e64 s27, 5, v81
	v_cndmask_b32_e64 v70, v83, v84, s22
	;; [unrolled: 2-line block ×3, first 2 shown]
	v_cndmask_b32_e64 v65, v65, v66, s24
	v_cndmask_b32_e64 v66, v104, v72, s23
	;; [unrolled: 1-line block ×3, first 2 shown]
	v_cmp_eq_u32_e64 s26, 7, v77
	v_cndmask_b32_e64 v69, v69, v86, s23
	v_cndmask_b32_e64 v65, v65, v71, s25
	s_waitcnt lgkmcnt(1)
	v_lshrrev_b32_e32 v84, 16, v87
	v_cndmask_b32_e64 v70, v70, v85, s25
	v_cndmask_b32_e64 v83, v103, v99, s17
	;; [unrolled: 1-line block ×4, first 2 shown]
	v_lshrrev_b32_e32 v95, 16, v88
	v_cndmask_b32_e64 v70, v70, v98, s27
	s_waitcnt lgkmcnt(0)
	v_lshrrev_b32_e32 v85, 16, v91
	v_cndmask_b32_e64 v97, v87, v84, s2
	v_cndmask_b32_e64 v65, v65, v72, s28
	;; [unrolled: 1-line block ×4, first 2 shown]
	v_cndmask_b32_e32 v71, v87, v84, vcc_lo
	v_cndmask_b32_e32 v98, v91, v85, vcc_lo
	v_cmp_eq_u32_e32 vcc_lo, 7, v81
	v_cndmask_b32_e64 v72, v97, v88, s5
	v_lshrrev_b32_e32 v97, 16, v92
	v_lshrrev_b32_e32 v103, 16, v90
	v_dual_cndmask_b32 v65, v65, v96 :: v_dual_cndmask_b32 v70, v70, v99
	v_cndmask_b32_e64 v71, v71, v88, s3
	v_cndmask_b32_e64 v86, v98, v92, s3
	v_cndmask_b32_e64 v72, v72, v95, s7
	v_lshrrev_b32_e32 v98, 16, v89
	v_lshrrev_b32_e32 v99, 16, v93
	v_cndmask_b32_e64 v71, v71, v95, s6
	v_cndmask_b32_e64 v86, v86, v97, s6
	;; [unrolled: 1-line block ×3, first 2 shown]
	v_perm_b32 v72, v70, v65, 0x5040100
	v_perm_b32 v70, v83, v102, 0x5040100
	v_cndmask_b32_e64 v71, v71, v89, s8
	v_cndmask_b32_e64 v86, v86, v93, s8
	;; [unrolled: 1-line block ×3, first 2 shown]
	v_lshrrev_b32_e32 v83, 16, v94
	s_delay_alu instid0(VALU_DEP_4) | instskip(NEXT) | instid1(VALU_DEP_4)
	v_cndmask_b32_e64 v71, v71, v98, s9
	v_cndmask_b32_e64 v86, v86, v99, s9
	s_delay_alu instid0(VALU_DEP_4) | instskip(NEXT) | instid1(VALU_DEP_3)
	v_cndmask_b32_e64 v65, v65, v90, s15
	v_cndmask_b32_e64 v96, v71, v90, s11
	v_perm_b32 v71, v69, v66, 0x5040100
	s_delay_alu instid0(VALU_DEP_4)
	v_cndmask_b32_e64 v69, v86, v94, s11
	v_cndmask_b32_e64 v86, v87, v84, s4
	;; [unrolled: 1-line block ×34, first 2 shown]
	v_cndmask_b32_e32 v84, v84, v103, vcc_lo
	v_cndmask_b32_e32 v86, v87, v83, vcc_lo
	v_cndmask_b32_e64 v87, v88, v83, s26
	v_cndmask_b32_e64 v88, v85, v83, s17
	;; [unrolled: 1-line block ×3, first 2 shown]
	v_perm_b32 v69, v101, v100, 0x5040100
	v_perm_b32 v86, v86, v84, 0x5040100
	;; [unrolled: 1-line block ×5, first 2 shown]
	s_lshl_b32 s7, s35, 2
	s_mov_b32 s2, exec_lo
	ds_store_b128 v76, v[69:72]
	ds_store_b128 v76, v[83:86] offset:1024
	v_cmpx_gt_u32_e32 4, v0
	s_cbranch_execz .LBB1525_78
; %bb.77:
	v_or_b32_e32 v65, s29, v0
	s_load_b128 s[8:11], s[0:1], 0x58
	s_delay_alu instid0(VALU_DEP_1) | instskip(NEXT) | instid1(VALU_DEP_1)
	v_mad_u64_u32 v[69:70], null, s7, s30, v[65:66]
	v_mad_u64_u32 v[65:66], null, v69, s34, s[14:15]
	s_delay_alu instid0(VALU_DEP_1) | instskip(NEXT) | instid1(VALU_DEP_1)
	v_ashrrev_i32_e32 v66, 31, v65
	v_lshlrev_b64 v[65:66], 2, v[65:66]
	s_waitcnt lgkmcnt(0)
	s_delay_alu instid0(VALU_DEP_1) | instskip(NEXT) | instid1(VALU_DEP_2)
	v_add_co_u32 v69, vcc_lo, s10, v65
	v_add_co_ci_u32_e32 v70, vcc_lo, s11, v66, vcc_lo
	v_add_co_u32 v65, vcc_lo, s8, v65
	v_add_co_ci_u32_e32 v66, vcc_lo, s9, v66, vcc_lo
	global_store_b32 v[69:70], v67, off
	global_store_b32 v[65:66], v68, off
.LBB1525_78:
	s_or_b32 exec_lo, exec_lo, s2
	s_waitcnt lgkmcnt(0)
	s_waitcnt_vscnt null, 0x0
	s_barrier
	buffer_gl0_inv
	ds_load_b128 v[83:86], v80
	ds_load_b128 v[87:90], v80 offset:16
	ds_load_b128 v[95:98], v80 offset:2064
	;; [unrolled: 1-line block ×3, first 2 shown]
	v_mov_b32_e32 v65, 0
	ds_load_b128 v[103:106], v80 offset:4112
	ds_load_b128 v[99:102], v80 offset:4096
	;; [unrolled: 1-line block ×4, first 2 shown]
	v_mov_b32_e32 v66, v65
	v_mov_b32_e32 v67, v65
	;; [unrolled: 1-line block ×7, first 2 shown]
	s_waitcnt lgkmcnt(6)
	s_delay_alu instid0(VALU_DEP_1)
	v_wmma_f32_16x16x16_bf16 v[65:72], v[49:56], v[83:90], v[65:72]
	ds_load_b128 v[53:56], v80 offset:8208
	ds_load_b128 v[49:52], v80 offset:8192
	s_waitcnt lgkmcnt(6)
	v_wmma_f32_16x16x16_bf16 v[65:72], v[41:48], v[91:98], v[65:72]
	ds_load_b128 v[45:48], v80 offset:10256
	ds_load_b128 v[41:44], v80 offset:10240
	s_waitcnt lgkmcnt(6)
	;; [unrolled: 4-line block ×4, first 2 shown]
	v_wmma_f32_16x16x16_bf16 v[65:72], v[1:8], v[49:56], v[65:72]
	s_waitcnt lgkmcnt(4)
	s_delay_alu instid0(VALU_DEP_1) | instskip(SKIP_1) | instid1(VALU_DEP_1)
	v_wmma_f32_16x16x16_bf16 v[65:72], v[9:16], v[41:48], v[65:72]
	s_waitcnt lgkmcnt(2)
	v_wmma_f32_16x16x16_bf16 v[65:72], v[17:24], v[33:40], v[65:72]
	s_waitcnt lgkmcnt(0)
	s_delay_alu instid0(VALU_DEP_1) | instskip(NEXT) | instid1(VALU_DEP_1)
	v_wmma_f32_16x16x16_bf16 v[65:72], v[57:64], v[25:32], v[65:72]
	v_and_b32_e32 v1, 0x7f800000, v65
	s_delay_alu instid0(VALU_DEP_1) | instskip(SKIP_1) | instid1(SALU_CYCLE_1)
	v_cmp_ne_u32_e32 vcc_lo, 0x7f800000, v1
                                        ; implicit-def: $vgpr1
	s_and_saveexec_b32 s2, vcc_lo
	s_xor_b32 s2, exec_lo, s2
; %bb.79:
	v_bfe_u32 v1, v65, 16, 1
	s_delay_alu instid0(VALU_DEP_1)
	v_add3_u32 v1, v65, v1, 0x7fff
; %bb.80:
	s_and_not1_saveexec_b32 s2, s2
; %bb.81:
	v_and_b32_e32 v1, 0xffff, v65
	v_or_b32_e32 v2, 0x10000, v65
	s_delay_alu instid0(VALU_DEP_2) | instskip(NEXT) | instid1(VALU_DEP_2)
	v_cmp_eq_u32_e32 vcc_lo, 0, v1
	v_cndmask_b32_e32 v1, v2, v65, vcc_lo
; %bb.82:
	s_or_b32 exec_lo, exec_lo, s2
	v_and_b32_e32 v2, 0x7f800000, v66
	s_delay_alu instid0(VALU_DEP_1) | instskip(SKIP_1) | instid1(SALU_CYCLE_1)
	v_cmp_ne_u32_e32 vcc_lo, 0x7f800000, v2
                                        ; implicit-def: $vgpr2
	s_and_saveexec_b32 s2, vcc_lo
	s_xor_b32 s2, exec_lo, s2
; %bb.83:
	v_bfe_u32 v2, v66, 16, 1
	s_delay_alu instid0(VALU_DEP_1)
	v_add3_u32 v2, v66, v2, 0x7fff
; %bb.84:
	s_and_not1_saveexec_b32 s2, s2
; %bb.85:
	v_and_b32_e32 v2, 0xffff, v66
	v_or_b32_e32 v3, 0x10000, v66
	s_delay_alu instid0(VALU_DEP_2) | instskip(NEXT) | instid1(VALU_DEP_2)
	v_cmp_eq_u32_e32 vcc_lo, 0, v2
	v_cndmask_b32_e32 v2, v3, v66, vcc_lo
; %bb.86:
	s_or_b32 exec_lo, exec_lo, s2
	v_and_b32_e32 v3, 0x7f800000, v67
	s_delay_alu instid0(VALU_DEP_1) | instskip(SKIP_1) | instid1(SALU_CYCLE_1)
	v_cmp_ne_u32_e32 vcc_lo, 0x7f800000, v3
                                        ; implicit-def: $vgpr3
	s_and_saveexec_b32 s2, vcc_lo
	s_xor_b32 s2, exec_lo, s2
; %bb.87:
	v_bfe_u32 v3, v67, 16, 1
	s_delay_alu instid0(VALU_DEP_1)
	v_add3_u32 v3, v67, v3, 0x7fff
; %bb.88:
	s_and_not1_saveexec_b32 s2, s2
; %bb.89:
	v_and_b32_e32 v3, 0xffff, v67
	v_or_b32_e32 v4, 0x10000, v67
	s_delay_alu instid0(VALU_DEP_2) | instskip(NEXT) | instid1(VALU_DEP_2)
	v_cmp_eq_u32_e32 vcc_lo, 0, v3
	v_cndmask_b32_e32 v3, v4, v67, vcc_lo
; %bb.90:
	s_or_b32 exec_lo, exec_lo, s2
	v_and_b32_e32 v4, 0x7f800000, v68
	s_delay_alu instid0(VALU_DEP_1) | instskip(SKIP_1) | instid1(SALU_CYCLE_1)
	v_cmp_ne_u32_e32 vcc_lo, 0x7f800000, v4
                                        ; implicit-def: $vgpr4
	s_and_saveexec_b32 s2, vcc_lo
	s_xor_b32 s2, exec_lo, s2
; %bb.91:
	v_bfe_u32 v4, v68, 16, 1
	s_delay_alu instid0(VALU_DEP_1)
	v_add3_u32 v4, v68, v4, 0x7fff
; %bb.92:
	s_and_not1_saveexec_b32 s2, s2
; %bb.93:
	v_and_b32_e32 v4, 0xffff, v68
	v_or_b32_e32 v5, 0x10000, v68
	s_delay_alu instid0(VALU_DEP_2) | instskip(NEXT) | instid1(VALU_DEP_2)
	v_cmp_eq_u32_e32 vcc_lo, 0, v4
	v_cndmask_b32_e32 v4, v5, v68, vcc_lo
; %bb.94:
	s_or_b32 exec_lo, exec_lo, s2
	v_and_b32_e32 v5, 0x7f800000, v69
	s_delay_alu instid0(VALU_DEP_1) | instskip(SKIP_1) | instid1(SALU_CYCLE_1)
	v_cmp_ne_u32_e32 vcc_lo, 0x7f800000, v5
                                        ; implicit-def: $vgpr5
	s_and_saveexec_b32 s2, vcc_lo
	s_xor_b32 s2, exec_lo, s2
; %bb.95:
	v_bfe_u32 v5, v69, 16, 1
	s_delay_alu instid0(VALU_DEP_1)
	v_add3_u32 v5, v69, v5, 0x7fff
; %bb.96:
	s_and_not1_saveexec_b32 s2, s2
; %bb.97:
	v_and_b32_e32 v5, 0xffff, v69
	v_or_b32_e32 v6, 0x10000, v69
	s_delay_alu instid0(VALU_DEP_2) | instskip(NEXT) | instid1(VALU_DEP_2)
	v_cmp_eq_u32_e32 vcc_lo, 0, v5
	v_cndmask_b32_e32 v5, v6, v69, vcc_lo
; %bb.98:
	s_or_b32 exec_lo, exec_lo, s2
	v_and_b32_e32 v6, 0x7f800000, v70
	s_delay_alu instid0(VALU_DEP_1) | instskip(SKIP_1) | instid1(SALU_CYCLE_1)
	v_cmp_ne_u32_e32 vcc_lo, 0x7f800000, v6
                                        ; implicit-def: $vgpr6
	s_and_saveexec_b32 s2, vcc_lo
	s_xor_b32 s2, exec_lo, s2
; %bb.99:
	v_bfe_u32 v6, v70, 16, 1
	s_delay_alu instid0(VALU_DEP_1)
	v_add3_u32 v6, v70, v6, 0x7fff
; %bb.100:
	s_and_not1_saveexec_b32 s2, s2
; %bb.101:
	v_and_b32_e32 v6, 0xffff, v70
	v_or_b32_e32 v7, 0x10000, v70
	s_delay_alu instid0(VALU_DEP_2) | instskip(NEXT) | instid1(VALU_DEP_2)
	v_cmp_eq_u32_e32 vcc_lo, 0, v6
	v_cndmask_b32_e32 v6, v7, v70, vcc_lo
; %bb.102:
	s_or_b32 exec_lo, exec_lo, s2
	v_and_b32_e32 v7, 0x7f800000, v71
	s_delay_alu instid0(VALU_DEP_1) | instskip(SKIP_1) | instid1(SALU_CYCLE_1)
	v_cmp_ne_u32_e32 vcc_lo, 0x7f800000, v7
                                        ; implicit-def: $vgpr7
	s_and_saveexec_b32 s2, vcc_lo
	s_xor_b32 s2, exec_lo, s2
; %bb.103:
	v_bfe_u32 v7, v71, 16, 1
	s_delay_alu instid0(VALU_DEP_1)
	v_add3_u32 v7, v71, v7, 0x7fff
; %bb.104:
	s_and_not1_saveexec_b32 s2, s2
; %bb.105:
	v_and_b32_e32 v7, 0xffff, v71
	v_or_b32_e32 v8, 0x10000, v71
	s_delay_alu instid0(VALU_DEP_2) | instskip(NEXT) | instid1(VALU_DEP_2)
	v_cmp_eq_u32_e32 vcc_lo, 0, v7
	v_cndmask_b32_e32 v7, v8, v71, vcc_lo
; %bb.106:
	s_or_b32 exec_lo, exec_lo, s2
	v_and_b32_e32 v8, 0x7f800000, v72
	s_delay_alu instid0(VALU_DEP_1) | instskip(SKIP_1) | instid1(SALU_CYCLE_1)
	v_cmp_ne_u32_e32 vcc_lo, 0x7f800000, v8
                                        ; implicit-def: $vgpr8
	s_and_saveexec_b32 s2, vcc_lo
	s_xor_b32 s2, exec_lo, s2
; %bb.107:
	v_bfe_u32 v8, v72, 16, 1
	s_delay_alu instid0(VALU_DEP_1)
	v_add3_u32 v8, v72, v8, 0x7fff
                                        ; implicit-def: $vgpr65_vgpr66_vgpr67_vgpr68_vgpr69_vgpr70_vgpr71_vgpr72
; %bb.108:
	s_and_not1_saveexec_b32 s2, s2
; %bb.109:
	v_and_b32_e32 v8, 0xffff, v72
	v_or_b32_e32 v9, 0x10000, v72
	s_delay_alu instid0(VALU_DEP_2) | instskip(NEXT) | instid1(VALU_DEP_2)
	v_cmp_eq_u32_e32 vcc_lo, 0, v8
	v_cndmask_b32_e32 v8, v9, v72, vcc_lo
; %bb.110:
	s_or_b32 exec_lo, exec_lo, s2
	s_delay_alu instid0(VALU_DEP_1)
	v_perm_b32 v7, v8, v7, 0x7060302
	v_perm_b32 v6, v6, v5, 0x7060302
	;; [unrolled: 1-line block ×4, first 2 shown]
	s_barrier
	buffer_gl0_inv
	v_cmp_eq_u32_e32 vcc_lo, 1, v78
	ds_store_b128 v76, v[4:7]
	s_waitcnt lgkmcnt(0)
	s_barrier
	buffer_gl0_inv
	ds_load_b128 v[1:4], v82
	ds_load_b128 v[5:8], v82 offset:16
	v_cmp_eq_u32_e64 s2, 1, v79
	v_cmp_eq_u32_e64 s3, 2, v78
	;; [unrolled: 1-line block ×5, first 2 shown]
	s_waitcnt lgkmcnt(1)
	v_lshrrev_b32_e32 v9, 16, v1
	s_waitcnt lgkmcnt(0)
	v_lshrrev_b32_e32 v13, 16, v5
	v_lshrrev_b32_e32 v10, 16, v2
	;; [unrolled: 1-line block ×4, first 2 shown]
	v_cndmask_b32_e64 v19, v1, v9, s2
	v_cndmask_b32_e32 v18, v5, v13, vcc_lo
	v_cndmask_b32_e64 v20, v5, v13, s2
	v_cndmask_b32_e32 v17, v1, v9, vcc_lo
	v_cmp_eq_u32_e32 vcc_lo, 2, v79
	v_lshrrev_b32_e32 v15, 16, v7
	v_cmp_eq_u32_e64 s2, 1, v77
	v_lshrrev_b32_e32 v12, 16, v4
	v_lshrrev_b32_e32 v16, 16, v8
	v_cndmask_b32_e32 v20, v20, v6, vcc_lo
	v_cndmask_b32_e64 v17, v17, v2, s3
	v_cndmask_b32_e32 v19, v19, v2, vcc_lo
	v_cndmask_b32_e64 v18, v18, v6, s3
	v_cmp_eq_u32_e32 vcc_lo, 4, v78
	v_cmp_eq_u32_e64 s3, 3, v79
	v_cndmask_b32_e64 v17, v17, v10, s4
	v_cndmask_b32_e64 v21, v1, v9, s2
	;; [unrolled: 1-line block ×5, first 2 shown]
	v_cndmask_b32_e32 v17, v17, v3, vcc_lo
	v_cndmask_b32_e64 v20, v20, v14, s3
	v_cndmask_b32_e32 v18, v18, v7, vcc_lo
	v_cmp_eq_u32_e32 vcc_lo, 4, v79
	v_cmp_eq_u32_e64 s3, 5, v79
	v_cmp_eq_u32_e64 s2, 2, v81
	v_cndmask_b32_e64 v21, v21, v2, s6
	v_cmp_eq_u32_e64 s4, 5, v78
	v_cndmask_b32_e32 v19, v19, v3, vcc_lo
	v_cndmask_b32_e32 v20, v20, v7, vcc_lo
	v_cmp_eq_u32_e32 vcc_lo, 6, v79
	s_delay_alu instid0(VALU_DEP_4) | instskip(NEXT) | instid1(VALU_DEP_4)
	v_cndmask_b32_e64 v17, v17, v11, s4
	v_cndmask_b32_e64 v19, v19, v11, s3
	s_delay_alu instid0(VALU_DEP_4) | instskip(SKIP_1) | instid1(VALU_DEP_3)
	v_cndmask_b32_e64 v20, v20, v15, s3
	v_cmp_eq_u32_e64 s3, 1, v81
	v_cndmask_b32_e32 v19, v19, v4, vcc_lo
	v_cndmask_b32_e64 v18, v18, v15, s4
	s_delay_alu instid0(VALU_DEP_3)
	v_cndmask_b32_e64 v1, v1, v9, s3
	v_cndmask_b32_e64 v5, v5, v13, s3
	v_cmp_eq_u32_e64 s3, 3, v77
	v_cndmask_b32_e64 v13, v22, v6, s6
	v_cmp_eq_u32_e64 s6, 3, v81
	v_cndmask_b32_e64 v1, v1, v2, s2
	v_cndmask_b32_e64 v2, v5, v6, s2
	;; [unrolled: 1-line block ×3, first 2 shown]
	v_cmp_eq_u32_e64 s2, 4, v77
	v_cndmask_b32_e64 v6, v13, v14, s3
	v_cndmask_b32_e64 v1, v1, v10, s6
	v_cmp_eq_u32_e64 s3, 4, v81
	v_cndmask_b32_e64 v2, v2, v14, s6
	v_cndmask_b32_e64 v5, v9, v3, s2
	;; [unrolled: 3-line block ×3, first 2 shown]
	v_cndmask_b32_e64 v2, v2, v7, s3
	v_cmp_eq_u32_e64 s2, 5, v81
	v_cmp_eq_u32_e64 s4, 6, v78
	v_cndmask_b32_e64 v5, v5, v11, s6
	v_cmp_eq_u32_e64 s3, 6, v77
	v_cndmask_b32_e64 v3, v6, v15, s6
	v_cndmask_b32_e64 v1, v1, v11, s2
	v_cmp_eq_u32_e64 s6, 6, v81
	v_cndmask_b32_e64 v2, v2, v15, s2
	v_cndmask_b32_e64 v17, v17, v4, s4
	v_cndmask_b32_e64 v18, v18, v8, s4
	v_cmp_eq_u32_e64 s4, 7, v78
	v_cndmask_b32_e64 v5, v5, v4, s3
	;; [unrolled: 4-line block ×3, first 2 shown]
	v_cmp_eq_u32_e64 s3, 7, v77
	v_cndmask_b32_e32 v4, v20, v8, vcc_lo
	v_cndmask_b32_e64 v17, v17, v12, s4
	v_cndmask_b32_e64 v19, v19, v12, s5
	;; [unrolled: 1-line block ×8, first 2 shown]
	s_mov_b32 s2, exec_lo
	v_perm_b32 v4, v2, v1, 0x5040100
	v_perm_b32 v3, v3, v5, 0x5040100
	v_perm_b32 v2, v6, v19, 0x5040100
	v_perm_b32 v1, v7, v17, 0x5040100
	ds_store_b128 v76, v[1:4]
	s_waitcnt lgkmcnt(0)
	s_barrier
	buffer_gl0_inv
	v_cmpx_gt_u32_e32 32, v0
	s_cbranch_execz .LBB1525_2
; %bb.111:
	s_load_b64 s[0:1], s[0:1], 0x68
	v_lshlrev_b32_e32 v0, 10, v0
	v_or_b32_e32 v1, s29, v74
	s_lshl_b32 s4, s34, 7
	v_lshlrev_b32_e32 v2, 4, v75
	s_mul_i32 s2, s4, s30
	v_lshlrev_b32_e32 v3, 6, v74
	v_mul_lo_u32 v8, v1, s4
	v_and_b32_e32 v0, 0x3800, v0
	v_or_b32_e32 v1, 2, v1
	s_mul_i32 s2, s2, s7
	s_delay_alu instid0(SALU_CYCLE_1) | instskip(NEXT) | instid1(VALU_DEP_2)
	s_ashr_i32 s3, s2, 31
	v_or3_b32 v4, v0, v2, v3
	s_lshl_b64 s[2:3], s[2:3], 1
	v_mul_lo_u32 v10, v1, s4
	v_ashrrev_i32_e32 v9, 31, v8
	ds_load_b128 v[0:3], v4
	ds_load_b128 v[4:7], v4 offset:128
	s_waitcnt lgkmcnt(0)
	s_add_u32 s2, s0, s2
	s_addc_u32 s3, s1, s3
	s_lshl_b32 s0, s14, 7
	v_ashrrev_i32_e32 v11, 31, v10
	s_ashr_i32 s1, s0, 31
	v_lshlrev_b64 v[8:9], 1, v[8:9]
	s_lshl_b64 s[0:1], s[0:1], 1
	s_delay_alu instid0(SALU_CYCLE_1) | instskip(SKIP_2) | instid1(VALU_DEP_1)
	s_add_u32 s0, s2, s0
	s_addc_u32 s1, s3, s1
	v_add_co_u32 v12, s0, s0, v73
	v_add_co_ci_u32_e64 v13, null, s1, 0, s0
	v_lshlrev_b64 v[10:11], 1, v[10:11]
	s_delay_alu instid0(VALU_DEP_3) | instskip(NEXT) | instid1(VALU_DEP_3)
	v_add_co_u32 v8, vcc_lo, v12, v8
	v_add_co_ci_u32_e32 v9, vcc_lo, v13, v9, vcc_lo
	s_delay_alu instid0(VALU_DEP_3) | instskip(NEXT) | instid1(VALU_DEP_4)
	v_add_co_u32 v10, vcc_lo, v12, v10
	v_add_co_ci_u32_e32 v11, vcc_lo, v13, v11, vcc_lo
	s_clause 0x1
	global_store_b128 v[8:9], v[0:3], off
	global_store_b128 v[10:11], v[4:7], off
	s_nop 0
	s_sendmsg sendmsg(MSG_DEALLOC_VGPRS)
	s_endpgm
	.section	.rodata,"a",@progbits
	.p2align	6, 0x0
	.amdhsa_kernel _Z39paged_attention_ll4mi_QKV_mfma16_kernelI14__hip_bfloat16hLN4vllm18Fp8KVCacheDataTypeE1EhLi16ELi128ELi256ELb1ELi4EL8MFMAType1EEvPKT_PKT0_S9_ifPKiSB_SB_iPKfiiiPfSE_PS4_PT2_iSD_SD_
		.amdhsa_group_segment_fixed_size 17472
		.amdhsa_private_segment_fixed_size 0
		.amdhsa_kernarg_size 400
		.amdhsa_user_sgpr_count 13
		.amdhsa_user_sgpr_dispatch_ptr 0
		.amdhsa_user_sgpr_queue_ptr 0
		.amdhsa_user_sgpr_kernarg_segment_ptr 1
		.amdhsa_user_sgpr_dispatch_id 0
		.amdhsa_user_sgpr_private_segment_size 0
		.amdhsa_wavefront_size32 1
		.amdhsa_uses_dynamic_stack 0
		.amdhsa_enable_private_segment 0
		.amdhsa_system_sgpr_workgroup_id_x 1
		.amdhsa_system_sgpr_workgroup_id_y 1
		.amdhsa_system_sgpr_workgroup_id_z 1
		.amdhsa_system_sgpr_workgroup_info 0
		.amdhsa_system_vgpr_workitem_id 0
		.amdhsa_next_free_vgpr 140
		.amdhsa_next_free_sgpr 36
		.amdhsa_reserve_vcc 1
		.amdhsa_float_round_mode_32 0
		.amdhsa_float_round_mode_16_64 0
		.amdhsa_float_denorm_mode_32 3
		.amdhsa_float_denorm_mode_16_64 3
		.amdhsa_dx10_clamp 1
		.amdhsa_ieee_mode 1
		.amdhsa_fp16_overflow 0
		.amdhsa_workgroup_processor_mode 1
		.amdhsa_memory_ordered 1
		.amdhsa_forward_progress 0
		.amdhsa_shared_vgpr_count 0
		.amdhsa_exception_fp_ieee_invalid_op 0
		.amdhsa_exception_fp_denorm_src 0
		.amdhsa_exception_fp_ieee_div_zero 0
		.amdhsa_exception_fp_ieee_overflow 0
		.amdhsa_exception_fp_ieee_underflow 0
		.amdhsa_exception_fp_ieee_inexact 0
		.amdhsa_exception_int_div_zero 0
	.end_amdhsa_kernel
	.section	.text._Z39paged_attention_ll4mi_QKV_mfma16_kernelI14__hip_bfloat16hLN4vllm18Fp8KVCacheDataTypeE1EhLi16ELi128ELi256ELb1ELi4EL8MFMAType1EEvPKT_PKT0_S9_ifPKiSB_SB_iPKfiiiPfSE_PS4_PT2_iSD_SD_,"axG",@progbits,_Z39paged_attention_ll4mi_QKV_mfma16_kernelI14__hip_bfloat16hLN4vllm18Fp8KVCacheDataTypeE1EhLi16ELi128ELi256ELb1ELi4EL8MFMAType1EEvPKT_PKT0_S9_ifPKiSB_SB_iPKfiiiPfSE_PS4_PT2_iSD_SD_,comdat
.Lfunc_end1525:
	.size	_Z39paged_attention_ll4mi_QKV_mfma16_kernelI14__hip_bfloat16hLN4vllm18Fp8KVCacheDataTypeE1EhLi16ELi128ELi256ELb1ELi4EL8MFMAType1EEvPKT_PKT0_S9_ifPKiSB_SB_iPKfiiiPfSE_PS4_PT2_iSD_SD_, .Lfunc_end1525-_Z39paged_attention_ll4mi_QKV_mfma16_kernelI14__hip_bfloat16hLN4vllm18Fp8KVCacheDataTypeE1EhLi16ELi128ELi256ELb1ELi4EL8MFMAType1EEvPKT_PKT0_S9_ifPKiSB_SB_iPKfiiiPfSE_PS4_PT2_iSD_SD_
                                        ; -- End function
	.section	.AMDGPU.csdata,"",@progbits
; Kernel info:
; codeLenInByte = 8732
; NumSgprs: 38
; NumVgprs: 140
; ScratchSize: 0
; MemoryBound: 0
; FloatMode: 240
; IeeeMode: 1
; LDSByteSize: 17472 bytes/workgroup (compile time only)
; SGPRBlocks: 4
; VGPRBlocks: 17
; NumSGPRsForWavesPerEU: 38
; NumVGPRsForWavesPerEU: 140
; Occupancy: 10
; WaveLimiterHint : 1
; COMPUTE_PGM_RSRC2:SCRATCH_EN: 0
; COMPUTE_PGM_RSRC2:USER_SGPR: 13
; COMPUTE_PGM_RSRC2:TRAP_HANDLER: 0
; COMPUTE_PGM_RSRC2:TGID_X_EN: 1
; COMPUTE_PGM_RSRC2:TGID_Y_EN: 1
; COMPUTE_PGM_RSRC2:TGID_Z_EN: 1
; COMPUTE_PGM_RSRC2:TIDIG_COMP_CNT: 0
	.section	.text._Z38paged_attention_ll4mi_QKV_mfma4_kernelI14__hip_bfloat16hLN4vllm18Fp8KVCacheDataTypeE1EhLi16ELi128ELi256ELb0ELi1EEvPKT_PKT0_S8_ifPKiSA_SA_iPKfiiiPfSD_PS3_PT2_iSC_SC_,"axG",@progbits,_Z38paged_attention_ll4mi_QKV_mfma4_kernelI14__hip_bfloat16hLN4vllm18Fp8KVCacheDataTypeE1EhLi16ELi128ELi256ELb0ELi1EEvPKT_PKT0_S8_ifPKiSA_SA_iPKfiiiPfSD_PS3_PT2_iSC_SC_,comdat
	.protected	_Z38paged_attention_ll4mi_QKV_mfma4_kernelI14__hip_bfloat16hLN4vllm18Fp8KVCacheDataTypeE1EhLi16ELi128ELi256ELb0ELi1EEvPKT_PKT0_S8_ifPKiSA_SA_iPKfiiiPfSD_PS3_PT2_iSC_SC_ ; -- Begin function _Z38paged_attention_ll4mi_QKV_mfma4_kernelI14__hip_bfloat16hLN4vllm18Fp8KVCacheDataTypeE1EhLi16ELi128ELi256ELb0ELi1EEvPKT_PKT0_S8_ifPKiSA_SA_iPKfiiiPfSD_PS3_PT2_iSC_SC_
	.globl	_Z38paged_attention_ll4mi_QKV_mfma4_kernelI14__hip_bfloat16hLN4vllm18Fp8KVCacheDataTypeE1EhLi16ELi128ELi256ELb0ELi1EEvPKT_PKT0_S8_ifPKiSA_SA_iPKfiiiPfSD_PS3_PT2_iSC_SC_
	.p2align	8
	.type	_Z38paged_attention_ll4mi_QKV_mfma4_kernelI14__hip_bfloat16hLN4vllm18Fp8KVCacheDataTypeE1EhLi16ELi128ELi256ELb0ELi1EEvPKT_PKT0_S8_ifPKiSA_SA_iPKfiiiPfSD_PS3_PT2_iSC_SC_,@function
_Z38paged_attention_ll4mi_QKV_mfma4_kernelI14__hip_bfloat16hLN4vllm18Fp8KVCacheDataTypeE1EhLi16ELi128ELi256ELb0ELi1EEvPKT_PKT0_S8_ifPKiSA_SA_iPKfiiiPfSD_PS3_PT2_iSC_SC_: ; @_Z38paged_attention_ll4mi_QKV_mfma4_kernelI14__hip_bfloat16hLN4vllm18Fp8KVCacheDataTypeE1EhLi16ELi128ELi256ELb0ELi1EEvPKT_PKT0_S8_ifPKiSA_SA_iPKfiiiPfSD_PS3_PT2_iSC_SC_
; %bb.0:
	s_add_u32 s8, s0, 0x90
	s_addc_u32 s9, s1, 0
	s_getpc_b64 s[0:1]
	s_add_u32 s0, s0, __PRETTY_FUNCTION__._Z38paged_attention_ll4mi_QKV_mfma4_kernelI14__hip_bfloat16hLN4vllm18Fp8KVCacheDataTypeE1EhLi16ELi128ELi256ELb0ELi1EEvPKT_PKT0_S8_ifPKiSA_SA_iPKfiiiPfSD_PS3_PT2_iSC_SC_@rel32@lo+4
	s_addc_u32 s1, s1, __PRETTY_FUNCTION__._Z38paged_attention_ll4mi_QKV_mfma4_kernelI14__hip_bfloat16hLN4vllm18Fp8KVCacheDataTypeE1EhLi16ELi128ELi256ELb0ELi1EEvPKT_PKT0_S8_ifPKiSA_SA_iPKfiiiPfSD_PS3_PT2_iSC_SC_@rel32@hi+12
	s_delay_alu instid0(SALU_CYCLE_1) | instskip(SKIP_4) | instid1(SALU_CYCLE_1)
	v_dual_mov_b32 v0, s0 :: v_dual_mov_b32 v1, s1
	s_mov_b32 s32, 0
	s_getpc_b64 s[2:3]
	s_add_u32 s2, s2, __assert_fail@rel32@lo+4
	s_addc_u32 s3, s3, __assert_fail@rel32@hi+12
	s_swappc_b64 s[30:31], s[2:3]
	.section	.rodata,"a",@progbits
	.p2align	6, 0x0
	.amdhsa_kernel _Z38paged_attention_ll4mi_QKV_mfma4_kernelI14__hip_bfloat16hLN4vllm18Fp8KVCacheDataTypeE1EhLi16ELi128ELi256ELb0ELi1EEvPKT_PKT0_S8_ifPKiSA_SA_iPKfiiiPfSD_PS3_PT2_iSC_SC_
		.amdhsa_group_segment_fixed_size 0
		.amdhsa_private_segment_fixed_size 64
		.amdhsa_kernarg_size 400
		.amdhsa_user_sgpr_count 15
		.amdhsa_user_sgpr_dispatch_ptr 0
		.amdhsa_user_sgpr_queue_ptr 0
		.amdhsa_user_sgpr_kernarg_segment_ptr 1
		.amdhsa_user_sgpr_dispatch_id 0
		.amdhsa_user_sgpr_private_segment_size 0
		.amdhsa_wavefront_size32 1
		.amdhsa_uses_dynamic_stack 0
		.amdhsa_enable_private_segment 1
		.amdhsa_system_sgpr_workgroup_id_x 1
		.amdhsa_system_sgpr_workgroup_id_y 0
		.amdhsa_system_sgpr_workgroup_id_z 0
		.amdhsa_system_sgpr_workgroup_info 0
		.amdhsa_system_vgpr_workitem_id 0
		.amdhsa_next_free_vgpr 41
		.amdhsa_next_free_sgpr 34
		.amdhsa_reserve_vcc 1
		.amdhsa_float_round_mode_32 0
		.amdhsa_float_round_mode_16_64 0
		.amdhsa_float_denorm_mode_32 3
		.amdhsa_float_denorm_mode_16_64 3
		.amdhsa_dx10_clamp 1
		.amdhsa_ieee_mode 1
		.amdhsa_fp16_overflow 0
		.amdhsa_workgroup_processor_mode 1
		.amdhsa_memory_ordered 1
		.amdhsa_forward_progress 0
		.amdhsa_shared_vgpr_count 0
		.amdhsa_exception_fp_ieee_invalid_op 0
		.amdhsa_exception_fp_denorm_src 0
		.amdhsa_exception_fp_ieee_div_zero 0
		.amdhsa_exception_fp_ieee_overflow 0
		.amdhsa_exception_fp_ieee_underflow 0
		.amdhsa_exception_fp_ieee_inexact 0
		.amdhsa_exception_int_div_zero 0
	.end_amdhsa_kernel
	.section	.text._Z38paged_attention_ll4mi_QKV_mfma4_kernelI14__hip_bfloat16hLN4vllm18Fp8KVCacheDataTypeE1EhLi16ELi128ELi256ELb0ELi1EEvPKT_PKT0_S8_ifPKiSA_SA_iPKfiiiPfSD_PS3_PT2_iSC_SC_,"axG",@progbits,_Z38paged_attention_ll4mi_QKV_mfma4_kernelI14__hip_bfloat16hLN4vllm18Fp8KVCacheDataTypeE1EhLi16ELi128ELi256ELb0ELi1EEvPKT_PKT0_S8_ifPKiSA_SA_iPKfiiiPfSD_PS3_PT2_iSC_SC_,comdat
.Lfunc_end1526:
	.size	_Z38paged_attention_ll4mi_QKV_mfma4_kernelI14__hip_bfloat16hLN4vllm18Fp8KVCacheDataTypeE1EhLi16ELi128ELi256ELb0ELi1EEvPKT_PKT0_S8_ifPKiSA_SA_iPKfiiiPfSD_PS3_PT2_iSC_SC_, .Lfunc_end1526-_Z38paged_attention_ll4mi_QKV_mfma4_kernelI14__hip_bfloat16hLN4vllm18Fp8KVCacheDataTypeE1EhLi16ELi128ELi256ELb0ELi1EEvPKT_PKT0_S8_ifPKiSA_SA_iPKfiiiPfSD_PS3_PT2_iSC_SC_
                                        ; -- End function
	.section	.AMDGPU.csdata,"",@progbits
; Kernel info:
; codeLenInByte = 72
; NumSgprs: 36
; NumVgprs: 41
; ScratchSize: 64
; MemoryBound: 0
; FloatMode: 240
; IeeeMode: 1
; LDSByteSize: 0 bytes/workgroup (compile time only)
; SGPRBlocks: 4
; VGPRBlocks: 5
; NumSGPRsForWavesPerEU: 36
; NumVGPRsForWavesPerEU: 41
; Occupancy: 16
; WaveLimiterHint : 1
; COMPUTE_PGM_RSRC2:SCRATCH_EN: 1
; COMPUTE_PGM_RSRC2:USER_SGPR: 15
; COMPUTE_PGM_RSRC2:TRAP_HANDLER: 0
; COMPUTE_PGM_RSRC2:TGID_X_EN: 1
; COMPUTE_PGM_RSRC2:TGID_Y_EN: 0
; COMPUTE_PGM_RSRC2:TGID_Z_EN: 0
; COMPUTE_PGM_RSRC2:TIDIG_COMP_CNT: 0
	.section	.text._Z38paged_attention_ll4mi_QKV_mfma4_kernelI14__hip_bfloat16hLN4vllm18Fp8KVCacheDataTypeE1EhLi16ELi128ELi256ELb0ELi2EEvPKT_PKT0_S8_ifPKiSA_SA_iPKfiiiPfSD_PS3_PT2_iSC_SC_,"axG",@progbits,_Z38paged_attention_ll4mi_QKV_mfma4_kernelI14__hip_bfloat16hLN4vllm18Fp8KVCacheDataTypeE1EhLi16ELi128ELi256ELb0ELi2EEvPKT_PKT0_S8_ifPKiSA_SA_iPKfiiiPfSD_PS3_PT2_iSC_SC_,comdat
	.protected	_Z38paged_attention_ll4mi_QKV_mfma4_kernelI14__hip_bfloat16hLN4vllm18Fp8KVCacheDataTypeE1EhLi16ELi128ELi256ELb0ELi2EEvPKT_PKT0_S8_ifPKiSA_SA_iPKfiiiPfSD_PS3_PT2_iSC_SC_ ; -- Begin function _Z38paged_attention_ll4mi_QKV_mfma4_kernelI14__hip_bfloat16hLN4vllm18Fp8KVCacheDataTypeE1EhLi16ELi128ELi256ELb0ELi2EEvPKT_PKT0_S8_ifPKiSA_SA_iPKfiiiPfSD_PS3_PT2_iSC_SC_
	.globl	_Z38paged_attention_ll4mi_QKV_mfma4_kernelI14__hip_bfloat16hLN4vllm18Fp8KVCacheDataTypeE1EhLi16ELi128ELi256ELb0ELi2EEvPKT_PKT0_S8_ifPKiSA_SA_iPKfiiiPfSD_PS3_PT2_iSC_SC_
	.p2align	8
	.type	_Z38paged_attention_ll4mi_QKV_mfma4_kernelI14__hip_bfloat16hLN4vllm18Fp8KVCacheDataTypeE1EhLi16ELi128ELi256ELb0ELi2EEvPKT_PKT0_S8_ifPKiSA_SA_iPKfiiiPfSD_PS3_PT2_iSC_SC_,@function
_Z38paged_attention_ll4mi_QKV_mfma4_kernelI14__hip_bfloat16hLN4vllm18Fp8KVCacheDataTypeE1EhLi16ELi128ELi256ELb0ELi2EEvPKT_PKT0_S8_ifPKiSA_SA_iPKfiiiPfSD_PS3_PT2_iSC_SC_: ; @_Z38paged_attention_ll4mi_QKV_mfma4_kernelI14__hip_bfloat16hLN4vllm18Fp8KVCacheDataTypeE1EhLi16ELi128ELi256ELb0ELi2EEvPKT_PKT0_S8_ifPKiSA_SA_iPKfiiiPfSD_PS3_PT2_iSC_SC_
; %bb.0:
	s_add_u32 s8, s0, 0x90
	s_addc_u32 s9, s1, 0
	s_getpc_b64 s[0:1]
	s_add_u32 s0, s0, __PRETTY_FUNCTION__._Z38paged_attention_ll4mi_QKV_mfma4_kernelI14__hip_bfloat16hLN4vllm18Fp8KVCacheDataTypeE1EhLi16ELi128ELi256ELb0ELi2EEvPKT_PKT0_S8_ifPKiSA_SA_iPKfiiiPfSD_PS3_PT2_iSC_SC_@rel32@lo+4
	s_addc_u32 s1, s1, __PRETTY_FUNCTION__._Z38paged_attention_ll4mi_QKV_mfma4_kernelI14__hip_bfloat16hLN4vllm18Fp8KVCacheDataTypeE1EhLi16ELi128ELi256ELb0ELi2EEvPKT_PKT0_S8_ifPKiSA_SA_iPKfiiiPfSD_PS3_PT2_iSC_SC_@rel32@hi+12
	s_delay_alu instid0(SALU_CYCLE_1) | instskip(SKIP_4) | instid1(SALU_CYCLE_1)
	v_dual_mov_b32 v0, s0 :: v_dual_mov_b32 v1, s1
	s_mov_b32 s32, 0
	s_getpc_b64 s[2:3]
	s_add_u32 s2, s2, __assert_fail@rel32@lo+4
	s_addc_u32 s3, s3, __assert_fail@rel32@hi+12
	s_swappc_b64 s[30:31], s[2:3]
	.section	.rodata,"a",@progbits
	.p2align	6, 0x0
	.amdhsa_kernel _Z38paged_attention_ll4mi_QKV_mfma4_kernelI14__hip_bfloat16hLN4vllm18Fp8KVCacheDataTypeE1EhLi16ELi128ELi256ELb0ELi2EEvPKT_PKT0_S8_ifPKiSA_SA_iPKfiiiPfSD_PS3_PT2_iSC_SC_
		.amdhsa_group_segment_fixed_size 0
		.amdhsa_private_segment_fixed_size 64
		.amdhsa_kernarg_size 400
		.amdhsa_user_sgpr_count 15
		.amdhsa_user_sgpr_dispatch_ptr 0
		.amdhsa_user_sgpr_queue_ptr 0
		.amdhsa_user_sgpr_kernarg_segment_ptr 1
		.amdhsa_user_sgpr_dispatch_id 0
		.amdhsa_user_sgpr_private_segment_size 0
		.amdhsa_wavefront_size32 1
		.amdhsa_uses_dynamic_stack 0
		.amdhsa_enable_private_segment 1
		.amdhsa_system_sgpr_workgroup_id_x 1
		.amdhsa_system_sgpr_workgroup_id_y 0
		.amdhsa_system_sgpr_workgroup_id_z 0
		.amdhsa_system_sgpr_workgroup_info 0
		.amdhsa_system_vgpr_workitem_id 0
		.amdhsa_next_free_vgpr 41
		.amdhsa_next_free_sgpr 34
		.amdhsa_reserve_vcc 1
		.amdhsa_float_round_mode_32 0
		.amdhsa_float_round_mode_16_64 0
		.amdhsa_float_denorm_mode_32 3
		.amdhsa_float_denorm_mode_16_64 3
		.amdhsa_dx10_clamp 1
		.amdhsa_ieee_mode 1
		.amdhsa_fp16_overflow 0
		.amdhsa_workgroup_processor_mode 1
		.amdhsa_memory_ordered 1
		.amdhsa_forward_progress 0
		.amdhsa_shared_vgpr_count 0
		.amdhsa_exception_fp_ieee_invalid_op 0
		.amdhsa_exception_fp_denorm_src 0
		.amdhsa_exception_fp_ieee_div_zero 0
		.amdhsa_exception_fp_ieee_overflow 0
		.amdhsa_exception_fp_ieee_underflow 0
		.amdhsa_exception_fp_ieee_inexact 0
		.amdhsa_exception_int_div_zero 0
	.end_amdhsa_kernel
	.section	.text._Z38paged_attention_ll4mi_QKV_mfma4_kernelI14__hip_bfloat16hLN4vllm18Fp8KVCacheDataTypeE1EhLi16ELi128ELi256ELb0ELi2EEvPKT_PKT0_S8_ifPKiSA_SA_iPKfiiiPfSD_PS3_PT2_iSC_SC_,"axG",@progbits,_Z38paged_attention_ll4mi_QKV_mfma4_kernelI14__hip_bfloat16hLN4vllm18Fp8KVCacheDataTypeE1EhLi16ELi128ELi256ELb0ELi2EEvPKT_PKT0_S8_ifPKiSA_SA_iPKfiiiPfSD_PS3_PT2_iSC_SC_,comdat
.Lfunc_end1527:
	.size	_Z38paged_attention_ll4mi_QKV_mfma4_kernelI14__hip_bfloat16hLN4vllm18Fp8KVCacheDataTypeE1EhLi16ELi128ELi256ELb0ELi2EEvPKT_PKT0_S8_ifPKiSA_SA_iPKfiiiPfSD_PS3_PT2_iSC_SC_, .Lfunc_end1527-_Z38paged_attention_ll4mi_QKV_mfma4_kernelI14__hip_bfloat16hLN4vllm18Fp8KVCacheDataTypeE1EhLi16ELi128ELi256ELb0ELi2EEvPKT_PKT0_S8_ifPKiSA_SA_iPKfiiiPfSD_PS3_PT2_iSC_SC_
                                        ; -- End function
	.section	.AMDGPU.csdata,"",@progbits
; Kernel info:
; codeLenInByte = 72
; NumSgprs: 36
; NumVgprs: 41
; ScratchSize: 64
; MemoryBound: 0
; FloatMode: 240
; IeeeMode: 1
; LDSByteSize: 0 bytes/workgroup (compile time only)
; SGPRBlocks: 4
; VGPRBlocks: 5
; NumSGPRsForWavesPerEU: 36
; NumVGPRsForWavesPerEU: 41
; Occupancy: 16
; WaveLimiterHint : 1
; COMPUTE_PGM_RSRC2:SCRATCH_EN: 1
; COMPUTE_PGM_RSRC2:USER_SGPR: 15
; COMPUTE_PGM_RSRC2:TRAP_HANDLER: 0
; COMPUTE_PGM_RSRC2:TGID_X_EN: 1
; COMPUTE_PGM_RSRC2:TGID_Y_EN: 0
; COMPUTE_PGM_RSRC2:TGID_Z_EN: 0
; COMPUTE_PGM_RSRC2:TIDIG_COMP_CNT: 0
	.section	.text._Z38paged_attention_ll4mi_QKV_mfma4_kernelI14__hip_bfloat16hLN4vllm18Fp8KVCacheDataTypeE1EhLi16ELi128ELi256ELb0ELi3EEvPKT_PKT0_S8_ifPKiSA_SA_iPKfiiiPfSD_PS3_PT2_iSC_SC_,"axG",@progbits,_Z38paged_attention_ll4mi_QKV_mfma4_kernelI14__hip_bfloat16hLN4vllm18Fp8KVCacheDataTypeE1EhLi16ELi128ELi256ELb0ELi3EEvPKT_PKT0_S8_ifPKiSA_SA_iPKfiiiPfSD_PS3_PT2_iSC_SC_,comdat
	.protected	_Z38paged_attention_ll4mi_QKV_mfma4_kernelI14__hip_bfloat16hLN4vllm18Fp8KVCacheDataTypeE1EhLi16ELi128ELi256ELb0ELi3EEvPKT_PKT0_S8_ifPKiSA_SA_iPKfiiiPfSD_PS3_PT2_iSC_SC_ ; -- Begin function _Z38paged_attention_ll4mi_QKV_mfma4_kernelI14__hip_bfloat16hLN4vllm18Fp8KVCacheDataTypeE1EhLi16ELi128ELi256ELb0ELi3EEvPKT_PKT0_S8_ifPKiSA_SA_iPKfiiiPfSD_PS3_PT2_iSC_SC_
	.globl	_Z38paged_attention_ll4mi_QKV_mfma4_kernelI14__hip_bfloat16hLN4vllm18Fp8KVCacheDataTypeE1EhLi16ELi128ELi256ELb0ELi3EEvPKT_PKT0_S8_ifPKiSA_SA_iPKfiiiPfSD_PS3_PT2_iSC_SC_
	.p2align	8
	.type	_Z38paged_attention_ll4mi_QKV_mfma4_kernelI14__hip_bfloat16hLN4vllm18Fp8KVCacheDataTypeE1EhLi16ELi128ELi256ELb0ELi3EEvPKT_PKT0_S8_ifPKiSA_SA_iPKfiiiPfSD_PS3_PT2_iSC_SC_,@function
_Z38paged_attention_ll4mi_QKV_mfma4_kernelI14__hip_bfloat16hLN4vllm18Fp8KVCacheDataTypeE1EhLi16ELi128ELi256ELb0ELi3EEvPKT_PKT0_S8_ifPKiSA_SA_iPKfiiiPfSD_PS3_PT2_iSC_SC_: ; @_Z38paged_attention_ll4mi_QKV_mfma4_kernelI14__hip_bfloat16hLN4vllm18Fp8KVCacheDataTypeE1EhLi16ELi128ELi256ELb0ELi3EEvPKT_PKT0_S8_ifPKiSA_SA_iPKfiiiPfSD_PS3_PT2_iSC_SC_
; %bb.0:
	s_add_u32 s8, s0, 0x90
	s_addc_u32 s9, s1, 0
	s_getpc_b64 s[0:1]
	s_add_u32 s0, s0, __PRETTY_FUNCTION__._Z38paged_attention_ll4mi_QKV_mfma4_kernelI14__hip_bfloat16hLN4vllm18Fp8KVCacheDataTypeE1EhLi16ELi128ELi256ELb0ELi3EEvPKT_PKT0_S8_ifPKiSA_SA_iPKfiiiPfSD_PS3_PT2_iSC_SC_@rel32@lo+4
	s_addc_u32 s1, s1, __PRETTY_FUNCTION__._Z38paged_attention_ll4mi_QKV_mfma4_kernelI14__hip_bfloat16hLN4vllm18Fp8KVCacheDataTypeE1EhLi16ELi128ELi256ELb0ELi3EEvPKT_PKT0_S8_ifPKiSA_SA_iPKfiiiPfSD_PS3_PT2_iSC_SC_@rel32@hi+12
	s_delay_alu instid0(SALU_CYCLE_1) | instskip(SKIP_4) | instid1(SALU_CYCLE_1)
	v_dual_mov_b32 v0, s0 :: v_dual_mov_b32 v1, s1
	s_mov_b32 s32, 0
	s_getpc_b64 s[2:3]
	s_add_u32 s2, s2, __assert_fail@rel32@lo+4
	s_addc_u32 s3, s3, __assert_fail@rel32@hi+12
	s_swappc_b64 s[30:31], s[2:3]
	.section	.rodata,"a",@progbits
	.p2align	6, 0x0
	.amdhsa_kernel _Z38paged_attention_ll4mi_QKV_mfma4_kernelI14__hip_bfloat16hLN4vllm18Fp8KVCacheDataTypeE1EhLi16ELi128ELi256ELb0ELi3EEvPKT_PKT0_S8_ifPKiSA_SA_iPKfiiiPfSD_PS3_PT2_iSC_SC_
		.amdhsa_group_segment_fixed_size 0
		.amdhsa_private_segment_fixed_size 64
		.amdhsa_kernarg_size 400
		.amdhsa_user_sgpr_count 15
		.amdhsa_user_sgpr_dispatch_ptr 0
		.amdhsa_user_sgpr_queue_ptr 0
		.amdhsa_user_sgpr_kernarg_segment_ptr 1
		.amdhsa_user_sgpr_dispatch_id 0
		.amdhsa_user_sgpr_private_segment_size 0
		.amdhsa_wavefront_size32 1
		.amdhsa_uses_dynamic_stack 0
		.amdhsa_enable_private_segment 1
		.amdhsa_system_sgpr_workgroup_id_x 1
		.amdhsa_system_sgpr_workgroup_id_y 0
		.amdhsa_system_sgpr_workgroup_id_z 0
		.amdhsa_system_sgpr_workgroup_info 0
		.amdhsa_system_vgpr_workitem_id 0
		.amdhsa_next_free_vgpr 41
		.amdhsa_next_free_sgpr 34
		.amdhsa_reserve_vcc 1
		.amdhsa_float_round_mode_32 0
		.amdhsa_float_round_mode_16_64 0
		.amdhsa_float_denorm_mode_32 3
		.amdhsa_float_denorm_mode_16_64 3
		.amdhsa_dx10_clamp 1
		.amdhsa_ieee_mode 1
		.amdhsa_fp16_overflow 0
		.amdhsa_workgroup_processor_mode 1
		.amdhsa_memory_ordered 1
		.amdhsa_forward_progress 0
		.amdhsa_shared_vgpr_count 0
		.amdhsa_exception_fp_ieee_invalid_op 0
		.amdhsa_exception_fp_denorm_src 0
		.amdhsa_exception_fp_ieee_div_zero 0
		.amdhsa_exception_fp_ieee_overflow 0
		.amdhsa_exception_fp_ieee_underflow 0
		.amdhsa_exception_fp_ieee_inexact 0
		.amdhsa_exception_int_div_zero 0
	.end_amdhsa_kernel
	.section	.text._Z38paged_attention_ll4mi_QKV_mfma4_kernelI14__hip_bfloat16hLN4vllm18Fp8KVCacheDataTypeE1EhLi16ELi128ELi256ELb0ELi3EEvPKT_PKT0_S8_ifPKiSA_SA_iPKfiiiPfSD_PS3_PT2_iSC_SC_,"axG",@progbits,_Z38paged_attention_ll4mi_QKV_mfma4_kernelI14__hip_bfloat16hLN4vllm18Fp8KVCacheDataTypeE1EhLi16ELi128ELi256ELb0ELi3EEvPKT_PKT0_S8_ifPKiSA_SA_iPKfiiiPfSD_PS3_PT2_iSC_SC_,comdat
.Lfunc_end1528:
	.size	_Z38paged_attention_ll4mi_QKV_mfma4_kernelI14__hip_bfloat16hLN4vllm18Fp8KVCacheDataTypeE1EhLi16ELi128ELi256ELb0ELi3EEvPKT_PKT0_S8_ifPKiSA_SA_iPKfiiiPfSD_PS3_PT2_iSC_SC_, .Lfunc_end1528-_Z38paged_attention_ll4mi_QKV_mfma4_kernelI14__hip_bfloat16hLN4vllm18Fp8KVCacheDataTypeE1EhLi16ELi128ELi256ELb0ELi3EEvPKT_PKT0_S8_ifPKiSA_SA_iPKfiiiPfSD_PS3_PT2_iSC_SC_
                                        ; -- End function
	.section	.AMDGPU.csdata,"",@progbits
; Kernel info:
; codeLenInByte = 72
; NumSgprs: 36
; NumVgprs: 41
; ScratchSize: 64
; MemoryBound: 0
; FloatMode: 240
; IeeeMode: 1
; LDSByteSize: 0 bytes/workgroup (compile time only)
; SGPRBlocks: 4
; VGPRBlocks: 5
; NumSGPRsForWavesPerEU: 36
; NumVGPRsForWavesPerEU: 41
; Occupancy: 16
; WaveLimiterHint : 1
; COMPUTE_PGM_RSRC2:SCRATCH_EN: 1
; COMPUTE_PGM_RSRC2:USER_SGPR: 15
; COMPUTE_PGM_RSRC2:TRAP_HANDLER: 0
; COMPUTE_PGM_RSRC2:TGID_X_EN: 1
; COMPUTE_PGM_RSRC2:TGID_Y_EN: 0
; COMPUTE_PGM_RSRC2:TGID_Z_EN: 0
; COMPUTE_PGM_RSRC2:TIDIG_COMP_CNT: 0
	.section	.text._Z38paged_attention_ll4mi_QKV_mfma4_kernelI14__hip_bfloat16hLN4vllm18Fp8KVCacheDataTypeE1EhLi16ELi128ELi256ELb0ELi4EEvPKT_PKT0_S8_ifPKiSA_SA_iPKfiiiPfSD_PS3_PT2_iSC_SC_,"axG",@progbits,_Z38paged_attention_ll4mi_QKV_mfma4_kernelI14__hip_bfloat16hLN4vllm18Fp8KVCacheDataTypeE1EhLi16ELi128ELi256ELb0ELi4EEvPKT_PKT0_S8_ifPKiSA_SA_iPKfiiiPfSD_PS3_PT2_iSC_SC_,comdat
	.protected	_Z38paged_attention_ll4mi_QKV_mfma4_kernelI14__hip_bfloat16hLN4vllm18Fp8KVCacheDataTypeE1EhLi16ELi128ELi256ELb0ELi4EEvPKT_PKT0_S8_ifPKiSA_SA_iPKfiiiPfSD_PS3_PT2_iSC_SC_ ; -- Begin function _Z38paged_attention_ll4mi_QKV_mfma4_kernelI14__hip_bfloat16hLN4vllm18Fp8KVCacheDataTypeE1EhLi16ELi128ELi256ELb0ELi4EEvPKT_PKT0_S8_ifPKiSA_SA_iPKfiiiPfSD_PS3_PT2_iSC_SC_
	.globl	_Z38paged_attention_ll4mi_QKV_mfma4_kernelI14__hip_bfloat16hLN4vllm18Fp8KVCacheDataTypeE1EhLi16ELi128ELi256ELb0ELi4EEvPKT_PKT0_S8_ifPKiSA_SA_iPKfiiiPfSD_PS3_PT2_iSC_SC_
	.p2align	8
	.type	_Z38paged_attention_ll4mi_QKV_mfma4_kernelI14__hip_bfloat16hLN4vllm18Fp8KVCacheDataTypeE1EhLi16ELi128ELi256ELb0ELi4EEvPKT_PKT0_S8_ifPKiSA_SA_iPKfiiiPfSD_PS3_PT2_iSC_SC_,@function
_Z38paged_attention_ll4mi_QKV_mfma4_kernelI14__hip_bfloat16hLN4vllm18Fp8KVCacheDataTypeE1EhLi16ELi128ELi256ELb0ELi4EEvPKT_PKT0_S8_ifPKiSA_SA_iPKfiiiPfSD_PS3_PT2_iSC_SC_: ; @_Z38paged_attention_ll4mi_QKV_mfma4_kernelI14__hip_bfloat16hLN4vllm18Fp8KVCacheDataTypeE1EhLi16ELi128ELi256ELb0ELi4EEvPKT_PKT0_S8_ifPKiSA_SA_iPKfiiiPfSD_PS3_PT2_iSC_SC_
; %bb.0:
	s_add_u32 s8, s0, 0x90
	s_addc_u32 s9, s1, 0
	s_getpc_b64 s[0:1]
	s_add_u32 s0, s0, __PRETTY_FUNCTION__._Z38paged_attention_ll4mi_QKV_mfma4_kernelI14__hip_bfloat16hLN4vllm18Fp8KVCacheDataTypeE1EhLi16ELi128ELi256ELb0ELi4EEvPKT_PKT0_S8_ifPKiSA_SA_iPKfiiiPfSD_PS3_PT2_iSC_SC_@rel32@lo+4
	s_addc_u32 s1, s1, __PRETTY_FUNCTION__._Z38paged_attention_ll4mi_QKV_mfma4_kernelI14__hip_bfloat16hLN4vllm18Fp8KVCacheDataTypeE1EhLi16ELi128ELi256ELb0ELi4EEvPKT_PKT0_S8_ifPKiSA_SA_iPKfiiiPfSD_PS3_PT2_iSC_SC_@rel32@hi+12
	s_delay_alu instid0(SALU_CYCLE_1) | instskip(SKIP_4) | instid1(SALU_CYCLE_1)
	v_dual_mov_b32 v0, s0 :: v_dual_mov_b32 v1, s1
	s_mov_b32 s32, 0
	s_getpc_b64 s[2:3]
	s_add_u32 s2, s2, __assert_fail@rel32@lo+4
	s_addc_u32 s3, s3, __assert_fail@rel32@hi+12
	s_swappc_b64 s[30:31], s[2:3]
	.section	.rodata,"a",@progbits
	.p2align	6, 0x0
	.amdhsa_kernel _Z38paged_attention_ll4mi_QKV_mfma4_kernelI14__hip_bfloat16hLN4vllm18Fp8KVCacheDataTypeE1EhLi16ELi128ELi256ELb0ELi4EEvPKT_PKT0_S8_ifPKiSA_SA_iPKfiiiPfSD_PS3_PT2_iSC_SC_
		.amdhsa_group_segment_fixed_size 0
		.amdhsa_private_segment_fixed_size 64
		.amdhsa_kernarg_size 400
		.amdhsa_user_sgpr_count 15
		.amdhsa_user_sgpr_dispatch_ptr 0
		.amdhsa_user_sgpr_queue_ptr 0
		.amdhsa_user_sgpr_kernarg_segment_ptr 1
		.amdhsa_user_sgpr_dispatch_id 0
		.amdhsa_user_sgpr_private_segment_size 0
		.amdhsa_wavefront_size32 1
		.amdhsa_uses_dynamic_stack 0
		.amdhsa_enable_private_segment 1
		.amdhsa_system_sgpr_workgroup_id_x 1
		.amdhsa_system_sgpr_workgroup_id_y 0
		.amdhsa_system_sgpr_workgroup_id_z 0
		.amdhsa_system_sgpr_workgroup_info 0
		.amdhsa_system_vgpr_workitem_id 0
		.amdhsa_next_free_vgpr 41
		.amdhsa_next_free_sgpr 34
		.amdhsa_reserve_vcc 1
		.amdhsa_float_round_mode_32 0
		.amdhsa_float_round_mode_16_64 0
		.amdhsa_float_denorm_mode_32 3
		.amdhsa_float_denorm_mode_16_64 3
		.amdhsa_dx10_clamp 1
		.amdhsa_ieee_mode 1
		.amdhsa_fp16_overflow 0
		.amdhsa_workgroup_processor_mode 1
		.amdhsa_memory_ordered 1
		.amdhsa_forward_progress 0
		.amdhsa_shared_vgpr_count 0
		.amdhsa_exception_fp_ieee_invalid_op 0
		.amdhsa_exception_fp_denorm_src 0
		.amdhsa_exception_fp_ieee_div_zero 0
		.amdhsa_exception_fp_ieee_overflow 0
		.amdhsa_exception_fp_ieee_underflow 0
		.amdhsa_exception_fp_ieee_inexact 0
		.amdhsa_exception_int_div_zero 0
	.end_amdhsa_kernel
	.section	.text._Z38paged_attention_ll4mi_QKV_mfma4_kernelI14__hip_bfloat16hLN4vllm18Fp8KVCacheDataTypeE1EhLi16ELi128ELi256ELb0ELi4EEvPKT_PKT0_S8_ifPKiSA_SA_iPKfiiiPfSD_PS3_PT2_iSC_SC_,"axG",@progbits,_Z38paged_attention_ll4mi_QKV_mfma4_kernelI14__hip_bfloat16hLN4vllm18Fp8KVCacheDataTypeE1EhLi16ELi128ELi256ELb0ELi4EEvPKT_PKT0_S8_ifPKiSA_SA_iPKfiiiPfSD_PS3_PT2_iSC_SC_,comdat
.Lfunc_end1529:
	.size	_Z38paged_attention_ll4mi_QKV_mfma4_kernelI14__hip_bfloat16hLN4vllm18Fp8KVCacheDataTypeE1EhLi16ELi128ELi256ELb0ELi4EEvPKT_PKT0_S8_ifPKiSA_SA_iPKfiiiPfSD_PS3_PT2_iSC_SC_, .Lfunc_end1529-_Z38paged_attention_ll4mi_QKV_mfma4_kernelI14__hip_bfloat16hLN4vllm18Fp8KVCacheDataTypeE1EhLi16ELi128ELi256ELb0ELi4EEvPKT_PKT0_S8_ifPKiSA_SA_iPKfiiiPfSD_PS3_PT2_iSC_SC_
                                        ; -- End function
	.section	.AMDGPU.csdata,"",@progbits
; Kernel info:
; codeLenInByte = 72
; NumSgprs: 36
; NumVgprs: 41
; ScratchSize: 64
; MemoryBound: 0
; FloatMode: 240
; IeeeMode: 1
; LDSByteSize: 0 bytes/workgroup (compile time only)
; SGPRBlocks: 4
; VGPRBlocks: 5
; NumSGPRsForWavesPerEU: 36
; NumVGPRsForWavesPerEU: 41
; Occupancy: 16
; WaveLimiterHint : 1
; COMPUTE_PGM_RSRC2:SCRATCH_EN: 1
; COMPUTE_PGM_RSRC2:USER_SGPR: 15
; COMPUTE_PGM_RSRC2:TRAP_HANDLER: 0
; COMPUTE_PGM_RSRC2:TGID_X_EN: 1
; COMPUTE_PGM_RSRC2:TGID_Y_EN: 0
; COMPUTE_PGM_RSRC2:TGID_Z_EN: 0
; COMPUTE_PGM_RSRC2:TIDIG_COMP_CNT: 0
	.section	.text._Z39paged_attention_ll4mi_QKV_mfma16_kernelI14__hip_bfloat16hLN4vllm18Fp8KVCacheDataTypeE1EhLi16ELi128ELi256ELb0ELi5EL8MFMAType1EEvPKT_PKT0_S9_ifPKiSB_SB_iPKfiiiPfSE_PS4_PT2_iSD_SD_,"axG",@progbits,_Z39paged_attention_ll4mi_QKV_mfma16_kernelI14__hip_bfloat16hLN4vllm18Fp8KVCacheDataTypeE1EhLi16ELi128ELi256ELb0ELi5EL8MFMAType1EEvPKT_PKT0_S9_ifPKiSB_SB_iPKfiiiPfSE_PS4_PT2_iSD_SD_,comdat
	.protected	_Z39paged_attention_ll4mi_QKV_mfma16_kernelI14__hip_bfloat16hLN4vllm18Fp8KVCacheDataTypeE1EhLi16ELi128ELi256ELb0ELi5EL8MFMAType1EEvPKT_PKT0_S9_ifPKiSB_SB_iPKfiiiPfSE_PS4_PT2_iSD_SD_ ; -- Begin function _Z39paged_attention_ll4mi_QKV_mfma16_kernelI14__hip_bfloat16hLN4vllm18Fp8KVCacheDataTypeE1EhLi16ELi128ELi256ELb0ELi5EL8MFMAType1EEvPKT_PKT0_S9_ifPKiSB_SB_iPKfiiiPfSE_PS4_PT2_iSD_SD_
	.globl	_Z39paged_attention_ll4mi_QKV_mfma16_kernelI14__hip_bfloat16hLN4vllm18Fp8KVCacheDataTypeE1EhLi16ELi128ELi256ELb0ELi5EL8MFMAType1EEvPKT_PKT0_S9_ifPKiSB_SB_iPKfiiiPfSE_PS4_PT2_iSD_SD_
	.p2align	8
	.type	_Z39paged_attention_ll4mi_QKV_mfma16_kernelI14__hip_bfloat16hLN4vllm18Fp8KVCacheDataTypeE1EhLi16ELi128ELi256ELb0ELi5EL8MFMAType1EEvPKT_PKT0_S9_ifPKiSB_SB_iPKfiiiPfSE_PS4_PT2_iSD_SD_,@function
_Z39paged_attention_ll4mi_QKV_mfma16_kernelI14__hip_bfloat16hLN4vllm18Fp8KVCacheDataTypeE1EhLi16ELi128ELi256ELb0ELi5EL8MFMAType1EEvPKT_PKT0_S9_ifPKiSB_SB_iPKfiiiPfSE_PS4_PT2_iSD_SD_: ; @_Z39paged_attention_ll4mi_QKV_mfma16_kernelI14__hip_bfloat16hLN4vllm18Fp8KVCacheDataTypeE1EhLi16ELi128ELi256ELb0ELi5EL8MFMAType1EEvPKT_PKT0_S9_ifPKiSB_SB_iPKfiiiPfSE_PS4_PT2_iSD_SD_
; %bb.0:
	s_load_b64 s[4:5], s[0:1], 0x30
	s_mov_b32 s30, s13
	s_waitcnt lgkmcnt(0)
	s_cmp_lg_u64 s[4:5], 0
	s_cselect_b32 s13, -1, 0
	s_ashr_i32 s31, s30, 31
	s_cmp_eq_u64 s[4:5], 0
	s_cbranch_scc1 .LBB1530_3
; %bb.1:
	s_lshl_b64 s[2:3], s[30:31], 2
	s_delay_alu instid0(SALU_CYCLE_1) | instskip(SKIP_4) | instid1(SALU_CYCLE_1)
	s_add_u32 s2, s4, s2
	s_addc_u32 s3, s5, s3
	s_load_b64 s[2:3], s[2:3], 0x0
	s_waitcnt lgkmcnt(0)
	s_sub_i32 s2, s3, s2
	s_cmp_eq_u32 s2, 1
	s_cselect_b32 s2, -1, 0
	s_delay_alu instid0(SALU_CYCLE_1)
	s_and_not1_b32 vcc_lo, exec_lo, s2
	s_cbranch_vccz .LBB1530_4
.LBB1530_2:
	s_nop 0
	s_sendmsg sendmsg(MSG_DEALLOC_VGPRS)
	s_endpgm
.LBB1530_3:
.LBB1530_4:
	s_load_b64 s[2:3], s[0:1], 0x28
	s_lshl_b64 s[6:7], s[30:31], 2
	s_waitcnt lgkmcnt(0)
	s_add_u32 s2, s2, s6
	s_addc_u32 s3, s3, s7
	s_lshl_b32 s12, s14, 8
	s_load_b32 s17, s[2:3], 0x0
	s_waitcnt lgkmcnt(0)
	s_cmp_ge_i32 s12, s17
	s_cbranch_scc1 .LBB1530_2
; %bb.5:
	s_clause 0x1
	s_load_b128 s[8:11], s[0:1], 0x8
	s_load_b64 s[2:3], s[0:1], 0x20
	s_and_not1_b32 vcc_lo, exec_lo, s13
	s_cbranch_vccnz .LBB1530_7
; %bb.6:
	s_add_u32 s4, s4, s6
	s_addc_u32 s5, s5, s7
	s_load_b32 s13, s[4:5], 0x0
	s_branch .LBB1530_8
.LBB1530_7:
	s_mov_b32 s13, s30
.LBB1530_8:
	s_load_b128 s[4:7], s[0:1], 0x48
	v_and_b32_e32 v65, 15, v0
	v_lshrrev_b32_e32 v66, 5, v0
	v_bfe_u32 v74, v0, 4, 1
	v_and_b32_e32 v67, 31, v0
	v_and_b32_e32 v75, 1, v0
	v_lshlrev_b32_e32 v2, 3, v65
	s_mul_i32 s31, s15, 5
	v_lshl_or_b32 v1, v66, 1, v74
	s_waitcnt lgkmcnt(0)
	s_mov_b32 s7, exec_lo
	v_lshlrev_b32_e32 v73, 1, v2
	s_delay_alu instid0(VALU_DEP_2)
	v_cmpx_gt_u32_e32 5, v1
	s_cbranch_execz .LBB1530_10
; %bb.9:
	s_load_b64 s[18:19], s[0:1], 0x0
	v_add_lshl_u32 v2, v1, s31, 7
	s_mul_hi_i32 s21, s13, s4
	s_mul_i32 s20, s13, s4
	v_lshlrev_b32_e32 v6, 10, v65
	s_lshl_b64 s[20:21], s[20:21], 1
	v_ashrrev_i32_e32 v3, 31, v2
	v_lshlrev_b32_e32 v1, 6, v1
	v_lshlrev_b32_e32 v7, 10, v75
	v_and_b32_e32 v6, 0x3800, v6
	s_delay_alu instid0(VALU_DEP_4) | instskip(NEXT) | instid1(VALU_DEP_2)
	v_lshlrev_b64 v[2:3], 1, v[2:3]
	v_or3_b32 v1, v6, v7, v1
	s_waitcnt lgkmcnt(0)
	s_add_u32 s4, s18, s20
	s_addc_u32 s13, s19, s21
	s_delay_alu instid0(VALU_DEP_2) | instskip(SKIP_1) | instid1(VALU_DEP_2)
	v_add_co_u32 v2, vcc_lo, s4, v2
	v_add_co_ci_u32_e32 v3, vcc_lo, s13, v3, vcc_lo
	v_add_co_u32 v2, vcc_lo, v2, v73
	s_delay_alu instid0(VALU_DEP_2)
	v_add_co_ci_u32_e32 v3, vcc_lo, 0, v3, vcc_lo
	global_load_b128 v[2:5], v[2:3], off
	s_waitcnt vmcnt(0)
	ds_store_b128 v1, v[2:5]
.LBB1530_10:
	s_or_b32 exec_lo, exec_lo, s7
	v_and_b32_e32 v1, 0xef, v0
	s_add_i32 s4, s17, 15
	s_clause 0x1
	s_load_b32 s7, s[0:1], 0x38
	s_load_b32 s18, s[0:1], 0x1c
	s_ashr_i32 s13, s4, 31
	v_add_nc_u32_e32 v2, s12, v1
	s_lshr_b32 s13, s13, 28
	s_waitcnt lgkmcnt(0)
	s_add_i32 s4, s4, s13
	s_barrier
	v_ashrrev_i32_e32 v1, 31, v2
	s_ashr_i32 s4, s4, 4
	v_cmp_gt_i32_e32 vcc_lo, s17, v2
	s_add_i32 s4, s4, -1
	buffer_gl0_inv
	v_lshrrev_b32_e32 v3, 28, v1
	v_or_b32_e32 v1, 16, v2
	s_mul_i32 s15, s15, s6
	s_delay_alu instid0(VALU_DEP_2) | instskip(SKIP_1) | instid1(SALU_CYCLE_1)
	v_add_nc_u32_e32 v4, v2, v3
	s_mul_i32 s20, s30, s7
	s_ashr_i32 s21, s20, 31
	s_delay_alu instid0(VALU_DEP_1) | instskip(SKIP_2) | instid1(SALU_CYCLE_1)
	v_ashrrev_i32_e32 v4, 4, v4
	v_add_nc_u32_e32 v3, v1, v3
	s_lshl_b64 s[20:21], s[20:21], 2
	s_add_u32 s2, s2, s20
	s_delay_alu instid0(VALU_DEP_2) | instskip(NEXT) | instid1(VALU_DEP_2)
	v_cndmask_b32_e32 v2, s4, v4, vcc_lo
	v_ashrrev_i32_e32 v3, 4, v3
	v_cmp_gt_i32_e32 vcc_lo, s17, v1
	s_addc_u32 s3, s3, s21
	s_ashr_i32 s6, s15, 31
	s_add_u32 s7, s8, s15
	s_addc_u32 s13, s9, s6
	v_cndmask_b32_e32 v4, s4, v3, vcc_lo
	v_ashrrev_i32_e32 v3, 31, v2
	s_lshl_b32 s8, s14, 4
	s_delay_alu instid0(SALU_CYCLE_1) | instskip(NEXT) | instid1(VALU_DEP_2)
	s_ashr_i32 s9, s8, 31
	v_ashrrev_i32_e32 v5, 31, v4
	s_delay_alu instid0(VALU_DEP_2) | instskip(SKIP_1) | instid1(SALU_CYCLE_1)
	v_lshlrev_b64 v[1:2], 2, v[2:3]
	s_lshl_b64 s[8:9], s[8:9], 2
	s_add_u32 s8, s2, s8
	s_delay_alu instid0(VALU_DEP_2) | instskip(SKIP_1) | instid1(VALU_DEP_2)
	v_lshlrev_b64 v[3:4], 2, v[4:5]
	s_addc_u32 s9, s3, s9
	v_add_co_u32 v1, vcc_lo, s2, v1
	v_add_co_ci_u32_e32 v2, vcc_lo, s3, v2, vcc_lo
	s_delay_alu instid0(VALU_DEP_3) | instskip(NEXT) | instid1(VALU_DEP_4)
	v_add_co_u32 v3, vcc_lo, s2, v3
	v_add_co_ci_u32_e32 v4, vcc_lo, s3, v4, vcc_lo
	s_clause 0x1
	global_load_b32 v5, v[1:2], off
	global_load_b32 v3, v[3:4], off
	v_lshlrev_b32_e32 v1, 4, v0
	s_or_b32 s16, s12, 32
	s_delay_alu instid0(SALU_CYCLE_1) | instskip(SKIP_1) | instid1(VALU_DEP_1)
	s_ashr_i32 s19, s16, 4
	s_cmp_lt_i32 s16, s17
	v_and_b32_e32 v1, 0xf0, v1
	s_cselect_b32 s20, s19, s4
	s_delay_alu instid0(SALU_CYCLE_1) | instskip(NEXT) | instid1(SALU_CYCLE_1)
	s_ashr_i32 s21, s20, 31
	s_lshl_b64 s[20:21], s[20:21], 2
	s_delay_alu instid0(VALU_DEP_1)
	v_add_co_u32 v1, s7, s7, v1
	s_add_u32 s20, s2, s20
	s_addc_u32 s21, s3, s21
	s_or_b32 s16, s12, 64
	v_add_co_ci_u32_e64 v2, null, s13, 0, s7
	s_ashr_i32 s19, s16, 4
	s_cmp_lt_i32 s16, s17
	s_cselect_b32 s22, s19, s4
	s_delay_alu instid0(SALU_CYCLE_1) | instskip(NEXT) | instid1(SALU_CYCLE_1)
	s_ashr_i32 s23, s22, 31
	s_lshl_b64 s[22:23], s[22:23], 2
	s_delay_alu instid0(SALU_CYCLE_1) | instskip(SKIP_2) | instid1(SALU_CYCLE_1)
	s_add_u32 s22, s2, s22
	s_addc_u32 s23, s3, s23
	s_or_b32 s16, s12, 0x60
	s_ashr_i32 s19, s16, 4
	s_cmp_lt_i32 s16, s17
	s_cselect_b32 s24, s19, s4
	s_delay_alu instid0(SALU_CYCLE_1) | instskip(NEXT) | instid1(SALU_CYCLE_1)
	s_ashr_i32 s25, s24, 31
	s_lshl_b64 s[24:25], s[24:25], 2
	s_delay_alu instid0(SALU_CYCLE_1) | instskip(SKIP_2) | instid1(SALU_CYCLE_1)
	s_add_u32 s24, s2, s24
	s_addc_u32 s25, s3, s25
	s_or_b32 s16, s12, 0x80
	;; [unrolled: 10-line block ×3, first 2 shown]
	s_ashr_i32 s19, s16, 4
	s_cmp_lt_i32 s16, s17
	s_cselect_b32 s28, s19, s4
	s_delay_alu instid0(SALU_CYCLE_1) | instskip(NEXT) | instid1(SALU_CYCLE_1)
	s_ashr_i32 s29, s28, 31
	s_lshl_b64 s[28:29], s[28:29], 2
	s_delay_alu instid0(SALU_CYCLE_1)
	s_add_u32 s28, s2, s28
	s_addc_u32 s29, s3, s29
	s_clause 0x5
	s_load_b32 s7, s[8:9], 0x0
	s_load_b32 s13, s[20:21], 0x0
	;; [unrolled: 1-line block ×6, first 2 shown]
	s_or_b32 s8, s12, 0xc0
	s_mov_b32 s20, 0
	s_ashr_i32 s9, s8, 4
	s_cmp_lt_i32 s8, s17
	s_mov_b32 s27, s20
	s_cselect_b32 s8, s9, s4
	s_mov_b32 s21, s20
	s_ashr_i32 s9, s8, 31
	s_mov_b32 s22, s20
	s_lshl_b64 s[8:9], s[8:9], 2
	s_mov_b32 s23, s20
	s_mov_b32 s24, s20
	;; [unrolled: 1-line block ×4, first 2 shown]
	v_dual_mov_b32 v107, s27 :: v_dual_mov_b32 v104, s24
	s_add_u32 s8, s2, s8
	v_dual_mov_b32 v106, s26 :: v_dual_mov_b32 v105, s25
	v_dual_mov_b32 v101, s21 :: v_dual_mov_b32 v100, s20
	s_addc_u32 s9, s3, s9
	v_dual_mov_b32 v103, s23 :: v_dual_mov_b32 v102, s22
	s_or_b32 s20, s12, 0xe0
	s_delay_alu instid0(SALU_CYCLE_1) | instskip(SKIP_2) | instid1(SALU_CYCLE_1)
	s_ashr_i32 s21, s20, 4
	s_cmp_lt_i32 s20, s17
	s_cselect_b32 s20, s21, s4
	s_ashr_i32 s21, s20, 31
	s_delay_alu instid0(SALU_CYCLE_1) | instskip(NEXT) | instid1(SALU_CYCLE_1)
	s_lshl_b64 s[20:21], s[20:21], 2
	s_add_u32 s2, s2, s20
	s_addc_u32 s3, s3, s21
	s_waitcnt vmcnt(1)
	v_mad_i64_i32 v[25:26], null, v5, s5, v[1:2]
	s_waitcnt vmcnt(0)
	v_mad_i64_i32 v[27:28], null, v3, s5, v[1:2]
	s_clause 0xf
	global_load_b128 v[1:4], v[25:26], off
	global_load_b128 v[5:8], v[25:26], off offset:256
	global_load_b128 v[9:12], v[27:28], off
	global_load_b128 v[13:16], v[27:28], off offset:256
	global_load_b128 v[17:20], v[25:26], off offset:512
	;; [unrolled: 1-line block ×13, first 2 shown]
	v_mul_lo_u16 v25, v65, 52
	v_lshlrev_b32_e32 v26, 4, v65
	s_delay_alu instid0(VALU_DEP_2) | instskip(NEXT) | instid1(VALU_DEP_2)
	v_lshrrev_b16 v25, 8, v25
	v_lshl_or_b32 v33, v66, 8, v26
	s_delay_alu instid0(VALU_DEP_2) | instskip(NEXT) | instid1(VALU_DEP_1)
	v_mul_lo_u16 v25, v25, 5
	v_sub_nc_u16 v25, v65, v25
	s_delay_alu instid0(VALU_DEP_1) | instskip(NEXT) | instid1(VALU_DEP_1)
	v_and_b32_e32 v25, 0xff, v25
	v_lshlrev_b32_e32 v72, 6, v25
	ds_load_b128 v[25:28], v72
	ds_load_b128 v[29:32], v72 offset:1024
	ds_load_b128 v[108:111], v72 offset:2048
	;; [unrolled: 1-line block ×3, first 2 shown]
	s_load_b32 s4, s[8:9], 0x0
	ds_load_b128 v[116:119], v72 offset:4096
	ds_load_b128 v[120:123], v72 offset:5120
	s_load_b32 s2, s[2:3], 0x0
	s_add_u32 s8, s10, s15
	s_addc_u32 s6, s11, s6
	v_add_co_u32 v68, s8, s8, v33
	s_delay_alu instid0(VALU_DEP_1) | instskip(SKIP_1) | instid1(VALU_DEP_1)
	v_add_co_ci_u32_e64 v69, null, s6, 0, s8
	s_waitcnt lgkmcnt(0)
	v_mad_i64_i32 v[33:34], null, s7, s5, v[68:69]
	v_mad_i64_i32 v[70:71], null, s16, s5, v[68:69]
	v_mad_i64_i32 v[132:133], null, s19, s5, v[68:69]
	v_mad_i64_i32 v[134:135], null, s33, s5, v[68:69]
	v_mad_i64_i32 v[37:38], null, s13, s5, v[68:69]
	v_mad_i64_i32 v[136:137], null, s28, s5, v[68:69]
	v_mad_i64_i32 v[138:139], null, s4, s5, v[68:69]
	s_clause 0x3
	global_load_b128 v[41:44], v[33:34], off
	global_load_b128 v[45:48], v[33:34], off offset:16
	global_load_b128 v[33:36], v[37:38], off
	global_load_b128 v[37:40], v[37:38], off offset:16
	s_waitcnt vmcnt(18)
	v_wmma_f32_16x16x16_bf16 v[124:131], v[1:8], v[25:32], v[100:107]
	s_waitcnt vmcnt(16)
	v_wmma_f32_16x16x16_bf16 v[100:107], v[9:16], v[25:32], v[100:107]
	s_clause 0x1
	global_load_b128 v[25:28], v[70:71], off
	global_load_b128 v[29:32], v[70:71], off offset:16
	s_waitcnt vmcnt(16)
	v_wmma_f32_16x16x16_bf16 v[124:131], v[17:24], v[108:115], v[124:131]
	s_clause 0x1
	global_load_b128 v[17:20], v[132:133], off
	global_load_b128 v[21:24], v[132:133], off offset:16
	s_waitcnt vmcnt(16)
	v_wmma_f32_16x16x16_bf16 v[100:107], v[49:56], v[108:115], v[100:107]
	v_mad_i64_i32 v[53:54], null, s2, s5, v[68:69]
	s_clause 0x3
	global_load_b128 v[1:4], v[134:135], off
	global_load_b128 v[5:8], v[134:135], off offset:16
	global_load_b128 v[9:12], v[136:137], off
	global_load_b128 v[13:16], v[136:137], off offset:16
	s_waitcnt vmcnt(18)
	v_wmma_f32_16x16x16_bf16 v[124:131], v[57:64], v[116:123], v[124:131]
	s_clause 0x3
	global_load_b128 v[57:60], v[138:139], off
	global_load_b128 v[61:64], v[138:139], off offset:16
	global_load_b128 v[49:52], v[53:54], off
	global_load_b128 v[53:56], v[53:54], off offset:16
	v_mbcnt_lo_u32_b32 v69, -1, 0
	s_waitcnt vmcnt(20)
	v_wmma_f32_16x16x16_bf16 v[100:107], v[76:83], v[116:123], v[100:107]
	s_delay_alu instid0(VALU_DEP_2) | instskip(NEXT) | instid1(VALU_DEP_1)
	v_xor_b32_e32 v70, 16, v69
	v_cmp_gt_i32_e32 vcc_lo, 32, v70
	v_cndmask_b32_e32 v69, v69, v70, vcc_lo
	ds_load_b128 v[76:79], v72 offset:6144
	ds_load_b128 v[80:83], v72 offset:7168
	s_waitcnt vmcnt(0) lgkmcnt(0)
	s_barrier
	buffer_gl0_inv
	v_wmma_f32_16x16x16_bf16 v[124:131], v[84:91], v[76:83], v[124:131]
	v_and_b32_e32 v68, 0xe0, v0
	v_wmma_f32_16x16x16_bf16 v[100:107], v[92:99], v[76:83], v[100:107]
	s_delay_alu instid0(VALU_DEP_2) | instskip(NEXT) | instid1(VALU_DEP_4)
	v_dual_mul_f32 v79, s18, v127 :: v_dual_add_nc_u32 v68, s12, v68
	v_mul_f32_e32 v81, s18, v129
	v_dual_mul_f32 v78, s18, v125 :: v_dual_mul_f32 v83, s18, v131
	s_delay_alu instid0(VALU_DEP_4) | instskip(NEXT) | instid1(VALU_DEP_4)
	v_dual_mul_f32 v80, s18, v126 :: v_dual_mul_f32 v95, s18, v103
	v_or_b32_e32 v68, v68, v74
	v_dual_mul_f32 v93, s18, v101 :: v_dual_mul_f32 v82, s18, v128
	v_dual_mul_f32 v97, s18, v105 :: v_dual_mul_f32 v92, s18, v130
	v_mul_f32_e32 v99, s18, v107
	s_delay_alu instid0(VALU_DEP_4)
	v_or_b32_e32 v70, 2, v68
	v_or_b32_e32 v71, 4, v68
	;; [unrolled: 1-line block ×3, first 2 shown]
	v_cmp_gt_i32_e64 s2, s17, v68
	v_or_b32_e32 v108, 8, v68
	v_cmp_gt_i32_e32 vcc_lo, s17, v70
	v_mul_f32_e32 v70, s18, v124
	v_or_b32_e32 v109, 10, v68
	v_cmp_gt_i32_e64 s3, s17, v71
	v_cmp_gt_i32_e64 s4, s17, v72
	v_cndmask_b32_e32 v78, 0xff7fffff, v78, vcc_lo
	v_cndmask_b32_e64 v70, 0xff7fffff, v70, s2
	v_or_b32_e32 v84, 12, v68
	v_or_b32_e32 v85, 14, v68
	v_cndmask_b32_e64 v71, 0xff7fffff, v80, s3
	v_cndmask_b32_e64 v72, 0xff7fffff, v79, s4
	v_max3_f32 v70, v70, 0xff7fffff, v78
	v_cmp_gt_i32_e64 s5, s17, v108
	v_cmp_gt_i32_e64 s6, s17, v109
	v_or_b32_e32 v86, 16, v68
	v_or_b32_e32 v87, 18, v68
	v_max3_f32 v70, v70, v71, v72
	v_cndmask_b32_e64 v78, 0xff7fffff, v82, s5
	v_cndmask_b32_e64 v79, 0xff7fffff, v81, s6
	v_cmp_gt_i32_e64 s7, s17, v84
	v_cmp_gt_i32_e64 s8, s17, v85
	v_or_b32_e32 v88, 20, v68
	v_or_b32_e32 v89, 22, v68
	v_mul_f32_e32 v94, s18, v100
	v_cndmask_b32_e64 v71, 0xff7fffff, v92, s7
	v_cndmask_b32_e64 v72, 0xff7fffff, v83, s8
	v_max3_f32 v70, v70, v78, v79
	v_cmp_gt_i32_e64 s9, s17, v86
	v_cmp_gt_i32_e64 s10, s17, v87
	v_or_b32_e32 v90, 24, v68
	v_or_b32_e32 v91, 26, v68
	v_mul_f32_e32 v96, s18, v102
	v_max3_f32 v70, v70, v71, v72
	v_cndmask_b32_e64 v79, 0xff7fffff, v93, s10
	v_cmp_gt_i32_e64 s11, s17, v88
	v_cmp_gt_i32_e64 s12, s17, v89
	v_lshlrev_b32_e32 v89, 2, v69
	v_cndmask_b32_e64 v78, 0xff7fffff, v94, s9
	v_or_b32_e32 v76, 28, v68
	v_or_b32_e32 v77, 30, v68
	v_mul_f32_e32 v98, s18, v104
	v_cndmask_b32_e64 v71, 0xff7fffff, v96, s11
	v_cndmask_b32_e64 v72, 0xff7fffff, v95, s12
	v_max3_f32 v70, v70, v78, v79
	v_cmp_gt_i32_e64 s13, s17, v90
	v_cmp_gt_i32_e64 s15, s17, v91
	v_mul_f32_e32 v68, s18, v106
	v_cmp_gt_i32_e64 s16, s17, v76
	v_max3_f32 v70, v70, v71, v72
	v_cndmask_b32_e64 v78, 0xff7fffff, v98, s13
	v_cndmask_b32_e64 v79, 0xff7fffff, v97, s15
	v_cmp_gt_i32_e64 s17, s17, v77
	v_cndmask_b32_e64 v68, 0xff7fffff, v68, s16
	s_delay_alu instid0(VALU_DEP_3) | instskip(NEXT) | instid1(VALU_DEP_3)
	v_max3_f32 v70, v70, v78, v79
	v_cndmask_b32_e64 v71, 0xff7fffff, v99, s17
	s_delay_alu instid0(VALU_DEP_1) | instskip(SKIP_3) | instid1(VALU_DEP_1)
	v_max3_f32 v68, v70, v68, v71
	ds_bpermute_b32 v69, v89, v68
	s_waitcnt lgkmcnt(0)
	v_max_f32_e32 v69, v69, v69
	v_max_f32_e32 v68, v68, v69
	s_delay_alu instid0(VALU_DEP_1) | instskip(NEXT) | instid1(VALU_DEP_1)
	v_fma_f32 v76, s18, v128, -v68
	v_mul_f32_e32 v77, 0x3fb8aa3b, v76
	v_fma_f32 v71, s18, v126, -v68
	v_fma_f32 v69, s18, v124, -v68
	;; [unrolled: 1-line block ×4, first 2 shown]
	v_exp_f32_e32 v77, v77
	v_mul_f32_e32 v71, 0x3fb8aa3b, v71
	v_mul_f32_e32 v69, 0x3fb8aa3b, v69
	v_fma_f32 v81, s18, v105, -v68
	v_fma_f32 v78, s18, v130, -v68
	s_delay_alu instid0(VALU_DEP_4) | instskip(NEXT) | instid1(VALU_DEP_3)
	v_exp_f32_e32 v71, v71
	v_exp_f32_e32 v69, v69
	s_delay_alu instid0(VALU_DEP_2) | instskip(NEXT) | instid1(TRANS32_DEP_3)
	v_mul_f32_e32 v81, 0x3fb8aa3b, v81
	v_cndmask_b32_e64 v86, 0, v77, s5
	v_fma_f32 v77, s18, v101, -v68
	s_delay_alu instid0(VALU_DEP_3) | instskip(NEXT) | instid1(TRANS32_DEP_3)
	v_exp_f32_e32 v81, v81
	v_cndmask_b32_e64 v83, 0, v71, s3
	v_fma_f32 v71, s18, v131, -v68
	v_mul_f32_e32 v72, 0x3fb8aa3b, v72
	s_delay_alu instid0(TRANS32_DEP_2) | instskip(SKIP_1) | instid1(VALU_DEP_4)
	v_cndmask_b32_e64 v80, 0, v69, s2
	v_fma_f32 v69, s18, v129, -v68
	v_dual_mul_f32 v70, 0x3fb8aa3b, v70 :: v_dual_mul_f32 v71, 0x3fb8aa3b, v71
	s_delay_alu instid0(VALU_DEP_4) | instskip(SKIP_1) | instid1(VALU_DEP_3)
	v_exp_f32_e32 v72, v72
	v_mul_f32_e32 v77, 0x3fb8aa3b, v77
	v_mul_f32_e32 v69, 0x3fb8aa3b, v69
	s_delay_alu instid0(VALU_DEP_3)
	v_exp_f32_e32 v70, v70
	v_exp_f32_e32 v71, v71
	v_cmp_gt_u32_e64 s2, 16, v67
	v_exp_f32_e32 v77, v77
	v_exp_f32_e32 v69, v69
	v_cndmask_b32_e64 v85, 0, v72, s4
	v_fma_f32 v72, s18, v100, -v68
	v_cndmask_b32_e32 v76, 0, v70, vcc_lo
	s_delay_alu instid0(TRANS32_DEP_3) | instskip(SKIP_2) | instid1(TRANS32_DEP_1)
	v_cndmask_b32_e64 v88, 0, v71, s8
	v_fma_f32 v71, s18, v104, -v68
	v_add_f32_e32 v70, 0, v80
	v_cndmask_b32_e64 v87, 0, v69, s6
	s_delay_alu instid0(VALU_DEP_2) | instskip(NEXT) | instid1(VALU_DEP_1)
	v_dual_mul_f32 v71, 0x3fb8aa3b, v71 :: v_dual_add_f32 v70, v70, v76
	v_exp_f32_e32 v82, v71
	s_delay_alu instid0(VALU_DEP_1) | instskip(NEXT) | instid1(VALU_DEP_1)
	v_add_f32_e32 v70, v70, v83
	v_add_f32_e32 v70, v70, v85
	s_delay_alu instid0(VALU_DEP_1) | instskip(SKIP_1) | instid1(VALU_DEP_2)
	v_dual_mul_f32 v72, 0x3fb8aa3b, v72 :: v_dual_add_f32 v69, v70, v86
	v_fma_f32 v70, s18, v102, -v68
	v_exp_f32_e32 v72, v72
	s_delay_alu instid0(VALU_DEP_2) | instskip(NEXT) | instid1(VALU_DEP_2)
	v_dual_add_f32 v69, v69, v87 :: v_dual_mul_f32 v78, 0x3fb8aa3b, v78
	v_mul_f32_e32 v70, 0x3fb8aa3b, v70
	s_delay_alu instid0(VALU_DEP_2) | instskip(NEXT) | instid1(VALU_DEP_1)
	v_exp_f32_e32 v78, v78
	v_exp_f32_e32 v79, v70
	s_delay_alu instid0(TRANS32_DEP_3) | instskip(SKIP_4) | instid1(VALU_DEP_3)
	v_cndmask_b32_e64 v70, 0, v72, s9
	s_waitcnt_depctr 0xfff
	v_cndmask_b32_e64 v84, 0, v78, s7
	v_fma_f32 v78, s18, v103, -v68
	v_cndmask_b32_e64 v71, 0, v79, s11
	v_add_f32_e32 v69, v69, v84
	s_delay_alu instid0(VALU_DEP_1) | instskip(SKIP_2) | instid1(VALU_DEP_1)
	v_add_f32_e32 v72, v69, v88
	v_cndmask_b32_e64 v69, 0, v77, s10
	v_fma_f32 v77, s18, v106, -v68
	v_dual_add_f32 v72, v72, v70 :: v_dual_mul_f32 v77, 0x3fb8aa3b, v77
	s_delay_alu instid0(VALU_DEP_1) | instskip(NEXT) | instid1(VALU_DEP_2)
	v_add_f32_e32 v79, v72, v69
	v_exp_f32_e32 v90, v77
	v_cndmask_b32_e64 v77, 0, v82, s13
	v_mul_f32_e32 v78, 0x3fb8aa3b, v78
	s_delay_alu instid0(VALU_DEP_1) | instskip(SKIP_4) | instid1(VALU_DEP_1)
	v_exp_f32_e32 v78, v78
	s_waitcnt_depctr 0xfff
	v_cndmask_b32_e64 v72, 0, v78, s12
	v_add_f32_e32 v78, v79, v71
	v_fma_f32 v79, s18, v107, -v68
	v_dual_add_f32 v82, v78, v72 :: v_dual_mul_f32 v79, 0x3fb8aa3b, v79
	v_cndmask_b32_e64 v78, 0, v81, s15
	s_delay_alu instid0(VALU_DEP_2) | instskip(NEXT) | instid1(VALU_DEP_3)
	v_add_f32_e32 v81, v82, v77
	v_exp_f32_e32 v82, v79
	v_cndmask_b32_e64 v79, 0, v90, s16
	s_delay_alu instid0(VALU_DEP_2) | instskip(NEXT) | instid1(VALU_DEP_1)
	v_add_f32_e32 v81, v81, v78
	v_add_f32_e32 v90, v81, v79
	s_waitcnt_depctr 0xfff
	v_cndmask_b32_e64 v81, 0, v82, s17
	s_delay_alu instid0(VALU_DEP_1)
	v_add_f32_e32 v82, v90, v81
	ds_bpermute_b32 v89, v89, v82
	s_and_saveexec_b32 s3, s2
	s_cbranch_execz .LBB1530_12
; %bb.11:
	v_mul_u32_u24_e32 v67, 0x44, v66
	s_delay_alu instid0(VALU_DEP_1) | instskip(SKIP_1) | instid1(VALU_DEP_1)
	v_lshl_add_u32 v67, v65, 2, v67
	s_waitcnt lgkmcnt(0)
	v_dual_add_f32 v82, v82, v89 :: v_dual_add_nc_u32 v67, 0x4000, v67
	ds_store_2addr_b32 v67, v68, v82 offset1:136
.LBB1530_12:
	s_or_b32 exec_lo, exec_lo, s3
	v_lshlrev_b32_e32 v67, 2, v65
	s_waitcnt lgkmcnt(0)
	s_barrier
	buffer_gl0_inv
	v_cmp_eq_u32_e32 vcc_lo, 1, v66
	v_add_nc_u32_e32 v82, 0x4000, v67
	v_cmp_eq_u32_e64 s3, 2, v66
	v_cmp_eq_u32_e64 s5, 7, v66
	ds_load_2addr_b32 v[89:90], v82 offset1:17
	ds_load_2addr_b32 v[91:92], v82 offset0:34 offset1:51
	ds_load_2addr_b32 v[93:94], v82 offset0:68 offset1:85
	;; [unrolled: 1-line block ×4, first 2 shown]
	s_waitcnt lgkmcnt(4)
	v_max3_f32 v67, v89, 0xff7fffff, v90
	s_waitcnt lgkmcnt(3)
	s_delay_alu instid0(VALU_DEP_1) | instskip(SKIP_1) | instid1(VALU_DEP_1)
	v_max3_f32 v67, v67, v91, v92
	s_waitcnt lgkmcnt(2)
	v_max3_f32 v67, v67, v93, v94
	s_waitcnt lgkmcnt(1)
	s_delay_alu instid0(VALU_DEP_1) | instskip(NEXT) | instid1(VALU_DEP_1)
	v_max3_f32 v67, v67, v95, v96
	v_sub_f32_e32 v93, v93, v67
	s_delay_alu instid0(VALU_DEP_1) | instskip(NEXT) | instid1(VALU_DEP_1)
	v_dual_sub_f32 v68, v89, v67 :: v_dual_mul_f32 v103, 0x3fb8aa3b, v93
	v_mul_f32_e32 v68, 0x3fb8aa3b, v68
	s_delay_alu instid0(VALU_DEP_1)
	v_exp_f32_e32 v100, v68
	v_sub_f32_e32 v68, v92, v67
	v_sub_f32_e32 v99, v90, v67
	ds_load_2addr_b32 v[89:90], v82 offset0:170 offset1:187
	v_dual_mul_f32 v102, 0x3fb8aa3b, v68 :: v_dual_mul_f32 v99, 0x3fb8aa3b, v99
	s_waitcnt lgkmcnt(1)
	v_fma_f32 v68, v100, v97, 0
	s_delay_alu instid0(VALU_DEP_2) | instskip(NEXT) | instid1(VALU_DEP_2)
	v_exp_f32_e32 v102, v102
	v_exp_f32_e32 v99, v99
	s_waitcnt_depctr 0xfff
	v_fmac_f32_e32 v68, v99, v98
	v_sub_f32_e32 v91, v91, v67
	s_delay_alu instid0(VALU_DEP_1)
	v_mul_f32_e32 v101, 0x3fb8aa3b, v91
	ds_load_2addr_b32 v[91:92], v82 offset0:204 offset1:221
	v_sub_f32_e32 v97, v94, v67
	ds_load_2addr_b32 v[93:94], v82 offset0:238 offset1:255
	s_waitcnt lgkmcnt(0)
	v_exp_f32_e32 v101, v101
	s_barrier
	buffer_gl0_inv
	v_dual_fmac_f32 v68, v101, v89 :: v_dual_sub_f32 v89, v96, v67
	v_dual_sub_f32 v82, v95, v67 :: v_dual_mul_f32 v95, 0x3fb8aa3b, v97
	v_exp_f32_e32 v97, v103
	s_delay_alu instid0(VALU_DEP_2) | instskip(NEXT) | instid1(VALU_DEP_2)
	v_dual_fmac_f32 v68, v102, v90 :: v_dual_mul_f32 v89, 0x3fb8aa3b, v89
	v_mul_f32_e32 v82, 0x3fb8aa3b, v82
	s_delay_alu instid0(VALU_DEP_3) | instskip(NEXT) | instid1(VALU_DEP_2)
	v_exp_f32_e32 v95, v95
	v_exp_f32_e32 v89, v89
	s_delay_alu instid0(VALU_DEP_1)
	v_exp_f32_e32 v82, v82
	v_fmac_f32_e32 v68, v97, v91
	s_delay_alu instid0(TRANS32_DEP_3) | instid1(VALU_DEP_1)
	v_fmac_f32_e32 v68, v95, v92
	s_waitcnt_depctr 0xfff
	v_fmac_f32_e32 v68, v82, v93
	s_delay_alu instid0(VALU_DEP_1) | instskip(NEXT) | instid1(VALU_DEP_1)
	v_fmac_f32_e32 v68, v89, v94
	v_add_f32_e32 v90, 0x358637bd, v68
	s_delay_alu instid0(VALU_DEP_1) | instskip(NEXT) | instid1(VALU_DEP_1)
	v_div_scale_f32 v91, null, v90, v90, 1.0
	v_rcp_f32_e32 v92, v91
	s_waitcnt_depctr 0xfff
	v_fma_f32 v93, -v91, v92, 1.0
	s_delay_alu instid0(VALU_DEP_1) | instskip(SKIP_1) | instid1(VALU_DEP_2)
	v_dual_fmac_f32 v92, v93, v92 :: v_dual_cndmask_b32 v93, v100, v99
	v_cmp_eq_u32_e32 vcc_lo, 3, v66
	v_cndmask_b32_e64 v93, v93, v101, s3
	v_cmp_eq_u32_e64 s3, 4, v66
	s_delay_alu instid0(VALU_DEP_2) | instskip(SKIP_1) | instid1(VALU_DEP_2)
	v_cndmask_b32_e32 v93, v93, v102, vcc_lo
	v_cmp_eq_u32_e32 vcc_lo, 5, v66
	v_cndmask_b32_e64 v93, v93, v97, s3
	v_cmp_eq_u32_e64 s3, 6, v66
	s_delay_alu instid0(VALU_DEP_2) | instskip(SKIP_1) | instid1(VALU_DEP_1)
	v_cndmask_b32_e32 v93, v93, v95, vcc_lo
	v_div_scale_f32 v94, s4, 1.0, v90, 1.0
	s_mov_b32 vcc_lo, s4
	s_delay_alu instid0(VALU_DEP_2) | instskip(NEXT) | instid1(VALU_DEP_2)
	v_cndmask_b32_e64 v82, v93, v82, s3
	v_mul_f32_e32 v96, v94, v92
	s_mov_b32 s3, exec_lo
	s_delay_alu instid0(VALU_DEP_2) | instskip(NEXT) | instid1(VALU_DEP_2)
	v_cndmask_b32_e64 v82, v82, v89, s5
	v_fma_f32 v98, -v91, v96, v94
	s_delay_alu instid0(VALU_DEP_1) | instskip(NEXT) | instid1(VALU_DEP_1)
	v_fmac_f32_e32 v96, v98, v92
	v_fma_f32 v91, -v91, v96, v94
	s_delay_alu instid0(VALU_DEP_1) | instskip(NEXT) | instid1(VALU_DEP_1)
	v_div_fmas_f32 v91, v91, v92, v96
	v_div_fixup_f32 v90, v91, v90, 1.0
	s_delay_alu instid0(VALU_DEP_1) | instskip(NEXT) | instid1(VALU_DEP_1)
	v_mul_f32_e32 v82, v82, v90
	v_mul_f32_e32 v87, v82, v87
	;; [unrolled: 1-line block ×7, first 2 shown]
	v_dual_mul_f32 v86, v82, v83 :: v_dual_and_b32 v91, 0x7f800000, v90
	v_mul_f32_e32 v85, v82, v76
                                        ; implicit-def: $vgpr76
	s_delay_alu instid0(VALU_DEP_2)
	v_cmpx_ne_u32_e32 0x7f800000, v91
	s_xor_b32 s3, exec_lo, s3
; %bb.13:
	v_bfe_u32 v76, v90, 16, 1
	s_delay_alu instid0(VALU_DEP_1)
	v_add3_u32 v76, v90, v76, 0x7fff
                                        ; implicit-def: $vgpr90
; %bb.14:
	s_and_not1_saveexec_b32 s3, s3
; %bb.15:
	v_and_b32_e32 v76, 0xffff, v90
	v_or_b32_e32 v83, 0x10000, v90
	s_delay_alu instid0(VALU_DEP_2) | instskip(NEXT) | instid1(VALU_DEP_2)
	v_cmp_eq_u32_e32 vcc_lo, 0, v76
	v_cndmask_b32_e32 v76, v83, v90, vcc_lo
; %bb.16:
	s_or_b32 exec_lo, exec_lo, s3
	v_and_b32_e32 v83, 0x7f800000, v85
	s_delay_alu instid0(VALU_DEP_1) | instskip(SKIP_1) | instid1(SALU_CYCLE_1)
	v_cmp_ne_u32_e32 vcc_lo, 0x7f800000, v83
                                        ; implicit-def: $vgpr83
	s_and_saveexec_b32 s3, vcc_lo
	s_xor_b32 s3, exec_lo, s3
; %bb.17:
	v_bfe_u32 v83, v85, 16, 1
	s_delay_alu instid0(VALU_DEP_1)
	v_add3_u32 v83, v85, v83, 0x7fff
                                        ; implicit-def: $vgpr85
; %bb.18:
	s_and_not1_saveexec_b32 s3, s3
; %bb.19:
	v_and_b32_e32 v83, 0xffff, v85
	v_or_b32_e32 v90, 0x10000, v85
	s_delay_alu instid0(VALU_DEP_2) | instskip(NEXT) | instid1(VALU_DEP_2)
	v_cmp_eq_u32_e32 vcc_lo, 0, v83
	v_cndmask_b32_e32 v83, v90, v85, vcc_lo
; %bb.20:
	s_or_b32 exec_lo, exec_lo, s3
	v_and_b32_e32 v85, 0x7f800000, v86
	s_delay_alu instid0(VALU_DEP_1) | instskip(SKIP_1) | instid1(SALU_CYCLE_1)
	v_cmp_ne_u32_e32 vcc_lo, 0x7f800000, v85
                                        ; implicit-def: $vgpr85
	s_and_saveexec_b32 s3, vcc_lo
	s_xor_b32 s3, exec_lo, s3
; %bb.21:
	v_bfe_u32 v85, v86, 16, 1
	s_delay_alu instid0(VALU_DEP_1)
	v_add3_u32 v85, v86, v85, 0x7fff
                                        ; implicit-def: $vgpr86
; %bb.22:
	s_and_not1_saveexec_b32 s3, s3
; %bb.23:
	v_and_b32_e32 v85, 0xffff, v86
	v_or_b32_e32 v90, 0x10000, v86
	s_delay_alu instid0(VALU_DEP_2) | instskip(NEXT) | instid1(VALU_DEP_2)
	v_cmp_eq_u32_e32 vcc_lo, 0, v85
	v_cndmask_b32_e32 v85, v90, v86, vcc_lo
; %bb.24:
	s_or_b32 exec_lo, exec_lo, s3
	v_and_b32_e32 v86, 0x7f800000, v89
	s_delay_alu instid0(VALU_DEP_1) | instskip(SKIP_1) | instid1(SALU_CYCLE_1)
	v_cmp_ne_u32_e32 vcc_lo, 0x7f800000, v86
                                        ; implicit-def: $vgpr86
	s_and_saveexec_b32 s3, vcc_lo
	s_xor_b32 s3, exec_lo, s3
; %bb.25:
	v_bfe_u32 v86, v89, 16, 1
	s_delay_alu instid0(VALU_DEP_1)
	v_add3_u32 v86, v89, v86, 0x7fff
                                        ; implicit-def: $vgpr89
; %bb.26:
	s_and_not1_saveexec_b32 s3, s3
; %bb.27:
	v_and_b32_e32 v86, 0xffff, v89
	v_or_b32_e32 v90, 0x10000, v89
	s_delay_alu instid0(VALU_DEP_2) | instskip(NEXT) | instid1(VALU_DEP_2)
	v_cmp_eq_u32_e32 vcc_lo, 0, v86
	v_cndmask_b32_e32 v86, v90, v89, vcc_lo
; %bb.28:
	s_or_b32 exec_lo, exec_lo, s3
	v_and_b32_e32 v89, 0x7f800000, v88
	s_delay_alu instid0(VALU_DEP_1) | instskip(SKIP_1) | instid1(SALU_CYCLE_1)
	v_cmp_ne_u32_e32 vcc_lo, 0x7f800000, v89
                                        ; implicit-def: $vgpr89
	s_and_saveexec_b32 s3, vcc_lo
	s_xor_b32 s3, exec_lo, s3
; %bb.29:
	v_bfe_u32 v89, v88, 16, 1
	s_delay_alu instid0(VALU_DEP_1)
	v_add3_u32 v89, v88, v89, 0x7fff
                                        ; implicit-def: $vgpr88
; %bb.30:
	s_and_not1_saveexec_b32 s3, s3
; %bb.31:
	v_and_b32_e32 v89, 0xffff, v88
	v_or_b32_e32 v90, 0x10000, v88
	s_delay_alu instid0(VALU_DEP_2) | instskip(NEXT) | instid1(VALU_DEP_2)
	v_cmp_eq_u32_e32 vcc_lo, 0, v89
	v_cndmask_b32_e32 v89, v90, v88, vcc_lo
; %bb.32:
	s_or_b32 exec_lo, exec_lo, s3
	v_and_b32_e32 v88, 0x7f800000, v87
	s_delay_alu instid0(VALU_DEP_1) | instskip(SKIP_1) | instid1(SALU_CYCLE_1)
	v_cmp_ne_u32_e32 vcc_lo, 0x7f800000, v88
                                        ; implicit-def: $vgpr88
	s_and_saveexec_b32 s3, vcc_lo
	s_xor_b32 s3, exec_lo, s3
; %bb.33:
	v_bfe_u32 v88, v87, 16, 1
	s_delay_alu instid0(VALU_DEP_1)
	v_add3_u32 v88, v87, v88, 0x7fff
                                        ; implicit-def: $vgpr87
; %bb.34:
	s_and_not1_saveexec_b32 s3, s3
; %bb.35:
	v_and_b32_e32 v88, 0xffff, v87
	v_or_b32_e32 v90, 0x10000, v87
	s_delay_alu instid0(VALU_DEP_2) | instskip(NEXT) | instid1(VALU_DEP_2)
	v_cmp_eq_u32_e32 vcc_lo, 0, v88
	v_cndmask_b32_e32 v88, v90, v87, vcc_lo
; %bb.36:
	s_or_b32 exec_lo, exec_lo, s3
	v_and_b32_e32 v87, 0x7f800000, v84
	s_delay_alu instid0(VALU_DEP_1) | instskip(SKIP_1) | instid1(SALU_CYCLE_1)
	v_cmp_ne_u32_e32 vcc_lo, 0x7f800000, v87
                                        ; implicit-def: $vgpr87
	s_and_saveexec_b32 s3, vcc_lo
	s_xor_b32 s3, exec_lo, s3
; %bb.37:
	v_bfe_u32 v87, v84, 16, 1
	s_delay_alu instid0(VALU_DEP_1)
	v_add3_u32 v87, v84, v87, 0x7fff
                                        ; implicit-def: $vgpr84
; %bb.38:
	s_and_not1_saveexec_b32 s3, s3
; %bb.39:
	v_and_b32_e32 v87, 0xffff, v84
	v_or_b32_e32 v90, 0x10000, v84
	s_delay_alu instid0(VALU_DEP_2) | instskip(NEXT) | instid1(VALU_DEP_2)
	v_cmp_eq_u32_e32 vcc_lo, 0, v87
	v_cndmask_b32_e32 v87, v90, v84, vcc_lo
; %bb.40:
	s_or_b32 exec_lo, exec_lo, s3
	v_and_b32_e32 v84, 0x7f800000, v80
	s_delay_alu instid0(VALU_DEP_1) | instskip(SKIP_1) | instid1(SALU_CYCLE_1)
	v_cmp_ne_u32_e32 vcc_lo, 0x7f800000, v84
                                        ; implicit-def: $vgpr84
	s_and_saveexec_b32 s3, vcc_lo
	s_xor_b32 s3, exec_lo, s3
; %bb.41:
	v_bfe_u32 v84, v80, 16, 1
	s_delay_alu instid0(VALU_DEP_1)
	v_add3_u32 v84, v80, v84, 0x7fff
                                        ; implicit-def: $vgpr80
; %bb.42:
	s_and_not1_saveexec_b32 s3, s3
; %bb.43:
	v_and_b32_e32 v84, 0xffff, v80
	v_or_b32_e32 v90, 0x10000, v80
	s_delay_alu instid0(VALU_DEP_2) | instskip(NEXT) | instid1(VALU_DEP_2)
	v_cmp_eq_u32_e32 vcc_lo, 0, v84
	v_cndmask_b32_e32 v84, v90, v80, vcc_lo
; %bb.44:
	s_or_b32 exec_lo, exec_lo, s3
	s_load_b64 s[34:35], s[0:1], 0x94
	v_lshlrev_b32_e32 v91, 4, v74
	s_delay_alu instid0(VALU_DEP_2)
	v_perm_b32 v90, v84, v87, 0x7060302
	v_dual_mul_f32 v79, v82, v79 :: v_dual_lshlrev_b32 v80, 6, v65
	v_dual_mul_f32 v77, v82, v77 :: v_dual_lshlrev_b32 v92, 11, v66
	v_mul_f32_e32 v84, v82, v70
	v_perm_b32 v89, v88, v89, 0x7060302
	v_perm_b32 v88, v86, v85, 0x7060302
	;; [unrolled: 1-line block ×3, first 2 shown]
	v_mul_f32_e32 v70, v82, v81
	v_or3_b32 v76, v91, v92, v80
	v_dual_mul_f32 v78, v82, v78 :: v_dual_and_b32 v85, 0x7f800000, v84
	v_mul_f32_e32 v83, v82, v72
	v_mul_f32_e32 v81, v82, v71
	;; [unrolled: 1-line block ×3, first 2 shown]
	s_mov_b32 s3, exec_lo
	ds_store_b128 v76, v[87:90]
                                        ; implicit-def: $vgpr69
	v_cmpx_ne_u32_e32 0x7f800000, v85
	s_xor_b32 s3, exec_lo, s3
; %bb.45:
	v_bfe_u32 v69, v84, 16, 1
	s_delay_alu instid0(VALU_DEP_1)
	v_add3_u32 v69, v84, v69, 0x7fff
                                        ; implicit-def: $vgpr84
; %bb.46:
	s_and_not1_saveexec_b32 s3, s3
; %bb.47:
	v_and_b32_e32 v69, 0xffff, v84
	v_or_b32_e32 v71, 0x10000, v84
	s_delay_alu instid0(VALU_DEP_2) | instskip(NEXT) | instid1(VALU_DEP_2)
	v_cmp_eq_u32_e32 vcc_lo, 0, v69
	v_cndmask_b32_e32 v69, v71, v84, vcc_lo
; %bb.48:
	s_or_b32 exec_lo, exec_lo, s3
	v_and_b32_e32 v71, 0x7f800000, v72
	s_delay_alu instid0(VALU_DEP_1) | instskip(SKIP_1) | instid1(SALU_CYCLE_1)
	v_cmp_ne_u32_e32 vcc_lo, 0x7f800000, v71
                                        ; implicit-def: $vgpr71
	s_and_saveexec_b32 s3, vcc_lo
	s_xor_b32 s3, exec_lo, s3
; %bb.49:
	v_bfe_u32 v71, v72, 16, 1
	s_delay_alu instid0(VALU_DEP_1)
	v_add3_u32 v71, v72, v71, 0x7fff
                                        ; implicit-def: $vgpr72
; %bb.50:
	s_and_not1_saveexec_b32 s3, s3
; %bb.51:
	v_and_b32_e32 v71, 0xffff, v72
	v_or_b32_e32 v82, 0x10000, v72
	s_delay_alu instid0(VALU_DEP_2) | instskip(NEXT) | instid1(VALU_DEP_2)
	v_cmp_eq_u32_e32 vcc_lo, 0, v71
	v_cndmask_b32_e32 v71, v82, v72, vcc_lo
; %bb.52:
	s_or_b32 exec_lo, exec_lo, s3
	v_and_b32_e32 v72, 0x7f800000, v81
	s_delay_alu instid0(VALU_DEP_1) | instskip(SKIP_1) | instid1(SALU_CYCLE_1)
	v_cmp_ne_u32_e32 vcc_lo, 0x7f800000, v72
                                        ; implicit-def: $vgpr72
	s_and_saveexec_b32 s3, vcc_lo
	s_xor_b32 s3, exec_lo, s3
; %bb.53:
	v_bfe_u32 v72, v81, 16, 1
	s_delay_alu instid0(VALU_DEP_1)
	v_add3_u32 v72, v81, v72, 0x7fff
                                        ; implicit-def: $vgpr81
; %bb.54:
	s_and_not1_saveexec_b32 s3, s3
; %bb.55:
	v_and_b32_e32 v72, 0xffff, v81
	v_or_b32_e32 v82, 0x10000, v81
	s_delay_alu instid0(VALU_DEP_2) | instskip(NEXT) | instid1(VALU_DEP_2)
	v_cmp_eq_u32_e32 vcc_lo, 0, v72
	v_cndmask_b32_e32 v72, v82, v81, vcc_lo
; %bb.56:
	s_or_b32 exec_lo, exec_lo, s3
	v_and_b32_e32 v81, 0x7f800000, v83
	s_delay_alu instid0(VALU_DEP_1) | instskip(SKIP_1) | instid1(SALU_CYCLE_1)
	v_cmp_ne_u32_e32 vcc_lo, 0x7f800000, v81
                                        ; implicit-def: $vgpr81
	s_and_saveexec_b32 s3, vcc_lo
	s_xor_b32 s3, exec_lo, s3
; %bb.57:
	v_bfe_u32 v81, v83, 16, 1
	s_delay_alu instid0(VALU_DEP_1)
	v_add3_u32 v81, v83, v81, 0x7fff
                                        ; implicit-def: $vgpr83
; %bb.58:
	s_and_not1_saveexec_b32 s3, s3
; %bb.59:
	v_and_b32_e32 v81, 0xffff, v83
	v_or_b32_e32 v82, 0x10000, v83
	s_delay_alu instid0(VALU_DEP_2) | instskip(NEXT) | instid1(VALU_DEP_2)
	v_cmp_eq_u32_e32 vcc_lo, 0, v81
	v_cndmask_b32_e32 v81, v82, v83, vcc_lo
; %bb.60:
	s_or_b32 exec_lo, exec_lo, s3
	v_and_b32_e32 v82, 0x7f800000, v77
	s_delay_alu instid0(VALU_DEP_1) | instskip(SKIP_1) | instid1(SALU_CYCLE_1)
	v_cmp_ne_u32_e32 vcc_lo, 0x7f800000, v82
                                        ; implicit-def: $vgpr82
	s_and_saveexec_b32 s3, vcc_lo
	s_xor_b32 s3, exec_lo, s3
; %bb.61:
	v_bfe_u32 v82, v77, 16, 1
	s_delay_alu instid0(VALU_DEP_1)
	v_add3_u32 v82, v77, v82, 0x7fff
                                        ; implicit-def: $vgpr77
; %bb.62:
	s_and_not1_saveexec_b32 s3, s3
; %bb.63:
	v_and_b32_e32 v82, 0xffff, v77
	v_or_b32_e32 v83, 0x10000, v77
	s_delay_alu instid0(VALU_DEP_2) | instskip(NEXT) | instid1(VALU_DEP_2)
	v_cmp_eq_u32_e32 vcc_lo, 0, v82
	v_cndmask_b32_e32 v82, v83, v77, vcc_lo
; %bb.64:
	s_or_b32 exec_lo, exec_lo, s3
	v_and_b32_e32 v77, 0x7f800000, v78
	s_delay_alu instid0(VALU_DEP_1) | instskip(SKIP_1) | instid1(SALU_CYCLE_1)
	v_cmp_ne_u32_e32 vcc_lo, 0x7f800000, v77
                                        ; implicit-def: $vgpr77
	s_and_saveexec_b32 s3, vcc_lo
	s_xor_b32 s3, exec_lo, s3
; %bb.65:
	v_bfe_u32 v77, v78, 16, 1
	s_delay_alu instid0(VALU_DEP_1)
	v_add3_u32 v77, v78, v77, 0x7fff
                                        ; implicit-def: $vgpr78
; %bb.66:
	s_and_not1_saveexec_b32 s3, s3
; %bb.67:
	v_and_b32_e32 v77, 0xffff, v78
	v_or_b32_e32 v83, 0x10000, v78
	s_delay_alu instid0(VALU_DEP_2) | instskip(NEXT) | instid1(VALU_DEP_2)
	v_cmp_eq_u32_e32 vcc_lo, 0, v77
	v_cndmask_b32_e32 v77, v83, v78, vcc_lo
; %bb.68:
	s_or_b32 exec_lo, exec_lo, s3
	v_and_b32_e32 v78, 0x7f800000, v79
	s_delay_alu instid0(VALU_DEP_1) | instskip(SKIP_1) | instid1(SALU_CYCLE_1)
	v_cmp_ne_u32_e32 vcc_lo, 0x7f800000, v78
                                        ; implicit-def: $vgpr78
	s_and_saveexec_b32 s3, vcc_lo
	s_xor_b32 s3, exec_lo, s3
; %bb.69:
	v_bfe_u32 v78, v79, 16, 1
	s_delay_alu instid0(VALU_DEP_1)
	v_add3_u32 v78, v79, v78, 0x7fff
                                        ; implicit-def: $vgpr79
; %bb.70:
	s_and_not1_saveexec_b32 s3, s3
; %bb.71:
	v_and_b32_e32 v78, 0xffff, v79
	v_or_b32_e32 v83, 0x10000, v79
	s_delay_alu instid0(VALU_DEP_2) | instskip(NEXT) | instid1(VALU_DEP_2)
	v_cmp_eq_u32_e32 vcc_lo, 0, v78
	v_cndmask_b32_e32 v78, v83, v79, vcc_lo
; %bb.72:
	s_or_b32 exec_lo, exec_lo, s3
	v_and_b32_e32 v79, 0x7f800000, v70
	s_delay_alu instid0(VALU_DEP_1) | instskip(SKIP_1) | instid1(SALU_CYCLE_1)
	v_cmp_ne_u32_e32 vcc_lo, 0x7f800000, v79
                                        ; implicit-def: $vgpr79
	s_and_saveexec_b32 s3, vcc_lo
	s_xor_b32 s3, exec_lo, s3
; %bb.73:
	v_bfe_u32 v79, v70, 16, 1
	s_delay_alu instid0(VALU_DEP_1)
	v_add3_u32 v79, v70, v79, 0x7fff
                                        ; implicit-def: $vgpr70
; %bb.74:
	s_and_not1_saveexec_b32 s3, s3
; %bb.75:
	v_and_b32_e32 v79, 0xffff, v70
	v_or_b32_e32 v83, 0x10000, v70
	s_delay_alu instid0(VALU_DEP_2) | instskip(NEXT) | instid1(VALU_DEP_2)
	v_cmp_eq_u32_e32 vcc_lo, 0, v79
	v_cndmask_b32_e32 v79, v83, v70, vcc_lo
; %bb.76:
	s_or_b32 exec_lo, exec_lo, s3
	s_delay_alu instid0(VALU_DEP_1)
	v_perm_b32 v86, v79, v78, 0x7060302
	v_perm_b32 v85, v77, v82, 0x7060302
	;; [unrolled: 1-line block ×4, first 2 shown]
	v_lshl_or_b32 v82, v66, 11, v80
	ds_store_b128 v76, v[83:86] offset:1024
	s_waitcnt lgkmcnt(0)
	s_barrier
	buffer_gl0_inv
	ds_load_b128 v[69:72], v82
	ds_load_b128 v[83:86], v82 offset:16
	s_waitcnt lgkmcnt(1)
	v_lshrrev_b32_e32 v66, 16, v69
	s_waitcnt lgkmcnt(0)
	v_lshrrev_b32_e32 v91, 16, v83
	v_lshlrev_b32_e32 v78, 2, v74
	v_lshrrev_b32_e32 v95, 16, v70
	v_lshrrev_b32_e32 v98, 16, v84
	;; [unrolled: 1-line block ×4, first 2 shown]
	v_cmp_eq_u32_e32 vcc_lo, 1, v78
	v_lshrrev_b32_e32 v97, 16, v72
	v_lshrrev_b32_e32 v100, 16, v86
	v_cndmask_b32_e32 v87, v83, v91, vcc_lo
	v_or_b32_e32 v79, 1, v78
	v_cndmask_b32_e32 v81, v69, v66, vcc_lo
	v_cmp_eq_u32_e64 s4, 2, v78
	v_cmp_eq_u32_e64 s7, 3, v78
	;; [unrolled: 1-line block ×5, first 2 shown]
	v_cndmask_b32_e64 v81, v81, v70, s4
	v_cndmask_b32_e64 v87, v87, v84, s4
	v_cmp_eq_u32_e64 s8, 3, v79
	v_cndmask_b32_e64 v88, v69, v66, s3
	v_or_b32_e32 v77, 2, v78
	v_cndmask_b32_e64 v81, v81, v95, s7
	v_cndmask_b32_e64 v87, v87, v98, s7
	;; [unrolled: 1-line block ×4, first 2 shown]
	v_cmp_eq_u32_e64 s10, 5, v78
	v_cndmask_b32_e64 v81, v81, v71, s9
	v_cndmask_b32_e64 v87, v87, v85, s9
	v_cmp_eq_u32_e64 s11, 4, v79
	v_cndmask_b32_e64 v88, v88, v95, s8
	v_cmp_eq_u32_e64 s5, 1, v77
	v_cndmask_b32_e64 v89, v89, v84, s6
	v_cndmask_b32_e64 v81, v81, v96, s10
	v_cmp_eq_u32_e64 s12, 6, v78
	v_cndmask_b32_e64 v88, v88, v71, s11
	;; [unrolled: 3-line block ×3, first 2 shown]
	v_cndmask_b32_e64 v89, v89, v98, s8
	v_cndmask_b32_e64 v81, v81, v72, s12
	v_cmp_eq_u32_e64 s15, 7, v78
	v_cndmask_b32_e64 v88, v88, v96, s13
	v_cndmask_b32_e64 v87, v87, v86, s12
	v_cmp_eq_u32_e64 s16, 6, v79
	v_cmp_eq_u32_e64 s17, 2, v77
	v_cndmask_b32_e64 v89, v89, v85, s11
	v_cndmask_b32_e64 v101, v81, v97, s15
	;; [unrolled: 1-line block ×6, first 2 shown]
	v_cmp_eq_u32_e64 s18, 7, v79
	v_cmp_eq_u32_e64 s19, 3, v77
	;; [unrolled: 1-line block ×4, first 2 shown]
	v_cndmask_b32_e64 v87, v87, v84, s17
	v_cndmask_b32_e64 v103, v88, v97, s18
	;; [unrolled: 1-line block ×4, first 2 shown]
	v_or_b32_e32 v81, 3, v78
	v_cndmask_b32_e64 v93, v87, v98, s19
	v_cmp_eq_u32_e64 s24, 6, v77
	v_cndmask_b32_e64 v104, v88, v86, s16
	v_cndmask_b32_e64 v92, v89, v71, s20
	v_cmp_eq_u32_e64 s21, 1, v81
	ds_load_b128 v[87:90], v82 offset:1024
	v_cmp_eq_u32_e64 s23, 2, v81
	v_cmp_eq_u32_e64 s25, 3, v81
	v_cndmask_b32_e64 v105, v92, v96, s22
	v_cndmask_b32_e64 v66, v69, v66, s21
	;; [unrolled: 1-line block ×4, first 2 shown]
	ds_load_b128 v[91:94], v82 offset:1040
	v_cmp_eq_u32_e64 s26, 4, v81
	v_cndmask_b32_e64 v66, v66, v70, s23
	v_cmp_eq_u32_e64 s27, 7, v77
	v_cndmask_b32_e64 v70, v83, v84, s23
	v_cndmask_b32_e64 v84, v105, v72, s24
	v_cmp_eq_u32_e64 s28, 5, v81
	v_cndmask_b32_e64 v66, v66, v95, s25
	v_cmp_eq_u32_e64 s29, 6, v81
	v_cndmask_b32_e64 v70, v70, v98, s25
	v_cndmask_b32_e64 v69, v69, v99, s22
	;; [unrolled: 1-line block ×4, first 2 shown]
	s_waitcnt lgkmcnt(1)
	v_lshrrev_b32_e32 v95, 16, v87
	v_cndmask_b32_e64 v70, v70, v85, s26
	v_cndmask_b32_e64 v71, v84, v97, s27
	;; [unrolled: 1-line block ×4, first 2 shown]
	v_cndmask_b32_e32 v84, v87, v95, vcc_lo
	v_cndmask_b32_e64 v70, v70, v99, s28
	s_waitcnt lgkmcnt(0)
	v_lshrrev_b32_e32 v85, 16, v91
	v_lshrrev_b32_e32 v96, 16, v88
	v_cndmask_b32_e64 v98, v87, v95, s3
	v_cndmask_b32_e64 v84, v84, v88, s4
	;; [unrolled: 1-line block ×3, first 2 shown]
	v_cndmask_b32_e32 v99, v91, v85, vcc_lo
	v_cmp_eq_u32_e32 vcc_lo, 7, v81
	v_cndmask_b32_e64 v66, v66, v72, s29
	v_cndmask_b32_e64 v72, v84, v96, s7
	;; [unrolled: 1-line block ×3, first 2 shown]
	v_lshrrev_b32_e32 v98, 16, v92
	v_cndmask_b32_e32 v70, v70, v100, vcc_lo
	v_cndmask_b32_e64 v86, v99, v92, s4
	v_cndmask_b32_e64 v69, v69, v100, s27
	v_lshrrev_b32_e32 v100, 16, v93
	v_cndmask_b32_e64 v72, v72, v89, s9
	v_lshrrev_b32_e32 v99, 16, v89
	v_cndmask_b32_e64 v86, v86, v98, s7
	v_perm_b32 v71, v69, v71, 0x5040100
	v_cndmask_b32_e64 v84, v84, v96, s8
	s_delay_alu instid0(VALU_DEP_3) | instskip(NEXT) | instid1(VALU_DEP_2)
	v_cndmask_b32_e64 v86, v86, v93, s9
	v_cndmask_b32_e64 v84, v84, v89, s11
	s_delay_alu instid0(VALU_DEP_2) | instskip(NEXT) | instid1(VALU_DEP_1)
	v_cndmask_b32_e64 v86, v86, v100, s10
	v_cndmask_b32_e64 v69, v86, v94, s12
	;; [unrolled: 1-line block ×5, first 2 shown]
	s_delay_alu instid0(VALU_DEP_3) | instskip(NEXT) | instid1(VALU_DEP_3)
	v_cndmask_b32_e64 v86, v86, v88, s17
	v_cndmask_b32_e64 v87, v87, v88, s23
	s_delay_alu instid0(VALU_DEP_3) | instskip(NEXT) | instid1(VALU_DEP_3)
	v_cndmask_b32_e64 v88, v95, v92, s23
	v_cndmask_b32_e64 v86, v86, v96, s19
	;; [unrolled: 3-line block ×7, first 2 shown]
	s_delay_alu instid0(VALU_DEP_3) | instskip(SKIP_2) | instid1(VALU_DEP_2)
	v_cndmask_b32_e64 v88, v88, v94, s29
	v_cndmask_b32_e32 v66, v66, v97, vcc_lo
	v_cndmask_b32_e64 v97, v72, v99, s10
	v_perm_b32 v72, v70, v66, 0x5040100
	v_perm_b32 v70, v83, v103, 0x5040100
	v_cndmask_b32_e64 v103, v91, v85, s5
	v_cndmask_b32_e64 v85, v91, v85, s3
	v_cndmask_b32_e64 v66, v84, v99, s13
	v_cndmask_b32_e64 v84, v97, v90, s12
	v_lshrrev_b32_e32 v97, 16, v90
	v_cndmask_b32_e64 v91, v103, v92, s17
	v_cndmask_b32_e64 v85, v85, v92, s6
	;; [unrolled: 1-line block ×3, first 2 shown]
	s_mov_b32 s3, exec_lo
	v_cndmask_b32_e64 v83, v84, v97, s15
	v_cndmask_b32_e64 v91, v91, v98, s19
	;; [unrolled: 1-line block ×3, first 2 shown]
	v_lshrrev_b32_e32 v84, 16, v94
	v_cndmask_b32_e64 v66, v66, v97, s18
	v_cndmask_b32_e64 v90, v86, v97, s27
	;; [unrolled: 1-line block ×4, first 2 shown]
	v_dual_cndmask_b32 v86, v87, v97 :: v_dual_cndmask_b32 v87, v88, v84
	v_cndmask_b32_e64 v91, v69, v84, s15
	s_delay_alu instid0(VALU_DEP_4) | instskip(NEXT) | instid1(VALU_DEP_4)
	v_cndmask_b32_e64 v89, v89, v100, s22
	v_cndmask_b32_e64 v85, v85, v100, s13
	v_perm_b32 v69, v102, v101, 0x5040100
	v_perm_b32 v86, v87, v86, 0x5040100
	;; [unrolled: 1-line block ×3, first 2 shown]
	v_cndmask_b32_e64 v89, v89, v94, s24
	v_cndmask_b32_e64 v85, v85, v94, s16
	s_mul_i32 s8, s35, 5
	s_delay_alu instid0(VALU_DEP_2) | instskip(NEXT) | instid1(VALU_DEP_2)
	v_cndmask_b32_e64 v88, v89, v84, s27
	v_cndmask_b32_e64 v89, v85, v84, s18
	s_delay_alu instid0(VALU_DEP_2) | instskip(NEXT) | instid1(VALU_DEP_2)
	v_perm_b32 v85, v88, v90, 0x5040100
	v_perm_b32 v84, v89, v66, 0x5040100
	ds_store_b128 v76, v[69:72]
	ds_store_b128 v76, v[83:86] offset:1024
	v_cmpx_gt_u32_e32 5, v0
	s_cbranch_execz .LBB1530_78
; %bb.77:
	s_mul_i32 s4, s8, s30
	s_delay_alu instid0(SALU_CYCLE_1) | instskip(SKIP_1) | instid1(VALU_DEP_1)
	v_add3_u32 v69, s4, s31, v65
	s_load_b128 s[4:7], s[0:1], 0x58
	v_mad_u64_u32 v[65:66], null, v69, s34, s[14:15]
	s_delay_alu instid0(VALU_DEP_1) | instskip(NEXT) | instid1(VALU_DEP_1)
	v_ashrrev_i32_e32 v66, 31, v65
	v_lshlrev_b64 v[65:66], 2, v[65:66]
	s_waitcnt lgkmcnt(0)
	s_delay_alu instid0(VALU_DEP_1) | instskip(NEXT) | instid1(VALU_DEP_2)
	v_add_co_u32 v69, vcc_lo, s6, v65
	v_add_co_ci_u32_e32 v70, vcc_lo, s7, v66, vcc_lo
	v_add_co_u32 v65, vcc_lo, s4, v65
	v_add_co_ci_u32_e32 v66, vcc_lo, s5, v66, vcc_lo
	global_store_b32 v[69:70], v67, off
	global_store_b32 v[65:66], v68, off
.LBB1530_78:
	s_or_b32 exec_lo, exec_lo, s3
	s_waitcnt lgkmcnt(0)
	s_waitcnt_vscnt null, 0x0
	s_barrier
	buffer_gl0_inv
	ds_load_b128 v[83:86], v80
	ds_load_b128 v[87:90], v80 offset:16
	ds_load_b128 v[95:98], v80 offset:2064
	;; [unrolled: 1-line block ×3, first 2 shown]
	v_mov_b32_e32 v65, 0
	ds_load_b128 v[103:106], v80 offset:4112
	ds_load_b128 v[99:102], v80 offset:4096
	;; [unrolled: 1-line block ×4, first 2 shown]
	v_mov_b32_e32 v66, v65
	v_mov_b32_e32 v67, v65
	;; [unrolled: 1-line block ×7, first 2 shown]
	s_waitcnt lgkmcnt(6)
	s_delay_alu instid0(VALU_DEP_1)
	v_wmma_f32_16x16x16_bf16 v[65:72], v[41:48], v[83:90], v[65:72]
	ds_load_b128 v[45:48], v80 offset:8208
	ds_load_b128 v[41:44], v80 offset:8192
	s_waitcnt lgkmcnt(6)
	v_wmma_f32_16x16x16_bf16 v[65:72], v[33:40], v[91:98], v[65:72]
	ds_load_b128 v[37:40], v80 offset:10256
	ds_load_b128 v[33:36], v80 offset:10240
	s_waitcnt lgkmcnt(6)
	v_wmma_f32_16x16x16_bf16 v[65:72], v[25:32], v[99:106], v[65:72]
	ds_load_b128 v[29:32], v80 offset:12304
	ds_load_b128 v[25:28], v80 offset:12288
	s_waitcnt lgkmcnt(6)
	v_wmma_f32_16x16x16_bf16 v[65:72], v[17:24], v[107:114], v[65:72]
	ds_load_b128 v[21:24], v80 offset:14352
	ds_load_b128 v[17:20], v80 offset:14336
	s_waitcnt lgkmcnt(6)
	v_wmma_f32_16x16x16_bf16 v[65:72], v[1:8], v[41:48], v[65:72]
	s_waitcnt lgkmcnt(4)
	s_delay_alu instid0(VALU_DEP_1) | instskip(SKIP_1) | instid1(VALU_DEP_1)
	v_wmma_f32_16x16x16_bf16 v[65:72], v[9:16], v[33:40], v[65:72]
	s_waitcnt lgkmcnt(2)
	v_wmma_f32_16x16x16_bf16 v[65:72], v[57:64], v[25:32], v[65:72]
	s_waitcnt lgkmcnt(0)
	s_delay_alu instid0(VALU_DEP_1) | instskip(NEXT) | instid1(VALU_DEP_1)
	v_wmma_f32_16x16x16_bf16 v[65:72], v[49:56], v[17:24], v[65:72]
	v_and_b32_e32 v1, 0x7f800000, v65
	s_delay_alu instid0(VALU_DEP_1) | instskip(SKIP_1) | instid1(SALU_CYCLE_1)
	v_cmp_ne_u32_e32 vcc_lo, 0x7f800000, v1
                                        ; implicit-def: $vgpr1
	s_and_saveexec_b32 s3, vcc_lo
	s_xor_b32 s3, exec_lo, s3
; %bb.79:
	v_bfe_u32 v1, v65, 16, 1
	s_delay_alu instid0(VALU_DEP_1)
	v_add3_u32 v1, v65, v1, 0x7fff
; %bb.80:
	s_and_not1_saveexec_b32 s3, s3
; %bb.81:
	v_and_b32_e32 v1, 0xffff, v65
	v_or_b32_e32 v2, 0x10000, v65
	s_delay_alu instid0(VALU_DEP_2) | instskip(NEXT) | instid1(VALU_DEP_2)
	v_cmp_eq_u32_e32 vcc_lo, 0, v1
	v_cndmask_b32_e32 v1, v2, v65, vcc_lo
; %bb.82:
	s_or_b32 exec_lo, exec_lo, s3
	v_and_b32_e32 v2, 0x7f800000, v66
	s_delay_alu instid0(VALU_DEP_1) | instskip(SKIP_1) | instid1(SALU_CYCLE_1)
	v_cmp_ne_u32_e32 vcc_lo, 0x7f800000, v2
                                        ; implicit-def: $vgpr2
	s_and_saveexec_b32 s3, vcc_lo
	s_xor_b32 s3, exec_lo, s3
; %bb.83:
	v_bfe_u32 v2, v66, 16, 1
	s_delay_alu instid0(VALU_DEP_1)
	v_add3_u32 v2, v66, v2, 0x7fff
; %bb.84:
	s_and_not1_saveexec_b32 s3, s3
; %bb.85:
	v_and_b32_e32 v2, 0xffff, v66
	v_or_b32_e32 v3, 0x10000, v66
	s_delay_alu instid0(VALU_DEP_2) | instskip(NEXT) | instid1(VALU_DEP_2)
	v_cmp_eq_u32_e32 vcc_lo, 0, v2
	v_cndmask_b32_e32 v2, v3, v66, vcc_lo
; %bb.86:
	s_or_b32 exec_lo, exec_lo, s3
	v_and_b32_e32 v3, 0x7f800000, v67
	s_delay_alu instid0(VALU_DEP_1) | instskip(SKIP_1) | instid1(SALU_CYCLE_1)
	v_cmp_ne_u32_e32 vcc_lo, 0x7f800000, v3
                                        ; implicit-def: $vgpr3
	s_and_saveexec_b32 s3, vcc_lo
	s_xor_b32 s3, exec_lo, s3
; %bb.87:
	v_bfe_u32 v3, v67, 16, 1
	s_delay_alu instid0(VALU_DEP_1)
	v_add3_u32 v3, v67, v3, 0x7fff
; %bb.88:
	s_and_not1_saveexec_b32 s3, s3
; %bb.89:
	v_and_b32_e32 v3, 0xffff, v67
	v_or_b32_e32 v4, 0x10000, v67
	s_delay_alu instid0(VALU_DEP_2) | instskip(NEXT) | instid1(VALU_DEP_2)
	v_cmp_eq_u32_e32 vcc_lo, 0, v3
	v_cndmask_b32_e32 v3, v4, v67, vcc_lo
; %bb.90:
	s_or_b32 exec_lo, exec_lo, s3
	v_and_b32_e32 v4, 0x7f800000, v68
	s_delay_alu instid0(VALU_DEP_1) | instskip(SKIP_1) | instid1(SALU_CYCLE_1)
	v_cmp_ne_u32_e32 vcc_lo, 0x7f800000, v4
                                        ; implicit-def: $vgpr4
	s_and_saveexec_b32 s3, vcc_lo
	s_xor_b32 s3, exec_lo, s3
; %bb.91:
	v_bfe_u32 v4, v68, 16, 1
	s_delay_alu instid0(VALU_DEP_1)
	v_add3_u32 v4, v68, v4, 0x7fff
; %bb.92:
	s_and_not1_saveexec_b32 s3, s3
; %bb.93:
	v_and_b32_e32 v4, 0xffff, v68
	v_or_b32_e32 v5, 0x10000, v68
	s_delay_alu instid0(VALU_DEP_2) | instskip(NEXT) | instid1(VALU_DEP_2)
	v_cmp_eq_u32_e32 vcc_lo, 0, v4
	v_cndmask_b32_e32 v4, v5, v68, vcc_lo
; %bb.94:
	s_or_b32 exec_lo, exec_lo, s3
	v_and_b32_e32 v5, 0x7f800000, v69
	s_delay_alu instid0(VALU_DEP_1) | instskip(SKIP_1) | instid1(SALU_CYCLE_1)
	v_cmp_ne_u32_e32 vcc_lo, 0x7f800000, v5
                                        ; implicit-def: $vgpr5
	s_and_saveexec_b32 s3, vcc_lo
	s_xor_b32 s3, exec_lo, s3
; %bb.95:
	v_bfe_u32 v5, v69, 16, 1
	s_delay_alu instid0(VALU_DEP_1)
	v_add3_u32 v5, v69, v5, 0x7fff
; %bb.96:
	s_and_not1_saveexec_b32 s3, s3
; %bb.97:
	v_and_b32_e32 v5, 0xffff, v69
	v_or_b32_e32 v6, 0x10000, v69
	s_delay_alu instid0(VALU_DEP_2) | instskip(NEXT) | instid1(VALU_DEP_2)
	v_cmp_eq_u32_e32 vcc_lo, 0, v5
	v_cndmask_b32_e32 v5, v6, v69, vcc_lo
; %bb.98:
	s_or_b32 exec_lo, exec_lo, s3
	v_and_b32_e32 v6, 0x7f800000, v70
	s_delay_alu instid0(VALU_DEP_1) | instskip(SKIP_1) | instid1(SALU_CYCLE_1)
	v_cmp_ne_u32_e32 vcc_lo, 0x7f800000, v6
                                        ; implicit-def: $vgpr6
	s_and_saveexec_b32 s3, vcc_lo
	s_xor_b32 s3, exec_lo, s3
; %bb.99:
	v_bfe_u32 v6, v70, 16, 1
	s_delay_alu instid0(VALU_DEP_1)
	v_add3_u32 v6, v70, v6, 0x7fff
; %bb.100:
	s_and_not1_saveexec_b32 s3, s3
; %bb.101:
	v_and_b32_e32 v6, 0xffff, v70
	v_or_b32_e32 v7, 0x10000, v70
	s_delay_alu instid0(VALU_DEP_2) | instskip(NEXT) | instid1(VALU_DEP_2)
	v_cmp_eq_u32_e32 vcc_lo, 0, v6
	v_cndmask_b32_e32 v6, v7, v70, vcc_lo
; %bb.102:
	s_or_b32 exec_lo, exec_lo, s3
	v_and_b32_e32 v7, 0x7f800000, v71
	s_delay_alu instid0(VALU_DEP_1) | instskip(SKIP_1) | instid1(SALU_CYCLE_1)
	v_cmp_ne_u32_e32 vcc_lo, 0x7f800000, v7
                                        ; implicit-def: $vgpr7
	s_and_saveexec_b32 s3, vcc_lo
	s_xor_b32 s3, exec_lo, s3
; %bb.103:
	v_bfe_u32 v7, v71, 16, 1
	s_delay_alu instid0(VALU_DEP_1)
	v_add3_u32 v7, v71, v7, 0x7fff
; %bb.104:
	s_and_not1_saveexec_b32 s3, s3
; %bb.105:
	v_and_b32_e32 v7, 0xffff, v71
	v_or_b32_e32 v8, 0x10000, v71
	s_delay_alu instid0(VALU_DEP_2) | instskip(NEXT) | instid1(VALU_DEP_2)
	v_cmp_eq_u32_e32 vcc_lo, 0, v7
	v_cndmask_b32_e32 v7, v8, v71, vcc_lo
; %bb.106:
	s_or_b32 exec_lo, exec_lo, s3
	v_and_b32_e32 v8, 0x7f800000, v72
	s_delay_alu instid0(VALU_DEP_1) | instskip(SKIP_1) | instid1(SALU_CYCLE_1)
	v_cmp_ne_u32_e32 vcc_lo, 0x7f800000, v8
                                        ; implicit-def: $vgpr8
	s_and_saveexec_b32 s3, vcc_lo
	s_xor_b32 s3, exec_lo, s3
; %bb.107:
	v_bfe_u32 v8, v72, 16, 1
	s_delay_alu instid0(VALU_DEP_1)
	v_add3_u32 v8, v72, v8, 0x7fff
                                        ; implicit-def: $vgpr65_vgpr66_vgpr67_vgpr68_vgpr69_vgpr70_vgpr71_vgpr72
; %bb.108:
	s_and_not1_saveexec_b32 s3, s3
; %bb.109:
	v_and_b32_e32 v8, 0xffff, v72
	v_or_b32_e32 v9, 0x10000, v72
	s_delay_alu instid0(VALU_DEP_2) | instskip(NEXT) | instid1(VALU_DEP_2)
	v_cmp_eq_u32_e32 vcc_lo, 0, v8
	v_cndmask_b32_e32 v8, v9, v72, vcc_lo
; %bb.110:
	s_or_b32 exec_lo, exec_lo, s3
	s_delay_alu instid0(VALU_DEP_1)
	v_perm_b32 v7, v8, v7, 0x7060302
	v_perm_b32 v6, v6, v5, 0x7060302
	;; [unrolled: 1-line block ×4, first 2 shown]
	s_barrier
	buffer_gl0_inv
	v_cmp_eq_u32_e32 vcc_lo, 1, v78
	ds_store_b128 v76, v[4:7]
	s_waitcnt lgkmcnt(0)
	s_barrier
	buffer_gl0_inv
	ds_load_b128 v[1:4], v82
	ds_load_b128 v[5:8], v82 offset:16
	v_cmp_eq_u32_e64 s3, 1, v79
	v_cmp_eq_u32_e64 s4, 2, v78
	;; [unrolled: 1-line block ×5, first 2 shown]
	s_waitcnt lgkmcnt(1)
	v_lshrrev_b32_e32 v9, 16, v1
	s_waitcnt lgkmcnt(0)
	v_lshrrev_b32_e32 v13, 16, v5
	v_lshrrev_b32_e32 v10, 16, v2
	v_lshrrev_b32_e32 v14, 16, v6
	v_lshrrev_b32_e32 v11, 16, v3
	v_cndmask_b32_e64 v19, v1, v9, s3
	v_cndmask_b32_e32 v18, v5, v13, vcc_lo
	v_cndmask_b32_e64 v20, v5, v13, s3
	v_cndmask_b32_e32 v17, v1, v9, vcc_lo
	v_cmp_eq_u32_e32 vcc_lo, 2, v79
	v_lshrrev_b32_e32 v15, 16, v7
	v_cmp_eq_u32_e64 s3, 1, v77
	v_lshrrev_b32_e32 v12, 16, v4
	v_lshrrev_b32_e32 v16, 16, v8
	v_cndmask_b32_e32 v20, v20, v6, vcc_lo
	v_cndmask_b32_e64 v17, v17, v2, s4
	v_cndmask_b32_e32 v19, v19, v2, vcc_lo
	v_cndmask_b32_e64 v18, v18, v6, s4
	v_cmp_eq_u32_e32 vcc_lo, 4, v78
	v_cmp_eq_u32_e64 s4, 3, v79
	v_cndmask_b32_e64 v17, v17, v10, s5
	v_cndmask_b32_e64 v21, v1, v9, s3
	v_cndmask_b32_e64 v18, v18, v14, s5
	v_cndmask_b32_e64 v22, v5, v13, s3
	v_cndmask_b32_e64 v19, v19, v10, s4
	v_cndmask_b32_e32 v17, v17, v3, vcc_lo
	v_cndmask_b32_e64 v20, v20, v14, s4
	v_cndmask_b32_e32 v18, v18, v7, vcc_lo
	v_cmp_eq_u32_e32 vcc_lo, 4, v79
	v_cmp_eq_u32_e64 s4, 5, v79
	v_cmp_eq_u32_e64 s3, 2, v81
	v_cndmask_b32_e64 v21, v21, v2, s7
	v_cmp_eq_u32_e64 s5, 5, v78
	v_cndmask_b32_e32 v19, v19, v3, vcc_lo
	v_cndmask_b32_e32 v20, v20, v7, vcc_lo
	v_cmp_eq_u32_e32 vcc_lo, 6, v79
	s_delay_alu instid0(VALU_DEP_4) | instskip(NEXT) | instid1(VALU_DEP_4)
	v_cndmask_b32_e64 v17, v17, v11, s5
	v_cndmask_b32_e64 v19, v19, v11, s4
	s_delay_alu instid0(VALU_DEP_4) | instskip(SKIP_1) | instid1(VALU_DEP_3)
	v_cndmask_b32_e64 v20, v20, v15, s4
	v_cmp_eq_u32_e64 s4, 1, v81
	v_cndmask_b32_e32 v19, v19, v4, vcc_lo
	v_cndmask_b32_e64 v18, v18, v15, s5
	s_delay_alu instid0(VALU_DEP_3)
	v_cndmask_b32_e64 v1, v1, v9, s4
	v_cndmask_b32_e64 v5, v5, v13, s4
	v_cmp_eq_u32_e64 s4, 3, v77
	v_cndmask_b32_e64 v13, v22, v6, s7
	v_cmp_eq_u32_e64 s7, 3, v81
	v_cndmask_b32_e64 v1, v1, v2, s3
	v_cndmask_b32_e64 v2, v5, v6, s3
	;; [unrolled: 1-line block ×3, first 2 shown]
	v_cmp_eq_u32_e64 s3, 4, v77
	v_cndmask_b32_e64 v6, v13, v14, s4
	v_cndmask_b32_e64 v1, v1, v10, s7
	v_cmp_eq_u32_e64 s4, 4, v81
	v_cndmask_b32_e64 v2, v2, v14, s7
	v_cndmask_b32_e64 v5, v9, v3, s3
	;; [unrolled: 3-line block ×3, first 2 shown]
	v_cndmask_b32_e64 v2, v2, v7, s4
	v_cmp_eq_u32_e64 s3, 5, v81
	v_cmp_eq_u32_e64 s5, 6, v78
	v_cndmask_b32_e64 v5, v5, v11, s7
	v_cmp_eq_u32_e64 s4, 6, v77
	v_cndmask_b32_e64 v3, v6, v15, s7
	v_cndmask_b32_e64 v1, v1, v11, s3
	v_cmp_eq_u32_e64 s7, 6, v81
	v_cndmask_b32_e64 v2, v2, v15, s3
	v_cndmask_b32_e64 v17, v17, v4, s5
	v_cndmask_b32_e64 v18, v18, v8, s5
	v_cmp_eq_u32_e64 s5, 7, v78
	v_cndmask_b32_e64 v5, v5, v4, s4
	;; [unrolled: 4-line block ×3, first 2 shown]
	v_cmp_eq_u32_e64 s4, 7, v77
	v_cndmask_b32_e32 v4, v20, v8, vcc_lo
	v_cndmask_b32_e64 v17, v17, v12, s5
	v_cndmask_b32_e64 v19, v19, v12, s6
	;; [unrolled: 1-line block ×8, first 2 shown]
	s_mov_b32 s3, exec_lo
	v_perm_b32 v4, v2, v1, 0x5040100
	v_perm_b32 v3, v3, v5, 0x5040100
	;; [unrolled: 1-line block ×4, first 2 shown]
	ds_store_b128 v76, v[1:4]
	s_waitcnt lgkmcnt(0)
	s_barrier
	buffer_gl0_inv
	v_cmpx_gt_u32_e32 32, v0
	s_cbranch_execz .LBB1530_2
; %bb.111:
	s_load_b64 s[4:5], s[0:1], 0x68
	v_lshlrev_b32_e32 v0, 10, v0
	v_add_nc_u32_e32 v2, s31, v74
	v_lshlrev_b32_e32 v3, 4, v75
	s_lshl_b32 s0, s34, 7
	s_delay_alu instid0(SALU_CYCLE_1) | instskip(NEXT) | instid1(VALU_DEP_2)
	s_mul_i32 s1, s0, s30
	v_mul_lo_u32 v1, v2, s0
	s_delay_alu instid0(VALU_DEP_2) | instskip(SKIP_2) | instid1(SALU_CYCLE_1)
	v_and_or_b32 v0, 0x3800, v0, v3
	v_add_nc_u32_e32 v2, 2, v2
	s_mul_i32 s6, s1, s8
	s_ashr_i32 s7, s6, 31
	s_delay_alu instid0(VALU_DEP_2)
	v_lshl_or_b32 v7, v74, 6, v0
	s_lshl_b64 s[6:7], s[6:7], 1
	v_mul_lo_u32 v11, v2, s0
	v_ashrrev_i32_e32 v2, 31, v1
	ds_load_b128 v[3:6], v7
	ds_load_b128 v[7:10], v7 offset:128
	s_waitcnt lgkmcnt(0)
	s_add_u32 s1, s4, s6
	s_addc_u32 s3, s5, s7
	s_lshl_b32 s4, s14, 7
	v_ashrrev_i32_e32 v12, 31, v11
	s_ashr_i32 s5, s4, 31
	v_lshlrev_b64 v[13:14], 1, v[1:2]
	s_lshl_b64 s[4:5], s[4:5], 1
	s_delay_alu instid0(SALU_CYCLE_1) | instskip(SKIP_2) | instid1(VALU_DEP_1)
	s_add_u32 s1, s1, s4
	s_addc_u32 s3, s3, s5
	v_add_co_u32 v1, s1, s1, v73
	v_add_co_ci_u32_e64 v2, null, s3, 0, s1
	v_lshlrev_b64 v[11:12], 1, v[11:12]
	s_delay_alu instid0(VALU_DEP_3) | instskip(NEXT) | instid1(VALU_DEP_3)
	v_add_co_u32 v13, vcc_lo, v1, v13
	v_add_co_ci_u32_e32 v14, vcc_lo, v2, v14, vcc_lo
	s_delay_alu instid0(VALU_DEP_3) | instskip(NEXT) | instid1(VALU_DEP_4)
	v_add_co_u32 v11, vcc_lo, v1, v11
	v_add_co_ci_u32_e32 v12, vcc_lo, v2, v12, vcc_lo
	s_clause 0x1
	global_store_b128 v[13:14], v[3:6], off
	global_store_b128 v[11:12], v[7:10], off
	s_and_b32 exec_lo, exec_lo, s2
	s_cbranch_execz .LBB1530_2
; %bb.112:
	ds_load_b128 v[3:6], v0 offset:256
	s_add_i32 s1, s31, 4
	s_delay_alu instid0(SALU_CYCLE_1) | instskip(NEXT) | instid1(SALU_CYCLE_1)
	s_mul_i32 s0, s1, s0
	s_ashr_i32 s1, s0, 31
	s_delay_alu instid0(SALU_CYCLE_1) | instskip(NEXT) | instid1(SALU_CYCLE_1)
	s_lshl_b64 s[0:1], s[0:1], 1
	v_add_co_u32 v0, vcc_lo, v1, s0
	v_add_co_ci_u32_e32 v1, vcc_lo, s1, v2, vcc_lo
	s_waitcnt lgkmcnt(0)
	global_store_b128 v[0:1], v[3:6], off
	s_nop 0
	s_sendmsg sendmsg(MSG_DEALLOC_VGPRS)
	s_endpgm
	.section	.rodata,"a",@progbits
	.p2align	6, 0x0
	.amdhsa_kernel _Z39paged_attention_ll4mi_QKV_mfma16_kernelI14__hip_bfloat16hLN4vllm18Fp8KVCacheDataTypeE1EhLi16ELi128ELi256ELb0ELi5EL8MFMAType1EEvPKT_PKT0_S9_ifPKiSB_SB_iPKfiiiPfSE_PS4_PT2_iSD_SD_
		.amdhsa_group_segment_fixed_size 17472
		.amdhsa_private_segment_fixed_size 0
		.amdhsa_kernarg_size 400
		.amdhsa_user_sgpr_count 13
		.amdhsa_user_sgpr_dispatch_ptr 0
		.amdhsa_user_sgpr_queue_ptr 0
		.amdhsa_user_sgpr_kernarg_segment_ptr 1
		.amdhsa_user_sgpr_dispatch_id 0
		.amdhsa_user_sgpr_private_segment_size 0
		.amdhsa_wavefront_size32 1
		.amdhsa_uses_dynamic_stack 0
		.amdhsa_enable_private_segment 0
		.amdhsa_system_sgpr_workgroup_id_x 1
		.amdhsa_system_sgpr_workgroup_id_y 1
		.amdhsa_system_sgpr_workgroup_id_z 1
		.amdhsa_system_sgpr_workgroup_info 0
		.amdhsa_system_vgpr_workitem_id 0
		.amdhsa_next_free_vgpr 140
		.amdhsa_next_free_sgpr 36
		.amdhsa_reserve_vcc 1
		.amdhsa_float_round_mode_32 0
		.amdhsa_float_round_mode_16_64 0
		.amdhsa_float_denorm_mode_32 3
		.amdhsa_float_denorm_mode_16_64 3
		.amdhsa_dx10_clamp 1
		.amdhsa_ieee_mode 1
		.amdhsa_fp16_overflow 0
		.amdhsa_workgroup_processor_mode 1
		.amdhsa_memory_ordered 1
		.amdhsa_forward_progress 0
		.amdhsa_shared_vgpr_count 0
		.amdhsa_exception_fp_ieee_invalid_op 0
		.amdhsa_exception_fp_denorm_src 0
		.amdhsa_exception_fp_ieee_div_zero 0
		.amdhsa_exception_fp_ieee_overflow 0
		.amdhsa_exception_fp_ieee_underflow 0
		.amdhsa_exception_fp_ieee_inexact 0
		.amdhsa_exception_int_div_zero 0
	.end_amdhsa_kernel
	.section	.text._Z39paged_attention_ll4mi_QKV_mfma16_kernelI14__hip_bfloat16hLN4vllm18Fp8KVCacheDataTypeE1EhLi16ELi128ELi256ELb0ELi5EL8MFMAType1EEvPKT_PKT0_S9_ifPKiSB_SB_iPKfiiiPfSE_PS4_PT2_iSD_SD_,"axG",@progbits,_Z39paged_attention_ll4mi_QKV_mfma16_kernelI14__hip_bfloat16hLN4vllm18Fp8KVCacheDataTypeE1EhLi16ELi128ELi256ELb0ELi5EL8MFMAType1EEvPKT_PKT0_S9_ifPKiSB_SB_iPKfiiiPfSE_PS4_PT2_iSD_SD_,comdat
.Lfunc_end1530:
	.size	_Z39paged_attention_ll4mi_QKV_mfma16_kernelI14__hip_bfloat16hLN4vllm18Fp8KVCacheDataTypeE1EhLi16ELi128ELi256ELb0ELi5EL8MFMAType1EEvPKT_PKT0_S9_ifPKiSB_SB_iPKfiiiPfSE_PS4_PT2_iSD_SD_, .Lfunc_end1530-_Z39paged_attention_ll4mi_QKV_mfma16_kernelI14__hip_bfloat16hLN4vllm18Fp8KVCacheDataTypeE1EhLi16ELi128ELi256ELb0ELi5EL8MFMAType1EEvPKT_PKT0_S9_ifPKiSB_SB_iPKfiiiPfSE_PS4_PT2_iSD_SD_
                                        ; -- End function
	.section	.AMDGPU.csdata,"",@progbits
; Kernel info:
; codeLenInByte = 8904
; NumSgprs: 38
; NumVgprs: 140
; ScratchSize: 0
; MemoryBound: 0
; FloatMode: 240
; IeeeMode: 1
; LDSByteSize: 17472 bytes/workgroup (compile time only)
; SGPRBlocks: 4
; VGPRBlocks: 17
; NumSGPRsForWavesPerEU: 38
; NumVGPRsForWavesPerEU: 140
; Occupancy: 10
; WaveLimiterHint : 1
; COMPUTE_PGM_RSRC2:SCRATCH_EN: 0
; COMPUTE_PGM_RSRC2:USER_SGPR: 13
; COMPUTE_PGM_RSRC2:TRAP_HANDLER: 0
; COMPUTE_PGM_RSRC2:TGID_X_EN: 1
; COMPUTE_PGM_RSRC2:TGID_Y_EN: 1
; COMPUTE_PGM_RSRC2:TGID_Z_EN: 1
; COMPUTE_PGM_RSRC2:TIDIG_COMP_CNT: 0
	.section	.text._Z39paged_attention_ll4mi_QKV_mfma16_kernelI14__hip_bfloat16hLN4vllm18Fp8KVCacheDataTypeE1EhLi16ELi128ELi256ELb0ELi6EL8MFMAType1EEvPKT_PKT0_S9_ifPKiSB_SB_iPKfiiiPfSE_PS4_PT2_iSD_SD_,"axG",@progbits,_Z39paged_attention_ll4mi_QKV_mfma16_kernelI14__hip_bfloat16hLN4vllm18Fp8KVCacheDataTypeE1EhLi16ELi128ELi256ELb0ELi6EL8MFMAType1EEvPKT_PKT0_S9_ifPKiSB_SB_iPKfiiiPfSE_PS4_PT2_iSD_SD_,comdat
	.protected	_Z39paged_attention_ll4mi_QKV_mfma16_kernelI14__hip_bfloat16hLN4vllm18Fp8KVCacheDataTypeE1EhLi16ELi128ELi256ELb0ELi6EL8MFMAType1EEvPKT_PKT0_S9_ifPKiSB_SB_iPKfiiiPfSE_PS4_PT2_iSD_SD_ ; -- Begin function _Z39paged_attention_ll4mi_QKV_mfma16_kernelI14__hip_bfloat16hLN4vllm18Fp8KVCacheDataTypeE1EhLi16ELi128ELi256ELb0ELi6EL8MFMAType1EEvPKT_PKT0_S9_ifPKiSB_SB_iPKfiiiPfSE_PS4_PT2_iSD_SD_
	.globl	_Z39paged_attention_ll4mi_QKV_mfma16_kernelI14__hip_bfloat16hLN4vllm18Fp8KVCacheDataTypeE1EhLi16ELi128ELi256ELb0ELi6EL8MFMAType1EEvPKT_PKT0_S9_ifPKiSB_SB_iPKfiiiPfSE_PS4_PT2_iSD_SD_
	.p2align	8
	.type	_Z39paged_attention_ll4mi_QKV_mfma16_kernelI14__hip_bfloat16hLN4vllm18Fp8KVCacheDataTypeE1EhLi16ELi128ELi256ELb0ELi6EL8MFMAType1EEvPKT_PKT0_S9_ifPKiSB_SB_iPKfiiiPfSE_PS4_PT2_iSD_SD_,@function
_Z39paged_attention_ll4mi_QKV_mfma16_kernelI14__hip_bfloat16hLN4vllm18Fp8KVCacheDataTypeE1EhLi16ELi128ELi256ELb0ELi6EL8MFMAType1EEvPKT_PKT0_S9_ifPKiSB_SB_iPKfiiiPfSE_PS4_PT2_iSD_SD_: ; @_Z39paged_attention_ll4mi_QKV_mfma16_kernelI14__hip_bfloat16hLN4vllm18Fp8KVCacheDataTypeE1EhLi16ELi128ELi256ELb0ELi6EL8MFMAType1EEvPKT_PKT0_S9_ifPKiSB_SB_iPKfiiiPfSE_PS4_PT2_iSD_SD_
; %bb.0:
	s_load_b64 s[4:5], s[0:1], 0x30
	s_mov_b32 s30, s13
	s_waitcnt lgkmcnt(0)
	s_cmp_lg_u64 s[4:5], 0
	s_cselect_b32 s13, -1, 0
	s_ashr_i32 s31, s30, 31
	s_cmp_eq_u64 s[4:5], 0
	s_cbranch_scc1 .LBB1531_3
; %bb.1:
	s_lshl_b64 s[2:3], s[30:31], 2
	s_delay_alu instid0(SALU_CYCLE_1) | instskip(SKIP_4) | instid1(SALU_CYCLE_1)
	s_add_u32 s2, s4, s2
	s_addc_u32 s3, s5, s3
	s_load_b64 s[2:3], s[2:3], 0x0
	s_waitcnt lgkmcnt(0)
	s_sub_i32 s2, s3, s2
	s_cmp_eq_u32 s2, 1
	s_cselect_b32 s2, -1, 0
	s_delay_alu instid0(SALU_CYCLE_1)
	s_and_not1_b32 vcc_lo, exec_lo, s2
	s_cbranch_vccz .LBB1531_4
.LBB1531_2:
	s_endpgm
.LBB1531_3:
.LBB1531_4:
	s_load_b64 s[2:3], s[0:1], 0x28
	s_lshl_b64 s[6:7], s[30:31], 2
	s_waitcnt lgkmcnt(0)
	s_add_u32 s2, s2, s6
	s_addc_u32 s3, s3, s7
	s_lshl_b32 s12, s14, 8
	s_load_b32 s17, s[2:3], 0x0
	s_waitcnt lgkmcnt(0)
	s_cmp_ge_i32 s12, s17
	s_cbranch_scc1 .LBB1531_2
; %bb.5:
	s_clause 0x1
	s_load_b128 s[8:11], s[0:1], 0x8
	s_load_b64 s[2:3], s[0:1], 0x20
	s_and_not1_b32 vcc_lo, exec_lo, s13
	s_cbranch_vccnz .LBB1531_7
; %bb.6:
	s_add_u32 s4, s4, s6
	s_addc_u32 s5, s5, s7
	s_load_b32 s13, s[4:5], 0x0
	s_branch .LBB1531_8
.LBB1531_7:
	s_mov_b32 s13, s30
.LBB1531_8:
	s_load_b128 s[4:7], s[0:1], 0x48
	v_and_b32_e32 v65, 15, v0
	v_lshrrev_b32_e32 v66, 5, v0
	v_and_b32_e32 v67, 31, v0
	v_and_b32_e32 v75, 1, v0
	v_bfe_u32 v74, v0, 4, 1
	v_lshlrev_b32_e32 v1, 3, v65
	s_mul_i32 s29, s15, 6
	s_waitcnt lgkmcnt(0)
	s_mov_b32 s7, exec_lo
	s_delay_alu instid0(VALU_DEP_1)
	v_lshlrev_b32_e32 v73, 1, v1
	v_cmpx_gt_u32_e32 0x60, v0
	s_cbranch_execz .LBB1531_10
; %bb.9:
	s_load_b64 s[18:19], s[0:1], 0x0
	v_lshl_or_b32 v5, v66, 1, v74
	s_mul_hi_i32 s21, s13, s4
	s_mul_i32 s20, s13, s4
	v_lshlrev_b32_e32 v6, 10, v65
	s_lshl_b64 s[20:21], s[20:21], 1
	v_add_lshl_u32 v1, v5, s29, 7
	v_lshlrev_b32_e32 v5, 6, v5
	v_lshlrev_b32_e32 v7, 10, v75
	v_and_b32_e32 v6, 0x3800, v6
	s_delay_alu instid0(VALU_DEP_4) | instskip(NEXT) | instid1(VALU_DEP_2)
	v_ashrrev_i32_e32 v2, 31, v1
	v_or3_b32 v5, v6, v7, v5
	s_delay_alu instid0(VALU_DEP_2) | instskip(SKIP_3) | instid1(VALU_DEP_1)
	v_lshlrev_b64 v[1:2], 1, v[1:2]
	s_waitcnt lgkmcnt(0)
	s_add_u32 s4, s18, s20
	s_addc_u32 s13, s19, s21
	v_add_co_u32 v1, vcc_lo, s4, v1
	s_delay_alu instid0(VALU_DEP_2) | instskip(NEXT) | instid1(VALU_DEP_2)
	v_add_co_ci_u32_e32 v2, vcc_lo, s13, v2, vcc_lo
	v_add_co_u32 v1, vcc_lo, v1, v73
	s_delay_alu instid0(VALU_DEP_2)
	v_add_co_ci_u32_e32 v2, vcc_lo, 0, v2, vcc_lo
	global_load_b128 v[1:4], v[1:2], off
	s_waitcnt vmcnt(0)
	ds_store_b128 v5, v[1:4]
.LBB1531_10:
	s_or_b32 exec_lo, exec_lo, s7
	v_and_b32_e32 v1, 0xef, v0
	s_add_i32 s4, s17, 15
	s_clause 0x1
	s_load_b32 s7, s[0:1], 0x38
	s_load_b32 s18, s[0:1], 0x1c
	s_ashr_i32 s13, s4, 31
	v_add_nc_u32_e32 v2, s12, v1
	s_lshr_b32 s13, s13, 28
	s_waitcnt lgkmcnt(0)
	s_add_i32 s4, s4, s13
	s_barrier
	v_ashrrev_i32_e32 v1, 31, v2
	s_ashr_i32 s4, s4, 4
	v_cmp_gt_i32_e32 vcc_lo, s17, v2
	s_add_i32 s4, s4, -1
	buffer_gl0_inv
	v_lshrrev_b32_e32 v3, 28, v1
	v_or_b32_e32 v1, 16, v2
	s_mul_i32 s15, s15, s6
	s_delay_alu instid0(VALU_DEP_2) | instskip(SKIP_1) | instid1(SALU_CYCLE_1)
	v_add_nc_u32_e32 v4, v2, v3
	s_mul_i32 s20, s30, s7
	s_ashr_i32 s21, s20, 31
	s_delay_alu instid0(VALU_DEP_1) | instskip(SKIP_2) | instid1(SALU_CYCLE_1)
	v_ashrrev_i32_e32 v4, 4, v4
	v_add_nc_u32_e32 v3, v1, v3
	s_lshl_b64 s[20:21], s[20:21], 2
	s_add_u32 s2, s2, s20
	s_delay_alu instid0(VALU_DEP_2) | instskip(NEXT) | instid1(VALU_DEP_2)
	v_cndmask_b32_e32 v2, s4, v4, vcc_lo
	v_ashrrev_i32_e32 v3, 4, v3
	v_cmp_gt_i32_e32 vcc_lo, s17, v1
	s_addc_u32 s3, s3, s21
	s_ashr_i32 s6, s15, 31
	s_add_u32 s7, s8, s15
	s_addc_u32 s13, s9, s6
	v_cndmask_b32_e32 v4, s4, v3, vcc_lo
	v_ashrrev_i32_e32 v3, 31, v2
	s_lshl_b32 s8, s14, 4
	s_delay_alu instid0(SALU_CYCLE_1) | instskip(NEXT) | instid1(VALU_DEP_2)
	s_ashr_i32 s9, s8, 31
	v_ashrrev_i32_e32 v5, 31, v4
	s_delay_alu instid0(VALU_DEP_2) | instskip(SKIP_1) | instid1(SALU_CYCLE_1)
	v_lshlrev_b64 v[1:2], 2, v[2:3]
	s_lshl_b64 s[8:9], s[8:9], 2
	s_add_u32 s8, s2, s8
	s_delay_alu instid0(VALU_DEP_2) | instskip(SKIP_1) | instid1(VALU_DEP_2)
	v_lshlrev_b64 v[3:4], 2, v[4:5]
	s_addc_u32 s9, s3, s9
	v_add_co_u32 v1, vcc_lo, s2, v1
	v_add_co_ci_u32_e32 v2, vcc_lo, s3, v2, vcc_lo
	s_delay_alu instid0(VALU_DEP_3) | instskip(NEXT) | instid1(VALU_DEP_4)
	v_add_co_u32 v3, vcc_lo, s2, v3
	v_add_co_ci_u32_e32 v4, vcc_lo, s3, v4, vcc_lo
	s_clause 0x1
	global_load_b32 v5, v[1:2], off
	global_load_b32 v3, v[3:4], off
	v_lshlrev_b32_e32 v1, 4, v0
	s_or_b32 s16, s12, 32
	s_delay_alu instid0(SALU_CYCLE_1) | instskip(SKIP_1) | instid1(VALU_DEP_1)
	s_ashr_i32 s19, s16, 4
	s_cmp_lt_i32 s16, s17
	v_and_b32_e32 v1, 0xf0, v1
	s_cselect_b32 s20, s19, s4
	s_delay_alu instid0(SALU_CYCLE_1) | instskip(NEXT) | instid1(SALU_CYCLE_1)
	s_ashr_i32 s21, s20, 31
	s_lshl_b64 s[20:21], s[20:21], 2
	s_delay_alu instid0(VALU_DEP_1)
	v_add_co_u32 v1, s7, s7, v1
	s_add_u32 s20, s2, s20
	s_addc_u32 s21, s3, s21
	s_or_b32 s16, s12, 64
	v_add_co_ci_u32_e64 v2, null, s13, 0, s7
	s_ashr_i32 s19, s16, 4
	s_cmp_lt_i32 s16, s17
	s_cselect_b32 s22, s19, s4
	s_delay_alu instid0(SALU_CYCLE_1) | instskip(NEXT) | instid1(SALU_CYCLE_1)
	s_ashr_i32 s23, s22, 31
	s_lshl_b64 s[22:23], s[22:23], 2
	s_delay_alu instid0(SALU_CYCLE_1) | instskip(SKIP_2) | instid1(SALU_CYCLE_1)
	s_add_u32 s22, s2, s22
	s_addc_u32 s23, s3, s23
	s_or_b32 s16, s12, 0x60
	s_ashr_i32 s19, s16, 4
	s_cmp_lt_i32 s16, s17
	s_cselect_b32 s24, s19, s4
	s_delay_alu instid0(SALU_CYCLE_1) | instskip(NEXT) | instid1(SALU_CYCLE_1)
	s_ashr_i32 s25, s24, 31
	s_lshl_b64 s[24:25], s[24:25], 2
	s_delay_alu instid0(SALU_CYCLE_1) | instskip(SKIP_2) | instid1(SALU_CYCLE_1)
	s_add_u32 s24, s2, s24
	s_addc_u32 s25, s3, s25
	s_or_b32 s16, s12, 0x80
	s_ashr_i32 s19, s16, 4
	s_cmp_lt_i32 s16, s17
	s_cselect_b32 s26, s19, s4
	s_delay_alu instid0(SALU_CYCLE_1) | instskip(NEXT) | instid1(SALU_CYCLE_1)
	s_ashr_i32 s27, s26, 31
	s_lshl_b64 s[26:27], s[26:27], 2
	s_delay_alu instid0(SALU_CYCLE_1) | instskip(SKIP_2) | instid1(SALU_CYCLE_1)
	s_add_u32 s26, s2, s26
	s_addc_u32 s27, s3, s27
	s_or_b32 s16, s12, 0xa0
	s_ashr_i32 s19, s16, 4
	s_cmp_lt_i32 s16, s17
	s_cselect_b32 s34, s19, s4
	s_delay_alu instid0(SALU_CYCLE_1) | instskip(NEXT) | instid1(SALU_CYCLE_1)
	s_ashr_i32 s35, s34, 31
	s_lshl_b64 s[34:35], s[34:35], 2
	s_delay_alu instid0(SALU_CYCLE_1)
	s_add_u32 s34, s2, s34
	s_addc_u32 s35, s3, s35
	s_clause 0x5
	s_load_b32 s7, s[8:9], 0x0
	s_load_b32 s13, s[20:21], 0x0
	;; [unrolled: 1-line block ×6, first 2 shown]
	s_or_b32 s8, s12, 0xc0
	s_mov_b32 s20, 0
	s_ashr_i32 s9, s8, 4
	s_cmp_lt_i32 s8, s17
	s_mov_b32 s27, s20
	s_cselect_b32 s8, s9, s4
	s_mov_b32 s21, s20
	s_ashr_i32 s9, s8, 31
	s_mov_b32 s22, s20
	s_lshl_b64 s[8:9], s[8:9], 2
	s_mov_b32 s23, s20
	s_mov_b32 s24, s20
	;; [unrolled: 1-line block ×4, first 2 shown]
	v_dual_mov_b32 v107, s27 :: v_dual_mov_b32 v104, s24
	s_add_u32 s8, s2, s8
	v_dual_mov_b32 v106, s26 :: v_dual_mov_b32 v105, s25
	v_dual_mov_b32 v101, s21 :: v_dual_mov_b32 v100, s20
	s_addc_u32 s9, s3, s9
	v_dual_mov_b32 v103, s23 :: v_dual_mov_b32 v102, s22
	s_or_b32 s20, s12, 0xe0
	s_delay_alu instid0(SALU_CYCLE_1) | instskip(SKIP_2) | instid1(SALU_CYCLE_1)
	s_ashr_i32 s21, s20, 4
	s_cmp_lt_i32 s20, s17
	s_cselect_b32 s20, s21, s4
	s_ashr_i32 s21, s20, 31
	s_delay_alu instid0(SALU_CYCLE_1) | instskip(NEXT) | instid1(SALU_CYCLE_1)
	s_lshl_b64 s[20:21], s[20:21], 2
	s_add_u32 s2, s2, s20
	s_addc_u32 s3, s3, s21
	s_waitcnt vmcnt(1)
	v_mad_i64_i32 v[25:26], null, v5, s5, v[1:2]
	s_waitcnt vmcnt(0)
	v_mad_i64_i32 v[27:28], null, v3, s5, v[1:2]
	s_clause 0xf
	global_load_b128 v[1:4], v[25:26], off
	global_load_b128 v[5:8], v[25:26], off offset:256
	global_load_b128 v[9:12], v[27:28], off
	global_load_b128 v[13:16], v[27:28], off offset:256
	global_load_b128 v[17:20], v[25:26], off offset:512
	;; [unrolled: 1-line block ×13, first 2 shown]
	v_mul_lo_u16 v25, v65, 43
	v_lshlrev_b32_e32 v26, 4, v65
	s_delay_alu instid0(VALU_DEP_2) | instskip(NEXT) | instid1(VALU_DEP_2)
	v_lshrrev_b16 v25, 8, v25
	v_lshl_or_b32 v33, v66, 8, v26
	s_delay_alu instid0(VALU_DEP_2) | instskip(NEXT) | instid1(VALU_DEP_1)
	v_mul_lo_u16 v25, v25, 6
	v_sub_nc_u16 v25, v65, v25
	s_delay_alu instid0(VALU_DEP_1) | instskip(NEXT) | instid1(VALU_DEP_1)
	v_and_b32_e32 v25, 0xff, v25
	v_lshlrev_b32_e32 v72, 6, v25
	ds_load_b128 v[25:28], v72
	ds_load_b128 v[29:32], v72 offset:1024
	ds_load_b128 v[108:111], v72 offset:2048
	;; [unrolled: 1-line block ×3, first 2 shown]
	s_load_b32 s4, s[8:9], 0x0
	ds_load_b128 v[116:119], v72 offset:4096
	ds_load_b128 v[120:123], v72 offset:5120
	s_load_b32 s2, s[2:3], 0x0
	s_add_u32 s8, s10, s15
	s_addc_u32 s6, s11, s6
	v_add_co_u32 v68, s8, s8, v33
	s_delay_alu instid0(VALU_DEP_1) | instskip(SKIP_1) | instid1(VALU_DEP_1)
	v_add_co_ci_u32_e64 v69, null, s6, 0, s8
	s_waitcnt lgkmcnt(0)
	v_mad_i64_i32 v[33:34], null, s7, s5, v[68:69]
	v_mad_i64_i32 v[70:71], null, s16, s5, v[68:69]
	;; [unrolled: 1-line block ×7, first 2 shown]
	s_clause 0x3
	global_load_b128 v[41:44], v[33:34], off
	global_load_b128 v[45:48], v[33:34], off offset:16
	global_load_b128 v[33:36], v[37:38], off
	global_load_b128 v[37:40], v[37:38], off offset:16
	s_waitcnt vmcnt(18)
	v_wmma_f32_16x16x16_bf16 v[124:131], v[1:8], v[25:32], v[100:107]
	s_waitcnt vmcnt(16)
	v_wmma_f32_16x16x16_bf16 v[100:107], v[9:16], v[25:32], v[100:107]
	s_clause 0x1
	global_load_b128 v[25:28], v[70:71], off
	global_load_b128 v[29:32], v[70:71], off offset:16
	s_waitcnt vmcnt(16)
	v_wmma_f32_16x16x16_bf16 v[124:131], v[17:24], v[108:115], v[124:131]
	s_clause 0x1
	global_load_b128 v[17:20], v[132:133], off
	global_load_b128 v[21:24], v[132:133], off offset:16
	s_waitcnt vmcnt(16)
	v_wmma_f32_16x16x16_bf16 v[100:107], v[49:56], v[108:115], v[100:107]
	v_mad_i64_i32 v[53:54], null, s2, s5, v[68:69]
	s_clause 0x3
	global_load_b128 v[1:4], v[134:135], off
	global_load_b128 v[5:8], v[134:135], off offset:16
	global_load_b128 v[9:12], v[136:137], off
	global_load_b128 v[13:16], v[136:137], off offset:16
	s_waitcnt vmcnt(18)
	v_wmma_f32_16x16x16_bf16 v[124:131], v[57:64], v[116:123], v[124:131]
	s_clause 0x3
	global_load_b128 v[57:60], v[138:139], off
	global_load_b128 v[61:64], v[138:139], off offset:16
	global_load_b128 v[49:52], v[53:54], off
	global_load_b128 v[53:56], v[53:54], off offset:16
	v_mbcnt_lo_u32_b32 v69, -1, 0
	s_waitcnt vmcnt(20)
	v_wmma_f32_16x16x16_bf16 v[100:107], v[76:83], v[116:123], v[100:107]
	s_delay_alu instid0(VALU_DEP_2) | instskip(NEXT) | instid1(VALU_DEP_1)
	v_xor_b32_e32 v70, 16, v69
	v_cmp_gt_i32_e32 vcc_lo, 32, v70
	v_cndmask_b32_e32 v69, v69, v70, vcc_lo
	ds_load_b128 v[76:79], v72 offset:6144
	ds_load_b128 v[80:83], v72 offset:7168
	s_waitcnt vmcnt(0) lgkmcnt(0)
	s_barrier
	buffer_gl0_inv
	v_wmma_f32_16x16x16_bf16 v[124:131], v[84:91], v[76:83], v[124:131]
	v_and_b32_e32 v68, 0xe0, v0
	v_wmma_f32_16x16x16_bf16 v[100:107], v[92:99], v[76:83], v[100:107]
	s_delay_alu instid0(VALU_DEP_2) | instskip(NEXT) | instid1(VALU_DEP_4)
	v_dual_mul_f32 v79, s18, v127 :: v_dual_add_nc_u32 v68, s12, v68
	v_mul_f32_e32 v81, s18, v129
	v_dual_mul_f32 v78, s18, v125 :: v_dual_mul_f32 v83, s18, v131
	s_delay_alu instid0(VALU_DEP_4) | instskip(NEXT) | instid1(VALU_DEP_4)
	v_dual_mul_f32 v80, s18, v126 :: v_dual_mul_f32 v95, s18, v103
	v_or_b32_e32 v68, v68, v74
	v_dual_mul_f32 v93, s18, v101 :: v_dual_mul_f32 v82, s18, v128
	v_dual_mul_f32 v97, s18, v105 :: v_dual_mul_f32 v92, s18, v130
	v_mul_f32_e32 v99, s18, v107
	s_delay_alu instid0(VALU_DEP_4)
	v_or_b32_e32 v70, 2, v68
	v_or_b32_e32 v71, 4, v68
	;; [unrolled: 1-line block ×3, first 2 shown]
	v_cmp_gt_i32_e64 s2, s17, v68
	v_or_b32_e32 v108, 8, v68
	v_cmp_gt_i32_e32 vcc_lo, s17, v70
	v_mul_f32_e32 v70, s18, v124
	v_or_b32_e32 v109, 10, v68
	v_cmp_gt_i32_e64 s3, s17, v71
	v_cmp_gt_i32_e64 s4, s17, v72
	v_cndmask_b32_e32 v78, 0xff7fffff, v78, vcc_lo
	v_cndmask_b32_e64 v70, 0xff7fffff, v70, s2
	v_or_b32_e32 v84, 12, v68
	v_or_b32_e32 v85, 14, v68
	v_cndmask_b32_e64 v71, 0xff7fffff, v80, s3
	v_cndmask_b32_e64 v72, 0xff7fffff, v79, s4
	v_max3_f32 v70, v70, 0xff7fffff, v78
	v_cmp_gt_i32_e64 s5, s17, v108
	v_cmp_gt_i32_e64 s6, s17, v109
	v_or_b32_e32 v86, 16, v68
	v_or_b32_e32 v87, 18, v68
	v_max3_f32 v70, v70, v71, v72
	v_cndmask_b32_e64 v78, 0xff7fffff, v82, s5
	v_cndmask_b32_e64 v79, 0xff7fffff, v81, s6
	v_cmp_gt_i32_e64 s7, s17, v84
	v_cmp_gt_i32_e64 s8, s17, v85
	v_or_b32_e32 v88, 20, v68
	v_or_b32_e32 v89, 22, v68
	v_mul_f32_e32 v94, s18, v100
	v_cndmask_b32_e64 v71, 0xff7fffff, v92, s7
	v_cndmask_b32_e64 v72, 0xff7fffff, v83, s8
	v_max3_f32 v70, v70, v78, v79
	v_cmp_gt_i32_e64 s9, s17, v86
	v_cmp_gt_i32_e64 s10, s17, v87
	v_or_b32_e32 v90, 24, v68
	v_or_b32_e32 v91, 26, v68
	v_mul_f32_e32 v96, s18, v102
	v_max3_f32 v70, v70, v71, v72
	v_cndmask_b32_e64 v79, 0xff7fffff, v93, s10
	v_cmp_gt_i32_e64 s11, s17, v88
	v_cmp_gt_i32_e64 s12, s17, v89
	v_lshlrev_b32_e32 v89, 2, v69
	v_cndmask_b32_e64 v78, 0xff7fffff, v94, s9
	v_or_b32_e32 v76, 28, v68
	v_or_b32_e32 v77, 30, v68
	v_mul_f32_e32 v98, s18, v104
	v_cndmask_b32_e64 v71, 0xff7fffff, v96, s11
	v_cndmask_b32_e64 v72, 0xff7fffff, v95, s12
	v_max3_f32 v70, v70, v78, v79
	v_cmp_gt_i32_e64 s13, s17, v90
	v_cmp_gt_i32_e64 s15, s17, v91
	v_mul_f32_e32 v68, s18, v106
	v_cmp_gt_i32_e64 s16, s17, v76
	v_max3_f32 v70, v70, v71, v72
	v_cndmask_b32_e64 v78, 0xff7fffff, v98, s13
	v_cndmask_b32_e64 v79, 0xff7fffff, v97, s15
	v_cmp_gt_i32_e64 s17, s17, v77
	v_cndmask_b32_e64 v68, 0xff7fffff, v68, s16
	s_delay_alu instid0(VALU_DEP_3) | instskip(NEXT) | instid1(VALU_DEP_3)
	v_max3_f32 v70, v70, v78, v79
	v_cndmask_b32_e64 v71, 0xff7fffff, v99, s17
	s_delay_alu instid0(VALU_DEP_1) | instskip(SKIP_3) | instid1(VALU_DEP_1)
	v_max3_f32 v68, v70, v68, v71
	ds_bpermute_b32 v69, v89, v68
	s_waitcnt lgkmcnt(0)
	v_max_f32_e32 v69, v69, v69
	v_max_f32_e32 v68, v68, v69
	s_delay_alu instid0(VALU_DEP_1) | instskip(NEXT) | instid1(VALU_DEP_1)
	v_fma_f32 v76, s18, v128, -v68
	v_mul_f32_e32 v77, 0x3fb8aa3b, v76
	v_fma_f32 v71, s18, v126, -v68
	v_fma_f32 v69, s18, v124, -v68
	v_fma_f32 v70, s18, v125, -v68
	v_fma_f32 v72, s18, v127, -v68
	v_exp_f32_e32 v77, v77
	v_mul_f32_e32 v71, 0x3fb8aa3b, v71
	v_mul_f32_e32 v69, 0x3fb8aa3b, v69
	v_fma_f32 v81, s18, v105, -v68
	v_fma_f32 v78, s18, v130, -v68
	s_delay_alu instid0(VALU_DEP_4) | instskip(NEXT) | instid1(VALU_DEP_3)
	v_exp_f32_e32 v71, v71
	v_exp_f32_e32 v69, v69
	s_delay_alu instid0(VALU_DEP_2) | instskip(NEXT) | instid1(TRANS32_DEP_3)
	v_mul_f32_e32 v81, 0x3fb8aa3b, v81
	v_cndmask_b32_e64 v86, 0, v77, s5
	v_fma_f32 v77, s18, v101, -v68
	s_delay_alu instid0(VALU_DEP_3) | instskip(NEXT) | instid1(TRANS32_DEP_3)
	v_exp_f32_e32 v81, v81
	v_cndmask_b32_e64 v83, 0, v71, s3
	v_fma_f32 v71, s18, v131, -v68
	v_mul_f32_e32 v72, 0x3fb8aa3b, v72
	s_delay_alu instid0(TRANS32_DEP_2) | instskip(SKIP_1) | instid1(VALU_DEP_4)
	v_cndmask_b32_e64 v80, 0, v69, s2
	v_fma_f32 v69, s18, v129, -v68
	v_dual_mul_f32 v70, 0x3fb8aa3b, v70 :: v_dual_mul_f32 v71, 0x3fb8aa3b, v71
	s_delay_alu instid0(VALU_DEP_4) | instskip(SKIP_1) | instid1(VALU_DEP_3)
	v_exp_f32_e32 v72, v72
	v_mul_f32_e32 v77, 0x3fb8aa3b, v77
	v_mul_f32_e32 v69, 0x3fb8aa3b, v69
	s_delay_alu instid0(VALU_DEP_3)
	v_exp_f32_e32 v70, v70
	v_exp_f32_e32 v71, v71
	s_mov_b32 s2, exec_lo
	v_exp_f32_e32 v77, v77
	v_exp_f32_e32 v69, v69
	v_cndmask_b32_e64 v85, 0, v72, s4
	v_fma_f32 v72, s18, v100, -v68
	v_cndmask_b32_e32 v76, 0, v70, vcc_lo
	s_delay_alu instid0(TRANS32_DEP_3) | instskip(SKIP_2) | instid1(TRANS32_DEP_1)
	v_cndmask_b32_e64 v88, 0, v71, s8
	v_fma_f32 v71, s18, v104, -v68
	v_add_f32_e32 v70, 0, v80
	v_cndmask_b32_e64 v87, 0, v69, s6
	s_delay_alu instid0(VALU_DEP_2) | instskip(NEXT) | instid1(VALU_DEP_1)
	v_dual_mul_f32 v71, 0x3fb8aa3b, v71 :: v_dual_add_f32 v70, v70, v76
	v_exp_f32_e32 v82, v71
	s_delay_alu instid0(VALU_DEP_1) | instskip(NEXT) | instid1(VALU_DEP_1)
	v_add_f32_e32 v70, v70, v83
	v_add_f32_e32 v70, v70, v85
	s_delay_alu instid0(VALU_DEP_1) | instskip(SKIP_1) | instid1(VALU_DEP_2)
	v_dual_mul_f32 v72, 0x3fb8aa3b, v72 :: v_dual_add_f32 v69, v70, v86
	v_fma_f32 v70, s18, v102, -v68
	v_exp_f32_e32 v72, v72
	s_delay_alu instid0(VALU_DEP_2) | instskip(NEXT) | instid1(VALU_DEP_2)
	v_dual_add_f32 v69, v69, v87 :: v_dual_mul_f32 v78, 0x3fb8aa3b, v78
	v_mul_f32_e32 v70, 0x3fb8aa3b, v70
	s_delay_alu instid0(VALU_DEP_2) | instskip(NEXT) | instid1(VALU_DEP_1)
	v_exp_f32_e32 v78, v78
	v_exp_f32_e32 v79, v70
	s_delay_alu instid0(TRANS32_DEP_3) | instskip(SKIP_4) | instid1(VALU_DEP_3)
	v_cndmask_b32_e64 v70, 0, v72, s9
	s_waitcnt_depctr 0xfff
	v_cndmask_b32_e64 v84, 0, v78, s7
	v_fma_f32 v78, s18, v103, -v68
	v_cndmask_b32_e64 v71, 0, v79, s11
	v_add_f32_e32 v69, v69, v84
	s_delay_alu instid0(VALU_DEP_1) | instskip(SKIP_2) | instid1(VALU_DEP_1)
	v_add_f32_e32 v72, v69, v88
	v_cndmask_b32_e64 v69, 0, v77, s10
	v_fma_f32 v77, s18, v106, -v68
	v_dual_add_f32 v72, v72, v70 :: v_dual_mul_f32 v77, 0x3fb8aa3b, v77
	s_delay_alu instid0(VALU_DEP_1) | instskip(NEXT) | instid1(VALU_DEP_2)
	v_add_f32_e32 v79, v72, v69
	v_exp_f32_e32 v90, v77
	v_cndmask_b32_e64 v77, 0, v82, s13
	v_mul_f32_e32 v78, 0x3fb8aa3b, v78
	s_delay_alu instid0(VALU_DEP_1) | instskip(SKIP_4) | instid1(VALU_DEP_1)
	v_exp_f32_e32 v78, v78
	s_waitcnt_depctr 0xfff
	v_cndmask_b32_e64 v72, 0, v78, s12
	v_add_f32_e32 v78, v79, v71
	v_fma_f32 v79, s18, v107, -v68
	v_dual_add_f32 v82, v78, v72 :: v_dual_mul_f32 v79, 0x3fb8aa3b, v79
	v_cndmask_b32_e64 v78, 0, v81, s15
	s_delay_alu instid0(VALU_DEP_2) | instskip(NEXT) | instid1(VALU_DEP_3)
	v_add_f32_e32 v81, v82, v77
	v_exp_f32_e32 v82, v79
	v_cndmask_b32_e64 v79, 0, v90, s16
	s_delay_alu instid0(VALU_DEP_2) | instskip(NEXT) | instid1(VALU_DEP_1)
	v_add_f32_e32 v81, v81, v78
	v_add_f32_e32 v90, v81, v79
	s_waitcnt_depctr 0xfff
	v_cndmask_b32_e64 v81, 0, v82, s17
	s_delay_alu instid0(VALU_DEP_1)
	v_add_f32_e32 v82, v90, v81
	ds_bpermute_b32 v89, v89, v82
	v_cmpx_gt_u32_e32 16, v67
	s_cbranch_execz .LBB1531_12
; %bb.11:
	v_mul_u32_u24_e32 v67, 0x44, v66
	s_delay_alu instid0(VALU_DEP_1) | instskip(SKIP_1) | instid1(VALU_DEP_1)
	v_lshl_add_u32 v67, v65, 2, v67
	s_waitcnt lgkmcnt(0)
	v_dual_add_f32 v82, v82, v89 :: v_dual_add_nc_u32 v67, 0x4000, v67
	ds_store_2addr_b32 v67, v68, v82 offset1:136
.LBB1531_12:
	s_or_b32 exec_lo, exec_lo, s2
	v_lshlrev_b32_e32 v67, 2, v65
	s_waitcnt lgkmcnt(0)
	s_barrier
	buffer_gl0_inv
	v_cmp_eq_u32_e32 vcc_lo, 1, v66
	v_add_nc_u32_e32 v82, 0x4000, v67
	v_cmp_eq_u32_e64 s2, 2, v66
	v_cmp_eq_u32_e64 s4, 7, v66
	ds_load_2addr_b32 v[89:90], v82 offset1:17
	ds_load_2addr_b32 v[91:92], v82 offset0:34 offset1:51
	ds_load_2addr_b32 v[93:94], v82 offset0:68 offset1:85
	;; [unrolled: 1-line block ×4, first 2 shown]
	s_waitcnt lgkmcnt(4)
	v_max3_f32 v67, v89, 0xff7fffff, v90
	s_waitcnt lgkmcnt(3)
	s_delay_alu instid0(VALU_DEP_1) | instskip(SKIP_1) | instid1(VALU_DEP_1)
	v_max3_f32 v67, v67, v91, v92
	s_waitcnt lgkmcnt(2)
	v_max3_f32 v67, v67, v93, v94
	s_waitcnt lgkmcnt(1)
	s_delay_alu instid0(VALU_DEP_1) | instskip(NEXT) | instid1(VALU_DEP_1)
	v_max3_f32 v67, v67, v95, v96
	v_sub_f32_e32 v93, v93, v67
	s_delay_alu instid0(VALU_DEP_1) | instskip(NEXT) | instid1(VALU_DEP_1)
	v_dual_sub_f32 v68, v89, v67 :: v_dual_mul_f32 v103, 0x3fb8aa3b, v93
	v_mul_f32_e32 v68, 0x3fb8aa3b, v68
	s_delay_alu instid0(VALU_DEP_1)
	v_exp_f32_e32 v100, v68
	v_sub_f32_e32 v68, v92, v67
	v_sub_f32_e32 v99, v90, v67
	ds_load_2addr_b32 v[89:90], v82 offset0:170 offset1:187
	v_dual_mul_f32 v102, 0x3fb8aa3b, v68 :: v_dual_mul_f32 v99, 0x3fb8aa3b, v99
	s_waitcnt lgkmcnt(1)
	v_fma_f32 v68, v100, v97, 0
	s_delay_alu instid0(VALU_DEP_2) | instskip(NEXT) | instid1(VALU_DEP_2)
	v_exp_f32_e32 v102, v102
	v_exp_f32_e32 v99, v99
	s_waitcnt_depctr 0xfff
	v_fmac_f32_e32 v68, v99, v98
	v_sub_f32_e32 v91, v91, v67
	s_delay_alu instid0(VALU_DEP_1)
	v_mul_f32_e32 v101, 0x3fb8aa3b, v91
	ds_load_2addr_b32 v[91:92], v82 offset0:204 offset1:221
	v_sub_f32_e32 v97, v94, v67
	ds_load_2addr_b32 v[93:94], v82 offset0:238 offset1:255
	s_waitcnt lgkmcnt(0)
	v_exp_f32_e32 v101, v101
	s_barrier
	buffer_gl0_inv
	v_dual_fmac_f32 v68, v101, v89 :: v_dual_sub_f32 v89, v96, v67
	v_dual_sub_f32 v82, v95, v67 :: v_dual_mul_f32 v95, 0x3fb8aa3b, v97
	v_exp_f32_e32 v97, v103
	s_delay_alu instid0(VALU_DEP_2) | instskip(NEXT) | instid1(VALU_DEP_2)
	v_dual_fmac_f32 v68, v102, v90 :: v_dual_mul_f32 v89, 0x3fb8aa3b, v89
	v_mul_f32_e32 v82, 0x3fb8aa3b, v82
	s_delay_alu instid0(VALU_DEP_3) | instskip(NEXT) | instid1(VALU_DEP_2)
	v_exp_f32_e32 v95, v95
	v_exp_f32_e32 v89, v89
	s_delay_alu instid0(VALU_DEP_1)
	v_exp_f32_e32 v82, v82
	v_fmac_f32_e32 v68, v97, v91
	s_delay_alu instid0(TRANS32_DEP_3) | instid1(VALU_DEP_1)
	v_fmac_f32_e32 v68, v95, v92
	s_waitcnt_depctr 0xfff
	v_fmac_f32_e32 v68, v82, v93
	s_delay_alu instid0(VALU_DEP_1) | instskip(NEXT) | instid1(VALU_DEP_1)
	v_fmac_f32_e32 v68, v89, v94
	v_add_f32_e32 v90, 0x358637bd, v68
	s_delay_alu instid0(VALU_DEP_1) | instskip(NEXT) | instid1(VALU_DEP_1)
	v_div_scale_f32 v91, null, v90, v90, 1.0
	v_rcp_f32_e32 v92, v91
	s_waitcnt_depctr 0xfff
	v_fma_f32 v93, -v91, v92, 1.0
	s_delay_alu instid0(VALU_DEP_1) | instskip(SKIP_1) | instid1(VALU_DEP_2)
	v_dual_fmac_f32 v92, v93, v92 :: v_dual_cndmask_b32 v93, v100, v99
	v_cmp_eq_u32_e32 vcc_lo, 3, v66
	v_cndmask_b32_e64 v93, v93, v101, s2
	v_cmp_eq_u32_e64 s2, 4, v66
	s_delay_alu instid0(VALU_DEP_2) | instskip(SKIP_1) | instid1(VALU_DEP_2)
	v_cndmask_b32_e32 v93, v93, v102, vcc_lo
	v_cmp_eq_u32_e32 vcc_lo, 5, v66
	v_cndmask_b32_e64 v93, v93, v97, s2
	v_cmp_eq_u32_e64 s2, 6, v66
	s_delay_alu instid0(VALU_DEP_2) | instskip(SKIP_1) | instid1(VALU_DEP_1)
	v_cndmask_b32_e32 v93, v93, v95, vcc_lo
	v_div_scale_f32 v94, s3, 1.0, v90, 1.0
	s_mov_b32 vcc_lo, s3
	s_delay_alu instid0(VALU_DEP_2) | instskip(NEXT) | instid1(VALU_DEP_2)
	v_cndmask_b32_e64 v82, v93, v82, s2
	v_mul_f32_e32 v96, v94, v92
	s_mov_b32 s2, exec_lo
	s_delay_alu instid0(VALU_DEP_2) | instskip(NEXT) | instid1(VALU_DEP_2)
	v_cndmask_b32_e64 v82, v82, v89, s4
	v_fma_f32 v98, -v91, v96, v94
	s_delay_alu instid0(VALU_DEP_1) | instskip(NEXT) | instid1(VALU_DEP_1)
	v_fmac_f32_e32 v96, v98, v92
	v_fma_f32 v91, -v91, v96, v94
	s_delay_alu instid0(VALU_DEP_1) | instskip(NEXT) | instid1(VALU_DEP_1)
	v_div_fmas_f32 v91, v91, v92, v96
	v_div_fixup_f32 v90, v91, v90, 1.0
	s_delay_alu instid0(VALU_DEP_1) | instskip(NEXT) | instid1(VALU_DEP_1)
	v_mul_f32_e32 v82, v82, v90
	v_mul_f32_e32 v87, v82, v87
	v_mul_f32_e32 v90, v82, v80
	v_mul_f32_e32 v80, v82, v88
	v_mul_f32_e32 v84, v82, v84
	v_mul_f32_e32 v88, v82, v86
	v_mul_f32_e32 v89, v82, v85
	v_dual_mul_f32 v86, v82, v83 :: v_dual_and_b32 v91, 0x7f800000, v90
	v_mul_f32_e32 v85, v82, v76
                                        ; implicit-def: $vgpr76
	s_delay_alu instid0(VALU_DEP_2)
	v_cmpx_ne_u32_e32 0x7f800000, v91
	s_xor_b32 s2, exec_lo, s2
; %bb.13:
	v_bfe_u32 v76, v90, 16, 1
	s_delay_alu instid0(VALU_DEP_1)
	v_add3_u32 v76, v90, v76, 0x7fff
                                        ; implicit-def: $vgpr90
; %bb.14:
	s_and_not1_saveexec_b32 s2, s2
; %bb.15:
	v_and_b32_e32 v76, 0xffff, v90
	v_or_b32_e32 v83, 0x10000, v90
	s_delay_alu instid0(VALU_DEP_2) | instskip(NEXT) | instid1(VALU_DEP_2)
	v_cmp_eq_u32_e32 vcc_lo, 0, v76
	v_cndmask_b32_e32 v76, v83, v90, vcc_lo
; %bb.16:
	s_or_b32 exec_lo, exec_lo, s2
	v_and_b32_e32 v83, 0x7f800000, v85
	s_delay_alu instid0(VALU_DEP_1) | instskip(SKIP_1) | instid1(SALU_CYCLE_1)
	v_cmp_ne_u32_e32 vcc_lo, 0x7f800000, v83
                                        ; implicit-def: $vgpr83
	s_and_saveexec_b32 s2, vcc_lo
	s_xor_b32 s2, exec_lo, s2
; %bb.17:
	v_bfe_u32 v83, v85, 16, 1
	s_delay_alu instid0(VALU_DEP_1)
	v_add3_u32 v83, v85, v83, 0x7fff
                                        ; implicit-def: $vgpr85
; %bb.18:
	s_and_not1_saveexec_b32 s2, s2
; %bb.19:
	v_and_b32_e32 v83, 0xffff, v85
	v_or_b32_e32 v90, 0x10000, v85
	s_delay_alu instid0(VALU_DEP_2) | instskip(NEXT) | instid1(VALU_DEP_2)
	v_cmp_eq_u32_e32 vcc_lo, 0, v83
	v_cndmask_b32_e32 v83, v90, v85, vcc_lo
; %bb.20:
	s_or_b32 exec_lo, exec_lo, s2
	v_and_b32_e32 v85, 0x7f800000, v86
	s_delay_alu instid0(VALU_DEP_1) | instskip(SKIP_1) | instid1(SALU_CYCLE_1)
	v_cmp_ne_u32_e32 vcc_lo, 0x7f800000, v85
                                        ; implicit-def: $vgpr85
	s_and_saveexec_b32 s2, vcc_lo
	s_xor_b32 s2, exec_lo, s2
; %bb.21:
	v_bfe_u32 v85, v86, 16, 1
	s_delay_alu instid0(VALU_DEP_1)
	v_add3_u32 v85, v86, v85, 0x7fff
                                        ; implicit-def: $vgpr86
; %bb.22:
	s_and_not1_saveexec_b32 s2, s2
; %bb.23:
	v_and_b32_e32 v85, 0xffff, v86
	v_or_b32_e32 v90, 0x10000, v86
	s_delay_alu instid0(VALU_DEP_2) | instskip(NEXT) | instid1(VALU_DEP_2)
	v_cmp_eq_u32_e32 vcc_lo, 0, v85
	v_cndmask_b32_e32 v85, v90, v86, vcc_lo
; %bb.24:
	s_or_b32 exec_lo, exec_lo, s2
	v_and_b32_e32 v86, 0x7f800000, v89
	s_delay_alu instid0(VALU_DEP_1) | instskip(SKIP_1) | instid1(SALU_CYCLE_1)
	v_cmp_ne_u32_e32 vcc_lo, 0x7f800000, v86
                                        ; implicit-def: $vgpr86
	s_and_saveexec_b32 s2, vcc_lo
	s_xor_b32 s2, exec_lo, s2
; %bb.25:
	v_bfe_u32 v86, v89, 16, 1
	s_delay_alu instid0(VALU_DEP_1)
	v_add3_u32 v86, v89, v86, 0x7fff
                                        ; implicit-def: $vgpr89
; %bb.26:
	s_and_not1_saveexec_b32 s2, s2
; %bb.27:
	v_and_b32_e32 v86, 0xffff, v89
	v_or_b32_e32 v90, 0x10000, v89
	s_delay_alu instid0(VALU_DEP_2) | instskip(NEXT) | instid1(VALU_DEP_2)
	v_cmp_eq_u32_e32 vcc_lo, 0, v86
	v_cndmask_b32_e32 v86, v90, v89, vcc_lo
; %bb.28:
	s_or_b32 exec_lo, exec_lo, s2
	v_and_b32_e32 v89, 0x7f800000, v88
	s_delay_alu instid0(VALU_DEP_1) | instskip(SKIP_1) | instid1(SALU_CYCLE_1)
	v_cmp_ne_u32_e32 vcc_lo, 0x7f800000, v89
                                        ; implicit-def: $vgpr89
	s_and_saveexec_b32 s2, vcc_lo
	s_xor_b32 s2, exec_lo, s2
; %bb.29:
	v_bfe_u32 v89, v88, 16, 1
	s_delay_alu instid0(VALU_DEP_1)
	v_add3_u32 v89, v88, v89, 0x7fff
                                        ; implicit-def: $vgpr88
; %bb.30:
	s_and_not1_saveexec_b32 s2, s2
; %bb.31:
	v_and_b32_e32 v89, 0xffff, v88
	v_or_b32_e32 v90, 0x10000, v88
	s_delay_alu instid0(VALU_DEP_2) | instskip(NEXT) | instid1(VALU_DEP_2)
	v_cmp_eq_u32_e32 vcc_lo, 0, v89
	v_cndmask_b32_e32 v89, v90, v88, vcc_lo
; %bb.32:
	s_or_b32 exec_lo, exec_lo, s2
	v_and_b32_e32 v88, 0x7f800000, v87
	s_delay_alu instid0(VALU_DEP_1) | instskip(SKIP_1) | instid1(SALU_CYCLE_1)
	v_cmp_ne_u32_e32 vcc_lo, 0x7f800000, v88
                                        ; implicit-def: $vgpr88
	s_and_saveexec_b32 s2, vcc_lo
	s_xor_b32 s2, exec_lo, s2
; %bb.33:
	v_bfe_u32 v88, v87, 16, 1
	s_delay_alu instid0(VALU_DEP_1)
	v_add3_u32 v88, v87, v88, 0x7fff
                                        ; implicit-def: $vgpr87
; %bb.34:
	s_and_not1_saveexec_b32 s2, s2
; %bb.35:
	v_and_b32_e32 v88, 0xffff, v87
	v_or_b32_e32 v90, 0x10000, v87
	s_delay_alu instid0(VALU_DEP_2) | instskip(NEXT) | instid1(VALU_DEP_2)
	v_cmp_eq_u32_e32 vcc_lo, 0, v88
	v_cndmask_b32_e32 v88, v90, v87, vcc_lo
; %bb.36:
	s_or_b32 exec_lo, exec_lo, s2
	v_and_b32_e32 v87, 0x7f800000, v84
	s_delay_alu instid0(VALU_DEP_1) | instskip(SKIP_1) | instid1(SALU_CYCLE_1)
	v_cmp_ne_u32_e32 vcc_lo, 0x7f800000, v87
                                        ; implicit-def: $vgpr87
	s_and_saveexec_b32 s2, vcc_lo
	s_xor_b32 s2, exec_lo, s2
; %bb.37:
	v_bfe_u32 v87, v84, 16, 1
	s_delay_alu instid0(VALU_DEP_1)
	v_add3_u32 v87, v84, v87, 0x7fff
                                        ; implicit-def: $vgpr84
; %bb.38:
	s_and_not1_saveexec_b32 s2, s2
; %bb.39:
	v_and_b32_e32 v87, 0xffff, v84
	v_or_b32_e32 v90, 0x10000, v84
	s_delay_alu instid0(VALU_DEP_2) | instskip(NEXT) | instid1(VALU_DEP_2)
	v_cmp_eq_u32_e32 vcc_lo, 0, v87
	v_cndmask_b32_e32 v87, v90, v84, vcc_lo
; %bb.40:
	s_or_b32 exec_lo, exec_lo, s2
	v_and_b32_e32 v84, 0x7f800000, v80
	s_delay_alu instid0(VALU_DEP_1) | instskip(SKIP_1) | instid1(SALU_CYCLE_1)
	v_cmp_ne_u32_e32 vcc_lo, 0x7f800000, v84
                                        ; implicit-def: $vgpr84
	s_and_saveexec_b32 s2, vcc_lo
	s_xor_b32 s2, exec_lo, s2
; %bb.41:
	v_bfe_u32 v84, v80, 16, 1
	s_delay_alu instid0(VALU_DEP_1)
	v_add3_u32 v84, v80, v84, 0x7fff
                                        ; implicit-def: $vgpr80
; %bb.42:
	s_and_not1_saveexec_b32 s2, s2
; %bb.43:
	v_and_b32_e32 v84, 0xffff, v80
	v_or_b32_e32 v90, 0x10000, v80
	s_delay_alu instid0(VALU_DEP_2) | instskip(NEXT) | instid1(VALU_DEP_2)
	v_cmp_eq_u32_e32 vcc_lo, 0, v84
	v_cndmask_b32_e32 v84, v90, v80, vcc_lo
; %bb.44:
	s_or_b32 exec_lo, exec_lo, s2
	s_load_b64 s[34:35], s[0:1], 0x94
	v_lshlrev_b32_e32 v91, 4, v74
	s_delay_alu instid0(VALU_DEP_2)
	v_perm_b32 v90, v84, v87, 0x7060302
	v_dual_mul_f32 v79, v82, v79 :: v_dual_lshlrev_b32 v80, 6, v65
	v_dual_mul_f32 v77, v82, v77 :: v_dual_lshlrev_b32 v92, 11, v66
	v_mul_f32_e32 v84, v82, v70
	v_perm_b32 v89, v88, v89, 0x7060302
	v_perm_b32 v88, v86, v85, 0x7060302
	;; [unrolled: 1-line block ×3, first 2 shown]
	v_mul_f32_e32 v70, v82, v81
	v_or3_b32 v76, v91, v92, v80
	v_dual_mul_f32 v78, v82, v78 :: v_dual_and_b32 v85, 0x7f800000, v84
	v_mul_f32_e32 v83, v82, v72
	v_mul_f32_e32 v81, v82, v71
	;; [unrolled: 1-line block ×3, first 2 shown]
	s_mov_b32 s2, exec_lo
	ds_store_b128 v76, v[87:90]
                                        ; implicit-def: $vgpr69
	v_cmpx_ne_u32_e32 0x7f800000, v85
	s_xor_b32 s2, exec_lo, s2
; %bb.45:
	v_bfe_u32 v69, v84, 16, 1
	s_delay_alu instid0(VALU_DEP_1)
	v_add3_u32 v69, v84, v69, 0x7fff
                                        ; implicit-def: $vgpr84
; %bb.46:
	s_and_not1_saveexec_b32 s2, s2
; %bb.47:
	v_and_b32_e32 v69, 0xffff, v84
	v_or_b32_e32 v71, 0x10000, v84
	s_delay_alu instid0(VALU_DEP_2) | instskip(NEXT) | instid1(VALU_DEP_2)
	v_cmp_eq_u32_e32 vcc_lo, 0, v69
	v_cndmask_b32_e32 v69, v71, v84, vcc_lo
; %bb.48:
	s_or_b32 exec_lo, exec_lo, s2
	v_and_b32_e32 v71, 0x7f800000, v72
	s_delay_alu instid0(VALU_DEP_1) | instskip(SKIP_1) | instid1(SALU_CYCLE_1)
	v_cmp_ne_u32_e32 vcc_lo, 0x7f800000, v71
                                        ; implicit-def: $vgpr71
	s_and_saveexec_b32 s2, vcc_lo
	s_xor_b32 s2, exec_lo, s2
; %bb.49:
	v_bfe_u32 v71, v72, 16, 1
	s_delay_alu instid0(VALU_DEP_1)
	v_add3_u32 v71, v72, v71, 0x7fff
                                        ; implicit-def: $vgpr72
; %bb.50:
	s_and_not1_saveexec_b32 s2, s2
; %bb.51:
	v_and_b32_e32 v71, 0xffff, v72
	v_or_b32_e32 v82, 0x10000, v72
	s_delay_alu instid0(VALU_DEP_2) | instskip(NEXT) | instid1(VALU_DEP_2)
	v_cmp_eq_u32_e32 vcc_lo, 0, v71
	v_cndmask_b32_e32 v71, v82, v72, vcc_lo
; %bb.52:
	s_or_b32 exec_lo, exec_lo, s2
	v_and_b32_e32 v72, 0x7f800000, v81
	s_delay_alu instid0(VALU_DEP_1) | instskip(SKIP_1) | instid1(SALU_CYCLE_1)
	v_cmp_ne_u32_e32 vcc_lo, 0x7f800000, v72
                                        ; implicit-def: $vgpr72
	s_and_saveexec_b32 s2, vcc_lo
	s_xor_b32 s2, exec_lo, s2
; %bb.53:
	v_bfe_u32 v72, v81, 16, 1
	s_delay_alu instid0(VALU_DEP_1)
	v_add3_u32 v72, v81, v72, 0x7fff
                                        ; implicit-def: $vgpr81
; %bb.54:
	s_and_not1_saveexec_b32 s2, s2
; %bb.55:
	v_and_b32_e32 v72, 0xffff, v81
	v_or_b32_e32 v82, 0x10000, v81
	s_delay_alu instid0(VALU_DEP_2) | instskip(NEXT) | instid1(VALU_DEP_2)
	v_cmp_eq_u32_e32 vcc_lo, 0, v72
	v_cndmask_b32_e32 v72, v82, v81, vcc_lo
; %bb.56:
	s_or_b32 exec_lo, exec_lo, s2
	v_and_b32_e32 v81, 0x7f800000, v83
	s_delay_alu instid0(VALU_DEP_1) | instskip(SKIP_1) | instid1(SALU_CYCLE_1)
	v_cmp_ne_u32_e32 vcc_lo, 0x7f800000, v81
                                        ; implicit-def: $vgpr81
	s_and_saveexec_b32 s2, vcc_lo
	s_xor_b32 s2, exec_lo, s2
; %bb.57:
	v_bfe_u32 v81, v83, 16, 1
	s_delay_alu instid0(VALU_DEP_1)
	v_add3_u32 v81, v83, v81, 0x7fff
                                        ; implicit-def: $vgpr83
; %bb.58:
	s_and_not1_saveexec_b32 s2, s2
; %bb.59:
	v_and_b32_e32 v81, 0xffff, v83
	v_or_b32_e32 v82, 0x10000, v83
	s_delay_alu instid0(VALU_DEP_2) | instskip(NEXT) | instid1(VALU_DEP_2)
	v_cmp_eq_u32_e32 vcc_lo, 0, v81
	v_cndmask_b32_e32 v81, v82, v83, vcc_lo
; %bb.60:
	s_or_b32 exec_lo, exec_lo, s2
	v_and_b32_e32 v82, 0x7f800000, v77
	s_delay_alu instid0(VALU_DEP_1) | instskip(SKIP_1) | instid1(SALU_CYCLE_1)
	v_cmp_ne_u32_e32 vcc_lo, 0x7f800000, v82
                                        ; implicit-def: $vgpr82
	s_and_saveexec_b32 s2, vcc_lo
	s_xor_b32 s2, exec_lo, s2
; %bb.61:
	v_bfe_u32 v82, v77, 16, 1
	s_delay_alu instid0(VALU_DEP_1)
	v_add3_u32 v82, v77, v82, 0x7fff
                                        ; implicit-def: $vgpr77
; %bb.62:
	s_and_not1_saveexec_b32 s2, s2
; %bb.63:
	v_and_b32_e32 v82, 0xffff, v77
	v_or_b32_e32 v83, 0x10000, v77
	s_delay_alu instid0(VALU_DEP_2) | instskip(NEXT) | instid1(VALU_DEP_2)
	v_cmp_eq_u32_e32 vcc_lo, 0, v82
	v_cndmask_b32_e32 v82, v83, v77, vcc_lo
; %bb.64:
	s_or_b32 exec_lo, exec_lo, s2
	v_and_b32_e32 v77, 0x7f800000, v78
	s_delay_alu instid0(VALU_DEP_1) | instskip(SKIP_1) | instid1(SALU_CYCLE_1)
	v_cmp_ne_u32_e32 vcc_lo, 0x7f800000, v77
                                        ; implicit-def: $vgpr77
	s_and_saveexec_b32 s2, vcc_lo
	s_xor_b32 s2, exec_lo, s2
; %bb.65:
	v_bfe_u32 v77, v78, 16, 1
	s_delay_alu instid0(VALU_DEP_1)
	v_add3_u32 v77, v78, v77, 0x7fff
                                        ; implicit-def: $vgpr78
; %bb.66:
	s_and_not1_saveexec_b32 s2, s2
; %bb.67:
	v_and_b32_e32 v77, 0xffff, v78
	v_or_b32_e32 v83, 0x10000, v78
	s_delay_alu instid0(VALU_DEP_2) | instskip(NEXT) | instid1(VALU_DEP_2)
	v_cmp_eq_u32_e32 vcc_lo, 0, v77
	v_cndmask_b32_e32 v77, v83, v78, vcc_lo
; %bb.68:
	s_or_b32 exec_lo, exec_lo, s2
	v_and_b32_e32 v78, 0x7f800000, v79
	s_delay_alu instid0(VALU_DEP_1) | instskip(SKIP_1) | instid1(SALU_CYCLE_1)
	v_cmp_ne_u32_e32 vcc_lo, 0x7f800000, v78
                                        ; implicit-def: $vgpr78
	s_and_saveexec_b32 s2, vcc_lo
	s_xor_b32 s2, exec_lo, s2
; %bb.69:
	v_bfe_u32 v78, v79, 16, 1
	s_delay_alu instid0(VALU_DEP_1)
	v_add3_u32 v78, v79, v78, 0x7fff
                                        ; implicit-def: $vgpr79
; %bb.70:
	s_and_not1_saveexec_b32 s2, s2
; %bb.71:
	v_and_b32_e32 v78, 0xffff, v79
	v_or_b32_e32 v83, 0x10000, v79
	s_delay_alu instid0(VALU_DEP_2) | instskip(NEXT) | instid1(VALU_DEP_2)
	v_cmp_eq_u32_e32 vcc_lo, 0, v78
	v_cndmask_b32_e32 v78, v83, v79, vcc_lo
; %bb.72:
	s_or_b32 exec_lo, exec_lo, s2
	v_and_b32_e32 v79, 0x7f800000, v70
	s_delay_alu instid0(VALU_DEP_1) | instskip(SKIP_1) | instid1(SALU_CYCLE_1)
	v_cmp_ne_u32_e32 vcc_lo, 0x7f800000, v79
                                        ; implicit-def: $vgpr79
	s_and_saveexec_b32 s2, vcc_lo
	s_xor_b32 s2, exec_lo, s2
; %bb.73:
	v_bfe_u32 v79, v70, 16, 1
	s_delay_alu instid0(VALU_DEP_1)
	v_add3_u32 v79, v70, v79, 0x7fff
                                        ; implicit-def: $vgpr70
; %bb.74:
	s_and_not1_saveexec_b32 s2, s2
; %bb.75:
	v_and_b32_e32 v79, 0xffff, v70
	v_or_b32_e32 v83, 0x10000, v70
	s_delay_alu instid0(VALU_DEP_2) | instskip(NEXT) | instid1(VALU_DEP_2)
	v_cmp_eq_u32_e32 vcc_lo, 0, v79
	v_cndmask_b32_e32 v79, v83, v70, vcc_lo
; %bb.76:
	s_or_b32 exec_lo, exec_lo, s2
	s_delay_alu instid0(VALU_DEP_1)
	v_perm_b32 v86, v79, v78, 0x7060302
	v_perm_b32 v85, v77, v82, 0x7060302
	;; [unrolled: 1-line block ×4, first 2 shown]
	v_lshl_or_b32 v82, v66, 11, v80
	ds_store_b128 v76, v[83:86] offset:1024
	s_waitcnt lgkmcnt(0)
	s_barrier
	buffer_gl0_inv
	ds_load_b128 v[69:72], v82
	ds_load_b128 v[83:86], v82 offset:16
	s_waitcnt lgkmcnt(1)
	v_lshrrev_b32_e32 v66, 16, v69
	s_waitcnt lgkmcnt(0)
	v_lshrrev_b32_e32 v91, 16, v83
	v_lshlrev_b32_e32 v78, 2, v74
	v_lshrrev_b32_e32 v95, 16, v70
	v_lshrrev_b32_e32 v98, 16, v84
	;; [unrolled: 1-line block ×4, first 2 shown]
	v_cmp_eq_u32_e32 vcc_lo, 1, v78
	v_lshrrev_b32_e32 v97, 16, v72
	v_lshrrev_b32_e32 v100, 16, v86
	v_cndmask_b32_e32 v87, v83, v91, vcc_lo
	v_or_b32_e32 v79, 1, v78
	v_cndmask_b32_e32 v81, v69, v66, vcc_lo
	v_cmp_eq_u32_e64 s3, 2, v78
	v_cmp_eq_u32_e64 s6, 3, v78
	;; [unrolled: 1-line block ×5, first 2 shown]
	v_cndmask_b32_e64 v81, v81, v70, s3
	v_cndmask_b32_e64 v87, v87, v84, s3
	v_cmp_eq_u32_e64 s7, 3, v79
	v_cndmask_b32_e64 v88, v69, v66, s2
	v_or_b32_e32 v77, 2, v78
	v_cndmask_b32_e64 v81, v81, v95, s6
	v_cndmask_b32_e64 v87, v87, v98, s6
	;; [unrolled: 1-line block ×4, first 2 shown]
	v_cmp_eq_u32_e64 s9, 5, v78
	v_cndmask_b32_e64 v81, v81, v71, s8
	v_cndmask_b32_e64 v87, v87, v85, s8
	v_cmp_eq_u32_e64 s10, 4, v79
	v_cndmask_b32_e64 v88, v88, v95, s7
	v_cmp_eq_u32_e64 s4, 1, v77
	v_cndmask_b32_e64 v89, v89, v84, s5
	v_cndmask_b32_e64 v81, v81, v96, s9
	v_cmp_eq_u32_e64 s11, 6, v78
	v_cndmask_b32_e64 v88, v88, v71, s10
	v_cndmask_b32_e64 v87, v87, v99, s9
	v_cmp_eq_u32_e64 s12, 5, v79
	v_cndmask_b32_e64 v90, v69, v66, s4
	v_cndmask_b32_e64 v89, v89, v98, s7
	v_cndmask_b32_e64 v81, v81, v72, s11
	v_cmp_eq_u32_e64 s13, 7, v78
	v_cndmask_b32_e64 v88, v88, v96, s12
	v_cndmask_b32_e64 v87, v87, v86, s11
	v_cmp_eq_u32_e64 s15, 6, v79
	v_cmp_eq_u32_e64 s16, 2, v77
	v_cndmask_b32_e64 v89, v89, v85, s10
	v_cndmask_b32_e64 v101, v81, v97, s13
	;; [unrolled: 1-line block ×6, first 2 shown]
	v_cmp_eq_u32_e64 s17, 7, v79
	v_cmp_eq_u32_e64 s18, 3, v77
	;; [unrolled: 1-line block ×4, first 2 shown]
	v_cndmask_b32_e64 v87, v87, v84, s16
	v_cndmask_b32_e64 v103, v88, v97, s17
	;; [unrolled: 1-line block ×4, first 2 shown]
	v_or_b32_e32 v81, 3, v78
	v_cndmask_b32_e64 v93, v87, v98, s18
	v_cmp_eq_u32_e64 s23, 6, v77
	v_cndmask_b32_e64 v104, v88, v86, s15
	v_cndmask_b32_e64 v92, v89, v71, s19
	v_cmp_eq_u32_e64 s20, 1, v81
	ds_load_b128 v[87:90], v82 offset:1024
	v_cmp_eq_u32_e64 s22, 2, v81
	v_cmp_eq_u32_e64 s24, 3, v81
	v_cndmask_b32_e64 v105, v92, v96, s21
	v_cndmask_b32_e64 v66, v69, v66, s20
	;; [unrolled: 1-line block ×4, first 2 shown]
	ds_load_b128 v[91:94], v82 offset:1040
	v_cmp_eq_u32_e64 s25, 4, v81
	v_cndmask_b32_e64 v66, v66, v70, s22
	v_cmp_eq_u32_e64 s26, 7, v77
	v_cndmask_b32_e64 v70, v83, v84, s22
	v_cndmask_b32_e64 v84, v105, v72, s23
	v_cmp_eq_u32_e64 s27, 5, v81
	v_cndmask_b32_e64 v66, v66, v95, s24
	v_cmp_eq_u32_e64 s28, 6, v81
	v_cndmask_b32_e64 v70, v70, v98, s24
	v_cndmask_b32_e64 v69, v69, v99, s21
	;; [unrolled: 1-line block ×4, first 2 shown]
	s_waitcnt lgkmcnt(1)
	v_lshrrev_b32_e32 v95, 16, v87
	v_cndmask_b32_e64 v70, v70, v85, s25
	v_cndmask_b32_e64 v71, v84, v97, s26
	;; [unrolled: 1-line block ×4, first 2 shown]
	v_cndmask_b32_e32 v84, v87, v95, vcc_lo
	v_cndmask_b32_e64 v70, v70, v99, s27
	s_waitcnt lgkmcnt(0)
	v_lshrrev_b32_e32 v85, 16, v91
	v_lshrrev_b32_e32 v96, 16, v88
	v_cndmask_b32_e64 v98, v87, v95, s2
	v_cndmask_b32_e64 v84, v84, v88, s3
	;; [unrolled: 1-line block ×3, first 2 shown]
	v_cndmask_b32_e32 v99, v91, v85, vcc_lo
	v_cmp_eq_u32_e32 vcc_lo, 7, v81
	v_cndmask_b32_e64 v66, v66, v72, s28
	v_cndmask_b32_e64 v72, v84, v96, s6
	;; [unrolled: 1-line block ×3, first 2 shown]
	v_lshrrev_b32_e32 v98, 16, v92
	v_cndmask_b32_e32 v70, v70, v100, vcc_lo
	v_cndmask_b32_e64 v86, v99, v92, s3
	v_cndmask_b32_e64 v69, v69, v100, s26
	v_lshrrev_b32_e32 v100, 16, v93
	v_cndmask_b32_e64 v72, v72, v89, s8
	v_lshrrev_b32_e32 v99, 16, v89
	v_cndmask_b32_e64 v86, v86, v98, s6
	v_perm_b32 v71, v69, v71, 0x5040100
	v_cndmask_b32_e64 v84, v84, v96, s7
	s_delay_alu instid0(VALU_DEP_3) | instskip(NEXT) | instid1(VALU_DEP_2)
	v_cndmask_b32_e64 v86, v86, v93, s8
	v_cndmask_b32_e64 v84, v84, v89, s10
	s_delay_alu instid0(VALU_DEP_2) | instskip(NEXT) | instid1(VALU_DEP_1)
	v_cndmask_b32_e64 v86, v86, v100, s9
	v_cndmask_b32_e64 v69, v86, v94, s11
	;; [unrolled: 1-line block ×5, first 2 shown]
	s_delay_alu instid0(VALU_DEP_3) | instskip(NEXT) | instid1(VALU_DEP_3)
	v_cndmask_b32_e64 v86, v86, v88, s16
	v_cndmask_b32_e64 v87, v87, v88, s22
	s_delay_alu instid0(VALU_DEP_3) | instskip(NEXT) | instid1(VALU_DEP_3)
	v_cndmask_b32_e64 v88, v95, v92, s22
	v_cndmask_b32_e64 v86, v86, v96, s18
	;; [unrolled: 3-line block ×7, first 2 shown]
	s_delay_alu instid0(VALU_DEP_3) | instskip(SKIP_2) | instid1(VALU_DEP_2)
	v_cndmask_b32_e64 v88, v88, v94, s28
	v_cndmask_b32_e32 v66, v66, v97, vcc_lo
	v_cndmask_b32_e64 v97, v72, v99, s9
	v_perm_b32 v72, v70, v66, 0x5040100
	v_perm_b32 v70, v83, v103, 0x5040100
	v_cndmask_b32_e64 v103, v91, v85, s4
	v_cndmask_b32_e64 v85, v91, v85, s2
	;; [unrolled: 1-line block ×4, first 2 shown]
	v_lshrrev_b32_e32 v97, 16, v90
	v_cndmask_b32_e64 v91, v103, v92, s16
	v_cndmask_b32_e64 v85, v85, v92, s5
	;; [unrolled: 1-line block ×3, first 2 shown]
	s_mov_b32 s2, exec_lo
	v_cndmask_b32_e64 v83, v84, v97, s13
	v_cndmask_b32_e64 v91, v91, v98, s18
	;; [unrolled: 1-line block ×3, first 2 shown]
	v_lshrrev_b32_e32 v84, 16, v94
	v_cndmask_b32_e64 v66, v66, v97, s17
	v_cndmask_b32_e64 v90, v86, v97, s26
	;; [unrolled: 1-line block ×4, first 2 shown]
	v_dual_cndmask_b32 v86, v87, v97 :: v_dual_cndmask_b32 v87, v88, v84
	v_cndmask_b32_e64 v91, v69, v84, s13
	s_delay_alu instid0(VALU_DEP_4) | instskip(NEXT) | instid1(VALU_DEP_4)
	v_cndmask_b32_e64 v89, v89, v100, s21
	v_cndmask_b32_e64 v85, v85, v100, s12
	v_perm_b32 v69, v102, v101, 0x5040100
	v_perm_b32 v86, v87, v86, 0x5040100
	;; [unrolled: 1-line block ×3, first 2 shown]
	v_cndmask_b32_e64 v89, v89, v94, s23
	v_cndmask_b32_e64 v85, v85, v94, s15
	s_mul_i32 s7, s35, 6
	s_delay_alu instid0(VALU_DEP_2) | instskip(NEXT) | instid1(VALU_DEP_2)
	v_cndmask_b32_e64 v88, v89, v84, s26
	v_cndmask_b32_e64 v89, v85, v84, s17
	s_delay_alu instid0(VALU_DEP_2) | instskip(NEXT) | instid1(VALU_DEP_2)
	v_perm_b32 v85, v88, v90, 0x5040100
	v_perm_b32 v84, v89, v66, 0x5040100
	ds_store_b128 v76, v[69:72]
	ds_store_b128 v76, v[83:86] offset:1024
	v_cmpx_gt_u32_e32 6, v0
	s_cbranch_execz .LBB1531_78
; %bb.77:
	s_mul_i32 s3, s7, s30
	s_load_b128 s[8:11], s[0:1], 0x58
	v_add3_u32 v69, s3, s29, v65
	s_delay_alu instid0(VALU_DEP_1) | instskip(NEXT) | instid1(VALU_DEP_1)
	v_mad_u64_u32 v[65:66], null, v69, s34, s[14:15]
	v_ashrrev_i32_e32 v66, 31, v65
	s_delay_alu instid0(VALU_DEP_1) | instskip(SKIP_1) | instid1(VALU_DEP_1)
	v_lshlrev_b64 v[65:66], 2, v[65:66]
	s_waitcnt lgkmcnt(0)
	v_add_co_u32 v69, vcc_lo, s10, v65
	s_delay_alu instid0(VALU_DEP_2)
	v_add_co_ci_u32_e32 v70, vcc_lo, s11, v66, vcc_lo
	v_add_co_u32 v65, vcc_lo, s8, v65
	v_add_co_ci_u32_e32 v66, vcc_lo, s9, v66, vcc_lo
	global_store_b32 v[69:70], v67, off
	global_store_b32 v[65:66], v68, off
.LBB1531_78:
	s_or_b32 exec_lo, exec_lo, s2
	s_waitcnt lgkmcnt(0)
	s_waitcnt_vscnt null, 0x0
	s_barrier
	buffer_gl0_inv
	ds_load_b128 v[83:86], v80
	ds_load_b128 v[87:90], v80 offset:16
	ds_load_b128 v[95:98], v80 offset:2064
	ds_load_b128 v[91:94], v80 offset:2048
	v_mov_b32_e32 v65, 0
	ds_load_b128 v[103:106], v80 offset:4112
	ds_load_b128 v[99:102], v80 offset:4096
	;; [unrolled: 1-line block ×4, first 2 shown]
	v_mov_b32_e32 v66, v65
	v_mov_b32_e32 v67, v65
	;; [unrolled: 1-line block ×7, first 2 shown]
	s_waitcnt lgkmcnt(6)
	s_delay_alu instid0(VALU_DEP_1)
	v_wmma_f32_16x16x16_bf16 v[65:72], v[41:48], v[83:90], v[65:72]
	ds_load_b128 v[45:48], v80 offset:8208
	ds_load_b128 v[41:44], v80 offset:8192
	s_waitcnt lgkmcnt(6)
	v_wmma_f32_16x16x16_bf16 v[65:72], v[33:40], v[91:98], v[65:72]
	ds_load_b128 v[37:40], v80 offset:10256
	ds_load_b128 v[33:36], v80 offset:10240
	s_waitcnt lgkmcnt(6)
	;; [unrolled: 4-line block ×4, first 2 shown]
	v_wmma_f32_16x16x16_bf16 v[65:72], v[1:8], v[41:48], v[65:72]
	s_waitcnt lgkmcnt(4)
	s_delay_alu instid0(VALU_DEP_1) | instskip(SKIP_1) | instid1(VALU_DEP_1)
	v_wmma_f32_16x16x16_bf16 v[65:72], v[9:16], v[33:40], v[65:72]
	s_waitcnt lgkmcnt(2)
	v_wmma_f32_16x16x16_bf16 v[65:72], v[57:64], v[25:32], v[65:72]
	s_waitcnt lgkmcnt(0)
	s_delay_alu instid0(VALU_DEP_1) | instskip(NEXT) | instid1(VALU_DEP_1)
	v_wmma_f32_16x16x16_bf16 v[65:72], v[49:56], v[17:24], v[65:72]
	v_and_b32_e32 v1, 0x7f800000, v65
	s_delay_alu instid0(VALU_DEP_1) | instskip(SKIP_1) | instid1(SALU_CYCLE_1)
	v_cmp_ne_u32_e32 vcc_lo, 0x7f800000, v1
                                        ; implicit-def: $vgpr1
	s_and_saveexec_b32 s2, vcc_lo
	s_xor_b32 s2, exec_lo, s2
; %bb.79:
	v_bfe_u32 v1, v65, 16, 1
	s_delay_alu instid0(VALU_DEP_1)
	v_add3_u32 v1, v65, v1, 0x7fff
; %bb.80:
	s_and_not1_saveexec_b32 s2, s2
; %bb.81:
	v_and_b32_e32 v1, 0xffff, v65
	v_or_b32_e32 v2, 0x10000, v65
	s_delay_alu instid0(VALU_DEP_2) | instskip(NEXT) | instid1(VALU_DEP_2)
	v_cmp_eq_u32_e32 vcc_lo, 0, v1
	v_cndmask_b32_e32 v1, v2, v65, vcc_lo
; %bb.82:
	s_or_b32 exec_lo, exec_lo, s2
	v_and_b32_e32 v2, 0x7f800000, v66
	s_delay_alu instid0(VALU_DEP_1) | instskip(SKIP_1) | instid1(SALU_CYCLE_1)
	v_cmp_ne_u32_e32 vcc_lo, 0x7f800000, v2
                                        ; implicit-def: $vgpr2
	s_and_saveexec_b32 s2, vcc_lo
	s_xor_b32 s2, exec_lo, s2
; %bb.83:
	v_bfe_u32 v2, v66, 16, 1
	s_delay_alu instid0(VALU_DEP_1)
	v_add3_u32 v2, v66, v2, 0x7fff
; %bb.84:
	s_and_not1_saveexec_b32 s2, s2
; %bb.85:
	v_and_b32_e32 v2, 0xffff, v66
	v_or_b32_e32 v3, 0x10000, v66
	s_delay_alu instid0(VALU_DEP_2) | instskip(NEXT) | instid1(VALU_DEP_2)
	v_cmp_eq_u32_e32 vcc_lo, 0, v2
	v_cndmask_b32_e32 v2, v3, v66, vcc_lo
; %bb.86:
	s_or_b32 exec_lo, exec_lo, s2
	v_and_b32_e32 v3, 0x7f800000, v67
	s_delay_alu instid0(VALU_DEP_1) | instskip(SKIP_1) | instid1(SALU_CYCLE_1)
	v_cmp_ne_u32_e32 vcc_lo, 0x7f800000, v3
                                        ; implicit-def: $vgpr3
	s_and_saveexec_b32 s2, vcc_lo
	s_xor_b32 s2, exec_lo, s2
; %bb.87:
	v_bfe_u32 v3, v67, 16, 1
	s_delay_alu instid0(VALU_DEP_1)
	v_add3_u32 v3, v67, v3, 0x7fff
; %bb.88:
	s_and_not1_saveexec_b32 s2, s2
; %bb.89:
	v_and_b32_e32 v3, 0xffff, v67
	v_or_b32_e32 v4, 0x10000, v67
	s_delay_alu instid0(VALU_DEP_2) | instskip(NEXT) | instid1(VALU_DEP_2)
	v_cmp_eq_u32_e32 vcc_lo, 0, v3
	v_cndmask_b32_e32 v3, v4, v67, vcc_lo
; %bb.90:
	s_or_b32 exec_lo, exec_lo, s2
	v_and_b32_e32 v4, 0x7f800000, v68
	s_delay_alu instid0(VALU_DEP_1) | instskip(SKIP_1) | instid1(SALU_CYCLE_1)
	v_cmp_ne_u32_e32 vcc_lo, 0x7f800000, v4
                                        ; implicit-def: $vgpr4
	s_and_saveexec_b32 s2, vcc_lo
	s_xor_b32 s2, exec_lo, s2
; %bb.91:
	v_bfe_u32 v4, v68, 16, 1
	s_delay_alu instid0(VALU_DEP_1)
	v_add3_u32 v4, v68, v4, 0x7fff
; %bb.92:
	s_and_not1_saveexec_b32 s2, s2
; %bb.93:
	v_and_b32_e32 v4, 0xffff, v68
	v_or_b32_e32 v5, 0x10000, v68
	s_delay_alu instid0(VALU_DEP_2) | instskip(NEXT) | instid1(VALU_DEP_2)
	v_cmp_eq_u32_e32 vcc_lo, 0, v4
	v_cndmask_b32_e32 v4, v5, v68, vcc_lo
; %bb.94:
	s_or_b32 exec_lo, exec_lo, s2
	v_and_b32_e32 v5, 0x7f800000, v69
	s_delay_alu instid0(VALU_DEP_1) | instskip(SKIP_1) | instid1(SALU_CYCLE_1)
	v_cmp_ne_u32_e32 vcc_lo, 0x7f800000, v5
                                        ; implicit-def: $vgpr5
	s_and_saveexec_b32 s2, vcc_lo
	s_xor_b32 s2, exec_lo, s2
; %bb.95:
	v_bfe_u32 v5, v69, 16, 1
	s_delay_alu instid0(VALU_DEP_1)
	v_add3_u32 v5, v69, v5, 0x7fff
; %bb.96:
	s_and_not1_saveexec_b32 s2, s2
; %bb.97:
	v_and_b32_e32 v5, 0xffff, v69
	v_or_b32_e32 v6, 0x10000, v69
	s_delay_alu instid0(VALU_DEP_2) | instskip(NEXT) | instid1(VALU_DEP_2)
	v_cmp_eq_u32_e32 vcc_lo, 0, v5
	v_cndmask_b32_e32 v5, v6, v69, vcc_lo
; %bb.98:
	s_or_b32 exec_lo, exec_lo, s2
	v_and_b32_e32 v6, 0x7f800000, v70
	s_delay_alu instid0(VALU_DEP_1) | instskip(SKIP_1) | instid1(SALU_CYCLE_1)
	v_cmp_ne_u32_e32 vcc_lo, 0x7f800000, v6
                                        ; implicit-def: $vgpr6
	s_and_saveexec_b32 s2, vcc_lo
	s_xor_b32 s2, exec_lo, s2
; %bb.99:
	v_bfe_u32 v6, v70, 16, 1
	s_delay_alu instid0(VALU_DEP_1)
	v_add3_u32 v6, v70, v6, 0x7fff
; %bb.100:
	s_and_not1_saveexec_b32 s2, s2
; %bb.101:
	v_and_b32_e32 v6, 0xffff, v70
	v_or_b32_e32 v7, 0x10000, v70
	s_delay_alu instid0(VALU_DEP_2) | instskip(NEXT) | instid1(VALU_DEP_2)
	v_cmp_eq_u32_e32 vcc_lo, 0, v6
	v_cndmask_b32_e32 v6, v7, v70, vcc_lo
; %bb.102:
	s_or_b32 exec_lo, exec_lo, s2
	v_and_b32_e32 v7, 0x7f800000, v71
	s_delay_alu instid0(VALU_DEP_1) | instskip(SKIP_1) | instid1(SALU_CYCLE_1)
	v_cmp_ne_u32_e32 vcc_lo, 0x7f800000, v7
                                        ; implicit-def: $vgpr7
	s_and_saveexec_b32 s2, vcc_lo
	s_xor_b32 s2, exec_lo, s2
; %bb.103:
	v_bfe_u32 v7, v71, 16, 1
	s_delay_alu instid0(VALU_DEP_1)
	v_add3_u32 v7, v71, v7, 0x7fff
; %bb.104:
	s_and_not1_saveexec_b32 s2, s2
; %bb.105:
	v_and_b32_e32 v7, 0xffff, v71
	v_or_b32_e32 v8, 0x10000, v71
	s_delay_alu instid0(VALU_DEP_2) | instskip(NEXT) | instid1(VALU_DEP_2)
	v_cmp_eq_u32_e32 vcc_lo, 0, v7
	v_cndmask_b32_e32 v7, v8, v71, vcc_lo
; %bb.106:
	s_or_b32 exec_lo, exec_lo, s2
	v_and_b32_e32 v8, 0x7f800000, v72
	s_delay_alu instid0(VALU_DEP_1) | instskip(SKIP_1) | instid1(SALU_CYCLE_1)
	v_cmp_ne_u32_e32 vcc_lo, 0x7f800000, v8
                                        ; implicit-def: $vgpr8
	s_and_saveexec_b32 s2, vcc_lo
	s_xor_b32 s2, exec_lo, s2
; %bb.107:
	v_bfe_u32 v8, v72, 16, 1
	s_delay_alu instid0(VALU_DEP_1)
	v_add3_u32 v8, v72, v8, 0x7fff
                                        ; implicit-def: $vgpr65_vgpr66_vgpr67_vgpr68_vgpr69_vgpr70_vgpr71_vgpr72
; %bb.108:
	s_and_not1_saveexec_b32 s2, s2
; %bb.109:
	v_and_b32_e32 v8, 0xffff, v72
	v_or_b32_e32 v9, 0x10000, v72
	s_delay_alu instid0(VALU_DEP_2) | instskip(NEXT) | instid1(VALU_DEP_2)
	v_cmp_eq_u32_e32 vcc_lo, 0, v8
	v_cndmask_b32_e32 v8, v9, v72, vcc_lo
; %bb.110:
	s_or_b32 exec_lo, exec_lo, s2
	s_delay_alu instid0(VALU_DEP_1)
	v_perm_b32 v7, v8, v7, 0x7060302
	v_perm_b32 v6, v6, v5, 0x7060302
	;; [unrolled: 1-line block ×4, first 2 shown]
	s_barrier
	buffer_gl0_inv
	v_cmp_eq_u32_e32 vcc_lo, 1, v78
	ds_store_b128 v76, v[4:7]
	s_waitcnt lgkmcnt(0)
	s_barrier
	buffer_gl0_inv
	ds_load_b128 v[1:4], v82
	ds_load_b128 v[5:8], v82 offset:16
	v_cmp_eq_u32_e64 s2, 1, v79
	v_cmp_eq_u32_e64 s3, 2, v78
	;; [unrolled: 1-line block ×5, first 2 shown]
	s_waitcnt lgkmcnt(1)
	v_lshrrev_b32_e32 v9, 16, v1
	s_waitcnt lgkmcnt(0)
	v_lshrrev_b32_e32 v13, 16, v5
	v_lshrrev_b32_e32 v10, 16, v2
	;; [unrolled: 1-line block ×4, first 2 shown]
	v_cndmask_b32_e64 v19, v1, v9, s2
	v_cndmask_b32_e32 v18, v5, v13, vcc_lo
	v_cndmask_b32_e64 v20, v5, v13, s2
	v_cndmask_b32_e32 v17, v1, v9, vcc_lo
	v_cmp_eq_u32_e32 vcc_lo, 2, v79
	v_lshrrev_b32_e32 v15, 16, v7
	v_cmp_eq_u32_e64 s2, 1, v77
	v_lshrrev_b32_e32 v12, 16, v4
	v_lshrrev_b32_e32 v16, 16, v8
	v_cndmask_b32_e32 v20, v20, v6, vcc_lo
	v_cndmask_b32_e64 v17, v17, v2, s3
	v_cndmask_b32_e32 v19, v19, v2, vcc_lo
	v_cndmask_b32_e64 v18, v18, v6, s3
	v_cmp_eq_u32_e32 vcc_lo, 4, v78
	v_cmp_eq_u32_e64 s3, 3, v79
	v_cndmask_b32_e64 v17, v17, v10, s4
	v_cndmask_b32_e64 v21, v1, v9, s2
	;; [unrolled: 1-line block ×5, first 2 shown]
	v_cndmask_b32_e32 v17, v17, v3, vcc_lo
	v_cndmask_b32_e64 v20, v20, v14, s3
	v_cndmask_b32_e32 v18, v18, v7, vcc_lo
	v_cmp_eq_u32_e32 vcc_lo, 4, v79
	v_cmp_eq_u32_e64 s3, 5, v79
	v_cmp_eq_u32_e64 s2, 2, v81
	v_cndmask_b32_e64 v21, v21, v2, s6
	v_cmp_eq_u32_e64 s4, 5, v78
	v_cndmask_b32_e32 v19, v19, v3, vcc_lo
	v_cndmask_b32_e32 v20, v20, v7, vcc_lo
	v_cmp_eq_u32_e32 vcc_lo, 6, v79
	s_delay_alu instid0(VALU_DEP_4) | instskip(NEXT) | instid1(VALU_DEP_4)
	v_cndmask_b32_e64 v17, v17, v11, s4
	v_cndmask_b32_e64 v19, v19, v11, s3
	s_delay_alu instid0(VALU_DEP_4) | instskip(SKIP_1) | instid1(VALU_DEP_3)
	v_cndmask_b32_e64 v20, v20, v15, s3
	v_cmp_eq_u32_e64 s3, 1, v81
	v_cndmask_b32_e32 v19, v19, v4, vcc_lo
	v_cndmask_b32_e64 v18, v18, v15, s4
	s_delay_alu instid0(VALU_DEP_3)
	v_cndmask_b32_e64 v1, v1, v9, s3
	v_cndmask_b32_e64 v5, v5, v13, s3
	v_cmp_eq_u32_e64 s3, 3, v77
	v_cndmask_b32_e64 v13, v22, v6, s6
	v_cmp_eq_u32_e64 s6, 3, v81
	v_cndmask_b32_e64 v1, v1, v2, s2
	v_cndmask_b32_e64 v2, v5, v6, s2
	;; [unrolled: 1-line block ×3, first 2 shown]
	v_cmp_eq_u32_e64 s2, 4, v77
	v_cndmask_b32_e64 v6, v13, v14, s3
	v_cndmask_b32_e64 v1, v1, v10, s6
	v_cmp_eq_u32_e64 s3, 4, v81
	v_cndmask_b32_e64 v2, v2, v14, s6
	v_cndmask_b32_e64 v5, v9, v3, s2
	;; [unrolled: 3-line block ×3, first 2 shown]
	v_cndmask_b32_e64 v2, v2, v7, s3
	v_cmp_eq_u32_e64 s2, 5, v81
	v_cmp_eq_u32_e64 s4, 6, v78
	v_cndmask_b32_e64 v5, v5, v11, s6
	v_cmp_eq_u32_e64 s3, 6, v77
	v_cndmask_b32_e64 v3, v6, v15, s6
	v_cndmask_b32_e64 v1, v1, v11, s2
	v_cmp_eq_u32_e64 s6, 6, v81
	v_cndmask_b32_e64 v2, v2, v15, s2
	v_cndmask_b32_e64 v17, v17, v4, s4
	v_cndmask_b32_e64 v18, v18, v8, s4
	v_cmp_eq_u32_e64 s4, 7, v78
	v_cndmask_b32_e64 v5, v5, v4, s3
	;; [unrolled: 4-line block ×3, first 2 shown]
	v_cmp_eq_u32_e64 s3, 7, v77
	v_cndmask_b32_e32 v4, v20, v8, vcc_lo
	v_cndmask_b32_e64 v17, v17, v12, s4
	v_cndmask_b32_e64 v19, v19, v12, s5
	;; [unrolled: 1-line block ×8, first 2 shown]
	s_mov_b32 s2, exec_lo
	v_perm_b32 v4, v2, v1, 0x5040100
	v_perm_b32 v3, v3, v5, 0x5040100
	;; [unrolled: 1-line block ×4, first 2 shown]
	ds_store_b128 v76, v[1:4]
	s_waitcnt lgkmcnt(0)
	s_barrier
	buffer_gl0_inv
	v_cmpx_gt_u32_e32 32, v0
	s_cbranch_execz .LBB1531_2
; %bb.111:
	s_load_b64 s[0:1], s[0:1], 0x68
	s_lshl_b32 s4, s34, 7
	v_or_b32_e32 v3, s29, v74
	s_mul_i32 s2, s4, s30
	v_lshlrev_b32_e32 v0, 10, v0
	s_mul_i32 s2, s2, s7
	v_lshlrev_b32_e32 v1, 4, v75
	s_ashr_i32 s3, s2, 31
	v_mul_lo_u32 v12, v3, s4
	s_lshl_b64 s[2:3], s[2:3], 1
	v_lshlrev_b32_e32 v2, 6, v74
	v_and_b32_e32 v0, 0x3800, v0
	s_delay_alu instid0(VALU_DEP_1) | instskip(NEXT) | instid1(VALU_DEP_4)
	v_or3_b32 v8, v0, v1, v2
	v_ashrrev_i32_e32 v13, 31, v12
	ds_load_b128 v[0:3], v8
	ds_load_b128 v[4:7], v8 offset:128
	ds_load_b128 v[8:11], v8 offset:256
	s_waitcnt lgkmcnt(0)
	s_add_u32 s2, s0, s2
	s_addc_u32 s3, s1, s3
	s_lshl_b32 s0, s14, 7
	s_delay_alu instid0(SALU_CYCLE_1) | instskip(NEXT) | instid1(SALU_CYCLE_1)
	s_ashr_i32 s1, s0, 31
	s_lshl_b64 s[0:1], s[0:1], 1
	s_delay_alu instid0(SALU_CYCLE_1)
	s_add_u32 s0, s2, s0
	s_addc_u32 s1, s3, s1
	s_lshl_b32 s2, s34, 8
	v_add_co_u32 v18, s0, s0, v73
	v_add_nc_u32_e32 v14, s2, v12
	v_lshlrev_b64 v[12:13], 1, v[12:13]
	v_add_co_ci_u32_e64 v19, null, s1, 0, s0
	s_delay_alu instid0(VALU_DEP_3) | instskip(SKIP_1) | instid1(VALU_DEP_4)
	v_add_nc_u32_e32 v16, s2, v14
	v_ashrrev_i32_e32 v15, 31, v14
	v_add_co_u32 v12, vcc_lo, v18, v12
	s_delay_alu instid0(VALU_DEP_4) | instskip(NEXT) | instid1(VALU_DEP_4)
	v_add_co_ci_u32_e32 v13, vcc_lo, v19, v13, vcc_lo
	v_ashrrev_i32_e32 v17, 31, v16
	s_delay_alu instid0(VALU_DEP_4) | instskip(NEXT) | instid1(VALU_DEP_2)
	v_lshlrev_b64 v[14:15], 1, v[14:15]
	v_lshlrev_b64 v[16:17], 1, v[16:17]
	s_delay_alu instid0(VALU_DEP_2) | instskip(NEXT) | instid1(VALU_DEP_3)
	v_add_co_u32 v14, vcc_lo, v18, v14
	v_add_co_ci_u32_e32 v15, vcc_lo, v19, v15, vcc_lo
	s_delay_alu instid0(VALU_DEP_3) | instskip(NEXT) | instid1(VALU_DEP_4)
	v_add_co_u32 v16, vcc_lo, v18, v16
	v_add_co_ci_u32_e32 v17, vcc_lo, v19, v17, vcc_lo
	s_clause 0x2
	global_store_b128 v[12:13], v[0:3], off
	global_store_b128 v[14:15], v[4:7], off
	;; [unrolled: 1-line block ×3, first 2 shown]
	s_nop 0
	s_sendmsg sendmsg(MSG_DEALLOC_VGPRS)
	s_endpgm
	.section	.rodata,"a",@progbits
	.p2align	6, 0x0
	.amdhsa_kernel _Z39paged_attention_ll4mi_QKV_mfma16_kernelI14__hip_bfloat16hLN4vllm18Fp8KVCacheDataTypeE1EhLi16ELi128ELi256ELb0ELi6EL8MFMAType1EEvPKT_PKT0_S9_ifPKiSB_SB_iPKfiiiPfSE_PS4_PT2_iSD_SD_
		.amdhsa_group_segment_fixed_size 17472
		.amdhsa_private_segment_fixed_size 0
		.amdhsa_kernarg_size 400
		.amdhsa_user_sgpr_count 13
		.amdhsa_user_sgpr_dispatch_ptr 0
		.amdhsa_user_sgpr_queue_ptr 0
		.amdhsa_user_sgpr_kernarg_segment_ptr 1
		.amdhsa_user_sgpr_dispatch_id 0
		.amdhsa_user_sgpr_private_segment_size 0
		.amdhsa_wavefront_size32 1
		.amdhsa_uses_dynamic_stack 0
		.amdhsa_enable_private_segment 0
		.amdhsa_system_sgpr_workgroup_id_x 1
		.amdhsa_system_sgpr_workgroup_id_y 1
		.amdhsa_system_sgpr_workgroup_id_z 1
		.amdhsa_system_sgpr_workgroup_info 0
		.amdhsa_system_vgpr_workitem_id 0
		.amdhsa_next_free_vgpr 140
		.amdhsa_next_free_sgpr 36
		.amdhsa_reserve_vcc 1
		.amdhsa_float_round_mode_32 0
		.amdhsa_float_round_mode_16_64 0
		.amdhsa_float_denorm_mode_32 3
		.amdhsa_float_denorm_mode_16_64 3
		.amdhsa_dx10_clamp 1
		.amdhsa_ieee_mode 1
		.amdhsa_fp16_overflow 0
		.amdhsa_workgroup_processor_mode 1
		.amdhsa_memory_ordered 1
		.amdhsa_forward_progress 0
		.amdhsa_shared_vgpr_count 0
		.amdhsa_exception_fp_ieee_invalid_op 0
		.amdhsa_exception_fp_denorm_src 0
		.amdhsa_exception_fp_ieee_div_zero 0
		.amdhsa_exception_fp_ieee_overflow 0
		.amdhsa_exception_fp_ieee_underflow 0
		.amdhsa_exception_fp_ieee_inexact 0
		.amdhsa_exception_int_div_zero 0
	.end_amdhsa_kernel
	.section	.text._Z39paged_attention_ll4mi_QKV_mfma16_kernelI14__hip_bfloat16hLN4vllm18Fp8KVCacheDataTypeE1EhLi16ELi128ELi256ELb0ELi6EL8MFMAType1EEvPKT_PKT0_S9_ifPKiSB_SB_iPKfiiiPfSE_PS4_PT2_iSD_SD_,"axG",@progbits,_Z39paged_attention_ll4mi_QKV_mfma16_kernelI14__hip_bfloat16hLN4vllm18Fp8KVCacheDataTypeE1EhLi16ELi128ELi256ELb0ELi6EL8MFMAType1EEvPKT_PKT0_S9_ifPKiSB_SB_iPKfiiiPfSE_PS4_PT2_iSD_SD_,comdat
.Lfunc_end1531:
	.size	_Z39paged_attention_ll4mi_QKV_mfma16_kernelI14__hip_bfloat16hLN4vllm18Fp8KVCacheDataTypeE1EhLi16ELi128ELi256ELb0ELi6EL8MFMAType1EEvPKT_PKT0_S9_ifPKiSB_SB_iPKfiiiPfSE_PS4_PT2_iSD_SD_, .Lfunc_end1531-_Z39paged_attention_ll4mi_QKV_mfma16_kernelI14__hip_bfloat16hLN4vllm18Fp8KVCacheDataTypeE1EhLi16ELi128ELi256ELb0ELi6EL8MFMAType1EEvPKT_PKT0_S9_ifPKiSB_SB_iPKfiiiPfSE_PS4_PT2_iSD_SD_
                                        ; -- End function
	.section	.AMDGPU.csdata,"",@progbits
; Kernel info:
; codeLenInByte = 8884
; NumSgprs: 38
; NumVgprs: 140
; ScratchSize: 0
; MemoryBound: 0
; FloatMode: 240
; IeeeMode: 1
; LDSByteSize: 17472 bytes/workgroup (compile time only)
; SGPRBlocks: 4
; VGPRBlocks: 17
; NumSGPRsForWavesPerEU: 38
; NumVGPRsForWavesPerEU: 140
; Occupancy: 10
; WaveLimiterHint : 1
; COMPUTE_PGM_RSRC2:SCRATCH_EN: 0
; COMPUTE_PGM_RSRC2:USER_SGPR: 13
; COMPUTE_PGM_RSRC2:TRAP_HANDLER: 0
; COMPUTE_PGM_RSRC2:TGID_X_EN: 1
; COMPUTE_PGM_RSRC2:TGID_Y_EN: 1
; COMPUTE_PGM_RSRC2:TGID_Z_EN: 1
; COMPUTE_PGM_RSRC2:TIDIG_COMP_CNT: 0
	.section	.text._Z39paged_attention_ll4mi_QKV_mfma16_kernelI14__hip_bfloat16hLN4vllm18Fp8KVCacheDataTypeE1EhLi16ELi128ELi256ELb0ELi7EL8MFMAType1EEvPKT_PKT0_S9_ifPKiSB_SB_iPKfiiiPfSE_PS4_PT2_iSD_SD_,"axG",@progbits,_Z39paged_attention_ll4mi_QKV_mfma16_kernelI14__hip_bfloat16hLN4vllm18Fp8KVCacheDataTypeE1EhLi16ELi128ELi256ELb0ELi7EL8MFMAType1EEvPKT_PKT0_S9_ifPKiSB_SB_iPKfiiiPfSE_PS4_PT2_iSD_SD_,comdat
	.protected	_Z39paged_attention_ll4mi_QKV_mfma16_kernelI14__hip_bfloat16hLN4vllm18Fp8KVCacheDataTypeE1EhLi16ELi128ELi256ELb0ELi7EL8MFMAType1EEvPKT_PKT0_S9_ifPKiSB_SB_iPKfiiiPfSE_PS4_PT2_iSD_SD_ ; -- Begin function _Z39paged_attention_ll4mi_QKV_mfma16_kernelI14__hip_bfloat16hLN4vllm18Fp8KVCacheDataTypeE1EhLi16ELi128ELi256ELb0ELi7EL8MFMAType1EEvPKT_PKT0_S9_ifPKiSB_SB_iPKfiiiPfSE_PS4_PT2_iSD_SD_
	.globl	_Z39paged_attention_ll4mi_QKV_mfma16_kernelI14__hip_bfloat16hLN4vllm18Fp8KVCacheDataTypeE1EhLi16ELi128ELi256ELb0ELi7EL8MFMAType1EEvPKT_PKT0_S9_ifPKiSB_SB_iPKfiiiPfSE_PS4_PT2_iSD_SD_
	.p2align	8
	.type	_Z39paged_attention_ll4mi_QKV_mfma16_kernelI14__hip_bfloat16hLN4vllm18Fp8KVCacheDataTypeE1EhLi16ELi128ELi256ELb0ELi7EL8MFMAType1EEvPKT_PKT0_S9_ifPKiSB_SB_iPKfiiiPfSE_PS4_PT2_iSD_SD_,@function
_Z39paged_attention_ll4mi_QKV_mfma16_kernelI14__hip_bfloat16hLN4vllm18Fp8KVCacheDataTypeE1EhLi16ELi128ELi256ELb0ELi7EL8MFMAType1EEvPKT_PKT0_S9_ifPKiSB_SB_iPKfiiiPfSE_PS4_PT2_iSD_SD_: ; @_Z39paged_attention_ll4mi_QKV_mfma16_kernelI14__hip_bfloat16hLN4vllm18Fp8KVCacheDataTypeE1EhLi16ELi128ELi256ELb0ELi7EL8MFMAType1EEvPKT_PKT0_S9_ifPKiSB_SB_iPKfiiiPfSE_PS4_PT2_iSD_SD_
; %bb.0:
	s_load_b64 s[4:5], s[0:1], 0x30
	s_mov_b32 s30, s13
	s_waitcnt lgkmcnt(0)
	s_cmp_lg_u64 s[4:5], 0
	s_cselect_b32 s13, -1, 0
	s_ashr_i32 s31, s30, 31
	s_cmp_eq_u64 s[4:5], 0
	s_cbranch_scc1 .LBB1532_3
; %bb.1:
	s_lshl_b64 s[2:3], s[30:31], 2
	s_delay_alu instid0(SALU_CYCLE_1) | instskip(SKIP_4) | instid1(SALU_CYCLE_1)
	s_add_u32 s2, s4, s2
	s_addc_u32 s3, s5, s3
	s_load_b64 s[2:3], s[2:3], 0x0
	s_waitcnt lgkmcnt(0)
	s_sub_i32 s2, s3, s2
	s_cmp_eq_u32 s2, 1
	s_cselect_b32 s2, -1, 0
	s_delay_alu instid0(SALU_CYCLE_1)
	s_and_not1_b32 vcc_lo, exec_lo, s2
	s_cbranch_vccz .LBB1532_4
.LBB1532_2:
	s_nop 0
	s_sendmsg sendmsg(MSG_DEALLOC_VGPRS)
	s_endpgm
.LBB1532_3:
.LBB1532_4:
	s_load_b64 s[2:3], s[0:1], 0x28
	s_lshl_b64 s[6:7], s[30:31], 2
	s_waitcnt lgkmcnt(0)
	s_add_u32 s2, s2, s6
	s_addc_u32 s3, s3, s7
	s_lshl_b32 s12, s14, 8
	s_load_b32 s17, s[2:3], 0x0
	s_waitcnt lgkmcnt(0)
	s_cmp_ge_i32 s12, s17
	s_cbranch_scc1 .LBB1532_2
; %bb.5:
	s_clause 0x1
	s_load_b128 s[8:11], s[0:1], 0x8
	s_load_b64 s[2:3], s[0:1], 0x20
	s_and_not1_b32 vcc_lo, exec_lo, s13
	s_cbranch_vccnz .LBB1532_7
; %bb.6:
	s_add_u32 s4, s4, s6
	s_addc_u32 s5, s5, s7
	s_load_b32 s13, s[4:5], 0x0
	s_branch .LBB1532_8
.LBB1532_7:
	s_mov_b32 s13, s30
.LBB1532_8:
	s_load_b128 s[4:7], s[0:1], 0x48
	v_and_b32_e32 v65, 15, v0
	v_lshrrev_b32_e32 v66, 5, v0
	v_bfe_u32 v74, v0, 4, 1
	v_and_b32_e32 v67, 31, v0
	v_and_b32_e32 v75, 1, v0
	v_lshlrev_b32_e32 v2, 3, v65
	s_mul_i32 s31, s15, 7
	v_lshl_or_b32 v1, v66, 1, v74
	s_waitcnt lgkmcnt(0)
	s_mov_b32 s7, exec_lo
	v_lshlrev_b32_e32 v73, 1, v2
	s_delay_alu instid0(VALU_DEP_2)
	v_cmpx_gt_u32_e32 7, v1
	s_cbranch_execz .LBB1532_10
; %bb.9:
	s_load_b64 s[18:19], s[0:1], 0x0
	v_add_lshl_u32 v2, v1, s31, 7
	s_mul_hi_i32 s21, s13, s4
	s_mul_i32 s20, s13, s4
	v_lshlrev_b32_e32 v6, 10, v65
	s_lshl_b64 s[20:21], s[20:21], 1
	v_ashrrev_i32_e32 v3, 31, v2
	v_lshlrev_b32_e32 v1, 6, v1
	v_lshlrev_b32_e32 v7, 10, v75
	v_and_b32_e32 v6, 0x3800, v6
	s_delay_alu instid0(VALU_DEP_4) | instskip(NEXT) | instid1(VALU_DEP_2)
	v_lshlrev_b64 v[2:3], 1, v[2:3]
	v_or3_b32 v1, v6, v7, v1
	s_waitcnt lgkmcnt(0)
	s_add_u32 s4, s18, s20
	s_addc_u32 s13, s19, s21
	s_delay_alu instid0(VALU_DEP_2) | instskip(SKIP_1) | instid1(VALU_DEP_2)
	v_add_co_u32 v2, vcc_lo, s4, v2
	v_add_co_ci_u32_e32 v3, vcc_lo, s13, v3, vcc_lo
	v_add_co_u32 v2, vcc_lo, v2, v73
	s_delay_alu instid0(VALU_DEP_2)
	v_add_co_ci_u32_e32 v3, vcc_lo, 0, v3, vcc_lo
	global_load_b128 v[2:5], v[2:3], off
	s_waitcnt vmcnt(0)
	ds_store_b128 v1, v[2:5]
.LBB1532_10:
	s_or_b32 exec_lo, exec_lo, s7
	v_and_b32_e32 v1, 0xef, v0
	s_add_i32 s4, s17, 15
	s_clause 0x1
	s_load_b32 s7, s[0:1], 0x38
	s_load_b32 s18, s[0:1], 0x1c
	s_ashr_i32 s13, s4, 31
	v_add_nc_u32_e32 v2, s12, v1
	s_lshr_b32 s13, s13, 28
	s_waitcnt lgkmcnt(0)
	s_add_i32 s4, s4, s13
	s_barrier
	v_ashrrev_i32_e32 v1, 31, v2
	s_ashr_i32 s4, s4, 4
	v_cmp_gt_i32_e32 vcc_lo, s17, v2
	s_add_i32 s4, s4, -1
	buffer_gl0_inv
	v_lshrrev_b32_e32 v3, 28, v1
	v_or_b32_e32 v1, 16, v2
	s_mul_i32 s15, s15, s6
	s_delay_alu instid0(VALU_DEP_2) | instskip(SKIP_1) | instid1(SALU_CYCLE_1)
	v_add_nc_u32_e32 v4, v2, v3
	s_mul_i32 s20, s30, s7
	s_ashr_i32 s21, s20, 31
	s_delay_alu instid0(VALU_DEP_1) | instskip(SKIP_2) | instid1(SALU_CYCLE_1)
	v_ashrrev_i32_e32 v4, 4, v4
	v_add_nc_u32_e32 v3, v1, v3
	s_lshl_b64 s[20:21], s[20:21], 2
	s_add_u32 s2, s2, s20
	s_delay_alu instid0(VALU_DEP_2) | instskip(NEXT) | instid1(VALU_DEP_2)
	v_cndmask_b32_e32 v2, s4, v4, vcc_lo
	v_ashrrev_i32_e32 v3, 4, v3
	v_cmp_gt_i32_e32 vcc_lo, s17, v1
	s_addc_u32 s3, s3, s21
	s_ashr_i32 s6, s15, 31
	s_add_u32 s7, s8, s15
	s_addc_u32 s13, s9, s6
	v_cndmask_b32_e32 v4, s4, v3, vcc_lo
	v_ashrrev_i32_e32 v3, 31, v2
	s_lshl_b32 s8, s14, 4
	s_delay_alu instid0(SALU_CYCLE_1) | instskip(NEXT) | instid1(VALU_DEP_2)
	s_ashr_i32 s9, s8, 31
	v_ashrrev_i32_e32 v5, 31, v4
	s_delay_alu instid0(VALU_DEP_2) | instskip(SKIP_1) | instid1(SALU_CYCLE_1)
	v_lshlrev_b64 v[1:2], 2, v[2:3]
	s_lshl_b64 s[8:9], s[8:9], 2
	s_add_u32 s8, s2, s8
	s_delay_alu instid0(VALU_DEP_2) | instskip(SKIP_1) | instid1(VALU_DEP_2)
	v_lshlrev_b64 v[3:4], 2, v[4:5]
	s_addc_u32 s9, s3, s9
	v_add_co_u32 v1, vcc_lo, s2, v1
	v_add_co_ci_u32_e32 v2, vcc_lo, s3, v2, vcc_lo
	s_delay_alu instid0(VALU_DEP_3) | instskip(NEXT) | instid1(VALU_DEP_4)
	v_add_co_u32 v3, vcc_lo, s2, v3
	v_add_co_ci_u32_e32 v4, vcc_lo, s3, v4, vcc_lo
	s_clause 0x1
	global_load_b32 v5, v[1:2], off
	global_load_b32 v3, v[3:4], off
	v_lshlrev_b32_e32 v1, 4, v0
	s_or_b32 s16, s12, 32
	s_delay_alu instid0(SALU_CYCLE_1) | instskip(SKIP_1) | instid1(VALU_DEP_1)
	s_ashr_i32 s19, s16, 4
	s_cmp_lt_i32 s16, s17
	v_and_b32_e32 v1, 0xf0, v1
	s_cselect_b32 s20, s19, s4
	s_delay_alu instid0(SALU_CYCLE_1) | instskip(NEXT) | instid1(SALU_CYCLE_1)
	s_ashr_i32 s21, s20, 31
	s_lshl_b64 s[20:21], s[20:21], 2
	s_delay_alu instid0(VALU_DEP_1)
	v_add_co_u32 v1, s7, s7, v1
	s_add_u32 s20, s2, s20
	s_addc_u32 s21, s3, s21
	s_or_b32 s16, s12, 64
	v_add_co_ci_u32_e64 v2, null, s13, 0, s7
	s_ashr_i32 s19, s16, 4
	s_cmp_lt_i32 s16, s17
	s_cselect_b32 s22, s19, s4
	s_delay_alu instid0(SALU_CYCLE_1) | instskip(NEXT) | instid1(SALU_CYCLE_1)
	s_ashr_i32 s23, s22, 31
	s_lshl_b64 s[22:23], s[22:23], 2
	s_delay_alu instid0(SALU_CYCLE_1) | instskip(SKIP_2) | instid1(SALU_CYCLE_1)
	s_add_u32 s22, s2, s22
	s_addc_u32 s23, s3, s23
	s_or_b32 s16, s12, 0x60
	s_ashr_i32 s19, s16, 4
	s_cmp_lt_i32 s16, s17
	s_cselect_b32 s24, s19, s4
	s_delay_alu instid0(SALU_CYCLE_1) | instskip(NEXT) | instid1(SALU_CYCLE_1)
	s_ashr_i32 s25, s24, 31
	s_lshl_b64 s[24:25], s[24:25], 2
	s_delay_alu instid0(SALU_CYCLE_1) | instskip(SKIP_2) | instid1(SALU_CYCLE_1)
	s_add_u32 s24, s2, s24
	s_addc_u32 s25, s3, s25
	s_or_b32 s16, s12, 0x80
	;; [unrolled: 10-line block ×3, first 2 shown]
	s_ashr_i32 s19, s16, 4
	s_cmp_lt_i32 s16, s17
	s_cselect_b32 s28, s19, s4
	s_delay_alu instid0(SALU_CYCLE_1) | instskip(NEXT) | instid1(SALU_CYCLE_1)
	s_ashr_i32 s29, s28, 31
	s_lshl_b64 s[28:29], s[28:29], 2
	s_delay_alu instid0(SALU_CYCLE_1)
	s_add_u32 s28, s2, s28
	s_addc_u32 s29, s3, s29
	s_clause 0x5
	s_load_b32 s7, s[8:9], 0x0
	s_load_b32 s13, s[20:21], 0x0
	;; [unrolled: 1-line block ×6, first 2 shown]
	s_or_b32 s8, s12, 0xc0
	s_mov_b32 s20, 0
	s_ashr_i32 s9, s8, 4
	s_cmp_lt_i32 s8, s17
	s_mov_b32 s27, s20
	s_cselect_b32 s8, s9, s4
	s_mov_b32 s21, s20
	s_ashr_i32 s9, s8, 31
	s_mov_b32 s22, s20
	s_lshl_b64 s[8:9], s[8:9], 2
	s_mov_b32 s23, s20
	s_mov_b32 s24, s20
	;; [unrolled: 1-line block ×4, first 2 shown]
	v_dual_mov_b32 v107, s27 :: v_dual_mov_b32 v104, s24
	s_add_u32 s8, s2, s8
	v_dual_mov_b32 v106, s26 :: v_dual_mov_b32 v105, s25
	v_dual_mov_b32 v101, s21 :: v_dual_mov_b32 v100, s20
	s_addc_u32 s9, s3, s9
	v_dual_mov_b32 v103, s23 :: v_dual_mov_b32 v102, s22
	s_or_b32 s20, s12, 0xe0
	s_delay_alu instid0(SALU_CYCLE_1) | instskip(SKIP_2) | instid1(SALU_CYCLE_1)
	s_ashr_i32 s21, s20, 4
	s_cmp_lt_i32 s20, s17
	s_cselect_b32 s20, s21, s4
	s_ashr_i32 s21, s20, 31
	s_delay_alu instid0(SALU_CYCLE_1) | instskip(NEXT) | instid1(SALU_CYCLE_1)
	s_lshl_b64 s[20:21], s[20:21], 2
	s_add_u32 s2, s2, s20
	s_addc_u32 s3, s3, s21
	s_waitcnt vmcnt(1)
	v_mad_i64_i32 v[25:26], null, v5, s5, v[1:2]
	s_waitcnt vmcnt(0)
	v_mad_i64_i32 v[27:28], null, v3, s5, v[1:2]
	s_clause 0xf
	global_load_b128 v[1:4], v[25:26], off
	global_load_b128 v[5:8], v[25:26], off offset:256
	global_load_b128 v[9:12], v[27:28], off
	global_load_b128 v[13:16], v[27:28], off offset:256
	global_load_b128 v[17:20], v[25:26], off offset:512
	;; [unrolled: 1-line block ×13, first 2 shown]
	v_mul_lo_u16 v25, v65, 37
	v_lshlrev_b32_e32 v26, 4, v65
	s_delay_alu instid0(VALU_DEP_2) | instskip(NEXT) | instid1(VALU_DEP_2)
	v_lshrrev_b16 v25, 8, v25
	v_lshl_or_b32 v33, v66, 8, v26
	s_delay_alu instid0(VALU_DEP_2) | instskip(NEXT) | instid1(VALU_DEP_1)
	v_mul_lo_u16 v25, v25, 7
	v_sub_nc_u16 v25, v65, v25
	s_delay_alu instid0(VALU_DEP_1) | instskip(NEXT) | instid1(VALU_DEP_1)
	v_and_b32_e32 v25, 0xff, v25
	v_lshlrev_b32_e32 v72, 6, v25
	ds_load_b128 v[25:28], v72
	ds_load_b128 v[29:32], v72 offset:1024
	ds_load_b128 v[108:111], v72 offset:2048
	;; [unrolled: 1-line block ×3, first 2 shown]
	s_load_b32 s4, s[8:9], 0x0
	ds_load_b128 v[116:119], v72 offset:4096
	ds_load_b128 v[120:123], v72 offset:5120
	s_load_b32 s2, s[2:3], 0x0
	s_add_u32 s8, s10, s15
	s_addc_u32 s6, s11, s6
	v_add_co_u32 v68, s8, s8, v33
	s_delay_alu instid0(VALU_DEP_1) | instskip(SKIP_1) | instid1(VALU_DEP_1)
	v_add_co_ci_u32_e64 v69, null, s6, 0, s8
	s_waitcnt lgkmcnt(0)
	v_mad_i64_i32 v[33:34], null, s7, s5, v[68:69]
	v_mad_i64_i32 v[70:71], null, s16, s5, v[68:69]
	;; [unrolled: 1-line block ×7, first 2 shown]
	s_clause 0x3
	global_load_b128 v[41:44], v[33:34], off
	global_load_b128 v[45:48], v[33:34], off offset:16
	global_load_b128 v[33:36], v[37:38], off
	global_load_b128 v[37:40], v[37:38], off offset:16
	s_waitcnt vmcnt(18)
	v_wmma_f32_16x16x16_bf16 v[124:131], v[1:8], v[25:32], v[100:107]
	s_waitcnt vmcnt(16)
	v_wmma_f32_16x16x16_bf16 v[100:107], v[9:16], v[25:32], v[100:107]
	s_clause 0x1
	global_load_b128 v[25:28], v[70:71], off
	global_load_b128 v[29:32], v[70:71], off offset:16
	s_waitcnt vmcnt(16)
	v_wmma_f32_16x16x16_bf16 v[124:131], v[17:24], v[108:115], v[124:131]
	s_clause 0x1
	global_load_b128 v[17:20], v[132:133], off
	global_load_b128 v[21:24], v[132:133], off offset:16
	s_waitcnt vmcnt(16)
	v_wmma_f32_16x16x16_bf16 v[100:107], v[49:56], v[108:115], v[100:107]
	v_mad_i64_i32 v[53:54], null, s2, s5, v[68:69]
	s_clause 0x3
	global_load_b128 v[1:4], v[134:135], off
	global_load_b128 v[5:8], v[134:135], off offset:16
	global_load_b128 v[9:12], v[136:137], off
	global_load_b128 v[13:16], v[136:137], off offset:16
	s_waitcnt vmcnt(18)
	v_wmma_f32_16x16x16_bf16 v[124:131], v[57:64], v[116:123], v[124:131]
	s_clause 0x3
	global_load_b128 v[57:60], v[138:139], off
	global_load_b128 v[61:64], v[138:139], off offset:16
	global_load_b128 v[49:52], v[53:54], off
	global_load_b128 v[53:56], v[53:54], off offset:16
	v_mbcnt_lo_u32_b32 v69, -1, 0
	s_waitcnt vmcnt(20)
	v_wmma_f32_16x16x16_bf16 v[100:107], v[76:83], v[116:123], v[100:107]
	s_delay_alu instid0(VALU_DEP_2) | instskip(NEXT) | instid1(VALU_DEP_1)
	v_xor_b32_e32 v70, 16, v69
	v_cmp_gt_i32_e32 vcc_lo, 32, v70
	v_cndmask_b32_e32 v69, v69, v70, vcc_lo
	ds_load_b128 v[76:79], v72 offset:6144
	ds_load_b128 v[80:83], v72 offset:7168
	s_waitcnt vmcnt(0) lgkmcnt(0)
	s_barrier
	buffer_gl0_inv
	v_wmma_f32_16x16x16_bf16 v[124:131], v[84:91], v[76:83], v[124:131]
	v_and_b32_e32 v68, 0xe0, v0
	v_wmma_f32_16x16x16_bf16 v[100:107], v[92:99], v[76:83], v[100:107]
	s_delay_alu instid0(VALU_DEP_2) | instskip(NEXT) | instid1(VALU_DEP_4)
	v_dual_mul_f32 v79, s18, v127 :: v_dual_add_nc_u32 v68, s12, v68
	v_mul_f32_e32 v81, s18, v129
	v_dual_mul_f32 v78, s18, v125 :: v_dual_mul_f32 v83, s18, v131
	s_delay_alu instid0(VALU_DEP_4) | instskip(NEXT) | instid1(VALU_DEP_4)
	v_dual_mul_f32 v80, s18, v126 :: v_dual_mul_f32 v95, s18, v103
	v_or_b32_e32 v68, v68, v74
	v_dual_mul_f32 v93, s18, v101 :: v_dual_mul_f32 v82, s18, v128
	v_dual_mul_f32 v97, s18, v105 :: v_dual_mul_f32 v92, s18, v130
	v_mul_f32_e32 v99, s18, v107
	s_delay_alu instid0(VALU_DEP_4)
	v_or_b32_e32 v70, 2, v68
	v_or_b32_e32 v71, 4, v68
	v_or_b32_e32 v72, 6, v68
	v_cmp_gt_i32_e64 s2, s17, v68
	v_or_b32_e32 v108, 8, v68
	v_cmp_gt_i32_e32 vcc_lo, s17, v70
	v_mul_f32_e32 v70, s18, v124
	v_or_b32_e32 v109, 10, v68
	v_cmp_gt_i32_e64 s3, s17, v71
	v_cmp_gt_i32_e64 s4, s17, v72
	v_cndmask_b32_e32 v78, 0xff7fffff, v78, vcc_lo
	v_cndmask_b32_e64 v70, 0xff7fffff, v70, s2
	v_or_b32_e32 v84, 12, v68
	v_or_b32_e32 v85, 14, v68
	v_cndmask_b32_e64 v71, 0xff7fffff, v80, s3
	v_cndmask_b32_e64 v72, 0xff7fffff, v79, s4
	v_max3_f32 v70, v70, 0xff7fffff, v78
	v_cmp_gt_i32_e64 s5, s17, v108
	v_cmp_gt_i32_e64 s6, s17, v109
	v_or_b32_e32 v86, 16, v68
	v_or_b32_e32 v87, 18, v68
	v_max3_f32 v70, v70, v71, v72
	v_cndmask_b32_e64 v78, 0xff7fffff, v82, s5
	v_cndmask_b32_e64 v79, 0xff7fffff, v81, s6
	v_cmp_gt_i32_e64 s7, s17, v84
	v_cmp_gt_i32_e64 s8, s17, v85
	v_or_b32_e32 v88, 20, v68
	v_or_b32_e32 v89, 22, v68
	v_mul_f32_e32 v94, s18, v100
	v_cndmask_b32_e64 v71, 0xff7fffff, v92, s7
	v_cndmask_b32_e64 v72, 0xff7fffff, v83, s8
	v_max3_f32 v70, v70, v78, v79
	v_cmp_gt_i32_e64 s9, s17, v86
	v_cmp_gt_i32_e64 s10, s17, v87
	v_or_b32_e32 v90, 24, v68
	v_or_b32_e32 v91, 26, v68
	v_mul_f32_e32 v96, s18, v102
	v_max3_f32 v70, v70, v71, v72
	v_cndmask_b32_e64 v79, 0xff7fffff, v93, s10
	v_cmp_gt_i32_e64 s11, s17, v88
	v_cmp_gt_i32_e64 s12, s17, v89
	v_lshlrev_b32_e32 v89, 2, v69
	v_cndmask_b32_e64 v78, 0xff7fffff, v94, s9
	v_or_b32_e32 v76, 28, v68
	v_or_b32_e32 v77, 30, v68
	v_mul_f32_e32 v98, s18, v104
	v_cndmask_b32_e64 v71, 0xff7fffff, v96, s11
	v_cndmask_b32_e64 v72, 0xff7fffff, v95, s12
	v_max3_f32 v70, v70, v78, v79
	v_cmp_gt_i32_e64 s13, s17, v90
	v_cmp_gt_i32_e64 s15, s17, v91
	v_mul_f32_e32 v68, s18, v106
	v_cmp_gt_i32_e64 s16, s17, v76
	v_max3_f32 v70, v70, v71, v72
	v_cndmask_b32_e64 v78, 0xff7fffff, v98, s13
	v_cndmask_b32_e64 v79, 0xff7fffff, v97, s15
	v_cmp_gt_i32_e64 s17, s17, v77
	v_cndmask_b32_e64 v68, 0xff7fffff, v68, s16
	s_delay_alu instid0(VALU_DEP_3) | instskip(NEXT) | instid1(VALU_DEP_3)
	v_max3_f32 v70, v70, v78, v79
	v_cndmask_b32_e64 v71, 0xff7fffff, v99, s17
	s_delay_alu instid0(VALU_DEP_1) | instskip(SKIP_3) | instid1(VALU_DEP_1)
	v_max3_f32 v68, v70, v68, v71
	ds_bpermute_b32 v69, v89, v68
	s_waitcnt lgkmcnt(0)
	v_max_f32_e32 v69, v69, v69
	v_max_f32_e32 v68, v68, v69
	s_delay_alu instid0(VALU_DEP_1) | instskip(NEXT) | instid1(VALU_DEP_1)
	v_fma_f32 v76, s18, v128, -v68
	v_mul_f32_e32 v77, 0x3fb8aa3b, v76
	v_fma_f32 v71, s18, v126, -v68
	v_fma_f32 v69, s18, v124, -v68
	v_fma_f32 v70, s18, v125, -v68
	v_fma_f32 v72, s18, v127, -v68
	v_exp_f32_e32 v77, v77
	v_mul_f32_e32 v71, 0x3fb8aa3b, v71
	v_mul_f32_e32 v69, 0x3fb8aa3b, v69
	v_fma_f32 v81, s18, v105, -v68
	v_fma_f32 v78, s18, v130, -v68
	s_delay_alu instid0(VALU_DEP_4) | instskip(NEXT) | instid1(VALU_DEP_3)
	v_exp_f32_e32 v71, v71
	v_exp_f32_e32 v69, v69
	s_delay_alu instid0(VALU_DEP_2) | instskip(NEXT) | instid1(TRANS32_DEP_3)
	v_mul_f32_e32 v81, 0x3fb8aa3b, v81
	v_cndmask_b32_e64 v86, 0, v77, s5
	v_fma_f32 v77, s18, v101, -v68
	s_delay_alu instid0(VALU_DEP_3) | instskip(NEXT) | instid1(TRANS32_DEP_3)
	v_exp_f32_e32 v81, v81
	v_cndmask_b32_e64 v83, 0, v71, s3
	v_fma_f32 v71, s18, v131, -v68
	v_mul_f32_e32 v72, 0x3fb8aa3b, v72
	s_delay_alu instid0(TRANS32_DEP_2) | instskip(SKIP_1) | instid1(VALU_DEP_4)
	v_cndmask_b32_e64 v80, 0, v69, s2
	v_fma_f32 v69, s18, v129, -v68
	v_dual_mul_f32 v70, 0x3fb8aa3b, v70 :: v_dual_mul_f32 v71, 0x3fb8aa3b, v71
	s_delay_alu instid0(VALU_DEP_4) | instskip(SKIP_1) | instid1(VALU_DEP_3)
	v_exp_f32_e32 v72, v72
	v_mul_f32_e32 v77, 0x3fb8aa3b, v77
	v_mul_f32_e32 v69, 0x3fb8aa3b, v69
	s_delay_alu instid0(VALU_DEP_3)
	v_exp_f32_e32 v70, v70
	v_exp_f32_e32 v71, v71
	v_cmp_gt_u32_e64 s2, 16, v67
	v_exp_f32_e32 v77, v77
	v_exp_f32_e32 v69, v69
	v_cndmask_b32_e64 v85, 0, v72, s4
	v_fma_f32 v72, s18, v100, -v68
	v_cndmask_b32_e32 v76, 0, v70, vcc_lo
	s_delay_alu instid0(TRANS32_DEP_3) | instskip(SKIP_2) | instid1(TRANS32_DEP_1)
	v_cndmask_b32_e64 v88, 0, v71, s8
	v_fma_f32 v71, s18, v104, -v68
	v_add_f32_e32 v70, 0, v80
	v_cndmask_b32_e64 v87, 0, v69, s6
	s_delay_alu instid0(VALU_DEP_2) | instskip(NEXT) | instid1(VALU_DEP_1)
	v_dual_mul_f32 v71, 0x3fb8aa3b, v71 :: v_dual_add_f32 v70, v70, v76
	v_exp_f32_e32 v82, v71
	s_delay_alu instid0(VALU_DEP_1) | instskip(NEXT) | instid1(VALU_DEP_1)
	v_add_f32_e32 v70, v70, v83
	v_add_f32_e32 v70, v70, v85
	s_delay_alu instid0(VALU_DEP_1) | instskip(SKIP_1) | instid1(VALU_DEP_2)
	v_dual_mul_f32 v72, 0x3fb8aa3b, v72 :: v_dual_add_f32 v69, v70, v86
	v_fma_f32 v70, s18, v102, -v68
	v_exp_f32_e32 v72, v72
	s_delay_alu instid0(VALU_DEP_2) | instskip(NEXT) | instid1(VALU_DEP_2)
	v_dual_add_f32 v69, v69, v87 :: v_dual_mul_f32 v78, 0x3fb8aa3b, v78
	v_mul_f32_e32 v70, 0x3fb8aa3b, v70
	s_delay_alu instid0(VALU_DEP_2) | instskip(NEXT) | instid1(VALU_DEP_1)
	v_exp_f32_e32 v78, v78
	v_exp_f32_e32 v79, v70
	s_delay_alu instid0(TRANS32_DEP_3) | instskip(SKIP_4) | instid1(VALU_DEP_3)
	v_cndmask_b32_e64 v70, 0, v72, s9
	s_waitcnt_depctr 0xfff
	v_cndmask_b32_e64 v84, 0, v78, s7
	v_fma_f32 v78, s18, v103, -v68
	v_cndmask_b32_e64 v71, 0, v79, s11
	v_add_f32_e32 v69, v69, v84
	s_delay_alu instid0(VALU_DEP_1) | instskip(SKIP_2) | instid1(VALU_DEP_1)
	v_add_f32_e32 v72, v69, v88
	v_cndmask_b32_e64 v69, 0, v77, s10
	v_fma_f32 v77, s18, v106, -v68
	v_dual_add_f32 v72, v72, v70 :: v_dual_mul_f32 v77, 0x3fb8aa3b, v77
	s_delay_alu instid0(VALU_DEP_1) | instskip(NEXT) | instid1(VALU_DEP_2)
	v_add_f32_e32 v79, v72, v69
	v_exp_f32_e32 v90, v77
	v_cndmask_b32_e64 v77, 0, v82, s13
	v_mul_f32_e32 v78, 0x3fb8aa3b, v78
	s_delay_alu instid0(VALU_DEP_1) | instskip(SKIP_4) | instid1(VALU_DEP_1)
	v_exp_f32_e32 v78, v78
	s_waitcnt_depctr 0xfff
	v_cndmask_b32_e64 v72, 0, v78, s12
	v_add_f32_e32 v78, v79, v71
	v_fma_f32 v79, s18, v107, -v68
	v_dual_add_f32 v82, v78, v72 :: v_dual_mul_f32 v79, 0x3fb8aa3b, v79
	v_cndmask_b32_e64 v78, 0, v81, s15
	s_delay_alu instid0(VALU_DEP_2) | instskip(NEXT) | instid1(VALU_DEP_3)
	v_add_f32_e32 v81, v82, v77
	v_exp_f32_e32 v82, v79
	v_cndmask_b32_e64 v79, 0, v90, s16
	s_delay_alu instid0(VALU_DEP_2) | instskip(NEXT) | instid1(VALU_DEP_1)
	v_add_f32_e32 v81, v81, v78
	v_add_f32_e32 v90, v81, v79
	s_waitcnt_depctr 0xfff
	v_cndmask_b32_e64 v81, 0, v82, s17
	s_delay_alu instid0(VALU_DEP_1)
	v_add_f32_e32 v82, v90, v81
	ds_bpermute_b32 v89, v89, v82
	s_and_saveexec_b32 s3, s2
	s_cbranch_execz .LBB1532_12
; %bb.11:
	v_mul_u32_u24_e32 v67, 0x44, v66
	s_delay_alu instid0(VALU_DEP_1) | instskip(SKIP_1) | instid1(VALU_DEP_1)
	v_lshl_add_u32 v67, v65, 2, v67
	s_waitcnt lgkmcnt(0)
	v_dual_add_f32 v82, v82, v89 :: v_dual_add_nc_u32 v67, 0x4000, v67
	ds_store_2addr_b32 v67, v68, v82 offset1:136
.LBB1532_12:
	s_or_b32 exec_lo, exec_lo, s3
	v_lshlrev_b32_e32 v67, 2, v65
	s_waitcnt lgkmcnt(0)
	s_barrier
	buffer_gl0_inv
	v_cmp_eq_u32_e32 vcc_lo, 1, v66
	v_add_nc_u32_e32 v82, 0x4000, v67
	v_cmp_eq_u32_e64 s3, 2, v66
	v_cmp_eq_u32_e64 s5, 7, v66
	ds_load_2addr_b32 v[89:90], v82 offset1:17
	ds_load_2addr_b32 v[91:92], v82 offset0:34 offset1:51
	ds_load_2addr_b32 v[93:94], v82 offset0:68 offset1:85
	;; [unrolled: 1-line block ×4, first 2 shown]
	s_waitcnt lgkmcnt(4)
	v_max3_f32 v67, v89, 0xff7fffff, v90
	s_waitcnt lgkmcnt(3)
	s_delay_alu instid0(VALU_DEP_1) | instskip(SKIP_1) | instid1(VALU_DEP_1)
	v_max3_f32 v67, v67, v91, v92
	s_waitcnt lgkmcnt(2)
	v_max3_f32 v67, v67, v93, v94
	s_waitcnt lgkmcnt(1)
	s_delay_alu instid0(VALU_DEP_1) | instskip(NEXT) | instid1(VALU_DEP_1)
	v_max3_f32 v67, v67, v95, v96
	v_sub_f32_e32 v93, v93, v67
	s_delay_alu instid0(VALU_DEP_1) | instskip(NEXT) | instid1(VALU_DEP_1)
	v_dual_sub_f32 v68, v89, v67 :: v_dual_mul_f32 v103, 0x3fb8aa3b, v93
	v_mul_f32_e32 v68, 0x3fb8aa3b, v68
	s_delay_alu instid0(VALU_DEP_1)
	v_exp_f32_e32 v100, v68
	v_sub_f32_e32 v68, v92, v67
	v_sub_f32_e32 v99, v90, v67
	ds_load_2addr_b32 v[89:90], v82 offset0:170 offset1:187
	v_dual_mul_f32 v102, 0x3fb8aa3b, v68 :: v_dual_mul_f32 v99, 0x3fb8aa3b, v99
	s_waitcnt lgkmcnt(1)
	v_fma_f32 v68, v100, v97, 0
	s_delay_alu instid0(VALU_DEP_2) | instskip(NEXT) | instid1(VALU_DEP_2)
	v_exp_f32_e32 v102, v102
	v_exp_f32_e32 v99, v99
	s_waitcnt_depctr 0xfff
	v_fmac_f32_e32 v68, v99, v98
	v_sub_f32_e32 v91, v91, v67
	s_delay_alu instid0(VALU_DEP_1)
	v_mul_f32_e32 v101, 0x3fb8aa3b, v91
	ds_load_2addr_b32 v[91:92], v82 offset0:204 offset1:221
	v_sub_f32_e32 v97, v94, v67
	ds_load_2addr_b32 v[93:94], v82 offset0:238 offset1:255
	s_waitcnt lgkmcnt(0)
	v_exp_f32_e32 v101, v101
	s_barrier
	buffer_gl0_inv
	v_dual_fmac_f32 v68, v101, v89 :: v_dual_sub_f32 v89, v96, v67
	v_dual_sub_f32 v82, v95, v67 :: v_dual_mul_f32 v95, 0x3fb8aa3b, v97
	v_exp_f32_e32 v97, v103
	s_delay_alu instid0(VALU_DEP_2) | instskip(NEXT) | instid1(VALU_DEP_2)
	v_dual_fmac_f32 v68, v102, v90 :: v_dual_mul_f32 v89, 0x3fb8aa3b, v89
	v_mul_f32_e32 v82, 0x3fb8aa3b, v82
	s_delay_alu instid0(VALU_DEP_3) | instskip(NEXT) | instid1(VALU_DEP_2)
	v_exp_f32_e32 v95, v95
	v_exp_f32_e32 v89, v89
	s_delay_alu instid0(VALU_DEP_1)
	v_exp_f32_e32 v82, v82
	v_fmac_f32_e32 v68, v97, v91
	s_delay_alu instid0(TRANS32_DEP_3) | instid1(VALU_DEP_1)
	v_fmac_f32_e32 v68, v95, v92
	s_waitcnt_depctr 0xfff
	v_fmac_f32_e32 v68, v82, v93
	s_delay_alu instid0(VALU_DEP_1) | instskip(NEXT) | instid1(VALU_DEP_1)
	v_fmac_f32_e32 v68, v89, v94
	v_add_f32_e32 v90, 0x358637bd, v68
	s_delay_alu instid0(VALU_DEP_1) | instskip(NEXT) | instid1(VALU_DEP_1)
	v_div_scale_f32 v91, null, v90, v90, 1.0
	v_rcp_f32_e32 v92, v91
	s_waitcnt_depctr 0xfff
	v_fma_f32 v93, -v91, v92, 1.0
	s_delay_alu instid0(VALU_DEP_1) | instskip(SKIP_1) | instid1(VALU_DEP_2)
	v_dual_fmac_f32 v92, v93, v92 :: v_dual_cndmask_b32 v93, v100, v99
	v_cmp_eq_u32_e32 vcc_lo, 3, v66
	v_cndmask_b32_e64 v93, v93, v101, s3
	v_cmp_eq_u32_e64 s3, 4, v66
	s_delay_alu instid0(VALU_DEP_2) | instskip(SKIP_1) | instid1(VALU_DEP_2)
	v_cndmask_b32_e32 v93, v93, v102, vcc_lo
	v_cmp_eq_u32_e32 vcc_lo, 5, v66
	v_cndmask_b32_e64 v93, v93, v97, s3
	v_cmp_eq_u32_e64 s3, 6, v66
	s_delay_alu instid0(VALU_DEP_2) | instskip(SKIP_1) | instid1(VALU_DEP_1)
	v_cndmask_b32_e32 v93, v93, v95, vcc_lo
	v_div_scale_f32 v94, s4, 1.0, v90, 1.0
	s_mov_b32 vcc_lo, s4
	s_delay_alu instid0(VALU_DEP_2) | instskip(NEXT) | instid1(VALU_DEP_2)
	v_cndmask_b32_e64 v82, v93, v82, s3
	v_mul_f32_e32 v96, v94, v92
	s_mov_b32 s3, exec_lo
	s_delay_alu instid0(VALU_DEP_2) | instskip(NEXT) | instid1(VALU_DEP_2)
	v_cndmask_b32_e64 v82, v82, v89, s5
	v_fma_f32 v98, -v91, v96, v94
	s_delay_alu instid0(VALU_DEP_1) | instskip(NEXT) | instid1(VALU_DEP_1)
	v_fmac_f32_e32 v96, v98, v92
	v_fma_f32 v91, -v91, v96, v94
	s_delay_alu instid0(VALU_DEP_1) | instskip(NEXT) | instid1(VALU_DEP_1)
	v_div_fmas_f32 v91, v91, v92, v96
	v_div_fixup_f32 v90, v91, v90, 1.0
	s_delay_alu instid0(VALU_DEP_1) | instskip(NEXT) | instid1(VALU_DEP_1)
	v_mul_f32_e32 v82, v82, v90
	v_mul_f32_e32 v87, v82, v87
	;; [unrolled: 1-line block ×7, first 2 shown]
	v_dual_mul_f32 v86, v82, v83 :: v_dual_and_b32 v91, 0x7f800000, v90
	v_mul_f32_e32 v85, v82, v76
                                        ; implicit-def: $vgpr76
	s_delay_alu instid0(VALU_DEP_2)
	v_cmpx_ne_u32_e32 0x7f800000, v91
	s_xor_b32 s3, exec_lo, s3
; %bb.13:
	v_bfe_u32 v76, v90, 16, 1
	s_delay_alu instid0(VALU_DEP_1)
	v_add3_u32 v76, v90, v76, 0x7fff
                                        ; implicit-def: $vgpr90
; %bb.14:
	s_and_not1_saveexec_b32 s3, s3
; %bb.15:
	v_and_b32_e32 v76, 0xffff, v90
	v_or_b32_e32 v83, 0x10000, v90
	s_delay_alu instid0(VALU_DEP_2) | instskip(NEXT) | instid1(VALU_DEP_2)
	v_cmp_eq_u32_e32 vcc_lo, 0, v76
	v_cndmask_b32_e32 v76, v83, v90, vcc_lo
; %bb.16:
	s_or_b32 exec_lo, exec_lo, s3
	v_and_b32_e32 v83, 0x7f800000, v85
	s_delay_alu instid0(VALU_DEP_1) | instskip(SKIP_1) | instid1(SALU_CYCLE_1)
	v_cmp_ne_u32_e32 vcc_lo, 0x7f800000, v83
                                        ; implicit-def: $vgpr83
	s_and_saveexec_b32 s3, vcc_lo
	s_xor_b32 s3, exec_lo, s3
; %bb.17:
	v_bfe_u32 v83, v85, 16, 1
	s_delay_alu instid0(VALU_DEP_1)
	v_add3_u32 v83, v85, v83, 0x7fff
                                        ; implicit-def: $vgpr85
; %bb.18:
	s_and_not1_saveexec_b32 s3, s3
; %bb.19:
	v_and_b32_e32 v83, 0xffff, v85
	v_or_b32_e32 v90, 0x10000, v85
	s_delay_alu instid0(VALU_DEP_2) | instskip(NEXT) | instid1(VALU_DEP_2)
	v_cmp_eq_u32_e32 vcc_lo, 0, v83
	v_cndmask_b32_e32 v83, v90, v85, vcc_lo
; %bb.20:
	s_or_b32 exec_lo, exec_lo, s3
	v_and_b32_e32 v85, 0x7f800000, v86
	s_delay_alu instid0(VALU_DEP_1) | instskip(SKIP_1) | instid1(SALU_CYCLE_1)
	v_cmp_ne_u32_e32 vcc_lo, 0x7f800000, v85
                                        ; implicit-def: $vgpr85
	s_and_saveexec_b32 s3, vcc_lo
	s_xor_b32 s3, exec_lo, s3
; %bb.21:
	v_bfe_u32 v85, v86, 16, 1
	s_delay_alu instid0(VALU_DEP_1)
	v_add3_u32 v85, v86, v85, 0x7fff
                                        ; implicit-def: $vgpr86
; %bb.22:
	s_and_not1_saveexec_b32 s3, s3
; %bb.23:
	v_and_b32_e32 v85, 0xffff, v86
	v_or_b32_e32 v90, 0x10000, v86
	s_delay_alu instid0(VALU_DEP_2) | instskip(NEXT) | instid1(VALU_DEP_2)
	v_cmp_eq_u32_e32 vcc_lo, 0, v85
	v_cndmask_b32_e32 v85, v90, v86, vcc_lo
; %bb.24:
	s_or_b32 exec_lo, exec_lo, s3
	v_and_b32_e32 v86, 0x7f800000, v89
	s_delay_alu instid0(VALU_DEP_1) | instskip(SKIP_1) | instid1(SALU_CYCLE_1)
	v_cmp_ne_u32_e32 vcc_lo, 0x7f800000, v86
                                        ; implicit-def: $vgpr86
	s_and_saveexec_b32 s3, vcc_lo
	s_xor_b32 s3, exec_lo, s3
; %bb.25:
	v_bfe_u32 v86, v89, 16, 1
	s_delay_alu instid0(VALU_DEP_1)
	v_add3_u32 v86, v89, v86, 0x7fff
                                        ; implicit-def: $vgpr89
; %bb.26:
	s_and_not1_saveexec_b32 s3, s3
; %bb.27:
	v_and_b32_e32 v86, 0xffff, v89
	v_or_b32_e32 v90, 0x10000, v89
	s_delay_alu instid0(VALU_DEP_2) | instskip(NEXT) | instid1(VALU_DEP_2)
	v_cmp_eq_u32_e32 vcc_lo, 0, v86
	v_cndmask_b32_e32 v86, v90, v89, vcc_lo
; %bb.28:
	s_or_b32 exec_lo, exec_lo, s3
	v_and_b32_e32 v89, 0x7f800000, v88
	s_delay_alu instid0(VALU_DEP_1) | instskip(SKIP_1) | instid1(SALU_CYCLE_1)
	v_cmp_ne_u32_e32 vcc_lo, 0x7f800000, v89
                                        ; implicit-def: $vgpr89
	s_and_saveexec_b32 s3, vcc_lo
	s_xor_b32 s3, exec_lo, s3
; %bb.29:
	v_bfe_u32 v89, v88, 16, 1
	s_delay_alu instid0(VALU_DEP_1)
	v_add3_u32 v89, v88, v89, 0x7fff
                                        ; implicit-def: $vgpr88
; %bb.30:
	s_and_not1_saveexec_b32 s3, s3
; %bb.31:
	v_and_b32_e32 v89, 0xffff, v88
	v_or_b32_e32 v90, 0x10000, v88
	s_delay_alu instid0(VALU_DEP_2) | instskip(NEXT) | instid1(VALU_DEP_2)
	v_cmp_eq_u32_e32 vcc_lo, 0, v89
	v_cndmask_b32_e32 v89, v90, v88, vcc_lo
; %bb.32:
	s_or_b32 exec_lo, exec_lo, s3
	v_and_b32_e32 v88, 0x7f800000, v87
	s_delay_alu instid0(VALU_DEP_1) | instskip(SKIP_1) | instid1(SALU_CYCLE_1)
	v_cmp_ne_u32_e32 vcc_lo, 0x7f800000, v88
                                        ; implicit-def: $vgpr88
	s_and_saveexec_b32 s3, vcc_lo
	s_xor_b32 s3, exec_lo, s3
; %bb.33:
	v_bfe_u32 v88, v87, 16, 1
	s_delay_alu instid0(VALU_DEP_1)
	v_add3_u32 v88, v87, v88, 0x7fff
                                        ; implicit-def: $vgpr87
; %bb.34:
	s_and_not1_saveexec_b32 s3, s3
; %bb.35:
	v_and_b32_e32 v88, 0xffff, v87
	v_or_b32_e32 v90, 0x10000, v87
	s_delay_alu instid0(VALU_DEP_2) | instskip(NEXT) | instid1(VALU_DEP_2)
	v_cmp_eq_u32_e32 vcc_lo, 0, v88
	v_cndmask_b32_e32 v88, v90, v87, vcc_lo
; %bb.36:
	s_or_b32 exec_lo, exec_lo, s3
	v_and_b32_e32 v87, 0x7f800000, v84
	s_delay_alu instid0(VALU_DEP_1) | instskip(SKIP_1) | instid1(SALU_CYCLE_1)
	v_cmp_ne_u32_e32 vcc_lo, 0x7f800000, v87
                                        ; implicit-def: $vgpr87
	s_and_saveexec_b32 s3, vcc_lo
	s_xor_b32 s3, exec_lo, s3
; %bb.37:
	v_bfe_u32 v87, v84, 16, 1
	s_delay_alu instid0(VALU_DEP_1)
	v_add3_u32 v87, v84, v87, 0x7fff
                                        ; implicit-def: $vgpr84
; %bb.38:
	s_and_not1_saveexec_b32 s3, s3
; %bb.39:
	v_and_b32_e32 v87, 0xffff, v84
	v_or_b32_e32 v90, 0x10000, v84
	s_delay_alu instid0(VALU_DEP_2) | instskip(NEXT) | instid1(VALU_DEP_2)
	v_cmp_eq_u32_e32 vcc_lo, 0, v87
	v_cndmask_b32_e32 v87, v90, v84, vcc_lo
; %bb.40:
	s_or_b32 exec_lo, exec_lo, s3
	v_and_b32_e32 v84, 0x7f800000, v80
	s_delay_alu instid0(VALU_DEP_1) | instskip(SKIP_1) | instid1(SALU_CYCLE_1)
	v_cmp_ne_u32_e32 vcc_lo, 0x7f800000, v84
                                        ; implicit-def: $vgpr84
	s_and_saveexec_b32 s3, vcc_lo
	s_xor_b32 s3, exec_lo, s3
; %bb.41:
	v_bfe_u32 v84, v80, 16, 1
	s_delay_alu instid0(VALU_DEP_1)
	v_add3_u32 v84, v80, v84, 0x7fff
                                        ; implicit-def: $vgpr80
; %bb.42:
	s_and_not1_saveexec_b32 s3, s3
; %bb.43:
	v_and_b32_e32 v84, 0xffff, v80
	v_or_b32_e32 v90, 0x10000, v80
	s_delay_alu instid0(VALU_DEP_2) | instskip(NEXT) | instid1(VALU_DEP_2)
	v_cmp_eq_u32_e32 vcc_lo, 0, v84
	v_cndmask_b32_e32 v84, v90, v80, vcc_lo
; %bb.44:
	s_or_b32 exec_lo, exec_lo, s3
	s_load_b64 s[34:35], s[0:1], 0x94
	v_lshlrev_b32_e32 v91, 4, v74
	s_delay_alu instid0(VALU_DEP_2)
	v_perm_b32 v90, v84, v87, 0x7060302
	v_dual_mul_f32 v79, v82, v79 :: v_dual_lshlrev_b32 v80, 6, v65
	v_dual_mul_f32 v77, v82, v77 :: v_dual_lshlrev_b32 v92, 11, v66
	v_mul_f32_e32 v84, v82, v70
	v_perm_b32 v89, v88, v89, 0x7060302
	v_perm_b32 v88, v86, v85, 0x7060302
	v_perm_b32 v87, v83, v76, 0x7060302
	v_mul_f32_e32 v70, v82, v81
	v_or3_b32 v76, v91, v92, v80
	v_dual_mul_f32 v78, v82, v78 :: v_dual_and_b32 v85, 0x7f800000, v84
	v_mul_f32_e32 v83, v82, v72
	v_mul_f32_e32 v81, v82, v71
	;; [unrolled: 1-line block ×3, first 2 shown]
	s_mov_b32 s3, exec_lo
	ds_store_b128 v76, v[87:90]
                                        ; implicit-def: $vgpr69
	v_cmpx_ne_u32_e32 0x7f800000, v85
	s_xor_b32 s3, exec_lo, s3
; %bb.45:
	v_bfe_u32 v69, v84, 16, 1
	s_delay_alu instid0(VALU_DEP_1)
	v_add3_u32 v69, v84, v69, 0x7fff
                                        ; implicit-def: $vgpr84
; %bb.46:
	s_and_not1_saveexec_b32 s3, s3
; %bb.47:
	v_and_b32_e32 v69, 0xffff, v84
	v_or_b32_e32 v71, 0x10000, v84
	s_delay_alu instid0(VALU_DEP_2) | instskip(NEXT) | instid1(VALU_DEP_2)
	v_cmp_eq_u32_e32 vcc_lo, 0, v69
	v_cndmask_b32_e32 v69, v71, v84, vcc_lo
; %bb.48:
	s_or_b32 exec_lo, exec_lo, s3
	v_and_b32_e32 v71, 0x7f800000, v72
	s_delay_alu instid0(VALU_DEP_1) | instskip(SKIP_1) | instid1(SALU_CYCLE_1)
	v_cmp_ne_u32_e32 vcc_lo, 0x7f800000, v71
                                        ; implicit-def: $vgpr71
	s_and_saveexec_b32 s3, vcc_lo
	s_xor_b32 s3, exec_lo, s3
; %bb.49:
	v_bfe_u32 v71, v72, 16, 1
	s_delay_alu instid0(VALU_DEP_1)
	v_add3_u32 v71, v72, v71, 0x7fff
                                        ; implicit-def: $vgpr72
; %bb.50:
	s_and_not1_saveexec_b32 s3, s3
; %bb.51:
	v_and_b32_e32 v71, 0xffff, v72
	v_or_b32_e32 v82, 0x10000, v72
	s_delay_alu instid0(VALU_DEP_2) | instskip(NEXT) | instid1(VALU_DEP_2)
	v_cmp_eq_u32_e32 vcc_lo, 0, v71
	v_cndmask_b32_e32 v71, v82, v72, vcc_lo
; %bb.52:
	s_or_b32 exec_lo, exec_lo, s3
	v_and_b32_e32 v72, 0x7f800000, v81
	s_delay_alu instid0(VALU_DEP_1) | instskip(SKIP_1) | instid1(SALU_CYCLE_1)
	v_cmp_ne_u32_e32 vcc_lo, 0x7f800000, v72
                                        ; implicit-def: $vgpr72
	s_and_saveexec_b32 s3, vcc_lo
	s_xor_b32 s3, exec_lo, s3
; %bb.53:
	v_bfe_u32 v72, v81, 16, 1
	s_delay_alu instid0(VALU_DEP_1)
	v_add3_u32 v72, v81, v72, 0x7fff
                                        ; implicit-def: $vgpr81
; %bb.54:
	s_and_not1_saveexec_b32 s3, s3
; %bb.55:
	v_and_b32_e32 v72, 0xffff, v81
	v_or_b32_e32 v82, 0x10000, v81
	s_delay_alu instid0(VALU_DEP_2) | instskip(NEXT) | instid1(VALU_DEP_2)
	v_cmp_eq_u32_e32 vcc_lo, 0, v72
	v_cndmask_b32_e32 v72, v82, v81, vcc_lo
; %bb.56:
	s_or_b32 exec_lo, exec_lo, s3
	v_and_b32_e32 v81, 0x7f800000, v83
	s_delay_alu instid0(VALU_DEP_1) | instskip(SKIP_1) | instid1(SALU_CYCLE_1)
	v_cmp_ne_u32_e32 vcc_lo, 0x7f800000, v81
                                        ; implicit-def: $vgpr81
	s_and_saveexec_b32 s3, vcc_lo
	s_xor_b32 s3, exec_lo, s3
; %bb.57:
	v_bfe_u32 v81, v83, 16, 1
	s_delay_alu instid0(VALU_DEP_1)
	v_add3_u32 v81, v83, v81, 0x7fff
                                        ; implicit-def: $vgpr83
; %bb.58:
	s_and_not1_saveexec_b32 s3, s3
; %bb.59:
	v_and_b32_e32 v81, 0xffff, v83
	v_or_b32_e32 v82, 0x10000, v83
	s_delay_alu instid0(VALU_DEP_2) | instskip(NEXT) | instid1(VALU_DEP_2)
	v_cmp_eq_u32_e32 vcc_lo, 0, v81
	v_cndmask_b32_e32 v81, v82, v83, vcc_lo
; %bb.60:
	s_or_b32 exec_lo, exec_lo, s3
	v_and_b32_e32 v82, 0x7f800000, v77
	s_delay_alu instid0(VALU_DEP_1) | instskip(SKIP_1) | instid1(SALU_CYCLE_1)
	v_cmp_ne_u32_e32 vcc_lo, 0x7f800000, v82
                                        ; implicit-def: $vgpr82
	s_and_saveexec_b32 s3, vcc_lo
	s_xor_b32 s3, exec_lo, s3
; %bb.61:
	v_bfe_u32 v82, v77, 16, 1
	s_delay_alu instid0(VALU_DEP_1)
	v_add3_u32 v82, v77, v82, 0x7fff
                                        ; implicit-def: $vgpr77
; %bb.62:
	s_and_not1_saveexec_b32 s3, s3
; %bb.63:
	v_and_b32_e32 v82, 0xffff, v77
	v_or_b32_e32 v83, 0x10000, v77
	s_delay_alu instid0(VALU_DEP_2) | instskip(NEXT) | instid1(VALU_DEP_2)
	v_cmp_eq_u32_e32 vcc_lo, 0, v82
	v_cndmask_b32_e32 v82, v83, v77, vcc_lo
; %bb.64:
	s_or_b32 exec_lo, exec_lo, s3
	v_and_b32_e32 v77, 0x7f800000, v78
	s_delay_alu instid0(VALU_DEP_1) | instskip(SKIP_1) | instid1(SALU_CYCLE_1)
	v_cmp_ne_u32_e32 vcc_lo, 0x7f800000, v77
                                        ; implicit-def: $vgpr77
	s_and_saveexec_b32 s3, vcc_lo
	s_xor_b32 s3, exec_lo, s3
; %bb.65:
	v_bfe_u32 v77, v78, 16, 1
	s_delay_alu instid0(VALU_DEP_1)
	v_add3_u32 v77, v78, v77, 0x7fff
                                        ; implicit-def: $vgpr78
; %bb.66:
	s_and_not1_saveexec_b32 s3, s3
; %bb.67:
	v_and_b32_e32 v77, 0xffff, v78
	v_or_b32_e32 v83, 0x10000, v78
	s_delay_alu instid0(VALU_DEP_2) | instskip(NEXT) | instid1(VALU_DEP_2)
	v_cmp_eq_u32_e32 vcc_lo, 0, v77
	v_cndmask_b32_e32 v77, v83, v78, vcc_lo
; %bb.68:
	s_or_b32 exec_lo, exec_lo, s3
	v_and_b32_e32 v78, 0x7f800000, v79
	s_delay_alu instid0(VALU_DEP_1) | instskip(SKIP_1) | instid1(SALU_CYCLE_1)
	v_cmp_ne_u32_e32 vcc_lo, 0x7f800000, v78
                                        ; implicit-def: $vgpr78
	s_and_saveexec_b32 s3, vcc_lo
	s_xor_b32 s3, exec_lo, s3
; %bb.69:
	v_bfe_u32 v78, v79, 16, 1
	s_delay_alu instid0(VALU_DEP_1)
	v_add3_u32 v78, v79, v78, 0x7fff
                                        ; implicit-def: $vgpr79
; %bb.70:
	s_and_not1_saveexec_b32 s3, s3
; %bb.71:
	v_and_b32_e32 v78, 0xffff, v79
	v_or_b32_e32 v83, 0x10000, v79
	s_delay_alu instid0(VALU_DEP_2) | instskip(NEXT) | instid1(VALU_DEP_2)
	v_cmp_eq_u32_e32 vcc_lo, 0, v78
	v_cndmask_b32_e32 v78, v83, v79, vcc_lo
; %bb.72:
	s_or_b32 exec_lo, exec_lo, s3
	v_and_b32_e32 v79, 0x7f800000, v70
	s_delay_alu instid0(VALU_DEP_1) | instskip(SKIP_1) | instid1(SALU_CYCLE_1)
	v_cmp_ne_u32_e32 vcc_lo, 0x7f800000, v79
                                        ; implicit-def: $vgpr79
	s_and_saveexec_b32 s3, vcc_lo
	s_xor_b32 s3, exec_lo, s3
; %bb.73:
	v_bfe_u32 v79, v70, 16, 1
	s_delay_alu instid0(VALU_DEP_1)
	v_add3_u32 v79, v70, v79, 0x7fff
                                        ; implicit-def: $vgpr70
; %bb.74:
	s_and_not1_saveexec_b32 s3, s3
; %bb.75:
	v_and_b32_e32 v79, 0xffff, v70
	v_or_b32_e32 v83, 0x10000, v70
	s_delay_alu instid0(VALU_DEP_2) | instskip(NEXT) | instid1(VALU_DEP_2)
	v_cmp_eq_u32_e32 vcc_lo, 0, v79
	v_cndmask_b32_e32 v79, v83, v70, vcc_lo
; %bb.76:
	s_or_b32 exec_lo, exec_lo, s3
	s_delay_alu instid0(VALU_DEP_1)
	v_perm_b32 v86, v79, v78, 0x7060302
	v_perm_b32 v85, v77, v82, 0x7060302
	;; [unrolled: 1-line block ×4, first 2 shown]
	v_lshl_or_b32 v82, v66, 11, v80
	ds_store_b128 v76, v[83:86] offset:1024
	s_waitcnt lgkmcnt(0)
	s_barrier
	buffer_gl0_inv
	ds_load_b128 v[69:72], v82
	ds_load_b128 v[83:86], v82 offset:16
	s_waitcnt lgkmcnt(1)
	v_lshrrev_b32_e32 v66, 16, v69
	s_waitcnt lgkmcnt(0)
	v_lshrrev_b32_e32 v91, 16, v83
	v_lshlrev_b32_e32 v78, 2, v74
	v_lshrrev_b32_e32 v95, 16, v70
	v_lshrrev_b32_e32 v98, 16, v84
	v_lshrrev_b32_e32 v96, 16, v71
	v_lshrrev_b32_e32 v99, 16, v85
	v_cmp_eq_u32_e32 vcc_lo, 1, v78
	v_lshrrev_b32_e32 v97, 16, v72
	v_lshrrev_b32_e32 v100, 16, v86
	v_cndmask_b32_e32 v87, v83, v91, vcc_lo
	v_or_b32_e32 v79, 1, v78
	v_cndmask_b32_e32 v81, v69, v66, vcc_lo
	v_cmp_eq_u32_e64 s4, 2, v78
	v_cmp_eq_u32_e64 s7, 3, v78
	;; [unrolled: 1-line block ×5, first 2 shown]
	v_cndmask_b32_e64 v81, v81, v70, s4
	v_cndmask_b32_e64 v87, v87, v84, s4
	v_cmp_eq_u32_e64 s8, 3, v79
	v_cndmask_b32_e64 v88, v69, v66, s3
	v_or_b32_e32 v77, 2, v78
	v_cndmask_b32_e64 v81, v81, v95, s7
	v_cndmask_b32_e64 v87, v87, v98, s7
	;; [unrolled: 1-line block ×4, first 2 shown]
	v_cmp_eq_u32_e64 s10, 5, v78
	v_cndmask_b32_e64 v81, v81, v71, s9
	v_cndmask_b32_e64 v87, v87, v85, s9
	v_cmp_eq_u32_e64 s11, 4, v79
	v_cndmask_b32_e64 v88, v88, v95, s8
	v_cmp_eq_u32_e64 s5, 1, v77
	v_cndmask_b32_e64 v89, v89, v84, s6
	v_cndmask_b32_e64 v81, v81, v96, s10
	v_cmp_eq_u32_e64 s12, 6, v78
	v_cndmask_b32_e64 v88, v88, v71, s11
	v_cndmask_b32_e64 v87, v87, v99, s10
	v_cmp_eq_u32_e64 s13, 5, v79
	v_cndmask_b32_e64 v90, v69, v66, s5
	v_cndmask_b32_e64 v89, v89, v98, s8
	v_cndmask_b32_e64 v81, v81, v72, s12
	v_cmp_eq_u32_e64 s15, 7, v78
	v_cndmask_b32_e64 v88, v88, v96, s13
	v_cndmask_b32_e64 v87, v87, v86, s12
	v_cmp_eq_u32_e64 s16, 6, v79
	v_cmp_eq_u32_e64 s17, 2, v77
	v_cndmask_b32_e64 v89, v89, v85, s11
	v_cndmask_b32_e64 v101, v81, v97, s15
	;; [unrolled: 1-line block ×6, first 2 shown]
	v_cmp_eq_u32_e64 s18, 7, v79
	v_cmp_eq_u32_e64 s19, 3, v77
	;; [unrolled: 1-line block ×4, first 2 shown]
	v_cndmask_b32_e64 v87, v87, v84, s17
	v_cndmask_b32_e64 v103, v88, v97, s18
	;; [unrolled: 1-line block ×4, first 2 shown]
	v_or_b32_e32 v81, 3, v78
	v_cndmask_b32_e64 v93, v87, v98, s19
	v_cmp_eq_u32_e64 s24, 6, v77
	v_cndmask_b32_e64 v104, v88, v86, s16
	v_cndmask_b32_e64 v92, v89, v71, s20
	v_cmp_eq_u32_e64 s21, 1, v81
	ds_load_b128 v[87:90], v82 offset:1024
	v_cmp_eq_u32_e64 s23, 2, v81
	v_cmp_eq_u32_e64 s25, 3, v81
	v_cndmask_b32_e64 v105, v92, v96, s22
	v_cndmask_b32_e64 v66, v69, v66, s21
	;; [unrolled: 1-line block ×4, first 2 shown]
	ds_load_b128 v[91:94], v82 offset:1040
	v_cmp_eq_u32_e64 s26, 4, v81
	v_cndmask_b32_e64 v66, v66, v70, s23
	v_cmp_eq_u32_e64 s27, 7, v77
	v_cndmask_b32_e64 v70, v83, v84, s23
	v_cndmask_b32_e64 v84, v105, v72, s24
	v_cmp_eq_u32_e64 s28, 5, v81
	v_cndmask_b32_e64 v66, v66, v95, s25
	v_cmp_eq_u32_e64 s29, 6, v81
	v_cndmask_b32_e64 v70, v70, v98, s25
	v_cndmask_b32_e64 v69, v69, v99, s22
	;; [unrolled: 1-line block ×4, first 2 shown]
	s_waitcnt lgkmcnt(1)
	v_lshrrev_b32_e32 v95, 16, v87
	v_cndmask_b32_e64 v70, v70, v85, s26
	v_cndmask_b32_e64 v71, v84, v97, s27
	;; [unrolled: 1-line block ×4, first 2 shown]
	v_cndmask_b32_e32 v84, v87, v95, vcc_lo
	v_cndmask_b32_e64 v70, v70, v99, s28
	s_waitcnt lgkmcnt(0)
	v_lshrrev_b32_e32 v85, 16, v91
	v_lshrrev_b32_e32 v96, 16, v88
	v_cndmask_b32_e64 v98, v87, v95, s3
	v_cndmask_b32_e64 v84, v84, v88, s4
	;; [unrolled: 1-line block ×3, first 2 shown]
	v_cndmask_b32_e32 v99, v91, v85, vcc_lo
	v_cmp_eq_u32_e32 vcc_lo, 7, v81
	v_cndmask_b32_e64 v66, v66, v72, s29
	v_cndmask_b32_e64 v72, v84, v96, s7
	;; [unrolled: 1-line block ×3, first 2 shown]
	v_lshrrev_b32_e32 v98, 16, v92
	v_cndmask_b32_e32 v70, v70, v100, vcc_lo
	v_cndmask_b32_e64 v86, v99, v92, s4
	v_cndmask_b32_e64 v69, v69, v100, s27
	v_lshrrev_b32_e32 v100, 16, v93
	v_cndmask_b32_e64 v72, v72, v89, s9
	v_lshrrev_b32_e32 v99, 16, v89
	v_cndmask_b32_e64 v86, v86, v98, s7
	v_perm_b32 v71, v69, v71, 0x5040100
	v_cndmask_b32_e64 v84, v84, v96, s8
	s_delay_alu instid0(VALU_DEP_3) | instskip(NEXT) | instid1(VALU_DEP_2)
	v_cndmask_b32_e64 v86, v86, v93, s9
	v_cndmask_b32_e64 v84, v84, v89, s11
	s_delay_alu instid0(VALU_DEP_2) | instskip(NEXT) | instid1(VALU_DEP_1)
	v_cndmask_b32_e64 v86, v86, v100, s10
	v_cndmask_b32_e64 v69, v86, v94, s12
	;; [unrolled: 1-line block ×5, first 2 shown]
	s_delay_alu instid0(VALU_DEP_3) | instskip(NEXT) | instid1(VALU_DEP_3)
	v_cndmask_b32_e64 v86, v86, v88, s17
	v_cndmask_b32_e64 v87, v87, v88, s23
	s_delay_alu instid0(VALU_DEP_3) | instskip(NEXT) | instid1(VALU_DEP_3)
	v_cndmask_b32_e64 v88, v95, v92, s23
	v_cndmask_b32_e64 v86, v86, v96, s19
	;; [unrolled: 3-line block ×7, first 2 shown]
	s_delay_alu instid0(VALU_DEP_3) | instskip(SKIP_2) | instid1(VALU_DEP_2)
	v_cndmask_b32_e64 v88, v88, v94, s29
	v_cndmask_b32_e32 v66, v66, v97, vcc_lo
	v_cndmask_b32_e64 v97, v72, v99, s10
	v_perm_b32 v72, v70, v66, 0x5040100
	v_perm_b32 v70, v83, v103, 0x5040100
	v_cndmask_b32_e64 v103, v91, v85, s5
	v_cndmask_b32_e64 v85, v91, v85, s3
	;; [unrolled: 1-line block ×4, first 2 shown]
	v_lshrrev_b32_e32 v97, 16, v90
	v_cndmask_b32_e64 v91, v103, v92, s17
	v_cndmask_b32_e64 v85, v85, v92, s6
	;; [unrolled: 1-line block ×3, first 2 shown]
	s_mov_b32 s3, exec_lo
	v_cndmask_b32_e64 v83, v84, v97, s15
	v_cndmask_b32_e64 v91, v91, v98, s19
	v_cndmask_b32_e64 v85, v85, v98, s8
	v_lshrrev_b32_e32 v84, 16, v94
	v_cndmask_b32_e64 v66, v66, v97, s18
	v_cndmask_b32_e64 v90, v86, v97, s27
	;; [unrolled: 1-line block ×4, first 2 shown]
	v_dual_cndmask_b32 v86, v87, v97 :: v_dual_cndmask_b32 v87, v88, v84
	v_cndmask_b32_e64 v91, v69, v84, s15
	s_delay_alu instid0(VALU_DEP_4) | instskip(NEXT) | instid1(VALU_DEP_4)
	v_cndmask_b32_e64 v89, v89, v100, s22
	v_cndmask_b32_e64 v85, v85, v100, s13
	v_perm_b32 v69, v102, v101, 0x5040100
	v_perm_b32 v86, v87, v86, 0x5040100
	;; [unrolled: 1-line block ×3, first 2 shown]
	v_cndmask_b32_e64 v89, v89, v94, s24
	v_cndmask_b32_e64 v85, v85, v94, s16
	s_mul_i32 s8, s35, 7
	s_delay_alu instid0(VALU_DEP_2) | instskip(NEXT) | instid1(VALU_DEP_2)
	v_cndmask_b32_e64 v88, v89, v84, s27
	v_cndmask_b32_e64 v89, v85, v84, s18
	s_delay_alu instid0(VALU_DEP_2) | instskip(NEXT) | instid1(VALU_DEP_2)
	v_perm_b32 v85, v88, v90, 0x5040100
	v_perm_b32 v84, v89, v66, 0x5040100
	ds_store_b128 v76, v[69:72]
	ds_store_b128 v76, v[83:86] offset:1024
	v_cmpx_gt_u32_e32 7, v0
	s_cbranch_execz .LBB1532_78
; %bb.77:
	s_mul_i32 s4, s8, s30
	s_delay_alu instid0(SALU_CYCLE_1) | instskip(SKIP_1) | instid1(VALU_DEP_1)
	v_add3_u32 v69, s4, s31, v65
	s_load_b128 s[4:7], s[0:1], 0x58
	v_mad_u64_u32 v[65:66], null, v69, s34, s[14:15]
	s_delay_alu instid0(VALU_DEP_1) | instskip(NEXT) | instid1(VALU_DEP_1)
	v_ashrrev_i32_e32 v66, 31, v65
	v_lshlrev_b64 v[65:66], 2, v[65:66]
	s_waitcnt lgkmcnt(0)
	s_delay_alu instid0(VALU_DEP_1) | instskip(NEXT) | instid1(VALU_DEP_2)
	v_add_co_u32 v69, vcc_lo, s6, v65
	v_add_co_ci_u32_e32 v70, vcc_lo, s7, v66, vcc_lo
	v_add_co_u32 v65, vcc_lo, s4, v65
	v_add_co_ci_u32_e32 v66, vcc_lo, s5, v66, vcc_lo
	global_store_b32 v[69:70], v67, off
	global_store_b32 v[65:66], v68, off
.LBB1532_78:
	s_or_b32 exec_lo, exec_lo, s3
	s_waitcnt lgkmcnt(0)
	s_waitcnt_vscnt null, 0x0
	s_barrier
	buffer_gl0_inv
	ds_load_b128 v[83:86], v80
	ds_load_b128 v[87:90], v80 offset:16
	ds_load_b128 v[95:98], v80 offset:2064
	;; [unrolled: 1-line block ×3, first 2 shown]
	v_mov_b32_e32 v65, 0
	ds_load_b128 v[103:106], v80 offset:4112
	ds_load_b128 v[99:102], v80 offset:4096
	;; [unrolled: 1-line block ×4, first 2 shown]
	v_mov_b32_e32 v66, v65
	v_mov_b32_e32 v67, v65
	;; [unrolled: 1-line block ×7, first 2 shown]
	s_waitcnt lgkmcnt(6)
	s_delay_alu instid0(VALU_DEP_1)
	v_wmma_f32_16x16x16_bf16 v[65:72], v[41:48], v[83:90], v[65:72]
	ds_load_b128 v[45:48], v80 offset:8208
	ds_load_b128 v[41:44], v80 offset:8192
	s_waitcnt lgkmcnt(6)
	v_wmma_f32_16x16x16_bf16 v[65:72], v[33:40], v[91:98], v[65:72]
	ds_load_b128 v[37:40], v80 offset:10256
	ds_load_b128 v[33:36], v80 offset:10240
	s_waitcnt lgkmcnt(6)
	;; [unrolled: 4-line block ×4, first 2 shown]
	v_wmma_f32_16x16x16_bf16 v[65:72], v[1:8], v[41:48], v[65:72]
	s_waitcnt lgkmcnt(4)
	s_delay_alu instid0(VALU_DEP_1) | instskip(SKIP_1) | instid1(VALU_DEP_1)
	v_wmma_f32_16x16x16_bf16 v[65:72], v[9:16], v[33:40], v[65:72]
	s_waitcnt lgkmcnt(2)
	v_wmma_f32_16x16x16_bf16 v[65:72], v[57:64], v[25:32], v[65:72]
	s_waitcnt lgkmcnt(0)
	s_delay_alu instid0(VALU_DEP_1) | instskip(NEXT) | instid1(VALU_DEP_1)
	v_wmma_f32_16x16x16_bf16 v[65:72], v[49:56], v[17:24], v[65:72]
	v_and_b32_e32 v1, 0x7f800000, v65
	s_delay_alu instid0(VALU_DEP_1) | instskip(SKIP_1) | instid1(SALU_CYCLE_1)
	v_cmp_ne_u32_e32 vcc_lo, 0x7f800000, v1
                                        ; implicit-def: $vgpr1
	s_and_saveexec_b32 s3, vcc_lo
	s_xor_b32 s3, exec_lo, s3
; %bb.79:
	v_bfe_u32 v1, v65, 16, 1
	s_delay_alu instid0(VALU_DEP_1)
	v_add3_u32 v1, v65, v1, 0x7fff
; %bb.80:
	s_and_not1_saveexec_b32 s3, s3
; %bb.81:
	v_and_b32_e32 v1, 0xffff, v65
	v_or_b32_e32 v2, 0x10000, v65
	s_delay_alu instid0(VALU_DEP_2) | instskip(NEXT) | instid1(VALU_DEP_2)
	v_cmp_eq_u32_e32 vcc_lo, 0, v1
	v_cndmask_b32_e32 v1, v2, v65, vcc_lo
; %bb.82:
	s_or_b32 exec_lo, exec_lo, s3
	v_and_b32_e32 v2, 0x7f800000, v66
	s_delay_alu instid0(VALU_DEP_1) | instskip(SKIP_1) | instid1(SALU_CYCLE_1)
	v_cmp_ne_u32_e32 vcc_lo, 0x7f800000, v2
                                        ; implicit-def: $vgpr2
	s_and_saveexec_b32 s3, vcc_lo
	s_xor_b32 s3, exec_lo, s3
; %bb.83:
	v_bfe_u32 v2, v66, 16, 1
	s_delay_alu instid0(VALU_DEP_1)
	v_add3_u32 v2, v66, v2, 0x7fff
; %bb.84:
	s_and_not1_saveexec_b32 s3, s3
; %bb.85:
	v_and_b32_e32 v2, 0xffff, v66
	v_or_b32_e32 v3, 0x10000, v66
	s_delay_alu instid0(VALU_DEP_2) | instskip(NEXT) | instid1(VALU_DEP_2)
	v_cmp_eq_u32_e32 vcc_lo, 0, v2
	v_cndmask_b32_e32 v2, v3, v66, vcc_lo
; %bb.86:
	s_or_b32 exec_lo, exec_lo, s3
	v_and_b32_e32 v3, 0x7f800000, v67
	s_delay_alu instid0(VALU_DEP_1) | instskip(SKIP_1) | instid1(SALU_CYCLE_1)
	v_cmp_ne_u32_e32 vcc_lo, 0x7f800000, v3
                                        ; implicit-def: $vgpr3
	s_and_saveexec_b32 s3, vcc_lo
	s_xor_b32 s3, exec_lo, s3
; %bb.87:
	v_bfe_u32 v3, v67, 16, 1
	s_delay_alu instid0(VALU_DEP_1)
	v_add3_u32 v3, v67, v3, 0x7fff
; %bb.88:
	s_and_not1_saveexec_b32 s3, s3
; %bb.89:
	v_and_b32_e32 v3, 0xffff, v67
	v_or_b32_e32 v4, 0x10000, v67
	s_delay_alu instid0(VALU_DEP_2) | instskip(NEXT) | instid1(VALU_DEP_2)
	v_cmp_eq_u32_e32 vcc_lo, 0, v3
	v_cndmask_b32_e32 v3, v4, v67, vcc_lo
; %bb.90:
	s_or_b32 exec_lo, exec_lo, s3
	v_and_b32_e32 v4, 0x7f800000, v68
	s_delay_alu instid0(VALU_DEP_1) | instskip(SKIP_1) | instid1(SALU_CYCLE_1)
	v_cmp_ne_u32_e32 vcc_lo, 0x7f800000, v4
                                        ; implicit-def: $vgpr4
	s_and_saveexec_b32 s3, vcc_lo
	s_xor_b32 s3, exec_lo, s3
; %bb.91:
	v_bfe_u32 v4, v68, 16, 1
	s_delay_alu instid0(VALU_DEP_1)
	v_add3_u32 v4, v68, v4, 0x7fff
; %bb.92:
	s_and_not1_saveexec_b32 s3, s3
; %bb.93:
	v_and_b32_e32 v4, 0xffff, v68
	v_or_b32_e32 v5, 0x10000, v68
	s_delay_alu instid0(VALU_DEP_2) | instskip(NEXT) | instid1(VALU_DEP_2)
	v_cmp_eq_u32_e32 vcc_lo, 0, v4
	v_cndmask_b32_e32 v4, v5, v68, vcc_lo
; %bb.94:
	s_or_b32 exec_lo, exec_lo, s3
	v_and_b32_e32 v5, 0x7f800000, v69
	s_delay_alu instid0(VALU_DEP_1) | instskip(SKIP_1) | instid1(SALU_CYCLE_1)
	v_cmp_ne_u32_e32 vcc_lo, 0x7f800000, v5
                                        ; implicit-def: $vgpr5
	s_and_saveexec_b32 s3, vcc_lo
	s_xor_b32 s3, exec_lo, s3
; %bb.95:
	v_bfe_u32 v5, v69, 16, 1
	s_delay_alu instid0(VALU_DEP_1)
	v_add3_u32 v5, v69, v5, 0x7fff
; %bb.96:
	s_and_not1_saveexec_b32 s3, s3
; %bb.97:
	v_and_b32_e32 v5, 0xffff, v69
	v_or_b32_e32 v6, 0x10000, v69
	s_delay_alu instid0(VALU_DEP_2) | instskip(NEXT) | instid1(VALU_DEP_2)
	v_cmp_eq_u32_e32 vcc_lo, 0, v5
	v_cndmask_b32_e32 v5, v6, v69, vcc_lo
; %bb.98:
	s_or_b32 exec_lo, exec_lo, s3
	v_and_b32_e32 v6, 0x7f800000, v70
	s_delay_alu instid0(VALU_DEP_1) | instskip(SKIP_1) | instid1(SALU_CYCLE_1)
	v_cmp_ne_u32_e32 vcc_lo, 0x7f800000, v6
                                        ; implicit-def: $vgpr6
	s_and_saveexec_b32 s3, vcc_lo
	s_xor_b32 s3, exec_lo, s3
; %bb.99:
	v_bfe_u32 v6, v70, 16, 1
	s_delay_alu instid0(VALU_DEP_1)
	v_add3_u32 v6, v70, v6, 0x7fff
; %bb.100:
	s_and_not1_saveexec_b32 s3, s3
; %bb.101:
	v_and_b32_e32 v6, 0xffff, v70
	v_or_b32_e32 v7, 0x10000, v70
	s_delay_alu instid0(VALU_DEP_2) | instskip(NEXT) | instid1(VALU_DEP_2)
	v_cmp_eq_u32_e32 vcc_lo, 0, v6
	v_cndmask_b32_e32 v6, v7, v70, vcc_lo
; %bb.102:
	s_or_b32 exec_lo, exec_lo, s3
	v_and_b32_e32 v7, 0x7f800000, v71
	s_delay_alu instid0(VALU_DEP_1) | instskip(SKIP_1) | instid1(SALU_CYCLE_1)
	v_cmp_ne_u32_e32 vcc_lo, 0x7f800000, v7
                                        ; implicit-def: $vgpr7
	s_and_saveexec_b32 s3, vcc_lo
	s_xor_b32 s3, exec_lo, s3
; %bb.103:
	v_bfe_u32 v7, v71, 16, 1
	s_delay_alu instid0(VALU_DEP_1)
	v_add3_u32 v7, v71, v7, 0x7fff
; %bb.104:
	s_and_not1_saveexec_b32 s3, s3
; %bb.105:
	v_and_b32_e32 v7, 0xffff, v71
	v_or_b32_e32 v8, 0x10000, v71
	s_delay_alu instid0(VALU_DEP_2) | instskip(NEXT) | instid1(VALU_DEP_2)
	v_cmp_eq_u32_e32 vcc_lo, 0, v7
	v_cndmask_b32_e32 v7, v8, v71, vcc_lo
; %bb.106:
	s_or_b32 exec_lo, exec_lo, s3
	v_and_b32_e32 v8, 0x7f800000, v72
	s_delay_alu instid0(VALU_DEP_1) | instskip(SKIP_1) | instid1(SALU_CYCLE_1)
	v_cmp_ne_u32_e32 vcc_lo, 0x7f800000, v8
                                        ; implicit-def: $vgpr8
	s_and_saveexec_b32 s3, vcc_lo
	s_xor_b32 s3, exec_lo, s3
; %bb.107:
	v_bfe_u32 v8, v72, 16, 1
	s_delay_alu instid0(VALU_DEP_1)
	v_add3_u32 v8, v72, v8, 0x7fff
                                        ; implicit-def: $vgpr65_vgpr66_vgpr67_vgpr68_vgpr69_vgpr70_vgpr71_vgpr72
; %bb.108:
	s_and_not1_saveexec_b32 s3, s3
; %bb.109:
	v_and_b32_e32 v8, 0xffff, v72
	v_or_b32_e32 v9, 0x10000, v72
	s_delay_alu instid0(VALU_DEP_2) | instskip(NEXT) | instid1(VALU_DEP_2)
	v_cmp_eq_u32_e32 vcc_lo, 0, v8
	v_cndmask_b32_e32 v8, v9, v72, vcc_lo
; %bb.110:
	s_or_b32 exec_lo, exec_lo, s3
	s_delay_alu instid0(VALU_DEP_1)
	v_perm_b32 v7, v8, v7, 0x7060302
	v_perm_b32 v6, v6, v5, 0x7060302
	;; [unrolled: 1-line block ×4, first 2 shown]
	s_barrier
	buffer_gl0_inv
	v_cmp_eq_u32_e32 vcc_lo, 1, v78
	ds_store_b128 v76, v[4:7]
	s_waitcnt lgkmcnt(0)
	s_barrier
	buffer_gl0_inv
	ds_load_b128 v[1:4], v82
	ds_load_b128 v[5:8], v82 offset:16
	v_cmp_eq_u32_e64 s3, 1, v79
	v_cmp_eq_u32_e64 s4, 2, v78
	v_cmp_eq_u32_e64 s5, 3, v78
	v_cmp_eq_u32_e64 s7, 2, v77
	v_cmp_eq_u32_e64 s6, 7, v79
	s_waitcnt lgkmcnt(1)
	v_lshrrev_b32_e32 v9, 16, v1
	s_waitcnt lgkmcnt(0)
	v_lshrrev_b32_e32 v13, 16, v5
	v_lshrrev_b32_e32 v10, 16, v2
	;; [unrolled: 1-line block ×4, first 2 shown]
	v_cndmask_b32_e64 v19, v1, v9, s3
	v_cndmask_b32_e32 v18, v5, v13, vcc_lo
	v_cndmask_b32_e64 v20, v5, v13, s3
	v_cndmask_b32_e32 v17, v1, v9, vcc_lo
	v_cmp_eq_u32_e32 vcc_lo, 2, v79
	v_lshrrev_b32_e32 v15, 16, v7
	v_cmp_eq_u32_e64 s3, 1, v77
	v_lshrrev_b32_e32 v12, 16, v4
	v_lshrrev_b32_e32 v16, 16, v8
	v_cndmask_b32_e32 v20, v20, v6, vcc_lo
	v_cndmask_b32_e64 v17, v17, v2, s4
	v_cndmask_b32_e32 v19, v19, v2, vcc_lo
	v_cndmask_b32_e64 v18, v18, v6, s4
	v_cmp_eq_u32_e32 vcc_lo, 4, v78
	v_cmp_eq_u32_e64 s4, 3, v79
	v_cndmask_b32_e64 v17, v17, v10, s5
	v_cndmask_b32_e64 v21, v1, v9, s3
	;; [unrolled: 1-line block ×5, first 2 shown]
	v_cndmask_b32_e32 v17, v17, v3, vcc_lo
	v_cndmask_b32_e64 v20, v20, v14, s4
	v_cndmask_b32_e32 v18, v18, v7, vcc_lo
	v_cmp_eq_u32_e32 vcc_lo, 4, v79
	v_cmp_eq_u32_e64 s4, 5, v79
	v_cmp_eq_u32_e64 s3, 2, v81
	v_cndmask_b32_e64 v21, v21, v2, s7
	v_cmp_eq_u32_e64 s5, 5, v78
	v_cndmask_b32_e32 v19, v19, v3, vcc_lo
	v_cndmask_b32_e32 v20, v20, v7, vcc_lo
	v_cmp_eq_u32_e32 vcc_lo, 6, v79
	s_delay_alu instid0(VALU_DEP_4) | instskip(NEXT) | instid1(VALU_DEP_4)
	v_cndmask_b32_e64 v17, v17, v11, s5
	v_cndmask_b32_e64 v19, v19, v11, s4
	s_delay_alu instid0(VALU_DEP_4) | instskip(SKIP_1) | instid1(VALU_DEP_3)
	v_cndmask_b32_e64 v20, v20, v15, s4
	v_cmp_eq_u32_e64 s4, 1, v81
	v_cndmask_b32_e32 v19, v19, v4, vcc_lo
	v_cndmask_b32_e64 v18, v18, v15, s5
	s_delay_alu instid0(VALU_DEP_3)
	v_cndmask_b32_e64 v1, v1, v9, s4
	v_cndmask_b32_e64 v5, v5, v13, s4
	v_cmp_eq_u32_e64 s4, 3, v77
	v_cndmask_b32_e64 v13, v22, v6, s7
	v_cmp_eq_u32_e64 s7, 3, v81
	v_cndmask_b32_e64 v1, v1, v2, s3
	v_cndmask_b32_e64 v2, v5, v6, s3
	;; [unrolled: 1-line block ×3, first 2 shown]
	v_cmp_eq_u32_e64 s3, 4, v77
	v_cndmask_b32_e64 v6, v13, v14, s4
	v_cndmask_b32_e64 v1, v1, v10, s7
	v_cmp_eq_u32_e64 s4, 4, v81
	v_cndmask_b32_e64 v2, v2, v14, s7
	v_cndmask_b32_e64 v5, v9, v3, s3
	;; [unrolled: 3-line block ×3, first 2 shown]
	v_cndmask_b32_e64 v2, v2, v7, s4
	v_cmp_eq_u32_e64 s3, 5, v81
	v_cmp_eq_u32_e64 s5, 6, v78
	v_cndmask_b32_e64 v5, v5, v11, s7
	v_cmp_eq_u32_e64 s4, 6, v77
	v_cndmask_b32_e64 v3, v6, v15, s7
	v_cndmask_b32_e64 v1, v1, v11, s3
	v_cmp_eq_u32_e64 s7, 6, v81
	v_cndmask_b32_e64 v2, v2, v15, s3
	v_cndmask_b32_e64 v17, v17, v4, s5
	v_cndmask_b32_e64 v18, v18, v8, s5
	v_cmp_eq_u32_e64 s5, 7, v78
	v_cndmask_b32_e64 v5, v5, v4, s4
	;; [unrolled: 4-line block ×3, first 2 shown]
	v_cmp_eq_u32_e64 s4, 7, v77
	v_cndmask_b32_e32 v4, v20, v8, vcc_lo
	v_cndmask_b32_e64 v17, v17, v12, s5
	v_cndmask_b32_e64 v19, v19, v12, s6
	;; [unrolled: 1-line block ×8, first 2 shown]
	s_mov_b32 s3, exec_lo
	v_perm_b32 v4, v2, v1, 0x5040100
	v_perm_b32 v3, v3, v5, 0x5040100
	;; [unrolled: 1-line block ×4, first 2 shown]
	ds_store_b128 v76, v[1:4]
	s_waitcnt lgkmcnt(0)
	s_barrier
	buffer_gl0_inv
	v_cmpx_gt_u32_e32 32, v0
	s_cbranch_execz .LBB1532_2
; %bb.111:
	s_load_b64 s[4:5], s[0:1], 0x68
	v_lshlrev_b32_e32 v0, 10, v0
	v_add_nc_u32_e32 v2, s31, v74
	v_lshlrev_b32_e32 v3, 4, v75
	s_lshl_b32 s0, s34, 7
	s_delay_alu instid0(SALU_CYCLE_1) | instskip(NEXT) | instid1(VALU_DEP_2)
	s_mul_i32 s1, s0, s30
	v_mul_lo_u32 v1, v2, s0
	s_delay_alu instid0(VALU_DEP_2)
	v_and_or_b32 v0, 0x3800, v0, v3
	v_add_nc_u32_e32 v3, 2, v2
	s_mul_i32 s6, s1, s8
	v_add_nc_u32_e32 v4, 4, v2
	s_ashr_i32 s7, s6, 31
	v_lshl_or_b32 v11, v74, 6, v0
	s_lshl_b64 s[6:7], s[6:7], 1
	v_mul_lo_u32 v15, v3, s0
	v_mul_lo_u32 v17, v4, s0
	v_ashrrev_i32_e32 v2, 31, v1
	ds_load_b128 v[3:6], v11
	ds_load_b128 v[7:10], v11 offset:128
	ds_load_b128 v[11:14], v11 offset:256
	s_waitcnt lgkmcnt(0)
	s_add_u32 s1, s4, s6
	s_addc_u32 s3, s5, s7
	s_lshl_b32 s4, s14, 7
	v_ashrrev_i32_e32 v16, 31, v15
	s_ashr_i32 s5, s4, 31
	v_lshlrev_b64 v[19:20], 1, v[1:2]
	s_lshl_b64 s[4:5], s[4:5], 1
	v_ashrrev_i32_e32 v18, 31, v17
	s_add_u32 s1, s1, s4
	s_addc_u32 s3, s3, s5
	v_add_co_u32 v1, s1, s1, v73
	s_delay_alu instid0(VALU_DEP_1) | instskip(SKIP_1) | instid1(VALU_DEP_3)
	v_add_co_ci_u32_e64 v2, null, s3, 0, s1
	v_lshlrev_b64 v[15:16], 1, v[15:16]
	v_add_co_u32 v19, vcc_lo, v1, v19
	v_lshlrev_b64 v[17:18], 1, v[17:18]
	s_delay_alu instid0(VALU_DEP_4) | instskip(NEXT) | instid1(VALU_DEP_4)
	v_add_co_ci_u32_e32 v20, vcc_lo, v2, v20, vcc_lo
	v_add_co_u32 v15, vcc_lo, v1, v15
	v_add_co_ci_u32_e32 v16, vcc_lo, v2, v16, vcc_lo
	s_delay_alu instid0(VALU_DEP_4)
	v_add_co_u32 v17, vcc_lo, v1, v17
	v_add_co_ci_u32_e32 v18, vcc_lo, v2, v18, vcc_lo
	s_clause 0x2
	global_store_b128 v[19:20], v[3:6], off
	global_store_b128 v[15:16], v[7:10], off
	;; [unrolled: 1-line block ×3, first 2 shown]
	s_and_b32 exec_lo, exec_lo, s2
	s_cbranch_execz .LBB1532_2
; %bb.112:
	ds_load_b128 v[3:6], v0 offset:384
	s_add_i32 s1, s31, 6
	s_delay_alu instid0(SALU_CYCLE_1) | instskip(NEXT) | instid1(SALU_CYCLE_1)
	s_mul_i32 s0, s1, s0
	s_ashr_i32 s1, s0, 31
	s_delay_alu instid0(SALU_CYCLE_1) | instskip(NEXT) | instid1(SALU_CYCLE_1)
	s_lshl_b64 s[0:1], s[0:1], 1
	v_add_co_u32 v0, vcc_lo, v1, s0
	v_add_co_ci_u32_e32 v1, vcc_lo, s1, v2, vcc_lo
	s_waitcnt lgkmcnt(0)
	global_store_b128 v[0:1], v[3:6], off
	s_nop 0
	s_sendmsg sendmsg(MSG_DEALLOC_VGPRS)
	s_endpgm
	.section	.rodata,"a",@progbits
	.p2align	6, 0x0
	.amdhsa_kernel _Z39paged_attention_ll4mi_QKV_mfma16_kernelI14__hip_bfloat16hLN4vllm18Fp8KVCacheDataTypeE1EhLi16ELi128ELi256ELb0ELi7EL8MFMAType1EEvPKT_PKT0_S9_ifPKiSB_SB_iPKfiiiPfSE_PS4_PT2_iSD_SD_
		.amdhsa_group_segment_fixed_size 17472
		.amdhsa_private_segment_fixed_size 0
		.amdhsa_kernarg_size 400
		.amdhsa_user_sgpr_count 13
		.amdhsa_user_sgpr_dispatch_ptr 0
		.amdhsa_user_sgpr_queue_ptr 0
		.amdhsa_user_sgpr_kernarg_segment_ptr 1
		.amdhsa_user_sgpr_dispatch_id 0
		.amdhsa_user_sgpr_private_segment_size 0
		.amdhsa_wavefront_size32 1
		.amdhsa_uses_dynamic_stack 0
		.amdhsa_enable_private_segment 0
		.amdhsa_system_sgpr_workgroup_id_x 1
		.amdhsa_system_sgpr_workgroup_id_y 1
		.amdhsa_system_sgpr_workgroup_id_z 1
		.amdhsa_system_sgpr_workgroup_info 0
		.amdhsa_system_vgpr_workitem_id 0
		.amdhsa_next_free_vgpr 140
		.amdhsa_next_free_sgpr 36
		.amdhsa_reserve_vcc 1
		.amdhsa_float_round_mode_32 0
		.amdhsa_float_round_mode_16_64 0
		.amdhsa_float_denorm_mode_32 3
		.amdhsa_float_denorm_mode_16_64 3
		.amdhsa_dx10_clamp 1
		.amdhsa_ieee_mode 1
		.amdhsa_fp16_overflow 0
		.amdhsa_workgroup_processor_mode 1
		.amdhsa_memory_ordered 1
		.amdhsa_forward_progress 0
		.amdhsa_shared_vgpr_count 0
		.amdhsa_exception_fp_ieee_invalid_op 0
		.amdhsa_exception_fp_denorm_src 0
		.amdhsa_exception_fp_ieee_div_zero 0
		.amdhsa_exception_fp_ieee_overflow 0
		.amdhsa_exception_fp_ieee_underflow 0
		.amdhsa_exception_fp_ieee_inexact 0
		.amdhsa_exception_int_div_zero 0
	.end_amdhsa_kernel
	.section	.text._Z39paged_attention_ll4mi_QKV_mfma16_kernelI14__hip_bfloat16hLN4vllm18Fp8KVCacheDataTypeE1EhLi16ELi128ELi256ELb0ELi7EL8MFMAType1EEvPKT_PKT0_S9_ifPKiSB_SB_iPKfiiiPfSE_PS4_PT2_iSD_SD_,"axG",@progbits,_Z39paged_attention_ll4mi_QKV_mfma16_kernelI14__hip_bfloat16hLN4vllm18Fp8KVCacheDataTypeE1EhLi16ELi128ELi256ELb0ELi7EL8MFMAType1EEvPKT_PKT0_S9_ifPKiSB_SB_iPKfiiiPfSE_PS4_PT2_iSD_SD_,comdat
.Lfunc_end1532:
	.size	_Z39paged_attention_ll4mi_QKV_mfma16_kernelI14__hip_bfloat16hLN4vllm18Fp8KVCacheDataTypeE1EhLi16ELi128ELi256ELb0ELi7EL8MFMAType1EEvPKT_PKT0_S9_ifPKiSB_SB_iPKfiiiPfSE_PS4_PT2_iSD_SD_, .Lfunc_end1532-_Z39paged_attention_ll4mi_QKV_mfma16_kernelI14__hip_bfloat16hLN4vllm18Fp8KVCacheDataTypeE1EhLi16ELi128ELi256ELb0ELi7EL8MFMAType1EEvPKT_PKT0_S9_ifPKiSB_SB_iPKfiiiPfSE_PS4_PT2_iSD_SD_
                                        ; -- End function
	.section	.AMDGPU.csdata,"",@progbits
; Kernel info:
; codeLenInByte = 8952
; NumSgprs: 38
; NumVgprs: 140
; ScratchSize: 0
; MemoryBound: 0
; FloatMode: 240
; IeeeMode: 1
; LDSByteSize: 17472 bytes/workgroup (compile time only)
; SGPRBlocks: 4
; VGPRBlocks: 17
; NumSGPRsForWavesPerEU: 38
; NumVGPRsForWavesPerEU: 140
; Occupancy: 10
; WaveLimiterHint : 1
; COMPUTE_PGM_RSRC2:SCRATCH_EN: 0
; COMPUTE_PGM_RSRC2:USER_SGPR: 13
; COMPUTE_PGM_RSRC2:TRAP_HANDLER: 0
; COMPUTE_PGM_RSRC2:TGID_X_EN: 1
; COMPUTE_PGM_RSRC2:TGID_Y_EN: 1
; COMPUTE_PGM_RSRC2:TGID_Z_EN: 1
; COMPUTE_PGM_RSRC2:TIDIG_COMP_CNT: 0
	.section	.text._Z39paged_attention_ll4mi_QKV_mfma16_kernelI14__hip_bfloat16hLN4vllm18Fp8KVCacheDataTypeE1EhLi16ELi128ELi256ELb0ELi8EL8MFMAType1EEvPKT_PKT0_S9_ifPKiSB_SB_iPKfiiiPfSE_PS4_PT2_iSD_SD_,"axG",@progbits,_Z39paged_attention_ll4mi_QKV_mfma16_kernelI14__hip_bfloat16hLN4vllm18Fp8KVCacheDataTypeE1EhLi16ELi128ELi256ELb0ELi8EL8MFMAType1EEvPKT_PKT0_S9_ifPKiSB_SB_iPKfiiiPfSE_PS4_PT2_iSD_SD_,comdat
	.protected	_Z39paged_attention_ll4mi_QKV_mfma16_kernelI14__hip_bfloat16hLN4vllm18Fp8KVCacheDataTypeE1EhLi16ELi128ELi256ELb0ELi8EL8MFMAType1EEvPKT_PKT0_S9_ifPKiSB_SB_iPKfiiiPfSE_PS4_PT2_iSD_SD_ ; -- Begin function _Z39paged_attention_ll4mi_QKV_mfma16_kernelI14__hip_bfloat16hLN4vllm18Fp8KVCacheDataTypeE1EhLi16ELi128ELi256ELb0ELi8EL8MFMAType1EEvPKT_PKT0_S9_ifPKiSB_SB_iPKfiiiPfSE_PS4_PT2_iSD_SD_
	.globl	_Z39paged_attention_ll4mi_QKV_mfma16_kernelI14__hip_bfloat16hLN4vllm18Fp8KVCacheDataTypeE1EhLi16ELi128ELi256ELb0ELi8EL8MFMAType1EEvPKT_PKT0_S9_ifPKiSB_SB_iPKfiiiPfSE_PS4_PT2_iSD_SD_
	.p2align	8
	.type	_Z39paged_attention_ll4mi_QKV_mfma16_kernelI14__hip_bfloat16hLN4vllm18Fp8KVCacheDataTypeE1EhLi16ELi128ELi256ELb0ELi8EL8MFMAType1EEvPKT_PKT0_S9_ifPKiSB_SB_iPKfiiiPfSE_PS4_PT2_iSD_SD_,@function
_Z39paged_attention_ll4mi_QKV_mfma16_kernelI14__hip_bfloat16hLN4vllm18Fp8KVCacheDataTypeE1EhLi16ELi128ELi256ELb0ELi8EL8MFMAType1EEvPKT_PKT0_S9_ifPKiSB_SB_iPKfiiiPfSE_PS4_PT2_iSD_SD_: ; @_Z39paged_attention_ll4mi_QKV_mfma16_kernelI14__hip_bfloat16hLN4vllm18Fp8KVCacheDataTypeE1EhLi16ELi128ELi256ELb0ELi8EL8MFMAType1EEvPKT_PKT0_S9_ifPKiSB_SB_iPKfiiiPfSE_PS4_PT2_iSD_SD_
; %bb.0:
	s_load_b64 s[4:5], s[0:1], 0x30
	s_mov_b32 s30, s13
	s_waitcnt lgkmcnt(0)
	s_cmp_lg_u64 s[4:5], 0
	s_cselect_b32 s13, -1, 0
	s_ashr_i32 s31, s30, 31
	s_cmp_eq_u64 s[4:5], 0
	s_cbranch_scc1 .LBB1533_3
; %bb.1:
	s_lshl_b64 s[2:3], s[30:31], 2
	s_delay_alu instid0(SALU_CYCLE_1) | instskip(SKIP_4) | instid1(SALU_CYCLE_1)
	s_add_u32 s2, s4, s2
	s_addc_u32 s3, s5, s3
	s_load_b64 s[2:3], s[2:3], 0x0
	s_waitcnt lgkmcnt(0)
	s_sub_i32 s2, s3, s2
	s_cmp_eq_u32 s2, 1
	s_cselect_b32 s2, -1, 0
	s_delay_alu instid0(SALU_CYCLE_1)
	s_and_not1_b32 vcc_lo, exec_lo, s2
	s_cbranch_vccz .LBB1533_4
.LBB1533_2:
	s_endpgm
.LBB1533_3:
.LBB1533_4:
	s_load_b64 s[2:3], s[0:1], 0x28
	s_lshl_b64 s[6:7], s[30:31], 2
	s_waitcnt lgkmcnt(0)
	s_add_u32 s2, s2, s6
	s_addc_u32 s3, s3, s7
	s_lshl_b32 s12, s14, 8
	s_load_b32 s17, s[2:3], 0x0
	s_waitcnt lgkmcnt(0)
	s_cmp_ge_i32 s12, s17
	s_cbranch_scc1 .LBB1533_2
; %bb.5:
	s_clause 0x1
	s_load_b128 s[8:11], s[0:1], 0x8
	s_load_b64 s[2:3], s[0:1], 0x20
	s_and_not1_b32 vcc_lo, exec_lo, s13
	s_cbranch_vccnz .LBB1533_7
; %bb.6:
	s_add_u32 s4, s4, s6
	s_addc_u32 s5, s5, s7
	s_load_b32 s13, s[4:5], 0x0
	s_branch .LBB1533_8
.LBB1533_7:
	s_mov_b32 s13, s30
.LBB1533_8:
	s_load_b128 s[4:7], s[0:1], 0x48
	v_and_b32_e32 v66, 15, v0
	v_lshrrev_b32_e32 v65, 5, v0
	v_and_b32_e32 v67, 31, v0
	v_and_b32_e32 v75, 1, v0
	v_bfe_u32 v74, v0, 4, 1
	v_lshlrev_b32_e32 v1, 3, v66
	s_lshl_b32 s29, s15, 3
	s_waitcnt lgkmcnt(0)
	s_mov_b32 s7, exec_lo
	s_delay_alu instid0(VALU_DEP_1)
	v_lshlrev_b32_e32 v73, 1, v1
	v_cmpx_gt_u32_e32 0x80, v0
	s_cbranch_execz .LBB1533_10
; %bb.9:
	v_lshl_or_b32 v5, v65, 1, v74
	s_load_b64 s[18:19], s[0:1], 0x0
	s_mul_hi_i32 s21, s13, s4
	s_mul_i32 s20, s13, s4
	v_lshlrev_b32_e32 v6, 10, v66
	v_or_b32_e32 v1, s29, v5
	s_lshl_b64 s[20:21], s[20:21], 1
	v_lshlrev_b32_e32 v5, 6, v5
	v_lshlrev_b32_e32 v7, 10, v75
	v_and_b32_e32 v6, 0x3800, v6
	v_lshlrev_b32_e32 v1, 7, v1
	s_delay_alu instid0(VALU_DEP_2) | instskip(NEXT) | instid1(VALU_DEP_2)
	v_or3_b32 v5, v6, v7, v5
	v_ashrrev_i32_e32 v2, 31, v1
	s_delay_alu instid0(VALU_DEP_1) | instskip(SKIP_3) | instid1(VALU_DEP_1)
	v_lshlrev_b64 v[1:2], 1, v[1:2]
	s_waitcnt lgkmcnt(0)
	s_add_u32 s4, s18, s20
	s_addc_u32 s13, s19, s21
	v_add_co_u32 v1, vcc_lo, s4, v1
	s_delay_alu instid0(VALU_DEP_2) | instskip(NEXT) | instid1(VALU_DEP_2)
	v_add_co_ci_u32_e32 v2, vcc_lo, s13, v2, vcc_lo
	v_add_co_u32 v1, vcc_lo, v1, v73
	s_delay_alu instid0(VALU_DEP_2)
	v_add_co_ci_u32_e32 v2, vcc_lo, 0, v2, vcc_lo
	global_load_b128 v[1:4], v[1:2], off
	s_waitcnt vmcnt(0)
	ds_store_b128 v5, v[1:4]
.LBB1533_10:
	s_or_b32 exec_lo, exec_lo, s7
	v_and_b32_e32 v1, 0xef, v0
	s_add_i32 s4, s17, 15
	s_clause 0x1
	s_load_b32 s7, s[0:1], 0x38
	s_load_b32 s18, s[0:1], 0x1c
	s_ashr_i32 s13, s4, 31
	v_add_nc_u32_e32 v1, s12, v1
	s_lshr_b32 s13, s13, 28
	s_waitcnt lgkmcnt(0)
	s_add_i32 s4, s4, s13
	s_barrier
	v_ashrrev_i32_e32 v2, 31, v1
	v_or_b32_e32 v3, 16, v1
	s_ashr_i32 s4, s4, 4
	v_cmp_gt_i32_e32 vcc_lo, s17, v1
	s_add_i32 s4, s4, -1
	v_lshrrev_b32_e32 v2, 28, v2
	buffer_gl0_inv
	s_mul_i32 s15, s15, s6
	v_add_nc_u32_e32 v4, v1, v2
	s_mul_i32 s20, s30, s7
	s_delay_alu instid0(SALU_CYCLE_1) | instskip(NEXT) | instid1(VALU_DEP_1)
	s_ashr_i32 s21, s20, 31
	v_ashrrev_i32_e32 v4, 4, v4
	v_add_nc_u32_e32 v2, v3, v2
	s_lshl_b64 s[20:21], s[20:21], 2
	s_delay_alu instid0(SALU_CYCLE_1) | instskip(NEXT) | instid1(VALU_DEP_2)
	s_add_u32 s13, s2, s20
	v_cndmask_b32_e32 v1, s4, v4, vcc_lo
	s_delay_alu instid0(VALU_DEP_2)
	v_ashrrev_i32_e32 v2, 4, v2
	v_cmp_gt_i32_e32 vcc_lo, s17, v3
	s_addc_u32 s16, s3, s21
	s_ashr_i32 s19, s15, 31
	s_add_u32 s26, s8, s15
	s_addc_u32 s27, s9, s19
	v_cndmask_b32_e32 v3, s4, v2, vcc_lo
	v_ashrrev_i32_e32 v2, 31, v1
	s_lshl_b32 s2, s14, 4
	s_delay_alu instid0(SALU_CYCLE_1) | instskip(NEXT) | instid1(VALU_DEP_2)
	s_ashr_i32 s3, s2, 31
	v_ashrrev_i32_e32 v4, 31, v3
	s_delay_alu instid0(VALU_DEP_2) | instskip(SKIP_1) | instid1(SALU_CYCLE_1)
	v_lshlrev_b64 v[1:2], 2, v[1:2]
	s_lshl_b64 s[2:3], s[2:3], 2
	s_add_u32 s2, s13, s2
	s_delay_alu instid0(VALU_DEP_2) | instskip(SKIP_1) | instid1(VALU_DEP_2)
	v_lshlrev_b64 v[3:4], 2, v[3:4]
	s_addc_u32 s3, s16, s3
	v_add_co_u32 v1, vcc_lo, s13, v1
	v_add_co_ci_u32_e32 v2, vcc_lo, s16, v2, vcc_lo
	s_delay_alu instid0(VALU_DEP_3) | instskip(NEXT) | instid1(VALU_DEP_4)
	v_add_co_u32 v3, vcc_lo, s13, v3
	v_add_co_ci_u32_e32 v4, vcc_lo, s16, v4, vcc_lo
	s_clause 0x1
	global_load_b32 v5, v[1:2], off
	global_load_b32 v3, v[3:4], off
	s_or_b32 s6, s12, 32
	s_delay_alu instid0(SALU_CYCLE_1) | instskip(SKIP_2) | instid1(SALU_CYCLE_1)
	s_ashr_i32 s7, s6, 4
	s_cmp_lt_i32 s6, s17
	s_cselect_b32 s6, s7, s4
	s_ashr_i32 s7, s6, 31
	s_delay_alu instid0(SALU_CYCLE_1) | instskip(NEXT) | instid1(SALU_CYCLE_1)
	s_lshl_b64 s[6:7], s[6:7], 2
	s_add_u32 s6, s13, s6
	s_addc_u32 s7, s16, s7
	s_or_b32 s8, s12, 64
	s_delay_alu instid0(SALU_CYCLE_1) | instskip(SKIP_2) | instid1(SALU_CYCLE_1)
	s_ashr_i32 s9, s8, 4
	s_cmp_lt_i32 s8, s17
	s_cselect_b32 s8, s9, s4
	s_ashr_i32 s9, s8, 31
	s_delay_alu instid0(SALU_CYCLE_1) | instskip(NEXT) | instid1(SALU_CYCLE_1)
	s_lshl_b64 s[8:9], s[8:9], 2
	s_add_u32 s8, s13, s8
	s_addc_u32 s9, s16, s9
	;; [unrolled: 10-line block ×5, first 2 shown]
	s_clause 0x5
	s_load_b32 s28, s[2:3], 0x0
	s_load_b32 s31, s[6:7], 0x0
	;; [unrolled: 1-line block ×6, first 2 shown]
	s_mov_b32 s20, 0
	s_or_b32 s2, s12, 0xc0
	s_mov_b32 s21, s20
	s_mov_b32 s22, s20
	;; [unrolled: 1-line block ×5, first 2 shown]
	v_lshlrev_b32_e32 v1, 4, v0
	s_ashr_i32 s3, s2, 4
	s_cmp_lt_i32 s2, s17
	s_cselect_b32 s2, s3, s4
	s_delay_alu instid0(VALU_DEP_1) | instskip(SKIP_1) | instid1(SALU_CYCLE_1)
	v_and_b32_e32 v1, 0xf0, v1
	s_ashr_i32 s3, s2, 31
	s_lshl_b64 s[2:3], s[2:3], 2
	s_delay_alu instid0(VALU_DEP_1) | instskip(NEXT) | instid1(VALU_DEP_1)
	v_add_co_u32 v1, s26, s26, v1
	v_add_co_ci_u32_e64 v2, null, s27, 0, s26
	s_add_u32 s2, s13, s2
	s_addc_u32 s3, s16, s3
	s_or_b32 s6, s12, 0xe0
	s_mov_b32 s26, s20
	s_ashr_i32 s7, s6, 4
	s_cmp_lt_i32 s6, s17
	s_mov_b32 s27, s20
	s_cselect_b32 s6, s7, s4
	v_dual_mov_b32 v107, s27 :: v_dual_mov_b32 v100, s20
	s_ashr_i32 s7, s6, 31
	v_mov_b32_e32 v106, s26
	s_lshl_b64 s[6:7], s[6:7], 2
	v_dual_mov_b32 v104, s24 :: v_dual_mov_b32 v103, s23
	v_dual_mov_b32 v102, s22 :: v_dual_mov_b32 v101, s21
	v_mov_b32_e32 v105, s25
	s_waitcnt vmcnt(1)
	v_mad_i64_i32 v[33:34], null, v5, s5, v[1:2]
	s_waitcnt vmcnt(0)
	v_mad_i64_i32 v[35:36], null, v3, s5, v[1:2]
	s_clause 0xf
	global_load_b128 v[1:4], v[33:34], off
	global_load_b128 v[5:8], v[33:34], off offset:256
	global_load_b128 v[9:12], v[35:36], off
	global_load_b128 v[13:16], v[35:36], off offset:256
	global_load_b128 v[17:20], v[33:34], off offset:512
	;; [unrolled: 1-line block ×13, first 2 shown]
	v_and_b32_e32 v33, 7, v0
	v_lshlrev_b32_e32 v34, 4, v66
	s_delay_alu instid0(VALU_DEP_2) | instskip(NEXT) | instid1(VALU_DEP_2)
	v_lshlrev_b32_e32 v72, 6, v33
	v_lshl_or_b32 v41, v65, 8, v34
	ds_load_b128 v[33:36], v72
	ds_load_b128 v[37:40], v72 offset:1024
	ds_load_b128 v[108:111], v72 offset:2048
	ds_load_b128 v[112:115], v72 offset:3072
	s_load_b32 s4, s[2:3], 0x0
	s_add_u32 s2, s13, s6
	s_addc_u32 s3, s16, s7
	ds_load_b128 v[116:119], v72 offset:4096
	ds_load_b128 v[120:123], v72 offset:5120
	s_load_b32 s2, s[2:3], 0x0
	s_add_u32 s6, s10, s15
	s_addc_u32 s7, s11, s19
	v_add_co_u32 v68, s6, s6, v41
	s_delay_alu instid0(VALU_DEP_1) | instskip(SKIP_1) | instid1(VALU_DEP_1)
	v_add_co_ci_u32_e64 v69, null, s7, 0, s6
	s_waitcnt lgkmcnt(0)
	v_mad_i64_i32 v[41:42], null, s28, s5, v[68:69]
	v_mad_i64_i32 v[70:71], null, s8, s5, v[68:69]
	;; [unrolled: 1-line block ×7, first 2 shown]
	s_clause 0x3
	global_load_b128 v[49:52], v[41:42], off
	global_load_b128 v[53:56], v[41:42], off offset:16
	global_load_b128 v[41:44], v[45:46], off
	global_load_b128 v[45:48], v[45:46], off offset:16
	s_waitcnt vmcnt(18)
	v_wmma_f32_16x16x16_bf16 v[124:131], v[1:8], v[33:40], v[100:107]
	s_waitcnt vmcnt(16)
	v_wmma_f32_16x16x16_bf16 v[100:107], v[9:16], v[33:40], v[100:107]
	s_clause 0x1
	global_load_b128 v[33:36], v[70:71], off
	global_load_b128 v[37:40], v[70:71], off offset:16
	v_mad_i64_i32 v[70:71], null, s2, s5, v[68:69]
	s_waitcnt vmcnt(16)
	v_wmma_f32_16x16x16_bf16 v[124:131], v[17:24], v[108:115], v[124:131]
	s_waitcnt vmcnt(14)
	v_wmma_f32_16x16x16_bf16 v[100:107], v[25:32], v[108:115], v[100:107]
	s_clause 0x7
	global_load_b128 v[25:28], v[132:133], off
	global_load_b128 v[29:32], v[132:133], off offset:16
	global_load_b128 v[1:4], v[134:135], off
	global_load_b128 v[5:8], v[134:135], off offset:16
	;; [unrolled: 2-line block ×4, first 2 shown]
	s_waitcnt vmcnt(20)
	v_wmma_f32_16x16x16_bf16 v[124:131], v[57:64], v[116:123], v[124:131]
	s_clause 0x1
	global_load_b128 v[57:60], v[70:71], off
	global_load_b128 v[61:64], v[70:71], off offset:16
	s_waitcnt vmcnt(20)
	v_wmma_f32_16x16x16_bf16 v[100:107], v[76:83], v[116:123], v[100:107]
	ds_load_b128 v[76:79], v72 offset:6144
	ds_load_b128 v[80:83], v72 offset:7168
	v_and_b32_e32 v68, 0xe0, v0
	v_mbcnt_lo_u32_b32 v69, -1, 0
	s_waitcnt vmcnt(0) lgkmcnt(0)
	s_barrier
	buffer_gl0_inv
	v_add_nc_u32_e32 v68, s12, v68
	v_xor_b32_e32 v70, 16, v69
	s_delay_alu instid0(VALU_DEP_2) | instskip(NEXT) | instid1(VALU_DEP_2)
	v_or_b32_e32 v68, v68, v74
	v_cmp_gt_i32_e32 vcc_lo, 32, v70
	s_delay_alu instid0(VALU_DEP_2)
	v_or_b32_e32 v71, 4, v68
	v_or_b32_e32 v72, 6, v68
	v_cmp_gt_i32_e64 s2, s17, v68
	v_or_b32_e32 v108, 8, v68
	v_wmma_f32_16x16x16_bf16 v[124:131], v[84:91], v[76:83], v[124:131]
	v_cndmask_b32_e32 v69, v69, v70, vcc_lo
	v_or_b32_e32 v70, 2, v68
	v_wmma_f32_16x16x16_bf16 v[100:107], v[92:99], v[76:83], v[100:107]
	v_or_b32_e32 v109, 10, v68
	v_dual_mul_f32 v80, s18, v129 :: v_dual_mul_f32 v81, s18, v128
	v_dual_mul_f32 v92, s18, v125 :: v_dual_mul_f32 v93, s18, v124
	s_delay_alu instid0(VALU_DEP_4)
	v_mul_f32_e32 v96, s18, v105
	v_cmp_gt_i32_e32 vcc_lo, s17, v70
	v_or_b32_e32 v89, 22, v68
	v_dual_mul_f32 v79, s18, v130 :: v_dual_mul_f32 v82, s18, v127
	v_dual_mul_f32 v83, s18, v126 :: v_dual_mul_f32 v94, s18, v107
	v_cndmask_b32_e64 v93, 0xff7fffff, v93, s2
	v_cndmask_b32_e32 v92, 0xff7fffff, v92, vcc_lo
	v_cmp_gt_i32_e64 s3, s17, v71
	v_cmp_gt_i32_e64 s4, s17, v72
	v_or_b32_e32 v84, 12, v68
	v_or_b32_e32 v85, 14, v68
	v_cmp_gt_i32_e64 s5, s17, v108
	v_cndmask_b32_e64 v71, 0xff7fffff, v83, s3
	v_cndmask_b32_e64 v72, 0xff7fffff, v82, s4
	v_cmp_gt_i32_e64 s6, s17, v109
	v_cmp_gt_i32_e64 s12, s17, v89
	v_lshlrev_b32_e32 v89, 2, v69
	v_max3_f32 v82, v93, 0xff7fffff, v92
	v_or_b32_e32 v86, 16, v68
	v_or_b32_e32 v87, 18, v68
	v_mul_f32_e32 v78, s18, v131
	v_cndmask_b32_e64 v81, 0xff7fffff, v81, s5
	v_cndmask_b32_e64 v80, 0xff7fffff, v80, s6
	v_max3_f32 v71, v82, v71, v72
	v_cmp_gt_i32_e64 s7, s17, v84
	v_cmp_gt_i32_e64 s8, s17, v85
	v_or_b32_e32 v88, 20, v68
	v_or_b32_e32 v90, 24, v68
	;; [unrolled: 1-line block ×5, first 2 shown]
	v_dual_mul_f32 v97, s18, v104 :: v_dual_mul_f32 v70, s18, v101
	v_dual_mul_f32 v99, s18, v102 :: v_dual_mul_f32 v68, s18, v100
	v_cndmask_b32_e64 v72, 0xff7fffff, v79, s7
	v_cndmask_b32_e64 v78, 0xff7fffff, v78, s8
	v_max3_f32 v71, v71, v81, v80
	v_cmp_gt_i32_e64 s9, s17, v86
	v_cmp_gt_i32_e64 s10, s17, v87
	v_dual_mul_f32 v95, s18, v106 :: v_dual_mul_f32 v98, s18, v103
	s_delay_alu instid0(VALU_DEP_4) | instskip(NEXT) | instid1(VALU_DEP_4)
	v_max3_f32 v71, v71, v72, v78
	v_cndmask_b32_e64 v68, 0xff7fffff, v68, s9
	s_delay_alu instid0(VALU_DEP_4)
	v_cndmask_b32_e64 v70, 0xff7fffff, v70, s10
	v_cmp_gt_i32_e64 s11, s17, v88
	v_cndmask_b32_e64 v78, 0xff7fffff, v98, s12
	v_cmp_gt_i32_e64 s13, s17, v90
	v_cmp_gt_i32_e64 s15, s17, v91
	v_max3_f32 v68, v71, v68, v70
	v_cndmask_b32_e64 v72, 0xff7fffff, v99, s11
	v_cmp_gt_i32_e64 s16, s17, v76
	v_cndmask_b32_e64 v70, 0xff7fffff, v97, s13
	v_cndmask_b32_e64 v71, 0xff7fffff, v96, s15
	v_cmp_gt_i32_e64 s17, s17, v77
	v_max3_f32 v68, v68, v72, v78
	v_cndmask_b32_e64 v72, 0xff7fffff, v95, s16
	s_delay_alu instid0(VALU_DEP_3) | instskip(NEXT) | instid1(VALU_DEP_3)
	v_cndmask_b32_e64 v76, 0xff7fffff, v94, s17
	v_max3_f32 v68, v68, v70, v71
	s_delay_alu instid0(VALU_DEP_1) | instskip(SKIP_3) | instid1(VALU_DEP_1)
	v_max3_f32 v68, v68, v72, v76
	ds_bpermute_b32 v69, v89, v68
	s_waitcnt lgkmcnt(0)
	v_max_f32_e32 v69, v69, v69
	v_max_f32_e32 v68, v68, v69
	s_delay_alu instid0(VALU_DEP_1) | instskip(NEXT) | instid1(VALU_DEP_1)
	v_fma_f32 v71, s18, v126, -v68
	v_mul_f32_e32 v71, 0x3fb8aa3b, v71
	v_fma_f32 v70, s18, v125, -v68
	v_fma_f32 v69, s18, v124, -v68
	;; [unrolled: 1-line block ×5, first 2 shown]
	s_delay_alu instid0(VALU_DEP_4) | instskip(SKIP_1) | instid1(VALU_DEP_3)
	v_dual_mul_f32 v70, 0x3fb8aa3b, v70 :: v_dual_mul_f32 v69, 0x3fb8aa3b, v69
	v_exp_f32_e32 v71, v71
	v_mul_f32_e32 v72, 0x3fb8aa3b, v72
	v_fma_f32 v81, s18, v105, -v68
	s_delay_alu instid0(VALU_DEP_3)
	v_exp_f32_e32 v70, v70
	v_mul_f32_e32 v77, 0x3fb8aa3b, v76
	v_exp_f32_e32 v69, v69
	v_exp_f32_e32 v72, v72
	v_mul_f32_e32 v81, 0x3fb8aa3b, v81
	v_cndmask_b32_e64 v83, 0, v71, s3
	v_fma_f32 v71, s18, v131, -v68
	s_delay_alu instid0(VALU_DEP_3) | instskip(SKIP_4) | instid1(TRANS32_DEP_3)
	v_exp_f32_e32 v81, v81
	v_cndmask_b32_e32 v76, 0, v70, vcc_lo
	v_exp_f32_e32 v77, v77
	v_cndmask_b32_e64 v80, 0, v69, s2
	v_fma_f32 v69, s18, v129, -v68
	v_cndmask_b32_e64 v85, 0, v72, s4
	v_mul_f32_e32 v71, 0x3fb8aa3b, v71
	v_fma_f32 v72, s18, v100, -v68
	s_delay_alu instid0(VALU_DEP_4) | instskip(SKIP_1) | instid1(VALU_DEP_3)
	v_dual_add_f32 v70, 0, v80 :: v_dual_mul_f32 v69, 0x3fb8aa3b, v69
	s_mov_b32 s2, exec_lo
	v_exp_f32_e32 v71, v71
	s_delay_alu instid0(TRANS32_DEP_2) | instskip(SKIP_4) | instid1(VALU_DEP_3)
	v_cndmask_b32_e64 v86, 0, v77, s5
	v_fma_f32 v77, s18, v101, -v68
	v_mul_f32_e32 v78, 0x3fb8aa3b, v78
	v_add_f32_e32 v70, v70, v76
	v_exp_f32_e32 v69, v69
	v_mul_f32_e32 v77, 0x3fb8aa3b, v77
	s_delay_alu instid0(VALU_DEP_3) | instskip(NEXT) | instid1(TRANS32_DEP_3)
	v_exp_f32_e32 v78, v78
	v_cndmask_b32_e64 v88, 0, v71, s8
	v_fma_f32 v71, s18, v104, -v68
	s_delay_alu instid0(VALU_DEP_3) | instskip(NEXT) | instid1(TRANS32_DEP_3)
	v_exp_f32_e32 v77, v77
	v_cndmask_b32_e64 v87, 0, v69, s6
	s_delay_alu instid0(VALU_DEP_2)
	v_mul_f32_e32 v71, 0x3fb8aa3b, v71
	s_waitcnt_depctr 0xfff
	v_cndmask_b32_e64 v84, 0, v78, s7
	v_add_f32_e32 v70, v70, v83
	v_fma_f32 v78, s18, v103, -v68
	v_exp_f32_e32 v82, v71
	s_delay_alu instid0(VALU_DEP_2) | instskip(SKIP_1) | instid1(VALU_DEP_3)
	v_add_f32_e32 v70, v70, v85
	v_mul_f32_e32 v72, 0x3fb8aa3b, v72
	v_mul_f32_e32 v78, 0x3fb8aa3b, v78
	s_delay_alu instid0(VALU_DEP_3) | instskip(SKIP_1) | instid1(VALU_DEP_4)
	v_add_f32_e32 v69, v70, v86
	v_fma_f32 v70, s18, v102, -v68
	v_exp_f32_e32 v72, v72
	s_delay_alu instid0(VALU_DEP_3) | instskip(NEXT) | instid1(VALU_DEP_1)
	v_exp_f32_e32 v78, v78
	v_dual_add_f32 v69, v69, v87 :: v_dual_mul_f32 v70, 0x3fb8aa3b, v70
	s_delay_alu instid0(VALU_DEP_1) | instskip(NEXT) | instid1(VALU_DEP_2)
	v_add_f32_e32 v69, v69, v84
	v_exp_f32_e32 v79, v70
	s_delay_alu instid0(TRANS32_DEP_3) | instskip(NEXT) | instid1(VALU_DEP_2)
	v_cndmask_b32_e64 v70, 0, v72, s9
	v_add_f32_e32 v72, v69, v88
	v_cndmask_b32_e64 v69, 0, v77, s10
	v_fma_f32 v77, s18, v106, -v68
	s_waitcnt_depctr 0xfff
	v_cndmask_b32_e64 v71, 0, v79, s11
	v_dual_mul_f32 v77, 0x3fb8aa3b, v77 :: v_dual_add_f32 v72, v72, v70
	s_delay_alu instid0(VALU_DEP_1) | instskip(NEXT) | instid1(VALU_DEP_1)
	v_exp_f32_e32 v90, v77
	v_add_f32_e32 v79, v72, v69
	v_cndmask_b32_e64 v72, 0, v78, s12
	v_cndmask_b32_e64 v77, 0, v82, s13
	s_delay_alu instid0(VALU_DEP_3) | instskip(SKIP_1) | instid1(VALU_DEP_1)
	v_add_f32_e32 v78, v79, v71
	v_fma_f32 v79, s18, v107, -v68
	v_dual_add_f32 v82, v78, v72 :: v_dual_mul_f32 v79, 0x3fb8aa3b, v79
	v_cndmask_b32_e64 v78, 0, v81, s15
	s_delay_alu instid0(VALU_DEP_2) | instskip(NEXT) | instid1(VALU_DEP_3)
	v_add_f32_e32 v81, v82, v77
	v_exp_f32_e32 v82, v79
	v_cndmask_b32_e64 v79, 0, v90, s16
	s_delay_alu instid0(VALU_DEP_2) | instskip(NEXT) | instid1(VALU_DEP_1)
	v_add_f32_e32 v81, v81, v78
	v_add_f32_e32 v90, v81, v79
	s_waitcnt_depctr 0xfff
	v_cndmask_b32_e64 v81, 0, v82, s17
	s_delay_alu instid0(VALU_DEP_1)
	v_add_f32_e32 v82, v90, v81
	ds_bpermute_b32 v89, v89, v82
	v_cmpx_gt_u32_e32 16, v67
	s_cbranch_execz .LBB1533_12
; %bb.11:
	v_mul_u32_u24_e32 v67, 0x44, v65
	s_delay_alu instid0(VALU_DEP_1) | instskip(SKIP_1) | instid1(VALU_DEP_1)
	v_lshl_add_u32 v67, v66, 2, v67
	s_waitcnt lgkmcnt(0)
	v_dual_add_f32 v82, v82, v89 :: v_dual_add_nc_u32 v67, 0x4000, v67
	ds_store_2addr_b32 v67, v68, v82 offset1:136
.LBB1533_12:
	s_or_b32 exec_lo, exec_lo, s2
	v_lshlrev_b32_e32 v67, 2, v66
	s_waitcnt lgkmcnt(0)
	s_barrier
	buffer_gl0_inv
	v_cmp_eq_u32_e32 vcc_lo, 1, v65
	v_add_nc_u32_e32 v82, 0x4000, v67
	v_cmp_eq_u32_e64 s2, 2, v65
	v_cmp_eq_u32_e64 s4, 7, v65
	ds_load_2addr_b32 v[89:90], v82 offset1:17
	ds_load_2addr_b32 v[91:92], v82 offset0:34 offset1:51
	ds_load_2addr_b32 v[93:94], v82 offset0:68 offset1:85
	;; [unrolled: 1-line block ×4, first 2 shown]
	s_waitcnt lgkmcnt(4)
	v_max3_f32 v67, v89, 0xff7fffff, v90
	s_waitcnt lgkmcnt(3)
	s_delay_alu instid0(VALU_DEP_1) | instskip(SKIP_1) | instid1(VALU_DEP_1)
	v_max3_f32 v67, v67, v91, v92
	s_waitcnt lgkmcnt(2)
	v_max3_f32 v67, v67, v93, v94
	s_waitcnt lgkmcnt(1)
	s_delay_alu instid0(VALU_DEP_1) | instskip(NEXT) | instid1(VALU_DEP_1)
	v_max3_f32 v67, v67, v95, v96
	v_sub_f32_e32 v93, v93, v67
	s_delay_alu instid0(VALU_DEP_1) | instskip(NEXT) | instid1(VALU_DEP_1)
	v_dual_sub_f32 v68, v89, v67 :: v_dual_mul_f32 v103, 0x3fb8aa3b, v93
	v_mul_f32_e32 v68, 0x3fb8aa3b, v68
	s_delay_alu instid0(VALU_DEP_1)
	v_exp_f32_e32 v100, v68
	v_sub_f32_e32 v68, v92, v67
	v_sub_f32_e32 v99, v90, v67
	ds_load_2addr_b32 v[89:90], v82 offset0:170 offset1:187
	v_dual_mul_f32 v102, 0x3fb8aa3b, v68 :: v_dual_mul_f32 v99, 0x3fb8aa3b, v99
	s_waitcnt lgkmcnt(1)
	v_fma_f32 v68, v100, v97, 0
	s_delay_alu instid0(VALU_DEP_2) | instskip(NEXT) | instid1(VALU_DEP_2)
	v_exp_f32_e32 v102, v102
	v_exp_f32_e32 v99, v99
	s_waitcnt_depctr 0xfff
	v_fmac_f32_e32 v68, v99, v98
	v_sub_f32_e32 v91, v91, v67
	s_delay_alu instid0(VALU_DEP_1)
	v_mul_f32_e32 v101, 0x3fb8aa3b, v91
	ds_load_2addr_b32 v[91:92], v82 offset0:204 offset1:221
	v_sub_f32_e32 v97, v94, v67
	ds_load_2addr_b32 v[93:94], v82 offset0:238 offset1:255
	s_waitcnt lgkmcnt(0)
	v_exp_f32_e32 v101, v101
	s_barrier
	buffer_gl0_inv
	v_dual_fmac_f32 v68, v101, v89 :: v_dual_sub_f32 v89, v96, v67
	v_dual_sub_f32 v82, v95, v67 :: v_dual_mul_f32 v95, 0x3fb8aa3b, v97
	v_exp_f32_e32 v97, v103
	s_delay_alu instid0(VALU_DEP_2) | instskip(NEXT) | instid1(VALU_DEP_2)
	v_dual_fmac_f32 v68, v102, v90 :: v_dual_mul_f32 v89, 0x3fb8aa3b, v89
	v_mul_f32_e32 v82, 0x3fb8aa3b, v82
	s_delay_alu instid0(VALU_DEP_3) | instskip(NEXT) | instid1(VALU_DEP_2)
	v_exp_f32_e32 v95, v95
	v_exp_f32_e32 v89, v89
	s_delay_alu instid0(VALU_DEP_1)
	v_exp_f32_e32 v82, v82
	v_fmac_f32_e32 v68, v97, v91
	s_delay_alu instid0(TRANS32_DEP_3) | instid1(VALU_DEP_1)
	v_fmac_f32_e32 v68, v95, v92
	s_waitcnt_depctr 0xfff
	v_fmac_f32_e32 v68, v82, v93
	s_delay_alu instid0(VALU_DEP_1) | instskip(NEXT) | instid1(VALU_DEP_1)
	v_fmac_f32_e32 v68, v89, v94
	v_add_f32_e32 v90, 0x358637bd, v68
	s_delay_alu instid0(VALU_DEP_1) | instskip(NEXT) | instid1(VALU_DEP_1)
	v_div_scale_f32 v91, null, v90, v90, 1.0
	v_rcp_f32_e32 v92, v91
	s_waitcnt_depctr 0xfff
	v_fma_f32 v93, -v91, v92, 1.0
	s_delay_alu instid0(VALU_DEP_1) | instskip(SKIP_1) | instid1(VALU_DEP_2)
	v_dual_fmac_f32 v92, v93, v92 :: v_dual_cndmask_b32 v93, v100, v99
	v_cmp_eq_u32_e32 vcc_lo, 3, v65
	v_cndmask_b32_e64 v93, v93, v101, s2
	v_cmp_eq_u32_e64 s2, 4, v65
	s_delay_alu instid0(VALU_DEP_2) | instskip(SKIP_1) | instid1(VALU_DEP_2)
	v_cndmask_b32_e32 v93, v93, v102, vcc_lo
	v_cmp_eq_u32_e32 vcc_lo, 5, v65
	v_cndmask_b32_e64 v93, v93, v97, s2
	v_cmp_eq_u32_e64 s2, 6, v65
	s_delay_alu instid0(VALU_DEP_2) | instskip(SKIP_1) | instid1(VALU_DEP_1)
	v_cndmask_b32_e32 v93, v93, v95, vcc_lo
	v_div_scale_f32 v94, s3, 1.0, v90, 1.0
	s_mov_b32 vcc_lo, s3
	s_delay_alu instid0(VALU_DEP_2) | instskip(NEXT) | instid1(VALU_DEP_2)
	v_cndmask_b32_e64 v82, v93, v82, s2
	v_mul_f32_e32 v96, v94, v92
	s_mov_b32 s2, exec_lo
	s_delay_alu instid0(VALU_DEP_2) | instskip(NEXT) | instid1(VALU_DEP_2)
	v_cndmask_b32_e64 v82, v82, v89, s4
	v_fma_f32 v98, -v91, v96, v94
	s_delay_alu instid0(VALU_DEP_1) | instskip(NEXT) | instid1(VALU_DEP_1)
	v_fmac_f32_e32 v96, v98, v92
	v_fma_f32 v91, -v91, v96, v94
	s_delay_alu instid0(VALU_DEP_1) | instskip(NEXT) | instid1(VALU_DEP_1)
	v_div_fmas_f32 v91, v91, v92, v96
	v_div_fixup_f32 v90, v91, v90, 1.0
	s_delay_alu instid0(VALU_DEP_1) | instskip(NEXT) | instid1(VALU_DEP_1)
	v_mul_f32_e32 v82, v82, v90
	v_mul_f32_e32 v87, v82, v87
	;; [unrolled: 1-line block ×7, first 2 shown]
	v_dual_mul_f32 v86, v82, v83 :: v_dual_and_b32 v91, 0x7f800000, v90
	v_mul_f32_e32 v85, v82, v76
                                        ; implicit-def: $vgpr76
	s_delay_alu instid0(VALU_DEP_2)
	v_cmpx_ne_u32_e32 0x7f800000, v91
	s_xor_b32 s2, exec_lo, s2
; %bb.13:
	v_bfe_u32 v76, v90, 16, 1
	s_delay_alu instid0(VALU_DEP_1)
	v_add3_u32 v76, v90, v76, 0x7fff
                                        ; implicit-def: $vgpr90
; %bb.14:
	s_and_not1_saveexec_b32 s2, s2
; %bb.15:
	v_and_b32_e32 v76, 0xffff, v90
	v_or_b32_e32 v83, 0x10000, v90
	s_delay_alu instid0(VALU_DEP_2) | instskip(NEXT) | instid1(VALU_DEP_2)
	v_cmp_eq_u32_e32 vcc_lo, 0, v76
	v_cndmask_b32_e32 v76, v83, v90, vcc_lo
; %bb.16:
	s_or_b32 exec_lo, exec_lo, s2
	v_and_b32_e32 v83, 0x7f800000, v85
	s_delay_alu instid0(VALU_DEP_1) | instskip(SKIP_1) | instid1(SALU_CYCLE_1)
	v_cmp_ne_u32_e32 vcc_lo, 0x7f800000, v83
                                        ; implicit-def: $vgpr83
	s_and_saveexec_b32 s2, vcc_lo
	s_xor_b32 s2, exec_lo, s2
; %bb.17:
	v_bfe_u32 v83, v85, 16, 1
	s_delay_alu instid0(VALU_DEP_1)
	v_add3_u32 v83, v85, v83, 0x7fff
                                        ; implicit-def: $vgpr85
; %bb.18:
	s_and_not1_saveexec_b32 s2, s2
; %bb.19:
	v_and_b32_e32 v83, 0xffff, v85
	v_or_b32_e32 v90, 0x10000, v85
	s_delay_alu instid0(VALU_DEP_2) | instskip(NEXT) | instid1(VALU_DEP_2)
	v_cmp_eq_u32_e32 vcc_lo, 0, v83
	v_cndmask_b32_e32 v83, v90, v85, vcc_lo
; %bb.20:
	s_or_b32 exec_lo, exec_lo, s2
	v_and_b32_e32 v85, 0x7f800000, v86
	s_delay_alu instid0(VALU_DEP_1) | instskip(SKIP_1) | instid1(SALU_CYCLE_1)
	v_cmp_ne_u32_e32 vcc_lo, 0x7f800000, v85
                                        ; implicit-def: $vgpr85
	s_and_saveexec_b32 s2, vcc_lo
	s_xor_b32 s2, exec_lo, s2
; %bb.21:
	v_bfe_u32 v85, v86, 16, 1
	s_delay_alu instid0(VALU_DEP_1)
	v_add3_u32 v85, v86, v85, 0x7fff
                                        ; implicit-def: $vgpr86
; %bb.22:
	s_and_not1_saveexec_b32 s2, s2
; %bb.23:
	v_and_b32_e32 v85, 0xffff, v86
	v_or_b32_e32 v90, 0x10000, v86
	s_delay_alu instid0(VALU_DEP_2) | instskip(NEXT) | instid1(VALU_DEP_2)
	v_cmp_eq_u32_e32 vcc_lo, 0, v85
	v_cndmask_b32_e32 v85, v90, v86, vcc_lo
; %bb.24:
	s_or_b32 exec_lo, exec_lo, s2
	v_and_b32_e32 v86, 0x7f800000, v89
	s_delay_alu instid0(VALU_DEP_1) | instskip(SKIP_1) | instid1(SALU_CYCLE_1)
	v_cmp_ne_u32_e32 vcc_lo, 0x7f800000, v86
                                        ; implicit-def: $vgpr86
	s_and_saveexec_b32 s2, vcc_lo
	s_xor_b32 s2, exec_lo, s2
; %bb.25:
	v_bfe_u32 v86, v89, 16, 1
	s_delay_alu instid0(VALU_DEP_1)
	v_add3_u32 v86, v89, v86, 0x7fff
                                        ; implicit-def: $vgpr89
; %bb.26:
	s_and_not1_saveexec_b32 s2, s2
; %bb.27:
	v_and_b32_e32 v86, 0xffff, v89
	v_or_b32_e32 v90, 0x10000, v89
	s_delay_alu instid0(VALU_DEP_2) | instskip(NEXT) | instid1(VALU_DEP_2)
	v_cmp_eq_u32_e32 vcc_lo, 0, v86
	v_cndmask_b32_e32 v86, v90, v89, vcc_lo
; %bb.28:
	s_or_b32 exec_lo, exec_lo, s2
	v_and_b32_e32 v89, 0x7f800000, v88
	s_delay_alu instid0(VALU_DEP_1) | instskip(SKIP_1) | instid1(SALU_CYCLE_1)
	v_cmp_ne_u32_e32 vcc_lo, 0x7f800000, v89
                                        ; implicit-def: $vgpr89
	s_and_saveexec_b32 s2, vcc_lo
	s_xor_b32 s2, exec_lo, s2
; %bb.29:
	v_bfe_u32 v89, v88, 16, 1
	s_delay_alu instid0(VALU_DEP_1)
	v_add3_u32 v89, v88, v89, 0x7fff
                                        ; implicit-def: $vgpr88
; %bb.30:
	s_and_not1_saveexec_b32 s2, s2
; %bb.31:
	v_and_b32_e32 v89, 0xffff, v88
	v_or_b32_e32 v90, 0x10000, v88
	s_delay_alu instid0(VALU_DEP_2) | instskip(NEXT) | instid1(VALU_DEP_2)
	v_cmp_eq_u32_e32 vcc_lo, 0, v89
	v_cndmask_b32_e32 v89, v90, v88, vcc_lo
; %bb.32:
	s_or_b32 exec_lo, exec_lo, s2
	v_and_b32_e32 v88, 0x7f800000, v87
	s_delay_alu instid0(VALU_DEP_1) | instskip(SKIP_1) | instid1(SALU_CYCLE_1)
	v_cmp_ne_u32_e32 vcc_lo, 0x7f800000, v88
                                        ; implicit-def: $vgpr88
	s_and_saveexec_b32 s2, vcc_lo
	s_xor_b32 s2, exec_lo, s2
; %bb.33:
	v_bfe_u32 v88, v87, 16, 1
	s_delay_alu instid0(VALU_DEP_1)
	v_add3_u32 v88, v87, v88, 0x7fff
                                        ; implicit-def: $vgpr87
; %bb.34:
	s_and_not1_saveexec_b32 s2, s2
; %bb.35:
	v_and_b32_e32 v88, 0xffff, v87
	v_or_b32_e32 v90, 0x10000, v87
	s_delay_alu instid0(VALU_DEP_2) | instskip(NEXT) | instid1(VALU_DEP_2)
	v_cmp_eq_u32_e32 vcc_lo, 0, v88
	v_cndmask_b32_e32 v88, v90, v87, vcc_lo
; %bb.36:
	s_or_b32 exec_lo, exec_lo, s2
	v_and_b32_e32 v87, 0x7f800000, v84
	s_delay_alu instid0(VALU_DEP_1) | instskip(SKIP_1) | instid1(SALU_CYCLE_1)
	v_cmp_ne_u32_e32 vcc_lo, 0x7f800000, v87
                                        ; implicit-def: $vgpr87
	s_and_saveexec_b32 s2, vcc_lo
	s_xor_b32 s2, exec_lo, s2
; %bb.37:
	v_bfe_u32 v87, v84, 16, 1
	s_delay_alu instid0(VALU_DEP_1)
	v_add3_u32 v87, v84, v87, 0x7fff
                                        ; implicit-def: $vgpr84
; %bb.38:
	s_and_not1_saveexec_b32 s2, s2
; %bb.39:
	v_and_b32_e32 v87, 0xffff, v84
	v_or_b32_e32 v90, 0x10000, v84
	s_delay_alu instid0(VALU_DEP_2) | instskip(NEXT) | instid1(VALU_DEP_2)
	v_cmp_eq_u32_e32 vcc_lo, 0, v87
	v_cndmask_b32_e32 v87, v90, v84, vcc_lo
; %bb.40:
	s_or_b32 exec_lo, exec_lo, s2
	v_and_b32_e32 v84, 0x7f800000, v80
	s_delay_alu instid0(VALU_DEP_1) | instskip(SKIP_1) | instid1(SALU_CYCLE_1)
	v_cmp_ne_u32_e32 vcc_lo, 0x7f800000, v84
                                        ; implicit-def: $vgpr84
	s_and_saveexec_b32 s2, vcc_lo
	s_xor_b32 s2, exec_lo, s2
; %bb.41:
	v_bfe_u32 v84, v80, 16, 1
	s_delay_alu instid0(VALU_DEP_1)
	v_add3_u32 v84, v80, v84, 0x7fff
                                        ; implicit-def: $vgpr80
; %bb.42:
	s_and_not1_saveexec_b32 s2, s2
; %bb.43:
	v_and_b32_e32 v84, 0xffff, v80
	v_or_b32_e32 v90, 0x10000, v80
	s_delay_alu instid0(VALU_DEP_2) | instskip(NEXT) | instid1(VALU_DEP_2)
	v_cmp_eq_u32_e32 vcc_lo, 0, v84
	v_cndmask_b32_e32 v84, v90, v80, vcc_lo
; %bb.44:
	s_or_b32 exec_lo, exec_lo, s2
	s_load_b64 s[34:35], s[0:1], 0x94
	v_lshlrev_b32_e32 v91, 4, v74
	s_delay_alu instid0(VALU_DEP_2)
	v_perm_b32 v90, v84, v87, 0x7060302
	v_dual_mul_f32 v77, v82, v77 :: v_dual_lshlrev_b32 v80, 6, v66
	v_lshlrev_b32_e32 v66, 11, v65
	v_perm_b32 v87, v83, v76, 0x7060302
	v_mul_f32_e32 v83, v82, v70
	v_perm_b32 v89, v88, v89, 0x7060302
	v_perm_b32 v88, v86, v85, 0x7060302
	v_or3_b32 v76, v91, v66, v80
	v_mul_f32_e32 v66, v82, v81
	v_mul_f32_e32 v70, v82, v79
	;; [unrolled: 1-line block ×3, first 2 shown]
	v_dual_mul_f32 v81, v82, v72 :: v_dual_and_b32 v84, 0x7f800000, v83
	v_mul_f32_e32 v79, v82, v71
	v_mul_f32_e32 v72, v82, v69
	s_mov_b32 s2, exec_lo
	ds_store_b128 v76, v[87:90]
                                        ; implicit-def: $vgpr69
	v_cmpx_ne_u32_e32 0x7f800000, v84
	s_xor_b32 s2, exec_lo, s2
; %bb.45:
	v_bfe_u32 v69, v83, 16, 1
	s_delay_alu instid0(VALU_DEP_1)
	v_add3_u32 v69, v83, v69, 0x7fff
                                        ; implicit-def: $vgpr83
; %bb.46:
	s_and_not1_saveexec_b32 s2, s2
; %bb.47:
	v_and_b32_e32 v69, 0xffff, v83
	v_or_b32_e32 v71, 0x10000, v83
	s_delay_alu instid0(VALU_DEP_2) | instskip(NEXT) | instid1(VALU_DEP_2)
	v_cmp_eq_u32_e32 vcc_lo, 0, v69
	v_cndmask_b32_e32 v69, v71, v83, vcc_lo
; %bb.48:
	s_or_b32 exec_lo, exec_lo, s2
	v_and_b32_e32 v71, 0x7f800000, v72
	s_delay_alu instid0(VALU_DEP_1) | instskip(SKIP_1) | instid1(SALU_CYCLE_1)
	v_cmp_ne_u32_e32 vcc_lo, 0x7f800000, v71
                                        ; implicit-def: $vgpr71
	s_and_saveexec_b32 s2, vcc_lo
	s_xor_b32 s2, exec_lo, s2
; %bb.49:
	v_bfe_u32 v71, v72, 16, 1
	s_delay_alu instid0(VALU_DEP_1)
	v_add3_u32 v71, v72, v71, 0x7fff
                                        ; implicit-def: $vgpr72
; %bb.50:
	s_and_not1_saveexec_b32 s2, s2
; %bb.51:
	v_and_b32_e32 v71, 0xffff, v72
	v_or_b32_e32 v82, 0x10000, v72
	s_delay_alu instid0(VALU_DEP_2) | instskip(NEXT) | instid1(VALU_DEP_2)
	v_cmp_eq_u32_e32 vcc_lo, 0, v71
	v_cndmask_b32_e32 v71, v82, v72, vcc_lo
; %bb.52:
	s_or_b32 exec_lo, exec_lo, s2
	v_and_b32_e32 v72, 0x7f800000, v79
	s_delay_alu instid0(VALU_DEP_1) | instskip(SKIP_1) | instid1(SALU_CYCLE_1)
	v_cmp_ne_u32_e32 vcc_lo, 0x7f800000, v72
                                        ; implicit-def: $vgpr72
	s_and_saveexec_b32 s2, vcc_lo
	s_xor_b32 s2, exec_lo, s2
; %bb.53:
	v_bfe_u32 v72, v79, 16, 1
	s_delay_alu instid0(VALU_DEP_1)
	v_add3_u32 v72, v79, v72, 0x7fff
                                        ; implicit-def: $vgpr79
; %bb.54:
	s_and_not1_saveexec_b32 s2, s2
; %bb.55:
	v_and_b32_e32 v72, 0xffff, v79
	v_or_b32_e32 v82, 0x10000, v79
	s_delay_alu instid0(VALU_DEP_2) | instskip(NEXT) | instid1(VALU_DEP_2)
	v_cmp_eq_u32_e32 vcc_lo, 0, v72
	v_cndmask_b32_e32 v72, v82, v79, vcc_lo
; %bb.56:
	s_or_b32 exec_lo, exec_lo, s2
	v_and_b32_e32 v79, 0x7f800000, v81
	s_delay_alu instid0(VALU_DEP_1) | instskip(SKIP_1) | instid1(SALU_CYCLE_1)
	v_cmp_ne_u32_e32 vcc_lo, 0x7f800000, v79
                                        ; implicit-def: $vgpr79
	s_and_saveexec_b32 s2, vcc_lo
	s_xor_b32 s2, exec_lo, s2
; %bb.57:
	v_bfe_u32 v79, v81, 16, 1
	s_delay_alu instid0(VALU_DEP_1)
	v_add3_u32 v79, v81, v79, 0x7fff
                                        ; implicit-def: $vgpr81
; %bb.58:
	s_and_not1_saveexec_b32 s2, s2
; %bb.59:
	v_and_b32_e32 v79, 0xffff, v81
	v_or_b32_e32 v82, 0x10000, v81
	s_delay_alu instid0(VALU_DEP_2) | instskip(NEXT) | instid1(VALU_DEP_2)
	v_cmp_eq_u32_e32 vcc_lo, 0, v79
	v_cndmask_b32_e32 v79, v82, v81, vcc_lo
; %bb.60:
	s_or_b32 exec_lo, exec_lo, s2
	v_and_b32_e32 v81, 0x7f800000, v77
	s_delay_alu instid0(VALU_DEP_1) | instskip(SKIP_1) | instid1(SALU_CYCLE_1)
	v_cmp_ne_u32_e32 vcc_lo, 0x7f800000, v81
                                        ; implicit-def: $vgpr81
	s_and_saveexec_b32 s2, vcc_lo
	s_xor_b32 s2, exec_lo, s2
; %bb.61:
	v_bfe_u32 v81, v77, 16, 1
	s_delay_alu instid0(VALU_DEP_1)
	v_add3_u32 v81, v77, v81, 0x7fff
                                        ; implicit-def: $vgpr77
; %bb.62:
	s_and_not1_saveexec_b32 s2, s2
; %bb.63:
	v_and_b32_e32 v81, 0xffff, v77
	v_or_b32_e32 v82, 0x10000, v77
	s_delay_alu instid0(VALU_DEP_2) | instskip(NEXT) | instid1(VALU_DEP_2)
	v_cmp_eq_u32_e32 vcc_lo, 0, v81
	v_cndmask_b32_e32 v81, v82, v77, vcc_lo
; %bb.64:
	s_or_b32 exec_lo, exec_lo, s2
	v_and_b32_e32 v77, 0x7f800000, v78
	s_delay_alu instid0(VALU_DEP_1) | instskip(SKIP_1) | instid1(SALU_CYCLE_1)
	v_cmp_ne_u32_e32 vcc_lo, 0x7f800000, v77
                                        ; implicit-def: $vgpr77
	s_and_saveexec_b32 s2, vcc_lo
	s_xor_b32 s2, exec_lo, s2
; %bb.65:
	v_bfe_u32 v77, v78, 16, 1
	s_delay_alu instid0(VALU_DEP_1)
	v_add3_u32 v77, v78, v77, 0x7fff
                                        ; implicit-def: $vgpr78
; %bb.66:
	s_and_not1_saveexec_b32 s2, s2
; %bb.67:
	v_and_b32_e32 v77, 0xffff, v78
	v_or_b32_e32 v82, 0x10000, v78
	s_delay_alu instid0(VALU_DEP_2) | instskip(NEXT) | instid1(VALU_DEP_2)
	v_cmp_eq_u32_e32 vcc_lo, 0, v77
	v_cndmask_b32_e32 v77, v82, v78, vcc_lo
; %bb.68:
	s_or_b32 exec_lo, exec_lo, s2
	v_and_b32_e32 v78, 0x7f800000, v70
	s_delay_alu instid0(VALU_DEP_1) | instskip(SKIP_1) | instid1(SALU_CYCLE_1)
	v_cmp_ne_u32_e32 vcc_lo, 0x7f800000, v78
                                        ; implicit-def: $vgpr78
	s_and_saveexec_b32 s2, vcc_lo
	s_xor_b32 s2, exec_lo, s2
; %bb.69:
	v_bfe_u32 v78, v70, 16, 1
	s_delay_alu instid0(VALU_DEP_1)
	v_add3_u32 v78, v70, v78, 0x7fff
                                        ; implicit-def: $vgpr70
; %bb.70:
	s_and_not1_saveexec_b32 s2, s2
; %bb.71:
	v_and_b32_e32 v78, 0xffff, v70
	v_or_b32_e32 v82, 0x10000, v70
	s_delay_alu instid0(VALU_DEP_2) | instskip(NEXT) | instid1(VALU_DEP_2)
	v_cmp_eq_u32_e32 vcc_lo, 0, v78
	v_cndmask_b32_e32 v78, v82, v70, vcc_lo
; %bb.72:
	s_or_b32 exec_lo, exec_lo, s2
	v_and_b32_e32 v70, 0x7f800000, v66
	s_delay_alu instid0(VALU_DEP_1) | instskip(SKIP_1) | instid1(SALU_CYCLE_1)
	v_cmp_ne_u32_e32 vcc_lo, 0x7f800000, v70
                                        ; implicit-def: $vgpr70
	s_and_saveexec_b32 s2, vcc_lo
	s_xor_b32 s2, exec_lo, s2
; %bb.73:
	v_bfe_u32 v70, v66, 16, 1
	s_delay_alu instid0(VALU_DEP_1)
	v_add3_u32 v70, v66, v70, 0x7fff
                                        ; implicit-def: $vgpr66
; %bb.74:
	s_and_not1_saveexec_b32 s2, s2
; %bb.75:
	v_and_b32_e32 v70, 0xffff, v66
	v_or_b32_e32 v82, 0x10000, v66
	s_delay_alu instid0(VALU_DEP_2) | instskip(NEXT) | instid1(VALU_DEP_2)
	v_cmp_eq_u32_e32 vcc_lo, 0, v70
	v_cndmask_b32_e32 v70, v82, v66, vcc_lo
; %bb.76:
	s_or_b32 exec_lo, exec_lo, s2
	s_delay_alu instid0(VALU_DEP_1)
	v_perm_b32 v86, v70, v78, 0x7060302
	v_perm_b32 v85, v77, v81, 0x7060302
	;; [unrolled: 1-line block ×4, first 2 shown]
	v_lshl_or_b32 v82, v65, 11, v80
	ds_store_b128 v76, v[83:86] offset:1024
	s_waitcnt lgkmcnt(0)
	s_barrier
	buffer_gl0_inv
	ds_load_b128 v[69:72], v82
	ds_load_b128 v[83:86], v82 offset:16
	s_waitcnt lgkmcnt(1)
	v_lshrrev_b32_e32 v65, 16, v69
	v_lshlrev_b32_e32 v78, 2, v74
	s_waitcnt lgkmcnt(0)
	v_lshrrev_b32_e32 v91, 16, v83
	v_lshrrev_b32_e32 v66, 16, v70
	;; [unrolled: 1-line block ×4, first 2 shown]
	v_cmp_eq_u32_e32 vcc_lo, 1, v78
	v_lshrrev_b32_e32 v98, 16, v85
	v_lshrrev_b32_e32 v96, 16, v72
	;; [unrolled: 1-line block ×3, first 2 shown]
	v_cndmask_b32_e32 v81, v69, v65, vcc_lo
	v_or_b32_e32 v79, 1, v78
	v_cmp_eq_u32_e64 s3, 2, v78
	v_cndmask_b32_e32 v87, v83, v91, vcc_lo
	v_cmp_eq_u32_e64 s6, 3, v78
	v_cmp_eq_u32_e64 s8, 4, v78
	;; [unrolled: 1-line block ×3, first 2 shown]
	v_cndmask_b32_e64 v81, v81, v70, s3
	v_cmp_eq_u32_e64 s5, 2, v79
	v_cndmask_b32_e64 v87, v87, v84, s3
	v_cmp_eq_u32_e64 s7, 3, v79
	v_cndmask_b32_e64 v88, v69, v65, s2
	v_cndmask_b32_e64 v81, v81, v66, s6
	v_or_b32_e32 v77, 2, v78
	v_cndmask_b32_e64 v87, v87, v97, s6
	v_cndmask_b32_e64 v89, v83, v91, s2
	;; [unrolled: 1-line block ×4, first 2 shown]
	v_cmp_eq_u32_e64 s9, 5, v78
	v_cndmask_b32_e64 v87, v87, v85, s8
	v_cmp_eq_u32_e64 s10, 4, v79
	v_cndmask_b32_e64 v88, v88, v66, s7
	;; [unrolled: 2-line block ×3, first 2 shown]
	v_cndmask_b32_e64 v81, v81, v95, s9
	v_cmp_eq_u32_e64 s11, 6, v78
	v_cndmask_b32_e64 v88, v88, v71, s10
	v_cndmask_b32_e64 v87, v87, v98, s9
	v_cmp_eq_u32_e64 s12, 5, v79
	v_cndmask_b32_e64 v90, v69, v65, s4
	v_cndmask_b32_e64 v89, v89, v97, s7
	;; [unrolled: 1-line block ×3, first 2 shown]
	v_cmp_eq_u32_e64 s13, 7, v78
	v_cndmask_b32_e64 v88, v88, v95, s12
	v_cndmask_b32_e64 v87, v87, v86, s11
	v_cmp_eq_u32_e64 s15, 6, v79
	v_cmp_eq_u32_e64 s16, 2, v77
	v_cndmask_b32_e64 v89, v89, v85, s10
	v_cndmask_b32_e64 v100, v81, v96, s13
	;; [unrolled: 1-line block ×6, first 2 shown]
	v_cmp_eq_u32_e64 s17, 7, v79
	v_cmp_eq_u32_e64 s18, 3, v77
	v_cmp_eq_u32_e64 s19, 4, v77
	v_cmp_eq_u32_e64 s21, 5, v77
	v_cndmask_b32_e64 v87, v87, v84, s16
	v_cndmask_b32_e64 v102, v88, v96, s17
	;; [unrolled: 1-line block ×4, first 2 shown]
	v_or_b32_e32 v81, 3, v78
	v_cndmask_b32_e64 v93, v87, v97, s18
	v_cmp_eq_u32_e64 s23, 6, v77
	v_cndmask_b32_e64 v103, v88, v86, s15
	v_cndmask_b32_e64 v92, v89, v71, s19
	v_cmp_eq_u32_e64 s20, 1, v81
	ds_load_b128 v[87:90], v82 offset:1024
	v_cmp_eq_u32_e64 s22, 2, v81
	v_cmp_eq_u32_e64 s24, 3, v81
	v_cndmask_b32_e64 v104, v92, v95, s21
	v_cndmask_b32_e64 v65, v69, v65, s20
	;; [unrolled: 1-line block ×4, first 2 shown]
	ds_load_b128 v[91:94], v82 offset:1040
	v_cmp_eq_u32_e64 s25, 4, v81
	v_cndmask_b32_e64 v65, v65, v70, s22
	v_cmp_eq_u32_e64 s27, 5, v81
	v_cndmask_b32_e64 v70, v83, v84, s22
	;; [unrolled: 2-line block ×3, first 2 shown]
	v_cndmask_b32_e64 v65, v65, v66, s24
	v_cndmask_b32_e64 v66, v104, v72, s23
	v_cndmask_b32_e64 v70, v70, v97, s24
	v_cmp_eq_u32_e64 s26, 7, v77
	v_cndmask_b32_e64 v69, v69, v86, s23
	v_cndmask_b32_e64 v65, v65, v71, s25
	s_waitcnt lgkmcnt(1)
	v_lshrrev_b32_e32 v84, 16, v87
	v_cndmask_b32_e64 v70, v70, v85, s25
	v_cndmask_b32_e64 v83, v103, v99, s17
	;; [unrolled: 1-line block ×4, first 2 shown]
	v_lshrrev_b32_e32 v95, 16, v88
	v_cndmask_b32_e64 v70, v70, v98, s27
	s_waitcnt lgkmcnt(0)
	v_lshrrev_b32_e32 v85, 16, v91
	v_cndmask_b32_e64 v97, v87, v84, s2
	v_cndmask_b32_e64 v65, v65, v72, s28
	;; [unrolled: 1-line block ×4, first 2 shown]
	v_cndmask_b32_e32 v71, v87, v84, vcc_lo
	v_cndmask_b32_e32 v98, v91, v85, vcc_lo
	v_cmp_eq_u32_e32 vcc_lo, 7, v81
	v_cndmask_b32_e64 v72, v97, v88, s5
	v_lshrrev_b32_e32 v97, 16, v92
	v_lshrrev_b32_e32 v103, 16, v90
	v_dual_cndmask_b32 v65, v65, v96 :: v_dual_cndmask_b32 v70, v70, v99
	v_cndmask_b32_e64 v71, v71, v88, s3
	v_cndmask_b32_e64 v86, v98, v92, s3
	;; [unrolled: 1-line block ×3, first 2 shown]
	v_lshrrev_b32_e32 v98, 16, v89
	v_lshrrev_b32_e32 v99, 16, v93
	v_cndmask_b32_e64 v71, v71, v95, s6
	v_cndmask_b32_e64 v86, v86, v97, s6
	v_cndmask_b32_e64 v96, v72, v89, s10
	v_perm_b32 v72, v70, v65, 0x5040100
	v_perm_b32 v70, v83, v102, 0x5040100
	v_cndmask_b32_e64 v71, v71, v89, s8
	v_cndmask_b32_e64 v86, v86, v93, s8
	;; [unrolled: 1-line block ×3, first 2 shown]
	v_lshrrev_b32_e32 v83, 16, v94
	s_delay_alu instid0(VALU_DEP_4) | instskip(NEXT) | instid1(VALU_DEP_4)
	v_cndmask_b32_e64 v71, v71, v98, s9
	v_cndmask_b32_e64 v86, v86, v99, s9
	s_delay_alu instid0(VALU_DEP_4) | instskip(NEXT) | instid1(VALU_DEP_3)
	v_cndmask_b32_e64 v65, v65, v90, s15
	v_cndmask_b32_e64 v96, v71, v90, s11
	v_perm_b32 v71, v69, v66, 0x5040100
	s_delay_alu instid0(VALU_DEP_4)
	v_cndmask_b32_e64 v69, v86, v94, s11
	v_cndmask_b32_e64 v86, v87, v84, s4
	;; [unrolled: 1-line block ×34, first 2 shown]
	v_cndmask_b32_e32 v84, v84, v103, vcc_lo
	v_cndmask_b32_e32 v86, v87, v83, vcc_lo
	v_cndmask_b32_e64 v87, v88, v83, s26
	v_cndmask_b32_e64 v88, v85, v83, s17
	v_cndmask_b32_e64 v83, v69, v83, s13
	v_perm_b32 v69, v101, v100, 0x5040100
	v_perm_b32 v86, v86, v84, 0x5040100
	v_perm_b32 v85, v87, v89, 0x5040100
	v_perm_b32 v84, v88, v65, 0x5040100
	v_perm_b32 v83, v83, v66, 0x5040100
	s_lshl_b32 s7, s35, 3
	s_mov_b32 s2, exec_lo
	ds_store_b128 v76, v[69:72]
	ds_store_b128 v76, v[83:86] offset:1024
	v_cmpx_gt_u32_e32 8, v0
	s_cbranch_execz .LBB1533_78
; %bb.77:
	v_or_b32_e32 v65, s29, v0
	s_load_b128 s[8:11], s[0:1], 0x58
	s_delay_alu instid0(VALU_DEP_1) | instskip(NEXT) | instid1(VALU_DEP_1)
	v_mad_u64_u32 v[69:70], null, s7, s30, v[65:66]
	v_mad_u64_u32 v[65:66], null, v69, s34, s[14:15]
	s_delay_alu instid0(VALU_DEP_1) | instskip(NEXT) | instid1(VALU_DEP_1)
	v_ashrrev_i32_e32 v66, 31, v65
	v_lshlrev_b64 v[65:66], 2, v[65:66]
	s_waitcnt lgkmcnt(0)
	s_delay_alu instid0(VALU_DEP_1) | instskip(NEXT) | instid1(VALU_DEP_2)
	v_add_co_u32 v69, vcc_lo, s10, v65
	v_add_co_ci_u32_e32 v70, vcc_lo, s11, v66, vcc_lo
	v_add_co_u32 v65, vcc_lo, s8, v65
	v_add_co_ci_u32_e32 v66, vcc_lo, s9, v66, vcc_lo
	global_store_b32 v[69:70], v67, off
	global_store_b32 v[65:66], v68, off
.LBB1533_78:
	s_or_b32 exec_lo, exec_lo, s2
	s_waitcnt lgkmcnt(0)
	s_waitcnt_vscnt null, 0x0
	s_barrier
	buffer_gl0_inv
	ds_load_b128 v[83:86], v80
	ds_load_b128 v[87:90], v80 offset:16
	ds_load_b128 v[95:98], v80 offset:2064
	;; [unrolled: 1-line block ×3, first 2 shown]
	v_mov_b32_e32 v65, 0
	ds_load_b128 v[103:106], v80 offset:4112
	ds_load_b128 v[99:102], v80 offset:4096
	;; [unrolled: 1-line block ×4, first 2 shown]
	v_mov_b32_e32 v66, v65
	v_mov_b32_e32 v67, v65
	;; [unrolled: 1-line block ×7, first 2 shown]
	s_waitcnt lgkmcnt(6)
	s_delay_alu instid0(VALU_DEP_1)
	v_wmma_f32_16x16x16_bf16 v[65:72], v[49:56], v[83:90], v[65:72]
	ds_load_b128 v[53:56], v80 offset:8208
	ds_load_b128 v[49:52], v80 offset:8192
	s_waitcnt lgkmcnt(6)
	v_wmma_f32_16x16x16_bf16 v[65:72], v[41:48], v[91:98], v[65:72]
	ds_load_b128 v[45:48], v80 offset:10256
	ds_load_b128 v[41:44], v80 offset:10240
	s_waitcnt lgkmcnt(6)
	;; [unrolled: 4-line block ×4, first 2 shown]
	v_wmma_f32_16x16x16_bf16 v[65:72], v[1:8], v[49:56], v[65:72]
	s_waitcnt lgkmcnt(4)
	s_delay_alu instid0(VALU_DEP_1) | instskip(SKIP_1) | instid1(VALU_DEP_1)
	v_wmma_f32_16x16x16_bf16 v[65:72], v[9:16], v[41:48], v[65:72]
	s_waitcnt lgkmcnt(2)
	v_wmma_f32_16x16x16_bf16 v[65:72], v[17:24], v[33:40], v[65:72]
	s_waitcnt lgkmcnt(0)
	s_delay_alu instid0(VALU_DEP_1) | instskip(NEXT) | instid1(VALU_DEP_1)
	v_wmma_f32_16x16x16_bf16 v[65:72], v[57:64], v[25:32], v[65:72]
	v_and_b32_e32 v1, 0x7f800000, v65
	s_delay_alu instid0(VALU_DEP_1) | instskip(SKIP_1) | instid1(SALU_CYCLE_1)
	v_cmp_ne_u32_e32 vcc_lo, 0x7f800000, v1
                                        ; implicit-def: $vgpr1
	s_and_saveexec_b32 s2, vcc_lo
	s_xor_b32 s2, exec_lo, s2
; %bb.79:
	v_bfe_u32 v1, v65, 16, 1
	s_delay_alu instid0(VALU_DEP_1)
	v_add3_u32 v1, v65, v1, 0x7fff
; %bb.80:
	s_and_not1_saveexec_b32 s2, s2
; %bb.81:
	v_and_b32_e32 v1, 0xffff, v65
	v_or_b32_e32 v2, 0x10000, v65
	s_delay_alu instid0(VALU_DEP_2) | instskip(NEXT) | instid1(VALU_DEP_2)
	v_cmp_eq_u32_e32 vcc_lo, 0, v1
	v_cndmask_b32_e32 v1, v2, v65, vcc_lo
; %bb.82:
	s_or_b32 exec_lo, exec_lo, s2
	v_and_b32_e32 v2, 0x7f800000, v66
	s_delay_alu instid0(VALU_DEP_1) | instskip(SKIP_1) | instid1(SALU_CYCLE_1)
	v_cmp_ne_u32_e32 vcc_lo, 0x7f800000, v2
                                        ; implicit-def: $vgpr2
	s_and_saveexec_b32 s2, vcc_lo
	s_xor_b32 s2, exec_lo, s2
; %bb.83:
	v_bfe_u32 v2, v66, 16, 1
	s_delay_alu instid0(VALU_DEP_1)
	v_add3_u32 v2, v66, v2, 0x7fff
; %bb.84:
	s_and_not1_saveexec_b32 s2, s2
; %bb.85:
	v_and_b32_e32 v2, 0xffff, v66
	v_or_b32_e32 v3, 0x10000, v66
	s_delay_alu instid0(VALU_DEP_2) | instskip(NEXT) | instid1(VALU_DEP_2)
	v_cmp_eq_u32_e32 vcc_lo, 0, v2
	v_cndmask_b32_e32 v2, v3, v66, vcc_lo
; %bb.86:
	s_or_b32 exec_lo, exec_lo, s2
	v_and_b32_e32 v3, 0x7f800000, v67
	s_delay_alu instid0(VALU_DEP_1) | instskip(SKIP_1) | instid1(SALU_CYCLE_1)
	v_cmp_ne_u32_e32 vcc_lo, 0x7f800000, v3
                                        ; implicit-def: $vgpr3
	s_and_saveexec_b32 s2, vcc_lo
	s_xor_b32 s2, exec_lo, s2
; %bb.87:
	v_bfe_u32 v3, v67, 16, 1
	s_delay_alu instid0(VALU_DEP_1)
	v_add3_u32 v3, v67, v3, 0x7fff
; %bb.88:
	s_and_not1_saveexec_b32 s2, s2
; %bb.89:
	v_and_b32_e32 v3, 0xffff, v67
	v_or_b32_e32 v4, 0x10000, v67
	s_delay_alu instid0(VALU_DEP_2) | instskip(NEXT) | instid1(VALU_DEP_2)
	v_cmp_eq_u32_e32 vcc_lo, 0, v3
	v_cndmask_b32_e32 v3, v4, v67, vcc_lo
; %bb.90:
	s_or_b32 exec_lo, exec_lo, s2
	v_and_b32_e32 v4, 0x7f800000, v68
	s_delay_alu instid0(VALU_DEP_1) | instskip(SKIP_1) | instid1(SALU_CYCLE_1)
	v_cmp_ne_u32_e32 vcc_lo, 0x7f800000, v4
                                        ; implicit-def: $vgpr4
	s_and_saveexec_b32 s2, vcc_lo
	s_xor_b32 s2, exec_lo, s2
; %bb.91:
	v_bfe_u32 v4, v68, 16, 1
	s_delay_alu instid0(VALU_DEP_1)
	v_add3_u32 v4, v68, v4, 0x7fff
; %bb.92:
	s_and_not1_saveexec_b32 s2, s2
; %bb.93:
	v_and_b32_e32 v4, 0xffff, v68
	v_or_b32_e32 v5, 0x10000, v68
	s_delay_alu instid0(VALU_DEP_2) | instskip(NEXT) | instid1(VALU_DEP_2)
	v_cmp_eq_u32_e32 vcc_lo, 0, v4
	v_cndmask_b32_e32 v4, v5, v68, vcc_lo
; %bb.94:
	s_or_b32 exec_lo, exec_lo, s2
	v_and_b32_e32 v5, 0x7f800000, v69
	s_delay_alu instid0(VALU_DEP_1) | instskip(SKIP_1) | instid1(SALU_CYCLE_1)
	v_cmp_ne_u32_e32 vcc_lo, 0x7f800000, v5
                                        ; implicit-def: $vgpr5
	s_and_saveexec_b32 s2, vcc_lo
	s_xor_b32 s2, exec_lo, s2
; %bb.95:
	v_bfe_u32 v5, v69, 16, 1
	s_delay_alu instid0(VALU_DEP_1)
	v_add3_u32 v5, v69, v5, 0x7fff
; %bb.96:
	s_and_not1_saveexec_b32 s2, s2
; %bb.97:
	v_and_b32_e32 v5, 0xffff, v69
	v_or_b32_e32 v6, 0x10000, v69
	s_delay_alu instid0(VALU_DEP_2) | instskip(NEXT) | instid1(VALU_DEP_2)
	v_cmp_eq_u32_e32 vcc_lo, 0, v5
	v_cndmask_b32_e32 v5, v6, v69, vcc_lo
; %bb.98:
	s_or_b32 exec_lo, exec_lo, s2
	v_and_b32_e32 v6, 0x7f800000, v70
	s_delay_alu instid0(VALU_DEP_1) | instskip(SKIP_1) | instid1(SALU_CYCLE_1)
	v_cmp_ne_u32_e32 vcc_lo, 0x7f800000, v6
                                        ; implicit-def: $vgpr6
	s_and_saveexec_b32 s2, vcc_lo
	s_xor_b32 s2, exec_lo, s2
; %bb.99:
	v_bfe_u32 v6, v70, 16, 1
	s_delay_alu instid0(VALU_DEP_1)
	v_add3_u32 v6, v70, v6, 0x7fff
; %bb.100:
	s_and_not1_saveexec_b32 s2, s2
; %bb.101:
	v_and_b32_e32 v6, 0xffff, v70
	v_or_b32_e32 v7, 0x10000, v70
	s_delay_alu instid0(VALU_DEP_2) | instskip(NEXT) | instid1(VALU_DEP_2)
	v_cmp_eq_u32_e32 vcc_lo, 0, v6
	v_cndmask_b32_e32 v6, v7, v70, vcc_lo
; %bb.102:
	s_or_b32 exec_lo, exec_lo, s2
	v_and_b32_e32 v7, 0x7f800000, v71
	s_delay_alu instid0(VALU_DEP_1) | instskip(SKIP_1) | instid1(SALU_CYCLE_1)
	v_cmp_ne_u32_e32 vcc_lo, 0x7f800000, v7
                                        ; implicit-def: $vgpr7
	s_and_saveexec_b32 s2, vcc_lo
	s_xor_b32 s2, exec_lo, s2
; %bb.103:
	v_bfe_u32 v7, v71, 16, 1
	s_delay_alu instid0(VALU_DEP_1)
	v_add3_u32 v7, v71, v7, 0x7fff
; %bb.104:
	s_and_not1_saveexec_b32 s2, s2
; %bb.105:
	v_and_b32_e32 v7, 0xffff, v71
	v_or_b32_e32 v8, 0x10000, v71
	s_delay_alu instid0(VALU_DEP_2) | instskip(NEXT) | instid1(VALU_DEP_2)
	v_cmp_eq_u32_e32 vcc_lo, 0, v7
	v_cndmask_b32_e32 v7, v8, v71, vcc_lo
; %bb.106:
	s_or_b32 exec_lo, exec_lo, s2
	v_and_b32_e32 v8, 0x7f800000, v72
	s_delay_alu instid0(VALU_DEP_1) | instskip(SKIP_1) | instid1(SALU_CYCLE_1)
	v_cmp_ne_u32_e32 vcc_lo, 0x7f800000, v8
                                        ; implicit-def: $vgpr8
	s_and_saveexec_b32 s2, vcc_lo
	s_xor_b32 s2, exec_lo, s2
; %bb.107:
	v_bfe_u32 v8, v72, 16, 1
	s_delay_alu instid0(VALU_DEP_1)
	v_add3_u32 v8, v72, v8, 0x7fff
                                        ; implicit-def: $vgpr65_vgpr66_vgpr67_vgpr68_vgpr69_vgpr70_vgpr71_vgpr72
; %bb.108:
	s_and_not1_saveexec_b32 s2, s2
; %bb.109:
	v_and_b32_e32 v8, 0xffff, v72
	v_or_b32_e32 v9, 0x10000, v72
	s_delay_alu instid0(VALU_DEP_2) | instskip(NEXT) | instid1(VALU_DEP_2)
	v_cmp_eq_u32_e32 vcc_lo, 0, v8
	v_cndmask_b32_e32 v8, v9, v72, vcc_lo
; %bb.110:
	s_or_b32 exec_lo, exec_lo, s2
	s_delay_alu instid0(VALU_DEP_1)
	v_perm_b32 v7, v8, v7, 0x7060302
	v_perm_b32 v6, v6, v5, 0x7060302
	;; [unrolled: 1-line block ×4, first 2 shown]
	s_barrier
	buffer_gl0_inv
	v_cmp_eq_u32_e32 vcc_lo, 1, v78
	ds_store_b128 v76, v[4:7]
	s_waitcnt lgkmcnt(0)
	s_barrier
	buffer_gl0_inv
	ds_load_b128 v[1:4], v82
	ds_load_b128 v[5:8], v82 offset:16
	v_cmp_eq_u32_e64 s2, 1, v79
	v_cmp_eq_u32_e64 s3, 2, v78
	;; [unrolled: 1-line block ×5, first 2 shown]
	s_waitcnt lgkmcnt(1)
	v_lshrrev_b32_e32 v9, 16, v1
	s_waitcnt lgkmcnt(0)
	v_lshrrev_b32_e32 v13, 16, v5
	v_lshrrev_b32_e32 v10, 16, v2
	;; [unrolled: 1-line block ×4, first 2 shown]
	v_cndmask_b32_e64 v19, v1, v9, s2
	v_cndmask_b32_e32 v18, v5, v13, vcc_lo
	v_cndmask_b32_e64 v20, v5, v13, s2
	v_cndmask_b32_e32 v17, v1, v9, vcc_lo
	v_cmp_eq_u32_e32 vcc_lo, 2, v79
	v_lshrrev_b32_e32 v15, 16, v7
	v_cmp_eq_u32_e64 s2, 1, v77
	v_lshrrev_b32_e32 v12, 16, v4
	v_lshrrev_b32_e32 v16, 16, v8
	v_cndmask_b32_e32 v20, v20, v6, vcc_lo
	v_cndmask_b32_e64 v17, v17, v2, s3
	v_cndmask_b32_e32 v19, v19, v2, vcc_lo
	v_cndmask_b32_e64 v18, v18, v6, s3
	v_cmp_eq_u32_e32 vcc_lo, 4, v78
	v_cmp_eq_u32_e64 s3, 3, v79
	v_cndmask_b32_e64 v17, v17, v10, s4
	v_cndmask_b32_e64 v21, v1, v9, s2
	;; [unrolled: 1-line block ×5, first 2 shown]
	v_cndmask_b32_e32 v17, v17, v3, vcc_lo
	v_cndmask_b32_e64 v20, v20, v14, s3
	v_cndmask_b32_e32 v18, v18, v7, vcc_lo
	v_cmp_eq_u32_e32 vcc_lo, 4, v79
	v_cmp_eq_u32_e64 s3, 5, v79
	v_cmp_eq_u32_e64 s2, 2, v81
	v_cndmask_b32_e64 v21, v21, v2, s6
	v_cmp_eq_u32_e64 s4, 5, v78
	v_cndmask_b32_e32 v19, v19, v3, vcc_lo
	v_cndmask_b32_e32 v20, v20, v7, vcc_lo
	v_cmp_eq_u32_e32 vcc_lo, 6, v79
	s_delay_alu instid0(VALU_DEP_4) | instskip(NEXT) | instid1(VALU_DEP_4)
	v_cndmask_b32_e64 v17, v17, v11, s4
	v_cndmask_b32_e64 v19, v19, v11, s3
	s_delay_alu instid0(VALU_DEP_4) | instskip(SKIP_1) | instid1(VALU_DEP_3)
	v_cndmask_b32_e64 v20, v20, v15, s3
	v_cmp_eq_u32_e64 s3, 1, v81
	v_cndmask_b32_e32 v19, v19, v4, vcc_lo
	v_cndmask_b32_e64 v18, v18, v15, s4
	s_delay_alu instid0(VALU_DEP_3)
	v_cndmask_b32_e64 v1, v1, v9, s3
	v_cndmask_b32_e64 v5, v5, v13, s3
	v_cmp_eq_u32_e64 s3, 3, v77
	v_cndmask_b32_e64 v13, v22, v6, s6
	v_cmp_eq_u32_e64 s6, 3, v81
	v_cndmask_b32_e64 v1, v1, v2, s2
	v_cndmask_b32_e64 v2, v5, v6, s2
	;; [unrolled: 1-line block ×3, first 2 shown]
	v_cmp_eq_u32_e64 s2, 4, v77
	v_cndmask_b32_e64 v6, v13, v14, s3
	v_cndmask_b32_e64 v1, v1, v10, s6
	v_cmp_eq_u32_e64 s3, 4, v81
	v_cndmask_b32_e64 v2, v2, v14, s6
	v_cndmask_b32_e64 v5, v9, v3, s2
	;; [unrolled: 3-line block ×3, first 2 shown]
	v_cndmask_b32_e64 v2, v2, v7, s3
	v_cmp_eq_u32_e64 s2, 5, v81
	v_cmp_eq_u32_e64 s4, 6, v78
	v_cndmask_b32_e64 v5, v5, v11, s6
	v_cmp_eq_u32_e64 s3, 6, v77
	v_cndmask_b32_e64 v3, v6, v15, s6
	v_cndmask_b32_e64 v1, v1, v11, s2
	v_cmp_eq_u32_e64 s6, 6, v81
	v_cndmask_b32_e64 v2, v2, v15, s2
	v_cndmask_b32_e64 v17, v17, v4, s4
	v_cndmask_b32_e64 v18, v18, v8, s4
	v_cmp_eq_u32_e64 s4, 7, v78
	v_cndmask_b32_e64 v5, v5, v4, s3
	;; [unrolled: 4-line block ×3, first 2 shown]
	v_cmp_eq_u32_e64 s3, 7, v77
	v_cndmask_b32_e32 v4, v20, v8, vcc_lo
	v_cndmask_b32_e64 v17, v17, v12, s4
	v_cndmask_b32_e64 v19, v19, v12, s5
	;; [unrolled: 1-line block ×8, first 2 shown]
	s_mov_b32 s2, exec_lo
	v_perm_b32 v4, v2, v1, 0x5040100
	v_perm_b32 v3, v3, v5, 0x5040100
	;; [unrolled: 1-line block ×4, first 2 shown]
	ds_store_b128 v76, v[1:4]
	s_waitcnt lgkmcnt(0)
	s_barrier
	buffer_gl0_inv
	v_cmpx_gt_u32_e32 32, v0
	s_cbranch_execz .LBB1533_2
; %bb.111:
	s_load_b64 s[0:1], s[0:1], 0x68
	s_lshl_b32 s4, s34, 7
	v_or_b32_e32 v2, s29, v74
	s_mul_i32 s2, s4, s30
	v_lshlrev_b32_e32 v1, 10, v0
	s_mul_i32 s2, s2, s7
	v_lshlrev_b32_e32 v3, 4, v75
	v_mul_lo_u32 v0, v2, s4
	s_ashr_i32 s3, s2, 31
	v_lshlrev_b32_e32 v4, 6, v74
	v_and_b32_e32 v1, 0x3800, v1
	v_or_b32_e32 v5, 2, v2
	s_lshl_b64 s[2:3], s[2:3], 1
	v_or_b32_e32 v6, 4, v2
	v_or_b32_e32 v7, 6, v2
	v_or3_b32 v12, v1, v3, v4
	v_ashrrev_i32_e32 v1, 31, v0
	v_mul_lo_u32 v2, v5, s4
	v_mul_lo_u32 v16, v6, s4
	;; [unrolled: 1-line block ×3, first 2 shown]
	s_waitcnt lgkmcnt(0)
	s_add_u32 s2, s0, s2
	s_addc_u32 s3, s1, s3
	s_lshl_b32 s0, s14, 7
	v_lshlrev_b64 v[0:1], 1, v[0:1]
	s_ashr_i32 s1, s0, 31
	v_ashrrev_i32_e32 v3, 31, v2
	s_lshl_b64 s[0:1], s[0:1], 1
	v_ashrrev_i32_e32 v17, 31, v16
	s_add_u32 s0, s2, s0
	s_addc_u32 s1, s3, s1
	v_add_co_u32 v24, s0, s0, v73
	s_delay_alu instid0(VALU_DEP_1) | instskip(SKIP_1) | instid1(VALU_DEP_3)
	v_add_co_ci_u32_e64 v25, null, s1, 0, s0
	v_lshlrev_b64 v[22:23], 1, v[2:3]
	v_add_co_u32 v18, vcc_lo, v24, v0
	s_delay_alu instid0(VALU_DEP_3)
	v_add_co_ci_u32_e32 v19, vcc_lo, v25, v1, vcc_lo
	ds_load_b128 v[0:3], v12
	ds_load_b128 v[4:7], v12 offset:128
	ds_load_b128 v[8:11], v12 offset:256
	;; [unrolled: 1-line block ×3, first 2 shown]
	v_ashrrev_i32_e32 v21, 31, v20
	v_lshlrev_b64 v[16:17], 1, v[16:17]
	v_add_co_u32 v22, vcc_lo, v24, v22
	v_add_co_ci_u32_e32 v23, vcc_lo, v25, v23, vcc_lo
	s_delay_alu instid0(VALU_DEP_4) | instskip(NEXT) | instid1(VALU_DEP_4)
	v_lshlrev_b64 v[20:21], 1, v[20:21]
	v_add_co_u32 v16, vcc_lo, v24, v16
	v_add_co_ci_u32_e32 v17, vcc_lo, v25, v17, vcc_lo
	s_delay_alu instid0(VALU_DEP_3) | instskip(NEXT) | instid1(VALU_DEP_4)
	v_add_co_u32 v20, vcc_lo, v24, v20
	v_add_co_ci_u32_e32 v21, vcc_lo, v25, v21, vcc_lo
	s_waitcnt lgkmcnt(3)
	global_store_b128 v[18:19], v[0:3], off
	s_waitcnt lgkmcnt(2)
	global_store_b128 v[22:23], v[4:7], off
	;; [unrolled: 2-line block ×4, first 2 shown]
	s_nop 0
	s_sendmsg sendmsg(MSG_DEALLOC_VGPRS)
	s_endpgm
	.section	.rodata,"a",@progbits
	.p2align	6, 0x0
	.amdhsa_kernel _Z39paged_attention_ll4mi_QKV_mfma16_kernelI14__hip_bfloat16hLN4vllm18Fp8KVCacheDataTypeE1EhLi16ELi128ELi256ELb0ELi8EL8MFMAType1EEvPKT_PKT0_S9_ifPKiSB_SB_iPKfiiiPfSE_PS4_PT2_iSD_SD_
		.amdhsa_group_segment_fixed_size 17472
		.amdhsa_private_segment_fixed_size 0
		.amdhsa_kernarg_size 400
		.amdhsa_user_sgpr_count 13
		.amdhsa_user_sgpr_dispatch_ptr 0
		.amdhsa_user_sgpr_queue_ptr 0
		.amdhsa_user_sgpr_kernarg_segment_ptr 1
		.amdhsa_user_sgpr_dispatch_id 0
		.amdhsa_user_sgpr_private_segment_size 0
		.amdhsa_wavefront_size32 1
		.amdhsa_uses_dynamic_stack 0
		.amdhsa_enable_private_segment 0
		.amdhsa_system_sgpr_workgroup_id_x 1
		.amdhsa_system_sgpr_workgroup_id_y 1
		.amdhsa_system_sgpr_workgroup_id_z 1
		.amdhsa_system_sgpr_workgroup_info 0
		.amdhsa_system_vgpr_workitem_id 0
		.amdhsa_next_free_vgpr 140
		.amdhsa_next_free_sgpr 36
		.amdhsa_reserve_vcc 1
		.amdhsa_float_round_mode_32 0
		.amdhsa_float_round_mode_16_64 0
		.amdhsa_float_denorm_mode_32 3
		.amdhsa_float_denorm_mode_16_64 3
		.amdhsa_dx10_clamp 1
		.amdhsa_ieee_mode 1
		.amdhsa_fp16_overflow 0
		.amdhsa_workgroup_processor_mode 1
		.amdhsa_memory_ordered 1
		.amdhsa_forward_progress 0
		.amdhsa_shared_vgpr_count 0
		.amdhsa_exception_fp_ieee_invalid_op 0
		.amdhsa_exception_fp_denorm_src 0
		.amdhsa_exception_fp_ieee_div_zero 0
		.amdhsa_exception_fp_ieee_overflow 0
		.amdhsa_exception_fp_ieee_underflow 0
		.amdhsa_exception_fp_ieee_inexact 0
		.amdhsa_exception_int_div_zero 0
	.end_amdhsa_kernel
	.section	.text._Z39paged_attention_ll4mi_QKV_mfma16_kernelI14__hip_bfloat16hLN4vllm18Fp8KVCacheDataTypeE1EhLi16ELi128ELi256ELb0ELi8EL8MFMAType1EEvPKT_PKT0_S9_ifPKiSB_SB_iPKfiiiPfSE_PS4_PT2_iSD_SD_,"axG",@progbits,_Z39paged_attention_ll4mi_QKV_mfma16_kernelI14__hip_bfloat16hLN4vllm18Fp8KVCacheDataTypeE1EhLi16ELi128ELi256ELb0ELi8EL8MFMAType1EEvPKT_PKT0_S9_ifPKiSB_SB_iPKfiiiPfSE_PS4_PT2_iSD_SD_,comdat
.Lfunc_end1533:
	.size	_Z39paged_attention_ll4mi_QKV_mfma16_kernelI14__hip_bfloat16hLN4vllm18Fp8KVCacheDataTypeE1EhLi16ELi128ELi256ELb0ELi8EL8MFMAType1EEvPKT_PKT0_S9_ifPKiSB_SB_iPKfiiiPfSE_PS4_PT2_iSD_SD_, .Lfunc_end1533-_Z39paged_attention_ll4mi_QKV_mfma16_kernelI14__hip_bfloat16hLN4vllm18Fp8KVCacheDataTypeE1EhLi16ELi128ELi256ELb0ELi8EL8MFMAType1EEvPKT_PKT0_S9_ifPKiSB_SB_iPKfiiiPfSE_PS4_PT2_iSD_SD_
                                        ; -- End function
	.section	.AMDGPU.csdata,"",@progbits
; Kernel info:
; codeLenInByte = 8852
; NumSgprs: 38
; NumVgprs: 140
; ScratchSize: 0
; MemoryBound: 0
; FloatMode: 240
; IeeeMode: 1
; LDSByteSize: 17472 bytes/workgroup (compile time only)
; SGPRBlocks: 4
; VGPRBlocks: 17
; NumSGPRsForWavesPerEU: 38
; NumVGPRsForWavesPerEU: 140
; Occupancy: 10
; WaveLimiterHint : 1
; COMPUTE_PGM_RSRC2:SCRATCH_EN: 0
; COMPUTE_PGM_RSRC2:USER_SGPR: 13
; COMPUTE_PGM_RSRC2:TRAP_HANDLER: 0
; COMPUTE_PGM_RSRC2:TGID_X_EN: 1
; COMPUTE_PGM_RSRC2:TGID_Y_EN: 1
; COMPUTE_PGM_RSRC2:TGID_Z_EN: 1
; COMPUTE_PGM_RSRC2:TIDIG_COMP_CNT: 0
	.section	.text._Z39paged_attention_ll4mi_QKV_mfma16_kernelI14__hip_bfloat16hLN4vllm18Fp8KVCacheDataTypeE1EhLi16ELi128ELi256ELb0ELi9EL8MFMAType1EEvPKT_PKT0_S9_ifPKiSB_SB_iPKfiiiPfSE_PS4_PT2_iSD_SD_,"axG",@progbits,_Z39paged_attention_ll4mi_QKV_mfma16_kernelI14__hip_bfloat16hLN4vllm18Fp8KVCacheDataTypeE1EhLi16ELi128ELi256ELb0ELi9EL8MFMAType1EEvPKT_PKT0_S9_ifPKiSB_SB_iPKfiiiPfSE_PS4_PT2_iSD_SD_,comdat
	.protected	_Z39paged_attention_ll4mi_QKV_mfma16_kernelI14__hip_bfloat16hLN4vllm18Fp8KVCacheDataTypeE1EhLi16ELi128ELi256ELb0ELi9EL8MFMAType1EEvPKT_PKT0_S9_ifPKiSB_SB_iPKfiiiPfSE_PS4_PT2_iSD_SD_ ; -- Begin function _Z39paged_attention_ll4mi_QKV_mfma16_kernelI14__hip_bfloat16hLN4vllm18Fp8KVCacheDataTypeE1EhLi16ELi128ELi256ELb0ELi9EL8MFMAType1EEvPKT_PKT0_S9_ifPKiSB_SB_iPKfiiiPfSE_PS4_PT2_iSD_SD_
	.globl	_Z39paged_attention_ll4mi_QKV_mfma16_kernelI14__hip_bfloat16hLN4vllm18Fp8KVCacheDataTypeE1EhLi16ELi128ELi256ELb0ELi9EL8MFMAType1EEvPKT_PKT0_S9_ifPKiSB_SB_iPKfiiiPfSE_PS4_PT2_iSD_SD_
	.p2align	8
	.type	_Z39paged_attention_ll4mi_QKV_mfma16_kernelI14__hip_bfloat16hLN4vllm18Fp8KVCacheDataTypeE1EhLi16ELi128ELi256ELb0ELi9EL8MFMAType1EEvPKT_PKT0_S9_ifPKiSB_SB_iPKfiiiPfSE_PS4_PT2_iSD_SD_,@function
_Z39paged_attention_ll4mi_QKV_mfma16_kernelI14__hip_bfloat16hLN4vllm18Fp8KVCacheDataTypeE1EhLi16ELi128ELi256ELb0ELi9EL8MFMAType1EEvPKT_PKT0_S9_ifPKiSB_SB_iPKfiiiPfSE_PS4_PT2_iSD_SD_: ; @_Z39paged_attention_ll4mi_QKV_mfma16_kernelI14__hip_bfloat16hLN4vllm18Fp8KVCacheDataTypeE1EhLi16ELi128ELi256ELb0ELi9EL8MFMAType1EEvPKT_PKT0_S9_ifPKiSB_SB_iPKfiiiPfSE_PS4_PT2_iSD_SD_
; %bb.0:
	s_load_b64 s[4:5], s[0:1], 0x30
	s_mov_b32 s30, s13
	s_waitcnt lgkmcnt(0)
	s_cmp_lg_u64 s[4:5], 0
	s_cselect_b32 s13, -1, 0
	s_ashr_i32 s31, s30, 31
	s_cmp_eq_u64 s[4:5], 0
	s_cbranch_scc1 .LBB1534_3
; %bb.1:
	s_lshl_b64 s[2:3], s[30:31], 2
	s_delay_alu instid0(SALU_CYCLE_1) | instskip(SKIP_4) | instid1(SALU_CYCLE_1)
	s_add_u32 s2, s4, s2
	s_addc_u32 s3, s5, s3
	s_load_b64 s[2:3], s[2:3], 0x0
	s_waitcnt lgkmcnt(0)
	s_sub_i32 s2, s3, s2
	s_cmp_eq_u32 s2, 1
	s_cselect_b32 s2, -1, 0
	s_delay_alu instid0(SALU_CYCLE_1)
	s_and_not1_b32 vcc_lo, exec_lo, s2
	s_cbranch_vccz .LBB1534_4
.LBB1534_2:
	s_nop 0
	s_sendmsg sendmsg(MSG_DEALLOC_VGPRS)
	s_endpgm
.LBB1534_3:
.LBB1534_4:
	s_load_b64 s[2:3], s[0:1], 0x28
	s_lshl_b64 s[6:7], s[30:31], 2
	s_waitcnt lgkmcnt(0)
	s_add_u32 s2, s2, s6
	s_addc_u32 s3, s3, s7
	s_lshl_b32 s12, s14, 8
	s_load_b32 s17, s[2:3], 0x0
	s_waitcnt lgkmcnt(0)
	s_cmp_ge_i32 s12, s17
	s_cbranch_scc1 .LBB1534_2
; %bb.5:
	s_clause 0x1
	s_load_b128 s[8:11], s[0:1], 0x8
	s_load_b64 s[2:3], s[0:1], 0x20
	s_and_not1_b32 vcc_lo, exec_lo, s13
	s_cbranch_vccnz .LBB1534_7
; %bb.6:
	s_add_u32 s4, s4, s6
	s_addc_u32 s5, s5, s7
	s_load_b32 s13, s[4:5], 0x0
	s_branch .LBB1534_8
.LBB1534_7:
	s_mov_b32 s13, s30
.LBB1534_8:
	s_load_b128 s[4:7], s[0:1], 0x48
	v_and_b32_e32 v65, 15, v0
	v_lshrrev_b32_e32 v66, 5, v0
	v_bfe_u32 v74, v0, 4, 1
	v_and_b32_e32 v67, 31, v0
	v_and_b32_e32 v75, 1, v0
	v_lshlrev_b32_e32 v2, 3, v65
	s_mul_i32 s31, s15, 9
	v_lshl_or_b32 v1, v66, 1, v74
	s_waitcnt lgkmcnt(0)
	s_mov_b32 s7, exec_lo
	v_lshlrev_b32_e32 v73, 1, v2
	s_delay_alu instid0(VALU_DEP_2)
	v_cmpx_gt_u32_e32 9, v1
	s_cbranch_execz .LBB1534_10
; %bb.9:
	s_load_b64 s[18:19], s[0:1], 0x0
	v_add_lshl_u32 v2, v1, s31, 7
	s_mul_hi_i32 s21, s13, s4
	s_mul_i32 s20, s13, s4
	v_lshlrev_b32_e32 v6, 10, v65
	s_lshl_b64 s[20:21], s[20:21], 1
	v_ashrrev_i32_e32 v3, 31, v2
	v_lshlrev_b32_e32 v1, 6, v1
	v_lshlrev_b32_e32 v7, 10, v75
	v_and_b32_e32 v6, 0x3800, v6
	s_delay_alu instid0(VALU_DEP_4) | instskip(NEXT) | instid1(VALU_DEP_2)
	v_lshlrev_b64 v[2:3], 1, v[2:3]
	v_or3_b32 v1, v6, v7, v1
	s_waitcnt lgkmcnt(0)
	s_add_u32 s4, s18, s20
	s_addc_u32 s13, s19, s21
	s_delay_alu instid0(VALU_DEP_2) | instskip(SKIP_1) | instid1(VALU_DEP_2)
	v_add_co_u32 v2, vcc_lo, s4, v2
	v_add_co_ci_u32_e32 v3, vcc_lo, s13, v3, vcc_lo
	v_add_co_u32 v2, vcc_lo, v2, v73
	s_delay_alu instid0(VALU_DEP_2)
	v_add_co_ci_u32_e32 v3, vcc_lo, 0, v3, vcc_lo
	global_load_b128 v[2:5], v[2:3], off
	s_waitcnt vmcnt(0)
	ds_store_b128 v1, v[2:5]
.LBB1534_10:
	s_or_b32 exec_lo, exec_lo, s7
	v_and_b32_e32 v1, 0xef, v0
	s_add_i32 s4, s17, 15
	s_clause 0x1
	s_load_b32 s7, s[0:1], 0x38
	s_load_b32 s18, s[0:1], 0x1c
	s_ashr_i32 s13, s4, 31
	v_add_nc_u32_e32 v1, s12, v1
	s_lshr_b32 s13, s13, 28
	s_waitcnt lgkmcnt(0)
	s_add_i32 s4, s4, s13
	s_barrier
	v_ashrrev_i32_e32 v2, 31, v1
	v_or_b32_e32 v3, 16, v1
	s_ashr_i32 s4, s4, 4
	v_cmp_gt_i32_e32 vcc_lo, s17, v1
	s_add_i32 s4, s4, -1
	v_lshrrev_b32_e32 v2, 28, v2
	buffer_gl0_inv
	s_mul_i32 s15, s15, s6
	v_add_nc_u32_e32 v4, v1, v2
	s_mul_i32 s20, s30, s7
	s_delay_alu instid0(SALU_CYCLE_1) | instskip(NEXT) | instid1(VALU_DEP_1)
	s_ashr_i32 s21, s20, 31
	v_ashrrev_i32_e32 v4, 4, v4
	v_add_nc_u32_e32 v2, v3, v2
	s_lshl_b64 s[20:21], s[20:21], 2
	s_delay_alu instid0(SALU_CYCLE_1) | instskip(NEXT) | instid1(VALU_DEP_2)
	s_add_u32 s13, s2, s20
	v_cndmask_b32_e32 v1, s4, v4, vcc_lo
	s_delay_alu instid0(VALU_DEP_2)
	v_ashrrev_i32_e32 v2, 4, v2
	v_cmp_gt_i32_e32 vcc_lo, s17, v3
	s_addc_u32 s16, s3, s21
	s_ashr_i32 s19, s15, 31
	s_add_u32 s26, s8, s15
	s_addc_u32 s27, s9, s19
	v_cndmask_b32_e32 v3, s4, v2, vcc_lo
	v_ashrrev_i32_e32 v2, 31, v1
	s_lshl_b32 s2, s14, 4
	s_delay_alu instid0(SALU_CYCLE_1) | instskip(NEXT) | instid1(VALU_DEP_2)
	s_ashr_i32 s3, s2, 31
	v_ashrrev_i32_e32 v4, 31, v3
	s_delay_alu instid0(VALU_DEP_2) | instskip(SKIP_1) | instid1(SALU_CYCLE_1)
	v_lshlrev_b64 v[1:2], 2, v[1:2]
	s_lshl_b64 s[2:3], s[2:3], 2
	s_add_u32 s2, s13, s2
	s_delay_alu instid0(VALU_DEP_2) | instskip(SKIP_1) | instid1(VALU_DEP_2)
	v_lshlrev_b64 v[3:4], 2, v[3:4]
	s_addc_u32 s3, s16, s3
	v_add_co_u32 v1, vcc_lo, s13, v1
	v_add_co_ci_u32_e32 v2, vcc_lo, s16, v2, vcc_lo
	s_delay_alu instid0(VALU_DEP_3) | instskip(NEXT) | instid1(VALU_DEP_4)
	v_add_co_u32 v3, vcc_lo, s13, v3
	v_add_co_ci_u32_e32 v4, vcc_lo, s16, v4, vcc_lo
	s_clause 0x1
	global_load_b32 v5, v[1:2], off
	global_load_b32 v3, v[3:4], off
	s_or_b32 s6, s12, 32
	v_cmp_gt_u32_e32 vcc_lo, 9, v65
	s_ashr_i32 s7, s6, 4
	s_cmp_lt_i32 s6, s17
	s_cselect_b32 s6, s7, s4
	s_delay_alu instid0(SALU_CYCLE_1) | instskip(NEXT) | instid1(SALU_CYCLE_1)
	s_ashr_i32 s7, s6, 31
	s_lshl_b64 s[6:7], s[6:7], 2
	s_delay_alu instid0(SALU_CYCLE_1) | instskip(SKIP_2) | instid1(SALU_CYCLE_1)
	s_add_u32 s6, s13, s6
	s_addc_u32 s7, s16, s7
	s_or_b32 s8, s12, 64
	s_ashr_i32 s9, s8, 4
	s_cmp_lt_i32 s8, s17
	s_cselect_b32 s8, s9, s4
	s_delay_alu instid0(SALU_CYCLE_1) | instskip(NEXT) | instid1(SALU_CYCLE_1)
	s_ashr_i32 s9, s8, 31
	s_lshl_b64 s[8:9], s[8:9], 2
	s_delay_alu instid0(SALU_CYCLE_1) | instskip(SKIP_2) | instid1(SALU_CYCLE_1)
	s_add_u32 s8, s13, s8
	s_addc_u32 s9, s16, s9
	s_or_b32 s20, s12, 0x60
	s_ashr_i32 s21, s20, 4
	s_cmp_lt_i32 s20, s17
	s_cselect_b32 s20, s21, s4
	s_delay_alu instid0(SALU_CYCLE_1) | instskip(NEXT) | instid1(SALU_CYCLE_1)
	s_ashr_i32 s21, s20, 31
	s_lshl_b64 s[20:21], s[20:21], 2
	s_delay_alu instid0(SALU_CYCLE_1) | instskip(SKIP_2) | instid1(SALU_CYCLE_1)
	s_add_u32 s20, s13, s20
	s_addc_u32 s21, s16, s21
	s_or_b32 s22, s12, 0x80
	s_ashr_i32 s23, s22, 4
	s_cmp_lt_i32 s22, s17
	s_cselect_b32 s22, s23, s4
	s_delay_alu instid0(SALU_CYCLE_1) | instskip(NEXT) | instid1(SALU_CYCLE_1)
	s_ashr_i32 s23, s22, 31
	s_lshl_b64 s[22:23], s[22:23], 2
	s_delay_alu instid0(SALU_CYCLE_1) | instskip(SKIP_2) | instid1(SALU_CYCLE_1)
	s_add_u32 s22, s13, s22
	s_addc_u32 s23, s16, s23
	s_or_b32 s24, s12, 0xa0
	s_ashr_i32 s25, s24, 4
	s_cmp_lt_i32 s24, s17
	s_cselect_b32 s24, s25, s4
	s_delay_alu instid0(SALU_CYCLE_1) | instskip(NEXT) | instid1(SALU_CYCLE_1)
	s_ashr_i32 s25, s24, 31
	s_lshl_b64 s[24:25], s[24:25], 2
	s_delay_alu instid0(SALU_CYCLE_1)
	s_add_u32 s24, s13, s24
	s_addc_u32 s25, s16, s25
	s_clause 0x5
	s_load_b32 s28, s[2:3], 0x0
	s_load_b32 s29, s[6:7], 0x0
	;; [unrolled: 1-line block ×6, first 2 shown]
	s_mov_b32 s20, 0
	s_or_b32 s2, s12, 0xc0
	s_mov_b32 s21, s20
	s_mov_b32 s22, s20
	;; [unrolled: 1-line block ×5, first 2 shown]
	v_lshlrev_b32_e32 v1, 4, v0
	s_ashr_i32 s3, s2, 4
	s_cmp_lt_i32 s2, s17
	s_cselect_b32 s2, s3, s4
	s_delay_alu instid0(VALU_DEP_1) | instskip(SKIP_1) | instid1(SALU_CYCLE_1)
	v_and_b32_e32 v1, 0xf0, v1
	s_ashr_i32 s3, s2, 31
	s_lshl_b64 s[2:3], s[2:3], 2
	s_delay_alu instid0(VALU_DEP_1) | instskip(NEXT) | instid1(VALU_DEP_1)
	v_add_co_u32 v1, s26, s26, v1
	v_add_co_ci_u32_e64 v2, null, s27, 0, s26
	s_add_u32 s2, s13, s2
	s_addc_u32 s3, s16, s3
	s_or_b32 s6, s12, 0xe0
	s_mov_b32 s27, s20
	s_ashr_i32 s7, s6, 4
	s_cmp_lt_i32 s6, s17
	s_mov_b32 s26, s20
	v_dual_mov_b32 v107, s27 :: v_dual_mov_b32 v100, s20
	s_cselect_b32 s6, s7, s4
	v_mov_b32_e32 v106, s26
	s_ashr_i32 s7, s6, 31
	v_mov_b32_e32 v104, s24
	s_lshl_b64 s[6:7], s[6:7], 2
	v_dual_mov_b32 v103, s23 :: v_dual_mov_b32 v102, s22
	v_mov_b32_e32 v101, s21
	s_waitcnt vmcnt(1)
	v_mad_i64_i32 v[33:34], null, v5, s5, v[1:2]
	s_waitcnt vmcnt(0)
	v_mad_i64_i32 v[35:36], null, v3, s5, v[1:2]
	s_clause 0xf
	global_load_b128 v[1:4], v[33:34], off
	global_load_b128 v[5:8], v[33:34], off offset:256
	global_load_b128 v[9:12], v[35:36], off
	global_load_b128 v[13:16], v[35:36], off offset:256
	global_load_b128 v[17:20], v[33:34], off offset:512
	;; [unrolled: 1-line block ×13, first 2 shown]
	v_add_nc_u32_e32 v33, -9, v65
	v_lshlrev_b32_e32 v34, 4, v65
	s_delay_alu instid0(VALU_DEP_2) | instskip(SKIP_1) | instid1(VALU_DEP_3)
	v_cndmask_b32_e32 v33, v33, v65, vcc_lo
	v_mov_b32_e32 v105, s25
	v_lshl_or_b32 v41, v66, 8, v34
	s_delay_alu instid0(VALU_DEP_3)
	v_lshlrev_b32_e32 v72, 6, v33
	ds_load_b128 v[33:36], v72
	ds_load_b128 v[37:40], v72 offset:1024
	ds_load_b128 v[108:111], v72 offset:2048
	;; [unrolled: 1-line block ×3, first 2 shown]
	s_load_b32 s4, s[2:3], 0x0
	s_add_u32 s2, s13, s6
	s_addc_u32 s3, s16, s7
	ds_load_b128 v[116:119], v72 offset:4096
	ds_load_b128 v[120:123], v72 offset:5120
	s_load_b32 s2, s[2:3], 0x0
	s_add_u32 s6, s10, s15
	s_addc_u32 s7, s11, s19
	v_add_co_u32 v68, s6, s6, v41
	s_delay_alu instid0(VALU_DEP_1) | instskip(SKIP_1) | instid1(VALU_DEP_1)
	v_add_co_ci_u32_e64 v69, null, s7, 0, s6
	s_waitcnt lgkmcnt(0)
	v_mad_i64_i32 v[41:42], null, s28, s5, v[68:69]
	v_mad_i64_i32 v[70:71], null, s8, s5, v[68:69]
	;; [unrolled: 1-line block ×7, first 2 shown]
	s_clause 0x3
	global_load_b128 v[49:52], v[41:42], off
	global_load_b128 v[53:56], v[41:42], off offset:16
	global_load_b128 v[41:44], v[45:46], off
	global_load_b128 v[45:48], v[45:46], off offset:16
	s_waitcnt vmcnt(18)
	v_wmma_f32_16x16x16_bf16 v[124:131], v[1:8], v[33:40], v[100:107]
	s_waitcnt vmcnt(16)
	v_wmma_f32_16x16x16_bf16 v[100:107], v[9:16], v[33:40], v[100:107]
	s_clause 0x1
	global_load_b128 v[33:36], v[70:71], off
	global_load_b128 v[37:40], v[70:71], off offset:16
	v_mad_i64_i32 v[70:71], null, s2, s5, v[68:69]
	s_waitcnt vmcnt(16)
	v_wmma_f32_16x16x16_bf16 v[124:131], v[17:24], v[108:115], v[124:131]
	s_waitcnt vmcnt(14)
	v_wmma_f32_16x16x16_bf16 v[100:107], v[25:32], v[108:115], v[100:107]
	s_clause 0x7
	global_load_b128 v[25:28], v[132:133], off
	global_load_b128 v[29:32], v[132:133], off offset:16
	global_load_b128 v[1:4], v[134:135], off
	global_load_b128 v[5:8], v[134:135], off offset:16
	;; [unrolled: 2-line block ×4, first 2 shown]
	s_waitcnt vmcnt(20)
	v_wmma_f32_16x16x16_bf16 v[124:131], v[57:64], v[116:123], v[124:131]
	s_clause 0x1
	global_load_b128 v[57:60], v[70:71], off
	global_load_b128 v[61:64], v[70:71], off offset:16
	s_waitcnt vmcnt(20)
	v_wmma_f32_16x16x16_bf16 v[100:107], v[76:83], v[116:123], v[100:107]
	ds_load_b128 v[76:79], v72 offset:6144
	ds_load_b128 v[80:83], v72 offset:7168
	v_and_b32_e32 v68, 0xe0, v0
	v_mbcnt_lo_u32_b32 v69, -1, 0
	s_waitcnt vmcnt(0) lgkmcnt(0)
	s_barrier
	buffer_gl0_inv
	v_add_nc_u32_e32 v68, s12, v68
	v_xor_b32_e32 v70, 16, v69
	s_delay_alu instid0(VALU_DEP_2) | instskip(NEXT) | instid1(VALU_DEP_2)
	v_or_b32_e32 v68, v68, v74
	v_cmp_gt_i32_e32 vcc_lo, 32, v70
	s_delay_alu instid0(VALU_DEP_2)
	v_or_b32_e32 v71, 4, v68
	v_or_b32_e32 v72, 6, v68
	v_cmp_gt_i32_e64 s2, s17, v68
	v_or_b32_e32 v108, 8, v68
	v_wmma_f32_16x16x16_bf16 v[124:131], v[84:91], v[76:83], v[124:131]
	v_cndmask_b32_e32 v69, v69, v70, vcc_lo
	v_or_b32_e32 v70, 2, v68
	v_wmma_f32_16x16x16_bf16 v[100:107], v[92:99], v[76:83], v[100:107]
	v_or_b32_e32 v109, 10, v68
	v_dual_mul_f32 v82, s18, v127 :: v_dual_mul_f32 v79, s18, v130
	v_dual_mul_f32 v92, s18, v125 :: v_dual_mul_f32 v93, s18, v124
	s_delay_alu instid0(VALU_DEP_4)
	v_mul_f32_e32 v98, s18, v103
	v_cmp_gt_i32_e32 vcc_lo, s17, v70
	v_or_b32_e32 v89, 22, v68
	v_dual_mul_f32 v83, s18, v126 :: v_dual_mul_f32 v96, s18, v105
	v_cndmask_b32_e64 v93, 0xff7fffff, v93, s2
	v_cndmask_b32_e32 v92, 0xff7fffff, v92, vcc_lo
	v_cmp_gt_i32_e64 s3, s17, v71
	v_cmp_gt_i32_e64 s4, s17, v72
	v_or_b32_e32 v84, 12, v68
	v_or_b32_e32 v85, 14, v68
	v_dual_mul_f32 v80, s18, v129 :: v_dual_mul_f32 v81, s18, v128
	v_mul_f32_e32 v94, s18, v107
	v_cndmask_b32_e64 v71, 0xff7fffff, v83, s3
	v_cndmask_b32_e64 v72, 0xff7fffff, v82, s4
	v_cmp_gt_i32_e64 s5, s17, v108
	v_cmp_gt_i32_e64 s6, s17, v109
	v_cmp_gt_i32_e64 s12, s17, v89
	v_lshlrev_b32_e32 v89, 2, v69
	v_max3_f32 v82, v93, 0xff7fffff, v92
	v_or_b32_e32 v86, 16, v68
	v_or_b32_e32 v87, 18, v68
	v_mul_f32_e32 v78, s18, v131
	v_cndmask_b32_e64 v81, 0xff7fffff, v81, s5
	v_cndmask_b32_e64 v80, 0xff7fffff, v80, s6
	v_max3_f32 v71, v82, v71, v72
	v_cmp_gt_i32_e64 s7, s17, v84
	v_cmp_gt_i32_e64 s8, s17, v85
	v_or_b32_e32 v88, 20, v68
	v_or_b32_e32 v90, 24, v68
	;; [unrolled: 1-line block ×5, first 2 shown]
	v_dual_mul_f32 v95, s18, v106 :: v_dual_mul_f32 v70, s18, v101
	v_dual_mul_f32 v99, s18, v102 :: v_dual_mul_f32 v68, s18, v100
	v_cndmask_b32_e64 v72, 0xff7fffff, v79, s7
	v_cndmask_b32_e64 v78, 0xff7fffff, v78, s8
	v_max3_f32 v71, v71, v81, v80
	v_cmp_gt_i32_e64 s9, s17, v86
	v_cmp_gt_i32_e64 s10, s17, v87
	;; [unrolled: 1-line block ×3, first 2 shown]
	v_mul_f32_e32 v97, s18, v104
	v_max3_f32 v71, v71, v72, v78
	v_cndmask_b32_e64 v68, 0xff7fffff, v68, s9
	v_cndmask_b32_e64 v70, 0xff7fffff, v70, s10
	;; [unrolled: 1-line block ×4, first 2 shown]
	v_cmp_gt_i32_e64 s13, s17, v90
	v_cmp_gt_i32_e64 s15, s17, v91
	v_max3_f32 v68, v71, v68, v70
	v_cmp_gt_i32_e64 s16, s17, v76
	v_cmp_gt_i32_e64 s17, s17, v77
	v_cndmask_b32_e64 v70, 0xff7fffff, v97, s13
	v_cndmask_b32_e64 v71, 0xff7fffff, v96, s15
	v_max3_f32 v68, v68, v72, v78
	v_cndmask_b32_e64 v72, 0xff7fffff, v95, s16
	v_cndmask_b32_e64 v76, 0xff7fffff, v94, s17
	s_delay_alu instid0(VALU_DEP_3) | instskip(NEXT) | instid1(VALU_DEP_1)
	v_max3_f32 v68, v68, v70, v71
	v_max3_f32 v68, v68, v72, v76
	ds_bpermute_b32 v69, v89, v68
	s_waitcnt lgkmcnt(0)
	v_max_f32_e32 v69, v69, v69
	s_delay_alu instid0(VALU_DEP_1) | instskip(NEXT) | instid1(VALU_DEP_1)
	v_max_f32_e32 v68, v68, v69
	v_fma_f32 v69, s18, v124, -v68
	v_fma_f32 v70, s18, v125, -v68
	;; [unrolled: 1-line block ×5, first 2 shown]
	s_delay_alu instid0(VALU_DEP_4) | instskip(NEXT) | instid1(VALU_DEP_4)
	v_dual_mul_f32 v69, 0x3fb8aa3b, v69 :: v_dual_mul_f32 v70, 0x3fb8aa3b, v70
	v_mul_f32_e32 v72, 0x3fb8aa3b, v72
	v_fma_f32 v78, s18, v130, -v68
	s_delay_alu instid0(VALU_DEP_4) | instskip(NEXT) | instid1(VALU_DEP_4)
	v_mul_f32_e32 v77, 0x3fb8aa3b, v76
	v_exp_f32_e32 v69, v69
	v_exp_f32_e32 v70, v70
	v_mul_f32_e32 v71, 0x3fb8aa3b, v71
	v_exp_f32_e32 v72, v72
	v_mul_f32_e32 v78, 0x3fb8aa3b, v78
	v_exp_f32_e32 v77, v77
	v_fma_f32 v81, s18, v105, -v68
	s_delay_alu instid0(VALU_DEP_2)
	v_exp_f32_e32 v78, v78
	v_cndmask_b32_e64 v80, 0, v69, s2
	v_cndmask_b32_e32 v76, 0, v70, vcc_lo
	v_exp_f32_e32 v71, v71
	v_fma_f32 v69, s18, v129, -v68
	v_cndmask_b32_e64 v85, 0, v72, s4
	v_add_f32_e32 v70, 0, v80
	s_delay_alu instid0(TRANS32_DEP_3)
	v_cndmask_b32_e64 v86, 0, v77, s5
	v_fma_f32 v77, s18, v101, -v68
	v_mul_f32_e32 v69, 0x3fb8aa3b, v69
	v_fma_f32 v72, s18, v100, -v68
	v_cndmask_b32_e64 v84, 0, v78, s7
	v_fma_f32 v78, s18, v103, -v68
	v_cndmask_b32_e64 v83, 0, v71, s3
	v_fma_f32 v71, s18, v131, -v68
	v_add_f32_e32 v70, v70, v76
	v_exp_f32_e32 v69, v69
	v_mul_f32_e32 v77, 0x3fb8aa3b, v77
	v_mul_f32_e32 v81, 0x3fb8aa3b, v81
	;; [unrolled: 1-line block ×3, first 2 shown]
	v_add_f32_e32 v70, v70, v83
	v_cmp_gt_u32_e64 s2, 16, v67
	v_exp_f32_e32 v77, v77
	v_exp_f32_e32 v81, v81
	v_exp_f32_e32 v71, v71
	v_cndmask_b32_e64 v87, 0, v69, s6
	v_add_f32_e32 v70, v70, v85
	s_delay_alu instid0(VALU_DEP_1) | instskip(SKIP_1) | instid1(VALU_DEP_2)
	v_dual_mul_f32 v72, 0x3fb8aa3b, v72 :: v_dual_add_f32 v69, v70, v86
	v_fma_f32 v70, s18, v102, -v68
	v_exp_f32_e32 v72, v72
	s_waitcnt_depctr 0xfff
	v_cndmask_b32_e64 v88, 0, v71, s8
	v_fma_f32 v71, s18, v104, -v68
	v_dual_add_f32 v69, v69, v87 :: v_dual_mul_f32 v70, 0x3fb8aa3b, v70
	s_delay_alu instid0(VALU_DEP_2) | instskip(NEXT) | instid1(VALU_DEP_2)
	v_dual_mul_f32 v78, 0x3fb8aa3b, v78 :: v_dual_mul_f32 v71, 0x3fb8aa3b, v71
	v_add_f32_e32 v69, v69, v84
	s_delay_alu instid0(VALU_DEP_3) | instskip(SKIP_1) | instid1(VALU_DEP_3)
	v_exp_f32_e32 v79, v70
	v_cndmask_b32_e64 v70, 0, v72, s9
	v_exp_f32_e32 v78, v78
	v_exp_f32_e32 v82, v71
	v_add_f32_e32 v72, v69, v88
	v_cndmask_b32_e64 v69, 0, v77, s10
	v_fma_f32 v77, s18, v106, -v68
	s_delay_alu instid0(VALU_DEP_3) | instskip(NEXT) | instid1(TRANS32_DEP_3)
	v_add_f32_e32 v72, v72, v70
	v_cndmask_b32_e64 v71, 0, v79, s11
	s_delay_alu instid0(VALU_DEP_3) | instskip(NEXT) | instid1(VALU_DEP_3)
	v_mul_f32_e32 v77, 0x3fb8aa3b, v77
	v_add_f32_e32 v79, v72, v69
	s_delay_alu instid0(TRANS32_DEP_2) | instskip(NEXT) | instid1(VALU_DEP_3)
	v_cndmask_b32_e64 v72, 0, v78, s12
	v_exp_f32_e32 v90, v77
	v_cndmask_b32_e64 v77, 0, v82, s13
	s_delay_alu instid0(VALU_DEP_3) | instskip(SKIP_1) | instid1(VALU_DEP_1)
	v_add_f32_e32 v78, v79, v71
	v_fma_f32 v79, s18, v107, -v68
	v_dual_add_f32 v82, v78, v72 :: v_dual_mul_f32 v79, 0x3fb8aa3b, v79
	v_cndmask_b32_e64 v78, 0, v81, s15
	s_delay_alu instid0(VALU_DEP_2) | instskip(NEXT) | instid1(VALU_DEP_3)
	v_add_f32_e32 v81, v82, v77
	v_exp_f32_e32 v82, v79
	s_delay_alu instid0(TRANS32_DEP_2) | instskip(NEXT) | instid1(VALU_DEP_2)
	v_cndmask_b32_e64 v79, 0, v90, s16
	v_add_f32_e32 v81, v81, v78
	s_delay_alu instid0(VALU_DEP_1) | instskip(SKIP_2) | instid1(VALU_DEP_1)
	v_add_f32_e32 v90, v81, v79
	s_waitcnt_depctr 0xfff
	v_cndmask_b32_e64 v81, 0, v82, s17
	v_add_f32_e32 v82, v90, v81
	ds_bpermute_b32 v89, v89, v82
	s_and_saveexec_b32 s3, s2
	s_cbranch_execz .LBB1534_12
; %bb.11:
	v_mul_u32_u24_e32 v67, 0x44, v66
	s_delay_alu instid0(VALU_DEP_1) | instskip(SKIP_1) | instid1(VALU_DEP_1)
	v_lshl_add_u32 v67, v65, 2, v67
	s_waitcnt lgkmcnt(0)
	v_dual_add_f32 v82, v82, v89 :: v_dual_add_nc_u32 v67, 0x4000, v67
	ds_store_2addr_b32 v67, v68, v82 offset1:136
.LBB1534_12:
	s_or_b32 exec_lo, exec_lo, s3
	v_lshlrev_b32_e32 v67, 2, v65
	s_waitcnt lgkmcnt(0)
	s_barrier
	buffer_gl0_inv
	v_cmp_eq_u32_e32 vcc_lo, 1, v66
	v_add_nc_u32_e32 v82, 0x4000, v67
	v_cmp_eq_u32_e64 s3, 2, v66
	v_cmp_eq_u32_e64 s5, 7, v66
	ds_load_2addr_b32 v[89:90], v82 offset1:17
	ds_load_2addr_b32 v[91:92], v82 offset0:34 offset1:51
	ds_load_2addr_b32 v[93:94], v82 offset0:68 offset1:85
	;; [unrolled: 1-line block ×4, first 2 shown]
	s_waitcnt lgkmcnt(4)
	v_max3_f32 v67, v89, 0xff7fffff, v90
	s_waitcnt lgkmcnt(3)
	s_delay_alu instid0(VALU_DEP_1) | instskip(SKIP_1) | instid1(VALU_DEP_1)
	v_max3_f32 v67, v67, v91, v92
	s_waitcnt lgkmcnt(2)
	v_max3_f32 v67, v67, v93, v94
	s_waitcnt lgkmcnt(1)
	s_delay_alu instid0(VALU_DEP_1) | instskip(NEXT) | instid1(VALU_DEP_1)
	v_max3_f32 v67, v67, v95, v96
	v_sub_f32_e32 v93, v93, v67
	s_delay_alu instid0(VALU_DEP_1) | instskip(NEXT) | instid1(VALU_DEP_1)
	v_dual_sub_f32 v68, v89, v67 :: v_dual_mul_f32 v103, 0x3fb8aa3b, v93
	v_mul_f32_e32 v68, 0x3fb8aa3b, v68
	s_delay_alu instid0(VALU_DEP_1)
	v_exp_f32_e32 v100, v68
	v_sub_f32_e32 v68, v92, v67
	v_sub_f32_e32 v99, v90, v67
	ds_load_2addr_b32 v[89:90], v82 offset0:170 offset1:187
	v_dual_mul_f32 v102, 0x3fb8aa3b, v68 :: v_dual_mul_f32 v99, 0x3fb8aa3b, v99
	s_waitcnt lgkmcnt(1)
	v_fma_f32 v68, v100, v97, 0
	s_delay_alu instid0(VALU_DEP_2) | instskip(NEXT) | instid1(VALU_DEP_2)
	v_exp_f32_e32 v102, v102
	v_exp_f32_e32 v99, v99
	s_waitcnt_depctr 0xfff
	v_fmac_f32_e32 v68, v99, v98
	v_sub_f32_e32 v91, v91, v67
	s_delay_alu instid0(VALU_DEP_1)
	v_mul_f32_e32 v101, 0x3fb8aa3b, v91
	ds_load_2addr_b32 v[91:92], v82 offset0:204 offset1:221
	v_sub_f32_e32 v97, v94, v67
	ds_load_2addr_b32 v[93:94], v82 offset0:238 offset1:255
	s_waitcnt lgkmcnt(0)
	v_exp_f32_e32 v101, v101
	s_barrier
	buffer_gl0_inv
	v_dual_fmac_f32 v68, v101, v89 :: v_dual_sub_f32 v89, v96, v67
	v_dual_sub_f32 v82, v95, v67 :: v_dual_mul_f32 v95, 0x3fb8aa3b, v97
	v_exp_f32_e32 v97, v103
	s_delay_alu instid0(VALU_DEP_2) | instskip(NEXT) | instid1(VALU_DEP_2)
	v_dual_fmac_f32 v68, v102, v90 :: v_dual_mul_f32 v89, 0x3fb8aa3b, v89
	v_mul_f32_e32 v82, 0x3fb8aa3b, v82
	s_delay_alu instid0(VALU_DEP_3) | instskip(NEXT) | instid1(VALU_DEP_2)
	v_exp_f32_e32 v95, v95
	v_exp_f32_e32 v89, v89
	s_delay_alu instid0(VALU_DEP_1)
	v_exp_f32_e32 v82, v82
	v_fmac_f32_e32 v68, v97, v91
	s_delay_alu instid0(TRANS32_DEP_3) | instid1(VALU_DEP_1)
	v_fmac_f32_e32 v68, v95, v92
	s_waitcnt_depctr 0xfff
	v_fmac_f32_e32 v68, v82, v93
	s_delay_alu instid0(VALU_DEP_1) | instskip(NEXT) | instid1(VALU_DEP_1)
	v_fmac_f32_e32 v68, v89, v94
	v_add_f32_e32 v90, 0x358637bd, v68
	s_delay_alu instid0(VALU_DEP_1) | instskip(NEXT) | instid1(VALU_DEP_1)
	v_div_scale_f32 v91, null, v90, v90, 1.0
	v_rcp_f32_e32 v92, v91
	s_waitcnt_depctr 0xfff
	v_fma_f32 v93, -v91, v92, 1.0
	s_delay_alu instid0(VALU_DEP_1) | instskip(SKIP_1) | instid1(VALU_DEP_2)
	v_dual_fmac_f32 v92, v93, v92 :: v_dual_cndmask_b32 v93, v100, v99
	v_cmp_eq_u32_e32 vcc_lo, 3, v66
	v_cndmask_b32_e64 v93, v93, v101, s3
	v_cmp_eq_u32_e64 s3, 4, v66
	s_delay_alu instid0(VALU_DEP_2) | instskip(SKIP_1) | instid1(VALU_DEP_2)
	v_cndmask_b32_e32 v93, v93, v102, vcc_lo
	v_cmp_eq_u32_e32 vcc_lo, 5, v66
	v_cndmask_b32_e64 v93, v93, v97, s3
	v_cmp_eq_u32_e64 s3, 6, v66
	s_delay_alu instid0(VALU_DEP_2) | instskip(SKIP_1) | instid1(VALU_DEP_1)
	v_cndmask_b32_e32 v93, v93, v95, vcc_lo
	v_div_scale_f32 v94, s4, 1.0, v90, 1.0
	s_mov_b32 vcc_lo, s4
	s_delay_alu instid0(VALU_DEP_2) | instskip(NEXT) | instid1(VALU_DEP_2)
	v_cndmask_b32_e64 v82, v93, v82, s3
	v_mul_f32_e32 v96, v94, v92
	s_mov_b32 s3, exec_lo
	s_delay_alu instid0(VALU_DEP_2) | instskip(NEXT) | instid1(VALU_DEP_2)
	v_cndmask_b32_e64 v82, v82, v89, s5
	v_fma_f32 v98, -v91, v96, v94
	s_delay_alu instid0(VALU_DEP_1) | instskip(NEXT) | instid1(VALU_DEP_1)
	v_fmac_f32_e32 v96, v98, v92
	v_fma_f32 v91, -v91, v96, v94
	s_delay_alu instid0(VALU_DEP_1) | instskip(NEXT) | instid1(VALU_DEP_1)
	v_div_fmas_f32 v91, v91, v92, v96
	v_div_fixup_f32 v90, v91, v90, 1.0
	s_delay_alu instid0(VALU_DEP_1) | instskip(NEXT) | instid1(VALU_DEP_1)
	v_mul_f32_e32 v82, v82, v90
	v_mul_f32_e32 v87, v82, v87
	;; [unrolled: 1-line block ×7, first 2 shown]
	v_dual_mul_f32 v86, v82, v83 :: v_dual_and_b32 v91, 0x7f800000, v90
	v_mul_f32_e32 v85, v82, v76
                                        ; implicit-def: $vgpr76
	s_delay_alu instid0(VALU_DEP_2)
	v_cmpx_ne_u32_e32 0x7f800000, v91
	s_xor_b32 s3, exec_lo, s3
; %bb.13:
	v_bfe_u32 v76, v90, 16, 1
	s_delay_alu instid0(VALU_DEP_1)
	v_add3_u32 v76, v90, v76, 0x7fff
                                        ; implicit-def: $vgpr90
; %bb.14:
	s_and_not1_saveexec_b32 s3, s3
; %bb.15:
	v_and_b32_e32 v76, 0xffff, v90
	v_or_b32_e32 v83, 0x10000, v90
	s_delay_alu instid0(VALU_DEP_2) | instskip(NEXT) | instid1(VALU_DEP_2)
	v_cmp_eq_u32_e32 vcc_lo, 0, v76
	v_cndmask_b32_e32 v76, v83, v90, vcc_lo
; %bb.16:
	s_or_b32 exec_lo, exec_lo, s3
	v_and_b32_e32 v83, 0x7f800000, v85
	s_delay_alu instid0(VALU_DEP_1) | instskip(SKIP_1) | instid1(SALU_CYCLE_1)
	v_cmp_ne_u32_e32 vcc_lo, 0x7f800000, v83
                                        ; implicit-def: $vgpr83
	s_and_saveexec_b32 s3, vcc_lo
	s_xor_b32 s3, exec_lo, s3
; %bb.17:
	v_bfe_u32 v83, v85, 16, 1
	s_delay_alu instid0(VALU_DEP_1)
	v_add3_u32 v83, v85, v83, 0x7fff
                                        ; implicit-def: $vgpr85
; %bb.18:
	s_and_not1_saveexec_b32 s3, s3
; %bb.19:
	v_and_b32_e32 v83, 0xffff, v85
	v_or_b32_e32 v90, 0x10000, v85
	s_delay_alu instid0(VALU_DEP_2) | instskip(NEXT) | instid1(VALU_DEP_2)
	v_cmp_eq_u32_e32 vcc_lo, 0, v83
	v_cndmask_b32_e32 v83, v90, v85, vcc_lo
; %bb.20:
	s_or_b32 exec_lo, exec_lo, s3
	v_and_b32_e32 v85, 0x7f800000, v86
	s_delay_alu instid0(VALU_DEP_1) | instskip(SKIP_1) | instid1(SALU_CYCLE_1)
	v_cmp_ne_u32_e32 vcc_lo, 0x7f800000, v85
                                        ; implicit-def: $vgpr85
	s_and_saveexec_b32 s3, vcc_lo
	s_xor_b32 s3, exec_lo, s3
; %bb.21:
	v_bfe_u32 v85, v86, 16, 1
	s_delay_alu instid0(VALU_DEP_1)
	v_add3_u32 v85, v86, v85, 0x7fff
                                        ; implicit-def: $vgpr86
; %bb.22:
	s_and_not1_saveexec_b32 s3, s3
; %bb.23:
	v_and_b32_e32 v85, 0xffff, v86
	v_or_b32_e32 v90, 0x10000, v86
	s_delay_alu instid0(VALU_DEP_2) | instskip(NEXT) | instid1(VALU_DEP_2)
	v_cmp_eq_u32_e32 vcc_lo, 0, v85
	v_cndmask_b32_e32 v85, v90, v86, vcc_lo
; %bb.24:
	s_or_b32 exec_lo, exec_lo, s3
	v_and_b32_e32 v86, 0x7f800000, v89
	s_delay_alu instid0(VALU_DEP_1) | instskip(SKIP_1) | instid1(SALU_CYCLE_1)
	v_cmp_ne_u32_e32 vcc_lo, 0x7f800000, v86
                                        ; implicit-def: $vgpr86
	s_and_saveexec_b32 s3, vcc_lo
	s_xor_b32 s3, exec_lo, s3
; %bb.25:
	v_bfe_u32 v86, v89, 16, 1
	s_delay_alu instid0(VALU_DEP_1)
	v_add3_u32 v86, v89, v86, 0x7fff
                                        ; implicit-def: $vgpr89
; %bb.26:
	s_and_not1_saveexec_b32 s3, s3
; %bb.27:
	v_and_b32_e32 v86, 0xffff, v89
	v_or_b32_e32 v90, 0x10000, v89
	s_delay_alu instid0(VALU_DEP_2) | instskip(NEXT) | instid1(VALU_DEP_2)
	v_cmp_eq_u32_e32 vcc_lo, 0, v86
	v_cndmask_b32_e32 v86, v90, v89, vcc_lo
; %bb.28:
	s_or_b32 exec_lo, exec_lo, s3
	v_and_b32_e32 v89, 0x7f800000, v88
	s_delay_alu instid0(VALU_DEP_1) | instskip(SKIP_1) | instid1(SALU_CYCLE_1)
	v_cmp_ne_u32_e32 vcc_lo, 0x7f800000, v89
                                        ; implicit-def: $vgpr89
	s_and_saveexec_b32 s3, vcc_lo
	s_xor_b32 s3, exec_lo, s3
; %bb.29:
	v_bfe_u32 v89, v88, 16, 1
	s_delay_alu instid0(VALU_DEP_1)
	v_add3_u32 v89, v88, v89, 0x7fff
                                        ; implicit-def: $vgpr88
; %bb.30:
	s_and_not1_saveexec_b32 s3, s3
; %bb.31:
	v_and_b32_e32 v89, 0xffff, v88
	v_or_b32_e32 v90, 0x10000, v88
	s_delay_alu instid0(VALU_DEP_2) | instskip(NEXT) | instid1(VALU_DEP_2)
	v_cmp_eq_u32_e32 vcc_lo, 0, v89
	v_cndmask_b32_e32 v89, v90, v88, vcc_lo
; %bb.32:
	s_or_b32 exec_lo, exec_lo, s3
	v_and_b32_e32 v88, 0x7f800000, v87
	s_delay_alu instid0(VALU_DEP_1) | instskip(SKIP_1) | instid1(SALU_CYCLE_1)
	v_cmp_ne_u32_e32 vcc_lo, 0x7f800000, v88
                                        ; implicit-def: $vgpr88
	s_and_saveexec_b32 s3, vcc_lo
	s_xor_b32 s3, exec_lo, s3
; %bb.33:
	v_bfe_u32 v88, v87, 16, 1
	s_delay_alu instid0(VALU_DEP_1)
	v_add3_u32 v88, v87, v88, 0x7fff
                                        ; implicit-def: $vgpr87
; %bb.34:
	s_and_not1_saveexec_b32 s3, s3
; %bb.35:
	v_and_b32_e32 v88, 0xffff, v87
	v_or_b32_e32 v90, 0x10000, v87
	s_delay_alu instid0(VALU_DEP_2) | instskip(NEXT) | instid1(VALU_DEP_2)
	v_cmp_eq_u32_e32 vcc_lo, 0, v88
	v_cndmask_b32_e32 v88, v90, v87, vcc_lo
; %bb.36:
	s_or_b32 exec_lo, exec_lo, s3
	v_and_b32_e32 v87, 0x7f800000, v84
	s_delay_alu instid0(VALU_DEP_1) | instskip(SKIP_1) | instid1(SALU_CYCLE_1)
	v_cmp_ne_u32_e32 vcc_lo, 0x7f800000, v87
                                        ; implicit-def: $vgpr87
	s_and_saveexec_b32 s3, vcc_lo
	s_xor_b32 s3, exec_lo, s3
; %bb.37:
	v_bfe_u32 v87, v84, 16, 1
	s_delay_alu instid0(VALU_DEP_1)
	v_add3_u32 v87, v84, v87, 0x7fff
                                        ; implicit-def: $vgpr84
; %bb.38:
	s_and_not1_saveexec_b32 s3, s3
; %bb.39:
	v_and_b32_e32 v87, 0xffff, v84
	v_or_b32_e32 v90, 0x10000, v84
	s_delay_alu instid0(VALU_DEP_2) | instskip(NEXT) | instid1(VALU_DEP_2)
	v_cmp_eq_u32_e32 vcc_lo, 0, v87
	v_cndmask_b32_e32 v87, v90, v84, vcc_lo
; %bb.40:
	s_or_b32 exec_lo, exec_lo, s3
	v_and_b32_e32 v84, 0x7f800000, v80
	s_delay_alu instid0(VALU_DEP_1) | instskip(SKIP_1) | instid1(SALU_CYCLE_1)
	v_cmp_ne_u32_e32 vcc_lo, 0x7f800000, v84
                                        ; implicit-def: $vgpr84
	s_and_saveexec_b32 s3, vcc_lo
	s_xor_b32 s3, exec_lo, s3
; %bb.41:
	v_bfe_u32 v84, v80, 16, 1
	s_delay_alu instid0(VALU_DEP_1)
	v_add3_u32 v84, v80, v84, 0x7fff
                                        ; implicit-def: $vgpr80
; %bb.42:
	s_and_not1_saveexec_b32 s3, s3
; %bb.43:
	v_and_b32_e32 v84, 0xffff, v80
	v_or_b32_e32 v90, 0x10000, v80
	s_delay_alu instid0(VALU_DEP_2) | instskip(NEXT) | instid1(VALU_DEP_2)
	v_cmp_eq_u32_e32 vcc_lo, 0, v84
	v_cndmask_b32_e32 v84, v90, v80, vcc_lo
; %bb.44:
	s_or_b32 exec_lo, exec_lo, s3
	s_load_b64 s[34:35], s[0:1], 0x94
	v_lshlrev_b32_e32 v91, 4, v74
	s_delay_alu instid0(VALU_DEP_2)
	v_perm_b32 v90, v84, v87, 0x7060302
	v_dual_mul_f32 v79, v82, v79 :: v_dual_lshlrev_b32 v80, 6, v65
	v_dual_mul_f32 v77, v82, v77 :: v_dual_lshlrev_b32 v92, 11, v66
	v_mul_f32_e32 v84, v82, v70
	v_perm_b32 v89, v88, v89, 0x7060302
	v_perm_b32 v88, v86, v85, 0x7060302
	;; [unrolled: 1-line block ×3, first 2 shown]
	v_mul_f32_e32 v70, v82, v81
	v_or3_b32 v76, v91, v92, v80
	v_dual_mul_f32 v78, v82, v78 :: v_dual_and_b32 v85, 0x7f800000, v84
	v_mul_f32_e32 v83, v82, v72
	v_mul_f32_e32 v81, v82, v71
	;; [unrolled: 1-line block ×3, first 2 shown]
	s_mov_b32 s3, exec_lo
	ds_store_b128 v76, v[87:90]
                                        ; implicit-def: $vgpr69
	v_cmpx_ne_u32_e32 0x7f800000, v85
	s_xor_b32 s3, exec_lo, s3
; %bb.45:
	v_bfe_u32 v69, v84, 16, 1
	s_delay_alu instid0(VALU_DEP_1)
	v_add3_u32 v69, v84, v69, 0x7fff
                                        ; implicit-def: $vgpr84
; %bb.46:
	s_and_not1_saveexec_b32 s3, s3
; %bb.47:
	v_and_b32_e32 v69, 0xffff, v84
	v_or_b32_e32 v71, 0x10000, v84
	s_delay_alu instid0(VALU_DEP_2) | instskip(NEXT) | instid1(VALU_DEP_2)
	v_cmp_eq_u32_e32 vcc_lo, 0, v69
	v_cndmask_b32_e32 v69, v71, v84, vcc_lo
; %bb.48:
	s_or_b32 exec_lo, exec_lo, s3
	v_and_b32_e32 v71, 0x7f800000, v72
	s_delay_alu instid0(VALU_DEP_1) | instskip(SKIP_1) | instid1(SALU_CYCLE_1)
	v_cmp_ne_u32_e32 vcc_lo, 0x7f800000, v71
                                        ; implicit-def: $vgpr71
	s_and_saveexec_b32 s3, vcc_lo
	s_xor_b32 s3, exec_lo, s3
; %bb.49:
	v_bfe_u32 v71, v72, 16, 1
	s_delay_alu instid0(VALU_DEP_1)
	v_add3_u32 v71, v72, v71, 0x7fff
                                        ; implicit-def: $vgpr72
; %bb.50:
	s_and_not1_saveexec_b32 s3, s3
; %bb.51:
	v_and_b32_e32 v71, 0xffff, v72
	v_or_b32_e32 v82, 0x10000, v72
	s_delay_alu instid0(VALU_DEP_2) | instskip(NEXT) | instid1(VALU_DEP_2)
	v_cmp_eq_u32_e32 vcc_lo, 0, v71
	v_cndmask_b32_e32 v71, v82, v72, vcc_lo
; %bb.52:
	s_or_b32 exec_lo, exec_lo, s3
	v_and_b32_e32 v72, 0x7f800000, v81
	s_delay_alu instid0(VALU_DEP_1) | instskip(SKIP_1) | instid1(SALU_CYCLE_1)
	v_cmp_ne_u32_e32 vcc_lo, 0x7f800000, v72
                                        ; implicit-def: $vgpr72
	s_and_saveexec_b32 s3, vcc_lo
	s_xor_b32 s3, exec_lo, s3
; %bb.53:
	v_bfe_u32 v72, v81, 16, 1
	s_delay_alu instid0(VALU_DEP_1)
	v_add3_u32 v72, v81, v72, 0x7fff
                                        ; implicit-def: $vgpr81
; %bb.54:
	s_and_not1_saveexec_b32 s3, s3
; %bb.55:
	v_and_b32_e32 v72, 0xffff, v81
	v_or_b32_e32 v82, 0x10000, v81
	s_delay_alu instid0(VALU_DEP_2) | instskip(NEXT) | instid1(VALU_DEP_2)
	v_cmp_eq_u32_e32 vcc_lo, 0, v72
	v_cndmask_b32_e32 v72, v82, v81, vcc_lo
; %bb.56:
	s_or_b32 exec_lo, exec_lo, s3
	v_and_b32_e32 v81, 0x7f800000, v83
	s_delay_alu instid0(VALU_DEP_1) | instskip(SKIP_1) | instid1(SALU_CYCLE_1)
	v_cmp_ne_u32_e32 vcc_lo, 0x7f800000, v81
                                        ; implicit-def: $vgpr81
	s_and_saveexec_b32 s3, vcc_lo
	s_xor_b32 s3, exec_lo, s3
; %bb.57:
	v_bfe_u32 v81, v83, 16, 1
	s_delay_alu instid0(VALU_DEP_1)
	v_add3_u32 v81, v83, v81, 0x7fff
                                        ; implicit-def: $vgpr83
; %bb.58:
	s_and_not1_saveexec_b32 s3, s3
; %bb.59:
	v_and_b32_e32 v81, 0xffff, v83
	v_or_b32_e32 v82, 0x10000, v83
	s_delay_alu instid0(VALU_DEP_2) | instskip(NEXT) | instid1(VALU_DEP_2)
	v_cmp_eq_u32_e32 vcc_lo, 0, v81
	v_cndmask_b32_e32 v81, v82, v83, vcc_lo
; %bb.60:
	s_or_b32 exec_lo, exec_lo, s3
	v_and_b32_e32 v82, 0x7f800000, v77
	s_delay_alu instid0(VALU_DEP_1) | instskip(SKIP_1) | instid1(SALU_CYCLE_1)
	v_cmp_ne_u32_e32 vcc_lo, 0x7f800000, v82
                                        ; implicit-def: $vgpr82
	s_and_saveexec_b32 s3, vcc_lo
	s_xor_b32 s3, exec_lo, s3
; %bb.61:
	v_bfe_u32 v82, v77, 16, 1
	s_delay_alu instid0(VALU_DEP_1)
	v_add3_u32 v82, v77, v82, 0x7fff
                                        ; implicit-def: $vgpr77
; %bb.62:
	s_and_not1_saveexec_b32 s3, s3
; %bb.63:
	v_and_b32_e32 v82, 0xffff, v77
	v_or_b32_e32 v83, 0x10000, v77
	s_delay_alu instid0(VALU_DEP_2) | instskip(NEXT) | instid1(VALU_DEP_2)
	v_cmp_eq_u32_e32 vcc_lo, 0, v82
	v_cndmask_b32_e32 v82, v83, v77, vcc_lo
; %bb.64:
	s_or_b32 exec_lo, exec_lo, s3
	v_and_b32_e32 v77, 0x7f800000, v78
	s_delay_alu instid0(VALU_DEP_1) | instskip(SKIP_1) | instid1(SALU_CYCLE_1)
	v_cmp_ne_u32_e32 vcc_lo, 0x7f800000, v77
                                        ; implicit-def: $vgpr77
	s_and_saveexec_b32 s3, vcc_lo
	s_xor_b32 s3, exec_lo, s3
; %bb.65:
	v_bfe_u32 v77, v78, 16, 1
	s_delay_alu instid0(VALU_DEP_1)
	v_add3_u32 v77, v78, v77, 0x7fff
                                        ; implicit-def: $vgpr78
; %bb.66:
	s_and_not1_saveexec_b32 s3, s3
; %bb.67:
	v_and_b32_e32 v77, 0xffff, v78
	v_or_b32_e32 v83, 0x10000, v78
	s_delay_alu instid0(VALU_DEP_2) | instskip(NEXT) | instid1(VALU_DEP_2)
	v_cmp_eq_u32_e32 vcc_lo, 0, v77
	v_cndmask_b32_e32 v77, v83, v78, vcc_lo
; %bb.68:
	s_or_b32 exec_lo, exec_lo, s3
	v_and_b32_e32 v78, 0x7f800000, v79
	s_delay_alu instid0(VALU_DEP_1) | instskip(SKIP_1) | instid1(SALU_CYCLE_1)
	v_cmp_ne_u32_e32 vcc_lo, 0x7f800000, v78
                                        ; implicit-def: $vgpr78
	s_and_saveexec_b32 s3, vcc_lo
	s_xor_b32 s3, exec_lo, s3
; %bb.69:
	v_bfe_u32 v78, v79, 16, 1
	s_delay_alu instid0(VALU_DEP_1)
	v_add3_u32 v78, v79, v78, 0x7fff
                                        ; implicit-def: $vgpr79
; %bb.70:
	s_and_not1_saveexec_b32 s3, s3
; %bb.71:
	v_and_b32_e32 v78, 0xffff, v79
	v_or_b32_e32 v83, 0x10000, v79
	s_delay_alu instid0(VALU_DEP_2) | instskip(NEXT) | instid1(VALU_DEP_2)
	v_cmp_eq_u32_e32 vcc_lo, 0, v78
	v_cndmask_b32_e32 v78, v83, v79, vcc_lo
; %bb.72:
	s_or_b32 exec_lo, exec_lo, s3
	v_and_b32_e32 v79, 0x7f800000, v70
	s_delay_alu instid0(VALU_DEP_1) | instskip(SKIP_1) | instid1(SALU_CYCLE_1)
	v_cmp_ne_u32_e32 vcc_lo, 0x7f800000, v79
                                        ; implicit-def: $vgpr79
	s_and_saveexec_b32 s3, vcc_lo
	s_xor_b32 s3, exec_lo, s3
; %bb.73:
	v_bfe_u32 v79, v70, 16, 1
	s_delay_alu instid0(VALU_DEP_1)
	v_add3_u32 v79, v70, v79, 0x7fff
                                        ; implicit-def: $vgpr70
; %bb.74:
	s_and_not1_saveexec_b32 s3, s3
; %bb.75:
	v_and_b32_e32 v79, 0xffff, v70
	v_or_b32_e32 v83, 0x10000, v70
	s_delay_alu instid0(VALU_DEP_2) | instskip(NEXT) | instid1(VALU_DEP_2)
	v_cmp_eq_u32_e32 vcc_lo, 0, v79
	v_cndmask_b32_e32 v79, v83, v70, vcc_lo
; %bb.76:
	s_or_b32 exec_lo, exec_lo, s3
	s_delay_alu instid0(VALU_DEP_1)
	v_perm_b32 v86, v79, v78, 0x7060302
	v_perm_b32 v85, v77, v82, 0x7060302
	;; [unrolled: 1-line block ×4, first 2 shown]
	v_lshl_or_b32 v82, v66, 11, v80
	ds_store_b128 v76, v[83:86] offset:1024
	s_waitcnt lgkmcnt(0)
	s_barrier
	buffer_gl0_inv
	ds_load_b128 v[69:72], v82
	ds_load_b128 v[83:86], v82 offset:16
	s_waitcnt lgkmcnt(1)
	v_lshrrev_b32_e32 v66, 16, v69
	s_waitcnt lgkmcnt(0)
	v_lshrrev_b32_e32 v91, 16, v83
	v_lshlrev_b32_e32 v78, 2, v74
	v_lshrrev_b32_e32 v95, 16, v70
	v_lshrrev_b32_e32 v98, 16, v84
	;; [unrolled: 1-line block ×4, first 2 shown]
	v_cmp_eq_u32_e32 vcc_lo, 1, v78
	v_lshrrev_b32_e32 v97, 16, v72
	v_lshrrev_b32_e32 v100, 16, v86
	v_cndmask_b32_e32 v87, v83, v91, vcc_lo
	v_or_b32_e32 v79, 1, v78
	v_cndmask_b32_e32 v81, v69, v66, vcc_lo
	v_cmp_eq_u32_e64 s4, 2, v78
	v_cmp_eq_u32_e64 s7, 3, v78
	;; [unrolled: 1-line block ×5, first 2 shown]
	v_cndmask_b32_e64 v81, v81, v70, s4
	v_cndmask_b32_e64 v87, v87, v84, s4
	v_cmp_eq_u32_e64 s8, 3, v79
	v_cndmask_b32_e64 v88, v69, v66, s3
	v_or_b32_e32 v77, 2, v78
	v_cndmask_b32_e64 v81, v81, v95, s7
	v_cndmask_b32_e64 v87, v87, v98, s7
	;; [unrolled: 1-line block ×4, first 2 shown]
	v_cmp_eq_u32_e64 s10, 5, v78
	v_cndmask_b32_e64 v81, v81, v71, s9
	v_cndmask_b32_e64 v87, v87, v85, s9
	v_cmp_eq_u32_e64 s11, 4, v79
	v_cndmask_b32_e64 v88, v88, v95, s8
	v_cmp_eq_u32_e64 s5, 1, v77
	v_cndmask_b32_e64 v89, v89, v84, s6
	v_cndmask_b32_e64 v81, v81, v96, s10
	v_cmp_eq_u32_e64 s12, 6, v78
	v_cndmask_b32_e64 v88, v88, v71, s11
	;; [unrolled: 3-line block ×3, first 2 shown]
	v_cndmask_b32_e64 v89, v89, v98, s8
	v_cndmask_b32_e64 v81, v81, v72, s12
	v_cmp_eq_u32_e64 s15, 7, v78
	v_cndmask_b32_e64 v88, v88, v96, s13
	v_cndmask_b32_e64 v87, v87, v86, s12
	v_cmp_eq_u32_e64 s16, 6, v79
	v_cmp_eq_u32_e64 s17, 2, v77
	v_cndmask_b32_e64 v89, v89, v85, s11
	v_cndmask_b32_e64 v101, v81, v97, s15
	;; [unrolled: 1-line block ×6, first 2 shown]
	v_cmp_eq_u32_e64 s18, 7, v79
	v_cmp_eq_u32_e64 s19, 3, v77
	;; [unrolled: 1-line block ×4, first 2 shown]
	v_cndmask_b32_e64 v87, v87, v84, s17
	v_cndmask_b32_e64 v103, v88, v97, s18
	;; [unrolled: 1-line block ×4, first 2 shown]
	v_or_b32_e32 v81, 3, v78
	v_cndmask_b32_e64 v93, v87, v98, s19
	v_cmp_eq_u32_e64 s24, 6, v77
	v_cndmask_b32_e64 v104, v88, v86, s16
	v_cndmask_b32_e64 v92, v89, v71, s20
	v_cmp_eq_u32_e64 s21, 1, v81
	ds_load_b128 v[87:90], v82 offset:1024
	v_cmp_eq_u32_e64 s23, 2, v81
	v_cmp_eq_u32_e64 s25, 3, v81
	v_cndmask_b32_e64 v105, v92, v96, s22
	v_cndmask_b32_e64 v66, v69, v66, s21
	;; [unrolled: 1-line block ×4, first 2 shown]
	ds_load_b128 v[91:94], v82 offset:1040
	v_cmp_eq_u32_e64 s26, 4, v81
	v_cndmask_b32_e64 v66, v66, v70, s23
	v_cmp_eq_u32_e64 s27, 7, v77
	v_cndmask_b32_e64 v70, v83, v84, s23
	v_cndmask_b32_e64 v84, v105, v72, s24
	v_cmp_eq_u32_e64 s28, 5, v81
	v_cndmask_b32_e64 v66, v66, v95, s25
	v_cmp_eq_u32_e64 s29, 6, v81
	v_cndmask_b32_e64 v70, v70, v98, s25
	v_cndmask_b32_e64 v69, v69, v99, s22
	;; [unrolled: 1-line block ×4, first 2 shown]
	s_waitcnt lgkmcnt(1)
	v_lshrrev_b32_e32 v95, 16, v87
	v_cndmask_b32_e64 v70, v70, v85, s26
	v_cndmask_b32_e64 v71, v84, v97, s27
	;; [unrolled: 1-line block ×4, first 2 shown]
	v_cndmask_b32_e32 v84, v87, v95, vcc_lo
	v_cndmask_b32_e64 v70, v70, v99, s28
	s_waitcnt lgkmcnt(0)
	v_lshrrev_b32_e32 v85, 16, v91
	v_lshrrev_b32_e32 v96, 16, v88
	v_cndmask_b32_e64 v98, v87, v95, s3
	v_cndmask_b32_e64 v84, v84, v88, s4
	;; [unrolled: 1-line block ×3, first 2 shown]
	v_cndmask_b32_e32 v99, v91, v85, vcc_lo
	v_cmp_eq_u32_e32 vcc_lo, 7, v81
	v_cndmask_b32_e64 v66, v66, v72, s29
	v_cndmask_b32_e64 v72, v84, v96, s7
	;; [unrolled: 1-line block ×3, first 2 shown]
	v_lshrrev_b32_e32 v98, 16, v92
	v_cndmask_b32_e32 v70, v70, v100, vcc_lo
	v_cndmask_b32_e64 v86, v99, v92, s4
	v_cndmask_b32_e64 v69, v69, v100, s27
	v_lshrrev_b32_e32 v100, 16, v93
	v_cndmask_b32_e64 v72, v72, v89, s9
	v_lshrrev_b32_e32 v99, 16, v89
	v_cndmask_b32_e64 v86, v86, v98, s7
	v_perm_b32 v71, v69, v71, 0x5040100
	v_cndmask_b32_e64 v84, v84, v96, s8
	s_delay_alu instid0(VALU_DEP_3) | instskip(NEXT) | instid1(VALU_DEP_2)
	v_cndmask_b32_e64 v86, v86, v93, s9
	v_cndmask_b32_e64 v84, v84, v89, s11
	s_delay_alu instid0(VALU_DEP_2) | instskip(NEXT) | instid1(VALU_DEP_1)
	v_cndmask_b32_e64 v86, v86, v100, s10
	v_cndmask_b32_e64 v69, v86, v94, s12
	;; [unrolled: 1-line block ×5, first 2 shown]
	s_delay_alu instid0(VALU_DEP_3) | instskip(NEXT) | instid1(VALU_DEP_3)
	v_cndmask_b32_e64 v86, v86, v88, s17
	v_cndmask_b32_e64 v87, v87, v88, s23
	s_delay_alu instid0(VALU_DEP_3) | instskip(NEXT) | instid1(VALU_DEP_3)
	v_cndmask_b32_e64 v88, v95, v92, s23
	v_cndmask_b32_e64 v86, v86, v96, s19
	;; [unrolled: 3-line block ×7, first 2 shown]
	s_delay_alu instid0(VALU_DEP_3) | instskip(SKIP_2) | instid1(VALU_DEP_2)
	v_cndmask_b32_e64 v88, v88, v94, s29
	v_cndmask_b32_e32 v66, v66, v97, vcc_lo
	v_cndmask_b32_e64 v97, v72, v99, s10
	v_perm_b32 v72, v70, v66, 0x5040100
	v_perm_b32 v70, v83, v103, 0x5040100
	v_cndmask_b32_e64 v103, v91, v85, s5
	v_cndmask_b32_e64 v85, v91, v85, s3
	;; [unrolled: 1-line block ×4, first 2 shown]
	v_lshrrev_b32_e32 v97, 16, v90
	v_cndmask_b32_e64 v91, v103, v92, s17
	v_cndmask_b32_e64 v85, v85, v92, s6
	;; [unrolled: 1-line block ×3, first 2 shown]
	s_mov_b32 s3, exec_lo
	v_cndmask_b32_e64 v83, v84, v97, s15
	v_cndmask_b32_e64 v91, v91, v98, s19
	;; [unrolled: 1-line block ×3, first 2 shown]
	v_lshrrev_b32_e32 v84, 16, v94
	v_cndmask_b32_e64 v66, v66, v97, s18
	v_cndmask_b32_e64 v90, v86, v97, s27
	;; [unrolled: 1-line block ×4, first 2 shown]
	v_dual_cndmask_b32 v86, v87, v97 :: v_dual_cndmask_b32 v87, v88, v84
	v_cndmask_b32_e64 v91, v69, v84, s15
	s_delay_alu instid0(VALU_DEP_4) | instskip(NEXT) | instid1(VALU_DEP_4)
	v_cndmask_b32_e64 v89, v89, v100, s22
	v_cndmask_b32_e64 v85, v85, v100, s13
	v_perm_b32 v69, v102, v101, 0x5040100
	v_perm_b32 v86, v87, v86, 0x5040100
	;; [unrolled: 1-line block ×3, first 2 shown]
	v_cndmask_b32_e64 v89, v89, v94, s24
	v_cndmask_b32_e64 v85, v85, v94, s16
	s_mul_i32 s8, s35, 9
	s_delay_alu instid0(VALU_DEP_2) | instskip(NEXT) | instid1(VALU_DEP_2)
	v_cndmask_b32_e64 v88, v89, v84, s27
	v_cndmask_b32_e64 v89, v85, v84, s18
	s_delay_alu instid0(VALU_DEP_2) | instskip(NEXT) | instid1(VALU_DEP_2)
	v_perm_b32 v85, v88, v90, 0x5040100
	v_perm_b32 v84, v89, v66, 0x5040100
	ds_store_b128 v76, v[69:72]
	ds_store_b128 v76, v[83:86] offset:1024
	v_cmpx_gt_u32_e32 9, v0
	s_cbranch_execz .LBB1534_78
; %bb.77:
	s_mul_i32 s4, s8, s30
	s_delay_alu instid0(SALU_CYCLE_1) | instskip(SKIP_1) | instid1(VALU_DEP_1)
	v_add3_u32 v69, s4, s31, v65
	s_load_b128 s[4:7], s[0:1], 0x58
	v_mad_u64_u32 v[65:66], null, v69, s34, s[14:15]
	s_delay_alu instid0(VALU_DEP_1) | instskip(NEXT) | instid1(VALU_DEP_1)
	v_ashrrev_i32_e32 v66, 31, v65
	v_lshlrev_b64 v[65:66], 2, v[65:66]
	s_waitcnt lgkmcnt(0)
	s_delay_alu instid0(VALU_DEP_1) | instskip(NEXT) | instid1(VALU_DEP_2)
	v_add_co_u32 v69, vcc_lo, s6, v65
	v_add_co_ci_u32_e32 v70, vcc_lo, s7, v66, vcc_lo
	v_add_co_u32 v65, vcc_lo, s4, v65
	v_add_co_ci_u32_e32 v66, vcc_lo, s5, v66, vcc_lo
	global_store_b32 v[69:70], v67, off
	global_store_b32 v[65:66], v68, off
.LBB1534_78:
	s_or_b32 exec_lo, exec_lo, s3
	s_waitcnt lgkmcnt(0)
	s_waitcnt_vscnt null, 0x0
	s_barrier
	buffer_gl0_inv
	ds_load_b128 v[83:86], v80
	ds_load_b128 v[87:90], v80 offset:16
	ds_load_b128 v[95:98], v80 offset:2064
	;; [unrolled: 1-line block ×3, first 2 shown]
	v_mov_b32_e32 v65, 0
	ds_load_b128 v[103:106], v80 offset:4112
	ds_load_b128 v[99:102], v80 offset:4096
	ds_load_b128 v[111:114], v80 offset:6160
	ds_load_b128 v[107:110], v80 offset:6144
	v_mov_b32_e32 v66, v65
	v_mov_b32_e32 v67, v65
	;; [unrolled: 1-line block ×7, first 2 shown]
	s_waitcnt lgkmcnt(6)
	s_delay_alu instid0(VALU_DEP_1)
	v_wmma_f32_16x16x16_bf16 v[65:72], v[49:56], v[83:90], v[65:72]
	ds_load_b128 v[53:56], v80 offset:8208
	ds_load_b128 v[49:52], v80 offset:8192
	s_waitcnt lgkmcnt(6)
	v_wmma_f32_16x16x16_bf16 v[65:72], v[41:48], v[91:98], v[65:72]
	ds_load_b128 v[45:48], v80 offset:10256
	ds_load_b128 v[41:44], v80 offset:10240
	s_waitcnt lgkmcnt(6)
	;; [unrolled: 4-line block ×4, first 2 shown]
	v_wmma_f32_16x16x16_bf16 v[65:72], v[1:8], v[49:56], v[65:72]
	s_waitcnt lgkmcnt(4)
	s_delay_alu instid0(VALU_DEP_1) | instskip(SKIP_1) | instid1(VALU_DEP_1)
	v_wmma_f32_16x16x16_bf16 v[65:72], v[9:16], v[41:48], v[65:72]
	s_waitcnt lgkmcnt(2)
	v_wmma_f32_16x16x16_bf16 v[65:72], v[17:24], v[33:40], v[65:72]
	s_waitcnt lgkmcnt(0)
	s_delay_alu instid0(VALU_DEP_1) | instskip(NEXT) | instid1(VALU_DEP_1)
	v_wmma_f32_16x16x16_bf16 v[65:72], v[57:64], v[25:32], v[65:72]
	v_and_b32_e32 v1, 0x7f800000, v65
	s_delay_alu instid0(VALU_DEP_1) | instskip(SKIP_1) | instid1(SALU_CYCLE_1)
	v_cmp_ne_u32_e32 vcc_lo, 0x7f800000, v1
                                        ; implicit-def: $vgpr1
	s_and_saveexec_b32 s3, vcc_lo
	s_xor_b32 s3, exec_lo, s3
; %bb.79:
	v_bfe_u32 v1, v65, 16, 1
	s_delay_alu instid0(VALU_DEP_1)
	v_add3_u32 v1, v65, v1, 0x7fff
; %bb.80:
	s_and_not1_saveexec_b32 s3, s3
; %bb.81:
	v_and_b32_e32 v1, 0xffff, v65
	v_or_b32_e32 v2, 0x10000, v65
	s_delay_alu instid0(VALU_DEP_2) | instskip(NEXT) | instid1(VALU_DEP_2)
	v_cmp_eq_u32_e32 vcc_lo, 0, v1
	v_cndmask_b32_e32 v1, v2, v65, vcc_lo
; %bb.82:
	s_or_b32 exec_lo, exec_lo, s3
	v_and_b32_e32 v2, 0x7f800000, v66
	s_delay_alu instid0(VALU_DEP_1) | instskip(SKIP_1) | instid1(SALU_CYCLE_1)
	v_cmp_ne_u32_e32 vcc_lo, 0x7f800000, v2
                                        ; implicit-def: $vgpr2
	s_and_saveexec_b32 s3, vcc_lo
	s_xor_b32 s3, exec_lo, s3
; %bb.83:
	v_bfe_u32 v2, v66, 16, 1
	s_delay_alu instid0(VALU_DEP_1)
	v_add3_u32 v2, v66, v2, 0x7fff
; %bb.84:
	s_and_not1_saveexec_b32 s3, s3
; %bb.85:
	v_and_b32_e32 v2, 0xffff, v66
	v_or_b32_e32 v3, 0x10000, v66
	s_delay_alu instid0(VALU_DEP_2) | instskip(NEXT) | instid1(VALU_DEP_2)
	v_cmp_eq_u32_e32 vcc_lo, 0, v2
	v_cndmask_b32_e32 v2, v3, v66, vcc_lo
; %bb.86:
	s_or_b32 exec_lo, exec_lo, s3
	v_and_b32_e32 v3, 0x7f800000, v67
	s_delay_alu instid0(VALU_DEP_1) | instskip(SKIP_1) | instid1(SALU_CYCLE_1)
	v_cmp_ne_u32_e32 vcc_lo, 0x7f800000, v3
                                        ; implicit-def: $vgpr3
	s_and_saveexec_b32 s3, vcc_lo
	s_xor_b32 s3, exec_lo, s3
; %bb.87:
	v_bfe_u32 v3, v67, 16, 1
	s_delay_alu instid0(VALU_DEP_1)
	v_add3_u32 v3, v67, v3, 0x7fff
; %bb.88:
	s_and_not1_saveexec_b32 s3, s3
; %bb.89:
	v_and_b32_e32 v3, 0xffff, v67
	v_or_b32_e32 v4, 0x10000, v67
	s_delay_alu instid0(VALU_DEP_2) | instskip(NEXT) | instid1(VALU_DEP_2)
	v_cmp_eq_u32_e32 vcc_lo, 0, v3
	v_cndmask_b32_e32 v3, v4, v67, vcc_lo
; %bb.90:
	s_or_b32 exec_lo, exec_lo, s3
	v_and_b32_e32 v4, 0x7f800000, v68
	s_delay_alu instid0(VALU_DEP_1) | instskip(SKIP_1) | instid1(SALU_CYCLE_1)
	v_cmp_ne_u32_e32 vcc_lo, 0x7f800000, v4
                                        ; implicit-def: $vgpr4
	s_and_saveexec_b32 s3, vcc_lo
	s_xor_b32 s3, exec_lo, s3
; %bb.91:
	v_bfe_u32 v4, v68, 16, 1
	s_delay_alu instid0(VALU_DEP_1)
	v_add3_u32 v4, v68, v4, 0x7fff
; %bb.92:
	s_and_not1_saveexec_b32 s3, s3
; %bb.93:
	v_and_b32_e32 v4, 0xffff, v68
	v_or_b32_e32 v5, 0x10000, v68
	s_delay_alu instid0(VALU_DEP_2) | instskip(NEXT) | instid1(VALU_DEP_2)
	v_cmp_eq_u32_e32 vcc_lo, 0, v4
	v_cndmask_b32_e32 v4, v5, v68, vcc_lo
; %bb.94:
	s_or_b32 exec_lo, exec_lo, s3
	v_and_b32_e32 v5, 0x7f800000, v69
	s_delay_alu instid0(VALU_DEP_1) | instskip(SKIP_1) | instid1(SALU_CYCLE_1)
	v_cmp_ne_u32_e32 vcc_lo, 0x7f800000, v5
                                        ; implicit-def: $vgpr5
	s_and_saveexec_b32 s3, vcc_lo
	s_xor_b32 s3, exec_lo, s3
; %bb.95:
	v_bfe_u32 v5, v69, 16, 1
	s_delay_alu instid0(VALU_DEP_1)
	v_add3_u32 v5, v69, v5, 0x7fff
; %bb.96:
	s_and_not1_saveexec_b32 s3, s3
; %bb.97:
	v_and_b32_e32 v5, 0xffff, v69
	v_or_b32_e32 v6, 0x10000, v69
	s_delay_alu instid0(VALU_DEP_2) | instskip(NEXT) | instid1(VALU_DEP_2)
	v_cmp_eq_u32_e32 vcc_lo, 0, v5
	v_cndmask_b32_e32 v5, v6, v69, vcc_lo
; %bb.98:
	s_or_b32 exec_lo, exec_lo, s3
	v_and_b32_e32 v6, 0x7f800000, v70
	s_delay_alu instid0(VALU_DEP_1) | instskip(SKIP_1) | instid1(SALU_CYCLE_1)
	v_cmp_ne_u32_e32 vcc_lo, 0x7f800000, v6
                                        ; implicit-def: $vgpr6
	s_and_saveexec_b32 s3, vcc_lo
	s_xor_b32 s3, exec_lo, s3
; %bb.99:
	v_bfe_u32 v6, v70, 16, 1
	s_delay_alu instid0(VALU_DEP_1)
	v_add3_u32 v6, v70, v6, 0x7fff
; %bb.100:
	s_and_not1_saveexec_b32 s3, s3
; %bb.101:
	v_and_b32_e32 v6, 0xffff, v70
	v_or_b32_e32 v7, 0x10000, v70
	s_delay_alu instid0(VALU_DEP_2) | instskip(NEXT) | instid1(VALU_DEP_2)
	v_cmp_eq_u32_e32 vcc_lo, 0, v6
	v_cndmask_b32_e32 v6, v7, v70, vcc_lo
; %bb.102:
	s_or_b32 exec_lo, exec_lo, s3
	v_and_b32_e32 v7, 0x7f800000, v71
	s_delay_alu instid0(VALU_DEP_1) | instskip(SKIP_1) | instid1(SALU_CYCLE_1)
	v_cmp_ne_u32_e32 vcc_lo, 0x7f800000, v7
                                        ; implicit-def: $vgpr7
	s_and_saveexec_b32 s3, vcc_lo
	s_xor_b32 s3, exec_lo, s3
; %bb.103:
	v_bfe_u32 v7, v71, 16, 1
	s_delay_alu instid0(VALU_DEP_1)
	v_add3_u32 v7, v71, v7, 0x7fff
; %bb.104:
	s_and_not1_saveexec_b32 s3, s3
; %bb.105:
	v_and_b32_e32 v7, 0xffff, v71
	v_or_b32_e32 v8, 0x10000, v71
	s_delay_alu instid0(VALU_DEP_2) | instskip(NEXT) | instid1(VALU_DEP_2)
	v_cmp_eq_u32_e32 vcc_lo, 0, v7
	v_cndmask_b32_e32 v7, v8, v71, vcc_lo
; %bb.106:
	s_or_b32 exec_lo, exec_lo, s3
	v_and_b32_e32 v8, 0x7f800000, v72
	s_delay_alu instid0(VALU_DEP_1) | instskip(SKIP_1) | instid1(SALU_CYCLE_1)
	v_cmp_ne_u32_e32 vcc_lo, 0x7f800000, v8
                                        ; implicit-def: $vgpr8
	s_and_saveexec_b32 s3, vcc_lo
	s_xor_b32 s3, exec_lo, s3
; %bb.107:
	v_bfe_u32 v8, v72, 16, 1
	s_delay_alu instid0(VALU_DEP_1)
	v_add3_u32 v8, v72, v8, 0x7fff
                                        ; implicit-def: $vgpr65_vgpr66_vgpr67_vgpr68_vgpr69_vgpr70_vgpr71_vgpr72
; %bb.108:
	s_and_not1_saveexec_b32 s3, s3
; %bb.109:
	v_and_b32_e32 v8, 0xffff, v72
	v_or_b32_e32 v9, 0x10000, v72
	s_delay_alu instid0(VALU_DEP_2) | instskip(NEXT) | instid1(VALU_DEP_2)
	v_cmp_eq_u32_e32 vcc_lo, 0, v8
	v_cndmask_b32_e32 v8, v9, v72, vcc_lo
; %bb.110:
	s_or_b32 exec_lo, exec_lo, s3
	s_delay_alu instid0(VALU_DEP_1)
	v_perm_b32 v7, v8, v7, 0x7060302
	v_perm_b32 v6, v6, v5, 0x7060302
	;; [unrolled: 1-line block ×4, first 2 shown]
	s_barrier
	buffer_gl0_inv
	v_cmp_eq_u32_e32 vcc_lo, 1, v78
	ds_store_b128 v76, v[4:7]
	s_waitcnt lgkmcnt(0)
	s_barrier
	buffer_gl0_inv
	ds_load_b128 v[1:4], v82
	ds_load_b128 v[5:8], v82 offset:16
	v_cmp_eq_u32_e64 s3, 1, v79
	v_cmp_eq_u32_e64 s4, 2, v78
	;; [unrolled: 1-line block ×5, first 2 shown]
	s_waitcnt lgkmcnt(1)
	v_lshrrev_b32_e32 v9, 16, v1
	s_waitcnt lgkmcnt(0)
	v_lshrrev_b32_e32 v13, 16, v5
	v_lshrrev_b32_e32 v10, 16, v2
	;; [unrolled: 1-line block ×4, first 2 shown]
	v_cndmask_b32_e64 v19, v1, v9, s3
	v_cndmask_b32_e32 v18, v5, v13, vcc_lo
	v_cndmask_b32_e64 v20, v5, v13, s3
	v_cndmask_b32_e32 v17, v1, v9, vcc_lo
	v_cmp_eq_u32_e32 vcc_lo, 2, v79
	v_lshrrev_b32_e32 v15, 16, v7
	v_cmp_eq_u32_e64 s3, 1, v77
	v_lshrrev_b32_e32 v12, 16, v4
	v_lshrrev_b32_e32 v16, 16, v8
	v_cndmask_b32_e32 v20, v20, v6, vcc_lo
	v_cndmask_b32_e64 v17, v17, v2, s4
	v_cndmask_b32_e32 v19, v19, v2, vcc_lo
	v_cndmask_b32_e64 v18, v18, v6, s4
	v_cmp_eq_u32_e32 vcc_lo, 4, v78
	v_cmp_eq_u32_e64 s4, 3, v79
	v_cndmask_b32_e64 v17, v17, v10, s5
	v_cndmask_b32_e64 v21, v1, v9, s3
	;; [unrolled: 1-line block ×5, first 2 shown]
	v_cndmask_b32_e32 v17, v17, v3, vcc_lo
	v_cndmask_b32_e64 v20, v20, v14, s4
	v_cndmask_b32_e32 v18, v18, v7, vcc_lo
	v_cmp_eq_u32_e32 vcc_lo, 4, v79
	v_cmp_eq_u32_e64 s4, 5, v79
	v_cmp_eq_u32_e64 s3, 2, v81
	v_cndmask_b32_e64 v21, v21, v2, s7
	v_cmp_eq_u32_e64 s5, 5, v78
	v_cndmask_b32_e32 v19, v19, v3, vcc_lo
	v_cndmask_b32_e32 v20, v20, v7, vcc_lo
	v_cmp_eq_u32_e32 vcc_lo, 6, v79
	s_delay_alu instid0(VALU_DEP_4) | instskip(NEXT) | instid1(VALU_DEP_4)
	v_cndmask_b32_e64 v17, v17, v11, s5
	v_cndmask_b32_e64 v19, v19, v11, s4
	s_delay_alu instid0(VALU_DEP_4) | instskip(SKIP_1) | instid1(VALU_DEP_3)
	v_cndmask_b32_e64 v20, v20, v15, s4
	v_cmp_eq_u32_e64 s4, 1, v81
	v_cndmask_b32_e32 v19, v19, v4, vcc_lo
	v_cndmask_b32_e64 v18, v18, v15, s5
	s_delay_alu instid0(VALU_DEP_3)
	v_cndmask_b32_e64 v1, v1, v9, s4
	v_cndmask_b32_e64 v5, v5, v13, s4
	v_cmp_eq_u32_e64 s4, 3, v77
	v_cndmask_b32_e64 v13, v22, v6, s7
	v_cmp_eq_u32_e64 s7, 3, v81
	v_cndmask_b32_e64 v1, v1, v2, s3
	v_cndmask_b32_e64 v2, v5, v6, s3
	;; [unrolled: 1-line block ×3, first 2 shown]
	v_cmp_eq_u32_e64 s3, 4, v77
	v_cndmask_b32_e64 v6, v13, v14, s4
	v_cndmask_b32_e64 v1, v1, v10, s7
	v_cmp_eq_u32_e64 s4, 4, v81
	v_cndmask_b32_e64 v2, v2, v14, s7
	v_cndmask_b32_e64 v5, v9, v3, s3
	;; [unrolled: 3-line block ×3, first 2 shown]
	v_cndmask_b32_e64 v2, v2, v7, s4
	v_cmp_eq_u32_e64 s3, 5, v81
	v_cmp_eq_u32_e64 s5, 6, v78
	v_cndmask_b32_e64 v5, v5, v11, s7
	v_cmp_eq_u32_e64 s4, 6, v77
	v_cndmask_b32_e64 v3, v6, v15, s7
	v_cndmask_b32_e64 v1, v1, v11, s3
	v_cmp_eq_u32_e64 s7, 6, v81
	v_cndmask_b32_e64 v2, v2, v15, s3
	v_cndmask_b32_e64 v17, v17, v4, s5
	v_cndmask_b32_e64 v18, v18, v8, s5
	v_cmp_eq_u32_e64 s5, 7, v78
	v_cndmask_b32_e64 v5, v5, v4, s4
	v_cndmask_b32_e64 v3, v3, v8, s4
	v_cndmask_b32_e64 v1, v1, v4, s7
	v_cmp_eq_u32_e64 s3, 7, v81
	v_cndmask_b32_e64 v2, v2, v8, s7
	v_cmp_eq_u32_e64 s4, 7, v77
	v_cndmask_b32_e32 v4, v20, v8, vcc_lo
	v_cndmask_b32_e64 v17, v17, v12, s5
	v_cndmask_b32_e64 v19, v19, v12, s6
	;; [unrolled: 1-line block ×8, first 2 shown]
	s_mov_b32 s3, exec_lo
	v_perm_b32 v4, v2, v1, 0x5040100
	v_perm_b32 v3, v3, v5, 0x5040100
	;; [unrolled: 1-line block ×4, first 2 shown]
	ds_store_b128 v76, v[1:4]
	s_waitcnt lgkmcnt(0)
	s_barrier
	buffer_gl0_inv
	v_cmpx_gt_u32_e32 32, v0
	s_cbranch_execz .LBB1534_2
; %bb.111:
	s_load_b64 s[4:5], s[0:1], 0x68
	v_lshlrev_b32_e32 v0, 10, v0
	v_lshlrev_b32_e32 v1, 4, v75
	s_lshl_b32 s0, s34, 7
	v_add_nc_u32_e32 v2, s31, v74
	s_mul_i32 s1, s0, s30
	s_delay_alu instid0(SALU_CYCLE_1) | instskip(SKIP_1) | instid1(VALU_DEP_2)
	s_mul_i32 s6, s1, s8
	v_and_or_b32 v0, 0x3800, v0, v1
	v_mul_lo_u32 v1, v2, s0
	s_ashr_i32 s7, s6, 31
	v_add_nc_u32_e32 v3, 2, v2
	s_lshl_b64 s[6:7], s[6:7], 1
	v_add_nc_u32_e32 v4, 4, v2
	v_add_nc_u32_e32 v5, 6, v2
	v_lshl_or_b32 v15, v74, 6, v0
	v_mul_lo_u32 v3, v3, s0
	v_ashrrev_i32_e32 v2, 31, v1
	v_mul_lo_u32 v19, v4, s0
	v_mul_lo_u32 v21, v5, s0
	s_waitcnt lgkmcnt(0)
	s_add_u32 s1, s4, s6
	s_addc_u32 s3, s5, s7
	s_lshl_b32 s4, s14, 7
	v_lshlrev_b64 v[5:6], 1, v[1:2]
	s_ashr_i32 s5, s4, 31
	v_ashrrev_i32_e32 v4, 31, v3
	s_lshl_b64 s[4:5], s[4:5], 1
	v_ashrrev_i32_e32 v20, 31, v19
	s_add_u32 s1, s1, s4
	s_addc_u32 s3, s3, s5
	v_add_co_u32 v1, s1, s1, v73
	s_delay_alu instid0(VALU_DEP_1) | instskip(SKIP_1) | instid1(VALU_DEP_3)
	v_add_co_ci_u32_e64 v2, null, s3, 0, s1
	v_lshlrev_b64 v[25:26], 1, v[3:4]
	v_add_co_u32 v23, vcc_lo, v1, v5
	s_delay_alu instid0(VALU_DEP_3)
	v_add_co_ci_u32_e32 v24, vcc_lo, v2, v6, vcc_lo
	ds_load_b128 v[3:6], v15
	ds_load_b128 v[7:10], v15 offset:128
	ds_load_b128 v[11:14], v15 offset:256
	;; [unrolled: 1-line block ×3, first 2 shown]
	v_ashrrev_i32_e32 v22, 31, v21
	v_lshlrev_b64 v[19:20], 1, v[19:20]
	v_add_co_u32 v25, vcc_lo, v1, v25
	v_add_co_ci_u32_e32 v26, vcc_lo, v2, v26, vcc_lo
	s_delay_alu instid0(VALU_DEP_4) | instskip(NEXT) | instid1(VALU_DEP_4)
	v_lshlrev_b64 v[21:22], 1, v[21:22]
	v_add_co_u32 v19, vcc_lo, v1, v19
	v_add_co_ci_u32_e32 v20, vcc_lo, v2, v20, vcc_lo
	s_delay_alu instid0(VALU_DEP_3) | instskip(NEXT) | instid1(VALU_DEP_4)
	v_add_co_u32 v21, vcc_lo, v1, v21
	v_add_co_ci_u32_e32 v22, vcc_lo, v2, v22, vcc_lo
	s_waitcnt lgkmcnt(3)
	global_store_b128 v[23:24], v[3:6], off
	s_waitcnt lgkmcnt(2)
	global_store_b128 v[25:26], v[7:10], off
	;; [unrolled: 2-line block ×4, first 2 shown]
	s_and_b32 exec_lo, exec_lo, s2
	s_cbranch_execz .LBB1534_2
; %bb.112:
	ds_load_b128 v[3:6], v0 offset:512
	s_add_i32 s1, s31, 8
	s_delay_alu instid0(SALU_CYCLE_1) | instskip(NEXT) | instid1(SALU_CYCLE_1)
	s_mul_i32 s0, s1, s0
	s_ashr_i32 s1, s0, 31
	s_delay_alu instid0(SALU_CYCLE_1) | instskip(NEXT) | instid1(SALU_CYCLE_1)
	s_lshl_b64 s[0:1], s[0:1], 1
	v_add_co_u32 v0, vcc_lo, v1, s0
	v_add_co_ci_u32_e32 v1, vcc_lo, s1, v2, vcc_lo
	s_waitcnt lgkmcnt(0)
	global_store_b128 v[0:1], v[3:6], off
	s_nop 0
	s_sendmsg sendmsg(MSG_DEALLOC_VGPRS)
	s_endpgm
	.section	.rodata,"a",@progbits
	.p2align	6, 0x0
	.amdhsa_kernel _Z39paged_attention_ll4mi_QKV_mfma16_kernelI14__hip_bfloat16hLN4vllm18Fp8KVCacheDataTypeE1EhLi16ELi128ELi256ELb0ELi9EL8MFMAType1EEvPKT_PKT0_S9_ifPKiSB_SB_iPKfiiiPfSE_PS4_PT2_iSD_SD_
		.amdhsa_group_segment_fixed_size 17472
		.amdhsa_private_segment_fixed_size 0
		.amdhsa_kernarg_size 400
		.amdhsa_user_sgpr_count 13
		.amdhsa_user_sgpr_dispatch_ptr 0
		.amdhsa_user_sgpr_queue_ptr 0
		.amdhsa_user_sgpr_kernarg_segment_ptr 1
		.amdhsa_user_sgpr_dispatch_id 0
		.amdhsa_user_sgpr_private_segment_size 0
		.amdhsa_wavefront_size32 1
		.amdhsa_uses_dynamic_stack 0
		.amdhsa_enable_private_segment 0
		.amdhsa_system_sgpr_workgroup_id_x 1
		.amdhsa_system_sgpr_workgroup_id_y 1
		.amdhsa_system_sgpr_workgroup_id_z 1
		.amdhsa_system_sgpr_workgroup_info 0
		.amdhsa_system_vgpr_workitem_id 0
		.amdhsa_next_free_vgpr 140
		.amdhsa_next_free_sgpr 36
		.amdhsa_reserve_vcc 1
		.amdhsa_float_round_mode_32 0
		.amdhsa_float_round_mode_16_64 0
		.amdhsa_float_denorm_mode_32 3
		.amdhsa_float_denorm_mode_16_64 3
		.amdhsa_dx10_clamp 1
		.amdhsa_ieee_mode 1
		.amdhsa_fp16_overflow 0
		.amdhsa_workgroup_processor_mode 1
		.amdhsa_memory_ordered 1
		.amdhsa_forward_progress 0
		.amdhsa_shared_vgpr_count 0
		.amdhsa_exception_fp_ieee_invalid_op 0
		.amdhsa_exception_fp_denorm_src 0
		.amdhsa_exception_fp_ieee_div_zero 0
		.amdhsa_exception_fp_ieee_overflow 0
		.amdhsa_exception_fp_ieee_underflow 0
		.amdhsa_exception_fp_ieee_inexact 0
		.amdhsa_exception_int_div_zero 0
	.end_amdhsa_kernel
	.section	.text._Z39paged_attention_ll4mi_QKV_mfma16_kernelI14__hip_bfloat16hLN4vllm18Fp8KVCacheDataTypeE1EhLi16ELi128ELi256ELb0ELi9EL8MFMAType1EEvPKT_PKT0_S9_ifPKiSB_SB_iPKfiiiPfSE_PS4_PT2_iSD_SD_,"axG",@progbits,_Z39paged_attention_ll4mi_QKV_mfma16_kernelI14__hip_bfloat16hLN4vllm18Fp8KVCacheDataTypeE1EhLi16ELi128ELi256ELb0ELi9EL8MFMAType1EEvPKT_PKT0_S9_ifPKiSB_SB_iPKfiiiPfSE_PS4_PT2_iSD_SD_,comdat
.Lfunc_end1534:
	.size	_Z39paged_attention_ll4mi_QKV_mfma16_kernelI14__hip_bfloat16hLN4vllm18Fp8KVCacheDataTypeE1EhLi16ELi128ELi256ELb0ELi9EL8MFMAType1EEvPKT_PKT0_S9_ifPKiSB_SB_iPKfiiiPfSE_PS4_PT2_iSD_SD_, .Lfunc_end1534-_Z39paged_attention_ll4mi_QKV_mfma16_kernelI14__hip_bfloat16hLN4vllm18Fp8KVCacheDataTypeE1EhLi16ELi128ELi256ELb0ELi9EL8MFMAType1EEvPKT_PKT0_S9_ifPKiSB_SB_iPKfiiiPfSE_PS4_PT2_iSD_SD_
                                        ; -- End function
	.section	.AMDGPU.csdata,"",@progbits
; Kernel info:
; codeLenInByte = 8940
; NumSgprs: 38
; NumVgprs: 140
; ScratchSize: 0
; MemoryBound: 0
; FloatMode: 240
; IeeeMode: 1
; LDSByteSize: 17472 bytes/workgroup (compile time only)
; SGPRBlocks: 4
; VGPRBlocks: 17
; NumSGPRsForWavesPerEU: 38
; NumVGPRsForWavesPerEU: 140
; Occupancy: 10
; WaveLimiterHint : 1
; COMPUTE_PGM_RSRC2:SCRATCH_EN: 0
; COMPUTE_PGM_RSRC2:USER_SGPR: 13
; COMPUTE_PGM_RSRC2:TRAP_HANDLER: 0
; COMPUTE_PGM_RSRC2:TGID_X_EN: 1
; COMPUTE_PGM_RSRC2:TGID_Y_EN: 1
; COMPUTE_PGM_RSRC2:TGID_Z_EN: 1
; COMPUTE_PGM_RSRC2:TIDIG_COMP_CNT: 0
	.section	.text._Z39paged_attention_ll4mi_QKV_mfma16_kernelI14__hip_bfloat16hLN4vllm18Fp8KVCacheDataTypeE1EhLi16ELi128ELi256ELb0ELi10EL8MFMAType1EEvPKT_PKT0_S9_ifPKiSB_SB_iPKfiiiPfSE_PS4_PT2_iSD_SD_,"axG",@progbits,_Z39paged_attention_ll4mi_QKV_mfma16_kernelI14__hip_bfloat16hLN4vllm18Fp8KVCacheDataTypeE1EhLi16ELi128ELi256ELb0ELi10EL8MFMAType1EEvPKT_PKT0_S9_ifPKiSB_SB_iPKfiiiPfSE_PS4_PT2_iSD_SD_,comdat
	.protected	_Z39paged_attention_ll4mi_QKV_mfma16_kernelI14__hip_bfloat16hLN4vllm18Fp8KVCacheDataTypeE1EhLi16ELi128ELi256ELb0ELi10EL8MFMAType1EEvPKT_PKT0_S9_ifPKiSB_SB_iPKfiiiPfSE_PS4_PT2_iSD_SD_ ; -- Begin function _Z39paged_attention_ll4mi_QKV_mfma16_kernelI14__hip_bfloat16hLN4vllm18Fp8KVCacheDataTypeE1EhLi16ELi128ELi256ELb0ELi10EL8MFMAType1EEvPKT_PKT0_S9_ifPKiSB_SB_iPKfiiiPfSE_PS4_PT2_iSD_SD_
	.globl	_Z39paged_attention_ll4mi_QKV_mfma16_kernelI14__hip_bfloat16hLN4vllm18Fp8KVCacheDataTypeE1EhLi16ELi128ELi256ELb0ELi10EL8MFMAType1EEvPKT_PKT0_S9_ifPKiSB_SB_iPKfiiiPfSE_PS4_PT2_iSD_SD_
	.p2align	8
	.type	_Z39paged_attention_ll4mi_QKV_mfma16_kernelI14__hip_bfloat16hLN4vllm18Fp8KVCacheDataTypeE1EhLi16ELi128ELi256ELb0ELi10EL8MFMAType1EEvPKT_PKT0_S9_ifPKiSB_SB_iPKfiiiPfSE_PS4_PT2_iSD_SD_,@function
_Z39paged_attention_ll4mi_QKV_mfma16_kernelI14__hip_bfloat16hLN4vllm18Fp8KVCacheDataTypeE1EhLi16ELi128ELi256ELb0ELi10EL8MFMAType1EEvPKT_PKT0_S9_ifPKiSB_SB_iPKfiiiPfSE_PS4_PT2_iSD_SD_: ; @_Z39paged_attention_ll4mi_QKV_mfma16_kernelI14__hip_bfloat16hLN4vllm18Fp8KVCacheDataTypeE1EhLi16ELi128ELi256ELb0ELi10EL8MFMAType1EEvPKT_PKT0_S9_ifPKiSB_SB_iPKfiiiPfSE_PS4_PT2_iSD_SD_
; %bb.0:
	s_load_b64 s[4:5], s[0:1], 0x30
	s_mov_b32 s30, s13
	s_waitcnt lgkmcnt(0)
	s_cmp_lg_u64 s[4:5], 0
	s_cselect_b32 s13, -1, 0
	s_ashr_i32 s31, s30, 31
	s_cmp_eq_u64 s[4:5], 0
	s_cbranch_scc1 .LBB1535_3
; %bb.1:
	s_lshl_b64 s[2:3], s[30:31], 2
	s_delay_alu instid0(SALU_CYCLE_1) | instskip(SKIP_4) | instid1(SALU_CYCLE_1)
	s_add_u32 s2, s4, s2
	s_addc_u32 s3, s5, s3
	s_load_b64 s[2:3], s[2:3], 0x0
	s_waitcnt lgkmcnt(0)
	s_sub_i32 s2, s3, s2
	s_cmp_eq_u32 s2, 1
	s_cselect_b32 s2, -1, 0
	s_delay_alu instid0(SALU_CYCLE_1)
	s_and_not1_b32 vcc_lo, exec_lo, s2
	s_cbranch_vccz .LBB1535_4
.LBB1535_2:
	s_endpgm
.LBB1535_3:
.LBB1535_4:
	s_load_b64 s[2:3], s[0:1], 0x28
	s_lshl_b64 s[6:7], s[30:31], 2
	s_waitcnt lgkmcnt(0)
	s_add_u32 s2, s2, s6
	s_addc_u32 s3, s3, s7
	s_lshl_b32 s12, s14, 8
	s_load_b32 s17, s[2:3], 0x0
	s_waitcnt lgkmcnt(0)
	s_cmp_ge_i32 s12, s17
	s_cbranch_scc1 .LBB1535_2
; %bb.5:
	s_clause 0x1
	s_load_b128 s[8:11], s[0:1], 0x8
	s_load_b64 s[2:3], s[0:1], 0x20
	s_and_not1_b32 vcc_lo, exec_lo, s13
	s_cbranch_vccnz .LBB1535_7
; %bb.6:
	s_add_u32 s4, s4, s6
	s_addc_u32 s5, s5, s7
	s_load_b32 s13, s[4:5], 0x0
	s_branch .LBB1535_8
.LBB1535_7:
	s_mov_b32 s13, s30
.LBB1535_8:
	s_load_b128 s[4:7], s[0:1], 0x48
	v_and_b32_e32 v65, 15, v0
	v_lshrrev_b32_e32 v66, 5, v0
	v_and_b32_e32 v67, 31, v0
	v_and_b32_e32 v75, 1, v0
	v_bfe_u32 v74, v0, 4, 1
	v_lshlrev_b32_e32 v1, 3, v65
	s_mul_i32 s29, s15, 10
	s_waitcnt lgkmcnt(0)
	s_mov_b32 s7, exec_lo
	s_delay_alu instid0(VALU_DEP_1)
	v_lshlrev_b32_e32 v73, 1, v1
	v_cmpx_gt_u32_e32 0xa0, v0
	s_cbranch_execz .LBB1535_10
; %bb.9:
	s_load_b64 s[18:19], s[0:1], 0x0
	v_lshl_or_b32 v5, v66, 1, v74
	s_mul_hi_i32 s21, s13, s4
	s_mul_i32 s20, s13, s4
	v_lshlrev_b32_e32 v6, 10, v65
	s_lshl_b64 s[20:21], s[20:21], 1
	v_add_lshl_u32 v1, v5, s29, 7
	v_lshlrev_b32_e32 v5, 6, v5
	v_lshlrev_b32_e32 v7, 10, v75
	v_and_b32_e32 v6, 0x3800, v6
	s_delay_alu instid0(VALU_DEP_4) | instskip(NEXT) | instid1(VALU_DEP_2)
	v_ashrrev_i32_e32 v2, 31, v1
	v_or3_b32 v5, v6, v7, v5
	s_delay_alu instid0(VALU_DEP_2) | instskip(SKIP_3) | instid1(VALU_DEP_1)
	v_lshlrev_b64 v[1:2], 1, v[1:2]
	s_waitcnt lgkmcnt(0)
	s_add_u32 s4, s18, s20
	s_addc_u32 s13, s19, s21
	v_add_co_u32 v1, vcc_lo, s4, v1
	s_delay_alu instid0(VALU_DEP_2) | instskip(NEXT) | instid1(VALU_DEP_2)
	v_add_co_ci_u32_e32 v2, vcc_lo, s13, v2, vcc_lo
	v_add_co_u32 v1, vcc_lo, v1, v73
	s_delay_alu instid0(VALU_DEP_2)
	v_add_co_ci_u32_e32 v2, vcc_lo, 0, v2, vcc_lo
	global_load_b128 v[1:4], v[1:2], off
	s_waitcnt vmcnt(0)
	ds_store_b128 v5, v[1:4]
.LBB1535_10:
	s_or_b32 exec_lo, exec_lo, s7
	v_and_b32_e32 v1, 0xef, v0
	s_add_i32 s4, s17, 15
	s_clause 0x1
	s_load_b32 s7, s[0:1], 0x38
	s_load_b32 s18, s[0:1], 0x1c
	s_ashr_i32 s13, s4, 31
	v_add_nc_u32_e32 v1, s12, v1
	s_lshr_b32 s13, s13, 28
	s_waitcnt lgkmcnt(0)
	s_add_i32 s4, s4, s13
	s_barrier
	v_ashrrev_i32_e32 v2, 31, v1
	v_or_b32_e32 v3, 16, v1
	s_ashr_i32 s4, s4, 4
	v_cmp_gt_i32_e32 vcc_lo, s17, v1
	s_add_i32 s4, s4, -1
	v_lshrrev_b32_e32 v2, 28, v2
	buffer_gl0_inv
	s_mul_i32 s15, s15, s6
	v_add_nc_u32_e32 v4, v1, v2
	s_mul_i32 s20, s30, s7
	s_delay_alu instid0(SALU_CYCLE_1) | instskip(NEXT) | instid1(VALU_DEP_1)
	s_ashr_i32 s21, s20, 31
	v_ashrrev_i32_e32 v4, 4, v4
	v_add_nc_u32_e32 v2, v3, v2
	s_lshl_b64 s[20:21], s[20:21], 2
	s_delay_alu instid0(SALU_CYCLE_1) | instskip(NEXT) | instid1(VALU_DEP_2)
	s_add_u32 s13, s2, s20
	v_cndmask_b32_e32 v1, s4, v4, vcc_lo
	s_delay_alu instid0(VALU_DEP_2)
	v_ashrrev_i32_e32 v2, 4, v2
	v_cmp_gt_i32_e32 vcc_lo, s17, v3
	s_addc_u32 s16, s3, s21
	s_ashr_i32 s19, s15, 31
	s_add_u32 s26, s8, s15
	s_addc_u32 s27, s9, s19
	v_cndmask_b32_e32 v3, s4, v2, vcc_lo
	v_ashrrev_i32_e32 v2, 31, v1
	s_lshl_b32 s2, s14, 4
	s_delay_alu instid0(SALU_CYCLE_1) | instskip(NEXT) | instid1(VALU_DEP_2)
	s_ashr_i32 s3, s2, 31
	v_ashrrev_i32_e32 v4, 31, v3
	s_delay_alu instid0(VALU_DEP_2) | instskip(SKIP_1) | instid1(SALU_CYCLE_1)
	v_lshlrev_b64 v[1:2], 2, v[1:2]
	s_lshl_b64 s[2:3], s[2:3], 2
	s_add_u32 s2, s13, s2
	s_delay_alu instid0(VALU_DEP_2) | instskip(SKIP_1) | instid1(VALU_DEP_2)
	v_lshlrev_b64 v[3:4], 2, v[3:4]
	s_addc_u32 s3, s16, s3
	v_add_co_u32 v1, vcc_lo, s13, v1
	v_add_co_ci_u32_e32 v2, vcc_lo, s16, v2, vcc_lo
	s_delay_alu instid0(VALU_DEP_3) | instskip(NEXT) | instid1(VALU_DEP_4)
	v_add_co_u32 v3, vcc_lo, s13, v3
	v_add_co_ci_u32_e32 v4, vcc_lo, s16, v4, vcc_lo
	s_clause 0x1
	global_load_b32 v5, v[1:2], off
	global_load_b32 v3, v[3:4], off
	s_or_b32 s6, s12, 32
	v_cmp_gt_u32_e32 vcc_lo, 10, v65
	s_ashr_i32 s7, s6, 4
	s_cmp_lt_i32 s6, s17
	s_cselect_b32 s6, s7, s4
	s_delay_alu instid0(SALU_CYCLE_1) | instskip(NEXT) | instid1(SALU_CYCLE_1)
	s_ashr_i32 s7, s6, 31
	s_lshl_b64 s[6:7], s[6:7], 2
	s_delay_alu instid0(SALU_CYCLE_1) | instskip(SKIP_2) | instid1(SALU_CYCLE_1)
	s_add_u32 s6, s13, s6
	s_addc_u32 s7, s16, s7
	s_or_b32 s8, s12, 64
	s_ashr_i32 s9, s8, 4
	s_cmp_lt_i32 s8, s17
	s_cselect_b32 s8, s9, s4
	s_delay_alu instid0(SALU_CYCLE_1) | instskip(NEXT) | instid1(SALU_CYCLE_1)
	s_ashr_i32 s9, s8, 31
	s_lshl_b64 s[8:9], s[8:9], 2
	s_delay_alu instid0(SALU_CYCLE_1) | instskip(SKIP_2) | instid1(SALU_CYCLE_1)
	s_add_u32 s8, s13, s8
	s_addc_u32 s9, s16, s9
	s_or_b32 s20, s12, 0x60
	;; [unrolled: 10-line block ×4, first 2 shown]
	s_ashr_i32 s25, s24, 4
	s_cmp_lt_i32 s24, s17
	s_cselect_b32 s24, s25, s4
	s_delay_alu instid0(SALU_CYCLE_1) | instskip(NEXT) | instid1(SALU_CYCLE_1)
	s_ashr_i32 s25, s24, 31
	s_lshl_b64 s[24:25], s[24:25], 2
	s_delay_alu instid0(SALU_CYCLE_1)
	s_add_u32 s24, s13, s24
	s_addc_u32 s25, s16, s25
	s_clause 0x5
	s_load_b32 s28, s[2:3], 0x0
	s_load_b32 s31, s[6:7], 0x0
	;; [unrolled: 1-line block ×6, first 2 shown]
	s_mov_b32 s20, 0
	s_or_b32 s2, s12, 0xc0
	s_mov_b32 s21, s20
	s_mov_b32 s22, s20
	;; [unrolled: 1-line block ×5, first 2 shown]
	v_lshlrev_b32_e32 v1, 4, v0
	s_ashr_i32 s3, s2, 4
	s_cmp_lt_i32 s2, s17
	s_cselect_b32 s2, s3, s4
	s_delay_alu instid0(VALU_DEP_1) | instskip(SKIP_1) | instid1(SALU_CYCLE_1)
	v_and_b32_e32 v1, 0xf0, v1
	s_ashr_i32 s3, s2, 31
	s_lshl_b64 s[2:3], s[2:3], 2
	s_delay_alu instid0(VALU_DEP_1) | instskip(NEXT) | instid1(VALU_DEP_1)
	v_add_co_u32 v1, s26, s26, v1
	v_add_co_ci_u32_e64 v2, null, s27, 0, s26
	s_add_u32 s2, s13, s2
	s_addc_u32 s3, s16, s3
	s_or_b32 s6, s12, 0xe0
	s_mov_b32 s27, s20
	s_ashr_i32 s7, s6, 4
	s_cmp_lt_i32 s6, s17
	s_mov_b32 s26, s20
	v_dual_mov_b32 v107, s27 :: v_dual_mov_b32 v100, s20
	s_cselect_b32 s6, s7, s4
	v_mov_b32_e32 v106, s26
	s_ashr_i32 s7, s6, 31
	v_mov_b32_e32 v104, s24
	s_lshl_b64 s[6:7], s[6:7], 2
	v_dual_mov_b32 v103, s23 :: v_dual_mov_b32 v102, s22
	v_mov_b32_e32 v101, s21
	s_waitcnt vmcnt(1)
	v_mad_i64_i32 v[33:34], null, v5, s5, v[1:2]
	s_waitcnt vmcnt(0)
	v_mad_i64_i32 v[35:36], null, v3, s5, v[1:2]
	s_clause 0xf
	global_load_b128 v[1:4], v[33:34], off
	global_load_b128 v[5:8], v[33:34], off offset:256
	global_load_b128 v[9:12], v[35:36], off
	global_load_b128 v[13:16], v[35:36], off offset:256
	global_load_b128 v[17:20], v[33:34], off offset:512
	;; [unrolled: 1-line block ×13, first 2 shown]
	v_add_nc_u32_e32 v33, -10, v65
	v_lshlrev_b32_e32 v34, 4, v65
	s_delay_alu instid0(VALU_DEP_2) | instskip(SKIP_1) | instid1(VALU_DEP_3)
	v_cndmask_b32_e32 v33, v33, v65, vcc_lo
	v_mov_b32_e32 v105, s25
	v_lshl_or_b32 v41, v66, 8, v34
	s_delay_alu instid0(VALU_DEP_3)
	v_lshlrev_b32_e32 v72, 6, v33
	ds_load_b128 v[33:36], v72
	ds_load_b128 v[37:40], v72 offset:1024
	ds_load_b128 v[108:111], v72 offset:2048
	;; [unrolled: 1-line block ×3, first 2 shown]
	s_load_b32 s4, s[2:3], 0x0
	s_add_u32 s2, s13, s6
	s_addc_u32 s3, s16, s7
	ds_load_b128 v[116:119], v72 offset:4096
	ds_load_b128 v[120:123], v72 offset:5120
	s_load_b32 s2, s[2:3], 0x0
	s_add_u32 s6, s10, s15
	s_addc_u32 s7, s11, s19
	v_add_co_u32 v68, s6, s6, v41
	s_delay_alu instid0(VALU_DEP_1) | instskip(SKIP_1) | instid1(VALU_DEP_1)
	v_add_co_ci_u32_e64 v69, null, s7, 0, s6
	s_waitcnt lgkmcnt(0)
	v_mad_i64_i32 v[41:42], null, s28, s5, v[68:69]
	v_mad_i64_i32 v[70:71], null, s8, s5, v[68:69]
	;; [unrolled: 1-line block ×7, first 2 shown]
	s_clause 0x3
	global_load_b128 v[49:52], v[41:42], off
	global_load_b128 v[53:56], v[41:42], off offset:16
	global_load_b128 v[41:44], v[45:46], off
	global_load_b128 v[45:48], v[45:46], off offset:16
	s_waitcnt vmcnt(18)
	v_wmma_f32_16x16x16_bf16 v[124:131], v[1:8], v[33:40], v[100:107]
	s_waitcnt vmcnt(16)
	v_wmma_f32_16x16x16_bf16 v[100:107], v[9:16], v[33:40], v[100:107]
	s_clause 0x1
	global_load_b128 v[33:36], v[70:71], off
	global_load_b128 v[37:40], v[70:71], off offset:16
	v_mad_i64_i32 v[70:71], null, s2, s5, v[68:69]
	s_waitcnt vmcnt(16)
	v_wmma_f32_16x16x16_bf16 v[124:131], v[17:24], v[108:115], v[124:131]
	s_waitcnt vmcnt(14)
	v_wmma_f32_16x16x16_bf16 v[100:107], v[25:32], v[108:115], v[100:107]
	s_clause 0x7
	global_load_b128 v[25:28], v[132:133], off
	global_load_b128 v[29:32], v[132:133], off offset:16
	global_load_b128 v[1:4], v[134:135], off
	global_load_b128 v[5:8], v[134:135], off offset:16
	;; [unrolled: 2-line block ×4, first 2 shown]
	s_waitcnt vmcnt(20)
	v_wmma_f32_16x16x16_bf16 v[124:131], v[57:64], v[116:123], v[124:131]
	s_clause 0x1
	global_load_b128 v[57:60], v[70:71], off
	global_load_b128 v[61:64], v[70:71], off offset:16
	s_waitcnt vmcnt(20)
	v_wmma_f32_16x16x16_bf16 v[100:107], v[76:83], v[116:123], v[100:107]
	ds_load_b128 v[76:79], v72 offset:6144
	ds_load_b128 v[80:83], v72 offset:7168
	v_and_b32_e32 v68, 0xe0, v0
	v_mbcnt_lo_u32_b32 v69, -1, 0
	s_waitcnt vmcnt(0) lgkmcnt(0)
	s_barrier
	buffer_gl0_inv
	v_add_nc_u32_e32 v68, s12, v68
	v_xor_b32_e32 v70, 16, v69
	s_delay_alu instid0(VALU_DEP_2) | instskip(NEXT) | instid1(VALU_DEP_2)
	v_or_b32_e32 v68, v68, v74
	v_cmp_gt_i32_e32 vcc_lo, 32, v70
	s_delay_alu instid0(VALU_DEP_2)
	v_or_b32_e32 v71, 4, v68
	v_or_b32_e32 v72, 6, v68
	v_cmp_gt_i32_e64 s2, s17, v68
	v_or_b32_e32 v108, 8, v68
	v_wmma_f32_16x16x16_bf16 v[124:131], v[84:91], v[76:83], v[124:131]
	v_cndmask_b32_e32 v69, v69, v70, vcc_lo
	v_or_b32_e32 v70, 2, v68
	v_wmma_f32_16x16x16_bf16 v[100:107], v[92:99], v[76:83], v[100:107]
	v_or_b32_e32 v109, 10, v68
	v_dual_mul_f32 v82, s18, v127 :: v_dual_mul_f32 v79, s18, v130
	v_dual_mul_f32 v92, s18, v125 :: v_dual_mul_f32 v93, s18, v124
	s_delay_alu instid0(VALU_DEP_4)
	v_mul_f32_e32 v98, s18, v103
	v_cmp_gt_i32_e32 vcc_lo, s17, v70
	v_or_b32_e32 v89, 22, v68
	v_dual_mul_f32 v83, s18, v126 :: v_dual_mul_f32 v96, s18, v105
	v_cndmask_b32_e64 v93, 0xff7fffff, v93, s2
	v_cndmask_b32_e32 v92, 0xff7fffff, v92, vcc_lo
	v_cmp_gt_i32_e64 s3, s17, v71
	v_cmp_gt_i32_e64 s4, s17, v72
	v_or_b32_e32 v84, 12, v68
	v_or_b32_e32 v85, 14, v68
	v_dual_mul_f32 v80, s18, v129 :: v_dual_mul_f32 v81, s18, v128
	v_mul_f32_e32 v94, s18, v107
	v_cndmask_b32_e64 v71, 0xff7fffff, v83, s3
	v_cndmask_b32_e64 v72, 0xff7fffff, v82, s4
	v_cmp_gt_i32_e64 s5, s17, v108
	v_cmp_gt_i32_e64 s6, s17, v109
	;; [unrolled: 1-line block ×3, first 2 shown]
	v_lshlrev_b32_e32 v89, 2, v69
	v_max3_f32 v82, v93, 0xff7fffff, v92
	v_or_b32_e32 v86, 16, v68
	v_or_b32_e32 v87, 18, v68
	v_mul_f32_e32 v78, s18, v131
	v_cndmask_b32_e64 v81, 0xff7fffff, v81, s5
	v_cndmask_b32_e64 v80, 0xff7fffff, v80, s6
	v_max3_f32 v71, v82, v71, v72
	v_cmp_gt_i32_e64 s7, s17, v84
	v_cmp_gt_i32_e64 s8, s17, v85
	v_or_b32_e32 v88, 20, v68
	v_or_b32_e32 v90, 24, v68
	;; [unrolled: 1-line block ×5, first 2 shown]
	v_dual_mul_f32 v95, s18, v106 :: v_dual_mul_f32 v70, s18, v101
	v_dual_mul_f32 v99, s18, v102 :: v_dual_mul_f32 v68, s18, v100
	v_cndmask_b32_e64 v72, 0xff7fffff, v79, s7
	v_cndmask_b32_e64 v78, 0xff7fffff, v78, s8
	v_max3_f32 v71, v71, v81, v80
	v_cmp_gt_i32_e64 s9, s17, v86
	v_cmp_gt_i32_e64 s10, s17, v87
	;; [unrolled: 1-line block ×3, first 2 shown]
	v_mul_f32_e32 v97, s18, v104
	v_max3_f32 v71, v71, v72, v78
	v_cndmask_b32_e64 v68, 0xff7fffff, v68, s9
	v_cndmask_b32_e64 v70, 0xff7fffff, v70, s10
	;; [unrolled: 1-line block ×4, first 2 shown]
	v_cmp_gt_i32_e64 s13, s17, v90
	v_cmp_gt_i32_e64 s15, s17, v91
	v_max3_f32 v68, v71, v68, v70
	v_cmp_gt_i32_e64 s16, s17, v76
	v_cmp_gt_i32_e64 s17, s17, v77
	v_cndmask_b32_e64 v70, 0xff7fffff, v97, s13
	v_cndmask_b32_e64 v71, 0xff7fffff, v96, s15
	v_max3_f32 v68, v68, v72, v78
	v_cndmask_b32_e64 v72, 0xff7fffff, v95, s16
	v_cndmask_b32_e64 v76, 0xff7fffff, v94, s17
	s_delay_alu instid0(VALU_DEP_3) | instskip(NEXT) | instid1(VALU_DEP_1)
	v_max3_f32 v68, v68, v70, v71
	v_max3_f32 v68, v68, v72, v76
	ds_bpermute_b32 v69, v89, v68
	s_waitcnt lgkmcnt(0)
	v_max_f32_e32 v69, v69, v69
	s_delay_alu instid0(VALU_DEP_1) | instskip(NEXT) | instid1(VALU_DEP_1)
	v_max_f32_e32 v68, v68, v69
	v_fma_f32 v69, s18, v124, -v68
	v_fma_f32 v70, s18, v125, -v68
	;; [unrolled: 1-line block ×5, first 2 shown]
	s_delay_alu instid0(VALU_DEP_4) | instskip(NEXT) | instid1(VALU_DEP_4)
	v_dual_mul_f32 v69, 0x3fb8aa3b, v69 :: v_dual_mul_f32 v70, 0x3fb8aa3b, v70
	v_mul_f32_e32 v72, 0x3fb8aa3b, v72
	v_fma_f32 v78, s18, v130, -v68
	s_delay_alu instid0(VALU_DEP_4) | instskip(NEXT) | instid1(VALU_DEP_4)
	v_mul_f32_e32 v77, 0x3fb8aa3b, v76
	v_exp_f32_e32 v69, v69
	v_exp_f32_e32 v70, v70
	v_mul_f32_e32 v71, 0x3fb8aa3b, v71
	v_exp_f32_e32 v72, v72
	v_mul_f32_e32 v78, 0x3fb8aa3b, v78
	v_exp_f32_e32 v77, v77
	v_fma_f32 v81, s18, v105, -v68
	s_delay_alu instid0(VALU_DEP_2)
	v_exp_f32_e32 v78, v78
	v_cndmask_b32_e64 v80, 0, v69, s2
	v_cndmask_b32_e32 v76, 0, v70, vcc_lo
	v_exp_f32_e32 v71, v71
	v_fma_f32 v69, s18, v129, -v68
	v_cndmask_b32_e64 v85, 0, v72, s4
	v_add_f32_e32 v70, 0, v80
	s_delay_alu instid0(TRANS32_DEP_3)
	v_cndmask_b32_e64 v86, 0, v77, s5
	v_fma_f32 v77, s18, v101, -v68
	v_mul_f32_e32 v69, 0x3fb8aa3b, v69
	v_fma_f32 v72, s18, v100, -v68
	v_cndmask_b32_e64 v84, 0, v78, s7
	v_fma_f32 v78, s18, v103, -v68
	v_cndmask_b32_e64 v83, 0, v71, s3
	v_fma_f32 v71, s18, v131, -v68
	v_add_f32_e32 v70, v70, v76
	v_exp_f32_e32 v69, v69
	v_mul_f32_e32 v77, 0x3fb8aa3b, v77
	v_mul_f32_e32 v81, 0x3fb8aa3b, v81
	;; [unrolled: 1-line block ×3, first 2 shown]
	v_add_f32_e32 v70, v70, v83
	s_mov_b32 s2, exec_lo
	v_exp_f32_e32 v77, v77
	v_exp_f32_e32 v81, v81
	;; [unrolled: 1-line block ×3, first 2 shown]
	v_cndmask_b32_e64 v87, 0, v69, s6
	v_add_f32_e32 v70, v70, v85
	s_delay_alu instid0(VALU_DEP_1) | instskip(SKIP_1) | instid1(VALU_DEP_2)
	v_dual_mul_f32 v72, 0x3fb8aa3b, v72 :: v_dual_add_f32 v69, v70, v86
	v_fma_f32 v70, s18, v102, -v68
	v_exp_f32_e32 v72, v72
	s_waitcnt_depctr 0xfff
	v_cndmask_b32_e64 v88, 0, v71, s8
	v_fma_f32 v71, s18, v104, -v68
	v_dual_add_f32 v69, v69, v87 :: v_dual_mul_f32 v70, 0x3fb8aa3b, v70
	s_delay_alu instid0(VALU_DEP_2) | instskip(NEXT) | instid1(VALU_DEP_2)
	v_dual_mul_f32 v78, 0x3fb8aa3b, v78 :: v_dual_mul_f32 v71, 0x3fb8aa3b, v71
	v_add_f32_e32 v69, v69, v84
	s_delay_alu instid0(VALU_DEP_3) | instskip(SKIP_1) | instid1(VALU_DEP_3)
	v_exp_f32_e32 v79, v70
	v_cndmask_b32_e64 v70, 0, v72, s9
	v_exp_f32_e32 v78, v78
	v_exp_f32_e32 v82, v71
	v_add_f32_e32 v72, v69, v88
	v_cndmask_b32_e64 v69, 0, v77, s10
	v_fma_f32 v77, s18, v106, -v68
	s_delay_alu instid0(VALU_DEP_3) | instskip(NEXT) | instid1(TRANS32_DEP_3)
	v_add_f32_e32 v72, v72, v70
	v_cndmask_b32_e64 v71, 0, v79, s11
	s_delay_alu instid0(VALU_DEP_3) | instskip(NEXT) | instid1(VALU_DEP_3)
	v_mul_f32_e32 v77, 0x3fb8aa3b, v77
	v_add_f32_e32 v79, v72, v69
	s_delay_alu instid0(TRANS32_DEP_2) | instskip(NEXT) | instid1(VALU_DEP_3)
	v_cndmask_b32_e64 v72, 0, v78, s12
	v_exp_f32_e32 v90, v77
	v_cndmask_b32_e64 v77, 0, v82, s13
	s_delay_alu instid0(VALU_DEP_3) | instskip(SKIP_1) | instid1(VALU_DEP_1)
	v_add_f32_e32 v78, v79, v71
	v_fma_f32 v79, s18, v107, -v68
	v_dual_add_f32 v82, v78, v72 :: v_dual_mul_f32 v79, 0x3fb8aa3b, v79
	v_cndmask_b32_e64 v78, 0, v81, s15
	s_delay_alu instid0(VALU_DEP_2) | instskip(NEXT) | instid1(VALU_DEP_3)
	v_add_f32_e32 v81, v82, v77
	v_exp_f32_e32 v82, v79
	s_delay_alu instid0(TRANS32_DEP_2) | instskip(NEXT) | instid1(VALU_DEP_2)
	v_cndmask_b32_e64 v79, 0, v90, s16
	v_add_f32_e32 v81, v81, v78
	s_delay_alu instid0(VALU_DEP_1) | instskip(SKIP_2) | instid1(VALU_DEP_1)
	v_add_f32_e32 v90, v81, v79
	s_waitcnt_depctr 0xfff
	v_cndmask_b32_e64 v81, 0, v82, s17
	v_add_f32_e32 v82, v90, v81
	ds_bpermute_b32 v89, v89, v82
	v_cmpx_gt_u32_e32 16, v67
	s_cbranch_execz .LBB1535_12
; %bb.11:
	v_mul_u32_u24_e32 v67, 0x44, v66
	s_delay_alu instid0(VALU_DEP_1) | instskip(SKIP_1) | instid1(VALU_DEP_1)
	v_lshl_add_u32 v67, v65, 2, v67
	s_waitcnt lgkmcnt(0)
	v_dual_add_f32 v82, v82, v89 :: v_dual_add_nc_u32 v67, 0x4000, v67
	ds_store_2addr_b32 v67, v68, v82 offset1:136
.LBB1535_12:
	s_or_b32 exec_lo, exec_lo, s2
	v_lshlrev_b32_e32 v67, 2, v65
	s_waitcnt lgkmcnt(0)
	s_barrier
	buffer_gl0_inv
	v_cmp_eq_u32_e32 vcc_lo, 1, v66
	v_add_nc_u32_e32 v82, 0x4000, v67
	v_cmp_eq_u32_e64 s2, 2, v66
	v_cmp_eq_u32_e64 s4, 7, v66
	ds_load_2addr_b32 v[89:90], v82 offset1:17
	ds_load_2addr_b32 v[91:92], v82 offset0:34 offset1:51
	ds_load_2addr_b32 v[93:94], v82 offset0:68 offset1:85
	;; [unrolled: 1-line block ×4, first 2 shown]
	s_waitcnt lgkmcnt(4)
	v_max3_f32 v67, v89, 0xff7fffff, v90
	s_waitcnt lgkmcnt(3)
	s_delay_alu instid0(VALU_DEP_1) | instskip(SKIP_1) | instid1(VALU_DEP_1)
	v_max3_f32 v67, v67, v91, v92
	s_waitcnt lgkmcnt(2)
	v_max3_f32 v67, v67, v93, v94
	s_waitcnt lgkmcnt(1)
	s_delay_alu instid0(VALU_DEP_1) | instskip(NEXT) | instid1(VALU_DEP_1)
	v_max3_f32 v67, v67, v95, v96
	v_sub_f32_e32 v93, v93, v67
	s_delay_alu instid0(VALU_DEP_1) | instskip(NEXT) | instid1(VALU_DEP_1)
	v_dual_sub_f32 v68, v89, v67 :: v_dual_mul_f32 v103, 0x3fb8aa3b, v93
	v_mul_f32_e32 v68, 0x3fb8aa3b, v68
	s_delay_alu instid0(VALU_DEP_1)
	v_exp_f32_e32 v100, v68
	v_sub_f32_e32 v68, v92, v67
	v_sub_f32_e32 v99, v90, v67
	ds_load_2addr_b32 v[89:90], v82 offset0:170 offset1:187
	v_dual_mul_f32 v102, 0x3fb8aa3b, v68 :: v_dual_mul_f32 v99, 0x3fb8aa3b, v99
	s_waitcnt lgkmcnt(1)
	v_fma_f32 v68, v100, v97, 0
	s_delay_alu instid0(VALU_DEP_2) | instskip(NEXT) | instid1(VALU_DEP_2)
	v_exp_f32_e32 v102, v102
	v_exp_f32_e32 v99, v99
	s_waitcnt_depctr 0xfff
	v_fmac_f32_e32 v68, v99, v98
	v_sub_f32_e32 v91, v91, v67
	s_delay_alu instid0(VALU_DEP_1)
	v_mul_f32_e32 v101, 0x3fb8aa3b, v91
	ds_load_2addr_b32 v[91:92], v82 offset0:204 offset1:221
	v_sub_f32_e32 v97, v94, v67
	ds_load_2addr_b32 v[93:94], v82 offset0:238 offset1:255
	s_waitcnt lgkmcnt(0)
	v_exp_f32_e32 v101, v101
	s_barrier
	buffer_gl0_inv
	v_dual_fmac_f32 v68, v101, v89 :: v_dual_sub_f32 v89, v96, v67
	v_dual_sub_f32 v82, v95, v67 :: v_dual_mul_f32 v95, 0x3fb8aa3b, v97
	v_exp_f32_e32 v97, v103
	s_delay_alu instid0(VALU_DEP_2) | instskip(NEXT) | instid1(VALU_DEP_2)
	v_dual_fmac_f32 v68, v102, v90 :: v_dual_mul_f32 v89, 0x3fb8aa3b, v89
	v_mul_f32_e32 v82, 0x3fb8aa3b, v82
	s_delay_alu instid0(VALU_DEP_3) | instskip(NEXT) | instid1(VALU_DEP_2)
	v_exp_f32_e32 v95, v95
	v_exp_f32_e32 v89, v89
	s_delay_alu instid0(VALU_DEP_1)
	v_exp_f32_e32 v82, v82
	v_fmac_f32_e32 v68, v97, v91
	s_delay_alu instid0(TRANS32_DEP_3) | instid1(VALU_DEP_1)
	v_fmac_f32_e32 v68, v95, v92
	s_waitcnt_depctr 0xfff
	v_fmac_f32_e32 v68, v82, v93
	s_delay_alu instid0(VALU_DEP_1) | instskip(NEXT) | instid1(VALU_DEP_1)
	v_fmac_f32_e32 v68, v89, v94
	v_add_f32_e32 v90, 0x358637bd, v68
	s_delay_alu instid0(VALU_DEP_1) | instskip(NEXT) | instid1(VALU_DEP_1)
	v_div_scale_f32 v91, null, v90, v90, 1.0
	v_rcp_f32_e32 v92, v91
	s_waitcnt_depctr 0xfff
	v_fma_f32 v93, -v91, v92, 1.0
	s_delay_alu instid0(VALU_DEP_1) | instskip(SKIP_1) | instid1(VALU_DEP_2)
	v_dual_fmac_f32 v92, v93, v92 :: v_dual_cndmask_b32 v93, v100, v99
	v_cmp_eq_u32_e32 vcc_lo, 3, v66
	v_cndmask_b32_e64 v93, v93, v101, s2
	v_cmp_eq_u32_e64 s2, 4, v66
	s_delay_alu instid0(VALU_DEP_2) | instskip(SKIP_1) | instid1(VALU_DEP_2)
	v_cndmask_b32_e32 v93, v93, v102, vcc_lo
	v_cmp_eq_u32_e32 vcc_lo, 5, v66
	v_cndmask_b32_e64 v93, v93, v97, s2
	v_cmp_eq_u32_e64 s2, 6, v66
	s_delay_alu instid0(VALU_DEP_2) | instskip(SKIP_1) | instid1(VALU_DEP_1)
	v_cndmask_b32_e32 v93, v93, v95, vcc_lo
	v_div_scale_f32 v94, s3, 1.0, v90, 1.0
	s_mov_b32 vcc_lo, s3
	s_delay_alu instid0(VALU_DEP_2) | instskip(NEXT) | instid1(VALU_DEP_2)
	v_cndmask_b32_e64 v82, v93, v82, s2
	v_mul_f32_e32 v96, v94, v92
	s_mov_b32 s2, exec_lo
	s_delay_alu instid0(VALU_DEP_2) | instskip(NEXT) | instid1(VALU_DEP_2)
	v_cndmask_b32_e64 v82, v82, v89, s4
	v_fma_f32 v98, -v91, v96, v94
	s_delay_alu instid0(VALU_DEP_1) | instskip(NEXT) | instid1(VALU_DEP_1)
	v_fmac_f32_e32 v96, v98, v92
	v_fma_f32 v91, -v91, v96, v94
	s_delay_alu instid0(VALU_DEP_1) | instskip(NEXT) | instid1(VALU_DEP_1)
	v_div_fmas_f32 v91, v91, v92, v96
	v_div_fixup_f32 v90, v91, v90, 1.0
	s_delay_alu instid0(VALU_DEP_1) | instskip(NEXT) | instid1(VALU_DEP_1)
	v_mul_f32_e32 v82, v82, v90
	v_mul_f32_e32 v87, v82, v87
	;; [unrolled: 1-line block ×7, first 2 shown]
	v_dual_mul_f32 v86, v82, v83 :: v_dual_and_b32 v91, 0x7f800000, v90
	v_mul_f32_e32 v85, v82, v76
                                        ; implicit-def: $vgpr76
	s_delay_alu instid0(VALU_DEP_2)
	v_cmpx_ne_u32_e32 0x7f800000, v91
	s_xor_b32 s2, exec_lo, s2
; %bb.13:
	v_bfe_u32 v76, v90, 16, 1
	s_delay_alu instid0(VALU_DEP_1)
	v_add3_u32 v76, v90, v76, 0x7fff
                                        ; implicit-def: $vgpr90
; %bb.14:
	s_and_not1_saveexec_b32 s2, s2
; %bb.15:
	v_and_b32_e32 v76, 0xffff, v90
	v_or_b32_e32 v83, 0x10000, v90
	s_delay_alu instid0(VALU_DEP_2) | instskip(NEXT) | instid1(VALU_DEP_2)
	v_cmp_eq_u32_e32 vcc_lo, 0, v76
	v_cndmask_b32_e32 v76, v83, v90, vcc_lo
; %bb.16:
	s_or_b32 exec_lo, exec_lo, s2
	v_and_b32_e32 v83, 0x7f800000, v85
	s_delay_alu instid0(VALU_DEP_1) | instskip(SKIP_1) | instid1(SALU_CYCLE_1)
	v_cmp_ne_u32_e32 vcc_lo, 0x7f800000, v83
                                        ; implicit-def: $vgpr83
	s_and_saveexec_b32 s2, vcc_lo
	s_xor_b32 s2, exec_lo, s2
; %bb.17:
	v_bfe_u32 v83, v85, 16, 1
	s_delay_alu instid0(VALU_DEP_1)
	v_add3_u32 v83, v85, v83, 0x7fff
                                        ; implicit-def: $vgpr85
; %bb.18:
	s_and_not1_saveexec_b32 s2, s2
; %bb.19:
	v_and_b32_e32 v83, 0xffff, v85
	v_or_b32_e32 v90, 0x10000, v85
	s_delay_alu instid0(VALU_DEP_2) | instskip(NEXT) | instid1(VALU_DEP_2)
	v_cmp_eq_u32_e32 vcc_lo, 0, v83
	v_cndmask_b32_e32 v83, v90, v85, vcc_lo
; %bb.20:
	s_or_b32 exec_lo, exec_lo, s2
	v_and_b32_e32 v85, 0x7f800000, v86
	s_delay_alu instid0(VALU_DEP_1) | instskip(SKIP_1) | instid1(SALU_CYCLE_1)
	v_cmp_ne_u32_e32 vcc_lo, 0x7f800000, v85
                                        ; implicit-def: $vgpr85
	s_and_saveexec_b32 s2, vcc_lo
	s_xor_b32 s2, exec_lo, s2
; %bb.21:
	v_bfe_u32 v85, v86, 16, 1
	s_delay_alu instid0(VALU_DEP_1)
	v_add3_u32 v85, v86, v85, 0x7fff
                                        ; implicit-def: $vgpr86
; %bb.22:
	s_and_not1_saveexec_b32 s2, s2
; %bb.23:
	v_and_b32_e32 v85, 0xffff, v86
	v_or_b32_e32 v90, 0x10000, v86
	s_delay_alu instid0(VALU_DEP_2) | instskip(NEXT) | instid1(VALU_DEP_2)
	v_cmp_eq_u32_e32 vcc_lo, 0, v85
	v_cndmask_b32_e32 v85, v90, v86, vcc_lo
; %bb.24:
	s_or_b32 exec_lo, exec_lo, s2
	v_and_b32_e32 v86, 0x7f800000, v89
	s_delay_alu instid0(VALU_DEP_1) | instskip(SKIP_1) | instid1(SALU_CYCLE_1)
	v_cmp_ne_u32_e32 vcc_lo, 0x7f800000, v86
                                        ; implicit-def: $vgpr86
	s_and_saveexec_b32 s2, vcc_lo
	s_xor_b32 s2, exec_lo, s2
; %bb.25:
	v_bfe_u32 v86, v89, 16, 1
	s_delay_alu instid0(VALU_DEP_1)
	v_add3_u32 v86, v89, v86, 0x7fff
                                        ; implicit-def: $vgpr89
; %bb.26:
	s_and_not1_saveexec_b32 s2, s2
; %bb.27:
	v_and_b32_e32 v86, 0xffff, v89
	v_or_b32_e32 v90, 0x10000, v89
	s_delay_alu instid0(VALU_DEP_2) | instskip(NEXT) | instid1(VALU_DEP_2)
	v_cmp_eq_u32_e32 vcc_lo, 0, v86
	v_cndmask_b32_e32 v86, v90, v89, vcc_lo
; %bb.28:
	s_or_b32 exec_lo, exec_lo, s2
	v_and_b32_e32 v89, 0x7f800000, v88
	s_delay_alu instid0(VALU_DEP_1) | instskip(SKIP_1) | instid1(SALU_CYCLE_1)
	v_cmp_ne_u32_e32 vcc_lo, 0x7f800000, v89
                                        ; implicit-def: $vgpr89
	s_and_saveexec_b32 s2, vcc_lo
	s_xor_b32 s2, exec_lo, s2
; %bb.29:
	v_bfe_u32 v89, v88, 16, 1
	s_delay_alu instid0(VALU_DEP_1)
	v_add3_u32 v89, v88, v89, 0x7fff
                                        ; implicit-def: $vgpr88
; %bb.30:
	s_and_not1_saveexec_b32 s2, s2
; %bb.31:
	v_and_b32_e32 v89, 0xffff, v88
	v_or_b32_e32 v90, 0x10000, v88
	s_delay_alu instid0(VALU_DEP_2) | instskip(NEXT) | instid1(VALU_DEP_2)
	v_cmp_eq_u32_e32 vcc_lo, 0, v89
	v_cndmask_b32_e32 v89, v90, v88, vcc_lo
; %bb.32:
	s_or_b32 exec_lo, exec_lo, s2
	v_and_b32_e32 v88, 0x7f800000, v87
	s_delay_alu instid0(VALU_DEP_1) | instskip(SKIP_1) | instid1(SALU_CYCLE_1)
	v_cmp_ne_u32_e32 vcc_lo, 0x7f800000, v88
                                        ; implicit-def: $vgpr88
	s_and_saveexec_b32 s2, vcc_lo
	s_xor_b32 s2, exec_lo, s2
; %bb.33:
	v_bfe_u32 v88, v87, 16, 1
	s_delay_alu instid0(VALU_DEP_1)
	v_add3_u32 v88, v87, v88, 0x7fff
                                        ; implicit-def: $vgpr87
; %bb.34:
	s_and_not1_saveexec_b32 s2, s2
; %bb.35:
	v_and_b32_e32 v88, 0xffff, v87
	v_or_b32_e32 v90, 0x10000, v87
	s_delay_alu instid0(VALU_DEP_2) | instskip(NEXT) | instid1(VALU_DEP_2)
	v_cmp_eq_u32_e32 vcc_lo, 0, v88
	v_cndmask_b32_e32 v88, v90, v87, vcc_lo
; %bb.36:
	s_or_b32 exec_lo, exec_lo, s2
	v_and_b32_e32 v87, 0x7f800000, v84
	s_delay_alu instid0(VALU_DEP_1) | instskip(SKIP_1) | instid1(SALU_CYCLE_1)
	v_cmp_ne_u32_e32 vcc_lo, 0x7f800000, v87
                                        ; implicit-def: $vgpr87
	s_and_saveexec_b32 s2, vcc_lo
	s_xor_b32 s2, exec_lo, s2
; %bb.37:
	v_bfe_u32 v87, v84, 16, 1
	s_delay_alu instid0(VALU_DEP_1)
	v_add3_u32 v87, v84, v87, 0x7fff
                                        ; implicit-def: $vgpr84
; %bb.38:
	s_and_not1_saveexec_b32 s2, s2
; %bb.39:
	v_and_b32_e32 v87, 0xffff, v84
	v_or_b32_e32 v90, 0x10000, v84
	s_delay_alu instid0(VALU_DEP_2) | instskip(NEXT) | instid1(VALU_DEP_2)
	v_cmp_eq_u32_e32 vcc_lo, 0, v87
	v_cndmask_b32_e32 v87, v90, v84, vcc_lo
; %bb.40:
	s_or_b32 exec_lo, exec_lo, s2
	v_and_b32_e32 v84, 0x7f800000, v80
	s_delay_alu instid0(VALU_DEP_1) | instskip(SKIP_1) | instid1(SALU_CYCLE_1)
	v_cmp_ne_u32_e32 vcc_lo, 0x7f800000, v84
                                        ; implicit-def: $vgpr84
	s_and_saveexec_b32 s2, vcc_lo
	s_xor_b32 s2, exec_lo, s2
; %bb.41:
	v_bfe_u32 v84, v80, 16, 1
	s_delay_alu instid0(VALU_DEP_1)
	v_add3_u32 v84, v80, v84, 0x7fff
                                        ; implicit-def: $vgpr80
; %bb.42:
	s_and_not1_saveexec_b32 s2, s2
; %bb.43:
	v_and_b32_e32 v84, 0xffff, v80
	v_or_b32_e32 v90, 0x10000, v80
	s_delay_alu instid0(VALU_DEP_2) | instskip(NEXT) | instid1(VALU_DEP_2)
	v_cmp_eq_u32_e32 vcc_lo, 0, v84
	v_cndmask_b32_e32 v84, v90, v80, vcc_lo
; %bb.44:
	s_or_b32 exec_lo, exec_lo, s2
	s_load_b64 s[34:35], s[0:1], 0x94
	v_lshlrev_b32_e32 v91, 4, v74
	s_delay_alu instid0(VALU_DEP_2)
	v_perm_b32 v90, v84, v87, 0x7060302
	v_dual_mul_f32 v79, v82, v79 :: v_dual_lshlrev_b32 v80, 6, v65
	v_dual_mul_f32 v77, v82, v77 :: v_dual_lshlrev_b32 v92, 11, v66
	v_mul_f32_e32 v84, v82, v70
	v_perm_b32 v89, v88, v89, 0x7060302
	v_perm_b32 v88, v86, v85, 0x7060302
	;; [unrolled: 1-line block ×3, first 2 shown]
	v_mul_f32_e32 v70, v82, v81
	v_or3_b32 v76, v91, v92, v80
	v_dual_mul_f32 v78, v82, v78 :: v_dual_and_b32 v85, 0x7f800000, v84
	v_mul_f32_e32 v83, v82, v72
	v_mul_f32_e32 v81, v82, v71
	;; [unrolled: 1-line block ×3, first 2 shown]
	s_mov_b32 s2, exec_lo
	ds_store_b128 v76, v[87:90]
                                        ; implicit-def: $vgpr69
	v_cmpx_ne_u32_e32 0x7f800000, v85
	s_xor_b32 s2, exec_lo, s2
; %bb.45:
	v_bfe_u32 v69, v84, 16, 1
	s_delay_alu instid0(VALU_DEP_1)
	v_add3_u32 v69, v84, v69, 0x7fff
                                        ; implicit-def: $vgpr84
; %bb.46:
	s_and_not1_saveexec_b32 s2, s2
; %bb.47:
	v_and_b32_e32 v69, 0xffff, v84
	v_or_b32_e32 v71, 0x10000, v84
	s_delay_alu instid0(VALU_DEP_2) | instskip(NEXT) | instid1(VALU_DEP_2)
	v_cmp_eq_u32_e32 vcc_lo, 0, v69
	v_cndmask_b32_e32 v69, v71, v84, vcc_lo
; %bb.48:
	s_or_b32 exec_lo, exec_lo, s2
	v_and_b32_e32 v71, 0x7f800000, v72
	s_delay_alu instid0(VALU_DEP_1) | instskip(SKIP_1) | instid1(SALU_CYCLE_1)
	v_cmp_ne_u32_e32 vcc_lo, 0x7f800000, v71
                                        ; implicit-def: $vgpr71
	s_and_saveexec_b32 s2, vcc_lo
	s_xor_b32 s2, exec_lo, s2
; %bb.49:
	v_bfe_u32 v71, v72, 16, 1
	s_delay_alu instid0(VALU_DEP_1)
	v_add3_u32 v71, v72, v71, 0x7fff
                                        ; implicit-def: $vgpr72
; %bb.50:
	s_and_not1_saveexec_b32 s2, s2
; %bb.51:
	v_and_b32_e32 v71, 0xffff, v72
	v_or_b32_e32 v82, 0x10000, v72
	s_delay_alu instid0(VALU_DEP_2) | instskip(NEXT) | instid1(VALU_DEP_2)
	v_cmp_eq_u32_e32 vcc_lo, 0, v71
	v_cndmask_b32_e32 v71, v82, v72, vcc_lo
; %bb.52:
	s_or_b32 exec_lo, exec_lo, s2
	v_and_b32_e32 v72, 0x7f800000, v81
	s_delay_alu instid0(VALU_DEP_1) | instskip(SKIP_1) | instid1(SALU_CYCLE_1)
	v_cmp_ne_u32_e32 vcc_lo, 0x7f800000, v72
                                        ; implicit-def: $vgpr72
	s_and_saveexec_b32 s2, vcc_lo
	s_xor_b32 s2, exec_lo, s2
; %bb.53:
	v_bfe_u32 v72, v81, 16, 1
	s_delay_alu instid0(VALU_DEP_1)
	v_add3_u32 v72, v81, v72, 0x7fff
                                        ; implicit-def: $vgpr81
; %bb.54:
	s_and_not1_saveexec_b32 s2, s2
; %bb.55:
	v_and_b32_e32 v72, 0xffff, v81
	v_or_b32_e32 v82, 0x10000, v81
	s_delay_alu instid0(VALU_DEP_2) | instskip(NEXT) | instid1(VALU_DEP_2)
	v_cmp_eq_u32_e32 vcc_lo, 0, v72
	v_cndmask_b32_e32 v72, v82, v81, vcc_lo
; %bb.56:
	s_or_b32 exec_lo, exec_lo, s2
	v_and_b32_e32 v81, 0x7f800000, v83
	s_delay_alu instid0(VALU_DEP_1) | instskip(SKIP_1) | instid1(SALU_CYCLE_1)
	v_cmp_ne_u32_e32 vcc_lo, 0x7f800000, v81
                                        ; implicit-def: $vgpr81
	s_and_saveexec_b32 s2, vcc_lo
	s_xor_b32 s2, exec_lo, s2
; %bb.57:
	v_bfe_u32 v81, v83, 16, 1
	s_delay_alu instid0(VALU_DEP_1)
	v_add3_u32 v81, v83, v81, 0x7fff
                                        ; implicit-def: $vgpr83
; %bb.58:
	s_and_not1_saveexec_b32 s2, s2
; %bb.59:
	v_and_b32_e32 v81, 0xffff, v83
	v_or_b32_e32 v82, 0x10000, v83
	s_delay_alu instid0(VALU_DEP_2) | instskip(NEXT) | instid1(VALU_DEP_2)
	v_cmp_eq_u32_e32 vcc_lo, 0, v81
	v_cndmask_b32_e32 v81, v82, v83, vcc_lo
; %bb.60:
	s_or_b32 exec_lo, exec_lo, s2
	v_and_b32_e32 v82, 0x7f800000, v77
	s_delay_alu instid0(VALU_DEP_1) | instskip(SKIP_1) | instid1(SALU_CYCLE_1)
	v_cmp_ne_u32_e32 vcc_lo, 0x7f800000, v82
                                        ; implicit-def: $vgpr82
	s_and_saveexec_b32 s2, vcc_lo
	s_xor_b32 s2, exec_lo, s2
; %bb.61:
	v_bfe_u32 v82, v77, 16, 1
	s_delay_alu instid0(VALU_DEP_1)
	v_add3_u32 v82, v77, v82, 0x7fff
                                        ; implicit-def: $vgpr77
; %bb.62:
	s_and_not1_saveexec_b32 s2, s2
; %bb.63:
	v_and_b32_e32 v82, 0xffff, v77
	v_or_b32_e32 v83, 0x10000, v77
	s_delay_alu instid0(VALU_DEP_2) | instskip(NEXT) | instid1(VALU_DEP_2)
	v_cmp_eq_u32_e32 vcc_lo, 0, v82
	v_cndmask_b32_e32 v82, v83, v77, vcc_lo
; %bb.64:
	s_or_b32 exec_lo, exec_lo, s2
	v_and_b32_e32 v77, 0x7f800000, v78
	s_delay_alu instid0(VALU_DEP_1) | instskip(SKIP_1) | instid1(SALU_CYCLE_1)
	v_cmp_ne_u32_e32 vcc_lo, 0x7f800000, v77
                                        ; implicit-def: $vgpr77
	s_and_saveexec_b32 s2, vcc_lo
	s_xor_b32 s2, exec_lo, s2
; %bb.65:
	v_bfe_u32 v77, v78, 16, 1
	s_delay_alu instid0(VALU_DEP_1)
	v_add3_u32 v77, v78, v77, 0x7fff
                                        ; implicit-def: $vgpr78
; %bb.66:
	s_and_not1_saveexec_b32 s2, s2
; %bb.67:
	v_and_b32_e32 v77, 0xffff, v78
	v_or_b32_e32 v83, 0x10000, v78
	s_delay_alu instid0(VALU_DEP_2) | instskip(NEXT) | instid1(VALU_DEP_2)
	v_cmp_eq_u32_e32 vcc_lo, 0, v77
	v_cndmask_b32_e32 v77, v83, v78, vcc_lo
; %bb.68:
	s_or_b32 exec_lo, exec_lo, s2
	v_and_b32_e32 v78, 0x7f800000, v79
	s_delay_alu instid0(VALU_DEP_1) | instskip(SKIP_1) | instid1(SALU_CYCLE_1)
	v_cmp_ne_u32_e32 vcc_lo, 0x7f800000, v78
                                        ; implicit-def: $vgpr78
	s_and_saveexec_b32 s2, vcc_lo
	s_xor_b32 s2, exec_lo, s2
; %bb.69:
	v_bfe_u32 v78, v79, 16, 1
	s_delay_alu instid0(VALU_DEP_1)
	v_add3_u32 v78, v79, v78, 0x7fff
                                        ; implicit-def: $vgpr79
; %bb.70:
	s_and_not1_saveexec_b32 s2, s2
; %bb.71:
	v_and_b32_e32 v78, 0xffff, v79
	v_or_b32_e32 v83, 0x10000, v79
	s_delay_alu instid0(VALU_DEP_2) | instskip(NEXT) | instid1(VALU_DEP_2)
	v_cmp_eq_u32_e32 vcc_lo, 0, v78
	v_cndmask_b32_e32 v78, v83, v79, vcc_lo
; %bb.72:
	s_or_b32 exec_lo, exec_lo, s2
	v_and_b32_e32 v79, 0x7f800000, v70
	s_delay_alu instid0(VALU_DEP_1) | instskip(SKIP_1) | instid1(SALU_CYCLE_1)
	v_cmp_ne_u32_e32 vcc_lo, 0x7f800000, v79
                                        ; implicit-def: $vgpr79
	s_and_saveexec_b32 s2, vcc_lo
	s_xor_b32 s2, exec_lo, s2
; %bb.73:
	v_bfe_u32 v79, v70, 16, 1
	s_delay_alu instid0(VALU_DEP_1)
	v_add3_u32 v79, v70, v79, 0x7fff
                                        ; implicit-def: $vgpr70
; %bb.74:
	s_and_not1_saveexec_b32 s2, s2
; %bb.75:
	v_and_b32_e32 v79, 0xffff, v70
	v_or_b32_e32 v83, 0x10000, v70
	s_delay_alu instid0(VALU_DEP_2) | instskip(NEXT) | instid1(VALU_DEP_2)
	v_cmp_eq_u32_e32 vcc_lo, 0, v79
	v_cndmask_b32_e32 v79, v83, v70, vcc_lo
; %bb.76:
	s_or_b32 exec_lo, exec_lo, s2
	s_delay_alu instid0(VALU_DEP_1)
	v_perm_b32 v86, v79, v78, 0x7060302
	v_perm_b32 v85, v77, v82, 0x7060302
	;; [unrolled: 1-line block ×4, first 2 shown]
	v_lshl_or_b32 v82, v66, 11, v80
	ds_store_b128 v76, v[83:86] offset:1024
	s_waitcnt lgkmcnt(0)
	s_barrier
	buffer_gl0_inv
	ds_load_b128 v[69:72], v82
	ds_load_b128 v[83:86], v82 offset:16
	s_waitcnt lgkmcnt(1)
	v_lshrrev_b32_e32 v66, 16, v69
	s_waitcnt lgkmcnt(0)
	v_lshrrev_b32_e32 v91, 16, v83
	v_lshlrev_b32_e32 v78, 2, v74
	v_lshrrev_b32_e32 v95, 16, v70
	v_lshrrev_b32_e32 v98, 16, v84
	;; [unrolled: 1-line block ×4, first 2 shown]
	v_cmp_eq_u32_e32 vcc_lo, 1, v78
	v_lshrrev_b32_e32 v97, 16, v72
	v_lshrrev_b32_e32 v100, 16, v86
	v_cndmask_b32_e32 v87, v83, v91, vcc_lo
	v_or_b32_e32 v79, 1, v78
	v_cndmask_b32_e32 v81, v69, v66, vcc_lo
	v_cmp_eq_u32_e64 s3, 2, v78
	v_cmp_eq_u32_e64 s6, 3, v78
	;; [unrolled: 1-line block ×5, first 2 shown]
	v_cndmask_b32_e64 v81, v81, v70, s3
	v_cndmask_b32_e64 v87, v87, v84, s3
	v_cmp_eq_u32_e64 s7, 3, v79
	v_cndmask_b32_e64 v88, v69, v66, s2
	v_or_b32_e32 v77, 2, v78
	v_cndmask_b32_e64 v81, v81, v95, s6
	v_cndmask_b32_e64 v87, v87, v98, s6
	;; [unrolled: 1-line block ×4, first 2 shown]
	v_cmp_eq_u32_e64 s9, 5, v78
	v_cndmask_b32_e64 v81, v81, v71, s8
	v_cndmask_b32_e64 v87, v87, v85, s8
	v_cmp_eq_u32_e64 s10, 4, v79
	v_cndmask_b32_e64 v88, v88, v95, s7
	v_cmp_eq_u32_e64 s4, 1, v77
	v_cndmask_b32_e64 v89, v89, v84, s5
	v_cndmask_b32_e64 v81, v81, v96, s9
	v_cmp_eq_u32_e64 s11, 6, v78
	v_cndmask_b32_e64 v88, v88, v71, s10
	;; [unrolled: 3-line block ×3, first 2 shown]
	v_cndmask_b32_e64 v89, v89, v98, s7
	v_cndmask_b32_e64 v81, v81, v72, s11
	v_cmp_eq_u32_e64 s13, 7, v78
	v_cndmask_b32_e64 v88, v88, v96, s12
	v_cndmask_b32_e64 v87, v87, v86, s11
	v_cmp_eq_u32_e64 s15, 6, v79
	v_cmp_eq_u32_e64 s16, 2, v77
	v_cndmask_b32_e64 v89, v89, v85, s10
	v_cndmask_b32_e64 v101, v81, v97, s13
	;; [unrolled: 1-line block ×6, first 2 shown]
	v_cmp_eq_u32_e64 s17, 7, v79
	v_cmp_eq_u32_e64 s18, 3, v77
	;; [unrolled: 1-line block ×4, first 2 shown]
	v_cndmask_b32_e64 v87, v87, v84, s16
	v_cndmask_b32_e64 v103, v88, v97, s17
	;; [unrolled: 1-line block ×4, first 2 shown]
	v_or_b32_e32 v81, 3, v78
	v_cndmask_b32_e64 v93, v87, v98, s18
	v_cmp_eq_u32_e64 s23, 6, v77
	v_cndmask_b32_e64 v104, v88, v86, s15
	v_cndmask_b32_e64 v92, v89, v71, s19
	v_cmp_eq_u32_e64 s20, 1, v81
	ds_load_b128 v[87:90], v82 offset:1024
	v_cmp_eq_u32_e64 s22, 2, v81
	v_cmp_eq_u32_e64 s24, 3, v81
	v_cndmask_b32_e64 v105, v92, v96, s21
	v_cndmask_b32_e64 v66, v69, v66, s20
	;; [unrolled: 1-line block ×4, first 2 shown]
	ds_load_b128 v[91:94], v82 offset:1040
	v_cmp_eq_u32_e64 s25, 4, v81
	v_cndmask_b32_e64 v66, v66, v70, s22
	v_cmp_eq_u32_e64 s26, 7, v77
	v_cndmask_b32_e64 v70, v83, v84, s22
	v_cndmask_b32_e64 v84, v105, v72, s23
	v_cmp_eq_u32_e64 s27, 5, v81
	v_cndmask_b32_e64 v66, v66, v95, s24
	v_cmp_eq_u32_e64 s28, 6, v81
	v_cndmask_b32_e64 v70, v70, v98, s24
	v_cndmask_b32_e64 v69, v69, v99, s21
	;; [unrolled: 1-line block ×4, first 2 shown]
	s_waitcnt lgkmcnt(1)
	v_lshrrev_b32_e32 v95, 16, v87
	v_cndmask_b32_e64 v70, v70, v85, s25
	v_cndmask_b32_e64 v71, v84, v97, s26
	;; [unrolled: 1-line block ×4, first 2 shown]
	v_cndmask_b32_e32 v84, v87, v95, vcc_lo
	v_cndmask_b32_e64 v70, v70, v99, s27
	s_waitcnt lgkmcnt(0)
	v_lshrrev_b32_e32 v85, 16, v91
	v_lshrrev_b32_e32 v96, 16, v88
	v_cndmask_b32_e64 v98, v87, v95, s2
	v_cndmask_b32_e64 v84, v84, v88, s3
	;; [unrolled: 1-line block ×3, first 2 shown]
	v_cndmask_b32_e32 v99, v91, v85, vcc_lo
	v_cmp_eq_u32_e32 vcc_lo, 7, v81
	v_cndmask_b32_e64 v66, v66, v72, s28
	v_cndmask_b32_e64 v72, v84, v96, s6
	;; [unrolled: 1-line block ×3, first 2 shown]
	v_lshrrev_b32_e32 v98, 16, v92
	v_cndmask_b32_e32 v70, v70, v100, vcc_lo
	v_cndmask_b32_e64 v86, v99, v92, s3
	v_cndmask_b32_e64 v69, v69, v100, s26
	v_lshrrev_b32_e32 v100, 16, v93
	v_cndmask_b32_e64 v72, v72, v89, s8
	v_lshrrev_b32_e32 v99, 16, v89
	v_cndmask_b32_e64 v86, v86, v98, s6
	v_perm_b32 v71, v69, v71, 0x5040100
	v_cndmask_b32_e64 v84, v84, v96, s7
	s_delay_alu instid0(VALU_DEP_3) | instskip(NEXT) | instid1(VALU_DEP_2)
	v_cndmask_b32_e64 v86, v86, v93, s8
	v_cndmask_b32_e64 v84, v84, v89, s10
	s_delay_alu instid0(VALU_DEP_2) | instskip(NEXT) | instid1(VALU_DEP_1)
	v_cndmask_b32_e64 v86, v86, v100, s9
	v_cndmask_b32_e64 v69, v86, v94, s11
	;; [unrolled: 1-line block ×5, first 2 shown]
	s_delay_alu instid0(VALU_DEP_3) | instskip(NEXT) | instid1(VALU_DEP_3)
	v_cndmask_b32_e64 v86, v86, v88, s16
	v_cndmask_b32_e64 v87, v87, v88, s22
	s_delay_alu instid0(VALU_DEP_3) | instskip(NEXT) | instid1(VALU_DEP_3)
	v_cndmask_b32_e64 v88, v95, v92, s22
	v_cndmask_b32_e64 v86, v86, v96, s18
	;; [unrolled: 3-line block ×7, first 2 shown]
	s_delay_alu instid0(VALU_DEP_3) | instskip(SKIP_2) | instid1(VALU_DEP_2)
	v_cndmask_b32_e64 v88, v88, v94, s28
	v_cndmask_b32_e32 v66, v66, v97, vcc_lo
	v_cndmask_b32_e64 v97, v72, v99, s9
	v_perm_b32 v72, v70, v66, 0x5040100
	v_perm_b32 v70, v83, v103, 0x5040100
	v_cndmask_b32_e64 v103, v91, v85, s4
	v_cndmask_b32_e64 v85, v91, v85, s2
	;; [unrolled: 1-line block ×4, first 2 shown]
	v_lshrrev_b32_e32 v97, 16, v90
	v_cndmask_b32_e64 v91, v103, v92, s16
	v_cndmask_b32_e64 v85, v85, v92, s5
	;; [unrolled: 1-line block ×3, first 2 shown]
	s_mov_b32 s2, exec_lo
	v_cndmask_b32_e64 v83, v84, v97, s13
	v_cndmask_b32_e64 v91, v91, v98, s18
	;; [unrolled: 1-line block ×3, first 2 shown]
	v_lshrrev_b32_e32 v84, 16, v94
	v_cndmask_b32_e64 v66, v66, v97, s17
	v_cndmask_b32_e64 v90, v86, v97, s26
	v_cndmask_b32_e64 v89, v91, v93, s19
	v_cndmask_b32_e64 v85, v85, v93, s10
	v_dual_cndmask_b32 v86, v87, v97 :: v_dual_cndmask_b32 v87, v88, v84
	v_cndmask_b32_e64 v91, v69, v84, s13
	s_delay_alu instid0(VALU_DEP_4) | instskip(NEXT) | instid1(VALU_DEP_4)
	v_cndmask_b32_e64 v89, v89, v100, s21
	v_cndmask_b32_e64 v85, v85, v100, s12
	v_perm_b32 v69, v102, v101, 0x5040100
	v_perm_b32 v86, v87, v86, 0x5040100
	;; [unrolled: 1-line block ×3, first 2 shown]
	v_cndmask_b32_e64 v89, v89, v94, s23
	v_cndmask_b32_e64 v85, v85, v94, s15
	s_mul_i32 s7, s35, 10
	s_delay_alu instid0(VALU_DEP_2) | instskip(NEXT) | instid1(VALU_DEP_2)
	v_cndmask_b32_e64 v88, v89, v84, s26
	v_cndmask_b32_e64 v89, v85, v84, s17
	s_delay_alu instid0(VALU_DEP_2) | instskip(NEXT) | instid1(VALU_DEP_2)
	v_perm_b32 v85, v88, v90, 0x5040100
	v_perm_b32 v84, v89, v66, 0x5040100
	ds_store_b128 v76, v[69:72]
	ds_store_b128 v76, v[83:86] offset:1024
	v_cmpx_gt_u32_e32 10, v0
	s_cbranch_execz .LBB1535_78
; %bb.77:
	s_mul_i32 s3, s7, s30
	s_load_b128 s[8:11], s[0:1], 0x58
	v_add3_u32 v69, s3, s29, v65
	s_delay_alu instid0(VALU_DEP_1) | instskip(NEXT) | instid1(VALU_DEP_1)
	v_mad_u64_u32 v[65:66], null, v69, s34, s[14:15]
	v_ashrrev_i32_e32 v66, 31, v65
	s_delay_alu instid0(VALU_DEP_1) | instskip(SKIP_1) | instid1(VALU_DEP_1)
	v_lshlrev_b64 v[65:66], 2, v[65:66]
	s_waitcnt lgkmcnt(0)
	v_add_co_u32 v69, vcc_lo, s10, v65
	s_delay_alu instid0(VALU_DEP_2)
	v_add_co_ci_u32_e32 v70, vcc_lo, s11, v66, vcc_lo
	v_add_co_u32 v65, vcc_lo, s8, v65
	v_add_co_ci_u32_e32 v66, vcc_lo, s9, v66, vcc_lo
	global_store_b32 v[69:70], v67, off
	global_store_b32 v[65:66], v68, off
.LBB1535_78:
	s_or_b32 exec_lo, exec_lo, s2
	s_waitcnt lgkmcnt(0)
	s_waitcnt_vscnt null, 0x0
	s_barrier
	buffer_gl0_inv
	ds_load_b128 v[83:86], v80
	ds_load_b128 v[87:90], v80 offset:16
	ds_load_b128 v[95:98], v80 offset:2064
	;; [unrolled: 1-line block ×3, first 2 shown]
	v_mov_b32_e32 v65, 0
	ds_load_b128 v[103:106], v80 offset:4112
	ds_load_b128 v[99:102], v80 offset:4096
	;; [unrolled: 1-line block ×4, first 2 shown]
	v_mov_b32_e32 v66, v65
	v_mov_b32_e32 v67, v65
	;; [unrolled: 1-line block ×7, first 2 shown]
	s_waitcnt lgkmcnt(6)
	s_delay_alu instid0(VALU_DEP_1)
	v_wmma_f32_16x16x16_bf16 v[65:72], v[49:56], v[83:90], v[65:72]
	ds_load_b128 v[53:56], v80 offset:8208
	ds_load_b128 v[49:52], v80 offset:8192
	s_waitcnt lgkmcnt(6)
	v_wmma_f32_16x16x16_bf16 v[65:72], v[41:48], v[91:98], v[65:72]
	ds_load_b128 v[45:48], v80 offset:10256
	ds_load_b128 v[41:44], v80 offset:10240
	s_waitcnt lgkmcnt(6)
	v_wmma_f32_16x16x16_bf16 v[65:72], v[33:40], v[99:106], v[65:72]
	ds_load_b128 v[37:40], v80 offset:12304
	ds_load_b128 v[33:36], v80 offset:12288
	s_waitcnt lgkmcnt(6)
	v_wmma_f32_16x16x16_bf16 v[65:72], v[25:32], v[107:114], v[65:72]
	ds_load_b128 v[29:32], v80 offset:14352
	ds_load_b128 v[25:28], v80 offset:14336
	s_waitcnt lgkmcnt(6)
	v_wmma_f32_16x16x16_bf16 v[65:72], v[1:8], v[49:56], v[65:72]
	s_waitcnt lgkmcnt(4)
	s_delay_alu instid0(VALU_DEP_1) | instskip(SKIP_1) | instid1(VALU_DEP_1)
	v_wmma_f32_16x16x16_bf16 v[65:72], v[9:16], v[41:48], v[65:72]
	s_waitcnt lgkmcnt(2)
	v_wmma_f32_16x16x16_bf16 v[65:72], v[17:24], v[33:40], v[65:72]
	s_waitcnt lgkmcnt(0)
	s_delay_alu instid0(VALU_DEP_1) | instskip(NEXT) | instid1(VALU_DEP_1)
	v_wmma_f32_16x16x16_bf16 v[65:72], v[57:64], v[25:32], v[65:72]
	v_and_b32_e32 v1, 0x7f800000, v65
	s_delay_alu instid0(VALU_DEP_1) | instskip(SKIP_1) | instid1(SALU_CYCLE_1)
	v_cmp_ne_u32_e32 vcc_lo, 0x7f800000, v1
                                        ; implicit-def: $vgpr1
	s_and_saveexec_b32 s2, vcc_lo
	s_xor_b32 s2, exec_lo, s2
; %bb.79:
	v_bfe_u32 v1, v65, 16, 1
	s_delay_alu instid0(VALU_DEP_1)
	v_add3_u32 v1, v65, v1, 0x7fff
; %bb.80:
	s_and_not1_saveexec_b32 s2, s2
; %bb.81:
	v_and_b32_e32 v1, 0xffff, v65
	v_or_b32_e32 v2, 0x10000, v65
	s_delay_alu instid0(VALU_DEP_2) | instskip(NEXT) | instid1(VALU_DEP_2)
	v_cmp_eq_u32_e32 vcc_lo, 0, v1
	v_cndmask_b32_e32 v1, v2, v65, vcc_lo
; %bb.82:
	s_or_b32 exec_lo, exec_lo, s2
	v_and_b32_e32 v2, 0x7f800000, v66
	s_delay_alu instid0(VALU_DEP_1) | instskip(SKIP_1) | instid1(SALU_CYCLE_1)
	v_cmp_ne_u32_e32 vcc_lo, 0x7f800000, v2
                                        ; implicit-def: $vgpr2
	s_and_saveexec_b32 s2, vcc_lo
	s_xor_b32 s2, exec_lo, s2
; %bb.83:
	v_bfe_u32 v2, v66, 16, 1
	s_delay_alu instid0(VALU_DEP_1)
	v_add3_u32 v2, v66, v2, 0x7fff
; %bb.84:
	s_and_not1_saveexec_b32 s2, s2
; %bb.85:
	v_and_b32_e32 v2, 0xffff, v66
	v_or_b32_e32 v3, 0x10000, v66
	s_delay_alu instid0(VALU_DEP_2) | instskip(NEXT) | instid1(VALU_DEP_2)
	v_cmp_eq_u32_e32 vcc_lo, 0, v2
	v_cndmask_b32_e32 v2, v3, v66, vcc_lo
; %bb.86:
	s_or_b32 exec_lo, exec_lo, s2
	v_and_b32_e32 v3, 0x7f800000, v67
	s_delay_alu instid0(VALU_DEP_1) | instskip(SKIP_1) | instid1(SALU_CYCLE_1)
	v_cmp_ne_u32_e32 vcc_lo, 0x7f800000, v3
                                        ; implicit-def: $vgpr3
	s_and_saveexec_b32 s2, vcc_lo
	s_xor_b32 s2, exec_lo, s2
; %bb.87:
	v_bfe_u32 v3, v67, 16, 1
	s_delay_alu instid0(VALU_DEP_1)
	v_add3_u32 v3, v67, v3, 0x7fff
; %bb.88:
	s_and_not1_saveexec_b32 s2, s2
; %bb.89:
	v_and_b32_e32 v3, 0xffff, v67
	v_or_b32_e32 v4, 0x10000, v67
	s_delay_alu instid0(VALU_DEP_2) | instskip(NEXT) | instid1(VALU_DEP_2)
	v_cmp_eq_u32_e32 vcc_lo, 0, v3
	v_cndmask_b32_e32 v3, v4, v67, vcc_lo
; %bb.90:
	s_or_b32 exec_lo, exec_lo, s2
	v_and_b32_e32 v4, 0x7f800000, v68
	s_delay_alu instid0(VALU_DEP_1) | instskip(SKIP_1) | instid1(SALU_CYCLE_1)
	v_cmp_ne_u32_e32 vcc_lo, 0x7f800000, v4
                                        ; implicit-def: $vgpr4
	s_and_saveexec_b32 s2, vcc_lo
	s_xor_b32 s2, exec_lo, s2
; %bb.91:
	v_bfe_u32 v4, v68, 16, 1
	s_delay_alu instid0(VALU_DEP_1)
	v_add3_u32 v4, v68, v4, 0x7fff
; %bb.92:
	s_and_not1_saveexec_b32 s2, s2
; %bb.93:
	v_and_b32_e32 v4, 0xffff, v68
	v_or_b32_e32 v5, 0x10000, v68
	s_delay_alu instid0(VALU_DEP_2) | instskip(NEXT) | instid1(VALU_DEP_2)
	v_cmp_eq_u32_e32 vcc_lo, 0, v4
	v_cndmask_b32_e32 v4, v5, v68, vcc_lo
; %bb.94:
	s_or_b32 exec_lo, exec_lo, s2
	v_and_b32_e32 v5, 0x7f800000, v69
	s_delay_alu instid0(VALU_DEP_1) | instskip(SKIP_1) | instid1(SALU_CYCLE_1)
	v_cmp_ne_u32_e32 vcc_lo, 0x7f800000, v5
                                        ; implicit-def: $vgpr5
	s_and_saveexec_b32 s2, vcc_lo
	s_xor_b32 s2, exec_lo, s2
; %bb.95:
	v_bfe_u32 v5, v69, 16, 1
	s_delay_alu instid0(VALU_DEP_1)
	v_add3_u32 v5, v69, v5, 0x7fff
; %bb.96:
	s_and_not1_saveexec_b32 s2, s2
; %bb.97:
	v_and_b32_e32 v5, 0xffff, v69
	v_or_b32_e32 v6, 0x10000, v69
	s_delay_alu instid0(VALU_DEP_2) | instskip(NEXT) | instid1(VALU_DEP_2)
	v_cmp_eq_u32_e32 vcc_lo, 0, v5
	v_cndmask_b32_e32 v5, v6, v69, vcc_lo
; %bb.98:
	s_or_b32 exec_lo, exec_lo, s2
	v_and_b32_e32 v6, 0x7f800000, v70
	s_delay_alu instid0(VALU_DEP_1) | instskip(SKIP_1) | instid1(SALU_CYCLE_1)
	v_cmp_ne_u32_e32 vcc_lo, 0x7f800000, v6
                                        ; implicit-def: $vgpr6
	s_and_saveexec_b32 s2, vcc_lo
	s_xor_b32 s2, exec_lo, s2
; %bb.99:
	v_bfe_u32 v6, v70, 16, 1
	s_delay_alu instid0(VALU_DEP_1)
	v_add3_u32 v6, v70, v6, 0x7fff
; %bb.100:
	s_and_not1_saveexec_b32 s2, s2
; %bb.101:
	v_and_b32_e32 v6, 0xffff, v70
	v_or_b32_e32 v7, 0x10000, v70
	s_delay_alu instid0(VALU_DEP_2) | instskip(NEXT) | instid1(VALU_DEP_2)
	v_cmp_eq_u32_e32 vcc_lo, 0, v6
	v_cndmask_b32_e32 v6, v7, v70, vcc_lo
; %bb.102:
	s_or_b32 exec_lo, exec_lo, s2
	v_and_b32_e32 v7, 0x7f800000, v71
	s_delay_alu instid0(VALU_DEP_1) | instskip(SKIP_1) | instid1(SALU_CYCLE_1)
	v_cmp_ne_u32_e32 vcc_lo, 0x7f800000, v7
                                        ; implicit-def: $vgpr7
	s_and_saveexec_b32 s2, vcc_lo
	s_xor_b32 s2, exec_lo, s2
; %bb.103:
	v_bfe_u32 v7, v71, 16, 1
	s_delay_alu instid0(VALU_DEP_1)
	v_add3_u32 v7, v71, v7, 0x7fff
; %bb.104:
	s_and_not1_saveexec_b32 s2, s2
; %bb.105:
	v_and_b32_e32 v7, 0xffff, v71
	v_or_b32_e32 v8, 0x10000, v71
	s_delay_alu instid0(VALU_DEP_2) | instskip(NEXT) | instid1(VALU_DEP_2)
	v_cmp_eq_u32_e32 vcc_lo, 0, v7
	v_cndmask_b32_e32 v7, v8, v71, vcc_lo
; %bb.106:
	s_or_b32 exec_lo, exec_lo, s2
	v_and_b32_e32 v8, 0x7f800000, v72
	s_delay_alu instid0(VALU_DEP_1) | instskip(SKIP_1) | instid1(SALU_CYCLE_1)
	v_cmp_ne_u32_e32 vcc_lo, 0x7f800000, v8
                                        ; implicit-def: $vgpr8
	s_and_saveexec_b32 s2, vcc_lo
	s_xor_b32 s2, exec_lo, s2
; %bb.107:
	v_bfe_u32 v8, v72, 16, 1
	s_delay_alu instid0(VALU_DEP_1)
	v_add3_u32 v8, v72, v8, 0x7fff
                                        ; implicit-def: $vgpr65_vgpr66_vgpr67_vgpr68_vgpr69_vgpr70_vgpr71_vgpr72
; %bb.108:
	s_and_not1_saveexec_b32 s2, s2
; %bb.109:
	v_and_b32_e32 v8, 0xffff, v72
	v_or_b32_e32 v9, 0x10000, v72
	s_delay_alu instid0(VALU_DEP_2) | instskip(NEXT) | instid1(VALU_DEP_2)
	v_cmp_eq_u32_e32 vcc_lo, 0, v8
	v_cndmask_b32_e32 v8, v9, v72, vcc_lo
; %bb.110:
	s_or_b32 exec_lo, exec_lo, s2
	s_delay_alu instid0(VALU_DEP_1)
	v_perm_b32 v7, v8, v7, 0x7060302
	v_perm_b32 v6, v6, v5, 0x7060302
	;; [unrolled: 1-line block ×4, first 2 shown]
	s_barrier
	buffer_gl0_inv
	v_cmp_eq_u32_e32 vcc_lo, 1, v78
	ds_store_b128 v76, v[4:7]
	s_waitcnt lgkmcnt(0)
	s_barrier
	buffer_gl0_inv
	ds_load_b128 v[1:4], v82
	ds_load_b128 v[5:8], v82 offset:16
	v_cmp_eq_u32_e64 s2, 1, v79
	v_cmp_eq_u32_e64 s3, 2, v78
	;; [unrolled: 1-line block ×5, first 2 shown]
	s_waitcnt lgkmcnt(1)
	v_lshrrev_b32_e32 v9, 16, v1
	s_waitcnt lgkmcnt(0)
	v_lshrrev_b32_e32 v13, 16, v5
	v_lshrrev_b32_e32 v10, 16, v2
	;; [unrolled: 1-line block ×4, first 2 shown]
	v_cndmask_b32_e64 v19, v1, v9, s2
	v_cndmask_b32_e32 v18, v5, v13, vcc_lo
	v_cndmask_b32_e64 v20, v5, v13, s2
	v_cndmask_b32_e32 v17, v1, v9, vcc_lo
	v_cmp_eq_u32_e32 vcc_lo, 2, v79
	v_lshrrev_b32_e32 v15, 16, v7
	v_cmp_eq_u32_e64 s2, 1, v77
	v_lshrrev_b32_e32 v12, 16, v4
	v_lshrrev_b32_e32 v16, 16, v8
	v_cndmask_b32_e32 v20, v20, v6, vcc_lo
	v_cndmask_b32_e64 v17, v17, v2, s3
	v_cndmask_b32_e32 v19, v19, v2, vcc_lo
	v_cndmask_b32_e64 v18, v18, v6, s3
	v_cmp_eq_u32_e32 vcc_lo, 4, v78
	v_cmp_eq_u32_e64 s3, 3, v79
	v_cndmask_b32_e64 v17, v17, v10, s4
	v_cndmask_b32_e64 v21, v1, v9, s2
	;; [unrolled: 1-line block ×5, first 2 shown]
	v_cndmask_b32_e32 v17, v17, v3, vcc_lo
	v_cndmask_b32_e64 v20, v20, v14, s3
	v_cndmask_b32_e32 v18, v18, v7, vcc_lo
	v_cmp_eq_u32_e32 vcc_lo, 4, v79
	v_cmp_eq_u32_e64 s3, 5, v79
	v_cmp_eq_u32_e64 s2, 2, v81
	v_cndmask_b32_e64 v21, v21, v2, s6
	v_cmp_eq_u32_e64 s4, 5, v78
	v_cndmask_b32_e32 v19, v19, v3, vcc_lo
	v_cndmask_b32_e32 v20, v20, v7, vcc_lo
	v_cmp_eq_u32_e32 vcc_lo, 6, v79
	s_delay_alu instid0(VALU_DEP_4) | instskip(NEXT) | instid1(VALU_DEP_4)
	v_cndmask_b32_e64 v17, v17, v11, s4
	v_cndmask_b32_e64 v19, v19, v11, s3
	s_delay_alu instid0(VALU_DEP_4) | instskip(SKIP_1) | instid1(VALU_DEP_3)
	v_cndmask_b32_e64 v20, v20, v15, s3
	v_cmp_eq_u32_e64 s3, 1, v81
	v_cndmask_b32_e32 v19, v19, v4, vcc_lo
	v_cndmask_b32_e64 v18, v18, v15, s4
	s_delay_alu instid0(VALU_DEP_3)
	v_cndmask_b32_e64 v1, v1, v9, s3
	v_cndmask_b32_e64 v5, v5, v13, s3
	v_cmp_eq_u32_e64 s3, 3, v77
	v_cndmask_b32_e64 v13, v22, v6, s6
	v_cmp_eq_u32_e64 s6, 3, v81
	v_cndmask_b32_e64 v1, v1, v2, s2
	v_cndmask_b32_e64 v2, v5, v6, s2
	;; [unrolled: 1-line block ×3, first 2 shown]
	v_cmp_eq_u32_e64 s2, 4, v77
	v_cndmask_b32_e64 v6, v13, v14, s3
	v_cndmask_b32_e64 v1, v1, v10, s6
	v_cmp_eq_u32_e64 s3, 4, v81
	v_cndmask_b32_e64 v2, v2, v14, s6
	v_cndmask_b32_e64 v5, v9, v3, s2
	;; [unrolled: 3-line block ×3, first 2 shown]
	v_cndmask_b32_e64 v2, v2, v7, s3
	v_cmp_eq_u32_e64 s2, 5, v81
	v_cmp_eq_u32_e64 s4, 6, v78
	v_cndmask_b32_e64 v5, v5, v11, s6
	v_cmp_eq_u32_e64 s3, 6, v77
	v_cndmask_b32_e64 v3, v6, v15, s6
	v_cndmask_b32_e64 v1, v1, v11, s2
	v_cmp_eq_u32_e64 s6, 6, v81
	v_cndmask_b32_e64 v2, v2, v15, s2
	v_cndmask_b32_e64 v17, v17, v4, s4
	v_cndmask_b32_e64 v18, v18, v8, s4
	v_cmp_eq_u32_e64 s4, 7, v78
	v_cndmask_b32_e64 v5, v5, v4, s3
	;; [unrolled: 4-line block ×3, first 2 shown]
	v_cmp_eq_u32_e64 s3, 7, v77
	v_cndmask_b32_e32 v4, v20, v8, vcc_lo
	v_cndmask_b32_e64 v17, v17, v12, s4
	v_cndmask_b32_e64 v19, v19, v12, s5
	v_cndmask_b32_e64 v1, v1, v12, s2
	v_cndmask_b32_e64 v5, v5, v12, s3
	v_cndmask_b32_e64 v2, v2, v16, s2
	v_cndmask_b32_e64 v3, v3, v16, s3
	v_cndmask_b32_e64 v6, v4, v16, s5
	v_cndmask_b32_e64 v7, v18, v16, s4
	s_mov_b32 s2, exec_lo
	v_perm_b32 v4, v2, v1, 0x5040100
	v_perm_b32 v3, v3, v5, 0x5040100
	;; [unrolled: 1-line block ×4, first 2 shown]
	ds_store_b128 v76, v[1:4]
	s_waitcnt lgkmcnt(0)
	s_barrier
	buffer_gl0_inv
	v_cmpx_gt_u32_e32 32, v0
	s_cbranch_execz .LBB1535_2
; %bb.111:
	s_load_b64 s[0:1], s[0:1], 0x68
	s_lshl_b32 s4, s34, 7
	v_or_b32_e32 v2, s29, v74
	s_mul_i32 s2, s4, s30
	v_lshlrev_b32_e32 v0, 10, v0
	s_mul_i32 s2, s2, s7
	v_lshlrev_b32_e32 v1, 4, v75
	s_ashr_i32 s3, s2, 31
	v_mul_lo_u32 v20, v2, s4
	s_lshl_b64 s[2:3], s[2:3], 1
	v_lshlrev_b32_e32 v3, 6, v74
	v_and_b32_e32 v0, 0x3800, v0
	s_delay_alu instid0(VALU_DEP_1) | instskip(NEXT) | instid1(VALU_DEP_4)
	v_or3_b32 v16, v0, v1, v3
	v_ashrrev_i32_e32 v21, 31, v20
	ds_load_b128 v[0:3], v16
	ds_load_b128 v[4:7], v16 offset:128
	s_waitcnt lgkmcnt(0)
	s_add_u32 s2, s0, s2
	s_addc_u32 s3, s1, s3
	s_lshl_b32 s0, s14, 7
	ds_load_b128 v[8:11], v16 offset:256
	ds_load_b128 v[12:15], v16 offset:384
	;; [unrolled: 1-line block ×3, first 2 shown]
	s_ashr_i32 s1, s0, 31
	s_delay_alu instid0(SALU_CYCLE_1) | instskip(NEXT) | instid1(SALU_CYCLE_1)
	s_lshl_b64 s[0:1], s[0:1], 1
	s_add_u32 s0, s2, s0
	s_addc_u32 s1, s3, s1
	s_lshl_b32 s2, s34, 8
	v_add_co_u32 v30, s0, s0, v73
	v_add_nc_u32_e32 v22, s2, v20
	v_lshlrev_b64 v[20:21], 1, v[20:21]
	v_add_co_ci_u32_e64 v31, null, s1, 0, s0
	s_delay_alu instid0(VALU_DEP_3) | instskip(SKIP_1) | instid1(VALU_DEP_4)
	v_add_nc_u32_e32 v24, s2, v22
	v_ashrrev_i32_e32 v23, 31, v22
	v_add_co_u32 v20, vcc_lo, v30, v20
	s_delay_alu instid0(VALU_DEP_4) | instskip(NEXT) | instid1(VALU_DEP_4)
	v_add_co_ci_u32_e32 v21, vcc_lo, v31, v21, vcc_lo
	v_add_nc_u32_e32 v26, s2, v24
	v_ashrrev_i32_e32 v25, 31, v24
	v_lshlrev_b64 v[22:23], 1, v[22:23]
	s_delay_alu instid0(VALU_DEP_3) | instskip(SKIP_1) | instid1(VALU_DEP_4)
	v_add_nc_u32_e32 v28, s2, v26
	v_ashrrev_i32_e32 v27, 31, v26
	v_lshlrev_b64 v[24:25], 1, v[24:25]
	s_delay_alu instid0(VALU_DEP_4) | instskip(NEXT) | instid1(VALU_DEP_4)
	v_add_co_u32 v22, vcc_lo, v30, v22
	v_ashrrev_i32_e32 v29, 31, v28
	s_delay_alu instid0(VALU_DEP_4) | instskip(SKIP_2) | instid1(VALU_DEP_4)
	v_lshlrev_b64 v[26:27], 1, v[26:27]
	v_add_co_ci_u32_e32 v23, vcc_lo, v31, v23, vcc_lo
	v_add_co_u32 v24, vcc_lo, v30, v24
	v_lshlrev_b64 v[28:29], 1, v[28:29]
	v_add_co_ci_u32_e32 v25, vcc_lo, v31, v25, vcc_lo
	v_add_co_u32 v26, vcc_lo, v30, v26
	v_add_co_ci_u32_e32 v27, vcc_lo, v31, v27, vcc_lo
	s_delay_alu instid0(VALU_DEP_4)
	v_add_co_u32 v28, vcc_lo, v30, v28
	v_add_co_ci_u32_e32 v29, vcc_lo, v31, v29, vcc_lo
	s_clause 0x1
	global_store_b128 v[20:21], v[0:3], off
	global_store_b128 v[22:23], v[4:7], off
	s_waitcnt lgkmcnt(2)
	global_store_b128 v[24:25], v[8:11], off
	s_waitcnt lgkmcnt(1)
	;; [unrolled: 2-line block ×3, first 2 shown]
	global_store_b128 v[28:29], v[16:19], off
	s_nop 0
	s_sendmsg sendmsg(MSG_DEALLOC_VGPRS)
	s_endpgm
	.section	.rodata,"a",@progbits
	.p2align	6, 0x0
	.amdhsa_kernel _Z39paged_attention_ll4mi_QKV_mfma16_kernelI14__hip_bfloat16hLN4vllm18Fp8KVCacheDataTypeE1EhLi16ELi128ELi256ELb0ELi10EL8MFMAType1EEvPKT_PKT0_S9_ifPKiSB_SB_iPKfiiiPfSE_PS4_PT2_iSD_SD_
		.amdhsa_group_segment_fixed_size 17472
		.amdhsa_private_segment_fixed_size 0
		.amdhsa_kernarg_size 400
		.amdhsa_user_sgpr_count 13
		.amdhsa_user_sgpr_dispatch_ptr 0
		.amdhsa_user_sgpr_queue_ptr 0
		.amdhsa_user_sgpr_kernarg_segment_ptr 1
		.amdhsa_user_sgpr_dispatch_id 0
		.amdhsa_user_sgpr_private_segment_size 0
		.amdhsa_wavefront_size32 1
		.amdhsa_uses_dynamic_stack 0
		.amdhsa_enable_private_segment 0
		.amdhsa_system_sgpr_workgroup_id_x 1
		.amdhsa_system_sgpr_workgroup_id_y 1
		.amdhsa_system_sgpr_workgroup_id_z 1
		.amdhsa_system_sgpr_workgroup_info 0
		.amdhsa_system_vgpr_workitem_id 0
		.amdhsa_next_free_vgpr 140
		.amdhsa_next_free_sgpr 36
		.amdhsa_reserve_vcc 1
		.amdhsa_float_round_mode_32 0
		.amdhsa_float_round_mode_16_64 0
		.amdhsa_float_denorm_mode_32 3
		.amdhsa_float_denorm_mode_16_64 3
		.amdhsa_dx10_clamp 1
		.amdhsa_ieee_mode 1
		.amdhsa_fp16_overflow 0
		.amdhsa_workgroup_processor_mode 1
		.amdhsa_memory_ordered 1
		.amdhsa_forward_progress 0
		.amdhsa_shared_vgpr_count 0
		.amdhsa_exception_fp_ieee_invalid_op 0
		.amdhsa_exception_fp_denorm_src 0
		.amdhsa_exception_fp_ieee_div_zero 0
		.amdhsa_exception_fp_ieee_overflow 0
		.amdhsa_exception_fp_ieee_underflow 0
		.amdhsa_exception_fp_ieee_inexact 0
		.amdhsa_exception_int_div_zero 0
	.end_amdhsa_kernel
	.section	.text._Z39paged_attention_ll4mi_QKV_mfma16_kernelI14__hip_bfloat16hLN4vllm18Fp8KVCacheDataTypeE1EhLi16ELi128ELi256ELb0ELi10EL8MFMAType1EEvPKT_PKT0_S9_ifPKiSB_SB_iPKfiiiPfSE_PS4_PT2_iSD_SD_,"axG",@progbits,_Z39paged_attention_ll4mi_QKV_mfma16_kernelI14__hip_bfloat16hLN4vllm18Fp8KVCacheDataTypeE1EhLi16ELi128ELi256ELb0ELi10EL8MFMAType1EEvPKT_PKT0_S9_ifPKiSB_SB_iPKfiiiPfSE_PS4_PT2_iSD_SD_,comdat
.Lfunc_end1535:
	.size	_Z39paged_attention_ll4mi_QKV_mfma16_kernelI14__hip_bfloat16hLN4vllm18Fp8KVCacheDataTypeE1EhLi16ELi128ELi256ELb0ELi10EL8MFMAType1EEvPKT_PKT0_S9_ifPKiSB_SB_iPKfiiiPfSE_PS4_PT2_iSD_SD_, .Lfunc_end1535-_Z39paged_attention_ll4mi_QKV_mfma16_kernelI14__hip_bfloat16hLN4vllm18Fp8KVCacheDataTypeE1EhLi16ELi128ELi256ELb0ELi10EL8MFMAType1EEvPKT_PKT0_S9_ifPKiSB_SB_iPKfiiiPfSE_PS4_PT2_iSD_SD_
                                        ; -- End function
	.section	.AMDGPU.csdata,"",@progbits
; Kernel info:
; codeLenInByte = 8908
; NumSgprs: 38
; NumVgprs: 140
; ScratchSize: 0
; MemoryBound: 0
; FloatMode: 240
; IeeeMode: 1
; LDSByteSize: 17472 bytes/workgroup (compile time only)
; SGPRBlocks: 4
; VGPRBlocks: 17
; NumSGPRsForWavesPerEU: 38
; NumVGPRsForWavesPerEU: 140
; Occupancy: 10
; WaveLimiterHint : 1
; COMPUTE_PGM_RSRC2:SCRATCH_EN: 0
; COMPUTE_PGM_RSRC2:USER_SGPR: 13
; COMPUTE_PGM_RSRC2:TRAP_HANDLER: 0
; COMPUTE_PGM_RSRC2:TGID_X_EN: 1
; COMPUTE_PGM_RSRC2:TGID_Y_EN: 1
; COMPUTE_PGM_RSRC2:TGID_Z_EN: 1
; COMPUTE_PGM_RSRC2:TIDIG_COMP_CNT: 0
	.section	.text._Z39paged_attention_ll4mi_QKV_mfma16_kernelI14__hip_bfloat16hLN4vllm18Fp8KVCacheDataTypeE1EhLi16ELi128ELi256ELb0ELi11EL8MFMAType1EEvPKT_PKT0_S9_ifPKiSB_SB_iPKfiiiPfSE_PS4_PT2_iSD_SD_,"axG",@progbits,_Z39paged_attention_ll4mi_QKV_mfma16_kernelI14__hip_bfloat16hLN4vllm18Fp8KVCacheDataTypeE1EhLi16ELi128ELi256ELb0ELi11EL8MFMAType1EEvPKT_PKT0_S9_ifPKiSB_SB_iPKfiiiPfSE_PS4_PT2_iSD_SD_,comdat
	.protected	_Z39paged_attention_ll4mi_QKV_mfma16_kernelI14__hip_bfloat16hLN4vllm18Fp8KVCacheDataTypeE1EhLi16ELi128ELi256ELb0ELi11EL8MFMAType1EEvPKT_PKT0_S9_ifPKiSB_SB_iPKfiiiPfSE_PS4_PT2_iSD_SD_ ; -- Begin function _Z39paged_attention_ll4mi_QKV_mfma16_kernelI14__hip_bfloat16hLN4vllm18Fp8KVCacheDataTypeE1EhLi16ELi128ELi256ELb0ELi11EL8MFMAType1EEvPKT_PKT0_S9_ifPKiSB_SB_iPKfiiiPfSE_PS4_PT2_iSD_SD_
	.globl	_Z39paged_attention_ll4mi_QKV_mfma16_kernelI14__hip_bfloat16hLN4vllm18Fp8KVCacheDataTypeE1EhLi16ELi128ELi256ELb0ELi11EL8MFMAType1EEvPKT_PKT0_S9_ifPKiSB_SB_iPKfiiiPfSE_PS4_PT2_iSD_SD_
	.p2align	8
	.type	_Z39paged_attention_ll4mi_QKV_mfma16_kernelI14__hip_bfloat16hLN4vllm18Fp8KVCacheDataTypeE1EhLi16ELi128ELi256ELb0ELi11EL8MFMAType1EEvPKT_PKT0_S9_ifPKiSB_SB_iPKfiiiPfSE_PS4_PT2_iSD_SD_,@function
_Z39paged_attention_ll4mi_QKV_mfma16_kernelI14__hip_bfloat16hLN4vllm18Fp8KVCacheDataTypeE1EhLi16ELi128ELi256ELb0ELi11EL8MFMAType1EEvPKT_PKT0_S9_ifPKiSB_SB_iPKfiiiPfSE_PS4_PT2_iSD_SD_: ; @_Z39paged_attention_ll4mi_QKV_mfma16_kernelI14__hip_bfloat16hLN4vllm18Fp8KVCacheDataTypeE1EhLi16ELi128ELi256ELb0ELi11EL8MFMAType1EEvPKT_PKT0_S9_ifPKiSB_SB_iPKfiiiPfSE_PS4_PT2_iSD_SD_
; %bb.0:
	s_load_b64 s[4:5], s[0:1], 0x30
	s_mov_b32 s30, s13
	s_waitcnt lgkmcnt(0)
	s_cmp_lg_u64 s[4:5], 0
	s_cselect_b32 s13, -1, 0
	s_ashr_i32 s31, s30, 31
	s_cmp_eq_u64 s[4:5], 0
	s_cbranch_scc1 .LBB1536_3
; %bb.1:
	s_lshl_b64 s[2:3], s[30:31], 2
	s_delay_alu instid0(SALU_CYCLE_1) | instskip(SKIP_4) | instid1(SALU_CYCLE_1)
	s_add_u32 s2, s4, s2
	s_addc_u32 s3, s5, s3
	s_load_b64 s[2:3], s[2:3], 0x0
	s_waitcnt lgkmcnt(0)
	s_sub_i32 s2, s3, s2
	s_cmp_eq_u32 s2, 1
	s_cselect_b32 s2, -1, 0
	s_delay_alu instid0(SALU_CYCLE_1)
	s_and_not1_b32 vcc_lo, exec_lo, s2
	s_cbranch_vccz .LBB1536_4
.LBB1536_2:
	s_nop 0
	s_sendmsg sendmsg(MSG_DEALLOC_VGPRS)
	s_endpgm
.LBB1536_3:
.LBB1536_4:
	s_load_b64 s[2:3], s[0:1], 0x28
	s_lshl_b64 s[6:7], s[30:31], 2
	s_waitcnt lgkmcnt(0)
	s_add_u32 s2, s2, s6
	s_addc_u32 s3, s3, s7
	s_lshl_b32 s12, s14, 8
	s_load_b32 s17, s[2:3], 0x0
	s_waitcnt lgkmcnt(0)
	s_cmp_ge_i32 s12, s17
	s_cbranch_scc1 .LBB1536_2
; %bb.5:
	s_clause 0x1
	s_load_b128 s[8:11], s[0:1], 0x8
	s_load_b64 s[2:3], s[0:1], 0x20
	s_and_not1_b32 vcc_lo, exec_lo, s13
	s_cbranch_vccnz .LBB1536_7
; %bb.6:
	s_add_u32 s4, s4, s6
	s_addc_u32 s5, s5, s7
	s_load_b32 s13, s[4:5], 0x0
	s_branch .LBB1536_8
.LBB1536_7:
	s_mov_b32 s13, s30
.LBB1536_8:
	s_load_b128 s[4:7], s[0:1], 0x48
	v_and_b32_e32 v65, 15, v0
	v_lshrrev_b32_e32 v66, 5, v0
	v_bfe_u32 v74, v0, 4, 1
	v_and_b32_e32 v67, 31, v0
	v_and_b32_e32 v75, 1, v0
	v_lshlrev_b32_e32 v2, 3, v65
	s_mul_i32 s31, s15, 11
	v_lshl_or_b32 v1, v66, 1, v74
	s_waitcnt lgkmcnt(0)
	s_mov_b32 s7, exec_lo
	v_lshlrev_b32_e32 v73, 1, v2
	s_delay_alu instid0(VALU_DEP_2)
	v_cmpx_gt_u32_e32 11, v1
	s_cbranch_execz .LBB1536_10
; %bb.9:
	s_load_b64 s[18:19], s[0:1], 0x0
	v_add_lshl_u32 v2, v1, s31, 7
	s_mul_hi_i32 s21, s13, s4
	s_mul_i32 s20, s13, s4
	v_lshlrev_b32_e32 v6, 10, v65
	s_lshl_b64 s[20:21], s[20:21], 1
	v_ashrrev_i32_e32 v3, 31, v2
	v_lshlrev_b32_e32 v1, 6, v1
	v_lshlrev_b32_e32 v7, 10, v75
	v_and_b32_e32 v6, 0x3800, v6
	s_delay_alu instid0(VALU_DEP_4) | instskip(NEXT) | instid1(VALU_DEP_2)
	v_lshlrev_b64 v[2:3], 1, v[2:3]
	v_or3_b32 v1, v6, v7, v1
	s_waitcnt lgkmcnt(0)
	s_add_u32 s4, s18, s20
	s_addc_u32 s13, s19, s21
	s_delay_alu instid0(VALU_DEP_2) | instskip(SKIP_1) | instid1(VALU_DEP_2)
	v_add_co_u32 v2, vcc_lo, s4, v2
	v_add_co_ci_u32_e32 v3, vcc_lo, s13, v3, vcc_lo
	v_add_co_u32 v2, vcc_lo, v2, v73
	s_delay_alu instid0(VALU_DEP_2)
	v_add_co_ci_u32_e32 v3, vcc_lo, 0, v3, vcc_lo
	global_load_b128 v[2:5], v[2:3], off
	s_waitcnt vmcnt(0)
	ds_store_b128 v1, v[2:5]
.LBB1536_10:
	s_or_b32 exec_lo, exec_lo, s7
	v_and_b32_e32 v1, 0xef, v0
	s_add_i32 s4, s17, 15
	s_clause 0x1
	s_load_b32 s7, s[0:1], 0x38
	s_load_b32 s18, s[0:1], 0x1c
	s_ashr_i32 s13, s4, 31
	v_add_nc_u32_e32 v1, s12, v1
	s_lshr_b32 s13, s13, 28
	s_waitcnt lgkmcnt(0)
	s_add_i32 s4, s4, s13
	s_barrier
	v_ashrrev_i32_e32 v2, 31, v1
	v_or_b32_e32 v3, 16, v1
	s_ashr_i32 s4, s4, 4
	v_cmp_gt_i32_e32 vcc_lo, s17, v1
	s_add_i32 s4, s4, -1
	v_lshrrev_b32_e32 v2, 28, v2
	buffer_gl0_inv
	s_mul_i32 s15, s15, s6
	v_add_nc_u32_e32 v4, v1, v2
	s_mul_i32 s20, s30, s7
	s_delay_alu instid0(SALU_CYCLE_1) | instskip(NEXT) | instid1(VALU_DEP_1)
	s_ashr_i32 s21, s20, 31
	v_ashrrev_i32_e32 v4, 4, v4
	v_add_nc_u32_e32 v2, v3, v2
	s_lshl_b64 s[20:21], s[20:21], 2
	s_delay_alu instid0(SALU_CYCLE_1) | instskip(NEXT) | instid1(VALU_DEP_2)
	s_add_u32 s13, s2, s20
	v_cndmask_b32_e32 v1, s4, v4, vcc_lo
	s_delay_alu instid0(VALU_DEP_2)
	v_ashrrev_i32_e32 v2, 4, v2
	v_cmp_gt_i32_e32 vcc_lo, s17, v3
	s_addc_u32 s16, s3, s21
	s_ashr_i32 s19, s15, 31
	s_add_u32 s26, s8, s15
	s_addc_u32 s27, s9, s19
	v_cndmask_b32_e32 v3, s4, v2, vcc_lo
	v_ashrrev_i32_e32 v2, 31, v1
	s_lshl_b32 s2, s14, 4
	s_delay_alu instid0(SALU_CYCLE_1) | instskip(NEXT) | instid1(VALU_DEP_2)
	s_ashr_i32 s3, s2, 31
	v_ashrrev_i32_e32 v4, 31, v3
	s_delay_alu instid0(VALU_DEP_2) | instskip(SKIP_1) | instid1(SALU_CYCLE_1)
	v_lshlrev_b64 v[1:2], 2, v[1:2]
	s_lshl_b64 s[2:3], s[2:3], 2
	s_add_u32 s2, s13, s2
	s_delay_alu instid0(VALU_DEP_2) | instskip(SKIP_1) | instid1(VALU_DEP_2)
	v_lshlrev_b64 v[3:4], 2, v[3:4]
	s_addc_u32 s3, s16, s3
	v_add_co_u32 v1, vcc_lo, s13, v1
	v_add_co_ci_u32_e32 v2, vcc_lo, s16, v2, vcc_lo
	s_delay_alu instid0(VALU_DEP_3) | instskip(NEXT) | instid1(VALU_DEP_4)
	v_add_co_u32 v3, vcc_lo, s13, v3
	v_add_co_ci_u32_e32 v4, vcc_lo, s16, v4, vcc_lo
	s_clause 0x1
	global_load_b32 v5, v[1:2], off
	global_load_b32 v3, v[3:4], off
	s_or_b32 s6, s12, 32
	v_cmp_gt_u32_e32 vcc_lo, 11, v65
	s_ashr_i32 s7, s6, 4
	s_cmp_lt_i32 s6, s17
	s_cselect_b32 s6, s7, s4
	s_delay_alu instid0(SALU_CYCLE_1) | instskip(NEXT) | instid1(SALU_CYCLE_1)
	s_ashr_i32 s7, s6, 31
	s_lshl_b64 s[6:7], s[6:7], 2
	s_delay_alu instid0(SALU_CYCLE_1) | instskip(SKIP_2) | instid1(SALU_CYCLE_1)
	s_add_u32 s6, s13, s6
	s_addc_u32 s7, s16, s7
	s_or_b32 s8, s12, 64
	s_ashr_i32 s9, s8, 4
	s_cmp_lt_i32 s8, s17
	s_cselect_b32 s8, s9, s4
	s_delay_alu instid0(SALU_CYCLE_1) | instskip(NEXT) | instid1(SALU_CYCLE_1)
	s_ashr_i32 s9, s8, 31
	s_lshl_b64 s[8:9], s[8:9], 2
	s_delay_alu instid0(SALU_CYCLE_1) | instskip(SKIP_2) | instid1(SALU_CYCLE_1)
	s_add_u32 s8, s13, s8
	s_addc_u32 s9, s16, s9
	s_or_b32 s20, s12, 0x60
	;; [unrolled: 10-line block ×4, first 2 shown]
	s_ashr_i32 s25, s24, 4
	s_cmp_lt_i32 s24, s17
	s_cselect_b32 s24, s25, s4
	s_delay_alu instid0(SALU_CYCLE_1) | instskip(NEXT) | instid1(SALU_CYCLE_1)
	s_ashr_i32 s25, s24, 31
	s_lshl_b64 s[24:25], s[24:25], 2
	s_delay_alu instid0(SALU_CYCLE_1)
	s_add_u32 s24, s13, s24
	s_addc_u32 s25, s16, s25
	s_clause 0x5
	s_load_b32 s28, s[2:3], 0x0
	s_load_b32 s29, s[6:7], 0x0
	;; [unrolled: 1-line block ×6, first 2 shown]
	s_mov_b32 s20, 0
	s_or_b32 s2, s12, 0xc0
	s_mov_b32 s21, s20
	s_mov_b32 s22, s20
	;; [unrolled: 1-line block ×5, first 2 shown]
	v_lshlrev_b32_e32 v1, 4, v0
	s_ashr_i32 s3, s2, 4
	s_cmp_lt_i32 s2, s17
	s_cselect_b32 s2, s3, s4
	s_delay_alu instid0(VALU_DEP_1) | instskip(SKIP_1) | instid1(SALU_CYCLE_1)
	v_and_b32_e32 v1, 0xf0, v1
	s_ashr_i32 s3, s2, 31
	s_lshl_b64 s[2:3], s[2:3], 2
	s_delay_alu instid0(VALU_DEP_1) | instskip(NEXT) | instid1(VALU_DEP_1)
	v_add_co_u32 v1, s26, s26, v1
	v_add_co_ci_u32_e64 v2, null, s27, 0, s26
	s_add_u32 s2, s13, s2
	s_addc_u32 s3, s16, s3
	s_or_b32 s6, s12, 0xe0
	s_mov_b32 s27, s20
	s_ashr_i32 s7, s6, 4
	s_cmp_lt_i32 s6, s17
	s_mov_b32 s26, s20
	v_dual_mov_b32 v107, s27 :: v_dual_mov_b32 v100, s20
	s_cselect_b32 s6, s7, s4
	v_mov_b32_e32 v106, s26
	s_ashr_i32 s7, s6, 31
	v_mov_b32_e32 v104, s24
	s_lshl_b64 s[6:7], s[6:7], 2
	v_dual_mov_b32 v103, s23 :: v_dual_mov_b32 v102, s22
	v_mov_b32_e32 v101, s21
	s_waitcnt vmcnt(1)
	v_mad_i64_i32 v[33:34], null, v5, s5, v[1:2]
	s_waitcnt vmcnt(0)
	v_mad_i64_i32 v[35:36], null, v3, s5, v[1:2]
	s_clause 0xf
	global_load_b128 v[1:4], v[33:34], off
	global_load_b128 v[5:8], v[33:34], off offset:256
	global_load_b128 v[9:12], v[35:36], off
	global_load_b128 v[13:16], v[35:36], off offset:256
	global_load_b128 v[17:20], v[33:34], off offset:512
	;; [unrolled: 1-line block ×13, first 2 shown]
	v_add_nc_u32_e32 v33, -11, v65
	v_lshlrev_b32_e32 v34, 4, v65
	s_delay_alu instid0(VALU_DEP_2) | instskip(SKIP_1) | instid1(VALU_DEP_3)
	v_cndmask_b32_e32 v33, v33, v65, vcc_lo
	v_mov_b32_e32 v105, s25
	v_lshl_or_b32 v41, v66, 8, v34
	s_delay_alu instid0(VALU_DEP_3)
	v_lshlrev_b32_e32 v72, 6, v33
	ds_load_b128 v[33:36], v72
	ds_load_b128 v[37:40], v72 offset:1024
	ds_load_b128 v[108:111], v72 offset:2048
	;; [unrolled: 1-line block ×3, first 2 shown]
	s_load_b32 s4, s[2:3], 0x0
	s_add_u32 s2, s13, s6
	s_addc_u32 s3, s16, s7
	ds_load_b128 v[116:119], v72 offset:4096
	ds_load_b128 v[120:123], v72 offset:5120
	s_load_b32 s2, s[2:3], 0x0
	s_add_u32 s6, s10, s15
	s_addc_u32 s7, s11, s19
	v_add_co_u32 v68, s6, s6, v41
	s_delay_alu instid0(VALU_DEP_1) | instskip(SKIP_1) | instid1(VALU_DEP_1)
	v_add_co_ci_u32_e64 v69, null, s7, 0, s6
	s_waitcnt lgkmcnt(0)
	v_mad_i64_i32 v[41:42], null, s28, s5, v[68:69]
	v_mad_i64_i32 v[70:71], null, s8, s5, v[68:69]
	;; [unrolled: 1-line block ×7, first 2 shown]
	s_clause 0x3
	global_load_b128 v[49:52], v[41:42], off
	global_load_b128 v[53:56], v[41:42], off offset:16
	global_load_b128 v[41:44], v[45:46], off
	global_load_b128 v[45:48], v[45:46], off offset:16
	s_waitcnt vmcnt(18)
	v_wmma_f32_16x16x16_bf16 v[124:131], v[1:8], v[33:40], v[100:107]
	s_waitcnt vmcnt(16)
	v_wmma_f32_16x16x16_bf16 v[100:107], v[9:16], v[33:40], v[100:107]
	s_clause 0x1
	global_load_b128 v[33:36], v[70:71], off
	global_load_b128 v[37:40], v[70:71], off offset:16
	v_mad_i64_i32 v[70:71], null, s2, s5, v[68:69]
	s_waitcnt vmcnt(16)
	v_wmma_f32_16x16x16_bf16 v[124:131], v[17:24], v[108:115], v[124:131]
	s_waitcnt vmcnt(14)
	v_wmma_f32_16x16x16_bf16 v[100:107], v[25:32], v[108:115], v[100:107]
	s_clause 0x7
	global_load_b128 v[25:28], v[132:133], off
	global_load_b128 v[29:32], v[132:133], off offset:16
	global_load_b128 v[1:4], v[134:135], off
	global_load_b128 v[5:8], v[134:135], off offset:16
	global_load_b128 v[9:12], v[136:137], off
	global_load_b128 v[13:16], v[136:137], off offset:16
	global_load_b128 v[17:20], v[138:139], off
	global_load_b128 v[21:24], v[138:139], off offset:16
	s_waitcnt vmcnt(20)
	v_wmma_f32_16x16x16_bf16 v[124:131], v[57:64], v[116:123], v[124:131]
	s_clause 0x1
	global_load_b128 v[57:60], v[70:71], off
	global_load_b128 v[61:64], v[70:71], off offset:16
	s_waitcnt vmcnt(20)
	v_wmma_f32_16x16x16_bf16 v[100:107], v[76:83], v[116:123], v[100:107]
	ds_load_b128 v[76:79], v72 offset:6144
	ds_load_b128 v[80:83], v72 offset:7168
	v_and_b32_e32 v68, 0xe0, v0
	v_mbcnt_lo_u32_b32 v69, -1, 0
	s_waitcnt vmcnt(0) lgkmcnt(0)
	s_barrier
	buffer_gl0_inv
	v_add_nc_u32_e32 v68, s12, v68
	v_xor_b32_e32 v70, 16, v69
	s_delay_alu instid0(VALU_DEP_2) | instskip(NEXT) | instid1(VALU_DEP_2)
	v_or_b32_e32 v68, v68, v74
	v_cmp_gt_i32_e32 vcc_lo, 32, v70
	s_delay_alu instid0(VALU_DEP_2)
	v_or_b32_e32 v71, 4, v68
	v_or_b32_e32 v72, 6, v68
	v_cmp_gt_i32_e64 s2, s17, v68
	v_or_b32_e32 v108, 8, v68
	v_wmma_f32_16x16x16_bf16 v[124:131], v[84:91], v[76:83], v[124:131]
	v_cndmask_b32_e32 v69, v69, v70, vcc_lo
	v_or_b32_e32 v70, 2, v68
	v_wmma_f32_16x16x16_bf16 v[100:107], v[92:99], v[76:83], v[100:107]
	v_or_b32_e32 v109, 10, v68
	v_dual_mul_f32 v82, s18, v127 :: v_dual_mul_f32 v79, s18, v130
	v_dual_mul_f32 v92, s18, v125 :: v_dual_mul_f32 v93, s18, v124
	s_delay_alu instid0(VALU_DEP_4)
	v_mul_f32_e32 v98, s18, v103
	v_cmp_gt_i32_e32 vcc_lo, s17, v70
	v_or_b32_e32 v89, 22, v68
	v_dual_mul_f32 v83, s18, v126 :: v_dual_mul_f32 v96, s18, v105
	v_cndmask_b32_e64 v93, 0xff7fffff, v93, s2
	v_cndmask_b32_e32 v92, 0xff7fffff, v92, vcc_lo
	v_cmp_gt_i32_e64 s3, s17, v71
	v_cmp_gt_i32_e64 s4, s17, v72
	v_or_b32_e32 v84, 12, v68
	v_or_b32_e32 v85, 14, v68
	v_dual_mul_f32 v80, s18, v129 :: v_dual_mul_f32 v81, s18, v128
	v_mul_f32_e32 v94, s18, v107
	v_cndmask_b32_e64 v71, 0xff7fffff, v83, s3
	v_cndmask_b32_e64 v72, 0xff7fffff, v82, s4
	v_cmp_gt_i32_e64 s5, s17, v108
	v_cmp_gt_i32_e64 s6, s17, v109
	;; [unrolled: 1-line block ×3, first 2 shown]
	v_lshlrev_b32_e32 v89, 2, v69
	v_max3_f32 v82, v93, 0xff7fffff, v92
	v_or_b32_e32 v86, 16, v68
	v_or_b32_e32 v87, 18, v68
	v_mul_f32_e32 v78, s18, v131
	v_cndmask_b32_e64 v81, 0xff7fffff, v81, s5
	v_cndmask_b32_e64 v80, 0xff7fffff, v80, s6
	v_max3_f32 v71, v82, v71, v72
	v_cmp_gt_i32_e64 s7, s17, v84
	v_cmp_gt_i32_e64 s8, s17, v85
	v_or_b32_e32 v88, 20, v68
	v_or_b32_e32 v90, 24, v68
	;; [unrolled: 1-line block ×5, first 2 shown]
	v_dual_mul_f32 v95, s18, v106 :: v_dual_mul_f32 v70, s18, v101
	v_dual_mul_f32 v99, s18, v102 :: v_dual_mul_f32 v68, s18, v100
	v_cndmask_b32_e64 v72, 0xff7fffff, v79, s7
	v_cndmask_b32_e64 v78, 0xff7fffff, v78, s8
	v_max3_f32 v71, v71, v81, v80
	v_cmp_gt_i32_e64 s9, s17, v86
	v_cmp_gt_i32_e64 s10, s17, v87
	;; [unrolled: 1-line block ×3, first 2 shown]
	v_mul_f32_e32 v97, s18, v104
	v_max3_f32 v71, v71, v72, v78
	v_cndmask_b32_e64 v68, 0xff7fffff, v68, s9
	v_cndmask_b32_e64 v70, 0xff7fffff, v70, s10
	;; [unrolled: 1-line block ×4, first 2 shown]
	v_cmp_gt_i32_e64 s13, s17, v90
	v_cmp_gt_i32_e64 s15, s17, v91
	v_max3_f32 v68, v71, v68, v70
	v_cmp_gt_i32_e64 s16, s17, v76
	v_cmp_gt_i32_e64 s17, s17, v77
	v_cndmask_b32_e64 v70, 0xff7fffff, v97, s13
	v_cndmask_b32_e64 v71, 0xff7fffff, v96, s15
	v_max3_f32 v68, v68, v72, v78
	v_cndmask_b32_e64 v72, 0xff7fffff, v95, s16
	v_cndmask_b32_e64 v76, 0xff7fffff, v94, s17
	s_delay_alu instid0(VALU_DEP_3) | instskip(NEXT) | instid1(VALU_DEP_1)
	v_max3_f32 v68, v68, v70, v71
	v_max3_f32 v68, v68, v72, v76
	ds_bpermute_b32 v69, v89, v68
	s_waitcnt lgkmcnt(0)
	v_max_f32_e32 v69, v69, v69
	s_delay_alu instid0(VALU_DEP_1) | instskip(NEXT) | instid1(VALU_DEP_1)
	v_max_f32_e32 v68, v68, v69
	v_fma_f32 v69, s18, v124, -v68
	v_fma_f32 v70, s18, v125, -v68
	;; [unrolled: 1-line block ×5, first 2 shown]
	s_delay_alu instid0(VALU_DEP_4) | instskip(NEXT) | instid1(VALU_DEP_4)
	v_dual_mul_f32 v69, 0x3fb8aa3b, v69 :: v_dual_mul_f32 v70, 0x3fb8aa3b, v70
	v_mul_f32_e32 v72, 0x3fb8aa3b, v72
	v_fma_f32 v78, s18, v130, -v68
	s_delay_alu instid0(VALU_DEP_4) | instskip(NEXT) | instid1(VALU_DEP_4)
	v_mul_f32_e32 v77, 0x3fb8aa3b, v76
	v_exp_f32_e32 v69, v69
	v_exp_f32_e32 v70, v70
	v_mul_f32_e32 v71, 0x3fb8aa3b, v71
	v_exp_f32_e32 v72, v72
	v_mul_f32_e32 v78, 0x3fb8aa3b, v78
	v_exp_f32_e32 v77, v77
	v_fma_f32 v81, s18, v105, -v68
	s_delay_alu instid0(VALU_DEP_2)
	v_exp_f32_e32 v78, v78
	v_cndmask_b32_e64 v80, 0, v69, s2
	v_cndmask_b32_e32 v76, 0, v70, vcc_lo
	v_exp_f32_e32 v71, v71
	v_fma_f32 v69, s18, v129, -v68
	v_cndmask_b32_e64 v85, 0, v72, s4
	v_add_f32_e32 v70, 0, v80
	s_delay_alu instid0(TRANS32_DEP_3)
	v_cndmask_b32_e64 v86, 0, v77, s5
	v_fma_f32 v77, s18, v101, -v68
	v_mul_f32_e32 v69, 0x3fb8aa3b, v69
	v_fma_f32 v72, s18, v100, -v68
	v_cndmask_b32_e64 v84, 0, v78, s7
	v_fma_f32 v78, s18, v103, -v68
	v_cndmask_b32_e64 v83, 0, v71, s3
	v_fma_f32 v71, s18, v131, -v68
	v_add_f32_e32 v70, v70, v76
	v_exp_f32_e32 v69, v69
	v_mul_f32_e32 v77, 0x3fb8aa3b, v77
	v_mul_f32_e32 v81, 0x3fb8aa3b, v81
	;; [unrolled: 1-line block ×3, first 2 shown]
	v_add_f32_e32 v70, v70, v83
	v_cmp_gt_u32_e64 s2, 16, v67
	v_exp_f32_e32 v77, v77
	v_exp_f32_e32 v81, v81
	;; [unrolled: 1-line block ×3, first 2 shown]
	v_cndmask_b32_e64 v87, 0, v69, s6
	v_add_f32_e32 v70, v70, v85
	s_delay_alu instid0(VALU_DEP_1) | instskip(SKIP_1) | instid1(VALU_DEP_2)
	v_dual_mul_f32 v72, 0x3fb8aa3b, v72 :: v_dual_add_f32 v69, v70, v86
	v_fma_f32 v70, s18, v102, -v68
	v_exp_f32_e32 v72, v72
	s_waitcnt_depctr 0xfff
	v_cndmask_b32_e64 v88, 0, v71, s8
	v_fma_f32 v71, s18, v104, -v68
	v_dual_add_f32 v69, v69, v87 :: v_dual_mul_f32 v70, 0x3fb8aa3b, v70
	s_delay_alu instid0(VALU_DEP_2) | instskip(NEXT) | instid1(VALU_DEP_2)
	v_dual_mul_f32 v78, 0x3fb8aa3b, v78 :: v_dual_mul_f32 v71, 0x3fb8aa3b, v71
	v_add_f32_e32 v69, v69, v84
	s_delay_alu instid0(VALU_DEP_3) | instskip(SKIP_1) | instid1(VALU_DEP_3)
	v_exp_f32_e32 v79, v70
	v_cndmask_b32_e64 v70, 0, v72, s9
	v_exp_f32_e32 v78, v78
	v_exp_f32_e32 v82, v71
	v_add_f32_e32 v72, v69, v88
	v_cndmask_b32_e64 v69, 0, v77, s10
	v_fma_f32 v77, s18, v106, -v68
	s_delay_alu instid0(VALU_DEP_3) | instskip(NEXT) | instid1(TRANS32_DEP_3)
	v_add_f32_e32 v72, v72, v70
	v_cndmask_b32_e64 v71, 0, v79, s11
	s_delay_alu instid0(VALU_DEP_3) | instskip(NEXT) | instid1(VALU_DEP_3)
	v_mul_f32_e32 v77, 0x3fb8aa3b, v77
	v_add_f32_e32 v79, v72, v69
	s_delay_alu instid0(TRANS32_DEP_2) | instskip(NEXT) | instid1(VALU_DEP_3)
	v_cndmask_b32_e64 v72, 0, v78, s12
	v_exp_f32_e32 v90, v77
	v_cndmask_b32_e64 v77, 0, v82, s13
	s_delay_alu instid0(VALU_DEP_3) | instskip(SKIP_1) | instid1(VALU_DEP_1)
	v_add_f32_e32 v78, v79, v71
	v_fma_f32 v79, s18, v107, -v68
	v_dual_add_f32 v82, v78, v72 :: v_dual_mul_f32 v79, 0x3fb8aa3b, v79
	v_cndmask_b32_e64 v78, 0, v81, s15
	s_delay_alu instid0(VALU_DEP_2) | instskip(NEXT) | instid1(VALU_DEP_3)
	v_add_f32_e32 v81, v82, v77
	v_exp_f32_e32 v82, v79
	s_delay_alu instid0(TRANS32_DEP_2) | instskip(NEXT) | instid1(VALU_DEP_2)
	v_cndmask_b32_e64 v79, 0, v90, s16
	v_add_f32_e32 v81, v81, v78
	s_delay_alu instid0(VALU_DEP_1) | instskip(SKIP_2) | instid1(VALU_DEP_1)
	v_add_f32_e32 v90, v81, v79
	s_waitcnt_depctr 0xfff
	v_cndmask_b32_e64 v81, 0, v82, s17
	v_add_f32_e32 v82, v90, v81
	ds_bpermute_b32 v89, v89, v82
	s_and_saveexec_b32 s3, s2
	s_cbranch_execz .LBB1536_12
; %bb.11:
	v_mul_u32_u24_e32 v67, 0x44, v66
	s_delay_alu instid0(VALU_DEP_1) | instskip(SKIP_1) | instid1(VALU_DEP_1)
	v_lshl_add_u32 v67, v65, 2, v67
	s_waitcnt lgkmcnt(0)
	v_dual_add_f32 v82, v82, v89 :: v_dual_add_nc_u32 v67, 0x4000, v67
	ds_store_2addr_b32 v67, v68, v82 offset1:136
.LBB1536_12:
	s_or_b32 exec_lo, exec_lo, s3
	v_lshlrev_b32_e32 v67, 2, v65
	s_waitcnt lgkmcnt(0)
	s_barrier
	buffer_gl0_inv
	v_cmp_eq_u32_e32 vcc_lo, 1, v66
	v_add_nc_u32_e32 v82, 0x4000, v67
	v_cmp_eq_u32_e64 s3, 2, v66
	v_cmp_eq_u32_e64 s5, 7, v66
	ds_load_2addr_b32 v[89:90], v82 offset1:17
	ds_load_2addr_b32 v[91:92], v82 offset0:34 offset1:51
	ds_load_2addr_b32 v[93:94], v82 offset0:68 offset1:85
	;; [unrolled: 1-line block ×4, first 2 shown]
	s_waitcnt lgkmcnt(4)
	v_max3_f32 v67, v89, 0xff7fffff, v90
	s_waitcnt lgkmcnt(3)
	s_delay_alu instid0(VALU_DEP_1) | instskip(SKIP_1) | instid1(VALU_DEP_1)
	v_max3_f32 v67, v67, v91, v92
	s_waitcnt lgkmcnt(2)
	v_max3_f32 v67, v67, v93, v94
	s_waitcnt lgkmcnt(1)
	s_delay_alu instid0(VALU_DEP_1) | instskip(NEXT) | instid1(VALU_DEP_1)
	v_max3_f32 v67, v67, v95, v96
	v_sub_f32_e32 v93, v93, v67
	s_delay_alu instid0(VALU_DEP_1) | instskip(NEXT) | instid1(VALU_DEP_1)
	v_dual_sub_f32 v68, v89, v67 :: v_dual_mul_f32 v103, 0x3fb8aa3b, v93
	v_mul_f32_e32 v68, 0x3fb8aa3b, v68
	s_delay_alu instid0(VALU_DEP_1)
	v_exp_f32_e32 v100, v68
	v_sub_f32_e32 v68, v92, v67
	v_sub_f32_e32 v99, v90, v67
	ds_load_2addr_b32 v[89:90], v82 offset0:170 offset1:187
	v_dual_mul_f32 v102, 0x3fb8aa3b, v68 :: v_dual_mul_f32 v99, 0x3fb8aa3b, v99
	s_waitcnt lgkmcnt(1)
	v_fma_f32 v68, v100, v97, 0
	s_delay_alu instid0(VALU_DEP_2) | instskip(NEXT) | instid1(VALU_DEP_2)
	v_exp_f32_e32 v102, v102
	v_exp_f32_e32 v99, v99
	s_waitcnt_depctr 0xfff
	v_fmac_f32_e32 v68, v99, v98
	v_sub_f32_e32 v91, v91, v67
	s_delay_alu instid0(VALU_DEP_1)
	v_mul_f32_e32 v101, 0x3fb8aa3b, v91
	ds_load_2addr_b32 v[91:92], v82 offset0:204 offset1:221
	v_sub_f32_e32 v97, v94, v67
	ds_load_2addr_b32 v[93:94], v82 offset0:238 offset1:255
	s_waitcnt lgkmcnt(0)
	v_exp_f32_e32 v101, v101
	s_barrier
	buffer_gl0_inv
	v_dual_fmac_f32 v68, v101, v89 :: v_dual_sub_f32 v89, v96, v67
	v_dual_sub_f32 v82, v95, v67 :: v_dual_mul_f32 v95, 0x3fb8aa3b, v97
	v_exp_f32_e32 v97, v103
	s_delay_alu instid0(VALU_DEP_2) | instskip(NEXT) | instid1(VALU_DEP_2)
	v_dual_fmac_f32 v68, v102, v90 :: v_dual_mul_f32 v89, 0x3fb8aa3b, v89
	v_mul_f32_e32 v82, 0x3fb8aa3b, v82
	s_delay_alu instid0(VALU_DEP_3) | instskip(NEXT) | instid1(VALU_DEP_2)
	v_exp_f32_e32 v95, v95
	v_exp_f32_e32 v89, v89
	s_delay_alu instid0(VALU_DEP_1)
	v_exp_f32_e32 v82, v82
	v_fmac_f32_e32 v68, v97, v91
	s_delay_alu instid0(TRANS32_DEP_3) | instid1(VALU_DEP_1)
	v_fmac_f32_e32 v68, v95, v92
	s_waitcnt_depctr 0xfff
	v_fmac_f32_e32 v68, v82, v93
	s_delay_alu instid0(VALU_DEP_1) | instskip(NEXT) | instid1(VALU_DEP_1)
	v_fmac_f32_e32 v68, v89, v94
	v_add_f32_e32 v90, 0x358637bd, v68
	s_delay_alu instid0(VALU_DEP_1) | instskip(NEXT) | instid1(VALU_DEP_1)
	v_div_scale_f32 v91, null, v90, v90, 1.0
	v_rcp_f32_e32 v92, v91
	s_waitcnt_depctr 0xfff
	v_fma_f32 v93, -v91, v92, 1.0
	s_delay_alu instid0(VALU_DEP_1) | instskip(SKIP_1) | instid1(VALU_DEP_2)
	v_dual_fmac_f32 v92, v93, v92 :: v_dual_cndmask_b32 v93, v100, v99
	v_cmp_eq_u32_e32 vcc_lo, 3, v66
	v_cndmask_b32_e64 v93, v93, v101, s3
	v_cmp_eq_u32_e64 s3, 4, v66
	s_delay_alu instid0(VALU_DEP_2) | instskip(SKIP_1) | instid1(VALU_DEP_2)
	v_cndmask_b32_e32 v93, v93, v102, vcc_lo
	v_cmp_eq_u32_e32 vcc_lo, 5, v66
	v_cndmask_b32_e64 v93, v93, v97, s3
	v_cmp_eq_u32_e64 s3, 6, v66
	s_delay_alu instid0(VALU_DEP_2) | instskip(SKIP_1) | instid1(VALU_DEP_1)
	v_cndmask_b32_e32 v93, v93, v95, vcc_lo
	v_div_scale_f32 v94, s4, 1.0, v90, 1.0
	s_mov_b32 vcc_lo, s4
	s_delay_alu instid0(VALU_DEP_2) | instskip(NEXT) | instid1(VALU_DEP_2)
	v_cndmask_b32_e64 v82, v93, v82, s3
	v_mul_f32_e32 v96, v94, v92
	s_mov_b32 s3, exec_lo
	s_delay_alu instid0(VALU_DEP_2) | instskip(NEXT) | instid1(VALU_DEP_2)
	v_cndmask_b32_e64 v82, v82, v89, s5
	v_fma_f32 v98, -v91, v96, v94
	s_delay_alu instid0(VALU_DEP_1) | instskip(NEXT) | instid1(VALU_DEP_1)
	v_fmac_f32_e32 v96, v98, v92
	v_fma_f32 v91, -v91, v96, v94
	s_delay_alu instid0(VALU_DEP_1) | instskip(NEXT) | instid1(VALU_DEP_1)
	v_div_fmas_f32 v91, v91, v92, v96
	v_div_fixup_f32 v90, v91, v90, 1.0
	s_delay_alu instid0(VALU_DEP_1) | instskip(NEXT) | instid1(VALU_DEP_1)
	v_mul_f32_e32 v82, v82, v90
	v_mul_f32_e32 v87, v82, v87
	;; [unrolled: 1-line block ×7, first 2 shown]
	v_dual_mul_f32 v86, v82, v83 :: v_dual_and_b32 v91, 0x7f800000, v90
	v_mul_f32_e32 v85, v82, v76
                                        ; implicit-def: $vgpr76
	s_delay_alu instid0(VALU_DEP_2)
	v_cmpx_ne_u32_e32 0x7f800000, v91
	s_xor_b32 s3, exec_lo, s3
; %bb.13:
	v_bfe_u32 v76, v90, 16, 1
	s_delay_alu instid0(VALU_DEP_1)
	v_add3_u32 v76, v90, v76, 0x7fff
                                        ; implicit-def: $vgpr90
; %bb.14:
	s_and_not1_saveexec_b32 s3, s3
; %bb.15:
	v_and_b32_e32 v76, 0xffff, v90
	v_or_b32_e32 v83, 0x10000, v90
	s_delay_alu instid0(VALU_DEP_2) | instskip(NEXT) | instid1(VALU_DEP_2)
	v_cmp_eq_u32_e32 vcc_lo, 0, v76
	v_cndmask_b32_e32 v76, v83, v90, vcc_lo
; %bb.16:
	s_or_b32 exec_lo, exec_lo, s3
	v_and_b32_e32 v83, 0x7f800000, v85
	s_delay_alu instid0(VALU_DEP_1) | instskip(SKIP_1) | instid1(SALU_CYCLE_1)
	v_cmp_ne_u32_e32 vcc_lo, 0x7f800000, v83
                                        ; implicit-def: $vgpr83
	s_and_saveexec_b32 s3, vcc_lo
	s_xor_b32 s3, exec_lo, s3
; %bb.17:
	v_bfe_u32 v83, v85, 16, 1
	s_delay_alu instid0(VALU_DEP_1)
	v_add3_u32 v83, v85, v83, 0x7fff
                                        ; implicit-def: $vgpr85
; %bb.18:
	s_and_not1_saveexec_b32 s3, s3
; %bb.19:
	v_and_b32_e32 v83, 0xffff, v85
	v_or_b32_e32 v90, 0x10000, v85
	s_delay_alu instid0(VALU_DEP_2) | instskip(NEXT) | instid1(VALU_DEP_2)
	v_cmp_eq_u32_e32 vcc_lo, 0, v83
	v_cndmask_b32_e32 v83, v90, v85, vcc_lo
; %bb.20:
	s_or_b32 exec_lo, exec_lo, s3
	v_and_b32_e32 v85, 0x7f800000, v86
	s_delay_alu instid0(VALU_DEP_1) | instskip(SKIP_1) | instid1(SALU_CYCLE_1)
	v_cmp_ne_u32_e32 vcc_lo, 0x7f800000, v85
                                        ; implicit-def: $vgpr85
	s_and_saveexec_b32 s3, vcc_lo
	s_xor_b32 s3, exec_lo, s3
; %bb.21:
	v_bfe_u32 v85, v86, 16, 1
	s_delay_alu instid0(VALU_DEP_1)
	v_add3_u32 v85, v86, v85, 0x7fff
                                        ; implicit-def: $vgpr86
; %bb.22:
	s_and_not1_saveexec_b32 s3, s3
; %bb.23:
	v_and_b32_e32 v85, 0xffff, v86
	v_or_b32_e32 v90, 0x10000, v86
	s_delay_alu instid0(VALU_DEP_2) | instskip(NEXT) | instid1(VALU_DEP_2)
	v_cmp_eq_u32_e32 vcc_lo, 0, v85
	v_cndmask_b32_e32 v85, v90, v86, vcc_lo
; %bb.24:
	s_or_b32 exec_lo, exec_lo, s3
	v_and_b32_e32 v86, 0x7f800000, v89
	s_delay_alu instid0(VALU_DEP_1) | instskip(SKIP_1) | instid1(SALU_CYCLE_1)
	v_cmp_ne_u32_e32 vcc_lo, 0x7f800000, v86
                                        ; implicit-def: $vgpr86
	s_and_saveexec_b32 s3, vcc_lo
	s_xor_b32 s3, exec_lo, s3
; %bb.25:
	v_bfe_u32 v86, v89, 16, 1
	s_delay_alu instid0(VALU_DEP_1)
	v_add3_u32 v86, v89, v86, 0x7fff
                                        ; implicit-def: $vgpr89
; %bb.26:
	s_and_not1_saveexec_b32 s3, s3
; %bb.27:
	v_and_b32_e32 v86, 0xffff, v89
	v_or_b32_e32 v90, 0x10000, v89
	s_delay_alu instid0(VALU_DEP_2) | instskip(NEXT) | instid1(VALU_DEP_2)
	v_cmp_eq_u32_e32 vcc_lo, 0, v86
	v_cndmask_b32_e32 v86, v90, v89, vcc_lo
; %bb.28:
	s_or_b32 exec_lo, exec_lo, s3
	v_and_b32_e32 v89, 0x7f800000, v88
	s_delay_alu instid0(VALU_DEP_1) | instskip(SKIP_1) | instid1(SALU_CYCLE_1)
	v_cmp_ne_u32_e32 vcc_lo, 0x7f800000, v89
                                        ; implicit-def: $vgpr89
	s_and_saveexec_b32 s3, vcc_lo
	s_xor_b32 s3, exec_lo, s3
; %bb.29:
	v_bfe_u32 v89, v88, 16, 1
	s_delay_alu instid0(VALU_DEP_1)
	v_add3_u32 v89, v88, v89, 0x7fff
                                        ; implicit-def: $vgpr88
; %bb.30:
	s_and_not1_saveexec_b32 s3, s3
; %bb.31:
	v_and_b32_e32 v89, 0xffff, v88
	v_or_b32_e32 v90, 0x10000, v88
	s_delay_alu instid0(VALU_DEP_2) | instskip(NEXT) | instid1(VALU_DEP_2)
	v_cmp_eq_u32_e32 vcc_lo, 0, v89
	v_cndmask_b32_e32 v89, v90, v88, vcc_lo
; %bb.32:
	s_or_b32 exec_lo, exec_lo, s3
	v_and_b32_e32 v88, 0x7f800000, v87
	s_delay_alu instid0(VALU_DEP_1) | instskip(SKIP_1) | instid1(SALU_CYCLE_1)
	v_cmp_ne_u32_e32 vcc_lo, 0x7f800000, v88
                                        ; implicit-def: $vgpr88
	s_and_saveexec_b32 s3, vcc_lo
	s_xor_b32 s3, exec_lo, s3
; %bb.33:
	v_bfe_u32 v88, v87, 16, 1
	s_delay_alu instid0(VALU_DEP_1)
	v_add3_u32 v88, v87, v88, 0x7fff
                                        ; implicit-def: $vgpr87
; %bb.34:
	s_and_not1_saveexec_b32 s3, s3
; %bb.35:
	v_and_b32_e32 v88, 0xffff, v87
	v_or_b32_e32 v90, 0x10000, v87
	s_delay_alu instid0(VALU_DEP_2) | instskip(NEXT) | instid1(VALU_DEP_2)
	v_cmp_eq_u32_e32 vcc_lo, 0, v88
	v_cndmask_b32_e32 v88, v90, v87, vcc_lo
; %bb.36:
	s_or_b32 exec_lo, exec_lo, s3
	v_and_b32_e32 v87, 0x7f800000, v84
	s_delay_alu instid0(VALU_DEP_1) | instskip(SKIP_1) | instid1(SALU_CYCLE_1)
	v_cmp_ne_u32_e32 vcc_lo, 0x7f800000, v87
                                        ; implicit-def: $vgpr87
	s_and_saveexec_b32 s3, vcc_lo
	s_xor_b32 s3, exec_lo, s3
; %bb.37:
	v_bfe_u32 v87, v84, 16, 1
	s_delay_alu instid0(VALU_DEP_1)
	v_add3_u32 v87, v84, v87, 0x7fff
                                        ; implicit-def: $vgpr84
; %bb.38:
	s_and_not1_saveexec_b32 s3, s3
; %bb.39:
	v_and_b32_e32 v87, 0xffff, v84
	v_or_b32_e32 v90, 0x10000, v84
	s_delay_alu instid0(VALU_DEP_2) | instskip(NEXT) | instid1(VALU_DEP_2)
	v_cmp_eq_u32_e32 vcc_lo, 0, v87
	v_cndmask_b32_e32 v87, v90, v84, vcc_lo
; %bb.40:
	s_or_b32 exec_lo, exec_lo, s3
	v_and_b32_e32 v84, 0x7f800000, v80
	s_delay_alu instid0(VALU_DEP_1) | instskip(SKIP_1) | instid1(SALU_CYCLE_1)
	v_cmp_ne_u32_e32 vcc_lo, 0x7f800000, v84
                                        ; implicit-def: $vgpr84
	s_and_saveexec_b32 s3, vcc_lo
	s_xor_b32 s3, exec_lo, s3
; %bb.41:
	v_bfe_u32 v84, v80, 16, 1
	s_delay_alu instid0(VALU_DEP_1)
	v_add3_u32 v84, v80, v84, 0x7fff
                                        ; implicit-def: $vgpr80
; %bb.42:
	s_and_not1_saveexec_b32 s3, s3
; %bb.43:
	v_and_b32_e32 v84, 0xffff, v80
	v_or_b32_e32 v90, 0x10000, v80
	s_delay_alu instid0(VALU_DEP_2) | instskip(NEXT) | instid1(VALU_DEP_2)
	v_cmp_eq_u32_e32 vcc_lo, 0, v84
	v_cndmask_b32_e32 v84, v90, v80, vcc_lo
; %bb.44:
	s_or_b32 exec_lo, exec_lo, s3
	s_load_b64 s[34:35], s[0:1], 0x94
	v_lshlrev_b32_e32 v91, 4, v74
	s_delay_alu instid0(VALU_DEP_2)
	v_perm_b32 v90, v84, v87, 0x7060302
	v_dual_mul_f32 v79, v82, v79 :: v_dual_lshlrev_b32 v80, 6, v65
	v_dual_mul_f32 v77, v82, v77 :: v_dual_lshlrev_b32 v92, 11, v66
	v_mul_f32_e32 v84, v82, v70
	v_perm_b32 v89, v88, v89, 0x7060302
	v_perm_b32 v88, v86, v85, 0x7060302
	;; [unrolled: 1-line block ×3, first 2 shown]
	v_mul_f32_e32 v70, v82, v81
	v_or3_b32 v76, v91, v92, v80
	v_dual_mul_f32 v78, v82, v78 :: v_dual_and_b32 v85, 0x7f800000, v84
	v_mul_f32_e32 v83, v82, v72
	v_mul_f32_e32 v81, v82, v71
	v_mul_f32_e32 v72, v82, v69
	s_mov_b32 s3, exec_lo
	ds_store_b128 v76, v[87:90]
                                        ; implicit-def: $vgpr69
	v_cmpx_ne_u32_e32 0x7f800000, v85
	s_xor_b32 s3, exec_lo, s3
; %bb.45:
	v_bfe_u32 v69, v84, 16, 1
	s_delay_alu instid0(VALU_DEP_1)
	v_add3_u32 v69, v84, v69, 0x7fff
                                        ; implicit-def: $vgpr84
; %bb.46:
	s_and_not1_saveexec_b32 s3, s3
; %bb.47:
	v_and_b32_e32 v69, 0xffff, v84
	v_or_b32_e32 v71, 0x10000, v84
	s_delay_alu instid0(VALU_DEP_2) | instskip(NEXT) | instid1(VALU_DEP_2)
	v_cmp_eq_u32_e32 vcc_lo, 0, v69
	v_cndmask_b32_e32 v69, v71, v84, vcc_lo
; %bb.48:
	s_or_b32 exec_lo, exec_lo, s3
	v_and_b32_e32 v71, 0x7f800000, v72
	s_delay_alu instid0(VALU_DEP_1) | instskip(SKIP_1) | instid1(SALU_CYCLE_1)
	v_cmp_ne_u32_e32 vcc_lo, 0x7f800000, v71
                                        ; implicit-def: $vgpr71
	s_and_saveexec_b32 s3, vcc_lo
	s_xor_b32 s3, exec_lo, s3
; %bb.49:
	v_bfe_u32 v71, v72, 16, 1
	s_delay_alu instid0(VALU_DEP_1)
	v_add3_u32 v71, v72, v71, 0x7fff
                                        ; implicit-def: $vgpr72
; %bb.50:
	s_and_not1_saveexec_b32 s3, s3
; %bb.51:
	v_and_b32_e32 v71, 0xffff, v72
	v_or_b32_e32 v82, 0x10000, v72
	s_delay_alu instid0(VALU_DEP_2) | instskip(NEXT) | instid1(VALU_DEP_2)
	v_cmp_eq_u32_e32 vcc_lo, 0, v71
	v_cndmask_b32_e32 v71, v82, v72, vcc_lo
; %bb.52:
	s_or_b32 exec_lo, exec_lo, s3
	v_and_b32_e32 v72, 0x7f800000, v81
	s_delay_alu instid0(VALU_DEP_1) | instskip(SKIP_1) | instid1(SALU_CYCLE_1)
	v_cmp_ne_u32_e32 vcc_lo, 0x7f800000, v72
                                        ; implicit-def: $vgpr72
	s_and_saveexec_b32 s3, vcc_lo
	s_xor_b32 s3, exec_lo, s3
; %bb.53:
	v_bfe_u32 v72, v81, 16, 1
	s_delay_alu instid0(VALU_DEP_1)
	v_add3_u32 v72, v81, v72, 0x7fff
                                        ; implicit-def: $vgpr81
; %bb.54:
	s_and_not1_saveexec_b32 s3, s3
; %bb.55:
	v_and_b32_e32 v72, 0xffff, v81
	v_or_b32_e32 v82, 0x10000, v81
	s_delay_alu instid0(VALU_DEP_2) | instskip(NEXT) | instid1(VALU_DEP_2)
	v_cmp_eq_u32_e32 vcc_lo, 0, v72
	v_cndmask_b32_e32 v72, v82, v81, vcc_lo
; %bb.56:
	s_or_b32 exec_lo, exec_lo, s3
	v_and_b32_e32 v81, 0x7f800000, v83
	s_delay_alu instid0(VALU_DEP_1) | instskip(SKIP_1) | instid1(SALU_CYCLE_1)
	v_cmp_ne_u32_e32 vcc_lo, 0x7f800000, v81
                                        ; implicit-def: $vgpr81
	s_and_saveexec_b32 s3, vcc_lo
	s_xor_b32 s3, exec_lo, s3
; %bb.57:
	v_bfe_u32 v81, v83, 16, 1
	s_delay_alu instid0(VALU_DEP_1)
	v_add3_u32 v81, v83, v81, 0x7fff
                                        ; implicit-def: $vgpr83
; %bb.58:
	s_and_not1_saveexec_b32 s3, s3
; %bb.59:
	v_and_b32_e32 v81, 0xffff, v83
	v_or_b32_e32 v82, 0x10000, v83
	s_delay_alu instid0(VALU_DEP_2) | instskip(NEXT) | instid1(VALU_DEP_2)
	v_cmp_eq_u32_e32 vcc_lo, 0, v81
	v_cndmask_b32_e32 v81, v82, v83, vcc_lo
; %bb.60:
	s_or_b32 exec_lo, exec_lo, s3
	v_and_b32_e32 v82, 0x7f800000, v77
	s_delay_alu instid0(VALU_DEP_1) | instskip(SKIP_1) | instid1(SALU_CYCLE_1)
	v_cmp_ne_u32_e32 vcc_lo, 0x7f800000, v82
                                        ; implicit-def: $vgpr82
	s_and_saveexec_b32 s3, vcc_lo
	s_xor_b32 s3, exec_lo, s3
; %bb.61:
	v_bfe_u32 v82, v77, 16, 1
	s_delay_alu instid0(VALU_DEP_1)
	v_add3_u32 v82, v77, v82, 0x7fff
                                        ; implicit-def: $vgpr77
; %bb.62:
	s_and_not1_saveexec_b32 s3, s3
; %bb.63:
	v_and_b32_e32 v82, 0xffff, v77
	v_or_b32_e32 v83, 0x10000, v77
	s_delay_alu instid0(VALU_DEP_2) | instskip(NEXT) | instid1(VALU_DEP_2)
	v_cmp_eq_u32_e32 vcc_lo, 0, v82
	v_cndmask_b32_e32 v82, v83, v77, vcc_lo
; %bb.64:
	s_or_b32 exec_lo, exec_lo, s3
	v_and_b32_e32 v77, 0x7f800000, v78
	s_delay_alu instid0(VALU_DEP_1) | instskip(SKIP_1) | instid1(SALU_CYCLE_1)
	v_cmp_ne_u32_e32 vcc_lo, 0x7f800000, v77
                                        ; implicit-def: $vgpr77
	s_and_saveexec_b32 s3, vcc_lo
	s_xor_b32 s3, exec_lo, s3
; %bb.65:
	v_bfe_u32 v77, v78, 16, 1
	s_delay_alu instid0(VALU_DEP_1)
	v_add3_u32 v77, v78, v77, 0x7fff
                                        ; implicit-def: $vgpr78
; %bb.66:
	s_and_not1_saveexec_b32 s3, s3
; %bb.67:
	v_and_b32_e32 v77, 0xffff, v78
	v_or_b32_e32 v83, 0x10000, v78
	s_delay_alu instid0(VALU_DEP_2) | instskip(NEXT) | instid1(VALU_DEP_2)
	v_cmp_eq_u32_e32 vcc_lo, 0, v77
	v_cndmask_b32_e32 v77, v83, v78, vcc_lo
; %bb.68:
	s_or_b32 exec_lo, exec_lo, s3
	v_and_b32_e32 v78, 0x7f800000, v79
	s_delay_alu instid0(VALU_DEP_1) | instskip(SKIP_1) | instid1(SALU_CYCLE_1)
	v_cmp_ne_u32_e32 vcc_lo, 0x7f800000, v78
                                        ; implicit-def: $vgpr78
	s_and_saveexec_b32 s3, vcc_lo
	s_xor_b32 s3, exec_lo, s3
; %bb.69:
	v_bfe_u32 v78, v79, 16, 1
	s_delay_alu instid0(VALU_DEP_1)
	v_add3_u32 v78, v79, v78, 0x7fff
                                        ; implicit-def: $vgpr79
; %bb.70:
	s_and_not1_saveexec_b32 s3, s3
; %bb.71:
	v_and_b32_e32 v78, 0xffff, v79
	v_or_b32_e32 v83, 0x10000, v79
	s_delay_alu instid0(VALU_DEP_2) | instskip(NEXT) | instid1(VALU_DEP_2)
	v_cmp_eq_u32_e32 vcc_lo, 0, v78
	v_cndmask_b32_e32 v78, v83, v79, vcc_lo
; %bb.72:
	s_or_b32 exec_lo, exec_lo, s3
	v_and_b32_e32 v79, 0x7f800000, v70
	s_delay_alu instid0(VALU_DEP_1) | instskip(SKIP_1) | instid1(SALU_CYCLE_1)
	v_cmp_ne_u32_e32 vcc_lo, 0x7f800000, v79
                                        ; implicit-def: $vgpr79
	s_and_saveexec_b32 s3, vcc_lo
	s_xor_b32 s3, exec_lo, s3
; %bb.73:
	v_bfe_u32 v79, v70, 16, 1
	s_delay_alu instid0(VALU_DEP_1)
	v_add3_u32 v79, v70, v79, 0x7fff
                                        ; implicit-def: $vgpr70
; %bb.74:
	s_and_not1_saveexec_b32 s3, s3
; %bb.75:
	v_and_b32_e32 v79, 0xffff, v70
	v_or_b32_e32 v83, 0x10000, v70
	s_delay_alu instid0(VALU_DEP_2) | instskip(NEXT) | instid1(VALU_DEP_2)
	v_cmp_eq_u32_e32 vcc_lo, 0, v79
	v_cndmask_b32_e32 v79, v83, v70, vcc_lo
; %bb.76:
	s_or_b32 exec_lo, exec_lo, s3
	s_delay_alu instid0(VALU_DEP_1)
	v_perm_b32 v86, v79, v78, 0x7060302
	v_perm_b32 v85, v77, v82, 0x7060302
	;; [unrolled: 1-line block ×4, first 2 shown]
	v_lshl_or_b32 v82, v66, 11, v80
	ds_store_b128 v76, v[83:86] offset:1024
	s_waitcnt lgkmcnt(0)
	s_barrier
	buffer_gl0_inv
	ds_load_b128 v[69:72], v82
	ds_load_b128 v[83:86], v82 offset:16
	s_waitcnt lgkmcnt(1)
	v_lshrrev_b32_e32 v66, 16, v69
	s_waitcnt lgkmcnt(0)
	v_lshrrev_b32_e32 v91, 16, v83
	v_lshlrev_b32_e32 v78, 2, v74
	v_lshrrev_b32_e32 v95, 16, v70
	v_lshrrev_b32_e32 v98, 16, v84
	;; [unrolled: 1-line block ×4, first 2 shown]
	v_cmp_eq_u32_e32 vcc_lo, 1, v78
	v_lshrrev_b32_e32 v97, 16, v72
	v_lshrrev_b32_e32 v100, 16, v86
	v_cndmask_b32_e32 v87, v83, v91, vcc_lo
	v_or_b32_e32 v79, 1, v78
	v_cndmask_b32_e32 v81, v69, v66, vcc_lo
	v_cmp_eq_u32_e64 s4, 2, v78
	v_cmp_eq_u32_e64 s7, 3, v78
	;; [unrolled: 1-line block ×5, first 2 shown]
	v_cndmask_b32_e64 v81, v81, v70, s4
	v_cndmask_b32_e64 v87, v87, v84, s4
	v_cmp_eq_u32_e64 s8, 3, v79
	v_cndmask_b32_e64 v88, v69, v66, s3
	v_or_b32_e32 v77, 2, v78
	v_cndmask_b32_e64 v81, v81, v95, s7
	v_cndmask_b32_e64 v87, v87, v98, s7
	;; [unrolled: 1-line block ×4, first 2 shown]
	v_cmp_eq_u32_e64 s10, 5, v78
	v_cndmask_b32_e64 v81, v81, v71, s9
	v_cndmask_b32_e64 v87, v87, v85, s9
	v_cmp_eq_u32_e64 s11, 4, v79
	v_cndmask_b32_e64 v88, v88, v95, s8
	v_cmp_eq_u32_e64 s5, 1, v77
	v_cndmask_b32_e64 v89, v89, v84, s6
	v_cndmask_b32_e64 v81, v81, v96, s10
	v_cmp_eq_u32_e64 s12, 6, v78
	v_cndmask_b32_e64 v88, v88, v71, s11
	v_cndmask_b32_e64 v87, v87, v99, s10
	v_cmp_eq_u32_e64 s13, 5, v79
	v_cndmask_b32_e64 v90, v69, v66, s5
	v_cndmask_b32_e64 v89, v89, v98, s8
	v_cndmask_b32_e64 v81, v81, v72, s12
	v_cmp_eq_u32_e64 s15, 7, v78
	v_cndmask_b32_e64 v88, v88, v96, s13
	v_cndmask_b32_e64 v87, v87, v86, s12
	v_cmp_eq_u32_e64 s16, 6, v79
	v_cmp_eq_u32_e64 s17, 2, v77
	v_cndmask_b32_e64 v89, v89, v85, s11
	v_cndmask_b32_e64 v101, v81, v97, s15
	;; [unrolled: 1-line block ×6, first 2 shown]
	v_cmp_eq_u32_e64 s18, 7, v79
	v_cmp_eq_u32_e64 s19, 3, v77
	;; [unrolled: 1-line block ×4, first 2 shown]
	v_cndmask_b32_e64 v87, v87, v84, s17
	v_cndmask_b32_e64 v103, v88, v97, s18
	v_cndmask_b32_e64 v88, v89, v99, s13
	v_cndmask_b32_e64 v89, v81, v95, s19
	v_or_b32_e32 v81, 3, v78
	v_cndmask_b32_e64 v93, v87, v98, s19
	v_cmp_eq_u32_e64 s24, 6, v77
	v_cndmask_b32_e64 v104, v88, v86, s16
	v_cndmask_b32_e64 v92, v89, v71, s20
	v_cmp_eq_u32_e64 s21, 1, v81
	ds_load_b128 v[87:90], v82 offset:1024
	v_cmp_eq_u32_e64 s23, 2, v81
	v_cmp_eq_u32_e64 s25, 3, v81
	v_cndmask_b32_e64 v105, v92, v96, s22
	v_cndmask_b32_e64 v66, v69, v66, s21
	;; [unrolled: 1-line block ×4, first 2 shown]
	ds_load_b128 v[91:94], v82 offset:1040
	v_cmp_eq_u32_e64 s26, 4, v81
	v_cndmask_b32_e64 v66, v66, v70, s23
	v_cmp_eq_u32_e64 s27, 7, v77
	v_cndmask_b32_e64 v70, v83, v84, s23
	v_cndmask_b32_e64 v84, v105, v72, s24
	v_cmp_eq_u32_e64 s28, 5, v81
	v_cndmask_b32_e64 v66, v66, v95, s25
	v_cmp_eq_u32_e64 s29, 6, v81
	v_cndmask_b32_e64 v70, v70, v98, s25
	v_cndmask_b32_e64 v69, v69, v99, s22
	;; [unrolled: 1-line block ×4, first 2 shown]
	s_waitcnt lgkmcnt(1)
	v_lshrrev_b32_e32 v95, 16, v87
	v_cndmask_b32_e64 v70, v70, v85, s26
	v_cndmask_b32_e64 v71, v84, v97, s27
	;; [unrolled: 1-line block ×4, first 2 shown]
	v_cndmask_b32_e32 v84, v87, v95, vcc_lo
	v_cndmask_b32_e64 v70, v70, v99, s28
	s_waitcnt lgkmcnt(0)
	v_lshrrev_b32_e32 v85, 16, v91
	v_lshrrev_b32_e32 v96, 16, v88
	v_cndmask_b32_e64 v98, v87, v95, s3
	v_cndmask_b32_e64 v84, v84, v88, s4
	;; [unrolled: 1-line block ×3, first 2 shown]
	v_cndmask_b32_e32 v99, v91, v85, vcc_lo
	v_cmp_eq_u32_e32 vcc_lo, 7, v81
	v_cndmask_b32_e64 v66, v66, v72, s29
	v_cndmask_b32_e64 v72, v84, v96, s7
	;; [unrolled: 1-line block ×3, first 2 shown]
	v_lshrrev_b32_e32 v98, 16, v92
	v_cndmask_b32_e32 v70, v70, v100, vcc_lo
	v_cndmask_b32_e64 v86, v99, v92, s4
	v_cndmask_b32_e64 v69, v69, v100, s27
	v_lshrrev_b32_e32 v100, 16, v93
	v_cndmask_b32_e64 v72, v72, v89, s9
	v_lshrrev_b32_e32 v99, 16, v89
	v_cndmask_b32_e64 v86, v86, v98, s7
	v_perm_b32 v71, v69, v71, 0x5040100
	v_cndmask_b32_e64 v84, v84, v96, s8
	s_delay_alu instid0(VALU_DEP_3) | instskip(NEXT) | instid1(VALU_DEP_2)
	v_cndmask_b32_e64 v86, v86, v93, s9
	v_cndmask_b32_e64 v84, v84, v89, s11
	s_delay_alu instid0(VALU_DEP_2) | instskip(NEXT) | instid1(VALU_DEP_1)
	v_cndmask_b32_e64 v86, v86, v100, s10
	v_cndmask_b32_e64 v69, v86, v94, s12
	;; [unrolled: 1-line block ×5, first 2 shown]
	s_delay_alu instid0(VALU_DEP_3) | instskip(NEXT) | instid1(VALU_DEP_3)
	v_cndmask_b32_e64 v86, v86, v88, s17
	v_cndmask_b32_e64 v87, v87, v88, s23
	s_delay_alu instid0(VALU_DEP_3) | instskip(NEXT) | instid1(VALU_DEP_3)
	v_cndmask_b32_e64 v88, v95, v92, s23
	v_cndmask_b32_e64 v86, v86, v96, s19
	;; [unrolled: 3-line block ×7, first 2 shown]
	s_delay_alu instid0(VALU_DEP_3) | instskip(SKIP_2) | instid1(VALU_DEP_2)
	v_cndmask_b32_e64 v88, v88, v94, s29
	v_cndmask_b32_e32 v66, v66, v97, vcc_lo
	v_cndmask_b32_e64 v97, v72, v99, s10
	v_perm_b32 v72, v70, v66, 0x5040100
	v_perm_b32 v70, v83, v103, 0x5040100
	v_cndmask_b32_e64 v103, v91, v85, s5
	v_cndmask_b32_e64 v85, v91, v85, s3
	;; [unrolled: 1-line block ×4, first 2 shown]
	v_lshrrev_b32_e32 v97, 16, v90
	v_cndmask_b32_e64 v91, v103, v92, s17
	v_cndmask_b32_e64 v85, v85, v92, s6
	;; [unrolled: 1-line block ×3, first 2 shown]
	s_mov_b32 s3, exec_lo
	v_cndmask_b32_e64 v83, v84, v97, s15
	v_cndmask_b32_e64 v91, v91, v98, s19
	;; [unrolled: 1-line block ×3, first 2 shown]
	v_lshrrev_b32_e32 v84, 16, v94
	v_cndmask_b32_e64 v66, v66, v97, s18
	v_cndmask_b32_e64 v90, v86, v97, s27
	;; [unrolled: 1-line block ×4, first 2 shown]
	v_dual_cndmask_b32 v86, v87, v97 :: v_dual_cndmask_b32 v87, v88, v84
	v_cndmask_b32_e64 v91, v69, v84, s15
	s_delay_alu instid0(VALU_DEP_4) | instskip(NEXT) | instid1(VALU_DEP_4)
	v_cndmask_b32_e64 v89, v89, v100, s22
	v_cndmask_b32_e64 v85, v85, v100, s13
	v_perm_b32 v69, v102, v101, 0x5040100
	v_perm_b32 v86, v87, v86, 0x5040100
	v_perm_b32 v83, v91, v83, 0x5040100
	v_cndmask_b32_e64 v89, v89, v94, s24
	v_cndmask_b32_e64 v85, v85, v94, s16
	s_mul_i32 s8, s35, 11
	s_delay_alu instid0(VALU_DEP_2) | instskip(NEXT) | instid1(VALU_DEP_2)
	v_cndmask_b32_e64 v88, v89, v84, s27
	v_cndmask_b32_e64 v89, v85, v84, s18
	s_delay_alu instid0(VALU_DEP_2) | instskip(NEXT) | instid1(VALU_DEP_2)
	v_perm_b32 v85, v88, v90, 0x5040100
	v_perm_b32 v84, v89, v66, 0x5040100
	ds_store_b128 v76, v[69:72]
	ds_store_b128 v76, v[83:86] offset:1024
	v_cmpx_gt_u32_e32 11, v0
	s_cbranch_execz .LBB1536_78
; %bb.77:
	s_mul_i32 s4, s8, s30
	s_delay_alu instid0(SALU_CYCLE_1) | instskip(SKIP_1) | instid1(VALU_DEP_1)
	v_add3_u32 v69, s4, s31, v65
	s_load_b128 s[4:7], s[0:1], 0x58
	v_mad_u64_u32 v[65:66], null, v69, s34, s[14:15]
	s_delay_alu instid0(VALU_DEP_1) | instskip(NEXT) | instid1(VALU_DEP_1)
	v_ashrrev_i32_e32 v66, 31, v65
	v_lshlrev_b64 v[65:66], 2, v[65:66]
	s_waitcnt lgkmcnt(0)
	s_delay_alu instid0(VALU_DEP_1) | instskip(NEXT) | instid1(VALU_DEP_2)
	v_add_co_u32 v69, vcc_lo, s6, v65
	v_add_co_ci_u32_e32 v70, vcc_lo, s7, v66, vcc_lo
	v_add_co_u32 v65, vcc_lo, s4, v65
	v_add_co_ci_u32_e32 v66, vcc_lo, s5, v66, vcc_lo
	global_store_b32 v[69:70], v67, off
	global_store_b32 v[65:66], v68, off
.LBB1536_78:
	s_or_b32 exec_lo, exec_lo, s3
	s_waitcnt lgkmcnt(0)
	s_waitcnt_vscnt null, 0x0
	s_barrier
	buffer_gl0_inv
	ds_load_b128 v[83:86], v80
	ds_load_b128 v[87:90], v80 offset:16
	ds_load_b128 v[95:98], v80 offset:2064
	;; [unrolled: 1-line block ×3, first 2 shown]
	v_mov_b32_e32 v65, 0
	ds_load_b128 v[103:106], v80 offset:4112
	ds_load_b128 v[99:102], v80 offset:4096
	;; [unrolled: 1-line block ×4, first 2 shown]
	v_mov_b32_e32 v66, v65
	v_mov_b32_e32 v67, v65
	;; [unrolled: 1-line block ×7, first 2 shown]
	s_waitcnt lgkmcnt(6)
	s_delay_alu instid0(VALU_DEP_1)
	v_wmma_f32_16x16x16_bf16 v[65:72], v[49:56], v[83:90], v[65:72]
	ds_load_b128 v[53:56], v80 offset:8208
	ds_load_b128 v[49:52], v80 offset:8192
	s_waitcnt lgkmcnt(6)
	v_wmma_f32_16x16x16_bf16 v[65:72], v[41:48], v[91:98], v[65:72]
	ds_load_b128 v[45:48], v80 offset:10256
	ds_load_b128 v[41:44], v80 offset:10240
	s_waitcnt lgkmcnt(6)
	;; [unrolled: 4-line block ×4, first 2 shown]
	v_wmma_f32_16x16x16_bf16 v[65:72], v[1:8], v[49:56], v[65:72]
	s_waitcnt lgkmcnt(4)
	s_delay_alu instid0(VALU_DEP_1) | instskip(SKIP_1) | instid1(VALU_DEP_1)
	v_wmma_f32_16x16x16_bf16 v[65:72], v[9:16], v[41:48], v[65:72]
	s_waitcnt lgkmcnt(2)
	v_wmma_f32_16x16x16_bf16 v[65:72], v[17:24], v[33:40], v[65:72]
	s_waitcnt lgkmcnt(0)
	s_delay_alu instid0(VALU_DEP_1) | instskip(NEXT) | instid1(VALU_DEP_1)
	v_wmma_f32_16x16x16_bf16 v[65:72], v[57:64], v[25:32], v[65:72]
	v_and_b32_e32 v1, 0x7f800000, v65
	s_delay_alu instid0(VALU_DEP_1) | instskip(SKIP_1) | instid1(SALU_CYCLE_1)
	v_cmp_ne_u32_e32 vcc_lo, 0x7f800000, v1
                                        ; implicit-def: $vgpr1
	s_and_saveexec_b32 s3, vcc_lo
	s_xor_b32 s3, exec_lo, s3
; %bb.79:
	v_bfe_u32 v1, v65, 16, 1
	s_delay_alu instid0(VALU_DEP_1)
	v_add3_u32 v1, v65, v1, 0x7fff
; %bb.80:
	s_and_not1_saveexec_b32 s3, s3
; %bb.81:
	v_and_b32_e32 v1, 0xffff, v65
	v_or_b32_e32 v2, 0x10000, v65
	s_delay_alu instid0(VALU_DEP_2) | instskip(NEXT) | instid1(VALU_DEP_2)
	v_cmp_eq_u32_e32 vcc_lo, 0, v1
	v_cndmask_b32_e32 v1, v2, v65, vcc_lo
; %bb.82:
	s_or_b32 exec_lo, exec_lo, s3
	v_and_b32_e32 v2, 0x7f800000, v66
	s_delay_alu instid0(VALU_DEP_1) | instskip(SKIP_1) | instid1(SALU_CYCLE_1)
	v_cmp_ne_u32_e32 vcc_lo, 0x7f800000, v2
                                        ; implicit-def: $vgpr2
	s_and_saveexec_b32 s3, vcc_lo
	s_xor_b32 s3, exec_lo, s3
; %bb.83:
	v_bfe_u32 v2, v66, 16, 1
	s_delay_alu instid0(VALU_DEP_1)
	v_add3_u32 v2, v66, v2, 0x7fff
; %bb.84:
	s_and_not1_saveexec_b32 s3, s3
; %bb.85:
	v_and_b32_e32 v2, 0xffff, v66
	v_or_b32_e32 v3, 0x10000, v66
	s_delay_alu instid0(VALU_DEP_2) | instskip(NEXT) | instid1(VALU_DEP_2)
	v_cmp_eq_u32_e32 vcc_lo, 0, v2
	v_cndmask_b32_e32 v2, v3, v66, vcc_lo
; %bb.86:
	s_or_b32 exec_lo, exec_lo, s3
	v_and_b32_e32 v3, 0x7f800000, v67
	s_delay_alu instid0(VALU_DEP_1) | instskip(SKIP_1) | instid1(SALU_CYCLE_1)
	v_cmp_ne_u32_e32 vcc_lo, 0x7f800000, v3
                                        ; implicit-def: $vgpr3
	s_and_saveexec_b32 s3, vcc_lo
	s_xor_b32 s3, exec_lo, s3
; %bb.87:
	v_bfe_u32 v3, v67, 16, 1
	s_delay_alu instid0(VALU_DEP_1)
	v_add3_u32 v3, v67, v3, 0x7fff
; %bb.88:
	s_and_not1_saveexec_b32 s3, s3
; %bb.89:
	v_and_b32_e32 v3, 0xffff, v67
	v_or_b32_e32 v4, 0x10000, v67
	s_delay_alu instid0(VALU_DEP_2) | instskip(NEXT) | instid1(VALU_DEP_2)
	v_cmp_eq_u32_e32 vcc_lo, 0, v3
	v_cndmask_b32_e32 v3, v4, v67, vcc_lo
; %bb.90:
	s_or_b32 exec_lo, exec_lo, s3
	v_and_b32_e32 v4, 0x7f800000, v68
	s_delay_alu instid0(VALU_DEP_1) | instskip(SKIP_1) | instid1(SALU_CYCLE_1)
	v_cmp_ne_u32_e32 vcc_lo, 0x7f800000, v4
                                        ; implicit-def: $vgpr4
	s_and_saveexec_b32 s3, vcc_lo
	s_xor_b32 s3, exec_lo, s3
; %bb.91:
	v_bfe_u32 v4, v68, 16, 1
	s_delay_alu instid0(VALU_DEP_1)
	v_add3_u32 v4, v68, v4, 0x7fff
; %bb.92:
	s_and_not1_saveexec_b32 s3, s3
; %bb.93:
	v_and_b32_e32 v4, 0xffff, v68
	v_or_b32_e32 v5, 0x10000, v68
	s_delay_alu instid0(VALU_DEP_2) | instskip(NEXT) | instid1(VALU_DEP_2)
	v_cmp_eq_u32_e32 vcc_lo, 0, v4
	v_cndmask_b32_e32 v4, v5, v68, vcc_lo
; %bb.94:
	s_or_b32 exec_lo, exec_lo, s3
	v_and_b32_e32 v5, 0x7f800000, v69
	s_delay_alu instid0(VALU_DEP_1) | instskip(SKIP_1) | instid1(SALU_CYCLE_1)
	v_cmp_ne_u32_e32 vcc_lo, 0x7f800000, v5
                                        ; implicit-def: $vgpr5
	s_and_saveexec_b32 s3, vcc_lo
	s_xor_b32 s3, exec_lo, s3
; %bb.95:
	v_bfe_u32 v5, v69, 16, 1
	s_delay_alu instid0(VALU_DEP_1)
	v_add3_u32 v5, v69, v5, 0x7fff
; %bb.96:
	s_and_not1_saveexec_b32 s3, s3
; %bb.97:
	v_and_b32_e32 v5, 0xffff, v69
	v_or_b32_e32 v6, 0x10000, v69
	s_delay_alu instid0(VALU_DEP_2) | instskip(NEXT) | instid1(VALU_DEP_2)
	v_cmp_eq_u32_e32 vcc_lo, 0, v5
	v_cndmask_b32_e32 v5, v6, v69, vcc_lo
; %bb.98:
	s_or_b32 exec_lo, exec_lo, s3
	v_and_b32_e32 v6, 0x7f800000, v70
	s_delay_alu instid0(VALU_DEP_1) | instskip(SKIP_1) | instid1(SALU_CYCLE_1)
	v_cmp_ne_u32_e32 vcc_lo, 0x7f800000, v6
                                        ; implicit-def: $vgpr6
	s_and_saveexec_b32 s3, vcc_lo
	s_xor_b32 s3, exec_lo, s3
; %bb.99:
	v_bfe_u32 v6, v70, 16, 1
	s_delay_alu instid0(VALU_DEP_1)
	v_add3_u32 v6, v70, v6, 0x7fff
; %bb.100:
	s_and_not1_saveexec_b32 s3, s3
; %bb.101:
	v_and_b32_e32 v6, 0xffff, v70
	v_or_b32_e32 v7, 0x10000, v70
	s_delay_alu instid0(VALU_DEP_2) | instskip(NEXT) | instid1(VALU_DEP_2)
	v_cmp_eq_u32_e32 vcc_lo, 0, v6
	v_cndmask_b32_e32 v6, v7, v70, vcc_lo
; %bb.102:
	s_or_b32 exec_lo, exec_lo, s3
	v_and_b32_e32 v7, 0x7f800000, v71
	s_delay_alu instid0(VALU_DEP_1) | instskip(SKIP_1) | instid1(SALU_CYCLE_1)
	v_cmp_ne_u32_e32 vcc_lo, 0x7f800000, v7
                                        ; implicit-def: $vgpr7
	s_and_saveexec_b32 s3, vcc_lo
	s_xor_b32 s3, exec_lo, s3
; %bb.103:
	v_bfe_u32 v7, v71, 16, 1
	s_delay_alu instid0(VALU_DEP_1)
	v_add3_u32 v7, v71, v7, 0x7fff
; %bb.104:
	s_and_not1_saveexec_b32 s3, s3
; %bb.105:
	v_and_b32_e32 v7, 0xffff, v71
	v_or_b32_e32 v8, 0x10000, v71
	s_delay_alu instid0(VALU_DEP_2) | instskip(NEXT) | instid1(VALU_DEP_2)
	v_cmp_eq_u32_e32 vcc_lo, 0, v7
	v_cndmask_b32_e32 v7, v8, v71, vcc_lo
; %bb.106:
	s_or_b32 exec_lo, exec_lo, s3
	v_and_b32_e32 v8, 0x7f800000, v72
	s_delay_alu instid0(VALU_DEP_1) | instskip(SKIP_1) | instid1(SALU_CYCLE_1)
	v_cmp_ne_u32_e32 vcc_lo, 0x7f800000, v8
                                        ; implicit-def: $vgpr8
	s_and_saveexec_b32 s3, vcc_lo
	s_xor_b32 s3, exec_lo, s3
; %bb.107:
	v_bfe_u32 v8, v72, 16, 1
	s_delay_alu instid0(VALU_DEP_1)
	v_add3_u32 v8, v72, v8, 0x7fff
                                        ; implicit-def: $vgpr65_vgpr66_vgpr67_vgpr68_vgpr69_vgpr70_vgpr71_vgpr72
; %bb.108:
	s_and_not1_saveexec_b32 s3, s3
; %bb.109:
	v_and_b32_e32 v8, 0xffff, v72
	v_or_b32_e32 v9, 0x10000, v72
	s_delay_alu instid0(VALU_DEP_2) | instskip(NEXT) | instid1(VALU_DEP_2)
	v_cmp_eq_u32_e32 vcc_lo, 0, v8
	v_cndmask_b32_e32 v8, v9, v72, vcc_lo
; %bb.110:
	s_or_b32 exec_lo, exec_lo, s3
	s_delay_alu instid0(VALU_DEP_1)
	v_perm_b32 v7, v8, v7, 0x7060302
	v_perm_b32 v6, v6, v5, 0x7060302
	;; [unrolled: 1-line block ×4, first 2 shown]
	s_barrier
	buffer_gl0_inv
	v_cmp_eq_u32_e32 vcc_lo, 1, v78
	ds_store_b128 v76, v[4:7]
	s_waitcnt lgkmcnt(0)
	s_barrier
	buffer_gl0_inv
	ds_load_b128 v[1:4], v82
	ds_load_b128 v[5:8], v82 offset:16
	v_cmp_eq_u32_e64 s3, 1, v79
	v_cmp_eq_u32_e64 s4, 2, v78
	v_cmp_eq_u32_e64 s5, 3, v78
	v_cmp_eq_u32_e64 s7, 2, v77
	v_cmp_eq_u32_e64 s6, 7, v79
	s_waitcnt lgkmcnt(1)
	v_lshrrev_b32_e32 v9, 16, v1
	s_waitcnt lgkmcnt(0)
	v_lshrrev_b32_e32 v13, 16, v5
	v_lshrrev_b32_e32 v10, 16, v2
	;; [unrolled: 1-line block ×4, first 2 shown]
	v_cndmask_b32_e64 v19, v1, v9, s3
	v_cndmask_b32_e32 v18, v5, v13, vcc_lo
	v_cndmask_b32_e64 v20, v5, v13, s3
	v_cndmask_b32_e32 v17, v1, v9, vcc_lo
	v_cmp_eq_u32_e32 vcc_lo, 2, v79
	v_lshrrev_b32_e32 v15, 16, v7
	v_cmp_eq_u32_e64 s3, 1, v77
	v_lshrrev_b32_e32 v12, 16, v4
	v_lshrrev_b32_e32 v16, 16, v8
	v_cndmask_b32_e32 v20, v20, v6, vcc_lo
	v_cndmask_b32_e64 v17, v17, v2, s4
	v_cndmask_b32_e32 v19, v19, v2, vcc_lo
	v_cndmask_b32_e64 v18, v18, v6, s4
	v_cmp_eq_u32_e32 vcc_lo, 4, v78
	v_cmp_eq_u32_e64 s4, 3, v79
	v_cndmask_b32_e64 v17, v17, v10, s5
	v_cndmask_b32_e64 v21, v1, v9, s3
	;; [unrolled: 1-line block ×5, first 2 shown]
	v_cndmask_b32_e32 v17, v17, v3, vcc_lo
	v_cndmask_b32_e64 v20, v20, v14, s4
	v_cndmask_b32_e32 v18, v18, v7, vcc_lo
	v_cmp_eq_u32_e32 vcc_lo, 4, v79
	v_cmp_eq_u32_e64 s4, 5, v79
	v_cmp_eq_u32_e64 s3, 2, v81
	v_cndmask_b32_e64 v21, v21, v2, s7
	v_cmp_eq_u32_e64 s5, 5, v78
	v_cndmask_b32_e32 v19, v19, v3, vcc_lo
	v_cndmask_b32_e32 v20, v20, v7, vcc_lo
	v_cmp_eq_u32_e32 vcc_lo, 6, v79
	s_delay_alu instid0(VALU_DEP_4) | instskip(NEXT) | instid1(VALU_DEP_4)
	v_cndmask_b32_e64 v17, v17, v11, s5
	v_cndmask_b32_e64 v19, v19, v11, s4
	s_delay_alu instid0(VALU_DEP_4) | instskip(SKIP_1) | instid1(VALU_DEP_3)
	v_cndmask_b32_e64 v20, v20, v15, s4
	v_cmp_eq_u32_e64 s4, 1, v81
	v_cndmask_b32_e32 v19, v19, v4, vcc_lo
	v_cndmask_b32_e64 v18, v18, v15, s5
	s_delay_alu instid0(VALU_DEP_3)
	v_cndmask_b32_e64 v1, v1, v9, s4
	v_cndmask_b32_e64 v5, v5, v13, s4
	v_cmp_eq_u32_e64 s4, 3, v77
	v_cndmask_b32_e64 v13, v22, v6, s7
	v_cmp_eq_u32_e64 s7, 3, v81
	v_cndmask_b32_e64 v1, v1, v2, s3
	v_cndmask_b32_e64 v2, v5, v6, s3
	;; [unrolled: 1-line block ×3, first 2 shown]
	v_cmp_eq_u32_e64 s3, 4, v77
	v_cndmask_b32_e64 v6, v13, v14, s4
	v_cndmask_b32_e64 v1, v1, v10, s7
	v_cmp_eq_u32_e64 s4, 4, v81
	v_cndmask_b32_e64 v2, v2, v14, s7
	v_cndmask_b32_e64 v5, v9, v3, s3
	;; [unrolled: 3-line block ×3, first 2 shown]
	v_cndmask_b32_e64 v2, v2, v7, s4
	v_cmp_eq_u32_e64 s3, 5, v81
	v_cmp_eq_u32_e64 s5, 6, v78
	v_cndmask_b32_e64 v5, v5, v11, s7
	v_cmp_eq_u32_e64 s4, 6, v77
	v_cndmask_b32_e64 v3, v6, v15, s7
	v_cndmask_b32_e64 v1, v1, v11, s3
	v_cmp_eq_u32_e64 s7, 6, v81
	v_cndmask_b32_e64 v2, v2, v15, s3
	v_cndmask_b32_e64 v17, v17, v4, s5
	v_cndmask_b32_e64 v18, v18, v8, s5
	v_cmp_eq_u32_e64 s5, 7, v78
	v_cndmask_b32_e64 v5, v5, v4, s4
	;; [unrolled: 4-line block ×3, first 2 shown]
	v_cmp_eq_u32_e64 s4, 7, v77
	v_cndmask_b32_e32 v4, v20, v8, vcc_lo
	v_cndmask_b32_e64 v17, v17, v12, s5
	v_cndmask_b32_e64 v19, v19, v12, s6
	;; [unrolled: 1-line block ×8, first 2 shown]
	s_mov_b32 s3, exec_lo
	v_perm_b32 v4, v2, v1, 0x5040100
	v_perm_b32 v3, v3, v5, 0x5040100
	;; [unrolled: 1-line block ×4, first 2 shown]
	ds_store_b128 v76, v[1:4]
	s_waitcnt lgkmcnt(0)
	s_barrier
	buffer_gl0_inv
	v_cmpx_gt_u32_e32 32, v0
	s_cbranch_execz .LBB1536_2
; %bb.111:
	s_load_b64 s[4:5], s[0:1], 0x68
	v_lshlrev_b32_e32 v0, 10, v0
	v_lshlrev_b32_e32 v1, 4, v75
	s_lshl_b32 s0, s34, 7
	v_add_nc_u32_e32 v7, s31, v74
	s_mul_i32 s1, s0, s30
	s_delay_alu instid0(SALU_CYCLE_1) | instskip(SKIP_1) | instid1(VALU_DEP_2)
	s_mul_i32 s6, s1, s8
	v_and_or_b32 v0, 0x3800, v0, v1
	v_mul_lo_u32 v1, v7, s0
	v_add_nc_u32_e32 v2, 2, v7
	s_ashr_i32 s7, s6, 31
	v_add_nc_u32_e32 v4, 4, v7
	s_lshl_b64 s[6:7], s[6:7], 1
	v_add_nc_u32_e32 v8, 6, v7
	v_mul_lo_u32 v3, v2, s0
	v_lshl_or_b32 v19, v74, 6, v0
	v_ashrrev_i32_e32 v2, 31, v1
	v_mul_lo_u32 v11, v4, s0
	v_mul_lo_u32 v25, v8, s0
	s_waitcnt lgkmcnt(0)
	s_add_u32 s1, s4, s6
	s_addc_u32 s3, s5, s7
	s_lshl_b32 s4, s14, 7
	v_lshlrev_b64 v[5:6], 1, v[1:2]
	s_ashr_i32 s5, s4, 31
	v_ashrrev_i32_e32 v4, 31, v3
	s_lshl_b64 s[4:5], s[4:5], 1
	v_ashrrev_i32_e32 v12, 31, v11
	s_add_u32 s1, s1, s4
	s_addc_u32 s3, s3, s5
	v_add_co_u32 v1, s1, s1, v73
	s_delay_alu instid0(VALU_DEP_1) | instskip(SKIP_1) | instid1(VALU_DEP_3)
	v_add_co_ci_u32_e64 v2, null, s3, 0, s1
	v_lshlrev_b64 v[3:4], 1, v[3:4]
	v_add_co_u32 v23, vcc_lo, v1, v5
	v_add_nc_u32_e32 v5, 8, v7
	s_delay_alu instid0(VALU_DEP_4) | instskip(NEXT) | instid1(VALU_DEP_4)
	v_add_co_ci_u32_e32 v24, vcc_lo, v2, v6, vcc_lo
	v_add_co_u32 v27, vcc_lo, v1, v3
	s_delay_alu instid0(VALU_DEP_3)
	v_mul_lo_u32 v29, v5, s0
	v_add_co_ci_u32_e32 v28, vcc_lo, v2, v4, vcc_lo
	ds_load_b128 v[3:6], v19
	ds_load_b128 v[7:10], v19 offset:128
	v_lshlrev_b64 v[31:32], 1, v[11:12]
	ds_load_b128 v[11:14], v19 offset:256
	ds_load_b128 v[15:18], v19 offset:384
	;; [unrolled: 1-line block ×3, first 2 shown]
	v_ashrrev_i32_e32 v26, 31, v25
	v_ashrrev_i32_e32 v30, 31, v29
	v_add_co_u32 v31, vcc_lo, v1, v31
	s_delay_alu instid0(VALU_DEP_3) | instskip(NEXT) | instid1(VALU_DEP_3)
	v_lshlrev_b64 v[25:26], 1, v[25:26]
	v_lshlrev_b64 v[29:30], 1, v[29:30]
	v_add_co_ci_u32_e32 v32, vcc_lo, v2, v32, vcc_lo
	s_delay_alu instid0(VALU_DEP_3) | instskip(NEXT) | instid1(VALU_DEP_4)
	v_add_co_u32 v25, vcc_lo, v1, v25
	v_add_co_ci_u32_e32 v26, vcc_lo, v2, v26, vcc_lo
	s_delay_alu instid0(VALU_DEP_4)
	v_add_co_u32 v29, vcc_lo, v1, v29
	v_add_co_ci_u32_e32 v30, vcc_lo, v2, v30, vcc_lo
	s_waitcnt lgkmcnt(4)
	global_store_b128 v[23:24], v[3:6], off
	s_waitcnt lgkmcnt(3)
	global_store_b128 v[27:28], v[7:10], off
	;; [unrolled: 2-line block ×5, first 2 shown]
	s_and_b32 exec_lo, exec_lo, s2
	s_cbranch_execz .LBB1536_2
; %bb.112:
	ds_load_b128 v[3:6], v0 offset:640
	s_add_i32 s1, s31, 10
	s_delay_alu instid0(SALU_CYCLE_1) | instskip(NEXT) | instid1(SALU_CYCLE_1)
	s_mul_i32 s0, s1, s0
	s_ashr_i32 s1, s0, 31
	s_delay_alu instid0(SALU_CYCLE_1) | instskip(NEXT) | instid1(SALU_CYCLE_1)
	s_lshl_b64 s[0:1], s[0:1], 1
	v_add_co_u32 v0, vcc_lo, v1, s0
	v_add_co_ci_u32_e32 v1, vcc_lo, s1, v2, vcc_lo
	s_waitcnt lgkmcnt(0)
	global_store_b128 v[0:1], v[3:6], off
	s_nop 0
	s_sendmsg sendmsg(MSG_DEALLOC_VGPRS)
	s_endpgm
	.section	.rodata,"a",@progbits
	.p2align	6, 0x0
	.amdhsa_kernel _Z39paged_attention_ll4mi_QKV_mfma16_kernelI14__hip_bfloat16hLN4vllm18Fp8KVCacheDataTypeE1EhLi16ELi128ELi256ELb0ELi11EL8MFMAType1EEvPKT_PKT0_S9_ifPKiSB_SB_iPKfiiiPfSE_PS4_PT2_iSD_SD_
		.amdhsa_group_segment_fixed_size 17472
		.amdhsa_private_segment_fixed_size 0
		.amdhsa_kernarg_size 400
		.amdhsa_user_sgpr_count 13
		.amdhsa_user_sgpr_dispatch_ptr 0
		.amdhsa_user_sgpr_queue_ptr 0
		.amdhsa_user_sgpr_kernarg_segment_ptr 1
		.amdhsa_user_sgpr_dispatch_id 0
		.amdhsa_user_sgpr_private_segment_size 0
		.amdhsa_wavefront_size32 1
		.amdhsa_uses_dynamic_stack 0
		.amdhsa_enable_private_segment 0
		.amdhsa_system_sgpr_workgroup_id_x 1
		.amdhsa_system_sgpr_workgroup_id_y 1
		.amdhsa_system_sgpr_workgroup_id_z 1
		.amdhsa_system_sgpr_workgroup_info 0
		.amdhsa_system_vgpr_workitem_id 0
		.amdhsa_next_free_vgpr 140
		.amdhsa_next_free_sgpr 36
		.amdhsa_reserve_vcc 1
		.amdhsa_float_round_mode_32 0
		.amdhsa_float_round_mode_16_64 0
		.amdhsa_float_denorm_mode_32 3
		.amdhsa_float_denorm_mode_16_64 3
		.amdhsa_dx10_clamp 1
		.amdhsa_ieee_mode 1
		.amdhsa_fp16_overflow 0
		.amdhsa_workgroup_processor_mode 1
		.amdhsa_memory_ordered 1
		.amdhsa_forward_progress 0
		.amdhsa_shared_vgpr_count 0
		.amdhsa_exception_fp_ieee_invalid_op 0
		.amdhsa_exception_fp_denorm_src 0
		.amdhsa_exception_fp_ieee_div_zero 0
		.amdhsa_exception_fp_ieee_overflow 0
		.amdhsa_exception_fp_ieee_underflow 0
		.amdhsa_exception_fp_ieee_inexact 0
		.amdhsa_exception_int_div_zero 0
	.end_amdhsa_kernel
	.section	.text._Z39paged_attention_ll4mi_QKV_mfma16_kernelI14__hip_bfloat16hLN4vllm18Fp8KVCacheDataTypeE1EhLi16ELi128ELi256ELb0ELi11EL8MFMAType1EEvPKT_PKT0_S9_ifPKiSB_SB_iPKfiiiPfSE_PS4_PT2_iSD_SD_,"axG",@progbits,_Z39paged_attention_ll4mi_QKV_mfma16_kernelI14__hip_bfloat16hLN4vllm18Fp8KVCacheDataTypeE1EhLi16ELi128ELi256ELb0ELi11EL8MFMAType1EEvPKT_PKT0_S9_ifPKiSB_SB_iPKfiiiPfSE_PS4_PT2_iSD_SD_,comdat
.Lfunc_end1536:
	.size	_Z39paged_attention_ll4mi_QKV_mfma16_kernelI14__hip_bfloat16hLN4vllm18Fp8KVCacheDataTypeE1EhLi16ELi128ELi256ELb0ELi11EL8MFMAType1EEvPKT_PKT0_S9_ifPKiSB_SB_iPKfiiiPfSE_PS4_PT2_iSD_SD_, .Lfunc_end1536-_Z39paged_attention_ll4mi_QKV_mfma16_kernelI14__hip_bfloat16hLN4vllm18Fp8KVCacheDataTypeE1EhLi16ELi128ELi256ELb0ELi11EL8MFMAType1EEvPKT_PKT0_S9_ifPKiSB_SB_iPKfiiiPfSE_PS4_PT2_iSD_SD_
                                        ; -- End function
	.section	.AMDGPU.csdata,"",@progbits
; Kernel info:
; codeLenInByte = 9004
; NumSgprs: 38
; NumVgprs: 140
; ScratchSize: 0
; MemoryBound: 0
; FloatMode: 240
; IeeeMode: 1
; LDSByteSize: 17472 bytes/workgroup (compile time only)
; SGPRBlocks: 4
; VGPRBlocks: 17
; NumSGPRsForWavesPerEU: 38
; NumVGPRsForWavesPerEU: 140
; Occupancy: 10
; WaveLimiterHint : 1
; COMPUTE_PGM_RSRC2:SCRATCH_EN: 0
; COMPUTE_PGM_RSRC2:USER_SGPR: 13
; COMPUTE_PGM_RSRC2:TRAP_HANDLER: 0
; COMPUTE_PGM_RSRC2:TGID_X_EN: 1
; COMPUTE_PGM_RSRC2:TGID_Y_EN: 1
; COMPUTE_PGM_RSRC2:TGID_Z_EN: 1
; COMPUTE_PGM_RSRC2:TIDIG_COMP_CNT: 0
	.section	.text._Z39paged_attention_ll4mi_QKV_mfma16_kernelI14__hip_bfloat16hLN4vllm18Fp8KVCacheDataTypeE1EhLi16ELi128ELi256ELb0ELi12EL8MFMAType1EEvPKT_PKT0_S9_ifPKiSB_SB_iPKfiiiPfSE_PS4_PT2_iSD_SD_,"axG",@progbits,_Z39paged_attention_ll4mi_QKV_mfma16_kernelI14__hip_bfloat16hLN4vllm18Fp8KVCacheDataTypeE1EhLi16ELi128ELi256ELb0ELi12EL8MFMAType1EEvPKT_PKT0_S9_ifPKiSB_SB_iPKfiiiPfSE_PS4_PT2_iSD_SD_,comdat
	.protected	_Z39paged_attention_ll4mi_QKV_mfma16_kernelI14__hip_bfloat16hLN4vllm18Fp8KVCacheDataTypeE1EhLi16ELi128ELi256ELb0ELi12EL8MFMAType1EEvPKT_PKT0_S9_ifPKiSB_SB_iPKfiiiPfSE_PS4_PT2_iSD_SD_ ; -- Begin function _Z39paged_attention_ll4mi_QKV_mfma16_kernelI14__hip_bfloat16hLN4vllm18Fp8KVCacheDataTypeE1EhLi16ELi128ELi256ELb0ELi12EL8MFMAType1EEvPKT_PKT0_S9_ifPKiSB_SB_iPKfiiiPfSE_PS4_PT2_iSD_SD_
	.globl	_Z39paged_attention_ll4mi_QKV_mfma16_kernelI14__hip_bfloat16hLN4vllm18Fp8KVCacheDataTypeE1EhLi16ELi128ELi256ELb0ELi12EL8MFMAType1EEvPKT_PKT0_S9_ifPKiSB_SB_iPKfiiiPfSE_PS4_PT2_iSD_SD_
	.p2align	8
	.type	_Z39paged_attention_ll4mi_QKV_mfma16_kernelI14__hip_bfloat16hLN4vllm18Fp8KVCacheDataTypeE1EhLi16ELi128ELi256ELb0ELi12EL8MFMAType1EEvPKT_PKT0_S9_ifPKiSB_SB_iPKfiiiPfSE_PS4_PT2_iSD_SD_,@function
_Z39paged_attention_ll4mi_QKV_mfma16_kernelI14__hip_bfloat16hLN4vllm18Fp8KVCacheDataTypeE1EhLi16ELi128ELi256ELb0ELi12EL8MFMAType1EEvPKT_PKT0_S9_ifPKiSB_SB_iPKfiiiPfSE_PS4_PT2_iSD_SD_: ; @_Z39paged_attention_ll4mi_QKV_mfma16_kernelI14__hip_bfloat16hLN4vllm18Fp8KVCacheDataTypeE1EhLi16ELi128ELi256ELb0ELi12EL8MFMAType1EEvPKT_PKT0_S9_ifPKiSB_SB_iPKfiiiPfSE_PS4_PT2_iSD_SD_
; %bb.0:
	s_load_b64 s[4:5], s[0:1], 0x30
	s_mov_b32 s30, s13
	s_waitcnt lgkmcnt(0)
	s_cmp_lg_u64 s[4:5], 0
	s_cselect_b32 s13, -1, 0
	s_ashr_i32 s31, s30, 31
	s_cmp_eq_u64 s[4:5], 0
	s_cbranch_scc1 .LBB1537_3
; %bb.1:
	s_lshl_b64 s[2:3], s[30:31], 2
	s_delay_alu instid0(SALU_CYCLE_1) | instskip(SKIP_4) | instid1(SALU_CYCLE_1)
	s_add_u32 s2, s4, s2
	s_addc_u32 s3, s5, s3
	s_load_b64 s[2:3], s[2:3], 0x0
	s_waitcnt lgkmcnt(0)
	s_sub_i32 s2, s3, s2
	s_cmp_eq_u32 s2, 1
	s_cselect_b32 s2, -1, 0
	s_delay_alu instid0(SALU_CYCLE_1)
	s_and_not1_b32 vcc_lo, exec_lo, s2
	s_cbranch_vccz .LBB1537_4
.LBB1537_2:
	s_endpgm
.LBB1537_3:
.LBB1537_4:
	s_load_b64 s[2:3], s[0:1], 0x28
	s_lshl_b64 s[6:7], s[30:31], 2
	s_waitcnt lgkmcnt(0)
	s_add_u32 s2, s2, s6
	s_addc_u32 s3, s3, s7
	s_lshl_b32 s12, s14, 8
	s_load_b32 s17, s[2:3], 0x0
	s_waitcnt lgkmcnt(0)
	s_cmp_ge_i32 s12, s17
	s_cbranch_scc1 .LBB1537_2
; %bb.5:
	s_clause 0x1
	s_load_b128 s[8:11], s[0:1], 0x8
	s_load_b64 s[2:3], s[0:1], 0x20
	s_and_not1_b32 vcc_lo, exec_lo, s13
	s_cbranch_vccnz .LBB1537_7
; %bb.6:
	s_add_u32 s4, s4, s6
	s_addc_u32 s5, s5, s7
	s_load_b32 s13, s[4:5], 0x0
	s_branch .LBB1537_8
.LBB1537_7:
	s_mov_b32 s13, s30
.LBB1537_8:
	s_load_b128 s[4:7], s[0:1], 0x48
	v_and_b32_e32 v65, 15, v0
	v_lshrrev_b32_e32 v66, 5, v0
	v_and_b32_e32 v67, 31, v0
	v_and_b32_e32 v75, 1, v0
	v_bfe_u32 v74, v0, 4, 1
	v_lshlrev_b32_e32 v1, 3, v65
	s_mul_i32 s29, s15, 12
	s_waitcnt lgkmcnt(0)
	s_mov_b32 s7, exec_lo
	s_delay_alu instid0(VALU_DEP_1)
	v_lshlrev_b32_e32 v73, 1, v1
	v_cmpx_gt_u32_e32 0xc0, v0
	s_cbranch_execz .LBB1537_10
; %bb.9:
	s_load_b64 s[18:19], s[0:1], 0x0
	v_lshl_or_b32 v5, v66, 1, v74
	s_mul_hi_i32 s21, s13, s4
	s_mul_i32 s20, s13, s4
	v_lshlrev_b32_e32 v6, 10, v65
	s_lshl_b64 s[20:21], s[20:21], 1
	v_add_lshl_u32 v1, v5, s29, 7
	v_lshlrev_b32_e32 v5, 6, v5
	v_lshlrev_b32_e32 v7, 10, v75
	v_and_b32_e32 v6, 0x3800, v6
	s_delay_alu instid0(VALU_DEP_4) | instskip(NEXT) | instid1(VALU_DEP_2)
	v_ashrrev_i32_e32 v2, 31, v1
	v_or3_b32 v5, v6, v7, v5
	s_delay_alu instid0(VALU_DEP_2) | instskip(SKIP_3) | instid1(VALU_DEP_1)
	v_lshlrev_b64 v[1:2], 1, v[1:2]
	s_waitcnt lgkmcnt(0)
	s_add_u32 s4, s18, s20
	s_addc_u32 s13, s19, s21
	v_add_co_u32 v1, vcc_lo, s4, v1
	s_delay_alu instid0(VALU_DEP_2) | instskip(NEXT) | instid1(VALU_DEP_2)
	v_add_co_ci_u32_e32 v2, vcc_lo, s13, v2, vcc_lo
	v_add_co_u32 v1, vcc_lo, v1, v73
	s_delay_alu instid0(VALU_DEP_2)
	v_add_co_ci_u32_e32 v2, vcc_lo, 0, v2, vcc_lo
	global_load_b128 v[1:4], v[1:2], off
	s_waitcnt vmcnt(0)
	ds_store_b128 v5, v[1:4]
.LBB1537_10:
	s_or_b32 exec_lo, exec_lo, s7
	v_and_b32_e32 v1, 0xef, v0
	s_add_i32 s4, s17, 15
	s_clause 0x1
	s_load_b32 s7, s[0:1], 0x38
	s_load_b32 s18, s[0:1], 0x1c
	s_ashr_i32 s13, s4, 31
	v_add_nc_u32_e32 v1, s12, v1
	s_lshr_b32 s13, s13, 28
	s_waitcnt lgkmcnt(0)
	s_add_i32 s4, s4, s13
	s_barrier
	v_ashrrev_i32_e32 v2, 31, v1
	v_or_b32_e32 v3, 16, v1
	s_ashr_i32 s4, s4, 4
	v_cmp_gt_i32_e32 vcc_lo, s17, v1
	s_add_i32 s4, s4, -1
	v_lshrrev_b32_e32 v2, 28, v2
	buffer_gl0_inv
	s_mul_i32 s15, s15, s6
	v_add_nc_u32_e32 v4, v1, v2
	s_mul_i32 s20, s30, s7
	s_delay_alu instid0(SALU_CYCLE_1) | instskip(NEXT) | instid1(VALU_DEP_1)
	s_ashr_i32 s21, s20, 31
	v_ashrrev_i32_e32 v4, 4, v4
	v_add_nc_u32_e32 v2, v3, v2
	s_lshl_b64 s[20:21], s[20:21], 2
	s_delay_alu instid0(SALU_CYCLE_1) | instskip(NEXT) | instid1(VALU_DEP_2)
	s_add_u32 s13, s2, s20
	v_cndmask_b32_e32 v1, s4, v4, vcc_lo
	s_delay_alu instid0(VALU_DEP_2)
	v_ashrrev_i32_e32 v2, 4, v2
	v_cmp_gt_i32_e32 vcc_lo, s17, v3
	s_addc_u32 s16, s3, s21
	s_ashr_i32 s19, s15, 31
	s_add_u32 s26, s8, s15
	s_addc_u32 s27, s9, s19
	v_cndmask_b32_e32 v3, s4, v2, vcc_lo
	v_ashrrev_i32_e32 v2, 31, v1
	s_lshl_b32 s2, s14, 4
	s_delay_alu instid0(SALU_CYCLE_1) | instskip(NEXT) | instid1(VALU_DEP_2)
	s_ashr_i32 s3, s2, 31
	v_ashrrev_i32_e32 v4, 31, v3
	s_delay_alu instid0(VALU_DEP_2) | instskip(SKIP_1) | instid1(SALU_CYCLE_1)
	v_lshlrev_b64 v[1:2], 2, v[1:2]
	s_lshl_b64 s[2:3], s[2:3], 2
	s_add_u32 s2, s13, s2
	s_delay_alu instid0(VALU_DEP_2) | instskip(SKIP_1) | instid1(VALU_DEP_2)
	v_lshlrev_b64 v[3:4], 2, v[3:4]
	s_addc_u32 s3, s16, s3
	v_add_co_u32 v1, vcc_lo, s13, v1
	v_add_co_ci_u32_e32 v2, vcc_lo, s16, v2, vcc_lo
	s_delay_alu instid0(VALU_DEP_3) | instskip(NEXT) | instid1(VALU_DEP_4)
	v_add_co_u32 v3, vcc_lo, s13, v3
	v_add_co_ci_u32_e32 v4, vcc_lo, s16, v4, vcc_lo
	s_clause 0x1
	global_load_b32 v5, v[1:2], off
	global_load_b32 v3, v[3:4], off
	s_or_b32 s6, s12, 32
	v_cmp_gt_u32_e32 vcc_lo, 12, v65
	s_ashr_i32 s7, s6, 4
	s_cmp_lt_i32 s6, s17
	s_cselect_b32 s6, s7, s4
	s_delay_alu instid0(SALU_CYCLE_1) | instskip(NEXT) | instid1(SALU_CYCLE_1)
	s_ashr_i32 s7, s6, 31
	s_lshl_b64 s[6:7], s[6:7], 2
	s_delay_alu instid0(SALU_CYCLE_1) | instskip(SKIP_2) | instid1(SALU_CYCLE_1)
	s_add_u32 s6, s13, s6
	s_addc_u32 s7, s16, s7
	s_or_b32 s8, s12, 64
	s_ashr_i32 s9, s8, 4
	s_cmp_lt_i32 s8, s17
	s_cselect_b32 s8, s9, s4
	s_delay_alu instid0(SALU_CYCLE_1) | instskip(NEXT) | instid1(SALU_CYCLE_1)
	s_ashr_i32 s9, s8, 31
	s_lshl_b64 s[8:9], s[8:9], 2
	s_delay_alu instid0(SALU_CYCLE_1) | instskip(SKIP_2) | instid1(SALU_CYCLE_1)
	s_add_u32 s8, s13, s8
	s_addc_u32 s9, s16, s9
	s_or_b32 s20, s12, 0x60
	;; [unrolled: 10-line block ×4, first 2 shown]
	s_ashr_i32 s25, s24, 4
	s_cmp_lt_i32 s24, s17
	s_cselect_b32 s24, s25, s4
	s_delay_alu instid0(SALU_CYCLE_1) | instskip(NEXT) | instid1(SALU_CYCLE_1)
	s_ashr_i32 s25, s24, 31
	s_lshl_b64 s[24:25], s[24:25], 2
	s_delay_alu instid0(SALU_CYCLE_1)
	s_add_u32 s24, s13, s24
	s_addc_u32 s25, s16, s25
	s_clause 0x5
	s_load_b32 s28, s[2:3], 0x0
	s_load_b32 s31, s[6:7], 0x0
	;; [unrolled: 1-line block ×6, first 2 shown]
	s_mov_b32 s20, 0
	s_or_b32 s2, s12, 0xc0
	s_mov_b32 s21, s20
	s_mov_b32 s22, s20
	;; [unrolled: 1-line block ×5, first 2 shown]
	v_lshlrev_b32_e32 v1, 4, v0
	s_ashr_i32 s3, s2, 4
	s_cmp_lt_i32 s2, s17
	s_cselect_b32 s2, s3, s4
	s_delay_alu instid0(VALU_DEP_1) | instskip(SKIP_1) | instid1(SALU_CYCLE_1)
	v_and_b32_e32 v1, 0xf0, v1
	s_ashr_i32 s3, s2, 31
	s_lshl_b64 s[2:3], s[2:3], 2
	s_delay_alu instid0(VALU_DEP_1) | instskip(NEXT) | instid1(VALU_DEP_1)
	v_add_co_u32 v1, s26, s26, v1
	v_add_co_ci_u32_e64 v2, null, s27, 0, s26
	s_add_u32 s2, s13, s2
	s_addc_u32 s3, s16, s3
	s_or_b32 s6, s12, 0xe0
	s_mov_b32 s27, s20
	s_ashr_i32 s7, s6, 4
	s_cmp_lt_i32 s6, s17
	s_mov_b32 s26, s20
	v_dual_mov_b32 v107, s27 :: v_dual_mov_b32 v100, s20
	s_cselect_b32 s6, s7, s4
	v_mov_b32_e32 v106, s26
	s_ashr_i32 s7, s6, 31
	v_mov_b32_e32 v104, s24
	s_lshl_b64 s[6:7], s[6:7], 2
	v_dual_mov_b32 v103, s23 :: v_dual_mov_b32 v102, s22
	v_mov_b32_e32 v101, s21
	s_waitcnt vmcnt(1)
	v_mad_i64_i32 v[33:34], null, v5, s5, v[1:2]
	s_waitcnt vmcnt(0)
	v_mad_i64_i32 v[35:36], null, v3, s5, v[1:2]
	s_clause 0xf
	global_load_b128 v[1:4], v[33:34], off
	global_load_b128 v[5:8], v[33:34], off offset:256
	global_load_b128 v[9:12], v[35:36], off
	global_load_b128 v[13:16], v[35:36], off offset:256
	global_load_b128 v[17:20], v[33:34], off offset:512
	;; [unrolled: 1-line block ×13, first 2 shown]
	v_add_nc_u32_e32 v33, -12, v65
	v_lshlrev_b32_e32 v34, 4, v65
	s_delay_alu instid0(VALU_DEP_2) | instskip(SKIP_1) | instid1(VALU_DEP_3)
	v_cndmask_b32_e32 v33, v33, v65, vcc_lo
	v_mov_b32_e32 v105, s25
	v_lshl_or_b32 v41, v66, 8, v34
	s_delay_alu instid0(VALU_DEP_3)
	v_lshlrev_b32_e32 v72, 6, v33
	ds_load_b128 v[33:36], v72
	ds_load_b128 v[37:40], v72 offset:1024
	ds_load_b128 v[108:111], v72 offset:2048
	;; [unrolled: 1-line block ×3, first 2 shown]
	s_load_b32 s4, s[2:3], 0x0
	s_add_u32 s2, s13, s6
	s_addc_u32 s3, s16, s7
	ds_load_b128 v[116:119], v72 offset:4096
	ds_load_b128 v[120:123], v72 offset:5120
	s_load_b32 s2, s[2:3], 0x0
	s_add_u32 s6, s10, s15
	s_addc_u32 s7, s11, s19
	v_add_co_u32 v68, s6, s6, v41
	s_delay_alu instid0(VALU_DEP_1) | instskip(SKIP_1) | instid1(VALU_DEP_1)
	v_add_co_ci_u32_e64 v69, null, s7, 0, s6
	s_waitcnt lgkmcnt(0)
	v_mad_i64_i32 v[41:42], null, s28, s5, v[68:69]
	v_mad_i64_i32 v[70:71], null, s8, s5, v[68:69]
	;; [unrolled: 1-line block ×7, first 2 shown]
	s_clause 0x3
	global_load_b128 v[49:52], v[41:42], off
	global_load_b128 v[53:56], v[41:42], off offset:16
	global_load_b128 v[41:44], v[45:46], off
	global_load_b128 v[45:48], v[45:46], off offset:16
	s_waitcnt vmcnt(18)
	v_wmma_f32_16x16x16_bf16 v[124:131], v[1:8], v[33:40], v[100:107]
	s_waitcnt vmcnt(16)
	v_wmma_f32_16x16x16_bf16 v[100:107], v[9:16], v[33:40], v[100:107]
	s_clause 0x1
	global_load_b128 v[33:36], v[70:71], off
	global_load_b128 v[37:40], v[70:71], off offset:16
	v_mad_i64_i32 v[70:71], null, s2, s5, v[68:69]
	s_waitcnt vmcnt(16)
	v_wmma_f32_16x16x16_bf16 v[124:131], v[17:24], v[108:115], v[124:131]
	s_waitcnt vmcnt(14)
	v_wmma_f32_16x16x16_bf16 v[100:107], v[25:32], v[108:115], v[100:107]
	s_clause 0x7
	global_load_b128 v[25:28], v[132:133], off
	global_load_b128 v[29:32], v[132:133], off offset:16
	global_load_b128 v[1:4], v[134:135], off
	global_load_b128 v[5:8], v[134:135], off offset:16
	;; [unrolled: 2-line block ×4, first 2 shown]
	s_waitcnt vmcnt(20)
	v_wmma_f32_16x16x16_bf16 v[124:131], v[57:64], v[116:123], v[124:131]
	s_clause 0x1
	global_load_b128 v[57:60], v[70:71], off
	global_load_b128 v[61:64], v[70:71], off offset:16
	s_waitcnt vmcnt(20)
	v_wmma_f32_16x16x16_bf16 v[100:107], v[76:83], v[116:123], v[100:107]
	ds_load_b128 v[76:79], v72 offset:6144
	ds_load_b128 v[80:83], v72 offset:7168
	v_and_b32_e32 v68, 0xe0, v0
	v_mbcnt_lo_u32_b32 v69, -1, 0
	s_waitcnt vmcnt(0) lgkmcnt(0)
	s_barrier
	buffer_gl0_inv
	v_add_nc_u32_e32 v68, s12, v68
	v_xor_b32_e32 v70, 16, v69
	s_delay_alu instid0(VALU_DEP_2) | instskip(NEXT) | instid1(VALU_DEP_2)
	v_or_b32_e32 v68, v68, v74
	v_cmp_gt_i32_e32 vcc_lo, 32, v70
	s_delay_alu instid0(VALU_DEP_2)
	v_or_b32_e32 v71, 4, v68
	v_or_b32_e32 v72, 6, v68
	v_cmp_gt_i32_e64 s2, s17, v68
	v_or_b32_e32 v108, 8, v68
	v_wmma_f32_16x16x16_bf16 v[124:131], v[84:91], v[76:83], v[124:131]
	v_cndmask_b32_e32 v69, v69, v70, vcc_lo
	v_or_b32_e32 v70, 2, v68
	v_wmma_f32_16x16x16_bf16 v[100:107], v[92:99], v[76:83], v[100:107]
	v_or_b32_e32 v109, 10, v68
	v_dual_mul_f32 v82, s18, v127 :: v_dual_mul_f32 v79, s18, v130
	v_dual_mul_f32 v92, s18, v125 :: v_dual_mul_f32 v93, s18, v124
	s_delay_alu instid0(VALU_DEP_4)
	v_mul_f32_e32 v98, s18, v103
	v_cmp_gt_i32_e32 vcc_lo, s17, v70
	v_or_b32_e32 v89, 22, v68
	v_dual_mul_f32 v83, s18, v126 :: v_dual_mul_f32 v96, s18, v105
	v_cndmask_b32_e64 v93, 0xff7fffff, v93, s2
	v_cndmask_b32_e32 v92, 0xff7fffff, v92, vcc_lo
	v_cmp_gt_i32_e64 s3, s17, v71
	v_cmp_gt_i32_e64 s4, s17, v72
	v_or_b32_e32 v84, 12, v68
	v_or_b32_e32 v85, 14, v68
	v_dual_mul_f32 v80, s18, v129 :: v_dual_mul_f32 v81, s18, v128
	v_mul_f32_e32 v94, s18, v107
	v_cndmask_b32_e64 v71, 0xff7fffff, v83, s3
	v_cndmask_b32_e64 v72, 0xff7fffff, v82, s4
	v_cmp_gt_i32_e64 s5, s17, v108
	v_cmp_gt_i32_e64 s6, s17, v109
	;; [unrolled: 1-line block ×3, first 2 shown]
	v_lshlrev_b32_e32 v89, 2, v69
	v_max3_f32 v82, v93, 0xff7fffff, v92
	v_or_b32_e32 v86, 16, v68
	v_or_b32_e32 v87, 18, v68
	v_mul_f32_e32 v78, s18, v131
	v_cndmask_b32_e64 v81, 0xff7fffff, v81, s5
	v_cndmask_b32_e64 v80, 0xff7fffff, v80, s6
	v_max3_f32 v71, v82, v71, v72
	v_cmp_gt_i32_e64 s7, s17, v84
	v_cmp_gt_i32_e64 s8, s17, v85
	v_or_b32_e32 v88, 20, v68
	v_or_b32_e32 v90, 24, v68
	;; [unrolled: 1-line block ×5, first 2 shown]
	v_dual_mul_f32 v95, s18, v106 :: v_dual_mul_f32 v70, s18, v101
	v_dual_mul_f32 v99, s18, v102 :: v_dual_mul_f32 v68, s18, v100
	v_cndmask_b32_e64 v72, 0xff7fffff, v79, s7
	v_cndmask_b32_e64 v78, 0xff7fffff, v78, s8
	v_max3_f32 v71, v71, v81, v80
	v_cmp_gt_i32_e64 s9, s17, v86
	v_cmp_gt_i32_e64 s10, s17, v87
	;; [unrolled: 1-line block ×3, first 2 shown]
	v_mul_f32_e32 v97, s18, v104
	v_max3_f32 v71, v71, v72, v78
	v_cndmask_b32_e64 v68, 0xff7fffff, v68, s9
	v_cndmask_b32_e64 v70, 0xff7fffff, v70, s10
	;; [unrolled: 1-line block ×4, first 2 shown]
	v_cmp_gt_i32_e64 s13, s17, v90
	v_cmp_gt_i32_e64 s15, s17, v91
	v_max3_f32 v68, v71, v68, v70
	v_cmp_gt_i32_e64 s16, s17, v76
	v_cmp_gt_i32_e64 s17, s17, v77
	v_cndmask_b32_e64 v70, 0xff7fffff, v97, s13
	v_cndmask_b32_e64 v71, 0xff7fffff, v96, s15
	v_max3_f32 v68, v68, v72, v78
	v_cndmask_b32_e64 v72, 0xff7fffff, v95, s16
	v_cndmask_b32_e64 v76, 0xff7fffff, v94, s17
	s_delay_alu instid0(VALU_DEP_3) | instskip(NEXT) | instid1(VALU_DEP_1)
	v_max3_f32 v68, v68, v70, v71
	v_max3_f32 v68, v68, v72, v76
	ds_bpermute_b32 v69, v89, v68
	s_waitcnt lgkmcnt(0)
	v_max_f32_e32 v69, v69, v69
	s_delay_alu instid0(VALU_DEP_1) | instskip(NEXT) | instid1(VALU_DEP_1)
	v_max_f32_e32 v68, v68, v69
	v_fma_f32 v69, s18, v124, -v68
	v_fma_f32 v70, s18, v125, -v68
	;; [unrolled: 1-line block ×5, first 2 shown]
	s_delay_alu instid0(VALU_DEP_4) | instskip(NEXT) | instid1(VALU_DEP_4)
	v_dual_mul_f32 v69, 0x3fb8aa3b, v69 :: v_dual_mul_f32 v70, 0x3fb8aa3b, v70
	v_mul_f32_e32 v72, 0x3fb8aa3b, v72
	v_fma_f32 v78, s18, v130, -v68
	s_delay_alu instid0(VALU_DEP_4) | instskip(NEXT) | instid1(VALU_DEP_4)
	v_mul_f32_e32 v77, 0x3fb8aa3b, v76
	v_exp_f32_e32 v69, v69
	v_exp_f32_e32 v70, v70
	v_mul_f32_e32 v71, 0x3fb8aa3b, v71
	v_exp_f32_e32 v72, v72
	v_mul_f32_e32 v78, 0x3fb8aa3b, v78
	v_exp_f32_e32 v77, v77
	v_fma_f32 v81, s18, v105, -v68
	s_delay_alu instid0(VALU_DEP_2)
	v_exp_f32_e32 v78, v78
	v_cndmask_b32_e64 v80, 0, v69, s2
	v_cndmask_b32_e32 v76, 0, v70, vcc_lo
	v_exp_f32_e32 v71, v71
	v_fma_f32 v69, s18, v129, -v68
	v_cndmask_b32_e64 v85, 0, v72, s4
	v_add_f32_e32 v70, 0, v80
	s_delay_alu instid0(TRANS32_DEP_3)
	v_cndmask_b32_e64 v86, 0, v77, s5
	v_fma_f32 v77, s18, v101, -v68
	v_mul_f32_e32 v69, 0x3fb8aa3b, v69
	v_fma_f32 v72, s18, v100, -v68
	v_cndmask_b32_e64 v84, 0, v78, s7
	v_fma_f32 v78, s18, v103, -v68
	v_cndmask_b32_e64 v83, 0, v71, s3
	v_fma_f32 v71, s18, v131, -v68
	v_add_f32_e32 v70, v70, v76
	v_exp_f32_e32 v69, v69
	v_mul_f32_e32 v77, 0x3fb8aa3b, v77
	v_mul_f32_e32 v81, 0x3fb8aa3b, v81
	;; [unrolled: 1-line block ×3, first 2 shown]
	v_add_f32_e32 v70, v70, v83
	s_mov_b32 s2, exec_lo
	v_exp_f32_e32 v77, v77
	v_exp_f32_e32 v81, v81
	;; [unrolled: 1-line block ×3, first 2 shown]
	v_cndmask_b32_e64 v87, 0, v69, s6
	v_add_f32_e32 v70, v70, v85
	s_delay_alu instid0(VALU_DEP_1) | instskip(SKIP_1) | instid1(VALU_DEP_2)
	v_dual_mul_f32 v72, 0x3fb8aa3b, v72 :: v_dual_add_f32 v69, v70, v86
	v_fma_f32 v70, s18, v102, -v68
	v_exp_f32_e32 v72, v72
	s_waitcnt_depctr 0xfff
	v_cndmask_b32_e64 v88, 0, v71, s8
	v_fma_f32 v71, s18, v104, -v68
	v_dual_add_f32 v69, v69, v87 :: v_dual_mul_f32 v70, 0x3fb8aa3b, v70
	s_delay_alu instid0(VALU_DEP_2) | instskip(NEXT) | instid1(VALU_DEP_2)
	v_dual_mul_f32 v78, 0x3fb8aa3b, v78 :: v_dual_mul_f32 v71, 0x3fb8aa3b, v71
	v_add_f32_e32 v69, v69, v84
	s_delay_alu instid0(VALU_DEP_3) | instskip(SKIP_1) | instid1(VALU_DEP_3)
	v_exp_f32_e32 v79, v70
	v_cndmask_b32_e64 v70, 0, v72, s9
	v_exp_f32_e32 v78, v78
	v_exp_f32_e32 v82, v71
	v_add_f32_e32 v72, v69, v88
	v_cndmask_b32_e64 v69, 0, v77, s10
	v_fma_f32 v77, s18, v106, -v68
	s_delay_alu instid0(VALU_DEP_3) | instskip(NEXT) | instid1(TRANS32_DEP_3)
	v_add_f32_e32 v72, v72, v70
	v_cndmask_b32_e64 v71, 0, v79, s11
	s_delay_alu instid0(VALU_DEP_3) | instskip(NEXT) | instid1(VALU_DEP_3)
	v_mul_f32_e32 v77, 0x3fb8aa3b, v77
	v_add_f32_e32 v79, v72, v69
	s_delay_alu instid0(TRANS32_DEP_2) | instskip(NEXT) | instid1(VALU_DEP_3)
	v_cndmask_b32_e64 v72, 0, v78, s12
	v_exp_f32_e32 v90, v77
	v_cndmask_b32_e64 v77, 0, v82, s13
	s_delay_alu instid0(VALU_DEP_3) | instskip(SKIP_1) | instid1(VALU_DEP_1)
	v_add_f32_e32 v78, v79, v71
	v_fma_f32 v79, s18, v107, -v68
	v_dual_add_f32 v82, v78, v72 :: v_dual_mul_f32 v79, 0x3fb8aa3b, v79
	v_cndmask_b32_e64 v78, 0, v81, s15
	s_delay_alu instid0(VALU_DEP_2) | instskip(NEXT) | instid1(VALU_DEP_3)
	v_add_f32_e32 v81, v82, v77
	v_exp_f32_e32 v82, v79
	s_delay_alu instid0(TRANS32_DEP_2) | instskip(NEXT) | instid1(VALU_DEP_2)
	v_cndmask_b32_e64 v79, 0, v90, s16
	v_add_f32_e32 v81, v81, v78
	s_delay_alu instid0(VALU_DEP_1) | instskip(SKIP_2) | instid1(VALU_DEP_1)
	v_add_f32_e32 v90, v81, v79
	s_waitcnt_depctr 0xfff
	v_cndmask_b32_e64 v81, 0, v82, s17
	v_add_f32_e32 v82, v90, v81
	ds_bpermute_b32 v89, v89, v82
	v_cmpx_gt_u32_e32 16, v67
	s_cbranch_execz .LBB1537_12
; %bb.11:
	v_mul_u32_u24_e32 v67, 0x44, v66
	s_delay_alu instid0(VALU_DEP_1) | instskip(SKIP_1) | instid1(VALU_DEP_1)
	v_lshl_add_u32 v67, v65, 2, v67
	s_waitcnt lgkmcnt(0)
	v_dual_add_f32 v82, v82, v89 :: v_dual_add_nc_u32 v67, 0x4000, v67
	ds_store_2addr_b32 v67, v68, v82 offset1:136
.LBB1537_12:
	s_or_b32 exec_lo, exec_lo, s2
	v_lshlrev_b32_e32 v67, 2, v65
	s_waitcnt lgkmcnt(0)
	s_barrier
	buffer_gl0_inv
	v_cmp_eq_u32_e32 vcc_lo, 1, v66
	v_add_nc_u32_e32 v82, 0x4000, v67
	v_cmp_eq_u32_e64 s2, 2, v66
	v_cmp_eq_u32_e64 s4, 7, v66
	ds_load_2addr_b32 v[89:90], v82 offset1:17
	ds_load_2addr_b32 v[91:92], v82 offset0:34 offset1:51
	ds_load_2addr_b32 v[93:94], v82 offset0:68 offset1:85
	;; [unrolled: 1-line block ×4, first 2 shown]
	s_waitcnt lgkmcnt(4)
	v_max3_f32 v67, v89, 0xff7fffff, v90
	s_waitcnt lgkmcnt(3)
	s_delay_alu instid0(VALU_DEP_1) | instskip(SKIP_1) | instid1(VALU_DEP_1)
	v_max3_f32 v67, v67, v91, v92
	s_waitcnt lgkmcnt(2)
	v_max3_f32 v67, v67, v93, v94
	s_waitcnt lgkmcnt(1)
	s_delay_alu instid0(VALU_DEP_1) | instskip(NEXT) | instid1(VALU_DEP_1)
	v_max3_f32 v67, v67, v95, v96
	v_sub_f32_e32 v93, v93, v67
	s_delay_alu instid0(VALU_DEP_1) | instskip(NEXT) | instid1(VALU_DEP_1)
	v_dual_sub_f32 v68, v89, v67 :: v_dual_mul_f32 v103, 0x3fb8aa3b, v93
	v_mul_f32_e32 v68, 0x3fb8aa3b, v68
	s_delay_alu instid0(VALU_DEP_1)
	v_exp_f32_e32 v100, v68
	v_sub_f32_e32 v68, v92, v67
	v_sub_f32_e32 v99, v90, v67
	ds_load_2addr_b32 v[89:90], v82 offset0:170 offset1:187
	v_dual_mul_f32 v102, 0x3fb8aa3b, v68 :: v_dual_mul_f32 v99, 0x3fb8aa3b, v99
	s_waitcnt lgkmcnt(1)
	v_fma_f32 v68, v100, v97, 0
	s_delay_alu instid0(VALU_DEP_2) | instskip(NEXT) | instid1(VALU_DEP_2)
	v_exp_f32_e32 v102, v102
	v_exp_f32_e32 v99, v99
	s_waitcnt_depctr 0xfff
	v_fmac_f32_e32 v68, v99, v98
	v_sub_f32_e32 v91, v91, v67
	s_delay_alu instid0(VALU_DEP_1)
	v_mul_f32_e32 v101, 0x3fb8aa3b, v91
	ds_load_2addr_b32 v[91:92], v82 offset0:204 offset1:221
	v_sub_f32_e32 v97, v94, v67
	ds_load_2addr_b32 v[93:94], v82 offset0:238 offset1:255
	s_waitcnt lgkmcnt(0)
	v_exp_f32_e32 v101, v101
	s_barrier
	buffer_gl0_inv
	v_dual_fmac_f32 v68, v101, v89 :: v_dual_sub_f32 v89, v96, v67
	v_dual_sub_f32 v82, v95, v67 :: v_dual_mul_f32 v95, 0x3fb8aa3b, v97
	v_exp_f32_e32 v97, v103
	s_delay_alu instid0(VALU_DEP_2) | instskip(NEXT) | instid1(VALU_DEP_2)
	v_dual_fmac_f32 v68, v102, v90 :: v_dual_mul_f32 v89, 0x3fb8aa3b, v89
	v_mul_f32_e32 v82, 0x3fb8aa3b, v82
	s_delay_alu instid0(VALU_DEP_3) | instskip(NEXT) | instid1(VALU_DEP_2)
	v_exp_f32_e32 v95, v95
	v_exp_f32_e32 v89, v89
	s_delay_alu instid0(VALU_DEP_1)
	v_exp_f32_e32 v82, v82
	v_fmac_f32_e32 v68, v97, v91
	s_delay_alu instid0(TRANS32_DEP_3) | instid1(VALU_DEP_1)
	v_fmac_f32_e32 v68, v95, v92
	s_waitcnt_depctr 0xfff
	v_fmac_f32_e32 v68, v82, v93
	s_delay_alu instid0(VALU_DEP_1) | instskip(NEXT) | instid1(VALU_DEP_1)
	v_fmac_f32_e32 v68, v89, v94
	v_add_f32_e32 v90, 0x358637bd, v68
	s_delay_alu instid0(VALU_DEP_1) | instskip(NEXT) | instid1(VALU_DEP_1)
	v_div_scale_f32 v91, null, v90, v90, 1.0
	v_rcp_f32_e32 v92, v91
	s_waitcnt_depctr 0xfff
	v_fma_f32 v93, -v91, v92, 1.0
	s_delay_alu instid0(VALU_DEP_1) | instskip(SKIP_1) | instid1(VALU_DEP_2)
	v_dual_fmac_f32 v92, v93, v92 :: v_dual_cndmask_b32 v93, v100, v99
	v_cmp_eq_u32_e32 vcc_lo, 3, v66
	v_cndmask_b32_e64 v93, v93, v101, s2
	v_cmp_eq_u32_e64 s2, 4, v66
	s_delay_alu instid0(VALU_DEP_2) | instskip(SKIP_1) | instid1(VALU_DEP_2)
	v_cndmask_b32_e32 v93, v93, v102, vcc_lo
	v_cmp_eq_u32_e32 vcc_lo, 5, v66
	v_cndmask_b32_e64 v93, v93, v97, s2
	v_cmp_eq_u32_e64 s2, 6, v66
	s_delay_alu instid0(VALU_DEP_2) | instskip(SKIP_1) | instid1(VALU_DEP_1)
	v_cndmask_b32_e32 v93, v93, v95, vcc_lo
	v_div_scale_f32 v94, s3, 1.0, v90, 1.0
	s_mov_b32 vcc_lo, s3
	s_delay_alu instid0(VALU_DEP_2) | instskip(NEXT) | instid1(VALU_DEP_2)
	v_cndmask_b32_e64 v82, v93, v82, s2
	v_mul_f32_e32 v96, v94, v92
	s_mov_b32 s2, exec_lo
	s_delay_alu instid0(VALU_DEP_2) | instskip(NEXT) | instid1(VALU_DEP_2)
	v_cndmask_b32_e64 v82, v82, v89, s4
	v_fma_f32 v98, -v91, v96, v94
	s_delay_alu instid0(VALU_DEP_1) | instskip(NEXT) | instid1(VALU_DEP_1)
	v_fmac_f32_e32 v96, v98, v92
	v_fma_f32 v91, -v91, v96, v94
	s_delay_alu instid0(VALU_DEP_1) | instskip(NEXT) | instid1(VALU_DEP_1)
	v_div_fmas_f32 v91, v91, v92, v96
	v_div_fixup_f32 v90, v91, v90, 1.0
	s_delay_alu instid0(VALU_DEP_1) | instskip(NEXT) | instid1(VALU_DEP_1)
	v_mul_f32_e32 v82, v82, v90
	v_mul_f32_e32 v87, v82, v87
	;; [unrolled: 1-line block ×7, first 2 shown]
	v_dual_mul_f32 v86, v82, v83 :: v_dual_and_b32 v91, 0x7f800000, v90
	v_mul_f32_e32 v85, v82, v76
                                        ; implicit-def: $vgpr76
	s_delay_alu instid0(VALU_DEP_2)
	v_cmpx_ne_u32_e32 0x7f800000, v91
	s_xor_b32 s2, exec_lo, s2
; %bb.13:
	v_bfe_u32 v76, v90, 16, 1
	s_delay_alu instid0(VALU_DEP_1)
	v_add3_u32 v76, v90, v76, 0x7fff
                                        ; implicit-def: $vgpr90
; %bb.14:
	s_and_not1_saveexec_b32 s2, s2
; %bb.15:
	v_and_b32_e32 v76, 0xffff, v90
	v_or_b32_e32 v83, 0x10000, v90
	s_delay_alu instid0(VALU_DEP_2) | instskip(NEXT) | instid1(VALU_DEP_2)
	v_cmp_eq_u32_e32 vcc_lo, 0, v76
	v_cndmask_b32_e32 v76, v83, v90, vcc_lo
; %bb.16:
	s_or_b32 exec_lo, exec_lo, s2
	v_and_b32_e32 v83, 0x7f800000, v85
	s_delay_alu instid0(VALU_DEP_1) | instskip(SKIP_1) | instid1(SALU_CYCLE_1)
	v_cmp_ne_u32_e32 vcc_lo, 0x7f800000, v83
                                        ; implicit-def: $vgpr83
	s_and_saveexec_b32 s2, vcc_lo
	s_xor_b32 s2, exec_lo, s2
; %bb.17:
	v_bfe_u32 v83, v85, 16, 1
	s_delay_alu instid0(VALU_DEP_1)
	v_add3_u32 v83, v85, v83, 0x7fff
                                        ; implicit-def: $vgpr85
; %bb.18:
	s_and_not1_saveexec_b32 s2, s2
; %bb.19:
	v_and_b32_e32 v83, 0xffff, v85
	v_or_b32_e32 v90, 0x10000, v85
	s_delay_alu instid0(VALU_DEP_2) | instskip(NEXT) | instid1(VALU_DEP_2)
	v_cmp_eq_u32_e32 vcc_lo, 0, v83
	v_cndmask_b32_e32 v83, v90, v85, vcc_lo
; %bb.20:
	s_or_b32 exec_lo, exec_lo, s2
	v_and_b32_e32 v85, 0x7f800000, v86
	s_delay_alu instid0(VALU_DEP_1) | instskip(SKIP_1) | instid1(SALU_CYCLE_1)
	v_cmp_ne_u32_e32 vcc_lo, 0x7f800000, v85
                                        ; implicit-def: $vgpr85
	s_and_saveexec_b32 s2, vcc_lo
	s_xor_b32 s2, exec_lo, s2
; %bb.21:
	v_bfe_u32 v85, v86, 16, 1
	s_delay_alu instid0(VALU_DEP_1)
	v_add3_u32 v85, v86, v85, 0x7fff
                                        ; implicit-def: $vgpr86
; %bb.22:
	s_and_not1_saveexec_b32 s2, s2
; %bb.23:
	v_and_b32_e32 v85, 0xffff, v86
	v_or_b32_e32 v90, 0x10000, v86
	s_delay_alu instid0(VALU_DEP_2) | instskip(NEXT) | instid1(VALU_DEP_2)
	v_cmp_eq_u32_e32 vcc_lo, 0, v85
	v_cndmask_b32_e32 v85, v90, v86, vcc_lo
; %bb.24:
	s_or_b32 exec_lo, exec_lo, s2
	v_and_b32_e32 v86, 0x7f800000, v89
	s_delay_alu instid0(VALU_DEP_1) | instskip(SKIP_1) | instid1(SALU_CYCLE_1)
	v_cmp_ne_u32_e32 vcc_lo, 0x7f800000, v86
                                        ; implicit-def: $vgpr86
	s_and_saveexec_b32 s2, vcc_lo
	s_xor_b32 s2, exec_lo, s2
; %bb.25:
	v_bfe_u32 v86, v89, 16, 1
	s_delay_alu instid0(VALU_DEP_1)
	v_add3_u32 v86, v89, v86, 0x7fff
                                        ; implicit-def: $vgpr89
; %bb.26:
	s_and_not1_saveexec_b32 s2, s2
; %bb.27:
	v_and_b32_e32 v86, 0xffff, v89
	v_or_b32_e32 v90, 0x10000, v89
	s_delay_alu instid0(VALU_DEP_2) | instskip(NEXT) | instid1(VALU_DEP_2)
	v_cmp_eq_u32_e32 vcc_lo, 0, v86
	v_cndmask_b32_e32 v86, v90, v89, vcc_lo
; %bb.28:
	s_or_b32 exec_lo, exec_lo, s2
	v_and_b32_e32 v89, 0x7f800000, v88
	s_delay_alu instid0(VALU_DEP_1) | instskip(SKIP_1) | instid1(SALU_CYCLE_1)
	v_cmp_ne_u32_e32 vcc_lo, 0x7f800000, v89
                                        ; implicit-def: $vgpr89
	s_and_saveexec_b32 s2, vcc_lo
	s_xor_b32 s2, exec_lo, s2
; %bb.29:
	v_bfe_u32 v89, v88, 16, 1
	s_delay_alu instid0(VALU_DEP_1)
	v_add3_u32 v89, v88, v89, 0x7fff
                                        ; implicit-def: $vgpr88
; %bb.30:
	s_and_not1_saveexec_b32 s2, s2
; %bb.31:
	v_and_b32_e32 v89, 0xffff, v88
	v_or_b32_e32 v90, 0x10000, v88
	s_delay_alu instid0(VALU_DEP_2) | instskip(NEXT) | instid1(VALU_DEP_2)
	v_cmp_eq_u32_e32 vcc_lo, 0, v89
	v_cndmask_b32_e32 v89, v90, v88, vcc_lo
; %bb.32:
	s_or_b32 exec_lo, exec_lo, s2
	v_and_b32_e32 v88, 0x7f800000, v87
	s_delay_alu instid0(VALU_DEP_1) | instskip(SKIP_1) | instid1(SALU_CYCLE_1)
	v_cmp_ne_u32_e32 vcc_lo, 0x7f800000, v88
                                        ; implicit-def: $vgpr88
	s_and_saveexec_b32 s2, vcc_lo
	s_xor_b32 s2, exec_lo, s2
; %bb.33:
	v_bfe_u32 v88, v87, 16, 1
	s_delay_alu instid0(VALU_DEP_1)
	v_add3_u32 v88, v87, v88, 0x7fff
                                        ; implicit-def: $vgpr87
; %bb.34:
	s_and_not1_saveexec_b32 s2, s2
; %bb.35:
	v_and_b32_e32 v88, 0xffff, v87
	v_or_b32_e32 v90, 0x10000, v87
	s_delay_alu instid0(VALU_DEP_2) | instskip(NEXT) | instid1(VALU_DEP_2)
	v_cmp_eq_u32_e32 vcc_lo, 0, v88
	v_cndmask_b32_e32 v88, v90, v87, vcc_lo
; %bb.36:
	s_or_b32 exec_lo, exec_lo, s2
	v_and_b32_e32 v87, 0x7f800000, v84
	s_delay_alu instid0(VALU_DEP_1) | instskip(SKIP_1) | instid1(SALU_CYCLE_1)
	v_cmp_ne_u32_e32 vcc_lo, 0x7f800000, v87
                                        ; implicit-def: $vgpr87
	s_and_saveexec_b32 s2, vcc_lo
	s_xor_b32 s2, exec_lo, s2
; %bb.37:
	v_bfe_u32 v87, v84, 16, 1
	s_delay_alu instid0(VALU_DEP_1)
	v_add3_u32 v87, v84, v87, 0x7fff
                                        ; implicit-def: $vgpr84
; %bb.38:
	s_and_not1_saveexec_b32 s2, s2
; %bb.39:
	v_and_b32_e32 v87, 0xffff, v84
	v_or_b32_e32 v90, 0x10000, v84
	s_delay_alu instid0(VALU_DEP_2) | instskip(NEXT) | instid1(VALU_DEP_2)
	v_cmp_eq_u32_e32 vcc_lo, 0, v87
	v_cndmask_b32_e32 v87, v90, v84, vcc_lo
; %bb.40:
	s_or_b32 exec_lo, exec_lo, s2
	v_and_b32_e32 v84, 0x7f800000, v80
	s_delay_alu instid0(VALU_DEP_1) | instskip(SKIP_1) | instid1(SALU_CYCLE_1)
	v_cmp_ne_u32_e32 vcc_lo, 0x7f800000, v84
                                        ; implicit-def: $vgpr84
	s_and_saveexec_b32 s2, vcc_lo
	s_xor_b32 s2, exec_lo, s2
; %bb.41:
	v_bfe_u32 v84, v80, 16, 1
	s_delay_alu instid0(VALU_DEP_1)
	v_add3_u32 v84, v80, v84, 0x7fff
                                        ; implicit-def: $vgpr80
; %bb.42:
	s_and_not1_saveexec_b32 s2, s2
; %bb.43:
	v_and_b32_e32 v84, 0xffff, v80
	v_or_b32_e32 v90, 0x10000, v80
	s_delay_alu instid0(VALU_DEP_2) | instskip(NEXT) | instid1(VALU_DEP_2)
	v_cmp_eq_u32_e32 vcc_lo, 0, v84
	v_cndmask_b32_e32 v84, v90, v80, vcc_lo
; %bb.44:
	s_or_b32 exec_lo, exec_lo, s2
	s_load_b64 s[34:35], s[0:1], 0x94
	v_lshlrev_b32_e32 v91, 4, v74
	s_delay_alu instid0(VALU_DEP_2)
	v_perm_b32 v90, v84, v87, 0x7060302
	v_dual_mul_f32 v79, v82, v79 :: v_dual_lshlrev_b32 v80, 6, v65
	v_dual_mul_f32 v77, v82, v77 :: v_dual_lshlrev_b32 v92, 11, v66
	v_mul_f32_e32 v84, v82, v70
	v_perm_b32 v89, v88, v89, 0x7060302
	v_perm_b32 v88, v86, v85, 0x7060302
	v_perm_b32 v87, v83, v76, 0x7060302
	v_mul_f32_e32 v70, v82, v81
	v_or3_b32 v76, v91, v92, v80
	v_dual_mul_f32 v78, v82, v78 :: v_dual_and_b32 v85, 0x7f800000, v84
	v_mul_f32_e32 v83, v82, v72
	v_mul_f32_e32 v81, v82, v71
	;; [unrolled: 1-line block ×3, first 2 shown]
	s_mov_b32 s2, exec_lo
	ds_store_b128 v76, v[87:90]
                                        ; implicit-def: $vgpr69
	v_cmpx_ne_u32_e32 0x7f800000, v85
	s_xor_b32 s2, exec_lo, s2
; %bb.45:
	v_bfe_u32 v69, v84, 16, 1
	s_delay_alu instid0(VALU_DEP_1)
	v_add3_u32 v69, v84, v69, 0x7fff
                                        ; implicit-def: $vgpr84
; %bb.46:
	s_and_not1_saveexec_b32 s2, s2
; %bb.47:
	v_and_b32_e32 v69, 0xffff, v84
	v_or_b32_e32 v71, 0x10000, v84
	s_delay_alu instid0(VALU_DEP_2) | instskip(NEXT) | instid1(VALU_DEP_2)
	v_cmp_eq_u32_e32 vcc_lo, 0, v69
	v_cndmask_b32_e32 v69, v71, v84, vcc_lo
; %bb.48:
	s_or_b32 exec_lo, exec_lo, s2
	v_and_b32_e32 v71, 0x7f800000, v72
	s_delay_alu instid0(VALU_DEP_1) | instskip(SKIP_1) | instid1(SALU_CYCLE_1)
	v_cmp_ne_u32_e32 vcc_lo, 0x7f800000, v71
                                        ; implicit-def: $vgpr71
	s_and_saveexec_b32 s2, vcc_lo
	s_xor_b32 s2, exec_lo, s2
; %bb.49:
	v_bfe_u32 v71, v72, 16, 1
	s_delay_alu instid0(VALU_DEP_1)
	v_add3_u32 v71, v72, v71, 0x7fff
                                        ; implicit-def: $vgpr72
; %bb.50:
	s_and_not1_saveexec_b32 s2, s2
; %bb.51:
	v_and_b32_e32 v71, 0xffff, v72
	v_or_b32_e32 v82, 0x10000, v72
	s_delay_alu instid0(VALU_DEP_2) | instskip(NEXT) | instid1(VALU_DEP_2)
	v_cmp_eq_u32_e32 vcc_lo, 0, v71
	v_cndmask_b32_e32 v71, v82, v72, vcc_lo
; %bb.52:
	s_or_b32 exec_lo, exec_lo, s2
	v_and_b32_e32 v72, 0x7f800000, v81
	s_delay_alu instid0(VALU_DEP_1) | instskip(SKIP_1) | instid1(SALU_CYCLE_1)
	v_cmp_ne_u32_e32 vcc_lo, 0x7f800000, v72
                                        ; implicit-def: $vgpr72
	s_and_saveexec_b32 s2, vcc_lo
	s_xor_b32 s2, exec_lo, s2
; %bb.53:
	v_bfe_u32 v72, v81, 16, 1
	s_delay_alu instid0(VALU_DEP_1)
	v_add3_u32 v72, v81, v72, 0x7fff
                                        ; implicit-def: $vgpr81
; %bb.54:
	s_and_not1_saveexec_b32 s2, s2
; %bb.55:
	v_and_b32_e32 v72, 0xffff, v81
	v_or_b32_e32 v82, 0x10000, v81
	s_delay_alu instid0(VALU_DEP_2) | instskip(NEXT) | instid1(VALU_DEP_2)
	v_cmp_eq_u32_e32 vcc_lo, 0, v72
	v_cndmask_b32_e32 v72, v82, v81, vcc_lo
; %bb.56:
	s_or_b32 exec_lo, exec_lo, s2
	v_and_b32_e32 v81, 0x7f800000, v83
	s_delay_alu instid0(VALU_DEP_1) | instskip(SKIP_1) | instid1(SALU_CYCLE_1)
	v_cmp_ne_u32_e32 vcc_lo, 0x7f800000, v81
                                        ; implicit-def: $vgpr81
	s_and_saveexec_b32 s2, vcc_lo
	s_xor_b32 s2, exec_lo, s2
; %bb.57:
	v_bfe_u32 v81, v83, 16, 1
	s_delay_alu instid0(VALU_DEP_1)
	v_add3_u32 v81, v83, v81, 0x7fff
                                        ; implicit-def: $vgpr83
; %bb.58:
	s_and_not1_saveexec_b32 s2, s2
; %bb.59:
	v_and_b32_e32 v81, 0xffff, v83
	v_or_b32_e32 v82, 0x10000, v83
	s_delay_alu instid0(VALU_DEP_2) | instskip(NEXT) | instid1(VALU_DEP_2)
	v_cmp_eq_u32_e32 vcc_lo, 0, v81
	v_cndmask_b32_e32 v81, v82, v83, vcc_lo
; %bb.60:
	s_or_b32 exec_lo, exec_lo, s2
	v_and_b32_e32 v82, 0x7f800000, v77
	s_delay_alu instid0(VALU_DEP_1) | instskip(SKIP_1) | instid1(SALU_CYCLE_1)
	v_cmp_ne_u32_e32 vcc_lo, 0x7f800000, v82
                                        ; implicit-def: $vgpr82
	s_and_saveexec_b32 s2, vcc_lo
	s_xor_b32 s2, exec_lo, s2
; %bb.61:
	v_bfe_u32 v82, v77, 16, 1
	s_delay_alu instid0(VALU_DEP_1)
	v_add3_u32 v82, v77, v82, 0x7fff
                                        ; implicit-def: $vgpr77
; %bb.62:
	s_and_not1_saveexec_b32 s2, s2
; %bb.63:
	v_and_b32_e32 v82, 0xffff, v77
	v_or_b32_e32 v83, 0x10000, v77
	s_delay_alu instid0(VALU_DEP_2) | instskip(NEXT) | instid1(VALU_DEP_2)
	v_cmp_eq_u32_e32 vcc_lo, 0, v82
	v_cndmask_b32_e32 v82, v83, v77, vcc_lo
; %bb.64:
	s_or_b32 exec_lo, exec_lo, s2
	v_and_b32_e32 v77, 0x7f800000, v78
	s_delay_alu instid0(VALU_DEP_1) | instskip(SKIP_1) | instid1(SALU_CYCLE_1)
	v_cmp_ne_u32_e32 vcc_lo, 0x7f800000, v77
                                        ; implicit-def: $vgpr77
	s_and_saveexec_b32 s2, vcc_lo
	s_xor_b32 s2, exec_lo, s2
; %bb.65:
	v_bfe_u32 v77, v78, 16, 1
	s_delay_alu instid0(VALU_DEP_1)
	v_add3_u32 v77, v78, v77, 0x7fff
                                        ; implicit-def: $vgpr78
; %bb.66:
	s_and_not1_saveexec_b32 s2, s2
; %bb.67:
	v_and_b32_e32 v77, 0xffff, v78
	v_or_b32_e32 v83, 0x10000, v78
	s_delay_alu instid0(VALU_DEP_2) | instskip(NEXT) | instid1(VALU_DEP_2)
	v_cmp_eq_u32_e32 vcc_lo, 0, v77
	v_cndmask_b32_e32 v77, v83, v78, vcc_lo
; %bb.68:
	s_or_b32 exec_lo, exec_lo, s2
	v_and_b32_e32 v78, 0x7f800000, v79
	s_delay_alu instid0(VALU_DEP_1) | instskip(SKIP_1) | instid1(SALU_CYCLE_1)
	v_cmp_ne_u32_e32 vcc_lo, 0x7f800000, v78
                                        ; implicit-def: $vgpr78
	s_and_saveexec_b32 s2, vcc_lo
	s_xor_b32 s2, exec_lo, s2
; %bb.69:
	v_bfe_u32 v78, v79, 16, 1
	s_delay_alu instid0(VALU_DEP_1)
	v_add3_u32 v78, v79, v78, 0x7fff
                                        ; implicit-def: $vgpr79
; %bb.70:
	s_and_not1_saveexec_b32 s2, s2
; %bb.71:
	v_and_b32_e32 v78, 0xffff, v79
	v_or_b32_e32 v83, 0x10000, v79
	s_delay_alu instid0(VALU_DEP_2) | instskip(NEXT) | instid1(VALU_DEP_2)
	v_cmp_eq_u32_e32 vcc_lo, 0, v78
	v_cndmask_b32_e32 v78, v83, v79, vcc_lo
; %bb.72:
	s_or_b32 exec_lo, exec_lo, s2
	v_and_b32_e32 v79, 0x7f800000, v70
	s_delay_alu instid0(VALU_DEP_1) | instskip(SKIP_1) | instid1(SALU_CYCLE_1)
	v_cmp_ne_u32_e32 vcc_lo, 0x7f800000, v79
                                        ; implicit-def: $vgpr79
	s_and_saveexec_b32 s2, vcc_lo
	s_xor_b32 s2, exec_lo, s2
; %bb.73:
	v_bfe_u32 v79, v70, 16, 1
	s_delay_alu instid0(VALU_DEP_1)
	v_add3_u32 v79, v70, v79, 0x7fff
                                        ; implicit-def: $vgpr70
; %bb.74:
	s_and_not1_saveexec_b32 s2, s2
; %bb.75:
	v_and_b32_e32 v79, 0xffff, v70
	v_or_b32_e32 v83, 0x10000, v70
	s_delay_alu instid0(VALU_DEP_2) | instskip(NEXT) | instid1(VALU_DEP_2)
	v_cmp_eq_u32_e32 vcc_lo, 0, v79
	v_cndmask_b32_e32 v79, v83, v70, vcc_lo
; %bb.76:
	s_or_b32 exec_lo, exec_lo, s2
	s_delay_alu instid0(VALU_DEP_1)
	v_perm_b32 v86, v79, v78, 0x7060302
	v_perm_b32 v85, v77, v82, 0x7060302
	;; [unrolled: 1-line block ×4, first 2 shown]
	v_lshl_or_b32 v82, v66, 11, v80
	ds_store_b128 v76, v[83:86] offset:1024
	s_waitcnt lgkmcnt(0)
	s_barrier
	buffer_gl0_inv
	ds_load_b128 v[69:72], v82
	ds_load_b128 v[83:86], v82 offset:16
	s_waitcnt lgkmcnt(1)
	v_lshrrev_b32_e32 v66, 16, v69
	s_waitcnt lgkmcnt(0)
	v_lshrrev_b32_e32 v91, 16, v83
	v_lshlrev_b32_e32 v78, 2, v74
	v_lshrrev_b32_e32 v95, 16, v70
	v_lshrrev_b32_e32 v98, 16, v84
	;; [unrolled: 1-line block ×4, first 2 shown]
	v_cmp_eq_u32_e32 vcc_lo, 1, v78
	v_lshrrev_b32_e32 v97, 16, v72
	v_lshrrev_b32_e32 v100, 16, v86
	v_cndmask_b32_e32 v87, v83, v91, vcc_lo
	v_or_b32_e32 v79, 1, v78
	v_cndmask_b32_e32 v81, v69, v66, vcc_lo
	v_cmp_eq_u32_e64 s3, 2, v78
	v_cmp_eq_u32_e64 s6, 3, v78
	;; [unrolled: 1-line block ×5, first 2 shown]
	v_cndmask_b32_e64 v81, v81, v70, s3
	v_cndmask_b32_e64 v87, v87, v84, s3
	v_cmp_eq_u32_e64 s7, 3, v79
	v_cndmask_b32_e64 v88, v69, v66, s2
	v_or_b32_e32 v77, 2, v78
	v_cndmask_b32_e64 v81, v81, v95, s6
	v_cndmask_b32_e64 v87, v87, v98, s6
	;; [unrolled: 1-line block ×4, first 2 shown]
	v_cmp_eq_u32_e64 s9, 5, v78
	v_cndmask_b32_e64 v81, v81, v71, s8
	v_cndmask_b32_e64 v87, v87, v85, s8
	v_cmp_eq_u32_e64 s10, 4, v79
	v_cndmask_b32_e64 v88, v88, v95, s7
	v_cmp_eq_u32_e64 s4, 1, v77
	v_cndmask_b32_e64 v89, v89, v84, s5
	v_cndmask_b32_e64 v81, v81, v96, s9
	v_cmp_eq_u32_e64 s11, 6, v78
	v_cndmask_b32_e64 v88, v88, v71, s10
	v_cndmask_b32_e64 v87, v87, v99, s9
	v_cmp_eq_u32_e64 s12, 5, v79
	v_cndmask_b32_e64 v90, v69, v66, s4
	v_cndmask_b32_e64 v89, v89, v98, s7
	v_cndmask_b32_e64 v81, v81, v72, s11
	v_cmp_eq_u32_e64 s13, 7, v78
	v_cndmask_b32_e64 v88, v88, v96, s12
	v_cndmask_b32_e64 v87, v87, v86, s11
	v_cmp_eq_u32_e64 s15, 6, v79
	v_cmp_eq_u32_e64 s16, 2, v77
	v_cndmask_b32_e64 v89, v89, v85, s10
	v_cndmask_b32_e64 v101, v81, v97, s13
	;; [unrolled: 1-line block ×6, first 2 shown]
	v_cmp_eq_u32_e64 s17, 7, v79
	v_cmp_eq_u32_e64 s18, 3, v77
	;; [unrolled: 1-line block ×4, first 2 shown]
	v_cndmask_b32_e64 v87, v87, v84, s16
	v_cndmask_b32_e64 v103, v88, v97, s17
	v_cndmask_b32_e64 v88, v89, v99, s12
	v_cndmask_b32_e64 v89, v81, v95, s18
	v_or_b32_e32 v81, 3, v78
	v_cndmask_b32_e64 v93, v87, v98, s18
	v_cmp_eq_u32_e64 s23, 6, v77
	v_cndmask_b32_e64 v104, v88, v86, s15
	v_cndmask_b32_e64 v92, v89, v71, s19
	v_cmp_eq_u32_e64 s20, 1, v81
	ds_load_b128 v[87:90], v82 offset:1024
	v_cmp_eq_u32_e64 s22, 2, v81
	v_cmp_eq_u32_e64 s24, 3, v81
	v_cndmask_b32_e64 v105, v92, v96, s21
	v_cndmask_b32_e64 v66, v69, v66, s20
	;; [unrolled: 1-line block ×4, first 2 shown]
	ds_load_b128 v[91:94], v82 offset:1040
	v_cmp_eq_u32_e64 s25, 4, v81
	v_cndmask_b32_e64 v66, v66, v70, s22
	v_cmp_eq_u32_e64 s26, 7, v77
	v_cndmask_b32_e64 v70, v83, v84, s22
	v_cndmask_b32_e64 v84, v105, v72, s23
	v_cmp_eq_u32_e64 s27, 5, v81
	v_cndmask_b32_e64 v66, v66, v95, s24
	v_cmp_eq_u32_e64 s28, 6, v81
	v_cndmask_b32_e64 v70, v70, v98, s24
	v_cndmask_b32_e64 v69, v69, v99, s21
	;; [unrolled: 1-line block ×4, first 2 shown]
	s_waitcnt lgkmcnt(1)
	v_lshrrev_b32_e32 v95, 16, v87
	v_cndmask_b32_e64 v70, v70, v85, s25
	v_cndmask_b32_e64 v71, v84, v97, s26
	;; [unrolled: 1-line block ×4, first 2 shown]
	v_cndmask_b32_e32 v84, v87, v95, vcc_lo
	v_cndmask_b32_e64 v70, v70, v99, s27
	s_waitcnt lgkmcnt(0)
	v_lshrrev_b32_e32 v85, 16, v91
	v_lshrrev_b32_e32 v96, 16, v88
	v_cndmask_b32_e64 v98, v87, v95, s2
	v_cndmask_b32_e64 v84, v84, v88, s3
	;; [unrolled: 1-line block ×3, first 2 shown]
	v_cndmask_b32_e32 v99, v91, v85, vcc_lo
	v_cmp_eq_u32_e32 vcc_lo, 7, v81
	v_cndmask_b32_e64 v66, v66, v72, s28
	v_cndmask_b32_e64 v72, v84, v96, s6
	;; [unrolled: 1-line block ×3, first 2 shown]
	v_lshrrev_b32_e32 v98, 16, v92
	v_cndmask_b32_e32 v70, v70, v100, vcc_lo
	v_cndmask_b32_e64 v86, v99, v92, s3
	v_cndmask_b32_e64 v69, v69, v100, s26
	v_lshrrev_b32_e32 v100, 16, v93
	v_cndmask_b32_e64 v72, v72, v89, s8
	v_lshrrev_b32_e32 v99, 16, v89
	v_cndmask_b32_e64 v86, v86, v98, s6
	v_perm_b32 v71, v69, v71, 0x5040100
	v_cndmask_b32_e64 v84, v84, v96, s7
	s_delay_alu instid0(VALU_DEP_3) | instskip(NEXT) | instid1(VALU_DEP_2)
	v_cndmask_b32_e64 v86, v86, v93, s8
	v_cndmask_b32_e64 v84, v84, v89, s10
	s_delay_alu instid0(VALU_DEP_2) | instskip(NEXT) | instid1(VALU_DEP_1)
	v_cndmask_b32_e64 v86, v86, v100, s9
	v_cndmask_b32_e64 v69, v86, v94, s11
	;; [unrolled: 1-line block ×5, first 2 shown]
	s_delay_alu instid0(VALU_DEP_3) | instskip(NEXT) | instid1(VALU_DEP_3)
	v_cndmask_b32_e64 v86, v86, v88, s16
	v_cndmask_b32_e64 v87, v87, v88, s22
	s_delay_alu instid0(VALU_DEP_3) | instskip(NEXT) | instid1(VALU_DEP_3)
	v_cndmask_b32_e64 v88, v95, v92, s22
	v_cndmask_b32_e64 v86, v86, v96, s18
	;; [unrolled: 3-line block ×7, first 2 shown]
	s_delay_alu instid0(VALU_DEP_3) | instskip(SKIP_2) | instid1(VALU_DEP_2)
	v_cndmask_b32_e64 v88, v88, v94, s28
	v_cndmask_b32_e32 v66, v66, v97, vcc_lo
	v_cndmask_b32_e64 v97, v72, v99, s9
	v_perm_b32 v72, v70, v66, 0x5040100
	v_perm_b32 v70, v83, v103, 0x5040100
	v_cndmask_b32_e64 v103, v91, v85, s4
	v_cndmask_b32_e64 v85, v91, v85, s2
	;; [unrolled: 1-line block ×4, first 2 shown]
	v_lshrrev_b32_e32 v97, 16, v90
	v_cndmask_b32_e64 v91, v103, v92, s16
	v_cndmask_b32_e64 v85, v85, v92, s5
	;; [unrolled: 1-line block ×3, first 2 shown]
	s_mov_b32 s2, exec_lo
	v_cndmask_b32_e64 v83, v84, v97, s13
	v_cndmask_b32_e64 v91, v91, v98, s18
	;; [unrolled: 1-line block ×3, first 2 shown]
	v_lshrrev_b32_e32 v84, 16, v94
	v_cndmask_b32_e64 v66, v66, v97, s17
	v_cndmask_b32_e64 v90, v86, v97, s26
	;; [unrolled: 1-line block ×4, first 2 shown]
	v_dual_cndmask_b32 v86, v87, v97 :: v_dual_cndmask_b32 v87, v88, v84
	v_cndmask_b32_e64 v91, v69, v84, s13
	s_delay_alu instid0(VALU_DEP_4) | instskip(NEXT) | instid1(VALU_DEP_4)
	v_cndmask_b32_e64 v89, v89, v100, s21
	v_cndmask_b32_e64 v85, v85, v100, s12
	v_perm_b32 v69, v102, v101, 0x5040100
	v_perm_b32 v86, v87, v86, 0x5040100
	;; [unrolled: 1-line block ×3, first 2 shown]
	v_cndmask_b32_e64 v89, v89, v94, s23
	v_cndmask_b32_e64 v85, v85, v94, s15
	s_mul_i32 s7, s35, 12
	s_delay_alu instid0(VALU_DEP_2) | instskip(NEXT) | instid1(VALU_DEP_2)
	v_cndmask_b32_e64 v88, v89, v84, s26
	v_cndmask_b32_e64 v89, v85, v84, s17
	s_delay_alu instid0(VALU_DEP_2) | instskip(NEXT) | instid1(VALU_DEP_2)
	v_perm_b32 v85, v88, v90, 0x5040100
	v_perm_b32 v84, v89, v66, 0x5040100
	ds_store_b128 v76, v[69:72]
	ds_store_b128 v76, v[83:86] offset:1024
	v_cmpx_gt_u32_e32 12, v0
	s_cbranch_execz .LBB1537_78
; %bb.77:
	s_mul_i32 s3, s7, s30
	s_load_b128 s[8:11], s[0:1], 0x58
	v_add3_u32 v69, s3, s29, v65
	s_delay_alu instid0(VALU_DEP_1) | instskip(NEXT) | instid1(VALU_DEP_1)
	v_mad_u64_u32 v[65:66], null, v69, s34, s[14:15]
	v_ashrrev_i32_e32 v66, 31, v65
	s_delay_alu instid0(VALU_DEP_1) | instskip(SKIP_1) | instid1(VALU_DEP_1)
	v_lshlrev_b64 v[65:66], 2, v[65:66]
	s_waitcnt lgkmcnt(0)
	v_add_co_u32 v69, vcc_lo, s10, v65
	s_delay_alu instid0(VALU_DEP_2)
	v_add_co_ci_u32_e32 v70, vcc_lo, s11, v66, vcc_lo
	v_add_co_u32 v65, vcc_lo, s8, v65
	v_add_co_ci_u32_e32 v66, vcc_lo, s9, v66, vcc_lo
	global_store_b32 v[69:70], v67, off
	global_store_b32 v[65:66], v68, off
.LBB1537_78:
	s_or_b32 exec_lo, exec_lo, s2
	s_waitcnt lgkmcnt(0)
	s_waitcnt_vscnt null, 0x0
	s_barrier
	buffer_gl0_inv
	ds_load_b128 v[83:86], v80
	ds_load_b128 v[87:90], v80 offset:16
	ds_load_b128 v[95:98], v80 offset:2064
	;; [unrolled: 1-line block ×3, first 2 shown]
	v_mov_b32_e32 v65, 0
	ds_load_b128 v[103:106], v80 offset:4112
	ds_load_b128 v[99:102], v80 offset:4096
	ds_load_b128 v[111:114], v80 offset:6160
	ds_load_b128 v[107:110], v80 offset:6144
	v_mov_b32_e32 v66, v65
	v_mov_b32_e32 v67, v65
	;; [unrolled: 1-line block ×7, first 2 shown]
	s_waitcnt lgkmcnt(6)
	s_delay_alu instid0(VALU_DEP_1)
	v_wmma_f32_16x16x16_bf16 v[65:72], v[49:56], v[83:90], v[65:72]
	ds_load_b128 v[53:56], v80 offset:8208
	ds_load_b128 v[49:52], v80 offset:8192
	s_waitcnt lgkmcnt(6)
	v_wmma_f32_16x16x16_bf16 v[65:72], v[41:48], v[91:98], v[65:72]
	ds_load_b128 v[45:48], v80 offset:10256
	ds_load_b128 v[41:44], v80 offset:10240
	s_waitcnt lgkmcnt(6)
	;; [unrolled: 4-line block ×4, first 2 shown]
	v_wmma_f32_16x16x16_bf16 v[65:72], v[1:8], v[49:56], v[65:72]
	s_waitcnt lgkmcnt(4)
	s_delay_alu instid0(VALU_DEP_1) | instskip(SKIP_1) | instid1(VALU_DEP_1)
	v_wmma_f32_16x16x16_bf16 v[65:72], v[9:16], v[41:48], v[65:72]
	s_waitcnt lgkmcnt(2)
	v_wmma_f32_16x16x16_bf16 v[65:72], v[17:24], v[33:40], v[65:72]
	s_waitcnt lgkmcnt(0)
	s_delay_alu instid0(VALU_DEP_1) | instskip(NEXT) | instid1(VALU_DEP_1)
	v_wmma_f32_16x16x16_bf16 v[65:72], v[57:64], v[25:32], v[65:72]
	v_and_b32_e32 v1, 0x7f800000, v65
	s_delay_alu instid0(VALU_DEP_1) | instskip(SKIP_1) | instid1(SALU_CYCLE_1)
	v_cmp_ne_u32_e32 vcc_lo, 0x7f800000, v1
                                        ; implicit-def: $vgpr1
	s_and_saveexec_b32 s2, vcc_lo
	s_xor_b32 s2, exec_lo, s2
; %bb.79:
	v_bfe_u32 v1, v65, 16, 1
	s_delay_alu instid0(VALU_DEP_1)
	v_add3_u32 v1, v65, v1, 0x7fff
; %bb.80:
	s_and_not1_saveexec_b32 s2, s2
; %bb.81:
	v_and_b32_e32 v1, 0xffff, v65
	v_or_b32_e32 v2, 0x10000, v65
	s_delay_alu instid0(VALU_DEP_2) | instskip(NEXT) | instid1(VALU_DEP_2)
	v_cmp_eq_u32_e32 vcc_lo, 0, v1
	v_cndmask_b32_e32 v1, v2, v65, vcc_lo
; %bb.82:
	s_or_b32 exec_lo, exec_lo, s2
	v_and_b32_e32 v2, 0x7f800000, v66
	s_delay_alu instid0(VALU_DEP_1) | instskip(SKIP_1) | instid1(SALU_CYCLE_1)
	v_cmp_ne_u32_e32 vcc_lo, 0x7f800000, v2
                                        ; implicit-def: $vgpr2
	s_and_saveexec_b32 s2, vcc_lo
	s_xor_b32 s2, exec_lo, s2
; %bb.83:
	v_bfe_u32 v2, v66, 16, 1
	s_delay_alu instid0(VALU_DEP_1)
	v_add3_u32 v2, v66, v2, 0x7fff
; %bb.84:
	s_and_not1_saveexec_b32 s2, s2
; %bb.85:
	v_and_b32_e32 v2, 0xffff, v66
	v_or_b32_e32 v3, 0x10000, v66
	s_delay_alu instid0(VALU_DEP_2) | instskip(NEXT) | instid1(VALU_DEP_2)
	v_cmp_eq_u32_e32 vcc_lo, 0, v2
	v_cndmask_b32_e32 v2, v3, v66, vcc_lo
; %bb.86:
	s_or_b32 exec_lo, exec_lo, s2
	v_and_b32_e32 v3, 0x7f800000, v67
	s_delay_alu instid0(VALU_DEP_1) | instskip(SKIP_1) | instid1(SALU_CYCLE_1)
	v_cmp_ne_u32_e32 vcc_lo, 0x7f800000, v3
                                        ; implicit-def: $vgpr3
	s_and_saveexec_b32 s2, vcc_lo
	s_xor_b32 s2, exec_lo, s2
; %bb.87:
	v_bfe_u32 v3, v67, 16, 1
	s_delay_alu instid0(VALU_DEP_1)
	v_add3_u32 v3, v67, v3, 0x7fff
; %bb.88:
	s_and_not1_saveexec_b32 s2, s2
; %bb.89:
	v_and_b32_e32 v3, 0xffff, v67
	v_or_b32_e32 v4, 0x10000, v67
	s_delay_alu instid0(VALU_DEP_2) | instskip(NEXT) | instid1(VALU_DEP_2)
	v_cmp_eq_u32_e32 vcc_lo, 0, v3
	v_cndmask_b32_e32 v3, v4, v67, vcc_lo
; %bb.90:
	s_or_b32 exec_lo, exec_lo, s2
	v_and_b32_e32 v4, 0x7f800000, v68
	s_delay_alu instid0(VALU_DEP_1) | instskip(SKIP_1) | instid1(SALU_CYCLE_1)
	v_cmp_ne_u32_e32 vcc_lo, 0x7f800000, v4
                                        ; implicit-def: $vgpr4
	s_and_saveexec_b32 s2, vcc_lo
	s_xor_b32 s2, exec_lo, s2
; %bb.91:
	v_bfe_u32 v4, v68, 16, 1
	s_delay_alu instid0(VALU_DEP_1)
	v_add3_u32 v4, v68, v4, 0x7fff
; %bb.92:
	s_and_not1_saveexec_b32 s2, s2
; %bb.93:
	v_and_b32_e32 v4, 0xffff, v68
	v_or_b32_e32 v5, 0x10000, v68
	s_delay_alu instid0(VALU_DEP_2) | instskip(NEXT) | instid1(VALU_DEP_2)
	v_cmp_eq_u32_e32 vcc_lo, 0, v4
	v_cndmask_b32_e32 v4, v5, v68, vcc_lo
; %bb.94:
	s_or_b32 exec_lo, exec_lo, s2
	v_and_b32_e32 v5, 0x7f800000, v69
	s_delay_alu instid0(VALU_DEP_1) | instskip(SKIP_1) | instid1(SALU_CYCLE_1)
	v_cmp_ne_u32_e32 vcc_lo, 0x7f800000, v5
                                        ; implicit-def: $vgpr5
	s_and_saveexec_b32 s2, vcc_lo
	s_xor_b32 s2, exec_lo, s2
; %bb.95:
	v_bfe_u32 v5, v69, 16, 1
	s_delay_alu instid0(VALU_DEP_1)
	v_add3_u32 v5, v69, v5, 0x7fff
; %bb.96:
	s_and_not1_saveexec_b32 s2, s2
; %bb.97:
	v_and_b32_e32 v5, 0xffff, v69
	v_or_b32_e32 v6, 0x10000, v69
	s_delay_alu instid0(VALU_DEP_2) | instskip(NEXT) | instid1(VALU_DEP_2)
	v_cmp_eq_u32_e32 vcc_lo, 0, v5
	v_cndmask_b32_e32 v5, v6, v69, vcc_lo
; %bb.98:
	s_or_b32 exec_lo, exec_lo, s2
	v_and_b32_e32 v6, 0x7f800000, v70
	s_delay_alu instid0(VALU_DEP_1) | instskip(SKIP_1) | instid1(SALU_CYCLE_1)
	v_cmp_ne_u32_e32 vcc_lo, 0x7f800000, v6
                                        ; implicit-def: $vgpr6
	s_and_saveexec_b32 s2, vcc_lo
	s_xor_b32 s2, exec_lo, s2
; %bb.99:
	v_bfe_u32 v6, v70, 16, 1
	s_delay_alu instid0(VALU_DEP_1)
	v_add3_u32 v6, v70, v6, 0x7fff
; %bb.100:
	s_and_not1_saveexec_b32 s2, s2
; %bb.101:
	v_and_b32_e32 v6, 0xffff, v70
	v_or_b32_e32 v7, 0x10000, v70
	s_delay_alu instid0(VALU_DEP_2) | instskip(NEXT) | instid1(VALU_DEP_2)
	v_cmp_eq_u32_e32 vcc_lo, 0, v6
	v_cndmask_b32_e32 v6, v7, v70, vcc_lo
; %bb.102:
	s_or_b32 exec_lo, exec_lo, s2
	v_and_b32_e32 v7, 0x7f800000, v71
	s_delay_alu instid0(VALU_DEP_1) | instskip(SKIP_1) | instid1(SALU_CYCLE_1)
	v_cmp_ne_u32_e32 vcc_lo, 0x7f800000, v7
                                        ; implicit-def: $vgpr7
	s_and_saveexec_b32 s2, vcc_lo
	s_xor_b32 s2, exec_lo, s2
; %bb.103:
	v_bfe_u32 v7, v71, 16, 1
	s_delay_alu instid0(VALU_DEP_1)
	v_add3_u32 v7, v71, v7, 0x7fff
; %bb.104:
	s_and_not1_saveexec_b32 s2, s2
; %bb.105:
	v_and_b32_e32 v7, 0xffff, v71
	v_or_b32_e32 v8, 0x10000, v71
	s_delay_alu instid0(VALU_DEP_2) | instskip(NEXT) | instid1(VALU_DEP_2)
	v_cmp_eq_u32_e32 vcc_lo, 0, v7
	v_cndmask_b32_e32 v7, v8, v71, vcc_lo
; %bb.106:
	s_or_b32 exec_lo, exec_lo, s2
	v_and_b32_e32 v8, 0x7f800000, v72
	s_delay_alu instid0(VALU_DEP_1) | instskip(SKIP_1) | instid1(SALU_CYCLE_1)
	v_cmp_ne_u32_e32 vcc_lo, 0x7f800000, v8
                                        ; implicit-def: $vgpr8
	s_and_saveexec_b32 s2, vcc_lo
	s_xor_b32 s2, exec_lo, s2
; %bb.107:
	v_bfe_u32 v8, v72, 16, 1
	s_delay_alu instid0(VALU_DEP_1)
	v_add3_u32 v8, v72, v8, 0x7fff
                                        ; implicit-def: $vgpr65_vgpr66_vgpr67_vgpr68_vgpr69_vgpr70_vgpr71_vgpr72
; %bb.108:
	s_and_not1_saveexec_b32 s2, s2
; %bb.109:
	v_and_b32_e32 v8, 0xffff, v72
	v_or_b32_e32 v9, 0x10000, v72
	s_delay_alu instid0(VALU_DEP_2) | instskip(NEXT) | instid1(VALU_DEP_2)
	v_cmp_eq_u32_e32 vcc_lo, 0, v8
	v_cndmask_b32_e32 v8, v9, v72, vcc_lo
; %bb.110:
	s_or_b32 exec_lo, exec_lo, s2
	s_delay_alu instid0(VALU_DEP_1)
	v_perm_b32 v7, v8, v7, 0x7060302
	v_perm_b32 v6, v6, v5, 0x7060302
	;; [unrolled: 1-line block ×4, first 2 shown]
	s_barrier
	buffer_gl0_inv
	v_cmp_eq_u32_e32 vcc_lo, 1, v78
	ds_store_b128 v76, v[4:7]
	s_waitcnt lgkmcnt(0)
	s_barrier
	buffer_gl0_inv
	ds_load_b128 v[1:4], v82
	ds_load_b128 v[5:8], v82 offset:16
	v_cmp_eq_u32_e64 s2, 1, v79
	v_cmp_eq_u32_e64 s3, 2, v78
	;; [unrolled: 1-line block ×5, first 2 shown]
	s_waitcnt lgkmcnt(1)
	v_lshrrev_b32_e32 v9, 16, v1
	s_waitcnt lgkmcnt(0)
	v_lshrrev_b32_e32 v13, 16, v5
	v_lshrrev_b32_e32 v10, 16, v2
	;; [unrolled: 1-line block ×4, first 2 shown]
	v_cndmask_b32_e64 v19, v1, v9, s2
	v_cndmask_b32_e32 v18, v5, v13, vcc_lo
	v_cndmask_b32_e64 v20, v5, v13, s2
	v_cndmask_b32_e32 v17, v1, v9, vcc_lo
	v_cmp_eq_u32_e32 vcc_lo, 2, v79
	v_lshrrev_b32_e32 v15, 16, v7
	v_cmp_eq_u32_e64 s2, 1, v77
	v_lshrrev_b32_e32 v12, 16, v4
	v_lshrrev_b32_e32 v16, 16, v8
	v_cndmask_b32_e32 v20, v20, v6, vcc_lo
	v_cndmask_b32_e64 v17, v17, v2, s3
	v_cndmask_b32_e32 v19, v19, v2, vcc_lo
	v_cndmask_b32_e64 v18, v18, v6, s3
	v_cmp_eq_u32_e32 vcc_lo, 4, v78
	v_cmp_eq_u32_e64 s3, 3, v79
	v_cndmask_b32_e64 v17, v17, v10, s4
	v_cndmask_b32_e64 v21, v1, v9, s2
	;; [unrolled: 1-line block ×5, first 2 shown]
	v_cndmask_b32_e32 v17, v17, v3, vcc_lo
	v_cndmask_b32_e64 v20, v20, v14, s3
	v_cndmask_b32_e32 v18, v18, v7, vcc_lo
	v_cmp_eq_u32_e32 vcc_lo, 4, v79
	v_cmp_eq_u32_e64 s3, 5, v79
	v_cmp_eq_u32_e64 s2, 2, v81
	v_cndmask_b32_e64 v21, v21, v2, s6
	v_cmp_eq_u32_e64 s4, 5, v78
	v_cndmask_b32_e32 v19, v19, v3, vcc_lo
	v_cndmask_b32_e32 v20, v20, v7, vcc_lo
	v_cmp_eq_u32_e32 vcc_lo, 6, v79
	s_delay_alu instid0(VALU_DEP_4) | instskip(NEXT) | instid1(VALU_DEP_4)
	v_cndmask_b32_e64 v17, v17, v11, s4
	v_cndmask_b32_e64 v19, v19, v11, s3
	s_delay_alu instid0(VALU_DEP_4) | instskip(SKIP_1) | instid1(VALU_DEP_3)
	v_cndmask_b32_e64 v20, v20, v15, s3
	v_cmp_eq_u32_e64 s3, 1, v81
	v_cndmask_b32_e32 v19, v19, v4, vcc_lo
	v_cndmask_b32_e64 v18, v18, v15, s4
	s_delay_alu instid0(VALU_DEP_3)
	v_cndmask_b32_e64 v1, v1, v9, s3
	v_cndmask_b32_e64 v5, v5, v13, s3
	v_cmp_eq_u32_e64 s3, 3, v77
	v_cndmask_b32_e64 v13, v22, v6, s6
	v_cmp_eq_u32_e64 s6, 3, v81
	v_cndmask_b32_e64 v1, v1, v2, s2
	v_cndmask_b32_e64 v2, v5, v6, s2
	;; [unrolled: 1-line block ×3, first 2 shown]
	v_cmp_eq_u32_e64 s2, 4, v77
	v_cndmask_b32_e64 v6, v13, v14, s3
	v_cndmask_b32_e64 v1, v1, v10, s6
	v_cmp_eq_u32_e64 s3, 4, v81
	v_cndmask_b32_e64 v2, v2, v14, s6
	v_cndmask_b32_e64 v5, v9, v3, s2
	;; [unrolled: 3-line block ×3, first 2 shown]
	v_cndmask_b32_e64 v2, v2, v7, s3
	v_cmp_eq_u32_e64 s2, 5, v81
	v_cmp_eq_u32_e64 s4, 6, v78
	v_cndmask_b32_e64 v5, v5, v11, s6
	v_cmp_eq_u32_e64 s3, 6, v77
	v_cndmask_b32_e64 v3, v6, v15, s6
	v_cndmask_b32_e64 v1, v1, v11, s2
	v_cmp_eq_u32_e64 s6, 6, v81
	v_cndmask_b32_e64 v2, v2, v15, s2
	v_cndmask_b32_e64 v17, v17, v4, s4
	v_cndmask_b32_e64 v18, v18, v8, s4
	v_cmp_eq_u32_e64 s4, 7, v78
	v_cndmask_b32_e64 v5, v5, v4, s3
	v_cndmask_b32_e64 v3, v3, v8, s3
	v_cndmask_b32_e64 v1, v1, v4, s6
	v_cmp_eq_u32_e64 s2, 7, v81
	v_cndmask_b32_e64 v2, v2, v8, s6
	v_cmp_eq_u32_e64 s3, 7, v77
	v_cndmask_b32_e32 v4, v20, v8, vcc_lo
	v_cndmask_b32_e64 v17, v17, v12, s4
	v_cndmask_b32_e64 v19, v19, v12, s5
	;; [unrolled: 1-line block ×8, first 2 shown]
	s_mov_b32 s2, exec_lo
	v_perm_b32 v4, v2, v1, 0x5040100
	v_perm_b32 v3, v3, v5, 0x5040100
	;; [unrolled: 1-line block ×4, first 2 shown]
	ds_store_b128 v76, v[1:4]
	s_waitcnt lgkmcnt(0)
	s_barrier
	buffer_gl0_inv
	v_cmpx_gt_u32_e32 32, v0
	s_cbranch_execz .LBB1537_2
; %bb.111:
	s_load_b64 s[0:1], s[0:1], 0x68
	v_lshlrev_b32_e32 v0, 10, v0
	s_lshl_b32 s4, s34, 7
	v_or_b32_e32 v3, s29, v74
	s_mul_i32 s2, s4, s30
	v_lshlrev_b32_e32 v1, 4, v75
	s_mul_i32 s2, s2, s7
	v_lshlrev_b32_e32 v2, 6, v74
	v_and_b32_e32 v0, 0x3800, v0
	s_ashr_i32 s3, s2, 31
	v_mul_lo_u32 v4, v3, s4
	s_lshl_b64 s[2:3], s[2:3], 1
	s_delay_alu instid0(VALU_DEP_2) | instskip(NEXT) | instid1(VALU_DEP_2)
	v_or3_b32 v16, v0, v1, v2
	v_ashrrev_i32_e32 v5, 31, v4
	ds_load_b128 v[0:3], v16
	s_waitcnt lgkmcnt(0)
	s_add_u32 s2, s0, s2
	s_addc_u32 s3, s1, s3
	s_lshl_b32 s0, s14, 7
	v_lshlrev_b64 v[5:6], 1, v[4:5]
	s_ashr_i32 s1, s0, 31
	s_delay_alu instid0(SALU_CYCLE_1) | instskip(NEXT) | instid1(SALU_CYCLE_1)
	s_lshl_b64 s[0:1], s[0:1], 1
	s_add_u32 s0, s2, s0
	s_addc_u32 s1, s3, s1
	s_lshl_b32 s2, s34, 8
	v_add_co_u32 v30, s0, s0, v73
	v_add_nc_u32_e32 v8, s2, v4
	v_add_co_ci_u32_e64 v31, null, s1, 0, s0
	s_delay_alu instid0(VALU_DEP_3) | instskip(NEXT) | instid1(VALU_DEP_3)
	v_add_co_u32 v12, vcc_lo, v30, v5
	v_add_nc_u32_e32 v10, s2, v8
	v_ashrrev_i32_e32 v9, 31, v8
	s_delay_alu instid0(VALU_DEP_4)
	v_add_co_ci_u32_e32 v13, vcc_lo, v31, v6, vcc_lo
	ds_load_b128 v[4:7], v16 offset:128
	v_ashrrev_i32_e32 v11, 31, v10
	v_lshlrev_b64 v[8:9], 1, v[8:9]
	v_add_nc_u32_e32 v14, s2, v10
	global_store_b128 v[12:13], v[0:3], off
	v_lshlrev_b64 v[0:1], 1, v[10:11]
	v_ashrrev_i32_e32 v15, 31, v14
	v_add_co_u32 v22, vcc_lo, v30, v8
	v_add_nc_u32_e32 v20, s2, v14
	v_add_co_ci_u32_e32 v23, vcc_lo, v31, v9, vcc_lo
	v_add_co_u32 v26, vcc_lo, v30, v0
	v_lshlrev_b64 v[24:25], 1, v[14:15]
	v_add_co_ci_u32_e32 v27, vcc_lo, v31, v1, vcc_lo
	ds_load_b128 v[0:3], v16 offset:256
	ds_load_b128 v[8:11], v16 offset:384
	;; [unrolled: 1-line block ×4, first 2 shown]
	v_add_nc_u32_e32 v28, s2, v20
	v_ashrrev_i32_e32 v21, 31, v20
	v_add_co_u32 v24, vcc_lo, v30, v24
	v_add_co_ci_u32_e32 v25, vcc_lo, v31, v25, vcc_lo
	s_delay_alu instid0(VALU_DEP_4) | instskip(NEXT) | instid1(VALU_DEP_4)
	v_ashrrev_i32_e32 v29, 31, v28
	v_lshlrev_b64 v[20:21], 1, v[20:21]
	s_delay_alu instid0(VALU_DEP_2) | instskip(NEXT) | instid1(VALU_DEP_2)
	v_lshlrev_b64 v[28:29], 1, v[28:29]
	v_add_co_u32 v20, vcc_lo, v30, v20
	s_delay_alu instid0(VALU_DEP_3) | instskip(NEXT) | instid1(VALU_DEP_3)
	v_add_co_ci_u32_e32 v21, vcc_lo, v31, v21, vcc_lo
	v_add_co_u32 v28, vcc_lo, v30, v28
	s_delay_alu instid0(VALU_DEP_4)
	v_add_co_ci_u32_e32 v29, vcc_lo, v31, v29, vcc_lo
	s_waitcnt lgkmcnt(4)
	global_store_b128 v[22:23], v[4:7], off
	s_waitcnt lgkmcnt(3)
	global_store_b128 v[26:27], v[0:3], off
	;; [unrolled: 2-line block ×5, first 2 shown]
	s_nop 0
	s_sendmsg sendmsg(MSG_DEALLOC_VGPRS)
	s_endpgm
	.section	.rodata,"a",@progbits
	.p2align	6, 0x0
	.amdhsa_kernel _Z39paged_attention_ll4mi_QKV_mfma16_kernelI14__hip_bfloat16hLN4vllm18Fp8KVCacheDataTypeE1EhLi16ELi128ELi256ELb0ELi12EL8MFMAType1EEvPKT_PKT0_S9_ifPKiSB_SB_iPKfiiiPfSE_PS4_PT2_iSD_SD_
		.amdhsa_group_segment_fixed_size 17472
		.amdhsa_private_segment_fixed_size 0
		.amdhsa_kernarg_size 400
		.amdhsa_user_sgpr_count 13
		.amdhsa_user_sgpr_dispatch_ptr 0
		.amdhsa_user_sgpr_queue_ptr 0
		.amdhsa_user_sgpr_kernarg_segment_ptr 1
		.amdhsa_user_sgpr_dispatch_id 0
		.amdhsa_user_sgpr_private_segment_size 0
		.amdhsa_wavefront_size32 1
		.amdhsa_uses_dynamic_stack 0
		.amdhsa_enable_private_segment 0
		.amdhsa_system_sgpr_workgroup_id_x 1
		.amdhsa_system_sgpr_workgroup_id_y 1
		.amdhsa_system_sgpr_workgroup_id_z 1
		.amdhsa_system_sgpr_workgroup_info 0
		.amdhsa_system_vgpr_workitem_id 0
		.amdhsa_next_free_vgpr 140
		.amdhsa_next_free_sgpr 36
		.amdhsa_reserve_vcc 1
		.amdhsa_float_round_mode_32 0
		.amdhsa_float_round_mode_16_64 0
		.amdhsa_float_denorm_mode_32 3
		.amdhsa_float_denorm_mode_16_64 3
		.amdhsa_dx10_clamp 1
		.amdhsa_ieee_mode 1
		.amdhsa_fp16_overflow 0
		.amdhsa_workgroup_processor_mode 1
		.amdhsa_memory_ordered 1
		.amdhsa_forward_progress 0
		.amdhsa_shared_vgpr_count 0
		.amdhsa_exception_fp_ieee_invalid_op 0
		.amdhsa_exception_fp_denorm_src 0
		.amdhsa_exception_fp_ieee_div_zero 0
		.amdhsa_exception_fp_ieee_overflow 0
		.amdhsa_exception_fp_ieee_underflow 0
		.amdhsa_exception_fp_ieee_inexact 0
		.amdhsa_exception_int_div_zero 0
	.end_amdhsa_kernel
	.section	.text._Z39paged_attention_ll4mi_QKV_mfma16_kernelI14__hip_bfloat16hLN4vllm18Fp8KVCacheDataTypeE1EhLi16ELi128ELi256ELb0ELi12EL8MFMAType1EEvPKT_PKT0_S9_ifPKiSB_SB_iPKfiiiPfSE_PS4_PT2_iSD_SD_,"axG",@progbits,_Z39paged_attention_ll4mi_QKV_mfma16_kernelI14__hip_bfloat16hLN4vllm18Fp8KVCacheDataTypeE1EhLi16ELi128ELi256ELb0ELi12EL8MFMAType1EEvPKT_PKT0_S9_ifPKiSB_SB_iPKfiiiPfSE_PS4_PT2_iSD_SD_,comdat
.Lfunc_end1537:
	.size	_Z39paged_attention_ll4mi_QKV_mfma16_kernelI14__hip_bfloat16hLN4vllm18Fp8KVCacheDataTypeE1EhLi16ELi128ELi256ELb0ELi12EL8MFMAType1EEvPKT_PKT0_S9_ifPKiSB_SB_iPKfiiiPfSE_PS4_PT2_iSD_SD_, .Lfunc_end1537-_Z39paged_attention_ll4mi_QKV_mfma16_kernelI14__hip_bfloat16hLN4vllm18Fp8KVCacheDataTypeE1EhLi16ELi128ELi256ELb0ELi12EL8MFMAType1EEvPKT_PKT0_S9_ifPKiSB_SB_iPKfiiiPfSE_PS4_PT2_iSD_SD_
                                        ; -- End function
	.section	.AMDGPU.csdata,"",@progbits
; Kernel info:
; codeLenInByte = 8956
; NumSgprs: 38
; NumVgprs: 140
; ScratchSize: 0
; MemoryBound: 0
; FloatMode: 240
; IeeeMode: 1
; LDSByteSize: 17472 bytes/workgroup (compile time only)
; SGPRBlocks: 4
; VGPRBlocks: 17
; NumSGPRsForWavesPerEU: 38
; NumVGPRsForWavesPerEU: 140
; Occupancy: 10
; WaveLimiterHint : 1
; COMPUTE_PGM_RSRC2:SCRATCH_EN: 0
; COMPUTE_PGM_RSRC2:USER_SGPR: 13
; COMPUTE_PGM_RSRC2:TRAP_HANDLER: 0
; COMPUTE_PGM_RSRC2:TGID_X_EN: 1
; COMPUTE_PGM_RSRC2:TGID_Y_EN: 1
; COMPUTE_PGM_RSRC2:TGID_Z_EN: 1
; COMPUTE_PGM_RSRC2:TIDIG_COMP_CNT: 0
	.section	.text._Z39paged_attention_ll4mi_QKV_mfma16_kernelI14__hip_bfloat16hLN4vllm18Fp8KVCacheDataTypeE1EhLi16ELi128ELi256ELb0ELi13EL8MFMAType1EEvPKT_PKT0_S9_ifPKiSB_SB_iPKfiiiPfSE_PS4_PT2_iSD_SD_,"axG",@progbits,_Z39paged_attention_ll4mi_QKV_mfma16_kernelI14__hip_bfloat16hLN4vllm18Fp8KVCacheDataTypeE1EhLi16ELi128ELi256ELb0ELi13EL8MFMAType1EEvPKT_PKT0_S9_ifPKiSB_SB_iPKfiiiPfSE_PS4_PT2_iSD_SD_,comdat
	.protected	_Z39paged_attention_ll4mi_QKV_mfma16_kernelI14__hip_bfloat16hLN4vllm18Fp8KVCacheDataTypeE1EhLi16ELi128ELi256ELb0ELi13EL8MFMAType1EEvPKT_PKT0_S9_ifPKiSB_SB_iPKfiiiPfSE_PS4_PT2_iSD_SD_ ; -- Begin function _Z39paged_attention_ll4mi_QKV_mfma16_kernelI14__hip_bfloat16hLN4vllm18Fp8KVCacheDataTypeE1EhLi16ELi128ELi256ELb0ELi13EL8MFMAType1EEvPKT_PKT0_S9_ifPKiSB_SB_iPKfiiiPfSE_PS4_PT2_iSD_SD_
	.globl	_Z39paged_attention_ll4mi_QKV_mfma16_kernelI14__hip_bfloat16hLN4vllm18Fp8KVCacheDataTypeE1EhLi16ELi128ELi256ELb0ELi13EL8MFMAType1EEvPKT_PKT0_S9_ifPKiSB_SB_iPKfiiiPfSE_PS4_PT2_iSD_SD_
	.p2align	8
	.type	_Z39paged_attention_ll4mi_QKV_mfma16_kernelI14__hip_bfloat16hLN4vllm18Fp8KVCacheDataTypeE1EhLi16ELi128ELi256ELb0ELi13EL8MFMAType1EEvPKT_PKT0_S9_ifPKiSB_SB_iPKfiiiPfSE_PS4_PT2_iSD_SD_,@function
_Z39paged_attention_ll4mi_QKV_mfma16_kernelI14__hip_bfloat16hLN4vllm18Fp8KVCacheDataTypeE1EhLi16ELi128ELi256ELb0ELi13EL8MFMAType1EEvPKT_PKT0_S9_ifPKiSB_SB_iPKfiiiPfSE_PS4_PT2_iSD_SD_: ; @_Z39paged_attention_ll4mi_QKV_mfma16_kernelI14__hip_bfloat16hLN4vllm18Fp8KVCacheDataTypeE1EhLi16ELi128ELi256ELb0ELi13EL8MFMAType1EEvPKT_PKT0_S9_ifPKiSB_SB_iPKfiiiPfSE_PS4_PT2_iSD_SD_
; %bb.0:
	s_load_b64 s[4:5], s[0:1], 0x30
	s_mov_b32 s30, s13
	s_waitcnt lgkmcnt(0)
	s_cmp_lg_u64 s[4:5], 0
	s_cselect_b32 s13, -1, 0
	s_ashr_i32 s31, s30, 31
	s_cmp_eq_u64 s[4:5], 0
	s_cbranch_scc1 .LBB1538_3
; %bb.1:
	s_lshl_b64 s[2:3], s[30:31], 2
	s_delay_alu instid0(SALU_CYCLE_1) | instskip(SKIP_4) | instid1(SALU_CYCLE_1)
	s_add_u32 s2, s4, s2
	s_addc_u32 s3, s5, s3
	s_load_b64 s[2:3], s[2:3], 0x0
	s_waitcnt lgkmcnt(0)
	s_sub_i32 s2, s3, s2
	s_cmp_eq_u32 s2, 1
	s_cselect_b32 s2, -1, 0
	s_delay_alu instid0(SALU_CYCLE_1)
	s_and_not1_b32 vcc_lo, exec_lo, s2
	s_cbranch_vccz .LBB1538_4
.LBB1538_2:
	s_nop 0
	s_sendmsg sendmsg(MSG_DEALLOC_VGPRS)
	s_endpgm
.LBB1538_3:
.LBB1538_4:
	s_load_b64 s[2:3], s[0:1], 0x28
	s_lshl_b64 s[6:7], s[30:31], 2
	s_waitcnt lgkmcnt(0)
	s_add_u32 s2, s2, s6
	s_addc_u32 s3, s3, s7
	s_lshl_b32 s12, s14, 8
	s_load_b32 s17, s[2:3], 0x0
	s_waitcnt lgkmcnt(0)
	s_cmp_ge_i32 s12, s17
	s_cbranch_scc1 .LBB1538_2
; %bb.5:
	s_clause 0x1
	s_load_b128 s[8:11], s[0:1], 0x8
	s_load_b64 s[2:3], s[0:1], 0x20
	s_and_not1_b32 vcc_lo, exec_lo, s13
	s_cbranch_vccnz .LBB1538_7
; %bb.6:
	s_add_u32 s4, s4, s6
	s_addc_u32 s5, s5, s7
	s_load_b32 s13, s[4:5], 0x0
	s_branch .LBB1538_8
.LBB1538_7:
	s_mov_b32 s13, s30
.LBB1538_8:
	s_load_b128 s[4:7], s[0:1], 0x48
	v_and_b32_e32 v65, 15, v0
	v_lshrrev_b32_e32 v66, 5, v0
	v_bfe_u32 v74, v0, 4, 1
	v_and_b32_e32 v67, 31, v0
	v_and_b32_e32 v75, 1, v0
	v_lshlrev_b32_e32 v2, 3, v65
	s_mul_i32 s31, s15, 13
	v_lshl_or_b32 v1, v66, 1, v74
	s_waitcnt lgkmcnt(0)
	s_mov_b32 s7, exec_lo
	v_lshlrev_b32_e32 v73, 1, v2
	s_delay_alu instid0(VALU_DEP_2)
	v_cmpx_gt_u32_e32 13, v1
	s_cbranch_execz .LBB1538_10
; %bb.9:
	s_load_b64 s[18:19], s[0:1], 0x0
	v_add_lshl_u32 v2, v1, s31, 7
	s_mul_hi_i32 s21, s13, s4
	s_mul_i32 s20, s13, s4
	v_lshlrev_b32_e32 v6, 10, v65
	s_lshl_b64 s[20:21], s[20:21], 1
	v_ashrrev_i32_e32 v3, 31, v2
	v_lshlrev_b32_e32 v1, 6, v1
	v_lshlrev_b32_e32 v7, 10, v75
	v_and_b32_e32 v6, 0x3800, v6
	s_delay_alu instid0(VALU_DEP_4) | instskip(NEXT) | instid1(VALU_DEP_2)
	v_lshlrev_b64 v[2:3], 1, v[2:3]
	v_or3_b32 v1, v6, v7, v1
	s_waitcnt lgkmcnt(0)
	s_add_u32 s4, s18, s20
	s_addc_u32 s13, s19, s21
	s_delay_alu instid0(VALU_DEP_2) | instskip(SKIP_1) | instid1(VALU_DEP_2)
	v_add_co_u32 v2, vcc_lo, s4, v2
	v_add_co_ci_u32_e32 v3, vcc_lo, s13, v3, vcc_lo
	v_add_co_u32 v2, vcc_lo, v2, v73
	s_delay_alu instid0(VALU_DEP_2)
	v_add_co_ci_u32_e32 v3, vcc_lo, 0, v3, vcc_lo
	global_load_b128 v[2:5], v[2:3], off
	s_waitcnt vmcnt(0)
	ds_store_b128 v1, v[2:5]
.LBB1538_10:
	s_or_b32 exec_lo, exec_lo, s7
	v_and_b32_e32 v1, 0xef, v0
	s_add_i32 s4, s17, 15
	s_clause 0x1
	s_load_b32 s7, s[0:1], 0x38
	s_load_b32 s18, s[0:1], 0x1c
	s_ashr_i32 s13, s4, 31
	v_add_nc_u32_e32 v1, s12, v1
	s_lshr_b32 s13, s13, 28
	s_waitcnt lgkmcnt(0)
	s_add_i32 s4, s4, s13
	s_barrier
	v_ashrrev_i32_e32 v2, 31, v1
	v_or_b32_e32 v3, 16, v1
	s_ashr_i32 s4, s4, 4
	v_cmp_gt_i32_e32 vcc_lo, s17, v1
	s_add_i32 s4, s4, -1
	v_lshrrev_b32_e32 v2, 28, v2
	buffer_gl0_inv
	s_mul_i32 s15, s15, s6
	v_add_nc_u32_e32 v4, v1, v2
	s_mul_i32 s20, s30, s7
	s_delay_alu instid0(SALU_CYCLE_1) | instskip(NEXT) | instid1(VALU_DEP_1)
	s_ashr_i32 s21, s20, 31
	v_ashrrev_i32_e32 v4, 4, v4
	v_add_nc_u32_e32 v2, v3, v2
	s_lshl_b64 s[20:21], s[20:21], 2
	s_delay_alu instid0(SALU_CYCLE_1) | instskip(NEXT) | instid1(VALU_DEP_2)
	s_add_u32 s13, s2, s20
	v_cndmask_b32_e32 v1, s4, v4, vcc_lo
	s_delay_alu instid0(VALU_DEP_2)
	v_ashrrev_i32_e32 v2, 4, v2
	v_cmp_gt_i32_e32 vcc_lo, s17, v3
	s_addc_u32 s16, s3, s21
	s_ashr_i32 s19, s15, 31
	s_add_u32 s26, s8, s15
	s_addc_u32 s27, s9, s19
	v_cndmask_b32_e32 v3, s4, v2, vcc_lo
	v_ashrrev_i32_e32 v2, 31, v1
	s_lshl_b32 s2, s14, 4
	s_delay_alu instid0(SALU_CYCLE_1) | instskip(NEXT) | instid1(VALU_DEP_2)
	s_ashr_i32 s3, s2, 31
	v_ashrrev_i32_e32 v4, 31, v3
	s_delay_alu instid0(VALU_DEP_2) | instskip(SKIP_1) | instid1(SALU_CYCLE_1)
	v_lshlrev_b64 v[1:2], 2, v[1:2]
	s_lshl_b64 s[2:3], s[2:3], 2
	s_add_u32 s2, s13, s2
	s_delay_alu instid0(VALU_DEP_2) | instskip(SKIP_1) | instid1(VALU_DEP_2)
	v_lshlrev_b64 v[3:4], 2, v[3:4]
	s_addc_u32 s3, s16, s3
	v_add_co_u32 v1, vcc_lo, s13, v1
	v_add_co_ci_u32_e32 v2, vcc_lo, s16, v2, vcc_lo
	s_delay_alu instid0(VALU_DEP_3) | instskip(NEXT) | instid1(VALU_DEP_4)
	v_add_co_u32 v3, vcc_lo, s13, v3
	v_add_co_ci_u32_e32 v4, vcc_lo, s16, v4, vcc_lo
	s_clause 0x1
	global_load_b32 v5, v[1:2], off
	global_load_b32 v3, v[3:4], off
	s_or_b32 s6, s12, 32
	v_cmp_gt_u32_e32 vcc_lo, 13, v65
	s_ashr_i32 s7, s6, 4
	s_cmp_lt_i32 s6, s17
	s_cselect_b32 s6, s7, s4
	s_delay_alu instid0(SALU_CYCLE_1) | instskip(NEXT) | instid1(SALU_CYCLE_1)
	s_ashr_i32 s7, s6, 31
	s_lshl_b64 s[6:7], s[6:7], 2
	s_delay_alu instid0(SALU_CYCLE_1) | instskip(SKIP_2) | instid1(SALU_CYCLE_1)
	s_add_u32 s6, s13, s6
	s_addc_u32 s7, s16, s7
	s_or_b32 s8, s12, 64
	s_ashr_i32 s9, s8, 4
	s_cmp_lt_i32 s8, s17
	s_cselect_b32 s8, s9, s4
	s_delay_alu instid0(SALU_CYCLE_1) | instskip(NEXT) | instid1(SALU_CYCLE_1)
	s_ashr_i32 s9, s8, 31
	s_lshl_b64 s[8:9], s[8:9], 2
	s_delay_alu instid0(SALU_CYCLE_1) | instskip(SKIP_2) | instid1(SALU_CYCLE_1)
	s_add_u32 s8, s13, s8
	s_addc_u32 s9, s16, s9
	s_or_b32 s20, s12, 0x60
	;; [unrolled: 10-line block ×4, first 2 shown]
	s_ashr_i32 s25, s24, 4
	s_cmp_lt_i32 s24, s17
	s_cselect_b32 s24, s25, s4
	s_delay_alu instid0(SALU_CYCLE_1) | instskip(NEXT) | instid1(SALU_CYCLE_1)
	s_ashr_i32 s25, s24, 31
	s_lshl_b64 s[24:25], s[24:25], 2
	s_delay_alu instid0(SALU_CYCLE_1)
	s_add_u32 s24, s13, s24
	s_addc_u32 s25, s16, s25
	s_clause 0x5
	s_load_b32 s28, s[2:3], 0x0
	s_load_b32 s29, s[6:7], 0x0
	;; [unrolled: 1-line block ×6, first 2 shown]
	s_mov_b32 s20, 0
	s_or_b32 s2, s12, 0xc0
	s_mov_b32 s21, s20
	s_mov_b32 s22, s20
	;; [unrolled: 1-line block ×5, first 2 shown]
	v_lshlrev_b32_e32 v1, 4, v0
	s_ashr_i32 s3, s2, 4
	s_cmp_lt_i32 s2, s17
	s_cselect_b32 s2, s3, s4
	s_delay_alu instid0(VALU_DEP_1) | instskip(SKIP_1) | instid1(SALU_CYCLE_1)
	v_and_b32_e32 v1, 0xf0, v1
	s_ashr_i32 s3, s2, 31
	s_lshl_b64 s[2:3], s[2:3], 2
	s_delay_alu instid0(VALU_DEP_1) | instskip(NEXT) | instid1(VALU_DEP_1)
	v_add_co_u32 v1, s26, s26, v1
	v_add_co_ci_u32_e64 v2, null, s27, 0, s26
	s_add_u32 s2, s13, s2
	s_addc_u32 s3, s16, s3
	s_or_b32 s6, s12, 0xe0
	s_mov_b32 s27, s20
	s_ashr_i32 s7, s6, 4
	s_cmp_lt_i32 s6, s17
	s_mov_b32 s26, s20
	v_dual_mov_b32 v107, s27 :: v_dual_mov_b32 v100, s20
	s_cselect_b32 s6, s7, s4
	v_mov_b32_e32 v106, s26
	s_ashr_i32 s7, s6, 31
	v_mov_b32_e32 v104, s24
	s_lshl_b64 s[6:7], s[6:7], 2
	v_dual_mov_b32 v103, s23 :: v_dual_mov_b32 v102, s22
	v_mov_b32_e32 v101, s21
	s_waitcnt vmcnt(1)
	v_mad_i64_i32 v[33:34], null, v5, s5, v[1:2]
	s_waitcnt vmcnt(0)
	v_mad_i64_i32 v[35:36], null, v3, s5, v[1:2]
	s_clause 0xf
	global_load_b128 v[1:4], v[33:34], off
	global_load_b128 v[5:8], v[33:34], off offset:256
	global_load_b128 v[9:12], v[35:36], off
	global_load_b128 v[13:16], v[35:36], off offset:256
	global_load_b128 v[17:20], v[33:34], off offset:512
	;; [unrolled: 1-line block ×13, first 2 shown]
	v_add_nc_u32_e32 v33, -13, v65
	v_lshlrev_b32_e32 v34, 4, v65
	s_delay_alu instid0(VALU_DEP_2) | instskip(SKIP_1) | instid1(VALU_DEP_3)
	v_cndmask_b32_e32 v33, v33, v65, vcc_lo
	v_mov_b32_e32 v105, s25
	v_lshl_or_b32 v41, v66, 8, v34
	s_delay_alu instid0(VALU_DEP_3)
	v_lshlrev_b32_e32 v72, 6, v33
	ds_load_b128 v[33:36], v72
	ds_load_b128 v[37:40], v72 offset:1024
	ds_load_b128 v[108:111], v72 offset:2048
	;; [unrolled: 1-line block ×3, first 2 shown]
	s_load_b32 s4, s[2:3], 0x0
	s_add_u32 s2, s13, s6
	s_addc_u32 s3, s16, s7
	ds_load_b128 v[116:119], v72 offset:4096
	ds_load_b128 v[120:123], v72 offset:5120
	s_load_b32 s2, s[2:3], 0x0
	s_add_u32 s6, s10, s15
	s_addc_u32 s7, s11, s19
	v_add_co_u32 v68, s6, s6, v41
	s_delay_alu instid0(VALU_DEP_1) | instskip(SKIP_1) | instid1(VALU_DEP_1)
	v_add_co_ci_u32_e64 v69, null, s7, 0, s6
	s_waitcnt lgkmcnt(0)
	v_mad_i64_i32 v[41:42], null, s28, s5, v[68:69]
	v_mad_i64_i32 v[70:71], null, s8, s5, v[68:69]
	;; [unrolled: 1-line block ×7, first 2 shown]
	s_clause 0x3
	global_load_b128 v[49:52], v[41:42], off
	global_load_b128 v[53:56], v[41:42], off offset:16
	global_load_b128 v[41:44], v[45:46], off
	global_load_b128 v[45:48], v[45:46], off offset:16
	s_waitcnt vmcnt(18)
	v_wmma_f32_16x16x16_bf16 v[124:131], v[1:8], v[33:40], v[100:107]
	s_waitcnt vmcnt(16)
	v_wmma_f32_16x16x16_bf16 v[100:107], v[9:16], v[33:40], v[100:107]
	s_clause 0x1
	global_load_b128 v[33:36], v[70:71], off
	global_load_b128 v[37:40], v[70:71], off offset:16
	v_mad_i64_i32 v[70:71], null, s2, s5, v[68:69]
	s_waitcnt vmcnt(16)
	v_wmma_f32_16x16x16_bf16 v[124:131], v[17:24], v[108:115], v[124:131]
	s_waitcnt vmcnt(14)
	v_wmma_f32_16x16x16_bf16 v[100:107], v[25:32], v[108:115], v[100:107]
	s_clause 0x7
	global_load_b128 v[25:28], v[132:133], off
	global_load_b128 v[29:32], v[132:133], off offset:16
	global_load_b128 v[1:4], v[134:135], off
	global_load_b128 v[5:8], v[134:135], off offset:16
	;; [unrolled: 2-line block ×4, first 2 shown]
	s_waitcnt vmcnt(20)
	v_wmma_f32_16x16x16_bf16 v[124:131], v[57:64], v[116:123], v[124:131]
	s_clause 0x1
	global_load_b128 v[57:60], v[70:71], off
	global_load_b128 v[61:64], v[70:71], off offset:16
	s_waitcnt vmcnt(20)
	v_wmma_f32_16x16x16_bf16 v[100:107], v[76:83], v[116:123], v[100:107]
	ds_load_b128 v[76:79], v72 offset:6144
	ds_load_b128 v[80:83], v72 offset:7168
	v_and_b32_e32 v68, 0xe0, v0
	v_mbcnt_lo_u32_b32 v69, -1, 0
	s_waitcnt vmcnt(0) lgkmcnt(0)
	s_barrier
	buffer_gl0_inv
	v_add_nc_u32_e32 v68, s12, v68
	v_xor_b32_e32 v70, 16, v69
	s_delay_alu instid0(VALU_DEP_2) | instskip(NEXT) | instid1(VALU_DEP_2)
	v_or_b32_e32 v68, v68, v74
	v_cmp_gt_i32_e32 vcc_lo, 32, v70
	s_delay_alu instid0(VALU_DEP_2)
	v_or_b32_e32 v71, 4, v68
	v_or_b32_e32 v72, 6, v68
	v_cmp_gt_i32_e64 s2, s17, v68
	v_or_b32_e32 v108, 8, v68
	v_wmma_f32_16x16x16_bf16 v[124:131], v[84:91], v[76:83], v[124:131]
	v_cndmask_b32_e32 v69, v69, v70, vcc_lo
	v_or_b32_e32 v70, 2, v68
	v_wmma_f32_16x16x16_bf16 v[100:107], v[92:99], v[76:83], v[100:107]
	v_or_b32_e32 v109, 10, v68
	v_dual_mul_f32 v82, s18, v127 :: v_dual_mul_f32 v79, s18, v130
	v_dual_mul_f32 v92, s18, v125 :: v_dual_mul_f32 v93, s18, v124
	s_delay_alu instid0(VALU_DEP_4)
	v_mul_f32_e32 v98, s18, v103
	v_cmp_gt_i32_e32 vcc_lo, s17, v70
	v_or_b32_e32 v89, 22, v68
	v_dual_mul_f32 v83, s18, v126 :: v_dual_mul_f32 v96, s18, v105
	v_cndmask_b32_e64 v93, 0xff7fffff, v93, s2
	v_cndmask_b32_e32 v92, 0xff7fffff, v92, vcc_lo
	v_cmp_gt_i32_e64 s3, s17, v71
	v_cmp_gt_i32_e64 s4, s17, v72
	v_or_b32_e32 v84, 12, v68
	v_or_b32_e32 v85, 14, v68
	v_dual_mul_f32 v80, s18, v129 :: v_dual_mul_f32 v81, s18, v128
	v_mul_f32_e32 v94, s18, v107
	v_cndmask_b32_e64 v71, 0xff7fffff, v83, s3
	v_cndmask_b32_e64 v72, 0xff7fffff, v82, s4
	v_cmp_gt_i32_e64 s5, s17, v108
	v_cmp_gt_i32_e64 s6, s17, v109
	;; [unrolled: 1-line block ×3, first 2 shown]
	v_lshlrev_b32_e32 v89, 2, v69
	v_max3_f32 v82, v93, 0xff7fffff, v92
	v_or_b32_e32 v86, 16, v68
	v_or_b32_e32 v87, 18, v68
	v_mul_f32_e32 v78, s18, v131
	v_cndmask_b32_e64 v81, 0xff7fffff, v81, s5
	v_cndmask_b32_e64 v80, 0xff7fffff, v80, s6
	v_max3_f32 v71, v82, v71, v72
	v_cmp_gt_i32_e64 s7, s17, v84
	v_cmp_gt_i32_e64 s8, s17, v85
	v_or_b32_e32 v88, 20, v68
	v_or_b32_e32 v90, 24, v68
	;; [unrolled: 1-line block ×5, first 2 shown]
	v_dual_mul_f32 v95, s18, v106 :: v_dual_mul_f32 v70, s18, v101
	v_dual_mul_f32 v99, s18, v102 :: v_dual_mul_f32 v68, s18, v100
	v_cndmask_b32_e64 v72, 0xff7fffff, v79, s7
	v_cndmask_b32_e64 v78, 0xff7fffff, v78, s8
	v_max3_f32 v71, v71, v81, v80
	v_cmp_gt_i32_e64 s9, s17, v86
	v_cmp_gt_i32_e64 s10, s17, v87
	;; [unrolled: 1-line block ×3, first 2 shown]
	v_mul_f32_e32 v97, s18, v104
	v_max3_f32 v71, v71, v72, v78
	v_cndmask_b32_e64 v68, 0xff7fffff, v68, s9
	v_cndmask_b32_e64 v70, 0xff7fffff, v70, s10
	v_cndmask_b32_e64 v72, 0xff7fffff, v99, s11
	v_cndmask_b32_e64 v78, 0xff7fffff, v98, s12
	v_cmp_gt_i32_e64 s13, s17, v90
	v_cmp_gt_i32_e64 s15, s17, v91
	v_max3_f32 v68, v71, v68, v70
	v_cmp_gt_i32_e64 s16, s17, v76
	v_cmp_gt_i32_e64 s17, s17, v77
	v_cndmask_b32_e64 v70, 0xff7fffff, v97, s13
	v_cndmask_b32_e64 v71, 0xff7fffff, v96, s15
	v_max3_f32 v68, v68, v72, v78
	v_cndmask_b32_e64 v72, 0xff7fffff, v95, s16
	v_cndmask_b32_e64 v76, 0xff7fffff, v94, s17
	s_delay_alu instid0(VALU_DEP_3) | instskip(NEXT) | instid1(VALU_DEP_1)
	v_max3_f32 v68, v68, v70, v71
	v_max3_f32 v68, v68, v72, v76
	ds_bpermute_b32 v69, v89, v68
	s_waitcnt lgkmcnt(0)
	v_max_f32_e32 v69, v69, v69
	s_delay_alu instid0(VALU_DEP_1) | instskip(NEXT) | instid1(VALU_DEP_1)
	v_max_f32_e32 v68, v68, v69
	v_fma_f32 v69, s18, v124, -v68
	v_fma_f32 v70, s18, v125, -v68
	;; [unrolled: 1-line block ×5, first 2 shown]
	s_delay_alu instid0(VALU_DEP_4) | instskip(NEXT) | instid1(VALU_DEP_4)
	v_dual_mul_f32 v69, 0x3fb8aa3b, v69 :: v_dual_mul_f32 v70, 0x3fb8aa3b, v70
	v_mul_f32_e32 v72, 0x3fb8aa3b, v72
	v_fma_f32 v78, s18, v130, -v68
	s_delay_alu instid0(VALU_DEP_4) | instskip(NEXT) | instid1(VALU_DEP_4)
	v_mul_f32_e32 v77, 0x3fb8aa3b, v76
	v_exp_f32_e32 v69, v69
	v_exp_f32_e32 v70, v70
	v_mul_f32_e32 v71, 0x3fb8aa3b, v71
	v_exp_f32_e32 v72, v72
	v_mul_f32_e32 v78, 0x3fb8aa3b, v78
	v_exp_f32_e32 v77, v77
	v_fma_f32 v81, s18, v105, -v68
	s_delay_alu instid0(VALU_DEP_2)
	v_exp_f32_e32 v78, v78
	v_cndmask_b32_e64 v80, 0, v69, s2
	v_cndmask_b32_e32 v76, 0, v70, vcc_lo
	v_exp_f32_e32 v71, v71
	v_fma_f32 v69, s18, v129, -v68
	v_cndmask_b32_e64 v85, 0, v72, s4
	v_add_f32_e32 v70, 0, v80
	s_delay_alu instid0(TRANS32_DEP_3)
	v_cndmask_b32_e64 v86, 0, v77, s5
	v_fma_f32 v77, s18, v101, -v68
	v_mul_f32_e32 v69, 0x3fb8aa3b, v69
	v_fma_f32 v72, s18, v100, -v68
	v_cndmask_b32_e64 v84, 0, v78, s7
	v_fma_f32 v78, s18, v103, -v68
	v_cndmask_b32_e64 v83, 0, v71, s3
	v_fma_f32 v71, s18, v131, -v68
	v_add_f32_e32 v70, v70, v76
	v_exp_f32_e32 v69, v69
	v_mul_f32_e32 v77, 0x3fb8aa3b, v77
	v_mul_f32_e32 v81, 0x3fb8aa3b, v81
	;; [unrolled: 1-line block ×3, first 2 shown]
	v_add_f32_e32 v70, v70, v83
	v_cmp_gt_u32_e64 s2, 16, v67
	v_exp_f32_e32 v77, v77
	v_exp_f32_e32 v81, v81
	;; [unrolled: 1-line block ×3, first 2 shown]
	v_cndmask_b32_e64 v87, 0, v69, s6
	v_add_f32_e32 v70, v70, v85
	s_delay_alu instid0(VALU_DEP_1) | instskip(SKIP_1) | instid1(VALU_DEP_2)
	v_dual_mul_f32 v72, 0x3fb8aa3b, v72 :: v_dual_add_f32 v69, v70, v86
	v_fma_f32 v70, s18, v102, -v68
	v_exp_f32_e32 v72, v72
	s_waitcnt_depctr 0xfff
	v_cndmask_b32_e64 v88, 0, v71, s8
	v_fma_f32 v71, s18, v104, -v68
	v_dual_add_f32 v69, v69, v87 :: v_dual_mul_f32 v70, 0x3fb8aa3b, v70
	s_delay_alu instid0(VALU_DEP_2) | instskip(NEXT) | instid1(VALU_DEP_2)
	v_dual_mul_f32 v78, 0x3fb8aa3b, v78 :: v_dual_mul_f32 v71, 0x3fb8aa3b, v71
	v_add_f32_e32 v69, v69, v84
	s_delay_alu instid0(VALU_DEP_3) | instskip(SKIP_1) | instid1(VALU_DEP_3)
	v_exp_f32_e32 v79, v70
	v_cndmask_b32_e64 v70, 0, v72, s9
	v_exp_f32_e32 v78, v78
	v_exp_f32_e32 v82, v71
	v_add_f32_e32 v72, v69, v88
	v_cndmask_b32_e64 v69, 0, v77, s10
	v_fma_f32 v77, s18, v106, -v68
	s_delay_alu instid0(VALU_DEP_3) | instskip(NEXT) | instid1(TRANS32_DEP_3)
	v_add_f32_e32 v72, v72, v70
	v_cndmask_b32_e64 v71, 0, v79, s11
	s_delay_alu instid0(VALU_DEP_3) | instskip(NEXT) | instid1(VALU_DEP_3)
	v_mul_f32_e32 v77, 0x3fb8aa3b, v77
	v_add_f32_e32 v79, v72, v69
	s_delay_alu instid0(TRANS32_DEP_2) | instskip(NEXT) | instid1(VALU_DEP_3)
	v_cndmask_b32_e64 v72, 0, v78, s12
	v_exp_f32_e32 v90, v77
	v_cndmask_b32_e64 v77, 0, v82, s13
	s_delay_alu instid0(VALU_DEP_3) | instskip(SKIP_1) | instid1(VALU_DEP_1)
	v_add_f32_e32 v78, v79, v71
	v_fma_f32 v79, s18, v107, -v68
	v_dual_add_f32 v82, v78, v72 :: v_dual_mul_f32 v79, 0x3fb8aa3b, v79
	v_cndmask_b32_e64 v78, 0, v81, s15
	s_delay_alu instid0(VALU_DEP_2) | instskip(NEXT) | instid1(VALU_DEP_3)
	v_add_f32_e32 v81, v82, v77
	v_exp_f32_e32 v82, v79
	s_delay_alu instid0(TRANS32_DEP_2) | instskip(NEXT) | instid1(VALU_DEP_2)
	v_cndmask_b32_e64 v79, 0, v90, s16
	v_add_f32_e32 v81, v81, v78
	s_delay_alu instid0(VALU_DEP_1) | instskip(SKIP_2) | instid1(VALU_DEP_1)
	v_add_f32_e32 v90, v81, v79
	s_waitcnt_depctr 0xfff
	v_cndmask_b32_e64 v81, 0, v82, s17
	v_add_f32_e32 v82, v90, v81
	ds_bpermute_b32 v89, v89, v82
	s_and_saveexec_b32 s3, s2
	s_cbranch_execz .LBB1538_12
; %bb.11:
	v_mul_u32_u24_e32 v67, 0x44, v66
	s_delay_alu instid0(VALU_DEP_1) | instskip(SKIP_1) | instid1(VALU_DEP_1)
	v_lshl_add_u32 v67, v65, 2, v67
	s_waitcnt lgkmcnt(0)
	v_dual_add_f32 v82, v82, v89 :: v_dual_add_nc_u32 v67, 0x4000, v67
	ds_store_2addr_b32 v67, v68, v82 offset1:136
.LBB1538_12:
	s_or_b32 exec_lo, exec_lo, s3
	v_lshlrev_b32_e32 v67, 2, v65
	s_waitcnt lgkmcnt(0)
	s_barrier
	buffer_gl0_inv
	v_cmp_eq_u32_e32 vcc_lo, 1, v66
	v_add_nc_u32_e32 v82, 0x4000, v67
	v_cmp_eq_u32_e64 s3, 2, v66
	v_cmp_eq_u32_e64 s5, 7, v66
	ds_load_2addr_b32 v[89:90], v82 offset1:17
	ds_load_2addr_b32 v[91:92], v82 offset0:34 offset1:51
	ds_load_2addr_b32 v[93:94], v82 offset0:68 offset1:85
	;; [unrolled: 1-line block ×4, first 2 shown]
	s_waitcnt lgkmcnt(4)
	v_max3_f32 v67, v89, 0xff7fffff, v90
	s_waitcnt lgkmcnt(3)
	s_delay_alu instid0(VALU_DEP_1) | instskip(SKIP_1) | instid1(VALU_DEP_1)
	v_max3_f32 v67, v67, v91, v92
	s_waitcnt lgkmcnt(2)
	v_max3_f32 v67, v67, v93, v94
	s_waitcnt lgkmcnt(1)
	s_delay_alu instid0(VALU_DEP_1) | instskip(NEXT) | instid1(VALU_DEP_1)
	v_max3_f32 v67, v67, v95, v96
	v_sub_f32_e32 v93, v93, v67
	s_delay_alu instid0(VALU_DEP_1) | instskip(NEXT) | instid1(VALU_DEP_1)
	v_dual_sub_f32 v68, v89, v67 :: v_dual_mul_f32 v103, 0x3fb8aa3b, v93
	v_mul_f32_e32 v68, 0x3fb8aa3b, v68
	s_delay_alu instid0(VALU_DEP_1)
	v_exp_f32_e32 v100, v68
	v_sub_f32_e32 v68, v92, v67
	v_sub_f32_e32 v99, v90, v67
	ds_load_2addr_b32 v[89:90], v82 offset0:170 offset1:187
	v_dual_mul_f32 v102, 0x3fb8aa3b, v68 :: v_dual_mul_f32 v99, 0x3fb8aa3b, v99
	s_waitcnt lgkmcnt(1)
	v_fma_f32 v68, v100, v97, 0
	s_delay_alu instid0(VALU_DEP_2) | instskip(NEXT) | instid1(VALU_DEP_2)
	v_exp_f32_e32 v102, v102
	v_exp_f32_e32 v99, v99
	s_waitcnt_depctr 0xfff
	v_fmac_f32_e32 v68, v99, v98
	v_sub_f32_e32 v91, v91, v67
	s_delay_alu instid0(VALU_DEP_1)
	v_mul_f32_e32 v101, 0x3fb8aa3b, v91
	ds_load_2addr_b32 v[91:92], v82 offset0:204 offset1:221
	v_sub_f32_e32 v97, v94, v67
	ds_load_2addr_b32 v[93:94], v82 offset0:238 offset1:255
	s_waitcnt lgkmcnt(0)
	v_exp_f32_e32 v101, v101
	s_barrier
	buffer_gl0_inv
	v_dual_fmac_f32 v68, v101, v89 :: v_dual_sub_f32 v89, v96, v67
	v_dual_sub_f32 v82, v95, v67 :: v_dual_mul_f32 v95, 0x3fb8aa3b, v97
	v_exp_f32_e32 v97, v103
	s_delay_alu instid0(VALU_DEP_2) | instskip(NEXT) | instid1(VALU_DEP_2)
	v_dual_fmac_f32 v68, v102, v90 :: v_dual_mul_f32 v89, 0x3fb8aa3b, v89
	v_mul_f32_e32 v82, 0x3fb8aa3b, v82
	s_delay_alu instid0(VALU_DEP_3) | instskip(NEXT) | instid1(VALU_DEP_2)
	v_exp_f32_e32 v95, v95
	v_exp_f32_e32 v89, v89
	s_delay_alu instid0(VALU_DEP_1)
	v_exp_f32_e32 v82, v82
	v_fmac_f32_e32 v68, v97, v91
	s_delay_alu instid0(TRANS32_DEP_3) | instid1(VALU_DEP_1)
	v_fmac_f32_e32 v68, v95, v92
	s_waitcnt_depctr 0xfff
	v_fmac_f32_e32 v68, v82, v93
	s_delay_alu instid0(VALU_DEP_1) | instskip(NEXT) | instid1(VALU_DEP_1)
	v_fmac_f32_e32 v68, v89, v94
	v_add_f32_e32 v90, 0x358637bd, v68
	s_delay_alu instid0(VALU_DEP_1) | instskip(NEXT) | instid1(VALU_DEP_1)
	v_div_scale_f32 v91, null, v90, v90, 1.0
	v_rcp_f32_e32 v92, v91
	s_waitcnt_depctr 0xfff
	v_fma_f32 v93, -v91, v92, 1.0
	s_delay_alu instid0(VALU_DEP_1) | instskip(SKIP_1) | instid1(VALU_DEP_2)
	v_dual_fmac_f32 v92, v93, v92 :: v_dual_cndmask_b32 v93, v100, v99
	v_cmp_eq_u32_e32 vcc_lo, 3, v66
	v_cndmask_b32_e64 v93, v93, v101, s3
	v_cmp_eq_u32_e64 s3, 4, v66
	s_delay_alu instid0(VALU_DEP_2) | instskip(SKIP_1) | instid1(VALU_DEP_2)
	v_cndmask_b32_e32 v93, v93, v102, vcc_lo
	v_cmp_eq_u32_e32 vcc_lo, 5, v66
	v_cndmask_b32_e64 v93, v93, v97, s3
	v_cmp_eq_u32_e64 s3, 6, v66
	s_delay_alu instid0(VALU_DEP_2) | instskip(SKIP_1) | instid1(VALU_DEP_1)
	v_cndmask_b32_e32 v93, v93, v95, vcc_lo
	v_div_scale_f32 v94, s4, 1.0, v90, 1.0
	s_mov_b32 vcc_lo, s4
	s_delay_alu instid0(VALU_DEP_2) | instskip(NEXT) | instid1(VALU_DEP_2)
	v_cndmask_b32_e64 v82, v93, v82, s3
	v_mul_f32_e32 v96, v94, v92
	s_mov_b32 s3, exec_lo
	s_delay_alu instid0(VALU_DEP_2) | instskip(NEXT) | instid1(VALU_DEP_2)
	v_cndmask_b32_e64 v82, v82, v89, s5
	v_fma_f32 v98, -v91, v96, v94
	s_delay_alu instid0(VALU_DEP_1) | instskip(NEXT) | instid1(VALU_DEP_1)
	v_fmac_f32_e32 v96, v98, v92
	v_fma_f32 v91, -v91, v96, v94
	s_delay_alu instid0(VALU_DEP_1) | instskip(NEXT) | instid1(VALU_DEP_1)
	v_div_fmas_f32 v91, v91, v92, v96
	v_div_fixup_f32 v90, v91, v90, 1.0
	s_delay_alu instid0(VALU_DEP_1) | instskip(NEXT) | instid1(VALU_DEP_1)
	v_mul_f32_e32 v82, v82, v90
	v_mul_f32_e32 v87, v82, v87
	;; [unrolled: 1-line block ×7, first 2 shown]
	v_dual_mul_f32 v86, v82, v83 :: v_dual_and_b32 v91, 0x7f800000, v90
	v_mul_f32_e32 v85, v82, v76
                                        ; implicit-def: $vgpr76
	s_delay_alu instid0(VALU_DEP_2)
	v_cmpx_ne_u32_e32 0x7f800000, v91
	s_xor_b32 s3, exec_lo, s3
; %bb.13:
	v_bfe_u32 v76, v90, 16, 1
	s_delay_alu instid0(VALU_DEP_1)
	v_add3_u32 v76, v90, v76, 0x7fff
                                        ; implicit-def: $vgpr90
; %bb.14:
	s_and_not1_saveexec_b32 s3, s3
; %bb.15:
	v_and_b32_e32 v76, 0xffff, v90
	v_or_b32_e32 v83, 0x10000, v90
	s_delay_alu instid0(VALU_DEP_2) | instskip(NEXT) | instid1(VALU_DEP_2)
	v_cmp_eq_u32_e32 vcc_lo, 0, v76
	v_cndmask_b32_e32 v76, v83, v90, vcc_lo
; %bb.16:
	s_or_b32 exec_lo, exec_lo, s3
	v_and_b32_e32 v83, 0x7f800000, v85
	s_delay_alu instid0(VALU_DEP_1) | instskip(SKIP_1) | instid1(SALU_CYCLE_1)
	v_cmp_ne_u32_e32 vcc_lo, 0x7f800000, v83
                                        ; implicit-def: $vgpr83
	s_and_saveexec_b32 s3, vcc_lo
	s_xor_b32 s3, exec_lo, s3
; %bb.17:
	v_bfe_u32 v83, v85, 16, 1
	s_delay_alu instid0(VALU_DEP_1)
	v_add3_u32 v83, v85, v83, 0x7fff
                                        ; implicit-def: $vgpr85
; %bb.18:
	s_and_not1_saveexec_b32 s3, s3
; %bb.19:
	v_and_b32_e32 v83, 0xffff, v85
	v_or_b32_e32 v90, 0x10000, v85
	s_delay_alu instid0(VALU_DEP_2) | instskip(NEXT) | instid1(VALU_DEP_2)
	v_cmp_eq_u32_e32 vcc_lo, 0, v83
	v_cndmask_b32_e32 v83, v90, v85, vcc_lo
; %bb.20:
	s_or_b32 exec_lo, exec_lo, s3
	v_and_b32_e32 v85, 0x7f800000, v86
	s_delay_alu instid0(VALU_DEP_1) | instskip(SKIP_1) | instid1(SALU_CYCLE_1)
	v_cmp_ne_u32_e32 vcc_lo, 0x7f800000, v85
                                        ; implicit-def: $vgpr85
	s_and_saveexec_b32 s3, vcc_lo
	s_xor_b32 s3, exec_lo, s3
; %bb.21:
	v_bfe_u32 v85, v86, 16, 1
	s_delay_alu instid0(VALU_DEP_1)
	v_add3_u32 v85, v86, v85, 0x7fff
                                        ; implicit-def: $vgpr86
; %bb.22:
	s_and_not1_saveexec_b32 s3, s3
; %bb.23:
	v_and_b32_e32 v85, 0xffff, v86
	v_or_b32_e32 v90, 0x10000, v86
	s_delay_alu instid0(VALU_DEP_2) | instskip(NEXT) | instid1(VALU_DEP_2)
	v_cmp_eq_u32_e32 vcc_lo, 0, v85
	v_cndmask_b32_e32 v85, v90, v86, vcc_lo
; %bb.24:
	s_or_b32 exec_lo, exec_lo, s3
	v_and_b32_e32 v86, 0x7f800000, v89
	s_delay_alu instid0(VALU_DEP_1) | instskip(SKIP_1) | instid1(SALU_CYCLE_1)
	v_cmp_ne_u32_e32 vcc_lo, 0x7f800000, v86
                                        ; implicit-def: $vgpr86
	s_and_saveexec_b32 s3, vcc_lo
	s_xor_b32 s3, exec_lo, s3
; %bb.25:
	v_bfe_u32 v86, v89, 16, 1
	s_delay_alu instid0(VALU_DEP_1)
	v_add3_u32 v86, v89, v86, 0x7fff
                                        ; implicit-def: $vgpr89
; %bb.26:
	s_and_not1_saveexec_b32 s3, s3
; %bb.27:
	v_and_b32_e32 v86, 0xffff, v89
	v_or_b32_e32 v90, 0x10000, v89
	s_delay_alu instid0(VALU_DEP_2) | instskip(NEXT) | instid1(VALU_DEP_2)
	v_cmp_eq_u32_e32 vcc_lo, 0, v86
	v_cndmask_b32_e32 v86, v90, v89, vcc_lo
; %bb.28:
	s_or_b32 exec_lo, exec_lo, s3
	v_and_b32_e32 v89, 0x7f800000, v88
	s_delay_alu instid0(VALU_DEP_1) | instskip(SKIP_1) | instid1(SALU_CYCLE_1)
	v_cmp_ne_u32_e32 vcc_lo, 0x7f800000, v89
                                        ; implicit-def: $vgpr89
	s_and_saveexec_b32 s3, vcc_lo
	s_xor_b32 s3, exec_lo, s3
; %bb.29:
	v_bfe_u32 v89, v88, 16, 1
	s_delay_alu instid0(VALU_DEP_1)
	v_add3_u32 v89, v88, v89, 0x7fff
                                        ; implicit-def: $vgpr88
; %bb.30:
	s_and_not1_saveexec_b32 s3, s3
; %bb.31:
	v_and_b32_e32 v89, 0xffff, v88
	v_or_b32_e32 v90, 0x10000, v88
	s_delay_alu instid0(VALU_DEP_2) | instskip(NEXT) | instid1(VALU_DEP_2)
	v_cmp_eq_u32_e32 vcc_lo, 0, v89
	v_cndmask_b32_e32 v89, v90, v88, vcc_lo
; %bb.32:
	s_or_b32 exec_lo, exec_lo, s3
	v_and_b32_e32 v88, 0x7f800000, v87
	s_delay_alu instid0(VALU_DEP_1) | instskip(SKIP_1) | instid1(SALU_CYCLE_1)
	v_cmp_ne_u32_e32 vcc_lo, 0x7f800000, v88
                                        ; implicit-def: $vgpr88
	s_and_saveexec_b32 s3, vcc_lo
	s_xor_b32 s3, exec_lo, s3
; %bb.33:
	v_bfe_u32 v88, v87, 16, 1
	s_delay_alu instid0(VALU_DEP_1)
	v_add3_u32 v88, v87, v88, 0x7fff
                                        ; implicit-def: $vgpr87
; %bb.34:
	s_and_not1_saveexec_b32 s3, s3
; %bb.35:
	v_and_b32_e32 v88, 0xffff, v87
	v_or_b32_e32 v90, 0x10000, v87
	s_delay_alu instid0(VALU_DEP_2) | instskip(NEXT) | instid1(VALU_DEP_2)
	v_cmp_eq_u32_e32 vcc_lo, 0, v88
	v_cndmask_b32_e32 v88, v90, v87, vcc_lo
; %bb.36:
	s_or_b32 exec_lo, exec_lo, s3
	v_and_b32_e32 v87, 0x7f800000, v84
	s_delay_alu instid0(VALU_DEP_1) | instskip(SKIP_1) | instid1(SALU_CYCLE_1)
	v_cmp_ne_u32_e32 vcc_lo, 0x7f800000, v87
                                        ; implicit-def: $vgpr87
	s_and_saveexec_b32 s3, vcc_lo
	s_xor_b32 s3, exec_lo, s3
; %bb.37:
	v_bfe_u32 v87, v84, 16, 1
	s_delay_alu instid0(VALU_DEP_1)
	v_add3_u32 v87, v84, v87, 0x7fff
                                        ; implicit-def: $vgpr84
; %bb.38:
	s_and_not1_saveexec_b32 s3, s3
; %bb.39:
	v_and_b32_e32 v87, 0xffff, v84
	v_or_b32_e32 v90, 0x10000, v84
	s_delay_alu instid0(VALU_DEP_2) | instskip(NEXT) | instid1(VALU_DEP_2)
	v_cmp_eq_u32_e32 vcc_lo, 0, v87
	v_cndmask_b32_e32 v87, v90, v84, vcc_lo
; %bb.40:
	s_or_b32 exec_lo, exec_lo, s3
	v_and_b32_e32 v84, 0x7f800000, v80
	s_delay_alu instid0(VALU_DEP_1) | instskip(SKIP_1) | instid1(SALU_CYCLE_1)
	v_cmp_ne_u32_e32 vcc_lo, 0x7f800000, v84
                                        ; implicit-def: $vgpr84
	s_and_saveexec_b32 s3, vcc_lo
	s_xor_b32 s3, exec_lo, s3
; %bb.41:
	v_bfe_u32 v84, v80, 16, 1
	s_delay_alu instid0(VALU_DEP_1)
	v_add3_u32 v84, v80, v84, 0x7fff
                                        ; implicit-def: $vgpr80
; %bb.42:
	s_and_not1_saveexec_b32 s3, s3
; %bb.43:
	v_and_b32_e32 v84, 0xffff, v80
	v_or_b32_e32 v90, 0x10000, v80
	s_delay_alu instid0(VALU_DEP_2) | instskip(NEXT) | instid1(VALU_DEP_2)
	v_cmp_eq_u32_e32 vcc_lo, 0, v84
	v_cndmask_b32_e32 v84, v90, v80, vcc_lo
; %bb.44:
	s_or_b32 exec_lo, exec_lo, s3
	s_load_b64 s[34:35], s[0:1], 0x94
	v_lshlrev_b32_e32 v91, 4, v74
	s_delay_alu instid0(VALU_DEP_2)
	v_perm_b32 v90, v84, v87, 0x7060302
	v_dual_mul_f32 v79, v82, v79 :: v_dual_lshlrev_b32 v80, 6, v65
	v_dual_mul_f32 v77, v82, v77 :: v_dual_lshlrev_b32 v92, 11, v66
	v_mul_f32_e32 v84, v82, v70
	v_perm_b32 v89, v88, v89, 0x7060302
	v_perm_b32 v88, v86, v85, 0x7060302
	;; [unrolled: 1-line block ×3, first 2 shown]
	v_mul_f32_e32 v70, v82, v81
	v_or3_b32 v76, v91, v92, v80
	v_dual_mul_f32 v78, v82, v78 :: v_dual_and_b32 v85, 0x7f800000, v84
	v_mul_f32_e32 v83, v82, v72
	v_mul_f32_e32 v81, v82, v71
	;; [unrolled: 1-line block ×3, first 2 shown]
	s_mov_b32 s3, exec_lo
	ds_store_b128 v76, v[87:90]
                                        ; implicit-def: $vgpr69
	v_cmpx_ne_u32_e32 0x7f800000, v85
	s_xor_b32 s3, exec_lo, s3
; %bb.45:
	v_bfe_u32 v69, v84, 16, 1
	s_delay_alu instid0(VALU_DEP_1)
	v_add3_u32 v69, v84, v69, 0x7fff
                                        ; implicit-def: $vgpr84
; %bb.46:
	s_and_not1_saveexec_b32 s3, s3
; %bb.47:
	v_and_b32_e32 v69, 0xffff, v84
	v_or_b32_e32 v71, 0x10000, v84
	s_delay_alu instid0(VALU_DEP_2) | instskip(NEXT) | instid1(VALU_DEP_2)
	v_cmp_eq_u32_e32 vcc_lo, 0, v69
	v_cndmask_b32_e32 v69, v71, v84, vcc_lo
; %bb.48:
	s_or_b32 exec_lo, exec_lo, s3
	v_and_b32_e32 v71, 0x7f800000, v72
	s_delay_alu instid0(VALU_DEP_1) | instskip(SKIP_1) | instid1(SALU_CYCLE_1)
	v_cmp_ne_u32_e32 vcc_lo, 0x7f800000, v71
                                        ; implicit-def: $vgpr71
	s_and_saveexec_b32 s3, vcc_lo
	s_xor_b32 s3, exec_lo, s3
; %bb.49:
	v_bfe_u32 v71, v72, 16, 1
	s_delay_alu instid0(VALU_DEP_1)
	v_add3_u32 v71, v72, v71, 0x7fff
                                        ; implicit-def: $vgpr72
; %bb.50:
	s_and_not1_saveexec_b32 s3, s3
; %bb.51:
	v_and_b32_e32 v71, 0xffff, v72
	v_or_b32_e32 v82, 0x10000, v72
	s_delay_alu instid0(VALU_DEP_2) | instskip(NEXT) | instid1(VALU_DEP_2)
	v_cmp_eq_u32_e32 vcc_lo, 0, v71
	v_cndmask_b32_e32 v71, v82, v72, vcc_lo
; %bb.52:
	s_or_b32 exec_lo, exec_lo, s3
	v_and_b32_e32 v72, 0x7f800000, v81
	s_delay_alu instid0(VALU_DEP_1) | instskip(SKIP_1) | instid1(SALU_CYCLE_1)
	v_cmp_ne_u32_e32 vcc_lo, 0x7f800000, v72
                                        ; implicit-def: $vgpr72
	s_and_saveexec_b32 s3, vcc_lo
	s_xor_b32 s3, exec_lo, s3
; %bb.53:
	v_bfe_u32 v72, v81, 16, 1
	s_delay_alu instid0(VALU_DEP_1)
	v_add3_u32 v72, v81, v72, 0x7fff
                                        ; implicit-def: $vgpr81
; %bb.54:
	s_and_not1_saveexec_b32 s3, s3
; %bb.55:
	v_and_b32_e32 v72, 0xffff, v81
	v_or_b32_e32 v82, 0x10000, v81
	s_delay_alu instid0(VALU_DEP_2) | instskip(NEXT) | instid1(VALU_DEP_2)
	v_cmp_eq_u32_e32 vcc_lo, 0, v72
	v_cndmask_b32_e32 v72, v82, v81, vcc_lo
; %bb.56:
	s_or_b32 exec_lo, exec_lo, s3
	v_and_b32_e32 v81, 0x7f800000, v83
	s_delay_alu instid0(VALU_DEP_1) | instskip(SKIP_1) | instid1(SALU_CYCLE_1)
	v_cmp_ne_u32_e32 vcc_lo, 0x7f800000, v81
                                        ; implicit-def: $vgpr81
	s_and_saveexec_b32 s3, vcc_lo
	s_xor_b32 s3, exec_lo, s3
; %bb.57:
	v_bfe_u32 v81, v83, 16, 1
	s_delay_alu instid0(VALU_DEP_1)
	v_add3_u32 v81, v83, v81, 0x7fff
                                        ; implicit-def: $vgpr83
; %bb.58:
	s_and_not1_saveexec_b32 s3, s3
; %bb.59:
	v_and_b32_e32 v81, 0xffff, v83
	v_or_b32_e32 v82, 0x10000, v83
	s_delay_alu instid0(VALU_DEP_2) | instskip(NEXT) | instid1(VALU_DEP_2)
	v_cmp_eq_u32_e32 vcc_lo, 0, v81
	v_cndmask_b32_e32 v81, v82, v83, vcc_lo
; %bb.60:
	s_or_b32 exec_lo, exec_lo, s3
	v_and_b32_e32 v82, 0x7f800000, v77
	s_delay_alu instid0(VALU_DEP_1) | instskip(SKIP_1) | instid1(SALU_CYCLE_1)
	v_cmp_ne_u32_e32 vcc_lo, 0x7f800000, v82
                                        ; implicit-def: $vgpr82
	s_and_saveexec_b32 s3, vcc_lo
	s_xor_b32 s3, exec_lo, s3
; %bb.61:
	v_bfe_u32 v82, v77, 16, 1
	s_delay_alu instid0(VALU_DEP_1)
	v_add3_u32 v82, v77, v82, 0x7fff
                                        ; implicit-def: $vgpr77
; %bb.62:
	s_and_not1_saveexec_b32 s3, s3
; %bb.63:
	v_and_b32_e32 v82, 0xffff, v77
	v_or_b32_e32 v83, 0x10000, v77
	s_delay_alu instid0(VALU_DEP_2) | instskip(NEXT) | instid1(VALU_DEP_2)
	v_cmp_eq_u32_e32 vcc_lo, 0, v82
	v_cndmask_b32_e32 v82, v83, v77, vcc_lo
; %bb.64:
	s_or_b32 exec_lo, exec_lo, s3
	v_and_b32_e32 v77, 0x7f800000, v78
	s_delay_alu instid0(VALU_DEP_1) | instskip(SKIP_1) | instid1(SALU_CYCLE_1)
	v_cmp_ne_u32_e32 vcc_lo, 0x7f800000, v77
                                        ; implicit-def: $vgpr77
	s_and_saveexec_b32 s3, vcc_lo
	s_xor_b32 s3, exec_lo, s3
; %bb.65:
	v_bfe_u32 v77, v78, 16, 1
	s_delay_alu instid0(VALU_DEP_1)
	v_add3_u32 v77, v78, v77, 0x7fff
                                        ; implicit-def: $vgpr78
; %bb.66:
	s_and_not1_saveexec_b32 s3, s3
; %bb.67:
	v_and_b32_e32 v77, 0xffff, v78
	v_or_b32_e32 v83, 0x10000, v78
	s_delay_alu instid0(VALU_DEP_2) | instskip(NEXT) | instid1(VALU_DEP_2)
	v_cmp_eq_u32_e32 vcc_lo, 0, v77
	v_cndmask_b32_e32 v77, v83, v78, vcc_lo
; %bb.68:
	s_or_b32 exec_lo, exec_lo, s3
	v_and_b32_e32 v78, 0x7f800000, v79
	s_delay_alu instid0(VALU_DEP_1) | instskip(SKIP_1) | instid1(SALU_CYCLE_1)
	v_cmp_ne_u32_e32 vcc_lo, 0x7f800000, v78
                                        ; implicit-def: $vgpr78
	s_and_saveexec_b32 s3, vcc_lo
	s_xor_b32 s3, exec_lo, s3
; %bb.69:
	v_bfe_u32 v78, v79, 16, 1
	s_delay_alu instid0(VALU_DEP_1)
	v_add3_u32 v78, v79, v78, 0x7fff
                                        ; implicit-def: $vgpr79
; %bb.70:
	s_and_not1_saveexec_b32 s3, s3
; %bb.71:
	v_and_b32_e32 v78, 0xffff, v79
	v_or_b32_e32 v83, 0x10000, v79
	s_delay_alu instid0(VALU_DEP_2) | instskip(NEXT) | instid1(VALU_DEP_2)
	v_cmp_eq_u32_e32 vcc_lo, 0, v78
	v_cndmask_b32_e32 v78, v83, v79, vcc_lo
; %bb.72:
	s_or_b32 exec_lo, exec_lo, s3
	v_and_b32_e32 v79, 0x7f800000, v70
	s_delay_alu instid0(VALU_DEP_1) | instskip(SKIP_1) | instid1(SALU_CYCLE_1)
	v_cmp_ne_u32_e32 vcc_lo, 0x7f800000, v79
                                        ; implicit-def: $vgpr79
	s_and_saveexec_b32 s3, vcc_lo
	s_xor_b32 s3, exec_lo, s3
; %bb.73:
	v_bfe_u32 v79, v70, 16, 1
	s_delay_alu instid0(VALU_DEP_1)
	v_add3_u32 v79, v70, v79, 0x7fff
                                        ; implicit-def: $vgpr70
; %bb.74:
	s_and_not1_saveexec_b32 s3, s3
; %bb.75:
	v_and_b32_e32 v79, 0xffff, v70
	v_or_b32_e32 v83, 0x10000, v70
	s_delay_alu instid0(VALU_DEP_2) | instskip(NEXT) | instid1(VALU_DEP_2)
	v_cmp_eq_u32_e32 vcc_lo, 0, v79
	v_cndmask_b32_e32 v79, v83, v70, vcc_lo
; %bb.76:
	s_or_b32 exec_lo, exec_lo, s3
	s_delay_alu instid0(VALU_DEP_1)
	v_perm_b32 v86, v79, v78, 0x7060302
	v_perm_b32 v85, v77, v82, 0x7060302
	;; [unrolled: 1-line block ×4, first 2 shown]
	v_lshl_or_b32 v82, v66, 11, v80
	ds_store_b128 v76, v[83:86] offset:1024
	s_waitcnt lgkmcnt(0)
	s_barrier
	buffer_gl0_inv
	ds_load_b128 v[69:72], v82
	ds_load_b128 v[83:86], v82 offset:16
	s_waitcnt lgkmcnt(1)
	v_lshrrev_b32_e32 v66, 16, v69
	s_waitcnt lgkmcnt(0)
	v_lshrrev_b32_e32 v91, 16, v83
	v_lshlrev_b32_e32 v78, 2, v74
	v_lshrrev_b32_e32 v95, 16, v70
	v_lshrrev_b32_e32 v98, 16, v84
	;; [unrolled: 1-line block ×4, first 2 shown]
	v_cmp_eq_u32_e32 vcc_lo, 1, v78
	v_lshrrev_b32_e32 v97, 16, v72
	v_lshrrev_b32_e32 v100, 16, v86
	v_cndmask_b32_e32 v87, v83, v91, vcc_lo
	v_or_b32_e32 v79, 1, v78
	v_cndmask_b32_e32 v81, v69, v66, vcc_lo
	v_cmp_eq_u32_e64 s4, 2, v78
	v_cmp_eq_u32_e64 s7, 3, v78
	;; [unrolled: 1-line block ×5, first 2 shown]
	v_cndmask_b32_e64 v81, v81, v70, s4
	v_cndmask_b32_e64 v87, v87, v84, s4
	v_cmp_eq_u32_e64 s8, 3, v79
	v_cndmask_b32_e64 v88, v69, v66, s3
	v_or_b32_e32 v77, 2, v78
	v_cndmask_b32_e64 v81, v81, v95, s7
	v_cndmask_b32_e64 v87, v87, v98, s7
	;; [unrolled: 1-line block ×4, first 2 shown]
	v_cmp_eq_u32_e64 s10, 5, v78
	v_cndmask_b32_e64 v81, v81, v71, s9
	v_cndmask_b32_e64 v87, v87, v85, s9
	v_cmp_eq_u32_e64 s11, 4, v79
	v_cndmask_b32_e64 v88, v88, v95, s8
	v_cmp_eq_u32_e64 s5, 1, v77
	v_cndmask_b32_e64 v89, v89, v84, s6
	v_cndmask_b32_e64 v81, v81, v96, s10
	v_cmp_eq_u32_e64 s12, 6, v78
	v_cndmask_b32_e64 v88, v88, v71, s11
	;; [unrolled: 3-line block ×3, first 2 shown]
	v_cndmask_b32_e64 v89, v89, v98, s8
	v_cndmask_b32_e64 v81, v81, v72, s12
	v_cmp_eq_u32_e64 s15, 7, v78
	v_cndmask_b32_e64 v88, v88, v96, s13
	v_cndmask_b32_e64 v87, v87, v86, s12
	v_cmp_eq_u32_e64 s16, 6, v79
	v_cmp_eq_u32_e64 s17, 2, v77
	v_cndmask_b32_e64 v89, v89, v85, s11
	v_cndmask_b32_e64 v101, v81, v97, s15
	;; [unrolled: 1-line block ×6, first 2 shown]
	v_cmp_eq_u32_e64 s18, 7, v79
	v_cmp_eq_u32_e64 s19, 3, v77
	;; [unrolled: 1-line block ×4, first 2 shown]
	v_cndmask_b32_e64 v87, v87, v84, s17
	v_cndmask_b32_e64 v103, v88, v97, s18
	;; [unrolled: 1-line block ×4, first 2 shown]
	v_or_b32_e32 v81, 3, v78
	v_cndmask_b32_e64 v93, v87, v98, s19
	v_cmp_eq_u32_e64 s24, 6, v77
	v_cndmask_b32_e64 v104, v88, v86, s16
	v_cndmask_b32_e64 v92, v89, v71, s20
	v_cmp_eq_u32_e64 s21, 1, v81
	ds_load_b128 v[87:90], v82 offset:1024
	v_cmp_eq_u32_e64 s23, 2, v81
	v_cmp_eq_u32_e64 s25, 3, v81
	v_cndmask_b32_e64 v105, v92, v96, s22
	v_cndmask_b32_e64 v66, v69, v66, s21
	;; [unrolled: 1-line block ×4, first 2 shown]
	ds_load_b128 v[91:94], v82 offset:1040
	v_cmp_eq_u32_e64 s26, 4, v81
	v_cndmask_b32_e64 v66, v66, v70, s23
	v_cmp_eq_u32_e64 s27, 7, v77
	v_cndmask_b32_e64 v70, v83, v84, s23
	v_cndmask_b32_e64 v84, v105, v72, s24
	v_cmp_eq_u32_e64 s28, 5, v81
	v_cndmask_b32_e64 v66, v66, v95, s25
	v_cmp_eq_u32_e64 s29, 6, v81
	v_cndmask_b32_e64 v70, v70, v98, s25
	v_cndmask_b32_e64 v69, v69, v99, s22
	;; [unrolled: 1-line block ×4, first 2 shown]
	s_waitcnt lgkmcnt(1)
	v_lshrrev_b32_e32 v95, 16, v87
	v_cndmask_b32_e64 v70, v70, v85, s26
	v_cndmask_b32_e64 v71, v84, v97, s27
	;; [unrolled: 1-line block ×4, first 2 shown]
	v_cndmask_b32_e32 v84, v87, v95, vcc_lo
	v_cndmask_b32_e64 v70, v70, v99, s28
	s_waitcnt lgkmcnt(0)
	v_lshrrev_b32_e32 v85, 16, v91
	v_lshrrev_b32_e32 v96, 16, v88
	v_cndmask_b32_e64 v98, v87, v95, s3
	v_cndmask_b32_e64 v84, v84, v88, s4
	;; [unrolled: 1-line block ×3, first 2 shown]
	v_cndmask_b32_e32 v99, v91, v85, vcc_lo
	v_cmp_eq_u32_e32 vcc_lo, 7, v81
	v_cndmask_b32_e64 v66, v66, v72, s29
	v_cndmask_b32_e64 v72, v84, v96, s7
	;; [unrolled: 1-line block ×3, first 2 shown]
	v_lshrrev_b32_e32 v98, 16, v92
	v_cndmask_b32_e32 v70, v70, v100, vcc_lo
	v_cndmask_b32_e64 v86, v99, v92, s4
	v_cndmask_b32_e64 v69, v69, v100, s27
	v_lshrrev_b32_e32 v100, 16, v93
	v_cndmask_b32_e64 v72, v72, v89, s9
	v_lshrrev_b32_e32 v99, 16, v89
	v_cndmask_b32_e64 v86, v86, v98, s7
	v_perm_b32 v71, v69, v71, 0x5040100
	v_cndmask_b32_e64 v84, v84, v96, s8
	s_delay_alu instid0(VALU_DEP_3) | instskip(NEXT) | instid1(VALU_DEP_2)
	v_cndmask_b32_e64 v86, v86, v93, s9
	v_cndmask_b32_e64 v84, v84, v89, s11
	s_delay_alu instid0(VALU_DEP_2) | instskip(NEXT) | instid1(VALU_DEP_1)
	v_cndmask_b32_e64 v86, v86, v100, s10
	v_cndmask_b32_e64 v69, v86, v94, s12
	v_cndmask_b32_e64 v86, v87, v95, s5
	v_cndmask_b32_e64 v87, v87, v95, s21
	v_cndmask_b32_e64 v95, v91, v85, s21
	s_delay_alu instid0(VALU_DEP_3) | instskip(NEXT) | instid1(VALU_DEP_3)
	v_cndmask_b32_e64 v86, v86, v88, s17
	v_cndmask_b32_e64 v87, v87, v88, s23
	s_delay_alu instid0(VALU_DEP_3) | instskip(NEXT) | instid1(VALU_DEP_3)
	v_cndmask_b32_e64 v88, v95, v92, s23
	v_cndmask_b32_e64 v86, v86, v96, s19
	;; [unrolled: 3-line block ×7, first 2 shown]
	s_delay_alu instid0(VALU_DEP_3) | instskip(SKIP_2) | instid1(VALU_DEP_2)
	v_cndmask_b32_e64 v88, v88, v94, s29
	v_cndmask_b32_e32 v66, v66, v97, vcc_lo
	v_cndmask_b32_e64 v97, v72, v99, s10
	v_perm_b32 v72, v70, v66, 0x5040100
	v_perm_b32 v70, v83, v103, 0x5040100
	v_cndmask_b32_e64 v103, v91, v85, s5
	v_cndmask_b32_e64 v85, v91, v85, s3
	;; [unrolled: 1-line block ×4, first 2 shown]
	v_lshrrev_b32_e32 v97, 16, v90
	v_cndmask_b32_e64 v91, v103, v92, s17
	v_cndmask_b32_e64 v85, v85, v92, s6
	;; [unrolled: 1-line block ×3, first 2 shown]
	s_mov_b32 s3, exec_lo
	v_cndmask_b32_e64 v83, v84, v97, s15
	v_cndmask_b32_e64 v91, v91, v98, s19
	;; [unrolled: 1-line block ×3, first 2 shown]
	v_lshrrev_b32_e32 v84, 16, v94
	v_cndmask_b32_e64 v66, v66, v97, s18
	v_cndmask_b32_e64 v90, v86, v97, s27
	;; [unrolled: 1-line block ×4, first 2 shown]
	v_dual_cndmask_b32 v86, v87, v97 :: v_dual_cndmask_b32 v87, v88, v84
	v_cndmask_b32_e64 v91, v69, v84, s15
	s_delay_alu instid0(VALU_DEP_4) | instskip(NEXT) | instid1(VALU_DEP_4)
	v_cndmask_b32_e64 v89, v89, v100, s22
	v_cndmask_b32_e64 v85, v85, v100, s13
	v_perm_b32 v69, v102, v101, 0x5040100
	v_perm_b32 v86, v87, v86, 0x5040100
	;; [unrolled: 1-line block ×3, first 2 shown]
	v_cndmask_b32_e64 v89, v89, v94, s24
	v_cndmask_b32_e64 v85, v85, v94, s16
	s_mul_i32 s8, s35, 13
	s_delay_alu instid0(VALU_DEP_2) | instskip(NEXT) | instid1(VALU_DEP_2)
	v_cndmask_b32_e64 v88, v89, v84, s27
	v_cndmask_b32_e64 v89, v85, v84, s18
	s_delay_alu instid0(VALU_DEP_2) | instskip(NEXT) | instid1(VALU_DEP_2)
	v_perm_b32 v85, v88, v90, 0x5040100
	v_perm_b32 v84, v89, v66, 0x5040100
	ds_store_b128 v76, v[69:72]
	ds_store_b128 v76, v[83:86] offset:1024
	v_cmpx_gt_u32_e32 13, v0
	s_cbranch_execz .LBB1538_78
; %bb.77:
	s_mul_i32 s4, s8, s30
	s_delay_alu instid0(SALU_CYCLE_1) | instskip(SKIP_1) | instid1(VALU_DEP_1)
	v_add3_u32 v69, s4, s31, v65
	s_load_b128 s[4:7], s[0:1], 0x58
	v_mad_u64_u32 v[65:66], null, v69, s34, s[14:15]
	s_delay_alu instid0(VALU_DEP_1) | instskip(NEXT) | instid1(VALU_DEP_1)
	v_ashrrev_i32_e32 v66, 31, v65
	v_lshlrev_b64 v[65:66], 2, v[65:66]
	s_waitcnt lgkmcnt(0)
	s_delay_alu instid0(VALU_DEP_1) | instskip(NEXT) | instid1(VALU_DEP_2)
	v_add_co_u32 v69, vcc_lo, s6, v65
	v_add_co_ci_u32_e32 v70, vcc_lo, s7, v66, vcc_lo
	v_add_co_u32 v65, vcc_lo, s4, v65
	v_add_co_ci_u32_e32 v66, vcc_lo, s5, v66, vcc_lo
	global_store_b32 v[69:70], v67, off
	global_store_b32 v[65:66], v68, off
.LBB1538_78:
	s_or_b32 exec_lo, exec_lo, s3
	s_waitcnt lgkmcnt(0)
	s_waitcnt_vscnt null, 0x0
	s_barrier
	buffer_gl0_inv
	ds_load_b128 v[83:86], v80
	ds_load_b128 v[87:90], v80 offset:16
	ds_load_b128 v[95:98], v80 offset:2064
	;; [unrolled: 1-line block ×3, first 2 shown]
	v_mov_b32_e32 v65, 0
	ds_load_b128 v[103:106], v80 offset:4112
	ds_load_b128 v[99:102], v80 offset:4096
	;; [unrolled: 1-line block ×4, first 2 shown]
	v_mov_b32_e32 v66, v65
	v_mov_b32_e32 v67, v65
	;; [unrolled: 1-line block ×7, first 2 shown]
	s_waitcnt lgkmcnt(6)
	s_delay_alu instid0(VALU_DEP_1)
	v_wmma_f32_16x16x16_bf16 v[65:72], v[49:56], v[83:90], v[65:72]
	ds_load_b128 v[53:56], v80 offset:8208
	ds_load_b128 v[49:52], v80 offset:8192
	s_waitcnt lgkmcnt(6)
	v_wmma_f32_16x16x16_bf16 v[65:72], v[41:48], v[91:98], v[65:72]
	ds_load_b128 v[45:48], v80 offset:10256
	ds_load_b128 v[41:44], v80 offset:10240
	s_waitcnt lgkmcnt(6)
	;; [unrolled: 4-line block ×4, first 2 shown]
	v_wmma_f32_16x16x16_bf16 v[65:72], v[1:8], v[49:56], v[65:72]
	s_waitcnt lgkmcnt(4)
	s_delay_alu instid0(VALU_DEP_1) | instskip(SKIP_1) | instid1(VALU_DEP_1)
	v_wmma_f32_16x16x16_bf16 v[65:72], v[9:16], v[41:48], v[65:72]
	s_waitcnt lgkmcnt(2)
	v_wmma_f32_16x16x16_bf16 v[65:72], v[17:24], v[33:40], v[65:72]
	s_waitcnt lgkmcnt(0)
	s_delay_alu instid0(VALU_DEP_1) | instskip(NEXT) | instid1(VALU_DEP_1)
	v_wmma_f32_16x16x16_bf16 v[65:72], v[57:64], v[25:32], v[65:72]
	v_and_b32_e32 v1, 0x7f800000, v65
	s_delay_alu instid0(VALU_DEP_1) | instskip(SKIP_1) | instid1(SALU_CYCLE_1)
	v_cmp_ne_u32_e32 vcc_lo, 0x7f800000, v1
                                        ; implicit-def: $vgpr1
	s_and_saveexec_b32 s3, vcc_lo
	s_xor_b32 s3, exec_lo, s3
; %bb.79:
	v_bfe_u32 v1, v65, 16, 1
	s_delay_alu instid0(VALU_DEP_1)
	v_add3_u32 v1, v65, v1, 0x7fff
; %bb.80:
	s_and_not1_saveexec_b32 s3, s3
; %bb.81:
	v_and_b32_e32 v1, 0xffff, v65
	v_or_b32_e32 v2, 0x10000, v65
	s_delay_alu instid0(VALU_DEP_2) | instskip(NEXT) | instid1(VALU_DEP_2)
	v_cmp_eq_u32_e32 vcc_lo, 0, v1
	v_cndmask_b32_e32 v1, v2, v65, vcc_lo
; %bb.82:
	s_or_b32 exec_lo, exec_lo, s3
	v_and_b32_e32 v2, 0x7f800000, v66
	s_delay_alu instid0(VALU_DEP_1) | instskip(SKIP_1) | instid1(SALU_CYCLE_1)
	v_cmp_ne_u32_e32 vcc_lo, 0x7f800000, v2
                                        ; implicit-def: $vgpr2
	s_and_saveexec_b32 s3, vcc_lo
	s_xor_b32 s3, exec_lo, s3
; %bb.83:
	v_bfe_u32 v2, v66, 16, 1
	s_delay_alu instid0(VALU_DEP_1)
	v_add3_u32 v2, v66, v2, 0x7fff
; %bb.84:
	s_and_not1_saveexec_b32 s3, s3
; %bb.85:
	v_and_b32_e32 v2, 0xffff, v66
	v_or_b32_e32 v3, 0x10000, v66
	s_delay_alu instid0(VALU_DEP_2) | instskip(NEXT) | instid1(VALU_DEP_2)
	v_cmp_eq_u32_e32 vcc_lo, 0, v2
	v_cndmask_b32_e32 v2, v3, v66, vcc_lo
; %bb.86:
	s_or_b32 exec_lo, exec_lo, s3
	v_and_b32_e32 v3, 0x7f800000, v67
	s_delay_alu instid0(VALU_DEP_1) | instskip(SKIP_1) | instid1(SALU_CYCLE_1)
	v_cmp_ne_u32_e32 vcc_lo, 0x7f800000, v3
                                        ; implicit-def: $vgpr3
	s_and_saveexec_b32 s3, vcc_lo
	s_xor_b32 s3, exec_lo, s3
; %bb.87:
	v_bfe_u32 v3, v67, 16, 1
	s_delay_alu instid0(VALU_DEP_1)
	v_add3_u32 v3, v67, v3, 0x7fff
; %bb.88:
	s_and_not1_saveexec_b32 s3, s3
; %bb.89:
	v_and_b32_e32 v3, 0xffff, v67
	v_or_b32_e32 v4, 0x10000, v67
	s_delay_alu instid0(VALU_DEP_2) | instskip(NEXT) | instid1(VALU_DEP_2)
	v_cmp_eq_u32_e32 vcc_lo, 0, v3
	v_cndmask_b32_e32 v3, v4, v67, vcc_lo
; %bb.90:
	s_or_b32 exec_lo, exec_lo, s3
	v_and_b32_e32 v4, 0x7f800000, v68
	s_delay_alu instid0(VALU_DEP_1) | instskip(SKIP_1) | instid1(SALU_CYCLE_1)
	v_cmp_ne_u32_e32 vcc_lo, 0x7f800000, v4
                                        ; implicit-def: $vgpr4
	s_and_saveexec_b32 s3, vcc_lo
	s_xor_b32 s3, exec_lo, s3
; %bb.91:
	v_bfe_u32 v4, v68, 16, 1
	s_delay_alu instid0(VALU_DEP_1)
	v_add3_u32 v4, v68, v4, 0x7fff
; %bb.92:
	s_and_not1_saveexec_b32 s3, s3
; %bb.93:
	v_and_b32_e32 v4, 0xffff, v68
	v_or_b32_e32 v5, 0x10000, v68
	s_delay_alu instid0(VALU_DEP_2) | instskip(NEXT) | instid1(VALU_DEP_2)
	v_cmp_eq_u32_e32 vcc_lo, 0, v4
	v_cndmask_b32_e32 v4, v5, v68, vcc_lo
; %bb.94:
	s_or_b32 exec_lo, exec_lo, s3
	v_and_b32_e32 v5, 0x7f800000, v69
	s_delay_alu instid0(VALU_DEP_1) | instskip(SKIP_1) | instid1(SALU_CYCLE_1)
	v_cmp_ne_u32_e32 vcc_lo, 0x7f800000, v5
                                        ; implicit-def: $vgpr5
	s_and_saveexec_b32 s3, vcc_lo
	s_xor_b32 s3, exec_lo, s3
; %bb.95:
	v_bfe_u32 v5, v69, 16, 1
	s_delay_alu instid0(VALU_DEP_1)
	v_add3_u32 v5, v69, v5, 0x7fff
; %bb.96:
	s_and_not1_saveexec_b32 s3, s3
; %bb.97:
	v_and_b32_e32 v5, 0xffff, v69
	v_or_b32_e32 v6, 0x10000, v69
	s_delay_alu instid0(VALU_DEP_2) | instskip(NEXT) | instid1(VALU_DEP_2)
	v_cmp_eq_u32_e32 vcc_lo, 0, v5
	v_cndmask_b32_e32 v5, v6, v69, vcc_lo
; %bb.98:
	s_or_b32 exec_lo, exec_lo, s3
	v_and_b32_e32 v6, 0x7f800000, v70
	s_delay_alu instid0(VALU_DEP_1) | instskip(SKIP_1) | instid1(SALU_CYCLE_1)
	v_cmp_ne_u32_e32 vcc_lo, 0x7f800000, v6
                                        ; implicit-def: $vgpr6
	s_and_saveexec_b32 s3, vcc_lo
	s_xor_b32 s3, exec_lo, s3
; %bb.99:
	v_bfe_u32 v6, v70, 16, 1
	s_delay_alu instid0(VALU_DEP_1)
	v_add3_u32 v6, v70, v6, 0x7fff
; %bb.100:
	s_and_not1_saveexec_b32 s3, s3
; %bb.101:
	v_and_b32_e32 v6, 0xffff, v70
	v_or_b32_e32 v7, 0x10000, v70
	s_delay_alu instid0(VALU_DEP_2) | instskip(NEXT) | instid1(VALU_DEP_2)
	v_cmp_eq_u32_e32 vcc_lo, 0, v6
	v_cndmask_b32_e32 v6, v7, v70, vcc_lo
; %bb.102:
	s_or_b32 exec_lo, exec_lo, s3
	v_and_b32_e32 v7, 0x7f800000, v71
	s_delay_alu instid0(VALU_DEP_1) | instskip(SKIP_1) | instid1(SALU_CYCLE_1)
	v_cmp_ne_u32_e32 vcc_lo, 0x7f800000, v7
                                        ; implicit-def: $vgpr7
	s_and_saveexec_b32 s3, vcc_lo
	s_xor_b32 s3, exec_lo, s3
; %bb.103:
	v_bfe_u32 v7, v71, 16, 1
	s_delay_alu instid0(VALU_DEP_1)
	v_add3_u32 v7, v71, v7, 0x7fff
; %bb.104:
	s_and_not1_saveexec_b32 s3, s3
; %bb.105:
	v_and_b32_e32 v7, 0xffff, v71
	v_or_b32_e32 v8, 0x10000, v71
	s_delay_alu instid0(VALU_DEP_2) | instskip(NEXT) | instid1(VALU_DEP_2)
	v_cmp_eq_u32_e32 vcc_lo, 0, v7
	v_cndmask_b32_e32 v7, v8, v71, vcc_lo
; %bb.106:
	s_or_b32 exec_lo, exec_lo, s3
	v_and_b32_e32 v8, 0x7f800000, v72
	s_delay_alu instid0(VALU_DEP_1) | instskip(SKIP_1) | instid1(SALU_CYCLE_1)
	v_cmp_ne_u32_e32 vcc_lo, 0x7f800000, v8
                                        ; implicit-def: $vgpr8
	s_and_saveexec_b32 s3, vcc_lo
	s_xor_b32 s3, exec_lo, s3
; %bb.107:
	v_bfe_u32 v8, v72, 16, 1
	s_delay_alu instid0(VALU_DEP_1)
	v_add3_u32 v8, v72, v8, 0x7fff
                                        ; implicit-def: $vgpr65_vgpr66_vgpr67_vgpr68_vgpr69_vgpr70_vgpr71_vgpr72
; %bb.108:
	s_and_not1_saveexec_b32 s3, s3
; %bb.109:
	v_and_b32_e32 v8, 0xffff, v72
	v_or_b32_e32 v9, 0x10000, v72
	s_delay_alu instid0(VALU_DEP_2) | instskip(NEXT) | instid1(VALU_DEP_2)
	v_cmp_eq_u32_e32 vcc_lo, 0, v8
	v_cndmask_b32_e32 v8, v9, v72, vcc_lo
; %bb.110:
	s_or_b32 exec_lo, exec_lo, s3
	s_delay_alu instid0(VALU_DEP_1)
	v_perm_b32 v7, v8, v7, 0x7060302
	v_perm_b32 v6, v6, v5, 0x7060302
	;; [unrolled: 1-line block ×4, first 2 shown]
	s_barrier
	buffer_gl0_inv
	v_cmp_eq_u32_e32 vcc_lo, 1, v78
	ds_store_b128 v76, v[4:7]
	s_waitcnt lgkmcnt(0)
	s_barrier
	buffer_gl0_inv
	ds_load_b128 v[1:4], v82
	ds_load_b128 v[5:8], v82 offset:16
	v_cmp_eq_u32_e64 s3, 1, v79
	v_cmp_eq_u32_e64 s4, 2, v78
	;; [unrolled: 1-line block ×5, first 2 shown]
	s_waitcnt lgkmcnt(1)
	v_lshrrev_b32_e32 v9, 16, v1
	s_waitcnt lgkmcnt(0)
	v_lshrrev_b32_e32 v13, 16, v5
	v_lshrrev_b32_e32 v10, 16, v2
	;; [unrolled: 1-line block ×4, first 2 shown]
	v_cndmask_b32_e64 v19, v1, v9, s3
	v_cndmask_b32_e32 v18, v5, v13, vcc_lo
	v_cndmask_b32_e64 v20, v5, v13, s3
	v_cndmask_b32_e32 v17, v1, v9, vcc_lo
	v_cmp_eq_u32_e32 vcc_lo, 2, v79
	v_lshrrev_b32_e32 v15, 16, v7
	v_cmp_eq_u32_e64 s3, 1, v77
	v_lshrrev_b32_e32 v12, 16, v4
	v_lshrrev_b32_e32 v16, 16, v8
	v_cndmask_b32_e32 v20, v20, v6, vcc_lo
	v_cndmask_b32_e64 v17, v17, v2, s4
	v_cndmask_b32_e32 v19, v19, v2, vcc_lo
	v_cndmask_b32_e64 v18, v18, v6, s4
	v_cmp_eq_u32_e32 vcc_lo, 4, v78
	v_cmp_eq_u32_e64 s4, 3, v79
	v_cndmask_b32_e64 v17, v17, v10, s5
	v_cndmask_b32_e64 v21, v1, v9, s3
	;; [unrolled: 1-line block ×5, first 2 shown]
	v_cndmask_b32_e32 v17, v17, v3, vcc_lo
	v_cndmask_b32_e64 v20, v20, v14, s4
	v_cndmask_b32_e32 v18, v18, v7, vcc_lo
	v_cmp_eq_u32_e32 vcc_lo, 4, v79
	v_cmp_eq_u32_e64 s4, 5, v79
	v_cmp_eq_u32_e64 s3, 2, v81
	v_cndmask_b32_e64 v21, v21, v2, s7
	v_cmp_eq_u32_e64 s5, 5, v78
	v_cndmask_b32_e32 v19, v19, v3, vcc_lo
	v_cndmask_b32_e32 v20, v20, v7, vcc_lo
	v_cmp_eq_u32_e32 vcc_lo, 6, v79
	s_delay_alu instid0(VALU_DEP_4) | instskip(NEXT) | instid1(VALU_DEP_4)
	v_cndmask_b32_e64 v17, v17, v11, s5
	v_cndmask_b32_e64 v19, v19, v11, s4
	s_delay_alu instid0(VALU_DEP_4) | instskip(SKIP_1) | instid1(VALU_DEP_3)
	v_cndmask_b32_e64 v20, v20, v15, s4
	v_cmp_eq_u32_e64 s4, 1, v81
	v_cndmask_b32_e32 v19, v19, v4, vcc_lo
	v_cndmask_b32_e64 v18, v18, v15, s5
	s_delay_alu instid0(VALU_DEP_3)
	v_cndmask_b32_e64 v1, v1, v9, s4
	v_cndmask_b32_e64 v5, v5, v13, s4
	v_cmp_eq_u32_e64 s4, 3, v77
	v_cndmask_b32_e64 v13, v22, v6, s7
	v_cmp_eq_u32_e64 s7, 3, v81
	v_cndmask_b32_e64 v1, v1, v2, s3
	v_cndmask_b32_e64 v2, v5, v6, s3
	;; [unrolled: 1-line block ×3, first 2 shown]
	v_cmp_eq_u32_e64 s3, 4, v77
	v_cndmask_b32_e64 v6, v13, v14, s4
	v_cndmask_b32_e64 v1, v1, v10, s7
	v_cmp_eq_u32_e64 s4, 4, v81
	v_cndmask_b32_e64 v2, v2, v14, s7
	v_cndmask_b32_e64 v5, v9, v3, s3
	;; [unrolled: 3-line block ×3, first 2 shown]
	v_cndmask_b32_e64 v2, v2, v7, s4
	v_cmp_eq_u32_e64 s3, 5, v81
	v_cmp_eq_u32_e64 s5, 6, v78
	v_cndmask_b32_e64 v5, v5, v11, s7
	v_cmp_eq_u32_e64 s4, 6, v77
	v_cndmask_b32_e64 v3, v6, v15, s7
	v_cndmask_b32_e64 v1, v1, v11, s3
	v_cmp_eq_u32_e64 s7, 6, v81
	v_cndmask_b32_e64 v2, v2, v15, s3
	v_cndmask_b32_e64 v17, v17, v4, s5
	v_cndmask_b32_e64 v18, v18, v8, s5
	v_cmp_eq_u32_e64 s5, 7, v78
	v_cndmask_b32_e64 v5, v5, v4, s4
	;; [unrolled: 4-line block ×3, first 2 shown]
	v_cmp_eq_u32_e64 s4, 7, v77
	v_cndmask_b32_e32 v4, v20, v8, vcc_lo
	v_cndmask_b32_e64 v17, v17, v12, s5
	v_cndmask_b32_e64 v19, v19, v12, s6
	;; [unrolled: 1-line block ×8, first 2 shown]
	s_mov_b32 s3, exec_lo
	v_perm_b32 v4, v2, v1, 0x5040100
	v_perm_b32 v3, v3, v5, 0x5040100
	;; [unrolled: 1-line block ×4, first 2 shown]
	ds_store_b128 v76, v[1:4]
	s_waitcnt lgkmcnt(0)
	s_barrier
	buffer_gl0_inv
	v_cmpx_gt_u32_e32 32, v0
	s_cbranch_execz .LBB1538_2
; %bb.111:
	s_load_b64 s[4:5], s[0:1], 0x68
	v_lshlrev_b32_e32 v0, 10, v0
	v_lshlrev_b32_e32 v1, 4, v75
	s_lshl_b32 s0, s34, 7
	v_add_nc_u32_e32 v18, s31, v74
	s_mul_i32 s1, s0, s30
	s_delay_alu instid0(VALU_DEP_2) | instskip(SKIP_1) | instid1(VALU_DEP_2)
	v_and_or_b32 v0, 0x3800, v0, v1
	s_mul_i32 s6, s1, s8
	v_mul_lo_u32 v1, v18, s0
	s_ashr_i32 s7, s6, 31
	v_add_nc_u32_e32 v2, 2, v18
	v_lshl_or_b32 v19, v74, 6, v0
	s_lshl_b64 s[6:7], s[6:7], 1
	v_add_nc_u32_e32 v8, 4, v18
	v_add_nc_u32_e32 v15, 6, v18
	v_mul_lo_u32 v7, v2, s0
	ds_load_b128 v[3:6], v19
	v_ashrrev_i32_e32 v2, 31, v1
	v_mul_lo_u32 v11, v8, s0
	s_waitcnt lgkmcnt(0)
	s_add_u32 s1, s4, s6
	s_addc_u32 s3, s5, s7
	s_lshl_b32 s4, s14, 7
	v_lshlrev_b64 v[9:10], 1, v[1:2]
	s_ashr_i32 s5, s4, 31
	v_ashrrev_i32_e32 v8, 31, v7
	s_lshl_b64 s[4:5], s[4:5], 1
	v_ashrrev_i32_e32 v12, 31, v11
	s_add_u32 s1, s1, s4
	s_addc_u32 s3, s3, s5
	v_add_co_u32 v1, s1, s1, v73
	s_delay_alu instid0(VALU_DEP_1) | instskip(SKIP_1) | instid1(VALU_DEP_3)
	v_add_co_ci_u32_e64 v2, null, s3, 0, s1
	v_mul_lo_u32 v15, v15, s0
	v_add_co_u32 v13, vcc_lo, v1, v9
	s_delay_alu instid0(VALU_DEP_3)
	v_add_co_ci_u32_e32 v14, vcc_lo, v2, v10, vcc_lo
	v_lshlrev_b64 v[16:17], 1, v[7:8]
	ds_load_b128 v[7:10], v19 offset:128
	global_store_b128 v[13:14], v[3:6], off
	v_add_nc_u32_e32 v5, 8, v18
	v_lshlrev_b64 v[3:4], 1, v[11:12]
	v_add_co_u32 v23, vcc_lo, v1, v16
	v_ashrrev_i32_e32 v16, 31, v15
	s_delay_alu instid0(VALU_DEP_4) | instskip(SKIP_3) | instid1(VALU_DEP_3)
	v_mul_lo_u32 v25, v5, s0
	v_add_nc_u32_e32 v5, 10, v18
	v_add_co_ci_u32_e32 v24, vcc_lo, v2, v17, vcc_lo
	v_add_co_u32 v27, vcc_lo, v1, v3
	v_mul_lo_u32 v29, v5, s0
	v_add_co_ci_u32_e32 v28, vcc_lo, v2, v4, vcc_lo
	v_lshlrev_b64 v[31:32], 1, v[15:16]
	ds_load_b128 v[3:6], v19 offset:256
	ds_load_b128 v[11:14], v19 offset:384
	;; [unrolled: 1-line block ×4, first 2 shown]
	v_ashrrev_i32_e32 v26, 31, v25
	v_ashrrev_i32_e32 v30, 31, v29
	v_add_co_u32 v31, vcc_lo, v1, v31
	s_delay_alu instid0(VALU_DEP_3) | instskip(SKIP_1) | instid1(VALU_DEP_4)
	v_lshlrev_b64 v[25:26], 1, v[25:26]
	v_add_co_ci_u32_e32 v32, vcc_lo, v2, v32, vcc_lo
	v_lshlrev_b64 v[29:30], 1, v[29:30]
	s_delay_alu instid0(VALU_DEP_3) | instskip(NEXT) | instid1(VALU_DEP_4)
	v_add_co_u32 v25, vcc_lo, v1, v25
	v_add_co_ci_u32_e32 v26, vcc_lo, v2, v26, vcc_lo
	s_delay_alu instid0(VALU_DEP_3) | instskip(NEXT) | instid1(VALU_DEP_4)
	v_add_co_u32 v29, vcc_lo, v1, v29
	v_add_co_ci_u32_e32 v30, vcc_lo, v2, v30, vcc_lo
	s_waitcnt lgkmcnt(4)
	global_store_b128 v[23:24], v[7:10], off
	s_waitcnt lgkmcnt(3)
	global_store_b128 v[27:28], v[3:6], off
	;; [unrolled: 2-line block ×5, first 2 shown]
	s_and_b32 exec_lo, exec_lo, s2
	s_cbranch_execz .LBB1538_2
; %bb.112:
	ds_load_b128 v[3:6], v0 offset:768
	s_add_i32 s1, s31, 12
	s_delay_alu instid0(SALU_CYCLE_1) | instskip(NEXT) | instid1(SALU_CYCLE_1)
	s_mul_i32 s0, s1, s0
	s_ashr_i32 s1, s0, 31
	s_delay_alu instid0(SALU_CYCLE_1) | instskip(NEXT) | instid1(SALU_CYCLE_1)
	s_lshl_b64 s[0:1], s[0:1], 1
	v_add_co_u32 v0, vcc_lo, v1, s0
	v_add_co_ci_u32_e32 v1, vcc_lo, s1, v2, vcc_lo
	s_waitcnt lgkmcnt(0)
	global_store_b128 v[0:1], v[3:6], off
	s_nop 0
	s_sendmsg sendmsg(MSG_DEALLOC_VGPRS)
	s_endpgm
	.section	.rodata,"a",@progbits
	.p2align	6, 0x0
	.amdhsa_kernel _Z39paged_attention_ll4mi_QKV_mfma16_kernelI14__hip_bfloat16hLN4vllm18Fp8KVCacheDataTypeE1EhLi16ELi128ELi256ELb0ELi13EL8MFMAType1EEvPKT_PKT0_S9_ifPKiSB_SB_iPKfiiiPfSE_PS4_PT2_iSD_SD_
		.amdhsa_group_segment_fixed_size 17472
		.amdhsa_private_segment_fixed_size 0
		.amdhsa_kernarg_size 400
		.amdhsa_user_sgpr_count 13
		.amdhsa_user_sgpr_dispatch_ptr 0
		.amdhsa_user_sgpr_queue_ptr 0
		.amdhsa_user_sgpr_kernarg_segment_ptr 1
		.amdhsa_user_sgpr_dispatch_id 0
		.amdhsa_user_sgpr_private_segment_size 0
		.amdhsa_wavefront_size32 1
		.amdhsa_uses_dynamic_stack 0
		.amdhsa_enable_private_segment 0
		.amdhsa_system_sgpr_workgroup_id_x 1
		.amdhsa_system_sgpr_workgroup_id_y 1
		.amdhsa_system_sgpr_workgroup_id_z 1
		.amdhsa_system_sgpr_workgroup_info 0
		.amdhsa_system_vgpr_workitem_id 0
		.amdhsa_next_free_vgpr 140
		.amdhsa_next_free_sgpr 36
		.amdhsa_reserve_vcc 1
		.amdhsa_float_round_mode_32 0
		.amdhsa_float_round_mode_16_64 0
		.amdhsa_float_denorm_mode_32 3
		.amdhsa_float_denorm_mode_16_64 3
		.amdhsa_dx10_clamp 1
		.amdhsa_ieee_mode 1
		.amdhsa_fp16_overflow 0
		.amdhsa_workgroup_processor_mode 1
		.amdhsa_memory_ordered 1
		.amdhsa_forward_progress 0
		.amdhsa_shared_vgpr_count 0
		.amdhsa_exception_fp_ieee_invalid_op 0
		.amdhsa_exception_fp_denorm_src 0
		.amdhsa_exception_fp_ieee_div_zero 0
		.amdhsa_exception_fp_ieee_overflow 0
		.amdhsa_exception_fp_ieee_underflow 0
		.amdhsa_exception_fp_ieee_inexact 0
		.amdhsa_exception_int_div_zero 0
	.end_amdhsa_kernel
	.section	.text._Z39paged_attention_ll4mi_QKV_mfma16_kernelI14__hip_bfloat16hLN4vllm18Fp8KVCacheDataTypeE1EhLi16ELi128ELi256ELb0ELi13EL8MFMAType1EEvPKT_PKT0_S9_ifPKiSB_SB_iPKfiiiPfSE_PS4_PT2_iSD_SD_,"axG",@progbits,_Z39paged_attention_ll4mi_QKV_mfma16_kernelI14__hip_bfloat16hLN4vllm18Fp8KVCacheDataTypeE1EhLi16ELi128ELi256ELb0ELi13EL8MFMAType1EEvPKT_PKT0_S9_ifPKiSB_SB_iPKfiiiPfSE_PS4_PT2_iSD_SD_,comdat
.Lfunc_end1538:
	.size	_Z39paged_attention_ll4mi_QKV_mfma16_kernelI14__hip_bfloat16hLN4vllm18Fp8KVCacheDataTypeE1EhLi16ELi128ELi256ELb0ELi13EL8MFMAType1EEvPKT_PKT0_S9_ifPKiSB_SB_iPKfiiiPfSE_PS4_PT2_iSD_SD_, .Lfunc_end1538-_Z39paged_attention_ll4mi_QKV_mfma16_kernelI14__hip_bfloat16hLN4vllm18Fp8KVCacheDataTypeE1EhLi16ELi128ELi256ELb0ELi13EL8MFMAType1EEvPKT_PKT0_S9_ifPKiSB_SB_iPKfiiiPfSE_PS4_PT2_iSD_SD_
                                        ; -- End function
	.section	.AMDGPU.csdata,"",@progbits
; Kernel info:
; codeLenInByte = 9056
; NumSgprs: 38
; NumVgprs: 140
; ScratchSize: 0
; MemoryBound: 0
; FloatMode: 240
; IeeeMode: 1
; LDSByteSize: 17472 bytes/workgroup (compile time only)
; SGPRBlocks: 4
; VGPRBlocks: 17
; NumSGPRsForWavesPerEU: 38
; NumVGPRsForWavesPerEU: 140
; Occupancy: 10
; WaveLimiterHint : 1
; COMPUTE_PGM_RSRC2:SCRATCH_EN: 0
; COMPUTE_PGM_RSRC2:USER_SGPR: 13
; COMPUTE_PGM_RSRC2:TRAP_HANDLER: 0
; COMPUTE_PGM_RSRC2:TGID_X_EN: 1
; COMPUTE_PGM_RSRC2:TGID_Y_EN: 1
; COMPUTE_PGM_RSRC2:TGID_Z_EN: 1
; COMPUTE_PGM_RSRC2:TIDIG_COMP_CNT: 0
	.section	.text._Z39paged_attention_ll4mi_QKV_mfma16_kernelI14__hip_bfloat16hLN4vllm18Fp8KVCacheDataTypeE1EhLi16ELi128ELi256ELb0ELi14EL8MFMAType1EEvPKT_PKT0_S9_ifPKiSB_SB_iPKfiiiPfSE_PS4_PT2_iSD_SD_,"axG",@progbits,_Z39paged_attention_ll4mi_QKV_mfma16_kernelI14__hip_bfloat16hLN4vllm18Fp8KVCacheDataTypeE1EhLi16ELi128ELi256ELb0ELi14EL8MFMAType1EEvPKT_PKT0_S9_ifPKiSB_SB_iPKfiiiPfSE_PS4_PT2_iSD_SD_,comdat
	.protected	_Z39paged_attention_ll4mi_QKV_mfma16_kernelI14__hip_bfloat16hLN4vllm18Fp8KVCacheDataTypeE1EhLi16ELi128ELi256ELb0ELi14EL8MFMAType1EEvPKT_PKT0_S9_ifPKiSB_SB_iPKfiiiPfSE_PS4_PT2_iSD_SD_ ; -- Begin function _Z39paged_attention_ll4mi_QKV_mfma16_kernelI14__hip_bfloat16hLN4vllm18Fp8KVCacheDataTypeE1EhLi16ELi128ELi256ELb0ELi14EL8MFMAType1EEvPKT_PKT0_S9_ifPKiSB_SB_iPKfiiiPfSE_PS4_PT2_iSD_SD_
	.globl	_Z39paged_attention_ll4mi_QKV_mfma16_kernelI14__hip_bfloat16hLN4vllm18Fp8KVCacheDataTypeE1EhLi16ELi128ELi256ELb0ELi14EL8MFMAType1EEvPKT_PKT0_S9_ifPKiSB_SB_iPKfiiiPfSE_PS4_PT2_iSD_SD_
	.p2align	8
	.type	_Z39paged_attention_ll4mi_QKV_mfma16_kernelI14__hip_bfloat16hLN4vllm18Fp8KVCacheDataTypeE1EhLi16ELi128ELi256ELb0ELi14EL8MFMAType1EEvPKT_PKT0_S9_ifPKiSB_SB_iPKfiiiPfSE_PS4_PT2_iSD_SD_,@function
_Z39paged_attention_ll4mi_QKV_mfma16_kernelI14__hip_bfloat16hLN4vllm18Fp8KVCacheDataTypeE1EhLi16ELi128ELi256ELb0ELi14EL8MFMAType1EEvPKT_PKT0_S9_ifPKiSB_SB_iPKfiiiPfSE_PS4_PT2_iSD_SD_: ; @_Z39paged_attention_ll4mi_QKV_mfma16_kernelI14__hip_bfloat16hLN4vllm18Fp8KVCacheDataTypeE1EhLi16ELi128ELi256ELb0ELi14EL8MFMAType1EEvPKT_PKT0_S9_ifPKiSB_SB_iPKfiiiPfSE_PS4_PT2_iSD_SD_
; %bb.0:
	s_load_b64 s[4:5], s[0:1], 0x30
	s_mov_b32 s30, s13
	s_waitcnt lgkmcnt(0)
	s_cmp_lg_u64 s[4:5], 0
	s_cselect_b32 s13, -1, 0
	s_ashr_i32 s31, s30, 31
	s_cmp_eq_u64 s[4:5], 0
	s_cbranch_scc1 .LBB1539_3
; %bb.1:
	s_lshl_b64 s[2:3], s[30:31], 2
	s_delay_alu instid0(SALU_CYCLE_1) | instskip(SKIP_4) | instid1(SALU_CYCLE_1)
	s_add_u32 s2, s4, s2
	s_addc_u32 s3, s5, s3
	s_load_b64 s[2:3], s[2:3], 0x0
	s_waitcnt lgkmcnt(0)
	s_sub_i32 s2, s3, s2
	s_cmp_eq_u32 s2, 1
	s_cselect_b32 s2, -1, 0
	s_delay_alu instid0(SALU_CYCLE_1)
	s_and_not1_b32 vcc_lo, exec_lo, s2
	s_cbranch_vccz .LBB1539_4
.LBB1539_2:
	s_endpgm
.LBB1539_3:
.LBB1539_4:
	s_load_b64 s[2:3], s[0:1], 0x28
	s_lshl_b64 s[6:7], s[30:31], 2
	s_waitcnt lgkmcnt(0)
	s_add_u32 s2, s2, s6
	s_addc_u32 s3, s3, s7
	s_lshl_b32 s12, s14, 8
	s_load_b32 s17, s[2:3], 0x0
	s_waitcnt lgkmcnt(0)
	s_cmp_ge_i32 s12, s17
	s_cbranch_scc1 .LBB1539_2
; %bb.5:
	s_clause 0x1
	s_load_b128 s[8:11], s[0:1], 0x8
	s_load_b64 s[2:3], s[0:1], 0x20
	s_and_not1_b32 vcc_lo, exec_lo, s13
	s_cbranch_vccnz .LBB1539_7
; %bb.6:
	s_add_u32 s4, s4, s6
	s_addc_u32 s5, s5, s7
	s_load_b32 s13, s[4:5], 0x0
	s_branch .LBB1539_8
.LBB1539_7:
	s_mov_b32 s13, s30
.LBB1539_8:
	s_load_b128 s[4:7], s[0:1], 0x48
	v_and_b32_e32 v65, 15, v0
	v_lshrrev_b32_e32 v66, 5, v0
	v_and_b32_e32 v67, 31, v0
	v_and_b32_e32 v75, 1, v0
	v_bfe_u32 v74, v0, 4, 1
	v_lshlrev_b32_e32 v1, 3, v65
	s_mul_i32 s29, s15, 14
	s_waitcnt lgkmcnt(0)
	s_mov_b32 s7, exec_lo
	s_delay_alu instid0(VALU_DEP_1)
	v_lshlrev_b32_e32 v73, 1, v1
	v_cmpx_gt_u32_e32 0xe0, v0
	s_cbranch_execz .LBB1539_10
; %bb.9:
	s_load_b64 s[18:19], s[0:1], 0x0
	v_lshl_or_b32 v5, v66, 1, v74
	s_mul_hi_i32 s21, s13, s4
	s_mul_i32 s20, s13, s4
	v_lshlrev_b32_e32 v6, 10, v65
	s_lshl_b64 s[20:21], s[20:21], 1
	v_add_lshl_u32 v1, v5, s29, 7
	v_lshlrev_b32_e32 v5, 6, v5
	v_lshlrev_b32_e32 v7, 10, v75
	v_and_b32_e32 v6, 0x3800, v6
	s_delay_alu instid0(VALU_DEP_4) | instskip(NEXT) | instid1(VALU_DEP_2)
	v_ashrrev_i32_e32 v2, 31, v1
	v_or3_b32 v5, v6, v7, v5
	s_delay_alu instid0(VALU_DEP_2) | instskip(SKIP_3) | instid1(VALU_DEP_1)
	v_lshlrev_b64 v[1:2], 1, v[1:2]
	s_waitcnt lgkmcnt(0)
	s_add_u32 s4, s18, s20
	s_addc_u32 s13, s19, s21
	v_add_co_u32 v1, vcc_lo, s4, v1
	s_delay_alu instid0(VALU_DEP_2) | instskip(NEXT) | instid1(VALU_DEP_2)
	v_add_co_ci_u32_e32 v2, vcc_lo, s13, v2, vcc_lo
	v_add_co_u32 v1, vcc_lo, v1, v73
	s_delay_alu instid0(VALU_DEP_2)
	v_add_co_ci_u32_e32 v2, vcc_lo, 0, v2, vcc_lo
	global_load_b128 v[1:4], v[1:2], off
	s_waitcnt vmcnt(0)
	ds_store_b128 v5, v[1:4]
.LBB1539_10:
	s_or_b32 exec_lo, exec_lo, s7
	v_and_b32_e32 v1, 0xef, v0
	s_add_i32 s4, s17, 15
	s_clause 0x1
	s_load_b32 s7, s[0:1], 0x38
	s_load_b32 s18, s[0:1], 0x1c
	s_ashr_i32 s13, s4, 31
	v_add_nc_u32_e32 v1, s12, v1
	s_lshr_b32 s13, s13, 28
	s_waitcnt lgkmcnt(0)
	s_add_i32 s4, s4, s13
	s_barrier
	v_ashrrev_i32_e32 v2, 31, v1
	v_or_b32_e32 v3, 16, v1
	s_ashr_i32 s4, s4, 4
	v_cmp_gt_i32_e32 vcc_lo, s17, v1
	s_add_i32 s4, s4, -1
	v_lshrrev_b32_e32 v2, 28, v2
	buffer_gl0_inv
	s_mul_i32 s15, s15, s6
	v_add_nc_u32_e32 v4, v1, v2
	s_mul_i32 s20, s30, s7
	s_delay_alu instid0(SALU_CYCLE_1) | instskip(NEXT) | instid1(VALU_DEP_1)
	s_ashr_i32 s21, s20, 31
	v_ashrrev_i32_e32 v4, 4, v4
	v_add_nc_u32_e32 v2, v3, v2
	s_lshl_b64 s[20:21], s[20:21], 2
	s_delay_alu instid0(SALU_CYCLE_1) | instskip(NEXT) | instid1(VALU_DEP_2)
	s_add_u32 s13, s2, s20
	v_cndmask_b32_e32 v1, s4, v4, vcc_lo
	s_delay_alu instid0(VALU_DEP_2)
	v_ashrrev_i32_e32 v2, 4, v2
	v_cmp_gt_i32_e32 vcc_lo, s17, v3
	s_addc_u32 s16, s3, s21
	s_ashr_i32 s19, s15, 31
	s_add_u32 s26, s8, s15
	s_addc_u32 s27, s9, s19
	v_cndmask_b32_e32 v3, s4, v2, vcc_lo
	v_ashrrev_i32_e32 v2, 31, v1
	s_lshl_b32 s2, s14, 4
	s_delay_alu instid0(SALU_CYCLE_1) | instskip(NEXT) | instid1(VALU_DEP_2)
	s_ashr_i32 s3, s2, 31
	v_ashrrev_i32_e32 v4, 31, v3
	s_delay_alu instid0(VALU_DEP_2) | instskip(SKIP_1) | instid1(SALU_CYCLE_1)
	v_lshlrev_b64 v[1:2], 2, v[1:2]
	s_lshl_b64 s[2:3], s[2:3], 2
	s_add_u32 s2, s13, s2
	s_delay_alu instid0(VALU_DEP_2) | instskip(SKIP_1) | instid1(VALU_DEP_2)
	v_lshlrev_b64 v[3:4], 2, v[3:4]
	s_addc_u32 s3, s16, s3
	v_add_co_u32 v1, vcc_lo, s13, v1
	v_add_co_ci_u32_e32 v2, vcc_lo, s16, v2, vcc_lo
	s_delay_alu instid0(VALU_DEP_3) | instskip(NEXT) | instid1(VALU_DEP_4)
	v_add_co_u32 v3, vcc_lo, s13, v3
	v_add_co_ci_u32_e32 v4, vcc_lo, s16, v4, vcc_lo
	s_clause 0x1
	global_load_b32 v5, v[1:2], off
	global_load_b32 v3, v[3:4], off
	s_or_b32 s6, s12, 32
	v_cmp_gt_u32_e32 vcc_lo, 14, v65
	s_ashr_i32 s7, s6, 4
	s_cmp_lt_i32 s6, s17
	s_cselect_b32 s6, s7, s4
	s_delay_alu instid0(SALU_CYCLE_1) | instskip(NEXT) | instid1(SALU_CYCLE_1)
	s_ashr_i32 s7, s6, 31
	s_lshl_b64 s[6:7], s[6:7], 2
	s_delay_alu instid0(SALU_CYCLE_1) | instskip(SKIP_2) | instid1(SALU_CYCLE_1)
	s_add_u32 s6, s13, s6
	s_addc_u32 s7, s16, s7
	s_or_b32 s8, s12, 64
	s_ashr_i32 s9, s8, 4
	s_cmp_lt_i32 s8, s17
	s_cselect_b32 s8, s9, s4
	s_delay_alu instid0(SALU_CYCLE_1) | instskip(NEXT) | instid1(SALU_CYCLE_1)
	s_ashr_i32 s9, s8, 31
	s_lshl_b64 s[8:9], s[8:9], 2
	s_delay_alu instid0(SALU_CYCLE_1) | instskip(SKIP_2) | instid1(SALU_CYCLE_1)
	s_add_u32 s8, s13, s8
	s_addc_u32 s9, s16, s9
	s_or_b32 s20, s12, 0x60
	;; [unrolled: 10-line block ×4, first 2 shown]
	s_ashr_i32 s25, s24, 4
	s_cmp_lt_i32 s24, s17
	s_cselect_b32 s24, s25, s4
	s_delay_alu instid0(SALU_CYCLE_1) | instskip(NEXT) | instid1(SALU_CYCLE_1)
	s_ashr_i32 s25, s24, 31
	s_lshl_b64 s[24:25], s[24:25], 2
	s_delay_alu instid0(SALU_CYCLE_1)
	s_add_u32 s24, s13, s24
	s_addc_u32 s25, s16, s25
	s_clause 0x5
	s_load_b32 s28, s[2:3], 0x0
	s_load_b32 s31, s[6:7], 0x0
	;; [unrolled: 1-line block ×6, first 2 shown]
	s_mov_b32 s20, 0
	s_or_b32 s2, s12, 0xc0
	s_mov_b32 s21, s20
	s_mov_b32 s22, s20
	;; [unrolled: 1-line block ×5, first 2 shown]
	v_lshlrev_b32_e32 v1, 4, v0
	s_ashr_i32 s3, s2, 4
	s_cmp_lt_i32 s2, s17
	s_cselect_b32 s2, s3, s4
	s_delay_alu instid0(VALU_DEP_1) | instskip(SKIP_1) | instid1(SALU_CYCLE_1)
	v_and_b32_e32 v1, 0xf0, v1
	s_ashr_i32 s3, s2, 31
	s_lshl_b64 s[2:3], s[2:3], 2
	s_delay_alu instid0(VALU_DEP_1) | instskip(NEXT) | instid1(VALU_DEP_1)
	v_add_co_u32 v1, s26, s26, v1
	v_add_co_ci_u32_e64 v2, null, s27, 0, s26
	s_add_u32 s2, s13, s2
	s_addc_u32 s3, s16, s3
	s_or_b32 s6, s12, 0xe0
	s_mov_b32 s27, s20
	s_ashr_i32 s7, s6, 4
	s_cmp_lt_i32 s6, s17
	s_mov_b32 s26, s20
	v_dual_mov_b32 v107, s27 :: v_dual_mov_b32 v100, s20
	s_cselect_b32 s6, s7, s4
	v_mov_b32_e32 v106, s26
	s_ashr_i32 s7, s6, 31
	v_mov_b32_e32 v104, s24
	s_lshl_b64 s[6:7], s[6:7], 2
	v_dual_mov_b32 v103, s23 :: v_dual_mov_b32 v102, s22
	v_mov_b32_e32 v101, s21
	s_waitcnt vmcnt(1)
	v_mad_i64_i32 v[33:34], null, v5, s5, v[1:2]
	s_waitcnt vmcnt(0)
	v_mad_i64_i32 v[35:36], null, v3, s5, v[1:2]
	s_clause 0xf
	global_load_b128 v[1:4], v[33:34], off
	global_load_b128 v[5:8], v[33:34], off offset:256
	global_load_b128 v[9:12], v[35:36], off
	global_load_b128 v[13:16], v[35:36], off offset:256
	global_load_b128 v[17:20], v[33:34], off offset:512
	;; [unrolled: 1-line block ×13, first 2 shown]
	v_add_nc_u32_e32 v33, -14, v65
	v_lshlrev_b32_e32 v34, 4, v65
	s_delay_alu instid0(VALU_DEP_2) | instskip(SKIP_1) | instid1(VALU_DEP_3)
	v_cndmask_b32_e32 v33, v33, v65, vcc_lo
	v_mov_b32_e32 v105, s25
	v_lshl_or_b32 v41, v66, 8, v34
	s_delay_alu instid0(VALU_DEP_3)
	v_lshlrev_b32_e32 v72, 6, v33
	ds_load_b128 v[33:36], v72
	ds_load_b128 v[37:40], v72 offset:1024
	ds_load_b128 v[108:111], v72 offset:2048
	ds_load_b128 v[112:115], v72 offset:3072
	s_load_b32 s4, s[2:3], 0x0
	s_add_u32 s2, s13, s6
	s_addc_u32 s3, s16, s7
	ds_load_b128 v[116:119], v72 offset:4096
	ds_load_b128 v[120:123], v72 offset:5120
	s_load_b32 s2, s[2:3], 0x0
	s_add_u32 s6, s10, s15
	s_addc_u32 s7, s11, s19
	v_add_co_u32 v68, s6, s6, v41
	s_delay_alu instid0(VALU_DEP_1) | instskip(SKIP_1) | instid1(VALU_DEP_1)
	v_add_co_ci_u32_e64 v69, null, s7, 0, s6
	s_waitcnt lgkmcnt(0)
	v_mad_i64_i32 v[41:42], null, s28, s5, v[68:69]
	v_mad_i64_i32 v[70:71], null, s8, s5, v[68:69]
	;; [unrolled: 1-line block ×7, first 2 shown]
	s_clause 0x3
	global_load_b128 v[49:52], v[41:42], off
	global_load_b128 v[53:56], v[41:42], off offset:16
	global_load_b128 v[41:44], v[45:46], off
	global_load_b128 v[45:48], v[45:46], off offset:16
	s_waitcnt vmcnt(18)
	v_wmma_f32_16x16x16_bf16 v[124:131], v[1:8], v[33:40], v[100:107]
	s_waitcnt vmcnt(16)
	v_wmma_f32_16x16x16_bf16 v[100:107], v[9:16], v[33:40], v[100:107]
	s_clause 0x1
	global_load_b128 v[33:36], v[70:71], off
	global_load_b128 v[37:40], v[70:71], off offset:16
	v_mad_i64_i32 v[70:71], null, s2, s5, v[68:69]
	s_waitcnt vmcnt(16)
	v_wmma_f32_16x16x16_bf16 v[124:131], v[17:24], v[108:115], v[124:131]
	s_waitcnt vmcnt(14)
	v_wmma_f32_16x16x16_bf16 v[100:107], v[25:32], v[108:115], v[100:107]
	s_clause 0x7
	global_load_b128 v[25:28], v[132:133], off
	global_load_b128 v[29:32], v[132:133], off offset:16
	global_load_b128 v[1:4], v[134:135], off
	global_load_b128 v[5:8], v[134:135], off offset:16
	;; [unrolled: 2-line block ×4, first 2 shown]
	s_waitcnt vmcnt(20)
	v_wmma_f32_16x16x16_bf16 v[124:131], v[57:64], v[116:123], v[124:131]
	s_clause 0x1
	global_load_b128 v[57:60], v[70:71], off
	global_load_b128 v[61:64], v[70:71], off offset:16
	s_waitcnt vmcnt(20)
	v_wmma_f32_16x16x16_bf16 v[100:107], v[76:83], v[116:123], v[100:107]
	ds_load_b128 v[76:79], v72 offset:6144
	ds_load_b128 v[80:83], v72 offset:7168
	v_and_b32_e32 v68, 0xe0, v0
	v_mbcnt_lo_u32_b32 v69, -1, 0
	s_waitcnt vmcnt(0) lgkmcnt(0)
	s_barrier
	buffer_gl0_inv
	v_add_nc_u32_e32 v68, s12, v68
	v_xor_b32_e32 v70, 16, v69
	s_delay_alu instid0(VALU_DEP_2) | instskip(NEXT) | instid1(VALU_DEP_2)
	v_or_b32_e32 v68, v68, v74
	v_cmp_gt_i32_e32 vcc_lo, 32, v70
	s_delay_alu instid0(VALU_DEP_2)
	v_or_b32_e32 v71, 4, v68
	v_or_b32_e32 v72, 6, v68
	v_cmp_gt_i32_e64 s2, s17, v68
	v_or_b32_e32 v108, 8, v68
	v_wmma_f32_16x16x16_bf16 v[124:131], v[84:91], v[76:83], v[124:131]
	v_cndmask_b32_e32 v69, v69, v70, vcc_lo
	v_or_b32_e32 v70, 2, v68
	v_wmma_f32_16x16x16_bf16 v[100:107], v[92:99], v[76:83], v[100:107]
	v_or_b32_e32 v109, 10, v68
	v_dual_mul_f32 v82, s18, v127 :: v_dual_mul_f32 v79, s18, v130
	v_dual_mul_f32 v92, s18, v125 :: v_dual_mul_f32 v93, s18, v124
	s_delay_alu instid0(VALU_DEP_4)
	v_mul_f32_e32 v98, s18, v103
	v_cmp_gt_i32_e32 vcc_lo, s17, v70
	v_or_b32_e32 v89, 22, v68
	v_dual_mul_f32 v83, s18, v126 :: v_dual_mul_f32 v96, s18, v105
	v_cndmask_b32_e64 v93, 0xff7fffff, v93, s2
	v_cndmask_b32_e32 v92, 0xff7fffff, v92, vcc_lo
	v_cmp_gt_i32_e64 s3, s17, v71
	v_cmp_gt_i32_e64 s4, s17, v72
	v_or_b32_e32 v84, 12, v68
	v_or_b32_e32 v85, 14, v68
	v_dual_mul_f32 v80, s18, v129 :: v_dual_mul_f32 v81, s18, v128
	v_mul_f32_e32 v94, s18, v107
	v_cndmask_b32_e64 v71, 0xff7fffff, v83, s3
	v_cndmask_b32_e64 v72, 0xff7fffff, v82, s4
	v_cmp_gt_i32_e64 s5, s17, v108
	v_cmp_gt_i32_e64 s6, s17, v109
	;; [unrolled: 1-line block ×3, first 2 shown]
	v_lshlrev_b32_e32 v89, 2, v69
	v_max3_f32 v82, v93, 0xff7fffff, v92
	v_or_b32_e32 v86, 16, v68
	v_or_b32_e32 v87, 18, v68
	v_mul_f32_e32 v78, s18, v131
	v_cndmask_b32_e64 v81, 0xff7fffff, v81, s5
	v_cndmask_b32_e64 v80, 0xff7fffff, v80, s6
	v_max3_f32 v71, v82, v71, v72
	v_cmp_gt_i32_e64 s7, s17, v84
	v_cmp_gt_i32_e64 s8, s17, v85
	v_or_b32_e32 v88, 20, v68
	v_or_b32_e32 v90, 24, v68
	;; [unrolled: 1-line block ×5, first 2 shown]
	v_dual_mul_f32 v95, s18, v106 :: v_dual_mul_f32 v70, s18, v101
	v_dual_mul_f32 v99, s18, v102 :: v_dual_mul_f32 v68, s18, v100
	v_cndmask_b32_e64 v72, 0xff7fffff, v79, s7
	v_cndmask_b32_e64 v78, 0xff7fffff, v78, s8
	v_max3_f32 v71, v71, v81, v80
	v_cmp_gt_i32_e64 s9, s17, v86
	v_cmp_gt_i32_e64 s10, s17, v87
	;; [unrolled: 1-line block ×3, first 2 shown]
	v_mul_f32_e32 v97, s18, v104
	v_max3_f32 v71, v71, v72, v78
	v_cndmask_b32_e64 v68, 0xff7fffff, v68, s9
	v_cndmask_b32_e64 v70, 0xff7fffff, v70, s10
	;; [unrolled: 1-line block ×4, first 2 shown]
	v_cmp_gt_i32_e64 s13, s17, v90
	v_cmp_gt_i32_e64 s15, s17, v91
	v_max3_f32 v68, v71, v68, v70
	v_cmp_gt_i32_e64 s16, s17, v76
	v_cmp_gt_i32_e64 s17, s17, v77
	v_cndmask_b32_e64 v70, 0xff7fffff, v97, s13
	v_cndmask_b32_e64 v71, 0xff7fffff, v96, s15
	v_max3_f32 v68, v68, v72, v78
	v_cndmask_b32_e64 v72, 0xff7fffff, v95, s16
	v_cndmask_b32_e64 v76, 0xff7fffff, v94, s17
	s_delay_alu instid0(VALU_DEP_3) | instskip(NEXT) | instid1(VALU_DEP_1)
	v_max3_f32 v68, v68, v70, v71
	v_max3_f32 v68, v68, v72, v76
	ds_bpermute_b32 v69, v89, v68
	s_waitcnt lgkmcnt(0)
	v_max_f32_e32 v69, v69, v69
	s_delay_alu instid0(VALU_DEP_1) | instskip(NEXT) | instid1(VALU_DEP_1)
	v_max_f32_e32 v68, v68, v69
	v_fma_f32 v69, s18, v124, -v68
	v_fma_f32 v70, s18, v125, -v68
	;; [unrolled: 1-line block ×5, first 2 shown]
	s_delay_alu instid0(VALU_DEP_4) | instskip(NEXT) | instid1(VALU_DEP_4)
	v_dual_mul_f32 v69, 0x3fb8aa3b, v69 :: v_dual_mul_f32 v70, 0x3fb8aa3b, v70
	v_mul_f32_e32 v72, 0x3fb8aa3b, v72
	v_fma_f32 v78, s18, v130, -v68
	s_delay_alu instid0(VALU_DEP_4) | instskip(NEXT) | instid1(VALU_DEP_4)
	v_mul_f32_e32 v77, 0x3fb8aa3b, v76
	v_exp_f32_e32 v69, v69
	v_exp_f32_e32 v70, v70
	v_mul_f32_e32 v71, 0x3fb8aa3b, v71
	v_exp_f32_e32 v72, v72
	v_mul_f32_e32 v78, 0x3fb8aa3b, v78
	v_exp_f32_e32 v77, v77
	v_fma_f32 v81, s18, v105, -v68
	s_delay_alu instid0(VALU_DEP_2)
	v_exp_f32_e32 v78, v78
	v_cndmask_b32_e64 v80, 0, v69, s2
	v_cndmask_b32_e32 v76, 0, v70, vcc_lo
	v_exp_f32_e32 v71, v71
	v_fma_f32 v69, s18, v129, -v68
	v_cndmask_b32_e64 v85, 0, v72, s4
	v_add_f32_e32 v70, 0, v80
	s_delay_alu instid0(TRANS32_DEP_3)
	v_cndmask_b32_e64 v86, 0, v77, s5
	v_fma_f32 v77, s18, v101, -v68
	v_mul_f32_e32 v69, 0x3fb8aa3b, v69
	v_fma_f32 v72, s18, v100, -v68
	v_cndmask_b32_e64 v84, 0, v78, s7
	v_fma_f32 v78, s18, v103, -v68
	v_cndmask_b32_e64 v83, 0, v71, s3
	v_fma_f32 v71, s18, v131, -v68
	v_add_f32_e32 v70, v70, v76
	v_exp_f32_e32 v69, v69
	v_mul_f32_e32 v77, 0x3fb8aa3b, v77
	v_mul_f32_e32 v81, 0x3fb8aa3b, v81
	;; [unrolled: 1-line block ×3, first 2 shown]
	v_add_f32_e32 v70, v70, v83
	s_mov_b32 s2, exec_lo
	v_exp_f32_e32 v77, v77
	v_exp_f32_e32 v81, v81
	;; [unrolled: 1-line block ×3, first 2 shown]
	v_cndmask_b32_e64 v87, 0, v69, s6
	v_add_f32_e32 v70, v70, v85
	s_delay_alu instid0(VALU_DEP_1) | instskip(SKIP_1) | instid1(VALU_DEP_2)
	v_dual_mul_f32 v72, 0x3fb8aa3b, v72 :: v_dual_add_f32 v69, v70, v86
	v_fma_f32 v70, s18, v102, -v68
	v_exp_f32_e32 v72, v72
	s_waitcnt_depctr 0xfff
	v_cndmask_b32_e64 v88, 0, v71, s8
	v_fma_f32 v71, s18, v104, -v68
	v_dual_add_f32 v69, v69, v87 :: v_dual_mul_f32 v70, 0x3fb8aa3b, v70
	s_delay_alu instid0(VALU_DEP_2) | instskip(NEXT) | instid1(VALU_DEP_2)
	v_dual_mul_f32 v78, 0x3fb8aa3b, v78 :: v_dual_mul_f32 v71, 0x3fb8aa3b, v71
	v_add_f32_e32 v69, v69, v84
	s_delay_alu instid0(VALU_DEP_3) | instskip(SKIP_1) | instid1(VALU_DEP_3)
	v_exp_f32_e32 v79, v70
	v_cndmask_b32_e64 v70, 0, v72, s9
	v_exp_f32_e32 v78, v78
	v_exp_f32_e32 v82, v71
	v_add_f32_e32 v72, v69, v88
	v_cndmask_b32_e64 v69, 0, v77, s10
	v_fma_f32 v77, s18, v106, -v68
	s_delay_alu instid0(VALU_DEP_3) | instskip(NEXT) | instid1(TRANS32_DEP_3)
	v_add_f32_e32 v72, v72, v70
	v_cndmask_b32_e64 v71, 0, v79, s11
	s_delay_alu instid0(VALU_DEP_3) | instskip(NEXT) | instid1(VALU_DEP_3)
	v_mul_f32_e32 v77, 0x3fb8aa3b, v77
	v_add_f32_e32 v79, v72, v69
	s_delay_alu instid0(TRANS32_DEP_2) | instskip(NEXT) | instid1(VALU_DEP_3)
	v_cndmask_b32_e64 v72, 0, v78, s12
	v_exp_f32_e32 v90, v77
	v_cndmask_b32_e64 v77, 0, v82, s13
	s_delay_alu instid0(VALU_DEP_3) | instskip(SKIP_1) | instid1(VALU_DEP_1)
	v_add_f32_e32 v78, v79, v71
	v_fma_f32 v79, s18, v107, -v68
	v_dual_add_f32 v82, v78, v72 :: v_dual_mul_f32 v79, 0x3fb8aa3b, v79
	v_cndmask_b32_e64 v78, 0, v81, s15
	s_delay_alu instid0(VALU_DEP_2) | instskip(NEXT) | instid1(VALU_DEP_3)
	v_add_f32_e32 v81, v82, v77
	v_exp_f32_e32 v82, v79
	s_delay_alu instid0(TRANS32_DEP_2) | instskip(NEXT) | instid1(VALU_DEP_2)
	v_cndmask_b32_e64 v79, 0, v90, s16
	v_add_f32_e32 v81, v81, v78
	s_delay_alu instid0(VALU_DEP_1) | instskip(SKIP_2) | instid1(VALU_DEP_1)
	v_add_f32_e32 v90, v81, v79
	s_waitcnt_depctr 0xfff
	v_cndmask_b32_e64 v81, 0, v82, s17
	v_add_f32_e32 v82, v90, v81
	ds_bpermute_b32 v89, v89, v82
	v_cmpx_gt_u32_e32 16, v67
	s_cbranch_execz .LBB1539_12
; %bb.11:
	v_mul_u32_u24_e32 v67, 0x44, v66
	s_delay_alu instid0(VALU_DEP_1) | instskip(SKIP_1) | instid1(VALU_DEP_1)
	v_lshl_add_u32 v67, v65, 2, v67
	s_waitcnt lgkmcnt(0)
	v_dual_add_f32 v82, v82, v89 :: v_dual_add_nc_u32 v67, 0x4000, v67
	ds_store_2addr_b32 v67, v68, v82 offset1:136
.LBB1539_12:
	s_or_b32 exec_lo, exec_lo, s2
	v_lshlrev_b32_e32 v67, 2, v65
	s_waitcnt lgkmcnt(0)
	s_barrier
	buffer_gl0_inv
	v_cmp_eq_u32_e32 vcc_lo, 1, v66
	v_add_nc_u32_e32 v82, 0x4000, v67
	v_cmp_eq_u32_e64 s2, 2, v66
	v_cmp_eq_u32_e64 s4, 7, v66
	ds_load_2addr_b32 v[89:90], v82 offset1:17
	ds_load_2addr_b32 v[91:92], v82 offset0:34 offset1:51
	ds_load_2addr_b32 v[93:94], v82 offset0:68 offset1:85
	;; [unrolled: 1-line block ×4, first 2 shown]
	s_waitcnt lgkmcnt(4)
	v_max3_f32 v67, v89, 0xff7fffff, v90
	s_waitcnt lgkmcnt(3)
	s_delay_alu instid0(VALU_DEP_1) | instskip(SKIP_1) | instid1(VALU_DEP_1)
	v_max3_f32 v67, v67, v91, v92
	s_waitcnt lgkmcnt(2)
	v_max3_f32 v67, v67, v93, v94
	s_waitcnt lgkmcnt(1)
	s_delay_alu instid0(VALU_DEP_1) | instskip(NEXT) | instid1(VALU_DEP_1)
	v_max3_f32 v67, v67, v95, v96
	v_sub_f32_e32 v93, v93, v67
	s_delay_alu instid0(VALU_DEP_1) | instskip(NEXT) | instid1(VALU_DEP_1)
	v_dual_sub_f32 v68, v89, v67 :: v_dual_mul_f32 v103, 0x3fb8aa3b, v93
	v_mul_f32_e32 v68, 0x3fb8aa3b, v68
	s_delay_alu instid0(VALU_DEP_1)
	v_exp_f32_e32 v100, v68
	v_sub_f32_e32 v68, v92, v67
	v_sub_f32_e32 v99, v90, v67
	ds_load_2addr_b32 v[89:90], v82 offset0:170 offset1:187
	v_dual_mul_f32 v102, 0x3fb8aa3b, v68 :: v_dual_mul_f32 v99, 0x3fb8aa3b, v99
	s_waitcnt lgkmcnt(1)
	v_fma_f32 v68, v100, v97, 0
	s_delay_alu instid0(VALU_DEP_2) | instskip(NEXT) | instid1(VALU_DEP_2)
	v_exp_f32_e32 v102, v102
	v_exp_f32_e32 v99, v99
	s_waitcnt_depctr 0xfff
	v_fmac_f32_e32 v68, v99, v98
	v_sub_f32_e32 v91, v91, v67
	s_delay_alu instid0(VALU_DEP_1)
	v_mul_f32_e32 v101, 0x3fb8aa3b, v91
	ds_load_2addr_b32 v[91:92], v82 offset0:204 offset1:221
	v_sub_f32_e32 v97, v94, v67
	ds_load_2addr_b32 v[93:94], v82 offset0:238 offset1:255
	s_waitcnt lgkmcnt(0)
	v_exp_f32_e32 v101, v101
	s_barrier
	buffer_gl0_inv
	v_dual_fmac_f32 v68, v101, v89 :: v_dual_sub_f32 v89, v96, v67
	v_dual_sub_f32 v82, v95, v67 :: v_dual_mul_f32 v95, 0x3fb8aa3b, v97
	v_exp_f32_e32 v97, v103
	s_delay_alu instid0(VALU_DEP_2) | instskip(NEXT) | instid1(VALU_DEP_2)
	v_dual_fmac_f32 v68, v102, v90 :: v_dual_mul_f32 v89, 0x3fb8aa3b, v89
	v_mul_f32_e32 v82, 0x3fb8aa3b, v82
	s_delay_alu instid0(VALU_DEP_3) | instskip(NEXT) | instid1(VALU_DEP_2)
	v_exp_f32_e32 v95, v95
	v_exp_f32_e32 v89, v89
	s_delay_alu instid0(VALU_DEP_1)
	v_exp_f32_e32 v82, v82
	v_fmac_f32_e32 v68, v97, v91
	s_delay_alu instid0(TRANS32_DEP_3) | instid1(VALU_DEP_1)
	v_fmac_f32_e32 v68, v95, v92
	s_waitcnt_depctr 0xfff
	v_fmac_f32_e32 v68, v82, v93
	s_delay_alu instid0(VALU_DEP_1) | instskip(NEXT) | instid1(VALU_DEP_1)
	v_fmac_f32_e32 v68, v89, v94
	v_add_f32_e32 v90, 0x358637bd, v68
	s_delay_alu instid0(VALU_DEP_1) | instskip(NEXT) | instid1(VALU_DEP_1)
	v_div_scale_f32 v91, null, v90, v90, 1.0
	v_rcp_f32_e32 v92, v91
	s_waitcnt_depctr 0xfff
	v_fma_f32 v93, -v91, v92, 1.0
	s_delay_alu instid0(VALU_DEP_1) | instskip(SKIP_1) | instid1(VALU_DEP_2)
	v_dual_fmac_f32 v92, v93, v92 :: v_dual_cndmask_b32 v93, v100, v99
	v_cmp_eq_u32_e32 vcc_lo, 3, v66
	v_cndmask_b32_e64 v93, v93, v101, s2
	v_cmp_eq_u32_e64 s2, 4, v66
	s_delay_alu instid0(VALU_DEP_2) | instskip(SKIP_1) | instid1(VALU_DEP_2)
	v_cndmask_b32_e32 v93, v93, v102, vcc_lo
	v_cmp_eq_u32_e32 vcc_lo, 5, v66
	v_cndmask_b32_e64 v93, v93, v97, s2
	v_cmp_eq_u32_e64 s2, 6, v66
	s_delay_alu instid0(VALU_DEP_2) | instskip(SKIP_1) | instid1(VALU_DEP_1)
	v_cndmask_b32_e32 v93, v93, v95, vcc_lo
	v_div_scale_f32 v94, s3, 1.0, v90, 1.0
	s_mov_b32 vcc_lo, s3
	s_delay_alu instid0(VALU_DEP_2) | instskip(NEXT) | instid1(VALU_DEP_2)
	v_cndmask_b32_e64 v82, v93, v82, s2
	v_mul_f32_e32 v96, v94, v92
	s_mov_b32 s2, exec_lo
	s_delay_alu instid0(VALU_DEP_2) | instskip(NEXT) | instid1(VALU_DEP_2)
	v_cndmask_b32_e64 v82, v82, v89, s4
	v_fma_f32 v98, -v91, v96, v94
	s_delay_alu instid0(VALU_DEP_1) | instskip(NEXT) | instid1(VALU_DEP_1)
	v_fmac_f32_e32 v96, v98, v92
	v_fma_f32 v91, -v91, v96, v94
	s_delay_alu instid0(VALU_DEP_1) | instskip(NEXT) | instid1(VALU_DEP_1)
	v_div_fmas_f32 v91, v91, v92, v96
	v_div_fixup_f32 v90, v91, v90, 1.0
	s_delay_alu instid0(VALU_DEP_1) | instskip(NEXT) | instid1(VALU_DEP_1)
	v_mul_f32_e32 v82, v82, v90
	v_mul_f32_e32 v87, v82, v87
	;; [unrolled: 1-line block ×7, first 2 shown]
	v_dual_mul_f32 v86, v82, v83 :: v_dual_and_b32 v91, 0x7f800000, v90
	v_mul_f32_e32 v85, v82, v76
                                        ; implicit-def: $vgpr76
	s_delay_alu instid0(VALU_DEP_2)
	v_cmpx_ne_u32_e32 0x7f800000, v91
	s_xor_b32 s2, exec_lo, s2
; %bb.13:
	v_bfe_u32 v76, v90, 16, 1
	s_delay_alu instid0(VALU_DEP_1)
	v_add3_u32 v76, v90, v76, 0x7fff
                                        ; implicit-def: $vgpr90
; %bb.14:
	s_and_not1_saveexec_b32 s2, s2
; %bb.15:
	v_and_b32_e32 v76, 0xffff, v90
	v_or_b32_e32 v83, 0x10000, v90
	s_delay_alu instid0(VALU_DEP_2) | instskip(NEXT) | instid1(VALU_DEP_2)
	v_cmp_eq_u32_e32 vcc_lo, 0, v76
	v_cndmask_b32_e32 v76, v83, v90, vcc_lo
; %bb.16:
	s_or_b32 exec_lo, exec_lo, s2
	v_and_b32_e32 v83, 0x7f800000, v85
	s_delay_alu instid0(VALU_DEP_1) | instskip(SKIP_1) | instid1(SALU_CYCLE_1)
	v_cmp_ne_u32_e32 vcc_lo, 0x7f800000, v83
                                        ; implicit-def: $vgpr83
	s_and_saveexec_b32 s2, vcc_lo
	s_xor_b32 s2, exec_lo, s2
; %bb.17:
	v_bfe_u32 v83, v85, 16, 1
	s_delay_alu instid0(VALU_DEP_1)
	v_add3_u32 v83, v85, v83, 0x7fff
                                        ; implicit-def: $vgpr85
; %bb.18:
	s_and_not1_saveexec_b32 s2, s2
; %bb.19:
	v_and_b32_e32 v83, 0xffff, v85
	v_or_b32_e32 v90, 0x10000, v85
	s_delay_alu instid0(VALU_DEP_2) | instskip(NEXT) | instid1(VALU_DEP_2)
	v_cmp_eq_u32_e32 vcc_lo, 0, v83
	v_cndmask_b32_e32 v83, v90, v85, vcc_lo
; %bb.20:
	s_or_b32 exec_lo, exec_lo, s2
	v_and_b32_e32 v85, 0x7f800000, v86
	s_delay_alu instid0(VALU_DEP_1) | instskip(SKIP_1) | instid1(SALU_CYCLE_1)
	v_cmp_ne_u32_e32 vcc_lo, 0x7f800000, v85
                                        ; implicit-def: $vgpr85
	s_and_saveexec_b32 s2, vcc_lo
	s_xor_b32 s2, exec_lo, s2
; %bb.21:
	v_bfe_u32 v85, v86, 16, 1
	s_delay_alu instid0(VALU_DEP_1)
	v_add3_u32 v85, v86, v85, 0x7fff
                                        ; implicit-def: $vgpr86
; %bb.22:
	s_and_not1_saveexec_b32 s2, s2
; %bb.23:
	v_and_b32_e32 v85, 0xffff, v86
	v_or_b32_e32 v90, 0x10000, v86
	s_delay_alu instid0(VALU_DEP_2) | instskip(NEXT) | instid1(VALU_DEP_2)
	v_cmp_eq_u32_e32 vcc_lo, 0, v85
	v_cndmask_b32_e32 v85, v90, v86, vcc_lo
; %bb.24:
	s_or_b32 exec_lo, exec_lo, s2
	v_and_b32_e32 v86, 0x7f800000, v89
	s_delay_alu instid0(VALU_DEP_1) | instskip(SKIP_1) | instid1(SALU_CYCLE_1)
	v_cmp_ne_u32_e32 vcc_lo, 0x7f800000, v86
                                        ; implicit-def: $vgpr86
	s_and_saveexec_b32 s2, vcc_lo
	s_xor_b32 s2, exec_lo, s2
; %bb.25:
	v_bfe_u32 v86, v89, 16, 1
	s_delay_alu instid0(VALU_DEP_1)
	v_add3_u32 v86, v89, v86, 0x7fff
                                        ; implicit-def: $vgpr89
; %bb.26:
	s_and_not1_saveexec_b32 s2, s2
; %bb.27:
	v_and_b32_e32 v86, 0xffff, v89
	v_or_b32_e32 v90, 0x10000, v89
	s_delay_alu instid0(VALU_DEP_2) | instskip(NEXT) | instid1(VALU_DEP_2)
	v_cmp_eq_u32_e32 vcc_lo, 0, v86
	v_cndmask_b32_e32 v86, v90, v89, vcc_lo
; %bb.28:
	s_or_b32 exec_lo, exec_lo, s2
	v_and_b32_e32 v89, 0x7f800000, v88
	s_delay_alu instid0(VALU_DEP_1) | instskip(SKIP_1) | instid1(SALU_CYCLE_1)
	v_cmp_ne_u32_e32 vcc_lo, 0x7f800000, v89
                                        ; implicit-def: $vgpr89
	s_and_saveexec_b32 s2, vcc_lo
	s_xor_b32 s2, exec_lo, s2
; %bb.29:
	v_bfe_u32 v89, v88, 16, 1
	s_delay_alu instid0(VALU_DEP_1)
	v_add3_u32 v89, v88, v89, 0x7fff
                                        ; implicit-def: $vgpr88
; %bb.30:
	s_and_not1_saveexec_b32 s2, s2
; %bb.31:
	v_and_b32_e32 v89, 0xffff, v88
	v_or_b32_e32 v90, 0x10000, v88
	s_delay_alu instid0(VALU_DEP_2) | instskip(NEXT) | instid1(VALU_DEP_2)
	v_cmp_eq_u32_e32 vcc_lo, 0, v89
	v_cndmask_b32_e32 v89, v90, v88, vcc_lo
; %bb.32:
	s_or_b32 exec_lo, exec_lo, s2
	v_and_b32_e32 v88, 0x7f800000, v87
	s_delay_alu instid0(VALU_DEP_1) | instskip(SKIP_1) | instid1(SALU_CYCLE_1)
	v_cmp_ne_u32_e32 vcc_lo, 0x7f800000, v88
                                        ; implicit-def: $vgpr88
	s_and_saveexec_b32 s2, vcc_lo
	s_xor_b32 s2, exec_lo, s2
; %bb.33:
	v_bfe_u32 v88, v87, 16, 1
	s_delay_alu instid0(VALU_DEP_1)
	v_add3_u32 v88, v87, v88, 0x7fff
                                        ; implicit-def: $vgpr87
; %bb.34:
	s_and_not1_saveexec_b32 s2, s2
; %bb.35:
	v_and_b32_e32 v88, 0xffff, v87
	v_or_b32_e32 v90, 0x10000, v87
	s_delay_alu instid0(VALU_DEP_2) | instskip(NEXT) | instid1(VALU_DEP_2)
	v_cmp_eq_u32_e32 vcc_lo, 0, v88
	v_cndmask_b32_e32 v88, v90, v87, vcc_lo
; %bb.36:
	s_or_b32 exec_lo, exec_lo, s2
	v_and_b32_e32 v87, 0x7f800000, v84
	s_delay_alu instid0(VALU_DEP_1) | instskip(SKIP_1) | instid1(SALU_CYCLE_1)
	v_cmp_ne_u32_e32 vcc_lo, 0x7f800000, v87
                                        ; implicit-def: $vgpr87
	s_and_saveexec_b32 s2, vcc_lo
	s_xor_b32 s2, exec_lo, s2
; %bb.37:
	v_bfe_u32 v87, v84, 16, 1
	s_delay_alu instid0(VALU_DEP_1)
	v_add3_u32 v87, v84, v87, 0x7fff
                                        ; implicit-def: $vgpr84
; %bb.38:
	s_and_not1_saveexec_b32 s2, s2
; %bb.39:
	v_and_b32_e32 v87, 0xffff, v84
	v_or_b32_e32 v90, 0x10000, v84
	s_delay_alu instid0(VALU_DEP_2) | instskip(NEXT) | instid1(VALU_DEP_2)
	v_cmp_eq_u32_e32 vcc_lo, 0, v87
	v_cndmask_b32_e32 v87, v90, v84, vcc_lo
; %bb.40:
	s_or_b32 exec_lo, exec_lo, s2
	v_and_b32_e32 v84, 0x7f800000, v80
	s_delay_alu instid0(VALU_DEP_1) | instskip(SKIP_1) | instid1(SALU_CYCLE_1)
	v_cmp_ne_u32_e32 vcc_lo, 0x7f800000, v84
                                        ; implicit-def: $vgpr84
	s_and_saveexec_b32 s2, vcc_lo
	s_xor_b32 s2, exec_lo, s2
; %bb.41:
	v_bfe_u32 v84, v80, 16, 1
	s_delay_alu instid0(VALU_DEP_1)
	v_add3_u32 v84, v80, v84, 0x7fff
                                        ; implicit-def: $vgpr80
; %bb.42:
	s_and_not1_saveexec_b32 s2, s2
; %bb.43:
	v_and_b32_e32 v84, 0xffff, v80
	v_or_b32_e32 v90, 0x10000, v80
	s_delay_alu instid0(VALU_DEP_2) | instskip(NEXT) | instid1(VALU_DEP_2)
	v_cmp_eq_u32_e32 vcc_lo, 0, v84
	v_cndmask_b32_e32 v84, v90, v80, vcc_lo
; %bb.44:
	s_or_b32 exec_lo, exec_lo, s2
	s_load_b64 s[34:35], s[0:1], 0x94
	v_lshlrev_b32_e32 v91, 4, v74
	s_delay_alu instid0(VALU_DEP_2)
	v_perm_b32 v90, v84, v87, 0x7060302
	v_dual_mul_f32 v79, v82, v79 :: v_dual_lshlrev_b32 v80, 6, v65
	v_dual_mul_f32 v77, v82, v77 :: v_dual_lshlrev_b32 v92, 11, v66
	v_mul_f32_e32 v84, v82, v70
	v_perm_b32 v89, v88, v89, 0x7060302
	v_perm_b32 v88, v86, v85, 0x7060302
	;; [unrolled: 1-line block ×3, first 2 shown]
	v_mul_f32_e32 v70, v82, v81
	v_or3_b32 v76, v91, v92, v80
	v_dual_mul_f32 v78, v82, v78 :: v_dual_and_b32 v85, 0x7f800000, v84
	v_mul_f32_e32 v83, v82, v72
	v_mul_f32_e32 v81, v82, v71
	;; [unrolled: 1-line block ×3, first 2 shown]
	s_mov_b32 s2, exec_lo
	ds_store_b128 v76, v[87:90]
                                        ; implicit-def: $vgpr69
	v_cmpx_ne_u32_e32 0x7f800000, v85
	s_xor_b32 s2, exec_lo, s2
; %bb.45:
	v_bfe_u32 v69, v84, 16, 1
	s_delay_alu instid0(VALU_DEP_1)
	v_add3_u32 v69, v84, v69, 0x7fff
                                        ; implicit-def: $vgpr84
; %bb.46:
	s_and_not1_saveexec_b32 s2, s2
; %bb.47:
	v_and_b32_e32 v69, 0xffff, v84
	v_or_b32_e32 v71, 0x10000, v84
	s_delay_alu instid0(VALU_DEP_2) | instskip(NEXT) | instid1(VALU_DEP_2)
	v_cmp_eq_u32_e32 vcc_lo, 0, v69
	v_cndmask_b32_e32 v69, v71, v84, vcc_lo
; %bb.48:
	s_or_b32 exec_lo, exec_lo, s2
	v_and_b32_e32 v71, 0x7f800000, v72
	s_delay_alu instid0(VALU_DEP_1) | instskip(SKIP_1) | instid1(SALU_CYCLE_1)
	v_cmp_ne_u32_e32 vcc_lo, 0x7f800000, v71
                                        ; implicit-def: $vgpr71
	s_and_saveexec_b32 s2, vcc_lo
	s_xor_b32 s2, exec_lo, s2
; %bb.49:
	v_bfe_u32 v71, v72, 16, 1
	s_delay_alu instid0(VALU_DEP_1)
	v_add3_u32 v71, v72, v71, 0x7fff
                                        ; implicit-def: $vgpr72
; %bb.50:
	s_and_not1_saveexec_b32 s2, s2
; %bb.51:
	v_and_b32_e32 v71, 0xffff, v72
	v_or_b32_e32 v82, 0x10000, v72
	s_delay_alu instid0(VALU_DEP_2) | instskip(NEXT) | instid1(VALU_DEP_2)
	v_cmp_eq_u32_e32 vcc_lo, 0, v71
	v_cndmask_b32_e32 v71, v82, v72, vcc_lo
; %bb.52:
	s_or_b32 exec_lo, exec_lo, s2
	v_and_b32_e32 v72, 0x7f800000, v81
	s_delay_alu instid0(VALU_DEP_1) | instskip(SKIP_1) | instid1(SALU_CYCLE_1)
	v_cmp_ne_u32_e32 vcc_lo, 0x7f800000, v72
                                        ; implicit-def: $vgpr72
	s_and_saveexec_b32 s2, vcc_lo
	s_xor_b32 s2, exec_lo, s2
; %bb.53:
	v_bfe_u32 v72, v81, 16, 1
	s_delay_alu instid0(VALU_DEP_1)
	v_add3_u32 v72, v81, v72, 0x7fff
                                        ; implicit-def: $vgpr81
; %bb.54:
	s_and_not1_saveexec_b32 s2, s2
; %bb.55:
	v_and_b32_e32 v72, 0xffff, v81
	v_or_b32_e32 v82, 0x10000, v81
	s_delay_alu instid0(VALU_DEP_2) | instskip(NEXT) | instid1(VALU_DEP_2)
	v_cmp_eq_u32_e32 vcc_lo, 0, v72
	v_cndmask_b32_e32 v72, v82, v81, vcc_lo
; %bb.56:
	s_or_b32 exec_lo, exec_lo, s2
	v_and_b32_e32 v81, 0x7f800000, v83
	s_delay_alu instid0(VALU_DEP_1) | instskip(SKIP_1) | instid1(SALU_CYCLE_1)
	v_cmp_ne_u32_e32 vcc_lo, 0x7f800000, v81
                                        ; implicit-def: $vgpr81
	s_and_saveexec_b32 s2, vcc_lo
	s_xor_b32 s2, exec_lo, s2
; %bb.57:
	v_bfe_u32 v81, v83, 16, 1
	s_delay_alu instid0(VALU_DEP_1)
	v_add3_u32 v81, v83, v81, 0x7fff
                                        ; implicit-def: $vgpr83
; %bb.58:
	s_and_not1_saveexec_b32 s2, s2
; %bb.59:
	v_and_b32_e32 v81, 0xffff, v83
	v_or_b32_e32 v82, 0x10000, v83
	s_delay_alu instid0(VALU_DEP_2) | instskip(NEXT) | instid1(VALU_DEP_2)
	v_cmp_eq_u32_e32 vcc_lo, 0, v81
	v_cndmask_b32_e32 v81, v82, v83, vcc_lo
; %bb.60:
	s_or_b32 exec_lo, exec_lo, s2
	v_and_b32_e32 v82, 0x7f800000, v77
	s_delay_alu instid0(VALU_DEP_1) | instskip(SKIP_1) | instid1(SALU_CYCLE_1)
	v_cmp_ne_u32_e32 vcc_lo, 0x7f800000, v82
                                        ; implicit-def: $vgpr82
	s_and_saveexec_b32 s2, vcc_lo
	s_xor_b32 s2, exec_lo, s2
; %bb.61:
	v_bfe_u32 v82, v77, 16, 1
	s_delay_alu instid0(VALU_DEP_1)
	v_add3_u32 v82, v77, v82, 0x7fff
                                        ; implicit-def: $vgpr77
; %bb.62:
	s_and_not1_saveexec_b32 s2, s2
; %bb.63:
	v_and_b32_e32 v82, 0xffff, v77
	v_or_b32_e32 v83, 0x10000, v77
	s_delay_alu instid0(VALU_DEP_2) | instskip(NEXT) | instid1(VALU_DEP_2)
	v_cmp_eq_u32_e32 vcc_lo, 0, v82
	v_cndmask_b32_e32 v82, v83, v77, vcc_lo
; %bb.64:
	s_or_b32 exec_lo, exec_lo, s2
	v_and_b32_e32 v77, 0x7f800000, v78
	s_delay_alu instid0(VALU_DEP_1) | instskip(SKIP_1) | instid1(SALU_CYCLE_1)
	v_cmp_ne_u32_e32 vcc_lo, 0x7f800000, v77
                                        ; implicit-def: $vgpr77
	s_and_saveexec_b32 s2, vcc_lo
	s_xor_b32 s2, exec_lo, s2
; %bb.65:
	v_bfe_u32 v77, v78, 16, 1
	s_delay_alu instid0(VALU_DEP_1)
	v_add3_u32 v77, v78, v77, 0x7fff
                                        ; implicit-def: $vgpr78
; %bb.66:
	s_and_not1_saveexec_b32 s2, s2
; %bb.67:
	v_and_b32_e32 v77, 0xffff, v78
	v_or_b32_e32 v83, 0x10000, v78
	s_delay_alu instid0(VALU_DEP_2) | instskip(NEXT) | instid1(VALU_DEP_2)
	v_cmp_eq_u32_e32 vcc_lo, 0, v77
	v_cndmask_b32_e32 v77, v83, v78, vcc_lo
; %bb.68:
	s_or_b32 exec_lo, exec_lo, s2
	v_and_b32_e32 v78, 0x7f800000, v79
	s_delay_alu instid0(VALU_DEP_1) | instskip(SKIP_1) | instid1(SALU_CYCLE_1)
	v_cmp_ne_u32_e32 vcc_lo, 0x7f800000, v78
                                        ; implicit-def: $vgpr78
	s_and_saveexec_b32 s2, vcc_lo
	s_xor_b32 s2, exec_lo, s2
; %bb.69:
	v_bfe_u32 v78, v79, 16, 1
	s_delay_alu instid0(VALU_DEP_1)
	v_add3_u32 v78, v79, v78, 0x7fff
                                        ; implicit-def: $vgpr79
; %bb.70:
	s_and_not1_saveexec_b32 s2, s2
; %bb.71:
	v_and_b32_e32 v78, 0xffff, v79
	v_or_b32_e32 v83, 0x10000, v79
	s_delay_alu instid0(VALU_DEP_2) | instskip(NEXT) | instid1(VALU_DEP_2)
	v_cmp_eq_u32_e32 vcc_lo, 0, v78
	v_cndmask_b32_e32 v78, v83, v79, vcc_lo
; %bb.72:
	s_or_b32 exec_lo, exec_lo, s2
	v_and_b32_e32 v79, 0x7f800000, v70
	s_delay_alu instid0(VALU_DEP_1) | instskip(SKIP_1) | instid1(SALU_CYCLE_1)
	v_cmp_ne_u32_e32 vcc_lo, 0x7f800000, v79
                                        ; implicit-def: $vgpr79
	s_and_saveexec_b32 s2, vcc_lo
	s_xor_b32 s2, exec_lo, s2
; %bb.73:
	v_bfe_u32 v79, v70, 16, 1
	s_delay_alu instid0(VALU_DEP_1)
	v_add3_u32 v79, v70, v79, 0x7fff
                                        ; implicit-def: $vgpr70
; %bb.74:
	s_and_not1_saveexec_b32 s2, s2
; %bb.75:
	v_and_b32_e32 v79, 0xffff, v70
	v_or_b32_e32 v83, 0x10000, v70
	s_delay_alu instid0(VALU_DEP_2) | instskip(NEXT) | instid1(VALU_DEP_2)
	v_cmp_eq_u32_e32 vcc_lo, 0, v79
	v_cndmask_b32_e32 v79, v83, v70, vcc_lo
; %bb.76:
	s_or_b32 exec_lo, exec_lo, s2
	s_delay_alu instid0(VALU_DEP_1)
	v_perm_b32 v86, v79, v78, 0x7060302
	v_perm_b32 v85, v77, v82, 0x7060302
	;; [unrolled: 1-line block ×4, first 2 shown]
	v_lshl_or_b32 v82, v66, 11, v80
	ds_store_b128 v76, v[83:86] offset:1024
	s_waitcnt lgkmcnt(0)
	s_barrier
	buffer_gl0_inv
	ds_load_b128 v[69:72], v82
	ds_load_b128 v[83:86], v82 offset:16
	s_waitcnt lgkmcnt(1)
	v_lshrrev_b32_e32 v66, 16, v69
	s_waitcnt lgkmcnt(0)
	v_lshrrev_b32_e32 v91, 16, v83
	v_lshlrev_b32_e32 v78, 2, v74
	v_lshrrev_b32_e32 v95, 16, v70
	v_lshrrev_b32_e32 v98, 16, v84
	;; [unrolled: 1-line block ×4, first 2 shown]
	v_cmp_eq_u32_e32 vcc_lo, 1, v78
	v_lshrrev_b32_e32 v97, 16, v72
	v_lshrrev_b32_e32 v100, 16, v86
	v_cndmask_b32_e32 v87, v83, v91, vcc_lo
	v_or_b32_e32 v79, 1, v78
	v_cndmask_b32_e32 v81, v69, v66, vcc_lo
	v_cmp_eq_u32_e64 s3, 2, v78
	v_cmp_eq_u32_e64 s6, 3, v78
	;; [unrolled: 1-line block ×5, first 2 shown]
	v_cndmask_b32_e64 v81, v81, v70, s3
	v_cndmask_b32_e64 v87, v87, v84, s3
	v_cmp_eq_u32_e64 s7, 3, v79
	v_cndmask_b32_e64 v88, v69, v66, s2
	v_or_b32_e32 v77, 2, v78
	v_cndmask_b32_e64 v81, v81, v95, s6
	v_cndmask_b32_e64 v87, v87, v98, s6
	;; [unrolled: 1-line block ×4, first 2 shown]
	v_cmp_eq_u32_e64 s9, 5, v78
	v_cndmask_b32_e64 v81, v81, v71, s8
	v_cndmask_b32_e64 v87, v87, v85, s8
	v_cmp_eq_u32_e64 s10, 4, v79
	v_cndmask_b32_e64 v88, v88, v95, s7
	v_cmp_eq_u32_e64 s4, 1, v77
	v_cndmask_b32_e64 v89, v89, v84, s5
	v_cndmask_b32_e64 v81, v81, v96, s9
	v_cmp_eq_u32_e64 s11, 6, v78
	v_cndmask_b32_e64 v88, v88, v71, s10
	;; [unrolled: 3-line block ×3, first 2 shown]
	v_cndmask_b32_e64 v89, v89, v98, s7
	v_cndmask_b32_e64 v81, v81, v72, s11
	v_cmp_eq_u32_e64 s13, 7, v78
	v_cndmask_b32_e64 v88, v88, v96, s12
	v_cndmask_b32_e64 v87, v87, v86, s11
	v_cmp_eq_u32_e64 s15, 6, v79
	v_cmp_eq_u32_e64 s16, 2, v77
	v_cndmask_b32_e64 v89, v89, v85, s10
	v_cndmask_b32_e64 v101, v81, v97, s13
	;; [unrolled: 1-line block ×6, first 2 shown]
	v_cmp_eq_u32_e64 s17, 7, v79
	v_cmp_eq_u32_e64 s18, 3, v77
	;; [unrolled: 1-line block ×4, first 2 shown]
	v_cndmask_b32_e64 v87, v87, v84, s16
	v_cndmask_b32_e64 v103, v88, v97, s17
	v_cndmask_b32_e64 v88, v89, v99, s12
	v_cndmask_b32_e64 v89, v81, v95, s18
	v_or_b32_e32 v81, 3, v78
	v_cndmask_b32_e64 v93, v87, v98, s18
	v_cmp_eq_u32_e64 s23, 6, v77
	v_cndmask_b32_e64 v104, v88, v86, s15
	v_cndmask_b32_e64 v92, v89, v71, s19
	v_cmp_eq_u32_e64 s20, 1, v81
	ds_load_b128 v[87:90], v82 offset:1024
	v_cmp_eq_u32_e64 s22, 2, v81
	v_cmp_eq_u32_e64 s24, 3, v81
	v_cndmask_b32_e64 v105, v92, v96, s21
	v_cndmask_b32_e64 v66, v69, v66, s20
	;; [unrolled: 1-line block ×4, first 2 shown]
	ds_load_b128 v[91:94], v82 offset:1040
	v_cmp_eq_u32_e64 s25, 4, v81
	v_cndmask_b32_e64 v66, v66, v70, s22
	v_cmp_eq_u32_e64 s26, 7, v77
	v_cndmask_b32_e64 v70, v83, v84, s22
	v_cndmask_b32_e64 v84, v105, v72, s23
	v_cmp_eq_u32_e64 s27, 5, v81
	v_cndmask_b32_e64 v66, v66, v95, s24
	v_cmp_eq_u32_e64 s28, 6, v81
	v_cndmask_b32_e64 v70, v70, v98, s24
	v_cndmask_b32_e64 v69, v69, v99, s21
	v_cndmask_b32_e64 v83, v104, v100, s17
	v_cndmask_b32_e64 v66, v66, v71, s25
	s_waitcnt lgkmcnt(1)
	v_lshrrev_b32_e32 v95, 16, v87
	v_cndmask_b32_e64 v70, v70, v85, s25
	v_cndmask_b32_e64 v71, v84, v97, s26
	;; [unrolled: 1-line block ×4, first 2 shown]
	v_cndmask_b32_e32 v84, v87, v95, vcc_lo
	v_cndmask_b32_e64 v70, v70, v99, s27
	s_waitcnt lgkmcnt(0)
	v_lshrrev_b32_e32 v85, 16, v91
	v_lshrrev_b32_e32 v96, 16, v88
	v_cndmask_b32_e64 v98, v87, v95, s2
	v_cndmask_b32_e64 v84, v84, v88, s3
	;; [unrolled: 1-line block ×3, first 2 shown]
	v_cndmask_b32_e32 v99, v91, v85, vcc_lo
	v_cmp_eq_u32_e32 vcc_lo, 7, v81
	v_cndmask_b32_e64 v66, v66, v72, s28
	v_cndmask_b32_e64 v72, v84, v96, s6
	;; [unrolled: 1-line block ×3, first 2 shown]
	v_lshrrev_b32_e32 v98, 16, v92
	v_cndmask_b32_e32 v70, v70, v100, vcc_lo
	v_cndmask_b32_e64 v86, v99, v92, s3
	v_cndmask_b32_e64 v69, v69, v100, s26
	v_lshrrev_b32_e32 v100, 16, v93
	v_cndmask_b32_e64 v72, v72, v89, s8
	v_lshrrev_b32_e32 v99, 16, v89
	v_cndmask_b32_e64 v86, v86, v98, s6
	v_perm_b32 v71, v69, v71, 0x5040100
	v_cndmask_b32_e64 v84, v84, v96, s7
	s_delay_alu instid0(VALU_DEP_3) | instskip(NEXT) | instid1(VALU_DEP_2)
	v_cndmask_b32_e64 v86, v86, v93, s8
	v_cndmask_b32_e64 v84, v84, v89, s10
	s_delay_alu instid0(VALU_DEP_2) | instskip(NEXT) | instid1(VALU_DEP_1)
	v_cndmask_b32_e64 v86, v86, v100, s9
	v_cndmask_b32_e64 v69, v86, v94, s11
	;; [unrolled: 1-line block ×5, first 2 shown]
	s_delay_alu instid0(VALU_DEP_3) | instskip(NEXT) | instid1(VALU_DEP_3)
	v_cndmask_b32_e64 v86, v86, v88, s16
	v_cndmask_b32_e64 v87, v87, v88, s22
	s_delay_alu instid0(VALU_DEP_3) | instskip(NEXT) | instid1(VALU_DEP_3)
	v_cndmask_b32_e64 v88, v95, v92, s22
	v_cndmask_b32_e64 v86, v86, v96, s18
	;; [unrolled: 3-line block ×7, first 2 shown]
	s_delay_alu instid0(VALU_DEP_3) | instskip(SKIP_2) | instid1(VALU_DEP_2)
	v_cndmask_b32_e64 v88, v88, v94, s28
	v_cndmask_b32_e32 v66, v66, v97, vcc_lo
	v_cndmask_b32_e64 v97, v72, v99, s9
	v_perm_b32 v72, v70, v66, 0x5040100
	v_perm_b32 v70, v83, v103, 0x5040100
	v_cndmask_b32_e64 v103, v91, v85, s4
	v_cndmask_b32_e64 v85, v91, v85, s2
	;; [unrolled: 1-line block ×4, first 2 shown]
	v_lshrrev_b32_e32 v97, 16, v90
	v_cndmask_b32_e64 v91, v103, v92, s16
	v_cndmask_b32_e64 v85, v85, v92, s5
	;; [unrolled: 1-line block ×3, first 2 shown]
	s_mov_b32 s2, exec_lo
	v_cndmask_b32_e64 v83, v84, v97, s13
	v_cndmask_b32_e64 v91, v91, v98, s18
	;; [unrolled: 1-line block ×3, first 2 shown]
	v_lshrrev_b32_e32 v84, 16, v94
	v_cndmask_b32_e64 v66, v66, v97, s17
	v_cndmask_b32_e64 v90, v86, v97, s26
	;; [unrolled: 1-line block ×4, first 2 shown]
	v_dual_cndmask_b32 v86, v87, v97 :: v_dual_cndmask_b32 v87, v88, v84
	v_cndmask_b32_e64 v91, v69, v84, s13
	s_delay_alu instid0(VALU_DEP_4) | instskip(NEXT) | instid1(VALU_DEP_4)
	v_cndmask_b32_e64 v89, v89, v100, s21
	v_cndmask_b32_e64 v85, v85, v100, s12
	v_perm_b32 v69, v102, v101, 0x5040100
	v_perm_b32 v86, v87, v86, 0x5040100
	;; [unrolled: 1-line block ×3, first 2 shown]
	v_cndmask_b32_e64 v89, v89, v94, s23
	v_cndmask_b32_e64 v85, v85, v94, s15
	s_mul_i32 s7, s35, 14
	s_delay_alu instid0(VALU_DEP_2) | instskip(NEXT) | instid1(VALU_DEP_2)
	v_cndmask_b32_e64 v88, v89, v84, s26
	v_cndmask_b32_e64 v89, v85, v84, s17
	s_delay_alu instid0(VALU_DEP_2) | instskip(NEXT) | instid1(VALU_DEP_2)
	v_perm_b32 v85, v88, v90, 0x5040100
	v_perm_b32 v84, v89, v66, 0x5040100
	ds_store_b128 v76, v[69:72]
	ds_store_b128 v76, v[83:86] offset:1024
	v_cmpx_gt_u32_e32 14, v0
	s_cbranch_execz .LBB1539_78
; %bb.77:
	s_mul_i32 s3, s7, s30
	s_load_b128 s[8:11], s[0:1], 0x58
	v_add3_u32 v69, s3, s29, v65
	s_delay_alu instid0(VALU_DEP_1) | instskip(NEXT) | instid1(VALU_DEP_1)
	v_mad_u64_u32 v[65:66], null, v69, s34, s[14:15]
	v_ashrrev_i32_e32 v66, 31, v65
	s_delay_alu instid0(VALU_DEP_1) | instskip(SKIP_1) | instid1(VALU_DEP_1)
	v_lshlrev_b64 v[65:66], 2, v[65:66]
	s_waitcnt lgkmcnt(0)
	v_add_co_u32 v69, vcc_lo, s10, v65
	s_delay_alu instid0(VALU_DEP_2)
	v_add_co_ci_u32_e32 v70, vcc_lo, s11, v66, vcc_lo
	v_add_co_u32 v65, vcc_lo, s8, v65
	v_add_co_ci_u32_e32 v66, vcc_lo, s9, v66, vcc_lo
	global_store_b32 v[69:70], v67, off
	global_store_b32 v[65:66], v68, off
.LBB1539_78:
	s_or_b32 exec_lo, exec_lo, s2
	s_waitcnt lgkmcnt(0)
	s_waitcnt_vscnt null, 0x0
	s_barrier
	buffer_gl0_inv
	ds_load_b128 v[83:86], v80
	ds_load_b128 v[87:90], v80 offset:16
	ds_load_b128 v[95:98], v80 offset:2064
	;; [unrolled: 1-line block ×3, first 2 shown]
	v_mov_b32_e32 v65, 0
	ds_load_b128 v[103:106], v80 offset:4112
	ds_load_b128 v[99:102], v80 offset:4096
	;; [unrolled: 1-line block ×4, first 2 shown]
	v_mov_b32_e32 v66, v65
	v_mov_b32_e32 v67, v65
	;; [unrolled: 1-line block ×7, first 2 shown]
	s_waitcnt lgkmcnt(6)
	s_delay_alu instid0(VALU_DEP_1)
	v_wmma_f32_16x16x16_bf16 v[65:72], v[49:56], v[83:90], v[65:72]
	ds_load_b128 v[53:56], v80 offset:8208
	ds_load_b128 v[49:52], v80 offset:8192
	s_waitcnt lgkmcnt(6)
	v_wmma_f32_16x16x16_bf16 v[65:72], v[41:48], v[91:98], v[65:72]
	ds_load_b128 v[45:48], v80 offset:10256
	ds_load_b128 v[41:44], v80 offset:10240
	s_waitcnt lgkmcnt(6)
	;; [unrolled: 4-line block ×4, first 2 shown]
	v_wmma_f32_16x16x16_bf16 v[65:72], v[1:8], v[49:56], v[65:72]
	s_waitcnt lgkmcnt(4)
	s_delay_alu instid0(VALU_DEP_1) | instskip(SKIP_1) | instid1(VALU_DEP_1)
	v_wmma_f32_16x16x16_bf16 v[65:72], v[9:16], v[41:48], v[65:72]
	s_waitcnt lgkmcnt(2)
	v_wmma_f32_16x16x16_bf16 v[65:72], v[17:24], v[33:40], v[65:72]
	s_waitcnt lgkmcnt(0)
	s_delay_alu instid0(VALU_DEP_1) | instskip(NEXT) | instid1(VALU_DEP_1)
	v_wmma_f32_16x16x16_bf16 v[65:72], v[57:64], v[25:32], v[65:72]
	v_and_b32_e32 v1, 0x7f800000, v65
	s_delay_alu instid0(VALU_DEP_1) | instskip(SKIP_1) | instid1(SALU_CYCLE_1)
	v_cmp_ne_u32_e32 vcc_lo, 0x7f800000, v1
                                        ; implicit-def: $vgpr1
	s_and_saveexec_b32 s2, vcc_lo
	s_xor_b32 s2, exec_lo, s2
; %bb.79:
	v_bfe_u32 v1, v65, 16, 1
	s_delay_alu instid0(VALU_DEP_1)
	v_add3_u32 v1, v65, v1, 0x7fff
; %bb.80:
	s_and_not1_saveexec_b32 s2, s2
; %bb.81:
	v_and_b32_e32 v1, 0xffff, v65
	v_or_b32_e32 v2, 0x10000, v65
	s_delay_alu instid0(VALU_DEP_2) | instskip(NEXT) | instid1(VALU_DEP_2)
	v_cmp_eq_u32_e32 vcc_lo, 0, v1
	v_cndmask_b32_e32 v1, v2, v65, vcc_lo
; %bb.82:
	s_or_b32 exec_lo, exec_lo, s2
	v_and_b32_e32 v2, 0x7f800000, v66
	s_delay_alu instid0(VALU_DEP_1) | instskip(SKIP_1) | instid1(SALU_CYCLE_1)
	v_cmp_ne_u32_e32 vcc_lo, 0x7f800000, v2
                                        ; implicit-def: $vgpr2
	s_and_saveexec_b32 s2, vcc_lo
	s_xor_b32 s2, exec_lo, s2
; %bb.83:
	v_bfe_u32 v2, v66, 16, 1
	s_delay_alu instid0(VALU_DEP_1)
	v_add3_u32 v2, v66, v2, 0x7fff
; %bb.84:
	s_and_not1_saveexec_b32 s2, s2
; %bb.85:
	v_and_b32_e32 v2, 0xffff, v66
	v_or_b32_e32 v3, 0x10000, v66
	s_delay_alu instid0(VALU_DEP_2) | instskip(NEXT) | instid1(VALU_DEP_2)
	v_cmp_eq_u32_e32 vcc_lo, 0, v2
	v_cndmask_b32_e32 v2, v3, v66, vcc_lo
; %bb.86:
	s_or_b32 exec_lo, exec_lo, s2
	v_and_b32_e32 v3, 0x7f800000, v67
	s_delay_alu instid0(VALU_DEP_1) | instskip(SKIP_1) | instid1(SALU_CYCLE_1)
	v_cmp_ne_u32_e32 vcc_lo, 0x7f800000, v3
                                        ; implicit-def: $vgpr3
	s_and_saveexec_b32 s2, vcc_lo
	s_xor_b32 s2, exec_lo, s2
; %bb.87:
	v_bfe_u32 v3, v67, 16, 1
	s_delay_alu instid0(VALU_DEP_1)
	v_add3_u32 v3, v67, v3, 0x7fff
; %bb.88:
	s_and_not1_saveexec_b32 s2, s2
; %bb.89:
	v_and_b32_e32 v3, 0xffff, v67
	v_or_b32_e32 v4, 0x10000, v67
	s_delay_alu instid0(VALU_DEP_2) | instskip(NEXT) | instid1(VALU_DEP_2)
	v_cmp_eq_u32_e32 vcc_lo, 0, v3
	v_cndmask_b32_e32 v3, v4, v67, vcc_lo
; %bb.90:
	s_or_b32 exec_lo, exec_lo, s2
	v_and_b32_e32 v4, 0x7f800000, v68
	s_delay_alu instid0(VALU_DEP_1) | instskip(SKIP_1) | instid1(SALU_CYCLE_1)
	v_cmp_ne_u32_e32 vcc_lo, 0x7f800000, v4
                                        ; implicit-def: $vgpr4
	s_and_saveexec_b32 s2, vcc_lo
	s_xor_b32 s2, exec_lo, s2
; %bb.91:
	v_bfe_u32 v4, v68, 16, 1
	s_delay_alu instid0(VALU_DEP_1)
	v_add3_u32 v4, v68, v4, 0x7fff
; %bb.92:
	s_and_not1_saveexec_b32 s2, s2
; %bb.93:
	v_and_b32_e32 v4, 0xffff, v68
	v_or_b32_e32 v5, 0x10000, v68
	s_delay_alu instid0(VALU_DEP_2) | instskip(NEXT) | instid1(VALU_DEP_2)
	v_cmp_eq_u32_e32 vcc_lo, 0, v4
	v_cndmask_b32_e32 v4, v5, v68, vcc_lo
; %bb.94:
	s_or_b32 exec_lo, exec_lo, s2
	v_and_b32_e32 v5, 0x7f800000, v69
	s_delay_alu instid0(VALU_DEP_1) | instskip(SKIP_1) | instid1(SALU_CYCLE_1)
	v_cmp_ne_u32_e32 vcc_lo, 0x7f800000, v5
                                        ; implicit-def: $vgpr5
	s_and_saveexec_b32 s2, vcc_lo
	s_xor_b32 s2, exec_lo, s2
; %bb.95:
	v_bfe_u32 v5, v69, 16, 1
	s_delay_alu instid0(VALU_DEP_1)
	v_add3_u32 v5, v69, v5, 0x7fff
; %bb.96:
	s_and_not1_saveexec_b32 s2, s2
; %bb.97:
	v_and_b32_e32 v5, 0xffff, v69
	v_or_b32_e32 v6, 0x10000, v69
	s_delay_alu instid0(VALU_DEP_2) | instskip(NEXT) | instid1(VALU_DEP_2)
	v_cmp_eq_u32_e32 vcc_lo, 0, v5
	v_cndmask_b32_e32 v5, v6, v69, vcc_lo
; %bb.98:
	s_or_b32 exec_lo, exec_lo, s2
	v_and_b32_e32 v6, 0x7f800000, v70
	s_delay_alu instid0(VALU_DEP_1) | instskip(SKIP_1) | instid1(SALU_CYCLE_1)
	v_cmp_ne_u32_e32 vcc_lo, 0x7f800000, v6
                                        ; implicit-def: $vgpr6
	s_and_saveexec_b32 s2, vcc_lo
	s_xor_b32 s2, exec_lo, s2
; %bb.99:
	v_bfe_u32 v6, v70, 16, 1
	s_delay_alu instid0(VALU_DEP_1)
	v_add3_u32 v6, v70, v6, 0x7fff
; %bb.100:
	s_and_not1_saveexec_b32 s2, s2
; %bb.101:
	v_and_b32_e32 v6, 0xffff, v70
	v_or_b32_e32 v7, 0x10000, v70
	s_delay_alu instid0(VALU_DEP_2) | instskip(NEXT) | instid1(VALU_DEP_2)
	v_cmp_eq_u32_e32 vcc_lo, 0, v6
	v_cndmask_b32_e32 v6, v7, v70, vcc_lo
; %bb.102:
	s_or_b32 exec_lo, exec_lo, s2
	v_and_b32_e32 v7, 0x7f800000, v71
	s_delay_alu instid0(VALU_DEP_1) | instskip(SKIP_1) | instid1(SALU_CYCLE_1)
	v_cmp_ne_u32_e32 vcc_lo, 0x7f800000, v7
                                        ; implicit-def: $vgpr7
	s_and_saveexec_b32 s2, vcc_lo
	s_xor_b32 s2, exec_lo, s2
; %bb.103:
	v_bfe_u32 v7, v71, 16, 1
	s_delay_alu instid0(VALU_DEP_1)
	v_add3_u32 v7, v71, v7, 0x7fff
; %bb.104:
	s_and_not1_saveexec_b32 s2, s2
; %bb.105:
	v_and_b32_e32 v7, 0xffff, v71
	v_or_b32_e32 v8, 0x10000, v71
	s_delay_alu instid0(VALU_DEP_2) | instskip(NEXT) | instid1(VALU_DEP_2)
	v_cmp_eq_u32_e32 vcc_lo, 0, v7
	v_cndmask_b32_e32 v7, v8, v71, vcc_lo
; %bb.106:
	s_or_b32 exec_lo, exec_lo, s2
	v_and_b32_e32 v8, 0x7f800000, v72
	s_delay_alu instid0(VALU_DEP_1) | instskip(SKIP_1) | instid1(SALU_CYCLE_1)
	v_cmp_ne_u32_e32 vcc_lo, 0x7f800000, v8
                                        ; implicit-def: $vgpr8
	s_and_saveexec_b32 s2, vcc_lo
	s_xor_b32 s2, exec_lo, s2
; %bb.107:
	v_bfe_u32 v8, v72, 16, 1
	s_delay_alu instid0(VALU_DEP_1)
	v_add3_u32 v8, v72, v8, 0x7fff
                                        ; implicit-def: $vgpr65_vgpr66_vgpr67_vgpr68_vgpr69_vgpr70_vgpr71_vgpr72
; %bb.108:
	s_and_not1_saveexec_b32 s2, s2
; %bb.109:
	v_and_b32_e32 v8, 0xffff, v72
	v_or_b32_e32 v9, 0x10000, v72
	s_delay_alu instid0(VALU_DEP_2) | instskip(NEXT) | instid1(VALU_DEP_2)
	v_cmp_eq_u32_e32 vcc_lo, 0, v8
	v_cndmask_b32_e32 v8, v9, v72, vcc_lo
; %bb.110:
	s_or_b32 exec_lo, exec_lo, s2
	s_delay_alu instid0(VALU_DEP_1)
	v_perm_b32 v7, v8, v7, 0x7060302
	v_perm_b32 v6, v6, v5, 0x7060302
	;; [unrolled: 1-line block ×4, first 2 shown]
	s_barrier
	buffer_gl0_inv
	v_cmp_eq_u32_e32 vcc_lo, 1, v78
	ds_store_b128 v76, v[4:7]
	s_waitcnt lgkmcnt(0)
	s_barrier
	buffer_gl0_inv
	ds_load_b128 v[1:4], v82
	ds_load_b128 v[5:8], v82 offset:16
	v_cmp_eq_u32_e64 s2, 1, v79
	v_cmp_eq_u32_e64 s3, 2, v78
	;; [unrolled: 1-line block ×5, first 2 shown]
	s_waitcnt lgkmcnt(1)
	v_lshrrev_b32_e32 v9, 16, v1
	s_waitcnt lgkmcnt(0)
	v_lshrrev_b32_e32 v13, 16, v5
	v_lshrrev_b32_e32 v10, 16, v2
	;; [unrolled: 1-line block ×4, first 2 shown]
	v_cndmask_b32_e64 v19, v1, v9, s2
	v_cndmask_b32_e32 v18, v5, v13, vcc_lo
	v_cndmask_b32_e64 v20, v5, v13, s2
	v_cndmask_b32_e32 v17, v1, v9, vcc_lo
	v_cmp_eq_u32_e32 vcc_lo, 2, v79
	v_lshrrev_b32_e32 v15, 16, v7
	v_cmp_eq_u32_e64 s2, 1, v77
	v_lshrrev_b32_e32 v12, 16, v4
	v_lshrrev_b32_e32 v16, 16, v8
	v_cndmask_b32_e32 v20, v20, v6, vcc_lo
	v_cndmask_b32_e64 v17, v17, v2, s3
	v_cndmask_b32_e32 v19, v19, v2, vcc_lo
	v_cndmask_b32_e64 v18, v18, v6, s3
	v_cmp_eq_u32_e32 vcc_lo, 4, v78
	v_cmp_eq_u32_e64 s3, 3, v79
	v_cndmask_b32_e64 v17, v17, v10, s4
	v_cndmask_b32_e64 v21, v1, v9, s2
	;; [unrolled: 1-line block ×5, first 2 shown]
	v_cndmask_b32_e32 v17, v17, v3, vcc_lo
	v_cndmask_b32_e64 v20, v20, v14, s3
	v_cndmask_b32_e32 v18, v18, v7, vcc_lo
	v_cmp_eq_u32_e32 vcc_lo, 4, v79
	v_cmp_eq_u32_e64 s3, 5, v79
	v_cmp_eq_u32_e64 s2, 2, v81
	v_cndmask_b32_e64 v21, v21, v2, s6
	v_cmp_eq_u32_e64 s4, 5, v78
	v_cndmask_b32_e32 v19, v19, v3, vcc_lo
	v_cndmask_b32_e32 v20, v20, v7, vcc_lo
	v_cmp_eq_u32_e32 vcc_lo, 6, v79
	s_delay_alu instid0(VALU_DEP_4) | instskip(NEXT) | instid1(VALU_DEP_4)
	v_cndmask_b32_e64 v17, v17, v11, s4
	v_cndmask_b32_e64 v19, v19, v11, s3
	s_delay_alu instid0(VALU_DEP_4) | instskip(SKIP_1) | instid1(VALU_DEP_3)
	v_cndmask_b32_e64 v20, v20, v15, s3
	v_cmp_eq_u32_e64 s3, 1, v81
	v_cndmask_b32_e32 v19, v19, v4, vcc_lo
	v_cndmask_b32_e64 v18, v18, v15, s4
	s_delay_alu instid0(VALU_DEP_3)
	v_cndmask_b32_e64 v1, v1, v9, s3
	v_cndmask_b32_e64 v5, v5, v13, s3
	v_cmp_eq_u32_e64 s3, 3, v77
	v_cndmask_b32_e64 v13, v22, v6, s6
	v_cmp_eq_u32_e64 s6, 3, v81
	v_cndmask_b32_e64 v1, v1, v2, s2
	v_cndmask_b32_e64 v2, v5, v6, s2
	v_cndmask_b32_e64 v9, v21, v10, s3
	v_cmp_eq_u32_e64 s2, 4, v77
	v_cndmask_b32_e64 v6, v13, v14, s3
	v_cndmask_b32_e64 v1, v1, v10, s6
	v_cmp_eq_u32_e64 s3, 4, v81
	v_cndmask_b32_e64 v2, v2, v14, s6
	v_cndmask_b32_e64 v5, v9, v3, s2
	;; [unrolled: 3-line block ×3, first 2 shown]
	v_cndmask_b32_e64 v2, v2, v7, s3
	v_cmp_eq_u32_e64 s2, 5, v81
	v_cmp_eq_u32_e64 s4, 6, v78
	v_cndmask_b32_e64 v5, v5, v11, s6
	v_cmp_eq_u32_e64 s3, 6, v77
	v_cndmask_b32_e64 v3, v6, v15, s6
	v_cndmask_b32_e64 v1, v1, v11, s2
	v_cmp_eq_u32_e64 s6, 6, v81
	v_cndmask_b32_e64 v2, v2, v15, s2
	v_cndmask_b32_e64 v17, v17, v4, s4
	v_cndmask_b32_e64 v18, v18, v8, s4
	v_cmp_eq_u32_e64 s4, 7, v78
	v_cndmask_b32_e64 v5, v5, v4, s3
	;; [unrolled: 4-line block ×3, first 2 shown]
	v_cmp_eq_u32_e64 s3, 7, v77
	v_cndmask_b32_e32 v4, v20, v8, vcc_lo
	v_cndmask_b32_e64 v17, v17, v12, s4
	v_cndmask_b32_e64 v19, v19, v12, s5
	;; [unrolled: 1-line block ×8, first 2 shown]
	s_mov_b32 s2, exec_lo
	v_perm_b32 v4, v2, v1, 0x5040100
	v_perm_b32 v3, v3, v5, 0x5040100
	;; [unrolled: 1-line block ×4, first 2 shown]
	ds_store_b128 v76, v[1:4]
	s_waitcnt lgkmcnt(0)
	s_barrier
	buffer_gl0_inv
	v_cmpx_gt_u32_e32 32, v0
	s_cbranch_execz .LBB1539_2
; %bb.111:
	s_load_b64 s[0:1], s[0:1], 0x68
	v_lshlrev_b32_e32 v0, 10, v0
	s_lshl_b32 s4, s34, 7
	v_or_b32_e32 v3, s29, v74
	s_mul_i32 s2, s4, s30
	v_lshlrev_b32_e32 v1, 4, v75
	v_lshlrev_b32_e32 v2, 6, v74
	v_and_b32_e32 v0, 0x3800, v0
	s_mul_i32 s2, s2, s7
	v_mul_lo_u32 v8, v3, s4
	s_ashr_i32 s3, s2, 31
	s_delay_alu instid0(SALU_CYCLE_1)
	s_lshl_b64 s[2:3], s[2:3], 1
	v_or3_b32 v16, v0, v1, v2
	ds_load_b128 v[0:3], v16
	ds_load_b128 v[4:7], v16 offset:128
	v_ashrrev_i32_e32 v9, 31, v8
	s_waitcnt lgkmcnt(0)
	s_add_u32 s2, s0, s2
	s_addc_u32 s3, s1, s3
	s_lshl_b32 s0, s14, 7
	s_delay_alu instid0(SALU_CYCLE_1) | instskip(SKIP_2) | instid1(SALU_CYCLE_1)
	s_ashr_i32 s1, s0, 31
	v_lshlrev_b64 v[9:10], 1, v[8:9]
	s_lshl_b64 s[0:1], s[0:1], 1
	s_add_u32 s0, s2, s0
	s_addc_u32 s1, s3, s1
	s_lshl_b32 s2, s34, 8
	v_add_co_u32 v30, s0, s0, v73
	v_add_nc_u32_e32 v11, s2, v8
	v_add_co_ci_u32_e64 v31, null, s1, 0, s0
	s_delay_alu instid0(VALU_DEP_3) | instskip(NEXT) | instid1(VALU_DEP_3)
	v_add_co_u32 v9, vcc_lo, v30, v9
	v_add_nc_u32_e32 v8, s2, v11
	s_delay_alu instid0(VALU_DEP_3) | instskip(SKIP_1) | instid1(VALU_DEP_3)
	v_add_co_ci_u32_e32 v10, vcc_lo, v31, v10, vcc_lo
	v_ashrrev_i32_e32 v12, 31, v11
	v_add_nc_u32_e32 v13, s2, v8
	global_store_b128 v[9:10], v[0:3], off
	v_ashrrev_i32_e32 v9, 31, v8
	v_lshlrev_b64 v[11:12], 1, v[11:12]
	v_ashrrev_i32_e32 v14, 31, v13
	v_add_nc_u32_e32 v10, s2, v13
	s_delay_alu instid0(VALU_DEP_4) | instskip(NEXT) | instid1(VALU_DEP_4)
	v_lshlrev_b64 v[2:3], 1, v[8:9]
	v_add_co_u32 v0, vcc_lo, v30, v11
	s_delay_alu instid0(VALU_DEP_4)
	v_lshlrev_b64 v[8:9], 1, v[13:14]
	v_add_co_ci_u32_e32 v1, vcc_lo, v31, v12, vcc_lo
	v_ashrrev_i32_e32 v11, 31, v10
	v_add_co_u32 v22, vcc_lo, v30, v2
	v_add_nc_u32_e32 v20, s2, v10
	v_add_co_ci_u32_e32 v23, vcc_lo, v31, v3, vcc_lo
	v_add_co_u32 v24, vcc_lo, v30, v8
	global_store_b128 v[0:1], v[4:7], off
	v_add_co_ci_u32_e32 v25, vcc_lo, v31, v9, vcc_lo
	ds_load_b128 v[0:3], v16 offset:256
	ds_load_b128 v[4:7], v16 offset:384
	v_lshlrev_b64 v[26:27], 1, v[10:11]
	ds_load_b128 v[8:11], v16 offset:512
	ds_load_b128 v[12:15], v16 offset:640
	;; [unrolled: 1-line block ×3, first 2 shown]
	v_add_nc_u32_e32 v28, s2, v20
	v_ashrrev_i32_e32 v21, 31, v20
	v_add_co_u32 v26, vcc_lo, v30, v26
	s_delay_alu instid0(VALU_DEP_3) | instskip(NEXT) | instid1(VALU_DEP_3)
	v_ashrrev_i32_e32 v29, 31, v28
	v_lshlrev_b64 v[20:21], 1, v[20:21]
	v_add_co_ci_u32_e32 v27, vcc_lo, v31, v27, vcc_lo
	s_delay_alu instid0(VALU_DEP_3) | instskip(NEXT) | instid1(VALU_DEP_3)
	v_lshlrev_b64 v[28:29], 1, v[28:29]
	v_add_co_u32 v20, vcc_lo, v30, v20
	s_delay_alu instid0(VALU_DEP_4) | instskip(NEXT) | instid1(VALU_DEP_3)
	v_add_co_ci_u32_e32 v21, vcc_lo, v31, v21, vcc_lo
	v_add_co_u32 v28, vcc_lo, v30, v28
	s_delay_alu instid0(VALU_DEP_4)
	v_add_co_ci_u32_e32 v29, vcc_lo, v31, v29, vcc_lo
	s_waitcnt lgkmcnt(4)
	global_store_b128 v[22:23], v[0:3], off
	s_waitcnt lgkmcnt(3)
	global_store_b128 v[24:25], v[4:7], off
	;; [unrolled: 2-line block ×5, first 2 shown]
	s_nop 0
	s_sendmsg sendmsg(MSG_DEALLOC_VGPRS)
	s_endpgm
	.section	.rodata,"a",@progbits
	.p2align	6, 0x0
	.amdhsa_kernel _Z39paged_attention_ll4mi_QKV_mfma16_kernelI14__hip_bfloat16hLN4vllm18Fp8KVCacheDataTypeE1EhLi16ELi128ELi256ELb0ELi14EL8MFMAType1EEvPKT_PKT0_S9_ifPKiSB_SB_iPKfiiiPfSE_PS4_PT2_iSD_SD_
		.amdhsa_group_segment_fixed_size 17472
		.amdhsa_private_segment_fixed_size 0
		.amdhsa_kernarg_size 400
		.amdhsa_user_sgpr_count 13
		.amdhsa_user_sgpr_dispatch_ptr 0
		.amdhsa_user_sgpr_queue_ptr 0
		.amdhsa_user_sgpr_kernarg_segment_ptr 1
		.amdhsa_user_sgpr_dispatch_id 0
		.amdhsa_user_sgpr_private_segment_size 0
		.amdhsa_wavefront_size32 1
		.amdhsa_uses_dynamic_stack 0
		.amdhsa_enable_private_segment 0
		.amdhsa_system_sgpr_workgroup_id_x 1
		.amdhsa_system_sgpr_workgroup_id_y 1
		.amdhsa_system_sgpr_workgroup_id_z 1
		.amdhsa_system_sgpr_workgroup_info 0
		.amdhsa_system_vgpr_workitem_id 0
		.amdhsa_next_free_vgpr 140
		.amdhsa_next_free_sgpr 36
		.amdhsa_reserve_vcc 1
		.amdhsa_float_round_mode_32 0
		.amdhsa_float_round_mode_16_64 0
		.amdhsa_float_denorm_mode_32 3
		.amdhsa_float_denorm_mode_16_64 3
		.amdhsa_dx10_clamp 1
		.amdhsa_ieee_mode 1
		.amdhsa_fp16_overflow 0
		.amdhsa_workgroup_processor_mode 1
		.amdhsa_memory_ordered 1
		.amdhsa_forward_progress 0
		.amdhsa_shared_vgpr_count 0
		.amdhsa_exception_fp_ieee_invalid_op 0
		.amdhsa_exception_fp_denorm_src 0
		.amdhsa_exception_fp_ieee_div_zero 0
		.amdhsa_exception_fp_ieee_overflow 0
		.amdhsa_exception_fp_ieee_underflow 0
		.amdhsa_exception_fp_ieee_inexact 0
		.amdhsa_exception_int_div_zero 0
	.end_amdhsa_kernel
	.section	.text._Z39paged_attention_ll4mi_QKV_mfma16_kernelI14__hip_bfloat16hLN4vllm18Fp8KVCacheDataTypeE1EhLi16ELi128ELi256ELb0ELi14EL8MFMAType1EEvPKT_PKT0_S9_ifPKiSB_SB_iPKfiiiPfSE_PS4_PT2_iSD_SD_,"axG",@progbits,_Z39paged_attention_ll4mi_QKV_mfma16_kernelI14__hip_bfloat16hLN4vllm18Fp8KVCacheDataTypeE1EhLi16ELi128ELi256ELb0ELi14EL8MFMAType1EEvPKT_PKT0_S9_ifPKiSB_SB_iPKfiiiPfSE_PS4_PT2_iSD_SD_,comdat
.Lfunc_end1539:
	.size	_Z39paged_attention_ll4mi_QKV_mfma16_kernelI14__hip_bfloat16hLN4vllm18Fp8KVCacheDataTypeE1EhLi16ELi128ELi256ELb0ELi14EL8MFMAType1EEvPKT_PKT0_S9_ifPKiSB_SB_iPKfiiiPfSE_PS4_PT2_iSD_SD_, .Lfunc_end1539-_Z39paged_attention_ll4mi_QKV_mfma16_kernelI14__hip_bfloat16hLN4vllm18Fp8KVCacheDataTypeE1EhLi16ELi128ELi256ELb0ELi14EL8MFMAType1EEvPKT_PKT0_S9_ifPKiSB_SB_iPKfiiiPfSE_PS4_PT2_iSD_SD_
                                        ; -- End function
	.section	.AMDGPU.csdata,"",@progbits
; Kernel info:
; codeLenInByte = 9008
; NumSgprs: 38
; NumVgprs: 140
; ScratchSize: 0
; MemoryBound: 0
; FloatMode: 240
; IeeeMode: 1
; LDSByteSize: 17472 bytes/workgroup (compile time only)
; SGPRBlocks: 4
; VGPRBlocks: 17
; NumSGPRsForWavesPerEU: 38
; NumVGPRsForWavesPerEU: 140
; Occupancy: 10
; WaveLimiterHint : 1
; COMPUTE_PGM_RSRC2:SCRATCH_EN: 0
; COMPUTE_PGM_RSRC2:USER_SGPR: 13
; COMPUTE_PGM_RSRC2:TRAP_HANDLER: 0
; COMPUTE_PGM_RSRC2:TGID_X_EN: 1
; COMPUTE_PGM_RSRC2:TGID_Y_EN: 1
; COMPUTE_PGM_RSRC2:TGID_Z_EN: 1
; COMPUTE_PGM_RSRC2:TIDIG_COMP_CNT: 0
	.section	.text._Z39paged_attention_ll4mi_QKV_mfma16_kernelI14__hip_bfloat16hLN4vllm18Fp8KVCacheDataTypeE1EhLi16ELi128ELi256ELb0ELi15EL8MFMAType1EEvPKT_PKT0_S9_ifPKiSB_SB_iPKfiiiPfSE_PS4_PT2_iSD_SD_,"axG",@progbits,_Z39paged_attention_ll4mi_QKV_mfma16_kernelI14__hip_bfloat16hLN4vllm18Fp8KVCacheDataTypeE1EhLi16ELi128ELi256ELb0ELi15EL8MFMAType1EEvPKT_PKT0_S9_ifPKiSB_SB_iPKfiiiPfSE_PS4_PT2_iSD_SD_,comdat
	.protected	_Z39paged_attention_ll4mi_QKV_mfma16_kernelI14__hip_bfloat16hLN4vllm18Fp8KVCacheDataTypeE1EhLi16ELi128ELi256ELb0ELi15EL8MFMAType1EEvPKT_PKT0_S9_ifPKiSB_SB_iPKfiiiPfSE_PS4_PT2_iSD_SD_ ; -- Begin function _Z39paged_attention_ll4mi_QKV_mfma16_kernelI14__hip_bfloat16hLN4vllm18Fp8KVCacheDataTypeE1EhLi16ELi128ELi256ELb0ELi15EL8MFMAType1EEvPKT_PKT0_S9_ifPKiSB_SB_iPKfiiiPfSE_PS4_PT2_iSD_SD_
	.globl	_Z39paged_attention_ll4mi_QKV_mfma16_kernelI14__hip_bfloat16hLN4vllm18Fp8KVCacheDataTypeE1EhLi16ELi128ELi256ELb0ELi15EL8MFMAType1EEvPKT_PKT0_S9_ifPKiSB_SB_iPKfiiiPfSE_PS4_PT2_iSD_SD_
	.p2align	8
	.type	_Z39paged_attention_ll4mi_QKV_mfma16_kernelI14__hip_bfloat16hLN4vllm18Fp8KVCacheDataTypeE1EhLi16ELi128ELi256ELb0ELi15EL8MFMAType1EEvPKT_PKT0_S9_ifPKiSB_SB_iPKfiiiPfSE_PS4_PT2_iSD_SD_,@function
_Z39paged_attention_ll4mi_QKV_mfma16_kernelI14__hip_bfloat16hLN4vllm18Fp8KVCacheDataTypeE1EhLi16ELi128ELi256ELb0ELi15EL8MFMAType1EEvPKT_PKT0_S9_ifPKiSB_SB_iPKfiiiPfSE_PS4_PT2_iSD_SD_: ; @_Z39paged_attention_ll4mi_QKV_mfma16_kernelI14__hip_bfloat16hLN4vllm18Fp8KVCacheDataTypeE1EhLi16ELi128ELi256ELb0ELi15EL8MFMAType1EEvPKT_PKT0_S9_ifPKiSB_SB_iPKfiiiPfSE_PS4_PT2_iSD_SD_
; %bb.0:
	s_load_b64 s[4:5], s[0:1], 0x30
	s_mov_b32 s30, s13
	s_waitcnt lgkmcnt(0)
	s_cmp_lg_u64 s[4:5], 0
	s_cselect_b32 s13, -1, 0
	s_ashr_i32 s31, s30, 31
	s_cmp_eq_u64 s[4:5], 0
	s_cbranch_scc1 .LBB1540_3
; %bb.1:
	s_lshl_b64 s[2:3], s[30:31], 2
	s_delay_alu instid0(SALU_CYCLE_1) | instskip(SKIP_4) | instid1(SALU_CYCLE_1)
	s_add_u32 s2, s4, s2
	s_addc_u32 s3, s5, s3
	s_load_b64 s[2:3], s[2:3], 0x0
	s_waitcnt lgkmcnt(0)
	s_sub_i32 s2, s3, s2
	s_cmp_eq_u32 s2, 1
	s_cselect_b32 s2, -1, 0
	s_delay_alu instid0(SALU_CYCLE_1)
	s_and_not1_b32 vcc_lo, exec_lo, s2
	s_cbranch_vccz .LBB1540_4
.LBB1540_2:
	s_nop 0
	s_sendmsg sendmsg(MSG_DEALLOC_VGPRS)
	s_endpgm
.LBB1540_3:
.LBB1540_4:
	s_load_b64 s[2:3], s[0:1], 0x28
	s_lshl_b64 s[6:7], s[30:31], 2
	s_waitcnt lgkmcnt(0)
	s_add_u32 s2, s2, s6
	s_addc_u32 s3, s3, s7
	s_lshl_b32 s12, s14, 8
	s_load_b32 s17, s[2:3], 0x0
	s_waitcnt lgkmcnt(0)
	s_cmp_ge_i32 s12, s17
	s_cbranch_scc1 .LBB1540_2
; %bb.5:
	s_clause 0x1
	s_load_b128 s[8:11], s[0:1], 0x8
	s_load_b64 s[2:3], s[0:1], 0x20
	s_and_not1_b32 vcc_lo, exec_lo, s13
	s_cbranch_vccnz .LBB1540_7
; %bb.6:
	s_add_u32 s4, s4, s6
	s_addc_u32 s5, s5, s7
	s_load_b32 s13, s[4:5], 0x0
	s_branch .LBB1540_8
.LBB1540_7:
	s_mov_b32 s13, s30
.LBB1540_8:
	s_load_b128 s[4:7], s[0:1], 0x48
	v_and_b32_e32 v65, 15, v0
	v_lshrrev_b32_e32 v66, 5, v0
	v_bfe_u32 v74, v0, 4, 1
	v_and_b32_e32 v67, 31, v0
	v_and_b32_e32 v75, 1, v0
	v_lshlrev_b32_e32 v2, 3, v65
	s_mul_i32 s31, s15, 15
	v_lshl_or_b32 v1, v66, 1, v74
	s_waitcnt lgkmcnt(0)
	s_mov_b32 s7, exec_lo
	v_lshlrev_b32_e32 v73, 1, v2
	s_delay_alu instid0(VALU_DEP_2)
	v_cmpx_gt_u32_e32 15, v1
	s_cbranch_execz .LBB1540_10
; %bb.9:
	s_load_b64 s[18:19], s[0:1], 0x0
	v_add_lshl_u32 v2, v1, s31, 7
	s_mul_hi_i32 s21, s13, s4
	s_mul_i32 s20, s13, s4
	v_lshlrev_b32_e32 v6, 10, v65
	s_lshl_b64 s[20:21], s[20:21], 1
	v_ashrrev_i32_e32 v3, 31, v2
	v_lshlrev_b32_e32 v1, 6, v1
	v_lshlrev_b32_e32 v7, 10, v75
	v_and_b32_e32 v6, 0x3800, v6
	s_delay_alu instid0(VALU_DEP_4) | instskip(NEXT) | instid1(VALU_DEP_2)
	v_lshlrev_b64 v[2:3], 1, v[2:3]
	v_or3_b32 v1, v6, v7, v1
	s_waitcnt lgkmcnt(0)
	s_add_u32 s4, s18, s20
	s_addc_u32 s13, s19, s21
	s_delay_alu instid0(VALU_DEP_2) | instskip(SKIP_1) | instid1(VALU_DEP_2)
	v_add_co_u32 v2, vcc_lo, s4, v2
	v_add_co_ci_u32_e32 v3, vcc_lo, s13, v3, vcc_lo
	v_add_co_u32 v2, vcc_lo, v2, v73
	s_delay_alu instid0(VALU_DEP_2)
	v_add_co_ci_u32_e32 v3, vcc_lo, 0, v3, vcc_lo
	global_load_b128 v[2:5], v[2:3], off
	s_waitcnt vmcnt(0)
	ds_store_b128 v1, v[2:5]
.LBB1540_10:
	s_or_b32 exec_lo, exec_lo, s7
	v_and_b32_e32 v1, 0xef, v0
	s_add_i32 s4, s17, 15
	s_clause 0x1
	s_load_b32 s7, s[0:1], 0x38
	s_load_b32 s18, s[0:1], 0x1c
	s_ashr_i32 s13, s4, 31
	v_add_nc_u32_e32 v1, s12, v1
	s_lshr_b32 s13, s13, 28
	s_waitcnt lgkmcnt(0)
	s_add_i32 s4, s4, s13
	s_barrier
	v_ashrrev_i32_e32 v2, 31, v1
	v_or_b32_e32 v3, 16, v1
	s_ashr_i32 s4, s4, 4
	v_cmp_gt_i32_e32 vcc_lo, s17, v1
	s_add_i32 s4, s4, -1
	v_lshrrev_b32_e32 v2, 28, v2
	buffer_gl0_inv
	s_mul_i32 s15, s15, s6
	v_add_nc_u32_e32 v4, v1, v2
	s_mul_i32 s20, s30, s7
	s_delay_alu instid0(SALU_CYCLE_1) | instskip(NEXT) | instid1(VALU_DEP_1)
	s_ashr_i32 s21, s20, 31
	v_ashrrev_i32_e32 v4, 4, v4
	v_add_nc_u32_e32 v2, v3, v2
	s_lshl_b64 s[20:21], s[20:21], 2
	s_delay_alu instid0(SALU_CYCLE_1) | instskip(NEXT) | instid1(VALU_DEP_2)
	s_add_u32 s13, s2, s20
	v_cndmask_b32_e32 v1, s4, v4, vcc_lo
	s_delay_alu instid0(VALU_DEP_2)
	v_ashrrev_i32_e32 v2, 4, v2
	v_cmp_gt_i32_e32 vcc_lo, s17, v3
	s_addc_u32 s16, s3, s21
	s_ashr_i32 s19, s15, 31
	s_add_u32 s26, s8, s15
	s_addc_u32 s27, s9, s19
	v_cndmask_b32_e32 v3, s4, v2, vcc_lo
	v_ashrrev_i32_e32 v2, 31, v1
	s_lshl_b32 s2, s14, 4
	s_delay_alu instid0(SALU_CYCLE_1) | instskip(NEXT) | instid1(VALU_DEP_2)
	s_ashr_i32 s3, s2, 31
	v_ashrrev_i32_e32 v4, 31, v3
	s_delay_alu instid0(VALU_DEP_2) | instskip(SKIP_1) | instid1(SALU_CYCLE_1)
	v_lshlrev_b64 v[1:2], 2, v[1:2]
	s_lshl_b64 s[2:3], s[2:3], 2
	s_add_u32 s2, s13, s2
	s_delay_alu instid0(VALU_DEP_2) | instskip(SKIP_1) | instid1(VALU_DEP_2)
	v_lshlrev_b64 v[3:4], 2, v[3:4]
	s_addc_u32 s3, s16, s3
	v_add_co_u32 v1, vcc_lo, s13, v1
	v_add_co_ci_u32_e32 v2, vcc_lo, s16, v2, vcc_lo
	s_delay_alu instid0(VALU_DEP_3) | instskip(NEXT) | instid1(VALU_DEP_4)
	v_add_co_u32 v3, vcc_lo, s13, v3
	v_add_co_ci_u32_e32 v4, vcc_lo, s16, v4, vcc_lo
	s_clause 0x1
	global_load_b32 v5, v[1:2], off
	global_load_b32 v3, v[3:4], off
	s_or_b32 s6, s12, 32
	v_cmp_ne_u32_e32 vcc_lo, 15, v65
	s_ashr_i32 s7, s6, 4
	s_cmp_lt_i32 s6, s17
	s_cselect_b32 s6, s7, s4
	s_delay_alu instid0(SALU_CYCLE_1) | instskip(NEXT) | instid1(SALU_CYCLE_1)
	s_ashr_i32 s7, s6, 31
	s_lshl_b64 s[6:7], s[6:7], 2
	s_delay_alu instid0(SALU_CYCLE_1) | instskip(SKIP_2) | instid1(SALU_CYCLE_1)
	s_add_u32 s6, s13, s6
	s_addc_u32 s7, s16, s7
	s_or_b32 s8, s12, 64
	s_ashr_i32 s9, s8, 4
	s_cmp_lt_i32 s8, s17
	s_cselect_b32 s8, s9, s4
	s_delay_alu instid0(SALU_CYCLE_1) | instskip(NEXT) | instid1(SALU_CYCLE_1)
	s_ashr_i32 s9, s8, 31
	s_lshl_b64 s[8:9], s[8:9], 2
	s_delay_alu instid0(SALU_CYCLE_1) | instskip(SKIP_2) | instid1(SALU_CYCLE_1)
	s_add_u32 s8, s13, s8
	s_addc_u32 s9, s16, s9
	s_or_b32 s20, s12, 0x60
	;; [unrolled: 10-line block ×4, first 2 shown]
	s_ashr_i32 s25, s24, 4
	s_cmp_lt_i32 s24, s17
	s_cselect_b32 s24, s25, s4
	s_delay_alu instid0(SALU_CYCLE_1) | instskip(NEXT) | instid1(SALU_CYCLE_1)
	s_ashr_i32 s25, s24, 31
	s_lshl_b64 s[24:25], s[24:25], 2
	s_delay_alu instid0(SALU_CYCLE_1)
	s_add_u32 s24, s13, s24
	s_addc_u32 s25, s16, s25
	s_clause 0x5
	s_load_b32 s28, s[2:3], 0x0
	s_load_b32 s29, s[6:7], 0x0
	s_load_b32 s8, s[8:9], 0x0
	s_load_b32 s9, s[20:21], 0x0
	s_load_b32 s33, s[22:23], 0x0
	s_load_b32 s34, s[24:25], 0x0
	s_mov_b32 s20, 0
	s_or_b32 s2, s12, 0xc0
	s_mov_b32 s21, s20
	s_mov_b32 s22, s20
	;; [unrolled: 1-line block ×5, first 2 shown]
	v_lshlrev_b32_e32 v1, 4, v0
	s_ashr_i32 s3, s2, 4
	s_cmp_lt_i32 s2, s17
	s_cselect_b32 s2, s3, s4
	s_delay_alu instid0(VALU_DEP_1) | instskip(SKIP_1) | instid1(SALU_CYCLE_1)
	v_and_b32_e32 v1, 0xf0, v1
	s_ashr_i32 s3, s2, 31
	s_lshl_b64 s[2:3], s[2:3], 2
	s_delay_alu instid0(VALU_DEP_1) | instskip(NEXT) | instid1(VALU_DEP_1)
	v_add_co_u32 v1, s26, s26, v1
	v_add_co_ci_u32_e64 v2, null, s27, 0, s26
	s_add_u32 s2, s13, s2
	s_addc_u32 s3, s16, s3
	s_or_b32 s6, s12, 0xe0
	s_mov_b32 s27, s20
	s_ashr_i32 s7, s6, 4
	s_cmp_lt_i32 s6, s17
	s_mov_b32 s26, s20
	s_cselect_b32 s6, s7, s4
	s_delay_alu instid0(SALU_CYCLE_1) | instskip(NEXT) | instid1(SALU_CYCLE_1)
	s_ashr_i32 s7, s6, 31
	s_lshl_b64 s[6:7], s[6:7], 2
	s_waitcnt vmcnt(1)
	v_mad_i64_i32 v[33:34], null, v5, s5, v[1:2]
	s_waitcnt vmcnt(0)
	v_mad_i64_i32 v[35:36], null, v3, s5, v[1:2]
	s_clause 0xf
	global_load_b128 v[1:4], v[33:34], off
	global_load_b128 v[5:8], v[33:34], off offset:256
	global_load_b128 v[9:12], v[35:36], off
	global_load_b128 v[13:16], v[35:36], off offset:256
	global_load_b128 v[17:20], v[33:34], off offset:512
	global_load_b128 v[21:24], v[33:34], off offset:768
	global_load_b128 v[25:28], v[35:36], off offset:512
	global_load_b128 v[29:32], v[35:36], off offset:768
	global_load_b128 v[57:60], v[33:34], off offset:1024
	global_load_b128 v[61:64], v[33:34], off offset:1280
	global_load_b128 v[76:79], v[35:36], off offset:1024
	global_load_b128 v[80:83], v[35:36], off offset:1280
	global_load_b128 v[84:87], v[33:34], off offset:1536
	global_load_b128 v[88:91], v[33:34], off offset:1792
	global_load_b128 v[92:95], v[35:36], off offset:1536
	global_load_b128 v[96:99], v[35:36], off offset:1792
	v_cndmask_b32_e32 v33, 0, v65, vcc_lo
	v_dual_mov_b32 v107, s27 :: v_dual_lshlrev_b32 v34, 4, v65
	v_dual_mov_b32 v106, s26 :: v_dual_mov_b32 v105, s25
	s_delay_alu instid0(VALU_DEP_3) | instskip(NEXT) | instid1(VALU_DEP_3)
	v_lshlrev_b32_e32 v72, 6, v33
	v_lshl_or_b32 v41, v66, 8, v34
	ds_load_b128 v[33:36], v72
	ds_load_b128 v[37:40], v72 offset:1024
	ds_load_b128 v[108:111], v72 offset:2048
	;; [unrolled: 1-line block ×3, first 2 shown]
	s_load_b32 s4, s[2:3], 0x0
	s_add_u32 s2, s13, s6
	s_addc_u32 s3, s16, s7
	ds_load_b128 v[116:119], v72 offset:4096
	ds_load_b128 v[120:123], v72 offset:5120
	s_load_b32 s2, s[2:3], 0x0
	s_add_u32 s6, s10, s15
	s_addc_u32 s7, s11, s19
	v_add_co_u32 v68, s6, s6, v41
	s_delay_alu instid0(VALU_DEP_1) | instskip(SKIP_3) | instid1(VALU_DEP_3)
	v_add_co_ci_u32_e64 v69, null, s7, 0, s6
	v_dual_mov_b32 v104, s24 :: v_dual_mov_b32 v103, s23
	v_mov_b32_e32 v102, s22
	s_waitcnt lgkmcnt(0)
	v_mad_i64_i32 v[41:42], null, s28, s5, v[68:69]
	v_mad_i64_i32 v[70:71], null, s8, s5, v[68:69]
	v_dual_mov_b32 v101, s21 :: v_dual_mov_b32 v100, s20
	v_mad_i64_i32 v[45:46], null, s29, s5, v[68:69]
	v_mad_i64_i32 v[132:133], null, s9, s5, v[68:69]
	;; [unrolled: 1-line block ×5, first 2 shown]
	s_clause 0x3
	global_load_b128 v[49:52], v[41:42], off
	global_load_b128 v[53:56], v[41:42], off offset:16
	global_load_b128 v[41:44], v[45:46], off
	global_load_b128 v[45:48], v[45:46], off offset:16
	s_waitcnt vmcnt(18)
	v_wmma_f32_16x16x16_bf16 v[124:131], v[1:8], v[33:40], v[100:107]
	s_waitcnt vmcnt(16)
	v_wmma_f32_16x16x16_bf16 v[100:107], v[9:16], v[33:40], v[100:107]
	s_clause 0x1
	global_load_b128 v[33:36], v[70:71], off
	global_load_b128 v[37:40], v[70:71], off offset:16
	v_mad_i64_i32 v[70:71], null, s2, s5, v[68:69]
	s_waitcnt vmcnt(16)
	v_wmma_f32_16x16x16_bf16 v[124:131], v[17:24], v[108:115], v[124:131]
	s_waitcnt vmcnt(14)
	v_wmma_f32_16x16x16_bf16 v[100:107], v[25:32], v[108:115], v[100:107]
	s_clause 0x7
	global_load_b128 v[25:28], v[132:133], off
	global_load_b128 v[29:32], v[132:133], off offset:16
	global_load_b128 v[1:4], v[134:135], off
	global_load_b128 v[5:8], v[134:135], off offset:16
	;; [unrolled: 2-line block ×4, first 2 shown]
	s_waitcnt vmcnt(20)
	v_wmma_f32_16x16x16_bf16 v[124:131], v[57:64], v[116:123], v[124:131]
	s_clause 0x1
	global_load_b128 v[57:60], v[70:71], off
	global_load_b128 v[61:64], v[70:71], off offset:16
	s_waitcnt vmcnt(20)
	v_wmma_f32_16x16x16_bf16 v[100:107], v[76:83], v[116:123], v[100:107]
	ds_load_b128 v[76:79], v72 offset:6144
	ds_load_b128 v[80:83], v72 offset:7168
	v_and_b32_e32 v68, 0xe0, v0
	v_mbcnt_lo_u32_b32 v69, -1, 0
	s_waitcnt vmcnt(0) lgkmcnt(0)
	s_barrier
	buffer_gl0_inv
	v_add_nc_u32_e32 v68, s12, v68
	v_xor_b32_e32 v70, 16, v69
	s_delay_alu instid0(VALU_DEP_2) | instskip(NEXT) | instid1(VALU_DEP_2)
	v_or_b32_e32 v68, v68, v74
	v_cmp_gt_i32_e32 vcc_lo, 32, v70
	s_delay_alu instid0(VALU_DEP_2)
	v_or_b32_e32 v71, 4, v68
	v_or_b32_e32 v72, 6, v68
	v_cmp_gt_i32_e64 s2, s17, v68
	v_or_b32_e32 v108, 8, v68
	v_wmma_f32_16x16x16_bf16 v[124:131], v[84:91], v[76:83], v[124:131]
	v_cndmask_b32_e32 v69, v69, v70, vcc_lo
	v_or_b32_e32 v70, 2, v68
	v_wmma_f32_16x16x16_bf16 v[100:107], v[92:99], v[76:83], v[100:107]
	v_or_b32_e32 v109, 10, v68
	v_dual_mul_f32 v80, s18, v129 :: v_dual_mul_f32 v81, s18, v128
	v_dual_mul_f32 v92, s18, v125 :: v_dual_mul_f32 v93, s18, v124
	s_delay_alu instid0(VALU_DEP_4)
	v_mul_f32_e32 v96, s18, v105
	v_cmp_gt_i32_e32 vcc_lo, s17, v70
	v_or_b32_e32 v89, 22, v68
	v_dual_mul_f32 v79, s18, v130 :: v_dual_mul_f32 v82, s18, v127
	v_dual_mul_f32 v83, s18, v126 :: v_dual_mul_f32 v94, s18, v107
	v_cndmask_b32_e64 v93, 0xff7fffff, v93, s2
	v_cndmask_b32_e32 v92, 0xff7fffff, v92, vcc_lo
	v_cmp_gt_i32_e64 s3, s17, v71
	v_cmp_gt_i32_e64 s4, s17, v72
	v_or_b32_e32 v84, 12, v68
	v_or_b32_e32 v85, 14, v68
	v_cmp_gt_i32_e64 s5, s17, v108
	v_cndmask_b32_e64 v71, 0xff7fffff, v83, s3
	v_cndmask_b32_e64 v72, 0xff7fffff, v82, s4
	v_cmp_gt_i32_e64 s6, s17, v109
	v_cmp_gt_i32_e64 s12, s17, v89
	v_lshlrev_b32_e32 v89, 2, v69
	v_max3_f32 v82, v93, 0xff7fffff, v92
	v_or_b32_e32 v86, 16, v68
	v_or_b32_e32 v87, 18, v68
	v_mul_f32_e32 v78, s18, v131
	v_cndmask_b32_e64 v81, 0xff7fffff, v81, s5
	v_cndmask_b32_e64 v80, 0xff7fffff, v80, s6
	v_max3_f32 v71, v82, v71, v72
	v_cmp_gt_i32_e64 s7, s17, v84
	v_cmp_gt_i32_e64 s8, s17, v85
	v_or_b32_e32 v88, 20, v68
	v_or_b32_e32 v90, 24, v68
	;; [unrolled: 1-line block ×5, first 2 shown]
	v_dual_mul_f32 v97, s18, v104 :: v_dual_mul_f32 v70, s18, v101
	v_dual_mul_f32 v99, s18, v102 :: v_dual_mul_f32 v68, s18, v100
	v_cndmask_b32_e64 v72, 0xff7fffff, v79, s7
	v_cndmask_b32_e64 v78, 0xff7fffff, v78, s8
	v_max3_f32 v71, v71, v81, v80
	v_cmp_gt_i32_e64 s9, s17, v86
	v_cmp_gt_i32_e64 s10, s17, v87
	v_dual_mul_f32 v95, s18, v106 :: v_dual_mul_f32 v98, s18, v103
	s_delay_alu instid0(VALU_DEP_4) | instskip(NEXT) | instid1(VALU_DEP_4)
	v_max3_f32 v71, v71, v72, v78
	v_cndmask_b32_e64 v68, 0xff7fffff, v68, s9
	s_delay_alu instid0(VALU_DEP_4)
	v_cndmask_b32_e64 v70, 0xff7fffff, v70, s10
	v_cmp_gt_i32_e64 s11, s17, v88
	v_cndmask_b32_e64 v78, 0xff7fffff, v98, s12
	v_cmp_gt_i32_e64 s13, s17, v90
	v_cmp_gt_i32_e64 s15, s17, v91
	v_max3_f32 v68, v71, v68, v70
	v_cndmask_b32_e64 v72, 0xff7fffff, v99, s11
	v_cmp_gt_i32_e64 s16, s17, v76
	v_cndmask_b32_e64 v70, 0xff7fffff, v97, s13
	v_cndmask_b32_e64 v71, 0xff7fffff, v96, s15
	v_cmp_gt_i32_e64 s17, s17, v77
	v_max3_f32 v68, v68, v72, v78
	v_cndmask_b32_e64 v72, 0xff7fffff, v95, s16
	s_delay_alu instid0(VALU_DEP_3) | instskip(NEXT) | instid1(VALU_DEP_3)
	v_cndmask_b32_e64 v76, 0xff7fffff, v94, s17
	v_max3_f32 v68, v68, v70, v71
	s_delay_alu instid0(VALU_DEP_1) | instskip(SKIP_3) | instid1(VALU_DEP_1)
	v_max3_f32 v68, v68, v72, v76
	ds_bpermute_b32 v69, v89, v68
	s_waitcnt lgkmcnt(0)
	v_max_f32_e32 v69, v69, v69
	v_max_f32_e32 v68, v68, v69
	s_delay_alu instid0(VALU_DEP_1) | instskip(NEXT) | instid1(VALU_DEP_1)
	v_fma_f32 v71, s18, v126, -v68
	v_mul_f32_e32 v71, 0x3fb8aa3b, v71
	v_fma_f32 v70, s18, v125, -v68
	v_fma_f32 v69, s18, v124, -v68
	;; [unrolled: 1-line block ×5, first 2 shown]
	s_delay_alu instid0(VALU_DEP_4) | instskip(SKIP_1) | instid1(VALU_DEP_3)
	v_dual_mul_f32 v70, 0x3fb8aa3b, v70 :: v_dual_mul_f32 v69, 0x3fb8aa3b, v69
	v_exp_f32_e32 v71, v71
	v_mul_f32_e32 v72, 0x3fb8aa3b, v72
	v_fma_f32 v81, s18, v105, -v68
	s_delay_alu instid0(VALU_DEP_3)
	v_exp_f32_e32 v70, v70
	v_mul_f32_e32 v77, 0x3fb8aa3b, v76
	v_exp_f32_e32 v69, v69
	v_exp_f32_e32 v72, v72
	v_mul_f32_e32 v81, 0x3fb8aa3b, v81
	v_cndmask_b32_e64 v83, 0, v71, s3
	v_fma_f32 v71, s18, v131, -v68
	s_delay_alu instid0(VALU_DEP_3) | instskip(SKIP_4) | instid1(TRANS32_DEP_3)
	v_exp_f32_e32 v81, v81
	v_cndmask_b32_e32 v76, 0, v70, vcc_lo
	v_exp_f32_e32 v77, v77
	v_cndmask_b32_e64 v80, 0, v69, s2
	v_fma_f32 v69, s18, v129, -v68
	v_cndmask_b32_e64 v85, 0, v72, s4
	v_mul_f32_e32 v71, 0x3fb8aa3b, v71
	v_fma_f32 v72, s18, v100, -v68
	s_delay_alu instid0(VALU_DEP_4) | instskip(SKIP_1) | instid1(VALU_DEP_4)
	v_dual_add_f32 v70, 0, v80 :: v_dual_mul_f32 v69, 0x3fb8aa3b, v69
	v_cmp_gt_u32_e64 s2, 16, v67
	v_exp_f32_e32 v71, v71
	s_delay_alu instid0(TRANS32_DEP_2) | instskip(SKIP_4) | instid1(VALU_DEP_3)
	v_cndmask_b32_e64 v86, 0, v77, s5
	v_fma_f32 v77, s18, v101, -v68
	v_mul_f32_e32 v78, 0x3fb8aa3b, v78
	v_add_f32_e32 v70, v70, v76
	v_exp_f32_e32 v69, v69
	v_mul_f32_e32 v77, 0x3fb8aa3b, v77
	s_delay_alu instid0(VALU_DEP_3) | instskip(NEXT) | instid1(TRANS32_DEP_3)
	v_exp_f32_e32 v78, v78
	v_cndmask_b32_e64 v88, 0, v71, s8
	v_fma_f32 v71, s18, v104, -v68
	s_delay_alu instid0(VALU_DEP_3) | instskip(NEXT) | instid1(TRANS32_DEP_3)
	v_exp_f32_e32 v77, v77
	v_cndmask_b32_e64 v87, 0, v69, s6
	s_delay_alu instid0(VALU_DEP_2)
	v_mul_f32_e32 v71, 0x3fb8aa3b, v71
	s_waitcnt_depctr 0xfff
	v_cndmask_b32_e64 v84, 0, v78, s7
	v_add_f32_e32 v70, v70, v83
	v_fma_f32 v78, s18, v103, -v68
	v_exp_f32_e32 v82, v71
	s_delay_alu instid0(VALU_DEP_2) | instskip(SKIP_1) | instid1(VALU_DEP_3)
	v_add_f32_e32 v70, v70, v85
	v_mul_f32_e32 v72, 0x3fb8aa3b, v72
	v_mul_f32_e32 v78, 0x3fb8aa3b, v78
	s_delay_alu instid0(VALU_DEP_3) | instskip(SKIP_1) | instid1(VALU_DEP_4)
	v_add_f32_e32 v69, v70, v86
	v_fma_f32 v70, s18, v102, -v68
	v_exp_f32_e32 v72, v72
	s_delay_alu instid0(VALU_DEP_3) | instskip(NEXT) | instid1(VALU_DEP_1)
	v_exp_f32_e32 v78, v78
	v_dual_add_f32 v69, v69, v87 :: v_dual_mul_f32 v70, 0x3fb8aa3b, v70
	s_delay_alu instid0(VALU_DEP_1) | instskip(NEXT) | instid1(VALU_DEP_2)
	v_add_f32_e32 v69, v69, v84
	v_exp_f32_e32 v79, v70
	s_delay_alu instid0(TRANS32_DEP_3) | instskip(NEXT) | instid1(VALU_DEP_2)
	v_cndmask_b32_e64 v70, 0, v72, s9
	v_add_f32_e32 v72, v69, v88
	v_cndmask_b32_e64 v69, 0, v77, s10
	v_fma_f32 v77, s18, v106, -v68
	s_waitcnt_depctr 0xfff
	v_cndmask_b32_e64 v71, 0, v79, s11
	v_dual_mul_f32 v77, 0x3fb8aa3b, v77 :: v_dual_add_f32 v72, v72, v70
	s_delay_alu instid0(VALU_DEP_1) | instskip(NEXT) | instid1(VALU_DEP_1)
	v_exp_f32_e32 v90, v77
	v_add_f32_e32 v79, v72, v69
	v_cndmask_b32_e64 v72, 0, v78, s12
	v_cndmask_b32_e64 v77, 0, v82, s13
	s_delay_alu instid0(VALU_DEP_3) | instskip(SKIP_1) | instid1(VALU_DEP_1)
	v_add_f32_e32 v78, v79, v71
	v_fma_f32 v79, s18, v107, -v68
	v_dual_add_f32 v82, v78, v72 :: v_dual_mul_f32 v79, 0x3fb8aa3b, v79
	v_cndmask_b32_e64 v78, 0, v81, s15
	s_delay_alu instid0(VALU_DEP_2) | instskip(NEXT) | instid1(VALU_DEP_3)
	v_add_f32_e32 v81, v82, v77
	v_exp_f32_e32 v82, v79
	v_cndmask_b32_e64 v79, 0, v90, s16
	s_delay_alu instid0(VALU_DEP_2) | instskip(NEXT) | instid1(VALU_DEP_1)
	v_add_f32_e32 v81, v81, v78
	v_add_f32_e32 v90, v81, v79
	s_waitcnt_depctr 0xfff
	v_cndmask_b32_e64 v81, 0, v82, s17
	s_delay_alu instid0(VALU_DEP_1)
	v_add_f32_e32 v82, v90, v81
	ds_bpermute_b32 v89, v89, v82
	s_and_saveexec_b32 s3, s2
	s_cbranch_execz .LBB1540_12
; %bb.11:
	v_mul_u32_u24_e32 v67, 0x44, v66
	s_delay_alu instid0(VALU_DEP_1) | instskip(SKIP_1) | instid1(VALU_DEP_1)
	v_lshl_add_u32 v67, v65, 2, v67
	s_waitcnt lgkmcnt(0)
	v_dual_add_f32 v82, v82, v89 :: v_dual_add_nc_u32 v67, 0x4000, v67
	ds_store_2addr_b32 v67, v68, v82 offset1:136
.LBB1540_12:
	s_or_b32 exec_lo, exec_lo, s3
	v_lshlrev_b32_e32 v67, 2, v65
	s_waitcnt lgkmcnt(0)
	s_barrier
	buffer_gl0_inv
	v_cmp_eq_u32_e32 vcc_lo, 1, v66
	v_add_nc_u32_e32 v82, 0x4000, v67
	v_cmp_eq_u32_e64 s3, 2, v66
	v_cmp_eq_u32_e64 s5, 7, v66
	ds_load_2addr_b32 v[89:90], v82 offset1:17
	ds_load_2addr_b32 v[91:92], v82 offset0:34 offset1:51
	ds_load_2addr_b32 v[93:94], v82 offset0:68 offset1:85
	;; [unrolled: 1-line block ×4, first 2 shown]
	s_waitcnt lgkmcnt(4)
	v_max3_f32 v67, v89, 0xff7fffff, v90
	s_waitcnt lgkmcnt(3)
	s_delay_alu instid0(VALU_DEP_1) | instskip(SKIP_1) | instid1(VALU_DEP_1)
	v_max3_f32 v67, v67, v91, v92
	s_waitcnt lgkmcnt(2)
	v_max3_f32 v67, v67, v93, v94
	s_waitcnt lgkmcnt(1)
	s_delay_alu instid0(VALU_DEP_1) | instskip(NEXT) | instid1(VALU_DEP_1)
	v_max3_f32 v67, v67, v95, v96
	v_sub_f32_e32 v93, v93, v67
	s_delay_alu instid0(VALU_DEP_1) | instskip(NEXT) | instid1(VALU_DEP_1)
	v_dual_sub_f32 v68, v89, v67 :: v_dual_mul_f32 v103, 0x3fb8aa3b, v93
	v_mul_f32_e32 v68, 0x3fb8aa3b, v68
	s_delay_alu instid0(VALU_DEP_1)
	v_exp_f32_e32 v100, v68
	v_sub_f32_e32 v68, v92, v67
	v_sub_f32_e32 v99, v90, v67
	ds_load_2addr_b32 v[89:90], v82 offset0:170 offset1:187
	v_dual_mul_f32 v102, 0x3fb8aa3b, v68 :: v_dual_mul_f32 v99, 0x3fb8aa3b, v99
	s_waitcnt lgkmcnt(1)
	v_fma_f32 v68, v100, v97, 0
	s_delay_alu instid0(VALU_DEP_2) | instskip(NEXT) | instid1(VALU_DEP_2)
	v_exp_f32_e32 v102, v102
	v_exp_f32_e32 v99, v99
	s_waitcnt_depctr 0xfff
	v_fmac_f32_e32 v68, v99, v98
	v_sub_f32_e32 v91, v91, v67
	s_delay_alu instid0(VALU_DEP_1)
	v_mul_f32_e32 v101, 0x3fb8aa3b, v91
	ds_load_2addr_b32 v[91:92], v82 offset0:204 offset1:221
	v_sub_f32_e32 v97, v94, v67
	ds_load_2addr_b32 v[93:94], v82 offset0:238 offset1:255
	s_waitcnt lgkmcnt(0)
	v_exp_f32_e32 v101, v101
	s_barrier
	buffer_gl0_inv
	v_dual_fmac_f32 v68, v101, v89 :: v_dual_sub_f32 v89, v96, v67
	v_dual_sub_f32 v82, v95, v67 :: v_dual_mul_f32 v95, 0x3fb8aa3b, v97
	v_exp_f32_e32 v97, v103
	s_delay_alu instid0(VALU_DEP_2) | instskip(NEXT) | instid1(VALU_DEP_2)
	v_dual_fmac_f32 v68, v102, v90 :: v_dual_mul_f32 v89, 0x3fb8aa3b, v89
	v_mul_f32_e32 v82, 0x3fb8aa3b, v82
	s_delay_alu instid0(VALU_DEP_3) | instskip(NEXT) | instid1(VALU_DEP_2)
	v_exp_f32_e32 v95, v95
	v_exp_f32_e32 v89, v89
	s_delay_alu instid0(VALU_DEP_1)
	v_exp_f32_e32 v82, v82
	v_fmac_f32_e32 v68, v97, v91
	s_delay_alu instid0(TRANS32_DEP_3) | instid1(VALU_DEP_1)
	v_fmac_f32_e32 v68, v95, v92
	s_waitcnt_depctr 0xfff
	v_fmac_f32_e32 v68, v82, v93
	s_delay_alu instid0(VALU_DEP_1) | instskip(NEXT) | instid1(VALU_DEP_1)
	v_fmac_f32_e32 v68, v89, v94
	v_add_f32_e32 v90, 0x358637bd, v68
	s_delay_alu instid0(VALU_DEP_1) | instskip(NEXT) | instid1(VALU_DEP_1)
	v_div_scale_f32 v91, null, v90, v90, 1.0
	v_rcp_f32_e32 v92, v91
	s_waitcnt_depctr 0xfff
	v_fma_f32 v93, -v91, v92, 1.0
	s_delay_alu instid0(VALU_DEP_1) | instskip(SKIP_1) | instid1(VALU_DEP_2)
	v_dual_fmac_f32 v92, v93, v92 :: v_dual_cndmask_b32 v93, v100, v99
	v_cmp_eq_u32_e32 vcc_lo, 3, v66
	v_cndmask_b32_e64 v93, v93, v101, s3
	v_cmp_eq_u32_e64 s3, 4, v66
	s_delay_alu instid0(VALU_DEP_2) | instskip(SKIP_1) | instid1(VALU_DEP_2)
	v_cndmask_b32_e32 v93, v93, v102, vcc_lo
	v_cmp_eq_u32_e32 vcc_lo, 5, v66
	v_cndmask_b32_e64 v93, v93, v97, s3
	v_cmp_eq_u32_e64 s3, 6, v66
	s_delay_alu instid0(VALU_DEP_2) | instskip(SKIP_1) | instid1(VALU_DEP_1)
	v_cndmask_b32_e32 v93, v93, v95, vcc_lo
	v_div_scale_f32 v94, s4, 1.0, v90, 1.0
	s_mov_b32 vcc_lo, s4
	s_delay_alu instid0(VALU_DEP_2) | instskip(NEXT) | instid1(VALU_DEP_2)
	v_cndmask_b32_e64 v82, v93, v82, s3
	v_mul_f32_e32 v96, v94, v92
	s_mov_b32 s3, exec_lo
	s_delay_alu instid0(VALU_DEP_2) | instskip(NEXT) | instid1(VALU_DEP_2)
	v_cndmask_b32_e64 v82, v82, v89, s5
	v_fma_f32 v98, -v91, v96, v94
	s_delay_alu instid0(VALU_DEP_1) | instskip(NEXT) | instid1(VALU_DEP_1)
	v_fmac_f32_e32 v96, v98, v92
	v_fma_f32 v91, -v91, v96, v94
	s_delay_alu instid0(VALU_DEP_1) | instskip(NEXT) | instid1(VALU_DEP_1)
	v_div_fmas_f32 v91, v91, v92, v96
	v_div_fixup_f32 v90, v91, v90, 1.0
	s_delay_alu instid0(VALU_DEP_1) | instskip(NEXT) | instid1(VALU_DEP_1)
	v_mul_f32_e32 v82, v82, v90
	v_mul_f32_e32 v87, v82, v87
	;; [unrolled: 1-line block ×7, first 2 shown]
	v_dual_mul_f32 v86, v82, v83 :: v_dual_and_b32 v91, 0x7f800000, v90
	v_mul_f32_e32 v85, v82, v76
                                        ; implicit-def: $vgpr76
	s_delay_alu instid0(VALU_DEP_2)
	v_cmpx_ne_u32_e32 0x7f800000, v91
	s_xor_b32 s3, exec_lo, s3
; %bb.13:
	v_bfe_u32 v76, v90, 16, 1
	s_delay_alu instid0(VALU_DEP_1)
	v_add3_u32 v76, v90, v76, 0x7fff
                                        ; implicit-def: $vgpr90
; %bb.14:
	s_and_not1_saveexec_b32 s3, s3
; %bb.15:
	v_and_b32_e32 v76, 0xffff, v90
	v_or_b32_e32 v83, 0x10000, v90
	s_delay_alu instid0(VALU_DEP_2) | instskip(NEXT) | instid1(VALU_DEP_2)
	v_cmp_eq_u32_e32 vcc_lo, 0, v76
	v_cndmask_b32_e32 v76, v83, v90, vcc_lo
; %bb.16:
	s_or_b32 exec_lo, exec_lo, s3
	v_and_b32_e32 v83, 0x7f800000, v85
	s_delay_alu instid0(VALU_DEP_1) | instskip(SKIP_1) | instid1(SALU_CYCLE_1)
	v_cmp_ne_u32_e32 vcc_lo, 0x7f800000, v83
                                        ; implicit-def: $vgpr83
	s_and_saveexec_b32 s3, vcc_lo
	s_xor_b32 s3, exec_lo, s3
; %bb.17:
	v_bfe_u32 v83, v85, 16, 1
	s_delay_alu instid0(VALU_DEP_1)
	v_add3_u32 v83, v85, v83, 0x7fff
                                        ; implicit-def: $vgpr85
; %bb.18:
	s_and_not1_saveexec_b32 s3, s3
; %bb.19:
	v_and_b32_e32 v83, 0xffff, v85
	v_or_b32_e32 v90, 0x10000, v85
	s_delay_alu instid0(VALU_DEP_2) | instskip(NEXT) | instid1(VALU_DEP_2)
	v_cmp_eq_u32_e32 vcc_lo, 0, v83
	v_cndmask_b32_e32 v83, v90, v85, vcc_lo
; %bb.20:
	s_or_b32 exec_lo, exec_lo, s3
	v_and_b32_e32 v85, 0x7f800000, v86
	s_delay_alu instid0(VALU_DEP_1) | instskip(SKIP_1) | instid1(SALU_CYCLE_1)
	v_cmp_ne_u32_e32 vcc_lo, 0x7f800000, v85
                                        ; implicit-def: $vgpr85
	s_and_saveexec_b32 s3, vcc_lo
	s_xor_b32 s3, exec_lo, s3
; %bb.21:
	v_bfe_u32 v85, v86, 16, 1
	s_delay_alu instid0(VALU_DEP_1)
	v_add3_u32 v85, v86, v85, 0x7fff
                                        ; implicit-def: $vgpr86
; %bb.22:
	s_and_not1_saveexec_b32 s3, s3
; %bb.23:
	v_and_b32_e32 v85, 0xffff, v86
	v_or_b32_e32 v90, 0x10000, v86
	s_delay_alu instid0(VALU_DEP_2) | instskip(NEXT) | instid1(VALU_DEP_2)
	v_cmp_eq_u32_e32 vcc_lo, 0, v85
	v_cndmask_b32_e32 v85, v90, v86, vcc_lo
; %bb.24:
	s_or_b32 exec_lo, exec_lo, s3
	v_and_b32_e32 v86, 0x7f800000, v89
	s_delay_alu instid0(VALU_DEP_1) | instskip(SKIP_1) | instid1(SALU_CYCLE_1)
	v_cmp_ne_u32_e32 vcc_lo, 0x7f800000, v86
                                        ; implicit-def: $vgpr86
	s_and_saveexec_b32 s3, vcc_lo
	s_xor_b32 s3, exec_lo, s3
; %bb.25:
	v_bfe_u32 v86, v89, 16, 1
	s_delay_alu instid0(VALU_DEP_1)
	v_add3_u32 v86, v89, v86, 0x7fff
                                        ; implicit-def: $vgpr89
; %bb.26:
	s_and_not1_saveexec_b32 s3, s3
; %bb.27:
	v_and_b32_e32 v86, 0xffff, v89
	v_or_b32_e32 v90, 0x10000, v89
	s_delay_alu instid0(VALU_DEP_2) | instskip(NEXT) | instid1(VALU_DEP_2)
	v_cmp_eq_u32_e32 vcc_lo, 0, v86
	v_cndmask_b32_e32 v86, v90, v89, vcc_lo
; %bb.28:
	s_or_b32 exec_lo, exec_lo, s3
	v_and_b32_e32 v89, 0x7f800000, v88
	s_delay_alu instid0(VALU_DEP_1) | instskip(SKIP_1) | instid1(SALU_CYCLE_1)
	v_cmp_ne_u32_e32 vcc_lo, 0x7f800000, v89
                                        ; implicit-def: $vgpr89
	s_and_saveexec_b32 s3, vcc_lo
	s_xor_b32 s3, exec_lo, s3
; %bb.29:
	v_bfe_u32 v89, v88, 16, 1
	s_delay_alu instid0(VALU_DEP_1)
	v_add3_u32 v89, v88, v89, 0x7fff
                                        ; implicit-def: $vgpr88
; %bb.30:
	s_and_not1_saveexec_b32 s3, s3
; %bb.31:
	v_and_b32_e32 v89, 0xffff, v88
	v_or_b32_e32 v90, 0x10000, v88
	s_delay_alu instid0(VALU_DEP_2) | instskip(NEXT) | instid1(VALU_DEP_2)
	v_cmp_eq_u32_e32 vcc_lo, 0, v89
	v_cndmask_b32_e32 v89, v90, v88, vcc_lo
; %bb.32:
	s_or_b32 exec_lo, exec_lo, s3
	v_and_b32_e32 v88, 0x7f800000, v87
	s_delay_alu instid0(VALU_DEP_1) | instskip(SKIP_1) | instid1(SALU_CYCLE_1)
	v_cmp_ne_u32_e32 vcc_lo, 0x7f800000, v88
                                        ; implicit-def: $vgpr88
	s_and_saveexec_b32 s3, vcc_lo
	s_xor_b32 s3, exec_lo, s3
; %bb.33:
	v_bfe_u32 v88, v87, 16, 1
	s_delay_alu instid0(VALU_DEP_1)
	v_add3_u32 v88, v87, v88, 0x7fff
                                        ; implicit-def: $vgpr87
; %bb.34:
	s_and_not1_saveexec_b32 s3, s3
; %bb.35:
	v_and_b32_e32 v88, 0xffff, v87
	v_or_b32_e32 v90, 0x10000, v87
	s_delay_alu instid0(VALU_DEP_2) | instskip(NEXT) | instid1(VALU_DEP_2)
	v_cmp_eq_u32_e32 vcc_lo, 0, v88
	v_cndmask_b32_e32 v88, v90, v87, vcc_lo
; %bb.36:
	s_or_b32 exec_lo, exec_lo, s3
	v_and_b32_e32 v87, 0x7f800000, v84
	s_delay_alu instid0(VALU_DEP_1) | instskip(SKIP_1) | instid1(SALU_CYCLE_1)
	v_cmp_ne_u32_e32 vcc_lo, 0x7f800000, v87
                                        ; implicit-def: $vgpr87
	s_and_saveexec_b32 s3, vcc_lo
	s_xor_b32 s3, exec_lo, s3
; %bb.37:
	v_bfe_u32 v87, v84, 16, 1
	s_delay_alu instid0(VALU_DEP_1)
	v_add3_u32 v87, v84, v87, 0x7fff
                                        ; implicit-def: $vgpr84
; %bb.38:
	s_and_not1_saveexec_b32 s3, s3
; %bb.39:
	v_and_b32_e32 v87, 0xffff, v84
	v_or_b32_e32 v90, 0x10000, v84
	s_delay_alu instid0(VALU_DEP_2) | instskip(NEXT) | instid1(VALU_DEP_2)
	v_cmp_eq_u32_e32 vcc_lo, 0, v87
	v_cndmask_b32_e32 v87, v90, v84, vcc_lo
; %bb.40:
	s_or_b32 exec_lo, exec_lo, s3
	v_and_b32_e32 v84, 0x7f800000, v80
	s_delay_alu instid0(VALU_DEP_1) | instskip(SKIP_1) | instid1(SALU_CYCLE_1)
	v_cmp_ne_u32_e32 vcc_lo, 0x7f800000, v84
                                        ; implicit-def: $vgpr84
	s_and_saveexec_b32 s3, vcc_lo
	s_xor_b32 s3, exec_lo, s3
; %bb.41:
	v_bfe_u32 v84, v80, 16, 1
	s_delay_alu instid0(VALU_DEP_1)
	v_add3_u32 v84, v80, v84, 0x7fff
                                        ; implicit-def: $vgpr80
; %bb.42:
	s_and_not1_saveexec_b32 s3, s3
; %bb.43:
	v_and_b32_e32 v84, 0xffff, v80
	v_or_b32_e32 v90, 0x10000, v80
	s_delay_alu instid0(VALU_DEP_2) | instskip(NEXT) | instid1(VALU_DEP_2)
	v_cmp_eq_u32_e32 vcc_lo, 0, v84
	v_cndmask_b32_e32 v84, v90, v80, vcc_lo
; %bb.44:
	s_or_b32 exec_lo, exec_lo, s3
	s_load_b64 s[34:35], s[0:1], 0x94
	v_lshlrev_b32_e32 v91, 4, v74
	s_delay_alu instid0(VALU_DEP_2)
	v_perm_b32 v90, v84, v87, 0x7060302
	v_dual_mul_f32 v79, v82, v79 :: v_dual_lshlrev_b32 v80, 6, v65
	v_dual_mul_f32 v77, v82, v77 :: v_dual_lshlrev_b32 v92, 11, v66
	v_mul_f32_e32 v84, v82, v70
	v_perm_b32 v89, v88, v89, 0x7060302
	v_perm_b32 v88, v86, v85, 0x7060302
	;; [unrolled: 1-line block ×3, first 2 shown]
	v_mul_f32_e32 v70, v82, v81
	v_or3_b32 v76, v91, v92, v80
	v_dual_mul_f32 v78, v82, v78 :: v_dual_and_b32 v85, 0x7f800000, v84
	v_mul_f32_e32 v83, v82, v72
	v_mul_f32_e32 v81, v82, v71
	;; [unrolled: 1-line block ×3, first 2 shown]
	s_mov_b32 s3, exec_lo
	ds_store_b128 v76, v[87:90]
                                        ; implicit-def: $vgpr69
	v_cmpx_ne_u32_e32 0x7f800000, v85
	s_xor_b32 s3, exec_lo, s3
; %bb.45:
	v_bfe_u32 v69, v84, 16, 1
	s_delay_alu instid0(VALU_DEP_1)
	v_add3_u32 v69, v84, v69, 0x7fff
                                        ; implicit-def: $vgpr84
; %bb.46:
	s_and_not1_saveexec_b32 s3, s3
; %bb.47:
	v_and_b32_e32 v69, 0xffff, v84
	v_or_b32_e32 v71, 0x10000, v84
	s_delay_alu instid0(VALU_DEP_2) | instskip(NEXT) | instid1(VALU_DEP_2)
	v_cmp_eq_u32_e32 vcc_lo, 0, v69
	v_cndmask_b32_e32 v69, v71, v84, vcc_lo
; %bb.48:
	s_or_b32 exec_lo, exec_lo, s3
	v_and_b32_e32 v71, 0x7f800000, v72
	s_delay_alu instid0(VALU_DEP_1) | instskip(SKIP_1) | instid1(SALU_CYCLE_1)
	v_cmp_ne_u32_e32 vcc_lo, 0x7f800000, v71
                                        ; implicit-def: $vgpr71
	s_and_saveexec_b32 s3, vcc_lo
	s_xor_b32 s3, exec_lo, s3
; %bb.49:
	v_bfe_u32 v71, v72, 16, 1
	s_delay_alu instid0(VALU_DEP_1)
	v_add3_u32 v71, v72, v71, 0x7fff
                                        ; implicit-def: $vgpr72
; %bb.50:
	s_and_not1_saveexec_b32 s3, s3
; %bb.51:
	v_and_b32_e32 v71, 0xffff, v72
	v_or_b32_e32 v82, 0x10000, v72
	s_delay_alu instid0(VALU_DEP_2) | instskip(NEXT) | instid1(VALU_DEP_2)
	v_cmp_eq_u32_e32 vcc_lo, 0, v71
	v_cndmask_b32_e32 v71, v82, v72, vcc_lo
; %bb.52:
	s_or_b32 exec_lo, exec_lo, s3
	v_and_b32_e32 v72, 0x7f800000, v81
	s_delay_alu instid0(VALU_DEP_1) | instskip(SKIP_1) | instid1(SALU_CYCLE_1)
	v_cmp_ne_u32_e32 vcc_lo, 0x7f800000, v72
                                        ; implicit-def: $vgpr72
	s_and_saveexec_b32 s3, vcc_lo
	s_xor_b32 s3, exec_lo, s3
; %bb.53:
	v_bfe_u32 v72, v81, 16, 1
	s_delay_alu instid0(VALU_DEP_1)
	v_add3_u32 v72, v81, v72, 0x7fff
                                        ; implicit-def: $vgpr81
; %bb.54:
	s_and_not1_saveexec_b32 s3, s3
; %bb.55:
	v_and_b32_e32 v72, 0xffff, v81
	v_or_b32_e32 v82, 0x10000, v81
	s_delay_alu instid0(VALU_DEP_2) | instskip(NEXT) | instid1(VALU_DEP_2)
	v_cmp_eq_u32_e32 vcc_lo, 0, v72
	v_cndmask_b32_e32 v72, v82, v81, vcc_lo
; %bb.56:
	s_or_b32 exec_lo, exec_lo, s3
	v_and_b32_e32 v81, 0x7f800000, v83
	s_delay_alu instid0(VALU_DEP_1) | instskip(SKIP_1) | instid1(SALU_CYCLE_1)
	v_cmp_ne_u32_e32 vcc_lo, 0x7f800000, v81
                                        ; implicit-def: $vgpr81
	s_and_saveexec_b32 s3, vcc_lo
	s_xor_b32 s3, exec_lo, s3
; %bb.57:
	v_bfe_u32 v81, v83, 16, 1
	s_delay_alu instid0(VALU_DEP_1)
	v_add3_u32 v81, v83, v81, 0x7fff
                                        ; implicit-def: $vgpr83
; %bb.58:
	s_and_not1_saveexec_b32 s3, s3
; %bb.59:
	v_and_b32_e32 v81, 0xffff, v83
	v_or_b32_e32 v82, 0x10000, v83
	s_delay_alu instid0(VALU_DEP_2) | instskip(NEXT) | instid1(VALU_DEP_2)
	v_cmp_eq_u32_e32 vcc_lo, 0, v81
	v_cndmask_b32_e32 v81, v82, v83, vcc_lo
; %bb.60:
	s_or_b32 exec_lo, exec_lo, s3
	v_and_b32_e32 v82, 0x7f800000, v77
	s_delay_alu instid0(VALU_DEP_1) | instskip(SKIP_1) | instid1(SALU_CYCLE_1)
	v_cmp_ne_u32_e32 vcc_lo, 0x7f800000, v82
                                        ; implicit-def: $vgpr82
	s_and_saveexec_b32 s3, vcc_lo
	s_xor_b32 s3, exec_lo, s3
; %bb.61:
	v_bfe_u32 v82, v77, 16, 1
	s_delay_alu instid0(VALU_DEP_1)
	v_add3_u32 v82, v77, v82, 0x7fff
                                        ; implicit-def: $vgpr77
; %bb.62:
	s_and_not1_saveexec_b32 s3, s3
; %bb.63:
	v_and_b32_e32 v82, 0xffff, v77
	v_or_b32_e32 v83, 0x10000, v77
	s_delay_alu instid0(VALU_DEP_2) | instskip(NEXT) | instid1(VALU_DEP_2)
	v_cmp_eq_u32_e32 vcc_lo, 0, v82
	v_cndmask_b32_e32 v82, v83, v77, vcc_lo
; %bb.64:
	s_or_b32 exec_lo, exec_lo, s3
	v_and_b32_e32 v77, 0x7f800000, v78
	s_delay_alu instid0(VALU_DEP_1) | instskip(SKIP_1) | instid1(SALU_CYCLE_1)
	v_cmp_ne_u32_e32 vcc_lo, 0x7f800000, v77
                                        ; implicit-def: $vgpr77
	s_and_saveexec_b32 s3, vcc_lo
	s_xor_b32 s3, exec_lo, s3
; %bb.65:
	v_bfe_u32 v77, v78, 16, 1
	s_delay_alu instid0(VALU_DEP_1)
	v_add3_u32 v77, v78, v77, 0x7fff
                                        ; implicit-def: $vgpr78
; %bb.66:
	s_and_not1_saveexec_b32 s3, s3
; %bb.67:
	v_and_b32_e32 v77, 0xffff, v78
	v_or_b32_e32 v83, 0x10000, v78
	s_delay_alu instid0(VALU_DEP_2) | instskip(NEXT) | instid1(VALU_DEP_2)
	v_cmp_eq_u32_e32 vcc_lo, 0, v77
	v_cndmask_b32_e32 v77, v83, v78, vcc_lo
; %bb.68:
	s_or_b32 exec_lo, exec_lo, s3
	v_and_b32_e32 v78, 0x7f800000, v79
	s_delay_alu instid0(VALU_DEP_1) | instskip(SKIP_1) | instid1(SALU_CYCLE_1)
	v_cmp_ne_u32_e32 vcc_lo, 0x7f800000, v78
                                        ; implicit-def: $vgpr78
	s_and_saveexec_b32 s3, vcc_lo
	s_xor_b32 s3, exec_lo, s3
; %bb.69:
	v_bfe_u32 v78, v79, 16, 1
	s_delay_alu instid0(VALU_DEP_1)
	v_add3_u32 v78, v79, v78, 0x7fff
                                        ; implicit-def: $vgpr79
; %bb.70:
	s_and_not1_saveexec_b32 s3, s3
; %bb.71:
	v_and_b32_e32 v78, 0xffff, v79
	v_or_b32_e32 v83, 0x10000, v79
	s_delay_alu instid0(VALU_DEP_2) | instskip(NEXT) | instid1(VALU_DEP_2)
	v_cmp_eq_u32_e32 vcc_lo, 0, v78
	v_cndmask_b32_e32 v78, v83, v79, vcc_lo
; %bb.72:
	s_or_b32 exec_lo, exec_lo, s3
	v_and_b32_e32 v79, 0x7f800000, v70
	s_delay_alu instid0(VALU_DEP_1) | instskip(SKIP_1) | instid1(SALU_CYCLE_1)
	v_cmp_ne_u32_e32 vcc_lo, 0x7f800000, v79
                                        ; implicit-def: $vgpr79
	s_and_saveexec_b32 s3, vcc_lo
	s_xor_b32 s3, exec_lo, s3
; %bb.73:
	v_bfe_u32 v79, v70, 16, 1
	s_delay_alu instid0(VALU_DEP_1)
	v_add3_u32 v79, v70, v79, 0x7fff
                                        ; implicit-def: $vgpr70
; %bb.74:
	s_and_not1_saveexec_b32 s3, s3
; %bb.75:
	v_and_b32_e32 v79, 0xffff, v70
	v_or_b32_e32 v83, 0x10000, v70
	s_delay_alu instid0(VALU_DEP_2) | instskip(NEXT) | instid1(VALU_DEP_2)
	v_cmp_eq_u32_e32 vcc_lo, 0, v79
	v_cndmask_b32_e32 v79, v83, v70, vcc_lo
; %bb.76:
	s_or_b32 exec_lo, exec_lo, s3
	s_delay_alu instid0(VALU_DEP_1)
	v_perm_b32 v86, v79, v78, 0x7060302
	v_perm_b32 v85, v77, v82, 0x7060302
	;; [unrolled: 1-line block ×4, first 2 shown]
	v_lshl_or_b32 v82, v66, 11, v80
	ds_store_b128 v76, v[83:86] offset:1024
	s_waitcnt lgkmcnt(0)
	s_barrier
	buffer_gl0_inv
	ds_load_b128 v[69:72], v82
	ds_load_b128 v[83:86], v82 offset:16
	s_waitcnt lgkmcnt(1)
	v_lshrrev_b32_e32 v66, 16, v69
	s_waitcnt lgkmcnt(0)
	v_lshrrev_b32_e32 v91, 16, v83
	v_lshlrev_b32_e32 v78, 2, v74
	v_lshrrev_b32_e32 v95, 16, v70
	v_lshrrev_b32_e32 v98, 16, v84
	;; [unrolled: 1-line block ×4, first 2 shown]
	v_cmp_eq_u32_e32 vcc_lo, 1, v78
	v_lshrrev_b32_e32 v97, 16, v72
	v_lshrrev_b32_e32 v100, 16, v86
	v_cndmask_b32_e32 v87, v83, v91, vcc_lo
	v_or_b32_e32 v79, 1, v78
	v_cndmask_b32_e32 v81, v69, v66, vcc_lo
	v_cmp_eq_u32_e64 s4, 2, v78
	v_cmp_eq_u32_e64 s7, 3, v78
	;; [unrolled: 1-line block ×5, first 2 shown]
	v_cndmask_b32_e64 v81, v81, v70, s4
	v_cndmask_b32_e64 v87, v87, v84, s4
	v_cmp_eq_u32_e64 s8, 3, v79
	v_cndmask_b32_e64 v88, v69, v66, s3
	v_or_b32_e32 v77, 2, v78
	v_cndmask_b32_e64 v81, v81, v95, s7
	v_cndmask_b32_e64 v87, v87, v98, s7
	;; [unrolled: 1-line block ×4, first 2 shown]
	v_cmp_eq_u32_e64 s10, 5, v78
	v_cndmask_b32_e64 v81, v81, v71, s9
	v_cndmask_b32_e64 v87, v87, v85, s9
	v_cmp_eq_u32_e64 s11, 4, v79
	v_cndmask_b32_e64 v88, v88, v95, s8
	v_cmp_eq_u32_e64 s5, 1, v77
	v_cndmask_b32_e64 v89, v89, v84, s6
	v_cndmask_b32_e64 v81, v81, v96, s10
	v_cmp_eq_u32_e64 s12, 6, v78
	v_cndmask_b32_e64 v88, v88, v71, s11
	;; [unrolled: 3-line block ×3, first 2 shown]
	v_cndmask_b32_e64 v89, v89, v98, s8
	v_cndmask_b32_e64 v81, v81, v72, s12
	v_cmp_eq_u32_e64 s15, 7, v78
	v_cndmask_b32_e64 v88, v88, v96, s13
	v_cndmask_b32_e64 v87, v87, v86, s12
	v_cmp_eq_u32_e64 s16, 6, v79
	v_cmp_eq_u32_e64 s17, 2, v77
	v_cndmask_b32_e64 v89, v89, v85, s11
	v_cndmask_b32_e64 v101, v81, v97, s15
	;; [unrolled: 1-line block ×6, first 2 shown]
	v_cmp_eq_u32_e64 s18, 7, v79
	v_cmp_eq_u32_e64 s19, 3, v77
	;; [unrolled: 1-line block ×4, first 2 shown]
	v_cndmask_b32_e64 v87, v87, v84, s17
	v_cndmask_b32_e64 v103, v88, v97, s18
	;; [unrolled: 1-line block ×4, first 2 shown]
	v_or_b32_e32 v81, 3, v78
	v_cndmask_b32_e64 v93, v87, v98, s19
	v_cmp_eq_u32_e64 s24, 6, v77
	v_cndmask_b32_e64 v104, v88, v86, s16
	v_cndmask_b32_e64 v92, v89, v71, s20
	v_cmp_eq_u32_e64 s21, 1, v81
	ds_load_b128 v[87:90], v82 offset:1024
	v_cmp_eq_u32_e64 s23, 2, v81
	v_cmp_eq_u32_e64 s25, 3, v81
	v_cndmask_b32_e64 v105, v92, v96, s22
	v_cndmask_b32_e64 v66, v69, v66, s21
	v_cndmask_b32_e64 v69, v93, v85, s20
	v_cndmask_b32_e64 v83, v83, v91, s21
	ds_load_b128 v[91:94], v82 offset:1040
	v_cmp_eq_u32_e64 s26, 4, v81
	v_cndmask_b32_e64 v66, v66, v70, s23
	v_cmp_eq_u32_e64 s27, 7, v77
	v_cndmask_b32_e64 v70, v83, v84, s23
	v_cndmask_b32_e64 v84, v105, v72, s24
	v_cmp_eq_u32_e64 s28, 5, v81
	v_cndmask_b32_e64 v66, v66, v95, s25
	v_cmp_eq_u32_e64 s29, 6, v81
	v_cndmask_b32_e64 v70, v70, v98, s25
	v_cndmask_b32_e64 v69, v69, v99, s22
	;; [unrolled: 1-line block ×4, first 2 shown]
	s_waitcnt lgkmcnt(1)
	v_lshrrev_b32_e32 v95, 16, v87
	v_cndmask_b32_e64 v70, v70, v85, s26
	v_cndmask_b32_e64 v71, v84, v97, s27
	;; [unrolled: 1-line block ×4, first 2 shown]
	v_cndmask_b32_e32 v84, v87, v95, vcc_lo
	v_cndmask_b32_e64 v70, v70, v99, s28
	s_waitcnt lgkmcnt(0)
	v_lshrrev_b32_e32 v85, 16, v91
	v_lshrrev_b32_e32 v96, 16, v88
	v_cndmask_b32_e64 v98, v87, v95, s3
	v_cndmask_b32_e64 v84, v84, v88, s4
	;; [unrolled: 1-line block ×3, first 2 shown]
	v_cndmask_b32_e32 v99, v91, v85, vcc_lo
	v_cmp_eq_u32_e32 vcc_lo, 7, v81
	v_cndmask_b32_e64 v66, v66, v72, s29
	v_cndmask_b32_e64 v72, v84, v96, s7
	;; [unrolled: 1-line block ×3, first 2 shown]
	v_lshrrev_b32_e32 v98, 16, v92
	v_cndmask_b32_e32 v70, v70, v100, vcc_lo
	v_cndmask_b32_e64 v86, v99, v92, s4
	v_cndmask_b32_e64 v69, v69, v100, s27
	v_lshrrev_b32_e32 v100, 16, v93
	v_cndmask_b32_e64 v72, v72, v89, s9
	v_lshrrev_b32_e32 v99, 16, v89
	v_cndmask_b32_e64 v86, v86, v98, s7
	v_perm_b32 v71, v69, v71, 0x5040100
	v_cndmask_b32_e64 v84, v84, v96, s8
	s_delay_alu instid0(VALU_DEP_3) | instskip(NEXT) | instid1(VALU_DEP_2)
	v_cndmask_b32_e64 v86, v86, v93, s9
	v_cndmask_b32_e64 v84, v84, v89, s11
	s_delay_alu instid0(VALU_DEP_2) | instskip(NEXT) | instid1(VALU_DEP_1)
	v_cndmask_b32_e64 v86, v86, v100, s10
	v_cndmask_b32_e64 v69, v86, v94, s12
	;; [unrolled: 1-line block ×5, first 2 shown]
	s_delay_alu instid0(VALU_DEP_3) | instskip(NEXT) | instid1(VALU_DEP_3)
	v_cndmask_b32_e64 v86, v86, v88, s17
	v_cndmask_b32_e64 v87, v87, v88, s23
	s_delay_alu instid0(VALU_DEP_3) | instskip(NEXT) | instid1(VALU_DEP_3)
	v_cndmask_b32_e64 v88, v95, v92, s23
	v_cndmask_b32_e64 v86, v86, v96, s19
	s_delay_alu instid0(VALU_DEP_3) | instskip(NEXT) | instid1(VALU_DEP_3)
	v_cndmask_b32_e64 v87, v87, v96, s25
	v_cndmask_b32_e64 v88, v88, v98, s25
	s_delay_alu instid0(VALU_DEP_3) | instskip(NEXT) | instid1(VALU_DEP_3)
	v_cndmask_b32_e64 v86, v86, v89, s20
	v_cndmask_b32_e64 v87, v87, v89, s26
	s_delay_alu instid0(VALU_DEP_3) | instskip(NEXT) | instid1(VALU_DEP_3)
	v_cndmask_b32_e64 v88, v88, v93, s26
	v_cndmask_b32_e64 v86, v86, v99, s22
	s_delay_alu instid0(VALU_DEP_3) | instskip(NEXT) | instid1(VALU_DEP_3)
	v_cndmask_b32_e64 v87, v87, v99, s28
	v_cndmask_b32_e64 v88, v88, v100, s28
	s_delay_alu instid0(VALU_DEP_3) | instskip(NEXT) | instid1(VALU_DEP_3)
	v_cndmask_b32_e64 v86, v86, v90, s24
	v_cndmask_b32_e64 v87, v87, v90, s29
	s_delay_alu instid0(VALU_DEP_3) | instskip(SKIP_2) | instid1(VALU_DEP_2)
	v_cndmask_b32_e64 v88, v88, v94, s29
	v_cndmask_b32_e32 v66, v66, v97, vcc_lo
	v_cndmask_b32_e64 v97, v72, v99, s10
	v_perm_b32 v72, v70, v66, 0x5040100
	v_perm_b32 v70, v83, v103, 0x5040100
	v_cndmask_b32_e64 v103, v91, v85, s5
	v_cndmask_b32_e64 v85, v91, v85, s3
	;; [unrolled: 1-line block ×4, first 2 shown]
	v_lshrrev_b32_e32 v97, 16, v90
	v_cndmask_b32_e64 v91, v103, v92, s17
	v_cndmask_b32_e64 v85, v85, v92, s6
	v_cndmask_b32_e64 v66, v66, v90, s16
	s_mov_b32 s3, exec_lo
	v_cndmask_b32_e64 v83, v84, v97, s15
	v_cndmask_b32_e64 v91, v91, v98, s19
	;; [unrolled: 1-line block ×3, first 2 shown]
	v_lshrrev_b32_e32 v84, 16, v94
	v_cndmask_b32_e64 v66, v66, v97, s18
	v_cndmask_b32_e64 v90, v86, v97, s27
	;; [unrolled: 1-line block ×4, first 2 shown]
	v_dual_cndmask_b32 v86, v87, v97 :: v_dual_cndmask_b32 v87, v88, v84
	v_cndmask_b32_e64 v91, v69, v84, s15
	s_delay_alu instid0(VALU_DEP_4) | instskip(NEXT) | instid1(VALU_DEP_4)
	v_cndmask_b32_e64 v89, v89, v100, s22
	v_cndmask_b32_e64 v85, v85, v100, s13
	v_perm_b32 v69, v102, v101, 0x5040100
	v_perm_b32 v86, v87, v86, 0x5040100
	;; [unrolled: 1-line block ×3, first 2 shown]
	v_cndmask_b32_e64 v89, v89, v94, s24
	v_cndmask_b32_e64 v85, v85, v94, s16
	s_mul_i32 s8, s35, 15
	s_delay_alu instid0(VALU_DEP_2) | instskip(NEXT) | instid1(VALU_DEP_2)
	v_cndmask_b32_e64 v88, v89, v84, s27
	v_cndmask_b32_e64 v89, v85, v84, s18
	s_delay_alu instid0(VALU_DEP_2) | instskip(NEXT) | instid1(VALU_DEP_2)
	v_perm_b32 v85, v88, v90, 0x5040100
	v_perm_b32 v84, v89, v66, 0x5040100
	ds_store_b128 v76, v[69:72]
	ds_store_b128 v76, v[83:86] offset:1024
	v_cmpx_gt_u32_e32 15, v0
	s_cbranch_execz .LBB1540_78
; %bb.77:
	s_mul_i32 s4, s8, s30
	s_delay_alu instid0(SALU_CYCLE_1) | instskip(SKIP_1) | instid1(VALU_DEP_1)
	v_add3_u32 v69, s4, s31, v65
	s_load_b128 s[4:7], s[0:1], 0x58
	v_mad_u64_u32 v[65:66], null, v69, s34, s[14:15]
	s_delay_alu instid0(VALU_DEP_1) | instskip(NEXT) | instid1(VALU_DEP_1)
	v_ashrrev_i32_e32 v66, 31, v65
	v_lshlrev_b64 v[65:66], 2, v[65:66]
	s_waitcnt lgkmcnt(0)
	s_delay_alu instid0(VALU_DEP_1) | instskip(NEXT) | instid1(VALU_DEP_2)
	v_add_co_u32 v69, vcc_lo, s6, v65
	v_add_co_ci_u32_e32 v70, vcc_lo, s7, v66, vcc_lo
	v_add_co_u32 v65, vcc_lo, s4, v65
	v_add_co_ci_u32_e32 v66, vcc_lo, s5, v66, vcc_lo
	global_store_b32 v[69:70], v67, off
	global_store_b32 v[65:66], v68, off
.LBB1540_78:
	s_or_b32 exec_lo, exec_lo, s3
	s_waitcnt lgkmcnt(0)
	s_waitcnt_vscnt null, 0x0
	s_barrier
	buffer_gl0_inv
	ds_load_b128 v[83:86], v80
	ds_load_b128 v[87:90], v80 offset:16
	ds_load_b128 v[95:98], v80 offset:2064
	;; [unrolled: 1-line block ×3, first 2 shown]
	v_mov_b32_e32 v65, 0
	ds_load_b128 v[103:106], v80 offset:4112
	ds_load_b128 v[99:102], v80 offset:4096
	;; [unrolled: 1-line block ×4, first 2 shown]
	v_mov_b32_e32 v66, v65
	v_mov_b32_e32 v67, v65
	;; [unrolled: 1-line block ×7, first 2 shown]
	s_waitcnt lgkmcnt(6)
	s_delay_alu instid0(VALU_DEP_1)
	v_wmma_f32_16x16x16_bf16 v[65:72], v[49:56], v[83:90], v[65:72]
	ds_load_b128 v[53:56], v80 offset:8208
	ds_load_b128 v[49:52], v80 offset:8192
	s_waitcnt lgkmcnt(6)
	v_wmma_f32_16x16x16_bf16 v[65:72], v[41:48], v[91:98], v[65:72]
	ds_load_b128 v[45:48], v80 offset:10256
	ds_load_b128 v[41:44], v80 offset:10240
	s_waitcnt lgkmcnt(6)
	;; [unrolled: 4-line block ×4, first 2 shown]
	v_wmma_f32_16x16x16_bf16 v[65:72], v[1:8], v[49:56], v[65:72]
	s_waitcnt lgkmcnt(4)
	s_delay_alu instid0(VALU_DEP_1) | instskip(SKIP_1) | instid1(VALU_DEP_1)
	v_wmma_f32_16x16x16_bf16 v[65:72], v[9:16], v[41:48], v[65:72]
	s_waitcnt lgkmcnt(2)
	v_wmma_f32_16x16x16_bf16 v[65:72], v[17:24], v[33:40], v[65:72]
	s_waitcnt lgkmcnt(0)
	s_delay_alu instid0(VALU_DEP_1) | instskip(NEXT) | instid1(VALU_DEP_1)
	v_wmma_f32_16x16x16_bf16 v[65:72], v[57:64], v[25:32], v[65:72]
	v_and_b32_e32 v1, 0x7f800000, v65
	s_delay_alu instid0(VALU_DEP_1) | instskip(SKIP_1) | instid1(SALU_CYCLE_1)
	v_cmp_ne_u32_e32 vcc_lo, 0x7f800000, v1
                                        ; implicit-def: $vgpr1
	s_and_saveexec_b32 s3, vcc_lo
	s_xor_b32 s3, exec_lo, s3
; %bb.79:
	v_bfe_u32 v1, v65, 16, 1
	s_delay_alu instid0(VALU_DEP_1)
	v_add3_u32 v1, v65, v1, 0x7fff
; %bb.80:
	s_and_not1_saveexec_b32 s3, s3
; %bb.81:
	v_and_b32_e32 v1, 0xffff, v65
	v_or_b32_e32 v2, 0x10000, v65
	s_delay_alu instid0(VALU_DEP_2) | instskip(NEXT) | instid1(VALU_DEP_2)
	v_cmp_eq_u32_e32 vcc_lo, 0, v1
	v_cndmask_b32_e32 v1, v2, v65, vcc_lo
; %bb.82:
	s_or_b32 exec_lo, exec_lo, s3
	v_and_b32_e32 v2, 0x7f800000, v66
	s_delay_alu instid0(VALU_DEP_1) | instskip(SKIP_1) | instid1(SALU_CYCLE_1)
	v_cmp_ne_u32_e32 vcc_lo, 0x7f800000, v2
                                        ; implicit-def: $vgpr2
	s_and_saveexec_b32 s3, vcc_lo
	s_xor_b32 s3, exec_lo, s3
; %bb.83:
	v_bfe_u32 v2, v66, 16, 1
	s_delay_alu instid0(VALU_DEP_1)
	v_add3_u32 v2, v66, v2, 0x7fff
; %bb.84:
	s_and_not1_saveexec_b32 s3, s3
; %bb.85:
	v_and_b32_e32 v2, 0xffff, v66
	v_or_b32_e32 v3, 0x10000, v66
	s_delay_alu instid0(VALU_DEP_2) | instskip(NEXT) | instid1(VALU_DEP_2)
	v_cmp_eq_u32_e32 vcc_lo, 0, v2
	v_cndmask_b32_e32 v2, v3, v66, vcc_lo
; %bb.86:
	s_or_b32 exec_lo, exec_lo, s3
	v_and_b32_e32 v3, 0x7f800000, v67
	s_delay_alu instid0(VALU_DEP_1) | instskip(SKIP_1) | instid1(SALU_CYCLE_1)
	v_cmp_ne_u32_e32 vcc_lo, 0x7f800000, v3
                                        ; implicit-def: $vgpr3
	s_and_saveexec_b32 s3, vcc_lo
	s_xor_b32 s3, exec_lo, s3
; %bb.87:
	v_bfe_u32 v3, v67, 16, 1
	s_delay_alu instid0(VALU_DEP_1)
	v_add3_u32 v3, v67, v3, 0x7fff
; %bb.88:
	s_and_not1_saveexec_b32 s3, s3
; %bb.89:
	v_and_b32_e32 v3, 0xffff, v67
	v_or_b32_e32 v4, 0x10000, v67
	s_delay_alu instid0(VALU_DEP_2) | instskip(NEXT) | instid1(VALU_DEP_2)
	v_cmp_eq_u32_e32 vcc_lo, 0, v3
	v_cndmask_b32_e32 v3, v4, v67, vcc_lo
; %bb.90:
	s_or_b32 exec_lo, exec_lo, s3
	v_and_b32_e32 v4, 0x7f800000, v68
	s_delay_alu instid0(VALU_DEP_1) | instskip(SKIP_1) | instid1(SALU_CYCLE_1)
	v_cmp_ne_u32_e32 vcc_lo, 0x7f800000, v4
                                        ; implicit-def: $vgpr4
	s_and_saveexec_b32 s3, vcc_lo
	s_xor_b32 s3, exec_lo, s3
; %bb.91:
	v_bfe_u32 v4, v68, 16, 1
	s_delay_alu instid0(VALU_DEP_1)
	v_add3_u32 v4, v68, v4, 0x7fff
; %bb.92:
	s_and_not1_saveexec_b32 s3, s3
; %bb.93:
	v_and_b32_e32 v4, 0xffff, v68
	v_or_b32_e32 v5, 0x10000, v68
	s_delay_alu instid0(VALU_DEP_2) | instskip(NEXT) | instid1(VALU_DEP_2)
	v_cmp_eq_u32_e32 vcc_lo, 0, v4
	v_cndmask_b32_e32 v4, v5, v68, vcc_lo
; %bb.94:
	s_or_b32 exec_lo, exec_lo, s3
	v_and_b32_e32 v5, 0x7f800000, v69
	s_delay_alu instid0(VALU_DEP_1) | instskip(SKIP_1) | instid1(SALU_CYCLE_1)
	v_cmp_ne_u32_e32 vcc_lo, 0x7f800000, v5
                                        ; implicit-def: $vgpr5
	s_and_saveexec_b32 s3, vcc_lo
	s_xor_b32 s3, exec_lo, s3
; %bb.95:
	v_bfe_u32 v5, v69, 16, 1
	s_delay_alu instid0(VALU_DEP_1)
	v_add3_u32 v5, v69, v5, 0x7fff
; %bb.96:
	s_and_not1_saveexec_b32 s3, s3
; %bb.97:
	v_and_b32_e32 v5, 0xffff, v69
	v_or_b32_e32 v6, 0x10000, v69
	s_delay_alu instid0(VALU_DEP_2) | instskip(NEXT) | instid1(VALU_DEP_2)
	v_cmp_eq_u32_e32 vcc_lo, 0, v5
	v_cndmask_b32_e32 v5, v6, v69, vcc_lo
; %bb.98:
	s_or_b32 exec_lo, exec_lo, s3
	v_and_b32_e32 v6, 0x7f800000, v70
	s_delay_alu instid0(VALU_DEP_1) | instskip(SKIP_1) | instid1(SALU_CYCLE_1)
	v_cmp_ne_u32_e32 vcc_lo, 0x7f800000, v6
                                        ; implicit-def: $vgpr6
	s_and_saveexec_b32 s3, vcc_lo
	s_xor_b32 s3, exec_lo, s3
; %bb.99:
	v_bfe_u32 v6, v70, 16, 1
	s_delay_alu instid0(VALU_DEP_1)
	v_add3_u32 v6, v70, v6, 0x7fff
; %bb.100:
	s_and_not1_saveexec_b32 s3, s3
; %bb.101:
	v_and_b32_e32 v6, 0xffff, v70
	v_or_b32_e32 v7, 0x10000, v70
	s_delay_alu instid0(VALU_DEP_2) | instskip(NEXT) | instid1(VALU_DEP_2)
	v_cmp_eq_u32_e32 vcc_lo, 0, v6
	v_cndmask_b32_e32 v6, v7, v70, vcc_lo
; %bb.102:
	s_or_b32 exec_lo, exec_lo, s3
	v_and_b32_e32 v7, 0x7f800000, v71
	s_delay_alu instid0(VALU_DEP_1) | instskip(SKIP_1) | instid1(SALU_CYCLE_1)
	v_cmp_ne_u32_e32 vcc_lo, 0x7f800000, v7
                                        ; implicit-def: $vgpr7
	s_and_saveexec_b32 s3, vcc_lo
	s_xor_b32 s3, exec_lo, s3
; %bb.103:
	v_bfe_u32 v7, v71, 16, 1
	s_delay_alu instid0(VALU_DEP_1)
	v_add3_u32 v7, v71, v7, 0x7fff
; %bb.104:
	s_and_not1_saveexec_b32 s3, s3
; %bb.105:
	v_and_b32_e32 v7, 0xffff, v71
	v_or_b32_e32 v8, 0x10000, v71
	s_delay_alu instid0(VALU_DEP_2) | instskip(NEXT) | instid1(VALU_DEP_2)
	v_cmp_eq_u32_e32 vcc_lo, 0, v7
	v_cndmask_b32_e32 v7, v8, v71, vcc_lo
; %bb.106:
	s_or_b32 exec_lo, exec_lo, s3
	v_and_b32_e32 v8, 0x7f800000, v72
	s_delay_alu instid0(VALU_DEP_1) | instskip(SKIP_1) | instid1(SALU_CYCLE_1)
	v_cmp_ne_u32_e32 vcc_lo, 0x7f800000, v8
                                        ; implicit-def: $vgpr8
	s_and_saveexec_b32 s3, vcc_lo
	s_xor_b32 s3, exec_lo, s3
; %bb.107:
	v_bfe_u32 v8, v72, 16, 1
	s_delay_alu instid0(VALU_DEP_1)
	v_add3_u32 v8, v72, v8, 0x7fff
                                        ; implicit-def: $vgpr65_vgpr66_vgpr67_vgpr68_vgpr69_vgpr70_vgpr71_vgpr72
; %bb.108:
	s_and_not1_saveexec_b32 s3, s3
; %bb.109:
	v_and_b32_e32 v8, 0xffff, v72
	v_or_b32_e32 v9, 0x10000, v72
	s_delay_alu instid0(VALU_DEP_2) | instskip(NEXT) | instid1(VALU_DEP_2)
	v_cmp_eq_u32_e32 vcc_lo, 0, v8
	v_cndmask_b32_e32 v8, v9, v72, vcc_lo
; %bb.110:
	s_or_b32 exec_lo, exec_lo, s3
	s_delay_alu instid0(VALU_DEP_1)
	v_perm_b32 v7, v8, v7, 0x7060302
	v_perm_b32 v6, v6, v5, 0x7060302
	v_perm_b32 v5, v4, v3, 0x7060302
	v_perm_b32 v4, v2, v1, 0x7060302
	s_barrier
	buffer_gl0_inv
	v_cmp_eq_u32_e32 vcc_lo, 1, v78
	ds_store_b128 v76, v[4:7]
	s_waitcnt lgkmcnt(0)
	s_barrier
	buffer_gl0_inv
	ds_load_b128 v[1:4], v82
	ds_load_b128 v[5:8], v82 offset:16
	v_cmp_eq_u32_e64 s3, 1, v79
	v_cmp_eq_u32_e64 s4, 2, v78
	;; [unrolled: 1-line block ×5, first 2 shown]
	s_waitcnt lgkmcnt(1)
	v_lshrrev_b32_e32 v9, 16, v1
	s_waitcnt lgkmcnt(0)
	v_lshrrev_b32_e32 v13, 16, v5
	v_lshrrev_b32_e32 v10, 16, v2
	;; [unrolled: 1-line block ×4, first 2 shown]
	v_cndmask_b32_e64 v19, v1, v9, s3
	v_cndmask_b32_e32 v18, v5, v13, vcc_lo
	v_cndmask_b32_e64 v20, v5, v13, s3
	v_cndmask_b32_e32 v17, v1, v9, vcc_lo
	v_cmp_eq_u32_e32 vcc_lo, 2, v79
	v_lshrrev_b32_e32 v15, 16, v7
	v_cmp_eq_u32_e64 s3, 1, v77
	v_lshrrev_b32_e32 v12, 16, v4
	v_lshrrev_b32_e32 v16, 16, v8
	v_cndmask_b32_e32 v20, v20, v6, vcc_lo
	v_cndmask_b32_e64 v17, v17, v2, s4
	v_cndmask_b32_e32 v19, v19, v2, vcc_lo
	v_cndmask_b32_e64 v18, v18, v6, s4
	v_cmp_eq_u32_e32 vcc_lo, 4, v78
	v_cmp_eq_u32_e64 s4, 3, v79
	v_cndmask_b32_e64 v17, v17, v10, s5
	v_cndmask_b32_e64 v21, v1, v9, s3
	v_cndmask_b32_e64 v18, v18, v14, s5
	v_cndmask_b32_e64 v22, v5, v13, s3
	v_cndmask_b32_e64 v19, v19, v10, s4
	v_cndmask_b32_e32 v17, v17, v3, vcc_lo
	v_cndmask_b32_e64 v20, v20, v14, s4
	v_cndmask_b32_e32 v18, v18, v7, vcc_lo
	v_cmp_eq_u32_e32 vcc_lo, 4, v79
	v_cmp_eq_u32_e64 s4, 5, v79
	v_cmp_eq_u32_e64 s3, 2, v81
	v_cndmask_b32_e64 v21, v21, v2, s7
	v_cmp_eq_u32_e64 s5, 5, v78
	v_cndmask_b32_e32 v19, v19, v3, vcc_lo
	v_cndmask_b32_e32 v20, v20, v7, vcc_lo
	v_cmp_eq_u32_e32 vcc_lo, 6, v79
	s_delay_alu instid0(VALU_DEP_4) | instskip(NEXT) | instid1(VALU_DEP_4)
	v_cndmask_b32_e64 v17, v17, v11, s5
	v_cndmask_b32_e64 v19, v19, v11, s4
	s_delay_alu instid0(VALU_DEP_4) | instskip(SKIP_1) | instid1(VALU_DEP_3)
	v_cndmask_b32_e64 v20, v20, v15, s4
	v_cmp_eq_u32_e64 s4, 1, v81
	v_cndmask_b32_e32 v19, v19, v4, vcc_lo
	v_cndmask_b32_e64 v18, v18, v15, s5
	s_delay_alu instid0(VALU_DEP_3)
	v_cndmask_b32_e64 v1, v1, v9, s4
	v_cndmask_b32_e64 v5, v5, v13, s4
	v_cmp_eq_u32_e64 s4, 3, v77
	v_cndmask_b32_e64 v13, v22, v6, s7
	v_cmp_eq_u32_e64 s7, 3, v81
	v_cndmask_b32_e64 v1, v1, v2, s3
	v_cndmask_b32_e64 v2, v5, v6, s3
	;; [unrolled: 1-line block ×3, first 2 shown]
	v_cmp_eq_u32_e64 s3, 4, v77
	v_cndmask_b32_e64 v6, v13, v14, s4
	v_cndmask_b32_e64 v1, v1, v10, s7
	v_cmp_eq_u32_e64 s4, 4, v81
	v_cndmask_b32_e64 v2, v2, v14, s7
	v_cndmask_b32_e64 v5, v9, v3, s3
	;; [unrolled: 3-line block ×3, first 2 shown]
	v_cndmask_b32_e64 v2, v2, v7, s4
	v_cmp_eq_u32_e64 s3, 5, v81
	v_cmp_eq_u32_e64 s5, 6, v78
	v_cndmask_b32_e64 v5, v5, v11, s7
	v_cmp_eq_u32_e64 s4, 6, v77
	v_cndmask_b32_e64 v3, v6, v15, s7
	v_cndmask_b32_e64 v1, v1, v11, s3
	v_cmp_eq_u32_e64 s7, 6, v81
	v_cndmask_b32_e64 v2, v2, v15, s3
	v_cndmask_b32_e64 v17, v17, v4, s5
	v_cndmask_b32_e64 v18, v18, v8, s5
	v_cmp_eq_u32_e64 s5, 7, v78
	v_cndmask_b32_e64 v5, v5, v4, s4
	;; [unrolled: 4-line block ×3, first 2 shown]
	v_cmp_eq_u32_e64 s4, 7, v77
	v_cndmask_b32_e32 v4, v20, v8, vcc_lo
	v_cndmask_b32_e64 v17, v17, v12, s5
	v_cndmask_b32_e64 v19, v19, v12, s6
	;; [unrolled: 1-line block ×8, first 2 shown]
	s_mov_b32 s3, exec_lo
	v_perm_b32 v4, v2, v1, 0x5040100
	v_perm_b32 v3, v3, v5, 0x5040100
	;; [unrolled: 1-line block ×4, first 2 shown]
	ds_store_b128 v76, v[1:4]
	s_waitcnt lgkmcnt(0)
	s_barrier
	buffer_gl0_inv
	v_cmpx_gt_u32_e32 32, v0
	s_cbranch_execz .LBB1540_2
; %bb.111:
	s_load_b64 s[4:5], s[0:1], 0x68
	v_add_nc_u32_e32 v20, s31, v74
	v_lshlrev_b32_e32 v0, 10, v0
	v_lshlrev_b32_e32 v1, 4, v75
	s_lshl_b32 s0, s34, 7
	s_delay_alu instid0(SALU_CYCLE_1)
	s_mul_i32 s1, s0, s30
	v_add_nc_u32_e32 v2, 2, v20
	s_mul_i32 s6, s1, s8
	v_and_or_b32 v0, 0x3800, v0, v1
	v_mul_lo_u32 v1, v20, s0
	s_ashr_i32 s7, s6, 31
	v_mul_lo_u32 v11, v2, s0
	s_lshl_b64 s[6:7], s[6:7], 1
	v_add_nc_u32_e32 v3, 4, v20
	v_lshl_or_b32 v21, v74, 6, v0
	v_add_nc_u32_e32 v16, 6, v20
	v_ashrrev_i32_e32 v2, 31, v1
	s_delay_alu instid0(VALU_DEP_4)
	v_mul_lo_u32 v13, v3, s0
	s_waitcnt lgkmcnt(0)
	s_add_u32 s1, s4, s6
	s_addc_u32 s3, s5, s7
	s_lshl_b32 s4, s14, 7
	ds_load_b128 v[3:6], v21
	ds_load_b128 v[7:10], v21 offset:128
	s_ashr_i32 s5, s4, 31
	v_ashrrev_i32_e32 v12, 31, v11
	s_lshl_b64 s[4:5], s[4:5], 1
	v_lshlrev_b64 v[14:15], 1, v[1:2]
	s_add_u32 s1, s1, s4
	s_addc_u32 s3, s3, s5
	v_add_co_u32 v1, s1, s1, v73
	s_delay_alu instid0(VALU_DEP_1) | instskip(SKIP_1) | instid1(VALU_DEP_3)
	v_add_co_ci_u32_e64 v2, null, s3, 0, s1
	v_lshlrev_b64 v[11:12], 1, v[11:12]
	v_add_co_u32 v18, vcc_lo, v1, v14
	v_mul_lo_u32 v16, v16, s0
	s_delay_alu instid0(VALU_DEP_4) | instskip(NEXT) | instid1(VALU_DEP_4)
	v_add_co_ci_u32_e32 v19, vcc_lo, v2, v15, vcc_lo
	v_add_co_u32 v11, vcc_lo, v1, v11
	v_ashrrev_i32_e32 v14, 31, v13
	v_add_co_ci_u32_e32 v12, vcc_lo, v2, v12, vcc_lo
	v_add_nc_u32_e32 v15, 8, v20
	v_ashrrev_i32_e32 v17, 31, v16
	s_waitcnt lgkmcnt(1)
	global_store_b128 v[18:19], v[3:6], off
	v_lshlrev_b64 v[3:4], 1, v[13:14]
	s_waitcnt lgkmcnt(0)
	global_store_b128 v[11:12], v[7:10], off
	v_mul_lo_u32 v11, v15, s0
	v_add_nc_u32_e32 v7, 10, v20
	v_lshlrev_b64 v[5:6], 1, v[16:17]
	v_add_co_u32 v23, vcc_lo, v1, v3
	v_add_nc_u32_e32 v3, 12, v20
	s_delay_alu instid0(VALU_DEP_4)
	v_mul_lo_u32 v25, v7, s0
	v_ashrrev_i32_e32 v12, 31, v11
	v_add_co_ci_u32_e32 v24, vcc_lo, v2, v4, vcc_lo
	v_add_co_u32 v27, vcc_lo, v1, v5
	v_mul_lo_u32 v29, v3, s0
	v_add_co_ci_u32_e32 v28, vcc_lo, v2, v6, vcc_lo
	ds_load_b128 v[3:6], v21 offset:256
	ds_load_b128 v[7:10], v21 offset:384
	v_lshlrev_b64 v[31:32], 1, v[11:12]
	ds_load_b128 v[11:14], v21 offset:512
	ds_load_b128 v[15:18], v21 offset:640
	;; [unrolled: 1-line block ×3, first 2 shown]
	v_ashrrev_i32_e32 v26, 31, v25
	v_ashrrev_i32_e32 v30, 31, v29
	v_add_co_u32 v31, vcc_lo, v1, v31
	s_delay_alu instid0(VALU_DEP_3) | instskip(NEXT) | instid1(VALU_DEP_3)
	v_lshlrev_b64 v[25:26], 1, v[25:26]
	v_lshlrev_b64 v[29:30], 1, v[29:30]
	v_add_co_ci_u32_e32 v32, vcc_lo, v2, v32, vcc_lo
	s_delay_alu instid0(VALU_DEP_3) | instskip(NEXT) | instid1(VALU_DEP_4)
	v_add_co_u32 v25, vcc_lo, v1, v25
	v_add_co_ci_u32_e32 v26, vcc_lo, v2, v26, vcc_lo
	s_delay_alu instid0(VALU_DEP_4)
	v_add_co_u32 v29, vcc_lo, v1, v29
	v_add_co_ci_u32_e32 v30, vcc_lo, v2, v30, vcc_lo
	s_waitcnt lgkmcnt(4)
	global_store_b128 v[23:24], v[3:6], off
	s_waitcnt lgkmcnt(3)
	global_store_b128 v[27:28], v[7:10], off
	;; [unrolled: 2-line block ×5, first 2 shown]
	s_and_b32 exec_lo, exec_lo, s2
	s_cbranch_execz .LBB1540_2
; %bb.112:
	ds_load_b128 v[3:6], v0 offset:896
	s_add_i32 s1, s31, 14
	s_delay_alu instid0(SALU_CYCLE_1) | instskip(NEXT) | instid1(SALU_CYCLE_1)
	s_mul_i32 s0, s1, s0
	s_ashr_i32 s1, s0, 31
	s_delay_alu instid0(SALU_CYCLE_1) | instskip(NEXT) | instid1(SALU_CYCLE_1)
	s_lshl_b64 s[0:1], s[0:1], 1
	v_add_co_u32 v0, vcc_lo, v1, s0
	v_add_co_ci_u32_e32 v1, vcc_lo, s1, v2, vcc_lo
	s_waitcnt lgkmcnt(0)
	global_store_b128 v[0:1], v[3:6], off
	s_nop 0
	s_sendmsg sendmsg(MSG_DEALLOC_VGPRS)
	s_endpgm
	.section	.rodata,"a",@progbits
	.p2align	6, 0x0
	.amdhsa_kernel _Z39paged_attention_ll4mi_QKV_mfma16_kernelI14__hip_bfloat16hLN4vllm18Fp8KVCacheDataTypeE1EhLi16ELi128ELi256ELb0ELi15EL8MFMAType1EEvPKT_PKT0_S9_ifPKiSB_SB_iPKfiiiPfSE_PS4_PT2_iSD_SD_
		.amdhsa_group_segment_fixed_size 17472
		.amdhsa_private_segment_fixed_size 0
		.amdhsa_kernarg_size 400
		.amdhsa_user_sgpr_count 13
		.amdhsa_user_sgpr_dispatch_ptr 0
		.amdhsa_user_sgpr_queue_ptr 0
		.amdhsa_user_sgpr_kernarg_segment_ptr 1
		.amdhsa_user_sgpr_dispatch_id 0
		.amdhsa_user_sgpr_private_segment_size 0
		.amdhsa_wavefront_size32 1
		.amdhsa_uses_dynamic_stack 0
		.amdhsa_enable_private_segment 0
		.amdhsa_system_sgpr_workgroup_id_x 1
		.amdhsa_system_sgpr_workgroup_id_y 1
		.amdhsa_system_sgpr_workgroup_id_z 1
		.amdhsa_system_sgpr_workgroup_info 0
		.amdhsa_system_vgpr_workitem_id 0
		.amdhsa_next_free_vgpr 140
		.amdhsa_next_free_sgpr 36
		.amdhsa_reserve_vcc 1
		.amdhsa_float_round_mode_32 0
		.amdhsa_float_round_mode_16_64 0
		.amdhsa_float_denorm_mode_32 3
		.amdhsa_float_denorm_mode_16_64 3
		.amdhsa_dx10_clamp 1
		.amdhsa_ieee_mode 1
		.amdhsa_fp16_overflow 0
		.amdhsa_workgroup_processor_mode 1
		.amdhsa_memory_ordered 1
		.amdhsa_forward_progress 0
		.amdhsa_shared_vgpr_count 0
		.amdhsa_exception_fp_ieee_invalid_op 0
		.amdhsa_exception_fp_denorm_src 0
		.amdhsa_exception_fp_ieee_div_zero 0
		.amdhsa_exception_fp_ieee_overflow 0
		.amdhsa_exception_fp_ieee_underflow 0
		.amdhsa_exception_fp_ieee_inexact 0
		.amdhsa_exception_int_div_zero 0
	.end_amdhsa_kernel
	.section	.text._Z39paged_attention_ll4mi_QKV_mfma16_kernelI14__hip_bfloat16hLN4vllm18Fp8KVCacheDataTypeE1EhLi16ELi128ELi256ELb0ELi15EL8MFMAType1EEvPKT_PKT0_S9_ifPKiSB_SB_iPKfiiiPfSE_PS4_PT2_iSD_SD_,"axG",@progbits,_Z39paged_attention_ll4mi_QKV_mfma16_kernelI14__hip_bfloat16hLN4vllm18Fp8KVCacheDataTypeE1EhLi16ELi128ELi256ELb0ELi15EL8MFMAType1EEvPKT_PKT0_S9_ifPKiSB_SB_iPKfiiiPfSE_PS4_PT2_iSD_SD_,comdat
.Lfunc_end1540:
	.size	_Z39paged_attention_ll4mi_QKV_mfma16_kernelI14__hip_bfloat16hLN4vllm18Fp8KVCacheDataTypeE1EhLi16ELi128ELi256ELb0ELi15EL8MFMAType1EEvPKT_PKT0_S9_ifPKiSB_SB_iPKfiiiPfSE_PS4_PT2_iSD_SD_, .Lfunc_end1540-_Z39paged_attention_ll4mi_QKV_mfma16_kernelI14__hip_bfloat16hLN4vllm18Fp8KVCacheDataTypeE1EhLi16ELi128ELi256ELb0ELi15EL8MFMAType1EEvPKT_PKT0_S9_ifPKiSB_SB_iPKfiiiPfSE_PS4_PT2_iSD_SD_
                                        ; -- End function
	.section	.AMDGPU.csdata,"",@progbits
; Kernel info:
; codeLenInByte = 9152
; NumSgprs: 38
; NumVgprs: 140
; ScratchSize: 0
; MemoryBound: 0
; FloatMode: 240
; IeeeMode: 1
; LDSByteSize: 17472 bytes/workgroup (compile time only)
; SGPRBlocks: 4
; VGPRBlocks: 17
; NumSGPRsForWavesPerEU: 38
; NumVGPRsForWavesPerEU: 140
; Occupancy: 10
; WaveLimiterHint : 1
; COMPUTE_PGM_RSRC2:SCRATCH_EN: 0
; COMPUTE_PGM_RSRC2:USER_SGPR: 13
; COMPUTE_PGM_RSRC2:TRAP_HANDLER: 0
; COMPUTE_PGM_RSRC2:TGID_X_EN: 1
; COMPUTE_PGM_RSRC2:TGID_Y_EN: 1
; COMPUTE_PGM_RSRC2:TGID_Z_EN: 1
; COMPUTE_PGM_RSRC2:TIDIG_COMP_CNT: 0
	.section	.text._Z39paged_attention_ll4mi_QKV_mfma16_kernelI14__hip_bfloat16hLN4vllm18Fp8KVCacheDataTypeE1EhLi16ELi128ELi256ELb0ELi16EL8MFMAType1EEvPKT_PKT0_S9_ifPKiSB_SB_iPKfiiiPfSE_PS4_PT2_iSD_SD_,"axG",@progbits,_Z39paged_attention_ll4mi_QKV_mfma16_kernelI14__hip_bfloat16hLN4vllm18Fp8KVCacheDataTypeE1EhLi16ELi128ELi256ELb0ELi16EL8MFMAType1EEvPKT_PKT0_S9_ifPKiSB_SB_iPKfiiiPfSE_PS4_PT2_iSD_SD_,comdat
	.protected	_Z39paged_attention_ll4mi_QKV_mfma16_kernelI14__hip_bfloat16hLN4vllm18Fp8KVCacheDataTypeE1EhLi16ELi128ELi256ELb0ELi16EL8MFMAType1EEvPKT_PKT0_S9_ifPKiSB_SB_iPKfiiiPfSE_PS4_PT2_iSD_SD_ ; -- Begin function _Z39paged_attention_ll4mi_QKV_mfma16_kernelI14__hip_bfloat16hLN4vllm18Fp8KVCacheDataTypeE1EhLi16ELi128ELi256ELb0ELi16EL8MFMAType1EEvPKT_PKT0_S9_ifPKiSB_SB_iPKfiiiPfSE_PS4_PT2_iSD_SD_
	.globl	_Z39paged_attention_ll4mi_QKV_mfma16_kernelI14__hip_bfloat16hLN4vllm18Fp8KVCacheDataTypeE1EhLi16ELi128ELi256ELb0ELi16EL8MFMAType1EEvPKT_PKT0_S9_ifPKiSB_SB_iPKfiiiPfSE_PS4_PT2_iSD_SD_
	.p2align	8
	.type	_Z39paged_attention_ll4mi_QKV_mfma16_kernelI14__hip_bfloat16hLN4vllm18Fp8KVCacheDataTypeE1EhLi16ELi128ELi256ELb0ELi16EL8MFMAType1EEvPKT_PKT0_S9_ifPKiSB_SB_iPKfiiiPfSE_PS4_PT2_iSD_SD_,@function
_Z39paged_attention_ll4mi_QKV_mfma16_kernelI14__hip_bfloat16hLN4vllm18Fp8KVCacheDataTypeE1EhLi16ELi128ELi256ELb0ELi16EL8MFMAType1EEvPKT_PKT0_S9_ifPKiSB_SB_iPKfiiiPfSE_PS4_PT2_iSD_SD_: ; @_Z39paged_attention_ll4mi_QKV_mfma16_kernelI14__hip_bfloat16hLN4vllm18Fp8KVCacheDataTypeE1EhLi16ELi128ELi256ELb0ELi16EL8MFMAType1EEvPKT_PKT0_S9_ifPKiSB_SB_iPKfiiiPfSE_PS4_PT2_iSD_SD_
; %bb.0:
	s_load_b64 s[4:5], s[0:1], 0x30
	s_mov_b32 s30, s13
	s_waitcnt lgkmcnt(0)
	s_cmp_lg_u64 s[4:5], 0
	s_cselect_b32 s8, -1, 0
	s_ashr_i32 s31, s13, 31
	s_cmp_eq_u64 s[4:5], 0
	s_cbranch_scc1 .LBB1541_3
; %bb.1:
	s_lshl_b64 s[2:3], s[30:31], 2
	s_delay_alu instid0(SALU_CYCLE_1) | instskip(SKIP_4) | instid1(SALU_CYCLE_1)
	s_add_u32 s2, s4, s2
	s_addc_u32 s3, s5, s3
	s_load_b64 s[2:3], s[2:3], 0x0
	s_waitcnt lgkmcnt(0)
	s_sub_i32 s2, s3, s2
	s_cmp_eq_u32 s2, 1
	s_cselect_b32 s2, -1, 0
	s_delay_alu instid0(SALU_CYCLE_1)
	s_and_not1_b32 vcc_lo, exec_lo, s2
	s_cbranch_vccz .LBB1541_4
.LBB1541_2:
	s_endpgm
.LBB1541_3:
.LBB1541_4:
	s_load_b64 s[2:3], s[0:1], 0x28
	s_lshl_b64 s[6:7], s[30:31], 2
	s_waitcnt lgkmcnt(0)
	s_add_u32 s2, s2, s6
	s_addc_u32 s3, s3, s7
	s_lshl_b32 s12, s14, 8
	s_load_b32 s24, s[2:3], 0x0
	s_waitcnt lgkmcnt(0)
	s_cmp_ge_i32 s12, s24
	s_cbranch_scc1 .LBB1541_2
; %bb.5:
	s_clause 0x1
	s_load_b128 s[20:23], s[0:1], 0x8
	s_load_b64 s[2:3], s[0:1], 0x20
	s_and_not1_b32 vcc_lo, exec_lo, s8
	s_cbranch_vccnz .LBB1541_7
; %bb.6:
	s_add_u32 s4, s4, s6
	s_addc_u32 s5, s5, s7
	s_load_b32 s5, s[4:5], 0x0
	s_branch .LBB1541_8
.LBB1541_7:
	s_mov_b32 s5, s30
.LBB1541_8:
	s_load_b128 s[16:19], s[0:1], 0x48
	v_and_b32_e32 v66, 15, v0
	v_lshrrev_b32_e32 v65, 5, v0
	v_and_b32_e32 v67, 31, v0
	v_and_b32_e32 v75, 1, v0
	v_bfe_u32 v74, v0, 4, 1
	v_lshlrev_b32_e32 v1, 3, v66
	s_lshl_b32 s29, s15, 4
	s_mov_b32 s4, exec_lo
	s_delay_alu instid0(VALU_DEP_1)
	v_lshlrev_b32_e32 v73, 1, v1
	v_cmpx_gt_u32_e32 0x100, v0
	s_cbranch_execz .LBB1541_10
; %bb.9:
	v_lshl_or_b32 v5, v65, 1, v74
	s_load_b64 s[6:7], s[0:1], 0x0
	s_waitcnt lgkmcnt(0)
	s_mul_hi_i32 s9, s5, s16
	s_mul_i32 s8, s5, s16
	v_lshlrev_b32_e32 v6, 10, v66
	v_or_b32_e32 v1, s29, v5
	s_lshl_b64 s[8:9], s[8:9], 1
	v_lshlrev_b32_e32 v5, 6, v5
	v_lshlrev_b32_e32 v7, 10, v75
	v_and_b32_e32 v6, 0x3800, v6
	v_lshlrev_b32_e32 v1, 7, v1
	s_delay_alu instid0(VALU_DEP_2) | instskip(NEXT) | instid1(VALU_DEP_2)
	v_or3_b32 v5, v6, v7, v5
	v_ashrrev_i32_e32 v2, 31, v1
	s_delay_alu instid0(VALU_DEP_1) | instskip(SKIP_2) | instid1(VALU_DEP_1)
	v_lshlrev_b64 v[1:2], 1, v[1:2]
	s_add_u32 s5, s6, s8
	s_addc_u32 s6, s7, s9
	v_add_co_u32 v1, vcc_lo, s5, v1
	s_delay_alu instid0(VALU_DEP_2) | instskip(NEXT) | instid1(VALU_DEP_2)
	v_add_co_ci_u32_e32 v2, vcc_lo, s6, v2, vcc_lo
	v_add_co_u32 v1, vcc_lo, v1, v73
	s_delay_alu instid0(VALU_DEP_2)
	v_add_co_ci_u32_e32 v2, vcc_lo, 0, v2, vcc_lo
	global_load_b128 v[1:4], v[1:2], off
	s_waitcnt vmcnt(0)
	ds_store_b128 v5, v[1:4]
.LBB1541_10:
	s_or_b32 exec_lo, exec_lo, s4
	v_and_b32_e32 v1, 0xef, v0
	s_waitcnt lgkmcnt(0)
	s_add_i32 s5, s24, 15
	s_clause 0x1
	s_load_b32 s4, s[0:1], 0x38
	s_load_b32 s19, s[0:1], 0x1c
	s_ashr_i32 s6, s5, 31
	v_add_nc_u32_e32 v1, s12, v1
	s_lshr_b32 s6, s6, 28
	s_waitcnt lgkmcnt(0)
	s_add_i32 s5, s5, s6
	s_barrier
	v_ashrrev_i32_e32 v2, 31, v1
	v_or_b32_e32 v3, 16, v1
	s_ashr_i32 s13, s5, 4
	v_cmp_gt_i32_e32 vcc_lo, s24, v1
	s_add_i32 s13, s13, -1
	v_lshrrev_b32_e32 v2, 28, v2
	buffer_gl0_inv
	s_mul_i32 s15, s15, s18
	v_lshlrev_b32_e32 v41, 4, v66
	v_add_nc_u32_e32 v4, v1, v2
	s_mul_i32 s4, s30, s4
	s_delay_alu instid0(VALU_DEP_2) | instskip(SKIP_1) | instid1(VALU_DEP_2)
	v_lshl_or_b32 v41, v65, 8, v41
	s_ashr_i32 s5, s4, 31
	v_ashrrev_i32_e32 v4, 4, v4
	v_add_nc_u32_e32 v2, v3, v2
	s_lshl_b64 s[4:5], s[4:5], 2
	s_delay_alu instid0(SALU_CYCLE_1) | instskip(NEXT) | instid1(VALU_DEP_2)
	s_add_u32 s16, s2, s4
	v_cndmask_b32_e32 v1, s13, v4, vcc_lo
	s_delay_alu instid0(VALU_DEP_2)
	v_ashrrev_i32_e32 v2, 4, v2
	v_cmp_gt_i32_e32 vcc_lo, s24, v3
	s_addc_u32 s25, s3, s5
	s_ashr_i32 s18, s15, 31
	s_add_u32 s26, s20, s15
	s_addc_u32 s27, s21, s18
	v_cndmask_b32_e32 v3, s13, v2, vcc_lo
	v_ashrrev_i32_e32 v2, 31, v1
	s_lshl_b32 s2, s14, 4
	s_delay_alu instid0(SALU_CYCLE_1) | instskip(NEXT) | instid1(VALU_DEP_2)
	s_ashr_i32 s3, s2, 31
	v_ashrrev_i32_e32 v4, 31, v3
	s_delay_alu instid0(VALU_DEP_2) | instskip(SKIP_1) | instid1(SALU_CYCLE_1)
	v_lshlrev_b64 v[1:2], 2, v[1:2]
	s_lshl_b64 s[2:3], s[2:3], 2
	s_add_u32 s2, s16, s2
	s_delay_alu instid0(VALU_DEP_2) | instskip(SKIP_1) | instid1(VALU_DEP_2)
	v_lshlrev_b64 v[3:4], 2, v[3:4]
	s_addc_u32 s3, s25, s3
	v_add_co_u32 v1, vcc_lo, s16, v1
	v_add_co_ci_u32_e32 v2, vcc_lo, s25, v2, vcc_lo
	s_delay_alu instid0(VALU_DEP_3) | instskip(NEXT) | instid1(VALU_DEP_4)
	v_add_co_u32 v3, vcc_lo, s16, v3
	v_add_co_ci_u32_e32 v4, vcc_lo, s25, v4, vcc_lo
	s_clause 0x1
	global_load_b32 v5, v[1:2], off
	global_load_b32 v3, v[3:4], off
	s_or_b32 s4, s12, 32
	v_lshlrev_b32_e32 v1, 4, v0
	s_ashr_i32 s5, s4, 4
	s_cmp_lt_i32 s4, s24
	s_cselect_b32 s4, s5, s13
	s_delay_alu instid0(VALU_DEP_1) | instskip(SKIP_1) | instid1(SALU_CYCLE_1)
	v_and_b32_e32 v1, 0xf0, v1
	s_ashr_i32 s5, s4, 31
	s_lshl_b64 s[4:5], s[4:5], 2
	s_delay_alu instid0(SALU_CYCLE_1)
	s_add_u32 s4, s16, s4
	s_addc_u32 s5, s25, s5
	s_or_b32 s6, s12, 64
	v_add_co_u32 v1, s26, s26, v1
	s_ashr_i32 s7, s6, 4
	s_cmp_lt_i32 s6, s24
	v_add_co_ci_u32_e64 v2, null, s27, 0, s26
	s_cselect_b32 s6, s7, s13
	s_delay_alu instid0(SALU_CYCLE_1) | instskip(NEXT) | instid1(SALU_CYCLE_1)
	s_ashr_i32 s7, s6, 31
	s_lshl_b64 s[6:7], s[6:7], 2
	s_delay_alu instid0(SALU_CYCLE_1) | instskip(SKIP_2) | instid1(SALU_CYCLE_1)
	s_add_u32 s6, s16, s6
	s_addc_u32 s7, s25, s7
	s_or_b32 s8, s12, 0x60
	s_ashr_i32 s9, s8, 4
	s_cmp_lt_i32 s8, s24
	s_cselect_b32 s8, s9, s13
	s_delay_alu instid0(SALU_CYCLE_1) | instskip(NEXT) | instid1(SALU_CYCLE_1)
	s_ashr_i32 s9, s8, 31
	s_lshl_b64 s[8:9], s[8:9], 2
	s_delay_alu instid0(SALU_CYCLE_1) | instskip(SKIP_2) | instid1(SALU_CYCLE_1)
	s_add_u32 s8, s16, s8
	s_addc_u32 s9, s25, s9
	s_or_b32 s10, s12, 0x80
	s_ashr_i32 s11, s10, 4
	s_cmp_lt_i32 s10, s24
	;; [unrolled: 10-line block ×3, first 2 shown]
	s_cselect_b32 s20, s21, s13
	s_delay_alu instid0(SALU_CYCLE_1) | instskip(NEXT) | instid1(SALU_CYCLE_1)
	s_ashr_i32 s21, s20, 31
	s_lshl_b64 s[20:21], s[20:21], 2
	s_delay_alu instid0(SALU_CYCLE_1)
	s_add_u32 s20, s16, s20
	s_addc_u32 s21, s25, s21
	s_clause 0x5
	s_load_b32 s26, s[2:3], 0x0
	s_load_b32 s27, s[4:5], 0x0
	;; [unrolled: 1-line block ×6, first 2 shown]
	s_or_b32 s2, s12, 0xc0
	s_mov_b32 s4, 0
	s_ashr_i32 s3, s2, 4
	s_cmp_lt_i32 s2, s24
	s_mov_b32 s11, s4
	s_cselect_b32 s2, s3, s13
	s_mov_b32 s5, s4
	s_ashr_i32 s3, s2, 31
	s_mov_b32 s6, s4
	s_lshl_b64 s[2:3], s[2:3], 2
	s_mov_b32 s7, s4
	s_add_u32 s2, s16, s2
	s_mov_b32 s8, s4
	s_mov_b32 s9, s4
	;; [unrolled: 1-line block ×3, first 2 shown]
	s_addc_u32 s3, s25, s3
	s_or_b32 s21, s12, 0xe0
	v_mov_b32_e32 v108, s11
	v_mov_b32_e32 v102, s5
	v_dual_mov_b32 v105, s8 :: v_dual_lshlrev_b32 v76, 6, v66
	v_dual_mov_b32 v107, s10 :: v_dual_mov_b32 v106, s9
	v_dual_mov_b32 v104, s7 :: v_dual_mov_b32 v103, s6
	v_mov_b32_e32 v101, s4
	s_ashr_i32 s4, s21, 4
	s_cmp_lt_i32 s21, s24
	s_cselect_b32 s4, s4, s13
	s_delay_alu instid0(SALU_CYCLE_1) | instskip(NEXT) | instid1(SALU_CYCLE_1)
	s_ashr_i32 s5, s4, 31
	s_lshl_b64 s[4:5], s[4:5], 2
	s_waitcnt vmcnt(1)
	v_mad_i64_i32 v[33:34], null, v5, s17, v[1:2]
	s_waitcnt vmcnt(0)
	v_mad_i64_i32 v[35:36], null, v3, s17, v[1:2]
	s_clause 0xf
	global_load_b128 v[1:4], v[33:34], off
	global_load_b128 v[5:8], v[33:34], off offset:256
	global_load_b128 v[9:12], v[35:36], off
	global_load_b128 v[13:16], v[35:36], off offset:256
	global_load_b128 v[17:20], v[33:34], off offset:512
	;; [unrolled: 1-line block ×13, first 2 shown]
	ds_load_b128 v[33:36], v76
	ds_load_b128 v[37:40], v76 offset:1024
	ds_load_b128 v[109:112], v76 offset:2048
	;; [unrolled: 1-line block ×3, first 2 shown]
	s_load_b32 s6, s[2:3], 0x0
	s_add_u32 s2, s16, s4
	s_addc_u32 s3, s25, s5
	ds_load_b128 v[117:120], v76 offset:4096
	ds_load_b128 v[121:124], v76 offset:5120
	s_load_b32 s2, s[2:3], 0x0
	s_add_u32 s4, s22, s15
	s_addc_u32 s5, s23, s18
	v_add_co_u32 v68, s4, s4, v41
	s_delay_alu instid0(VALU_DEP_1) | instskip(SKIP_1) | instid1(VALU_DEP_1)
	v_add_co_ci_u32_e64 v69, null, s5, 0, s4
	s_waitcnt lgkmcnt(0)
	v_mad_i64_i32 v[41:42], null, s26, s17, v[68:69]
	v_mad_i64_i32 v[70:71], null, s28, s17, v[68:69]
	;; [unrolled: 1-line block ×7, first 2 shown]
	s_clause 0x3
	global_load_b128 v[49:52], v[41:42], off
	global_load_b128 v[53:56], v[41:42], off offset:16
	global_load_b128 v[41:44], v[45:46], off
	global_load_b128 v[45:48], v[45:46], off offset:16
	s_waitcnt vmcnt(18)
	v_wmma_f32_16x16x16_bf16 v[125:132], v[1:8], v[33:40], v[101:108]
	s_waitcnt vmcnt(16)
	v_wmma_f32_16x16x16_bf16 v[101:108], v[9:16], v[33:40], v[101:108]
	s_clause 0x1
	global_load_b128 v[33:36], v[70:71], off
	global_load_b128 v[37:40], v[70:71], off offset:16
	v_mad_i64_i32 v[70:71], null, s2, s17, v[68:69]
	s_waitcnt vmcnt(16)
	v_wmma_f32_16x16x16_bf16 v[125:132], v[17:24], v[109:116], v[125:132]
	s_waitcnt vmcnt(14)
	v_wmma_f32_16x16x16_bf16 v[101:108], v[25:32], v[109:116], v[101:108]
	s_clause 0x7
	global_load_b128 v[25:28], v[133:134], off
	global_load_b128 v[29:32], v[133:134], off offset:16
	global_load_b128 v[1:4], v[135:136], off
	global_load_b128 v[5:8], v[135:136], off offset:16
	;; [unrolled: 2-line block ×4, first 2 shown]
	s_waitcnt vmcnt(20)
	v_wmma_f32_16x16x16_bf16 v[125:132], v[57:64], v[117:124], v[125:132]
	s_clause 0x1
	global_load_b128 v[57:60], v[70:71], off
	global_load_b128 v[61:64], v[70:71], off offset:16
	s_waitcnt vmcnt(20)
	v_wmma_f32_16x16x16_bf16 v[101:108], v[77:84], v[117:124], v[101:108]
	ds_load_b128 v[77:80], v76 offset:6144
	ds_load_b128 v[81:84], v76 offset:7168
	v_and_b32_e32 v68, 0xe0, v0
	v_mbcnt_lo_u32_b32 v69, -1, 0
	s_waitcnt vmcnt(0) lgkmcnt(0)
	s_barrier
	buffer_gl0_inv
	v_add_nc_u32_e32 v68, s12, v68
	v_xor_b32_e32 v70, 16, v69
	s_delay_alu instid0(VALU_DEP_2) | instskip(NEXT) | instid1(VALU_DEP_2)
	v_or_b32_e32 v68, v68, v74
	v_cmp_gt_i32_e32 vcc_lo, 32, v70
	s_delay_alu instid0(VALU_DEP_2)
	v_or_b32_e32 v71, 4, v68
	v_or_b32_e32 v72, 6, v68
	v_cmp_gt_i32_e64 s2, s24, v68
	v_or_b32_e32 v109, 8, v68
	v_wmma_f32_16x16x16_bf16 v[125:132], v[85:92], v[77:84], v[125:132]
	v_cndmask_b32_e32 v69, v69, v70, vcc_lo
	v_or_b32_e32 v70, 2, v68
	v_wmma_f32_16x16x16_bf16 v[101:108], v[93:100], v[77:84], v[101:108]
	v_or_b32_e32 v85, 10, v68
	v_dual_mul_f32 v84, s19, v128 :: v_dual_mul_f32 v83, s19, v129
	v_dual_mul_f32 v94, s19, v126 :: v_dual_mul_f32 v95, s19, v125
	s_delay_alu instid0(VALU_DEP_4) | instskip(SKIP_2) | instid1(VALU_DEP_4)
	v_mul_f32_e32 v98, s19, v106
	v_cmp_gt_i32_e32 vcc_lo, s24, v70
	v_dual_mul_f32 v93, s19, v127 :: v_dual_mul_f32 v96, s19, v108
	v_cndmask_b32_e64 v95, 0xff7fffff, v95, s2
	v_cmp_gt_i32_e64 s3, s24, v71
	v_cndmask_b32_e32 v94, 0xff7fffff, v94, vcc_lo
	v_cmp_gt_i32_e64 s4, s24, v72
	v_or_b32_e32 v86, 12, v68
	v_or_b32_e32 v87, 14, v68
	v_dual_mul_f32 v81, s19, v131 :: v_dual_mul_f32 v82, s19, v130
	v_cndmask_b32_e64 v93, 0xff7fffff, v93, s3
	v_cndmask_b32_e64 v72, 0xff7fffff, v84, s4
	v_max3_f32 v84, v95, 0xff7fffff, v94
	v_cmp_gt_i32_e64 s5, s24, v109
	v_cmp_gt_i32_e64 s6, s24, v85
	v_or_b32_e32 v88, 16, v68
	v_or_b32_e32 v89, 18, v68
	v_mul_f32_e32 v80, s19, v132
	v_cndmask_b32_e64 v83, 0xff7fffff, v83, s5
	v_cndmask_b32_e64 v82, 0xff7fffff, v82, s6
	v_max3_f32 v72, v84, v93, v72
	v_cmp_gt_i32_e64 s7, s24, v86
	v_cmp_gt_i32_e64 s8, s24, v87
	v_or_b32_e32 v90, 20, v68
	v_or_b32_e32 v91, 22, v68
	;; [unrolled: 1-line block ×6, first 2 shown]
	v_dual_mul_f32 v68, s19, v102 :: v_dual_mul_f32 v71, s19, v101
	v_cndmask_b32_e64 v81, 0xff7fffff, v81, s7
	v_cndmask_b32_e64 v80, 0xff7fffff, v80, s8
	v_max3_f32 v72, v72, v83, v82
	v_cmp_gt_i32_e64 s9, s24, v88
	v_cmp_gt_i32_e64 s10, s24, v89
	v_dual_mul_f32 v97, s19, v107 :: v_dual_mul_f32 v100, s19, v104
	v_dual_mul_f32 v99, s19, v105 :: v_dual_mul_f32 v70, s19, v103
	s_delay_alu instid0(VALU_DEP_4) | instskip(NEXT) | instid1(VALU_DEP_4)
	v_cndmask_b32_e64 v71, 0xff7fffff, v71, s9
	v_cndmask_b32_e64 v68, 0xff7fffff, v68, s10
	v_max3_f32 v72, v72, v81, v80
	v_cmp_gt_i32_e64 s11, s24, v90
	v_cmp_gt_i32_e64 s12, s24, v91
	;; [unrolled: 1-line block ×4, first 2 shown]
	v_max3_f32 v68, v72, v71, v68
	v_cndmask_b32_e64 v70, 0xff7fffff, v70, s11
	v_cndmask_b32_e64 v80, 0xff7fffff, v100, s12
	;; [unrolled: 1-line block ×4, first 2 shown]
	v_cmp_gt_i32_e64 s16, s24, v78
	v_cmp_gt_i32_e64 s17, s24, v79
	v_max3_f32 v68, v68, v70, v80
	v_lshlrev_b32_e32 v90, 2, v69
	s_delay_alu instid0(VALU_DEP_4) | instskip(NEXT) | instid1(VALU_DEP_4)
	v_cndmask_b32_e64 v70, 0xff7fffff, v97, s16
	v_cndmask_b32_e64 v77, 0xff7fffff, v96, s17
	s_delay_alu instid0(VALU_DEP_4) | instskip(NEXT) | instid1(VALU_DEP_1)
	v_max3_f32 v68, v68, v71, v72
	v_max3_f32 v68, v68, v70, v77
	ds_bpermute_b32 v69, v90, v68
	s_waitcnt lgkmcnt(0)
	v_max_f32_e32 v69, v69, v69
	s_delay_alu instid0(VALU_DEP_1) | instskip(NEXT) | instid1(VALU_DEP_1)
	v_max_f32_e32 v81, v68, v69
	v_fma_f32 v68, s19, v125, -v81
	s_delay_alu instid0(VALU_DEP_1)
	v_mul_f32_e32 v68, 0x3fb8aa3b, v68
	v_fma_f32 v69, s19, v126, -v81
	v_fma_f32 v71, s19, v128, -v81
	v_fma_f32 v72, s19, v129, -v81
	v_fma_f32 v70, s19, v127, -v81
	v_exp_f32_e32 v68, v68
	v_mul_f32_e32 v69, 0x3fb8aa3b, v69
	s_delay_alu instid0(VALU_DEP_3) | instskip(NEXT) | instid1(VALU_DEP_3)
	v_dual_mul_f32 v71, 0x3fb8aa3b, v71 :: v_dual_mul_f32 v72, 0x3fb8aa3b, v72
	v_mul_f32_e32 v70, 0x3fb8aa3b, v70
	v_fma_f32 v78, s19, v131, -v81
	s_delay_alu instid0(VALU_DEP_4) | instskip(NEXT) | instid1(VALU_DEP_3)
	v_exp_f32_e32 v69, v69
	v_exp_f32_e32 v71, v71
	;; [unrolled: 1-line block ×4, first 2 shown]
	v_cndmask_b32_e64 v82, 0, v68, s2
	v_fma_f32 v68, s19, v130, -v81
	v_mul_f32_e32 v78, 0x3fb8aa3b, v78
	v_fma_f32 v80, s19, v106, -v81
	s_mov_b32 s2, exec_lo
	s_delay_alu instid0(VALU_DEP_3) | instskip(NEXT) | instid1(TRANS32_DEP_2)
	v_dual_cndmask_b32 v77, 0, v69 :: v_dual_mul_f32 v68, 0x3fb8aa3b, v68
	v_cndmask_b32_e64 v86, 0, v72, s5
	v_fma_f32 v72, s19, v102, -v81
	v_add_f32_e32 v69, 0, v82
	v_cndmask_b32_e64 v83, 0, v70, s3
	v_exp_f32_e32 v68, v68
	v_fma_f32 v70, s19, v132, -v81
	s_delay_alu instid0(VALU_DEP_3) | instskip(SKIP_2) | instid1(VALU_DEP_4)
	v_dual_mul_f32 v72, 0x3fb8aa3b, v72 :: v_dual_add_f32 v69, v69, v77
	v_cndmask_b32_e64 v85, 0, v71, s4
	v_fma_f32 v71, s19, v101, -v81
	v_mul_f32_e32 v70, 0x3fb8aa3b, v70
	v_exp_f32_e32 v78, v78
	v_add_f32_e32 v69, v69, v83
	v_exp_f32_e32 v72, v72
	s_delay_alu instid0(TRANS32_DEP_3) | instskip(SKIP_1) | instid1(VALU_DEP_2)
	v_cndmask_b32_e64 v87, 0, v68, s6
	v_exp_f32_e32 v70, v70
	v_add_f32_e32 v69, v69, v85
	v_mul_f32_e32 v71, 0x3fb8aa3b, v71
	s_delay_alu instid0(TRANS32_DEP_3) | instskip(NEXT) | instid1(VALU_DEP_3)
	v_cndmask_b32_e64 v84, 0, v78, s7
	v_add_f32_e32 v68, v69, v86
	v_fma_f32 v69, s19, v103, -v81
	s_delay_alu instid0(VALU_DEP_4) | instskip(SKIP_1) | instid1(TRANS32_DEP_2)
	v_exp_f32_e32 v71, v71
	v_fma_f32 v78, s19, v104, -v81
	v_cndmask_b32_e64 v88, 0, v70, s8
	s_delay_alu instid0(VALU_DEP_3) | instskip(SKIP_1) | instid1(VALU_DEP_2)
	v_dual_add_f32 v68, v68, v87 :: v_dual_mul_f32 v69, 0x3fb8aa3b, v69
	v_fma_f32 v70, s19, v105, -v81
	v_add_f32_e32 v68, v68, v84
	v_mul_f32_e32 v78, 0x3fb8aa3b, v78
	s_delay_alu instid0(VALU_DEP_4) | instskip(NEXT) | instid1(TRANS32_DEP_2)
	v_exp_f32_e32 v79, v69
	v_cndmask_b32_e64 v69, 0, v71, s9
	s_delay_alu instid0(VALU_DEP_3) | instskip(NEXT) | instid1(VALU_DEP_3)
	v_dual_add_f32 v71, v68, v88 :: v_dual_mul_f32 v70, 0x3fb8aa3b, v70
	v_exp_f32_e32 v78, v78
	v_cndmask_b32_e64 v68, 0, v72, s10
	v_fma_f32 v72, s19, v107, -v81
	s_delay_alu instid0(VALU_DEP_3) | instskip(SKIP_1) | instid1(TRANS32_DEP_3)
	v_add_f32_e32 v71, v71, v69
	v_exp_f32_e32 v89, v70
	v_cndmask_b32_e64 v70, 0, v79, s11
	s_delay_alu instid0(VALU_DEP_2) | instskip(NEXT) | instid1(TRANS32_DEP_2)
	v_add_f32_e32 v79, v71, v68
	v_cndmask_b32_e64 v71, 0, v78, s12
	s_delay_alu instid0(VALU_DEP_2) | instskip(SKIP_2) | instid1(VALU_DEP_1)
	v_add_f32_e32 v78, v79, v70
	v_mul_f32_e32 v80, 0x3fb8aa3b, v80
	v_fma_f32 v79, s19, v108, -v81
	v_dual_mul_f32 v72, 0x3fb8aa3b, v72 :: v_dual_mul_f32 v79, 0x3fb8aa3b, v79
	s_delay_alu instid0(VALU_DEP_1) | instskip(NEXT) | instid1(TRANS32_DEP_2)
	v_exp_f32_e32 v91, v72
	v_cndmask_b32_e64 v72, 0, v89, s13
	v_add_f32_e32 v89, v78, v71
	v_exp_f32_e32 v80, v80
	s_waitcnt_depctr 0xfff
	v_cndmask_b32_e64 v78, 0, v80, s15
	v_add_f32_e32 v80, v89, v72
	v_exp_f32_e32 v89, v79
	v_cndmask_b32_e64 v79, 0, v91, s16
	s_delay_alu instid0(VALU_DEP_2) | instskip(NEXT) | instid1(VALU_DEP_1)
	v_add_f32_e32 v80, v80, v78
	v_add_f32_e32 v91, v80, v79
	s_waitcnt_depctr 0xfff
	v_cndmask_b32_e64 v80, 0, v89, s17
	s_delay_alu instid0(VALU_DEP_1)
	v_add_f32_e32 v89, v91, v80
	ds_bpermute_b32 v90, v90, v89
	v_cmpx_gt_u32_e32 16, v67
	s_cbranch_execz .LBB1541_12
; %bb.11:
	v_mul_u32_u24_e32 v67, 0x44, v65
	s_waitcnt lgkmcnt(0)
	v_add_f32_e32 v89, v89, v90
	s_delay_alu instid0(VALU_DEP_2) | instskip(NEXT) | instid1(VALU_DEP_1)
	v_lshl_add_u32 v67, v66, 2, v67
	v_add_nc_u32_e32 v67, 0x4000, v67
	ds_store_2addr_b32 v67, v81, v89 offset1:136
.LBB1541_12:
	s_or_b32 exec_lo, exec_lo, s2
	v_lshlrev_b32_e32 v66, 2, v66
	s_waitcnt lgkmcnt(0)
	s_barrier
	buffer_gl0_inv
	v_cmp_eq_u32_e32 vcc_lo, 1, v65
	v_add_nc_u32_e32 v81, 0x4000, v66
	v_cmp_eq_u32_e64 s2, 2, v65
	v_cmp_eq_u32_e64 s4, 7, v65
	ds_load_2addr_b32 v[89:90], v81 offset1:17
	ds_load_2addr_b32 v[91:92], v81 offset0:34 offset1:51
	ds_load_2addr_b32 v[93:94], v81 offset0:68 offset1:85
	;; [unrolled: 1-line block ×4, first 2 shown]
	s_waitcnt lgkmcnt(4)
	v_max3_f32 v66, v89, 0xff7fffff, v90
	s_waitcnt lgkmcnt(3)
	s_delay_alu instid0(VALU_DEP_1) | instskip(SKIP_1) | instid1(VALU_DEP_1)
	v_max3_f32 v66, v66, v91, v92
	s_waitcnt lgkmcnt(2)
	v_max3_f32 v66, v66, v93, v94
	s_waitcnt lgkmcnt(1)
	s_delay_alu instid0(VALU_DEP_1) | instskip(NEXT) | instid1(VALU_DEP_1)
	v_max3_f32 v66, v66, v95, v96
	v_sub_f32_e32 v67, v89, v66
	v_sub_f32_e32 v91, v91, v66
	;; [unrolled: 1-line block ×3, first 2 shown]
	s_delay_alu instid0(VALU_DEP_3) | instskip(NEXT) | instid1(VALU_DEP_3)
	v_mul_f32_e32 v67, 0x3fb8aa3b, v67
	v_mul_f32_e32 v101, 0x3fb8aa3b, v91
	s_delay_alu instid0(VALU_DEP_3) | instskip(NEXT) | instid1(VALU_DEP_3)
	v_mul_f32_e32 v103, 0x3fb8aa3b, v93
	v_exp_f32_e32 v100, v67
	v_sub_f32_e32 v67, v92, v66
	v_sub_f32_e32 v99, v90, v66
	ds_load_2addr_b32 v[89:90], v81 offset0:170 offset1:187
	ds_load_2addr_b32 v[91:92], v81 offset0:204 offset1:221
	v_exp_f32_e32 v101, v101
	v_mul_f32_e32 v102, 0x3fb8aa3b, v67
	v_mul_f32_e32 v99, 0x3fb8aa3b, v99
	s_waitcnt lgkmcnt(2)
	v_fma_f32 v67, v100, v97, 0
	v_sub_f32_e32 v97, v94, v66
	s_delay_alu instid0(VALU_DEP_3)
	v_exp_f32_e32 v99, v99
	v_exp_f32_e32 v102, v102
	ds_load_2addr_b32 v[93:94], v81 offset0:238 offset1:255
	v_sub_f32_e32 v81, v95, v66
	v_mul_f32_e32 v95, 0x3fb8aa3b, v97
	v_exp_f32_e32 v97, v103
	s_waitcnt lgkmcnt(0)
	s_barrier
	v_mul_f32_e32 v81, 0x3fb8aa3b, v81
	v_exp_f32_e32 v95, v95
	v_fmac_f32_e32 v67, v99, v98
	buffer_gl0_inv
	v_exp_f32_e32 v81, v81
	v_fmac_f32_e32 v67, v101, v89
	v_sub_f32_e32 v89, v96, v66
	s_delay_alu instid0(VALU_DEP_2) | instskip(NEXT) | instid1(VALU_DEP_2)
	v_fmac_f32_e32 v67, v102, v90
	v_mul_f32_e32 v89, 0x3fb8aa3b, v89
	s_delay_alu instid0(VALU_DEP_2) | instskip(NEXT) | instid1(VALU_DEP_2)
	v_fmac_f32_e32 v67, v97, v91
	v_exp_f32_e32 v89, v89
	s_delay_alu instid0(VALU_DEP_1)
	v_fmac_f32_e32 v67, v95, v92
	s_delay_alu instid0(TRANS32_DEP_2) | instid1(VALU_DEP_1)
	v_fmac_f32_e32 v67, v81, v93
	s_waitcnt_depctr 0xfff
	v_fmac_f32_e32 v67, v89, v94
	s_delay_alu instid0(VALU_DEP_1) | instskip(NEXT) | instid1(VALU_DEP_1)
	v_add_f32_e32 v90, 0x358637bd, v67
	v_div_scale_f32 v91, null, v90, v90, 1.0
	v_div_scale_f32 v94, s3, 1.0, v90, 1.0
	s_delay_alu instid0(VALU_DEP_2) | instskip(SKIP_2) | instid1(VALU_DEP_1)
	v_rcp_f32_e32 v92, v91
	s_waitcnt_depctr 0xfff
	v_fma_f32 v93, -v91, v92, 1.0
	v_dual_fmac_f32 v92, v93, v92 :: v_dual_cndmask_b32 v93, v100, v99
	v_cmp_eq_u32_e32 vcc_lo, 3, v65
	s_delay_alu instid0(VALU_DEP_2) | instskip(NEXT) | instid1(VALU_DEP_3)
	v_mul_f32_e32 v96, v94, v92
	v_cndmask_b32_e64 v93, v93, v101, s2
	v_cmp_eq_u32_e64 s2, 4, v65
	s_delay_alu instid0(VALU_DEP_3) | instskip(NEXT) | instid1(VALU_DEP_3)
	v_fma_f32 v98, -v91, v96, v94
	v_cndmask_b32_e32 v93, v93, v102, vcc_lo
	v_cmp_eq_u32_e32 vcc_lo, 5, v65
	s_delay_alu instid0(VALU_DEP_3) | instskip(NEXT) | instid1(VALU_DEP_3)
	v_fmac_f32_e32 v96, v98, v92
	v_cndmask_b32_e64 v93, v93, v97, s2
	v_cmp_eq_u32_e64 s2, 6, v65
	s_delay_alu instid0(VALU_DEP_3) | instskip(NEXT) | instid1(VALU_DEP_3)
	v_fma_f32 v91, -v91, v96, v94
	v_cndmask_b32_e32 v93, v93, v95, vcc_lo
	s_mov_b32 vcc_lo, s3
	s_delay_alu instid0(VALU_DEP_2) | instskip(NEXT) | instid1(VALU_DEP_2)
	v_div_fmas_f32 v91, v91, v92, v96
	v_cndmask_b32_e64 v81, v93, v81, s2
	s_mov_b32 s2, exec_lo
	s_delay_alu instid0(VALU_DEP_2) | instskip(NEXT) | instid1(VALU_DEP_2)
	v_div_fixup_f32 v90, v91, v90, 1.0
	v_cndmask_b32_e64 v81, v81, v89, s4
	s_delay_alu instid0(VALU_DEP_1) | instskip(NEXT) | instid1(VALU_DEP_1)
	v_mul_f32_e32 v81, v81, v90
	v_mul_f32_e32 v90, v81, v82
	;; [unrolled: 1-line block ×6, first 2 shown]
	v_dual_mul_f32 v86, v81, v83 :: v_dual_and_b32 v91, 0x7f800000, v90
	v_mul_f32_e32 v89, v81, v85
	v_mul_f32_e32 v85, v81, v77
                                        ; implicit-def: $vgpr77
	s_delay_alu instid0(VALU_DEP_3)
	v_cmpx_ne_u32_e32 0x7f800000, v91
	s_xor_b32 s2, exec_lo, s2
; %bb.13:
	v_bfe_u32 v77, v90, 16, 1
	s_delay_alu instid0(VALU_DEP_1)
	v_add3_u32 v77, v90, v77, 0x7fff
                                        ; implicit-def: $vgpr90
; %bb.14:
	s_and_not1_saveexec_b32 s2, s2
; %bb.15:
	v_and_b32_e32 v77, 0xffff, v90
	v_or_b32_e32 v83, 0x10000, v90
	s_delay_alu instid0(VALU_DEP_2) | instskip(NEXT) | instid1(VALU_DEP_2)
	v_cmp_eq_u32_e32 vcc_lo, 0, v77
	v_cndmask_b32_e32 v77, v83, v90, vcc_lo
; %bb.16:
	s_or_b32 exec_lo, exec_lo, s2
	v_and_b32_e32 v83, 0x7f800000, v85
	s_delay_alu instid0(VALU_DEP_1) | instskip(SKIP_1) | instid1(SALU_CYCLE_1)
	v_cmp_ne_u32_e32 vcc_lo, 0x7f800000, v83
                                        ; implicit-def: $vgpr83
	s_and_saveexec_b32 s2, vcc_lo
	s_xor_b32 s2, exec_lo, s2
; %bb.17:
	v_bfe_u32 v83, v85, 16, 1
	s_delay_alu instid0(VALU_DEP_1)
	v_add3_u32 v83, v85, v83, 0x7fff
                                        ; implicit-def: $vgpr85
; %bb.18:
	s_and_not1_saveexec_b32 s2, s2
; %bb.19:
	v_and_b32_e32 v83, 0xffff, v85
	v_or_b32_e32 v90, 0x10000, v85
	s_delay_alu instid0(VALU_DEP_2) | instskip(NEXT) | instid1(VALU_DEP_2)
	v_cmp_eq_u32_e32 vcc_lo, 0, v83
	v_cndmask_b32_e32 v83, v90, v85, vcc_lo
; %bb.20:
	s_or_b32 exec_lo, exec_lo, s2
	v_and_b32_e32 v85, 0x7f800000, v86
	s_delay_alu instid0(VALU_DEP_1) | instskip(SKIP_1) | instid1(SALU_CYCLE_1)
	v_cmp_ne_u32_e32 vcc_lo, 0x7f800000, v85
                                        ; implicit-def: $vgpr85
	s_and_saveexec_b32 s2, vcc_lo
	s_xor_b32 s2, exec_lo, s2
; %bb.21:
	v_bfe_u32 v85, v86, 16, 1
	s_delay_alu instid0(VALU_DEP_1)
	v_add3_u32 v85, v86, v85, 0x7fff
                                        ; implicit-def: $vgpr86
; %bb.22:
	s_and_not1_saveexec_b32 s2, s2
; %bb.23:
	v_and_b32_e32 v85, 0xffff, v86
	v_or_b32_e32 v90, 0x10000, v86
	s_delay_alu instid0(VALU_DEP_2) | instskip(NEXT) | instid1(VALU_DEP_2)
	v_cmp_eq_u32_e32 vcc_lo, 0, v85
	v_cndmask_b32_e32 v85, v90, v86, vcc_lo
; %bb.24:
	s_or_b32 exec_lo, exec_lo, s2
	v_and_b32_e32 v86, 0x7f800000, v89
	s_delay_alu instid0(VALU_DEP_1) | instskip(SKIP_1) | instid1(SALU_CYCLE_1)
	v_cmp_ne_u32_e32 vcc_lo, 0x7f800000, v86
                                        ; implicit-def: $vgpr86
	s_and_saveexec_b32 s2, vcc_lo
	s_xor_b32 s2, exec_lo, s2
; %bb.25:
	v_bfe_u32 v86, v89, 16, 1
	s_delay_alu instid0(VALU_DEP_1)
	v_add3_u32 v86, v89, v86, 0x7fff
                                        ; implicit-def: $vgpr89
; %bb.26:
	s_and_not1_saveexec_b32 s2, s2
; %bb.27:
	v_and_b32_e32 v86, 0xffff, v89
	v_or_b32_e32 v90, 0x10000, v89
	s_delay_alu instid0(VALU_DEP_2) | instskip(NEXT) | instid1(VALU_DEP_2)
	v_cmp_eq_u32_e32 vcc_lo, 0, v86
	v_cndmask_b32_e32 v86, v90, v89, vcc_lo
; %bb.28:
	s_or_b32 exec_lo, exec_lo, s2
	v_and_b32_e32 v89, 0x7f800000, v88
	s_delay_alu instid0(VALU_DEP_1) | instskip(SKIP_1) | instid1(SALU_CYCLE_1)
	v_cmp_ne_u32_e32 vcc_lo, 0x7f800000, v89
                                        ; implicit-def: $vgpr89
	s_and_saveexec_b32 s2, vcc_lo
	s_xor_b32 s2, exec_lo, s2
; %bb.29:
	v_bfe_u32 v89, v88, 16, 1
	s_delay_alu instid0(VALU_DEP_1)
	v_add3_u32 v89, v88, v89, 0x7fff
                                        ; implicit-def: $vgpr88
; %bb.30:
	s_and_not1_saveexec_b32 s2, s2
; %bb.31:
	v_and_b32_e32 v89, 0xffff, v88
	v_or_b32_e32 v90, 0x10000, v88
	s_delay_alu instid0(VALU_DEP_2) | instskip(NEXT) | instid1(VALU_DEP_2)
	v_cmp_eq_u32_e32 vcc_lo, 0, v89
	v_cndmask_b32_e32 v89, v90, v88, vcc_lo
; %bb.32:
	s_or_b32 exec_lo, exec_lo, s2
	v_and_b32_e32 v88, 0x7f800000, v87
	s_delay_alu instid0(VALU_DEP_1) | instskip(SKIP_1) | instid1(SALU_CYCLE_1)
	v_cmp_ne_u32_e32 vcc_lo, 0x7f800000, v88
                                        ; implicit-def: $vgpr88
	s_and_saveexec_b32 s2, vcc_lo
	s_xor_b32 s2, exec_lo, s2
; %bb.33:
	v_bfe_u32 v88, v87, 16, 1
	s_delay_alu instid0(VALU_DEP_1)
	v_add3_u32 v88, v87, v88, 0x7fff
                                        ; implicit-def: $vgpr87
; %bb.34:
	s_and_not1_saveexec_b32 s2, s2
; %bb.35:
	v_and_b32_e32 v88, 0xffff, v87
	v_or_b32_e32 v90, 0x10000, v87
	s_delay_alu instid0(VALU_DEP_2) | instskip(NEXT) | instid1(VALU_DEP_2)
	v_cmp_eq_u32_e32 vcc_lo, 0, v88
	v_cndmask_b32_e32 v88, v90, v87, vcc_lo
; %bb.36:
	s_or_b32 exec_lo, exec_lo, s2
	v_and_b32_e32 v87, 0x7f800000, v84
	s_delay_alu instid0(VALU_DEP_1) | instskip(SKIP_1) | instid1(SALU_CYCLE_1)
	v_cmp_ne_u32_e32 vcc_lo, 0x7f800000, v87
                                        ; implicit-def: $vgpr87
	s_and_saveexec_b32 s2, vcc_lo
	s_xor_b32 s2, exec_lo, s2
; %bb.37:
	v_bfe_u32 v87, v84, 16, 1
	s_delay_alu instid0(VALU_DEP_1)
	v_add3_u32 v87, v84, v87, 0x7fff
                                        ; implicit-def: $vgpr84
; %bb.38:
	s_and_not1_saveexec_b32 s2, s2
; %bb.39:
	v_and_b32_e32 v87, 0xffff, v84
	v_or_b32_e32 v90, 0x10000, v84
	s_delay_alu instid0(VALU_DEP_2) | instskip(NEXT) | instid1(VALU_DEP_2)
	v_cmp_eq_u32_e32 vcc_lo, 0, v87
	v_cndmask_b32_e32 v87, v90, v84, vcc_lo
; %bb.40:
	s_or_b32 exec_lo, exec_lo, s2
	v_and_b32_e32 v84, 0x7f800000, v82
	s_delay_alu instid0(VALU_DEP_1) | instskip(SKIP_1) | instid1(SALU_CYCLE_1)
	v_cmp_ne_u32_e32 vcc_lo, 0x7f800000, v84
                                        ; implicit-def: $vgpr84
	s_and_saveexec_b32 s2, vcc_lo
	s_xor_b32 s2, exec_lo, s2
; %bb.41:
	v_bfe_u32 v84, v82, 16, 1
	s_delay_alu instid0(VALU_DEP_1)
	v_add3_u32 v84, v82, v84, 0x7fff
                                        ; implicit-def: $vgpr82
; %bb.42:
	s_and_not1_saveexec_b32 s2, s2
; %bb.43:
	v_and_b32_e32 v84, 0xffff, v82
	v_or_b32_e32 v90, 0x10000, v82
	s_delay_alu instid0(VALU_DEP_2) | instskip(NEXT) | instid1(VALU_DEP_2)
	v_cmp_eq_u32_e32 vcc_lo, 0, v84
	v_cndmask_b32_e32 v84, v90, v82, vcc_lo
; %bb.44:
	s_or_b32 exec_lo, exec_lo, s2
	s_load_b64 s[34:35], s[0:1], 0x94
	v_lshlrev_b32_e32 v82, 4, v74
	s_delay_alu instid0(VALU_DEP_2)
	v_perm_b32 v90, v84, v87, 0x7060302
	v_lshlrev_b32_e32 v84, 11, v65
	v_perm_b32 v87, v83, v77, 0x7060302
	v_mul_f32_e32 v83, v81, v69
	v_mul_f32_e32 v69, v81, v80
	v_perm_b32 v89, v88, v89, 0x7060302
	v_perm_b32 v88, v86, v85, 0x7060302
	v_or3_b32 v77, v82, v84, v76
	v_mul_f32_e32 v79, v81, v79
	v_mul_f32_e32 v78, v81, v78
	v_and_b32_e32 v84, 0x7f800000, v83
	v_mul_f32_e32 v72, v81, v72
	v_mul_f32_e32 v82, v81, v71
	;; [unrolled: 1-line block ×4, first 2 shown]
	s_mov_b32 s2, exec_lo
	ds_store_b128 v77, v[87:90]
                                        ; implicit-def: $vgpr68
	v_cmpx_ne_u32_e32 0x7f800000, v84
	s_xor_b32 s2, exec_lo, s2
; %bb.45:
	v_bfe_u32 v68, v83, 16, 1
	s_delay_alu instid0(VALU_DEP_1)
	v_add3_u32 v68, v83, v68, 0x7fff
                                        ; implicit-def: $vgpr83
; %bb.46:
	s_and_not1_saveexec_b32 s2, s2
; %bb.47:
	v_and_b32_e32 v68, 0xffff, v83
	v_or_b32_e32 v70, 0x10000, v83
	s_delay_alu instid0(VALU_DEP_2) | instskip(NEXT) | instid1(VALU_DEP_2)
	v_cmp_eq_u32_e32 vcc_lo, 0, v68
	v_cndmask_b32_e32 v68, v70, v83, vcc_lo
; %bb.48:
	s_or_b32 exec_lo, exec_lo, s2
	v_and_b32_e32 v70, 0x7f800000, v71
	s_delay_alu instid0(VALU_DEP_1) | instskip(SKIP_1) | instid1(SALU_CYCLE_1)
	v_cmp_ne_u32_e32 vcc_lo, 0x7f800000, v70
                                        ; implicit-def: $vgpr70
	s_and_saveexec_b32 s2, vcc_lo
	s_xor_b32 s2, exec_lo, s2
; %bb.49:
	v_bfe_u32 v70, v71, 16, 1
	s_delay_alu instid0(VALU_DEP_1)
	v_add3_u32 v70, v71, v70, 0x7fff
                                        ; implicit-def: $vgpr71
; %bb.50:
	s_and_not1_saveexec_b32 s2, s2
; %bb.51:
	v_and_b32_e32 v70, 0xffff, v71
	v_or_b32_e32 v81, 0x10000, v71
	s_delay_alu instid0(VALU_DEP_2) | instskip(NEXT) | instid1(VALU_DEP_2)
	v_cmp_eq_u32_e32 vcc_lo, 0, v70
	v_cndmask_b32_e32 v70, v81, v71, vcc_lo
; %bb.52:
	s_or_b32 exec_lo, exec_lo, s2
	v_and_b32_e32 v71, 0x7f800000, v80
	s_delay_alu instid0(VALU_DEP_1) | instskip(SKIP_1) | instid1(SALU_CYCLE_1)
	v_cmp_ne_u32_e32 vcc_lo, 0x7f800000, v71
                                        ; implicit-def: $vgpr71
	s_and_saveexec_b32 s2, vcc_lo
	s_xor_b32 s2, exec_lo, s2
; %bb.53:
	v_bfe_u32 v71, v80, 16, 1
	s_delay_alu instid0(VALU_DEP_1)
	v_add3_u32 v71, v80, v71, 0x7fff
                                        ; implicit-def: $vgpr80
; %bb.54:
	s_and_not1_saveexec_b32 s2, s2
; %bb.55:
	v_and_b32_e32 v71, 0xffff, v80
	v_or_b32_e32 v81, 0x10000, v80
	s_delay_alu instid0(VALU_DEP_2) | instskip(NEXT) | instid1(VALU_DEP_2)
	v_cmp_eq_u32_e32 vcc_lo, 0, v71
	v_cndmask_b32_e32 v71, v81, v80, vcc_lo
; %bb.56:
	s_or_b32 exec_lo, exec_lo, s2
	v_and_b32_e32 v80, 0x7f800000, v82
	s_delay_alu instid0(VALU_DEP_1) | instskip(SKIP_1) | instid1(SALU_CYCLE_1)
	v_cmp_ne_u32_e32 vcc_lo, 0x7f800000, v80
                                        ; implicit-def: $vgpr80
	s_and_saveexec_b32 s2, vcc_lo
	s_xor_b32 s2, exec_lo, s2
; %bb.57:
	v_bfe_u32 v80, v82, 16, 1
	s_delay_alu instid0(VALU_DEP_1)
	v_add3_u32 v80, v82, v80, 0x7fff
                                        ; implicit-def: $vgpr82
; %bb.58:
	s_and_not1_saveexec_b32 s2, s2
; %bb.59:
	v_and_b32_e32 v80, 0xffff, v82
	v_or_b32_e32 v81, 0x10000, v82
	s_delay_alu instid0(VALU_DEP_2) | instskip(NEXT) | instid1(VALU_DEP_2)
	v_cmp_eq_u32_e32 vcc_lo, 0, v80
	v_cndmask_b32_e32 v80, v81, v82, vcc_lo
; %bb.60:
	s_or_b32 exec_lo, exec_lo, s2
	v_and_b32_e32 v81, 0x7f800000, v72
	s_delay_alu instid0(VALU_DEP_1) | instskip(SKIP_1) | instid1(SALU_CYCLE_1)
	v_cmp_ne_u32_e32 vcc_lo, 0x7f800000, v81
                                        ; implicit-def: $vgpr81
	s_and_saveexec_b32 s2, vcc_lo
	s_xor_b32 s2, exec_lo, s2
; %bb.61:
	v_bfe_u32 v81, v72, 16, 1
	s_delay_alu instid0(VALU_DEP_1)
	v_add3_u32 v81, v72, v81, 0x7fff
                                        ; implicit-def: $vgpr72
; %bb.62:
	s_and_not1_saveexec_b32 s2, s2
; %bb.63:
	v_and_b32_e32 v81, 0xffff, v72
	v_or_b32_e32 v82, 0x10000, v72
	s_delay_alu instid0(VALU_DEP_2) | instskip(NEXT) | instid1(VALU_DEP_2)
	v_cmp_eq_u32_e32 vcc_lo, 0, v81
	v_cndmask_b32_e32 v81, v82, v72, vcc_lo
; %bb.64:
	s_or_b32 exec_lo, exec_lo, s2
	v_and_b32_e32 v72, 0x7f800000, v78
	s_delay_alu instid0(VALU_DEP_1) | instskip(SKIP_1) | instid1(SALU_CYCLE_1)
	v_cmp_ne_u32_e32 vcc_lo, 0x7f800000, v72
                                        ; implicit-def: $vgpr72
	s_and_saveexec_b32 s2, vcc_lo
	s_xor_b32 s2, exec_lo, s2
; %bb.65:
	v_bfe_u32 v72, v78, 16, 1
	s_delay_alu instid0(VALU_DEP_1)
	v_add3_u32 v72, v78, v72, 0x7fff
                                        ; implicit-def: $vgpr78
; %bb.66:
	s_and_not1_saveexec_b32 s2, s2
; %bb.67:
	v_and_b32_e32 v72, 0xffff, v78
	v_or_b32_e32 v82, 0x10000, v78
	s_delay_alu instid0(VALU_DEP_2) | instskip(NEXT) | instid1(VALU_DEP_2)
	v_cmp_eq_u32_e32 vcc_lo, 0, v72
	v_cndmask_b32_e32 v72, v82, v78, vcc_lo
; %bb.68:
	s_or_b32 exec_lo, exec_lo, s2
	v_and_b32_e32 v78, 0x7f800000, v79
	s_delay_alu instid0(VALU_DEP_1) | instskip(SKIP_1) | instid1(SALU_CYCLE_1)
	v_cmp_ne_u32_e32 vcc_lo, 0x7f800000, v78
                                        ; implicit-def: $vgpr78
	s_and_saveexec_b32 s2, vcc_lo
	s_xor_b32 s2, exec_lo, s2
; %bb.69:
	v_bfe_u32 v78, v79, 16, 1
	s_delay_alu instid0(VALU_DEP_1)
	v_add3_u32 v78, v79, v78, 0x7fff
                                        ; implicit-def: $vgpr79
; %bb.70:
	s_and_not1_saveexec_b32 s2, s2
; %bb.71:
	v_and_b32_e32 v78, 0xffff, v79
	v_or_b32_e32 v82, 0x10000, v79
	s_delay_alu instid0(VALU_DEP_2) | instskip(NEXT) | instid1(VALU_DEP_2)
	v_cmp_eq_u32_e32 vcc_lo, 0, v78
	v_cndmask_b32_e32 v78, v82, v79, vcc_lo
; %bb.72:
	s_or_b32 exec_lo, exec_lo, s2
	v_and_b32_e32 v79, 0x7f800000, v69
	s_delay_alu instid0(VALU_DEP_1) | instskip(SKIP_1) | instid1(SALU_CYCLE_1)
	v_cmp_ne_u32_e32 vcc_lo, 0x7f800000, v79
                                        ; implicit-def: $vgpr79
	s_and_saveexec_b32 s2, vcc_lo
	s_xor_b32 s2, exec_lo, s2
; %bb.73:
	v_bfe_u32 v79, v69, 16, 1
	s_delay_alu instid0(VALU_DEP_1)
	v_add3_u32 v79, v69, v79, 0x7fff
                                        ; implicit-def: $vgpr69
; %bb.74:
	s_and_not1_saveexec_b32 s2, s2
; %bb.75:
	v_and_b32_e32 v79, 0xffff, v69
	v_or_b32_e32 v82, 0x10000, v69
	s_delay_alu instid0(VALU_DEP_2) | instskip(NEXT) | instid1(VALU_DEP_2)
	v_cmp_eq_u32_e32 vcc_lo, 0, v79
	v_cndmask_b32_e32 v79, v82, v69, vcc_lo
; %bb.76:
	s_or_b32 exec_lo, exec_lo, s2
	s_delay_alu instid0(VALU_DEP_1)
	v_perm_b32 v86, v79, v78, 0x7060302
	v_perm_b32 v85, v72, v81, 0x7060302
	;; [unrolled: 1-line block ×4, first 2 shown]
	v_lshl_or_b32 v82, v65, 11, v76
	v_lshlrev_b32_e32 v79, 2, v74
	ds_store_b128 v77, v[83:86] offset:1024
	s_waitcnt lgkmcnt(0)
	s_barrier
	buffer_gl0_inv
	ds_load_b128 v[68:71], v82
	ds_load_b128 v[83:86], v82 offset:16
	v_or_b32_e32 v80, 1, v79
	v_cmp_eq_u32_e32 vcc_lo, 1, v79
	v_cmp_eq_u32_e64 s3, 2, v79
	v_cmp_eq_u32_e64 s6, 3, v79
	;; [unrolled: 1-line block ×6, first 2 shown]
	v_or_b32_e32 v78, 2, v79
	v_cmp_eq_u32_e64 s9, 5, v79
	v_cmp_eq_u32_e64 s10, 4, v80
	v_cmp_eq_u32_e64 s11, 6, v79
	v_cmp_eq_u32_e64 s12, 5, v80
	v_cmp_eq_u32_e64 s4, 1, v78
	v_cmp_eq_u32_e64 s13, 7, v79
	v_cmp_eq_u32_e64 s15, 6, v80
	v_cmp_eq_u32_e64 s16, 2, v78
	v_cmp_eq_u32_e64 s17, 7, v80
	s_waitcnt lgkmcnt(1)
	v_lshrrev_b32_e32 v65, 16, v68
	s_waitcnt lgkmcnt(0)
	v_lshrrev_b32_e32 v91, 16, v83
	v_lshrrev_b32_e32 v72, 16, v69
	;; [unrolled: 1-line block ×4, first 2 shown]
	v_cndmask_b32_e32 v81, v68, v65, vcc_lo
	v_cndmask_b32_e32 v87, v83, v91, vcc_lo
	v_cndmask_b32_e64 v88, v68, v65, s2
	v_lshrrev_b32_e32 v98, 16, v85
	v_cndmask_b32_e64 v89, v83, v91, s2
	v_cndmask_b32_e64 v81, v81, v69, s3
	v_cndmask_b32_e64 v87, v87, v84, s3
	v_cndmask_b32_e64 v88, v88, v69, s5
	v_lshrrev_b32_e32 v96, 16, v71
	v_cndmask_b32_e64 v89, v89, v84, s5
	v_cndmask_b32_e64 v81, v81, v72, s6
	v_cndmask_b32_e64 v87, v87, v97, s6
	;; [unrolled: 5-line block ×3, first 2 shown]
	v_cndmask_b32_e64 v88, v88, v70, s10
	v_cndmask_b32_e64 v89, v89, v97, s7
	v_cmp_eq_u32_e64 s18, 3, v78
	v_cndmask_b32_e64 v81, v81, v95, s9
	v_cndmask_b32_e64 v87, v87, v98, s9
	v_cndmask_b32_e64 v88, v88, v95, s12
	v_cndmask_b32_e64 v89, v89, v85, s10
	v_cmp_eq_u32_e64 s19, 4, v78
	v_cndmask_b32_e64 v81, v81, v71, s11
	v_cndmask_b32_e64 v87, v87, v86, s11
	;; [unrolled: 1-line block ×3, first 2 shown]
	v_cmp_eq_u32_e64 s21, 5, v78
	v_cmp_eq_u32_e64 s23, 6, v78
	v_cndmask_b32_e64 v100, v81, v96, s13
	v_cndmask_b32_e64 v101, v87, v99, s13
	;; [unrolled: 1-line block ×6, first 2 shown]
	v_cmp_eq_u32_e64 s26, 7, v78
	v_cndmask_b32_e64 v89, v81, v72, s18
	v_cndmask_b32_e64 v87, v87, v84, s16
	v_or_b32_e32 v81, 3, v79
	v_cndmask_b32_e64 v103, v88, v86, s15
	s_delay_alu instid0(VALU_DEP_4) | instskip(NEXT) | instid1(VALU_DEP_4)
	v_cndmask_b32_e64 v92, v89, v70, s19
	v_cndmask_b32_e64 v93, v87, v97, s18
	s_delay_alu instid0(VALU_DEP_4)
	v_cmp_eq_u32_e64 s20, 1, v81
	ds_load_b128 v[87:90], v82 offset:1024
	v_cmp_eq_u32_e64 s22, 2, v81
	v_cndmask_b32_e64 v104, v92, v95, s21
	v_cmp_eq_u32_e64 s24, 3, v81
	v_cndmask_b32_e64 v65, v68, v65, s20
	v_cndmask_b32_e64 v68, v93, v85, s19
	;; [unrolled: 1-line block ×3, first 2 shown]
	ds_load_b128 v[91:94], v82 offset:1040
	v_cmp_eq_u32_e64 s25, 4, v81
	v_cndmask_b32_e64 v65, v65, v69, s22
	v_cmp_eq_u32_e64 s27, 5, v81
	v_cndmask_b32_e64 v69, v83, v84, s22
	v_cmp_eq_u32_e64 s28, 6, v81
	v_cndmask_b32_e64 v68, v68, v98, s21
	v_cndmask_b32_e64 v65, v65, v72, s24
	v_cndmask_b32_e64 v72, v104, v71, s23
	;; [unrolled: 1-line block ×6, first 2 shown]
	s_waitcnt lgkmcnt(1)
	v_lshrrev_b32_e32 v84, 16, v87
	v_cndmask_b32_e64 v69, v69, v85, s25
	v_cndmask_b32_e64 v70, v72, v96, s26
	;; [unrolled: 1-line block ×4, first 2 shown]
	v_cndmask_b32_e32 v72, v87, v84, vcc_lo
	v_cndmask_b32_e64 v69, v69, v98, s27
	s_waitcnt lgkmcnt(0)
	v_lshrrev_b32_e32 v85, 16, v91
	v_lshrrev_b32_e32 v95, 16, v88
	v_cndmask_b32_e64 v97, v87, v84, s2
	v_cndmask_b32_e64 v72, v72, v88, s3
	;; [unrolled: 1-line block ×3, first 2 shown]
	v_cndmask_b32_e32 v98, v91, v85, vcc_lo
	v_cmp_eq_u32_e32 vcc_lo, 7, v81
	v_cndmask_b32_e64 v69, v69, v86, s28
	v_cndmask_b32_e64 v71, v72, v95, s6
	;; [unrolled: 1-line block ×3, first 2 shown]
	v_lshrrev_b32_e32 v97, 16, v92
	v_cndmask_b32_e32 v65, v65, v96, vcc_lo
	v_cndmask_b32_e64 v86, v98, v92, s3
	v_cndmask_b32_e32 v69, v69, v99, vcc_lo
	v_lshrrev_b32_e32 v99, 16, v93
	v_cndmask_b32_e64 v71, v71, v89, s8
	v_lshrrev_b32_e32 v98, 16, v89
	v_cndmask_b32_e64 v86, v86, v97, s6
	v_perm_b32 v70, v68, v70, 0x5040100
	v_cndmask_b32_e64 v72, v72, v95, s7
	s_delay_alu instid0(VALU_DEP_4) | instskip(NEXT) | instid1(VALU_DEP_4)
	v_cndmask_b32_e64 v96, v71, v98, s9
	v_cndmask_b32_e64 v86, v86, v93, s8
	v_perm_b32 v71, v69, v65, 0x5040100
	v_perm_b32 v69, v83, v102, 0x5040100
	v_cndmask_b32_e64 v102, v91, v85, s4
	v_cndmask_b32_e64 v72, v72, v89, s10
	;; [unrolled: 1-line block ×3, first 2 shown]
	v_lshrrev_b32_e32 v83, 16, v94
	s_delay_alu instid0(VALU_DEP_3) | instskip(NEXT) | instid1(VALU_DEP_3)
	v_cndmask_b32_e64 v65, v72, v98, s12
	v_cndmask_b32_e64 v68, v86, v94, s11
	;; [unrolled: 1-line block ×27, first 2 shown]
	v_lshrrev_b32_e32 v96, 16, v90
	v_cndmask_b32_e64 v65, v65, v90, s15
	v_cndmask_b32_e64 v86, v86, v90, s23
	v_cndmask_b32_e64 v84, v84, v90, s28
	v_cndmask_b32_e64 v87, v87, v94, s28
	v_cndmask_b32_e64 v88, v88, v94, s23
	v_cndmask_b32_e64 v85, v85, v94, s15
	v_cndmask_b32_e64 v72, v72, v96, s13
	v_cndmask_b32_e64 v65, v65, v96, s17
	v_cndmask_b32_e64 v89, v86, v96, s26
	v_cndmask_b32_e32 v84, v84, v96, vcc_lo
	v_cndmask_b32_e32 v86, v87, v83, vcc_lo
	v_cndmask_b32_e64 v87, v88, v83, s26
	v_cndmask_b32_e64 v88, v85, v83, s17
	;; [unrolled: 1-line block ×3, first 2 shown]
	v_perm_b32 v68, v101, v100, 0x5040100
	v_perm_b32 v86, v86, v84, 0x5040100
	;; [unrolled: 1-line block ×5, first 2 shown]
	s_lshl_b32 s7, s35, 4
	s_mov_b32 s2, exec_lo
	ds_store_b128 v77, v[68:71]
	ds_store_b128 v77, v[83:86] offset:1024
	v_cmpx_gt_u32_e32 16, v0
	s_cbranch_execz .LBB1541_78
; %bb.77:
	v_or_b32_e32 v65, s29, v0
	s_load_b128 s[8:11], s[0:1], 0x58
	s_delay_alu instid0(VALU_DEP_1) | instskip(NEXT) | instid1(VALU_DEP_1)
	v_mad_u64_u32 v[68:69], null, s7, s30, v[65:66]
	v_mad_u64_u32 v[69:70], null, v68, s34, s[14:15]
	s_delay_alu instid0(VALU_DEP_1) | instskip(NEXT) | instid1(VALU_DEP_1)
	v_ashrrev_i32_e32 v70, 31, v69
	v_lshlrev_b64 v[68:69], 2, v[69:70]
	s_waitcnt lgkmcnt(0)
	s_delay_alu instid0(VALU_DEP_1) | instskip(NEXT) | instid1(VALU_DEP_2)
	v_add_co_u32 v70, vcc_lo, s10, v68
	v_add_co_ci_u32_e32 v71, vcc_lo, s11, v69, vcc_lo
	v_add_co_u32 v68, vcc_lo, s8, v68
	v_add_co_ci_u32_e32 v69, vcc_lo, s9, v69, vcc_lo
	global_store_b32 v[70:71], v66, off
	global_store_b32 v[68:69], v67, off
.LBB1541_78:
	s_or_b32 exec_lo, exec_lo, s2
	s_waitcnt lgkmcnt(0)
	s_waitcnt_vscnt null, 0x0
	s_barrier
	buffer_gl0_inv
	ds_load_b128 v[83:86], v76
	ds_load_b128 v[87:90], v76 offset:16
	ds_load_b128 v[95:98], v76 offset:2064
	;; [unrolled: 1-line block ×3, first 2 shown]
	v_mov_b32_e32 v65, 0
	ds_load_b128 v[103:106], v76 offset:4112
	ds_load_b128 v[99:102], v76 offset:4096
	;; [unrolled: 1-line block ×4, first 2 shown]
	v_mov_b32_e32 v66, v65
	v_mov_b32_e32 v67, v65
	v_mov_b32_e32 v68, v65
	v_mov_b32_e32 v69, v65
	v_mov_b32_e32 v70, v65
	v_mov_b32_e32 v71, v65
	v_mov_b32_e32 v72, v65
	s_waitcnt lgkmcnt(6)
	s_delay_alu instid0(VALU_DEP_1)
	v_wmma_f32_16x16x16_bf16 v[65:72], v[49:56], v[83:90], v[65:72]
	ds_load_b128 v[53:56], v76 offset:8208
	ds_load_b128 v[49:52], v76 offset:8192
	s_waitcnt lgkmcnt(6)
	v_wmma_f32_16x16x16_bf16 v[65:72], v[41:48], v[91:98], v[65:72]
	ds_load_b128 v[45:48], v76 offset:10256
	ds_load_b128 v[41:44], v76 offset:10240
	s_waitcnt lgkmcnt(6)
	;; [unrolled: 4-line block ×4, first 2 shown]
	v_wmma_f32_16x16x16_bf16 v[65:72], v[1:8], v[49:56], v[65:72]
	s_waitcnt lgkmcnt(4)
	s_delay_alu instid0(VALU_DEP_1) | instskip(SKIP_1) | instid1(VALU_DEP_1)
	v_wmma_f32_16x16x16_bf16 v[65:72], v[9:16], v[41:48], v[65:72]
	s_waitcnt lgkmcnt(2)
	v_wmma_f32_16x16x16_bf16 v[65:72], v[17:24], v[33:40], v[65:72]
	s_waitcnt lgkmcnt(0)
	s_delay_alu instid0(VALU_DEP_1) | instskip(NEXT) | instid1(VALU_DEP_1)
	v_wmma_f32_16x16x16_bf16 v[65:72], v[57:64], v[25:32], v[65:72]
	v_and_b32_e32 v1, 0x7f800000, v65
	s_delay_alu instid0(VALU_DEP_1) | instskip(SKIP_1) | instid1(SALU_CYCLE_1)
	v_cmp_ne_u32_e32 vcc_lo, 0x7f800000, v1
                                        ; implicit-def: $vgpr1
	s_and_saveexec_b32 s2, vcc_lo
	s_xor_b32 s2, exec_lo, s2
; %bb.79:
	v_bfe_u32 v1, v65, 16, 1
	s_delay_alu instid0(VALU_DEP_1)
	v_add3_u32 v1, v65, v1, 0x7fff
; %bb.80:
	s_and_not1_saveexec_b32 s2, s2
; %bb.81:
	v_and_b32_e32 v1, 0xffff, v65
	v_or_b32_e32 v2, 0x10000, v65
	s_delay_alu instid0(VALU_DEP_2) | instskip(NEXT) | instid1(VALU_DEP_2)
	v_cmp_eq_u32_e32 vcc_lo, 0, v1
	v_cndmask_b32_e32 v1, v2, v65, vcc_lo
; %bb.82:
	s_or_b32 exec_lo, exec_lo, s2
	v_and_b32_e32 v2, 0x7f800000, v66
	s_delay_alu instid0(VALU_DEP_1) | instskip(SKIP_1) | instid1(SALU_CYCLE_1)
	v_cmp_ne_u32_e32 vcc_lo, 0x7f800000, v2
                                        ; implicit-def: $vgpr2
	s_and_saveexec_b32 s2, vcc_lo
	s_xor_b32 s2, exec_lo, s2
; %bb.83:
	v_bfe_u32 v2, v66, 16, 1
	s_delay_alu instid0(VALU_DEP_1)
	v_add3_u32 v2, v66, v2, 0x7fff
; %bb.84:
	s_and_not1_saveexec_b32 s2, s2
; %bb.85:
	v_and_b32_e32 v2, 0xffff, v66
	v_or_b32_e32 v3, 0x10000, v66
	s_delay_alu instid0(VALU_DEP_2) | instskip(NEXT) | instid1(VALU_DEP_2)
	v_cmp_eq_u32_e32 vcc_lo, 0, v2
	v_cndmask_b32_e32 v2, v3, v66, vcc_lo
; %bb.86:
	s_or_b32 exec_lo, exec_lo, s2
	v_and_b32_e32 v3, 0x7f800000, v67
	s_delay_alu instid0(VALU_DEP_1) | instskip(SKIP_1) | instid1(SALU_CYCLE_1)
	v_cmp_ne_u32_e32 vcc_lo, 0x7f800000, v3
                                        ; implicit-def: $vgpr3
	s_and_saveexec_b32 s2, vcc_lo
	s_xor_b32 s2, exec_lo, s2
; %bb.87:
	v_bfe_u32 v3, v67, 16, 1
	s_delay_alu instid0(VALU_DEP_1)
	v_add3_u32 v3, v67, v3, 0x7fff
; %bb.88:
	s_and_not1_saveexec_b32 s2, s2
; %bb.89:
	v_and_b32_e32 v3, 0xffff, v67
	v_or_b32_e32 v4, 0x10000, v67
	s_delay_alu instid0(VALU_DEP_2) | instskip(NEXT) | instid1(VALU_DEP_2)
	v_cmp_eq_u32_e32 vcc_lo, 0, v3
	v_cndmask_b32_e32 v3, v4, v67, vcc_lo
; %bb.90:
	s_or_b32 exec_lo, exec_lo, s2
	v_and_b32_e32 v4, 0x7f800000, v68
	s_delay_alu instid0(VALU_DEP_1) | instskip(SKIP_1) | instid1(SALU_CYCLE_1)
	v_cmp_ne_u32_e32 vcc_lo, 0x7f800000, v4
                                        ; implicit-def: $vgpr4
	s_and_saveexec_b32 s2, vcc_lo
	s_xor_b32 s2, exec_lo, s2
; %bb.91:
	v_bfe_u32 v4, v68, 16, 1
	s_delay_alu instid0(VALU_DEP_1)
	v_add3_u32 v4, v68, v4, 0x7fff
; %bb.92:
	s_and_not1_saveexec_b32 s2, s2
; %bb.93:
	v_and_b32_e32 v4, 0xffff, v68
	v_or_b32_e32 v5, 0x10000, v68
	s_delay_alu instid0(VALU_DEP_2) | instskip(NEXT) | instid1(VALU_DEP_2)
	v_cmp_eq_u32_e32 vcc_lo, 0, v4
	v_cndmask_b32_e32 v4, v5, v68, vcc_lo
; %bb.94:
	s_or_b32 exec_lo, exec_lo, s2
	v_and_b32_e32 v5, 0x7f800000, v69
	s_delay_alu instid0(VALU_DEP_1) | instskip(SKIP_1) | instid1(SALU_CYCLE_1)
	v_cmp_ne_u32_e32 vcc_lo, 0x7f800000, v5
                                        ; implicit-def: $vgpr5
	s_and_saveexec_b32 s2, vcc_lo
	s_xor_b32 s2, exec_lo, s2
; %bb.95:
	v_bfe_u32 v5, v69, 16, 1
	s_delay_alu instid0(VALU_DEP_1)
	v_add3_u32 v5, v69, v5, 0x7fff
; %bb.96:
	s_and_not1_saveexec_b32 s2, s2
; %bb.97:
	v_and_b32_e32 v5, 0xffff, v69
	v_or_b32_e32 v6, 0x10000, v69
	s_delay_alu instid0(VALU_DEP_2) | instskip(NEXT) | instid1(VALU_DEP_2)
	v_cmp_eq_u32_e32 vcc_lo, 0, v5
	v_cndmask_b32_e32 v5, v6, v69, vcc_lo
; %bb.98:
	s_or_b32 exec_lo, exec_lo, s2
	v_and_b32_e32 v6, 0x7f800000, v70
	s_delay_alu instid0(VALU_DEP_1) | instskip(SKIP_1) | instid1(SALU_CYCLE_1)
	v_cmp_ne_u32_e32 vcc_lo, 0x7f800000, v6
                                        ; implicit-def: $vgpr6
	s_and_saveexec_b32 s2, vcc_lo
	s_xor_b32 s2, exec_lo, s2
; %bb.99:
	v_bfe_u32 v6, v70, 16, 1
	s_delay_alu instid0(VALU_DEP_1)
	v_add3_u32 v6, v70, v6, 0x7fff
; %bb.100:
	s_and_not1_saveexec_b32 s2, s2
; %bb.101:
	v_and_b32_e32 v6, 0xffff, v70
	v_or_b32_e32 v7, 0x10000, v70
	s_delay_alu instid0(VALU_DEP_2) | instskip(NEXT) | instid1(VALU_DEP_2)
	v_cmp_eq_u32_e32 vcc_lo, 0, v6
	v_cndmask_b32_e32 v6, v7, v70, vcc_lo
; %bb.102:
	s_or_b32 exec_lo, exec_lo, s2
	v_and_b32_e32 v7, 0x7f800000, v71
	s_delay_alu instid0(VALU_DEP_1) | instskip(SKIP_1) | instid1(SALU_CYCLE_1)
	v_cmp_ne_u32_e32 vcc_lo, 0x7f800000, v7
                                        ; implicit-def: $vgpr7
	s_and_saveexec_b32 s2, vcc_lo
	s_xor_b32 s2, exec_lo, s2
; %bb.103:
	v_bfe_u32 v7, v71, 16, 1
	s_delay_alu instid0(VALU_DEP_1)
	v_add3_u32 v7, v71, v7, 0x7fff
; %bb.104:
	s_and_not1_saveexec_b32 s2, s2
; %bb.105:
	v_and_b32_e32 v7, 0xffff, v71
	v_or_b32_e32 v8, 0x10000, v71
	s_delay_alu instid0(VALU_DEP_2) | instskip(NEXT) | instid1(VALU_DEP_2)
	v_cmp_eq_u32_e32 vcc_lo, 0, v7
	v_cndmask_b32_e32 v7, v8, v71, vcc_lo
; %bb.106:
	s_or_b32 exec_lo, exec_lo, s2
	v_and_b32_e32 v8, 0x7f800000, v72
	s_delay_alu instid0(VALU_DEP_1) | instskip(SKIP_1) | instid1(SALU_CYCLE_1)
	v_cmp_ne_u32_e32 vcc_lo, 0x7f800000, v8
                                        ; implicit-def: $vgpr8
	s_and_saveexec_b32 s2, vcc_lo
	s_xor_b32 s2, exec_lo, s2
; %bb.107:
	v_bfe_u32 v8, v72, 16, 1
	s_delay_alu instid0(VALU_DEP_1)
	v_add3_u32 v8, v72, v8, 0x7fff
                                        ; implicit-def: $vgpr65_vgpr66_vgpr67_vgpr68_vgpr69_vgpr70_vgpr71_vgpr72
; %bb.108:
	s_and_not1_saveexec_b32 s2, s2
; %bb.109:
	v_and_b32_e32 v8, 0xffff, v72
	v_or_b32_e32 v9, 0x10000, v72
	s_delay_alu instid0(VALU_DEP_2) | instskip(NEXT) | instid1(VALU_DEP_2)
	v_cmp_eq_u32_e32 vcc_lo, 0, v8
	v_cndmask_b32_e32 v8, v9, v72, vcc_lo
; %bb.110:
	s_or_b32 exec_lo, exec_lo, s2
	s_delay_alu instid0(VALU_DEP_1)
	v_perm_b32 v7, v8, v7, 0x7060302
	v_perm_b32 v6, v6, v5, 0x7060302
	;; [unrolled: 1-line block ×4, first 2 shown]
	s_barrier
	buffer_gl0_inv
	v_cmp_eq_u32_e32 vcc_lo, 1, v79
	ds_store_b128 v77, v[4:7]
	s_waitcnt lgkmcnt(0)
	s_barrier
	buffer_gl0_inv
	ds_load_b128 v[1:4], v82
	ds_load_b128 v[5:8], v82 offset:16
	v_cmp_eq_u32_e64 s2, 1, v80
	v_cmp_eq_u32_e64 s3, 2, v79
	;; [unrolled: 1-line block ×5, first 2 shown]
	s_waitcnt lgkmcnt(1)
	v_lshrrev_b32_e32 v9, 16, v1
	s_waitcnt lgkmcnt(0)
	v_lshrrev_b32_e32 v13, 16, v5
	v_lshrrev_b32_e32 v10, 16, v2
	v_lshrrev_b32_e32 v14, 16, v6
	v_lshrrev_b32_e32 v11, 16, v3
	v_cndmask_b32_e64 v19, v1, v9, s2
	v_cndmask_b32_e32 v18, v5, v13, vcc_lo
	v_cndmask_b32_e64 v20, v5, v13, s2
	v_cndmask_b32_e32 v17, v1, v9, vcc_lo
	v_cmp_eq_u32_e32 vcc_lo, 2, v80
	v_lshrrev_b32_e32 v15, 16, v7
	v_cmp_eq_u32_e64 s2, 1, v78
	v_lshrrev_b32_e32 v12, 16, v4
	v_lshrrev_b32_e32 v16, 16, v8
	v_cndmask_b32_e32 v20, v20, v6, vcc_lo
	v_cndmask_b32_e64 v17, v17, v2, s3
	v_cndmask_b32_e32 v19, v19, v2, vcc_lo
	v_cndmask_b32_e64 v18, v18, v6, s3
	v_cmp_eq_u32_e32 vcc_lo, 4, v79
	v_cmp_eq_u32_e64 s3, 3, v80
	v_cndmask_b32_e64 v17, v17, v10, s4
	v_cndmask_b32_e64 v21, v1, v9, s2
	;; [unrolled: 1-line block ×5, first 2 shown]
	v_cndmask_b32_e32 v17, v17, v3, vcc_lo
	v_cndmask_b32_e64 v20, v20, v14, s3
	v_cndmask_b32_e32 v18, v18, v7, vcc_lo
	v_cmp_eq_u32_e32 vcc_lo, 4, v80
	v_cmp_eq_u32_e64 s3, 5, v80
	v_cmp_eq_u32_e64 s2, 2, v81
	v_cndmask_b32_e64 v21, v21, v2, s6
	v_cmp_eq_u32_e64 s4, 5, v79
	v_cndmask_b32_e32 v19, v19, v3, vcc_lo
	v_cndmask_b32_e32 v20, v20, v7, vcc_lo
	v_cmp_eq_u32_e32 vcc_lo, 6, v80
	s_delay_alu instid0(VALU_DEP_4) | instskip(NEXT) | instid1(VALU_DEP_4)
	v_cndmask_b32_e64 v17, v17, v11, s4
	v_cndmask_b32_e64 v19, v19, v11, s3
	s_delay_alu instid0(VALU_DEP_4) | instskip(SKIP_1) | instid1(VALU_DEP_3)
	v_cndmask_b32_e64 v20, v20, v15, s3
	v_cmp_eq_u32_e64 s3, 1, v81
	v_cndmask_b32_e32 v19, v19, v4, vcc_lo
	v_cndmask_b32_e64 v18, v18, v15, s4
	s_delay_alu instid0(VALU_DEP_3)
	v_cndmask_b32_e64 v1, v1, v9, s3
	v_cndmask_b32_e64 v5, v5, v13, s3
	v_cmp_eq_u32_e64 s3, 3, v78
	v_cndmask_b32_e64 v13, v22, v6, s6
	v_cmp_eq_u32_e64 s6, 3, v81
	v_cndmask_b32_e64 v1, v1, v2, s2
	v_cndmask_b32_e64 v2, v5, v6, s2
	;; [unrolled: 1-line block ×3, first 2 shown]
	v_cmp_eq_u32_e64 s2, 4, v78
	v_cndmask_b32_e64 v6, v13, v14, s3
	v_cndmask_b32_e64 v1, v1, v10, s6
	v_cmp_eq_u32_e64 s3, 4, v81
	v_cndmask_b32_e64 v2, v2, v14, s6
	v_cndmask_b32_e64 v5, v9, v3, s2
	;; [unrolled: 3-line block ×3, first 2 shown]
	v_cndmask_b32_e64 v2, v2, v7, s3
	v_cmp_eq_u32_e64 s2, 5, v81
	v_cmp_eq_u32_e64 s4, 6, v79
	v_cndmask_b32_e64 v5, v5, v11, s6
	v_cmp_eq_u32_e64 s3, 6, v78
	v_cndmask_b32_e64 v3, v6, v15, s6
	v_cndmask_b32_e64 v1, v1, v11, s2
	v_cmp_eq_u32_e64 s6, 6, v81
	v_cndmask_b32_e64 v2, v2, v15, s2
	v_cndmask_b32_e64 v17, v17, v4, s4
	v_cndmask_b32_e64 v18, v18, v8, s4
	v_cmp_eq_u32_e64 s4, 7, v79
	v_cndmask_b32_e64 v5, v5, v4, s3
	;; [unrolled: 4-line block ×3, first 2 shown]
	v_cmp_eq_u32_e64 s3, 7, v78
	v_cndmask_b32_e32 v4, v20, v8, vcc_lo
	v_cndmask_b32_e64 v17, v17, v12, s4
	v_cndmask_b32_e64 v19, v19, v12, s5
	v_cndmask_b32_e64 v1, v1, v12, s2
	v_cndmask_b32_e64 v5, v5, v12, s3
	v_cndmask_b32_e64 v2, v2, v16, s2
	v_cndmask_b32_e64 v3, v3, v16, s3
	v_cndmask_b32_e64 v6, v4, v16, s5
	v_cndmask_b32_e64 v7, v18, v16, s4
	s_mov_b32 s2, exec_lo
	v_perm_b32 v4, v2, v1, 0x5040100
	v_perm_b32 v3, v3, v5, 0x5040100
	;; [unrolled: 1-line block ×4, first 2 shown]
	ds_store_b128 v77, v[1:4]
	s_waitcnt lgkmcnt(0)
	s_barrier
	buffer_gl0_inv
	v_cmpx_gt_u32_e32 32, v0
	s_cbranch_execz .LBB1541_2
; %bb.111:
	s_load_b64 s[0:1], s[0:1], 0x68
	v_lshlrev_b32_e32 v0, 10, v0
	s_lshl_b32 s4, s34, 7
	v_or_b32_e32 v23, s29, v74
	s_mul_i32 s2, s4, s30
	v_lshlrev_b32_e32 v1, 4, v75
	v_lshlrev_b32_e32 v2, 6, v74
	s_mul_i32 s2, s2, s7
	v_and_b32_e32 v0, 0x3800, v0
	v_mul_lo_u32 v8, v23, s4
	s_ashr_i32 s3, s2, 31
	v_or_b32_e32 v3, 2, v23
	s_lshl_b64 s[2:3], s[2:3], 1
	v_or3_b32 v27, v0, v1, v2
	v_or_b32_e32 v11, 4, v23
	v_or_b32_e32 v18, 6, v23
	v_mul_lo_u32 v10, v3, s4
	v_ashrrev_i32_e32 v9, 31, v8
	ds_load_b128 v[0:3], v27
	ds_load_b128 v[4:7], v27 offset:128
	v_mul_lo_u32 v12, v11, s4
	s_waitcnt lgkmcnt(0)
	s_add_u32 s2, s0, s2
	s_addc_u32 s3, s1, s3
	s_lshl_b32 s0, s14, 7
	v_lshlrev_b64 v[8:9], 1, v[8:9]
	s_ashr_i32 s1, s0, 31
	v_ashrrev_i32_e32 v11, 31, v10
	s_lshl_b64 s[0:1], s[0:1], 1
	v_ashrrev_i32_e32 v13, 31, v12
	s_add_u32 s0, s2, s0
	s_addc_u32 s1, s3, s1
	v_add_co_u32 v30, s0, s0, v73
	s_delay_alu instid0(VALU_DEP_1) | instskip(SKIP_1) | instid1(VALU_DEP_3)
	v_add_co_ci_u32_e64 v31, null, s1, 0, s0
	v_lshlrev_b64 v[16:17], 1, v[10:11]
	v_add_co_u32 v14, vcc_lo, v30, v8
	s_delay_alu instid0(VALU_DEP_3)
	v_add_co_ci_u32_e32 v15, vcc_lo, v31, v9, vcc_lo
	ds_load_b128 v[8:11], v27 offset:256
	v_mul_lo_u32 v18, v18, s4
	v_or_b32_e32 v19, 8, v23
	v_add_co_u32 v16, vcc_lo, v30, v16
	global_store_b128 v[14:15], v[0:3], off
	v_lshlrev_b64 v[0:1], 1, v[12:13]
	v_add_co_ci_u32_e32 v17, vcc_lo, v31, v17, vcc_lo
	v_mul_lo_u32 v12, v19, s4
	v_ashrrev_i32_e32 v19, 31, v18
	v_or_b32_e32 v14, 10, v23
	global_store_b128 v[16:17], v[4:7], off
	v_add_co_u32 v4, vcc_lo, v30, v0
	v_add_co_ci_u32_e32 v5, vcc_lo, v31, v1, vcc_lo
	ds_load_b128 v[0:3], v27 offset:384
	v_ashrrev_i32_e32 v13, 31, v12
	v_lshlrev_b64 v[6:7], 1, v[18:19]
	v_mul_lo_u32 v14, v14, s4
	s_waitcnt lgkmcnt(1)
	global_store_b128 v[4:5], v[8:11], off
	v_or_b32_e32 v8, 12, v23
	v_lshlrev_b64 v[4:5], 1, v[12:13]
	v_add_co_u32 v20, vcc_lo, v30, v6
	v_or_b32_e32 v6, 14, v23
	v_ashrrev_i32_e32 v15, 31, v14
	v_mul_lo_u32 v22, v8, s4
	v_add_co_ci_u32_e32 v21, vcc_lo, v31, v7, vcc_lo
	v_add_co_u32 v24, vcc_lo, v30, v4
	v_mul_lo_u32 v26, v6, s4
	v_add_co_ci_u32_e32 v25, vcc_lo, v31, v5, vcc_lo
	v_lshlrev_b64 v[28:29], 1, v[14:15]
	ds_load_b128 v[4:7], v27 offset:512
	ds_load_b128 v[8:11], v27 offset:640
	;; [unrolled: 1-line block ×4, first 2 shown]
	v_ashrrev_i32_e32 v23, 31, v22
	v_ashrrev_i32_e32 v27, 31, v26
	v_add_co_u32 v28, vcc_lo, v30, v28
	s_delay_alu instid0(VALU_DEP_3) | instskip(SKIP_1) | instid1(VALU_DEP_4)
	v_lshlrev_b64 v[22:23], 1, v[22:23]
	v_add_co_ci_u32_e32 v29, vcc_lo, v31, v29, vcc_lo
	v_lshlrev_b64 v[26:27], 1, v[26:27]
	s_delay_alu instid0(VALU_DEP_3) | instskip(NEXT) | instid1(VALU_DEP_4)
	v_add_co_u32 v22, vcc_lo, v30, v22
	v_add_co_ci_u32_e32 v23, vcc_lo, v31, v23, vcc_lo
	s_delay_alu instid0(VALU_DEP_3) | instskip(NEXT) | instid1(VALU_DEP_4)
	v_add_co_u32 v26, vcc_lo, v30, v26
	v_add_co_ci_u32_e32 v27, vcc_lo, v31, v27, vcc_lo
	s_waitcnt lgkmcnt(4)
	global_store_b128 v[20:21], v[0:3], off
	s_waitcnt lgkmcnt(3)
	global_store_b128 v[24:25], v[4:7], off
	s_waitcnt lgkmcnt(2)
	global_store_b128 v[28:29], v[8:11], off
	s_waitcnt lgkmcnt(1)
	global_store_b128 v[22:23], v[12:15], off
	s_waitcnt lgkmcnt(0)
	global_store_b128 v[26:27], v[16:19], off
	s_nop 0
	s_sendmsg sendmsg(MSG_DEALLOC_VGPRS)
	s_endpgm
	.section	.rodata,"a",@progbits
	.p2align	6, 0x0
	.amdhsa_kernel _Z39paged_attention_ll4mi_QKV_mfma16_kernelI14__hip_bfloat16hLN4vllm18Fp8KVCacheDataTypeE1EhLi16ELi128ELi256ELb0ELi16EL8MFMAType1EEvPKT_PKT0_S9_ifPKiSB_SB_iPKfiiiPfSE_PS4_PT2_iSD_SD_
		.amdhsa_group_segment_fixed_size 17472
		.amdhsa_private_segment_fixed_size 0
		.amdhsa_kernarg_size 400
		.amdhsa_user_sgpr_count 13
		.amdhsa_user_sgpr_dispatch_ptr 0
		.amdhsa_user_sgpr_queue_ptr 0
		.amdhsa_user_sgpr_kernarg_segment_ptr 1
		.amdhsa_user_sgpr_dispatch_id 0
		.amdhsa_user_sgpr_private_segment_size 0
		.amdhsa_wavefront_size32 1
		.amdhsa_uses_dynamic_stack 0
		.amdhsa_enable_private_segment 0
		.amdhsa_system_sgpr_workgroup_id_x 1
		.amdhsa_system_sgpr_workgroup_id_y 1
		.amdhsa_system_sgpr_workgroup_id_z 1
		.amdhsa_system_sgpr_workgroup_info 0
		.amdhsa_system_vgpr_workitem_id 0
		.amdhsa_next_free_vgpr 141
		.amdhsa_next_free_sgpr 36
		.amdhsa_reserve_vcc 1
		.amdhsa_float_round_mode_32 0
		.amdhsa_float_round_mode_16_64 0
		.amdhsa_float_denorm_mode_32 3
		.amdhsa_float_denorm_mode_16_64 3
		.amdhsa_dx10_clamp 1
		.amdhsa_ieee_mode 1
		.amdhsa_fp16_overflow 0
		.amdhsa_workgroup_processor_mode 1
		.amdhsa_memory_ordered 1
		.amdhsa_forward_progress 0
		.amdhsa_shared_vgpr_count 0
		.amdhsa_exception_fp_ieee_invalid_op 0
		.amdhsa_exception_fp_denorm_src 0
		.amdhsa_exception_fp_ieee_div_zero 0
		.amdhsa_exception_fp_ieee_overflow 0
		.amdhsa_exception_fp_ieee_underflow 0
		.amdhsa_exception_fp_ieee_inexact 0
		.amdhsa_exception_int_div_zero 0
	.end_amdhsa_kernel
	.section	.text._Z39paged_attention_ll4mi_QKV_mfma16_kernelI14__hip_bfloat16hLN4vllm18Fp8KVCacheDataTypeE1EhLi16ELi128ELi256ELb0ELi16EL8MFMAType1EEvPKT_PKT0_S9_ifPKiSB_SB_iPKfiiiPfSE_PS4_PT2_iSD_SD_,"axG",@progbits,_Z39paged_attention_ll4mi_QKV_mfma16_kernelI14__hip_bfloat16hLN4vllm18Fp8KVCacheDataTypeE1EhLi16ELi128ELi256ELb0ELi16EL8MFMAType1EEvPKT_PKT0_S9_ifPKiSB_SB_iPKfiiiPfSE_PS4_PT2_iSD_SD_,comdat
.Lfunc_end1541:
	.size	_Z39paged_attention_ll4mi_QKV_mfma16_kernelI14__hip_bfloat16hLN4vllm18Fp8KVCacheDataTypeE1EhLi16ELi128ELi256ELb0ELi16EL8MFMAType1EEvPKT_PKT0_S9_ifPKiSB_SB_iPKfiiiPfSE_PS4_PT2_iSD_SD_, .Lfunc_end1541-_Z39paged_attention_ll4mi_QKV_mfma16_kernelI14__hip_bfloat16hLN4vllm18Fp8KVCacheDataTypeE1EhLi16ELi128ELi256ELb0ELi16EL8MFMAType1EEvPKT_PKT0_S9_ifPKiSB_SB_iPKfiiiPfSE_PS4_PT2_iSD_SD_
                                        ; -- End function
	.section	.AMDGPU.csdata,"",@progbits
; Kernel info:
; codeLenInByte = 9036
; NumSgprs: 38
; NumVgprs: 141
; ScratchSize: 0
; MemoryBound: 0
; FloatMode: 240
; IeeeMode: 1
; LDSByteSize: 17472 bytes/workgroup (compile time only)
; SGPRBlocks: 4
; VGPRBlocks: 17
; NumSGPRsForWavesPerEU: 38
; NumVGPRsForWavesPerEU: 141
; Occupancy: 10
; WaveLimiterHint : 1
; COMPUTE_PGM_RSRC2:SCRATCH_EN: 0
; COMPUTE_PGM_RSRC2:USER_SGPR: 13
; COMPUTE_PGM_RSRC2:TRAP_HANDLER: 0
; COMPUTE_PGM_RSRC2:TGID_X_EN: 1
; COMPUTE_PGM_RSRC2:TGID_Y_EN: 1
; COMPUTE_PGM_RSRC2:TGID_Z_EN: 1
; COMPUTE_PGM_RSRC2:TIDIG_COMP_CNT: 0
	.section	.text._Z39paged_attention_ll4mi_QKV_mfma16_kernelI14__hip_bfloat16hLN4vllm18Fp8KVCacheDataTypeE1EhLi16ELi128ELi256ELb0ELi1EL8MFMAType1EEvPKT_PKT0_S9_ifPKiSB_SB_iPKfiiiPfSE_PS4_PT2_iSD_SD_,"axG",@progbits,_Z39paged_attention_ll4mi_QKV_mfma16_kernelI14__hip_bfloat16hLN4vllm18Fp8KVCacheDataTypeE1EhLi16ELi128ELi256ELb0ELi1EL8MFMAType1EEvPKT_PKT0_S9_ifPKiSB_SB_iPKfiiiPfSE_PS4_PT2_iSD_SD_,comdat
	.protected	_Z39paged_attention_ll4mi_QKV_mfma16_kernelI14__hip_bfloat16hLN4vllm18Fp8KVCacheDataTypeE1EhLi16ELi128ELi256ELb0ELi1EL8MFMAType1EEvPKT_PKT0_S9_ifPKiSB_SB_iPKfiiiPfSE_PS4_PT2_iSD_SD_ ; -- Begin function _Z39paged_attention_ll4mi_QKV_mfma16_kernelI14__hip_bfloat16hLN4vllm18Fp8KVCacheDataTypeE1EhLi16ELi128ELi256ELb0ELi1EL8MFMAType1EEvPKT_PKT0_S9_ifPKiSB_SB_iPKfiiiPfSE_PS4_PT2_iSD_SD_
	.globl	_Z39paged_attention_ll4mi_QKV_mfma16_kernelI14__hip_bfloat16hLN4vllm18Fp8KVCacheDataTypeE1EhLi16ELi128ELi256ELb0ELi1EL8MFMAType1EEvPKT_PKT0_S9_ifPKiSB_SB_iPKfiiiPfSE_PS4_PT2_iSD_SD_
	.p2align	8
	.type	_Z39paged_attention_ll4mi_QKV_mfma16_kernelI14__hip_bfloat16hLN4vllm18Fp8KVCacheDataTypeE1EhLi16ELi128ELi256ELb0ELi1EL8MFMAType1EEvPKT_PKT0_S9_ifPKiSB_SB_iPKfiiiPfSE_PS4_PT2_iSD_SD_,@function
_Z39paged_attention_ll4mi_QKV_mfma16_kernelI14__hip_bfloat16hLN4vllm18Fp8KVCacheDataTypeE1EhLi16ELi128ELi256ELb0ELi1EL8MFMAType1EEvPKT_PKT0_S9_ifPKiSB_SB_iPKfiiiPfSE_PS4_PT2_iSD_SD_: ; @_Z39paged_attention_ll4mi_QKV_mfma16_kernelI14__hip_bfloat16hLN4vllm18Fp8KVCacheDataTypeE1EhLi16ELi128ELi256ELb0ELi1EL8MFMAType1EEvPKT_PKT0_S9_ifPKiSB_SB_iPKfiiiPfSE_PS4_PT2_iSD_SD_
; %bb.0:
	s_load_b64 s[4:5], s[0:1], 0x30
	s_mov_b32 s34, s13
	s_waitcnt lgkmcnt(0)
	s_cmp_lg_u64 s[4:5], 0
	s_cselect_b32 s6, -1, 0
	s_ashr_i32 s35, s13, 31
	s_cmp_eq_u64 s[4:5], 0
	s_cbranch_scc1 .LBB1542_3
; %bb.1:
	s_lshl_b64 s[2:3], s[34:35], 2
	s_delay_alu instid0(SALU_CYCLE_1) | instskip(SKIP_4) | instid1(SALU_CYCLE_1)
	s_add_u32 s2, s4, s2
	s_addc_u32 s3, s5, s3
	s_load_b64 s[2:3], s[2:3], 0x0
	s_waitcnt lgkmcnt(0)
	s_sub_i32 s2, s3, s2
	s_cmp_eq_u32 s2, 1
	s_cselect_b32 s2, -1, 0
	s_delay_alu instid0(SALU_CYCLE_1)
	s_and_not1_b32 vcc_lo, exec_lo, s2
	s_cbranch_vccz .LBB1542_4
.LBB1542_2:
	s_endpgm
.LBB1542_3:
.LBB1542_4:
	s_load_b64 s[2:3], s[0:1], 0x28
	s_lshl_b64 s[8:9], s[34:35], 2
	s_waitcnt lgkmcnt(0)
	s_add_u32 s2, s2, s8
	s_addc_u32 s3, s3, s9
	s_lshl_b32 s12, s14, 8
	s_load_b32 s33, s[2:3], 0x0
	s_waitcnt lgkmcnt(0)
	s_cmp_ge_i32 s12, s33
	s_cbranch_scc1 .LBB1542_2
; %bb.5:
	s_clause 0x1
	s_load_b128 s[56:59], s[0:1], 0x8
	s_load_b64 s[2:3], s[0:1], 0x20
	s_and_not1_b32 vcc_lo, exec_lo, s6
	s_mov_b64 s[6:7], s[34:35]
	s_cbranch_vccnz .LBB1542_7
; %bb.6:
	s_add_u32 s4, s4, s8
	s_addc_u32 s5, s5, s9
	s_load_b32 s6, s[4:5], 0x0
.LBB1542_7:
	s_load_b128 s[52:55], s[0:1], 0x48
	v_and_b32_e32 v65, 15, v0
	s_mov_b32 s13, exec_lo
                                        ; implicit-def: $sgpr36
                                        ; implicit-def: $sgpr24
                                        ; implicit-def: $sgpr16
                                        ; implicit-def: $sgpr4
	s_delay_alu instid0(VALU_DEP_1)
	v_cmpx_eq_u32_e32 0, v65
	s_cbranch_execz .LBB1542_9
; %bb.8:
	s_load_b64 s[4:5], s[0:1], 0x0
	s_waitcnt lgkmcnt(0)
	s_mul_hi_i32 s7, s6, s52
	s_mul_i32 s6, s6, s52
	s_delay_alu instid0(SALU_CYCLE_1) | instskip(NEXT) | instid1(SALU_CYCLE_1)
	s_lshl_b64 s[6:7], s[6:7], 1
	s_add_u32 s6, s4, s6
	s_addc_u32 s7, s5, s7
	s_lshl_b32 s4, s15, 7
	s_delay_alu instid0(SALU_CYCLE_1) | instskip(NEXT) | instid1(SALU_CYCLE_1)
	s_ashr_i32 s5, s4, 31
	s_lshl_b64 s[4:5], s[4:5], 1
	s_delay_alu instid0(SALU_CYCLE_1)
	s_add_u32 s4, s6, s4
	s_addc_u32 s5, s7, s5
	s_clause 0x3
	s_load_b256 s[36:43], s[4:5], 0x0
	s_load_b256 s[24:31], s[4:5], 0x40
	;; [unrolled: 1-line block ×4, first 2 shown]
.LBB1542_9:
	s_or_b32 exec_lo, exec_lo, s13
	v_and_b32_e32 v1, 0xef, v0
	s_add_i32 s13, s33, 15
	s_load_b32 s44, s[0:1], 0x38
	s_ashr_i32 s35, s13, 31
	s_waitcnt lgkmcnt(0)
	s_mul_i32 s62, s15, s54
	v_add_nc_u32_e32 v1, s12, v1
	s_lshr_b32 s35, s35, 28
	v_dual_mov_b32 v113, s31 :: v_dual_mov_b32 v106, s24
	s_add_i32 s13, s13, s35
	s_delay_alu instid0(VALU_DEP_2)
	v_ashrrev_i32_e32 v2, 31, v1
	v_or_b32_e32 v3, 16, v1
	s_ashr_i32 s13, s13, 4
	v_cmp_gt_i32_e32 vcc_lo, s33, v1
	s_add_i32 s13, s13, -1
	v_lshrrev_b32_e32 v2, 28, v2
	s_load_b32 s35, s[0:1], 0x1c
	v_mov_b32_e32 v111, s29
	v_mov_b32_e32 v109, s27
	s_delay_alu instid0(VALU_DEP_3)
	v_dual_mov_b32 v107, s25 :: v_dual_add_nc_u32 v4, v1, v2
	v_lshlrev_b32_e32 v73, 4, v65
	s_mul_i32 s44, s34, s44
	v_lshrrev_b32_e32 v66, 5, v0
	s_ashr_i32 s45, s44, 31
	v_ashrrev_i32_e32 v4, 4, v4
	v_add_nc_u32_e32 v2, v3, v2
	s_lshl_b64 s[44:45], s[44:45], 2
	v_mov_b32_e32 v112, s30
	s_add_u32 s61, s2, s44
	v_cndmask_b32_e32 v1, s13, v4, vcc_lo
	v_ashrrev_i32_e32 v2, 4, v2
	v_cmp_gt_i32_e32 vcc_lo, s33, v3
	s_addc_u32 s60, s3, s45
	s_ashr_i32 s63, s62, 31
	s_add_u32 s52, s56, s62
	s_addc_u32 s56, s57, s63
	v_cndmask_b32_e32 v3, s13, v2, vcc_lo
	v_ashrrev_i32_e32 v2, 31, v1
	s_lshl_b32 s2, s14, 4
	v_mov_b32_e32 v110, s28
	s_ashr_i32 s3, s2, 31
	v_ashrrev_i32_e32 v4, 31, v3
	v_lshlrev_b64 v[1:2], 2, v[1:2]
	s_lshl_b64 s[2:3], s[2:3], 2
	v_mov_b32_e32 v108, s26
	s_add_u32 s2, s61, s2
	v_lshlrev_b64 v[3:4], 2, v[3:4]
	s_addc_u32 s3, s60, s3
	v_add_co_u32 v1, vcc_lo, s61, v1
	v_add_co_ci_u32_e32 v2, vcc_lo, s60, v2, vcc_lo
	s_delay_alu instid0(VALU_DEP_3) | instskip(NEXT) | instid1(VALU_DEP_4)
	v_add_co_u32 v3, vcc_lo, s61, v3
	v_add_co_ci_u32_e32 v4, vcc_lo, s60, v4, vcc_lo
	s_clause 0x1
	global_load_b32 v5, v[1:2], off
	global_load_b32 v3, v[3:4], off
	s_or_b32 s44, s12, 32
	v_lshlrev_b32_e32 v1, 4, v0
	s_ashr_i32 s45, s44, 4
	s_cmp_lt_i32 s44, s33
	s_cselect_b32 s44, s45, s13
	s_delay_alu instid0(VALU_DEP_1) | instskip(SKIP_1) | instid1(SALU_CYCLE_1)
	v_and_b32_e32 v1, 0xf0, v1
	s_ashr_i32 s45, s44, 31
	s_lshl_b64 s[44:45], s[44:45], 2
	s_delay_alu instid0(SALU_CYCLE_1)
	s_add_u32 s44, s61, s44
	s_addc_u32 s45, s60, s45
	s_or_b32 s46, s12, 64
	v_add_co_u32 v1, s52, s52, v1
	s_ashr_i32 s47, s46, 4
	s_cmp_lt_i32 s46, s33
	v_add_co_ci_u32_e64 v2, null, s56, 0, s52
	s_cselect_b32 s46, s47, s13
	s_delay_alu instid0(SALU_CYCLE_1) | instskip(NEXT) | instid1(SALU_CYCLE_1)
	s_ashr_i32 s47, s46, 31
	s_lshl_b64 s[46:47], s[46:47], 2
	s_delay_alu instid0(SALU_CYCLE_1) | instskip(SKIP_2) | instid1(SALU_CYCLE_1)
	s_add_u32 s46, s61, s46
	s_addc_u32 s47, s60, s47
	s_or_b32 s48, s12, 0x60
	s_ashr_i32 s49, s48, 4
	s_cmp_lt_i32 s48, s33
	s_cselect_b32 s48, s49, s13
	s_delay_alu instid0(SALU_CYCLE_1) | instskip(NEXT) | instid1(SALU_CYCLE_1)
	s_ashr_i32 s49, s48, 31
	s_lshl_b64 s[48:49], s[48:49], 2
	s_delay_alu instid0(SALU_CYCLE_1) | instskip(SKIP_2) | instid1(SALU_CYCLE_1)
	s_add_u32 s48, s61, s48
	s_addc_u32 s49, s60, s49
	s_or_b32 s50, s12, 0x80
	s_ashr_i32 s51, s50, 4
	s_cmp_lt_i32 s50, s33
	;; [unrolled: 10-line block ×3, first 2 shown]
	s_cselect_b32 s54, s55, s13
	s_delay_alu instid0(SALU_CYCLE_1) | instskip(NEXT) | instid1(SALU_CYCLE_1)
	s_ashr_i32 s55, s54, 31
	s_lshl_b64 s[54:55], s[54:55], 2
	s_delay_alu instid0(SALU_CYCLE_1)
	s_add_u32 s64, s61, s54
	s_addc_u32 s65, s60, s55
	s_clause 0x5
	s_load_b32 s56, s[2:3], 0x0
	s_load_b32 s3, s[44:45], 0x0
	;; [unrolled: 1-line block ×6, first 2 shown]
	s_or_b32 s24, s12, 0xc0
	s_mov_b32 s44, 0
	s_ashr_i32 s25, s24, 4
	s_mov_b32 s45, s44
	s_mov_b32 s46, s44
	;; [unrolled: 1-line block ×7, first 2 shown]
	v_dual_mov_b32 v121, s23 :: v_dual_mov_b32 v120, s22
	v_dual_mov_b32 v119, s21 :: v_dual_mov_b32 v118, s20
	;; [unrolled: 1-line block ×4, first 2 shown]
	v_lshl_or_b32 v33, v66, 8, v73
	v_dual_mov_b32 v129, s51 :: v_dual_mov_b32 v128, s50
	v_dual_mov_b32 v127, s49 :: v_dual_mov_b32 v126, s48
	;; [unrolled: 1-line block ×4, first 2 shown]
	s_cmp_lt_i32 s24, s33
	s_cselect_b32 s16, s25, s13
	s_delay_alu instid0(SALU_CYCLE_1) | instskip(NEXT) | instid1(SALU_CYCLE_1)
	s_ashr_i32 s17, s16, 31
	s_lshl_b64 s[16:17], s[16:17], 2
	s_delay_alu instid0(SALU_CYCLE_1) | instskip(SKIP_2) | instid1(SALU_CYCLE_1)
	s_add_u32 s16, s61, s16
	s_addc_u32 s17, s60, s17
	s_or_b32 s18, s12, 0xe0
	s_ashr_i32 s19, s18, 4
	s_cmp_lt_i32 s18, s33
	s_cselect_b32 s18, s19, s13
	s_delay_alu instid0(SALU_CYCLE_1) | instskip(NEXT) | instid1(SALU_CYCLE_1)
	s_ashr_i32 s19, s18, 31
	s_lshl_b64 s[18:19], s[18:19], 2
	s_delay_alu instid0(SALU_CYCLE_1) | instskip(SKIP_4) | instid1(VALU_DEP_1)
	s_add_u32 s18, s61, s18
	s_addc_u32 s19, s60, s19
	s_add_u32 s13, s58, s62
	s_addc_u32 s20, s59, s63
	v_add_co_u32 v67, s13, s13, v33
	v_add_co_ci_u32_e64 v68, null, s20, 0, s13
	s_waitcnt lgkmcnt(0)
	s_delay_alu instid0(VALU_DEP_1)
	v_mad_i64_i32 v[33:34], null, s56, s53, v[67:68]
	v_mad_i64_i32 v[69:70], null, s54, s53, v[67:68]
	;; [unrolled: 1-line block ×5, first 2 shown]
	s_waitcnt vmcnt(1)
	v_mad_i64_i32 v[25:26], null, v5, s53, v[1:2]
	s_waitcnt vmcnt(0)
	v_mad_i64_i32 v[27:28], null, v3, s53, v[1:2]
	s_clause 0xf
	global_load_b128 v[1:4], v[25:26], off
	global_load_b128 v[5:8], v[25:26], off offset:256
	global_load_b128 v[9:12], v[27:28], off
	global_load_b128 v[13:16], v[27:28], off offset:256
	global_load_b128 v[17:20], v[25:26], off offset:512
	;; [unrolled: 1-line block ×13, first 2 shown]
	v_mov_b32_e32 v25, s36
	v_mov_b32_e32 v27, s38
	;; [unrolled: 1-line block ×4, first 2 shown]
	s_clause 0x1
	s_load_b32 s13, s[16:17], 0x0
	s_load_b32 s16, s[18:19], 0x0
	v_mov_b32_e32 v26, s37
	v_mov_b32_e32 v28, s39
	;; [unrolled: 1-line block ×4, first 2 shown]
	s_clause 0x5
	global_load_b128 v[49:52], v[33:34], off
	global_load_b128 v[53:56], v[33:34], off offset:16
	global_load_b128 v[41:44], v[35:36], off
	global_load_b128 v[45:48], v[35:36], off offset:16
	;; [unrolled: 2-line block ×3, first 2 shown]
	s_waitcnt vmcnt(20)
	v_wmma_f32_16x16x16_bf16 v[130:137], v[1:8], v[25:32], v[122:129]
	s_waitcnt vmcnt(18)
	v_wmma_f32_16x16x16_bf16 v[122:129], v[9:16], v[25:32], v[122:129]
	v_mad_i64_i32 v[13:14], null, s2, s53, v[67:68]
	s_waitcnt vmcnt(16)
	v_wmma_f32_16x16x16_bf16 v[130:137], v[17:24], v[106:113], v[130:137]
	s_waitcnt lgkmcnt(0)
	v_mad_i64_i32 v[21:22], null, s13, s53, v[67:68]
	s_clause 0x1
	global_load_b128 v[25:28], v[69:70], off
	global_load_b128 v[29:32], v[69:70], off offset:16
	v_mad_i64_i32 v[69:70], null, s16, s53, v[67:68]
	s_waitcnt vmcnt(16)
	v_wmma_f32_16x16x16_bf16 v[122:129], v[57:64], v[106:113], v[122:129]
	s_clause 0x7
	global_load_b128 v[1:4], v[71:72], off
	global_load_b128 v[5:8], v[71:72], off offset:16
	global_load_b128 v[9:12], v[13:14], off
	global_load_b128 v[13:16], v[13:14], off offset:16
	;; [unrolled: 2-line block ×4, first 2 shown]
	v_mbcnt_lo_u32_b32 v68, -1, 0
	s_waitcnt vmcnt(22)
	v_wmma_f32_16x16x16_bf16 v[130:137], v[74:81], v[114:121], v[130:137]
	s_waitcnt vmcnt(20)
	v_wmma_f32_16x16x16_bf16 v[122:129], v[82:89], v[114:121], v[122:129]
	v_dual_mov_b32 v82, s11 :: v_dual_mov_b32 v81, s10
	v_xor_b32_e32 v69, 16, v68
	v_dual_mov_b32 v80, s9 :: v_dual_mov_b32 v79, s8
	v_dual_mov_b32 v78, s7 :: v_dual_mov_b32 v77, s6
	;; [unrolled: 1-line block ×3, first 2 shown]
	s_delay_alu instid0(VALU_DEP_4) | instskip(SKIP_4) | instid1(VALU_DEP_3)
	v_cmp_gt_i32_e32 vcc_lo, 32, v69
	v_and_b32_e32 v67, 0xe0, v0
	v_bfe_u32 v74, v0, 4, 1
	s_waitcnt vmcnt(0)
	v_wmma_f32_16x16x16_bf16 v[130:137], v[90:97], v[75:82], v[130:137]
	v_dual_cndmask_b32 v68, v68, v69 :: v_dual_add_nc_u32 v67, s12, v67
	s_barrier
	buffer_gl0_inv
	v_mul_f32_e32 v92, s35, v131
	v_wmma_f32_16x16x16_bf16 v[122:129], v[98:105], v[75:82], v[122:129]
	v_mul_f32_e32 v78, s35, v136
	v_or_b32_e32 v67, v67, v74
	v_mul_f32_e32 v93, s35, v130
	v_dual_mul_f32 v81, s35, v133 :: v_dual_mul_f32 v82, s35, v132
	v_dual_mul_f32 v79, s35, v135 :: v_dual_mul_f32 v98, s35, v125
	s_delay_alu instid0(VALU_DEP_4)
	v_or_b32_e32 v69, 2, v67
	v_or_b32_e32 v70, 4, v67
	;; [unrolled: 1-line block ×3, first 2 shown]
	v_cmp_gt_i32_e64 s2, s33, v67
	v_or_b32_e32 v72, 8, v67
	v_cmp_gt_i32_e32 vcc_lo, s33, v69
	v_or_b32_e32 v83, 10, v67
	v_cmp_gt_i32_e64 s3, s33, v70
	v_cndmask_b32_e64 v93, 0xff7fffff, v93, s2
	v_cmp_gt_i32_e64 s4, s33, v71
	v_cndmask_b32_e32 v92, 0xff7fffff, v92, vcc_lo
	v_or_b32_e32 v84, 12, v67
	v_or_b32_e32 v85, 14, v67
	v_mul_f32_e32 v80, s35, v134
	v_cndmask_b32_e64 v70, 0xff7fffff, v82, s3
	v_cndmask_b32_e64 v71, 0xff7fffff, v81, s4
	v_max3_f32 v81, v93, 0xff7fffff, v92
	v_cmp_gt_i32_e64 s5, s33, v72
	v_cmp_gt_i32_e64 s6, s33, v83
	v_or_b32_e32 v86, 16, v67
	v_or_b32_e32 v87, 18, v67
	v_dual_mul_f32 v77, s35, v137 :: v_dual_mul_f32 v96, s35, v127
	v_cndmask_b32_e64 v72, 0xff7fffff, v80, s5
	v_cndmask_b32_e64 v79, 0xff7fffff, v79, s6
	v_max3_f32 v70, v81, v70, v71
	v_cmp_gt_i32_e64 s7, s33, v84
	v_cmp_gt_i32_e64 s8, s33, v85
	v_or_b32_e32 v88, 20, v67
	v_or_b32_e32 v89, 22, v67
	;; [unrolled: 1-line block ×6, first 2 shown]
	v_mul_f32_e32 v69, s35, v123
	v_mul_f32_e32 v67, s35, v122
	v_cndmask_b32_e64 v71, 0xff7fffff, v78, s7
	v_cndmask_b32_e64 v77, 0xff7fffff, v77, s8
	v_max3_f32 v70, v70, v72, v79
	v_cmp_gt_i32_e64 s9, s33, v86
	v_cmp_gt_i32_e64 s10, s33, v87
	v_mul_f32_e32 v99, s35, v124
	v_cmp_gt_i32_e64 s11, s33, v88
	v_max3_f32 v70, v70, v71, v77
	v_cndmask_b32_e64 v67, 0xff7fffff, v67, s9
	v_cndmask_b32_e64 v69, 0xff7fffff, v69, s10
	v_cmp_gt_i32_e64 s12, s33, v89
	v_mul_f32_e32 v97, s35, v126
	v_cndmask_b32_e64 v71, 0xff7fffff, v99, s11
	v_cmp_gt_i32_e64 s13, s33, v90
	v_max3_f32 v67, v70, v67, v69
	v_cndmask_b32_e64 v72, 0xff7fffff, v98, s12
	v_cmp_gt_i32_e64 s16, s33, v91
	v_dual_mul_f32 v94, s35, v129 :: v_dual_mul_f32 v95, s35, v128
	v_cndmask_b32_e64 v69, 0xff7fffff, v97, s13
	s_delay_alu instid0(VALU_DEP_4) | instskip(NEXT) | instid1(VALU_DEP_4)
	v_max3_f32 v67, v67, v71, v72
	v_cndmask_b32_e64 v70, 0xff7fffff, v96, s16
	v_cmp_gt_i32_e64 s17, s33, v75
	v_cmp_gt_i32_e64 s18, s33, v76
	v_lshlrev_b32_e32 v81, 2, v68
	s_delay_alu instid0(VALU_DEP_4) | instskip(NEXT) | instid1(VALU_DEP_4)
	v_max3_f32 v67, v67, v69, v70
	v_cndmask_b32_e64 v71, 0xff7fffff, v95, s17
	s_delay_alu instid0(VALU_DEP_4) | instskip(NEXT) | instid1(VALU_DEP_1)
	v_cndmask_b32_e64 v72, 0xff7fffff, v94, s18
	v_max3_f32 v67, v67, v71, v72
	ds_bpermute_b32 v68, v81, v67
	s_waitcnt lgkmcnt(0)
	v_max_f32_e32 v68, v68, v68
	s_delay_alu instid0(VALU_DEP_1) | instskip(NEXT) | instid1(VALU_DEP_1)
	v_max_f32_e32 v67, v67, v68
	v_fma_f32 v68, s35, v130, -v67
	v_fma_f32 v69, s35, v131, -v67
	;; [unrolled: 1-line block ×5, first 2 shown]
	s_delay_alu instid0(VALU_DEP_4) | instskip(NEXT) | instid1(VALU_DEP_3)
	v_dual_mul_f32 v68, 0x3fb8aa3b, v68 :: v_dual_mul_f32 v69, 0x3fb8aa3b, v69
	v_dual_mul_f32 v70, 0x3fb8aa3b, v70 :: v_dual_mul_f32 v71, 0x3fb8aa3b, v71
	s_delay_alu instid0(VALU_DEP_3) | instskip(NEXT) | instid1(VALU_DEP_3)
	v_mul_f32_e32 v72, 0x3fb8aa3b, v72
	v_exp_f32_e32 v68, v68
	s_delay_alu instid0(VALU_DEP_3) | instskip(NEXT) | instid1(VALU_DEP_2)
	v_exp_f32_e32 v69, v69
	v_exp_f32_e32 v70, v70
	;; [unrolled: 1-line block ×3, first 2 shown]
	v_fma_f32 v76, s35, v136, -v67
	v_exp_f32_e32 v72, v72
	s_delay_alu instid0(VALU_DEP_1) | instskip(SKIP_3) | instid1(TRANS32_DEP_3)
	v_mul_f32_e32 v76, 0x3fb8aa3b, v76
	v_cndmask_b32_e64 v79, 0, v68, s2
	v_fma_f32 v68, s35, v135, -v67
	v_cndmask_b32_e32 v75, 0, v69, vcc_lo
	v_cndmask_b32_e64 v82, 0, v70, s3
	s_delay_alu instid0(TRANS32_DEP_2) | instskip(NEXT) | instid1(VALU_DEP_4)
	v_cndmask_b32_e64 v84, 0, v71, s4
	v_dual_add_f32 v69, 0, v79 :: v_dual_mul_f32 v68, 0x3fb8aa3b, v68
	v_exp_f32_e32 v76, v76
	s_delay_alu instid0(TRANS32_DEP_2) | instskip(SKIP_1) | instid1(VALU_DEP_2)
	v_cndmask_b32_e64 v85, 0, v72, s5
	s_mov_b32 s3, exec_lo
	v_add_f32_e32 v69, v69, v75
	v_exp_f32_e32 v68, v68
	s_delay_alu instid0(VALU_DEP_1) | instskip(SKIP_4) | instid1(VALU_DEP_2)
	v_add_f32_e32 v69, v69, v82
	s_waitcnt_depctr 0xfff
	v_cndmask_b32_e64 v83, 0, v76, s7
	v_add_f32_e32 v69, v69, v84
	v_cndmask_b32_e64 v86, 0, v68, s6
	v_add_f32_e32 v68, v69, v85
	s_delay_alu instid0(VALU_DEP_1) | instskip(NEXT) | instid1(VALU_DEP_1)
	v_add_f32_e32 v68, v68, v86
	v_add_f32_e32 v68, v68, v83
	v_fma_f32 v72, s35, v123, -v67
	v_fma_f32 v70, s35, v137, -v67
	;; [unrolled: 1-line block ×5, first 2 shown]
	v_mul_f32_e32 v72, 0x3fb8aa3b, v72
	s_delay_alu instid0(VALU_DEP_4) | instskip(SKIP_1) | instid1(VALU_DEP_4)
	v_dual_mul_f32 v70, 0x3fb8aa3b, v70 :: v_dual_mul_f32 v69, 0x3fb8aa3b, v69
	v_fma_f32 v77, s35, v126, -v67
	v_mul_f32_e32 v76, 0x3fb8aa3b, v76
	s_delay_alu instid0(VALU_DEP_4) | instskip(NEXT) | instid1(VALU_DEP_3)
	v_exp_f32_e32 v72, v72
	v_exp_f32_e32 v70, v70
	;; [unrolled: 1-line block ×3, first 2 shown]
	v_fma_f32 v88, s35, v129, -v67
	v_exp_f32_e32 v76, v76
	s_delay_alu instid0(VALU_DEP_1) | instskip(SKIP_2) | instid1(TRANS32_DEP_3)
	v_mul_f32_e32 v88, 0x3fb8aa3b, v88
	v_cndmask_b32_e64 v69, 0, v72, s10
	v_mul_f32_e32 v71, 0x3fb8aa3b, v71
	v_cndmask_b32_e64 v87, 0, v70, s8
	v_fma_f32 v72, s35, v128, -v67
	s_delay_alu instid0(VALU_DEP_3) | instskip(NEXT) | instid1(VALU_DEP_2)
	v_exp_f32_e32 v71, v71
	v_add_f32_e32 v68, v68, v87
	s_waitcnt_depctr 0xfff
	v_cndmask_b32_e64 v70, 0, v71, s9
	v_fma_f32 v71, s35, v127, -v67
	s_delay_alu instid0(VALU_DEP_2) | instskip(NEXT) | instid1(VALU_DEP_2)
	v_add_f32_e32 v68, v68, v70
	v_mul_f32_e32 v80, 0x3fb8aa3b, v71
	v_cndmask_b32_e64 v71, 0, v78, s11
	v_mul_f32_e32 v78, 0x3fb8aa3b, v72
	v_cndmask_b32_e64 v72, 0, v76, s12
	v_add_f32_e32 v68, v68, v69
	v_exp_f32_e32 v80, v80
	s_delay_alu instid0(VALU_DEP_3) | instskip(NEXT) | instid1(VALU_DEP_1)
	v_exp_f32_e32 v78, v78
	v_dual_add_f32 v68, v68, v71 :: v_dual_mul_f32 v77, 0x3fb8aa3b, v77
	s_delay_alu instid0(VALU_DEP_1) | instskip(NEXT) | instid1(VALU_DEP_2)
	v_add_f32_e32 v68, v68, v72
	v_exp_f32_e32 v77, v77
	s_waitcnt_depctr 0xfff
	v_cndmask_b32_e64 v78, 0, v78, s17
	v_cndmask_b32_e64 v76, 0, v77, s13
	;; [unrolled: 1-line block ×3, first 2 shown]
	v_exp_f32_e32 v80, v88
	v_and_b32_e32 v88, 31, v0
	s_delay_alu instid0(VALU_DEP_3) | instskip(NEXT) | instid1(VALU_DEP_2)
	v_add_f32_e32 v68, v68, v76
	v_cmp_lt_u32_e64 s2, 15, v88
	s_delay_alu instid0(VALU_DEP_2) | instskip(SKIP_3) | instid1(VALU_DEP_1)
	v_add_f32_e32 v68, v68, v77
	s_waitcnt_depctr 0xfff
	v_cndmask_b32_e64 v80, 0, v80, s18
	v_add_f32_e32 v68, v68, v78
	v_add_f32_e32 v68, v68, v80
	ds_bpermute_b32 v81, v81, v68
	v_cmpx_gt_u32_e32 16, v88
	s_cbranch_execz .LBB1542_11
; %bb.10:
	v_mul_u32_u24_e32 v88, 0x44, v66
	s_delay_alu instid0(VALU_DEP_1) | instskip(SKIP_1) | instid1(VALU_DEP_1)
	v_lshl_add_u32 v88, v65, 2, v88
	s_waitcnt lgkmcnt(0)
	v_dual_add_f32 v68, v68, v81 :: v_dual_add_nc_u32 v81, 0x4000, v88
	ds_store_2addr_b32 v81, v67, v68 offset1:136
.LBB1542_11:
	s_or_b32 exec_lo, exec_lo, s3
	v_lshlrev_b32_e32 v67, 2, v65
	s_waitcnt lgkmcnt(0)
	s_barrier
	buffer_gl0_inv
	v_cmp_eq_u32_e32 vcc_lo, 1, v66
	v_add_nc_u32_e32 v81, 0x4000, v67
	v_cmp_eq_u32_e64 s3, 2, v66
	v_cmp_eq_u32_e64 s5, 7, v66
	ds_load_2addr_b32 v[88:89], v81 offset1:17
	ds_load_2addr_b32 v[90:91], v81 offset0:34 offset1:51
	ds_load_2addr_b32 v[92:93], v81 offset0:68 offset1:85
	;; [unrolled: 1-line block ×4, first 2 shown]
	s_waitcnt lgkmcnt(4)
	v_max3_f32 v67, v88, 0xff7fffff, v89
	s_waitcnt lgkmcnt(3)
	s_delay_alu instid0(VALU_DEP_1) | instskip(SKIP_1) | instid1(VALU_DEP_1)
	v_max3_f32 v67, v67, v90, v91
	s_waitcnt lgkmcnt(2)
	v_max3_f32 v67, v67, v92, v93
	s_waitcnt lgkmcnt(1)
	s_delay_alu instid0(VALU_DEP_1) | instskip(NEXT) | instid1(VALU_DEP_1)
	v_max3_f32 v67, v67, v94, v95
	v_sub_f32_e32 v68, v88, v67
	v_sub_f32_e32 v90, v90, v67
	;; [unrolled: 1-line block ×3, first 2 shown]
	s_delay_alu instid0(VALU_DEP_3) | instskip(NEXT) | instid1(VALU_DEP_3)
	v_mul_f32_e32 v68, 0x3fb8aa3b, v68
	v_mul_f32_e32 v100, 0x3fb8aa3b, v90
	s_delay_alu instid0(VALU_DEP_3) | instskip(NEXT) | instid1(VALU_DEP_3)
	v_mul_f32_e32 v102, 0x3fb8aa3b, v92
	v_exp_f32_e32 v99, v68
	v_sub_f32_e32 v68, v91, v67
	v_sub_f32_e32 v98, v89, v67
	v_exp_f32_e32 v100, v100
	s_delay_alu instid0(VALU_DEP_1)
	v_dual_mul_f32 v101, 0x3fb8aa3b, v68 :: v_dual_mul_f32 v98, 0x3fb8aa3b, v98
	s_waitcnt lgkmcnt(0)
	s_waitcnt_depctr 0xfff
	v_fma_f32 v68, v99, v96, 0
	v_sub_f32_e32 v96, v93, v67
	v_exp_f32_e32 v98, v98
	v_exp_f32_e32 v101, v101
	s_waitcnt_depctr 0xfff
	v_fmac_f32_e32 v68, v98, v97
	ds_load_2addr_b32 v[88:89], v81 offset0:170 offset1:187
	ds_load_2addr_b32 v[90:91], v81 offset0:204 offset1:221
	;; [unrolled: 1-line block ×3, first 2 shown]
	v_dual_sub_f32 v81, v94, v67 :: v_dual_mul_f32 v94, 0x3fb8aa3b, v96
	v_exp_f32_e32 v96, v102
	s_waitcnt lgkmcnt(0)
	s_barrier
	s_delay_alu instid0(VALU_DEP_1)
	v_mul_f32_e32 v81, 0x3fb8aa3b, v81
	v_exp_f32_e32 v94, v94
	buffer_gl0_inv
	v_exp_f32_e32 v81, v81
	v_fmac_f32_e32 v68, v100, v88
	v_sub_f32_e32 v88, v95, v67
	s_delay_alu instid0(VALU_DEP_2) | instskip(NEXT) | instid1(VALU_DEP_2)
	v_fmac_f32_e32 v68, v101, v89
	v_mul_f32_e32 v88, 0x3fb8aa3b, v88
	s_delay_alu instid0(VALU_DEP_2) | instskip(NEXT) | instid1(VALU_DEP_2)
	v_fmac_f32_e32 v68, v96, v90
	v_exp_f32_e32 v88, v88
	s_delay_alu instid0(VALU_DEP_1)
	v_fmac_f32_e32 v68, v94, v91
	s_delay_alu instid0(TRANS32_DEP_2) | instid1(VALU_DEP_1)
	v_fmac_f32_e32 v68, v81, v92
	s_waitcnt_depctr 0xfff
	v_fmac_f32_e32 v68, v88, v93
	s_delay_alu instid0(VALU_DEP_1) | instskip(NEXT) | instid1(VALU_DEP_1)
	v_add_f32_e32 v89, 0x358637bd, v68
	v_div_scale_f32 v90, null, v89, v89, 1.0
	v_div_scale_f32 v93, s4, 1.0, v89, 1.0
	s_delay_alu instid0(VALU_DEP_2) | instskip(SKIP_2) | instid1(VALU_DEP_1)
	v_rcp_f32_e32 v91, v90
	s_waitcnt_depctr 0xfff
	v_fma_f32 v92, -v90, v91, 1.0
	v_dual_fmac_f32 v91, v92, v91 :: v_dual_cndmask_b32 v92, v99, v98
	v_cmp_eq_u32_e32 vcc_lo, 3, v66
	s_delay_alu instid0(VALU_DEP_2) | instskip(NEXT) | instid1(VALU_DEP_3)
	v_mul_f32_e32 v95, v93, v91
	v_cndmask_b32_e64 v92, v92, v100, s3
	v_cmp_eq_u32_e64 s3, 4, v66
	s_delay_alu instid0(VALU_DEP_3) | instskip(NEXT) | instid1(VALU_DEP_3)
	v_fma_f32 v97, -v90, v95, v93
	v_cndmask_b32_e32 v92, v92, v101, vcc_lo
	v_cmp_eq_u32_e32 vcc_lo, 5, v66
	s_delay_alu instid0(VALU_DEP_3) | instskip(NEXT) | instid1(VALU_DEP_3)
	v_fmac_f32_e32 v95, v97, v91
	v_cndmask_b32_e64 v92, v92, v96, s3
	v_cmp_eq_u32_e64 s3, 6, v66
	s_delay_alu instid0(VALU_DEP_3) | instskip(NEXT) | instid1(VALU_DEP_3)
	v_fma_f32 v90, -v90, v95, v93
	v_cndmask_b32_e32 v92, v92, v94, vcc_lo
	s_mov_b32 vcc_lo, s4
	s_delay_alu instid0(VALU_DEP_2) | instskip(NEXT) | instid1(VALU_DEP_2)
	v_div_fmas_f32 v90, v90, v91, v95
	v_cndmask_b32_e64 v81, v92, v81, s3
	s_mov_b32 s3, exec_lo
	s_delay_alu instid0(VALU_DEP_2) | instskip(NEXT) | instid1(VALU_DEP_2)
	v_div_fixup_f32 v89, v90, v89, 1.0
	v_cndmask_b32_e64 v81, v81, v88, s5
	s_delay_alu instid0(VALU_DEP_1) | instskip(NEXT) | instid1(VALU_DEP_1)
	v_mul_f32_e32 v81, v81, v89
	v_mul_f32_e32 v83, v81, v83
	;; [unrolled: 1-line block ×7, first 2 shown]
	v_dual_mul_f32 v85, v81, v82 :: v_dual_and_b32 v90, 0x7f800000, v89
	v_mul_f32_e32 v84, v81, v75
                                        ; implicit-def: $vgpr75
	s_delay_alu instid0(VALU_DEP_2)
	v_cmpx_ne_u32_e32 0x7f800000, v90
	s_xor_b32 s3, exec_lo, s3
; %bb.12:
	v_bfe_u32 v75, v89, 16, 1
	s_delay_alu instid0(VALU_DEP_1)
	v_add3_u32 v75, v89, v75, 0x7fff
                                        ; implicit-def: $vgpr89
; %bb.13:
	s_and_not1_saveexec_b32 s3, s3
; %bb.14:
	v_and_b32_e32 v75, 0xffff, v89
	v_or_b32_e32 v82, 0x10000, v89
	s_delay_alu instid0(VALU_DEP_2) | instskip(NEXT) | instid1(VALU_DEP_2)
	v_cmp_eq_u32_e32 vcc_lo, 0, v75
	v_cndmask_b32_e32 v75, v82, v89, vcc_lo
; %bb.15:
	s_or_b32 exec_lo, exec_lo, s3
	v_and_b32_e32 v82, 0x7f800000, v84
	s_delay_alu instid0(VALU_DEP_1) | instskip(SKIP_1) | instid1(SALU_CYCLE_1)
	v_cmp_ne_u32_e32 vcc_lo, 0x7f800000, v82
                                        ; implicit-def: $vgpr82
	s_and_saveexec_b32 s3, vcc_lo
	s_xor_b32 s3, exec_lo, s3
; %bb.16:
	v_bfe_u32 v82, v84, 16, 1
	s_delay_alu instid0(VALU_DEP_1)
	v_add3_u32 v82, v84, v82, 0x7fff
                                        ; implicit-def: $vgpr84
; %bb.17:
	s_and_not1_saveexec_b32 s3, s3
; %bb.18:
	v_and_b32_e32 v82, 0xffff, v84
	v_or_b32_e32 v89, 0x10000, v84
	s_delay_alu instid0(VALU_DEP_2) | instskip(NEXT) | instid1(VALU_DEP_2)
	v_cmp_eq_u32_e32 vcc_lo, 0, v82
	v_cndmask_b32_e32 v82, v89, v84, vcc_lo
; %bb.19:
	s_or_b32 exec_lo, exec_lo, s3
	v_and_b32_e32 v84, 0x7f800000, v85
	s_delay_alu instid0(VALU_DEP_1) | instskip(SKIP_1) | instid1(SALU_CYCLE_1)
	v_cmp_ne_u32_e32 vcc_lo, 0x7f800000, v84
                                        ; implicit-def: $vgpr84
	s_and_saveexec_b32 s3, vcc_lo
	s_xor_b32 s3, exec_lo, s3
; %bb.20:
	v_bfe_u32 v84, v85, 16, 1
	s_delay_alu instid0(VALU_DEP_1)
	v_add3_u32 v84, v85, v84, 0x7fff
                                        ; implicit-def: $vgpr85
; %bb.21:
	s_and_not1_saveexec_b32 s3, s3
; %bb.22:
	v_and_b32_e32 v84, 0xffff, v85
	v_or_b32_e32 v89, 0x10000, v85
	s_delay_alu instid0(VALU_DEP_2) | instskip(NEXT) | instid1(VALU_DEP_2)
	v_cmp_eq_u32_e32 vcc_lo, 0, v84
	v_cndmask_b32_e32 v84, v89, v85, vcc_lo
; %bb.23:
	s_or_b32 exec_lo, exec_lo, s3
	v_and_b32_e32 v85, 0x7f800000, v88
	s_delay_alu instid0(VALU_DEP_1) | instskip(SKIP_1) | instid1(SALU_CYCLE_1)
	v_cmp_ne_u32_e32 vcc_lo, 0x7f800000, v85
                                        ; implicit-def: $vgpr85
	s_and_saveexec_b32 s3, vcc_lo
	s_xor_b32 s3, exec_lo, s3
; %bb.24:
	v_bfe_u32 v85, v88, 16, 1
	s_delay_alu instid0(VALU_DEP_1)
	v_add3_u32 v85, v88, v85, 0x7fff
                                        ; implicit-def: $vgpr88
; %bb.25:
	s_and_not1_saveexec_b32 s3, s3
; %bb.26:
	v_and_b32_e32 v85, 0xffff, v88
	v_or_b32_e32 v89, 0x10000, v88
	s_delay_alu instid0(VALU_DEP_2) | instskip(NEXT) | instid1(VALU_DEP_2)
	v_cmp_eq_u32_e32 vcc_lo, 0, v85
	v_cndmask_b32_e32 v85, v89, v88, vcc_lo
; %bb.27:
	s_or_b32 exec_lo, exec_lo, s3
	v_and_b32_e32 v88, 0x7f800000, v87
	s_delay_alu instid0(VALU_DEP_1) | instskip(SKIP_1) | instid1(SALU_CYCLE_1)
	v_cmp_ne_u32_e32 vcc_lo, 0x7f800000, v88
                                        ; implicit-def: $vgpr88
	s_and_saveexec_b32 s3, vcc_lo
	s_xor_b32 s3, exec_lo, s3
; %bb.28:
	v_bfe_u32 v88, v87, 16, 1
	s_delay_alu instid0(VALU_DEP_1)
	v_add3_u32 v88, v87, v88, 0x7fff
                                        ; implicit-def: $vgpr87
; %bb.29:
	s_and_not1_saveexec_b32 s3, s3
; %bb.30:
	v_and_b32_e32 v88, 0xffff, v87
	v_or_b32_e32 v89, 0x10000, v87
	s_delay_alu instid0(VALU_DEP_2) | instskip(NEXT) | instid1(VALU_DEP_2)
	v_cmp_eq_u32_e32 vcc_lo, 0, v88
	v_cndmask_b32_e32 v88, v89, v87, vcc_lo
; %bb.31:
	s_or_b32 exec_lo, exec_lo, s3
	v_and_b32_e32 v87, 0x7f800000, v86
	s_delay_alu instid0(VALU_DEP_1) | instskip(SKIP_1) | instid1(SALU_CYCLE_1)
	v_cmp_ne_u32_e32 vcc_lo, 0x7f800000, v87
                                        ; implicit-def: $vgpr87
	s_and_saveexec_b32 s3, vcc_lo
	s_xor_b32 s3, exec_lo, s3
; %bb.32:
	v_bfe_u32 v87, v86, 16, 1
	s_delay_alu instid0(VALU_DEP_1)
	v_add3_u32 v87, v86, v87, 0x7fff
                                        ; implicit-def: $vgpr86
; %bb.33:
	s_and_not1_saveexec_b32 s3, s3
; %bb.34:
	v_and_b32_e32 v87, 0xffff, v86
	v_or_b32_e32 v89, 0x10000, v86
	s_delay_alu instid0(VALU_DEP_2) | instskip(NEXT) | instid1(VALU_DEP_2)
	v_cmp_eq_u32_e32 vcc_lo, 0, v87
	v_cndmask_b32_e32 v87, v89, v86, vcc_lo
; %bb.35:
	s_or_b32 exec_lo, exec_lo, s3
	v_and_b32_e32 v86, 0x7f800000, v83
	s_delay_alu instid0(VALU_DEP_1) | instskip(SKIP_1) | instid1(SALU_CYCLE_1)
	v_cmp_ne_u32_e32 vcc_lo, 0x7f800000, v86
                                        ; implicit-def: $vgpr86
	s_and_saveexec_b32 s3, vcc_lo
	s_xor_b32 s3, exec_lo, s3
; %bb.36:
	v_bfe_u32 v86, v83, 16, 1
	s_delay_alu instid0(VALU_DEP_1)
	v_add3_u32 v86, v83, v86, 0x7fff
                                        ; implicit-def: $vgpr83
; %bb.37:
	s_and_not1_saveexec_b32 s3, s3
; %bb.38:
	v_and_b32_e32 v86, 0xffff, v83
	v_or_b32_e32 v89, 0x10000, v83
	s_delay_alu instid0(VALU_DEP_2) | instskip(NEXT) | instid1(VALU_DEP_2)
	v_cmp_eq_u32_e32 vcc_lo, 0, v86
	v_cndmask_b32_e32 v86, v89, v83, vcc_lo
; %bb.39:
	s_or_b32 exec_lo, exec_lo, s3
	v_and_b32_e32 v83, 0x7f800000, v79
	s_delay_alu instid0(VALU_DEP_1) | instskip(SKIP_1) | instid1(SALU_CYCLE_1)
	v_cmp_ne_u32_e32 vcc_lo, 0x7f800000, v83
                                        ; implicit-def: $vgpr83
	s_and_saveexec_b32 s3, vcc_lo
	s_xor_b32 s3, exec_lo, s3
; %bb.40:
	v_bfe_u32 v83, v79, 16, 1
	s_delay_alu instid0(VALU_DEP_1)
	v_add3_u32 v83, v79, v83, 0x7fff
                                        ; implicit-def: $vgpr79
; %bb.41:
	s_and_not1_saveexec_b32 s3, s3
; %bb.42:
	v_and_b32_e32 v83, 0xffff, v79
	v_or_b32_e32 v89, 0x10000, v79
	s_delay_alu instid0(VALU_DEP_2) | instskip(NEXT) | instid1(VALU_DEP_2)
	v_cmp_eq_u32_e32 vcc_lo, 0, v83
	v_cndmask_b32_e32 v83, v89, v79, vcc_lo
; %bb.43:
	s_or_b32 exec_lo, exec_lo, s3
	s_load_b64 s[36:37], s[0:1], 0x94
	v_lshlrev_b32_e32 v90, 4, v74
	s_delay_alu instid0(VALU_DEP_2)
	v_perm_b32 v89, v83, v86, 0x7060302
	v_lshlrev_b32_e32 v79, 6, v65
	v_dual_mul_f32 v76, v81, v76 :: v_dual_lshlrev_b32 v65, 11, v66
	v_perm_b32 v86, v82, v75, 0x7060302
	v_mul_f32_e32 v82, v81, v70
	v_perm_b32 v88, v87, v88, 0x7060302
	v_perm_b32 v87, v85, v84, 0x7060302
	v_or3_b32 v75, v90, v65, v79
	v_mul_f32_e32 v65, v81, v80
	v_mul_f32_e32 v70, v81, v78
	;; [unrolled: 1-line block ×3, first 2 shown]
	v_dual_mul_f32 v80, v81, v72 :: v_dual_and_b32 v83, 0x7f800000, v82
	v_mul_f32_e32 v78, v81, v71
	v_mul_f32_e32 v72, v81, v69
	s_mov_b32 s3, exec_lo
	ds_store_b128 v75, v[86:89]
                                        ; implicit-def: $vgpr69
	v_cmpx_ne_u32_e32 0x7f800000, v83
	s_xor_b32 s3, exec_lo, s3
; %bb.44:
	v_bfe_u32 v69, v82, 16, 1
	s_delay_alu instid0(VALU_DEP_1)
	v_add3_u32 v69, v82, v69, 0x7fff
                                        ; implicit-def: $vgpr82
; %bb.45:
	s_and_not1_saveexec_b32 s3, s3
; %bb.46:
	v_and_b32_e32 v69, 0xffff, v82
	v_or_b32_e32 v71, 0x10000, v82
	s_delay_alu instid0(VALU_DEP_2) | instskip(NEXT) | instid1(VALU_DEP_2)
	v_cmp_eq_u32_e32 vcc_lo, 0, v69
	v_cndmask_b32_e32 v69, v71, v82, vcc_lo
; %bb.47:
	s_or_b32 exec_lo, exec_lo, s3
	v_and_b32_e32 v71, 0x7f800000, v72
	s_delay_alu instid0(VALU_DEP_1) | instskip(SKIP_1) | instid1(SALU_CYCLE_1)
	v_cmp_ne_u32_e32 vcc_lo, 0x7f800000, v71
                                        ; implicit-def: $vgpr71
	s_and_saveexec_b32 s3, vcc_lo
	s_xor_b32 s3, exec_lo, s3
; %bb.48:
	v_bfe_u32 v71, v72, 16, 1
	s_delay_alu instid0(VALU_DEP_1)
	v_add3_u32 v71, v72, v71, 0x7fff
                                        ; implicit-def: $vgpr72
; %bb.49:
	s_and_not1_saveexec_b32 s3, s3
; %bb.50:
	v_and_b32_e32 v71, 0xffff, v72
	v_or_b32_e32 v81, 0x10000, v72
	s_delay_alu instid0(VALU_DEP_2) | instskip(NEXT) | instid1(VALU_DEP_2)
	v_cmp_eq_u32_e32 vcc_lo, 0, v71
	v_cndmask_b32_e32 v71, v81, v72, vcc_lo
; %bb.51:
	s_or_b32 exec_lo, exec_lo, s3
	v_and_b32_e32 v72, 0x7f800000, v78
	s_delay_alu instid0(VALU_DEP_1) | instskip(SKIP_1) | instid1(SALU_CYCLE_1)
	v_cmp_ne_u32_e32 vcc_lo, 0x7f800000, v72
                                        ; implicit-def: $vgpr72
	s_and_saveexec_b32 s3, vcc_lo
	s_xor_b32 s3, exec_lo, s3
; %bb.52:
	v_bfe_u32 v72, v78, 16, 1
	s_delay_alu instid0(VALU_DEP_1)
	v_add3_u32 v72, v78, v72, 0x7fff
                                        ; implicit-def: $vgpr78
; %bb.53:
	s_and_not1_saveexec_b32 s3, s3
; %bb.54:
	v_and_b32_e32 v72, 0xffff, v78
	v_or_b32_e32 v81, 0x10000, v78
	s_delay_alu instid0(VALU_DEP_2) | instskip(NEXT) | instid1(VALU_DEP_2)
	v_cmp_eq_u32_e32 vcc_lo, 0, v72
	v_cndmask_b32_e32 v72, v81, v78, vcc_lo
; %bb.55:
	s_or_b32 exec_lo, exec_lo, s3
	v_and_b32_e32 v78, 0x7f800000, v80
	s_delay_alu instid0(VALU_DEP_1) | instskip(SKIP_1) | instid1(SALU_CYCLE_1)
	v_cmp_ne_u32_e32 vcc_lo, 0x7f800000, v78
                                        ; implicit-def: $vgpr78
	s_and_saveexec_b32 s3, vcc_lo
	s_xor_b32 s3, exec_lo, s3
; %bb.56:
	v_bfe_u32 v78, v80, 16, 1
	s_delay_alu instid0(VALU_DEP_1)
	v_add3_u32 v78, v80, v78, 0x7fff
                                        ; implicit-def: $vgpr80
; %bb.57:
	s_and_not1_saveexec_b32 s3, s3
; %bb.58:
	v_and_b32_e32 v78, 0xffff, v80
	v_or_b32_e32 v81, 0x10000, v80
	s_delay_alu instid0(VALU_DEP_2) | instskip(NEXT) | instid1(VALU_DEP_2)
	v_cmp_eq_u32_e32 vcc_lo, 0, v78
	v_cndmask_b32_e32 v78, v81, v80, vcc_lo
; %bb.59:
	s_or_b32 exec_lo, exec_lo, s3
	v_and_b32_e32 v80, 0x7f800000, v76
	s_delay_alu instid0(VALU_DEP_1) | instskip(SKIP_1) | instid1(SALU_CYCLE_1)
	v_cmp_ne_u32_e32 vcc_lo, 0x7f800000, v80
                                        ; implicit-def: $vgpr80
	s_and_saveexec_b32 s3, vcc_lo
	s_xor_b32 s3, exec_lo, s3
; %bb.60:
	v_bfe_u32 v80, v76, 16, 1
	s_delay_alu instid0(VALU_DEP_1)
	v_add3_u32 v80, v76, v80, 0x7fff
                                        ; implicit-def: $vgpr76
; %bb.61:
	s_and_not1_saveexec_b32 s3, s3
; %bb.62:
	v_and_b32_e32 v80, 0xffff, v76
	v_or_b32_e32 v81, 0x10000, v76
	s_delay_alu instid0(VALU_DEP_2) | instskip(NEXT) | instid1(VALU_DEP_2)
	v_cmp_eq_u32_e32 vcc_lo, 0, v80
	v_cndmask_b32_e32 v80, v81, v76, vcc_lo
; %bb.63:
	s_or_b32 exec_lo, exec_lo, s3
	v_and_b32_e32 v76, 0x7f800000, v77
	s_delay_alu instid0(VALU_DEP_1) | instskip(SKIP_1) | instid1(SALU_CYCLE_1)
	v_cmp_ne_u32_e32 vcc_lo, 0x7f800000, v76
                                        ; implicit-def: $vgpr76
	s_and_saveexec_b32 s3, vcc_lo
	s_xor_b32 s3, exec_lo, s3
; %bb.64:
	v_bfe_u32 v76, v77, 16, 1
	s_delay_alu instid0(VALU_DEP_1)
	v_add3_u32 v76, v77, v76, 0x7fff
                                        ; implicit-def: $vgpr77
; %bb.65:
	s_and_not1_saveexec_b32 s3, s3
; %bb.66:
	v_and_b32_e32 v76, 0xffff, v77
	v_or_b32_e32 v81, 0x10000, v77
	s_delay_alu instid0(VALU_DEP_2) | instskip(NEXT) | instid1(VALU_DEP_2)
	v_cmp_eq_u32_e32 vcc_lo, 0, v76
	v_cndmask_b32_e32 v76, v81, v77, vcc_lo
; %bb.67:
	s_or_b32 exec_lo, exec_lo, s3
	v_and_b32_e32 v77, 0x7f800000, v70
	s_delay_alu instid0(VALU_DEP_1) | instskip(SKIP_1) | instid1(SALU_CYCLE_1)
	v_cmp_ne_u32_e32 vcc_lo, 0x7f800000, v77
                                        ; implicit-def: $vgpr77
	s_and_saveexec_b32 s3, vcc_lo
	s_xor_b32 s3, exec_lo, s3
; %bb.68:
	v_bfe_u32 v77, v70, 16, 1
	s_delay_alu instid0(VALU_DEP_1)
	v_add3_u32 v77, v70, v77, 0x7fff
                                        ; implicit-def: $vgpr70
; %bb.69:
	s_and_not1_saveexec_b32 s3, s3
; %bb.70:
	v_and_b32_e32 v77, 0xffff, v70
	v_or_b32_e32 v81, 0x10000, v70
	s_delay_alu instid0(VALU_DEP_2) | instskip(NEXT) | instid1(VALU_DEP_2)
	v_cmp_eq_u32_e32 vcc_lo, 0, v77
	v_cndmask_b32_e32 v77, v81, v70, vcc_lo
; %bb.71:
	s_or_b32 exec_lo, exec_lo, s3
	v_and_b32_e32 v70, 0x7f800000, v65
	s_delay_alu instid0(VALU_DEP_1) | instskip(SKIP_1) | instid1(SALU_CYCLE_1)
	v_cmp_ne_u32_e32 vcc_lo, 0x7f800000, v70
                                        ; implicit-def: $vgpr70
	s_and_saveexec_b32 s3, vcc_lo
	s_xor_b32 s3, exec_lo, s3
; %bb.72:
	v_bfe_u32 v70, v65, 16, 1
	s_delay_alu instid0(VALU_DEP_1)
	v_add3_u32 v70, v65, v70, 0x7fff
                                        ; implicit-def: $vgpr65
; %bb.73:
	s_and_not1_saveexec_b32 s3, s3
; %bb.74:
	v_and_b32_e32 v70, 0xffff, v65
	v_or_b32_e32 v81, 0x10000, v65
	s_delay_alu instid0(VALU_DEP_2) | instskip(NEXT) | instid1(VALU_DEP_2)
	v_cmp_eq_u32_e32 vcc_lo, 0, v70
	v_cndmask_b32_e32 v70, v81, v65, vcc_lo
; %bb.75:
	s_or_b32 exec_lo, exec_lo, s3
	s_delay_alu instid0(VALU_DEP_1)
	v_perm_b32 v85, v70, v77, 0x7060302
	v_perm_b32 v84, v76, v80, 0x7060302
	;; [unrolled: 1-line block ×4, first 2 shown]
	v_lshl_or_b32 v81, v66, 11, v79
	ds_store_b128 v75, v[82:85] offset:1024
	s_waitcnt lgkmcnt(0)
	s_barrier
	buffer_gl0_inv
	ds_load_b128 v[69:72], v81
	ds_load_b128 v[82:85], v81 offset:16
	s_waitcnt lgkmcnt(1)
	v_lshrrev_b32_e32 v65, 16, v69
	v_lshlrev_b32_e32 v77, 2, v74
	v_lshrrev_b32_e32 v66, 16, v70
	s_waitcnt lgkmcnt(0)
	v_lshrrev_b32_e32 v90, 16, v82
	v_lshrrev_b32_e32 v94, 16, v71
	;; [unrolled: 1-line block ×3, first 2 shown]
	v_cmp_eq_u32_e32 vcc_lo, 1, v77
	v_lshrrev_b32_e32 v95, 16, v72
	v_lshrrev_b32_e32 v97, 16, v84
	v_lshrrev_b32_e32 v98, 16, v85
	v_cndmask_b32_e32 v80, v69, v65, vcc_lo
	v_or_b32_e32 v78, 1, v77
	v_cmp_eq_u32_e64 s4, 2, v77
	v_cmp_eq_u32_e64 s7, 3, v77
	;; [unrolled: 1-line block ×3, first 2 shown]
	v_or_b32_e32 v76, 2, v77
	v_cmp_eq_u32_e64 s3, 1, v78
	v_cndmask_b32_e64 v80, v80, v70, s4
	v_cmp_eq_u32_e64 s6, 2, v78
	v_cmp_eq_u32_e64 s8, 3, v78
	;; [unrolled: 1-line block ×3, first 2 shown]
	v_cndmask_b32_e64 v87, v69, v65, s3
	v_cndmask_b32_e64 v80, v80, v66, s7
	;; [unrolled: 1-line block ×3, first 2 shown]
	v_cmp_eq_u32_e64 s11, 4, v78
	v_cmp_eq_u32_e64 s5, 1, v76
	v_cndmask_b32_e64 v87, v87, v70, s6
	v_cndmask_b32_e64 v80, v80, v71, s9
	;; [unrolled: 1-line block ×3, first 2 shown]
	v_cmp_eq_u32_e64 s12, 6, v77
	v_cmp_eq_u32_e64 s13, 5, v78
	v_cndmask_b32_e64 v87, v87, v66, s8
	v_cndmask_b32_e64 v80, v80, v94, s10
	;; [unrolled: 1-line block ×4, first 2 shown]
	v_cmp_eq_u32_e64 s16, 7, v77
	v_cndmask_b32_e64 v87, v87, v71, s11
	v_cndmask_b32_e64 v80, v80, v72, s12
	v_cmp_eq_u32_e64 s17, 6, v78
	v_cmp_eq_u32_e64 s18, 2, v76
	v_cndmask_b32_e64 v88, v88, v84, s11
	v_cndmask_b32_e64 v87, v87, v94, s13
	;; [unrolled: 1-line block ×3, first 2 shown]
	v_cmp_eq_u32_e64 s19, 7, v78
	v_cndmask_b32_e64 v80, v89, v70, s18
	v_cmp_eq_u32_e64 s20, 3, v76
	v_cndmask_b32_e64 v87, v87, v72, s17
	v_cmp_eq_u32_e64 s21, 4, v76
	v_cmp_eq_u32_e64 s23, 5, v76
	;; [unrolled: 1-line block ×4, first 2 shown]
	v_cndmask_b32_e64 v101, v87, v95, s19
	v_cndmask_b32_e64 v87, v88, v97, s13
	;; [unrolled: 1-line block ×3, first 2 shown]
	v_or_b32_e32 v80, 3, v77
	s_delay_alu instid0(VALU_DEP_3) | instskip(NEXT) | instid1(VALU_DEP_3)
	v_cndmask_b32_e64 v102, v87, v85, s17
	v_cndmask_b32_e64 v91, v88, v71, s21
	s_delay_alu instid0(VALU_DEP_3)
	v_cmp_eq_u32_e64 s22, 1, v80
	v_cmp_eq_u32_e64 s24, 2, v80
	;; [unrolled: 1-line block ×5, first 2 shown]
	v_cndmask_b32_e64 v65, v69, v65, s22
	v_cmp_eq_u32_e64 s30, 6, v80
	v_cndmask_b32_e64 v103, v91, v94, s23
	s_delay_alu instid0(VALU_DEP_3) | instskip(NEXT) | instid1(VALU_DEP_1)
	v_cndmask_b32_e64 v65, v65, v70, s24
	v_cndmask_b32_e64 v65, v65, v66, s26
	s_delay_alu instid0(VALU_DEP_3) | instskip(NEXT) | instid1(VALU_DEP_2)
	v_cndmask_b32_e64 v66, v103, v72, s25
	v_cndmask_b32_e64 v65, v65, v71, s27
	s_delay_alu instid0(VALU_DEP_2) | instskip(NEXT) | instid1(VALU_DEP_2)
	v_cndmask_b32_e64 v66, v66, v95, s28
	v_cndmask_b32_e64 v65, v65, v94, s29
	s_delay_alu instid0(VALU_DEP_1) | instskip(SKIP_1) | instid1(VALU_DEP_1)
	v_cndmask_b32_e64 v65, v65, v72, s30
	v_cndmask_b32_e32 v86, v82, v90, vcc_lo
	v_cndmask_b32_e64 v86, v86, v83, s4
	s_delay_alu instid0(VALU_DEP_1) | instskip(NEXT) | instid1(VALU_DEP_1)
	v_cndmask_b32_e64 v86, v86, v96, s7
	v_cndmask_b32_e64 v86, v86, v84, s9
	s_delay_alu instid0(VALU_DEP_1) | instskip(NEXT) | instid1(VALU_DEP_1)
	v_cndmask_b32_e64 v86, v86, v97, s10
	v_cndmask_b32_e64 v86, v86, v85, s12
	s_delay_alu instid0(VALU_DEP_1) | instskip(SKIP_2) | instid1(VALU_DEP_2)
	v_cndmask_b32_e64 v100, v86, v98, s16
	v_cndmask_b32_e64 v86, v82, v90, s5
	;; [unrolled: 1-line block ×4, first 2 shown]
	s_delay_alu instid0(VALU_DEP_2) | instskip(SKIP_1) | instid1(VALU_DEP_3)
	v_cndmask_b32_e64 v70, v82, v83, s24
	v_cndmask_b32_e64 v82, v102, v98, s19
	;; [unrolled: 1-line block ×3, first 2 shown]
	ds_load_b128 v[86:89], v81 offset:1024
	v_cndmask_b32_e64 v70, v70, v96, s26
	v_cndmask_b32_e64 v69, v92, v84, s21
	ds_load_b128 v[90:93], v81 offset:1040
	v_cndmask_b32_e64 v70, v70, v84, s27
	v_cndmask_b32_e64 v69, v69, v97, s23
	s_delay_alu instid0(VALU_DEP_2) | instskip(NEXT) | instid1(VALU_DEP_2)
	v_cndmask_b32_e64 v70, v70, v97, s29
	v_cndmask_b32_e64 v69, v69, v85, s25
	s_delay_alu instid0(VALU_DEP_2) | instskip(NEXT) | instid1(VALU_DEP_2)
	v_cndmask_b32_e64 v70, v70, v85, s30
	v_cndmask_b32_e64 v69, v69, v98, s28
	s_waitcnt lgkmcnt(1)
	v_lshrrev_b32_e32 v83, 16, v86
	v_lshrrev_b32_e32 v94, 16, v87
	;; [unrolled: 1-line block ×3, first 2 shown]
	s_delay_alu instid0(VALU_DEP_3) | instskip(SKIP_3) | instid1(VALU_DEP_3)
	v_cndmask_b32_e32 v71, v86, v83, vcc_lo
	s_waitcnt lgkmcnt(0)
	v_lshrrev_b32_e32 v84, 16, v90
	v_cndmask_b32_e64 v96, v86, v83, s3
	v_cndmask_b32_e64 v71, v71, v87, s4
	s_delay_alu instid0(VALU_DEP_3) | instskip(NEXT) | instid1(VALU_DEP_3)
	v_cndmask_b32_e32 v97, v90, v84, vcc_lo
	v_cndmask_b32_e64 v72, v96, v87, s6
	v_lshrrev_b32_e32 v96, 16, v91
	v_cmp_eq_u32_e32 vcc_lo, 7, v80
	v_cndmask_b32_e64 v71, v71, v94, s7
	v_cndmask_b32_e64 v85, v97, v91, s4
	;; [unrolled: 1-line block ×3, first 2 shown]
	v_lshrrev_b32_e32 v97, 16, v88
	v_cndmask_b32_e32 v65, v65, v95, vcc_lo
	v_cndmask_b32_e64 v71, v71, v88, s9
	v_cndmask_b32_e64 v85, v85, v96, s7
	v_cndmask_b32_e32 v70, v70, v98, vcc_lo
	v_cndmask_b32_e64 v95, v72, v88, s11
	v_lshrrev_b32_e32 v98, 16, v92
	v_cndmask_b32_e64 v71, v71, v97, s10
	v_cndmask_b32_e64 v85, v85, v92, s9
	v_perm_b32 v72, v70, v65, 0x5040100
	v_cndmask_b32_e64 v65, v95, v97, s13
	v_perm_b32 v70, v82, v101, 0x5040100
	v_cndmask_b32_e64 v95, v71, v89, s12
	v_cndmask_b32_e64 v85, v85, v98, s10
	v_perm_b32 v71, v69, v66, 0x5040100
	v_cndmask_b32_e64 v65, v65, v89, s17
	v_lshrrev_b32_e32 v82, 16, v93
	v_cndmask_b32_e64 v66, v95, v102, s16
	v_cndmask_b32_e64 v69, v85, v93, s12
	;; [unrolled: 1-line block ×34, first 2 shown]
	v_cndmask_b32_e32 v83, v83, v102, vcc_lo
	v_cndmask_b32_e32 v85, v86, v82, vcc_lo
	v_cndmask_b32_e64 v86, v87, v82, s28
	v_cndmask_b32_e64 v87, v84, v82, s19
	;; [unrolled: 1-line block ×3, first 2 shown]
	v_perm_b32 v69, v100, v99, 0x5040100
	v_perm_b32 v85, v85, v83, 0x5040100
	;; [unrolled: 1-line block ×5, first 2 shown]
	s_mov_b32 s3, exec_lo
	ds_store_b128 v75, v[69:72]
	ds_store_b128 v75, v[82:85] offset:1024
	v_cmpx_eq_u32_e32 0, v0
	s_cbranch_execz .LBB1542_77
; %bb.76:
	s_load_b128 s[4:7], s[0:1], 0x58
	s_mul_i32 s8, s37, s34
	v_mov_b32_e32 v65, 0
	s_add_i32 s8, s8, s15
	s_delay_alu instid0(SALU_CYCLE_1) | instskip(NEXT) | instid1(SALU_CYCLE_1)
	s_mul_i32 s8, s8, s36
	s_add_i32 s8, s8, s14
	s_delay_alu instid0(SALU_CYCLE_1) | instskip(NEXT) | instid1(SALU_CYCLE_1)
	s_ashr_i32 s9, s8, 31
	s_lshl_b64 s[8:9], s[8:9], 2
	s_waitcnt lgkmcnt(0)
	s_add_u32 s6, s6, s8
	s_addc_u32 s7, s7, s9
	s_add_u32 s4, s4, s8
	s_addc_u32 s5, s5, s9
	s_clause 0x1
	global_store_b32 v65, v67, s[6:7]
	global_store_b32 v65, v68, s[4:5]
.LBB1542_77:
	s_or_b32 exec_lo, exec_lo, s3
	s_waitcnt lgkmcnt(0)
	s_waitcnt_vscnt null, 0x0
	s_barrier
	buffer_gl0_inv
	ds_load_b128 v[82:85], v79
	ds_load_b128 v[86:89], v79 offset:16
	ds_load_b128 v[94:97], v79 offset:2064
	;; [unrolled: 1-line block ×3, first 2 shown]
	v_mov_b32_e32 v65, 0
	ds_load_b128 v[102:105], v79 offset:4112
	ds_load_b128 v[98:101], v79 offset:4096
	;; [unrolled: 1-line block ×4, first 2 shown]
	v_mov_b32_e32 v66, v65
	v_mov_b32_e32 v67, v65
	;; [unrolled: 1-line block ×7, first 2 shown]
	s_waitcnt lgkmcnt(6)
	s_delay_alu instid0(VALU_DEP_1)
	v_wmma_f32_16x16x16_bf16 v[65:72], v[49:56], v[82:89], v[65:72]
	ds_load_b128 v[53:56], v79 offset:8208
	ds_load_b128 v[49:52], v79 offset:8192
	s_waitcnt lgkmcnt(6)
	v_wmma_f32_16x16x16_bf16 v[65:72], v[41:48], v[90:97], v[65:72]
	ds_load_b128 v[45:48], v79 offset:10256
	ds_load_b128 v[41:44], v79 offset:10240
	s_waitcnt lgkmcnt(6)
	;; [unrolled: 4-line block ×4, first 2 shown]
	v_wmma_f32_16x16x16_bf16 v[65:72], v[1:8], v[49:56], v[65:72]
	s_waitcnt lgkmcnt(4)
	s_delay_alu instid0(VALU_DEP_1) | instskip(SKIP_1) | instid1(VALU_DEP_1)
	v_wmma_f32_16x16x16_bf16 v[65:72], v[9:16], v[41:48], v[65:72]
	s_waitcnt lgkmcnt(2)
	v_wmma_f32_16x16x16_bf16 v[65:72], v[17:24], v[33:40], v[65:72]
	s_waitcnt lgkmcnt(0)
	s_delay_alu instid0(VALU_DEP_1) | instskip(NEXT) | instid1(VALU_DEP_1)
	v_wmma_f32_16x16x16_bf16 v[65:72], v[57:64], v[25:32], v[65:72]
	v_and_b32_e32 v1, 0x7f800000, v65
	s_delay_alu instid0(VALU_DEP_1) | instskip(SKIP_1) | instid1(SALU_CYCLE_1)
	v_cmp_ne_u32_e32 vcc_lo, 0x7f800000, v1
                                        ; implicit-def: $vgpr1
	s_and_saveexec_b32 s3, vcc_lo
	s_xor_b32 s3, exec_lo, s3
; %bb.78:
	v_bfe_u32 v1, v65, 16, 1
	s_delay_alu instid0(VALU_DEP_1)
	v_add3_u32 v1, v65, v1, 0x7fff
; %bb.79:
	s_and_not1_saveexec_b32 s3, s3
; %bb.80:
	v_and_b32_e32 v1, 0xffff, v65
	v_or_b32_e32 v2, 0x10000, v65
	s_delay_alu instid0(VALU_DEP_2) | instskip(NEXT) | instid1(VALU_DEP_2)
	v_cmp_eq_u32_e32 vcc_lo, 0, v1
	v_cndmask_b32_e32 v1, v2, v65, vcc_lo
; %bb.81:
	s_or_b32 exec_lo, exec_lo, s3
	v_and_b32_e32 v2, 0x7f800000, v66
	s_delay_alu instid0(VALU_DEP_1) | instskip(SKIP_1) | instid1(SALU_CYCLE_1)
	v_cmp_ne_u32_e32 vcc_lo, 0x7f800000, v2
                                        ; implicit-def: $vgpr2
	s_and_saveexec_b32 s3, vcc_lo
	s_xor_b32 s3, exec_lo, s3
; %bb.82:
	v_bfe_u32 v2, v66, 16, 1
	s_delay_alu instid0(VALU_DEP_1)
	v_add3_u32 v2, v66, v2, 0x7fff
; %bb.83:
	s_and_not1_saveexec_b32 s3, s3
; %bb.84:
	v_and_b32_e32 v2, 0xffff, v66
	v_or_b32_e32 v3, 0x10000, v66
	s_delay_alu instid0(VALU_DEP_2) | instskip(NEXT) | instid1(VALU_DEP_2)
	v_cmp_eq_u32_e32 vcc_lo, 0, v2
	v_cndmask_b32_e32 v2, v3, v66, vcc_lo
; %bb.85:
	s_or_b32 exec_lo, exec_lo, s3
	v_and_b32_e32 v3, 0x7f800000, v67
	s_delay_alu instid0(VALU_DEP_1) | instskip(SKIP_1) | instid1(SALU_CYCLE_1)
	v_cmp_ne_u32_e32 vcc_lo, 0x7f800000, v3
                                        ; implicit-def: $vgpr3
	s_and_saveexec_b32 s3, vcc_lo
	s_xor_b32 s3, exec_lo, s3
; %bb.86:
	v_bfe_u32 v3, v67, 16, 1
	s_delay_alu instid0(VALU_DEP_1)
	v_add3_u32 v3, v67, v3, 0x7fff
; %bb.87:
	s_and_not1_saveexec_b32 s3, s3
; %bb.88:
	v_and_b32_e32 v3, 0xffff, v67
	v_or_b32_e32 v4, 0x10000, v67
	s_delay_alu instid0(VALU_DEP_2) | instskip(NEXT) | instid1(VALU_DEP_2)
	v_cmp_eq_u32_e32 vcc_lo, 0, v3
	v_cndmask_b32_e32 v3, v4, v67, vcc_lo
; %bb.89:
	s_or_b32 exec_lo, exec_lo, s3
	v_and_b32_e32 v4, 0x7f800000, v68
	s_delay_alu instid0(VALU_DEP_1) | instskip(SKIP_1) | instid1(SALU_CYCLE_1)
	v_cmp_ne_u32_e32 vcc_lo, 0x7f800000, v4
                                        ; implicit-def: $vgpr4
	s_and_saveexec_b32 s3, vcc_lo
	s_xor_b32 s3, exec_lo, s3
; %bb.90:
	v_bfe_u32 v4, v68, 16, 1
	s_delay_alu instid0(VALU_DEP_1)
	v_add3_u32 v4, v68, v4, 0x7fff
; %bb.91:
	s_and_not1_saveexec_b32 s3, s3
; %bb.92:
	v_and_b32_e32 v4, 0xffff, v68
	v_or_b32_e32 v5, 0x10000, v68
	s_delay_alu instid0(VALU_DEP_2) | instskip(NEXT) | instid1(VALU_DEP_2)
	v_cmp_eq_u32_e32 vcc_lo, 0, v4
	v_cndmask_b32_e32 v4, v5, v68, vcc_lo
; %bb.93:
	s_or_b32 exec_lo, exec_lo, s3
	v_and_b32_e32 v5, 0x7f800000, v69
	s_delay_alu instid0(VALU_DEP_1) | instskip(SKIP_1) | instid1(SALU_CYCLE_1)
	v_cmp_ne_u32_e32 vcc_lo, 0x7f800000, v5
                                        ; implicit-def: $vgpr5
	s_and_saveexec_b32 s3, vcc_lo
	s_xor_b32 s3, exec_lo, s3
; %bb.94:
	v_bfe_u32 v5, v69, 16, 1
	s_delay_alu instid0(VALU_DEP_1)
	v_add3_u32 v5, v69, v5, 0x7fff
; %bb.95:
	s_and_not1_saveexec_b32 s3, s3
; %bb.96:
	v_and_b32_e32 v5, 0xffff, v69
	v_or_b32_e32 v6, 0x10000, v69
	s_delay_alu instid0(VALU_DEP_2) | instskip(NEXT) | instid1(VALU_DEP_2)
	v_cmp_eq_u32_e32 vcc_lo, 0, v5
	v_cndmask_b32_e32 v5, v6, v69, vcc_lo
; %bb.97:
	s_or_b32 exec_lo, exec_lo, s3
	v_and_b32_e32 v6, 0x7f800000, v70
	s_delay_alu instid0(VALU_DEP_1) | instskip(SKIP_1) | instid1(SALU_CYCLE_1)
	v_cmp_ne_u32_e32 vcc_lo, 0x7f800000, v6
                                        ; implicit-def: $vgpr6
	s_and_saveexec_b32 s3, vcc_lo
	s_xor_b32 s3, exec_lo, s3
; %bb.98:
	v_bfe_u32 v6, v70, 16, 1
	s_delay_alu instid0(VALU_DEP_1)
	v_add3_u32 v6, v70, v6, 0x7fff
; %bb.99:
	s_and_not1_saveexec_b32 s3, s3
; %bb.100:
	v_and_b32_e32 v6, 0xffff, v70
	v_or_b32_e32 v7, 0x10000, v70
	s_delay_alu instid0(VALU_DEP_2) | instskip(NEXT) | instid1(VALU_DEP_2)
	v_cmp_eq_u32_e32 vcc_lo, 0, v6
	v_cndmask_b32_e32 v6, v7, v70, vcc_lo
; %bb.101:
	s_or_b32 exec_lo, exec_lo, s3
	v_and_b32_e32 v7, 0x7f800000, v71
	s_delay_alu instid0(VALU_DEP_1) | instskip(SKIP_1) | instid1(SALU_CYCLE_1)
	v_cmp_ne_u32_e32 vcc_lo, 0x7f800000, v7
                                        ; implicit-def: $vgpr7
	s_and_saveexec_b32 s3, vcc_lo
	s_xor_b32 s3, exec_lo, s3
; %bb.102:
	v_bfe_u32 v7, v71, 16, 1
	s_delay_alu instid0(VALU_DEP_1)
	v_add3_u32 v7, v71, v7, 0x7fff
; %bb.103:
	s_and_not1_saveexec_b32 s3, s3
; %bb.104:
	v_and_b32_e32 v7, 0xffff, v71
	v_or_b32_e32 v8, 0x10000, v71
	s_delay_alu instid0(VALU_DEP_2) | instskip(NEXT) | instid1(VALU_DEP_2)
	v_cmp_eq_u32_e32 vcc_lo, 0, v7
	v_cndmask_b32_e32 v7, v8, v71, vcc_lo
; %bb.105:
	s_or_b32 exec_lo, exec_lo, s3
	v_and_b32_e32 v8, 0x7f800000, v72
	s_delay_alu instid0(VALU_DEP_1) | instskip(SKIP_1) | instid1(SALU_CYCLE_1)
	v_cmp_ne_u32_e32 vcc_lo, 0x7f800000, v8
                                        ; implicit-def: $vgpr8
	s_and_saveexec_b32 s3, vcc_lo
	s_xor_b32 s3, exec_lo, s3
; %bb.106:
	v_bfe_u32 v8, v72, 16, 1
	s_delay_alu instid0(VALU_DEP_1)
	v_add3_u32 v8, v72, v8, 0x7fff
                                        ; implicit-def: $vgpr65_vgpr66_vgpr67_vgpr68_vgpr69_vgpr70_vgpr71_vgpr72
; %bb.107:
	s_and_not1_saveexec_b32 s3, s3
; %bb.108:
	v_and_b32_e32 v8, 0xffff, v72
	v_or_b32_e32 v9, 0x10000, v72
	s_delay_alu instid0(VALU_DEP_2) | instskip(NEXT) | instid1(VALU_DEP_2)
	v_cmp_eq_u32_e32 vcc_lo, 0, v8
	v_cndmask_b32_e32 v8, v9, v72, vcc_lo
; %bb.109:
	s_or_b32 exec_lo, exec_lo, s3
	s_delay_alu instid0(VALU_DEP_1)
	v_perm_b32 v7, v8, v7, 0x7060302
	v_perm_b32 v6, v6, v5, 0x7060302
	v_perm_b32 v5, v4, v3, 0x7060302
	v_perm_b32 v4, v2, v1, 0x7060302
	s_barrier
	buffer_gl0_inv
	v_cmp_eq_u32_e32 vcc_lo, 1, v77
	ds_store_b128 v75, v[4:7]
	s_waitcnt lgkmcnt(0)
	s_barrier
	buffer_gl0_inv
	ds_load_b128 v[1:4], v81
	ds_load_b128 v[5:8], v81 offset:16
	v_cmp_eq_u32_e64 s3, 1, v78
	v_cmp_eq_u32_e64 s4, 2, v77
	;; [unrolled: 1-line block ×5, first 2 shown]
	s_xor_b32 s2, s2, -1
	s_waitcnt lgkmcnt(1)
	v_lshrrev_b32_e32 v9, 16, v1
	s_waitcnt lgkmcnt(0)
	v_lshrrev_b32_e32 v13, 16, v5
	v_lshrrev_b32_e32 v10, 16, v2
	;; [unrolled: 1-line block ×4, first 2 shown]
	v_cndmask_b32_e64 v19, v1, v9, s3
	v_cndmask_b32_e32 v18, v5, v13, vcc_lo
	v_cndmask_b32_e64 v20, v5, v13, s3
	v_cndmask_b32_e32 v17, v1, v9, vcc_lo
	v_cmp_eq_u32_e32 vcc_lo, 2, v78
	v_lshrrev_b32_e32 v15, 16, v7
	v_cmp_eq_u32_e64 s3, 1, v76
	v_lshrrev_b32_e32 v12, 16, v4
	v_lshrrev_b32_e32 v16, 16, v8
	v_cndmask_b32_e32 v20, v20, v6, vcc_lo
	v_cndmask_b32_e64 v17, v17, v2, s4
	v_cndmask_b32_e32 v19, v19, v2, vcc_lo
	v_cndmask_b32_e64 v18, v18, v6, s4
	v_cmp_eq_u32_e32 vcc_lo, 4, v77
	v_cmp_eq_u32_e64 s4, 3, v78
	v_cndmask_b32_e64 v17, v17, v10, s5
	v_cndmask_b32_e64 v21, v1, v9, s3
	;; [unrolled: 1-line block ×5, first 2 shown]
	v_cndmask_b32_e32 v17, v17, v3, vcc_lo
	v_cndmask_b32_e64 v20, v20, v14, s4
	v_cndmask_b32_e32 v18, v18, v7, vcc_lo
	v_cmp_eq_u32_e32 vcc_lo, 4, v78
	v_cmp_eq_u32_e64 s4, 5, v78
	v_cmp_eq_u32_e64 s3, 2, v80
	v_cndmask_b32_e64 v21, v21, v2, s7
	v_cmp_eq_u32_e64 s5, 5, v77
	v_cndmask_b32_e32 v19, v19, v3, vcc_lo
	v_cndmask_b32_e32 v20, v20, v7, vcc_lo
	v_cmp_eq_u32_e32 vcc_lo, 6, v78
	s_delay_alu instid0(VALU_DEP_4) | instskip(NEXT) | instid1(VALU_DEP_4)
	v_cndmask_b32_e64 v17, v17, v11, s5
	v_cndmask_b32_e64 v19, v19, v11, s4
	s_delay_alu instid0(VALU_DEP_4) | instskip(SKIP_1) | instid1(VALU_DEP_3)
	v_cndmask_b32_e64 v20, v20, v15, s4
	v_cmp_eq_u32_e64 s4, 1, v80
	v_cndmask_b32_e32 v19, v19, v4, vcc_lo
	v_cndmask_b32_e64 v18, v18, v15, s5
	s_delay_alu instid0(VALU_DEP_3)
	v_cndmask_b32_e64 v1, v1, v9, s4
	v_cndmask_b32_e64 v5, v5, v13, s4
	v_cmp_eq_u32_e64 s4, 3, v76
	v_cndmask_b32_e64 v13, v22, v6, s7
	v_cmp_eq_u32_e64 s7, 3, v80
	v_cndmask_b32_e64 v1, v1, v2, s3
	v_cndmask_b32_e64 v2, v5, v6, s3
	v_cndmask_b32_e64 v9, v21, v10, s4
	v_cmp_eq_u32_e64 s3, 4, v76
	v_cndmask_b32_e64 v6, v13, v14, s4
	v_cndmask_b32_e64 v1, v1, v10, s7
	v_cmp_eq_u32_e64 s4, 4, v80
	v_cndmask_b32_e64 v2, v2, v14, s7
	v_cndmask_b32_e64 v5, v9, v3, s3
	;; [unrolled: 3-line block ×3, first 2 shown]
	v_cndmask_b32_e64 v2, v2, v7, s4
	v_cmp_eq_u32_e64 s3, 5, v80
	v_cmp_eq_u32_e64 s5, 6, v77
	v_cndmask_b32_e64 v5, v5, v11, s7
	v_cmp_eq_u32_e64 s4, 6, v76
	v_cndmask_b32_e64 v3, v6, v15, s7
	v_cndmask_b32_e64 v1, v1, v11, s3
	v_cmp_eq_u32_e64 s7, 6, v80
	v_cndmask_b32_e64 v2, v2, v15, s3
	v_cndmask_b32_e64 v17, v17, v4, s5
	v_cndmask_b32_e64 v18, v18, v8, s5
	v_cmp_eq_u32_e64 s5, 7, v77
	v_cndmask_b32_e64 v5, v5, v4, s4
	;; [unrolled: 4-line block ×3, first 2 shown]
	v_cmp_eq_u32_e64 s4, 7, v76
	v_cndmask_b32_e32 v4, v20, v8, vcc_lo
	v_cndmask_b32_e64 v17, v17, v12, s5
	v_cndmask_b32_e64 v19, v19, v12, s6
	;; [unrolled: 1-line block ×8, first 2 shown]
	v_cmp_gt_u32_e32 vcc_lo, 32, v0
	v_perm_b32 v4, v2, v1, 0x5040100
	v_perm_b32 v3, v3, v5, 0x5040100
	;; [unrolled: 1-line block ×4, first 2 shown]
	s_and_b32 s2, vcc_lo, s2
	ds_store_b128 v75, v[1:4]
	s_waitcnt lgkmcnt(0)
	s_barrier
	buffer_gl0_inv
	s_and_saveexec_b32 s3, s2
	s_cbranch_execz .LBB1542_2
; %bb.110:
	s_load_b64 s[0:1], s[0:1], 0x68
	v_lshlrev_b32_e32 v1, 10, v0
	v_and_b32_e32 v0, 1, v0
	v_lshlrev_b32_e32 v2, 6, v74
	s_lshl_b32 s4, s36, 7
	s_delay_alu instid0(VALU_DEP_3) | instskip(NEXT) | instid1(VALU_DEP_3)
	v_and_b32_e32 v1, 0x3800, v1
	v_lshlrev_b32_e32 v0, 4, v0
	s_mul_i32 s2, s4, s34
	s_delay_alu instid0(SALU_CYCLE_1) | instskip(NEXT) | instid1(VALU_DEP_1)
	s_mul_i32 s2, s2, s37
	v_or3_b32 v0, v1, v2, v0
	s_ashr_i32 s3, s2, 31
	s_delay_alu instid0(SALU_CYCLE_1)
	s_lshl_b64 s[2:3], s[2:3], 1
	ds_load_b128 v[0:3], v0
	s_waitcnt lgkmcnt(0)
	s_add_u32 s5, s0, s2
	s_addc_u32 s3, s1, s3
	s_lshl_b32 s0, s14, 7
	s_mul_i32 s2, s4, s15
	s_ashr_i32 s1, s0, 31
	s_delay_alu instid0(SALU_CYCLE_1) | instskip(NEXT) | instid1(SALU_CYCLE_1)
	s_lshl_b64 s[0:1], s[0:1], 1
	s_add_u32 s4, s5, s0
	s_addc_u32 s5, s3, s1
	s_ashr_i32 s3, s2, 31
	s_delay_alu instid0(SALU_CYCLE_1) | instskip(NEXT) | instid1(SALU_CYCLE_1)
	s_lshl_b64 s[0:1], s[2:3], 1
	s_add_u32 s0, s4, s0
	s_addc_u32 s1, s5, s1
	global_store_b128 v73, v[0:3], s[0:1]
	s_nop 0
	s_sendmsg sendmsg(MSG_DEALLOC_VGPRS)
	s_endpgm
	.section	.rodata,"a",@progbits
	.p2align	6, 0x0
	.amdhsa_kernel _Z39paged_attention_ll4mi_QKV_mfma16_kernelI14__hip_bfloat16hLN4vllm18Fp8KVCacheDataTypeE1EhLi16ELi128ELi256ELb0ELi1EL8MFMAType1EEvPKT_PKT0_S9_ifPKiSB_SB_iPKfiiiPfSE_PS4_PT2_iSD_SD_
		.amdhsa_group_segment_fixed_size 17472
		.amdhsa_private_segment_fixed_size 0
		.amdhsa_kernarg_size 400
		.amdhsa_user_sgpr_count 13
		.amdhsa_user_sgpr_dispatch_ptr 0
		.amdhsa_user_sgpr_queue_ptr 0
		.amdhsa_user_sgpr_kernarg_segment_ptr 1
		.amdhsa_user_sgpr_dispatch_id 0
		.amdhsa_user_sgpr_private_segment_size 0
		.amdhsa_wavefront_size32 1
		.amdhsa_uses_dynamic_stack 0
		.amdhsa_enable_private_segment 0
		.amdhsa_system_sgpr_workgroup_id_x 1
		.amdhsa_system_sgpr_workgroup_id_y 1
		.amdhsa_system_sgpr_workgroup_id_z 1
		.amdhsa_system_sgpr_workgroup_info 0
		.amdhsa_system_vgpr_workitem_id 0
		.amdhsa_next_free_vgpr 138
		.amdhsa_next_free_sgpr 66
		.amdhsa_reserve_vcc 1
		.amdhsa_float_round_mode_32 0
		.amdhsa_float_round_mode_16_64 0
		.amdhsa_float_denorm_mode_32 3
		.amdhsa_float_denorm_mode_16_64 3
		.amdhsa_dx10_clamp 1
		.amdhsa_ieee_mode 1
		.amdhsa_fp16_overflow 0
		.amdhsa_workgroup_processor_mode 1
		.amdhsa_memory_ordered 1
		.amdhsa_forward_progress 0
		.amdhsa_shared_vgpr_count 0
		.amdhsa_exception_fp_ieee_invalid_op 0
		.amdhsa_exception_fp_denorm_src 0
		.amdhsa_exception_fp_ieee_div_zero 0
		.amdhsa_exception_fp_ieee_overflow 0
		.amdhsa_exception_fp_ieee_underflow 0
		.amdhsa_exception_fp_ieee_inexact 0
		.amdhsa_exception_int_div_zero 0
	.end_amdhsa_kernel
	.section	.text._Z39paged_attention_ll4mi_QKV_mfma16_kernelI14__hip_bfloat16hLN4vllm18Fp8KVCacheDataTypeE1EhLi16ELi128ELi256ELb0ELi1EL8MFMAType1EEvPKT_PKT0_S9_ifPKiSB_SB_iPKfiiiPfSE_PS4_PT2_iSD_SD_,"axG",@progbits,_Z39paged_attention_ll4mi_QKV_mfma16_kernelI14__hip_bfloat16hLN4vllm18Fp8KVCacheDataTypeE1EhLi16ELi128ELi256ELb0ELi1EL8MFMAType1EEvPKT_PKT0_S9_ifPKiSB_SB_iPKfiiiPfSE_PS4_PT2_iSD_SD_,comdat
.Lfunc_end1542:
	.size	_Z39paged_attention_ll4mi_QKV_mfma16_kernelI14__hip_bfloat16hLN4vllm18Fp8KVCacheDataTypeE1EhLi16ELi128ELi256ELb0ELi1EL8MFMAType1EEvPKT_PKT0_S9_ifPKiSB_SB_iPKfiiiPfSE_PS4_PT2_iSD_SD_, .Lfunc_end1542-_Z39paged_attention_ll4mi_QKV_mfma16_kernelI14__hip_bfloat16hLN4vllm18Fp8KVCacheDataTypeE1EhLi16ELi128ELi256ELb0ELi1EL8MFMAType1EEvPKT_PKT0_S9_ifPKiSB_SB_iPKfiiiPfSE_PS4_PT2_iSD_SD_
                                        ; -- End function
	.section	.AMDGPU.csdata,"",@progbits
; Kernel info:
; codeLenInByte = 8640
; NumSgprs: 68
; NumVgprs: 138
; ScratchSize: 0
; MemoryBound: 1
; FloatMode: 240
; IeeeMode: 1
; LDSByteSize: 17472 bytes/workgroup (compile time only)
; SGPRBlocks: 8
; VGPRBlocks: 17
; NumSGPRsForWavesPerEU: 68
; NumVGPRsForWavesPerEU: 138
; Occupancy: 10
; WaveLimiterHint : 1
; COMPUTE_PGM_RSRC2:SCRATCH_EN: 0
; COMPUTE_PGM_RSRC2:USER_SGPR: 13
; COMPUTE_PGM_RSRC2:TRAP_HANDLER: 0
; COMPUTE_PGM_RSRC2:TGID_X_EN: 1
; COMPUTE_PGM_RSRC2:TGID_Y_EN: 1
; COMPUTE_PGM_RSRC2:TGID_Z_EN: 1
; COMPUTE_PGM_RSRC2:TIDIG_COMP_CNT: 0
	.section	.text._Z39paged_attention_ll4mi_QKV_mfma16_kernelI14__hip_bfloat16hLN4vllm18Fp8KVCacheDataTypeE1EhLi16ELi128ELi256ELb0ELi2EL8MFMAType1EEvPKT_PKT0_S9_ifPKiSB_SB_iPKfiiiPfSE_PS4_PT2_iSD_SD_,"axG",@progbits,_Z39paged_attention_ll4mi_QKV_mfma16_kernelI14__hip_bfloat16hLN4vllm18Fp8KVCacheDataTypeE1EhLi16ELi128ELi256ELb0ELi2EL8MFMAType1EEvPKT_PKT0_S9_ifPKiSB_SB_iPKfiiiPfSE_PS4_PT2_iSD_SD_,comdat
	.protected	_Z39paged_attention_ll4mi_QKV_mfma16_kernelI14__hip_bfloat16hLN4vllm18Fp8KVCacheDataTypeE1EhLi16ELi128ELi256ELb0ELi2EL8MFMAType1EEvPKT_PKT0_S9_ifPKiSB_SB_iPKfiiiPfSE_PS4_PT2_iSD_SD_ ; -- Begin function _Z39paged_attention_ll4mi_QKV_mfma16_kernelI14__hip_bfloat16hLN4vllm18Fp8KVCacheDataTypeE1EhLi16ELi128ELi256ELb0ELi2EL8MFMAType1EEvPKT_PKT0_S9_ifPKiSB_SB_iPKfiiiPfSE_PS4_PT2_iSD_SD_
	.globl	_Z39paged_attention_ll4mi_QKV_mfma16_kernelI14__hip_bfloat16hLN4vllm18Fp8KVCacheDataTypeE1EhLi16ELi128ELi256ELb0ELi2EL8MFMAType1EEvPKT_PKT0_S9_ifPKiSB_SB_iPKfiiiPfSE_PS4_PT2_iSD_SD_
	.p2align	8
	.type	_Z39paged_attention_ll4mi_QKV_mfma16_kernelI14__hip_bfloat16hLN4vllm18Fp8KVCacheDataTypeE1EhLi16ELi128ELi256ELb0ELi2EL8MFMAType1EEvPKT_PKT0_S9_ifPKiSB_SB_iPKfiiiPfSE_PS4_PT2_iSD_SD_,@function
_Z39paged_attention_ll4mi_QKV_mfma16_kernelI14__hip_bfloat16hLN4vllm18Fp8KVCacheDataTypeE1EhLi16ELi128ELi256ELb0ELi2EL8MFMAType1EEvPKT_PKT0_S9_ifPKiSB_SB_iPKfiiiPfSE_PS4_PT2_iSD_SD_: ; @_Z39paged_attention_ll4mi_QKV_mfma16_kernelI14__hip_bfloat16hLN4vllm18Fp8KVCacheDataTypeE1EhLi16ELi128ELi256ELb0ELi2EL8MFMAType1EEvPKT_PKT0_S9_ifPKiSB_SB_iPKfiiiPfSE_PS4_PT2_iSD_SD_
; %bb.0:
	s_load_b64 s[2:3], s[0:1], 0x30
	s_mov_b32 s30, s13
	s_waitcnt lgkmcnt(0)
	s_cmp_lg_u64 s[2:3], 0
	s_cselect_b32 s6, -1, 0
	s_ashr_i32 s31, s13, 31
	s_cmp_eq_u64 s[2:3], 0
	s_cbranch_scc1 .LBB1543_3
; %bb.1:
	s_lshl_b64 s[4:5], s[30:31], 2
	s_delay_alu instid0(SALU_CYCLE_1) | instskip(SKIP_4) | instid1(SALU_CYCLE_1)
	s_add_u32 s4, s2, s4
	s_addc_u32 s5, s3, s5
	s_load_b64 s[4:5], s[4:5], 0x0
	s_waitcnt lgkmcnt(0)
	s_sub_i32 s4, s5, s4
	s_cmp_eq_u32 s4, 1
	s_cselect_b32 s4, -1, 0
	s_delay_alu instid0(SALU_CYCLE_1)
	s_and_not1_b32 vcc_lo, exec_lo, s4
	s_cbranch_vccz .LBB1543_4
.LBB1543_2:
	s_endpgm
.LBB1543_3:
.LBB1543_4:
	s_load_b64 s[8:9], s[0:1], 0x28
	s_lshl_b64 s[4:5], s[30:31], 2
	s_waitcnt lgkmcnt(0)
	s_add_u32 s8, s8, s4
	s_addc_u32 s9, s9, s5
	s_lshl_b32 s16, s14, 8
	s_load_b32 s18, s[8:9], 0x0
	s_waitcnt lgkmcnt(0)
	s_cmp_ge_i32 s16, s18
	s_cbranch_scc1 .LBB1543_2
; %bb.5:
	s_clause 0x1
	s_load_b128 s[8:11], s[0:1], 0x8
	s_load_b64 s[12:13], s[0:1], 0x20
	s_and_not1_b32 vcc_lo, exec_lo, s6
	s_cbranch_vccnz .LBB1543_7
; %bb.6:
	s_add_u32 s2, s2, s4
	s_addc_u32 s3, s3, s5
	s_load_b32 s3, s[2:3], 0x0
	s_branch .LBB1543_8
.LBB1543_7:
	s_mov_b32 s3, s30
.LBB1543_8:
	s_load_b128 s[4:7], s[0:1], 0x48
	v_and_b32_e32 v66, 15, v0
	v_bfe_u32 v65, v0, 4, 1
	s_lshl_b32 s31, s15, 1
	v_and_b32_e32 v67, 31, v0
	v_and_b32_e32 v76, 1, v0
	v_lshlrev_b32_e32 v1, 3, v66
	v_cmp_gt_u32_e64 s2, 32, v0
	v_or_b32_e32 v75, s31, v65
	v_lshlrev_b32_e32 v74, 6, v65
	s_delay_alu instid0(VALU_DEP_4)
	v_lshlrev_b32_e32 v73, 1, v1
	s_waitcnt lgkmcnt(0)
	s_and_saveexec_b32 s7, s2
	s_cbranch_execz .LBB1543_10
; %bb.9:
	s_load_b64 s[20:21], s[0:1], 0x0
	v_lshlrev_b32_e32 v1, 7, v75
	s_mul_hi_i32 s23, s3, s4
	s_mul_i32 s22, s3, s4
	v_lshlrev_b32_e32 v5, 10, v66
	s_lshl_b64 s[22:23], s[22:23], 1
	v_ashrrev_i32_e32 v2, 31, v1
	v_lshlrev_b32_e32 v6, 10, v76
	s_delay_alu instid0(VALU_DEP_3) | instskip(NEXT) | instid1(VALU_DEP_3)
	v_and_b32_e32 v5, 0x3800, v5
	v_lshlrev_b64 v[1:2], 1, v[1:2]
	s_delay_alu instid0(VALU_DEP_2) | instskip(SKIP_3) | instid1(VALU_DEP_2)
	v_or3_b32 v5, v5, v6, v74
	s_waitcnt lgkmcnt(0)
	s_add_u32 s3, s20, s22
	s_addc_u32 s4, s21, s23
	v_add_co_u32 v1, vcc_lo, s3, v1
	v_add_co_ci_u32_e32 v2, vcc_lo, s4, v2, vcc_lo
	s_delay_alu instid0(VALU_DEP_2) | instskip(NEXT) | instid1(VALU_DEP_2)
	v_add_co_u32 v1, vcc_lo, v1, v73
	v_add_co_ci_u32_e32 v2, vcc_lo, 0, v2, vcc_lo
	global_load_b128 v[1:4], v[1:2], off
	s_waitcnt vmcnt(0)
	ds_store_b128 v5, v[1:4]
.LBB1543_10:
	s_or_b32 exec_lo, exec_lo, s7
	v_and_b32_e32 v1, 0xef, v0
	s_add_i32 s3, s18, 15
	s_clause 0x1
	s_load_b32 s4, s[0:1], 0x38
	s_load_b32 s19, s[0:1], 0x1c
	s_ashr_i32 s7, s3, 31
	v_add_nc_u32_e32 v1, s16, v1
	s_lshr_b32 s7, s7, 28
	s_waitcnt lgkmcnt(0)
	s_add_i32 s3, s3, s7
	s_barrier
	v_ashrrev_i32_e32 v2, 31, v1
	v_or_b32_e32 v3, 16, v1
	s_ashr_i32 s3, s3, 4
	v_cmp_gt_i32_e32 vcc_lo, s18, v1
	s_add_i32 s3, s3, -1
	v_lshrrev_b32_e32 v2, 28, v2
	buffer_gl0_inv
	s_mul_i32 s15, s15, s6
	v_lshrrev_b32_e32 v68, 5, v0
	v_lshlrev_b32_e32 v33, 4, v66
	v_add_nc_u32_e32 v4, v1, v2
	v_lshlrev_b32_e32 v137, 6, v76
	s_mul_i32 s20, s30, s4
	s_delay_alu instid0(SALU_CYCLE_1) | instskip(NEXT) | instid1(VALU_DEP_2)
	s_ashr_i32 s21, s20, 31
	v_ashrrev_i32_e32 v4, 4, v4
	v_add_nc_u32_e32 v2, v3, v2
	s_lshl_b64 s[20:21], s[20:21], 2
	v_lshl_or_b32 v33, v68, 8, v33
	s_add_u32 s4, s12, s20
	v_cndmask_b32_e32 v1, s3, v4, vcc_lo
	v_ashrrev_i32_e32 v2, 4, v2
	v_cmp_gt_i32_e32 vcc_lo, s18, v3
	s_addc_u32 s7, s13, s21
	s_ashr_i32 s6, s15, 31
	s_add_u32 s17, s8, s15
	s_addc_u32 s28, s9, s6
	v_cndmask_b32_e32 v3, s3, v2, vcc_lo
	v_ashrrev_i32_e32 v2, 31, v1
	s_lshl_b32 s8, s14, 4
	s_delay_alu instid0(SALU_CYCLE_1) | instskip(NEXT) | instid1(VALU_DEP_2)
	s_ashr_i32 s9, s8, 31
	v_ashrrev_i32_e32 v4, 31, v3
	s_delay_alu instid0(VALU_DEP_2) | instskip(SKIP_1) | instid1(SALU_CYCLE_1)
	v_lshlrev_b64 v[1:2], 2, v[1:2]
	s_lshl_b64 s[8:9], s[8:9], 2
	s_add_u32 s8, s4, s8
	s_delay_alu instid0(VALU_DEP_2) | instskip(SKIP_1) | instid1(VALU_DEP_2)
	v_lshlrev_b64 v[3:4], 2, v[3:4]
	s_addc_u32 s9, s7, s9
	v_add_co_u32 v1, vcc_lo, s4, v1
	v_add_co_ci_u32_e32 v2, vcc_lo, s7, v2, vcc_lo
	s_delay_alu instid0(VALU_DEP_3) | instskip(NEXT) | instid1(VALU_DEP_4)
	v_add_co_u32 v3, vcc_lo, s4, v3
	v_add_co_ci_u32_e32 v4, vcc_lo, s7, v4, vcc_lo
	s_clause 0x1
	global_load_b32 v5, v[1:2], off
	global_load_b32 v3, v[3:4], off
	s_or_b32 s12, s16, 32
	v_lshlrev_b32_e32 v1, 4, v0
	s_ashr_i32 s13, s12, 4
	s_cmp_lt_i32 s12, s18
	s_cselect_b32 s12, s13, s3
	s_delay_alu instid0(VALU_DEP_1) | instskip(SKIP_1) | instid1(SALU_CYCLE_1)
	v_and_b32_e32 v1, 0xf0, v1
	s_ashr_i32 s13, s12, 31
	s_lshl_b64 s[12:13], s[12:13], 2
	s_delay_alu instid0(SALU_CYCLE_1)
	s_add_u32 s12, s4, s12
	s_addc_u32 s13, s7, s13
	s_or_b32 s20, s16, 64
	v_add_co_u32 v1, s17, s17, v1
	s_ashr_i32 s21, s20, 4
	s_cmp_lt_i32 s20, s18
	v_add_co_ci_u32_e64 v2, null, s28, 0, s17
	s_cselect_b32 s20, s21, s3
	s_delay_alu instid0(SALU_CYCLE_1) | instskip(NEXT) | instid1(SALU_CYCLE_1)
	s_ashr_i32 s21, s20, 31
	s_lshl_b64 s[20:21], s[20:21], 2
	s_delay_alu instid0(SALU_CYCLE_1) | instskip(SKIP_2) | instid1(SALU_CYCLE_1)
	s_add_u32 s20, s4, s20
	s_addc_u32 s21, s7, s21
	s_or_b32 s22, s16, 0x60
	s_ashr_i32 s23, s22, 4
	s_cmp_lt_i32 s22, s18
	s_cselect_b32 s22, s23, s3
	s_delay_alu instid0(SALU_CYCLE_1) | instskip(NEXT) | instid1(SALU_CYCLE_1)
	s_ashr_i32 s23, s22, 31
	s_lshl_b64 s[22:23], s[22:23], 2
	s_delay_alu instid0(SALU_CYCLE_1) | instskip(SKIP_2) | instid1(SALU_CYCLE_1)
	s_add_u32 s22, s4, s22
	s_addc_u32 s23, s7, s23
	s_or_b32 s24, s16, 0x80
	s_ashr_i32 s25, s24, 4
	s_cmp_lt_i32 s24, s18
	;; [unrolled: 10-line block ×3, first 2 shown]
	s_cselect_b32 s26, s27, s3
	s_delay_alu instid0(SALU_CYCLE_1) | instskip(NEXT) | instid1(SALU_CYCLE_1)
	s_ashr_i32 s27, s26, 31
	s_lshl_b64 s[26:27], s[26:27], 2
	s_delay_alu instid0(SALU_CYCLE_1)
	s_add_u32 s26, s4, s26
	s_addc_u32 s27, s7, s27
	s_clause 0x5
	s_load_b32 s17, s[8:9], 0x0
	s_load_b32 s28, s[12:13], 0x0
	;; [unrolled: 1-line block ×6, first 2 shown]
	s_or_b32 s8, s16, 0xc0
	s_mov_b32 s20, 0
	s_ashr_i32 s9, s8, 4
	s_cmp_lt_i32 s8, s18
	s_mov_b32 s27, s20
	s_cselect_b32 s8, s9, s3
	s_mov_b32 s21, s20
	s_ashr_i32 s9, s8, 31
	s_mov_b32 s22, s20
	s_lshl_b64 s[8:9], s[8:9], 2
	s_mov_b32 s23, s20
	s_add_u32 s8, s4, s8
	s_addc_u32 s9, s7, s9
	s_or_b32 s12, s16, 0xe0
	s_mov_b32 s24, s20
	s_ashr_i32 s13, s12, 4
	s_cmp_lt_i32 s12, s18
	s_mov_b32 s25, s20
	s_cselect_b32 s12, s13, s3
	s_mov_b32 s26, s20
	s_ashr_i32 s13, s12, 31
	v_mov_b32_e32 v108, s27
	v_mov_b32_e32 v102, s21
	s_lshl_b64 s[12:13], s[12:13], 2
	v_mov_b32_e32 v107, s26
	s_add_u32 s12, s4, s12
	s_addc_u32 s13, s7, s13
	s_add_u32 s3, s10, s15
	s_addc_u32 s4, s11, s6
	v_add_co_u32 v69, s3, s3, v33
	s_delay_alu instid0(VALU_DEP_1)
	v_add_co_ci_u32_e64 v70, null, s4, 0, s3
	v_dual_mov_b32 v106, s25 :: v_dual_mov_b32 v105, s24
	v_dual_mov_b32 v104, s23 :: v_dual_mov_b32 v103, s22
	v_mov_b32_e32 v101, s20
	s_waitcnt lgkmcnt(0)
	v_mad_i64_i32 v[33:34], null, s17, s5, v[69:70]
	v_mad_i64_i32 v[71:72], null, s29, s5, v[69:70]
	;; [unrolled: 1-line block ×5, first 2 shown]
	s_waitcnt vmcnt(1)
	v_mad_i64_i32 v[25:26], null, v5, s5, v[1:2]
	s_waitcnt vmcnt(0)
	v_mad_i64_i32 v[27:28], null, v3, s5, v[1:2]
	s_clause 0xf
	global_load_b128 v[1:4], v[25:26], off
	global_load_b128 v[5:8], v[25:26], off offset:256
	global_load_b128 v[9:12], v[27:28], off
	global_load_b128 v[13:16], v[27:28], off offset:256
	global_load_b128 v[17:20], v[25:26], off offset:512
	;; [unrolled: 1-line block ×13, first 2 shown]
	ds_load_b128 v[25:28], v137
	ds_load_b128 v[29:32], v137 offset:1024
	ds_load_b128 v[109:112], v137 offset:2048
	;; [unrolled: 1-line block ×5, first 2 shown]
	s_clause 0x1
	s_load_b32 s3, s[8:9], 0x0
	s_load_b32 s4, s[12:13], 0x0
	s_clause 0x3
	global_load_b128 v[41:44], v[33:34], off
	global_load_b128 v[45:48], v[33:34], off offset:16
	global_load_b128 v[33:36], v[37:38], off
	global_load_b128 v[37:40], v[37:38], off offset:16
	s_waitcnt vmcnt(18) lgkmcnt(0)
	v_wmma_f32_16x16x16_bf16 v[125:132], v[1:8], v[25:32], v[101:108]
	s_waitcnt vmcnt(16)
	v_wmma_f32_16x16x16_bf16 v[101:108], v[9:16], v[25:32], v[101:108]
	v_mad_i64_i32 v[13:14], null, s35, s5, v[69:70]
	s_waitcnt vmcnt(14)
	v_wmma_f32_16x16x16_bf16 v[125:132], v[17:24], v[109:116], v[125:132]
	s_clause 0x1
	global_load_b128 v[25:28], v[71:72], off
	global_load_b128 v[29:32], v[71:72], off offset:16
	s_waitcnt vmcnt(14)
	v_wmma_f32_16x16x16_bf16 v[101:108], v[49:56], v[109:116], v[101:108]
	v_mad_i64_i32 v[49:50], null, s3, s5, v[69:70]
	v_mad_i64_i32 v[53:54], null, s4, s5, v[69:70]
	s_clause 0x5
	global_load_b128 v[17:20], v[133:134], off
	global_load_b128 v[21:24], v[133:134], off offset:16
	global_load_b128 v[1:4], v[135:136], off
	global_load_b128 v[5:8], v[135:136], off offset:16
	;; [unrolled: 2-line block ×3, first 2 shown]
	s_waitcnt vmcnt(18)
	v_wmma_f32_16x16x16_bf16 v[125:132], v[57:64], v[117:124], v[125:132]
	s_clause 0x3
	global_load_b128 v[57:60], v[49:50], off
	global_load_b128 v[61:64], v[49:50], off offset:16
	global_load_b128 v[49:52], v[53:54], off
	global_load_b128 v[53:56], v[53:54], off offset:16
	v_mbcnt_lo_u32_b32 v70, -1, 0
	s_waitcnt vmcnt(20)
	v_wmma_f32_16x16x16_bf16 v[101:108], v[77:84], v[117:124], v[101:108]
	s_delay_alu instid0(VALU_DEP_2) | instskip(NEXT) | instid1(VALU_DEP_1)
	v_xor_b32_e32 v71, 16, v70
	v_cmp_gt_i32_e32 vcc_lo, 32, v71
	v_cndmask_b32_e32 v70, v70, v71, vcc_lo
	ds_load_b128 v[77:80], v137 offset:6144
	ds_load_b128 v[81:84], v137 offset:7168
	s_waitcnt vmcnt(0) lgkmcnt(0)
	s_barrier
	buffer_gl0_inv
	v_wmma_f32_16x16x16_bf16 v[101:108], v[93:100], v[77:84], v[101:108]
	v_and_b32_e32 v69, 0xe0, v0
	v_wmma_f32_16x16x16_bf16 v[125:132], v[85:92], v[77:84], v[125:132]
	s_delay_alu instid0(VALU_DEP_3) | instskip(NEXT) | instid1(VALU_DEP_3)
	v_mul_f32_e32 v96, s19, v101
	v_dual_mul_f32 v98, s19, v103 :: v_dual_add_nc_u32 v69, s16, v69
	s_delay_alu instid0(VALU_DEP_3) | instskip(SKIP_1) | instid1(VALU_DEP_3)
	v_dual_mul_f32 v80, s19, v126 :: v_dual_mul_f32 v81, s19, v128
	v_mul_f32_e32 v100, s19, v105
	v_or_b32_e32 v69, v69, v65
	v_dual_mul_f32 v82, s19, v127 :: v_dual_mul_f32 v83, s19, v130
	v_dual_mul_f32 v84, s19, v129 :: v_dual_mul_f32 v93, s19, v132
	s_delay_alu instid0(VALU_DEP_3)
	v_or_b32_e32 v71, 2, v69
	v_or_b32_e32 v72, 4, v69
	;; [unrolled: 1-line block ×3, first 2 shown]
	v_cmp_gt_i32_e64 s3, s18, v69
	v_or_b32_e32 v110, 8, v69
	v_cmp_gt_i32_e32 vcc_lo, s18, v71
	v_mul_f32_e32 v71, s19, v125
	v_or_b32_e32 v85, 10, v69
	v_or_b32_e32 v91, 22, v69
	v_cmp_gt_i32_e64 s4, s18, v72
	v_mul_f32_e32 v72, s19, v107
	v_cndmask_b32_e64 v71, 0xff7fffff, v71, s3
	v_cndmask_b32_e32 v80, 0xff7fffff, v80, vcc_lo
	v_cmp_gt_i32_e64 s5, s18, v109
	v_or_b32_e32 v86, 12, v69
	v_or_b32_e32 v87, 14, v69
	v_cndmask_b32_e64 v82, 0xff7fffff, v82, s4
	v_cmp_gt_i32_e64 s6, s18, v110
	v_cndmask_b32_e64 v81, 0xff7fffff, v81, s5
	v_cmp_gt_i32_e64 s7, s18, v85
	v_cmp_gt_i32_e64 s13, s18, v91
	v_lshlrev_b32_e32 v91, 2, v70
	v_max3_f32 v71, v71, 0xff7fffff, v80
	v_or_b32_e32 v88, 16, v69
	v_or_b32_e32 v89, 18, v69
	v_mul_f32_e32 v94, s19, v131
	v_cndmask_b32_e64 v80, 0xff7fffff, v84, s6
	v_cndmask_b32_e64 v83, 0xff7fffff, v83, s7
	v_max3_f32 v71, v71, v82, v81
	v_cmp_gt_i32_e64 s8, s18, v86
	v_cmp_gt_i32_e64 s9, s18, v87
	v_or_b32_e32 v90, 20, v69
	v_mul_f32_e32 v95, s19, v102
	v_max3_f32 v71, v71, v80, v83
	v_cndmask_b32_e64 v81, 0xff7fffff, v94, s8
	v_cndmask_b32_e64 v82, 0xff7fffff, v93, s9
	v_cmp_gt_i32_e64 s10, s18, v88
	v_cmp_gt_i32_e64 s11, s18, v89
	v_or_b32_e32 v92, 24, v69
	v_or_b32_e32 v77, 26, v69
	v_mul_f32_e32 v97, s19, v104
	v_cndmask_b32_e64 v80, 0xff7fffff, v96, s10
	v_cndmask_b32_e64 v83, 0xff7fffff, v95, s11
	v_max3_f32 v71, v71, v81, v82
	v_cmp_gt_i32_e64 s12, s18, v90
	v_or_b32_e32 v78, 28, v69
	v_or_b32_e32 v79, 30, v69
	v_mul_f32_e32 v99, s19, v106
	v_cndmask_b32_e64 v82, 0xff7fffff, v97, s13
	v_cndmask_b32_e64 v81, 0xff7fffff, v98, s12
	v_max3_f32 v71, v71, v80, v83
	v_cmp_gt_i32_e64 s15, s18, v92
	v_cmp_gt_i32_e64 s16, s18, v77
	v_mul_f32_e32 v69, s19, v108
	v_cmp_gt_i32_e64 s17, s18, v78
	v_max3_f32 v71, v71, v81, v82
	v_cndmask_b32_e64 v80, 0xff7fffff, v100, s15
	v_cndmask_b32_e64 v77, 0xff7fffff, v99, s16
	v_cmp_gt_i32_e64 s18, s18, v79
	v_cndmask_b32_e64 v72, 0xff7fffff, v72, s17
	s_delay_alu instid0(VALU_DEP_3) | instskip(NEXT) | instid1(VALU_DEP_3)
	v_max3_f32 v71, v71, v80, v77
	v_cndmask_b32_e64 v69, 0xff7fffff, v69, s18
	s_delay_alu instid0(VALU_DEP_1) | instskip(SKIP_3) | instid1(VALU_DEP_1)
	v_max3_f32 v69, v71, v72, v69
	ds_bpermute_b32 v70, v91, v69
	s_waitcnt lgkmcnt(0)
	v_max_f32_e32 v70, v70, v70
	v_max_f32_e32 v69, v69, v70
	s_delay_alu instid0(VALU_DEP_1)
	v_fma_f32 v70, s19, v125, -v69
	v_fma_f32 v71, s19, v126, -v69
	;; [unrolled: 1-line block ×5, first 2 shown]
	v_mul_f32_e32 v70, 0x3fb8aa3b, v70
	s_delay_alu instid0(VALU_DEP_3) | instskip(NEXT) | instid1(VALU_DEP_3)
	v_dual_mul_f32 v72, 0x3fb8aa3b, v72 :: v_dual_mul_f32 v77, 0x3fb8aa3b, v77
	v_mul_f32_e32 v78, 0x3fb8aa3b, v78
	s_delay_alu instid0(VALU_DEP_3) | instskip(NEXT) | instid1(VALU_DEP_2)
	v_exp_f32_e32 v70, v70
	v_exp_f32_e32 v72, v72
	s_delay_alu instid0(VALU_DEP_2) | instskip(NEXT) | instid1(VALU_DEP_1)
	v_exp_f32_e32 v79, v77
	v_exp_f32_e32 v78, v78
	v_cndmask_b32_e64 v81, 0, v70, s3
	v_fma_f32 v70, s19, v130, -v69
	v_mul_f32_e32 v71, 0x3fb8aa3b, v71
	s_delay_alu instid0(TRANS32_DEP_3)
	v_cndmask_b32_e64 v85, 0, v72, s4
	s_waitcnt_depctr 0xfff
	v_cndmask_b32_e64 v87, 0, v79, s5
	v_cndmask_b32_e64 v88, 0, v78, s6
	v_mul_f32_e32 v70, 0x3fb8aa3b, v70
	v_exp_f32_e32 v71, v71
	s_mov_b32 s3, exec_lo
	s_delay_alu instid0(VALU_DEP_1) | instskip(SKIP_4) | instid1(VALU_DEP_2)
	v_exp_f32_e32 v70, v70
	s_waitcnt_depctr 0xfff
	v_cndmask_b32_e32 v77, 0, v71, vcc_lo
	v_add_f32_e32 v71, 0, v81
	v_cndmask_b32_e64 v89, 0, v70, s7
	v_add_f32_e32 v71, v71, v77
	s_delay_alu instid0(VALU_DEP_1) | instskip(NEXT) | instid1(VALU_DEP_1)
	v_add_f32_e32 v71, v71, v85
	v_add_f32_e32 v71, v71, v87
	s_delay_alu instid0(VALU_DEP_1) | instskip(NEXT) | instid1(VALU_DEP_1)
	v_add_f32_e32 v70, v71, v88
	v_add_f32_e32 v70, v70, v89
	v_fma_f32 v80, s19, v131, -v69
	v_fma_f32 v72, s19, v132, -v69
	;; [unrolled: 1-line block ×5, first 2 shown]
	v_mul_f32_e32 v80, 0x3fb8aa3b, v80
	s_delay_alu instid0(VALU_DEP_4) | instskip(NEXT) | instid1(VALU_DEP_3)
	v_dual_mul_f32 v72, 0x3fb8aa3b, v72 :: v_dual_mul_f32 v79, 0x3fb8aa3b, v79
	v_dual_mul_f32 v78, 0x3fb8aa3b, v78 :: v_dual_mul_f32 v71, 0x3fb8aa3b, v71
	s_delay_alu instid0(VALU_DEP_3) | instskip(NEXT) | instid1(VALU_DEP_2)
	v_exp_f32_e32 v80, v80
	v_exp_f32_e32 v72, v72
	s_delay_alu instid0(VALU_DEP_2) | instskip(NEXT) | instid1(VALU_DEP_1)
	v_exp_f32_e32 v79, v79
	v_exp_f32_e32 v78, v78
	;; [unrolled: 1-line block ×3, first 2 shown]
	v_fma_f32 v83, s19, v106, -v69
	v_cndmask_b32_e64 v86, 0, v80, s8
	v_fma_f32 v80, s19, v104, -v69
	v_cndmask_b32_e64 v90, 0, v72, s9
	v_fma_f32 v72, s19, v105, -v69
	s_delay_alu instid0(TRANS32_DEP_3) | instskip(SKIP_2) | instid1(VALU_DEP_2)
	v_cndmask_b32_e64 v71, 0, v79, s10
	v_add_f32_e32 v70, v70, v86
	v_dual_mul_f32 v80, 0x3fb8aa3b, v80 :: v_dual_mul_f32 v83, 0x3fb8aa3b, v83
	v_dual_mul_f32 v72, 0x3fb8aa3b, v72 :: v_dual_add_f32 v79, v70, v90
	s_delay_alu instid0(VALU_DEP_2) | instskip(SKIP_1) | instid1(VALU_DEP_2)
	v_exp_f32_e32 v80, v80
	v_cndmask_b32_e64 v70, 0, v78, s11
	v_exp_f32_e32 v84, v72
	v_cndmask_b32_e64 v72, 0, v82, s12
	v_add_f32_e32 v78, v79, v71
	v_fma_f32 v79, s19, v107, -v69
	v_exp_f32_e32 v83, v83
	s_delay_alu instid0(VALU_DEP_1) | instskip(NEXT) | instid1(TRANS32_DEP_3)
	v_dual_add_f32 v82, v78, v70 :: v_dual_mul_f32 v79, 0x3fb8aa3b, v79
	v_cndmask_b32_e64 v78, 0, v80, s13
	s_delay_alu instid0(VALU_DEP_2) | instskip(SKIP_1) | instid1(VALU_DEP_4)
	v_add_f32_e32 v80, v82, v72
	v_fma_f32 v82, s19, v108, -v69
	v_exp_f32_e32 v92, v79
	v_cndmask_b32_e64 v79, 0, v84, s15
	s_delay_alu instid0(VALU_DEP_3) | instskip(NEXT) | instid1(VALU_DEP_3)
	v_add_f32_e32 v84, v80, v78
	v_mul_f32_e32 v82, 0x3fb8aa3b, v82
	s_delay_alu instid0(TRANS32_DEP_2) | instskip(NEXT) | instid1(VALU_DEP_3)
	v_cndmask_b32_e64 v80, 0, v83, s16
	v_add_f32_e32 v83, v84, v79
	s_delay_alu instid0(VALU_DEP_3) | instskip(NEXT) | instid1(TRANS32_DEP_2)
	v_exp_f32_e32 v84, v82
	v_cndmask_b32_e64 v82, 0, v92, s17
	s_delay_alu instid0(VALU_DEP_2) | instskip(NEXT) | instid1(VALU_DEP_1)
	v_add_f32_e32 v83, v83, v80
	v_add_f32_e32 v92, v83, v82
	s_waitcnt_depctr 0xfff
	v_cndmask_b32_e64 v83, 0, v84, s18
	s_delay_alu instid0(VALU_DEP_1)
	v_add_f32_e32 v84, v92, v83
	ds_bpermute_b32 v91, v91, v84
	v_cmpx_gt_u32_e32 16, v67
	s_cbranch_execz .LBB1543_12
; %bb.11:
	v_mul_u32_u24_e32 v67, 0x44, v68
	s_waitcnt lgkmcnt(0)
	v_add_f32_e32 v84, v84, v91
	s_delay_alu instid0(VALU_DEP_2) | instskip(NEXT) | instid1(VALU_DEP_1)
	v_lshl_add_u32 v67, v66, 2, v67
	v_add_nc_u32_e32 v67, 0x4000, v67
	ds_store_2addr_b32 v67, v69, v84 offset1:136
.LBB1543_12:
	s_or_b32 exec_lo, exec_lo, s3
	v_lshlrev_b32_e32 v67, 2, v66
	s_waitcnt lgkmcnt(0)
	s_barrier
	buffer_gl0_inv
	v_cmp_eq_u32_e32 vcc_lo, 1, v68
	v_add_nc_u32_e32 v84, 0x4000, v67
	v_cmp_eq_u32_e64 s3, 2, v68
	v_cmp_eq_u32_e64 s5, 7, v68
	ds_load_2addr_b32 v[91:92], v84 offset1:17
	ds_load_2addr_b32 v[93:94], v84 offset0:34 offset1:51
	ds_load_2addr_b32 v[95:96], v84 offset0:68 offset1:85
	ds_load_2addr_b32 v[97:98], v84 offset0:102 offset1:119
	ds_load_2addr_b32 v[99:100], v84 offset0:136 offset1:153
	s_waitcnt lgkmcnt(4)
	v_max3_f32 v67, v91, 0xff7fffff, v92
	s_waitcnt lgkmcnt(3)
	s_delay_alu instid0(VALU_DEP_1) | instskip(SKIP_1) | instid1(VALU_DEP_1)
	v_max3_f32 v67, v67, v93, v94
	s_waitcnt lgkmcnt(2)
	v_max3_f32 v67, v67, v95, v96
	s_waitcnt lgkmcnt(1)
	s_delay_alu instid0(VALU_DEP_1) | instskip(NEXT) | instid1(VALU_DEP_1)
	v_max3_f32 v67, v67, v97, v98
	v_sub_f32_e32 v69, v91, v67
	v_sub_f32_e32 v101, v92, v67
	;; [unrolled: 1-line block ×4, first 2 shown]
	s_delay_alu instid0(VALU_DEP_4) | instskip(NEXT) | instid1(VALU_DEP_4)
	v_mul_f32_e32 v69, 0x3fb8aa3b, v69
	v_mul_f32_e32 v101, 0x3fb8aa3b, v101
	s_delay_alu instid0(VALU_DEP_4) | instskip(NEXT) | instid1(VALU_DEP_4)
	v_mul_f32_e32 v103, 0x3fb8aa3b, v93
	v_mul_f32_e32 v105, 0x3fb8aa3b, v95
	s_delay_alu instid0(VALU_DEP_4) | instskip(SKIP_3) | instid1(VALU_DEP_1)
	v_exp_f32_e32 v102, v69
	v_sub_f32_e32 v69, v94, v67
	v_exp_f32_e32 v101, v101
	v_exp_f32_e32 v103, v103
	v_mul_f32_e32 v104, 0x3fb8aa3b, v69
	s_waitcnt lgkmcnt(0)
	s_delay_alu instid0(TRANS32_DEP_3) | instskip(SKIP_1) | instid1(VALU_DEP_3)
	v_fma_f32 v69, v102, v99, 0
	v_sub_f32_e32 v99, v96, v67
	v_exp_f32_e32 v104, v104
	s_delay_alu instid0(TRANS32_DEP_3) | instid1(VALU_DEP_2)
	v_fmac_f32_e32 v69, v101, v100
	ds_load_2addr_b32 v[91:92], v84 offset0:170 offset1:187
	ds_load_2addr_b32 v[93:94], v84 offset0:204 offset1:221
	;; [unrolled: 1-line block ×3, first 2 shown]
	v_sub_f32_e32 v84, v97, v67
	v_mul_f32_e32 v97, 0x3fb8aa3b, v99
	v_exp_f32_e32 v99, v105
	s_waitcnt lgkmcnt(0)
	s_barrier
	v_mul_f32_e32 v84, 0x3fb8aa3b, v84
	v_exp_f32_e32 v97, v97
	buffer_gl0_inv
	v_exp_f32_e32 v84, v84
	v_fmac_f32_e32 v69, v103, v91
	v_sub_f32_e32 v91, v98, v67
	s_delay_alu instid0(VALU_DEP_2) | instskip(NEXT) | instid1(VALU_DEP_2)
	v_fmac_f32_e32 v69, v104, v92
	v_mul_f32_e32 v91, 0x3fb8aa3b, v91
	s_delay_alu instid0(VALU_DEP_2) | instskip(NEXT) | instid1(VALU_DEP_2)
	v_fmac_f32_e32 v69, v99, v93
	v_exp_f32_e32 v91, v91
	s_delay_alu instid0(VALU_DEP_1)
	v_fmac_f32_e32 v69, v97, v94
	s_delay_alu instid0(TRANS32_DEP_2) | instid1(VALU_DEP_1)
	v_fmac_f32_e32 v69, v84, v95
	s_waitcnt_depctr 0xfff
	v_fmac_f32_e32 v69, v91, v96
	s_delay_alu instid0(VALU_DEP_1) | instskip(NEXT) | instid1(VALU_DEP_1)
	v_add_f32_e32 v92, 0x358637bd, v69
	v_div_scale_f32 v93, null, v92, v92, 1.0
	v_div_scale_f32 v96, s4, 1.0, v92, 1.0
	s_delay_alu instid0(VALU_DEP_2) | instskip(SKIP_2) | instid1(VALU_DEP_1)
	v_rcp_f32_e32 v94, v93
	s_waitcnt_depctr 0xfff
	v_fma_f32 v95, -v93, v94, 1.0
	v_dual_fmac_f32 v94, v95, v94 :: v_dual_cndmask_b32 v95, v102, v101
	v_cmp_eq_u32_e32 vcc_lo, 3, v68
	s_delay_alu instid0(VALU_DEP_2) | instskip(NEXT) | instid1(VALU_DEP_3)
	v_mul_f32_e32 v98, v96, v94
	v_cndmask_b32_e64 v95, v95, v103, s3
	v_cmp_eq_u32_e64 s3, 4, v68
	s_delay_alu instid0(VALU_DEP_3) | instskip(NEXT) | instid1(VALU_DEP_3)
	v_fma_f32 v100, -v93, v98, v96
	v_cndmask_b32_e32 v95, v95, v104, vcc_lo
	v_cmp_eq_u32_e32 vcc_lo, 5, v68
	s_delay_alu instid0(VALU_DEP_3) | instskip(NEXT) | instid1(VALU_DEP_3)
	v_fmac_f32_e32 v98, v100, v94
	v_cndmask_b32_e64 v95, v95, v99, s3
	v_cmp_eq_u32_e64 s3, 6, v68
	s_delay_alu instid0(VALU_DEP_3) | instskip(NEXT) | instid1(VALU_DEP_3)
	v_fma_f32 v93, -v93, v98, v96
	v_cndmask_b32_e32 v95, v95, v97, vcc_lo
	s_mov_b32 vcc_lo, s4
	s_delay_alu instid0(VALU_DEP_2) | instskip(NEXT) | instid1(VALU_DEP_2)
	v_div_fmas_f32 v93, v93, v94, v98
	v_cndmask_b32_e64 v84, v95, v84, s3
	s_mov_b32 s3, exec_lo
	s_delay_alu instid0(VALU_DEP_2) | instskip(NEXT) | instid1(VALU_DEP_2)
	v_div_fixup_f32 v92, v93, v92, 1.0
	v_cndmask_b32_e64 v84, v84, v91, s5
	s_delay_alu instid0(VALU_DEP_1) | instskip(NEXT) | instid1(VALU_DEP_1)
	v_mul_f32_e32 v84, v84, v92
	v_mul_f32_e32 v92, v84, v81
	;; [unrolled: 1-line block ×6, first 2 shown]
	v_dual_mul_f32 v88, v84, v85 :: v_dual_and_b32 v93, 0x7f800000, v92
	v_mul_f32_e32 v91, v84, v87
	v_mul_f32_e32 v87, v84, v77
                                        ; implicit-def: $vgpr77
	s_delay_alu instid0(VALU_DEP_3)
	v_cmpx_ne_u32_e32 0x7f800000, v93
	s_xor_b32 s3, exec_lo, s3
; %bb.13:
	v_bfe_u32 v77, v92, 16, 1
	s_delay_alu instid0(VALU_DEP_1)
	v_add3_u32 v77, v92, v77, 0x7fff
                                        ; implicit-def: $vgpr92
; %bb.14:
	s_and_not1_saveexec_b32 s3, s3
; %bb.15:
	v_and_b32_e32 v77, 0xffff, v92
	v_or_b32_e32 v85, 0x10000, v92
	s_delay_alu instid0(VALU_DEP_2) | instskip(NEXT) | instid1(VALU_DEP_2)
	v_cmp_eq_u32_e32 vcc_lo, 0, v77
	v_cndmask_b32_e32 v77, v85, v92, vcc_lo
; %bb.16:
	s_or_b32 exec_lo, exec_lo, s3
	v_and_b32_e32 v85, 0x7f800000, v87
	s_delay_alu instid0(VALU_DEP_1) | instskip(SKIP_1) | instid1(SALU_CYCLE_1)
	v_cmp_ne_u32_e32 vcc_lo, 0x7f800000, v85
                                        ; implicit-def: $vgpr85
	s_and_saveexec_b32 s3, vcc_lo
	s_xor_b32 s3, exec_lo, s3
; %bb.17:
	v_bfe_u32 v85, v87, 16, 1
	s_delay_alu instid0(VALU_DEP_1)
	v_add3_u32 v85, v87, v85, 0x7fff
                                        ; implicit-def: $vgpr87
; %bb.18:
	s_and_not1_saveexec_b32 s3, s3
; %bb.19:
	v_and_b32_e32 v85, 0xffff, v87
	v_or_b32_e32 v92, 0x10000, v87
	s_delay_alu instid0(VALU_DEP_2) | instskip(NEXT) | instid1(VALU_DEP_2)
	v_cmp_eq_u32_e32 vcc_lo, 0, v85
	v_cndmask_b32_e32 v85, v92, v87, vcc_lo
; %bb.20:
	s_or_b32 exec_lo, exec_lo, s3
	v_and_b32_e32 v87, 0x7f800000, v88
	s_delay_alu instid0(VALU_DEP_1) | instskip(SKIP_1) | instid1(SALU_CYCLE_1)
	v_cmp_ne_u32_e32 vcc_lo, 0x7f800000, v87
                                        ; implicit-def: $vgpr87
	s_and_saveexec_b32 s3, vcc_lo
	s_xor_b32 s3, exec_lo, s3
; %bb.21:
	v_bfe_u32 v87, v88, 16, 1
	s_delay_alu instid0(VALU_DEP_1)
	v_add3_u32 v87, v88, v87, 0x7fff
                                        ; implicit-def: $vgpr88
; %bb.22:
	s_and_not1_saveexec_b32 s3, s3
; %bb.23:
	v_and_b32_e32 v87, 0xffff, v88
	v_or_b32_e32 v92, 0x10000, v88
	s_delay_alu instid0(VALU_DEP_2) | instskip(NEXT) | instid1(VALU_DEP_2)
	v_cmp_eq_u32_e32 vcc_lo, 0, v87
	v_cndmask_b32_e32 v87, v92, v88, vcc_lo
; %bb.24:
	s_or_b32 exec_lo, exec_lo, s3
	v_and_b32_e32 v88, 0x7f800000, v91
	s_delay_alu instid0(VALU_DEP_1) | instskip(SKIP_1) | instid1(SALU_CYCLE_1)
	v_cmp_ne_u32_e32 vcc_lo, 0x7f800000, v88
                                        ; implicit-def: $vgpr88
	s_and_saveexec_b32 s3, vcc_lo
	s_xor_b32 s3, exec_lo, s3
; %bb.25:
	v_bfe_u32 v88, v91, 16, 1
	s_delay_alu instid0(VALU_DEP_1)
	v_add3_u32 v88, v91, v88, 0x7fff
                                        ; implicit-def: $vgpr91
; %bb.26:
	s_and_not1_saveexec_b32 s3, s3
; %bb.27:
	v_and_b32_e32 v88, 0xffff, v91
	v_or_b32_e32 v92, 0x10000, v91
	s_delay_alu instid0(VALU_DEP_2) | instskip(NEXT) | instid1(VALU_DEP_2)
	v_cmp_eq_u32_e32 vcc_lo, 0, v88
	v_cndmask_b32_e32 v88, v92, v91, vcc_lo
; %bb.28:
	s_or_b32 exec_lo, exec_lo, s3
	v_and_b32_e32 v91, 0x7f800000, v90
	s_delay_alu instid0(VALU_DEP_1) | instskip(SKIP_1) | instid1(SALU_CYCLE_1)
	v_cmp_ne_u32_e32 vcc_lo, 0x7f800000, v91
                                        ; implicit-def: $vgpr91
	s_and_saveexec_b32 s3, vcc_lo
	s_xor_b32 s3, exec_lo, s3
; %bb.29:
	v_bfe_u32 v91, v90, 16, 1
	s_delay_alu instid0(VALU_DEP_1)
	v_add3_u32 v91, v90, v91, 0x7fff
                                        ; implicit-def: $vgpr90
; %bb.30:
	s_and_not1_saveexec_b32 s3, s3
; %bb.31:
	v_and_b32_e32 v91, 0xffff, v90
	v_or_b32_e32 v92, 0x10000, v90
	s_delay_alu instid0(VALU_DEP_2) | instskip(NEXT) | instid1(VALU_DEP_2)
	v_cmp_eq_u32_e32 vcc_lo, 0, v91
	v_cndmask_b32_e32 v91, v92, v90, vcc_lo
; %bb.32:
	s_or_b32 exec_lo, exec_lo, s3
	v_and_b32_e32 v90, 0x7f800000, v89
	s_delay_alu instid0(VALU_DEP_1) | instskip(SKIP_1) | instid1(SALU_CYCLE_1)
	v_cmp_ne_u32_e32 vcc_lo, 0x7f800000, v90
                                        ; implicit-def: $vgpr90
	s_and_saveexec_b32 s3, vcc_lo
	s_xor_b32 s3, exec_lo, s3
; %bb.33:
	v_bfe_u32 v90, v89, 16, 1
	s_delay_alu instid0(VALU_DEP_1)
	v_add3_u32 v90, v89, v90, 0x7fff
                                        ; implicit-def: $vgpr89
; %bb.34:
	s_and_not1_saveexec_b32 s3, s3
; %bb.35:
	v_and_b32_e32 v90, 0xffff, v89
	v_or_b32_e32 v92, 0x10000, v89
	s_delay_alu instid0(VALU_DEP_2) | instskip(NEXT) | instid1(VALU_DEP_2)
	v_cmp_eq_u32_e32 vcc_lo, 0, v90
	v_cndmask_b32_e32 v90, v92, v89, vcc_lo
; %bb.36:
	s_or_b32 exec_lo, exec_lo, s3
	v_and_b32_e32 v89, 0x7f800000, v86
	s_delay_alu instid0(VALU_DEP_1) | instskip(SKIP_1) | instid1(SALU_CYCLE_1)
	v_cmp_ne_u32_e32 vcc_lo, 0x7f800000, v89
                                        ; implicit-def: $vgpr89
	s_and_saveexec_b32 s3, vcc_lo
	s_xor_b32 s3, exec_lo, s3
; %bb.37:
	v_bfe_u32 v89, v86, 16, 1
	s_delay_alu instid0(VALU_DEP_1)
	v_add3_u32 v89, v86, v89, 0x7fff
                                        ; implicit-def: $vgpr86
; %bb.38:
	s_and_not1_saveexec_b32 s3, s3
; %bb.39:
	v_and_b32_e32 v89, 0xffff, v86
	v_or_b32_e32 v92, 0x10000, v86
	s_delay_alu instid0(VALU_DEP_2) | instskip(NEXT) | instid1(VALU_DEP_2)
	v_cmp_eq_u32_e32 vcc_lo, 0, v89
	v_cndmask_b32_e32 v89, v92, v86, vcc_lo
; %bb.40:
	s_or_b32 exec_lo, exec_lo, s3
	v_and_b32_e32 v86, 0x7f800000, v81
	s_delay_alu instid0(VALU_DEP_1) | instskip(SKIP_1) | instid1(SALU_CYCLE_1)
	v_cmp_ne_u32_e32 vcc_lo, 0x7f800000, v86
                                        ; implicit-def: $vgpr86
	s_and_saveexec_b32 s3, vcc_lo
	s_xor_b32 s3, exec_lo, s3
; %bb.41:
	v_bfe_u32 v86, v81, 16, 1
	s_delay_alu instid0(VALU_DEP_1)
	v_add3_u32 v86, v81, v86, 0x7fff
                                        ; implicit-def: $vgpr81
; %bb.42:
	s_and_not1_saveexec_b32 s3, s3
; %bb.43:
	v_and_b32_e32 v86, 0xffff, v81
	v_or_b32_e32 v92, 0x10000, v81
	s_delay_alu instid0(VALU_DEP_2) | instskip(NEXT) | instid1(VALU_DEP_2)
	v_cmp_eq_u32_e32 vcc_lo, 0, v86
	v_cndmask_b32_e32 v86, v92, v81, vcc_lo
; %bb.44:
	s_or_b32 exec_lo, exec_lo, s3
	s_load_b64 s[34:35], s[0:1], 0x94
	v_lshlrev_b32_e32 v93, 4, v65
	s_delay_alu instid0(VALU_DEP_2)
	v_perm_b32 v92, v86, v89, 0x7060302
	v_dual_mul_f32 v80, v84, v80 :: v_dual_lshlrev_b32 v81, 6, v66
	v_lshlrev_b32_e32 v66, 11, v68
	v_perm_b32 v89, v85, v77, 0x7060302
	v_mul_f32_e32 v85, v84, v71
	v_perm_b32 v91, v90, v91, 0x7060302
	v_perm_b32 v90, v88, v87, 0x7060302
	v_or3_b32 v77, v93, v66, v81
	v_mul_f32_e32 v66, v84, v83
	v_dual_mul_f32 v71, v84, v82 :: v_dual_and_b32 v86, 0x7f800000, v85
	v_mul_f32_e32 v79, v84, v79
	v_mul_f32_e32 v83, v84, v78
	;; [unrolled: 1-line block ×4, first 2 shown]
	s_mov_b32 s3, exec_lo
	ds_store_b128 v77, v[89:92]
                                        ; implicit-def: $vgpr70
	v_cmpx_ne_u32_e32 0x7f800000, v86
	s_xor_b32 s3, exec_lo, s3
; %bb.45:
	v_bfe_u32 v70, v85, 16, 1
	s_delay_alu instid0(VALU_DEP_1)
	v_add3_u32 v70, v85, v70, 0x7fff
                                        ; implicit-def: $vgpr85
; %bb.46:
	s_and_not1_saveexec_b32 s3, s3
; %bb.47:
	v_and_b32_e32 v70, 0xffff, v85
	v_or_b32_e32 v72, 0x10000, v85
	s_delay_alu instid0(VALU_DEP_2) | instskip(NEXT) | instid1(VALU_DEP_2)
	v_cmp_eq_u32_e32 vcc_lo, 0, v70
	v_cndmask_b32_e32 v70, v72, v85, vcc_lo
; %bb.48:
	s_or_b32 exec_lo, exec_lo, s3
	v_and_b32_e32 v72, 0x7f800000, v78
	s_delay_alu instid0(VALU_DEP_1) | instskip(SKIP_1) | instid1(SALU_CYCLE_1)
	v_cmp_ne_u32_e32 vcc_lo, 0x7f800000, v72
                                        ; implicit-def: $vgpr72
	s_and_saveexec_b32 s3, vcc_lo
	s_xor_b32 s3, exec_lo, s3
; %bb.49:
	v_bfe_u32 v72, v78, 16, 1
	s_delay_alu instid0(VALU_DEP_1)
	v_add3_u32 v72, v78, v72, 0x7fff
                                        ; implicit-def: $vgpr78
; %bb.50:
	s_and_not1_saveexec_b32 s3, s3
; %bb.51:
	v_and_b32_e32 v72, 0xffff, v78
	v_or_b32_e32 v84, 0x10000, v78
	s_delay_alu instid0(VALU_DEP_2) | instskip(NEXT) | instid1(VALU_DEP_2)
	v_cmp_eq_u32_e32 vcc_lo, 0, v72
	v_cndmask_b32_e32 v72, v84, v78, vcc_lo
; %bb.52:
	s_or_b32 exec_lo, exec_lo, s3
	v_and_b32_e32 v78, 0x7f800000, v82
	s_delay_alu instid0(VALU_DEP_1) | instskip(SKIP_1) | instid1(SALU_CYCLE_1)
	v_cmp_ne_u32_e32 vcc_lo, 0x7f800000, v78
                                        ; implicit-def: $vgpr78
	s_and_saveexec_b32 s3, vcc_lo
	s_xor_b32 s3, exec_lo, s3
; %bb.53:
	v_bfe_u32 v78, v82, 16, 1
	s_delay_alu instid0(VALU_DEP_1)
	v_add3_u32 v78, v82, v78, 0x7fff
                                        ; implicit-def: $vgpr82
; %bb.54:
	s_and_not1_saveexec_b32 s3, s3
; %bb.55:
	v_and_b32_e32 v78, 0xffff, v82
	v_or_b32_e32 v84, 0x10000, v82
	s_delay_alu instid0(VALU_DEP_2) | instskip(NEXT) | instid1(VALU_DEP_2)
	v_cmp_eq_u32_e32 vcc_lo, 0, v78
	v_cndmask_b32_e32 v78, v84, v82, vcc_lo
; %bb.56:
	s_or_b32 exec_lo, exec_lo, s3
	v_and_b32_e32 v82, 0x7f800000, v83
	s_delay_alu instid0(VALU_DEP_1) | instskip(SKIP_1) | instid1(SALU_CYCLE_1)
	v_cmp_ne_u32_e32 vcc_lo, 0x7f800000, v82
                                        ; implicit-def: $vgpr82
	s_and_saveexec_b32 s3, vcc_lo
	s_xor_b32 s3, exec_lo, s3
; %bb.57:
	v_bfe_u32 v82, v83, 16, 1
	s_delay_alu instid0(VALU_DEP_1)
	v_add3_u32 v82, v83, v82, 0x7fff
                                        ; implicit-def: $vgpr83
; %bb.58:
	s_and_not1_saveexec_b32 s3, s3
; %bb.59:
	v_and_b32_e32 v82, 0xffff, v83
	v_or_b32_e32 v84, 0x10000, v83
	s_delay_alu instid0(VALU_DEP_2) | instskip(NEXT) | instid1(VALU_DEP_2)
	v_cmp_eq_u32_e32 vcc_lo, 0, v82
	v_cndmask_b32_e32 v82, v84, v83, vcc_lo
; %bb.60:
	s_or_b32 exec_lo, exec_lo, s3
	v_and_b32_e32 v83, 0x7f800000, v79
	s_delay_alu instid0(VALU_DEP_1) | instskip(SKIP_1) | instid1(SALU_CYCLE_1)
	v_cmp_ne_u32_e32 vcc_lo, 0x7f800000, v83
                                        ; implicit-def: $vgpr83
	s_and_saveexec_b32 s3, vcc_lo
	s_xor_b32 s3, exec_lo, s3
; %bb.61:
	v_bfe_u32 v83, v79, 16, 1
	s_delay_alu instid0(VALU_DEP_1)
	v_add3_u32 v83, v79, v83, 0x7fff
                                        ; implicit-def: $vgpr79
; %bb.62:
	s_and_not1_saveexec_b32 s3, s3
; %bb.63:
	v_and_b32_e32 v83, 0xffff, v79
	v_or_b32_e32 v84, 0x10000, v79
	s_delay_alu instid0(VALU_DEP_2) | instskip(NEXT) | instid1(VALU_DEP_2)
	v_cmp_eq_u32_e32 vcc_lo, 0, v83
	v_cndmask_b32_e32 v83, v84, v79, vcc_lo
; %bb.64:
	s_or_b32 exec_lo, exec_lo, s3
	v_and_b32_e32 v79, 0x7f800000, v80
	s_delay_alu instid0(VALU_DEP_1) | instskip(SKIP_1) | instid1(SALU_CYCLE_1)
	v_cmp_ne_u32_e32 vcc_lo, 0x7f800000, v79
                                        ; implicit-def: $vgpr79
	s_and_saveexec_b32 s3, vcc_lo
	s_xor_b32 s3, exec_lo, s3
; %bb.65:
	v_bfe_u32 v79, v80, 16, 1
	s_delay_alu instid0(VALU_DEP_1)
	v_add3_u32 v79, v80, v79, 0x7fff
                                        ; implicit-def: $vgpr80
; %bb.66:
	s_and_not1_saveexec_b32 s3, s3
; %bb.67:
	v_and_b32_e32 v79, 0xffff, v80
	v_or_b32_e32 v84, 0x10000, v80
	s_delay_alu instid0(VALU_DEP_2) | instskip(NEXT) | instid1(VALU_DEP_2)
	v_cmp_eq_u32_e32 vcc_lo, 0, v79
	v_cndmask_b32_e32 v79, v84, v80, vcc_lo
; %bb.68:
	s_or_b32 exec_lo, exec_lo, s3
	v_and_b32_e32 v80, 0x7f800000, v71
	s_delay_alu instid0(VALU_DEP_1) | instskip(SKIP_1) | instid1(SALU_CYCLE_1)
	v_cmp_ne_u32_e32 vcc_lo, 0x7f800000, v80
                                        ; implicit-def: $vgpr80
	s_and_saveexec_b32 s3, vcc_lo
	s_xor_b32 s3, exec_lo, s3
; %bb.69:
	v_bfe_u32 v80, v71, 16, 1
	s_delay_alu instid0(VALU_DEP_1)
	v_add3_u32 v80, v71, v80, 0x7fff
                                        ; implicit-def: $vgpr71
; %bb.70:
	s_and_not1_saveexec_b32 s3, s3
; %bb.71:
	v_and_b32_e32 v80, 0xffff, v71
	v_or_b32_e32 v84, 0x10000, v71
	s_delay_alu instid0(VALU_DEP_2) | instskip(NEXT) | instid1(VALU_DEP_2)
	v_cmp_eq_u32_e32 vcc_lo, 0, v80
	v_cndmask_b32_e32 v80, v84, v71, vcc_lo
; %bb.72:
	s_or_b32 exec_lo, exec_lo, s3
	v_and_b32_e32 v71, 0x7f800000, v66
	s_delay_alu instid0(VALU_DEP_1) | instskip(SKIP_1) | instid1(SALU_CYCLE_1)
	v_cmp_ne_u32_e32 vcc_lo, 0x7f800000, v71
                                        ; implicit-def: $vgpr71
	s_and_saveexec_b32 s3, vcc_lo
	s_xor_b32 s3, exec_lo, s3
; %bb.73:
	v_bfe_u32 v71, v66, 16, 1
	s_delay_alu instid0(VALU_DEP_1)
	v_add3_u32 v71, v66, v71, 0x7fff
                                        ; implicit-def: $vgpr66
; %bb.74:
	s_and_not1_saveexec_b32 s3, s3
; %bb.75:
	v_and_b32_e32 v71, 0xffff, v66
	v_or_b32_e32 v84, 0x10000, v66
	s_delay_alu instid0(VALU_DEP_2) | instskip(NEXT) | instid1(VALU_DEP_2)
	v_cmp_eq_u32_e32 vcc_lo, 0, v71
	v_cndmask_b32_e32 v71, v84, v66, vcc_lo
; %bb.76:
	s_or_b32 exec_lo, exec_lo, s3
	s_delay_alu instid0(VALU_DEP_1)
	v_perm_b32 v87, v71, v80, 0x7060302
	v_perm_b32 v86, v79, v83, 0x7060302
	;; [unrolled: 1-line block ×4, first 2 shown]
	v_lshl_or_b32 v83, v68, 11, v81
	ds_store_b128 v77, v[84:87] offset:1024
	s_waitcnt lgkmcnt(0)
	s_barrier
	buffer_gl0_inv
	ds_load_b128 v[84:87], v83
	ds_load_b128 v[88:91], v83 offset:16
	s_waitcnt lgkmcnt(1)
	v_lshrrev_b32_e32 v70, 16, v87
	s_waitcnt lgkmcnt(0)
	v_lshrrev_b32_e32 v71, 16, v88
	v_lshlrev_b32_e32 v79, 2, v65
	v_lshrrev_b32_e32 v65, 16, v84
	v_lshrrev_b32_e32 v66, 16, v85
	;; [unrolled: 1-line block ×4, first 2 shown]
	v_cmp_eq_u32_e32 vcc_lo, 1, v79
	v_lshrrev_b32_e32 v100, 16, v90
	v_lshrrev_b32_e32 v101, 16, v91
	v_cndmask_b32_e32 v92, v88, v71, vcc_lo
	v_or_b32_e32 v80, 1, v79
	v_cndmask_b32_e32 v82, v84, v65, vcc_lo
	v_cmp_eq_u32_e64 s4, 2, v79
	v_cmp_eq_u32_e64 s7, 3, v79
	;; [unrolled: 1-line block ×5, first 2 shown]
	v_cndmask_b32_e64 v82, v82, v85, s4
	v_cndmask_b32_e64 v92, v92, v89, s4
	v_cmp_eq_u32_e64 s8, 3, v80
	v_cndmask_b32_e64 v93, v84, v65, s3
	v_or_b32_e32 v78, 2, v79
	v_cndmask_b32_e64 v82, v82, v66, s7
	v_cndmask_b32_e64 v92, v92, v72, s7
	;; [unrolled: 1-line block ×4, first 2 shown]
	v_cmp_eq_u32_e64 s10, 5, v79
	v_cndmask_b32_e64 v82, v82, v86, s9
	v_cndmask_b32_e64 v92, v92, v90, s9
	v_cmp_eq_u32_e64 s11, 4, v80
	v_cndmask_b32_e64 v93, v93, v66, s8
	v_cmp_eq_u32_e64 s5, 1, v78
	v_cndmask_b32_e64 v94, v94, v89, s6
	v_cndmask_b32_e64 v82, v82, v68, s10
	v_cmp_eq_u32_e64 s12, 6, v79
	v_cndmask_b32_e64 v93, v93, v86, s11
	;; [unrolled: 3-line block ×3, first 2 shown]
	v_cndmask_b32_e64 v94, v94, v72, s8
	v_cndmask_b32_e64 v82, v82, v87, s12
	v_cmp_eq_u32_e64 s15, 7, v79
	v_cndmask_b32_e64 v93, v93, v68, s13
	v_cndmask_b32_e64 v92, v92, v91, s12
	v_cmp_eq_u32_e64 s16, 6, v80
	v_cmp_eq_u32_e64 s17, 2, v78
	v_cndmask_b32_e64 v94, v94, v90, s11
	v_cndmask_b32_e64 v102, v82, v70, s15
	;; [unrolled: 1-line block ×6, first 2 shown]
	v_cmp_eq_u32_e64 s18, 7, v80
	v_cmp_eq_u32_e64 s19, 3, v78
	;; [unrolled: 1-line block ×4, first 2 shown]
	v_cndmask_b32_e64 v92, v92, v89, s17
	v_cndmask_b32_e64 v104, v93, v70, s18
	v_cndmask_b32_e64 v93, v94, v100, s13
	v_cndmask_b32_e64 v94, v82, v66, s19
	v_or_b32_e32 v82, 3, v79
	v_cndmask_b32_e64 v97, v92, v72, s19
	v_cmp_eq_u32_e64 s24, 6, v78
	v_cndmask_b32_e64 v105, v93, v91, s16
	v_cndmask_b32_e64 v96, v94, v86, s20
	v_cmp_eq_u32_e64 s21, 1, v82
	ds_load_b128 v[92:95], v83 offset:1024
	v_cmp_eq_u32_e64 s23, 2, v82
	v_cmp_eq_u32_e64 s25, 3, v82
	v_cndmask_b32_e64 v106, v96, v68, s22
	v_cndmask_b32_e64 v65, v84, v65, s21
	;; [unrolled: 1-line block ×3, first 2 shown]
	ds_load_b128 v[96:99], v83 offset:1040
	v_cndmask_b32_e64 v71, v88, v71, s21
	v_cmp_eq_u32_e64 s26, 4, v82
	v_cndmask_b32_e64 v65, v65, v85, s23
	v_cmp_eq_u32_e64 s28, 5, v82
	v_cmp_eq_u32_e64 s29, 6, v82
	v_cndmask_b32_e64 v71, v71, v89, s23
	v_cndmask_b32_e64 v84, v84, v100, s22
	;; [unrolled: 1-line block ×4, first 2 shown]
	v_cmp_eq_u32_e64 s27, 7, v78
	v_cndmask_b32_e64 v71, v71, v72, s25
	v_cndmask_b32_e64 v84, v84, v91, s24
	v_cndmask_b32_e64 v65, v65, v86, s26
	s_waitcnt lgkmcnt(1)
	v_lshrrev_b32_e32 v72, 16, v92
	v_lshrrev_b32_e32 v88, 16, v93
	v_cndmask_b32_e64 v71, v71, v90, s26
	v_cndmask_b32_e64 v66, v66, v70, s27
	;; [unrolled: 1-line block ×3, first 2 shown]
	v_cndmask_b32_e32 v86, v92, v72, vcc_lo
	v_cndmask_b32_e64 v89, v92, v72, s3
	v_cndmask_b32_e64 v68, v71, v100, s28
	s_waitcnt lgkmcnt(0)
	v_lshrrev_b32_e32 v71, 16, v96
	v_cndmask_b32_e64 v65, v65, v87, s29
	v_cndmask_b32_e64 v86, v86, v93, s4
	;; [unrolled: 1-line block ×4, first 2 shown]
	v_cndmask_b32_e32 v90, v96, v71, vcc_lo
	v_cmp_eq_u32_e32 vcc_lo, 7, v82
	v_cndmask_b32_e64 v86, v86, v88, s7
	v_cndmask_b32_e64 v87, v87, v88, s8
	v_lshrrev_b32_e32 v91, 16, v94
	v_cndmask_b32_e64 v89, v90, v97, s4
	v_lshrrev_b32_e32 v90, 16, v97
	v_cndmask_b32_e64 v86, v86, v94, s9
	v_dual_cndmask_b32 v65, v65, v70 :: v_dual_cndmask_b32 v68, v68, v101
	v_cndmask_b32_e64 v70, v87, v94, s11
	s_delay_alu instid0(VALU_DEP_4) | instskip(NEXT) | instid1(VALU_DEP_4)
	v_cndmask_b32_e64 v89, v89, v90, s7
	v_cndmask_b32_e64 v86, v86, v91, s10
	v_lshrrev_b32_e32 v100, 16, v98
	v_cndmask_b32_e64 v84, v84, v101, s27
	v_perm_b32 v87, v68, v65, 0x5040100
	v_cndmask_b32_e64 v89, v89, v98, s9
	v_cndmask_b32_e64 v65, v70, v91, s13
	;; [unrolled: 1-line block ×3, first 2 shown]
	v_lshrrev_b32_e32 v70, 16, v95
	v_cndmask_b32_e64 v85, v105, v101, s18
	v_cndmask_b32_e64 v89, v89, v100, s10
	v_perm_b32 v86, v84, v66, 0x5040100
	v_cndmask_b32_e64 v101, v96, v71, s5
	v_cndmask_b32_e64 v66, v68, v70, s15
	;; [unrolled: 1-line block ×8, first 2 shown]
	v_lshrrev_b32_e32 v84, 16, v99
	v_cndmask_b32_e64 v89, v89, v93, s17
	v_cndmask_b32_e64 v72, v72, v93, s23
	;; [unrolled: 1-line block ×27, first 2 shown]
	v_cndmask_b32_e32 v70, v72, v70, vcc_lo
	v_cndmask_b32_e32 v72, v88, v84, vcc_lo
	v_cndmask_b32_e64 v88, v90, v84, s27
	v_cndmask_b32_e64 v71, v71, v84, s18
	;; [unrolled: 1-line block ×3, first 2 shown]
	v_perm_b32 v85, v85, v104, 0x5040100
	v_perm_b32 v84, v103, v102, 0x5040100
	;; [unrolled: 1-line block ×6, first 2 shown]
	s_lshl_b32 s8, s35, 1
	s_mov_b32 s3, exec_lo
	ds_store_b128 v77, v[84:87]
	ds_store_b128 v77, v[88:91] offset:1024
	v_cmpx_gt_u32_e32 2, v0
	s_cbranch_execz .LBB1543_78
; %bb.77:
	v_or_b32_e32 v65, s31, v0
	s_load_b128 s[4:7], s[0:1], 0x58
	s_delay_alu instid0(VALU_DEP_1) | instskip(NEXT) | instid1(VALU_DEP_1)
	v_mad_u64_u32 v[70:71], null, s8, s30, v[65:66]
	v_mad_u64_u32 v[65:66], null, v70, s34, s[14:15]
	s_delay_alu instid0(VALU_DEP_1) | instskip(NEXT) | instid1(VALU_DEP_1)
	v_ashrrev_i32_e32 v66, 31, v65
	v_lshlrev_b64 v[65:66], 2, v[65:66]
	s_waitcnt lgkmcnt(0)
	s_delay_alu instid0(VALU_DEP_1) | instskip(NEXT) | instid1(VALU_DEP_2)
	v_add_co_u32 v70, vcc_lo, s6, v65
	v_add_co_ci_u32_e32 v71, vcc_lo, s7, v66, vcc_lo
	v_add_co_u32 v65, vcc_lo, s4, v65
	v_add_co_ci_u32_e32 v66, vcc_lo, s5, v66, vcc_lo
	global_store_b32 v[70:71], v67, off
	global_store_b32 v[65:66], v69, off
.LBB1543_78:
	s_or_b32 exec_lo, exec_lo, s3
	s_waitcnt lgkmcnt(0)
	s_waitcnt_vscnt null, 0x0
	s_barrier
	buffer_gl0_inv
	ds_load_b128 v[84:87], v81
	ds_load_b128 v[88:91], v81 offset:16
	ds_load_b128 v[96:99], v81 offset:2064
	;; [unrolled: 1-line block ×3, first 2 shown]
	v_mov_b32_e32 v65, 0
	ds_load_b128 v[104:107], v81 offset:4112
	ds_load_b128 v[100:103], v81 offset:4096
	;; [unrolled: 1-line block ×4, first 2 shown]
	v_mov_b32_e32 v66, v65
	v_mov_b32_e32 v67, v65
	;; [unrolled: 1-line block ×7, first 2 shown]
	s_waitcnt lgkmcnt(6)
	s_delay_alu instid0(VALU_DEP_1)
	v_wmma_f32_16x16x16_bf16 v[65:72], v[41:48], v[84:91], v[65:72]
	ds_load_b128 v[45:48], v81 offset:8208
	ds_load_b128 v[41:44], v81 offset:8192
	s_waitcnt lgkmcnt(6)
	v_wmma_f32_16x16x16_bf16 v[65:72], v[33:40], v[92:99], v[65:72]
	ds_load_b128 v[37:40], v81 offset:10256
	ds_load_b128 v[33:36], v81 offset:10240
	s_waitcnt lgkmcnt(6)
	v_wmma_f32_16x16x16_bf16 v[65:72], v[25:32], v[100:107], v[65:72]
	ds_load_b128 v[29:32], v81 offset:12304
	ds_load_b128 v[25:28], v81 offset:12288
	s_waitcnt lgkmcnt(6)
	v_wmma_f32_16x16x16_bf16 v[65:72], v[17:24], v[108:115], v[65:72]
	ds_load_b128 v[21:24], v81 offset:14352
	ds_load_b128 v[17:20], v81 offset:14336
	s_waitcnt lgkmcnt(6)
	v_wmma_f32_16x16x16_bf16 v[65:72], v[1:8], v[41:48], v[65:72]
	s_waitcnt lgkmcnt(4)
	s_delay_alu instid0(VALU_DEP_1) | instskip(SKIP_1) | instid1(VALU_DEP_1)
	v_wmma_f32_16x16x16_bf16 v[65:72], v[9:16], v[33:40], v[65:72]
	s_waitcnt lgkmcnt(2)
	v_wmma_f32_16x16x16_bf16 v[65:72], v[57:64], v[25:32], v[65:72]
	s_waitcnt lgkmcnt(0)
	s_delay_alu instid0(VALU_DEP_1) | instskip(NEXT) | instid1(VALU_DEP_1)
	v_wmma_f32_16x16x16_bf16 v[65:72], v[49:56], v[17:24], v[65:72]
	v_and_b32_e32 v1, 0x7f800000, v65
	s_delay_alu instid0(VALU_DEP_1) | instskip(SKIP_1) | instid1(SALU_CYCLE_1)
	v_cmp_ne_u32_e32 vcc_lo, 0x7f800000, v1
                                        ; implicit-def: $vgpr1
	s_and_saveexec_b32 s3, vcc_lo
	s_xor_b32 s3, exec_lo, s3
; %bb.79:
	v_bfe_u32 v1, v65, 16, 1
	s_delay_alu instid0(VALU_DEP_1)
	v_add3_u32 v1, v65, v1, 0x7fff
; %bb.80:
	s_and_not1_saveexec_b32 s3, s3
; %bb.81:
	v_and_b32_e32 v1, 0xffff, v65
	v_or_b32_e32 v2, 0x10000, v65
	s_delay_alu instid0(VALU_DEP_2) | instskip(NEXT) | instid1(VALU_DEP_2)
	v_cmp_eq_u32_e32 vcc_lo, 0, v1
	v_cndmask_b32_e32 v1, v2, v65, vcc_lo
; %bb.82:
	s_or_b32 exec_lo, exec_lo, s3
	v_and_b32_e32 v2, 0x7f800000, v66
	s_delay_alu instid0(VALU_DEP_1) | instskip(SKIP_1) | instid1(SALU_CYCLE_1)
	v_cmp_ne_u32_e32 vcc_lo, 0x7f800000, v2
                                        ; implicit-def: $vgpr2
	s_and_saveexec_b32 s3, vcc_lo
	s_xor_b32 s3, exec_lo, s3
; %bb.83:
	v_bfe_u32 v2, v66, 16, 1
	s_delay_alu instid0(VALU_DEP_1)
	v_add3_u32 v2, v66, v2, 0x7fff
; %bb.84:
	s_and_not1_saveexec_b32 s3, s3
; %bb.85:
	v_and_b32_e32 v2, 0xffff, v66
	v_or_b32_e32 v3, 0x10000, v66
	s_delay_alu instid0(VALU_DEP_2) | instskip(NEXT) | instid1(VALU_DEP_2)
	v_cmp_eq_u32_e32 vcc_lo, 0, v2
	v_cndmask_b32_e32 v2, v3, v66, vcc_lo
; %bb.86:
	s_or_b32 exec_lo, exec_lo, s3
	v_and_b32_e32 v3, 0x7f800000, v67
	s_delay_alu instid0(VALU_DEP_1) | instskip(SKIP_1) | instid1(SALU_CYCLE_1)
	v_cmp_ne_u32_e32 vcc_lo, 0x7f800000, v3
                                        ; implicit-def: $vgpr3
	s_and_saveexec_b32 s3, vcc_lo
	s_xor_b32 s3, exec_lo, s3
; %bb.87:
	v_bfe_u32 v3, v67, 16, 1
	s_delay_alu instid0(VALU_DEP_1)
	v_add3_u32 v3, v67, v3, 0x7fff
; %bb.88:
	s_and_not1_saveexec_b32 s3, s3
; %bb.89:
	v_and_b32_e32 v3, 0xffff, v67
	v_or_b32_e32 v4, 0x10000, v67
	s_delay_alu instid0(VALU_DEP_2) | instskip(NEXT) | instid1(VALU_DEP_2)
	v_cmp_eq_u32_e32 vcc_lo, 0, v3
	v_cndmask_b32_e32 v3, v4, v67, vcc_lo
; %bb.90:
	s_or_b32 exec_lo, exec_lo, s3
	v_and_b32_e32 v4, 0x7f800000, v68
	s_delay_alu instid0(VALU_DEP_1) | instskip(SKIP_1) | instid1(SALU_CYCLE_1)
	v_cmp_ne_u32_e32 vcc_lo, 0x7f800000, v4
                                        ; implicit-def: $vgpr4
	s_and_saveexec_b32 s3, vcc_lo
	s_xor_b32 s3, exec_lo, s3
; %bb.91:
	v_bfe_u32 v4, v68, 16, 1
	s_delay_alu instid0(VALU_DEP_1)
	v_add3_u32 v4, v68, v4, 0x7fff
; %bb.92:
	s_and_not1_saveexec_b32 s3, s3
; %bb.93:
	v_and_b32_e32 v4, 0xffff, v68
	v_or_b32_e32 v5, 0x10000, v68
	s_delay_alu instid0(VALU_DEP_2) | instskip(NEXT) | instid1(VALU_DEP_2)
	v_cmp_eq_u32_e32 vcc_lo, 0, v4
	v_cndmask_b32_e32 v4, v5, v68, vcc_lo
; %bb.94:
	s_or_b32 exec_lo, exec_lo, s3
	v_and_b32_e32 v5, 0x7f800000, v69
	s_delay_alu instid0(VALU_DEP_1) | instskip(SKIP_1) | instid1(SALU_CYCLE_1)
	v_cmp_ne_u32_e32 vcc_lo, 0x7f800000, v5
                                        ; implicit-def: $vgpr5
	s_and_saveexec_b32 s3, vcc_lo
	s_xor_b32 s3, exec_lo, s3
; %bb.95:
	v_bfe_u32 v5, v69, 16, 1
	s_delay_alu instid0(VALU_DEP_1)
	v_add3_u32 v5, v69, v5, 0x7fff
; %bb.96:
	s_and_not1_saveexec_b32 s3, s3
; %bb.97:
	v_and_b32_e32 v5, 0xffff, v69
	v_or_b32_e32 v6, 0x10000, v69
	s_delay_alu instid0(VALU_DEP_2) | instskip(NEXT) | instid1(VALU_DEP_2)
	v_cmp_eq_u32_e32 vcc_lo, 0, v5
	v_cndmask_b32_e32 v5, v6, v69, vcc_lo
; %bb.98:
	s_or_b32 exec_lo, exec_lo, s3
	v_and_b32_e32 v6, 0x7f800000, v70
	s_delay_alu instid0(VALU_DEP_1) | instskip(SKIP_1) | instid1(SALU_CYCLE_1)
	v_cmp_ne_u32_e32 vcc_lo, 0x7f800000, v6
                                        ; implicit-def: $vgpr6
	s_and_saveexec_b32 s3, vcc_lo
	s_xor_b32 s3, exec_lo, s3
; %bb.99:
	v_bfe_u32 v6, v70, 16, 1
	s_delay_alu instid0(VALU_DEP_1)
	v_add3_u32 v6, v70, v6, 0x7fff
; %bb.100:
	s_and_not1_saveexec_b32 s3, s3
; %bb.101:
	v_and_b32_e32 v6, 0xffff, v70
	v_or_b32_e32 v7, 0x10000, v70
	s_delay_alu instid0(VALU_DEP_2) | instskip(NEXT) | instid1(VALU_DEP_2)
	v_cmp_eq_u32_e32 vcc_lo, 0, v6
	v_cndmask_b32_e32 v6, v7, v70, vcc_lo
; %bb.102:
	s_or_b32 exec_lo, exec_lo, s3
	v_and_b32_e32 v7, 0x7f800000, v71
	s_delay_alu instid0(VALU_DEP_1) | instskip(SKIP_1) | instid1(SALU_CYCLE_1)
	v_cmp_ne_u32_e32 vcc_lo, 0x7f800000, v7
                                        ; implicit-def: $vgpr7
	s_and_saveexec_b32 s3, vcc_lo
	s_xor_b32 s3, exec_lo, s3
; %bb.103:
	v_bfe_u32 v7, v71, 16, 1
	s_delay_alu instid0(VALU_DEP_1)
	v_add3_u32 v7, v71, v7, 0x7fff
; %bb.104:
	s_and_not1_saveexec_b32 s3, s3
; %bb.105:
	v_and_b32_e32 v7, 0xffff, v71
	v_or_b32_e32 v8, 0x10000, v71
	s_delay_alu instid0(VALU_DEP_2) | instskip(NEXT) | instid1(VALU_DEP_2)
	v_cmp_eq_u32_e32 vcc_lo, 0, v7
	v_cndmask_b32_e32 v7, v8, v71, vcc_lo
; %bb.106:
	s_or_b32 exec_lo, exec_lo, s3
	v_and_b32_e32 v8, 0x7f800000, v72
	s_delay_alu instid0(VALU_DEP_1) | instskip(SKIP_1) | instid1(SALU_CYCLE_1)
	v_cmp_ne_u32_e32 vcc_lo, 0x7f800000, v8
                                        ; implicit-def: $vgpr8
	s_and_saveexec_b32 s3, vcc_lo
	s_xor_b32 s3, exec_lo, s3
; %bb.107:
	v_bfe_u32 v8, v72, 16, 1
	s_delay_alu instid0(VALU_DEP_1)
	v_add3_u32 v8, v72, v8, 0x7fff
                                        ; implicit-def: $vgpr65_vgpr66_vgpr67_vgpr68_vgpr69_vgpr70_vgpr71_vgpr72
; %bb.108:
	s_and_not1_saveexec_b32 s3, s3
; %bb.109:
	v_and_b32_e32 v8, 0xffff, v72
	v_or_b32_e32 v9, 0x10000, v72
	s_delay_alu instid0(VALU_DEP_2) | instskip(NEXT) | instid1(VALU_DEP_2)
	v_cmp_eq_u32_e32 vcc_lo, 0, v8
	v_cndmask_b32_e32 v8, v9, v72, vcc_lo
; %bb.110:
	s_or_b32 exec_lo, exec_lo, s3
	s_delay_alu instid0(VALU_DEP_1)
	v_perm_b32 v7, v8, v7, 0x7060302
	v_perm_b32 v6, v6, v5, 0x7060302
	;; [unrolled: 1-line block ×4, first 2 shown]
	s_barrier
	buffer_gl0_inv
	v_cmp_eq_u32_e32 vcc_lo, 1, v79
	ds_store_b128 v77, v[4:7]
	s_waitcnt lgkmcnt(0)
	s_barrier
	buffer_gl0_inv
	ds_load_b128 v[1:4], v83
	ds_load_b128 v[5:8], v83 offset:16
	v_cmp_eq_u32_e64 s3, 1, v80
	v_cmp_eq_u32_e64 s4, 2, v79
	v_cmp_eq_u32_e64 s5, 3, v79
	v_cmp_eq_u32_e64 s7, 2, v78
	v_cmp_eq_u32_e64 s6, 7, v80
	s_waitcnt lgkmcnt(1)
	v_lshrrev_b32_e32 v9, 16, v1
	s_waitcnt lgkmcnt(0)
	v_lshrrev_b32_e32 v13, 16, v5
	v_lshrrev_b32_e32 v10, 16, v2
	;; [unrolled: 1-line block ×4, first 2 shown]
	v_cndmask_b32_e64 v19, v1, v9, s3
	v_cndmask_b32_e32 v18, v5, v13, vcc_lo
	v_cndmask_b32_e64 v20, v5, v13, s3
	v_cndmask_b32_e32 v17, v1, v9, vcc_lo
	v_cmp_eq_u32_e32 vcc_lo, 2, v80
	v_lshrrev_b32_e32 v15, 16, v7
	v_cmp_eq_u32_e64 s3, 1, v78
	v_lshrrev_b32_e32 v12, 16, v4
	v_lshrrev_b32_e32 v16, 16, v8
	v_cndmask_b32_e32 v20, v20, v6, vcc_lo
	v_cndmask_b32_e64 v17, v17, v2, s4
	v_cndmask_b32_e32 v19, v19, v2, vcc_lo
	v_cndmask_b32_e64 v18, v18, v6, s4
	v_cmp_eq_u32_e32 vcc_lo, 4, v79
	v_cmp_eq_u32_e64 s4, 3, v80
	v_cndmask_b32_e64 v17, v17, v10, s5
	v_cndmask_b32_e64 v21, v1, v9, s3
	;; [unrolled: 1-line block ×5, first 2 shown]
	v_cndmask_b32_e32 v17, v17, v3, vcc_lo
	v_cndmask_b32_e64 v20, v20, v14, s4
	v_cndmask_b32_e32 v18, v18, v7, vcc_lo
	v_cmp_eq_u32_e32 vcc_lo, 4, v80
	v_cmp_eq_u32_e64 s4, 5, v80
	v_cmp_eq_u32_e64 s3, 2, v82
	v_cndmask_b32_e64 v21, v21, v2, s7
	v_cmp_eq_u32_e64 s5, 5, v79
	v_cndmask_b32_e32 v19, v19, v3, vcc_lo
	v_cndmask_b32_e32 v20, v20, v7, vcc_lo
	v_cmp_eq_u32_e32 vcc_lo, 6, v80
	s_delay_alu instid0(VALU_DEP_4) | instskip(NEXT) | instid1(VALU_DEP_4)
	v_cndmask_b32_e64 v17, v17, v11, s5
	v_cndmask_b32_e64 v19, v19, v11, s4
	s_delay_alu instid0(VALU_DEP_4) | instskip(SKIP_1) | instid1(VALU_DEP_3)
	v_cndmask_b32_e64 v20, v20, v15, s4
	v_cmp_eq_u32_e64 s4, 1, v82
	v_cndmask_b32_e32 v19, v19, v4, vcc_lo
	v_cndmask_b32_e64 v18, v18, v15, s5
	s_delay_alu instid0(VALU_DEP_3)
	v_cndmask_b32_e64 v1, v1, v9, s4
	v_cndmask_b32_e64 v5, v5, v13, s4
	v_cmp_eq_u32_e64 s4, 3, v78
	v_cndmask_b32_e64 v13, v22, v6, s7
	v_cmp_eq_u32_e64 s7, 3, v82
	v_cndmask_b32_e64 v1, v1, v2, s3
	v_cndmask_b32_e64 v2, v5, v6, s3
	;; [unrolled: 1-line block ×3, first 2 shown]
	v_cmp_eq_u32_e64 s3, 4, v78
	v_cndmask_b32_e64 v6, v13, v14, s4
	v_cndmask_b32_e64 v1, v1, v10, s7
	v_cmp_eq_u32_e64 s4, 4, v82
	v_cndmask_b32_e64 v2, v2, v14, s7
	v_cndmask_b32_e64 v5, v9, v3, s3
	;; [unrolled: 3-line block ×3, first 2 shown]
	v_cndmask_b32_e64 v2, v2, v7, s4
	v_cmp_eq_u32_e64 s3, 5, v82
	v_cmp_eq_u32_e64 s5, 6, v79
	v_cndmask_b32_e64 v5, v5, v11, s7
	v_cmp_eq_u32_e64 s4, 6, v78
	v_cndmask_b32_e64 v3, v6, v15, s7
	v_cndmask_b32_e64 v1, v1, v11, s3
	v_cmp_eq_u32_e64 s7, 6, v82
	v_cndmask_b32_e64 v2, v2, v15, s3
	v_cndmask_b32_e64 v17, v17, v4, s5
	v_cndmask_b32_e64 v18, v18, v8, s5
	v_cmp_eq_u32_e64 s5, 7, v79
	v_cndmask_b32_e64 v5, v5, v4, s4
	;; [unrolled: 4-line block ×3, first 2 shown]
	v_cmp_eq_u32_e64 s4, 7, v78
	v_cndmask_b32_e32 v4, v20, v8, vcc_lo
	v_cndmask_b32_e64 v17, v17, v12, s5
	v_cndmask_b32_e64 v19, v19, v12, s6
	;; [unrolled: 1-line block ×8, first 2 shown]
	s_delay_alu instid0(VALU_DEP_4) | instskip(NEXT) | instid1(VALU_DEP_4)
	v_perm_b32 v4, v2, v1, 0x5040100
	v_perm_b32 v3, v3, v5, 0x5040100
	s_delay_alu instid0(VALU_DEP_4) | instskip(NEXT) | instid1(VALU_DEP_4)
	v_perm_b32 v2, v6, v19, 0x5040100
	v_perm_b32 v1, v7, v17, 0x5040100
	ds_store_b128 v77, v[1:4]
	s_waitcnt lgkmcnt(0)
	s_barrier
	buffer_gl0_inv
	s_and_saveexec_b32 s3, s2
	s_cbranch_execz .LBB1543_2
; %bb.111:
	s_load_b64 s[0:1], s[0:1], 0x68
	v_lshlrev_b32_e32 v0, 10, v0
	s_lshl_b32 s2, s34, 7
	v_lshlrev_b32_e32 v1, 4, v76
	v_mul_lo_u32 v4, s2, v75
	s_mul_i32 s3, s2, s30
	v_and_b32_e32 v0, 0x3800, v0
	s_mul_i32 s2, s3, s8
	s_delay_alu instid0(SALU_CYCLE_1) | instskip(NEXT) | instid1(VALU_DEP_1)
	s_ashr_i32 s3, s2, 31
	v_or3_b32 v0, v0, v74, v1
	s_lshl_b64 s[2:3], s[2:3], 1
	s_delay_alu instid0(VALU_DEP_3)
	v_ashrrev_i32_e32 v5, 31, v4
	ds_load_b128 v[0:3], v0
	v_lshlrev_b64 v[4:5], 1, v[4:5]
	s_waitcnt lgkmcnt(0)
	s_add_u32 s2, s0, s2
	s_addc_u32 s3, s1, s3
	s_lshl_b32 s0, s14, 7
	s_delay_alu instid0(SALU_CYCLE_1) | instskip(NEXT) | instid1(SALU_CYCLE_1)
	s_ashr_i32 s1, s0, 31
	s_lshl_b64 s[0:1], s[0:1], 1
	s_delay_alu instid0(SALU_CYCLE_1) | instskip(SKIP_3) | instid1(VALU_DEP_2)
	s_add_u32 s0, s2, s0
	s_addc_u32 s1, s3, s1
	v_add_co_u32 v4, vcc_lo, s0, v4
	v_add_co_ci_u32_e32 v5, vcc_lo, s1, v5, vcc_lo
	v_add_co_u32 v4, vcc_lo, v4, v73
	s_delay_alu instid0(VALU_DEP_2)
	v_add_co_ci_u32_e32 v5, vcc_lo, 0, v5, vcc_lo
	global_store_b128 v[4:5], v[0:3], off
	s_nop 0
	s_sendmsg sendmsg(MSG_DEALLOC_VGPRS)
	s_endpgm
	.section	.rodata,"a",@progbits
	.p2align	6, 0x0
	.amdhsa_kernel _Z39paged_attention_ll4mi_QKV_mfma16_kernelI14__hip_bfloat16hLN4vllm18Fp8KVCacheDataTypeE1EhLi16ELi128ELi256ELb0ELi2EL8MFMAType1EEvPKT_PKT0_S9_ifPKiSB_SB_iPKfiiiPfSE_PS4_PT2_iSD_SD_
		.amdhsa_group_segment_fixed_size 17472
		.amdhsa_private_segment_fixed_size 0
		.amdhsa_kernarg_size 400
		.amdhsa_user_sgpr_count 13
		.amdhsa_user_sgpr_dispatch_ptr 0
		.amdhsa_user_sgpr_queue_ptr 0
		.amdhsa_user_sgpr_kernarg_segment_ptr 1
		.amdhsa_user_sgpr_dispatch_id 0
		.amdhsa_user_sgpr_private_segment_size 0
		.amdhsa_wavefront_size32 1
		.amdhsa_uses_dynamic_stack 0
		.amdhsa_enable_private_segment 0
		.amdhsa_system_sgpr_workgroup_id_x 1
		.amdhsa_system_sgpr_workgroup_id_y 1
		.amdhsa_system_sgpr_workgroup_id_z 1
		.amdhsa_system_sgpr_workgroup_info 0
		.amdhsa_system_vgpr_workitem_id 0
		.amdhsa_next_free_vgpr 138
		.amdhsa_next_free_sgpr 36
		.amdhsa_reserve_vcc 1
		.amdhsa_float_round_mode_32 0
		.amdhsa_float_round_mode_16_64 0
		.amdhsa_float_denorm_mode_32 3
		.amdhsa_float_denorm_mode_16_64 3
		.amdhsa_dx10_clamp 1
		.amdhsa_ieee_mode 1
		.amdhsa_fp16_overflow 0
		.amdhsa_workgroup_processor_mode 1
		.amdhsa_memory_ordered 1
		.amdhsa_forward_progress 0
		.amdhsa_shared_vgpr_count 0
		.amdhsa_exception_fp_ieee_invalid_op 0
		.amdhsa_exception_fp_denorm_src 0
		.amdhsa_exception_fp_ieee_div_zero 0
		.amdhsa_exception_fp_ieee_overflow 0
		.amdhsa_exception_fp_ieee_underflow 0
		.amdhsa_exception_fp_ieee_inexact 0
		.amdhsa_exception_int_div_zero 0
	.end_amdhsa_kernel
	.section	.text._Z39paged_attention_ll4mi_QKV_mfma16_kernelI14__hip_bfloat16hLN4vllm18Fp8KVCacheDataTypeE1EhLi16ELi128ELi256ELb0ELi2EL8MFMAType1EEvPKT_PKT0_S9_ifPKiSB_SB_iPKfiiiPfSE_PS4_PT2_iSD_SD_,"axG",@progbits,_Z39paged_attention_ll4mi_QKV_mfma16_kernelI14__hip_bfloat16hLN4vllm18Fp8KVCacheDataTypeE1EhLi16ELi128ELi256ELb0ELi2EL8MFMAType1EEvPKT_PKT0_S9_ifPKiSB_SB_iPKfiiiPfSE_PS4_PT2_iSD_SD_,comdat
.Lfunc_end1543:
	.size	_Z39paged_attention_ll4mi_QKV_mfma16_kernelI14__hip_bfloat16hLN4vllm18Fp8KVCacheDataTypeE1EhLi16ELi128ELi256ELb0ELi2EL8MFMAType1EEvPKT_PKT0_S9_ifPKiSB_SB_iPKfiiiPfSE_PS4_PT2_iSD_SD_, .Lfunc_end1543-_Z39paged_attention_ll4mi_QKV_mfma16_kernelI14__hip_bfloat16hLN4vllm18Fp8KVCacheDataTypeE1EhLi16ELi128ELi256ELb0ELi2EL8MFMAType1EEvPKT_PKT0_S9_ifPKiSB_SB_iPKfiiiPfSE_PS4_PT2_iSD_SD_
                                        ; -- End function
	.section	.AMDGPU.csdata,"",@progbits
; Kernel info:
; codeLenInByte = 8624
; NumSgprs: 38
; NumVgprs: 138
; ScratchSize: 0
; MemoryBound: 0
; FloatMode: 240
; IeeeMode: 1
; LDSByteSize: 17472 bytes/workgroup (compile time only)
; SGPRBlocks: 4
; VGPRBlocks: 17
; NumSGPRsForWavesPerEU: 38
; NumVGPRsForWavesPerEU: 138
; Occupancy: 10
; WaveLimiterHint : 1
; COMPUTE_PGM_RSRC2:SCRATCH_EN: 0
; COMPUTE_PGM_RSRC2:USER_SGPR: 13
; COMPUTE_PGM_RSRC2:TRAP_HANDLER: 0
; COMPUTE_PGM_RSRC2:TGID_X_EN: 1
; COMPUTE_PGM_RSRC2:TGID_Y_EN: 1
; COMPUTE_PGM_RSRC2:TGID_Z_EN: 1
; COMPUTE_PGM_RSRC2:TIDIG_COMP_CNT: 0
	.section	.text._Z39paged_attention_ll4mi_QKV_mfma16_kernelI14__hip_bfloat16hLN4vllm18Fp8KVCacheDataTypeE1EhLi16ELi128ELi256ELb0ELi3EL8MFMAType1EEvPKT_PKT0_S9_ifPKiSB_SB_iPKfiiiPfSE_PS4_PT2_iSD_SD_,"axG",@progbits,_Z39paged_attention_ll4mi_QKV_mfma16_kernelI14__hip_bfloat16hLN4vllm18Fp8KVCacheDataTypeE1EhLi16ELi128ELi256ELb0ELi3EL8MFMAType1EEvPKT_PKT0_S9_ifPKiSB_SB_iPKfiiiPfSE_PS4_PT2_iSD_SD_,comdat
	.protected	_Z39paged_attention_ll4mi_QKV_mfma16_kernelI14__hip_bfloat16hLN4vllm18Fp8KVCacheDataTypeE1EhLi16ELi128ELi256ELb0ELi3EL8MFMAType1EEvPKT_PKT0_S9_ifPKiSB_SB_iPKfiiiPfSE_PS4_PT2_iSD_SD_ ; -- Begin function _Z39paged_attention_ll4mi_QKV_mfma16_kernelI14__hip_bfloat16hLN4vllm18Fp8KVCacheDataTypeE1EhLi16ELi128ELi256ELb0ELi3EL8MFMAType1EEvPKT_PKT0_S9_ifPKiSB_SB_iPKfiiiPfSE_PS4_PT2_iSD_SD_
	.globl	_Z39paged_attention_ll4mi_QKV_mfma16_kernelI14__hip_bfloat16hLN4vllm18Fp8KVCacheDataTypeE1EhLi16ELi128ELi256ELb0ELi3EL8MFMAType1EEvPKT_PKT0_S9_ifPKiSB_SB_iPKfiiiPfSE_PS4_PT2_iSD_SD_
	.p2align	8
	.type	_Z39paged_attention_ll4mi_QKV_mfma16_kernelI14__hip_bfloat16hLN4vllm18Fp8KVCacheDataTypeE1EhLi16ELi128ELi256ELb0ELi3EL8MFMAType1EEvPKT_PKT0_S9_ifPKiSB_SB_iPKfiiiPfSE_PS4_PT2_iSD_SD_,@function
_Z39paged_attention_ll4mi_QKV_mfma16_kernelI14__hip_bfloat16hLN4vllm18Fp8KVCacheDataTypeE1EhLi16ELi128ELi256ELb0ELi3EL8MFMAType1EEvPKT_PKT0_S9_ifPKiSB_SB_iPKfiiiPfSE_PS4_PT2_iSD_SD_: ; @_Z39paged_attention_ll4mi_QKV_mfma16_kernelI14__hip_bfloat16hLN4vllm18Fp8KVCacheDataTypeE1EhLi16ELi128ELi256ELb0ELi3EL8MFMAType1EEvPKT_PKT0_S9_ifPKiSB_SB_iPKfiiiPfSE_PS4_PT2_iSD_SD_
; %bb.0:
	s_load_b64 s[4:5], s[0:1], 0x30
	s_mov_b32 s30, s13
	s_waitcnt lgkmcnt(0)
	s_cmp_lg_u64 s[4:5], 0
	s_cselect_b32 s13, -1, 0
	s_ashr_i32 s31, s30, 31
	s_cmp_eq_u64 s[4:5], 0
	s_cbranch_scc1 .LBB1544_3
; %bb.1:
	s_lshl_b64 s[2:3], s[30:31], 2
	s_delay_alu instid0(SALU_CYCLE_1) | instskip(SKIP_4) | instid1(SALU_CYCLE_1)
	s_add_u32 s2, s4, s2
	s_addc_u32 s3, s5, s3
	s_load_b64 s[2:3], s[2:3], 0x0
	s_waitcnt lgkmcnt(0)
	s_sub_i32 s2, s3, s2
	s_cmp_eq_u32 s2, 1
	s_cselect_b32 s2, -1, 0
	s_delay_alu instid0(SALU_CYCLE_1)
	s_and_not1_b32 vcc_lo, exec_lo, s2
	s_cbranch_vccz .LBB1544_4
.LBB1544_2:
	s_nop 0
	s_sendmsg sendmsg(MSG_DEALLOC_VGPRS)
	s_endpgm
.LBB1544_3:
.LBB1544_4:
	s_load_b64 s[2:3], s[0:1], 0x28
	s_lshl_b64 s[6:7], s[30:31], 2
	s_waitcnt lgkmcnt(0)
	s_add_u32 s2, s2, s6
	s_addc_u32 s3, s3, s7
	s_lshl_b32 s12, s14, 8
	s_load_b32 s17, s[2:3], 0x0
	s_waitcnt lgkmcnt(0)
	s_cmp_ge_i32 s12, s17
	s_cbranch_scc1 .LBB1544_2
; %bb.5:
	s_clause 0x1
	s_load_b128 s[8:11], s[0:1], 0x8
	s_load_b64 s[2:3], s[0:1], 0x20
	s_and_not1_b32 vcc_lo, exec_lo, s13
	s_cbranch_vccnz .LBB1544_7
; %bb.6:
	s_add_u32 s4, s4, s6
	s_addc_u32 s5, s5, s7
	s_load_b32 s13, s[4:5], 0x0
	s_branch .LBB1544_8
.LBB1544_7:
	s_mov_b32 s13, s30
.LBB1544_8:
	s_load_b128 s[4:7], s[0:1], 0x48
	v_and_b32_e32 v65, 15, v0
	v_lshrrev_b32_e32 v66, 5, v0
	v_bfe_u32 v74, v0, 4, 1
	v_and_b32_e32 v67, 31, v0
	v_and_b32_e32 v75, 1, v0
	v_lshlrev_b32_e32 v2, 3, v65
	s_mul_i32 s31, s15, 3
	v_lshl_or_b32 v1, v66, 1, v74
	s_waitcnt lgkmcnt(0)
	s_mov_b32 s7, exec_lo
	v_lshlrev_b32_e32 v73, 1, v2
	s_delay_alu instid0(VALU_DEP_2)
	v_cmpx_gt_u32_e32 3, v1
	s_cbranch_execz .LBB1544_10
; %bb.9:
	s_load_b64 s[18:19], s[0:1], 0x0
	v_add_lshl_u32 v2, v1, s31, 7
	s_mul_hi_i32 s21, s13, s4
	s_mul_i32 s20, s13, s4
	v_lshlrev_b32_e32 v6, 10, v65
	s_lshl_b64 s[20:21], s[20:21], 1
	v_ashrrev_i32_e32 v3, 31, v2
	v_lshlrev_b32_e32 v1, 6, v1
	v_lshlrev_b32_e32 v7, 10, v75
	v_and_b32_e32 v6, 0x3800, v6
	s_delay_alu instid0(VALU_DEP_4) | instskip(NEXT) | instid1(VALU_DEP_2)
	v_lshlrev_b64 v[2:3], 1, v[2:3]
	v_or3_b32 v1, v6, v7, v1
	s_waitcnt lgkmcnt(0)
	s_add_u32 s4, s18, s20
	s_addc_u32 s13, s19, s21
	s_delay_alu instid0(VALU_DEP_2) | instskip(SKIP_1) | instid1(VALU_DEP_2)
	v_add_co_u32 v2, vcc_lo, s4, v2
	v_add_co_ci_u32_e32 v3, vcc_lo, s13, v3, vcc_lo
	v_add_co_u32 v2, vcc_lo, v2, v73
	s_delay_alu instid0(VALU_DEP_2)
	v_add_co_ci_u32_e32 v3, vcc_lo, 0, v3, vcc_lo
	global_load_b128 v[2:5], v[2:3], off
	s_waitcnt vmcnt(0)
	ds_store_b128 v1, v[2:5]
.LBB1544_10:
	s_or_b32 exec_lo, exec_lo, s7
	v_and_b32_e32 v1, 0xef, v0
	s_add_i32 s4, s17, 15
	s_clause 0x1
	s_load_b32 s7, s[0:1], 0x38
	s_load_b32 s18, s[0:1], 0x1c
	s_ashr_i32 s13, s4, 31
	v_add_nc_u32_e32 v2, s12, v1
	s_lshr_b32 s13, s13, 28
	s_waitcnt lgkmcnt(0)
	s_add_i32 s4, s4, s13
	s_barrier
	v_ashrrev_i32_e32 v1, 31, v2
	s_ashr_i32 s4, s4, 4
	v_cmp_gt_i32_e32 vcc_lo, s17, v2
	s_add_i32 s4, s4, -1
	buffer_gl0_inv
	v_lshrrev_b32_e32 v3, 28, v1
	v_or_b32_e32 v1, 16, v2
	s_mul_i32 s15, s15, s6
	s_delay_alu instid0(VALU_DEP_2) | instskip(SKIP_1) | instid1(SALU_CYCLE_1)
	v_add_nc_u32_e32 v4, v2, v3
	s_mul_i32 s20, s30, s7
	s_ashr_i32 s21, s20, 31
	s_delay_alu instid0(VALU_DEP_1) | instskip(SKIP_2) | instid1(SALU_CYCLE_1)
	v_ashrrev_i32_e32 v4, 4, v4
	v_add_nc_u32_e32 v3, v1, v3
	s_lshl_b64 s[20:21], s[20:21], 2
	s_add_u32 s2, s2, s20
	s_delay_alu instid0(VALU_DEP_2) | instskip(NEXT) | instid1(VALU_DEP_2)
	v_cndmask_b32_e32 v2, s4, v4, vcc_lo
	v_ashrrev_i32_e32 v3, 4, v3
	v_cmp_gt_i32_e32 vcc_lo, s17, v1
	s_addc_u32 s3, s3, s21
	s_ashr_i32 s6, s15, 31
	s_add_u32 s7, s8, s15
	s_addc_u32 s13, s9, s6
	v_cndmask_b32_e32 v4, s4, v3, vcc_lo
	v_ashrrev_i32_e32 v3, 31, v2
	s_lshl_b32 s8, s14, 4
	s_delay_alu instid0(SALU_CYCLE_1) | instskip(NEXT) | instid1(VALU_DEP_2)
	s_ashr_i32 s9, s8, 31
	v_ashrrev_i32_e32 v5, 31, v4
	s_delay_alu instid0(VALU_DEP_2) | instskip(SKIP_1) | instid1(SALU_CYCLE_1)
	v_lshlrev_b64 v[1:2], 2, v[2:3]
	s_lshl_b64 s[8:9], s[8:9], 2
	s_add_u32 s8, s2, s8
	s_delay_alu instid0(VALU_DEP_2) | instskip(SKIP_1) | instid1(VALU_DEP_2)
	v_lshlrev_b64 v[3:4], 2, v[4:5]
	s_addc_u32 s9, s3, s9
	v_add_co_u32 v1, vcc_lo, s2, v1
	v_add_co_ci_u32_e32 v2, vcc_lo, s3, v2, vcc_lo
	s_delay_alu instid0(VALU_DEP_3) | instskip(NEXT) | instid1(VALU_DEP_4)
	v_add_co_u32 v3, vcc_lo, s2, v3
	v_add_co_ci_u32_e32 v4, vcc_lo, s3, v4, vcc_lo
	s_clause 0x1
	global_load_b32 v5, v[1:2], off
	global_load_b32 v3, v[3:4], off
	v_lshlrev_b32_e32 v1, 4, v0
	s_or_b32 s16, s12, 32
	s_delay_alu instid0(SALU_CYCLE_1) | instskip(SKIP_1) | instid1(VALU_DEP_1)
	s_ashr_i32 s19, s16, 4
	s_cmp_lt_i32 s16, s17
	v_and_b32_e32 v1, 0xf0, v1
	s_cselect_b32 s20, s19, s4
	s_delay_alu instid0(SALU_CYCLE_1) | instskip(NEXT) | instid1(SALU_CYCLE_1)
	s_ashr_i32 s21, s20, 31
	s_lshl_b64 s[20:21], s[20:21], 2
	s_delay_alu instid0(VALU_DEP_1)
	v_add_co_u32 v1, s7, s7, v1
	s_add_u32 s20, s2, s20
	s_addc_u32 s21, s3, s21
	s_or_b32 s16, s12, 64
	v_add_co_ci_u32_e64 v2, null, s13, 0, s7
	s_ashr_i32 s19, s16, 4
	s_cmp_lt_i32 s16, s17
	s_cselect_b32 s22, s19, s4
	s_delay_alu instid0(SALU_CYCLE_1) | instskip(NEXT) | instid1(SALU_CYCLE_1)
	s_ashr_i32 s23, s22, 31
	s_lshl_b64 s[22:23], s[22:23], 2
	s_delay_alu instid0(SALU_CYCLE_1) | instskip(SKIP_2) | instid1(SALU_CYCLE_1)
	s_add_u32 s22, s2, s22
	s_addc_u32 s23, s3, s23
	s_or_b32 s16, s12, 0x60
	s_ashr_i32 s19, s16, 4
	s_cmp_lt_i32 s16, s17
	s_cselect_b32 s24, s19, s4
	s_delay_alu instid0(SALU_CYCLE_1) | instskip(NEXT) | instid1(SALU_CYCLE_1)
	s_ashr_i32 s25, s24, 31
	s_lshl_b64 s[24:25], s[24:25], 2
	s_delay_alu instid0(SALU_CYCLE_1) | instskip(SKIP_2) | instid1(SALU_CYCLE_1)
	s_add_u32 s24, s2, s24
	s_addc_u32 s25, s3, s25
	s_or_b32 s16, s12, 0x80
	;; [unrolled: 10-line block ×3, first 2 shown]
	s_ashr_i32 s19, s16, 4
	s_cmp_lt_i32 s16, s17
	s_cselect_b32 s28, s19, s4
	s_delay_alu instid0(SALU_CYCLE_1) | instskip(NEXT) | instid1(SALU_CYCLE_1)
	s_ashr_i32 s29, s28, 31
	s_lshl_b64 s[28:29], s[28:29], 2
	s_delay_alu instid0(SALU_CYCLE_1)
	s_add_u32 s28, s2, s28
	s_addc_u32 s29, s3, s29
	s_clause 0x5
	s_load_b32 s7, s[8:9], 0x0
	s_load_b32 s13, s[20:21], 0x0
	;; [unrolled: 1-line block ×6, first 2 shown]
	s_or_b32 s8, s12, 0xc0
	s_mov_b32 s20, 0
	s_ashr_i32 s9, s8, 4
	s_cmp_lt_i32 s8, s17
	s_mov_b32 s27, s20
	s_cselect_b32 s8, s9, s4
	s_mov_b32 s21, s20
	s_ashr_i32 s9, s8, 31
	s_mov_b32 s22, s20
	s_lshl_b64 s[8:9], s[8:9], 2
	s_mov_b32 s23, s20
	s_mov_b32 s24, s20
	;; [unrolled: 1-line block ×4, first 2 shown]
	v_dual_mov_b32 v107, s27 :: v_dual_mov_b32 v104, s24
	s_add_u32 s8, s2, s8
	v_dual_mov_b32 v106, s26 :: v_dual_mov_b32 v105, s25
	v_dual_mov_b32 v101, s21 :: v_dual_mov_b32 v100, s20
	s_addc_u32 s9, s3, s9
	v_dual_mov_b32 v103, s23 :: v_dual_mov_b32 v102, s22
	s_or_b32 s20, s12, 0xe0
	s_delay_alu instid0(SALU_CYCLE_1) | instskip(SKIP_2) | instid1(SALU_CYCLE_1)
	s_ashr_i32 s21, s20, 4
	s_cmp_lt_i32 s20, s17
	s_cselect_b32 s20, s21, s4
	s_ashr_i32 s21, s20, 31
	s_delay_alu instid0(SALU_CYCLE_1) | instskip(NEXT) | instid1(SALU_CYCLE_1)
	s_lshl_b64 s[20:21], s[20:21], 2
	s_add_u32 s2, s2, s20
	s_addc_u32 s3, s3, s21
	s_waitcnt vmcnt(1)
	v_mad_i64_i32 v[25:26], null, v5, s5, v[1:2]
	s_waitcnt vmcnt(0)
	v_mad_i64_i32 v[27:28], null, v3, s5, v[1:2]
	s_clause 0xf
	global_load_b128 v[1:4], v[25:26], off
	global_load_b128 v[5:8], v[25:26], off offset:256
	global_load_b128 v[9:12], v[27:28], off
	global_load_b128 v[13:16], v[27:28], off offset:256
	global_load_b128 v[17:20], v[25:26], off offset:512
	;; [unrolled: 1-line block ×13, first 2 shown]
	v_mul_lo_u16 v25, 0x56, v65
	v_lshlrev_b32_e32 v26, 4, v65
	s_delay_alu instid0(VALU_DEP_2) | instskip(NEXT) | instid1(VALU_DEP_2)
	v_lshrrev_b16 v25, 8, v25
	v_lshl_or_b32 v33, v66, 8, v26
	s_delay_alu instid0(VALU_DEP_2) | instskip(NEXT) | instid1(VALU_DEP_1)
	v_mul_lo_u16 v25, v25, 3
	v_sub_nc_u16 v25, v65, v25
	s_delay_alu instid0(VALU_DEP_1) | instskip(NEXT) | instid1(VALU_DEP_1)
	v_and_b32_e32 v25, 0xff, v25
	v_lshlrev_b32_e32 v72, 6, v25
	ds_load_b128 v[25:28], v72
	ds_load_b128 v[29:32], v72 offset:1024
	ds_load_b128 v[108:111], v72 offset:2048
	ds_load_b128 v[112:115], v72 offset:3072
	s_load_b32 s4, s[8:9], 0x0
	ds_load_b128 v[116:119], v72 offset:4096
	ds_load_b128 v[120:123], v72 offset:5120
	s_load_b32 s2, s[2:3], 0x0
	s_add_u32 s8, s10, s15
	s_addc_u32 s6, s11, s6
	v_add_co_u32 v68, s8, s8, v33
	s_delay_alu instid0(VALU_DEP_1) | instskip(SKIP_1) | instid1(VALU_DEP_1)
	v_add_co_ci_u32_e64 v69, null, s6, 0, s8
	s_waitcnt lgkmcnt(0)
	v_mad_i64_i32 v[33:34], null, s7, s5, v[68:69]
	v_mad_i64_i32 v[70:71], null, s16, s5, v[68:69]
	;; [unrolled: 1-line block ×7, first 2 shown]
	s_clause 0x3
	global_load_b128 v[41:44], v[33:34], off
	global_load_b128 v[45:48], v[33:34], off offset:16
	global_load_b128 v[33:36], v[37:38], off
	global_load_b128 v[37:40], v[37:38], off offset:16
	s_waitcnt vmcnt(18)
	v_wmma_f32_16x16x16_bf16 v[124:131], v[1:8], v[25:32], v[100:107]
	s_waitcnt vmcnt(16)
	v_wmma_f32_16x16x16_bf16 v[100:107], v[9:16], v[25:32], v[100:107]
	s_clause 0x1
	global_load_b128 v[25:28], v[70:71], off
	global_load_b128 v[29:32], v[70:71], off offset:16
	s_waitcnt vmcnt(16)
	v_wmma_f32_16x16x16_bf16 v[124:131], v[17:24], v[108:115], v[124:131]
	s_clause 0x1
	global_load_b128 v[17:20], v[132:133], off
	global_load_b128 v[21:24], v[132:133], off offset:16
	s_waitcnt vmcnt(16)
	v_wmma_f32_16x16x16_bf16 v[100:107], v[49:56], v[108:115], v[100:107]
	v_mad_i64_i32 v[53:54], null, s2, s5, v[68:69]
	s_clause 0x3
	global_load_b128 v[1:4], v[134:135], off
	global_load_b128 v[5:8], v[134:135], off offset:16
	global_load_b128 v[9:12], v[136:137], off
	global_load_b128 v[13:16], v[136:137], off offset:16
	s_waitcnt vmcnt(18)
	v_wmma_f32_16x16x16_bf16 v[124:131], v[57:64], v[116:123], v[124:131]
	s_clause 0x3
	global_load_b128 v[57:60], v[138:139], off
	global_load_b128 v[61:64], v[138:139], off offset:16
	global_load_b128 v[49:52], v[53:54], off
	global_load_b128 v[53:56], v[53:54], off offset:16
	v_mbcnt_lo_u32_b32 v69, -1, 0
	s_waitcnt vmcnt(20)
	v_wmma_f32_16x16x16_bf16 v[100:107], v[76:83], v[116:123], v[100:107]
	s_delay_alu instid0(VALU_DEP_2) | instskip(NEXT) | instid1(VALU_DEP_1)
	v_xor_b32_e32 v70, 16, v69
	v_cmp_gt_i32_e32 vcc_lo, 32, v70
	v_cndmask_b32_e32 v69, v69, v70, vcc_lo
	ds_load_b128 v[76:79], v72 offset:6144
	ds_load_b128 v[80:83], v72 offset:7168
	s_waitcnt vmcnt(0) lgkmcnt(0)
	s_barrier
	buffer_gl0_inv
	v_wmma_f32_16x16x16_bf16 v[124:131], v[84:91], v[76:83], v[124:131]
	v_and_b32_e32 v68, 0xe0, v0
	v_wmma_f32_16x16x16_bf16 v[100:107], v[92:99], v[76:83], v[100:107]
	s_delay_alu instid0(VALU_DEP_2) | instskip(NEXT) | instid1(VALU_DEP_4)
	v_dual_mul_f32 v79, s18, v127 :: v_dual_add_nc_u32 v68, s12, v68
	v_mul_f32_e32 v81, s18, v129
	v_dual_mul_f32 v78, s18, v125 :: v_dual_mul_f32 v83, s18, v131
	s_delay_alu instid0(VALU_DEP_4) | instskip(NEXT) | instid1(VALU_DEP_4)
	v_dual_mul_f32 v80, s18, v126 :: v_dual_mul_f32 v95, s18, v103
	v_or_b32_e32 v68, v68, v74
	v_dual_mul_f32 v93, s18, v101 :: v_dual_mul_f32 v82, s18, v128
	v_dual_mul_f32 v97, s18, v105 :: v_dual_mul_f32 v92, s18, v130
	v_mul_f32_e32 v99, s18, v107
	s_delay_alu instid0(VALU_DEP_4)
	v_or_b32_e32 v70, 2, v68
	v_or_b32_e32 v71, 4, v68
	;; [unrolled: 1-line block ×3, first 2 shown]
	v_cmp_gt_i32_e64 s2, s17, v68
	v_or_b32_e32 v108, 8, v68
	v_cmp_gt_i32_e32 vcc_lo, s17, v70
	v_mul_f32_e32 v70, s18, v124
	v_or_b32_e32 v109, 10, v68
	v_cmp_gt_i32_e64 s3, s17, v71
	v_cmp_gt_i32_e64 s4, s17, v72
	v_cndmask_b32_e32 v78, 0xff7fffff, v78, vcc_lo
	v_cndmask_b32_e64 v70, 0xff7fffff, v70, s2
	v_or_b32_e32 v84, 12, v68
	v_or_b32_e32 v85, 14, v68
	v_cndmask_b32_e64 v71, 0xff7fffff, v80, s3
	v_cndmask_b32_e64 v72, 0xff7fffff, v79, s4
	v_max3_f32 v70, v70, 0xff7fffff, v78
	v_cmp_gt_i32_e64 s5, s17, v108
	v_cmp_gt_i32_e64 s6, s17, v109
	v_or_b32_e32 v86, 16, v68
	v_or_b32_e32 v87, 18, v68
	v_max3_f32 v70, v70, v71, v72
	v_cndmask_b32_e64 v78, 0xff7fffff, v82, s5
	v_cndmask_b32_e64 v79, 0xff7fffff, v81, s6
	v_cmp_gt_i32_e64 s7, s17, v84
	v_cmp_gt_i32_e64 s8, s17, v85
	v_or_b32_e32 v88, 20, v68
	v_or_b32_e32 v89, 22, v68
	v_mul_f32_e32 v94, s18, v100
	v_cndmask_b32_e64 v71, 0xff7fffff, v92, s7
	v_cndmask_b32_e64 v72, 0xff7fffff, v83, s8
	v_max3_f32 v70, v70, v78, v79
	v_cmp_gt_i32_e64 s9, s17, v86
	v_cmp_gt_i32_e64 s10, s17, v87
	v_or_b32_e32 v90, 24, v68
	v_or_b32_e32 v91, 26, v68
	v_mul_f32_e32 v96, s18, v102
	v_max3_f32 v70, v70, v71, v72
	v_cndmask_b32_e64 v79, 0xff7fffff, v93, s10
	v_cmp_gt_i32_e64 s11, s17, v88
	v_cmp_gt_i32_e64 s12, s17, v89
	v_lshlrev_b32_e32 v89, 2, v69
	v_cndmask_b32_e64 v78, 0xff7fffff, v94, s9
	v_or_b32_e32 v76, 28, v68
	v_or_b32_e32 v77, 30, v68
	v_mul_f32_e32 v98, s18, v104
	v_cndmask_b32_e64 v71, 0xff7fffff, v96, s11
	v_cndmask_b32_e64 v72, 0xff7fffff, v95, s12
	v_max3_f32 v70, v70, v78, v79
	v_cmp_gt_i32_e64 s13, s17, v90
	v_cmp_gt_i32_e64 s15, s17, v91
	v_mul_f32_e32 v68, s18, v106
	v_cmp_gt_i32_e64 s16, s17, v76
	v_max3_f32 v70, v70, v71, v72
	v_cndmask_b32_e64 v78, 0xff7fffff, v98, s13
	v_cndmask_b32_e64 v79, 0xff7fffff, v97, s15
	v_cmp_gt_i32_e64 s17, s17, v77
	v_cndmask_b32_e64 v68, 0xff7fffff, v68, s16
	s_delay_alu instid0(VALU_DEP_3) | instskip(NEXT) | instid1(VALU_DEP_3)
	v_max3_f32 v70, v70, v78, v79
	v_cndmask_b32_e64 v71, 0xff7fffff, v99, s17
	s_delay_alu instid0(VALU_DEP_1) | instskip(SKIP_3) | instid1(VALU_DEP_1)
	v_max3_f32 v68, v70, v68, v71
	ds_bpermute_b32 v69, v89, v68
	s_waitcnt lgkmcnt(0)
	v_max_f32_e32 v69, v69, v69
	v_max_f32_e32 v68, v68, v69
	s_delay_alu instid0(VALU_DEP_1) | instskip(NEXT) | instid1(VALU_DEP_1)
	v_fma_f32 v76, s18, v128, -v68
	v_mul_f32_e32 v77, 0x3fb8aa3b, v76
	v_fma_f32 v71, s18, v126, -v68
	v_fma_f32 v69, s18, v124, -v68
	;; [unrolled: 1-line block ×4, first 2 shown]
	v_exp_f32_e32 v77, v77
	v_mul_f32_e32 v71, 0x3fb8aa3b, v71
	v_mul_f32_e32 v69, 0x3fb8aa3b, v69
	v_fma_f32 v81, s18, v105, -v68
	v_fma_f32 v78, s18, v130, -v68
	s_delay_alu instid0(VALU_DEP_4) | instskip(NEXT) | instid1(VALU_DEP_3)
	v_exp_f32_e32 v71, v71
	v_exp_f32_e32 v69, v69
	s_delay_alu instid0(VALU_DEP_2) | instskip(NEXT) | instid1(TRANS32_DEP_3)
	v_mul_f32_e32 v81, 0x3fb8aa3b, v81
	v_cndmask_b32_e64 v86, 0, v77, s5
	v_fma_f32 v77, s18, v101, -v68
	s_delay_alu instid0(VALU_DEP_3) | instskip(NEXT) | instid1(TRANS32_DEP_3)
	v_exp_f32_e32 v81, v81
	v_cndmask_b32_e64 v83, 0, v71, s3
	v_fma_f32 v71, s18, v131, -v68
	v_mul_f32_e32 v72, 0x3fb8aa3b, v72
	s_delay_alu instid0(TRANS32_DEP_2) | instskip(SKIP_1) | instid1(VALU_DEP_4)
	v_cndmask_b32_e64 v80, 0, v69, s2
	v_fma_f32 v69, s18, v129, -v68
	v_dual_mul_f32 v70, 0x3fb8aa3b, v70 :: v_dual_mul_f32 v71, 0x3fb8aa3b, v71
	s_delay_alu instid0(VALU_DEP_4) | instskip(SKIP_1) | instid1(VALU_DEP_3)
	v_exp_f32_e32 v72, v72
	v_mul_f32_e32 v77, 0x3fb8aa3b, v77
	v_mul_f32_e32 v69, 0x3fb8aa3b, v69
	s_delay_alu instid0(VALU_DEP_3)
	v_exp_f32_e32 v70, v70
	v_exp_f32_e32 v71, v71
	v_cmp_gt_u32_e64 s2, 16, v67
	v_exp_f32_e32 v77, v77
	v_exp_f32_e32 v69, v69
	v_cndmask_b32_e64 v85, 0, v72, s4
	v_fma_f32 v72, s18, v100, -v68
	v_cndmask_b32_e32 v76, 0, v70, vcc_lo
	s_delay_alu instid0(TRANS32_DEP_3) | instskip(SKIP_2) | instid1(TRANS32_DEP_1)
	v_cndmask_b32_e64 v88, 0, v71, s8
	v_fma_f32 v71, s18, v104, -v68
	v_add_f32_e32 v70, 0, v80
	v_cndmask_b32_e64 v87, 0, v69, s6
	s_delay_alu instid0(VALU_DEP_2) | instskip(NEXT) | instid1(VALU_DEP_1)
	v_dual_mul_f32 v71, 0x3fb8aa3b, v71 :: v_dual_add_f32 v70, v70, v76
	v_exp_f32_e32 v82, v71
	s_delay_alu instid0(VALU_DEP_1) | instskip(NEXT) | instid1(VALU_DEP_1)
	v_add_f32_e32 v70, v70, v83
	v_add_f32_e32 v70, v70, v85
	s_delay_alu instid0(VALU_DEP_1) | instskip(SKIP_1) | instid1(VALU_DEP_2)
	v_dual_mul_f32 v72, 0x3fb8aa3b, v72 :: v_dual_add_f32 v69, v70, v86
	v_fma_f32 v70, s18, v102, -v68
	v_exp_f32_e32 v72, v72
	s_delay_alu instid0(VALU_DEP_2) | instskip(NEXT) | instid1(VALU_DEP_2)
	v_dual_add_f32 v69, v69, v87 :: v_dual_mul_f32 v78, 0x3fb8aa3b, v78
	v_mul_f32_e32 v70, 0x3fb8aa3b, v70
	s_delay_alu instid0(VALU_DEP_2) | instskip(NEXT) | instid1(VALU_DEP_1)
	v_exp_f32_e32 v78, v78
	v_exp_f32_e32 v79, v70
	s_delay_alu instid0(TRANS32_DEP_3) | instskip(SKIP_4) | instid1(VALU_DEP_3)
	v_cndmask_b32_e64 v70, 0, v72, s9
	s_waitcnt_depctr 0xfff
	v_cndmask_b32_e64 v84, 0, v78, s7
	v_fma_f32 v78, s18, v103, -v68
	v_cndmask_b32_e64 v71, 0, v79, s11
	v_add_f32_e32 v69, v69, v84
	s_delay_alu instid0(VALU_DEP_1) | instskip(SKIP_2) | instid1(VALU_DEP_1)
	v_add_f32_e32 v72, v69, v88
	v_cndmask_b32_e64 v69, 0, v77, s10
	v_fma_f32 v77, s18, v106, -v68
	v_dual_add_f32 v72, v72, v70 :: v_dual_mul_f32 v77, 0x3fb8aa3b, v77
	s_delay_alu instid0(VALU_DEP_1) | instskip(NEXT) | instid1(VALU_DEP_2)
	v_add_f32_e32 v79, v72, v69
	v_exp_f32_e32 v90, v77
	v_cndmask_b32_e64 v77, 0, v82, s13
	v_mul_f32_e32 v78, 0x3fb8aa3b, v78
	s_delay_alu instid0(VALU_DEP_1) | instskip(SKIP_4) | instid1(VALU_DEP_1)
	v_exp_f32_e32 v78, v78
	s_waitcnt_depctr 0xfff
	v_cndmask_b32_e64 v72, 0, v78, s12
	v_add_f32_e32 v78, v79, v71
	v_fma_f32 v79, s18, v107, -v68
	v_dual_add_f32 v82, v78, v72 :: v_dual_mul_f32 v79, 0x3fb8aa3b, v79
	v_cndmask_b32_e64 v78, 0, v81, s15
	s_delay_alu instid0(VALU_DEP_2) | instskip(NEXT) | instid1(VALU_DEP_3)
	v_add_f32_e32 v81, v82, v77
	v_exp_f32_e32 v82, v79
	v_cndmask_b32_e64 v79, 0, v90, s16
	s_delay_alu instid0(VALU_DEP_2) | instskip(NEXT) | instid1(VALU_DEP_1)
	v_add_f32_e32 v81, v81, v78
	v_add_f32_e32 v90, v81, v79
	s_waitcnt_depctr 0xfff
	v_cndmask_b32_e64 v81, 0, v82, s17
	s_delay_alu instid0(VALU_DEP_1)
	v_add_f32_e32 v82, v90, v81
	ds_bpermute_b32 v89, v89, v82
	s_and_saveexec_b32 s3, s2
	s_cbranch_execz .LBB1544_12
; %bb.11:
	v_mul_u32_u24_e32 v67, 0x44, v66
	s_delay_alu instid0(VALU_DEP_1) | instskip(SKIP_1) | instid1(VALU_DEP_1)
	v_lshl_add_u32 v67, v65, 2, v67
	s_waitcnt lgkmcnt(0)
	v_dual_add_f32 v82, v82, v89 :: v_dual_add_nc_u32 v67, 0x4000, v67
	ds_store_2addr_b32 v67, v68, v82 offset1:136
.LBB1544_12:
	s_or_b32 exec_lo, exec_lo, s3
	v_lshlrev_b32_e32 v67, 2, v65
	s_waitcnt lgkmcnt(0)
	s_barrier
	buffer_gl0_inv
	v_cmp_eq_u32_e32 vcc_lo, 1, v66
	v_add_nc_u32_e32 v82, 0x4000, v67
	v_cmp_eq_u32_e64 s3, 2, v66
	v_cmp_eq_u32_e64 s5, 7, v66
	ds_load_2addr_b32 v[89:90], v82 offset1:17
	ds_load_2addr_b32 v[91:92], v82 offset0:34 offset1:51
	ds_load_2addr_b32 v[93:94], v82 offset0:68 offset1:85
	ds_load_2addr_b32 v[95:96], v82 offset0:102 offset1:119
	ds_load_2addr_b32 v[97:98], v82 offset0:136 offset1:153
	s_waitcnt lgkmcnt(4)
	v_max3_f32 v67, v89, 0xff7fffff, v90
	s_waitcnt lgkmcnt(3)
	s_delay_alu instid0(VALU_DEP_1) | instskip(SKIP_1) | instid1(VALU_DEP_1)
	v_max3_f32 v67, v67, v91, v92
	s_waitcnt lgkmcnt(2)
	v_max3_f32 v67, v67, v93, v94
	s_waitcnt lgkmcnt(1)
	s_delay_alu instid0(VALU_DEP_1) | instskip(NEXT) | instid1(VALU_DEP_1)
	v_max3_f32 v67, v67, v95, v96
	v_sub_f32_e32 v93, v93, v67
	s_delay_alu instid0(VALU_DEP_1) | instskip(NEXT) | instid1(VALU_DEP_1)
	v_dual_sub_f32 v68, v89, v67 :: v_dual_mul_f32 v103, 0x3fb8aa3b, v93
	v_mul_f32_e32 v68, 0x3fb8aa3b, v68
	s_delay_alu instid0(VALU_DEP_1)
	v_exp_f32_e32 v100, v68
	v_sub_f32_e32 v68, v92, v67
	v_sub_f32_e32 v99, v90, v67
	ds_load_2addr_b32 v[89:90], v82 offset0:170 offset1:187
	v_dual_mul_f32 v102, 0x3fb8aa3b, v68 :: v_dual_mul_f32 v99, 0x3fb8aa3b, v99
	s_waitcnt lgkmcnt(1)
	v_fma_f32 v68, v100, v97, 0
	s_delay_alu instid0(VALU_DEP_2) | instskip(NEXT) | instid1(VALU_DEP_2)
	v_exp_f32_e32 v102, v102
	v_exp_f32_e32 v99, v99
	s_waitcnt_depctr 0xfff
	v_fmac_f32_e32 v68, v99, v98
	v_sub_f32_e32 v91, v91, v67
	s_delay_alu instid0(VALU_DEP_1)
	v_mul_f32_e32 v101, 0x3fb8aa3b, v91
	ds_load_2addr_b32 v[91:92], v82 offset0:204 offset1:221
	v_sub_f32_e32 v97, v94, v67
	ds_load_2addr_b32 v[93:94], v82 offset0:238 offset1:255
	s_waitcnt lgkmcnt(0)
	v_exp_f32_e32 v101, v101
	s_barrier
	buffer_gl0_inv
	v_dual_fmac_f32 v68, v101, v89 :: v_dual_sub_f32 v89, v96, v67
	v_dual_sub_f32 v82, v95, v67 :: v_dual_mul_f32 v95, 0x3fb8aa3b, v97
	v_exp_f32_e32 v97, v103
	s_delay_alu instid0(VALU_DEP_2) | instskip(NEXT) | instid1(VALU_DEP_2)
	v_dual_fmac_f32 v68, v102, v90 :: v_dual_mul_f32 v89, 0x3fb8aa3b, v89
	v_mul_f32_e32 v82, 0x3fb8aa3b, v82
	s_delay_alu instid0(VALU_DEP_3) | instskip(NEXT) | instid1(VALU_DEP_2)
	v_exp_f32_e32 v95, v95
	v_exp_f32_e32 v89, v89
	s_delay_alu instid0(VALU_DEP_1)
	v_exp_f32_e32 v82, v82
	v_fmac_f32_e32 v68, v97, v91
	s_delay_alu instid0(TRANS32_DEP_3) | instid1(VALU_DEP_1)
	v_fmac_f32_e32 v68, v95, v92
	s_waitcnt_depctr 0xfff
	v_fmac_f32_e32 v68, v82, v93
	s_delay_alu instid0(VALU_DEP_1) | instskip(NEXT) | instid1(VALU_DEP_1)
	v_fmac_f32_e32 v68, v89, v94
	v_add_f32_e32 v90, 0x358637bd, v68
	s_delay_alu instid0(VALU_DEP_1) | instskip(NEXT) | instid1(VALU_DEP_1)
	v_div_scale_f32 v91, null, v90, v90, 1.0
	v_rcp_f32_e32 v92, v91
	s_waitcnt_depctr 0xfff
	v_fma_f32 v93, -v91, v92, 1.0
	s_delay_alu instid0(VALU_DEP_1) | instskip(SKIP_1) | instid1(VALU_DEP_2)
	v_dual_fmac_f32 v92, v93, v92 :: v_dual_cndmask_b32 v93, v100, v99
	v_cmp_eq_u32_e32 vcc_lo, 3, v66
	v_cndmask_b32_e64 v93, v93, v101, s3
	v_cmp_eq_u32_e64 s3, 4, v66
	s_delay_alu instid0(VALU_DEP_2) | instskip(SKIP_1) | instid1(VALU_DEP_2)
	v_cndmask_b32_e32 v93, v93, v102, vcc_lo
	v_cmp_eq_u32_e32 vcc_lo, 5, v66
	v_cndmask_b32_e64 v93, v93, v97, s3
	v_cmp_eq_u32_e64 s3, 6, v66
	s_delay_alu instid0(VALU_DEP_2) | instskip(SKIP_1) | instid1(VALU_DEP_1)
	v_cndmask_b32_e32 v93, v93, v95, vcc_lo
	v_div_scale_f32 v94, s4, 1.0, v90, 1.0
	s_mov_b32 vcc_lo, s4
	s_delay_alu instid0(VALU_DEP_2) | instskip(NEXT) | instid1(VALU_DEP_2)
	v_cndmask_b32_e64 v82, v93, v82, s3
	v_mul_f32_e32 v96, v94, v92
	s_mov_b32 s3, exec_lo
	s_delay_alu instid0(VALU_DEP_2) | instskip(NEXT) | instid1(VALU_DEP_2)
	v_cndmask_b32_e64 v82, v82, v89, s5
	v_fma_f32 v98, -v91, v96, v94
	s_delay_alu instid0(VALU_DEP_1) | instskip(NEXT) | instid1(VALU_DEP_1)
	v_fmac_f32_e32 v96, v98, v92
	v_fma_f32 v91, -v91, v96, v94
	s_delay_alu instid0(VALU_DEP_1) | instskip(NEXT) | instid1(VALU_DEP_1)
	v_div_fmas_f32 v91, v91, v92, v96
	v_div_fixup_f32 v90, v91, v90, 1.0
	s_delay_alu instid0(VALU_DEP_1) | instskip(NEXT) | instid1(VALU_DEP_1)
	v_mul_f32_e32 v82, v82, v90
	v_mul_f32_e32 v87, v82, v87
	;; [unrolled: 1-line block ×7, first 2 shown]
	v_dual_mul_f32 v86, v82, v83 :: v_dual_and_b32 v91, 0x7f800000, v90
	v_mul_f32_e32 v85, v82, v76
                                        ; implicit-def: $vgpr76
	s_delay_alu instid0(VALU_DEP_2)
	v_cmpx_ne_u32_e32 0x7f800000, v91
	s_xor_b32 s3, exec_lo, s3
; %bb.13:
	v_bfe_u32 v76, v90, 16, 1
	s_delay_alu instid0(VALU_DEP_1)
	v_add3_u32 v76, v90, v76, 0x7fff
                                        ; implicit-def: $vgpr90
; %bb.14:
	s_and_not1_saveexec_b32 s3, s3
; %bb.15:
	v_and_b32_e32 v76, 0xffff, v90
	v_or_b32_e32 v83, 0x10000, v90
	s_delay_alu instid0(VALU_DEP_2) | instskip(NEXT) | instid1(VALU_DEP_2)
	v_cmp_eq_u32_e32 vcc_lo, 0, v76
	v_cndmask_b32_e32 v76, v83, v90, vcc_lo
; %bb.16:
	s_or_b32 exec_lo, exec_lo, s3
	v_and_b32_e32 v83, 0x7f800000, v85
	s_delay_alu instid0(VALU_DEP_1) | instskip(SKIP_1) | instid1(SALU_CYCLE_1)
	v_cmp_ne_u32_e32 vcc_lo, 0x7f800000, v83
                                        ; implicit-def: $vgpr83
	s_and_saveexec_b32 s3, vcc_lo
	s_xor_b32 s3, exec_lo, s3
; %bb.17:
	v_bfe_u32 v83, v85, 16, 1
	s_delay_alu instid0(VALU_DEP_1)
	v_add3_u32 v83, v85, v83, 0x7fff
                                        ; implicit-def: $vgpr85
; %bb.18:
	s_and_not1_saveexec_b32 s3, s3
; %bb.19:
	v_and_b32_e32 v83, 0xffff, v85
	v_or_b32_e32 v90, 0x10000, v85
	s_delay_alu instid0(VALU_DEP_2) | instskip(NEXT) | instid1(VALU_DEP_2)
	v_cmp_eq_u32_e32 vcc_lo, 0, v83
	v_cndmask_b32_e32 v83, v90, v85, vcc_lo
; %bb.20:
	s_or_b32 exec_lo, exec_lo, s3
	v_and_b32_e32 v85, 0x7f800000, v86
	s_delay_alu instid0(VALU_DEP_1) | instskip(SKIP_1) | instid1(SALU_CYCLE_1)
	v_cmp_ne_u32_e32 vcc_lo, 0x7f800000, v85
                                        ; implicit-def: $vgpr85
	s_and_saveexec_b32 s3, vcc_lo
	s_xor_b32 s3, exec_lo, s3
; %bb.21:
	v_bfe_u32 v85, v86, 16, 1
	s_delay_alu instid0(VALU_DEP_1)
	v_add3_u32 v85, v86, v85, 0x7fff
                                        ; implicit-def: $vgpr86
; %bb.22:
	s_and_not1_saveexec_b32 s3, s3
; %bb.23:
	v_and_b32_e32 v85, 0xffff, v86
	v_or_b32_e32 v90, 0x10000, v86
	s_delay_alu instid0(VALU_DEP_2) | instskip(NEXT) | instid1(VALU_DEP_2)
	v_cmp_eq_u32_e32 vcc_lo, 0, v85
	v_cndmask_b32_e32 v85, v90, v86, vcc_lo
; %bb.24:
	s_or_b32 exec_lo, exec_lo, s3
	v_and_b32_e32 v86, 0x7f800000, v89
	s_delay_alu instid0(VALU_DEP_1) | instskip(SKIP_1) | instid1(SALU_CYCLE_1)
	v_cmp_ne_u32_e32 vcc_lo, 0x7f800000, v86
                                        ; implicit-def: $vgpr86
	s_and_saveexec_b32 s3, vcc_lo
	s_xor_b32 s3, exec_lo, s3
; %bb.25:
	v_bfe_u32 v86, v89, 16, 1
	s_delay_alu instid0(VALU_DEP_1)
	v_add3_u32 v86, v89, v86, 0x7fff
                                        ; implicit-def: $vgpr89
; %bb.26:
	s_and_not1_saveexec_b32 s3, s3
; %bb.27:
	v_and_b32_e32 v86, 0xffff, v89
	v_or_b32_e32 v90, 0x10000, v89
	s_delay_alu instid0(VALU_DEP_2) | instskip(NEXT) | instid1(VALU_DEP_2)
	v_cmp_eq_u32_e32 vcc_lo, 0, v86
	v_cndmask_b32_e32 v86, v90, v89, vcc_lo
; %bb.28:
	s_or_b32 exec_lo, exec_lo, s3
	v_and_b32_e32 v89, 0x7f800000, v88
	s_delay_alu instid0(VALU_DEP_1) | instskip(SKIP_1) | instid1(SALU_CYCLE_1)
	v_cmp_ne_u32_e32 vcc_lo, 0x7f800000, v89
                                        ; implicit-def: $vgpr89
	s_and_saveexec_b32 s3, vcc_lo
	s_xor_b32 s3, exec_lo, s3
; %bb.29:
	v_bfe_u32 v89, v88, 16, 1
	s_delay_alu instid0(VALU_DEP_1)
	v_add3_u32 v89, v88, v89, 0x7fff
                                        ; implicit-def: $vgpr88
; %bb.30:
	s_and_not1_saveexec_b32 s3, s3
; %bb.31:
	v_and_b32_e32 v89, 0xffff, v88
	v_or_b32_e32 v90, 0x10000, v88
	s_delay_alu instid0(VALU_DEP_2) | instskip(NEXT) | instid1(VALU_DEP_2)
	v_cmp_eq_u32_e32 vcc_lo, 0, v89
	v_cndmask_b32_e32 v89, v90, v88, vcc_lo
; %bb.32:
	s_or_b32 exec_lo, exec_lo, s3
	v_and_b32_e32 v88, 0x7f800000, v87
	s_delay_alu instid0(VALU_DEP_1) | instskip(SKIP_1) | instid1(SALU_CYCLE_1)
	v_cmp_ne_u32_e32 vcc_lo, 0x7f800000, v88
                                        ; implicit-def: $vgpr88
	s_and_saveexec_b32 s3, vcc_lo
	s_xor_b32 s3, exec_lo, s3
; %bb.33:
	v_bfe_u32 v88, v87, 16, 1
	s_delay_alu instid0(VALU_DEP_1)
	v_add3_u32 v88, v87, v88, 0x7fff
                                        ; implicit-def: $vgpr87
; %bb.34:
	s_and_not1_saveexec_b32 s3, s3
; %bb.35:
	v_and_b32_e32 v88, 0xffff, v87
	v_or_b32_e32 v90, 0x10000, v87
	s_delay_alu instid0(VALU_DEP_2) | instskip(NEXT) | instid1(VALU_DEP_2)
	v_cmp_eq_u32_e32 vcc_lo, 0, v88
	v_cndmask_b32_e32 v88, v90, v87, vcc_lo
; %bb.36:
	s_or_b32 exec_lo, exec_lo, s3
	v_and_b32_e32 v87, 0x7f800000, v84
	s_delay_alu instid0(VALU_DEP_1) | instskip(SKIP_1) | instid1(SALU_CYCLE_1)
	v_cmp_ne_u32_e32 vcc_lo, 0x7f800000, v87
                                        ; implicit-def: $vgpr87
	s_and_saveexec_b32 s3, vcc_lo
	s_xor_b32 s3, exec_lo, s3
; %bb.37:
	v_bfe_u32 v87, v84, 16, 1
	s_delay_alu instid0(VALU_DEP_1)
	v_add3_u32 v87, v84, v87, 0x7fff
                                        ; implicit-def: $vgpr84
; %bb.38:
	s_and_not1_saveexec_b32 s3, s3
; %bb.39:
	v_and_b32_e32 v87, 0xffff, v84
	v_or_b32_e32 v90, 0x10000, v84
	s_delay_alu instid0(VALU_DEP_2) | instskip(NEXT) | instid1(VALU_DEP_2)
	v_cmp_eq_u32_e32 vcc_lo, 0, v87
	v_cndmask_b32_e32 v87, v90, v84, vcc_lo
; %bb.40:
	s_or_b32 exec_lo, exec_lo, s3
	v_and_b32_e32 v84, 0x7f800000, v80
	s_delay_alu instid0(VALU_DEP_1) | instskip(SKIP_1) | instid1(SALU_CYCLE_1)
	v_cmp_ne_u32_e32 vcc_lo, 0x7f800000, v84
                                        ; implicit-def: $vgpr84
	s_and_saveexec_b32 s3, vcc_lo
	s_xor_b32 s3, exec_lo, s3
; %bb.41:
	v_bfe_u32 v84, v80, 16, 1
	s_delay_alu instid0(VALU_DEP_1)
	v_add3_u32 v84, v80, v84, 0x7fff
                                        ; implicit-def: $vgpr80
; %bb.42:
	s_and_not1_saveexec_b32 s3, s3
; %bb.43:
	v_and_b32_e32 v84, 0xffff, v80
	v_or_b32_e32 v90, 0x10000, v80
	s_delay_alu instid0(VALU_DEP_2) | instskip(NEXT) | instid1(VALU_DEP_2)
	v_cmp_eq_u32_e32 vcc_lo, 0, v84
	v_cndmask_b32_e32 v84, v90, v80, vcc_lo
; %bb.44:
	s_or_b32 exec_lo, exec_lo, s3
	s_load_b64 s[34:35], s[0:1], 0x94
	v_lshlrev_b32_e32 v91, 4, v74
	s_delay_alu instid0(VALU_DEP_2)
	v_perm_b32 v90, v84, v87, 0x7060302
	v_dual_mul_f32 v79, v82, v79 :: v_dual_lshlrev_b32 v80, 6, v65
	v_dual_mul_f32 v77, v82, v77 :: v_dual_lshlrev_b32 v92, 11, v66
	v_mul_f32_e32 v84, v82, v70
	v_perm_b32 v89, v88, v89, 0x7060302
	v_perm_b32 v88, v86, v85, 0x7060302
	;; [unrolled: 1-line block ×3, first 2 shown]
	v_mul_f32_e32 v70, v82, v81
	v_or3_b32 v76, v91, v92, v80
	v_dual_mul_f32 v78, v82, v78 :: v_dual_and_b32 v85, 0x7f800000, v84
	v_mul_f32_e32 v83, v82, v72
	v_mul_f32_e32 v81, v82, v71
	;; [unrolled: 1-line block ×3, first 2 shown]
	s_mov_b32 s3, exec_lo
	ds_store_b128 v76, v[87:90]
                                        ; implicit-def: $vgpr69
	v_cmpx_ne_u32_e32 0x7f800000, v85
	s_xor_b32 s3, exec_lo, s3
; %bb.45:
	v_bfe_u32 v69, v84, 16, 1
	s_delay_alu instid0(VALU_DEP_1)
	v_add3_u32 v69, v84, v69, 0x7fff
                                        ; implicit-def: $vgpr84
; %bb.46:
	s_and_not1_saveexec_b32 s3, s3
; %bb.47:
	v_and_b32_e32 v69, 0xffff, v84
	v_or_b32_e32 v71, 0x10000, v84
	s_delay_alu instid0(VALU_DEP_2) | instskip(NEXT) | instid1(VALU_DEP_2)
	v_cmp_eq_u32_e32 vcc_lo, 0, v69
	v_cndmask_b32_e32 v69, v71, v84, vcc_lo
; %bb.48:
	s_or_b32 exec_lo, exec_lo, s3
	v_and_b32_e32 v71, 0x7f800000, v72
	s_delay_alu instid0(VALU_DEP_1) | instskip(SKIP_1) | instid1(SALU_CYCLE_1)
	v_cmp_ne_u32_e32 vcc_lo, 0x7f800000, v71
                                        ; implicit-def: $vgpr71
	s_and_saveexec_b32 s3, vcc_lo
	s_xor_b32 s3, exec_lo, s3
; %bb.49:
	v_bfe_u32 v71, v72, 16, 1
	s_delay_alu instid0(VALU_DEP_1)
	v_add3_u32 v71, v72, v71, 0x7fff
                                        ; implicit-def: $vgpr72
; %bb.50:
	s_and_not1_saveexec_b32 s3, s3
; %bb.51:
	v_and_b32_e32 v71, 0xffff, v72
	v_or_b32_e32 v82, 0x10000, v72
	s_delay_alu instid0(VALU_DEP_2) | instskip(NEXT) | instid1(VALU_DEP_2)
	v_cmp_eq_u32_e32 vcc_lo, 0, v71
	v_cndmask_b32_e32 v71, v82, v72, vcc_lo
; %bb.52:
	s_or_b32 exec_lo, exec_lo, s3
	v_and_b32_e32 v72, 0x7f800000, v81
	s_delay_alu instid0(VALU_DEP_1) | instskip(SKIP_1) | instid1(SALU_CYCLE_1)
	v_cmp_ne_u32_e32 vcc_lo, 0x7f800000, v72
                                        ; implicit-def: $vgpr72
	s_and_saveexec_b32 s3, vcc_lo
	s_xor_b32 s3, exec_lo, s3
; %bb.53:
	v_bfe_u32 v72, v81, 16, 1
	s_delay_alu instid0(VALU_DEP_1)
	v_add3_u32 v72, v81, v72, 0x7fff
                                        ; implicit-def: $vgpr81
; %bb.54:
	s_and_not1_saveexec_b32 s3, s3
; %bb.55:
	v_and_b32_e32 v72, 0xffff, v81
	v_or_b32_e32 v82, 0x10000, v81
	s_delay_alu instid0(VALU_DEP_2) | instskip(NEXT) | instid1(VALU_DEP_2)
	v_cmp_eq_u32_e32 vcc_lo, 0, v72
	v_cndmask_b32_e32 v72, v82, v81, vcc_lo
; %bb.56:
	s_or_b32 exec_lo, exec_lo, s3
	v_and_b32_e32 v81, 0x7f800000, v83
	s_delay_alu instid0(VALU_DEP_1) | instskip(SKIP_1) | instid1(SALU_CYCLE_1)
	v_cmp_ne_u32_e32 vcc_lo, 0x7f800000, v81
                                        ; implicit-def: $vgpr81
	s_and_saveexec_b32 s3, vcc_lo
	s_xor_b32 s3, exec_lo, s3
; %bb.57:
	v_bfe_u32 v81, v83, 16, 1
	s_delay_alu instid0(VALU_DEP_1)
	v_add3_u32 v81, v83, v81, 0x7fff
                                        ; implicit-def: $vgpr83
; %bb.58:
	s_and_not1_saveexec_b32 s3, s3
; %bb.59:
	v_and_b32_e32 v81, 0xffff, v83
	v_or_b32_e32 v82, 0x10000, v83
	s_delay_alu instid0(VALU_DEP_2) | instskip(NEXT) | instid1(VALU_DEP_2)
	v_cmp_eq_u32_e32 vcc_lo, 0, v81
	v_cndmask_b32_e32 v81, v82, v83, vcc_lo
; %bb.60:
	s_or_b32 exec_lo, exec_lo, s3
	v_and_b32_e32 v82, 0x7f800000, v77
	s_delay_alu instid0(VALU_DEP_1) | instskip(SKIP_1) | instid1(SALU_CYCLE_1)
	v_cmp_ne_u32_e32 vcc_lo, 0x7f800000, v82
                                        ; implicit-def: $vgpr82
	s_and_saveexec_b32 s3, vcc_lo
	s_xor_b32 s3, exec_lo, s3
; %bb.61:
	v_bfe_u32 v82, v77, 16, 1
	s_delay_alu instid0(VALU_DEP_1)
	v_add3_u32 v82, v77, v82, 0x7fff
                                        ; implicit-def: $vgpr77
; %bb.62:
	s_and_not1_saveexec_b32 s3, s3
; %bb.63:
	v_and_b32_e32 v82, 0xffff, v77
	v_or_b32_e32 v83, 0x10000, v77
	s_delay_alu instid0(VALU_DEP_2) | instskip(NEXT) | instid1(VALU_DEP_2)
	v_cmp_eq_u32_e32 vcc_lo, 0, v82
	v_cndmask_b32_e32 v82, v83, v77, vcc_lo
; %bb.64:
	s_or_b32 exec_lo, exec_lo, s3
	v_and_b32_e32 v77, 0x7f800000, v78
	s_delay_alu instid0(VALU_DEP_1) | instskip(SKIP_1) | instid1(SALU_CYCLE_1)
	v_cmp_ne_u32_e32 vcc_lo, 0x7f800000, v77
                                        ; implicit-def: $vgpr77
	s_and_saveexec_b32 s3, vcc_lo
	s_xor_b32 s3, exec_lo, s3
; %bb.65:
	v_bfe_u32 v77, v78, 16, 1
	s_delay_alu instid0(VALU_DEP_1)
	v_add3_u32 v77, v78, v77, 0x7fff
                                        ; implicit-def: $vgpr78
; %bb.66:
	s_and_not1_saveexec_b32 s3, s3
; %bb.67:
	v_and_b32_e32 v77, 0xffff, v78
	v_or_b32_e32 v83, 0x10000, v78
	s_delay_alu instid0(VALU_DEP_2) | instskip(NEXT) | instid1(VALU_DEP_2)
	v_cmp_eq_u32_e32 vcc_lo, 0, v77
	v_cndmask_b32_e32 v77, v83, v78, vcc_lo
; %bb.68:
	s_or_b32 exec_lo, exec_lo, s3
	v_and_b32_e32 v78, 0x7f800000, v79
	s_delay_alu instid0(VALU_DEP_1) | instskip(SKIP_1) | instid1(SALU_CYCLE_1)
	v_cmp_ne_u32_e32 vcc_lo, 0x7f800000, v78
                                        ; implicit-def: $vgpr78
	s_and_saveexec_b32 s3, vcc_lo
	s_xor_b32 s3, exec_lo, s3
; %bb.69:
	v_bfe_u32 v78, v79, 16, 1
	s_delay_alu instid0(VALU_DEP_1)
	v_add3_u32 v78, v79, v78, 0x7fff
                                        ; implicit-def: $vgpr79
; %bb.70:
	s_and_not1_saveexec_b32 s3, s3
; %bb.71:
	v_and_b32_e32 v78, 0xffff, v79
	v_or_b32_e32 v83, 0x10000, v79
	s_delay_alu instid0(VALU_DEP_2) | instskip(NEXT) | instid1(VALU_DEP_2)
	v_cmp_eq_u32_e32 vcc_lo, 0, v78
	v_cndmask_b32_e32 v78, v83, v79, vcc_lo
; %bb.72:
	s_or_b32 exec_lo, exec_lo, s3
	v_and_b32_e32 v79, 0x7f800000, v70
	s_delay_alu instid0(VALU_DEP_1) | instskip(SKIP_1) | instid1(SALU_CYCLE_1)
	v_cmp_ne_u32_e32 vcc_lo, 0x7f800000, v79
                                        ; implicit-def: $vgpr79
	s_and_saveexec_b32 s3, vcc_lo
	s_xor_b32 s3, exec_lo, s3
; %bb.73:
	v_bfe_u32 v79, v70, 16, 1
	s_delay_alu instid0(VALU_DEP_1)
	v_add3_u32 v79, v70, v79, 0x7fff
                                        ; implicit-def: $vgpr70
; %bb.74:
	s_and_not1_saveexec_b32 s3, s3
; %bb.75:
	v_and_b32_e32 v79, 0xffff, v70
	v_or_b32_e32 v83, 0x10000, v70
	s_delay_alu instid0(VALU_DEP_2) | instskip(NEXT) | instid1(VALU_DEP_2)
	v_cmp_eq_u32_e32 vcc_lo, 0, v79
	v_cndmask_b32_e32 v79, v83, v70, vcc_lo
; %bb.76:
	s_or_b32 exec_lo, exec_lo, s3
	s_delay_alu instid0(VALU_DEP_1)
	v_perm_b32 v86, v79, v78, 0x7060302
	v_perm_b32 v85, v77, v82, 0x7060302
	;; [unrolled: 1-line block ×4, first 2 shown]
	v_lshl_or_b32 v82, v66, 11, v80
	ds_store_b128 v76, v[83:86] offset:1024
	s_waitcnt lgkmcnt(0)
	s_barrier
	buffer_gl0_inv
	ds_load_b128 v[69:72], v82
	ds_load_b128 v[83:86], v82 offset:16
	s_waitcnt lgkmcnt(1)
	v_lshrrev_b32_e32 v66, 16, v69
	s_waitcnt lgkmcnt(0)
	v_lshrrev_b32_e32 v91, 16, v83
	v_lshlrev_b32_e32 v78, 2, v74
	v_lshrrev_b32_e32 v95, 16, v70
	v_lshrrev_b32_e32 v98, 16, v84
	;; [unrolled: 1-line block ×4, first 2 shown]
	v_cmp_eq_u32_e32 vcc_lo, 1, v78
	v_lshrrev_b32_e32 v97, 16, v72
	v_lshrrev_b32_e32 v100, 16, v86
	v_cndmask_b32_e32 v87, v83, v91, vcc_lo
	v_or_b32_e32 v79, 1, v78
	v_cndmask_b32_e32 v81, v69, v66, vcc_lo
	v_cmp_eq_u32_e64 s4, 2, v78
	v_cmp_eq_u32_e64 s7, 3, v78
	;; [unrolled: 1-line block ×5, first 2 shown]
	v_cndmask_b32_e64 v81, v81, v70, s4
	v_cndmask_b32_e64 v87, v87, v84, s4
	v_cmp_eq_u32_e64 s8, 3, v79
	v_cndmask_b32_e64 v88, v69, v66, s3
	v_or_b32_e32 v77, 2, v78
	v_cndmask_b32_e64 v81, v81, v95, s7
	v_cndmask_b32_e64 v87, v87, v98, s7
	;; [unrolled: 1-line block ×4, first 2 shown]
	v_cmp_eq_u32_e64 s10, 5, v78
	v_cndmask_b32_e64 v81, v81, v71, s9
	v_cndmask_b32_e64 v87, v87, v85, s9
	v_cmp_eq_u32_e64 s11, 4, v79
	v_cndmask_b32_e64 v88, v88, v95, s8
	v_cmp_eq_u32_e64 s5, 1, v77
	v_cndmask_b32_e64 v89, v89, v84, s6
	v_cndmask_b32_e64 v81, v81, v96, s10
	v_cmp_eq_u32_e64 s12, 6, v78
	v_cndmask_b32_e64 v88, v88, v71, s11
	;; [unrolled: 3-line block ×3, first 2 shown]
	v_cndmask_b32_e64 v89, v89, v98, s8
	v_cndmask_b32_e64 v81, v81, v72, s12
	v_cmp_eq_u32_e64 s15, 7, v78
	v_cndmask_b32_e64 v88, v88, v96, s13
	v_cndmask_b32_e64 v87, v87, v86, s12
	v_cmp_eq_u32_e64 s16, 6, v79
	v_cmp_eq_u32_e64 s17, 2, v77
	v_cndmask_b32_e64 v89, v89, v85, s11
	v_cndmask_b32_e64 v101, v81, v97, s15
	;; [unrolled: 1-line block ×6, first 2 shown]
	v_cmp_eq_u32_e64 s18, 7, v79
	v_cmp_eq_u32_e64 s19, 3, v77
	;; [unrolled: 1-line block ×4, first 2 shown]
	v_cndmask_b32_e64 v87, v87, v84, s17
	v_cndmask_b32_e64 v103, v88, v97, s18
	v_cndmask_b32_e64 v88, v89, v99, s13
	v_cndmask_b32_e64 v89, v81, v95, s19
	v_or_b32_e32 v81, 3, v78
	v_cndmask_b32_e64 v93, v87, v98, s19
	v_cmp_eq_u32_e64 s24, 6, v77
	v_cndmask_b32_e64 v104, v88, v86, s16
	v_cndmask_b32_e64 v92, v89, v71, s20
	v_cmp_eq_u32_e64 s21, 1, v81
	ds_load_b128 v[87:90], v82 offset:1024
	v_cmp_eq_u32_e64 s23, 2, v81
	v_cmp_eq_u32_e64 s25, 3, v81
	v_cndmask_b32_e64 v105, v92, v96, s22
	v_cndmask_b32_e64 v66, v69, v66, s21
	;; [unrolled: 1-line block ×4, first 2 shown]
	ds_load_b128 v[91:94], v82 offset:1040
	v_cmp_eq_u32_e64 s26, 4, v81
	v_cndmask_b32_e64 v66, v66, v70, s23
	v_cmp_eq_u32_e64 s27, 7, v77
	v_cndmask_b32_e64 v70, v83, v84, s23
	v_cndmask_b32_e64 v84, v105, v72, s24
	v_cmp_eq_u32_e64 s28, 5, v81
	v_cndmask_b32_e64 v66, v66, v95, s25
	v_cmp_eq_u32_e64 s29, 6, v81
	v_cndmask_b32_e64 v70, v70, v98, s25
	v_cndmask_b32_e64 v69, v69, v99, s22
	;; [unrolled: 1-line block ×4, first 2 shown]
	s_waitcnt lgkmcnt(1)
	v_lshrrev_b32_e32 v95, 16, v87
	v_cndmask_b32_e64 v70, v70, v85, s26
	v_cndmask_b32_e64 v71, v84, v97, s27
	;; [unrolled: 1-line block ×4, first 2 shown]
	v_cndmask_b32_e32 v84, v87, v95, vcc_lo
	v_cndmask_b32_e64 v70, v70, v99, s28
	s_waitcnt lgkmcnt(0)
	v_lshrrev_b32_e32 v85, 16, v91
	v_lshrrev_b32_e32 v96, 16, v88
	v_cndmask_b32_e64 v98, v87, v95, s3
	v_cndmask_b32_e64 v84, v84, v88, s4
	;; [unrolled: 1-line block ×3, first 2 shown]
	v_cndmask_b32_e32 v99, v91, v85, vcc_lo
	v_cmp_eq_u32_e32 vcc_lo, 7, v81
	v_cndmask_b32_e64 v66, v66, v72, s29
	v_cndmask_b32_e64 v72, v84, v96, s7
	;; [unrolled: 1-line block ×3, first 2 shown]
	v_lshrrev_b32_e32 v98, 16, v92
	v_cndmask_b32_e32 v70, v70, v100, vcc_lo
	v_cndmask_b32_e64 v86, v99, v92, s4
	v_cndmask_b32_e64 v69, v69, v100, s27
	v_lshrrev_b32_e32 v100, 16, v93
	v_cndmask_b32_e64 v72, v72, v89, s9
	v_lshrrev_b32_e32 v99, 16, v89
	v_cndmask_b32_e64 v86, v86, v98, s7
	v_perm_b32 v71, v69, v71, 0x5040100
	v_cndmask_b32_e64 v84, v84, v96, s8
	s_delay_alu instid0(VALU_DEP_3) | instskip(NEXT) | instid1(VALU_DEP_2)
	v_cndmask_b32_e64 v86, v86, v93, s9
	v_cndmask_b32_e64 v84, v84, v89, s11
	s_delay_alu instid0(VALU_DEP_2) | instskip(NEXT) | instid1(VALU_DEP_1)
	v_cndmask_b32_e64 v86, v86, v100, s10
	v_cndmask_b32_e64 v69, v86, v94, s12
	;; [unrolled: 1-line block ×5, first 2 shown]
	s_delay_alu instid0(VALU_DEP_3) | instskip(NEXT) | instid1(VALU_DEP_3)
	v_cndmask_b32_e64 v86, v86, v88, s17
	v_cndmask_b32_e64 v87, v87, v88, s23
	s_delay_alu instid0(VALU_DEP_3) | instskip(NEXT) | instid1(VALU_DEP_3)
	v_cndmask_b32_e64 v88, v95, v92, s23
	v_cndmask_b32_e64 v86, v86, v96, s19
	;; [unrolled: 3-line block ×7, first 2 shown]
	s_delay_alu instid0(VALU_DEP_3) | instskip(SKIP_2) | instid1(VALU_DEP_2)
	v_cndmask_b32_e64 v88, v88, v94, s29
	v_cndmask_b32_e32 v66, v66, v97, vcc_lo
	v_cndmask_b32_e64 v97, v72, v99, s10
	v_perm_b32 v72, v70, v66, 0x5040100
	v_perm_b32 v70, v83, v103, 0x5040100
	v_cndmask_b32_e64 v103, v91, v85, s5
	v_cndmask_b32_e64 v85, v91, v85, s3
	;; [unrolled: 1-line block ×4, first 2 shown]
	v_lshrrev_b32_e32 v97, 16, v90
	v_cndmask_b32_e64 v91, v103, v92, s17
	v_cndmask_b32_e64 v85, v85, v92, s6
	;; [unrolled: 1-line block ×3, first 2 shown]
	s_mov_b32 s3, exec_lo
	v_cndmask_b32_e64 v83, v84, v97, s15
	v_cndmask_b32_e64 v91, v91, v98, s19
	;; [unrolled: 1-line block ×3, first 2 shown]
	v_lshrrev_b32_e32 v84, 16, v94
	v_cndmask_b32_e64 v66, v66, v97, s18
	v_cndmask_b32_e64 v90, v86, v97, s27
	;; [unrolled: 1-line block ×4, first 2 shown]
	v_dual_cndmask_b32 v86, v87, v97 :: v_dual_cndmask_b32 v87, v88, v84
	v_cndmask_b32_e64 v91, v69, v84, s15
	s_delay_alu instid0(VALU_DEP_4) | instskip(NEXT) | instid1(VALU_DEP_4)
	v_cndmask_b32_e64 v89, v89, v100, s22
	v_cndmask_b32_e64 v85, v85, v100, s13
	v_perm_b32 v69, v102, v101, 0x5040100
	v_perm_b32 v86, v87, v86, 0x5040100
	;; [unrolled: 1-line block ×3, first 2 shown]
	v_cndmask_b32_e64 v89, v89, v94, s24
	v_cndmask_b32_e64 v85, v85, v94, s16
	s_mul_i32 s8, s35, 3
	s_delay_alu instid0(VALU_DEP_2) | instskip(NEXT) | instid1(VALU_DEP_2)
	v_cndmask_b32_e64 v88, v89, v84, s27
	v_cndmask_b32_e64 v89, v85, v84, s18
	s_delay_alu instid0(VALU_DEP_2) | instskip(NEXT) | instid1(VALU_DEP_2)
	v_perm_b32 v85, v88, v90, 0x5040100
	v_perm_b32 v84, v89, v66, 0x5040100
	ds_store_b128 v76, v[69:72]
	ds_store_b128 v76, v[83:86] offset:1024
	v_cmpx_gt_u32_e32 3, v0
	s_cbranch_execz .LBB1544_78
; %bb.77:
	s_mul_i32 s4, s8, s30
	s_delay_alu instid0(SALU_CYCLE_1) | instskip(SKIP_1) | instid1(VALU_DEP_1)
	v_add3_u32 v69, s4, s31, v65
	s_load_b128 s[4:7], s[0:1], 0x58
	v_mad_u64_u32 v[65:66], null, v69, s34, s[14:15]
	s_delay_alu instid0(VALU_DEP_1) | instskip(NEXT) | instid1(VALU_DEP_1)
	v_ashrrev_i32_e32 v66, 31, v65
	v_lshlrev_b64 v[65:66], 2, v[65:66]
	s_waitcnt lgkmcnt(0)
	s_delay_alu instid0(VALU_DEP_1) | instskip(NEXT) | instid1(VALU_DEP_2)
	v_add_co_u32 v69, vcc_lo, s6, v65
	v_add_co_ci_u32_e32 v70, vcc_lo, s7, v66, vcc_lo
	v_add_co_u32 v65, vcc_lo, s4, v65
	v_add_co_ci_u32_e32 v66, vcc_lo, s5, v66, vcc_lo
	global_store_b32 v[69:70], v67, off
	global_store_b32 v[65:66], v68, off
.LBB1544_78:
	s_or_b32 exec_lo, exec_lo, s3
	s_waitcnt lgkmcnt(0)
	s_waitcnt_vscnt null, 0x0
	s_barrier
	buffer_gl0_inv
	ds_load_b128 v[83:86], v80
	ds_load_b128 v[87:90], v80 offset:16
	ds_load_b128 v[95:98], v80 offset:2064
	ds_load_b128 v[91:94], v80 offset:2048
	v_mov_b32_e32 v65, 0
	ds_load_b128 v[103:106], v80 offset:4112
	ds_load_b128 v[99:102], v80 offset:4096
	;; [unrolled: 1-line block ×4, first 2 shown]
	v_mov_b32_e32 v66, v65
	v_mov_b32_e32 v67, v65
	;; [unrolled: 1-line block ×7, first 2 shown]
	s_waitcnt lgkmcnt(6)
	s_delay_alu instid0(VALU_DEP_1)
	v_wmma_f32_16x16x16_bf16 v[65:72], v[41:48], v[83:90], v[65:72]
	ds_load_b128 v[45:48], v80 offset:8208
	ds_load_b128 v[41:44], v80 offset:8192
	s_waitcnt lgkmcnt(6)
	v_wmma_f32_16x16x16_bf16 v[65:72], v[33:40], v[91:98], v[65:72]
	ds_load_b128 v[37:40], v80 offset:10256
	ds_load_b128 v[33:36], v80 offset:10240
	s_waitcnt lgkmcnt(6)
	;; [unrolled: 4-line block ×4, first 2 shown]
	v_wmma_f32_16x16x16_bf16 v[65:72], v[1:8], v[41:48], v[65:72]
	s_waitcnt lgkmcnt(4)
	s_delay_alu instid0(VALU_DEP_1) | instskip(SKIP_1) | instid1(VALU_DEP_1)
	v_wmma_f32_16x16x16_bf16 v[65:72], v[9:16], v[33:40], v[65:72]
	s_waitcnt lgkmcnt(2)
	v_wmma_f32_16x16x16_bf16 v[65:72], v[57:64], v[25:32], v[65:72]
	s_waitcnt lgkmcnt(0)
	s_delay_alu instid0(VALU_DEP_1) | instskip(NEXT) | instid1(VALU_DEP_1)
	v_wmma_f32_16x16x16_bf16 v[65:72], v[49:56], v[17:24], v[65:72]
	v_and_b32_e32 v1, 0x7f800000, v65
	s_delay_alu instid0(VALU_DEP_1) | instskip(SKIP_1) | instid1(SALU_CYCLE_1)
	v_cmp_ne_u32_e32 vcc_lo, 0x7f800000, v1
                                        ; implicit-def: $vgpr1
	s_and_saveexec_b32 s3, vcc_lo
	s_xor_b32 s3, exec_lo, s3
; %bb.79:
	v_bfe_u32 v1, v65, 16, 1
	s_delay_alu instid0(VALU_DEP_1)
	v_add3_u32 v1, v65, v1, 0x7fff
; %bb.80:
	s_and_not1_saveexec_b32 s3, s3
; %bb.81:
	v_and_b32_e32 v1, 0xffff, v65
	v_or_b32_e32 v2, 0x10000, v65
	s_delay_alu instid0(VALU_DEP_2) | instskip(NEXT) | instid1(VALU_DEP_2)
	v_cmp_eq_u32_e32 vcc_lo, 0, v1
	v_cndmask_b32_e32 v1, v2, v65, vcc_lo
; %bb.82:
	s_or_b32 exec_lo, exec_lo, s3
	v_and_b32_e32 v2, 0x7f800000, v66
	s_delay_alu instid0(VALU_DEP_1) | instskip(SKIP_1) | instid1(SALU_CYCLE_1)
	v_cmp_ne_u32_e32 vcc_lo, 0x7f800000, v2
                                        ; implicit-def: $vgpr2
	s_and_saveexec_b32 s3, vcc_lo
	s_xor_b32 s3, exec_lo, s3
; %bb.83:
	v_bfe_u32 v2, v66, 16, 1
	s_delay_alu instid0(VALU_DEP_1)
	v_add3_u32 v2, v66, v2, 0x7fff
; %bb.84:
	s_and_not1_saveexec_b32 s3, s3
; %bb.85:
	v_and_b32_e32 v2, 0xffff, v66
	v_or_b32_e32 v3, 0x10000, v66
	s_delay_alu instid0(VALU_DEP_2) | instskip(NEXT) | instid1(VALU_DEP_2)
	v_cmp_eq_u32_e32 vcc_lo, 0, v2
	v_cndmask_b32_e32 v2, v3, v66, vcc_lo
; %bb.86:
	s_or_b32 exec_lo, exec_lo, s3
	v_and_b32_e32 v3, 0x7f800000, v67
	s_delay_alu instid0(VALU_DEP_1) | instskip(SKIP_1) | instid1(SALU_CYCLE_1)
	v_cmp_ne_u32_e32 vcc_lo, 0x7f800000, v3
                                        ; implicit-def: $vgpr3
	s_and_saveexec_b32 s3, vcc_lo
	s_xor_b32 s3, exec_lo, s3
; %bb.87:
	v_bfe_u32 v3, v67, 16, 1
	s_delay_alu instid0(VALU_DEP_1)
	v_add3_u32 v3, v67, v3, 0x7fff
; %bb.88:
	s_and_not1_saveexec_b32 s3, s3
; %bb.89:
	v_and_b32_e32 v3, 0xffff, v67
	v_or_b32_e32 v4, 0x10000, v67
	s_delay_alu instid0(VALU_DEP_2) | instskip(NEXT) | instid1(VALU_DEP_2)
	v_cmp_eq_u32_e32 vcc_lo, 0, v3
	v_cndmask_b32_e32 v3, v4, v67, vcc_lo
; %bb.90:
	s_or_b32 exec_lo, exec_lo, s3
	v_and_b32_e32 v4, 0x7f800000, v68
	s_delay_alu instid0(VALU_DEP_1) | instskip(SKIP_1) | instid1(SALU_CYCLE_1)
	v_cmp_ne_u32_e32 vcc_lo, 0x7f800000, v4
                                        ; implicit-def: $vgpr4
	s_and_saveexec_b32 s3, vcc_lo
	s_xor_b32 s3, exec_lo, s3
; %bb.91:
	v_bfe_u32 v4, v68, 16, 1
	s_delay_alu instid0(VALU_DEP_1)
	v_add3_u32 v4, v68, v4, 0x7fff
; %bb.92:
	s_and_not1_saveexec_b32 s3, s3
; %bb.93:
	v_and_b32_e32 v4, 0xffff, v68
	v_or_b32_e32 v5, 0x10000, v68
	s_delay_alu instid0(VALU_DEP_2) | instskip(NEXT) | instid1(VALU_DEP_2)
	v_cmp_eq_u32_e32 vcc_lo, 0, v4
	v_cndmask_b32_e32 v4, v5, v68, vcc_lo
; %bb.94:
	s_or_b32 exec_lo, exec_lo, s3
	v_and_b32_e32 v5, 0x7f800000, v69
	s_delay_alu instid0(VALU_DEP_1) | instskip(SKIP_1) | instid1(SALU_CYCLE_1)
	v_cmp_ne_u32_e32 vcc_lo, 0x7f800000, v5
                                        ; implicit-def: $vgpr5
	s_and_saveexec_b32 s3, vcc_lo
	s_xor_b32 s3, exec_lo, s3
; %bb.95:
	v_bfe_u32 v5, v69, 16, 1
	s_delay_alu instid0(VALU_DEP_1)
	v_add3_u32 v5, v69, v5, 0x7fff
; %bb.96:
	s_and_not1_saveexec_b32 s3, s3
; %bb.97:
	v_and_b32_e32 v5, 0xffff, v69
	v_or_b32_e32 v6, 0x10000, v69
	s_delay_alu instid0(VALU_DEP_2) | instskip(NEXT) | instid1(VALU_DEP_2)
	v_cmp_eq_u32_e32 vcc_lo, 0, v5
	v_cndmask_b32_e32 v5, v6, v69, vcc_lo
; %bb.98:
	s_or_b32 exec_lo, exec_lo, s3
	v_and_b32_e32 v6, 0x7f800000, v70
	s_delay_alu instid0(VALU_DEP_1) | instskip(SKIP_1) | instid1(SALU_CYCLE_1)
	v_cmp_ne_u32_e32 vcc_lo, 0x7f800000, v6
                                        ; implicit-def: $vgpr6
	s_and_saveexec_b32 s3, vcc_lo
	s_xor_b32 s3, exec_lo, s3
; %bb.99:
	v_bfe_u32 v6, v70, 16, 1
	s_delay_alu instid0(VALU_DEP_1)
	v_add3_u32 v6, v70, v6, 0x7fff
; %bb.100:
	s_and_not1_saveexec_b32 s3, s3
; %bb.101:
	v_and_b32_e32 v6, 0xffff, v70
	v_or_b32_e32 v7, 0x10000, v70
	s_delay_alu instid0(VALU_DEP_2) | instskip(NEXT) | instid1(VALU_DEP_2)
	v_cmp_eq_u32_e32 vcc_lo, 0, v6
	v_cndmask_b32_e32 v6, v7, v70, vcc_lo
; %bb.102:
	s_or_b32 exec_lo, exec_lo, s3
	v_and_b32_e32 v7, 0x7f800000, v71
	s_delay_alu instid0(VALU_DEP_1) | instskip(SKIP_1) | instid1(SALU_CYCLE_1)
	v_cmp_ne_u32_e32 vcc_lo, 0x7f800000, v7
                                        ; implicit-def: $vgpr7
	s_and_saveexec_b32 s3, vcc_lo
	s_xor_b32 s3, exec_lo, s3
; %bb.103:
	v_bfe_u32 v7, v71, 16, 1
	s_delay_alu instid0(VALU_DEP_1)
	v_add3_u32 v7, v71, v7, 0x7fff
; %bb.104:
	s_and_not1_saveexec_b32 s3, s3
; %bb.105:
	v_and_b32_e32 v7, 0xffff, v71
	v_or_b32_e32 v8, 0x10000, v71
	s_delay_alu instid0(VALU_DEP_2) | instskip(NEXT) | instid1(VALU_DEP_2)
	v_cmp_eq_u32_e32 vcc_lo, 0, v7
	v_cndmask_b32_e32 v7, v8, v71, vcc_lo
; %bb.106:
	s_or_b32 exec_lo, exec_lo, s3
	v_and_b32_e32 v8, 0x7f800000, v72
	s_delay_alu instid0(VALU_DEP_1) | instskip(SKIP_1) | instid1(SALU_CYCLE_1)
	v_cmp_ne_u32_e32 vcc_lo, 0x7f800000, v8
                                        ; implicit-def: $vgpr8
	s_and_saveexec_b32 s3, vcc_lo
	s_xor_b32 s3, exec_lo, s3
; %bb.107:
	v_bfe_u32 v8, v72, 16, 1
	s_delay_alu instid0(VALU_DEP_1)
	v_add3_u32 v8, v72, v8, 0x7fff
                                        ; implicit-def: $vgpr65_vgpr66_vgpr67_vgpr68_vgpr69_vgpr70_vgpr71_vgpr72
; %bb.108:
	s_and_not1_saveexec_b32 s3, s3
; %bb.109:
	v_and_b32_e32 v8, 0xffff, v72
	v_or_b32_e32 v9, 0x10000, v72
	s_delay_alu instid0(VALU_DEP_2) | instskip(NEXT) | instid1(VALU_DEP_2)
	v_cmp_eq_u32_e32 vcc_lo, 0, v8
	v_cndmask_b32_e32 v8, v9, v72, vcc_lo
; %bb.110:
	s_or_b32 exec_lo, exec_lo, s3
	s_delay_alu instid0(VALU_DEP_1)
	v_perm_b32 v7, v8, v7, 0x7060302
	v_perm_b32 v6, v6, v5, 0x7060302
	;; [unrolled: 1-line block ×4, first 2 shown]
	s_barrier
	buffer_gl0_inv
	v_cmp_eq_u32_e32 vcc_lo, 1, v78
	ds_store_b128 v76, v[4:7]
	s_waitcnt lgkmcnt(0)
	s_barrier
	buffer_gl0_inv
	ds_load_b128 v[1:4], v82
	ds_load_b128 v[5:8], v82 offset:16
	v_cmp_eq_u32_e64 s3, 1, v79
	v_cmp_eq_u32_e64 s4, 2, v78
	;; [unrolled: 1-line block ×5, first 2 shown]
	s_waitcnt lgkmcnt(1)
	v_lshrrev_b32_e32 v9, 16, v1
	s_waitcnt lgkmcnt(0)
	v_lshrrev_b32_e32 v13, 16, v5
	v_lshrrev_b32_e32 v10, 16, v2
	;; [unrolled: 1-line block ×4, first 2 shown]
	v_cndmask_b32_e64 v19, v1, v9, s3
	v_cndmask_b32_e32 v18, v5, v13, vcc_lo
	v_cndmask_b32_e64 v20, v5, v13, s3
	v_cndmask_b32_e32 v17, v1, v9, vcc_lo
	v_cmp_eq_u32_e32 vcc_lo, 2, v79
	v_lshrrev_b32_e32 v15, 16, v7
	v_cmp_eq_u32_e64 s3, 1, v77
	v_lshrrev_b32_e32 v12, 16, v4
	v_lshrrev_b32_e32 v16, 16, v8
	v_cndmask_b32_e32 v20, v20, v6, vcc_lo
	v_cndmask_b32_e64 v17, v17, v2, s4
	v_cndmask_b32_e32 v19, v19, v2, vcc_lo
	v_cndmask_b32_e64 v18, v18, v6, s4
	v_cmp_eq_u32_e32 vcc_lo, 4, v78
	v_cmp_eq_u32_e64 s4, 3, v79
	v_cndmask_b32_e64 v17, v17, v10, s5
	v_cndmask_b32_e64 v21, v1, v9, s3
	;; [unrolled: 1-line block ×5, first 2 shown]
	v_cndmask_b32_e32 v17, v17, v3, vcc_lo
	v_cndmask_b32_e64 v20, v20, v14, s4
	v_cndmask_b32_e32 v18, v18, v7, vcc_lo
	v_cmp_eq_u32_e32 vcc_lo, 4, v79
	v_cmp_eq_u32_e64 s4, 5, v79
	v_cmp_eq_u32_e64 s3, 2, v81
	v_cndmask_b32_e64 v21, v21, v2, s7
	v_cmp_eq_u32_e64 s5, 5, v78
	v_cndmask_b32_e32 v19, v19, v3, vcc_lo
	v_cndmask_b32_e32 v20, v20, v7, vcc_lo
	v_cmp_eq_u32_e32 vcc_lo, 6, v79
	s_delay_alu instid0(VALU_DEP_4) | instskip(NEXT) | instid1(VALU_DEP_4)
	v_cndmask_b32_e64 v17, v17, v11, s5
	v_cndmask_b32_e64 v19, v19, v11, s4
	s_delay_alu instid0(VALU_DEP_4) | instskip(SKIP_1) | instid1(VALU_DEP_3)
	v_cndmask_b32_e64 v20, v20, v15, s4
	v_cmp_eq_u32_e64 s4, 1, v81
	v_cndmask_b32_e32 v19, v19, v4, vcc_lo
	v_cndmask_b32_e64 v18, v18, v15, s5
	s_delay_alu instid0(VALU_DEP_3)
	v_cndmask_b32_e64 v1, v1, v9, s4
	v_cndmask_b32_e64 v5, v5, v13, s4
	v_cmp_eq_u32_e64 s4, 3, v77
	v_cndmask_b32_e64 v13, v22, v6, s7
	v_cmp_eq_u32_e64 s7, 3, v81
	v_cndmask_b32_e64 v1, v1, v2, s3
	v_cndmask_b32_e64 v2, v5, v6, s3
	;; [unrolled: 1-line block ×3, first 2 shown]
	v_cmp_eq_u32_e64 s3, 4, v77
	v_cndmask_b32_e64 v6, v13, v14, s4
	v_cndmask_b32_e64 v1, v1, v10, s7
	v_cmp_eq_u32_e64 s4, 4, v81
	v_cndmask_b32_e64 v2, v2, v14, s7
	v_cndmask_b32_e64 v5, v9, v3, s3
	;; [unrolled: 3-line block ×3, first 2 shown]
	v_cndmask_b32_e64 v2, v2, v7, s4
	v_cmp_eq_u32_e64 s3, 5, v81
	v_cmp_eq_u32_e64 s5, 6, v78
	v_cndmask_b32_e64 v5, v5, v11, s7
	v_cmp_eq_u32_e64 s4, 6, v77
	v_cndmask_b32_e64 v3, v6, v15, s7
	v_cndmask_b32_e64 v1, v1, v11, s3
	v_cmp_eq_u32_e64 s7, 6, v81
	v_cndmask_b32_e64 v2, v2, v15, s3
	v_cndmask_b32_e64 v17, v17, v4, s5
	v_cndmask_b32_e64 v18, v18, v8, s5
	v_cmp_eq_u32_e64 s5, 7, v78
	v_cndmask_b32_e64 v5, v5, v4, s4
	;; [unrolled: 4-line block ×3, first 2 shown]
	v_cmp_eq_u32_e64 s4, 7, v77
	v_cndmask_b32_e32 v4, v20, v8, vcc_lo
	v_cndmask_b32_e64 v17, v17, v12, s5
	v_cndmask_b32_e64 v19, v19, v12, s6
	;; [unrolled: 1-line block ×8, first 2 shown]
	s_mov_b32 s3, exec_lo
	v_perm_b32 v4, v2, v1, 0x5040100
	v_perm_b32 v3, v3, v5, 0x5040100
	;; [unrolled: 1-line block ×4, first 2 shown]
	ds_store_b128 v76, v[1:4]
	s_waitcnt lgkmcnt(0)
	s_barrier
	buffer_gl0_inv
	v_cmpx_gt_u32_e32 32, v0
	s_cbranch_execz .LBB1544_2
; %bb.111:
	s_load_b64 s[4:5], s[0:1], 0x68
	v_lshlrev_b32_e32 v0, 10, v0
	v_lshlrev_b32_e32 v2, 4, v75
	v_add_nc_u32_e32 v1, s31, v74
	s_lshl_b32 s0, s34, 7
	s_delay_alu instid0(SALU_CYCLE_1) | instskip(NEXT) | instid1(VALU_DEP_2)
	s_mul_i32 s1, s0, s30
	v_and_or_b32 v0, 0x3800, v0, v2
	s_mul_i32 s6, s1, s8
	v_mul_lo_u32 v1, v1, s0
	s_ashr_i32 s7, s6, 31
	s_delay_alu instid0(VALU_DEP_2) | instskip(SKIP_1) | instid1(VALU_DEP_2)
	v_lshl_or_b32 v3, v74, 6, v0
	s_lshl_b64 s[6:7], s[6:7], 1
	v_ashrrev_i32_e32 v2, 31, v1
	ds_load_b128 v[3:6], v3
	s_waitcnt lgkmcnt(0)
	s_add_u32 s1, s4, s6
	s_addc_u32 s3, s5, s7
	s_lshl_b32 s4, s14, 7
	v_lshlrev_b64 v[7:8], 1, v[1:2]
	s_ashr_i32 s5, s4, 31
	s_delay_alu instid0(SALU_CYCLE_1) | instskip(NEXT) | instid1(SALU_CYCLE_1)
	s_lshl_b64 s[4:5], s[4:5], 1
	s_add_u32 s1, s1, s4
	s_addc_u32 s3, s3, s5
	v_add_co_u32 v1, s1, s1, v73
	s_delay_alu instid0(VALU_DEP_1) | instskip(NEXT) | instid1(VALU_DEP_2)
	v_add_co_ci_u32_e64 v2, null, s3, 0, s1
	v_add_co_u32 v7, vcc_lo, v1, v7
	s_delay_alu instid0(VALU_DEP_2)
	v_add_co_ci_u32_e32 v8, vcc_lo, v2, v8, vcc_lo
	global_store_b128 v[7:8], v[3:6], off
	s_and_b32 exec_lo, exec_lo, s2
	s_cbranch_execz .LBB1544_2
; %bb.112:
	ds_load_b128 v[3:6], v0 offset:128
	s_add_i32 s1, s31, 2
	s_delay_alu instid0(SALU_CYCLE_1) | instskip(NEXT) | instid1(SALU_CYCLE_1)
	s_mul_i32 s0, s1, s0
	s_ashr_i32 s1, s0, 31
	s_delay_alu instid0(SALU_CYCLE_1) | instskip(NEXT) | instid1(SALU_CYCLE_1)
	s_lshl_b64 s[0:1], s[0:1], 1
	v_add_co_u32 v0, vcc_lo, v1, s0
	v_add_co_ci_u32_e32 v1, vcc_lo, s1, v2, vcc_lo
	s_waitcnt lgkmcnt(0)
	global_store_b128 v[0:1], v[3:6], off
	s_nop 0
	s_sendmsg sendmsg(MSG_DEALLOC_VGPRS)
	s_endpgm
	.section	.rodata,"a",@progbits
	.p2align	6, 0x0
	.amdhsa_kernel _Z39paged_attention_ll4mi_QKV_mfma16_kernelI14__hip_bfloat16hLN4vllm18Fp8KVCacheDataTypeE1EhLi16ELi128ELi256ELb0ELi3EL8MFMAType1EEvPKT_PKT0_S9_ifPKiSB_SB_iPKfiiiPfSE_PS4_PT2_iSD_SD_
		.amdhsa_group_segment_fixed_size 17472
		.amdhsa_private_segment_fixed_size 0
		.amdhsa_kernarg_size 400
		.amdhsa_user_sgpr_count 13
		.amdhsa_user_sgpr_dispatch_ptr 0
		.amdhsa_user_sgpr_queue_ptr 0
		.amdhsa_user_sgpr_kernarg_segment_ptr 1
		.amdhsa_user_sgpr_dispatch_id 0
		.amdhsa_user_sgpr_private_segment_size 0
		.amdhsa_wavefront_size32 1
		.amdhsa_uses_dynamic_stack 0
		.amdhsa_enable_private_segment 0
		.amdhsa_system_sgpr_workgroup_id_x 1
		.amdhsa_system_sgpr_workgroup_id_y 1
		.amdhsa_system_sgpr_workgroup_id_z 1
		.amdhsa_system_sgpr_workgroup_info 0
		.amdhsa_system_vgpr_workitem_id 0
		.amdhsa_next_free_vgpr 140
		.amdhsa_next_free_sgpr 36
		.amdhsa_reserve_vcc 1
		.amdhsa_float_round_mode_32 0
		.amdhsa_float_round_mode_16_64 0
		.amdhsa_float_denorm_mode_32 3
		.amdhsa_float_denorm_mode_16_64 3
		.amdhsa_dx10_clamp 1
		.amdhsa_ieee_mode 1
		.amdhsa_fp16_overflow 0
		.amdhsa_workgroup_processor_mode 1
		.amdhsa_memory_ordered 1
		.amdhsa_forward_progress 0
		.amdhsa_shared_vgpr_count 0
		.amdhsa_exception_fp_ieee_invalid_op 0
		.amdhsa_exception_fp_denorm_src 0
		.amdhsa_exception_fp_ieee_div_zero 0
		.amdhsa_exception_fp_ieee_overflow 0
		.amdhsa_exception_fp_ieee_underflow 0
		.amdhsa_exception_fp_ieee_inexact 0
		.amdhsa_exception_int_div_zero 0
	.end_amdhsa_kernel
	.section	.text._Z39paged_attention_ll4mi_QKV_mfma16_kernelI14__hip_bfloat16hLN4vllm18Fp8KVCacheDataTypeE1EhLi16ELi128ELi256ELb0ELi3EL8MFMAType1EEvPKT_PKT0_S9_ifPKiSB_SB_iPKfiiiPfSE_PS4_PT2_iSD_SD_,"axG",@progbits,_Z39paged_attention_ll4mi_QKV_mfma16_kernelI14__hip_bfloat16hLN4vllm18Fp8KVCacheDataTypeE1EhLi16ELi128ELi256ELb0ELi3EL8MFMAType1EEvPKT_PKT0_S9_ifPKiSB_SB_iPKfiiiPfSE_PS4_PT2_iSD_SD_,comdat
.Lfunc_end1544:
	.size	_Z39paged_attention_ll4mi_QKV_mfma16_kernelI14__hip_bfloat16hLN4vllm18Fp8KVCacheDataTypeE1EhLi16ELi128ELi256ELb0ELi3EL8MFMAType1EEvPKT_PKT0_S9_ifPKiSB_SB_iPKfiiiPfSE_PS4_PT2_iSD_SD_, .Lfunc_end1544-_Z39paged_attention_ll4mi_QKV_mfma16_kernelI14__hip_bfloat16hLN4vllm18Fp8KVCacheDataTypeE1EhLi16ELi128ELi256ELb0ELi3EL8MFMAType1EEvPKT_PKT0_S9_ifPKiSB_SB_iPKfiiiPfSE_PS4_PT2_iSD_SD_
                                        ; -- End function
	.section	.AMDGPU.csdata,"",@progbits
; Kernel info:
; codeLenInByte = 8848
; NumSgprs: 38
; NumVgprs: 140
; ScratchSize: 0
; MemoryBound: 0
; FloatMode: 240
; IeeeMode: 1
; LDSByteSize: 17472 bytes/workgroup (compile time only)
; SGPRBlocks: 4
; VGPRBlocks: 17
; NumSGPRsForWavesPerEU: 38
; NumVGPRsForWavesPerEU: 140
; Occupancy: 10
; WaveLimiterHint : 1
; COMPUTE_PGM_RSRC2:SCRATCH_EN: 0
; COMPUTE_PGM_RSRC2:USER_SGPR: 13
; COMPUTE_PGM_RSRC2:TRAP_HANDLER: 0
; COMPUTE_PGM_RSRC2:TGID_X_EN: 1
; COMPUTE_PGM_RSRC2:TGID_Y_EN: 1
; COMPUTE_PGM_RSRC2:TGID_Z_EN: 1
; COMPUTE_PGM_RSRC2:TIDIG_COMP_CNT: 0
	.section	.text._Z39paged_attention_ll4mi_QKV_mfma16_kernelI14__hip_bfloat16hLN4vllm18Fp8KVCacheDataTypeE1EhLi16ELi128ELi256ELb0ELi4EL8MFMAType1EEvPKT_PKT0_S9_ifPKiSB_SB_iPKfiiiPfSE_PS4_PT2_iSD_SD_,"axG",@progbits,_Z39paged_attention_ll4mi_QKV_mfma16_kernelI14__hip_bfloat16hLN4vllm18Fp8KVCacheDataTypeE1EhLi16ELi128ELi256ELb0ELi4EL8MFMAType1EEvPKT_PKT0_S9_ifPKiSB_SB_iPKfiiiPfSE_PS4_PT2_iSD_SD_,comdat
	.protected	_Z39paged_attention_ll4mi_QKV_mfma16_kernelI14__hip_bfloat16hLN4vllm18Fp8KVCacheDataTypeE1EhLi16ELi128ELi256ELb0ELi4EL8MFMAType1EEvPKT_PKT0_S9_ifPKiSB_SB_iPKfiiiPfSE_PS4_PT2_iSD_SD_ ; -- Begin function _Z39paged_attention_ll4mi_QKV_mfma16_kernelI14__hip_bfloat16hLN4vllm18Fp8KVCacheDataTypeE1EhLi16ELi128ELi256ELb0ELi4EL8MFMAType1EEvPKT_PKT0_S9_ifPKiSB_SB_iPKfiiiPfSE_PS4_PT2_iSD_SD_
	.globl	_Z39paged_attention_ll4mi_QKV_mfma16_kernelI14__hip_bfloat16hLN4vllm18Fp8KVCacheDataTypeE1EhLi16ELi128ELi256ELb0ELi4EL8MFMAType1EEvPKT_PKT0_S9_ifPKiSB_SB_iPKfiiiPfSE_PS4_PT2_iSD_SD_
	.p2align	8
	.type	_Z39paged_attention_ll4mi_QKV_mfma16_kernelI14__hip_bfloat16hLN4vllm18Fp8KVCacheDataTypeE1EhLi16ELi128ELi256ELb0ELi4EL8MFMAType1EEvPKT_PKT0_S9_ifPKiSB_SB_iPKfiiiPfSE_PS4_PT2_iSD_SD_,@function
_Z39paged_attention_ll4mi_QKV_mfma16_kernelI14__hip_bfloat16hLN4vllm18Fp8KVCacheDataTypeE1EhLi16ELi128ELi256ELb0ELi4EL8MFMAType1EEvPKT_PKT0_S9_ifPKiSB_SB_iPKfiiiPfSE_PS4_PT2_iSD_SD_: ; @_Z39paged_attention_ll4mi_QKV_mfma16_kernelI14__hip_bfloat16hLN4vllm18Fp8KVCacheDataTypeE1EhLi16ELi128ELi256ELb0ELi4EL8MFMAType1EEvPKT_PKT0_S9_ifPKiSB_SB_iPKfiiiPfSE_PS4_PT2_iSD_SD_
; %bb.0:
	s_load_b64 s[4:5], s[0:1], 0x30
	s_mov_b32 s30, s13
	s_waitcnt lgkmcnt(0)
	s_cmp_lg_u64 s[4:5], 0
	s_cselect_b32 s13, -1, 0
	s_ashr_i32 s31, s30, 31
	s_cmp_eq_u64 s[4:5], 0
	s_cbranch_scc1 .LBB1545_3
; %bb.1:
	s_lshl_b64 s[2:3], s[30:31], 2
	s_delay_alu instid0(SALU_CYCLE_1) | instskip(SKIP_4) | instid1(SALU_CYCLE_1)
	s_add_u32 s2, s4, s2
	s_addc_u32 s3, s5, s3
	s_load_b64 s[2:3], s[2:3], 0x0
	s_waitcnt lgkmcnt(0)
	s_sub_i32 s2, s3, s2
	s_cmp_eq_u32 s2, 1
	s_cselect_b32 s2, -1, 0
	s_delay_alu instid0(SALU_CYCLE_1)
	s_and_not1_b32 vcc_lo, exec_lo, s2
	s_cbranch_vccz .LBB1545_4
.LBB1545_2:
	s_endpgm
.LBB1545_3:
.LBB1545_4:
	s_load_b64 s[2:3], s[0:1], 0x28
	s_lshl_b64 s[6:7], s[30:31], 2
	s_waitcnt lgkmcnt(0)
	s_add_u32 s2, s2, s6
	s_addc_u32 s3, s3, s7
	s_lshl_b32 s12, s14, 8
	s_load_b32 s17, s[2:3], 0x0
	s_waitcnt lgkmcnt(0)
	s_cmp_ge_i32 s12, s17
	s_cbranch_scc1 .LBB1545_2
; %bb.5:
	s_clause 0x1
	s_load_b128 s[8:11], s[0:1], 0x8
	s_load_b64 s[2:3], s[0:1], 0x20
	s_and_not1_b32 vcc_lo, exec_lo, s13
	s_cbranch_vccnz .LBB1545_7
; %bb.6:
	s_add_u32 s4, s4, s6
	s_addc_u32 s5, s5, s7
	s_load_b32 s13, s[4:5], 0x0
	s_branch .LBB1545_8
.LBB1545_7:
	s_mov_b32 s13, s30
.LBB1545_8:
	s_load_b128 s[4:7], s[0:1], 0x48
	v_and_b32_e32 v66, 15, v0
	v_lshrrev_b32_e32 v65, 5, v0
	v_and_b32_e32 v67, 31, v0
	v_and_b32_e32 v75, 1, v0
	v_bfe_u32 v74, v0, 4, 1
	v_lshlrev_b32_e32 v1, 3, v66
	s_lshl_b32 s29, s15, 2
	s_waitcnt lgkmcnt(0)
	s_mov_b32 s7, exec_lo
	s_delay_alu instid0(VALU_DEP_1)
	v_lshlrev_b32_e32 v73, 1, v1
	v_cmpx_gt_u32_e32 64, v0
	s_cbranch_execz .LBB1545_10
; %bb.9:
	v_lshl_or_b32 v5, v65, 1, v74
	s_load_b64 s[18:19], s[0:1], 0x0
	s_mul_hi_i32 s21, s13, s4
	s_mul_i32 s20, s13, s4
	v_lshlrev_b32_e32 v6, 10, v66
	v_or_b32_e32 v1, s29, v5
	s_lshl_b64 s[20:21], s[20:21], 1
	v_lshlrev_b32_e32 v5, 6, v5
	v_lshlrev_b32_e32 v7, 10, v75
	v_and_b32_e32 v6, 0x3800, v6
	v_lshlrev_b32_e32 v1, 7, v1
	s_delay_alu instid0(VALU_DEP_2) | instskip(NEXT) | instid1(VALU_DEP_2)
	v_or3_b32 v5, v6, v7, v5
	v_ashrrev_i32_e32 v2, 31, v1
	s_delay_alu instid0(VALU_DEP_1) | instskip(SKIP_3) | instid1(VALU_DEP_1)
	v_lshlrev_b64 v[1:2], 1, v[1:2]
	s_waitcnt lgkmcnt(0)
	s_add_u32 s4, s18, s20
	s_addc_u32 s13, s19, s21
	v_add_co_u32 v1, vcc_lo, s4, v1
	s_delay_alu instid0(VALU_DEP_2) | instskip(NEXT) | instid1(VALU_DEP_2)
	v_add_co_ci_u32_e32 v2, vcc_lo, s13, v2, vcc_lo
	v_add_co_u32 v1, vcc_lo, v1, v73
	s_delay_alu instid0(VALU_DEP_2)
	v_add_co_ci_u32_e32 v2, vcc_lo, 0, v2, vcc_lo
	global_load_b128 v[1:4], v[1:2], off
	s_waitcnt vmcnt(0)
	ds_store_b128 v5, v[1:4]
.LBB1545_10:
	s_or_b32 exec_lo, exec_lo, s7
	v_and_b32_e32 v1, 0xef, v0
	s_add_i32 s4, s17, 15
	s_clause 0x1
	s_load_b32 s7, s[0:1], 0x38
	s_load_b32 s18, s[0:1], 0x1c
	s_ashr_i32 s13, s4, 31
	v_add_nc_u32_e32 v1, s12, v1
	s_lshr_b32 s13, s13, 28
	s_waitcnt lgkmcnt(0)
	s_add_i32 s4, s4, s13
	s_barrier
	v_ashrrev_i32_e32 v2, 31, v1
	v_or_b32_e32 v3, 16, v1
	s_ashr_i32 s4, s4, 4
	v_cmp_gt_i32_e32 vcc_lo, s17, v1
	s_add_i32 s4, s4, -1
	v_lshrrev_b32_e32 v2, 28, v2
	buffer_gl0_inv
	s_mul_i32 s15, s15, s6
	v_add_nc_u32_e32 v4, v1, v2
	s_mul_i32 s20, s30, s7
	s_delay_alu instid0(SALU_CYCLE_1) | instskip(NEXT) | instid1(VALU_DEP_1)
	s_ashr_i32 s21, s20, 31
	v_ashrrev_i32_e32 v4, 4, v4
	v_add_nc_u32_e32 v2, v3, v2
	s_lshl_b64 s[20:21], s[20:21], 2
	s_delay_alu instid0(SALU_CYCLE_1) | instskip(NEXT) | instid1(VALU_DEP_2)
	s_add_u32 s13, s2, s20
	v_cndmask_b32_e32 v1, s4, v4, vcc_lo
	s_delay_alu instid0(VALU_DEP_2)
	v_ashrrev_i32_e32 v2, 4, v2
	v_cmp_gt_i32_e32 vcc_lo, s17, v3
	s_addc_u32 s16, s3, s21
	s_ashr_i32 s19, s15, 31
	s_add_u32 s26, s8, s15
	s_addc_u32 s27, s9, s19
	v_cndmask_b32_e32 v3, s4, v2, vcc_lo
	v_ashrrev_i32_e32 v2, 31, v1
	s_lshl_b32 s2, s14, 4
	s_delay_alu instid0(SALU_CYCLE_1) | instskip(NEXT) | instid1(VALU_DEP_2)
	s_ashr_i32 s3, s2, 31
	v_ashrrev_i32_e32 v4, 31, v3
	s_delay_alu instid0(VALU_DEP_2) | instskip(SKIP_1) | instid1(SALU_CYCLE_1)
	v_lshlrev_b64 v[1:2], 2, v[1:2]
	s_lshl_b64 s[2:3], s[2:3], 2
	s_add_u32 s2, s13, s2
	s_delay_alu instid0(VALU_DEP_2) | instskip(SKIP_1) | instid1(VALU_DEP_2)
	v_lshlrev_b64 v[3:4], 2, v[3:4]
	s_addc_u32 s3, s16, s3
	v_add_co_u32 v1, vcc_lo, s13, v1
	v_add_co_ci_u32_e32 v2, vcc_lo, s16, v2, vcc_lo
	s_delay_alu instid0(VALU_DEP_3) | instskip(NEXT) | instid1(VALU_DEP_4)
	v_add_co_u32 v3, vcc_lo, s13, v3
	v_add_co_ci_u32_e32 v4, vcc_lo, s16, v4, vcc_lo
	s_clause 0x1
	global_load_b32 v5, v[1:2], off
	global_load_b32 v3, v[3:4], off
	s_or_b32 s6, s12, 32
	s_delay_alu instid0(SALU_CYCLE_1) | instskip(SKIP_2) | instid1(SALU_CYCLE_1)
	s_ashr_i32 s7, s6, 4
	s_cmp_lt_i32 s6, s17
	s_cselect_b32 s6, s7, s4
	s_ashr_i32 s7, s6, 31
	s_delay_alu instid0(SALU_CYCLE_1) | instskip(NEXT) | instid1(SALU_CYCLE_1)
	s_lshl_b64 s[6:7], s[6:7], 2
	s_add_u32 s6, s13, s6
	s_addc_u32 s7, s16, s7
	s_or_b32 s8, s12, 64
	s_delay_alu instid0(SALU_CYCLE_1) | instskip(SKIP_2) | instid1(SALU_CYCLE_1)
	s_ashr_i32 s9, s8, 4
	s_cmp_lt_i32 s8, s17
	s_cselect_b32 s8, s9, s4
	s_ashr_i32 s9, s8, 31
	s_delay_alu instid0(SALU_CYCLE_1) | instskip(NEXT) | instid1(SALU_CYCLE_1)
	s_lshl_b64 s[8:9], s[8:9], 2
	s_add_u32 s8, s13, s8
	s_addc_u32 s9, s16, s9
	;; [unrolled: 10-line block ×5, first 2 shown]
	s_clause 0x5
	s_load_b32 s28, s[2:3], 0x0
	s_load_b32 s31, s[6:7], 0x0
	;; [unrolled: 1-line block ×6, first 2 shown]
	s_mov_b32 s20, 0
	s_or_b32 s2, s12, 0xc0
	s_mov_b32 s21, s20
	s_mov_b32 s22, s20
	;; [unrolled: 1-line block ×5, first 2 shown]
	v_lshlrev_b32_e32 v1, 4, v0
	s_ashr_i32 s3, s2, 4
	s_cmp_lt_i32 s2, s17
	s_cselect_b32 s2, s3, s4
	s_delay_alu instid0(VALU_DEP_1) | instskip(SKIP_1) | instid1(SALU_CYCLE_1)
	v_and_b32_e32 v1, 0xf0, v1
	s_ashr_i32 s3, s2, 31
	s_lshl_b64 s[2:3], s[2:3], 2
	s_delay_alu instid0(VALU_DEP_1) | instskip(NEXT) | instid1(VALU_DEP_1)
	v_add_co_u32 v1, s26, s26, v1
	v_add_co_ci_u32_e64 v2, null, s27, 0, s26
	s_add_u32 s2, s13, s2
	s_addc_u32 s3, s16, s3
	s_or_b32 s6, s12, 0xe0
	s_mov_b32 s26, s20
	s_ashr_i32 s7, s6, 4
	s_cmp_lt_i32 s6, s17
	s_mov_b32 s27, s20
	s_cselect_b32 s6, s7, s4
	v_dual_mov_b32 v107, s27 :: v_dual_mov_b32 v100, s20
	s_ashr_i32 s7, s6, 31
	v_mov_b32_e32 v106, s26
	s_lshl_b64 s[6:7], s[6:7], 2
	v_dual_mov_b32 v104, s24 :: v_dual_mov_b32 v103, s23
	v_dual_mov_b32 v102, s22 :: v_dual_mov_b32 v101, s21
	v_mov_b32_e32 v105, s25
	s_waitcnt vmcnt(1)
	v_mad_i64_i32 v[33:34], null, v5, s5, v[1:2]
	s_waitcnt vmcnt(0)
	v_mad_i64_i32 v[35:36], null, v3, s5, v[1:2]
	s_clause 0xf
	global_load_b128 v[1:4], v[33:34], off
	global_load_b128 v[5:8], v[33:34], off offset:256
	global_load_b128 v[9:12], v[35:36], off
	global_load_b128 v[13:16], v[35:36], off offset:256
	global_load_b128 v[17:20], v[33:34], off offset:512
	;; [unrolled: 1-line block ×13, first 2 shown]
	v_and_b32_e32 v33, 3, v0
	v_lshlrev_b32_e32 v34, 4, v66
	s_delay_alu instid0(VALU_DEP_2) | instskip(NEXT) | instid1(VALU_DEP_2)
	v_lshlrev_b32_e32 v72, 6, v33
	v_lshl_or_b32 v41, v65, 8, v34
	ds_load_b128 v[33:36], v72
	ds_load_b128 v[37:40], v72 offset:1024
	ds_load_b128 v[108:111], v72 offset:2048
	;; [unrolled: 1-line block ×3, first 2 shown]
	s_load_b32 s4, s[2:3], 0x0
	s_add_u32 s2, s13, s6
	s_addc_u32 s3, s16, s7
	ds_load_b128 v[116:119], v72 offset:4096
	ds_load_b128 v[120:123], v72 offset:5120
	s_load_b32 s2, s[2:3], 0x0
	s_add_u32 s6, s10, s15
	s_addc_u32 s7, s11, s19
	v_add_co_u32 v68, s6, s6, v41
	s_delay_alu instid0(VALU_DEP_1) | instskip(SKIP_1) | instid1(VALU_DEP_1)
	v_add_co_ci_u32_e64 v69, null, s7, 0, s6
	s_waitcnt lgkmcnt(0)
	v_mad_i64_i32 v[41:42], null, s28, s5, v[68:69]
	v_mad_i64_i32 v[70:71], null, s8, s5, v[68:69]
	;; [unrolled: 1-line block ×7, first 2 shown]
	s_clause 0x3
	global_load_b128 v[49:52], v[41:42], off
	global_load_b128 v[53:56], v[41:42], off offset:16
	global_load_b128 v[41:44], v[45:46], off
	global_load_b128 v[45:48], v[45:46], off offset:16
	s_waitcnt vmcnt(18)
	v_wmma_f32_16x16x16_bf16 v[124:131], v[1:8], v[33:40], v[100:107]
	s_waitcnt vmcnt(16)
	v_wmma_f32_16x16x16_bf16 v[100:107], v[9:16], v[33:40], v[100:107]
	s_clause 0x1
	global_load_b128 v[33:36], v[70:71], off
	global_load_b128 v[37:40], v[70:71], off offset:16
	v_mad_i64_i32 v[70:71], null, s2, s5, v[68:69]
	s_waitcnt vmcnt(16)
	v_wmma_f32_16x16x16_bf16 v[124:131], v[17:24], v[108:115], v[124:131]
	s_waitcnt vmcnt(14)
	v_wmma_f32_16x16x16_bf16 v[100:107], v[25:32], v[108:115], v[100:107]
	s_clause 0x7
	global_load_b128 v[25:28], v[132:133], off
	global_load_b128 v[29:32], v[132:133], off offset:16
	global_load_b128 v[1:4], v[134:135], off
	global_load_b128 v[5:8], v[134:135], off offset:16
	;; [unrolled: 2-line block ×4, first 2 shown]
	s_waitcnt vmcnt(20)
	v_wmma_f32_16x16x16_bf16 v[124:131], v[57:64], v[116:123], v[124:131]
	s_clause 0x1
	global_load_b128 v[57:60], v[70:71], off
	global_load_b128 v[61:64], v[70:71], off offset:16
	s_waitcnt vmcnt(20)
	v_wmma_f32_16x16x16_bf16 v[100:107], v[76:83], v[116:123], v[100:107]
	ds_load_b128 v[76:79], v72 offset:6144
	ds_load_b128 v[80:83], v72 offset:7168
	v_and_b32_e32 v68, 0xe0, v0
	v_mbcnt_lo_u32_b32 v69, -1, 0
	s_waitcnt vmcnt(0) lgkmcnt(0)
	s_barrier
	buffer_gl0_inv
	v_add_nc_u32_e32 v68, s12, v68
	v_xor_b32_e32 v70, 16, v69
	s_delay_alu instid0(VALU_DEP_2) | instskip(NEXT) | instid1(VALU_DEP_2)
	v_or_b32_e32 v68, v68, v74
	v_cmp_gt_i32_e32 vcc_lo, 32, v70
	s_delay_alu instid0(VALU_DEP_2)
	v_or_b32_e32 v71, 4, v68
	v_or_b32_e32 v72, 6, v68
	v_cmp_gt_i32_e64 s2, s17, v68
	v_or_b32_e32 v108, 8, v68
	v_wmma_f32_16x16x16_bf16 v[124:131], v[84:91], v[76:83], v[124:131]
	v_cndmask_b32_e32 v69, v69, v70, vcc_lo
	v_or_b32_e32 v70, 2, v68
	v_wmma_f32_16x16x16_bf16 v[100:107], v[92:99], v[76:83], v[100:107]
	v_or_b32_e32 v109, 10, v68
	v_dual_mul_f32 v80, s18, v129 :: v_dual_mul_f32 v81, s18, v128
	v_dual_mul_f32 v92, s18, v125 :: v_dual_mul_f32 v93, s18, v124
	s_delay_alu instid0(VALU_DEP_4)
	v_mul_f32_e32 v96, s18, v105
	v_cmp_gt_i32_e32 vcc_lo, s17, v70
	v_or_b32_e32 v89, 22, v68
	v_dual_mul_f32 v79, s18, v130 :: v_dual_mul_f32 v82, s18, v127
	v_dual_mul_f32 v83, s18, v126 :: v_dual_mul_f32 v94, s18, v107
	v_cndmask_b32_e64 v93, 0xff7fffff, v93, s2
	v_cndmask_b32_e32 v92, 0xff7fffff, v92, vcc_lo
	v_cmp_gt_i32_e64 s3, s17, v71
	v_cmp_gt_i32_e64 s4, s17, v72
	v_or_b32_e32 v84, 12, v68
	v_or_b32_e32 v85, 14, v68
	v_cmp_gt_i32_e64 s5, s17, v108
	v_cndmask_b32_e64 v71, 0xff7fffff, v83, s3
	v_cndmask_b32_e64 v72, 0xff7fffff, v82, s4
	v_cmp_gt_i32_e64 s6, s17, v109
	v_cmp_gt_i32_e64 s12, s17, v89
	v_lshlrev_b32_e32 v89, 2, v69
	v_max3_f32 v82, v93, 0xff7fffff, v92
	v_or_b32_e32 v86, 16, v68
	v_or_b32_e32 v87, 18, v68
	v_mul_f32_e32 v78, s18, v131
	v_cndmask_b32_e64 v81, 0xff7fffff, v81, s5
	v_cndmask_b32_e64 v80, 0xff7fffff, v80, s6
	v_max3_f32 v71, v82, v71, v72
	v_cmp_gt_i32_e64 s7, s17, v84
	v_cmp_gt_i32_e64 s8, s17, v85
	v_or_b32_e32 v88, 20, v68
	v_or_b32_e32 v90, 24, v68
	;; [unrolled: 1-line block ×5, first 2 shown]
	v_dual_mul_f32 v97, s18, v104 :: v_dual_mul_f32 v70, s18, v101
	v_dual_mul_f32 v99, s18, v102 :: v_dual_mul_f32 v68, s18, v100
	v_cndmask_b32_e64 v72, 0xff7fffff, v79, s7
	v_cndmask_b32_e64 v78, 0xff7fffff, v78, s8
	v_max3_f32 v71, v71, v81, v80
	v_cmp_gt_i32_e64 s9, s17, v86
	v_cmp_gt_i32_e64 s10, s17, v87
	v_dual_mul_f32 v95, s18, v106 :: v_dual_mul_f32 v98, s18, v103
	s_delay_alu instid0(VALU_DEP_4) | instskip(NEXT) | instid1(VALU_DEP_4)
	v_max3_f32 v71, v71, v72, v78
	v_cndmask_b32_e64 v68, 0xff7fffff, v68, s9
	s_delay_alu instid0(VALU_DEP_4)
	v_cndmask_b32_e64 v70, 0xff7fffff, v70, s10
	v_cmp_gt_i32_e64 s11, s17, v88
	v_cndmask_b32_e64 v78, 0xff7fffff, v98, s12
	v_cmp_gt_i32_e64 s13, s17, v90
	v_cmp_gt_i32_e64 s15, s17, v91
	v_max3_f32 v68, v71, v68, v70
	v_cndmask_b32_e64 v72, 0xff7fffff, v99, s11
	v_cmp_gt_i32_e64 s16, s17, v76
	v_cndmask_b32_e64 v70, 0xff7fffff, v97, s13
	v_cndmask_b32_e64 v71, 0xff7fffff, v96, s15
	v_cmp_gt_i32_e64 s17, s17, v77
	v_max3_f32 v68, v68, v72, v78
	v_cndmask_b32_e64 v72, 0xff7fffff, v95, s16
	s_delay_alu instid0(VALU_DEP_3) | instskip(NEXT) | instid1(VALU_DEP_3)
	v_cndmask_b32_e64 v76, 0xff7fffff, v94, s17
	v_max3_f32 v68, v68, v70, v71
	s_delay_alu instid0(VALU_DEP_1) | instskip(SKIP_3) | instid1(VALU_DEP_1)
	v_max3_f32 v68, v68, v72, v76
	ds_bpermute_b32 v69, v89, v68
	s_waitcnt lgkmcnt(0)
	v_max_f32_e32 v69, v69, v69
	v_max_f32_e32 v68, v68, v69
	s_delay_alu instid0(VALU_DEP_1) | instskip(NEXT) | instid1(VALU_DEP_1)
	v_fma_f32 v71, s18, v126, -v68
	v_mul_f32_e32 v71, 0x3fb8aa3b, v71
	v_fma_f32 v70, s18, v125, -v68
	v_fma_f32 v69, s18, v124, -v68
	v_fma_f32 v76, s18, v128, -v68
	v_fma_f32 v72, s18, v127, -v68
	v_fma_f32 v78, s18, v130, -v68
	s_delay_alu instid0(VALU_DEP_4) | instskip(SKIP_1) | instid1(VALU_DEP_3)
	v_dual_mul_f32 v70, 0x3fb8aa3b, v70 :: v_dual_mul_f32 v69, 0x3fb8aa3b, v69
	v_exp_f32_e32 v71, v71
	v_mul_f32_e32 v72, 0x3fb8aa3b, v72
	v_fma_f32 v81, s18, v105, -v68
	s_delay_alu instid0(VALU_DEP_3)
	v_exp_f32_e32 v70, v70
	v_mul_f32_e32 v77, 0x3fb8aa3b, v76
	v_exp_f32_e32 v69, v69
	v_exp_f32_e32 v72, v72
	v_mul_f32_e32 v81, 0x3fb8aa3b, v81
	v_cndmask_b32_e64 v83, 0, v71, s3
	v_fma_f32 v71, s18, v131, -v68
	s_delay_alu instid0(VALU_DEP_3) | instskip(SKIP_4) | instid1(TRANS32_DEP_3)
	v_exp_f32_e32 v81, v81
	v_cndmask_b32_e32 v76, 0, v70, vcc_lo
	v_exp_f32_e32 v77, v77
	v_cndmask_b32_e64 v80, 0, v69, s2
	v_fma_f32 v69, s18, v129, -v68
	v_cndmask_b32_e64 v85, 0, v72, s4
	v_mul_f32_e32 v71, 0x3fb8aa3b, v71
	v_fma_f32 v72, s18, v100, -v68
	s_delay_alu instid0(VALU_DEP_4) | instskip(SKIP_1) | instid1(VALU_DEP_3)
	v_dual_add_f32 v70, 0, v80 :: v_dual_mul_f32 v69, 0x3fb8aa3b, v69
	s_mov_b32 s2, exec_lo
	v_exp_f32_e32 v71, v71
	s_delay_alu instid0(TRANS32_DEP_2) | instskip(SKIP_4) | instid1(VALU_DEP_3)
	v_cndmask_b32_e64 v86, 0, v77, s5
	v_fma_f32 v77, s18, v101, -v68
	v_mul_f32_e32 v78, 0x3fb8aa3b, v78
	v_add_f32_e32 v70, v70, v76
	v_exp_f32_e32 v69, v69
	v_mul_f32_e32 v77, 0x3fb8aa3b, v77
	s_delay_alu instid0(VALU_DEP_3) | instskip(NEXT) | instid1(TRANS32_DEP_3)
	v_exp_f32_e32 v78, v78
	v_cndmask_b32_e64 v88, 0, v71, s8
	v_fma_f32 v71, s18, v104, -v68
	s_delay_alu instid0(VALU_DEP_3) | instskip(NEXT) | instid1(TRANS32_DEP_3)
	v_exp_f32_e32 v77, v77
	v_cndmask_b32_e64 v87, 0, v69, s6
	s_delay_alu instid0(VALU_DEP_2)
	v_mul_f32_e32 v71, 0x3fb8aa3b, v71
	s_waitcnt_depctr 0xfff
	v_cndmask_b32_e64 v84, 0, v78, s7
	v_add_f32_e32 v70, v70, v83
	v_fma_f32 v78, s18, v103, -v68
	v_exp_f32_e32 v82, v71
	s_delay_alu instid0(VALU_DEP_2) | instskip(SKIP_1) | instid1(VALU_DEP_3)
	v_add_f32_e32 v70, v70, v85
	v_mul_f32_e32 v72, 0x3fb8aa3b, v72
	v_mul_f32_e32 v78, 0x3fb8aa3b, v78
	s_delay_alu instid0(VALU_DEP_3) | instskip(SKIP_1) | instid1(VALU_DEP_4)
	v_add_f32_e32 v69, v70, v86
	v_fma_f32 v70, s18, v102, -v68
	v_exp_f32_e32 v72, v72
	s_delay_alu instid0(VALU_DEP_3) | instskip(NEXT) | instid1(VALU_DEP_1)
	v_exp_f32_e32 v78, v78
	v_dual_add_f32 v69, v69, v87 :: v_dual_mul_f32 v70, 0x3fb8aa3b, v70
	s_delay_alu instid0(VALU_DEP_1) | instskip(NEXT) | instid1(VALU_DEP_2)
	v_add_f32_e32 v69, v69, v84
	v_exp_f32_e32 v79, v70
	s_delay_alu instid0(TRANS32_DEP_3) | instskip(NEXT) | instid1(VALU_DEP_2)
	v_cndmask_b32_e64 v70, 0, v72, s9
	v_add_f32_e32 v72, v69, v88
	v_cndmask_b32_e64 v69, 0, v77, s10
	v_fma_f32 v77, s18, v106, -v68
	s_waitcnt_depctr 0xfff
	v_cndmask_b32_e64 v71, 0, v79, s11
	v_dual_mul_f32 v77, 0x3fb8aa3b, v77 :: v_dual_add_f32 v72, v72, v70
	s_delay_alu instid0(VALU_DEP_1) | instskip(NEXT) | instid1(VALU_DEP_1)
	v_exp_f32_e32 v90, v77
	v_add_f32_e32 v79, v72, v69
	v_cndmask_b32_e64 v72, 0, v78, s12
	v_cndmask_b32_e64 v77, 0, v82, s13
	s_delay_alu instid0(VALU_DEP_3) | instskip(SKIP_1) | instid1(VALU_DEP_1)
	v_add_f32_e32 v78, v79, v71
	v_fma_f32 v79, s18, v107, -v68
	v_dual_add_f32 v82, v78, v72 :: v_dual_mul_f32 v79, 0x3fb8aa3b, v79
	v_cndmask_b32_e64 v78, 0, v81, s15
	s_delay_alu instid0(VALU_DEP_2) | instskip(NEXT) | instid1(VALU_DEP_3)
	v_add_f32_e32 v81, v82, v77
	v_exp_f32_e32 v82, v79
	v_cndmask_b32_e64 v79, 0, v90, s16
	s_delay_alu instid0(VALU_DEP_2) | instskip(NEXT) | instid1(VALU_DEP_1)
	v_add_f32_e32 v81, v81, v78
	v_add_f32_e32 v90, v81, v79
	s_waitcnt_depctr 0xfff
	v_cndmask_b32_e64 v81, 0, v82, s17
	s_delay_alu instid0(VALU_DEP_1)
	v_add_f32_e32 v82, v90, v81
	ds_bpermute_b32 v89, v89, v82
	v_cmpx_gt_u32_e32 16, v67
	s_cbranch_execz .LBB1545_12
; %bb.11:
	v_mul_u32_u24_e32 v67, 0x44, v65
	s_delay_alu instid0(VALU_DEP_1) | instskip(SKIP_1) | instid1(VALU_DEP_1)
	v_lshl_add_u32 v67, v66, 2, v67
	s_waitcnt lgkmcnt(0)
	v_dual_add_f32 v82, v82, v89 :: v_dual_add_nc_u32 v67, 0x4000, v67
	ds_store_2addr_b32 v67, v68, v82 offset1:136
.LBB1545_12:
	s_or_b32 exec_lo, exec_lo, s2
	v_lshlrev_b32_e32 v67, 2, v66
	s_waitcnt lgkmcnt(0)
	s_barrier
	buffer_gl0_inv
	v_cmp_eq_u32_e32 vcc_lo, 1, v65
	v_add_nc_u32_e32 v82, 0x4000, v67
	v_cmp_eq_u32_e64 s2, 2, v65
	v_cmp_eq_u32_e64 s4, 7, v65
	ds_load_2addr_b32 v[89:90], v82 offset1:17
	ds_load_2addr_b32 v[91:92], v82 offset0:34 offset1:51
	ds_load_2addr_b32 v[93:94], v82 offset0:68 offset1:85
	;; [unrolled: 1-line block ×4, first 2 shown]
	s_waitcnt lgkmcnt(4)
	v_max3_f32 v67, v89, 0xff7fffff, v90
	s_waitcnt lgkmcnt(3)
	s_delay_alu instid0(VALU_DEP_1) | instskip(SKIP_1) | instid1(VALU_DEP_1)
	v_max3_f32 v67, v67, v91, v92
	s_waitcnt lgkmcnt(2)
	v_max3_f32 v67, v67, v93, v94
	s_waitcnt lgkmcnt(1)
	s_delay_alu instid0(VALU_DEP_1) | instskip(NEXT) | instid1(VALU_DEP_1)
	v_max3_f32 v67, v67, v95, v96
	v_sub_f32_e32 v93, v93, v67
	s_delay_alu instid0(VALU_DEP_1) | instskip(NEXT) | instid1(VALU_DEP_1)
	v_dual_sub_f32 v68, v89, v67 :: v_dual_mul_f32 v103, 0x3fb8aa3b, v93
	v_mul_f32_e32 v68, 0x3fb8aa3b, v68
	s_delay_alu instid0(VALU_DEP_1)
	v_exp_f32_e32 v100, v68
	v_sub_f32_e32 v68, v92, v67
	v_sub_f32_e32 v99, v90, v67
	ds_load_2addr_b32 v[89:90], v82 offset0:170 offset1:187
	v_dual_mul_f32 v102, 0x3fb8aa3b, v68 :: v_dual_mul_f32 v99, 0x3fb8aa3b, v99
	s_waitcnt lgkmcnt(1)
	v_fma_f32 v68, v100, v97, 0
	s_delay_alu instid0(VALU_DEP_2) | instskip(NEXT) | instid1(VALU_DEP_2)
	v_exp_f32_e32 v102, v102
	v_exp_f32_e32 v99, v99
	s_waitcnt_depctr 0xfff
	v_fmac_f32_e32 v68, v99, v98
	v_sub_f32_e32 v91, v91, v67
	s_delay_alu instid0(VALU_DEP_1)
	v_mul_f32_e32 v101, 0x3fb8aa3b, v91
	ds_load_2addr_b32 v[91:92], v82 offset0:204 offset1:221
	v_sub_f32_e32 v97, v94, v67
	ds_load_2addr_b32 v[93:94], v82 offset0:238 offset1:255
	s_waitcnt lgkmcnt(0)
	v_exp_f32_e32 v101, v101
	s_barrier
	buffer_gl0_inv
	v_dual_fmac_f32 v68, v101, v89 :: v_dual_sub_f32 v89, v96, v67
	v_dual_sub_f32 v82, v95, v67 :: v_dual_mul_f32 v95, 0x3fb8aa3b, v97
	v_exp_f32_e32 v97, v103
	s_delay_alu instid0(VALU_DEP_2) | instskip(NEXT) | instid1(VALU_DEP_2)
	v_dual_fmac_f32 v68, v102, v90 :: v_dual_mul_f32 v89, 0x3fb8aa3b, v89
	v_mul_f32_e32 v82, 0x3fb8aa3b, v82
	s_delay_alu instid0(VALU_DEP_3) | instskip(NEXT) | instid1(VALU_DEP_2)
	v_exp_f32_e32 v95, v95
	v_exp_f32_e32 v89, v89
	s_delay_alu instid0(VALU_DEP_1)
	v_exp_f32_e32 v82, v82
	v_fmac_f32_e32 v68, v97, v91
	s_delay_alu instid0(TRANS32_DEP_3) | instid1(VALU_DEP_1)
	v_fmac_f32_e32 v68, v95, v92
	s_waitcnt_depctr 0xfff
	v_fmac_f32_e32 v68, v82, v93
	s_delay_alu instid0(VALU_DEP_1) | instskip(NEXT) | instid1(VALU_DEP_1)
	v_fmac_f32_e32 v68, v89, v94
	v_add_f32_e32 v90, 0x358637bd, v68
	s_delay_alu instid0(VALU_DEP_1) | instskip(NEXT) | instid1(VALU_DEP_1)
	v_div_scale_f32 v91, null, v90, v90, 1.0
	v_rcp_f32_e32 v92, v91
	s_waitcnt_depctr 0xfff
	v_fma_f32 v93, -v91, v92, 1.0
	s_delay_alu instid0(VALU_DEP_1) | instskip(SKIP_1) | instid1(VALU_DEP_2)
	v_dual_fmac_f32 v92, v93, v92 :: v_dual_cndmask_b32 v93, v100, v99
	v_cmp_eq_u32_e32 vcc_lo, 3, v65
	v_cndmask_b32_e64 v93, v93, v101, s2
	v_cmp_eq_u32_e64 s2, 4, v65
	s_delay_alu instid0(VALU_DEP_2) | instskip(SKIP_1) | instid1(VALU_DEP_2)
	v_cndmask_b32_e32 v93, v93, v102, vcc_lo
	v_cmp_eq_u32_e32 vcc_lo, 5, v65
	v_cndmask_b32_e64 v93, v93, v97, s2
	v_cmp_eq_u32_e64 s2, 6, v65
	s_delay_alu instid0(VALU_DEP_2) | instskip(SKIP_1) | instid1(VALU_DEP_1)
	v_cndmask_b32_e32 v93, v93, v95, vcc_lo
	v_div_scale_f32 v94, s3, 1.0, v90, 1.0
	s_mov_b32 vcc_lo, s3
	s_delay_alu instid0(VALU_DEP_2) | instskip(NEXT) | instid1(VALU_DEP_2)
	v_cndmask_b32_e64 v82, v93, v82, s2
	v_mul_f32_e32 v96, v94, v92
	s_mov_b32 s2, exec_lo
	s_delay_alu instid0(VALU_DEP_2) | instskip(NEXT) | instid1(VALU_DEP_2)
	v_cndmask_b32_e64 v82, v82, v89, s4
	v_fma_f32 v98, -v91, v96, v94
	s_delay_alu instid0(VALU_DEP_1) | instskip(NEXT) | instid1(VALU_DEP_1)
	v_fmac_f32_e32 v96, v98, v92
	v_fma_f32 v91, -v91, v96, v94
	s_delay_alu instid0(VALU_DEP_1) | instskip(NEXT) | instid1(VALU_DEP_1)
	v_div_fmas_f32 v91, v91, v92, v96
	v_div_fixup_f32 v90, v91, v90, 1.0
	s_delay_alu instid0(VALU_DEP_1) | instskip(NEXT) | instid1(VALU_DEP_1)
	v_mul_f32_e32 v82, v82, v90
	v_mul_f32_e32 v87, v82, v87
	;; [unrolled: 1-line block ×7, first 2 shown]
	v_dual_mul_f32 v86, v82, v83 :: v_dual_and_b32 v91, 0x7f800000, v90
	v_mul_f32_e32 v85, v82, v76
                                        ; implicit-def: $vgpr76
	s_delay_alu instid0(VALU_DEP_2)
	v_cmpx_ne_u32_e32 0x7f800000, v91
	s_xor_b32 s2, exec_lo, s2
; %bb.13:
	v_bfe_u32 v76, v90, 16, 1
	s_delay_alu instid0(VALU_DEP_1)
	v_add3_u32 v76, v90, v76, 0x7fff
                                        ; implicit-def: $vgpr90
; %bb.14:
	s_and_not1_saveexec_b32 s2, s2
; %bb.15:
	v_and_b32_e32 v76, 0xffff, v90
	v_or_b32_e32 v83, 0x10000, v90
	s_delay_alu instid0(VALU_DEP_2) | instskip(NEXT) | instid1(VALU_DEP_2)
	v_cmp_eq_u32_e32 vcc_lo, 0, v76
	v_cndmask_b32_e32 v76, v83, v90, vcc_lo
; %bb.16:
	s_or_b32 exec_lo, exec_lo, s2
	v_and_b32_e32 v83, 0x7f800000, v85
	s_delay_alu instid0(VALU_DEP_1) | instskip(SKIP_1) | instid1(SALU_CYCLE_1)
	v_cmp_ne_u32_e32 vcc_lo, 0x7f800000, v83
                                        ; implicit-def: $vgpr83
	s_and_saveexec_b32 s2, vcc_lo
	s_xor_b32 s2, exec_lo, s2
; %bb.17:
	v_bfe_u32 v83, v85, 16, 1
	s_delay_alu instid0(VALU_DEP_1)
	v_add3_u32 v83, v85, v83, 0x7fff
                                        ; implicit-def: $vgpr85
; %bb.18:
	s_and_not1_saveexec_b32 s2, s2
; %bb.19:
	v_and_b32_e32 v83, 0xffff, v85
	v_or_b32_e32 v90, 0x10000, v85
	s_delay_alu instid0(VALU_DEP_2) | instskip(NEXT) | instid1(VALU_DEP_2)
	v_cmp_eq_u32_e32 vcc_lo, 0, v83
	v_cndmask_b32_e32 v83, v90, v85, vcc_lo
; %bb.20:
	s_or_b32 exec_lo, exec_lo, s2
	v_and_b32_e32 v85, 0x7f800000, v86
	s_delay_alu instid0(VALU_DEP_1) | instskip(SKIP_1) | instid1(SALU_CYCLE_1)
	v_cmp_ne_u32_e32 vcc_lo, 0x7f800000, v85
                                        ; implicit-def: $vgpr85
	s_and_saveexec_b32 s2, vcc_lo
	s_xor_b32 s2, exec_lo, s2
; %bb.21:
	v_bfe_u32 v85, v86, 16, 1
	s_delay_alu instid0(VALU_DEP_1)
	v_add3_u32 v85, v86, v85, 0x7fff
                                        ; implicit-def: $vgpr86
; %bb.22:
	s_and_not1_saveexec_b32 s2, s2
; %bb.23:
	v_and_b32_e32 v85, 0xffff, v86
	v_or_b32_e32 v90, 0x10000, v86
	s_delay_alu instid0(VALU_DEP_2) | instskip(NEXT) | instid1(VALU_DEP_2)
	v_cmp_eq_u32_e32 vcc_lo, 0, v85
	v_cndmask_b32_e32 v85, v90, v86, vcc_lo
; %bb.24:
	s_or_b32 exec_lo, exec_lo, s2
	v_and_b32_e32 v86, 0x7f800000, v89
	s_delay_alu instid0(VALU_DEP_1) | instskip(SKIP_1) | instid1(SALU_CYCLE_1)
	v_cmp_ne_u32_e32 vcc_lo, 0x7f800000, v86
                                        ; implicit-def: $vgpr86
	s_and_saveexec_b32 s2, vcc_lo
	s_xor_b32 s2, exec_lo, s2
; %bb.25:
	v_bfe_u32 v86, v89, 16, 1
	s_delay_alu instid0(VALU_DEP_1)
	v_add3_u32 v86, v89, v86, 0x7fff
                                        ; implicit-def: $vgpr89
; %bb.26:
	s_and_not1_saveexec_b32 s2, s2
; %bb.27:
	v_and_b32_e32 v86, 0xffff, v89
	v_or_b32_e32 v90, 0x10000, v89
	s_delay_alu instid0(VALU_DEP_2) | instskip(NEXT) | instid1(VALU_DEP_2)
	v_cmp_eq_u32_e32 vcc_lo, 0, v86
	v_cndmask_b32_e32 v86, v90, v89, vcc_lo
; %bb.28:
	s_or_b32 exec_lo, exec_lo, s2
	v_and_b32_e32 v89, 0x7f800000, v88
	s_delay_alu instid0(VALU_DEP_1) | instskip(SKIP_1) | instid1(SALU_CYCLE_1)
	v_cmp_ne_u32_e32 vcc_lo, 0x7f800000, v89
                                        ; implicit-def: $vgpr89
	s_and_saveexec_b32 s2, vcc_lo
	s_xor_b32 s2, exec_lo, s2
; %bb.29:
	v_bfe_u32 v89, v88, 16, 1
	s_delay_alu instid0(VALU_DEP_1)
	v_add3_u32 v89, v88, v89, 0x7fff
                                        ; implicit-def: $vgpr88
; %bb.30:
	s_and_not1_saveexec_b32 s2, s2
; %bb.31:
	v_and_b32_e32 v89, 0xffff, v88
	v_or_b32_e32 v90, 0x10000, v88
	s_delay_alu instid0(VALU_DEP_2) | instskip(NEXT) | instid1(VALU_DEP_2)
	v_cmp_eq_u32_e32 vcc_lo, 0, v89
	v_cndmask_b32_e32 v89, v90, v88, vcc_lo
; %bb.32:
	s_or_b32 exec_lo, exec_lo, s2
	v_and_b32_e32 v88, 0x7f800000, v87
	s_delay_alu instid0(VALU_DEP_1) | instskip(SKIP_1) | instid1(SALU_CYCLE_1)
	v_cmp_ne_u32_e32 vcc_lo, 0x7f800000, v88
                                        ; implicit-def: $vgpr88
	s_and_saveexec_b32 s2, vcc_lo
	s_xor_b32 s2, exec_lo, s2
; %bb.33:
	v_bfe_u32 v88, v87, 16, 1
	s_delay_alu instid0(VALU_DEP_1)
	v_add3_u32 v88, v87, v88, 0x7fff
                                        ; implicit-def: $vgpr87
; %bb.34:
	s_and_not1_saveexec_b32 s2, s2
; %bb.35:
	v_and_b32_e32 v88, 0xffff, v87
	v_or_b32_e32 v90, 0x10000, v87
	s_delay_alu instid0(VALU_DEP_2) | instskip(NEXT) | instid1(VALU_DEP_2)
	v_cmp_eq_u32_e32 vcc_lo, 0, v88
	v_cndmask_b32_e32 v88, v90, v87, vcc_lo
; %bb.36:
	s_or_b32 exec_lo, exec_lo, s2
	v_and_b32_e32 v87, 0x7f800000, v84
	s_delay_alu instid0(VALU_DEP_1) | instskip(SKIP_1) | instid1(SALU_CYCLE_1)
	v_cmp_ne_u32_e32 vcc_lo, 0x7f800000, v87
                                        ; implicit-def: $vgpr87
	s_and_saveexec_b32 s2, vcc_lo
	s_xor_b32 s2, exec_lo, s2
; %bb.37:
	v_bfe_u32 v87, v84, 16, 1
	s_delay_alu instid0(VALU_DEP_1)
	v_add3_u32 v87, v84, v87, 0x7fff
                                        ; implicit-def: $vgpr84
; %bb.38:
	s_and_not1_saveexec_b32 s2, s2
; %bb.39:
	v_and_b32_e32 v87, 0xffff, v84
	v_or_b32_e32 v90, 0x10000, v84
	s_delay_alu instid0(VALU_DEP_2) | instskip(NEXT) | instid1(VALU_DEP_2)
	v_cmp_eq_u32_e32 vcc_lo, 0, v87
	v_cndmask_b32_e32 v87, v90, v84, vcc_lo
; %bb.40:
	s_or_b32 exec_lo, exec_lo, s2
	v_and_b32_e32 v84, 0x7f800000, v80
	s_delay_alu instid0(VALU_DEP_1) | instskip(SKIP_1) | instid1(SALU_CYCLE_1)
	v_cmp_ne_u32_e32 vcc_lo, 0x7f800000, v84
                                        ; implicit-def: $vgpr84
	s_and_saveexec_b32 s2, vcc_lo
	s_xor_b32 s2, exec_lo, s2
; %bb.41:
	v_bfe_u32 v84, v80, 16, 1
	s_delay_alu instid0(VALU_DEP_1)
	v_add3_u32 v84, v80, v84, 0x7fff
                                        ; implicit-def: $vgpr80
; %bb.42:
	s_and_not1_saveexec_b32 s2, s2
; %bb.43:
	v_and_b32_e32 v84, 0xffff, v80
	v_or_b32_e32 v90, 0x10000, v80
	s_delay_alu instid0(VALU_DEP_2) | instskip(NEXT) | instid1(VALU_DEP_2)
	v_cmp_eq_u32_e32 vcc_lo, 0, v84
	v_cndmask_b32_e32 v84, v90, v80, vcc_lo
; %bb.44:
	s_or_b32 exec_lo, exec_lo, s2
	s_load_b64 s[34:35], s[0:1], 0x94
	v_lshlrev_b32_e32 v91, 4, v74
	s_delay_alu instid0(VALU_DEP_2)
	v_perm_b32 v90, v84, v87, 0x7060302
	v_dual_mul_f32 v77, v82, v77 :: v_dual_lshlrev_b32 v80, 6, v66
	v_lshlrev_b32_e32 v66, 11, v65
	v_perm_b32 v87, v83, v76, 0x7060302
	v_mul_f32_e32 v83, v82, v70
	v_perm_b32 v89, v88, v89, 0x7060302
	v_perm_b32 v88, v86, v85, 0x7060302
	v_or3_b32 v76, v91, v66, v80
	v_mul_f32_e32 v66, v82, v81
	v_mul_f32_e32 v70, v82, v79
	;; [unrolled: 1-line block ×3, first 2 shown]
	v_dual_mul_f32 v81, v82, v72 :: v_dual_and_b32 v84, 0x7f800000, v83
	v_mul_f32_e32 v79, v82, v71
	v_mul_f32_e32 v72, v82, v69
	s_mov_b32 s2, exec_lo
	ds_store_b128 v76, v[87:90]
                                        ; implicit-def: $vgpr69
	v_cmpx_ne_u32_e32 0x7f800000, v84
	s_xor_b32 s2, exec_lo, s2
; %bb.45:
	v_bfe_u32 v69, v83, 16, 1
	s_delay_alu instid0(VALU_DEP_1)
	v_add3_u32 v69, v83, v69, 0x7fff
                                        ; implicit-def: $vgpr83
; %bb.46:
	s_and_not1_saveexec_b32 s2, s2
; %bb.47:
	v_and_b32_e32 v69, 0xffff, v83
	v_or_b32_e32 v71, 0x10000, v83
	s_delay_alu instid0(VALU_DEP_2) | instskip(NEXT) | instid1(VALU_DEP_2)
	v_cmp_eq_u32_e32 vcc_lo, 0, v69
	v_cndmask_b32_e32 v69, v71, v83, vcc_lo
; %bb.48:
	s_or_b32 exec_lo, exec_lo, s2
	v_and_b32_e32 v71, 0x7f800000, v72
	s_delay_alu instid0(VALU_DEP_1) | instskip(SKIP_1) | instid1(SALU_CYCLE_1)
	v_cmp_ne_u32_e32 vcc_lo, 0x7f800000, v71
                                        ; implicit-def: $vgpr71
	s_and_saveexec_b32 s2, vcc_lo
	s_xor_b32 s2, exec_lo, s2
; %bb.49:
	v_bfe_u32 v71, v72, 16, 1
	s_delay_alu instid0(VALU_DEP_1)
	v_add3_u32 v71, v72, v71, 0x7fff
                                        ; implicit-def: $vgpr72
; %bb.50:
	s_and_not1_saveexec_b32 s2, s2
; %bb.51:
	v_and_b32_e32 v71, 0xffff, v72
	v_or_b32_e32 v82, 0x10000, v72
	s_delay_alu instid0(VALU_DEP_2) | instskip(NEXT) | instid1(VALU_DEP_2)
	v_cmp_eq_u32_e32 vcc_lo, 0, v71
	v_cndmask_b32_e32 v71, v82, v72, vcc_lo
; %bb.52:
	s_or_b32 exec_lo, exec_lo, s2
	v_and_b32_e32 v72, 0x7f800000, v79
	s_delay_alu instid0(VALU_DEP_1) | instskip(SKIP_1) | instid1(SALU_CYCLE_1)
	v_cmp_ne_u32_e32 vcc_lo, 0x7f800000, v72
                                        ; implicit-def: $vgpr72
	s_and_saveexec_b32 s2, vcc_lo
	s_xor_b32 s2, exec_lo, s2
; %bb.53:
	v_bfe_u32 v72, v79, 16, 1
	s_delay_alu instid0(VALU_DEP_1)
	v_add3_u32 v72, v79, v72, 0x7fff
                                        ; implicit-def: $vgpr79
; %bb.54:
	s_and_not1_saveexec_b32 s2, s2
; %bb.55:
	v_and_b32_e32 v72, 0xffff, v79
	v_or_b32_e32 v82, 0x10000, v79
	s_delay_alu instid0(VALU_DEP_2) | instskip(NEXT) | instid1(VALU_DEP_2)
	v_cmp_eq_u32_e32 vcc_lo, 0, v72
	v_cndmask_b32_e32 v72, v82, v79, vcc_lo
; %bb.56:
	s_or_b32 exec_lo, exec_lo, s2
	v_and_b32_e32 v79, 0x7f800000, v81
	s_delay_alu instid0(VALU_DEP_1) | instskip(SKIP_1) | instid1(SALU_CYCLE_1)
	v_cmp_ne_u32_e32 vcc_lo, 0x7f800000, v79
                                        ; implicit-def: $vgpr79
	s_and_saveexec_b32 s2, vcc_lo
	s_xor_b32 s2, exec_lo, s2
; %bb.57:
	v_bfe_u32 v79, v81, 16, 1
	s_delay_alu instid0(VALU_DEP_1)
	v_add3_u32 v79, v81, v79, 0x7fff
                                        ; implicit-def: $vgpr81
; %bb.58:
	s_and_not1_saveexec_b32 s2, s2
; %bb.59:
	v_and_b32_e32 v79, 0xffff, v81
	v_or_b32_e32 v82, 0x10000, v81
	s_delay_alu instid0(VALU_DEP_2) | instskip(NEXT) | instid1(VALU_DEP_2)
	v_cmp_eq_u32_e32 vcc_lo, 0, v79
	v_cndmask_b32_e32 v79, v82, v81, vcc_lo
; %bb.60:
	s_or_b32 exec_lo, exec_lo, s2
	v_and_b32_e32 v81, 0x7f800000, v77
	s_delay_alu instid0(VALU_DEP_1) | instskip(SKIP_1) | instid1(SALU_CYCLE_1)
	v_cmp_ne_u32_e32 vcc_lo, 0x7f800000, v81
                                        ; implicit-def: $vgpr81
	s_and_saveexec_b32 s2, vcc_lo
	s_xor_b32 s2, exec_lo, s2
; %bb.61:
	v_bfe_u32 v81, v77, 16, 1
	s_delay_alu instid0(VALU_DEP_1)
	v_add3_u32 v81, v77, v81, 0x7fff
                                        ; implicit-def: $vgpr77
; %bb.62:
	s_and_not1_saveexec_b32 s2, s2
; %bb.63:
	v_and_b32_e32 v81, 0xffff, v77
	v_or_b32_e32 v82, 0x10000, v77
	s_delay_alu instid0(VALU_DEP_2) | instskip(NEXT) | instid1(VALU_DEP_2)
	v_cmp_eq_u32_e32 vcc_lo, 0, v81
	v_cndmask_b32_e32 v81, v82, v77, vcc_lo
; %bb.64:
	s_or_b32 exec_lo, exec_lo, s2
	v_and_b32_e32 v77, 0x7f800000, v78
	s_delay_alu instid0(VALU_DEP_1) | instskip(SKIP_1) | instid1(SALU_CYCLE_1)
	v_cmp_ne_u32_e32 vcc_lo, 0x7f800000, v77
                                        ; implicit-def: $vgpr77
	s_and_saveexec_b32 s2, vcc_lo
	s_xor_b32 s2, exec_lo, s2
; %bb.65:
	v_bfe_u32 v77, v78, 16, 1
	s_delay_alu instid0(VALU_DEP_1)
	v_add3_u32 v77, v78, v77, 0x7fff
                                        ; implicit-def: $vgpr78
; %bb.66:
	s_and_not1_saveexec_b32 s2, s2
; %bb.67:
	v_and_b32_e32 v77, 0xffff, v78
	v_or_b32_e32 v82, 0x10000, v78
	s_delay_alu instid0(VALU_DEP_2) | instskip(NEXT) | instid1(VALU_DEP_2)
	v_cmp_eq_u32_e32 vcc_lo, 0, v77
	v_cndmask_b32_e32 v77, v82, v78, vcc_lo
; %bb.68:
	s_or_b32 exec_lo, exec_lo, s2
	v_and_b32_e32 v78, 0x7f800000, v70
	s_delay_alu instid0(VALU_DEP_1) | instskip(SKIP_1) | instid1(SALU_CYCLE_1)
	v_cmp_ne_u32_e32 vcc_lo, 0x7f800000, v78
                                        ; implicit-def: $vgpr78
	s_and_saveexec_b32 s2, vcc_lo
	s_xor_b32 s2, exec_lo, s2
; %bb.69:
	v_bfe_u32 v78, v70, 16, 1
	s_delay_alu instid0(VALU_DEP_1)
	v_add3_u32 v78, v70, v78, 0x7fff
                                        ; implicit-def: $vgpr70
; %bb.70:
	s_and_not1_saveexec_b32 s2, s2
; %bb.71:
	v_and_b32_e32 v78, 0xffff, v70
	v_or_b32_e32 v82, 0x10000, v70
	s_delay_alu instid0(VALU_DEP_2) | instskip(NEXT) | instid1(VALU_DEP_2)
	v_cmp_eq_u32_e32 vcc_lo, 0, v78
	v_cndmask_b32_e32 v78, v82, v70, vcc_lo
; %bb.72:
	s_or_b32 exec_lo, exec_lo, s2
	v_and_b32_e32 v70, 0x7f800000, v66
	s_delay_alu instid0(VALU_DEP_1) | instskip(SKIP_1) | instid1(SALU_CYCLE_1)
	v_cmp_ne_u32_e32 vcc_lo, 0x7f800000, v70
                                        ; implicit-def: $vgpr70
	s_and_saveexec_b32 s2, vcc_lo
	s_xor_b32 s2, exec_lo, s2
; %bb.73:
	v_bfe_u32 v70, v66, 16, 1
	s_delay_alu instid0(VALU_DEP_1)
	v_add3_u32 v70, v66, v70, 0x7fff
                                        ; implicit-def: $vgpr66
; %bb.74:
	s_and_not1_saveexec_b32 s2, s2
; %bb.75:
	v_and_b32_e32 v70, 0xffff, v66
	v_or_b32_e32 v82, 0x10000, v66
	s_delay_alu instid0(VALU_DEP_2) | instskip(NEXT) | instid1(VALU_DEP_2)
	v_cmp_eq_u32_e32 vcc_lo, 0, v70
	v_cndmask_b32_e32 v70, v82, v66, vcc_lo
; %bb.76:
	s_or_b32 exec_lo, exec_lo, s2
	s_delay_alu instid0(VALU_DEP_1)
	v_perm_b32 v86, v70, v78, 0x7060302
	v_perm_b32 v85, v77, v81, 0x7060302
	;; [unrolled: 1-line block ×4, first 2 shown]
	v_lshl_or_b32 v82, v65, 11, v80
	ds_store_b128 v76, v[83:86] offset:1024
	s_waitcnt lgkmcnt(0)
	s_barrier
	buffer_gl0_inv
	ds_load_b128 v[69:72], v82
	ds_load_b128 v[83:86], v82 offset:16
	s_waitcnt lgkmcnt(1)
	v_lshrrev_b32_e32 v65, 16, v69
	v_lshlrev_b32_e32 v78, 2, v74
	s_waitcnt lgkmcnt(0)
	v_lshrrev_b32_e32 v91, 16, v83
	v_lshrrev_b32_e32 v66, 16, v70
	v_lshrrev_b32_e32 v97, 16, v84
	v_lshrrev_b32_e32 v95, 16, v71
	v_cmp_eq_u32_e32 vcc_lo, 1, v78
	v_lshrrev_b32_e32 v98, 16, v85
	v_lshrrev_b32_e32 v96, 16, v72
	;; [unrolled: 1-line block ×3, first 2 shown]
	v_cndmask_b32_e32 v81, v69, v65, vcc_lo
	v_or_b32_e32 v79, 1, v78
	v_cmp_eq_u32_e64 s3, 2, v78
	v_cndmask_b32_e32 v87, v83, v91, vcc_lo
	v_cmp_eq_u32_e64 s6, 3, v78
	v_cmp_eq_u32_e64 s8, 4, v78
	;; [unrolled: 1-line block ×3, first 2 shown]
	v_cndmask_b32_e64 v81, v81, v70, s3
	v_cmp_eq_u32_e64 s5, 2, v79
	v_cndmask_b32_e64 v87, v87, v84, s3
	v_cmp_eq_u32_e64 s7, 3, v79
	v_cndmask_b32_e64 v88, v69, v65, s2
	v_cndmask_b32_e64 v81, v81, v66, s6
	v_or_b32_e32 v77, 2, v78
	v_cndmask_b32_e64 v87, v87, v97, s6
	v_cndmask_b32_e64 v89, v83, v91, s2
	;; [unrolled: 1-line block ×4, first 2 shown]
	v_cmp_eq_u32_e64 s9, 5, v78
	v_cndmask_b32_e64 v87, v87, v85, s8
	v_cmp_eq_u32_e64 s10, 4, v79
	v_cndmask_b32_e64 v88, v88, v66, s7
	v_cmp_eq_u32_e64 s4, 1, v77
	v_cndmask_b32_e64 v89, v89, v84, s5
	v_cndmask_b32_e64 v81, v81, v95, s9
	v_cmp_eq_u32_e64 s11, 6, v78
	v_cndmask_b32_e64 v88, v88, v71, s10
	v_cndmask_b32_e64 v87, v87, v98, s9
	v_cmp_eq_u32_e64 s12, 5, v79
	v_cndmask_b32_e64 v90, v69, v65, s4
	v_cndmask_b32_e64 v89, v89, v97, s7
	;; [unrolled: 1-line block ×3, first 2 shown]
	v_cmp_eq_u32_e64 s13, 7, v78
	v_cndmask_b32_e64 v88, v88, v95, s12
	v_cndmask_b32_e64 v87, v87, v86, s11
	v_cmp_eq_u32_e64 s15, 6, v79
	v_cmp_eq_u32_e64 s16, 2, v77
	v_cndmask_b32_e64 v89, v89, v85, s10
	v_cndmask_b32_e64 v100, v81, v96, s13
	;; [unrolled: 1-line block ×6, first 2 shown]
	v_cmp_eq_u32_e64 s17, 7, v79
	v_cmp_eq_u32_e64 s18, 3, v77
	;; [unrolled: 1-line block ×4, first 2 shown]
	v_cndmask_b32_e64 v87, v87, v84, s16
	v_cndmask_b32_e64 v102, v88, v96, s17
	;; [unrolled: 1-line block ×4, first 2 shown]
	v_or_b32_e32 v81, 3, v78
	v_cndmask_b32_e64 v93, v87, v97, s18
	v_cmp_eq_u32_e64 s23, 6, v77
	v_cndmask_b32_e64 v103, v88, v86, s15
	v_cndmask_b32_e64 v92, v89, v71, s19
	v_cmp_eq_u32_e64 s20, 1, v81
	ds_load_b128 v[87:90], v82 offset:1024
	v_cmp_eq_u32_e64 s22, 2, v81
	v_cmp_eq_u32_e64 s24, 3, v81
	v_cndmask_b32_e64 v104, v92, v95, s21
	v_cndmask_b32_e64 v65, v69, v65, s20
	;; [unrolled: 1-line block ×4, first 2 shown]
	ds_load_b128 v[91:94], v82 offset:1040
	v_cmp_eq_u32_e64 s25, 4, v81
	v_cndmask_b32_e64 v65, v65, v70, s22
	v_cmp_eq_u32_e64 s27, 5, v81
	v_cndmask_b32_e64 v70, v83, v84, s22
	;; [unrolled: 2-line block ×3, first 2 shown]
	v_cndmask_b32_e64 v65, v65, v66, s24
	v_cndmask_b32_e64 v66, v104, v72, s23
	;; [unrolled: 1-line block ×3, first 2 shown]
	v_cmp_eq_u32_e64 s26, 7, v77
	v_cndmask_b32_e64 v69, v69, v86, s23
	v_cndmask_b32_e64 v65, v65, v71, s25
	s_waitcnt lgkmcnt(1)
	v_lshrrev_b32_e32 v84, 16, v87
	v_cndmask_b32_e64 v70, v70, v85, s25
	v_cndmask_b32_e64 v83, v103, v99, s17
	;; [unrolled: 1-line block ×4, first 2 shown]
	v_lshrrev_b32_e32 v95, 16, v88
	v_cndmask_b32_e64 v70, v70, v98, s27
	s_waitcnt lgkmcnt(0)
	v_lshrrev_b32_e32 v85, 16, v91
	v_cndmask_b32_e64 v97, v87, v84, s2
	v_cndmask_b32_e64 v65, v65, v72, s28
	;; [unrolled: 1-line block ×4, first 2 shown]
	v_cndmask_b32_e32 v71, v87, v84, vcc_lo
	v_cndmask_b32_e32 v98, v91, v85, vcc_lo
	v_cmp_eq_u32_e32 vcc_lo, 7, v81
	v_cndmask_b32_e64 v72, v97, v88, s5
	v_lshrrev_b32_e32 v97, 16, v92
	v_lshrrev_b32_e32 v103, 16, v90
	v_dual_cndmask_b32 v65, v65, v96 :: v_dual_cndmask_b32 v70, v70, v99
	v_cndmask_b32_e64 v71, v71, v88, s3
	v_cndmask_b32_e64 v86, v98, v92, s3
	;; [unrolled: 1-line block ×3, first 2 shown]
	v_lshrrev_b32_e32 v98, 16, v89
	v_lshrrev_b32_e32 v99, 16, v93
	v_cndmask_b32_e64 v71, v71, v95, s6
	v_cndmask_b32_e64 v86, v86, v97, s6
	;; [unrolled: 1-line block ×3, first 2 shown]
	v_perm_b32 v72, v70, v65, 0x5040100
	v_perm_b32 v70, v83, v102, 0x5040100
	v_cndmask_b32_e64 v71, v71, v89, s8
	v_cndmask_b32_e64 v86, v86, v93, s8
	;; [unrolled: 1-line block ×3, first 2 shown]
	v_lshrrev_b32_e32 v83, 16, v94
	s_delay_alu instid0(VALU_DEP_4) | instskip(NEXT) | instid1(VALU_DEP_4)
	v_cndmask_b32_e64 v71, v71, v98, s9
	v_cndmask_b32_e64 v86, v86, v99, s9
	s_delay_alu instid0(VALU_DEP_4) | instskip(NEXT) | instid1(VALU_DEP_3)
	v_cndmask_b32_e64 v65, v65, v90, s15
	v_cndmask_b32_e64 v96, v71, v90, s11
	v_perm_b32 v71, v69, v66, 0x5040100
	s_delay_alu instid0(VALU_DEP_4)
	v_cndmask_b32_e64 v69, v86, v94, s11
	v_cndmask_b32_e64 v86, v87, v84, s4
	v_cndmask_b32_e64 v84, v87, v84, s20
	v_cndmask_b32_e64 v66, v96, v103, s13
	v_cndmask_b32_e64 v87, v91, v85, s20
	v_cndmask_b32_e64 v96, v91, v85, s4
	v_cndmask_b32_e64 v85, v91, v85, s2
	v_cndmask_b32_e64 v86, v86, v88, s16
	v_cndmask_b32_e64 v84, v84, v88, s22
	v_cndmask_b32_e64 v87, v87, v92, s22
	v_cndmask_b32_e64 v88, v96, v92, s16
	v_cndmask_b32_e64 v85, v85, v92, s5
	v_cndmask_b32_e64 v86, v86, v95, s18
	v_cndmask_b32_e64 v84, v84, v95, s24
	v_cndmask_b32_e64 v87, v87, v97, s24
	v_cndmask_b32_e64 v88, v88, v97, s18
	v_cndmask_b32_e64 v85, v85, v97, s7
	v_cndmask_b32_e64 v86, v86, v89, s19
	v_cndmask_b32_e64 v84, v84, v89, s25
	v_cndmask_b32_e64 v87, v87, v93, s25
	v_cndmask_b32_e64 v88, v88, v93, s19
	v_cndmask_b32_e64 v85, v85, v93, s10
	v_cndmask_b32_e64 v86, v86, v98, s21
	v_cndmask_b32_e64 v84, v84, v98, s27
	v_cndmask_b32_e64 v87, v87, v99, s27
	v_cndmask_b32_e64 v88, v88, v99, s21
	v_cndmask_b32_e64 v85, v85, v99, s12
	v_cndmask_b32_e64 v86, v86, v90, s23
	v_cndmask_b32_e64 v84, v84, v90, s28
	v_cndmask_b32_e64 v87, v87, v94, s28
	v_cndmask_b32_e64 v88, v88, v94, s23
	v_cndmask_b32_e64 v85, v85, v94, s15
	v_cndmask_b32_e64 v65, v65, v103, s17
	v_cndmask_b32_e64 v89, v86, v103, s26
	v_cndmask_b32_e32 v84, v84, v103, vcc_lo
	v_cndmask_b32_e32 v86, v87, v83, vcc_lo
	v_cndmask_b32_e64 v87, v88, v83, s26
	v_cndmask_b32_e64 v88, v85, v83, s17
	;; [unrolled: 1-line block ×3, first 2 shown]
	v_perm_b32 v69, v101, v100, 0x5040100
	v_perm_b32 v86, v86, v84, 0x5040100
	;; [unrolled: 1-line block ×5, first 2 shown]
	s_lshl_b32 s7, s35, 2
	s_mov_b32 s2, exec_lo
	ds_store_b128 v76, v[69:72]
	ds_store_b128 v76, v[83:86] offset:1024
	v_cmpx_gt_u32_e32 4, v0
	s_cbranch_execz .LBB1545_78
; %bb.77:
	v_or_b32_e32 v65, s29, v0
	s_load_b128 s[8:11], s[0:1], 0x58
	s_delay_alu instid0(VALU_DEP_1) | instskip(NEXT) | instid1(VALU_DEP_1)
	v_mad_u64_u32 v[69:70], null, s7, s30, v[65:66]
	v_mad_u64_u32 v[65:66], null, v69, s34, s[14:15]
	s_delay_alu instid0(VALU_DEP_1) | instskip(NEXT) | instid1(VALU_DEP_1)
	v_ashrrev_i32_e32 v66, 31, v65
	v_lshlrev_b64 v[65:66], 2, v[65:66]
	s_waitcnt lgkmcnt(0)
	s_delay_alu instid0(VALU_DEP_1) | instskip(NEXT) | instid1(VALU_DEP_2)
	v_add_co_u32 v69, vcc_lo, s10, v65
	v_add_co_ci_u32_e32 v70, vcc_lo, s11, v66, vcc_lo
	v_add_co_u32 v65, vcc_lo, s8, v65
	v_add_co_ci_u32_e32 v66, vcc_lo, s9, v66, vcc_lo
	global_store_b32 v[69:70], v67, off
	global_store_b32 v[65:66], v68, off
.LBB1545_78:
	s_or_b32 exec_lo, exec_lo, s2
	s_waitcnt lgkmcnt(0)
	s_waitcnt_vscnt null, 0x0
	s_barrier
	buffer_gl0_inv
	ds_load_b128 v[83:86], v80
	ds_load_b128 v[87:90], v80 offset:16
	ds_load_b128 v[95:98], v80 offset:2064
	;; [unrolled: 1-line block ×3, first 2 shown]
	v_mov_b32_e32 v65, 0
	ds_load_b128 v[103:106], v80 offset:4112
	ds_load_b128 v[99:102], v80 offset:4096
	;; [unrolled: 1-line block ×4, first 2 shown]
	v_mov_b32_e32 v66, v65
	v_mov_b32_e32 v67, v65
	;; [unrolled: 1-line block ×7, first 2 shown]
	s_waitcnt lgkmcnt(6)
	s_delay_alu instid0(VALU_DEP_1)
	v_wmma_f32_16x16x16_bf16 v[65:72], v[49:56], v[83:90], v[65:72]
	ds_load_b128 v[53:56], v80 offset:8208
	ds_load_b128 v[49:52], v80 offset:8192
	s_waitcnt lgkmcnt(6)
	v_wmma_f32_16x16x16_bf16 v[65:72], v[41:48], v[91:98], v[65:72]
	ds_load_b128 v[45:48], v80 offset:10256
	ds_load_b128 v[41:44], v80 offset:10240
	s_waitcnt lgkmcnt(6)
	;; [unrolled: 4-line block ×4, first 2 shown]
	v_wmma_f32_16x16x16_bf16 v[65:72], v[1:8], v[49:56], v[65:72]
	s_waitcnt lgkmcnt(4)
	s_delay_alu instid0(VALU_DEP_1) | instskip(SKIP_1) | instid1(VALU_DEP_1)
	v_wmma_f32_16x16x16_bf16 v[65:72], v[9:16], v[41:48], v[65:72]
	s_waitcnt lgkmcnt(2)
	v_wmma_f32_16x16x16_bf16 v[65:72], v[17:24], v[33:40], v[65:72]
	s_waitcnt lgkmcnt(0)
	s_delay_alu instid0(VALU_DEP_1) | instskip(NEXT) | instid1(VALU_DEP_1)
	v_wmma_f32_16x16x16_bf16 v[65:72], v[57:64], v[25:32], v[65:72]
	v_and_b32_e32 v1, 0x7f800000, v65
	s_delay_alu instid0(VALU_DEP_1) | instskip(SKIP_1) | instid1(SALU_CYCLE_1)
	v_cmp_ne_u32_e32 vcc_lo, 0x7f800000, v1
                                        ; implicit-def: $vgpr1
	s_and_saveexec_b32 s2, vcc_lo
	s_xor_b32 s2, exec_lo, s2
; %bb.79:
	v_bfe_u32 v1, v65, 16, 1
	s_delay_alu instid0(VALU_DEP_1)
	v_add3_u32 v1, v65, v1, 0x7fff
; %bb.80:
	s_and_not1_saveexec_b32 s2, s2
; %bb.81:
	v_and_b32_e32 v1, 0xffff, v65
	v_or_b32_e32 v2, 0x10000, v65
	s_delay_alu instid0(VALU_DEP_2) | instskip(NEXT) | instid1(VALU_DEP_2)
	v_cmp_eq_u32_e32 vcc_lo, 0, v1
	v_cndmask_b32_e32 v1, v2, v65, vcc_lo
; %bb.82:
	s_or_b32 exec_lo, exec_lo, s2
	v_and_b32_e32 v2, 0x7f800000, v66
	s_delay_alu instid0(VALU_DEP_1) | instskip(SKIP_1) | instid1(SALU_CYCLE_1)
	v_cmp_ne_u32_e32 vcc_lo, 0x7f800000, v2
                                        ; implicit-def: $vgpr2
	s_and_saveexec_b32 s2, vcc_lo
	s_xor_b32 s2, exec_lo, s2
; %bb.83:
	v_bfe_u32 v2, v66, 16, 1
	s_delay_alu instid0(VALU_DEP_1)
	v_add3_u32 v2, v66, v2, 0x7fff
; %bb.84:
	s_and_not1_saveexec_b32 s2, s2
; %bb.85:
	v_and_b32_e32 v2, 0xffff, v66
	v_or_b32_e32 v3, 0x10000, v66
	s_delay_alu instid0(VALU_DEP_2) | instskip(NEXT) | instid1(VALU_DEP_2)
	v_cmp_eq_u32_e32 vcc_lo, 0, v2
	v_cndmask_b32_e32 v2, v3, v66, vcc_lo
; %bb.86:
	s_or_b32 exec_lo, exec_lo, s2
	v_and_b32_e32 v3, 0x7f800000, v67
	s_delay_alu instid0(VALU_DEP_1) | instskip(SKIP_1) | instid1(SALU_CYCLE_1)
	v_cmp_ne_u32_e32 vcc_lo, 0x7f800000, v3
                                        ; implicit-def: $vgpr3
	s_and_saveexec_b32 s2, vcc_lo
	s_xor_b32 s2, exec_lo, s2
; %bb.87:
	v_bfe_u32 v3, v67, 16, 1
	s_delay_alu instid0(VALU_DEP_1)
	v_add3_u32 v3, v67, v3, 0x7fff
; %bb.88:
	s_and_not1_saveexec_b32 s2, s2
; %bb.89:
	v_and_b32_e32 v3, 0xffff, v67
	v_or_b32_e32 v4, 0x10000, v67
	s_delay_alu instid0(VALU_DEP_2) | instskip(NEXT) | instid1(VALU_DEP_2)
	v_cmp_eq_u32_e32 vcc_lo, 0, v3
	v_cndmask_b32_e32 v3, v4, v67, vcc_lo
; %bb.90:
	s_or_b32 exec_lo, exec_lo, s2
	v_and_b32_e32 v4, 0x7f800000, v68
	s_delay_alu instid0(VALU_DEP_1) | instskip(SKIP_1) | instid1(SALU_CYCLE_1)
	v_cmp_ne_u32_e32 vcc_lo, 0x7f800000, v4
                                        ; implicit-def: $vgpr4
	s_and_saveexec_b32 s2, vcc_lo
	s_xor_b32 s2, exec_lo, s2
; %bb.91:
	v_bfe_u32 v4, v68, 16, 1
	s_delay_alu instid0(VALU_DEP_1)
	v_add3_u32 v4, v68, v4, 0x7fff
; %bb.92:
	s_and_not1_saveexec_b32 s2, s2
; %bb.93:
	v_and_b32_e32 v4, 0xffff, v68
	v_or_b32_e32 v5, 0x10000, v68
	s_delay_alu instid0(VALU_DEP_2) | instskip(NEXT) | instid1(VALU_DEP_2)
	v_cmp_eq_u32_e32 vcc_lo, 0, v4
	v_cndmask_b32_e32 v4, v5, v68, vcc_lo
; %bb.94:
	s_or_b32 exec_lo, exec_lo, s2
	v_and_b32_e32 v5, 0x7f800000, v69
	s_delay_alu instid0(VALU_DEP_1) | instskip(SKIP_1) | instid1(SALU_CYCLE_1)
	v_cmp_ne_u32_e32 vcc_lo, 0x7f800000, v5
                                        ; implicit-def: $vgpr5
	s_and_saveexec_b32 s2, vcc_lo
	s_xor_b32 s2, exec_lo, s2
; %bb.95:
	v_bfe_u32 v5, v69, 16, 1
	s_delay_alu instid0(VALU_DEP_1)
	v_add3_u32 v5, v69, v5, 0x7fff
; %bb.96:
	s_and_not1_saveexec_b32 s2, s2
; %bb.97:
	v_and_b32_e32 v5, 0xffff, v69
	v_or_b32_e32 v6, 0x10000, v69
	s_delay_alu instid0(VALU_DEP_2) | instskip(NEXT) | instid1(VALU_DEP_2)
	v_cmp_eq_u32_e32 vcc_lo, 0, v5
	v_cndmask_b32_e32 v5, v6, v69, vcc_lo
; %bb.98:
	s_or_b32 exec_lo, exec_lo, s2
	v_and_b32_e32 v6, 0x7f800000, v70
	s_delay_alu instid0(VALU_DEP_1) | instskip(SKIP_1) | instid1(SALU_CYCLE_1)
	v_cmp_ne_u32_e32 vcc_lo, 0x7f800000, v6
                                        ; implicit-def: $vgpr6
	s_and_saveexec_b32 s2, vcc_lo
	s_xor_b32 s2, exec_lo, s2
; %bb.99:
	v_bfe_u32 v6, v70, 16, 1
	s_delay_alu instid0(VALU_DEP_1)
	v_add3_u32 v6, v70, v6, 0x7fff
; %bb.100:
	s_and_not1_saveexec_b32 s2, s2
; %bb.101:
	v_and_b32_e32 v6, 0xffff, v70
	v_or_b32_e32 v7, 0x10000, v70
	s_delay_alu instid0(VALU_DEP_2) | instskip(NEXT) | instid1(VALU_DEP_2)
	v_cmp_eq_u32_e32 vcc_lo, 0, v6
	v_cndmask_b32_e32 v6, v7, v70, vcc_lo
; %bb.102:
	s_or_b32 exec_lo, exec_lo, s2
	v_and_b32_e32 v7, 0x7f800000, v71
	s_delay_alu instid0(VALU_DEP_1) | instskip(SKIP_1) | instid1(SALU_CYCLE_1)
	v_cmp_ne_u32_e32 vcc_lo, 0x7f800000, v7
                                        ; implicit-def: $vgpr7
	s_and_saveexec_b32 s2, vcc_lo
	s_xor_b32 s2, exec_lo, s2
; %bb.103:
	v_bfe_u32 v7, v71, 16, 1
	s_delay_alu instid0(VALU_DEP_1)
	v_add3_u32 v7, v71, v7, 0x7fff
; %bb.104:
	s_and_not1_saveexec_b32 s2, s2
; %bb.105:
	v_and_b32_e32 v7, 0xffff, v71
	v_or_b32_e32 v8, 0x10000, v71
	s_delay_alu instid0(VALU_DEP_2) | instskip(NEXT) | instid1(VALU_DEP_2)
	v_cmp_eq_u32_e32 vcc_lo, 0, v7
	v_cndmask_b32_e32 v7, v8, v71, vcc_lo
; %bb.106:
	s_or_b32 exec_lo, exec_lo, s2
	v_and_b32_e32 v8, 0x7f800000, v72
	s_delay_alu instid0(VALU_DEP_1) | instskip(SKIP_1) | instid1(SALU_CYCLE_1)
	v_cmp_ne_u32_e32 vcc_lo, 0x7f800000, v8
                                        ; implicit-def: $vgpr8
	s_and_saveexec_b32 s2, vcc_lo
	s_xor_b32 s2, exec_lo, s2
; %bb.107:
	v_bfe_u32 v8, v72, 16, 1
	s_delay_alu instid0(VALU_DEP_1)
	v_add3_u32 v8, v72, v8, 0x7fff
                                        ; implicit-def: $vgpr65_vgpr66_vgpr67_vgpr68_vgpr69_vgpr70_vgpr71_vgpr72
; %bb.108:
	s_and_not1_saveexec_b32 s2, s2
; %bb.109:
	v_and_b32_e32 v8, 0xffff, v72
	v_or_b32_e32 v9, 0x10000, v72
	s_delay_alu instid0(VALU_DEP_2) | instskip(NEXT) | instid1(VALU_DEP_2)
	v_cmp_eq_u32_e32 vcc_lo, 0, v8
	v_cndmask_b32_e32 v8, v9, v72, vcc_lo
; %bb.110:
	s_or_b32 exec_lo, exec_lo, s2
	s_delay_alu instid0(VALU_DEP_1)
	v_perm_b32 v7, v8, v7, 0x7060302
	v_perm_b32 v6, v6, v5, 0x7060302
	;; [unrolled: 1-line block ×4, first 2 shown]
	s_barrier
	buffer_gl0_inv
	v_cmp_eq_u32_e32 vcc_lo, 1, v78
	ds_store_b128 v76, v[4:7]
	s_waitcnt lgkmcnt(0)
	s_barrier
	buffer_gl0_inv
	ds_load_b128 v[1:4], v82
	ds_load_b128 v[5:8], v82 offset:16
	v_cmp_eq_u32_e64 s2, 1, v79
	v_cmp_eq_u32_e64 s3, 2, v78
	;; [unrolled: 1-line block ×5, first 2 shown]
	s_waitcnt lgkmcnt(1)
	v_lshrrev_b32_e32 v9, 16, v1
	s_waitcnt lgkmcnt(0)
	v_lshrrev_b32_e32 v13, 16, v5
	v_lshrrev_b32_e32 v10, 16, v2
	;; [unrolled: 1-line block ×4, first 2 shown]
	v_cndmask_b32_e64 v19, v1, v9, s2
	v_cndmask_b32_e32 v18, v5, v13, vcc_lo
	v_cndmask_b32_e64 v20, v5, v13, s2
	v_cndmask_b32_e32 v17, v1, v9, vcc_lo
	v_cmp_eq_u32_e32 vcc_lo, 2, v79
	v_lshrrev_b32_e32 v15, 16, v7
	v_cmp_eq_u32_e64 s2, 1, v77
	v_lshrrev_b32_e32 v12, 16, v4
	v_lshrrev_b32_e32 v16, 16, v8
	v_cndmask_b32_e32 v20, v20, v6, vcc_lo
	v_cndmask_b32_e64 v17, v17, v2, s3
	v_cndmask_b32_e32 v19, v19, v2, vcc_lo
	v_cndmask_b32_e64 v18, v18, v6, s3
	v_cmp_eq_u32_e32 vcc_lo, 4, v78
	v_cmp_eq_u32_e64 s3, 3, v79
	v_cndmask_b32_e64 v17, v17, v10, s4
	v_cndmask_b32_e64 v21, v1, v9, s2
	;; [unrolled: 1-line block ×5, first 2 shown]
	v_cndmask_b32_e32 v17, v17, v3, vcc_lo
	v_cndmask_b32_e64 v20, v20, v14, s3
	v_cndmask_b32_e32 v18, v18, v7, vcc_lo
	v_cmp_eq_u32_e32 vcc_lo, 4, v79
	v_cmp_eq_u32_e64 s3, 5, v79
	v_cmp_eq_u32_e64 s2, 2, v81
	v_cndmask_b32_e64 v21, v21, v2, s6
	v_cmp_eq_u32_e64 s4, 5, v78
	v_cndmask_b32_e32 v19, v19, v3, vcc_lo
	v_cndmask_b32_e32 v20, v20, v7, vcc_lo
	v_cmp_eq_u32_e32 vcc_lo, 6, v79
	s_delay_alu instid0(VALU_DEP_4) | instskip(NEXT) | instid1(VALU_DEP_4)
	v_cndmask_b32_e64 v17, v17, v11, s4
	v_cndmask_b32_e64 v19, v19, v11, s3
	s_delay_alu instid0(VALU_DEP_4) | instskip(SKIP_1) | instid1(VALU_DEP_3)
	v_cndmask_b32_e64 v20, v20, v15, s3
	v_cmp_eq_u32_e64 s3, 1, v81
	v_cndmask_b32_e32 v19, v19, v4, vcc_lo
	v_cndmask_b32_e64 v18, v18, v15, s4
	s_delay_alu instid0(VALU_DEP_3)
	v_cndmask_b32_e64 v1, v1, v9, s3
	v_cndmask_b32_e64 v5, v5, v13, s3
	v_cmp_eq_u32_e64 s3, 3, v77
	v_cndmask_b32_e64 v13, v22, v6, s6
	v_cmp_eq_u32_e64 s6, 3, v81
	v_cndmask_b32_e64 v1, v1, v2, s2
	v_cndmask_b32_e64 v2, v5, v6, s2
	;; [unrolled: 1-line block ×3, first 2 shown]
	v_cmp_eq_u32_e64 s2, 4, v77
	v_cndmask_b32_e64 v6, v13, v14, s3
	v_cndmask_b32_e64 v1, v1, v10, s6
	v_cmp_eq_u32_e64 s3, 4, v81
	v_cndmask_b32_e64 v2, v2, v14, s6
	v_cndmask_b32_e64 v5, v9, v3, s2
	v_cmp_eq_u32_e64 s6, 5, v77
	v_cndmask_b32_e64 v6, v6, v7, s2
	v_cndmask_b32_e64 v1, v1, v3, s3
	v_cndmask_b32_e64 v2, v2, v7, s3
	v_cmp_eq_u32_e64 s2, 5, v81
	v_cmp_eq_u32_e64 s4, 6, v78
	v_cndmask_b32_e64 v5, v5, v11, s6
	v_cmp_eq_u32_e64 s3, 6, v77
	v_cndmask_b32_e64 v3, v6, v15, s6
	v_cndmask_b32_e64 v1, v1, v11, s2
	v_cmp_eq_u32_e64 s6, 6, v81
	v_cndmask_b32_e64 v2, v2, v15, s2
	v_cndmask_b32_e64 v17, v17, v4, s4
	v_cndmask_b32_e64 v18, v18, v8, s4
	v_cmp_eq_u32_e64 s4, 7, v78
	v_cndmask_b32_e64 v5, v5, v4, s3
	;; [unrolled: 4-line block ×3, first 2 shown]
	v_cmp_eq_u32_e64 s3, 7, v77
	v_cndmask_b32_e32 v4, v20, v8, vcc_lo
	v_cndmask_b32_e64 v17, v17, v12, s4
	v_cndmask_b32_e64 v19, v19, v12, s5
	v_cndmask_b32_e64 v1, v1, v12, s2
	v_cndmask_b32_e64 v5, v5, v12, s3
	v_cndmask_b32_e64 v2, v2, v16, s2
	v_cndmask_b32_e64 v3, v3, v16, s3
	v_cndmask_b32_e64 v6, v4, v16, s5
	v_cndmask_b32_e64 v7, v18, v16, s4
	s_mov_b32 s2, exec_lo
	v_perm_b32 v4, v2, v1, 0x5040100
	v_perm_b32 v3, v3, v5, 0x5040100
	;; [unrolled: 1-line block ×4, first 2 shown]
	ds_store_b128 v76, v[1:4]
	s_waitcnt lgkmcnt(0)
	s_barrier
	buffer_gl0_inv
	v_cmpx_gt_u32_e32 32, v0
	s_cbranch_execz .LBB1545_2
; %bb.111:
	s_load_b64 s[0:1], s[0:1], 0x68
	v_lshlrev_b32_e32 v0, 10, v0
	v_or_b32_e32 v1, s29, v74
	s_lshl_b32 s4, s34, 7
	v_lshlrev_b32_e32 v2, 4, v75
	s_mul_i32 s2, s4, s30
	v_lshlrev_b32_e32 v3, 6, v74
	v_mul_lo_u32 v8, v1, s4
	v_and_b32_e32 v0, 0x3800, v0
	v_or_b32_e32 v1, 2, v1
	s_mul_i32 s2, s2, s7
	s_delay_alu instid0(SALU_CYCLE_1) | instskip(NEXT) | instid1(VALU_DEP_2)
	s_ashr_i32 s3, s2, 31
	v_or3_b32 v4, v0, v2, v3
	s_lshl_b64 s[2:3], s[2:3], 1
	v_mul_lo_u32 v10, v1, s4
	v_ashrrev_i32_e32 v9, 31, v8
	ds_load_b128 v[0:3], v4
	ds_load_b128 v[4:7], v4 offset:128
	s_waitcnt lgkmcnt(0)
	s_add_u32 s2, s0, s2
	s_addc_u32 s3, s1, s3
	s_lshl_b32 s0, s14, 7
	v_ashrrev_i32_e32 v11, 31, v10
	s_ashr_i32 s1, s0, 31
	v_lshlrev_b64 v[8:9], 1, v[8:9]
	s_lshl_b64 s[0:1], s[0:1], 1
	s_delay_alu instid0(SALU_CYCLE_1) | instskip(SKIP_2) | instid1(VALU_DEP_1)
	s_add_u32 s0, s2, s0
	s_addc_u32 s1, s3, s1
	v_add_co_u32 v12, s0, s0, v73
	v_add_co_ci_u32_e64 v13, null, s1, 0, s0
	v_lshlrev_b64 v[10:11], 1, v[10:11]
	s_delay_alu instid0(VALU_DEP_3) | instskip(NEXT) | instid1(VALU_DEP_3)
	v_add_co_u32 v8, vcc_lo, v12, v8
	v_add_co_ci_u32_e32 v9, vcc_lo, v13, v9, vcc_lo
	s_delay_alu instid0(VALU_DEP_3) | instskip(NEXT) | instid1(VALU_DEP_4)
	v_add_co_u32 v10, vcc_lo, v12, v10
	v_add_co_ci_u32_e32 v11, vcc_lo, v13, v11, vcc_lo
	s_clause 0x1
	global_store_b128 v[8:9], v[0:3], off
	global_store_b128 v[10:11], v[4:7], off
	s_nop 0
	s_sendmsg sendmsg(MSG_DEALLOC_VGPRS)
	s_endpgm
	.section	.rodata,"a",@progbits
	.p2align	6, 0x0
	.amdhsa_kernel _Z39paged_attention_ll4mi_QKV_mfma16_kernelI14__hip_bfloat16hLN4vllm18Fp8KVCacheDataTypeE1EhLi16ELi128ELi256ELb0ELi4EL8MFMAType1EEvPKT_PKT0_S9_ifPKiSB_SB_iPKfiiiPfSE_PS4_PT2_iSD_SD_
		.amdhsa_group_segment_fixed_size 17472
		.amdhsa_private_segment_fixed_size 0
		.amdhsa_kernarg_size 400
		.amdhsa_user_sgpr_count 13
		.amdhsa_user_sgpr_dispatch_ptr 0
		.amdhsa_user_sgpr_queue_ptr 0
		.amdhsa_user_sgpr_kernarg_segment_ptr 1
		.amdhsa_user_sgpr_dispatch_id 0
		.amdhsa_user_sgpr_private_segment_size 0
		.amdhsa_wavefront_size32 1
		.amdhsa_uses_dynamic_stack 0
		.amdhsa_enable_private_segment 0
		.amdhsa_system_sgpr_workgroup_id_x 1
		.amdhsa_system_sgpr_workgroup_id_y 1
		.amdhsa_system_sgpr_workgroup_id_z 1
		.amdhsa_system_sgpr_workgroup_info 0
		.amdhsa_system_vgpr_workitem_id 0
		.amdhsa_next_free_vgpr 140
		.amdhsa_next_free_sgpr 36
		.amdhsa_reserve_vcc 1
		.amdhsa_float_round_mode_32 0
		.amdhsa_float_round_mode_16_64 0
		.amdhsa_float_denorm_mode_32 3
		.amdhsa_float_denorm_mode_16_64 3
		.amdhsa_dx10_clamp 1
		.amdhsa_ieee_mode 1
		.amdhsa_fp16_overflow 0
		.amdhsa_workgroup_processor_mode 1
		.amdhsa_memory_ordered 1
		.amdhsa_forward_progress 0
		.amdhsa_shared_vgpr_count 0
		.amdhsa_exception_fp_ieee_invalid_op 0
		.amdhsa_exception_fp_denorm_src 0
		.amdhsa_exception_fp_ieee_div_zero 0
		.amdhsa_exception_fp_ieee_overflow 0
		.amdhsa_exception_fp_ieee_underflow 0
		.amdhsa_exception_fp_ieee_inexact 0
		.amdhsa_exception_int_div_zero 0
	.end_amdhsa_kernel
	.section	.text._Z39paged_attention_ll4mi_QKV_mfma16_kernelI14__hip_bfloat16hLN4vllm18Fp8KVCacheDataTypeE1EhLi16ELi128ELi256ELb0ELi4EL8MFMAType1EEvPKT_PKT0_S9_ifPKiSB_SB_iPKfiiiPfSE_PS4_PT2_iSD_SD_,"axG",@progbits,_Z39paged_attention_ll4mi_QKV_mfma16_kernelI14__hip_bfloat16hLN4vllm18Fp8KVCacheDataTypeE1EhLi16ELi128ELi256ELb0ELi4EL8MFMAType1EEvPKT_PKT0_S9_ifPKiSB_SB_iPKfiiiPfSE_PS4_PT2_iSD_SD_,comdat
.Lfunc_end1545:
	.size	_Z39paged_attention_ll4mi_QKV_mfma16_kernelI14__hip_bfloat16hLN4vllm18Fp8KVCacheDataTypeE1EhLi16ELi128ELi256ELb0ELi4EL8MFMAType1EEvPKT_PKT0_S9_ifPKiSB_SB_iPKfiiiPfSE_PS4_PT2_iSD_SD_, .Lfunc_end1545-_Z39paged_attention_ll4mi_QKV_mfma16_kernelI14__hip_bfloat16hLN4vllm18Fp8KVCacheDataTypeE1EhLi16ELi128ELi256ELb0ELi4EL8MFMAType1EEvPKT_PKT0_S9_ifPKiSB_SB_iPKfiiiPfSE_PS4_PT2_iSD_SD_
                                        ; -- End function
	.section	.AMDGPU.csdata,"",@progbits
; Kernel info:
; codeLenInByte = 8732
; NumSgprs: 38
; NumVgprs: 140
; ScratchSize: 0
; MemoryBound: 0
; FloatMode: 240
; IeeeMode: 1
; LDSByteSize: 17472 bytes/workgroup (compile time only)
; SGPRBlocks: 4
; VGPRBlocks: 17
; NumSGPRsForWavesPerEU: 38
; NumVGPRsForWavesPerEU: 140
; Occupancy: 10
; WaveLimiterHint : 1
; COMPUTE_PGM_RSRC2:SCRATCH_EN: 0
; COMPUTE_PGM_RSRC2:USER_SGPR: 13
; COMPUTE_PGM_RSRC2:TRAP_HANDLER: 0
; COMPUTE_PGM_RSRC2:TGID_X_EN: 1
; COMPUTE_PGM_RSRC2:TGID_Y_EN: 1
; COMPUTE_PGM_RSRC2:TGID_Z_EN: 1
; COMPUTE_PGM_RSRC2:TIDIG_COMP_CNT: 0
	.section	.text._Z38paged_attention_ll4mi_QKV_mfma4_kernelI14__hip_bfloat16hLN4vllm18Fp8KVCacheDataTypeE1ES0_Li16ELi128ELi256ELb1ELi1EEvPKT_PKT0_S8_ifPKiSA_SA_iPKfiiiPfSD_PS3_PT2_iSC_SC_,"axG",@progbits,_Z38paged_attention_ll4mi_QKV_mfma4_kernelI14__hip_bfloat16hLN4vllm18Fp8KVCacheDataTypeE1ES0_Li16ELi128ELi256ELb1ELi1EEvPKT_PKT0_S8_ifPKiSA_SA_iPKfiiiPfSD_PS3_PT2_iSC_SC_,comdat
	.protected	_Z38paged_attention_ll4mi_QKV_mfma4_kernelI14__hip_bfloat16hLN4vllm18Fp8KVCacheDataTypeE1ES0_Li16ELi128ELi256ELb1ELi1EEvPKT_PKT0_S8_ifPKiSA_SA_iPKfiiiPfSD_PS3_PT2_iSC_SC_ ; -- Begin function _Z38paged_attention_ll4mi_QKV_mfma4_kernelI14__hip_bfloat16hLN4vllm18Fp8KVCacheDataTypeE1ES0_Li16ELi128ELi256ELb1ELi1EEvPKT_PKT0_S8_ifPKiSA_SA_iPKfiiiPfSD_PS3_PT2_iSC_SC_
	.globl	_Z38paged_attention_ll4mi_QKV_mfma4_kernelI14__hip_bfloat16hLN4vllm18Fp8KVCacheDataTypeE1ES0_Li16ELi128ELi256ELb1ELi1EEvPKT_PKT0_S8_ifPKiSA_SA_iPKfiiiPfSD_PS3_PT2_iSC_SC_
	.p2align	8
	.type	_Z38paged_attention_ll4mi_QKV_mfma4_kernelI14__hip_bfloat16hLN4vllm18Fp8KVCacheDataTypeE1ES0_Li16ELi128ELi256ELb1ELi1EEvPKT_PKT0_S8_ifPKiSA_SA_iPKfiiiPfSD_PS3_PT2_iSC_SC_,@function
_Z38paged_attention_ll4mi_QKV_mfma4_kernelI14__hip_bfloat16hLN4vllm18Fp8KVCacheDataTypeE1ES0_Li16ELi128ELi256ELb1ELi1EEvPKT_PKT0_S8_ifPKiSA_SA_iPKfiiiPfSD_PS3_PT2_iSC_SC_: ; @_Z38paged_attention_ll4mi_QKV_mfma4_kernelI14__hip_bfloat16hLN4vllm18Fp8KVCacheDataTypeE1ES0_Li16ELi128ELi256ELb1ELi1EEvPKT_PKT0_S8_ifPKiSA_SA_iPKfiiiPfSD_PS3_PT2_iSC_SC_
; %bb.0:
	s_add_u32 s8, s0, 0x90
	s_addc_u32 s9, s1, 0
	s_getpc_b64 s[0:1]
	s_add_u32 s0, s0, __PRETTY_FUNCTION__._Z38paged_attention_ll4mi_QKV_mfma4_kernelI14__hip_bfloat16hLN4vllm18Fp8KVCacheDataTypeE1ES0_Li16ELi128ELi256ELb1ELi1EEvPKT_PKT0_S8_ifPKiSA_SA_iPKfiiiPfSD_PS3_PT2_iSC_SC_@rel32@lo+4
	s_addc_u32 s1, s1, __PRETTY_FUNCTION__._Z38paged_attention_ll4mi_QKV_mfma4_kernelI14__hip_bfloat16hLN4vllm18Fp8KVCacheDataTypeE1ES0_Li16ELi128ELi256ELb1ELi1EEvPKT_PKT0_S8_ifPKiSA_SA_iPKfiiiPfSD_PS3_PT2_iSC_SC_@rel32@hi+12
	s_delay_alu instid0(SALU_CYCLE_1) | instskip(SKIP_4) | instid1(SALU_CYCLE_1)
	v_dual_mov_b32 v0, s0 :: v_dual_mov_b32 v1, s1
	s_mov_b32 s32, 0
	s_getpc_b64 s[2:3]
	s_add_u32 s2, s2, __assert_fail@rel32@lo+4
	s_addc_u32 s3, s3, __assert_fail@rel32@hi+12
	s_swappc_b64 s[30:31], s[2:3]
	.section	.rodata,"a",@progbits
	.p2align	6, 0x0
	.amdhsa_kernel _Z38paged_attention_ll4mi_QKV_mfma4_kernelI14__hip_bfloat16hLN4vllm18Fp8KVCacheDataTypeE1ES0_Li16ELi128ELi256ELb1ELi1EEvPKT_PKT0_S8_ifPKiSA_SA_iPKfiiiPfSD_PS3_PT2_iSC_SC_
		.amdhsa_group_segment_fixed_size 0
		.amdhsa_private_segment_fixed_size 64
		.amdhsa_kernarg_size 400
		.amdhsa_user_sgpr_count 15
		.amdhsa_user_sgpr_dispatch_ptr 0
		.amdhsa_user_sgpr_queue_ptr 0
		.amdhsa_user_sgpr_kernarg_segment_ptr 1
		.amdhsa_user_sgpr_dispatch_id 0
		.amdhsa_user_sgpr_private_segment_size 0
		.amdhsa_wavefront_size32 1
		.amdhsa_uses_dynamic_stack 0
		.amdhsa_enable_private_segment 1
		.amdhsa_system_sgpr_workgroup_id_x 1
		.amdhsa_system_sgpr_workgroup_id_y 0
		.amdhsa_system_sgpr_workgroup_id_z 0
		.amdhsa_system_sgpr_workgroup_info 0
		.amdhsa_system_vgpr_workitem_id 0
		.amdhsa_next_free_vgpr 41
		.amdhsa_next_free_sgpr 34
		.amdhsa_reserve_vcc 1
		.amdhsa_float_round_mode_32 0
		.amdhsa_float_round_mode_16_64 0
		.amdhsa_float_denorm_mode_32 3
		.amdhsa_float_denorm_mode_16_64 3
		.amdhsa_dx10_clamp 1
		.amdhsa_ieee_mode 1
		.amdhsa_fp16_overflow 0
		.amdhsa_workgroup_processor_mode 1
		.amdhsa_memory_ordered 1
		.amdhsa_forward_progress 0
		.amdhsa_shared_vgpr_count 0
		.amdhsa_exception_fp_ieee_invalid_op 0
		.amdhsa_exception_fp_denorm_src 0
		.amdhsa_exception_fp_ieee_div_zero 0
		.amdhsa_exception_fp_ieee_overflow 0
		.amdhsa_exception_fp_ieee_underflow 0
		.amdhsa_exception_fp_ieee_inexact 0
		.amdhsa_exception_int_div_zero 0
	.end_amdhsa_kernel
	.section	.text._Z38paged_attention_ll4mi_QKV_mfma4_kernelI14__hip_bfloat16hLN4vllm18Fp8KVCacheDataTypeE1ES0_Li16ELi128ELi256ELb1ELi1EEvPKT_PKT0_S8_ifPKiSA_SA_iPKfiiiPfSD_PS3_PT2_iSC_SC_,"axG",@progbits,_Z38paged_attention_ll4mi_QKV_mfma4_kernelI14__hip_bfloat16hLN4vllm18Fp8KVCacheDataTypeE1ES0_Li16ELi128ELi256ELb1ELi1EEvPKT_PKT0_S8_ifPKiSA_SA_iPKfiiiPfSD_PS3_PT2_iSC_SC_,comdat
.Lfunc_end1546:
	.size	_Z38paged_attention_ll4mi_QKV_mfma4_kernelI14__hip_bfloat16hLN4vllm18Fp8KVCacheDataTypeE1ES0_Li16ELi128ELi256ELb1ELi1EEvPKT_PKT0_S8_ifPKiSA_SA_iPKfiiiPfSD_PS3_PT2_iSC_SC_, .Lfunc_end1546-_Z38paged_attention_ll4mi_QKV_mfma4_kernelI14__hip_bfloat16hLN4vllm18Fp8KVCacheDataTypeE1ES0_Li16ELi128ELi256ELb1ELi1EEvPKT_PKT0_S8_ifPKiSA_SA_iPKfiiiPfSD_PS3_PT2_iSC_SC_
                                        ; -- End function
	.section	.AMDGPU.csdata,"",@progbits
; Kernel info:
; codeLenInByte = 72
; NumSgprs: 36
; NumVgprs: 41
; ScratchSize: 64
; MemoryBound: 0
; FloatMode: 240
; IeeeMode: 1
; LDSByteSize: 0 bytes/workgroup (compile time only)
; SGPRBlocks: 4
; VGPRBlocks: 5
; NumSGPRsForWavesPerEU: 36
; NumVGPRsForWavesPerEU: 41
; Occupancy: 16
; WaveLimiterHint : 1
; COMPUTE_PGM_RSRC2:SCRATCH_EN: 1
; COMPUTE_PGM_RSRC2:USER_SGPR: 15
; COMPUTE_PGM_RSRC2:TRAP_HANDLER: 0
; COMPUTE_PGM_RSRC2:TGID_X_EN: 1
; COMPUTE_PGM_RSRC2:TGID_Y_EN: 0
; COMPUTE_PGM_RSRC2:TGID_Z_EN: 0
; COMPUTE_PGM_RSRC2:TIDIG_COMP_CNT: 0
	.section	.text._Z38paged_attention_ll4mi_QKV_mfma4_kernelI14__hip_bfloat16hLN4vllm18Fp8KVCacheDataTypeE1ES0_Li16ELi128ELi256ELb1ELi2EEvPKT_PKT0_S8_ifPKiSA_SA_iPKfiiiPfSD_PS3_PT2_iSC_SC_,"axG",@progbits,_Z38paged_attention_ll4mi_QKV_mfma4_kernelI14__hip_bfloat16hLN4vllm18Fp8KVCacheDataTypeE1ES0_Li16ELi128ELi256ELb1ELi2EEvPKT_PKT0_S8_ifPKiSA_SA_iPKfiiiPfSD_PS3_PT2_iSC_SC_,comdat
	.protected	_Z38paged_attention_ll4mi_QKV_mfma4_kernelI14__hip_bfloat16hLN4vllm18Fp8KVCacheDataTypeE1ES0_Li16ELi128ELi256ELb1ELi2EEvPKT_PKT0_S8_ifPKiSA_SA_iPKfiiiPfSD_PS3_PT2_iSC_SC_ ; -- Begin function _Z38paged_attention_ll4mi_QKV_mfma4_kernelI14__hip_bfloat16hLN4vllm18Fp8KVCacheDataTypeE1ES0_Li16ELi128ELi256ELb1ELi2EEvPKT_PKT0_S8_ifPKiSA_SA_iPKfiiiPfSD_PS3_PT2_iSC_SC_
	.globl	_Z38paged_attention_ll4mi_QKV_mfma4_kernelI14__hip_bfloat16hLN4vllm18Fp8KVCacheDataTypeE1ES0_Li16ELi128ELi256ELb1ELi2EEvPKT_PKT0_S8_ifPKiSA_SA_iPKfiiiPfSD_PS3_PT2_iSC_SC_
	.p2align	8
	.type	_Z38paged_attention_ll4mi_QKV_mfma4_kernelI14__hip_bfloat16hLN4vllm18Fp8KVCacheDataTypeE1ES0_Li16ELi128ELi256ELb1ELi2EEvPKT_PKT0_S8_ifPKiSA_SA_iPKfiiiPfSD_PS3_PT2_iSC_SC_,@function
_Z38paged_attention_ll4mi_QKV_mfma4_kernelI14__hip_bfloat16hLN4vllm18Fp8KVCacheDataTypeE1ES0_Li16ELi128ELi256ELb1ELi2EEvPKT_PKT0_S8_ifPKiSA_SA_iPKfiiiPfSD_PS3_PT2_iSC_SC_: ; @_Z38paged_attention_ll4mi_QKV_mfma4_kernelI14__hip_bfloat16hLN4vllm18Fp8KVCacheDataTypeE1ES0_Li16ELi128ELi256ELb1ELi2EEvPKT_PKT0_S8_ifPKiSA_SA_iPKfiiiPfSD_PS3_PT2_iSC_SC_
; %bb.0:
	s_add_u32 s8, s0, 0x90
	s_addc_u32 s9, s1, 0
	s_getpc_b64 s[0:1]
	s_add_u32 s0, s0, __PRETTY_FUNCTION__._Z38paged_attention_ll4mi_QKV_mfma4_kernelI14__hip_bfloat16hLN4vllm18Fp8KVCacheDataTypeE1ES0_Li16ELi128ELi256ELb1ELi2EEvPKT_PKT0_S8_ifPKiSA_SA_iPKfiiiPfSD_PS3_PT2_iSC_SC_@rel32@lo+4
	s_addc_u32 s1, s1, __PRETTY_FUNCTION__._Z38paged_attention_ll4mi_QKV_mfma4_kernelI14__hip_bfloat16hLN4vllm18Fp8KVCacheDataTypeE1ES0_Li16ELi128ELi256ELb1ELi2EEvPKT_PKT0_S8_ifPKiSA_SA_iPKfiiiPfSD_PS3_PT2_iSC_SC_@rel32@hi+12
	s_delay_alu instid0(SALU_CYCLE_1) | instskip(SKIP_4) | instid1(SALU_CYCLE_1)
	v_dual_mov_b32 v0, s0 :: v_dual_mov_b32 v1, s1
	s_mov_b32 s32, 0
	s_getpc_b64 s[2:3]
	s_add_u32 s2, s2, __assert_fail@rel32@lo+4
	s_addc_u32 s3, s3, __assert_fail@rel32@hi+12
	s_swappc_b64 s[30:31], s[2:3]
	.section	.rodata,"a",@progbits
	.p2align	6, 0x0
	.amdhsa_kernel _Z38paged_attention_ll4mi_QKV_mfma4_kernelI14__hip_bfloat16hLN4vllm18Fp8KVCacheDataTypeE1ES0_Li16ELi128ELi256ELb1ELi2EEvPKT_PKT0_S8_ifPKiSA_SA_iPKfiiiPfSD_PS3_PT2_iSC_SC_
		.amdhsa_group_segment_fixed_size 0
		.amdhsa_private_segment_fixed_size 64
		.amdhsa_kernarg_size 400
		.amdhsa_user_sgpr_count 15
		.amdhsa_user_sgpr_dispatch_ptr 0
		.amdhsa_user_sgpr_queue_ptr 0
		.amdhsa_user_sgpr_kernarg_segment_ptr 1
		.amdhsa_user_sgpr_dispatch_id 0
		.amdhsa_user_sgpr_private_segment_size 0
		.amdhsa_wavefront_size32 1
		.amdhsa_uses_dynamic_stack 0
		.amdhsa_enable_private_segment 1
		.amdhsa_system_sgpr_workgroup_id_x 1
		.amdhsa_system_sgpr_workgroup_id_y 0
		.amdhsa_system_sgpr_workgroup_id_z 0
		.amdhsa_system_sgpr_workgroup_info 0
		.amdhsa_system_vgpr_workitem_id 0
		.amdhsa_next_free_vgpr 41
		.amdhsa_next_free_sgpr 34
		.amdhsa_reserve_vcc 1
		.amdhsa_float_round_mode_32 0
		.amdhsa_float_round_mode_16_64 0
		.amdhsa_float_denorm_mode_32 3
		.amdhsa_float_denorm_mode_16_64 3
		.amdhsa_dx10_clamp 1
		.amdhsa_ieee_mode 1
		.amdhsa_fp16_overflow 0
		.amdhsa_workgroup_processor_mode 1
		.amdhsa_memory_ordered 1
		.amdhsa_forward_progress 0
		.amdhsa_shared_vgpr_count 0
		.amdhsa_exception_fp_ieee_invalid_op 0
		.amdhsa_exception_fp_denorm_src 0
		.amdhsa_exception_fp_ieee_div_zero 0
		.amdhsa_exception_fp_ieee_overflow 0
		.amdhsa_exception_fp_ieee_underflow 0
		.amdhsa_exception_fp_ieee_inexact 0
		.amdhsa_exception_int_div_zero 0
	.end_amdhsa_kernel
	.section	.text._Z38paged_attention_ll4mi_QKV_mfma4_kernelI14__hip_bfloat16hLN4vllm18Fp8KVCacheDataTypeE1ES0_Li16ELi128ELi256ELb1ELi2EEvPKT_PKT0_S8_ifPKiSA_SA_iPKfiiiPfSD_PS3_PT2_iSC_SC_,"axG",@progbits,_Z38paged_attention_ll4mi_QKV_mfma4_kernelI14__hip_bfloat16hLN4vllm18Fp8KVCacheDataTypeE1ES0_Li16ELi128ELi256ELb1ELi2EEvPKT_PKT0_S8_ifPKiSA_SA_iPKfiiiPfSD_PS3_PT2_iSC_SC_,comdat
.Lfunc_end1547:
	.size	_Z38paged_attention_ll4mi_QKV_mfma4_kernelI14__hip_bfloat16hLN4vllm18Fp8KVCacheDataTypeE1ES0_Li16ELi128ELi256ELb1ELi2EEvPKT_PKT0_S8_ifPKiSA_SA_iPKfiiiPfSD_PS3_PT2_iSC_SC_, .Lfunc_end1547-_Z38paged_attention_ll4mi_QKV_mfma4_kernelI14__hip_bfloat16hLN4vllm18Fp8KVCacheDataTypeE1ES0_Li16ELi128ELi256ELb1ELi2EEvPKT_PKT0_S8_ifPKiSA_SA_iPKfiiiPfSD_PS3_PT2_iSC_SC_
                                        ; -- End function
	.section	.AMDGPU.csdata,"",@progbits
; Kernel info:
; codeLenInByte = 72
; NumSgprs: 36
; NumVgprs: 41
; ScratchSize: 64
; MemoryBound: 0
; FloatMode: 240
; IeeeMode: 1
; LDSByteSize: 0 bytes/workgroup (compile time only)
; SGPRBlocks: 4
; VGPRBlocks: 5
; NumSGPRsForWavesPerEU: 36
; NumVGPRsForWavesPerEU: 41
; Occupancy: 16
; WaveLimiterHint : 1
; COMPUTE_PGM_RSRC2:SCRATCH_EN: 1
; COMPUTE_PGM_RSRC2:USER_SGPR: 15
; COMPUTE_PGM_RSRC2:TRAP_HANDLER: 0
; COMPUTE_PGM_RSRC2:TGID_X_EN: 1
; COMPUTE_PGM_RSRC2:TGID_Y_EN: 0
; COMPUTE_PGM_RSRC2:TGID_Z_EN: 0
; COMPUTE_PGM_RSRC2:TIDIG_COMP_CNT: 0
	.section	.text._Z38paged_attention_ll4mi_QKV_mfma4_kernelI14__hip_bfloat16hLN4vllm18Fp8KVCacheDataTypeE1ES0_Li16ELi128ELi256ELb1ELi3EEvPKT_PKT0_S8_ifPKiSA_SA_iPKfiiiPfSD_PS3_PT2_iSC_SC_,"axG",@progbits,_Z38paged_attention_ll4mi_QKV_mfma4_kernelI14__hip_bfloat16hLN4vllm18Fp8KVCacheDataTypeE1ES0_Li16ELi128ELi256ELb1ELi3EEvPKT_PKT0_S8_ifPKiSA_SA_iPKfiiiPfSD_PS3_PT2_iSC_SC_,comdat
	.protected	_Z38paged_attention_ll4mi_QKV_mfma4_kernelI14__hip_bfloat16hLN4vllm18Fp8KVCacheDataTypeE1ES0_Li16ELi128ELi256ELb1ELi3EEvPKT_PKT0_S8_ifPKiSA_SA_iPKfiiiPfSD_PS3_PT2_iSC_SC_ ; -- Begin function _Z38paged_attention_ll4mi_QKV_mfma4_kernelI14__hip_bfloat16hLN4vllm18Fp8KVCacheDataTypeE1ES0_Li16ELi128ELi256ELb1ELi3EEvPKT_PKT0_S8_ifPKiSA_SA_iPKfiiiPfSD_PS3_PT2_iSC_SC_
	.globl	_Z38paged_attention_ll4mi_QKV_mfma4_kernelI14__hip_bfloat16hLN4vllm18Fp8KVCacheDataTypeE1ES0_Li16ELi128ELi256ELb1ELi3EEvPKT_PKT0_S8_ifPKiSA_SA_iPKfiiiPfSD_PS3_PT2_iSC_SC_
	.p2align	8
	.type	_Z38paged_attention_ll4mi_QKV_mfma4_kernelI14__hip_bfloat16hLN4vllm18Fp8KVCacheDataTypeE1ES0_Li16ELi128ELi256ELb1ELi3EEvPKT_PKT0_S8_ifPKiSA_SA_iPKfiiiPfSD_PS3_PT2_iSC_SC_,@function
_Z38paged_attention_ll4mi_QKV_mfma4_kernelI14__hip_bfloat16hLN4vllm18Fp8KVCacheDataTypeE1ES0_Li16ELi128ELi256ELb1ELi3EEvPKT_PKT0_S8_ifPKiSA_SA_iPKfiiiPfSD_PS3_PT2_iSC_SC_: ; @_Z38paged_attention_ll4mi_QKV_mfma4_kernelI14__hip_bfloat16hLN4vllm18Fp8KVCacheDataTypeE1ES0_Li16ELi128ELi256ELb1ELi3EEvPKT_PKT0_S8_ifPKiSA_SA_iPKfiiiPfSD_PS3_PT2_iSC_SC_
; %bb.0:
	s_add_u32 s8, s0, 0x90
	s_addc_u32 s9, s1, 0
	s_getpc_b64 s[0:1]
	s_add_u32 s0, s0, __PRETTY_FUNCTION__._Z38paged_attention_ll4mi_QKV_mfma4_kernelI14__hip_bfloat16hLN4vllm18Fp8KVCacheDataTypeE1ES0_Li16ELi128ELi256ELb1ELi3EEvPKT_PKT0_S8_ifPKiSA_SA_iPKfiiiPfSD_PS3_PT2_iSC_SC_@rel32@lo+4
	s_addc_u32 s1, s1, __PRETTY_FUNCTION__._Z38paged_attention_ll4mi_QKV_mfma4_kernelI14__hip_bfloat16hLN4vllm18Fp8KVCacheDataTypeE1ES0_Li16ELi128ELi256ELb1ELi3EEvPKT_PKT0_S8_ifPKiSA_SA_iPKfiiiPfSD_PS3_PT2_iSC_SC_@rel32@hi+12
	s_delay_alu instid0(SALU_CYCLE_1) | instskip(SKIP_4) | instid1(SALU_CYCLE_1)
	v_dual_mov_b32 v0, s0 :: v_dual_mov_b32 v1, s1
	s_mov_b32 s32, 0
	s_getpc_b64 s[2:3]
	s_add_u32 s2, s2, __assert_fail@rel32@lo+4
	s_addc_u32 s3, s3, __assert_fail@rel32@hi+12
	s_swappc_b64 s[30:31], s[2:3]
	.section	.rodata,"a",@progbits
	.p2align	6, 0x0
	.amdhsa_kernel _Z38paged_attention_ll4mi_QKV_mfma4_kernelI14__hip_bfloat16hLN4vllm18Fp8KVCacheDataTypeE1ES0_Li16ELi128ELi256ELb1ELi3EEvPKT_PKT0_S8_ifPKiSA_SA_iPKfiiiPfSD_PS3_PT2_iSC_SC_
		.amdhsa_group_segment_fixed_size 0
		.amdhsa_private_segment_fixed_size 64
		.amdhsa_kernarg_size 400
		.amdhsa_user_sgpr_count 15
		.amdhsa_user_sgpr_dispatch_ptr 0
		.amdhsa_user_sgpr_queue_ptr 0
		.amdhsa_user_sgpr_kernarg_segment_ptr 1
		.amdhsa_user_sgpr_dispatch_id 0
		.amdhsa_user_sgpr_private_segment_size 0
		.amdhsa_wavefront_size32 1
		.amdhsa_uses_dynamic_stack 0
		.amdhsa_enable_private_segment 1
		.amdhsa_system_sgpr_workgroup_id_x 1
		.amdhsa_system_sgpr_workgroup_id_y 0
		.amdhsa_system_sgpr_workgroup_id_z 0
		.amdhsa_system_sgpr_workgroup_info 0
		.amdhsa_system_vgpr_workitem_id 0
		.amdhsa_next_free_vgpr 41
		.amdhsa_next_free_sgpr 34
		.amdhsa_reserve_vcc 1
		.amdhsa_float_round_mode_32 0
		.amdhsa_float_round_mode_16_64 0
		.amdhsa_float_denorm_mode_32 3
		.amdhsa_float_denorm_mode_16_64 3
		.amdhsa_dx10_clamp 1
		.amdhsa_ieee_mode 1
		.amdhsa_fp16_overflow 0
		.amdhsa_workgroup_processor_mode 1
		.amdhsa_memory_ordered 1
		.amdhsa_forward_progress 0
		.amdhsa_shared_vgpr_count 0
		.amdhsa_exception_fp_ieee_invalid_op 0
		.amdhsa_exception_fp_denorm_src 0
		.amdhsa_exception_fp_ieee_div_zero 0
		.amdhsa_exception_fp_ieee_overflow 0
		.amdhsa_exception_fp_ieee_underflow 0
		.amdhsa_exception_fp_ieee_inexact 0
		.amdhsa_exception_int_div_zero 0
	.end_amdhsa_kernel
	.section	.text._Z38paged_attention_ll4mi_QKV_mfma4_kernelI14__hip_bfloat16hLN4vllm18Fp8KVCacheDataTypeE1ES0_Li16ELi128ELi256ELb1ELi3EEvPKT_PKT0_S8_ifPKiSA_SA_iPKfiiiPfSD_PS3_PT2_iSC_SC_,"axG",@progbits,_Z38paged_attention_ll4mi_QKV_mfma4_kernelI14__hip_bfloat16hLN4vllm18Fp8KVCacheDataTypeE1ES0_Li16ELi128ELi256ELb1ELi3EEvPKT_PKT0_S8_ifPKiSA_SA_iPKfiiiPfSD_PS3_PT2_iSC_SC_,comdat
.Lfunc_end1548:
	.size	_Z38paged_attention_ll4mi_QKV_mfma4_kernelI14__hip_bfloat16hLN4vllm18Fp8KVCacheDataTypeE1ES0_Li16ELi128ELi256ELb1ELi3EEvPKT_PKT0_S8_ifPKiSA_SA_iPKfiiiPfSD_PS3_PT2_iSC_SC_, .Lfunc_end1548-_Z38paged_attention_ll4mi_QKV_mfma4_kernelI14__hip_bfloat16hLN4vllm18Fp8KVCacheDataTypeE1ES0_Li16ELi128ELi256ELb1ELi3EEvPKT_PKT0_S8_ifPKiSA_SA_iPKfiiiPfSD_PS3_PT2_iSC_SC_
                                        ; -- End function
	.section	.AMDGPU.csdata,"",@progbits
; Kernel info:
; codeLenInByte = 72
; NumSgprs: 36
; NumVgprs: 41
; ScratchSize: 64
; MemoryBound: 0
; FloatMode: 240
; IeeeMode: 1
; LDSByteSize: 0 bytes/workgroup (compile time only)
; SGPRBlocks: 4
; VGPRBlocks: 5
; NumSGPRsForWavesPerEU: 36
; NumVGPRsForWavesPerEU: 41
; Occupancy: 16
; WaveLimiterHint : 1
; COMPUTE_PGM_RSRC2:SCRATCH_EN: 1
; COMPUTE_PGM_RSRC2:USER_SGPR: 15
; COMPUTE_PGM_RSRC2:TRAP_HANDLER: 0
; COMPUTE_PGM_RSRC2:TGID_X_EN: 1
; COMPUTE_PGM_RSRC2:TGID_Y_EN: 0
; COMPUTE_PGM_RSRC2:TGID_Z_EN: 0
; COMPUTE_PGM_RSRC2:TIDIG_COMP_CNT: 0
	.section	.text._Z38paged_attention_ll4mi_QKV_mfma4_kernelI14__hip_bfloat16hLN4vllm18Fp8KVCacheDataTypeE1ES0_Li16ELi128ELi256ELb1ELi4EEvPKT_PKT0_S8_ifPKiSA_SA_iPKfiiiPfSD_PS3_PT2_iSC_SC_,"axG",@progbits,_Z38paged_attention_ll4mi_QKV_mfma4_kernelI14__hip_bfloat16hLN4vllm18Fp8KVCacheDataTypeE1ES0_Li16ELi128ELi256ELb1ELi4EEvPKT_PKT0_S8_ifPKiSA_SA_iPKfiiiPfSD_PS3_PT2_iSC_SC_,comdat
	.protected	_Z38paged_attention_ll4mi_QKV_mfma4_kernelI14__hip_bfloat16hLN4vllm18Fp8KVCacheDataTypeE1ES0_Li16ELi128ELi256ELb1ELi4EEvPKT_PKT0_S8_ifPKiSA_SA_iPKfiiiPfSD_PS3_PT2_iSC_SC_ ; -- Begin function _Z38paged_attention_ll4mi_QKV_mfma4_kernelI14__hip_bfloat16hLN4vllm18Fp8KVCacheDataTypeE1ES0_Li16ELi128ELi256ELb1ELi4EEvPKT_PKT0_S8_ifPKiSA_SA_iPKfiiiPfSD_PS3_PT2_iSC_SC_
	.globl	_Z38paged_attention_ll4mi_QKV_mfma4_kernelI14__hip_bfloat16hLN4vllm18Fp8KVCacheDataTypeE1ES0_Li16ELi128ELi256ELb1ELi4EEvPKT_PKT0_S8_ifPKiSA_SA_iPKfiiiPfSD_PS3_PT2_iSC_SC_
	.p2align	8
	.type	_Z38paged_attention_ll4mi_QKV_mfma4_kernelI14__hip_bfloat16hLN4vllm18Fp8KVCacheDataTypeE1ES0_Li16ELi128ELi256ELb1ELi4EEvPKT_PKT0_S8_ifPKiSA_SA_iPKfiiiPfSD_PS3_PT2_iSC_SC_,@function
_Z38paged_attention_ll4mi_QKV_mfma4_kernelI14__hip_bfloat16hLN4vllm18Fp8KVCacheDataTypeE1ES0_Li16ELi128ELi256ELb1ELi4EEvPKT_PKT0_S8_ifPKiSA_SA_iPKfiiiPfSD_PS3_PT2_iSC_SC_: ; @_Z38paged_attention_ll4mi_QKV_mfma4_kernelI14__hip_bfloat16hLN4vllm18Fp8KVCacheDataTypeE1ES0_Li16ELi128ELi256ELb1ELi4EEvPKT_PKT0_S8_ifPKiSA_SA_iPKfiiiPfSD_PS3_PT2_iSC_SC_
; %bb.0:
	s_add_u32 s8, s0, 0x90
	s_addc_u32 s9, s1, 0
	s_getpc_b64 s[0:1]
	s_add_u32 s0, s0, __PRETTY_FUNCTION__._Z38paged_attention_ll4mi_QKV_mfma4_kernelI14__hip_bfloat16hLN4vllm18Fp8KVCacheDataTypeE1ES0_Li16ELi128ELi256ELb1ELi4EEvPKT_PKT0_S8_ifPKiSA_SA_iPKfiiiPfSD_PS3_PT2_iSC_SC_@rel32@lo+4
	s_addc_u32 s1, s1, __PRETTY_FUNCTION__._Z38paged_attention_ll4mi_QKV_mfma4_kernelI14__hip_bfloat16hLN4vllm18Fp8KVCacheDataTypeE1ES0_Li16ELi128ELi256ELb1ELi4EEvPKT_PKT0_S8_ifPKiSA_SA_iPKfiiiPfSD_PS3_PT2_iSC_SC_@rel32@hi+12
	s_delay_alu instid0(SALU_CYCLE_1) | instskip(SKIP_4) | instid1(SALU_CYCLE_1)
	v_dual_mov_b32 v0, s0 :: v_dual_mov_b32 v1, s1
	s_mov_b32 s32, 0
	s_getpc_b64 s[2:3]
	s_add_u32 s2, s2, __assert_fail@rel32@lo+4
	s_addc_u32 s3, s3, __assert_fail@rel32@hi+12
	s_swappc_b64 s[30:31], s[2:3]
	.section	.rodata,"a",@progbits
	.p2align	6, 0x0
	.amdhsa_kernel _Z38paged_attention_ll4mi_QKV_mfma4_kernelI14__hip_bfloat16hLN4vllm18Fp8KVCacheDataTypeE1ES0_Li16ELi128ELi256ELb1ELi4EEvPKT_PKT0_S8_ifPKiSA_SA_iPKfiiiPfSD_PS3_PT2_iSC_SC_
		.amdhsa_group_segment_fixed_size 0
		.amdhsa_private_segment_fixed_size 64
		.amdhsa_kernarg_size 400
		.amdhsa_user_sgpr_count 15
		.amdhsa_user_sgpr_dispatch_ptr 0
		.amdhsa_user_sgpr_queue_ptr 0
		.amdhsa_user_sgpr_kernarg_segment_ptr 1
		.amdhsa_user_sgpr_dispatch_id 0
		.amdhsa_user_sgpr_private_segment_size 0
		.amdhsa_wavefront_size32 1
		.amdhsa_uses_dynamic_stack 0
		.amdhsa_enable_private_segment 1
		.amdhsa_system_sgpr_workgroup_id_x 1
		.amdhsa_system_sgpr_workgroup_id_y 0
		.amdhsa_system_sgpr_workgroup_id_z 0
		.amdhsa_system_sgpr_workgroup_info 0
		.amdhsa_system_vgpr_workitem_id 0
		.amdhsa_next_free_vgpr 41
		.amdhsa_next_free_sgpr 34
		.amdhsa_reserve_vcc 1
		.amdhsa_float_round_mode_32 0
		.amdhsa_float_round_mode_16_64 0
		.amdhsa_float_denorm_mode_32 3
		.amdhsa_float_denorm_mode_16_64 3
		.amdhsa_dx10_clamp 1
		.amdhsa_ieee_mode 1
		.amdhsa_fp16_overflow 0
		.amdhsa_workgroup_processor_mode 1
		.amdhsa_memory_ordered 1
		.amdhsa_forward_progress 0
		.amdhsa_shared_vgpr_count 0
		.amdhsa_exception_fp_ieee_invalid_op 0
		.amdhsa_exception_fp_denorm_src 0
		.amdhsa_exception_fp_ieee_div_zero 0
		.amdhsa_exception_fp_ieee_overflow 0
		.amdhsa_exception_fp_ieee_underflow 0
		.amdhsa_exception_fp_ieee_inexact 0
		.amdhsa_exception_int_div_zero 0
	.end_amdhsa_kernel
	.section	.text._Z38paged_attention_ll4mi_QKV_mfma4_kernelI14__hip_bfloat16hLN4vllm18Fp8KVCacheDataTypeE1ES0_Li16ELi128ELi256ELb1ELi4EEvPKT_PKT0_S8_ifPKiSA_SA_iPKfiiiPfSD_PS3_PT2_iSC_SC_,"axG",@progbits,_Z38paged_attention_ll4mi_QKV_mfma4_kernelI14__hip_bfloat16hLN4vllm18Fp8KVCacheDataTypeE1ES0_Li16ELi128ELi256ELb1ELi4EEvPKT_PKT0_S8_ifPKiSA_SA_iPKfiiiPfSD_PS3_PT2_iSC_SC_,comdat
.Lfunc_end1549:
	.size	_Z38paged_attention_ll4mi_QKV_mfma4_kernelI14__hip_bfloat16hLN4vllm18Fp8KVCacheDataTypeE1ES0_Li16ELi128ELi256ELb1ELi4EEvPKT_PKT0_S8_ifPKiSA_SA_iPKfiiiPfSD_PS3_PT2_iSC_SC_, .Lfunc_end1549-_Z38paged_attention_ll4mi_QKV_mfma4_kernelI14__hip_bfloat16hLN4vllm18Fp8KVCacheDataTypeE1ES0_Li16ELi128ELi256ELb1ELi4EEvPKT_PKT0_S8_ifPKiSA_SA_iPKfiiiPfSD_PS3_PT2_iSC_SC_
                                        ; -- End function
	.section	.AMDGPU.csdata,"",@progbits
; Kernel info:
; codeLenInByte = 72
; NumSgprs: 36
; NumVgprs: 41
; ScratchSize: 64
; MemoryBound: 0
; FloatMode: 240
; IeeeMode: 1
; LDSByteSize: 0 bytes/workgroup (compile time only)
; SGPRBlocks: 4
; VGPRBlocks: 5
; NumSGPRsForWavesPerEU: 36
; NumVGPRsForWavesPerEU: 41
; Occupancy: 16
; WaveLimiterHint : 1
; COMPUTE_PGM_RSRC2:SCRATCH_EN: 1
; COMPUTE_PGM_RSRC2:USER_SGPR: 15
; COMPUTE_PGM_RSRC2:TRAP_HANDLER: 0
; COMPUTE_PGM_RSRC2:TGID_X_EN: 1
; COMPUTE_PGM_RSRC2:TGID_Y_EN: 0
; COMPUTE_PGM_RSRC2:TGID_Z_EN: 0
; COMPUTE_PGM_RSRC2:TIDIG_COMP_CNT: 0
	.section	.text._Z39paged_attention_ll4mi_QKV_mfma16_kernelI14__hip_bfloat16hLN4vllm18Fp8KVCacheDataTypeE1ES0_Li16ELi128ELi256ELb1ELi5EL8MFMAType1EEvPKT_PKT0_S9_ifPKiSB_SB_iPKfiiiPfSE_PS4_PT2_iSD_SD_,"axG",@progbits,_Z39paged_attention_ll4mi_QKV_mfma16_kernelI14__hip_bfloat16hLN4vllm18Fp8KVCacheDataTypeE1ES0_Li16ELi128ELi256ELb1ELi5EL8MFMAType1EEvPKT_PKT0_S9_ifPKiSB_SB_iPKfiiiPfSE_PS4_PT2_iSD_SD_,comdat
	.protected	_Z39paged_attention_ll4mi_QKV_mfma16_kernelI14__hip_bfloat16hLN4vllm18Fp8KVCacheDataTypeE1ES0_Li16ELi128ELi256ELb1ELi5EL8MFMAType1EEvPKT_PKT0_S9_ifPKiSB_SB_iPKfiiiPfSE_PS4_PT2_iSD_SD_ ; -- Begin function _Z39paged_attention_ll4mi_QKV_mfma16_kernelI14__hip_bfloat16hLN4vllm18Fp8KVCacheDataTypeE1ES0_Li16ELi128ELi256ELb1ELi5EL8MFMAType1EEvPKT_PKT0_S9_ifPKiSB_SB_iPKfiiiPfSE_PS4_PT2_iSD_SD_
	.globl	_Z39paged_attention_ll4mi_QKV_mfma16_kernelI14__hip_bfloat16hLN4vllm18Fp8KVCacheDataTypeE1ES0_Li16ELi128ELi256ELb1ELi5EL8MFMAType1EEvPKT_PKT0_S9_ifPKiSB_SB_iPKfiiiPfSE_PS4_PT2_iSD_SD_
	.p2align	8
	.type	_Z39paged_attention_ll4mi_QKV_mfma16_kernelI14__hip_bfloat16hLN4vllm18Fp8KVCacheDataTypeE1ES0_Li16ELi128ELi256ELb1ELi5EL8MFMAType1EEvPKT_PKT0_S9_ifPKiSB_SB_iPKfiiiPfSE_PS4_PT2_iSD_SD_,@function
_Z39paged_attention_ll4mi_QKV_mfma16_kernelI14__hip_bfloat16hLN4vllm18Fp8KVCacheDataTypeE1ES0_Li16ELi128ELi256ELb1ELi5EL8MFMAType1EEvPKT_PKT0_S9_ifPKiSB_SB_iPKfiiiPfSE_PS4_PT2_iSD_SD_: ; @_Z39paged_attention_ll4mi_QKV_mfma16_kernelI14__hip_bfloat16hLN4vllm18Fp8KVCacheDataTypeE1ES0_Li16ELi128ELi256ELb1ELi5EL8MFMAType1EEvPKT_PKT0_S9_ifPKiSB_SB_iPKfiiiPfSE_PS4_PT2_iSD_SD_
; %bb.0:
	s_load_b64 s[4:5], s[0:1], 0x30
	s_mov_b32 s30, s13
	s_waitcnt lgkmcnt(0)
	s_cmp_lg_u64 s[4:5], 0
	s_cselect_b32 s13, -1, 0
	s_ashr_i32 s31, s30, 31
	s_cmp_eq_u64 s[4:5], 0
	s_cbranch_scc1 .LBB1550_3
; %bb.1:
	s_lshl_b64 s[2:3], s[30:31], 2
	s_delay_alu instid0(SALU_CYCLE_1) | instskip(SKIP_4) | instid1(SALU_CYCLE_1)
	s_add_u32 s2, s4, s2
	s_addc_u32 s3, s5, s3
	s_load_b64 s[2:3], s[2:3], 0x0
	s_waitcnt lgkmcnt(0)
	s_sub_i32 s2, s3, s2
	s_cmp_eq_u32 s2, 1
	s_cselect_b32 s2, -1, 0
	s_delay_alu instid0(SALU_CYCLE_1)
	s_and_not1_b32 vcc_lo, exec_lo, s2
	s_cbranch_vccz .LBB1550_4
.LBB1550_2:
	s_nop 0
	s_sendmsg sendmsg(MSG_DEALLOC_VGPRS)
	s_endpgm
.LBB1550_3:
.LBB1550_4:
	s_load_b64 s[2:3], s[0:1], 0x28
	s_lshl_b64 s[6:7], s[30:31], 2
	s_waitcnt lgkmcnt(0)
	s_add_u32 s2, s2, s6
	s_addc_u32 s3, s3, s7
	s_lshl_b32 s12, s14, 8
	s_load_b32 s17, s[2:3], 0x0
	s_waitcnt lgkmcnt(0)
	s_cmp_ge_i32 s12, s17
	s_cbranch_scc1 .LBB1550_2
; %bb.5:
	s_clause 0x1
	s_load_b128 s[8:11], s[0:1], 0x8
	s_load_b64 s[2:3], s[0:1], 0x20
	s_and_not1_b32 vcc_lo, exec_lo, s13
	s_cbranch_vccnz .LBB1550_7
; %bb.6:
	s_add_u32 s4, s4, s6
	s_addc_u32 s5, s5, s7
	s_load_b32 s13, s[4:5], 0x0
	s_branch .LBB1550_8
.LBB1550_7:
	s_mov_b32 s13, s30
.LBB1550_8:
	s_load_b128 s[4:7], s[0:1], 0x48
	v_and_b32_e32 v65, 15, v0
	v_lshrrev_b32_e32 v66, 5, v0
	v_bfe_u32 v74, v0, 4, 1
	v_and_b32_e32 v67, 31, v0
	v_and_b32_e32 v75, 1, v0
	v_lshlrev_b32_e32 v2, 3, v65
	s_mul_i32 s31, s15, 5
	v_lshl_or_b32 v1, v66, 1, v74
	s_waitcnt lgkmcnt(0)
	s_mov_b32 s7, exec_lo
	v_lshlrev_b32_e32 v73, 1, v2
	s_delay_alu instid0(VALU_DEP_2)
	v_cmpx_gt_u32_e32 5, v1
	s_cbranch_execz .LBB1550_10
; %bb.9:
	s_load_b64 s[18:19], s[0:1], 0x0
	v_add_lshl_u32 v2, v1, s31, 7
	s_mul_hi_i32 s21, s13, s4
	s_mul_i32 s20, s13, s4
	v_lshlrev_b32_e32 v6, 10, v65
	s_lshl_b64 s[20:21], s[20:21], 1
	v_ashrrev_i32_e32 v3, 31, v2
	v_lshlrev_b32_e32 v1, 6, v1
	v_lshlrev_b32_e32 v7, 10, v75
	v_and_b32_e32 v6, 0x3800, v6
	s_delay_alu instid0(VALU_DEP_4) | instskip(NEXT) | instid1(VALU_DEP_2)
	v_lshlrev_b64 v[2:3], 1, v[2:3]
	v_or3_b32 v1, v6, v7, v1
	s_waitcnt lgkmcnt(0)
	s_add_u32 s4, s18, s20
	s_addc_u32 s13, s19, s21
	s_delay_alu instid0(VALU_DEP_2) | instskip(SKIP_1) | instid1(VALU_DEP_2)
	v_add_co_u32 v2, vcc_lo, s4, v2
	v_add_co_ci_u32_e32 v3, vcc_lo, s13, v3, vcc_lo
	v_add_co_u32 v2, vcc_lo, v2, v73
	s_delay_alu instid0(VALU_DEP_2)
	v_add_co_ci_u32_e32 v3, vcc_lo, 0, v3, vcc_lo
	global_load_b128 v[2:5], v[2:3], off
	s_waitcnt vmcnt(0)
	ds_store_b128 v1, v[2:5]
.LBB1550_10:
	s_or_b32 exec_lo, exec_lo, s7
	v_and_b32_e32 v1, 0xef, v0
	s_add_i32 s4, s17, 15
	s_clause 0x1
	s_load_b32 s7, s[0:1], 0x38
	s_load_b32 s18, s[0:1], 0x1c
	s_ashr_i32 s13, s4, 31
	v_add_nc_u32_e32 v2, s12, v1
	s_lshr_b32 s13, s13, 28
	s_waitcnt lgkmcnt(0)
	s_add_i32 s4, s4, s13
	s_barrier
	v_ashrrev_i32_e32 v1, 31, v2
	s_ashr_i32 s4, s4, 4
	v_cmp_gt_i32_e32 vcc_lo, s17, v2
	s_add_i32 s4, s4, -1
	buffer_gl0_inv
	v_lshrrev_b32_e32 v3, 28, v1
	v_or_b32_e32 v1, 16, v2
	s_mul_i32 s15, s15, s6
	s_delay_alu instid0(VALU_DEP_2) | instskip(SKIP_1) | instid1(SALU_CYCLE_1)
	v_add_nc_u32_e32 v4, v2, v3
	s_mul_i32 s20, s30, s7
	s_ashr_i32 s21, s20, 31
	s_delay_alu instid0(VALU_DEP_1) | instskip(SKIP_2) | instid1(SALU_CYCLE_1)
	v_ashrrev_i32_e32 v4, 4, v4
	v_add_nc_u32_e32 v3, v1, v3
	s_lshl_b64 s[20:21], s[20:21], 2
	s_add_u32 s2, s2, s20
	s_delay_alu instid0(VALU_DEP_2) | instskip(NEXT) | instid1(VALU_DEP_2)
	v_cndmask_b32_e32 v2, s4, v4, vcc_lo
	v_ashrrev_i32_e32 v3, 4, v3
	v_cmp_gt_i32_e32 vcc_lo, s17, v1
	s_addc_u32 s3, s3, s21
	s_ashr_i32 s6, s15, 31
	s_add_u32 s7, s8, s15
	s_addc_u32 s13, s9, s6
	v_cndmask_b32_e32 v4, s4, v3, vcc_lo
	v_ashrrev_i32_e32 v3, 31, v2
	s_lshl_b32 s8, s14, 4
	s_delay_alu instid0(SALU_CYCLE_1) | instskip(NEXT) | instid1(VALU_DEP_2)
	s_ashr_i32 s9, s8, 31
	v_ashrrev_i32_e32 v5, 31, v4
	s_delay_alu instid0(VALU_DEP_2) | instskip(SKIP_1) | instid1(SALU_CYCLE_1)
	v_lshlrev_b64 v[1:2], 2, v[2:3]
	s_lshl_b64 s[8:9], s[8:9], 2
	s_add_u32 s8, s2, s8
	s_delay_alu instid0(VALU_DEP_2) | instskip(SKIP_1) | instid1(VALU_DEP_2)
	v_lshlrev_b64 v[3:4], 2, v[4:5]
	s_addc_u32 s9, s3, s9
	v_add_co_u32 v1, vcc_lo, s2, v1
	v_add_co_ci_u32_e32 v2, vcc_lo, s3, v2, vcc_lo
	s_delay_alu instid0(VALU_DEP_3) | instskip(NEXT) | instid1(VALU_DEP_4)
	v_add_co_u32 v3, vcc_lo, s2, v3
	v_add_co_ci_u32_e32 v4, vcc_lo, s3, v4, vcc_lo
	s_clause 0x1
	global_load_b32 v5, v[1:2], off
	global_load_b32 v3, v[3:4], off
	v_lshlrev_b32_e32 v1, 4, v0
	s_or_b32 s16, s12, 32
	s_delay_alu instid0(SALU_CYCLE_1) | instskip(SKIP_1) | instid1(VALU_DEP_1)
	s_ashr_i32 s19, s16, 4
	s_cmp_lt_i32 s16, s17
	v_and_b32_e32 v1, 0xf0, v1
	s_cselect_b32 s20, s19, s4
	s_delay_alu instid0(SALU_CYCLE_1) | instskip(NEXT) | instid1(SALU_CYCLE_1)
	s_ashr_i32 s21, s20, 31
	s_lshl_b64 s[20:21], s[20:21], 2
	s_delay_alu instid0(VALU_DEP_1)
	v_add_co_u32 v1, s7, s7, v1
	s_add_u32 s20, s2, s20
	s_addc_u32 s21, s3, s21
	s_or_b32 s16, s12, 64
	v_add_co_ci_u32_e64 v2, null, s13, 0, s7
	s_ashr_i32 s19, s16, 4
	s_cmp_lt_i32 s16, s17
	s_cselect_b32 s22, s19, s4
	s_delay_alu instid0(SALU_CYCLE_1) | instskip(NEXT) | instid1(SALU_CYCLE_1)
	s_ashr_i32 s23, s22, 31
	s_lshl_b64 s[22:23], s[22:23], 2
	s_delay_alu instid0(SALU_CYCLE_1) | instskip(SKIP_2) | instid1(SALU_CYCLE_1)
	s_add_u32 s22, s2, s22
	s_addc_u32 s23, s3, s23
	s_or_b32 s16, s12, 0x60
	s_ashr_i32 s19, s16, 4
	s_cmp_lt_i32 s16, s17
	s_cselect_b32 s24, s19, s4
	s_delay_alu instid0(SALU_CYCLE_1) | instskip(NEXT) | instid1(SALU_CYCLE_1)
	s_ashr_i32 s25, s24, 31
	s_lshl_b64 s[24:25], s[24:25], 2
	s_delay_alu instid0(SALU_CYCLE_1) | instskip(SKIP_2) | instid1(SALU_CYCLE_1)
	s_add_u32 s24, s2, s24
	s_addc_u32 s25, s3, s25
	s_or_b32 s16, s12, 0x80
	s_ashr_i32 s19, s16, 4
	s_cmp_lt_i32 s16, s17
	s_cselect_b32 s26, s19, s4
	s_delay_alu instid0(SALU_CYCLE_1) | instskip(NEXT) | instid1(SALU_CYCLE_1)
	s_ashr_i32 s27, s26, 31
	s_lshl_b64 s[26:27], s[26:27], 2
	s_delay_alu instid0(SALU_CYCLE_1) | instskip(SKIP_2) | instid1(SALU_CYCLE_1)
	s_add_u32 s26, s2, s26
	s_addc_u32 s27, s3, s27
	s_or_b32 s16, s12, 0xa0
	s_ashr_i32 s19, s16, 4
	s_cmp_lt_i32 s16, s17
	s_cselect_b32 s28, s19, s4
	s_delay_alu instid0(SALU_CYCLE_1) | instskip(NEXT) | instid1(SALU_CYCLE_1)
	s_ashr_i32 s29, s28, 31
	s_lshl_b64 s[28:29], s[28:29], 2
	s_delay_alu instid0(SALU_CYCLE_1)
	s_add_u32 s28, s2, s28
	s_addc_u32 s29, s3, s29
	s_clause 0x5
	s_load_b32 s7, s[8:9], 0x0
	s_load_b32 s13, s[20:21], 0x0
	s_load_b32 s16, s[22:23], 0x0
	s_load_b32 s19, s[24:25], 0x0
	s_load_b32 s33, s[26:27], 0x0
	s_load_b32 s28, s[28:29], 0x0
	s_or_b32 s8, s12, 0xc0
	s_mov_b32 s20, 0
	s_ashr_i32 s9, s8, 4
	s_cmp_lt_i32 s8, s17
	s_mov_b32 s27, s20
	s_cselect_b32 s8, s9, s4
	s_mov_b32 s21, s20
	s_ashr_i32 s9, s8, 31
	s_mov_b32 s22, s20
	s_lshl_b64 s[8:9], s[8:9], 2
	s_mov_b32 s23, s20
	s_mov_b32 s24, s20
	;; [unrolled: 1-line block ×4, first 2 shown]
	v_dual_mov_b32 v107, s27 :: v_dual_mov_b32 v104, s24
	s_add_u32 s8, s2, s8
	v_dual_mov_b32 v106, s26 :: v_dual_mov_b32 v105, s25
	v_dual_mov_b32 v101, s21 :: v_dual_mov_b32 v100, s20
	s_addc_u32 s9, s3, s9
	v_dual_mov_b32 v103, s23 :: v_dual_mov_b32 v102, s22
	s_or_b32 s20, s12, 0xe0
	s_delay_alu instid0(SALU_CYCLE_1) | instskip(SKIP_2) | instid1(SALU_CYCLE_1)
	s_ashr_i32 s21, s20, 4
	s_cmp_lt_i32 s20, s17
	s_cselect_b32 s20, s21, s4
	s_ashr_i32 s21, s20, 31
	s_delay_alu instid0(SALU_CYCLE_1) | instskip(NEXT) | instid1(SALU_CYCLE_1)
	s_lshl_b64 s[20:21], s[20:21], 2
	s_add_u32 s2, s2, s20
	s_addc_u32 s3, s3, s21
	s_waitcnt vmcnt(1)
	v_mad_i64_i32 v[25:26], null, v5, s5, v[1:2]
	s_waitcnt vmcnt(0)
	v_mad_i64_i32 v[27:28], null, v3, s5, v[1:2]
	s_clause 0xf
	global_load_b128 v[1:4], v[25:26], off
	global_load_b128 v[5:8], v[25:26], off offset:256
	global_load_b128 v[9:12], v[27:28], off
	global_load_b128 v[13:16], v[27:28], off offset:256
	global_load_b128 v[17:20], v[25:26], off offset:512
	;; [unrolled: 1-line block ×13, first 2 shown]
	v_mul_lo_u16 v25, v65, 52
	v_lshlrev_b32_e32 v26, 4, v65
	s_delay_alu instid0(VALU_DEP_2) | instskip(NEXT) | instid1(VALU_DEP_2)
	v_lshrrev_b16 v25, 8, v25
	v_lshl_or_b32 v33, v66, 8, v26
	s_delay_alu instid0(VALU_DEP_2) | instskip(NEXT) | instid1(VALU_DEP_1)
	v_mul_lo_u16 v25, v25, 5
	v_sub_nc_u16 v25, v65, v25
	s_delay_alu instid0(VALU_DEP_1) | instskip(NEXT) | instid1(VALU_DEP_1)
	v_and_b32_e32 v25, 0xff, v25
	v_lshlrev_b32_e32 v72, 6, v25
	ds_load_b128 v[25:28], v72
	ds_load_b128 v[29:32], v72 offset:1024
	ds_load_b128 v[108:111], v72 offset:2048
	;; [unrolled: 1-line block ×3, first 2 shown]
	s_load_b32 s4, s[8:9], 0x0
	ds_load_b128 v[116:119], v72 offset:4096
	ds_load_b128 v[120:123], v72 offset:5120
	s_load_b32 s2, s[2:3], 0x0
	s_add_u32 s8, s10, s15
	s_addc_u32 s6, s11, s6
	v_add_co_u32 v68, s8, s8, v33
	s_delay_alu instid0(VALU_DEP_1) | instskip(SKIP_1) | instid1(VALU_DEP_1)
	v_add_co_ci_u32_e64 v69, null, s6, 0, s8
	s_waitcnt lgkmcnt(0)
	v_mad_i64_i32 v[33:34], null, s7, s5, v[68:69]
	v_mad_i64_i32 v[70:71], null, s16, s5, v[68:69]
	;; [unrolled: 1-line block ×7, first 2 shown]
	s_clause 0x3
	global_load_b128 v[41:44], v[33:34], off
	global_load_b128 v[45:48], v[33:34], off offset:16
	global_load_b128 v[33:36], v[37:38], off
	global_load_b128 v[37:40], v[37:38], off offset:16
	s_waitcnt vmcnt(18)
	v_wmma_f32_16x16x16_bf16 v[124:131], v[1:8], v[25:32], v[100:107]
	s_waitcnt vmcnt(16)
	v_wmma_f32_16x16x16_bf16 v[100:107], v[9:16], v[25:32], v[100:107]
	s_clause 0x1
	global_load_b128 v[25:28], v[70:71], off
	global_load_b128 v[29:32], v[70:71], off offset:16
	s_waitcnt vmcnt(16)
	v_wmma_f32_16x16x16_bf16 v[124:131], v[17:24], v[108:115], v[124:131]
	s_clause 0x1
	global_load_b128 v[17:20], v[132:133], off
	global_load_b128 v[21:24], v[132:133], off offset:16
	s_waitcnt vmcnt(16)
	v_wmma_f32_16x16x16_bf16 v[100:107], v[49:56], v[108:115], v[100:107]
	v_mad_i64_i32 v[53:54], null, s2, s5, v[68:69]
	s_clause 0x3
	global_load_b128 v[1:4], v[134:135], off
	global_load_b128 v[5:8], v[134:135], off offset:16
	global_load_b128 v[9:12], v[136:137], off
	global_load_b128 v[13:16], v[136:137], off offset:16
	s_waitcnt vmcnt(18)
	v_wmma_f32_16x16x16_bf16 v[124:131], v[57:64], v[116:123], v[124:131]
	s_clause 0x3
	global_load_b128 v[57:60], v[138:139], off
	global_load_b128 v[61:64], v[138:139], off offset:16
	global_load_b128 v[49:52], v[53:54], off
	global_load_b128 v[53:56], v[53:54], off offset:16
	v_mbcnt_lo_u32_b32 v69, -1, 0
	s_waitcnt vmcnt(20)
	v_wmma_f32_16x16x16_bf16 v[100:107], v[76:83], v[116:123], v[100:107]
	s_delay_alu instid0(VALU_DEP_2) | instskip(NEXT) | instid1(VALU_DEP_1)
	v_xor_b32_e32 v70, 16, v69
	v_cmp_gt_i32_e32 vcc_lo, 32, v70
	v_cndmask_b32_e32 v69, v69, v70, vcc_lo
	ds_load_b128 v[76:79], v72 offset:6144
	ds_load_b128 v[80:83], v72 offset:7168
	s_waitcnt vmcnt(0) lgkmcnt(0)
	s_barrier
	buffer_gl0_inv
	v_wmma_f32_16x16x16_bf16 v[124:131], v[84:91], v[76:83], v[124:131]
	v_and_b32_e32 v68, 0xe0, v0
	v_wmma_f32_16x16x16_bf16 v[100:107], v[92:99], v[76:83], v[100:107]
	s_delay_alu instid0(VALU_DEP_2) | instskip(NEXT) | instid1(VALU_DEP_4)
	v_dual_mul_f32 v79, s18, v127 :: v_dual_add_nc_u32 v68, s12, v68
	v_mul_f32_e32 v81, s18, v129
	v_dual_mul_f32 v78, s18, v125 :: v_dual_mul_f32 v83, s18, v131
	s_delay_alu instid0(VALU_DEP_4) | instskip(NEXT) | instid1(VALU_DEP_4)
	v_dual_mul_f32 v80, s18, v126 :: v_dual_mul_f32 v95, s18, v103
	v_or_b32_e32 v68, v68, v74
	v_dual_mul_f32 v93, s18, v101 :: v_dual_mul_f32 v82, s18, v128
	v_dual_mul_f32 v97, s18, v105 :: v_dual_mul_f32 v92, s18, v130
	v_mul_f32_e32 v99, s18, v107
	s_delay_alu instid0(VALU_DEP_4)
	v_or_b32_e32 v70, 2, v68
	v_or_b32_e32 v71, 4, v68
	;; [unrolled: 1-line block ×3, first 2 shown]
	v_cmp_gt_i32_e64 s2, s17, v68
	v_or_b32_e32 v108, 8, v68
	v_cmp_gt_i32_e32 vcc_lo, s17, v70
	v_mul_f32_e32 v70, s18, v124
	v_or_b32_e32 v109, 10, v68
	v_cmp_gt_i32_e64 s3, s17, v71
	v_cmp_gt_i32_e64 s4, s17, v72
	v_cndmask_b32_e32 v78, 0xff7fffff, v78, vcc_lo
	v_cndmask_b32_e64 v70, 0xff7fffff, v70, s2
	v_or_b32_e32 v84, 12, v68
	v_or_b32_e32 v85, 14, v68
	v_cndmask_b32_e64 v71, 0xff7fffff, v80, s3
	v_cndmask_b32_e64 v72, 0xff7fffff, v79, s4
	v_max3_f32 v70, v70, 0xff7fffff, v78
	v_cmp_gt_i32_e64 s5, s17, v108
	v_cmp_gt_i32_e64 s6, s17, v109
	v_or_b32_e32 v86, 16, v68
	v_or_b32_e32 v87, 18, v68
	v_max3_f32 v70, v70, v71, v72
	v_cndmask_b32_e64 v78, 0xff7fffff, v82, s5
	v_cndmask_b32_e64 v79, 0xff7fffff, v81, s6
	v_cmp_gt_i32_e64 s7, s17, v84
	v_cmp_gt_i32_e64 s8, s17, v85
	v_or_b32_e32 v88, 20, v68
	v_or_b32_e32 v89, 22, v68
	v_mul_f32_e32 v94, s18, v100
	v_cndmask_b32_e64 v71, 0xff7fffff, v92, s7
	v_cndmask_b32_e64 v72, 0xff7fffff, v83, s8
	v_max3_f32 v70, v70, v78, v79
	v_cmp_gt_i32_e64 s9, s17, v86
	v_cmp_gt_i32_e64 s10, s17, v87
	v_or_b32_e32 v90, 24, v68
	v_or_b32_e32 v91, 26, v68
	v_mul_f32_e32 v96, s18, v102
	v_max3_f32 v70, v70, v71, v72
	v_cndmask_b32_e64 v79, 0xff7fffff, v93, s10
	v_cmp_gt_i32_e64 s11, s17, v88
	v_cmp_gt_i32_e64 s12, s17, v89
	v_lshlrev_b32_e32 v89, 2, v69
	v_cndmask_b32_e64 v78, 0xff7fffff, v94, s9
	v_or_b32_e32 v76, 28, v68
	v_or_b32_e32 v77, 30, v68
	v_mul_f32_e32 v98, s18, v104
	v_cndmask_b32_e64 v71, 0xff7fffff, v96, s11
	v_cndmask_b32_e64 v72, 0xff7fffff, v95, s12
	v_max3_f32 v70, v70, v78, v79
	v_cmp_gt_i32_e64 s13, s17, v90
	v_cmp_gt_i32_e64 s15, s17, v91
	v_mul_f32_e32 v68, s18, v106
	v_cmp_gt_i32_e64 s16, s17, v76
	v_max3_f32 v70, v70, v71, v72
	v_cndmask_b32_e64 v78, 0xff7fffff, v98, s13
	v_cndmask_b32_e64 v79, 0xff7fffff, v97, s15
	v_cmp_gt_i32_e64 s17, s17, v77
	v_cndmask_b32_e64 v68, 0xff7fffff, v68, s16
	s_delay_alu instid0(VALU_DEP_3) | instskip(NEXT) | instid1(VALU_DEP_3)
	v_max3_f32 v70, v70, v78, v79
	v_cndmask_b32_e64 v71, 0xff7fffff, v99, s17
	s_delay_alu instid0(VALU_DEP_1) | instskip(SKIP_3) | instid1(VALU_DEP_1)
	v_max3_f32 v68, v70, v68, v71
	ds_bpermute_b32 v69, v89, v68
	s_waitcnt lgkmcnt(0)
	v_max_f32_e32 v69, v69, v69
	v_max_f32_e32 v68, v68, v69
	s_delay_alu instid0(VALU_DEP_1) | instskip(NEXT) | instid1(VALU_DEP_1)
	v_fma_f32 v76, s18, v128, -v68
	v_mul_f32_e32 v77, 0x3fb8aa3b, v76
	v_fma_f32 v71, s18, v126, -v68
	v_fma_f32 v69, s18, v124, -v68
	;; [unrolled: 1-line block ×4, first 2 shown]
	v_exp_f32_e32 v77, v77
	v_mul_f32_e32 v71, 0x3fb8aa3b, v71
	v_mul_f32_e32 v69, 0x3fb8aa3b, v69
	v_fma_f32 v81, s18, v105, -v68
	v_fma_f32 v78, s18, v130, -v68
	s_delay_alu instid0(VALU_DEP_4) | instskip(NEXT) | instid1(VALU_DEP_3)
	v_exp_f32_e32 v71, v71
	v_exp_f32_e32 v69, v69
	s_delay_alu instid0(VALU_DEP_2) | instskip(NEXT) | instid1(TRANS32_DEP_3)
	v_mul_f32_e32 v81, 0x3fb8aa3b, v81
	v_cndmask_b32_e64 v86, 0, v77, s5
	v_fma_f32 v77, s18, v101, -v68
	s_delay_alu instid0(VALU_DEP_3) | instskip(NEXT) | instid1(TRANS32_DEP_3)
	v_exp_f32_e32 v81, v81
	v_cndmask_b32_e64 v83, 0, v71, s3
	v_fma_f32 v71, s18, v131, -v68
	v_mul_f32_e32 v72, 0x3fb8aa3b, v72
	s_delay_alu instid0(TRANS32_DEP_2) | instskip(SKIP_1) | instid1(VALU_DEP_4)
	v_cndmask_b32_e64 v80, 0, v69, s2
	v_fma_f32 v69, s18, v129, -v68
	v_dual_mul_f32 v70, 0x3fb8aa3b, v70 :: v_dual_mul_f32 v71, 0x3fb8aa3b, v71
	s_delay_alu instid0(VALU_DEP_4) | instskip(SKIP_1) | instid1(VALU_DEP_3)
	v_exp_f32_e32 v72, v72
	v_mul_f32_e32 v77, 0x3fb8aa3b, v77
	v_mul_f32_e32 v69, 0x3fb8aa3b, v69
	s_delay_alu instid0(VALU_DEP_3)
	v_exp_f32_e32 v70, v70
	v_exp_f32_e32 v71, v71
	v_cmp_gt_u32_e64 s2, 16, v67
	v_exp_f32_e32 v77, v77
	v_exp_f32_e32 v69, v69
	v_cndmask_b32_e64 v85, 0, v72, s4
	v_fma_f32 v72, s18, v100, -v68
	v_cndmask_b32_e32 v76, 0, v70, vcc_lo
	s_delay_alu instid0(TRANS32_DEP_3) | instskip(SKIP_2) | instid1(TRANS32_DEP_1)
	v_cndmask_b32_e64 v88, 0, v71, s8
	v_fma_f32 v71, s18, v104, -v68
	v_add_f32_e32 v70, 0, v80
	v_cndmask_b32_e64 v87, 0, v69, s6
	s_delay_alu instid0(VALU_DEP_2) | instskip(NEXT) | instid1(VALU_DEP_1)
	v_dual_mul_f32 v71, 0x3fb8aa3b, v71 :: v_dual_add_f32 v70, v70, v76
	v_exp_f32_e32 v82, v71
	s_delay_alu instid0(VALU_DEP_1) | instskip(NEXT) | instid1(VALU_DEP_1)
	v_add_f32_e32 v70, v70, v83
	v_add_f32_e32 v70, v70, v85
	s_delay_alu instid0(VALU_DEP_1) | instskip(SKIP_1) | instid1(VALU_DEP_2)
	v_dual_mul_f32 v72, 0x3fb8aa3b, v72 :: v_dual_add_f32 v69, v70, v86
	v_fma_f32 v70, s18, v102, -v68
	v_exp_f32_e32 v72, v72
	s_delay_alu instid0(VALU_DEP_2) | instskip(NEXT) | instid1(VALU_DEP_2)
	v_dual_add_f32 v69, v69, v87 :: v_dual_mul_f32 v78, 0x3fb8aa3b, v78
	v_mul_f32_e32 v70, 0x3fb8aa3b, v70
	s_delay_alu instid0(VALU_DEP_2) | instskip(NEXT) | instid1(VALU_DEP_1)
	v_exp_f32_e32 v78, v78
	v_exp_f32_e32 v79, v70
	s_delay_alu instid0(TRANS32_DEP_3) | instskip(SKIP_4) | instid1(VALU_DEP_3)
	v_cndmask_b32_e64 v70, 0, v72, s9
	s_waitcnt_depctr 0xfff
	v_cndmask_b32_e64 v84, 0, v78, s7
	v_fma_f32 v78, s18, v103, -v68
	v_cndmask_b32_e64 v71, 0, v79, s11
	v_add_f32_e32 v69, v69, v84
	s_delay_alu instid0(VALU_DEP_1) | instskip(SKIP_2) | instid1(VALU_DEP_1)
	v_add_f32_e32 v72, v69, v88
	v_cndmask_b32_e64 v69, 0, v77, s10
	v_fma_f32 v77, s18, v106, -v68
	v_dual_add_f32 v72, v72, v70 :: v_dual_mul_f32 v77, 0x3fb8aa3b, v77
	s_delay_alu instid0(VALU_DEP_1) | instskip(NEXT) | instid1(VALU_DEP_2)
	v_add_f32_e32 v79, v72, v69
	v_exp_f32_e32 v90, v77
	v_cndmask_b32_e64 v77, 0, v82, s13
	v_mul_f32_e32 v78, 0x3fb8aa3b, v78
	s_delay_alu instid0(VALU_DEP_1) | instskip(SKIP_4) | instid1(VALU_DEP_1)
	v_exp_f32_e32 v78, v78
	s_waitcnt_depctr 0xfff
	v_cndmask_b32_e64 v72, 0, v78, s12
	v_add_f32_e32 v78, v79, v71
	v_fma_f32 v79, s18, v107, -v68
	v_dual_add_f32 v82, v78, v72 :: v_dual_mul_f32 v79, 0x3fb8aa3b, v79
	v_cndmask_b32_e64 v78, 0, v81, s15
	s_delay_alu instid0(VALU_DEP_2) | instskip(NEXT) | instid1(VALU_DEP_3)
	v_add_f32_e32 v81, v82, v77
	v_exp_f32_e32 v82, v79
	v_cndmask_b32_e64 v79, 0, v90, s16
	s_delay_alu instid0(VALU_DEP_2) | instskip(NEXT) | instid1(VALU_DEP_1)
	v_add_f32_e32 v81, v81, v78
	v_add_f32_e32 v90, v81, v79
	s_waitcnt_depctr 0xfff
	v_cndmask_b32_e64 v81, 0, v82, s17
	s_delay_alu instid0(VALU_DEP_1)
	v_add_f32_e32 v82, v90, v81
	ds_bpermute_b32 v89, v89, v82
	s_and_saveexec_b32 s3, s2
	s_cbranch_execz .LBB1550_12
; %bb.11:
	v_mul_u32_u24_e32 v67, 0x44, v66
	s_delay_alu instid0(VALU_DEP_1) | instskip(SKIP_1) | instid1(VALU_DEP_1)
	v_lshl_add_u32 v67, v65, 2, v67
	s_waitcnt lgkmcnt(0)
	v_dual_add_f32 v82, v82, v89 :: v_dual_add_nc_u32 v67, 0x4000, v67
	ds_store_2addr_b32 v67, v68, v82 offset1:136
.LBB1550_12:
	s_or_b32 exec_lo, exec_lo, s3
	v_lshlrev_b32_e32 v67, 2, v65
	s_waitcnt lgkmcnt(0)
	s_barrier
	buffer_gl0_inv
	v_cmp_eq_u32_e32 vcc_lo, 1, v66
	v_add_nc_u32_e32 v82, 0x4000, v67
	v_cmp_eq_u32_e64 s3, 2, v66
	v_cmp_eq_u32_e64 s5, 7, v66
	ds_load_2addr_b32 v[89:90], v82 offset1:17
	ds_load_2addr_b32 v[91:92], v82 offset0:34 offset1:51
	ds_load_2addr_b32 v[93:94], v82 offset0:68 offset1:85
	;; [unrolled: 1-line block ×4, first 2 shown]
	s_waitcnt lgkmcnt(4)
	v_max3_f32 v67, v89, 0xff7fffff, v90
	s_waitcnt lgkmcnt(3)
	s_delay_alu instid0(VALU_DEP_1) | instskip(SKIP_1) | instid1(VALU_DEP_1)
	v_max3_f32 v67, v67, v91, v92
	s_waitcnt lgkmcnt(2)
	v_max3_f32 v67, v67, v93, v94
	s_waitcnt lgkmcnt(1)
	s_delay_alu instid0(VALU_DEP_1) | instskip(NEXT) | instid1(VALU_DEP_1)
	v_max3_f32 v67, v67, v95, v96
	v_sub_f32_e32 v93, v93, v67
	s_delay_alu instid0(VALU_DEP_1) | instskip(NEXT) | instid1(VALU_DEP_1)
	v_dual_sub_f32 v68, v89, v67 :: v_dual_mul_f32 v103, 0x3fb8aa3b, v93
	v_mul_f32_e32 v68, 0x3fb8aa3b, v68
	s_delay_alu instid0(VALU_DEP_1)
	v_exp_f32_e32 v100, v68
	v_sub_f32_e32 v68, v92, v67
	v_sub_f32_e32 v99, v90, v67
	ds_load_2addr_b32 v[89:90], v82 offset0:170 offset1:187
	v_dual_mul_f32 v102, 0x3fb8aa3b, v68 :: v_dual_mul_f32 v99, 0x3fb8aa3b, v99
	s_waitcnt lgkmcnt(1)
	v_fma_f32 v68, v100, v97, 0
	s_delay_alu instid0(VALU_DEP_2) | instskip(NEXT) | instid1(VALU_DEP_2)
	v_exp_f32_e32 v102, v102
	v_exp_f32_e32 v99, v99
	s_waitcnt_depctr 0xfff
	v_fmac_f32_e32 v68, v99, v98
	v_sub_f32_e32 v91, v91, v67
	s_delay_alu instid0(VALU_DEP_1)
	v_mul_f32_e32 v101, 0x3fb8aa3b, v91
	ds_load_2addr_b32 v[91:92], v82 offset0:204 offset1:221
	v_sub_f32_e32 v97, v94, v67
	ds_load_2addr_b32 v[93:94], v82 offset0:238 offset1:255
	s_waitcnt lgkmcnt(0)
	v_exp_f32_e32 v101, v101
	s_barrier
	buffer_gl0_inv
	v_dual_fmac_f32 v68, v101, v89 :: v_dual_sub_f32 v89, v96, v67
	v_dual_sub_f32 v82, v95, v67 :: v_dual_mul_f32 v95, 0x3fb8aa3b, v97
	v_exp_f32_e32 v97, v103
	s_delay_alu instid0(VALU_DEP_2) | instskip(NEXT) | instid1(VALU_DEP_2)
	v_dual_fmac_f32 v68, v102, v90 :: v_dual_mul_f32 v89, 0x3fb8aa3b, v89
	v_mul_f32_e32 v82, 0x3fb8aa3b, v82
	s_delay_alu instid0(VALU_DEP_3) | instskip(NEXT) | instid1(VALU_DEP_2)
	v_exp_f32_e32 v95, v95
	v_exp_f32_e32 v89, v89
	s_delay_alu instid0(VALU_DEP_1)
	v_exp_f32_e32 v82, v82
	v_fmac_f32_e32 v68, v97, v91
	s_delay_alu instid0(TRANS32_DEP_3) | instid1(VALU_DEP_1)
	v_fmac_f32_e32 v68, v95, v92
	s_waitcnt_depctr 0xfff
	v_fmac_f32_e32 v68, v82, v93
	s_delay_alu instid0(VALU_DEP_1) | instskip(NEXT) | instid1(VALU_DEP_1)
	v_fmac_f32_e32 v68, v89, v94
	v_add_f32_e32 v90, 0x358637bd, v68
	s_delay_alu instid0(VALU_DEP_1) | instskip(NEXT) | instid1(VALU_DEP_1)
	v_div_scale_f32 v91, null, v90, v90, 1.0
	v_rcp_f32_e32 v92, v91
	s_waitcnt_depctr 0xfff
	v_fma_f32 v93, -v91, v92, 1.0
	s_delay_alu instid0(VALU_DEP_1) | instskip(SKIP_1) | instid1(VALU_DEP_2)
	v_dual_fmac_f32 v92, v93, v92 :: v_dual_cndmask_b32 v93, v100, v99
	v_cmp_eq_u32_e32 vcc_lo, 3, v66
	v_cndmask_b32_e64 v93, v93, v101, s3
	v_cmp_eq_u32_e64 s3, 4, v66
	s_delay_alu instid0(VALU_DEP_2) | instskip(SKIP_1) | instid1(VALU_DEP_2)
	v_cndmask_b32_e32 v93, v93, v102, vcc_lo
	v_cmp_eq_u32_e32 vcc_lo, 5, v66
	v_cndmask_b32_e64 v93, v93, v97, s3
	v_cmp_eq_u32_e64 s3, 6, v66
	s_delay_alu instid0(VALU_DEP_2) | instskip(SKIP_1) | instid1(VALU_DEP_1)
	v_cndmask_b32_e32 v93, v93, v95, vcc_lo
	v_div_scale_f32 v94, s4, 1.0, v90, 1.0
	s_mov_b32 vcc_lo, s4
	s_delay_alu instid0(VALU_DEP_2) | instskip(NEXT) | instid1(VALU_DEP_2)
	v_cndmask_b32_e64 v82, v93, v82, s3
	v_mul_f32_e32 v96, v94, v92
	s_mov_b32 s3, exec_lo
	s_delay_alu instid0(VALU_DEP_2) | instskip(NEXT) | instid1(VALU_DEP_2)
	v_cndmask_b32_e64 v82, v82, v89, s5
	v_fma_f32 v98, -v91, v96, v94
	s_delay_alu instid0(VALU_DEP_1) | instskip(NEXT) | instid1(VALU_DEP_1)
	v_fmac_f32_e32 v96, v98, v92
	v_fma_f32 v91, -v91, v96, v94
	s_delay_alu instid0(VALU_DEP_1) | instskip(NEXT) | instid1(VALU_DEP_1)
	v_div_fmas_f32 v91, v91, v92, v96
	v_div_fixup_f32 v90, v91, v90, 1.0
	s_delay_alu instid0(VALU_DEP_1) | instskip(NEXT) | instid1(VALU_DEP_1)
	v_mul_f32_e32 v82, v82, v90
	v_mul_f32_e32 v87, v82, v87
	v_mul_f32_e32 v90, v82, v80
	v_mul_f32_e32 v80, v82, v88
	v_mul_f32_e32 v84, v82, v84
	v_mul_f32_e32 v88, v82, v86
	v_mul_f32_e32 v89, v82, v85
	v_dual_mul_f32 v86, v82, v83 :: v_dual_and_b32 v91, 0x7f800000, v90
	v_mul_f32_e32 v85, v82, v76
                                        ; implicit-def: $vgpr76
	s_delay_alu instid0(VALU_DEP_2)
	v_cmpx_ne_u32_e32 0x7f800000, v91
	s_xor_b32 s3, exec_lo, s3
; %bb.13:
	v_bfe_u32 v76, v90, 16, 1
	s_delay_alu instid0(VALU_DEP_1)
	v_add3_u32 v76, v90, v76, 0x7fff
                                        ; implicit-def: $vgpr90
; %bb.14:
	s_and_not1_saveexec_b32 s3, s3
; %bb.15:
	v_and_b32_e32 v76, 0xffff, v90
	v_or_b32_e32 v83, 0x10000, v90
	s_delay_alu instid0(VALU_DEP_2) | instskip(NEXT) | instid1(VALU_DEP_2)
	v_cmp_eq_u32_e32 vcc_lo, 0, v76
	v_cndmask_b32_e32 v76, v83, v90, vcc_lo
; %bb.16:
	s_or_b32 exec_lo, exec_lo, s3
	v_and_b32_e32 v83, 0x7f800000, v85
	s_delay_alu instid0(VALU_DEP_1) | instskip(SKIP_1) | instid1(SALU_CYCLE_1)
	v_cmp_ne_u32_e32 vcc_lo, 0x7f800000, v83
                                        ; implicit-def: $vgpr83
	s_and_saveexec_b32 s3, vcc_lo
	s_xor_b32 s3, exec_lo, s3
; %bb.17:
	v_bfe_u32 v83, v85, 16, 1
	s_delay_alu instid0(VALU_DEP_1)
	v_add3_u32 v83, v85, v83, 0x7fff
                                        ; implicit-def: $vgpr85
; %bb.18:
	s_and_not1_saveexec_b32 s3, s3
; %bb.19:
	v_and_b32_e32 v83, 0xffff, v85
	v_or_b32_e32 v90, 0x10000, v85
	s_delay_alu instid0(VALU_DEP_2) | instskip(NEXT) | instid1(VALU_DEP_2)
	v_cmp_eq_u32_e32 vcc_lo, 0, v83
	v_cndmask_b32_e32 v83, v90, v85, vcc_lo
; %bb.20:
	s_or_b32 exec_lo, exec_lo, s3
	v_and_b32_e32 v85, 0x7f800000, v86
	s_delay_alu instid0(VALU_DEP_1) | instskip(SKIP_1) | instid1(SALU_CYCLE_1)
	v_cmp_ne_u32_e32 vcc_lo, 0x7f800000, v85
                                        ; implicit-def: $vgpr85
	s_and_saveexec_b32 s3, vcc_lo
	s_xor_b32 s3, exec_lo, s3
; %bb.21:
	v_bfe_u32 v85, v86, 16, 1
	s_delay_alu instid0(VALU_DEP_1)
	v_add3_u32 v85, v86, v85, 0x7fff
                                        ; implicit-def: $vgpr86
; %bb.22:
	s_and_not1_saveexec_b32 s3, s3
; %bb.23:
	v_and_b32_e32 v85, 0xffff, v86
	v_or_b32_e32 v90, 0x10000, v86
	s_delay_alu instid0(VALU_DEP_2) | instskip(NEXT) | instid1(VALU_DEP_2)
	v_cmp_eq_u32_e32 vcc_lo, 0, v85
	v_cndmask_b32_e32 v85, v90, v86, vcc_lo
; %bb.24:
	s_or_b32 exec_lo, exec_lo, s3
	v_and_b32_e32 v86, 0x7f800000, v89
	s_delay_alu instid0(VALU_DEP_1) | instskip(SKIP_1) | instid1(SALU_CYCLE_1)
	v_cmp_ne_u32_e32 vcc_lo, 0x7f800000, v86
                                        ; implicit-def: $vgpr86
	s_and_saveexec_b32 s3, vcc_lo
	s_xor_b32 s3, exec_lo, s3
; %bb.25:
	v_bfe_u32 v86, v89, 16, 1
	s_delay_alu instid0(VALU_DEP_1)
	v_add3_u32 v86, v89, v86, 0x7fff
                                        ; implicit-def: $vgpr89
; %bb.26:
	s_and_not1_saveexec_b32 s3, s3
; %bb.27:
	v_and_b32_e32 v86, 0xffff, v89
	v_or_b32_e32 v90, 0x10000, v89
	s_delay_alu instid0(VALU_DEP_2) | instskip(NEXT) | instid1(VALU_DEP_2)
	v_cmp_eq_u32_e32 vcc_lo, 0, v86
	v_cndmask_b32_e32 v86, v90, v89, vcc_lo
; %bb.28:
	s_or_b32 exec_lo, exec_lo, s3
	v_and_b32_e32 v89, 0x7f800000, v88
	s_delay_alu instid0(VALU_DEP_1) | instskip(SKIP_1) | instid1(SALU_CYCLE_1)
	v_cmp_ne_u32_e32 vcc_lo, 0x7f800000, v89
                                        ; implicit-def: $vgpr89
	s_and_saveexec_b32 s3, vcc_lo
	s_xor_b32 s3, exec_lo, s3
; %bb.29:
	v_bfe_u32 v89, v88, 16, 1
	s_delay_alu instid0(VALU_DEP_1)
	v_add3_u32 v89, v88, v89, 0x7fff
                                        ; implicit-def: $vgpr88
; %bb.30:
	s_and_not1_saveexec_b32 s3, s3
; %bb.31:
	v_and_b32_e32 v89, 0xffff, v88
	v_or_b32_e32 v90, 0x10000, v88
	s_delay_alu instid0(VALU_DEP_2) | instskip(NEXT) | instid1(VALU_DEP_2)
	v_cmp_eq_u32_e32 vcc_lo, 0, v89
	v_cndmask_b32_e32 v89, v90, v88, vcc_lo
; %bb.32:
	s_or_b32 exec_lo, exec_lo, s3
	v_and_b32_e32 v88, 0x7f800000, v87
	s_delay_alu instid0(VALU_DEP_1) | instskip(SKIP_1) | instid1(SALU_CYCLE_1)
	v_cmp_ne_u32_e32 vcc_lo, 0x7f800000, v88
                                        ; implicit-def: $vgpr88
	s_and_saveexec_b32 s3, vcc_lo
	s_xor_b32 s3, exec_lo, s3
; %bb.33:
	v_bfe_u32 v88, v87, 16, 1
	s_delay_alu instid0(VALU_DEP_1)
	v_add3_u32 v88, v87, v88, 0x7fff
                                        ; implicit-def: $vgpr87
; %bb.34:
	s_and_not1_saveexec_b32 s3, s3
; %bb.35:
	v_and_b32_e32 v88, 0xffff, v87
	v_or_b32_e32 v90, 0x10000, v87
	s_delay_alu instid0(VALU_DEP_2) | instskip(NEXT) | instid1(VALU_DEP_2)
	v_cmp_eq_u32_e32 vcc_lo, 0, v88
	v_cndmask_b32_e32 v88, v90, v87, vcc_lo
; %bb.36:
	s_or_b32 exec_lo, exec_lo, s3
	v_and_b32_e32 v87, 0x7f800000, v84
	s_delay_alu instid0(VALU_DEP_1) | instskip(SKIP_1) | instid1(SALU_CYCLE_1)
	v_cmp_ne_u32_e32 vcc_lo, 0x7f800000, v87
                                        ; implicit-def: $vgpr87
	s_and_saveexec_b32 s3, vcc_lo
	s_xor_b32 s3, exec_lo, s3
; %bb.37:
	v_bfe_u32 v87, v84, 16, 1
	s_delay_alu instid0(VALU_DEP_1)
	v_add3_u32 v87, v84, v87, 0x7fff
                                        ; implicit-def: $vgpr84
; %bb.38:
	s_and_not1_saveexec_b32 s3, s3
; %bb.39:
	v_and_b32_e32 v87, 0xffff, v84
	v_or_b32_e32 v90, 0x10000, v84
	s_delay_alu instid0(VALU_DEP_2) | instskip(NEXT) | instid1(VALU_DEP_2)
	v_cmp_eq_u32_e32 vcc_lo, 0, v87
	v_cndmask_b32_e32 v87, v90, v84, vcc_lo
; %bb.40:
	s_or_b32 exec_lo, exec_lo, s3
	v_and_b32_e32 v84, 0x7f800000, v80
	s_delay_alu instid0(VALU_DEP_1) | instskip(SKIP_1) | instid1(SALU_CYCLE_1)
	v_cmp_ne_u32_e32 vcc_lo, 0x7f800000, v84
                                        ; implicit-def: $vgpr84
	s_and_saveexec_b32 s3, vcc_lo
	s_xor_b32 s3, exec_lo, s3
; %bb.41:
	v_bfe_u32 v84, v80, 16, 1
	s_delay_alu instid0(VALU_DEP_1)
	v_add3_u32 v84, v80, v84, 0x7fff
                                        ; implicit-def: $vgpr80
; %bb.42:
	s_and_not1_saveexec_b32 s3, s3
; %bb.43:
	v_and_b32_e32 v84, 0xffff, v80
	v_or_b32_e32 v90, 0x10000, v80
	s_delay_alu instid0(VALU_DEP_2) | instskip(NEXT) | instid1(VALU_DEP_2)
	v_cmp_eq_u32_e32 vcc_lo, 0, v84
	v_cndmask_b32_e32 v84, v90, v80, vcc_lo
; %bb.44:
	s_or_b32 exec_lo, exec_lo, s3
	s_load_b64 s[34:35], s[0:1], 0x94
	v_lshlrev_b32_e32 v91, 4, v74
	s_delay_alu instid0(VALU_DEP_2)
	v_perm_b32 v90, v84, v87, 0x7060302
	v_dual_mul_f32 v79, v82, v79 :: v_dual_lshlrev_b32 v80, 6, v65
	v_dual_mul_f32 v77, v82, v77 :: v_dual_lshlrev_b32 v92, 11, v66
	v_mul_f32_e32 v84, v82, v70
	v_perm_b32 v89, v88, v89, 0x7060302
	v_perm_b32 v88, v86, v85, 0x7060302
	;; [unrolled: 1-line block ×3, first 2 shown]
	v_mul_f32_e32 v70, v82, v81
	v_or3_b32 v76, v91, v92, v80
	v_dual_mul_f32 v78, v82, v78 :: v_dual_and_b32 v85, 0x7f800000, v84
	v_mul_f32_e32 v83, v82, v72
	v_mul_f32_e32 v81, v82, v71
	;; [unrolled: 1-line block ×3, first 2 shown]
	s_mov_b32 s3, exec_lo
	ds_store_b128 v76, v[87:90]
                                        ; implicit-def: $vgpr69
	v_cmpx_ne_u32_e32 0x7f800000, v85
	s_xor_b32 s3, exec_lo, s3
; %bb.45:
	v_bfe_u32 v69, v84, 16, 1
	s_delay_alu instid0(VALU_DEP_1)
	v_add3_u32 v69, v84, v69, 0x7fff
                                        ; implicit-def: $vgpr84
; %bb.46:
	s_and_not1_saveexec_b32 s3, s3
; %bb.47:
	v_and_b32_e32 v69, 0xffff, v84
	v_or_b32_e32 v71, 0x10000, v84
	s_delay_alu instid0(VALU_DEP_2) | instskip(NEXT) | instid1(VALU_DEP_2)
	v_cmp_eq_u32_e32 vcc_lo, 0, v69
	v_cndmask_b32_e32 v69, v71, v84, vcc_lo
; %bb.48:
	s_or_b32 exec_lo, exec_lo, s3
	v_and_b32_e32 v71, 0x7f800000, v72
	s_delay_alu instid0(VALU_DEP_1) | instskip(SKIP_1) | instid1(SALU_CYCLE_1)
	v_cmp_ne_u32_e32 vcc_lo, 0x7f800000, v71
                                        ; implicit-def: $vgpr71
	s_and_saveexec_b32 s3, vcc_lo
	s_xor_b32 s3, exec_lo, s3
; %bb.49:
	v_bfe_u32 v71, v72, 16, 1
	s_delay_alu instid0(VALU_DEP_1)
	v_add3_u32 v71, v72, v71, 0x7fff
                                        ; implicit-def: $vgpr72
; %bb.50:
	s_and_not1_saveexec_b32 s3, s3
; %bb.51:
	v_and_b32_e32 v71, 0xffff, v72
	v_or_b32_e32 v82, 0x10000, v72
	s_delay_alu instid0(VALU_DEP_2) | instskip(NEXT) | instid1(VALU_DEP_2)
	v_cmp_eq_u32_e32 vcc_lo, 0, v71
	v_cndmask_b32_e32 v71, v82, v72, vcc_lo
; %bb.52:
	s_or_b32 exec_lo, exec_lo, s3
	v_and_b32_e32 v72, 0x7f800000, v81
	s_delay_alu instid0(VALU_DEP_1) | instskip(SKIP_1) | instid1(SALU_CYCLE_1)
	v_cmp_ne_u32_e32 vcc_lo, 0x7f800000, v72
                                        ; implicit-def: $vgpr72
	s_and_saveexec_b32 s3, vcc_lo
	s_xor_b32 s3, exec_lo, s3
; %bb.53:
	v_bfe_u32 v72, v81, 16, 1
	s_delay_alu instid0(VALU_DEP_1)
	v_add3_u32 v72, v81, v72, 0x7fff
                                        ; implicit-def: $vgpr81
; %bb.54:
	s_and_not1_saveexec_b32 s3, s3
; %bb.55:
	v_and_b32_e32 v72, 0xffff, v81
	v_or_b32_e32 v82, 0x10000, v81
	s_delay_alu instid0(VALU_DEP_2) | instskip(NEXT) | instid1(VALU_DEP_2)
	v_cmp_eq_u32_e32 vcc_lo, 0, v72
	v_cndmask_b32_e32 v72, v82, v81, vcc_lo
; %bb.56:
	s_or_b32 exec_lo, exec_lo, s3
	v_and_b32_e32 v81, 0x7f800000, v83
	s_delay_alu instid0(VALU_DEP_1) | instskip(SKIP_1) | instid1(SALU_CYCLE_1)
	v_cmp_ne_u32_e32 vcc_lo, 0x7f800000, v81
                                        ; implicit-def: $vgpr81
	s_and_saveexec_b32 s3, vcc_lo
	s_xor_b32 s3, exec_lo, s3
; %bb.57:
	v_bfe_u32 v81, v83, 16, 1
	s_delay_alu instid0(VALU_DEP_1)
	v_add3_u32 v81, v83, v81, 0x7fff
                                        ; implicit-def: $vgpr83
; %bb.58:
	s_and_not1_saveexec_b32 s3, s3
; %bb.59:
	v_and_b32_e32 v81, 0xffff, v83
	v_or_b32_e32 v82, 0x10000, v83
	s_delay_alu instid0(VALU_DEP_2) | instskip(NEXT) | instid1(VALU_DEP_2)
	v_cmp_eq_u32_e32 vcc_lo, 0, v81
	v_cndmask_b32_e32 v81, v82, v83, vcc_lo
; %bb.60:
	s_or_b32 exec_lo, exec_lo, s3
	v_and_b32_e32 v82, 0x7f800000, v77
	s_delay_alu instid0(VALU_DEP_1) | instskip(SKIP_1) | instid1(SALU_CYCLE_1)
	v_cmp_ne_u32_e32 vcc_lo, 0x7f800000, v82
                                        ; implicit-def: $vgpr82
	s_and_saveexec_b32 s3, vcc_lo
	s_xor_b32 s3, exec_lo, s3
; %bb.61:
	v_bfe_u32 v82, v77, 16, 1
	s_delay_alu instid0(VALU_DEP_1)
	v_add3_u32 v82, v77, v82, 0x7fff
                                        ; implicit-def: $vgpr77
; %bb.62:
	s_and_not1_saveexec_b32 s3, s3
; %bb.63:
	v_and_b32_e32 v82, 0xffff, v77
	v_or_b32_e32 v83, 0x10000, v77
	s_delay_alu instid0(VALU_DEP_2) | instskip(NEXT) | instid1(VALU_DEP_2)
	v_cmp_eq_u32_e32 vcc_lo, 0, v82
	v_cndmask_b32_e32 v82, v83, v77, vcc_lo
; %bb.64:
	s_or_b32 exec_lo, exec_lo, s3
	v_and_b32_e32 v77, 0x7f800000, v78
	s_delay_alu instid0(VALU_DEP_1) | instskip(SKIP_1) | instid1(SALU_CYCLE_1)
	v_cmp_ne_u32_e32 vcc_lo, 0x7f800000, v77
                                        ; implicit-def: $vgpr77
	s_and_saveexec_b32 s3, vcc_lo
	s_xor_b32 s3, exec_lo, s3
; %bb.65:
	v_bfe_u32 v77, v78, 16, 1
	s_delay_alu instid0(VALU_DEP_1)
	v_add3_u32 v77, v78, v77, 0x7fff
                                        ; implicit-def: $vgpr78
; %bb.66:
	s_and_not1_saveexec_b32 s3, s3
; %bb.67:
	v_and_b32_e32 v77, 0xffff, v78
	v_or_b32_e32 v83, 0x10000, v78
	s_delay_alu instid0(VALU_DEP_2) | instskip(NEXT) | instid1(VALU_DEP_2)
	v_cmp_eq_u32_e32 vcc_lo, 0, v77
	v_cndmask_b32_e32 v77, v83, v78, vcc_lo
; %bb.68:
	s_or_b32 exec_lo, exec_lo, s3
	v_and_b32_e32 v78, 0x7f800000, v79
	s_delay_alu instid0(VALU_DEP_1) | instskip(SKIP_1) | instid1(SALU_CYCLE_1)
	v_cmp_ne_u32_e32 vcc_lo, 0x7f800000, v78
                                        ; implicit-def: $vgpr78
	s_and_saveexec_b32 s3, vcc_lo
	s_xor_b32 s3, exec_lo, s3
; %bb.69:
	v_bfe_u32 v78, v79, 16, 1
	s_delay_alu instid0(VALU_DEP_1)
	v_add3_u32 v78, v79, v78, 0x7fff
                                        ; implicit-def: $vgpr79
; %bb.70:
	s_and_not1_saveexec_b32 s3, s3
; %bb.71:
	v_and_b32_e32 v78, 0xffff, v79
	v_or_b32_e32 v83, 0x10000, v79
	s_delay_alu instid0(VALU_DEP_2) | instskip(NEXT) | instid1(VALU_DEP_2)
	v_cmp_eq_u32_e32 vcc_lo, 0, v78
	v_cndmask_b32_e32 v78, v83, v79, vcc_lo
; %bb.72:
	s_or_b32 exec_lo, exec_lo, s3
	v_and_b32_e32 v79, 0x7f800000, v70
	s_delay_alu instid0(VALU_DEP_1) | instskip(SKIP_1) | instid1(SALU_CYCLE_1)
	v_cmp_ne_u32_e32 vcc_lo, 0x7f800000, v79
                                        ; implicit-def: $vgpr79
	s_and_saveexec_b32 s3, vcc_lo
	s_xor_b32 s3, exec_lo, s3
; %bb.73:
	v_bfe_u32 v79, v70, 16, 1
	s_delay_alu instid0(VALU_DEP_1)
	v_add3_u32 v79, v70, v79, 0x7fff
                                        ; implicit-def: $vgpr70
; %bb.74:
	s_and_not1_saveexec_b32 s3, s3
; %bb.75:
	v_and_b32_e32 v79, 0xffff, v70
	v_or_b32_e32 v83, 0x10000, v70
	s_delay_alu instid0(VALU_DEP_2) | instskip(NEXT) | instid1(VALU_DEP_2)
	v_cmp_eq_u32_e32 vcc_lo, 0, v79
	v_cndmask_b32_e32 v79, v83, v70, vcc_lo
; %bb.76:
	s_or_b32 exec_lo, exec_lo, s3
	s_delay_alu instid0(VALU_DEP_1)
	v_perm_b32 v86, v79, v78, 0x7060302
	v_perm_b32 v85, v77, v82, 0x7060302
	;; [unrolled: 1-line block ×4, first 2 shown]
	v_lshl_or_b32 v82, v66, 11, v80
	ds_store_b128 v76, v[83:86] offset:1024
	s_waitcnt lgkmcnt(0)
	s_barrier
	buffer_gl0_inv
	ds_load_b128 v[69:72], v82
	ds_load_b128 v[83:86], v82 offset:16
	s_waitcnt lgkmcnt(1)
	v_lshrrev_b32_e32 v66, 16, v69
	s_waitcnt lgkmcnt(0)
	v_lshrrev_b32_e32 v91, 16, v83
	v_lshlrev_b32_e32 v78, 2, v74
	v_lshrrev_b32_e32 v95, 16, v70
	v_lshrrev_b32_e32 v98, 16, v84
	;; [unrolled: 1-line block ×4, first 2 shown]
	v_cmp_eq_u32_e32 vcc_lo, 1, v78
	v_lshrrev_b32_e32 v97, 16, v72
	v_lshrrev_b32_e32 v100, 16, v86
	v_cndmask_b32_e32 v87, v83, v91, vcc_lo
	v_or_b32_e32 v79, 1, v78
	v_cndmask_b32_e32 v81, v69, v66, vcc_lo
	v_cmp_eq_u32_e64 s4, 2, v78
	v_cmp_eq_u32_e64 s7, 3, v78
	;; [unrolled: 1-line block ×5, first 2 shown]
	v_cndmask_b32_e64 v81, v81, v70, s4
	v_cndmask_b32_e64 v87, v87, v84, s4
	v_cmp_eq_u32_e64 s8, 3, v79
	v_cndmask_b32_e64 v88, v69, v66, s3
	v_or_b32_e32 v77, 2, v78
	v_cndmask_b32_e64 v81, v81, v95, s7
	v_cndmask_b32_e64 v87, v87, v98, s7
	;; [unrolled: 1-line block ×4, first 2 shown]
	v_cmp_eq_u32_e64 s10, 5, v78
	v_cndmask_b32_e64 v81, v81, v71, s9
	v_cndmask_b32_e64 v87, v87, v85, s9
	v_cmp_eq_u32_e64 s11, 4, v79
	v_cndmask_b32_e64 v88, v88, v95, s8
	v_cmp_eq_u32_e64 s5, 1, v77
	v_cndmask_b32_e64 v89, v89, v84, s6
	v_cndmask_b32_e64 v81, v81, v96, s10
	v_cmp_eq_u32_e64 s12, 6, v78
	v_cndmask_b32_e64 v88, v88, v71, s11
	v_cndmask_b32_e64 v87, v87, v99, s10
	v_cmp_eq_u32_e64 s13, 5, v79
	v_cndmask_b32_e64 v90, v69, v66, s5
	v_cndmask_b32_e64 v89, v89, v98, s8
	v_cndmask_b32_e64 v81, v81, v72, s12
	v_cmp_eq_u32_e64 s15, 7, v78
	v_cndmask_b32_e64 v88, v88, v96, s13
	v_cndmask_b32_e64 v87, v87, v86, s12
	v_cmp_eq_u32_e64 s16, 6, v79
	v_cmp_eq_u32_e64 s17, 2, v77
	v_cndmask_b32_e64 v89, v89, v85, s11
	v_cndmask_b32_e64 v101, v81, v97, s15
	;; [unrolled: 1-line block ×6, first 2 shown]
	v_cmp_eq_u32_e64 s18, 7, v79
	v_cmp_eq_u32_e64 s19, 3, v77
	;; [unrolled: 1-line block ×4, first 2 shown]
	v_cndmask_b32_e64 v87, v87, v84, s17
	v_cndmask_b32_e64 v103, v88, v97, s18
	;; [unrolled: 1-line block ×4, first 2 shown]
	v_or_b32_e32 v81, 3, v78
	v_cndmask_b32_e64 v93, v87, v98, s19
	v_cmp_eq_u32_e64 s24, 6, v77
	v_cndmask_b32_e64 v104, v88, v86, s16
	v_cndmask_b32_e64 v92, v89, v71, s20
	v_cmp_eq_u32_e64 s21, 1, v81
	ds_load_b128 v[87:90], v82 offset:1024
	v_cmp_eq_u32_e64 s23, 2, v81
	v_cmp_eq_u32_e64 s25, 3, v81
	v_cndmask_b32_e64 v105, v92, v96, s22
	v_cndmask_b32_e64 v66, v69, v66, s21
	;; [unrolled: 1-line block ×4, first 2 shown]
	ds_load_b128 v[91:94], v82 offset:1040
	v_cmp_eq_u32_e64 s26, 4, v81
	v_cndmask_b32_e64 v66, v66, v70, s23
	v_cmp_eq_u32_e64 s27, 7, v77
	v_cndmask_b32_e64 v70, v83, v84, s23
	v_cndmask_b32_e64 v84, v105, v72, s24
	v_cmp_eq_u32_e64 s28, 5, v81
	v_cndmask_b32_e64 v66, v66, v95, s25
	v_cmp_eq_u32_e64 s29, 6, v81
	v_cndmask_b32_e64 v70, v70, v98, s25
	v_cndmask_b32_e64 v69, v69, v99, s22
	;; [unrolled: 1-line block ×4, first 2 shown]
	s_waitcnt lgkmcnt(1)
	v_lshrrev_b32_e32 v95, 16, v87
	v_cndmask_b32_e64 v70, v70, v85, s26
	v_cndmask_b32_e64 v71, v84, v97, s27
	;; [unrolled: 1-line block ×4, first 2 shown]
	v_cndmask_b32_e32 v84, v87, v95, vcc_lo
	v_cndmask_b32_e64 v70, v70, v99, s28
	s_waitcnt lgkmcnt(0)
	v_lshrrev_b32_e32 v85, 16, v91
	v_lshrrev_b32_e32 v96, 16, v88
	v_cndmask_b32_e64 v98, v87, v95, s3
	v_cndmask_b32_e64 v84, v84, v88, s4
	;; [unrolled: 1-line block ×3, first 2 shown]
	v_cndmask_b32_e32 v99, v91, v85, vcc_lo
	v_cmp_eq_u32_e32 vcc_lo, 7, v81
	v_cndmask_b32_e64 v66, v66, v72, s29
	v_cndmask_b32_e64 v72, v84, v96, s7
	;; [unrolled: 1-line block ×3, first 2 shown]
	v_lshrrev_b32_e32 v98, 16, v92
	v_cndmask_b32_e32 v70, v70, v100, vcc_lo
	v_cndmask_b32_e64 v86, v99, v92, s4
	v_cndmask_b32_e64 v69, v69, v100, s27
	v_lshrrev_b32_e32 v100, 16, v93
	v_cndmask_b32_e64 v72, v72, v89, s9
	v_lshrrev_b32_e32 v99, 16, v89
	v_cndmask_b32_e64 v86, v86, v98, s7
	v_perm_b32 v71, v69, v71, 0x5040100
	v_cndmask_b32_e64 v84, v84, v96, s8
	s_delay_alu instid0(VALU_DEP_3) | instskip(NEXT) | instid1(VALU_DEP_2)
	v_cndmask_b32_e64 v86, v86, v93, s9
	v_cndmask_b32_e64 v84, v84, v89, s11
	s_delay_alu instid0(VALU_DEP_2) | instskip(NEXT) | instid1(VALU_DEP_1)
	v_cndmask_b32_e64 v86, v86, v100, s10
	v_cndmask_b32_e64 v69, v86, v94, s12
	;; [unrolled: 1-line block ×5, first 2 shown]
	s_delay_alu instid0(VALU_DEP_3) | instskip(NEXT) | instid1(VALU_DEP_3)
	v_cndmask_b32_e64 v86, v86, v88, s17
	v_cndmask_b32_e64 v87, v87, v88, s23
	s_delay_alu instid0(VALU_DEP_3) | instskip(NEXT) | instid1(VALU_DEP_3)
	v_cndmask_b32_e64 v88, v95, v92, s23
	v_cndmask_b32_e64 v86, v86, v96, s19
	;; [unrolled: 3-line block ×7, first 2 shown]
	s_delay_alu instid0(VALU_DEP_3) | instskip(SKIP_2) | instid1(VALU_DEP_2)
	v_cndmask_b32_e64 v88, v88, v94, s29
	v_cndmask_b32_e32 v66, v66, v97, vcc_lo
	v_cndmask_b32_e64 v97, v72, v99, s10
	v_perm_b32 v72, v70, v66, 0x5040100
	v_perm_b32 v70, v83, v103, 0x5040100
	v_cndmask_b32_e64 v103, v91, v85, s5
	v_cndmask_b32_e64 v85, v91, v85, s3
	;; [unrolled: 1-line block ×4, first 2 shown]
	v_lshrrev_b32_e32 v97, 16, v90
	v_cndmask_b32_e64 v91, v103, v92, s17
	v_cndmask_b32_e64 v85, v85, v92, s6
	v_cndmask_b32_e64 v66, v66, v90, s16
	s_mov_b32 s3, exec_lo
	v_cndmask_b32_e64 v83, v84, v97, s15
	v_cndmask_b32_e64 v91, v91, v98, s19
	;; [unrolled: 1-line block ×3, first 2 shown]
	v_lshrrev_b32_e32 v84, 16, v94
	v_cndmask_b32_e64 v66, v66, v97, s18
	v_cndmask_b32_e64 v90, v86, v97, s27
	;; [unrolled: 1-line block ×4, first 2 shown]
	v_dual_cndmask_b32 v86, v87, v97 :: v_dual_cndmask_b32 v87, v88, v84
	v_cndmask_b32_e64 v91, v69, v84, s15
	s_delay_alu instid0(VALU_DEP_4) | instskip(NEXT) | instid1(VALU_DEP_4)
	v_cndmask_b32_e64 v89, v89, v100, s22
	v_cndmask_b32_e64 v85, v85, v100, s13
	v_perm_b32 v69, v102, v101, 0x5040100
	v_perm_b32 v86, v87, v86, 0x5040100
	;; [unrolled: 1-line block ×3, first 2 shown]
	v_cndmask_b32_e64 v89, v89, v94, s24
	v_cndmask_b32_e64 v85, v85, v94, s16
	s_mul_i32 s8, s35, 5
	s_delay_alu instid0(VALU_DEP_2) | instskip(NEXT) | instid1(VALU_DEP_2)
	v_cndmask_b32_e64 v88, v89, v84, s27
	v_cndmask_b32_e64 v89, v85, v84, s18
	s_delay_alu instid0(VALU_DEP_2) | instskip(NEXT) | instid1(VALU_DEP_2)
	v_perm_b32 v85, v88, v90, 0x5040100
	v_perm_b32 v84, v89, v66, 0x5040100
	ds_store_b128 v76, v[69:72]
	ds_store_b128 v76, v[83:86] offset:1024
	v_cmpx_gt_u32_e32 5, v0
	s_cbranch_execz .LBB1550_78
; %bb.77:
	s_mul_i32 s4, s8, s30
	s_delay_alu instid0(SALU_CYCLE_1) | instskip(SKIP_1) | instid1(VALU_DEP_1)
	v_add3_u32 v69, s4, s31, v65
	s_load_b128 s[4:7], s[0:1], 0x58
	v_mad_u64_u32 v[65:66], null, v69, s34, s[14:15]
	s_delay_alu instid0(VALU_DEP_1) | instskip(NEXT) | instid1(VALU_DEP_1)
	v_ashrrev_i32_e32 v66, 31, v65
	v_lshlrev_b64 v[65:66], 2, v[65:66]
	s_waitcnt lgkmcnt(0)
	s_delay_alu instid0(VALU_DEP_1) | instskip(NEXT) | instid1(VALU_DEP_2)
	v_add_co_u32 v69, vcc_lo, s6, v65
	v_add_co_ci_u32_e32 v70, vcc_lo, s7, v66, vcc_lo
	v_add_co_u32 v65, vcc_lo, s4, v65
	v_add_co_ci_u32_e32 v66, vcc_lo, s5, v66, vcc_lo
	global_store_b32 v[69:70], v67, off
	global_store_b32 v[65:66], v68, off
.LBB1550_78:
	s_or_b32 exec_lo, exec_lo, s3
	s_waitcnt lgkmcnt(0)
	s_waitcnt_vscnt null, 0x0
	s_barrier
	buffer_gl0_inv
	ds_load_b128 v[83:86], v80
	ds_load_b128 v[87:90], v80 offset:16
	ds_load_b128 v[95:98], v80 offset:2064
	;; [unrolled: 1-line block ×3, first 2 shown]
	v_mov_b32_e32 v65, 0
	ds_load_b128 v[103:106], v80 offset:4112
	ds_load_b128 v[99:102], v80 offset:4096
	;; [unrolled: 1-line block ×4, first 2 shown]
	v_mov_b32_e32 v66, v65
	v_mov_b32_e32 v67, v65
	;; [unrolled: 1-line block ×7, first 2 shown]
	s_waitcnt lgkmcnt(6)
	s_delay_alu instid0(VALU_DEP_1)
	v_wmma_f32_16x16x16_bf16 v[65:72], v[41:48], v[83:90], v[65:72]
	ds_load_b128 v[45:48], v80 offset:8208
	ds_load_b128 v[41:44], v80 offset:8192
	s_waitcnt lgkmcnt(6)
	v_wmma_f32_16x16x16_bf16 v[65:72], v[33:40], v[91:98], v[65:72]
	ds_load_b128 v[37:40], v80 offset:10256
	ds_load_b128 v[33:36], v80 offset:10240
	s_waitcnt lgkmcnt(6)
	;; [unrolled: 4-line block ×4, first 2 shown]
	v_wmma_f32_16x16x16_bf16 v[65:72], v[1:8], v[41:48], v[65:72]
	s_waitcnt lgkmcnt(4)
	s_delay_alu instid0(VALU_DEP_1) | instskip(SKIP_1) | instid1(VALU_DEP_1)
	v_wmma_f32_16x16x16_bf16 v[65:72], v[9:16], v[33:40], v[65:72]
	s_waitcnt lgkmcnt(2)
	v_wmma_f32_16x16x16_bf16 v[65:72], v[57:64], v[25:32], v[65:72]
	s_waitcnt lgkmcnt(0)
	s_delay_alu instid0(VALU_DEP_1) | instskip(NEXT) | instid1(VALU_DEP_1)
	v_wmma_f32_16x16x16_bf16 v[65:72], v[49:56], v[17:24], v[65:72]
	v_and_b32_e32 v1, 0x7f800000, v65
	s_delay_alu instid0(VALU_DEP_1) | instskip(SKIP_1) | instid1(SALU_CYCLE_1)
	v_cmp_ne_u32_e32 vcc_lo, 0x7f800000, v1
                                        ; implicit-def: $vgpr1
	s_and_saveexec_b32 s3, vcc_lo
	s_xor_b32 s3, exec_lo, s3
; %bb.79:
	v_bfe_u32 v1, v65, 16, 1
	s_delay_alu instid0(VALU_DEP_1)
	v_add3_u32 v1, v65, v1, 0x7fff
; %bb.80:
	s_and_not1_saveexec_b32 s3, s3
; %bb.81:
	v_and_b32_e32 v1, 0xffff, v65
	v_or_b32_e32 v2, 0x10000, v65
	s_delay_alu instid0(VALU_DEP_2) | instskip(NEXT) | instid1(VALU_DEP_2)
	v_cmp_eq_u32_e32 vcc_lo, 0, v1
	v_cndmask_b32_e32 v1, v2, v65, vcc_lo
; %bb.82:
	s_or_b32 exec_lo, exec_lo, s3
	v_and_b32_e32 v2, 0x7f800000, v66
	s_delay_alu instid0(VALU_DEP_1) | instskip(SKIP_1) | instid1(SALU_CYCLE_1)
	v_cmp_ne_u32_e32 vcc_lo, 0x7f800000, v2
                                        ; implicit-def: $vgpr2
	s_and_saveexec_b32 s3, vcc_lo
	s_xor_b32 s3, exec_lo, s3
; %bb.83:
	v_bfe_u32 v2, v66, 16, 1
	s_delay_alu instid0(VALU_DEP_1)
	v_add3_u32 v2, v66, v2, 0x7fff
; %bb.84:
	s_and_not1_saveexec_b32 s3, s3
; %bb.85:
	v_and_b32_e32 v2, 0xffff, v66
	v_or_b32_e32 v3, 0x10000, v66
	s_delay_alu instid0(VALU_DEP_2) | instskip(NEXT) | instid1(VALU_DEP_2)
	v_cmp_eq_u32_e32 vcc_lo, 0, v2
	v_cndmask_b32_e32 v2, v3, v66, vcc_lo
; %bb.86:
	s_or_b32 exec_lo, exec_lo, s3
	v_and_b32_e32 v3, 0x7f800000, v67
	s_delay_alu instid0(VALU_DEP_1) | instskip(SKIP_1) | instid1(SALU_CYCLE_1)
	v_cmp_ne_u32_e32 vcc_lo, 0x7f800000, v3
                                        ; implicit-def: $vgpr3
	s_and_saveexec_b32 s3, vcc_lo
	s_xor_b32 s3, exec_lo, s3
; %bb.87:
	v_bfe_u32 v3, v67, 16, 1
	s_delay_alu instid0(VALU_DEP_1)
	v_add3_u32 v3, v67, v3, 0x7fff
; %bb.88:
	s_and_not1_saveexec_b32 s3, s3
; %bb.89:
	v_and_b32_e32 v3, 0xffff, v67
	v_or_b32_e32 v4, 0x10000, v67
	s_delay_alu instid0(VALU_DEP_2) | instskip(NEXT) | instid1(VALU_DEP_2)
	v_cmp_eq_u32_e32 vcc_lo, 0, v3
	v_cndmask_b32_e32 v3, v4, v67, vcc_lo
; %bb.90:
	s_or_b32 exec_lo, exec_lo, s3
	v_and_b32_e32 v4, 0x7f800000, v68
	s_delay_alu instid0(VALU_DEP_1) | instskip(SKIP_1) | instid1(SALU_CYCLE_1)
	v_cmp_ne_u32_e32 vcc_lo, 0x7f800000, v4
                                        ; implicit-def: $vgpr4
	s_and_saveexec_b32 s3, vcc_lo
	s_xor_b32 s3, exec_lo, s3
; %bb.91:
	v_bfe_u32 v4, v68, 16, 1
	s_delay_alu instid0(VALU_DEP_1)
	v_add3_u32 v4, v68, v4, 0x7fff
; %bb.92:
	s_and_not1_saveexec_b32 s3, s3
; %bb.93:
	v_and_b32_e32 v4, 0xffff, v68
	v_or_b32_e32 v5, 0x10000, v68
	s_delay_alu instid0(VALU_DEP_2) | instskip(NEXT) | instid1(VALU_DEP_2)
	v_cmp_eq_u32_e32 vcc_lo, 0, v4
	v_cndmask_b32_e32 v4, v5, v68, vcc_lo
; %bb.94:
	s_or_b32 exec_lo, exec_lo, s3
	v_and_b32_e32 v5, 0x7f800000, v69
	s_delay_alu instid0(VALU_DEP_1) | instskip(SKIP_1) | instid1(SALU_CYCLE_1)
	v_cmp_ne_u32_e32 vcc_lo, 0x7f800000, v5
                                        ; implicit-def: $vgpr5
	s_and_saveexec_b32 s3, vcc_lo
	s_xor_b32 s3, exec_lo, s3
; %bb.95:
	v_bfe_u32 v5, v69, 16, 1
	s_delay_alu instid0(VALU_DEP_1)
	v_add3_u32 v5, v69, v5, 0x7fff
; %bb.96:
	s_and_not1_saveexec_b32 s3, s3
; %bb.97:
	v_and_b32_e32 v5, 0xffff, v69
	v_or_b32_e32 v6, 0x10000, v69
	s_delay_alu instid0(VALU_DEP_2) | instskip(NEXT) | instid1(VALU_DEP_2)
	v_cmp_eq_u32_e32 vcc_lo, 0, v5
	v_cndmask_b32_e32 v5, v6, v69, vcc_lo
; %bb.98:
	s_or_b32 exec_lo, exec_lo, s3
	v_and_b32_e32 v6, 0x7f800000, v70
	s_delay_alu instid0(VALU_DEP_1) | instskip(SKIP_1) | instid1(SALU_CYCLE_1)
	v_cmp_ne_u32_e32 vcc_lo, 0x7f800000, v6
                                        ; implicit-def: $vgpr6
	s_and_saveexec_b32 s3, vcc_lo
	s_xor_b32 s3, exec_lo, s3
; %bb.99:
	v_bfe_u32 v6, v70, 16, 1
	s_delay_alu instid0(VALU_DEP_1)
	v_add3_u32 v6, v70, v6, 0x7fff
; %bb.100:
	s_and_not1_saveexec_b32 s3, s3
; %bb.101:
	v_and_b32_e32 v6, 0xffff, v70
	v_or_b32_e32 v7, 0x10000, v70
	s_delay_alu instid0(VALU_DEP_2) | instskip(NEXT) | instid1(VALU_DEP_2)
	v_cmp_eq_u32_e32 vcc_lo, 0, v6
	v_cndmask_b32_e32 v6, v7, v70, vcc_lo
; %bb.102:
	s_or_b32 exec_lo, exec_lo, s3
	v_and_b32_e32 v7, 0x7f800000, v71
	s_delay_alu instid0(VALU_DEP_1) | instskip(SKIP_1) | instid1(SALU_CYCLE_1)
	v_cmp_ne_u32_e32 vcc_lo, 0x7f800000, v7
                                        ; implicit-def: $vgpr7
	s_and_saveexec_b32 s3, vcc_lo
	s_xor_b32 s3, exec_lo, s3
; %bb.103:
	v_bfe_u32 v7, v71, 16, 1
	s_delay_alu instid0(VALU_DEP_1)
	v_add3_u32 v7, v71, v7, 0x7fff
; %bb.104:
	s_and_not1_saveexec_b32 s3, s3
; %bb.105:
	v_and_b32_e32 v7, 0xffff, v71
	v_or_b32_e32 v8, 0x10000, v71
	s_delay_alu instid0(VALU_DEP_2) | instskip(NEXT) | instid1(VALU_DEP_2)
	v_cmp_eq_u32_e32 vcc_lo, 0, v7
	v_cndmask_b32_e32 v7, v8, v71, vcc_lo
; %bb.106:
	s_or_b32 exec_lo, exec_lo, s3
	v_and_b32_e32 v8, 0x7f800000, v72
	s_delay_alu instid0(VALU_DEP_1) | instskip(SKIP_1) | instid1(SALU_CYCLE_1)
	v_cmp_ne_u32_e32 vcc_lo, 0x7f800000, v8
                                        ; implicit-def: $vgpr8
	s_and_saveexec_b32 s3, vcc_lo
	s_xor_b32 s3, exec_lo, s3
; %bb.107:
	v_bfe_u32 v8, v72, 16, 1
	s_delay_alu instid0(VALU_DEP_1)
	v_add3_u32 v8, v72, v8, 0x7fff
                                        ; implicit-def: $vgpr65_vgpr66_vgpr67_vgpr68_vgpr69_vgpr70_vgpr71_vgpr72
; %bb.108:
	s_and_not1_saveexec_b32 s3, s3
; %bb.109:
	v_and_b32_e32 v8, 0xffff, v72
	v_or_b32_e32 v9, 0x10000, v72
	s_delay_alu instid0(VALU_DEP_2) | instskip(NEXT) | instid1(VALU_DEP_2)
	v_cmp_eq_u32_e32 vcc_lo, 0, v8
	v_cndmask_b32_e32 v8, v9, v72, vcc_lo
; %bb.110:
	s_or_b32 exec_lo, exec_lo, s3
	s_delay_alu instid0(VALU_DEP_1)
	v_perm_b32 v7, v8, v7, 0x7060302
	v_perm_b32 v6, v6, v5, 0x7060302
	;; [unrolled: 1-line block ×4, first 2 shown]
	s_barrier
	buffer_gl0_inv
	v_cmp_eq_u32_e32 vcc_lo, 1, v78
	ds_store_b128 v76, v[4:7]
	s_waitcnt lgkmcnt(0)
	s_barrier
	buffer_gl0_inv
	ds_load_b128 v[1:4], v82
	ds_load_b128 v[5:8], v82 offset:16
	v_cmp_eq_u32_e64 s3, 1, v79
	v_cmp_eq_u32_e64 s4, 2, v78
	;; [unrolled: 1-line block ×5, first 2 shown]
	s_waitcnt lgkmcnt(1)
	v_lshrrev_b32_e32 v9, 16, v1
	s_waitcnt lgkmcnt(0)
	v_lshrrev_b32_e32 v13, 16, v5
	v_lshrrev_b32_e32 v10, 16, v2
	;; [unrolled: 1-line block ×4, first 2 shown]
	v_cndmask_b32_e64 v19, v1, v9, s3
	v_cndmask_b32_e32 v18, v5, v13, vcc_lo
	v_cndmask_b32_e64 v20, v5, v13, s3
	v_cndmask_b32_e32 v17, v1, v9, vcc_lo
	v_cmp_eq_u32_e32 vcc_lo, 2, v79
	v_lshrrev_b32_e32 v15, 16, v7
	v_cmp_eq_u32_e64 s3, 1, v77
	v_lshrrev_b32_e32 v12, 16, v4
	v_lshrrev_b32_e32 v16, 16, v8
	v_cndmask_b32_e32 v20, v20, v6, vcc_lo
	v_cndmask_b32_e64 v17, v17, v2, s4
	v_cndmask_b32_e32 v19, v19, v2, vcc_lo
	v_cndmask_b32_e64 v18, v18, v6, s4
	v_cmp_eq_u32_e32 vcc_lo, 4, v78
	v_cmp_eq_u32_e64 s4, 3, v79
	v_cndmask_b32_e64 v17, v17, v10, s5
	v_cndmask_b32_e64 v21, v1, v9, s3
	;; [unrolled: 1-line block ×5, first 2 shown]
	v_cndmask_b32_e32 v17, v17, v3, vcc_lo
	v_cndmask_b32_e64 v20, v20, v14, s4
	v_cndmask_b32_e32 v18, v18, v7, vcc_lo
	v_cmp_eq_u32_e32 vcc_lo, 4, v79
	v_cmp_eq_u32_e64 s4, 5, v79
	v_cmp_eq_u32_e64 s3, 2, v81
	v_cndmask_b32_e64 v21, v21, v2, s7
	v_cmp_eq_u32_e64 s5, 5, v78
	v_cndmask_b32_e32 v19, v19, v3, vcc_lo
	v_cndmask_b32_e32 v20, v20, v7, vcc_lo
	v_cmp_eq_u32_e32 vcc_lo, 6, v79
	s_delay_alu instid0(VALU_DEP_4) | instskip(NEXT) | instid1(VALU_DEP_4)
	v_cndmask_b32_e64 v17, v17, v11, s5
	v_cndmask_b32_e64 v19, v19, v11, s4
	s_delay_alu instid0(VALU_DEP_4) | instskip(SKIP_1) | instid1(VALU_DEP_3)
	v_cndmask_b32_e64 v20, v20, v15, s4
	v_cmp_eq_u32_e64 s4, 1, v81
	v_cndmask_b32_e32 v19, v19, v4, vcc_lo
	v_cndmask_b32_e64 v18, v18, v15, s5
	s_delay_alu instid0(VALU_DEP_3)
	v_cndmask_b32_e64 v1, v1, v9, s4
	v_cndmask_b32_e64 v5, v5, v13, s4
	v_cmp_eq_u32_e64 s4, 3, v77
	v_cndmask_b32_e64 v13, v22, v6, s7
	v_cmp_eq_u32_e64 s7, 3, v81
	v_cndmask_b32_e64 v1, v1, v2, s3
	v_cndmask_b32_e64 v2, v5, v6, s3
	;; [unrolled: 1-line block ×3, first 2 shown]
	v_cmp_eq_u32_e64 s3, 4, v77
	v_cndmask_b32_e64 v6, v13, v14, s4
	v_cndmask_b32_e64 v1, v1, v10, s7
	v_cmp_eq_u32_e64 s4, 4, v81
	v_cndmask_b32_e64 v2, v2, v14, s7
	v_cndmask_b32_e64 v5, v9, v3, s3
	;; [unrolled: 3-line block ×3, first 2 shown]
	v_cndmask_b32_e64 v2, v2, v7, s4
	v_cmp_eq_u32_e64 s3, 5, v81
	v_cmp_eq_u32_e64 s5, 6, v78
	v_cndmask_b32_e64 v5, v5, v11, s7
	v_cmp_eq_u32_e64 s4, 6, v77
	v_cndmask_b32_e64 v3, v6, v15, s7
	v_cndmask_b32_e64 v1, v1, v11, s3
	v_cmp_eq_u32_e64 s7, 6, v81
	v_cndmask_b32_e64 v2, v2, v15, s3
	v_cndmask_b32_e64 v17, v17, v4, s5
	v_cndmask_b32_e64 v18, v18, v8, s5
	v_cmp_eq_u32_e64 s5, 7, v78
	v_cndmask_b32_e64 v5, v5, v4, s4
	;; [unrolled: 4-line block ×3, first 2 shown]
	v_cmp_eq_u32_e64 s4, 7, v77
	v_cndmask_b32_e32 v4, v20, v8, vcc_lo
	v_cndmask_b32_e64 v17, v17, v12, s5
	v_cndmask_b32_e64 v19, v19, v12, s6
	v_cndmask_b32_e64 v1, v1, v12, s3
	v_cndmask_b32_e64 v5, v5, v12, s4
	v_cndmask_b32_e64 v2, v2, v16, s3
	v_cndmask_b32_e64 v3, v3, v16, s4
	v_cndmask_b32_e64 v6, v4, v16, s6
	v_cndmask_b32_e64 v7, v18, v16, s5
	s_mov_b32 s3, exec_lo
	v_perm_b32 v4, v2, v1, 0x5040100
	v_perm_b32 v3, v3, v5, 0x5040100
	;; [unrolled: 1-line block ×4, first 2 shown]
	ds_store_b128 v76, v[1:4]
	s_waitcnt lgkmcnt(0)
	s_barrier
	buffer_gl0_inv
	v_cmpx_gt_u32_e32 32, v0
	s_cbranch_execz .LBB1550_2
; %bb.111:
	s_load_b64 s[4:5], s[0:1], 0x68
	v_lshlrev_b32_e32 v0, 10, v0
	v_add_nc_u32_e32 v2, s31, v74
	v_lshlrev_b32_e32 v3, 4, v75
	s_lshl_b32 s0, s34, 7
	s_delay_alu instid0(SALU_CYCLE_1) | instskip(NEXT) | instid1(VALU_DEP_2)
	s_mul_i32 s1, s0, s30
	v_mul_lo_u32 v1, v2, s0
	s_delay_alu instid0(VALU_DEP_2) | instskip(SKIP_2) | instid1(SALU_CYCLE_1)
	v_and_or_b32 v0, 0x3800, v0, v3
	v_add_nc_u32_e32 v2, 2, v2
	s_mul_i32 s6, s1, s8
	s_ashr_i32 s7, s6, 31
	s_delay_alu instid0(VALU_DEP_2)
	v_lshl_or_b32 v7, v74, 6, v0
	s_lshl_b64 s[6:7], s[6:7], 1
	v_mul_lo_u32 v11, v2, s0
	v_ashrrev_i32_e32 v2, 31, v1
	ds_load_b128 v[3:6], v7
	ds_load_b128 v[7:10], v7 offset:128
	s_waitcnt lgkmcnt(0)
	s_add_u32 s1, s4, s6
	s_addc_u32 s3, s5, s7
	s_lshl_b32 s4, s14, 7
	v_ashrrev_i32_e32 v12, 31, v11
	s_ashr_i32 s5, s4, 31
	v_lshlrev_b64 v[13:14], 1, v[1:2]
	s_lshl_b64 s[4:5], s[4:5], 1
	s_delay_alu instid0(SALU_CYCLE_1) | instskip(SKIP_2) | instid1(VALU_DEP_1)
	s_add_u32 s1, s1, s4
	s_addc_u32 s3, s3, s5
	v_add_co_u32 v1, s1, s1, v73
	v_add_co_ci_u32_e64 v2, null, s3, 0, s1
	v_lshlrev_b64 v[11:12], 1, v[11:12]
	s_delay_alu instid0(VALU_DEP_3) | instskip(NEXT) | instid1(VALU_DEP_3)
	v_add_co_u32 v13, vcc_lo, v1, v13
	v_add_co_ci_u32_e32 v14, vcc_lo, v2, v14, vcc_lo
	s_delay_alu instid0(VALU_DEP_3) | instskip(NEXT) | instid1(VALU_DEP_4)
	v_add_co_u32 v11, vcc_lo, v1, v11
	v_add_co_ci_u32_e32 v12, vcc_lo, v2, v12, vcc_lo
	s_clause 0x1
	global_store_b128 v[13:14], v[3:6], off
	global_store_b128 v[11:12], v[7:10], off
	s_and_b32 exec_lo, exec_lo, s2
	s_cbranch_execz .LBB1550_2
; %bb.112:
	ds_load_b128 v[3:6], v0 offset:256
	s_add_i32 s1, s31, 4
	s_delay_alu instid0(SALU_CYCLE_1) | instskip(NEXT) | instid1(SALU_CYCLE_1)
	s_mul_i32 s0, s1, s0
	s_ashr_i32 s1, s0, 31
	s_delay_alu instid0(SALU_CYCLE_1) | instskip(NEXT) | instid1(SALU_CYCLE_1)
	s_lshl_b64 s[0:1], s[0:1], 1
	v_add_co_u32 v0, vcc_lo, v1, s0
	v_add_co_ci_u32_e32 v1, vcc_lo, s1, v2, vcc_lo
	s_waitcnt lgkmcnt(0)
	global_store_b128 v[0:1], v[3:6], off
	s_nop 0
	s_sendmsg sendmsg(MSG_DEALLOC_VGPRS)
	s_endpgm
	.section	.rodata,"a",@progbits
	.p2align	6, 0x0
	.amdhsa_kernel _Z39paged_attention_ll4mi_QKV_mfma16_kernelI14__hip_bfloat16hLN4vllm18Fp8KVCacheDataTypeE1ES0_Li16ELi128ELi256ELb1ELi5EL8MFMAType1EEvPKT_PKT0_S9_ifPKiSB_SB_iPKfiiiPfSE_PS4_PT2_iSD_SD_
		.amdhsa_group_segment_fixed_size 17472
		.amdhsa_private_segment_fixed_size 0
		.amdhsa_kernarg_size 400
		.amdhsa_user_sgpr_count 13
		.amdhsa_user_sgpr_dispatch_ptr 0
		.amdhsa_user_sgpr_queue_ptr 0
		.amdhsa_user_sgpr_kernarg_segment_ptr 1
		.amdhsa_user_sgpr_dispatch_id 0
		.amdhsa_user_sgpr_private_segment_size 0
		.amdhsa_wavefront_size32 1
		.amdhsa_uses_dynamic_stack 0
		.amdhsa_enable_private_segment 0
		.amdhsa_system_sgpr_workgroup_id_x 1
		.amdhsa_system_sgpr_workgroup_id_y 1
		.amdhsa_system_sgpr_workgroup_id_z 1
		.amdhsa_system_sgpr_workgroup_info 0
		.amdhsa_system_vgpr_workitem_id 0
		.amdhsa_next_free_vgpr 140
		.amdhsa_next_free_sgpr 36
		.amdhsa_reserve_vcc 1
		.amdhsa_float_round_mode_32 0
		.amdhsa_float_round_mode_16_64 0
		.amdhsa_float_denorm_mode_32 3
		.amdhsa_float_denorm_mode_16_64 3
		.amdhsa_dx10_clamp 1
		.amdhsa_ieee_mode 1
		.amdhsa_fp16_overflow 0
		.amdhsa_workgroup_processor_mode 1
		.amdhsa_memory_ordered 1
		.amdhsa_forward_progress 0
		.amdhsa_shared_vgpr_count 0
		.amdhsa_exception_fp_ieee_invalid_op 0
		.amdhsa_exception_fp_denorm_src 0
		.amdhsa_exception_fp_ieee_div_zero 0
		.amdhsa_exception_fp_ieee_overflow 0
		.amdhsa_exception_fp_ieee_underflow 0
		.amdhsa_exception_fp_ieee_inexact 0
		.amdhsa_exception_int_div_zero 0
	.end_amdhsa_kernel
	.section	.text._Z39paged_attention_ll4mi_QKV_mfma16_kernelI14__hip_bfloat16hLN4vllm18Fp8KVCacheDataTypeE1ES0_Li16ELi128ELi256ELb1ELi5EL8MFMAType1EEvPKT_PKT0_S9_ifPKiSB_SB_iPKfiiiPfSE_PS4_PT2_iSD_SD_,"axG",@progbits,_Z39paged_attention_ll4mi_QKV_mfma16_kernelI14__hip_bfloat16hLN4vllm18Fp8KVCacheDataTypeE1ES0_Li16ELi128ELi256ELb1ELi5EL8MFMAType1EEvPKT_PKT0_S9_ifPKiSB_SB_iPKfiiiPfSE_PS4_PT2_iSD_SD_,comdat
.Lfunc_end1550:
	.size	_Z39paged_attention_ll4mi_QKV_mfma16_kernelI14__hip_bfloat16hLN4vllm18Fp8KVCacheDataTypeE1ES0_Li16ELi128ELi256ELb1ELi5EL8MFMAType1EEvPKT_PKT0_S9_ifPKiSB_SB_iPKfiiiPfSE_PS4_PT2_iSD_SD_, .Lfunc_end1550-_Z39paged_attention_ll4mi_QKV_mfma16_kernelI14__hip_bfloat16hLN4vllm18Fp8KVCacheDataTypeE1ES0_Li16ELi128ELi256ELb1ELi5EL8MFMAType1EEvPKT_PKT0_S9_ifPKiSB_SB_iPKfiiiPfSE_PS4_PT2_iSD_SD_
                                        ; -- End function
	.section	.AMDGPU.csdata,"",@progbits
; Kernel info:
; codeLenInByte = 8904
; NumSgprs: 38
; NumVgprs: 140
; ScratchSize: 0
; MemoryBound: 0
; FloatMode: 240
; IeeeMode: 1
; LDSByteSize: 17472 bytes/workgroup (compile time only)
; SGPRBlocks: 4
; VGPRBlocks: 17
; NumSGPRsForWavesPerEU: 38
; NumVGPRsForWavesPerEU: 140
; Occupancy: 10
; WaveLimiterHint : 1
; COMPUTE_PGM_RSRC2:SCRATCH_EN: 0
; COMPUTE_PGM_RSRC2:USER_SGPR: 13
; COMPUTE_PGM_RSRC2:TRAP_HANDLER: 0
; COMPUTE_PGM_RSRC2:TGID_X_EN: 1
; COMPUTE_PGM_RSRC2:TGID_Y_EN: 1
; COMPUTE_PGM_RSRC2:TGID_Z_EN: 1
; COMPUTE_PGM_RSRC2:TIDIG_COMP_CNT: 0
	.section	.text._Z39paged_attention_ll4mi_QKV_mfma16_kernelI14__hip_bfloat16hLN4vllm18Fp8KVCacheDataTypeE1ES0_Li16ELi128ELi256ELb1ELi6EL8MFMAType1EEvPKT_PKT0_S9_ifPKiSB_SB_iPKfiiiPfSE_PS4_PT2_iSD_SD_,"axG",@progbits,_Z39paged_attention_ll4mi_QKV_mfma16_kernelI14__hip_bfloat16hLN4vllm18Fp8KVCacheDataTypeE1ES0_Li16ELi128ELi256ELb1ELi6EL8MFMAType1EEvPKT_PKT0_S9_ifPKiSB_SB_iPKfiiiPfSE_PS4_PT2_iSD_SD_,comdat
	.protected	_Z39paged_attention_ll4mi_QKV_mfma16_kernelI14__hip_bfloat16hLN4vllm18Fp8KVCacheDataTypeE1ES0_Li16ELi128ELi256ELb1ELi6EL8MFMAType1EEvPKT_PKT0_S9_ifPKiSB_SB_iPKfiiiPfSE_PS4_PT2_iSD_SD_ ; -- Begin function _Z39paged_attention_ll4mi_QKV_mfma16_kernelI14__hip_bfloat16hLN4vllm18Fp8KVCacheDataTypeE1ES0_Li16ELi128ELi256ELb1ELi6EL8MFMAType1EEvPKT_PKT0_S9_ifPKiSB_SB_iPKfiiiPfSE_PS4_PT2_iSD_SD_
	.globl	_Z39paged_attention_ll4mi_QKV_mfma16_kernelI14__hip_bfloat16hLN4vllm18Fp8KVCacheDataTypeE1ES0_Li16ELi128ELi256ELb1ELi6EL8MFMAType1EEvPKT_PKT0_S9_ifPKiSB_SB_iPKfiiiPfSE_PS4_PT2_iSD_SD_
	.p2align	8
	.type	_Z39paged_attention_ll4mi_QKV_mfma16_kernelI14__hip_bfloat16hLN4vllm18Fp8KVCacheDataTypeE1ES0_Li16ELi128ELi256ELb1ELi6EL8MFMAType1EEvPKT_PKT0_S9_ifPKiSB_SB_iPKfiiiPfSE_PS4_PT2_iSD_SD_,@function
_Z39paged_attention_ll4mi_QKV_mfma16_kernelI14__hip_bfloat16hLN4vllm18Fp8KVCacheDataTypeE1ES0_Li16ELi128ELi256ELb1ELi6EL8MFMAType1EEvPKT_PKT0_S9_ifPKiSB_SB_iPKfiiiPfSE_PS4_PT2_iSD_SD_: ; @_Z39paged_attention_ll4mi_QKV_mfma16_kernelI14__hip_bfloat16hLN4vllm18Fp8KVCacheDataTypeE1ES0_Li16ELi128ELi256ELb1ELi6EL8MFMAType1EEvPKT_PKT0_S9_ifPKiSB_SB_iPKfiiiPfSE_PS4_PT2_iSD_SD_
; %bb.0:
	s_load_b64 s[4:5], s[0:1], 0x30
	s_mov_b32 s30, s13
	s_waitcnt lgkmcnt(0)
	s_cmp_lg_u64 s[4:5], 0
	s_cselect_b32 s13, -1, 0
	s_ashr_i32 s31, s30, 31
	s_cmp_eq_u64 s[4:5], 0
	s_cbranch_scc1 .LBB1551_3
; %bb.1:
	s_lshl_b64 s[2:3], s[30:31], 2
	s_delay_alu instid0(SALU_CYCLE_1) | instskip(SKIP_4) | instid1(SALU_CYCLE_1)
	s_add_u32 s2, s4, s2
	s_addc_u32 s3, s5, s3
	s_load_b64 s[2:3], s[2:3], 0x0
	s_waitcnt lgkmcnt(0)
	s_sub_i32 s2, s3, s2
	s_cmp_eq_u32 s2, 1
	s_cselect_b32 s2, -1, 0
	s_delay_alu instid0(SALU_CYCLE_1)
	s_and_not1_b32 vcc_lo, exec_lo, s2
	s_cbranch_vccz .LBB1551_4
.LBB1551_2:
	s_endpgm
.LBB1551_3:
.LBB1551_4:
	s_load_b64 s[2:3], s[0:1], 0x28
	s_lshl_b64 s[6:7], s[30:31], 2
	s_waitcnt lgkmcnt(0)
	s_add_u32 s2, s2, s6
	s_addc_u32 s3, s3, s7
	s_lshl_b32 s12, s14, 8
	s_load_b32 s17, s[2:3], 0x0
	s_waitcnt lgkmcnt(0)
	s_cmp_ge_i32 s12, s17
	s_cbranch_scc1 .LBB1551_2
; %bb.5:
	s_clause 0x1
	s_load_b128 s[8:11], s[0:1], 0x8
	s_load_b64 s[2:3], s[0:1], 0x20
	s_and_not1_b32 vcc_lo, exec_lo, s13
	s_cbranch_vccnz .LBB1551_7
; %bb.6:
	s_add_u32 s4, s4, s6
	s_addc_u32 s5, s5, s7
	s_load_b32 s13, s[4:5], 0x0
	s_branch .LBB1551_8
.LBB1551_7:
	s_mov_b32 s13, s30
.LBB1551_8:
	s_load_b128 s[4:7], s[0:1], 0x48
	v_and_b32_e32 v65, 15, v0
	v_lshrrev_b32_e32 v66, 5, v0
	v_and_b32_e32 v67, 31, v0
	v_and_b32_e32 v75, 1, v0
	v_bfe_u32 v74, v0, 4, 1
	v_lshlrev_b32_e32 v1, 3, v65
	s_mul_i32 s29, s15, 6
	s_waitcnt lgkmcnt(0)
	s_mov_b32 s7, exec_lo
	s_delay_alu instid0(VALU_DEP_1)
	v_lshlrev_b32_e32 v73, 1, v1
	v_cmpx_gt_u32_e32 0x60, v0
	s_cbranch_execz .LBB1551_10
; %bb.9:
	s_load_b64 s[18:19], s[0:1], 0x0
	v_lshl_or_b32 v5, v66, 1, v74
	s_mul_hi_i32 s21, s13, s4
	s_mul_i32 s20, s13, s4
	v_lshlrev_b32_e32 v6, 10, v65
	s_lshl_b64 s[20:21], s[20:21], 1
	v_add_lshl_u32 v1, v5, s29, 7
	v_lshlrev_b32_e32 v5, 6, v5
	v_lshlrev_b32_e32 v7, 10, v75
	v_and_b32_e32 v6, 0x3800, v6
	s_delay_alu instid0(VALU_DEP_4) | instskip(NEXT) | instid1(VALU_DEP_2)
	v_ashrrev_i32_e32 v2, 31, v1
	v_or3_b32 v5, v6, v7, v5
	s_delay_alu instid0(VALU_DEP_2) | instskip(SKIP_3) | instid1(VALU_DEP_1)
	v_lshlrev_b64 v[1:2], 1, v[1:2]
	s_waitcnt lgkmcnt(0)
	s_add_u32 s4, s18, s20
	s_addc_u32 s13, s19, s21
	v_add_co_u32 v1, vcc_lo, s4, v1
	s_delay_alu instid0(VALU_DEP_2) | instskip(NEXT) | instid1(VALU_DEP_2)
	v_add_co_ci_u32_e32 v2, vcc_lo, s13, v2, vcc_lo
	v_add_co_u32 v1, vcc_lo, v1, v73
	s_delay_alu instid0(VALU_DEP_2)
	v_add_co_ci_u32_e32 v2, vcc_lo, 0, v2, vcc_lo
	global_load_b128 v[1:4], v[1:2], off
	s_waitcnt vmcnt(0)
	ds_store_b128 v5, v[1:4]
.LBB1551_10:
	s_or_b32 exec_lo, exec_lo, s7
	v_and_b32_e32 v1, 0xef, v0
	s_add_i32 s4, s17, 15
	s_clause 0x1
	s_load_b32 s7, s[0:1], 0x38
	s_load_b32 s18, s[0:1], 0x1c
	s_ashr_i32 s13, s4, 31
	v_add_nc_u32_e32 v2, s12, v1
	s_lshr_b32 s13, s13, 28
	s_waitcnt lgkmcnt(0)
	s_add_i32 s4, s4, s13
	s_barrier
	v_ashrrev_i32_e32 v1, 31, v2
	s_ashr_i32 s4, s4, 4
	v_cmp_gt_i32_e32 vcc_lo, s17, v2
	s_add_i32 s4, s4, -1
	buffer_gl0_inv
	v_lshrrev_b32_e32 v3, 28, v1
	v_or_b32_e32 v1, 16, v2
	s_mul_i32 s15, s15, s6
	s_delay_alu instid0(VALU_DEP_2) | instskip(SKIP_1) | instid1(SALU_CYCLE_1)
	v_add_nc_u32_e32 v4, v2, v3
	s_mul_i32 s20, s30, s7
	s_ashr_i32 s21, s20, 31
	s_delay_alu instid0(VALU_DEP_1) | instskip(SKIP_2) | instid1(SALU_CYCLE_1)
	v_ashrrev_i32_e32 v4, 4, v4
	v_add_nc_u32_e32 v3, v1, v3
	s_lshl_b64 s[20:21], s[20:21], 2
	s_add_u32 s2, s2, s20
	s_delay_alu instid0(VALU_DEP_2) | instskip(NEXT) | instid1(VALU_DEP_2)
	v_cndmask_b32_e32 v2, s4, v4, vcc_lo
	v_ashrrev_i32_e32 v3, 4, v3
	v_cmp_gt_i32_e32 vcc_lo, s17, v1
	s_addc_u32 s3, s3, s21
	s_ashr_i32 s6, s15, 31
	s_add_u32 s7, s8, s15
	s_addc_u32 s13, s9, s6
	v_cndmask_b32_e32 v4, s4, v3, vcc_lo
	v_ashrrev_i32_e32 v3, 31, v2
	s_lshl_b32 s8, s14, 4
	s_delay_alu instid0(SALU_CYCLE_1) | instskip(NEXT) | instid1(VALU_DEP_2)
	s_ashr_i32 s9, s8, 31
	v_ashrrev_i32_e32 v5, 31, v4
	s_delay_alu instid0(VALU_DEP_2) | instskip(SKIP_1) | instid1(SALU_CYCLE_1)
	v_lshlrev_b64 v[1:2], 2, v[2:3]
	s_lshl_b64 s[8:9], s[8:9], 2
	s_add_u32 s8, s2, s8
	s_delay_alu instid0(VALU_DEP_2) | instskip(SKIP_1) | instid1(VALU_DEP_2)
	v_lshlrev_b64 v[3:4], 2, v[4:5]
	s_addc_u32 s9, s3, s9
	v_add_co_u32 v1, vcc_lo, s2, v1
	v_add_co_ci_u32_e32 v2, vcc_lo, s3, v2, vcc_lo
	s_delay_alu instid0(VALU_DEP_3) | instskip(NEXT) | instid1(VALU_DEP_4)
	v_add_co_u32 v3, vcc_lo, s2, v3
	v_add_co_ci_u32_e32 v4, vcc_lo, s3, v4, vcc_lo
	s_clause 0x1
	global_load_b32 v5, v[1:2], off
	global_load_b32 v3, v[3:4], off
	v_lshlrev_b32_e32 v1, 4, v0
	s_or_b32 s16, s12, 32
	s_delay_alu instid0(SALU_CYCLE_1) | instskip(SKIP_1) | instid1(VALU_DEP_1)
	s_ashr_i32 s19, s16, 4
	s_cmp_lt_i32 s16, s17
	v_and_b32_e32 v1, 0xf0, v1
	s_cselect_b32 s20, s19, s4
	s_delay_alu instid0(SALU_CYCLE_1) | instskip(NEXT) | instid1(SALU_CYCLE_1)
	s_ashr_i32 s21, s20, 31
	s_lshl_b64 s[20:21], s[20:21], 2
	s_delay_alu instid0(VALU_DEP_1)
	v_add_co_u32 v1, s7, s7, v1
	s_add_u32 s20, s2, s20
	s_addc_u32 s21, s3, s21
	s_or_b32 s16, s12, 64
	v_add_co_ci_u32_e64 v2, null, s13, 0, s7
	s_ashr_i32 s19, s16, 4
	s_cmp_lt_i32 s16, s17
	s_cselect_b32 s22, s19, s4
	s_delay_alu instid0(SALU_CYCLE_1) | instskip(NEXT) | instid1(SALU_CYCLE_1)
	s_ashr_i32 s23, s22, 31
	s_lshl_b64 s[22:23], s[22:23], 2
	s_delay_alu instid0(SALU_CYCLE_1) | instskip(SKIP_2) | instid1(SALU_CYCLE_1)
	s_add_u32 s22, s2, s22
	s_addc_u32 s23, s3, s23
	s_or_b32 s16, s12, 0x60
	s_ashr_i32 s19, s16, 4
	s_cmp_lt_i32 s16, s17
	s_cselect_b32 s24, s19, s4
	s_delay_alu instid0(SALU_CYCLE_1) | instskip(NEXT) | instid1(SALU_CYCLE_1)
	s_ashr_i32 s25, s24, 31
	s_lshl_b64 s[24:25], s[24:25], 2
	s_delay_alu instid0(SALU_CYCLE_1) | instskip(SKIP_2) | instid1(SALU_CYCLE_1)
	s_add_u32 s24, s2, s24
	s_addc_u32 s25, s3, s25
	s_or_b32 s16, s12, 0x80
	;; [unrolled: 10-line block ×3, first 2 shown]
	s_ashr_i32 s19, s16, 4
	s_cmp_lt_i32 s16, s17
	s_cselect_b32 s34, s19, s4
	s_delay_alu instid0(SALU_CYCLE_1) | instskip(NEXT) | instid1(SALU_CYCLE_1)
	s_ashr_i32 s35, s34, 31
	s_lshl_b64 s[34:35], s[34:35], 2
	s_delay_alu instid0(SALU_CYCLE_1)
	s_add_u32 s34, s2, s34
	s_addc_u32 s35, s3, s35
	s_clause 0x5
	s_load_b32 s7, s[8:9], 0x0
	s_load_b32 s13, s[20:21], 0x0
	;; [unrolled: 1-line block ×6, first 2 shown]
	s_or_b32 s8, s12, 0xc0
	s_mov_b32 s20, 0
	s_ashr_i32 s9, s8, 4
	s_cmp_lt_i32 s8, s17
	s_mov_b32 s27, s20
	s_cselect_b32 s8, s9, s4
	s_mov_b32 s21, s20
	s_ashr_i32 s9, s8, 31
	s_mov_b32 s22, s20
	s_lshl_b64 s[8:9], s[8:9], 2
	s_mov_b32 s23, s20
	s_mov_b32 s24, s20
	;; [unrolled: 1-line block ×4, first 2 shown]
	v_dual_mov_b32 v107, s27 :: v_dual_mov_b32 v104, s24
	s_add_u32 s8, s2, s8
	v_dual_mov_b32 v106, s26 :: v_dual_mov_b32 v105, s25
	v_dual_mov_b32 v101, s21 :: v_dual_mov_b32 v100, s20
	s_addc_u32 s9, s3, s9
	v_dual_mov_b32 v103, s23 :: v_dual_mov_b32 v102, s22
	s_or_b32 s20, s12, 0xe0
	s_delay_alu instid0(SALU_CYCLE_1) | instskip(SKIP_2) | instid1(SALU_CYCLE_1)
	s_ashr_i32 s21, s20, 4
	s_cmp_lt_i32 s20, s17
	s_cselect_b32 s20, s21, s4
	s_ashr_i32 s21, s20, 31
	s_delay_alu instid0(SALU_CYCLE_1) | instskip(NEXT) | instid1(SALU_CYCLE_1)
	s_lshl_b64 s[20:21], s[20:21], 2
	s_add_u32 s2, s2, s20
	s_addc_u32 s3, s3, s21
	s_waitcnt vmcnt(1)
	v_mad_i64_i32 v[25:26], null, v5, s5, v[1:2]
	s_waitcnt vmcnt(0)
	v_mad_i64_i32 v[27:28], null, v3, s5, v[1:2]
	s_clause 0xf
	global_load_b128 v[1:4], v[25:26], off
	global_load_b128 v[5:8], v[25:26], off offset:256
	global_load_b128 v[9:12], v[27:28], off
	global_load_b128 v[13:16], v[27:28], off offset:256
	global_load_b128 v[17:20], v[25:26], off offset:512
	;; [unrolled: 1-line block ×13, first 2 shown]
	v_mul_lo_u16 v25, v65, 43
	v_lshlrev_b32_e32 v26, 4, v65
	s_delay_alu instid0(VALU_DEP_2) | instskip(NEXT) | instid1(VALU_DEP_2)
	v_lshrrev_b16 v25, 8, v25
	v_lshl_or_b32 v33, v66, 8, v26
	s_delay_alu instid0(VALU_DEP_2) | instskip(NEXT) | instid1(VALU_DEP_1)
	v_mul_lo_u16 v25, v25, 6
	v_sub_nc_u16 v25, v65, v25
	s_delay_alu instid0(VALU_DEP_1) | instskip(NEXT) | instid1(VALU_DEP_1)
	v_and_b32_e32 v25, 0xff, v25
	v_lshlrev_b32_e32 v72, 6, v25
	ds_load_b128 v[25:28], v72
	ds_load_b128 v[29:32], v72 offset:1024
	ds_load_b128 v[108:111], v72 offset:2048
	;; [unrolled: 1-line block ×3, first 2 shown]
	s_load_b32 s4, s[8:9], 0x0
	ds_load_b128 v[116:119], v72 offset:4096
	ds_load_b128 v[120:123], v72 offset:5120
	s_load_b32 s2, s[2:3], 0x0
	s_add_u32 s8, s10, s15
	s_addc_u32 s6, s11, s6
	v_add_co_u32 v68, s8, s8, v33
	s_delay_alu instid0(VALU_DEP_1) | instskip(SKIP_1) | instid1(VALU_DEP_1)
	v_add_co_ci_u32_e64 v69, null, s6, 0, s8
	s_waitcnt lgkmcnt(0)
	v_mad_i64_i32 v[33:34], null, s7, s5, v[68:69]
	v_mad_i64_i32 v[70:71], null, s16, s5, v[68:69]
	;; [unrolled: 1-line block ×7, first 2 shown]
	s_clause 0x3
	global_load_b128 v[41:44], v[33:34], off
	global_load_b128 v[45:48], v[33:34], off offset:16
	global_load_b128 v[33:36], v[37:38], off
	global_load_b128 v[37:40], v[37:38], off offset:16
	s_waitcnt vmcnt(18)
	v_wmma_f32_16x16x16_bf16 v[124:131], v[1:8], v[25:32], v[100:107]
	s_waitcnt vmcnt(16)
	v_wmma_f32_16x16x16_bf16 v[100:107], v[9:16], v[25:32], v[100:107]
	s_clause 0x1
	global_load_b128 v[25:28], v[70:71], off
	global_load_b128 v[29:32], v[70:71], off offset:16
	s_waitcnt vmcnt(16)
	v_wmma_f32_16x16x16_bf16 v[124:131], v[17:24], v[108:115], v[124:131]
	s_clause 0x1
	global_load_b128 v[17:20], v[132:133], off
	global_load_b128 v[21:24], v[132:133], off offset:16
	s_waitcnt vmcnt(16)
	v_wmma_f32_16x16x16_bf16 v[100:107], v[49:56], v[108:115], v[100:107]
	v_mad_i64_i32 v[53:54], null, s2, s5, v[68:69]
	s_clause 0x3
	global_load_b128 v[1:4], v[134:135], off
	global_load_b128 v[5:8], v[134:135], off offset:16
	global_load_b128 v[9:12], v[136:137], off
	global_load_b128 v[13:16], v[136:137], off offset:16
	s_waitcnt vmcnt(18)
	v_wmma_f32_16x16x16_bf16 v[124:131], v[57:64], v[116:123], v[124:131]
	s_clause 0x3
	global_load_b128 v[57:60], v[138:139], off
	global_load_b128 v[61:64], v[138:139], off offset:16
	global_load_b128 v[49:52], v[53:54], off
	global_load_b128 v[53:56], v[53:54], off offset:16
	v_mbcnt_lo_u32_b32 v69, -1, 0
	s_waitcnt vmcnt(20)
	v_wmma_f32_16x16x16_bf16 v[100:107], v[76:83], v[116:123], v[100:107]
	s_delay_alu instid0(VALU_DEP_2) | instskip(NEXT) | instid1(VALU_DEP_1)
	v_xor_b32_e32 v70, 16, v69
	v_cmp_gt_i32_e32 vcc_lo, 32, v70
	v_cndmask_b32_e32 v69, v69, v70, vcc_lo
	ds_load_b128 v[76:79], v72 offset:6144
	ds_load_b128 v[80:83], v72 offset:7168
	s_waitcnt vmcnt(0) lgkmcnt(0)
	s_barrier
	buffer_gl0_inv
	v_wmma_f32_16x16x16_bf16 v[124:131], v[84:91], v[76:83], v[124:131]
	v_and_b32_e32 v68, 0xe0, v0
	v_wmma_f32_16x16x16_bf16 v[100:107], v[92:99], v[76:83], v[100:107]
	s_delay_alu instid0(VALU_DEP_2) | instskip(NEXT) | instid1(VALU_DEP_4)
	v_dual_mul_f32 v79, s18, v127 :: v_dual_add_nc_u32 v68, s12, v68
	v_mul_f32_e32 v81, s18, v129
	v_dual_mul_f32 v78, s18, v125 :: v_dual_mul_f32 v83, s18, v131
	s_delay_alu instid0(VALU_DEP_4) | instskip(NEXT) | instid1(VALU_DEP_4)
	v_dual_mul_f32 v80, s18, v126 :: v_dual_mul_f32 v95, s18, v103
	v_or_b32_e32 v68, v68, v74
	v_dual_mul_f32 v93, s18, v101 :: v_dual_mul_f32 v82, s18, v128
	v_dual_mul_f32 v97, s18, v105 :: v_dual_mul_f32 v92, s18, v130
	v_mul_f32_e32 v99, s18, v107
	s_delay_alu instid0(VALU_DEP_4)
	v_or_b32_e32 v70, 2, v68
	v_or_b32_e32 v71, 4, v68
	;; [unrolled: 1-line block ×3, first 2 shown]
	v_cmp_gt_i32_e64 s2, s17, v68
	v_or_b32_e32 v108, 8, v68
	v_cmp_gt_i32_e32 vcc_lo, s17, v70
	v_mul_f32_e32 v70, s18, v124
	v_or_b32_e32 v109, 10, v68
	v_cmp_gt_i32_e64 s3, s17, v71
	v_cmp_gt_i32_e64 s4, s17, v72
	v_cndmask_b32_e32 v78, 0xff7fffff, v78, vcc_lo
	v_cndmask_b32_e64 v70, 0xff7fffff, v70, s2
	v_or_b32_e32 v84, 12, v68
	v_or_b32_e32 v85, 14, v68
	v_cndmask_b32_e64 v71, 0xff7fffff, v80, s3
	v_cndmask_b32_e64 v72, 0xff7fffff, v79, s4
	v_max3_f32 v70, v70, 0xff7fffff, v78
	v_cmp_gt_i32_e64 s5, s17, v108
	v_cmp_gt_i32_e64 s6, s17, v109
	v_or_b32_e32 v86, 16, v68
	v_or_b32_e32 v87, 18, v68
	v_max3_f32 v70, v70, v71, v72
	v_cndmask_b32_e64 v78, 0xff7fffff, v82, s5
	v_cndmask_b32_e64 v79, 0xff7fffff, v81, s6
	v_cmp_gt_i32_e64 s7, s17, v84
	v_cmp_gt_i32_e64 s8, s17, v85
	v_or_b32_e32 v88, 20, v68
	v_or_b32_e32 v89, 22, v68
	v_mul_f32_e32 v94, s18, v100
	v_cndmask_b32_e64 v71, 0xff7fffff, v92, s7
	v_cndmask_b32_e64 v72, 0xff7fffff, v83, s8
	v_max3_f32 v70, v70, v78, v79
	v_cmp_gt_i32_e64 s9, s17, v86
	v_cmp_gt_i32_e64 s10, s17, v87
	v_or_b32_e32 v90, 24, v68
	v_or_b32_e32 v91, 26, v68
	v_mul_f32_e32 v96, s18, v102
	v_max3_f32 v70, v70, v71, v72
	v_cndmask_b32_e64 v79, 0xff7fffff, v93, s10
	v_cmp_gt_i32_e64 s11, s17, v88
	v_cmp_gt_i32_e64 s12, s17, v89
	v_lshlrev_b32_e32 v89, 2, v69
	v_cndmask_b32_e64 v78, 0xff7fffff, v94, s9
	v_or_b32_e32 v76, 28, v68
	v_or_b32_e32 v77, 30, v68
	v_mul_f32_e32 v98, s18, v104
	v_cndmask_b32_e64 v71, 0xff7fffff, v96, s11
	v_cndmask_b32_e64 v72, 0xff7fffff, v95, s12
	v_max3_f32 v70, v70, v78, v79
	v_cmp_gt_i32_e64 s13, s17, v90
	v_cmp_gt_i32_e64 s15, s17, v91
	v_mul_f32_e32 v68, s18, v106
	v_cmp_gt_i32_e64 s16, s17, v76
	v_max3_f32 v70, v70, v71, v72
	v_cndmask_b32_e64 v78, 0xff7fffff, v98, s13
	v_cndmask_b32_e64 v79, 0xff7fffff, v97, s15
	v_cmp_gt_i32_e64 s17, s17, v77
	v_cndmask_b32_e64 v68, 0xff7fffff, v68, s16
	s_delay_alu instid0(VALU_DEP_3) | instskip(NEXT) | instid1(VALU_DEP_3)
	v_max3_f32 v70, v70, v78, v79
	v_cndmask_b32_e64 v71, 0xff7fffff, v99, s17
	s_delay_alu instid0(VALU_DEP_1) | instskip(SKIP_3) | instid1(VALU_DEP_1)
	v_max3_f32 v68, v70, v68, v71
	ds_bpermute_b32 v69, v89, v68
	s_waitcnt lgkmcnt(0)
	v_max_f32_e32 v69, v69, v69
	v_max_f32_e32 v68, v68, v69
	s_delay_alu instid0(VALU_DEP_1) | instskip(NEXT) | instid1(VALU_DEP_1)
	v_fma_f32 v76, s18, v128, -v68
	v_mul_f32_e32 v77, 0x3fb8aa3b, v76
	v_fma_f32 v71, s18, v126, -v68
	v_fma_f32 v69, s18, v124, -v68
	;; [unrolled: 1-line block ×4, first 2 shown]
	v_exp_f32_e32 v77, v77
	v_mul_f32_e32 v71, 0x3fb8aa3b, v71
	v_mul_f32_e32 v69, 0x3fb8aa3b, v69
	v_fma_f32 v81, s18, v105, -v68
	v_fma_f32 v78, s18, v130, -v68
	s_delay_alu instid0(VALU_DEP_4) | instskip(NEXT) | instid1(VALU_DEP_3)
	v_exp_f32_e32 v71, v71
	v_exp_f32_e32 v69, v69
	s_delay_alu instid0(VALU_DEP_2) | instskip(NEXT) | instid1(TRANS32_DEP_3)
	v_mul_f32_e32 v81, 0x3fb8aa3b, v81
	v_cndmask_b32_e64 v86, 0, v77, s5
	v_fma_f32 v77, s18, v101, -v68
	s_delay_alu instid0(VALU_DEP_3) | instskip(NEXT) | instid1(TRANS32_DEP_3)
	v_exp_f32_e32 v81, v81
	v_cndmask_b32_e64 v83, 0, v71, s3
	v_fma_f32 v71, s18, v131, -v68
	v_mul_f32_e32 v72, 0x3fb8aa3b, v72
	s_delay_alu instid0(TRANS32_DEP_2) | instskip(SKIP_1) | instid1(VALU_DEP_4)
	v_cndmask_b32_e64 v80, 0, v69, s2
	v_fma_f32 v69, s18, v129, -v68
	v_dual_mul_f32 v70, 0x3fb8aa3b, v70 :: v_dual_mul_f32 v71, 0x3fb8aa3b, v71
	s_delay_alu instid0(VALU_DEP_4) | instskip(SKIP_1) | instid1(VALU_DEP_3)
	v_exp_f32_e32 v72, v72
	v_mul_f32_e32 v77, 0x3fb8aa3b, v77
	v_mul_f32_e32 v69, 0x3fb8aa3b, v69
	s_delay_alu instid0(VALU_DEP_3)
	v_exp_f32_e32 v70, v70
	v_exp_f32_e32 v71, v71
	s_mov_b32 s2, exec_lo
	v_exp_f32_e32 v77, v77
	v_exp_f32_e32 v69, v69
	v_cndmask_b32_e64 v85, 0, v72, s4
	v_fma_f32 v72, s18, v100, -v68
	v_cndmask_b32_e32 v76, 0, v70, vcc_lo
	s_delay_alu instid0(TRANS32_DEP_3) | instskip(SKIP_2) | instid1(TRANS32_DEP_1)
	v_cndmask_b32_e64 v88, 0, v71, s8
	v_fma_f32 v71, s18, v104, -v68
	v_add_f32_e32 v70, 0, v80
	v_cndmask_b32_e64 v87, 0, v69, s6
	s_delay_alu instid0(VALU_DEP_2) | instskip(NEXT) | instid1(VALU_DEP_1)
	v_dual_mul_f32 v71, 0x3fb8aa3b, v71 :: v_dual_add_f32 v70, v70, v76
	v_exp_f32_e32 v82, v71
	s_delay_alu instid0(VALU_DEP_1) | instskip(NEXT) | instid1(VALU_DEP_1)
	v_add_f32_e32 v70, v70, v83
	v_add_f32_e32 v70, v70, v85
	s_delay_alu instid0(VALU_DEP_1) | instskip(SKIP_1) | instid1(VALU_DEP_2)
	v_dual_mul_f32 v72, 0x3fb8aa3b, v72 :: v_dual_add_f32 v69, v70, v86
	v_fma_f32 v70, s18, v102, -v68
	v_exp_f32_e32 v72, v72
	s_delay_alu instid0(VALU_DEP_2) | instskip(NEXT) | instid1(VALU_DEP_2)
	v_dual_add_f32 v69, v69, v87 :: v_dual_mul_f32 v78, 0x3fb8aa3b, v78
	v_mul_f32_e32 v70, 0x3fb8aa3b, v70
	s_delay_alu instid0(VALU_DEP_2) | instskip(NEXT) | instid1(VALU_DEP_1)
	v_exp_f32_e32 v78, v78
	v_exp_f32_e32 v79, v70
	s_delay_alu instid0(TRANS32_DEP_3) | instskip(SKIP_4) | instid1(VALU_DEP_3)
	v_cndmask_b32_e64 v70, 0, v72, s9
	s_waitcnt_depctr 0xfff
	v_cndmask_b32_e64 v84, 0, v78, s7
	v_fma_f32 v78, s18, v103, -v68
	v_cndmask_b32_e64 v71, 0, v79, s11
	v_add_f32_e32 v69, v69, v84
	s_delay_alu instid0(VALU_DEP_1) | instskip(SKIP_2) | instid1(VALU_DEP_1)
	v_add_f32_e32 v72, v69, v88
	v_cndmask_b32_e64 v69, 0, v77, s10
	v_fma_f32 v77, s18, v106, -v68
	v_dual_add_f32 v72, v72, v70 :: v_dual_mul_f32 v77, 0x3fb8aa3b, v77
	s_delay_alu instid0(VALU_DEP_1) | instskip(NEXT) | instid1(VALU_DEP_2)
	v_add_f32_e32 v79, v72, v69
	v_exp_f32_e32 v90, v77
	v_cndmask_b32_e64 v77, 0, v82, s13
	v_mul_f32_e32 v78, 0x3fb8aa3b, v78
	s_delay_alu instid0(VALU_DEP_1) | instskip(SKIP_4) | instid1(VALU_DEP_1)
	v_exp_f32_e32 v78, v78
	s_waitcnt_depctr 0xfff
	v_cndmask_b32_e64 v72, 0, v78, s12
	v_add_f32_e32 v78, v79, v71
	v_fma_f32 v79, s18, v107, -v68
	v_dual_add_f32 v82, v78, v72 :: v_dual_mul_f32 v79, 0x3fb8aa3b, v79
	v_cndmask_b32_e64 v78, 0, v81, s15
	s_delay_alu instid0(VALU_DEP_2) | instskip(NEXT) | instid1(VALU_DEP_3)
	v_add_f32_e32 v81, v82, v77
	v_exp_f32_e32 v82, v79
	v_cndmask_b32_e64 v79, 0, v90, s16
	s_delay_alu instid0(VALU_DEP_2) | instskip(NEXT) | instid1(VALU_DEP_1)
	v_add_f32_e32 v81, v81, v78
	v_add_f32_e32 v90, v81, v79
	s_waitcnt_depctr 0xfff
	v_cndmask_b32_e64 v81, 0, v82, s17
	s_delay_alu instid0(VALU_DEP_1)
	v_add_f32_e32 v82, v90, v81
	ds_bpermute_b32 v89, v89, v82
	v_cmpx_gt_u32_e32 16, v67
	s_cbranch_execz .LBB1551_12
; %bb.11:
	v_mul_u32_u24_e32 v67, 0x44, v66
	s_delay_alu instid0(VALU_DEP_1) | instskip(SKIP_1) | instid1(VALU_DEP_1)
	v_lshl_add_u32 v67, v65, 2, v67
	s_waitcnt lgkmcnt(0)
	v_dual_add_f32 v82, v82, v89 :: v_dual_add_nc_u32 v67, 0x4000, v67
	ds_store_2addr_b32 v67, v68, v82 offset1:136
.LBB1551_12:
	s_or_b32 exec_lo, exec_lo, s2
	v_lshlrev_b32_e32 v67, 2, v65
	s_waitcnt lgkmcnt(0)
	s_barrier
	buffer_gl0_inv
	v_cmp_eq_u32_e32 vcc_lo, 1, v66
	v_add_nc_u32_e32 v82, 0x4000, v67
	v_cmp_eq_u32_e64 s2, 2, v66
	v_cmp_eq_u32_e64 s4, 7, v66
	ds_load_2addr_b32 v[89:90], v82 offset1:17
	ds_load_2addr_b32 v[91:92], v82 offset0:34 offset1:51
	ds_load_2addr_b32 v[93:94], v82 offset0:68 offset1:85
	;; [unrolled: 1-line block ×4, first 2 shown]
	s_waitcnt lgkmcnt(4)
	v_max3_f32 v67, v89, 0xff7fffff, v90
	s_waitcnt lgkmcnt(3)
	s_delay_alu instid0(VALU_DEP_1) | instskip(SKIP_1) | instid1(VALU_DEP_1)
	v_max3_f32 v67, v67, v91, v92
	s_waitcnt lgkmcnt(2)
	v_max3_f32 v67, v67, v93, v94
	s_waitcnt lgkmcnt(1)
	s_delay_alu instid0(VALU_DEP_1) | instskip(NEXT) | instid1(VALU_DEP_1)
	v_max3_f32 v67, v67, v95, v96
	v_sub_f32_e32 v93, v93, v67
	s_delay_alu instid0(VALU_DEP_1) | instskip(NEXT) | instid1(VALU_DEP_1)
	v_dual_sub_f32 v68, v89, v67 :: v_dual_mul_f32 v103, 0x3fb8aa3b, v93
	v_mul_f32_e32 v68, 0x3fb8aa3b, v68
	s_delay_alu instid0(VALU_DEP_1)
	v_exp_f32_e32 v100, v68
	v_sub_f32_e32 v68, v92, v67
	v_sub_f32_e32 v99, v90, v67
	ds_load_2addr_b32 v[89:90], v82 offset0:170 offset1:187
	v_dual_mul_f32 v102, 0x3fb8aa3b, v68 :: v_dual_mul_f32 v99, 0x3fb8aa3b, v99
	s_waitcnt lgkmcnt(1)
	v_fma_f32 v68, v100, v97, 0
	s_delay_alu instid0(VALU_DEP_2) | instskip(NEXT) | instid1(VALU_DEP_2)
	v_exp_f32_e32 v102, v102
	v_exp_f32_e32 v99, v99
	s_waitcnt_depctr 0xfff
	v_fmac_f32_e32 v68, v99, v98
	v_sub_f32_e32 v91, v91, v67
	s_delay_alu instid0(VALU_DEP_1)
	v_mul_f32_e32 v101, 0x3fb8aa3b, v91
	ds_load_2addr_b32 v[91:92], v82 offset0:204 offset1:221
	v_sub_f32_e32 v97, v94, v67
	ds_load_2addr_b32 v[93:94], v82 offset0:238 offset1:255
	s_waitcnt lgkmcnt(0)
	v_exp_f32_e32 v101, v101
	s_barrier
	buffer_gl0_inv
	v_dual_fmac_f32 v68, v101, v89 :: v_dual_sub_f32 v89, v96, v67
	v_dual_sub_f32 v82, v95, v67 :: v_dual_mul_f32 v95, 0x3fb8aa3b, v97
	v_exp_f32_e32 v97, v103
	s_delay_alu instid0(VALU_DEP_2) | instskip(NEXT) | instid1(VALU_DEP_2)
	v_dual_fmac_f32 v68, v102, v90 :: v_dual_mul_f32 v89, 0x3fb8aa3b, v89
	v_mul_f32_e32 v82, 0x3fb8aa3b, v82
	s_delay_alu instid0(VALU_DEP_3) | instskip(NEXT) | instid1(VALU_DEP_2)
	v_exp_f32_e32 v95, v95
	v_exp_f32_e32 v89, v89
	s_delay_alu instid0(VALU_DEP_1)
	v_exp_f32_e32 v82, v82
	v_fmac_f32_e32 v68, v97, v91
	s_delay_alu instid0(TRANS32_DEP_3) | instid1(VALU_DEP_1)
	v_fmac_f32_e32 v68, v95, v92
	s_waitcnt_depctr 0xfff
	v_fmac_f32_e32 v68, v82, v93
	s_delay_alu instid0(VALU_DEP_1) | instskip(NEXT) | instid1(VALU_DEP_1)
	v_fmac_f32_e32 v68, v89, v94
	v_add_f32_e32 v90, 0x358637bd, v68
	s_delay_alu instid0(VALU_DEP_1) | instskip(NEXT) | instid1(VALU_DEP_1)
	v_div_scale_f32 v91, null, v90, v90, 1.0
	v_rcp_f32_e32 v92, v91
	s_waitcnt_depctr 0xfff
	v_fma_f32 v93, -v91, v92, 1.0
	s_delay_alu instid0(VALU_DEP_1) | instskip(SKIP_1) | instid1(VALU_DEP_2)
	v_dual_fmac_f32 v92, v93, v92 :: v_dual_cndmask_b32 v93, v100, v99
	v_cmp_eq_u32_e32 vcc_lo, 3, v66
	v_cndmask_b32_e64 v93, v93, v101, s2
	v_cmp_eq_u32_e64 s2, 4, v66
	s_delay_alu instid0(VALU_DEP_2) | instskip(SKIP_1) | instid1(VALU_DEP_2)
	v_cndmask_b32_e32 v93, v93, v102, vcc_lo
	v_cmp_eq_u32_e32 vcc_lo, 5, v66
	v_cndmask_b32_e64 v93, v93, v97, s2
	v_cmp_eq_u32_e64 s2, 6, v66
	s_delay_alu instid0(VALU_DEP_2) | instskip(SKIP_1) | instid1(VALU_DEP_1)
	v_cndmask_b32_e32 v93, v93, v95, vcc_lo
	v_div_scale_f32 v94, s3, 1.0, v90, 1.0
	s_mov_b32 vcc_lo, s3
	s_delay_alu instid0(VALU_DEP_2) | instskip(NEXT) | instid1(VALU_DEP_2)
	v_cndmask_b32_e64 v82, v93, v82, s2
	v_mul_f32_e32 v96, v94, v92
	s_mov_b32 s2, exec_lo
	s_delay_alu instid0(VALU_DEP_2) | instskip(NEXT) | instid1(VALU_DEP_2)
	v_cndmask_b32_e64 v82, v82, v89, s4
	v_fma_f32 v98, -v91, v96, v94
	s_delay_alu instid0(VALU_DEP_1) | instskip(NEXT) | instid1(VALU_DEP_1)
	v_fmac_f32_e32 v96, v98, v92
	v_fma_f32 v91, -v91, v96, v94
	s_delay_alu instid0(VALU_DEP_1) | instskip(NEXT) | instid1(VALU_DEP_1)
	v_div_fmas_f32 v91, v91, v92, v96
	v_div_fixup_f32 v90, v91, v90, 1.0
	s_delay_alu instid0(VALU_DEP_1) | instskip(NEXT) | instid1(VALU_DEP_1)
	v_mul_f32_e32 v82, v82, v90
	v_mul_f32_e32 v87, v82, v87
	v_mul_f32_e32 v90, v82, v80
	v_mul_f32_e32 v80, v82, v88
	v_mul_f32_e32 v84, v82, v84
	v_mul_f32_e32 v88, v82, v86
	v_mul_f32_e32 v89, v82, v85
	v_dual_mul_f32 v86, v82, v83 :: v_dual_and_b32 v91, 0x7f800000, v90
	v_mul_f32_e32 v85, v82, v76
                                        ; implicit-def: $vgpr76
	s_delay_alu instid0(VALU_DEP_2)
	v_cmpx_ne_u32_e32 0x7f800000, v91
	s_xor_b32 s2, exec_lo, s2
; %bb.13:
	v_bfe_u32 v76, v90, 16, 1
	s_delay_alu instid0(VALU_DEP_1)
	v_add3_u32 v76, v90, v76, 0x7fff
                                        ; implicit-def: $vgpr90
; %bb.14:
	s_and_not1_saveexec_b32 s2, s2
; %bb.15:
	v_and_b32_e32 v76, 0xffff, v90
	v_or_b32_e32 v83, 0x10000, v90
	s_delay_alu instid0(VALU_DEP_2) | instskip(NEXT) | instid1(VALU_DEP_2)
	v_cmp_eq_u32_e32 vcc_lo, 0, v76
	v_cndmask_b32_e32 v76, v83, v90, vcc_lo
; %bb.16:
	s_or_b32 exec_lo, exec_lo, s2
	v_and_b32_e32 v83, 0x7f800000, v85
	s_delay_alu instid0(VALU_DEP_1) | instskip(SKIP_1) | instid1(SALU_CYCLE_1)
	v_cmp_ne_u32_e32 vcc_lo, 0x7f800000, v83
                                        ; implicit-def: $vgpr83
	s_and_saveexec_b32 s2, vcc_lo
	s_xor_b32 s2, exec_lo, s2
; %bb.17:
	v_bfe_u32 v83, v85, 16, 1
	s_delay_alu instid0(VALU_DEP_1)
	v_add3_u32 v83, v85, v83, 0x7fff
                                        ; implicit-def: $vgpr85
; %bb.18:
	s_and_not1_saveexec_b32 s2, s2
; %bb.19:
	v_and_b32_e32 v83, 0xffff, v85
	v_or_b32_e32 v90, 0x10000, v85
	s_delay_alu instid0(VALU_DEP_2) | instskip(NEXT) | instid1(VALU_DEP_2)
	v_cmp_eq_u32_e32 vcc_lo, 0, v83
	v_cndmask_b32_e32 v83, v90, v85, vcc_lo
; %bb.20:
	s_or_b32 exec_lo, exec_lo, s2
	v_and_b32_e32 v85, 0x7f800000, v86
	s_delay_alu instid0(VALU_DEP_1) | instskip(SKIP_1) | instid1(SALU_CYCLE_1)
	v_cmp_ne_u32_e32 vcc_lo, 0x7f800000, v85
                                        ; implicit-def: $vgpr85
	s_and_saveexec_b32 s2, vcc_lo
	s_xor_b32 s2, exec_lo, s2
; %bb.21:
	v_bfe_u32 v85, v86, 16, 1
	s_delay_alu instid0(VALU_DEP_1)
	v_add3_u32 v85, v86, v85, 0x7fff
                                        ; implicit-def: $vgpr86
; %bb.22:
	s_and_not1_saveexec_b32 s2, s2
; %bb.23:
	v_and_b32_e32 v85, 0xffff, v86
	v_or_b32_e32 v90, 0x10000, v86
	s_delay_alu instid0(VALU_DEP_2) | instskip(NEXT) | instid1(VALU_DEP_2)
	v_cmp_eq_u32_e32 vcc_lo, 0, v85
	v_cndmask_b32_e32 v85, v90, v86, vcc_lo
; %bb.24:
	s_or_b32 exec_lo, exec_lo, s2
	v_and_b32_e32 v86, 0x7f800000, v89
	s_delay_alu instid0(VALU_DEP_1) | instskip(SKIP_1) | instid1(SALU_CYCLE_1)
	v_cmp_ne_u32_e32 vcc_lo, 0x7f800000, v86
                                        ; implicit-def: $vgpr86
	s_and_saveexec_b32 s2, vcc_lo
	s_xor_b32 s2, exec_lo, s2
; %bb.25:
	v_bfe_u32 v86, v89, 16, 1
	s_delay_alu instid0(VALU_DEP_1)
	v_add3_u32 v86, v89, v86, 0x7fff
                                        ; implicit-def: $vgpr89
; %bb.26:
	s_and_not1_saveexec_b32 s2, s2
; %bb.27:
	v_and_b32_e32 v86, 0xffff, v89
	v_or_b32_e32 v90, 0x10000, v89
	s_delay_alu instid0(VALU_DEP_2) | instskip(NEXT) | instid1(VALU_DEP_2)
	v_cmp_eq_u32_e32 vcc_lo, 0, v86
	v_cndmask_b32_e32 v86, v90, v89, vcc_lo
; %bb.28:
	s_or_b32 exec_lo, exec_lo, s2
	v_and_b32_e32 v89, 0x7f800000, v88
	s_delay_alu instid0(VALU_DEP_1) | instskip(SKIP_1) | instid1(SALU_CYCLE_1)
	v_cmp_ne_u32_e32 vcc_lo, 0x7f800000, v89
                                        ; implicit-def: $vgpr89
	s_and_saveexec_b32 s2, vcc_lo
	s_xor_b32 s2, exec_lo, s2
; %bb.29:
	v_bfe_u32 v89, v88, 16, 1
	s_delay_alu instid0(VALU_DEP_1)
	v_add3_u32 v89, v88, v89, 0x7fff
                                        ; implicit-def: $vgpr88
; %bb.30:
	s_and_not1_saveexec_b32 s2, s2
; %bb.31:
	v_and_b32_e32 v89, 0xffff, v88
	v_or_b32_e32 v90, 0x10000, v88
	s_delay_alu instid0(VALU_DEP_2) | instskip(NEXT) | instid1(VALU_DEP_2)
	v_cmp_eq_u32_e32 vcc_lo, 0, v89
	v_cndmask_b32_e32 v89, v90, v88, vcc_lo
; %bb.32:
	s_or_b32 exec_lo, exec_lo, s2
	v_and_b32_e32 v88, 0x7f800000, v87
	s_delay_alu instid0(VALU_DEP_1) | instskip(SKIP_1) | instid1(SALU_CYCLE_1)
	v_cmp_ne_u32_e32 vcc_lo, 0x7f800000, v88
                                        ; implicit-def: $vgpr88
	s_and_saveexec_b32 s2, vcc_lo
	s_xor_b32 s2, exec_lo, s2
; %bb.33:
	v_bfe_u32 v88, v87, 16, 1
	s_delay_alu instid0(VALU_DEP_1)
	v_add3_u32 v88, v87, v88, 0x7fff
                                        ; implicit-def: $vgpr87
; %bb.34:
	s_and_not1_saveexec_b32 s2, s2
; %bb.35:
	v_and_b32_e32 v88, 0xffff, v87
	v_or_b32_e32 v90, 0x10000, v87
	s_delay_alu instid0(VALU_DEP_2) | instskip(NEXT) | instid1(VALU_DEP_2)
	v_cmp_eq_u32_e32 vcc_lo, 0, v88
	v_cndmask_b32_e32 v88, v90, v87, vcc_lo
; %bb.36:
	s_or_b32 exec_lo, exec_lo, s2
	v_and_b32_e32 v87, 0x7f800000, v84
	s_delay_alu instid0(VALU_DEP_1) | instskip(SKIP_1) | instid1(SALU_CYCLE_1)
	v_cmp_ne_u32_e32 vcc_lo, 0x7f800000, v87
                                        ; implicit-def: $vgpr87
	s_and_saveexec_b32 s2, vcc_lo
	s_xor_b32 s2, exec_lo, s2
; %bb.37:
	v_bfe_u32 v87, v84, 16, 1
	s_delay_alu instid0(VALU_DEP_1)
	v_add3_u32 v87, v84, v87, 0x7fff
                                        ; implicit-def: $vgpr84
; %bb.38:
	s_and_not1_saveexec_b32 s2, s2
; %bb.39:
	v_and_b32_e32 v87, 0xffff, v84
	v_or_b32_e32 v90, 0x10000, v84
	s_delay_alu instid0(VALU_DEP_2) | instskip(NEXT) | instid1(VALU_DEP_2)
	v_cmp_eq_u32_e32 vcc_lo, 0, v87
	v_cndmask_b32_e32 v87, v90, v84, vcc_lo
; %bb.40:
	s_or_b32 exec_lo, exec_lo, s2
	v_and_b32_e32 v84, 0x7f800000, v80
	s_delay_alu instid0(VALU_DEP_1) | instskip(SKIP_1) | instid1(SALU_CYCLE_1)
	v_cmp_ne_u32_e32 vcc_lo, 0x7f800000, v84
                                        ; implicit-def: $vgpr84
	s_and_saveexec_b32 s2, vcc_lo
	s_xor_b32 s2, exec_lo, s2
; %bb.41:
	v_bfe_u32 v84, v80, 16, 1
	s_delay_alu instid0(VALU_DEP_1)
	v_add3_u32 v84, v80, v84, 0x7fff
                                        ; implicit-def: $vgpr80
; %bb.42:
	s_and_not1_saveexec_b32 s2, s2
; %bb.43:
	v_and_b32_e32 v84, 0xffff, v80
	v_or_b32_e32 v90, 0x10000, v80
	s_delay_alu instid0(VALU_DEP_2) | instskip(NEXT) | instid1(VALU_DEP_2)
	v_cmp_eq_u32_e32 vcc_lo, 0, v84
	v_cndmask_b32_e32 v84, v90, v80, vcc_lo
; %bb.44:
	s_or_b32 exec_lo, exec_lo, s2
	s_load_b64 s[34:35], s[0:1], 0x94
	v_lshlrev_b32_e32 v91, 4, v74
	s_delay_alu instid0(VALU_DEP_2)
	v_perm_b32 v90, v84, v87, 0x7060302
	v_dual_mul_f32 v79, v82, v79 :: v_dual_lshlrev_b32 v80, 6, v65
	v_dual_mul_f32 v77, v82, v77 :: v_dual_lshlrev_b32 v92, 11, v66
	v_mul_f32_e32 v84, v82, v70
	v_perm_b32 v89, v88, v89, 0x7060302
	v_perm_b32 v88, v86, v85, 0x7060302
	v_perm_b32 v87, v83, v76, 0x7060302
	v_mul_f32_e32 v70, v82, v81
	v_or3_b32 v76, v91, v92, v80
	v_dual_mul_f32 v78, v82, v78 :: v_dual_and_b32 v85, 0x7f800000, v84
	v_mul_f32_e32 v83, v82, v72
	v_mul_f32_e32 v81, v82, v71
	;; [unrolled: 1-line block ×3, first 2 shown]
	s_mov_b32 s2, exec_lo
	ds_store_b128 v76, v[87:90]
                                        ; implicit-def: $vgpr69
	v_cmpx_ne_u32_e32 0x7f800000, v85
	s_xor_b32 s2, exec_lo, s2
; %bb.45:
	v_bfe_u32 v69, v84, 16, 1
	s_delay_alu instid0(VALU_DEP_1)
	v_add3_u32 v69, v84, v69, 0x7fff
                                        ; implicit-def: $vgpr84
; %bb.46:
	s_and_not1_saveexec_b32 s2, s2
; %bb.47:
	v_and_b32_e32 v69, 0xffff, v84
	v_or_b32_e32 v71, 0x10000, v84
	s_delay_alu instid0(VALU_DEP_2) | instskip(NEXT) | instid1(VALU_DEP_2)
	v_cmp_eq_u32_e32 vcc_lo, 0, v69
	v_cndmask_b32_e32 v69, v71, v84, vcc_lo
; %bb.48:
	s_or_b32 exec_lo, exec_lo, s2
	v_and_b32_e32 v71, 0x7f800000, v72
	s_delay_alu instid0(VALU_DEP_1) | instskip(SKIP_1) | instid1(SALU_CYCLE_1)
	v_cmp_ne_u32_e32 vcc_lo, 0x7f800000, v71
                                        ; implicit-def: $vgpr71
	s_and_saveexec_b32 s2, vcc_lo
	s_xor_b32 s2, exec_lo, s2
; %bb.49:
	v_bfe_u32 v71, v72, 16, 1
	s_delay_alu instid0(VALU_DEP_1)
	v_add3_u32 v71, v72, v71, 0x7fff
                                        ; implicit-def: $vgpr72
; %bb.50:
	s_and_not1_saveexec_b32 s2, s2
; %bb.51:
	v_and_b32_e32 v71, 0xffff, v72
	v_or_b32_e32 v82, 0x10000, v72
	s_delay_alu instid0(VALU_DEP_2) | instskip(NEXT) | instid1(VALU_DEP_2)
	v_cmp_eq_u32_e32 vcc_lo, 0, v71
	v_cndmask_b32_e32 v71, v82, v72, vcc_lo
; %bb.52:
	s_or_b32 exec_lo, exec_lo, s2
	v_and_b32_e32 v72, 0x7f800000, v81
	s_delay_alu instid0(VALU_DEP_1) | instskip(SKIP_1) | instid1(SALU_CYCLE_1)
	v_cmp_ne_u32_e32 vcc_lo, 0x7f800000, v72
                                        ; implicit-def: $vgpr72
	s_and_saveexec_b32 s2, vcc_lo
	s_xor_b32 s2, exec_lo, s2
; %bb.53:
	v_bfe_u32 v72, v81, 16, 1
	s_delay_alu instid0(VALU_DEP_1)
	v_add3_u32 v72, v81, v72, 0x7fff
                                        ; implicit-def: $vgpr81
; %bb.54:
	s_and_not1_saveexec_b32 s2, s2
; %bb.55:
	v_and_b32_e32 v72, 0xffff, v81
	v_or_b32_e32 v82, 0x10000, v81
	s_delay_alu instid0(VALU_DEP_2) | instskip(NEXT) | instid1(VALU_DEP_2)
	v_cmp_eq_u32_e32 vcc_lo, 0, v72
	v_cndmask_b32_e32 v72, v82, v81, vcc_lo
; %bb.56:
	s_or_b32 exec_lo, exec_lo, s2
	v_and_b32_e32 v81, 0x7f800000, v83
	s_delay_alu instid0(VALU_DEP_1) | instskip(SKIP_1) | instid1(SALU_CYCLE_1)
	v_cmp_ne_u32_e32 vcc_lo, 0x7f800000, v81
                                        ; implicit-def: $vgpr81
	s_and_saveexec_b32 s2, vcc_lo
	s_xor_b32 s2, exec_lo, s2
; %bb.57:
	v_bfe_u32 v81, v83, 16, 1
	s_delay_alu instid0(VALU_DEP_1)
	v_add3_u32 v81, v83, v81, 0x7fff
                                        ; implicit-def: $vgpr83
; %bb.58:
	s_and_not1_saveexec_b32 s2, s2
; %bb.59:
	v_and_b32_e32 v81, 0xffff, v83
	v_or_b32_e32 v82, 0x10000, v83
	s_delay_alu instid0(VALU_DEP_2) | instskip(NEXT) | instid1(VALU_DEP_2)
	v_cmp_eq_u32_e32 vcc_lo, 0, v81
	v_cndmask_b32_e32 v81, v82, v83, vcc_lo
; %bb.60:
	s_or_b32 exec_lo, exec_lo, s2
	v_and_b32_e32 v82, 0x7f800000, v77
	s_delay_alu instid0(VALU_DEP_1) | instskip(SKIP_1) | instid1(SALU_CYCLE_1)
	v_cmp_ne_u32_e32 vcc_lo, 0x7f800000, v82
                                        ; implicit-def: $vgpr82
	s_and_saveexec_b32 s2, vcc_lo
	s_xor_b32 s2, exec_lo, s2
; %bb.61:
	v_bfe_u32 v82, v77, 16, 1
	s_delay_alu instid0(VALU_DEP_1)
	v_add3_u32 v82, v77, v82, 0x7fff
                                        ; implicit-def: $vgpr77
; %bb.62:
	s_and_not1_saveexec_b32 s2, s2
; %bb.63:
	v_and_b32_e32 v82, 0xffff, v77
	v_or_b32_e32 v83, 0x10000, v77
	s_delay_alu instid0(VALU_DEP_2) | instskip(NEXT) | instid1(VALU_DEP_2)
	v_cmp_eq_u32_e32 vcc_lo, 0, v82
	v_cndmask_b32_e32 v82, v83, v77, vcc_lo
; %bb.64:
	s_or_b32 exec_lo, exec_lo, s2
	v_and_b32_e32 v77, 0x7f800000, v78
	s_delay_alu instid0(VALU_DEP_1) | instskip(SKIP_1) | instid1(SALU_CYCLE_1)
	v_cmp_ne_u32_e32 vcc_lo, 0x7f800000, v77
                                        ; implicit-def: $vgpr77
	s_and_saveexec_b32 s2, vcc_lo
	s_xor_b32 s2, exec_lo, s2
; %bb.65:
	v_bfe_u32 v77, v78, 16, 1
	s_delay_alu instid0(VALU_DEP_1)
	v_add3_u32 v77, v78, v77, 0x7fff
                                        ; implicit-def: $vgpr78
; %bb.66:
	s_and_not1_saveexec_b32 s2, s2
; %bb.67:
	v_and_b32_e32 v77, 0xffff, v78
	v_or_b32_e32 v83, 0x10000, v78
	s_delay_alu instid0(VALU_DEP_2) | instskip(NEXT) | instid1(VALU_DEP_2)
	v_cmp_eq_u32_e32 vcc_lo, 0, v77
	v_cndmask_b32_e32 v77, v83, v78, vcc_lo
; %bb.68:
	s_or_b32 exec_lo, exec_lo, s2
	v_and_b32_e32 v78, 0x7f800000, v79
	s_delay_alu instid0(VALU_DEP_1) | instskip(SKIP_1) | instid1(SALU_CYCLE_1)
	v_cmp_ne_u32_e32 vcc_lo, 0x7f800000, v78
                                        ; implicit-def: $vgpr78
	s_and_saveexec_b32 s2, vcc_lo
	s_xor_b32 s2, exec_lo, s2
; %bb.69:
	v_bfe_u32 v78, v79, 16, 1
	s_delay_alu instid0(VALU_DEP_1)
	v_add3_u32 v78, v79, v78, 0x7fff
                                        ; implicit-def: $vgpr79
; %bb.70:
	s_and_not1_saveexec_b32 s2, s2
; %bb.71:
	v_and_b32_e32 v78, 0xffff, v79
	v_or_b32_e32 v83, 0x10000, v79
	s_delay_alu instid0(VALU_DEP_2) | instskip(NEXT) | instid1(VALU_DEP_2)
	v_cmp_eq_u32_e32 vcc_lo, 0, v78
	v_cndmask_b32_e32 v78, v83, v79, vcc_lo
; %bb.72:
	s_or_b32 exec_lo, exec_lo, s2
	v_and_b32_e32 v79, 0x7f800000, v70
	s_delay_alu instid0(VALU_DEP_1) | instskip(SKIP_1) | instid1(SALU_CYCLE_1)
	v_cmp_ne_u32_e32 vcc_lo, 0x7f800000, v79
                                        ; implicit-def: $vgpr79
	s_and_saveexec_b32 s2, vcc_lo
	s_xor_b32 s2, exec_lo, s2
; %bb.73:
	v_bfe_u32 v79, v70, 16, 1
	s_delay_alu instid0(VALU_DEP_1)
	v_add3_u32 v79, v70, v79, 0x7fff
                                        ; implicit-def: $vgpr70
; %bb.74:
	s_and_not1_saveexec_b32 s2, s2
; %bb.75:
	v_and_b32_e32 v79, 0xffff, v70
	v_or_b32_e32 v83, 0x10000, v70
	s_delay_alu instid0(VALU_DEP_2) | instskip(NEXT) | instid1(VALU_DEP_2)
	v_cmp_eq_u32_e32 vcc_lo, 0, v79
	v_cndmask_b32_e32 v79, v83, v70, vcc_lo
; %bb.76:
	s_or_b32 exec_lo, exec_lo, s2
	s_delay_alu instid0(VALU_DEP_1)
	v_perm_b32 v86, v79, v78, 0x7060302
	v_perm_b32 v85, v77, v82, 0x7060302
	;; [unrolled: 1-line block ×4, first 2 shown]
	v_lshl_or_b32 v82, v66, 11, v80
	ds_store_b128 v76, v[83:86] offset:1024
	s_waitcnt lgkmcnt(0)
	s_barrier
	buffer_gl0_inv
	ds_load_b128 v[69:72], v82
	ds_load_b128 v[83:86], v82 offset:16
	s_waitcnt lgkmcnt(1)
	v_lshrrev_b32_e32 v66, 16, v69
	s_waitcnt lgkmcnt(0)
	v_lshrrev_b32_e32 v91, 16, v83
	v_lshlrev_b32_e32 v78, 2, v74
	v_lshrrev_b32_e32 v95, 16, v70
	v_lshrrev_b32_e32 v98, 16, v84
	;; [unrolled: 1-line block ×4, first 2 shown]
	v_cmp_eq_u32_e32 vcc_lo, 1, v78
	v_lshrrev_b32_e32 v97, 16, v72
	v_lshrrev_b32_e32 v100, 16, v86
	v_cndmask_b32_e32 v87, v83, v91, vcc_lo
	v_or_b32_e32 v79, 1, v78
	v_cndmask_b32_e32 v81, v69, v66, vcc_lo
	v_cmp_eq_u32_e64 s3, 2, v78
	v_cmp_eq_u32_e64 s6, 3, v78
	;; [unrolled: 1-line block ×5, first 2 shown]
	v_cndmask_b32_e64 v81, v81, v70, s3
	v_cndmask_b32_e64 v87, v87, v84, s3
	v_cmp_eq_u32_e64 s7, 3, v79
	v_cndmask_b32_e64 v88, v69, v66, s2
	v_or_b32_e32 v77, 2, v78
	v_cndmask_b32_e64 v81, v81, v95, s6
	v_cndmask_b32_e64 v87, v87, v98, s6
	;; [unrolled: 1-line block ×4, first 2 shown]
	v_cmp_eq_u32_e64 s9, 5, v78
	v_cndmask_b32_e64 v81, v81, v71, s8
	v_cndmask_b32_e64 v87, v87, v85, s8
	v_cmp_eq_u32_e64 s10, 4, v79
	v_cndmask_b32_e64 v88, v88, v95, s7
	v_cmp_eq_u32_e64 s4, 1, v77
	v_cndmask_b32_e64 v89, v89, v84, s5
	v_cndmask_b32_e64 v81, v81, v96, s9
	v_cmp_eq_u32_e64 s11, 6, v78
	v_cndmask_b32_e64 v88, v88, v71, s10
	;; [unrolled: 3-line block ×3, first 2 shown]
	v_cndmask_b32_e64 v89, v89, v98, s7
	v_cndmask_b32_e64 v81, v81, v72, s11
	v_cmp_eq_u32_e64 s13, 7, v78
	v_cndmask_b32_e64 v88, v88, v96, s12
	v_cndmask_b32_e64 v87, v87, v86, s11
	v_cmp_eq_u32_e64 s15, 6, v79
	v_cmp_eq_u32_e64 s16, 2, v77
	v_cndmask_b32_e64 v89, v89, v85, s10
	v_cndmask_b32_e64 v101, v81, v97, s13
	v_cndmask_b32_e64 v102, v87, v100, s13
	v_cndmask_b32_e64 v88, v88, v72, s15
	v_cndmask_b32_e64 v81, v90, v70, s16
	v_cndmask_b32_e64 v87, v83, v91, s4
	v_cmp_eq_u32_e64 s17, 7, v79
	v_cmp_eq_u32_e64 s18, 3, v77
	;; [unrolled: 1-line block ×4, first 2 shown]
	v_cndmask_b32_e64 v87, v87, v84, s16
	v_cndmask_b32_e64 v103, v88, v97, s17
	;; [unrolled: 1-line block ×4, first 2 shown]
	v_or_b32_e32 v81, 3, v78
	v_cndmask_b32_e64 v93, v87, v98, s18
	v_cmp_eq_u32_e64 s23, 6, v77
	v_cndmask_b32_e64 v104, v88, v86, s15
	v_cndmask_b32_e64 v92, v89, v71, s19
	v_cmp_eq_u32_e64 s20, 1, v81
	ds_load_b128 v[87:90], v82 offset:1024
	v_cmp_eq_u32_e64 s22, 2, v81
	v_cmp_eq_u32_e64 s24, 3, v81
	v_cndmask_b32_e64 v105, v92, v96, s21
	v_cndmask_b32_e64 v66, v69, v66, s20
	;; [unrolled: 1-line block ×4, first 2 shown]
	ds_load_b128 v[91:94], v82 offset:1040
	v_cmp_eq_u32_e64 s25, 4, v81
	v_cndmask_b32_e64 v66, v66, v70, s22
	v_cmp_eq_u32_e64 s26, 7, v77
	v_cndmask_b32_e64 v70, v83, v84, s22
	v_cndmask_b32_e64 v84, v105, v72, s23
	v_cmp_eq_u32_e64 s27, 5, v81
	v_cndmask_b32_e64 v66, v66, v95, s24
	v_cmp_eq_u32_e64 s28, 6, v81
	v_cndmask_b32_e64 v70, v70, v98, s24
	v_cndmask_b32_e64 v69, v69, v99, s21
	v_cndmask_b32_e64 v83, v104, v100, s17
	v_cndmask_b32_e64 v66, v66, v71, s25
	s_waitcnt lgkmcnt(1)
	v_lshrrev_b32_e32 v95, 16, v87
	v_cndmask_b32_e64 v70, v70, v85, s25
	v_cndmask_b32_e64 v71, v84, v97, s26
	;; [unrolled: 1-line block ×4, first 2 shown]
	v_cndmask_b32_e32 v84, v87, v95, vcc_lo
	v_cndmask_b32_e64 v70, v70, v99, s27
	s_waitcnt lgkmcnt(0)
	v_lshrrev_b32_e32 v85, 16, v91
	v_lshrrev_b32_e32 v96, 16, v88
	v_cndmask_b32_e64 v98, v87, v95, s2
	v_cndmask_b32_e64 v84, v84, v88, s3
	;; [unrolled: 1-line block ×3, first 2 shown]
	v_cndmask_b32_e32 v99, v91, v85, vcc_lo
	v_cmp_eq_u32_e32 vcc_lo, 7, v81
	v_cndmask_b32_e64 v66, v66, v72, s28
	v_cndmask_b32_e64 v72, v84, v96, s6
	v_cndmask_b32_e64 v84, v98, v88, s5
	v_lshrrev_b32_e32 v98, 16, v92
	v_cndmask_b32_e32 v70, v70, v100, vcc_lo
	v_cndmask_b32_e64 v86, v99, v92, s3
	v_cndmask_b32_e64 v69, v69, v100, s26
	v_lshrrev_b32_e32 v100, 16, v93
	v_cndmask_b32_e64 v72, v72, v89, s8
	v_lshrrev_b32_e32 v99, 16, v89
	v_cndmask_b32_e64 v86, v86, v98, s6
	v_perm_b32 v71, v69, v71, 0x5040100
	v_cndmask_b32_e64 v84, v84, v96, s7
	s_delay_alu instid0(VALU_DEP_3) | instskip(NEXT) | instid1(VALU_DEP_2)
	v_cndmask_b32_e64 v86, v86, v93, s8
	v_cndmask_b32_e64 v84, v84, v89, s10
	s_delay_alu instid0(VALU_DEP_2) | instskip(NEXT) | instid1(VALU_DEP_1)
	v_cndmask_b32_e64 v86, v86, v100, s9
	v_cndmask_b32_e64 v69, v86, v94, s11
	;; [unrolled: 1-line block ×5, first 2 shown]
	s_delay_alu instid0(VALU_DEP_3) | instskip(NEXT) | instid1(VALU_DEP_3)
	v_cndmask_b32_e64 v86, v86, v88, s16
	v_cndmask_b32_e64 v87, v87, v88, s22
	s_delay_alu instid0(VALU_DEP_3) | instskip(NEXT) | instid1(VALU_DEP_3)
	v_cndmask_b32_e64 v88, v95, v92, s22
	v_cndmask_b32_e64 v86, v86, v96, s18
	;; [unrolled: 3-line block ×7, first 2 shown]
	s_delay_alu instid0(VALU_DEP_3) | instskip(SKIP_2) | instid1(VALU_DEP_2)
	v_cndmask_b32_e64 v88, v88, v94, s28
	v_cndmask_b32_e32 v66, v66, v97, vcc_lo
	v_cndmask_b32_e64 v97, v72, v99, s9
	v_perm_b32 v72, v70, v66, 0x5040100
	v_perm_b32 v70, v83, v103, 0x5040100
	v_cndmask_b32_e64 v103, v91, v85, s4
	v_cndmask_b32_e64 v85, v91, v85, s2
	;; [unrolled: 1-line block ×4, first 2 shown]
	v_lshrrev_b32_e32 v97, 16, v90
	v_cndmask_b32_e64 v91, v103, v92, s16
	v_cndmask_b32_e64 v85, v85, v92, s5
	;; [unrolled: 1-line block ×3, first 2 shown]
	s_mov_b32 s2, exec_lo
	v_cndmask_b32_e64 v83, v84, v97, s13
	v_cndmask_b32_e64 v91, v91, v98, s18
	;; [unrolled: 1-line block ×3, first 2 shown]
	v_lshrrev_b32_e32 v84, 16, v94
	v_cndmask_b32_e64 v66, v66, v97, s17
	v_cndmask_b32_e64 v90, v86, v97, s26
	;; [unrolled: 1-line block ×4, first 2 shown]
	v_dual_cndmask_b32 v86, v87, v97 :: v_dual_cndmask_b32 v87, v88, v84
	v_cndmask_b32_e64 v91, v69, v84, s13
	s_delay_alu instid0(VALU_DEP_4) | instskip(NEXT) | instid1(VALU_DEP_4)
	v_cndmask_b32_e64 v89, v89, v100, s21
	v_cndmask_b32_e64 v85, v85, v100, s12
	v_perm_b32 v69, v102, v101, 0x5040100
	v_perm_b32 v86, v87, v86, 0x5040100
	;; [unrolled: 1-line block ×3, first 2 shown]
	v_cndmask_b32_e64 v89, v89, v94, s23
	v_cndmask_b32_e64 v85, v85, v94, s15
	s_mul_i32 s7, s35, 6
	s_delay_alu instid0(VALU_DEP_2) | instskip(NEXT) | instid1(VALU_DEP_2)
	v_cndmask_b32_e64 v88, v89, v84, s26
	v_cndmask_b32_e64 v89, v85, v84, s17
	s_delay_alu instid0(VALU_DEP_2) | instskip(NEXT) | instid1(VALU_DEP_2)
	v_perm_b32 v85, v88, v90, 0x5040100
	v_perm_b32 v84, v89, v66, 0x5040100
	ds_store_b128 v76, v[69:72]
	ds_store_b128 v76, v[83:86] offset:1024
	v_cmpx_gt_u32_e32 6, v0
	s_cbranch_execz .LBB1551_78
; %bb.77:
	s_mul_i32 s3, s7, s30
	s_load_b128 s[8:11], s[0:1], 0x58
	v_add3_u32 v69, s3, s29, v65
	s_delay_alu instid0(VALU_DEP_1) | instskip(NEXT) | instid1(VALU_DEP_1)
	v_mad_u64_u32 v[65:66], null, v69, s34, s[14:15]
	v_ashrrev_i32_e32 v66, 31, v65
	s_delay_alu instid0(VALU_DEP_1) | instskip(SKIP_1) | instid1(VALU_DEP_1)
	v_lshlrev_b64 v[65:66], 2, v[65:66]
	s_waitcnt lgkmcnt(0)
	v_add_co_u32 v69, vcc_lo, s10, v65
	s_delay_alu instid0(VALU_DEP_2)
	v_add_co_ci_u32_e32 v70, vcc_lo, s11, v66, vcc_lo
	v_add_co_u32 v65, vcc_lo, s8, v65
	v_add_co_ci_u32_e32 v66, vcc_lo, s9, v66, vcc_lo
	global_store_b32 v[69:70], v67, off
	global_store_b32 v[65:66], v68, off
.LBB1551_78:
	s_or_b32 exec_lo, exec_lo, s2
	s_waitcnt lgkmcnt(0)
	s_waitcnt_vscnt null, 0x0
	s_barrier
	buffer_gl0_inv
	ds_load_b128 v[83:86], v80
	ds_load_b128 v[87:90], v80 offset:16
	ds_load_b128 v[95:98], v80 offset:2064
	;; [unrolled: 1-line block ×3, first 2 shown]
	v_mov_b32_e32 v65, 0
	ds_load_b128 v[103:106], v80 offset:4112
	ds_load_b128 v[99:102], v80 offset:4096
	;; [unrolled: 1-line block ×4, first 2 shown]
	v_mov_b32_e32 v66, v65
	v_mov_b32_e32 v67, v65
	;; [unrolled: 1-line block ×7, first 2 shown]
	s_waitcnt lgkmcnt(6)
	s_delay_alu instid0(VALU_DEP_1)
	v_wmma_f32_16x16x16_bf16 v[65:72], v[41:48], v[83:90], v[65:72]
	ds_load_b128 v[45:48], v80 offset:8208
	ds_load_b128 v[41:44], v80 offset:8192
	s_waitcnt lgkmcnt(6)
	v_wmma_f32_16x16x16_bf16 v[65:72], v[33:40], v[91:98], v[65:72]
	ds_load_b128 v[37:40], v80 offset:10256
	ds_load_b128 v[33:36], v80 offset:10240
	s_waitcnt lgkmcnt(6)
	;; [unrolled: 4-line block ×4, first 2 shown]
	v_wmma_f32_16x16x16_bf16 v[65:72], v[1:8], v[41:48], v[65:72]
	s_waitcnt lgkmcnt(4)
	s_delay_alu instid0(VALU_DEP_1) | instskip(SKIP_1) | instid1(VALU_DEP_1)
	v_wmma_f32_16x16x16_bf16 v[65:72], v[9:16], v[33:40], v[65:72]
	s_waitcnt lgkmcnt(2)
	v_wmma_f32_16x16x16_bf16 v[65:72], v[57:64], v[25:32], v[65:72]
	s_waitcnt lgkmcnt(0)
	s_delay_alu instid0(VALU_DEP_1) | instskip(NEXT) | instid1(VALU_DEP_1)
	v_wmma_f32_16x16x16_bf16 v[65:72], v[49:56], v[17:24], v[65:72]
	v_and_b32_e32 v1, 0x7f800000, v65
	s_delay_alu instid0(VALU_DEP_1) | instskip(SKIP_1) | instid1(SALU_CYCLE_1)
	v_cmp_ne_u32_e32 vcc_lo, 0x7f800000, v1
                                        ; implicit-def: $vgpr1
	s_and_saveexec_b32 s2, vcc_lo
	s_xor_b32 s2, exec_lo, s2
; %bb.79:
	v_bfe_u32 v1, v65, 16, 1
	s_delay_alu instid0(VALU_DEP_1)
	v_add3_u32 v1, v65, v1, 0x7fff
; %bb.80:
	s_and_not1_saveexec_b32 s2, s2
; %bb.81:
	v_and_b32_e32 v1, 0xffff, v65
	v_or_b32_e32 v2, 0x10000, v65
	s_delay_alu instid0(VALU_DEP_2) | instskip(NEXT) | instid1(VALU_DEP_2)
	v_cmp_eq_u32_e32 vcc_lo, 0, v1
	v_cndmask_b32_e32 v1, v2, v65, vcc_lo
; %bb.82:
	s_or_b32 exec_lo, exec_lo, s2
	v_and_b32_e32 v2, 0x7f800000, v66
	s_delay_alu instid0(VALU_DEP_1) | instskip(SKIP_1) | instid1(SALU_CYCLE_1)
	v_cmp_ne_u32_e32 vcc_lo, 0x7f800000, v2
                                        ; implicit-def: $vgpr2
	s_and_saveexec_b32 s2, vcc_lo
	s_xor_b32 s2, exec_lo, s2
; %bb.83:
	v_bfe_u32 v2, v66, 16, 1
	s_delay_alu instid0(VALU_DEP_1)
	v_add3_u32 v2, v66, v2, 0x7fff
; %bb.84:
	s_and_not1_saveexec_b32 s2, s2
; %bb.85:
	v_and_b32_e32 v2, 0xffff, v66
	v_or_b32_e32 v3, 0x10000, v66
	s_delay_alu instid0(VALU_DEP_2) | instskip(NEXT) | instid1(VALU_DEP_2)
	v_cmp_eq_u32_e32 vcc_lo, 0, v2
	v_cndmask_b32_e32 v2, v3, v66, vcc_lo
; %bb.86:
	s_or_b32 exec_lo, exec_lo, s2
	v_and_b32_e32 v3, 0x7f800000, v67
	s_delay_alu instid0(VALU_DEP_1) | instskip(SKIP_1) | instid1(SALU_CYCLE_1)
	v_cmp_ne_u32_e32 vcc_lo, 0x7f800000, v3
                                        ; implicit-def: $vgpr3
	s_and_saveexec_b32 s2, vcc_lo
	s_xor_b32 s2, exec_lo, s2
; %bb.87:
	v_bfe_u32 v3, v67, 16, 1
	s_delay_alu instid0(VALU_DEP_1)
	v_add3_u32 v3, v67, v3, 0x7fff
; %bb.88:
	s_and_not1_saveexec_b32 s2, s2
; %bb.89:
	v_and_b32_e32 v3, 0xffff, v67
	v_or_b32_e32 v4, 0x10000, v67
	s_delay_alu instid0(VALU_DEP_2) | instskip(NEXT) | instid1(VALU_DEP_2)
	v_cmp_eq_u32_e32 vcc_lo, 0, v3
	v_cndmask_b32_e32 v3, v4, v67, vcc_lo
; %bb.90:
	s_or_b32 exec_lo, exec_lo, s2
	v_and_b32_e32 v4, 0x7f800000, v68
	s_delay_alu instid0(VALU_DEP_1) | instskip(SKIP_1) | instid1(SALU_CYCLE_1)
	v_cmp_ne_u32_e32 vcc_lo, 0x7f800000, v4
                                        ; implicit-def: $vgpr4
	s_and_saveexec_b32 s2, vcc_lo
	s_xor_b32 s2, exec_lo, s2
; %bb.91:
	v_bfe_u32 v4, v68, 16, 1
	s_delay_alu instid0(VALU_DEP_1)
	v_add3_u32 v4, v68, v4, 0x7fff
; %bb.92:
	s_and_not1_saveexec_b32 s2, s2
; %bb.93:
	v_and_b32_e32 v4, 0xffff, v68
	v_or_b32_e32 v5, 0x10000, v68
	s_delay_alu instid0(VALU_DEP_2) | instskip(NEXT) | instid1(VALU_DEP_2)
	v_cmp_eq_u32_e32 vcc_lo, 0, v4
	v_cndmask_b32_e32 v4, v5, v68, vcc_lo
; %bb.94:
	s_or_b32 exec_lo, exec_lo, s2
	v_and_b32_e32 v5, 0x7f800000, v69
	s_delay_alu instid0(VALU_DEP_1) | instskip(SKIP_1) | instid1(SALU_CYCLE_1)
	v_cmp_ne_u32_e32 vcc_lo, 0x7f800000, v5
                                        ; implicit-def: $vgpr5
	s_and_saveexec_b32 s2, vcc_lo
	s_xor_b32 s2, exec_lo, s2
; %bb.95:
	v_bfe_u32 v5, v69, 16, 1
	s_delay_alu instid0(VALU_DEP_1)
	v_add3_u32 v5, v69, v5, 0x7fff
; %bb.96:
	s_and_not1_saveexec_b32 s2, s2
; %bb.97:
	v_and_b32_e32 v5, 0xffff, v69
	v_or_b32_e32 v6, 0x10000, v69
	s_delay_alu instid0(VALU_DEP_2) | instskip(NEXT) | instid1(VALU_DEP_2)
	v_cmp_eq_u32_e32 vcc_lo, 0, v5
	v_cndmask_b32_e32 v5, v6, v69, vcc_lo
; %bb.98:
	s_or_b32 exec_lo, exec_lo, s2
	v_and_b32_e32 v6, 0x7f800000, v70
	s_delay_alu instid0(VALU_DEP_1) | instskip(SKIP_1) | instid1(SALU_CYCLE_1)
	v_cmp_ne_u32_e32 vcc_lo, 0x7f800000, v6
                                        ; implicit-def: $vgpr6
	s_and_saveexec_b32 s2, vcc_lo
	s_xor_b32 s2, exec_lo, s2
; %bb.99:
	v_bfe_u32 v6, v70, 16, 1
	s_delay_alu instid0(VALU_DEP_1)
	v_add3_u32 v6, v70, v6, 0x7fff
; %bb.100:
	s_and_not1_saveexec_b32 s2, s2
; %bb.101:
	v_and_b32_e32 v6, 0xffff, v70
	v_or_b32_e32 v7, 0x10000, v70
	s_delay_alu instid0(VALU_DEP_2) | instskip(NEXT) | instid1(VALU_DEP_2)
	v_cmp_eq_u32_e32 vcc_lo, 0, v6
	v_cndmask_b32_e32 v6, v7, v70, vcc_lo
; %bb.102:
	s_or_b32 exec_lo, exec_lo, s2
	v_and_b32_e32 v7, 0x7f800000, v71
	s_delay_alu instid0(VALU_DEP_1) | instskip(SKIP_1) | instid1(SALU_CYCLE_1)
	v_cmp_ne_u32_e32 vcc_lo, 0x7f800000, v7
                                        ; implicit-def: $vgpr7
	s_and_saveexec_b32 s2, vcc_lo
	s_xor_b32 s2, exec_lo, s2
; %bb.103:
	v_bfe_u32 v7, v71, 16, 1
	s_delay_alu instid0(VALU_DEP_1)
	v_add3_u32 v7, v71, v7, 0x7fff
; %bb.104:
	s_and_not1_saveexec_b32 s2, s2
; %bb.105:
	v_and_b32_e32 v7, 0xffff, v71
	v_or_b32_e32 v8, 0x10000, v71
	s_delay_alu instid0(VALU_DEP_2) | instskip(NEXT) | instid1(VALU_DEP_2)
	v_cmp_eq_u32_e32 vcc_lo, 0, v7
	v_cndmask_b32_e32 v7, v8, v71, vcc_lo
; %bb.106:
	s_or_b32 exec_lo, exec_lo, s2
	v_and_b32_e32 v8, 0x7f800000, v72
	s_delay_alu instid0(VALU_DEP_1) | instskip(SKIP_1) | instid1(SALU_CYCLE_1)
	v_cmp_ne_u32_e32 vcc_lo, 0x7f800000, v8
                                        ; implicit-def: $vgpr8
	s_and_saveexec_b32 s2, vcc_lo
	s_xor_b32 s2, exec_lo, s2
; %bb.107:
	v_bfe_u32 v8, v72, 16, 1
	s_delay_alu instid0(VALU_DEP_1)
	v_add3_u32 v8, v72, v8, 0x7fff
                                        ; implicit-def: $vgpr65_vgpr66_vgpr67_vgpr68_vgpr69_vgpr70_vgpr71_vgpr72
; %bb.108:
	s_and_not1_saveexec_b32 s2, s2
; %bb.109:
	v_and_b32_e32 v8, 0xffff, v72
	v_or_b32_e32 v9, 0x10000, v72
	s_delay_alu instid0(VALU_DEP_2) | instskip(NEXT) | instid1(VALU_DEP_2)
	v_cmp_eq_u32_e32 vcc_lo, 0, v8
	v_cndmask_b32_e32 v8, v9, v72, vcc_lo
; %bb.110:
	s_or_b32 exec_lo, exec_lo, s2
	s_delay_alu instid0(VALU_DEP_1)
	v_perm_b32 v7, v8, v7, 0x7060302
	v_perm_b32 v6, v6, v5, 0x7060302
	v_perm_b32 v5, v4, v3, 0x7060302
	v_perm_b32 v4, v2, v1, 0x7060302
	s_barrier
	buffer_gl0_inv
	v_cmp_eq_u32_e32 vcc_lo, 1, v78
	ds_store_b128 v76, v[4:7]
	s_waitcnt lgkmcnt(0)
	s_barrier
	buffer_gl0_inv
	ds_load_b128 v[1:4], v82
	ds_load_b128 v[5:8], v82 offset:16
	v_cmp_eq_u32_e64 s2, 1, v79
	v_cmp_eq_u32_e64 s3, 2, v78
	;; [unrolled: 1-line block ×5, first 2 shown]
	s_waitcnt lgkmcnt(1)
	v_lshrrev_b32_e32 v9, 16, v1
	s_waitcnt lgkmcnt(0)
	v_lshrrev_b32_e32 v13, 16, v5
	v_lshrrev_b32_e32 v10, 16, v2
	;; [unrolled: 1-line block ×4, first 2 shown]
	v_cndmask_b32_e64 v19, v1, v9, s2
	v_cndmask_b32_e32 v18, v5, v13, vcc_lo
	v_cndmask_b32_e64 v20, v5, v13, s2
	v_cndmask_b32_e32 v17, v1, v9, vcc_lo
	v_cmp_eq_u32_e32 vcc_lo, 2, v79
	v_lshrrev_b32_e32 v15, 16, v7
	v_cmp_eq_u32_e64 s2, 1, v77
	v_lshrrev_b32_e32 v12, 16, v4
	v_lshrrev_b32_e32 v16, 16, v8
	v_cndmask_b32_e32 v20, v20, v6, vcc_lo
	v_cndmask_b32_e64 v17, v17, v2, s3
	v_cndmask_b32_e32 v19, v19, v2, vcc_lo
	v_cndmask_b32_e64 v18, v18, v6, s3
	v_cmp_eq_u32_e32 vcc_lo, 4, v78
	v_cmp_eq_u32_e64 s3, 3, v79
	v_cndmask_b32_e64 v17, v17, v10, s4
	v_cndmask_b32_e64 v21, v1, v9, s2
	;; [unrolled: 1-line block ×5, first 2 shown]
	v_cndmask_b32_e32 v17, v17, v3, vcc_lo
	v_cndmask_b32_e64 v20, v20, v14, s3
	v_cndmask_b32_e32 v18, v18, v7, vcc_lo
	v_cmp_eq_u32_e32 vcc_lo, 4, v79
	v_cmp_eq_u32_e64 s3, 5, v79
	v_cmp_eq_u32_e64 s2, 2, v81
	v_cndmask_b32_e64 v21, v21, v2, s6
	v_cmp_eq_u32_e64 s4, 5, v78
	v_cndmask_b32_e32 v19, v19, v3, vcc_lo
	v_cndmask_b32_e32 v20, v20, v7, vcc_lo
	v_cmp_eq_u32_e32 vcc_lo, 6, v79
	s_delay_alu instid0(VALU_DEP_4) | instskip(NEXT) | instid1(VALU_DEP_4)
	v_cndmask_b32_e64 v17, v17, v11, s4
	v_cndmask_b32_e64 v19, v19, v11, s3
	s_delay_alu instid0(VALU_DEP_4) | instskip(SKIP_1) | instid1(VALU_DEP_3)
	v_cndmask_b32_e64 v20, v20, v15, s3
	v_cmp_eq_u32_e64 s3, 1, v81
	v_cndmask_b32_e32 v19, v19, v4, vcc_lo
	v_cndmask_b32_e64 v18, v18, v15, s4
	s_delay_alu instid0(VALU_DEP_3)
	v_cndmask_b32_e64 v1, v1, v9, s3
	v_cndmask_b32_e64 v5, v5, v13, s3
	v_cmp_eq_u32_e64 s3, 3, v77
	v_cndmask_b32_e64 v13, v22, v6, s6
	v_cmp_eq_u32_e64 s6, 3, v81
	v_cndmask_b32_e64 v1, v1, v2, s2
	v_cndmask_b32_e64 v2, v5, v6, s2
	;; [unrolled: 1-line block ×3, first 2 shown]
	v_cmp_eq_u32_e64 s2, 4, v77
	v_cndmask_b32_e64 v6, v13, v14, s3
	v_cndmask_b32_e64 v1, v1, v10, s6
	v_cmp_eq_u32_e64 s3, 4, v81
	v_cndmask_b32_e64 v2, v2, v14, s6
	v_cndmask_b32_e64 v5, v9, v3, s2
	;; [unrolled: 3-line block ×3, first 2 shown]
	v_cndmask_b32_e64 v2, v2, v7, s3
	v_cmp_eq_u32_e64 s2, 5, v81
	v_cmp_eq_u32_e64 s4, 6, v78
	v_cndmask_b32_e64 v5, v5, v11, s6
	v_cmp_eq_u32_e64 s3, 6, v77
	v_cndmask_b32_e64 v3, v6, v15, s6
	v_cndmask_b32_e64 v1, v1, v11, s2
	v_cmp_eq_u32_e64 s6, 6, v81
	v_cndmask_b32_e64 v2, v2, v15, s2
	v_cndmask_b32_e64 v17, v17, v4, s4
	v_cndmask_b32_e64 v18, v18, v8, s4
	v_cmp_eq_u32_e64 s4, 7, v78
	v_cndmask_b32_e64 v5, v5, v4, s3
	v_cndmask_b32_e64 v3, v3, v8, s3
	v_cndmask_b32_e64 v1, v1, v4, s6
	v_cmp_eq_u32_e64 s2, 7, v81
	v_cndmask_b32_e64 v2, v2, v8, s6
	v_cmp_eq_u32_e64 s3, 7, v77
	v_cndmask_b32_e32 v4, v20, v8, vcc_lo
	v_cndmask_b32_e64 v17, v17, v12, s4
	v_cndmask_b32_e64 v19, v19, v12, s5
	;; [unrolled: 1-line block ×8, first 2 shown]
	s_mov_b32 s2, exec_lo
	v_perm_b32 v4, v2, v1, 0x5040100
	v_perm_b32 v3, v3, v5, 0x5040100
	;; [unrolled: 1-line block ×4, first 2 shown]
	ds_store_b128 v76, v[1:4]
	s_waitcnt lgkmcnt(0)
	s_barrier
	buffer_gl0_inv
	v_cmpx_gt_u32_e32 32, v0
	s_cbranch_execz .LBB1551_2
; %bb.111:
	s_load_b64 s[0:1], s[0:1], 0x68
	s_lshl_b32 s4, s34, 7
	v_or_b32_e32 v3, s29, v74
	s_mul_i32 s2, s4, s30
	v_lshlrev_b32_e32 v0, 10, v0
	s_mul_i32 s2, s2, s7
	v_lshlrev_b32_e32 v1, 4, v75
	s_ashr_i32 s3, s2, 31
	v_mul_lo_u32 v12, v3, s4
	s_lshl_b64 s[2:3], s[2:3], 1
	v_lshlrev_b32_e32 v2, 6, v74
	v_and_b32_e32 v0, 0x3800, v0
	s_delay_alu instid0(VALU_DEP_1) | instskip(NEXT) | instid1(VALU_DEP_4)
	v_or3_b32 v8, v0, v1, v2
	v_ashrrev_i32_e32 v13, 31, v12
	ds_load_b128 v[0:3], v8
	ds_load_b128 v[4:7], v8 offset:128
	ds_load_b128 v[8:11], v8 offset:256
	s_waitcnt lgkmcnt(0)
	s_add_u32 s2, s0, s2
	s_addc_u32 s3, s1, s3
	s_lshl_b32 s0, s14, 7
	s_delay_alu instid0(SALU_CYCLE_1) | instskip(NEXT) | instid1(SALU_CYCLE_1)
	s_ashr_i32 s1, s0, 31
	s_lshl_b64 s[0:1], s[0:1], 1
	s_delay_alu instid0(SALU_CYCLE_1)
	s_add_u32 s0, s2, s0
	s_addc_u32 s1, s3, s1
	s_lshl_b32 s2, s34, 8
	v_add_co_u32 v18, s0, s0, v73
	v_add_nc_u32_e32 v14, s2, v12
	v_lshlrev_b64 v[12:13], 1, v[12:13]
	v_add_co_ci_u32_e64 v19, null, s1, 0, s0
	s_delay_alu instid0(VALU_DEP_3) | instskip(SKIP_1) | instid1(VALU_DEP_4)
	v_add_nc_u32_e32 v16, s2, v14
	v_ashrrev_i32_e32 v15, 31, v14
	v_add_co_u32 v12, vcc_lo, v18, v12
	s_delay_alu instid0(VALU_DEP_4) | instskip(NEXT) | instid1(VALU_DEP_4)
	v_add_co_ci_u32_e32 v13, vcc_lo, v19, v13, vcc_lo
	v_ashrrev_i32_e32 v17, 31, v16
	s_delay_alu instid0(VALU_DEP_4) | instskip(NEXT) | instid1(VALU_DEP_2)
	v_lshlrev_b64 v[14:15], 1, v[14:15]
	v_lshlrev_b64 v[16:17], 1, v[16:17]
	s_delay_alu instid0(VALU_DEP_2) | instskip(NEXT) | instid1(VALU_DEP_3)
	v_add_co_u32 v14, vcc_lo, v18, v14
	v_add_co_ci_u32_e32 v15, vcc_lo, v19, v15, vcc_lo
	s_delay_alu instid0(VALU_DEP_3) | instskip(NEXT) | instid1(VALU_DEP_4)
	v_add_co_u32 v16, vcc_lo, v18, v16
	v_add_co_ci_u32_e32 v17, vcc_lo, v19, v17, vcc_lo
	s_clause 0x2
	global_store_b128 v[12:13], v[0:3], off
	global_store_b128 v[14:15], v[4:7], off
	;; [unrolled: 1-line block ×3, first 2 shown]
	s_nop 0
	s_sendmsg sendmsg(MSG_DEALLOC_VGPRS)
	s_endpgm
	.section	.rodata,"a",@progbits
	.p2align	6, 0x0
	.amdhsa_kernel _Z39paged_attention_ll4mi_QKV_mfma16_kernelI14__hip_bfloat16hLN4vllm18Fp8KVCacheDataTypeE1ES0_Li16ELi128ELi256ELb1ELi6EL8MFMAType1EEvPKT_PKT0_S9_ifPKiSB_SB_iPKfiiiPfSE_PS4_PT2_iSD_SD_
		.amdhsa_group_segment_fixed_size 17472
		.amdhsa_private_segment_fixed_size 0
		.amdhsa_kernarg_size 400
		.amdhsa_user_sgpr_count 13
		.amdhsa_user_sgpr_dispatch_ptr 0
		.amdhsa_user_sgpr_queue_ptr 0
		.amdhsa_user_sgpr_kernarg_segment_ptr 1
		.amdhsa_user_sgpr_dispatch_id 0
		.amdhsa_user_sgpr_private_segment_size 0
		.amdhsa_wavefront_size32 1
		.amdhsa_uses_dynamic_stack 0
		.amdhsa_enable_private_segment 0
		.amdhsa_system_sgpr_workgroup_id_x 1
		.amdhsa_system_sgpr_workgroup_id_y 1
		.amdhsa_system_sgpr_workgroup_id_z 1
		.amdhsa_system_sgpr_workgroup_info 0
		.amdhsa_system_vgpr_workitem_id 0
		.amdhsa_next_free_vgpr 140
		.amdhsa_next_free_sgpr 36
		.amdhsa_reserve_vcc 1
		.amdhsa_float_round_mode_32 0
		.amdhsa_float_round_mode_16_64 0
		.amdhsa_float_denorm_mode_32 3
		.amdhsa_float_denorm_mode_16_64 3
		.amdhsa_dx10_clamp 1
		.amdhsa_ieee_mode 1
		.amdhsa_fp16_overflow 0
		.amdhsa_workgroup_processor_mode 1
		.amdhsa_memory_ordered 1
		.amdhsa_forward_progress 0
		.amdhsa_shared_vgpr_count 0
		.amdhsa_exception_fp_ieee_invalid_op 0
		.amdhsa_exception_fp_denorm_src 0
		.amdhsa_exception_fp_ieee_div_zero 0
		.amdhsa_exception_fp_ieee_overflow 0
		.amdhsa_exception_fp_ieee_underflow 0
		.amdhsa_exception_fp_ieee_inexact 0
		.amdhsa_exception_int_div_zero 0
	.end_amdhsa_kernel
	.section	.text._Z39paged_attention_ll4mi_QKV_mfma16_kernelI14__hip_bfloat16hLN4vllm18Fp8KVCacheDataTypeE1ES0_Li16ELi128ELi256ELb1ELi6EL8MFMAType1EEvPKT_PKT0_S9_ifPKiSB_SB_iPKfiiiPfSE_PS4_PT2_iSD_SD_,"axG",@progbits,_Z39paged_attention_ll4mi_QKV_mfma16_kernelI14__hip_bfloat16hLN4vllm18Fp8KVCacheDataTypeE1ES0_Li16ELi128ELi256ELb1ELi6EL8MFMAType1EEvPKT_PKT0_S9_ifPKiSB_SB_iPKfiiiPfSE_PS4_PT2_iSD_SD_,comdat
.Lfunc_end1551:
	.size	_Z39paged_attention_ll4mi_QKV_mfma16_kernelI14__hip_bfloat16hLN4vllm18Fp8KVCacheDataTypeE1ES0_Li16ELi128ELi256ELb1ELi6EL8MFMAType1EEvPKT_PKT0_S9_ifPKiSB_SB_iPKfiiiPfSE_PS4_PT2_iSD_SD_, .Lfunc_end1551-_Z39paged_attention_ll4mi_QKV_mfma16_kernelI14__hip_bfloat16hLN4vllm18Fp8KVCacheDataTypeE1ES0_Li16ELi128ELi256ELb1ELi6EL8MFMAType1EEvPKT_PKT0_S9_ifPKiSB_SB_iPKfiiiPfSE_PS4_PT2_iSD_SD_
                                        ; -- End function
	.section	.AMDGPU.csdata,"",@progbits
; Kernel info:
; codeLenInByte = 8884
; NumSgprs: 38
; NumVgprs: 140
; ScratchSize: 0
; MemoryBound: 0
; FloatMode: 240
; IeeeMode: 1
; LDSByteSize: 17472 bytes/workgroup (compile time only)
; SGPRBlocks: 4
; VGPRBlocks: 17
; NumSGPRsForWavesPerEU: 38
; NumVGPRsForWavesPerEU: 140
; Occupancy: 10
; WaveLimiterHint : 1
; COMPUTE_PGM_RSRC2:SCRATCH_EN: 0
; COMPUTE_PGM_RSRC2:USER_SGPR: 13
; COMPUTE_PGM_RSRC2:TRAP_HANDLER: 0
; COMPUTE_PGM_RSRC2:TGID_X_EN: 1
; COMPUTE_PGM_RSRC2:TGID_Y_EN: 1
; COMPUTE_PGM_RSRC2:TGID_Z_EN: 1
; COMPUTE_PGM_RSRC2:TIDIG_COMP_CNT: 0
	.section	.text._Z39paged_attention_ll4mi_QKV_mfma16_kernelI14__hip_bfloat16hLN4vllm18Fp8KVCacheDataTypeE1ES0_Li16ELi128ELi256ELb1ELi7EL8MFMAType1EEvPKT_PKT0_S9_ifPKiSB_SB_iPKfiiiPfSE_PS4_PT2_iSD_SD_,"axG",@progbits,_Z39paged_attention_ll4mi_QKV_mfma16_kernelI14__hip_bfloat16hLN4vllm18Fp8KVCacheDataTypeE1ES0_Li16ELi128ELi256ELb1ELi7EL8MFMAType1EEvPKT_PKT0_S9_ifPKiSB_SB_iPKfiiiPfSE_PS4_PT2_iSD_SD_,comdat
	.protected	_Z39paged_attention_ll4mi_QKV_mfma16_kernelI14__hip_bfloat16hLN4vllm18Fp8KVCacheDataTypeE1ES0_Li16ELi128ELi256ELb1ELi7EL8MFMAType1EEvPKT_PKT0_S9_ifPKiSB_SB_iPKfiiiPfSE_PS4_PT2_iSD_SD_ ; -- Begin function _Z39paged_attention_ll4mi_QKV_mfma16_kernelI14__hip_bfloat16hLN4vllm18Fp8KVCacheDataTypeE1ES0_Li16ELi128ELi256ELb1ELi7EL8MFMAType1EEvPKT_PKT0_S9_ifPKiSB_SB_iPKfiiiPfSE_PS4_PT2_iSD_SD_
	.globl	_Z39paged_attention_ll4mi_QKV_mfma16_kernelI14__hip_bfloat16hLN4vllm18Fp8KVCacheDataTypeE1ES0_Li16ELi128ELi256ELb1ELi7EL8MFMAType1EEvPKT_PKT0_S9_ifPKiSB_SB_iPKfiiiPfSE_PS4_PT2_iSD_SD_
	.p2align	8
	.type	_Z39paged_attention_ll4mi_QKV_mfma16_kernelI14__hip_bfloat16hLN4vllm18Fp8KVCacheDataTypeE1ES0_Li16ELi128ELi256ELb1ELi7EL8MFMAType1EEvPKT_PKT0_S9_ifPKiSB_SB_iPKfiiiPfSE_PS4_PT2_iSD_SD_,@function
_Z39paged_attention_ll4mi_QKV_mfma16_kernelI14__hip_bfloat16hLN4vllm18Fp8KVCacheDataTypeE1ES0_Li16ELi128ELi256ELb1ELi7EL8MFMAType1EEvPKT_PKT0_S9_ifPKiSB_SB_iPKfiiiPfSE_PS4_PT2_iSD_SD_: ; @_Z39paged_attention_ll4mi_QKV_mfma16_kernelI14__hip_bfloat16hLN4vllm18Fp8KVCacheDataTypeE1ES0_Li16ELi128ELi256ELb1ELi7EL8MFMAType1EEvPKT_PKT0_S9_ifPKiSB_SB_iPKfiiiPfSE_PS4_PT2_iSD_SD_
; %bb.0:
	s_load_b64 s[4:5], s[0:1], 0x30
	s_mov_b32 s30, s13
	s_waitcnt lgkmcnt(0)
	s_cmp_lg_u64 s[4:5], 0
	s_cselect_b32 s13, -1, 0
	s_ashr_i32 s31, s30, 31
	s_cmp_eq_u64 s[4:5], 0
	s_cbranch_scc1 .LBB1552_3
; %bb.1:
	s_lshl_b64 s[2:3], s[30:31], 2
	s_delay_alu instid0(SALU_CYCLE_1) | instskip(SKIP_4) | instid1(SALU_CYCLE_1)
	s_add_u32 s2, s4, s2
	s_addc_u32 s3, s5, s3
	s_load_b64 s[2:3], s[2:3], 0x0
	s_waitcnt lgkmcnt(0)
	s_sub_i32 s2, s3, s2
	s_cmp_eq_u32 s2, 1
	s_cselect_b32 s2, -1, 0
	s_delay_alu instid0(SALU_CYCLE_1)
	s_and_not1_b32 vcc_lo, exec_lo, s2
	s_cbranch_vccz .LBB1552_4
.LBB1552_2:
	s_nop 0
	s_sendmsg sendmsg(MSG_DEALLOC_VGPRS)
	s_endpgm
.LBB1552_3:
.LBB1552_4:
	s_load_b64 s[2:3], s[0:1], 0x28
	s_lshl_b64 s[6:7], s[30:31], 2
	s_waitcnt lgkmcnt(0)
	s_add_u32 s2, s2, s6
	s_addc_u32 s3, s3, s7
	s_lshl_b32 s12, s14, 8
	s_load_b32 s17, s[2:3], 0x0
	s_waitcnt lgkmcnt(0)
	s_cmp_ge_i32 s12, s17
	s_cbranch_scc1 .LBB1552_2
; %bb.5:
	s_clause 0x1
	s_load_b128 s[8:11], s[0:1], 0x8
	s_load_b64 s[2:3], s[0:1], 0x20
	s_and_not1_b32 vcc_lo, exec_lo, s13
	s_cbranch_vccnz .LBB1552_7
; %bb.6:
	s_add_u32 s4, s4, s6
	s_addc_u32 s5, s5, s7
	s_load_b32 s13, s[4:5], 0x0
	s_branch .LBB1552_8
.LBB1552_7:
	s_mov_b32 s13, s30
.LBB1552_8:
	s_load_b128 s[4:7], s[0:1], 0x48
	v_and_b32_e32 v65, 15, v0
	v_lshrrev_b32_e32 v66, 5, v0
	v_bfe_u32 v74, v0, 4, 1
	v_and_b32_e32 v67, 31, v0
	v_and_b32_e32 v75, 1, v0
	v_lshlrev_b32_e32 v2, 3, v65
	s_mul_i32 s31, s15, 7
	v_lshl_or_b32 v1, v66, 1, v74
	s_waitcnt lgkmcnt(0)
	s_mov_b32 s7, exec_lo
	v_lshlrev_b32_e32 v73, 1, v2
	s_delay_alu instid0(VALU_DEP_2)
	v_cmpx_gt_u32_e32 7, v1
	s_cbranch_execz .LBB1552_10
; %bb.9:
	s_load_b64 s[18:19], s[0:1], 0x0
	v_add_lshl_u32 v2, v1, s31, 7
	s_mul_hi_i32 s21, s13, s4
	s_mul_i32 s20, s13, s4
	v_lshlrev_b32_e32 v6, 10, v65
	s_lshl_b64 s[20:21], s[20:21], 1
	v_ashrrev_i32_e32 v3, 31, v2
	v_lshlrev_b32_e32 v1, 6, v1
	v_lshlrev_b32_e32 v7, 10, v75
	v_and_b32_e32 v6, 0x3800, v6
	s_delay_alu instid0(VALU_DEP_4) | instskip(NEXT) | instid1(VALU_DEP_2)
	v_lshlrev_b64 v[2:3], 1, v[2:3]
	v_or3_b32 v1, v6, v7, v1
	s_waitcnt lgkmcnt(0)
	s_add_u32 s4, s18, s20
	s_addc_u32 s13, s19, s21
	s_delay_alu instid0(VALU_DEP_2) | instskip(SKIP_1) | instid1(VALU_DEP_2)
	v_add_co_u32 v2, vcc_lo, s4, v2
	v_add_co_ci_u32_e32 v3, vcc_lo, s13, v3, vcc_lo
	v_add_co_u32 v2, vcc_lo, v2, v73
	s_delay_alu instid0(VALU_DEP_2)
	v_add_co_ci_u32_e32 v3, vcc_lo, 0, v3, vcc_lo
	global_load_b128 v[2:5], v[2:3], off
	s_waitcnt vmcnt(0)
	ds_store_b128 v1, v[2:5]
.LBB1552_10:
	s_or_b32 exec_lo, exec_lo, s7
	v_and_b32_e32 v1, 0xef, v0
	s_add_i32 s4, s17, 15
	s_clause 0x1
	s_load_b32 s7, s[0:1], 0x38
	s_load_b32 s18, s[0:1], 0x1c
	s_ashr_i32 s13, s4, 31
	v_add_nc_u32_e32 v2, s12, v1
	s_lshr_b32 s13, s13, 28
	s_waitcnt lgkmcnt(0)
	s_add_i32 s4, s4, s13
	s_barrier
	v_ashrrev_i32_e32 v1, 31, v2
	s_ashr_i32 s4, s4, 4
	v_cmp_gt_i32_e32 vcc_lo, s17, v2
	s_add_i32 s4, s4, -1
	buffer_gl0_inv
	v_lshrrev_b32_e32 v3, 28, v1
	v_or_b32_e32 v1, 16, v2
	s_mul_i32 s15, s15, s6
	s_delay_alu instid0(VALU_DEP_2) | instskip(SKIP_1) | instid1(SALU_CYCLE_1)
	v_add_nc_u32_e32 v4, v2, v3
	s_mul_i32 s20, s30, s7
	s_ashr_i32 s21, s20, 31
	s_delay_alu instid0(VALU_DEP_1) | instskip(SKIP_2) | instid1(SALU_CYCLE_1)
	v_ashrrev_i32_e32 v4, 4, v4
	v_add_nc_u32_e32 v3, v1, v3
	s_lshl_b64 s[20:21], s[20:21], 2
	s_add_u32 s2, s2, s20
	s_delay_alu instid0(VALU_DEP_2) | instskip(NEXT) | instid1(VALU_DEP_2)
	v_cndmask_b32_e32 v2, s4, v4, vcc_lo
	v_ashrrev_i32_e32 v3, 4, v3
	v_cmp_gt_i32_e32 vcc_lo, s17, v1
	s_addc_u32 s3, s3, s21
	s_ashr_i32 s6, s15, 31
	s_add_u32 s7, s8, s15
	s_addc_u32 s13, s9, s6
	v_cndmask_b32_e32 v4, s4, v3, vcc_lo
	v_ashrrev_i32_e32 v3, 31, v2
	s_lshl_b32 s8, s14, 4
	s_delay_alu instid0(SALU_CYCLE_1) | instskip(NEXT) | instid1(VALU_DEP_2)
	s_ashr_i32 s9, s8, 31
	v_ashrrev_i32_e32 v5, 31, v4
	s_delay_alu instid0(VALU_DEP_2) | instskip(SKIP_1) | instid1(SALU_CYCLE_1)
	v_lshlrev_b64 v[1:2], 2, v[2:3]
	s_lshl_b64 s[8:9], s[8:9], 2
	s_add_u32 s8, s2, s8
	s_delay_alu instid0(VALU_DEP_2) | instskip(SKIP_1) | instid1(VALU_DEP_2)
	v_lshlrev_b64 v[3:4], 2, v[4:5]
	s_addc_u32 s9, s3, s9
	v_add_co_u32 v1, vcc_lo, s2, v1
	v_add_co_ci_u32_e32 v2, vcc_lo, s3, v2, vcc_lo
	s_delay_alu instid0(VALU_DEP_3) | instskip(NEXT) | instid1(VALU_DEP_4)
	v_add_co_u32 v3, vcc_lo, s2, v3
	v_add_co_ci_u32_e32 v4, vcc_lo, s3, v4, vcc_lo
	s_clause 0x1
	global_load_b32 v5, v[1:2], off
	global_load_b32 v3, v[3:4], off
	v_lshlrev_b32_e32 v1, 4, v0
	s_or_b32 s16, s12, 32
	s_delay_alu instid0(SALU_CYCLE_1) | instskip(SKIP_1) | instid1(VALU_DEP_1)
	s_ashr_i32 s19, s16, 4
	s_cmp_lt_i32 s16, s17
	v_and_b32_e32 v1, 0xf0, v1
	s_cselect_b32 s20, s19, s4
	s_delay_alu instid0(SALU_CYCLE_1) | instskip(NEXT) | instid1(SALU_CYCLE_1)
	s_ashr_i32 s21, s20, 31
	s_lshl_b64 s[20:21], s[20:21], 2
	s_delay_alu instid0(VALU_DEP_1)
	v_add_co_u32 v1, s7, s7, v1
	s_add_u32 s20, s2, s20
	s_addc_u32 s21, s3, s21
	s_or_b32 s16, s12, 64
	v_add_co_ci_u32_e64 v2, null, s13, 0, s7
	s_ashr_i32 s19, s16, 4
	s_cmp_lt_i32 s16, s17
	s_cselect_b32 s22, s19, s4
	s_delay_alu instid0(SALU_CYCLE_1) | instskip(NEXT) | instid1(SALU_CYCLE_1)
	s_ashr_i32 s23, s22, 31
	s_lshl_b64 s[22:23], s[22:23], 2
	s_delay_alu instid0(SALU_CYCLE_1) | instskip(SKIP_2) | instid1(SALU_CYCLE_1)
	s_add_u32 s22, s2, s22
	s_addc_u32 s23, s3, s23
	s_or_b32 s16, s12, 0x60
	s_ashr_i32 s19, s16, 4
	s_cmp_lt_i32 s16, s17
	s_cselect_b32 s24, s19, s4
	s_delay_alu instid0(SALU_CYCLE_1) | instskip(NEXT) | instid1(SALU_CYCLE_1)
	s_ashr_i32 s25, s24, 31
	s_lshl_b64 s[24:25], s[24:25], 2
	s_delay_alu instid0(SALU_CYCLE_1) | instskip(SKIP_2) | instid1(SALU_CYCLE_1)
	s_add_u32 s24, s2, s24
	s_addc_u32 s25, s3, s25
	s_or_b32 s16, s12, 0x80
	;; [unrolled: 10-line block ×3, first 2 shown]
	s_ashr_i32 s19, s16, 4
	s_cmp_lt_i32 s16, s17
	s_cselect_b32 s28, s19, s4
	s_delay_alu instid0(SALU_CYCLE_1) | instskip(NEXT) | instid1(SALU_CYCLE_1)
	s_ashr_i32 s29, s28, 31
	s_lshl_b64 s[28:29], s[28:29], 2
	s_delay_alu instid0(SALU_CYCLE_1)
	s_add_u32 s28, s2, s28
	s_addc_u32 s29, s3, s29
	s_clause 0x5
	s_load_b32 s7, s[8:9], 0x0
	s_load_b32 s13, s[20:21], 0x0
	;; [unrolled: 1-line block ×6, first 2 shown]
	s_or_b32 s8, s12, 0xc0
	s_mov_b32 s20, 0
	s_ashr_i32 s9, s8, 4
	s_cmp_lt_i32 s8, s17
	s_mov_b32 s27, s20
	s_cselect_b32 s8, s9, s4
	s_mov_b32 s21, s20
	s_ashr_i32 s9, s8, 31
	s_mov_b32 s22, s20
	s_lshl_b64 s[8:9], s[8:9], 2
	s_mov_b32 s23, s20
	s_mov_b32 s24, s20
	;; [unrolled: 1-line block ×4, first 2 shown]
	v_dual_mov_b32 v107, s27 :: v_dual_mov_b32 v104, s24
	s_add_u32 s8, s2, s8
	v_dual_mov_b32 v106, s26 :: v_dual_mov_b32 v105, s25
	v_dual_mov_b32 v101, s21 :: v_dual_mov_b32 v100, s20
	s_addc_u32 s9, s3, s9
	v_dual_mov_b32 v103, s23 :: v_dual_mov_b32 v102, s22
	s_or_b32 s20, s12, 0xe0
	s_delay_alu instid0(SALU_CYCLE_1) | instskip(SKIP_2) | instid1(SALU_CYCLE_1)
	s_ashr_i32 s21, s20, 4
	s_cmp_lt_i32 s20, s17
	s_cselect_b32 s20, s21, s4
	s_ashr_i32 s21, s20, 31
	s_delay_alu instid0(SALU_CYCLE_1) | instskip(NEXT) | instid1(SALU_CYCLE_1)
	s_lshl_b64 s[20:21], s[20:21], 2
	s_add_u32 s2, s2, s20
	s_addc_u32 s3, s3, s21
	s_waitcnt vmcnt(1)
	v_mad_i64_i32 v[25:26], null, v5, s5, v[1:2]
	s_waitcnt vmcnt(0)
	v_mad_i64_i32 v[27:28], null, v3, s5, v[1:2]
	s_clause 0xf
	global_load_b128 v[1:4], v[25:26], off
	global_load_b128 v[5:8], v[25:26], off offset:256
	global_load_b128 v[9:12], v[27:28], off
	global_load_b128 v[13:16], v[27:28], off offset:256
	global_load_b128 v[17:20], v[25:26], off offset:512
	;; [unrolled: 1-line block ×13, first 2 shown]
	v_mul_lo_u16 v25, v65, 37
	v_lshlrev_b32_e32 v26, 4, v65
	s_delay_alu instid0(VALU_DEP_2) | instskip(NEXT) | instid1(VALU_DEP_2)
	v_lshrrev_b16 v25, 8, v25
	v_lshl_or_b32 v33, v66, 8, v26
	s_delay_alu instid0(VALU_DEP_2) | instskip(NEXT) | instid1(VALU_DEP_1)
	v_mul_lo_u16 v25, v25, 7
	v_sub_nc_u16 v25, v65, v25
	s_delay_alu instid0(VALU_DEP_1) | instskip(NEXT) | instid1(VALU_DEP_1)
	v_and_b32_e32 v25, 0xff, v25
	v_lshlrev_b32_e32 v72, 6, v25
	ds_load_b128 v[25:28], v72
	ds_load_b128 v[29:32], v72 offset:1024
	ds_load_b128 v[108:111], v72 offset:2048
	;; [unrolled: 1-line block ×3, first 2 shown]
	s_load_b32 s4, s[8:9], 0x0
	ds_load_b128 v[116:119], v72 offset:4096
	ds_load_b128 v[120:123], v72 offset:5120
	s_load_b32 s2, s[2:3], 0x0
	s_add_u32 s8, s10, s15
	s_addc_u32 s6, s11, s6
	v_add_co_u32 v68, s8, s8, v33
	s_delay_alu instid0(VALU_DEP_1) | instskip(SKIP_1) | instid1(VALU_DEP_1)
	v_add_co_ci_u32_e64 v69, null, s6, 0, s8
	s_waitcnt lgkmcnt(0)
	v_mad_i64_i32 v[33:34], null, s7, s5, v[68:69]
	v_mad_i64_i32 v[70:71], null, s16, s5, v[68:69]
	;; [unrolled: 1-line block ×7, first 2 shown]
	s_clause 0x3
	global_load_b128 v[41:44], v[33:34], off
	global_load_b128 v[45:48], v[33:34], off offset:16
	global_load_b128 v[33:36], v[37:38], off
	global_load_b128 v[37:40], v[37:38], off offset:16
	s_waitcnt vmcnt(18)
	v_wmma_f32_16x16x16_bf16 v[124:131], v[1:8], v[25:32], v[100:107]
	s_waitcnt vmcnt(16)
	v_wmma_f32_16x16x16_bf16 v[100:107], v[9:16], v[25:32], v[100:107]
	s_clause 0x1
	global_load_b128 v[25:28], v[70:71], off
	global_load_b128 v[29:32], v[70:71], off offset:16
	s_waitcnt vmcnt(16)
	v_wmma_f32_16x16x16_bf16 v[124:131], v[17:24], v[108:115], v[124:131]
	s_clause 0x1
	global_load_b128 v[17:20], v[132:133], off
	global_load_b128 v[21:24], v[132:133], off offset:16
	s_waitcnt vmcnt(16)
	v_wmma_f32_16x16x16_bf16 v[100:107], v[49:56], v[108:115], v[100:107]
	v_mad_i64_i32 v[53:54], null, s2, s5, v[68:69]
	s_clause 0x3
	global_load_b128 v[1:4], v[134:135], off
	global_load_b128 v[5:8], v[134:135], off offset:16
	global_load_b128 v[9:12], v[136:137], off
	global_load_b128 v[13:16], v[136:137], off offset:16
	s_waitcnt vmcnt(18)
	v_wmma_f32_16x16x16_bf16 v[124:131], v[57:64], v[116:123], v[124:131]
	s_clause 0x3
	global_load_b128 v[57:60], v[138:139], off
	global_load_b128 v[61:64], v[138:139], off offset:16
	global_load_b128 v[49:52], v[53:54], off
	global_load_b128 v[53:56], v[53:54], off offset:16
	v_mbcnt_lo_u32_b32 v69, -1, 0
	s_waitcnt vmcnt(20)
	v_wmma_f32_16x16x16_bf16 v[100:107], v[76:83], v[116:123], v[100:107]
	s_delay_alu instid0(VALU_DEP_2) | instskip(NEXT) | instid1(VALU_DEP_1)
	v_xor_b32_e32 v70, 16, v69
	v_cmp_gt_i32_e32 vcc_lo, 32, v70
	v_cndmask_b32_e32 v69, v69, v70, vcc_lo
	ds_load_b128 v[76:79], v72 offset:6144
	ds_load_b128 v[80:83], v72 offset:7168
	s_waitcnt vmcnt(0) lgkmcnt(0)
	s_barrier
	buffer_gl0_inv
	v_wmma_f32_16x16x16_bf16 v[124:131], v[84:91], v[76:83], v[124:131]
	v_and_b32_e32 v68, 0xe0, v0
	v_wmma_f32_16x16x16_bf16 v[100:107], v[92:99], v[76:83], v[100:107]
	s_delay_alu instid0(VALU_DEP_2) | instskip(NEXT) | instid1(VALU_DEP_4)
	v_dual_mul_f32 v79, s18, v127 :: v_dual_add_nc_u32 v68, s12, v68
	v_mul_f32_e32 v81, s18, v129
	v_dual_mul_f32 v78, s18, v125 :: v_dual_mul_f32 v83, s18, v131
	s_delay_alu instid0(VALU_DEP_4) | instskip(NEXT) | instid1(VALU_DEP_4)
	v_dual_mul_f32 v80, s18, v126 :: v_dual_mul_f32 v95, s18, v103
	v_or_b32_e32 v68, v68, v74
	v_dual_mul_f32 v93, s18, v101 :: v_dual_mul_f32 v82, s18, v128
	v_dual_mul_f32 v97, s18, v105 :: v_dual_mul_f32 v92, s18, v130
	v_mul_f32_e32 v99, s18, v107
	s_delay_alu instid0(VALU_DEP_4)
	v_or_b32_e32 v70, 2, v68
	v_or_b32_e32 v71, 4, v68
	;; [unrolled: 1-line block ×3, first 2 shown]
	v_cmp_gt_i32_e64 s2, s17, v68
	v_or_b32_e32 v108, 8, v68
	v_cmp_gt_i32_e32 vcc_lo, s17, v70
	v_mul_f32_e32 v70, s18, v124
	v_or_b32_e32 v109, 10, v68
	v_cmp_gt_i32_e64 s3, s17, v71
	v_cmp_gt_i32_e64 s4, s17, v72
	v_cndmask_b32_e32 v78, 0xff7fffff, v78, vcc_lo
	v_cndmask_b32_e64 v70, 0xff7fffff, v70, s2
	v_or_b32_e32 v84, 12, v68
	v_or_b32_e32 v85, 14, v68
	v_cndmask_b32_e64 v71, 0xff7fffff, v80, s3
	v_cndmask_b32_e64 v72, 0xff7fffff, v79, s4
	v_max3_f32 v70, v70, 0xff7fffff, v78
	v_cmp_gt_i32_e64 s5, s17, v108
	v_cmp_gt_i32_e64 s6, s17, v109
	v_or_b32_e32 v86, 16, v68
	v_or_b32_e32 v87, 18, v68
	v_max3_f32 v70, v70, v71, v72
	v_cndmask_b32_e64 v78, 0xff7fffff, v82, s5
	v_cndmask_b32_e64 v79, 0xff7fffff, v81, s6
	v_cmp_gt_i32_e64 s7, s17, v84
	v_cmp_gt_i32_e64 s8, s17, v85
	v_or_b32_e32 v88, 20, v68
	v_or_b32_e32 v89, 22, v68
	v_mul_f32_e32 v94, s18, v100
	v_cndmask_b32_e64 v71, 0xff7fffff, v92, s7
	v_cndmask_b32_e64 v72, 0xff7fffff, v83, s8
	v_max3_f32 v70, v70, v78, v79
	v_cmp_gt_i32_e64 s9, s17, v86
	v_cmp_gt_i32_e64 s10, s17, v87
	v_or_b32_e32 v90, 24, v68
	v_or_b32_e32 v91, 26, v68
	v_mul_f32_e32 v96, s18, v102
	v_max3_f32 v70, v70, v71, v72
	v_cndmask_b32_e64 v79, 0xff7fffff, v93, s10
	v_cmp_gt_i32_e64 s11, s17, v88
	v_cmp_gt_i32_e64 s12, s17, v89
	v_lshlrev_b32_e32 v89, 2, v69
	v_cndmask_b32_e64 v78, 0xff7fffff, v94, s9
	v_or_b32_e32 v76, 28, v68
	v_or_b32_e32 v77, 30, v68
	v_mul_f32_e32 v98, s18, v104
	v_cndmask_b32_e64 v71, 0xff7fffff, v96, s11
	v_cndmask_b32_e64 v72, 0xff7fffff, v95, s12
	v_max3_f32 v70, v70, v78, v79
	v_cmp_gt_i32_e64 s13, s17, v90
	v_cmp_gt_i32_e64 s15, s17, v91
	v_mul_f32_e32 v68, s18, v106
	v_cmp_gt_i32_e64 s16, s17, v76
	v_max3_f32 v70, v70, v71, v72
	v_cndmask_b32_e64 v78, 0xff7fffff, v98, s13
	v_cndmask_b32_e64 v79, 0xff7fffff, v97, s15
	v_cmp_gt_i32_e64 s17, s17, v77
	v_cndmask_b32_e64 v68, 0xff7fffff, v68, s16
	s_delay_alu instid0(VALU_DEP_3) | instskip(NEXT) | instid1(VALU_DEP_3)
	v_max3_f32 v70, v70, v78, v79
	v_cndmask_b32_e64 v71, 0xff7fffff, v99, s17
	s_delay_alu instid0(VALU_DEP_1) | instskip(SKIP_3) | instid1(VALU_DEP_1)
	v_max3_f32 v68, v70, v68, v71
	ds_bpermute_b32 v69, v89, v68
	s_waitcnt lgkmcnt(0)
	v_max_f32_e32 v69, v69, v69
	v_max_f32_e32 v68, v68, v69
	s_delay_alu instid0(VALU_DEP_1) | instskip(NEXT) | instid1(VALU_DEP_1)
	v_fma_f32 v76, s18, v128, -v68
	v_mul_f32_e32 v77, 0x3fb8aa3b, v76
	v_fma_f32 v71, s18, v126, -v68
	v_fma_f32 v69, s18, v124, -v68
	;; [unrolled: 1-line block ×4, first 2 shown]
	v_exp_f32_e32 v77, v77
	v_mul_f32_e32 v71, 0x3fb8aa3b, v71
	v_mul_f32_e32 v69, 0x3fb8aa3b, v69
	v_fma_f32 v81, s18, v105, -v68
	v_fma_f32 v78, s18, v130, -v68
	s_delay_alu instid0(VALU_DEP_4) | instskip(NEXT) | instid1(VALU_DEP_3)
	v_exp_f32_e32 v71, v71
	v_exp_f32_e32 v69, v69
	s_delay_alu instid0(VALU_DEP_2) | instskip(NEXT) | instid1(TRANS32_DEP_3)
	v_mul_f32_e32 v81, 0x3fb8aa3b, v81
	v_cndmask_b32_e64 v86, 0, v77, s5
	v_fma_f32 v77, s18, v101, -v68
	s_delay_alu instid0(VALU_DEP_3) | instskip(NEXT) | instid1(TRANS32_DEP_3)
	v_exp_f32_e32 v81, v81
	v_cndmask_b32_e64 v83, 0, v71, s3
	v_fma_f32 v71, s18, v131, -v68
	v_mul_f32_e32 v72, 0x3fb8aa3b, v72
	s_delay_alu instid0(TRANS32_DEP_2) | instskip(SKIP_1) | instid1(VALU_DEP_4)
	v_cndmask_b32_e64 v80, 0, v69, s2
	v_fma_f32 v69, s18, v129, -v68
	v_dual_mul_f32 v70, 0x3fb8aa3b, v70 :: v_dual_mul_f32 v71, 0x3fb8aa3b, v71
	s_delay_alu instid0(VALU_DEP_4) | instskip(SKIP_1) | instid1(VALU_DEP_3)
	v_exp_f32_e32 v72, v72
	v_mul_f32_e32 v77, 0x3fb8aa3b, v77
	v_mul_f32_e32 v69, 0x3fb8aa3b, v69
	s_delay_alu instid0(VALU_DEP_3)
	v_exp_f32_e32 v70, v70
	v_exp_f32_e32 v71, v71
	v_cmp_gt_u32_e64 s2, 16, v67
	v_exp_f32_e32 v77, v77
	v_exp_f32_e32 v69, v69
	v_cndmask_b32_e64 v85, 0, v72, s4
	v_fma_f32 v72, s18, v100, -v68
	v_cndmask_b32_e32 v76, 0, v70, vcc_lo
	s_delay_alu instid0(TRANS32_DEP_3) | instskip(SKIP_2) | instid1(TRANS32_DEP_1)
	v_cndmask_b32_e64 v88, 0, v71, s8
	v_fma_f32 v71, s18, v104, -v68
	v_add_f32_e32 v70, 0, v80
	v_cndmask_b32_e64 v87, 0, v69, s6
	s_delay_alu instid0(VALU_DEP_2) | instskip(NEXT) | instid1(VALU_DEP_1)
	v_dual_mul_f32 v71, 0x3fb8aa3b, v71 :: v_dual_add_f32 v70, v70, v76
	v_exp_f32_e32 v82, v71
	s_delay_alu instid0(VALU_DEP_1) | instskip(NEXT) | instid1(VALU_DEP_1)
	v_add_f32_e32 v70, v70, v83
	v_add_f32_e32 v70, v70, v85
	s_delay_alu instid0(VALU_DEP_1) | instskip(SKIP_1) | instid1(VALU_DEP_2)
	v_dual_mul_f32 v72, 0x3fb8aa3b, v72 :: v_dual_add_f32 v69, v70, v86
	v_fma_f32 v70, s18, v102, -v68
	v_exp_f32_e32 v72, v72
	s_delay_alu instid0(VALU_DEP_2) | instskip(NEXT) | instid1(VALU_DEP_2)
	v_dual_add_f32 v69, v69, v87 :: v_dual_mul_f32 v78, 0x3fb8aa3b, v78
	v_mul_f32_e32 v70, 0x3fb8aa3b, v70
	s_delay_alu instid0(VALU_DEP_2) | instskip(NEXT) | instid1(VALU_DEP_1)
	v_exp_f32_e32 v78, v78
	v_exp_f32_e32 v79, v70
	s_delay_alu instid0(TRANS32_DEP_3) | instskip(SKIP_4) | instid1(VALU_DEP_3)
	v_cndmask_b32_e64 v70, 0, v72, s9
	s_waitcnt_depctr 0xfff
	v_cndmask_b32_e64 v84, 0, v78, s7
	v_fma_f32 v78, s18, v103, -v68
	v_cndmask_b32_e64 v71, 0, v79, s11
	v_add_f32_e32 v69, v69, v84
	s_delay_alu instid0(VALU_DEP_1) | instskip(SKIP_2) | instid1(VALU_DEP_1)
	v_add_f32_e32 v72, v69, v88
	v_cndmask_b32_e64 v69, 0, v77, s10
	v_fma_f32 v77, s18, v106, -v68
	v_dual_add_f32 v72, v72, v70 :: v_dual_mul_f32 v77, 0x3fb8aa3b, v77
	s_delay_alu instid0(VALU_DEP_1) | instskip(NEXT) | instid1(VALU_DEP_2)
	v_add_f32_e32 v79, v72, v69
	v_exp_f32_e32 v90, v77
	v_cndmask_b32_e64 v77, 0, v82, s13
	v_mul_f32_e32 v78, 0x3fb8aa3b, v78
	s_delay_alu instid0(VALU_DEP_1) | instskip(SKIP_4) | instid1(VALU_DEP_1)
	v_exp_f32_e32 v78, v78
	s_waitcnt_depctr 0xfff
	v_cndmask_b32_e64 v72, 0, v78, s12
	v_add_f32_e32 v78, v79, v71
	v_fma_f32 v79, s18, v107, -v68
	v_dual_add_f32 v82, v78, v72 :: v_dual_mul_f32 v79, 0x3fb8aa3b, v79
	v_cndmask_b32_e64 v78, 0, v81, s15
	s_delay_alu instid0(VALU_DEP_2) | instskip(NEXT) | instid1(VALU_DEP_3)
	v_add_f32_e32 v81, v82, v77
	v_exp_f32_e32 v82, v79
	v_cndmask_b32_e64 v79, 0, v90, s16
	s_delay_alu instid0(VALU_DEP_2) | instskip(NEXT) | instid1(VALU_DEP_1)
	v_add_f32_e32 v81, v81, v78
	v_add_f32_e32 v90, v81, v79
	s_waitcnt_depctr 0xfff
	v_cndmask_b32_e64 v81, 0, v82, s17
	s_delay_alu instid0(VALU_DEP_1)
	v_add_f32_e32 v82, v90, v81
	ds_bpermute_b32 v89, v89, v82
	s_and_saveexec_b32 s3, s2
	s_cbranch_execz .LBB1552_12
; %bb.11:
	v_mul_u32_u24_e32 v67, 0x44, v66
	s_delay_alu instid0(VALU_DEP_1) | instskip(SKIP_1) | instid1(VALU_DEP_1)
	v_lshl_add_u32 v67, v65, 2, v67
	s_waitcnt lgkmcnt(0)
	v_dual_add_f32 v82, v82, v89 :: v_dual_add_nc_u32 v67, 0x4000, v67
	ds_store_2addr_b32 v67, v68, v82 offset1:136
.LBB1552_12:
	s_or_b32 exec_lo, exec_lo, s3
	v_lshlrev_b32_e32 v67, 2, v65
	s_waitcnt lgkmcnt(0)
	s_barrier
	buffer_gl0_inv
	v_cmp_eq_u32_e32 vcc_lo, 1, v66
	v_add_nc_u32_e32 v82, 0x4000, v67
	v_cmp_eq_u32_e64 s3, 2, v66
	v_cmp_eq_u32_e64 s5, 7, v66
	ds_load_2addr_b32 v[89:90], v82 offset1:17
	ds_load_2addr_b32 v[91:92], v82 offset0:34 offset1:51
	ds_load_2addr_b32 v[93:94], v82 offset0:68 offset1:85
	;; [unrolled: 1-line block ×4, first 2 shown]
	s_waitcnt lgkmcnt(4)
	v_max3_f32 v67, v89, 0xff7fffff, v90
	s_waitcnt lgkmcnt(3)
	s_delay_alu instid0(VALU_DEP_1) | instskip(SKIP_1) | instid1(VALU_DEP_1)
	v_max3_f32 v67, v67, v91, v92
	s_waitcnt lgkmcnt(2)
	v_max3_f32 v67, v67, v93, v94
	s_waitcnt lgkmcnt(1)
	s_delay_alu instid0(VALU_DEP_1) | instskip(NEXT) | instid1(VALU_DEP_1)
	v_max3_f32 v67, v67, v95, v96
	v_sub_f32_e32 v93, v93, v67
	s_delay_alu instid0(VALU_DEP_1) | instskip(NEXT) | instid1(VALU_DEP_1)
	v_dual_sub_f32 v68, v89, v67 :: v_dual_mul_f32 v103, 0x3fb8aa3b, v93
	v_mul_f32_e32 v68, 0x3fb8aa3b, v68
	s_delay_alu instid0(VALU_DEP_1)
	v_exp_f32_e32 v100, v68
	v_sub_f32_e32 v68, v92, v67
	v_sub_f32_e32 v99, v90, v67
	ds_load_2addr_b32 v[89:90], v82 offset0:170 offset1:187
	v_dual_mul_f32 v102, 0x3fb8aa3b, v68 :: v_dual_mul_f32 v99, 0x3fb8aa3b, v99
	s_waitcnt lgkmcnt(1)
	v_fma_f32 v68, v100, v97, 0
	s_delay_alu instid0(VALU_DEP_2) | instskip(NEXT) | instid1(VALU_DEP_2)
	v_exp_f32_e32 v102, v102
	v_exp_f32_e32 v99, v99
	s_waitcnt_depctr 0xfff
	v_fmac_f32_e32 v68, v99, v98
	v_sub_f32_e32 v91, v91, v67
	s_delay_alu instid0(VALU_DEP_1)
	v_mul_f32_e32 v101, 0x3fb8aa3b, v91
	ds_load_2addr_b32 v[91:92], v82 offset0:204 offset1:221
	v_sub_f32_e32 v97, v94, v67
	ds_load_2addr_b32 v[93:94], v82 offset0:238 offset1:255
	s_waitcnt lgkmcnt(0)
	v_exp_f32_e32 v101, v101
	s_barrier
	buffer_gl0_inv
	v_dual_fmac_f32 v68, v101, v89 :: v_dual_sub_f32 v89, v96, v67
	v_dual_sub_f32 v82, v95, v67 :: v_dual_mul_f32 v95, 0x3fb8aa3b, v97
	v_exp_f32_e32 v97, v103
	s_delay_alu instid0(VALU_DEP_2) | instskip(NEXT) | instid1(VALU_DEP_2)
	v_dual_fmac_f32 v68, v102, v90 :: v_dual_mul_f32 v89, 0x3fb8aa3b, v89
	v_mul_f32_e32 v82, 0x3fb8aa3b, v82
	s_delay_alu instid0(VALU_DEP_3) | instskip(NEXT) | instid1(VALU_DEP_2)
	v_exp_f32_e32 v95, v95
	v_exp_f32_e32 v89, v89
	s_delay_alu instid0(VALU_DEP_1)
	v_exp_f32_e32 v82, v82
	v_fmac_f32_e32 v68, v97, v91
	s_delay_alu instid0(TRANS32_DEP_3) | instid1(VALU_DEP_1)
	v_fmac_f32_e32 v68, v95, v92
	s_waitcnt_depctr 0xfff
	v_fmac_f32_e32 v68, v82, v93
	s_delay_alu instid0(VALU_DEP_1) | instskip(NEXT) | instid1(VALU_DEP_1)
	v_fmac_f32_e32 v68, v89, v94
	v_add_f32_e32 v90, 0x358637bd, v68
	s_delay_alu instid0(VALU_DEP_1) | instskip(NEXT) | instid1(VALU_DEP_1)
	v_div_scale_f32 v91, null, v90, v90, 1.0
	v_rcp_f32_e32 v92, v91
	s_waitcnt_depctr 0xfff
	v_fma_f32 v93, -v91, v92, 1.0
	s_delay_alu instid0(VALU_DEP_1) | instskip(SKIP_1) | instid1(VALU_DEP_2)
	v_dual_fmac_f32 v92, v93, v92 :: v_dual_cndmask_b32 v93, v100, v99
	v_cmp_eq_u32_e32 vcc_lo, 3, v66
	v_cndmask_b32_e64 v93, v93, v101, s3
	v_cmp_eq_u32_e64 s3, 4, v66
	s_delay_alu instid0(VALU_DEP_2) | instskip(SKIP_1) | instid1(VALU_DEP_2)
	v_cndmask_b32_e32 v93, v93, v102, vcc_lo
	v_cmp_eq_u32_e32 vcc_lo, 5, v66
	v_cndmask_b32_e64 v93, v93, v97, s3
	v_cmp_eq_u32_e64 s3, 6, v66
	s_delay_alu instid0(VALU_DEP_2) | instskip(SKIP_1) | instid1(VALU_DEP_1)
	v_cndmask_b32_e32 v93, v93, v95, vcc_lo
	v_div_scale_f32 v94, s4, 1.0, v90, 1.0
	s_mov_b32 vcc_lo, s4
	s_delay_alu instid0(VALU_DEP_2) | instskip(NEXT) | instid1(VALU_DEP_2)
	v_cndmask_b32_e64 v82, v93, v82, s3
	v_mul_f32_e32 v96, v94, v92
	s_mov_b32 s3, exec_lo
	s_delay_alu instid0(VALU_DEP_2) | instskip(NEXT) | instid1(VALU_DEP_2)
	v_cndmask_b32_e64 v82, v82, v89, s5
	v_fma_f32 v98, -v91, v96, v94
	s_delay_alu instid0(VALU_DEP_1) | instskip(NEXT) | instid1(VALU_DEP_1)
	v_fmac_f32_e32 v96, v98, v92
	v_fma_f32 v91, -v91, v96, v94
	s_delay_alu instid0(VALU_DEP_1) | instskip(NEXT) | instid1(VALU_DEP_1)
	v_div_fmas_f32 v91, v91, v92, v96
	v_div_fixup_f32 v90, v91, v90, 1.0
	s_delay_alu instid0(VALU_DEP_1) | instskip(NEXT) | instid1(VALU_DEP_1)
	v_mul_f32_e32 v82, v82, v90
	v_mul_f32_e32 v87, v82, v87
	;; [unrolled: 1-line block ×7, first 2 shown]
	v_dual_mul_f32 v86, v82, v83 :: v_dual_and_b32 v91, 0x7f800000, v90
	v_mul_f32_e32 v85, v82, v76
                                        ; implicit-def: $vgpr76
	s_delay_alu instid0(VALU_DEP_2)
	v_cmpx_ne_u32_e32 0x7f800000, v91
	s_xor_b32 s3, exec_lo, s3
; %bb.13:
	v_bfe_u32 v76, v90, 16, 1
	s_delay_alu instid0(VALU_DEP_1)
	v_add3_u32 v76, v90, v76, 0x7fff
                                        ; implicit-def: $vgpr90
; %bb.14:
	s_and_not1_saveexec_b32 s3, s3
; %bb.15:
	v_and_b32_e32 v76, 0xffff, v90
	v_or_b32_e32 v83, 0x10000, v90
	s_delay_alu instid0(VALU_DEP_2) | instskip(NEXT) | instid1(VALU_DEP_2)
	v_cmp_eq_u32_e32 vcc_lo, 0, v76
	v_cndmask_b32_e32 v76, v83, v90, vcc_lo
; %bb.16:
	s_or_b32 exec_lo, exec_lo, s3
	v_and_b32_e32 v83, 0x7f800000, v85
	s_delay_alu instid0(VALU_DEP_1) | instskip(SKIP_1) | instid1(SALU_CYCLE_1)
	v_cmp_ne_u32_e32 vcc_lo, 0x7f800000, v83
                                        ; implicit-def: $vgpr83
	s_and_saveexec_b32 s3, vcc_lo
	s_xor_b32 s3, exec_lo, s3
; %bb.17:
	v_bfe_u32 v83, v85, 16, 1
	s_delay_alu instid0(VALU_DEP_1)
	v_add3_u32 v83, v85, v83, 0x7fff
                                        ; implicit-def: $vgpr85
; %bb.18:
	s_and_not1_saveexec_b32 s3, s3
; %bb.19:
	v_and_b32_e32 v83, 0xffff, v85
	v_or_b32_e32 v90, 0x10000, v85
	s_delay_alu instid0(VALU_DEP_2) | instskip(NEXT) | instid1(VALU_DEP_2)
	v_cmp_eq_u32_e32 vcc_lo, 0, v83
	v_cndmask_b32_e32 v83, v90, v85, vcc_lo
; %bb.20:
	s_or_b32 exec_lo, exec_lo, s3
	v_and_b32_e32 v85, 0x7f800000, v86
	s_delay_alu instid0(VALU_DEP_1) | instskip(SKIP_1) | instid1(SALU_CYCLE_1)
	v_cmp_ne_u32_e32 vcc_lo, 0x7f800000, v85
                                        ; implicit-def: $vgpr85
	s_and_saveexec_b32 s3, vcc_lo
	s_xor_b32 s3, exec_lo, s3
; %bb.21:
	v_bfe_u32 v85, v86, 16, 1
	s_delay_alu instid0(VALU_DEP_1)
	v_add3_u32 v85, v86, v85, 0x7fff
                                        ; implicit-def: $vgpr86
; %bb.22:
	s_and_not1_saveexec_b32 s3, s3
; %bb.23:
	v_and_b32_e32 v85, 0xffff, v86
	v_or_b32_e32 v90, 0x10000, v86
	s_delay_alu instid0(VALU_DEP_2) | instskip(NEXT) | instid1(VALU_DEP_2)
	v_cmp_eq_u32_e32 vcc_lo, 0, v85
	v_cndmask_b32_e32 v85, v90, v86, vcc_lo
; %bb.24:
	s_or_b32 exec_lo, exec_lo, s3
	v_and_b32_e32 v86, 0x7f800000, v89
	s_delay_alu instid0(VALU_DEP_1) | instskip(SKIP_1) | instid1(SALU_CYCLE_1)
	v_cmp_ne_u32_e32 vcc_lo, 0x7f800000, v86
                                        ; implicit-def: $vgpr86
	s_and_saveexec_b32 s3, vcc_lo
	s_xor_b32 s3, exec_lo, s3
; %bb.25:
	v_bfe_u32 v86, v89, 16, 1
	s_delay_alu instid0(VALU_DEP_1)
	v_add3_u32 v86, v89, v86, 0x7fff
                                        ; implicit-def: $vgpr89
; %bb.26:
	s_and_not1_saveexec_b32 s3, s3
; %bb.27:
	v_and_b32_e32 v86, 0xffff, v89
	v_or_b32_e32 v90, 0x10000, v89
	s_delay_alu instid0(VALU_DEP_2) | instskip(NEXT) | instid1(VALU_DEP_2)
	v_cmp_eq_u32_e32 vcc_lo, 0, v86
	v_cndmask_b32_e32 v86, v90, v89, vcc_lo
; %bb.28:
	s_or_b32 exec_lo, exec_lo, s3
	v_and_b32_e32 v89, 0x7f800000, v88
	s_delay_alu instid0(VALU_DEP_1) | instskip(SKIP_1) | instid1(SALU_CYCLE_1)
	v_cmp_ne_u32_e32 vcc_lo, 0x7f800000, v89
                                        ; implicit-def: $vgpr89
	s_and_saveexec_b32 s3, vcc_lo
	s_xor_b32 s3, exec_lo, s3
; %bb.29:
	v_bfe_u32 v89, v88, 16, 1
	s_delay_alu instid0(VALU_DEP_1)
	v_add3_u32 v89, v88, v89, 0x7fff
                                        ; implicit-def: $vgpr88
; %bb.30:
	s_and_not1_saveexec_b32 s3, s3
; %bb.31:
	v_and_b32_e32 v89, 0xffff, v88
	v_or_b32_e32 v90, 0x10000, v88
	s_delay_alu instid0(VALU_DEP_2) | instskip(NEXT) | instid1(VALU_DEP_2)
	v_cmp_eq_u32_e32 vcc_lo, 0, v89
	v_cndmask_b32_e32 v89, v90, v88, vcc_lo
; %bb.32:
	s_or_b32 exec_lo, exec_lo, s3
	v_and_b32_e32 v88, 0x7f800000, v87
	s_delay_alu instid0(VALU_DEP_1) | instskip(SKIP_1) | instid1(SALU_CYCLE_1)
	v_cmp_ne_u32_e32 vcc_lo, 0x7f800000, v88
                                        ; implicit-def: $vgpr88
	s_and_saveexec_b32 s3, vcc_lo
	s_xor_b32 s3, exec_lo, s3
; %bb.33:
	v_bfe_u32 v88, v87, 16, 1
	s_delay_alu instid0(VALU_DEP_1)
	v_add3_u32 v88, v87, v88, 0x7fff
                                        ; implicit-def: $vgpr87
; %bb.34:
	s_and_not1_saveexec_b32 s3, s3
; %bb.35:
	v_and_b32_e32 v88, 0xffff, v87
	v_or_b32_e32 v90, 0x10000, v87
	s_delay_alu instid0(VALU_DEP_2) | instskip(NEXT) | instid1(VALU_DEP_2)
	v_cmp_eq_u32_e32 vcc_lo, 0, v88
	v_cndmask_b32_e32 v88, v90, v87, vcc_lo
; %bb.36:
	s_or_b32 exec_lo, exec_lo, s3
	v_and_b32_e32 v87, 0x7f800000, v84
	s_delay_alu instid0(VALU_DEP_1) | instskip(SKIP_1) | instid1(SALU_CYCLE_1)
	v_cmp_ne_u32_e32 vcc_lo, 0x7f800000, v87
                                        ; implicit-def: $vgpr87
	s_and_saveexec_b32 s3, vcc_lo
	s_xor_b32 s3, exec_lo, s3
; %bb.37:
	v_bfe_u32 v87, v84, 16, 1
	s_delay_alu instid0(VALU_DEP_1)
	v_add3_u32 v87, v84, v87, 0x7fff
                                        ; implicit-def: $vgpr84
; %bb.38:
	s_and_not1_saveexec_b32 s3, s3
; %bb.39:
	v_and_b32_e32 v87, 0xffff, v84
	v_or_b32_e32 v90, 0x10000, v84
	s_delay_alu instid0(VALU_DEP_2) | instskip(NEXT) | instid1(VALU_DEP_2)
	v_cmp_eq_u32_e32 vcc_lo, 0, v87
	v_cndmask_b32_e32 v87, v90, v84, vcc_lo
; %bb.40:
	s_or_b32 exec_lo, exec_lo, s3
	v_and_b32_e32 v84, 0x7f800000, v80
	s_delay_alu instid0(VALU_DEP_1) | instskip(SKIP_1) | instid1(SALU_CYCLE_1)
	v_cmp_ne_u32_e32 vcc_lo, 0x7f800000, v84
                                        ; implicit-def: $vgpr84
	s_and_saveexec_b32 s3, vcc_lo
	s_xor_b32 s3, exec_lo, s3
; %bb.41:
	v_bfe_u32 v84, v80, 16, 1
	s_delay_alu instid0(VALU_DEP_1)
	v_add3_u32 v84, v80, v84, 0x7fff
                                        ; implicit-def: $vgpr80
; %bb.42:
	s_and_not1_saveexec_b32 s3, s3
; %bb.43:
	v_and_b32_e32 v84, 0xffff, v80
	v_or_b32_e32 v90, 0x10000, v80
	s_delay_alu instid0(VALU_DEP_2) | instskip(NEXT) | instid1(VALU_DEP_2)
	v_cmp_eq_u32_e32 vcc_lo, 0, v84
	v_cndmask_b32_e32 v84, v90, v80, vcc_lo
; %bb.44:
	s_or_b32 exec_lo, exec_lo, s3
	s_load_b64 s[34:35], s[0:1], 0x94
	v_lshlrev_b32_e32 v91, 4, v74
	s_delay_alu instid0(VALU_DEP_2)
	v_perm_b32 v90, v84, v87, 0x7060302
	v_dual_mul_f32 v79, v82, v79 :: v_dual_lshlrev_b32 v80, 6, v65
	v_dual_mul_f32 v77, v82, v77 :: v_dual_lshlrev_b32 v92, 11, v66
	v_mul_f32_e32 v84, v82, v70
	v_perm_b32 v89, v88, v89, 0x7060302
	v_perm_b32 v88, v86, v85, 0x7060302
	;; [unrolled: 1-line block ×3, first 2 shown]
	v_mul_f32_e32 v70, v82, v81
	v_or3_b32 v76, v91, v92, v80
	v_dual_mul_f32 v78, v82, v78 :: v_dual_and_b32 v85, 0x7f800000, v84
	v_mul_f32_e32 v83, v82, v72
	v_mul_f32_e32 v81, v82, v71
	;; [unrolled: 1-line block ×3, first 2 shown]
	s_mov_b32 s3, exec_lo
	ds_store_b128 v76, v[87:90]
                                        ; implicit-def: $vgpr69
	v_cmpx_ne_u32_e32 0x7f800000, v85
	s_xor_b32 s3, exec_lo, s3
; %bb.45:
	v_bfe_u32 v69, v84, 16, 1
	s_delay_alu instid0(VALU_DEP_1)
	v_add3_u32 v69, v84, v69, 0x7fff
                                        ; implicit-def: $vgpr84
; %bb.46:
	s_and_not1_saveexec_b32 s3, s3
; %bb.47:
	v_and_b32_e32 v69, 0xffff, v84
	v_or_b32_e32 v71, 0x10000, v84
	s_delay_alu instid0(VALU_DEP_2) | instskip(NEXT) | instid1(VALU_DEP_2)
	v_cmp_eq_u32_e32 vcc_lo, 0, v69
	v_cndmask_b32_e32 v69, v71, v84, vcc_lo
; %bb.48:
	s_or_b32 exec_lo, exec_lo, s3
	v_and_b32_e32 v71, 0x7f800000, v72
	s_delay_alu instid0(VALU_DEP_1) | instskip(SKIP_1) | instid1(SALU_CYCLE_1)
	v_cmp_ne_u32_e32 vcc_lo, 0x7f800000, v71
                                        ; implicit-def: $vgpr71
	s_and_saveexec_b32 s3, vcc_lo
	s_xor_b32 s3, exec_lo, s3
; %bb.49:
	v_bfe_u32 v71, v72, 16, 1
	s_delay_alu instid0(VALU_DEP_1)
	v_add3_u32 v71, v72, v71, 0x7fff
                                        ; implicit-def: $vgpr72
; %bb.50:
	s_and_not1_saveexec_b32 s3, s3
; %bb.51:
	v_and_b32_e32 v71, 0xffff, v72
	v_or_b32_e32 v82, 0x10000, v72
	s_delay_alu instid0(VALU_DEP_2) | instskip(NEXT) | instid1(VALU_DEP_2)
	v_cmp_eq_u32_e32 vcc_lo, 0, v71
	v_cndmask_b32_e32 v71, v82, v72, vcc_lo
; %bb.52:
	s_or_b32 exec_lo, exec_lo, s3
	v_and_b32_e32 v72, 0x7f800000, v81
	s_delay_alu instid0(VALU_DEP_1) | instskip(SKIP_1) | instid1(SALU_CYCLE_1)
	v_cmp_ne_u32_e32 vcc_lo, 0x7f800000, v72
                                        ; implicit-def: $vgpr72
	s_and_saveexec_b32 s3, vcc_lo
	s_xor_b32 s3, exec_lo, s3
; %bb.53:
	v_bfe_u32 v72, v81, 16, 1
	s_delay_alu instid0(VALU_DEP_1)
	v_add3_u32 v72, v81, v72, 0x7fff
                                        ; implicit-def: $vgpr81
; %bb.54:
	s_and_not1_saveexec_b32 s3, s3
; %bb.55:
	v_and_b32_e32 v72, 0xffff, v81
	v_or_b32_e32 v82, 0x10000, v81
	s_delay_alu instid0(VALU_DEP_2) | instskip(NEXT) | instid1(VALU_DEP_2)
	v_cmp_eq_u32_e32 vcc_lo, 0, v72
	v_cndmask_b32_e32 v72, v82, v81, vcc_lo
; %bb.56:
	s_or_b32 exec_lo, exec_lo, s3
	v_and_b32_e32 v81, 0x7f800000, v83
	s_delay_alu instid0(VALU_DEP_1) | instskip(SKIP_1) | instid1(SALU_CYCLE_1)
	v_cmp_ne_u32_e32 vcc_lo, 0x7f800000, v81
                                        ; implicit-def: $vgpr81
	s_and_saveexec_b32 s3, vcc_lo
	s_xor_b32 s3, exec_lo, s3
; %bb.57:
	v_bfe_u32 v81, v83, 16, 1
	s_delay_alu instid0(VALU_DEP_1)
	v_add3_u32 v81, v83, v81, 0x7fff
                                        ; implicit-def: $vgpr83
; %bb.58:
	s_and_not1_saveexec_b32 s3, s3
; %bb.59:
	v_and_b32_e32 v81, 0xffff, v83
	v_or_b32_e32 v82, 0x10000, v83
	s_delay_alu instid0(VALU_DEP_2) | instskip(NEXT) | instid1(VALU_DEP_2)
	v_cmp_eq_u32_e32 vcc_lo, 0, v81
	v_cndmask_b32_e32 v81, v82, v83, vcc_lo
; %bb.60:
	s_or_b32 exec_lo, exec_lo, s3
	v_and_b32_e32 v82, 0x7f800000, v77
	s_delay_alu instid0(VALU_DEP_1) | instskip(SKIP_1) | instid1(SALU_CYCLE_1)
	v_cmp_ne_u32_e32 vcc_lo, 0x7f800000, v82
                                        ; implicit-def: $vgpr82
	s_and_saveexec_b32 s3, vcc_lo
	s_xor_b32 s3, exec_lo, s3
; %bb.61:
	v_bfe_u32 v82, v77, 16, 1
	s_delay_alu instid0(VALU_DEP_1)
	v_add3_u32 v82, v77, v82, 0x7fff
                                        ; implicit-def: $vgpr77
; %bb.62:
	s_and_not1_saveexec_b32 s3, s3
; %bb.63:
	v_and_b32_e32 v82, 0xffff, v77
	v_or_b32_e32 v83, 0x10000, v77
	s_delay_alu instid0(VALU_DEP_2) | instskip(NEXT) | instid1(VALU_DEP_2)
	v_cmp_eq_u32_e32 vcc_lo, 0, v82
	v_cndmask_b32_e32 v82, v83, v77, vcc_lo
; %bb.64:
	s_or_b32 exec_lo, exec_lo, s3
	v_and_b32_e32 v77, 0x7f800000, v78
	s_delay_alu instid0(VALU_DEP_1) | instskip(SKIP_1) | instid1(SALU_CYCLE_1)
	v_cmp_ne_u32_e32 vcc_lo, 0x7f800000, v77
                                        ; implicit-def: $vgpr77
	s_and_saveexec_b32 s3, vcc_lo
	s_xor_b32 s3, exec_lo, s3
; %bb.65:
	v_bfe_u32 v77, v78, 16, 1
	s_delay_alu instid0(VALU_DEP_1)
	v_add3_u32 v77, v78, v77, 0x7fff
                                        ; implicit-def: $vgpr78
; %bb.66:
	s_and_not1_saveexec_b32 s3, s3
; %bb.67:
	v_and_b32_e32 v77, 0xffff, v78
	v_or_b32_e32 v83, 0x10000, v78
	s_delay_alu instid0(VALU_DEP_2) | instskip(NEXT) | instid1(VALU_DEP_2)
	v_cmp_eq_u32_e32 vcc_lo, 0, v77
	v_cndmask_b32_e32 v77, v83, v78, vcc_lo
; %bb.68:
	s_or_b32 exec_lo, exec_lo, s3
	v_and_b32_e32 v78, 0x7f800000, v79
	s_delay_alu instid0(VALU_DEP_1) | instskip(SKIP_1) | instid1(SALU_CYCLE_1)
	v_cmp_ne_u32_e32 vcc_lo, 0x7f800000, v78
                                        ; implicit-def: $vgpr78
	s_and_saveexec_b32 s3, vcc_lo
	s_xor_b32 s3, exec_lo, s3
; %bb.69:
	v_bfe_u32 v78, v79, 16, 1
	s_delay_alu instid0(VALU_DEP_1)
	v_add3_u32 v78, v79, v78, 0x7fff
                                        ; implicit-def: $vgpr79
; %bb.70:
	s_and_not1_saveexec_b32 s3, s3
; %bb.71:
	v_and_b32_e32 v78, 0xffff, v79
	v_or_b32_e32 v83, 0x10000, v79
	s_delay_alu instid0(VALU_DEP_2) | instskip(NEXT) | instid1(VALU_DEP_2)
	v_cmp_eq_u32_e32 vcc_lo, 0, v78
	v_cndmask_b32_e32 v78, v83, v79, vcc_lo
; %bb.72:
	s_or_b32 exec_lo, exec_lo, s3
	v_and_b32_e32 v79, 0x7f800000, v70
	s_delay_alu instid0(VALU_DEP_1) | instskip(SKIP_1) | instid1(SALU_CYCLE_1)
	v_cmp_ne_u32_e32 vcc_lo, 0x7f800000, v79
                                        ; implicit-def: $vgpr79
	s_and_saveexec_b32 s3, vcc_lo
	s_xor_b32 s3, exec_lo, s3
; %bb.73:
	v_bfe_u32 v79, v70, 16, 1
	s_delay_alu instid0(VALU_DEP_1)
	v_add3_u32 v79, v70, v79, 0x7fff
                                        ; implicit-def: $vgpr70
; %bb.74:
	s_and_not1_saveexec_b32 s3, s3
; %bb.75:
	v_and_b32_e32 v79, 0xffff, v70
	v_or_b32_e32 v83, 0x10000, v70
	s_delay_alu instid0(VALU_DEP_2) | instskip(NEXT) | instid1(VALU_DEP_2)
	v_cmp_eq_u32_e32 vcc_lo, 0, v79
	v_cndmask_b32_e32 v79, v83, v70, vcc_lo
; %bb.76:
	s_or_b32 exec_lo, exec_lo, s3
	s_delay_alu instid0(VALU_DEP_1)
	v_perm_b32 v86, v79, v78, 0x7060302
	v_perm_b32 v85, v77, v82, 0x7060302
	v_perm_b32 v84, v81, v72, 0x7060302
	v_perm_b32 v83, v71, v69, 0x7060302
	v_lshl_or_b32 v82, v66, 11, v80
	ds_store_b128 v76, v[83:86] offset:1024
	s_waitcnt lgkmcnt(0)
	s_barrier
	buffer_gl0_inv
	ds_load_b128 v[69:72], v82
	ds_load_b128 v[83:86], v82 offset:16
	s_waitcnt lgkmcnt(1)
	v_lshrrev_b32_e32 v66, 16, v69
	s_waitcnt lgkmcnt(0)
	v_lshrrev_b32_e32 v91, 16, v83
	v_lshlrev_b32_e32 v78, 2, v74
	v_lshrrev_b32_e32 v95, 16, v70
	v_lshrrev_b32_e32 v98, 16, v84
	;; [unrolled: 1-line block ×4, first 2 shown]
	v_cmp_eq_u32_e32 vcc_lo, 1, v78
	v_lshrrev_b32_e32 v97, 16, v72
	v_lshrrev_b32_e32 v100, 16, v86
	v_cndmask_b32_e32 v87, v83, v91, vcc_lo
	v_or_b32_e32 v79, 1, v78
	v_cndmask_b32_e32 v81, v69, v66, vcc_lo
	v_cmp_eq_u32_e64 s4, 2, v78
	v_cmp_eq_u32_e64 s7, 3, v78
	;; [unrolled: 1-line block ×5, first 2 shown]
	v_cndmask_b32_e64 v81, v81, v70, s4
	v_cndmask_b32_e64 v87, v87, v84, s4
	v_cmp_eq_u32_e64 s8, 3, v79
	v_cndmask_b32_e64 v88, v69, v66, s3
	v_or_b32_e32 v77, 2, v78
	v_cndmask_b32_e64 v81, v81, v95, s7
	v_cndmask_b32_e64 v87, v87, v98, s7
	;; [unrolled: 1-line block ×4, first 2 shown]
	v_cmp_eq_u32_e64 s10, 5, v78
	v_cndmask_b32_e64 v81, v81, v71, s9
	v_cndmask_b32_e64 v87, v87, v85, s9
	v_cmp_eq_u32_e64 s11, 4, v79
	v_cndmask_b32_e64 v88, v88, v95, s8
	v_cmp_eq_u32_e64 s5, 1, v77
	v_cndmask_b32_e64 v89, v89, v84, s6
	v_cndmask_b32_e64 v81, v81, v96, s10
	v_cmp_eq_u32_e64 s12, 6, v78
	v_cndmask_b32_e64 v88, v88, v71, s11
	v_cndmask_b32_e64 v87, v87, v99, s10
	v_cmp_eq_u32_e64 s13, 5, v79
	v_cndmask_b32_e64 v90, v69, v66, s5
	v_cndmask_b32_e64 v89, v89, v98, s8
	v_cndmask_b32_e64 v81, v81, v72, s12
	v_cmp_eq_u32_e64 s15, 7, v78
	v_cndmask_b32_e64 v88, v88, v96, s13
	v_cndmask_b32_e64 v87, v87, v86, s12
	v_cmp_eq_u32_e64 s16, 6, v79
	v_cmp_eq_u32_e64 s17, 2, v77
	v_cndmask_b32_e64 v89, v89, v85, s11
	v_cndmask_b32_e64 v101, v81, v97, s15
	v_cndmask_b32_e64 v102, v87, v100, s15
	v_cndmask_b32_e64 v88, v88, v72, s16
	v_cndmask_b32_e64 v81, v90, v70, s17
	v_cndmask_b32_e64 v87, v83, v91, s5
	v_cmp_eq_u32_e64 s18, 7, v79
	v_cmp_eq_u32_e64 s19, 3, v77
	;; [unrolled: 1-line block ×4, first 2 shown]
	v_cndmask_b32_e64 v87, v87, v84, s17
	v_cndmask_b32_e64 v103, v88, v97, s18
	;; [unrolled: 1-line block ×4, first 2 shown]
	v_or_b32_e32 v81, 3, v78
	v_cndmask_b32_e64 v93, v87, v98, s19
	v_cmp_eq_u32_e64 s24, 6, v77
	v_cndmask_b32_e64 v104, v88, v86, s16
	v_cndmask_b32_e64 v92, v89, v71, s20
	v_cmp_eq_u32_e64 s21, 1, v81
	ds_load_b128 v[87:90], v82 offset:1024
	v_cmp_eq_u32_e64 s23, 2, v81
	v_cmp_eq_u32_e64 s25, 3, v81
	v_cndmask_b32_e64 v105, v92, v96, s22
	v_cndmask_b32_e64 v66, v69, v66, s21
	;; [unrolled: 1-line block ×4, first 2 shown]
	ds_load_b128 v[91:94], v82 offset:1040
	v_cmp_eq_u32_e64 s26, 4, v81
	v_cndmask_b32_e64 v66, v66, v70, s23
	v_cmp_eq_u32_e64 s27, 7, v77
	v_cndmask_b32_e64 v70, v83, v84, s23
	v_cndmask_b32_e64 v84, v105, v72, s24
	v_cmp_eq_u32_e64 s28, 5, v81
	v_cndmask_b32_e64 v66, v66, v95, s25
	v_cmp_eq_u32_e64 s29, 6, v81
	v_cndmask_b32_e64 v70, v70, v98, s25
	v_cndmask_b32_e64 v69, v69, v99, s22
	;; [unrolled: 1-line block ×4, first 2 shown]
	s_waitcnt lgkmcnt(1)
	v_lshrrev_b32_e32 v95, 16, v87
	v_cndmask_b32_e64 v70, v70, v85, s26
	v_cndmask_b32_e64 v71, v84, v97, s27
	;; [unrolled: 1-line block ×4, first 2 shown]
	v_cndmask_b32_e32 v84, v87, v95, vcc_lo
	v_cndmask_b32_e64 v70, v70, v99, s28
	s_waitcnt lgkmcnt(0)
	v_lshrrev_b32_e32 v85, 16, v91
	v_lshrrev_b32_e32 v96, 16, v88
	v_cndmask_b32_e64 v98, v87, v95, s3
	v_cndmask_b32_e64 v84, v84, v88, s4
	;; [unrolled: 1-line block ×3, first 2 shown]
	v_cndmask_b32_e32 v99, v91, v85, vcc_lo
	v_cmp_eq_u32_e32 vcc_lo, 7, v81
	v_cndmask_b32_e64 v66, v66, v72, s29
	v_cndmask_b32_e64 v72, v84, v96, s7
	;; [unrolled: 1-line block ×3, first 2 shown]
	v_lshrrev_b32_e32 v98, 16, v92
	v_cndmask_b32_e32 v70, v70, v100, vcc_lo
	v_cndmask_b32_e64 v86, v99, v92, s4
	v_cndmask_b32_e64 v69, v69, v100, s27
	v_lshrrev_b32_e32 v100, 16, v93
	v_cndmask_b32_e64 v72, v72, v89, s9
	v_lshrrev_b32_e32 v99, 16, v89
	v_cndmask_b32_e64 v86, v86, v98, s7
	v_perm_b32 v71, v69, v71, 0x5040100
	v_cndmask_b32_e64 v84, v84, v96, s8
	s_delay_alu instid0(VALU_DEP_3) | instskip(NEXT) | instid1(VALU_DEP_2)
	v_cndmask_b32_e64 v86, v86, v93, s9
	v_cndmask_b32_e64 v84, v84, v89, s11
	s_delay_alu instid0(VALU_DEP_2) | instskip(NEXT) | instid1(VALU_DEP_1)
	v_cndmask_b32_e64 v86, v86, v100, s10
	v_cndmask_b32_e64 v69, v86, v94, s12
	v_cndmask_b32_e64 v86, v87, v95, s5
	v_cndmask_b32_e64 v87, v87, v95, s21
	v_cndmask_b32_e64 v95, v91, v85, s21
	s_delay_alu instid0(VALU_DEP_3) | instskip(NEXT) | instid1(VALU_DEP_3)
	v_cndmask_b32_e64 v86, v86, v88, s17
	v_cndmask_b32_e64 v87, v87, v88, s23
	s_delay_alu instid0(VALU_DEP_3) | instskip(NEXT) | instid1(VALU_DEP_3)
	v_cndmask_b32_e64 v88, v95, v92, s23
	v_cndmask_b32_e64 v86, v86, v96, s19
	;; [unrolled: 3-line block ×7, first 2 shown]
	s_delay_alu instid0(VALU_DEP_3) | instskip(SKIP_2) | instid1(VALU_DEP_2)
	v_cndmask_b32_e64 v88, v88, v94, s29
	v_cndmask_b32_e32 v66, v66, v97, vcc_lo
	v_cndmask_b32_e64 v97, v72, v99, s10
	v_perm_b32 v72, v70, v66, 0x5040100
	v_perm_b32 v70, v83, v103, 0x5040100
	v_cndmask_b32_e64 v103, v91, v85, s5
	v_cndmask_b32_e64 v85, v91, v85, s3
	;; [unrolled: 1-line block ×4, first 2 shown]
	v_lshrrev_b32_e32 v97, 16, v90
	v_cndmask_b32_e64 v91, v103, v92, s17
	v_cndmask_b32_e64 v85, v85, v92, s6
	;; [unrolled: 1-line block ×3, first 2 shown]
	s_mov_b32 s3, exec_lo
	v_cndmask_b32_e64 v83, v84, v97, s15
	v_cndmask_b32_e64 v91, v91, v98, s19
	;; [unrolled: 1-line block ×3, first 2 shown]
	v_lshrrev_b32_e32 v84, 16, v94
	v_cndmask_b32_e64 v66, v66, v97, s18
	v_cndmask_b32_e64 v90, v86, v97, s27
	;; [unrolled: 1-line block ×4, first 2 shown]
	v_dual_cndmask_b32 v86, v87, v97 :: v_dual_cndmask_b32 v87, v88, v84
	v_cndmask_b32_e64 v91, v69, v84, s15
	s_delay_alu instid0(VALU_DEP_4) | instskip(NEXT) | instid1(VALU_DEP_4)
	v_cndmask_b32_e64 v89, v89, v100, s22
	v_cndmask_b32_e64 v85, v85, v100, s13
	v_perm_b32 v69, v102, v101, 0x5040100
	v_perm_b32 v86, v87, v86, 0x5040100
	;; [unrolled: 1-line block ×3, first 2 shown]
	v_cndmask_b32_e64 v89, v89, v94, s24
	v_cndmask_b32_e64 v85, v85, v94, s16
	s_mul_i32 s8, s35, 7
	s_delay_alu instid0(VALU_DEP_2) | instskip(NEXT) | instid1(VALU_DEP_2)
	v_cndmask_b32_e64 v88, v89, v84, s27
	v_cndmask_b32_e64 v89, v85, v84, s18
	s_delay_alu instid0(VALU_DEP_2) | instskip(NEXT) | instid1(VALU_DEP_2)
	v_perm_b32 v85, v88, v90, 0x5040100
	v_perm_b32 v84, v89, v66, 0x5040100
	ds_store_b128 v76, v[69:72]
	ds_store_b128 v76, v[83:86] offset:1024
	v_cmpx_gt_u32_e32 7, v0
	s_cbranch_execz .LBB1552_78
; %bb.77:
	s_mul_i32 s4, s8, s30
	s_delay_alu instid0(SALU_CYCLE_1) | instskip(SKIP_1) | instid1(VALU_DEP_1)
	v_add3_u32 v69, s4, s31, v65
	s_load_b128 s[4:7], s[0:1], 0x58
	v_mad_u64_u32 v[65:66], null, v69, s34, s[14:15]
	s_delay_alu instid0(VALU_DEP_1) | instskip(NEXT) | instid1(VALU_DEP_1)
	v_ashrrev_i32_e32 v66, 31, v65
	v_lshlrev_b64 v[65:66], 2, v[65:66]
	s_waitcnt lgkmcnt(0)
	s_delay_alu instid0(VALU_DEP_1) | instskip(NEXT) | instid1(VALU_DEP_2)
	v_add_co_u32 v69, vcc_lo, s6, v65
	v_add_co_ci_u32_e32 v70, vcc_lo, s7, v66, vcc_lo
	v_add_co_u32 v65, vcc_lo, s4, v65
	v_add_co_ci_u32_e32 v66, vcc_lo, s5, v66, vcc_lo
	global_store_b32 v[69:70], v67, off
	global_store_b32 v[65:66], v68, off
.LBB1552_78:
	s_or_b32 exec_lo, exec_lo, s3
	s_waitcnt lgkmcnt(0)
	s_waitcnt_vscnt null, 0x0
	s_barrier
	buffer_gl0_inv
	ds_load_b128 v[83:86], v80
	ds_load_b128 v[87:90], v80 offset:16
	ds_load_b128 v[95:98], v80 offset:2064
	;; [unrolled: 1-line block ×3, first 2 shown]
	v_mov_b32_e32 v65, 0
	ds_load_b128 v[103:106], v80 offset:4112
	ds_load_b128 v[99:102], v80 offset:4096
	ds_load_b128 v[111:114], v80 offset:6160
	ds_load_b128 v[107:110], v80 offset:6144
	v_mov_b32_e32 v66, v65
	v_mov_b32_e32 v67, v65
	;; [unrolled: 1-line block ×7, first 2 shown]
	s_waitcnt lgkmcnt(6)
	s_delay_alu instid0(VALU_DEP_1)
	v_wmma_f32_16x16x16_bf16 v[65:72], v[41:48], v[83:90], v[65:72]
	ds_load_b128 v[45:48], v80 offset:8208
	ds_load_b128 v[41:44], v80 offset:8192
	s_waitcnt lgkmcnt(6)
	v_wmma_f32_16x16x16_bf16 v[65:72], v[33:40], v[91:98], v[65:72]
	ds_load_b128 v[37:40], v80 offset:10256
	ds_load_b128 v[33:36], v80 offset:10240
	s_waitcnt lgkmcnt(6)
	;; [unrolled: 4-line block ×4, first 2 shown]
	v_wmma_f32_16x16x16_bf16 v[65:72], v[1:8], v[41:48], v[65:72]
	s_waitcnt lgkmcnt(4)
	s_delay_alu instid0(VALU_DEP_1) | instskip(SKIP_1) | instid1(VALU_DEP_1)
	v_wmma_f32_16x16x16_bf16 v[65:72], v[9:16], v[33:40], v[65:72]
	s_waitcnt lgkmcnt(2)
	v_wmma_f32_16x16x16_bf16 v[65:72], v[57:64], v[25:32], v[65:72]
	s_waitcnt lgkmcnt(0)
	s_delay_alu instid0(VALU_DEP_1) | instskip(NEXT) | instid1(VALU_DEP_1)
	v_wmma_f32_16x16x16_bf16 v[65:72], v[49:56], v[17:24], v[65:72]
	v_and_b32_e32 v1, 0x7f800000, v65
	s_delay_alu instid0(VALU_DEP_1) | instskip(SKIP_1) | instid1(SALU_CYCLE_1)
	v_cmp_ne_u32_e32 vcc_lo, 0x7f800000, v1
                                        ; implicit-def: $vgpr1
	s_and_saveexec_b32 s3, vcc_lo
	s_xor_b32 s3, exec_lo, s3
; %bb.79:
	v_bfe_u32 v1, v65, 16, 1
	s_delay_alu instid0(VALU_DEP_1)
	v_add3_u32 v1, v65, v1, 0x7fff
; %bb.80:
	s_and_not1_saveexec_b32 s3, s3
; %bb.81:
	v_and_b32_e32 v1, 0xffff, v65
	v_or_b32_e32 v2, 0x10000, v65
	s_delay_alu instid0(VALU_DEP_2) | instskip(NEXT) | instid1(VALU_DEP_2)
	v_cmp_eq_u32_e32 vcc_lo, 0, v1
	v_cndmask_b32_e32 v1, v2, v65, vcc_lo
; %bb.82:
	s_or_b32 exec_lo, exec_lo, s3
	v_and_b32_e32 v2, 0x7f800000, v66
	s_delay_alu instid0(VALU_DEP_1) | instskip(SKIP_1) | instid1(SALU_CYCLE_1)
	v_cmp_ne_u32_e32 vcc_lo, 0x7f800000, v2
                                        ; implicit-def: $vgpr2
	s_and_saveexec_b32 s3, vcc_lo
	s_xor_b32 s3, exec_lo, s3
; %bb.83:
	v_bfe_u32 v2, v66, 16, 1
	s_delay_alu instid0(VALU_DEP_1)
	v_add3_u32 v2, v66, v2, 0x7fff
; %bb.84:
	s_and_not1_saveexec_b32 s3, s3
; %bb.85:
	v_and_b32_e32 v2, 0xffff, v66
	v_or_b32_e32 v3, 0x10000, v66
	s_delay_alu instid0(VALU_DEP_2) | instskip(NEXT) | instid1(VALU_DEP_2)
	v_cmp_eq_u32_e32 vcc_lo, 0, v2
	v_cndmask_b32_e32 v2, v3, v66, vcc_lo
; %bb.86:
	s_or_b32 exec_lo, exec_lo, s3
	v_and_b32_e32 v3, 0x7f800000, v67
	s_delay_alu instid0(VALU_DEP_1) | instskip(SKIP_1) | instid1(SALU_CYCLE_1)
	v_cmp_ne_u32_e32 vcc_lo, 0x7f800000, v3
                                        ; implicit-def: $vgpr3
	s_and_saveexec_b32 s3, vcc_lo
	s_xor_b32 s3, exec_lo, s3
; %bb.87:
	v_bfe_u32 v3, v67, 16, 1
	s_delay_alu instid0(VALU_DEP_1)
	v_add3_u32 v3, v67, v3, 0x7fff
; %bb.88:
	s_and_not1_saveexec_b32 s3, s3
; %bb.89:
	v_and_b32_e32 v3, 0xffff, v67
	v_or_b32_e32 v4, 0x10000, v67
	s_delay_alu instid0(VALU_DEP_2) | instskip(NEXT) | instid1(VALU_DEP_2)
	v_cmp_eq_u32_e32 vcc_lo, 0, v3
	v_cndmask_b32_e32 v3, v4, v67, vcc_lo
; %bb.90:
	s_or_b32 exec_lo, exec_lo, s3
	v_and_b32_e32 v4, 0x7f800000, v68
	s_delay_alu instid0(VALU_DEP_1) | instskip(SKIP_1) | instid1(SALU_CYCLE_1)
	v_cmp_ne_u32_e32 vcc_lo, 0x7f800000, v4
                                        ; implicit-def: $vgpr4
	s_and_saveexec_b32 s3, vcc_lo
	s_xor_b32 s3, exec_lo, s3
; %bb.91:
	v_bfe_u32 v4, v68, 16, 1
	s_delay_alu instid0(VALU_DEP_1)
	v_add3_u32 v4, v68, v4, 0x7fff
; %bb.92:
	s_and_not1_saveexec_b32 s3, s3
; %bb.93:
	v_and_b32_e32 v4, 0xffff, v68
	v_or_b32_e32 v5, 0x10000, v68
	s_delay_alu instid0(VALU_DEP_2) | instskip(NEXT) | instid1(VALU_DEP_2)
	v_cmp_eq_u32_e32 vcc_lo, 0, v4
	v_cndmask_b32_e32 v4, v5, v68, vcc_lo
; %bb.94:
	s_or_b32 exec_lo, exec_lo, s3
	v_and_b32_e32 v5, 0x7f800000, v69
	s_delay_alu instid0(VALU_DEP_1) | instskip(SKIP_1) | instid1(SALU_CYCLE_1)
	v_cmp_ne_u32_e32 vcc_lo, 0x7f800000, v5
                                        ; implicit-def: $vgpr5
	s_and_saveexec_b32 s3, vcc_lo
	s_xor_b32 s3, exec_lo, s3
; %bb.95:
	v_bfe_u32 v5, v69, 16, 1
	s_delay_alu instid0(VALU_DEP_1)
	v_add3_u32 v5, v69, v5, 0x7fff
; %bb.96:
	s_and_not1_saveexec_b32 s3, s3
; %bb.97:
	v_and_b32_e32 v5, 0xffff, v69
	v_or_b32_e32 v6, 0x10000, v69
	s_delay_alu instid0(VALU_DEP_2) | instskip(NEXT) | instid1(VALU_DEP_2)
	v_cmp_eq_u32_e32 vcc_lo, 0, v5
	v_cndmask_b32_e32 v5, v6, v69, vcc_lo
; %bb.98:
	s_or_b32 exec_lo, exec_lo, s3
	v_and_b32_e32 v6, 0x7f800000, v70
	s_delay_alu instid0(VALU_DEP_1) | instskip(SKIP_1) | instid1(SALU_CYCLE_1)
	v_cmp_ne_u32_e32 vcc_lo, 0x7f800000, v6
                                        ; implicit-def: $vgpr6
	s_and_saveexec_b32 s3, vcc_lo
	s_xor_b32 s3, exec_lo, s3
; %bb.99:
	v_bfe_u32 v6, v70, 16, 1
	s_delay_alu instid0(VALU_DEP_1)
	v_add3_u32 v6, v70, v6, 0x7fff
; %bb.100:
	s_and_not1_saveexec_b32 s3, s3
; %bb.101:
	v_and_b32_e32 v6, 0xffff, v70
	v_or_b32_e32 v7, 0x10000, v70
	s_delay_alu instid0(VALU_DEP_2) | instskip(NEXT) | instid1(VALU_DEP_2)
	v_cmp_eq_u32_e32 vcc_lo, 0, v6
	v_cndmask_b32_e32 v6, v7, v70, vcc_lo
; %bb.102:
	s_or_b32 exec_lo, exec_lo, s3
	v_and_b32_e32 v7, 0x7f800000, v71
	s_delay_alu instid0(VALU_DEP_1) | instskip(SKIP_1) | instid1(SALU_CYCLE_1)
	v_cmp_ne_u32_e32 vcc_lo, 0x7f800000, v7
                                        ; implicit-def: $vgpr7
	s_and_saveexec_b32 s3, vcc_lo
	s_xor_b32 s3, exec_lo, s3
; %bb.103:
	v_bfe_u32 v7, v71, 16, 1
	s_delay_alu instid0(VALU_DEP_1)
	v_add3_u32 v7, v71, v7, 0x7fff
; %bb.104:
	s_and_not1_saveexec_b32 s3, s3
; %bb.105:
	v_and_b32_e32 v7, 0xffff, v71
	v_or_b32_e32 v8, 0x10000, v71
	s_delay_alu instid0(VALU_DEP_2) | instskip(NEXT) | instid1(VALU_DEP_2)
	v_cmp_eq_u32_e32 vcc_lo, 0, v7
	v_cndmask_b32_e32 v7, v8, v71, vcc_lo
; %bb.106:
	s_or_b32 exec_lo, exec_lo, s3
	v_and_b32_e32 v8, 0x7f800000, v72
	s_delay_alu instid0(VALU_DEP_1) | instskip(SKIP_1) | instid1(SALU_CYCLE_1)
	v_cmp_ne_u32_e32 vcc_lo, 0x7f800000, v8
                                        ; implicit-def: $vgpr8
	s_and_saveexec_b32 s3, vcc_lo
	s_xor_b32 s3, exec_lo, s3
; %bb.107:
	v_bfe_u32 v8, v72, 16, 1
	s_delay_alu instid0(VALU_DEP_1)
	v_add3_u32 v8, v72, v8, 0x7fff
                                        ; implicit-def: $vgpr65_vgpr66_vgpr67_vgpr68_vgpr69_vgpr70_vgpr71_vgpr72
; %bb.108:
	s_and_not1_saveexec_b32 s3, s3
; %bb.109:
	v_and_b32_e32 v8, 0xffff, v72
	v_or_b32_e32 v9, 0x10000, v72
	s_delay_alu instid0(VALU_DEP_2) | instskip(NEXT) | instid1(VALU_DEP_2)
	v_cmp_eq_u32_e32 vcc_lo, 0, v8
	v_cndmask_b32_e32 v8, v9, v72, vcc_lo
; %bb.110:
	s_or_b32 exec_lo, exec_lo, s3
	s_delay_alu instid0(VALU_DEP_1)
	v_perm_b32 v7, v8, v7, 0x7060302
	v_perm_b32 v6, v6, v5, 0x7060302
	;; [unrolled: 1-line block ×4, first 2 shown]
	s_barrier
	buffer_gl0_inv
	v_cmp_eq_u32_e32 vcc_lo, 1, v78
	ds_store_b128 v76, v[4:7]
	s_waitcnt lgkmcnt(0)
	s_barrier
	buffer_gl0_inv
	ds_load_b128 v[1:4], v82
	ds_load_b128 v[5:8], v82 offset:16
	v_cmp_eq_u32_e64 s3, 1, v79
	v_cmp_eq_u32_e64 s4, 2, v78
	;; [unrolled: 1-line block ×5, first 2 shown]
	s_waitcnt lgkmcnt(1)
	v_lshrrev_b32_e32 v9, 16, v1
	s_waitcnt lgkmcnt(0)
	v_lshrrev_b32_e32 v13, 16, v5
	v_lshrrev_b32_e32 v10, 16, v2
	;; [unrolled: 1-line block ×4, first 2 shown]
	v_cndmask_b32_e64 v19, v1, v9, s3
	v_cndmask_b32_e32 v18, v5, v13, vcc_lo
	v_cndmask_b32_e64 v20, v5, v13, s3
	v_cndmask_b32_e32 v17, v1, v9, vcc_lo
	v_cmp_eq_u32_e32 vcc_lo, 2, v79
	v_lshrrev_b32_e32 v15, 16, v7
	v_cmp_eq_u32_e64 s3, 1, v77
	v_lshrrev_b32_e32 v12, 16, v4
	v_lshrrev_b32_e32 v16, 16, v8
	v_cndmask_b32_e32 v20, v20, v6, vcc_lo
	v_cndmask_b32_e64 v17, v17, v2, s4
	v_cndmask_b32_e32 v19, v19, v2, vcc_lo
	v_cndmask_b32_e64 v18, v18, v6, s4
	v_cmp_eq_u32_e32 vcc_lo, 4, v78
	v_cmp_eq_u32_e64 s4, 3, v79
	v_cndmask_b32_e64 v17, v17, v10, s5
	v_cndmask_b32_e64 v21, v1, v9, s3
	v_cndmask_b32_e64 v18, v18, v14, s5
	v_cndmask_b32_e64 v22, v5, v13, s3
	v_cndmask_b32_e64 v19, v19, v10, s4
	v_cndmask_b32_e32 v17, v17, v3, vcc_lo
	v_cndmask_b32_e64 v20, v20, v14, s4
	v_cndmask_b32_e32 v18, v18, v7, vcc_lo
	v_cmp_eq_u32_e32 vcc_lo, 4, v79
	v_cmp_eq_u32_e64 s4, 5, v79
	v_cmp_eq_u32_e64 s3, 2, v81
	v_cndmask_b32_e64 v21, v21, v2, s7
	v_cmp_eq_u32_e64 s5, 5, v78
	v_cndmask_b32_e32 v19, v19, v3, vcc_lo
	v_cndmask_b32_e32 v20, v20, v7, vcc_lo
	v_cmp_eq_u32_e32 vcc_lo, 6, v79
	s_delay_alu instid0(VALU_DEP_4) | instskip(NEXT) | instid1(VALU_DEP_4)
	v_cndmask_b32_e64 v17, v17, v11, s5
	v_cndmask_b32_e64 v19, v19, v11, s4
	s_delay_alu instid0(VALU_DEP_4) | instskip(SKIP_1) | instid1(VALU_DEP_3)
	v_cndmask_b32_e64 v20, v20, v15, s4
	v_cmp_eq_u32_e64 s4, 1, v81
	v_cndmask_b32_e32 v19, v19, v4, vcc_lo
	v_cndmask_b32_e64 v18, v18, v15, s5
	s_delay_alu instid0(VALU_DEP_3)
	v_cndmask_b32_e64 v1, v1, v9, s4
	v_cndmask_b32_e64 v5, v5, v13, s4
	v_cmp_eq_u32_e64 s4, 3, v77
	v_cndmask_b32_e64 v13, v22, v6, s7
	v_cmp_eq_u32_e64 s7, 3, v81
	v_cndmask_b32_e64 v1, v1, v2, s3
	v_cndmask_b32_e64 v2, v5, v6, s3
	;; [unrolled: 1-line block ×3, first 2 shown]
	v_cmp_eq_u32_e64 s3, 4, v77
	v_cndmask_b32_e64 v6, v13, v14, s4
	v_cndmask_b32_e64 v1, v1, v10, s7
	v_cmp_eq_u32_e64 s4, 4, v81
	v_cndmask_b32_e64 v2, v2, v14, s7
	v_cndmask_b32_e64 v5, v9, v3, s3
	;; [unrolled: 3-line block ×3, first 2 shown]
	v_cndmask_b32_e64 v2, v2, v7, s4
	v_cmp_eq_u32_e64 s3, 5, v81
	v_cmp_eq_u32_e64 s5, 6, v78
	v_cndmask_b32_e64 v5, v5, v11, s7
	v_cmp_eq_u32_e64 s4, 6, v77
	v_cndmask_b32_e64 v3, v6, v15, s7
	v_cndmask_b32_e64 v1, v1, v11, s3
	v_cmp_eq_u32_e64 s7, 6, v81
	v_cndmask_b32_e64 v2, v2, v15, s3
	v_cndmask_b32_e64 v17, v17, v4, s5
	v_cndmask_b32_e64 v18, v18, v8, s5
	v_cmp_eq_u32_e64 s5, 7, v78
	v_cndmask_b32_e64 v5, v5, v4, s4
	;; [unrolled: 4-line block ×3, first 2 shown]
	v_cmp_eq_u32_e64 s4, 7, v77
	v_cndmask_b32_e32 v4, v20, v8, vcc_lo
	v_cndmask_b32_e64 v17, v17, v12, s5
	v_cndmask_b32_e64 v19, v19, v12, s6
	;; [unrolled: 1-line block ×8, first 2 shown]
	s_mov_b32 s3, exec_lo
	v_perm_b32 v4, v2, v1, 0x5040100
	v_perm_b32 v3, v3, v5, 0x5040100
	;; [unrolled: 1-line block ×4, first 2 shown]
	ds_store_b128 v76, v[1:4]
	s_waitcnt lgkmcnt(0)
	s_barrier
	buffer_gl0_inv
	v_cmpx_gt_u32_e32 32, v0
	s_cbranch_execz .LBB1552_2
; %bb.111:
	s_load_b64 s[4:5], s[0:1], 0x68
	v_lshlrev_b32_e32 v0, 10, v0
	v_add_nc_u32_e32 v2, s31, v74
	v_lshlrev_b32_e32 v3, 4, v75
	s_lshl_b32 s0, s34, 7
	s_delay_alu instid0(SALU_CYCLE_1) | instskip(NEXT) | instid1(VALU_DEP_2)
	s_mul_i32 s1, s0, s30
	v_mul_lo_u32 v1, v2, s0
	s_delay_alu instid0(VALU_DEP_2)
	v_and_or_b32 v0, 0x3800, v0, v3
	v_add_nc_u32_e32 v3, 2, v2
	s_mul_i32 s6, s1, s8
	v_add_nc_u32_e32 v4, 4, v2
	s_ashr_i32 s7, s6, 31
	v_lshl_or_b32 v11, v74, 6, v0
	s_lshl_b64 s[6:7], s[6:7], 1
	v_mul_lo_u32 v15, v3, s0
	v_mul_lo_u32 v17, v4, s0
	v_ashrrev_i32_e32 v2, 31, v1
	ds_load_b128 v[3:6], v11
	ds_load_b128 v[7:10], v11 offset:128
	ds_load_b128 v[11:14], v11 offset:256
	s_waitcnt lgkmcnt(0)
	s_add_u32 s1, s4, s6
	s_addc_u32 s3, s5, s7
	s_lshl_b32 s4, s14, 7
	v_ashrrev_i32_e32 v16, 31, v15
	s_ashr_i32 s5, s4, 31
	v_lshlrev_b64 v[19:20], 1, v[1:2]
	s_lshl_b64 s[4:5], s[4:5], 1
	v_ashrrev_i32_e32 v18, 31, v17
	s_add_u32 s1, s1, s4
	s_addc_u32 s3, s3, s5
	v_add_co_u32 v1, s1, s1, v73
	s_delay_alu instid0(VALU_DEP_1) | instskip(SKIP_1) | instid1(VALU_DEP_3)
	v_add_co_ci_u32_e64 v2, null, s3, 0, s1
	v_lshlrev_b64 v[15:16], 1, v[15:16]
	v_add_co_u32 v19, vcc_lo, v1, v19
	v_lshlrev_b64 v[17:18], 1, v[17:18]
	s_delay_alu instid0(VALU_DEP_4) | instskip(NEXT) | instid1(VALU_DEP_4)
	v_add_co_ci_u32_e32 v20, vcc_lo, v2, v20, vcc_lo
	v_add_co_u32 v15, vcc_lo, v1, v15
	v_add_co_ci_u32_e32 v16, vcc_lo, v2, v16, vcc_lo
	s_delay_alu instid0(VALU_DEP_4)
	v_add_co_u32 v17, vcc_lo, v1, v17
	v_add_co_ci_u32_e32 v18, vcc_lo, v2, v18, vcc_lo
	s_clause 0x2
	global_store_b128 v[19:20], v[3:6], off
	global_store_b128 v[15:16], v[7:10], off
	;; [unrolled: 1-line block ×3, first 2 shown]
	s_and_b32 exec_lo, exec_lo, s2
	s_cbranch_execz .LBB1552_2
; %bb.112:
	ds_load_b128 v[3:6], v0 offset:384
	s_add_i32 s1, s31, 6
	s_delay_alu instid0(SALU_CYCLE_1) | instskip(NEXT) | instid1(SALU_CYCLE_1)
	s_mul_i32 s0, s1, s0
	s_ashr_i32 s1, s0, 31
	s_delay_alu instid0(SALU_CYCLE_1) | instskip(NEXT) | instid1(SALU_CYCLE_1)
	s_lshl_b64 s[0:1], s[0:1], 1
	v_add_co_u32 v0, vcc_lo, v1, s0
	v_add_co_ci_u32_e32 v1, vcc_lo, s1, v2, vcc_lo
	s_waitcnt lgkmcnt(0)
	global_store_b128 v[0:1], v[3:6], off
	s_nop 0
	s_sendmsg sendmsg(MSG_DEALLOC_VGPRS)
	s_endpgm
	.section	.rodata,"a",@progbits
	.p2align	6, 0x0
	.amdhsa_kernel _Z39paged_attention_ll4mi_QKV_mfma16_kernelI14__hip_bfloat16hLN4vllm18Fp8KVCacheDataTypeE1ES0_Li16ELi128ELi256ELb1ELi7EL8MFMAType1EEvPKT_PKT0_S9_ifPKiSB_SB_iPKfiiiPfSE_PS4_PT2_iSD_SD_
		.amdhsa_group_segment_fixed_size 17472
		.amdhsa_private_segment_fixed_size 0
		.amdhsa_kernarg_size 400
		.amdhsa_user_sgpr_count 13
		.amdhsa_user_sgpr_dispatch_ptr 0
		.amdhsa_user_sgpr_queue_ptr 0
		.amdhsa_user_sgpr_kernarg_segment_ptr 1
		.amdhsa_user_sgpr_dispatch_id 0
		.amdhsa_user_sgpr_private_segment_size 0
		.amdhsa_wavefront_size32 1
		.amdhsa_uses_dynamic_stack 0
		.amdhsa_enable_private_segment 0
		.amdhsa_system_sgpr_workgroup_id_x 1
		.amdhsa_system_sgpr_workgroup_id_y 1
		.amdhsa_system_sgpr_workgroup_id_z 1
		.amdhsa_system_sgpr_workgroup_info 0
		.amdhsa_system_vgpr_workitem_id 0
		.amdhsa_next_free_vgpr 140
		.amdhsa_next_free_sgpr 36
		.amdhsa_reserve_vcc 1
		.amdhsa_float_round_mode_32 0
		.amdhsa_float_round_mode_16_64 0
		.amdhsa_float_denorm_mode_32 3
		.amdhsa_float_denorm_mode_16_64 3
		.amdhsa_dx10_clamp 1
		.amdhsa_ieee_mode 1
		.amdhsa_fp16_overflow 0
		.amdhsa_workgroup_processor_mode 1
		.amdhsa_memory_ordered 1
		.amdhsa_forward_progress 0
		.amdhsa_shared_vgpr_count 0
		.amdhsa_exception_fp_ieee_invalid_op 0
		.amdhsa_exception_fp_denorm_src 0
		.amdhsa_exception_fp_ieee_div_zero 0
		.amdhsa_exception_fp_ieee_overflow 0
		.amdhsa_exception_fp_ieee_underflow 0
		.amdhsa_exception_fp_ieee_inexact 0
		.amdhsa_exception_int_div_zero 0
	.end_amdhsa_kernel
	.section	.text._Z39paged_attention_ll4mi_QKV_mfma16_kernelI14__hip_bfloat16hLN4vllm18Fp8KVCacheDataTypeE1ES0_Li16ELi128ELi256ELb1ELi7EL8MFMAType1EEvPKT_PKT0_S9_ifPKiSB_SB_iPKfiiiPfSE_PS4_PT2_iSD_SD_,"axG",@progbits,_Z39paged_attention_ll4mi_QKV_mfma16_kernelI14__hip_bfloat16hLN4vllm18Fp8KVCacheDataTypeE1ES0_Li16ELi128ELi256ELb1ELi7EL8MFMAType1EEvPKT_PKT0_S9_ifPKiSB_SB_iPKfiiiPfSE_PS4_PT2_iSD_SD_,comdat
.Lfunc_end1552:
	.size	_Z39paged_attention_ll4mi_QKV_mfma16_kernelI14__hip_bfloat16hLN4vllm18Fp8KVCacheDataTypeE1ES0_Li16ELi128ELi256ELb1ELi7EL8MFMAType1EEvPKT_PKT0_S9_ifPKiSB_SB_iPKfiiiPfSE_PS4_PT2_iSD_SD_, .Lfunc_end1552-_Z39paged_attention_ll4mi_QKV_mfma16_kernelI14__hip_bfloat16hLN4vllm18Fp8KVCacheDataTypeE1ES0_Li16ELi128ELi256ELb1ELi7EL8MFMAType1EEvPKT_PKT0_S9_ifPKiSB_SB_iPKfiiiPfSE_PS4_PT2_iSD_SD_
                                        ; -- End function
	.section	.AMDGPU.csdata,"",@progbits
; Kernel info:
; codeLenInByte = 8952
; NumSgprs: 38
; NumVgprs: 140
; ScratchSize: 0
; MemoryBound: 0
; FloatMode: 240
; IeeeMode: 1
; LDSByteSize: 17472 bytes/workgroup (compile time only)
; SGPRBlocks: 4
; VGPRBlocks: 17
; NumSGPRsForWavesPerEU: 38
; NumVGPRsForWavesPerEU: 140
; Occupancy: 10
; WaveLimiterHint : 1
; COMPUTE_PGM_RSRC2:SCRATCH_EN: 0
; COMPUTE_PGM_RSRC2:USER_SGPR: 13
; COMPUTE_PGM_RSRC2:TRAP_HANDLER: 0
; COMPUTE_PGM_RSRC2:TGID_X_EN: 1
; COMPUTE_PGM_RSRC2:TGID_Y_EN: 1
; COMPUTE_PGM_RSRC2:TGID_Z_EN: 1
; COMPUTE_PGM_RSRC2:TIDIG_COMP_CNT: 0
	.section	.text._Z39paged_attention_ll4mi_QKV_mfma16_kernelI14__hip_bfloat16hLN4vllm18Fp8KVCacheDataTypeE1ES0_Li16ELi128ELi256ELb1ELi8EL8MFMAType1EEvPKT_PKT0_S9_ifPKiSB_SB_iPKfiiiPfSE_PS4_PT2_iSD_SD_,"axG",@progbits,_Z39paged_attention_ll4mi_QKV_mfma16_kernelI14__hip_bfloat16hLN4vllm18Fp8KVCacheDataTypeE1ES0_Li16ELi128ELi256ELb1ELi8EL8MFMAType1EEvPKT_PKT0_S9_ifPKiSB_SB_iPKfiiiPfSE_PS4_PT2_iSD_SD_,comdat
	.protected	_Z39paged_attention_ll4mi_QKV_mfma16_kernelI14__hip_bfloat16hLN4vllm18Fp8KVCacheDataTypeE1ES0_Li16ELi128ELi256ELb1ELi8EL8MFMAType1EEvPKT_PKT0_S9_ifPKiSB_SB_iPKfiiiPfSE_PS4_PT2_iSD_SD_ ; -- Begin function _Z39paged_attention_ll4mi_QKV_mfma16_kernelI14__hip_bfloat16hLN4vllm18Fp8KVCacheDataTypeE1ES0_Li16ELi128ELi256ELb1ELi8EL8MFMAType1EEvPKT_PKT0_S9_ifPKiSB_SB_iPKfiiiPfSE_PS4_PT2_iSD_SD_
	.globl	_Z39paged_attention_ll4mi_QKV_mfma16_kernelI14__hip_bfloat16hLN4vllm18Fp8KVCacheDataTypeE1ES0_Li16ELi128ELi256ELb1ELi8EL8MFMAType1EEvPKT_PKT0_S9_ifPKiSB_SB_iPKfiiiPfSE_PS4_PT2_iSD_SD_
	.p2align	8
	.type	_Z39paged_attention_ll4mi_QKV_mfma16_kernelI14__hip_bfloat16hLN4vllm18Fp8KVCacheDataTypeE1ES0_Li16ELi128ELi256ELb1ELi8EL8MFMAType1EEvPKT_PKT0_S9_ifPKiSB_SB_iPKfiiiPfSE_PS4_PT2_iSD_SD_,@function
_Z39paged_attention_ll4mi_QKV_mfma16_kernelI14__hip_bfloat16hLN4vllm18Fp8KVCacheDataTypeE1ES0_Li16ELi128ELi256ELb1ELi8EL8MFMAType1EEvPKT_PKT0_S9_ifPKiSB_SB_iPKfiiiPfSE_PS4_PT2_iSD_SD_: ; @_Z39paged_attention_ll4mi_QKV_mfma16_kernelI14__hip_bfloat16hLN4vllm18Fp8KVCacheDataTypeE1ES0_Li16ELi128ELi256ELb1ELi8EL8MFMAType1EEvPKT_PKT0_S9_ifPKiSB_SB_iPKfiiiPfSE_PS4_PT2_iSD_SD_
; %bb.0:
	s_load_b64 s[4:5], s[0:1], 0x30
	s_mov_b32 s30, s13
	s_waitcnt lgkmcnt(0)
	s_cmp_lg_u64 s[4:5], 0
	s_cselect_b32 s13, -1, 0
	s_ashr_i32 s31, s30, 31
	s_cmp_eq_u64 s[4:5], 0
	s_cbranch_scc1 .LBB1553_3
; %bb.1:
	s_lshl_b64 s[2:3], s[30:31], 2
	s_delay_alu instid0(SALU_CYCLE_1) | instskip(SKIP_4) | instid1(SALU_CYCLE_1)
	s_add_u32 s2, s4, s2
	s_addc_u32 s3, s5, s3
	s_load_b64 s[2:3], s[2:3], 0x0
	s_waitcnt lgkmcnt(0)
	s_sub_i32 s2, s3, s2
	s_cmp_eq_u32 s2, 1
	s_cselect_b32 s2, -1, 0
	s_delay_alu instid0(SALU_CYCLE_1)
	s_and_not1_b32 vcc_lo, exec_lo, s2
	s_cbranch_vccz .LBB1553_4
.LBB1553_2:
	s_endpgm
.LBB1553_3:
.LBB1553_4:
	s_load_b64 s[2:3], s[0:1], 0x28
	s_lshl_b64 s[6:7], s[30:31], 2
	s_waitcnt lgkmcnt(0)
	s_add_u32 s2, s2, s6
	s_addc_u32 s3, s3, s7
	s_lshl_b32 s12, s14, 8
	s_load_b32 s17, s[2:3], 0x0
	s_waitcnt lgkmcnt(0)
	s_cmp_ge_i32 s12, s17
	s_cbranch_scc1 .LBB1553_2
; %bb.5:
	s_clause 0x1
	s_load_b128 s[8:11], s[0:1], 0x8
	s_load_b64 s[2:3], s[0:1], 0x20
	s_and_not1_b32 vcc_lo, exec_lo, s13
	s_cbranch_vccnz .LBB1553_7
; %bb.6:
	s_add_u32 s4, s4, s6
	s_addc_u32 s5, s5, s7
	s_load_b32 s13, s[4:5], 0x0
	s_branch .LBB1553_8
.LBB1553_7:
	s_mov_b32 s13, s30
.LBB1553_8:
	s_load_b128 s[4:7], s[0:1], 0x48
	v_and_b32_e32 v66, 15, v0
	v_lshrrev_b32_e32 v65, 5, v0
	v_and_b32_e32 v67, 31, v0
	v_and_b32_e32 v75, 1, v0
	v_bfe_u32 v74, v0, 4, 1
	v_lshlrev_b32_e32 v1, 3, v66
	s_lshl_b32 s29, s15, 3
	s_waitcnt lgkmcnt(0)
	s_mov_b32 s7, exec_lo
	s_delay_alu instid0(VALU_DEP_1)
	v_lshlrev_b32_e32 v73, 1, v1
	v_cmpx_gt_u32_e32 0x80, v0
	s_cbranch_execz .LBB1553_10
; %bb.9:
	v_lshl_or_b32 v5, v65, 1, v74
	s_load_b64 s[18:19], s[0:1], 0x0
	s_mul_hi_i32 s21, s13, s4
	s_mul_i32 s20, s13, s4
	v_lshlrev_b32_e32 v6, 10, v66
	v_or_b32_e32 v1, s29, v5
	s_lshl_b64 s[20:21], s[20:21], 1
	v_lshlrev_b32_e32 v5, 6, v5
	v_lshlrev_b32_e32 v7, 10, v75
	v_and_b32_e32 v6, 0x3800, v6
	v_lshlrev_b32_e32 v1, 7, v1
	s_delay_alu instid0(VALU_DEP_2) | instskip(NEXT) | instid1(VALU_DEP_2)
	v_or3_b32 v5, v6, v7, v5
	v_ashrrev_i32_e32 v2, 31, v1
	s_delay_alu instid0(VALU_DEP_1) | instskip(SKIP_3) | instid1(VALU_DEP_1)
	v_lshlrev_b64 v[1:2], 1, v[1:2]
	s_waitcnt lgkmcnt(0)
	s_add_u32 s4, s18, s20
	s_addc_u32 s13, s19, s21
	v_add_co_u32 v1, vcc_lo, s4, v1
	s_delay_alu instid0(VALU_DEP_2) | instskip(NEXT) | instid1(VALU_DEP_2)
	v_add_co_ci_u32_e32 v2, vcc_lo, s13, v2, vcc_lo
	v_add_co_u32 v1, vcc_lo, v1, v73
	s_delay_alu instid0(VALU_DEP_2)
	v_add_co_ci_u32_e32 v2, vcc_lo, 0, v2, vcc_lo
	global_load_b128 v[1:4], v[1:2], off
	s_waitcnt vmcnt(0)
	ds_store_b128 v5, v[1:4]
.LBB1553_10:
	s_or_b32 exec_lo, exec_lo, s7
	v_and_b32_e32 v1, 0xef, v0
	s_add_i32 s4, s17, 15
	s_clause 0x1
	s_load_b32 s7, s[0:1], 0x38
	s_load_b32 s18, s[0:1], 0x1c
	s_ashr_i32 s13, s4, 31
	v_add_nc_u32_e32 v1, s12, v1
	s_lshr_b32 s13, s13, 28
	s_waitcnt lgkmcnt(0)
	s_add_i32 s4, s4, s13
	s_barrier
	v_ashrrev_i32_e32 v2, 31, v1
	v_or_b32_e32 v3, 16, v1
	s_ashr_i32 s4, s4, 4
	v_cmp_gt_i32_e32 vcc_lo, s17, v1
	s_add_i32 s4, s4, -1
	v_lshrrev_b32_e32 v2, 28, v2
	buffer_gl0_inv
	s_mul_i32 s15, s15, s6
	v_add_nc_u32_e32 v4, v1, v2
	s_mul_i32 s20, s30, s7
	s_delay_alu instid0(SALU_CYCLE_1) | instskip(NEXT) | instid1(VALU_DEP_1)
	s_ashr_i32 s21, s20, 31
	v_ashrrev_i32_e32 v4, 4, v4
	v_add_nc_u32_e32 v2, v3, v2
	s_lshl_b64 s[20:21], s[20:21], 2
	s_delay_alu instid0(SALU_CYCLE_1) | instskip(NEXT) | instid1(VALU_DEP_2)
	s_add_u32 s13, s2, s20
	v_cndmask_b32_e32 v1, s4, v4, vcc_lo
	s_delay_alu instid0(VALU_DEP_2)
	v_ashrrev_i32_e32 v2, 4, v2
	v_cmp_gt_i32_e32 vcc_lo, s17, v3
	s_addc_u32 s16, s3, s21
	s_ashr_i32 s19, s15, 31
	s_add_u32 s26, s8, s15
	s_addc_u32 s27, s9, s19
	v_cndmask_b32_e32 v3, s4, v2, vcc_lo
	v_ashrrev_i32_e32 v2, 31, v1
	s_lshl_b32 s2, s14, 4
	s_delay_alu instid0(SALU_CYCLE_1) | instskip(NEXT) | instid1(VALU_DEP_2)
	s_ashr_i32 s3, s2, 31
	v_ashrrev_i32_e32 v4, 31, v3
	s_delay_alu instid0(VALU_DEP_2) | instskip(SKIP_1) | instid1(SALU_CYCLE_1)
	v_lshlrev_b64 v[1:2], 2, v[1:2]
	s_lshl_b64 s[2:3], s[2:3], 2
	s_add_u32 s2, s13, s2
	s_delay_alu instid0(VALU_DEP_2) | instskip(SKIP_1) | instid1(VALU_DEP_2)
	v_lshlrev_b64 v[3:4], 2, v[3:4]
	s_addc_u32 s3, s16, s3
	v_add_co_u32 v1, vcc_lo, s13, v1
	v_add_co_ci_u32_e32 v2, vcc_lo, s16, v2, vcc_lo
	s_delay_alu instid0(VALU_DEP_3) | instskip(NEXT) | instid1(VALU_DEP_4)
	v_add_co_u32 v3, vcc_lo, s13, v3
	v_add_co_ci_u32_e32 v4, vcc_lo, s16, v4, vcc_lo
	s_clause 0x1
	global_load_b32 v5, v[1:2], off
	global_load_b32 v3, v[3:4], off
	s_or_b32 s6, s12, 32
	s_delay_alu instid0(SALU_CYCLE_1) | instskip(SKIP_2) | instid1(SALU_CYCLE_1)
	s_ashr_i32 s7, s6, 4
	s_cmp_lt_i32 s6, s17
	s_cselect_b32 s6, s7, s4
	s_ashr_i32 s7, s6, 31
	s_delay_alu instid0(SALU_CYCLE_1) | instskip(NEXT) | instid1(SALU_CYCLE_1)
	s_lshl_b64 s[6:7], s[6:7], 2
	s_add_u32 s6, s13, s6
	s_addc_u32 s7, s16, s7
	s_or_b32 s8, s12, 64
	s_delay_alu instid0(SALU_CYCLE_1) | instskip(SKIP_2) | instid1(SALU_CYCLE_1)
	s_ashr_i32 s9, s8, 4
	s_cmp_lt_i32 s8, s17
	s_cselect_b32 s8, s9, s4
	s_ashr_i32 s9, s8, 31
	s_delay_alu instid0(SALU_CYCLE_1) | instskip(NEXT) | instid1(SALU_CYCLE_1)
	s_lshl_b64 s[8:9], s[8:9], 2
	s_add_u32 s8, s13, s8
	s_addc_u32 s9, s16, s9
	;; [unrolled: 10-line block ×5, first 2 shown]
	s_clause 0x5
	s_load_b32 s28, s[2:3], 0x0
	s_load_b32 s31, s[6:7], 0x0
	;; [unrolled: 1-line block ×6, first 2 shown]
	s_mov_b32 s20, 0
	s_or_b32 s2, s12, 0xc0
	s_mov_b32 s21, s20
	s_mov_b32 s22, s20
	;; [unrolled: 1-line block ×5, first 2 shown]
	v_lshlrev_b32_e32 v1, 4, v0
	s_ashr_i32 s3, s2, 4
	s_cmp_lt_i32 s2, s17
	s_cselect_b32 s2, s3, s4
	s_delay_alu instid0(VALU_DEP_1) | instskip(SKIP_1) | instid1(SALU_CYCLE_1)
	v_and_b32_e32 v1, 0xf0, v1
	s_ashr_i32 s3, s2, 31
	s_lshl_b64 s[2:3], s[2:3], 2
	s_delay_alu instid0(VALU_DEP_1) | instskip(NEXT) | instid1(VALU_DEP_1)
	v_add_co_u32 v1, s26, s26, v1
	v_add_co_ci_u32_e64 v2, null, s27, 0, s26
	s_add_u32 s2, s13, s2
	s_addc_u32 s3, s16, s3
	s_or_b32 s6, s12, 0xe0
	s_mov_b32 s26, s20
	s_ashr_i32 s7, s6, 4
	s_cmp_lt_i32 s6, s17
	s_mov_b32 s27, s20
	s_cselect_b32 s6, s7, s4
	v_dual_mov_b32 v107, s27 :: v_dual_mov_b32 v100, s20
	s_ashr_i32 s7, s6, 31
	v_mov_b32_e32 v106, s26
	s_lshl_b64 s[6:7], s[6:7], 2
	v_dual_mov_b32 v104, s24 :: v_dual_mov_b32 v103, s23
	v_dual_mov_b32 v102, s22 :: v_dual_mov_b32 v101, s21
	v_mov_b32_e32 v105, s25
	s_waitcnt vmcnt(1)
	v_mad_i64_i32 v[33:34], null, v5, s5, v[1:2]
	s_waitcnt vmcnt(0)
	v_mad_i64_i32 v[35:36], null, v3, s5, v[1:2]
	s_clause 0xf
	global_load_b128 v[1:4], v[33:34], off
	global_load_b128 v[5:8], v[33:34], off offset:256
	global_load_b128 v[9:12], v[35:36], off
	global_load_b128 v[13:16], v[35:36], off offset:256
	global_load_b128 v[17:20], v[33:34], off offset:512
	;; [unrolled: 1-line block ×13, first 2 shown]
	v_and_b32_e32 v33, 7, v0
	v_lshlrev_b32_e32 v34, 4, v66
	s_delay_alu instid0(VALU_DEP_2) | instskip(NEXT) | instid1(VALU_DEP_2)
	v_lshlrev_b32_e32 v72, 6, v33
	v_lshl_or_b32 v41, v65, 8, v34
	ds_load_b128 v[33:36], v72
	ds_load_b128 v[37:40], v72 offset:1024
	ds_load_b128 v[108:111], v72 offset:2048
	;; [unrolled: 1-line block ×3, first 2 shown]
	s_load_b32 s4, s[2:3], 0x0
	s_add_u32 s2, s13, s6
	s_addc_u32 s3, s16, s7
	ds_load_b128 v[116:119], v72 offset:4096
	ds_load_b128 v[120:123], v72 offset:5120
	s_load_b32 s2, s[2:3], 0x0
	s_add_u32 s6, s10, s15
	s_addc_u32 s7, s11, s19
	v_add_co_u32 v68, s6, s6, v41
	s_delay_alu instid0(VALU_DEP_1) | instskip(SKIP_1) | instid1(VALU_DEP_1)
	v_add_co_ci_u32_e64 v69, null, s7, 0, s6
	s_waitcnt lgkmcnt(0)
	v_mad_i64_i32 v[41:42], null, s28, s5, v[68:69]
	v_mad_i64_i32 v[70:71], null, s8, s5, v[68:69]
	;; [unrolled: 1-line block ×7, first 2 shown]
	s_clause 0x3
	global_load_b128 v[49:52], v[41:42], off
	global_load_b128 v[53:56], v[41:42], off offset:16
	global_load_b128 v[41:44], v[45:46], off
	global_load_b128 v[45:48], v[45:46], off offset:16
	s_waitcnt vmcnt(18)
	v_wmma_f32_16x16x16_bf16 v[124:131], v[1:8], v[33:40], v[100:107]
	s_waitcnt vmcnt(16)
	v_wmma_f32_16x16x16_bf16 v[100:107], v[9:16], v[33:40], v[100:107]
	s_clause 0x1
	global_load_b128 v[33:36], v[70:71], off
	global_load_b128 v[37:40], v[70:71], off offset:16
	v_mad_i64_i32 v[70:71], null, s2, s5, v[68:69]
	s_waitcnt vmcnt(16)
	v_wmma_f32_16x16x16_bf16 v[124:131], v[17:24], v[108:115], v[124:131]
	s_waitcnt vmcnt(14)
	v_wmma_f32_16x16x16_bf16 v[100:107], v[25:32], v[108:115], v[100:107]
	s_clause 0x7
	global_load_b128 v[25:28], v[132:133], off
	global_load_b128 v[29:32], v[132:133], off offset:16
	global_load_b128 v[1:4], v[134:135], off
	global_load_b128 v[5:8], v[134:135], off offset:16
	;; [unrolled: 2-line block ×4, first 2 shown]
	s_waitcnt vmcnt(20)
	v_wmma_f32_16x16x16_bf16 v[124:131], v[57:64], v[116:123], v[124:131]
	s_clause 0x1
	global_load_b128 v[57:60], v[70:71], off
	global_load_b128 v[61:64], v[70:71], off offset:16
	s_waitcnt vmcnt(20)
	v_wmma_f32_16x16x16_bf16 v[100:107], v[76:83], v[116:123], v[100:107]
	ds_load_b128 v[76:79], v72 offset:6144
	ds_load_b128 v[80:83], v72 offset:7168
	v_and_b32_e32 v68, 0xe0, v0
	v_mbcnt_lo_u32_b32 v69, -1, 0
	s_waitcnt vmcnt(0) lgkmcnt(0)
	s_barrier
	buffer_gl0_inv
	v_add_nc_u32_e32 v68, s12, v68
	v_xor_b32_e32 v70, 16, v69
	s_delay_alu instid0(VALU_DEP_2) | instskip(NEXT) | instid1(VALU_DEP_2)
	v_or_b32_e32 v68, v68, v74
	v_cmp_gt_i32_e32 vcc_lo, 32, v70
	s_delay_alu instid0(VALU_DEP_2)
	v_or_b32_e32 v71, 4, v68
	v_or_b32_e32 v72, 6, v68
	v_cmp_gt_i32_e64 s2, s17, v68
	v_or_b32_e32 v108, 8, v68
	v_wmma_f32_16x16x16_bf16 v[124:131], v[84:91], v[76:83], v[124:131]
	v_cndmask_b32_e32 v69, v69, v70, vcc_lo
	v_or_b32_e32 v70, 2, v68
	v_wmma_f32_16x16x16_bf16 v[100:107], v[92:99], v[76:83], v[100:107]
	v_or_b32_e32 v109, 10, v68
	v_dual_mul_f32 v80, s18, v129 :: v_dual_mul_f32 v81, s18, v128
	v_dual_mul_f32 v92, s18, v125 :: v_dual_mul_f32 v93, s18, v124
	s_delay_alu instid0(VALU_DEP_4)
	v_mul_f32_e32 v96, s18, v105
	v_cmp_gt_i32_e32 vcc_lo, s17, v70
	v_or_b32_e32 v89, 22, v68
	v_dual_mul_f32 v79, s18, v130 :: v_dual_mul_f32 v82, s18, v127
	v_dual_mul_f32 v83, s18, v126 :: v_dual_mul_f32 v94, s18, v107
	v_cndmask_b32_e64 v93, 0xff7fffff, v93, s2
	v_cndmask_b32_e32 v92, 0xff7fffff, v92, vcc_lo
	v_cmp_gt_i32_e64 s3, s17, v71
	v_cmp_gt_i32_e64 s4, s17, v72
	v_or_b32_e32 v84, 12, v68
	v_or_b32_e32 v85, 14, v68
	v_cmp_gt_i32_e64 s5, s17, v108
	v_cndmask_b32_e64 v71, 0xff7fffff, v83, s3
	v_cndmask_b32_e64 v72, 0xff7fffff, v82, s4
	v_cmp_gt_i32_e64 s6, s17, v109
	v_cmp_gt_i32_e64 s12, s17, v89
	v_lshlrev_b32_e32 v89, 2, v69
	v_max3_f32 v82, v93, 0xff7fffff, v92
	v_or_b32_e32 v86, 16, v68
	v_or_b32_e32 v87, 18, v68
	v_mul_f32_e32 v78, s18, v131
	v_cndmask_b32_e64 v81, 0xff7fffff, v81, s5
	v_cndmask_b32_e64 v80, 0xff7fffff, v80, s6
	v_max3_f32 v71, v82, v71, v72
	v_cmp_gt_i32_e64 s7, s17, v84
	v_cmp_gt_i32_e64 s8, s17, v85
	v_or_b32_e32 v88, 20, v68
	v_or_b32_e32 v90, 24, v68
	;; [unrolled: 1-line block ×5, first 2 shown]
	v_dual_mul_f32 v97, s18, v104 :: v_dual_mul_f32 v70, s18, v101
	v_dual_mul_f32 v99, s18, v102 :: v_dual_mul_f32 v68, s18, v100
	v_cndmask_b32_e64 v72, 0xff7fffff, v79, s7
	v_cndmask_b32_e64 v78, 0xff7fffff, v78, s8
	v_max3_f32 v71, v71, v81, v80
	v_cmp_gt_i32_e64 s9, s17, v86
	v_cmp_gt_i32_e64 s10, s17, v87
	v_dual_mul_f32 v95, s18, v106 :: v_dual_mul_f32 v98, s18, v103
	s_delay_alu instid0(VALU_DEP_4) | instskip(NEXT) | instid1(VALU_DEP_4)
	v_max3_f32 v71, v71, v72, v78
	v_cndmask_b32_e64 v68, 0xff7fffff, v68, s9
	s_delay_alu instid0(VALU_DEP_4)
	v_cndmask_b32_e64 v70, 0xff7fffff, v70, s10
	v_cmp_gt_i32_e64 s11, s17, v88
	v_cndmask_b32_e64 v78, 0xff7fffff, v98, s12
	v_cmp_gt_i32_e64 s13, s17, v90
	v_cmp_gt_i32_e64 s15, s17, v91
	v_max3_f32 v68, v71, v68, v70
	v_cndmask_b32_e64 v72, 0xff7fffff, v99, s11
	v_cmp_gt_i32_e64 s16, s17, v76
	v_cndmask_b32_e64 v70, 0xff7fffff, v97, s13
	v_cndmask_b32_e64 v71, 0xff7fffff, v96, s15
	v_cmp_gt_i32_e64 s17, s17, v77
	v_max3_f32 v68, v68, v72, v78
	v_cndmask_b32_e64 v72, 0xff7fffff, v95, s16
	s_delay_alu instid0(VALU_DEP_3) | instskip(NEXT) | instid1(VALU_DEP_3)
	v_cndmask_b32_e64 v76, 0xff7fffff, v94, s17
	v_max3_f32 v68, v68, v70, v71
	s_delay_alu instid0(VALU_DEP_1) | instskip(SKIP_3) | instid1(VALU_DEP_1)
	v_max3_f32 v68, v68, v72, v76
	ds_bpermute_b32 v69, v89, v68
	s_waitcnt lgkmcnt(0)
	v_max_f32_e32 v69, v69, v69
	v_max_f32_e32 v68, v68, v69
	s_delay_alu instid0(VALU_DEP_1) | instskip(NEXT) | instid1(VALU_DEP_1)
	v_fma_f32 v71, s18, v126, -v68
	v_mul_f32_e32 v71, 0x3fb8aa3b, v71
	v_fma_f32 v70, s18, v125, -v68
	v_fma_f32 v69, s18, v124, -v68
	;; [unrolled: 1-line block ×5, first 2 shown]
	s_delay_alu instid0(VALU_DEP_4) | instskip(SKIP_1) | instid1(VALU_DEP_3)
	v_dual_mul_f32 v70, 0x3fb8aa3b, v70 :: v_dual_mul_f32 v69, 0x3fb8aa3b, v69
	v_exp_f32_e32 v71, v71
	v_mul_f32_e32 v72, 0x3fb8aa3b, v72
	v_fma_f32 v81, s18, v105, -v68
	s_delay_alu instid0(VALU_DEP_3)
	v_exp_f32_e32 v70, v70
	v_mul_f32_e32 v77, 0x3fb8aa3b, v76
	v_exp_f32_e32 v69, v69
	v_exp_f32_e32 v72, v72
	v_mul_f32_e32 v81, 0x3fb8aa3b, v81
	v_cndmask_b32_e64 v83, 0, v71, s3
	v_fma_f32 v71, s18, v131, -v68
	s_delay_alu instid0(VALU_DEP_3) | instskip(SKIP_4) | instid1(TRANS32_DEP_3)
	v_exp_f32_e32 v81, v81
	v_cndmask_b32_e32 v76, 0, v70, vcc_lo
	v_exp_f32_e32 v77, v77
	v_cndmask_b32_e64 v80, 0, v69, s2
	v_fma_f32 v69, s18, v129, -v68
	v_cndmask_b32_e64 v85, 0, v72, s4
	v_mul_f32_e32 v71, 0x3fb8aa3b, v71
	v_fma_f32 v72, s18, v100, -v68
	s_delay_alu instid0(VALU_DEP_4) | instskip(SKIP_1) | instid1(VALU_DEP_3)
	v_dual_add_f32 v70, 0, v80 :: v_dual_mul_f32 v69, 0x3fb8aa3b, v69
	s_mov_b32 s2, exec_lo
	v_exp_f32_e32 v71, v71
	s_delay_alu instid0(TRANS32_DEP_2) | instskip(SKIP_4) | instid1(VALU_DEP_3)
	v_cndmask_b32_e64 v86, 0, v77, s5
	v_fma_f32 v77, s18, v101, -v68
	v_mul_f32_e32 v78, 0x3fb8aa3b, v78
	v_add_f32_e32 v70, v70, v76
	v_exp_f32_e32 v69, v69
	v_mul_f32_e32 v77, 0x3fb8aa3b, v77
	s_delay_alu instid0(VALU_DEP_3) | instskip(NEXT) | instid1(TRANS32_DEP_3)
	v_exp_f32_e32 v78, v78
	v_cndmask_b32_e64 v88, 0, v71, s8
	v_fma_f32 v71, s18, v104, -v68
	s_delay_alu instid0(VALU_DEP_3) | instskip(NEXT) | instid1(TRANS32_DEP_3)
	v_exp_f32_e32 v77, v77
	v_cndmask_b32_e64 v87, 0, v69, s6
	s_delay_alu instid0(VALU_DEP_2)
	v_mul_f32_e32 v71, 0x3fb8aa3b, v71
	s_waitcnt_depctr 0xfff
	v_cndmask_b32_e64 v84, 0, v78, s7
	v_add_f32_e32 v70, v70, v83
	v_fma_f32 v78, s18, v103, -v68
	v_exp_f32_e32 v82, v71
	s_delay_alu instid0(VALU_DEP_2) | instskip(SKIP_1) | instid1(VALU_DEP_3)
	v_add_f32_e32 v70, v70, v85
	v_mul_f32_e32 v72, 0x3fb8aa3b, v72
	v_mul_f32_e32 v78, 0x3fb8aa3b, v78
	s_delay_alu instid0(VALU_DEP_3) | instskip(SKIP_1) | instid1(VALU_DEP_4)
	v_add_f32_e32 v69, v70, v86
	v_fma_f32 v70, s18, v102, -v68
	v_exp_f32_e32 v72, v72
	s_delay_alu instid0(VALU_DEP_3) | instskip(NEXT) | instid1(VALU_DEP_1)
	v_exp_f32_e32 v78, v78
	v_dual_add_f32 v69, v69, v87 :: v_dual_mul_f32 v70, 0x3fb8aa3b, v70
	s_delay_alu instid0(VALU_DEP_1) | instskip(NEXT) | instid1(VALU_DEP_2)
	v_add_f32_e32 v69, v69, v84
	v_exp_f32_e32 v79, v70
	s_delay_alu instid0(TRANS32_DEP_3) | instskip(NEXT) | instid1(VALU_DEP_2)
	v_cndmask_b32_e64 v70, 0, v72, s9
	v_add_f32_e32 v72, v69, v88
	v_cndmask_b32_e64 v69, 0, v77, s10
	v_fma_f32 v77, s18, v106, -v68
	s_waitcnt_depctr 0xfff
	v_cndmask_b32_e64 v71, 0, v79, s11
	v_dual_mul_f32 v77, 0x3fb8aa3b, v77 :: v_dual_add_f32 v72, v72, v70
	s_delay_alu instid0(VALU_DEP_1) | instskip(NEXT) | instid1(VALU_DEP_1)
	v_exp_f32_e32 v90, v77
	v_add_f32_e32 v79, v72, v69
	v_cndmask_b32_e64 v72, 0, v78, s12
	v_cndmask_b32_e64 v77, 0, v82, s13
	s_delay_alu instid0(VALU_DEP_3) | instskip(SKIP_1) | instid1(VALU_DEP_1)
	v_add_f32_e32 v78, v79, v71
	v_fma_f32 v79, s18, v107, -v68
	v_dual_add_f32 v82, v78, v72 :: v_dual_mul_f32 v79, 0x3fb8aa3b, v79
	v_cndmask_b32_e64 v78, 0, v81, s15
	s_delay_alu instid0(VALU_DEP_2) | instskip(NEXT) | instid1(VALU_DEP_3)
	v_add_f32_e32 v81, v82, v77
	v_exp_f32_e32 v82, v79
	v_cndmask_b32_e64 v79, 0, v90, s16
	s_delay_alu instid0(VALU_DEP_2) | instskip(NEXT) | instid1(VALU_DEP_1)
	v_add_f32_e32 v81, v81, v78
	v_add_f32_e32 v90, v81, v79
	s_waitcnt_depctr 0xfff
	v_cndmask_b32_e64 v81, 0, v82, s17
	s_delay_alu instid0(VALU_DEP_1)
	v_add_f32_e32 v82, v90, v81
	ds_bpermute_b32 v89, v89, v82
	v_cmpx_gt_u32_e32 16, v67
	s_cbranch_execz .LBB1553_12
; %bb.11:
	v_mul_u32_u24_e32 v67, 0x44, v65
	s_delay_alu instid0(VALU_DEP_1) | instskip(SKIP_1) | instid1(VALU_DEP_1)
	v_lshl_add_u32 v67, v66, 2, v67
	s_waitcnt lgkmcnt(0)
	v_dual_add_f32 v82, v82, v89 :: v_dual_add_nc_u32 v67, 0x4000, v67
	ds_store_2addr_b32 v67, v68, v82 offset1:136
.LBB1553_12:
	s_or_b32 exec_lo, exec_lo, s2
	v_lshlrev_b32_e32 v67, 2, v66
	s_waitcnt lgkmcnt(0)
	s_barrier
	buffer_gl0_inv
	v_cmp_eq_u32_e32 vcc_lo, 1, v65
	v_add_nc_u32_e32 v82, 0x4000, v67
	v_cmp_eq_u32_e64 s2, 2, v65
	v_cmp_eq_u32_e64 s4, 7, v65
	ds_load_2addr_b32 v[89:90], v82 offset1:17
	ds_load_2addr_b32 v[91:92], v82 offset0:34 offset1:51
	ds_load_2addr_b32 v[93:94], v82 offset0:68 offset1:85
	;; [unrolled: 1-line block ×4, first 2 shown]
	s_waitcnt lgkmcnt(4)
	v_max3_f32 v67, v89, 0xff7fffff, v90
	s_waitcnt lgkmcnt(3)
	s_delay_alu instid0(VALU_DEP_1) | instskip(SKIP_1) | instid1(VALU_DEP_1)
	v_max3_f32 v67, v67, v91, v92
	s_waitcnt lgkmcnt(2)
	v_max3_f32 v67, v67, v93, v94
	s_waitcnt lgkmcnt(1)
	s_delay_alu instid0(VALU_DEP_1) | instskip(NEXT) | instid1(VALU_DEP_1)
	v_max3_f32 v67, v67, v95, v96
	v_sub_f32_e32 v93, v93, v67
	s_delay_alu instid0(VALU_DEP_1) | instskip(NEXT) | instid1(VALU_DEP_1)
	v_dual_sub_f32 v68, v89, v67 :: v_dual_mul_f32 v103, 0x3fb8aa3b, v93
	v_mul_f32_e32 v68, 0x3fb8aa3b, v68
	s_delay_alu instid0(VALU_DEP_1)
	v_exp_f32_e32 v100, v68
	v_sub_f32_e32 v68, v92, v67
	v_sub_f32_e32 v99, v90, v67
	ds_load_2addr_b32 v[89:90], v82 offset0:170 offset1:187
	v_dual_mul_f32 v102, 0x3fb8aa3b, v68 :: v_dual_mul_f32 v99, 0x3fb8aa3b, v99
	s_waitcnt lgkmcnt(1)
	v_fma_f32 v68, v100, v97, 0
	s_delay_alu instid0(VALU_DEP_2) | instskip(NEXT) | instid1(VALU_DEP_2)
	v_exp_f32_e32 v102, v102
	v_exp_f32_e32 v99, v99
	s_waitcnt_depctr 0xfff
	v_fmac_f32_e32 v68, v99, v98
	v_sub_f32_e32 v91, v91, v67
	s_delay_alu instid0(VALU_DEP_1)
	v_mul_f32_e32 v101, 0x3fb8aa3b, v91
	ds_load_2addr_b32 v[91:92], v82 offset0:204 offset1:221
	v_sub_f32_e32 v97, v94, v67
	ds_load_2addr_b32 v[93:94], v82 offset0:238 offset1:255
	s_waitcnt lgkmcnt(0)
	v_exp_f32_e32 v101, v101
	s_barrier
	buffer_gl0_inv
	v_dual_fmac_f32 v68, v101, v89 :: v_dual_sub_f32 v89, v96, v67
	v_dual_sub_f32 v82, v95, v67 :: v_dual_mul_f32 v95, 0x3fb8aa3b, v97
	v_exp_f32_e32 v97, v103
	s_delay_alu instid0(VALU_DEP_2) | instskip(NEXT) | instid1(VALU_DEP_2)
	v_dual_fmac_f32 v68, v102, v90 :: v_dual_mul_f32 v89, 0x3fb8aa3b, v89
	v_mul_f32_e32 v82, 0x3fb8aa3b, v82
	s_delay_alu instid0(VALU_DEP_3) | instskip(NEXT) | instid1(VALU_DEP_2)
	v_exp_f32_e32 v95, v95
	v_exp_f32_e32 v89, v89
	s_delay_alu instid0(VALU_DEP_1)
	v_exp_f32_e32 v82, v82
	v_fmac_f32_e32 v68, v97, v91
	s_delay_alu instid0(TRANS32_DEP_3) | instid1(VALU_DEP_1)
	v_fmac_f32_e32 v68, v95, v92
	s_waitcnt_depctr 0xfff
	v_fmac_f32_e32 v68, v82, v93
	s_delay_alu instid0(VALU_DEP_1) | instskip(NEXT) | instid1(VALU_DEP_1)
	v_fmac_f32_e32 v68, v89, v94
	v_add_f32_e32 v90, 0x358637bd, v68
	s_delay_alu instid0(VALU_DEP_1) | instskip(NEXT) | instid1(VALU_DEP_1)
	v_div_scale_f32 v91, null, v90, v90, 1.0
	v_rcp_f32_e32 v92, v91
	s_waitcnt_depctr 0xfff
	v_fma_f32 v93, -v91, v92, 1.0
	s_delay_alu instid0(VALU_DEP_1) | instskip(SKIP_1) | instid1(VALU_DEP_2)
	v_dual_fmac_f32 v92, v93, v92 :: v_dual_cndmask_b32 v93, v100, v99
	v_cmp_eq_u32_e32 vcc_lo, 3, v65
	v_cndmask_b32_e64 v93, v93, v101, s2
	v_cmp_eq_u32_e64 s2, 4, v65
	s_delay_alu instid0(VALU_DEP_2) | instskip(SKIP_1) | instid1(VALU_DEP_2)
	v_cndmask_b32_e32 v93, v93, v102, vcc_lo
	v_cmp_eq_u32_e32 vcc_lo, 5, v65
	v_cndmask_b32_e64 v93, v93, v97, s2
	v_cmp_eq_u32_e64 s2, 6, v65
	s_delay_alu instid0(VALU_DEP_2) | instskip(SKIP_1) | instid1(VALU_DEP_1)
	v_cndmask_b32_e32 v93, v93, v95, vcc_lo
	v_div_scale_f32 v94, s3, 1.0, v90, 1.0
	s_mov_b32 vcc_lo, s3
	s_delay_alu instid0(VALU_DEP_2) | instskip(NEXT) | instid1(VALU_DEP_2)
	v_cndmask_b32_e64 v82, v93, v82, s2
	v_mul_f32_e32 v96, v94, v92
	s_mov_b32 s2, exec_lo
	s_delay_alu instid0(VALU_DEP_2) | instskip(NEXT) | instid1(VALU_DEP_2)
	v_cndmask_b32_e64 v82, v82, v89, s4
	v_fma_f32 v98, -v91, v96, v94
	s_delay_alu instid0(VALU_DEP_1) | instskip(NEXT) | instid1(VALU_DEP_1)
	v_fmac_f32_e32 v96, v98, v92
	v_fma_f32 v91, -v91, v96, v94
	s_delay_alu instid0(VALU_DEP_1) | instskip(NEXT) | instid1(VALU_DEP_1)
	v_div_fmas_f32 v91, v91, v92, v96
	v_div_fixup_f32 v90, v91, v90, 1.0
	s_delay_alu instid0(VALU_DEP_1) | instskip(NEXT) | instid1(VALU_DEP_1)
	v_mul_f32_e32 v82, v82, v90
	v_mul_f32_e32 v87, v82, v87
	v_mul_f32_e32 v90, v82, v80
	v_mul_f32_e32 v80, v82, v88
	v_mul_f32_e32 v84, v82, v84
	v_mul_f32_e32 v88, v82, v86
	v_mul_f32_e32 v89, v82, v85
	v_dual_mul_f32 v86, v82, v83 :: v_dual_and_b32 v91, 0x7f800000, v90
	v_mul_f32_e32 v85, v82, v76
                                        ; implicit-def: $vgpr76
	s_delay_alu instid0(VALU_DEP_2)
	v_cmpx_ne_u32_e32 0x7f800000, v91
	s_xor_b32 s2, exec_lo, s2
; %bb.13:
	v_bfe_u32 v76, v90, 16, 1
	s_delay_alu instid0(VALU_DEP_1)
	v_add3_u32 v76, v90, v76, 0x7fff
                                        ; implicit-def: $vgpr90
; %bb.14:
	s_and_not1_saveexec_b32 s2, s2
; %bb.15:
	v_and_b32_e32 v76, 0xffff, v90
	v_or_b32_e32 v83, 0x10000, v90
	s_delay_alu instid0(VALU_DEP_2) | instskip(NEXT) | instid1(VALU_DEP_2)
	v_cmp_eq_u32_e32 vcc_lo, 0, v76
	v_cndmask_b32_e32 v76, v83, v90, vcc_lo
; %bb.16:
	s_or_b32 exec_lo, exec_lo, s2
	v_and_b32_e32 v83, 0x7f800000, v85
	s_delay_alu instid0(VALU_DEP_1) | instskip(SKIP_1) | instid1(SALU_CYCLE_1)
	v_cmp_ne_u32_e32 vcc_lo, 0x7f800000, v83
                                        ; implicit-def: $vgpr83
	s_and_saveexec_b32 s2, vcc_lo
	s_xor_b32 s2, exec_lo, s2
; %bb.17:
	v_bfe_u32 v83, v85, 16, 1
	s_delay_alu instid0(VALU_DEP_1)
	v_add3_u32 v83, v85, v83, 0x7fff
                                        ; implicit-def: $vgpr85
; %bb.18:
	s_and_not1_saveexec_b32 s2, s2
; %bb.19:
	v_and_b32_e32 v83, 0xffff, v85
	v_or_b32_e32 v90, 0x10000, v85
	s_delay_alu instid0(VALU_DEP_2) | instskip(NEXT) | instid1(VALU_DEP_2)
	v_cmp_eq_u32_e32 vcc_lo, 0, v83
	v_cndmask_b32_e32 v83, v90, v85, vcc_lo
; %bb.20:
	s_or_b32 exec_lo, exec_lo, s2
	v_and_b32_e32 v85, 0x7f800000, v86
	s_delay_alu instid0(VALU_DEP_1) | instskip(SKIP_1) | instid1(SALU_CYCLE_1)
	v_cmp_ne_u32_e32 vcc_lo, 0x7f800000, v85
                                        ; implicit-def: $vgpr85
	s_and_saveexec_b32 s2, vcc_lo
	s_xor_b32 s2, exec_lo, s2
; %bb.21:
	v_bfe_u32 v85, v86, 16, 1
	s_delay_alu instid0(VALU_DEP_1)
	v_add3_u32 v85, v86, v85, 0x7fff
                                        ; implicit-def: $vgpr86
; %bb.22:
	s_and_not1_saveexec_b32 s2, s2
; %bb.23:
	v_and_b32_e32 v85, 0xffff, v86
	v_or_b32_e32 v90, 0x10000, v86
	s_delay_alu instid0(VALU_DEP_2) | instskip(NEXT) | instid1(VALU_DEP_2)
	v_cmp_eq_u32_e32 vcc_lo, 0, v85
	v_cndmask_b32_e32 v85, v90, v86, vcc_lo
; %bb.24:
	s_or_b32 exec_lo, exec_lo, s2
	v_and_b32_e32 v86, 0x7f800000, v89
	s_delay_alu instid0(VALU_DEP_1) | instskip(SKIP_1) | instid1(SALU_CYCLE_1)
	v_cmp_ne_u32_e32 vcc_lo, 0x7f800000, v86
                                        ; implicit-def: $vgpr86
	s_and_saveexec_b32 s2, vcc_lo
	s_xor_b32 s2, exec_lo, s2
; %bb.25:
	v_bfe_u32 v86, v89, 16, 1
	s_delay_alu instid0(VALU_DEP_1)
	v_add3_u32 v86, v89, v86, 0x7fff
                                        ; implicit-def: $vgpr89
; %bb.26:
	s_and_not1_saveexec_b32 s2, s2
; %bb.27:
	v_and_b32_e32 v86, 0xffff, v89
	v_or_b32_e32 v90, 0x10000, v89
	s_delay_alu instid0(VALU_DEP_2) | instskip(NEXT) | instid1(VALU_DEP_2)
	v_cmp_eq_u32_e32 vcc_lo, 0, v86
	v_cndmask_b32_e32 v86, v90, v89, vcc_lo
; %bb.28:
	s_or_b32 exec_lo, exec_lo, s2
	v_and_b32_e32 v89, 0x7f800000, v88
	s_delay_alu instid0(VALU_DEP_1) | instskip(SKIP_1) | instid1(SALU_CYCLE_1)
	v_cmp_ne_u32_e32 vcc_lo, 0x7f800000, v89
                                        ; implicit-def: $vgpr89
	s_and_saveexec_b32 s2, vcc_lo
	s_xor_b32 s2, exec_lo, s2
; %bb.29:
	v_bfe_u32 v89, v88, 16, 1
	s_delay_alu instid0(VALU_DEP_1)
	v_add3_u32 v89, v88, v89, 0x7fff
                                        ; implicit-def: $vgpr88
; %bb.30:
	s_and_not1_saveexec_b32 s2, s2
; %bb.31:
	v_and_b32_e32 v89, 0xffff, v88
	v_or_b32_e32 v90, 0x10000, v88
	s_delay_alu instid0(VALU_DEP_2) | instskip(NEXT) | instid1(VALU_DEP_2)
	v_cmp_eq_u32_e32 vcc_lo, 0, v89
	v_cndmask_b32_e32 v89, v90, v88, vcc_lo
; %bb.32:
	s_or_b32 exec_lo, exec_lo, s2
	v_and_b32_e32 v88, 0x7f800000, v87
	s_delay_alu instid0(VALU_DEP_1) | instskip(SKIP_1) | instid1(SALU_CYCLE_1)
	v_cmp_ne_u32_e32 vcc_lo, 0x7f800000, v88
                                        ; implicit-def: $vgpr88
	s_and_saveexec_b32 s2, vcc_lo
	s_xor_b32 s2, exec_lo, s2
; %bb.33:
	v_bfe_u32 v88, v87, 16, 1
	s_delay_alu instid0(VALU_DEP_1)
	v_add3_u32 v88, v87, v88, 0x7fff
                                        ; implicit-def: $vgpr87
; %bb.34:
	s_and_not1_saveexec_b32 s2, s2
; %bb.35:
	v_and_b32_e32 v88, 0xffff, v87
	v_or_b32_e32 v90, 0x10000, v87
	s_delay_alu instid0(VALU_DEP_2) | instskip(NEXT) | instid1(VALU_DEP_2)
	v_cmp_eq_u32_e32 vcc_lo, 0, v88
	v_cndmask_b32_e32 v88, v90, v87, vcc_lo
; %bb.36:
	s_or_b32 exec_lo, exec_lo, s2
	v_and_b32_e32 v87, 0x7f800000, v84
	s_delay_alu instid0(VALU_DEP_1) | instskip(SKIP_1) | instid1(SALU_CYCLE_1)
	v_cmp_ne_u32_e32 vcc_lo, 0x7f800000, v87
                                        ; implicit-def: $vgpr87
	s_and_saveexec_b32 s2, vcc_lo
	s_xor_b32 s2, exec_lo, s2
; %bb.37:
	v_bfe_u32 v87, v84, 16, 1
	s_delay_alu instid0(VALU_DEP_1)
	v_add3_u32 v87, v84, v87, 0x7fff
                                        ; implicit-def: $vgpr84
; %bb.38:
	s_and_not1_saveexec_b32 s2, s2
; %bb.39:
	v_and_b32_e32 v87, 0xffff, v84
	v_or_b32_e32 v90, 0x10000, v84
	s_delay_alu instid0(VALU_DEP_2) | instskip(NEXT) | instid1(VALU_DEP_2)
	v_cmp_eq_u32_e32 vcc_lo, 0, v87
	v_cndmask_b32_e32 v87, v90, v84, vcc_lo
; %bb.40:
	s_or_b32 exec_lo, exec_lo, s2
	v_and_b32_e32 v84, 0x7f800000, v80
	s_delay_alu instid0(VALU_DEP_1) | instskip(SKIP_1) | instid1(SALU_CYCLE_1)
	v_cmp_ne_u32_e32 vcc_lo, 0x7f800000, v84
                                        ; implicit-def: $vgpr84
	s_and_saveexec_b32 s2, vcc_lo
	s_xor_b32 s2, exec_lo, s2
; %bb.41:
	v_bfe_u32 v84, v80, 16, 1
	s_delay_alu instid0(VALU_DEP_1)
	v_add3_u32 v84, v80, v84, 0x7fff
                                        ; implicit-def: $vgpr80
; %bb.42:
	s_and_not1_saveexec_b32 s2, s2
; %bb.43:
	v_and_b32_e32 v84, 0xffff, v80
	v_or_b32_e32 v90, 0x10000, v80
	s_delay_alu instid0(VALU_DEP_2) | instskip(NEXT) | instid1(VALU_DEP_2)
	v_cmp_eq_u32_e32 vcc_lo, 0, v84
	v_cndmask_b32_e32 v84, v90, v80, vcc_lo
; %bb.44:
	s_or_b32 exec_lo, exec_lo, s2
	s_load_b64 s[34:35], s[0:1], 0x94
	v_lshlrev_b32_e32 v91, 4, v74
	s_delay_alu instid0(VALU_DEP_2)
	v_perm_b32 v90, v84, v87, 0x7060302
	v_dual_mul_f32 v77, v82, v77 :: v_dual_lshlrev_b32 v80, 6, v66
	v_lshlrev_b32_e32 v66, 11, v65
	v_perm_b32 v87, v83, v76, 0x7060302
	v_mul_f32_e32 v83, v82, v70
	v_perm_b32 v89, v88, v89, 0x7060302
	v_perm_b32 v88, v86, v85, 0x7060302
	v_or3_b32 v76, v91, v66, v80
	v_mul_f32_e32 v66, v82, v81
	v_mul_f32_e32 v70, v82, v79
	;; [unrolled: 1-line block ×3, first 2 shown]
	v_dual_mul_f32 v81, v82, v72 :: v_dual_and_b32 v84, 0x7f800000, v83
	v_mul_f32_e32 v79, v82, v71
	v_mul_f32_e32 v72, v82, v69
	s_mov_b32 s2, exec_lo
	ds_store_b128 v76, v[87:90]
                                        ; implicit-def: $vgpr69
	v_cmpx_ne_u32_e32 0x7f800000, v84
	s_xor_b32 s2, exec_lo, s2
; %bb.45:
	v_bfe_u32 v69, v83, 16, 1
	s_delay_alu instid0(VALU_DEP_1)
	v_add3_u32 v69, v83, v69, 0x7fff
                                        ; implicit-def: $vgpr83
; %bb.46:
	s_and_not1_saveexec_b32 s2, s2
; %bb.47:
	v_and_b32_e32 v69, 0xffff, v83
	v_or_b32_e32 v71, 0x10000, v83
	s_delay_alu instid0(VALU_DEP_2) | instskip(NEXT) | instid1(VALU_DEP_2)
	v_cmp_eq_u32_e32 vcc_lo, 0, v69
	v_cndmask_b32_e32 v69, v71, v83, vcc_lo
; %bb.48:
	s_or_b32 exec_lo, exec_lo, s2
	v_and_b32_e32 v71, 0x7f800000, v72
	s_delay_alu instid0(VALU_DEP_1) | instskip(SKIP_1) | instid1(SALU_CYCLE_1)
	v_cmp_ne_u32_e32 vcc_lo, 0x7f800000, v71
                                        ; implicit-def: $vgpr71
	s_and_saveexec_b32 s2, vcc_lo
	s_xor_b32 s2, exec_lo, s2
; %bb.49:
	v_bfe_u32 v71, v72, 16, 1
	s_delay_alu instid0(VALU_DEP_1)
	v_add3_u32 v71, v72, v71, 0x7fff
                                        ; implicit-def: $vgpr72
; %bb.50:
	s_and_not1_saveexec_b32 s2, s2
; %bb.51:
	v_and_b32_e32 v71, 0xffff, v72
	v_or_b32_e32 v82, 0x10000, v72
	s_delay_alu instid0(VALU_DEP_2) | instskip(NEXT) | instid1(VALU_DEP_2)
	v_cmp_eq_u32_e32 vcc_lo, 0, v71
	v_cndmask_b32_e32 v71, v82, v72, vcc_lo
; %bb.52:
	s_or_b32 exec_lo, exec_lo, s2
	v_and_b32_e32 v72, 0x7f800000, v79
	s_delay_alu instid0(VALU_DEP_1) | instskip(SKIP_1) | instid1(SALU_CYCLE_1)
	v_cmp_ne_u32_e32 vcc_lo, 0x7f800000, v72
                                        ; implicit-def: $vgpr72
	s_and_saveexec_b32 s2, vcc_lo
	s_xor_b32 s2, exec_lo, s2
; %bb.53:
	v_bfe_u32 v72, v79, 16, 1
	s_delay_alu instid0(VALU_DEP_1)
	v_add3_u32 v72, v79, v72, 0x7fff
                                        ; implicit-def: $vgpr79
; %bb.54:
	s_and_not1_saveexec_b32 s2, s2
; %bb.55:
	v_and_b32_e32 v72, 0xffff, v79
	v_or_b32_e32 v82, 0x10000, v79
	s_delay_alu instid0(VALU_DEP_2) | instskip(NEXT) | instid1(VALU_DEP_2)
	v_cmp_eq_u32_e32 vcc_lo, 0, v72
	v_cndmask_b32_e32 v72, v82, v79, vcc_lo
; %bb.56:
	s_or_b32 exec_lo, exec_lo, s2
	v_and_b32_e32 v79, 0x7f800000, v81
	s_delay_alu instid0(VALU_DEP_1) | instskip(SKIP_1) | instid1(SALU_CYCLE_1)
	v_cmp_ne_u32_e32 vcc_lo, 0x7f800000, v79
                                        ; implicit-def: $vgpr79
	s_and_saveexec_b32 s2, vcc_lo
	s_xor_b32 s2, exec_lo, s2
; %bb.57:
	v_bfe_u32 v79, v81, 16, 1
	s_delay_alu instid0(VALU_DEP_1)
	v_add3_u32 v79, v81, v79, 0x7fff
                                        ; implicit-def: $vgpr81
; %bb.58:
	s_and_not1_saveexec_b32 s2, s2
; %bb.59:
	v_and_b32_e32 v79, 0xffff, v81
	v_or_b32_e32 v82, 0x10000, v81
	s_delay_alu instid0(VALU_DEP_2) | instskip(NEXT) | instid1(VALU_DEP_2)
	v_cmp_eq_u32_e32 vcc_lo, 0, v79
	v_cndmask_b32_e32 v79, v82, v81, vcc_lo
; %bb.60:
	s_or_b32 exec_lo, exec_lo, s2
	v_and_b32_e32 v81, 0x7f800000, v77
	s_delay_alu instid0(VALU_DEP_1) | instskip(SKIP_1) | instid1(SALU_CYCLE_1)
	v_cmp_ne_u32_e32 vcc_lo, 0x7f800000, v81
                                        ; implicit-def: $vgpr81
	s_and_saveexec_b32 s2, vcc_lo
	s_xor_b32 s2, exec_lo, s2
; %bb.61:
	v_bfe_u32 v81, v77, 16, 1
	s_delay_alu instid0(VALU_DEP_1)
	v_add3_u32 v81, v77, v81, 0x7fff
                                        ; implicit-def: $vgpr77
; %bb.62:
	s_and_not1_saveexec_b32 s2, s2
; %bb.63:
	v_and_b32_e32 v81, 0xffff, v77
	v_or_b32_e32 v82, 0x10000, v77
	s_delay_alu instid0(VALU_DEP_2) | instskip(NEXT) | instid1(VALU_DEP_2)
	v_cmp_eq_u32_e32 vcc_lo, 0, v81
	v_cndmask_b32_e32 v81, v82, v77, vcc_lo
; %bb.64:
	s_or_b32 exec_lo, exec_lo, s2
	v_and_b32_e32 v77, 0x7f800000, v78
	s_delay_alu instid0(VALU_DEP_1) | instskip(SKIP_1) | instid1(SALU_CYCLE_1)
	v_cmp_ne_u32_e32 vcc_lo, 0x7f800000, v77
                                        ; implicit-def: $vgpr77
	s_and_saveexec_b32 s2, vcc_lo
	s_xor_b32 s2, exec_lo, s2
; %bb.65:
	v_bfe_u32 v77, v78, 16, 1
	s_delay_alu instid0(VALU_DEP_1)
	v_add3_u32 v77, v78, v77, 0x7fff
                                        ; implicit-def: $vgpr78
; %bb.66:
	s_and_not1_saveexec_b32 s2, s2
; %bb.67:
	v_and_b32_e32 v77, 0xffff, v78
	v_or_b32_e32 v82, 0x10000, v78
	s_delay_alu instid0(VALU_DEP_2) | instskip(NEXT) | instid1(VALU_DEP_2)
	v_cmp_eq_u32_e32 vcc_lo, 0, v77
	v_cndmask_b32_e32 v77, v82, v78, vcc_lo
; %bb.68:
	s_or_b32 exec_lo, exec_lo, s2
	v_and_b32_e32 v78, 0x7f800000, v70
	s_delay_alu instid0(VALU_DEP_1) | instskip(SKIP_1) | instid1(SALU_CYCLE_1)
	v_cmp_ne_u32_e32 vcc_lo, 0x7f800000, v78
                                        ; implicit-def: $vgpr78
	s_and_saveexec_b32 s2, vcc_lo
	s_xor_b32 s2, exec_lo, s2
; %bb.69:
	v_bfe_u32 v78, v70, 16, 1
	s_delay_alu instid0(VALU_DEP_1)
	v_add3_u32 v78, v70, v78, 0x7fff
                                        ; implicit-def: $vgpr70
; %bb.70:
	s_and_not1_saveexec_b32 s2, s2
; %bb.71:
	v_and_b32_e32 v78, 0xffff, v70
	v_or_b32_e32 v82, 0x10000, v70
	s_delay_alu instid0(VALU_DEP_2) | instskip(NEXT) | instid1(VALU_DEP_2)
	v_cmp_eq_u32_e32 vcc_lo, 0, v78
	v_cndmask_b32_e32 v78, v82, v70, vcc_lo
; %bb.72:
	s_or_b32 exec_lo, exec_lo, s2
	v_and_b32_e32 v70, 0x7f800000, v66
	s_delay_alu instid0(VALU_DEP_1) | instskip(SKIP_1) | instid1(SALU_CYCLE_1)
	v_cmp_ne_u32_e32 vcc_lo, 0x7f800000, v70
                                        ; implicit-def: $vgpr70
	s_and_saveexec_b32 s2, vcc_lo
	s_xor_b32 s2, exec_lo, s2
; %bb.73:
	v_bfe_u32 v70, v66, 16, 1
	s_delay_alu instid0(VALU_DEP_1)
	v_add3_u32 v70, v66, v70, 0x7fff
                                        ; implicit-def: $vgpr66
; %bb.74:
	s_and_not1_saveexec_b32 s2, s2
; %bb.75:
	v_and_b32_e32 v70, 0xffff, v66
	v_or_b32_e32 v82, 0x10000, v66
	s_delay_alu instid0(VALU_DEP_2) | instskip(NEXT) | instid1(VALU_DEP_2)
	v_cmp_eq_u32_e32 vcc_lo, 0, v70
	v_cndmask_b32_e32 v70, v82, v66, vcc_lo
; %bb.76:
	s_or_b32 exec_lo, exec_lo, s2
	s_delay_alu instid0(VALU_DEP_1)
	v_perm_b32 v86, v70, v78, 0x7060302
	v_perm_b32 v85, v77, v81, 0x7060302
	;; [unrolled: 1-line block ×4, first 2 shown]
	v_lshl_or_b32 v82, v65, 11, v80
	ds_store_b128 v76, v[83:86] offset:1024
	s_waitcnt lgkmcnt(0)
	s_barrier
	buffer_gl0_inv
	ds_load_b128 v[69:72], v82
	ds_load_b128 v[83:86], v82 offset:16
	s_waitcnt lgkmcnt(1)
	v_lshrrev_b32_e32 v65, 16, v69
	v_lshlrev_b32_e32 v78, 2, v74
	s_waitcnt lgkmcnt(0)
	v_lshrrev_b32_e32 v91, 16, v83
	v_lshrrev_b32_e32 v66, 16, v70
	;; [unrolled: 1-line block ×4, first 2 shown]
	v_cmp_eq_u32_e32 vcc_lo, 1, v78
	v_lshrrev_b32_e32 v98, 16, v85
	v_lshrrev_b32_e32 v96, 16, v72
	;; [unrolled: 1-line block ×3, first 2 shown]
	v_cndmask_b32_e32 v81, v69, v65, vcc_lo
	v_or_b32_e32 v79, 1, v78
	v_cmp_eq_u32_e64 s3, 2, v78
	v_cndmask_b32_e32 v87, v83, v91, vcc_lo
	v_cmp_eq_u32_e64 s6, 3, v78
	v_cmp_eq_u32_e64 s8, 4, v78
	;; [unrolled: 1-line block ×3, first 2 shown]
	v_cndmask_b32_e64 v81, v81, v70, s3
	v_cmp_eq_u32_e64 s5, 2, v79
	v_cndmask_b32_e64 v87, v87, v84, s3
	v_cmp_eq_u32_e64 s7, 3, v79
	v_cndmask_b32_e64 v88, v69, v65, s2
	v_cndmask_b32_e64 v81, v81, v66, s6
	v_or_b32_e32 v77, 2, v78
	v_cndmask_b32_e64 v87, v87, v97, s6
	v_cndmask_b32_e64 v89, v83, v91, s2
	;; [unrolled: 1-line block ×4, first 2 shown]
	v_cmp_eq_u32_e64 s9, 5, v78
	v_cndmask_b32_e64 v87, v87, v85, s8
	v_cmp_eq_u32_e64 s10, 4, v79
	v_cndmask_b32_e64 v88, v88, v66, s7
	;; [unrolled: 2-line block ×3, first 2 shown]
	v_cndmask_b32_e64 v81, v81, v95, s9
	v_cmp_eq_u32_e64 s11, 6, v78
	v_cndmask_b32_e64 v88, v88, v71, s10
	v_cndmask_b32_e64 v87, v87, v98, s9
	v_cmp_eq_u32_e64 s12, 5, v79
	v_cndmask_b32_e64 v90, v69, v65, s4
	v_cndmask_b32_e64 v89, v89, v97, s7
	;; [unrolled: 1-line block ×3, first 2 shown]
	v_cmp_eq_u32_e64 s13, 7, v78
	v_cndmask_b32_e64 v88, v88, v95, s12
	v_cndmask_b32_e64 v87, v87, v86, s11
	v_cmp_eq_u32_e64 s15, 6, v79
	v_cmp_eq_u32_e64 s16, 2, v77
	v_cndmask_b32_e64 v89, v89, v85, s10
	v_cndmask_b32_e64 v100, v81, v96, s13
	;; [unrolled: 1-line block ×6, first 2 shown]
	v_cmp_eq_u32_e64 s17, 7, v79
	v_cmp_eq_u32_e64 s18, 3, v77
	v_cmp_eq_u32_e64 s19, 4, v77
	v_cmp_eq_u32_e64 s21, 5, v77
	v_cndmask_b32_e64 v87, v87, v84, s16
	v_cndmask_b32_e64 v102, v88, v96, s17
	;; [unrolled: 1-line block ×4, first 2 shown]
	v_or_b32_e32 v81, 3, v78
	v_cndmask_b32_e64 v93, v87, v97, s18
	v_cmp_eq_u32_e64 s23, 6, v77
	v_cndmask_b32_e64 v103, v88, v86, s15
	v_cndmask_b32_e64 v92, v89, v71, s19
	v_cmp_eq_u32_e64 s20, 1, v81
	ds_load_b128 v[87:90], v82 offset:1024
	v_cmp_eq_u32_e64 s22, 2, v81
	v_cmp_eq_u32_e64 s24, 3, v81
	v_cndmask_b32_e64 v104, v92, v95, s21
	v_cndmask_b32_e64 v65, v69, v65, s20
	;; [unrolled: 1-line block ×4, first 2 shown]
	ds_load_b128 v[91:94], v82 offset:1040
	v_cmp_eq_u32_e64 s25, 4, v81
	v_cndmask_b32_e64 v65, v65, v70, s22
	v_cmp_eq_u32_e64 s27, 5, v81
	v_cndmask_b32_e64 v70, v83, v84, s22
	;; [unrolled: 2-line block ×3, first 2 shown]
	v_cndmask_b32_e64 v65, v65, v66, s24
	v_cndmask_b32_e64 v66, v104, v72, s23
	;; [unrolled: 1-line block ×3, first 2 shown]
	v_cmp_eq_u32_e64 s26, 7, v77
	v_cndmask_b32_e64 v69, v69, v86, s23
	v_cndmask_b32_e64 v65, v65, v71, s25
	s_waitcnt lgkmcnt(1)
	v_lshrrev_b32_e32 v84, 16, v87
	v_cndmask_b32_e64 v70, v70, v85, s25
	v_cndmask_b32_e64 v83, v103, v99, s17
	;; [unrolled: 1-line block ×4, first 2 shown]
	v_lshrrev_b32_e32 v95, 16, v88
	v_cndmask_b32_e64 v70, v70, v98, s27
	s_waitcnt lgkmcnt(0)
	v_lshrrev_b32_e32 v85, 16, v91
	v_cndmask_b32_e64 v97, v87, v84, s2
	v_cndmask_b32_e64 v65, v65, v72, s28
	;; [unrolled: 1-line block ×4, first 2 shown]
	v_cndmask_b32_e32 v71, v87, v84, vcc_lo
	v_cndmask_b32_e32 v98, v91, v85, vcc_lo
	v_cmp_eq_u32_e32 vcc_lo, 7, v81
	v_cndmask_b32_e64 v72, v97, v88, s5
	v_lshrrev_b32_e32 v97, 16, v92
	v_lshrrev_b32_e32 v103, 16, v90
	v_dual_cndmask_b32 v65, v65, v96 :: v_dual_cndmask_b32 v70, v70, v99
	v_cndmask_b32_e64 v71, v71, v88, s3
	v_cndmask_b32_e64 v86, v98, v92, s3
	;; [unrolled: 1-line block ×3, first 2 shown]
	v_lshrrev_b32_e32 v98, 16, v89
	v_lshrrev_b32_e32 v99, 16, v93
	v_cndmask_b32_e64 v71, v71, v95, s6
	v_cndmask_b32_e64 v86, v86, v97, s6
	v_cndmask_b32_e64 v96, v72, v89, s10
	v_perm_b32 v72, v70, v65, 0x5040100
	v_perm_b32 v70, v83, v102, 0x5040100
	v_cndmask_b32_e64 v71, v71, v89, s8
	v_cndmask_b32_e64 v86, v86, v93, s8
	;; [unrolled: 1-line block ×3, first 2 shown]
	v_lshrrev_b32_e32 v83, 16, v94
	s_delay_alu instid0(VALU_DEP_4) | instskip(NEXT) | instid1(VALU_DEP_4)
	v_cndmask_b32_e64 v71, v71, v98, s9
	v_cndmask_b32_e64 v86, v86, v99, s9
	s_delay_alu instid0(VALU_DEP_4) | instskip(NEXT) | instid1(VALU_DEP_3)
	v_cndmask_b32_e64 v65, v65, v90, s15
	v_cndmask_b32_e64 v96, v71, v90, s11
	v_perm_b32 v71, v69, v66, 0x5040100
	s_delay_alu instid0(VALU_DEP_4)
	v_cndmask_b32_e64 v69, v86, v94, s11
	v_cndmask_b32_e64 v86, v87, v84, s4
	;; [unrolled: 1-line block ×34, first 2 shown]
	v_cndmask_b32_e32 v84, v84, v103, vcc_lo
	v_cndmask_b32_e32 v86, v87, v83, vcc_lo
	v_cndmask_b32_e64 v87, v88, v83, s26
	v_cndmask_b32_e64 v88, v85, v83, s17
	;; [unrolled: 1-line block ×3, first 2 shown]
	v_perm_b32 v69, v101, v100, 0x5040100
	v_perm_b32 v86, v86, v84, 0x5040100
	;; [unrolled: 1-line block ×5, first 2 shown]
	s_lshl_b32 s7, s35, 3
	s_mov_b32 s2, exec_lo
	ds_store_b128 v76, v[69:72]
	ds_store_b128 v76, v[83:86] offset:1024
	v_cmpx_gt_u32_e32 8, v0
	s_cbranch_execz .LBB1553_78
; %bb.77:
	v_or_b32_e32 v65, s29, v0
	s_load_b128 s[8:11], s[0:1], 0x58
	s_delay_alu instid0(VALU_DEP_1) | instskip(NEXT) | instid1(VALU_DEP_1)
	v_mad_u64_u32 v[69:70], null, s7, s30, v[65:66]
	v_mad_u64_u32 v[65:66], null, v69, s34, s[14:15]
	s_delay_alu instid0(VALU_DEP_1) | instskip(NEXT) | instid1(VALU_DEP_1)
	v_ashrrev_i32_e32 v66, 31, v65
	v_lshlrev_b64 v[65:66], 2, v[65:66]
	s_waitcnt lgkmcnt(0)
	s_delay_alu instid0(VALU_DEP_1) | instskip(NEXT) | instid1(VALU_DEP_2)
	v_add_co_u32 v69, vcc_lo, s10, v65
	v_add_co_ci_u32_e32 v70, vcc_lo, s11, v66, vcc_lo
	v_add_co_u32 v65, vcc_lo, s8, v65
	v_add_co_ci_u32_e32 v66, vcc_lo, s9, v66, vcc_lo
	global_store_b32 v[69:70], v67, off
	global_store_b32 v[65:66], v68, off
.LBB1553_78:
	s_or_b32 exec_lo, exec_lo, s2
	s_waitcnt lgkmcnt(0)
	s_waitcnt_vscnt null, 0x0
	s_barrier
	buffer_gl0_inv
	ds_load_b128 v[83:86], v80
	ds_load_b128 v[87:90], v80 offset:16
	ds_load_b128 v[95:98], v80 offset:2064
	;; [unrolled: 1-line block ×3, first 2 shown]
	v_mov_b32_e32 v65, 0
	ds_load_b128 v[103:106], v80 offset:4112
	ds_load_b128 v[99:102], v80 offset:4096
	;; [unrolled: 1-line block ×4, first 2 shown]
	v_mov_b32_e32 v66, v65
	v_mov_b32_e32 v67, v65
	;; [unrolled: 1-line block ×7, first 2 shown]
	s_waitcnt lgkmcnt(6)
	s_delay_alu instid0(VALU_DEP_1)
	v_wmma_f32_16x16x16_bf16 v[65:72], v[49:56], v[83:90], v[65:72]
	ds_load_b128 v[53:56], v80 offset:8208
	ds_load_b128 v[49:52], v80 offset:8192
	s_waitcnt lgkmcnt(6)
	v_wmma_f32_16x16x16_bf16 v[65:72], v[41:48], v[91:98], v[65:72]
	ds_load_b128 v[45:48], v80 offset:10256
	ds_load_b128 v[41:44], v80 offset:10240
	s_waitcnt lgkmcnt(6)
	;; [unrolled: 4-line block ×4, first 2 shown]
	v_wmma_f32_16x16x16_bf16 v[65:72], v[1:8], v[49:56], v[65:72]
	s_waitcnt lgkmcnt(4)
	s_delay_alu instid0(VALU_DEP_1) | instskip(SKIP_1) | instid1(VALU_DEP_1)
	v_wmma_f32_16x16x16_bf16 v[65:72], v[9:16], v[41:48], v[65:72]
	s_waitcnt lgkmcnt(2)
	v_wmma_f32_16x16x16_bf16 v[65:72], v[17:24], v[33:40], v[65:72]
	s_waitcnt lgkmcnt(0)
	s_delay_alu instid0(VALU_DEP_1) | instskip(NEXT) | instid1(VALU_DEP_1)
	v_wmma_f32_16x16x16_bf16 v[65:72], v[57:64], v[25:32], v[65:72]
	v_and_b32_e32 v1, 0x7f800000, v65
	s_delay_alu instid0(VALU_DEP_1) | instskip(SKIP_1) | instid1(SALU_CYCLE_1)
	v_cmp_ne_u32_e32 vcc_lo, 0x7f800000, v1
                                        ; implicit-def: $vgpr1
	s_and_saveexec_b32 s2, vcc_lo
	s_xor_b32 s2, exec_lo, s2
; %bb.79:
	v_bfe_u32 v1, v65, 16, 1
	s_delay_alu instid0(VALU_DEP_1)
	v_add3_u32 v1, v65, v1, 0x7fff
; %bb.80:
	s_and_not1_saveexec_b32 s2, s2
; %bb.81:
	v_and_b32_e32 v1, 0xffff, v65
	v_or_b32_e32 v2, 0x10000, v65
	s_delay_alu instid0(VALU_DEP_2) | instskip(NEXT) | instid1(VALU_DEP_2)
	v_cmp_eq_u32_e32 vcc_lo, 0, v1
	v_cndmask_b32_e32 v1, v2, v65, vcc_lo
; %bb.82:
	s_or_b32 exec_lo, exec_lo, s2
	v_and_b32_e32 v2, 0x7f800000, v66
	s_delay_alu instid0(VALU_DEP_1) | instskip(SKIP_1) | instid1(SALU_CYCLE_1)
	v_cmp_ne_u32_e32 vcc_lo, 0x7f800000, v2
                                        ; implicit-def: $vgpr2
	s_and_saveexec_b32 s2, vcc_lo
	s_xor_b32 s2, exec_lo, s2
; %bb.83:
	v_bfe_u32 v2, v66, 16, 1
	s_delay_alu instid0(VALU_DEP_1)
	v_add3_u32 v2, v66, v2, 0x7fff
; %bb.84:
	s_and_not1_saveexec_b32 s2, s2
; %bb.85:
	v_and_b32_e32 v2, 0xffff, v66
	v_or_b32_e32 v3, 0x10000, v66
	s_delay_alu instid0(VALU_DEP_2) | instskip(NEXT) | instid1(VALU_DEP_2)
	v_cmp_eq_u32_e32 vcc_lo, 0, v2
	v_cndmask_b32_e32 v2, v3, v66, vcc_lo
; %bb.86:
	s_or_b32 exec_lo, exec_lo, s2
	v_and_b32_e32 v3, 0x7f800000, v67
	s_delay_alu instid0(VALU_DEP_1) | instskip(SKIP_1) | instid1(SALU_CYCLE_1)
	v_cmp_ne_u32_e32 vcc_lo, 0x7f800000, v3
                                        ; implicit-def: $vgpr3
	s_and_saveexec_b32 s2, vcc_lo
	s_xor_b32 s2, exec_lo, s2
; %bb.87:
	v_bfe_u32 v3, v67, 16, 1
	s_delay_alu instid0(VALU_DEP_1)
	v_add3_u32 v3, v67, v3, 0x7fff
; %bb.88:
	s_and_not1_saveexec_b32 s2, s2
; %bb.89:
	v_and_b32_e32 v3, 0xffff, v67
	v_or_b32_e32 v4, 0x10000, v67
	s_delay_alu instid0(VALU_DEP_2) | instskip(NEXT) | instid1(VALU_DEP_2)
	v_cmp_eq_u32_e32 vcc_lo, 0, v3
	v_cndmask_b32_e32 v3, v4, v67, vcc_lo
; %bb.90:
	s_or_b32 exec_lo, exec_lo, s2
	v_and_b32_e32 v4, 0x7f800000, v68
	s_delay_alu instid0(VALU_DEP_1) | instskip(SKIP_1) | instid1(SALU_CYCLE_1)
	v_cmp_ne_u32_e32 vcc_lo, 0x7f800000, v4
                                        ; implicit-def: $vgpr4
	s_and_saveexec_b32 s2, vcc_lo
	s_xor_b32 s2, exec_lo, s2
; %bb.91:
	v_bfe_u32 v4, v68, 16, 1
	s_delay_alu instid0(VALU_DEP_1)
	v_add3_u32 v4, v68, v4, 0x7fff
; %bb.92:
	s_and_not1_saveexec_b32 s2, s2
; %bb.93:
	v_and_b32_e32 v4, 0xffff, v68
	v_or_b32_e32 v5, 0x10000, v68
	s_delay_alu instid0(VALU_DEP_2) | instskip(NEXT) | instid1(VALU_DEP_2)
	v_cmp_eq_u32_e32 vcc_lo, 0, v4
	v_cndmask_b32_e32 v4, v5, v68, vcc_lo
; %bb.94:
	s_or_b32 exec_lo, exec_lo, s2
	v_and_b32_e32 v5, 0x7f800000, v69
	s_delay_alu instid0(VALU_DEP_1) | instskip(SKIP_1) | instid1(SALU_CYCLE_1)
	v_cmp_ne_u32_e32 vcc_lo, 0x7f800000, v5
                                        ; implicit-def: $vgpr5
	s_and_saveexec_b32 s2, vcc_lo
	s_xor_b32 s2, exec_lo, s2
; %bb.95:
	v_bfe_u32 v5, v69, 16, 1
	s_delay_alu instid0(VALU_DEP_1)
	v_add3_u32 v5, v69, v5, 0x7fff
; %bb.96:
	s_and_not1_saveexec_b32 s2, s2
; %bb.97:
	v_and_b32_e32 v5, 0xffff, v69
	v_or_b32_e32 v6, 0x10000, v69
	s_delay_alu instid0(VALU_DEP_2) | instskip(NEXT) | instid1(VALU_DEP_2)
	v_cmp_eq_u32_e32 vcc_lo, 0, v5
	v_cndmask_b32_e32 v5, v6, v69, vcc_lo
; %bb.98:
	s_or_b32 exec_lo, exec_lo, s2
	v_and_b32_e32 v6, 0x7f800000, v70
	s_delay_alu instid0(VALU_DEP_1) | instskip(SKIP_1) | instid1(SALU_CYCLE_1)
	v_cmp_ne_u32_e32 vcc_lo, 0x7f800000, v6
                                        ; implicit-def: $vgpr6
	s_and_saveexec_b32 s2, vcc_lo
	s_xor_b32 s2, exec_lo, s2
; %bb.99:
	v_bfe_u32 v6, v70, 16, 1
	s_delay_alu instid0(VALU_DEP_1)
	v_add3_u32 v6, v70, v6, 0x7fff
; %bb.100:
	s_and_not1_saveexec_b32 s2, s2
; %bb.101:
	v_and_b32_e32 v6, 0xffff, v70
	v_or_b32_e32 v7, 0x10000, v70
	s_delay_alu instid0(VALU_DEP_2) | instskip(NEXT) | instid1(VALU_DEP_2)
	v_cmp_eq_u32_e32 vcc_lo, 0, v6
	v_cndmask_b32_e32 v6, v7, v70, vcc_lo
; %bb.102:
	s_or_b32 exec_lo, exec_lo, s2
	v_and_b32_e32 v7, 0x7f800000, v71
	s_delay_alu instid0(VALU_DEP_1) | instskip(SKIP_1) | instid1(SALU_CYCLE_1)
	v_cmp_ne_u32_e32 vcc_lo, 0x7f800000, v7
                                        ; implicit-def: $vgpr7
	s_and_saveexec_b32 s2, vcc_lo
	s_xor_b32 s2, exec_lo, s2
; %bb.103:
	v_bfe_u32 v7, v71, 16, 1
	s_delay_alu instid0(VALU_DEP_1)
	v_add3_u32 v7, v71, v7, 0x7fff
; %bb.104:
	s_and_not1_saveexec_b32 s2, s2
; %bb.105:
	v_and_b32_e32 v7, 0xffff, v71
	v_or_b32_e32 v8, 0x10000, v71
	s_delay_alu instid0(VALU_DEP_2) | instskip(NEXT) | instid1(VALU_DEP_2)
	v_cmp_eq_u32_e32 vcc_lo, 0, v7
	v_cndmask_b32_e32 v7, v8, v71, vcc_lo
; %bb.106:
	s_or_b32 exec_lo, exec_lo, s2
	v_and_b32_e32 v8, 0x7f800000, v72
	s_delay_alu instid0(VALU_DEP_1) | instskip(SKIP_1) | instid1(SALU_CYCLE_1)
	v_cmp_ne_u32_e32 vcc_lo, 0x7f800000, v8
                                        ; implicit-def: $vgpr8
	s_and_saveexec_b32 s2, vcc_lo
	s_xor_b32 s2, exec_lo, s2
; %bb.107:
	v_bfe_u32 v8, v72, 16, 1
	s_delay_alu instid0(VALU_DEP_1)
	v_add3_u32 v8, v72, v8, 0x7fff
                                        ; implicit-def: $vgpr65_vgpr66_vgpr67_vgpr68_vgpr69_vgpr70_vgpr71_vgpr72
; %bb.108:
	s_and_not1_saveexec_b32 s2, s2
; %bb.109:
	v_and_b32_e32 v8, 0xffff, v72
	v_or_b32_e32 v9, 0x10000, v72
	s_delay_alu instid0(VALU_DEP_2) | instskip(NEXT) | instid1(VALU_DEP_2)
	v_cmp_eq_u32_e32 vcc_lo, 0, v8
	v_cndmask_b32_e32 v8, v9, v72, vcc_lo
; %bb.110:
	s_or_b32 exec_lo, exec_lo, s2
	s_delay_alu instid0(VALU_DEP_1)
	v_perm_b32 v7, v8, v7, 0x7060302
	v_perm_b32 v6, v6, v5, 0x7060302
	v_perm_b32 v5, v4, v3, 0x7060302
	v_perm_b32 v4, v2, v1, 0x7060302
	s_barrier
	buffer_gl0_inv
	v_cmp_eq_u32_e32 vcc_lo, 1, v78
	ds_store_b128 v76, v[4:7]
	s_waitcnt lgkmcnt(0)
	s_barrier
	buffer_gl0_inv
	ds_load_b128 v[1:4], v82
	ds_load_b128 v[5:8], v82 offset:16
	v_cmp_eq_u32_e64 s2, 1, v79
	v_cmp_eq_u32_e64 s3, 2, v78
	;; [unrolled: 1-line block ×5, first 2 shown]
	s_waitcnt lgkmcnt(1)
	v_lshrrev_b32_e32 v9, 16, v1
	s_waitcnt lgkmcnt(0)
	v_lshrrev_b32_e32 v13, 16, v5
	v_lshrrev_b32_e32 v10, 16, v2
	;; [unrolled: 1-line block ×4, first 2 shown]
	v_cndmask_b32_e64 v19, v1, v9, s2
	v_cndmask_b32_e32 v18, v5, v13, vcc_lo
	v_cndmask_b32_e64 v20, v5, v13, s2
	v_cndmask_b32_e32 v17, v1, v9, vcc_lo
	v_cmp_eq_u32_e32 vcc_lo, 2, v79
	v_lshrrev_b32_e32 v15, 16, v7
	v_cmp_eq_u32_e64 s2, 1, v77
	v_lshrrev_b32_e32 v12, 16, v4
	v_lshrrev_b32_e32 v16, 16, v8
	v_cndmask_b32_e32 v20, v20, v6, vcc_lo
	v_cndmask_b32_e64 v17, v17, v2, s3
	v_cndmask_b32_e32 v19, v19, v2, vcc_lo
	v_cndmask_b32_e64 v18, v18, v6, s3
	v_cmp_eq_u32_e32 vcc_lo, 4, v78
	v_cmp_eq_u32_e64 s3, 3, v79
	v_cndmask_b32_e64 v17, v17, v10, s4
	v_cndmask_b32_e64 v21, v1, v9, s2
	;; [unrolled: 1-line block ×5, first 2 shown]
	v_cndmask_b32_e32 v17, v17, v3, vcc_lo
	v_cndmask_b32_e64 v20, v20, v14, s3
	v_cndmask_b32_e32 v18, v18, v7, vcc_lo
	v_cmp_eq_u32_e32 vcc_lo, 4, v79
	v_cmp_eq_u32_e64 s3, 5, v79
	v_cmp_eq_u32_e64 s2, 2, v81
	v_cndmask_b32_e64 v21, v21, v2, s6
	v_cmp_eq_u32_e64 s4, 5, v78
	v_cndmask_b32_e32 v19, v19, v3, vcc_lo
	v_cndmask_b32_e32 v20, v20, v7, vcc_lo
	v_cmp_eq_u32_e32 vcc_lo, 6, v79
	s_delay_alu instid0(VALU_DEP_4) | instskip(NEXT) | instid1(VALU_DEP_4)
	v_cndmask_b32_e64 v17, v17, v11, s4
	v_cndmask_b32_e64 v19, v19, v11, s3
	s_delay_alu instid0(VALU_DEP_4) | instskip(SKIP_1) | instid1(VALU_DEP_3)
	v_cndmask_b32_e64 v20, v20, v15, s3
	v_cmp_eq_u32_e64 s3, 1, v81
	v_cndmask_b32_e32 v19, v19, v4, vcc_lo
	v_cndmask_b32_e64 v18, v18, v15, s4
	s_delay_alu instid0(VALU_DEP_3)
	v_cndmask_b32_e64 v1, v1, v9, s3
	v_cndmask_b32_e64 v5, v5, v13, s3
	v_cmp_eq_u32_e64 s3, 3, v77
	v_cndmask_b32_e64 v13, v22, v6, s6
	v_cmp_eq_u32_e64 s6, 3, v81
	v_cndmask_b32_e64 v1, v1, v2, s2
	v_cndmask_b32_e64 v2, v5, v6, s2
	;; [unrolled: 1-line block ×3, first 2 shown]
	v_cmp_eq_u32_e64 s2, 4, v77
	v_cndmask_b32_e64 v6, v13, v14, s3
	v_cndmask_b32_e64 v1, v1, v10, s6
	v_cmp_eq_u32_e64 s3, 4, v81
	v_cndmask_b32_e64 v2, v2, v14, s6
	v_cndmask_b32_e64 v5, v9, v3, s2
	;; [unrolled: 3-line block ×3, first 2 shown]
	v_cndmask_b32_e64 v2, v2, v7, s3
	v_cmp_eq_u32_e64 s2, 5, v81
	v_cmp_eq_u32_e64 s4, 6, v78
	v_cndmask_b32_e64 v5, v5, v11, s6
	v_cmp_eq_u32_e64 s3, 6, v77
	v_cndmask_b32_e64 v3, v6, v15, s6
	v_cndmask_b32_e64 v1, v1, v11, s2
	v_cmp_eq_u32_e64 s6, 6, v81
	v_cndmask_b32_e64 v2, v2, v15, s2
	v_cndmask_b32_e64 v17, v17, v4, s4
	v_cndmask_b32_e64 v18, v18, v8, s4
	v_cmp_eq_u32_e64 s4, 7, v78
	v_cndmask_b32_e64 v5, v5, v4, s3
	;; [unrolled: 4-line block ×3, first 2 shown]
	v_cmp_eq_u32_e64 s3, 7, v77
	v_cndmask_b32_e32 v4, v20, v8, vcc_lo
	v_cndmask_b32_e64 v17, v17, v12, s4
	v_cndmask_b32_e64 v19, v19, v12, s5
	;; [unrolled: 1-line block ×8, first 2 shown]
	s_mov_b32 s2, exec_lo
	v_perm_b32 v4, v2, v1, 0x5040100
	v_perm_b32 v3, v3, v5, 0x5040100
	;; [unrolled: 1-line block ×4, first 2 shown]
	ds_store_b128 v76, v[1:4]
	s_waitcnt lgkmcnt(0)
	s_barrier
	buffer_gl0_inv
	v_cmpx_gt_u32_e32 32, v0
	s_cbranch_execz .LBB1553_2
; %bb.111:
	s_load_b64 s[0:1], s[0:1], 0x68
	s_lshl_b32 s4, s34, 7
	v_or_b32_e32 v2, s29, v74
	s_mul_i32 s2, s4, s30
	v_lshlrev_b32_e32 v1, 10, v0
	s_mul_i32 s2, s2, s7
	v_lshlrev_b32_e32 v3, 4, v75
	v_mul_lo_u32 v0, v2, s4
	s_ashr_i32 s3, s2, 31
	v_lshlrev_b32_e32 v4, 6, v74
	v_and_b32_e32 v1, 0x3800, v1
	v_or_b32_e32 v5, 2, v2
	s_lshl_b64 s[2:3], s[2:3], 1
	v_or_b32_e32 v6, 4, v2
	v_or_b32_e32 v7, 6, v2
	v_or3_b32 v12, v1, v3, v4
	v_ashrrev_i32_e32 v1, 31, v0
	v_mul_lo_u32 v2, v5, s4
	v_mul_lo_u32 v16, v6, s4
	v_mul_lo_u32 v20, v7, s4
	s_waitcnt lgkmcnt(0)
	s_add_u32 s2, s0, s2
	s_addc_u32 s3, s1, s3
	s_lshl_b32 s0, s14, 7
	v_lshlrev_b64 v[0:1], 1, v[0:1]
	s_ashr_i32 s1, s0, 31
	v_ashrrev_i32_e32 v3, 31, v2
	s_lshl_b64 s[0:1], s[0:1], 1
	v_ashrrev_i32_e32 v17, 31, v16
	s_add_u32 s0, s2, s0
	s_addc_u32 s1, s3, s1
	v_add_co_u32 v24, s0, s0, v73
	s_delay_alu instid0(VALU_DEP_1) | instskip(SKIP_1) | instid1(VALU_DEP_3)
	v_add_co_ci_u32_e64 v25, null, s1, 0, s0
	v_lshlrev_b64 v[22:23], 1, v[2:3]
	v_add_co_u32 v18, vcc_lo, v24, v0
	s_delay_alu instid0(VALU_DEP_3)
	v_add_co_ci_u32_e32 v19, vcc_lo, v25, v1, vcc_lo
	ds_load_b128 v[0:3], v12
	ds_load_b128 v[4:7], v12 offset:128
	ds_load_b128 v[8:11], v12 offset:256
	;; [unrolled: 1-line block ×3, first 2 shown]
	v_ashrrev_i32_e32 v21, 31, v20
	v_lshlrev_b64 v[16:17], 1, v[16:17]
	v_add_co_u32 v22, vcc_lo, v24, v22
	v_add_co_ci_u32_e32 v23, vcc_lo, v25, v23, vcc_lo
	s_delay_alu instid0(VALU_DEP_4) | instskip(NEXT) | instid1(VALU_DEP_4)
	v_lshlrev_b64 v[20:21], 1, v[20:21]
	v_add_co_u32 v16, vcc_lo, v24, v16
	v_add_co_ci_u32_e32 v17, vcc_lo, v25, v17, vcc_lo
	s_delay_alu instid0(VALU_DEP_3) | instskip(NEXT) | instid1(VALU_DEP_4)
	v_add_co_u32 v20, vcc_lo, v24, v20
	v_add_co_ci_u32_e32 v21, vcc_lo, v25, v21, vcc_lo
	s_waitcnt lgkmcnt(3)
	global_store_b128 v[18:19], v[0:3], off
	s_waitcnt lgkmcnt(2)
	global_store_b128 v[22:23], v[4:7], off
	;; [unrolled: 2-line block ×4, first 2 shown]
	s_nop 0
	s_sendmsg sendmsg(MSG_DEALLOC_VGPRS)
	s_endpgm
	.section	.rodata,"a",@progbits
	.p2align	6, 0x0
	.amdhsa_kernel _Z39paged_attention_ll4mi_QKV_mfma16_kernelI14__hip_bfloat16hLN4vllm18Fp8KVCacheDataTypeE1ES0_Li16ELi128ELi256ELb1ELi8EL8MFMAType1EEvPKT_PKT0_S9_ifPKiSB_SB_iPKfiiiPfSE_PS4_PT2_iSD_SD_
		.amdhsa_group_segment_fixed_size 17472
		.amdhsa_private_segment_fixed_size 0
		.amdhsa_kernarg_size 400
		.amdhsa_user_sgpr_count 13
		.amdhsa_user_sgpr_dispatch_ptr 0
		.amdhsa_user_sgpr_queue_ptr 0
		.amdhsa_user_sgpr_kernarg_segment_ptr 1
		.amdhsa_user_sgpr_dispatch_id 0
		.amdhsa_user_sgpr_private_segment_size 0
		.amdhsa_wavefront_size32 1
		.amdhsa_uses_dynamic_stack 0
		.amdhsa_enable_private_segment 0
		.amdhsa_system_sgpr_workgroup_id_x 1
		.amdhsa_system_sgpr_workgroup_id_y 1
		.amdhsa_system_sgpr_workgroup_id_z 1
		.amdhsa_system_sgpr_workgroup_info 0
		.amdhsa_system_vgpr_workitem_id 0
		.amdhsa_next_free_vgpr 140
		.amdhsa_next_free_sgpr 36
		.amdhsa_reserve_vcc 1
		.amdhsa_float_round_mode_32 0
		.amdhsa_float_round_mode_16_64 0
		.amdhsa_float_denorm_mode_32 3
		.amdhsa_float_denorm_mode_16_64 3
		.amdhsa_dx10_clamp 1
		.amdhsa_ieee_mode 1
		.amdhsa_fp16_overflow 0
		.amdhsa_workgroup_processor_mode 1
		.amdhsa_memory_ordered 1
		.amdhsa_forward_progress 0
		.amdhsa_shared_vgpr_count 0
		.amdhsa_exception_fp_ieee_invalid_op 0
		.amdhsa_exception_fp_denorm_src 0
		.amdhsa_exception_fp_ieee_div_zero 0
		.amdhsa_exception_fp_ieee_overflow 0
		.amdhsa_exception_fp_ieee_underflow 0
		.amdhsa_exception_fp_ieee_inexact 0
		.amdhsa_exception_int_div_zero 0
	.end_amdhsa_kernel
	.section	.text._Z39paged_attention_ll4mi_QKV_mfma16_kernelI14__hip_bfloat16hLN4vllm18Fp8KVCacheDataTypeE1ES0_Li16ELi128ELi256ELb1ELi8EL8MFMAType1EEvPKT_PKT0_S9_ifPKiSB_SB_iPKfiiiPfSE_PS4_PT2_iSD_SD_,"axG",@progbits,_Z39paged_attention_ll4mi_QKV_mfma16_kernelI14__hip_bfloat16hLN4vllm18Fp8KVCacheDataTypeE1ES0_Li16ELi128ELi256ELb1ELi8EL8MFMAType1EEvPKT_PKT0_S9_ifPKiSB_SB_iPKfiiiPfSE_PS4_PT2_iSD_SD_,comdat
.Lfunc_end1553:
	.size	_Z39paged_attention_ll4mi_QKV_mfma16_kernelI14__hip_bfloat16hLN4vllm18Fp8KVCacheDataTypeE1ES0_Li16ELi128ELi256ELb1ELi8EL8MFMAType1EEvPKT_PKT0_S9_ifPKiSB_SB_iPKfiiiPfSE_PS4_PT2_iSD_SD_, .Lfunc_end1553-_Z39paged_attention_ll4mi_QKV_mfma16_kernelI14__hip_bfloat16hLN4vllm18Fp8KVCacheDataTypeE1ES0_Li16ELi128ELi256ELb1ELi8EL8MFMAType1EEvPKT_PKT0_S9_ifPKiSB_SB_iPKfiiiPfSE_PS4_PT2_iSD_SD_
                                        ; -- End function
	.section	.AMDGPU.csdata,"",@progbits
; Kernel info:
; codeLenInByte = 8852
; NumSgprs: 38
; NumVgprs: 140
; ScratchSize: 0
; MemoryBound: 0
; FloatMode: 240
; IeeeMode: 1
; LDSByteSize: 17472 bytes/workgroup (compile time only)
; SGPRBlocks: 4
; VGPRBlocks: 17
; NumSGPRsForWavesPerEU: 38
; NumVGPRsForWavesPerEU: 140
; Occupancy: 10
; WaveLimiterHint : 1
; COMPUTE_PGM_RSRC2:SCRATCH_EN: 0
; COMPUTE_PGM_RSRC2:USER_SGPR: 13
; COMPUTE_PGM_RSRC2:TRAP_HANDLER: 0
; COMPUTE_PGM_RSRC2:TGID_X_EN: 1
; COMPUTE_PGM_RSRC2:TGID_Y_EN: 1
; COMPUTE_PGM_RSRC2:TGID_Z_EN: 1
; COMPUTE_PGM_RSRC2:TIDIG_COMP_CNT: 0
	.section	.text._Z39paged_attention_ll4mi_QKV_mfma16_kernelI14__hip_bfloat16hLN4vllm18Fp8KVCacheDataTypeE1ES0_Li16ELi128ELi256ELb1ELi9EL8MFMAType1EEvPKT_PKT0_S9_ifPKiSB_SB_iPKfiiiPfSE_PS4_PT2_iSD_SD_,"axG",@progbits,_Z39paged_attention_ll4mi_QKV_mfma16_kernelI14__hip_bfloat16hLN4vllm18Fp8KVCacheDataTypeE1ES0_Li16ELi128ELi256ELb1ELi9EL8MFMAType1EEvPKT_PKT0_S9_ifPKiSB_SB_iPKfiiiPfSE_PS4_PT2_iSD_SD_,comdat
	.protected	_Z39paged_attention_ll4mi_QKV_mfma16_kernelI14__hip_bfloat16hLN4vllm18Fp8KVCacheDataTypeE1ES0_Li16ELi128ELi256ELb1ELi9EL8MFMAType1EEvPKT_PKT0_S9_ifPKiSB_SB_iPKfiiiPfSE_PS4_PT2_iSD_SD_ ; -- Begin function _Z39paged_attention_ll4mi_QKV_mfma16_kernelI14__hip_bfloat16hLN4vllm18Fp8KVCacheDataTypeE1ES0_Li16ELi128ELi256ELb1ELi9EL8MFMAType1EEvPKT_PKT0_S9_ifPKiSB_SB_iPKfiiiPfSE_PS4_PT2_iSD_SD_
	.globl	_Z39paged_attention_ll4mi_QKV_mfma16_kernelI14__hip_bfloat16hLN4vllm18Fp8KVCacheDataTypeE1ES0_Li16ELi128ELi256ELb1ELi9EL8MFMAType1EEvPKT_PKT0_S9_ifPKiSB_SB_iPKfiiiPfSE_PS4_PT2_iSD_SD_
	.p2align	8
	.type	_Z39paged_attention_ll4mi_QKV_mfma16_kernelI14__hip_bfloat16hLN4vllm18Fp8KVCacheDataTypeE1ES0_Li16ELi128ELi256ELb1ELi9EL8MFMAType1EEvPKT_PKT0_S9_ifPKiSB_SB_iPKfiiiPfSE_PS4_PT2_iSD_SD_,@function
_Z39paged_attention_ll4mi_QKV_mfma16_kernelI14__hip_bfloat16hLN4vllm18Fp8KVCacheDataTypeE1ES0_Li16ELi128ELi256ELb1ELi9EL8MFMAType1EEvPKT_PKT0_S9_ifPKiSB_SB_iPKfiiiPfSE_PS4_PT2_iSD_SD_: ; @_Z39paged_attention_ll4mi_QKV_mfma16_kernelI14__hip_bfloat16hLN4vllm18Fp8KVCacheDataTypeE1ES0_Li16ELi128ELi256ELb1ELi9EL8MFMAType1EEvPKT_PKT0_S9_ifPKiSB_SB_iPKfiiiPfSE_PS4_PT2_iSD_SD_
; %bb.0:
	s_load_b64 s[4:5], s[0:1], 0x30
	s_mov_b32 s30, s13
	s_waitcnt lgkmcnt(0)
	s_cmp_lg_u64 s[4:5], 0
	s_cselect_b32 s13, -1, 0
	s_ashr_i32 s31, s30, 31
	s_cmp_eq_u64 s[4:5], 0
	s_cbranch_scc1 .LBB1554_3
; %bb.1:
	s_lshl_b64 s[2:3], s[30:31], 2
	s_delay_alu instid0(SALU_CYCLE_1) | instskip(SKIP_4) | instid1(SALU_CYCLE_1)
	s_add_u32 s2, s4, s2
	s_addc_u32 s3, s5, s3
	s_load_b64 s[2:3], s[2:3], 0x0
	s_waitcnt lgkmcnt(0)
	s_sub_i32 s2, s3, s2
	s_cmp_eq_u32 s2, 1
	s_cselect_b32 s2, -1, 0
	s_delay_alu instid0(SALU_CYCLE_1)
	s_and_not1_b32 vcc_lo, exec_lo, s2
	s_cbranch_vccz .LBB1554_4
.LBB1554_2:
	s_nop 0
	s_sendmsg sendmsg(MSG_DEALLOC_VGPRS)
	s_endpgm
.LBB1554_3:
.LBB1554_4:
	s_load_b64 s[2:3], s[0:1], 0x28
	s_lshl_b64 s[6:7], s[30:31], 2
	s_waitcnt lgkmcnt(0)
	s_add_u32 s2, s2, s6
	s_addc_u32 s3, s3, s7
	s_lshl_b32 s12, s14, 8
	s_load_b32 s17, s[2:3], 0x0
	s_waitcnt lgkmcnt(0)
	s_cmp_ge_i32 s12, s17
	s_cbranch_scc1 .LBB1554_2
; %bb.5:
	s_clause 0x1
	s_load_b128 s[8:11], s[0:1], 0x8
	s_load_b64 s[2:3], s[0:1], 0x20
	s_and_not1_b32 vcc_lo, exec_lo, s13
	s_cbranch_vccnz .LBB1554_7
; %bb.6:
	s_add_u32 s4, s4, s6
	s_addc_u32 s5, s5, s7
	s_load_b32 s13, s[4:5], 0x0
	s_branch .LBB1554_8
.LBB1554_7:
	s_mov_b32 s13, s30
.LBB1554_8:
	s_load_b128 s[4:7], s[0:1], 0x48
	v_and_b32_e32 v65, 15, v0
	v_lshrrev_b32_e32 v66, 5, v0
	v_bfe_u32 v74, v0, 4, 1
	v_and_b32_e32 v67, 31, v0
	v_and_b32_e32 v75, 1, v0
	v_lshlrev_b32_e32 v2, 3, v65
	s_mul_i32 s31, s15, 9
	v_lshl_or_b32 v1, v66, 1, v74
	s_waitcnt lgkmcnt(0)
	s_mov_b32 s7, exec_lo
	v_lshlrev_b32_e32 v73, 1, v2
	s_delay_alu instid0(VALU_DEP_2)
	v_cmpx_gt_u32_e32 9, v1
	s_cbranch_execz .LBB1554_10
; %bb.9:
	s_load_b64 s[18:19], s[0:1], 0x0
	v_add_lshl_u32 v2, v1, s31, 7
	s_mul_hi_i32 s21, s13, s4
	s_mul_i32 s20, s13, s4
	v_lshlrev_b32_e32 v6, 10, v65
	s_lshl_b64 s[20:21], s[20:21], 1
	v_ashrrev_i32_e32 v3, 31, v2
	v_lshlrev_b32_e32 v1, 6, v1
	v_lshlrev_b32_e32 v7, 10, v75
	v_and_b32_e32 v6, 0x3800, v6
	s_delay_alu instid0(VALU_DEP_4) | instskip(NEXT) | instid1(VALU_DEP_2)
	v_lshlrev_b64 v[2:3], 1, v[2:3]
	v_or3_b32 v1, v6, v7, v1
	s_waitcnt lgkmcnt(0)
	s_add_u32 s4, s18, s20
	s_addc_u32 s13, s19, s21
	s_delay_alu instid0(VALU_DEP_2) | instskip(SKIP_1) | instid1(VALU_DEP_2)
	v_add_co_u32 v2, vcc_lo, s4, v2
	v_add_co_ci_u32_e32 v3, vcc_lo, s13, v3, vcc_lo
	v_add_co_u32 v2, vcc_lo, v2, v73
	s_delay_alu instid0(VALU_DEP_2)
	v_add_co_ci_u32_e32 v3, vcc_lo, 0, v3, vcc_lo
	global_load_b128 v[2:5], v[2:3], off
	s_waitcnt vmcnt(0)
	ds_store_b128 v1, v[2:5]
.LBB1554_10:
	s_or_b32 exec_lo, exec_lo, s7
	v_and_b32_e32 v1, 0xef, v0
	s_add_i32 s4, s17, 15
	s_clause 0x1
	s_load_b32 s7, s[0:1], 0x38
	s_load_b32 s18, s[0:1], 0x1c
	s_ashr_i32 s13, s4, 31
	v_add_nc_u32_e32 v1, s12, v1
	s_lshr_b32 s13, s13, 28
	s_waitcnt lgkmcnt(0)
	s_add_i32 s4, s4, s13
	s_barrier
	v_ashrrev_i32_e32 v2, 31, v1
	v_or_b32_e32 v3, 16, v1
	s_ashr_i32 s4, s4, 4
	v_cmp_gt_i32_e32 vcc_lo, s17, v1
	s_add_i32 s4, s4, -1
	v_lshrrev_b32_e32 v2, 28, v2
	buffer_gl0_inv
	s_mul_i32 s15, s15, s6
	v_add_nc_u32_e32 v4, v1, v2
	s_mul_i32 s20, s30, s7
	s_delay_alu instid0(SALU_CYCLE_1) | instskip(NEXT) | instid1(VALU_DEP_1)
	s_ashr_i32 s21, s20, 31
	v_ashrrev_i32_e32 v4, 4, v4
	v_add_nc_u32_e32 v2, v3, v2
	s_lshl_b64 s[20:21], s[20:21], 2
	s_delay_alu instid0(SALU_CYCLE_1) | instskip(NEXT) | instid1(VALU_DEP_2)
	s_add_u32 s13, s2, s20
	v_cndmask_b32_e32 v1, s4, v4, vcc_lo
	s_delay_alu instid0(VALU_DEP_2)
	v_ashrrev_i32_e32 v2, 4, v2
	v_cmp_gt_i32_e32 vcc_lo, s17, v3
	s_addc_u32 s16, s3, s21
	s_ashr_i32 s19, s15, 31
	s_add_u32 s26, s8, s15
	s_addc_u32 s27, s9, s19
	v_cndmask_b32_e32 v3, s4, v2, vcc_lo
	v_ashrrev_i32_e32 v2, 31, v1
	s_lshl_b32 s2, s14, 4
	s_delay_alu instid0(SALU_CYCLE_1) | instskip(NEXT) | instid1(VALU_DEP_2)
	s_ashr_i32 s3, s2, 31
	v_ashrrev_i32_e32 v4, 31, v3
	s_delay_alu instid0(VALU_DEP_2) | instskip(SKIP_1) | instid1(SALU_CYCLE_1)
	v_lshlrev_b64 v[1:2], 2, v[1:2]
	s_lshl_b64 s[2:3], s[2:3], 2
	s_add_u32 s2, s13, s2
	s_delay_alu instid0(VALU_DEP_2) | instskip(SKIP_1) | instid1(VALU_DEP_2)
	v_lshlrev_b64 v[3:4], 2, v[3:4]
	s_addc_u32 s3, s16, s3
	v_add_co_u32 v1, vcc_lo, s13, v1
	v_add_co_ci_u32_e32 v2, vcc_lo, s16, v2, vcc_lo
	s_delay_alu instid0(VALU_DEP_3) | instskip(NEXT) | instid1(VALU_DEP_4)
	v_add_co_u32 v3, vcc_lo, s13, v3
	v_add_co_ci_u32_e32 v4, vcc_lo, s16, v4, vcc_lo
	s_clause 0x1
	global_load_b32 v5, v[1:2], off
	global_load_b32 v3, v[3:4], off
	s_or_b32 s6, s12, 32
	v_cmp_gt_u32_e32 vcc_lo, 9, v65
	s_ashr_i32 s7, s6, 4
	s_cmp_lt_i32 s6, s17
	s_cselect_b32 s6, s7, s4
	s_delay_alu instid0(SALU_CYCLE_1) | instskip(NEXT) | instid1(SALU_CYCLE_1)
	s_ashr_i32 s7, s6, 31
	s_lshl_b64 s[6:7], s[6:7], 2
	s_delay_alu instid0(SALU_CYCLE_1) | instskip(SKIP_2) | instid1(SALU_CYCLE_1)
	s_add_u32 s6, s13, s6
	s_addc_u32 s7, s16, s7
	s_or_b32 s8, s12, 64
	s_ashr_i32 s9, s8, 4
	s_cmp_lt_i32 s8, s17
	s_cselect_b32 s8, s9, s4
	s_delay_alu instid0(SALU_CYCLE_1) | instskip(NEXT) | instid1(SALU_CYCLE_1)
	s_ashr_i32 s9, s8, 31
	s_lshl_b64 s[8:9], s[8:9], 2
	s_delay_alu instid0(SALU_CYCLE_1) | instskip(SKIP_2) | instid1(SALU_CYCLE_1)
	s_add_u32 s8, s13, s8
	s_addc_u32 s9, s16, s9
	s_or_b32 s20, s12, 0x60
	;; [unrolled: 10-line block ×4, first 2 shown]
	s_ashr_i32 s25, s24, 4
	s_cmp_lt_i32 s24, s17
	s_cselect_b32 s24, s25, s4
	s_delay_alu instid0(SALU_CYCLE_1) | instskip(NEXT) | instid1(SALU_CYCLE_1)
	s_ashr_i32 s25, s24, 31
	s_lshl_b64 s[24:25], s[24:25], 2
	s_delay_alu instid0(SALU_CYCLE_1)
	s_add_u32 s24, s13, s24
	s_addc_u32 s25, s16, s25
	s_clause 0x5
	s_load_b32 s28, s[2:3], 0x0
	s_load_b32 s29, s[6:7], 0x0
	;; [unrolled: 1-line block ×6, first 2 shown]
	s_mov_b32 s20, 0
	s_or_b32 s2, s12, 0xc0
	s_mov_b32 s21, s20
	s_mov_b32 s22, s20
	s_mov_b32 s23, s20
	s_mov_b32 s24, s20
	s_mov_b32 s25, s20
	v_lshlrev_b32_e32 v1, 4, v0
	s_ashr_i32 s3, s2, 4
	s_cmp_lt_i32 s2, s17
	s_cselect_b32 s2, s3, s4
	s_delay_alu instid0(VALU_DEP_1) | instskip(SKIP_1) | instid1(SALU_CYCLE_1)
	v_and_b32_e32 v1, 0xf0, v1
	s_ashr_i32 s3, s2, 31
	s_lshl_b64 s[2:3], s[2:3], 2
	s_delay_alu instid0(VALU_DEP_1) | instskip(NEXT) | instid1(VALU_DEP_1)
	v_add_co_u32 v1, s26, s26, v1
	v_add_co_ci_u32_e64 v2, null, s27, 0, s26
	s_add_u32 s2, s13, s2
	s_addc_u32 s3, s16, s3
	s_or_b32 s6, s12, 0xe0
	s_mov_b32 s27, s20
	s_ashr_i32 s7, s6, 4
	s_cmp_lt_i32 s6, s17
	s_mov_b32 s26, s20
	v_dual_mov_b32 v107, s27 :: v_dual_mov_b32 v100, s20
	s_cselect_b32 s6, s7, s4
	v_mov_b32_e32 v106, s26
	s_ashr_i32 s7, s6, 31
	v_mov_b32_e32 v104, s24
	s_lshl_b64 s[6:7], s[6:7], 2
	v_dual_mov_b32 v103, s23 :: v_dual_mov_b32 v102, s22
	v_mov_b32_e32 v101, s21
	s_waitcnt vmcnt(1)
	v_mad_i64_i32 v[33:34], null, v5, s5, v[1:2]
	s_waitcnt vmcnt(0)
	v_mad_i64_i32 v[35:36], null, v3, s5, v[1:2]
	s_clause 0xf
	global_load_b128 v[1:4], v[33:34], off
	global_load_b128 v[5:8], v[33:34], off offset:256
	global_load_b128 v[9:12], v[35:36], off
	global_load_b128 v[13:16], v[35:36], off offset:256
	global_load_b128 v[17:20], v[33:34], off offset:512
	;; [unrolled: 1-line block ×13, first 2 shown]
	v_add_nc_u32_e32 v33, -9, v65
	v_lshlrev_b32_e32 v34, 4, v65
	s_delay_alu instid0(VALU_DEP_2) | instskip(SKIP_1) | instid1(VALU_DEP_3)
	v_cndmask_b32_e32 v33, v33, v65, vcc_lo
	v_mov_b32_e32 v105, s25
	v_lshl_or_b32 v41, v66, 8, v34
	s_delay_alu instid0(VALU_DEP_3)
	v_lshlrev_b32_e32 v72, 6, v33
	ds_load_b128 v[33:36], v72
	ds_load_b128 v[37:40], v72 offset:1024
	ds_load_b128 v[108:111], v72 offset:2048
	;; [unrolled: 1-line block ×3, first 2 shown]
	s_load_b32 s4, s[2:3], 0x0
	s_add_u32 s2, s13, s6
	s_addc_u32 s3, s16, s7
	ds_load_b128 v[116:119], v72 offset:4096
	ds_load_b128 v[120:123], v72 offset:5120
	s_load_b32 s2, s[2:3], 0x0
	s_add_u32 s6, s10, s15
	s_addc_u32 s7, s11, s19
	v_add_co_u32 v68, s6, s6, v41
	s_delay_alu instid0(VALU_DEP_1) | instskip(SKIP_1) | instid1(VALU_DEP_1)
	v_add_co_ci_u32_e64 v69, null, s7, 0, s6
	s_waitcnt lgkmcnt(0)
	v_mad_i64_i32 v[41:42], null, s28, s5, v[68:69]
	v_mad_i64_i32 v[70:71], null, s8, s5, v[68:69]
	;; [unrolled: 1-line block ×7, first 2 shown]
	s_clause 0x3
	global_load_b128 v[49:52], v[41:42], off
	global_load_b128 v[53:56], v[41:42], off offset:16
	global_load_b128 v[41:44], v[45:46], off
	global_load_b128 v[45:48], v[45:46], off offset:16
	s_waitcnt vmcnt(18)
	v_wmma_f32_16x16x16_bf16 v[124:131], v[1:8], v[33:40], v[100:107]
	s_waitcnt vmcnt(16)
	v_wmma_f32_16x16x16_bf16 v[100:107], v[9:16], v[33:40], v[100:107]
	s_clause 0x1
	global_load_b128 v[33:36], v[70:71], off
	global_load_b128 v[37:40], v[70:71], off offset:16
	v_mad_i64_i32 v[70:71], null, s2, s5, v[68:69]
	s_waitcnt vmcnt(16)
	v_wmma_f32_16x16x16_bf16 v[124:131], v[17:24], v[108:115], v[124:131]
	s_waitcnt vmcnt(14)
	v_wmma_f32_16x16x16_bf16 v[100:107], v[25:32], v[108:115], v[100:107]
	s_clause 0x7
	global_load_b128 v[25:28], v[132:133], off
	global_load_b128 v[29:32], v[132:133], off offset:16
	global_load_b128 v[1:4], v[134:135], off
	global_load_b128 v[5:8], v[134:135], off offset:16
	global_load_b128 v[9:12], v[136:137], off
	global_load_b128 v[13:16], v[136:137], off offset:16
	global_load_b128 v[17:20], v[138:139], off
	global_load_b128 v[21:24], v[138:139], off offset:16
	s_waitcnt vmcnt(20)
	v_wmma_f32_16x16x16_bf16 v[124:131], v[57:64], v[116:123], v[124:131]
	s_clause 0x1
	global_load_b128 v[57:60], v[70:71], off
	global_load_b128 v[61:64], v[70:71], off offset:16
	s_waitcnt vmcnt(20)
	v_wmma_f32_16x16x16_bf16 v[100:107], v[76:83], v[116:123], v[100:107]
	ds_load_b128 v[76:79], v72 offset:6144
	ds_load_b128 v[80:83], v72 offset:7168
	v_and_b32_e32 v68, 0xe0, v0
	v_mbcnt_lo_u32_b32 v69, -1, 0
	s_waitcnt vmcnt(0) lgkmcnt(0)
	s_barrier
	buffer_gl0_inv
	v_add_nc_u32_e32 v68, s12, v68
	v_xor_b32_e32 v70, 16, v69
	s_delay_alu instid0(VALU_DEP_2) | instskip(NEXT) | instid1(VALU_DEP_2)
	v_or_b32_e32 v68, v68, v74
	v_cmp_gt_i32_e32 vcc_lo, 32, v70
	s_delay_alu instid0(VALU_DEP_2)
	v_or_b32_e32 v71, 4, v68
	v_or_b32_e32 v72, 6, v68
	v_cmp_gt_i32_e64 s2, s17, v68
	v_or_b32_e32 v108, 8, v68
	v_wmma_f32_16x16x16_bf16 v[124:131], v[84:91], v[76:83], v[124:131]
	v_cndmask_b32_e32 v69, v69, v70, vcc_lo
	v_or_b32_e32 v70, 2, v68
	v_wmma_f32_16x16x16_bf16 v[100:107], v[92:99], v[76:83], v[100:107]
	v_or_b32_e32 v109, 10, v68
	v_dual_mul_f32 v82, s18, v127 :: v_dual_mul_f32 v79, s18, v130
	v_dual_mul_f32 v92, s18, v125 :: v_dual_mul_f32 v93, s18, v124
	s_delay_alu instid0(VALU_DEP_4)
	v_mul_f32_e32 v98, s18, v103
	v_cmp_gt_i32_e32 vcc_lo, s17, v70
	v_or_b32_e32 v89, 22, v68
	v_dual_mul_f32 v83, s18, v126 :: v_dual_mul_f32 v96, s18, v105
	v_cndmask_b32_e64 v93, 0xff7fffff, v93, s2
	v_cndmask_b32_e32 v92, 0xff7fffff, v92, vcc_lo
	v_cmp_gt_i32_e64 s3, s17, v71
	v_cmp_gt_i32_e64 s4, s17, v72
	v_or_b32_e32 v84, 12, v68
	v_or_b32_e32 v85, 14, v68
	v_dual_mul_f32 v80, s18, v129 :: v_dual_mul_f32 v81, s18, v128
	v_mul_f32_e32 v94, s18, v107
	v_cndmask_b32_e64 v71, 0xff7fffff, v83, s3
	v_cndmask_b32_e64 v72, 0xff7fffff, v82, s4
	v_cmp_gt_i32_e64 s5, s17, v108
	v_cmp_gt_i32_e64 s6, s17, v109
	;; [unrolled: 1-line block ×3, first 2 shown]
	v_lshlrev_b32_e32 v89, 2, v69
	v_max3_f32 v82, v93, 0xff7fffff, v92
	v_or_b32_e32 v86, 16, v68
	v_or_b32_e32 v87, 18, v68
	v_mul_f32_e32 v78, s18, v131
	v_cndmask_b32_e64 v81, 0xff7fffff, v81, s5
	v_cndmask_b32_e64 v80, 0xff7fffff, v80, s6
	v_max3_f32 v71, v82, v71, v72
	v_cmp_gt_i32_e64 s7, s17, v84
	v_cmp_gt_i32_e64 s8, s17, v85
	v_or_b32_e32 v88, 20, v68
	v_or_b32_e32 v90, 24, v68
	;; [unrolled: 1-line block ×5, first 2 shown]
	v_dual_mul_f32 v95, s18, v106 :: v_dual_mul_f32 v70, s18, v101
	v_dual_mul_f32 v99, s18, v102 :: v_dual_mul_f32 v68, s18, v100
	v_cndmask_b32_e64 v72, 0xff7fffff, v79, s7
	v_cndmask_b32_e64 v78, 0xff7fffff, v78, s8
	v_max3_f32 v71, v71, v81, v80
	v_cmp_gt_i32_e64 s9, s17, v86
	v_cmp_gt_i32_e64 s10, s17, v87
	;; [unrolled: 1-line block ×3, first 2 shown]
	v_mul_f32_e32 v97, s18, v104
	v_max3_f32 v71, v71, v72, v78
	v_cndmask_b32_e64 v68, 0xff7fffff, v68, s9
	v_cndmask_b32_e64 v70, 0xff7fffff, v70, s10
	v_cndmask_b32_e64 v72, 0xff7fffff, v99, s11
	v_cndmask_b32_e64 v78, 0xff7fffff, v98, s12
	v_cmp_gt_i32_e64 s13, s17, v90
	v_cmp_gt_i32_e64 s15, s17, v91
	v_max3_f32 v68, v71, v68, v70
	v_cmp_gt_i32_e64 s16, s17, v76
	v_cmp_gt_i32_e64 s17, s17, v77
	v_cndmask_b32_e64 v70, 0xff7fffff, v97, s13
	v_cndmask_b32_e64 v71, 0xff7fffff, v96, s15
	v_max3_f32 v68, v68, v72, v78
	v_cndmask_b32_e64 v72, 0xff7fffff, v95, s16
	v_cndmask_b32_e64 v76, 0xff7fffff, v94, s17
	s_delay_alu instid0(VALU_DEP_3) | instskip(NEXT) | instid1(VALU_DEP_1)
	v_max3_f32 v68, v68, v70, v71
	v_max3_f32 v68, v68, v72, v76
	ds_bpermute_b32 v69, v89, v68
	s_waitcnt lgkmcnt(0)
	v_max_f32_e32 v69, v69, v69
	s_delay_alu instid0(VALU_DEP_1) | instskip(NEXT) | instid1(VALU_DEP_1)
	v_max_f32_e32 v68, v68, v69
	v_fma_f32 v69, s18, v124, -v68
	v_fma_f32 v70, s18, v125, -v68
	v_fma_f32 v72, s18, v127, -v68
	v_fma_f32 v71, s18, v126, -v68
	v_fma_f32 v76, s18, v128, -v68
	s_delay_alu instid0(VALU_DEP_4) | instskip(NEXT) | instid1(VALU_DEP_4)
	v_dual_mul_f32 v69, 0x3fb8aa3b, v69 :: v_dual_mul_f32 v70, 0x3fb8aa3b, v70
	v_mul_f32_e32 v72, 0x3fb8aa3b, v72
	v_fma_f32 v78, s18, v130, -v68
	s_delay_alu instid0(VALU_DEP_4) | instskip(NEXT) | instid1(VALU_DEP_4)
	v_mul_f32_e32 v77, 0x3fb8aa3b, v76
	v_exp_f32_e32 v69, v69
	v_exp_f32_e32 v70, v70
	v_mul_f32_e32 v71, 0x3fb8aa3b, v71
	v_exp_f32_e32 v72, v72
	v_mul_f32_e32 v78, 0x3fb8aa3b, v78
	v_exp_f32_e32 v77, v77
	v_fma_f32 v81, s18, v105, -v68
	s_delay_alu instid0(VALU_DEP_2)
	v_exp_f32_e32 v78, v78
	v_cndmask_b32_e64 v80, 0, v69, s2
	v_cndmask_b32_e32 v76, 0, v70, vcc_lo
	v_exp_f32_e32 v71, v71
	v_fma_f32 v69, s18, v129, -v68
	v_cndmask_b32_e64 v85, 0, v72, s4
	v_add_f32_e32 v70, 0, v80
	s_delay_alu instid0(TRANS32_DEP_3)
	v_cndmask_b32_e64 v86, 0, v77, s5
	v_fma_f32 v77, s18, v101, -v68
	v_mul_f32_e32 v69, 0x3fb8aa3b, v69
	v_fma_f32 v72, s18, v100, -v68
	v_cndmask_b32_e64 v84, 0, v78, s7
	v_fma_f32 v78, s18, v103, -v68
	v_cndmask_b32_e64 v83, 0, v71, s3
	v_fma_f32 v71, s18, v131, -v68
	v_add_f32_e32 v70, v70, v76
	v_exp_f32_e32 v69, v69
	v_mul_f32_e32 v77, 0x3fb8aa3b, v77
	v_mul_f32_e32 v81, 0x3fb8aa3b, v81
	;; [unrolled: 1-line block ×3, first 2 shown]
	v_add_f32_e32 v70, v70, v83
	v_cmp_gt_u32_e64 s2, 16, v67
	v_exp_f32_e32 v77, v77
	v_exp_f32_e32 v81, v81
	;; [unrolled: 1-line block ×3, first 2 shown]
	v_cndmask_b32_e64 v87, 0, v69, s6
	v_add_f32_e32 v70, v70, v85
	s_delay_alu instid0(VALU_DEP_1) | instskip(SKIP_1) | instid1(VALU_DEP_2)
	v_dual_mul_f32 v72, 0x3fb8aa3b, v72 :: v_dual_add_f32 v69, v70, v86
	v_fma_f32 v70, s18, v102, -v68
	v_exp_f32_e32 v72, v72
	s_waitcnt_depctr 0xfff
	v_cndmask_b32_e64 v88, 0, v71, s8
	v_fma_f32 v71, s18, v104, -v68
	v_dual_add_f32 v69, v69, v87 :: v_dual_mul_f32 v70, 0x3fb8aa3b, v70
	s_delay_alu instid0(VALU_DEP_2) | instskip(NEXT) | instid1(VALU_DEP_2)
	v_dual_mul_f32 v78, 0x3fb8aa3b, v78 :: v_dual_mul_f32 v71, 0x3fb8aa3b, v71
	v_add_f32_e32 v69, v69, v84
	s_delay_alu instid0(VALU_DEP_3) | instskip(SKIP_1) | instid1(VALU_DEP_3)
	v_exp_f32_e32 v79, v70
	v_cndmask_b32_e64 v70, 0, v72, s9
	v_exp_f32_e32 v78, v78
	v_exp_f32_e32 v82, v71
	v_add_f32_e32 v72, v69, v88
	v_cndmask_b32_e64 v69, 0, v77, s10
	v_fma_f32 v77, s18, v106, -v68
	s_delay_alu instid0(VALU_DEP_3) | instskip(NEXT) | instid1(TRANS32_DEP_3)
	v_add_f32_e32 v72, v72, v70
	v_cndmask_b32_e64 v71, 0, v79, s11
	s_delay_alu instid0(VALU_DEP_3) | instskip(NEXT) | instid1(VALU_DEP_3)
	v_mul_f32_e32 v77, 0x3fb8aa3b, v77
	v_add_f32_e32 v79, v72, v69
	s_delay_alu instid0(TRANS32_DEP_2) | instskip(NEXT) | instid1(VALU_DEP_3)
	v_cndmask_b32_e64 v72, 0, v78, s12
	v_exp_f32_e32 v90, v77
	v_cndmask_b32_e64 v77, 0, v82, s13
	s_delay_alu instid0(VALU_DEP_3) | instskip(SKIP_1) | instid1(VALU_DEP_1)
	v_add_f32_e32 v78, v79, v71
	v_fma_f32 v79, s18, v107, -v68
	v_dual_add_f32 v82, v78, v72 :: v_dual_mul_f32 v79, 0x3fb8aa3b, v79
	v_cndmask_b32_e64 v78, 0, v81, s15
	s_delay_alu instid0(VALU_DEP_2) | instskip(NEXT) | instid1(VALU_DEP_3)
	v_add_f32_e32 v81, v82, v77
	v_exp_f32_e32 v82, v79
	s_delay_alu instid0(TRANS32_DEP_2) | instskip(NEXT) | instid1(VALU_DEP_2)
	v_cndmask_b32_e64 v79, 0, v90, s16
	v_add_f32_e32 v81, v81, v78
	s_delay_alu instid0(VALU_DEP_1) | instskip(SKIP_2) | instid1(VALU_DEP_1)
	v_add_f32_e32 v90, v81, v79
	s_waitcnt_depctr 0xfff
	v_cndmask_b32_e64 v81, 0, v82, s17
	v_add_f32_e32 v82, v90, v81
	ds_bpermute_b32 v89, v89, v82
	s_and_saveexec_b32 s3, s2
	s_cbranch_execz .LBB1554_12
; %bb.11:
	v_mul_u32_u24_e32 v67, 0x44, v66
	s_delay_alu instid0(VALU_DEP_1) | instskip(SKIP_1) | instid1(VALU_DEP_1)
	v_lshl_add_u32 v67, v65, 2, v67
	s_waitcnt lgkmcnt(0)
	v_dual_add_f32 v82, v82, v89 :: v_dual_add_nc_u32 v67, 0x4000, v67
	ds_store_2addr_b32 v67, v68, v82 offset1:136
.LBB1554_12:
	s_or_b32 exec_lo, exec_lo, s3
	v_lshlrev_b32_e32 v67, 2, v65
	s_waitcnt lgkmcnt(0)
	s_barrier
	buffer_gl0_inv
	v_cmp_eq_u32_e32 vcc_lo, 1, v66
	v_add_nc_u32_e32 v82, 0x4000, v67
	v_cmp_eq_u32_e64 s3, 2, v66
	v_cmp_eq_u32_e64 s5, 7, v66
	ds_load_2addr_b32 v[89:90], v82 offset1:17
	ds_load_2addr_b32 v[91:92], v82 offset0:34 offset1:51
	ds_load_2addr_b32 v[93:94], v82 offset0:68 offset1:85
	;; [unrolled: 1-line block ×4, first 2 shown]
	s_waitcnt lgkmcnt(4)
	v_max3_f32 v67, v89, 0xff7fffff, v90
	s_waitcnt lgkmcnt(3)
	s_delay_alu instid0(VALU_DEP_1) | instskip(SKIP_1) | instid1(VALU_DEP_1)
	v_max3_f32 v67, v67, v91, v92
	s_waitcnt lgkmcnt(2)
	v_max3_f32 v67, v67, v93, v94
	s_waitcnt lgkmcnt(1)
	s_delay_alu instid0(VALU_DEP_1) | instskip(NEXT) | instid1(VALU_DEP_1)
	v_max3_f32 v67, v67, v95, v96
	v_sub_f32_e32 v93, v93, v67
	s_delay_alu instid0(VALU_DEP_1) | instskip(NEXT) | instid1(VALU_DEP_1)
	v_dual_sub_f32 v68, v89, v67 :: v_dual_mul_f32 v103, 0x3fb8aa3b, v93
	v_mul_f32_e32 v68, 0x3fb8aa3b, v68
	s_delay_alu instid0(VALU_DEP_1)
	v_exp_f32_e32 v100, v68
	v_sub_f32_e32 v68, v92, v67
	v_sub_f32_e32 v99, v90, v67
	ds_load_2addr_b32 v[89:90], v82 offset0:170 offset1:187
	v_dual_mul_f32 v102, 0x3fb8aa3b, v68 :: v_dual_mul_f32 v99, 0x3fb8aa3b, v99
	s_waitcnt lgkmcnt(1)
	v_fma_f32 v68, v100, v97, 0
	s_delay_alu instid0(VALU_DEP_2) | instskip(NEXT) | instid1(VALU_DEP_2)
	v_exp_f32_e32 v102, v102
	v_exp_f32_e32 v99, v99
	s_waitcnt_depctr 0xfff
	v_fmac_f32_e32 v68, v99, v98
	v_sub_f32_e32 v91, v91, v67
	s_delay_alu instid0(VALU_DEP_1)
	v_mul_f32_e32 v101, 0x3fb8aa3b, v91
	ds_load_2addr_b32 v[91:92], v82 offset0:204 offset1:221
	v_sub_f32_e32 v97, v94, v67
	ds_load_2addr_b32 v[93:94], v82 offset0:238 offset1:255
	s_waitcnt lgkmcnt(0)
	v_exp_f32_e32 v101, v101
	s_barrier
	buffer_gl0_inv
	v_dual_fmac_f32 v68, v101, v89 :: v_dual_sub_f32 v89, v96, v67
	v_dual_sub_f32 v82, v95, v67 :: v_dual_mul_f32 v95, 0x3fb8aa3b, v97
	v_exp_f32_e32 v97, v103
	s_delay_alu instid0(VALU_DEP_2) | instskip(NEXT) | instid1(VALU_DEP_2)
	v_dual_fmac_f32 v68, v102, v90 :: v_dual_mul_f32 v89, 0x3fb8aa3b, v89
	v_mul_f32_e32 v82, 0x3fb8aa3b, v82
	s_delay_alu instid0(VALU_DEP_3) | instskip(NEXT) | instid1(VALU_DEP_2)
	v_exp_f32_e32 v95, v95
	v_exp_f32_e32 v89, v89
	s_delay_alu instid0(VALU_DEP_1)
	v_exp_f32_e32 v82, v82
	v_fmac_f32_e32 v68, v97, v91
	s_delay_alu instid0(TRANS32_DEP_3) | instid1(VALU_DEP_1)
	v_fmac_f32_e32 v68, v95, v92
	s_waitcnt_depctr 0xfff
	v_fmac_f32_e32 v68, v82, v93
	s_delay_alu instid0(VALU_DEP_1) | instskip(NEXT) | instid1(VALU_DEP_1)
	v_fmac_f32_e32 v68, v89, v94
	v_add_f32_e32 v90, 0x358637bd, v68
	s_delay_alu instid0(VALU_DEP_1) | instskip(NEXT) | instid1(VALU_DEP_1)
	v_div_scale_f32 v91, null, v90, v90, 1.0
	v_rcp_f32_e32 v92, v91
	s_waitcnt_depctr 0xfff
	v_fma_f32 v93, -v91, v92, 1.0
	s_delay_alu instid0(VALU_DEP_1) | instskip(SKIP_1) | instid1(VALU_DEP_2)
	v_dual_fmac_f32 v92, v93, v92 :: v_dual_cndmask_b32 v93, v100, v99
	v_cmp_eq_u32_e32 vcc_lo, 3, v66
	v_cndmask_b32_e64 v93, v93, v101, s3
	v_cmp_eq_u32_e64 s3, 4, v66
	s_delay_alu instid0(VALU_DEP_2) | instskip(SKIP_1) | instid1(VALU_DEP_2)
	v_cndmask_b32_e32 v93, v93, v102, vcc_lo
	v_cmp_eq_u32_e32 vcc_lo, 5, v66
	v_cndmask_b32_e64 v93, v93, v97, s3
	v_cmp_eq_u32_e64 s3, 6, v66
	s_delay_alu instid0(VALU_DEP_2) | instskip(SKIP_1) | instid1(VALU_DEP_1)
	v_cndmask_b32_e32 v93, v93, v95, vcc_lo
	v_div_scale_f32 v94, s4, 1.0, v90, 1.0
	s_mov_b32 vcc_lo, s4
	s_delay_alu instid0(VALU_DEP_2) | instskip(NEXT) | instid1(VALU_DEP_2)
	v_cndmask_b32_e64 v82, v93, v82, s3
	v_mul_f32_e32 v96, v94, v92
	s_mov_b32 s3, exec_lo
	s_delay_alu instid0(VALU_DEP_2) | instskip(NEXT) | instid1(VALU_DEP_2)
	v_cndmask_b32_e64 v82, v82, v89, s5
	v_fma_f32 v98, -v91, v96, v94
	s_delay_alu instid0(VALU_DEP_1) | instskip(NEXT) | instid1(VALU_DEP_1)
	v_fmac_f32_e32 v96, v98, v92
	v_fma_f32 v91, -v91, v96, v94
	s_delay_alu instid0(VALU_DEP_1) | instskip(NEXT) | instid1(VALU_DEP_1)
	v_div_fmas_f32 v91, v91, v92, v96
	v_div_fixup_f32 v90, v91, v90, 1.0
	s_delay_alu instid0(VALU_DEP_1) | instskip(NEXT) | instid1(VALU_DEP_1)
	v_mul_f32_e32 v82, v82, v90
	v_mul_f32_e32 v87, v82, v87
	;; [unrolled: 1-line block ×7, first 2 shown]
	v_dual_mul_f32 v86, v82, v83 :: v_dual_and_b32 v91, 0x7f800000, v90
	v_mul_f32_e32 v85, v82, v76
                                        ; implicit-def: $vgpr76
	s_delay_alu instid0(VALU_DEP_2)
	v_cmpx_ne_u32_e32 0x7f800000, v91
	s_xor_b32 s3, exec_lo, s3
; %bb.13:
	v_bfe_u32 v76, v90, 16, 1
	s_delay_alu instid0(VALU_DEP_1)
	v_add3_u32 v76, v90, v76, 0x7fff
                                        ; implicit-def: $vgpr90
; %bb.14:
	s_and_not1_saveexec_b32 s3, s3
; %bb.15:
	v_and_b32_e32 v76, 0xffff, v90
	v_or_b32_e32 v83, 0x10000, v90
	s_delay_alu instid0(VALU_DEP_2) | instskip(NEXT) | instid1(VALU_DEP_2)
	v_cmp_eq_u32_e32 vcc_lo, 0, v76
	v_cndmask_b32_e32 v76, v83, v90, vcc_lo
; %bb.16:
	s_or_b32 exec_lo, exec_lo, s3
	v_and_b32_e32 v83, 0x7f800000, v85
	s_delay_alu instid0(VALU_DEP_1) | instskip(SKIP_1) | instid1(SALU_CYCLE_1)
	v_cmp_ne_u32_e32 vcc_lo, 0x7f800000, v83
                                        ; implicit-def: $vgpr83
	s_and_saveexec_b32 s3, vcc_lo
	s_xor_b32 s3, exec_lo, s3
; %bb.17:
	v_bfe_u32 v83, v85, 16, 1
	s_delay_alu instid0(VALU_DEP_1)
	v_add3_u32 v83, v85, v83, 0x7fff
                                        ; implicit-def: $vgpr85
; %bb.18:
	s_and_not1_saveexec_b32 s3, s3
; %bb.19:
	v_and_b32_e32 v83, 0xffff, v85
	v_or_b32_e32 v90, 0x10000, v85
	s_delay_alu instid0(VALU_DEP_2) | instskip(NEXT) | instid1(VALU_DEP_2)
	v_cmp_eq_u32_e32 vcc_lo, 0, v83
	v_cndmask_b32_e32 v83, v90, v85, vcc_lo
; %bb.20:
	s_or_b32 exec_lo, exec_lo, s3
	v_and_b32_e32 v85, 0x7f800000, v86
	s_delay_alu instid0(VALU_DEP_1) | instskip(SKIP_1) | instid1(SALU_CYCLE_1)
	v_cmp_ne_u32_e32 vcc_lo, 0x7f800000, v85
                                        ; implicit-def: $vgpr85
	s_and_saveexec_b32 s3, vcc_lo
	s_xor_b32 s3, exec_lo, s3
; %bb.21:
	v_bfe_u32 v85, v86, 16, 1
	s_delay_alu instid0(VALU_DEP_1)
	v_add3_u32 v85, v86, v85, 0x7fff
                                        ; implicit-def: $vgpr86
; %bb.22:
	s_and_not1_saveexec_b32 s3, s3
; %bb.23:
	v_and_b32_e32 v85, 0xffff, v86
	v_or_b32_e32 v90, 0x10000, v86
	s_delay_alu instid0(VALU_DEP_2) | instskip(NEXT) | instid1(VALU_DEP_2)
	v_cmp_eq_u32_e32 vcc_lo, 0, v85
	v_cndmask_b32_e32 v85, v90, v86, vcc_lo
; %bb.24:
	s_or_b32 exec_lo, exec_lo, s3
	v_and_b32_e32 v86, 0x7f800000, v89
	s_delay_alu instid0(VALU_DEP_1) | instskip(SKIP_1) | instid1(SALU_CYCLE_1)
	v_cmp_ne_u32_e32 vcc_lo, 0x7f800000, v86
                                        ; implicit-def: $vgpr86
	s_and_saveexec_b32 s3, vcc_lo
	s_xor_b32 s3, exec_lo, s3
; %bb.25:
	v_bfe_u32 v86, v89, 16, 1
	s_delay_alu instid0(VALU_DEP_1)
	v_add3_u32 v86, v89, v86, 0x7fff
                                        ; implicit-def: $vgpr89
; %bb.26:
	s_and_not1_saveexec_b32 s3, s3
; %bb.27:
	v_and_b32_e32 v86, 0xffff, v89
	v_or_b32_e32 v90, 0x10000, v89
	s_delay_alu instid0(VALU_DEP_2) | instskip(NEXT) | instid1(VALU_DEP_2)
	v_cmp_eq_u32_e32 vcc_lo, 0, v86
	v_cndmask_b32_e32 v86, v90, v89, vcc_lo
; %bb.28:
	s_or_b32 exec_lo, exec_lo, s3
	v_and_b32_e32 v89, 0x7f800000, v88
	s_delay_alu instid0(VALU_DEP_1) | instskip(SKIP_1) | instid1(SALU_CYCLE_1)
	v_cmp_ne_u32_e32 vcc_lo, 0x7f800000, v89
                                        ; implicit-def: $vgpr89
	s_and_saveexec_b32 s3, vcc_lo
	s_xor_b32 s3, exec_lo, s3
; %bb.29:
	v_bfe_u32 v89, v88, 16, 1
	s_delay_alu instid0(VALU_DEP_1)
	v_add3_u32 v89, v88, v89, 0x7fff
                                        ; implicit-def: $vgpr88
; %bb.30:
	s_and_not1_saveexec_b32 s3, s3
; %bb.31:
	v_and_b32_e32 v89, 0xffff, v88
	v_or_b32_e32 v90, 0x10000, v88
	s_delay_alu instid0(VALU_DEP_2) | instskip(NEXT) | instid1(VALU_DEP_2)
	v_cmp_eq_u32_e32 vcc_lo, 0, v89
	v_cndmask_b32_e32 v89, v90, v88, vcc_lo
; %bb.32:
	s_or_b32 exec_lo, exec_lo, s3
	v_and_b32_e32 v88, 0x7f800000, v87
	s_delay_alu instid0(VALU_DEP_1) | instskip(SKIP_1) | instid1(SALU_CYCLE_1)
	v_cmp_ne_u32_e32 vcc_lo, 0x7f800000, v88
                                        ; implicit-def: $vgpr88
	s_and_saveexec_b32 s3, vcc_lo
	s_xor_b32 s3, exec_lo, s3
; %bb.33:
	v_bfe_u32 v88, v87, 16, 1
	s_delay_alu instid0(VALU_DEP_1)
	v_add3_u32 v88, v87, v88, 0x7fff
                                        ; implicit-def: $vgpr87
; %bb.34:
	s_and_not1_saveexec_b32 s3, s3
; %bb.35:
	v_and_b32_e32 v88, 0xffff, v87
	v_or_b32_e32 v90, 0x10000, v87
	s_delay_alu instid0(VALU_DEP_2) | instskip(NEXT) | instid1(VALU_DEP_2)
	v_cmp_eq_u32_e32 vcc_lo, 0, v88
	v_cndmask_b32_e32 v88, v90, v87, vcc_lo
; %bb.36:
	s_or_b32 exec_lo, exec_lo, s3
	v_and_b32_e32 v87, 0x7f800000, v84
	s_delay_alu instid0(VALU_DEP_1) | instskip(SKIP_1) | instid1(SALU_CYCLE_1)
	v_cmp_ne_u32_e32 vcc_lo, 0x7f800000, v87
                                        ; implicit-def: $vgpr87
	s_and_saveexec_b32 s3, vcc_lo
	s_xor_b32 s3, exec_lo, s3
; %bb.37:
	v_bfe_u32 v87, v84, 16, 1
	s_delay_alu instid0(VALU_DEP_1)
	v_add3_u32 v87, v84, v87, 0x7fff
                                        ; implicit-def: $vgpr84
; %bb.38:
	s_and_not1_saveexec_b32 s3, s3
; %bb.39:
	v_and_b32_e32 v87, 0xffff, v84
	v_or_b32_e32 v90, 0x10000, v84
	s_delay_alu instid0(VALU_DEP_2) | instskip(NEXT) | instid1(VALU_DEP_2)
	v_cmp_eq_u32_e32 vcc_lo, 0, v87
	v_cndmask_b32_e32 v87, v90, v84, vcc_lo
; %bb.40:
	s_or_b32 exec_lo, exec_lo, s3
	v_and_b32_e32 v84, 0x7f800000, v80
	s_delay_alu instid0(VALU_DEP_1) | instskip(SKIP_1) | instid1(SALU_CYCLE_1)
	v_cmp_ne_u32_e32 vcc_lo, 0x7f800000, v84
                                        ; implicit-def: $vgpr84
	s_and_saveexec_b32 s3, vcc_lo
	s_xor_b32 s3, exec_lo, s3
; %bb.41:
	v_bfe_u32 v84, v80, 16, 1
	s_delay_alu instid0(VALU_DEP_1)
	v_add3_u32 v84, v80, v84, 0x7fff
                                        ; implicit-def: $vgpr80
; %bb.42:
	s_and_not1_saveexec_b32 s3, s3
; %bb.43:
	v_and_b32_e32 v84, 0xffff, v80
	v_or_b32_e32 v90, 0x10000, v80
	s_delay_alu instid0(VALU_DEP_2) | instskip(NEXT) | instid1(VALU_DEP_2)
	v_cmp_eq_u32_e32 vcc_lo, 0, v84
	v_cndmask_b32_e32 v84, v90, v80, vcc_lo
; %bb.44:
	s_or_b32 exec_lo, exec_lo, s3
	s_load_b64 s[34:35], s[0:1], 0x94
	v_lshlrev_b32_e32 v91, 4, v74
	s_delay_alu instid0(VALU_DEP_2)
	v_perm_b32 v90, v84, v87, 0x7060302
	v_dual_mul_f32 v79, v82, v79 :: v_dual_lshlrev_b32 v80, 6, v65
	v_dual_mul_f32 v77, v82, v77 :: v_dual_lshlrev_b32 v92, 11, v66
	v_mul_f32_e32 v84, v82, v70
	v_perm_b32 v89, v88, v89, 0x7060302
	v_perm_b32 v88, v86, v85, 0x7060302
	;; [unrolled: 1-line block ×3, first 2 shown]
	v_mul_f32_e32 v70, v82, v81
	v_or3_b32 v76, v91, v92, v80
	v_dual_mul_f32 v78, v82, v78 :: v_dual_and_b32 v85, 0x7f800000, v84
	v_mul_f32_e32 v83, v82, v72
	v_mul_f32_e32 v81, v82, v71
	v_mul_f32_e32 v72, v82, v69
	s_mov_b32 s3, exec_lo
	ds_store_b128 v76, v[87:90]
                                        ; implicit-def: $vgpr69
	v_cmpx_ne_u32_e32 0x7f800000, v85
	s_xor_b32 s3, exec_lo, s3
; %bb.45:
	v_bfe_u32 v69, v84, 16, 1
	s_delay_alu instid0(VALU_DEP_1)
	v_add3_u32 v69, v84, v69, 0x7fff
                                        ; implicit-def: $vgpr84
; %bb.46:
	s_and_not1_saveexec_b32 s3, s3
; %bb.47:
	v_and_b32_e32 v69, 0xffff, v84
	v_or_b32_e32 v71, 0x10000, v84
	s_delay_alu instid0(VALU_DEP_2) | instskip(NEXT) | instid1(VALU_DEP_2)
	v_cmp_eq_u32_e32 vcc_lo, 0, v69
	v_cndmask_b32_e32 v69, v71, v84, vcc_lo
; %bb.48:
	s_or_b32 exec_lo, exec_lo, s3
	v_and_b32_e32 v71, 0x7f800000, v72
	s_delay_alu instid0(VALU_DEP_1) | instskip(SKIP_1) | instid1(SALU_CYCLE_1)
	v_cmp_ne_u32_e32 vcc_lo, 0x7f800000, v71
                                        ; implicit-def: $vgpr71
	s_and_saveexec_b32 s3, vcc_lo
	s_xor_b32 s3, exec_lo, s3
; %bb.49:
	v_bfe_u32 v71, v72, 16, 1
	s_delay_alu instid0(VALU_DEP_1)
	v_add3_u32 v71, v72, v71, 0x7fff
                                        ; implicit-def: $vgpr72
; %bb.50:
	s_and_not1_saveexec_b32 s3, s3
; %bb.51:
	v_and_b32_e32 v71, 0xffff, v72
	v_or_b32_e32 v82, 0x10000, v72
	s_delay_alu instid0(VALU_DEP_2) | instskip(NEXT) | instid1(VALU_DEP_2)
	v_cmp_eq_u32_e32 vcc_lo, 0, v71
	v_cndmask_b32_e32 v71, v82, v72, vcc_lo
; %bb.52:
	s_or_b32 exec_lo, exec_lo, s3
	v_and_b32_e32 v72, 0x7f800000, v81
	s_delay_alu instid0(VALU_DEP_1) | instskip(SKIP_1) | instid1(SALU_CYCLE_1)
	v_cmp_ne_u32_e32 vcc_lo, 0x7f800000, v72
                                        ; implicit-def: $vgpr72
	s_and_saveexec_b32 s3, vcc_lo
	s_xor_b32 s3, exec_lo, s3
; %bb.53:
	v_bfe_u32 v72, v81, 16, 1
	s_delay_alu instid0(VALU_DEP_1)
	v_add3_u32 v72, v81, v72, 0x7fff
                                        ; implicit-def: $vgpr81
; %bb.54:
	s_and_not1_saveexec_b32 s3, s3
; %bb.55:
	v_and_b32_e32 v72, 0xffff, v81
	v_or_b32_e32 v82, 0x10000, v81
	s_delay_alu instid0(VALU_DEP_2) | instskip(NEXT) | instid1(VALU_DEP_2)
	v_cmp_eq_u32_e32 vcc_lo, 0, v72
	v_cndmask_b32_e32 v72, v82, v81, vcc_lo
; %bb.56:
	s_or_b32 exec_lo, exec_lo, s3
	v_and_b32_e32 v81, 0x7f800000, v83
	s_delay_alu instid0(VALU_DEP_1) | instskip(SKIP_1) | instid1(SALU_CYCLE_1)
	v_cmp_ne_u32_e32 vcc_lo, 0x7f800000, v81
                                        ; implicit-def: $vgpr81
	s_and_saveexec_b32 s3, vcc_lo
	s_xor_b32 s3, exec_lo, s3
; %bb.57:
	v_bfe_u32 v81, v83, 16, 1
	s_delay_alu instid0(VALU_DEP_1)
	v_add3_u32 v81, v83, v81, 0x7fff
                                        ; implicit-def: $vgpr83
; %bb.58:
	s_and_not1_saveexec_b32 s3, s3
; %bb.59:
	v_and_b32_e32 v81, 0xffff, v83
	v_or_b32_e32 v82, 0x10000, v83
	s_delay_alu instid0(VALU_DEP_2) | instskip(NEXT) | instid1(VALU_DEP_2)
	v_cmp_eq_u32_e32 vcc_lo, 0, v81
	v_cndmask_b32_e32 v81, v82, v83, vcc_lo
; %bb.60:
	s_or_b32 exec_lo, exec_lo, s3
	v_and_b32_e32 v82, 0x7f800000, v77
	s_delay_alu instid0(VALU_DEP_1) | instskip(SKIP_1) | instid1(SALU_CYCLE_1)
	v_cmp_ne_u32_e32 vcc_lo, 0x7f800000, v82
                                        ; implicit-def: $vgpr82
	s_and_saveexec_b32 s3, vcc_lo
	s_xor_b32 s3, exec_lo, s3
; %bb.61:
	v_bfe_u32 v82, v77, 16, 1
	s_delay_alu instid0(VALU_DEP_1)
	v_add3_u32 v82, v77, v82, 0x7fff
                                        ; implicit-def: $vgpr77
; %bb.62:
	s_and_not1_saveexec_b32 s3, s3
; %bb.63:
	v_and_b32_e32 v82, 0xffff, v77
	v_or_b32_e32 v83, 0x10000, v77
	s_delay_alu instid0(VALU_DEP_2) | instskip(NEXT) | instid1(VALU_DEP_2)
	v_cmp_eq_u32_e32 vcc_lo, 0, v82
	v_cndmask_b32_e32 v82, v83, v77, vcc_lo
; %bb.64:
	s_or_b32 exec_lo, exec_lo, s3
	v_and_b32_e32 v77, 0x7f800000, v78
	s_delay_alu instid0(VALU_DEP_1) | instskip(SKIP_1) | instid1(SALU_CYCLE_1)
	v_cmp_ne_u32_e32 vcc_lo, 0x7f800000, v77
                                        ; implicit-def: $vgpr77
	s_and_saveexec_b32 s3, vcc_lo
	s_xor_b32 s3, exec_lo, s3
; %bb.65:
	v_bfe_u32 v77, v78, 16, 1
	s_delay_alu instid0(VALU_DEP_1)
	v_add3_u32 v77, v78, v77, 0x7fff
                                        ; implicit-def: $vgpr78
; %bb.66:
	s_and_not1_saveexec_b32 s3, s3
; %bb.67:
	v_and_b32_e32 v77, 0xffff, v78
	v_or_b32_e32 v83, 0x10000, v78
	s_delay_alu instid0(VALU_DEP_2) | instskip(NEXT) | instid1(VALU_DEP_2)
	v_cmp_eq_u32_e32 vcc_lo, 0, v77
	v_cndmask_b32_e32 v77, v83, v78, vcc_lo
; %bb.68:
	s_or_b32 exec_lo, exec_lo, s3
	v_and_b32_e32 v78, 0x7f800000, v79
	s_delay_alu instid0(VALU_DEP_1) | instskip(SKIP_1) | instid1(SALU_CYCLE_1)
	v_cmp_ne_u32_e32 vcc_lo, 0x7f800000, v78
                                        ; implicit-def: $vgpr78
	s_and_saveexec_b32 s3, vcc_lo
	s_xor_b32 s3, exec_lo, s3
; %bb.69:
	v_bfe_u32 v78, v79, 16, 1
	s_delay_alu instid0(VALU_DEP_1)
	v_add3_u32 v78, v79, v78, 0x7fff
                                        ; implicit-def: $vgpr79
; %bb.70:
	s_and_not1_saveexec_b32 s3, s3
; %bb.71:
	v_and_b32_e32 v78, 0xffff, v79
	v_or_b32_e32 v83, 0x10000, v79
	s_delay_alu instid0(VALU_DEP_2) | instskip(NEXT) | instid1(VALU_DEP_2)
	v_cmp_eq_u32_e32 vcc_lo, 0, v78
	v_cndmask_b32_e32 v78, v83, v79, vcc_lo
; %bb.72:
	s_or_b32 exec_lo, exec_lo, s3
	v_and_b32_e32 v79, 0x7f800000, v70
	s_delay_alu instid0(VALU_DEP_1) | instskip(SKIP_1) | instid1(SALU_CYCLE_1)
	v_cmp_ne_u32_e32 vcc_lo, 0x7f800000, v79
                                        ; implicit-def: $vgpr79
	s_and_saveexec_b32 s3, vcc_lo
	s_xor_b32 s3, exec_lo, s3
; %bb.73:
	v_bfe_u32 v79, v70, 16, 1
	s_delay_alu instid0(VALU_DEP_1)
	v_add3_u32 v79, v70, v79, 0x7fff
                                        ; implicit-def: $vgpr70
; %bb.74:
	s_and_not1_saveexec_b32 s3, s3
; %bb.75:
	v_and_b32_e32 v79, 0xffff, v70
	v_or_b32_e32 v83, 0x10000, v70
	s_delay_alu instid0(VALU_DEP_2) | instskip(NEXT) | instid1(VALU_DEP_2)
	v_cmp_eq_u32_e32 vcc_lo, 0, v79
	v_cndmask_b32_e32 v79, v83, v70, vcc_lo
; %bb.76:
	s_or_b32 exec_lo, exec_lo, s3
	s_delay_alu instid0(VALU_DEP_1)
	v_perm_b32 v86, v79, v78, 0x7060302
	v_perm_b32 v85, v77, v82, 0x7060302
	;; [unrolled: 1-line block ×4, first 2 shown]
	v_lshl_or_b32 v82, v66, 11, v80
	ds_store_b128 v76, v[83:86] offset:1024
	s_waitcnt lgkmcnt(0)
	s_barrier
	buffer_gl0_inv
	ds_load_b128 v[69:72], v82
	ds_load_b128 v[83:86], v82 offset:16
	s_waitcnt lgkmcnt(1)
	v_lshrrev_b32_e32 v66, 16, v69
	s_waitcnt lgkmcnt(0)
	v_lshrrev_b32_e32 v91, 16, v83
	v_lshlrev_b32_e32 v78, 2, v74
	v_lshrrev_b32_e32 v95, 16, v70
	v_lshrrev_b32_e32 v98, 16, v84
	;; [unrolled: 1-line block ×4, first 2 shown]
	v_cmp_eq_u32_e32 vcc_lo, 1, v78
	v_lshrrev_b32_e32 v97, 16, v72
	v_lshrrev_b32_e32 v100, 16, v86
	v_cndmask_b32_e32 v87, v83, v91, vcc_lo
	v_or_b32_e32 v79, 1, v78
	v_cndmask_b32_e32 v81, v69, v66, vcc_lo
	v_cmp_eq_u32_e64 s4, 2, v78
	v_cmp_eq_u32_e64 s7, 3, v78
	v_cmp_eq_u32_e64 s9, 4, v78
	v_cmp_eq_u32_e64 s3, 1, v79
	v_cmp_eq_u32_e64 s6, 2, v79
	v_cndmask_b32_e64 v81, v81, v70, s4
	v_cndmask_b32_e64 v87, v87, v84, s4
	v_cmp_eq_u32_e64 s8, 3, v79
	v_cndmask_b32_e64 v88, v69, v66, s3
	v_or_b32_e32 v77, 2, v78
	v_cndmask_b32_e64 v81, v81, v95, s7
	v_cndmask_b32_e64 v87, v87, v98, s7
	;; [unrolled: 1-line block ×4, first 2 shown]
	v_cmp_eq_u32_e64 s10, 5, v78
	v_cndmask_b32_e64 v81, v81, v71, s9
	v_cndmask_b32_e64 v87, v87, v85, s9
	v_cmp_eq_u32_e64 s11, 4, v79
	v_cndmask_b32_e64 v88, v88, v95, s8
	v_cmp_eq_u32_e64 s5, 1, v77
	v_cndmask_b32_e64 v89, v89, v84, s6
	v_cndmask_b32_e64 v81, v81, v96, s10
	v_cmp_eq_u32_e64 s12, 6, v78
	v_cndmask_b32_e64 v88, v88, v71, s11
	;; [unrolled: 3-line block ×3, first 2 shown]
	v_cndmask_b32_e64 v89, v89, v98, s8
	v_cndmask_b32_e64 v81, v81, v72, s12
	v_cmp_eq_u32_e64 s15, 7, v78
	v_cndmask_b32_e64 v88, v88, v96, s13
	v_cndmask_b32_e64 v87, v87, v86, s12
	v_cmp_eq_u32_e64 s16, 6, v79
	v_cmp_eq_u32_e64 s17, 2, v77
	v_cndmask_b32_e64 v89, v89, v85, s11
	v_cndmask_b32_e64 v101, v81, v97, s15
	;; [unrolled: 1-line block ×6, first 2 shown]
	v_cmp_eq_u32_e64 s18, 7, v79
	v_cmp_eq_u32_e64 s19, 3, v77
	;; [unrolled: 1-line block ×4, first 2 shown]
	v_cndmask_b32_e64 v87, v87, v84, s17
	v_cndmask_b32_e64 v103, v88, v97, s18
	;; [unrolled: 1-line block ×4, first 2 shown]
	v_or_b32_e32 v81, 3, v78
	v_cndmask_b32_e64 v93, v87, v98, s19
	v_cmp_eq_u32_e64 s24, 6, v77
	v_cndmask_b32_e64 v104, v88, v86, s16
	v_cndmask_b32_e64 v92, v89, v71, s20
	v_cmp_eq_u32_e64 s21, 1, v81
	ds_load_b128 v[87:90], v82 offset:1024
	v_cmp_eq_u32_e64 s23, 2, v81
	v_cmp_eq_u32_e64 s25, 3, v81
	v_cndmask_b32_e64 v105, v92, v96, s22
	v_cndmask_b32_e64 v66, v69, v66, s21
	;; [unrolled: 1-line block ×4, first 2 shown]
	ds_load_b128 v[91:94], v82 offset:1040
	v_cmp_eq_u32_e64 s26, 4, v81
	v_cndmask_b32_e64 v66, v66, v70, s23
	v_cmp_eq_u32_e64 s27, 7, v77
	v_cndmask_b32_e64 v70, v83, v84, s23
	v_cndmask_b32_e64 v84, v105, v72, s24
	v_cmp_eq_u32_e64 s28, 5, v81
	v_cndmask_b32_e64 v66, v66, v95, s25
	v_cmp_eq_u32_e64 s29, 6, v81
	v_cndmask_b32_e64 v70, v70, v98, s25
	v_cndmask_b32_e64 v69, v69, v99, s22
	;; [unrolled: 1-line block ×4, first 2 shown]
	s_waitcnt lgkmcnt(1)
	v_lshrrev_b32_e32 v95, 16, v87
	v_cndmask_b32_e64 v70, v70, v85, s26
	v_cndmask_b32_e64 v71, v84, v97, s27
	;; [unrolled: 1-line block ×4, first 2 shown]
	v_cndmask_b32_e32 v84, v87, v95, vcc_lo
	v_cndmask_b32_e64 v70, v70, v99, s28
	s_waitcnt lgkmcnt(0)
	v_lshrrev_b32_e32 v85, 16, v91
	v_lshrrev_b32_e32 v96, 16, v88
	v_cndmask_b32_e64 v98, v87, v95, s3
	v_cndmask_b32_e64 v84, v84, v88, s4
	;; [unrolled: 1-line block ×3, first 2 shown]
	v_cndmask_b32_e32 v99, v91, v85, vcc_lo
	v_cmp_eq_u32_e32 vcc_lo, 7, v81
	v_cndmask_b32_e64 v66, v66, v72, s29
	v_cndmask_b32_e64 v72, v84, v96, s7
	;; [unrolled: 1-line block ×3, first 2 shown]
	v_lshrrev_b32_e32 v98, 16, v92
	v_cndmask_b32_e32 v70, v70, v100, vcc_lo
	v_cndmask_b32_e64 v86, v99, v92, s4
	v_cndmask_b32_e64 v69, v69, v100, s27
	v_lshrrev_b32_e32 v100, 16, v93
	v_cndmask_b32_e64 v72, v72, v89, s9
	v_lshrrev_b32_e32 v99, 16, v89
	v_cndmask_b32_e64 v86, v86, v98, s7
	v_perm_b32 v71, v69, v71, 0x5040100
	v_cndmask_b32_e64 v84, v84, v96, s8
	s_delay_alu instid0(VALU_DEP_3) | instskip(NEXT) | instid1(VALU_DEP_2)
	v_cndmask_b32_e64 v86, v86, v93, s9
	v_cndmask_b32_e64 v84, v84, v89, s11
	s_delay_alu instid0(VALU_DEP_2) | instskip(NEXT) | instid1(VALU_DEP_1)
	v_cndmask_b32_e64 v86, v86, v100, s10
	v_cndmask_b32_e64 v69, v86, v94, s12
	;; [unrolled: 1-line block ×5, first 2 shown]
	s_delay_alu instid0(VALU_DEP_3) | instskip(NEXT) | instid1(VALU_DEP_3)
	v_cndmask_b32_e64 v86, v86, v88, s17
	v_cndmask_b32_e64 v87, v87, v88, s23
	s_delay_alu instid0(VALU_DEP_3) | instskip(NEXT) | instid1(VALU_DEP_3)
	v_cndmask_b32_e64 v88, v95, v92, s23
	v_cndmask_b32_e64 v86, v86, v96, s19
	;; [unrolled: 3-line block ×7, first 2 shown]
	s_delay_alu instid0(VALU_DEP_3) | instskip(SKIP_2) | instid1(VALU_DEP_2)
	v_cndmask_b32_e64 v88, v88, v94, s29
	v_cndmask_b32_e32 v66, v66, v97, vcc_lo
	v_cndmask_b32_e64 v97, v72, v99, s10
	v_perm_b32 v72, v70, v66, 0x5040100
	v_perm_b32 v70, v83, v103, 0x5040100
	v_cndmask_b32_e64 v103, v91, v85, s5
	v_cndmask_b32_e64 v85, v91, v85, s3
	;; [unrolled: 1-line block ×4, first 2 shown]
	v_lshrrev_b32_e32 v97, 16, v90
	v_cndmask_b32_e64 v91, v103, v92, s17
	v_cndmask_b32_e64 v85, v85, v92, s6
	;; [unrolled: 1-line block ×3, first 2 shown]
	s_mov_b32 s3, exec_lo
	v_cndmask_b32_e64 v83, v84, v97, s15
	v_cndmask_b32_e64 v91, v91, v98, s19
	;; [unrolled: 1-line block ×3, first 2 shown]
	v_lshrrev_b32_e32 v84, 16, v94
	v_cndmask_b32_e64 v66, v66, v97, s18
	v_cndmask_b32_e64 v90, v86, v97, s27
	;; [unrolled: 1-line block ×4, first 2 shown]
	v_dual_cndmask_b32 v86, v87, v97 :: v_dual_cndmask_b32 v87, v88, v84
	v_cndmask_b32_e64 v91, v69, v84, s15
	s_delay_alu instid0(VALU_DEP_4) | instskip(NEXT) | instid1(VALU_DEP_4)
	v_cndmask_b32_e64 v89, v89, v100, s22
	v_cndmask_b32_e64 v85, v85, v100, s13
	v_perm_b32 v69, v102, v101, 0x5040100
	v_perm_b32 v86, v87, v86, 0x5040100
	;; [unrolled: 1-line block ×3, first 2 shown]
	v_cndmask_b32_e64 v89, v89, v94, s24
	v_cndmask_b32_e64 v85, v85, v94, s16
	s_mul_i32 s8, s35, 9
	s_delay_alu instid0(VALU_DEP_2) | instskip(NEXT) | instid1(VALU_DEP_2)
	v_cndmask_b32_e64 v88, v89, v84, s27
	v_cndmask_b32_e64 v89, v85, v84, s18
	s_delay_alu instid0(VALU_DEP_2) | instskip(NEXT) | instid1(VALU_DEP_2)
	v_perm_b32 v85, v88, v90, 0x5040100
	v_perm_b32 v84, v89, v66, 0x5040100
	ds_store_b128 v76, v[69:72]
	ds_store_b128 v76, v[83:86] offset:1024
	v_cmpx_gt_u32_e32 9, v0
	s_cbranch_execz .LBB1554_78
; %bb.77:
	s_mul_i32 s4, s8, s30
	s_delay_alu instid0(SALU_CYCLE_1) | instskip(SKIP_1) | instid1(VALU_DEP_1)
	v_add3_u32 v69, s4, s31, v65
	s_load_b128 s[4:7], s[0:1], 0x58
	v_mad_u64_u32 v[65:66], null, v69, s34, s[14:15]
	s_delay_alu instid0(VALU_DEP_1) | instskip(NEXT) | instid1(VALU_DEP_1)
	v_ashrrev_i32_e32 v66, 31, v65
	v_lshlrev_b64 v[65:66], 2, v[65:66]
	s_waitcnt lgkmcnt(0)
	s_delay_alu instid0(VALU_DEP_1) | instskip(NEXT) | instid1(VALU_DEP_2)
	v_add_co_u32 v69, vcc_lo, s6, v65
	v_add_co_ci_u32_e32 v70, vcc_lo, s7, v66, vcc_lo
	v_add_co_u32 v65, vcc_lo, s4, v65
	v_add_co_ci_u32_e32 v66, vcc_lo, s5, v66, vcc_lo
	global_store_b32 v[69:70], v67, off
	global_store_b32 v[65:66], v68, off
.LBB1554_78:
	s_or_b32 exec_lo, exec_lo, s3
	s_waitcnt lgkmcnt(0)
	s_waitcnt_vscnt null, 0x0
	s_barrier
	buffer_gl0_inv
	ds_load_b128 v[83:86], v80
	ds_load_b128 v[87:90], v80 offset:16
	ds_load_b128 v[95:98], v80 offset:2064
	;; [unrolled: 1-line block ×3, first 2 shown]
	v_mov_b32_e32 v65, 0
	ds_load_b128 v[103:106], v80 offset:4112
	ds_load_b128 v[99:102], v80 offset:4096
	;; [unrolled: 1-line block ×4, first 2 shown]
	v_mov_b32_e32 v66, v65
	v_mov_b32_e32 v67, v65
	;; [unrolled: 1-line block ×7, first 2 shown]
	s_waitcnt lgkmcnt(6)
	s_delay_alu instid0(VALU_DEP_1)
	v_wmma_f32_16x16x16_bf16 v[65:72], v[49:56], v[83:90], v[65:72]
	ds_load_b128 v[53:56], v80 offset:8208
	ds_load_b128 v[49:52], v80 offset:8192
	s_waitcnt lgkmcnt(6)
	v_wmma_f32_16x16x16_bf16 v[65:72], v[41:48], v[91:98], v[65:72]
	ds_load_b128 v[45:48], v80 offset:10256
	ds_load_b128 v[41:44], v80 offset:10240
	s_waitcnt lgkmcnt(6)
	;; [unrolled: 4-line block ×4, first 2 shown]
	v_wmma_f32_16x16x16_bf16 v[65:72], v[1:8], v[49:56], v[65:72]
	s_waitcnt lgkmcnt(4)
	s_delay_alu instid0(VALU_DEP_1) | instskip(SKIP_1) | instid1(VALU_DEP_1)
	v_wmma_f32_16x16x16_bf16 v[65:72], v[9:16], v[41:48], v[65:72]
	s_waitcnt lgkmcnt(2)
	v_wmma_f32_16x16x16_bf16 v[65:72], v[17:24], v[33:40], v[65:72]
	s_waitcnt lgkmcnt(0)
	s_delay_alu instid0(VALU_DEP_1) | instskip(NEXT) | instid1(VALU_DEP_1)
	v_wmma_f32_16x16x16_bf16 v[65:72], v[57:64], v[25:32], v[65:72]
	v_and_b32_e32 v1, 0x7f800000, v65
	s_delay_alu instid0(VALU_DEP_1) | instskip(SKIP_1) | instid1(SALU_CYCLE_1)
	v_cmp_ne_u32_e32 vcc_lo, 0x7f800000, v1
                                        ; implicit-def: $vgpr1
	s_and_saveexec_b32 s3, vcc_lo
	s_xor_b32 s3, exec_lo, s3
; %bb.79:
	v_bfe_u32 v1, v65, 16, 1
	s_delay_alu instid0(VALU_DEP_1)
	v_add3_u32 v1, v65, v1, 0x7fff
; %bb.80:
	s_and_not1_saveexec_b32 s3, s3
; %bb.81:
	v_and_b32_e32 v1, 0xffff, v65
	v_or_b32_e32 v2, 0x10000, v65
	s_delay_alu instid0(VALU_DEP_2) | instskip(NEXT) | instid1(VALU_DEP_2)
	v_cmp_eq_u32_e32 vcc_lo, 0, v1
	v_cndmask_b32_e32 v1, v2, v65, vcc_lo
; %bb.82:
	s_or_b32 exec_lo, exec_lo, s3
	v_and_b32_e32 v2, 0x7f800000, v66
	s_delay_alu instid0(VALU_DEP_1) | instskip(SKIP_1) | instid1(SALU_CYCLE_1)
	v_cmp_ne_u32_e32 vcc_lo, 0x7f800000, v2
                                        ; implicit-def: $vgpr2
	s_and_saveexec_b32 s3, vcc_lo
	s_xor_b32 s3, exec_lo, s3
; %bb.83:
	v_bfe_u32 v2, v66, 16, 1
	s_delay_alu instid0(VALU_DEP_1)
	v_add3_u32 v2, v66, v2, 0x7fff
; %bb.84:
	s_and_not1_saveexec_b32 s3, s3
; %bb.85:
	v_and_b32_e32 v2, 0xffff, v66
	v_or_b32_e32 v3, 0x10000, v66
	s_delay_alu instid0(VALU_DEP_2) | instskip(NEXT) | instid1(VALU_DEP_2)
	v_cmp_eq_u32_e32 vcc_lo, 0, v2
	v_cndmask_b32_e32 v2, v3, v66, vcc_lo
; %bb.86:
	s_or_b32 exec_lo, exec_lo, s3
	v_and_b32_e32 v3, 0x7f800000, v67
	s_delay_alu instid0(VALU_DEP_1) | instskip(SKIP_1) | instid1(SALU_CYCLE_1)
	v_cmp_ne_u32_e32 vcc_lo, 0x7f800000, v3
                                        ; implicit-def: $vgpr3
	s_and_saveexec_b32 s3, vcc_lo
	s_xor_b32 s3, exec_lo, s3
; %bb.87:
	v_bfe_u32 v3, v67, 16, 1
	s_delay_alu instid0(VALU_DEP_1)
	v_add3_u32 v3, v67, v3, 0x7fff
; %bb.88:
	s_and_not1_saveexec_b32 s3, s3
; %bb.89:
	v_and_b32_e32 v3, 0xffff, v67
	v_or_b32_e32 v4, 0x10000, v67
	s_delay_alu instid0(VALU_DEP_2) | instskip(NEXT) | instid1(VALU_DEP_2)
	v_cmp_eq_u32_e32 vcc_lo, 0, v3
	v_cndmask_b32_e32 v3, v4, v67, vcc_lo
; %bb.90:
	s_or_b32 exec_lo, exec_lo, s3
	v_and_b32_e32 v4, 0x7f800000, v68
	s_delay_alu instid0(VALU_DEP_1) | instskip(SKIP_1) | instid1(SALU_CYCLE_1)
	v_cmp_ne_u32_e32 vcc_lo, 0x7f800000, v4
                                        ; implicit-def: $vgpr4
	s_and_saveexec_b32 s3, vcc_lo
	s_xor_b32 s3, exec_lo, s3
; %bb.91:
	v_bfe_u32 v4, v68, 16, 1
	s_delay_alu instid0(VALU_DEP_1)
	v_add3_u32 v4, v68, v4, 0x7fff
; %bb.92:
	s_and_not1_saveexec_b32 s3, s3
; %bb.93:
	v_and_b32_e32 v4, 0xffff, v68
	v_or_b32_e32 v5, 0x10000, v68
	s_delay_alu instid0(VALU_DEP_2) | instskip(NEXT) | instid1(VALU_DEP_2)
	v_cmp_eq_u32_e32 vcc_lo, 0, v4
	v_cndmask_b32_e32 v4, v5, v68, vcc_lo
; %bb.94:
	s_or_b32 exec_lo, exec_lo, s3
	v_and_b32_e32 v5, 0x7f800000, v69
	s_delay_alu instid0(VALU_DEP_1) | instskip(SKIP_1) | instid1(SALU_CYCLE_1)
	v_cmp_ne_u32_e32 vcc_lo, 0x7f800000, v5
                                        ; implicit-def: $vgpr5
	s_and_saveexec_b32 s3, vcc_lo
	s_xor_b32 s3, exec_lo, s3
; %bb.95:
	v_bfe_u32 v5, v69, 16, 1
	s_delay_alu instid0(VALU_DEP_1)
	v_add3_u32 v5, v69, v5, 0x7fff
; %bb.96:
	s_and_not1_saveexec_b32 s3, s3
; %bb.97:
	v_and_b32_e32 v5, 0xffff, v69
	v_or_b32_e32 v6, 0x10000, v69
	s_delay_alu instid0(VALU_DEP_2) | instskip(NEXT) | instid1(VALU_DEP_2)
	v_cmp_eq_u32_e32 vcc_lo, 0, v5
	v_cndmask_b32_e32 v5, v6, v69, vcc_lo
; %bb.98:
	s_or_b32 exec_lo, exec_lo, s3
	v_and_b32_e32 v6, 0x7f800000, v70
	s_delay_alu instid0(VALU_DEP_1) | instskip(SKIP_1) | instid1(SALU_CYCLE_1)
	v_cmp_ne_u32_e32 vcc_lo, 0x7f800000, v6
                                        ; implicit-def: $vgpr6
	s_and_saveexec_b32 s3, vcc_lo
	s_xor_b32 s3, exec_lo, s3
; %bb.99:
	v_bfe_u32 v6, v70, 16, 1
	s_delay_alu instid0(VALU_DEP_1)
	v_add3_u32 v6, v70, v6, 0x7fff
; %bb.100:
	s_and_not1_saveexec_b32 s3, s3
; %bb.101:
	v_and_b32_e32 v6, 0xffff, v70
	v_or_b32_e32 v7, 0x10000, v70
	s_delay_alu instid0(VALU_DEP_2) | instskip(NEXT) | instid1(VALU_DEP_2)
	v_cmp_eq_u32_e32 vcc_lo, 0, v6
	v_cndmask_b32_e32 v6, v7, v70, vcc_lo
; %bb.102:
	s_or_b32 exec_lo, exec_lo, s3
	v_and_b32_e32 v7, 0x7f800000, v71
	s_delay_alu instid0(VALU_DEP_1) | instskip(SKIP_1) | instid1(SALU_CYCLE_1)
	v_cmp_ne_u32_e32 vcc_lo, 0x7f800000, v7
                                        ; implicit-def: $vgpr7
	s_and_saveexec_b32 s3, vcc_lo
	s_xor_b32 s3, exec_lo, s3
; %bb.103:
	v_bfe_u32 v7, v71, 16, 1
	s_delay_alu instid0(VALU_DEP_1)
	v_add3_u32 v7, v71, v7, 0x7fff
; %bb.104:
	s_and_not1_saveexec_b32 s3, s3
; %bb.105:
	v_and_b32_e32 v7, 0xffff, v71
	v_or_b32_e32 v8, 0x10000, v71
	s_delay_alu instid0(VALU_DEP_2) | instskip(NEXT) | instid1(VALU_DEP_2)
	v_cmp_eq_u32_e32 vcc_lo, 0, v7
	v_cndmask_b32_e32 v7, v8, v71, vcc_lo
; %bb.106:
	s_or_b32 exec_lo, exec_lo, s3
	v_and_b32_e32 v8, 0x7f800000, v72
	s_delay_alu instid0(VALU_DEP_1) | instskip(SKIP_1) | instid1(SALU_CYCLE_1)
	v_cmp_ne_u32_e32 vcc_lo, 0x7f800000, v8
                                        ; implicit-def: $vgpr8
	s_and_saveexec_b32 s3, vcc_lo
	s_xor_b32 s3, exec_lo, s3
; %bb.107:
	v_bfe_u32 v8, v72, 16, 1
	s_delay_alu instid0(VALU_DEP_1)
	v_add3_u32 v8, v72, v8, 0x7fff
                                        ; implicit-def: $vgpr65_vgpr66_vgpr67_vgpr68_vgpr69_vgpr70_vgpr71_vgpr72
; %bb.108:
	s_and_not1_saveexec_b32 s3, s3
; %bb.109:
	v_and_b32_e32 v8, 0xffff, v72
	v_or_b32_e32 v9, 0x10000, v72
	s_delay_alu instid0(VALU_DEP_2) | instskip(NEXT) | instid1(VALU_DEP_2)
	v_cmp_eq_u32_e32 vcc_lo, 0, v8
	v_cndmask_b32_e32 v8, v9, v72, vcc_lo
; %bb.110:
	s_or_b32 exec_lo, exec_lo, s3
	s_delay_alu instid0(VALU_DEP_1)
	v_perm_b32 v7, v8, v7, 0x7060302
	v_perm_b32 v6, v6, v5, 0x7060302
	;; [unrolled: 1-line block ×4, first 2 shown]
	s_barrier
	buffer_gl0_inv
	v_cmp_eq_u32_e32 vcc_lo, 1, v78
	ds_store_b128 v76, v[4:7]
	s_waitcnt lgkmcnt(0)
	s_barrier
	buffer_gl0_inv
	ds_load_b128 v[1:4], v82
	ds_load_b128 v[5:8], v82 offset:16
	v_cmp_eq_u32_e64 s3, 1, v79
	v_cmp_eq_u32_e64 s4, 2, v78
	;; [unrolled: 1-line block ×5, first 2 shown]
	s_waitcnt lgkmcnt(1)
	v_lshrrev_b32_e32 v9, 16, v1
	s_waitcnt lgkmcnt(0)
	v_lshrrev_b32_e32 v13, 16, v5
	v_lshrrev_b32_e32 v10, 16, v2
	;; [unrolled: 1-line block ×4, first 2 shown]
	v_cndmask_b32_e64 v19, v1, v9, s3
	v_cndmask_b32_e32 v18, v5, v13, vcc_lo
	v_cndmask_b32_e64 v20, v5, v13, s3
	v_cndmask_b32_e32 v17, v1, v9, vcc_lo
	v_cmp_eq_u32_e32 vcc_lo, 2, v79
	v_lshrrev_b32_e32 v15, 16, v7
	v_cmp_eq_u32_e64 s3, 1, v77
	v_lshrrev_b32_e32 v12, 16, v4
	v_lshrrev_b32_e32 v16, 16, v8
	v_cndmask_b32_e32 v20, v20, v6, vcc_lo
	v_cndmask_b32_e64 v17, v17, v2, s4
	v_cndmask_b32_e32 v19, v19, v2, vcc_lo
	v_cndmask_b32_e64 v18, v18, v6, s4
	v_cmp_eq_u32_e32 vcc_lo, 4, v78
	v_cmp_eq_u32_e64 s4, 3, v79
	v_cndmask_b32_e64 v17, v17, v10, s5
	v_cndmask_b32_e64 v21, v1, v9, s3
	;; [unrolled: 1-line block ×5, first 2 shown]
	v_cndmask_b32_e32 v17, v17, v3, vcc_lo
	v_cndmask_b32_e64 v20, v20, v14, s4
	v_cndmask_b32_e32 v18, v18, v7, vcc_lo
	v_cmp_eq_u32_e32 vcc_lo, 4, v79
	v_cmp_eq_u32_e64 s4, 5, v79
	v_cmp_eq_u32_e64 s3, 2, v81
	v_cndmask_b32_e64 v21, v21, v2, s7
	v_cmp_eq_u32_e64 s5, 5, v78
	v_cndmask_b32_e32 v19, v19, v3, vcc_lo
	v_cndmask_b32_e32 v20, v20, v7, vcc_lo
	v_cmp_eq_u32_e32 vcc_lo, 6, v79
	s_delay_alu instid0(VALU_DEP_4) | instskip(NEXT) | instid1(VALU_DEP_4)
	v_cndmask_b32_e64 v17, v17, v11, s5
	v_cndmask_b32_e64 v19, v19, v11, s4
	s_delay_alu instid0(VALU_DEP_4) | instskip(SKIP_1) | instid1(VALU_DEP_3)
	v_cndmask_b32_e64 v20, v20, v15, s4
	v_cmp_eq_u32_e64 s4, 1, v81
	v_cndmask_b32_e32 v19, v19, v4, vcc_lo
	v_cndmask_b32_e64 v18, v18, v15, s5
	s_delay_alu instid0(VALU_DEP_3)
	v_cndmask_b32_e64 v1, v1, v9, s4
	v_cndmask_b32_e64 v5, v5, v13, s4
	v_cmp_eq_u32_e64 s4, 3, v77
	v_cndmask_b32_e64 v13, v22, v6, s7
	v_cmp_eq_u32_e64 s7, 3, v81
	v_cndmask_b32_e64 v1, v1, v2, s3
	v_cndmask_b32_e64 v2, v5, v6, s3
	;; [unrolled: 1-line block ×3, first 2 shown]
	v_cmp_eq_u32_e64 s3, 4, v77
	v_cndmask_b32_e64 v6, v13, v14, s4
	v_cndmask_b32_e64 v1, v1, v10, s7
	v_cmp_eq_u32_e64 s4, 4, v81
	v_cndmask_b32_e64 v2, v2, v14, s7
	v_cndmask_b32_e64 v5, v9, v3, s3
	v_cmp_eq_u32_e64 s7, 5, v77
	v_cndmask_b32_e64 v6, v6, v7, s3
	v_cndmask_b32_e64 v1, v1, v3, s4
	v_cndmask_b32_e64 v2, v2, v7, s4
	v_cmp_eq_u32_e64 s3, 5, v81
	v_cmp_eq_u32_e64 s5, 6, v78
	v_cndmask_b32_e64 v5, v5, v11, s7
	v_cmp_eq_u32_e64 s4, 6, v77
	v_cndmask_b32_e64 v3, v6, v15, s7
	v_cndmask_b32_e64 v1, v1, v11, s3
	v_cmp_eq_u32_e64 s7, 6, v81
	v_cndmask_b32_e64 v2, v2, v15, s3
	v_cndmask_b32_e64 v17, v17, v4, s5
	v_cndmask_b32_e64 v18, v18, v8, s5
	v_cmp_eq_u32_e64 s5, 7, v78
	v_cndmask_b32_e64 v5, v5, v4, s4
	;; [unrolled: 4-line block ×3, first 2 shown]
	v_cmp_eq_u32_e64 s4, 7, v77
	v_cndmask_b32_e32 v4, v20, v8, vcc_lo
	v_cndmask_b32_e64 v17, v17, v12, s5
	v_cndmask_b32_e64 v19, v19, v12, s6
	;; [unrolled: 1-line block ×8, first 2 shown]
	s_mov_b32 s3, exec_lo
	v_perm_b32 v4, v2, v1, 0x5040100
	v_perm_b32 v3, v3, v5, 0x5040100
	;; [unrolled: 1-line block ×4, first 2 shown]
	ds_store_b128 v76, v[1:4]
	s_waitcnt lgkmcnt(0)
	s_barrier
	buffer_gl0_inv
	v_cmpx_gt_u32_e32 32, v0
	s_cbranch_execz .LBB1554_2
; %bb.111:
	s_load_b64 s[4:5], s[0:1], 0x68
	v_lshlrev_b32_e32 v0, 10, v0
	v_lshlrev_b32_e32 v1, 4, v75
	s_lshl_b32 s0, s34, 7
	v_add_nc_u32_e32 v2, s31, v74
	s_mul_i32 s1, s0, s30
	s_delay_alu instid0(SALU_CYCLE_1) | instskip(SKIP_1) | instid1(VALU_DEP_2)
	s_mul_i32 s6, s1, s8
	v_and_or_b32 v0, 0x3800, v0, v1
	v_mul_lo_u32 v1, v2, s0
	s_ashr_i32 s7, s6, 31
	v_add_nc_u32_e32 v3, 2, v2
	s_lshl_b64 s[6:7], s[6:7], 1
	v_add_nc_u32_e32 v4, 4, v2
	v_add_nc_u32_e32 v5, 6, v2
	v_lshl_or_b32 v15, v74, 6, v0
	v_mul_lo_u32 v3, v3, s0
	v_ashrrev_i32_e32 v2, 31, v1
	v_mul_lo_u32 v19, v4, s0
	v_mul_lo_u32 v21, v5, s0
	s_waitcnt lgkmcnt(0)
	s_add_u32 s1, s4, s6
	s_addc_u32 s3, s5, s7
	s_lshl_b32 s4, s14, 7
	v_lshlrev_b64 v[5:6], 1, v[1:2]
	s_ashr_i32 s5, s4, 31
	v_ashrrev_i32_e32 v4, 31, v3
	s_lshl_b64 s[4:5], s[4:5], 1
	v_ashrrev_i32_e32 v20, 31, v19
	s_add_u32 s1, s1, s4
	s_addc_u32 s3, s3, s5
	v_add_co_u32 v1, s1, s1, v73
	s_delay_alu instid0(VALU_DEP_1) | instskip(SKIP_1) | instid1(VALU_DEP_3)
	v_add_co_ci_u32_e64 v2, null, s3, 0, s1
	v_lshlrev_b64 v[25:26], 1, v[3:4]
	v_add_co_u32 v23, vcc_lo, v1, v5
	s_delay_alu instid0(VALU_DEP_3)
	v_add_co_ci_u32_e32 v24, vcc_lo, v2, v6, vcc_lo
	ds_load_b128 v[3:6], v15
	ds_load_b128 v[7:10], v15 offset:128
	ds_load_b128 v[11:14], v15 offset:256
	;; [unrolled: 1-line block ×3, first 2 shown]
	v_ashrrev_i32_e32 v22, 31, v21
	v_lshlrev_b64 v[19:20], 1, v[19:20]
	v_add_co_u32 v25, vcc_lo, v1, v25
	v_add_co_ci_u32_e32 v26, vcc_lo, v2, v26, vcc_lo
	s_delay_alu instid0(VALU_DEP_4) | instskip(NEXT) | instid1(VALU_DEP_4)
	v_lshlrev_b64 v[21:22], 1, v[21:22]
	v_add_co_u32 v19, vcc_lo, v1, v19
	v_add_co_ci_u32_e32 v20, vcc_lo, v2, v20, vcc_lo
	s_delay_alu instid0(VALU_DEP_3) | instskip(NEXT) | instid1(VALU_DEP_4)
	v_add_co_u32 v21, vcc_lo, v1, v21
	v_add_co_ci_u32_e32 v22, vcc_lo, v2, v22, vcc_lo
	s_waitcnt lgkmcnt(3)
	global_store_b128 v[23:24], v[3:6], off
	s_waitcnt lgkmcnt(2)
	global_store_b128 v[25:26], v[7:10], off
	;; [unrolled: 2-line block ×4, first 2 shown]
	s_and_b32 exec_lo, exec_lo, s2
	s_cbranch_execz .LBB1554_2
; %bb.112:
	ds_load_b128 v[3:6], v0 offset:512
	s_add_i32 s1, s31, 8
	s_delay_alu instid0(SALU_CYCLE_1) | instskip(NEXT) | instid1(SALU_CYCLE_1)
	s_mul_i32 s0, s1, s0
	s_ashr_i32 s1, s0, 31
	s_delay_alu instid0(SALU_CYCLE_1) | instskip(NEXT) | instid1(SALU_CYCLE_1)
	s_lshl_b64 s[0:1], s[0:1], 1
	v_add_co_u32 v0, vcc_lo, v1, s0
	v_add_co_ci_u32_e32 v1, vcc_lo, s1, v2, vcc_lo
	s_waitcnt lgkmcnt(0)
	global_store_b128 v[0:1], v[3:6], off
	s_nop 0
	s_sendmsg sendmsg(MSG_DEALLOC_VGPRS)
	s_endpgm
	.section	.rodata,"a",@progbits
	.p2align	6, 0x0
	.amdhsa_kernel _Z39paged_attention_ll4mi_QKV_mfma16_kernelI14__hip_bfloat16hLN4vllm18Fp8KVCacheDataTypeE1ES0_Li16ELi128ELi256ELb1ELi9EL8MFMAType1EEvPKT_PKT0_S9_ifPKiSB_SB_iPKfiiiPfSE_PS4_PT2_iSD_SD_
		.amdhsa_group_segment_fixed_size 17472
		.amdhsa_private_segment_fixed_size 0
		.amdhsa_kernarg_size 400
		.amdhsa_user_sgpr_count 13
		.amdhsa_user_sgpr_dispatch_ptr 0
		.amdhsa_user_sgpr_queue_ptr 0
		.amdhsa_user_sgpr_kernarg_segment_ptr 1
		.amdhsa_user_sgpr_dispatch_id 0
		.amdhsa_user_sgpr_private_segment_size 0
		.amdhsa_wavefront_size32 1
		.amdhsa_uses_dynamic_stack 0
		.amdhsa_enable_private_segment 0
		.amdhsa_system_sgpr_workgroup_id_x 1
		.amdhsa_system_sgpr_workgroup_id_y 1
		.amdhsa_system_sgpr_workgroup_id_z 1
		.amdhsa_system_sgpr_workgroup_info 0
		.amdhsa_system_vgpr_workitem_id 0
		.amdhsa_next_free_vgpr 140
		.amdhsa_next_free_sgpr 36
		.amdhsa_reserve_vcc 1
		.amdhsa_float_round_mode_32 0
		.amdhsa_float_round_mode_16_64 0
		.amdhsa_float_denorm_mode_32 3
		.amdhsa_float_denorm_mode_16_64 3
		.amdhsa_dx10_clamp 1
		.amdhsa_ieee_mode 1
		.amdhsa_fp16_overflow 0
		.amdhsa_workgroup_processor_mode 1
		.amdhsa_memory_ordered 1
		.amdhsa_forward_progress 0
		.amdhsa_shared_vgpr_count 0
		.amdhsa_exception_fp_ieee_invalid_op 0
		.amdhsa_exception_fp_denorm_src 0
		.amdhsa_exception_fp_ieee_div_zero 0
		.amdhsa_exception_fp_ieee_overflow 0
		.amdhsa_exception_fp_ieee_underflow 0
		.amdhsa_exception_fp_ieee_inexact 0
		.amdhsa_exception_int_div_zero 0
	.end_amdhsa_kernel
	.section	.text._Z39paged_attention_ll4mi_QKV_mfma16_kernelI14__hip_bfloat16hLN4vllm18Fp8KVCacheDataTypeE1ES0_Li16ELi128ELi256ELb1ELi9EL8MFMAType1EEvPKT_PKT0_S9_ifPKiSB_SB_iPKfiiiPfSE_PS4_PT2_iSD_SD_,"axG",@progbits,_Z39paged_attention_ll4mi_QKV_mfma16_kernelI14__hip_bfloat16hLN4vllm18Fp8KVCacheDataTypeE1ES0_Li16ELi128ELi256ELb1ELi9EL8MFMAType1EEvPKT_PKT0_S9_ifPKiSB_SB_iPKfiiiPfSE_PS4_PT2_iSD_SD_,comdat
.Lfunc_end1554:
	.size	_Z39paged_attention_ll4mi_QKV_mfma16_kernelI14__hip_bfloat16hLN4vllm18Fp8KVCacheDataTypeE1ES0_Li16ELi128ELi256ELb1ELi9EL8MFMAType1EEvPKT_PKT0_S9_ifPKiSB_SB_iPKfiiiPfSE_PS4_PT2_iSD_SD_, .Lfunc_end1554-_Z39paged_attention_ll4mi_QKV_mfma16_kernelI14__hip_bfloat16hLN4vllm18Fp8KVCacheDataTypeE1ES0_Li16ELi128ELi256ELb1ELi9EL8MFMAType1EEvPKT_PKT0_S9_ifPKiSB_SB_iPKfiiiPfSE_PS4_PT2_iSD_SD_
                                        ; -- End function
	.section	.AMDGPU.csdata,"",@progbits
; Kernel info:
; codeLenInByte = 8940
; NumSgprs: 38
; NumVgprs: 140
; ScratchSize: 0
; MemoryBound: 0
; FloatMode: 240
; IeeeMode: 1
; LDSByteSize: 17472 bytes/workgroup (compile time only)
; SGPRBlocks: 4
; VGPRBlocks: 17
; NumSGPRsForWavesPerEU: 38
; NumVGPRsForWavesPerEU: 140
; Occupancy: 10
; WaveLimiterHint : 1
; COMPUTE_PGM_RSRC2:SCRATCH_EN: 0
; COMPUTE_PGM_RSRC2:USER_SGPR: 13
; COMPUTE_PGM_RSRC2:TRAP_HANDLER: 0
; COMPUTE_PGM_RSRC2:TGID_X_EN: 1
; COMPUTE_PGM_RSRC2:TGID_Y_EN: 1
; COMPUTE_PGM_RSRC2:TGID_Z_EN: 1
; COMPUTE_PGM_RSRC2:TIDIG_COMP_CNT: 0
	.section	.text._Z39paged_attention_ll4mi_QKV_mfma16_kernelI14__hip_bfloat16hLN4vllm18Fp8KVCacheDataTypeE1ES0_Li16ELi128ELi256ELb1ELi10EL8MFMAType1EEvPKT_PKT0_S9_ifPKiSB_SB_iPKfiiiPfSE_PS4_PT2_iSD_SD_,"axG",@progbits,_Z39paged_attention_ll4mi_QKV_mfma16_kernelI14__hip_bfloat16hLN4vllm18Fp8KVCacheDataTypeE1ES0_Li16ELi128ELi256ELb1ELi10EL8MFMAType1EEvPKT_PKT0_S9_ifPKiSB_SB_iPKfiiiPfSE_PS4_PT2_iSD_SD_,comdat
	.protected	_Z39paged_attention_ll4mi_QKV_mfma16_kernelI14__hip_bfloat16hLN4vllm18Fp8KVCacheDataTypeE1ES0_Li16ELi128ELi256ELb1ELi10EL8MFMAType1EEvPKT_PKT0_S9_ifPKiSB_SB_iPKfiiiPfSE_PS4_PT2_iSD_SD_ ; -- Begin function _Z39paged_attention_ll4mi_QKV_mfma16_kernelI14__hip_bfloat16hLN4vllm18Fp8KVCacheDataTypeE1ES0_Li16ELi128ELi256ELb1ELi10EL8MFMAType1EEvPKT_PKT0_S9_ifPKiSB_SB_iPKfiiiPfSE_PS4_PT2_iSD_SD_
	.globl	_Z39paged_attention_ll4mi_QKV_mfma16_kernelI14__hip_bfloat16hLN4vllm18Fp8KVCacheDataTypeE1ES0_Li16ELi128ELi256ELb1ELi10EL8MFMAType1EEvPKT_PKT0_S9_ifPKiSB_SB_iPKfiiiPfSE_PS4_PT2_iSD_SD_
	.p2align	8
	.type	_Z39paged_attention_ll4mi_QKV_mfma16_kernelI14__hip_bfloat16hLN4vllm18Fp8KVCacheDataTypeE1ES0_Li16ELi128ELi256ELb1ELi10EL8MFMAType1EEvPKT_PKT0_S9_ifPKiSB_SB_iPKfiiiPfSE_PS4_PT2_iSD_SD_,@function
_Z39paged_attention_ll4mi_QKV_mfma16_kernelI14__hip_bfloat16hLN4vllm18Fp8KVCacheDataTypeE1ES0_Li16ELi128ELi256ELb1ELi10EL8MFMAType1EEvPKT_PKT0_S9_ifPKiSB_SB_iPKfiiiPfSE_PS4_PT2_iSD_SD_: ; @_Z39paged_attention_ll4mi_QKV_mfma16_kernelI14__hip_bfloat16hLN4vllm18Fp8KVCacheDataTypeE1ES0_Li16ELi128ELi256ELb1ELi10EL8MFMAType1EEvPKT_PKT0_S9_ifPKiSB_SB_iPKfiiiPfSE_PS4_PT2_iSD_SD_
; %bb.0:
	s_load_b64 s[4:5], s[0:1], 0x30
	s_mov_b32 s30, s13
	s_waitcnt lgkmcnt(0)
	s_cmp_lg_u64 s[4:5], 0
	s_cselect_b32 s13, -1, 0
	s_ashr_i32 s31, s30, 31
	s_cmp_eq_u64 s[4:5], 0
	s_cbranch_scc1 .LBB1555_3
; %bb.1:
	s_lshl_b64 s[2:3], s[30:31], 2
	s_delay_alu instid0(SALU_CYCLE_1) | instskip(SKIP_4) | instid1(SALU_CYCLE_1)
	s_add_u32 s2, s4, s2
	s_addc_u32 s3, s5, s3
	s_load_b64 s[2:3], s[2:3], 0x0
	s_waitcnt lgkmcnt(0)
	s_sub_i32 s2, s3, s2
	s_cmp_eq_u32 s2, 1
	s_cselect_b32 s2, -1, 0
	s_delay_alu instid0(SALU_CYCLE_1)
	s_and_not1_b32 vcc_lo, exec_lo, s2
	s_cbranch_vccz .LBB1555_4
.LBB1555_2:
	s_endpgm
.LBB1555_3:
.LBB1555_4:
	s_load_b64 s[2:3], s[0:1], 0x28
	s_lshl_b64 s[6:7], s[30:31], 2
	s_waitcnt lgkmcnt(0)
	s_add_u32 s2, s2, s6
	s_addc_u32 s3, s3, s7
	s_lshl_b32 s12, s14, 8
	s_load_b32 s17, s[2:3], 0x0
	s_waitcnt lgkmcnt(0)
	s_cmp_ge_i32 s12, s17
	s_cbranch_scc1 .LBB1555_2
; %bb.5:
	s_clause 0x1
	s_load_b128 s[8:11], s[0:1], 0x8
	s_load_b64 s[2:3], s[0:1], 0x20
	s_and_not1_b32 vcc_lo, exec_lo, s13
	s_cbranch_vccnz .LBB1555_7
; %bb.6:
	s_add_u32 s4, s4, s6
	s_addc_u32 s5, s5, s7
	s_load_b32 s13, s[4:5], 0x0
	s_branch .LBB1555_8
.LBB1555_7:
	s_mov_b32 s13, s30
.LBB1555_8:
	s_load_b128 s[4:7], s[0:1], 0x48
	v_and_b32_e32 v65, 15, v0
	v_lshrrev_b32_e32 v66, 5, v0
	v_and_b32_e32 v67, 31, v0
	v_and_b32_e32 v75, 1, v0
	v_bfe_u32 v74, v0, 4, 1
	v_lshlrev_b32_e32 v1, 3, v65
	s_mul_i32 s29, s15, 10
	s_waitcnt lgkmcnt(0)
	s_mov_b32 s7, exec_lo
	s_delay_alu instid0(VALU_DEP_1)
	v_lshlrev_b32_e32 v73, 1, v1
	v_cmpx_gt_u32_e32 0xa0, v0
	s_cbranch_execz .LBB1555_10
; %bb.9:
	s_load_b64 s[18:19], s[0:1], 0x0
	v_lshl_or_b32 v5, v66, 1, v74
	s_mul_hi_i32 s21, s13, s4
	s_mul_i32 s20, s13, s4
	v_lshlrev_b32_e32 v6, 10, v65
	s_lshl_b64 s[20:21], s[20:21], 1
	v_add_lshl_u32 v1, v5, s29, 7
	v_lshlrev_b32_e32 v5, 6, v5
	v_lshlrev_b32_e32 v7, 10, v75
	v_and_b32_e32 v6, 0x3800, v6
	s_delay_alu instid0(VALU_DEP_4) | instskip(NEXT) | instid1(VALU_DEP_2)
	v_ashrrev_i32_e32 v2, 31, v1
	v_or3_b32 v5, v6, v7, v5
	s_delay_alu instid0(VALU_DEP_2) | instskip(SKIP_3) | instid1(VALU_DEP_1)
	v_lshlrev_b64 v[1:2], 1, v[1:2]
	s_waitcnt lgkmcnt(0)
	s_add_u32 s4, s18, s20
	s_addc_u32 s13, s19, s21
	v_add_co_u32 v1, vcc_lo, s4, v1
	s_delay_alu instid0(VALU_DEP_2) | instskip(NEXT) | instid1(VALU_DEP_2)
	v_add_co_ci_u32_e32 v2, vcc_lo, s13, v2, vcc_lo
	v_add_co_u32 v1, vcc_lo, v1, v73
	s_delay_alu instid0(VALU_DEP_2)
	v_add_co_ci_u32_e32 v2, vcc_lo, 0, v2, vcc_lo
	global_load_b128 v[1:4], v[1:2], off
	s_waitcnt vmcnt(0)
	ds_store_b128 v5, v[1:4]
.LBB1555_10:
	s_or_b32 exec_lo, exec_lo, s7
	v_and_b32_e32 v1, 0xef, v0
	s_add_i32 s4, s17, 15
	s_clause 0x1
	s_load_b32 s7, s[0:1], 0x38
	s_load_b32 s18, s[0:1], 0x1c
	s_ashr_i32 s13, s4, 31
	v_add_nc_u32_e32 v1, s12, v1
	s_lshr_b32 s13, s13, 28
	s_waitcnt lgkmcnt(0)
	s_add_i32 s4, s4, s13
	s_barrier
	v_ashrrev_i32_e32 v2, 31, v1
	v_or_b32_e32 v3, 16, v1
	s_ashr_i32 s4, s4, 4
	v_cmp_gt_i32_e32 vcc_lo, s17, v1
	s_add_i32 s4, s4, -1
	v_lshrrev_b32_e32 v2, 28, v2
	buffer_gl0_inv
	s_mul_i32 s15, s15, s6
	v_add_nc_u32_e32 v4, v1, v2
	s_mul_i32 s20, s30, s7
	s_delay_alu instid0(SALU_CYCLE_1) | instskip(NEXT) | instid1(VALU_DEP_1)
	s_ashr_i32 s21, s20, 31
	v_ashrrev_i32_e32 v4, 4, v4
	v_add_nc_u32_e32 v2, v3, v2
	s_lshl_b64 s[20:21], s[20:21], 2
	s_delay_alu instid0(SALU_CYCLE_1) | instskip(NEXT) | instid1(VALU_DEP_2)
	s_add_u32 s13, s2, s20
	v_cndmask_b32_e32 v1, s4, v4, vcc_lo
	s_delay_alu instid0(VALU_DEP_2)
	v_ashrrev_i32_e32 v2, 4, v2
	v_cmp_gt_i32_e32 vcc_lo, s17, v3
	s_addc_u32 s16, s3, s21
	s_ashr_i32 s19, s15, 31
	s_add_u32 s26, s8, s15
	s_addc_u32 s27, s9, s19
	v_cndmask_b32_e32 v3, s4, v2, vcc_lo
	v_ashrrev_i32_e32 v2, 31, v1
	s_lshl_b32 s2, s14, 4
	s_delay_alu instid0(SALU_CYCLE_1) | instskip(NEXT) | instid1(VALU_DEP_2)
	s_ashr_i32 s3, s2, 31
	v_ashrrev_i32_e32 v4, 31, v3
	s_delay_alu instid0(VALU_DEP_2) | instskip(SKIP_1) | instid1(SALU_CYCLE_1)
	v_lshlrev_b64 v[1:2], 2, v[1:2]
	s_lshl_b64 s[2:3], s[2:3], 2
	s_add_u32 s2, s13, s2
	s_delay_alu instid0(VALU_DEP_2) | instskip(SKIP_1) | instid1(VALU_DEP_2)
	v_lshlrev_b64 v[3:4], 2, v[3:4]
	s_addc_u32 s3, s16, s3
	v_add_co_u32 v1, vcc_lo, s13, v1
	v_add_co_ci_u32_e32 v2, vcc_lo, s16, v2, vcc_lo
	s_delay_alu instid0(VALU_DEP_3) | instskip(NEXT) | instid1(VALU_DEP_4)
	v_add_co_u32 v3, vcc_lo, s13, v3
	v_add_co_ci_u32_e32 v4, vcc_lo, s16, v4, vcc_lo
	s_clause 0x1
	global_load_b32 v5, v[1:2], off
	global_load_b32 v3, v[3:4], off
	s_or_b32 s6, s12, 32
	v_cmp_gt_u32_e32 vcc_lo, 10, v65
	s_ashr_i32 s7, s6, 4
	s_cmp_lt_i32 s6, s17
	s_cselect_b32 s6, s7, s4
	s_delay_alu instid0(SALU_CYCLE_1) | instskip(NEXT) | instid1(SALU_CYCLE_1)
	s_ashr_i32 s7, s6, 31
	s_lshl_b64 s[6:7], s[6:7], 2
	s_delay_alu instid0(SALU_CYCLE_1) | instskip(SKIP_2) | instid1(SALU_CYCLE_1)
	s_add_u32 s6, s13, s6
	s_addc_u32 s7, s16, s7
	s_or_b32 s8, s12, 64
	s_ashr_i32 s9, s8, 4
	s_cmp_lt_i32 s8, s17
	s_cselect_b32 s8, s9, s4
	s_delay_alu instid0(SALU_CYCLE_1) | instskip(NEXT) | instid1(SALU_CYCLE_1)
	s_ashr_i32 s9, s8, 31
	s_lshl_b64 s[8:9], s[8:9], 2
	s_delay_alu instid0(SALU_CYCLE_1) | instskip(SKIP_2) | instid1(SALU_CYCLE_1)
	s_add_u32 s8, s13, s8
	s_addc_u32 s9, s16, s9
	s_or_b32 s20, s12, 0x60
	;; [unrolled: 10-line block ×4, first 2 shown]
	s_ashr_i32 s25, s24, 4
	s_cmp_lt_i32 s24, s17
	s_cselect_b32 s24, s25, s4
	s_delay_alu instid0(SALU_CYCLE_1) | instskip(NEXT) | instid1(SALU_CYCLE_1)
	s_ashr_i32 s25, s24, 31
	s_lshl_b64 s[24:25], s[24:25], 2
	s_delay_alu instid0(SALU_CYCLE_1)
	s_add_u32 s24, s13, s24
	s_addc_u32 s25, s16, s25
	s_clause 0x5
	s_load_b32 s28, s[2:3], 0x0
	s_load_b32 s31, s[6:7], 0x0
	;; [unrolled: 1-line block ×6, first 2 shown]
	s_mov_b32 s20, 0
	s_or_b32 s2, s12, 0xc0
	s_mov_b32 s21, s20
	s_mov_b32 s22, s20
	;; [unrolled: 1-line block ×5, first 2 shown]
	v_lshlrev_b32_e32 v1, 4, v0
	s_ashr_i32 s3, s2, 4
	s_cmp_lt_i32 s2, s17
	s_cselect_b32 s2, s3, s4
	s_delay_alu instid0(VALU_DEP_1) | instskip(SKIP_1) | instid1(SALU_CYCLE_1)
	v_and_b32_e32 v1, 0xf0, v1
	s_ashr_i32 s3, s2, 31
	s_lshl_b64 s[2:3], s[2:3], 2
	s_delay_alu instid0(VALU_DEP_1) | instskip(NEXT) | instid1(VALU_DEP_1)
	v_add_co_u32 v1, s26, s26, v1
	v_add_co_ci_u32_e64 v2, null, s27, 0, s26
	s_add_u32 s2, s13, s2
	s_addc_u32 s3, s16, s3
	s_or_b32 s6, s12, 0xe0
	s_mov_b32 s27, s20
	s_ashr_i32 s7, s6, 4
	s_cmp_lt_i32 s6, s17
	s_mov_b32 s26, s20
	v_dual_mov_b32 v107, s27 :: v_dual_mov_b32 v100, s20
	s_cselect_b32 s6, s7, s4
	v_mov_b32_e32 v106, s26
	s_ashr_i32 s7, s6, 31
	v_mov_b32_e32 v104, s24
	s_lshl_b64 s[6:7], s[6:7], 2
	v_dual_mov_b32 v103, s23 :: v_dual_mov_b32 v102, s22
	v_mov_b32_e32 v101, s21
	s_waitcnt vmcnt(1)
	v_mad_i64_i32 v[33:34], null, v5, s5, v[1:2]
	s_waitcnt vmcnt(0)
	v_mad_i64_i32 v[35:36], null, v3, s5, v[1:2]
	s_clause 0xf
	global_load_b128 v[1:4], v[33:34], off
	global_load_b128 v[5:8], v[33:34], off offset:256
	global_load_b128 v[9:12], v[35:36], off
	global_load_b128 v[13:16], v[35:36], off offset:256
	global_load_b128 v[17:20], v[33:34], off offset:512
	;; [unrolled: 1-line block ×13, first 2 shown]
	v_add_nc_u32_e32 v33, -10, v65
	v_lshlrev_b32_e32 v34, 4, v65
	s_delay_alu instid0(VALU_DEP_2) | instskip(SKIP_1) | instid1(VALU_DEP_3)
	v_cndmask_b32_e32 v33, v33, v65, vcc_lo
	v_mov_b32_e32 v105, s25
	v_lshl_or_b32 v41, v66, 8, v34
	s_delay_alu instid0(VALU_DEP_3)
	v_lshlrev_b32_e32 v72, 6, v33
	ds_load_b128 v[33:36], v72
	ds_load_b128 v[37:40], v72 offset:1024
	ds_load_b128 v[108:111], v72 offset:2048
	;; [unrolled: 1-line block ×3, first 2 shown]
	s_load_b32 s4, s[2:3], 0x0
	s_add_u32 s2, s13, s6
	s_addc_u32 s3, s16, s7
	ds_load_b128 v[116:119], v72 offset:4096
	ds_load_b128 v[120:123], v72 offset:5120
	s_load_b32 s2, s[2:3], 0x0
	s_add_u32 s6, s10, s15
	s_addc_u32 s7, s11, s19
	v_add_co_u32 v68, s6, s6, v41
	s_delay_alu instid0(VALU_DEP_1) | instskip(SKIP_1) | instid1(VALU_DEP_1)
	v_add_co_ci_u32_e64 v69, null, s7, 0, s6
	s_waitcnt lgkmcnt(0)
	v_mad_i64_i32 v[41:42], null, s28, s5, v[68:69]
	v_mad_i64_i32 v[70:71], null, s8, s5, v[68:69]
	;; [unrolled: 1-line block ×7, first 2 shown]
	s_clause 0x3
	global_load_b128 v[49:52], v[41:42], off
	global_load_b128 v[53:56], v[41:42], off offset:16
	global_load_b128 v[41:44], v[45:46], off
	global_load_b128 v[45:48], v[45:46], off offset:16
	s_waitcnt vmcnt(18)
	v_wmma_f32_16x16x16_bf16 v[124:131], v[1:8], v[33:40], v[100:107]
	s_waitcnt vmcnt(16)
	v_wmma_f32_16x16x16_bf16 v[100:107], v[9:16], v[33:40], v[100:107]
	s_clause 0x1
	global_load_b128 v[33:36], v[70:71], off
	global_load_b128 v[37:40], v[70:71], off offset:16
	v_mad_i64_i32 v[70:71], null, s2, s5, v[68:69]
	s_waitcnt vmcnt(16)
	v_wmma_f32_16x16x16_bf16 v[124:131], v[17:24], v[108:115], v[124:131]
	s_waitcnt vmcnt(14)
	v_wmma_f32_16x16x16_bf16 v[100:107], v[25:32], v[108:115], v[100:107]
	s_clause 0x7
	global_load_b128 v[25:28], v[132:133], off
	global_load_b128 v[29:32], v[132:133], off offset:16
	global_load_b128 v[1:4], v[134:135], off
	global_load_b128 v[5:8], v[134:135], off offset:16
	;; [unrolled: 2-line block ×4, first 2 shown]
	s_waitcnt vmcnt(20)
	v_wmma_f32_16x16x16_bf16 v[124:131], v[57:64], v[116:123], v[124:131]
	s_clause 0x1
	global_load_b128 v[57:60], v[70:71], off
	global_load_b128 v[61:64], v[70:71], off offset:16
	s_waitcnt vmcnt(20)
	v_wmma_f32_16x16x16_bf16 v[100:107], v[76:83], v[116:123], v[100:107]
	ds_load_b128 v[76:79], v72 offset:6144
	ds_load_b128 v[80:83], v72 offset:7168
	v_and_b32_e32 v68, 0xe0, v0
	v_mbcnt_lo_u32_b32 v69, -1, 0
	s_waitcnt vmcnt(0) lgkmcnt(0)
	s_barrier
	buffer_gl0_inv
	v_add_nc_u32_e32 v68, s12, v68
	v_xor_b32_e32 v70, 16, v69
	s_delay_alu instid0(VALU_DEP_2) | instskip(NEXT) | instid1(VALU_DEP_2)
	v_or_b32_e32 v68, v68, v74
	v_cmp_gt_i32_e32 vcc_lo, 32, v70
	s_delay_alu instid0(VALU_DEP_2)
	v_or_b32_e32 v71, 4, v68
	v_or_b32_e32 v72, 6, v68
	v_cmp_gt_i32_e64 s2, s17, v68
	v_or_b32_e32 v108, 8, v68
	v_wmma_f32_16x16x16_bf16 v[124:131], v[84:91], v[76:83], v[124:131]
	v_cndmask_b32_e32 v69, v69, v70, vcc_lo
	v_or_b32_e32 v70, 2, v68
	v_wmma_f32_16x16x16_bf16 v[100:107], v[92:99], v[76:83], v[100:107]
	v_or_b32_e32 v109, 10, v68
	v_dual_mul_f32 v82, s18, v127 :: v_dual_mul_f32 v79, s18, v130
	v_dual_mul_f32 v92, s18, v125 :: v_dual_mul_f32 v93, s18, v124
	s_delay_alu instid0(VALU_DEP_4)
	v_mul_f32_e32 v98, s18, v103
	v_cmp_gt_i32_e32 vcc_lo, s17, v70
	v_or_b32_e32 v89, 22, v68
	v_dual_mul_f32 v83, s18, v126 :: v_dual_mul_f32 v96, s18, v105
	v_cndmask_b32_e64 v93, 0xff7fffff, v93, s2
	v_cndmask_b32_e32 v92, 0xff7fffff, v92, vcc_lo
	v_cmp_gt_i32_e64 s3, s17, v71
	v_cmp_gt_i32_e64 s4, s17, v72
	v_or_b32_e32 v84, 12, v68
	v_or_b32_e32 v85, 14, v68
	v_dual_mul_f32 v80, s18, v129 :: v_dual_mul_f32 v81, s18, v128
	v_mul_f32_e32 v94, s18, v107
	v_cndmask_b32_e64 v71, 0xff7fffff, v83, s3
	v_cndmask_b32_e64 v72, 0xff7fffff, v82, s4
	v_cmp_gt_i32_e64 s5, s17, v108
	v_cmp_gt_i32_e64 s6, s17, v109
	;; [unrolled: 1-line block ×3, first 2 shown]
	v_lshlrev_b32_e32 v89, 2, v69
	v_max3_f32 v82, v93, 0xff7fffff, v92
	v_or_b32_e32 v86, 16, v68
	v_or_b32_e32 v87, 18, v68
	v_mul_f32_e32 v78, s18, v131
	v_cndmask_b32_e64 v81, 0xff7fffff, v81, s5
	v_cndmask_b32_e64 v80, 0xff7fffff, v80, s6
	v_max3_f32 v71, v82, v71, v72
	v_cmp_gt_i32_e64 s7, s17, v84
	v_cmp_gt_i32_e64 s8, s17, v85
	v_or_b32_e32 v88, 20, v68
	v_or_b32_e32 v90, 24, v68
	;; [unrolled: 1-line block ×5, first 2 shown]
	v_dual_mul_f32 v95, s18, v106 :: v_dual_mul_f32 v70, s18, v101
	v_dual_mul_f32 v99, s18, v102 :: v_dual_mul_f32 v68, s18, v100
	v_cndmask_b32_e64 v72, 0xff7fffff, v79, s7
	v_cndmask_b32_e64 v78, 0xff7fffff, v78, s8
	v_max3_f32 v71, v71, v81, v80
	v_cmp_gt_i32_e64 s9, s17, v86
	v_cmp_gt_i32_e64 s10, s17, v87
	;; [unrolled: 1-line block ×3, first 2 shown]
	v_mul_f32_e32 v97, s18, v104
	v_max3_f32 v71, v71, v72, v78
	v_cndmask_b32_e64 v68, 0xff7fffff, v68, s9
	v_cndmask_b32_e64 v70, 0xff7fffff, v70, s10
	;; [unrolled: 1-line block ×4, first 2 shown]
	v_cmp_gt_i32_e64 s13, s17, v90
	v_cmp_gt_i32_e64 s15, s17, v91
	v_max3_f32 v68, v71, v68, v70
	v_cmp_gt_i32_e64 s16, s17, v76
	v_cmp_gt_i32_e64 s17, s17, v77
	v_cndmask_b32_e64 v70, 0xff7fffff, v97, s13
	v_cndmask_b32_e64 v71, 0xff7fffff, v96, s15
	v_max3_f32 v68, v68, v72, v78
	v_cndmask_b32_e64 v72, 0xff7fffff, v95, s16
	v_cndmask_b32_e64 v76, 0xff7fffff, v94, s17
	s_delay_alu instid0(VALU_DEP_3) | instskip(NEXT) | instid1(VALU_DEP_1)
	v_max3_f32 v68, v68, v70, v71
	v_max3_f32 v68, v68, v72, v76
	ds_bpermute_b32 v69, v89, v68
	s_waitcnt lgkmcnt(0)
	v_max_f32_e32 v69, v69, v69
	s_delay_alu instid0(VALU_DEP_1) | instskip(NEXT) | instid1(VALU_DEP_1)
	v_max_f32_e32 v68, v68, v69
	v_fma_f32 v69, s18, v124, -v68
	v_fma_f32 v70, s18, v125, -v68
	v_fma_f32 v72, s18, v127, -v68
	v_fma_f32 v71, s18, v126, -v68
	v_fma_f32 v76, s18, v128, -v68
	s_delay_alu instid0(VALU_DEP_4) | instskip(NEXT) | instid1(VALU_DEP_4)
	v_dual_mul_f32 v69, 0x3fb8aa3b, v69 :: v_dual_mul_f32 v70, 0x3fb8aa3b, v70
	v_mul_f32_e32 v72, 0x3fb8aa3b, v72
	v_fma_f32 v78, s18, v130, -v68
	s_delay_alu instid0(VALU_DEP_4) | instskip(NEXT) | instid1(VALU_DEP_4)
	v_mul_f32_e32 v77, 0x3fb8aa3b, v76
	v_exp_f32_e32 v69, v69
	v_exp_f32_e32 v70, v70
	v_mul_f32_e32 v71, 0x3fb8aa3b, v71
	v_exp_f32_e32 v72, v72
	v_mul_f32_e32 v78, 0x3fb8aa3b, v78
	v_exp_f32_e32 v77, v77
	v_fma_f32 v81, s18, v105, -v68
	s_delay_alu instid0(VALU_DEP_2)
	v_exp_f32_e32 v78, v78
	v_cndmask_b32_e64 v80, 0, v69, s2
	v_cndmask_b32_e32 v76, 0, v70, vcc_lo
	v_exp_f32_e32 v71, v71
	v_fma_f32 v69, s18, v129, -v68
	v_cndmask_b32_e64 v85, 0, v72, s4
	v_add_f32_e32 v70, 0, v80
	s_delay_alu instid0(TRANS32_DEP_3)
	v_cndmask_b32_e64 v86, 0, v77, s5
	v_fma_f32 v77, s18, v101, -v68
	v_mul_f32_e32 v69, 0x3fb8aa3b, v69
	v_fma_f32 v72, s18, v100, -v68
	v_cndmask_b32_e64 v84, 0, v78, s7
	v_fma_f32 v78, s18, v103, -v68
	v_cndmask_b32_e64 v83, 0, v71, s3
	v_fma_f32 v71, s18, v131, -v68
	v_add_f32_e32 v70, v70, v76
	v_exp_f32_e32 v69, v69
	v_mul_f32_e32 v77, 0x3fb8aa3b, v77
	v_mul_f32_e32 v81, 0x3fb8aa3b, v81
	;; [unrolled: 1-line block ×3, first 2 shown]
	v_add_f32_e32 v70, v70, v83
	s_mov_b32 s2, exec_lo
	v_exp_f32_e32 v77, v77
	v_exp_f32_e32 v81, v81
	;; [unrolled: 1-line block ×3, first 2 shown]
	v_cndmask_b32_e64 v87, 0, v69, s6
	v_add_f32_e32 v70, v70, v85
	s_delay_alu instid0(VALU_DEP_1) | instskip(SKIP_1) | instid1(VALU_DEP_2)
	v_dual_mul_f32 v72, 0x3fb8aa3b, v72 :: v_dual_add_f32 v69, v70, v86
	v_fma_f32 v70, s18, v102, -v68
	v_exp_f32_e32 v72, v72
	s_waitcnt_depctr 0xfff
	v_cndmask_b32_e64 v88, 0, v71, s8
	v_fma_f32 v71, s18, v104, -v68
	v_dual_add_f32 v69, v69, v87 :: v_dual_mul_f32 v70, 0x3fb8aa3b, v70
	s_delay_alu instid0(VALU_DEP_2) | instskip(NEXT) | instid1(VALU_DEP_2)
	v_dual_mul_f32 v78, 0x3fb8aa3b, v78 :: v_dual_mul_f32 v71, 0x3fb8aa3b, v71
	v_add_f32_e32 v69, v69, v84
	s_delay_alu instid0(VALU_DEP_3) | instskip(SKIP_1) | instid1(VALU_DEP_3)
	v_exp_f32_e32 v79, v70
	v_cndmask_b32_e64 v70, 0, v72, s9
	v_exp_f32_e32 v78, v78
	v_exp_f32_e32 v82, v71
	v_add_f32_e32 v72, v69, v88
	v_cndmask_b32_e64 v69, 0, v77, s10
	v_fma_f32 v77, s18, v106, -v68
	s_delay_alu instid0(VALU_DEP_3) | instskip(NEXT) | instid1(TRANS32_DEP_3)
	v_add_f32_e32 v72, v72, v70
	v_cndmask_b32_e64 v71, 0, v79, s11
	s_delay_alu instid0(VALU_DEP_3) | instskip(NEXT) | instid1(VALU_DEP_3)
	v_mul_f32_e32 v77, 0x3fb8aa3b, v77
	v_add_f32_e32 v79, v72, v69
	s_delay_alu instid0(TRANS32_DEP_2) | instskip(NEXT) | instid1(VALU_DEP_3)
	v_cndmask_b32_e64 v72, 0, v78, s12
	v_exp_f32_e32 v90, v77
	v_cndmask_b32_e64 v77, 0, v82, s13
	s_delay_alu instid0(VALU_DEP_3) | instskip(SKIP_1) | instid1(VALU_DEP_1)
	v_add_f32_e32 v78, v79, v71
	v_fma_f32 v79, s18, v107, -v68
	v_dual_add_f32 v82, v78, v72 :: v_dual_mul_f32 v79, 0x3fb8aa3b, v79
	v_cndmask_b32_e64 v78, 0, v81, s15
	s_delay_alu instid0(VALU_DEP_2) | instskip(NEXT) | instid1(VALU_DEP_3)
	v_add_f32_e32 v81, v82, v77
	v_exp_f32_e32 v82, v79
	s_delay_alu instid0(TRANS32_DEP_2) | instskip(NEXT) | instid1(VALU_DEP_2)
	v_cndmask_b32_e64 v79, 0, v90, s16
	v_add_f32_e32 v81, v81, v78
	s_delay_alu instid0(VALU_DEP_1) | instskip(SKIP_2) | instid1(VALU_DEP_1)
	v_add_f32_e32 v90, v81, v79
	s_waitcnt_depctr 0xfff
	v_cndmask_b32_e64 v81, 0, v82, s17
	v_add_f32_e32 v82, v90, v81
	ds_bpermute_b32 v89, v89, v82
	v_cmpx_gt_u32_e32 16, v67
	s_cbranch_execz .LBB1555_12
; %bb.11:
	v_mul_u32_u24_e32 v67, 0x44, v66
	s_delay_alu instid0(VALU_DEP_1) | instskip(SKIP_1) | instid1(VALU_DEP_1)
	v_lshl_add_u32 v67, v65, 2, v67
	s_waitcnt lgkmcnt(0)
	v_dual_add_f32 v82, v82, v89 :: v_dual_add_nc_u32 v67, 0x4000, v67
	ds_store_2addr_b32 v67, v68, v82 offset1:136
.LBB1555_12:
	s_or_b32 exec_lo, exec_lo, s2
	v_lshlrev_b32_e32 v67, 2, v65
	s_waitcnt lgkmcnt(0)
	s_barrier
	buffer_gl0_inv
	v_cmp_eq_u32_e32 vcc_lo, 1, v66
	v_add_nc_u32_e32 v82, 0x4000, v67
	v_cmp_eq_u32_e64 s2, 2, v66
	v_cmp_eq_u32_e64 s4, 7, v66
	ds_load_2addr_b32 v[89:90], v82 offset1:17
	ds_load_2addr_b32 v[91:92], v82 offset0:34 offset1:51
	ds_load_2addr_b32 v[93:94], v82 offset0:68 offset1:85
	;; [unrolled: 1-line block ×4, first 2 shown]
	s_waitcnt lgkmcnt(4)
	v_max3_f32 v67, v89, 0xff7fffff, v90
	s_waitcnt lgkmcnt(3)
	s_delay_alu instid0(VALU_DEP_1) | instskip(SKIP_1) | instid1(VALU_DEP_1)
	v_max3_f32 v67, v67, v91, v92
	s_waitcnt lgkmcnt(2)
	v_max3_f32 v67, v67, v93, v94
	s_waitcnt lgkmcnt(1)
	s_delay_alu instid0(VALU_DEP_1) | instskip(NEXT) | instid1(VALU_DEP_1)
	v_max3_f32 v67, v67, v95, v96
	v_sub_f32_e32 v93, v93, v67
	s_delay_alu instid0(VALU_DEP_1) | instskip(NEXT) | instid1(VALU_DEP_1)
	v_dual_sub_f32 v68, v89, v67 :: v_dual_mul_f32 v103, 0x3fb8aa3b, v93
	v_mul_f32_e32 v68, 0x3fb8aa3b, v68
	s_delay_alu instid0(VALU_DEP_1)
	v_exp_f32_e32 v100, v68
	v_sub_f32_e32 v68, v92, v67
	v_sub_f32_e32 v99, v90, v67
	ds_load_2addr_b32 v[89:90], v82 offset0:170 offset1:187
	v_dual_mul_f32 v102, 0x3fb8aa3b, v68 :: v_dual_mul_f32 v99, 0x3fb8aa3b, v99
	s_waitcnt lgkmcnt(1)
	v_fma_f32 v68, v100, v97, 0
	s_delay_alu instid0(VALU_DEP_2) | instskip(NEXT) | instid1(VALU_DEP_2)
	v_exp_f32_e32 v102, v102
	v_exp_f32_e32 v99, v99
	s_waitcnt_depctr 0xfff
	v_fmac_f32_e32 v68, v99, v98
	v_sub_f32_e32 v91, v91, v67
	s_delay_alu instid0(VALU_DEP_1)
	v_mul_f32_e32 v101, 0x3fb8aa3b, v91
	ds_load_2addr_b32 v[91:92], v82 offset0:204 offset1:221
	v_sub_f32_e32 v97, v94, v67
	ds_load_2addr_b32 v[93:94], v82 offset0:238 offset1:255
	s_waitcnt lgkmcnt(0)
	v_exp_f32_e32 v101, v101
	s_barrier
	buffer_gl0_inv
	v_dual_fmac_f32 v68, v101, v89 :: v_dual_sub_f32 v89, v96, v67
	v_dual_sub_f32 v82, v95, v67 :: v_dual_mul_f32 v95, 0x3fb8aa3b, v97
	v_exp_f32_e32 v97, v103
	s_delay_alu instid0(VALU_DEP_2) | instskip(NEXT) | instid1(VALU_DEP_2)
	v_dual_fmac_f32 v68, v102, v90 :: v_dual_mul_f32 v89, 0x3fb8aa3b, v89
	v_mul_f32_e32 v82, 0x3fb8aa3b, v82
	s_delay_alu instid0(VALU_DEP_3) | instskip(NEXT) | instid1(VALU_DEP_2)
	v_exp_f32_e32 v95, v95
	v_exp_f32_e32 v89, v89
	s_delay_alu instid0(VALU_DEP_1)
	v_exp_f32_e32 v82, v82
	v_fmac_f32_e32 v68, v97, v91
	s_delay_alu instid0(TRANS32_DEP_3) | instid1(VALU_DEP_1)
	v_fmac_f32_e32 v68, v95, v92
	s_waitcnt_depctr 0xfff
	v_fmac_f32_e32 v68, v82, v93
	s_delay_alu instid0(VALU_DEP_1) | instskip(NEXT) | instid1(VALU_DEP_1)
	v_fmac_f32_e32 v68, v89, v94
	v_add_f32_e32 v90, 0x358637bd, v68
	s_delay_alu instid0(VALU_DEP_1) | instskip(NEXT) | instid1(VALU_DEP_1)
	v_div_scale_f32 v91, null, v90, v90, 1.0
	v_rcp_f32_e32 v92, v91
	s_waitcnt_depctr 0xfff
	v_fma_f32 v93, -v91, v92, 1.0
	s_delay_alu instid0(VALU_DEP_1) | instskip(SKIP_1) | instid1(VALU_DEP_2)
	v_dual_fmac_f32 v92, v93, v92 :: v_dual_cndmask_b32 v93, v100, v99
	v_cmp_eq_u32_e32 vcc_lo, 3, v66
	v_cndmask_b32_e64 v93, v93, v101, s2
	v_cmp_eq_u32_e64 s2, 4, v66
	s_delay_alu instid0(VALU_DEP_2) | instskip(SKIP_1) | instid1(VALU_DEP_2)
	v_cndmask_b32_e32 v93, v93, v102, vcc_lo
	v_cmp_eq_u32_e32 vcc_lo, 5, v66
	v_cndmask_b32_e64 v93, v93, v97, s2
	v_cmp_eq_u32_e64 s2, 6, v66
	s_delay_alu instid0(VALU_DEP_2) | instskip(SKIP_1) | instid1(VALU_DEP_1)
	v_cndmask_b32_e32 v93, v93, v95, vcc_lo
	v_div_scale_f32 v94, s3, 1.0, v90, 1.0
	s_mov_b32 vcc_lo, s3
	s_delay_alu instid0(VALU_DEP_2) | instskip(NEXT) | instid1(VALU_DEP_2)
	v_cndmask_b32_e64 v82, v93, v82, s2
	v_mul_f32_e32 v96, v94, v92
	s_mov_b32 s2, exec_lo
	s_delay_alu instid0(VALU_DEP_2) | instskip(NEXT) | instid1(VALU_DEP_2)
	v_cndmask_b32_e64 v82, v82, v89, s4
	v_fma_f32 v98, -v91, v96, v94
	s_delay_alu instid0(VALU_DEP_1) | instskip(NEXT) | instid1(VALU_DEP_1)
	v_fmac_f32_e32 v96, v98, v92
	v_fma_f32 v91, -v91, v96, v94
	s_delay_alu instid0(VALU_DEP_1) | instskip(NEXT) | instid1(VALU_DEP_1)
	v_div_fmas_f32 v91, v91, v92, v96
	v_div_fixup_f32 v90, v91, v90, 1.0
	s_delay_alu instid0(VALU_DEP_1) | instskip(NEXT) | instid1(VALU_DEP_1)
	v_mul_f32_e32 v82, v82, v90
	v_mul_f32_e32 v87, v82, v87
	;; [unrolled: 1-line block ×7, first 2 shown]
	v_dual_mul_f32 v86, v82, v83 :: v_dual_and_b32 v91, 0x7f800000, v90
	v_mul_f32_e32 v85, v82, v76
                                        ; implicit-def: $vgpr76
	s_delay_alu instid0(VALU_DEP_2)
	v_cmpx_ne_u32_e32 0x7f800000, v91
	s_xor_b32 s2, exec_lo, s2
; %bb.13:
	v_bfe_u32 v76, v90, 16, 1
	s_delay_alu instid0(VALU_DEP_1)
	v_add3_u32 v76, v90, v76, 0x7fff
                                        ; implicit-def: $vgpr90
; %bb.14:
	s_and_not1_saveexec_b32 s2, s2
; %bb.15:
	v_and_b32_e32 v76, 0xffff, v90
	v_or_b32_e32 v83, 0x10000, v90
	s_delay_alu instid0(VALU_DEP_2) | instskip(NEXT) | instid1(VALU_DEP_2)
	v_cmp_eq_u32_e32 vcc_lo, 0, v76
	v_cndmask_b32_e32 v76, v83, v90, vcc_lo
; %bb.16:
	s_or_b32 exec_lo, exec_lo, s2
	v_and_b32_e32 v83, 0x7f800000, v85
	s_delay_alu instid0(VALU_DEP_1) | instskip(SKIP_1) | instid1(SALU_CYCLE_1)
	v_cmp_ne_u32_e32 vcc_lo, 0x7f800000, v83
                                        ; implicit-def: $vgpr83
	s_and_saveexec_b32 s2, vcc_lo
	s_xor_b32 s2, exec_lo, s2
; %bb.17:
	v_bfe_u32 v83, v85, 16, 1
	s_delay_alu instid0(VALU_DEP_1)
	v_add3_u32 v83, v85, v83, 0x7fff
                                        ; implicit-def: $vgpr85
; %bb.18:
	s_and_not1_saveexec_b32 s2, s2
; %bb.19:
	v_and_b32_e32 v83, 0xffff, v85
	v_or_b32_e32 v90, 0x10000, v85
	s_delay_alu instid0(VALU_DEP_2) | instskip(NEXT) | instid1(VALU_DEP_2)
	v_cmp_eq_u32_e32 vcc_lo, 0, v83
	v_cndmask_b32_e32 v83, v90, v85, vcc_lo
; %bb.20:
	s_or_b32 exec_lo, exec_lo, s2
	v_and_b32_e32 v85, 0x7f800000, v86
	s_delay_alu instid0(VALU_DEP_1) | instskip(SKIP_1) | instid1(SALU_CYCLE_1)
	v_cmp_ne_u32_e32 vcc_lo, 0x7f800000, v85
                                        ; implicit-def: $vgpr85
	s_and_saveexec_b32 s2, vcc_lo
	s_xor_b32 s2, exec_lo, s2
; %bb.21:
	v_bfe_u32 v85, v86, 16, 1
	s_delay_alu instid0(VALU_DEP_1)
	v_add3_u32 v85, v86, v85, 0x7fff
                                        ; implicit-def: $vgpr86
; %bb.22:
	s_and_not1_saveexec_b32 s2, s2
; %bb.23:
	v_and_b32_e32 v85, 0xffff, v86
	v_or_b32_e32 v90, 0x10000, v86
	s_delay_alu instid0(VALU_DEP_2) | instskip(NEXT) | instid1(VALU_DEP_2)
	v_cmp_eq_u32_e32 vcc_lo, 0, v85
	v_cndmask_b32_e32 v85, v90, v86, vcc_lo
; %bb.24:
	s_or_b32 exec_lo, exec_lo, s2
	v_and_b32_e32 v86, 0x7f800000, v89
	s_delay_alu instid0(VALU_DEP_1) | instskip(SKIP_1) | instid1(SALU_CYCLE_1)
	v_cmp_ne_u32_e32 vcc_lo, 0x7f800000, v86
                                        ; implicit-def: $vgpr86
	s_and_saveexec_b32 s2, vcc_lo
	s_xor_b32 s2, exec_lo, s2
; %bb.25:
	v_bfe_u32 v86, v89, 16, 1
	s_delay_alu instid0(VALU_DEP_1)
	v_add3_u32 v86, v89, v86, 0x7fff
                                        ; implicit-def: $vgpr89
; %bb.26:
	s_and_not1_saveexec_b32 s2, s2
; %bb.27:
	v_and_b32_e32 v86, 0xffff, v89
	v_or_b32_e32 v90, 0x10000, v89
	s_delay_alu instid0(VALU_DEP_2) | instskip(NEXT) | instid1(VALU_DEP_2)
	v_cmp_eq_u32_e32 vcc_lo, 0, v86
	v_cndmask_b32_e32 v86, v90, v89, vcc_lo
; %bb.28:
	s_or_b32 exec_lo, exec_lo, s2
	v_and_b32_e32 v89, 0x7f800000, v88
	s_delay_alu instid0(VALU_DEP_1) | instskip(SKIP_1) | instid1(SALU_CYCLE_1)
	v_cmp_ne_u32_e32 vcc_lo, 0x7f800000, v89
                                        ; implicit-def: $vgpr89
	s_and_saveexec_b32 s2, vcc_lo
	s_xor_b32 s2, exec_lo, s2
; %bb.29:
	v_bfe_u32 v89, v88, 16, 1
	s_delay_alu instid0(VALU_DEP_1)
	v_add3_u32 v89, v88, v89, 0x7fff
                                        ; implicit-def: $vgpr88
; %bb.30:
	s_and_not1_saveexec_b32 s2, s2
; %bb.31:
	v_and_b32_e32 v89, 0xffff, v88
	v_or_b32_e32 v90, 0x10000, v88
	s_delay_alu instid0(VALU_DEP_2) | instskip(NEXT) | instid1(VALU_DEP_2)
	v_cmp_eq_u32_e32 vcc_lo, 0, v89
	v_cndmask_b32_e32 v89, v90, v88, vcc_lo
; %bb.32:
	s_or_b32 exec_lo, exec_lo, s2
	v_and_b32_e32 v88, 0x7f800000, v87
	s_delay_alu instid0(VALU_DEP_1) | instskip(SKIP_1) | instid1(SALU_CYCLE_1)
	v_cmp_ne_u32_e32 vcc_lo, 0x7f800000, v88
                                        ; implicit-def: $vgpr88
	s_and_saveexec_b32 s2, vcc_lo
	s_xor_b32 s2, exec_lo, s2
; %bb.33:
	v_bfe_u32 v88, v87, 16, 1
	s_delay_alu instid0(VALU_DEP_1)
	v_add3_u32 v88, v87, v88, 0x7fff
                                        ; implicit-def: $vgpr87
; %bb.34:
	s_and_not1_saveexec_b32 s2, s2
; %bb.35:
	v_and_b32_e32 v88, 0xffff, v87
	v_or_b32_e32 v90, 0x10000, v87
	s_delay_alu instid0(VALU_DEP_2) | instskip(NEXT) | instid1(VALU_DEP_2)
	v_cmp_eq_u32_e32 vcc_lo, 0, v88
	v_cndmask_b32_e32 v88, v90, v87, vcc_lo
; %bb.36:
	s_or_b32 exec_lo, exec_lo, s2
	v_and_b32_e32 v87, 0x7f800000, v84
	s_delay_alu instid0(VALU_DEP_1) | instskip(SKIP_1) | instid1(SALU_CYCLE_1)
	v_cmp_ne_u32_e32 vcc_lo, 0x7f800000, v87
                                        ; implicit-def: $vgpr87
	s_and_saveexec_b32 s2, vcc_lo
	s_xor_b32 s2, exec_lo, s2
; %bb.37:
	v_bfe_u32 v87, v84, 16, 1
	s_delay_alu instid0(VALU_DEP_1)
	v_add3_u32 v87, v84, v87, 0x7fff
                                        ; implicit-def: $vgpr84
; %bb.38:
	s_and_not1_saveexec_b32 s2, s2
; %bb.39:
	v_and_b32_e32 v87, 0xffff, v84
	v_or_b32_e32 v90, 0x10000, v84
	s_delay_alu instid0(VALU_DEP_2) | instskip(NEXT) | instid1(VALU_DEP_2)
	v_cmp_eq_u32_e32 vcc_lo, 0, v87
	v_cndmask_b32_e32 v87, v90, v84, vcc_lo
; %bb.40:
	s_or_b32 exec_lo, exec_lo, s2
	v_and_b32_e32 v84, 0x7f800000, v80
	s_delay_alu instid0(VALU_DEP_1) | instskip(SKIP_1) | instid1(SALU_CYCLE_1)
	v_cmp_ne_u32_e32 vcc_lo, 0x7f800000, v84
                                        ; implicit-def: $vgpr84
	s_and_saveexec_b32 s2, vcc_lo
	s_xor_b32 s2, exec_lo, s2
; %bb.41:
	v_bfe_u32 v84, v80, 16, 1
	s_delay_alu instid0(VALU_DEP_1)
	v_add3_u32 v84, v80, v84, 0x7fff
                                        ; implicit-def: $vgpr80
; %bb.42:
	s_and_not1_saveexec_b32 s2, s2
; %bb.43:
	v_and_b32_e32 v84, 0xffff, v80
	v_or_b32_e32 v90, 0x10000, v80
	s_delay_alu instid0(VALU_DEP_2) | instskip(NEXT) | instid1(VALU_DEP_2)
	v_cmp_eq_u32_e32 vcc_lo, 0, v84
	v_cndmask_b32_e32 v84, v90, v80, vcc_lo
; %bb.44:
	s_or_b32 exec_lo, exec_lo, s2
	s_load_b64 s[34:35], s[0:1], 0x94
	v_lshlrev_b32_e32 v91, 4, v74
	s_delay_alu instid0(VALU_DEP_2)
	v_perm_b32 v90, v84, v87, 0x7060302
	v_dual_mul_f32 v79, v82, v79 :: v_dual_lshlrev_b32 v80, 6, v65
	v_dual_mul_f32 v77, v82, v77 :: v_dual_lshlrev_b32 v92, 11, v66
	v_mul_f32_e32 v84, v82, v70
	v_perm_b32 v89, v88, v89, 0x7060302
	v_perm_b32 v88, v86, v85, 0x7060302
	;; [unrolled: 1-line block ×3, first 2 shown]
	v_mul_f32_e32 v70, v82, v81
	v_or3_b32 v76, v91, v92, v80
	v_dual_mul_f32 v78, v82, v78 :: v_dual_and_b32 v85, 0x7f800000, v84
	v_mul_f32_e32 v83, v82, v72
	v_mul_f32_e32 v81, v82, v71
	;; [unrolled: 1-line block ×3, first 2 shown]
	s_mov_b32 s2, exec_lo
	ds_store_b128 v76, v[87:90]
                                        ; implicit-def: $vgpr69
	v_cmpx_ne_u32_e32 0x7f800000, v85
	s_xor_b32 s2, exec_lo, s2
; %bb.45:
	v_bfe_u32 v69, v84, 16, 1
	s_delay_alu instid0(VALU_DEP_1)
	v_add3_u32 v69, v84, v69, 0x7fff
                                        ; implicit-def: $vgpr84
; %bb.46:
	s_and_not1_saveexec_b32 s2, s2
; %bb.47:
	v_and_b32_e32 v69, 0xffff, v84
	v_or_b32_e32 v71, 0x10000, v84
	s_delay_alu instid0(VALU_DEP_2) | instskip(NEXT) | instid1(VALU_DEP_2)
	v_cmp_eq_u32_e32 vcc_lo, 0, v69
	v_cndmask_b32_e32 v69, v71, v84, vcc_lo
; %bb.48:
	s_or_b32 exec_lo, exec_lo, s2
	v_and_b32_e32 v71, 0x7f800000, v72
	s_delay_alu instid0(VALU_DEP_1) | instskip(SKIP_1) | instid1(SALU_CYCLE_1)
	v_cmp_ne_u32_e32 vcc_lo, 0x7f800000, v71
                                        ; implicit-def: $vgpr71
	s_and_saveexec_b32 s2, vcc_lo
	s_xor_b32 s2, exec_lo, s2
; %bb.49:
	v_bfe_u32 v71, v72, 16, 1
	s_delay_alu instid0(VALU_DEP_1)
	v_add3_u32 v71, v72, v71, 0x7fff
                                        ; implicit-def: $vgpr72
; %bb.50:
	s_and_not1_saveexec_b32 s2, s2
; %bb.51:
	v_and_b32_e32 v71, 0xffff, v72
	v_or_b32_e32 v82, 0x10000, v72
	s_delay_alu instid0(VALU_DEP_2) | instskip(NEXT) | instid1(VALU_DEP_2)
	v_cmp_eq_u32_e32 vcc_lo, 0, v71
	v_cndmask_b32_e32 v71, v82, v72, vcc_lo
; %bb.52:
	s_or_b32 exec_lo, exec_lo, s2
	v_and_b32_e32 v72, 0x7f800000, v81
	s_delay_alu instid0(VALU_DEP_1) | instskip(SKIP_1) | instid1(SALU_CYCLE_1)
	v_cmp_ne_u32_e32 vcc_lo, 0x7f800000, v72
                                        ; implicit-def: $vgpr72
	s_and_saveexec_b32 s2, vcc_lo
	s_xor_b32 s2, exec_lo, s2
; %bb.53:
	v_bfe_u32 v72, v81, 16, 1
	s_delay_alu instid0(VALU_DEP_1)
	v_add3_u32 v72, v81, v72, 0x7fff
                                        ; implicit-def: $vgpr81
; %bb.54:
	s_and_not1_saveexec_b32 s2, s2
; %bb.55:
	v_and_b32_e32 v72, 0xffff, v81
	v_or_b32_e32 v82, 0x10000, v81
	s_delay_alu instid0(VALU_DEP_2) | instskip(NEXT) | instid1(VALU_DEP_2)
	v_cmp_eq_u32_e32 vcc_lo, 0, v72
	v_cndmask_b32_e32 v72, v82, v81, vcc_lo
; %bb.56:
	s_or_b32 exec_lo, exec_lo, s2
	v_and_b32_e32 v81, 0x7f800000, v83
	s_delay_alu instid0(VALU_DEP_1) | instskip(SKIP_1) | instid1(SALU_CYCLE_1)
	v_cmp_ne_u32_e32 vcc_lo, 0x7f800000, v81
                                        ; implicit-def: $vgpr81
	s_and_saveexec_b32 s2, vcc_lo
	s_xor_b32 s2, exec_lo, s2
; %bb.57:
	v_bfe_u32 v81, v83, 16, 1
	s_delay_alu instid0(VALU_DEP_1)
	v_add3_u32 v81, v83, v81, 0x7fff
                                        ; implicit-def: $vgpr83
; %bb.58:
	s_and_not1_saveexec_b32 s2, s2
; %bb.59:
	v_and_b32_e32 v81, 0xffff, v83
	v_or_b32_e32 v82, 0x10000, v83
	s_delay_alu instid0(VALU_DEP_2) | instskip(NEXT) | instid1(VALU_DEP_2)
	v_cmp_eq_u32_e32 vcc_lo, 0, v81
	v_cndmask_b32_e32 v81, v82, v83, vcc_lo
; %bb.60:
	s_or_b32 exec_lo, exec_lo, s2
	v_and_b32_e32 v82, 0x7f800000, v77
	s_delay_alu instid0(VALU_DEP_1) | instskip(SKIP_1) | instid1(SALU_CYCLE_1)
	v_cmp_ne_u32_e32 vcc_lo, 0x7f800000, v82
                                        ; implicit-def: $vgpr82
	s_and_saveexec_b32 s2, vcc_lo
	s_xor_b32 s2, exec_lo, s2
; %bb.61:
	v_bfe_u32 v82, v77, 16, 1
	s_delay_alu instid0(VALU_DEP_1)
	v_add3_u32 v82, v77, v82, 0x7fff
                                        ; implicit-def: $vgpr77
; %bb.62:
	s_and_not1_saveexec_b32 s2, s2
; %bb.63:
	v_and_b32_e32 v82, 0xffff, v77
	v_or_b32_e32 v83, 0x10000, v77
	s_delay_alu instid0(VALU_DEP_2) | instskip(NEXT) | instid1(VALU_DEP_2)
	v_cmp_eq_u32_e32 vcc_lo, 0, v82
	v_cndmask_b32_e32 v82, v83, v77, vcc_lo
; %bb.64:
	s_or_b32 exec_lo, exec_lo, s2
	v_and_b32_e32 v77, 0x7f800000, v78
	s_delay_alu instid0(VALU_DEP_1) | instskip(SKIP_1) | instid1(SALU_CYCLE_1)
	v_cmp_ne_u32_e32 vcc_lo, 0x7f800000, v77
                                        ; implicit-def: $vgpr77
	s_and_saveexec_b32 s2, vcc_lo
	s_xor_b32 s2, exec_lo, s2
; %bb.65:
	v_bfe_u32 v77, v78, 16, 1
	s_delay_alu instid0(VALU_DEP_1)
	v_add3_u32 v77, v78, v77, 0x7fff
                                        ; implicit-def: $vgpr78
; %bb.66:
	s_and_not1_saveexec_b32 s2, s2
; %bb.67:
	v_and_b32_e32 v77, 0xffff, v78
	v_or_b32_e32 v83, 0x10000, v78
	s_delay_alu instid0(VALU_DEP_2) | instskip(NEXT) | instid1(VALU_DEP_2)
	v_cmp_eq_u32_e32 vcc_lo, 0, v77
	v_cndmask_b32_e32 v77, v83, v78, vcc_lo
; %bb.68:
	s_or_b32 exec_lo, exec_lo, s2
	v_and_b32_e32 v78, 0x7f800000, v79
	s_delay_alu instid0(VALU_DEP_1) | instskip(SKIP_1) | instid1(SALU_CYCLE_1)
	v_cmp_ne_u32_e32 vcc_lo, 0x7f800000, v78
                                        ; implicit-def: $vgpr78
	s_and_saveexec_b32 s2, vcc_lo
	s_xor_b32 s2, exec_lo, s2
; %bb.69:
	v_bfe_u32 v78, v79, 16, 1
	s_delay_alu instid0(VALU_DEP_1)
	v_add3_u32 v78, v79, v78, 0x7fff
                                        ; implicit-def: $vgpr79
; %bb.70:
	s_and_not1_saveexec_b32 s2, s2
; %bb.71:
	v_and_b32_e32 v78, 0xffff, v79
	v_or_b32_e32 v83, 0x10000, v79
	s_delay_alu instid0(VALU_DEP_2) | instskip(NEXT) | instid1(VALU_DEP_2)
	v_cmp_eq_u32_e32 vcc_lo, 0, v78
	v_cndmask_b32_e32 v78, v83, v79, vcc_lo
; %bb.72:
	s_or_b32 exec_lo, exec_lo, s2
	v_and_b32_e32 v79, 0x7f800000, v70
	s_delay_alu instid0(VALU_DEP_1) | instskip(SKIP_1) | instid1(SALU_CYCLE_1)
	v_cmp_ne_u32_e32 vcc_lo, 0x7f800000, v79
                                        ; implicit-def: $vgpr79
	s_and_saveexec_b32 s2, vcc_lo
	s_xor_b32 s2, exec_lo, s2
; %bb.73:
	v_bfe_u32 v79, v70, 16, 1
	s_delay_alu instid0(VALU_DEP_1)
	v_add3_u32 v79, v70, v79, 0x7fff
                                        ; implicit-def: $vgpr70
; %bb.74:
	s_and_not1_saveexec_b32 s2, s2
; %bb.75:
	v_and_b32_e32 v79, 0xffff, v70
	v_or_b32_e32 v83, 0x10000, v70
	s_delay_alu instid0(VALU_DEP_2) | instskip(NEXT) | instid1(VALU_DEP_2)
	v_cmp_eq_u32_e32 vcc_lo, 0, v79
	v_cndmask_b32_e32 v79, v83, v70, vcc_lo
; %bb.76:
	s_or_b32 exec_lo, exec_lo, s2
	s_delay_alu instid0(VALU_DEP_1)
	v_perm_b32 v86, v79, v78, 0x7060302
	v_perm_b32 v85, v77, v82, 0x7060302
	;; [unrolled: 1-line block ×4, first 2 shown]
	v_lshl_or_b32 v82, v66, 11, v80
	ds_store_b128 v76, v[83:86] offset:1024
	s_waitcnt lgkmcnt(0)
	s_barrier
	buffer_gl0_inv
	ds_load_b128 v[69:72], v82
	ds_load_b128 v[83:86], v82 offset:16
	s_waitcnt lgkmcnt(1)
	v_lshrrev_b32_e32 v66, 16, v69
	s_waitcnt lgkmcnt(0)
	v_lshrrev_b32_e32 v91, 16, v83
	v_lshlrev_b32_e32 v78, 2, v74
	v_lshrrev_b32_e32 v95, 16, v70
	v_lshrrev_b32_e32 v98, 16, v84
	;; [unrolled: 1-line block ×4, first 2 shown]
	v_cmp_eq_u32_e32 vcc_lo, 1, v78
	v_lshrrev_b32_e32 v97, 16, v72
	v_lshrrev_b32_e32 v100, 16, v86
	v_cndmask_b32_e32 v87, v83, v91, vcc_lo
	v_or_b32_e32 v79, 1, v78
	v_cndmask_b32_e32 v81, v69, v66, vcc_lo
	v_cmp_eq_u32_e64 s3, 2, v78
	v_cmp_eq_u32_e64 s6, 3, v78
	;; [unrolled: 1-line block ×5, first 2 shown]
	v_cndmask_b32_e64 v81, v81, v70, s3
	v_cndmask_b32_e64 v87, v87, v84, s3
	v_cmp_eq_u32_e64 s7, 3, v79
	v_cndmask_b32_e64 v88, v69, v66, s2
	v_or_b32_e32 v77, 2, v78
	v_cndmask_b32_e64 v81, v81, v95, s6
	v_cndmask_b32_e64 v87, v87, v98, s6
	;; [unrolled: 1-line block ×4, first 2 shown]
	v_cmp_eq_u32_e64 s9, 5, v78
	v_cndmask_b32_e64 v81, v81, v71, s8
	v_cndmask_b32_e64 v87, v87, v85, s8
	v_cmp_eq_u32_e64 s10, 4, v79
	v_cndmask_b32_e64 v88, v88, v95, s7
	v_cmp_eq_u32_e64 s4, 1, v77
	v_cndmask_b32_e64 v89, v89, v84, s5
	v_cndmask_b32_e64 v81, v81, v96, s9
	v_cmp_eq_u32_e64 s11, 6, v78
	v_cndmask_b32_e64 v88, v88, v71, s10
	;; [unrolled: 3-line block ×3, first 2 shown]
	v_cndmask_b32_e64 v89, v89, v98, s7
	v_cndmask_b32_e64 v81, v81, v72, s11
	v_cmp_eq_u32_e64 s13, 7, v78
	v_cndmask_b32_e64 v88, v88, v96, s12
	v_cndmask_b32_e64 v87, v87, v86, s11
	v_cmp_eq_u32_e64 s15, 6, v79
	v_cmp_eq_u32_e64 s16, 2, v77
	v_cndmask_b32_e64 v89, v89, v85, s10
	v_cndmask_b32_e64 v101, v81, v97, s13
	;; [unrolled: 1-line block ×6, first 2 shown]
	v_cmp_eq_u32_e64 s17, 7, v79
	v_cmp_eq_u32_e64 s18, 3, v77
	;; [unrolled: 1-line block ×4, first 2 shown]
	v_cndmask_b32_e64 v87, v87, v84, s16
	v_cndmask_b32_e64 v103, v88, v97, s17
	;; [unrolled: 1-line block ×4, first 2 shown]
	v_or_b32_e32 v81, 3, v78
	v_cndmask_b32_e64 v93, v87, v98, s18
	v_cmp_eq_u32_e64 s23, 6, v77
	v_cndmask_b32_e64 v104, v88, v86, s15
	v_cndmask_b32_e64 v92, v89, v71, s19
	v_cmp_eq_u32_e64 s20, 1, v81
	ds_load_b128 v[87:90], v82 offset:1024
	v_cmp_eq_u32_e64 s22, 2, v81
	v_cmp_eq_u32_e64 s24, 3, v81
	v_cndmask_b32_e64 v105, v92, v96, s21
	v_cndmask_b32_e64 v66, v69, v66, s20
	;; [unrolled: 1-line block ×4, first 2 shown]
	ds_load_b128 v[91:94], v82 offset:1040
	v_cmp_eq_u32_e64 s25, 4, v81
	v_cndmask_b32_e64 v66, v66, v70, s22
	v_cmp_eq_u32_e64 s26, 7, v77
	v_cndmask_b32_e64 v70, v83, v84, s22
	v_cndmask_b32_e64 v84, v105, v72, s23
	v_cmp_eq_u32_e64 s27, 5, v81
	v_cndmask_b32_e64 v66, v66, v95, s24
	v_cmp_eq_u32_e64 s28, 6, v81
	v_cndmask_b32_e64 v70, v70, v98, s24
	v_cndmask_b32_e64 v69, v69, v99, s21
	;; [unrolled: 1-line block ×4, first 2 shown]
	s_waitcnt lgkmcnt(1)
	v_lshrrev_b32_e32 v95, 16, v87
	v_cndmask_b32_e64 v70, v70, v85, s25
	v_cndmask_b32_e64 v71, v84, v97, s26
	;; [unrolled: 1-line block ×4, first 2 shown]
	v_cndmask_b32_e32 v84, v87, v95, vcc_lo
	v_cndmask_b32_e64 v70, v70, v99, s27
	s_waitcnt lgkmcnt(0)
	v_lshrrev_b32_e32 v85, 16, v91
	v_lshrrev_b32_e32 v96, 16, v88
	v_cndmask_b32_e64 v98, v87, v95, s2
	v_cndmask_b32_e64 v84, v84, v88, s3
	;; [unrolled: 1-line block ×3, first 2 shown]
	v_cndmask_b32_e32 v99, v91, v85, vcc_lo
	v_cmp_eq_u32_e32 vcc_lo, 7, v81
	v_cndmask_b32_e64 v66, v66, v72, s28
	v_cndmask_b32_e64 v72, v84, v96, s6
	;; [unrolled: 1-line block ×3, first 2 shown]
	v_lshrrev_b32_e32 v98, 16, v92
	v_cndmask_b32_e32 v70, v70, v100, vcc_lo
	v_cndmask_b32_e64 v86, v99, v92, s3
	v_cndmask_b32_e64 v69, v69, v100, s26
	v_lshrrev_b32_e32 v100, 16, v93
	v_cndmask_b32_e64 v72, v72, v89, s8
	v_lshrrev_b32_e32 v99, 16, v89
	v_cndmask_b32_e64 v86, v86, v98, s6
	v_perm_b32 v71, v69, v71, 0x5040100
	v_cndmask_b32_e64 v84, v84, v96, s7
	s_delay_alu instid0(VALU_DEP_3) | instskip(NEXT) | instid1(VALU_DEP_2)
	v_cndmask_b32_e64 v86, v86, v93, s8
	v_cndmask_b32_e64 v84, v84, v89, s10
	s_delay_alu instid0(VALU_DEP_2) | instskip(NEXT) | instid1(VALU_DEP_1)
	v_cndmask_b32_e64 v86, v86, v100, s9
	v_cndmask_b32_e64 v69, v86, v94, s11
	;; [unrolled: 1-line block ×5, first 2 shown]
	s_delay_alu instid0(VALU_DEP_3) | instskip(NEXT) | instid1(VALU_DEP_3)
	v_cndmask_b32_e64 v86, v86, v88, s16
	v_cndmask_b32_e64 v87, v87, v88, s22
	s_delay_alu instid0(VALU_DEP_3) | instskip(NEXT) | instid1(VALU_DEP_3)
	v_cndmask_b32_e64 v88, v95, v92, s22
	v_cndmask_b32_e64 v86, v86, v96, s18
	;; [unrolled: 3-line block ×7, first 2 shown]
	s_delay_alu instid0(VALU_DEP_3) | instskip(SKIP_2) | instid1(VALU_DEP_2)
	v_cndmask_b32_e64 v88, v88, v94, s28
	v_cndmask_b32_e32 v66, v66, v97, vcc_lo
	v_cndmask_b32_e64 v97, v72, v99, s9
	v_perm_b32 v72, v70, v66, 0x5040100
	v_perm_b32 v70, v83, v103, 0x5040100
	v_cndmask_b32_e64 v103, v91, v85, s4
	v_cndmask_b32_e64 v85, v91, v85, s2
	;; [unrolled: 1-line block ×4, first 2 shown]
	v_lshrrev_b32_e32 v97, 16, v90
	v_cndmask_b32_e64 v91, v103, v92, s16
	v_cndmask_b32_e64 v85, v85, v92, s5
	;; [unrolled: 1-line block ×3, first 2 shown]
	s_mov_b32 s2, exec_lo
	v_cndmask_b32_e64 v83, v84, v97, s13
	v_cndmask_b32_e64 v91, v91, v98, s18
	;; [unrolled: 1-line block ×3, first 2 shown]
	v_lshrrev_b32_e32 v84, 16, v94
	v_cndmask_b32_e64 v66, v66, v97, s17
	v_cndmask_b32_e64 v90, v86, v97, s26
	;; [unrolled: 1-line block ×4, first 2 shown]
	v_dual_cndmask_b32 v86, v87, v97 :: v_dual_cndmask_b32 v87, v88, v84
	v_cndmask_b32_e64 v91, v69, v84, s13
	s_delay_alu instid0(VALU_DEP_4) | instskip(NEXT) | instid1(VALU_DEP_4)
	v_cndmask_b32_e64 v89, v89, v100, s21
	v_cndmask_b32_e64 v85, v85, v100, s12
	v_perm_b32 v69, v102, v101, 0x5040100
	v_perm_b32 v86, v87, v86, 0x5040100
	;; [unrolled: 1-line block ×3, first 2 shown]
	v_cndmask_b32_e64 v89, v89, v94, s23
	v_cndmask_b32_e64 v85, v85, v94, s15
	s_mul_i32 s7, s35, 10
	s_delay_alu instid0(VALU_DEP_2) | instskip(NEXT) | instid1(VALU_DEP_2)
	v_cndmask_b32_e64 v88, v89, v84, s26
	v_cndmask_b32_e64 v89, v85, v84, s17
	s_delay_alu instid0(VALU_DEP_2) | instskip(NEXT) | instid1(VALU_DEP_2)
	v_perm_b32 v85, v88, v90, 0x5040100
	v_perm_b32 v84, v89, v66, 0x5040100
	ds_store_b128 v76, v[69:72]
	ds_store_b128 v76, v[83:86] offset:1024
	v_cmpx_gt_u32_e32 10, v0
	s_cbranch_execz .LBB1555_78
; %bb.77:
	s_mul_i32 s3, s7, s30
	s_load_b128 s[8:11], s[0:1], 0x58
	v_add3_u32 v69, s3, s29, v65
	s_delay_alu instid0(VALU_DEP_1) | instskip(NEXT) | instid1(VALU_DEP_1)
	v_mad_u64_u32 v[65:66], null, v69, s34, s[14:15]
	v_ashrrev_i32_e32 v66, 31, v65
	s_delay_alu instid0(VALU_DEP_1) | instskip(SKIP_1) | instid1(VALU_DEP_1)
	v_lshlrev_b64 v[65:66], 2, v[65:66]
	s_waitcnt lgkmcnt(0)
	v_add_co_u32 v69, vcc_lo, s10, v65
	s_delay_alu instid0(VALU_DEP_2)
	v_add_co_ci_u32_e32 v70, vcc_lo, s11, v66, vcc_lo
	v_add_co_u32 v65, vcc_lo, s8, v65
	v_add_co_ci_u32_e32 v66, vcc_lo, s9, v66, vcc_lo
	global_store_b32 v[69:70], v67, off
	global_store_b32 v[65:66], v68, off
.LBB1555_78:
	s_or_b32 exec_lo, exec_lo, s2
	s_waitcnt lgkmcnt(0)
	s_waitcnt_vscnt null, 0x0
	s_barrier
	buffer_gl0_inv
	ds_load_b128 v[83:86], v80
	ds_load_b128 v[87:90], v80 offset:16
	ds_load_b128 v[95:98], v80 offset:2064
	;; [unrolled: 1-line block ×3, first 2 shown]
	v_mov_b32_e32 v65, 0
	ds_load_b128 v[103:106], v80 offset:4112
	ds_load_b128 v[99:102], v80 offset:4096
	;; [unrolled: 1-line block ×4, first 2 shown]
	v_mov_b32_e32 v66, v65
	v_mov_b32_e32 v67, v65
	v_mov_b32_e32 v68, v65
	v_mov_b32_e32 v69, v65
	v_mov_b32_e32 v70, v65
	v_mov_b32_e32 v71, v65
	v_mov_b32_e32 v72, v65
	s_waitcnt lgkmcnt(6)
	s_delay_alu instid0(VALU_DEP_1)
	v_wmma_f32_16x16x16_bf16 v[65:72], v[49:56], v[83:90], v[65:72]
	ds_load_b128 v[53:56], v80 offset:8208
	ds_load_b128 v[49:52], v80 offset:8192
	s_waitcnt lgkmcnt(6)
	v_wmma_f32_16x16x16_bf16 v[65:72], v[41:48], v[91:98], v[65:72]
	ds_load_b128 v[45:48], v80 offset:10256
	ds_load_b128 v[41:44], v80 offset:10240
	s_waitcnt lgkmcnt(6)
	;; [unrolled: 4-line block ×4, first 2 shown]
	v_wmma_f32_16x16x16_bf16 v[65:72], v[1:8], v[49:56], v[65:72]
	s_waitcnt lgkmcnt(4)
	s_delay_alu instid0(VALU_DEP_1) | instskip(SKIP_1) | instid1(VALU_DEP_1)
	v_wmma_f32_16x16x16_bf16 v[65:72], v[9:16], v[41:48], v[65:72]
	s_waitcnt lgkmcnt(2)
	v_wmma_f32_16x16x16_bf16 v[65:72], v[17:24], v[33:40], v[65:72]
	s_waitcnt lgkmcnt(0)
	s_delay_alu instid0(VALU_DEP_1) | instskip(NEXT) | instid1(VALU_DEP_1)
	v_wmma_f32_16x16x16_bf16 v[65:72], v[57:64], v[25:32], v[65:72]
	v_and_b32_e32 v1, 0x7f800000, v65
	s_delay_alu instid0(VALU_DEP_1) | instskip(SKIP_1) | instid1(SALU_CYCLE_1)
	v_cmp_ne_u32_e32 vcc_lo, 0x7f800000, v1
                                        ; implicit-def: $vgpr1
	s_and_saveexec_b32 s2, vcc_lo
	s_xor_b32 s2, exec_lo, s2
; %bb.79:
	v_bfe_u32 v1, v65, 16, 1
	s_delay_alu instid0(VALU_DEP_1)
	v_add3_u32 v1, v65, v1, 0x7fff
; %bb.80:
	s_and_not1_saveexec_b32 s2, s2
; %bb.81:
	v_and_b32_e32 v1, 0xffff, v65
	v_or_b32_e32 v2, 0x10000, v65
	s_delay_alu instid0(VALU_DEP_2) | instskip(NEXT) | instid1(VALU_DEP_2)
	v_cmp_eq_u32_e32 vcc_lo, 0, v1
	v_cndmask_b32_e32 v1, v2, v65, vcc_lo
; %bb.82:
	s_or_b32 exec_lo, exec_lo, s2
	v_and_b32_e32 v2, 0x7f800000, v66
	s_delay_alu instid0(VALU_DEP_1) | instskip(SKIP_1) | instid1(SALU_CYCLE_1)
	v_cmp_ne_u32_e32 vcc_lo, 0x7f800000, v2
                                        ; implicit-def: $vgpr2
	s_and_saveexec_b32 s2, vcc_lo
	s_xor_b32 s2, exec_lo, s2
; %bb.83:
	v_bfe_u32 v2, v66, 16, 1
	s_delay_alu instid0(VALU_DEP_1)
	v_add3_u32 v2, v66, v2, 0x7fff
; %bb.84:
	s_and_not1_saveexec_b32 s2, s2
; %bb.85:
	v_and_b32_e32 v2, 0xffff, v66
	v_or_b32_e32 v3, 0x10000, v66
	s_delay_alu instid0(VALU_DEP_2) | instskip(NEXT) | instid1(VALU_DEP_2)
	v_cmp_eq_u32_e32 vcc_lo, 0, v2
	v_cndmask_b32_e32 v2, v3, v66, vcc_lo
; %bb.86:
	s_or_b32 exec_lo, exec_lo, s2
	v_and_b32_e32 v3, 0x7f800000, v67
	s_delay_alu instid0(VALU_DEP_1) | instskip(SKIP_1) | instid1(SALU_CYCLE_1)
	v_cmp_ne_u32_e32 vcc_lo, 0x7f800000, v3
                                        ; implicit-def: $vgpr3
	s_and_saveexec_b32 s2, vcc_lo
	s_xor_b32 s2, exec_lo, s2
; %bb.87:
	v_bfe_u32 v3, v67, 16, 1
	s_delay_alu instid0(VALU_DEP_1)
	v_add3_u32 v3, v67, v3, 0x7fff
; %bb.88:
	s_and_not1_saveexec_b32 s2, s2
; %bb.89:
	v_and_b32_e32 v3, 0xffff, v67
	v_or_b32_e32 v4, 0x10000, v67
	s_delay_alu instid0(VALU_DEP_2) | instskip(NEXT) | instid1(VALU_DEP_2)
	v_cmp_eq_u32_e32 vcc_lo, 0, v3
	v_cndmask_b32_e32 v3, v4, v67, vcc_lo
; %bb.90:
	s_or_b32 exec_lo, exec_lo, s2
	v_and_b32_e32 v4, 0x7f800000, v68
	s_delay_alu instid0(VALU_DEP_1) | instskip(SKIP_1) | instid1(SALU_CYCLE_1)
	v_cmp_ne_u32_e32 vcc_lo, 0x7f800000, v4
                                        ; implicit-def: $vgpr4
	s_and_saveexec_b32 s2, vcc_lo
	s_xor_b32 s2, exec_lo, s2
; %bb.91:
	v_bfe_u32 v4, v68, 16, 1
	s_delay_alu instid0(VALU_DEP_1)
	v_add3_u32 v4, v68, v4, 0x7fff
; %bb.92:
	s_and_not1_saveexec_b32 s2, s2
; %bb.93:
	v_and_b32_e32 v4, 0xffff, v68
	v_or_b32_e32 v5, 0x10000, v68
	s_delay_alu instid0(VALU_DEP_2) | instskip(NEXT) | instid1(VALU_DEP_2)
	v_cmp_eq_u32_e32 vcc_lo, 0, v4
	v_cndmask_b32_e32 v4, v5, v68, vcc_lo
; %bb.94:
	s_or_b32 exec_lo, exec_lo, s2
	v_and_b32_e32 v5, 0x7f800000, v69
	s_delay_alu instid0(VALU_DEP_1) | instskip(SKIP_1) | instid1(SALU_CYCLE_1)
	v_cmp_ne_u32_e32 vcc_lo, 0x7f800000, v5
                                        ; implicit-def: $vgpr5
	s_and_saveexec_b32 s2, vcc_lo
	s_xor_b32 s2, exec_lo, s2
; %bb.95:
	v_bfe_u32 v5, v69, 16, 1
	s_delay_alu instid0(VALU_DEP_1)
	v_add3_u32 v5, v69, v5, 0x7fff
; %bb.96:
	s_and_not1_saveexec_b32 s2, s2
; %bb.97:
	v_and_b32_e32 v5, 0xffff, v69
	v_or_b32_e32 v6, 0x10000, v69
	s_delay_alu instid0(VALU_DEP_2) | instskip(NEXT) | instid1(VALU_DEP_2)
	v_cmp_eq_u32_e32 vcc_lo, 0, v5
	v_cndmask_b32_e32 v5, v6, v69, vcc_lo
; %bb.98:
	s_or_b32 exec_lo, exec_lo, s2
	v_and_b32_e32 v6, 0x7f800000, v70
	s_delay_alu instid0(VALU_DEP_1) | instskip(SKIP_1) | instid1(SALU_CYCLE_1)
	v_cmp_ne_u32_e32 vcc_lo, 0x7f800000, v6
                                        ; implicit-def: $vgpr6
	s_and_saveexec_b32 s2, vcc_lo
	s_xor_b32 s2, exec_lo, s2
; %bb.99:
	v_bfe_u32 v6, v70, 16, 1
	s_delay_alu instid0(VALU_DEP_1)
	v_add3_u32 v6, v70, v6, 0x7fff
; %bb.100:
	s_and_not1_saveexec_b32 s2, s2
; %bb.101:
	v_and_b32_e32 v6, 0xffff, v70
	v_or_b32_e32 v7, 0x10000, v70
	s_delay_alu instid0(VALU_DEP_2) | instskip(NEXT) | instid1(VALU_DEP_2)
	v_cmp_eq_u32_e32 vcc_lo, 0, v6
	v_cndmask_b32_e32 v6, v7, v70, vcc_lo
; %bb.102:
	s_or_b32 exec_lo, exec_lo, s2
	v_and_b32_e32 v7, 0x7f800000, v71
	s_delay_alu instid0(VALU_DEP_1) | instskip(SKIP_1) | instid1(SALU_CYCLE_1)
	v_cmp_ne_u32_e32 vcc_lo, 0x7f800000, v7
                                        ; implicit-def: $vgpr7
	s_and_saveexec_b32 s2, vcc_lo
	s_xor_b32 s2, exec_lo, s2
; %bb.103:
	v_bfe_u32 v7, v71, 16, 1
	s_delay_alu instid0(VALU_DEP_1)
	v_add3_u32 v7, v71, v7, 0x7fff
; %bb.104:
	s_and_not1_saveexec_b32 s2, s2
; %bb.105:
	v_and_b32_e32 v7, 0xffff, v71
	v_or_b32_e32 v8, 0x10000, v71
	s_delay_alu instid0(VALU_DEP_2) | instskip(NEXT) | instid1(VALU_DEP_2)
	v_cmp_eq_u32_e32 vcc_lo, 0, v7
	v_cndmask_b32_e32 v7, v8, v71, vcc_lo
; %bb.106:
	s_or_b32 exec_lo, exec_lo, s2
	v_and_b32_e32 v8, 0x7f800000, v72
	s_delay_alu instid0(VALU_DEP_1) | instskip(SKIP_1) | instid1(SALU_CYCLE_1)
	v_cmp_ne_u32_e32 vcc_lo, 0x7f800000, v8
                                        ; implicit-def: $vgpr8
	s_and_saveexec_b32 s2, vcc_lo
	s_xor_b32 s2, exec_lo, s2
; %bb.107:
	v_bfe_u32 v8, v72, 16, 1
	s_delay_alu instid0(VALU_DEP_1)
	v_add3_u32 v8, v72, v8, 0x7fff
                                        ; implicit-def: $vgpr65_vgpr66_vgpr67_vgpr68_vgpr69_vgpr70_vgpr71_vgpr72
; %bb.108:
	s_and_not1_saveexec_b32 s2, s2
; %bb.109:
	v_and_b32_e32 v8, 0xffff, v72
	v_or_b32_e32 v9, 0x10000, v72
	s_delay_alu instid0(VALU_DEP_2) | instskip(NEXT) | instid1(VALU_DEP_2)
	v_cmp_eq_u32_e32 vcc_lo, 0, v8
	v_cndmask_b32_e32 v8, v9, v72, vcc_lo
; %bb.110:
	s_or_b32 exec_lo, exec_lo, s2
	s_delay_alu instid0(VALU_DEP_1)
	v_perm_b32 v7, v8, v7, 0x7060302
	v_perm_b32 v6, v6, v5, 0x7060302
	;; [unrolled: 1-line block ×4, first 2 shown]
	s_barrier
	buffer_gl0_inv
	v_cmp_eq_u32_e32 vcc_lo, 1, v78
	ds_store_b128 v76, v[4:7]
	s_waitcnt lgkmcnt(0)
	s_barrier
	buffer_gl0_inv
	ds_load_b128 v[1:4], v82
	ds_load_b128 v[5:8], v82 offset:16
	v_cmp_eq_u32_e64 s2, 1, v79
	v_cmp_eq_u32_e64 s3, 2, v78
	;; [unrolled: 1-line block ×5, first 2 shown]
	s_waitcnt lgkmcnt(1)
	v_lshrrev_b32_e32 v9, 16, v1
	s_waitcnt lgkmcnt(0)
	v_lshrrev_b32_e32 v13, 16, v5
	v_lshrrev_b32_e32 v10, 16, v2
	;; [unrolled: 1-line block ×4, first 2 shown]
	v_cndmask_b32_e64 v19, v1, v9, s2
	v_cndmask_b32_e32 v18, v5, v13, vcc_lo
	v_cndmask_b32_e64 v20, v5, v13, s2
	v_cndmask_b32_e32 v17, v1, v9, vcc_lo
	v_cmp_eq_u32_e32 vcc_lo, 2, v79
	v_lshrrev_b32_e32 v15, 16, v7
	v_cmp_eq_u32_e64 s2, 1, v77
	v_lshrrev_b32_e32 v12, 16, v4
	v_lshrrev_b32_e32 v16, 16, v8
	v_cndmask_b32_e32 v20, v20, v6, vcc_lo
	v_cndmask_b32_e64 v17, v17, v2, s3
	v_cndmask_b32_e32 v19, v19, v2, vcc_lo
	v_cndmask_b32_e64 v18, v18, v6, s3
	v_cmp_eq_u32_e32 vcc_lo, 4, v78
	v_cmp_eq_u32_e64 s3, 3, v79
	v_cndmask_b32_e64 v17, v17, v10, s4
	v_cndmask_b32_e64 v21, v1, v9, s2
	;; [unrolled: 1-line block ×5, first 2 shown]
	v_cndmask_b32_e32 v17, v17, v3, vcc_lo
	v_cndmask_b32_e64 v20, v20, v14, s3
	v_cndmask_b32_e32 v18, v18, v7, vcc_lo
	v_cmp_eq_u32_e32 vcc_lo, 4, v79
	v_cmp_eq_u32_e64 s3, 5, v79
	v_cmp_eq_u32_e64 s2, 2, v81
	v_cndmask_b32_e64 v21, v21, v2, s6
	v_cmp_eq_u32_e64 s4, 5, v78
	v_cndmask_b32_e32 v19, v19, v3, vcc_lo
	v_cndmask_b32_e32 v20, v20, v7, vcc_lo
	v_cmp_eq_u32_e32 vcc_lo, 6, v79
	s_delay_alu instid0(VALU_DEP_4) | instskip(NEXT) | instid1(VALU_DEP_4)
	v_cndmask_b32_e64 v17, v17, v11, s4
	v_cndmask_b32_e64 v19, v19, v11, s3
	s_delay_alu instid0(VALU_DEP_4) | instskip(SKIP_1) | instid1(VALU_DEP_3)
	v_cndmask_b32_e64 v20, v20, v15, s3
	v_cmp_eq_u32_e64 s3, 1, v81
	v_cndmask_b32_e32 v19, v19, v4, vcc_lo
	v_cndmask_b32_e64 v18, v18, v15, s4
	s_delay_alu instid0(VALU_DEP_3)
	v_cndmask_b32_e64 v1, v1, v9, s3
	v_cndmask_b32_e64 v5, v5, v13, s3
	v_cmp_eq_u32_e64 s3, 3, v77
	v_cndmask_b32_e64 v13, v22, v6, s6
	v_cmp_eq_u32_e64 s6, 3, v81
	v_cndmask_b32_e64 v1, v1, v2, s2
	v_cndmask_b32_e64 v2, v5, v6, s2
	;; [unrolled: 1-line block ×3, first 2 shown]
	v_cmp_eq_u32_e64 s2, 4, v77
	v_cndmask_b32_e64 v6, v13, v14, s3
	v_cndmask_b32_e64 v1, v1, v10, s6
	v_cmp_eq_u32_e64 s3, 4, v81
	v_cndmask_b32_e64 v2, v2, v14, s6
	v_cndmask_b32_e64 v5, v9, v3, s2
	;; [unrolled: 3-line block ×3, first 2 shown]
	v_cndmask_b32_e64 v2, v2, v7, s3
	v_cmp_eq_u32_e64 s2, 5, v81
	v_cmp_eq_u32_e64 s4, 6, v78
	v_cndmask_b32_e64 v5, v5, v11, s6
	v_cmp_eq_u32_e64 s3, 6, v77
	v_cndmask_b32_e64 v3, v6, v15, s6
	v_cndmask_b32_e64 v1, v1, v11, s2
	v_cmp_eq_u32_e64 s6, 6, v81
	v_cndmask_b32_e64 v2, v2, v15, s2
	v_cndmask_b32_e64 v17, v17, v4, s4
	v_cndmask_b32_e64 v18, v18, v8, s4
	v_cmp_eq_u32_e64 s4, 7, v78
	v_cndmask_b32_e64 v5, v5, v4, s3
	;; [unrolled: 4-line block ×3, first 2 shown]
	v_cmp_eq_u32_e64 s3, 7, v77
	v_cndmask_b32_e32 v4, v20, v8, vcc_lo
	v_cndmask_b32_e64 v17, v17, v12, s4
	v_cndmask_b32_e64 v19, v19, v12, s5
	v_cndmask_b32_e64 v1, v1, v12, s2
	v_cndmask_b32_e64 v5, v5, v12, s3
	v_cndmask_b32_e64 v2, v2, v16, s2
	v_cndmask_b32_e64 v3, v3, v16, s3
	v_cndmask_b32_e64 v6, v4, v16, s5
	v_cndmask_b32_e64 v7, v18, v16, s4
	s_mov_b32 s2, exec_lo
	v_perm_b32 v4, v2, v1, 0x5040100
	v_perm_b32 v3, v3, v5, 0x5040100
	;; [unrolled: 1-line block ×4, first 2 shown]
	ds_store_b128 v76, v[1:4]
	s_waitcnt lgkmcnt(0)
	s_barrier
	buffer_gl0_inv
	v_cmpx_gt_u32_e32 32, v0
	s_cbranch_execz .LBB1555_2
; %bb.111:
	s_load_b64 s[0:1], s[0:1], 0x68
	s_lshl_b32 s4, s34, 7
	v_or_b32_e32 v2, s29, v74
	s_mul_i32 s2, s4, s30
	v_lshlrev_b32_e32 v0, 10, v0
	s_mul_i32 s2, s2, s7
	v_lshlrev_b32_e32 v1, 4, v75
	s_ashr_i32 s3, s2, 31
	v_mul_lo_u32 v20, v2, s4
	s_lshl_b64 s[2:3], s[2:3], 1
	v_lshlrev_b32_e32 v3, 6, v74
	v_and_b32_e32 v0, 0x3800, v0
	s_delay_alu instid0(VALU_DEP_1) | instskip(NEXT) | instid1(VALU_DEP_4)
	v_or3_b32 v16, v0, v1, v3
	v_ashrrev_i32_e32 v21, 31, v20
	ds_load_b128 v[0:3], v16
	ds_load_b128 v[4:7], v16 offset:128
	s_waitcnt lgkmcnt(0)
	s_add_u32 s2, s0, s2
	s_addc_u32 s3, s1, s3
	s_lshl_b32 s0, s14, 7
	ds_load_b128 v[8:11], v16 offset:256
	ds_load_b128 v[12:15], v16 offset:384
	;; [unrolled: 1-line block ×3, first 2 shown]
	s_ashr_i32 s1, s0, 31
	s_delay_alu instid0(SALU_CYCLE_1) | instskip(NEXT) | instid1(SALU_CYCLE_1)
	s_lshl_b64 s[0:1], s[0:1], 1
	s_add_u32 s0, s2, s0
	s_addc_u32 s1, s3, s1
	s_lshl_b32 s2, s34, 8
	v_add_co_u32 v30, s0, s0, v73
	v_add_nc_u32_e32 v22, s2, v20
	v_lshlrev_b64 v[20:21], 1, v[20:21]
	v_add_co_ci_u32_e64 v31, null, s1, 0, s0
	s_delay_alu instid0(VALU_DEP_3) | instskip(SKIP_1) | instid1(VALU_DEP_4)
	v_add_nc_u32_e32 v24, s2, v22
	v_ashrrev_i32_e32 v23, 31, v22
	v_add_co_u32 v20, vcc_lo, v30, v20
	s_delay_alu instid0(VALU_DEP_4) | instskip(NEXT) | instid1(VALU_DEP_4)
	v_add_co_ci_u32_e32 v21, vcc_lo, v31, v21, vcc_lo
	v_add_nc_u32_e32 v26, s2, v24
	v_ashrrev_i32_e32 v25, 31, v24
	v_lshlrev_b64 v[22:23], 1, v[22:23]
	s_delay_alu instid0(VALU_DEP_3) | instskip(SKIP_1) | instid1(VALU_DEP_4)
	v_add_nc_u32_e32 v28, s2, v26
	v_ashrrev_i32_e32 v27, 31, v26
	v_lshlrev_b64 v[24:25], 1, v[24:25]
	s_delay_alu instid0(VALU_DEP_4) | instskip(NEXT) | instid1(VALU_DEP_4)
	v_add_co_u32 v22, vcc_lo, v30, v22
	v_ashrrev_i32_e32 v29, 31, v28
	s_delay_alu instid0(VALU_DEP_4) | instskip(SKIP_2) | instid1(VALU_DEP_4)
	v_lshlrev_b64 v[26:27], 1, v[26:27]
	v_add_co_ci_u32_e32 v23, vcc_lo, v31, v23, vcc_lo
	v_add_co_u32 v24, vcc_lo, v30, v24
	v_lshlrev_b64 v[28:29], 1, v[28:29]
	v_add_co_ci_u32_e32 v25, vcc_lo, v31, v25, vcc_lo
	v_add_co_u32 v26, vcc_lo, v30, v26
	v_add_co_ci_u32_e32 v27, vcc_lo, v31, v27, vcc_lo
	s_delay_alu instid0(VALU_DEP_4)
	v_add_co_u32 v28, vcc_lo, v30, v28
	v_add_co_ci_u32_e32 v29, vcc_lo, v31, v29, vcc_lo
	s_clause 0x1
	global_store_b128 v[20:21], v[0:3], off
	global_store_b128 v[22:23], v[4:7], off
	s_waitcnt lgkmcnt(2)
	global_store_b128 v[24:25], v[8:11], off
	s_waitcnt lgkmcnt(1)
	;; [unrolled: 2-line block ×3, first 2 shown]
	global_store_b128 v[28:29], v[16:19], off
	s_nop 0
	s_sendmsg sendmsg(MSG_DEALLOC_VGPRS)
	s_endpgm
	.section	.rodata,"a",@progbits
	.p2align	6, 0x0
	.amdhsa_kernel _Z39paged_attention_ll4mi_QKV_mfma16_kernelI14__hip_bfloat16hLN4vllm18Fp8KVCacheDataTypeE1ES0_Li16ELi128ELi256ELb1ELi10EL8MFMAType1EEvPKT_PKT0_S9_ifPKiSB_SB_iPKfiiiPfSE_PS4_PT2_iSD_SD_
		.amdhsa_group_segment_fixed_size 17472
		.amdhsa_private_segment_fixed_size 0
		.amdhsa_kernarg_size 400
		.amdhsa_user_sgpr_count 13
		.amdhsa_user_sgpr_dispatch_ptr 0
		.amdhsa_user_sgpr_queue_ptr 0
		.amdhsa_user_sgpr_kernarg_segment_ptr 1
		.amdhsa_user_sgpr_dispatch_id 0
		.amdhsa_user_sgpr_private_segment_size 0
		.amdhsa_wavefront_size32 1
		.amdhsa_uses_dynamic_stack 0
		.amdhsa_enable_private_segment 0
		.amdhsa_system_sgpr_workgroup_id_x 1
		.amdhsa_system_sgpr_workgroup_id_y 1
		.amdhsa_system_sgpr_workgroup_id_z 1
		.amdhsa_system_sgpr_workgroup_info 0
		.amdhsa_system_vgpr_workitem_id 0
		.amdhsa_next_free_vgpr 140
		.amdhsa_next_free_sgpr 36
		.amdhsa_reserve_vcc 1
		.amdhsa_float_round_mode_32 0
		.amdhsa_float_round_mode_16_64 0
		.amdhsa_float_denorm_mode_32 3
		.amdhsa_float_denorm_mode_16_64 3
		.amdhsa_dx10_clamp 1
		.amdhsa_ieee_mode 1
		.amdhsa_fp16_overflow 0
		.amdhsa_workgroup_processor_mode 1
		.amdhsa_memory_ordered 1
		.amdhsa_forward_progress 0
		.amdhsa_shared_vgpr_count 0
		.amdhsa_exception_fp_ieee_invalid_op 0
		.amdhsa_exception_fp_denorm_src 0
		.amdhsa_exception_fp_ieee_div_zero 0
		.amdhsa_exception_fp_ieee_overflow 0
		.amdhsa_exception_fp_ieee_underflow 0
		.amdhsa_exception_fp_ieee_inexact 0
		.amdhsa_exception_int_div_zero 0
	.end_amdhsa_kernel
	.section	.text._Z39paged_attention_ll4mi_QKV_mfma16_kernelI14__hip_bfloat16hLN4vllm18Fp8KVCacheDataTypeE1ES0_Li16ELi128ELi256ELb1ELi10EL8MFMAType1EEvPKT_PKT0_S9_ifPKiSB_SB_iPKfiiiPfSE_PS4_PT2_iSD_SD_,"axG",@progbits,_Z39paged_attention_ll4mi_QKV_mfma16_kernelI14__hip_bfloat16hLN4vllm18Fp8KVCacheDataTypeE1ES0_Li16ELi128ELi256ELb1ELi10EL8MFMAType1EEvPKT_PKT0_S9_ifPKiSB_SB_iPKfiiiPfSE_PS4_PT2_iSD_SD_,comdat
.Lfunc_end1555:
	.size	_Z39paged_attention_ll4mi_QKV_mfma16_kernelI14__hip_bfloat16hLN4vllm18Fp8KVCacheDataTypeE1ES0_Li16ELi128ELi256ELb1ELi10EL8MFMAType1EEvPKT_PKT0_S9_ifPKiSB_SB_iPKfiiiPfSE_PS4_PT2_iSD_SD_, .Lfunc_end1555-_Z39paged_attention_ll4mi_QKV_mfma16_kernelI14__hip_bfloat16hLN4vllm18Fp8KVCacheDataTypeE1ES0_Li16ELi128ELi256ELb1ELi10EL8MFMAType1EEvPKT_PKT0_S9_ifPKiSB_SB_iPKfiiiPfSE_PS4_PT2_iSD_SD_
                                        ; -- End function
	.section	.AMDGPU.csdata,"",@progbits
; Kernel info:
; codeLenInByte = 8908
; NumSgprs: 38
; NumVgprs: 140
; ScratchSize: 0
; MemoryBound: 0
; FloatMode: 240
; IeeeMode: 1
; LDSByteSize: 17472 bytes/workgroup (compile time only)
; SGPRBlocks: 4
; VGPRBlocks: 17
; NumSGPRsForWavesPerEU: 38
; NumVGPRsForWavesPerEU: 140
; Occupancy: 10
; WaveLimiterHint : 1
; COMPUTE_PGM_RSRC2:SCRATCH_EN: 0
; COMPUTE_PGM_RSRC2:USER_SGPR: 13
; COMPUTE_PGM_RSRC2:TRAP_HANDLER: 0
; COMPUTE_PGM_RSRC2:TGID_X_EN: 1
; COMPUTE_PGM_RSRC2:TGID_Y_EN: 1
; COMPUTE_PGM_RSRC2:TGID_Z_EN: 1
; COMPUTE_PGM_RSRC2:TIDIG_COMP_CNT: 0
	.section	.text._Z39paged_attention_ll4mi_QKV_mfma16_kernelI14__hip_bfloat16hLN4vllm18Fp8KVCacheDataTypeE1ES0_Li16ELi128ELi256ELb1ELi11EL8MFMAType1EEvPKT_PKT0_S9_ifPKiSB_SB_iPKfiiiPfSE_PS4_PT2_iSD_SD_,"axG",@progbits,_Z39paged_attention_ll4mi_QKV_mfma16_kernelI14__hip_bfloat16hLN4vllm18Fp8KVCacheDataTypeE1ES0_Li16ELi128ELi256ELb1ELi11EL8MFMAType1EEvPKT_PKT0_S9_ifPKiSB_SB_iPKfiiiPfSE_PS4_PT2_iSD_SD_,comdat
	.protected	_Z39paged_attention_ll4mi_QKV_mfma16_kernelI14__hip_bfloat16hLN4vllm18Fp8KVCacheDataTypeE1ES0_Li16ELi128ELi256ELb1ELi11EL8MFMAType1EEvPKT_PKT0_S9_ifPKiSB_SB_iPKfiiiPfSE_PS4_PT2_iSD_SD_ ; -- Begin function _Z39paged_attention_ll4mi_QKV_mfma16_kernelI14__hip_bfloat16hLN4vllm18Fp8KVCacheDataTypeE1ES0_Li16ELi128ELi256ELb1ELi11EL8MFMAType1EEvPKT_PKT0_S9_ifPKiSB_SB_iPKfiiiPfSE_PS4_PT2_iSD_SD_
	.globl	_Z39paged_attention_ll4mi_QKV_mfma16_kernelI14__hip_bfloat16hLN4vllm18Fp8KVCacheDataTypeE1ES0_Li16ELi128ELi256ELb1ELi11EL8MFMAType1EEvPKT_PKT0_S9_ifPKiSB_SB_iPKfiiiPfSE_PS4_PT2_iSD_SD_
	.p2align	8
	.type	_Z39paged_attention_ll4mi_QKV_mfma16_kernelI14__hip_bfloat16hLN4vllm18Fp8KVCacheDataTypeE1ES0_Li16ELi128ELi256ELb1ELi11EL8MFMAType1EEvPKT_PKT0_S9_ifPKiSB_SB_iPKfiiiPfSE_PS4_PT2_iSD_SD_,@function
_Z39paged_attention_ll4mi_QKV_mfma16_kernelI14__hip_bfloat16hLN4vllm18Fp8KVCacheDataTypeE1ES0_Li16ELi128ELi256ELb1ELi11EL8MFMAType1EEvPKT_PKT0_S9_ifPKiSB_SB_iPKfiiiPfSE_PS4_PT2_iSD_SD_: ; @_Z39paged_attention_ll4mi_QKV_mfma16_kernelI14__hip_bfloat16hLN4vllm18Fp8KVCacheDataTypeE1ES0_Li16ELi128ELi256ELb1ELi11EL8MFMAType1EEvPKT_PKT0_S9_ifPKiSB_SB_iPKfiiiPfSE_PS4_PT2_iSD_SD_
; %bb.0:
	s_load_b64 s[4:5], s[0:1], 0x30
	s_mov_b32 s30, s13
	s_waitcnt lgkmcnt(0)
	s_cmp_lg_u64 s[4:5], 0
	s_cselect_b32 s13, -1, 0
	s_ashr_i32 s31, s30, 31
	s_cmp_eq_u64 s[4:5], 0
	s_cbranch_scc1 .LBB1556_3
; %bb.1:
	s_lshl_b64 s[2:3], s[30:31], 2
	s_delay_alu instid0(SALU_CYCLE_1) | instskip(SKIP_4) | instid1(SALU_CYCLE_1)
	s_add_u32 s2, s4, s2
	s_addc_u32 s3, s5, s3
	s_load_b64 s[2:3], s[2:3], 0x0
	s_waitcnt lgkmcnt(0)
	s_sub_i32 s2, s3, s2
	s_cmp_eq_u32 s2, 1
	s_cselect_b32 s2, -1, 0
	s_delay_alu instid0(SALU_CYCLE_1)
	s_and_not1_b32 vcc_lo, exec_lo, s2
	s_cbranch_vccz .LBB1556_4
.LBB1556_2:
	s_nop 0
	s_sendmsg sendmsg(MSG_DEALLOC_VGPRS)
	s_endpgm
.LBB1556_3:
.LBB1556_4:
	s_load_b64 s[2:3], s[0:1], 0x28
	s_lshl_b64 s[6:7], s[30:31], 2
	s_waitcnt lgkmcnt(0)
	s_add_u32 s2, s2, s6
	s_addc_u32 s3, s3, s7
	s_lshl_b32 s12, s14, 8
	s_load_b32 s17, s[2:3], 0x0
	s_waitcnt lgkmcnt(0)
	s_cmp_ge_i32 s12, s17
	s_cbranch_scc1 .LBB1556_2
; %bb.5:
	s_clause 0x1
	s_load_b128 s[8:11], s[0:1], 0x8
	s_load_b64 s[2:3], s[0:1], 0x20
	s_and_not1_b32 vcc_lo, exec_lo, s13
	s_cbranch_vccnz .LBB1556_7
; %bb.6:
	s_add_u32 s4, s4, s6
	s_addc_u32 s5, s5, s7
	s_load_b32 s13, s[4:5], 0x0
	s_branch .LBB1556_8
.LBB1556_7:
	s_mov_b32 s13, s30
.LBB1556_8:
	s_load_b128 s[4:7], s[0:1], 0x48
	v_and_b32_e32 v65, 15, v0
	v_lshrrev_b32_e32 v66, 5, v0
	v_bfe_u32 v74, v0, 4, 1
	v_and_b32_e32 v67, 31, v0
	v_and_b32_e32 v75, 1, v0
	v_lshlrev_b32_e32 v2, 3, v65
	s_mul_i32 s31, s15, 11
	v_lshl_or_b32 v1, v66, 1, v74
	s_waitcnt lgkmcnt(0)
	s_mov_b32 s7, exec_lo
	v_lshlrev_b32_e32 v73, 1, v2
	s_delay_alu instid0(VALU_DEP_2)
	v_cmpx_gt_u32_e32 11, v1
	s_cbranch_execz .LBB1556_10
; %bb.9:
	s_load_b64 s[18:19], s[0:1], 0x0
	v_add_lshl_u32 v2, v1, s31, 7
	s_mul_hi_i32 s21, s13, s4
	s_mul_i32 s20, s13, s4
	v_lshlrev_b32_e32 v6, 10, v65
	s_lshl_b64 s[20:21], s[20:21], 1
	v_ashrrev_i32_e32 v3, 31, v2
	v_lshlrev_b32_e32 v1, 6, v1
	v_lshlrev_b32_e32 v7, 10, v75
	v_and_b32_e32 v6, 0x3800, v6
	s_delay_alu instid0(VALU_DEP_4) | instskip(NEXT) | instid1(VALU_DEP_2)
	v_lshlrev_b64 v[2:3], 1, v[2:3]
	v_or3_b32 v1, v6, v7, v1
	s_waitcnt lgkmcnt(0)
	s_add_u32 s4, s18, s20
	s_addc_u32 s13, s19, s21
	s_delay_alu instid0(VALU_DEP_2) | instskip(SKIP_1) | instid1(VALU_DEP_2)
	v_add_co_u32 v2, vcc_lo, s4, v2
	v_add_co_ci_u32_e32 v3, vcc_lo, s13, v3, vcc_lo
	v_add_co_u32 v2, vcc_lo, v2, v73
	s_delay_alu instid0(VALU_DEP_2)
	v_add_co_ci_u32_e32 v3, vcc_lo, 0, v3, vcc_lo
	global_load_b128 v[2:5], v[2:3], off
	s_waitcnt vmcnt(0)
	ds_store_b128 v1, v[2:5]
.LBB1556_10:
	s_or_b32 exec_lo, exec_lo, s7
	v_and_b32_e32 v1, 0xef, v0
	s_add_i32 s4, s17, 15
	s_clause 0x1
	s_load_b32 s7, s[0:1], 0x38
	s_load_b32 s18, s[0:1], 0x1c
	s_ashr_i32 s13, s4, 31
	v_add_nc_u32_e32 v1, s12, v1
	s_lshr_b32 s13, s13, 28
	s_waitcnt lgkmcnt(0)
	s_add_i32 s4, s4, s13
	s_barrier
	v_ashrrev_i32_e32 v2, 31, v1
	v_or_b32_e32 v3, 16, v1
	s_ashr_i32 s4, s4, 4
	v_cmp_gt_i32_e32 vcc_lo, s17, v1
	s_add_i32 s4, s4, -1
	v_lshrrev_b32_e32 v2, 28, v2
	buffer_gl0_inv
	s_mul_i32 s15, s15, s6
	v_add_nc_u32_e32 v4, v1, v2
	s_mul_i32 s20, s30, s7
	s_delay_alu instid0(SALU_CYCLE_1) | instskip(NEXT) | instid1(VALU_DEP_1)
	s_ashr_i32 s21, s20, 31
	v_ashrrev_i32_e32 v4, 4, v4
	v_add_nc_u32_e32 v2, v3, v2
	s_lshl_b64 s[20:21], s[20:21], 2
	s_delay_alu instid0(SALU_CYCLE_1) | instskip(NEXT) | instid1(VALU_DEP_2)
	s_add_u32 s13, s2, s20
	v_cndmask_b32_e32 v1, s4, v4, vcc_lo
	s_delay_alu instid0(VALU_DEP_2)
	v_ashrrev_i32_e32 v2, 4, v2
	v_cmp_gt_i32_e32 vcc_lo, s17, v3
	s_addc_u32 s16, s3, s21
	s_ashr_i32 s19, s15, 31
	s_add_u32 s26, s8, s15
	s_addc_u32 s27, s9, s19
	v_cndmask_b32_e32 v3, s4, v2, vcc_lo
	v_ashrrev_i32_e32 v2, 31, v1
	s_lshl_b32 s2, s14, 4
	s_delay_alu instid0(SALU_CYCLE_1) | instskip(NEXT) | instid1(VALU_DEP_2)
	s_ashr_i32 s3, s2, 31
	v_ashrrev_i32_e32 v4, 31, v3
	s_delay_alu instid0(VALU_DEP_2) | instskip(SKIP_1) | instid1(SALU_CYCLE_1)
	v_lshlrev_b64 v[1:2], 2, v[1:2]
	s_lshl_b64 s[2:3], s[2:3], 2
	s_add_u32 s2, s13, s2
	s_delay_alu instid0(VALU_DEP_2) | instskip(SKIP_1) | instid1(VALU_DEP_2)
	v_lshlrev_b64 v[3:4], 2, v[3:4]
	s_addc_u32 s3, s16, s3
	v_add_co_u32 v1, vcc_lo, s13, v1
	v_add_co_ci_u32_e32 v2, vcc_lo, s16, v2, vcc_lo
	s_delay_alu instid0(VALU_DEP_3) | instskip(NEXT) | instid1(VALU_DEP_4)
	v_add_co_u32 v3, vcc_lo, s13, v3
	v_add_co_ci_u32_e32 v4, vcc_lo, s16, v4, vcc_lo
	s_clause 0x1
	global_load_b32 v5, v[1:2], off
	global_load_b32 v3, v[3:4], off
	s_or_b32 s6, s12, 32
	v_cmp_gt_u32_e32 vcc_lo, 11, v65
	s_ashr_i32 s7, s6, 4
	s_cmp_lt_i32 s6, s17
	s_cselect_b32 s6, s7, s4
	s_delay_alu instid0(SALU_CYCLE_1) | instskip(NEXT) | instid1(SALU_CYCLE_1)
	s_ashr_i32 s7, s6, 31
	s_lshl_b64 s[6:7], s[6:7], 2
	s_delay_alu instid0(SALU_CYCLE_1) | instskip(SKIP_2) | instid1(SALU_CYCLE_1)
	s_add_u32 s6, s13, s6
	s_addc_u32 s7, s16, s7
	s_or_b32 s8, s12, 64
	s_ashr_i32 s9, s8, 4
	s_cmp_lt_i32 s8, s17
	s_cselect_b32 s8, s9, s4
	s_delay_alu instid0(SALU_CYCLE_1) | instskip(NEXT) | instid1(SALU_CYCLE_1)
	s_ashr_i32 s9, s8, 31
	s_lshl_b64 s[8:9], s[8:9], 2
	s_delay_alu instid0(SALU_CYCLE_1) | instskip(SKIP_2) | instid1(SALU_CYCLE_1)
	s_add_u32 s8, s13, s8
	s_addc_u32 s9, s16, s9
	s_or_b32 s20, s12, 0x60
	;; [unrolled: 10-line block ×4, first 2 shown]
	s_ashr_i32 s25, s24, 4
	s_cmp_lt_i32 s24, s17
	s_cselect_b32 s24, s25, s4
	s_delay_alu instid0(SALU_CYCLE_1) | instskip(NEXT) | instid1(SALU_CYCLE_1)
	s_ashr_i32 s25, s24, 31
	s_lshl_b64 s[24:25], s[24:25], 2
	s_delay_alu instid0(SALU_CYCLE_1)
	s_add_u32 s24, s13, s24
	s_addc_u32 s25, s16, s25
	s_clause 0x5
	s_load_b32 s28, s[2:3], 0x0
	s_load_b32 s29, s[6:7], 0x0
	;; [unrolled: 1-line block ×6, first 2 shown]
	s_mov_b32 s20, 0
	s_or_b32 s2, s12, 0xc0
	s_mov_b32 s21, s20
	s_mov_b32 s22, s20
	;; [unrolled: 1-line block ×5, first 2 shown]
	v_lshlrev_b32_e32 v1, 4, v0
	s_ashr_i32 s3, s2, 4
	s_cmp_lt_i32 s2, s17
	s_cselect_b32 s2, s3, s4
	s_delay_alu instid0(VALU_DEP_1) | instskip(SKIP_1) | instid1(SALU_CYCLE_1)
	v_and_b32_e32 v1, 0xf0, v1
	s_ashr_i32 s3, s2, 31
	s_lshl_b64 s[2:3], s[2:3], 2
	s_delay_alu instid0(VALU_DEP_1) | instskip(NEXT) | instid1(VALU_DEP_1)
	v_add_co_u32 v1, s26, s26, v1
	v_add_co_ci_u32_e64 v2, null, s27, 0, s26
	s_add_u32 s2, s13, s2
	s_addc_u32 s3, s16, s3
	s_or_b32 s6, s12, 0xe0
	s_mov_b32 s27, s20
	s_ashr_i32 s7, s6, 4
	s_cmp_lt_i32 s6, s17
	s_mov_b32 s26, s20
	v_dual_mov_b32 v107, s27 :: v_dual_mov_b32 v100, s20
	s_cselect_b32 s6, s7, s4
	v_mov_b32_e32 v106, s26
	s_ashr_i32 s7, s6, 31
	v_mov_b32_e32 v104, s24
	s_lshl_b64 s[6:7], s[6:7], 2
	v_dual_mov_b32 v103, s23 :: v_dual_mov_b32 v102, s22
	v_mov_b32_e32 v101, s21
	s_waitcnt vmcnt(1)
	v_mad_i64_i32 v[33:34], null, v5, s5, v[1:2]
	s_waitcnt vmcnt(0)
	v_mad_i64_i32 v[35:36], null, v3, s5, v[1:2]
	s_clause 0xf
	global_load_b128 v[1:4], v[33:34], off
	global_load_b128 v[5:8], v[33:34], off offset:256
	global_load_b128 v[9:12], v[35:36], off
	global_load_b128 v[13:16], v[35:36], off offset:256
	global_load_b128 v[17:20], v[33:34], off offset:512
	;; [unrolled: 1-line block ×13, first 2 shown]
	v_add_nc_u32_e32 v33, -11, v65
	v_lshlrev_b32_e32 v34, 4, v65
	s_delay_alu instid0(VALU_DEP_2) | instskip(SKIP_1) | instid1(VALU_DEP_3)
	v_cndmask_b32_e32 v33, v33, v65, vcc_lo
	v_mov_b32_e32 v105, s25
	v_lshl_or_b32 v41, v66, 8, v34
	s_delay_alu instid0(VALU_DEP_3)
	v_lshlrev_b32_e32 v72, 6, v33
	ds_load_b128 v[33:36], v72
	ds_load_b128 v[37:40], v72 offset:1024
	ds_load_b128 v[108:111], v72 offset:2048
	;; [unrolled: 1-line block ×3, first 2 shown]
	s_load_b32 s4, s[2:3], 0x0
	s_add_u32 s2, s13, s6
	s_addc_u32 s3, s16, s7
	ds_load_b128 v[116:119], v72 offset:4096
	ds_load_b128 v[120:123], v72 offset:5120
	s_load_b32 s2, s[2:3], 0x0
	s_add_u32 s6, s10, s15
	s_addc_u32 s7, s11, s19
	v_add_co_u32 v68, s6, s6, v41
	s_delay_alu instid0(VALU_DEP_1) | instskip(SKIP_1) | instid1(VALU_DEP_1)
	v_add_co_ci_u32_e64 v69, null, s7, 0, s6
	s_waitcnt lgkmcnt(0)
	v_mad_i64_i32 v[41:42], null, s28, s5, v[68:69]
	v_mad_i64_i32 v[70:71], null, s8, s5, v[68:69]
	;; [unrolled: 1-line block ×7, first 2 shown]
	s_clause 0x3
	global_load_b128 v[49:52], v[41:42], off
	global_load_b128 v[53:56], v[41:42], off offset:16
	global_load_b128 v[41:44], v[45:46], off
	global_load_b128 v[45:48], v[45:46], off offset:16
	s_waitcnt vmcnt(18)
	v_wmma_f32_16x16x16_bf16 v[124:131], v[1:8], v[33:40], v[100:107]
	s_waitcnt vmcnt(16)
	v_wmma_f32_16x16x16_bf16 v[100:107], v[9:16], v[33:40], v[100:107]
	s_clause 0x1
	global_load_b128 v[33:36], v[70:71], off
	global_load_b128 v[37:40], v[70:71], off offset:16
	v_mad_i64_i32 v[70:71], null, s2, s5, v[68:69]
	s_waitcnt vmcnt(16)
	v_wmma_f32_16x16x16_bf16 v[124:131], v[17:24], v[108:115], v[124:131]
	s_waitcnt vmcnt(14)
	v_wmma_f32_16x16x16_bf16 v[100:107], v[25:32], v[108:115], v[100:107]
	s_clause 0x7
	global_load_b128 v[25:28], v[132:133], off
	global_load_b128 v[29:32], v[132:133], off offset:16
	global_load_b128 v[1:4], v[134:135], off
	global_load_b128 v[5:8], v[134:135], off offset:16
	;; [unrolled: 2-line block ×4, first 2 shown]
	s_waitcnt vmcnt(20)
	v_wmma_f32_16x16x16_bf16 v[124:131], v[57:64], v[116:123], v[124:131]
	s_clause 0x1
	global_load_b128 v[57:60], v[70:71], off
	global_load_b128 v[61:64], v[70:71], off offset:16
	s_waitcnt vmcnt(20)
	v_wmma_f32_16x16x16_bf16 v[100:107], v[76:83], v[116:123], v[100:107]
	ds_load_b128 v[76:79], v72 offset:6144
	ds_load_b128 v[80:83], v72 offset:7168
	v_and_b32_e32 v68, 0xe0, v0
	v_mbcnt_lo_u32_b32 v69, -1, 0
	s_waitcnt vmcnt(0) lgkmcnt(0)
	s_barrier
	buffer_gl0_inv
	v_add_nc_u32_e32 v68, s12, v68
	v_xor_b32_e32 v70, 16, v69
	s_delay_alu instid0(VALU_DEP_2) | instskip(NEXT) | instid1(VALU_DEP_2)
	v_or_b32_e32 v68, v68, v74
	v_cmp_gt_i32_e32 vcc_lo, 32, v70
	s_delay_alu instid0(VALU_DEP_2)
	v_or_b32_e32 v71, 4, v68
	v_or_b32_e32 v72, 6, v68
	v_cmp_gt_i32_e64 s2, s17, v68
	v_or_b32_e32 v108, 8, v68
	v_wmma_f32_16x16x16_bf16 v[124:131], v[84:91], v[76:83], v[124:131]
	v_cndmask_b32_e32 v69, v69, v70, vcc_lo
	v_or_b32_e32 v70, 2, v68
	v_wmma_f32_16x16x16_bf16 v[100:107], v[92:99], v[76:83], v[100:107]
	v_or_b32_e32 v109, 10, v68
	v_dual_mul_f32 v82, s18, v127 :: v_dual_mul_f32 v79, s18, v130
	v_dual_mul_f32 v92, s18, v125 :: v_dual_mul_f32 v93, s18, v124
	s_delay_alu instid0(VALU_DEP_4)
	v_mul_f32_e32 v98, s18, v103
	v_cmp_gt_i32_e32 vcc_lo, s17, v70
	v_or_b32_e32 v89, 22, v68
	v_dual_mul_f32 v83, s18, v126 :: v_dual_mul_f32 v96, s18, v105
	v_cndmask_b32_e64 v93, 0xff7fffff, v93, s2
	v_cndmask_b32_e32 v92, 0xff7fffff, v92, vcc_lo
	v_cmp_gt_i32_e64 s3, s17, v71
	v_cmp_gt_i32_e64 s4, s17, v72
	v_or_b32_e32 v84, 12, v68
	v_or_b32_e32 v85, 14, v68
	v_dual_mul_f32 v80, s18, v129 :: v_dual_mul_f32 v81, s18, v128
	v_mul_f32_e32 v94, s18, v107
	v_cndmask_b32_e64 v71, 0xff7fffff, v83, s3
	v_cndmask_b32_e64 v72, 0xff7fffff, v82, s4
	v_cmp_gt_i32_e64 s5, s17, v108
	v_cmp_gt_i32_e64 s6, s17, v109
	v_cmp_gt_i32_e64 s12, s17, v89
	v_lshlrev_b32_e32 v89, 2, v69
	v_max3_f32 v82, v93, 0xff7fffff, v92
	v_or_b32_e32 v86, 16, v68
	v_or_b32_e32 v87, 18, v68
	v_mul_f32_e32 v78, s18, v131
	v_cndmask_b32_e64 v81, 0xff7fffff, v81, s5
	v_cndmask_b32_e64 v80, 0xff7fffff, v80, s6
	v_max3_f32 v71, v82, v71, v72
	v_cmp_gt_i32_e64 s7, s17, v84
	v_cmp_gt_i32_e64 s8, s17, v85
	v_or_b32_e32 v88, 20, v68
	v_or_b32_e32 v90, 24, v68
	;; [unrolled: 1-line block ×5, first 2 shown]
	v_dual_mul_f32 v95, s18, v106 :: v_dual_mul_f32 v70, s18, v101
	v_dual_mul_f32 v99, s18, v102 :: v_dual_mul_f32 v68, s18, v100
	v_cndmask_b32_e64 v72, 0xff7fffff, v79, s7
	v_cndmask_b32_e64 v78, 0xff7fffff, v78, s8
	v_max3_f32 v71, v71, v81, v80
	v_cmp_gt_i32_e64 s9, s17, v86
	v_cmp_gt_i32_e64 s10, s17, v87
	;; [unrolled: 1-line block ×3, first 2 shown]
	v_mul_f32_e32 v97, s18, v104
	v_max3_f32 v71, v71, v72, v78
	v_cndmask_b32_e64 v68, 0xff7fffff, v68, s9
	v_cndmask_b32_e64 v70, 0xff7fffff, v70, s10
	;; [unrolled: 1-line block ×4, first 2 shown]
	v_cmp_gt_i32_e64 s13, s17, v90
	v_cmp_gt_i32_e64 s15, s17, v91
	v_max3_f32 v68, v71, v68, v70
	v_cmp_gt_i32_e64 s16, s17, v76
	v_cmp_gt_i32_e64 s17, s17, v77
	v_cndmask_b32_e64 v70, 0xff7fffff, v97, s13
	v_cndmask_b32_e64 v71, 0xff7fffff, v96, s15
	v_max3_f32 v68, v68, v72, v78
	v_cndmask_b32_e64 v72, 0xff7fffff, v95, s16
	v_cndmask_b32_e64 v76, 0xff7fffff, v94, s17
	s_delay_alu instid0(VALU_DEP_3) | instskip(NEXT) | instid1(VALU_DEP_1)
	v_max3_f32 v68, v68, v70, v71
	v_max3_f32 v68, v68, v72, v76
	ds_bpermute_b32 v69, v89, v68
	s_waitcnt lgkmcnt(0)
	v_max_f32_e32 v69, v69, v69
	s_delay_alu instid0(VALU_DEP_1) | instskip(NEXT) | instid1(VALU_DEP_1)
	v_max_f32_e32 v68, v68, v69
	v_fma_f32 v69, s18, v124, -v68
	v_fma_f32 v70, s18, v125, -v68
	;; [unrolled: 1-line block ×5, first 2 shown]
	s_delay_alu instid0(VALU_DEP_4) | instskip(NEXT) | instid1(VALU_DEP_4)
	v_dual_mul_f32 v69, 0x3fb8aa3b, v69 :: v_dual_mul_f32 v70, 0x3fb8aa3b, v70
	v_mul_f32_e32 v72, 0x3fb8aa3b, v72
	v_fma_f32 v78, s18, v130, -v68
	s_delay_alu instid0(VALU_DEP_4) | instskip(NEXT) | instid1(VALU_DEP_4)
	v_mul_f32_e32 v77, 0x3fb8aa3b, v76
	v_exp_f32_e32 v69, v69
	v_exp_f32_e32 v70, v70
	v_mul_f32_e32 v71, 0x3fb8aa3b, v71
	v_exp_f32_e32 v72, v72
	v_mul_f32_e32 v78, 0x3fb8aa3b, v78
	v_exp_f32_e32 v77, v77
	v_fma_f32 v81, s18, v105, -v68
	s_delay_alu instid0(VALU_DEP_2)
	v_exp_f32_e32 v78, v78
	v_cndmask_b32_e64 v80, 0, v69, s2
	v_cndmask_b32_e32 v76, 0, v70, vcc_lo
	v_exp_f32_e32 v71, v71
	v_fma_f32 v69, s18, v129, -v68
	v_cndmask_b32_e64 v85, 0, v72, s4
	v_add_f32_e32 v70, 0, v80
	s_delay_alu instid0(TRANS32_DEP_3)
	v_cndmask_b32_e64 v86, 0, v77, s5
	v_fma_f32 v77, s18, v101, -v68
	v_mul_f32_e32 v69, 0x3fb8aa3b, v69
	v_fma_f32 v72, s18, v100, -v68
	v_cndmask_b32_e64 v84, 0, v78, s7
	v_fma_f32 v78, s18, v103, -v68
	v_cndmask_b32_e64 v83, 0, v71, s3
	v_fma_f32 v71, s18, v131, -v68
	v_add_f32_e32 v70, v70, v76
	v_exp_f32_e32 v69, v69
	v_mul_f32_e32 v77, 0x3fb8aa3b, v77
	v_mul_f32_e32 v81, 0x3fb8aa3b, v81
	;; [unrolled: 1-line block ×3, first 2 shown]
	v_add_f32_e32 v70, v70, v83
	v_cmp_gt_u32_e64 s2, 16, v67
	v_exp_f32_e32 v77, v77
	v_exp_f32_e32 v81, v81
	;; [unrolled: 1-line block ×3, first 2 shown]
	v_cndmask_b32_e64 v87, 0, v69, s6
	v_add_f32_e32 v70, v70, v85
	s_delay_alu instid0(VALU_DEP_1) | instskip(SKIP_1) | instid1(VALU_DEP_2)
	v_dual_mul_f32 v72, 0x3fb8aa3b, v72 :: v_dual_add_f32 v69, v70, v86
	v_fma_f32 v70, s18, v102, -v68
	v_exp_f32_e32 v72, v72
	s_waitcnt_depctr 0xfff
	v_cndmask_b32_e64 v88, 0, v71, s8
	v_fma_f32 v71, s18, v104, -v68
	v_dual_add_f32 v69, v69, v87 :: v_dual_mul_f32 v70, 0x3fb8aa3b, v70
	s_delay_alu instid0(VALU_DEP_2) | instskip(NEXT) | instid1(VALU_DEP_2)
	v_dual_mul_f32 v78, 0x3fb8aa3b, v78 :: v_dual_mul_f32 v71, 0x3fb8aa3b, v71
	v_add_f32_e32 v69, v69, v84
	s_delay_alu instid0(VALU_DEP_3) | instskip(SKIP_1) | instid1(VALU_DEP_3)
	v_exp_f32_e32 v79, v70
	v_cndmask_b32_e64 v70, 0, v72, s9
	v_exp_f32_e32 v78, v78
	v_exp_f32_e32 v82, v71
	v_add_f32_e32 v72, v69, v88
	v_cndmask_b32_e64 v69, 0, v77, s10
	v_fma_f32 v77, s18, v106, -v68
	s_delay_alu instid0(VALU_DEP_3) | instskip(NEXT) | instid1(TRANS32_DEP_3)
	v_add_f32_e32 v72, v72, v70
	v_cndmask_b32_e64 v71, 0, v79, s11
	s_delay_alu instid0(VALU_DEP_3) | instskip(NEXT) | instid1(VALU_DEP_3)
	v_mul_f32_e32 v77, 0x3fb8aa3b, v77
	v_add_f32_e32 v79, v72, v69
	s_delay_alu instid0(TRANS32_DEP_2) | instskip(NEXT) | instid1(VALU_DEP_3)
	v_cndmask_b32_e64 v72, 0, v78, s12
	v_exp_f32_e32 v90, v77
	v_cndmask_b32_e64 v77, 0, v82, s13
	s_delay_alu instid0(VALU_DEP_3) | instskip(SKIP_1) | instid1(VALU_DEP_1)
	v_add_f32_e32 v78, v79, v71
	v_fma_f32 v79, s18, v107, -v68
	v_dual_add_f32 v82, v78, v72 :: v_dual_mul_f32 v79, 0x3fb8aa3b, v79
	v_cndmask_b32_e64 v78, 0, v81, s15
	s_delay_alu instid0(VALU_DEP_2) | instskip(NEXT) | instid1(VALU_DEP_3)
	v_add_f32_e32 v81, v82, v77
	v_exp_f32_e32 v82, v79
	s_delay_alu instid0(TRANS32_DEP_2) | instskip(NEXT) | instid1(VALU_DEP_2)
	v_cndmask_b32_e64 v79, 0, v90, s16
	v_add_f32_e32 v81, v81, v78
	s_delay_alu instid0(VALU_DEP_1) | instskip(SKIP_2) | instid1(VALU_DEP_1)
	v_add_f32_e32 v90, v81, v79
	s_waitcnt_depctr 0xfff
	v_cndmask_b32_e64 v81, 0, v82, s17
	v_add_f32_e32 v82, v90, v81
	ds_bpermute_b32 v89, v89, v82
	s_and_saveexec_b32 s3, s2
	s_cbranch_execz .LBB1556_12
; %bb.11:
	v_mul_u32_u24_e32 v67, 0x44, v66
	s_delay_alu instid0(VALU_DEP_1) | instskip(SKIP_1) | instid1(VALU_DEP_1)
	v_lshl_add_u32 v67, v65, 2, v67
	s_waitcnt lgkmcnt(0)
	v_dual_add_f32 v82, v82, v89 :: v_dual_add_nc_u32 v67, 0x4000, v67
	ds_store_2addr_b32 v67, v68, v82 offset1:136
.LBB1556_12:
	s_or_b32 exec_lo, exec_lo, s3
	v_lshlrev_b32_e32 v67, 2, v65
	s_waitcnt lgkmcnt(0)
	s_barrier
	buffer_gl0_inv
	v_cmp_eq_u32_e32 vcc_lo, 1, v66
	v_add_nc_u32_e32 v82, 0x4000, v67
	v_cmp_eq_u32_e64 s3, 2, v66
	v_cmp_eq_u32_e64 s5, 7, v66
	ds_load_2addr_b32 v[89:90], v82 offset1:17
	ds_load_2addr_b32 v[91:92], v82 offset0:34 offset1:51
	ds_load_2addr_b32 v[93:94], v82 offset0:68 offset1:85
	;; [unrolled: 1-line block ×4, first 2 shown]
	s_waitcnt lgkmcnt(4)
	v_max3_f32 v67, v89, 0xff7fffff, v90
	s_waitcnt lgkmcnt(3)
	s_delay_alu instid0(VALU_DEP_1) | instskip(SKIP_1) | instid1(VALU_DEP_1)
	v_max3_f32 v67, v67, v91, v92
	s_waitcnt lgkmcnt(2)
	v_max3_f32 v67, v67, v93, v94
	s_waitcnt lgkmcnt(1)
	s_delay_alu instid0(VALU_DEP_1) | instskip(NEXT) | instid1(VALU_DEP_1)
	v_max3_f32 v67, v67, v95, v96
	v_sub_f32_e32 v93, v93, v67
	s_delay_alu instid0(VALU_DEP_1) | instskip(NEXT) | instid1(VALU_DEP_1)
	v_dual_sub_f32 v68, v89, v67 :: v_dual_mul_f32 v103, 0x3fb8aa3b, v93
	v_mul_f32_e32 v68, 0x3fb8aa3b, v68
	s_delay_alu instid0(VALU_DEP_1)
	v_exp_f32_e32 v100, v68
	v_sub_f32_e32 v68, v92, v67
	v_sub_f32_e32 v99, v90, v67
	ds_load_2addr_b32 v[89:90], v82 offset0:170 offset1:187
	v_dual_mul_f32 v102, 0x3fb8aa3b, v68 :: v_dual_mul_f32 v99, 0x3fb8aa3b, v99
	s_waitcnt lgkmcnt(1)
	v_fma_f32 v68, v100, v97, 0
	s_delay_alu instid0(VALU_DEP_2) | instskip(NEXT) | instid1(VALU_DEP_2)
	v_exp_f32_e32 v102, v102
	v_exp_f32_e32 v99, v99
	s_waitcnt_depctr 0xfff
	v_fmac_f32_e32 v68, v99, v98
	v_sub_f32_e32 v91, v91, v67
	s_delay_alu instid0(VALU_DEP_1)
	v_mul_f32_e32 v101, 0x3fb8aa3b, v91
	ds_load_2addr_b32 v[91:92], v82 offset0:204 offset1:221
	v_sub_f32_e32 v97, v94, v67
	ds_load_2addr_b32 v[93:94], v82 offset0:238 offset1:255
	s_waitcnt lgkmcnt(0)
	v_exp_f32_e32 v101, v101
	s_barrier
	buffer_gl0_inv
	v_dual_fmac_f32 v68, v101, v89 :: v_dual_sub_f32 v89, v96, v67
	v_dual_sub_f32 v82, v95, v67 :: v_dual_mul_f32 v95, 0x3fb8aa3b, v97
	v_exp_f32_e32 v97, v103
	s_delay_alu instid0(VALU_DEP_2) | instskip(NEXT) | instid1(VALU_DEP_2)
	v_dual_fmac_f32 v68, v102, v90 :: v_dual_mul_f32 v89, 0x3fb8aa3b, v89
	v_mul_f32_e32 v82, 0x3fb8aa3b, v82
	s_delay_alu instid0(VALU_DEP_3) | instskip(NEXT) | instid1(VALU_DEP_2)
	v_exp_f32_e32 v95, v95
	v_exp_f32_e32 v89, v89
	s_delay_alu instid0(VALU_DEP_1)
	v_exp_f32_e32 v82, v82
	v_fmac_f32_e32 v68, v97, v91
	s_delay_alu instid0(TRANS32_DEP_3) | instid1(VALU_DEP_1)
	v_fmac_f32_e32 v68, v95, v92
	s_waitcnt_depctr 0xfff
	v_fmac_f32_e32 v68, v82, v93
	s_delay_alu instid0(VALU_DEP_1) | instskip(NEXT) | instid1(VALU_DEP_1)
	v_fmac_f32_e32 v68, v89, v94
	v_add_f32_e32 v90, 0x358637bd, v68
	s_delay_alu instid0(VALU_DEP_1) | instskip(NEXT) | instid1(VALU_DEP_1)
	v_div_scale_f32 v91, null, v90, v90, 1.0
	v_rcp_f32_e32 v92, v91
	s_waitcnt_depctr 0xfff
	v_fma_f32 v93, -v91, v92, 1.0
	s_delay_alu instid0(VALU_DEP_1) | instskip(SKIP_1) | instid1(VALU_DEP_2)
	v_dual_fmac_f32 v92, v93, v92 :: v_dual_cndmask_b32 v93, v100, v99
	v_cmp_eq_u32_e32 vcc_lo, 3, v66
	v_cndmask_b32_e64 v93, v93, v101, s3
	v_cmp_eq_u32_e64 s3, 4, v66
	s_delay_alu instid0(VALU_DEP_2) | instskip(SKIP_1) | instid1(VALU_DEP_2)
	v_cndmask_b32_e32 v93, v93, v102, vcc_lo
	v_cmp_eq_u32_e32 vcc_lo, 5, v66
	v_cndmask_b32_e64 v93, v93, v97, s3
	v_cmp_eq_u32_e64 s3, 6, v66
	s_delay_alu instid0(VALU_DEP_2) | instskip(SKIP_1) | instid1(VALU_DEP_1)
	v_cndmask_b32_e32 v93, v93, v95, vcc_lo
	v_div_scale_f32 v94, s4, 1.0, v90, 1.0
	s_mov_b32 vcc_lo, s4
	s_delay_alu instid0(VALU_DEP_2) | instskip(NEXT) | instid1(VALU_DEP_2)
	v_cndmask_b32_e64 v82, v93, v82, s3
	v_mul_f32_e32 v96, v94, v92
	s_mov_b32 s3, exec_lo
	s_delay_alu instid0(VALU_DEP_2) | instskip(NEXT) | instid1(VALU_DEP_2)
	v_cndmask_b32_e64 v82, v82, v89, s5
	v_fma_f32 v98, -v91, v96, v94
	s_delay_alu instid0(VALU_DEP_1) | instskip(NEXT) | instid1(VALU_DEP_1)
	v_fmac_f32_e32 v96, v98, v92
	v_fma_f32 v91, -v91, v96, v94
	s_delay_alu instid0(VALU_DEP_1) | instskip(NEXT) | instid1(VALU_DEP_1)
	v_div_fmas_f32 v91, v91, v92, v96
	v_div_fixup_f32 v90, v91, v90, 1.0
	s_delay_alu instid0(VALU_DEP_1) | instskip(NEXT) | instid1(VALU_DEP_1)
	v_mul_f32_e32 v82, v82, v90
	v_mul_f32_e32 v87, v82, v87
	;; [unrolled: 1-line block ×7, first 2 shown]
	v_dual_mul_f32 v86, v82, v83 :: v_dual_and_b32 v91, 0x7f800000, v90
	v_mul_f32_e32 v85, v82, v76
                                        ; implicit-def: $vgpr76
	s_delay_alu instid0(VALU_DEP_2)
	v_cmpx_ne_u32_e32 0x7f800000, v91
	s_xor_b32 s3, exec_lo, s3
; %bb.13:
	v_bfe_u32 v76, v90, 16, 1
	s_delay_alu instid0(VALU_DEP_1)
	v_add3_u32 v76, v90, v76, 0x7fff
                                        ; implicit-def: $vgpr90
; %bb.14:
	s_and_not1_saveexec_b32 s3, s3
; %bb.15:
	v_and_b32_e32 v76, 0xffff, v90
	v_or_b32_e32 v83, 0x10000, v90
	s_delay_alu instid0(VALU_DEP_2) | instskip(NEXT) | instid1(VALU_DEP_2)
	v_cmp_eq_u32_e32 vcc_lo, 0, v76
	v_cndmask_b32_e32 v76, v83, v90, vcc_lo
; %bb.16:
	s_or_b32 exec_lo, exec_lo, s3
	v_and_b32_e32 v83, 0x7f800000, v85
	s_delay_alu instid0(VALU_DEP_1) | instskip(SKIP_1) | instid1(SALU_CYCLE_1)
	v_cmp_ne_u32_e32 vcc_lo, 0x7f800000, v83
                                        ; implicit-def: $vgpr83
	s_and_saveexec_b32 s3, vcc_lo
	s_xor_b32 s3, exec_lo, s3
; %bb.17:
	v_bfe_u32 v83, v85, 16, 1
	s_delay_alu instid0(VALU_DEP_1)
	v_add3_u32 v83, v85, v83, 0x7fff
                                        ; implicit-def: $vgpr85
; %bb.18:
	s_and_not1_saveexec_b32 s3, s3
; %bb.19:
	v_and_b32_e32 v83, 0xffff, v85
	v_or_b32_e32 v90, 0x10000, v85
	s_delay_alu instid0(VALU_DEP_2) | instskip(NEXT) | instid1(VALU_DEP_2)
	v_cmp_eq_u32_e32 vcc_lo, 0, v83
	v_cndmask_b32_e32 v83, v90, v85, vcc_lo
; %bb.20:
	s_or_b32 exec_lo, exec_lo, s3
	v_and_b32_e32 v85, 0x7f800000, v86
	s_delay_alu instid0(VALU_DEP_1) | instskip(SKIP_1) | instid1(SALU_CYCLE_1)
	v_cmp_ne_u32_e32 vcc_lo, 0x7f800000, v85
                                        ; implicit-def: $vgpr85
	s_and_saveexec_b32 s3, vcc_lo
	s_xor_b32 s3, exec_lo, s3
; %bb.21:
	v_bfe_u32 v85, v86, 16, 1
	s_delay_alu instid0(VALU_DEP_1)
	v_add3_u32 v85, v86, v85, 0x7fff
                                        ; implicit-def: $vgpr86
; %bb.22:
	s_and_not1_saveexec_b32 s3, s3
; %bb.23:
	v_and_b32_e32 v85, 0xffff, v86
	v_or_b32_e32 v90, 0x10000, v86
	s_delay_alu instid0(VALU_DEP_2) | instskip(NEXT) | instid1(VALU_DEP_2)
	v_cmp_eq_u32_e32 vcc_lo, 0, v85
	v_cndmask_b32_e32 v85, v90, v86, vcc_lo
; %bb.24:
	s_or_b32 exec_lo, exec_lo, s3
	v_and_b32_e32 v86, 0x7f800000, v89
	s_delay_alu instid0(VALU_DEP_1) | instskip(SKIP_1) | instid1(SALU_CYCLE_1)
	v_cmp_ne_u32_e32 vcc_lo, 0x7f800000, v86
                                        ; implicit-def: $vgpr86
	s_and_saveexec_b32 s3, vcc_lo
	s_xor_b32 s3, exec_lo, s3
; %bb.25:
	v_bfe_u32 v86, v89, 16, 1
	s_delay_alu instid0(VALU_DEP_1)
	v_add3_u32 v86, v89, v86, 0x7fff
                                        ; implicit-def: $vgpr89
; %bb.26:
	s_and_not1_saveexec_b32 s3, s3
; %bb.27:
	v_and_b32_e32 v86, 0xffff, v89
	v_or_b32_e32 v90, 0x10000, v89
	s_delay_alu instid0(VALU_DEP_2) | instskip(NEXT) | instid1(VALU_DEP_2)
	v_cmp_eq_u32_e32 vcc_lo, 0, v86
	v_cndmask_b32_e32 v86, v90, v89, vcc_lo
; %bb.28:
	s_or_b32 exec_lo, exec_lo, s3
	v_and_b32_e32 v89, 0x7f800000, v88
	s_delay_alu instid0(VALU_DEP_1) | instskip(SKIP_1) | instid1(SALU_CYCLE_1)
	v_cmp_ne_u32_e32 vcc_lo, 0x7f800000, v89
                                        ; implicit-def: $vgpr89
	s_and_saveexec_b32 s3, vcc_lo
	s_xor_b32 s3, exec_lo, s3
; %bb.29:
	v_bfe_u32 v89, v88, 16, 1
	s_delay_alu instid0(VALU_DEP_1)
	v_add3_u32 v89, v88, v89, 0x7fff
                                        ; implicit-def: $vgpr88
; %bb.30:
	s_and_not1_saveexec_b32 s3, s3
; %bb.31:
	v_and_b32_e32 v89, 0xffff, v88
	v_or_b32_e32 v90, 0x10000, v88
	s_delay_alu instid0(VALU_DEP_2) | instskip(NEXT) | instid1(VALU_DEP_2)
	v_cmp_eq_u32_e32 vcc_lo, 0, v89
	v_cndmask_b32_e32 v89, v90, v88, vcc_lo
; %bb.32:
	s_or_b32 exec_lo, exec_lo, s3
	v_and_b32_e32 v88, 0x7f800000, v87
	s_delay_alu instid0(VALU_DEP_1) | instskip(SKIP_1) | instid1(SALU_CYCLE_1)
	v_cmp_ne_u32_e32 vcc_lo, 0x7f800000, v88
                                        ; implicit-def: $vgpr88
	s_and_saveexec_b32 s3, vcc_lo
	s_xor_b32 s3, exec_lo, s3
; %bb.33:
	v_bfe_u32 v88, v87, 16, 1
	s_delay_alu instid0(VALU_DEP_1)
	v_add3_u32 v88, v87, v88, 0x7fff
                                        ; implicit-def: $vgpr87
; %bb.34:
	s_and_not1_saveexec_b32 s3, s3
; %bb.35:
	v_and_b32_e32 v88, 0xffff, v87
	v_or_b32_e32 v90, 0x10000, v87
	s_delay_alu instid0(VALU_DEP_2) | instskip(NEXT) | instid1(VALU_DEP_2)
	v_cmp_eq_u32_e32 vcc_lo, 0, v88
	v_cndmask_b32_e32 v88, v90, v87, vcc_lo
; %bb.36:
	s_or_b32 exec_lo, exec_lo, s3
	v_and_b32_e32 v87, 0x7f800000, v84
	s_delay_alu instid0(VALU_DEP_1) | instskip(SKIP_1) | instid1(SALU_CYCLE_1)
	v_cmp_ne_u32_e32 vcc_lo, 0x7f800000, v87
                                        ; implicit-def: $vgpr87
	s_and_saveexec_b32 s3, vcc_lo
	s_xor_b32 s3, exec_lo, s3
; %bb.37:
	v_bfe_u32 v87, v84, 16, 1
	s_delay_alu instid0(VALU_DEP_1)
	v_add3_u32 v87, v84, v87, 0x7fff
                                        ; implicit-def: $vgpr84
; %bb.38:
	s_and_not1_saveexec_b32 s3, s3
; %bb.39:
	v_and_b32_e32 v87, 0xffff, v84
	v_or_b32_e32 v90, 0x10000, v84
	s_delay_alu instid0(VALU_DEP_2) | instskip(NEXT) | instid1(VALU_DEP_2)
	v_cmp_eq_u32_e32 vcc_lo, 0, v87
	v_cndmask_b32_e32 v87, v90, v84, vcc_lo
; %bb.40:
	s_or_b32 exec_lo, exec_lo, s3
	v_and_b32_e32 v84, 0x7f800000, v80
	s_delay_alu instid0(VALU_DEP_1) | instskip(SKIP_1) | instid1(SALU_CYCLE_1)
	v_cmp_ne_u32_e32 vcc_lo, 0x7f800000, v84
                                        ; implicit-def: $vgpr84
	s_and_saveexec_b32 s3, vcc_lo
	s_xor_b32 s3, exec_lo, s3
; %bb.41:
	v_bfe_u32 v84, v80, 16, 1
	s_delay_alu instid0(VALU_DEP_1)
	v_add3_u32 v84, v80, v84, 0x7fff
                                        ; implicit-def: $vgpr80
; %bb.42:
	s_and_not1_saveexec_b32 s3, s3
; %bb.43:
	v_and_b32_e32 v84, 0xffff, v80
	v_or_b32_e32 v90, 0x10000, v80
	s_delay_alu instid0(VALU_DEP_2) | instskip(NEXT) | instid1(VALU_DEP_2)
	v_cmp_eq_u32_e32 vcc_lo, 0, v84
	v_cndmask_b32_e32 v84, v90, v80, vcc_lo
; %bb.44:
	s_or_b32 exec_lo, exec_lo, s3
	s_load_b64 s[34:35], s[0:1], 0x94
	v_lshlrev_b32_e32 v91, 4, v74
	s_delay_alu instid0(VALU_DEP_2)
	v_perm_b32 v90, v84, v87, 0x7060302
	v_dual_mul_f32 v79, v82, v79 :: v_dual_lshlrev_b32 v80, 6, v65
	v_dual_mul_f32 v77, v82, v77 :: v_dual_lshlrev_b32 v92, 11, v66
	v_mul_f32_e32 v84, v82, v70
	v_perm_b32 v89, v88, v89, 0x7060302
	v_perm_b32 v88, v86, v85, 0x7060302
	;; [unrolled: 1-line block ×3, first 2 shown]
	v_mul_f32_e32 v70, v82, v81
	v_or3_b32 v76, v91, v92, v80
	v_dual_mul_f32 v78, v82, v78 :: v_dual_and_b32 v85, 0x7f800000, v84
	v_mul_f32_e32 v83, v82, v72
	v_mul_f32_e32 v81, v82, v71
	v_mul_f32_e32 v72, v82, v69
	s_mov_b32 s3, exec_lo
	ds_store_b128 v76, v[87:90]
                                        ; implicit-def: $vgpr69
	v_cmpx_ne_u32_e32 0x7f800000, v85
	s_xor_b32 s3, exec_lo, s3
; %bb.45:
	v_bfe_u32 v69, v84, 16, 1
	s_delay_alu instid0(VALU_DEP_1)
	v_add3_u32 v69, v84, v69, 0x7fff
                                        ; implicit-def: $vgpr84
; %bb.46:
	s_and_not1_saveexec_b32 s3, s3
; %bb.47:
	v_and_b32_e32 v69, 0xffff, v84
	v_or_b32_e32 v71, 0x10000, v84
	s_delay_alu instid0(VALU_DEP_2) | instskip(NEXT) | instid1(VALU_DEP_2)
	v_cmp_eq_u32_e32 vcc_lo, 0, v69
	v_cndmask_b32_e32 v69, v71, v84, vcc_lo
; %bb.48:
	s_or_b32 exec_lo, exec_lo, s3
	v_and_b32_e32 v71, 0x7f800000, v72
	s_delay_alu instid0(VALU_DEP_1) | instskip(SKIP_1) | instid1(SALU_CYCLE_1)
	v_cmp_ne_u32_e32 vcc_lo, 0x7f800000, v71
                                        ; implicit-def: $vgpr71
	s_and_saveexec_b32 s3, vcc_lo
	s_xor_b32 s3, exec_lo, s3
; %bb.49:
	v_bfe_u32 v71, v72, 16, 1
	s_delay_alu instid0(VALU_DEP_1)
	v_add3_u32 v71, v72, v71, 0x7fff
                                        ; implicit-def: $vgpr72
; %bb.50:
	s_and_not1_saveexec_b32 s3, s3
; %bb.51:
	v_and_b32_e32 v71, 0xffff, v72
	v_or_b32_e32 v82, 0x10000, v72
	s_delay_alu instid0(VALU_DEP_2) | instskip(NEXT) | instid1(VALU_DEP_2)
	v_cmp_eq_u32_e32 vcc_lo, 0, v71
	v_cndmask_b32_e32 v71, v82, v72, vcc_lo
; %bb.52:
	s_or_b32 exec_lo, exec_lo, s3
	v_and_b32_e32 v72, 0x7f800000, v81
	s_delay_alu instid0(VALU_DEP_1) | instskip(SKIP_1) | instid1(SALU_CYCLE_1)
	v_cmp_ne_u32_e32 vcc_lo, 0x7f800000, v72
                                        ; implicit-def: $vgpr72
	s_and_saveexec_b32 s3, vcc_lo
	s_xor_b32 s3, exec_lo, s3
; %bb.53:
	v_bfe_u32 v72, v81, 16, 1
	s_delay_alu instid0(VALU_DEP_1)
	v_add3_u32 v72, v81, v72, 0x7fff
                                        ; implicit-def: $vgpr81
; %bb.54:
	s_and_not1_saveexec_b32 s3, s3
; %bb.55:
	v_and_b32_e32 v72, 0xffff, v81
	v_or_b32_e32 v82, 0x10000, v81
	s_delay_alu instid0(VALU_DEP_2) | instskip(NEXT) | instid1(VALU_DEP_2)
	v_cmp_eq_u32_e32 vcc_lo, 0, v72
	v_cndmask_b32_e32 v72, v82, v81, vcc_lo
; %bb.56:
	s_or_b32 exec_lo, exec_lo, s3
	v_and_b32_e32 v81, 0x7f800000, v83
	s_delay_alu instid0(VALU_DEP_1) | instskip(SKIP_1) | instid1(SALU_CYCLE_1)
	v_cmp_ne_u32_e32 vcc_lo, 0x7f800000, v81
                                        ; implicit-def: $vgpr81
	s_and_saveexec_b32 s3, vcc_lo
	s_xor_b32 s3, exec_lo, s3
; %bb.57:
	v_bfe_u32 v81, v83, 16, 1
	s_delay_alu instid0(VALU_DEP_1)
	v_add3_u32 v81, v83, v81, 0x7fff
                                        ; implicit-def: $vgpr83
; %bb.58:
	s_and_not1_saveexec_b32 s3, s3
; %bb.59:
	v_and_b32_e32 v81, 0xffff, v83
	v_or_b32_e32 v82, 0x10000, v83
	s_delay_alu instid0(VALU_DEP_2) | instskip(NEXT) | instid1(VALU_DEP_2)
	v_cmp_eq_u32_e32 vcc_lo, 0, v81
	v_cndmask_b32_e32 v81, v82, v83, vcc_lo
; %bb.60:
	s_or_b32 exec_lo, exec_lo, s3
	v_and_b32_e32 v82, 0x7f800000, v77
	s_delay_alu instid0(VALU_DEP_1) | instskip(SKIP_1) | instid1(SALU_CYCLE_1)
	v_cmp_ne_u32_e32 vcc_lo, 0x7f800000, v82
                                        ; implicit-def: $vgpr82
	s_and_saveexec_b32 s3, vcc_lo
	s_xor_b32 s3, exec_lo, s3
; %bb.61:
	v_bfe_u32 v82, v77, 16, 1
	s_delay_alu instid0(VALU_DEP_1)
	v_add3_u32 v82, v77, v82, 0x7fff
                                        ; implicit-def: $vgpr77
; %bb.62:
	s_and_not1_saveexec_b32 s3, s3
; %bb.63:
	v_and_b32_e32 v82, 0xffff, v77
	v_or_b32_e32 v83, 0x10000, v77
	s_delay_alu instid0(VALU_DEP_2) | instskip(NEXT) | instid1(VALU_DEP_2)
	v_cmp_eq_u32_e32 vcc_lo, 0, v82
	v_cndmask_b32_e32 v82, v83, v77, vcc_lo
; %bb.64:
	s_or_b32 exec_lo, exec_lo, s3
	v_and_b32_e32 v77, 0x7f800000, v78
	s_delay_alu instid0(VALU_DEP_1) | instskip(SKIP_1) | instid1(SALU_CYCLE_1)
	v_cmp_ne_u32_e32 vcc_lo, 0x7f800000, v77
                                        ; implicit-def: $vgpr77
	s_and_saveexec_b32 s3, vcc_lo
	s_xor_b32 s3, exec_lo, s3
; %bb.65:
	v_bfe_u32 v77, v78, 16, 1
	s_delay_alu instid0(VALU_DEP_1)
	v_add3_u32 v77, v78, v77, 0x7fff
                                        ; implicit-def: $vgpr78
; %bb.66:
	s_and_not1_saveexec_b32 s3, s3
; %bb.67:
	v_and_b32_e32 v77, 0xffff, v78
	v_or_b32_e32 v83, 0x10000, v78
	s_delay_alu instid0(VALU_DEP_2) | instskip(NEXT) | instid1(VALU_DEP_2)
	v_cmp_eq_u32_e32 vcc_lo, 0, v77
	v_cndmask_b32_e32 v77, v83, v78, vcc_lo
; %bb.68:
	s_or_b32 exec_lo, exec_lo, s3
	v_and_b32_e32 v78, 0x7f800000, v79
	s_delay_alu instid0(VALU_DEP_1) | instskip(SKIP_1) | instid1(SALU_CYCLE_1)
	v_cmp_ne_u32_e32 vcc_lo, 0x7f800000, v78
                                        ; implicit-def: $vgpr78
	s_and_saveexec_b32 s3, vcc_lo
	s_xor_b32 s3, exec_lo, s3
; %bb.69:
	v_bfe_u32 v78, v79, 16, 1
	s_delay_alu instid0(VALU_DEP_1)
	v_add3_u32 v78, v79, v78, 0x7fff
                                        ; implicit-def: $vgpr79
; %bb.70:
	s_and_not1_saveexec_b32 s3, s3
; %bb.71:
	v_and_b32_e32 v78, 0xffff, v79
	v_or_b32_e32 v83, 0x10000, v79
	s_delay_alu instid0(VALU_DEP_2) | instskip(NEXT) | instid1(VALU_DEP_2)
	v_cmp_eq_u32_e32 vcc_lo, 0, v78
	v_cndmask_b32_e32 v78, v83, v79, vcc_lo
; %bb.72:
	s_or_b32 exec_lo, exec_lo, s3
	v_and_b32_e32 v79, 0x7f800000, v70
	s_delay_alu instid0(VALU_DEP_1) | instskip(SKIP_1) | instid1(SALU_CYCLE_1)
	v_cmp_ne_u32_e32 vcc_lo, 0x7f800000, v79
                                        ; implicit-def: $vgpr79
	s_and_saveexec_b32 s3, vcc_lo
	s_xor_b32 s3, exec_lo, s3
; %bb.73:
	v_bfe_u32 v79, v70, 16, 1
	s_delay_alu instid0(VALU_DEP_1)
	v_add3_u32 v79, v70, v79, 0x7fff
                                        ; implicit-def: $vgpr70
; %bb.74:
	s_and_not1_saveexec_b32 s3, s3
; %bb.75:
	v_and_b32_e32 v79, 0xffff, v70
	v_or_b32_e32 v83, 0x10000, v70
	s_delay_alu instid0(VALU_DEP_2) | instskip(NEXT) | instid1(VALU_DEP_2)
	v_cmp_eq_u32_e32 vcc_lo, 0, v79
	v_cndmask_b32_e32 v79, v83, v70, vcc_lo
; %bb.76:
	s_or_b32 exec_lo, exec_lo, s3
	s_delay_alu instid0(VALU_DEP_1)
	v_perm_b32 v86, v79, v78, 0x7060302
	v_perm_b32 v85, v77, v82, 0x7060302
	;; [unrolled: 1-line block ×4, first 2 shown]
	v_lshl_or_b32 v82, v66, 11, v80
	ds_store_b128 v76, v[83:86] offset:1024
	s_waitcnt lgkmcnt(0)
	s_barrier
	buffer_gl0_inv
	ds_load_b128 v[69:72], v82
	ds_load_b128 v[83:86], v82 offset:16
	s_waitcnt lgkmcnt(1)
	v_lshrrev_b32_e32 v66, 16, v69
	s_waitcnt lgkmcnt(0)
	v_lshrrev_b32_e32 v91, 16, v83
	v_lshlrev_b32_e32 v78, 2, v74
	v_lshrrev_b32_e32 v95, 16, v70
	v_lshrrev_b32_e32 v98, 16, v84
	;; [unrolled: 1-line block ×4, first 2 shown]
	v_cmp_eq_u32_e32 vcc_lo, 1, v78
	v_lshrrev_b32_e32 v97, 16, v72
	v_lshrrev_b32_e32 v100, 16, v86
	v_cndmask_b32_e32 v87, v83, v91, vcc_lo
	v_or_b32_e32 v79, 1, v78
	v_cndmask_b32_e32 v81, v69, v66, vcc_lo
	v_cmp_eq_u32_e64 s4, 2, v78
	v_cmp_eq_u32_e64 s7, 3, v78
	;; [unrolled: 1-line block ×5, first 2 shown]
	v_cndmask_b32_e64 v81, v81, v70, s4
	v_cndmask_b32_e64 v87, v87, v84, s4
	v_cmp_eq_u32_e64 s8, 3, v79
	v_cndmask_b32_e64 v88, v69, v66, s3
	v_or_b32_e32 v77, 2, v78
	v_cndmask_b32_e64 v81, v81, v95, s7
	v_cndmask_b32_e64 v87, v87, v98, s7
	;; [unrolled: 1-line block ×4, first 2 shown]
	v_cmp_eq_u32_e64 s10, 5, v78
	v_cndmask_b32_e64 v81, v81, v71, s9
	v_cndmask_b32_e64 v87, v87, v85, s9
	v_cmp_eq_u32_e64 s11, 4, v79
	v_cndmask_b32_e64 v88, v88, v95, s8
	v_cmp_eq_u32_e64 s5, 1, v77
	v_cndmask_b32_e64 v89, v89, v84, s6
	v_cndmask_b32_e64 v81, v81, v96, s10
	v_cmp_eq_u32_e64 s12, 6, v78
	v_cndmask_b32_e64 v88, v88, v71, s11
	;; [unrolled: 3-line block ×3, first 2 shown]
	v_cndmask_b32_e64 v89, v89, v98, s8
	v_cndmask_b32_e64 v81, v81, v72, s12
	v_cmp_eq_u32_e64 s15, 7, v78
	v_cndmask_b32_e64 v88, v88, v96, s13
	v_cndmask_b32_e64 v87, v87, v86, s12
	v_cmp_eq_u32_e64 s16, 6, v79
	v_cmp_eq_u32_e64 s17, 2, v77
	v_cndmask_b32_e64 v89, v89, v85, s11
	v_cndmask_b32_e64 v101, v81, v97, s15
	;; [unrolled: 1-line block ×6, first 2 shown]
	v_cmp_eq_u32_e64 s18, 7, v79
	v_cmp_eq_u32_e64 s19, 3, v77
	v_cmp_eq_u32_e64 s20, 4, v77
	v_cmp_eq_u32_e64 s22, 5, v77
	v_cndmask_b32_e64 v87, v87, v84, s17
	v_cndmask_b32_e64 v103, v88, v97, s18
	;; [unrolled: 1-line block ×4, first 2 shown]
	v_or_b32_e32 v81, 3, v78
	v_cndmask_b32_e64 v93, v87, v98, s19
	v_cmp_eq_u32_e64 s24, 6, v77
	v_cndmask_b32_e64 v104, v88, v86, s16
	v_cndmask_b32_e64 v92, v89, v71, s20
	v_cmp_eq_u32_e64 s21, 1, v81
	ds_load_b128 v[87:90], v82 offset:1024
	v_cmp_eq_u32_e64 s23, 2, v81
	v_cmp_eq_u32_e64 s25, 3, v81
	v_cndmask_b32_e64 v105, v92, v96, s22
	v_cndmask_b32_e64 v66, v69, v66, s21
	;; [unrolled: 1-line block ×4, first 2 shown]
	ds_load_b128 v[91:94], v82 offset:1040
	v_cmp_eq_u32_e64 s26, 4, v81
	v_cndmask_b32_e64 v66, v66, v70, s23
	v_cmp_eq_u32_e64 s27, 7, v77
	v_cndmask_b32_e64 v70, v83, v84, s23
	v_cndmask_b32_e64 v84, v105, v72, s24
	v_cmp_eq_u32_e64 s28, 5, v81
	v_cndmask_b32_e64 v66, v66, v95, s25
	v_cmp_eq_u32_e64 s29, 6, v81
	v_cndmask_b32_e64 v70, v70, v98, s25
	v_cndmask_b32_e64 v69, v69, v99, s22
	v_cndmask_b32_e64 v83, v104, v100, s18
	v_cndmask_b32_e64 v66, v66, v71, s26
	s_waitcnt lgkmcnt(1)
	v_lshrrev_b32_e32 v95, 16, v87
	v_cndmask_b32_e64 v70, v70, v85, s26
	v_cndmask_b32_e64 v71, v84, v97, s27
	;; [unrolled: 1-line block ×4, first 2 shown]
	v_cndmask_b32_e32 v84, v87, v95, vcc_lo
	v_cndmask_b32_e64 v70, v70, v99, s28
	s_waitcnt lgkmcnt(0)
	v_lshrrev_b32_e32 v85, 16, v91
	v_lshrrev_b32_e32 v96, 16, v88
	v_cndmask_b32_e64 v98, v87, v95, s3
	v_cndmask_b32_e64 v84, v84, v88, s4
	;; [unrolled: 1-line block ×3, first 2 shown]
	v_cndmask_b32_e32 v99, v91, v85, vcc_lo
	v_cmp_eq_u32_e32 vcc_lo, 7, v81
	v_cndmask_b32_e64 v66, v66, v72, s29
	v_cndmask_b32_e64 v72, v84, v96, s7
	;; [unrolled: 1-line block ×3, first 2 shown]
	v_lshrrev_b32_e32 v98, 16, v92
	v_cndmask_b32_e32 v70, v70, v100, vcc_lo
	v_cndmask_b32_e64 v86, v99, v92, s4
	v_cndmask_b32_e64 v69, v69, v100, s27
	v_lshrrev_b32_e32 v100, 16, v93
	v_cndmask_b32_e64 v72, v72, v89, s9
	v_lshrrev_b32_e32 v99, 16, v89
	v_cndmask_b32_e64 v86, v86, v98, s7
	v_perm_b32 v71, v69, v71, 0x5040100
	v_cndmask_b32_e64 v84, v84, v96, s8
	s_delay_alu instid0(VALU_DEP_3) | instskip(NEXT) | instid1(VALU_DEP_2)
	v_cndmask_b32_e64 v86, v86, v93, s9
	v_cndmask_b32_e64 v84, v84, v89, s11
	s_delay_alu instid0(VALU_DEP_2) | instskip(NEXT) | instid1(VALU_DEP_1)
	v_cndmask_b32_e64 v86, v86, v100, s10
	v_cndmask_b32_e64 v69, v86, v94, s12
	;; [unrolled: 1-line block ×5, first 2 shown]
	s_delay_alu instid0(VALU_DEP_3) | instskip(NEXT) | instid1(VALU_DEP_3)
	v_cndmask_b32_e64 v86, v86, v88, s17
	v_cndmask_b32_e64 v87, v87, v88, s23
	s_delay_alu instid0(VALU_DEP_3) | instskip(NEXT) | instid1(VALU_DEP_3)
	v_cndmask_b32_e64 v88, v95, v92, s23
	v_cndmask_b32_e64 v86, v86, v96, s19
	;; [unrolled: 3-line block ×7, first 2 shown]
	s_delay_alu instid0(VALU_DEP_3) | instskip(SKIP_2) | instid1(VALU_DEP_2)
	v_cndmask_b32_e64 v88, v88, v94, s29
	v_cndmask_b32_e32 v66, v66, v97, vcc_lo
	v_cndmask_b32_e64 v97, v72, v99, s10
	v_perm_b32 v72, v70, v66, 0x5040100
	v_perm_b32 v70, v83, v103, 0x5040100
	v_cndmask_b32_e64 v103, v91, v85, s5
	v_cndmask_b32_e64 v85, v91, v85, s3
	v_cndmask_b32_e64 v66, v84, v99, s13
	v_cndmask_b32_e64 v84, v97, v90, s12
	v_lshrrev_b32_e32 v97, 16, v90
	v_cndmask_b32_e64 v91, v103, v92, s17
	v_cndmask_b32_e64 v85, v85, v92, s6
	;; [unrolled: 1-line block ×3, first 2 shown]
	s_mov_b32 s3, exec_lo
	v_cndmask_b32_e64 v83, v84, v97, s15
	v_cndmask_b32_e64 v91, v91, v98, s19
	;; [unrolled: 1-line block ×3, first 2 shown]
	v_lshrrev_b32_e32 v84, 16, v94
	v_cndmask_b32_e64 v66, v66, v97, s18
	v_cndmask_b32_e64 v90, v86, v97, s27
	v_cndmask_b32_e64 v89, v91, v93, s20
	v_cndmask_b32_e64 v85, v85, v93, s11
	v_dual_cndmask_b32 v86, v87, v97 :: v_dual_cndmask_b32 v87, v88, v84
	v_cndmask_b32_e64 v91, v69, v84, s15
	s_delay_alu instid0(VALU_DEP_4) | instskip(NEXT) | instid1(VALU_DEP_4)
	v_cndmask_b32_e64 v89, v89, v100, s22
	v_cndmask_b32_e64 v85, v85, v100, s13
	v_perm_b32 v69, v102, v101, 0x5040100
	v_perm_b32 v86, v87, v86, 0x5040100
	;; [unrolled: 1-line block ×3, first 2 shown]
	v_cndmask_b32_e64 v89, v89, v94, s24
	v_cndmask_b32_e64 v85, v85, v94, s16
	s_mul_i32 s8, s35, 11
	s_delay_alu instid0(VALU_DEP_2) | instskip(NEXT) | instid1(VALU_DEP_2)
	v_cndmask_b32_e64 v88, v89, v84, s27
	v_cndmask_b32_e64 v89, v85, v84, s18
	s_delay_alu instid0(VALU_DEP_2) | instskip(NEXT) | instid1(VALU_DEP_2)
	v_perm_b32 v85, v88, v90, 0x5040100
	v_perm_b32 v84, v89, v66, 0x5040100
	ds_store_b128 v76, v[69:72]
	ds_store_b128 v76, v[83:86] offset:1024
	v_cmpx_gt_u32_e32 11, v0
	s_cbranch_execz .LBB1556_78
; %bb.77:
	s_mul_i32 s4, s8, s30
	s_delay_alu instid0(SALU_CYCLE_1) | instskip(SKIP_1) | instid1(VALU_DEP_1)
	v_add3_u32 v69, s4, s31, v65
	s_load_b128 s[4:7], s[0:1], 0x58
	v_mad_u64_u32 v[65:66], null, v69, s34, s[14:15]
	s_delay_alu instid0(VALU_DEP_1) | instskip(NEXT) | instid1(VALU_DEP_1)
	v_ashrrev_i32_e32 v66, 31, v65
	v_lshlrev_b64 v[65:66], 2, v[65:66]
	s_waitcnt lgkmcnt(0)
	s_delay_alu instid0(VALU_DEP_1) | instskip(NEXT) | instid1(VALU_DEP_2)
	v_add_co_u32 v69, vcc_lo, s6, v65
	v_add_co_ci_u32_e32 v70, vcc_lo, s7, v66, vcc_lo
	v_add_co_u32 v65, vcc_lo, s4, v65
	v_add_co_ci_u32_e32 v66, vcc_lo, s5, v66, vcc_lo
	global_store_b32 v[69:70], v67, off
	global_store_b32 v[65:66], v68, off
.LBB1556_78:
	s_or_b32 exec_lo, exec_lo, s3
	s_waitcnt lgkmcnt(0)
	s_waitcnt_vscnt null, 0x0
	s_barrier
	buffer_gl0_inv
	ds_load_b128 v[83:86], v80
	ds_load_b128 v[87:90], v80 offset:16
	ds_load_b128 v[95:98], v80 offset:2064
	;; [unrolled: 1-line block ×3, first 2 shown]
	v_mov_b32_e32 v65, 0
	ds_load_b128 v[103:106], v80 offset:4112
	ds_load_b128 v[99:102], v80 offset:4096
	;; [unrolled: 1-line block ×4, first 2 shown]
	v_mov_b32_e32 v66, v65
	v_mov_b32_e32 v67, v65
	;; [unrolled: 1-line block ×7, first 2 shown]
	s_waitcnt lgkmcnt(6)
	s_delay_alu instid0(VALU_DEP_1)
	v_wmma_f32_16x16x16_bf16 v[65:72], v[49:56], v[83:90], v[65:72]
	ds_load_b128 v[53:56], v80 offset:8208
	ds_load_b128 v[49:52], v80 offset:8192
	s_waitcnt lgkmcnt(6)
	v_wmma_f32_16x16x16_bf16 v[65:72], v[41:48], v[91:98], v[65:72]
	ds_load_b128 v[45:48], v80 offset:10256
	ds_load_b128 v[41:44], v80 offset:10240
	s_waitcnt lgkmcnt(6)
	;; [unrolled: 4-line block ×4, first 2 shown]
	v_wmma_f32_16x16x16_bf16 v[65:72], v[1:8], v[49:56], v[65:72]
	s_waitcnt lgkmcnt(4)
	s_delay_alu instid0(VALU_DEP_1) | instskip(SKIP_1) | instid1(VALU_DEP_1)
	v_wmma_f32_16x16x16_bf16 v[65:72], v[9:16], v[41:48], v[65:72]
	s_waitcnt lgkmcnt(2)
	v_wmma_f32_16x16x16_bf16 v[65:72], v[17:24], v[33:40], v[65:72]
	s_waitcnt lgkmcnt(0)
	s_delay_alu instid0(VALU_DEP_1) | instskip(NEXT) | instid1(VALU_DEP_1)
	v_wmma_f32_16x16x16_bf16 v[65:72], v[57:64], v[25:32], v[65:72]
	v_and_b32_e32 v1, 0x7f800000, v65
	s_delay_alu instid0(VALU_DEP_1) | instskip(SKIP_1) | instid1(SALU_CYCLE_1)
	v_cmp_ne_u32_e32 vcc_lo, 0x7f800000, v1
                                        ; implicit-def: $vgpr1
	s_and_saveexec_b32 s3, vcc_lo
	s_xor_b32 s3, exec_lo, s3
; %bb.79:
	v_bfe_u32 v1, v65, 16, 1
	s_delay_alu instid0(VALU_DEP_1)
	v_add3_u32 v1, v65, v1, 0x7fff
; %bb.80:
	s_and_not1_saveexec_b32 s3, s3
; %bb.81:
	v_and_b32_e32 v1, 0xffff, v65
	v_or_b32_e32 v2, 0x10000, v65
	s_delay_alu instid0(VALU_DEP_2) | instskip(NEXT) | instid1(VALU_DEP_2)
	v_cmp_eq_u32_e32 vcc_lo, 0, v1
	v_cndmask_b32_e32 v1, v2, v65, vcc_lo
; %bb.82:
	s_or_b32 exec_lo, exec_lo, s3
	v_and_b32_e32 v2, 0x7f800000, v66
	s_delay_alu instid0(VALU_DEP_1) | instskip(SKIP_1) | instid1(SALU_CYCLE_1)
	v_cmp_ne_u32_e32 vcc_lo, 0x7f800000, v2
                                        ; implicit-def: $vgpr2
	s_and_saveexec_b32 s3, vcc_lo
	s_xor_b32 s3, exec_lo, s3
; %bb.83:
	v_bfe_u32 v2, v66, 16, 1
	s_delay_alu instid0(VALU_DEP_1)
	v_add3_u32 v2, v66, v2, 0x7fff
; %bb.84:
	s_and_not1_saveexec_b32 s3, s3
; %bb.85:
	v_and_b32_e32 v2, 0xffff, v66
	v_or_b32_e32 v3, 0x10000, v66
	s_delay_alu instid0(VALU_DEP_2) | instskip(NEXT) | instid1(VALU_DEP_2)
	v_cmp_eq_u32_e32 vcc_lo, 0, v2
	v_cndmask_b32_e32 v2, v3, v66, vcc_lo
; %bb.86:
	s_or_b32 exec_lo, exec_lo, s3
	v_and_b32_e32 v3, 0x7f800000, v67
	s_delay_alu instid0(VALU_DEP_1) | instskip(SKIP_1) | instid1(SALU_CYCLE_1)
	v_cmp_ne_u32_e32 vcc_lo, 0x7f800000, v3
                                        ; implicit-def: $vgpr3
	s_and_saveexec_b32 s3, vcc_lo
	s_xor_b32 s3, exec_lo, s3
; %bb.87:
	v_bfe_u32 v3, v67, 16, 1
	s_delay_alu instid0(VALU_DEP_1)
	v_add3_u32 v3, v67, v3, 0x7fff
; %bb.88:
	s_and_not1_saveexec_b32 s3, s3
; %bb.89:
	v_and_b32_e32 v3, 0xffff, v67
	v_or_b32_e32 v4, 0x10000, v67
	s_delay_alu instid0(VALU_DEP_2) | instskip(NEXT) | instid1(VALU_DEP_2)
	v_cmp_eq_u32_e32 vcc_lo, 0, v3
	v_cndmask_b32_e32 v3, v4, v67, vcc_lo
; %bb.90:
	s_or_b32 exec_lo, exec_lo, s3
	v_and_b32_e32 v4, 0x7f800000, v68
	s_delay_alu instid0(VALU_DEP_1) | instskip(SKIP_1) | instid1(SALU_CYCLE_1)
	v_cmp_ne_u32_e32 vcc_lo, 0x7f800000, v4
                                        ; implicit-def: $vgpr4
	s_and_saveexec_b32 s3, vcc_lo
	s_xor_b32 s3, exec_lo, s3
; %bb.91:
	v_bfe_u32 v4, v68, 16, 1
	s_delay_alu instid0(VALU_DEP_1)
	v_add3_u32 v4, v68, v4, 0x7fff
; %bb.92:
	s_and_not1_saveexec_b32 s3, s3
; %bb.93:
	v_and_b32_e32 v4, 0xffff, v68
	v_or_b32_e32 v5, 0x10000, v68
	s_delay_alu instid0(VALU_DEP_2) | instskip(NEXT) | instid1(VALU_DEP_2)
	v_cmp_eq_u32_e32 vcc_lo, 0, v4
	v_cndmask_b32_e32 v4, v5, v68, vcc_lo
; %bb.94:
	s_or_b32 exec_lo, exec_lo, s3
	v_and_b32_e32 v5, 0x7f800000, v69
	s_delay_alu instid0(VALU_DEP_1) | instskip(SKIP_1) | instid1(SALU_CYCLE_1)
	v_cmp_ne_u32_e32 vcc_lo, 0x7f800000, v5
                                        ; implicit-def: $vgpr5
	s_and_saveexec_b32 s3, vcc_lo
	s_xor_b32 s3, exec_lo, s3
; %bb.95:
	v_bfe_u32 v5, v69, 16, 1
	s_delay_alu instid0(VALU_DEP_1)
	v_add3_u32 v5, v69, v5, 0x7fff
; %bb.96:
	s_and_not1_saveexec_b32 s3, s3
; %bb.97:
	v_and_b32_e32 v5, 0xffff, v69
	v_or_b32_e32 v6, 0x10000, v69
	s_delay_alu instid0(VALU_DEP_2) | instskip(NEXT) | instid1(VALU_DEP_2)
	v_cmp_eq_u32_e32 vcc_lo, 0, v5
	v_cndmask_b32_e32 v5, v6, v69, vcc_lo
; %bb.98:
	s_or_b32 exec_lo, exec_lo, s3
	v_and_b32_e32 v6, 0x7f800000, v70
	s_delay_alu instid0(VALU_DEP_1) | instskip(SKIP_1) | instid1(SALU_CYCLE_1)
	v_cmp_ne_u32_e32 vcc_lo, 0x7f800000, v6
                                        ; implicit-def: $vgpr6
	s_and_saveexec_b32 s3, vcc_lo
	s_xor_b32 s3, exec_lo, s3
; %bb.99:
	v_bfe_u32 v6, v70, 16, 1
	s_delay_alu instid0(VALU_DEP_1)
	v_add3_u32 v6, v70, v6, 0x7fff
; %bb.100:
	s_and_not1_saveexec_b32 s3, s3
; %bb.101:
	v_and_b32_e32 v6, 0xffff, v70
	v_or_b32_e32 v7, 0x10000, v70
	s_delay_alu instid0(VALU_DEP_2) | instskip(NEXT) | instid1(VALU_DEP_2)
	v_cmp_eq_u32_e32 vcc_lo, 0, v6
	v_cndmask_b32_e32 v6, v7, v70, vcc_lo
; %bb.102:
	s_or_b32 exec_lo, exec_lo, s3
	v_and_b32_e32 v7, 0x7f800000, v71
	s_delay_alu instid0(VALU_DEP_1) | instskip(SKIP_1) | instid1(SALU_CYCLE_1)
	v_cmp_ne_u32_e32 vcc_lo, 0x7f800000, v7
                                        ; implicit-def: $vgpr7
	s_and_saveexec_b32 s3, vcc_lo
	s_xor_b32 s3, exec_lo, s3
; %bb.103:
	v_bfe_u32 v7, v71, 16, 1
	s_delay_alu instid0(VALU_DEP_1)
	v_add3_u32 v7, v71, v7, 0x7fff
; %bb.104:
	s_and_not1_saveexec_b32 s3, s3
; %bb.105:
	v_and_b32_e32 v7, 0xffff, v71
	v_or_b32_e32 v8, 0x10000, v71
	s_delay_alu instid0(VALU_DEP_2) | instskip(NEXT) | instid1(VALU_DEP_2)
	v_cmp_eq_u32_e32 vcc_lo, 0, v7
	v_cndmask_b32_e32 v7, v8, v71, vcc_lo
; %bb.106:
	s_or_b32 exec_lo, exec_lo, s3
	v_and_b32_e32 v8, 0x7f800000, v72
	s_delay_alu instid0(VALU_DEP_1) | instskip(SKIP_1) | instid1(SALU_CYCLE_1)
	v_cmp_ne_u32_e32 vcc_lo, 0x7f800000, v8
                                        ; implicit-def: $vgpr8
	s_and_saveexec_b32 s3, vcc_lo
	s_xor_b32 s3, exec_lo, s3
; %bb.107:
	v_bfe_u32 v8, v72, 16, 1
	s_delay_alu instid0(VALU_DEP_1)
	v_add3_u32 v8, v72, v8, 0x7fff
                                        ; implicit-def: $vgpr65_vgpr66_vgpr67_vgpr68_vgpr69_vgpr70_vgpr71_vgpr72
; %bb.108:
	s_and_not1_saveexec_b32 s3, s3
; %bb.109:
	v_and_b32_e32 v8, 0xffff, v72
	v_or_b32_e32 v9, 0x10000, v72
	s_delay_alu instid0(VALU_DEP_2) | instskip(NEXT) | instid1(VALU_DEP_2)
	v_cmp_eq_u32_e32 vcc_lo, 0, v8
	v_cndmask_b32_e32 v8, v9, v72, vcc_lo
; %bb.110:
	s_or_b32 exec_lo, exec_lo, s3
	s_delay_alu instid0(VALU_DEP_1)
	v_perm_b32 v7, v8, v7, 0x7060302
	v_perm_b32 v6, v6, v5, 0x7060302
	;; [unrolled: 1-line block ×4, first 2 shown]
	s_barrier
	buffer_gl0_inv
	v_cmp_eq_u32_e32 vcc_lo, 1, v78
	ds_store_b128 v76, v[4:7]
	s_waitcnt lgkmcnt(0)
	s_barrier
	buffer_gl0_inv
	ds_load_b128 v[1:4], v82
	ds_load_b128 v[5:8], v82 offset:16
	v_cmp_eq_u32_e64 s3, 1, v79
	v_cmp_eq_u32_e64 s4, 2, v78
	v_cmp_eq_u32_e64 s5, 3, v78
	v_cmp_eq_u32_e64 s7, 2, v77
	v_cmp_eq_u32_e64 s6, 7, v79
	s_waitcnt lgkmcnt(1)
	v_lshrrev_b32_e32 v9, 16, v1
	s_waitcnt lgkmcnt(0)
	v_lshrrev_b32_e32 v13, 16, v5
	v_lshrrev_b32_e32 v10, 16, v2
	;; [unrolled: 1-line block ×4, first 2 shown]
	v_cndmask_b32_e64 v19, v1, v9, s3
	v_cndmask_b32_e32 v18, v5, v13, vcc_lo
	v_cndmask_b32_e64 v20, v5, v13, s3
	v_cndmask_b32_e32 v17, v1, v9, vcc_lo
	v_cmp_eq_u32_e32 vcc_lo, 2, v79
	v_lshrrev_b32_e32 v15, 16, v7
	v_cmp_eq_u32_e64 s3, 1, v77
	v_lshrrev_b32_e32 v12, 16, v4
	v_lshrrev_b32_e32 v16, 16, v8
	v_cndmask_b32_e32 v20, v20, v6, vcc_lo
	v_cndmask_b32_e64 v17, v17, v2, s4
	v_cndmask_b32_e32 v19, v19, v2, vcc_lo
	v_cndmask_b32_e64 v18, v18, v6, s4
	v_cmp_eq_u32_e32 vcc_lo, 4, v78
	v_cmp_eq_u32_e64 s4, 3, v79
	v_cndmask_b32_e64 v17, v17, v10, s5
	v_cndmask_b32_e64 v21, v1, v9, s3
	;; [unrolled: 1-line block ×5, first 2 shown]
	v_cndmask_b32_e32 v17, v17, v3, vcc_lo
	v_cndmask_b32_e64 v20, v20, v14, s4
	v_cndmask_b32_e32 v18, v18, v7, vcc_lo
	v_cmp_eq_u32_e32 vcc_lo, 4, v79
	v_cmp_eq_u32_e64 s4, 5, v79
	v_cmp_eq_u32_e64 s3, 2, v81
	v_cndmask_b32_e64 v21, v21, v2, s7
	v_cmp_eq_u32_e64 s5, 5, v78
	v_cndmask_b32_e32 v19, v19, v3, vcc_lo
	v_cndmask_b32_e32 v20, v20, v7, vcc_lo
	v_cmp_eq_u32_e32 vcc_lo, 6, v79
	s_delay_alu instid0(VALU_DEP_4) | instskip(NEXT) | instid1(VALU_DEP_4)
	v_cndmask_b32_e64 v17, v17, v11, s5
	v_cndmask_b32_e64 v19, v19, v11, s4
	s_delay_alu instid0(VALU_DEP_4) | instskip(SKIP_1) | instid1(VALU_DEP_3)
	v_cndmask_b32_e64 v20, v20, v15, s4
	v_cmp_eq_u32_e64 s4, 1, v81
	v_cndmask_b32_e32 v19, v19, v4, vcc_lo
	v_cndmask_b32_e64 v18, v18, v15, s5
	s_delay_alu instid0(VALU_DEP_3)
	v_cndmask_b32_e64 v1, v1, v9, s4
	v_cndmask_b32_e64 v5, v5, v13, s4
	v_cmp_eq_u32_e64 s4, 3, v77
	v_cndmask_b32_e64 v13, v22, v6, s7
	v_cmp_eq_u32_e64 s7, 3, v81
	v_cndmask_b32_e64 v1, v1, v2, s3
	v_cndmask_b32_e64 v2, v5, v6, s3
	v_cndmask_b32_e64 v9, v21, v10, s4
	v_cmp_eq_u32_e64 s3, 4, v77
	v_cndmask_b32_e64 v6, v13, v14, s4
	v_cndmask_b32_e64 v1, v1, v10, s7
	v_cmp_eq_u32_e64 s4, 4, v81
	v_cndmask_b32_e64 v2, v2, v14, s7
	v_cndmask_b32_e64 v5, v9, v3, s3
	;; [unrolled: 3-line block ×3, first 2 shown]
	v_cndmask_b32_e64 v2, v2, v7, s4
	v_cmp_eq_u32_e64 s3, 5, v81
	v_cmp_eq_u32_e64 s5, 6, v78
	v_cndmask_b32_e64 v5, v5, v11, s7
	v_cmp_eq_u32_e64 s4, 6, v77
	v_cndmask_b32_e64 v3, v6, v15, s7
	v_cndmask_b32_e64 v1, v1, v11, s3
	v_cmp_eq_u32_e64 s7, 6, v81
	v_cndmask_b32_e64 v2, v2, v15, s3
	v_cndmask_b32_e64 v17, v17, v4, s5
	v_cndmask_b32_e64 v18, v18, v8, s5
	v_cmp_eq_u32_e64 s5, 7, v78
	v_cndmask_b32_e64 v5, v5, v4, s4
	;; [unrolled: 4-line block ×3, first 2 shown]
	v_cmp_eq_u32_e64 s4, 7, v77
	v_cndmask_b32_e32 v4, v20, v8, vcc_lo
	v_cndmask_b32_e64 v17, v17, v12, s5
	v_cndmask_b32_e64 v19, v19, v12, s6
	;; [unrolled: 1-line block ×8, first 2 shown]
	s_mov_b32 s3, exec_lo
	v_perm_b32 v4, v2, v1, 0x5040100
	v_perm_b32 v3, v3, v5, 0x5040100
	;; [unrolled: 1-line block ×4, first 2 shown]
	ds_store_b128 v76, v[1:4]
	s_waitcnt lgkmcnt(0)
	s_barrier
	buffer_gl0_inv
	v_cmpx_gt_u32_e32 32, v0
	s_cbranch_execz .LBB1556_2
; %bb.111:
	s_load_b64 s[4:5], s[0:1], 0x68
	v_lshlrev_b32_e32 v0, 10, v0
	v_lshlrev_b32_e32 v1, 4, v75
	s_lshl_b32 s0, s34, 7
	v_add_nc_u32_e32 v7, s31, v74
	s_mul_i32 s1, s0, s30
	s_delay_alu instid0(SALU_CYCLE_1) | instskip(SKIP_1) | instid1(VALU_DEP_2)
	s_mul_i32 s6, s1, s8
	v_and_or_b32 v0, 0x3800, v0, v1
	v_mul_lo_u32 v1, v7, s0
	v_add_nc_u32_e32 v2, 2, v7
	s_ashr_i32 s7, s6, 31
	v_add_nc_u32_e32 v4, 4, v7
	s_lshl_b64 s[6:7], s[6:7], 1
	v_add_nc_u32_e32 v8, 6, v7
	v_mul_lo_u32 v3, v2, s0
	v_lshl_or_b32 v19, v74, 6, v0
	v_ashrrev_i32_e32 v2, 31, v1
	v_mul_lo_u32 v11, v4, s0
	v_mul_lo_u32 v25, v8, s0
	s_waitcnt lgkmcnt(0)
	s_add_u32 s1, s4, s6
	s_addc_u32 s3, s5, s7
	s_lshl_b32 s4, s14, 7
	v_lshlrev_b64 v[5:6], 1, v[1:2]
	s_ashr_i32 s5, s4, 31
	v_ashrrev_i32_e32 v4, 31, v3
	s_lshl_b64 s[4:5], s[4:5], 1
	v_ashrrev_i32_e32 v12, 31, v11
	s_add_u32 s1, s1, s4
	s_addc_u32 s3, s3, s5
	v_add_co_u32 v1, s1, s1, v73
	s_delay_alu instid0(VALU_DEP_1) | instskip(SKIP_1) | instid1(VALU_DEP_3)
	v_add_co_ci_u32_e64 v2, null, s3, 0, s1
	v_lshlrev_b64 v[3:4], 1, v[3:4]
	v_add_co_u32 v23, vcc_lo, v1, v5
	v_add_nc_u32_e32 v5, 8, v7
	s_delay_alu instid0(VALU_DEP_4) | instskip(NEXT) | instid1(VALU_DEP_4)
	v_add_co_ci_u32_e32 v24, vcc_lo, v2, v6, vcc_lo
	v_add_co_u32 v27, vcc_lo, v1, v3
	s_delay_alu instid0(VALU_DEP_3)
	v_mul_lo_u32 v29, v5, s0
	v_add_co_ci_u32_e32 v28, vcc_lo, v2, v4, vcc_lo
	ds_load_b128 v[3:6], v19
	ds_load_b128 v[7:10], v19 offset:128
	v_lshlrev_b64 v[31:32], 1, v[11:12]
	ds_load_b128 v[11:14], v19 offset:256
	ds_load_b128 v[15:18], v19 offset:384
	ds_load_b128 v[19:22], v19 offset:512
	v_ashrrev_i32_e32 v26, 31, v25
	v_ashrrev_i32_e32 v30, 31, v29
	v_add_co_u32 v31, vcc_lo, v1, v31
	s_delay_alu instid0(VALU_DEP_3) | instskip(NEXT) | instid1(VALU_DEP_3)
	v_lshlrev_b64 v[25:26], 1, v[25:26]
	v_lshlrev_b64 v[29:30], 1, v[29:30]
	v_add_co_ci_u32_e32 v32, vcc_lo, v2, v32, vcc_lo
	s_delay_alu instid0(VALU_DEP_3) | instskip(NEXT) | instid1(VALU_DEP_4)
	v_add_co_u32 v25, vcc_lo, v1, v25
	v_add_co_ci_u32_e32 v26, vcc_lo, v2, v26, vcc_lo
	s_delay_alu instid0(VALU_DEP_4)
	v_add_co_u32 v29, vcc_lo, v1, v29
	v_add_co_ci_u32_e32 v30, vcc_lo, v2, v30, vcc_lo
	s_waitcnt lgkmcnt(4)
	global_store_b128 v[23:24], v[3:6], off
	s_waitcnt lgkmcnt(3)
	global_store_b128 v[27:28], v[7:10], off
	;; [unrolled: 2-line block ×5, first 2 shown]
	s_and_b32 exec_lo, exec_lo, s2
	s_cbranch_execz .LBB1556_2
; %bb.112:
	ds_load_b128 v[3:6], v0 offset:640
	s_add_i32 s1, s31, 10
	s_delay_alu instid0(SALU_CYCLE_1) | instskip(NEXT) | instid1(SALU_CYCLE_1)
	s_mul_i32 s0, s1, s0
	s_ashr_i32 s1, s0, 31
	s_delay_alu instid0(SALU_CYCLE_1) | instskip(NEXT) | instid1(SALU_CYCLE_1)
	s_lshl_b64 s[0:1], s[0:1], 1
	v_add_co_u32 v0, vcc_lo, v1, s0
	v_add_co_ci_u32_e32 v1, vcc_lo, s1, v2, vcc_lo
	s_waitcnt lgkmcnt(0)
	global_store_b128 v[0:1], v[3:6], off
	s_nop 0
	s_sendmsg sendmsg(MSG_DEALLOC_VGPRS)
	s_endpgm
	.section	.rodata,"a",@progbits
	.p2align	6, 0x0
	.amdhsa_kernel _Z39paged_attention_ll4mi_QKV_mfma16_kernelI14__hip_bfloat16hLN4vllm18Fp8KVCacheDataTypeE1ES0_Li16ELi128ELi256ELb1ELi11EL8MFMAType1EEvPKT_PKT0_S9_ifPKiSB_SB_iPKfiiiPfSE_PS4_PT2_iSD_SD_
		.amdhsa_group_segment_fixed_size 17472
		.amdhsa_private_segment_fixed_size 0
		.amdhsa_kernarg_size 400
		.amdhsa_user_sgpr_count 13
		.amdhsa_user_sgpr_dispatch_ptr 0
		.amdhsa_user_sgpr_queue_ptr 0
		.amdhsa_user_sgpr_kernarg_segment_ptr 1
		.amdhsa_user_sgpr_dispatch_id 0
		.amdhsa_user_sgpr_private_segment_size 0
		.amdhsa_wavefront_size32 1
		.amdhsa_uses_dynamic_stack 0
		.amdhsa_enable_private_segment 0
		.amdhsa_system_sgpr_workgroup_id_x 1
		.amdhsa_system_sgpr_workgroup_id_y 1
		.amdhsa_system_sgpr_workgroup_id_z 1
		.amdhsa_system_sgpr_workgroup_info 0
		.amdhsa_system_vgpr_workitem_id 0
		.amdhsa_next_free_vgpr 140
		.amdhsa_next_free_sgpr 36
		.amdhsa_reserve_vcc 1
		.amdhsa_float_round_mode_32 0
		.amdhsa_float_round_mode_16_64 0
		.amdhsa_float_denorm_mode_32 3
		.amdhsa_float_denorm_mode_16_64 3
		.amdhsa_dx10_clamp 1
		.amdhsa_ieee_mode 1
		.amdhsa_fp16_overflow 0
		.amdhsa_workgroup_processor_mode 1
		.amdhsa_memory_ordered 1
		.amdhsa_forward_progress 0
		.amdhsa_shared_vgpr_count 0
		.amdhsa_exception_fp_ieee_invalid_op 0
		.amdhsa_exception_fp_denorm_src 0
		.amdhsa_exception_fp_ieee_div_zero 0
		.amdhsa_exception_fp_ieee_overflow 0
		.amdhsa_exception_fp_ieee_underflow 0
		.amdhsa_exception_fp_ieee_inexact 0
		.amdhsa_exception_int_div_zero 0
	.end_amdhsa_kernel
	.section	.text._Z39paged_attention_ll4mi_QKV_mfma16_kernelI14__hip_bfloat16hLN4vllm18Fp8KVCacheDataTypeE1ES0_Li16ELi128ELi256ELb1ELi11EL8MFMAType1EEvPKT_PKT0_S9_ifPKiSB_SB_iPKfiiiPfSE_PS4_PT2_iSD_SD_,"axG",@progbits,_Z39paged_attention_ll4mi_QKV_mfma16_kernelI14__hip_bfloat16hLN4vllm18Fp8KVCacheDataTypeE1ES0_Li16ELi128ELi256ELb1ELi11EL8MFMAType1EEvPKT_PKT0_S9_ifPKiSB_SB_iPKfiiiPfSE_PS4_PT2_iSD_SD_,comdat
.Lfunc_end1556:
	.size	_Z39paged_attention_ll4mi_QKV_mfma16_kernelI14__hip_bfloat16hLN4vllm18Fp8KVCacheDataTypeE1ES0_Li16ELi128ELi256ELb1ELi11EL8MFMAType1EEvPKT_PKT0_S9_ifPKiSB_SB_iPKfiiiPfSE_PS4_PT2_iSD_SD_, .Lfunc_end1556-_Z39paged_attention_ll4mi_QKV_mfma16_kernelI14__hip_bfloat16hLN4vllm18Fp8KVCacheDataTypeE1ES0_Li16ELi128ELi256ELb1ELi11EL8MFMAType1EEvPKT_PKT0_S9_ifPKiSB_SB_iPKfiiiPfSE_PS4_PT2_iSD_SD_
                                        ; -- End function
	.section	.AMDGPU.csdata,"",@progbits
; Kernel info:
; codeLenInByte = 9004
; NumSgprs: 38
; NumVgprs: 140
; ScratchSize: 0
; MemoryBound: 0
; FloatMode: 240
; IeeeMode: 1
; LDSByteSize: 17472 bytes/workgroup (compile time only)
; SGPRBlocks: 4
; VGPRBlocks: 17
; NumSGPRsForWavesPerEU: 38
; NumVGPRsForWavesPerEU: 140
; Occupancy: 10
; WaveLimiterHint : 1
; COMPUTE_PGM_RSRC2:SCRATCH_EN: 0
; COMPUTE_PGM_RSRC2:USER_SGPR: 13
; COMPUTE_PGM_RSRC2:TRAP_HANDLER: 0
; COMPUTE_PGM_RSRC2:TGID_X_EN: 1
; COMPUTE_PGM_RSRC2:TGID_Y_EN: 1
; COMPUTE_PGM_RSRC2:TGID_Z_EN: 1
; COMPUTE_PGM_RSRC2:TIDIG_COMP_CNT: 0
	.section	.text._Z39paged_attention_ll4mi_QKV_mfma16_kernelI14__hip_bfloat16hLN4vllm18Fp8KVCacheDataTypeE1ES0_Li16ELi128ELi256ELb1ELi12EL8MFMAType1EEvPKT_PKT0_S9_ifPKiSB_SB_iPKfiiiPfSE_PS4_PT2_iSD_SD_,"axG",@progbits,_Z39paged_attention_ll4mi_QKV_mfma16_kernelI14__hip_bfloat16hLN4vllm18Fp8KVCacheDataTypeE1ES0_Li16ELi128ELi256ELb1ELi12EL8MFMAType1EEvPKT_PKT0_S9_ifPKiSB_SB_iPKfiiiPfSE_PS4_PT2_iSD_SD_,comdat
	.protected	_Z39paged_attention_ll4mi_QKV_mfma16_kernelI14__hip_bfloat16hLN4vllm18Fp8KVCacheDataTypeE1ES0_Li16ELi128ELi256ELb1ELi12EL8MFMAType1EEvPKT_PKT0_S9_ifPKiSB_SB_iPKfiiiPfSE_PS4_PT2_iSD_SD_ ; -- Begin function _Z39paged_attention_ll4mi_QKV_mfma16_kernelI14__hip_bfloat16hLN4vllm18Fp8KVCacheDataTypeE1ES0_Li16ELi128ELi256ELb1ELi12EL8MFMAType1EEvPKT_PKT0_S9_ifPKiSB_SB_iPKfiiiPfSE_PS4_PT2_iSD_SD_
	.globl	_Z39paged_attention_ll4mi_QKV_mfma16_kernelI14__hip_bfloat16hLN4vllm18Fp8KVCacheDataTypeE1ES0_Li16ELi128ELi256ELb1ELi12EL8MFMAType1EEvPKT_PKT0_S9_ifPKiSB_SB_iPKfiiiPfSE_PS4_PT2_iSD_SD_
	.p2align	8
	.type	_Z39paged_attention_ll4mi_QKV_mfma16_kernelI14__hip_bfloat16hLN4vllm18Fp8KVCacheDataTypeE1ES0_Li16ELi128ELi256ELb1ELi12EL8MFMAType1EEvPKT_PKT0_S9_ifPKiSB_SB_iPKfiiiPfSE_PS4_PT2_iSD_SD_,@function
_Z39paged_attention_ll4mi_QKV_mfma16_kernelI14__hip_bfloat16hLN4vllm18Fp8KVCacheDataTypeE1ES0_Li16ELi128ELi256ELb1ELi12EL8MFMAType1EEvPKT_PKT0_S9_ifPKiSB_SB_iPKfiiiPfSE_PS4_PT2_iSD_SD_: ; @_Z39paged_attention_ll4mi_QKV_mfma16_kernelI14__hip_bfloat16hLN4vllm18Fp8KVCacheDataTypeE1ES0_Li16ELi128ELi256ELb1ELi12EL8MFMAType1EEvPKT_PKT0_S9_ifPKiSB_SB_iPKfiiiPfSE_PS4_PT2_iSD_SD_
; %bb.0:
	s_load_b64 s[4:5], s[0:1], 0x30
	s_mov_b32 s30, s13
	s_waitcnt lgkmcnt(0)
	s_cmp_lg_u64 s[4:5], 0
	s_cselect_b32 s13, -1, 0
	s_ashr_i32 s31, s30, 31
	s_cmp_eq_u64 s[4:5], 0
	s_cbranch_scc1 .LBB1557_3
; %bb.1:
	s_lshl_b64 s[2:3], s[30:31], 2
	s_delay_alu instid0(SALU_CYCLE_1) | instskip(SKIP_4) | instid1(SALU_CYCLE_1)
	s_add_u32 s2, s4, s2
	s_addc_u32 s3, s5, s3
	s_load_b64 s[2:3], s[2:3], 0x0
	s_waitcnt lgkmcnt(0)
	s_sub_i32 s2, s3, s2
	s_cmp_eq_u32 s2, 1
	s_cselect_b32 s2, -1, 0
	s_delay_alu instid0(SALU_CYCLE_1)
	s_and_not1_b32 vcc_lo, exec_lo, s2
	s_cbranch_vccz .LBB1557_4
.LBB1557_2:
	s_endpgm
.LBB1557_3:
.LBB1557_4:
	s_load_b64 s[2:3], s[0:1], 0x28
	s_lshl_b64 s[6:7], s[30:31], 2
	s_waitcnt lgkmcnt(0)
	s_add_u32 s2, s2, s6
	s_addc_u32 s3, s3, s7
	s_lshl_b32 s12, s14, 8
	s_load_b32 s17, s[2:3], 0x0
	s_waitcnt lgkmcnt(0)
	s_cmp_ge_i32 s12, s17
	s_cbranch_scc1 .LBB1557_2
; %bb.5:
	s_clause 0x1
	s_load_b128 s[8:11], s[0:1], 0x8
	s_load_b64 s[2:3], s[0:1], 0x20
	s_and_not1_b32 vcc_lo, exec_lo, s13
	s_cbranch_vccnz .LBB1557_7
; %bb.6:
	s_add_u32 s4, s4, s6
	s_addc_u32 s5, s5, s7
	s_load_b32 s13, s[4:5], 0x0
	s_branch .LBB1557_8
.LBB1557_7:
	s_mov_b32 s13, s30
.LBB1557_8:
	s_load_b128 s[4:7], s[0:1], 0x48
	v_and_b32_e32 v65, 15, v0
	v_lshrrev_b32_e32 v66, 5, v0
	v_and_b32_e32 v67, 31, v0
	v_and_b32_e32 v75, 1, v0
	v_bfe_u32 v74, v0, 4, 1
	v_lshlrev_b32_e32 v1, 3, v65
	s_mul_i32 s29, s15, 12
	s_waitcnt lgkmcnt(0)
	s_mov_b32 s7, exec_lo
	s_delay_alu instid0(VALU_DEP_1)
	v_lshlrev_b32_e32 v73, 1, v1
	v_cmpx_gt_u32_e32 0xc0, v0
	s_cbranch_execz .LBB1557_10
; %bb.9:
	s_load_b64 s[18:19], s[0:1], 0x0
	v_lshl_or_b32 v5, v66, 1, v74
	s_mul_hi_i32 s21, s13, s4
	s_mul_i32 s20, s13, s4
	v_lshlrev_b32_e32 v6, 10, v65
	s_lshl_b64 s[20:21], s[20:21], 1
	v_add_lshl_u32 v1, v5, s29, 7
	v_lshlrev_b32_e32 v5, 6, v5
	v_lshlrev_b32_e32 v7, 10, v75
	v_and_b32_e32 v6, 0x3800, v6
	s_delay_alu instid0(VALU_DEP_4) | instskip(NEXT) | instid1(VALU_DEP_2)
	v_ashrrev_i32_e32 v2, 31, v1
	v_or3_b32 v5, v6, v7, v5
	s_delay_alu instid0(VALU_DEP_2) | instskip(SKIP_3) | instid1(VALU_DEP_1)
	v_lshlrev_b64 v[1:2], 1, v[1:2]
	s_waitcnt lgkmcnt(0)
	s_add_u32 s4, s18, s20
	s_addc_u32 s13, s19, s21
	v_add_co_u32 v1, vcc_lo, s4, v1
	s_delay_alu instid0(VALU_DEP_2) | instskip(NEXT) | instid1(VALU_DEP_2)
	v_add_co_ci_u32_e32 v2, vcc_lo, s13, v2, vcc_lo
	v_add_co_u32 v1, vcc_lo, v1, v73
	s_delay_alu instid0(VALU_DEP_2)
	v_add_co_ci_u32_e32 v2, vcc_lo, 0, v2, vcc_lo
	global_load_b128 v[1:4], v[1:2], off
	s_waitcnt vmcnt(0)
	ds_store_b128 v5, v[1:4]
.LBB1557_10:
	s_or_b32 exec_lo, exec_lo, s7
	v_and_b32_e32 v1, 0xef, v0
	s_add_i32 s4, s17, 15
	s_clause 0x1
	s_load_b32 s7, s[0:1], 0x38
	s_load_b32 s18, s[0:1], 0x1c
	s_ashr_i32 s13, s4, 31
	v_add_nc_u32_e32 v1, s12, v1
	s_lshr_b32 s13, s13, 28
	s_waitcnt lgkmcnt(0)
	s_add_i32 s4, s4, s13
	s_barrier
	v_ashrrev_i32_e32 v2, 31, v1
	v_or_b32_e32 v3, 16, v1
	s_ashr_i32 s4, s4, 4
	v_cmp_gt_i32_e32 vcc_lo, s17, v1
	s_add_i32 s4, s4, -1
	v_lshrrev_b32_e32 v2, 28, v2
	buffer_gl0_inv
	s_mul_i32 s15, s15, s6
	v_add_nc_u32_e32 v4, v1, v2
	s_mul_i32 s20, s30, s7
	s_delay_alu instid0(SALU_CYCLE_1) | instskip(NEXT) | instid1(VALU_DEP_1)
	s_ashr_i32 s21, s20, 31
	v_ashrrev_i32_e32 v4, 4, v4
	v_add_nc_u32_e32 v2, v3, v2
	s_lshl_b64 s[20:21], s[20:21], 2
	s_delay_alu instid0(SALU_CYCLE_1) | instskip(NEXT) | instid1(VALU_DEP_2)
	s_add_u32 s13, s2, s20
	v_cndmask_b32_e32 v1, s4, v4, vcc_lo
	s_delay_alu instid0(VALU_DEP_2)
	v_ashrrev_i32_e32 v2, 4, v2
	v_cmp_gt_i32_e32 vcc_lo, s17, v3
	s_addc_u32 s16, s3, s21
	s_ashr_i32 s19, s15, 31
	s_add_u32 s26, s8, s15
	s_addc_u32 s27, s9, s19
	v_cndmask_b32_e32 v3, s4, v2, vcc_lo
	v_ashrrev_i32_e32 v2, 31, v1
	s_lshl_b32 s2, s14, 4
	s_delay_alu instid0(SALU_CYCLE_1) | instskip(NEXT) | instid1(VALU_DEP_2)
	s_ashr_i32 s3, s2, 31
	v_ashrrev_i32_e32 v4, 31, v3
	s_delay_alu instid0(VALU_DEP_2) | instskip(SKIP_1) | instid1(SALU_CYCLE_1)
	v_lshlrev_b64 v[1:2], 2, v[1:2]
	s_lshl_b64 s[2:3], s[2:3], 2
	s_add_u32 s2, s13, s2
	s_delay_alu instid0(VALU_DEP_2) | instskip(SKIP_1) | instid1(VALU_DEP_2)
	v_lshlrev_b64 v[3:4], 2, v[3:4]
	s_addc_u32 s3, s16, s3
	v_add_co_u32 v1, vcc_lo, s13, v1
	v_add_co_ci_u32_e32 v2, vcc_lo, s16, v2, vcc_lo
	s_delay_alu instid0(VALU_DEP_3) | instskip(NEXT) | instid1(VALU_DEP_4)
	v_add_co_u32 v3, vcc_lo, s13, v3
	v_add_co_ci_u32_e32 v4, vcc_lo, s16, v4, vcc_lo
	s_clause 0x1
	global_load_b32 v5, v[1:2], off
	global_load_b32 v3, v[3:4], off
	s_or_b32 s6, s12, 32
	v_cmp_gt_u32_e32 vcc_lo, 12, v65
	s_ashr_i32 s7, s6, 4
	s_cmp_lt_i32 s6, s17
	s_cselect_b32 s6, s7, s4
	s_delay_alu instid0(SALU_CYCLE_1) | instskip(NEXT) | instid1(SALU_CYCLE_1)
	s_ashr_i32 s7, s6, 31
	s_lshl_b64 s[6:7], s[6:7], 2
	s_delay_alu instid0(SALU_CYCLE_1) | instskip(SKIP_2) | instid1(SALU_CYCLE_1)
	s_add_u32 s6, s13, s6
	s_addc_u32 s7, s16, s7
	s_or_b32 s8, s12, 64
	s_ashr_i32 s9, s8, 4
	s_cmp_lt_i32 s8, s17
	s_cselect_b32 s8, s9, s4
	s_delay_alu instid0(SALU_CYCLE_1) | instskip(NEXT) | instid1(SALU_CYCLE_1)
	s_ashr_i32 s9, s8, 31
	s_lshl_b64 s[8:9], s[8:9], 2
	s_delay_alu instid0(SALU_CYCLE_1) | instskip(SKIP_2) | instid1(SALU_CYCLE_1)
	s_add_u32 s8, s13, s8
	s_addc_u32 s9, s16, s9
	s_or_b32 s20, s12, 0x60
	s_ashr_i32 s21, s20, 4
	s_cmp_lt_i32 s20, s17
	s_cselect_b32 s20, s21, s4
	s_delay_alu instid0(SALU_CYCLE_1) | instskip(NEXT) | instid1(SALU_CYCLE_1)
	s_ashr_i32 s21, s20, 31
	s_lshl_b64 s[20:21], s[20:21], 2
	s_delay_alu instid0(SALU_CYCLE_1) | instskip(SKIP_2) | instid1(SALU_CYCLE_1)
	s_add_u32 s20, s13, s20
	s_addc_u32 s21, s16, s21
	s_or_b32 s22, s12, 0x80
	s_ashr_i32 s23, s22, 4
	s_cmp_lt_i32 s22, s17
	s_cselect_b32 s22, s23, s4
	s_delay_alu instid0(SALU_CYCLE_1) | instskip(NEXT) | instid1(SALU_CYCLE_1)
	s_ashr_i32 s23, s22, 31
	s_lshl_b64 s[22:23], s[22:23], 2
	s_delay_alu instid0(SALU_CYCLE_1) | instskip(SKIP_2) | instid1(SALU_CYCLE_1)
	s_add_u32 s22, s13, s22
	s_addc_u32 s23, s16, s23
	s_or_b32 s24, s12, 0xa0
	s_ashr_i32 s25, s24, 4
	s_cmp_lt_i32 s24, s17
	s_cselect_b32 s24, s25, s4
	s_delay_alu instid0(SALU_CYCLE_1) | instskip(NEXT) | instid1(SALU_CYCLE_1)
	s_ashr_i32 s25, s24, 31
	s_lshl_b64 s[24:25], s[24:25], 2
	s_delay_alu instid0(SALU_CYCLE_1)
	s_add_u32 s24, s13, s24
	s_addc_u32 s25, s16, s25
	s_clause 0x5
	s_load_b32 s28, s[2:3], 0x0
	s_load_b32 s31, s[6:7], 0x0
	;; [unrolled: 1-line block ×6, first 2 shown]
	s_mov_b32 s20, 0
	s_or_b32 s2, s12, 0xc0
	s_mov_b32 s21, s20
	s_mov_b32 s22, s20
	;; [unrolled: 1-line block ×5, first 2 shown]
	v_lshlrev_b32_e32 v1, 4, v0
	s_ashr_i32 s3, s2, 4
	s_cmp_lt_i32 s2, s17
	s_cselect_b32 s2, s3, s4
	s_delay_alu instid0(VALU_DEP_1) | instskip(SKIP_1) | instid1(SALU_CYCLE_1)
	v_and_b32_e32 v1, 0xf0, v1
	s_ashr_i32 s3, s2, 31
	s_lshl_b64 s[2:3], s[2:3], 2
	s_delay_alu instid0(VALU_DEP_1) | instskip(NEXT) | instid1(VALU_DEP_1)
	v_add_co_u32 v1, s26, s26, v1
	v_add_co_ci_u32_e64 v2, null, s27, 0, s26
	s_add_u32 s2, s13, s2
	s_addc_u32 s3, s16, s3
	s_or_b32 s6, s12, 0xe0
	s_mov_b32 s27, s20
	s_ashr_i32 s7, s6, 4
	s_cmp_lt_i32 s6, s17
	s_mov_b32 s26, s20
	v_dual_mov_b32 v107, s27 :: v_dual_mov_b32 v100, s20
	s_cselect_b32 s6, s7, s4
	v_mov_b32_e32 v106, s26
	s_ashr_i32 s7, s6, 31
	v_mov_b32_e32 v104, s24
	s_lshl_b64 s[6:7], s[6:7], 2
	v_dual_mov_b32 v103, s23 :: v_dual_mov_b32 v102, s22
	v_mov_b32_e32 v101, s21
	s_waitcnt vmcnt(1)
	v_mad_i64_i32 v[33:34], null, v5, s5, v[1:2]
	s_waitcnt vmcnt(0)
	v_mad_i64_i32 v[35:36], null, v3, s5, v[1:2]
	s_clause 0xf
	global_load_b128 v[1:4], v[33:34], off
	global_load_b128 v[5:8], v[33:34], off offset:256
	global_load_b128 v[9:12], v[35:36], off
	global_load_b128 v[13:16], v[35:36], off offset:256
	global_load_b128 v[17:20], v[33:34], off offset:512
	;; [unrolled: 1-line block ×13, first 2 shown]
	v_add_nc_u32_e32 v33, -12, v65
	v_lshlrev_b32_e32 v34, 4, v65
	s_delay_alu instid0(VALU_DEP_2) | instskip(SKIP_1) | instid1(VALU_DEP_3)
	v_cndmask_b32_e32 v33, v33, v65, vcc_lo
	v_mov_b32_e32 v105, s25
	v_lshl_or_b32 v41, v66, 8, v34
	s_delay_alu instid0(VALU_DEP_3)
	v_lshlrev_b32_e32 v72, 6, v33
	ds_load_b128 v[33:36], v72
	ds_load_b128 v[37:40], v72 offset:1024
	ds_load_b128 v[108:111], v72 offset:2048
	;; [unrolled: 1-line block ×3, first 2 shown]
	s_load_b32 s4, s[2:3], 0x0
	s_add_u32 s2, s13, s6
	s_addc_u32 s3, s16, s7
	ds_load_b128 v[116:119], v72 offset:4096
	ds_load_b128 v[120:123], v72 offset:5120
	s_load_b32 s2, s[2:3], 0x0
	s_add_u32 s6, s10, s15
	s_addc_u32 s7, s11, s19
	v_add_co_u32 v68, s6, s6, v41
	s_delay_alu instid0(VALU_DEP_1) | instskip(SKIP_1) | instid1(VALU_DEP_1)
	v_add_co_ci_u32_e64 v69, null, s7, 0, s6
	s_waitcnt lgkmcnt(0)
	v_mad_i64_i32 v[41:42], null, s28, s5, v[68:69]
	v_mad_i64_i32 v[70:71], null, s8, s5, v[68:69]
	;; [unrolled: 1-line block ×7, first 2 shown]
	s_clause 0x3
	global_load_b128 v[49:52], v[41:42], off
	global_load_b128 v[53:56], v[41:42], off offset:16
	global_load_b128 v[41:44], v[45:46], off
	global_load_b128 v[45:48], v[45:46], off offset:16
	s_waitcnt vmcnt(18)
	v_wmma_f32_16x16x16_bf16 v[124:131], v[1:8], v[33:40], v[100:107]
	s_waitcnt vmcnt(16)
	v_wmma_f32_16x16x16_bf16 v[100:107], v[9:16], v[33:40], v[100:107]
	s_clause 0x1
	global_load_b128 v[33:36], v[70:71], off
	global_load_b128 v[37:40], v[70:71], off offset:16
	v_mad_i64_i32 v[70:71], null, s2, s5, v[68:69]
	s_waitcnt vmcnt(16)
	v_wmma_f32_16x16x16_bf16 v[124:131], v[17:24], v[108:115], v[124:131]
	s_waitcnt vmcnt(14)
	v_wmma_f32_16x16x16_bf16 v[100:107], v[25:32], v[108:115], v[100:107]
	s_clause 0x7
	global_load_b128 v[25:28], v[132:133], off
	global_load_b128 v[29:32], v[132:133], off offset:16
	global_load_b128 v[1:4], v[134:135], off
	global_load_b128 v[5:8], v[134:135], off offset:16
	;; [unrolled: 2-line block ×4, first 2 shown]
	s_waitcnt vmcnt(20)
	v_wmma_f32_16x16x16_bf16 v[124:131], v[57:64], v[116:123], v[124:131]
	s_clause 0x1
	global_load_b128 v[57:60], v[70:71], off
	global_load_b128 v[61:64], v[70:71], off offset:16
	s_waitcnt vmcnt(20)
	v_wmma_f32_16x16x16_bf16 v[100:107], v[76:83], v[116:123], v[100:107]
	ds_load_b128 v[76:79], v72 offset:6144
	ds_load_b128 v[80:83], v72 offset:7168
	v_and_b32_e32 v68, 0xe0, v0
	v_mbcnt_lo_u32_b32 v69, -1, 0
	s_waitcnt vmcnt(0) lgkmcnt(0)
	s_barrier
	buffer_gl0_inv
	v_add_nc_u32_e32 v68, s12, v68
	v_xor_b32_e32 v70, 16, v69
	s_delay_alu instid0(VALU_DEP_2) | instskip(NEXT) | instid1(VALU_DEP_2)
	v_or_b32_e32 v68, v68, v74
	v_cmp_gt_i32_e32 vcc_lo, 32, v70
	s_delay_alu instid0(VALU_DEP_2)
	v_or_b32_e32 v71, 4, v68
	v_or_b32_e32 v72, 6, v68
	v_cmp_gt_i32_e64 s2, s17, v68
	v_or_b32_e32 v108, 8, v68
	v_wmma_f32_16x16x16_bf16 v[124:131], v[84:91], v[76:83], v[124:131]
	v_cndmask_b32_e32 v69, v69, v70, vcc_lo
	v_or_b32_e32 v70, 2, v68
	v_wmma_f32_16x16x16_bf16 v[100:107], v[92:99], v[76:83], v[100:107]
	v_or_b32_e32 v109, 10, v68
	v_dual_mul_f32 v82, s18, v127 :: v_dual_mul_f32 v79, s18, v130
	v_dual_mul_f32 v92, s18, v125 :: v_dual_mul_f32 v93, s18, v124
	s_delay_alu instid0(VALU_DEP_4)
	v_mul_f32_e32 v98, s18, v103
	v_cmp_gt_i32_e32 vcc_lo, s17, v70
	v_or_b32_e32 v89, 22, v68
	v_dual_mul_f32 v83, s18, v126 :: v_dual_mul_f32 v96, s18, v105
	v_cndmask_b32_e64 v93, 0xff7fffff, v93, s2
	v_cndmask_b32_e32 v92, 0xff7fffff, v92, vcc_lo
	v_cmp_gt_i32_e64 s3, s17, v71
	v_cmp_gt_i32_e64 s4, s17, v72
	v_or_b32_e32 v84, 12, v68
	v_or_b32_e32 v85, 14, v68
	v_dual_mul_f32 v80, s18, v129 :: v_dual_mul_f32 v81, s18, v128
	v_mul_f32_e32 v94, s18, v107
	v_cndmask_b32_e64 v71, 0xff7fffff, v83, s3
	v_cndmask_b32_e64 v72, 0xff7fffff, v82, s4
	v_cmp_gt_i32_e64 s5, s17, v108
	v_cmp_gt_i32_e64 s6, s17, v109
	;; [unrolled: 1-line block ×3, first 2 shown]
	v_lshlrev_b32_e32 v89, 2, v69
	v_max3_f32 v82, v93, 0xff7fffff, v92
	v_or_b32_e32 v86, 16, v68
	v_or_b32_e32 v87, 18, v68
	v_mul_f32_e32 v78, s18, v131
	v_cndmask_b32_e64 v81, 0xff7fffff, v81, s5
	v_cndmask_b32_e64 v80, 0xff7fffff, v80, s6
	v_max3_f32 v71, v82, v71, v72
	v_cmp_gt_i32_e64 s7, s17, v84
	v_cmp_gt_i32_e64 s8, s17, v85
	v_or_b32_e32 v88, 20, v68
	v_or_b32_e32 v90, 24, v68
	v_or_b32_e32 v91, 26, v68
	v_or_b32_e32 v76, 28, v68
	v_or_b32_e32 v77, 30, v68
	v_dual_mul_f32 v95, s18, v106 :: v_dual_mul_f32 v70, s18, v101
	v_dual_mul_f32 v99, s18, v102 :: v_dual_mul_f32 v68, s18, v100
	v_cndmask_b32_e64 v72, 0xff7fffff, v79, s7
	v_cndmask_b32_e64 v78, 0xff7fffff, v78, s8
	v_max3_f32 v71, v71, v81, v80
	v_cmp_gt_i32_e64 s9, s17, v86
	v_cmp_gt_i32_e64 s10, s17, v87
	;; [unrolled: 1-line block ×3, first 2 shown]
	v_mul_f32_e32 v97, s18, v104
	v_max3_f32 v71, v71, v72, v78
	v_cndmask_b32_e64 v68, 0xff7fffff, v68, s9
	v_cndmask_b32_e64 v70, 0xff7fffff, v70, s10
	;; [unrolled: 1-line block ×4, first 2 shown]
	v_cmp_gt_i32_e64 s13, s17, v90
	v_cmp_gt_i32_e64 s15, s17, v91
	v_max3_f32 v68, v71, v68, v70
	v_cmp_gt_i32_e64 s16, s17, v76
	v_cmp_gt_i32_e64 s17, s17, v77
	v_cndmask_b32_e64 v70, 0xff7fffff, v97, s13
	v_cndmask_b32_e64 v71, 0xff7fffff, v96, s15
	v_max3_f32 v68, v68, v72, v78
	v_cndmask_b32_e64 v72, 0xff7fffff, v95, s16
	v_cndmask_b32_e64 v76, 0xff7fffff, v94, s17
	s_delay_alu instid0(VALU_DEP_3) | instskip(NEXT) | instid1(VALU_DEP_1)
	v_max3_f32 v68, v68, v70, v71
	v_max3_f32 v68, v68, v72, v76
	ds_bpermute_b32 v69, v89, v68
	s_waitcnt lgkmcnt(0)
	v_max_f32_e32 v69, v69, v69
	s_delay_alu instid0(VALU_DEP_1) | instskip(NEXT) | instid1(VALU_DEP_1)
	v_max_f32_e32 v68, v68, v69
	v_fma_f32 v69, s18, v124, -v68
	v_fma_f32 v70, s18, v125, -v68
	;; [unrolled: 1-line block ×5, first 2 shown]
	s_delay_alu instid0(VALU_DEP_4) | instskip(NEXT) | instid1(VALU_DEP_4)
	v_dual_mul_f32 v69, 0x3fb8aa3b, v69 :: v_dual_mul_f32 v70, 0x3fb8aa3b, v70
	v_mul_f32_e32 v72, 0x3fb8aa3b, v72
	v_fma_f32 v78, s18, v130, -v68
	s_delay_alu instid0(VALU_DEP_4) | instskip(NEXT) | instid1(VALU_DEP_4)
	v_mul_f32_e32 v77, 0x3fb8aa3b, v76
	v_exp_f32_e32 v69, v69
	v_exp_f32_e32 v70, v70
	v_mul_f32_e32 v71, 0x3fb8aa3b, v71
	v_exp_f32_e32 v72, v72
	v_mul_f32_e32 v78, 0x3fb8aa3b, v78
	v_exp_f32_e32 v77, v77
	v_fma_f32 v81, s18, v105, -v68
	s_delay_alu instid0(VALU_DEP_2)
	v_exp_f32_e32 v78, v78
	v_cndmask_b32_e64 v80, 0, v69, s2
	v_cndmask_b32_e32 v76, 0, v70, vcc_lo
	v_exp_f32_e32 v71, v71
	v_fma_f32 v69, s18, v129, -v68
	v_cndmask_b32_e64 v85, 0, v72, s4
	v_add_f32_e32 v70, 0, v80
	s_delay_alu instid0(TRANS32_DEP_3)
	v_cndmask_b32_e64 v86, 0, v77, s5
	v_fma_f32 v77, s18, v101, -v68
	v_mul_f32_e32 v69, 0x3fb8aa3b, v69
	v_fma_f32 v72, s18, v100, -v68
	v_cndmask_b32_e64 v84, 0, v78, s7
	v_fma_f32 v78, s18, v103, -v68
	v_cndmask_b32_e64 v83, 0, v71, s3
	v_fma_f32 v71, s18, v131, -v68
	v_add_f32_e32 v70, v70, v76
	v_exp_f32_e32 v69, v69
	v_mul_f32_e32 v77, 0x3fb8aa3b, v77
	v_mul_f32_e32 v81, 0x3fb8aa3b, v81
	;; [unrolled: 1-line block ×3, first 2 shown]
	v_add_f32_e32 v70, v70, v83
	s_mov_b32 s2, exec_lo
	v_exp_f32_e32 v77, v77
	v_exp_f32_e32 v81, v81
	;; [unrolled: 1-line block ×3, first 2 shown]
	v_cndmask_b32_e64 v87, 0, v69, s6
	v_add_f32_e32 v70, v70, v85
	s_delay_alu instid0(VALU_DEP_1) | instskip(SKIP_1) | instid1(VALU_DEP_2)
	v_dual_mul_f32 v72, 0x3fb8aa3b, v72 :: v_dual_add_f32 v69, v70, v86
	v_fma_f32 v70, s18, v102, -v68
	v_exp_f32_e32 v72, v72
	s_waitcnt_depctr 0xfff
	v_cndmask_b32_e64 v88, 0, v71, s8
	v_fma_f32 v71, s18, v104, -v68
	v_dual_add_f32 v69, v69, v87 :: v_dual_mul_f32 v70, 0x3fb8aa3b, v70
	s_delay_alu instid0(VALU_DEP_2) | instskip(NEXT) | instid1(VALU_DEP_2)
	v_dual_mul_f32 v78, 0x3fb8aa3b, v78 :: v_dual_mul_f32 v71, 0x3fb8aa3b, v71
	v_add_f32_e32 v69, v69, v84
	s_delay_alu instid0(VALU_DEP_3) | instskip(SKIP_1) | instid1(VALU_DEP_3)
	v_exp_f32_e32 v79, v70
	v_cndmask_b32_e64 v70, 0, v72, s9
	v_exp_f32_e32 v78, v78
	v_exp_f32_e32 v82, v71
	v_add_f32_e32 v72, v69, v88
	v_cndmask_b32_e64 v69, 0, v77, s10
	v_fma_f32 v77, s18, v106, -v68
	s_delay_alu instid0(VALU_DEP_3) | instskip(NEXT) | instid1(TRANS32_DEP_3)
	v_add_f32_e32 v72, v72, v70
	v_cndmask_b32_e64 v71, 0, v79, s11
	s_delay_alu instid0(VALU_DEP_3) | instskip(NEXT) | instid1(VALU_DEP_3)
	v_mul_f32_e32 v77, 0x3fb8aa3b, v77
	v_add_f32_e32 v79, v72, v69
	s_delay_alu instid0(TRANS32_DEP_2) | instskip(NEXT) | instid1(VALU_DEP_3)
	v_cndmask_b32_e64 v72, 0, v78, s12
	v_exp_f32_e32 v90, v77
	v_cndmask_b32_e64 v77, 0, v82, s13
	s_delay_alu instid0(VALU_DEP_3) | instskip(SKIP_1) | instid1(VALU_DEP_1)
	v_add_f32_e32 v78, v79, v71
	v_fma_f32 v79, s18, v107, -v68
	v_dual_add_f32 v82, v78, v72 :: v_dual_mul_f32 v79, 0x3fb8aa3b, v79
	v_cndmask_b32_e64 v78, 0, v81, s15
	s_delay_alu instid0(VALU_DEP_2) | instskip(NEXT) | instid1(VALU_DEP_3)
	v_add_f32_e32 v81, v82, v77
	v_exp_f32_e32 v82, v79
	s_delay_alu instid0(TRANS32_DEP_2) | instskip(NEXT) | instid1(VALU_DEP_2)
	v_cndmask_b32_e64 v79, 0, v90, s16
	v_add_f32_e32 v81, v81, v78
	s_delay_alu instid0(VALU_DEP_1) | instskip(SKIP_2) | instid1(VALU_DEP_1)
	v_add_f32_e32 v90, v81, v79
	s_waitcnt_depctr 0xfff
	v_cndmask_b32_e64 v81, 0, v82, s17
	v_add_f32_e32 v82, v90, v81
	ds_bpermute_b32 v89, v89, v82
	v_cmpx_gt_u32_e32 16, v67
	s_cbranch_execz .LBB1557_12
; %bb.11:
	v_mul_u32_u24_e32 v67, 0x44, v66
	s_delay_alu instid0(VALU_DEP_1) | instskip(SKIP_1) | instid1(VALU_DEP_1)
	v_lshl_add_u32 v67, v65, 2, v67
	s_waitcnt lgkmcnt(0)
	v_dual_add_f32 v82, v82, v89 :: v_dual_add_nc_u32 v67, 0x4000, v67
	ds_store_2addr_b32 v67, v68, v82 offset1:136
.LBB1557_12:
	s_or_b32 exec_lo, exec_lo, s2
	v_lshlrev_b32_e32 v67, 2, v65
	s_waitcnt lgkmcnt(0)
	s_barrier
	buffer_gl0_inv
	v_cmp_eq_u32_e32 vcc_lo, 1, v66
	v_add_nc_u32_e32 v82, 0x4000, v67
	v_cmp_eq_u32_e64 s2, 2, v66
	v_cmp_eq_u32_e64 s4, 7, v66
	ds_load_2addr_b32 v[89:90], v82 offset1:17
	ds_load_2addr_b32 v[91:92], v82 offset0:34 offset1:51
	ds_load_2addr_b32 v[93:94], v82 offset0:68 offset1:85
	;; [unrolled: 1-line block ×4, first 2 shown]
	s_waitcnt lgkmcnt(4)
	v_max3_f32 v67, v89, 0xff7fffff, v90
	s_waitcnt lgkmcnt(3)
	s_delay_alu instid0(VALU_DEP_1) | instskip(SKIP_1) | instid1(VALU_DEP_1)
	v_max3_f32 v67, v67, v91, v92
	s_waitcnt lgkmcnt(2)
	v_max3_f32 v67, v67, v93, v94
	s_waitcnt lgkmcnt(1)
	s_delay_alu instid0(VALU_DEP_1) | instskip(NEXT) | instid1(VALU_DEP_1)
	v_max3_f32 v67, v67, v95, v96
	v_sub_f32_e32 v93, v93, v67
	s_delay_alu instid0(VALU_DEP_1) | instskip(NEXT) | instid1(VALU_DEP_1)
	v_dual_sub_f32 v68, v89, v67 :: v_dual_mul_f32 v103, 0x3fb8aa3b, v93
	v_mul_f32_e32 v68, 0x3fb8aa3b, v68
	s_delay_alu instid0(VALU_DEP_1)
	v_exp_f32_e32 v100, v68
	v_sub_f32_e32 v68, v92, v67
	v_sub_f32_e32 v99, v90, v67
	ds_load_2addr_b32 v[89:90], v82 offset0:170 offset1:187
	v_dual_mul_f32 v102, 0x3fb8aa3b, v68 :: v_dual_mul_f32 v99, 0x3fb8aa3b, v99
	s_waitcnt lgkmcnt(1)
	v_fma_f32 v68, v100, v97, 0
	s_delay_alu instid0(VALU_DEP_2) | instskip(NEXT) | instid1(VALU_DEP_2)
	v_exp_f32_e32 v102, v102
	v_exp_f32_e32 v99, v99
	s_waitcnt_depctr 0xfff
	v_fmac_f32_e32 v68, v99, v98
	v_sub_f32_e32 v91, v91, v67
	s_delay_alu instid0(VALU_DEP_1)
	v_mul_f32_e32 v101, 0x3fb8aa3b, v91
	ds_load_2addr_b32 v[91:92], v82 offset0:204 offset1:221
	v_sub_f32_e32 v97, v94, v67
	ds_load_2addr_b32 v[93:94], v82 offset0:238 offset1:255
	s_waitcnt lgkmcnt(0)
	v_exp_f32_e32 v101, v101
	s_barrier
	buffer_gl0_inv
	v_dual_fmac_f32 v68, v101, v89 :: v_dual_sub_f32 v89, v96, v67
	v_dual_sub_f32 v82, v95, v67 :: v_dual_mul_f32 v95, 0x3fb8aa3b, v97
	v_exp_f32_e32 v97, v103
	s_delay_alu instid0(VALU_DEP_2) | instskip(NEXT) | instid1(VALU_DEP_2)
	v_dual_fmac_f32 v68, v102, v90 :: v_dual_mul_f32 v89, 0x3fb8aa3b, v89
	v_mul_f32_e32 v82, 0x3fb8aa3b, v82
	s_delay_alu instid0(VALU_DEP_3) | instskip(NEXT) | instid1(VALU_DEP_2)
	v_exp_f32_e32 v95, v95
	v_exp_f32_e32 v89, v89
	s_delay_alu instid0(VALU_DEP_1)
	v_exp_f32_e32 v82, v82
	v_fmac_f32_e32 v68, v97, v91
	s_delay_alu instid0(TRANS32_DEP_3) | instid1(VALU_DEP_1)
	v_fmac_f32_e32 v68, v95, v92
	s_waitcnt_depctr 0xfff
	v_fmac_f32_e32 v68, v82, v93
	s_delay_alu instid0(VALU_DEP_1) | instskip(NEXT) | instid1(VALU_DEP_1)
	v_fmac_f32_e32 v68, v89, v94
	v_add_f32_e32 v90, 0x358637bd, v68
	s_delay_alu instid0(VALU_DEP_1) | instskip(NEXT) | instid1(VALU_DEP_1)
	v_div_scale_f32 v91, null, v90, v90, 1.0
	v_rcp_f32_e32 v92, v91
	s_waitcnt_depctr 0xfff
	v_fma_f32 v93, -v91, v92, 1.0
	s_delay_alu instid0(VALU_DEP_1) | instskip(SKIP_1) | instid1(VALU_DEP_2)
	v_dual_fmac_f32 v92, v93, v92 :: v_dual_cndmask_b32 v93, v100, v99
	v_cmp_eq_u32_e32 vcc_lo, 3, v66
	v_cndmask_b32_e64 v93, v93, v101, s2
	v_cmp_eq_u32_e64 s2, 4, v66
	s_delay_alu instid0(VALU_DEP_2) | instskip(SKIP_1) | instid1(VALU_DEP_2)
	v_cndmask_b32_e32 v93, v93, v102, vcc_lo
	v_cmp_eq_u32_e32 vcc_lo, 5, v66
	v_cndmask_b32_e64 v93, v93, v97, s2
	v_cmp_eq_u32_e64 s2, 6, v66
	s_delay_alu instid0(VALU_DEP_2) | instskip(SKIP_1) | instid1(VALU_DEP_1)
	v_cndmask_b32_e32 v93, v93, v95, vcc_lo
	v_div_scale_f32 v94, s3, 1.0, v90, 1.0
	s_mov_b32 vcc_lo, s3
	s_delay_alu instid0(VALU_DEP_2) | instskip(NEXT) | instid1(VALU_DEP_2)
	v_cndmask_b32_e64 v82, v93, v82, s2
	v_mul_f32_e32 v96, v94, v92
	s_mov_b32 s2, exec_lo
	s_delay_alu instid0(VALU_DEP_2) | instskip(NEXT) | instid1(VALU_DEP_2)
	v_cndmask_b32_e64 v82, v82, v89, s4
	v_fma_f32 v98, -v91, v96, v94
	s_delay_alu instid0(VALU_DEP_1) | instskip(NEXT) | instid1(VALU_DEP_1)
	v_fmac_f32_e32 v96, v98, v92
	v_fma_f32 v91, -v91, v96, v94
	s_delay_alu instid0(VALU_DEP_1) | instskip(NEXT) | instid1(VALU_DEP_1)
	v_div_fmas_f32 v91, v91, v92, v96
	v_div_fixup_f32 v90, v91, v90, 1.0
	s_delay_alu instid0(VALU_DEP_1) | instskip(NEXT) | instid1(VALU_DEP_1)
	v_mul_f32_e32 v82, v82, v90
	v_mul_f32_e32 v87, v82, v87
	;; [unrolled: 1-line block ×7, first 2 shown]
	v_dual_mul_f32 v86, v82, v83 :: v_dual_and_b32 v91, 0x7f800000, v90
	v_mul_f32_e32 v85, v82, v76
                                        ; implicit-def: $vgpr76
	s_delay_alu instid0(VALU_DEP_2)
	v_cmpx_ne_u32_e32 0x7f800000, v91
	s_xor_b32 s2, exec_lo, s2
; %bb.13:
	v_bfe_u32 v76, v90, 16, 1
	s_delay_alu instid0(VALU_DEP_1)
	v_add3_u32 v76, v90, v76, 0x7fff
                                        ; implicit-def: $vgpr90
; %bb.14:
	s_and_not1_saveexec_b32 s2, s2
; %bb.15:
	v_and_b32_e32 v76, 0xffff, v90
	v_or_b32_e32 v83, 0x10000, v90
	s_delay_alu instid0(VALU_DEP_2) | instskip(NEXT) | instid1(VALU_DEP_2)
	v_cmp_eq_u32_e32 vcc_lo, 0, v76
	v_cndmask_b32_e32 v76, v83, v90, vcc_lo
; %bb.16:
	s_or_b32 exec_lo, exec_lo, s2
	v_and_b32_e32 v83, 0x7f800000, v85
	s_delay_alu instid0(VALU_DEP_1) | instskip(SKIP_1) | instid1(SALU_CYCLE_1)
	v_cmp_ne_u32_e32 vcc_lo, 0x7f800000, v83
                                        ; implicit-def: $vgpr83
	s_and_saveexec_b32 s2, vcc_lo
	s_xor_b32 s2, exec_lo, s2
; %bb.17:
	v_bfe_u32 v83, v85, 16, 1
	s_delay_alu instid0(VALU_DEP_1)
	v_add3_u32 v83, v85, v83, 0x7fff
                                        ; implicit-def: $vgpr85
; %bb.18:
	s_and_not1_saveexec_b32 s2, s2
; %bb.19:
	v_and_b32_e32 v83, 0xffff, v85
	v_or_b32_e32 v90, 0x10000, v85
	s_delay_alu instid0(VALU_DEP_2) | instskip(NEXT) | instid1(VALU_DEP_2)
	v_cmp_eq_u32_e32 vcc_lo, 0, v83
	v_cndmask_b32_e32 v83, v90, v85, vcc_lo
; %bb.20:
	s_or_b32 exec_lo, exec_lo, s2
	v_and_b32_e32 v85, 0x7f800000, v86
	s_delay_alu instid0(VALU_DEP_1) | instskip(SKIP_1) | instid1(SALU_CYCLE_1)
	v_cmp_ne_u32_e32 vcc_lo, 0x7f800000, v85
                                        ; implicit-def: $vgpr85
	s_and_saveexec_b32 s2, vcc_lo
	s_xor_b32 s2, exec_lo, s2
; %bb.21:
	v_bfe_u32 v85, v86, 16, 1
	s_delay_alu instid0(VALU_DEP_1)
	v_add3_u32 v85, v86, v85, 0x7fff
                                        ; implicit-def: $vgpr86
; %bb.22:
	s_and_not1_saveexec_b32 s2, s2
; %bb.23:
	v_and_b32_e32 v85, 0xffff, v86
	v_or_b32_e32 v90, 0x10000, v86
	s_delay_alu instid0(VALU_DEP_2) | instskip(NEXT) | instid1(VALU_DEP_2)
	v_cmp_eq_u32_e32 vcc_lo, 0, v85
	v_cndmask_b32_e32 v85, v90, v86, vcc_lo
; %bb.24:
	s_or_b32 exec_lo, exec_lo, s2
	v_and_b32_e32 v86, 0x7f800000, v89
	s_delay_alu instid0(VALU_DEP_1) | instskip(SKIP_1) | instid1(SALU_CYCLE_1)
	v_cmp_ne_u32_e32 vcc_lo, 0x7f800000, v86
                                        ; implicit-def: $vgpr86
	s_and_saveexec_b32 s2, vcc_lo
	s_xor_b32 s2, exec_lo, s2
; %bb.25:
	v_bfe_u32 v86, v89, 16, 1
	s_delay_alu instid0(VALU_DEP_1)
	v_add3_u32 v86, v89, v86, 0x7fff
                                        ; implicit-def: $vgpr89
; %bb.26:
	s_and_not1_saveexec_b32 s2, s2
; %bb.27:
	v_and_b32_e32 v86, 0xffff, v89
	v_or_b32_e32 v90, 0x10000, v89
	s_delay_alu instid0(VALU_DEP_2) | instskip(NEXT) | instid1(VALU_DEP_2)
	v_cmp_eq_u32_e32 vcc_lo, 0, v86
	v_cndmask_b32_e32 v86, v90, v89, vcc_lo
; %bb.28:
	s_or_b32 exec_lo, exec_lo, s2
	v_and_b32_e32 v89, 0x7f800000, v88
	s_delay_alu instid0(VALU_DEP_1) | instskip(SKIP_1) | instid1(SALU_CYCLE_1)
	v_cmp_ne_u32_e32 vcc_lo, 0x7f800000, v89
                                        ; implicit-def: $vgpr89
	s_and_saveexec_b32 s2, vcc_lo
	s_xor_b32 s2, exec_lo, s2
; %bb.29:
	v_bfe_u32 v89, v88, 16, 1
	s_delay_alu instid0(VALU_DEP_1)
	v_add3_u32 v89, v88, v89, 0x7fff
                                        ; implicit-def: $vgpr88
; %bb.30:
	s_and_not1_saveexec_b32 s2, s2
; %bb.31:
	v_and_b32_e32 v89, 0xffff, v88
	v_or_b32_e32 v90, 0x10000, v88
	s_delay_alu instid0(VALU_DEP_2) | instskip(NEXT) | instid1(VALU_DEP_2)
	v_cmp_eq_u32_e32 vcc_lo, 0, v89
	v_cndmask_b32_e32 v89, v90, v88, vcc_lo
; %bb.32:
	s_or_b32 exec_lo, exec_lo, s2
	v_and_b32_e32 v88, 0x7f800000, v87
	s_delay_alu instid0(VALU_DEP_1) | instskip(SKIP_1) | instid1(SALU_CYCLE_1)
	v_cmp_ne_u32_e32 vcc_lo, 0x7f800000, v88
                                        ; implicit-def: $vgpr88
	s_and_saveexec_b32 s2, vcc_lo
	s_xor_b32 s2, exec_lo, s2
; %bb.33:
	v_bfe_u32 v88, v87, 16, 1
	s_delay_alu instid0(VALU_DEP_1)
	v_add3_u32 v88, v87, v88, 0x7fff
                                        ; implicit-def: $vgpr87
; %bb.34:
	s_and_not1_saveexec_b32 s2, s2
; %bb.35:
	v_and_b32_e32 v88, 0xffff, v87
	v_or_b32_e32 v90, 0x10000, v87
	s_delay_alu instid0(VALU_DEP_2) | instskip(NEXT) | instid1(VALU_DEP_2)
	v_cmp_eq_u32_e32 vcc_lo, 0, v88
	v_cndmask_b32_e32 v88, v90, v87, vcc_lo
; %bb.36:
	s_or_b32 exec_lo, exec_lo, s2
	v_and_b32_e32 v87, 0x7f800000, v84
	s_delay_alu instid0(VALU_DEP_1) | instskip(SKIP_1) | instid1(SALU_CYCLE_1)
	v_cmp_ne_u32_e32 vcc_lo, 0x7f800000, v87
                                        ; implicit-def: $vgpr87
	s_and_saveexec_b32 s2, vcc_lo
	s_xor_b32 s2, exec_lo, s2
; %bb.37:
	v_bfe_u32 v87, v84, 16, 1
	s_delay_alu instid0(VALU_DEP_1)
	v_add3_u32 v87, v84, v87, 0x7fff
                                        ; implicit-def: $vgpr84
; %bb.38:
	s_and_not1_saveexec_b32 s2, s2
; %bb.39:
	v_and_b32_e32 v87, 0xffff, v84
	v_or_b32_e32 v90, 0x10000, v84
	s_delay_alu instid0(VALU_DEP_2) | instskip(NEXT) | instid1(VALU_DEP_2)
	v_cmp_eq_u32_e32 vcc_lo, 0, v87
	v_cndmask_b32_e32 v87, v90, v84, vcc_lo
; %bb.40:
	s_or_b32 exec_lo, exec_lo, s2
	v_and_b32_e32 v84, 0x7f800000, v80
	s_delay_alu instid0(VALU_DEP_1) | instskip(SKIP_1) | instid1(SALU_CYCLE_1)
	v_cmp_ne_u32_e32 vcc_lo, 0x7f800000, v84
                                        ; implicit-def: $vgpr84
	s_and_saveexec_b32 s2, vcc_lo
	s_xor_b32 s2, exec_lo, s2
; %bb.41:
	v_bfe_u32 v84, v80, 16, 1
	s_delay_alu instid0(VALU_DEP_1)
	v_add3_u32 v84, v80, v84, 0x7fff
                                        ; implicit-def: $vgpr80
; %bb.42:
	s_and_not1_saveexec_b32 s2, s2
; %bb.43:
	v_and_b32_e32 v84, 0xffff, v80
	v_or_b32_e32 v90, 0x10000, v80
	s_delay_alu instid0(VALU_DEP_2) | instskip(NEXT) | instid1(VALU_DEP_2)
	v_cmp_eq_u32_e32 vcc_lo, 0, v84
	v_cndmask_b32_e32 v84, v90, v80, vcc_lo
; %bb.44:
	s_or_b32 exec_lo, exec_lo, s2
	s_load_b64 s[34:35], s[0:1], 0x94
	v_lshlrev_b32_e32 v91, 4, v74
	s_delay_alu instid0(VALU_DEP_2)
	v_perm_b32 v90, v84, v87, 0x7060302
	v_dual_mul_f32 v79, v82, v79 :: v_dual_lshlrev_b32 v80, 6, v65
	v_dual_mul_f32 v77, v82, v77 :: v_dual_lshlrev_b32 v92, 11, v66
	v_mul_f32_e32 v84, v82, v70
	v_perm_b32 v89, v88, v89, 0x7060302
	v_perm_b32 v88, v86, v85, 0x7060302
	;; [unrolled: 1-line block ×3, first 2 shown]
	v_mul_f32_e32 v70, v82, v81
	v_or3_b32 v76, v91, v92, v80
	v_dual_mul_f32 v78, v82, v78 :: v_dual_and_b32 v85, 0x7f800000, v84
	v_mul_f32_e32 v83, v82, v72
	v_mul_f32_e32 v81, v82, v71
	;; [unrolled: 1-line block ×3, first 2 shown]
	s_mov_b32 s2, exec_lo
	ds_store_b128 v76, v[87:90]
                                        ; implicit-def: $vgpr69
	v_cmpx_ne_u32_e32 0x7f800000, v85
	s_xor_b32 s2, exec_lo, s2
; %bb.45:
	v_bfe_u32 v69, v84, 16, 1
	s_delay_alu instid0(VALU_DEP_1)
	v_add3_u32 v69, v84, v69, 0x7fff
                                        ; implicit-def: $vgpr84
; %bb.46:
	s_and_not1_saveexec_b32 s2, s2
; %bb.47:
	v_and_b32_e32 v69, 0xffff, v84
	v_or_b32_e32 v71, 0x10000, v84
	s_delay_alu instid0(VALU_DEP_2) | instskip(NEXT) | instid1(VALU_DEP_2)
	v_cmp_eq_u32_e32 vcc_lo, 0, v69
	v_cndmask_b32_e32 v69, v71, v84, vcc_lo
; %bb.48:
	s_or_b32 exec_lo, exec_lo, s2
	v_and_b32_e32 v71, 0x7f800000, v72
	s_delay_alu instid0(VALU_DEP_1) | instskip(SKIP_1) | instid1(SALU_CYCLE_1)
	v_cmp_ne_u32_e32 vcc_lo, 0x7f800000, v71
                                        ; implicit-def: $vgpr71
	s_and_saveexec_b32 s2, vcc_lo
	s_xor_b32 s2, exec_lo, s2
; %bb.49:
	v_bfe_u32 v71, v72, 16, 1
	s_delay_alu instid0(VALU_DEP_1)
	v_add3_u32 v71, v72, v71, 0x7fff
                                        ; implicit-def: $vgpr72
; %bb.50:
	s_and_not1_saveexec_b32 s2, s2
; %bb.51:
	v_and_b32_e32 v71, 0xffff, v72
	v_or_b32_e32 v82, 0x10000, v72
	s_delay_alu instid0(VALU_DEP_2) | instskip(NEXT) | instid1(VALU_DEP_2)
	v_cmp_eq_u32_e32 vcc_lo, 0, v71
	v_cndmask_b32_e32 v71, v82, v72, vcc_lo
; %bb.52:
	s_or_b32 exec_lo, exec_lo, s2
	v_and_b32_e32 v72, 0x7f800000, v81
	s_delay_alu instid0(VALU_DEP_1) | instskip(SKIP_1) | instid1(SALU_CYCLE_1)
	v_cmp_ne_u32_e32 vcc_lo, 0x7f800000, v72
                                        ; implicit-def: $vgpr72
	s_and_saveexec_b32 s2, vcc_lo
	s_xor_b32 s2, exec_lo, s2
; %bb.53:
	v_bfe_u32 v72, v81, 16, 1
	s_delay_alu instid0(VALU_DEP_1)
	v_add3_u32 v72, v81, v72, 0x7fff
                                        ; implicit-def: $vgpr81
; %bb.54:
	s_and_not1_saveexec_b32 s2, s2
; %bb.55:
	v_and_b32_e32 v72, 0xffff, v81
	v_or_b32_e32 v82, 0x10000, v81
	s_delay_alu instid0(VALU_DEP_2) | instskip(NEXT) | instid1(VALU_DEP_2)
	v_cmp_eq_u32_e32 vcc_lo, 0, v72
	v_cndmask_b32_e32 v72, v82, v81, vcc_lo
; %bb.56:
	s_or_b32 exec_lo, exec_lo, s2
	v_and_b32_e32 v81, 0x7f800000, v83
	s_delay_alu instid0(VALU_DEP_1) | instskip(SKIP_1) | instid1(SALU_CYCLE_1)
	v_cmp_ne_u32_e32 vcc_lo, 0x7f800000, v81
                                        ; implicit-def: $vgpr81
	s_and_saveexec_b32 s2, vcc_lo
	s_xor_b32 s2, exec_lo, s2
; %bb.57:
	v_bfe_u32 v81, v83, 16, 1
	s_delay_alu instid0(VALU_DEP_1)
	v_add3_u32 v81, v83, v81, 0x7fff
                                        ; implicit-def: $vgpr83
; %bb.58:
	s_and_not1_saveexec_b32 s2, s2
; %bb.59:
	v_and_b32_e32 v81, 0xffff, v83
	v_or_b32_e32 v82, 0x10000, v83
	s_delay_alu instid0(VALU_DEP_2) | instskip(NEXT) | instid1(VALU_DEP_2)
	v_cmp_eq_u32_e32 vcc_lo, 0, v81
	v_cndmask_b32_e32 v81, v82, v83, vcc_lo
; %bb.60:
	s_or_b32 exec_lo, exec_lo, s2
	v_and_b32_e32 v82, 0x7f800000, v77
	s_delay_alu instid0(VALU_DEP_1) | instskip(SKIP_1) | instid1(SALU_CYCLE_1)
	v_cmp_ne_u32_e32 vcc_lo, 0x7f800000, v82
                                        ; implicit-def: $vgpr82
	s_and_saveexec_b32 s2, vcc_lo
	s_xor_b32 s2, exec_lo, s2
; %bb.61:
	v_bfe_u32 v82, v77, 16, 1
	s_delay_alu instid0(VALU_DEP_1)
	v_add3_u32 v82, v77, v82, 0x7fff
                                        ; implicit-def: $vgpr77
; %bb.62:
	s_and_not1_saveexec_b32 s2, s2
; %bb.63:
	v_and_b32_e32 v82, 0xffff, v77
	v_or_b32_e32 v83, 0x10000, v77
	s_delay_alu instid0(VALU_DEP_2) | instskip(NEXT) | instid1(VALU_DEP_2)
	v_cmp_eq_u32_e32 vcc_lo, 0, v82
	v_cndmask_b32_e32 v82, v83, v77, vcc_lo
; %bb.64:
	s_or_b32 exec_lo, exec_lo, s2
	v_and_b32_e32 v77, 0x7f800000, v78
	s_delay_alu instid0(VALU_DEP_1) | instskip(SKIP_1) | instid1(SALU_CYCLE_1)
	v_cmp_ne_u32_e32 vcc_lo, 0x7f800000, v77
                                        ; implicit-def: $vgpr77
	s_and_saveexec_b32 s2, vcc_lo
	s_xor_b32 s2, exec_lo, s2
; %bb.65:
	v_bfe_u32 v77, v78, 16, 1
	s_delay_alu instid0(VALU_DEP_1)
	v_add3_u32 v77, v78, v77, 0x7fff
                                        ; implicit-def: $vgpr78
; %bb.66:
	s_and_not1_saveexec_b32 s2, s2
; %bb.67:
	v_and_b32_e32 v77, 0xffff, v78
	v_or_b32_e32 v83, 0x10000, v78
	s_delay_alu instid0(VALU_DEP_2) | instskip(NEXT) | instid1(VALU_DEP_2)
	v_cmp_eq_u32_e32 vcc_lo, 0, v77
	v_cndmask_b32_e32 v77, v83, v78, vcc_lo
; %bb.68:
	s_or_b32 exec_lo, exec_lo, s2
	v_and_b32_e32 v78, 0x7f800000, v79
	s_delay_alu instid0(VALU_DEP_1) | instskip(SKIP_1) | instid1(SALU_CYCLE_1)
	v_cmp_ne_u32_e32 vcc_lo, 0x7f800000, v78
                                        ; implicit-def: $vgpr78
	s_and_saveexec_b32 s2, vcc_lo
	s_xor_b32 s2, exec_lo, s2
; %bb.69:
	v_bfe_u32 v78, v79, 16, 1
	s_delay_alu instid0(VALU_DEP_1)
	v_add3_u32 v78, v79, v78, 0x7fff
                                        ; implicit-def: $vgpr79
; %bb.70:
	s_and_not1_saveexec_b32 s2, s2
; %bb.71:
	v_and_b32_e32 v78, 0xffff, v79
	v_or_b32_e32 v83, 0x10000, v79
	s_delay_alu instid0(VALU_DEP_2) | instskip(NEXT) | instid1(VALU_DEP_2)
	v_cmp_eq_u32_e32 vcc_lo, 0, v78
	v_cndmask_b32_e32 v78, v83, v79, vcc_lo
; %bb.72:
	s_or_b32 exec_lo, exec_lo, s2
	v_and_b32_e32 v79, 0x7f800000, v70
	s_delay_alu instid0(VALU_DEP_1) | instskip(SKIP_1) | instid1(SALU_CYCLE_1)
	v_cmp_ne_u32_e32 vcc_lo, 0x7f800000, v79
                                        ; implicit-def: $vgpr79
	s_and_saveexec_b32 s2, vcc_lo
	s_xor_b32 s2, exec_lo, s2
; %bb.73:
	v_bfe_u32 v79, v70, 16, 1
	s_delay_alu instid0(VALU_DEP_1)
	v_add3_u32 v79, v70, v79, 0x7fff
                                        ; implicit-def: $vgpr70
; %bb.74:
	s_and_not1_saveexec_b32 s2, s2
; %bb.75:
	v_and_b32_e32 v79, 0xffff, v70
	v_or_b32_e32 v83, 0x10000, v70
	s_delay_alu instid0(VALU_DEP_2) | instskip(NEXT) | instid1(VALU_DEP_2)
	v_cmp_eq_u32_e32 vcc_lo, 0, v79
	v_cndmask_b32_e32 v79, v83, v70, vcc_lo
; %bb.76:
	s_or_b32 exec_lo, exec_lo, s2
	s_delay_alu instid0(VALU_DEP_1)
	v_perm_b32 v86, v79, v78, 0x7060302
	v_perm_b32 v85, v77, v82, 0x7060302
	;; [unrolled: 1-line block ×4, first 2 shown]
	v_lshl_or_b32 v82, v66, 11, v80
	ds_store_b128 v76, v[83:86] offset:1024
	s_waitcnt lgkmcnt(0)
	s_barrier
	buffer_gl0_inv
	ds_load_b128 v[69:72], v82
	ds_load_b128 v[83:86], v82 offset:16
	s_waitcnt lgkmcnt(1)
	v_lshrrev_b32_e32 v66, 16, v69
	s_waitcnt lgkmcnt(0)
	v_lshrrev_b32_e32 v91, 16, v83
	v_lshlrev_b32_e32 v78, 2, v74
	v_lshrrev_b32_e32 v95, 16, v70
	v_lshrrev_b32_e32 v98, 16, v84
	;; [unrolled: 1-line block ×4, first 2 shown]
	v_cmp_eq_u32_e32 vcc_lo, 1, v78
	v_lshrrev_b32_e32 v97, 16, v72
	v_lshrrev_b32_e32 v100, 16, v86
	v_cndmask_b32_e32 v87, v83, v91, vcc_lo
	v_or_b32_e32 v79, 1, v78
	v_cndmask_b32_e32 v81, v69, v66, vcc_lo
	v_cmp_eq_u32_e64 s3, 2, v78
	v_cmp_eq_u32_e64 s6, 3, v78
	;; [unrolled: 1-line block ×5, first 2 shown]
	v_cndmask_b32_e64 v81, v81, v70, s3
	v_cndmask_b32_e64 v87, v87, v84, s3
	v_cmp_eq_u32_e64 s7, 3, v79
	v_cndmask_b32_e64 v88, v69, v66, s2
	v_or_b32_e32 v77, 2, v78
	v_cndmask_b32_e64 v81, v81, v95, s6
	v_cndmask_b32_e64 v87, v87, v98, s6
	;; [unrolled: 1-line block ×4, first 2 shown]
	v_cmp_eq_u32_e64 s9, 5, v78
	v_cndmask_b32_e64 v81, v81, v71, s8
	v_cndmask_b32_e64 v87, v87, v85, s8
	v_cmp_eq_u32_e64 s10, 4, v79
	v_cndmask_b32_e64 v88, v88, v95, s7
	v_cmp_eq_u32_e64 s4, 1, v77
	v_cndmask_b32_e64 v89, v89, v84, s5
	v_cndmask_b32_e64 v81, v81, v96, s9
	v_cmp_eq_u32_e64 s11, 6, v78
	v_cndmask_b32_e64 v88, v88, v71, s10
	;; [unrolled: 3-line block ×3, first 2 shown]
	v_cndmask_b32_e64 v89, v89, v98, s7
	v_cndmask_b32_e64 v81, v81, v72, s11
	v_cmp_eq_u32_e64 s13, 7, v78
	v_cndmask_b32_e64 v88, v88, v96, s12
	v_cndmask_b32_e64 v87, v87, v86, s11
	v_cmp_eq_u32_e64 s15, 6, v79
	v_cmp_eq_u32_e64 s16, 2, v77
	v_cndmask_b32_e64 v89, v89, v85, s10
	v_cndmask_b32_e64 v101, v81, v97, s13
	;; [unrolled: 1-line block ×6, first 2 shown]
	v_cmp_eq_u32_e64 s17, 7, v79
	v_cmp_eq_u32_e64 s18, 3, v77
	;; [unrolled: 1-line block ×4, first 2 shown]
	v_cndmask_b32_e64 v87, v87, v84, s16
	v_cndmask_b32_e64 v103, v88, v97, s17
	;; [unrolled: 1-line block ×4, first 2 shown]
	v_or_b32_e32 v81, 3, v78
	v_cndmask_b32_e64 v93, v87, v98, s18
	v_cmp_eq_u32_e64 s23, 6, v77
	v_cndmask_b32_e64 v104, v88, v86, s15
	v_cndmask_b32_e64 v92, v89, v71, s19
	v_cmp_eq_u32_e64 s20, 1, v81
	ds_load_b128 v[87:90], v82 offset:1024
	v_cmp_eq_u32_e64 s22, 2, v81
	v_cmp_eq_u32_e64 s24, 3, v81
	v_cndmask_b32_e64 v105, v92, v96, s21
	v_cndmask_b32_e64 v66, v69, v66, s20
	;; [unrolled: 1-line block ×4, first 2 shown]
	ds_load_b128 v[91:94], v82 offset:1040
	v_cmp_eq_u32_e64 s25, 4, v81
	v_cndmask_b32_e64 v66, v66, v70, s22
	v_cmp_eq_u32_e64 s26, 7, v77
	v_cndmask_b32_e64 v70, v83, v84, s22
	v_cndmask_b32_e64 v84, v105, v72, s23
	v_cmp_eq_u32_e64 s27, 5, v81
	v_cndmask_b32_e64 v66, v66, v95, s24
	v_cmp_eq_u32_e64 s28, 6, v81
	v_cndmask_b32_e64 v70, v70, v98, s24
	v_cndmask_b32_e64 v69, v69, v99, s21
	v_cndmask_b32_e64 v83, v104, v100, s17
	v_cndmask_b32_e64 v66, v66, v71, s25
	s_waitcnt lgkmcnt(1)
	v_lshrrev_b32_e32 v95, 16, v87
	v_cndmask_b32_e64 v70, v70, v85, s25
	v_cndmask_b32_e64 v71, v84, v97, s26
	;; [unrolled: 1-line block ×4, first 2 shown]
	v_cndmask_b32_e32 v84, v87, v95, vcc_lo
	v_cndmask_b32_e64 v70, v70, v99, s27
	s_waitcnt lgkmcnt(0)
	v_lshrrev_b32_e32 v85, 16, v91
	v_lshrrev_b32_e32 v96, 16, v88
	v_cndmask_b32_e64 v98, v87, v95, s2
	v_cndmask_b32_e64 v84, v84, v88, s3
	;; [unrolled: 1-line block ×3, first 2 shown]
	v_cndmask_b32_e32 v99, v91, v85, vcc_lo
	v_cmp_eq_u32_e32 vcc_lo, 7, v81
	v_cndmask_b32_e64 v66, v66, v72, s28
	v_cndmask_b32_e64 v72, v84, v96, s6
	;; [unrolled: 1-line block ×3, first 2 shown]
	v_lshrrev_b32_e32 v98, 16, v92
	v_cndmask_b32_e32 v70, v70, v100, vcc_lo
	v_cndmask_b32_e64 v86, v99, v92, s3
	v_cndmask_b32_e64 v69, v69, v100, s26
	v_lshrrev_b32_e32 v100, 16, v93
	v_cndmask_b32_e64 v72, v72, v89, s8
	v_lshrrev_b32_e32 v99, 16, v89
	v_cndmask_b32_e64 v86, v86, v98, s6
	v_perm_b32 v71, v69, v71, 0x5040100
	v_cndmask_b32_e64 v84, v84, v96, s7
	s_delay_alu instid0(VALU_DEP_3) | instskip(NEXT) | instid1(VALU_DEP_2)
	v_cndmask_b32_e64 v86, v86, v93, s8
	v_cndmask_b32_e64 v84, v84, v89, s10
	s_delay_alu instid0(VALU_DEP_2) | instskip(NEXT) | instid1(VALU_DEP_1)
	v_cndmask_b32_e64 v86, v86, v100, s9
	v_cndmask_b32_e64 v69, v86, v94, s11
	v_cndmask_b32_e64 v86, v87, v95, s4
	v_cndmask_b32_e64 v87, v87, v95, s20
	v_cndmask_b32_e64 v95, v91, v85, s20
	s_delay_alu instid0(VALU_DEP_3) | instskip(NEXT) | instid1(VALU_DEP_3)
	v_cndmask_b32_e64 v86, v86, v88, s16
	v_cndmask_b32_e64 v87, v87, v88, s22
	s_delay_alu instid0(VALU_DEP_3) | instskip(NEXT) | instid1(VALU_DEP_3)
	v_cndmask_b32_e64 v88, v95, v92, s22
	v_cndmask_b32_e64 v86, v86, v96, s18
	;; [unrolled: 3-line block ×7, first 2 shown]
	s_delay_alu instid0(VALU_DEP_3) | instskip(SKIP_2) | instid1(VALU_DEP_2)
	v_cndmask_b32_e64 v88, v88, v94, s28
	v_cndmask_b32_e32 v66, v66, v97, vcc_lo
	v_cndmask_b32_e64 v97, v72, v99, s9
	v_perm_b32 v72, v70, v66, 0x5040100
	v_perm_b32 v70, v83, v103, 0x5040100
	v_cndmask_b32_e64 v103, v91, v85, s4
	v_cndmask_b32_e64 v85, v91, v85, s2
	;; [unrolled: 1-line block ×4, first 2 shown]
	v_lshrrev_b32_e32 v97, 16, v90
	v_cndmask_b32_e64 v91, v103, v92, s16
	v_cndmask_b32_e64 v85, v85, v92, s5
	;; [unrolled: 1-line block ×3, first 2 shown]
	s_mov_b32 s2, exec_lo
	v_cndmask_b32_e64 v83, v84, v97, s13
	v_cndmask_b32_e64 v91, v91, v98, s18
	v_cndmask_b32_e64 v85, v85, v98, s7
	v_lshrrev_b32_e32 v84, 16, v94
	v_cndmask_b32_e64 v66, v66, v97, s17
	v_cndmask_b32_e64 v90, v86, v97, s26
	;; [unrolled: 1-line block ×4, first 2 shown]
	v_dual_cndmask_b32 v86, v87, v97 :: v_dual_cndmask_b32 v87, v88, v84
	v_cndmask_b32_e64 v91, v69, v84, s13
	s_delay_alu instid0(VALU_DEP_4) | instskip(NEXT) | instid1(VALU_DEP_4)
	v_cndmask_b32_e64 v89, v89, v100, s21
	v_cndmask_b32_e64 v85, v85, v100, s12
	v_perm_b32 v69, v102, v101, 0x5040100
	v_perm_b32 v86, v87, v86, 0x5040100
	;; [unrolled: 1-line block ×3, first 2 shown]
	v_cndmask_b32_e64 v89, v89, v94, s23
	v_cndmask_b32_e64 v85, v85, v94, s15
	s_mul_i32 s7, s35, 12
	s_delay_alu instid0(VALU_DEP_2) | instskip(NEXT) | instid1(VALU_DEP_2)
	v_cndmask_b32_e64 v88, v89, v84, s26
	v_cndmask_b32_e64 v89, v85, v84, s17
	s_delay_alu instid0(VALU_DEP_2) | instskip(NEXT) | instid1(VALU_DEP_2)
	v_perm_b32 v85, v88, v90, 0x5040100
	v_perm_b32 v84, v89, v66, 0x5040100
	ds_store_b128 v76, v[69:72]
	ds_store_b128 v76, v[83:86] offset:1024
	v_cmpx_gt_u32_e32 12, v0
	s_cbranch_execz .LBB1557_78
; %bb.77:
	s_mul_i32 s3, s7, s30
	s_load_b128 s[8:11], s[0:1], 0x58
	v_add3_u32 v69, s3, s29, v65
	s_delay_alu instid0(VALU_DEP_1) | instskip(NEXT) | instid1(VALU_DEP_1)
	v_mad_u64_u32 v[65:66], null, v69, s34, s[14:15]
	v_ashrrev_i32_e32 v66, 31, v65
	s_delay_alu instid0(VALU_DEP_1) | instskip(SKIP_1) | instid1(VALU_DEP_1)
	v_lshlrev_b64 v[65:66], 2, v[65:66]
	s_waitcnt lgkmcnt(0)
	v_add_co_u32 v69, vcc_lo, s10, v65
	s_delay_alu instid0(VALU_DEP_2)
	v_add_co_ci_u32_e32 v70, vcc_lo, s11, v66, vcc_lo
	v_add_co_u32 v65, vcc_lo, s8, v65
	v_add_co_ci_u32_e32 v66, vcc_lo, s9, v66, vcc_lo
	global_store_b32 v[69:70], v67, off
	global_store_b32 v[65:66], v68, off
.LBB1557_78:
	s_or_b32 exec_lo, exec_lo, s2
	s_waitcnt lgkmcnt(0)
	s_waitcnt_vscnt null, 0x0
	s_barrier
	buffer_gl0_inv
	ds_load_b128 v[83:86], v80
	ds_load_b128 v[87:90], v80 offset:16
	ds_load_b128 v[95:98], v80 offset:2064
	;; [unrolled: 1-line block ×3, first 2 shown]
	v_mov_b32_e32 v65, 0
	ds_load_b128 v[103:106], v80 offset:4112
	ds_load_b128 v[99:102], v80 offset:4096
	;; [unrolled: 1-line block ×4, first 2 shown]
	v_mov_b32_e32 v66, v65
	v_mov_b32_e32 v67, v65
	;; [unrolled: 1-line block ×7, first 2 shown]
	s_waitcnt lgkmcnt(6)
	s_delay_alu instid0(VALU_DEP_1)
	v_wmma_f32_16x16x16_bf16 v[65:72], v[49:56], v[83:90], v[65:72]
	ds_load_b128 v[53:56], v80 offset:8208
	ds_load_b128 v[49:52], v80 offset:8192
	s_waitcnt lgkmcnt(6)
	v_wmma_f32_16x16x16_bf16 v[65:72], v[41:48], v[91:98], v[65:72]
	ds_load_b128 v[45:48], v80 offset:10256
	ds_load_b128 v[41:44], v80 offset:10240
	s_waitcnt lgkmcnt(6)
	;; [unrolled: 4-line block ×4, first 2 shown]
	v_wmma_f32_16x16x16_bf16 v[65:72], v[1:8], v[49:56], v[65:72]
	s_waitcnt lgkmcnt(4)
	s_delay_alu instid0(VALU_DEP_1) | instskip(SKIP_1) | instid1(VALU_DEP_1)
	v_wmma_f32_16x16x16_bf16 v[65:72], v[9:16], v[41:48], v[65:72]
	s_waitcnt lgkmcnt(2)
	v_wmma_f32_16x16x16_bf16 v[65:72], v[17:24], v[33:40], v[65:72]
	s_waitcnt lgkmcnt(0)
	s_delay_alu instid0(VALU_DEP_1) | instskip(NEXT) | instid1(VALU_DEP_1)
	v_wmma_f32_16x16x16_bf16 v[65:72], v[57:64], v[25:32], v[65:72]
	v_and_b32_e32 v1, 0x7f800000, v65
	s_delay_alu instid0(VALU_DEP_1) | instskip(SKIP_1) | instid1(SALU_CYCLE_1)
	v_cmp_ne_u32_e32 vcc_lo, 0x7f800000, v1
                                        ; implicit-def: $vgpr1
	s_and_saveexec_b32 s2, vcc_lo
	s_xor_b32 s2, exec_lo, s2
; %bb.79:
	v_bfe_u32 v1, v65, 16, 1
	s_delay_alu instid0(VALU_DEP_1)
	v_add3_u32 v1, v65, v1, 0x7fff
; %bb.80:
	s_and_not1_saveexec_b32 s2, s2
; %bb.81:
	v_and_b32_e32 v1, 0xffff, v65
	v_or_b32_e32 v2, 0x10000, v65
	s_delay_alu instid0(VALU_DEP_2) | instskip(NEXT) | instid1(VALU_DEP_2)
	v_cmp_eq_u32_e32 vcc_lo, 0, v1
	v_cndmask_b32_e32 v1, v2, v65, vcc_lo
; %bb.82:
	s_or_b32 exec_lo, exec_lo, s2
	v_and_b32_e32 v2, 0x7f800000, v66
	s_delay_alu instid0(VALU_DEP_1) | instskip(SKIP_1) | instid1(SALU_CYCLE_1)
	v_cmp_ne_u32_e32 vcc_lo, 0x7f800000, v2
                                        ; implicit-def: $vgpr2
	s_and_saveexec_b32 s2, vcc_lo
	s_xor_b32 s2, exec_lo, s2
; %bb.83:
	v_bfe_u32 v2, v66, 16, 1
	s_delay_alu instid0(VALU_DEP_1)
	v_add3_u32 v2, v66, v2, 0x7fff
; %bb.84:
	s_and_not1_saveexec_b32 s2, s2
; %bb.85:
	v_and_b32_e32 v2, 0xffff, v66
	v_or_b32_e32 v3, 0x10000, v66
	s_delay_alu instid0(VALU_DEP_2) | instskip(NEXT) | instid1(VALU_DEP_2)
	v_cmp_eq_u32_e32 vcc_lo, 0, v2
	v_cndmask_b32_e32 v2, v3, v66, vcc_lo
; %bb.86:
	s_or_b32 exec_lo, exec_lo, s2
	v_and_b32_e32 v3, 0x7f800000, v67
	s_delay_alu instid0(VALU_DEP_1) | instskip(SKIP_1) | instid1(SALU_CYCLE_1)
	v_cmp_ne_u32_e32 vcc_lo, 0x7f800000, v3
                                        ; implicit-def: $vgpr3
	s_and_saveexec_b32 s2, vcc_lo
	s_xor_b32 s2, exec_lo, s2
; %bb.87:
	v_bfe_u32 v3, v67, 16, 1
	s_delay_alu instid0(VALU_DEP_1)
	v_add3_u32 v3, v67, v3, 0x7fff
; %bb.88:
	s_and_not1_saveexec_b32 s2, s2
; %bb.89:
	v_and_b32_e32 v3, 0xffff, v67
	v_or_b32_e32 v4, 0x10000, v67
	s_delay_alu instid0(VALU_DEP_2) | instskip(NEXT) | instid1(VALU_DEP_2)
	v_cmp_eq_u32_e32 vcc_lo, 0, v3
	v_cndmask_b32_e32 v3, v4, v67, vcc_lo
; %bb.90:
	s_or_b32 exec_lo, exec_lo, s2
	v_and_b32_e32 v4, 0x7f800000, v68
	s_delay_alu instid0(VALU_DEP_1) | instskip(SKIP_1) | instid1(SALU_CYCLE_1)
	v_cmp_ne_u32_e32 vcc_lo, 0x7f800000, v4
                                        ; implicit-def: $vgpr4
	s_and_saveexec_b32 s2, vcc_lo
	s_xor_b32 s2, exec_lo, s2
; %bb.91:
	v_bfe_u32 v4, v68, 16, 1
	s_delay_alu instid0(VALU_DEP_1)
	v_add3_u32 v4, v68, v4, 0x7fff
; %bb.92:
	s_and_not1_saveexec_b32 s2, s2
; %bb.93:
	v_and_b32_e32 v4, 0xffff, v68
	v_or_b32_e32 v5, 0x10000, v68
	s_delay_alu instid0(VALU_DEP_2) | instskip(NEXT) | instid1(VALU_DEP_2)
	v_cmp_eq_u32_e32 vcc_lo, 0, v4
	v_cndmask_b32_e32 v4, v5, v68, vcc_lo
; %bb.94:
	s_or_b32 exec_lo, exec_lo, s2
	v_and_b32_e32 v5, 0x7f800000, v69
	s_delay_alu instid0(VALU_DEP_1) | instskip(SKIP_1) | instid1(SALU_CYCLE_1)
	v_cmp_ne_u32_e32 vcc_lo, 0x7f800000, v5
                                        ; implicit-def: $vgpr5
	s_and_saveexec_b32 s2, vcc_lo
	s_xor_b32 s2, exec_lo, s2
; %bb.95:
	v_bfe_u32 v5, v69, 16, 1
	s_delay_alu instid0(VALU_DEP_1)
	v_add3_u32 v5, v69, v5, 0x7fff
; %bb.96:
	s_and_not1_saveexec_b32 s2, s2
; %bb.97:
	v_and_b32_e32 v5, 0xffff, v69
	v_or_b32_e32 v6, 0x10000, v69
	s_delay_alu instid0(VALU_DEP_2) | instskip(NEXT) | instid1(VALU_DEP_2)
	v_cmp_eq_u32_e32 vcc_lo, 0, v5
	v_cndmask_b32_e32 v5, v6, v69, vcc_lo
; %bb.98:
	s_or_b32 exec_lo, exec_lo, s2
	v_and_b32_e32 v6, 0x7f800000, v70
	s_delay_alu instid0(VALU_DEP_1) | instskip(SKIP_1) | instid1(SALU_CYCLE_1)
	v_cmp_ne_u32_e32 vcc_lo, 0x7f800000, v6
                                        ; implicit-def: $vgpr6
	s_and_saveexec_b32 s2, vcc_lo
	s_xor_b32 s2, exec_lo, s2
; %bb.99:
	v_bfe_u32 v6, v70, 16, 1
	s_delay_alu instid0(VALU_DEP_1)
	v_add3_u32 v6, v70, v6, 0x7fff
; %bb.100:
	s_and_not1_saveexec_b32 s2, s2
; %bb.101:
	v_and_b32_e32 v6, 0xffff, v70
	v_or_b32_e32 v7, 0x10000, v70
	s_delay_alu instid0(VALU_DEP_2) | instskip(NEXT) | instid1(VALU_DEP_2)
	v_cmp_eq_u32_e32 vcc_lo, 0, v6
	v_cndmask_b32_e32 v6, v7, v70, vcc_lo
; %bb.102:
	s_or_b32 exec_lo, exec_lo, s2
	v_and_b32_e32 v7, 0x7f800000, v71
	s_delay_alu instid0(VALU_DEP_1) | instskip(SKIP_1) | instid1(SALU_CYCLE_1)
	v_cmp_ne_u32_e32 vcc_lo, 0x7f800000, v7
                                        ; implicit-def: $vgpr7
	s_and_saveexec_b32 s2, vcc_lo
	s_xor_b32 s2, exec_lo, s2
; %bb.103:
	v_bfe_u32 v7, v71, 16, 1
	s_delay_alu instid0(VALU_DEP_1)
	v_add3_u32 v7, v71, v7, 0x7fff
; %bb.104:
	s_and_not1_saveexec_b32 s2, s2
; %bb.105:
	v_and_b32_e32 v7, 0xffff, v71
	v_or_b32_e32 v8, 0x10000, v71
	s_delay_alu instid0(VALU_DEP_2) | instskip(NEXT) | instid1(VALU_DEP_2)
	v_cmp_eq_u32_e32 vcc_lo, 0, v7
	v_cndmask_b32_e32 v7, v8, v71, vcc_lo
; %bb.106:
	s_or_b32 exec_lo, exec_lo, s2
	v_and_b32_e32 v8, 0x7f800000, v72
	s_delay_alu instid0(VALU_DEP_1) | instskip(SKIP_1) | instid1(SALU_CYCLE_1)
	v_cmp_ne_u32_e32 vcc_lo, 0x7f800000, v8
                                        ; implicit-def: $vgpr8
	s_and_saveexec_b32 s2, vcc_lo
	s_xor_b32 s2, exec_lo, s2
; %bb.107:
	v_bfe_u32 v8, v72, 16, 1
	s_delay_alu instid0(VALU_DEP_1)
	v_add3_u32 v8, v72, v8, 0x7fff
                                        ; implicit-def: $vgpr65_vgpr66_vgpr67_vgpr68_vgpr69_vgpr70_vgpr71_vgpr72
; %bb.108:
	s_and_not1_saveexec_b32 s2, s2
; %bb.109:
	v_and_b32_e32 v8, 0xffff, v72
	v_or_b32_e32 v9, 0x10000, v72
	s_delay_alu instid0(VALU_DEP_2) | instskip(NEXT) | instid1(VALU_DEP_2)
	v_cmp_eq_u32_e32 vcc_lo, 0, v8
	v_cndmask_b32_e32 v8, v9, v72, vcc_lo
; %bb.110:
	s_or_b32 exec_lo, exec_lo, s2
	s_delay_alu instid0(VALU_DEP_1)
	v_perm_b32 v7, v8, v7, 0x7060302
	v_perm_b32 v6, v6, v5, 0x7060302
	;; [unrolled: 1-line block ×4, first 2 shown]
	s_barrier
	buffer_gl0_inv
	v_cmp_eq_u32_e32 vcc_lo, 1, v78
	ds_store_b128 v76, v[4:7]
	s_waitcnt lgkmcnt(0)
	s_barrier
	buffer_gl0_inv
	ds_load_b128 v[1:4], v82
	ds_load_b128 v[5:8], v82 offset:16
	v_cmp_eq_u32_e64 s2, 1, v79
	v_cmp_eq_u32_e64 s3, 2, v78
	;; [unrolled: 1-line block ×5, first 2 shown]
	s_waitcnt lgkmcnt(1)
	v_lshrrev_b32_e32 v9, 16, v1
	s_waitcnt lgkmcnt(0)
	v_lshrrev_b32_e32 v13, 16, v5
	v_lshrrev_b32_e32 v10, 16, v2
	;; [unrolled: 1-line block ×4, first 2 shown]
	v_cndmask_b32_e64 v19, v1, v9, s2
	v_cndmask_b32_e32 v18, v5, v13, vcc_lo
	v_cndmask_b32_e64 v20, v5, v13, s2
	v_cndmask_b32_e32 v17, v1, v9, vcc_lo
	v_cmp_eq_u32_e32 vcc_lo, 2, v79
	v_lshrrev_b32_e32 v15, 16, v7
	v_cmp_eq_u32_e64 s2, 1, v77
	v_lshrrev_b32_e32 v12, 16, v4
	v_lshrrev_b32_e32 v16, 16, v8
	v_cndmask_b32_e32 v20, v20, v6, vcc_lo
	v_cndmask_b32_e64 v17, v17, v2, s3
	v_cndmask_b32_e32 v19, v19, v2, vcc_lo
	v_cndmask_b32_e64 v18, v18, v6, s3
	v_cmp_eq_u32_e32 vcc_lo, 4, v78
	v_cmp_eq_u32_e64 s3, 3, v79
	v_cndmask_b32_e64 v17, v17, v10, s4
	v_cndmask_b32_e64 v21, v1, v9, s2
	;; [unrolled: 1-line block ×5, first 2 shown]
	v_cndmask_b32_e32 v17, v17, v3, vcc_lo
	v_cndmask_b32_e64 v20, v20, v14, s3
	v_cndmask_b32_e32 v18, v18, v7, vcc_lo
	v_cmp_eq_u32_e32 vcc_lo, 4, v79
	v_cmp_eq_u32_e64 s3, 5, v79
	v_cmp_eq_u32_e64 s2, 2, v81
	v_cndmask_b32_e64 v21, v21, v2, s6
	v_cmp_eq_u32_e64 s4, 5, v78
	v_cndmask_b32_e32 v19, v19, v3, vcc_lo
	v_cndmask_b32_e32 v20, v20, v7, vcc_lo
	v_cmp_eq_u32_e32 vcc_lo, 6, v79
	s_delay_alu instid0(VALU_DEP_4) | instskip(NEXT) | instid1(VALU_DEP_4)
	v_cndmask_b32_e64 v17, v17, v11, s4
	v_cndmask_b32_e64 v19, v19, v11, s3
	s_delay_alu instid0(VALU_DEP_4) | instskip(SKIP_1) | instid1(VALU_DEP_3)
	v_cndmask_b32_e64 v20, v20, v15, s3
	v_cmp_eq_u32_e64 s3, 1, v81
	v_cndmask_b32_e32 v19, v19, v4, vcc_lo
	v_cndmask_b32_e64 v18, v18, v15, s4
	s_delay_alu instid0(VALU_DEP_3)
	v_cndmask_b32_e64 v1, v1, v9, s3
	v_cndmask_b32_e64 v5, v5, v13, s3
	v_cmp_eq_u32_e64 s3, 3, v77
	v_cndmask_b32_e64 v13, v22, v6, s6
	v_cmp_eq_u32_e64 s6, 3, v81
	v_cndmask_b32_e64 v1, v1, v2, s2
	v_cndmask_b32_e64 v2, v5, v6, s2
	;; [unrolled: 1-line block ×3, first 2 shown]
	v_cmp_eq_u32_e64 s2, 4, v77
	v_cndmask_b32_e64 v6, v13, v14, s3
	v_cndmask_b32_e64 v1, v1, v10, s6
	v_cmp_eq_u32_e64 s3, 4, v81
	v_cndmask_b32_e64 v2, v2, v14, s6
	v_cndmask_b32_e64 v5, v9, v3, s2
	;; [unrolled: 3-line block ×3, first 2 shown]
	v_cndmask_b32_e64 v2, v2, v7, s3
	v_cmp_eq_u32_e64 s2, 5, v81
	v_cmp_eq_u32_e64 s4, 6, v78
	v_cndmask_b32_e64 v5, v5, v11, s6
	v_cmp_eq_u32_e64 s3, 6, v77
	v_cndmask_b32_e64 v3, v6, v15, s6
	v_cndmask_b32_e64 v1, v1, v11, s2
	v_cmp_eq_u32_e64 s6, 6, v81
	v_cndmask_b32_e64 v2, v2, v15, s2
	v_cndmask_b32_e64 v17, v17, v4, s4
	v_cndmask_b32_e64 v18, v18, v8, s4
	v_cmp_eq_u32_e64 s4, 7, v78
	v_cndmask_b32_e64 v5, v5, v4, s3
	;; [unrolled: 4-line block ×3, first 2 shown]
	v_cmp_eq_u32_e64 s3, 7, v77
	v_cndmask_b32_e32 v4, v20, v8, vcc_lo
	v_cndmask_b32_e64 v17, v17, v12, s4
	v_cndmask_b32_e64 v19, v19, v12, s5
	;; [unrolled: 1-line block ×8, first 2 shown]
	s_mov_b32 s2, exec_lo
	v_perm_b32 v4, v2, v1, 0x5040100
	v_perm_b32 v3, v3, v5, 0x5040100
	;; [unrolled: 1-line block ×4, first 2 shown]
	ds_store_b128 v76, v[1:4]
	s_waitcnt lgkmcnt(0)
	s_barrier
	buffer_gl0_inv
	v_cmpx_gt_u32_e32 32, v0
	s_cbranch_execz .LBB1557_2
; %bb.111:
	s_load_b64 s[0:1], s[0:1], 0x68
	v_lshlrev_b32_e32 v0, 10, v0
	s_lshl_b32 s4, s34, 7
	v_or_b32_e32 v3, s29, v74
	s_mul_i32 s2, s4, s30
	v_lshlrev_b32_e32 v1, 4, v75
	s_mul_i32 s2, s2, s7
	v_lshlrev_b32_e32 v2, 6, v74
	v_and_b32_e32 v0, 0x3800, v0
	s_ashr_i32 s3, s2, 31
	v_mul_lo_u32 v4, v3, s4
	s_lshl_b64 s[2:3], s[2:3], 1
	s_delay_alu instid0(VALU_DEP_2) | instskip(NEXT) | instid1(VALU_DEP_2)
	v_or3_b32 v16, v0, v1, v2
	v_ashrrev_i32_e32 v5, 31, v4
	ds_load_b128 v[0:3], v16
	s_waitcnt lgkmcnt(0)
	s_add_u32 s2, s0, s2
	s_addc_u32 s3, s1, s3
	s_lshl_b32 s0, s14, 7
	v_lshlrev_b64 v[5:6], 1, v[4:5]
	s_ashr_i32 s1, s0, 31
	s_delay_alu instid0(SALU_CYCLE_1) | instskip(NEXT) | instid1(SALU_CYCLE_1)
	s_lshl_b64 s[0:1], s[0:1], 1
	s_add_u32 s0, s2, s0
	s_addc_u32 s1, s3, s1
	s_lshl_b32 s2, s34, 8
	v_add_co_u32 v30, s0, s0, v73
	v_add_nc_u32_e32 v8, s2, v4
	v_add_co_ci_u32_e64 v31, null, s1, 0, s0
	s_delay_alu instid0(VALU_DEP_3) | instskip(NEXT) | instid1(VALU_DEP_3)
	v_add_co_u32 v12, vcc_lo, v30, v5
	v_add_nc_u32_e32 v10, s2, v8
	v_ashrrev_i32_e32 v9, 31, v8
	s_delay_alu instid0(VALU_DEP_4)
	v_add_co_ci_u32_e32 v13, vcc_lo, v31, v6, vcc_lo
	ds_load_b128 v[4:7], v16 offset:128
	v_ashrrev_i32_e32 v11, 31, v10
	v_lshlrev_b64 v[8:9], 1, v[8:9]
	v_add_nc_u32_e32 v14, s2, v10
	global_store_b128 v[12:13], v[0:3], off
	v_lshlrev_b64 v[0:1], 1, v[10:11]
	v_ashrrev_i32_e32 v15, 31, v14
	v_add_co_u32 v22, vcc_lo, v30, v8
	v_add_nc_u32_e32 v20, s2, v14
	v_add_co_ci_u32_e32 v23, vcc_lo, v31, v9, vcc_lo
	v_add_co_u32 v26, vcc_lo, v30, v0
	v_lshlrev_b64 v[24:25], 1, v[14:15]
	v_add_co_ci_u32_e32 v27, vcc_lo, v31, v1, vcc_lo
	ds_load_b128 v[0:3], v16 offset:256
	ds_load_b128 v[8:11], v16 offset:384
	;; [unrolled: 1-line block ×4, first 2 shown]
	v_add_nc_u32_e32 v28, s2, v20
	v_ashrrev_i32_e32 v21, 31, v20
	v_add_co_u32 v24, vcc_lo, v30, v24
	v_add_co_ci_u32_e32 v25, vcc_lo, v31, v25, vcc_lo
	s_delay_alu instid0(VALU_DEP_4) | instskip(NEXT) | instid1(VALU_DEP_4)
	v_ashrrev_i32_e32 v29, 31, v28
	v_lshlrev_b64 v[20:21], 1, v[20:21]
	s_delay_alu instid0(VALU_DEP_2) | instskip(NEXT) | instid1(VALU_DEP_2)
	v_lshlrev_b64 v[28:29], 1, v[28:29]
	v_add_co_u32 v20, vcc_lo, v30, v20
	s_delay_alu instid0(VALU_DEP_3) | instskip(NEXT) | instid1(VALU_DEP_3)
	v_add_co_ci_u32_e32 v21, vcc_lo, v31, v21, vcc_lo
	v_add_co_u32 v28, vcc_lo, v30, v28
	s_delay_alu instid0(VALU_DEP_4)
	v_add_co_ci_u32_e32 v29, vcc_lo, v31, v29, vcc_lo
	s_waitcnt lgkmcnt(4)
	global_store_b128 v[22:23], v[4:7], off
	s_waitcnt lgkmcnt(3)
	global_store_b128 v[26:27], v[0:3], off
	;; [unrolled: 2-line block ×5, first 2 shown]
	s_nop 0
	s_sendmsg sendmsg(MSG_DEALLOC_VGPRS)
	s_endpgm
	.section	.rodata,"a",@progbits
	.p2align	6, 0x0
	.amdhsa_kernel _Z39paged_attention_ll4mi_QKV_mfma16_kernelI14__hip_bfloat16hLN4vllm18Fp8KVCacheDataTypeE1ES0_Li16ELi128ELi256ELb1ELi12EL8MFMAType1EEvPKT_PKT0_S9_ifPKiSB_SB_iPKfiiiPfSE_PS4_PT2_iSD_SD_
		.amdhsa_group_segment_fixed_size 17472
		.amdhsa_private_segment_fixed_size 0
		.amdhsa_kernarg_size 400
		.amdhsa_user_sgpr_count 13
		.amdhsa_user_sgpr_dispatch_ptr 0
		.amdhsa_user_sgpr_queue_ptr 0
		.amdhsa_user_sgpr_kernarg_segment_ptr 1
		.amdhsa_user_sgpr_dispatch_id 0
		.amdhsa_user_sgpr_private_segment_size 0
		.amdhsa_wavefront_size32 1
		.amdhsa_uses_dynamic_stack 0
		.amdhsa_enable_private_segment 0
		.amdhsa_system_sgpr_workgroup_id_x 1
		.amdhsa_system_sgpr_workgroup_id_y 1
		.amdhsa_system_sgpr_workgroup_id_z 1
		.amdhsa_system_sgpr_workgroup_info 0
		.amdhsa_system_vgpr_workitem_id 0
		.amdhsa_next_free_vgpr 140
		.amdhsa_next_free_sgpr 36
		.amdhsa_reserve_vcc 1
		.amdhsa_float_round_mode_32 0
		.amdhsa_float_round_mode_16_64 0
		.amdhsa_float_denorm_mode_32 3
		.amdhsa_float_denorm_mode_16_64 3
		.amdhsa_dx10_clamp 1
		.amdhsa_ieee_mode 1
		.amdhsa_fp16_overflow 0
		.amdhsa_workgroup_processor_mode 1
		.amdhsa_memory_ordered 1
		.amdhsa_forward_progress 0
		.amdhsa_shared_vgpr_count 0
		.amdhsa_exception_fp_ieee_invalid_op 0
		.amdhsa_exception_fp_denorm_src 0
		.amdhsa_exception_fp_ieee_div_zero 0
		.amdhsa_exception_fp_ieee_overflow 0
		.amdhsa_exception_fp_ieee_underflow 0
		.amdhsa_exception_fp_ieee_inexact 0
		.amdhsa_exception_int_div_zero 0
	.end_amdhsa_kernel
	.section	.text._Z39paged_attention_ll4mi_QKV_mfma16_kernelI14__hip_bfloat16hLN4vllm18Fp8KVCacheDataTypeE1ES0_Li16ELi128ELi256ELb1ELi12EL8MFMAType1EEvPKT_PKT0_S9_ifPKiSB_SB_iPKfiiiPfSE_PS4_PT2_iSD_SD_,"axG",@progbits,_Z39paged_attention_ll4mi_QKV_mfma16_kernelI14__hip_bfloat16hLN4vllm18Fp8KVCacheDataTypeE1ES0_Li16ELi128ELi256ELb1ELi12EL8MFMAType1EEvPKT_PKT0_S9_ifPKiSB_SB_iPKfiiiPfSE_PS4_PT2_iSD_SD_,comdat
.Lfunc_end1557:
	.size	_Z39paged_attention_ll4mi_QKV_mfma16_kernelI14__hip_bfloat16hLN4vllm18Fp8KVCacheDataTypeE1ES0_Li16ELi128ELi256ELb1ELi12EL8MFMAType1EEvPKT_PKT0_S9_ifPKiSB_SB_iPKfiiiPfSE_PS4_PT2_iSD_SD_, .Lfunc_end1557-_Z39paged_attention_ll4mi_QKV_mfma16_kernelI14__hip_bfloat16hLN4vllm18Fp8KVCacheDataTypeE1ES0_Li16ELi128ELi256ELb1ELi12EL8MFMAType1EEvPKT_PKT0_S9_ifPKiSB_SB_iPKfiiiPfSE_PS4_PT2_iSD_SD_
                                        ; -- End function
	.section	.AMDGPU.csdata,"",@progbits
; Kernel info:
; codeLenInByte = 8956
; NumSgprs: 38
; NumVgprs: 140
; ScratchSize: 0
; MemoryBound: 0
; FloatMode: 240
; IeeeMode: 1
; LDSByteSize: 17472 bytes/workgroup (compile time only)
; SGPRBlocks: 4
; VGPRBlocks: 17
; NumSGPRsForWavesPerEU: 38
; NumVGPRsForWavesPerEU: 140
; Occupancy: 10
; WaveLimiterHint : 1
; COMPUTE_PGM_RSRC2:SCRATCH_EN: 0
; COMPUTE_PGM_RSRC2:USER_SGPR: 13
; COMPUTE_PGM_RSRC2:TRAP_HANDLER: 0
; COMPUTE_PGM_RSRC2:TGID_X_EN: 1
; COMPUTE_PGM_RSRC2:TGID_Y_EN: 1
; COMPUTE_PGM_RSRC2:TGID_Z_EN: 1
; COMPUTE_PGM_RSRC2:TIDIG_COMP_CNT: 0
	.section	.text._Z39paged_attention_ll4mi_QKV_mfma16_kernelI14__hip_bfloat16hLN4vllm18Fp8KVCacheDataTypeE1ES0_Li16ELi128ELi256ELb1ELi13EL8MFMAType1EEvPKT_PKT0_S9_ifPKiSB_SB_iPKfiiiPfSE_PS4_PT2_iSD_SD_,"axG",@progbits,_Z39paged_attention_ll4mi_QKV_mfma16_kernelI14__hip_bfloat16hLN4vllm18Fp8KVCacheDataTypeE1ES0_Li16ELi128ELi256ELb1ELi13EL8MFMAType1EEvPKT_PKT0_S9_ifPKiSB_SB_iPKfiiiPfSE_PS4_PT2_iSD_SD_,comdat
	.protected	_Z39paged_attention_ll4mi_QKV_mfma16_kernelI14__hip_bfloat16hLN4vllm18Fp8KVCacheDataTypeE1ES0_Li16ELi128ELi256ELb1ELi13EL8MFMAType1EEvPKT_PKT0_S9_ifPKiSB_SB_iPKfiiiPfSE_PS4_PT2_iSD_SD_ ; -- Begin function _Z39paged_attention_ll4mi_QKV_mfma16_kernelI14__hip_bfloat16hLN4vllm18Fp8KVCacheDataTypeE1ES0_Li16ELi128ELi256ELb1ELi13EL8MFMAType1EEvPKT_PKT0_S9_ifPKiSB_SB_iPKfiiiPfSE_PS4_PT2_iSD_SD_
	.globl	_Z39paged_attention_ll4mi_QKV_mfma16_kernelI14__hip_bfloat16hLN4vllm18Fp8KVCacheDataTypeE1ES0_Li16ELi128ELi256ELb1ELi13EL8MFMAType1EEvPKT_PKT0_S9_ifPKiSB_SB_iPKfiiiPfSE_PS4_PT2_iSD_SD_
	.p2align	8
	.type	_Z39paged_attention_ll4mi_QKV_mfma16_kernelI14__hip_bfloat16hLN4vllm18Fp8KVCacheDataTypeE1ES0_Li16ELi128ELi256ELb1ELi13EL8MFMAType1EEvPKT_PKT0_S9_ifPKiSB_SB_iPKfiiiPfSE_PS4_PT2_iSD_SD_,@function
_Z39paged_attention_ll4mi_QKV_mfma16_kernelI14__hip_bfloat16hLN4vllm18Fp8KVCacheDataTypeE1ES0_Li16ELi128ELi256ELb1ELi13EL8MFMAType1EEvPKT_PKT0_S9_ifPKiSB_SB_iPKfiiiPfSE_PS4_PT2_iSD_SD_: ; @_Z39paged_attention_ll4mi_QKV_mfma16_kernelI14__hip_bfloat16hLN4vllm18Fp8KVCacheDataTypeE1ES0_Li16ELi128ELi256ELb1ELi13EL8MFMAType1EEvPKT_PKT0_S9_ifPKiSB_SB_iPKfiiiPfSE_PS4_PT2_iSD_SD_
; %bb.0:
	s_load_b64 s[4:5], s[0:1], 0x30
	s_mov_b32 s30, s13
	s_waitcnt lgkmcnt(0)
	s_cmp_lg_u64 s[4:5], 0
	s_cselect_b32 s13, -1, 0
	s_ashr_i32 s31, s30, 31
	s_cmp_eq_u64 s[4:5], 0
	s_cbranch_scc1 .LBB1558_3
; %bb.1:
	s_lshl_b64 s[2:3], s[30:31], 2
	s_delay_alu instid0(SALU_CYCLE_1) | instskip(SKIP_4) | instid1(SALU_CYCLE_1)
	s_add_u32 s2, s4, s2
	s_addc_u32 s3, s5, s3
	s_load_b64 s[2:3], s[2:3], 0x0
	s_waitcnt lgkmcnt(0)
	s_sub_i32 s2, s3, s2
	s_cmp_eq_u32 s2, 1
	s_cselect_b32 s2, -1, 0
	s_delay_alu instid0(SALU_CYCLE_1)
	s_and_not1_b32 vcc_lo, exec_lo, s2
	s_cbranch_vccz .LBB1558_4
.LBB1558_2:
	s_nop 0
	s_sendmsg sendmsg(MSG_DEALLOC_VGPRS)
	s_endpgm
.LBB1558_3:
.LBB1558_4:
	s_load_b64 s[2:3], s[0:1], 0x28
	s_lshl_b64 s[6:7], s[30:31], 2
	s_waitcnt lgkmcnt(0)
	s_add_u32 s2, s2, s6
	s_addc_u32 s3, s3, s7
	s_lshl_b32 s12, s14, 8
	s_load_b32 s17, s[2:3], 0x0
	s_waitcnt lgkmcnt(0)
	s_cmp_ge_i32 s12, s17
	s_cbranch_scc1 .LBB1558_2
; %bb.5:
	s_clause 0x1
	s_load_b128 s[8:11], s[0:1], 0x8
	s_load_b64 s[2:3], s[0:1], 0x20
	s_and_not1_b32 vcc_lo, exec_lo, s13
	s_cbranch_vccnz .LBB1558_7
; %bb.6:
	s_add_u32 s4, s4, s6
	s_addc_u32 s5, s5, s7
	s_load_b32 s13, s[4:5], 0x0
	s_branch .LBB1558_8
.LBB1558_7:
	s_mov_b32 s13, s30
.LBB1558_8:
	s_load_b128 s[4:7], s[0:1], 0x48
	v_and_b32_e32 v65, 15, v0
	v_lshrrev_b32_e32 v66, 5, v0
	v_bfe_u32 v74, v0, 4, 1
	v_and_b32_e32 v67, 31, v0
	v_and_b32_e32 v75, 1, v0
	v_lshlrev_b32_e32 v2, 3, v65
	s_mul_i32 s31, s15, 13
	v_lshl_or_b32 v1, v66, 1, v74
	s_waitcnt lgkmcnt(0)
	s_mov_b32 s7, exec_lo
	v_lshlrev_b32_e32 v73, 1, v2
	s_delay_alu instid0(VALU_DEP_2)
	v_cmpx_gt_u32_e32 13, v1
	s_cbranch_execz .LBB1558_10
; %bb.9:
	s_load_b64 s[18:19], s[0:1], 0x0
	v_add_lshl_u32 v2, v1, s31, 7
	s_mul_hi_i32 s21, s13, s4
	s_mul_i32 s20, s13, s4
	v_lshlrev_b32_e32 v6, 10, v65
	s_lshl_b64 s[20:21], s[20:21], 1
	v_ashrrev_i32_e32 v3, 31, v2
	v_lshlrev_b32_e32 v1, 6, v1
	v_lshlrev_b32_e32 v7, 10, v75
	v_and_b32_e32 v6, 0x3800, v6
	s_delay_alu instid0(VALU_DEP_4) | instskip(NEXT) | instid1(VALU_DEP_2)
	v_lshlrev_b64 v[2:3], 1, v[2:3]
	v_or3_b32 v1, v6, v7, v1
	s_waitcnt lgkmcnt(0)
	s_add_u32 s4, s18, s20
	s_addc_u32 s13, s19, s21
	s_delay_alu instid0(VALU_DEP_2) | instskip(SKIP_1) | instid1(VALU_DEP_2)
	v_add_co_u32 v2, vcc_lo, s4, v2
	v_add_co_ci_u32_e32 v3, vcc_lo, s13, v3, vcc_lo
	v_add_co_u32 v2, vcc_lo, v2, v73
	s_delay_alu instid0(VALU_DEP_2)
	v_add_co_ci_u32_e32 v3, vcc_lo, 0, v3, vcc_lo
	global_load_b128 v[2:5], v[2:3], off
	s_waitcnt vmcnt(0)
	ds_store_b128 v1, v[2:5]
.LBB1558_10:
	s_or_b32 exec_lo, exec_lo, s7
	v_and_b32_e32 v1, 0xef, v0
	s_add_i32 s4, s17, 15
	s_clause 0x1
	s_load_b32 s7, s[0:1], 0x38
	s_load_b32 s18, s[0:1], 0x1c
	s_ashr_i32 s13, s4, 31
	v_add_nc_u32_e32 v1, s12, v1
	s_lshr_b32 s13, s13, 28
	s_waitcnt lgkmcnt(0)
	s_add_i32 s4, s4, s13
	s_barrier
	v_ashrrev_i32_e32 v2, 31, v1
	v_or_b32_e32 v3, 16, v1
	s_ashr_i32 s4, s4, 4
	v_cmp_gt_i32_e32 vcc_lo, s17, v1
	s_add_i32 s4, s4, -1
	v_lshrrev_b32_e32 v2, 28, v2
	buffer_gl0_inv
	s_mul_i32 s15, s15, s6
	v_add_nc_u32_e32 v4, v1, v2
	s_mul_i32 s20, s30, s7
	s_delay_alu instid0(SALU_CYCLE_1) | instskip(NEXT) | instid1(VALU_DEP_1)
	s_ashr_i32 s21, s20, 31
	v_ashrrev_i32_e32 v4, 4, v4
	v_add_nc_u32_e32 v2, v3, v2
	s_lshl_b64 s[20:21], s[20:21], 2
	s_delay_alu instid0(SALU_CYCLE_1) | instskip(NEXT) | instid1(VALU_DEP_2)
	s_add_u32 s13, s2, s20
	v_cndmask_b32_e32 v1, s4, v4, vcc_lo
	s_delay_alu instid0(VALU_DEP_2)
	v_ashrrev_i32_e32 v2, 4, v2
	v_cmp_gt_i32_e32 vcc_lo, s17, v3
	s_addc_u32 s16, s3, s21
	s_ashr_i32 s19, s15, 31
	s_add_u32 s26, s8, s15
	s_addc_u32 s27, s9, s19
	v_cndmask_b32_e32 v3, s4, v2, vcc_lo
	v_ashrrev_i32_e32 v2, 31, v1
	s_lshl_b32 s2, s14, 4
	s_delay_alu instid0(SALU_CYCLE_1) | instskip(NEXT) | instid1(VALU_DEP_2)
	s_ashr_i32 s3, s2, 31
	v_ashrrev_i32_e32 v4, 31, v3
	s_delay_alu instid0(VALU_DEP_2) | instskip(SKIP_1) | instid1(SALU_CYCLE_1)
	v_lshlrev_b64 v[1:2], 2, v[1:2]
	s_lshl_b64 s[2:3], s[2:3], 2
	s_add_u32 s2, s13, s2
	s_delay_alu instid0(VALU_DEP_2) | instskip(SKIP_1) | instid1(VALU_DEP_2)
	v_lshlrev_b64 v[3:4], 2, v[3:4]
	s_addc_u32 s3, s16, s3
	v_add_co_u32 v1, vcc_lo, s13, v1
	v_add_co_ci_u32_e32 v2, vcc_lo, s16, v2, vcc_lo
	s_delay_alu instid0(VALU_DEP_3) | instskip(NEXT) | instid1(VALU_DEP_4)
	v_add_co_u32 v3, vcc_lo, s13, v3
	v_add_co_ci_u32_e32 v4, vcc_lo, s16, v4, vcc_lo
	s_clause 0x1
	global_load_b32 v5, v[1:2], off
	global_load_b32 v3, v[3:4], off
	s_or_b32 s6, s12, 32
	v_cmp_gt_u32_e32 vcc_lo, 13, v65
	s_ashr_i32 s7, s6, 4
	s_cmp_lt_i32 s6, s17
	s_cselect_b32 s6, s7, s4
	s_delay_alu instid0(SALU_CYCLE_1) | instskip(NEXT) | instid1(SALU_CYCLE_1)
	s_ashr_i32 s7, s6, 31
	s_lshl_b64 s[6:7], s[6:7], 2
	s_delay_alu instid0(SALU_CYCLE_1) | instskip(SKIP_2) | instid1(SALU_CYCLE_1)
	s_add_u32 s6, s13, s6
	s_addc_u32 s7, s16, s7
	s_or_b32 s8, s12, 64
	s_ashr_i32 s9, s8, 4
	s_cmp_lt_i32 s8, s17
	s_cselect_b32 s8, s9, s4
	s_delay_alu instid0(SALU_CYCLE_1) | instskip(NEXT) | instid1(SALU_CYCLE_1)
	s_ashr_i32 s9, s8, 31
	s_lshl_b64 s[8:9], s[8:9], 2
	s_delay_alu instid0(SALU_CYCLE_1) | instskip(SKIP_2) | instid1(SALU_CYCLE_1)
	s_add_u32 s8, s13, s8
	s_addc_u32 s9, s16, s9
	s_or_b32 s20, s12, 0x60
	;; [unrolled: 10-line block ×4, first 2 shown]
	s_ashr_i32 s25, s24, 4
	s_cmp_lt_i32 s24, s17
	s_cselect_b32 s24, s25, s4
	s_delay_alu instid0(SALU_CYCLE_1) | instskip(NEXT) | instid1(SALU_CYCLE_1)
	s_ashr_i32 s25, s24, 31
	s_lshl_b64 s[24:25], s[24:25], 2
	s_delay_alu instid0(SALU_CYCLE_1)
	s_add_u32 s24, s13, s24
	s_addc_u32 s25, s16, s25
	s_clause 0x5
	s_load_b32 s28, s[2:3], 0x0
	s_load_b32 s29, s[6:7], 0x0
	;; [unrolled: 1-line block ×6, first 2 shown]
	s_mov_b32 s20, 0
	s_or_b32 s2, s12, 0xc0
	s_mov_b32 s21, s20
	s_mov_b32 s22, s20
	;; [unrolled: 1-line block ×5, first 2 shown]
	v_lshlrev_b32_e32 v1, 4, v0
	s_ashr_i32 s3, s2, 4
	s_cmp_lt_i32 s2, s17
	s_cselect_b32 s2, s3, s4
	s_delay_alu instid0(VALU_DEP_1) | instskip(SKIP_1) | instid1(SALU_CYCLE_1)
	v_and_b32_e32 v1, 0xf0, v1
	s_ashr_i32 s3, s2, 31
	s_lshl_b64 s[2:3], s[2:3], 2
	s_delay_alu instid0(VALU_DEP_1) | instskip(NEXT) | instid1(VALU_DEP_1)
	v_add_co_u32 v1, s26, s26, v1
	v_add_co_ci_u32_e64 v2, null, s27, 0, s26
	s_add_u32 s2, s13, s2
	s_addc_u32 s3, s16, s3
	s_or_b32 s6, s12, 0xe0
	s_mov_b32 s27, s20
	s_ashr_i32 s7, s6, 4
	s_cmp_lt_i32 s6, s17
	s_mov_b32 s26, s20
	v_dual_mov_b32 v107, s27 :: v_dual_mov_b32 v100, s20
	s_cselect_b32 s6, s7, s4
	v_mov_b32_e32 v106, s26
	s_ashr_i32 s7, s6, 31
	v_mov_b32_e32 v104, s24
	s_lshl_b64 s[6:7], s[6:7], 2
	v_dual_mov_b32 v103, s23 :: v_dual_mov_b32 v102, s22
	v_mov_b32_e32 v101, s21
	s_waitcnt vmcnt(1)
	v_mad_i64_i32 v[33:34], null, v5, s5, v[1:2]
	s_waitcnt vmcnt(0)
	v_mad_i64_i32 v[35:36], null, v3, s5, v[1:2]
	s_clause 0xf
	global_load_b128 v[1:4], v[33:34], off
	global_load_b128 v[5:8], v[33:34], off offset:256
	global_load_b128 v[9:12], v[35:36], off
	global_load_b128 v[13:16], v[35:36], off offset:256
	global_load_b128 v[17:20], v[33:34], off offset:512
	;; [unrolled: 1-line block ×13, first 2 shown]
	v_add_nc_u32_e32 v33, -13, v65
	v_lshlrev_b32_e32 v34, 4, v65
	s_delay_alu instid0(VALU_DEP_2) | instskip(SKIP_1) | instid1(VALU_DEP_3)
	v_cndmask_b32_e32 v33, v33, v65, vcc_lo
	v_mov_b32_e32 v105, s25
	v_lshl_or_b32 v41, v66, 8, v34
	s_delay_alu instid0(VALU_DEP_3)
	v_lshlrev_b32_e32 v72, 6, v33
	ds_load_b128 v[33:36], v72
	ds_load_b128 v[37:40], v72 offset:1024
	ds_load_b128 v[108:111], v72 offset:2048
	;; [unrolled: 1-line block ×3, first 2 shown]
	s_load_b32 s4, s[2:3], 0x0
	s_add_u32 s2, s13, s6
	s_addc_u32 s3, s16, s7
	ds_load_b128 v[116:119], v72 offset:4096
	ds_load_b128 v[120:123], v72 offset:5120
	s_load_b32 s2, s[2:3], 0x0
	s_add_u32 s6, s10, s15
	s_addc_u32 s7, s11, s19
	v_add_co_u32 v68, s6, s6, v41
	s_delay_alu instid0(VALU_DEP_1) | instskip(SKIP_1) | instid1(VALU_DEP_1)
	v_add_co_ci_u32_e64 v69, null, s7, 0, s6
	s_waitcnt lgkmcnt(0)
	v_mad_i64_i32 v[41:42], null, s28, s5, v[68:69]
	v_mad_i64_i32 v[70:71], null, s8, s5, v[68:69]
	;; [unrolled: 1-line block ×7, first 2 shown]
	s_clause 0x3
	global_load_b128 v[49:52], v[41:42], off
	global_load_b128 v[53:56], v[41:42], off offset:16
	global_load_b128 v[41:44], v[45:46], off
	global_load_b128 v[45:48], v[45:46], off offset:16
	s_waitcnt vmcnt(18)
	v_wmma_f32_16x16x16_bf16 v[124:131], v[1:8], v[33:40], v[100:107]
	s_waitcnt vmcnt(16)
	v_wmma_f32_16x16x16_bf16 v[100:107], v[9:16], v[33:40], v[100:107]
	s_clause 0x1
	global_load_b128 v[33:36], v[70:71], off
	global_load_b128 v[37:40], v[70:71], off offset:16
	v_mad_i64_i32 v[70:71], null, s2, s5, v[68:69]
	s_waitcnt vmcnt(16)
	v_wmma_f32_16x16x16_bf16 v[124:131], v[17:24], v[108:115], v[124:131]
	s_waitcnt vmcnt(14)
	v_wmma_f32_16x16x16_bf16 v[100:107], v[25:32], v[108:115], v[100:107]
	s_clause 0x7
	global_load_b128 v[25:28], v[132:133], off
	global_load_b128 v[29:32], v[132:133], off offset:16
	global_load_b128 v[1:4], v[134:135], off
	global_load_b128 v[5:8], v[134:135], off offset:16
	;; [unrolled: 2-line block ×4, first 2 shown]
	s_waitcnt vmcnt(20)
	v_wmma_f32_16x16x16_bf16 v[124:131], v[57:64], v[116:123], v[124:131]
	s_clause 0x1
	global_load_b128 v[57:60], v[70:71], off
	global_load_b128 v[61:64], v[70:71], off offset:16
	s_waitcnt vmcnt(20)
	v_wmma_f32_16x16x16_bf16 v[100:107], v[76:83], v[116:123], v[100:107]
	ds_load_b128 v[76:79], v72 offset:6144
	ds_load_b128 v[80:83], v72 offset:7168
	v_and_b32_e32 v68, 0xe0, v0
	v_mbcnt_lo_u32_b32 v69, -1, 0
	s_waitcnt vmcnt(0) lgkmcnt(0)
	s_barrier
	buffer_gl0_inv
	v_add_nc_u32_e32 v68, s12, v68
	v_xor_b32_e32 v70, 16, v69
	s_delay_alu instid0(VALU_DEP_2) | instskip(NEXT) | instid1(VALU_DEP_2)
	v_or_b32_e32 v68, v68, v74
	v_cmp_gt_i32_e32 vcc_lo, 32, v70
	s_delay_alu instid0(VALU_DEP_2)
	v_or_b32_e32 v71, 4, v68
	v_or_b32_e32 v72, 6, v68
	v_cmp_gt_i32_e64 s2, s17, v68
	v_or_b32_e32 v108, 8, v68
	v_wmma_f32_16x16x16_bf16 v[124:131], v[84:91], v[76:83], v[124:131]
	v_cndmask_b32_e32 v69, v69, v70, vcc_lo
	v_or_b32_e32 v70, 2, v68
	v_wmma_f32_16x16x16_bf16 v[100:107], v[92:99], v[76:83], v[100:107]
	v_or_b32_e32 v109, 10, v68
	v_dual_mul_f32 v82, s18, v127 :: v_dual_mul_f32 v79, s18, v130
	v_dual_mul_f32 v92, s18, v125 :: v_dual_mul_f32 v93, s18, v124
	s_delay_alu instid0(VALU_DEP_4)
	v_mul_f32_e32 v98, s18, v103
	v_cmp_gt_i32_e32 vcc_lo, s17, v70
	v_or_b32_e32 v89, 22, v68
	v_dual_mul_f32 v83, s18, v126 :: v_dual_mul_f32 v96, s18, v105
	v_cndmask_b32_e64 v93, 0xff7fffff, v93, s2
	v_cndmask_b32_e32 v92, 0xff7fffff, v92, vcc_lo
	v_cmp_gt_i32_e64 s3, s17, v71
	v_cmp_gt_i32_e64 s4, s17, v72
	v_or_b32_e32 v84, 12, v68
	v_or_b32_e32 v85, 14, v68
	v_dual_mul_f32 v80, s18, v129 :: v_dual_mul_f32 v81, s18, v128
	v_mul_f32_e32 v94, s18, v107
	v_cndmask_b32_e64 v71, 0xff7fffff, v83, s3
	v_cndmask_b32_e64 v72, 0xff7fffff, v82, s4
	v_cmp_gt_i32_e64 s5, s17, v108
	v_cmp_gt_i32_e64 s6, s17, v109
	;; [unrolled: 1-line block ×3, first 2 shown]
	v_lshlrev_b32_e32 v89, 2, v69
	v_max3_f32 v82, v93, 0xff7fffff, v92
	v_or_b32_e32 v86, 16, v68
	v_or_b32_e32 v87, 18, v68
	v_mul_f32_e32 v78, s18, v131
	v_cndmask_b32_e64 v81, 0xff7fffff, v81, s5
	v_cndmask_b32_e64 v80, 0xff7fffff, v80, s6
	v_max3_f32 v71, v82, v71, v72
	v_cmp_gt_i32_e64 s7, s17, v84
	v_cmp_gt_i32_e64 s8, s17, v85
	v_or_b32_e32 v88, 20, v68
	v_or_b32_e32 v90, 24, v68
	v_or_b32_e32 v91, 26, v68
	v_or_b32_e32 v76, 28, v68
	v_or_b32_e32 v77, 30, v68
	v_dual_mul_f32 v95, s18, v106 :: v_dual_mul_f32 v70, s18, v101
	v_dual_mul_f32 v99, s18, v102 :: v_dual_mul_f32 v68, s18, v100
	v_cndmask_b32_e64 v72, 0xff7fffff, v79, s7
	v_cndmask_b32_e64 v78, 0xff7fffff, v78, s8
	v_max3_f32 v71, v71, v81, v80
	v_cmp_gt_i32_e64 s9, s17, v86
	v_cmp_gt_i32_e64 s10, s17, v87
	;; [unrolled: 1-line block ×3, first 2 shown]
	v_mul_f32_e32 v97, s18, v104
	v_max3_f32 v71, v71, v72, v78
	v_cndmask_b32_e64 v68, 0xff7fffff, v68, s9
	v_cndmask_b32_e64 v70, 0xff7fffff, v70, s10
	;; [unrolled: 1-line block ×4, first 2 shown]
	v_cmp_gt_i32_e64 s13, s17, v90
	v_cmp_gt_i32_e64 s15, s17, v91
	v_max3_f32 v68, v71, v68, v70
	v_cmp_gt_i32_e64 s16, s17, v76
	v_cmp_gt_i32_e64 s17, s17, v77
	v_cndmask_b32_e64 v70, 0xff7fffff, v97, s13
	v_cndmask_b32_e64 v71, 0xff7fffff, v96, s15
	v_max3_f32 v68, v68, v72, v78
	v_cndmask_b32_e64 v72, 0xff7fffff, v95, s16
	v_cndmask_b32_e64 v76, 0xff7fffff, v94, s17
	s_delay_alu instid0(VALU_DEP_3) | instskip(NEXT) | instid1(VALU_DEP_1)
	v_max3_f32 v68, v68, v70, v71
	v_max3_f32 v68, v68, v72, v76
	ds_bpermute_b32 v69, v89, v68
	s_waitcnt lgkmcnt(0)
	v_max_f32_e32 v69, v69, v69
	s_delay_alu instid0(VALU_DEP_1) | instskip(NEXT) | instid1(VALU_DEP_1)
	v_max_f32_e32 v68, v68, v69
	v_fma_f32 v69, s18, v124, -v68
	v_fma_f32 v70, s18, v125, -v68
	;; [unrolled: 1-line block ×5, first 2 shown]
	s_delay_alu instid0(VALU_DEP_4) | instskip(NEXT) | instid1(VALU_DEP_4)
	v_dual_mul_f32 v69, 0x3fb8aa3b, v69 :: v_dual_mul_f32 v70, 0x3fb8aa3b, v70
	v_mul_f32_e32 v72, 0x3fb8aa3b, v72
	v_fma_f32 v78, s18, v130, -v68
	s_delay_alu instid0(VALU_DEP_4) | instskip(NEXT) | instid1(VALU_DEP_4)
	v_mul_f32_e32 v77, 0x3fb8aa3b, v76
	v_exp_f32_e32 v69, v69
	v_exp_f32_e32 v70, v70
	v_mul_f32_e32 v71, 0x3fb8aa3b, v71
	v_exp_f32_e32 v72, v72
	v_mul_f32_e32 v78, 0x3fb8aa3b, v78
	v_exp_f32_e32 v77, v77
	v_fma_f32 v81, s18, v105, -v68
	s_delay_alu instid0(VALU_DEP_2)
	v_exp_f32_e32 v78, v78
	v_cndmask_b32_e64 v80, 0, v69, s2
	v_cndmask_b32_e32 v76, 0, v70, vcc_lo
	v_exp_f32_e32 v71, v71
	v_fma_f32 v69, s18, v129, -v68
	v_cndmask_b32_e64 v85, 0, v72, s4
	v_add_f32_e32 v70, 0, v80
	s_delay_alu instid0(TRANS32_DEP_3)
	v_cndmask_b32_e64 v86, 0, v77, s5
	v_fma_f32 v77, s18, v101, -v68
	v_mul_f32_e32 v69, 0x3fb8aa3b, v69
	v_fma_f32 v72, s18, v100, -v68
	v_cndmask_b32_e64 v84, 0, v78, s7
	v_fma_f32 v78, s18, v103, -v68
	v_cndmask_b32_e64 v83, 0, v71, s3
	v_fma_f32 v71, s18, v131, -v68
	v_add_f32_e32 v70, v70, v76
	v_exp_f32_e32 v69, v69
	v_mul_f32_e32 v77, 0x3fb8aa3b, v77
	v_mul_f32_e32 v81, 0x3fb8aa3b, v81
	;; [unrolled: 1-line block ×3, first 2 shown]
	v_add_f32_e32 v70, v70, v83
	v_cmp_gt_u32_e64 s2, 16, v67
	v_exp_f32_e32 v77, v77
	v_exp_f32_e32 v81, v81
	;; [unrolled: 1-line block ×3, first 2 shown]
	v_cndmask_b32_e64 v87, 0, v69, s6
	v_add_f32_e32 v70, v70, v85
	s_delay_alu instid0(VALU_DEP_1) | instskip(SKIP_1) | instid1(VALU_DEP_2)
	v_dual_mul_f32 v72, 0x3fb8aa3b, v72 :: v_dual_add_f32 v69, v70, v86
	v_fma_f32 v70, s18, v102, -v68
	v_exp_f32_e32 v72, v72
	s_waitcnt_depctr 0xfff
	v_cndmask_b32_e64 v88, 0, v71, s8
	v_fma_f32 v71, s18, v104, -v68
	v_dual_add_f32 v69, v69, v87 :: v_dual_mul_f32 v70, 0x3fb8aa3b, v70
	s_delay_alu instid0(VALU_DEP_2) | instskip(NEXT) | instid1(VALU_DEP_2)
	v_dual_mul_f32 v78, 0x3fb8aa3b, v78 :: v_dual_mul_f32 v71, 0x3fb8aa3b, v71
	v_add_f32_e32 v69, v69, v84
	s_delay_alu instid0(VALU_DEP_3) | instskip(SKIP_1) | instid1(VALU_DEP_3)
	v_exp_f32_e32 v79, v70
	v_cndmask_b32_e64 v70, 0, v72, s9
	v_exp_f32_e32 v78, v78
	v_exp_f32_e32 v82, v71
	v_add_f32_e32 v72, v69, v88
	v_cndmask_b32_e64 v69, 0, v77, s10
	v_fma_f32 v77, s18, v106, -v68
	s_delay_alu instid0(VALU_DEP_3) | instskip(NEXT) | instid1(TRANS32_DEP_3)
	v_add_f32_e32 v72, v72, v70
	v_cndmask_b32_e64 v71, 0, v79, s11
	s_delay_alu instid0(VALU_DEP_3) | instskip(NEXT) | instid1(VALU_DEP_3)
	v_mul_f32_e32 v77, 0x3fb8aa3b, v77
	v_add_f32_e32 v79, v72, v69
	s_delay_alu instid0(TRANS32_DEP_2) | instskip(NEXT) | instid1(VALU_DEP_3)
	v_cndmask_b32_e64 v72, 0, v78, s12
	v_exp_f32_e32 v90, v77
	v_cndmask_b32_e64 v77, 0, v82, s13
	s_delay_alu instid0(VALU_DEP_3) | instskip(SKIP_1) | instid1(VALU_DEP_1)
	v_add_f32_e32 v78, v79, v71
	v_fma_f32 v79, s18, v107, -v68
	v_dual_add_f32 v82, v78, v72 :: v_dual_mul_f32 v79, 0x3fb8aa3b, v79
	v_cndmask_b32_e64 v78, 0, v81, s15
	s_delay_alu instid0(VALU_DEP_2) | instskip(NEXT) | instid1(VALU_DEP_3)
	v_add_f32_e32 v81, v82, v77
	v_exp_f32_e32 v82, v79
	s_delay_alu instid0(TRANS32_DEP_2) | instskip(NEXT) | instid1(VALU_DEP_2)
	v_cndmask_b32_e64 v79, 0, v90, s16
	v_add_f32_e32 v81, v81, v78
	s_delay_alu instid0(VALU_DEP_1) | instskip(SKIP_2) | instid1(VALU_DEP_1)
	v_add_f32_e32 v90, v81, v79
	s_waitcnt_depctr 0xfff
	v_cndmask_b32_e64 v81, 0, v82, s17
	v_add_f32_e32 v82, v90, v81
	ds_bpermute_b32 v89, v89, v82
	s_and_saveexec_b32 s3, s2
	s_cbranch_execz .LBB1558_12
; %bb.11:
	v_mul_u32_u24_e32 v67, 0x44, v66
	s_delay_alu instid0(VALU_DEP_1) | instskip(SKIP_1) | instid1(VALU_DEP_1)
	v_lshl_add_u32 v67, v65, 2, v67
	s_waitcnt lgkmcnt(0)
	v_dual_add_f32 v82, v82, v89 :: v_dual_add_nc_u32 v67, 0x4000, v67
	ds_store_2addr_b32 v67, v68, v82 offset1:136
.LBB1558_12:
	s_or_b32 exec_lo, exec_lo, s3
	v_lshlrev_b32_e32 v67, 2, v65
	s_waitcnt lgkmcnt(0)
	s_barrier
	buffer_gl0_inv
	v_cmp_eq_u32_e32 vcc_lo, 1, v66
	v_add_nc_u32_e32 v82, 0x4000, v67
	v_cmp_eq_u32_e64 s3, 2, v66
	v_cmp_eq_u32_e64 s5, 7, v66
	ds_load_2addr_b32 v[89:90], v82 offset1:17
	ds_load_2addr_b32 v[91:92], v82 offset0:34 offset1:51
	ds_load_2addr_b32 v[93:94], v82 offset0:68 offset1:85
	;; [unrolled: 1-line block ×4, first 2 shown]
	s_waitcnt lgkmcnt(4)
	v_max3_f32 v67, v89, 0xff7fffff, v90
	s_waitcnt lgkmcnt(3)
	s_delay_alu instid0(VALU_DEP_1) | instskip(SKIP_1) | instid1(VALU_DEP_1)
	v_max3_f32 v67, v67, v91, v92
	s_waitcnt lgkmcnt(2)
	v_max3_f32 v67, v67, v93, v94
	s_waitcnt lgkmcnt(1)
	s_delay_alu instid0(VALU_DEP_1) | instskip(NEXT) | instid1(VALU_DEP_1)
	v_max3_f32 v67, v67, v95, v96
	v_sub_f32_e32 v93, v93, v67
	s_delay_alu instid0(VALU_DEP_1) | instskip(NEXT) | instid1(VALU_DEP_1)
	v_dual_sub_f32 v68, v89, v67 :: v_dual_mul_f32 v103, 0x3fb8aa3b, v93
	v_mul_f32_e32 v68, 0x3fb8aa3b, v68
	s_delay_alu instid0(VALU_DEP_1)
	v_exp_f32_e32 v100, v68
	v_sub_f32_e32 v68, v92, v67
	v_sub_f32_e32 v99, v90, v67
	ds_load_2addr_b32 v[89:90], v82 offset0:170 offset1:187
	v_dual_mul_f32 v102, 0x3fb8aa3b, v68 :: v_dual_mul_f32 v99, 0x3fb8aa3b, v99
	s_waitcnt lgkmcnt(1)
	v_fma_f32 v68, v100, v97, 0
	s_delay_alu instid0(VALU_DEP_2) | instskip(NEXT) | instid1(VALU_DEP_2)
	v_exp_f32_e32 v102, v102
	v_exp_f32_e32 v99, v99
	s_waitcnt_depctr 0xfff
	v_fmac_f32_e32 v68, v99, v98
	v_sub_f32_e32 v91, v91, v67
	s_delay_alu instid0(VALU_DEP_1)
	v_mul_f32_e32 v101, 0x3fb8aa3b, v91
	ds_load_2addr_b32 v[91:92], v82 offset0:204 offset1:221
	v_sub_f32_e32 v97, v94, v67
	ds_load_2addr_b32 v[93:94], v82 offset0:238 offset1:255
	s_waitcnt lgkmcnt(0)
	v_exp_f32_e32 v101, v101
	s_barrier
	buffer_gl0_inv
	v_dual_fmac_f32 v68, v101, v89 :: v_dual_sub_f32 v89, v96, v67
	v_dual_sub_f32 v82, v95, v67 :: v_dual_mul_f32 v95, 0x3fb8aa3b, v97
	v_exp_f32_e32 v97, v103
	s_delay_alu instid0(VALU_DEP_2) | instskip(NEXT) | instid1(VALU_DEP_2)
	v_dual_fmac_f32 v68, v102, v90 :: v_dual_mul_f32 v89, 0x3fb8aa3b, v89
	v_mul_f32_e32 v82, 0x3fb8aa3b, v82
	s_delay_alu instid0(VALU_DEP_3) | instskip(NEXT) | instid1(VALU_DEP_2)
	v_exp_f32_e32 v95, v95
	v_exp_f32_e32 v89, v89
	s_delay_alu instid0(VALU_DEP_1)
	v_exp_f32_e32 v82, v82
	v_fmac_f32_e32 v68, v97, v91
	s_delay_alu instid0(TRANS32_DEP_3) | instid1(VALU_DEP_1)
	v_fmac_f32_e32 v68, v95, v92
	s_waitcnt_depctr 0xfff
	v_fmac_f32_e32 v68, v82, v93
	s_delay_alu instid0(VALU_DEP_1) | instskip(NEXT) | instid1(VALU_DEP_1)
	v_fmac_f32_e32 v68, v89, v94
	v_add_f32_e32 v90, 0x358637bd, v68
	s_delay_alu instid0(VALU_DEP_1) | instskip(NEXT) | instid1(VALU_DEP_1)
	v_div_scale_f32 v91, null, v90, v90, 1.0
	v_rcp_f32_e32 v92, v91
	s_waitcnt_depctr 0xfff
	v_fma_f32 v93, -v91, v92, 1.0
	s_delay_alu instid0(VALU_DEP_1) | instskip(SKIP_1) | instid1(VALU_DEP_2)
	v_dual_fmac_f32 v92, v93, v92 :: v_dual_cndmask_b32 v93, v100, v99
	v_cmp_eq_u32_e32 vcc_lo, 3, v66
	v_cndmask_b32_e64 v93, v93, v101, s3
	v_cmp_eq_u32_e64 s3, 4, v66
	s_delay_alu instid0(VALU_DEP_2) | instskip(SKIP_1) | instid1(VALU_DEP_2)
	v_cndmask_b32_e32 v93, v93, v102, vcc_lo
	v_cmp_eq_u32_e32 vcc_lo, 5, v66
	v_cndmask_b32_e64 v93, v93, v97, s3
	v_cmp_eq_u32_e64 s3, 6, v66
	s_delay_alu instid0(VALU_DEP_2) | instskip(SKIP_1) | instid1(VALU_DEP_1)
	v_cndmask_b32_e32 v93, v93, v95, vcc_lo
	v_div_scale_f32 v94, s4, 1.0, v90, 1.0
	s_mov_b32 vcc_lo, s4
	s_delay_alu instid0(VALU_DEP_2) | instskip(NEXT) | instid1(VALU_DEP_2)
	v_cndmask_b32_e64 v82, v93, v82, s3
	v_mul_f32_e32 v96, v94, v92
	s_mov_b32 s3, exec_lo
	s_delay_alu instid0(VALU_DEP_2) | instskip(NEXT) | instid1(VALU_DEP_2)
	v_cndmask_b32_e64 v82, v82, v89, s5
	v_fma_f32 v98, -v91, v96, v94
	s_delay_alu instid0(VALU_DEP_1) | instskip(NEXT) | instid1(VALU_DEP_1)
	v_fmac_f32_e32 v96, v98, v92
	v_fma_f32 v91, -v91, v96, v94
	s_delay_alu instid0(VALU_DEP_1) | instskip(NEXT) | instid1(VALU_DEP_1)
	v_div_fmas_f32 v91, v91, v92, v96
	v_div_fixup_f32 v90, v91, v90, 1.0
	s_delay_alu instid0(VALU_DEP_1) | instskip(NEXT) | instid1(VALU_DEP_1)
	v_mul_f32_e32 v82, v82, v90
	v_mul_f32_e32 v87, v82, v87
	;; [unrolled: 1-line block ×7, first 2 shown]
	v_dual_mul_f32 v86, v82, v83 :: v_dual_and_b32 v91, 0x7f800000, v90
	v_mul_f32_e32 v85, v82, v76
                                        ; implicit-def: $vgpr76
	s_delay_alu instid0(VALU_DEP_2)
	v_cmpx_ne_u32_e32 0x7f800000, v91
	s_xor_b32 s3, exec_lo, s3
; %bb.13:
	v_bfe_u32 v76, v90, 16, 1
	s_delay_alu instid0(VALU_DEP_1)
	v_add3_u32 v76, v90, v76, 0x7fff
                                        ; implicit-def: $vgpr90
; %bb.14:
	s_and_not1_saveexec_b32 s3, s3
; %bb.15:
	v_and_b32_e32 v76, 0xffff, v90
	v_or_b32_e32 v83, 0x10000, v90
	s_delay_alu instid0(VALU_DEP_2) | instskip(NEXT) | instid1(VALU_DEP_2)
	v_cmp_eq_u32_e32 vcc_lo, 0, v76
	v_cndmask_b32_e32 v76, v83, v90, vcc_lo
; %bb.16:
	s_or_b32 exec_lo, exec_lo, s3
	v_and_b32_e32 v83, 0x7f800000, v85
	s_delay_alu instid0(VALU_DEP_1) | instskip(SKIP_1) | instid1(SALU_CYCLE_1)
	v_cmp_ne_u32_e32 vcc_lo, 0x7f800000, v83
                                        ; implicit-def: $vgpr83
	s_and_saveexec_b32 s3, vcc_lo
	s_xor_b32 s3, exec_lo, s3
; %bb.17:
	v_bfe_u32 v83, v85, 16, 1
	s_delay_alu instid0(VALU_DEP_1)
	v_add3_u32 v83, v85, v83, 0x7fff
                                        ; implicit-def: $vgpr85
; %bb.18:
	s_and_not1_saveexec_b32 s3, s3
; %bb.19:
	v_and_b32_e32 v83, 0xffff, v85
	v_or_b32_e32 v90, 0x10000, v85
	s_delay_alu instid0(VALU_DEP_2) | instskip(NEXT) | instid1(VALU_DEP_2)
	v_cmp_eq_u32_e32 vcc_lo, 0, v83
	v_cndmask_b32_e32 v83, v90, v85, vcc_lo
; %bb.20:
	s_or_b32 exec_lo, exec_lo, s3
	v_and_b32_e32 v85, 0x7f800000, v86
	s_delay_alu instid0(VALU_DEP_1) | instskip(SKIP_1) | instid1(SALU_CYCLE_1)
	v_cmp_ne_u32_e32 vcc_lo, 0x7f800000, v85
                                        ; implicit-def: $vgpr85
	s_and_saveexec_b32 s3, vcc_lo
	s_xor_b32 s3, exec_lo, s3
; %bb.21:
	v_bfe_u32 v85, v86, 16, 1
	s_delay_alu instid0(VALU_DEP_1)
	v_add3_u32 v85, v86, v85, 0x7fff
                                        ; implicit-def: $vgpr86
; %bb.22:
	s_and_not1_saveexec_b32 s3, s3
; %bb.23:
	v_and_b32_e32 v85, 0xffff, v86
	v_or_b32_e32 v90, 0x10000, v86
	s_delay_alu instid0(VALU_DEP_2) | instskip(NEXT) | instid1(VALU_DEP_2)
	v_cmp_eq_u32_e32 vcc_lo, 0, v85
	v_cndmask_b32_e32 v85, v90, v86, vcc_lo
; %bb.24:
	s_or_b32 exec_lo, exec_lo, s3
	v_and_b32_e32 v86, 0x7f800000, v89
	s_delay_alu instid0(VALU_DEP_1) | instskip(SKIP_1) | instid1(SALU_CYCLE_1)
	v_cmp_ne_u32_e32 vcc_lo, 0x7f800000, v86
                                        ; implicit-def: $vgpr86
	s_and_saveexec_b32 s3, vcc_lo
	s_xor_b32 s3, exec_lo, s3
; %bb.25:
	v_bfe_u32 v86, v89, 16, 1
	s_delay_alu instid0(VALU_DEP_1)
	v_add3_u32 v86, v89, v86, 0x7fff
                                        ; implicit-def: $vgpr89
; %bb.26:
	s_and_not1_saveexec_b32 s3, s3
; %bb.27:
	v_and_b32_e32 v86, 0xffff, v89
	v_or_b32_e32 v90, 0x10000, v89
	s_delay_alu instid0(VALU_DEP_2) | instskip(NEXT) | instid1(VALU_DEP_2)
	v_cmp_eq_u32_e32 vcc_lo, 0, v86
	v_cndmask_b32_e32 v86, v90, v89, vcc_lo
; %bb.28:
	s_or_b32 exec_lo, exec_lo, s3
	v_and_b32_e32 v89, 0x7f800000, v88
	s_delay_alu instid0(VALU_DEP_1) | instskip(SKIP_1) | instid1(SALU_CYCLE_1)
	v_cmp_ne_u32_e32 vcc_lo, 0x7f800000, v89
                                        ; implicit-def: $vgpr89
	s_and_saveexec_b32 s3, vcc_lo
	s_xor_b32 s3, exec_lo, s3
; %bb.29:
	v_bfe_u32 v89, v88, 16, 1
	s_delay_alu instid0(VALU_DEP_1)
	v_add3_u32 v89, v88, v89, 0x7fff
                                        ; implicit-def: $vgpr88
; %bb.30:
	s_and_not1_saveexec_b32 s3, s3
; %bb.31:
	v_and_b32_e32 v89, 0xffff, v88
	v_or_b32_e32 v90, 0x10000, v88
	s_delay_alu instid0(VALU_DEP_2) | instskip(NEXT) | instid1(VALU_DEP_2)
	v_cmp_eq_u32_e32 vcc_lo, 0, v89
	v_cndmask_b32_e32 v89, v90, v88, vcc_lo
; %bb.32:
	s_or_b32 exec_lo, exec_lo, s3
	v_and_b32_e32 v88, 0x7f800000, v87
	s_delay_alu instid0(VALU_DEP_1) | instskip(SKIP_1) | instid1(SALU_CYCLE_1)
	v_cmp_ne_u32_e32 vcc_lo, 0x7f800000, v88
                                        ; implicit-def: $vgpr88
	s_and_saveexec_b32 s3, vcc_lo
	s_xor_b32 s3, exec_lo, s3
; %bb.33:
	v_bfe_u32 v88, v87, 16, 1
	s_delay_alu instid0(VALU_DEP_1)
	v_add3_u32 v88, v87, v88, 0x7fff
                                        ; implicit-def: $vgpr87
; %bb.34:
	s_and_not1_saveexec_b32 s3, s3
; %bb.35:
	v_and_b32_e32 v88, 0xffff, v87
	v_or_b32_e32 v90, 0x10000, v87
	s_delay_alu instid0(VALU_DEP_2) | instskip(NEXT) | instid1(VALU_DEP_2)
	v_cmp_eq_u32_e32 vcc_lo, 0, v88
	v_cndmask_b32_e32 v88, v90, v87, vcc_lo
; %bb.36:
	s_or_b32 exec_lo, exec_lo, s3
	v_and_b32_e32 v87, 0x7f800000, v84
	s_delay_alu instid0(VALU_DEP_1) | instskip(SKIP_1) | instid1(SALU_CYCLE_1)
	v_cmp_ne_u32_e32 vcc_lo, 0x7f800000, v87
                                        ; implicit-def: $vgpr87
	s_and_saveexec_b32 s3, vcc_lo
	s_xor_b32 s3, exec_lo, s3
; %bb.37:
	v_bfe_u32 v87, v84, 16, 1
	s_delay_alu instid0(VALU_DEP_1)
	v_add3_u32 v87, v84, v87, 0x7fff
                                        ; implicit-def: $vgpr84
; %bb.38:
	s_and_not1_saveexec_b32 s3, s3
; %bb.39:
	v_and_b32_e32 v87, 0xffff, v84
	v_or_b32_e32 v90, 0x10000, v84
	s_delay_alu instid0(VALU_DEP_2) | instskip(NEXT) | instid1(VALU_DEP_2)
	v_cmp_eq_u32_e32 vcc_lo, 0, v87
	v_cndmask_b32_e32 v87, v90, v84, vcc_lo
; %bb.40:
	s_or_b32 exec_lo, exec_lo, s3
	v_and_b32_e32 v84, 0x7f800000, v80
	s_delay_alu instid0(VALU_DEP_1) | instskip(SKIP_1) | instid1(SALU_CYCLE_1)
	v_cmp_ne_u32_e32 vcc_lo, 0x7f800000, v84
                                        ; implicit-def: $vgpr84
	s_and_saveexec_b32 s3, vcc_lo
	s_xor_b32 s3, exec_lo, s3
; %bb.41:
	v_bfe_u32 v84, v80, 16, 1
	s_delay_alu instid0(VALU_DEP_1)
	v_add3_u32 v84, v80, v84, 0x7fff
                                        ; implicit-def: $vgpr80
; %bb.42:
	s_and_not1_saveexec_b32 s3, s3
; %bb.43:
	v_and_b32_e32 v84, 0xffff, v80
	v_or_b32_e32 v90, 0x10000, v80
	s_delay_alu instid0(VALU_DEP_2) | instskip(NEXT) | instid1(VALU_DEP_2)
	v_cmp_eq_u32_e32 vcc_lo, 0, v84
	v_cndmask_b32_e32 v84, v90, v80, vcc_lo
; %bb.44:
	s_or_b32 exec_lo, exec_lo, s3
	s_load_b64 s[34:35], s[0:1], 0x94
	v_lshlrev_b32_e32 v91, 4, v74
	s_delay_alu instid0(VALU_DEP_2)
	v_perm_b32 v90, v84, v87, 0x7060302
	v_dual_mul_f32 v79, v82, v79 :: v_dual_lshlrev_b32 v80, 6, v65
	v_dual_mul_f32 v77, v82, v77 :: v_dual_lshlrev_b32 v92, 11, v66
	v_mul_f32_e32 v84, v82, v70
	v_perm_b32 v89, v88, v89, 0x7060302
	v_perm_b32 v88, v86, v85, 0x7060302
	v_perm_b32 v87, v83, v76, 0x7060302
	v_mul_f32_e32 v70, v82, v81
	v_or3_b32 v76, v91, v92, v80
	v_dual_mul_f32 v78, v82, v78 :: v_dual_and_b32 v85, 0x7f800000, v84
	v_mul_f32_e32 v83, v82, v72
	v_mul_f32_e32 v81, v82, v71
	;; [unrolled: 1-line block ×3, first 2 shown]
	s_mov_b32 s3, exec_lo
	ds_store_b128 v76, v[87:90]
                                        ; implicit-def: $vgpr69
	v_cmpx_ne_u32_e32 0x7f800000, v85
	s_xor_b32 s3, exec_lo, s3
; %bb.45:
	v_bfe_u32 v69, v84, 16, 1
	s_delay_alu instid0(VALU_DEP_1)
	v_add3_u32 v69, v84, v69, 0x7fff
                                        ; implicit-def: $vgpr84
; %bb.46:
	s_and_not1_saveexec_b32 s3, s3
; %bb.47:
	v_and_b32_e32 v69, 0xffff, v84
	v_or_b32_e32 v71, 0x10000, v84
	s_delay_alu instid0(VALU_DEP_2) | instskip(NEXT) | instid1(VALU_DEP_2)
	v_cmp_eq_u32_e32 vcc_lo, 0, v69
	v_cndmask_b32_e32 v69, v71, v84, vcc_lo
; %bb.48:
	s_or_b32 exec_lo, exec_lo, s3
	v_and_b32_e32 v71, 0x7f800000, v72
	s_delay_alu instid0(VALU_DEP_1) | instskip(SKIP_1) | instid1(SALU_CYCLE_1)
	v_cmp_ne_u32_e32 vcc_lo, 0x7f800000, v71
                                        ; implicit-def: $vgpr71
	s_and_saveexec_b32 s3, vcc_lo
	s_xor_b32 s3, exec_lo, s3
; %bb.49:
	v_bfe_u32 v71, v72, 16, 1
	s_delay_alu instid0(VALU_DEP_1)
	v_add3_u32 v71, v72, v71, 0x7fff
                                        ; implicit-def: $vgpr72
; %bb.50:
	s_and_not1_saveexec_b32 s3, s3
; %bb.51:
	v_and_b32_e32 v71, 0xffff, v72
	v_or_b32_e32 v82, 0x10000, v72
	s_delay_alu instid0(VALU_DEP_2) | instskip(NEXT) | instid1(VALU_DEP_2)
	v_cmp_eq_u32_e32 vcc_lo, 0, v71
	v_cndmask_b32_e32 v71, v82, v72, vcc_lo
; %bb.52:
	s_or_b32 exec_lo, exec_lo, s3
	v_and_b32_e32 v72, 0x7f800000, v81
	s_delay_alu instid0(VALU_DEP_1) | instskip(SKIP_1) | instid1(SALU_CYCLE_1)
	v_cmp_ne_u32_e32 vcc_lo, 0x7f800000, v72
                                        ; implicit-def: $vgpr72
	s_and_saveexec_b32 s3, vcc_lo
	s_xor_b32 s3, exec_lo, s3
; %bb.53:
	v_bfe_u32 v72, v81, 16, 1
	s_delay_alu instid0(VALU_DEP_1)
	v_add3_u32 v72, v81, v72, 0x7fff
                                        ; implicit-def: $vgpr81
; %bb.54:
	s_and_not1_saveexec_b32 s3, s3
; %bb.55:
	v_and_b32_e32 v72, 0xffff, v81
	v_or_b32_e32 v82, 0x10000, v81
	s_delay_alu instid0(VALU_DEP_2) | instskip(NEXT) | instid1(VALU_DEP_2)
	v_cmp_eq_u32_e32 vcc_lo, 0, v72
	v_cndmask_b32_e32 v72, v82, v81, vcc_lo
; %bb.56:
	s_or_b32 exec_lo, exec_lo, s3
	v_and_b32_e32 v81, 0x7f800000, v83
	s_delay_alu instid0(VALU_DEP_1) | instskip(SKIP_1) | instid1(SALU_CYCLE_1)
	v_cmp_ne_u32_e32 vcc_lo, 0x7f800000, v81
                                        ; implicit-def: $vgpr81
	s_and_saveexec_b32 s3, vcc_lo
	s_xor_b32 s3, exec_lo, s3
; %bb.57:
	v_bfe_u32 v81, v83, 16, 1
	s_delay_alu instid0(VALU_DEP_1)
	v_add3_u32 v81, v83, v81, 0x7fff
                                        ; implicit-def: $vgpr83
; %bb.58:
	s_and_not1_saveexec_b32 s3, s3
; %bb.59:
	v_and_b32_e32 v81, 0xffff, v83
	v_or_b32_e32 v82, 0x10000, v83
	s_delay_alu instid0(VALU_DEP_2) | instskip(NEXT) | instid1(VALU_DEP_2)
	v_cmp_eq_u32_e32 vcc_lo, 0, v81
	v_cndmask_b32_e32 v81, v82, v83, vcc_lo
; %bb.60:
	s_or_b32 exec_lo, exec_lo, s3
	v_and_b32_e32 v82, 0x7f800000, v77
	s_delay_alu instid0(VALU_DEP_1) | instskip(SKIP_1) | instid1(SALU_CYCLE_1)
	v_cmp_ne_u32_e32 vcc_lo, 0x7f800000, v82
                                        ; implicit-def: $vgpr82
	s_and_saveexec_b32 s3, vcc_lo
	s_xor_b32 s3, exec_lo, s3
; %bb.61:
	v_bfe_u32 v82, v77, 16, 1
	s_delay_alu instid0(VALU_DEP_1)
	v_add3_u32 v82, v77, v82, 0x7fff
                                        ; implicit-def: $vgpr77
; %bb.62:
	s_and_not1_saveexec_b32 s3, s3
; %bb.63:
	v_and_b32_e32 v82, 0xffff, v77
	v_or_b32_e32 v83, 0x10000, v77
	s_delay_alu instid0(VALU_DEP_2) | instskip(NEXT) | instid1(VALU_DEP_2)
	v_cmp_eq_u32_e32 vcc_lo, 0, v82
	v_cndmask_b32_e32 v82, v83, v77, vcc_lo
; %bb.64:
	s_or_b32 exec_lo, exec_lo, s3
	v_and_b32_e32 v77, 0x7f800000, v78
	s_delay_alu instid0(VALU_DEP_1) | instskip(SKIP_1) | instid1(SALU_CYCLE_1)
	v_cmp_ne_u32_e32 vcc_lo, 0x7f800000, v77
                                        ; implicit-def: $vgpr77
	s_and_saveexec_b32 s3, vcc_lo
	s_xor_b32 s3, exec_lo, s3
; %bb.65:
	v_bfe_u32 v77, v78, 16, 1
	s_delay_alu instid0(VALU_DEP_1)
	v_add3_u32 v77, v78, v77, 0x7fff
                                        ; implicit-def: $vgpr78
; %bb.66:
	s_and_not1_saveexec_b32 s3, s3
; %bb.67:
	v_and_b32_e32 v77, 0xffff, v78
	v_or_b32_e32 v83, 0x10000, v78
	s_delay_alu instid0(VALU_DEP_2) | instskip(NEXT) | instid1(VALU_DEP_2)
	v_cmp_eq_u32_e32 vcc_lo, 0, v77
	v_cndmask_b32_e32 v77, v83, v78, vcc_lo
; %bb.68:
	s_or_b32 exec_lo, exec_lo, s3
	v_and_b32_e32 v78, 0x7f800000, v79
	s_delay_alu instid0(VALU_DEP_1) | instskip(SKIP_1) | instid1(SALU_CYCLE_1)
	v_cmp_ne_u32_e32 vcc_lo, 0x7f800000, v78
                                        ; implicit-def: $vgpr78
	s_and_saveexec_b32 s3, vcc_lo
	s_xor_b32 s3, exec_lo, s3
; %bb.69:
	v_bfe_u32 v78, v79, 16, 1
	s_delay_alu instid0(VALU_DEP_1)
	v_add3_u32 v78, v79, v78, 0x7fff
                                        ; implicit-def: $vgpr79
; %bb.70:
	s_and_not1_saveexec_b32 s3, s3
; %bb.71:
	v_and_b32_e32 v78, 0xffff, v79
	v_or_b32_e32 v83, 0x10000, v79
	s_delay_alu instid0(VALU_DEP_2) | instskip(NEXT) | instid1(VALU_DEP_2)
	v_cmp_eq_u32_e32 vcc_lo, 0, v78
	v_cndmask_b32_e32 v78, v83, v79, vcc_lo
; %bb.72:
	s_or_b32 exec_lo, exec_lo, s3
	v_and_b32_e32 v79, 0x7f800000, v70
	s_delay_alu instid0(VALU_DEP_1) | instskip(SKIP_1) | instid1(SALU_CYCLE_1)
	v_cmp_ne_u32_e32 vcc_lo, 0x7f800000, v79
                                        ; implicit-def: $vgpr79
	s_and_saveexec_b32 s3, vcc_lo
	s_xor_b32 s3, exec_lo, s3
; %bb.73:
	v_bfe_u32 v79, v70, 16, 1
	s_delay_alu instid0(VALU_DEP_1)
	v_add3_u32 v79, v70, v79, 0x7fff
                                        ; implicit-def: $vgpr70
; %bb.74:
	s_and_not1_saveexec_b32 s3, s3
; %bb.75:
	v_and_b32_e32 v79, 0xffff, v70
	v_or_b32_e32 v83, 0x10000, v70
	s_delay_alu instid0(VALU_DEP_2) | instskip(NEXT) | instid1(VALU_DEP_2)
	v_cmp_eq_u32_e32 vcc_lo, 0, v79
	v_cndmask_b32_e32 v79, v83, v70, vcc_lo
; %bb.76:
	s_or_b32 exec_lo, exec_lo, s3
	s_delay_alu instid0(VALU_DEP_1)
	v_perm_b32 v86, v79, v78, 0x7060302
	v_perm_b32 v85, v77, v82, 0x7060302
	;; [unrolled: 1-line block ×4, first 2 shown]
	v_lshl_or_b32 v82, v66, 11, v80
	ds_store_b128 v76, v[83:86] offset:1024
	s_waitcnt lgkmcnt(0)
	s_barrier
	buffer_gl0_inv
	ds_load_b128 v[69:72], v82
	ds_load_b128 v[83:86], v82 offset:16
	s_waitcnt lgkmcnt(1)
	v_lshrrev_b32_e32 v66, 16, v69
	s_waitcnt lgkmcnt(0)
	v_lshrrev_b32_e32 v91, 16, v83
	v_lshlrev_b32_e32 v78, 2, v74
	v_lshrrev_b32_e32 v95, 16, v70
	v_lshrrev_b32_e32 v98, 16, v84
	;; [unrolled: 1-line block ×4, first 2 shown]
	v_cmp_eq_u32_e32 vcc_lo, 1, v78
	v_lshrrev_b32_e32 v97, 16, v72
	v_lshrrev_b32_e32 v100, 16, v86
	v_cndmask_b32_e32 v87, v83, v91, vcc_lo
	v_or_b32_e32 v79, 1, v78
	v_cndmask_b32_e32 v81, v69, v66, vcc_lo
	v_cmp_eq_u32_e64 s4, 2, v78
	v_cmp_eq_u32_e64 s7, 3, v78
	;; [unrolled: 1-line block ×5, first 2 shown]
	v_cndmask_b32_e64 v81, v81, v70, s4
	v_cndmask_b32_e64 v87, v87, v84, s4
	v_cmp_eq_u32_e64 s8, 3, v79
	v_cndmask_b32_e64 v88, v69, v66, s3
	v_or_b32_e32 v77, 2, v78
	v_cndmask_b32_e64 v81, v81, v95, s7
	v_cndmask_b32_e64 v87, v87, v98, s7
	;; [unrolled: 1-line block ×4, first 2 shown]
	v_cmp_eq_u32_e64 s10, 5, v78
	v_cndmask_b32_e64 v81, v81, v71, s9
	v_cndmask_b32_e64 v87, v87, v85, s9
	v_cmp_eq_u32_e64 s11, 4, v79
	v_cndmask_b32_e64 v88, v88, v95, s8
	v_cmp_eq_u32_e64 s5, 1, v77
	v_cndmask_b32_e64 v89, v89, v84, s6
	v_cndmask_b32_e64 v81, v81, v96, s10
	v_cmp_eq_u32_e64 s12, 6, v78
	v_cndmask_b32_e64 v88, v88, v71, s11
	;; [unrolled: 3-line block ×3, first 2 shown]
	v_cndmask_b32_e64 v89, v89, v98, s8
	v_cndmask_b32_e64 v81, v81, v72, s12
	v_cmp_eq_u32_e64 s15, 7, v78
	v_cndmask_b32_e64 v88, v88, v96, s13
	v_cndmask_b32_e64 v87, v87, v86, s12
	v_cmp_eq_u32_e64 s16, 6, v79
	v_cmp_eq_u32_e64 s17, 2, v77
	v_cndmask_b32_e64 v89, v89, v85, s11
	v_cndmask_b32_e64 v101, v81, v97, s15
	v_cndmask_b32_e64 v102, v87, v100, s15
	v_cndmask_b32_e64 v88, v88, v72, s16
	v_cndmask_b32_e64 v81, v90, v70, s17
	v_cndmask_b32_e64 v87, v83, v91, s5
	v_cmp_eq_u32_e64 s18, 7, v79
	v_cmp_eq_u32_e64 s19, 3, v77
	;; [unrolled: 1-line block ×4, first 2 shown]
	v_cndmask_b32_e64 v87, v87, v84, s17
	v_cndmask_b32_e64 v103, v88, v97, s18
	;; [unrolled: 1-line block ×4, first 2 shown]
	v_or_b32_e32 v81, 3, v78
	v_cndmask_b32_e64 v93, v87, v98, s19
	v_cmp_eq_u32_e64 s24, 6, v77
	v_cndmask_b32_e64 v104, v88, v86, s16
	v_cndmask_b32_e64 v92, v89, v71, s20
	v_cmp_eq_u32_e64 s21, 1, v81
	ds_load_b128 v[87:90], v82 offset:1024
	v_cmp_eq_u32_e64 s23, 2, v81
	v_cmp_eq_u32_e64 s25, 3, v81
	v_cndmask_b32_e64 v105, v92, v96, s22
	v_cndmask_b32_e64 v66, v69, v66, s21
	;; [unrolled: 1-line block ×4, first 2 shown]
	ds_load_b128 v[91:94], v82 offset:1040
	v_cmp_eq_u32_e64 s26, 4, v81
	v_cndmask_b32_e64 v66, v66, v70, s23
	v_cmp_eq_u32_e64 s27, 7, v77
	v_cndmask_b32_e64 v70, v83, v84, s23
	v_cndmask_b32_e64 v84, v105, v72, s24
	v_cmp_eq_u32_e64 s28, 5, v81
	v_cndmask_b32_e64 v66, v66, v95, s25
	v_cmp_eq_u32_e64 s29, 6, v81
	v_cndmask_b32_e64 v70, v70, v98, s25
	v_cndmask_b32_e64 v69, v69, v99, s22
	;; [unrolled: 1-line block ×4, first 2 shown]
	s_waitcnt lgkmcnt(1)
	v_lshrrev_b32_e32 v95, 16, v87
	v_cndmask_b32_e64 v70, v70, v85, s26
	v_cndmask_b32_e64 v71, v84, v97, s27
	;; [unrolled: 1-line block ×4, first 2 shown]
	v_cndmask_b32_e32 v84, v87, v95, vcc_lo
	v_cndmask_b32_e64 v70, v70, v99, s28
	s_waitcnt lgkmcnt(0)
	v_lshrrev_b32_e32 v85, 16, v91
	v_lshrrev_b32_e32 v96, 16, v88
	v_cndmask_b32_e64 v98, v87, v95, s3
	v_cndmask_b32_e64 v84, v84, v88, s4
	;; [unrolled: 1-line block ×3, first 2 shown]
	v_cndmask_b32_e32 v99, v91, v85, vcc_lo
	v_cmp_eq_u32_e32 vcc_lo, 7, v81
	v_cndmask_b32_e64 v66, v66, v72, s29
	v_cndmask_b32_e64 v72, v84, v96, s7
	;; [unrolled: 1-line block ×3, first 2 shown]
	v_lshrrev_b32_e32 v98, 16, v92
	v_cndmask_b32_e32 v70, v70, v100, vcc_lo
	v_cndmask_b32_e64 v86, v99, v92, s4
	v_cndmask_b32_e64 v69, v69, v100, s27
	v_lshrrev_b32_e32 v100, 16, v93
	v_cndmask_b32_e64 v72, v72, v89, s9
	v_lshrrev_b32_e32 v99, 16, v89
	v_cndmask_b32_e64 v86, v86, v98, s7
	v_perm_b32 v71, v69, v71, 0x5040100
	v_cndmask_b32_e64 v84, v84, v96, s8
	s_delay_alu instid0(VALU_DEP_3) | instskip(NEXT) | instid1(VALU_DEP_2)
	v_cndmask_b32_e64 v86, v86, v93, s9
	v_cndmask_b32_e64 v84, v84, v89, s11
	s_delay_alu instid0(VALU_DEP_2) | instskip(NEXT) | instid1(VALU_DEP_1)
	v_cndmask_b32_e64 v86, v86, v100, s10
	v_cndmask_b32_e64 v69, v86, v94, s12
	;; [unrolled: 1-line block ×5, first 2 shown]
	s_delay_alu instid0(VALU_DEP_3) | instskip(NEXT) | instid1(VALU_DEP_3)
	v_cndmask_b32_e64 v86, v86, v88, s17
	v_cndmask_b32_e64 v87, v87, v88, s23
	s_delay_alu instid0(VALU_DEP_3) | instskip(NEXT) | instid1(VALU_DEP_3)
	v_cndmask_b32_e64 v88, v95, v92, s23
	v_cndmask_b32_e64 v86, v86, v96, s19
	;; [unrolled: 3-line block ×7, first 2 shown]
	s_delay_alu instid0(VALU_DEP_3) | instskip(SKIP_2) | instid1(VALU_DEP_2)
	v_cndmask_b32_e64 v88, v88, v94, s29
	v_cndmask_b32_e32 v66, v66, v97, vcc_lo
	v_cndmask_b32_e64 v97, v72, v99, s10
	v_perm_b32 v72, v70, v66, 0x5040100
	v_perm_b32 v70, v83, v103, 0x5040100
	v_cndmask_b32_e64 v103, v91, v85, s5
	v_cndmask_b32_e64 v85, v91, v85, s3
	;; [unrolled: 1-line block ×4, first 2 shown]
	v_lshrrev_b32_e32 v97, 16, v90
	v_cndmask_b32_e64 v91, v103, v92, s17
	v_cndmask_b32_e64 v85, v85, v92, s6
	;; [unrolled: 1-line block ×3, first 2 shown]
	s_mov_b32 s3, exec_lo
	v_cndmask_b32_e64 v83, v84, v97, s15
	v_cndmask_b32_e64 v91, v91, v98, s19
	;; [unrolled: 1-line block ×3, first 2 shown]
	v_lshrrev_b32_e32 v84, 16, v94
	v_cndmask_b32_e64 v66, v66, v97, s18
	v_cndmask_b32_e64 v90, v86, v97, s27
	;; [unrolled: 1-line block ×4, first 2 shown]
	v_dual_cndmask_b32 v86, v87, v97 :: v_dual_cndmask_b32 v87, v88, v84
	v_cndmask_b32_e64 v91, v69, v84, s15
	s_delay_alu instid0(VALU_DEP_4) | instskip(NEXT) | instid1(VALU_DEP_4)
	v_cndmask_b32_e64 v89, v89, v100, s22
	v_cndmask_b32_e64 v85, v85, v100, s13
	v_perm_b32 v69, v102, v101, 0x5040100
	v_perm_b32 v86, v87, v86, 0x5040100
	;; [unrolled: 1-line block ×3, first 2 shown]
	v_cndmask_b32_e64 v89, v89, v94, s24
	v_cndmask_b32_e64 v85, v85, v94, s16
	s_mul_i32 s8, s35, 13
	s_delay_alu instid0(VALU_DEP_2) | instskip(NEXT) | instid1(VALU_DEP_2)
	v_cndmask_b32_e64 v88, v89, v84, s27
	v_cndmask_b32_e64 v89, v85, v84, s18
	s_delay_alu instid0(VALU_DEP_2) | instskip(NEXT) | instid1(VALU_DEP_2)
	v_perm_b32 v85, v88, v90, 0x5040100
	v_perm_b32 v84, v89, v66, 0x5040100
	ds_store_b128 v76, v[69:72]
	ds_store_b128 v76, v[83:86] offset:1024
	v_cmpx_gt_u32_e32 13, v0
	s_cbranch_execz .LBB1558_78
; %bb.77:
	s_mul_i32 s4, s8, s30
	s_delay_alu instid0(SALU_CYCLE_1) | instskip(SKIP_1) | instid1(VALU_DEP_1)
	v_add3_u32 v69, s4, s31, v65
	s_load_b128 s[4:7], s[0:1], 0x58
	v_mad_u64_u32 v[65:66], null, v69, s34, s[14:15]
	s_delay_alu instid0(VALU_DEP_1) | instskip(NEXT) | instid1(VALU_DEP_1)
	v_ashrrev_i32_e32 v66, 31, v65
	v_lshlrev_b64 v[65:66], 2, v[65:66]
	s_waitcnt lgkmcnt(0)
	s_delay_alu instid0(VALU_DEP_1) | instskip(NEXT) | instid1(VALU_DEP_2)
	v_add_co_u32 v69, vcc_lo, s6, v65
	v_add_co_ci_u32_e32 v70, vcc_lo, s7, v66, vcc_lo
	v_add_co_u32 v65, vcc_lo, s4, v65
	v_add_co_ci_u32_e32 v66, vcc_lo, s5, v66, vcc_lo
	global_store_b32 v[69:70], v67, off
	global_store_b32 v[65:66], v68, off
.LBB1558_78:
	s_or_b32 exec_lo, exec_lo, s3
	s_waitcnt lgkmcnt(0)
	s_waitcnt_vscnt null, 0x0
	s_barrier
	buffer_gl0_inv
	ds_load_b128 v[83:86], v80
	ds_load_b128 v[87:90], v80 offset:16
	ds_load_b128 v[95:98], v80 offset:2064
	;; [unrolled: 1-line block ×3, first 2 shown]
	v_mov_b32_e32 v65, 0
	ds_load_b128 v[103:106], v80 offset:4112
	ds_load_b128 v[99:102], v80 offset:4096
	;; [unrolled: 1-line block ×4, first 2 shown]
	v_mov_b32_e32 v66, v65
	v_mov_b32_e32 v67, v65
	;; [unrolled: 1-line block ×7, first 2 shown]
	s_waitcnt lgkmcnt(6)
	s_delay_alu instid0(VALU_DEP_1)
	v_wmma_f32_16x16x16_bf16 v[65:72], v[49:56], v[83:90], v[65:72]
	ds_load_b128 v[53:56], v80 offset:8208
	ds_load_b128 v[49:52], v80 offset:8192
	s_waitcnt lgkmcnt(6)
	v_wmma_f32_16x16x16_bf16 v[65:72], v[41:48], v[91:98], v[65:72]
	ds_load_b128 v[45:48], v80 offset:10256
	ds_load_b128 v[41:44], v80 offset:10240
	s_waitcnt lgkmcnt(6)
	;; [unrolled: 4-line block ×4, first 2 shown]
	v_wmma_f32_16x16x16_bf16 v[65:72], v[1:8], v[49:56], v[65:72]
	s_waitcnt lgkmcnt(4)
	s_delay_alu instid0(VALU_DEP_1) | instskip(SKIP_1) | instid1(VALU_DEP_1)
	v_wmma_f32_16x16x16_bf16 v[65:72], v[9:16], v[41:48], v[65:72]
	s_waitcnt lgkmcnt(2)
	v_wmma_f32_16x16x16_bf16 v[65:72], v[17:24], v[33:40], v[65:72]
	s_waitcnt lgkmcnt(0)
	s_delay_alu instid0(VALU_DEP_1) | instskip(NEXT) | instid1(VALU_DEP_1)
	v_wmma_f32_16x16x16_bf16 v[65:72], v[57:64], v[25:32], v[65:72]
	v_and_b32_e32 v1, 0x7f800000, v65
	s_delay_alu instid0(VALU_DEP_1) | instskip(SKIP_1) | instid1(SALU_CYCLE_1)
	v_cmp_ne_u32_e32 vcc_lo, 0x7f800000, v1
                                        ; implicit-def: $vgpr1
	s_and_saveexec_b32 s3, vcc_lo
	s_xor_b32 s3, exec_lo, s3
; %bb.79:
	v_bfe_u32 v1, v65, 16, 1
	s_delay_alu instid0(VALU_DEP_1)
	v_add3_u32 v1, v65, v1, 0x7fff
; %bb.80:
	s_and_not1_saveexec_b32 s3, s3
; %bb.81:
	v_and_b32_e32 v1, 0xffff, v65
	v_or_b32_e32 v2, 0x10000, v65
	s_delay_alu instid0(VALU_DEP_2) | instskip(NEXT) | instid1(VALU_DEP_2)
	v_cmp_eq_u32_e32 vcc_lo, 0, v1
	v_cndmask_b32_e32 v1, v2, v65, vcc_lo
; %bb.82:
	s_or_b32 exec_lo, exec_lo, s3
	v_and_b32_e32 v2, 0x7f800000, v66
	s_delay_alu instid0(VALU_DEP_1) | instskip(SKIP_1) | instid1(SALU_CYCLE_1)
	v_cmp_ne_u32_e32 vcc_lo, 0x7f800000, v2
                                        ; implicit-def: $vgpr2
	s_and_saveexec_b32 s3, vcc_lo
	s_xor_b32 s3, exec_lo, s3
; %bb.83:
	v_bfe_u32 v2, v66, 16, 1
	s_delay_alu instid0(VALU_DEP_1)
	v_add3_u32 v2, v66, v2, 0x7fff
; %bb.84:
	s_and_not1_saveexec_b32 s3, s3
; %bb.85:
	v_and_b32_e32 v2, 0xffff, v66
	v_or_b32_e32 v3, 0x10000, v66
	s_delay_alu instid0(VALU_DEP_2) | instskip(NEXT) | instid1(VALU_DEP_2)
	v_cmp_eq_u32_e32 vcc_lo, 0, v2
	v_cndmask_b32_e32 v2, v3, v66, vcc_lo
; %bb.86:
	s_or_b32 exec_lo, exec_lo, s3
	v_and_b32_e32 v3, 0x7f800000, v67
	s_delay_alu instid0(VALU_DEP_1) | instskip(SKIP_1) | instid1(SALU_CYCLE_1)
	v_cmp_ne_u32_e32 vcc_lo, 0x7f800000, v3
                                        ; implicit-def: $vgpr3
	s_and_saveexec_b32 s3, vcc_lo
	s_xor_b32 s3, exec_lo, s3
; %bb.87:
	v_bfe_u32 v3, v67, 16, 1
	s_delay_alu instid0(VALU_DEP_1)
	v_add3_u32 v3, v67, v3, 0x7fff
; %bb.88:
	s_and_not1_saveexec_b32 s3, s3
; %bb.89:
	v_and_b32_e32 v3, 0xffff, v67
	v_or_b32_e32 v4, 0x10000, v67
	s_delay_alu instid0(VALU_DEP_2) | instskip(NEXT) | instid1(VALU_DEP_2)
	v_cmp_eq_u32_e32 vcc_lo, 0, v3
	v_cndmask_b32_e32 v3, v4, v67, vcc_lo
; %bb.90:
	s_or_b32 exec_lo, exec_lo, s3
	v_and_b32_e32 v4, 0x7f800000, v68
	s_delay_alu instid0(VALU_DEP_1) | instskip(SKIP_1) | instid1(SALU_CYCLE_1)
	v_cmp_ne_u32_e32 vcc_lo, 0x7f800000, v4
                                        ; implicit-def: $vgpr4
	s_and_saveexec_b32 s3, vcc_lo
	s_xor_b32 s3, exec_lo, s3
; %bb.91:
	v_bfe_u32 v4, v68, 16, 1
	s_delay_alu instid0(VALU_DEP_1)
	v_add3_u32 v4, v68, v4, 0x7fff
; %bb.92:
	s_and_not1_saveexec_b32 s3, s3
; %bb.93:
	v_and_b32_e32 v4, 0xffff, v68
	v_or_b32_e32 v5, 0x10000, v68
	s_delay_alu instid0(VALU_DEP_2) | instskip(NEXT) | instid1(VALU_DEP_2)
	v_cmp_eq_u32_e32 vcc_lo, 0, v4
	v_cndmask_b32_e32 v4, v5, v68, vcc_lo
; %bb.94:
	s_or_b32 exec_lo, exec_lo, s3
	v_and_b32_e32 v5, 0x7f800000, v69
	s_delay_alu instid0(VALU_DEP_1) | instskip(SKIP_1) | instid1(SALU_CYCLE_1)
	v_cmp_ne_u32_e32 vcc_lo, 0x7f800000, v5
                                        ; implicit-def: $vgpr5
	s_and_saveexec_b32 s3, vcc_lo
	s_xor_b32 s3, exec_lo, s3
; %bb.95:
	v_bfe_u32 v5, v69, 16, 1
	s_delay_alu instid0(VALU_DEP_1)
	v_add3_u32 v5, v69, v5, 0x7fff
; %bb.96:
	s_and_not1_saveexec_b32 s3, s3
; %bb.97:
	v_and_b32_e32 v5, 0xffff, v69
	v_or_b32_e32 v6, 0x10000, v69
	s_delay_alu instid0(VALU_DEP_2) | instskip(NEXT) | instid1(VALU_DEP_2)
	v_cmp_eq_u32_e32 vcc_lo, 0, v5
	v_cndmask_b32_e32 v5, v6, v69, vcc_lo
; %bb.98:
	s_or_b32 exec_lo, exec_lo, s3
	v_and_b32_e32 v6, 0x7f800000, v70
	s_delay_alu instid0(VALU_DEP_1) | instskip(SKIP_1) | instid1(SALU_CYCLE_1)
	v_cmp_ne_u32_e32 vcc_lo, 0x7f800000, v6
                                        ; implicit-def: $vgpr6
	s_and_saveexec_b32 s3, vcc_lo
	s_xor_b32 s3, exec_lo, s3
; %bb.99:
	v_bfe_u32 v6, v70, 16, 1
	s_delay_alu instid0(VALU_DEP_1)
	v_add3_u32 v6, v70, v6, 0x7fff
; %bb.100:
	s_and_not1_saveexec_b32 s3, s3
; %bb.101:
	v_and_b32_e32 v6, 0xffff, v70
	v_or_b32_e32 v7, 0x10000, v70
	s_delay_alu instid0(VALU_DEP_2) | instskip(NEXT) | instid1(VALU_DEP_2)
	v_cmp_eq_u32_e32 vcc_lo, 0, v6
	v_cndmask_b32_e32 v6, v7, v70, vcc_lo
; %bb.102:
	s_or_b32 exec_lo, exec_lo, s3
	v_and_b32_e32 v7, 0x7f800000, v71
	s_delay_alu instid0(VALU_DEP_1) | instskip(SKIP_1) | instid1(SALU_CYCLE_1)
	v_cmp_ne_u32_e32 vcc_lo, 0x7f800000, v7
                                        ; implicit-def: $vgpr7
	s_and_saveexec_b32 s3, vcc_lo
	s_xor_b32 s3, exec_lo, s3
; %bb.103:
	v_bfe_u32 v7, v71, 16, 1
	s_delay_alu instid0(VALU_DEP_1)
	v_add3_u32 v7, v71, v7, 0x7fff
; %bb.104:
	s_and_not1_saveexec_b32 s3, s3
; %bb.105:
	v_and_b32_e32 v7, 0xffff, v71
	v_or_b32_e32 v8, 0x10000, v71
	s_delay_alu instid0(VALU_DEP_2) | instskip(NEXT) | instid1(VALU_DEP_2)
	v_cmp_eq_u32_e32 vcc_lo, 0, v7
	v_cndmask_b32_e32 v7, v8, v71, vcc_lo
; %bb.106:
	s_or_b32 exec_lo, exec_lo, s3
	v_and_b32_e32 v8, 0x7f800000, v72
	s_delay_alu instid0(VALU_DEP_1) | instskip(SKIP_1) | instid1(SALU_CYCLE_1)
	v_cmp_ne_u32_e32 vcc_lo, 0x7f800000, v8
                                        ; implicit-def: $vgpr8
	s_and_saveexec_b32 s3, vcc_lo
	s_xor_b32 s3, exec_lo, s3
; %bb.107:
	v_bfe_u32 v8, v72, 16, 1
	s_delay_alu instid0(VALU_DEP_1)
	v_add3_u32 v8, v72, v8, 0x7fff
                                        ; implicit-def: $vgpr65_vgpr66_vgpr67_vgpr68_vgpr69_vgpr70_vgpr71_vgpr72
; %bb.108:
	s_and_not1_saveexec_b32 s3, s3
; %bb.109:
	v_and_b32_e32 v8, 0xffff, v72
	v_or_b32_e32 v9, 0x10000, v72
	s_delay_alu instid0(VALU_DEP_2) | instskip(NEXT) | instid1(VALU_DEP_2)
	v_cmp_eq_u32_e32 vcc_lo, 0, v8
	v_cndmask_b32_e32 v8, v9, v72, vcc_lo
; %bb.110:
	s_or_b32 exec_lo, exec_lo, s3
	s_delay_alu instid0(VALU_DEP_1)
	v_perm_b32 v7, v8, v7, 0x7060302
	v_perm_b32 v6, v6, v5, 0x7060302
	;; [unrolled: 1-line block ×4, first 2 shown]
	s_barrier
	buffer_gl0_inv
	v_cmp_eq_u32_e32 vcc_lo, 1, v78
	ds_store_b128 v76, v[4:7]
	s_waitcnt lgkmcnt(0)
	s_barrier
	buffer_gl0_inv
	ds_load_b128 v[1:4], v82
	ds_load_b128 v[5:8], v82 offset:16
	v_cmp_eq_u32_e64 s3, 1, v79
	v_cmp_eq_u32_e64 s4, 2, v78
	v_cmp_eq_u32_e64 s5, 3, v78
	v_cmp_eq_u32_e64 s7, 2, v77
	v_cmp_eq_u32_e64 s6, 7, v79
	s_waitcnt lgkmcnt(1)
	v_lshrrev_b32_e32 v9, 16, v1
	s_waitcnt lgkmcnt(0)
	v_lshrrev_b32_e32 v13, 16, v5
	v_lshrrev_b32_e32 v10, 16, v2
	;; [unrolled: 1-line block ×4, first 2 shown]
	v_cndmask_b32_e64 v19, v1, v9, s3
	v_cndmask_b32_e32 v18, v5, v13, vcc_lo
	v_cndmask_b32_e64 v20, v5, v13, s3
	v_cndmask_b32_e32 v17, v1, v9, vcc_lo
	v_cmp_eq_u32_e32 vcc_lo, 2, v79
	v_lshrrev_b32_e32 v15, 16, v7
	v_cmp_eq_u32_e64 s3, 1, v77
	v_lshrrev_b32_e32 v12, 16, v4
	v_lshrrev_b32_e32 v16, 16, v8
	v_cndmask_b32_e32 v20, v20, v6, vcc_lo
	v_cndmask_b32_e64 v17, v17, v2, s4
	v_cndmask_b32_e32 v19, v19, v2, vcc_lo
	v_cndmask_b32_e64 v18, v18, v6, s4
	v_cmp_eq_u32_e32 vcc_lo, 4, v78
	v_cmp_eq_u32_e64 s4, 3, v79
	v_cndmask_b32_e64 v17, v17, v10, s5
	v_cndmask_b32_e64 v21, v1, v9, s3
	;; [unrolled: 1-line block ×5, first 2 shown]
	v_cndmask_b32_e32 v17, v17, v3, vcc_lo
	v_cndmask_b32_e64 v20, v20, v14, s4
	v_cndmask_b32_e32 v18, v18, v7, vcc_lo
	v_cmp_eq_u32_e32 vcc_lo, 4, v79
	v_cmp_eq_u32_e64 s4, 5, v79
	v_cmp_eq_u32_e64 s3, 2, v81
	v_cndmask_b32_e64 v21, v21, v2, s7
	v_cmp_eq_u32_e64 s5, 5, v78
	v_cndmask_b32_e32 v19, v19, v3, vcc_lo
	v_cndmask_b32_e32 v20, v20, v7, vcc_lo
	v_cmp_eq_u32_e32 vcc_lo, 6, v79
	s_delay_alu instid0(VALU_DEP_4) | instskip(NEXT) | instid1(VALU_DEP_4)
	v_cndmask_b32_e64 v17, v17, v11, s5
	v_cndmask_b32_e64 v19, v19, v11, s4
	s_delay_alu instid0(VALU_DEP_4) | instskip(SKIP_1) | instid1(VALU_DEP_3)
	v_cndmask_b32_e64 v20, v20, v15, s4
	v_cmp_eq_u32_e64 s4, 1, v81
	v_cndmask_b32_e32 v19, v19, v4, vcc_lo
	v_cndmask_b32_e64 v18, v18, v15, s5
	s_delay_alu instid0(VALU_DEP_3)
	v_cndmask_b32_e64 v1, v1, v9, s4
	v_cndmask_b32_e64 v5, v5, v13, s4
	v_cmp_eq_u32_e64 s4, 3, v77
	v_cndmask_b32_e64 v13, v22, v6, s7
	v_cmp_eq_u32_e64 s7, 3, v81
	v_cndmask_b32_e64 v1, v1, v2, s3
	v_cndmask_b32_e64 v2, v5, v6, s3
	;; [unrolled: 1-line block ×3, first 2 shown]
	v_cmp_eq_u32_e64 s3, 4, v77
	v_cndmask_b32_e64 v6, v13, v14, s4
	v_cndmask_b32_e64 v1, v1, v10, s7
	v_cmp_eq_u32_e64 s4, 4, v81
	v_cndmask_b32_e64 v2, v2, v14, s7
	v_cndmask_b32_e64 v5, v9, v3, s3
	;; [unrolled: 3-line block ×3, first 2 shown]
	v_cndmask_b32_e64 v2, v2, v7, s4
	v_cmp_eq_u32_e64 s3, 5, v81
	v_cmp_eq_u32_e64 s5, 6, v78
	v_cndmask_b32_e64 v5, v5, v11, s7
	v_cmp_eq_u32_e64 s4, 6, v77
	v_cndmask_b32_e64 v3, v6, v15, s7
	v_cndmask_b32_e64 v1, v1, v11, s3
	v_cmp_eq_u32_e64 s7, 6, v81
	v_cndmask_b32_e64 v2, v2, v15, s3
	v_cndmask_b32_e64 v17, v17, v4, s5
	v_cndmask_b32_e64 v18, v18, v8, s5
	v_cmp_eq_u32_e64 s5, 7, v78
	v_cndmask_b32_e64 v5, v5, v4, s4
	;; [unrolled: 4-line block ×3, first 2 shown]
	v_cmp_eq_u32_e64 s4, 7, v77
	v_cndmask_b32_e32 v4, v20, v8, vcc_lo
	v_cndmask_b32_e64 v17, v17, v12, s5
	v_cndmask_b32_e64 v19, v19, v12, s6
	v_cndmask_b32_e64 v1, v1, v12, s3
	v_cndmask_b32_e64 v5, v5, v12, s4
	v_cndmask_b32_e64 v2, v2, v16, s3
	v_cndmask_b32_e64 v3, v3, v16, s4
	v_cndmask_b32_e64 v6, v4, v16, s6
	v_cndmask_b32_e64 v7, v18, v16, s5
	s_mov_b32 s3, exec_lo
	v_perm_b32 v4, v2, v1, 0x5040100
	v_perm_b32 v3, v3, v5, 0x5040100
	;; [unrolled: 1-line block ×4, first 2 shown]
	ds_store_b128 v76, v[1:4]
	s_waitcnt lgkmcnt(0)
	s_barrier
	buffer_gl0_inv
	v_cmpx_gt_u32_e32 32, v0
	s_cbranch_execz .LBB1558_2
; %bb.111:
	s_load_b64 s[4:5], s[0:1], 0x68
	v_lshlrev_b32_e32 v0, 10, v0
	v_lshlrev_b32_e32 v1, 4, v75
	s_lshl_b32 s0, s34, 7
	v_add_nc_u32_e32 v18, s31, v74
	s_mul_i32 s1, s0, s30
	s_delay_alu instid0(VALU_DEP_2) | instskip(SKIP_1) | instid1(VALU_DEP_2)
	v_and_or_b32 v0, 0x3800, v0, v1
	s_mul_i32 s6, s1, s8
	v_mul_lo_u32 v1, v18, s0
	s_ashr_i32 s7, s6, 31
	v_add_nc_u32_e32 v2, 2, v18
	v_lshl_or_b32 v19, v74, 6, v0
	s_lshl_b64 s[6:7], s[6:7], 1
	v_add_nc_u32_e32 v8, 4, v18
	v_add_nc_u32_e32 v15, 6, v18
	v_mul_lo_u32 v7, v2, s0
	ds_load_b128 v[3:6], v19
	v_ashrrev_i32_e32 v2, 31, v1
	v_mul_lo_u32 v11, v8, s0
	s_waitcnt lgkmcnt(0)
	s_add_u32 s1, s4, s6
	s_addc_u32 s3, s5, s7
	s_lshl_b32 s4, s14, 7
	v_lshlrev_b64 v[9:10], 1, v[1:2]
	s_ashr_i32 s5, s4, 31
	v_ashrrev_i32_e32 v8, 31, v7
	s_lshl_b64 s[4:5], s[4:5], 1
	v_ashrrev_i32_e32 v12, 31, v11
	s_add_u32 s1, s1, s4
	s_addc_u32 s3, s3, s5
	v_add_co_u32 v1, s1, s1, v73
	s_delay_alu instid0(VALU_DEP_1) | instskip(SKIP_1) | instid1(VALU_DEP_3)
	v_add_co_ci_u32_e64 v2, null, s3, 0, s1
	v_mul_lo_u32 v15, v15, s0
	v_add_co_u32 v13, vcc_lo, v1, v9
	s_delay_alu instid0(VALU_DEP_3)
	v_add_co_ci_u32_e32 v14, vcc_lo, v2, v10, vcc_lo
	v_lshlrev_b64 v[16:17], 1, v[7:8]
	ds_load_b128 v[7:10], v19 offset:128
	global_store_b128 v[13:14], v[3:6], off
	v_add_nc_u32_e32 v5, 8, v18
	v_lshlrev_b64 v[3:4], 1, v[11:12]
	v_add_co_u32 v23, vcc_lo, v1, v16
	v_ashrrev_i32_e32 v16, 31, v15
	s_delay_alu instid0(VALU_DEP_4) | instskip(SKIP_3) | instid1(VALU_DEP_3)
	v_mul_lo_u32 v25, v5, s0
	v_add_nc_u32_e32 v5, 10, v18
	v_add_co_ci_u32_e32 v24, vcc_lo, v2, v17, vcc_lo
	v_add_co_u32 v27, vcc_lo, v1, v3
	v_mul_lo_u32 v29, v5, s0
	v_add_co_ci_u32_e32 v28, vcc_lo, v2, v4, vcc_lo
	v_lshlrev_b64 v[31:32], 1, v[15:16]
	ds_load_b128 v[3:6], v19 offset:256
	ds_load_b128 v[11:14], v19 offset:384
	;; [unrolled: 1-line block ×4, first 2 shown]
	v_ashrrev_i32_e32 v26, 31, v25
	v_ashrrev_i32_e32 v30, 31, v29
	v_add_co_u32 v31, vcc_lo, v1, v31
	s_delay_alu instid0(VALU_DEP_3) | instskip(SKIP_1) | instid1(VALU_DEP_4)
	v_lshlrev_b64 v[25:26], 1, v[25:26]
	v_add_co_ci_u32_e32 v32, vcc_lo, v2, v32, vcc_lo
	v_lshlrev_b64 v[29:30], 1, v[29:30]
	s_delay_alu instid0(VALU_DEP_3) | instskip(NEXT) | instid1(VALU_DEP_4)
	v_add_co_u32 v25, vcc_lo, v1, v25
	v_add_co_ci_u32_e32 v26, vcc_lo, v2, v26, vcc_lo
	s_delay_alu instid0(VALU_DEP_3) | instskip(NEXT) | instid1(VALU_DEP_4)
	v_add_co_u32 v29, vcc_lo, v1, v29
	v_add_co_ci_u32_e32 v30, vcc_lo, v2, v30, vcc_lo
	s_waitcnt lgkmcnt(4)
	global_store_b128 v[23:24], v[7:10], off
	s_waitcnt lgkmcnt(3)
	global_store_b128 v[27:28], v[3:6], off
	;; [unrolled: 2-line block ×5, first 2 shown]
	s_and_b32 exec_lo, exec_lo, s2
	s_cbranch_execz .LBB1558_2
; %bb.112:
	ds_load_b128 v[3:6], v0 offset:768
	s_add_i32 s1, s31, 12
	s_delay_alu instid0(SALU_CYCLE_1) | instskip(NEXT) | instid1(SALU_CYCLE_1)
	s_mul_i32 s0, s1, s0
	s_ashr_i32 s1, s0, 31
	s_delay_alu instid0(SALU_CYCLE_1) | instskip(NEXT) | instid1(SALU_CYCLE_1)
	s_lshl_b64 s[0:1], s[0:1], 1
	v_add_co_u32 v0, vcc_lo, v1, s0
	v_add_co_ci_u32_e32 v1, vcc_lo, s1, v2, vcc_lo
	s_waitcnt lgkmcnt(0)
	global_store_b128 v[0:1], v[3:6], off
	s_nop 0
	s_sendmsg sendmsg(MSG_DEALLOC_VGPRS)
	s_endpgm
	.section	.rodata,"a",@progbits
	.p2align	6, 0x0
	.amdhsa_kernel _Z39paged_attention_ll4mi_QKV_mfma16_kernelI14__hip_bfloat16hLN4vllm18Fp8KVCacheDataTypeE1ES0_Li16ELi128ELi256ELb1ELi13EL8MFMAType1EEvPKT_PKT0_S9_ifPKiSB_SB_iPKfiiiPfSE_PS4_PT2_iSD_SD_
		.amdhsa_group_segment_fixed_size 17472
		.amdhsa_private_segment_fixed_size 0
		.amdhsa_kernarg_size 400
		.amdhsa_user_sgpr_count 13
		.amdhsa_user_sgpr_dispatch_ptr 0
		.amdhsa_user_sgpr_queue_ptr 0
		.amdhsa_user_sgpr_kernarg_segment_ptr 1
		.amdhsa_user_sgpr_dispatch_id 0
		.amdhsa_user_sgpr_private_segment_size 0
		.amdhsa_wavefront_size32 1
		.amdhsa_uses_dynamic_stack 0
		.amdhsa_enable_private_segment 0
		.amdhsa_system_sgpr_workgroup_id_x 1
		.amdhsa_system_sgpr_workgroup_id_y 1
		.amdhsa_system_sgpr_workgroup_id_z 1
		.amdhsa_system_sgpr_workgroup_info 0
		.amdhsa_system_vgpr_workitem_id 0
		.amdhsa_next_free_vgpr 140
		.amdhsa_next_free_sgpr 36
		.amdhsa_reserve_vcc 1
		.amdhsa_float_round_mode_32 0
		.amdhsa_float_round_mode_16_64 0
		.amdhsa_float_denorm_mode_32 3
		.amdhsa_float_denorm_mode_16_64 3
		.amdhsa_dx10_clamp 1
		.amdhsa_ieee_mode 1
		.amdhsa_fp16_overflow 0
		.amdhsa_workgroup_processor_mode 1
		.amdhsa_memory_ordered 1
		.amdhsa_forward_progress 0
		.amdhsa_shared_vgpr_count 0
		.amdhsa_exception_fp_ieee_invalid_op 0
		.amdhsa_exception_fp_denorm_src 0
		.amdhsa_exception_fp_ieee_div_zero 0
		.amdhsa_exception_fp_ieee_overflow 0
		.amdhsa_exception_fp_ieee_underflow 0
		.amdhsa_exception_fp_ieee_inexact 0
		.amdhsa_exception_int_div_zero 0
	.end_amdhsa_kernel
	.section	.text._Z39paged_attention_ll4mi_QKV_mfma16_kernelI14__hip_bfloat16hLN4vllm18Fp8KVCacheDataTypeE1ES0_Li16ELi128ELi256ELb1ELi13EL8MFMAType1EEvPKT_PKT0_S9_ifPKiSB_SB_iPKfiiiPfSE_PS4_PT2_iSD_SD_,"axG",@progbits,_Z39paged_attention_ll4mi_QKV_mfma16_kernelI14__hip_bfloat16hLN4vllm18Fp8KVCacheDataTypeE1ES0_Li16ELi128ELi256ELb1ELi13EL8MFMAType1EEvPKT_PKT0_S9_ifPKiSB_SB_iPKfiiiPfSE_PS4_PT2_iSD_SD_,comdat
.Lfunc_end1558:
	.size	_Z39paged_attention_ll4mi_QKV_mfma16_kernelI14__hip_bfloat16hLN4vllm18Fp8KVCacheDataTypeE1ES0_Li16ELi128ELi256ELb1ELi13EL8MFMAType1EEvPKT_PKT0_S9_ifPKiSB_SB_iPKfiiiPfSE_PS4_PT2_iSD_SD_, .Lfunc_end1558-_Z39paged_attention_ll4mi_QKV_mfma16_kernelI14__hip_bfloat16hLN4vllm18Fp8KVCacheDataTypeE1ES0_Li16ELi128ELi256ELb1ELi13EL8MFMAType1EEvPKT_PKT0_S9_ifPKiSB_SB_iPKfiiiPfSE_PS4_PT2_iSD_SD_
                                        ; -- End function
	.section	.AMDGPU.csdata,"",@progbits
; Kernel info:
; codeLenInByte = 9056
; NumSgprs: 38
; NumVgprs: 140
; ScratchSize: 0
; MemoryBound: 0
; FloatMode: 240
; IeeeMode: 1
; LDSByteSize: 17472 bytes/workgroup (compile time only)
; SGPRBlocks: 4
; VGPRBlocks: 17
; NumSGPRsForWavesPerEU: 38
; NumVGPRsForWavesPerEU: 140
; Occupancy: 10
; WaveLimiterHint : 1
; COMPUTE_PGM_RSRC2:SCRATCH_EN: 0
; COMPUTE_PGM_RSRC2:USER_SGPR: 13
; COMPUTE_PGM_RSRC2:TRAP_HANDLER: 0
; COMPUTE_PGM_RSRC2:TGID_X_EN: 1
; COMPUTE_PGM_RSRC2:TGID_Y_EN: 1
; COMPUTE_PGM_RSRC2:TGID_Z_EN: 1
; COMPUTE_PGM_RSRC2:TIDIG_COMP_CNT: 0
	.section	.text._Z39paged_attention_ll4mi_QKV_mfma16_kernelI14__hip_bfloat16hLN4vllm18Fp8KVCacheDataTypeE1ES0_Li16ELi128ELi256ELb1ELi14EL8MFMAType1EEvPKT_PKT0_S9_ifPKiSB_SB_iPKfiiiPfSE_PS4_PT2_iSD_SD_,"axG",@progbits,_Z39paged_attention_ll4mi_QKV_mfma16_kernelI14__hip_bfloat16hLN4vllm18Fp8KVCacheDataTypeE1ES0_Li16ELi128ELi256ELb1ELi14EL8MFMAType1EEvPKT_PKT0_S9_ifPKiSB_SB_iPKfiiiPfSE_PS4_PT2_iSD_SD_,comdat
	.protected	_Z39paged_attention_ll4mi_QKV_mfma16_kernelI14__hip_bfloat16hLN4vllm18Fp8KVCacheDataTypeE1ES0_Li16ELi128ELi256ELb1ELi14EL8MFMAType1EEvPKT_PKT0_S9_ifPKiSB_SB_iPKfiiiPfSE_PS4_PT2_iSD_SD_ ; -- Begin function _Z39paged_attention_ll4mi_QKV_mfma16_kernelI14__hip_bfloat16hLN4vllm18Fp8KVCacheDataTypeE1ES0_Li16ELi128ELi256ELb1ELi14EL8MFMAType1EEvPKT_PKT0_S9_ifPKiSB_SB_iPKfiiiPfSE_PS4_PT2_iSD_SD_
	.globl	_Z39paged_attention_ll4mi_QKV_mfma16_kernelI14__hip_bfloat16hLN4vllm18Fp8KVCacheDataTypeE1ES0_Li16ELi128ELi256ELb1ELi14EL8MFMAType1EEvPKT_PKT0_S9_ifPKiSB_SB_iPKfiiiPfSE_PS4_PT2_iSD_SD_
	.p2align	8
	.type	_Z39paged_attention_ll4mi_QKV_mfma16_kernelI14__hip_bfloat16hLN4vllm18Fp8KVCacheDataTypeE1ES0_Li16ELi128ELi256ELb1ELi14EL8MFMAType1EEvPKT_PKT0_S9_ifPKiSB_SB_iPKfiiiPfSE_PS4_PT2_iSD_SD_,@function
_Z39paged_attention_ll4mi_QKV_mfma16_kernelI14__hip_bfloat16hLN4vllm18Fp8KVCacheDataTypeE1ES0_Li16ELi128ELi256ELb1ELi14EL8MFMAType1EEvPKT_PKT0_S9_ifPKiSB_SB_iPKfiiiPfSE_PS4_PT2_iSD_SD_: ; @_Z39paged_attention_ll4mi_QKV_mfma16_kernelI14__hip_bfloat16hLN4vllm18Fp8KVCacheDataTypeE1ES0_Li16ELi128ELi256ELb1ELi14EL8MFMAType1EEvPKT_PKT0_S9_ifPKiSB_SB_iPKfiiiPfSE_PS4_PT2_iSD_SD_
; %bb.0:
	s_load_b64 s[4:5], s[0:1], 0x30
	s_mov_b32 s30, s13
	s_waitcnt lgkmcnt(0)
	s_cmp_lg_u64 s[4:5], 0
	s_cselect_b32 s13, -1, 0
	s_ashr_i32 s31, s30, 31
	s_cmp_eq_u64 s[4:5], 0
	s_cbranch_scc1 .LBB1559_3
; %bb.1:
	s_lshl_b64 s[2:3], s[30:31], 2
	s_delay_alu instid0(SALU_CYCLE_1) | instskip(SKIP_4) | instid1(SALU_CYCLE_1)
	s_add_u32 s2, s4, s2
	s_addc_u32 s3, s5, s3
	s_load_b64 s[2:3], s[2:3], 0x0
	s_waitcnt lgkmcnt(0)
	s_sub_i32 s2, s3, s2
	s_cmp_eq_u32 s2, 1
	s_cselect_b32 s2, -1, 0
	s_delay_alu instid0(SALU_CYCLE_1)
	s_and_not1_b32 vcc_lo, exec_lo, s2
	s_cbranch_vccz .LBB1559_4
.LBB1559_2:
	s_endpgm
.LBB1559_3:
.LBB1559_4:
	s_load_b64 s[2:3], s[0:1], 0x28
	s_lshl_b64 s[6:7], s[30:31], 2
	s_waitcnt lgkmcnt(0)
	s_add_u32 s2, s2, s6
	s_addc_u32 s3, s3, s7
	s_lshl_b32 s12, s14, 8
	s_load_b32 s17, s[2:3], 0x0
	s_waitcnt lgkmcnt(0)
	s_cmp_ge_i32 s12, s17
	s_cbranch_scc1 .LBB1559_2
; %bb.5:
	s_clause 0x1
	s_load_b128 s[8:11], s[0:1], 0x8
	s_load_b64 s[2:3], s[0:1], 0x20
	s_and_not1_b32 vcc_lo, exec_lo, s13
	s_cbranch_vccnz .LBB1559_7
; %bb.6:
	s_add_u32 s4, s4, s6
	s_addc_u32 s5, s5, s7
	s_load_b32 s13, s[4:5], 0x0
	s_branch .LBB1559_8
.LBB1559_7:
	s_mov_b32 s13, s30
.LBB1559_8:
	s_load_b128 s[4:7], s[0:1], 0x48
	v_and_b32_e32 v65, 15, v0
	v_lshrrev_b32_e32 v66, 5, v0
	v_and_b32_e32 v67, 31, v0
	v_and_b32_e32 v75, 1, v0
	v_bfe_u32 v74, v0, 4, 1
	v_lshlrev_b32_e32 v1, 3, v65
	s_mul_i32 s29, s15, 14
	s_waitcnt lgkmcnt(0)
	s_mov_b32 s7, exec_lo
	s_delay_alu instid0(VALU_DEP_1)
	v_lshlrev_b32_e32 v73, 1, v1
	v_cmpx_gt_u32_e32 0xe0, v0
	s_cbranch_execz .LBB1559_10
; %bb.9:
	s_load_b64 s[18:19], s[0:1], 0x0
	v_lshl_or_b32 v5, v66, 1, v74
	s_mul_hi_i32 s21, s13, s4
	s_mul_i32 s20, s13, s4
	v_lshlrev_b32_e32 v6, 10, v65
	s_lshl_b64 s[20:21], s[20:21], 1
	v_add_lshl_u32 v1, v5, s29, 7
	v_lshlrev_b32_e32 v5, 6, v5
	v_lshlrev_b32_e32 v7, 10, v75
	v_and_b32_e32 v6, 0x3800, v6
	s_delay_alu instid0(VALU_DEP_4) | instskip(NEXT) | instid1(VALU_DEP_2)
	v_ashrrev_i32_e32 v2, 31, v1
	v_or3_b32 v5, v6, v7, v5
	s_delay_alu instid0(VALU_DEP_2) | instskip(SKIP_3) | instid1(VALU_DEP_1)
	v_lshlrev_b64 v[1:2], 1, v[1:2]
	s_waitcnt lgkmcnt(0)
	s_add_u32 s4, s18, s20
	s_addc_u32 s13, s19, s21
	v_add_co_u32 v1, vcc_lo, s4, v1
	s_delay_alu instid0(VALU_DEP_2) | instskip(NEXT) | instid1(VALU_DEP_2)
	v_add_co_ci_u32_e32 v2, vcc_lo, s13, v2, vcc_lo
	v_add_co_u32 v1, vcc_lo, v1, v73
	s_delay_alu instid0(VALU_DEP_2)
	v_add_co_ci_u32_e32 v2, vcc_lo, 0, v2, vcc_lo
	global_load_b128 v[1:4], v[1:2], off
	s_waitcnt vmcnt(0)
	ds_store_b128 v5, v[1:4]
.LBB1559_10:
	s_or_b32 exec_lo, exec_lo, s7
	v_and_b32_e32 v1, 0xef, v0
	s_add_i32 s4, s17, 15
	s_clause 0x1
	s_load_b32 s7, s[0:1], 0x38
	s_load_b32 s18, s[0:1], 0x1c
	s_ashr_i32 s13, s4, 31
	v_add_nc_u32_e32 v1, s12, v1
	s_lshr_b32 s13, s13, 28
	s_waitcnt lgkmcnt(0)
	s_add_i32 s4, s4, s13
	s_barrier
	v_ashrrev_i32_e32 v2, 31, v1
	v_or_b32_e32 v3, 16, v1
	s_ashr_i32 s4, s4, 4
	v_cmp_gt_i32_e32 vcc_lo, s17, v1
	s_add_i32 s4, s4, -1
	v_lshrrev_b32_e32 v2, 28, v2
	buffer_gl0_inv
	s_mul_i32 s15, s15, s6
	v_add_nc_u32_e32 v4, v1, v2
	s_mul_i32 s20, s30, s7
	s_delay_alu instid0(SALU_CYCLE_1) | instskip(NEXT) | instid1(VALU_DEP_1)
	s_ashr_i32 s21, s20, 31
	v_ashrrev_i32_e32 v4, 4, v4
	v_add_nc_u32_e32 v2, v3, v2
	s_lshl_b64 s[20:21], s[20:21], 2
	s_delay_alu instid0(SALU_CYCLE_1) | instskip(NEXT) | instid1(VALU_DEP_2)
	s_add_u32 s13, s2, s20
	v_cndmask_b32_e32 v1, s4, v4, vcc_lo
	s_delay_alu instid0(VALU_DEP_2)
	v_ashrrev_i32_e32 v2, 4, v2
	v_cmp_gt_i32_e32 vcc_lo, s17, v3
	s_addc_u32 s16, s3, s21
	s_ashr_i32 s19, s15, 31
	s_add_u32 s26, s8, s15
	s_addc_u32 s27, s9, s19
	v_cndmask_b32_e32 v3, s4, v2, vcc_lo
	v_ashrrev_i32_e32 v2, 31, v1
	s_lshl_b32 s2, s14, 4
	s_delay_alu instid0(SALU_CYCLE_1) | instskip(NEXT) | instid1(VALU_DEP_2)
	s_ashr_i32 s3, s2, 31
	v_ashrrev_i32_e32 v4, 31, v3
	s_delay_alu instid0(VALU_DEP_2) | instskip(SKIP_1) | instid1(SALU_CYCLE_1)
	v_lshlrev_b64 v[1:2], 2, v[1:2]
	s_lshl_b64 s[2:3], s[2:3], 2
	s_add_u32 s2, s13, s2
	s_delay_alu instid0(VALU_DEP_2) | instskip(SKIP_1) | instid1(VALU_DEP_2)
	v_lshlrev_b64 v[3:4], 2, v[3:4]
	s_addc_u32 s3, s16, s3
	v_add_co_u32 v1, vcc_lo, s13, v1
	v_add_co_ci_u32_e32 v2, vcc_lo, s16, v2, vcc_lo
	s_delay_alu instid0(VALU_DEP_3) | instskip(NEXT) | instid1(VALU_DEP_4)
	v_add_co_u32 v3, vcc_lo, s13, v3
	v_add_co_ci_u32_e32 v4, vcc_lo, s16, v4, vcc_lo
	s_clause 0x1
	global_load_b32 v5, v[1:2], off
	global_load_b32 v3, v[3:4], off
	s_or_b32 s6, s12, 32
	v_cmp_gt_u32_e32 vcc_lo, 14, v65
	s_ashr_i32 s7, s6, 4
	s_cmp_lt_i32 s6, s17
	s_cselect_b32 s6, s7, s4
	s_delay_alu instid0(SALU_CYCLE_1) | instskip(NEXT) | instid1(SALU_CYCLE_1)
	s_ashr_i32 s7, s6, 31
	s_lshl_b64 s[6:7], s[6:7], 2
	s_delay_alu instid0(SALU_CYCLE_1) | instskip(SKIP_2) | instid1(SALU_CYCLE_1)
	s_add_u32 s6, s13, s6
	s_addc_u32 s7, s16, s7
	s_or_b32 s8, s12, 64
	s_ashr_i32 s9, s8, 4
	s_cmp_lt_i32 s8, s17
	s_cselect_b32 s8, s9, s4
	s_delay_alu instid0(SALU_CYCLE_1) | instskip(NEXT) | instid1(SALU_CYCLE_1)
	s_ashr_i32 s9, s8, 31
	s_lshl_b64 s[8:9], s[8:9], 2
	s_delay_alu instid0(SALU_CYCLE_1) | instskip(SKIP_2) | instid1(SALU_CYCLE_1)
	s_add_u32 s8, s13, s8
	s_addc_u32 s9, s16, s9
	s_or_b32 s20, s12, 0x60
	s_ashr_i32 s21, s20, 4
	s_cmp_lt_i32 s20, s17
	s_cselect_b32 s20, s21, s4
	s_delay_alu instid0(SALU_CYCLE_1) | instskip(NEXT) | instid1(SALU_CYCLE_1)
	s_ashr_i32 s21, s20, 31
	s_lshl_b64 s[20:21], s[20:21], 2
	s_delay_alu instid0(SALU_CYCLE_1) | instskip(SKIP_2) | instid1(SALU_CYCLE_1)
	s_add_u32 s20, s13, s20
	s_addc_u32 s21, s16, s21
	s_or_b32 s22, s12, 0x80
	s_ashr_i32 s23, s22, 4
	s_cmp_lt_i32 s22, s17
	s_cselect_b32 s22, s23, s4
	s_delay_alu instid0(SALU_CYCLE_1) | instskip(NEXT) | instid1(SALU_CYCLE_1)
	s_ashr_i32 s23, s22, 31
	s_lshl_b64 s[22:23], s[22:23], 2
	s_delay_alu instid0(SALU_CYCLE_1) | instskip(SKIP_2) | instid1(SALU_CYCLE_1)
	s_add_u32 s22, s13, s22
	s_addc_u32 s23, s16, s23
	s_or_b32 s24, s12, 0xa0
	s_ashr_i32 s25, s24, 4
	s_cmp_lt_i32 s24, s17
	s_cselect_b32 s24, s25, s4
	s_delay_alu instid0(SALU_CYCLE_1) | instskip(NEXT) | instid1(SALU_CYCLE_1)
	s_ashr_i32 s25, s24, 31
	s_lshl_b64 s[24:25], s[24:25], 2
	s_delay_alu instid0(SALU_CYCLE_1)
	s_add_u32 s24, s13, s24
	s_addc_u32 s25, s16, s25
	s_clause 0x5
	s_load_b32 s28, s[2:3], 0x0
	s_load_b32 s31, s[6:7], 0x0
	;; [unrolled: 1-line block ×6, first 2 shown]
	s_mov_b32 s20, 0
	s_or_b32 s2, s12, 0xc0
	s_mov_b32 s21, s20
	s_mov_b32 s22, s20
	;; [unrolled: 1-line block ×5, first 2 shown]
	v_lshlrev_b32_e32 v1, 4, v0
	s_ashr_i32 s3, s2, 4
	s_cmp_lt_i32 s2, s17
	s_cselect_b32 s2, s3, s4
	s_delay_alu instid0(VALU_DEP_1) | instskip(SKIP_1) | instid1(SALU_CYCLE_1)
	v_and_b32_e32 v1, 0xf0, v1
	s_ashr_i32 s3, s2, 31
	s_lshl_b64 s[2:3], s[2:3], 2
	s_delay_alu instid0(VALU_DEP_1) | instskip(NEXT) | instid1(VALU_DEP_1)
	v_add_co_u32 v1, s26, s26, v1
	v_add_co_ci_u32_e64 v2, null, s27, 0, s26
	s_add_u32 s2, s13, s2
	s_addc_u32 s3, s16, s3
	s_or_b32 s6, s12, 0xe0
	s_mov_b32 s27, s20
	s_ashr_i32 s7, s6, 4
	s_cmp_lt_i32 s6, s17
	s_mov_b32 s26, s20
	v_dual_mov_b32 v107, s27 :: v_dual_mov_b32 v100, s20
	s_cselect_b32 s6, s7, s4
	v_mov_b32_e32 v106, s26
	s_ashr_i32 s7, s6, 31
	v_mov_b32_e32 v104, s24
	s_lshl_b64 s[6:7], s[6:7], 2
	v_dual_mov_b32 v103, s23 :: v_dual_mov_b32 v102, s22
	v_mov_b32_e32 v101, s21
	s_waitcnt vmcnt(1)
	v_mad_i64_i32 v[33:34], null, v5, s5, v[1:2]
	s_waitcnt vmcnt(0)
	v_mad_i64_i32 v[35:36], null, v3, s5, v[1:2]
	s_clause 0xf
	global_load_b128 v[1:4], v[33:34], off
	global_load_b128 v[5:8], v[33:34], off offset:256
	global_load_b128 v[9:12], v[35:36], off
	global_load_b128 v[13:16], v[35:36], off offset:256
	global_load_b128 v[17:20], v[33:34], off offset:512
	;; [unrolled: 1-line block ×13, first 2 shown]
	v_add_nc_u32_e32 v33, -14, v65
	v_lshlrev_b32_e32 v34, 4, v65
	s_delay_alu instid0(VALU_DEP_2) | instskip(SKIP_1) | instid1(VALU_DEP_3)
	v_cndmask_b32_e32 v33, v33, v65, vcc_lo
	v_mov_b32_e32 v105, s25
	v_lshl_or_b32 v41, v66, 8, v34
	s_delay_alu instid0(VALU_DEP_3)
	v_lshlrev_b32_e32 v72, 6, v33
	ds_load_b128 v[33:36], v72
	ds_load_b128 v[37:40], v72 offset:1024
	ds_load_b128 v[108:111], v72 offset:2048
	;; [unrolled: 1-line block ×3, first 2 shown]
	s_load_b32 s4, s[2:3], 0x0
	s_add_u32 s2, s13, s6
	s_addc_u32 s3, s16, s7
	ds_load_b128 v[116:119], v72 offset:4096
	ds_load_b128 v[120:123], v72 offset:5120
	s_load_b32 s2, s[2:3], 0x0
	s_add_u32 s6, s10, s15
	s_addc_u32 s7, s11, s19
	v_add_co_u32 v68, s6, s6, v41
	s_delay_alu instid0(VALU_DEP_1) | instskip(SKIP_1) | instid1(VALU_DEP_1)
	v_add_co_ci_u32_e64 v69, null, s7, 0, s6
	s_waitcnt lgkmcnt(0)
	v_mad_i64_i32 v[41:42], null, s28, s5, v[68:69]
	v_mad_i64_i32 v[70:71], null, s8, s5, v[68:69]
	v_mad_i64_i32 v[45:46], null, s31, s5, v[68:69]
	v_mad_i64_i32 v[132:133], null, s9, s5, v[68:69]
	v_mad_i64_i32 v[134:135], null, s33, s5, v[68:69]
	v_mad_i64_i32 v[136:137], null, s34, s5, v[68:69]
	v_mad_i64_i32 v[138:139], null, s4, s5, v[68:69]
	s_clause 0x3
	global_load_b128 v[49:52], v[41:42], off
	global_load_b128 v[53:56], v[41:42], off offset:16
	global_load_b128 v[41:44], v[45:46], off
	global_load_b128 v[45:48], v[45:46], off offset:16
	s_waitcnt vmcnt(18)
	v_wmma_f32_16x16x16_bf16 v[124:131], v[1:8], v[33:40], v[100:107]
	s_waitcnt vmcnt(16)
	v_wmma_f32_16x16x16_bf16 v[100:107], v[9:16], v[33:40], v[100:107]
	s_clause 0x1
	global_load_b128 v[33:36], v[70:71], off
	global_load_b128 v[37:40], v[70:71], off offset:16
	v_mad_i64_i32 v[70:71], null, s2, s5, v[68:69]
	s_waitcnt vmcnt(16)
	v_wmma_f32_16x16x16_bf16 v[124:131], v[17:24], v[108:115], v[124:131]
	s_waitcnt vmcnt(14)
	v_wmma_f32_16x16x16_bf16 v[100:107], v[25:32], v[108:115], v[100:107]
	s_clause 0x7
	global_load_b128 v[25:28], v[132:133], off
	global_load_b128 v[29:32], v[132:133], off offset:16
	global_load_b128 v[1:4], v[134:135], off
	global_load_b128 v[5:8], v[134:135], off offset:16
	global_load_b128 v[9:12], v[136:137], off
	global_load_b128 v[13:16], v[136:137], off offset:16
	global_load_b128 v[17:20], v[138:139], off
	global_load_b128 v[21:24], v[138:139], off offset:16
	s_waitcnt vmcnt(20)
	v_wmma_f32_16x16x16_bf16 v[124:131], v[57:64], v[116:123], v[124:131]
	s_clause 0x1
	global_load_b128 v[57:60], v[70:71], off
	global_load_b128 v[61:64], v[70:71], off offset:16
	s_waitcnt vmcnt(20)
	v_wmma_f32_16x16x16_bf16 v[100:107], v[76:83], v[116:123], v[100:107]
	ds_load_b128 v[76:79], v72 offset:6144
	ds_load_b128 v[80:83], v72 offset:7168
	v_and_b32_e32 v68, 0xe0, v0
	v_mbcnt_lo_u32_b32 v69, -1, 0
	s_waitcnt vmcnt(0) lgkmcnt(0)
	s_barrier
	buffer_gl0_inv
	v_add_nc_u32_e32 v68, s12, v68
	v_xor_b32_e32 v70, 16, v69
	s_delay_alu instid0(VALU_DEP_2) | instskip(NEXT) | instid1(VALU_DEP_2)
	v_or_b32_e32 v68, v68, v74
	v_cmp_gt_i32_e32 vcc_lo, 32, v70
	s_delay_alu instid0(VALU_DEP_2)
	v_or_b32_e32 v71, 4, v68
	v_or_b32_e32 v72, 6, v68
	v_cmp_gt_i32_e64 s2, s17, v68
	v_or_b32_e32 v108, 8, v68
	v_wmma_f32_16x16x16_bf16 v[124:131], v[84:91], v[76:83], v[124:131]
	v_cndmask_b32_e32 v69, v69, v70, vcc_lo
	v_or_b32_e32 v70, 2, v68
	v_wmma_f32_16x16x16_bf16 v[100:107], v[92:99], v[76:83], v[100:107]
	v_or_b32_e32 v109, 10, v68
	v_dual_mul_f32 v82, s18, v127 :: v_dual_mul_f32 v79, s18, v130
	v_dual_mul_f32 v92, s18, v125 :: v_dual_mul_f32 v93, s18, v124
	s_delay_alu instid0(VALU_DEP_4)
	v_mul_f32_e32 v98, s18, v103
	v_cmp_gt_i32_e32 vcc_lo, s17, v70
	v_or_b32_e32 v89, 22, v68
	v_dual_mul_f32 v83, s18, v126 :: v_dual_mul_f32 v96, s18, v105
	v_cndmask_b32_e64 v93, 0xff7fffff, v93, s2
	v_cndmask_b32_e32 v92, 0xff7fffff, v92, vcc_lo
	v_cmp_gt_i32_e64 s3, s17, v71
	v_cmp_gt_i32_e64 s4, s17, v72
	v_or_b32_e32 v84, 12, v68
	v_or_b32_e32 v85, 14, v68
	v_dual_mul_f32 v80, s18, v129 :: v_dual_mul_f32 v81, s18, v128
	v_mul_f32_e32 v94, s18, v107
	v_cndmask_b32_e64 v71, 0xff7fffff, v83, s3
	v_cndmask_b32_e64 v72, 0xff7fffff, v82, s4
	v_cmp_gt_i32_e64 s5, s17, v108
	v_cmp_gt_i32_e64 s6, s17, v109
	;; [unrolled: 1-line block ×3, first 2 shown]
	v_lshlrev_b32_e32 v89, 2, v69
	v_max3_f32 v82, v93, 0xff7fffff, v92
	v_or_b32_e32 v86, 16, v68
	v_or_b32_e32 v87, 18, v68
	v_mul_f32_e32 v78, s18, v131
	v_cndmask_b32_e64 v81, 0xff7fffff, v81, s5
	v_cndmask_b32_e64 v80, 0xff7fffff, v80, s6
	v_max3_f32 v71, v82, v71, v72
	v_cmp_gt_i32_e64 s7, s17, v84
	v_cmp_gt_i32_e64 s8, s17, v85
	v_or_b32_e32 v88, 20, v68
	v_or_b32_e32 v90, 24, v68
	;; [unrolled: 1-line block ×5, first 2 shown]
	v_dual_mul_f32 v95, s18, v106 :: v_dual_mul_f32 v70, s18, v101
	v_dual_mul_f32 v99, s18, v102 :: v_dual_mul_f32 v68, s18, v100
	v_cndmask_b32_e64 v72, 0xff7fffff, v79, s7
	v_cndmask_b32_e64 v78, 0xff7fffff, v78, s8
	v_max3_f32 v71, v71, v81, v80
	v_cmp_gt_i32_e64 s9, s17, v86
	v_cmp_gt_i32_e64 s10, s17, v87
	;; [unrolled: 1-line block ×3, first 2 shown]
	v_mul_f32_e32 v97, s18, v104
	v_max3_f32 v71, v71, v72, v78
	v_cndmask_b32_e64 v68, 0xff7fffff, v68, s9
	v_cndmask_b32_e64 v70, 0xff7fffff, v70, s10
	;; [unrolled: 1-line block ×4, first 2 shown]
	v_cmp_gt_i32_e64 s13, s17, v90
	v_cmp_gt_i32_e64 s15, s17, v91
	v_max3_f32 v68, v71, v68, v70
	v_cmp_gt_i32_e64 s16, s17, v76
	v_cmp_gt_i32_e64 s17, s17, v77
	v_cndmask_b32_e64 v70, 0xff7fffff, v97, s13
	v_cndmask_b32_e64 v71, 0xff7fffff, v96, s15
	v_max3_f32 v68, v68, v72, v78
	v_cndmask_b32_e64 v72, 0xff7fffff, v95, s16
	v_cndmask_b32_e64 v76, 0xff7fffff, v94, s17
	s_delay_alu instid0(VALU_DEP_3) | instskip(NEXT) | instid1(VALU_DEP_1)
	v_max3_f32 v68, v68, v70, v71
	v_max3_f32 v68, v68, v72, v76
	ds_bpermute_b32 v69, v89, v68
	s_waitcnt lgkmcnt(0)
	v_max_f32_e32 v69, v69, v69
	s_delay_alu instid0(VALU_DEP_1) | instskip(NEXT) | instid1(VALU_DEP_1)
	v_max_f32_e32 v68, v68, v69
	v_fma_f32 v69, s18, v124, -v68
	v_fma_f32 v70, s18, v125, -v68
	;; [unrolled: 1-line block ×5, first 2 shown]
	s_delay_alu instid0(VALU_DEP_4) | instskip(NEXT) | instid1(VALU_DEP_4)
	v_dual_mul_f32 v69, 0x3fb8aa3b, v69 :: v_dual_mul_f32 v70, 0x3fb8aa3b, v70
	v_mul_f32_e32 v72, 0x3fb8aa3b, v72
	v_fma_f32 v78, s18, v130, -v68
	s_delay_alu instid0(VALU_DEP_4) | instskip(NEXT) | instid1(VALU_DEP_4)
	v_mul_f32_e32 v77, 0x3fb8aa3b, v76
	v_exp_f32_e32 v69, v69
	v_exp_f32_e32 v70, v70
	v_mul_f32_e32 v71, 0x3fb8aa3b, v71
	v_exp_f32_e32 v72, v72
	v_mul_f32_e32 v78, 0x3fb8aa3b, v78
	v_exp_f32_e32 v77, v77
	v_fma_f32 v81, s18, v105, -v68
	s_delay_alu instid0(VALU_DEP_2)
	v_exp_f32_e32 v78, v78
	v_cndmask_b32_e64 v80, 0, v69, s2
	v_cndmask_b32_e32 v76, 0, v70, vcc_lo
	v_exp_f32_e32 v71, v71
	v_fma_f32 v69, s18, v129, -v68
	v_cndmask_b32_e64 v85, 0, v72, s4
	v_add_f32_e32 v70, 0, v80
	s_delay_alu instid0(TRANS32_DEP_3)
	v_cndmask_b32_e64 v86, 0, v77, s5
	v_fma_f32 v77, s18, v101, -v68
	v_mul_f32_e32 v69, 0x3fb8aa3b, v69
	v_fma_f32 v72, s18, v100, -v68
	v_cndmask_b32_e64 v84, 0, v78, s7
	v_fma_f32 v78, s18, v103, -v68
	v_cndmask_b32_e64 v83, 0, v71, s3
	v_fma_f32 v71, s18, v131, -v68
	v_add_f32_e32 v70, v70, v76
	v_exp_f32_e32 v69, v69
	v_mul_f32_e32 v77, 0x3fb8aa3b, v77
	v_mul_f32_e32 v81, 0x3fb8aa3b, v81
	;; [unrolled: 1-line block ×3, first 2 shown]
	v_add_f32_e32 v70, v70, v83
	s_mov_b32 s2, exec_lo
	v_exp_f32_e32 v77, v77
	v_exp_f32_e32 v81, v81
	;; [unrolled: 1-line block ×3, first 2 shown]
	v_cndmask_b32_e64 v87, 0, v69, s6
	v_add_f32_e32 v70, v70, v85
	s_delay_alu instid0(VALU_DEP_1) | instskip(SKIP_1) | instid1(VALU_DEP_2)
	v_dual_mul_f32 v72, 0x3fb8aa3b, v72 :: v_dual_add_f32 v69, v70, v86
	v_fma_f32 v70, s18, v102, -v68
	v_exp_f32_e32 v72, v72
	s_waitcnt_depctr 0xfff
	v_cndmask_b32_e64 v88, 0, v71, s8
	v_fma_f32 v71, s18, v104, -v68
	v_dual_add_f32 v69, v69, v87 :: v_dual_mul_f32 v70, 0x3fb8aa3b, v70
	s_delay_alu instid0(VALU_DEP_2) | instskip(NEXT) | instid1(VALU_DEP_2)
	v_dual_mul_f32 v78, 0x3fb8aa3b, v78 :: v_dual_mul_f32 v71, 0x3fb8aa3b, v71
	v_add_f32_e32 v69, v69, v84
	s_delay_alu instid0(VALU_DEP_3) | instskip(SKIP_1) | instid1(VALU_DEP_3)
	v_exp_f32_e32 v79, v70
	v_cndmask_b32_e64 v70, 0, v72, s9
	v_exp_f32_e32 v78, v78
	v_exp_f32_e32 v82, v71
	v_add_f32_e32 v72, v69, v88
	v_cndmask_b32_e64 v69, 0, v77, s10
	v_fma_f32 v77, s18, v106, -v68
	s_delay_alu instid0(VALU_DEP_3) | instskip(NEXT) | instid1(TRANS32_DEP_3)
	v_add_f32_e32 v72, v72, v70
	v_cndmask_b32_e64 v71, 0, v79, s11
	s_delay_alu instid0(VALU_DEP_3) | instskip(NEXT) | instid1(VALU_DEP_3)
	v_mul_f32_e32 v77, 0x3fb8aa3b, v77
	v_add_f32_e32 v79, v72, v69
	s_delay_alu instid0(TRANS32_DEP_2) | instskip(NEXT) | instid1(VALU_DEP_3)
	v_cndmask_b32_e64 v72, 0, v78, s12
	v_exp_f32_e32 v90, v77
	v_cndmask_b32_e64 v77, 0, v82, s13
	s_delay_alu instid0(VALU_DEP_3) | instskip(SKIP_1) | instid1(VALU_DEP_1)
	v_add_f32_e32 v78, v79, v71
	v_fma_f32 v79, s18, v107, -v68
	v_dual_add_f32 v82, v78, v72 :: v_dual_mul_f32 v79, 0x3fb8aa3b, v79
	v_cndmask_b32_e64 v78, 0, v81, s15
	s_delay_alu instid0(VALU_DEP_2) | instskip(NEXT) | instid1(VALU_DEP_3)
	v_add_f32_e32 v81, v82, v77
	v_exp_f32_e32 v82, v79
	s_delay_alu instid0(TRANS32_DEP_2) | instskip(NEXT) | instid1(VALU_DEP_2)
	v_cndmask_b32_e64 v79, 0, v90, s16
	v_add_f32_e32 v81, v81, v78
	s_delay_alu instid0(VALU_DEP_1) | instskip(SKIP_2) | instid1(VALU_DEP_1)
	v_add_f32_e32 v90, v81, v79
	s_waitcnt_depctr 0xfff
	v_cndmask_b32_e64 v81, 0, v82, s17
	v_add_f32_e32 v82, v90, v81
	ds_bpermute_b32 v89, v89, v82
	v_cmpx_gt_u32_e32 16, v67
	s_cbranch_execz .LBB1559_12
; %bb.11:
	v_mul_u32_u24_e32 v67, 0x44, v66
	s_delay_alu instid0(VALU_DEP_1) | instskip(SKIP_1) | instid1(VALU_DEP_1)
	v_lshl_add_u32 v67, v65, 2, v67
	s_waitcnt lgkmcnt(0)
	v_dual_add_f32 v82, v82, v89 :: v_dual_add_nc_u32 v67, 0x4000, v67
	ds_store_2addr_b32 v67, v68, v82 offset1:136
.LBB1559_12:
	s_or_b32 exec_lo, exec_lo, s2
	v_lshlrev_b32_e32 v67, 2, v65
	s_waitcnt lgkmcnt(0)
	s_barrier
	buffer_gl0_inv
	v_cmp_eq_u32_e32 vcc_lo, 1, v66
	v_add_nc_u32_e32 v82, 0x4000, v67
	v_cmp_eq_u32_e64 s2, 2, v66
	v_cmp_eq_u32_e64 s4, 7, v66
	ds_load_2addr_b32 v[89:90], v82 offset1:17
	ds_load_2addr_b32 v[91:92], v82 offset0:34 offset1:51
	ds_load_2addr_b32 v[93:94], v82 offset0:68 offset1:85
	;; [unrolled: 1-line block ×4, first 2 shown]
	s_waitcnt lgkmcnt(4)
	v_max3_f32 v67, v89, 0xff7fffff, v90
	s_waitcnt lgkmcnt(3)
	s_delay_alu instid0(VALU_DEP_1) | instskip(SKIP_1) | instid1(VALU_DEP_1)
	v_max3_f32 v67, v67, v91, v92
	s_waitcnt lgkmcnt(2)
	v_max3_f32 v67, v67, v93, v94
	s_waitcnt lgkmcnt(1)
	s_delay_alu instid0(VALU_DEP_1) | instskip(NEXT) | instid1(VALU_DEP_1)
	v_max3_f32 v67, v67, v95, v96
	v_sub_f32_e32 v93, v93, v67
	s_delay_alu instid0(VALU_DEP_1) | instskip(NEXT) | instid1(VALU_DEP_1)
	v_dual_sub_f32 v68, v89, v67 :: v_dual_mul_f32 v103, 0x3fb8aa3b, v93
	v_mul_f32_e32 v68, 0x3fb8aa3b, v68
	s_delay_alu instid0(VALU_DEP_1)
	v_exp_f32_e32 v100, v68
	v_sub_f32_e32 v68, v92, v67
	v_sub_f32_e32 v99, v90, v67
	ds_load_2addr_b32 v[89:90], v82 offset0:170 offset1:187
	v_dual_mul_f32 v102, 0x3fb8aa3b, v68 :: v_dual_mul_f32 v99, 0x3fb8aa3b, v99
	s_waitcnt lgkmcnt(1)
	v_fma_f32 v68, v100, v97, 0
	s_delay_alu instid0(VALU_DEP_2) | instskip(NEXT) | instid1(VALU_DEP_2)
	v_exp_f32_e32 v102, v102
	v_exp_f32_e32 v99, v99
	s_waitcnt_depctr 0xfff
	v_fmac_f32_e32 v68, v99, v98
	v_sub_f32_e32 v91, v91, v67
	s_delay_alu instid0(VALU_DEP_1)
	v_mul_f32_e32 v101, 0x3fb8aa3b, v91
	ds_load_2addr_b32 v[91:92], v82 offset0:204 offset1:221
	v_sub_f32_e32 v97, v94, v67
	ds_load_2addr_b32 v[93:94], v82 offset0:238 offset1:255
	s_waitcnt lgkmcnt(0)
	v_exp_f32_e32 v101, v101
	s_barrier
	buffer_gl0_inv
	v_dual_fmac_f32 v68, v101, v89 :: v_dual_sub_f32 v89, v96, v67
	v_dual_sub_f32 v82, v95, v67 :: v_dual_mul_f32 v95, 0x3fb8aa3b, v97
	v_exp_f32_e32 v97, v103
	s_delay_alu instid0(VALU_DEP_2) | instskip(NEXT) | instid1(VALU_DEP_2)
	v_dual_fmac_f32 v68, v102, v90 :: v_dual_mul_f32 v89, 0x3fb8aa3b, v89
	v_mul_f32_e32 v82, 0x3fb8aa3b, v82
	s_delay_alu instid0(VALU_DEP_3) | instskip(NEXT) | instid1(VALU_DEP_2)
	v_exp_f32_e32 v95, v95
	v_exp_f32_e32 v89, v89
	s_delay_alu instid0(VALU_DEP_1)
	v_exp_f32_e32 v82, v82
	v_fmac_f32_e32 v68, v97, v91
	s_delay_alu instid0(TRANS32_DEP_3) | instid1(VALU_DEP_1)
	v_fmac_f32_e32 v68, v95, v92
	s_waitcnt_depctr 0xfff
	v_fmac_f32_e32 v68, v82, v93
	s_delay_alu instid0(VALU_DEP_1) | instskip(NEXT) | instid1(VALU_DEP_1)
	v_fmac_f32_e32 v68, v89, v94
	v_add_f32_e32 v90, 0x358637bd, v68
	s_delay_alu instid0(VALU_DEP_1) | instskip(NEXT) | instid1(VALU_DEP_1)
	v_div_scale_f32 v91, null, v90, v90, 1.0
	v_rcp_f32_e32 v92, v91
	s_waitcnt_depctr 0xfff
	v_fma_f32 v93, -v91, v92, 1.0
	s_delay_alu instid0(VALU_DEP_1) | instskip(SKIP_1) | instid1(VALU_DEP_2)
	v_dual_fmac_f32 v92, v93, v92 :: v_dual_cndmask_b32 v93, v100, v99
	v_cmp_eq_u32_e32 vcc_lo, 3, v66
	v_cndmask_b32_e64 v93, v93, v101, s2
	v_cmp_eq_u32_e64 s2, 4, v66
	s_delay_alu instid0(VALU_DEP_2) | instskip(SKIP_1) | instid1(VALU_DEP_2)
	v_cndmask_b32_e32 v93, v93, v102, vcc_lo
	v_cmp_eq_u32_e32 vcc_lo, 5, v66
	v_cndmask_b32_e64 v93, v93, v97, s2
	v_cmp_eq_u32_e64 s2, 6, v66
	s_delay_alu instid0(VALU_DEP_2) | instskip(SKIP_1) | instid1(VALU_DEP_1)
	v_cndmask_b32_e32 v93, v93, v95, vcc_lo
	v_div_scale_f32 v94, s3, 1.0, v90, 1.0
	s_mov_b32 vcc_lo, s3
	s_delay_alu instid0(VALU_DEP_2) | instskip(NEXT) | instid1(VALU_DEP_2)
	v_cndmask_b32_e64 v82, v93, v82, s2
	v_mul_f32_e32 v96, v94, v92
	s_mov_b32 s2, exec_lo
	s_delay_alu instid0(VALU_DEP_2) | instskip(NEXT) | instid1(VALU_DEP_2)
	v_cndmask_b32_e64 v82, v82, v89, s4
	v_fma_f32 v98, -v91, v96, v94
	s_delay_alu instid0(VALU_DEP_1) | instskip(NEXT) | instid1(VALU_DEP_1)
	v_fmac_f32_e32 v96, v98, v92
	v_fma_f32 v91, -v91, v96, v94
	s_delay_alu instid0(VALU_DEP_1) | instskip(NEXT) | instid1(VALU_DEP_1)
	v_div_fmas_f32 v91, v91, v92, v96
	v_div_fixup_f32 v90, v91, v90, 1.0
	s_delay_alu instid0(VALU_DEP_1) | instskip(NEXT) | instid1(VALU_DEP_1)
	v_mul_f32_e32 v82, v82, v90
	v_mul_f32_e32 v87, v82, v87
	;; [unrolled: 1-line block ×7, first 2 shown]
	v_dual_mul_f32 v86, v82, v83 :: v_dual_and_b32 v91, 0x7f800000, v90
	v_mul_f32_e32 v85, v82, v76
                                        ; implicit-def: $vgpr76
	s_delay_alu instid0(VALU_DEP_2)
	v_cmpx_ne_u32_e32 0x7f800000, v91
	s_xor_b32 s2, exec_lo, s2
; %bb.13:
	v_bfe_u32 v76, v90, 16, 1
	s_delay_alu instid0(VALU_DEP_1)
	v_add3_u32 v76, v90, v76, 0x7fff
                                        ; implicit-def: $vgpr90
; %bb.14:
	s_and_not1_saveexec_b32 s2, s2
; %bb.15:
	v_and_b32_e32 v76, 0xffff, v90
	v_or_b32_e32 v83, 0x10000, v90
	s_delay_alu instid0(VALU_DEP_2) | instskip(NEXT) | instid1(VALU_DEP_2)
	v_cmp_eq_u32_e32 vcc_lo, 0, v76
	v_cndmask_b32_e32 v76, v83, v90, vcc_lo
; %bb.16:
	s_or_b32 exec_lo, exec_lo, s2
	v_and_b32_e32 v83, 0x7f800000, v85
	s_delay_alu instid0(VALU_DEP_1) | instskip(SKIP_1) | instid1(SALU_CYCLE_1)
	v_cmp_ne_u32_e32 vcc_lo, 0x7f800000, v83
                                        ; implicit-def: $vgpr83
	s_and_saveexec_b32 s2, vcc_lo
	s_xor_b32 s2, exec_lo, s2
; %bb.17:
	v_bfe_u32 v83, v85, 16, 1
	s_delay_alu instid0(VALU_DEP_1)
	v_add3_u32 v83, v85, v83, 0x7fff
                                        ; implicit-def: $vgpr85
; %bb.18:
	s_and_not1_saveexec_b32 s2, s2
; %bb.19:
	v_and_b32_e32 v83, 0xffff, v85
	v_or_b32_e32 v90, 0x10000, v85
	s_delay_alu instid0(VALU_DEP_2) | instskip(NEXT) | instid1(VALU_DEP_2)
	v_cmp_eq_u32_e32 vcc_lo, 0, v83
	v_cndmask_b32_e32 v83, v90, v85, vcc_lo
; %bb.20:
	s_or_b32 exec_lo, exec_lo, s2
	v_and_b32_e32 v85, 0x7f800000, v86
	s_delay_alu instid0(VALU_DEP_1) | instskip(SKIP_1) | instid1(SALU_CYCLE_1)
	v_cmp_ne_u32_e32 vcc_lo, 0x7f800000, v85
                                        ; implicit-def: $vgpr85
	s_and_saveexec_b32 s2, vcc_lo
	s_xor_b32 s2, exec_lo, s2
; %bb.21:
	v_bfe_u32 v85, v86, 16, 1
	s_delay_alu instid0(VALU_DEP_1)
	v_add3_u32 v85, v86, v85, 0x7fff
                                        ; implicit-def: $vgpr86
; %bb.22:
	s_and_not1_saveexec_b32 s2, s2
; %bb.23:
	v_and_b32_e32 v85, 0xffff, v86
	v_or_b32_e32 v90, 0x10000, v86
	s_delay_alu instid0(VALU_DEP_2) | instskip(NEXT) | instid1(VALU_DEP_2)
	v_cmp_eq_u32_e32 vcc_lo, 0, v85
	v_cndmask_b32_e32 v85, v90, v86, vcc_lo
; %bb.24:
	s_or_b32 exec_lo, exec_lo, s2
	v_and_b32_e32 v86, 0x7f800000, v89
	s_delay_alu instid0(VALU_DEP_1) | instskip(SKIP_1) | instid1(SALU_CYCLE_1)
	v_cmp_ne_u32_e32 vcc_lo, 0x7f800000, v86
                                        ; implicit-def: $vgpr86
	s_and_saveexec_b32 s2, vcc_lo
	s_xor_b32 s2, exec_lo, s2
; %bb.25:
	v_bfe_u32 v86, v89, 16, 1
	s_delay_alu instid0(VALU_DEP_1)
	v_add3_u32 v86, v89, v86, 0x7fff
                                        ; implicit-def: $vgpr89
; %bb.26:
	s_and_not1_saveexec_b32 s2, s2
; %bb.27:
	v_and_b32_e32 v86, 0xffff, v89
	v_or_b32_e32 v90, 0x10000, v89
	s_delay_alu instid0(VALU_DEP_2) | instskip(NEXT) | instid1(VALU_DEP_2)
	v_cmp_eq_u32_e32 vcc_lo, 0, v86
	v_cndmask_b32_e32 v86, v90, v89, vcc_lo
; %bb.28:
	s_or_b32 exec_lo, exec_lo, s2
	v_and_b32_e32 v89, 0x7f800000, v88
	s_delay_alu instid0(VALU_DEP_1) | instskip(SKIP_1) | instid1(SALU_CYCLE_1)
	v_cmp_ne_u32_e32 vcc_lo, 0x7f800000, v89
                                        ; implicit-def: $vgpr89
	s_and_saveexec_b32 s2, vcc_lo
	s_xor_b32 s2, exec_lo, s2
; %bb.29:
	v_bfe_u32 v89, v88, 16, 1
	s_delay_alu instid0(VALU_DEP_1)
	v_add3_u32 v89, v88, v89, 0x7fff
                                        ; implicit-def: $vgpr88
; %bb.30:
	s_and_not1_saveexec_b32 s2, s2
; %bb.31:
	v_and_b32_e32 v89, 0xffff, v88
	v_or_b32_e32 v90, 0x10000, v88
	s_delay_alu instid0(VALU_DEP_2) | instskip(NEXT) | instid1(VALU_DEP_2)
	v_cmp_eq_u32_e32 vcc_lo, 0, v89
	v_cndmask_b32_e32 v89, v90, v88, vcc_lo
; %bb.32:
	s_or_b32 exec_lo, exec_lo, s2
	v_and_b32_e32 v88, 0x7f800000, v87
	s_delay_alu instid0(VALU_DEP_1) | instskip(SKIP_1) | instid1(SALU_CYCLE_1)
	v_cmp_ne_u32_e32 vcc_lo, 0x7f800000, v88
                                        ; implicit-def: $vgpr88
	s_and_saveexec_b32 s2, vcc_lo
	s_xor_b32 s2, exec_lo, s2
; %bb.33:
	v_bfe_u32 v88, v87, 16, 1
	s_delay_alu instid0(VALU_DEP_1)
	v_add3_u32 v88, v87, v88, 0x7fff
                                        ; implicit-def: $vgpr87
; %bb.34:
	s_and_not1_saveexec_b32 s2, s2
; %bb.35:
	v_and_b32_e32 v88, 0xffff, v87
	v_or_b32_e32 v90, 0x10000, v87
	s_delay_alu instid0(VALU_DEP_2) | instskip(NEXT) | instid1(VALU_DEP_2)
	v_cmp_eq_u32_e32 vcc_lo, 0, v88
	v_cndmask_b32_e32 v88, v90, v87, vcc_lo
; %bb.36:
	s_or_b32 exec_lo, exec_lo, s2
	v_and_b32_e32 v87, 0x7f800000, v84
	s_delay_alu instid0(VALU_DEP_1) | instskip(SKIP_1) | instid1(SALU_CYCLE_1)
	v_cmp_ne_u32_e32 vcc_lo, 0x7f800000, v87
                                        ; implicit-def: $vgpr87
	s_and_saveexec_b32 s2, vcc_lo
	s_xor_b32 s2, exec_lo, s2
; %bb.37:
	v_bfe_u32 v87, v84, 16, 1
	s_delay_alu instid0(VALU_DEP_1)
	v_add3_u32 v87, v84, v87, 0x7fff
                                        ; implicit-def: $vgpr84
; %bb.38:
	s_and_not1_saveexec_b32 s2, s2
; %bb.39:
	v_and_b32_e32 v87, 0xffff, v84
	v_or_b32_e32 v90, 0x10000, v84
	s_delay_alu instid0(VALU_DEP_2) | instskip(NEXT) | instid1(VALU_DEP_2)
	v_cmp_eq_u32_e32 vcc_lo, 0, v87
	v_cndmask_b32_e32 v87, v90, v84, vcc_lo
; %bb.40:
	s_or_b32 exec_lo, exec_lo, s2
	v_and_b32_e32 v84, 0x7f800000, v80
	s_delay_alu instid0(VALU_DEP_1) | instskip(SKIP_1) | instid1(SALU_CYCLE_1)
	v_cmp_ne_u32_e32 vcc_lo, 0x7f800000, v84
                                        ; implicit-def: $vgpr84
	s_and_saveexec_b32 s2, vcc_lo
	s_xor_b32 s2, exec_lo, s2
; %bb.41:
	v_bfe_u32 v84, v80, 16, 1
	s_delay_alu instid0(VALU_DEP_1)
	v_add3_u32 v84, v80, v84, 0x7fff
                                        ; implicit-def: $vgpr80
; %bb.42:
	s_and_not1_saveexec_b32 s2, s2
; %bb.43:
	v_and_b32_e32 v84, 0xffff, v80
	v_or_b32_e32 v90, 0x10000, v80
	s_delay_alu instid0(VALU_DEP_2) | instskip(NEXT) | instid1(VALU_DEP_2)
	v_cmp_eq_u32_e32 vcc_lo, 0, v84
	v_cndmask_b32_e32 v84, v90, v80, vcc_lo
; %bb.44:
	s_or_b32 exec_lo, exec_lo, s2
	s_load_b64 s[34:35], s[0:1], 0x94
	v_lshlrev_b32_e32 v91, 4, v74
	s_delay_alu instid0(VALU_DEP_2)
	v_perm_b32 v90, v84, v87, 0x7060302
	v_dual_mul_f32 v79, v82, v79 :: v_dual_lshlrev_b32 v80, 6, v65
	v_dual_mul_f32 v77, v82, v77 :: v_dual_lshlrev_b32 v92, 11, v66
	v_mul_f32_e32 v84, v82, v70
	v_perm_b32 v89, v88, v89, 0x7060302
	v_perm_b32 v88, v86, v85, 0x7060302
	;; [unrolled: 1-line block ×3, first 2 shown]
	v_mul_f32_e32 v70, v82, v81
	v_or3_b32 v76, v91, v92, v80
	v_dual_mul_f32 v78, v82, v78 :: v_dual_and_b32 v85, 0x7f800000, v84
	v_mul_f32_e32 v83, v82, v72
	v_mul_f32_e32 v81, v82, v71
	;; [unrolled: 1-line block ×3, first 2 shown]
	s_mov_b32 s2, exec_lo
	ds_store_b128 v76, v[87:90]
                                        ; implicit-def: $vgpr69
	v_cmpx_ne_u32_e32 0x7f800000, v85
	s_xor_b32 s2, exec_lo, s2
; %bb.45:
	v_bfe_u32 v69, v84, 16, 1
	s_delay_alu instid0(VALU_DEP_1)
	v_add3_u32 v69, v84, v69, 0x7fff
                                        ; implicit-def: $vgpr84
; %bb.46:
	s_and_not1_saveexec_b32 s2, s2
; %bb.47:
	v_and_b32_e32 v69, 0xffff, v84
	v_or_b32_e32 v71, 0x10000, v84
	s_delay_alu instid0(VALU_DEP_2) | instskip(NEXT) | instid1(VALU_DEP_2)
	v_cmp_eq_u32_e32 vcc_lo, 0, v69
	v_cndmask_b32_e32 v69, v71, v84, vcc_lo
; %bb.48:
	s_or_b32 exec_lo, exec_lo, s2
	v_and_b32_e32 v71, 0x7f800000, v72
	s_delay_alu instid0(VALU_DEP_1) | instskip(SKIP_1) | instid1(SALU_CYCLE_1)
	v_cmp_ne_u32_e32 vcc_lo, 0x7f800000, v71
                                        ; implicit-def: $vgpr71
	s_and_saveexec_b32 s2, vcc_lo
	s_xor_b32 s2, exec_lo, s2
; %bb.49:
	v_bfe_u32 v71, v72, 16, 1
	s_delay_alu instid0(VALU_DEP_1)
	v_add3_u32 v71, v72, v71, 0x7fff
                                        ; implicit-def: $vgpr72
; %bb.50:
	s_and_not1_saveexec_b32 s2, s2
; %bb.51:
	v_and_b32_e32 v71, 0xffff, v72
	v_or_b32_e32 v82, 0x10000, v72
	s_delay_alu instid0(VALU_DEP_2) | instskip(NEXT) | instid1(VALU_DEP_2)
	v_cmp_eq_u32_e32 vcc_lo, 0, v71
	v_cndmask_b32_e32 v71, v82, v72, vcc_lo
; %bb.52:
	s_or_b32 exec_lo, exec_lo, s2
	v_and_b32_e32 v72, 0x7f800000, v81
	s_delay_alu instid0(VALU_DEP_1) | instskip(SKIP_1) | instid1(SALU_CYCLE_1)
	v_cmp_ne_u32_e32 vcc_lo, 0x7f800000, v72
                                        ; implicit-def: $vgpr72
	s_and_saveexec_b32 s2, vcc_lo
	s_xor_b32 s2, exec_lo, s2
; %bb.53:
	v_bfe_u32 v72, v81, 16, 1
	s_delay_alu instid0(VALU_DEP_1)
	v_add3_u32 v72, v81, v72, 0x7fff
                                        ; implicit-def: $vgpr81
; %bb.54:
	s_and_not1_saveexec_b32 s2, s2
; %bb.55:
	v_and_b32_e32 v72, 0xffff, v81
	v_or_b32_e32 v82, 0x10000, v81
	s_delay_alu instid0(VALU_DEP_2) | instskip(NEXT) | instid1(VALU_DEP_2)
	v_cmp_eq_u32_e32 vcc_lo, 0, v72
	v_cndmask_b32_e32 v72, v82, v81, vcc_lo
; %bb.56:
	s_or_b32 exec_lo, exec_lo, s2
	v_and_b32_e32 v81, 0x7f800000, v83
	s_delay_alu instid0(VALU_DEP_1) | instskip(SKIP_1) | instid1(SALU_CYCLE_1)
	v_cmp_ne_u32_e32 vcc_lo, 0x7f800000, v81
                                        ; implicit-def: $vgpr81
	s_and_saveexec_b32 s2, vcc_lo
	s_xor_b32 s2, exec_lo, s2
; %bb.57:
	v_bfe_u32 v81, v83, 16, 1
	s_delay_alu instid0(VALU_DEP_1)
	v_add3_u32 v81, v83, v81, 0x7fff
                                        ; implicit-def: $vgpr83
; %bb.58:
	s_and_not1_saveexec_b32 s2, s2
; %bb.59:
	v_and_b32_e32 v81, 0xffff, v83
	v_or_b32_e32 v82, 0x10000, v83
	s_delay_alu instid0(VALU_DEP_2) | instskip(NEXT) | instid1(VALU_DEP_2)
	v_cmp_eq_u32_e32 vcc_lo, 0, v81
	v_cndmask_b32_e32 v81, v82, v83, vcc_lo
; %bb.60:
	s_or_b32 exec_lo, exec_lo, s2
	v_and_b32_e32 v82, 0x7f800000, v77
	s_delay_alu instid0(VALU_DEP_1) | instskip(SKIP_1) | instid1(SALU_CYCLE_1)
	v_cmp_ne_u32_e32 vcc_lo, 0x7f800000, v82
                                        ; implicit-def: $vgpr82
	s_and_saveexec_b32 s2, vcc_lo
	s_xor_b32 s2, exec_lo, s2
; %bb.61:
	v_bfe_u32 v82, v77, 16, 1
	s_delay_alu instid0(VALU_DEP_1)
	v_add3_u32 v82, v77, v82, 0x7fff
                                        ; implicit-def: $vgpr77
; %bb.62:
	s_and_not1_saveexec_b32 s2, s2
; %bb.63:
	v_and_b32_e32 v82, 0xffff, v77
	v_or_b32_e32 v83, 0x10000, v77
	s_delay_alu instid0(VALU_DEP_2) | instskip(NEXT) | instid1(VALU_DEP_2)
	v_cmp_eq_u32_e32 vcc_lo, 0, v82
	v_cndmask_b32_e32 v82, v83, v77, vcc_lo
; %bb.64:
	s_or_b32 exec_lo, exec_lo, s2
	v_and_b32_e32 v77, 0x7f800000, v78
	s_delay_alu instid0(VALU_DEP_1) | instskip(SKIP_1) | instid1(SALU_CYCLE_1)
	v_cmp_ne_u32_e32 vcc_lo, 0x7f800000, v77
                                        ; implicit-def: $vgpr77
	s_and_saveexec_b32 s2, vcc_lo
	s_xor_b32 s2, exec_lo, s2
; %bb.65:
	v_bfe_u32 v77, v78, 16, 1
	s_delay_alu instid0(VALU_DEP_1)
	v_add3_u32 v77, v78, v77, 0x7fff
                                        ; implicit-def: $vgpr78
; %bb.66:
	s_and_not1_saveexec_b32 s2, s2
; %bb.67:
	v_and_b32_e32 v77, 0xffff, v78
	v_or_b32_e32 v83, 0x10000, v78
	s_delay_alu instid0(VALU_DEP_2) | instskip(NEXT) | instid1(VALU_DEP_2)
	v_cmp_eq_u32_e32 vcc_lo, 0, v77
	v_cndmask_b32_e32 v77, v83, v78, vcc_lo
; %bb.68:
	s_or_b32 exec_lo, exec_lo, s2
	v_and_b32_e32 v78, 0x7f800000, v79
	s_delay_alu instid0(VALU_DEP_1) | instskip(SKIP_1) | instid1(SALU_CYCLE_1)
	v_cmp_ne_u32_e32 vcc_lo, 0x7f800000, v78
                                        ; implicit-def: $vgpr78
	s_and_saveexec_b32 s2, vcc_lo
	s_xor_b32 s2, exec_lo, s2
; %bb.69:
	v_bfe_u32 v78, v79, 16, 1
	s_delay_alu instid0(VALU_DEP_1)
	v_add3_u32 v78, v79, v78, 0x7fff
                                        ; implicit-def: $vgpr79
; %bb.70:
	s_and_not1_saveexec_b32 s2, s2
; %bb.71:
	v_and_b32_e32 v78, 0xffff, v79
	v_or_b32_e32 v83, 0x10000, v79
	s_delay_alu instid0(VALU_DEP_2) | instskip(NEXT) | instid1(VALU_DEP_2)
	v_cmp_eq_u32_e32 vcc_lo, 0, v78
	v_cndmask_b32_e32 v78, v83, v79, vcc_lo
; %bb.72:
	s_or_b32 exec_lo, exec_lo, s2
	v_and_b32_e32 v79, 0x7f800000, v70
	s_delay_alu instid0(VALU_DEP_1) | instskip(SKIP_1) | instid1(SALU_CYCLE_1)
	v_cmp_ne_u32_e32 vcc_lo, 0x7f800000, v79
                                        ; implicit-def: $vgpr79
	s_and_saveexec_b32 s2, vcc_lo
	s_xor_b32 s2, exec_lo, s2
; %bb.73:
	v_bfe_u32 v79, v70, 16, 1
	s_delay_alu instid0(VALU_DEP_1)
	v_add3_u32 v79, v70, v79, 0x7fff
                                        ; implicit-def: $vgpr70
; %bb.74:
	s_and_not1_saveexec_b32 s2, s2
; %bb.75:
	v_and_b32_e32 v79, 0xffff, v70
	v_or_b32_e32 v83, 0x10000, v70
	s_delay_alu instid0(VALU_DEP_2) | instskip(NEXT) | instid1(VALU_DEP_2)
	v_cmp_eq_u32_e32 vcc_lo, 0, v79
	v_cndmask_b32_e32 v79, v83, v70, vcc_lo
; %bb.76:
	s_or_b32 exec_lo, exec_lo, s2
	s_delay_alu instid0(VALU_DEP_1)
	v_perm_b32 v86, v79, v78, 0x7060302
	v_perm_b32 v85, v77, v82, 0x7060302
	;; [unrolled: 1-line block ×4, first 2 shown]
	v_lshl_or_b32 v82, v66, 11, v80
	ds_store_b128 v76, v[83:86] offset:1024
	s_waitcnt lgkmcnt(0)
	s_barrier
	buffer_gl0_inv
	ds_load_b128 v[69:72], v82
	ds_load_b128 v[83:86], v82 offset:16
	s_waitcnt lgkmcnt(1)
	v_lshrrev_b32_e32 v66, 16, v69
	s_waitcnt lgkmcnt(0)
	v_lshrrev_b32_e32 v91, 16, v83
	v_lshlrev_b32_e32 v78, 2, v74
	v_lshrrev_b32_e32 v95, 16, v70
	v_lshrrev_b32_e32 v98, 16, v84
	;; [unrolled: 1-line block ×4, first 2 shown]
	v_cmp_eq_u32_e32 vcc_lo, 1, v78
	v_lshrrev_b32_e32 v97, 16, v72
	v_lshrrev_b32_e32 v100, 16, v86
	v_cndmask_b32_e32 v87, v83, v91, vcc_lo
	v_or_b32_e32 v79, 1, v78
	v_cndmask_b32_e32 v81, v69, v66, vcc_lo
	v_cmp_eq_u32_e64 s3, 2, v78
	v_cmp_eq_u32_e64 s6, 3, v78
	;; [unrolled: 1-line block ×5, first 2 shown]
	v_cndmask_b32_e64 v81, v81, v70, s3
	v_cndmask_b32_e64 v87, v87, v84, s3
	v_cmp_eq_u32_e64 s7, 3, v79
	v_cndmask_b32_e64 v88, v69, v66, s2
	v_or_b32_e32 v77, 2, v78
	v_cndmask_b32_e64 v81, v81, v95, s6
	v_cndmask_b32_e64 v87, v87, v98, s6
	;; [unrolled: 1-line block ×4, first 2 shown]
	v_cmp_eq_u32_e64 s9, 5, v78
	v_cndmask_b32_e64 v81, v81, v71, s8
	v_cndmask_b32_e64 v87, v87, v85, s8
	v_cmp_eq_u32_e64 s10, 4, v79
	v_cndmask_b32_e64 v88, v88, v95, s7
	v_cmp_eq_u32_e64 s4, 1, v77
	v_cndmask_b32_e64 v89, v89, v84, s5
	v_cndmask_b32_e64 v81, v81, v96, s9
	v_cmp_eq_u32_e64 s11, 6, v78
	v_cndmask_b32_e64 v88, v88, v71, s10
	;; [unrolled: 3-line block ×3, first 2 shown]
	v_cndmask_b32_e64 v89, v89, v98, s7
	v_cndmask_b32_e64 v81, v81, v72, s11
	v_cmp_eq_u32_e64 s13, 7, v78
	v_cndmask_b32_e64 v88, v88, v96, s12
	v_cndmask_b32_e64 v87, v87, v86, s11
	v_cmp_eq_u32_e64 s15, 6, v79
	v_cmp_eq_u32_e64 s16, 2, v77
	v_cndmask_b32_e64 v89, v89, v85, s10
	v_cndmask_b32_e64 v101, v81, v97, s13
	;; [unrolled: 1-line block ×6, first 2 shown]
	v_cmp_eq_u32_e64 s17, 7, v79
	v_cmp_eq_u32_e64 s18, 3, v77
	;; [unrolled: 1-line block ×4, first 2 shown]
	v_cndmask_b32_e64 v87, v87, v84, s16
	v_cndmask_b32_e64 v103, v88, v97, s17
	;; [unrolled: 1-line block ×4, first 2 shown]
	v_or_b32_e32 v81, 3, v78
	v_cndmask_b32_e64 v93, v87, v98, s18
	v_cmp_eq_u32_e64 s23, 6, v77
	v_cndmask_b32_e64 v104, v88, v86, s15
	v_cndmask_b32_e64 v92, v89, v71, s19
	v_cmp_eq_u32_e64 s20, 1, v81
	ds_load_b128 v[87:90], v82 offset:1024
	v_cmp_eq_u32_e64 s22, 2, v81
	v_cmp_eq_u32_e64 s24, 3, v81
	v_cndmask_b32_e64 v105, v92, v96, s21
	v_cndmask_b32_e64 v66, v69, v66, s20
	;; [unrolled: 1-line block ×4, first 2 shown]
	ds_load_b128 v[91:94], v82 offset:1040
	v_cmp_eq_u32_e64 s25, 4, v81
	v_cndmask_b32_e64 v66, v66, v70, s22
	v_cmp_eq_u32_e64 s26, 7, v77
	v_cndmask_b32_e64 v70, v83, v84, s22
	v_cndmask_b32_e64 v84, v105, v72, s23
	v_cmp_eq_u32_e64 s27, 5, v81
	v_cndmask_b32_e64 v66, v66, v95, s24
	v_cmp_eq_u32_e64 s28, 6, v81
	v_cndmask_b32_e64 v70, v70, v98, s24
	v_cndmask_b32_e64 v69, v69, v99, s21
	v_cndmask_b32_e64 v83, v104, v100, s17
	v_cndmask_b32_e64 v66, v66, v71, s25
	s_waitcnt lgkmcnt(1)
	v_lshrrev_b32_e32 v95, 16, v87
	v_cndmask_b32_e64 v70, v70, v85, s25
	v_cndmask_b32_e64 v71, v84, v97, s26
	;; [unrolled: 1-line block ×4, first 2 shown]
	v_cndmask_b32_e32 v84, v87, v95, vcc_lo
	v_cndmask_b32_e64 v70, v70, v99, s27
	s_waitcnt lgkmcnt(0)
	v_lshrrev_b32_e32 v85, 16, v91
	v_lshrrev_b32_e32 v96, 16, v88
	v_cndmask_b32_e64 v98, v87, v95, s2
	v_cndmask_b32_e64 v84, v84, v88, s3
	;; [unrolled: 1-line block ×3, first 2 shown]
	v_cndmask_b32_e32 v99, v91, v85, vcc_lo
	v_cmp_eq_u32_e32 vcc_lo, 7, v81
	v_cndmask_b32_e64 v66, v66, v72, s28
	v_cndmask_b32_e64 v72, v84, v96, s6
	;; [unrolled: 1-line block ×3, first 2 shown]
	v_lshrrev_b32_e32 v98, 16, v92
	v_cndmask_b32_e32 v70, v70, v100, vcc_lo
	v_cndmask_b32_e64 v86, v99, v92, s3
	v_cndmask_b32_e64 v69, v69, v100, s26
	v_lshrrev_b32_e32 v100, 16, v93
	v_cndmask_b32_e64 v72, v72, v89, s8
	v_lshrrev_b32_e32 v99, 16, v89
	v_cndmask_b32_e64 v86, v86, v98, s6
	v_perm_b32 v71, v69, v71, 0x5040100
	v_cndmask_b32_e64 v84, v84, v96, s7
	s_delay_alu instid0(VALU_DEP_3) | instskip(NEXT) | instid1(VALU_DEP_2)
	v_cndmask_b32_e64 v86, v86, v93, s8
	v_cndmask_b32_e64 v84, v84, v89, s10
	s_delay_alu instid0(VALU_DEP_2) | instskip(NEXT) | instid1(VALU_DEP_1)
	v_cndmask_b32_e64 v86, v86, v100, s9
	v_cndmask_b32_e64 v69, v86, v94, s11
	;; [unrolled: 1-line block ×5, first 2 shown]
	s_delay_alu instid0(VALU_DEP_3) | instskip(NEXT) | instid1(VALU_DEP_3)
	v_cndmask_b32_e64 v86, v86, v88, s16
	v_cndmask_b32_e64 v87, v87, v88, s22
	s_delay_alu instid0(VALU_DEP_3) | instskip(NEXT) | instid1(VALU_DEP_3)
	v_cndmask_b32_e64 v88, v95, v92, s22
	v_cndmask_b32_e64 v86, v86, v96, s18
	;; [unrolled: 3-line block ×7, first 2 shown]
	s_delay_alu instid0(VALU_DEP_3) | instskip(SKIP_2) | instid1(VALU_DEP_2)
	v_cndmask_b32_e64 v88, v88, v94, s28
	v_cndmask_b32_e32 v66, v66, v97, vcc_lo
	v_cndmask_b32_e64 v97, v72, v99, s9
	v_perm_b32 v72, v70, v66, 0x5040100
	v_perm_b32 v70, v83, v103, 0x5040100
	v_cndmask_b32_e64 v103, v91, v85, s4
	v_cndmask_b32_e64 v85, v91, v85, s2
	;; [unrolled: 1-line block ×4, first 2 shown]
	v_lshrrev_b32_e32 v97, 16, v90
	v_cndmask_b32_e64 v91, v103, v92, s16
	v_cndmask_b32_e64 v85, v85, v92, s5
	;; [unrolled: 1-line block ×3, first 2 shown]
	s_mov_b32 s2, exec_lo
	v_cndmask_b32_e64 v83, v84, v97, s13
	v_cndmask_b32_e64 v91, v91, v98, s18
	;; [unrolled: 1-line block ×3, first 2 shown]
	v_lshrrev_b32_e32 v84, 16, v94
	v_cndmask_b32_e64 v66, v66, v97, s17
	v_cndmask_b32_e64 v90, v86, v97, s26
	v_cndmask_b32_e64 v89, v91, v93, s19
	v_cndmask_b32_e64 v85, v85, v93, s10
	v_dual_cndmask_b32 v86, v87, v97 :: v_dual_cndmask_b32 v87, v88, v84
	v_cndmask_b32_e64 v91, v69, v84, s13
	s_delay_alu instid0(VALU_DEP_4) | instskip(NEXT) | instid1(VALU_DEP_4)
	v_cndmask_b32_e64 v89, v89, v100, s21
	v_cndmask_b32_e64 v85, v85, v100, s12
	v_perm_b32 v69, v102, v101, 0x5040100
	v_perm_b32 v86, v87, v86, 0x5040100
	;; [unrolled: 1-line block ×3, first 2 shown]
	v_cndmask_b32_e64 v89, v89, v94, s23
	v_cndmask_b32_e64 v85, v85, v94, s15
	s_mul_i32 s7, s35, 14
	s_delay_alu instid0(VALU_DEP_2) | instskip(NEXT) | instid1(VALU_DEP_2)
	v_cndmask_b32_e64 v88, v89, v84, s26
	v_cndmask_b32_e64 v89, v85, v84, s17
	s_delay_alu instid0(VALU_DEP_2) | instskip(NEXT) | instid1(VALU_DEP_2)
	v_perm_b32 v85, v88, v90, 0x5040100
	v_perm_b32 v84, v89, v66, 0x5040100
	ds_store_b128 v76, v[69:72]
	ds_store_b128 v76, v[83:86] offset:1024
	v_cmpx_gt_u32_e32 14, v0
	s_cbranch_execz .LBB1559_78
; %bb.77:
	s_mul_i32 s3, s7, s30
	s_load_b128 s[8:11], s[0:1], 0x58
	v_add3_u32 v69, s3, s29, v65
	s_delay_alu instid0(VALU_DEP_1) | instskip(NEXT) | instid1(VALU_DEP_1)
	v_mad_u64_u32 v[65:66], null, v69, s34, s[14:15]
	v_ashrrev_i32_e32 v66, 31, v65
	s_delay_alu instid0(VALU_DEP_1) | instskip(SKIP_1) | instid1(VALU_DEP_1)
	v_lshlrev_b64 v[65:66], 2, v[65:66]
	s_waitcnt lgkmcnt(0)
	v_add_co_u32 v69, vcc_lo, s10, v65
	s_delay_alu instid0(VALU_DEP_2)
	v_add_co_ci_u32_e32 v70, vcc_lo, s11, v66, vcc_lo
	v_add_co_u32 v65, vcc_lo, s8, v65
	v_add_co_ci_u32_e32 v66, vcc_lo, s9, v66, vcc_lo
	global_store_b32 v[69:70], v67, off
	global_store_b32 v[65:66], v68, off
.LBB1559_78:
	s_or_b32 exec_lo, exec_lo, s2
	s_waitcnt lgkmcnt(0)
	s_waitcnt_vscnt null, 0x0
	s_barrier
	buffer_gl0_inv
	ds_load_b128 v[83:86], v80
	ds_load_b128 v[87:90], v80 offset:16
	ds_load_b128 v[95:98], v80 offset:2064
	;; [unrolled: 1-line block ×3, first 2 shown]
	v_mov_b32_e32 v65, 0
	ds_load_b128 v[103:106], v80 offset:4112
	ds_load_b128 v[99:102], v80 offset:4096
	;; [unrolled: 1-line block ×4, first 2 shown]
	v_mov_b32_e32 v66, v65
	v_mov_b32_e32 v67, v65
	v_mov_b32_e32 v68, v65
	v_mov_b32_e32 v69, v65
	v_mov_b32_e32 v70, v65
	v_mov_b32_e32 v71, v65
	v_mov_b32_e32 v72, v65
	s_waitcnt lgkmcnt(6)
	s_delay_alu instid0(VALU_DEP_1)
	v_wmma_f32_16x16x16_bf16 v[65:72], v[49:56], v[83:90], v[65:72]
	ds_load_b128 v[53:56], v80 offset:8208
	ds_load_b128 v[49:52], v80 offset:8192
	s_waitcnt lgkmcnt(6)
	v_wmma_f32_16x16x16_bf16 v[65:72], v[41:48], v[91:98], v[65:72]
	ds_load_b128 v[45:48], v80 offset:10256
	ds_load_b128 v[41:44], v80 offset:10240
	s_waitcnt lgkmcnt(6)
	;; [unrolled: 4-line block ×4, first 2 shown]
	v_wmma_f32_16x16x16_bf16 v[65:72], v[1:8], v[49:56], v[65:72]
	s_waitcnt lgkmcnt(4)
	s_delay_alu instid0(VALU_DEP_1) | instskip(SKIP_1) | instid1(VALU_DEP_1)
	v_wmma_f32_16x16x16_bf16 v[65:72], v[9:16], v[41:48], v[65:72]
	s_waitcnt lgkmcnt(2)
	v_wmma_f32_16x16x16_bf16 v[65:72], v[17:24], v[33:40], v[65:72]
	s_waitcnt lgkmcnt(0)
	s_delay_alu instid0(VALU_DEP_1) | instskip(NEXT) | instid1(VALU_DEP_1)
	v_wmma_f32_16x16x16_bf16 v[65:72], v[57:64], v[25:32], v[65:72]
	v_and_b32_e32 v1, 0x7f800000, v65
	s_delay_alu instid0(VALU_DEP_1) | instskip(SKIP_1) | instid1(SALU_CYCLE_1)
	v_cmp_ne_u32_e32 vcc_lo, 0x7f800000, v1
                                        ; implicit-def: $vgpr1
	s_and_saveexec_b32 s2, vcc_lo
	s_xor_b32 s2, exec_lo, s2
; %bb.79:
	v_bfe_u32 v1, v65, 16, 1
	s_delay_alu instid0(VALU_DEP_1)
	v_add3_u32 v1, v65, v1, 0x7fff
; %bb.80:
	s_and_not1_saveexec_b32 s2, s2
; %bb.81:
	v_and_b32_e32 v1, 0xffff, v65
	v_or_b32_e32 v2, 0x10000, v65
	s_delay_alu instid0(VALU_DEP_2) | instskip(NEXT) | instid1(VALU_DEP_2)
	v_cmp_eq_u32_e32 vcc_lo, 0, v1
	v_cndmask_b32_e32 v1, v2, v65, vcc_lo
; %bb.82:
	s_or_b32 exec_lo, exec_lo, s2
	v_and_b32_e32 v2, 0x7f800000, v66
	s_delay_alu instid0(VALU_DEP_1) | instskip(SKIP_1) | instid1(SALU_CYCLE_1)
	v_cmp_ne_u32_e32 vcc_lo, 0x7f800000, v2
                                        ; implicit-def: $vgpr2
	s_and_saveexec_b32 s2, vcc_lo
	s_xor_b32 s2, exec_lo, s2
; %bb.83:
	v_bfe_u32 v2, v66, 16, 1
	s_delay_alu instid0(VALU_DEP_1)
	v_add3_u32 v2, v66, v2, 0x7fff
; %bb.84:
	s_and_not1_saveexec_b32 s2, s2
; %bb.85:
	v_and_b32_e32 v2, 0xffff, v66
	v_or_b32_e32 v3, 0x10000, v66
	s_delay_alu instid0(VALU_DEP_2) | instskip(NEXT) | instid1(VALU_DEP_2)
	v_cmp_eq_u32_e32 vcc_lo, 0, v2
	v_cndmask_b32_e32 v2, v3, v66, vcc_lo
; %bb.86:
	s_or_b32 exec_lo, exec_lo, s2
	v_and_b32_e32 v3, 0x7f800000, v67
	s_delay_alu instid0(VALU_DEP_1) | instskip(SKIP_1) | instid1(SALU_CYCLE_1)
	v_cmp_ne_u32_e32 vcc_lo, 0x7f800000, v3
                                        ; implicit-def: $vgpr3
	s_and_saveexec_b32 s2, vcc_lo
	s_xor_b32 s2, exec_lo, s2
; %bb.87:
	v_bfe_u32 v3, v67, 16, 1
	s_delay_alu instid0(VALU_DEP_1)
	v_add3_u32 v3, v67, v3, 0x7fff
; %bb.88:
	s_and_not1_saveexec_b32 s2, s2
; %bb.89:
	v_and_b32_e32 v3, 0xffff, v67
	v_or_b32_e32 v4, 0x10000, v67
	s_delay_alu instid0(VALU_DEP_2) | instskip(NEXT) | instid1(VALU_DEP_2)
	v_cmp_eq_u32_e32 vcc_lo, 0, v3
	v_cndmask_b32_e32 v3, v4, v67, vcc_lo
; %bb.90:
	s_or_b32 exec_lo, exec_lo, s2
	v_and_b32_e32 v4, 0x7f800000, v68
	s_delay_alu instid0(VALU_DEP_1) | instskip(SKIP_1) | instid1(SALU_CYCLE_1)
	v_cmp_ne_u32_e32 vcc_lo, 0x7f800000, v4
                                        ; implicit-def: $vgpr4
	s_and_saveexec_b32 s2, vcc_lo
	s_xor_b32 s2, exec_lo, s2
; %bb.91:
	v_bfe_u32 v4, v68, 16, 1
	s_delay_alu instid0(VALU_DEP_1)
	v_add3_u32 v4, v68, v4, 0x7fff
; %bb.92:
	s_and_not1_saveexec_b32 s2, s2
; %bb.93:
	v_and_b32_e32 v4, 0xffff, v68
	v_or_b32_e32 v5, 0x10000, v68
	s_delay_alu instid0(VALU_DEP_2) | instskip(NEXT) | instid1(VALU_DEP_2)
	v_cmp_eq_u32_e32 vcc_lo, 0, v4
	v_cndmask_b32_e32 v4, v5, v68, vcc_lo
; %bb.94:
	s_or_b32 exec_lo, exec_lo, s2
	v_and_b32_e32 v5, 0x7f800000, v69
	s_delay_alu instid0(VALU_DEP_1) | instskip(SKIP_1) | instid1(SALU_CYCLE_1)
	v_cmp_ne_u32_e32 vcc_lo, 0x7f800000, v5
                                        ; implicit-def: $vgpr5
	s_and_saveexec_b32 s2, vcc_lo
	s_xor_b32 s2, exec_lo, s2
; %bb.95:
	v_bfe_u32 v5, v69, 16, 1
	s_delay_alu instid0(VALU_DEP_1)
	v_add3_u32 v5, v69, v5, 0x7fff
; %bb.96:
	s_and_not1_saveexec_b32 s2, s2
; %bb.97:
	v_and_b32_e32 v5, 0xffff, v69
	v_or_b32_e32 v6, 0x10000, v69
	s_delay_alu instid0(VALU_DEP_2) | instskip(NEXT) | instid1(VALU_DEP_2)
	v_cmp_eq_u32_e32 vcc_lo, 0, v5
	v_cndmask_b32_e32 v5, v6, v69, vcc_lo
; %bb.98:
	s_or_b32 exec_lo, exec_lo, s2
	v_and_b32_e32 v6, 0x7f800000, v70
	s_delay_alu instid0(VALU_DEP_1) | instskip(SKIP_1) | instid1(SALU_CYCLE_1)
	v_cmp_ne_u32_e32 vcc_lo, 0x7f800000, v6
                                        ; implicit-def: $vgpr6
	s_and_saveexec_b32 s2, vcc_lo
	s_xor_b32 s2, exec_lo, s2
; %bb.99:
	v_bfe_u32 v6, v70, 16, 1
	s_delay_alu instid0(VALU_DEP_1)
	v_add3_u32 v6, v70, v6, 0x7fff
; %bb.100:
	s_and_not1_saveexec_b32 s2, s2
; %bb.101:
	v_and_b32_e32 v6, 0xffff, v70
	v_or_b32_e32 v7, 0x10000, v70
	s_delay_alu instid0(VALU_DEP_2) | instskip(NEXT) | instid1(VALU_DEP_2)
	v_cmp_eq_u32_e32 vcc_lo, 0, v6
	v_cndmask_b32_e32 v6, v7, v70, vcc_lo
; %bb.102:
	s_or_b32 exec_lo, exec_lo, s2
	v_and_b32_e32 v7, 0x7f800000, v71
	s_delay_alu instid0(VALU_DEP_1) | instskip(SKIP_1) | instid1(SALU_CYCLE_1)
	v_cmp_ne_u32_e32 vcc_lo, 0x7f800000, v7
                                        ; implicit-def: $vgpr7
	s_and_saveexec_b32 s2, vcc_lo
	s_xor_b32 s2, exec_lo, s2
; %bb.103:
	v_bfe_u32 v7, v71, 16, 1
	s_delay_alu instid0(VALU_DEP_1)
	v_add3_u32 v7, v71, v7, 0x7fff
; %bb.104:
	s_and_not1_saveexec_b32 s2, s2
; %bb.105:
	v_and_b32_e32 v7, 0xffff, v71
	v_or_b32_e32 v8, 0x10000, v71
	s_delay_alu instid0(VALU_DEP_2) | instskip(NEXT) | instid1(VALU_DEP_2)
	v_cmp_eq_u32_e32 vcc_lo, 0, v7
	v_cndmask_b32_e32 v7, v8, v71, vcc_lo
; %bb.106:
	s_or_b32 exec_lo, exec_lo, s2
	v_and_b32_e32 v8, 0x7f800000, v72
	s_delay_alu instid0(VALU_DEP_1) | instskip(SKIP_1) | instid1(SALU_CYCLE_1)
	v_cmp_ne_u32_e32 vcc_lo, 0x7f800000, v8
                                        ; implicit-def: $vgpr8
	s_and_saveexec_b32 s2, vcc_lo
	s_xor_b32 s2, exec_lo, s2
; %bb.107:
	v_bfe_u32 v8, v72, 16, 1
	s_delay_alu instid0(VALU_DEP_1)
	v_add3_u32 v8, v72, v8, 0x7fff
                                        ; implicit-def: $vgpr65_vgpr66_vgpr67_vgpr68_vgpr69_vgpr70_vgpr71_vgpr72
; %bb.108:
	s_and_not1_saveexec_b32 s2, s2
; %bb.109:
	v_and_b32_e32 v8, 0xffff, v72
	v_or_b32_e32 v9, 0x10000, v72
	s_delay_alu instid0(VALU_DEP_2) | instskip(NEXT) | instid1(VALU_DEP_2)
	v_cmp_eq_u32_e32 vcc_lo, 0, v8
	v_cndmask_b32_e32 v8, v9, v72, vcc_lo
; %bb.110:
	s_or_b32 exec_lo, exec_lo, s2
	s_delay_alu instid0(VALU_DEP_1)
	v_perm_b32 v7, v8, v7, 0x7060302
	v_perm_b32 v6, v6, v5, 0x7060302
	;; [unrolled: 1-line block ×4, first 2 shown]
	s_barrier
	buffer_gl0_inv
	v_cmp_eq_u32_e32 vcc_lo, 1, v78
	ds_store_b128 v76, v[4:7]
	s_waitcnt lgkmcnt(0)
	s_barrier
	buffer_gl0_inv
	ds_load_b128 v[1:4], v82
	ds_load_b128 v[5:8], v82 offset:16
	v_cmp_eq_u32_e64 s2, 1, v79
	v_cmp_eq_u32_e64 s3, 2, v78
	;; [unrolled: 1-line block ×5, first 2 shown]
	s_waitcnt lgkmcnt(1)
	v_lshrrev_b32_e32 v9, 16, v1
	s_waitcnt lgkmcnt(0)
	v_lshrrev_b32_e32 v13, 16, v5
	v_lshrrev_b32_e32 v10, 16, v2
	;; [unrolled: 1-line block ×4, first 2 shown]
	v_cndmask_b32_e64 v19, v1, v9, s2
	v_cndmask_b32_e32 v18, v5, v13, vcc_lo
	v_cndmask_b32_e64 v20, v5, v13, s2
	v_cndmask_b32_e32 v17, v1, v9, vcc_lo
	v_cmp_eq_u32_e32 vcc_lo, 2, v79
	v_lshrrev_b32_e32 v15, 16, v7
	v_cmp_eq_u32_e64 s2, 1, v77
	v_lshrrev_b32_e32 v12, 16, v4
	v_lshrrev_b32_e32 v16, 16, v8
	v_cndmask_b32_e32 v20, v20, v6, vcc_lo
	v_cndmask_b32_e64 v17, v17, v2, s3
	v_cndmask_b32_e32 v19, v19, v2, vcc_lo
	v_cndmask_b32_e64 v18, v18, v6, s3
	v_cmp_eq_u32_e32 vcc_lo, 4, v78
	v_cmp_eq_u32_e64 s3, 3, v79
	v_cndmask_b32_e64 v17, v17, v10, s4
	v_cndmask_b32_e64 v21, v1, v9, s2
	;; [unrolled: 1-line block ×5, first 2 shown]
	v_cndmask_b32_e32 v17, v17, v3, vcc_lo
	v_cndmask_b32_e64 v20, v20, v14, s3
	v_cndmask_b32_e32 v18, v18, v7, vcc_lo
	v_cmp_eq_u32_e32 vcc_lo, 4, v79
	v_cmp_eq_u32_e64 s3, 5, v79
	v_cmp_eq_u32_e64 s2, 2, v81
	v_cndmask_b32_e64 v21, v21, v2, s6
	v_cmp_eq_u32_e64 s4, 5, v78
	v_cndmask_b32_e32 v19, v19, v3, vcc_lo
	v_cndmask_b32_e32 v20, v20, v7, vcc_lo
	v_cmp_eq_u32_e32 vcc_lo, 6, v79
	s_delay_alu instid0(VALU_DEP_4) | instskip(NEXT) | instid1(VALU_DEP_4)
	v_cndmask_b32_e64 v17, v17, v11, s4
	v_cndmask_b32_e64 v19, v19, v11, s3
	s_delay_alu instid0(VALU_DEP_4) | instskip(SKIP_1) | instid1(VALU_DEP_3)
	v_cndmask_b32_e64 v20, v20, v15, s3
	v_cmp_eq_u32_e64 s3, 1, v81
	v_cndmask_b32_e32 v19, v19, v4, vcc_lo
	v_cndmask_b32_e64 v18, v18, v15, s4
	s_delay_alu instid0(VALU_DEP_3)
	v_cndmask_b32_e64 v1, v1, v9, s3
	v_cndmask_b32_e64 v5, v5, v13, s3
	v_cmp_eq_u32_e64 s3, 3, v77
	v_cndmask_b32_e64 v13, v22, v6, s6
	v_cmp_eq_u32_e64 s6, 3, v81
	v_cndmask_b32_e64 v1, v1, v2, s2
	v_cndmask_b32_e64 v2, v5, v6, s2
	;; [unrolled: 1-line block ×3, first 2 shown]
	v_cmp_eq_u32_e64 s2, 4, v77
	v_cndmask_b32_e64 v6, v13, v14, s3
	v_cndmask_b32_e64 v1, v1, v10, s6
	v_cmp_eq_u32_e64 s3, 4, v81
	v_cndmask_b32_e64 v2, v2, v14, s6
	v_cndmask_b32_e64 v5, v9, v3, s2
	;; [unrolled: 3-line block ×3, first 2 shown]
	v_cndmask_b32_e64 v2, v2, v7, s3
	v_cmp_eq_u32_e64 s2, 5, v81
	v_cmp_eq_u32_e64 s4, 6, v78
	v_cndmask_b32_e64 v5, v5, v11, s6
	v_cmp_eq_u32_e64 s3, 6, v77
	v_cndmask_b32_e64 v3, v6, v15, s6
	v_cndmask_b32_e64 v1, v1, v11, s2
	v_cmp_eq_u32_e64 s6, 6, v81
	v_cndmask_b32_e64 v2, v2, v15, s2
	v_cndmask_b32_e64 v17, v17, v4, s4
	v_cndmask_b32_e64 v18, v18, v8, s4
	v_cmp_eq_u32_e64 s4, 7, v78
	v_cndmask_b32_e64 v5, v5, v4, s3
	;; [unrolled: 4-line block ×3, first 2 shown]
	v_cmp_eq_u32_e64 s3, 7, v77
	v_cndmask_b32_e32 v4, v20, v8, vcc_lo
	v_cndmask_b32_e64 v17, v17, v12, s4
	v_cndmask_b32_e64 v19, v19, v12, s5
	;; [unrolled: 1-line block ×8, first 2 shown]
	s_mov_b32 s2, exec_lo
	v_perm_b32 v4, v2, v1, 0x5040100
	v_perm_b32 v3, v3, v5, 0x5040100
	v_perm_b32 v2, v6, v19, 0x5040100
	v_perm_b32 v1, v7, v17, 0x5040100
	ds_store_b128 v76, v[1:4]
	s_waitcnt lgkmcnt(0)
	s_barrier
	buffer_gl0_inv
	v_cmpx_gt_u32_e32 32, v0
	s_cbranch_execz .LBB1559_2
; %bb.111:
	s_load_b64 s[0:1], s[0:1], 0x68
	v_lshlrev_b32_e32 v0, 10, v0
	s_lshl_b32 s4, s34, 7
	v_or_b32_e32 v3, s29, v74
	s_mul_i32 s2, s4, s30
	v_lshlrev_b32_e32 v1, 4, v75
	v_lshlrev_b32_e32 v2, 6, v74
	v_and_b32_e32 v0, 0x3800, v0
	s_mul_i32 s2, s2, s7
	v_mul_lo_u32 v8, v3, s4
	s_ashr_i32 s3, s2, 31
	s_delay_alu instid0(SALU_CYCLE_1)
	s_lshl_b64 s[2:3], s[2:3], 1
	v_or3_b32 v16, v0, v1, v2
	ds_load_b128 v[0:3], v16
	ds_load_b128 v[4:7], v16 offset:128
	v_ashrrev_i32_e32 v9, 31, v8
	s_waitcnt lgkmcnt(0)
	s_add_u32 s2, s0, s2
	s_addc_u32 s3, s1, s3
	s_lshl_b32 s0, s14, 7
	s_delay_alu instid0(SALU_CYCLE_1) | instskip(SKIP_2) | instid1(SALU_CYCLE_1)
	s_ashr_i32 s1, s0, 31
	v_lshlrev_b64 v[9:10], 1, v[8:9]
	s_lshl_b64 s[0:1], s[0:1], 1
	s_add_u32 s0, s2, s0
	s_addc_u32 s1, s3, s1
	s_lshl_b32 s2, s34, 8
	v_add_co_u32 v30, s0, s0, v73
	v_add_nc_u32_e32 v11, s2, v8
	v_add_co_ci_u32_e64 v31, null, s1, 0, s0
	s_delay_alu instid0(VALU_DEP_3) | instskip(NEXT) | instid1(VALU_DEP_3)
	v_add_co_u32 v9, vcc_lo, v30, v9
	v_add_nc_u32_e32 v8, s2, v11
	s_delay_alu instid0(VALU_DEP_3) | instskip(SKIP_1) | instid1(VALU_DEP_3)
	v_add_co_ci_u32_e32 v10, vcc_lo, v31, v10, vcc_lo
	v_ashrrev_i32_e32 v12, 31, v11
	v_add_nc_u32_e32 v13, s2, v8
	global_store_b128 v[9:10], v[0:3], off
	v_ashrrev_i32_e32 v9, 31, v8
	v_lshlrev_b64 v[11:12], 1, v[11:12]
	v_ashrrev_i32_e32 v14, 31, v13
	v_add_nc_u32_e32 v10, s2, v13
	s_delay_alu instid0(VALU_DEP_4) | instskip(NEXT) | instid1(VALU_DEP_4)
	v_lshlrev_b64 v[2:3], 1, v[8:9]
	v_add_co_u32 v0, vcc_lo, v30, v11
	s_delay_alu instid0(VALU_DEP_4)
	v_lshlrev_b64 v[8:9], 1, v[13:14]
	v_add_co_ci_u32_e32 v1, vcc_lo, v31, v12, vcc_lo
	v_ashrrev_i32_e32 v11, 31, v10
	v_add_co_u32 v22, vcc_lo, v30, v2
	v_add_nc_u32_e32 v20, s2, v10
	v_add_co_ci_u32_e32 v23, vcc_lo, v31, v3, vcc_lo
	v_add_co_u32 v24, vcc_lo, v30, v8
	global_store_b128 v[0:1], v[4:7], off
	v_add_co_ci_u32_e32 v25, vcc_lo, v31, v9, vcc_lo
	ds_load_b128 v[0:3], v16 offset:256
	ds_load_b128 v[4:7], v16 offset:384
	v_lshlrev_b64 v[26:27], 1, v[10:11]
	ds_load_b128 v[8:11], v16 offset:512
	ds_load_b128 v[12:15], v16 offset:640
	;; [unrolled: 1-line block ×3, first 2 shown]
	v_add_nc_u32_e32 v28, s2, v20
	v_ashrrev_i32_e32 v21, 31, v20
	v_add_co_u32 v26, vcc_lo, v30, v26
	s_delay_alu instid0(VALU_DEP_3) | instskip(NEXT) | instid1(VALU_DEP_3)
	v_ashrrev_i32_e32 v29, 31, v28
	v_lshlrev_b64 v[20:21], 1, v[20:21]
	v_add_co_ci_u32_e32 v27, vcc_lo, v31, v27, vcc_lo
	s_delay_alu instid0(VALU_DEP_3) | instskip(NEXT) | instid1(VALU_DEP_3)
	v_lshlrev_b64 v[28:29], 1, v[28:29]
	v_add_co_u32 v20, vcc_lo, v30, v20
	s_delay_alu instid0(VALU_DEP_4) | instskip(NEXT) | instid1(VALU_DEP_3)
	v_add_co_ci_u32_e32 v21, vcc_lo, v31, v21, vcc_lo
	v_add_co_u32 v28, vcc_lo, v30, v28
	s_delay_alu instid0(VALU_DEP_4)
	v_add_co_ci_u32_e32 v29, vcc_lo, v31, v29, vcc_lo
	s_waitcnt lgkmcnt(4)
	global_store_b128 v[22:23], v[0:3], off
	s_waitcnt lgkmcnt(3)
	global_store_b128 v[24:25], v[4:7], off
	;; [unrolled: 2-line block ×5, first 2 shown]
	s_nop 0
	s_sendmsg sendmsg(MSG_DEALLOC_VGPRS)
	s_endpgm
	.section	.rodata,"a",@progbits
	.p2align	6, 0x0
	.amdhsa_kernel _Z39paged_attention_ll4mi_QKV_mfma16_kernelI14__hip_bfloat16hLN4vllm18Fp8KVCacheDataTypeE1ES0_Li16ELi128ELi256ELb1ELi14EL8MFMAType1EEvPKT_PKT0_S9_ifPKiSB_SB_iPKfiiiPfSE_PS4_PT2_iSD_SD_
		.amdhsa_group_segment_fixed_size 17472
		.amdhsa_private_segment_fixed_size 0
		.amdhsa_kernarg_size 400
		.amdhsa_user_sgpr_count 13
		.amdhsa_user_sgpr_dispatch_ptr 0
		.amdhsa_user_sgpr_queue_ptr 0
		.amdhsa_user_sgpr_kernarg_segment_ptr 1
		.amdhsa_user_sgpr_dispatch_id 0
		.amdhsa_user_sgpr_private_segment_size 0
		.amdhsa_wavefront_size32 1
		.amdhsa_uses_dynamic_stack 0
		.amdhsa_enable_private_segment 0
		.amdhsa_system_sgpr_workgroup_id_x 1
		.amdhsa_system_sgpr_workgroup_id_y 1
		.amdhsa_system_sgpr_workgroup_id_z 1
		.amdhsa_system_sgpr_workgroup_info 0
		.amdhsa_system_vgpr_workitem_id 0
		.amdhsa_next_free_vgpr 140
		.amdhsa_next_free_sgpr 36
		.amdhsa_reserve_vcc 1
		.amdhsa_float_round_mode_32 0
		.amdhsa_float_round_mode_16_64 0
		.amdhsa_float_denorm_mode_32 3
		.amdhsa_float_denorm_mode_16_64 3
		.amdhsa_dx10_clamp 1
		.amdhsa_ieee_mode 1
		.amdhsa_fp16_overflow 0
		.amdhsa_workgroup_processor_mode 1
		.amdhsa_memory_ordered 1
		.amdhsa_forward_progress 0
		.amdhsa_shared_vgpr_count 0
		.amdhsa_exception_fp_ieee_invalid_op 0
		.amdhsa_exception_fp_denorm_src 0
		.amdhsa_exception_fp_ieee_div_zero 0
		.amdhsa_exception_fp_ieee_overflow 0
		.amdhsa_exception_fp_ieee_underflow 0
		.amdhsa_exception_fp_ieee_inexact 0
		.amdhsa_exception_int_div_zero 0
	.end_amdhsa_kernel
	.section	.text._Z39paged_attention_ll4mi_QKV_mfma16_kernelI14__hip_bfloat16hLN4vllm18Fp8KVCacheDataTypeE1ES0_Li16ELi128ELi256ELb1ELi14EL8MFMAType1EEvPKT_PKT0_S9_ifPKiSB_SB_iPKfiiiPfSE_PS4_PT2_iSD_SD_,"axG",@progbits,_Z39paged_attention_ll4mi_QKV_mfma16_kernelI14__hip_bfloat16hLN4vllm18Fp8KVCacheDataTypeE1ES0_Li16ELi128ELi256ELb1ELi14EL8MFMAType1EEvPKT_PKT0_S9_ifPKiSB_SB_iPKfiiiPfSE_PS4_PT2_iSD_SD_,comdat
.Lfunc_end1559:
	.size	_Z39paged_attention_ll4mi_QKV_mfma16_kernelI14__hip_bfloat16hLN4vllm18Fp8KVCacheDataTypeE1ES0_Li16ELi128ELi256ELb1ELi14EL8MFMAType1EEvPKT_PKT0_S9_ifPKiSB_SB_iPKfiiiPfSE_PS4_PT2_iSD_SD_, .Lfunc_end1559-_Z39paged_attention_ll4mi_QKV_mfma16_kernelI14__hip_bfloat16hLN4vllm18Fp8KVCacheDataTypeE1ES0_Li16ELi128ELi256ELb1ELi14EL8MFMAType1EEvPKT_PKT0_S9_ifPKiSB_SB_iPKfiiiPfSE_PS4_PT2_iSD_SD_
                                        ; -- End function
	.section	.AMDGPU.csdata,"",@progbits
; Kernel info:
; codeLenInByte = 9008
; NumSgprs: 38
; NumVgprs: 140
; ScratchSize: 0
; MemoryBound: 0
; FloatMode: 240
; IeeeMode: 1
; LDSByteSize: 17472 bytes/workgroup (compile time only)
; SGPRBlocks: 4
; VGPRBlocks: 17
; NumSGPRsForWavesPerEU: 38
; NumVGPRsForWavesPerEU: 140
; Occupancy: 10
; WaveLimiterHint : 1
; COMPUTE_PGM_RSRC2:SCRATCH_EN: 0
; COMPUTE_PGM_RSRC2:USER_SGPR: 13
; COMPUTE_PGM_RSRC2:TRAP_HANDLER: 0
; COMPUTE_PGM_RSRC2:TGID_X_EN: 1
; COMPUTE_PGM_RSRC2:TGID_Y_EN: 1
; COMPUTE_PGM_RSRC2:TGID_Z_EN: 1
; COMPUTE_PGM_RSRC2:TIDIG_COMP_CNT: 0
	.section	.text._Z39paged_attention_ll4mi_QKV_mfma16_kernelI14__hip_bfloat16hLN4vllm18Fp8KVCacheDataTypeE1ES0_Li16ELi128ELi256ELb1ELi15EL8MFMAType1EEvPKT_PKT0_S9_ifPKiSB_SB_iPKfiiiPfSE_PS4_PT2_iSD_SD_,"axG",@progbits,_Z39paged_attention_ll4mi_QKV_mfma16_kernelI14__hip_bfloat16hLN4vllm18Fp8KVCacheDataTypeE1ES0_Li16ELi128ELi256ELb1ELi15EL8MFMAType1EEvPKT_PKT0_S9_ifPKiSB_SB_iPKfiiiPfSE_PS4_PT2_iSD_SD_,comdat
	.protected	_Z39paged_attention_ll4mi_QKV_mfma16_kernelI14__hip_bfloat16hLN4vllm18Fp8KVCacheDataTypeE1ES0_Li16ELi128ELi256ELb1ELi15EL8MFMAType1EEvPKT_PKT0_S9_ifPKiSB_SB_iPKfiiiPfSE_PS4_PT2_iSD_SD_ ; -- Begin function _Z39paged_attention_ll4mi_QKV_mfma16_kernelI14__hip_bfloat16hLN4vllm18Fp8KVCacheDataTypeE1ES0_Li16ELi128ELi256ELb1ELi15EL8MFMAType1EEvPKT_PKT0_S9_ifPKiSB_SB_iPKfiiiPfSE_PS4_PT2_iSD_SD_
	.globl	_Z39paged_attention_ll4mi_QKV_mfma16_kernelI14__hip_bfloat16hLN4vllm18Fp8KVCacheDataTypeE1ES0_Li16ELi128ELi256ELb1ELi15EL8MFMAType1EEvPKT_PKT0_S9_ifPKiSB_SB_iPKfiiiPfSE_PS4_PT2_iSD_SD_
	.p2align	8
	.type	_Z39paged_attention_ll4mi_QKV_mfma16_kernelI14__hip_bfloat16hLN4vllm18Fp8KVCacheDataTypeE1ES0_Li16ELi128ELi256ELb1ELi15EL8MFMAType1EEvPKT_PKT0_S9_ifPKiSB_SB_iPKfiiiPfSE_PS4_PT2_iSD_SD_,@function
_Z39paged_attention_ll4mi_QKV_mfma16_kernelI14__hip_bfloat16hLN4vllm18Fp8KVCacheDataTypeE1ES0_Li16ELi128ELi256ELb1ELi15EL8MFMAType1EEvPKT_PKT0_S9_ifPKiSB_SB_iPKfiiiPfSE_PS4_PT2_iSD_SD_: ; @_Z39paged_attention_ll4mi_QKV_mfma16_kernelI14__hip_bfloat16hLN4vllm18Fp8KVCacheDataTypeE1ES0_Li16ELi128ELi256ELb1ELi15EL8MFMAType1EEvPKT_PKT0_S9_ifPKiSB_SB_iPKfiiiPfSE_PS4_PT2_iSD_SD_
; %bb.0:
	s_load_b64 s[4:5], s[0:1], 0x30
	s_mov_b32 s30, s13
	s_waitcnt lgkmcnt(0)
	s_cmp_lg_u64 s[4:5], 0
	s_cselect_b32 s13, -1, 0
	s_ashr_i32 s31, s30, 31
	s_cmp_eq_u64 s[4:5], 0
	s_cbranch_scc1 .LBB1560_3
; %bb.1:
	s_lshl_b64 s[2:3], s[30:31], 2
	s_delay_alu instid0(SALU_CYCLE_1) | instskip(SKIP_4) | instid1(SALU_CYCLE_1)
	s_add_u32 s2, s4, s2
	s_addc_u32 s3, s5, s3
	s_load_b64 s[2:3], s[2:3], 0x0
	s_waitcnt lgkmcnt(0)
	s_sub_i32 s2, s3, s2
	s_cmp_eq_u32 s2, 1
	s_cselect_b32 s2, -1, 0
	s_delay_alu instid0(SALU_CYCLE_1)
	s_and_not1_b32 vcc_lo, exec_lo, s2
	s_cbranch_vccz .LBB1560_4
.LBB1560_2:
	s_nop 0
	s_sendmsg sendmsg(MSG_DEALLOC_VGPRS)
	s_endpgm
.LBB1560_3:
.LBB1560_4:
	s_load_b64 s[2:3], s[0:1], 0x28
	s_lshl_b64 s[6:7], s[30:31], 2
	s_waitcnt lgkmcnt(0)
	s_add_u32 s2, s2, s6
	s_addc_u32 s3, s3, s7
	s_lshl_b32 s12, s14, 8
	s_load_b32 s17, s[2:3], 0x0
	s_waitcnt lgkmcnt(0)
	s_cmp_ge_i32 s12, s17
	s_cbranch_scc1 .LBB1560_2
; %bb.5:
	s_clause 0x1
	s_load_b128 s[8:11], s[0:1], 0x8
	s_load_b64 s[2:3], s[0:1], 0x20
	s_and_not1_b32 vcc_lo, exec_lo, s13
	s_cbranch_vccnz .LBB1560_7
; %bb.6:
	s_add_u32 s4, s4, s6
	s_addc_u32 s5, s5, s7
	s_load_b32 s13, s[4:5], 0x0
	s_branch .LBB1560_8
.LBB1560_7:
	s_mov_b32 s13, s30
.LBB1560_8:
	s_load_b128 s[4:7], s[0:1], 0x48
	v_and_b32_e32 v65, 15, v0
	v_lshrrev_b32_e32 v66, 5, v0
	v_bfe_u32 v74, v0, 4, 1
	v_and_b32_e32 v67, 31, v0
	v_and_b32_e32 v75, 1, v0
	v_lshlrev_b32_e32 v2, 3, v65
	s_mul_i32 s31, s15, 15
	v_lshl_or_b32 v1, v66, 1, v74
	s_waitcnt lgkmcnt(0)
	s_mov_b32 s7, exec_lo
	v_lshlrev_b32_e32 v73, 1, v2
	s_delay_alu instid0(VALU_DEP_2)
	v_cmpx_gt_u32_e32 15, v1
	s_cbranch_execz .LBB1560_10
; %bb.9:
	s_load_b64 s[18:19], s[0:1], 0x0
	v_add_lshl_u32 v2, v1, s31, 7
	s_mul_hi_i32 s21, s13, s4
	s_mul_i32 s20, s13, s4
	v_lshlrev_b32_e32 v6, 10, v65
	s_lshl_b64 s[20:21], s[20:21], 1
	v_ashrrev_i32_e32 v3, 31, v2
	v_lshlrev_b32_e32 v1, 6, v1
	v_lshlrev_b32_e32 v7, 10, v75
	v_and_b32_e32 v6, 0x3800, v6
	s_delay_alu instid0(VALU_DEP_4) | instskip(NEXT) | instid1(VALU_DEP_2)
	v_lshlrev_b64 v[2:3], 1, v[2:3]
	v_or3_b32 v1, v6, v7, v1
	s_waitcnt lgkmcnt(0)
	s_add_u32 s4, s18, s20
	s_addc_u32 s13, s19, s21
	s_delay_alu instid0(VALU_DEP_2) | instskip(SKIP_1) | instid1(VALU_DEP_2)
	v_add_co_u32 v2, vcc_lo, s4, v2
	v_add_co_ci_u32_e32 v3, vcc_lo, s13, v3, vcc_lo
	v_add_co_u32 v2, vcc_lo, v2, v73
	s_delay_alu instid0(VALU_DEP_2)
	v_add_co_ci_u32_e32 v3, vcc_lo, 0, v3, vcc_lo
	global_load_b128 v[2:5], v[2:3], off
	s_waitcnt vmcnt(0)
	ds_store_b128 v1, v[2:5]
.LBB1560_10:
	s_or_b32 exec_lo, exec_lo, s7
	v_and_b32_e32 v1, 0xef, v0
	s_add_i32 s4, s17, 15
	s_clause 0x1
	s_load_b32 s7, s[0:1], 0x38
	s_load_b32 s18, s[0:1], 0x1c
	s_ashr_i32 s13, s4, 31
	v_add_nc_u32_e32 v1, s12, v1
	s_lshr_b32 s13, s13, 28
	s_waitcnt lgkmcnt(0)
	s_add_i32 s4, s4, s13
	s_barrier
	v_ashrrev_i32_e32 v2, 31, v1
	v_or_b32_e32 v3, 16, v1
	s_ashr_i32 s4, s4, 4
	v_cmp_gt_i32_e32 vcc_lo, s17, v1
	s_add_i32 s4, s4, -1
	v_lshrrev_b32_e32 v2, 28, v2
	buffer_gl0_inv
	s_mul_i32 s15, s15, s6
	v_add_nc_u32_e32 v4, v1, v2
	s_mul_i32 s20, s30, s7
	s_delay_alu instid0(SALU_CYCLE_1) | instskip(NEXT) | instid1(VALU_DEP_1)
	s_ashr_i32 s21, s20, 31
	v_ashrrev_i32_e32 v4, 4, v4
	v_add_nc_u32_e32 v2, v3, v2
	s_lshl_b64 s[20:21], s[20:21], 2
	s_delay_alu instid0(SALU_CYCLE_1) | instskip(NEXT) | instid1(VALU_DEP_2)
	s_add_u32 s13, s2, s20
	v_cndmask_b32_e32 v1, s4, v4, vcc_lo
	s_delay_alu instid0(VALU_DEP_2)
	v_ashrrev_i32_e32 v2, 4, v2
	v_cmp_gt_i32_e32 vcc_lo, s17, v3
	s_addc_u32 s16, s3, s21
	s_ashr_i32 s19, s15, 31
	s_add_u32 s26, s8, s15
	s_addc_u32 s27, s9, s19
	v_cndmask_b32_e32 v3, s4, v2, vcc_lo
	v_ashrrev_i32_e32 v2, 31, v1
	s_lshl_b32 s2, s14, 4
	s_delay_alu instid0(SALU_CYCLE_1) | instskip(NEXT) | instid1(VALU_DEP_2)
	s_ashr_i32 s3, s2, 31
	v_ashrrev_i32_e32 v4, 31, v3
	s_delay_alu instid0(VALU_DEP_2) | instskip(SKIP_1) | instid1(SALU_CYCLE_1)
	v_lshlrev_b64 v[1:2], 2, v[1:2]
	s_lshl_b64 s[2:3], s[2:3], 2
	s_add_u32 s2, s13, s2
	s_delay_alu instid0(VALU_DEP_2) | instskip(SKIP_1) | instid1(VALU_DEP_2)
	v_lshlrev_b64 v[3:4], 2, v[3:4]
	s_addc_u32 s3, s16, s3
	v_add_co_u32 v1, vcc_lo, s13, v1
	v_add_co_ci_u32_e32 v2, vcc_lo, s16, v2, vcc_lo
	s_delay_alu instid0(VALU_DEP_3) | instskip(NEXT) | instid1(VALU_DEP_4)
	v_add_co_u32 v3, vcc_lo, s13, v3
	v_add_co_ci_u32_e32 v4, vcc_lo, s16, v4, vcc_lo
	s_clause 0x1
	global_load_b32 v5, v[1:2], off
	global_load_b32 v3, v[3:4], off
	s_or_b32 s6, s12, 32
	v_cmp_ne_u32_e32 vcc_lo, 15, v65
	s_ashr_i32 s7, s6, 4
	s_cmp_lt_i32 s6, s17
	s_cselect_b32 s6, s7, s4
	s_delay_alu instid0(SALU_CYCLE_1) | instskip(NEXT) | instid1(SALU_CYCLE_1)
	s_ashr_i32 s7, s6, 31
	s_lshl_b64 s[6:7], s[6:7], 2
	s_delay_alu instid0(SALU_CYCLE_1) | instskip(SKIP_2) | instid1(SALU_CYCLE_1)
	s_add_u32 s6, s13, s6
	s_addc_u32 s7, s16, s7
	s_or_b32 s8, s12, 64
	s_ashr_i32 s9, s8, 4
	s_cmp_lt_i32 s8, s17
	s_cselect_b32 s8, s9, s4
	s_delay_alu instid0(SALU_CYCLE_1) | instskip(NEXT) | instid1(SALU_CYCLE_1)
	s_ashr_i32 s9, s8, 31
	s_lshl_b64 s[8:9], s[8:9], 2
	s_delay_alu instid0(SALU_CYCLE_1) | instskip(SKIP_2) | instid1(SALU_CYCLE_1)
	s_add_u32 s8, s13, s8
	s_addc_u32 s9, s16, s9
	s_or_b32 s20, s12, 0x60
	;; [unrolled: 10-line block ×4, first 2 shown]
	s_ashr_i32 s25, s24, 4
	s_cmp_lt_i32 s24, s17
	s_cselect_b32 s24, s25, s4
	s_delay_alu instid0(SALU_CYCLE_1) | instskip(NEXT) | instid1(SALU_CYCLE_1)
	s_ashr_i32 s25, s24, 31
	s_lshl_b64 s[24:25], s[24:25], 2
	s_delay_alu instid0(SALU_CYCLE_1)
	s_add_u32 s24, s13, s24
	s_addc_u32 s25, s16, s25
	s_clause 0x5
	s_load_b32 s28, s[2:3], 0x0
	s_load_b32 s29, s[6:7], 0x0
	;; [unrolled: 1-line block ×6, first 2 shown]
	s_mov_b32 s20, 0
	s_or_b32 s2, s12, 0xc0
	s_mov_b32 s21, s20
	s_mov_b32 s22, s20
	;; [unrolled: 1-line block ×5, first 2 shown]
	v_lshlrev_b32_e32 v1, 4, v0
	s_ashr_i32 s3, s2, 4
	s_cmp_lt_i32 s2, s17
	s_cselect_b32 s2, s3, s4
	s_delay_alu instid0(VALU_DEP_1) | instskip(SKIP_1) | instid1(SALU_CYCLE_1)
	v_and_b32_e32 v1, 0xf0, v1
	s_ashr_i32 s3, s2, 31
	s_lshl_b64 s[2:3], s[2:3], 2
	s_delay_alu instid0(VALU_DEP_1) | instskip(NEXT) | instid1(VALU_DEP_1)
	v_add_co_u32 v1, s26, s26, v1
	v_add_co_ci_u32_e64 v2, null, s27, 0, s26
	s_add_u32 s2, s13, s2
	s_addc_u32 s3, s16, s3
	s_or_b32 s6, s12, 0xe0
	s_mov_b32 s27, s20
	s_ashr_i32 s7, s6, 4
	s_cmp_lt_i32 s6, s17
	s_mov_b32 s26, s20
	s_cselect_b32 s6, s7, s4
	s_delay_alu instid0(SALU_CYCLE_1) | instskip(NEXT) | instid1(SALU_CYCLE_1)
	s_ashr_i32 s7, s6, 31
	s_lshl_b64 s[6:7], s[6:7], 2
	s_waitcnt vmcnt(1)
	v_mad_i64_i32 v[33:34], null, v5, s5, v[1:2]
	s_waitcnt vmcnt(0)
	v_mad_i64_i32 v[35:36], null, v3, s5, v[1:2]
	s_clause 0xf
	global_load_b128 v[1:4], v[33:34], off
	global_load_b128 v[5:8], v[33:34], off offset:256
	global_load_b128 v[9:12], v[35:36], off
	global_load_b128 v[13:16], v[35:36], off offset:256
	global_load_b128 v[17:20], v[33:34], off offset:512
	;; [unrolled: 1-line block ×13, first 2 shown]
	v_cndmask_b32_e32 v33, 0, v65, vcc_lo
	v_dual_mov_b32 v107, s27 :: v_dual_lshlrev_b32 v34, 4, v65
	v_dual_mov_b32 v106, s26 :: v_dual_mov_b32 v105, s25
	s_delay_alu instid0(VALU_DEP_3) | instskip(NEXT) | instid1(VALU_DEP_3)
	v_lshlrev_b32_e32 v72, 6, v33
	v_lshl_or_b32 v41, v66, 8, v34
	ds_load_b128 v[33:36], v72
	ds_load_b128 v[37:40], v72 offset:1024
	ds_load_b128 v[108:111], v72 offset:2048
	ds_load_b128 v[112:115], v72 offset:3072
	s_load_b32 s4, s[2:3], 0x0
	s_add_u32 s2, s13, s6
	s_addc_u32 s3, s16, s7
	ds_load_b128 v[116:119], v72 offset:4096
	ds_load_b128 v[120:123], v72 offset:5120
	s_load_b32 s2, s[2:3], 0x0
	s_add_u32 s6, s10, s15
	s_addc_u32 s7, s11, s19
	v_add_co_u32 v68, s6, s6, v41
	s_delay_alu instid0(VALU_DEP_1) | instskip(SKIP_3) | instid1(VALU_DEP_3)
	v_add_co_ci_u32_e64 v69, null, s7, 0, s6
	v_dual_mov_b32 v104, s24 :: v_dual_mov_b32 v103, s23
	v_mov_b32_e32 v102, s22
	s_waitcnt lgkmcnt(0)
	v_mad_i64_i32 v[41:42], null, s28, s5, v[68:69]
	v_mad_i64_i32 v[70:71], null, s8, s5, v[68:69]
	v_dual_mov_b32 v101, s21 :: v_dual_mov_b32 v100, s20
	v_mad_i64_i32 v[45:46], null, s29, s5, v[68:69]
	v_mad_i64_i32 v[132:133], null, s9, s5, v[68:69]
	;; [unrolled: 1-line block ×5, first 2 shown]
	s_clause 0x3
	global_load_b128 v[49:52], v[41:42], off
	global_load_b128 v[53:56], v[41:42], off offset:16
	global_load_b128 v[41:44], v[45:46], off
	global_load_b128 v[45:48], v[45:46], off offset:16
	s_waitcnt vmcnt(18)
	v_wmma_f32_16x16x16_bf16 v[124:131], v[1:8], v[33:40], v[100:107]
	s_waitcnt vmcnt(16)
	v_wmma_f32_16x16x16_bf16 v[100:107], v[9:16], v[33:40], v[100:107]
	s_clause 0x1
	global_load_b128 v[33:36], v[70:71], off
	global_load_b128 v[37:40], v[70:71], off offset:16
	v_mad_i64_i32 v[70:71], null, s2, s5, v[68:69]
	s_waitcnt vmcnt(16)
	v_wmma_f32_16x16x16_bf16 v[124:131], v[17:24], v[108:115], v[124:131]
	s_waitcnt vmcnt(14)
	v_wmma_f32_16x16x16_bf16 v[100:107], v[25:32], v[108:115], v[100:107]
	s_clause 0x7
	global_load_b128 v[25:28], v[132:133], off
	global_load_b128 v[29:32], v[132:133], off offset:16
	global_load_b128 v[1:4], v[134:135], off
	global_load_b128 v[5:8], v[134:135], off offset:16
	;; [unrolled: 2-line block ×4, first 2 shown]
	s_waitcnt vmcnt(20)
	v_wmma_f32_16x16x16_bf16 v[124:131], v[57:64], v[116:123], v[124:131]
	s_clause 0x1
	global_load_b128 v[57:60], v[70:71], off
	global_load_b128 v[61:64], v[70:71], off offset:16
	s_waitcnt vmcnt(20)
	v_wmma_f32_16x16x16_bf16 v[100:107], v[76:83], v[116:123], v[100:107]
	ds_load_b128 v[76:79], v72 offset:6144
	ds_load_b128 v[80:83], v72 offset:7168
	v_and_b32_e32 v68, 0xe0, v0
	v_mbcnt_lo_u32_b32 v69, -1, 0
	s_waitcnt vmcnt(0) lgkmcnt(0)
	s_barrier
	buffer_gl0_inv
	v_add_nc_u32_e32 v68, s12, v68
	v_xor_b32_e32 v70, 16, v69
	s_delay_alu instid0(VALU_DEP_2) | instskip(NEXT) | instid1(VALU_DEP_2)
	v_or_b32_e32 v68, v68, v74
	v_cmp_gt_i32_e32 vcc_lo, 32, v70
	s_delay_alu instid0(VALU_DEP_2)
	v_or_b32_e32 v71, 4, v68
	v_or_b32_e32 v72, 6, v68
	v_cmp_gt_i32_e64 s2, s17, v68
	v_or_b32_e32 v108, 8, v68
	v_wmma_f32_16x16x16_bf16 v[124:131], v[84:91], v[76:83], v[124:131]
	v_cndmask_b32_e32 v69, v69, v70, vcc_lo
	v_or_b32_e32 v70, 2, v68
	v_wmma_f32_16x16x16_bf16 v[100:107], v[92:99], v[76:83], v[100:107]
	v_or_b32_e32 v109, 10, v68
	v_dual_mul_f32 v80, s18, v129 :: v_dual_mul_f32 v81, s18, v128
	v_dual_mul_f32 v92, s18, v125 :: v_dual_mul_f32 v93, s18, v124
	s_delay_alu instid0(VALU_DEP_4)
	v_mul_f32_e32 v96, s18, v105
	v_cmp_gt_i32_e32 vcc_lo, s17, v70
	v_or_b32_e32 v89, 22, v68
	v_dual_mul_f32 v79, s18, v130 :: v_dual_mul_f32 v82, s18, v127
	v_dual_mul_f32 v83, s18, v126 :: v_dual_mul_f32 v94, s18, v107
	v_cndmask_b32_e64 v93, 0xff7fffff, v93, s2
	v_cndmask_b32_e32 v92, 0xff7fffff, v92, vcc_lo
	v_cmp_gt_i32_e64 s3, s17, v71
	v_cmp_gt_i32_e64 s4, s17, v72
	v_or_b32_e32 v84, 12, v68
	v_or_b32_e32 v85, 14, v68
	v_cmp_gt_i32_e64 s5, s17, v108
	v_cndmask_b32_e64 v71, 0xff7fffff, v83, s3
	v_cndmask_b32_e64 v72, 0xff7fffff, v82, s4
	v_cmp_gt_i32_e64 s6, s17, v109
	v_cmp_gt_i32_e64 s12, s17, v89
	v_lshlrev_b32_e32 v89, 2, v69
	v_max3_f32 v82, v93, 0xff7fffff, v92
	v_or_b32_e32 v86, 16, v68
	v_or_b32_e32 v87, 18, v68
	v_mul_f32_e32 v78, s18, v131
	v_cndmask_b32_e64 v81, 0xff7fffff, v81, s5
	v_cndmask_b32_e64 v80, 0xff7fffff, v80, s6
	v_max3_f32 v71, v82, v71, v72
	v_cmp_gt_i32_e64 s7, s17, v84
	v_cmp_gt_i32_e64 s8, s17, v85
	v_or_b32_e32 v88, 20, v68
	v_or_b32_e32 v90, 24, v68
	;; [unrolled: 1-line block ×5, first 2 shown]
	v_dual_mul_f32 v97, s18, v104 :: v_dual_mul_f32 v70, s18, v101
	v_dual_mul_f32 v99, s18, v102 :: v_dual_mul_f32 v68, s18, v100
	v_cndmask_b32_e64 v72, 0xff7fffff, v79, s7
	v_cndmask_b32_e64 v78, 0xff7fffff, v78, s8
	v_max3_f32 v71, v71, v81, v80
	v_cmp_gt_i32_e64 s9, s17, v86
	v_cmp_gt_i32_e64 s10, s17, v87
	v_dual_mul_f32 v95, s18, v106 :: v_dual_mul_f32 v98, s18, v103
	s_delay_alu instid0(VALU_DEP_4) | instskip(NEXT) | instid1(VALU_DEP_4)
	v_max3_f32 v71, v71, v72, v78
	v_cndmask_b32_e64 v68, 0xff7fffff, v68, s9
	s_delay_alu instid0(VALU_DEP_4)
	v_cndmask_b32_e64 v70, 0xff7fffff, v70, s10
	v_cmp_gt_i32_e64 s11, s17, v88
	v_cndmask_b32_e64 v78, 0xff7fffff, v98, s12
	v_cmp_gt_i32_e64 s13, s17, v90
	v_cmp_gt_i32_e64 s15, s17, v91
	v_max3_f32 v68, v71, v68, v70
	v_cndmask_b32_e64 v72, 0xff7fffff, v99, s11
	v_cmp_gt_i32_e64 s16, s17, v76
	v_cndmask_b32_e64 v70, 0xff7fffff, v97, s13
	v_cndmask_b32_e64 v71, 0xff7fffff, v96, s15
	v_cmp_gt_i32_e64 s17, s17, v77
	v_max3_f32 v68, v68, v72, v78
	v_cndmask_b32_e64 v72, 0xff7fffff, v95, s16
	s_delay_alu instid0(VALU_DEP_3) | instskip(NEXT) | instid1(VALU_DEP_3)
	v_cndmask_b32_e64 v76, 0xff7fffff, v94, s17
	v_max3_f32 v68, v68, v70, v71
	s_delay_alu instid0(VALU_DEP_1) | instskip(SKIP_3) | instid1(VALU_DEP_1)
	v_max3_f32 v68, v68, v72, v76
	ds_bpermute_b32 v69, v89, v68
	s_waitcnt lgkmcnt(0)
	v_max_f32_e32 v69, v69, v69
	v_max_f32_e32 v68, v68, v69
	s_delay_alu instid0(VALU_DEP_1) | instskip(NEXT) | instid1(VALU_DEP_1)
	v_fma_f32 v71, s18, v126, -v68
	v_mul_f32_e32 v71, 0x3fb8aa3b, v71
	v_fma_f32 v70, s18, v125, -v68
	v_fma_f32 v69, s18, v124, -v68
	;; [unrolled: 1-line block ×5, first 2 shown]
	s_delay_alu instid0(VALU_DEP_4) | instskip(SKIP_1) | instid1(VALU_DEP_3)
	v_dual_mul_f32 v70, 0x3fb8aa3b, v70 :: v_dual_mul_f32 v69, 0x3fb8aa3b, v69
	v_exp_f32_e32 v71, v71
	v_mul_f32_e32 v72, 0x3fb8aa3b, v72
	v_fma_f32 v81, s18, v105, -v68
	s_delay_alu instid0(VALU_DEP_3)
	v_exp_f32_e32 v70, v70
	v_mul_f32_e32 v77, 0x3fb8aa3b, v76
	v_exp_f32_e32 v69, v69
	v_exp_f32_e32 v72, v72
	v_mul_f32_e32 v81, 0x3fb8aa3b, v81
	v_cndmask_b32_e64 v83, 0, v71, s3
	v_fma_f32 v71, s18, v131, -v68
	s_delay_alu instid0(VALU_DEP_3) | instskip(SKIP_4) | instid1(TRANS32_DEP_3)
	v_exp_f32_e32 v81, v81
	v_cndmask_b32_e32 v76, 0, v70, vcc_lo
	v_exp_f32_e32 v77, v77
	v_cndmask_b32_e64 v80, 0, v69, s2
	v_fma_f32 v69, s18, v129, -v68
	v_cndmask_b32_e64 v85, 0, v72, s4
	v_mul_f32_e32 v71, 0x3fb8aa3b, v71
	v_fma_f32 v72, s18, v100, -v68
	s_delay_alu instid0(VALU_DEP_4) | instskip(SKIP_1) | instid1(VALU_DEP_4)
	v_dual_add_f32 v70, 0, v80 :: v_dual_mul_f32 v69, 0x3fb8aa3b, v69
	v_cmp_gt_u32_e64 s2, 16, v67
	v_exp_f32_e32 v71, v71
	s_delay_alu instid0(TRANS32_DEP_2) | instskip(SKIP_4) | instid1(VALU_DEP_3)
	v_cndmask_b32_e64 v86, 0, v77, s5
	v_fma_f32 v77, s18, v101, -v68
	v_mul_f32_e32 v78, 0x3fb8aa3b, v78
	v_add_f32_e32 v70, v70, v76
	v_exp_f32_e32 v69, v69
	v_mul_f32_e32 v77, 0x3fb8aa3b, v77
	s_delay_alu instid0(VALU_DEP_3) | instskip(NEXT) | instid1(TRANS32_DEP_3)
	v_exp_f32_e32 v78, v78
	v_cndmask_b32_e64 v88, 0, v71, s8
	v_fma_f32 v71, s18, v104, -v68
	s_delay_alu instid0(VALU_DEP_3) | instskip(NEXT) | instid1(TRANS32_DEP_3)
	v_exp_f32_e32 v77, v77
	v_cndmask_b32_e64 v87, 0, v69, s6
	s_delay_alu instid0(VALU_DEP_2)
	v_mul_f32_e32 v71, 0x3fb8aa3b, v71
	s_waitcnt_depctr 0xfff
	v_cndmask_b32_e64 v84, 0, v78, s7
	v_add_f32_e32 v70, v70, v83
	v_fma_f32 v78, s18, v103, -v68
	v_exp_f32_e32 v82, v71
	s_delay_alu instid0(VALU_DEP_2) | instskip(SKIP_1) | instid1(VALU_DEP_3)
	v_add_f32_e32 v70, v70, v85
	v_mul_f32_e32 v72, 0x3fb8aa3b, v72
	v_mul_f32_e32 v78, 0x3fb8aa3b, v78
	s_delay_alu instid0(VALU_DEP_3) | instskip(SKIP_1) | instid1(VALU_DEP_4)
	v_add_f32_e32 v69, v70, v86
	v_fma_f32 v70, s18, v102, -v68
	v_exp_f32_e32 v72, v72
	s_delay_alu instid0(VALU_DEP_3) | instskip(NEXT) | instid1(VALU_DEP_1)
	v_exp_f32_e32 v78, v78
	v_dual_add_f32 v69, v69, v87 :: v_dual_mul_f32 v70, 0x3fb8aa3b, v70
	s_delay_alu instid0(VALU_DEP_1) | instskip(NEXT) | instid1(VALU_DEP_2)
	v_add_f32_e32 v69, v69, v84
	v_exp_f32_e32 v79, v70
	s_delay_alu instid0(TRANS32_DEP_3) | instskip(NEXT) | instid1(VALU_DEP_2)
	v_cndmask_b32_e64 v70, 0, v72, s9
	v_add_f32_e32 v72, v69, v88
	v_cndmask_b32_e64 v69, 0, v77, s10
	v_fma_f32 v77, s18, v106, -v68
	s_waitcnt_depctr 0xfff
	v_cndmask_b32_e64 v71, 0, v79, s11
	v_dual_mul_f32 v77, 0x3fb8aa3b, v77 :: v_dual_add_f32 v72, v72, v70
	s_delay_alu instid0(VALU_DEP_1) | instskip(NEXT) | instid1(VALU_DEP_1)
	v_exp_f32_e32 v90, v77
	v_add_f32_e32 v79, v72, v69
	v_cndmask_b32_e64 v72, 0, v78, s12
	v_cndmask_b32_e64 v77, 0, v82, s13
	s_delay_alu instid0(VALU_DEP_3) | instskip(SKIP_1) | instid1(VALU_DEP_1)
	v_add_f32_e32 v78, v79, v71
	v_fma_f32 v79, s18, v107, -v68
	v_dual_add_f32 v82, v78, v72 :: v_dual_mul_f32 v79, 0x3fb8aa3b, v79
	v_cndmask_b32_e64 v78, 0, v81, s15
	s_delay_alu instid0(VALU_DEP_2) | instskip(NEXT) | instid1(VALU_DEP_3)
	v_add_f32_e32 v81, v82, v77
	v_exp_f32_e32 v82, v79
	v_cndmask_b32_e64 v79, 0, v90, s16
	s_delay_alu instid0(VALU_DEP_2) | instskip(NEXT) | instid1(VALU_DEP_1)
	v_add_f32_e32 v81, v81, v78
	v_add_f32_e32 v90, v81, v79
	s_waitcnt_depctr 0xfff
	v_cndmask_b32_e64 v81, 0, v82, s17
	s_delay_alu instid0(VALU_DEP_1)
	v_add_f32_e32 v82, v90, v81
	ds_bpermute_b32 v89, v89, v82
	s_and_saveexec_b32 s3, s2
	s_cbranch_execz .LBB1560_12
; %bb.11:
	v_mul_u32_u24_e32 v67, 0x44, v66
	s_delay_alu instid0(VALU_DEP_1) | instskip(SKIP_1) | instid1(VALU_DEP_1)
	v_lshl_add_u32 v67, v65, 2, v67
	s_waitcnt lgkmcnt(0)
	v_dual_add_f32 v82, v82, v89 :: v_dual_add_nc_u32 v67, 0x4000, v67
	ds_store_2addr_b32 v67, v68, v82 offset1:136
.LBB1560_12:
	s_or_b32 exec_lo, exec_lo, s3
	v_lshlrev_b32_e32 v67, 2, v65
	s_waitcnt lgkmcnt(0)
	s_barrier
	buffer_gl0_inv
	v_cmp_eq_u32_e32 vcc_lo, 1, v66
	v_add_nc_u32_e32 v82, 0x4000, v67
	v_cmp_eq_u32_e64 s3, 2, v66
	v_cmp_eq_u32_e64 s5, 7, v66
	ds_load_2addr_b32 v[89:90], v82 offset1:17
	ds_load_2addr_b32 v[91:92], v82 offset0:34 offset1:51
	ds_load_2addr_b32 v[93:94], v82 offset0:68 offset1:85
	;; [unrolled: 1-line block ×4, first 2 shown]
	s_waitcnt lgkmcnt(4)
	v_max3_f32 v67, v89, 0xff7fffff, v90
	s_waitcnt lgkmcnt(3)
	s_delay_alu instid0(VALU_DEP_1) | instskip(SKIP_1) | instid1(VALU_DEP_1)
	v_max3_f32 v67, v67, v91, v92
	s_waitcnt lgkmcnt(2)
	v_max3_f32 v67, v67, v93, v94
	s_waitcnt lgkmcnt(1)
	s_delay_alu instid0(VALU_DEP_1) | instskip(NEXT) | instid1(VALU_DEP_1)
	v_max3_f32 v67, v67, v95, v96
	v_sub_f32_e32 v93, v93, v67
	s_delay_alu instid0(VALU_DEP_1) | instskip(NEXT) | instid1(VALU_DEP_1)
	v_dual_sub_f32 v68, v89, v67 :: v_dual_mul_f32 v103, 0x3fb8aa3b, v93
	v_mul_f32_e32 v68, 0x3fb8aa3b, v68
	s_delay_alu instid0(VALU_DEP_1)
	v_exp_f32_e32 v100, v68
	v_sub_f32_e32 v68, v92, v67
	v_sub_f32_e32 v99, v90, v67
	ds_load_2addr_b32 v[89:90], v82 offset0:170 offset1:187
	v_dual_mul_f32 v102, 0x3fb8aa3b, v68 :: v_dual_mul_f32 v99, 0x3fb8aa3b, v99
	s_waitcnt lgkmcnt(1)
	v_fma_f32 v68, v100, v97, 0
	s_delay_alu instid0(VALU_DEP_2) | instskip(NEXT) | instid1(VALU_DEP_2)
	v_exp_f32_e32 v102, v102
	v_exp_f32_e32 v99, v99
	s_waitcnt_depctr 0xfff
	v_fmac_f32_e32 v68, v99, v98
	v_sub_f32_e32 v91, v91, v67
	s_delay_alu instid0(VALU_DEP_1)
	v_mul_f32_e32 v101, 0x3fb8aa3b, v91
	ds_load_2addr_b32 v[91:92], v82 offset0:204 offset1:221
	v_sub_f32_e32 v97, v94, v67
	ds_load_2addr_b32 v[93:94], v82 offset0:238 offset1:255
	s_waitcnt lgkmcnt(0)
	v_exp_f32_e32 v101, v101
	s_barrier
	buffer_gl0_inv
	v_dual_fmac_f32 v68, v101, v89 :: v_dual_sub_f32 v89, v96, v67
	v_dual_sub_f32 v82, v95, v67 :: v_dual_mul_f32 v95, 0x3fb8aa3b, v97
	v_exp_f32_e32 v97, v103
	s_delay_alu instid0(VALU_DEP_2) | instskip(NEXT) | instid1(VALU_DEP_2)
	v_dual_fmac_f32 v68, v102, v90 :: v_dual_mul_f32 v89, 0x3fb8aa3b, v89
	v_mul_f32_e32 v82, 0x3fb8aa3b, v82
	s_delay_alu instid0(VALU_DEP_3) | instskip(NEXT) | instid1(VALU_DEP_2)
	v_exp_f32_e32 v95, v95
	v_exp_f32_e32 v89, v89
	s_delay_alu instid0(VALU_DEP_1)
	v_exp_f32_e32 v82, v82
	v_fmac_f32_e32 v68, v97, v91
	s_delay_alu instid0(TRANS32_DEP_3) | instid1(VALU_DEP_1)
	v_fmac_f32_e32 v68, v95, v92
	s_waitcnt_depctr 0xfff
	v_fmac_f32_e32 v68, v82, v93
	s_delay_alu instid0(VALU_DEP_1) | instskip(NEXT) | instid1(VALU_DEP_1)
	v_fmac_f32_e32 v68, v89, v94
	v_add_f32_e32 v90, 0x358637bd, v68
	s_delay_alu instid0(VALU_DEP_1) | instskip(NEXT) | instid1(VALU_DEP_1)
	v_div_scale_f32 v91, null, v90, v90, 1.0
	v_rcp_f32_e32 v92, v91
	s_waitcnt_depctr 0xfff
	v_fma_f32 v93, -v91, v92, 1.0
	s_delay_alu instid0(VALU_DEP_1) | instskip(SKIP_1) | instid1(VALU_DEP_2)
	v_dual_fmac_f32 v92, v93, v92 :: v_dual_cndmask_b32 v93, v100, v99
	v_cmp_eq_u32_e32 vcc_lo, 3, v66
	v_cndmask_b32_e64 v93, v93, v101, s3
	v_cmp_eq_u32_e64 s3, 4, v66
	s_delay_alu instid0(VALU_DEP_2) | instskip(SKIP_1) | instid1(VALU_DEP_2)
	v_cndmask_b32_e32 v93, v93, v102, vcc_lo
	v_cmp_eq_u32_e32 vcc_lo, 5, v66
	v_cndmask_b32_e64 v93, v93, v97, s3
	v_cmp_eq_u32_e64 s3, 6, v66
	s_delay_alu instid0(VALU_DEP_2) | instskip(SKIP_1) | instid1(VALU_DEP_1)
	v_cndmask_b32_e32 v93, v93, v95, vcc_lo
	v_div_scale_f32 v94, s4, 1.0, v90, 1.0
	s_mov_b32 vcc_lo, s4
	s_delay_alu instid0(VALU_DEP_2) | instskip(NEXT) | instid1(VALU_DEP_2)
	v_cndmask_b32_e64 v82, v93, v82, s3
	v_mul_f32_e32 v96, v94, v92
	s_mov_b32 s3, exec_lo
	s_delay_alu instid0(VALU_DEP_2) | instskip(NEXT) | instid1(VALU_DEP_2)
	v_cndmask_b32_e64 v82, v82, v89, s5
	v_fma_f32 v98, -v91, v96, v94
	s_delay_alu instid0(VALU_DEP_1) | instskip(NEXT) | instid1(VALU_DEP_1)
	v_fmac_f32_e32 v96, v98, v92
	v_fma_f32 v91, -v91, v96, v94
	s_delay_alu instid0(VALU_DEP_1) | instskip(NEXT) | instid1(VALU_DEP_1)
	v_div_fmas_f32 v91, v91, v92, v96
	v_div_fixup_f32 v90, v91, v90, 1.0
	s_delay_alu instid0(VALU_DEP_1) | instskip(NEXT) | instid1(VALU_DEP_1)
	v_mul_f32_e32 v82, v82, v90
	v_mul_f32_e32 v87, v82, v87
	v_mul_f32_e32 v90, v82, v80
	v_mul_f32_e32 v80, v82, v88
	v_mul_f32_e32 v84, v82, v84
	v_mul_f32_e32 v88, v82, v86
	v_mul_f32_e32 v89, v82, v85
	v_dual_mul_f32 v86, v82, v83 :: v_dual_and_b32 v91, 0x7f800000, v90
	v_mul_f32_e32 v85, v82, v76
                                        ; implicit-def: $vgpr76
	s_delay_alu instid0(VALU_DEP_2)
	v_cmpx_ne_u32_e32 0x7f800000, v91
	s_xor_b32 s3, exec_lo, s3
; %bb.13:
	v_bfe_u32 v76, v90, 16, 1
	s_delay_alu instid0(VALU_DEP_1)
	v_add3_u32 v76, v90, v76, 0x7fff
                                        ; implicit-def: $vgpr90
; %bb.14:
	s_and_not1_saveexec_b32 s3, s3
; %bb.15:
	v_and_b32_e32 v76, 0xffff, v90
	v_or_b32_e32 v83, 0x10000, v90
	s_delay_alu instid0(VALU_DEP_2) | instskip(NEXT) | instid1(VALU_DEP_2)
	v_cmp_eq_u32_e32 vcc_lo, 0, v76
	v_cndmask_b32_e32 v76, v83, v90, vcc_lo
; %bb.16:
	s_or_b32 exec_lo, exec_lo, s3
	v_and_b32_e32 v83, 0x7f800000, v85
	s_delay_alu instid0(VALU_DEP_1) | instskip(SKIP_1) | instid1(SALU_CYCLE_1)
	v_cmp_ne_u32_e32 vcc_lo, 0x7f800000, v83
                                        ; implicit-def: $vgpr83
	s_and_saveexec_b32 s3, vcc_lo
	s_xor_b32 s3, exec_lo, s3
; %bb.17:
	v_bfe_u32 v83, v85, 16, 1
	s_delay_alu instid0(VALU_DEP_1)
	v_add3_u32 v83, v85, v83, 0x7fff
                                        ; implicit-def: $vgpr85
; %bb.18:
	s_and_not1_saveexec_b32 s3, s3
; %bb.19:
	v_and_b32_e32 v83, 0xffff, v85
	v_or_b32_e32 v90, 0x10000, v85
	s_delay_alu instid0(VALU_DEP_2) | instskip(NEXT) | instid1(VALU_DEP_2)
	v_cmp_eq_u32_e32 vcc_lo, 0, v83
	v_cndmask_b32_e32 v83, v90, v85, vcc_lo
; %bb.20:
	s_or_b32 exec_lo, exec_lo, s3
	v_and_b32_e32 v85, 0x7f800000, v86
	s_delay_alu instid0(VALU_DEP_1) | instskip(SKIP_1) | instid1(SALU_CYCLE_1)
	v_cmp_ne_u32_e32 vcc_lo, 0x7f800000, v85
                                        ; implicit-def: $vgpr85
	s_and_saveexec_b32 s3, vcc_lo
	s_xor_b32 s3, exec_lo, s3
; %bb.21:
	v_bfe_u32 v85, v86, 16, 1
	s_delay_alu instid0(VALU_DEP_1)
	v_add3_u32 v85, v86, v85, 0x7fff
                                        ; implicit-def: $vgpr86
; %bb.22:
	s_and_not1_saveexec_b32 s3, s3
; %bb.23:
	v_and_b32_e32 v85, 0xffff, v86
	v_or_b32_e32 v90, 0x10000, v86
	s_delay_alu instid0(VALU_DEP_2) | instskip(NEXT) | instid1(VALU_DEP_2)
	v_cmp_eq_u32_e32 vcc_lo, 0, v85
	v_cndmask_b32_e32 v85, v90, v86, vcc_lo
; %bb.24:
	s_or_b32 exec_lo, exec_lo, s3
	v_and_b32_e32 v86, 0x7f800000, v89
	s_delay_alu instid0(VALU_DEP_1) | instskip(SKIP_1) | instid1(SALU_CYCLE_1)
	v_cmp_ne_u32_e32 vcc_lo, 0x7f800000, v86
                                        ; implicit-def: $vgpr86
	s_and_saveexec_b32 s3, vcc_lo
	s_xor_b32 s3, exec_lo, s3
; %bb.25:
	v_bfe_u32 v86, v89, 16, 1
	s_delay_alu instid0(VALU_DEP_1)
	v_add3_u32 v86, v89, v86, 0x7fff
                                        ; implicit-def: $vgpr89
; %bb.26:
	s_and_not1_saveexec_b32 s3, s3
; %bb.27:
	v_and_b32_e32 v86, 0xffff, v89
	v_or_b32_e32 v90, 0x10000, v89
	s_delay_alu instid0(VALU_DEP_2) | instskip(NEXT) | instid1(VALU_DEP_2)
	v_cmp_eq_u32_e32 vcc_lo, 0, v86
	v_cndmask_b32_e32 v86, v90, v89, vcc_lo
; %bb.28:
	s_or_b32 exec_lo, exec_lo, s3
	v_and_b32_e32 v89, 0x7f800000, v88
	s_delay_alu instid0(VALU_DEP_1) | instskip(SKIP_1) | instid1(SALU_CYCLE_1)
	v_cmp_ne_u32_e32 vcc_lo, 0x7f800000, v89
                                        ; implicit-def: $vgpr89
	s_and_saveexec_b32 s3, vcc_lo
	s_xor_b32 s3, exec_lo, s3
; %bb.29:
	v_bfe_u32 v89, v88, 16, 1
	s_delay_alu instid0(VALU_DEP_1)
	v_add3_u32 v89, v88, v89, 0x7fff
                                        ; implicit-def: $vgpr88
; %bb.30:
	s_and_not1_saveexec_b32 s3, s3
; %bb.31:
	v_and_b32_e32 v89, 0xffff, v88
	v_or_b32_e32 v90, 0x10000, v88
	s_delay_alu instid0(VALU_DEP_2) | instskip(NEXT) | instid1(VALU_DEP_2)
	v_cmp_eq_u32_e32 vcc_lo, 0, v89
	v_cndmask_b32_e32 v89, v90, v88, vcc_lo
; %bb.32:
	s_or_b32 exec_lo, exec_lo, s3
	v_and_b32_e32 v88, 0x7f800000, v87
	s_delay_alu instid0(VALU_DEP_1) | instskip(SKIP_1) | instid1(SALU_CYCLE_1)
	v_cmp_ne_u32_e32 vcc_lo, 0x7f800000, v88
                                        ; implicit-def: $vgpr88
	s_and_saveexec_b32 s3, vcc_lo
	s_xor_b32 s3, exec_lo, s3
; %bb.33:
	v_bfe_u32 v88, v87, 16, 1
	s_delay_alu instid0(VALU_DEP_1)
	v_add3_u32 v88, v87, v88, 0x7fff
                                        ; implicit-def: $vgpr87
; %bb.34:
	s_and_not1_saveexec_b32 s3, s3
; %bb.35:
	v_and_b32_e32 v88, 0xffff, v87
	v_or_b32_e32 v90, 0x10000, v87
	s_delay_alu instid0(VALU_DEP_2) | instskip(NEXT) | instid1(VALU_DEP_2)
	v_cmp_eq_u32_e32 vcc_lo, 0, v88
	v_cndmask_b32_e32 v88, v90, v87, vcc_lo
; %bb.36:
	s_or_b32 exec_lo, exec_lo, s3
	v_and_b32_e32 v87, 0x7f800000, v84
	s_delay_alu instid0(VALU_DEP_1) | instskip(SKIP_1) | instid1(SALU_CYCLE_1)
	v_cmp_ne_u32_e32 vcc_lo, 0x7f800000, v87
                                        ; implicit-def: $vgpr87
	s_and_saveexec_b32 s3, vcc_lo
	s_xor_b32 s3, exec_lo, s3
; %bb.37:
	v_bfe_u32 v87, v84, 16, 1
	s_delay_alu instid0(VALU_DEP_1)
	v_add3_u32 v87, v84, v87, 0x7fff
                                        ; implicit-def: $vgpr84
; %bb.38:
	s_and_not1_saveexec_b32 s3, s3
; %bb.39:
	v_and_b32_e32 v87, 0xffff, v84
	v_or_b32_e32 v90, 0x10000, v84
	s_delay_alu instid0(VALU_DEP_2) | instskip(NEXT) | instid1(VALU_DEP_2)
	v_cmp_eq_u32_e32 vcc_lo, 0, v87
	v_cndmask_b32_e32 v87, v90, v84, vcc_lo
; %bb.40:
	s_or_b32 exec_lo, exec_lo, s3
	v_and_b32_e32 v84, 0x7f800000, v80
	s_delay_alu instid0(VALU_DEP_1) | instskip(SKIP_1) | instid1(SALU_CYCLE_1)
	v_cmp_ne_u32_e32 vcc_lo, 0x7f800000, v84
                                        ; implicit-def: $vgpr84
	s_and_saveexec_b32 s3, vcc_lo
	s_xor_b32 s3, exec_lo, s3
; %bb.41:
	v_bfe_u32 v84, v80, 16, 1
	s_delay_alu instid0(VALU_DEP_1)
	v_add3_u32 v84, v80, v84, 0x7fff
                                        ; implicit-def: $vgpr80
; %bb.42:
	s_and_not1_saveexec_b32 s3, s3
; %bb.43:
	v_and_b32_e32 v84, 0xffff, v80
	v_or_b32_e32 v90, 0x10000, v80
	s_delay_alu instid0(VALU_DEP_2) | instskip(NEXT) | instid1(VALU_DEP_2)
	v_cmp_eq_u32_e32 vcc_lo, 0, v84
	v_cndmask_b32_e32 v84, v90, v80, vcc_lo
; %bb.44:
	s_or_b32 exec_lo, exec_lo, s3
	s_load_b64 s[34:35], s[0:1], 0x94
	v_lshlrev_b32_e32 v91, 4, v74
	s_delay_alu instid0(VALU_DEP_2)
	v_perm_b32 v90, v84, v87, 0x7060302
	v_dual_mul_f32 v79, v82, v79 :: v_dual_lshlrev_b32 v80, 6, v65
	v_dual_mul_f32 v77, v82, v77 :: v_dual_lshlrev_b32 v92, 11, v66
	v_mul_f32_e32 v84, v82, v70
	v_perm_b32 v89, v88, v89, 0x7060302
	v_perm_b32 v88, v86, v85, 0x7060302
	;; [unrolled: 1-line block ×3, first 2 shown]
	v_mul_f32_e32 v70, v82, v81
	v_or3_b32 v76, v91, v92, v80
	v_dual_mul_f32 v78, v82, v78 :: v_dual_and_b32 v85, 0x7f800000, v84
	v_mul_f32_e32 v83, v82, v72
	v_mul_f32_e32 v81, v82, v71
	;; [unrolled: 1-line block ×3, first 2 shown]
	s_mov_b32 s3, exec_lo
	ds_store_b128 v76, v[87:90]
                                        ; implicit-def: $vgpr69
	v_cmpx_ne_u32_e32 0x7f800000, v85
	s_xor_b32 s3, exec_lo, s3
; %bb.45:
	v_bfe_u32 v69, v84, 16, 1
	s_delay_alu instid0(VALU_DEP_1)
	v_add3_u32 v69, v84, v69, 0x7fff
                                        ; implicit-def: $vgpr84
; %bb.46:
	s_and_not1_saveexec_b32 s3, s3
; %bb.47:
	v_and_b32_e32 v69, 0xffff, v84
	v_or_b32_e32 v71, 0x10000, v84
	s_delay_alu instid0(VALU_DEP_2) | instskip(NEXT) | instid1(VALU_DEP_2)
	v_cmp_eq_u32_e32 vcc_lo, 0, v69
	v_cndmask_b32_e32 v69, v71, v84, vcc_lo
; %bb.48:
	s_or_b32 exec_lo, exec_lo, s3
	v_and_b32_e32 v71, 0x7f800000, v72
	s_delay_alu instid0(VALU_DEP_1) | instskip(SKIP_1) | instid1(SALU_CYCLE_1)
	v_cmp_ne_u32_e32 vcc_lo, 0x7f800000, v71
                                        ; implicit-def: $vgpr71
	s_and_saveexec_b32 s3, vcc_lo
	s_xor_b32 s3, exec_lo, s3
; %bb.49:
	v_bfe_u32 v71, v72, 16, 1
	s_delay_alu instid0(VALU_DEP_1)
	v_add3_u32 v71, v72, v71, 0x7fff
                                        ; implicit-def: $vgpr72
; %bb.50:
	s_and_not1_saveexec_b32 s3, s3
; %bb.51:
	v_and_b32_e32 v71, 0xffff, v72
	v_or_b32_e32 v82, 0x10000, v72
	s_delay_alu instid0(VALU_DEP_2) | instskip(NEXT) | instid1(VALU_DEP_2)
	v_cmp_eq_u32_e32 vcc_lo, 0, v71
	v_cndmask_b32_e32 v71, v82, v72, vcc_lo
; %bb.52:
	s_or_b32 exec_lo, exec_lo, s3
	v_and_b32_e32 v72, 0x7f800000, v81
	s_delay_alu instid0(VALU_DEP_1) | instskip(SKIP_1) | instid1(SALU_CYCLE_1)
	v_cmp_ne_u32_e32 vcc_lo, 0x7f800000, v72
                                        ; implicit-def: $vgpr72
	s_and_saveexec_b32 s3, vcc_lo
	s_xor_b32 s3, exec_lo, s3
; %bb.53:
	v_bfe_u32 v72, v81, 16, 1
	s_delay_alu instid0(VALU_DEP_1)
	v_add3_u32 v72, v81, v72, 0x7fff
                                        ; implicit-def: $vgpr81
; %bb.54:
	s_and_not1_saveexec_b32 s3, s3
; %bb.55:
	v_and_b32_e32 v72, 0xffff, v81
	v_or_b32_e32 v82, 0x10000, v81
	s_delay_alu instid0(VALU_DEP_2) | instskip(NEXT) | instid1(VALU_DEP_2)
	v_cmp_eq_u32_e32 vcc_lo, 0, v72
	v_cndmask_b32_e32 v72, v82, v81, vcc_lo
; %bb.56:
	s_or_b32 exec_lo, exec_lo, s3
	v_and_b32_e32 v81, 0x7f800000, v83
	s_delay_alu instid0(VALU_DEP_1) | instskip(SKIP_1) | instid1(SALU_CYCLE_1)
	v_cmp_ne_u32_e32 vcc_lo, 0x7f800000, v81
                                        ; implicit-def: $vgpr81
	s_and_saveexec_b32 s3, vcc_lo
	s_xor_b32 s3, exec_lo, s3
; %bb.57:
	v_bfe_u32 v81, v83, 16, 1
	s_delay_alu instid0(VALU_DEP_1)
	v_add3_u32 v81, v83, v81, 0x7fff
                                        ; implicit-def: $vgpr83
; %bb.58:
	s_and_not1_saveexec_b32 s3, s3
; %bb.59:
	v_and_b32_e32 v81, 0xffff, v83
	v_or_b32_e32 v82, 0x10000, v83
	s_delay_alu instid0(VALU_DEP_2) | instskip(NEXT) | instid1(VALU_DEP_2)
	v_cmp_eq_u32_e32 vcc_lo, 0, v81
	v_cndmask_b32_e32 v81, v82, v83, vcc_lo
; %bb.60:
	s_or_b32 exec_lo, exec_lo, s3
	v_and_b32_e32 v82, 0x7f800000, v77
	s_delay_alu instid0(VALU_DEP_1) | instskip(SKIP_1) | instid1(SALU_CYCLE_1)
	v_cmp_ne_u32_e32 vcc_lo, 0x7f800000, v82
                                        ; implicit-def: $vgpr82
	s_and_saveexec_b32 s3, vcc_lo
	s_xor_b32 s3, exec_lo, s3
; %bb.61:
	v_bfe_u32 v82, v77, 16, 1
	s_delay_alu instid0(VALU_DEP_1)
	v_add3_u32 v82, v77, v82, 0x7fff
                                        ; implicit-def: $vgpr77
; %bb.62:
	s_and_not1_saveexec_b32 s3, s3
; %bb.63:
	v_and_b32_e32 v82, 0xffff, v77
	v_or_b32_e32 v83, 0x10000, v77
	s_delay_alu instid0(VALU_DEP_2) | instskip(NEXT) | instid1(VALU_DEP_2)
	v_cmp_eq_u32_e32 vcc_lo, 0, v82
	v_cndmask_b32_e32 v82, v83, v77, vcc_lo
; %bb.64:
	s_or_b32 exec_lo, exec_lo, s3
	v_and_b32_e32 v77, 0x7f800000, v78
	s_delay_alu instid0(VALU_DEP_1) | instskip(SKIP_1) | instid1(SALU_CYCLE_1)
	v_cmp_ne_u32_e32 vcc_lo, 0x7f800000, v77
                                        ; implicit-def: $vgpr77
	s_and_saveexec_b32 s3, vcc_lo
	s_xor_b32 s3, exec_lo, s3
; %bb.65:
	v_bfe_u32 v77, v78, 16, 1
	s_delay_alu instid0(VALU_DEP_1)
	v_add3_u32 v77, v78, v77, 0x7fff
                                        ; implicit-def: $vgpr78
; %bb.66:
	s_and_not1_saveexec_b32 s3, s3
; %bb.67:
	v_and_b32_e32 v77, 0xffff, v78
	v_or_b32_e32 v83, 0x10000, v78
	s_delay_alu instid0(VALU_DEP_2) | instskip(NEXT) | instid1(VALU_DEP_2)
	v_cmp_eq_u32_e32 vcc_lo, 0, v77
	v_cndmask_b32_e32 v77, v83, v78, vcc_lo
; %bb.68:
	s_or_b32 exec_lo, exec_lo, s3
	v_and_b32_e32 v78, 0x7f800000, v79
	s_delay_alu instid0(VALU_DEP_1) | instskip(SKIP_1) | instid1(SALU_CYCLE_1)
	v_cmp_ne_u32_e32 vcc_lo, 0x7f800000, v78
                                        ; implicit-def: $vgpr78
	s_and_saveexec_b32 s3, vcc_lo
	s_xor_b32 s3, exec_lo, s3
; %bb.69:
	v_bfe_u32 v78, v79, 16, 1
	s_delay_alu instid0(VALU_DEP_1)
	v_add3_u32 v78, v79, v78, 0x7fff
                                        ; implicit-def: $vgpr79
; %bb.70:
	s_and_not1_saveexec_b32 s3, s3
; %bb.71:
	v_and_b32_e32 v78, 0xffff, v79
	v_or_b32_e32 v83, 0x10000, v79
	s_delay_alu instid0(VALU_DEP_2) | instskip(NEXT) | instid1(VALU_DEP_2)
	v_cmp_eq_u32_e32 vcc_lo, 0, v78
	v_cndmask_b32_e32 v78, v83, v79, vcc_lo
; %bb.72:
	s_or_b32 exec_lo, exec_lo, s3
	v_and_b32_e32 v79, 0x7f800000, v70
	s_delay_alu instid0(VALU_DEP_1) | instskip(SKIP_1) | instid1(SALU_CYCLE_1)
	v_cmp_ne_u32_e32 vcc_lo, 0x7f800000, v79
                                        ; implicit-def: $vgpr79
	s_and_saveexec_b32 s3, vcc_lo
	s_xor_b32 s3, exec_lo, s3
; %bb.73:
	v_bfe_u32 v79, v70, 16, 1
	s_delay_alu instid0(VALU_DEP_1)
	v_add3_u32 v79, v70, v79, 0x7fff
                                        ; implicit-def: $vgpr70
; %bb.74:
	s_and_not1_saveexec_b32 s3, s3
; %bb.75:
	v_and_b32_e32 v79, 0xffff, v70
	v_or_b32_e32 v83, 0x10000, v70
	s_delay_alu instid0(VALU_DEP_2) | instskip(NEXT) | instid1(VALU_DEP_2)
	v_cmp_eq_u32_e32 vcc_lo, 0, v79
	v_cndmask_b32_e32 v79, v83, v70, vcc_lo
; %bb.76:
	s_or_b32 exec_lo, exec_lo, s3
	s_delay_alu instid0(VALU_DEP_1)
	v_perm_b32 v86, v79, v78, 0x7060302
	v_perm_b32 v85, v77, v82, 0x7060302
	;; [unrolled: 1-line block ×4, first 2 shown]
	v_lshl_or_b32 v82, v66, 11, v80
	ds_store_b128 v76, v[83:86] offset:1024
	s_waitcnt lgkmcnt(0)
	s_barrier
	buffer_gl0_inv
	ds_load_b128 v[69:72], v82
	ds_load_b128 v[83:86], v82 offset:16
	s_waitcnt lgkmcnt(1)
	v_lshrrev_b32_e32 v66, 16, v69
	s_waitcnt lgkmcnt(0)
	v_lshrrev_b32_e32 v91, 16, v83
	v_lshlrev_b32_e32 v78, 2, v74
	v_lshrrev_b32_e32 v95, 16, v70
	v_lshrrev_b32_e32 v98, 16, v84
	;; [unrolled: 1-line block ×4, first 2 shown]
	v_cmp_eq_u32_e32 vcc_lo, 1, v78
	v_lshrrev_b32_e32 v97, 16, v72
	v_lshrrev_b32_e32 v100, 16, v86
	v_cndmask_b32_e32 v87, v83, v91, vcc_lo
	v_or_b32_e32 v79, 1, v78
	v_cndmask_b32_e32 v81, v69, v66, vcc_lo
	v_cmp_eq_u32_e64 s4, 2, v78
	v_cmp_eq_u32_e64 s7, 3, v78
	;; [unrolled: 1-line block ×5, first 2 shown]
	v_cndmask_b32_e64 v81, v81, v70, s4
	v_cndmask_b32_e64 v87, v87, v84, s4
	v_cmp_eq_u32_e64 s8, 3, v79
	v_cndmask_b32_e64 v88, v69, v66, s3
	v_or_b32_e32 v77, 2, v78
	v_cndmask_b32_e64 v81, v81, v95, s7
	v_cndmask_b32_e64 v87, v87, v98, s7
	;; [unrolled: 1-line block ×4, first 2 shown]
	v_cmp_eq_u32_e64 s10, 5, v78
	v_cndmask_b32_e64 v81, v81, v71, s9
	v_cndmask_b32_e64 v87, v87, v85, s9
	v_cmp_eq_u32_e64 s11, 4, v79
	v_cndmask_b32_e64 v88, v88, v95, s8
	v_cmp_eq_u32_e64 s5, 1, v77
	v_cndmask_b32_e64 v89, v89, v84, s6
	v_cndmask_b32_e64 v81, v81, v96, s10
	v_cmp_eq_u32_e64 s12, 6, v78
	v_cndmask_b32_e64 v88, v88, v71, s11
	;; [unrolled: 3-line block ×3, first 2 shown]
	v_cndmask_b32_e64 v89, v89, v98, s8
	v_cndmask_b32_e64 v81, v81, v72, s12
	v_cmp_eq_u32_e64 s15, 7, v78
	v_cndmask_b32_e64 v88, v88, v96, s13
	v_cndmask_b32_e64 v87, v87, v86, s12
	v_cmp_eq_u32_e64 s16, 6, v79
	v_cmp_eq_u32_e64 s17, 2, v77
	v_cndmask_b32_e64 v89, v89, v85, s11
	v_cndmask_b32_e64 v101, v81, v97, s15
	;; [unrolled: 1-line block ×6, first 2 shown]
	v_cmp_eq_u32_e64 s18, 7, v79
	v_cmp_eq_u32_e64 s19, 3, v77
	v_cmp_eq_u32_e64 s20, 4, v77
	v_cmp_eq_u32_e64 s22, 5, v77
	v_cndmask_b32_e64 v87, v87, v84, s17
	v_cndmask_b32_e64 v103, v88, v97, s18
	;; [unrolled: 1-line block ×4, first 2 shown]
	v_or_b32_e32 v81, 3, v78
	v_cndmask_b32_e64 v93, v87, v98, s19
	v_cmp_eq_u32_e64 s24, 6, v77
	v_cndmask_b32_e64 v104, v88, v86, s16
	v_cndmask_b32_e64 v92, v89, v71, s20
	v_cmp_eq_u32_e64 s21, 1, v81
	ds_load_b128 v[87:90], v82 offset:1024
	v_cmp_eq_u32_e64 s23, 2, v81
	v_cmp_eq_u32_e64 s25, 3, v81
	v_cndmask_b32_e64 v105, v92, v96, s22
	v_cndmask_b32_e64 v66, v69, v66, s21
	;; [unrolled: 1-line block ×4, first 2 shown]
	ds_load_b128 v[91:94], v82 offset:1040
	v_cmp_eq_u32_e64 s26, 4, v81
	v_cndmask_b32_e64 v66, v66, v70, s23
	v_cmp_eq_u32_e64 s27, 7, v77
	v_cndmask_b32_e64 v70, v83, v84, s23
	v_cndmask_b32_e64 v84, v105, v72, s24
	v_cmp_eq_u32_e64 s28, 5, v81
	v_cndmask_b32_e64 v66, v66, v95, s25
	v_cmp_eq_u32_e64 s29, 6, v81
	v_cndmask_b32_e64 v70, v70, v98, s25
	v_cndmask_b32_e64 v69, v69, v99, s22
	;; [unrolled: 1-line block ×4, first 2 shown]
	s_waitcnt lgkmcnt(1)
	v_lshrrev_b32_e32 v95, 16, v87
	v_cndmask_b32_e64 v70, v70, v85, s26
	v_cndmask_b32_e64 v71, v84, v97, s27
	;; [unrolled: 1-line block ×4, first 2 shown]
	v_cndmask_b32_e32 v84, v87, v95, vcc_lo
	v_cndmask_b32_e64 v70, v70, v99, s28
	s_waitcnt lgkmcnt(0)
	v_lshrrev_b32_e32 v85, 16, v91
	v_lshrrev_b32_e32 v96, 16, v88
	v_cndmask_b32_e64 v98, v87, v95, s3
	v_cndmask_b32_e64 v84, v84, v88, s4
	;; [unrolled: 1-line block ×3, first 2 shown]
	v_cndmask_b32_e32 v99, v91, v85, vcc_lo
	v_cmp_eq_u32_e32 vcc_lo, 7, v81
	v_cndmask_b32_e64 v66, v66, v72, s29
	v_cndmask_b32_e64 v72, v84, v96, s7
	;; [unrolled: 1-line block ×3, first 2 shown]
	v_lshrrev_b32_e32 v98, 16, v92
	v_cndmask_b32_e32 v70, v70, v100, vcc_lo
	v_cndmask_b32_e64 v86, v99, v92, s4
	v_cndmask_b32_e64 v69, v69, v100, s27
	v_lshrrev_b32_e32 v100, 16, v93
	v_cndmask_b32_e64 v72, v72, v89, s9
	v_lshrrev_b32_e32 v99, 16, v89
	v_cndmask_b32_e64 v86, v86, v98, s7
	v_perm_b32 v71, v69, v71, 0x5040100
	v_cndmask_b32_e64 v84, v84, v96, s8
	s_delay_alu instid0(VALU_DEP_3) | instskip(NEXT) | instid1(VALU_DEP_2)
	v_cndmask_b32_e64 v86, v86, v93, s9
	v_cndmask_b32_e64 v84, v84, v89, s11
	s_delay_alu instid0(VALU_DEP_2) | instskip(NEXT) | instid1(VALU_DEP_1)
	v_cndmask_b32_e64 v86, v86, v100, s10
	v_cndmask_b32_e64 v69, v86, v94, s12
	;; [unrolled: 1-line block ×5, first 2 shown]
	s_delay_alu instid0(VALU_DEP_3) | instskip(NEXT) | instid1(VALU_DEP_3)
	v_cndmask_b32_e64 v86, v86, v88, s17
	v_cndmask_b32_e64 v87, v87, v88, s23
	s_delay_alu instid0(VALU_DEP_3) | instskip(NEXT) | instid1(VALU_DEP_3)
	v_cndmask_b32_e64 v88, v95, v92, s23
	v_cndmask_b32_e64 v86, v86, v96, s19
	;; [unrolled: 3-line block ×7, first 2 shown]
	s_delay_alu instid0(VALU_DEP_3) | instskip(SKIP_2) | instid1(VALU_DEP_2)
	v_cndmask_b32_e64 v88, v88, v94, s29
	v_cndmask_b32_e32 v66, v66, v97, vcc_lo
	v_cndmask_b32_e64 v97, v72, v99, s10
	v_perm_b32 v72, v70, v66, 0x5040100
	v_perm_b32 v70, v83, v103, 0x5040100
	v_cndmask_b32_e64 v103, v91, v85, s5
	v_cndmask_b32_e64 v85, v91, v85, s3
	;; [unrolled: 1-line block ×4, first 2 shown]
	v_lshrrev_b32_e32 v97, 16, v90
	v_cndmask_b32_e64 v91, v103, v92, s17
	v_cndmask_b32_e64 v85, v85, v92, s6
	;; [unrolled: 1-line block ×3, first 2 shown]
	s_mov_b32 s3, exec_lo
	v_cndmask_b32_e64 v83, v84, v97, s15
	v_cndmask_b32_e64 v91, v91, v98, s19
	;; [unrolled: 1-line block ×3, first 2 shown]
	v_lshrrev_b32_e32 v84, 16, v94
	v_cndmask_b32_e64 v66, v66, v97, s18
	v_cndmask_b32_e64 v90, v86, v97, s27
	;; [unrolled: 1-line block ×4, first 2 shown]
	v_dual_cndmask_b32 v86, v87, v97 :: v_dual_cndmask_b32 v87, v88, v84
	v_cndmask_b32_e64 v91, v69, v84, s15
	s_delay_alu instid0(VALU_DEP_4) | instskip(NEXT) | instid1(VALU_DEP_4)
	v_cndmask_b32_e64 v89, v89, v100, s22
	v_cndmask_b32_e64 v85, v85, v100, s13
	v_perm_b32 v69, v102, v101, 0x5040100
	v_perm_b32 v86, v87, v86, 0x5040100
	;; [unrolled: 1-line block ×3, first 2 shown]
	v_cndmask_b32_e64 v89, v89, v94, s24
	v_cndmask_b32_e64 v85, v85, v94, s16
	s_mul_i32 s8, s35, 15
	s_delay_alu instid0(VALU_DEP_2) | instskip(NEXT) | instid1(VALU_DEP_2)
	v_cndmask_b32_e64 v88, v89, v84, s27
	v_cndmask_b32_e64 v89, v85, v84, s18
	s_delay_alu instid0(VALU_DEP_2) | instskip(NEXT) | instid1(VALU_DEP_2)
	v_perm_b32 v85, v88, v90, 0x5040100
	v_perm_b32 v84, v89, v66, 0x5040100
	ds_store_b128 v76, v[69:72]
	ds_store_b128 v76, v[83:86] offset:1024
	v_cmpx_gt_u32_e32 15, v0
	s_cbranch_execz .LBB1560_78
; %bb.77:
	s_mul_i32 s4, s8, s30
	s_delay_alu instid0(SALU_CYCLE_1) | instskip(SKIP_1) | instid1(VALU_DEP_1)
	v_add3_u32 v69, s4, s31, v65
	s_load_b128 s[4:7], s[0:1], 0x58
	v_mad_u64_u32 v[65:66], null, v69, s34, s[14:15]
	s_delay_alu instid0(VALU_DEP_1) | instskip(NEXT) | instid1(VALU_DEP_1)
	v_ashrrev_i32_e32 v66, 31, v65
	v_lshlrev_b64 v[65:66], 2, v[65:66]
	s_waitcnt lgkmcnt(0)
	s_delay_alu instid0(VALU_DEP_1) | instskip(NEXT) | instid1(VALU_DEP_2)
	v_add_co_u32 v69, vcc_lo, s6, v65
	v_add_co_ci_u32_e32 v70, vcc_lo, s7, v66, vcc_lo
	v_add_co_u32 v65, vcc_lo, s4, v65
	v_add_co_ci_u32_e32 v66, vcc_lo, s5, v66, vcc_lo
	global_store_b32 v[69:70], v67, off
	global_store_b32 v[65:66], v68, off
.LBB1560_78:
	s_or_b32 exec_lo, exec_lo, s3
	s_waitcnt lgkmcnt(0)
	s_waitcnt_vscnt null, 0x0
	s_barrier
	buffer_gl0_inv
	ds_load_b128 v[83:86], v80
	ds_load_b128 v[87:90], v80 offset:16
	ds_load_b128 v[95:98], v80 offset:2064
	;; [unrolled: 1-line block ×3, first 2 shown]
	v_mov_b32_e32 v65, 0
	ds_load_b128 v[103:106], v80 offset:4112
	ds_load_b128 v[99:102], v80 offset:4096
	;; [unrolled: 1-line block ×4, first 2 shown]
	v_mov_b32_e32 v66, v65
	v_mov_b32_e32 v67, v65
	;; [unrolled: 1-line block ×7, first 2 shown]
	s_waitcnt lgkmcnt(6)
	s_delay_alu instid0(VALU_DEP_1)
	v_wmma_f32_16x16x16_bf16 v[65:72], v[49:56], v[83:90], v[65:72]
	ds_load_b128 v[53:56], v80 offset:8208
	ds_load_b128 v[49:52], v80 offset:8192
	s_waitcnt lgkmcnt(6)
	v_wmma_f32_16x16x16_bf16 v[65:72], v[41:48], v[91:98], v[65:72]
	ds_load_b128 v[45:48], v80 offset:10256
	ds_load_b128 v[41:44], v80 offset:10240
	s_waitcnt lgkmcnt(6)
	;; [unrolled: 4-line block ×4, first 2 shown]
	v_wmma_f32_16x16x16_bf16 v[65:72], v[1:8], v[49:56], v[65:72]
	s_waitcnt lgkmcnt(4)
	s_delay_alu instid0(VALU_DEP_1) | instskip(SKIP_1) | instid1(VALU_DEP_1)
	v_wmma_f32_16x16x16_bf16 v[65:72], v[9:16], v[41:48], v[65:72]
	s_waitcnt lgkmcnt(2)
	v_wmma_f32_16x16x16_bf16 v[65:72], v[17:24], v[33:40], v[65:72]
	s_waitcnt lgkmcnt(0)
	s_delay_alu instid0(VALU_DEP_1) | instskip(NEXT) | instid1(VALU_DEP_1)
	v_wmma_f32_16x16x16_bf16 v[65:72], v[57:64], v[25:32], v[65:72]
	v_and_b32_e32 v1, 0x7f800000, v65
	s_delay_alu instid0(VALU_DEP_1) | instskip(SKIP_1) | instid1(SALU_CYCLE_1)
	v_cmp_ne_u32_e32 vcc_lo, 0x7f800000, v1
                                        ; implicit-def: $vgpr1
	s_and_saveexec_b32 s3, vcc_lo
	s_xor_b32 s3, exec_lo, s3
; %bb.79:
	v_bfe_u32 v1, v65, 16, 1
	s_delay_alu instid0(VALU_DEP_1)
	v_add3_u32 v1, v65, v1, 0x7fff
; %bb.80:
	s_and_not1_saveexec_b32 s3, s3
; %bb.81:
	v_and_b32_e32 v1, 0xffff, v65
	v_or_b32_e32 v2, 0x10000, v65
	s_delay_alu instid0(VALU_DEP_2) | instskip(NEXT) | instid1(VALU_DEP_2)
	v_cmp_eq_u32_e32 vcc_lo, 0, v1
	v_cndmask_b32_e32 v1, v2, v65, vcc_lo
; %bb.82:
	s_or_b32 exec_lo, exec_lo, s3
	v_and_b32_e32 v2, 0x7f800000, v66
	s_delay_alu instid0(VALU_DEP_1) | instskip(SKIP_1) | instid1(SALU_CYCLE_1)
	v_cmp_ne_u32_e32 vcc_lo, 0x7f800000, v2
                                        ; implicit-def: $vgpr2
	s_and_saveexec_b32 s3, vcc_lo
	s_xor_b32 s3, exec_lo, s3
; %bb.83:
	v_bfe_u32 v2, v66, 16, 1
	s_delay_alu instid0(VALU_DEP_1)
	v_add3_u32 v2, v66, v2, 0x7fff
; %bb.84:
	s_and_not1_saveexec_b32 s3, s3
; %bb.85:
	v_and_b32_e32 v2, 0xffff, v66
	v_or_b32_e32 v3, 0x10000, v66
	s_delay_alu instid0(VALU_DEP_2) | instskip(NEXT) | instid1(VALU_DEP_2)
	v_cmp_eq_u32_e32 vcc_lo, 0, v2
	v_cndmask_b32_e32 v2, v3, v66, vcc_lo
; %bb.86:
	s_or_b32 exec_lo, exec_lo, s3
	v_and_b32_e32 v3, 0x7f800000, v67
	s_delay_alu instid0(VALU_DEP_1) | instskip(SKIP_1) | instid1(SALU_CYCLE_1)
	v_cmp_ne_u32_e32 vcc_lo, 0x7f800000, v3
                                        ; implicit-def: $vgpr3
	s_and_saveexec_b32 s3, vcc_lo
	s_xor_b32 s3, exec_lo, s3
; %bb.87:
	v_bfe_u32 v3, v67, 16, 1
	s_delay_alu instid0(VALU_DEP_1)
	v_add3_u32 v3, v67, v3, 0x7fff
; %bb.88:
	s_and_not1_saveexec_b32 s3, s3
; %bb.89:
	v_and_b32_e32 v3, 0xffff, v67
	v_or_b32_e32 v4, 0x10000, v67
	s_delay_alu instid0(VALU_DEP_2) | instskip(NEXT) | instid1(VALU_DEP_2)
	v_cmp_eq_u32_e32 vcc_lo, 0, v3
	v_cndmask_b32_e32 v3, v4, v67, vcc_lo
; %bb.90:
	s_or_b32 exec_lo, exec_lo, s3
	v_and_b32_e32 v4, 0x7f800000, v68
	s_delay_alu instid0(VALU_DEP_1) | instskip(SKIP_1) | instid1(SALU_CYCLE_1)
	v_cmp_ne_u32_e32 vcc_lo, 0x7f800000, v4
                                        ; implicit-def: $vgpr4
	s_and_saveexec_b32 s3, vcc_lo
	s_xor_b32 s3, exec_lo, s3
; %bb.91:
	v_bfe_u32 v4, v68, 16, 1
	s_delay_alu instid0(VALU_DEP_1)
	v_add3_u32 v4, v68, v4, 0x7fff
; %bb.92:
	s_and_not1_saveexec_b32 s3, s3
; %bb.93:
	v_and_b32_e32 v4, 0xffff, v68
	v_or_b32_e32 v5, 0x10000, v68
	s_delay_alu instid0(VALU_DEP_2) | instskip(NEXT) | instid1(VALU_DEP_2)
	v_cmp_eq_u32_e32 vcc_lo, 0, v4
	v_cndmask_b32_e32 v4, v5, v68, vcc_lo
; %bb.94:
	s_or_b32 exec_lo, exec_lo, s3
	v_and_b32_e32 v5, 0x7f800000, v69
	s_delay_alu instid0(VALU_DEP_1) | instskip(SKIP_1) | instid1(SALU_CYCLE_1)
	v_cmp_ne_u32_e32 vcc_lo, 0x7f800000, v5
                                        ; implicit-def: $vgpr5
	s_and_saveexec_b32 s3, vcc_lo
	s_xor_b32 s3, exec_lo, s3
; %bb.95:
	v_bfe_u32 v5, v69, 16, 1
	s_delay_alu instid0(VALU_DEP_1)
	v_add3_u32 v5, v69, v5, 0x7fff
; %bb.96:
	s_and_not1_saveexec_b32 s3, s3
; %bb.97:
	v_and_b32_e32 v5, 0xffff, v69
	v_or_b32_e32 v6, 0x10000, v69
	s_delay_alu instid0(VALU_DEP_2) | instskip(NEXT) | instid1(VALU_DEP_2)
	v_cmp_eq_u32_e32 vcc_lo, 0, v5
	v_cndmask_b32_e32 v5, v6, v69, vcc_lo
; %bb.98:
	s_or_b32 exec_lo, exec_lo, s3
	v_and_b32_e32 v6, 0x7f800000, v70
	s_delay_alu instid0(VALU_DEP_1) | instskip(SKIP_1) | instid1(SALU_CYCLE_1)
	v_cmp_ne_u32_e32 vcc_lo, 0x7f800000, v6
                                        ; implicit-def: $vgpr6
	s_and_saveexec_b32 s3, vcc_lo
	s_xor_b32 s3, exec_lo, s3
; %bb.99:
	v_bfe_u32 v6, v70, 16, 1
	s_delay_alu instid0(VALU_DEP_1)
	v_add3_u32 v6, v70, v6, 0x7fff
; %bb.100:
	s_and_not1_saveexec_b32 s3, s3
; %bb.101:
	v_and_b32_e32 v6, 0xffff, v70
	v_or_b32_e32 v7, 0x10000, v70
	s_delay_alu instid0(VALU_DEP_2) | instskip(NEXT) | instid1(VALU_DEP_2)
	v_cmp_eq_u32_e32 vcc_lo, 0, v6
	v_cndmask_b32_e32 v6, v7, v70, vcc_lo
; %bb.102:
	s_or_b32 exec_lo, exec_lo, s3
	v_and_b32_e32 v7, 0x7f800000, v71
	s_delay_alu instid0(VALU_DEP_1) | instskip(SKIP_1) | instid1(SALU_CYCLE_1)
	v_cmp_ne_u32_e32 vcc_lo, 0x7f800000, v7
                                        ; implicit-def: $vgpr7
	s_and_saveexec_b32 s3, vcc_lo
	s_xor_b32 s3, exec_lo, s3
; %bb.103:
	v_bfe_u32 v7, v71, 16, 1
	s_delay_alu instid0(VALU_DEP_1)
	v_add3_u32 v7, v71, v7, 0x7fff
; %bb.104:
	s_and_not1_saveexec_b32 s3, s3
; %bb.105:
	v_and_b32_e32 v7, 0xffff, v71
	v_or_b32_e32 v8, 0x10000, v71
	s_delay_alu instid0(VALU_DEP_2) | instskip(NEXT) | instid1(VALU_DEP_2)
	v_cmp_eq_u32_e32 vcc_lo, 0, v7
	v_cndmask_b32_e32 v7, v8, v71, vcc_lo
; %bb.106:
	s_or_b32 exec_lo, exec_lo, s3
	v_and_b32_e32 v8, 0x7f800000, v72
	s_delay_alu instid0(VALU_DEP_1) | instskip(SKIP_1) | instid1(SALU_CYCLE_1)
	v_cmp_ne_u32_e32 vcc_lo, 0x7f800000, v8
                                        ; implicit-def: $vgpr8
	s_and_saveexec_b32 s3, vcc_lo
	s_xor_b32 s3, exec_lo, s3
; %bb.107:
	v_bfe_u32 v8, v72, 16, 1
	s_delay_alu instid0(VALU_DEP_1)
	v_add3_u32 v8, v72, v8, 0x7fff
                                        ; implicit-def: $vgpr65_vgpr66_vgpr67_vgpr68_vgpr69_vgpr70_vgpr71_vgpr72
; %bb.108:
	s_and_not1_saveexec_b32 s3, s3
; %bb.109:
	v_and_b32_e32 v8, 0xffff, v72
	v_or_b32_e32 v9, 0x10000, v72
	s_delay_alu instid0(VALU_DEP_2) | instskip(NEXT) | instid1(VALU_DEP_2)
	v_cmp_eq_u32_e32 vcc_lo, 0, v8
	v_cndmask_b32_e32 v8, v9, v72, vcc_lo
; %bb.110:
	s_or_b32 exec_lo, exec_lo, s3
	s_delay_alu instid0(VALU_DEP_1)
	v_perm_b32 v7, v8, v7, 0x7060302
	v_perm_b32 v6, v6, v5, 0x7060302
	;; [unrolled: 1-line block ×4, first 2 shown]
	s_barrier
	buffer_gl0_inv
	v_cmp_eq_u32_e32 vcc_lo, 1, v78
	ds_store_b128 v76, v[4:7]
	s_waitcnt lgkmcnt(0)
	s_barrier
	buffer_gl0_inv
	ds_load_b128 v[1:4], v82
	ds_load_b128 v[5:8], v82 offset:16
	v_cmp_eq_u32_e64 s3, 1, v79
	v_cmp_eq_u32_e64 s4, 2, v78
	;; [unrolled: 1-line block ×5, first 2 shown]
	s_waitcnt lgkmcnt(1)
	v_lshrrev_b32_e32 v9, 16, v1
	s_waitcnt lgkmcnt(0)
	v_lshrrev_b32_e32 v13, 16, v5
	v_lshrrev_b32_e32 v10, 16, v2
	v_lshrrev_b32_e32 v14, 16, v6
	v_lshrrev_b32_e32 v11, 16, v3
	v_cndmask_b32_e64 v19, v1, v9, s3
	v_cndmask_b32_e32 v18, v5, v13, vcc_lo
	v_cndmask_b32_e64 v20, v5, v13, s3
	v_cndmask_b32_e32 v17, v1, v9, vcc_lo
	v_cmp_eq_u32_e32 vcc_lo, 2, v79
	v_lshrrev_b32_e32 v15, 16, v7
	v_cmp_eq_u32_e64 s3, 1, v77
	v_lshrrev_b32_e32 v12, 16, v4
	v_lshrrev_b32_e32 v16, 16, v8
	v_cndmask_b32_e32 v20, v20, v6, vcc_lo
	v_cndmask_b32_e64 v17, v17, v2, s4
	v_cndmask_b32_e32 v19, v19, v2, vcc_lo
	v_cndmask_b32_e64 v18, v18, v6, s4
	v_cmp_eq_u32_e32 vcc_lo, 4, v78
	v_cmp_eq_u32_e64 s4, 3, v79
	v_cndmask_b32_e64 v17, v17, v10, s5
	v_cndmask_b32_e64 v21, v1, v9, s3
	;; [unrolled: 1-line block ×5, first 2 shown]
	v_cndmask_b32_e32 v17, v17, v3, vcc_lo
	v_cndmask_b32_e64 v20, v20, v14, s4
	v_cndmask_b32_e32 v18, v18, v7, vcc_lo
	v_cmp_eq_u32_e32 vcc_lo, 4, v79
	v_cmp_eq_u32_e64 s4, 5, v79
	v_cmp_eq_u32_e64 s3, 2, v81
	v_cndmask_b32_e64 v21, v21, v2, s7
	v_cmp_eq_u32_e64 s5, 5, v78
	v_cndmask_b32_e32 v19, v19, v3, vcc_lo
	v_cndmask_b32_e32 v20, v20, v7, vcc_lo
	v_cmp_eq_u32_e32 vcc_lo, 6, v79
	s_delay_alu instid0(VALU_DEP_4) | instskip(NEXT) | instid1(VALU_DEP_4)
	v_cndmask_b32_e64 v17, v17, v11, s5
	v_cndmask_b32_e64 v19, v19, v11, s4
	s_delay_alu instid0(VALU_DEP_4) | instskip(SKIP_1) | instid1(VALU_DEP_3)
	v_cndmask_b32_e64 v20, v20, v15, s4
	v_cmp_eq_u32_e64 s4, 1, v81
	v_cndmask_b32_e32 v19, v19, v4, vcc_lo
	v_cndmask_b32_e64 v18, v18, v15, s5
	s_delay_alu instid0(VALU_DEP_3)
	v_cndmask_b32_e64 v1, v1, v9, s4
	v_cndmask_b32_e64 v5, v5, v13, s4
	v_cmp_eq_u32_e64 s4, 3, v77
	v_cndmask_b32_e64 v13, v22, v6, s7
	v_cmp_eq_u32_e64 s7, 3, v81
	v_cndmask_b32_e64 v1, v1, v2, s3
	v_cndmask_b32_e64 v2, v5, v6, s3
	;; [unrolled: 1-line block ×3, first 2 shown]
	v_cmp_eq_u32_e64 s3, 4, v77
	v_cndmask_b32_e64 v6, v13, v14, s4
	v_cndmask_b32_e64 v1, v1, v10, s7
	v_cmp_eq_u32_e64 s4, 4, v81
	v_cndmask_b32_e64 v2, v2, v14, s7
	v_cndmask_b32_e64 v5, v9, v3, s3
	;; [unrolled: 3-line block ×3, first 2 shown]
	v_cndmask_b32_e64 v2, v2, v7, s4
	v_cmp_eq_u32_e64 s3, 5, v81
	v_cmp_eq_u32_e64 s5, 6, v78
	v_cndmask_b32_e64 v5, v5, v11, s7
	v_cmp_eq_u32_e64 s4, 6, v77
	v_cndmask_b32_e64 v3, v6, v15, s7
	v_cndmask_b32_e64 v1, v1, v11, s3
	v_cmp_eq_u32_e64 s7, 6, v81
	v_cndmask_b32_e64 v2, v2, v15, s3
	v_cndmask_b32_e64 v17, v17, v4, s5
	v_cndmask_b32_e64 v18, v18, v8, s5
	v_cmp_eq_u32_e64 s5, 7, v78
	v_cndmask_b32_e64 v5, v5, v4, s4
	;; [unrolled: 4-line block ×3, first 2 shown]
	v_cmp_eq_u32_e64 s4, 7, v77
	v_cndmask_b32_e32 v4, v20, v8, vcc_lo
	v_cndmask_b32_e64 v17, v17, v12, s5
	v_cndmask_b32_e64 v19, v19, v12, s6
	v_cndmask_b32_e64 v1, v1, v12, s3
	v_cndmask_b32_e64 v5, v5, v12, s4
	v_cndmask_b32_e64 v2, v2, v16, s3
	v_cndmask_b32_e64 v3, v3, v16, s4
	v_cndmask_b32_e64 v6, v4, v16, s6
	v_cndmask_b32_e64 v7, v18, v16, s5
	s_mov_b32 s3, exec_lo
	v_perm_b32 v4, v2, v1, 0x5040100
	v_perm_b32 v3, v3, v5, 0x5040100
	;; [unrolled: 1-line block ×4, first 2 shown]
	ds_store_b128 v76, v[1:4]
	s_waitcnt lgkmcnt(0)
	s_barrier
	buffer_gl0_inv
	v_cmpx_gt_u32_e32 32, v0
	s_cbranch_execz .LBB1560_2
; %bb.111:
	s_load_b64 s[4:5], s[0:1], 0x68
	v_add_nc_u32_e32 v20, s31, v74
	v_lshlrev_b32_e32 v0, 10, v0
	v_lshlrev_b32_e32 v1, 4, v75
	s_lshl_b32 s0, s34, 7
	s_delay_alu instid0(SALU_CYCLE_1)
	s_mul_i32 s1, s0, s30
	v_add_nc_u32_e32 v2, 2, v20
	s_mul_i32 s6, s1, s8
	v_and_or_b32 v0, 0x3800, v0, v1
	v_mul_lo_u32 v1, v20, s0
	s_ashr_i32 s7, s6, 31
	v_mul_lo_u32 v11, v2, s0
	s_lshl_b64 s[6:7], s[6:7], 1
	v_add_nc_u32_e32 v3, 4, v20
	v_lshl_or_b32 v21, v74, 6, v0
	v_add_nc_u32_e32 v16, 6, v20
	v_ashrrev_i32_e32 v2, 31, v1
	s_delay_alu instid0(VALU_DEP_4)
	v_mul_lo_u32 v13, v3, s0
	s_waitcnt lgkmcnt(0)
	s_add_u32 s1, s4, s6
	s_addc_u32 s3, s5, s7
	s_lshl_b32 s4, s14, 7
	ds_load_b128 v[3:6], v21
	ds_load_b128 v[7:10], v21 offset:128
	s_ashr_i32 s5, s4, 31
	v_ashrrev_i32_e32 v12, 31, v11
	s_lshl_b64 s[4:5], s[4:5], 1
	v_lshlrev_b64 v[14:15], 1, v[1:2]
	s_add_u32 s1, s1, s4
	s_addc_u32 s3, s3, s5
	v_add_co_u32 v1, s1, s1, v73
	s_delay_alu instid0(VALU_DEP_1) | instskip(SKIP_1) | instid1(VALU_DEP_3)
	v_add_co_ci_u32_e64 v2, null, s3, 0, s1
	v_lshlrev_b64 v[11:12], 1, v[11:12]
	v_add_co_u32 v18, vcc_lo, v1, v14
	v_mul_lo_u32 v16, v16, s0
	s_delay_alu instid0(VALU_DEP_4) | instskip(NEXT) | instid1(VALU_DEP_4)
	v_add_co_ci_u32_e32 v19, vcc_lo, v2, v15, vcc_lo
	v_add_co_u32 v11, vcc_lo, v1, v11
	v_ashrrev_i32_e32 v14, 31, v13
	v_add_co_ci_u32_e32 v12, vcc_lo, v2, v12, vcc_lo
	v_add_nc_u32_e32 v15, 8, v20
	v_ashrrev_i32_e32 v17, 31, v16
	s_waitcnt lgkmcnt(1)
	global_store_b128 v[18:19], v[3:6], off
	v_lshlrev_b64 v[3:4], 1, v[13:14]
	s_waitcnt lgkmcnt(0)
	global_store_b128 v[11:12], v[7:10], off
	v_mul_lo_u32 v11, v15, s0
	v_add_nc_u32_e32 v7, 10, v20
	v_lshlrev_b64 v[5:6], 1, v[16:17]
	v_add_co_u32 v23, vcc_lo, v1, v3
	v_add_nc_u32_e32 v3, 12, v20
	s_delay_alu instid0(VALU_DEP_4)
	v_mul_lo_u32 v25, v7, s0
	v_ashrrev_i32_e32 v12, 31, v11
	v_add_co_ci_u32_e32 v24, vcc_lo, v2, v4, vcc_lo
	v_add_co_u32 v27, vcc_lo, v1, v5
	v_mul_lo_u32 v29, v3, s0
	v_add_co_ci_u32_e32 v28, vcc_lo, v2, v6, vcc_lo
	ds_load_b128 v[3:6], v21 offset:256
	ds_load_b128 v[7:10], v21 offset:384
	v_lshlrev_b64 v[31:32], 1, v[11:12]
	ds_load_b128 v[11:14], v21 offset:512
	ds_load_b128 v[15:18], v21 offset:640
	;; [unrolled: 1-line block ×3, first 2 shown]
	v_ashrrev_i32_e32 v26, 31, v25
	v_ashrrev_i32_e32 v30, 31, v29
	v_add_co_u32 v31, vcc_lo, v1, v31
	s_delay_alu instid0(VALU_DEP_3) | instskip(NEXT) | instid1(VALU_DEP_3)
	v_lshlrev_b64 v[25:26], 1, v[25:26]
	v_lshlrev_b64 v[29:30], 1, v[29:30]
	v_add_co_ci_u32_e32 v32, vcc_lo, v2, v32, vcc_lo
	s_delay_alu instid0(VALU_DEP_3) | instskip(NEXT) | instid1(VALU_DEP_4)
	v_add_co_u32 v25, vcc_lo, v1, v25
	v_add_co_ci_u32_e32 v26, vcc_lo, v2, v26, vcc_lo
	s_delay_alu instid0(VALU_DEP_4)
	v_add_co_u32 v29, vcc_lo, v1, v29
	v_add_co_ci_u32_e32 v30, vcc_lo, v2, v30, vcc_lo
	s_waitcnt lgkmcnt(4)
	global_store_b128 v[23:24], v[3:6], off
	s_waitcnt lgkmcnt(3)
	global_store_b128 v[27:28], v[7:10], off
	;; [unrolled: 2-line block ×5, first 2 shown]
	s_and_b32 exec_lo, exec_lo, s2
	s_cbranch_execz .LBB1560_2
; %bb.112:
	ds_load_b128 v[3:6], v0 offset:896
	s_add_i32 s1, s31, 14
	s_delay_alu instid0(SALU_CYCLE_1) | instskip(NEXT) | instid1(SALU_CYCLE_1)
	s_mul_i32 s0, s1, s0
	s_ashr_i32 s1, s0, 31
	s_delay_alu instid0(SALU_CYCLE_1) | instskip(NEXT) | instid1(SALU_CYCLE_1)
	s_lshl_b64 s[0:1], s[0:1], 1
	v_add_co_u32 v0, vcc_lo, v1, s0
	v_add_co_ci_u32_e32 v1, vcc_lo, s1, v2, vcc_lo
	s_waitcnt lgkmcnt(0)
	global_store_b128 v[0:1], v[3:6], off
	s_nop 0
	s_sendmsg sendmsg(MSG_DEALLOC_VGPRS)
	s_endpgm
	.section	.rodata,"a",@progbits
	.p2align	6, 0x0
	.amdhsa_kernel _Z39paged_attention_ll4mi_QKV_mfma16_kernelI14__hip_bfloat16hLN4vllm18Fp8KVCacheDataTypeE1ES0_Li16ELi128ELi256ELb1ELi15EL8MFMAType1EEvPKT_PKT0_S9_ifPKiSB_SB_iPKfiiiPfSE_PS4_PT2_iSD_SD_
		.amdhsa_group_segment_fixed_size 17472
		.amdhsa_private_segment_fixed_size 0
		.amdhsa_kernarg_size 400
		.amdhsa_user_sgpr_count 13
		.amdhsa_user_sgpr_dispatch_ptr 0
		.amdhsa_user_sgpr_queue_ptr 0
		.amdhsa_user_sgpr_kernarg_segment_ptr 1
		.amdhsa_user_sgpr_dispatch_id 0
		.amdhsa_user_sgpr_private_segment_size 0
		.amdhsa_wavefront_size32 1
		.amdhsa_uses_dynamic_stack 0
		.amdhsa_enable_private_segment 0
		.amdhsa_system_sgpr_workgroup_id_x 1
		.amdhsa_system_sgpr_workgroup_id_y 1
		.amdhsa_system_sgpr_workgroup_id_z 1
		.amdhsa_system_sgpr_workgroup_info 0
		.amdhsa_system_vgpr_workitem_id 0
		.amdhsa_next_free_vgpr 140
		.amdhsa_next_free_sgpr 36
		.amdhsa_reserve_vcc 1
		.amdhsa_float_round_mode_32 0
		.amdhsa_float_round_mode_16_64 0
		.amdhsa_float_denorm_mode_32 3
		.amdhsa_float_denorm_mode_16_64 3
		.amdhsa_dx10_clamp 1
		.amdhsa_ieee_mode 1
		.amdhsa_fp16_overflow 0
		.amdhsa_workgroup_processor_mode 1
		.amdhsa_memory_ordered 1
		.amdhsa_forward_progress 0
		.amdhsa_shared_vgpr_count 0
		.amdhsa_exception_fp_ieee_invalid_op 0
		.amdhsa_exception_fp_denorm_src 0
		.amdhsa_exception_fp_ieee_div_zero 0
		.amdhsa_exception_fp_ieee_overflow 0
		.amdhsa_exception_fp_ieee_underflow 0
		.amdhsa_exception_fp_ieee_inexact 0
		.amdhsa_exception_int_div_zero 0
	.end_amdhsa_kernel
	.section	.text._Z39paged_attention_ll4mi_QKV_mfma16_kernelI14__hip_bfloat16hLN4vllm18Fp8KVCacheDataTypeE1ES0_Li16ELi128ELi256ELb1ELi15EL8MFMAType1EEvPKT_PKT0_S9_ifPKiSB_SB_iPKfiiiPfSE_PS4_PT2_iSD_SD_,"axG",@progbits,_Z39paged_attention_ll4mi_QKV_mfma16_kernelI14__hip_bfloat16hLN4vllm18Fp8KVCacheDataTypeE1ES0_Li16ELi128ELi256ELb1ELi15EL8MFMAType1EEvPKT_PKT0_S9_ifPKiSB_SB_iPKfiiiPfSE_PS4_PT2_iSD_SD_,comdat
.Lfunc_end1560:
	.size	_Z39paged_attention_ll4mi_QKV_mfma16_kernelI14__hip_bfloat16hLN4vllm18Fp8KVCacheDataTypeE1ES0_Li16ELi128ELi256ELb1ELi15EL8MFMAType1EEvPKT_PKT0_S9_ifPKiSB_SB_iPKfiiiPfSE_PS4_PT2_iSD_SD_, .Lfunc_end1560-_Z39paged_attention_ll4mi_QKV_mfma16_kernelI14__hip_bfloat16hLN4vllm18Fp8KVCacheDataTypeE1ES0_Li16ELi128ELi256ELb1ELi15EL8MFMAType1EEvPKT_PKT0_S9_ifPKiSB_SB_iPKfiiiPfSE_PS4_PT2_iSD_SD_
                                        ; -- End function
	.section	.AMDGPU.csdata,"",@progbits
; Kernel info:
; codeLenInByte = 9152
; NumSgprs: 38
; NumVgprs: 140
; ScratchSize: 0
; MemoryBound: 0
; FloatMode: 240
; IeeeMode: 1
; LDSByteSize: 17472 bytes/workgroup (compile time only)
; SGPRBlocks: 4
; VGPRBlocks: 17
; NumSGPRsForWavesPerEU: 38
; NumVGPRsForWavesPerEU: 140
; Occupancy: 10
; WaveLimiterHint : 1
; COMPUTE_PGM_RSRC2:SCRATCH_EN: 0
; COMPUTE_PGM_RSRC2:USER_SGPR: 13
; COMPUTE_PGM_RSRC2:TRAP_HANDLER: 0
; COMPUTE_PGM_RSRC2:TGID_X_EN: 1
; COMPUTE_PGM_RSRC2:TGID_Y_EN: 1
; COMPUTE_PGM_RSRC2:TGID_Z_EN: 1
; COMPUTE_PGM_RSRC2:TIDIG_COMP_CNT: 0
	.section	.text._Z39paged_attention_ll4mi_QKV_mfma16_kernelI14__hip_bfloat16hLN4vllm18Fp8KVCacheDataTypeE1ES0_Li16ELi128ELi256ELb1ELi16EL8MFMAType1EEvPKT_PKT0_S9_ifPKiSB_SB_iPKfiiiPfSE_PS4_PT2_iSD_SD_,"axG",@progbits,_Z39paged_attention_ll4mi_QKV_mfma16_kernelI14__hip_bfloat16hLN4vllm18Fp8KVCacheDataTypeE1ES0_Li16ELi128ELi256ELb1ELi16EL8MFMAType1EEvPKT_PKT0_S9_ifPKiSB_SB_iPKfiiiPfSE_PS4_PT2_iSD_SD_,comdat
	.protected	_Z39paged_attention_ll4mi_QKV_mfma16_kernelI14__hip_bfloat16hLN4vllm18Fp8KVCacheDataTypeE1ES0_Li16ELi128ELi256ELb1ELi16EL8MFMAType1EEvPKT_PKT0_S9_ifPKiSB_SB_iPKfiiiPfSE_PS4_PT2_iSD_SD_ ; -- Begin function _Z39paged_attention_ll4mi_QKV_mfma16_kernelI14__hip_bfloat16hLN4vllm18Fp8KVCacheDataTypeE1ES0_Li16ELi128ELi256ELb1ELi16EL8MFMAType1EEvPKT_PKT0_S9_ifPKiSB_SB_iPKfiiiPfSE_PS4_PT2_iSD_SD_
	.globl	_Z39paged_attention_ll4mi_QKV_mfma16_kernelI14__hip_bfloat16hLN4vllm18Fp8KVCacheDataTypeE1ES0_Li16ELi128ELi256ELb1ELi16EL8MFMAType1EEvPKT_PKT0_S9_ifPKiSB_SB_iPKfiiiPfSE_PS4_PT2_iSD_SD_
	.p2align	8
	.type	_Z39paged_attention_ll4mi_QKV_mfma16_kernelI14__hip_bfloat16hLN4vllm18Fp8KVCacheDataTypeE1ES0_Li16ELi128ELi256ELb1ELi16EL8MFMAType1EEvPKT_PKT0_S9_ifPKiSB_SB_iPKfiiiPfSE_PS4_PT2_iSD_SD_,@function
_Z39paged_attention_ll4mi_QKV_mfma16_kernelI14__hip_bfloat16hLN4vllm18Fp8KVCacheDataTypeE1ES0_Li16ELi128ELi256ELb1ELi16EL8MFMAType1EEvPKT_PKT0_S9_ifPKiSB_SB_iPKfiiiPfSE_PS4_PT2_iSD_SD_: ; @_Z39paged_attention_ll4mi_QKV_mfma16_kernelI14__hip_bfloat16hLN4vllm18Fp8KVCacheDataTypeE1ES0_Li16ELi128ELi256ELb1ELi16EL8MFMAType1EEvPKT_PKT0_S9_ifPKiSB_SB_iPKfiiiPfSE_PS4_PT2_iSD_SD_
; %bb.0:
	s_load_b64 s[4:5], s[0:1], 0x30
	s_mov_b32 s30, s13
	s_waitcnt lgkmcnt(0)
	s_cmp_lg_u64 s[4:5], 0
	s_cselect_b32 s8, -1, 0
	s_ashr_i32 s31, s13, 31
	s_cmp_eq_u64 s[4:5], 0
	s_cbranch_scc1 .LBB1561_3
; %bb.1:
	s_lshl_b64 s[2:3], s[30:31], 2
	s_delay_alu instid0(SALU_CYCLE_1) | instskip(SKIP_4) | instid1(SALU_CYCLE_1)
	s_add_u32 s2, s4, s2
	s_addc_u32 s3, s5, s3
	s_load_b64 s[2:3], s[2:3], 0x0
	s_waitcnt lgkmcnt(0)
	s_sub_i32 s2, s3, s2
	s_cmp_eq_u32 s2, 1
	s_cselect_b32 s2, -1, 0
	s_delay_alu instid0(SALU_CYCLE_1)
	s_and_not1_b32 vcc_lo, exec_lo, s2
	s_cbranch_vccz .LBB1561_4
.LBB1561_2:
	s_endpgm
.LBB1561_3:
.LBB1561_4:
	s_load_b64 s[2:3], s[0:1], 0x28
	s_lshl_b64 s[6:7], s[30:31], 2
	s_waitcnt lgkmcnt(0)
	s_add_u32 s2, s2, s6
	s_addc_u32 s3, s3, s7
	s_lshl_b32 s12, s14, 8
	s_load_b32 s24, s[2:3], 0x0
	s_waitcnt lgkmcnt(0)
	s_cmp_ge_i32 s12, s24
	s_cbranch_scc1 .LBB1561_2
; %bb.5:
	s_clause 0x1
	s_load_b128 s[20:23], s[0:1], 0x8
	s_load_b64 s[2:3], s[0:1], 0x20
	s_and_not1_b32 vcc_lo, exec_lo, s8
	s_cbranch_vccnz .LBB1561_7
; %bb.6:
	s_add_u32 s4, s4, s6
	s_addc_u32 s5, s5, s7
	s_load_b32 s5, s[4:5], 0x0
	s_branch .LBB1561_8
.LBB1561_7:
	s_mov_b32 s5, s30
.LBB1561_8:
	s_load_b128 s[16:19], s[0:1], 0x48
	v_and_b32_e32 v66, 15, v0
	v_lshrrev_b32_e32 v65, 5, v0
	v_and_b32_e32 v67, 31, v0
	v_and_b32_e32 v75, 1, v0
	v_bfe_u32 v74, v0, 4, 1
	v_lshlrev_b32_e32 v1, 3, v66
	s_lshl_b32 s29, s15, 4
	s_mov_b32 s4, exec_lo
	s_delay_alu instid0(VALU_DEP_1)
	v_lshlrev_b32_e32 v73, 1, v1
	v_cmpx_gt_u32_e32 0x100, v0
	s_cbranch_execz .LBB1561_10
; %bb.9:
	v_lshl_or_b32 v5, v65, 1, v74
	s_load_b64 s[6:7], s[0:1], 0x0
	s_waitcnt lgkmcnt(0)
	s_mul_hi_i32 s9, s5, s16
	s_mul_i32 s8, s5, s16
	v_lshlrev_b32_e32 v6, 10, v66
	v_or_b32_e32 v1, s29, v5
	s_lshl_b64 s[8:9], s[8:9], 1
	v_lshlrev_b32_e32 v5, 6, v5
	v_lshlrev_b32_e32 v7, 10, v75
	v_and_b32_e32 v6, 0x3800, v6
	v_lshlrev_b32_e32 v1, 7, v1
	s_delay_alu instid0(VALU_DEP_2) | instskip(NEXT) | instid1(VALU_DEP_2)
	v_or3_b32 v5, v6, v7, v5
	v_ashrrev_i32_e32 v2, 31, v1
	s_delay_alu instid0(VALU_DEP_1) | instskip(SKIP_2) | instid1(VALU_DEP_1)
	v_lshlrev_b64 v[1:2], 1, v[1:2]
	s_add_u32 s5, s6, s8
	s_addc_u32 s6, s7, s9
	v_add_co_u32 v1, vcc_lo, s5, v1
	s_delay_alu instid0(VALU_DEP_2) | instskip(NEXT) | instid1(VALU_DEP_2)
	v_add_co_ci_u32_e32 v2, vcc_lo, s6, v2, vcc_lo
	v_add_co_u32 v1, vcc_lo, v1, v73
	s_delay_alu instid0(VALU_DEP_2)
	v_add_co_ci_u32_e32 v2, vcc_lo, 0, v2, vcc_lo
	global_load_b128 v[1:4], v[1:2], off
	s_waitcnt vmcnt(0)
	ds_store_b128 v5, v[1:4]
.LBB1561_10:
	s_or_b32 exec_lo, exec_lo, s4
	v_and_b32_e32 v1, 0xef, v0
	s_waitcnt lgkmcnt(0)
	s_add_i32 s5, s24, 15
	s_clause 0x1
	s_load_b32 s4, s[0:1], 0x38
	s_load_b32 s19, s[0:1], 0x1c
	s_ashr_i32 s6, s5, 31
	v_add_nc_u32_e32 v1, s12, v1
	s_lshr_b32 s6, s6, 28
	s_waitcnt lgkmcnt(0)
	s_add_i32 s5, s5, s6
	s_barrier
	v_ashrrev_i32_e32 v2, 31, v1
	v_or_b32_e32 v3, 16, v1
	s_ashr_i32 s13, s5, 4
	v_cmp_gt_i32_e32 vcc_lo, s24, v1
	s_add_i32 s13, s13, -1
	v_lshrrev_b32_e32 v2, 28, v2
	buffer_gl0_inv
	s_mul_i32 s15, s15, s18
	v_lshlrev_b32_e32 v41, 4, v66
	v_add_nc_u32_e32 v4, v1, v2
	s_mul_i32 s4, s30, s4
	s_delay_alu instid0(VALU_DEP_2) | instskip(SKIP_1) | instid1(VALU_DEP_2)
	v_lshl_or_b32 v41, v65, 8, v41
	s_ashr_i32 s5, s4, 31
	v_ashrrev_i32_e32 v4, 4, v4
	v_add_nc_u32_e32 v2, v3, v2
	s_lshl_b64 s[4:5], s[4:5], 2
	s_delay_alu instid0(SALU_CYCLE_1) | instskip(NEXT) | instid1(VALU_DEP_2)
	s_add_u32 s16, s2, s4
	v_cndmask_b32_e32 v1, s13, v4, vcc_lo
	s_delay_alu instid0(VALU_DEP_2)
	v_ashrrev_i32_e32 v2, 4, v2
	v_cmp_gt_i32_e32 vcc_lo, s24, v3
	s_addc_u32 s25, s3, s5
	s_ashr_i32 s18, s15, 31
	s_add_u32 s26, s20, s15
	s_addc_u32 s27, s21, s18
	v_cndmask_b32_e32 v3, s13, v2, vcc_lo
	v_ashrrev_i32_e32 v2, 31, v1
	s_lshl_b32 s2, s14, 4
	s_delay_alu instid0(SALU_CYCLE_1) | instskip(NEXT) | instid1(VALU_DEP_2)
	s_ashr_i32 s3, s2, 31
	v_ashrrev_i32_e32 v4, 31, v3
	s_delay_alu instid0(VALU_DEP_2) | instskip(SKIP_1) | instid1(SALU_CYCLE_1)
	v_lshlrev_b64 v[1:2], 2, v[1:2]
	s_lshl_b64 s[2:3], s[2:3], 2
	s_add_u32 s2, s16, s2
	s_delay_alu instid0(VALU_DEP_2) | instskip(SKIP_1) | instid1(VALU_DEP_2)
	v_lshlrev_b64 v[3:4], 2, v[3:4]
	s_addc_u32 s3, s25, s3
	v_add_co_u32 v1, vcc_lo, s16, v1
	v_add_co_ci_u32_e32 v2, vcc_lo, s25, v2, vcc_lo
	s_delay_alu instid0(VALU_DEP_3) | instskip(NEXT) | instid1(VALU_DEP_4)
	v_add_co_u32 v3, vcc_lo, s16, v3
	v_add_co_ci_u32_e32 v4, vcc_lo, s25, v4, vcc_lo
	s_clause 0x1
	global_load_b32 v5, v[1:2], off
	global_load_b32 v3, v[3:4], off
	s_or_b32 s4, s12, 32
	v_lshlrev_b32_e32 v1, 4, v0
	s_ashr_i32 s5, s4, 4
	s_cmp_lt_i32 s4, s24
	s_cselect_b32 s4, s5, s13
	s_delay_alu instid0(VALU_DEP_1) | instskip(SKIP_1) | instid1(SALU_CYCLE_1)
	v_and_b32_e32 v1, 0xf0, v1
	s_ashr_i32 s5, s4, 31
	s_lshl_b64 s[4:5], s[4:5], 2
	s_delay_alu instid0(SALU_CYCLE_1)
	s_add_u32 s4, s16, s4
	s_addc_u32 s5, s25, s5
	s_or_b32 s6, s12, 64
	v_add_co_u32 v1, s26, s26, v1
	s_ashr_i32 s7, s6, 4
	s_cmp_lt_i32 s6, s24
	v_add_co_ci_u32_e64 v2, null, s27, 0, s26
	s_cselect_b32 s6, s7, s13
	s_delay_alu instid0(SALU_CYCLE_1) | instskip(NEXT) | instid1(SALU_CYCLE_1)
	s_ashr_i32 s7, s6, 31
	s_lshl_b64 s[6:7], s[6:7], 2
	s_delay_alu instid0(SALU_CYCLE_1) | instskip(SKIP_2) | instid1(SALU_CYCLE_1)
	s_add_u32 s6, s16, s6
	s_addc_u32 s7, s25, s7
	s_or_b32 s8, s12, 0x60
	s_ashr_i32 s9, s8, 4
	s_cmp_lt_i32 s8, s24
	s_cselect_b32 s8, s9, s13
	s_delay_alu instid0(SALU_CYCLE_1) | instskip(NEXT) | instid1(SALU_CYCLE_1)
	s_ashr_i32 s9, s8, 31
	s_lshl_b64 s[8:9], s[8:9], 2
	s_delay_alu instid0(SALU_CYCLE_1) | instskip(SKIP_2) | instid1(SALU_CYCLE_1)
	s_add_u32 s8, s16, s8
	s_addc_u32 s9, s25, s9
	s_or_b32 s10, s12, 0x80
	s_ashr_i32 s11, s10, 4
	s_cmp_lt_i32 s10, s24
	;; [unrolled: 10-line block ×3, first 2 shown]
	s_cselect_b32 s20, s21, s13
	s_delay_alu instid0(SALU_CYCLE_1) | instskip(NEXT) | instid1(SALU_CYCLE_1)
	s_ashr_i32 s21, s20, 31
	s_lshl_b64 s[20:21], s[20:21], 2
	s_delay_alu instid0(SALU_CYCLE_1)
	s_add_u32 s20, s16, s20
	s_addc_u32 s21, s25, s21
	s_clause 0x5
	s_load_b32 s26, s[2:3], 0x0
	s_load_b32 s27, s[4:5], 0x0
	;; [unrolled: 1-line block ×6, first 2 shown]
	s_or_b32 s2, s12, 0xc0
	s_mov_b32 s4, 0
	s_ashr_i32 s3, s2, 4
	s_cmp_lt_i32 s2, s24
	s_mov_b32 s11, s4
	s_cselect_b32 s2, s3, s13
	s_mov_b32 s5, s4
	s_ashr_i32 s3, s2, 31
	s_mov_b32 s6, s4
	s_lshl_b64 s[2:3], s[2:3], 2
	s_mov_b32 s7, s4
	s_add_u32 s2, s16, s2
	s_mov_b32 s8, s4
	s_mov_b32 s9, s4
	s_mov_b32 s10, s4
	s_addc_u32 s3, s25, s3
	s_or_b32 s21, s12, 0xe0
	v_mov_b32_e32 v108, s11
	v_mov_b32_e32 v102, s5
	v_dual_mov_b32 v105, s8 :: v_dual_lshlrev_b32 v76, 6, v66
	v_dual_mov_b32 v107, s10 :: v_dual_mov_b32 v106, s9
	v_dual_mov_b32 v104, s7 :: v_dual_mov_b32 v103, s6
	v_mov_b32_e32 v101, s4
	s_ashr_i32 s4, s21, 4
	s_cmp_lt_i32 s21, s24
	s_cselect_b32 s4, s4, s13
	s_delay_alu instid0(SALU_CYCLE_1) | instskip(NEXT) | instid1(SALU_CYCLE_1)
	s_ashr_i32 s5, s4, 31
	s_lshl_b64 s[4:5], s[4:5], 2
	s_waitcnt vmcnt(1)
	v_mad_i64_i32 v[33:34], null, v5, s17, v[1:2]
	s_waitcnt vmcnt(0)
	v_mad_i64_i32 v[35:36], null, v3, s17, v[1:2]
	s_clause 0xf
	global_load_b128 v[1:4], v[33:34], off
	global_load_b128 v[5:8], v[33:34], off offset:256
	global_load_b128 v[9:12], v[35:36], off
	global_load_b128 v[13:16], v[35:36], off offset:256
	global_load_b128 v[17:20], v[33:34], off offset:512
	;; [unrolled: 1-line block ×13, first 2 shown]
	ds_load_b128 v[33:36], v76
	ds_load_b128 v[37:40], v76 offset:1024
	ds_load_b128 v[109:112], v76 offset:2048
	;; [unrolled: 1-line block ×3, first 2 shown]
	s_load_b32 s6, s[2:3], 0x0
	s_add_u32 s2, s16, s4
	s_addc_u32 s3, s25, s5
	ds_load_b128 v[117:120], v76 offset:4096
	ds_load_b128 v[121:124], v76 offset:5120
	s_load_b32 s2, s[2:3], 0x0
	s_add_u32 s4, s22, s15
	s_addc_u32 s5, s23, s18
	v_add_co_u32 v68, s4, s4, v41
	s_delay_alu instid0(VALU_DEP_1) | instskip(SKIP_1) | instid1(VALU_DEP_1)
	v_add_co_ci_u32_e64 v69, null, s5, 0, s4
	s_waitcnt lgkmcnt(0)
	v_mad_i64_i32 v[41:42], null, s26, s17, v[68:69]
	v_mad_i64_i32 v[70:71], null, s28, s17, v[68:69]
	;; [unrolled: 1-line block ×7, first 2 shown]
	s_clause 0x3
	global_load_b128 v[49:52], v[41:42], off
	global_load_b128 v[53:56], v[41:42], off offset:16
	global_load_b128 v[41:44], v[45:46], off
	global_load_b128 v[45:48], v[45:46], off offset:16
	s_waitcnt vmcnt(18)
	v_wmma_f32_16x16x16_bf16 v[125:132], v[1:8], v[33:40], v[101:108]
	s_waitcnt vmcnt(16)
	v_wmma_f32_16x16x16_bf16 v[101:108], v[9:16], v[33:40], v[101:108]
	s_clause 0x1
	global_load_b128 v[33:36], v[70:71], off
	global_load_b128 v[37:40], v[70:71], off offset:16
	v_mad_i64_i32 v[70:71], null, s2, s17, v[68:69]
	s_waitcnt vmcnt(16)
	v_wmma_f32_16x16x16_bf16 v[125:132], v[17:24], v[109:116], v[125:132]
	s_waitcnt vmcnt(14)
	v_wmma_f32_16x16x16_bf16 v[101:108], v[25:32], v[109:116], v[101:108]
	s_clause 0x7
	global_load_b128 v[25:28], v[133:134], off
	global_load_b128 v[29:32], v[133:134], off offset:16
	global_load_b128 v[1:4], v[135:136], off
	global_load_b128 v[5:8], v[135:136], off offset:16
	;; [unrolled: 2-line block ×4, first 2 shown]
	s_waitcnt vmcnt(20)
	v_wmma_f32_16x16x16_bf16 v[125:132], v[57:64], v[117:124], v[125:132]
	s_clause 0x1
	global_load_b128 v[57:60], v[70:71], off
	global_load_b128 v[61:64], v[70:71], off offset:16
	s_waitcnt vmcnt(20)
	v_wmma_f32_16x16x16_bf16 v[101:108], v[77:84], v[117:124], v[101:108]
	ds_load_b128 v[77:80], v76 offset:6144
	ds_load_b128 v[81:84], v76 offset:7168
	v_and_b32_e32 v68, 0xe0, v0
	v_mbcnt_lo_u32_b32 v69, -1, 0
	s_waitcnt vmcnt(0) lgkmcnt(0)
	s_barrier
	buffer_gl0_inv
	v_add_nc_u32_e32 v68, s12, v68
	v_xor_b32_e32 v70, 16, v69
	s_delay_alu instid0(VALU_DEP_2) | instskip(NEXT) | instid1(VALU_DEP_2)
	v_or_b32_e32 v68, v68, v74
	v_cmp_gt_i32_e32 vcc_lo, 32, v70
	s_delay_alu instid0(VALU_DEP_2)
	v_or_b32_e32 v71, 4, v68
	v_or_b32_e32 v72, 6, v68
	v_cmp_gt_i32_e64 s2, s24, v68
	v_or_b32_e32 v109, 8, v68
	v_wmma_f32_16x16x16_bf16 v[125:132], v[85:92], v[77:84], v[125:132]
	v_cndmask_b32_e32 v69, v69, v70, vcc_lo
	v_or_b32_e32 v70, 2, v68
	v_wmma_f32_16x16x16_bf16 v[101:108], v[93:100], v[77:84], v[101:108]
	v_or_b32_e32 v85, 10, v68
	v_dual_mul_f32 v84, s19, v128 :: v_dual_mul_f32 v83, s19, v129
	v_dual_mul_f32 v94, s19, v126 :: v_dual_mul_f32 v95, s19, v125
	s_delay_alu instid0(VALU_DEP_4) | instskip(SKIP_2) | instid1(VALU_DEP_4)
	v_mul_f32_e32 v98, s19, v106
	v_cmp_gt_i32_e32 vcc_lo, s24, v70
	v_dual_mul_f32 v93, s19, v127 :: v_dual_mul_f32 v96, s19, v108
	v_cndmask_b32_e64 v95, 0xff7fffff, v95, s2
	v_cmp_gt_i32_e64 s3, s24, v71
	v_cndmask_b32_e32 v94, 0xff7fffff, v94, vcc_lo
	v_cmp_gt_i32_e64 s4, s24, v72
	v_or_b32_e32 v86, 12, v68
	v_or_b32_e32 v87, 14, v68
	v_dual_mul_f32 v81, s19, v131 :: v_dual_mul_f32 v82, s19, v130
	v_cndmask_b32_e64 v93, 0xff7fffff, v93, s3
	v_cndmask_b32_e64 v72, 0xff7fffff, v84, s4
	v_max3_f32 v84, v95, 0xff7fffff, v94
	v_cmp_gt_i32_e64 s5, s24, v109
	v_cmp_gt_i32_e64 s6, s24, v85
	v_or_b32_e32 v88, 16, v68
	v_or_b32_e32 v89, 18, v68
	v_mul_f32_e32 v80, s19, v132
	v_cndmask_b32_e64 v83, 0xff7fffff, v83, s5
	v_cndmask_b32_e64 v82, 0xff7fffff, v82, s6
	v_max3_f32 v72, v84, v93, v72
	v_cmp_gt_i32_e64 s7, s24, v86
	v_cmp_gt_i32_e64 s8, s24, v87
	v_or_b32_e32 v90, 20, v68
	v_or_b32_e32 v91, 22, v68
	v_or_b32_e32 v92, 24, v68
	v_or_b32_e32 v77, 26, v68
	v_or_b32_e32 v78, 28, v68
	v_or_b32_e32 v79, 30, v68
	v_dual_mul_f32 v68, s19, v102 :: v_dual_mul_f32 v71, s19, v101
	v_cndmask_b32_e64 v81, 0xff7fffff, v81, s7
	v_cndmask_b32_e64 v80, 0xff7fffff, v80, s8
	v_max3_f32 v72, v72, v83, v82
	v_cmp_gt_i32_e64 s9, s24, v88
	v_cmp_gt_i32_e64 s10, s24, v89
	v_dual_mul_f32 v97, s19, v107 :: v_dual_mul_f32 v100, s19, v104
	v_dual_mul_f32 v99, s19, v105 :: v_dual_mul_f32 v70, s19, v103
	s_delay_alu instid0(VALU_DEP_4) | instskip(NEXT) | instid1(VALU_DEP_4)
	v_cndmask_b32_e64 v71, 0xff7fffff, v71, s9
	v_cndmask_b32_e64 v68, 0xff7fffff, v68, s10
	v_max3_f32 v72, v72, v81, v80
	v_cmp_gt_i32_e64 s11, s24, v90
	v_cmp_gt_i32_e64 s12, s24, v91
	;; [unrolled: 1-line block ×4, first 2 shown]
	v_max3_f32 v68, v72, v71, v68
	v_cndmask_b32_e64 v70, 0xff7fffff, v70, s11
	v_cndmask_b32_e64 v80, 0xff7fffff, v100, s12
	;; [unrolled: 1-line block ×4, first 2 shown]
	v_cmp_gt_i32_e64 s16, s24, v78
	v_cmp_gt_i32_e64 s17, s24, v79
	v_max3_f32 v68, v68, v70, v80
	v_lshlrev_b32_e32 v90, 2, v69
	s_delay_alu instid0(VALU_DEP_4) | instskip(NEXT) | instid1(VALU_DEP_4)
	v_cndmask_b32_e64 v70, 0xff7fffff, v97, s16
	v_cndmask_b32_e64 v77, 0xff7fffff, v96, s17
	s_delay_alu instid0(VALU_DEP_4) | instskip(NEXT) | instid1(VALU_DEP_1)
	v_max3_f32 v68, v68, v71, v72
	v_max3_f32 v68, v68, v70, v77
	ds_bpermute_b32 v69, v90, v68
	s_waitcnt lgkmcnt(0)
	v_max_f32_e32 v69, v69, v69
	s_delay_alu instid0(VALU_DEP_1) | instskip(NEXT) | instid1(VALU_DEP_1)
	v_max_f32_e32 v81, v68, v69
	v_fma_f32 v68, s19, v125, -v81
	s_delay_alu instid0(VALU_DEP_1)
	v_mul_f32_e32 v68, 0x3fb8aa3b, v68
	v_fma_f32 v69, s19, v126, -v81
	v_fma_f32 v71, s19, v128, -v81
	;; [unrolled: 1-line block ×4, first 2 shown]
	v_exp_f32_e32 v68, v68
	v_mul_f32_e32 v69, 0x3fb8aa3b, v69
	s_delay_alu instid0(VALU_DEP_3) | instskip(NEXT) | instid1(VALU_DEP_3)
	v_dual_mul_f32 v71, 0x3fb8aa3b, v71 :: v_dual_mul_f32 v72, 0x3fb8aa3b, v72
	v_mul_f32_e32 v70, 0x3fb8aa3b, v70
	v_fma_f32 v78, s19, v131, -v81
	s_delay_alu instid0(VALU_DEP_4) | instskip(NEXT) | instid1(VALU_DEP_3)
	v_exp_f32_e32 v69, v69
	v_exp_f32_e32 v71, v71
	;; [unrolled: 1-line block ×4, first 2 shown]
	v_cndmask_b32_e64 v82, 0, v68, s2
	v_fma_f32 v68, s19, v130, -v81
	v_mul_f32_e32 v78, 0x3fb8aa3b, v78
	v_fma_f32 v80, s19, v106, -v81
	s_mov_b32 s2, exec_lo
	s_delay_alu instid0(VALU_DEP_3) | instskip(NEXT) | instid1(TRANS32_DEP_2)
	v_dual_cndmask_b32 v77, 0, v69 :: v_dual_mul_f32 v68, 0x3fb8aa3b, v68
	v_cndmask_b32_e64 v86, 0, v72, s5
	v_fma_f32 v72, s19, v102, -v81
	v_add_f32_e32 v69, 0, v82
	v_cndmask_b32_e64 v83, 0, v70, s3
	v_exp_f32_e32 v68, v68
	v_fma_f32 v70, s19, v132, -v81
	s_delay_alu instid0(VALU_DEP_3) | instskip(SKIP_2) | instid1(VALU_DEP_4)
	v_dual_mul_f32 v72, 0x3fb8aa3b, v72 :: v_dual_add_f32 v69, v69, v77
	v_cndmask_b32_e64 v85, 0, v71, s4
	v_fma_f32 v71, s19, v101, -v81
	v_mul_f32_e32 v70, 0x3fb8aa3b, v70
	v_exp_f32_e32 v78, v78
	v_add_f32_e32 v69, v69, v83
	v_exp_f32_e32 v72, v72
	s_delay_alu instid0(TRANS32_DEP_3) | instskip(SKIP_1) | instid1(VALU_DEP_2)
	v_cndmask_b32_e64 v87, 0, v68, s6
	v_exp_f32_e32 v70, v70
	v_add_f32_e32 v69, v69, v85
	v_mul_f32_e32 v71, 0x3fb8aa3b, v71
	s_delay_alu instid0(TRANS32_DEP_3) | instskip(NEXT) | instid1(VALU_DEP_3)
	v_cndmask_b32_e64 v84, 0, v78, s7
	v_add_f32_e32 v68, v69, v86
	v_fma_f32 v69, s19, v103, -v81
	s_delay_alu instid0(VALU_DEP_4) | instskip(SKIP_1) | instid1(TRANS32_DEP_2)
	v_exp_f32_e32 v71, v71
	v_fma_f32 v78, s19, v104, -v81
	v_cndmask_b32_e64 v88, 0, v70, s8
	s_delay_alu instid0(VALU_DEP_3) | instskip(SKIP_1) | instid1(VALU_DEP_2)
	v_dual_add_f32 v68, v68, v87 :: v_dual_mul_f32 v69, 0x3fb8aa3b, v69
	v_fma_f32 v70, s19, v105, -v81
	v_add_f32_e32 v68, v68, v84
	v_mul_f32_e32 v78, 0x3fb8aa3b, v78
	s_delay_alu instid0(VALU_DEP_4) | instskip(NEXT) | instid1(TRANS32_DEP_2)
	v_exp_f32_e32 v79, v69
	v_cndmask_b32_e64 v69, 0, v71, s9
	s_delay_alu instid0(VALU_DEP_3) | instskip(NEXT) | instid1(VALU_DEP_3)
	v_dual_add_f32 v71, v68, v88 :: v_dual_mul_f32 v70, 0x3fb8aa3b, v70
	v_exp_f32_e32 v78, v78
	v_cndmask_b32_e64 v68, 0, v72, s10
	v_fma_f32 v72, s19, v107, -v81
	s_delay_alu instid0(VALU_DEP_3) | instskip(SKIP_1) | instid1(TRANS32_DEP_3)
	v_add_f32_e32 v71, v71, v69
	v_exp_f32_e32 v89, v70
	v_cndmask_b32_e64 v70, 0, v79, s11
	s_delay_alu instid0(VALU_DEP_2) | instskip(NEXT) | instid1(TRANS32_DEP_2)
	v_add_f32_e32 v79, v71, v68
	v_cndmask_b32_e64 v71, 0, v78, s12
	s_delay_alu instid0(VALU_DEP_2) | instskip(SKIP_2) | instid1(VALU_DEP_1)
	v_add_f32_e32 v78, v79, v70
	v_mul_f32_e32 v80, 0x3fb8aa3b, v80
	v_fma_f32 v79, s19, v108, -v81
	v_dual_mul_f32 v72, 0x3fb8aa3b, v72 :: v_dual_mul_f32 v79, 0x3fb8aa3b, v79
	s_delay_alu instid0(VALU_DEP_1) | instskip(NEXT) | instid1(TRANS32_DEP_2)
	v_exp_f32_e32 v91, v72
	v_cndmask_b32_e64 v72, 0, v89, s13
	v_add_f32_e32 v89, v78, v71
	v_exp_f32_e32 v80, v80
	s_waitcnt_depctr 0xfff
	v_cndmask_b32_e64 v78, 0, v80, s15
	v_add_f32_e32 v80, v89, v72
	v_exp_f32_e32 v89, v79
	v_cndmask_b32_e64 v79, 0, v91, s16
	s_delay_alu instid0(VALU_DEP_2) | instskip(NEXT) | instid1(VALU_DEP_1)
	v_add_f32_e32 v80, v80, v78
	v_add_f32_e32 v91, v80, v79
	s_waitcnt_depctr 0xfff
	v_cndmask_b32_e64 v80, 0, v89, s17
	s_delay_alu instid0(VALU_DEP_1)
	v_add_f32_e32 v89, v91, v80
	ds_bpermute_b32 v90, v90, v89
	v_cmpx_gt_u32_e32 16, v67
	s_cbranch_execz .LBB1561_12
; %bb.11:
	v_mul_u32_u24_e32 v67, 0x44, v65
	s_waitcnt lgkmcnt(0)
	v_add_f32_e32 v89, v89, v90
	s_delay_alu instid0(VALU_DEP_2) | instskip(NEXT) | instid1(VALU_DEP_1)
	v_lshl_add_u32 v67, v66, 2, v67
	v_add_nc_u32_e32 v67, 0x4000, v67
	ds_store_2addr_b32 v67, v81, v89 offset1:136
.LBB1561_12:
	s_or_b32 exec_lo, exec_lo, s2
	v_lshlrev_b32_e32 v66, 2, v66
	s_waitcnt lgkmcnt(0)
	s_barrier
	buffer_gl0_inv
	v_cmp_eq_u32_e32 vcc_lo, 1, v65
	v_add_nc_u32_e32 v81, 0x4000, v66
	v_cmp_eq_u32_e64 s2, 2, v65
	v_cmp_eq_u32_e64 s4, 7, v65
	ds_load_2addr_b32 v[89:90], v81 offset1:17
	ds_load_2addr_b32 v[91:92], v81 offset0:34 offset1:51
	ds_load_2addr_b32 v[93:94], v81 offset0:68 offset1:85
	;; [unrolled: 1-line block ×4, first 2 shown]
	s_waitcnt lgkmcnt(4)
	v_max3_f32 v66, v89, 0xff7fffff, v90
	s_waitcnt lgkmcnt(3)
	s_delay_alu instid0(VALU_DEP_1) | instskip(SKIP_1) | instid1(VALU_DEP_1)
	v_max3_f32 v66, v66, v91, v92
	s_waitcnt lgkmcnt(2)
	v_max3_f32 v66, v66, v93, v94
	s_waitcnt lgkmcnt(1)
	s_delay_alu instid0(VALU_DEP_1) | instskip(NEXT) | instid1(VALU_DEP_1)
	v_max3_f32 v66, v66, v95, v96
	v_sub_f32_e32 v67, v89, v66
	v_sub_f32_e32 v91, v91, v66
	;; [unrolled: 1-line block ×3, first 2 shown]
	s_delay_alu instid0(VALU_DEP_3) | instskip(NEXT) | instid1(VALU_DEP_3)
	v_mul_f32_e32 v67, 0x3fb8aa3b, v67
	v_mul_f32_e32 v101, 0x3fb8aa3b, v91
	s_delay_alu instid0(VALU_DEP_3) | instskip(NEXT) | instid1(VALU_DEP_3)
	v_mul_f32_e32 v103, 0x3fb8aa3b, v93
	v_exp_f32_e32 v100, v67
	v_sub_f32_e32 v67, v92, v66
	v_sub_f32_e32 v99, v90, v66
	ds_load_2addr_b32 v[89:90], v81 offset0:170 offset1:187
	ds_load_2addr_b32 v[91:92], v81 offset0:204 offset1:221
	v_exp_f32_e32 v101, v101
	v_mul_f32_e32 v102, 0x3fb8aa3b, v67
	v_mul_f32_e32 v99, 0x3fb8aa3b, v99
	s_waitcnt lgkmcnt(2)
	v_fma_f32 v67, v100, v97, 0
	v_sub_f32_e32 v97, v94, v66
	s_delay_alu instid0(VALU_DEP_3)
	v_exp_f32_e32 v99, v99
	v_exp_f32_e32 v102, v102
	ds_load_2addr_b32 v[93:94], v81 offset0:238 offset1:255
	v_sub_f32_e32 v81, v95, v66
	v_mul_f32_e32 v95, 0x3fb8aa3b, v97
	v_exp_f32_e32 v97, v103
	s_waitcnt lgkmcnt(0)
	s_barrier
	v_mul_f32_e32 v81, 0x3fb8aa3b, v81
	v_exp_f32_e32 v95, v95
	v_fmac_f32_e32 v67, v99, v98
	buffer_gl0_inv
	v_exp_f32_e32 v81, v81
	v_fmac_f32_e32 v67, v101, v89
	v_sub_f32_e32 v89, v96, v66
	s_delay_alu instid0(VALU_DEP_2) | instskip(NEXT) | instid1(VALU_DEP_2)
	v_fmac_f32_e32 v67, v102, v90
	v_mul_f32_e32 v89, 0x3fb8aa3b, v89
	s_delay_alu instid0(VALU_DEP_2) | instskip(NEXT) | instid1(VALU_DEP_2)
	v_fmac_f32_e32 v67, v97, v91
	v_exp_f32_e32 v89, v89
	s_delay_alu instid0(VALU_DEP_1)
	v_fmac_f32_e32 v67, v95, v92
	s_delay_alu instid0(TRANS32_DEP_2) | instid1(VALU_DEP_1)
	v_fmac_f32_e32 v67, v81, v93
	s_waitcnt_depctr 0xfff
	v_fmac_f32_e32 v67, v89, v94
	s_delay_alu instid0(VALU_DEP_1) | instskip(NEXT) | instid1(VALU_DEP_1)
	v_add_f32_e32 v90, 0x358637bd, v67
	v_div_scale_f32 v91, null, v90, v90, 1.0
	v_div_scale_f32 v94, s3, 1.0, v90, 1.0
	s_delay_alu instid0(VALU_DEP_2) | instskip(SKIP_2) | instid1(VALU_DEP_1)
	v_rcp_f32_e32 v92, v91
	s_waitcnt_depctr 0xfff
	v_fma_f32 v93, -v91, v92, 1.0
	v_dual_fmac_f32 v92, v93, v92 :: v_dual_cndmask_b32 v93, v100, v99
	v_cmp_eq_u32_e32 vcc_lo, 3, v65
	s_delay_alu instid0(VALU_DEP_2) | instskip(NEXT) | instid1(VALU_DEP_3)
	v_mul_f32_e32 v96, v94, v92
	v_cndmask_b32_e64 v93, v93, v101, s2
	v_cmp_eq_u32_e64 s2, 4, v65
	s_delay_alu instid0(VALU_DEP_3) | instskip(NEXT) | instid1(VALU_DEP_3)
	v_fma_f32 v98, -v91, v96, v94
	v_cndmask_b32_e32 v93, v93, v102, vcc_lo
	v_cmp_eq_u32_e32 vcc_lo, 5, v65
	s_delay_alu instid0(VALU_DEP_3) | instskip(NEXT) | instid1(VALU_DEP_3)
	v_fmac_f32_e32 v96, v98, v92
	v_cndmask_b32_e64 v93, v93, v97, s2
	v_cmp_eq_u32_e64 s2, 6, v65
	s_delay_alu instid0(VALU_DEP_3) | instskip(NEXT) | instid1(VALU_DEP_3)
	v_fma_f32 v91, -v91, v96, v94
	v_cndmask_b32_e32 v93, v93, v95, vcc_lo
	s_mov_b32 vcc_lo, s3
	s_delay_alu instid0(VALU_DEP_2) | instskip(NEXT) | instid1(VALU_DEP_2)
	v_div_fmas_f32 v91, v91, v92, v96
	v_cndmask_b32_e64 v81, v93, v81, s2
	s_mov_b32 s2, exec_lo
	s_delay_alu instid0(VALU_DEP_2) | instskip(NEXT) | instid1(VALU_DEP_2)
	v_div_fixup_f32 v90, v91, v90, 1.0
	v_cndmask_b32_e64 v81, v81, v89, s4
	s_delay_alu instid0(VALU_DEP_1) | instskip(NEXT) | instid1(VALU_DEP_1)
	v_mul_f32_e32 v81, v81, v90
	v_mul_f32_e32 v90, v81, v82
	;; [unrolled: 1-line block ×6, first 2 shown]
	v_dual_mul_f32 v86, v81, v83 :: v_dual_and_b32 v91, 0x7f800000, v90
	v_mul_f32_e32 v89, v81, v85
	v_mul_f32_e32 v85, v81, v77
                                        ; implicit-def: $vgpr77
	s_delay_alu instid0(VALU_DEP_3)
	v_cmpx_ne_u32_e32 0x7f800000, v91
	s_xor_b32 s2, exec_lo, s2
; %bb.13:
	v_bfe_u32 v77, v90, 16, 1
	s_delay_alu instid0(VALU_DEP_1)
	v_add3_u32 v77, v90, v77, 0x7fff
                                        ; implicit-def: $vgpr90
; %bb.14:
	s_and_not1_saveexec_b32 s2, s2
; %bb.15:
	v_and_b32_e32 v77, 0xffff, v90
	v_or_b32_e32 v83, 0x10000, v90
	s_delay_alu instid0(VALU_DEP_2) | instskip(NEXT) | instid1(VALU_DEP_2)
	v_cmp_eq_u32_e32 vcc_lo, 0, v77
	v_cndmask_b32_e32 v77, v83, v90, vcc_lo
; %bb.16:
	s_or_b32 exec_lo, exec_lo, s2
	v_and_b32_e32 v83, 0x7f800000, v85
	s_delay_alu instid0(VALU_DEP_1) | instskip(SKIP_1) | instid1(SALU_CYCLE_1)
	v_cmp_ne_u32_e32 vcc_lo, 0x7f800000, v83
                                        ; implicit-def: $vgpr83
	s_and_saveexec_b32 s2, vcc_lo
	s_xor_b32 s2, exec_lo, s2
; %bb.17:
	v_bfe_u32 v83, v85, 16, 1
	s_delay_alu instid0(VALU_DEP_1)
	v_add3_u32 v83, v85, v83, 0x7fff
                                        ; implicit-def: $vgpr85
; %bb.18:
	s_and_not1_saveexec_b32 s2, s2
; %bb.19:
	v_and_b32_e32 v83, 0xffff, v85
	v_or_b32_e32 v90, 0x10000, v85
	s_delay_alu instid0(VALU_DEP_2) | instskip(NEXT) | instid1(VALU_DEP_2)
	v_cmp_eq_u32_e32 vcc_lo, 0, v83
	v_cndmask_b32_e32 v83, v90, v85, vcc_lo
; %bb.20:
	s_or_b32 exec_lo, exec_lo, s2
	v_and_b32_e32 v85, 0x7f800000, v86
	s_delay_alu instid0(VALU_DEP_1) | instskip(SKIP_1) | instid1(SALU_CYCLE_1)
	v_cmp_ne_u32_e32 vcc_lo, 0x7f800000, v85
                                        ; implicit-def: $vgpr85
	s_and_saveexec_b32 s2, vcc_lo
	s_xor_b32 s2, exec_lo, s2
; %bb.21:
	v_bfe_u32 v85, v86, 16, 1
	s_delay_alu instid0(VALU_DEP_1)
	v_add3_u32 v85, v86, v85, 0x7fff
                                        ; implicit-def: $vgpr86
; %bb.22:
	s_and_not1_saveexec_b32 s2, s2
; %bb.23:
	v_and_b32_e32 v85, 0xffff, v86
	v_or_b32_e32 v90, 0x10000, v86
	s_delay_alu instid0(VALU_DEP_2) | instskip(NEXT) | instid1(VALU_DEP_2)
	v_cmp_eq_u32_e32 vcc_lo, 0, v85
	v_cndmask_b32_e32 v85, v90, v86, vcc_lo
; %bb.24:
	s_or_b32 exec_lo, exec_lo, s2
	v_and_b32_e32 v86, 0x7f800000, v89
	s_delay_alu instid0(VALU_DEP_1) | instskip(SKIP_1) | instid1(SALU_CYCLE_1)
	v_cmp_ne_u32_e32 vcc_lo, 0x7f800000, v86
                                        ; implicit-def: $vgpr86
	s_and_saveexec_b32 s2, vcc_lo
	s_xor_b32 s2, exec_lo, s2
; %bb.25:
	v_bfe_u32 v86, v89, 16, 1
	s_delay_alu instid0(VALU_DEP_1)
	v_add3_u32 v86, v89, v86, 0x7fff
                                        ; implicit-def: $vgpr89
; %bb.26:
	s_and_not1_saveexec_b32 s2, s2
; %bb.27:
	v_and_b32_e32 v86, 0xffff, v89
	v_or_b32_e32 v90, 0x10000, v89
	s_delay_alu instid0(VALU_DEP_2) | instskip(NEXT) | instid1(VALU_DEP_2)
	v_cmp_eq_u32_e32 vcc_lo, 0, v86
	v_cndmask_b32_e32 v86, v90, v89, vcc_lo
; %bb.28:
	s_or_b32 exec_lo, exec_lo, s2
	v_and_b32_e32 v89, 0x7f800000, v88
	s_delay_alu instid0(VALU_DEP_1) | instskip(SKIP_1) | instid1(SALU_CYCLE_1)
	v_cmp_ne_u32_e32 vcc_lo, 0x7f800000, v89
                                        ; implicit-def: $vgpr89
	s_and_saveexec_b32 s2, vcc_lo
	s_xor_b32 s2, exec_lo, s2
; %bb.29:
	v_bfe_u32 v89, v88, 16, 1
	s_delay_alu instid0(VALU_DEP_1)
	v_add3_u32 v89, v88, v89, 0x7fff
                                        ; implicit-def: $vgpr88
; %bb.30:
	s_and_not1_saveexec_b32 s2, s2
; %bb.31:
	v_and_b32_e32 v89, 0xffff, v88
	v_or_b32_e32 v90, 0x10000, v88
	s_delay_alu instid0(VALU_DEP_2) | instskip(NEXT) | instid1(VALU_DEP_2)
	v_cmp_eq_u32_e32 vcc_lo, 0, v89
	v_cndmask_b32_e32 v89, v90, v88, vcc_lo
; %bb.32:
	s_or_b32 exec_lo, exec_lo, s2
	v_and_b32_e32 v88, 0x7f800000, v87
	s_delay_alu instid0(VALU_DEP_1) | instskip(SKIP_1) | instid1(SALU_CYCLE_1)
	v_cmp_ne_u32_e32 vcc_lo, 0x7f800000, v88
                                        ; implicit-def: $vgpr88
	s_and_saveexec_b32 s2, vcc_lo
	s_xor_b32 s2, exec_lo, s2
; %bb.33:
	v_bfe_u32 v88, v87, 16, 1
	s_delay_alu instid0(VALU_DEP_1)
	v_add3_u32 v88, v87, v88, 0x7fff
                                        ; implicit-def: $vgpr87
; %bb.34:
	s_and_not1_saveexec_b32 s2, s2
; %bb.35:
	v_and_b32_e32 v88, 0xffff, v87
	v_or_b32_e32 v90, 0x10000, v87
	s_delay_alu instid0(VALU_DEP_2) | instskip(NEXT) | instid1(VALU_DEP_2)
	v_cmp_eq_u32_e32 vcc_lo, 0, v88
	v_cndmask_b32_e32 v88, v90, v87, vcc_lo
; %bb.36:
	s_or_b32 exec_lo, exec_lo, s2
	v_and_b32_e32 v87, 0x7f800000, v84
	s_delay_alu instid0(VALU_DEP_1) | instskip(SKIP_1) | instid1(SALU_CYCLE_1)
	v_cmp_ne_u32_e32 vcc_lo, 0x7f800000, v87
                                        ; implicit-def: $vgpr87
	s_and_saveexec_b32 s2, vcc_lo
	s_xor_b32 s2, exec_lo, s2
; %bb.37:
	v_bfe_u32 v87, v84, 16, 1
	s_delay_alu instid0(VALU_DEP_1)
	v_add3_u32 v87, v84, v87, 0x7fff
                                        ; implicit-def: $vgpr84
; %bb.38:
	s_and_not1_saveexec_b32 s2, s2
; %bb.39:
	v_and_b32_e32 v87, 0xffff, v84
	v_or_b32_e32 v90, 0x10000, v84
	s_delay_alu instid0(VALU_DEP_2) | instskip(NEXT) | instid1(VALU_DEP_2)
	v_cmp_eq_u32_e32 vcc_lo, 0, v87
	v_cndmask_b32_e32 v87, v90, v84, vcc_lo
; %bb.40:
	s_or_b32 exec_lo, exec_lo, s2
	v_and_b32_e32 v84, 0x7f800000, v82
	s_delay_alu instid0(VALU_DEP_1) | instskip(SKIP_1) | instid1(SALU_CYCLE_1)
	v_cmp_ne_u32_e32 vcc_lo, 0x7f800000, v84
                                        ; implicit-def: $vgpr84
	s_and_saveexec_b32 s2, vcc_lo
	s_xor_b32 s2, exec_lo, s2
; %bb.41:
	v_bfe_u32 v84, v82, 16, 1
	s_delay_alu instid0(VALU_DEP_1)
	v_add3_u32 v84, v82, v84, 0x7fff
                                        ; implicit-def: $vgpr82
; %bb.42:
	s_and_not1_saveexec_b32 s2, s2
; %bb.43:
	v_and_b32_e32 v84, 0xffff, v82
	v_or_b32_e32 v90, 0x10000, v82
	s_delay_alu instid0(VALU_DEP_2) | instskip(NEXT) | instid1(VALU_DEP_2)
	v_cmp_eq_u32_e32 vcc_lo, 0, v84
	v_cndmask_b32_e32 v84, v90, v82, vcc_lo
; %bb.44:
	s_or_b32 exec_lo, exec_lo, s2
	s_load_b64 s[34:35], s[0:1], 0x94
	v_lshlrev_b32_e32 v82, 4, v74
	s_delay_alu instid0(VALU_DEP_2)
	v_perm_b32 v90, v84, v87, 0x7060302
	v_lshlrev_b32_e32 v84, 11, v65
	v_perm_b32 v87, v83, v77, 0x7060302
	v_mul_f32_e32 v83, v81, v69
	v_mul_f32_e32 v69, v81, v80
	v_perm_b32 v89, v88, v89, 0x7060302
	v_perm_b32 v88, v86, v85, 0x7060302
	v_or3_b32 v77, v82, v84, v76
	v_mul_f32_e32 v79, v81, v79
	v_mul_f32_e32 v78, v81, v78
	v_and_b32_e32 v84, 0x7f800000, v83
	v_mul_f32_e32 v72, v81, v72
	v_mul_f32_e32 v82, v81, v71
	;; [unrolled: 1-line block ×4, first 2 shown]
	s_mov_b32 s2, exec_lo
	ds_store_b128 v77, v[87:90]
                                        ; implicit-def: $vgpr68
	v_cmpx_ne_u32_e32 0x7f800000, v84
	s_xor_b32 s2, exec_lo, s2
; %bb.45:
	v_bfe_u32 v68, v83, 16, 1
	s_delay_alu instid0(VALU_DEP_1)
	v_add3_u32 v68, v83, v68, 0x7fff
                                        ; implicit-def: $vgpr83
; %bb.46:
	s_and_not1_saveexec_b32 s2, s2
; %bb.47:
	v_and_b32_e32 v68, 0xffff, v83
	v_or_b32_e32 v70, 0x10000, v83
	s_delay_alu instid0(VALU_DEP_2) | instskip(NEXT) | instid1(VALU_DEP_2)
	v_cmp_eq_u32_e32 vcc_lo, 0, v68
	v_cndmask_b32_e32 v68, v70, v83, vcc_lo
; %bb.48:
	s_or_b32 exec_lo, exec_lo, s2
	v_and_b32_e32 v70, 0x7f800000, v71
	s_delay_alu instid0(VALU_DEP_1) | instskip(SKIP_1) | instid1(SALU_CYCLE_1)
	v_cmp_ne_u32_e32 vcc_lo, 0x7f800000, v70
                                        ; implicit-def: $vgpr70
	s_and_saveexec_b32 s2, vcc_lo
	s_xor_b32 s2, exec_lo, s2
; %bb.49:
	v_bfe_u32 v70, v71, 16, 1
	s_delay_alu instid0(VALU_DEP_1)
	v_add3_u32 v70, v71, v70, 0x7fff
                                        ; implicit-def: $vgpr71
; %bb.50:
	s_and_not1_saveexec_b32 s2, s2
; %bb.51:
	v_and_b32_e32 v70, 0xffff, v71
	v_or_b32_e32 v81, 0x10000, v71
	s_delay_alu instid0(VALU_DEP_2) | instskip(NEXT) | instid1(VALU_DEP_2)
	v_cmp_eq_u32_e32 vcc_lo, 0, v70
	v_cndmask_b32_e32 v70, v81, v71, vcc_lo
; %bb.52:
	s_or_b32 exec_lo, exec_lo, s2
	v_and_b32_e32 v71, 0x7f800000, v80
	s_delay_alu instid0(VALU_DEP_1) | instskip(SKIP_1) | instid1(SALU_CYCLE_1)
	v_cmp_ne_u32_e32 vcc_lo, 0x7f800000, v71
                                        ; implicit-def: $vgpr71
	s_and_saveexec_b32 s2, vcc_lo
	s_xor_b32 s2, exec_lo, s2
; %bb.53:
	v_bfe_u32 v71, v80, 16, 1
	s_delay_alu instid0(VALU_DEP_1)
	v_add3_u32 v71, v80, v71, 0x7fff
                                        ; implicit-def: $vgpr80
; %bb.54:
	s_and_not1_saveexec_b32 s2, s2
; %bb.55:
	v_and_b32_e32 v71, 0xffff, v80
	v_or_b32_e32 v81, 0x10000, v80
	s_delay_alu instid0(VALU_DEP_2) | instskip(NEXT) | instid1(VALU_DEP_2)
	v_cmp_eq_u32_e32 vcc_lo, 0, v71
	v_cndmask_b32_e32 v71, v81, v80, vcc_lo
; %bb.56:
	s_or_b32 exec_lo, exec_lo, s2
	v_and_b32_e32 v80, 0x7f800000, v82
	s_delay_alu instid0(VALU_DEP_1) | instskip(SKIP_1) | instid1(SALU_CYCLE_1)
	v_cmp_ne_u32_e32 vcc_lo, 0x7f800000, v80
                                        ; implicit-def: $vgpr80
	s_and_saveexec_b32 s2, vcc_lo
	s_xor_b32 s2, exec_lo, s2
; %bb.57:
	v_bfe_u32 v80, v82, 16, 1
	s_delay_alu instid0(VALU_DEP_1)
	v_add3_u32 v80, v82, v80, 0x7fff
                                        ; implicit-def: $vgpr82
; %bb.58:
	s_and_not1_saveexec_b32 s2, s2
; %bb.59:
	v_and_b32_e32 v80, 0xffff, v82
	v_or_b32_e32 v81, 0x10000, v82
	s_delay_alu instid0(VALU_DEP_2) | instskip(NEXT) | instid1(VALU_DEP_2)
	v_cmp_eq_u32_e32 vcc_lo, 0, v80
	v_cndmask_b32_e32 v80, v81, v82, vcc_lo
; %bb.60:
	s_or_b32 exec_lo, exec_lo, s2
	v_and_b32_e32 v81, 0x7f800000, v72
	s_delay_alu instid0(VALU_DEP_1) | instskip(SKIP_1) | instid1(SALU_CYCLE_1)
	v_cmp_ne_u32_e32 vcc_lo, 0x7f800000, v81
                                        ; implicit-def: $vgpr81
	s_and_saveexec_b32 s2, vcc_lo
	s_xor_b32 s2, exec_lo, s2
; %bb.61:
	v_bfe_u32 v81, v72, 16, 1
	s_delay_alu instid0(VALU_DEP_1)
	v_add3_u32 v81, v72, v81, 0x7fff
                                        ; implicit-def: $vgpr72
; %bb.62:
	s_and_not1_saveexec_b32 s2, s2
; %bb.63:
	v_and_b32_e32 v81, 0xffff, v72
	v_or_b32_e32 v82, 0x10000, v72
	s_delay_alu instid0(VALU_DEP_2) | instskip(NEXT) | instid1(VALU_DEP_2)
	v_cmp_eq_u32_e32 vcc_lo, 0, v81
	v_cndmask_b32_e32 v81, v82, v72, vcc_lo
; %bb.64:
	s_or_b32 exec_lo, exec_lo, s2
	v_and_b32_e32 v72, 0x7f800000, v78
	s_delay_alu instid0(VALU_DEP_1) | instskip(SKIP_1) | instid1(SALU_CYCLE_1)
	v_cmp_ne_u32_e32 vcc_lo, 0x7f800000, v72
                                        ; implicit-def: $vgpr72
	s_and_saveexec_b32 s2, vcc_lo
	s_xor_b32 s2, exec_lo, s2
; %bb.65:
	v_bfe_u32 v72, v78, 16, 1
	s_delay_alu instid0(VALU_DEP_1)
	v_add3_u32 v72, v78, v72, 0x7fff
                                        ; implicit-def: $vgpr78
; %bb.66:
	s_and_not1_saveexec_b32 s2, s2
; %bb.67:
	v_and_b32_e32 v72, 0xffff, v78
	v_or_b32_e32 v82, 0x10000, v78
	s_delay_alu instid0(VALU_DEP_2) | instskip(NEXT) | instid1(VALU_DEP_2)
	v_cmp_eq_u32_e32 vcc_lo, 0, v72
	v_cndmask_b32_e32 v72, v82, v78, vcc_lo
; %bb.68:
	s_or_b32 exec_lo, exec_lo, s2
	v_and_b32_e32 v78, 0x7f800000, v79
	s_delay_alu instid0(VALU_DEP_1) | instskip(SKIP_1) | instid1(SALU_CYCLE_1)
	v_cmp_ne_u32_e32 vcc_lo, 0x7f800000, v78
                                        ; implicit-def: $vgpr78
	s_and_saveexec_b32 s2, vcc_lo
	s_xor_b32 s2, exec_lo, s2
; %bb.69:
	v_bfe_u32 v78, v79, 16, 1
	s_delay_alu instid0(VALU_DEP_1)
	v_add3_u32 v78, v79, v78, 0x7fff
                                        ; implicit-def: $vgpr79
; %bb.70:
	s_and_not1_saveexec_b32 s2, s2
; %bb.71:
	v_and_b32_e32 v78, 0xffff, v79
	v_or_b32_e32 v82, 0x10000, v79
	s_delay_alu instid0(VALU_DEP_2) | instskip(NEXT) | instid1(VALU_DEP_2)
	v_cmp_eq_u32_e32 vcc_lo, 0, v78
	v_cndmask_b32_e32 v78, v82, v79, vcc_lo
; %bb.72:
	s_or_b32 exec_lo, exec_lo, s2
	v_and_b32_e32 v79, 0x7f800000, v69
	s_delay_alu instid0(VALU_DEP_1) | instskip(SKIP_1) | instid1(SALU_CYCLE_1)
	v_cmp_ne_u32_e32 vcc_lo, 0x7f800000, v79
                                        ; implicit-def: $vgpr79
	s_and_saveexec_b32 s2, vcc_lo
	s_xor_b32 s2, exec_lo, s2
; %bb.73:
	v_bfe_u32 v79, v69, 16, 1
	s_delay_alu instid0(VALU_DEP_1)
	v_add3_u32 v79, v69, v79, 0x7fff
                                        ; implicit-def: $vgpr69
; %bb.74:
	s_and_not1_saveexec_b32 s2, s2
; %bb.75:
	v_and_b32_e32 v79, 0xffff, v69
	v_or_b32_e32 v82, 0x10000, v69
	s_delay_alu instid0(VALU_DEP_2) | instskip(NEXT) | instid1(VALU_DEP_2)
	v_cmp_eq_u32_e32 vcc_lo, 0, v79
	v_cndmask_b32_e32 v79, v82, v69, vcc_lo
; %bb.76:
	s_or_b32 exec_lo, exec_lo, s2
	s_delay_alu instid0(VALU_DEP_1)
	v_perm_b32 v86, v79, v78, 0x7060302
	v_perm_b32 v85, v72, v81, 0x7060302
	;; [unrolled: 1-line block ×4, first 2 shown]
	v_lshl_or_b32 v82, v65, 11, v76
	v_lshlrev_b32_e32 v79, 2, v74
	ds_store_b128 v77, v[83:86] offset:1024
	s_waitcnt lgkmcnt(0)
	s_barrier
	buffer_gl0_inv
	ds_load_b128 v[68:71], v82
	ds_load_b128 v[83:86], v82 offset:16
	v_or_b32_e32 v80, 1, v79
	v_cmp_eq_u32_e32 vcc_lo, 1, v79
	v_cmp_eq_u32_e64 s3, 2, v79
	v_cmp_eq_u32_e64 s6, 3, v79
	;; [unrolled: 1-line block ×6, first 2 shown]
	v_or_b32_e32 v78, 2, v79
	v_cmp_eq_u32_e64 s9, 5, v79
	v_cmp_eq_u32_e64 s10, 4, v80
	;; [unrolled: 1-line block ×9, first 2 shown]
	s_waitcnt lgkmcnt(1)
	v_lshrrev_b32_e32 v65, 16, v68
	s_waitcnt lgkmcnt(0)
	v_lshrrev_b32_e32 v91, 16, v83
	v_lshrrev_b32_e32 v72, 16, v69
	;; [unrolled: 1-line block ×4, first 2 shown]
	v_cndmask_b32_e32 v81, v68, v65, vcc_lo
	v_cndmask_b32_e32 v87, v83, v91, vcc_lo
	v_cndmask_b32_e64 v88, v68, v65, s2
	v_lshrrev_b32_e32 v98, 16, v85
	v_cndmask_b32_e64 v89, v83, v91, s2
	v_cndmask_b32_e64 v81, v81, v69, s3
	v_cndmask_b32_e64 v87, v87, v84, s3
	v_cndmask_b32_e64 v88, v88, v69, s5
	v_lshrrev_b32_e32 v96, 16, v71
	v_cndmask_b32_e64 v89, v89, v84, s5
	v_cndmask_b32_e64 v81, v81, v72, s6
	v_cndmask_b32_e64 v87, v87, v97, s6
	;; [unrolled: 5-line block ×3, first 2 shown]
	v_cndmask_b32_e64 v88, v88, v70, s10
	v_cndmask_b32_e64 v89, v89, v97, s7
	v_cmp_eq_u32_e64 s18, 3, v78
	v_cndmask_b32_e64 v81, v81, v95, s9
	v_cndmask_b32_e64 v87, v87, v98, s9
	;; [unrolled: 1-line block ×4, first 2 shown]
	v_cmp_eq_u32_e64 s19, 4, v78
	v_cndmask_b32_e64 v81, v81, v71, s11
	v_cndmask_b32_e64 v87, v87, v86, s11
	v_cndmask_b32_e64 v88, v88, v71, s15
	v_cmp_eq_u32_e64 s21, 5, v78
	v_cmp_eq_u32_e64 s23, 6, v78
	v_cndmask_b32_e64 v100, v81, v96, s13
	v_cndmask_b32_e64 v101, v87, v99, s13
	;; [unrolled: 1-line block ×6, first 2 shown]
	v_cmp_eq_u32_e64 s26, 7, v78
	v_cndmask_b32_e64 v89, v81, v72, s18
	v_cndmask_b32_e64 v87, v87, v84, s16
	v_or_b32_e32 v81, 3, v79
	v_cndmask_b32_e64 v103, v88, v86, s15
	s_delay_alu instid0(VALU_DEP_4) | instskip(NEXT) | instid1(VALU_DEP_4)
	v_cndmask_b32_e64 v92, v89, v70, s19
	v_cndmask_b32_e64 v93, v87, v97, s18
	s_delay_alu instid0(VALU_DEP_4)
	v_cmp_eq_u32_e64 s20, 1, v81
	ds_load_b128 v[87:90], v82 offset:1024
	v_cmp_eq_u32_e64 s22, 2, v81
	v_cndmask_b32_e64 v104, v92, v95, s21
	v_cmp_eq_u32_e64 s24, 3, v81
	v_cndmask_b32_e64 v65, v68, v65, s20
	v_cndmask_b32_e64 v68, v93, v85, s19
	;; [unrolled: 1-line block ×3, first 2 shown]
	ds_load_b128 v[91:94], v82 offset:1040
	v_cmp_eq_u32_e64 s25, 4, v81
	v_cndmask_b32_e64 v65, v65, v69, s22
	v_cmp_eq_u32_e64 s27, 5, v81
	v_cndmask_b32_e64 v69, v83, v84, s22
	;; [unrolled: 2-line block ×3, first 2 shown]
	v_cndmask_b32_e64 v65, v65, v72, s24
	v_cndmask_b32_e64 v72, v104, v71, s23
	;; [unrolled: 1-line block ×6, first 2 shown]
	s_waitcnt lgkmcnt(1)
	v_lshrrev_b32_e32 v84, 16, v87
	v_cndmask_b32_e64 v69, v69, v85, s25
	v_cndmask_b32_e64 v70, v72, v96, s26
	;; [unrolled: 1-line block ×4, first 2 shown]
	v_cndmask_b32_e32 v72, v87, v84, vcc_lo
	v_cndmask_b32_e64 v69, v69, v98, s27
	s_waitcnt lgkmcnt(0)
	v_lshrrev_b32_e32 v85, 16, v91
	v_lshrrev_b32_e32 v95, 16, v88
	v_cndmask_b32_e64 v97, v87, v84, s2
	v_cndmask_b32_e64 v72, v72, v88, s3
	;; [unrolled: 1-line block ×3, first 2 shown]
	v_cndmask_b32_e32 v98, v91, v85, vcc_lo
	v_cmp_eq_u32_e32 vcc_lo, 7, v81
	v_cndmask_b32_e64 v69, v69, v86, s28
	v_cndmask_b32_e64 v71, v72, v95, s6
	;; [unrolled: 1-line block ×3, first 2 shown]
	v_lshrrev_b32_e32 v97, 16, v92
	v_cndmask_b32_e32 v65, v65, v96, vcc_lo
	v_cndmask_b32_e64 v86, v98, v92, s3
	v_cndmask_b32_e32 v69, v69, v99, vcc_lo
	v_lshrrev_b32_e32 v99, 16, v93
	v_cndmask_b32_e64 v71, v71, v89, s8
	v_lshrrev_b32_e32 v98, 16, v89
	v_cndmask_b32_e64 v86, v86, v97, s6
	v_perm_b32 v70, v68, v70, 0x5040100
	v_cndmask_b32_e64 v72, v72, v95, s7
	s_delay_alu instid0(VALU_DEP_4) | instskip(NEXT) | instid1(VALU_DEP_4)
	v_cndmask_b32_e64 v96, v71, v98, s9
	v_cndmask_b32_e64 v86, v86, v93, s8
	v_perm_b32 v71, v69, v65, 0x5040100
	v_perm_b32 v69, v83, v102, 0x5040100
	v_cndmask_b32_e64 v102, v91, v85, s4
	v_cndmask_b32_e64 v72, v72, v89, s10
	;; [unrolled: 1-line block ×3, first 2 shown]
	v_lshrrev_b32_e32 v83, 16, v94
	s_delay_alu instid0(VALU_DEP_3) | instskip(NEXT) | instid1(VALU_DEP_3)
	v_cndmask_b32_e64 v65, v72, v98, s12
	v_cndmask_b32_e64 v68, v86, v94, s11
	;; [unrolled: 1-line block ×27, first 2 shown]
	v_lshrrev_b32_e32 v96, 16, v90
	v_cndmask_b32_e64 v65, v65, v90, s15
	v_cndmask_b32_e64 v86, v86, v90, s23
	;; [unrolled: 1-line block ×9, first 2 shown]
	v_cndmask_b32_e32 v84, v84, v96, vcc_lo
	v_cndmask_b32_e32 v86, v87, v83, vcc_lo
	v_cndmask_b32_e64 v87, v88, v83, s26
	v_cndmask_b32_e64 v88, v85, v83, s17
	;; [unrolled: 1-line block ×3, first 2 shown]
	v_perm_b32 v68, v101, v100, 0x5040100
	v_perm_b32 v86, v86, v84, 0x5040100
	;; [unrolled: 1-line block ×5, first 2 shown]
	s_lshl_b32 s7, s35, 4
	s_mov_b32 s2, exec_lo
	ds_store_b128 v77, v[68:71]
	ds_store_b128 v77, v[83:86] offset:1024
	v_cmpx_gt_u32_e32 16, v0
	s_cbranch_execz .LBB1561_78
; %bb.77:
	v_or_b32_e32 v65, s29, v0
	s_load_b128 s[8:11], s[0:1], 0x58
	s_delay_alu instid0(VALU_DEP_1) | instskip(NEXT) | instid1(VALU_DEP_1)
	v_mad_u64_u32 v[68:69], null, s7, s30, v[65:66]
	v_mad_u64_u32 v[69:70], null, v68, s34, s[14:15]
	s_delay_alu instid0(VALU_DEP_1) | instskip(NEXT) | instid1(VALU_DEP_1)
	v_ashrrev_i32_e32 v70, 31, v69
	v_lshlrev_b64 v[68:69], 2, v[69:70]
	s_waitcnt lgkmcnt(0)
	s_delay_alu instid0(VALU_DEP_1) | instskip(NEXT) | instid1(VALU_DEP_2)
	v_add_co_u32 v70, vcc_lo, s10, v68
	v_add_co_ci_u32_e32 v71, vcc_lo, s11, v69, vcc_lo
	v_add_co_u32 v68, vcc_lo, s8, v68
	v_add_co_ci_u32_e32 v69, vcc_lo, s9, v69, vcc_lo
	global_store_b32 v[70:71], v66, off
	global_store_b32 v[68:69], v67, off
.LBB1561_78:
	s_or_b32 exec_lo, exec_lo, s2
	s_waitcnt lgkmcnt(0)
	s_waitcnt_vscnt null, 0x0
	s_barrier
	buffer_gl0_inv
	ds_load_b128 v[83:86], v76
	ds_load_b128 v[87:90], v76 offset:16
	ds_load_b128 v[95:98], v76 offset:2064
	ds_load_b128 v[91:94], v76 offset:2048
	v_mov_b32_e32 v65, 0
	ds_load_b128 v[103:106], v76 offset:4112
	ds_load_b128 v[99:102], v76 offset:4096
	;; [unrolled: 1-line block ×4, first 2 shown]
	v_mov_b32_e32 v66, v65
	v_mov_b32_e32 v67, v65
	;; [unrolled: 1-line block ×7, first 2 shown]
	s_waitcnt lgkmcnt(6)
	s_delay_alu instid0(VALU_DEP_1)
	v_wmma_f32_16x16x16_bf16 v[65:72], v[49:56], v[83:90], v[65:72]
	ds_load_b128 v[53:56], v76 offset:8208
	ds_load_b128 v[49:52], v76 offset:8192
	s_waitcnt lgkmcnt(6)
	v_wmma_f32_16x16x16_bf16 v[65:72], v[41:48], v[91:98], v[65:72]
	ds_load_b128 v[45:48], v76 offset:10256
	ds_load_b128 v[41:44], v76 offset:10240
	s_waitcnt lgkmcnt(6)
	;; [unrolled: 4-line block ×4, first 2 shown]
	v_wmma_f32_16x16x16_bf16 v[65:72], v[1:8], v[49:56], v[65:72]
	s_waitcnt lgkmcnt(4)
	s_delay_alu instid0(VALU_DEP_1) | instskip(SKIP_1) | instid1(VALU_DEP_1)
	v_wmma_f32_16x16x16_bf16 v[65:72], v[9:16], v[41:48], v[65:72]
	s_waitcnt lgkmcnt(2)
	v_wmma_f32_16x16x16_bf16 v[65:72], v[17:24], v[33:40], v[65:72]
	s_waitcnt lgkmcnt(0)
	s_delay_alu instid0(VALU_DEP_1) | instskip(NEXT) | instid1(VALU_DEP_1)
	v_wmma_f32_16x16x16_bf16 v[65:72], v[57:64], v[25:32], v[65:72]
	v_and_b32_e32 v1, 0x7f800000, v65
	s_delay_alu instid0(VALU_DEP_1) | instskip(SKIP_1) | instid1(SALU_CYCLE_1)
	v_cmp_ne_u32_e32 vcc_lo, 0x7f800000, v1
                                        ; implicit-def: $vgpr1
	s_and_saveexec_b32 s2, vcc_lo
	s_xor_b32 s2, exec_lo, s2
; %bb.79:
	v_bfe_u32 v1, v65, 16, 1
	s_delay_alu instid0(VALU_DEP_1)
	v_add3_u32 v1, v65, v1, 0x7fff
; %bb.80:
	s_and_not1_saveexec_b32 s2, s2
; %bb.81:
	v_and_b32_e32 v1, 0xffff, v65
	v_or_b32_e32 v2, 0x10000, v65
	s_delay_alu instid0(VALU_DEP_2) | instskip(NEXT) | instid1(VALU_DEP_2)
	v_cmp_eq_u32_e32 vcc_lo, 0, v1
	v_cndmask_b32_e32 v1, v2, v65, vcc_lo
; %bb.82:
	s_or_b32 exec_lo, exec_lo, s2
	v_and_b32_e32 v2, 0x7f800000, v66
	s_delay_alu instid0(VALU_DEP_1) | instskip(SKIP_1) | instid1(SALU_CYCLE_1)
	v_cmp_ne_u32_e32 vcc_lo, 0x7f800000, v2
                                        ; implicit-def: $vgpr2
	s_and_saveexec_b32 s2, vcc_lo
	s_xor_b32 s2, exec_lo, s2
; %bb.83:
	v_bfe_u32 v2, v66, 16, 1
	s_delay_alu instid0(VALU_DEP_1)
	v_add3_u32 v2, v66, v2, 0x7fff
; %bb.84:
	s_and_not1_saveexec_b32 s2, s2
; %bb.85:
	v_and_b32_e32 v2, 0xffff, v66
	v_or_b32_e32 v3, 0x10000, v66
	s_delay_alu instid0(VALU_DEP_2) | instskip(NEXT) | instid1(VALU_DEP_2)
	v_cmp_eq_u32_e32 vcc_lo, 0, v2
	v_cndmask_b32_e32 v2, v3, v66, vcc_lo
; %bb.86:
	s_or_b32 exec_lo, exec_lo, s2
	v_and_b32_e32 v3, 0x7f800000, v67
	s_delay_alu instid0(VALU_DEP_1) | instskip(SKIP_1) | instid1(SALU_CYCLE_1)
	v_cmp_ne_u32_e32 vcc_lo, 0x7f800000, v3
                                        ; implicit-def: $vgpr3
	s_and_saveexec_b32 s2, vcc_lo
	s_xor_b32 s2, exec_lo, s2
; %bb.87:
	v_bfe_u32 v3, v67, 16, 1
	s_delay_alu instid0(VALU_DEP_1)
	v_add3_u32 v3, v67, v3, 0x7fff
; %bb.88:
	s_and_not1_saveexec_b32 s2, s2
; %bb.89:
	v_and_b32_e32 v3, 0xffff, v67
	v_or_b32_e32 v4, 0x10000, v67
	s_delay_alu instid0(VALU_DEP_2) | instskip(NEXT) | instid1(VALU_DEP_2)
	v_cmp_eq_u32_e32 vcc_lo, 0, v3
	v_cndmask_b32_e32 v3, v4, v67, vcc_lo
; %bb.90:
	s_or_b32 exec_lo, exec_lo, s2
	v_and_b32_e32 v4, 0x7f800000, v68
	s_delay_alu instid0(VALU_DEP_1) | instskip(SKIP_1) | instid1(SALU_CYCLE_1)
	v_cmp_ne_u32_e32 vcc_lo, 0x7f800000, v4
                                        ; implicit-def: $vgpr4
	s_and_saveexec_b32 s2, vcc_lo
	s_xor_b32 s2, exec_lo, s2
; %bb.91:
	v_bfe_u32 v4, v68, 16, 1
	s_delay_alu instid0(VALU_DEP_1)
	v_add3_u32 v4, v68, v4, 0x7fff
; %bb.92:
	s_and_not1_saveexec_b32 s2, s2
; %bb.93:
	v_and_b32_e32 v4, 0xffff, v68
	v_or_b32_e32 v5, 0x10000, v68
	s_delay_alu instid0(VALU_DEP_2) | instskip(NEXT) | instid1(VALU_DEP_2)
	v_cmp_eq_u32_e32 vcc_lo, 0, v4
	v_cndmask_b32_e32 v4, v5, v68, vcc_lo
; %bb.94:
	s_or_b32 exec_lo, exec_lo, s2
	v_and_b32_e32 v5, 0x7f800000, v69
	s_delay_alu instid0(VALU_DEP_1) | instskip(SKIP_1) | instid1(SALU_CYCLE_1)
	v_cmp_ne_u32_e32 vcc_lo, 0x7f800000, v5
                                        ; implicit-def: $vgpr5
	s_and_saveexec_b32 s2, vcc_lo
	s_xor_b32 s2, exec_lo, s2
; %bb.95:
	v_bfe_u32 v5, v69, 16, 1
	s_delay_alu instid0(VALU_DEP_1)
	v_add3_u32 v5, v69, v5, 0x7fff
; %bb.96:
	s_and_not1_saveexec_b32 s2, s2
; %bb.97:
	v_and_b32_e32 v5, 0xffff, v69
	v_or_b32_e32 v6, 0x10000, v69
	s_delay_alu instid0(VALU_DEP_2) | instskip(NEXT) | instid1(VALU_DEP_2)
	v_cmp_eq_u32_e32 vcc_lo, 0, v5
	v_cndmask_b32_e32 v5, v6, v69, vcc_lo
; %bb.98:
	s_or_b32 exec_lo, exec_lo, s2
	v_and_b32_e32 v6, 0x7f800000, v70
	s_delay_alu instid0(VALU_DEP_1) | instskip(SKIP_1) | instid1(SALU_CYCLE_1)
	v_cmp_ne_u32_e32 vcc_lo, 0x7f800000, v6
                                        ; implicit-def: $vgpr6
	s_and_saveexec_b32 s2, vcc_lo
	s_xor_b32 s2, exec_lo, s2
; %bb.99:
	v_bfe_u32 v6, v70, 16, 1
	s_delay_alu instid0(VALU_DEP_1)
	v_add3_u32 v6, v70, v6, 0x7fff
; %bb.100:
	s_and_not1_saveexec_b32 s2, s2
; %bb.101:
	v_and_b32_e32 v6, 0xffff, v70
	v_or_b32_e32 v7, 0x10000, v70
	s_delay_alu instid0(VALU_DEP_2) | instskip(NEXT) | instid1(VALU_DEP_2)
	v_cmp_eq_u32_e32 vcc_lo, 0, v6
	v_cndmask_b32_e32 v6, v7, v70, vcc_lo
; %bb.102:
	s_or_b32 exec_lo, exec_lo, s2
	v_and_b32_e32 v7, 0x7f800000, v71
	s_delay_alu instid0(VALU_DEP_1) | instskip(SKIP_1) | instid1(SALU_CYCLE_1)
	v_cmp_ne_u32_e32 vcc_lo, 0x7f800000, v7
                                        ; implicit-def: $vgpr7
	s_and_saveexec_b32 s2, vcc_lo
	s_xor_b32 s2, exec_lo, s2
; %bb.103:
	v_bfe_u32 v7, v71, 16, 1
	s_delay_alu instid0(VALU_DEP_1)
	v_add3_u32 v7, v71, v7, 0x7fff
; %bb.104:
	s_and_not1_saveexec_b32 s2, s2
; %bb.105:
	v_and_b32_e32 v7, 0xffff, v71
	v_or_b32_e32 v8, 0x10000, v71
	s_delay_alu instid0(VALU_DEP_2) | instskip(NEXT) | instid1(VALU_DEP_2)
	v_cmp_eq_u32_e32 vcc_lo, 0, v7
	v_cndmask_b32_e32 v7, v8, v71, vcc_lo
; %bb.106:
	s_or_b32 exec_lo, exec_lo, s2
	v_and_b32_e32 v8, 0x7f800000, v72
	s_delay_alu instid0(VALU_DEP_1) | instskip(SKIP_1) | instid1(SALU_CYCLE_1)
	v_cmp_ne_u32_e32 vcc_lo, 0x7f800000, v8
                                        ; implicit-def: $vgpr8
	s_and_saveexec_b32 s2, vcc_lo
	s_xor_b32 s2, exec_lo, s2
; %bb.107:
	v_bfe_u32 v8, v72, 16, 1
	s_delay_alu instid0(VALU_DEP_1)
	v_add3_u32 v8, v72, v8, 0x7fff
                                        ; implicit-def: $vgpr65_vgpr66_vgpr67_vgpr68_vgpr69_vgpr70_vgpr71_vgpr72
; %bb.108:
	s_and_not1_saveexec_b32 s2, s2
; %bb.109:
	v_and_b32_e32 v8, 0xffff, v72
	v_or_b32_e32 v9, 0x10000, v72
	s_delay_alu instid0(VALU_DEP_2) | instskip(NEXT) | instid1(VALU_DEP_2)
	v_cmp_eq_u32_e32 vcc_lo, 0, v8
	v_cndmask_b32_e32 v8, v9, v72, vcc_lo
; %bb.110:
	s_or_b32 exec_lo, exec_lo, s2
	s_delay_alu instid0(VALU_DEP_1)
	v_perm_b32 v7, v8, v7, 0x7060302
	v_perm_b32 v6, v6, v5, 0x7060302
	;; [unrolled: 1-line block ×4, first 2 shown]
	s_barrier
	buffer_gl0_inv
	v_cmp_eq_u32_e32 vcc_lo, 1, v79
	ds_store_b128 v77, v[4:7]
	s_waitcnt lgkmcnt(0)
	s_barrier
	buffer_gl0_inv
	ds_load_b128 v[1:4], v82
	ds_load_b128 v[5:8], v82 offset:16
	v_cmp_eq_u32_e64 s2, 1, v80
	v_cmp_eq_u32_e64 s3, 2, v79
	;; [unrolled: 1-line block ×5, first 2 shown]
	s_waitcnt lgkmcnt(1)
	v_lshrrev_b32_e32 v9, 16, v1
	s_waitcnt lgkmcnt(0)
	v_lshrrev_b32_e32 v13, 16, v5
	v_lshrrev_b32_e32 v10, 16, v2
	;; [unrolled: 1-line block ×4, first 2 shown]
	v_cndmask_b32_e64 v19, v1, v9, s2
	v_cndmask_b32_e32 v18, v5, v13, vcc_lo
	v_cndmask_b32_e64 v20, v5, v13, s2
	v_cndmask_b32_e32 v17, v1, v9, vcc_lo
	v_cmp_eq_u32_e32 vcc_lo, 2, v80
	v_lshrrev_b32_e32 v15, 16, v7
	v_cmp_eq_u32_e64 s2, 1, v78
	v_lshrrev_b32_e32 v12, 16, v4
	v_lshrrev_b32_e32 v16, 16, v8
	v_cndmask_b32_e32 v20, v20, v6, vcc_lo
	v_cndmask_b32_e64 v17, v17, v2, s3
	v_cndmask_b32_e32 v19, v19, v2, vcc_lo
	v_cndmask_b32_e64 v18, v18, v6, s3
	v_cmp_eq_u32_e32 vcc_lo, 4, v79
	v_cmp_eq_u32_e64 s3, 3, v80
	v_cndmask_b32_e64 v17, v17, v10, s4
	v_cndmask_b32_e64 v21, v1, v9, s2
	;; [unrolled: 1-line block ×5, first 2 shown]
	v_cndmask_b32_e32 v17, v17, v3, vcc_lo
	v_cndmask_b32_e64 v20, v20, v14, s3
	v_cndmask_b32_e32 v18, v18, v7, vcc_lo
	v_cmp_eq_u32_e32 vcc_lo, 4, v80
	v_cmp_eq_u32_e64 s3, 5, v80
	v_cmp_eq_u32_e64 s2, 2, v81
	v_cndmask_b32_e64 v21, v21, v2, s6
	v_cmp_eq_u32_e64 s4, 5, v79
	v_cndmask_b32_e32 v19, v19, v3, vcc_lo
	v_cndmask_b32_e32 v20, v20, v7, vcc_lo
	v_cmp_eq_u32_e32 vcc_lo, 6, v80
	s_delay_alu instid0(VALU_DEP_4) | instskip(NEXT) | instid1(VALU_DEP_4)
	v_cndmask_b32_e64 v17, v17, v11, s4
	v_cndmask_b32_e64 v19, v19, v11, s3
	s_delay_alu instid0(VALU_DEP_4) | instskip(SKIP_1) | instid1(VALU_DEP_3)
	v_cndmask_b32_e64 v20, v20, v15, s3
	v_cmp_eq_u32_e64 s3, 1, v81
	v_cndmask_b32_e32 v19, v19, v4, vcc_lo
	v_cndmask_b32_e64 v18, v18, v15, s4
	s_delay_alu instid0(VALU_DEP_3)
	v_cndmask_b32_e64 v1, v1, v9, s3
	v_cndmask_b32_e64 v5, v5, v13, s3
	v_cmp_eq_u32_e64 s3, 3, v78
	v_cndmask_b32_e64 v13, v22, v6, s6
	v_cmp_eq_u32_e64 s6, 3, v81
	v_cndmask_b32_e64 v1, v1, v2, s2
	v_cndmask_b32_e64 v2, v5, v6, s2
	;; [unrolled: 1-line block ×3, first 2 shown]
	v_cmp_eq_u32_e64 s2, 4, v78
	v_cndmask_b32_e64 v6, v13, v14, s3
	v_cndmask_b32_e64 v1, v1, v10, s6
	v_cmp_eq_u32_e64 s3, 4, v81
	v_cndmask_b32_e64 v2, v2, v14, s6
	v_cndmask_b32_e64 v5, v9, v3, s2
	;; [unrolled: 3-line block ×3, first 2 shown]
	v_cndmask_b32_e64 v2, v2, v7, s3
	v_cmp_eq_u32_e64 s2, 5, v81
	v_cmp_eq_u32_e64 s4, 6, v79
	v_cndmask_b32_e64 v5, v5, v11, s6
	v_cmp_eq_u32_e64 s3, 6, v78
	v_cndmask_b32_e64 v3, v6, v15, s6
	v_cndmask_b32_e64 v1, v1, v11, s2
	v_cmp_eq_u32_e64 s6, 6, v81
	v_cndmask_b32_e64 v2, v2, v15, s2
	v_cndmask_b32_e64 v17, v17, v4, s4
	v_cndmask_b32_e64 v18, v18, v8, s4
	v_cmp_eq_u32_e64 s4, 7, v79
	v_cndmask_b32_e64 v5, v5, v4, s3
	;; [unrolled: 4-line block ×3, first 2 shown]
	v_cmp_eq_u32_e64 s3, 7, v78
	v_cndmask_b32_e32 v4, v20, v8, vcc_lo
	v_cndmask_b32_e64 v17, v17, v12, s4
	v_cndmask_b32_e64 v19, v19, v12, s5
	;; [unrolled: 1-line block ×8, first 2 shown]
	s_mov_b32 s2, exec_lo
	v_perm_b32 v4, v2, v1, 0x5040100
	v_perm_b32 v3, v3, v5, 0x5040100
	;; [unrolled: 1-line block ×4, first 2 shown]
	ds_store_b128 v77, v[1:4]
	s_waitcnt lgkmcnt(0)
	s_barrier
	buffer_gl0_inv
	v_cmpx_gt_u32_e32 32, v0
	s_cbranch_execz .LBB1561_2
; %bb.111:
	s_load_b64 s[0:1], s[0:1], 0x68
	v_lshlrev_b32_e32 v0, 10, v0
	s_lshl_b32 s4, s34, 7
	v_or_b32_e32 v23, s29, v74
	s_mul_i32 s2, s4, s30
	v_lshlrev_b32_e32 v1, 4, v75
	v_lshlrev_b32_e32 v2, 6, v74
	s_mul_i32 s2, s2, s7
	v_and_b32_e32 v0, 0x3800, v0
	v_mul_lo_u32 v8, v23, s4
	s_ashr_i32 s3, s2, 31
	v_or_b32_e32 v3, 2, v23
	s_lshl_b64 s[2:3], s[2:3], 1
	v_or3_b32 v27, v0, v1, v2
	v_or_b32_e32 v11, 4, v23
	v_or_b32_e32 v18, 6, v23
	v_mul_lo_u32 v10, v3, s4
	v_ashrrev_i32_e32 v9, 31, v8
	ds_load_b128 v[0:3], v27
	ds_load_b128 v[4:7], v27 offset:128
	v_mul_lo_u32 v12, v11, s4
	s_waitcnt lgkmcnt(0)
	s_add_u32 s2, s0, s2
	s_addc_u32 s3, s1, s3
	s_lshl_b32 s0, s14, 7
	v_lshlrev_b64 v[8:9], 1, v[8:9]
	s_ashr_i32 s1, s0, 31
	v_ashrrev_i32_e32 v11, 31, v10
	s_lshl_b64 s[0:1], s[0:1], 1
	v_ashrrev_i32_e32 v13, 31, v12
	s_add_u32 s0, s2, s0
	s_addc_u32 s1, s3, s1
	v_add_co_u32 v30, s0, s0, v73
	s_delay_alu instid0(VALU_DEP_1) | instskip(SKIP_1) | instid1(VALU_DEP_3)
	v_add_co_ci_u32_e64 v31, null, s1, 0, s0
	v_lshlrev_b64 v[16:17], 1, v[10:11]
	v_add_co_u32 v14, vcc_lo, v30, v8
	s_delay_alu instid0(VALU_DEP_3)
	v_add_co_ci_u32_e32 v15, vcc_lo, v31, v9, vcc_lo
	ds_load_b128 v[8:11], v27 offset:256
	v_mul_lo_u32 v18, v18, s4
	v_or_b32_e32 v19, 8, v23
	v_add_co_u32 v16, vcc_lo, v30, v16
	global_store_b128 v[14:15], v[0:3], off
	v_lshlrev_b64 v[0:1], 1, v[12:13]
	v_add_co_ci_u32_e32 v17, vcc_lo, v31, v17, vcc_lo
	v_mul_lo_u32 v12, v19, s4
	v_ashrrev_i32_e32 v19, 31, v18
	v_or_b32_e32 v14, 10, v23
	global_store_b128 v[16:17], v[4:7], off
	v_add_co_u32 v4, vcc_lo, v30, v0
	v_add_co_ci_u32_e32 v5, vcc_lo, v31, v1, vcc_lo
	ds_load_b128 v[0:3], v27 offset:384
	v_ashrrev_i32_e32 v13, 31, v12
	v_lshlrev_b64 v[6:7], 1, v[18:19]
	v_mul_lo_u32 v14, v14, s4
	s_waitcnt lgkmcnt(1)
	global_store_b128 v[4:5], v[8:11], off
	v_or_b32_e32 v8, 12, v23
	v_lshlrev_b64 v[4:5], 1, v[12:13]
	v_add_co_u32 v20, vcc_lo, v30, v6
	v_or_b32_e32 v6, 14, v23
	v_ashrrev_i32_e32 v15, 31, v14
	v_mul_lo_u32 v22, v8, s4
	v_add_co_ci_u32_e32 v21, vcc_lo, v31, v7, vcc_lo
	v_add_co_u32 v24, vcc_lo, v30, v4
	v_mul_lo_u32 v26, v6, s4
	v_add_co_ci_u32_e32 v25, vcc_lo, v31, v5, vcc_lo
	v_lshlrev_b64 v[28:29], 1, v[14:15]
	ds_load_b128 v[4:7], v27 offset:512
	ds_load_b128 v[8:11], v27 offset:640
	ds_load_b128 v[12:15], v27 offset:768
	ds_load_b128 v[16:19], v27 offset:896
	v_ashrrev_i32_e32 v23, 31, v22
	v_ashrrev_i32_e32 v27, 31, v26
	v_add_co_u32 v28, vcc_lo, v30, v28
	s_delay_alu instid0(VALU_DEP_3) | instskip(SKIP_1) | instid1(VALU_DEP_4)
	v_lshlrev_b64 v[22:23], 1, v[22:23]
	v_add_co_ci_u32_e32 v29, vcc_lo, v31, v29, vcc_lo
	v_lshlrev_b64 v[26:27], 1, v[26:27]
	s_delay_alu instid0(VALU_DEP_3) | instskip(NEXT) | instid1(VALU_DEP_4)
	v_add_co_u32 v22, vcc_lo, v30, v22
	v_add_co_ci_u32_e32 v23, vcc_lo, v31, v23, vcc_lo
	s_delay_alu instid0(VALU_DEP_3) | instskip(NEXT) | instid1(VALU_DEP_4)
	v_add_co_u32 v26, vcc_lo, v30, v26
	v_add_co_ci_u32_e32 v27, vcc_lo, v31, v27, vcc_lo
	s_waitcnt lgkmcnt(4)
	global_store_b128 v[20:21], v[0:3], off
	s_waitcnt lgkmcnt(3)
	global_store_b128 v[24:25], v[4:7], off
	;; [unrolled: 2-line block ×5, first 2 shown]
	s_nop 0
	s_sendmsg sendmsg(MSG_DEALLOC_VGPRS)
	s_endpgm
	.section	.rodata,"a",@progbits
	.p2align	6, 0x0
	.amdhsa_kernel _Z39paged_attention_ll4mi_QKV_mfma16_kernelI14__hip_bfloat16hLN4vllm18Fp8KVCacheDataTypeE1ES0_Li16ELi128ELi256ELb1ELi16EL8MFMAType1EEvPKT_PKT0_S9_ifPKiSB_SB_iPKfiiiPfSE_PS4_PT2_iSD_SD_
		.amdhsa_group_segment_fixed_size 17472
		.amdhsa_private_segment_fixed_size 0
		.amdhsa_kernarg_size 400
		.amdhsa_user_sgpr_count 13
		.amdhsa_user_sgpr_dispatch_ptr 0
		.amdhsa_user_sgpr_queue_ptr 0
		.amdhsa_user_sgpr_kernarg_segment_ptr 1
		.amdhsa_user_sgpr_dispatch_id 0
		.amdhsa_user_sgpr_private_segment_size 0
		.amdhsa_wavefront_size32 1
		.amdhsa_uses_dynamic_stack 0
		.amdhsa_enable_private_segment 0
		.amdhsa_system_sgpr_workgroup_id_x 1
		.amdhsa_system_sgpr_workgroup_id_y 1
		.amdhsa_system_sgpr_workgroup_id_z 1
		.amdhsa_system_sgpr_workgroup_info 0
		.amdhsa_system_vgpr_workitem_id 0
		.amdhsa_next_free_vgpr 141
		.amdhsa_next_free_sgpr 36
		.amdhsa_reserve_vcc 1
		.amdhsa_float_round_mode_32 0
		.amdhsa_float_round_mode_16_64 0
		.amdhsa_float_denorm_mode_32 3
		.amdhsa_float_denorm_mode_16_64 3
		.amdhsa_dx10_clamp 1
		.amdhsa_ieee_mode 1
		.amdhsa_fp16_overflow 0
		.amdhsa_workgroup_processor_mode 1
		.amdhsa_memory_ordered 1
		.amdhsa_forward_progress 0
		.amdhsa_shared_vgpr_count 0
		.amdhsa_exception_fp_ieee_invalid_op 0
		.amdhsa_exception_fp_denorm_src 0
		.amdhsa_exception_fp_ieee_div_zero 0
		.amdhsa_exception_fp_ieee_overflow 0
		.amdhsa_exception_fp_ieee_underflow 0
		.amdhsa_exception_fp_ieee_inexact 0
		.amdhsa_exception_int_div_zero 0
	.end_amdhsa_kernel
	.section	.text._Z39paged_attention_ll4mi_QKV_mfma16_kernelI14__hip_bfloat16hLN4vllm18Fp8KVCacheDataTypeE1ES0_Li16ELi128ELi256ELb1ELi16EL8MFMAType1EEvPKT_PKT0_S9_ifPKiSB_SB_iPKfiiiPfSE_PS4_PT2_iSD_SD_,"axG",@progbits,_Z39paged_attention_ll4mi_QKV_mfma16_kernelI14__hip_bfloat16hLN4vllm18Fp8KVCacheDataTypeE1ES0_Li16ELi128ELi256ELb1ELi16EL8MFMAType1EEvPKT_PKT0_S9_ifPKiSB_SB_iPKfiiiPfSE_PS4_PT2_iSD_SD_,comdat
.Lfunc_end1561:
	.size	_Z39paged_attention_ll4mi_QKV_mfma16_kernelI14__hip_bfloat16hLN4vllm18Fp8KVCacheDataTypeE1ES0_Li16ELi128ELi256ELb1ELi16EL8MFMAType1EEvPKT_PKT0_S9_ifPKiSB_SB_iPKfiiiPfSE_PS4_PT2_iSD_SD_, .Lfunc_end1561-_Z39paged_attention_ll4mi_QKV_mfma16_kernelI14__hip_bfloat16hLN4vllm18Fp8KVCacheDataTypeE1ES0_Li16ELi128ELi256ELb1ELi16EL8MFMAType1EEvPKT_PKT0_S9_ifPKiSB_SB_iPKfiiiPfSE_PS4_PT2_iSD_SD_
                                        ; -- End function
	.section	.AMDGPU.csdata,"",@progbits
; Kernel info:
; codeLenInByte = 9036
; NumSgprs: 38
; NumVgprs: 141
; ScratchSize: 0
; MemoryBound: 0
; FloatMode: 240
; IeeeMode: 1
; LDSByteSize: 17472 bytes/workgroup (compile time only)
; SGPRBlocks: 4
; VGPRBlocks: 17
; NumSGPRsForWavesPerEU: 38
; NumVGPRsForWavesPerEU: 141
; Occupancy: 10
; WaveLimiterHint : 1
; COMPUTE_PGM_RSRC2:SCRATCH_EN: 0
; COMPUTE_PGM_RSRC2:USER_SGPR: 13
; COMPUTE_PGM_RSRC2:TRAP_HANDLER: 0
; COMPUTE_PGM_RSRC2:TGID_X_EN: 1
; COMPUTE_PGM_RSRC2:TGID_Y_EN: 1
; COMPUTE_PGM_RSRC2:TGID_Z_EN: 1
; COMPUTE_PGM_RSRC2:TIDIG_COMP_CNT: 0
	.section	.text._Z39paged_attention_ll4mi_QKV_mfma16_kernelI14__hip_bfloat16hLN4vllm18Fp8KVCacheDataTypeE1ES0_Li16ELi128ELi256ELb1ELi1EL8MFMAType1EEvPKT_PKT0_S9_ifPKiSB_SB_iPKfiiiPfSE_PS4_PT2_iSD_SD_,"axG",@progbits,_Z39paged_attention_ll4mi_QKV_mfma16_kernelI14__hip_bfloat16hLN4vllm18Fp8KVCacheDataTypeE1ES0_Li16ELi128ELi256ELb1ELi1EL8MFMAType1EEvPKT_PKT0_S9_ifPKiSB_SB_iPKfiiiPfSE_PS4_PT2_iSD_SD_,comdat
	.protected	_Z39paged_attention_ll4mi_QKV_mfma16_kernelI14__hip_bfloat16hLN4vllm18Fp8KVCacheDataTypeE1ES0_Li16ELi128ELi256ELb1ELi1EL8MFMAType1EEvPKT_PKT0_S9_ifPKiSB_SB_iPKfiiiPfSE_PS4_PT2_iSD_SD_ ; -- Begin function _Z39paged_attention_ll4mi_QKV_mfma16_kernelI14__hip_bfloat16hLN4vllm18Fp8KVCacheDataTypeE1ES0_Li16ELi128ELi256ELb1ELi1EL8MFMAType1EEvPKT_PKT0_S9_ifPKiSB_SB_iPKfiiiPfSE_PS4_PT2_iSD_SD_
	.globl	_Z39paged_attention_ll4mi_QKV_mfma16_kernelI14__hip_bfloat16hLN4vllm18Fp8KVCacheDataTypeE1ES0_Li16ELi128ELi256ELb1ELi1EL8MFMAType1EEvPKT_PKT0_S9_ifPKiSB_SB_iPKfiiiPfSE_PS4_PT2_iSD_SD_
	.p2align	8
	.type	_Z39paged_attention_ll4mi_QKV_mfma16_kernelI14__hip_bfloat16hLN4vllm18Fp8KVCacheDataTypeE1ES0_Li16ELi128ELi256ELb1ELi1EL8MFMAType1EEvPKT_PKT0_S9_ifPKiSB_SB_iPKfiiiPfSE_PS4_PT2_iSD_SD_,@function
_Z39paged_attention_ll4mi_QKV_mfma16_kernelI14__hip_bfloat16hLN4vllm18Fp8KVCacheDataTypeE1ES0_Li16ELi128ELi256ELb1ELi1EL8MFMAType1EEvPKT_PKT0_S9_ifPKiSB_SB_iPKfiiiPfSE_PS4_PT2_iSD_SD_: ; @_Z39paged_attention_ll4mi_QKV_mfma16_kernelI14__hip_bfloat16hLN4vllm18Fp8KVCacheDataTypeE1ES0_Li16ELi128ELi256ELb1ELi1EL8MFMAType1EEvPKT_PKT0_S9_ifPKiSB_SB_iPKfiiiPfSE_PS4_PT2_iSD_SD_
; %bb.0:
	s_load_b64 s[4:5], s[0:1], 0x30
	s_mov_b32 s34, s13
	s_waitcnt lgkmcnt(0)
	s_cmp_lg_u64 s[4:5], 0
	s_cselect_b32 s6, -1, 0
	s_ashr_i32 s35, s13, 31
	s_cmp_eq_u64 s[4:5], 0
	s_cbranch_scc1 .LBB1562_3
; %bb.1:
	s_lshl_b64 s[2:3], s[34:35], 2
	s_delay_alu instid0(SALU_CYCLE_1) | instskip(SKIP_4) | instid1(SALU_CYCLE_1)
	s_add_u32 s2, s4, s2
	s_addc_u32 s3, s5, s3
	s_load_b64 s[2:3], s[2:3], 0x0
	s_waitcnt lgkmcnt(0)
	s_sub_i32 s2, s3, s2
	s_cmp_eq_u32 s2, 1
	s_cselect_b32 s2, -1, 0
	s_delay_alu instid0(SALU_CYCLE_1)
	s_and_not1_b32 vcc_lo, exec_lo, s2
	s_cbranch_vccz .LBB1562_4
.LBB1562_2:
	s_endpgm
.LBB1562_3:
.LBB1562_4:
	s_load_b64 s[2:3], s[0:1], 0x28
	s_lshl_b64 s[8:9], s[34:35], 2
	s_waitcnt lgkmcnt(0)
	s_add_u32 s2, s2, s8
	s_addc_u32 s3, s3, s9
	s_lshl_b32 s12, s14, 8
	s_load_b32 s33, s[2:3], 0x0
	s_waitcnt lgkmcnt(0)
	s_cmp_ge_i32 s12, s33
	s_cbranch_scc1 .LBB1562_2
; %bb.5:
	s_clause 0x1
	s_load_b128 s[56:59], s[0:1], 0x8
	s_load_b64 s[2:3], s[0:1], 0x20
	s_and_not1_b32 vcc_lo, exec_lo, s6
	s_mov_b64 s[6:7], s[34:35]
	s_cbranch_vccnz .LBB1562_7
; %bb.6:
	s_add_u32 s4, s4, s8
	s_addc_u32 s5, s5, s9
	s_load_b32 s6, s[4:5], 0x0
.LBB1562_7:
	s_load_b128 s[52:55], s[0:1], 0x48
	v_and_b32_e32 v65, 15, v0
	s_mov_b32 s13, exec_lo
                                        ; implicit-def: $sgpr36
                                        ; implicit-def: $sgpr24
                                        ; implicit-def: $sgpr16
                                        ; implicit-def: $sgpr4
	s_delay_alu instid0(VALU_DEP_1)
	v_cmpx_eq_u32_e32 0, v65
	s_cbranch_execz .LBB1562_9
; %bb.8:
	s_load_b64 s[4:5], s[0:1], 0x0
	s_waitcnt lgkmcnt(0)
	s_mul_hi_i32 s7, s6, s52
	s_mul_i32 s6, s6, s52
	s_delay_alu instid0(SALU_CYCLE_1) | instskip(NEXT) | instid1(SALU_CYCLE_1)
	s_lshl_b64 s[6:7], s[6:7], 1
	s_add_u32 s6, s4, s6
	s_addc_u32 s7, s5, s7
	s_lshl_b32 s4, s15, 7
	s_delay_alu instid0(SALU_CYCLE_1) | instskip(NEXT) | instid1(SALU_CYCLE_1)
	s_ashr_i32 s5, s4, 31
	s_lshl_b64 s[4:5], s[4:5], 1
	s_delay_alu instid0(SALU_CYCLE_1)
	s_add_u32 s4, s6, s4
	s_addc_u32 s5, s7, s5
	s_clause 0x3
	s_load_b256 s[36:43], s[4:5], 0x0
	s_load_b256 s[24:31], s[4:5], 0x40
	;; [unrolled: 1-line block ×4, first 2 shown]
.LBB1562_9:
	s_or_b32 exec_lo, exec_lo, s13
	v_and_b32_e32 v1, 0xef, v0
	s_add_i32 s13, s33, 15
	s_load_b32 s44, s[0:1], 0x38
	s_ashr_i32 s35, s13, 31
	s_waitcnt lgkmcnt(0)
	s_mul_i32 s62, s15, s54
	v_add_nc_u32_e32 v1, s12, v1
	s_lshr_b32 s35, s35, 28
	v_dual_mov_b32 v113, s31 :: v_dual_mov_b32 v106, s24
	s_add_i32 s13, s13, s35
	s_delay_alu instid0(VALU_DEP_2)
	v_ashrrev_i32_e32 v2, 31, v1
	v_or_b32_e32 v3, 16, v1
	s_ashr_i32 s13, s13, 4
	v_cmp_gt_i32_e32 vcc_lo, s33, v1
	s_add_i32 s13, s13, -1
	v_lshrrev_b32_e32 v2, 28, v2
	s_load_b32 s35, s[0:1], 0x1c
	v_mov_b32_e32 v111, s29
	v_mov_b32_e32 v109, s27
	s_delay_alu instid0(VALU_DEP_3)
	v_dual_mov_b32 v107, s25 :: v_dual_add_nc_u32 v4, v1, v2
	v_lshlrev_b32_e32 v73, 4, v65
	s_mul_i32 s44, s34, s44
	v_lshrrev_b32_e32 v66, 5, v0
	s_ashr_i32 s45, s44, 31
	v_ashrrev_i32_e32 v4, 4, v4
	v_add_nc_u32_e32 v2, v3, v2
	s_lshl_b64 s[44:45], s[44:45], 2
	v_mov_b32_e32 v112, s30
	s_add_u32 s61, s2, s44
	v_cndmask_b32_e32 v1, s13, v4, vcc_lo
	v_ashrrev_i32_e32 v2, 4, v2
	v_cmp_gt_i32_e32 vcc_lo, s33, v3
	s_addc_u32 s60, s3, s45
	s_ashr_i32 s63, s62, 31
	s_add_u32 s52, s56, s62
	s_addc_u32 s56, s57, s63
	v_cndmask_b32_e32 v3, s13, v2, vcc_lo
	v_ashrrev_i32_e32 v2, 31, v1
	s_lshl_b32 s2, s14, 4
	v_mov_b32_e32 v110, s28
	s_ashr_i32 s3, s2, 31
	v_ashrrev_i32_e32 v4, 31, v3
	v_lshlrev_b64 v[1:2], 2, v[1:2]
	s_lshl_b64 s[2:3], s[2:3], 2
	v_mov_b32_e32 v108, s26
	s_add_u32 s2, s61, s2
	v_lshlrev_b64 v[3:4], 2, v[3:4]
	s_addc_u32 s3, s60, s3
	v_add_co_u32 v1, vcc_lo, s61, v1
	v_add_co_ci_u32_e32 v2, vcc_lo, s60, v2, vcc_lo
	s_delay_alu instid0(VALU_DEP_3) | instskip(NEXT) | instid1(VALU_DEP_4)
	v_add_co_u32 v3, vcc_lo, s61, v3
	v_add_co_ci_u32_e32 v4, vcc_lo, s60, v4, vcc_lo
	s_clause 0x1
	global_load_b32 v5, v[1:2], off
	global_load_b32 v3, v[3:4], off
	s_or_b32 s44, s12, 32
	v_lshlrev_b32_e32 v1, 4, v0
	s_ashr_i32 s45, s44, 4
	s_cmp_lt_i32 s44, s33
	s_cselect_b32 s44, s45, s13
	s_delay_alu instid0(VALU_DEP_1) | instskip(SKIP_1) | instid1(SALU_CYCLE_1)
	v_and_b32_e32 v1, 0xf0, v1
	s_ashr_i32 s45, s44, 31
	s_lshl_b64 s[44:45], s[44:45], 2
	s_delay_alu instid0(SALU_CYCLE_1)
	s_add_u32 s44, s61, s44
	s_addc_u32 s45, s60, s45
	s_or_b32 s46, s12, 64
	v_add_co_u32 v1, s52, s52, v1
	s_ashr_i32 s47, s46, 4
	s_cmp_lt_i32 s46, s33
	v_add_co_ci_u32_e64 v2, null, s56, 0, s52
	s_cselect_b32 s46, s47, s13
	s_delay_alu instid0(SALU_CYCLE_1) | instskip(NEXT) | instid1(SALU_CYCLE_1)
	s_ashr_i32 s47, s46, 31
	s_lshl_b64 s[46:47], s[46:47], 2
	s_delay_alu instid0(SALU_CYCLE_1) | instskip(SKIP_2) | instid1(SALU_CYCLE_1)
	s_add_u32 s46, s61, s46
	s_addc_u32 s47, s60, s47
	s_or_b32 s48, s12, 0x60
	s_ashr_i32 s49, s48, 4
	s_cmp_lt_i32 s48, s33
	s_cselect_b32 s48, s49, s13
	s_delay_alu instid0(SALU_CYCLE_1) | instskip(NEXT) | instid1(SALU_CYCLE_1)
	s_ashr_i32 s49, s48, 31
	s_lshl_b64 s[48:49], s[48:49], 2
	s_delay_alu instid0(SALU_CYCLE_1) | instskip(SKIP_2) | instid1(SALU_CYCLE_1)
	s_add_u32 s48, s61, s48
	s_addc_u32 s49, s60, s49
	s_or_b32 s50, s12, 0x80
	s_ashr_i32 s51, s50, 4
	s_cmp_lt_i32 s50, s33
	;; [unrolled: 10-line block ×3, first 2 shown]
	s_cselect_b32 s54, s55, s13
	s_delay_alu instid0(SALU_CYCLE_1) | instskip(NEXT) | instid1(SALU_CYCLE_1)
	s_ashr_i32 s55, s54, 31
	s_lshl_b64 s[54:55], s[54:55], 2
	s_delay_alu instid0(SALU_CYCLE_1)
	s_add_u32 s64, s61, s54
	s_addc_u32 s65, s60, s55
	s_clause 0x5
	s_load_b32 s56, s[2:3], 0x0
	s_load_b32 s3, s[44:45], 0x0
	s_load_b32 s52, s[46:47], 0x0
	s_load_b32 s54, s[48:49], 0x0
	s_load_b32 s55, s[50:51], 0x0
	s_load_b32 s2, s[64:65], 0x0
	s_or_b32 s24, s12, 0xc0
	s_mov_b32 s44, 0
	s_ashr_i32 s25, s24, 4
	s_mov_b32 s45, s44
	s_mov_b32 s46, s44
	;; [unrolled: 1-line block ×7, first 2 shown]
	v_dual_mov_b32 v121, s23 :: v_dual_mov_b32 v120, s22
	v_dual_mov_b32 v119, s21 :: v_dual_mov_b32 v118, s20
	;; [unrolled: 1-line block ×4, first 2 shown]
	v_lshl_or_b32 v33, v66, 8, v73
	v_dual_mov_b32 v129, s51 :: v_dual_mov_b32 v128, s50
	v_dual_mov_b32 v127, s49 :: v_dual_mov_b32 v126, s48
	;; [unrolled: 1-line block ×4, first 2 shown]
	s_cmp_lt_i32 s24, s33
	s_cselect_b32 s16, s25, s13
	s_delay_alu instid0(SALU_CYCLE_1) | instskip(NEXT) | instid1(SALU_CYCLE_1)
	s_ashr_i32 s17, s16, 31
	s_lshl_b64 s[16:17], s[16:17], 2
	s_delay_alu instid0(SALU_CYCLE_1) | instskip(SKIP_2) | instid1(SALU_CYCLE_1)
	s_add_u32 s16, s61, s16
	s_addc_u32 s17, s60, s17
	s_or_b32 s18, s12, 0xe0
	s_ashr_i32 s19, s18, 4
	s_cmp_lt_i32 s18, s33
	s_cselect_b32 s18, s19, s13
	s_delay_alu instid0(SALU_CYCLE_1) | instskip(NEXT) | instid1(SALU_CYCLE_1)
	s_ashr_i32 s19, s18, 31
	s_lshl_b64 s[18:19], s[18:19], 2
	s_delay_alu instid0(SALU_CYCLE_1) | instskip(SKIP_4) | instid1(VALU_DEP_1)
	s_add_u32 s18, s61, s18
	s_addc_u32 s19, s60, s19
	s_add_u32 s13, s58, s62
	s_addc_u32 s20, s59, s63
	v_add_co_u32 v67, s13, s13, v33
	v_add_co_ci_u32_e64 v68, null, s20, 0, s13
	s_waitcnt lgkmcnt(0)
	s_delay_alu instid0(VALU_DEP_1)
	v_mad_i64_i32 v[33:34], null, s56, s53, v[67:68]
	v_mad_i64_i32 v[69:70], null, s54, s53, v[67:68]
	;; [unrolled: 1-line block ×5, first 2 shown]
	s_waitcnt vmcnt(1)
	v_mad_i64_i32 v[25:26], null, v5, s53, v[1:2]
	s_waitcnt vmcnt(0)
	v_mad_i64_i32 v[27:28], null, v3, s53, v[1:2]
	s_clause 0xf
	global_load_b128 v[1:4], v[25:26], off
	global_load_b128 v[5:8], v[25:26], off offset:256
	global_load_b128 v[9:12], v[27:28], off
	global_load_b128 v[13:16], v[27:28], off offset:256
	global_load_b128 v[17:20], v[25:26], off offset:512
	;; [unrolled: 1-line block ×13, first 2 shown]
	v_mov_b32_e32 v25, s36
	v_mov_b32_e32 v27, s38
	;; [unrolled: 1-line block ×4, first 2 shown]
	s_clause 0x1
	s_load_b32 s13, s[16:17], 0x0
	s_load_b32 s16, s[18:19], 0x0
	v_mov_b32_e32 v26, s37
	v_mov_b32_e32 v28, s39
	;; [unrolled: 1-line block ×4, first 2 shown]
	s_clause 0x5
	global_load_b128 v[49:52], v[33:34], off
	global_load_b128 v[53:56], v[33:34], off offset:16
	global_load_b128 v[41:44], v[35:36], off
	global_load_b128 v[45:48], v[35:36], off offset:16
	global_load_b128 v[33:36], v[37:38], off
	global_load_b128 v[37:40], v[37:38], off offset:16
	s_waitcnt vmcnt(20)
	v_wmma_f32_16x16x16_bf16 v[130:137], v[1:8], v[25:32], v[122:129]
	s_waitcnt vmcnt(18)
	v_wmma_f32_16x16x16_bf16 v[122:129], v[9:16], v[25:32], v[122:129]
	v_mad_i64_i32 v[13:14], null, s2, s53, v[67:68]
	s_waitcnt vmcnt(16)
	v_wmma_f32_16x16x16_bf16 v[130:137], v[17:24], v[106:113], v[130:137]
	s_waitcnt lgkmcnt(0)
	v_mad_i64_i32 v[21:22], null, s13, s53, v[67:68]
	s_clause 0x1
	global_load_b128 v[25:28], v[69:70], off
	global_load_b128 v[29:32], v[69:70], off offset:16
	v_mad_i64_i32 v[69:70], null, s16, s53, v[67:68]
	s_waitcnt vmcnt(16)
	v_wmma_f32_16x16x16_bf16 v[122:129], v[57:64], v[106:113], v[122:129]
	s_clause 0x7
	global_load_b128 v[1:4], v[71:72], off
	global_load_b128 v[5:8], v[71:72], off offset:16
	global_load_b128 v[9:12], v[13:14], off
	global_load_b128 v[13:16], v[13:14], off offset:16
	global_load_b128 v[17:20], v[21:22], off
	global_load_b128 v[21:24], v[21:22], off offset:16
	global_load_b128 v[57:60], v[69:70], off
	global_load_b128 v[61:64], v[69:70], off offset:16
	v_mbcnt_lo_u32_b32 v68, -1, 0
	s_waitcnt vmcnt(22)
	v_wmma_f32_16x16x16_bf16 v[130:137], v[74:81], v[114:121], v[130:137]
	s_waitcnt vmcnt(20)
	v_wmma_f32_16x16x16_bf16 v[122:129], v[82:89], v[114:121], v[122:129]
	v_dual_mov_b32 v82, s11 :: v_dual_mov_b32 v81, s10
	v_xor_b32_e32 v69, 16, v68
	v_dual_mov_b32 v80, s9 :: v_dual_mov_b32 v79, s8
	v_dual_mov_b32 v78, s7 :: v_dual_mov_b32 v77, s6
	v_dual_mov_b32 v76, s5 :: v_dual_mov_b32 v75, s4
	s_delay_alu instid0(VALU_DEP_4) | instskip(SKIP_4) | instid1(VALU_DEP_3)
	v_cmp_gt_i32_e32 vcc_lo, 32, v69
	v_and_b32_e32 v67, 0xe0, v0
	v_bfe_u32 v74, v0, 4, 1
	s_waitcnt vmcnt(0)
	v_wmma_f32_16x16x16_bf16 v[130:137], v[90:97], v[75:82], v[130:137]
	v_dual_cndmask_b32 v68, v68, v69 :: v_dual_add_nc_u32 v67, s12, v67
	s_barrier
	buffer_gl0_inv
	v_mul_f32_e32 v92, s35, v131
	v_wmma_f32_16x16x16_bf16 v[122:129], v[98:105], v[75:82], v[122:129]
	v_mul_f32_e32 v78, s35, v136
	v_or_b32_e32 v67, v67, v74
	v_mul_f32_e32 v93, s35, v130
	v_dual_mul_f32 v81, s35, v133 :: v_dual_mul_f32 v82, s35, v132
	v_dual_mul_f32 v79, s35, v135 :: v_dual_mul_f32 v98, s35, v125
	s_delay_alu instid0(VALU_DEP_4)
	v_or_b32_e32 v69, 2, v67
	v_or_b32_e32 v70, 4, v67
	;; [unrolled: 1-line block ×3, first 2 shown]
	v_cmp_gt_i32_e64 s2, s33, v67
	v_or_b32_e32 v72, 8, v67
	v_cmp_gt_i32_e32 vcc_lo, s33, v69
	v_or_b32_e32 v83, 10, v67
	v_cmp_gt_i32_e64 s3, s33, v70
	v_cndmask_b32_e64 v93, 0xff7fffff, v93, s2
	v_cmp_gt_i32_e64 s4, s33, v71
	v_cndmask_b32_e32 v92, 0xff7fffff, v92, vcc_lo
	v_or_b32_e32 v84, 12, v67
	v_or_b32_e32 v85, 14, v67
	v_mul_f32_e32 v80, s35, v134
	v_cndmask_b32_e64 v70, 0xff7fffff, v82, s3
	v_cndmask_b32_e64 v71, 0xff7fffff, v81, s4
	v_max3_f32 v81, v93, 0xff7fffff, v92
	v_cmp_gt_i32_e64 s5, s33, v72
	v_cmp_gt_i32_e64 s6, s33, v83
	v_or_b32_e32 v86, 16, v67
	v_or_b32_e32 v87, 18, v67
	v_dual_mul_f32 v77, s35, v137 :: v_dual_mul_f32 v96, s35, v127
	v_cndmask_b32_e64 v72, 0xff7fffff, v80, s5
	v_cndmask_b32_e64 v79, 0xff7fffff, v79, s6
	v_max3_f32 v70, v81, v70, v71
	v_cmp_gt_i32_e64 s7, s33, v84
	v_cmp_gt_i32_e64 s8, s33, v85
	v_or_b32_e32 v88, 20, v67
	v_or_b32_e32 v89, 22, v67
	;; [unrolled: 1-line block ×6, first 2 shown]
	v_mul_f32_e32 v69, s35, v123
	v_mul_f32_e32 v67, s35, v122
	v_cndmask_b32_e64 v71, 0xff7fffff, v78, s7
	v_cndmask_b32_e64 v77, 0xff7fffff, v77, s8
	v_max3_f32 v70, v70, v72, v79
	v_cmp_gt_i32_e64 s9, s33, v86
	v_cmp_gt_i32_e64 s10, s33, v87
	v_mul_f32_e32 v99, s35, v124
	v_cmp_gt_i32_e64 s11, s33, v88
	v_max3_f32 v70, v70, v71, v77
	v_cndmask_b32_e64 v67, 0xff7fffff, v67, s9
	v_cndmask_b32_e64 v69, 0xff7fffff, v69, s10
	v_cmp_gt_i32_e64 s12, s33, v89
	v_mul_f32_e32 v97, s35, v126
	v_cndmask_b32_e64 v71, 0xff7fffff, v99, s11
	v_cmp_gt_i32_e64 s13, s33, v90
	v_max3_f32 v67, v70, v67, v69
	v_cndmask_b32_e64 v72, 0xff7fffff, v98, s12
	v_cmp_gt_i32_e64 s16, s33, v91
	v_dual_mul_f32 v94, s35, v129 :: v_dual_mul_f32 v95, s35, v128
	v_cndmask_b32_e64 v69, 0xff7fffff, v97, s13
	s_delay_alu instid0(VALU_DEP_4) | instskip(NEXT) | instid1(VALU_DEP_4)
	v_max3_f32 v67, v67, v71, v72
	v_cndmask_b32_e64 v70, 0xff7fffff, v96, s16
	v_cmp_gt_i32_e64 s17, s33, v75
	v_cmp_gt_i32_e64 s18, s33, v76
	v_lshlrev_b32_e32 v81, 2, v68
	s_delay_alu instid0(VALU_DEP_4) | instskip(NEXT) | instid1(VALU_DEP_4)
	v_max3_f32 v67, v67, v69, v70
	v_cndmask_b32_e64 v71, 0xff7fffff, v95, s17
	s_delay_alu instid0(VALU_DEP_4) | instskip(NEXT) | instid1(VALU_DEP_1)
	v_cndmask_b32_e64 v72, 0xff7fffff, v94, s18
	v_max3_f32 v67, v67, v71, v72
	ds_bpermute_b32 v68, v81, v67
	s_waitcnt lgkmcnt(0)
	v_max_f32_e32 v68, v68, v68
	s_delay_alu instid0(VALU_DEP_1) | instskip(NEXT) | instid1(VALU_DEP_1)
	v_max_f32_e32 v67, v67, v68
	v_fma_f32 v68, s35, v130, -v67
	v_fma_f32 v69, s35, v131, -v67
	;; [unrolled: 1-line block ×5, first 2 shown]
	s_delay_alu instid0(VALU_DEP_4) | instskip(NEXT) | instid1(VALU_DEP_3)
	v_dual_mul_f32 v68, 0x3fb8aa3b, v68 :: v_dual_mul_f32 v69, 0x3fb8aa3b, v69
	v_dual_mul_f32 v70, 0x3fb8aa3b, v70 :: v_dual_mul_f32 v71, 0x3fb8aa3b, v71
	s_delay_alu instid0(VALU_DEP_3) | instskip(NEXT) | instid1(VALU_DEP_3)
	v_mul_f32_e32 v72, 0x3fb8aa3b, v72
	v_exp_f32_e32 v68, v68
	s_delay_alu instid0(VALU_DEP_3) | instskip(NEXT) | instid1(VALU_DEP_2)
	v_exp_f32_e32 v69, v69
	v_exp_f32_e32 v70, v70
	v_exp_f32_e32 v71, v71
	v_fma_f32 v76, s35, v136, -v67
	v_exp_f32_e32 v72, v72
	s_delay_alu instid0(VALU_DEP_1) | instskip(SKIP_3) | instid1(TRANS32_DEP_3)
	v_mul_f32_e32 v76, 0x3fb8aa3b, v76
	v_cndmask_b32_e64 v79, 0, v68, s2
	v_fma_f32 v68, s35, v135, -v67
	v_cndmask_b32_e32 v75, 0, v69, vcc_lo
	v_cndmask_b32_e64 v82, 0, v70, s3
	s_delay_alu instid0(TRANS32_DEP_2) | instskip(NEXT) | instid1(VALU_DEP_4)
	v_cndmask_b32_e64 v84, 0, v71, s4
	v_dual_add_f32 v69, 0, v79 :: v_dual_mul_f32 v68, 0x3fb8aa3b, v68
	v_exp_f32_e32 v76, v76
	s_delay_alu instid0(TRANS32_DEP_2) | instskip(SKIP_1) | instid1(VALU_DEP_2)
	v_cndmask_b32_e64 v85, 0, v72, s5
	s_mov_b32 s3, exec_lo
	v_add_f32_e32 v69, v69, v75
	v_exp_f32_e32 v68, v68
	s_delay_alu instid0(VALU_DEP_1) | instskip(SKIP_4) | instid1(VALU_DEP_2)
	v_add_f32_e32 v69, v69, v82
	s_waitcnt_depctr 0xfff
	v_cndmask_b32_e64 v83, 0, v76, s7
	v_add_f32_e32 v69, v69, v84
	v_cndmask_b32_e64 v86, 0, v68, s6
	v_add_f32_e32 v68, v69, v85
	s_delay_alu instid0(VALU_DEP_1) | instskip(NEXT) | instid1(VALU_DEP_1)
	v_add_f32_e32 v68, v68, v86
	v_add_f32_e32 v68, v68, v83
	v_fma_f32 v72, s35, v123, -v67
	v_fma_f32 v70, s35, v137, -v67
	;; [unrolled: 1-line block ×5, first 2 shown]
	v_mul_f32_e32 v72, 0x3fb8aa3b, v72
	s_delay_alu instid0(VALU_DEP_4) | instskip(SKIP_1) | instid1(VALU_DEP_4)
	v_dual_mul_f32 v70, 0x3fb8aa3b, v70 :: v_dual_mul_f32 v69, 0x3fb8aa3b, v69
	v_fma_f32 v77, s35, v126, -v67
	v_mul_f32_e32 v76, 0x3fb8aa3b, v76
	s_delay_alu instid0(VALU_DEP_4) | instskip(NEXT) | instid1(VALU_DEP_3)
	v_exp_f32_e32 v72, v72
	v_exp_f32_e32 v70, v70
	v_exp_f32_e32 v78, v69
	v_fma_f32 v88, s35, v129, -v67
	v_exp_f32_e32 v76, v76
	s_delay_alu instid0(VALU_DEP_1) | instskip(SKIP_2) | instid1(TRANS32_DEP_3)
	v_mul_f32_e32 v88, 0x3fb8aa3b, v88
	v_cndmask_b32_e64 v69, 0, v72, s10
	v_mul_f32_e32 v71, 0x3fb8aa3b, v71
	v_cndmask_b32_e64 v87, 0, v70, s8
	v_fma_f32 v72, s35, v128, -v67
	s_delay_alu instid0(VALU_DEP_3) | instskip(NEXT) | instid1(VALU_DEP_2)
	v_exp_f32_e32 v71, v71
	v_add_f32_e32 v68, v68, v87
	s_waitcnt_depctr 0xfff
	v_cndmask_b32_e64 v70, 0, v71, s9
	v_fma_f32 v71, s35, v127, -v67
	s_delay_alu instid0(VALU_DEP_2) | instskip(NEXT) | instid1(VALU_DEP_2)
	v_add_f32_e32 v68, v68, v70
	v_mul_f32_e32 v80, 0x3fb8aa3b, v71
	v_cndmask_b32_e64 v71, 0, v78, s11
	v_mul_f32_e32 v78, 0x3fb8aa3b, v72
	v_cndmask_b32_e64 v72, 0, v76, s12
	v_add_f32_e32 v68, v68, v69
	v_exp_f32_e32 v80, v80
	s_delay_alu instid0(VALU_DEP_3) | instskip(NEXT) | instid1(VALU_DEP_1)
	v_exp_f32_e32 v78, v78
	v_dual_add_f32 v68, v68, v71 :: v_dual_mul_f32 v77, 0x3fb8aa3b, v77
	s_delay_alu instid0(VALU_DEP_1) | instskip(NEXT) | instid1(VALU_DEP_2)
	v_add_f32_e32 v68, v68, v72
	v_exp_f32_e32 v77, v77
	s_waitcnt_depctr 0xfff
	v_cndmask_b32_e64 v78, 0, v78, s17
	v_cndmask_b32_e64 v76, 0, v77, s13
	;; [unrolled: 1-line block ×3, first 2 shown]
	v_exp_f32_e32 v80, v88
	v_and_b32_e32 v88, 31, v0
	s_delay_alu instid0(VALU_DEP_3) | instskip(NEXT) | instid1(VALU_DEP_2)
	v_add_f32_e32 v68, v68, v76
	v_cmp_lt_u32_e64 s2, 15, v88
	s_delay_alu instid0(VALU_DEP_2) | instskip(SKIP_3) | instid1(VALU_DEP_1)
	v_add_f32_e32 v68, v68, v77
	s_waitcnt_depctr 0xfff
	v_cndmask_b32_e64 v80, 0, v80, s18
	v_add_f32_e32 v68, v68, v78
	v_add_f32_e32 v68, v68, v80
	ds_bpermute_b32 v81, v81, v68
	v_cmpx_gt_u32_e32 16, v88
	s_cbranch_execz .LBB1562_11
; %bb.10:
	v_mul_u32_u24_e32 v88, 0x44, v66
	s_delay_alu instid0(VALU_DEP_1) | instskip(SKIP_1) | instid1(VALU_DEP_1)
	v_lshl_add_u32 v88, v65, 2, v88
	s_waitcnt lgkmcnt(0)
	v_dual_add_f32 v68, v68, v81 :: v_dual_add_nc_u32 v81, 0x4000, v88
	ds_store_2addr_b32 v81, v67, v68 offset1:136
.LBB1562_11:
	s_or_b32 exec_lo, exec_lo, s3
	v_lshlrev_b32_e32 v67, 2, v65
	s_waitcnt lgkmcnt(0)
	s_barrier
	buffer_gl0_inv
	v_cmp_eq_u32_e32 vcc_lo, 1, v66
	v_add_nc_u32_e32 v81, 0x4000, v67
	v_cmp_eq_u32_e64 s3, 2, v66
	v_cmp_eq_u32_e64 s5, 7, v66
	ds_load_2addr_b32 v[88:89], v81 offset1:17
	ds_load_2addr_b32 v[90:91], v81 offset0:34 offset1:51
	ds_load_2addr_b32 v[92:93], v81 offset0:68 offset1:85
	ds_load_2addr_b32 v[94:95], v81 offset0:102 offset1:119
	ds_load_2addr_b32 v[96:97], v81 offset0:136 offset1:153
	s_waitcnt lgkmcnt(4)
	v_max3_f32 v67, v88, 0xff7fffff, v89
	s_waitcnt lgkmcnt(3)
	s_delay_alu instid0(VALU_DEP_1) | instskip(SKIP_1) | instid1(VALU_DEP_1)
	v_max3_f32 v67, v67, v90, v91
	s_waitcnt lgkmcnt(2)
	v_max3_f32 v67, v67, v92, v93
	s_waitcnt lgkmcnt(1)
	s_delay_alu instid0(VALU_DEP_1) | instskip(NEXT) | instid1(VALU_DEP_1)
	v_max3_f32 v67, v67, v94, v95
	v_sub_f32_e32 v68, v88, v67
	v_sub_f32_e32 v90, v90, v67
	;; [unrolled: 1-line block ×3, first 2 shown]
	s_delay_alu instid0(VALU_DEP_3) | instskip(NEXT) | instid1(VALU_DEP_3)
	v_mul_f32_e32 v68, 0x3fb8aa3b, v68
	v_mul_f32_e32 v100, 0x3fb8aa3b, v90
	s_delay_alu instid0(VALU_DEP_3) | instskip(NEXT) | instid1(VALU_DEP_3)
	v_mul_f32_e32 v102, 0x3fb8aa3b, v92
	v_exp_f32_e32 v99, v68
	v_sub_f32_e32 v68, v91, v67
	v_sub_f32_e32 v98, v89, v67
	v_exp_f32_e32 v100, v100
	s_delay_alu instid0(VALU_DEP_1)
	v_dual_mul_f32 v101, 0x3fb8aa3b, v68 :: v_dual_mul_f32 v98, 0x3fb8aa3b, v98
	s_waitcnt lgkmcnt(0)
	s_waitcnt_depctr 0xfff
	v_fma_f32 v68, v99, v96, 0
	v_sub_f32_e32 v96, v93, v67
	v_exp_f32_e32 v98, v98
	v_exp_f32_e32 v101, v101
	s_waitcnt_depctr 0xfff
	v_fmac_f32_e32 v68, v98, v97
	ds_load_2addr_b32 v[88:89], v81 offset0:170 offset1:187
	ds_load_2addr_b32 v[90:91], v81 offset0:204 offset1:221
	;; [unrolled: 1-line block ×3, first 2 shown]
	v_dual_sub_f32 v81, v94, v67 :: v_dual_mul_f32 v94, 0x3fb8aa3b, v96
	v_exp_f32_e32 v96, v102
	s_waitcnt lgkmcnt(0)
	s_barrier
	s_delay_alu instid0(VALU_DEP_1)
	v_mul_f32_e32 v81, 0x3fb8aa3b, v81
	v_exp_f32_e32 v94, v94
	buffer_gl0_inv
	v_exp_f32_e32 v81, v81
	v_fmac_f32_e32 v68, v100, v88
	v_sub_f32_e32 v88, v95, v67
	s_delay_alu instid0(VALU_DEP_2) | instskip(NEXT) | instid1(VALU_DEP_2)
	v_fmac_f32_e32 v68, v101, v89
	v_mul_f32_e32 v88, 0x3fb8aa3b, v88
	s_delay_alu instid0(VALU_DEP_2) | instskip(NEXT) | instid1(VALU_DEP_2)
	v_fmac_f32_e32 v68, v96, v90
	v_exp_f32_e32 v88, v88
	s_delay_alu instid0(VALU_DEP_1)
	v_fmac_f32_e32 v68, v94, v91
	s_delay_alu instid0(TRANS32_DEP_2) | instid1(VALU_DEP_1)
	v_fmac_f32_e32 v68, v81, v92
	s_waitcnt_depctr 0xfff
	v_fmac_f32_e32 v68, v88, v93
	s_delay_alu instid0(VALU_DEP_1) | instskip(NEXT) | instid1(VALU_DEP_1)
	v_add_f32_e32 v89, 0x358637bd, v68
	v_div_scale_f32 v90, null, v89, v89, 1.0
	v_div_scale_f32 v93, s4, 1.0, v89, 1.0
	s_delay_alu instid0(VALU_DEP_2) | instskip(SKIP_2) | instid1(VALU_DEP_1)
	v_rcp_f32_e32 v91, v90
	s_waitcnt_depctr 0xfff
	v_fma_f32 v92, -v90, v91, 1.0
	v_dual_fmac_f32 v91, v92, v91 :: v_dual_cndmask_b32 v92, v99, v98
	v_cmp_eq_u32_e32 vcc_lo, 3, v66
	s_delay_alu instid0(VALU_DEP_2) | instskip(NEXT) | instid1(VALU_DEP_3)
	v_mul_f32_e32 v95, v93, v91
	v_cndmask_b32_e64 v92, v92, v100, s3
	v_cmp_eq_u32_e64 s3, 4, v66
	s_delay_alu instid0(VALU_DEP_3) | instskip(NEXT) | instid1(VALU_DEP_3)
	v_fma_f32 v97, -v90, v95, v93
	v_cndmask_b32_e32 v92, v92, v101, vcc_lo
	v_cmp_eq_u32_e32 vcc_lo, 5, v66
	s_delay_alu instid0(VALU_DEP_3) | instskip(NEXT) | instid1(VALU_DEP_3)
	v_fmac_f32_e32 v95, v97, v91
	v_cndmask_b32_e64 v92, v92, v96, s3
	v_cmp_eq_u32_e64 s3, 6, v66
	s_delay_alu instid0(VALU_DEP_3) | instskip(NEXT) | instid1(VALU_DEP_3)
	v_fma_f32 v90, -v90, v95, v93
	v_cndmask_b32_e32 v92, v92, v94, vcc_lo
	s_mov_b32 vcc_lo, s4
	s_delay_alu instid0(VALU_DEP_2) | instskip(NEXT) | instid1(VALU_DEP_2)
	v_div_fmas_f32 v90, v90, v91, v95
	v_cndmask_b32_e64 v81, v92, v81, s3
	s_mov_b32 s3, exec_lo
	s_delay_alu instid0(VALU_DEP_2) | instskip(NEXT) | instid1(VALU_DEP_2)
	v_div_fixup_f32 v89, v90, v89, 1.0
	v_cndmask_b32_e64 v81, v81, v88, s5
	s_delay_alu instid0(VALU_DEP_1) | instskip(NEXT) | instid1(VALU_DEP_1)
	v_mul_f32_e32 v81, v81, v89
	v_mul_f32_e32 v83, v81, v83
	;; [unrolled: 1-line block ×7, first 2 shown]
	v_dual_mul_f32 v85, v81, v82 :: v_dual_and_b32 v90, 0x7f800000, v89
	v_mul_f32_e32 v84, v81, v75
                                        ; implicit-def: $vgpr75
	s_delay_alu instid0(VALU_DEP_2)
	v_cmpx_ne_u32_e32 0x7f800000, v90
	s_xor_b32 s3, exec_lo, s3
; %bb.12:
	v_bfe_u32 v75, v89, 16, 1
	s_delay_alu instid0(VALU_DEP_1)
	v_add3_u32 v75, v89, v75, 0x7fff
                                        ; implicit-def: $vgpr89
; %bb.13:
	s_and_not1_saveexec_b32 s3, s3
; %bb.14:
	v_and_b32_e32 v75, 0xffff, v89
	v_or_b32_e32 v82, 0x10000, v89
	s_delay_alu instid0(VALU_DEP_2) | instskip(NEXT) | instid1(VALU_DEP_2)
	v_cmp_eq_u32_e32 vcc_lo, 0, v75
	v_cndmask_b32_e32 v75, v82, v89, vcc_lo
; %bb.15:
	s_or_b32 exec_lo, exec_lo, s3
	v_and_b32_e32 v82, 0x7f800000, v84
	s_delay_alu instid0(VALU_DEP_1) | instskip(SKIP_1) | instid1(SALU_CYCLE_1)
	v_cmp_ne_u32_e32 vcc_lo, 0x7f800000, v82
                                        ; implicit-def: $vgpr82
	s_and_saveexec_b32 s3, vcc_lo
	s_xor_b32 s3, exec_lo, s3
; %bb.16:
	v_bfe_u32 v82, v84, 16, 1
	s_delay_alu instid0(VALU_DEP_1)
	v_add3_u32 v82, v84, v82, 0x7fff
                                        ; implicit-def: $vgpr84
; %bb.17:
	s_and_not1_saveexec_b32 s3, s3
; %bb.18:
	v_and_b32_e32 v82, 0xffff, v84
	v_or_b32_e32 v89, 0x10000, v84
	s_delay_alu instid0(VALU_DEP_2) | instskip(NEXT) | instid1(VALU_DEP_2)
	v_cmp_eq_u32_e32 vcc_lo, 0, v82
	v_cndmask_b32_e32 v82, v89, v84, vcc_lo
; %bb.19:
	s_or_b32 exec_lo, exec_lo, s3
	v_and_b32_e32 v84, 0x7f800000, v85
	s_delay_alu instid0(VALU_DEP_1) | instskip(SKIP_1) | instid1(SALU_CYCLE_1)
	v_cmp_ne_u32_e32 vcc_lo, 0x7f800000, v84
                                        ; implicit-def: $vgpr84
	s_and_saveexec_b32 s3, vcc_lo
	s_xor_b32 s3, exec_lo, s3
; %bb.20:
	v_bfe_u32 v84, v85, 16, 1
	s_delay_alu instid0(VALU_DEP_1)
	v_add3_u32 v84, v85, v84, 0x7fff
                                        ; implicit-def: $vgpr85
; %bb.21:
	s_and_not1_saveexec_b32 s3, s3
; %bb.22:
	v_and_b32_e32 v84, 0xffff, v85
	v_or_b32_e32 v89, 0x10000, v85
	s_delay_alu instid0(VALU_DEP_2) | instskip(NEXT) | instid1(VALU_DEP_2)
	v_cmp_eq_u32_e32 vcc_lo, 0, v84
	v_cndmask_b32_e32 v84, v89, v85, vcc_lo
; %bb.23:
	s_or_b32 exec_lo, exec_lo, s3
	v_and_b32_e32 v85, 0x7f800000, v88
	s_delay_alu instid0(VALU_DEP_1) | instskip(SKIP_1) | instid1(SALU_CYCLE_1)
	v_cmp_ne_u32_e32 vcc_lo, 0x7f800000, v85
                                        ; implicit-def: $vgpr85
	s_and_saveexec_b32 s3, vcc_lo
	s_xor_b32 s3, exec_lo, s3
; %bb.24:
	v_bfe_u32 v85, v88, 16, 1
	s_delay_alu instid0(VALU_DEP_1)
	v_add3_u32 v85, v88, v85, 0x7fff
                                        ; implicit-def: $vgpr88
; %bb.25:
	s_and_not1_saveexec_b32 s3, s3
; %bb.26:
	v_and_b32_e32 v85, 0xffff, v88
	v_or_b32_e32 v89, 0x10000, v88
	s_delay_alu instid0(VALU_DEP_2) | instskip(NEXT) | instid1(VALU_DEP_2)
	v_cmp_eq_u32_e32 vcc_lo, 0, v85
	v_cndmask_b32_e32 v85, v89, v88, vcc_lo
; %bb.27:
	s_or_b32 exec_lo, exec_lo, s3
	v_and_b32_e32 v88, 0x7f800000, v87
	s_delay_alu instid0(VALU_DEP_1) | instskip(SKIP_1) | instid1(SALU_CYCLE_1)
	v_cmp_ne_u32_e32 vcc_lo, 0x7f800000, v88
                                        ; implicit-def: $vgpr88
	s_and_saveexec_b32 s3, vcc_lo
	s_xor_b32 s3, exec_lo, s3
; %bb.28:
	v_bfe_u32 v88, v87, 16, 1
	s_delay_alu instid0(VALU_DEP_1)
	v_add3_u32 v88, v87, v88, 0x7fff
                                        ; implicit-def: $vgpr87
; %bb.29:
	s_and_not1_saveexec_b32 s3, s3
; %bb.30:
	v_and_b32_e32 v88, 0xffff, v87
	v_or_b32_e32 v89, 0x10000, v87
	s_delay_alu instid0(VALU_DEP_2) | instskip(NEXT) | instid1(VALU_DEP_2)
	v_cmp_eq_u32_e32 vcc_lo, 0, v88
	v_cndmask_b32_e32 v88, v89, v87, vcc_lo
; %bb.31:
	s_or_b32 exec_lo, exec_lo, s3
	v_and_b32_e32 v87, 0x7f800000, v86
	s_delay_alu instid0(VALU_DEP_1) | instskip(SKIP_1) | instid1(SALU_CYCLE_1)
	v_cmp_ne_u32_e32 vcc_lo, 0x7f800000, v87
                                        ; implicit-def: $vgpr87
	s_and_saveexec_b32 s3, vcc_lo
	s_xor_b32 s3, exec_lo, s3
; %bb.32:
	v_bfe_u32 v87, v86, 16, 1
	s_delay_alu instid0(VALU_DEP_1)
	v_add3_u32 v87, v86, v87, 0x7fff
                                        ; implicit-def: $vgpr86
; %bb.33:
	s_and_not1_saveexec_b32 s3, s3
; %bb.34:
	v_and_b32_e32 v87, 0xffff, v86
	v_or_b32_e32 v89, 0x10000, v86
	s_delay_alu instid0(VALU_DEP_2) | instskip(NEXT) | instid1(VALU_DEP_2)
	v_cmp_eq_u32_e32 vcc_lo, 0, v87
	v_cndmask_b32_e32 v87, v89, v86, vcc_lo
; %bb.35:
	s_or_b32 exec_lo, exec_lo, s3
	v_and_b32_e32 v86, 0x7f800000, v83
	s_delay_alu instid0(VALU_DEP_1) | instskip(SKIP_1) | instid1(SALU_CYCLE_1)
	v_cmp_ne_u32_e32 vcc_lo, 0x7f800000, v86
                                        ; implicit-def: $vgpr86
	s_and_saveexec_b32 s3, vcc_lo
	s_xor_b32 s3, exec_lo, s3
; %bb.36:
	v_bfe_u32 v86, v83, 16, 1
	s_delay_alu instid0(VALU_DEP_1)
	v_add3_u32 v86, v83, v86, 0x7fff
                                        ; implicit-def: $vgpr83
; %bb.37:
	s_and_not1_saveexec_b32 s3, s3
; %bb.38:
	v_and_b32_e32 v86, 0xffff, v83
	v_or_b32_e32 v89, 0x10000, v83
	s_delay_alu instid0(VALU_DEP_2) | instskip(NEXT) | instid1(VALU_DEP_2)
	v_cmp_eq_u32_e32 vcc_lo, 0, v86
	v_cndmask_b32_e32 v86, v89, v83, vcc_lo
; %bb.39:
	s_or_b32 exec_lo, exec_lo, s3
	v_and_b32_e32 v83, 0x7f800000, v79
	s_delay_alu instid0(VALU_DEP_1) | instskip(SKIP_1) | instid1(SALU_CYCLE_1)
	v_cmp_ne_u32_e32 vcc_lo, 0x7f800000, v83
                                        ; implicit-def: $vgpr83
	s_and_saveexec_b32 s3, vcc_lo
	s_xor_b32 s3, exec_lo, s3
; %bb.40:
	v_bfe_u32 v83, v79, 16, 1
	s_delay_alu instid0(VALU_DEP_1)
	v_add3_u32 v83, v79, v83, 0x7fff
                                        ; implicit-def: $vgpr79
; %bb.41:
	s_and_not1_saveexec_b32 s3, s3
; %bb.42:
	v_and_b32_e32 v83, 0xffff, v79
	v_or_b32_e32 v89, 0x10000, v79
	s_delay_alu instid0(VALU_DEP_2) | instskip(NEXT) | instid1(VALU_DEP_2)
	v_cmp_eq_u32_e32 vcc_lo, 0, v83
	v_cndmask_b32_e32 v83, v89, v79, vcc_lo
; %bb.43:
	s_or_b32 exec_lo, exec_lo, s3
	s_load_b64 s[36:37], s[0:1], 0x94
	v_lshlrev_b32_e32 v90, 4, v74
	s_delay_alu instid0(VALU_DEP_2)
	v_perm_b32 v89, v83, v86, 0x7060302
	v_lshlrev_b32_e32 v79, 6, v65
	v_dual_mul_f32 v76, v81, v76 :: v_dual_lshlrev_b32 v65, 11, v66
	v_perm_b32 v86, v82, v75, 0x7060302
	v_mul_f32_e32 v82, v81, v70
	v_perm_b32 v88, v87, v88, 0x7060302
	v_perm_b32 v87, v85, v84, 0x7060302
	v_or3_b32 v75, v90, v65, v79
	v_mul_f32_e32 v65, v81, v80
	v_mul_f32_e32 v70, v81, v78
	;; [unrolled: 1-line block ×3, first 2 shown]
	v_dual_mul_f32 v80, v81, v72 :: v_dual_and_b32 v83, 0x7f800000, v82
	v_mul_f32_e32 v78, v81, v71
	v_mul_f32_e32 v72, v81, v69
	s_mov_b32 s3, exec_lo
	ds_store_b128 v75, v[86:89]
                                        ; implicit-def: $vgpr69
	v_cmpx_ne_u32_e32 0x7f800000, v83
	s_xor_b32 s3, exec_lo, s3
; %bb.44:
	v_bfe_u32 v69, v82, 16, 1
	s_delay_alu instid0(VALU_DEP_1)
	v_add3_u32 v69, v82, v69, 0x7fff
                                        ; implicit-def: $vgpr82
; %bb.45:
	s_and_not1_saveexec_b32 s3, s3
; %bb.46:
	v_and_b32_e32 v69, 0xffff, v82
	v_or_b32_e32 v71, 0x10000, v82
	s_delay_alu instid0(VALU_DEP_2) | instskip(NEXT) | instid1(VALU_DEP_2)
	v_cmp_eq_u32_e32 vcc_lo, 0, v69
	v_cndmask_b32_e32 v69, v71, v82, vcc_lo
; %bb.47:
	s_or_b32 exec_lo, exec_lo, s3
	v_and_b32_e32 v71, 0x7f800000, v72
	s_delay_alu instid0(VALU_DEP_1) | instskip(SKIP_1) | instid1(SALU_CYCLE_1)
	v_cmp_ne_u32_e32 vcc_lo, 0x7f800000, v71
                                        ; implicit-def: $vgpr71
	s_and_saveexec_b32 s3, vcc_lo
	s_xor_b32 s3, exec_lo, s3
; %bb.48:
	v_bfe_u32 v71, v72, 16, 1
	s_delay_alu instid0(VALU_DEP_1)
	v_add3_u32 v71, v72, v71, 0x7fff
                                        ; implicit-def: $vgpr72
; %bb.49:
	s_and_not1_saveexec_b32 s3, s3
; %bb.50:
	v_and_b32_e32 v71, 0xffff, v72
	v_or_b32_e32 v81, 0x10000, v72
	s_delay_alu instid0(VALU_DEP_2) | instskip(NEXT) | instid1(VALU_DEP_2)
	v_cmp_eq_u32_e32 vcc_lo, 0, v71
	v_cndmask_b32_e32 v71, v81, v72, vcc_lo
; %bb.51:
	s_or_b32 exec_lo, exec_lo, s3
	v_and_b32_e32 v72, 0x7f800000, v78
	s_delay_alu instid0(VALU_DEP_1) | instskip(SKIP_1) | instid1(SALU_CYCLE_1)
	v_cmp_ne_u32_e32 vcc_lo, 0x7f800000, v72
                                        ; implicit-def: $vgpr72
	s_and_saveexec_b32 s3, vcc_lo
	s_xor_b32 s3, exec_lo, s3
; %bb.52:
	v_bfe_u32 v72, v78, 16, 1
	s_delay_alu instid0(VALU_DEP_1)
	v_add3_u32 v72, v78, v72, 0x7fff
                                        ; implicit-def: $vgpr78
; %bb.53:
	s_and_not1_saveexec_b32 s3, s3
; %bb.54:
	v_and_b32_e32 v72, 0xffff, v78
	v_or_b32_e32 v81, 0x10000, v78
	s_delay_alu instid0(VALU_DEP_2) | instskip(NEXT) | instid1(VALU_DEP_2)
	v_cmp_eq_u32_e32 vcc_lo, 0, v72
	v_cndmask_b32_e32 v72, v81, v78, vcc_lo
; %bb.55:
	s_or_b32 exec_lo, exec_lo, s3
	v_and_b32_e32 v78, 0x7f800000, v80
	s_delay_alu instid0(VALU_DEP_1) | instskip(SKIP_1) | instid1(SALU_CYCLE_1)
	v_cmp_ne_u32_e32 vcc_lo, 0x7f800000, v78
                                        ; implicit-def: $vgpr78
	s_and_saveexec_b32 s3, vcc_lo
	s_xor_b32 s3, exec_lo, s3
; %bb.56:
	v_bfe_u32 v78, v80, 16, 1
	s_delay_alu instid0(VALU_DEP_1)
	v_add3_u32 v78, v80, v78, 0x7fff
                                        ; implicit-def: $vgpr80
; %bb.57:
	s_and_not1_saveexec_b32 s3, s3
; %bb.58:
	v_and_b32_e32 v78, 0xffff, v80
	v_or_b32_e32 v81, 0x10000, v80
	s_delay_alu instid0(VALU_DEP_2) | instskip(NEXT) | instid1(VALU_DEP_2)
	v_cmp_eq_u32_e32 vcc_lo, 0, v78
	v_cndmask_b32_e32 v78, v81, v80, vcc_lo
; %bb.59:
	s_or_b32 exec_lo, exec_lo, s3
	v_and_b32_e32 v80, 0x7f800000, v76
	s_delay_alu instid0(VALU_DEP_1) | instskip(SKIP_1) | instid1(SALU_CYCLE_1)
	v_cmp_ne_u32_e32 vcc_lo, 0x7f800000, v80
                                        ; implicit-def: $vgpr80
	s_and_saveexec_b32 s3, vcc_lo
	s_xor_b32 s3, exec_lo, s3
; %bb.60:
	v_bfe_u32 v80, v76, 16, 1
	s_delay_alu instid0(VALU_DEP_1)
	v_add3_u32 v80, v76, v80, 0x7fff
                                        ; implicit-def: $vgpr76
; %bb.61:
	s_and_not1_saveexec_b32 s3, s3
; %bb.62:
	v_and_b32_e32 v80, 0xffff, v76
	v_or_b32_e32 v81, 0x10000, v76
	s_delay_alu instid0(VALU_DEP_2) | instskip(NEXT) | instid1(VALU_DEP_2)
	v_cmp_eq_u32_e32 vcc_lo, 0, v80
	v_cndmask_b32_e32 v80, v81, v76, vcc_lo
; %bb.63:
	s_or_b32 exec_lo, exec_lo, s3
	v_and_b32_e32 v76, 0x7f800000, v77
	s_delay_alu instid0(VALU_DEP_1) | instskip(SKIP_1) | instid1(SALU_CYCLE_1)
	v_cmp_ne_u32_e32 vcc_lo, 0x7f800000, v76
                                        ; implicit-def: $vgpr76
	s_and_saveexec_b32 s3, vcc_lo
	s_xor_b32 s3, exec_lo, s3
; %bb.64:
	v_bfe_u32 v76, v77, 16, 1
	s_delay_alu instid0(VALU_DEP_1)
	v_add3_u32 v76, v77, v76, 0x7fff
                                        ; implicit-def: $vgpr77
; %bb.65:
	s_and_not1_saveexec_b32 s3, s3
; %bb.66:
	v_and_b32_e32 v76, 0xffff, v77
	v_or_b32_e32 v81, 0x10000, v77
	s_delay_alu instid0(VALU_DEP_2) | instskip(NEXT) | instid1(VALU_DEP_2)
	v_cmp_eq_u32_e32 vcc_lo, 0, v76
	v_cndmask_b32_e32 v76, v81, v77, vcc_lo
; %bb.67:
	s_or_b32 exec_lo, exec_lo, s3
	v_and_b32_e32 v77, 0x7f800000, v70
	s_delay_alu instid0(VALU_DEP_1) | instskip(SKIP_1) | instid1(SALU_CYCLE_1)
	v_cmp_ne_u32_e32 vcc_lo, 0x7f800000, v77
                                        ; implicit-def: $vgpr77
	s_and_saveexec_b32 s3, vcc_lo
	s_xor_b32 s3, exec_lo, s3
; %bb.68:
	v_bfe_u32 v77, v70, 16, 1
	s_delay_alu instid0(VALU_DEP_1)
	v_add3_u32 v77, v70, v77, 0x7fff
                                        ; implicit-def: $vgpr70
; %bb.69:
	s_and_not1_saveexec_b32 s3, s3
; %bb.70:
	v_and_b32_e32 v77, 0xffff, v70
	v_or_b32_e32 v81, 0x10000, v70
	s_delay_alu instid0(VALU_DEP_2) | instskip(NEXT) | instid1(VALU_DEP_2)
	v_cmp_eq_u32_e32 vcc_lo, 0, v77
	v_cndmask_b32_e32 v77, v81, v70, vcc_lo
; %bb.71:
	s_or_b32 exec_lo, exec_lo, s3
	v_and_b32_e32 v70, 0x7f800000, v65
	s_delay_alu instid0(VALU_DEP_1) | instskip(SKIP_1) | instid1(SALU_CYCLE_1)
	v_cmp_ne_u32_e32 vcc_lo, 0x7f800000, v70
                                        ; implicit-def: $vgpr70
	s_and_saveexec_b32 s3, vcc_lo
	s_xor_b32 s3, exec_lo, s3
; %bb.72:
	v_bfe_u32 v70, v65, 16, 1
	s_delay_alu instid0(VALU_DEP_1)
	v_add3_u32 v70, v65, v70, 0x7fff
                                        ; implicit-def: $vgpr65
; %bb.73:
	s_and_not1_saveexec_b32 s3, s3
; %bb.74:
	v_and_b32_e32 v70, 0xffff, v65
	v_or_b32_e32 v81, 0x10000, v65
	s_delay_alu instid0(VALU_DEP_2) | instskip(NEXT) | instid1(VALU_DEP_2)
	v_cmp_eq_u32_e32 vcc_lo, 0, v70
	v_cndmask_b32_e32 v70, v81, v65, vcc_lo
; %bb.75:
	s_or_b32 exec_lo, exec_lo, s3
	s_delay_alu instid0(VALU_DEP_1)
	v_perm_b32 v85, v70, v77, 0x7060302
	v_perm_b32 v84, v76, v80, 0x7060302
	;; [unrolled: 1-line block ×4, first 2 shown]
	v_lshl_or_b32 v81, v66, 11, v79
	ds_store_b128 v75, v[82:85] offset:1024
	s_waitcnt lgkmcnt(0)
	s_barrier
	buffer_gl0_inv
	ds_load_b128 v[69:72], v81
	ds_load_b128 v[82:85], v81 offset:16
	s_waitcnt lgkmcnt(1)
	v_lshrrev_b32_e32 v65, 16, v69
	v_lshlrev_b32_e32 v77, 2, v74
	v_lshrrev_b32_e32 v66, 16, v70
	s_waitcnt lgkmcnt(0)
	v_lshrrev_b32_e32 v90, 16, v82
	v_lshrrev_b32_e32 v94, 16, v71
	;; [unrolled: 1-line block ×3, first 2 shown]
	v_cmp_eq_u32_e32 vcc_lo, 1, v77
	v_lshrrev_b32_e32 v95, 16, v72
	v_lshrrev_b32_e32 v97, 16, v84
	;; [unrolled: 1-line block ×3, first 2 shown]
	v_cndmask_b32_e32 v80, v69, v65, vcc_lo
	v_or_b32_e32 v78, 1, v77
	v_cmp_eq_u32_e64 s4, 2, v77
	v_cmp_eq_u32_e64 s7, 3, v77
	;; [unrolled: 1-line block ×3, first 2 shown]
	v_or_b32_e32 v76, 2, v77
	v_cmp_eq_u32_e64 s3, 1, v78
	v_cndmask_b32_e64 v80, v80, v70, s4
	v_cmp_eq_u32_e64 s6, 2, v78
	v_cmp_eq_u32_e64 s8, 3, v78
	;; [unrolled: 1-line block ×3, first 2 shown]
	v_cndmask_b32_e64 v87, v69, v65, s3
	v_cndmask_b32_e64 v80, v80, v66, s7
	;; [unrolled: 1-line block ×3, first 2 shown]
	v_cmp_eq_u32_e64 s11, 4, v78
	v_cmp_eq_u32_e64 s5, 1, v76
	v_cndmask_b32_e64 v87, v87, v70, s6
	v_cndmask_b32_e64 v80, v80, v71, s9
	;; [unrolled: 1-line block ×3, first 2 shown]
	v_cmp_eq_u32_e64 s12, 6, v77
	v_cmp_eq_u32_e64 s13, 5, v78
	v_cndmask_b32_e64 v87, v87, v66, s8
	v_cndmask_b32_e64 v80, v80, v94, s10
	;; [unrolled: 1-line block ×4, first 2 shown]
	v_cmp_eq_u32_e64 s16, 7, v77
	v_cndmask_b32_e64 v87, v87, v71, s11
	v_cndmask_b32_e64 v80, v80, v72, s12
	v_cmp_eq_u32_e64 s17, 6, v78
	v_cmp_eq_u32_e64 s18, 2, v76
	v_cndmask_b32_e64 v88, v88, v84, s11
	v_cndmask_b32_e64 v87, v87, v94, s13
	;; [unrolled: 1-line block ×3, first 2 shown]
	v_cmp_eq_u32_e64 s19, 7, v78
	v_cndmask_b32_e64 v80, v89, v70, s18
	v_cmp_eq_u32_e64 s20, 3, v76
	v_cndmask_b32_e64 v87, v87, v72, s17
	v_cmp_eq_u32_e64 s21, 4, v76
	v_cmp_eq_u32_e64 s23, 5, v76
	;; [unrolled: 1-line block ×4, first 2 shown]
	v_cndmask_b32_e64 v101, v87, v95, s19
	v_cndmask_b32_e64 v87, v88, v97, s13
	;; [unrolled: 1-line block ×3, first 2 shown]
	v_or_b32_e32 v80, 3, v77
	s_delay_alu instid0(VALU_DEP_3) | instskip(NEXT) | instid1(VALU_DEP_3)
	v_cndmask_b32_e64 v102, v87, v85, s17
	v_cndmask_b32_e64 v91, v88, v71, s21
	s_delay_alu instid0(VALU_DEP_3)
	v_cmp_eq_u32_e64 s22, 1, v80
	v_cmp_eq_u32_e64 s24, 2, v80
	;; [unrolled: 1-line block ×5, first 2 shown]
	v_cndmask_b32_e64 v65, v69, v65, s22
	v_cmp_eq_u32_e64 s30, 6, v80
	v_cndmask_b32_e64 v103, v91, v94, s23
	s_delay_alu instid0(VALU_DEP_3) | instskip(NEXT) | instid1(VALU_DEP_1)
	v_cndmask_b32_e64 v65, v65, v70, s24
	v_cndmask_b32_e64 v65, v65, v66, s26
	s_delay_alu instid0(VALU_DEP_3) | instskip(NEXT) | instid1(VALU_DEP_2)
	v_cndmask_b32_e64 v66, v103, v72, s25
	v_cndmask_b32_e64 v65, v65, v71, s27
	s_delay_alu instid0(VALU_DEP_2) | instskip(NEXT) | instid1(VALU_DEP_2)
	v_cndmask_b32_e64 v66, v66, v95, s28
	v_cndmask_b32_e64 v65, v65, v94, s29
	s_delay_alu instid0(VALU_DEP_1) | instskip(SKIP_1) | instid1(VALU_DEP_1)
	v_cndmask_b32_e64 v65, v65, v72, s30
	v_cndmask_b32_e32 v86, v82, v90, vcc_lo
	v_cndmask_b32_e64 v86, v86, v83, s4
	s_delay_alu instid0(VALU_DEP_1) | instskip(NEXT) | instid1(VALU_DEP_1)
	v_cndmask_b32_e64 v86, v86, v96, s7
	v_cndmask_b32_e64 v86, v86, v84, s9
	s_delay_alu instid0(VALU_DEP_1) | instskip(NEXT) | instid1(VALU_DEP_1)
	v_cndmask_b32_e64 v86, v86, v97, s10
	v_cndmask_b32_e64 v86, v86, v85, s12
	s_delay_alu instid0(VALU_DEP_1) | instskip(SKIP_2) | instid1(VALU_DEP_2)
	v_cndmask_b32_e64 v100, v86, v98, s16
	v_cndmask_b32_e64 v86, v82, v90, s5
	;; [unrolled: 1-line block ×4, first 2 shown]
	s_delay_alu instid0(VALU_DEP_2) | instskip(SKIP_1) | instid1(VALU_DEP_3)
	v_cndmask_b32_e64 v70, v82, v83, s24
	v_cndmask_b32_e64 v82, v102, v98, s19
	;; [unrolled: 1-line block ×3, first 2 shown]
	ds_load_b128 v[86:89], v81 offset:1024
	v_cndmask_b32_e64 v70, v70, v96, s26
	v_cndmask_b32_e64 v69, v92, v84, s21
	ds_load_b128 v[90:93], v81 offset:1040
	v_cndmask_b32_e64 v70, v70, v84, s27
	v_cndmask_b32_e64 v69, v69, v97, s23
	s_delay_alu instid0(VALU_DEP_2) | instskip(NEXT) | instid1(VALU_DEP_2)
	v_cndmask_b32_e64 v70, v70, v97, s29
	v_cndmask_b32_e64 v69, v69, v85, s25
	s_delay_alu instid0(VALU_DEP_2) | instskip(NEXT) | instid1(VALU_DEP_2)
	v_cndmask_b32_e64 v70, v70, v85, s30
	v_cndmask_b32_e64 v69, v69, v98, s28
	s_waitcnt lgkmcnt(1)
	v_lshrrev_b32_e32 v83, 16, v86
	v_lshrrev_b32_e32 v94, 16, v87
	;; [unrolled: 1-line block ×3, first 2 shown]
	s_delay_alu instid0(VALU_DEP_3) | instskip(SKIP_3) | instid1(VALU_DEP_3)
	v_cndmask_b32_e32 v71, v86, v83, vcc_lo
	s_waitcnt lgkmcnt(0)
	v_lshrrev_b32_e32 v84, 16, v90
	v_cndmask_b32_e64 v96, v86, v83, s3
	v_cndmask_b32_e64 v71, v71, v87, s4
	s_delay_alu instid0(VALU_DEP_3) | instskip(NEXT) | instid1(VALU_DEP_3)
	v_cndmask_b32_e32 v97, v90, v84, vcc_lo
	v_cndmask_b32_e64 v72, v96, v87, s6
	v_lshrrev_b32_e32 v96, 16, v91
	v_cmp_eq_u32_e32 vcc_lo, 7, v80
	v_cndmask_b32_e64 v71, v71, v94, s7
	v_cndmask_b32_e64 v85, v97, v91, s4
	;; [unrolled: 1-line block ×3, first 2 shown]
	v_lshrrev_b32_e32 v97, 16, v88
	v_cndmask_b32_e32 v65, v65, v95, vcc_lo
	v_cndmask_b32_e64 v71, v71, v88, s9
	v_cndmask_b32_e64 v85, v85, v96, s7
	v_cndmask_b32_e32 v70, v70, v98, vcc_lo
	v_cndmask_b32_e64 v95, v72, v88, s11
	v_lshrrev_b32_e32 v98, 16, v92
	v_cndmask_b32_e64 v71, v71, v97, s10
	v_cndmask_b32_e64 v85, v85, v92, s9
	v_perm_b32 v72, v70, v65, 0x5040100
	v_cndmask_b32_e64 v65, v95, v97, s13
	v_perm_b32 v70, v82, v101, 0x5040100
	v_cndmask_b32_e64 v95, v71, v89, s12
	v_cndmask_b32_e64 v85, v85, v98, s10
	v_perm_b32 v71, v69, v66, 0x5040100
	v_cndmask_b32_e64 v65, v65, v89, s17
	v_lshrrev_b32_e32 v82, 16, v93
	v_cndmask_b32_e64 v66, v95, v102, s16
	v_cndmask_b32_e64 v69, v85, v93, s12
	;; [unrolled: 1-line block ×34, first 2 shown]
	v_cndmask_b32_e32 v83, v83, v102, vcc_lo
	v_cndmask_b32_e32 v85, v86, v82, vcc_lo
	v_cndmask_b32_e64 v86, v87, v82, s28
	v_cndmask_b32_e64 v87, v84, v82, s19
	;; [unrolled: 1-line block ×3, first 2 shown]
	v_perm_b32 v69, v100, v99, 0x5040100
	v_perm_b32 v85, v85, v83, 0x5040100
	;; [unrolled: 1-line block ×5, first 2 shown]
	s_mov_b32 s3, exec_lo
	ds_store_b128 v75, v[69:72]
	ds_store_b128 v75, v[82:85] offset:1024
	v_cmpx_eq_u32_e32 0, v0
	s_cbranch_execz .LBB1562_77
; %bb.76:
	s_load_b128 s[4:7], s[0:1], 0x58
	s_mul_i32 s8, s37, s34
	v_mov_b32_e32 v65, 0
	s_add_i32 s8, s8, s15
	s_delay_alu instid0(SALU_CYCLE_1) | instskip(NEXT) | instid1(SALU_CYCLE_1)
	s_mul_i32 s8, s8, s36
	s_add_i32 s8, s8, s14
	s_delay_alu instid0(SALU_CYCLE_1) | instskip(NEXT) | instid1(SALU_CYCLE_1)
	s_ashr_i32 s9, s8, 31
	s_lshl_b64 s[8:9], s[8:9], 2
	s_waitcnt lgkmcnt(0)
	s_add_u32 s6, s6, s8
	s_addc_u32 s7, s7, s9
	s_add_u32 s4, s4, s8
	s_addc_u32 s5, s5, s9
	s_clause 0x1
	global_store_b32 v65, v67, s[6:7]
	global_store_b32 v65, v68, s[4:5]
.LBB1562_77:
	s_or_b32 exec_lo, exec_lo, s3
	s_waitcnt lgkmcnt(0)
	s_waitcnt_vscnt null, 0x0
	s_barrier
	buffer_gl0_inv
	ds_load_b128 v[82:85], v79
	ds_load_b128 v[86:89], v79 offset:16
	ds_load_b128 v[94:97], v79 offset:2064
	;; [unrolled: 1-line block ×3, first 2 shown]
	v_mov_b32_e32 v65, 0
	ds_load_b128 v[102:105], v79 offset:4112
	ds_load_b128 v[98:101], v79 offset:4096
	;; [unrolled: 1-line block ×4, first 2 shown]
	v_mov_b32_e32 v66, v65
	v_mov_b32_e32 v67, v65
	;; [unrolled: 1-line block ×7, first 2 shown]
	s_waitcnt lgkmcnt(6)
	s_delay_alu instid0(VALU_DEP_1)
	v_wmma_f32_16x16x16_bf16 v[65:72], v[49:56], v[82:89], v[65:72]
	ds_load_b128 v[53:56], v79 offset:8208
	ds_load_b128 v[49:52], v79 offset:8192
	s_waitcnt lgkmcnt(6)
	v_wmma_f32_16x16x16_bf16 v[65:72], v[41:48], v[90:97], v[65:72]
	ds_load_b128 v[45:48], v79 offset:10256
	ds_load_b128 v[41:44], v79 offset:10240
	s_waitcnt lgkmcnt(6)
	;; [unrolled: 4-line block ×4, first 2 shown]
	v_wmma_f32_16x16x16_bf16 v[65:72], v[1:8], v[49:56], v[65:72]
	s_waitcnt lgkmcnt(4)
	s_delay_alu instid0(VALU_DEP_1) | instskip(SKIP_1) | instid1(VALU_DEP_1)
	v_wmma_f32_16x16x16_bf16 v[65:72], v[9:16], v[41:48], v[65:72]
	s_waitcnt lgkmcnt(2)
	v_wmma_f32_16x16x16_bf16 v[65:72], v[17:24], v[33:40], v[65:72]
	s_waitcnt lgkmcnt(0)
	s_delay_alu instid0(VALU_DEP_1) | instskip(NEXT) | instid1(VALU_DEP_1)
	v_wmma_f32_16x16x16_bf16 v[65:72], v[57:64], v[25:32], v[65:72]
	v_and_b32_e32 v1, 0x7f800000, v65
	s_delay_alu instid0(VALU_DEP_1) | instskip(SKIP_1) | instid1(SALU_CYCLE_1)
	v_cmp_ne_u32_e32 vcc_lo, 0x7f800000, v1
                                        ; implicit-def: $vgpr1
	s_and_saveexec_b32 s3, vcc_lo
	s_xor_b32 s3, exec_lo, s3
; %bb.78:
	v_bfe_u32 v1, v65, 16, 1
	s_delay_alu instid0(VALU_DEP_1)
	v_add3_u32 v1, v65, v1, 0x7fff
; %bb.79:
	s_and_not1_saveexec_b32 s3, s3
; %bb.80:
	v_and_b32_e32 v1, 0xffff, v65
	v_or_b32_e32 v2, 0x10000, v65
	s_delay_alu instid0(VALU_DEP_2) | instskip(NEXT) | instid1(VALU_DEP_2)
	v_cmp_eq_u32_e32 vcc_lo, 0, v1
	v_cndmask_b32_e32 v1, v2, v65, vcc_lo
; %bb.81:
	s_or_b32 exec_lo, exec_lo, s3
	v_and_b32_e32 v2, 0x7f800000, v66
	s_delay_alu instid0(VALU_DEP_1) | instskip(SKIP_1) | instid1(SALU_CYCLE_1)
	v_cmp_ne_u32_e32 vcc_lo, 0x7f800000, v2
                                        ; implicit-def: $vgpr2
	s_and_saveexec_b32 s3, vcc_lo
	s_xor_b32 s3, exec_lo, s3
; %bb.82:
	v_bfe_u32 v2, v66, 16, 1
	s_delay_alu instid0(VALU_DEP_1)
	v_add3_u32 v2, v66, v2, 0x7fff
; %bb.83:
	s_and_not1_saveexec_b32 s3, s3
; %bb.84:
	v_and_b32_e32 v2, 0xffff, v66
	v_or_b32_e32 v3, 0x10000, v66
	s_delay_alu instid0(VALU_DEP_2) | instskip(NEXT) | instid1(VALU_DEP_2)
	v_cmp_eq_u32_e32 vcc_lo, 0, v2
	v_cndmask_b32_e32 v2, v3, v66, vcc_lo
; %bb.85:
	s_or_b32 exec_lo, exec_lo, s3
	v_and_b32_e32 v3, 0x7f800000, v67
	s_delay_alu instid0(VALU_DEP_1) | instskip(SKIP_1) | instid1(SALU_CYCLE_1)
	v_cmp_ne_u32_e32 vcc_lo, 0x7f800000, v3
                                        ; implicit-def: $vgpr3
	s_and_saveexec_b32 s3, vcc_lo
	s_xor_b32 s3, exec_lo, s3
; %bb.86:
	v_bfe_u32 v3, v67, 16, 1
	s_delay_alu instid0(VALU_DEP_1)
	v_add3_u32 v3, v67, v3, 0x7fff
; %bb.87:
	s_and_not1_saveexec_b32 s3, s3
; %bb.88:
	v_and_b32_e32 v3, 0xffff, v67
	v_or_b32_e32 v4, 0x10000, v67
	s_delay_alu instid0(VALU_DEP_2) | instskip(NEXT) | instid1(VALU_DEP_2)
	v_cmp_eq_u32_e32 vcc_lo, 0, v3
	v_cndmask_b32_e32 v3, v4, v67, vcc_lo
; %bb.89:
	s_or_b32 exec_lo, exec_lo, s3
	v_and_b32_e32 v4, 0x7f800000, v68
	s_delay_alu instid0(VALU_DEP_1) | instskip(SKIP_1) | instid1(SALU_CYCLE_1)
	v_cmp_ne_u32_e32 vcc_lo, 0x7f800000, v4
                                        ; implicit-def: $vgpr4
	s_and_saveexec_b32 s3, vcc_lo
	s_xor_b32 s3, exec_lo, s3
; %bb.90:
	v_bfe_u32 v4, v68, 16, 1
	s_delay_alu instid0(VALU_DEP_1)
	v_add3_u32 v4, v68, v4, 0x7fff
; %bb.91:
	s_and_not1_saveexec_b32 s3, s3
; %bb.92:
	v_and_b32_e32 v4, 0xffff, v68
	v_or_b32_e32 v5, 0x10000, v68
	s_delay_alu instid0(VALU_DEP_2) | instskip(NEXT) | instid1(VALU_DEP_2)
	v_cmp_eq_u32_e32 vcc_lo, 0, v4
	v_cndmask_b32_e32 v4, v5, v68, vcc_lo
; %bb.93:
	s_or_b32 exec_lo, exec_lo, s3
	v_and_b32_e32 v5, 0x7f800000, v69
	s_delay_alu instid0(VALU_DEP_1) | instskip(SKIP_1) | instid1(SALU_CYCLE_1)
	v_cmp_ne_u32_e32 vcc_lo, 0x7f800000, v5
                                        ; implicit-def: $vgpr5
	s_and_saveexec_b32 s3, vcc_lo
	s_xor_b32 s3, exec_lo, s3
; %bb.94:
	v_bfe_u32 v5, v69, 16, 1
	s_delay_alu instid0(VALU_DEP_1)
	v_add3_u32 v5, v69, v5, 0x7fff
; %bb.95:
	s_and_not1_saveexec_b32 s3, s3
; %bb.96:
	v_and_b32_e32 v5, 0xffff, v69
	v_or_b32_e32 v6, 0x10000, v69
	s_delay_alu instid0(VALU_DEP_2) | instskip(NEXT) | instid1(VALU_DEP_2)
	v_cmp_eq_u32_e32 vcc_lo, 0, v5
	v_cndmask_b32_e32 v5, v6, v69, vcc_lo
; %bb.97:
	s_or_b32 exec_lo, exec_lo, s3
	v_and_b32_e32 v6, 0x7f800000, v70
	s_delay_alu instid0(VALU_DEP_1) | instskip(SKIP_1) | instid1(SALU_CYCLE_1)
	v_cmp_ne_u32_e32 vcc_lo, 0x7f800000, v6
                                        ; implicit-def: $vgpr6
	s_and_saveexec_b32 s3, vcc_lo
	s_xor_b32 s3, exec_lo, s3
; %bb.98:
	v_bfe_u32 v6, v70, 16, 1
	s_delay_alu instid0(VALU_DEP_1)
	v_add3_u32 v6, v70, v6, 0x7fff
; %bb.99:
	s_and_not1_saveexec_b32 s3, s3
; %bb.100:
	v_and_b32_e32 v6, 0xffff, v70
	v_or_b32_e32 v7, 0x10000, v70
	s_delay_alu instid0(VALU_DEP_2) | instskip(NEXT) | instid1(VALU_DEP_2)
	v_cmp_eq_u32_e32 vcc_lo, 0, v6
	v_cndmask_b32_e32 v6, v7, v70, vcc_lo
; %bb.101:
	s_or_b32 exec_lo, exec_lo, s3
	v_and_b32_e32 v7, 0x7f800000, v71
	s_delay_alu instid0(VALU_DEP_1) | instskip(SKIP_1) | instid1(SALU_CYCLE_1)
	v_cmp_ne_u32_e32 vcc_lo, 0x7f800000, v7
                                        ; implicit-def: $vgpr7
	s_and_saveexec_b32 s3, vcc_lo
	s_xor_b32 s3, exec_lo, s3
; %bb.102:
	v_bfe_u32 v7, v71, 16, 1
	s_delay_alu instid0(VALU_DEP_1)
	v_add3_u32 v7, v71, v7, 0x7fff
; %bb.103:
	s_and_not1_saveexec_b32 s3, s3
; %bb.104:
	v_and_b32_e32 v7, 0xffff, v71
	v_or_b32_e32 v8, 0x10000, v71
	s_delay_alu instid0(VALU_DEP_2) | instskip(NEXT) | instid1(VALU_DEP_2)
	v_cmp_eq_u32_e32 vcc_lo, 0, v7
	v_cndmask_b32_e32 v7, v8, v71, vcc_lo
; %bb.105:
	s_or_b32 exec_lo, exec_lo, s3
	v_and_b32_e32 v8, 0x7f800000, v72
	s_delay_alu instid0(VALU_DEP_1) | instskip(SKIP_1) | instid1(SALU_CYCLE_1)
	v_cmp_ne_u32_e32 vcc_lo, 0x7f800000, v8
                                        ; implicit-def: $vgpr8
	s_and_saveexec_b32 s3, vcc_lo
	s_xor_b32 s3, exec_lo, s3
; %bb.106:
	v_bfe_u32 v8, v72, 16, 1
	s_delay_alu instid0(VALU_DEP_1)
	v_add3_u32 v8, v72, v8, 0x7fff
                                        ; implicit-def: $vgpr65_vgpr66_vgpr67_vgpr68_vgpr69_vgpr70_vgpr71_vgpr72
; %bb.107:
	s_and_not1_saveexec_b32 s3, s3
; %bb.108:
	v_and_b32_e32 v8, 0xffff, v72
	v_or_b32_e32 v9, 0x10000, v72
	s_delay_alu instid0(VALU_DEP_2) | instskip(NEXT) | instid1(VALU_DEP_2)
	v_cmp_eq_u32_e32 vcc_lo, 0, v8
	v_cndmask_b32_e32 v8, v9, v72, vcc_lo
; %bb.109:
	s_or_b32 exec_lo, exec_lo, s3
	s_delay_alu instid0(VALU_DEP_1)
	v_perm_b32 v7, v8, v7, 0x7060302
	v_perm_b32 v6, v6, v5, 0x7060302
	;; [unrolled: 1-line block ×4, first 2 shown]
	s_barrier
	buffer_gl0_inv
	v_cmp_eq_u32_e32 vcc_lo, 1, v77
	ds_store_b128 v75, v[4:7]
	s_waitcnt lgkmcnt(0)
	s_barrier
	buffer_gl0_inv
	ds_load_b128 v[1:4], v81
	ds_load_b128 v[5:8], v81 offset:16
	v_cmp_eq_u32_e64 s3, 1, v78
	v_cmp_eq_u32_e64 s4, 2, v77
	;; [unrolled: 1-line block ×5, first 2 shown]
	s_xor_b32 s2, s2, -1
	s_waitcnt lgkmcnt(1)
	v_lshrrev_b32_e32 v9, 16, v1
	s_waitcnt lgkmcnt(0)
	v_lshrrev_b32_e32 v13, 16, v5
	v_lshrrev_b32_e32 v10, 16, v2
	;; [unrolled: 1-line block ×4, first 2 shown]
	v_cndmask_b32_e64 v19, v1, v9, s3
	v_cndmask_b32_e32 v18, v5, v13, vcc_lo
	v_cndmask_b32_e64 v20, v5, v13, s3
	v_cndmask_b32_e32 v17, v1, v9, vcc_lo
	v_cmp_eq_u32_e32 vcc_lo, 2, v78
	v_lshrrev_b32_e32 v15, 16, v7
	v_cmp_eq_u32_e64 s3, 1, v76
	v_lshrrev_b32_e32 v12, 16, v4
	v_lshrrev_b32_e32 v16, 16, v8
	v_cndmask_b32_e32 v20, v20, v6, vcc_lo
	v_cndmask_b32_e64 v17, v17, v2, s4
	v_cndmask_b32_e32 v19, v19, v2, vcc_lo
	v_cndmask_b32_e64 v18, v18, v6, s4
	v_cmp_eq_u32_e32 vcc_lo, 4, v77
	v_cmp_eq_u32_e64 s4, 3, v78
	v_cndmask_b32_e64 v17, v17, v10, s5
	v_cndmask_b32_e64 v21, v1, v9, s3
	;; [unrolled: 1-line block ×5, first 2 shown]
	v_cndmask_b32_e32 v17, v17, v3, vcc_lo
	v_cndmask_b32_e64 v20, v20, v14, s4
	v_cndmask_b32_e32 v18, v18, v7, vcc_lo
	v_cmp_eq_u32_e32 vcc_lo, 4, v78
	v_cmp_eq_u32_e64 s4, 5, v78
	v_cmp_eq_u32_e64 s3, 2, v80
	v_cndmask_b32_e64 v21, v21, v2, s7
	v_cmp_eq_u32_e64 s5, 5, v77
	v_cndmask_b32_e32 v19, v19, v3, vcc_lo
	v_cndmask_b32_e32 v20, v20, v7, vcc_lo
	v_cmp_eq_u32_e32 vcc_lo, 6, v78
	s_delay_alu instid0(VALU_DEP_4) | instskip(NEXT) | instid1(VALU_DEP_4)
	v_cndmask_b32_e64 v17, v17, v11, s5
	v_cndmask_b32_e64 v19, v19, v11, s4
	s_delay_alu instid0(VALU_DEP_4) | instskip(SKIP_1) | instid1(VALU_DEP_3)
	v_cndmask_b32_e64 v20, v20, v15, s4
	v_cmp_eq_u32_e64 s4, 1, v80
	v_cndmask_b32_e32 v19, v19, v4, vcc_lo
	v_cndmask_b32_e64 v18, v18, v15, s5
	s_delay_alu instid0(VALU_DEP_3)
	v_cndmask_b32_e64 v1, v1, v9, s4
	v_cndmask_b32_e64 v5, v5, v13, s4
	v_cmp_eq_u32_e64 s4, 3, v76
	v_cndmask_b32_e64 v13, v22, v6, s7
	v_cmp_eq_u32_e64 s7, 3, v80
	v_cndmask_b32_e64 v1, v1, v2, s3
	v_cndmask_b32_e64 v2, v5, v6, s3
	;; [unrolled: 1-line block ×3, first 2 shown]
	v_cmp_eq_u32_e64 s3, 4, v76
	v_cndmask_b32_e64 v6, v13, v14, s4
	v_cndmask_b32_e64 v1, v1, v10, s7
	v_cmp_eq_u32_e64 s4, 4, v80
	v_cndmask_b32_e64 v2, v2, v14, s7
	v_cndmask_b32_e64 v5, v9, v3, s3
	;; [unrolled: 3-line block ×3, first 2 shown]
	v_cndmask_b32_e64 v2, v2, v7, s4
	v_cmp_eq_u32_e64 s3, 5, v80
	v_cmp_eq_u32_e64 s5, 6, v77
	v_cndmask_b32_e64 v5, v5, v11, s7
	v_cmp_eq_u32_e64 s4, 6, v76
	v_cndmask_b32_e64 v3, v6, v15, s7
	v_cndmask_b32_e64 v1, v1, v11, s3
	v_cmp_eq_u32_e64 s7, 6, v80
	v_cndmask_b32_e64 v2, v2, v15, s3
	v_cndmask_b32_e64 v17, v17, v4, s5
	v_cndmask_b32_e64 v18, v18, v8, s5
	v_cmp_eq_u32_e64 s5, 7, v77
	v_cndmask_b32_e64 v5, v5, v4, s4
	;; [unrolled: 4-line block ×3, first 2 shown]
	v_cmp_eq_u32_e64 s4, 7, v76
	v_cndmask_b32_e32 v4, v20, v8, vcc_lo
	v_cndmask_b32_e64 v17, v17, v12, s5
	v_cndmask_b32_e64 v19, v19, v12, s6
	;; [unrolled: 1-line block ×8, first 2 shown]
	v_cmp_gt_u32_e32 vcc_lo, 32, v0
	v_perm_b32 v4, v2, v1, 0x5040100
	v_perm_b32 v3, v3, v5, 0x5040100
	;; [unrolled: 1-line block ×4, first 2 shown]
	s_and_b32 s2, vcc_lo, s2
	ds_store_b128 v75, v[1:4]
	s_waitcnt lgkmcnt(0)
	s_barrier
	buffer_gl0_inv
	s_and_saveexec_b32 s3, s2
	s_cbranch_execz .LBB1562_2
; %bb.110:
	s_load_b64 s[0:1], s[0:1], 0x68
	v_lshlrev_b32_e32 v1, 10, v0
	v_and_b32_e32 v0, 1, v0
	v_lshlrev_b32_e32 v2, 6, v74
	s_lshl_b32 s4, s36, 7
	s_delay_alu instid0(VALU_DEP_3) | instskip(NEXT) | instid1(VALU_DEP_3)
	v_and_b32_e32 v1, 0x3800, v1
	v_lshlrev_b32_e32 v0, 4, v0
	s_mul_i32 s2, s4, s34
	s_delay_alu instid0(SALU_CYCLE_1) | instskip(NEXT) | instid1(VALU_DEP_1)
	s_mul_i32 s2, s2, s37
	v_or3_b32 v0, v1, v2, v0
	s_ashr_i32 s3, s2, 31
	s_delay_alu instid0(SALU_CYCLE_1)
	s_lshl_b64 s[2:3], s[2:3], 1
	ds_load_b128 v[0:3], v0
	s_waitcnt lgkmcnt(0)
	s_add_u32 s5, s0, s2
	s_addc_u32 s3, s1, s3
	s_lshl_b32 s0, s14, 7
	s_mul_i32 s2, s4, s15
	s_ashr_i32 s1, s0, 31
	s_delay_alu instid0(SALU_CYCLE_1) | instskip(NEXT) | instid1(SALU_CYCLE_1)
	s_lshl_b64 s[0:1], s[0:1], 1
	s_add_u32 s4, s5, s0
	s_addc_u32 s5, s3, s1
	s_ashr_i32 s3, s2, 31
	s_delay_alu instid0(SALU_CYCLE_1) | instskip(NEXT) | instid1(SALU_CYCLE_1)
	s_lshl_b64 s[0:1], s[2:3], 1
	s_add_u32 s0, s4, s0
	s_addc_u32 s1, s5, s1
	global_store_b128 v73, v[0:3], s[0:1]
	s_nop 0
	s_sendmsg sendmsg(MSG_DEALLOC_VGPRS)
	s_endpgm
	.section	.rodata,"a",@progbits
	.p2align	6, 0x0
	.amdhsa_kernel _Z39paged_attention_ll4mi_QKV_mfma16_kernelI14__hip_bfloat16hLN4vllm18Fp8KVCacheDataTypeE1ES0_Li16ELi128ELi256ELb1ELi1EL8MFMAType1EEvPKT_PKT0_S9_ifPKiSB_SB_iPKfiiiPfSE_PS4_PT2_iSD_SD_
		.amdhsa_group_segment_fixed_size 17472
		.amdhsa_private_segment_fixed_size 0
		.amdhsa_kernarg_size 400
		.amdhsa_user_sgpr_count 13
		.amdhsa_user_sgpr_dispatch_ptr 0
		.amdhsa_user_sgpr_queue_ptr 0
		.amdhsa_user_sgpr_kernarg_segment_ptr 1
		.amdhsa_user_sgpr_dispatch_id 0
		.amdhsa_user_sgpr_private_segment_size 0
		.amdhsa_wavefront_size32 1
		.amdhsa_uses_dynamic_stack 0
		.amdhsa_enable_private_segment 0
		.amdhsa_system_sgpr_workgroup_id_x 1
		.amdhsa_system_sgpr_workgroup_id_y 1
		.amdhsa_system_sgpr_workgroup_id_z 1
		.amdhsa_system_sgpr_workgroup_info 0
		.amdhsa_system_vgpr_workitem_id 0
		.amdhsa_next_free_vgpr 138
		.amdhsa_next_free_sgpr 66
		.amdhsa_reserve_vcc 1
		.amdhsa_float_round_mode_32 0
		.amdhsa_float_round_mode_16_64 0
		.amdhsa_float_denorm_mode_32 3
		.amdhsa_float_denorm_mode_16_64 3
		.amdhsa_dx10_clamp 1
		.amdhsa_ieee_mode 1
		.amdhsa_fp16_overflow 0
		.amdhsa_workgroup_processor_mode 1
		.amdhsa_memory_ordered 1
		.amdhsa_forward_progress 0
		.amdhsa_shared_vgpr_count 0
		.amdhsa_exception_fp_ieee_invalid_op 0
		.amdhsa_exception_fp_denorm_src 0
		.amdhsa_exception_fp_ieee_div_zero 0
		.amdhsa_exception_fp_ieee_overflow 0
		.amdhsa_exception_fp_ieee_underflow 0
		.amdhsa_exception_fp_ieee_inexact 0
		.amdhsa_exception_int_div_zero 0
	.end_amdhsa_kernel
	.section	.text._Z39paged_attention_ll4mi_QKV_mfma16_kernelI14__hip_bfloat16hLN4vllm18Fp8KVCacheDataTypeE1ES0_Li16ELi128ELi256ELb1ELi1EL8MFMAType1EEvPKT_PKT0_S9_ifPKiSB_SB_iPKfiiiPfSE_PS4_PT2_iSD_SD_,"axG",@progbits,_Z39paged_attention_ll4mi_QKV_mfma16_kernelI14__hip_bfloat16hLN4vllm18Fp8KVCacheDataTypeE1ES0_Li16ELi128ELi256ELb1ELi1EL8MFMAType1EEvPKT_PKT0_S9_ifPKiSB_SB_iPKfiiiPfSE_PS4_PT2_iSD_SD_,comdat
.Lfunc_end1562:
	.size	_Z39paged_attention_ll4mi_QKV_mfma16_kernelI14__hip_bfloat16hLN4vllm18Fp8KVCacheDataTypeE1ES0_Li16ELi128ELi256ELb1ELi1EL8MFMAType1EEvPKT_PKT0_S9_ifPKiSB_SB_iPKfiiiPfSE_PS4_PT2_iSD_SD_, .Lfunc_end1562-_Z39paged_attention_ll4mi_QKV_mfma16_kernelI14__hip_bfloat16hLN4vllm18Fp8KVCacheDataTypeE1ES0_Li16ELi128ELi256ELb1ELi1EL8MFMAType1EEvPKT_PKT0_S9_ifPKiSB_SB_iPKfiiiPfSE_PS4_PT2_iSD_SD_
                                        ; -- End function
	.section	.AMDGPU.csdata,"",@progbits
; Kernel info:
; codeLenInByte = 8640
; NumSgprs: 68
; NumVgprs: 138
; ScratchSize: 0
; MemoryBound: 1
; FloatMode: 240
; IeeeMode: 1
; LDSByteSize: 17472 bytes/workgroup (compile time only)
; SGPRBlocks: 8
; VGPRBlocks: 17
; NumSGPRsForWavesPerEU: 68
; NumVGPRsForWavesPerEU: 138
; Occupancy: 10
; WaveLimiterHint : 1
; COMPUTE_PGM_RSRC2:SCRATCH_EN: 0
; COMPUTE_PGM_RSRC2:USER_SGPR: 13
; COMPUTE_PGM_RSRC2:TRAP_HANDLER: 0
; COMPUTE_PGM_RSRC2:TGID_X_EN: 1
; COMPUTE_PGM_RSRC2:TGID_Y_EN: 1
; COMPUTE_PGM_RSRC2:TGID_Z_EN: 1
; COMPUTE_PGM_RSRC2:TIDIG_COMP_CNT: 0
	.section	.text._Z39paged_attention_ll4mi_QKV_mfma16_kernelI14__hip_bfloat16hLN4vllm18Fp8KVCacheDataTypeE1ES0_Li16ELi128ELi256ELb1ELi2EL8MFMAType1EEvPKT_PKT0_S9_ifPKiSB_SB_iPKfiiiPfSE_PS4_PT2_iSD_SD_,"axG",@progbits,_Z39paged_attention_ll4mi_QKV_mfma16_kernelI14__hip_bfloat16hLN4vllm18Fp8KVCacheDataTypeE1ES0_Li16ELi128ELi256ELb1ELi2EL8MFMAType1EEvPKT_PKT0_S9_ifPKiSB_SB_iPKfiiiPfSE_PS4_PT2_iSD_SD_,comdat
	.protected	_Z39paged_attention_ll4mi_QKV_mfma16_kernelI14__hip_bfloat16hLN4vllm18Fp8KVCacheDataTypeE1ES0_Li16ELi128ELi256ELb1ELi2EL8MFMAType1EEvPKT_PKT0_S9_ifPKiSB_SB_iPKfiiiPfSE_PS4_PT2_iSD_SD_ ; -- Begin function _Z39paged_attention_ll4mi_QKV_mfma16_kernelI14__hip_bfloat16hLN4vllm18Fp8KVCacheDataTypeE1ES0_Li16ELi128ELi256ELb1ELi2EL8MFMAType1EEvPKT_PKT0_S9_ifPKiSB_SB_iPKfiiiPfSE_PS4_PT2_iSD_SD_
	.globl	_Z39paged_attention_ll4mi_QKV_mfma16_kernelI14__hip_bfloat16hLN4vllm18Fp8KVCacheDataTypeE1ES0_Li16ELi128ELi256ELb1ELi2EL8MFMAType1EEvPKT_PKT0_S9_ifPKiSB_SB_iPKfiiiPfSE_PS4_PT2_iSD_SD_
	.p2align	8
	.type	_Z39paged_attention_ll4mi_QKV_mfma16_kernelI14__hip_bfloat16hLN4vllm18Fp8KVCacheDataTypeE1ES0_Li16ELi128ELi256ELb1ELi2EL8MFMAType1EEvPKT_PKT0_S9_ifPKiSB_SB_iPKfiiiPfSE_PS4_PT2_iSD_SD_,@function
_Z39paged_attention_ll4mi_QKV_mfma16_kernelI14__hip_bfloat16hLN4vllm18Fp8KVCacheDataTypeE1ES0_Li16ELi128ELi256ELb1ELi2EL8MFMAType1EEvPKT_PKT0_S9_ifPKiSB_SB_iPKfiiiPfSE_PS4_PT2_iSD_SD_: ; @_Z39paged_attention_ll4mi_QKV_mfma16_kernelI14__hip_bfloat16hLN4vllm18Fp8KVCacheDataTypeE1ES0_Li16ELi128ELi256ELb1ELi2EL8MFMAType1EEvPKT_PKT0_S9_ifPKiSB_SB_iPKfiiiPfSE_PS4_PT2_iSD_SD_
; %bb.0:
	s_load_b64 s[2:3], s[0:1], 0x30
	s_mov_b32 s30, s13
	s_waitcnt lgkmcnt(0)
	s_cmp_lg_u64 s[2:3], 0
	s_cselect_b32 s6, -1, 0
	s_ashr_i32 s31, s13, 31
	s_cmp_eq_u64 s[2:3], 0
	s_cbranch_scc1 .LBB1563_3
; %bb.1:
	s_lshl_b64 s[4:5], s[30:31], 2
	s_delay_alu instid0(SALU_CYCLE_1) | instskip(SKIP_4) | instid1(SALU_CYCLE_1)
	s_add_u32 s4, s2, s4
	s_addc_u32 s5, s3, s5
	s_load_b64 s[4:5], s[4:5], 0x0
	s_waitcnt lgkmcnt(0)
	s_sub_i32 s4, s5, s4
	s_cmp_eq_u32 s4, 1
	s_cselect_b32 s4, -1, 0
	s_delay_alu instid0(SALU_CYCLE_1)
	s_and_not1_b32 vcc_lo, exec_lo, s4
	s_cbranch_vccz .LBB1563_4
.LBB1563_2:
	s_endpgm
.LBB1563_3:
.LBB1563_4:
	s_load_b64 s[8:9], s[0:1], 0x28
	s_lshl_b64 s[4:5], s[30:31], 2
	s_waitcnt lgkmcnt(0)
	s_add_u32 s8, s8, s4
	s_addc_u32 s9, s9, s5
	s_lshl_b32 s16, s14, 8
	s_load_b32 s18, s[8:9], 0x0
	s_waitcnt lgkmcnt(0)
	s_cmp_ge_i32 s16, s18
	s_cbranch_scc1 .LBB1563_2
; %bb.5:
	s_clause 0x1
	s_load_b128 s[8:11], s[0:1], 0x8
	s_load_b64 s[12:13], s[0:1], 0x20
	s_and_not1_b32 vcc_lo, exec_lo, s6
	s_cbranch_vccnz .LBB1563_7
; %bb.6:
	s_add_u32 s2, s2, s4
	s_addc_u32 s3, s3, s5
	s_load_b32 s3, s[2:3], 0x0
	s_branch .LBB1563_8
.LBB1563_7:
	s_mov_b32 s3, s30
.LBB1563_8:
	s_load_b128 s[4:7], s[0:1], 0x48
	v_and_b32_e32 v66, 15, v0
	v_bfe_u32 v65, v0, 4, 1
	s_lshl_b32 s31, s15, 1
	v_and_b32_e32 v67, 31, v0
	v_and_b32_e32 v76, 1, v0
	v_lshlrev_b32_e32 v1, 3, v66
	v_cmp_gt_u32_e64 s2, 32, v0
	v_or_b32_e32 v75, s31, v65
	v_lshlrev_b32_e32 v74, 6, v65
	s_delay_alu instid0(VALU_DEP_4)
	v_lshlrev_b32_e32 v73, 1, v1
	s_waitcnt lgkmcnt(0)
	s_and_saveexec_b32 s7, s2
	s_cbranch_execz .LBB1563_10
; %bb.9:
	s_load_b64 s[20:21], s[0:1], 0x0
	v_lshlrev_b32_e32 v1, 7, v75
	s_mul_hi_i32 s23, s3, s4
	s_mul_i32 s22, s3, s4
	v_lshlrev_b32_e32 v5, 10, v66
	s_lshl_b64 s[22:23], s[22:23], 1
	v_ashrrev_i32_e32 v2, 31, v1
	v_lshlrev_b32_e32 v6, 10, v76
	s_delay_alu instid0(VALU_DEP_3) | instskip(NEXT) | instid1(VALU_DEP_3)
	v_and_b32_e32 v5, 0x3800, v5
	v_lshlrev_b64 v[1:2], 1, v[1:2]
	s_delay_alu instid0(VALU_DEP_2) | instskip(SKIP_3) | instid1(VALU_DEP_2)
	v_or3_b32 v5, v5, v6, v74
	s_waitcnt lgkmcnt(0)
	s_add_u32 s3, s20, s22
	s_addc_u32 s4, s21, s23
	v_add_co_u32 v1, vcc_lo, s3, v1
	v_add_co_ci_u32_e32 v2, vcc_lo, s4, v2, vcc_lo
	s_delay_alu instid0(VALU_DEP_2) | instskip(NEXT) | instid1(VALU_DEP_2)
	v_add_co_u32 v1, vcc_lo, v1, v73
	v_add_co_ci_u32_e32 v2, vcc_lo, 0, v2, vcc_lo
	global_load_b128 v[1:4], v[1:2], off
	s_waitcnt vmcnt(0)
	ds_store_b128 v5, v[1:4]
.LBB1563_10:
	s_or_b32 exec_lo, exec_lo, s7
	v_and_b32_e32 v1, 0xef, v0
	s_add_i32 s3, s18, 15
	s_clause 0x1
	s_load_b32 s4, s[0:1], 0x38
	s_load_b32 s19, s[0:1], 0x1c
	s_ashr_i32 s7, s3, 31
	v_add_nc_u32_e32 v1, s16, v1
	s_lshr_b32 s7, s7, 28
	s_waitcnt lgkmcnt(0)
	s_add_i32 s3, s3, s7
	s_barrier
	v_ashrrev_i32_e32 v2, 31, v1
	v_or_b32_e32 v3, 16, v1
	s_ashr_i32 s3, s3, 4
	v_cmp_gt_i32_e32 vcc_lo, s18, v1
	s_add_i32 s3, s3, -1
	v_lshrrev_b32_e32 v2, 28, v2
	buffer_gl0_inv
	s_mul_i32 s15, s15, s6
	v_lshrrev_b32_e32 v68, 5, v0
	v_lshlrev_b32_e32 v33, 4, v66
	v_add_nc_u32_e32 v4, v1, v2
	v_lshlrev_b32_e32 v137, 6, v76
	s_mul_i32 s20, s30, s4
	s_delay_alu instid0(SALU_CYCLE_1) | instskip(NEXT) | instid1(VALU_DEP_2)
	s_ashr_i32 s21, s20, 31
	v_ashrrev_i32_e32 v4, 4, v4
	v_add_nc_u32_e32 v2, v3, v2
	s_lshl_b64 s[20:21], s[20:21], 2
	v_lshl_or_b32 v33, v68, 8, v33
	s_add_u32 s4, s12, s20
	v_cndmask_b32_e32 v1, s3, v4, vcc_lo
	v_ashrrev_i32_e32 v2, 4, v2
	v_cmp_gt_i32_e32 vcc_lo, s18, v3
	s_addc_u32 s7, s13, s21
	s_ashr_i32 s6, s15, 31
	s_add_u32 s17, s8, s15
	s_addc_u32 s28, s9, s6
	v_cndmask_b32_e32 v3, s3, v2, vcc_lo
	v_ashrrev_i32_e32 v2, 31, v1
	s_lshl_b32 s8, s14, 4
	s_delay_alu instid0(SALU_CYCLE_1) | instskip(NEXT) | instid1(VALU_DEP_2)
	s_ashr_i32 s9, s8, 31
	v_ashrrev_i32_e32 v4, 31, v3
	s_delay_alu instid0(VALU_DEP_2) | instskip(SKIP_1) | instid1(SALU_CYCLE_1)
	v_lshlrev_b64 v[1:2], 2, v[1:2]
	s_lshl_b64 s[8:9], s[8:9], 2
	s_add_u32 s8, s4, s8
	s_delay_alu instid0(VALU_DEP_2) | instskip(SKIP_1) | instid1(VALU_DEP_2)
	v_lshlrev_b64 v[3:4], 2, v[3:4]
	s_addc_u32 s9, s7, s9
	v_add_co_u32 v1, vcc_lo, s4, v1
	v_add_co_ci_u32_e32 v2, vcc_lo, s7, v2, vcc_lo
	s_delay_alu instid0(VALU_DEP_3) | instskip(NEXT) | instid1(VALU_DEP_4)
	v_add_co_u32 v3, vcc_lo, s4, v3
	v_add_co_ci_u32_e32 v4, vcc_lo, s7, v4, vcc_lo
	s_clause 0x1
	global_load_b32 v5, v[1:2], off
	global_load_b32 v3, v[3:4], off
	s_or_b32 s12, s16, 32
	v_lshlrev_b32_e32 v1, 4, v0
	s_ashr_i32 s13, s12, 4
	s_cmp_lt_i32 s12, s18
	s_cselect_b32 s12, s13, s3
	s_delay_alu instid0(VALU_DEP_1) | instskip(SKIP_1) | instid1(SALU_CYCLE_1)
	v_and_b32_e32 v1, 0xf0, v1
	s_ashr_i32 s13, s12, 31
	s_lshl_b64 s[12:13], s[12:13], 2
	s_delay_alu instid0(SALU_CYCLE_1)
	s_add_u32 s12, s4, s12
	s_addc_u32 s13, s7, s13
	s_or_b32 s20, s16, 64
	v_add_co_u32 v1, s17, s17, v1
	s_ashr_i32 s21, s20, 4
	s_cmp_lt_i32 s20, s18
	v_add_co_ci_u32_e64 v2, null, s28, 0, s17
	s_cselect_b32 s20, s21, s3
	s_delay_alu instid0(SALU_CYCLE_1) | instskip(NEXT) | instid1(SALU_CYCLE_1)
	s_ashr_i32 s21, s20, 31
	s_lshl_b64 s[20:21], s[20:21], 2
	s_delay_alu instid0(SALU_CYCLE_1) | instskip(SKIP_2) | instid1(SALU_CYCLE_1)
	s_add_u32 s20, s4, s20
	s_addc_u32 s21, s7, s21
	s_or_b32 s22, s16, 0x60
	s_ashr_i32 s23, s22, 4
	s_cmp_lt_i32 s22, s18
	s_cselect_b32 s22, s23, s3
	s_delay_alu instid0(SALU_CYCLE_1) | instskip(NEXT) | instid1(SALU_CYCLE_1)
	s_ashr_i32 s23, s22, 31
	s_lshl_b64 s[22:23], s[22:23], 2
	s_delay_alu instid0(SALU_CYCLE_1) | instskip(SKIP_2) | instid1(SALU_CYCLE_1)
	s_add_u32 s22, s4, s22
	s_addc_u32 s23, s7, s23
	s_or_b32 s24, s16, 0x80
	s_ashr_i32 s25, s24, 4
	s_cmp_lt_i32 s24, s18
	;; [unrolled: 10-line block ×3, first 2 shown]
	s_cselect_b32 s26, s27, s3
	s_delay_alu instid0(SALU_CYCLE_1) | instskip(NEXT) | instid1(SALU_CYCLE_1)
	s_ashr_i32 s27, s26, 31
	s_lshl_b64 s[26:27], s[26:27], 2
	s_delay_alu instid0(SALU_CYCLE_1)
	s_add_u32 s26, s4, s26
	s_addc_u32 s27, s7, s27
	s_clause 0x5
	s_load_b32 s17, s[8:9], 0x0
	s_load_b32 s28, s[12:13], 0x0
	;; [unrolled: 1-line block ×6, first 2 shown]
	s_or_b32 s8, s16, 0xc0
	s_mov_b32 s20, 0
	s_ashr_i32 s9, s8, 4
	s_cmp_lt_i32 s8, s18
	s_mov_b32 s27, s20
	s_cselect_b32 s8, s9, s3
	s_mov_b32 s21, s20
	s_ashr_i32 s9, s8, 31
	s_mov_b32 s22, s20
	s_lshl_b64 s[8:9], s[8:9], 2
	s_mov_b32 s23, s20
	s_add_u32 s8, s4, s8
	s_addc_u32 s9, s7, s9
	s_or_b32 s12, s16, 0xe0
	s_mov_b32 s24, s20
	s_ashr_i32 s13, s12, 4
	s_cmp_lt_i32 s12, s18
	s_mov_b32 s25, s20
	s_cselect_b32 s12, s13, s3
	s_mov_b32 s26, s20
	s_ashr_i32 s13, s12, 31
	v_mov_b32_e32 v108, s27
	v_mov_b32_e32 v102, s21
	s_lshl_b64 s[12:13], s[12:13], 2
	v_mov_b32_e32 v107, s26
	s_add_u32 s12, s4, s12
	s_addc_u32 s13, s7, s13
	s_add_u32 s3, s10, s15
	s_addc_u32 s4, s11, s6
	v_add_co_u32 v69, s3, s3, v33
	s_delay_alu instid0(VALU_DEP_1)
	v_add_co_ci_u32_e64 v70, null, s4, 0, s3
	v_dual_mov_b32 v106, s25 :: v_dual_mov_b32 v105, s24
	v_dual_mov_b32 v104, s23 :: v_dual_mov_b32 v103, s22
	v_mov_b32_e32 v101, s20
	s_waitcnt lgkmcnt(0)
	v_mad_i64_i32 v[33:34], null, s17, s5, v[69:70]
	v_mad_i64_i32 v[71:72], null, s29, s5, v[69:70]
	;; [unrolled: 1-line block ×5, first 2 shown]
	s_waitcnt vmcnt(1)
	v_mad_i64_i32 v[25:26], null, v5, s5, v[1:2]
	s_waitcnt vmcnt(0)
	v_mad_i64_i32 v[27:28], null, v3, s5, v[1:2]
	s_clause 0xf
	global_load_b128 v[1:4], v[25:26], off
	global_load_b128 v[5:8], v[25:26], off offset:256
	global_load_b128 v[9:12], v[27:28], off
	global_load_b128 v[13:16], v[27:28], off offset:256
	global_load_b128 v[17:20], v[25:26], off offset:512
	;; [unrolled: 1-line block ×13, first 2 shown]
	ds_load_b128 v[25:28], v137
	ds_load_b128 v[29:32], v137 offset:1024
	ds_load_b128 v[109:112], v137 offset:2048
	;; [unrolled: 1-line block ×5, first 2 shown]
	s_clause 0x1
	s_load_b32 s3, s[8:9], 0x0
	s_load_b32 s4, s[12:13], 0x0
	s_clause 0x3
	global_load_b128 v[41:44], v[33:34], off
	global_load_b128 v[45:48], v[33:34], off offset:16
	global_load_b128 v[33:36], v[37:38], off
	global_load_b128 v[37:40], v[37:38], off offset:16
	s_waitcnt vmcnt(18) lgkmcnt(0)
	v_wmma_f32_16x16x16_bf16 v[125:132], v[1:8], v[25:32], v[101:108]
	s_waitcnt vmcnt(16)
	v_wmma_f32_16x16x16_bf16 v[101:108], v[9:16], v[25:32], v[101:108]
	v_mad_i64_i32 v[13:14], null, s35, s5, v[69:70]
	s_waitcnt vmcnt(14)
	v_wmma_f32_16x16x16_bf16 v[125:132], v[17:24], v[109:116], v[125:132]
	s_clause 0x1
	global_load_b128 v[25:28], v[71:72], off
	global_load_b128 v[29:32], v[71:72], off offset:16
	s_waitcnt vmcnt(14)
	v_wmma_f32_16x16x16_bf16 v[101:108], v[49:56], v[109:116], v[101:108]
	v_mad_i64_i32 v[49:50], null, s3, s5, v[69:70]
	v_mad_i64_i32 v[53:54], null, s4, s5, v[69:70]
	s_clause 0x5
	global_load_b128 v[17:20], v[133:134], off
	global_load_b128 v[21:24], v[133:134], off offset:16
	global_load_b128 v[1:4], v[135:136], off
	global_load_b128 v[5:8], v[135:136], off offset:16
	;; [unrolled: 2-line block ×3, first 2 shown]
	s_waitcnt vmcnt(18)
	v_wmma_f32_16x16x16_bf16 v[125:132], v[57:64], v[117:124], v[125:132]
	s_clause 0x3
	global_load_b128 v[57:60], v[49:50], off
	global_load_b128 v[61:64], v[49:50], off offset:16
	global_load_b128 v[49:52], v[53:54], off
	global_load_b128 v[53:56], v[53:54], off offset:16
	v_mbcnt_lo_u32_b32 v70, -1, 0
	s_waitcnt vmcnt(20)
	v_wmma_f32_16x16x16_bf16 v[101:108], v[77:84], v[117:124], v[101:108]
	s_delay_alu instid0(VALU_DEP_2) | instskip(NEXT) | instid1(VALU_DEP_1)
	v_xor_b32_e32 v71, 16, v70
	v_cmp_gt_i32_e32 vcc_lo, 32, v71
	v_cndmask_b32_e32 v70, v70, v71, vcc_lo
	ds_load_b128 v[77:80], v137 offset:6144
	ds_load_b128 v[81:84], v137 offset:7168
	s_waitcnt vmcnt(0) lgkmcnt(0)
	s_barrier
	buffer_gl0_inv
	v_wmma_f32_16x16x16_bf16 v[101:108], v[93:100], v[77:84], v[101:108]
	v_and_b32_e32 v69, 0xe0, v0
	v_wmma_f32_16x16x16_bf16 v[125:132], v[85:92], v[77:84], v[125:132]
	s_delay_alu instid0(VALU_DEP_3) | instskip(NEXT) | instid1(VALU_DEP_3)
	v_mul_f32_e32 v96, s19, v101
	v_dual_mul_f32 v98, s19, v103 :: v_dual_add_nc_u32 v69, s16, v69
	s_delay_alu instid0(VALU_DEP_3) | instskip(SKIP_1) | instid1(VALU_DEP_3)
	v_dual_mul_f32 v80, s19, v126 :: v_dual_mul_f32 v81, s19, v128
	v_mul_f32_e32 v100, s19, v105
	v_or_b32_e32 v69, v69, v65
	v_dual_mul_f32 v82, s19, v127 :: v_dual_mul_f32 v83, s19, v130
	v_dual_mul_f32 v84, s19, v129 :: v_dual_mul_f32 v93, s19, v132
	s_delay_alu instid0(VALU_DEP_3)
	v_or_b32_e32 v71, 2, v69
	v_or_b32_e32 v72, 4, v69
	;; [unrolled: 1-line block ×3, first 2 shown]
	v_cmp_gt_i32_e64 s3, s18, v69
	v_or_b32_e32 v110, 8, v69
	v_cmp_gt_i32_e32 vcc_lo, s18, v71
	v_mul_f32_e32 v71, s19, v125
	v_or_b32_e32 v85, 10, v69
	v_or_b32_e32 v91, 22, v69
	v_cmp_gt_i32_e64 s4, s18, v72
	v_mul_f32_e32 v72, s19, v107
	v_cndmask_b32_e64 v71, 0xff7fffff, v71, s3
	v_cndmask_b32_e32 v80, 0xff7fffff, v80, vcc_lo
	v_cmp_gt_i32_e64 s5, s18, v109
	v_or_b32_e32 v86, 12, v69
	v_or_b32_e32 v87, 14, v69
	v_cndmask_b32_e64 v82, 0xff7fffff, v82, s4
	v_cmp_gt_i32_e64 s6, s18, v110
	v_cndmask_b32_e64 v81, 0xff7fffff, v81, s5
	v_cmp_gt_i32_e64 s7, s18, v85
	v_cmp_gt_i32_e64 s13, s18, v91
	v_lshlrev_b32_e32 v91, 2, v70
	v_max3_f32 v71, v71, 0xff7fffff, v80
	v_or_b32_e32 v88, 16, v69
	v_or_b32_e32 v89, 18, v69
	v_mul_f32_e32 v94, s19, v131
	v_cndmask_b32_e64 v80, 0xff7fffff, v84, s6
	v_cndmask_b32_e64 v83, 0xff7fffff, v83, s7
	v_max3_f32 v71, v71, v82, v81
	v_cmp_gt_i32_e64 s8, s18, v86
	v_cmp_gt_i32_e64 s9, s18, v87
	v_or_b32_e32 v90, 20, v69
	v_mul_f32_e32 v95, s19, v102
	v_max3_f32 v71, v71, v80, v83
	v_cndmask_b32_e64 v81, 0xff7fffff, v94, s8
	v_cndmask_b32_e64 v82, 0xff7fffff, v93, s9
	v_cmp_gt_i32_e64 s10, s18, v88
	v_cmp_gt_i32_e64 s11, s18, v89
	v_or_b32_e32 v92, 24, v69
	v_or_b32_e32 v77, 26, v69
	v_mul_f32_e32 v97, s19, v104
	v_cndmask_b32_e64 v80, 0xff7fffff, v96, s10
	v_cndmask_b32_e64 v83, 0xff7fffff, v95, s11
	v_max3_f32 v71, v71, v81, v82
	v_cmp_gt_i32_e64 s12, s18, v90
	v_or_b32_e32 v78, 28, v69
	v_or_b32_e32 v79, 30, v69
	v_mul_f32_e32 v99, s19, v106
	v_cndmask_b32_e64 v82, 0xff7fffff, v97, s13
	v_cndmask_b32_e64 v81, 0xff7fffff, v98, s12
	v_max3_f32 v71, v71, v80, v83
	v_cmp_gt_i32_e64 s15, s18, v92
	v_cmp_gt_i32_e64 s16, s18, v77
	v_mul_f32_e32 v69, s19, v108
	v_cmp_gt_i32_e64 s17, s18, v78
	v_max3_f32 v71, v71, v81, v82
	v_cndmask_b32_e64 v80, 0xff7fffff, v100, s15
	v_cndmask_b32_e64 v77, 0xff7fffff, v99, s16
	v_cmp_gt_i32_e64 s18, s18, v79
	v_cndmask_b32_e64 v72, 0xff7fffff, v72, s17
	s_delay_alu instid0(VALU_DEP_3) | instskip(NEXT) | instid1(VALU_DEP_3)
	v_max3_f32 v71, v71, v80, v77
	v_cndmask_b32_e64 v69, 0xff7fffff, v69, s18
	s_delay_alu instid0(VALU_DEP_1) | instskip(SKIP_3) | instid1(VALU_DEP_1)
	v_max3_f32 v69, v71, v72, v69
	ds_bpermute_b32 v70, v91, v69
	s_waitcnt lgkmcnt(0)
	v_max_f32_e32 v70, v70, v70
	v_max_f32_e32 v69, v69, v70
	s_delay_alu instid0(VALU_DEP_1)
	v_fma_f32 v70, s19, v125, -v69
	v_fma_f32 v71, s19, v126, -v69
	;; [unrolled: 1-line block ×5, first 2 shown]
	v_mul_f32_e32 v70, 0x3fb8aa3b, v70
	s_delay_alu instid0(VALU_DEP_3) | instskip(NEXT) | instid1(VALU_DEP_3)
	v_dual_mul_f32 v72, 0x3fb8aa3b, v72 :: v_dual_mul_f32 v77, 0x3fb8aa3b, v77
	v_mul_f32_e32 v78, 0x3fb8aa3b, v78
	s_delay_alu instid0(VALU_DEP_3) | instskip(NEXT) | instid1(VALU_DEP_2)
	v_exp_f32_e32 v70, v70
	v_exp_f32_e32 v72, v72
	s_delay_alu instid0(VALU_DEP_2) | instskip(NEXT) | instid1(VALU_DEP_1)
	v_exp_f32_e32 v79, v77
	v_exp_f32_e32 v78, v78
	v_cndmask_b32_e64 v81, 0, v70, s3
	v_fma_f32 v70, s19, v130, -v69
	v_mul_f32_e32 v71, 0x3fb8aa3b, v71
	s_delay_alu instid0(TRANS32_DEP_3)
	v_cndmask_b32_e64 v85, 0, v72, s4
	s_waitcnt_depctr 0xfff
	v_cndmask_b32_e64 v87, 0, v79, s5
	v_cndmask_b32_e64 v88, 0, v78, s6
	v_mul_f32_e32 v70, 0x3fb8aa3b, v70
	v_exp_f32_e32 v71, v71
	s_mov_b32 s3, exec_lo
	s_delay_alu instid0(VALU_DEP_1) | instskip(SKIP_4) | instid1(VALU_DEP_2)
	v_exp_f32_e32 v70, v70
	s_waitcnt_depctr 0xfff
	v_cndmask_b32_e32 v77, 0, v71, vcc_lo
	v_add_f32_e32 v71, 0, v81
	v_cndmask_b32_e64 v89, 0, v70, s7
	v_add_f32_e32 v71, v71, v77
	s_delay_alu instid0(VALU_DEP_1) | instskip(NEXT) | instid1(VALU_DEP_1)
	v_add_f32_e32 v71, v71, v85
	v_add_f32_e32 v71, v71, v87
	s_delay_alu instid0(VALU_DEP_1) | instskip(NEXT) | instid1(VALU_DEP_1)
	v_add_f32_e32 v70, v71, v88
	v_add_f32_e32 v70, v70, v89
	v_fma_f32 v80, s19, v131, -v69
	v_fma_f32 v72, s19, v132, -v69
	;; [unrolled: 1-line block ×5, first 2 shown]
	v_mul_f32_e32 v80, 0x3fb8aa3b, v80
	s_delay_alu instid0(VALU_DEP_4) | instskip(NEXT) | instid1(VALU_DEP_3)
	v_dual_mul_f32 v72, 0x3fb8aa3b, v72 :: v_dual_mul_f32 v79, 0x3fb8aa3b, v79
	v_dual_mul_f32 v78, 0x3fb8aa3b, v78 :: v_dual_mul_f32 v71, 0x3fb8aa3b, v71
	s_delay_alu instid0(VALU_DEP_3) | instskip(NEXT) | instid1(VALU_DEP_2)
	v_exp_f32_e32 v80, v80
	v_exp_f32_e32 v72, v72
	s_delay_alu instid0(VALU_DEP_2) | instskip(NEXT) | instid1(VALU_DEP_1)
	v_exp_f32_e32 v79, v79
	v_exp_f32_e32 v78, v78
	;; [unrolled: 1-line block ×3, first 2 shown]
	v_fma_f32 v83, s19, v106, -v69
	v_cndmask_b32_e64 v86, 0, v80, s8
	v_fma_f32 v80, s19, v104, -v69
	v_cndmask_b32_e64 v90, 0, v72, s9
	v_fma_f32 v72, s19, v105, -v69
	s_delay_alu instid0(TRANS32_DEP_3) | instskip(SKIP_2) | instid1(VALU_DEP_2)
	v_cndmask_b32_e64 v71, 0, v79, s10
	v_add_f32_e32 v70, v70, v86
	v_dual_mul_f32 v80, 0x3fb8aa3b, v80 :: v_dual_mul_f32 v83, 0x3fb8aa3b, v83
	v_dual_mul_f32 v72, 0x3fb8aa3b, v72 :: v_dual_add_f32 v79, v70, v90
	s_delay_alu instid0(VALU_DEP_2) | instskip(SKIP_1) | instid1(VALU_DEP_2)
	v_exp_f32_e32 v80, v80
	v_cndmask_b32_e64 v70, 0, v78, s11
	v_exp_f32_e32 v84, v72
	v_cndmask_b32_e64 v72, 0, v82, s12
	v_add_f32_e32 v78, v79, v71
	v_fma_f32 v79, s19, v107, -v69
	v_exp_f32_e32 v83, v83
	s_delay_alu instid0(VALU_DEP_1) | instskip(NEXT) | instid1(TRANS32_DEP_3)
	v_dual_add_f32 v82, v78, v70 :: v_dual_mul_f32 v79, 0x3fb8aa3b, v79
	v_cndmask_b32_e64 v78, 0, v80, s13
	s_delay_alu instid0(VALU_DEP_2) | instskip(SKIP_1) | instid1(VALU_DEP_4)
	v_add_f32_e32 v80, v82, v72
	v_fma_f32 v82, s19, v108, -v69
	v_exp_f32_e32 v92, v79
	v_cndmask_b32_e64 v79, 0, v84, s15
	s_delay_alu instid0(VALU_DEP_3) | instskip(NEXT) | instid1(VALU_DEP_3)
	v_add_f32_e32 v84, v80, v78
	v_mul_f32_e32 v82, 0x3fb8aa3b, v82
	s_delay_alu instid0(TRANS32_DEP_2) | instskip(NEXT) | instid1(VALU_DEP_3)
	v_cndmask_b32_e64 v80, 0, v83, s16
	v_add_f32_e32 v83, v84, v79
	s_delay_alu instid0(VALU_DEP_3) | instskip(NEXT) | instid1(TRANS32_DEP_2)
	v_exp_f32_e32 v84, v82
	v_cndmask_b32_e64 v82, 0, v92, s17
	s_delay_alu instid0(VALU_DEP_2) | instskip(NEXT) | instid1(VALU_DEP_1)
	v_add_f32_e32 v83, v83, v80
	v_add_f32_e32 v92, v83, v82
	s_waitcnt_depctr 0xfff
	v_cndmask_b32_e64 v83, 0, v84, s18
	s_delay_alu instid0(VALU_DEP_1)
	v_add_f32_e32 v84, v92, v83
	ds_bpermute_b32 v91, v91, v84
	v_cmpx_gt_u32_e32 16, v67
	s_cbranch_execz .LBB1563_12
; %bb.11:
	v_mul_u32_u24_e32 v67, 0x44, v68
	s_waitcnt lgkmcnt(0)
	v_add_f32_e32 v84, v84, v91
	s_delay_alu instid0(VALU_DEP_2) | instskip(NEXT) | instid1(VALU_DEP_1)
	v_lshl_add_u32 v67, v66, 2, v67
	v_add_nc_u32_e32 v67, 0x4000, v67
	ds_store_2addr_b32 v67, v69, v84 offset1:136
.LBB1563_12:
	s_or_b32 exec_lo, exec_lo, s3
	v_lshlrev_b32_e32 v67, 2, v66
	s_waitcnt lgkmcnt(0)
	s_barrier
	buffer_gl0_inv
	v_cmp_eq_u32_e32 vcc_lo, 1, v68
	v_add_nc_u32_e32 v84, 0x4000, v67
	v_cmp_eq_u32_e64 s3, 2, v68
	v_cmp_eq_u32_e64 s5, 7, v68
	ds_load_2addr_b32 v[91:92], v84 offset1:17
	ds_load_2addr_b32 v[93:94], v84 offset0:34 offset1:51
	ds_load_2addr_b32 v[95:96], v84 offset0:68 offset1:85
	;; [unrolled: 1-line block ×4, first 2 shown]
	s_waitcnt lgkmcnt(4)
	v_max3_f32 v67, v91, 0xff7fffff, v92
	s_waitcnt lgkmcnt(3)
	s_delay_alu instid0(VALU_DEP_1) | instskip(SKIP_1) | instid1(VALU_DEP_1)
	v_max3_f32 v67, v67, v93, v94
	s_waitcnt lgkmcnt(2)
	v_max3_f32 v67, v67, v95, v96
	s_waitcnt lgkmcnt(1)
	s_delay_alu instid0(VALU_DEP_1) | instskip(NEXT) | instid1(VALU_DEP_1)
	v_max3_f32 v67, v67, v97, v98
	v_sub_f32_e32 v69, v91, v67
	v_sub_f32_e32 v101, v92, v67
	v_sub_f32_e32 v93, v93, v67
	v_sub_f32_e32 v95, v95, v67
	s_delay_alu instid0(VALU_DEP_4) | instskip(NEXT) | instid1(VALU_DEP_4)
	v_mul_f32_e32 v69, 0x3fb8aa3b, v69
	v_mul_f32_e32 v101, 0x3fb8aa3b, v101
	s_delay_alu instid0(VALU_DEP_4) | instskip(NEXT) | instid1(VALU_DEP_4)
	v_mul_f32_e32 v103, 0x3fb8aa3b, v93
	v_mul_f32_e32 v105, 0x3fb8aa3b, v95
	s_delay_alu instid0(VALU_DEP_4) | instskip(SKIP_3) | instid1(VALU_DEP_1)
	v_exp_f32_e32 v102, v69
	v_sub_f32_e32 v69, v94, v67
	v_exp_f32_e32 v101, v101
	v_exp_f32_e32 v103, v103
	v_mul_f32_e32 v104, 0x3fb8aa3b, v69
	s_waitcnt lgkmcnt(0)
	s_delay_alu instid0(TRANS32_DEP_3) | instskip(SKIP_1) | instid1(VALU_DEP_3)
	v_fma_f32 v69, v102, v99, 0
	v_sub_f32_e32 v99, v96, v67
	v_exp_f32_e32 v104, v104
	s_delay_alu instid0(TRANS32_DEP_3) | instid1(VALU_DEP_2)
	v_fmac_f32_e32 v69, v101, v100
	ds_load_2addr_b32 v[91:92], v84 offset0:170 offset1:187
	ds_load_2addr_b32 v[93:94], v84 offset0:204 offset1:221
	;; [unrolled: 1-line block ×3, first 2 shown]
	v_sub_f32_e32 v84, v97, v67
	v_mul_f32_e32 v97, 0x3fb8aa3b, v99
	v_exp_f32_e32 v99, v105
	s_waitcnt lgkmcnt(0)
	s_barrier
	v_mul_f32_e32 v84, 0x3fb8aa3b, v84
	v_exp_f32_e32 v97, v97
	buffer_gl0_inv
	v_exp_f32_e32 v84, v84
	v_fmac_f32_e32 v69, v103, v91
	v_sub_f32_e32 v91, v98, v67
	s_delay_alu instid0(VALU_DEP_2) | instskip(NEXT) | instid1(VALU_DEP_2)
	v_fmac_f32_e32 v69, v104, v92
	v_mul_f32_e32 v91, 0x3fb8aa3b, v91
	s_delay_alu instid0(VALU_DEP_2) | instskip(NEXT) | instid1(VALU_DEP_2)
	v_fmac_f32_e32 v69, v99, v93
	v_exp_f32_e32 v91, v91
	s_delay_alu instid0(VALU_DEP_1)
	v_fmac_f32_e32 v69, v97, v94
	s_delay_alu instid0(TRANS32_DEP_2) | instid1(VALU_DEP_1)
	v_fmac_f32_e32 v69, v84, v95
	s_waitcnt_depctr 0xfff
	v_fmac_f32_e32 v69, v91, v96
	s_delay_alu instid0(VALU_DEP_1) | instskip(NEXT) | instid1(VALU_DEP_1)
	v_add_f32_e32 v92, 0x358637bd, v69
	v_div_scale_f32 v93, null, v92, v92, 1.0
	v_div_scale_f32 v96, s4, 1.0, v92, 1.0
	s_delay_alu instid0(VALU_DEP_2) | instskip(SKIP_2) | instid1(VALU_DEP_1)
	v_rcp_f32_e32 v94, v93
	s_waitcnt_depctr 0xfff
	v_fma_f32 v95, -v93, v94, 1.0
	v_dual_fmac_f32 v94, v95, v94 :: v_dual_cndmask_b32 v95, v102, v101
	v_cmp_eq_u32_e32 vcc_lo, 3, v68
	s_delay_alu instid0(VALU_DEP_2) | instskip(NEXT) | instid1(VALU_DEP_3)
	v_mul_f32_e32 v98, v96, v94
	v_cndmask_b32_e64 v95, v95, v103, s3
	v_cmp_eq_u32_e64 s3, 4, v68
	s_delay_alu instid0(VALU_DEP_3) | instskip(NEXT) | instid1(VALU_DEP_3)
	v_fma_f32 v100, -v93, v98, v96
	v_cndmask_b32_e32 v95, v95, v104, vcc_lo
	v_cmp_eq_u32_e32 vcc_lo, 5, v68
	s_delay_alu instid0(VALU_DEP_3) | instskip(NEXT) | instid1(VALU_DEP_3)
	v_fmac_f32_e32 v98, v100, v94
	v_cndmask_b32_e64 v95, v95, v99, s3
	v_cmp_eq_u32_e64 s3, 6, v68
	s_delay_alu instid0(VALU_DEP_3) | instskip(NEXT) | instid1(VALU_DEP_3)
	v_fma_f32 v93, -v93, v98, v96
	v_cndmask_b32_e32 v95, v95, v97, vcc_lo
	s_mov_b32 vcc_lo, s4
	s_delay_alu instid0(VALU_DEP_2) | instskip(NEXT) | instid1(VALU_DEP_2)
	v_div_fmas_f32 v93, v93, v94, v98
	v_cndmask_b32_e64 v84, v95, v84, s3
	s_mov_b32 s3, exec_lo
	s_delay_alu instid0(VALU_DEP_2) | instskip(NEXT) | instid1(VALU_DEP_2)
	v_div_fixup_f32 v92, v93, v92, 1.0
	v_cndmask_b32_e64 v84, v84, v91, s5
	s_delay_alu instid0(VALU_DEP_1) | instskip(NEXT) | instid1(VALU_DEP_1)
	v_mul_f32_e32 v84, v84, v92
	v_mul_f32_e32 v92, v84, v81
	v_mul_f32_e32 v81, v84, v90
	v_mul_f32_e32 v86, v84, v86
	v_mul_f32_e32 v89, v84, v89
	v_mul_f32_e32 v90, v84, v88
	v_dual_mul_f32 v88, v84, v85 :: v_dual_and_b32 v93, 0x7f800000, v92
	v_mul_f32_e32 v91, v84, v87
	v_mul_f32_e32 v87, v84, v77
                                        ; implicit-def: $vgpr77
	s_delay_alu instid0(VALU_DEP_3)
	v_cmpx_ne_u32_e32 0x7f800000, v93
	s_xor_b32 s3, exec_lo, s3
; %bb.13:
	v_bfe_u32 v77, v92, 16, 1
	s_delay_alu instid0(VALU_DEP_1)
	v_add3_u32 v77, v92, v77, 0x7fff
                                        ; implicit-def: $vgpr92
; %bb.14:
	s_and_not1_saveexec_b32 s3, s3
; %bb.15:
	v_and_b32_e32 v77, 0xffff, v92
	v_or_b32_e32 v85, 0x10000, v92
	s_delay_alu instid0(VALU_DEP_2) | instskip(NEXT) | instid1(VALU_DEP_2)
	v_cmp_eq_u32_e32 vcc_lo, 0, v77
	v_cndmask_b32_e32 v77, v85, v92, vcc_lo
; %bb.16:
	s_or_b32 exec_lo, exec_lo, s3
	v_and_b32_e32 v85, 0x7f800000, v87
	s_delay_alu instid0(VALU_DEP_1) | instskip(SKIP_1) | instid1(SALU_CYCLE_1)
	v_cmp_ne_u32_e32 vcc_lo, 0x7f800000, v85
                                        ; implicit-def: $vgpr85
	s_and_saveexec_b32 s3, vcc_lo
	s_xor_b32 s3, exec_lo, s3
; %bb.17:
	v_bfe_u32 v85, v87, 16, 1
	s_delay_alu instid0(VALU_DEP_1)
	v_add3_u32 v85, v87, v85, 0x7fff
                                        ; implicit-def: $vgpr87
; %bb.18:
	s_and_not1_saveexec_b32 s3, s3
; %bb.19:
	v_and_b32_e32 v85, 0xffff, v87
	v_or_b32_e32 v92, 0x10000, v87
	s_delay_alu instid0(VALU_DEP_2) | instskip(NEXT) | instid1(VALU_DEP_2)
	v_cmp_eq_u32_e32 vcc_lo, 0, v85
	v_cndmask_b32_e32 v85, v92, v87, vcc_lo
; %bb.20:
	s_or_b32 exec_lo, exec_lo, s3
	v_and_b32_e32 v87, 0x7f800000, v88
	s_delay_alu instid0(VALU_DEP_1) | instskip(SKIP_1) | instid1(SALU_CYCLE_1)
	v_cmp_ne_u32_e32 vcc_lo, 0x7f800000, v87
                                        ; implicit-def: $vgpr87
	s_and_saveexec_b32 s3, vcc_lo
	s_xor_b32 s3, exec_lo, s3
; %bb.21:
	v_bfe_u32 v87, v88, 16, 1
	s_delay_alu instid0(VALU_DEP_1)
	v_add3_u32 v87, v88, v87, 0x7fff
                                        ; implicit-def: $vgpr88
; %bb.22:
	s_and_not1_saveexec_b32 s3, s3
; %bb.23:
	v_and_b32_e32 v87, 0xffff, v88
	v_or_b32_e32 v92, 0x10000, v88
	s_delay_alu instid0(VALU_DEP_2) | instskip(NEXT) | instid1(VALU_DEP_2)
	v_cmp_eq_u32_e32 vcc_lo, 0, v87
	v_cndmask_b32_e32 v87, v92, v88, vcc_lo
; %bb.24:
	s_or_b32 exec_lo, exec_lo, s3
	v_and_b32_e32 v88, 0x7f800000, v91
	s_delay_alu instid0(VALU_DEP_1) | instskip(SKIP_1) | instid1(SALU_CYCLE_1)
	v_cmp_ne_u32_e32 vcc_lo, 0x7f800000, v88
                                        ; implicit-def: $vgpr88
	s_and_saveexec_b32 s3, vcc_lo
	s_xor_b32 s3, exec_lo, s3
; %bb.25:
	v_bfe_u32 v88, v91, 16, 1
	s_delay_alu instid0(VALU_DEP_1)
	v_add3_u32 v88, v91, v88, 0x7fff
                                        ; implicit-def: $vgpr91
; %bb.26:
	s_and_not1_saveexec_b32 s3, s3
; %bb.27:
	v_and_b32_e32 v88, 0xffff, v91
	v_or_b32_e32 v92, 0x10000, v91
	s_delay_alu instid0(VALU_DEP_2) | instskip(NEXT) | instid1(VALU_DEP_2)
	v_cmp_eq_u32_e32 vcc_lo, 0, v88
	v_cndmask_b32_e32 v88, v92, v91, vcc_lo
; %bb.28:
	s_or_b32 exec_lo, exec_lo, s3
	v_and_b32_e32 v91, 0x7f800000, v90
	s_delay_alu instid0(VALU_DEP_1) | instskip(SKIP_1) | instid1(SALU_CYCLE_1)
	v_cmp_ne_u32_e32 vcc_lo, 0x7f800000, v91
                                        ; implicit-def: $vgpr91
	s_and_saveexec_b32 s3, vcc_lo
	s_xor_b32 s3, exec_lo, s3
; %bb.29:
	v_bfe_u32 v91, v90, 16, 1
	s_delay_alu instid0(VALU_DEP_1)
	v_add3_u32 v91, v90, v91, 0x7fff
                                        ; implicit-def: $vgpr90
; %bb.30:
	s_and_not1_saveexec_b32 s3, s3
; %bb.31:
	v_and_b32_e32 v91, 0xffff, v90
	v_or_b32_e32 v92, 0x10000, v90
	s_delay_alu instid0(VALU_DEP_2) | instskip(NEXT) | instid1(VALU_DEP_2)
	v_cmp_eq_u32_e32 vcc_lo, 0, v91
	v_cndmask_b32_e32 v91, v92, v90, vcc_lo
; %bb.32:
	s_or_b32 exec_lo, exec_lo, s3
	v_and_b32_e32 v90, 0x7f800000, v89
	s_delay_alu instid0(VALU_DEP_1) | instskip(SKIP_1) | instid1(SALU_CYCLE_1)
	v_cmp_ne_u32_e32 vcc_lo, 0x7f800000, v90
                                        ; implicit-def: $vgpr90
	s_and_saveexec_b32 s3, vcc_lo
	s_xor_b32 s3, exec_lo, s3
; %bb.33:
	v_bfe_u32 v90, v89, 16, 1
	s_delay_alu instid0(VALU_DEP_1)
	v_add3_u32 v90, v89, v90, 0x7fff
                                        ; implicit-def: $vgpr89
; %bb.34:
	s_and_not1_saveexec_b32 s3, s3
; %bb.35:
	v_and_b32_e32 v90, 0xffff, v89
	v_or_b32_e32 v92, 0x10000, v89
	s_delay_alu instid0(VALU_DEP_2) | instskip(NEXT) | instid1(VALU_DEP_2)
	v_cmp_eq_u32_e32 vcc_lo, 0, v90
	v_cndmask_b32_e32 v90, v92, v89, vcc_lo
; %bb.36:
	s_or_b32 exec_lo, exec_lo, s3
	v_and_b32_e32 v89, 0x7f800000, v86
	s_delay_alu instid0(VALU_DEP_1) | instskip(SKIP_1) | instid1(SALU_CYCLE_1)
	v_cmp_ne_u32_e32 vcc_lo, 0x7f800000, v89
                                        ; implicit-def: $vgpr89
	s_and_saveexec_b32 s3, vcc_lo
	s_xor_b32 s3, exec_lo, s3
; %bb.37:
	v_bfe_u32 v89, v86, 16, 1
	s_delay_alu instid0(VALU_DEP_1)
	v_add3_u32 v89, v86, v89, 0x7fff
                                        ; implicit-def: $vgpr86
; %bb.38:
	s_and_not1_saveexec_b32 s3, s3
; %bb.39:
	v_and_b32_e32 v89, 0xffff, v86
	v_or_b32_e32 v92, 0x10000, v86
	s_delay_alu instid0(VALU_DEP_2) | instskip(NEXT) | instid1(VALU_DEP_2)
	v_cmp_eq_u32_e32 vcc_lo, 0, v89
	v_cndmask_b32_e32 v89, v92, v86, vcc_lo
; %bb.40:
	s_or_b32 exec_lo, exec_lo, s3
	v_and_b32_e32 v86, 0x7f800000, v81
	s_delay_alu instid0(VALU_DEP_1) | instskip(SKIP_1) | instid1(SALU_CYCLE_1)
	v_cmp_ne_u32_e32 vcc_lo, 0x7f800000, v86
                                        ; implicit-def: $vgpr86
	s_and_saveexec_b32 s3, vcc_lo
	s_xor_b32 s3, exec_lo, s3
; %bb.41:
	v_bfe_u32 v86, v81, 16, 1
	s_delay_alu instid0(VALU_DEP_1)
	v_add3_u32 v86, v81, v86, 0x7fff
                                        ; implicit-def: $vgpr81
; %bb.42:
	s_and_not1_saveexec_b32 s3, s3
; %bb.43:
	v_and_b32_e32 v86, 0xffff, v81
	v_or_b32_e32 v92, 0x10000, v81
	s_delay_alu instid0(VALU_DEP_2) | instskip(NEXT) | instid1(VALU_DEP_2)
	v_cmp_eq_u32_e32 vcc_lo, 0, v86
	v_cndmask_b32_e32 v86, v92, v81, vcc_lo
; %bb.44:
	s_or_b32 exec_lo, exec_lo, s3
	s_load_b64 s[34:35], s[0:1], 0x94
	v_lshlrev_b32_e32 v93, 4, v65
	s_delay_alu instid0(VALU_DEP_2)
	v_perm_b32 v92, v86, v89, 0x7060302
	v_dual_mul_f32 v80, v84, v80 :: v_dual_lshlrev_b32 v81, 6, v66
	v_lshlrev_b32_e32 v66, 11, v68
	v_perm_b32 v89, v85, v77, 0x7060302
	v_mul_f32_e32 v85, v84, v71
	v_perm_b32 v91, v90, v91, 0x7060302
	v_perm_b32 v90, v88, v87, 0x7060302
	v_or3_b32 v77, v93, v66, v81
	v_mul_f32_e32 v66, v84, v83
	v_dual_mul_f32 v71, v84, v82 :: v_dual_and_b32 v86, 0x7f800000, v85
	v_mul_f32_e32 v79, v84, v79
	v_mul_f32_e32 v83, v84, v78
	;; [unrolled: 1-line block ×4, first 2 shown]
	s_mov_b32 s3, exec_lo
	ds_store_b128 v77, v[89:92]
                                        ; implicit-def: $vgpr70
	v_cmpx_ne_u32_e32 0x7f800000, v86
	s_xor_b32 s3, exec_lo, s3
; %bb.45:
	v_bfe_u32 v70, v85, 16, 1
	s_delay_alu instid0(VALU_DEP_1)
	v_add3_u32 v70, v85, v70, 0x7fff
                                        ; implicit-def: $vgpr85
; %bb.46:
	s_and_not1_saveexec_b32 s3, s3
; %bb.47:
	v_and_b32_e32 v70, 0xffff, v85
	v_or_b32_e32 v72, 0x10000, v85
	s_delay_alu instid0(VALU_DEP_2) | instskip(NEXT) | instid1(VALU_DEP_2)
	v_cmp_eq_u32_e32 vcc_lo, 0, v70
	v_cndmask_b32_e32 v70, v72, v85, vcc_lo
; %bb.48:
	s_or_b32 exec_lo, exec_lo, s3
	v_and_b32_e32 v72, 0x7f800000, v78
	s_delay_alu instid0(VALU_DEP_1) | instskip(SKIP_1) | instid1(SALU_CYCLE_1)
	v_cmp_ne_u32_e32 vcc_lo, 0x7f800000, v72
                                        ; implicit-def: $vgpr72
	s_and_saveexec_b32 s3, vcc_lo
	s_xor_b32 s3, exec_lo, s3
; %bb.49:
	v_bfe_u32 v72, v78, 16, 1
	s_delay_alu instid0(VALU_DEP_1)
	v_add3_u32 v72, v78, v72, 0x7fff
                                        ; implicit-def: $vgpr78
; %bb.50:
	s_and_not1_saveexec_b32 s3, s3
; %bb.51:
	v_and_b32_e32 v72, 0xffff, v78
	v_or_b32_e32 v84, 0x10000, v78
	s_delay_alu instid0(VALU_DEP_2) | instskip(NEXT) | instid1(VALU_DEP_2)
	v_cmp_eq_u32_e32 vcc_lo, 0, v72
	v_cndmask_b32_e32 v72, v84, v78, vcc_lo
; %bb.52:
	s_or_b32 exec_lo, exec_lo, s3
	v_and_b32_e32 v78, 0x7f800000, v82
	s_delay_alu instid0(VALU_DEP_1) | instskip(SKIP_1) | instid1(SALU_CYCLE_1)
	v_cmp_ne_u32_e32 vcc_lo, 0x7f800000, v78
                                        ; implicit-def: $vgpr78
	s_and_saveexec_b32 s3, vcc_lo
	s_xor_b32 s3, exec_lo, s3
; %bb.53:
	v_bfe_u32 v78, v82, 16, 1
	s_delay_alu instid0(VALU_DEP_1)
	v_add3_u32 v78, v82, v78, 0x7fff
                                        ; implicit-def: $vgpr82
; %bb.54:
	s_and_not1_saveexec_b32 s3, s3
; %bb.55:
	v_and_b32_e32 v78, 0xffff, v82
	v_or_b32_e32 v84, 0x10000, v82
	s_delay_alu instid0(VALU_DEP_2) | instskip(NEXT) | instid1(VALU_DEP_2)
	v_cmp_eq_u32_e32 vcc_lo, 0, v78
	v_cndmask_b32_e32 v78, v84, v82, vcc_lo
; %bb.56:
	s_or_b32 exec_lo, exec_lo, s3
	v_and_b32_e32 v82, 0x7f800000, v83
	s_delay_alu instid0(VALU_DEP_1) | instskip(SKIP_1) | instid1(SALU_CYCLE_1)
	v_cmp_ne_u32_e32 vcc_lo, 0x7f800000, v82
                                        ; implicit-def: $vgpr82
	s_and_saveexec_b32 s3, vcc_lo
	s_xor_b32 s3, exec_lo, s3
; %bb.57:
	v_bfe_u32 v82, v83, 16, 1
	s_delay_alu instid0(VALU_DEP_1)
	v_add3_u32 v82, v83, v82, 0x7fff
                                        ; implicit-def: $vgpr83
; %bb.58:
	s_and_not1_saveexec_b32 s3, s3
; %bb.59:
	v_and_b32_e32 v82, 0xffff, v83
	v_or_b32_e32 v84, 0x10000, v83
	s_delay_alu instid0(VALU_DEP_2) | instskip(NEXT) | instid1(VALU_DEP_2)
	v_cmp_eq_u32_e32 vcc_lo, 0, v82
	v_cndmask_b32_e32 v82, v84, v83, vcc_lo
; %bb.60:
	s_or_b32 exec_lo, exec_lo, s3
	v_and_b32_e32 v83, 0x7f800000, v79
	s_delay_alu instid0(VALU_DEP_1) | instskip(SKIP_1) | instid1(SALU_CYCLE_1)
	v_cmp_ne_u32_e32 vcc_lo, 0x7f800000, v83
                                        ; implicit-def: $vgpr83
	s_and_saveexec_b32 s3, vcc_lo
	s_xor_b32 s3, exec_lo, s3
; %bb.61:
	v_bfe_u32 v83, v79, 16, 1
	s_delay_alu instid0(VALU_DEP_1)
	v_add3_u32 v83, v79, v83, 0x7fff
                                        ; implicit-def: $vgpr79
; %bb.62:
	s_and_not1_saveexec_b32 s3, s3
; %bb.63:
	v_and_b32_e32 v83, 0xffff, v79
	v_or_b32_e32 v84, 0x10000, v79
	s_delay_alu instid0(VALU_DEP_2) | instskip(NEXT) | instid1(VALU_DEP_2)
	v_cmp_eq_u32_e32 vcc_lo, 0, v83
	v_cndmask_b32_e32 v83, v84, v79, vcc_lo
; %bb.64:
	s_or_b32 exec_lo, exec_lo, s3
	v_and_b32_e32 v79, 0x7f800000, v80
	s_delay_alu instid0(VALU_DEP_1) | instskip(SKIP_1) | instid1(SALU_CYCLE_1)
	v_cmp_ne_u32_e32 vcc_lo, 0x7f800000, v79
                                        ; implicit-def: $vgpr79
	s_and_saveexec_b32 s3, vcc_lo
	s_xor_b32 s3, exec_lo, s3
; %bb.65:
	v_bfe_u32 v79, v80, 16, 1
	s_delay_alu instid0(VALU_DEP_1)
	v_add3_u32 v79, v80, v79, 0x7fff
                                        ; implicit-def: $vgpr80
; %bb.66:
	s_and_not1_saveexec_b32 s3, s3
; %bb.67:
	v_and_b32_e32 v79, 0xffff, v80
	v_or_b32_e32 v84, 0x10000, v80
	s_delay_alu instid0(VALU_DEP_2) | instskip(NEXT) | instid1(VALU_DEP_2)
	v_cmp_eq_u32_e32 vcc_lo, 0, v79
	v_cndmask_b32_e32 v79, v84, v80, vcc_lo
; %bb.68:
	s_or_b32 exec_lo, exec_lo, s3
	v_and_b32_e32 v80, 0x7f800000, v71
	s_delay_alu instid0(VALU_DEP_1) | instskip(SKIP_1) | instid1(SALU_CYCLE_1)
	v_cmp_ne_u32_e32 vcc_lo, 0x7f800000, v80
                                        ; implicit-def: $vgpr80
	s_and_saveexec_b32 s3, vcc_lo
	s_xor_b32 s3, exec_lo, s3
; %bb.69:
	v_bfe_u32 v80, v71, 16, 1
	s_delay_alu instid0(VALU_DEP_1)
	v_add3_u32 v80, v71, v80, 0x7fff
                                        ; implicit-def: $vgpr71
; %bb.70:
	s_and_not1_saveexec_b32 s3, s3
; %bb.71:
	v_and_b32_e32 v80, 0xffff, v71
	v_or_b32_e32 v84, 0x10000, v71
	s_delay_alu instid0(VALU_DEP_2) | instskip(NEXT) | instid1(VALU_DEP_2)
	v_cmp_eq_u32_e32 vcc_lo, 0, v80
	v_cndmask_b32_e32 v80, v84, v71, vcc_lo
; %bb.72:
	s_or_b32 exec_lo, exec_lo, s3
	v_and_b32_e32 v71, 0x7f800000, v66
	s_delay_alu instid0(VALU_DEP_1) | instskip(SKIP_1) | instid1(SALU_CYCLE_1)
	v_cmp_ne_u32_e32 vcc_lo, 0x7f800000, v71
                                        ; implicit-def: $vgpr71
	s_and_saveexec_b32 s3, vcc_lo
	s_xor_b32 s3, exec_lo, s3
; %bb.73:
	v_bfe_u32 v71, v66, 16, 1
	s_delay_alu instid0(VALU_DEP_1)
	v_add3_u32 v71, v66, v71, 0x7fff
                                        ; implicit-def: $vgpr66
; %bb.74:
	s_and_not1_saveexec_b32 s3, s3
; %bb.75:
	v_and_b32_e32 v71, 0xffff, v66
	v_or_b32_e32 v84, 0x10000, v66
	s_delay_alu instid0(VALU_DEP_2) | instskip(NEXT) | instid1(VALU_DEP_2)
	v_cmp_eq_u32_e32 vcc_lo, 0, v71
	v_cndmask_b32_e32 v71, v84, v66, vcc_lo
; %bb.76:
	s_or_b32 exec_lo, exec_lo, s3
	s_delay_alu instid0(VALU_DEP_1)
	v_perm_b32 v87, v71, v80, 0x7060302
	v_perm_b32 v86, v79, v83, 0x7060302
	;; [unrolled: 1-line block ×4, first 2 shown]
	v_lshl_or_b32 v83, v68, 11, v81
	ds_store_b128 v77, v[84:87] offset:1024
	s_waitcnt lgkmcnt(0)
	s_barrier
	buffer_gl0_inv
	ds_load_b128 v[84:87], v83
	ds_load_b128 v[88:91], v83 offset:16
	s_waitcnt lgkmcnt(1)
	v_lshrrev_b32_e32 v70, 16, v87
	s_waitcnt lgkmcnt(0)
	v_lshrrev_b32_e32 v71, 16, v88
	v_lshlrev_b32_e32 v79, 2, v65
	v_lshrrev_b32_e32 v65, 16, v84
	v_lshrrev_b32_e32 v66, 16, v85
	;; [unrolled: 1-line block ×4, first 2 shown]
	v_cmp_eq_u32_e32 vcc_lo, 1, v79
	v_lshrrev_b32_e32 v100, 16, v90
	v_lshrrev_b32_e32 v101, 16, v91
	v_cndmask_b32_e32 v92, v88, v71, vcc_lo
	v_or_b32_e32 v80, 1, v79
	v_cndmask_b32_e32 v82, v84, v65, vcc_lo
	v_cmp_eq_u32_e64 s4, 2, v79
	v_cmp_eq_u32_e64 s7, 3, v79
	;; [unrolled: 1-line block ×5, first 2 shown]
	v_cndmask_b32_e64 v82, v82, v85, s4
	v_cndmask_b32_e64 v92, v92, v89, s4
	v_cmp_eq_u32_e64 s8, 3, v80
	v_cndmask_b32_e64 v93, v84, v65, s3
	v_or_b32_e32 v78, 2, v79
	v_cndmask_b32_e64 v82, v82, v66, s7
	v_cndmask_b32_e64 v92, v92, v72, s7
	;; [unrolled: 1-line block ×4, first 2 shown]
	v_cmp_eq_u32_e64 s10, 5, v79
	v_cndmask_b32_e64 v82, v82, v86, s9
	v_cndmask_b32_e64 v92, v92, v90, s9
	v_cmp_eq_u32_e64 s11, 4, v80
	v_cndmask_b32_e64 v93, v93, v66, s8
	v_cmp_eq_u32_e64 s5, 1, v78
	v_cndmask_b32_e64 v94, v94, v89, s6
	v_cndmask_b32_e64 v82, v82, v68, s10
	v_cmp_eq_u32_e64 s12, 6, v79
	v_cndmask_b32_e64 v93, v93, v86, s11
	;; [unrolled: 3-line block ×3, first 2 shown]
	v_cndmask_b32_e64 v94, v94, v72, s8
	v_cndmask_b32_e64 v82, v82, v87, s12
	v_cmp_eq_u32_e64 s15, 7, v79
	v_cndmask_b32_e64 v93, v93, v68, s13
	v_cndmask_b32_e64 v92, v92, v91, s12
	v_cmp_eq_u32_e64 s16, 6, v80
	v_cmp_eq_u32_e64 s17, 2, v78
	v_cndmask_b32_e64 v94, v94, v90, s11
	v_cndmask_b32_e64 v102, v82, v70, s15
	;; [unrolled: 1-line block ×6, first 2 shown]
	v_cmp_eq_u32_e64 s18, 7, v80
	v_cmp_eq_u32_e64 s19, 3, v78
	;; [unrolled: 1-line block ×4, first 2 shown]
	v_cndmask_b32_e64 v92, v92, v89, s17
	v_cndmask_b32_e64 v104, v93, v70, s18
	;; [unrolled: 1-line block ×4, first 2 shown]
	v_or_b32_e32 v82, 3, v79
	v_cndmask_b32_e64 v97, v92, v72, s19
	v_cmp_eq_u32_e64 s24, 6, v78
	v_cndmask_b32_e64 v105, v93, v91, s16
	v_cndmask_b32_e64 v96, v94, v86, s20
	v_cmp_eq_u32_e64 s21, 1, v82
	ds_load_b128 v[92:95], v83 offset:1024
	v_cmp_eq_u32_e64 s23, 2, v82
	v_cmp_eq_u32_e64 s25, 3, v82
	v_cndmask_b32_e64 v106, v96, v68, s22
	v_cndmask_b32_e64 v65, v84, v65, s21
	;; [unrolled: 1-line block ×3, first 2 shown]
	ds_load_b128 v[96:99], v83 offset:1040
	v_cndmask_b32_e64 v71, v88, v71, s21
	v_cmp_eq_u32_e64 s26, 4, v82
	v_cndmask_b32_e64 v65, v65, v85, s23
	v_cmp_eq_u32_e64 s28, 5, v82
	v_cmp_eq_u32_e64 s29, 6, v82
	v_cndmask_b32_e64 v71, v71, v89, s23
	v_cndmask_b32_e64 v84, v84, v100, s22
	;; [unrolled: 1-line block ×4, first 2 shown]
	v_cmp_eq_u32_e64 s27, 7, v78
	v_cndmask_b32_e64 v71, v71, v72, s25
	v_cndmask_b32_e64 v84, v84, v91, s24
	;; [unrolled: 1-line block ×3, first 2 shown]
	s_waitcnt lgkmcnt(1)
	v_lshrrev_b32_e32 v72, 16, v92
	v_lshrrev_b32_e32 v88, 16, v93
	v_cndmask_b32_e64 v71, v71, v90, s26
	v_cndmask_b32_e64 v66, v66, v70, s27
	;; [unrolled: 1-line block ×3, first 2 shown]
	v_cndmask_b32_e32 v86, v92, v72, vcc_lo
	v_cndmask_b32_e64 v89, v92, v72, s3
	v_cndmask_b32_e64 v68, v71, v100, s28
	s_waitcnt lgkmcnt(0)
	v_lshrrev_b32_e32 v71, 16, v96
	v_cndmask_b32_e64 v65, v65, v87, s29
	v_cndmask_b32_e64 v86, v86, v93, s4
	;; [unrolled: 1-line block ×4, first 2 shown]
	v_cndmask_b32_e32 v90, v96, v71, vcc_lo
	v_cmp_eq_u32_e32 vcc_lo, 7, v82
	v_cndmask_b32_e64 v86, v86, v88, s7
	v_cndmask_b32_e64 v87, v87, v88, s8
	v_lshrrev_b32_e32 v91, 16, v94
	v_cndmask_b32_e64 v89, v90, v97, s4
	v_lshrrev_b32_e32 v90, 16, v97
	v_cndmask_b32_e64 v86, v86, v94, s9
	v_dual_cndmask_b32 v65, v65, v70 :: v_dual_cndmask_b32 v68, v68, v101
	v_cndmask_b32_e64 v70, v87, v94, s11
	s_delay_alu instid0(VALU_DEP_4) | instskip(NEXT) | instid1(VALU_DEP_4)
	v_cndmask_b32_e64 v89, v89, v90, s7
	v_cndmask_b32_e64 v86, v86, v91, s10
	v_lshrrev_b32_e32 v100, 16, v98
	v_cndmask_b32_e64 v84, v84, v101, s27
	v_perm_b32 v87, v68, v65, 0x5040100
	v_cndmask_b32_e64 v89, v89, v98, s9
	v_cndmask_b32_e64 v65, v70, v91, s13
	;; [unrolled: 1-line block ×3, first 2 shown]
	v_lshrrev_b32_e32 v70, 16, v95
	v_cndmask_b32_e64 v85, v105, v101, s18
	v_cndmask_b32_e64 v89, v89, v100, s10
	v_perm_b32 v86, v84, v66, 0x5040100
	v_cndmask_b32_e64 v101, v96, v71, s5
	v_cndmask_b32_e64 v66, v68, v70, s15
	;; [unrolled: 1-line block ×8, first 2 shown]
	v_lshrrev_b32_e32 v84, 16, v99
	v_cndmask_b32_e64 v89, v89, v93, s17
	v_cndmask_b32_e64 v72, v72, v93, s23
	;; [unrolled: 1-line block ×27, first 2 shown]
	v_cndmask_b32_e32 v70, v72, v70, vcc_lo
	v_cndmask_b32_e32 v72, v88, v84, vcc_lo
	v_cndmask_b32_e64 v88, v90, v84, s27
	v_cndmask_b32_e64 v71, v71, v84, s18
	;; [unrolled: 1-line block ×3, first 2 shown]
	v_perm_b32 v85, v85, v104, 0x5040100
	v_perm_b32 v84, v103, v102, 0x5040100
	;; [unrolled: 1-line block ×6, first 2 shown]
	s_lshl_b32 s8, s35, 1
	s_mov_b32 s3, exec_lo
	ds_store_b128 v77, v[84:87]
	ds_store_b128 v77, v[88:91] offset:1024
	v_cmpx_gt_u32_e32 2, v0
	s_cbranch_execz .LBB1563_78
; %bb.77:
	v_or_b32_e32 v65, s31, v0
	s_load_b128 s[4:7], s[0:1], 0x58
	s_delay_alu instid0(VALU_DEP_1) | instskip(NEXT) | instid1(VALU_DEP_1)
	v_mad_u64_u32 v[70:71], null, s8, s30, v[65:66]
	v_mad_u64_u32 v[65:66], null, v70, s34, s[14:15]
	s_delay_alu instid0(VALU_DEP_1) | instskip(NEXT) | instid1(VALU_DEP_1)
	v_ashrrev_i32_e32 v66, 31, v65
	v_lshlrev_b64 v[65:66], 2, v[65:66]
	s_waitcnt lgkmcnt(0)
	s_delay_alu instid0(VALU_DEP_1) | instskip(NEXT) | instid1(VALU_DEP_2)
	v_add_co_u32 v70, vcc_lo, s6, v65
	v_add_co_ci_u32_e32 v71, vcc_lo, s7, v66, vcc_lo
	v_add_co_u32 v65, vcc_lo, s4, v65
	v_add_co_ci_u32_e32 v66, vcc_lo, s5, v66, vcc_lo
	global_store_b32 v[70:71], v67, off
	global_store_b32 v[65:66], v69, off
.LBB1563_78:
	s_or_b32 exec_lo, exec_lo, s3
	s_waitcnt lgkmcnt(0)
	s_waitcnt_vscnt null, 0x0
	s_barrier
	buffer_gl0_inv
	ds_load_b128 v[84:87], v81
	ds_load_b128 v[88:91], v81 offset:16
	ds_load_b128 v[96:99], v81 offset:2064
	;; [unrolled: 1-line block ×3, first 2 shown]
	v_mov_b32_e32 v65, 0
	ds_load_b128 v[104:107], v81 offset:4112
	ds_load_b128 v[100:103], v81 offset:4096
	ds_load_b128 v[112:115], v81 offset:6160
	ds_load_b128 v[108:111], v81 offset:6144
	v_mov_b32_e32 v66, v65
	v_mov_b32_e32 v67, v65
	;; [unrolled: 1-line block ×7, first 2 shown]
	s_waitcnt lgkmcnt(6)
	s_delay_alu instid0(VALU_DEP_1)
	v_wmma_f32_16x16x16_bf16 v[65:72], v[41:48], v[84:91], v[65:72]
	ds_load_b128 v[45:48], v81 offset:8208
	ds_load_b128 v[41:44], v81 offset:8192
	s_waitcnt lgkmcnt(6)
	v_wmma_f32_16x16x16_bf16 v[65:72], v[33:40], v[92:99], v[65:72]
	ds_load_b128 v[37:40], v81 offset:10256
	ds_load_b128 v[33:36], v81 offset:10240
	s_waitcnt lgkmcnt(6)
	;; [unrolled: 4-line block ×4, first 2 shown]
	v_wmma_f32_16x16x16_bf16 v[65:72], v[1:8], v[41:48], v[65:72]
	s_waitcnt lgkmcnt(4)
	s_delay_alu instid0(VALU_DEP_1) | instskip(SKIP_1) | instid1(VALU_DEP_1)
	v_wmma_f32_16x16x16_bf16 v[65:72], v[9:16], v[33:40], v[65:72]
	s_waitcnt lgkmcnt(2)
	v_wmma_f32_16x16x16_bf16 v[65:72], v[57:64], v[25:32], v[65:72]
	s_waitcnt lgkmcnt(0)
	s_delay_alu instid0(VALU_DEP_1) | instskip(NEXT) | instid1(VALU_DEP_1)
	v_wmma_f32_16x16x16_bf16 v[65:72], v[49:56], v[17:24], v[65:72]
	v_and_b32_e32 v1, 0x7f800000, v65
	s_delay_alu instid0(VALU_DEP_1) | instskip(SKIP_1) | instid1(SALU_CYCLE_1)
	v_cmp_ne_u32_e32 vcc_lo, 0x7f800000, v1
                                        ; implicit-def: $vgpr1
	s_and_saveexec_b32 s3, vcc_lo
	s_xor_b32 s3, exec_lo, s3
; %bb.79:
	v_bfe_u32 v1, v65, 16, 1
	s_delay_alu instid0(VALU_DEP_1)
	v_add3_u32 v1, v65, v1, 0x7fff
; %bb.80:
	s_and_not1_saveexec_b32 s3, s3
; %bb.81:
	v_and_b32_e32 v1, 0xffff, v65
	v_or_b32_e32 v2, 0x10000, v65
	s_delay_alu instid0(VALU_DEP_2) | instskip(NEXT) | instid1(VALU_DEP_2)
	v_cmp_eq_u32_e32 vcc_lo, 0, v1
	v_cndmask_b32_e32 v1, v2, v65, vcc_lo
; %bb.82:
	s_or_b32 exec_lo, exec_lo, s3
	v_and_b32_e32 v2, 0x7f800000, v66
	s_delay_alu instid0(VALU_DEP_1) | instskip(SKIP_1) | instid1(SALU_CYCLE_1)
	v_cmp_ne_u32_e32 vcc_lo, 0x7f800000, v2
                                        ; implicit-def: $vgpr2
	s_and_saveexec_b32 s3, vcc_lo
	s_xor_b32 s3, exec_lo, s3
; %bb.83:
	v_bfe_u32 v2, v66, 16, 1
	s_delay_alu instid0(VALU_DEP_1)
	v_add3_u32 v2, v66, v2, 0x7fff
; %bb.84:
	s_and_not1_saveexec_b32 s3, s3
; %bb.85:
	v_and_b32_e32 v2, 0xffff, v66
	v_or_b32_e32 v3, 0x10000, v66
	s_delay_alu instid0(VALU_DEP_2) | instskip(NEXT) | instid1(VALU_DEP_2)
	v_cmp_eq_u32_e32 vcc_lo, 0, v2
	v_cndmask_b32_e32 v2, v3, v66, vcc_lo
; %bb.86:
	s_or_b32 exec_lo, exec_lo, s3
	v_and_b32_e32 v3, 0x7f800000, v67
	s_delay_alu instid0(VALU_DEP_1) | instskip(SKIP_1) | instid1(SALU_CYCLE_1)
	v_cmp_ne_u32_e32 vcc_lo, 0x7f800000, v3
                                        ; implicit-def: $vgpr3
	s_and_saveexec_b32 s3, vcc_lo
	s_xor_b32 s3, exec_lo, s3
; %bb.87:
	v_bfe_u32 v3, v67, 16, 1
	s_delay_alu instid0(VALU_DEP_1)
	v_add3_u32 v3, v67, v3, 0x7fff
; %bb.88:
	s_and_not1_saveexec_b32 s3, s3
; %bb.89:
	v_and_b32_e32 v3, 0xffff, v67
	v_or_b32_e32 v4, 0x10000, v67
	s_delay_alu instid0(VALU_DEP_2) | instskip(NEXT) | instid1(VALU_DEP_2)
	v_cmp_eq_u32_e32 vcc_lo, 0, v3
	v_cndmask_b32_e32 v3, v4, v67, vcc_lo
; %bb.90:
	s_or_b32 exec_lo, exec_lo, s3
	v_and_b32_e32 v4, 0x7f800000, v68
	s_delay_alu instid0(VALU_DEP_1) | instskip(SKIP_1) | instid1(SALU_CYCLE_1)
	v_cmp_ne_u32_e32 vcc_lo, 0x7f800000, v4
                                        ; implicit-def: $vgpr4
	s_and_saveexec_b32 s3, vcc_lo
	s_xor_b32 s3, exec_lo, s3
; %bb.91:
	v_bfe_u32 v4, v68, 16, 1
	s_delay_alu instid0(VALU_DEP_1)
	v_add3_u32 v4, v68, v4, 0x7fff
; %bb.92:
	s_and_not1_saveexec_b32 s3, s3
; %bb.93:
	v_and_b32_e32 v4, 0xffff, v68
	v_or_b32_e32 v5, 0x10000, v68
	s_delay_alu instid0(VALU_DEP_2) | instskip(NEXT) | instid1(VALU_DEP_2)
	v_cmp_eq_u32_e32 vcc_lo, 0, v4
	v_cndmask_b32_e32 v4, v5, v68, vcc_lo
; %bb.94:
	s_or_b32 exec_lo, exec_lo, s3
	v_and_b32_e32 v5, 0x7f800000, v69
	s_delay_alu instid0(VALU_DEP_1) | instskip(SKIP_1) | instid1(SALU_CYCLE_1)
	v_cmp_ne_u32_e32 vcc_lo, 0x7f800000, v5
                                        ; implicit-def: $vgpr5
	s_and_saveexec_b32 s3, vcc_lo
	s_xor_b32 s3, exec_lo, s3
; %bb.95:
	v_bfe_u32 v5, v69, 16, 1
	s_delay_alu instid0(VALU_DEP_1)
	v_add3_u32 v5, v69, v5, 0x7fff
; %bb.96:
	s_and_not1_saveexec_b32 s3, s3
; %bb.97:
	v_and_b32_e32 v5, 0xffff, v69
	v_or_b32_e32 v6, 0x10000, v69
	s_delay_alu instid0(VALU_DEP_2) | instskip(NEXT) | instid1(VALU_DEP_2)
	v_cmp_eq_u32_e32 vcc_lo, 0, v5
	v_cndmask_b32_e32 v5, v6, v69, vcc_lo
; %bb.98:
	s_or_b32 exec_lo, exec_lo, s3
	v_and_b32_e32 v6, 0x7f800000, v70
	s_delay_alu instid0(VALU_DEP_1) | instskip(SKIP_1) | instid1(SALU_CYCLE_1)
	v_cmp_ne_u32_e32 vcc_lo, 0x7f800000, v6
                                        ; implicit-def: $vgpr6
	s_and_saveexec_b32 s3, vcc_lo
	s_xor_b32 s3, exec_lo, s3
; %bb.99:
	v_bfe_u32 v6, v70, 16, 1
	s_delay_alu instid0(VALU_DEP_1)
	v_add3_u32 v6, v70, v6, 0x7fff
; %bb.100:
	s_and_not1_saveexec_b32 s3, s3
; %bb.101:
	v_and_b32_e32 v6, 0xffff, v70
	v_or_b32_e32 v7, 0x10000, v70
	s_delay_alu instid0(VALU_DEP_2) | instskip(NEXT) | instid1(VALU_DEP_2)
	v_cmp_eq_u32_e32 vcc_lo, 0, v6
	v_cndmask_b32_e32 v6, v7, v70, vcc_lo
; %bb.102:
	s_or_b32 exec_lo, exec_lo, s3
	v_and_b32_e32 v7, 0x7f800000, v71
	s_delay_alu instid0(VALU_DEP_1) | instskip(SKIP_1) | instid1(SALU_CYCLE_1)
	v_cmp_ne_u32_e32 vcc_lo, 0x7f800000, v7
                                        ; implicit-def: $vgpr7
	s_and_saveexec_b32 s3, vcc_lo
	s_xor_b32 s3, exec_lo, s3
; %bb.103:
	v_bfe_u32 v7, v71, 16, 1
	s_delay_alu instid0(VALU_DEP_1)
	v_add3_u32 v7, v71, v7, 0x7fff
; %bb.104:
	s_and_not1_saveexec_b32 s3, s3
; %bb.105:
	v_and_b32_e32 v7, 0xffff, v71
	v_or_b32_e32 v8, 0x10000, v71
	s_delay_alu instid0(VALU_DEP_2) | instskip(NEXT) | instid1(VALU_DEP_2)
	v_cmp_eq_u32_e32 vcc_lo, 0, v7
	v_cndmask_b32_e32 v7, v8, v71, vcc_lo
; %bb.106:
	s_or_b32 exec_lo, exec_lo, s3
	v_and_b32_e32 v8, 0x7f800000, v72
	s_delay_alu instid0(VALU_DEP_1) | instskip(SKIP_1) | instid1(SALU_CYCLE_1)
	v_cmp_ne_u32_e32 vcc_lo, 0x7f800000, v8
                                        ; implicit-def: $vgpr8
	s_and_saveexec_b32 s3, vcc_lo
	s_xor_b32 s3, exec_lo, s3
; %bb.107:
	v_bfe_u32 v8, v72, 16, 1
	s_delay_alu instid0(VALU_DEP_1)
	v_add3_u32 v8, v72, v8, 0x7fff
                                        ; implicit-def: $vgpr65_vgpr66_vgpr67_vgpr68_vgpr69_vgpr70_vgpr71_vgpr72
; %bb.108:
	s_and_not1_saveexec_b32 s3, s3
; %bb.109:
	v_and_b32_e32 v8, 0xffff, v72
	v_or_b32_e32 v9, 0x10000, v72
	s_delay_alu instid0(VALU_DEP_2) | instskip(NEXT) | instid1(VALU_DEP_2)
	v_cmp_eq_u32_e32 vcc_lo, 0, v8
	v_cndmask_b32_e32 v8, v9, v72, vcc_lo
; %bb.110:
	s_or_b32 exec_lo, exec_lo, s3
	s_delay_alu instid0(VALU_DEP_1)
	v_perm_b32 v7, v8, v7, 0x7060302
	v_perm_b32 v6, v6, v5, 0x7060302
	;; [unrolled: 1-line block ×4, first 2 shown]
	s_barrier
	buffer_gl0_inv
	v_cmp_eq_u32_e32 vcc_lo, 1, v79
	ds_store_b128 v77, v[4:7]
	s_waitcnt lgkmcnt(0)
	s_barrier
	buffer_gl0_inv
	ds_load_b128 v[1:4], v83
	ds_load_b128 v[5:8], v83 offset:16
	v_cmp_eq_u32_e64 s3, 1, v80
	v_cmp_eq_u32_e64 s4, 2, v79
	;; [unrolled: 1-line block ×5, first 2 shown]
	s_waitcnt lgkmcnt(1)
	v_lshrrev_b32_e32 v9, 16, v1
	s_waitcnt lgkmcnt(0)
	v_lshrrev_b32_e32 v13, 16, v5
	v_lshrrev_b32_e32 v10, 16, v2
	;; [unrolled: 1-line block ×4, first 2 shown]
	v_cndmask_b32_e64 v19, v1, v9, s3
	v_cndmask_b32_e32 v18, v5, v13, vcc_lo
	v_cndmask_b32_e64 v20, v5, v13, s3
	v_cndmask_b32_e32 v17, v1, v9, vcc_lo
	v_cmp_eq_u32_e32 vcc_lo, 2, v80
	v_lshrrev_b32_e32 v15, 16, v7
	v_cmp_eq_u32_e64 s3, 1, v78
	v_lshrrev_b32_e32 v12, 16, v4
	v_lshrrev_b32_e32 v16, 16, v8
	v_cndmask_b32_e32 v20, v20, v6, vcc_lo
	v_cndmask_b32_e64 v17, v17, v2, s4
	v_cndmask_b32_e32 v19, v19, v2, vcc_lo
	v_cndmask_b32_e64 v18, v18, v6, s4
	v_cmp_eq_u32_e32 vcc_lo, 4, v79
	v_cmp_eq_u32_e64 s4, 3, v80
	v_cndmask_b32_e64 v17, v17, v10, s5
	v_cndmask_b32_e64 v21, v1, v9, s3
	v_cndmask_b32_e64 v18, v18, v14, s5
	v_cndmask_b32_e64 v22, v5, v13, s3
	v_cndmask_b32_e64 v19, v19, v10, s4
	v_cndmask_b32_e32 v17, v17, v3, vcc_lo
	v_cndmask_b32_e64 v20, v20, v14, s4
	v_cndmask_b32_e32 v18, v18, v7, vcc_lo
	v_cmp_eq_u32_e32 vcc_lo, 4, v80
	v_cmp_eq_u32_e64 s4, 5, v80
	v_cmp_eq_u32_e64 s3, 2, v82
	v_cndmask_b32_e64 v21, v21, v2, s7
	v_cmp_eq_u32_e64 s5, 5, v79
	v_cndmask_b32_e32 v19, v19, v3, vcc_lo
	v_cndmask_b32_e32 v20, v20, v7, vcc_lo
	v_cmp_eq_u32_e32 vcc_lo, 6, v80
	s_delay_alu instid0(VALU_DEP_4) | instskip(NEXT) | instid1(VALU_DEP_4)
	v_cndmask_b32_e64 v17, v17, v11, s5
	v_cndmask_b32_e64 v19, v19, v11, s4
	s_delay_alu instid0(VALU_DEP_4) | instskip(SKIP_1) | instid1(VALU_DEP_3)
	v_cndmask_b32_e64 v20, v20, v15, s4
	v_cmp_eq_u32_e64 s4, 1, v82
	v_cndmask_b32_e32 v19, v19, v4, vcc_lo
	v_cndmask_b32_e64 v18, v18, v15, s5
	s_delay_alu instid0(VALU_DEP_3)
	v_cndmask_b32_e64 v1, v1, v9, s4
	v_cndmask_b32_e64 v5, v5, v13, s4
	v_cmp_eq_u32_e64 s4, 3, v78
	v_cndmask_b32_e64 v13, v22, v6, s7
	v_cmp_eq_u32_e64 s7, 3, v82
	v_cndmask_b32_e64 v1, v1, v2, s3
	v_cndmask_b32_e64 v2, v5, v6, s3
	v_cndmask_b32_e64 v9, v21, v10, s4
	v_cmp_eq_u32_e64 s3, 4, v78
	v_cndmask_b32_e64 v6, v13, v14, s4
	v_cndmask_b32_e64 v1, v1, v10, s7
	v_cmp_eq_u32_e64 s4, 4, v82
	v_cndmask_b32_e64 v2, v2, v14, s7
	v_cndmask_b32_e64 v5, v9, v3, s3
	;; [unrolled: 3-line block ×3, first 2 shown]
	v_cndmask_b32_e64 v2, v2, v7, s4
	v_cmp_eq_u32_e64 s3, 5, v82
	v_cmp_eq_u32_e64 s5, 6, v79
	v_cndmask_b32_e64 v5, v5, v11, s7
	v_cmp_eq_u32_e64 s4, 6, v78
	v_cndmask_b32_e64 v3, v6, v15, s7
	v_cndmask_b32_e64 v1, v1, v11, s3
	v_cmp_eq_u32_e64 s7, 6, v82
	v_cndmask_b32_e64 v2, v2, v15, s3
	v_cndmask_b32_e64 v17, v17, v4, s5
	v_cndmask_b32_e64 v18, v18, v8, s5
	v_cmp_eq_u32_e64 s5, 7, v79
	v_cndmask_b32_e64 v5, v5, v4, s4
	;; [unrolled: 4-line block ×3, first 2 shown]
	v_cmp_eq_u32_e64 s4, 7, v78
	v_cndmask_b32_e32 v4, v20, v8, vcc_lo
	v_cndmask_b32_e64 v17, v17, v12, s5
	v_cndmask_b32_e64 v19, v19, v12, s6
	;; [unrolled: 1-line block ×8, first 2 shown]
	s_delay_alu instid0(VALU_DEP_4) | instskip(NEXT) | instid1(VALU_DEP_4)
	v_perm_b32 v4, v2, v1, 0x5040100
	v_perm_b32 v3, v3, v5, 0x5040100
	s_delay_alu instid0(VALU_DEP_4) | instskip(NEXT) | instid1(VALU_DEP_4)
	v_perm_b32 v2, v6, v19, 0x5040100
	v_perm_b32 v1, v7, v17, 0x5040100
	ds_store_b128 v77, v[1:4]
	s_waitcnt lgkmcnt(0)
	s_barrier
	buffer_gl0_inv
	s_and_saveexec_b32 s3, s2
	s_cbranch_execz .LBB1563_2
; %bb.111:
	s_load_b64 s[0:1], s[0:1], 0x68
	v_lshlrev_b32_e32 v0, 10, v0
	s_lshl_b32 s2, s34, 7
	v_lshlrev_b32_e32 v1, 4, v76
	v_mul_lo_u32 v4, s2, v75
	s_mul_i32 s3, s2, s30
	v_and_b32_e32 v0, 0x3800, v0
	s_mul_i32 s2, s3, s8
	s_delay_alu instid0(SALU_CYCLE_1) | instskip(NEXT) | instid1(VALU_DEP_1)
	s_ashr_i32 s3, s2, 31
	v_or3_b32 v0, v0, v74, v1
	s_lshl_b64 s[2:3], s[2:3], 1
	s_delay_alu instid0(VALU_DEP_3)
	v_ashrrev_i32_e32 v5, 31, v4
	ds_load_b128 v[0:3], v0
	v_lshlrev_b64 v[4:5], 1, v[4:5]
	s_waitcnt lgkmcnt(0)
	s_add_u32 s2, s0, s2
	s_addc_u32 s3, s1, s3
	s_lshl_b32 s0, s14, 7
	s_delay_alu instid0(SALU_CYCLE_1) | instskip(NEXT) | instid1(SALU_CYCLE_1)
	s_ashr_i32 s1, s0, 31
	s_lshl_b64 s[0:1], s[0:1], 1
	s_delay_alu instid0(SALU_CYCLE_1) | instskip(SKIP_3) | instid1(VALU_DEP_2)
	s_add_u32 s0, s2, s0
	s_addc_u32 s1, s3, s1
	v_add_co_u32 v4, vcc_lo, s0, v4
	v_add_co_ci_u32_e32 v5, vcc_lo, s1, v5, vcc_lo
	v_add_co_u32 v4, vcc_lo, v4, v73
	s_delay_alu instid0(VALU_DEP_2)
	v_add_co_ci_u32_e32 v5, vcc_lo, 0, v5, vcc_lo
	global_store_b128 v[4:5], v[0:3], off
	s_nop 0
	s_sendmsg sendmsg(MSG_DEALLOC_VGPRS)
	s_endpgm
	.section	.rodata,"a",@progbits
	.p2align	6, 0x0
	.amdhsa_kernel _Z39paged_attention_ll4mi_QKV_mfma16_kernelI14__hip_bfloat16hLN4vllm18Fp8KVCacheDataTypeE1ES0_Li16ELi128ELi256ELb1ELi2EL8MFMAType1EEvPKT_PKT0_S9_ifPKiSB_SB_iPKfiiiPfSE_PS4_PT2_iSD_SD_
		.amdhsa_group_segment_fixed_size 17472
		.amdhsa_private_segment_fixed_size 0
		.amdhsa_kernarg_size 400
		.amdhsa_user_sgpr_count 13
		.amdhsa_user_sgpr_dispatch_ptr 0
		.amdhsa_user_sgpr_queue_ptr 0
		.amdhsa_user_sgpr_kernarg_segment_ptr 1
		.amdhsa_user_sgpr_dispatch_id 0
		.amdhsa_user_sgpr_private_segment_size 0
		.amdhsa_wavefront_size32 1
		.amdhsa_uses_dynamic_stack 0
		.amdhsa_enable_private_segment 0
		.amdhsa_system_sgpr_workgroup_id_x 1
		.amdhsa_system_sgpr_workgroup_id_y 1
		.amdhsa_system_sgpr_workgroup_id_z 1
		.amdhsa_system_sgpr_workgroup_info 0
		.amdhsa_system_vgpr_workitem_id 0
		.amdhsa_next_free_vgpr 138
		.amdhsa_next_free_sgpr 36
		.amdhsa_reserve_vcc 1
		.amdhsa_float_round_mode_32 0
		.amdhsa_float_round_mode_16_64 0
		.amdhsa_float_denorm_mode_32 3
		.amdhsa_float_denorm_mode_16_64 3
		.amdhsa_dx10_clamp 1
		.amdhsa_ieee_mode 1
		.amdhsa_fp16_overflow 0
		.amdhsa_workgroup_processor_mode 1
		.amdhsa_memory_ordered 1
		.amdhsa_forward_progress 0
		.amdhsa_shared_vgpr_count 0
		.amdhsa_exception_fp_ieee_invalid_op 0
		.amdhsa_exception_fp_denorm_src 0
		.amdhsa_exception_fp_ieee_div_zero 0
		.amdhsa_exception_fp_ieee_overflow 0
		.amdhsa_exception_fp_ieee_underflow 0
		.amdhsa_exception_fp_ieee_inexact 0
		.amdhsa_exception_int_div_zero 0
	.end_amdhsa_kernel
	.section	.text._Z39paged_attention_ll4mi_QKV_mfma16_kernelI14__hip_bfloat16hLN4vllm18Fp8KVCacheDataTypeE1ES0_Li16ELi128ELi256ELb1ELi2EL8MFMAType1EEvPKT_PKT0_S9_ifPKiSB_SB_iPKfiiiPfSE_PS4_PT2_iSD_SD_,"axG",@progbits,_Z39paged_attention_ll4mi_QKV_mfma16_kernelI14__hip_bfloat16hLN4vllm18Fp8KVCacheDataTypeE1ES0_Li16ELi128ELi256ELb1ELi2EL8MFMAType1EEvPKT_PKT0_S9_ifPKiSB_SB_iPKfiiiPfSE_PS4_PT2_iSD_SD_,comdat
.Lfunc_end1563:
	.size	_Z39paged_attention_ll4mi_QKV_mfma16_kernelI14__hip_bfloat16hLN4vllm18Fp8KVCacheDataTypeE1ES0_Li16ELi128ELi256ELb1ELi2EL8MFMAType1EEvPKT_PKT0_S9_ifPKiSB_SB_iPKfiiiPfSE_PS4_PT2_iSD_SD_, .Lfunc_end1563-_Z39paged_attention_ll4mi_QKV_mfma16_kernelI14__hip_bfloat16hLN4vllm18Fp8KVCacheDataTypeE1ES0_Li16ELi128ELi256ELb1ELi2EL8MFMAType1EEvPKT_PKT0_S9_ifPKiSB_SB_iPKfiiiPfSE_PS4_PT2_iSD_SD_
                                        ; -- End function
	.section	.AMDGPU.csdata,"",@progbits
; Kernel info:
; codeLenInByte = 8624
; NumSgprs: 38
; NumVgprs: 138
; ScratchSize: 0
; MemoryBound: 0
; FloatMode: 240
; IeeeMode: 1
; LDSByteSize: 17472 bytes/workgroup (compile time only)
; SGPRBlocks: 4
; VGPRBlocks: 17
; NumSGPRsForWavesPerEU: 38
; NumVGPRsForWavesPerEU: 138
; Occupancy: 10
; WaveLimiterHint : 1
; COMPUTE_PGM_RSRC2:SCRATCH_EN: 0
; COMPUTE_PGM_RSRC2:USER_SGPR: 13
; COMPUTE_PGM_RSRC2:TRAP_HANDLER: 0
; COMPUTE_PGM_RSRC2:TGID_X_EN: 1
; COMPUTE_PGM_RSRC2:TGID_Y_EN: 1
; COMPUTE_PGM_RSRC2:TGID_Z_EN: 1
; COMPUTE_PGM_RSRC2:TIDIG_COMP_CNT: 0
	.section	.text._Z39paged_attention_ll4mi_QKV_mfma16_kernelI14__hip_bfloat16hLN4vllm18Fp8KVCacheDataTypeE1ES0_Li16ELi128ELi256ELb1ELi3EL8MFMAType1EEvPKT_PKT0_S9_ifPKiSB_SB_iPKfiiiPfSE_PS4_PT2_iSD_SD_,"axG",@progbits,_Z39paged_attention_ll4mi_QKV_mfma16_kernelI14__hip_bfloat16hLN4vllm18Fp8KVCacheDataTypeE1ES0_Li16ELi128ELi256ELb1ELi3EL8MFMAType1EEvPKT_PKT0_S9_ifPKiSB_SB_iPKfiiiPfSE_PS4_PT2_iSD_SD_,comdat
	.protected	_Z39paged_attention_ll4mi_QKV_mfma16_kernelI14__hip_bfloat16hLN4vllm18Fp8KVCacheDataTypeE1ES0_Li16ELi128ELi256ELb1ELi3EL8MFMAType1EEvPKT_PKT0_S9_ifPKiSB_SB_iPKfiiiPfSE_PS4_PT2_iSD_SD_ ; -- Begin function _Z39paged_attention_ll4mi_QKV_mfma16_kernelI14__hip_bfloat16hLN4vllm18Fp8KVCacheDataTypeE1ES0_Li16ELi128ELi256ELb1ELi3EL8MFMAType1EEvPKT_PKT0_S9_ifPKiSB_SB_iPKfiiiPfSE_PS4_PT2_iSD_SD_
	.globl	_Z39paged_attention_ll4mi_QKV_mfma16_kernelI14__hip_bfloat16hLN4vllm18Fp8KVCacheDataTypeE1ES0_Li16ELi128ELi256ELb1ELi3EL8MFMAType1EEvPKT_PKT0_S9_ifPKiSB_SB_iPKfiiiPfSE_PS4_PT2_iSD_SD_
	.p2align	8
	.type	_Z39paged_attention_ll4mi_QKV_mfma16_kernelI14__hip_bfloat16hLN4vllm18Fp8KVCacheDataTypeE1ES0_Li16ELi128ELi256ELb1ELi3EL8MFMAType1EEvPKT_PKT0_S9_ifPKiSB_SB_iPKfiiiPfSE_PS4_PT2_iSD_SD_,@function
_Z39paged_attention_ll4mi_QKV_mfma16_kernelI14__hip_bfloat16hLN4vllm18Fp8KVCacheDataTypeE1ES0_Li16ELi128ELi256ELb1ELi3EL8MFMAType1EEvPKT_PKT0_S9_ifPKiSB_SB_iPKfiiiPfSE_PS4_PT2_iSD_SD_: ; @_Z39paged_attention_ll4mi_QKV_mfma16_kernelI14__hip_bfloat16hLN4vllm18Fp8KVCacheDataTypeE1ES0_Li16ELi128ELi256ELb1ELi3EL8MFMAType1EEvPKT_PKT0_S9_ifPKiSB_SB_iPKfiiiPfSE_PS4_PT2_iSD_SD_
; %bb.0:
	s_load_b64 s[4:5], s[0:1], 0x30
	s_mov_b32 s30, s13
	s_waitcnt lgkmcnt(0)
	s_cmp_lg_u64 s[4:5], 0
	s_cselect_b32 s13, -1, 0
	s_ashr_i32 s31, s30, 31
	s_cmp_eq_u64 s[4:5], 0
	s_cbranch_scc1 .LBB1564_3
; %bb.1:
	s_lshl_b64 s[2:3], s[30:31], 2
	s_delay_alu instid0(SALU_CYCLE_1) | instskip(SKIP_4) | instid1(SALU_CYCLE_1)
	s_add_u32 s2, s4, s2
	s_addc_u32 s3, s5, s3
	s_load_b64 s[2:3], s[2:3], 0x0
	s_waitcnt lgkmcnt(0)
	s_sub_i32 s2, s3, s2
	s_cmp_eq_u32 s2, 1
	s_cselect_b32 s2, -1, 0
	s_delay_alu instid0(SALU_CYCLE_1)
	s_and_not1_b32 vcc_lo, exec_lo, s2
	s_cbranch_vccz .LBB1564_4
.LBB1564_2:
	s_nop 0
	s_sendmsg sendmsg(MSG_DEALLOC_VGPRS)
	s_endpgm
.LBB1564_3:
.LBB1564_4:
	s_load_b64 s[2:3], s[0:1], 0x28
	s_lshl_b64 s[6:7], s[30:31], 2
	s_waitcnt lgkmcnt(0)
	s_add_u32 s2, s2, s6
	s_addc_u32 s3, s3, s7
	s_lshl_b32 s12, s14, 8
	s_load_b32 s17, s[2:3], 0x0
	s_waitcnt lgkmcnt(0)
	s_cmp_ge_i32 s12, s17
	s_cbranch_scc1 .LBB1564_2
; %bb.5:
	s_clause 0x1
	s_load_b128 s[8:11], s[0:1], 0x8
	s_load_b64 s[2:3], s[0:1], 0x20
	s_and_not1_b32 vcc_lo, exec_lo, s13
	s_cbranch_vccnz .LBB1564_7
; %bb.6:
	s_add_u32 s4, s4, s6
	s_addc_u32 s5, s5, s7
	s_load_b32 s13, s[4:5], 0x0
	s_branch .LBB1564_8
.LBB1564_7:
	s_mov_b32 s13, s30
.LBB1564_8:
	s_load_b128 s[4:7], s[0:1], 0x48
	v_and_b32_e32 v65, 15, v0
	v_lshrrev_b32_e32 v66, 5, v0
	v_bfe_u32 v74, v0, 4, 1
	v_and_b32_e32 v67, 31, v0
	v_and_b32_e32 v75, 1, v0
	v_lshlrev_b32_e32 v2, 3, v65
	s_mul_i32 s31, s15, 3
	v_lshl_or_b32 v1, v66, 1, v74
	s_waitcnt lgkmcnt(0)
	s_mov_b32 s7, exec_lo
	v_lshlrev_b32_e32 v73, 1, v2
	s_delay_alu instid0(VALU_DEP_2)
	v_cmpx_gt_u32_e32 3, v1
	s_cbranch_execz .LBB1564_10
; %bb.9:
	s_load_b64 s[18:19], s[0:1], 0x0
	v_add_lshl_u32 v2, v1, s31, 7
	s_mul_hi_i32 s21, s13, s4
	s_mul_i32 s20, s13, s4
	v_lshlrev_b32_e32 v6, 10, v65
	s_lshl_b64 s[20:21], s[20:21], 1
	v_ashrrev_i32_e32 v3, 31, v2
	v_lshlrev_b32_e32 v1, 6, v1
	v_lshlrev_b32_e32 v7, 10, v75
	v_and_b32_e32 v6, 0x3800, v6
	s_delay_alu instid0(VALU_DEP_4) | instskip(NEXT) | instid1(VALU_DEP_2)
	v_lshlrev_b64 v[2:3], 1, v[2:3]
	v_or3_b32 v1, v6, v7, v1
	s_waitcnt lgkmcnt(0)
	s_add_u32 s4, s18, s20
	s_addc_u32 s13, s19, s21
	s_delay_alu instid0(VALU_DEP_2) | instskip(SKIP_1) | instid1(VALU_DEP_2)
	v_add_co_u32 v2, vcc_lo, s4, v2
	v_add_co_ci_u32_e32 v3, vcc_lo, s13, v3, vcc_lo
	v_add_co_u32 v2, vcc_lo, v2, v73
	s_delay_alu instid0(VALU_DEP_2)
	v_add_co_ci_u32_e32 v3, vcc_lo, 0, v3, vcc_lo
	global_load_b128 v[2:5], v[2:3], off
	s_waitcnt vmcnt(0)
	ds_store_b128 v1, v[2:5]
.LBB1564_10:
	s_or_b32 exec_lo, exec_lo, s7
	v_and_b32_e32 v1, 0xef, v0
	s_add_i32 s4, s17, 15
	s_clause 0x1
	s_load_b32 s7, s[0:1], 0x38
	s_load_b32 s18, s[0:1], 0x1c
	s_ashr_i32 s13, s4, 31
	v_add_nc_u32_e32 v2, s12, v1
	s_lshr_b32 s13, s13, 28
	s_waitcnt lgkmcnt(0)
	s_add_i32 s4, s4, s13
	s_barrier
	v_ashrrev_i32_e32 v1, 31, v2
	s_ashr_i32 s4, s4, 4
	v_cmp_gt_i32_e32 vcc_lo, s17, v2
	s_add_i32 s4, s4, -1
	buffer_gl0_inv
	v_lshrrev_b32_e32 v3, 28, v1
	v_or_b32_e32 v1, 16, v2
	s_mul_i32 s15, s15, s6
	s_delay_alu instid0(VALU_DEP_2) | instskip(SKIP_1) | instid1(SALU_CYCLE_1)
	v_add_nc_u32_e32 v4, v2, v3
	s_mul_i32 s20, s30, s7
	s_ashr_i32 s21, s20, 31
	s_delay_alu instid0(VALU_DEP_1) | instskip(SKIP_2) | instid1(SALU_CYCLE_1)
	v_ashrrev_i32_e32 v4, 4, v4
	v_add_nc_u32_e32 v3, v1, v3
	s_lshl_b64 s[20:21], s[20:21], 2
	s_add_u32 s2, s2, s20
	s_delay_alu instid0(VALU_DEP_2) | instskip(NEXT) | instid1(VALU_DEP_2)
	v_cndmask_b32_e32 v2, s4, v4, vcc_lo
	v_ashrrev_i32_e32 v3, 4, v3
	v_cmp_gt_i32_e32 vcc_lo, s17, v1
	s_addc_u32 s3, s3, s21
	s_ashr_i32 s6, s15, 31
	s_add_u32 s7, s8, s15
	s_addc_u32 s13, s9, s6
	v_cndmask_b32_e32 v4, s4, v3, vcc_lo
	v_ashrrev_i32_e32 v3, 31, v2
	s_lshl_b32 s8, s14, 4
	s_delay_alu instid0(SALU_CYCLE_1) | instskip(NEXT) | instid1(VALU_DEP_2)
	s_ashr_i32 s9, s8, 31
	v_ashrrev_i32_e32 v5, 31, v4
	s_delay_alu instid0(VALU_DEP_2) | instskip(SKIP_1) | instid1(SALU_CYCLE_1)
	v_lshlrev_b64 v[1:2], 2, v[2:3]
	s_lshl_b64 s[8:9], s[8:9], 2
	s_add_u32 s8, s2, s8
	s_delay_alu instid0(VALU_DEP_2) | instskip(SKIP_1) | instid1(VALU_DEP_2)
	v_lshlrev_b64 v[3:4], 2, v[4:5]
	s_addc_u32 s9, s3, s9
	v_add_co_u32 v1, vcc_lo, s2, v1
	v_add_co_ci_u32_e32 v2, vcc_lo, s3, v2, vcc_lo
	s_delay_alu instid0(VALU_DEP_3) | instskip(NEXT) | instid1(VALU_DEP_4)
	v_add_co_u32 v3, vcc_lo, s2, v3
	v_add_co_ci_u32_e32 v4, vcc_lo, s3, v4, vcc_lo
	s_clause 0x1
	global_load_b32 v5, v[1:2], off
	global_load_b32 v3, v[3:4], off
	v_lshlrev_b32_e32 v1, 4, v0
	s_or_b32 s16, s12, 32
	s_delay_alu instid0(SALU_CYCLE_1) | instskip(SKIP_1) | instid1(VALU_DEP_1)
	s_ashr_i32 s19, s16, 4
	s_cmp_lt_i32 s16, s17
	v_and_b32_e32 v1, 0xf0, v1
	s_cselect_b32 s20, s19, s4
	s_delay_alu instid0(SALU_CYCLE_1) | instskip(NEXT) | instid1(SALU_CYCLE_1)
	s_ashr_i32 s21, s20, 31
	s_lshl_b64 s[20:21], s[20:21], 2
	s_delay_alu instid0(VALU_DEP_1)
	v_add_co_u32 v1, s7, s7, v1
	s_add_u32 s20, s2, s20
	s_addc_u32 s21, s3, s21
	s_or_b32 s16, s12, 64
	v_add_co_ci_u32_e64 v2, null, s13, 0, s7
	s_ashr_i32 s19, s16, 4
	s_cmp_lt_i32 s16, s17
	s_cselect_b32 s22, s19, s4
	s_delay_alu instid0(SALU_CYCLE_1) | instskip(NEXT) | instid1(SALU_CYCLE_1)
	s_ashr_i32 s23, s22, 31
	s_lshl_b64 s[22:23], s[22:23], 2
	s_delay_alu instid0(SALU_CYCLE_1) | instskip(SKIP_2) | instid1(SALU_CYCLE_1)
	s_add_u32 s22, s2, s22
	s_addc_u32 s23, s3, s23
	s_or_b32 s16, s12, 0x60
	s_ashr_i32 s19, s16, 4
	s_cmp_lt_i32 s16, s17
	s_cselect_b32 s24, s19, s4
	s_delay_alu instid0(SALU_CYCLE_1) | instskip(NEXT) | instid1(SALU_CYCLE_1)
	s_ashr_i32 s25, s24, 31
	s_lshl_b64 s[24:25], s[24:25], 2
	s_delay_alu instid0(SALU_CYCLE_1) | instskip(SKIP_2) | instid1(SALU_CYCLE_1)
	s_add_u32 s24, s2, s24
	s_addc_u32 s25, s3, s25
	s_or_b32 s16, s12, 0x80
	;; [unrolled: 10-line block ×3, first 2 shown]
	s_ashr_i32 s19, s16, 4
	s_cmp_lt_i32 s16, s17
	s_cselect_b32 s28, s19, s4
	s_delay_alu instid0(SALU_CYCLE_1) | instskip(NEXT) | instid1(SALU_CYCLE_1)
	s_ashr_i32 s29, s28, 31
	s_lshl_b64 s[28:29], s[28:29], 2
	s_delay_alu instid0(SALU_CYCLE_1)
	s_add_u32 s28, s2, s28
	s_addc_u32 s29, s3, s29
	s_clause 0x5
	s_load_b32 s7, s[8:9], 0x0
	s_load_b32 s13, s[20:21], 0x0
	;; [unrolled: 1-line block ×6, first 2 shown]
	s_or_b32 s8, s12, 0xc0
	s_mov_b32 s20, 0
	s_ashr_i32 s9, s8, 4
	s_cmp_lt_i32 s8, s17
	s_mov_b32 s27, s20
	s_cselect_b32 s8, s9, s4
	s_mov_b32 s21, s20
	s_ashr_i32 s9, s8, 31
	s_mov_b32 s22, s20
	s_lshl_b64 s[8:9], s[8:9], 2
	s_mov_b32 s23, s20
	s_mov_b32 s24, s20
	;; [unrolled: 1-line block ×4, first 2 shown]
	v_dual_mov_b32 v107, s27 :: v_dual_mov_b32 v104, s24
	s_add_u32 s8, s2, s8
	v_dual_mov_b32 v106, s26 :: v_dual_mov_b32 v105, s25
	v_dual_mov_b32 v101, s21 :: v_dual_mov_b32 v100, s20
	s_addc_u32 s9, s3, s9
	v_dual_mov_b32 v103, s23 :: v_dual_mov_b32 v102, s22
	s_or_b32 s20, s12, 0xe0
	s_delay_alu instid0(SALU_CYCLE_1) | instskip(SKIP_2) | instid1(SALU_CYCLE_1)
	s_ashr_i32 s21, s20, 4
	s_cmp_lt_i32 s20, s17
	s_cselect_b32 s20, s21, s4
	s_ashr_i32 s21, s20, 31
	s_delay_alu instid0(SALU_CYCLE_1) | instskip(NEXT) | instid1(SALU_CYCLE_1)
	s_lshl_b64 s[20:21], s[20:21], 2
	s_add_u32 s2, s2, s20
	s_addc_u32 s3, s3, s21
	s_waitcnt vmcnt(1)
	v_mad_i64_i32 v[25:26], null, v5, s5, v[1:2]
	s_waitcnt vmcnt(0)
	v_mad_i64_i32 v[27:28], null, v3, s5, v[1:2]
	s_clause 0xf
	global_load_b128 v[1:4], v[25:26], off
	global_load_b128 v[5:8], v[25:26], off offset:256
	global_load_b128 v[9:12], v[27:28], off
	global_load_b128 v[13:16], v[27:28], off offset:256
	global_load_b128 v[17:20], v[25:26], off offset:512
	;; [unrolled: 1-line block ×13, first 2 shown]
	v_mul_lo_u16 v25, 0x56, v65
	v_lshlrev_b32_e32 v26, 4, v65
	s_delay_alu instid0(VALU_DEP_2) | instskip(NEXT) | instid1(VALU_DEP_2)
	v_lshrrev_b16 v25, 8, v25
	v_lshl_or_b32 v33, v66, 8, v26
	s_delay_alu instid0(VALU_DEP_2) | instskip(NEXT) | instid1(VALU_DEP_1)
	v_mul_lo_u16 v25, v25, 3
	v_sub_nc_u16 v25, v65, v25
	s_delay_alu instid0(VALU_DEP_1) | instskip(NEXT) | instid1(VALU_DEP_1)
	v_and_b32_e32 v25, 0xff, v25
	v_lshlrev_b32_e32 v72, 6, v25
	ds_load_b128 v[25:28], v72
	ds_load_b128 v[29:32], v72 offset:1024
	ds_load_b128 v[108:111], v72 offset:2048
	;; [unrolled: 1-line block ×3, first 2 shown]
	s_load_b32 s4, s[8:9], 0x0
	ds_load_b128 v[116:119], v72 offset:4096
	ds_load_b128 v[120:123], v72 offset:5120
	s_load_b32 s2, s[2:3], 0x0
	s_add_u32 s8, s10, s15
	s_addc_u32 s6, s11, s6
	v_add_co_u32 v68, s8, s8, v33
	s_delay_alu instid0(VALU_DEP_1) | instskip(SKIP_1) | instid1(VALU_DEP_1)
	v_add_co_ci_u32_e64 v69, null, s6, 0, s8
	s_waitcnt lgkmcnt(0)
	v_mad_i64_i32 v[33:34], null, s7, s5, v[68:69]
	v_mad_i64_i32 v[70:71], null, s16, s5, v[68:69]
	;; [unrolled: 1-line block ×7, first 2 shown]
	s_clause 0x3
	global_load_b128 v[41:44], v[33:34], off
	global_load_b128 v[45:48], v[33:34], off offset:16
	global_load_b128 v[33:36], v[37:38], off
	global_load_b128 v[37:40], v[37:38], off offset:16
	s_waitcnt vmcnt(18)
	v_wmma_f32_16x16x16_bf16 v[124:131], v[1:8], v[25:32], v[100:107]
	s_waitcnt vmcnt(16)
	v_wmma_f32_16x16x16_bf16 v[100:107], v[9:16], v[25:32], v[100:107]
	s_clause 0x1
	global_load_b128 v[25:28], v[70:71], off
	global_load_b128 v[29:32], v[70:71], off offset:16
	s_waitcnt vmcnt(16)
	v_wmma_f32_16x16x16_bf16 v[124:131], v[17:24], v[108:115], v[124:131]
	s_clause 0x1
	global_load_b128 v[17:20], v[132:133], off
	global_load_b128 v[21:24], v[132:133], off offset:16
	s_waitcnt vmcnt(16)
	v_wmma_f32_16x16x16_bf16 v[100:107], v[49:56], v[108:115], v[100:107]
	v_mad_i64_i32 v[53:54], null, s2, s5, v[68:69]
	s_clause 0x3
	global_load_b128 v[1:4], v[134:135], off
	global_load_b128 v[5:8], v[134:135], off offset:16
	global_load_b128 v[9:12], v[136:137], off
	global_load_b128 v[13:16], v[136:137], off offset:16
	s_waitcnt vmcnt(18)
	v_wmma_f32_16x16x16_bf16 v[124:131], v[57:64], v[116:123], v[124:131]
	s_clause 0x3
	global_load_b128 v[57:60], v[138:139], off
	global_load_b128 v[61:64], v[138:139], off offset:16
	global_load_b128 v[49:52], v[53:54], off
	global_load_b128 v[53:56], v[53:54], off offset:16
	v_mbcnt_lo_u32_b32 v69, -1, 0
	s_waitcnt vmcnt(20)
	v_wmma_f32_16x16x16_bf16 v[100:107], v[76:83], v[116:123], v[100:107]
	s_delay_alu instid0(VALU_DEP_2) | instskip(NEXT) | instid1(VALU_DEP_1)
	v_xor_b32_e32 v70, 16, v69
	v_cmp_gt_i32_e32 vcc_lo, 32, v70
	v_cndmask_b32_e32 v69, v69, v70, vcc_lo
	ds_load_b128 v[76:79], v72 offset:6144
	ds_load_b128 v[80:83], v72 offset:7168
	s_waitcnt vmcnt(0) lgkmcnt(0)
	s_barrier
	buffer_gl0_inv
	v_wmma_f32_16x16x16_bf16 v[124:131], v[84:91], v[76:83], v[124:131]
	v_and_b32_e32 v68, 0xe0, v0
	v_wmma_f32_16x16x16_bf16 v[100:107], v[92:99], v[76:83], v[100:107]
	s_delay_alu instid0(VALU_DEP_2) | instskip(NEXT) | instid1(VALU_DEP_4)
	v_dual_mul_f32 v79, s18, v127 :: v_dual_add_nc_u32 v68, s12, v68
	v_mul_f32_e32 v81, s18, v129
	v_dual_mul_f32 v78, s18, v125 :: v_dual_mul_f32 v83, s18, v131
	s_delay_alu instid0(VALU_DEP_4) | instskip(NEXT) | instid1(VALU_DEP_4)
	v_dual_mul_f32 v80, s18, v126 :: v_dual_mul_f32 v95, s18, v103
	v_or_b32_e32 v68, v68, v74
	v_dual_mul_f32 v93, s18, v101 :: v_dual_mul_f32 v82, s18, v128
	v_dual_mul_f32 v97, s18, v105 :: v_dual_mul_f32 v92, s18, v130
	v_mul_f32_e32 v99, s18, v107
	s_delay_alu instid0(VALU_DEP_4)
	v_or_b32_e32 v70, 2, v68
	v_or_b32_e32 v71, 4, v68
	;; [unrolled: 1-line block ×3, first 2 shown]
	v_cmp_gt_i32_e64 s2, s17, v68
	v_or_b32_e32 v108, 8, v68
	v_cmp_gt_i32_e32 vcc_lo, s17, v70
	v_mul_f32_e32 v70, s18, v124
	v_or_b32_e32 v109, 10, v68
	v_cmp_gt_i32_e64 s3, s17, v71
	v_cmp_gt_i32_e64 s4, s17, v72
	v_cndmask_b32_e32 v78, 0xff7fffff, v78, vcc_lo
	v_cndmask_b32_e64 v70, 0xff7fffff, v70, s2
	v_or_b32_e32 v84, 12, v68
	v_or_b32_e32 v85, 14, v68
	v_cndmask_b32_e64 v71, 0xff7fffff, v80, s3
	v_cndmask_b32_e64 v72, 0xff7fffff, v79, s4
	v_max3_f32 v70, v70, 0xff7fffff, v78
	v_cmp_gt_i32_e64 s5, s17, v108
	v_cmp_gt_i32_e64 s6, s17, v109
	v_or_b32_e32 v86, 16, v68
	v_or_b32_e32 v87, 18, v68
	v_max3_f32 v70, v70, v71, v72
	v_cndmask_b32_e64 v78, 0xff7fffff, v82, s5
	v_cndmask_b32_e64 v79, 0xff7fffff, v81, s6
	v_cmp_gt_i32_e64 s7, s17, v84
	v_cmp_gt_i32_e64 s8, s17, v85
	v_or_b32_e32 v88, 20, v68
	v_or_b32_e32 v89, 22, v68
	v_mul_f32_e32 v94, s18, v100
	v_cndmask_b32_e64 v71, 0xff7fffff, v92, s7
	v_cndmask_b32_e64 v72, 0xff7fffff, v83, s8
	v_max3_f32 v70, v70, v78, v79
	v_cmp_gt_i32_e64 s9, s17, v86
	v_cmp_gt_i32_e64 s10, s17, v87
	v_or_b32_e32 v90, 24, v68
	v_or_b32_e32 v91, 26, v68
	v_mul_f32_e32 v96, s18, v102
	v_max3_f32 v70, v70, v71, v72
	v_cndmask_b32_e64 v79, 0xff7fffff, v93, s10
	v_cmp_gt_i32_e64 s11, s17, v88
	v_cmp_gt_i32_e64 s12, s17, v89
	v_lshlrev_b32_e32 v89, 2, v69
	v_cndmask_b32_e64 v78, 0xff7fffff, v94, s9
	v_or_b32_e32 v76, 28, v68
	v_or_b32_e32 v77, 30, v68
	v_mul_f32_e32 v98, s18, v104
	v_cndmask_b32_e64 v71, 0xff7fffff, v96, s11
	v_cndmask_b32_e64 v72, 0xff7fffff, v95, s12
	v_max3_f32 v70, v70, v78, v79
	v_cmp_gt_i32_e64 s13, s17, v90
	v_cmp_gt_i32_e64 s15, s17, v91
	v_mul_f32_e32 v68, s18, v106
	v_cmp_gt_i32_e64 s16, s17, v76
	v_max3_f32 v70, v70, v71, v72
	v_cndmask_b32_e64 v78, 0xff7fffff, v98, s13
	v_cndmask_b32_e64 v79, 0xff7fffff, v97, s15
	v_cmp_gt_i32_e64 s17, s17, v77
	v_cndmask_b32_e64 v68, 0xff7fffff, v68, s16
	s_delay_alu instid0(VALU_DEP_3) | instskip(NEXT) | instid1(VALU_DEP_3)
	v_max3_f32 v70, v70, v78, v79
	v_cndmask_b32_e64 v71, 0xff7fffff, v99, s17
	s_delay_alu instid0(VALU_DEP_1) | instskip(SKIP_3) | instid1(VALU_DEP_1)
	v_max3_f32 v68, v70, v68, v71
	ds_bpermute_b32 v69, v89, v68
	s_waitcnt lgkmcnt(0)
	v_max_f32_e32 v69, v69, v69
	v_max_f32_e32 v68, v68, v69
	s_delay_alu instid0(VALU_DEP_1) | instskip(NEXT) | instid1(VALU_DEP_1)
	v_fma_f32 v76, s18, v128, -v68
	v_mul_f32_e32 v77, 0x3fb8aa3b, v76
	v_fma_f32 v71, s18, v126, -v68
	v_fma_f32 v69, s18, v124, -v68
	;; [unrolled: 1-line block ×4, first 2 shown]
	v_exp_f32_e32 v77, v77
	v_mul_f32_e32 v71, 0x3fb8aa3b, v71
	v_mul_f32_e32 v69, 0x3fb8aa3b, v69
	v_fma_f32 v81, s18, v105, -v68
	v_fma_f32 v78, s18, v130, -v68
	s_delay_alu instid0(VALU_DEP_4) | instskip(NEXT) | instid1(VALU_DEP_3)
	v_exp_f32_e32 v71, v71
	v_exp_f32_e32 v69, v69
	s_delay_alu instid0(VALU_DEP_2) | instskip(NEXT) | instid1(TRANS32_DEP_3)
	v_mul_f32_e32 v81, 0x3fb8aa3b, v81
	v_cndmask_b32_e64 v86, 0, v77, s5
	v_fma_f32 v77, s18, v101, -v68
	s_delay_alu instid0(VALU_DEP_3) | instskip(NEXT) | instid1(TRANS32_DEP_3)
	v_exp_f32_e32 v81, v81
	v_cndmask_b32_e64 v83, 0, v71, s3
	v_fma_f32 v71, s18, v131, -v68
	v_mul_f32_e32 v72, 0x3fb8aa3b, v72
	s_delay_alu instid0(TRANS32_DEP_2) | instskip(SKIP_1) | instid1(VALU_DEP_4)
	v_cndmask_b32_e64 v80, 0, v69, s2
	v_fma_f32 v69, s18, v129, -v68
	v_dual_mul_f32 v70, 0x3fb8aa3b, v70 :: v_dual_mul_f32 v71, 0x3fb8aa3b, v71
	s_delay_alu instid0(VALU_DEP_4) | instskip(SKIP_1) | instid1(VALU_DEP_3)
	v_exp_f32_e32 v72, v72
	v_mul_f32_e32 v77, 0x3fb8aa3b, v77
	v_mul_f32_e32 v69, 0x3fb8aa3b, v69
	s_delay_alu instid0(VALU_DEP_3)
	v_exp_f32_e32 v70, v70
	v_exp_f32_e32 v71, v71
	v_cmp_gt_u32_e64 s2, 16, v67
	v_exp_f32_e32 v77, v77
	v_exp_f32_e32 v69, v69
	v_cndmask_b32_e64 v85, 0, v72, s4
	v_fma_f32 v72, s18, v100, -v68
	v_cndmask_b32_e32 v76, 0, v70, vcc_lo
	s_delay_alu instid0(TRANS32_DEP_3) | instskip(SKIP_2) | instid1(TRANS32_DEP_1)
	v_cndmask_b32_e64 v88, 0, v71, s8
	v_fma_f32 v71, s18, v104, -v68
	v_add_f32_e32 v70, 0, v80
	v_cndmask_b32_e64 v87, 0, v69, s6
	s_delay_alu instid0(VALU_DEP_2) | instskip(NEXT) | instid1(VALU_DEP_1)
	v_dual_mul_f32 v71, 0x3fb8aa3b, v71 :: v_dual_add_f32 v70, v70, v76
	v_exp_f32_e32 v82, v71
	s_delay_alu instid0(VALU_DEP_1) | instskip(NEXT) | instid1(VALU_DEP_1)
	v_add_f32_e32 v70, v70, v83
	v_add_f32_e32 v70, v70, v85
	s_delay_alu instid0(VALU_DEP_1) | instskip(SKIP_1) | instid1(VALU_DEP_2)
	v_dual_mul_f32 v72, 0x3fb8aa3b, v72 :: v_dual_add_f32 v69, v70, v86
	v_fma_f32 v70, s18, v102, -v68
	v_exp_f32_e32 v72, v72
	s_delay_alu instid0(VALU_DEP_2) | instskip(NEXT) | instid1(VALU_DEP_2)
	v_dual_add_f32 v69, v69, v87 :: v_dual_mul_f32 v78, 0x3fb8aa3b, v78
	v_mul_f32_e32 v70, 0x3fb8aa3b, v70
	s_delay_alu instid0(VALU_DEP_2) | instskip(NEXT) | instid1(VALU_DEP_1)
	v_exp_f32_e32 v78, v78
	v_exp_f32_e32 v79, v70
	s_delay_alu instid0(TRANS32_DEP_3) | instskip(SKIP_4) | instid1(VALU_DEP_3)
	v_cndmask_b32_e64 v70, 0, v72, s9
	s_waitcnt_depctr 0xfff
	v_cndmask_b32_e64 v84, 0, v78, s7
	v_fma_f32 v78, s18, v103, -v68
	v_cndmask_b32_e64 v71, 0, v79, s11
	v_add_f32_e32 v69, v69, v84
	s_delay_alu instid0(VALU_DEP_1) | instskip(SKIP_2) | instid1(VALU_DEP_1)
	v_add_f32_e32 v72, v69, v88
	v_cndmask_b32_e64 v69, 0, v77, s10
	v_fma_f32 v77, s18, v106, -v68
	v_dual_add_f32 v72, v72, v70 :: v_dual_mul_f32 v77, 0x3fb8aa3b, v77
	s_delay_alu instid0(VALU_DEP_1) | instskip(NEXT) | instid1(VALU_DEP_2)
	v_add_f32_e32 v79, v72, v69
	v_exp_f32_e32 v90, v77
	v_cndmask_b32_e64 v77, 0, v82, s13
	v_mul_f32_e32 v78, 0x3fb8aa3b, v78
	s_delay_alu instid0(VALU_DEP_1) | instskip(SKIP_4) | instid1(VALU_DEP_1)
	v_exp_f32_e32 v78, v78
	s_waitcnt_depctr 0xfff
	v_cndmask_b32_e64 v72, 0, v78, s12
	v_add_f32_e32 v78, v79, v71
	v_fma_f32 v79, s18, v107, -v68
	v_dual_add_f32 v82, v78, v72 :: v_dual_mul_f32 v79, 0x3fb8aa3b, v79
	v_cndmask_b32_e64 v78, 0, v81, s15
	s_delay_alu instid0(VALU_DEP_2) | instskip(NEXT) | instid1(VALU_DEP_3)
	v_add_f32_e32 v81, v82, v77
	v_exp_f32_e32 v82, v79
	v_cndmask_b32_e64 v79, 0, v90, s16
	s_delay_alu instid0(VALU_DEP_2) | instskip(NEXT) | instid1(VALU_DEP_1)
	v_add_f32_e32 v81, v81, v78
	v_add_f32_e32 v90, v81, v79
	s_waitcnt_depctr 0xfff
	v_cndmask_b32_e64 v81, 0, v82, s17
	s_delay_alu instid0(VALU_DEP_1)
	v_add_f32_e32 v82, v90, v81
	ds_bpermute_b32 v89, v89, v82
	s_and_saveexec_b32 s3, s2
	s_cbranch_execz .LBB1564_12
; %bb.11:
	v_mul_u32_u24_e32 v67, 0x44, v66
	s_delay_alu instid0(VALU_DEP_1) | instskip(SKIP_1) | instid1(VALU_DEP_1)
	v_lshl_add_u32 v67, v65, 2, v67
	s_waitcnt lgkmcnt(0)
	v_dual_add_f32 v82, v82, v89 :: v_dual_add_nc_u32 v67, 0x4000, v67
	ds_store_2addr_b32 v67, v68, v82 offset1:136
.LBB1564_12:
	s_or_b32 exec_lo, exec_lo, s3
	v_lshlrev_b32_e32 v67, 2, v65
	s_waitcnt lgkmcnt(0)
	s_barrier
	buffer_gl0_inv
	v_cmp_eq_u32_e32 vcc_lo, 1, v66
	v_add_nc_u32_e32 v82, 0x4000, v67
	v_cmp_eq_u32_e64 s3, 2, v66
	v_cmp_eq_u32_e64 s5, 7, v66
	ds_load_2addr_b32 v[89:90], v82 offset1:17
	ds_load_2addr_b32 v[91:92], v82 offset0:34 offset1:51
	ds_load_2addr_b32 v[93:94], v82 offset0:68 offset1:85
	;; [unrolled: 1-line block ×4, first 2 shown]
	s_waitcnt lgkmcnt(4)
	v_max3_f32 v67, v89, 0xff7fffff, v90
	s_waitcnt lgkmcnt(3)
	s_delay_alu instid0(VALU_DEP_1) | instskip(SKIP_1) | instid1(VALU_DEP_1)
	v_max3_f32 v67, v67, v91, v92
	s_waitcnt lgkmcnt(2)
	v_max3_f32 v67, v67, v93, v94
	s_waitcnt lgkmcnt(1)
	s_delay_alu instid0(VALU_DEP_1) | instskip(NEXT) | instid1(VALU_DEP_1)
	v_max3_f32 v67, v67, v95, v96
	v_sub_f32_e32 v93, v93, v67
	s_delay_alu instid0(VALU_DEP_1) | instskip(NEXT) | instid1(VALU_DEP_1)
	v_dual_sub_f32 v68, v89, v67 :: v_dual_mul_f32 v103, 0x3fb8aa3b, v93
	v_mul_f32_e32 v68, 0x3fb8aa3b, v68
	s_delay_alu instid0(VALU_DEP_1)
	v_exp_f32_e32 v100, v68
	v_sub_f32_e32 v68, v92, v67
	v_sub_f32_e32 v99, v90, v67
	ds_load_2addr_b32 v[89:90], v82 offset0:170 offset1:187
	v_dual_mul_f32 v102, 0x3fb8aa3b, v68 :: v_dual_mul_f32 v99, 0x3fb8aa3b, v99
	s_waitcnt lgkmcnt(1)
	v_fma_f32 v68, v100, v97, 0
	s_delay_alu instid0(VALU_DEP_2) | instskip(NEXT) | instid1(VALU_DEP_2)
	v_exp_f32_e32 v102, v102
	v_exp_f32_e32 v99, v99
	s_waitcnt_depctr 0xfff
	v_fmac_f32_e32 v68, v99, v98
	v_sub_f32_e32 v91, v91, v67
	s_delay_alu instid0(VALU_DEP_1)
	v_mul_f32_e32 v101, 0x3fb8aa3b, v91
	ds_load_2addr_b32 v[91:92], v82 offset0:204 offset1:221
	v_sub_f32_e32 v97, v94, v67
	ds_load_2addr_b32 v[93:94], v82 offset0:238 offset1:255
	s_waitcnt lgkmcnt(0)
	v_exp_f32_e32 v101, v101
	s_barrier
	buffer_gl0_inv
	v_dual_fmac_f32 v68, v101, v89 :: v_dual_sub_f32 v89, v96, v67
	v_dual_sub_f32 v82, v95, v67 :: v_dual_mul_f32 v95, 0x3fb8aa3b, v97
	v_exp_f32_e32 v97, v103
	s_delay_alu instid0(VALU_DEP_2) | instskip(NEXT) | instid1(VALU_DEP_2)
	v_dual_fmac_f32 v68, v102, v90 :: v_dual_mul_f32 v89, 0x3fb8aa3b, v89
	v_mul_f32_e32 v82, 0x3fb8aa3b, v82
	s_delay_alu instid0(VALU_DEP_3) | instskip(NEXT) | instid1(VALU_DEP_2)
	v_exp_f32_e32 v95, v95
	v_exp_f32_e32 v89, v89
	s_delay_alu instid0(VALU_DEP_1)
	v_exp_f32_e32 v82, v82
	v_fmac_f32_e32 v68, v97, v91
	s_delay_alu instid0(TRANS32_DEP_3) | instid1(VALU_DEP_1)
	v_fmac_f32_e32 v68, v95, v92
	s_waitcnt_depctr 0xfff
	v_fmac_f32_e32 v68, v82, v93
	s_delay_alu instid0(VALU_DEP_1) | instskip(NEXT) | instid1(VALU_DEP_1)
	v_fmac_f32_e32 v68, v89, v94
	v_add_f32_e32 v90, 0x358637bd, v68
	s_delay_alu instid0(VALU_DEP_1) | instskip(NEXT) | instid1(VALU_DEP_1)
	v_div_scale_f32 v91, null, v90, v90, 1.0
	v_rcp_f32_e32 v92, v91
	s_waitcnt_depctr 0xfff
	v_fma_f32 v93, -v91, v92, 1.0
	s_delay_alu instid0(VALU_DEP_1) | instskip(SKIP_1) | instid1(VALU_DEP_2)
	v_dual_fmac_f32 v92, v93, v92 :: v_dual_cndmask_b32 v93, v100, v99
	v_cmp_eq_u32_e32 vcc_lo, 3, v66
	v_cndmask_b32_e64 v93, v93, v101, s3
	v_cmp_eq_u32_e64 s3, 4, v66
	s_delay_alu instid0(VALU_DEP_2) | instskip(SKIP_1) | instid1(VALU_DEP_2)
	v_cndmask_b32_e32 v93, v93, v102, vcc_lo
	v_cmp_eq_u32_e32 vcc_lo, 5, v66
	v_cndmask_b32_e64 v93, v93, v97, s3
	v_cmp_eq_u32_e64 s3, 6, v66
	s_delay_alu instid0(VALU_DEP_2) | instskip(SKIP_1) | instid1(VALU_DEP_1)
	v_cndmask_b32_e32 v93, v93, v95, vcc_lo
	v_div_scale_f32 v94, s4, 1.0, v90, 1.0
	s_mov_b32 vcc_lo, s4
	s_delay_alu instid0(VALU_DEP_2) | instskip(NEXT) | instid1(VALU_DEP_2)
	v_cndmask_b32_e64 v82, v93, v82, s3
	v_mul_f32_e32 v96, v94, v92
	s_mov_b32 s3, exec_lo
	s_delay_alu instid0(VALU_DEP_2) | instskip(NEXT) | instid1(VALU_DEP_2)
	v_cndmask_b32_e64 v82, v82, v89, s5
	v_fma_f32 v98, -v91, v96, v94
	s_delay_alu instid0(VALU_DEP_1) | instskip(NEXT) | instid1(VALU_DEP_1)
	v_fmac_f32_e32 v96, v98, v92
	v_fma_f32 v91, -v91, v96, v94
	s_delay_alu instid0(VALU_DEP_1) | instskip(NEXT) | instid1(VALU_DEP_1)
	v_div_fmas_f32 v91, v91, v92, v96
	v_div_fixup_f32 v90, v91, v90, 1.0
	s_delay_alu instid0(VALU_DEP_1) | instskip(NEXT) | instid1(VALU_DEP_1)
	v_mul_f32_e32 v82, v82, v90
	v_mul_f32_e32 v87, v82, v87
	;; [unrolled: 1-line block ×7, first 2 shown]
	v_dual_mul_f32 v86, v82, v83 :: v_dual_and_b32 v91, 0x7f800000, v90
	v_mul_f32_e32 v85, v82, v76
                                        ; implicit-def: $vgpr76
	s_delay_alu instid0(VALU_DEP_2)
	v_cmpx_ne_u32_e32 0x7f800000, v91
	s_xor_b32 s3, exec_lo, s3
; %bb.13:
	v_bfe_u32 v76, v90, 16, 1
	s_delay_alu instid0(VALU_DEP_1)
	v_add3_u32 v76, v90, v76, 0x7fff
                                        ; implicit-def: $vgpr90
; %bb.14:
	s_and_not1_saveexec_b32 s3, s3
; %bb.15:
	v_and_b32_e32 v76, 0xffff, v90
	v_or_b32_e32 v83, 0x10000, v90
	s_delay_alu instid0(VALU_DEP_2) | instskip(NEXT) | instid1(VALU_DEP_2)
	v_cmp_eq_u32_e32 vcc_lo, 0, v76
	v_cndmask_b32_e32 v76, v83, v90, vcc_lo
; %bb.16:
	s_or_b32 exec_lo, exec_lo, s3
	v_and_b32_e32 v83, 0x7f800000, v85
	s_delay_alu instid0(VALU_DEP_1) | instskip(SKIP_1) | instid1(SALU_CYCLE_1)
	v_cmp_ne_u32_e32 vcc_lo, 0x7f800000, v83
                                        ; implicit-def: $vgpr83
	s_and_saveexec_b32 s3, vcc_lo
	s_xor_b32 s3, exec_lo, s3
; %bb.17:
	v_bfe_u32 v83, v85, 16, 1
	s_delay_alu instid0(VALU_DEP_1)
	v_add3_u32 v83, v85, v83, 0x7fff
                                        ; implicit-def: $vgpr85
; %bb.18:
	s_and_not1_saveexec_b32 s3, s3
; %bb.19:
	v_and_b32_e32 v83, 0xffff, v85
	v_or_b32_e32 v90, 0x10000, v85
	s_delay_alu instid0(VALU_DEP_2) | instskip(NEXT) | instid1(VALU_DEP_2)
	v_cmp_eq_u32_e32 vcc_lo, 0, v83
	v_cndmask_b32_e32 v83, v90, v85, vcc_lo
; %bb.20:
	s_or_b32 exec_lo, exec_lo, s3
	v_and_b32_e32 v85, 0x7f800000, v86
	s_delay_alu instid0(VALU_DEP_1) | instskip(SKIP_1) | instid1(SALU_CYCLE_1)
	v_cmp_ne_u32_e32 vcc_lo, 0x7f800000, v85
                                        ; implicit-def: $vgpr85
	s_and_saveexec_b32 s3, vcc_lo
	s_xor_b32 s3, exec_lo, s3
; %bb.21:
	v_bfe_u32 v85, v86, 16, 1
	s_delay_alu instid0(VALU_DEP_1)
	v_add3_u32 v85, v86, v85, 0x7fff
                                        ; implicit-def: $vgpr86
; %bb.22:
	s_and_not1_saveexec_b32 s3, s3
; %bb.23:
	v_and_b32_e32 v85, 0xffff, v86
	v_or_b32_e32 v90, 0x10000, v86
	s_delay_alu instid0(VALU_DEP_2) | instskip(NEXT) | instid1(VALU_DEP_2)
	v_cmp_eq_u32_e32 vcc_lo, 0, v85
	v_cndmask_b32_e32 v85, v90, v86, vcc_lo
; %bb.24:
	s_or_b32 exec_lo, exec_lo, s3
	v_and_b32_e32 v86, 0x7f800000, v89
	s_delay_alu instid0(VALU_DEP_1) | instskip(SKIP_1) | instid1(SALU_CYCLE_1)
	v_cmp_ne_u32_e32 vcc_lo, 0x7f800000, v86
                                        ; implicit-def: $vgpr86
	s_and_saveexec_b32 s3, vcc_lo
	s_xor_b32 s3, exec_lo, s3
; %bb.25:
	v_bfe_u32 v86, v89, 16, 1
	s_delay_alu instid0(VALU_DEP_1)
	v_add3_u32 v86, v89, v86, 0x7fff
                                        ; implicit-def: $vgpr89
; %bb.26:
	s_and_not1_saveexec_b32 s3, s3
; %bb.27:
	v_and_b32_e32 v86, 0xffff, v89
	v_or_b32_e32 v90, 0x10000, v89
	s_delay_alu instid0(VALU_DEP_2) | instskip(NEXT) | instid1(VALU_DEP_2)
	v_cmp_eq_u32_e32 vcc_lo, 0, v86
	v_cndmask_b32_e32 v86, v90, v89, vcc_lo
; %bb.28:
	s_or_b32 exec_lo, exec_lo, s3
	v_and_b32_e32 v89, 0x7f800000, v88
	s_delay_alu instid0(VALU_DEP_1) | instskip(SKIP_1) | instid1(SALU_CYCLE_1)
	v_cmp_ne_u32_e32 vcc_lo, 0x7f800000, v89
                                        ; implicit-def: $vgpr89
	s_and_saveexec_b32 s3, vcc_lo
	s_xor_b32 s3, exec_lo, s3
; %bb.29:
	v_bfe_u32 v89, v88, 16, 1
	s_delay_alu instid0(VALU_DEP_1)
	v_add3_u32 v89, v88, v89, 0x7fff
                                        ; implicit-def: $vgpr88
; %bb.30:
	s_and_not1_saveexec_b32 s3, s3
; %bb.31:
	v_and_b32_e32 v89, 0xffff, v88
	v_or_b32_e32 v90, 0x10000, v88
	s_delay_alu instid0(VALU_DEP_2) | instskip(NEXT) | instid1(VALU_DEP_2)
	v_cmp_eq_u32_e32 vcc_lo, 0, v89
	v_cndmask_b32_e32 v89, v90, v88, vcc_lo
; %bb.32:
	s_or_b32 exec_lo, exec_lo, s3
	v_and_b32_e32 v88, 0x7f800000, v87
	s_delay_alu instid0(VALU_DEP_1) | instskip(SKIP_1) | instid1(SALU_CYCLE_1)
	v_cmp_ne_u32_e32 vcc_lo, 0x7f800000, v88
                                        ; implicit-def: $vgpr88
	s_and_saveexec_b32 s3, vcc_lo
	s_xor_b32 s3, exec_lo, s3
; %bb.33:
	v_bfe_u32 v88, v87, 16, 1
	s_delay_alu instid0(VALU_DEP_1)
	v_add3_u32 v88, v87, v88, 0x7fff
                                        ; implicit-def: $vgpr87
; %bb.34:
	s_and_not1_saveexec_b32 s3, s3
; %bb.35:
	v_and_b32_e32 v88, 0xffff, v87
	v_or_b32_e32 v90, 0x10000, v87
	s_delay_alu instid0(VALU_DEP_2) | instskip(NEXT) | instid1(VALU_DEP_2)
	v_cmp_eq_u32_e32 vcc_lo, 0, v88
	v_cndmask_b32_e32 v88, v90, v87, vcc_lo
; %bb.36:
	s_or_b32 exec_lo, exec_lo, s3
	v_and_b32_e32 v87, 0x7f800000, v84
	s_delay_alu instid0(VALU_DEP_1) | instskip(SKIP_1) | instid1(SALU_CYCLE_1)
	v_cmp_ne_u32_e32 vcc_lo, 0x7f800000, v87
                                        ; implicit-def: $vgpr87
	s_and_saveexec_b32 s3, vcc_lo
	s_xor_b32 s3, exec_lo, s3
; %bb.37:
	v_bfe_u32 v87, v84, 16, 1
	s_delay_alu instid0(VALU_DEP_1)
	v_add3_u32 v87, v84, v87, 0x7fff
                                        ; implicit-def: $vgpr84
; %bb.38:
	s_and_not1_saveexec_b32 s3, s3
; %bb.39:
	v_and_b32_e32 v87, 0xffff, v84
	v_or_b32_e32 v90, 0x10000, v84
	s_delay_alu instid0(VALU_DEP_2) | instskip(NEXT) | instid1(VALU_DEP_2)
	v_cmp_eq_u32_e32 vcc_lo, 0, v87
	v_cndmask_b32_e32 v87, v90, v84, vcc_lo
; %bb.40:
	s_or_b32 exec_lo, exec_lo, s3
	v_and_b32_e32 v84, 0x7f800000, v80
	s_delay_alu instid0(VALU_DEP_1) | instskip(SKIP_1) | instid1(SALU_CYCLE_1)
	v_cmp_ne_u32_e32 vcc_lo, 0x7f800000, v84
                                        ; implicit-def: $vgpr84
	s_and_saveexec_b32 s3, vcc_lo
	s_xor_b32 s3, exec_lo, s3
; %bb.41:
	v_bfe_u32 v84, v80, 16, 1
	s_delay_alu instid0(VALU_DEP_1)
	v_add3_u32 v84, v80, v84, 0x7fff
                                        ; implicit-def: $vgpr80
; %bb.42:
	s_and_not1_saveexec_b32 s3, s3
; %bb.43:
	v_and_b32_e32 v84, 0xffff, v80
	v_or_b32_e32 v90, 0x10000, v80
	s_delay_alu instid0(VALU_DEP_2) | instskip(NEXT) | instid1(VALU_DEP_2)
	v_cmp_eq_u32_e32 vcc_lo, 0, v84
	v_cndmask_b32_e32 v84, v90, v80, vcc_lo
; %bb.44:
	s_or_b32 exec_lo, exec_lo, s3
	s_load_b64 s[34:35], s[0:1], 0x94
	v_lshlrev_b32_e32 v91, 4, v74
	s_delay_alu instid0(VALU_DEP_2)
	v_perm_b32 v90, v84, v87, 0x7060302
	v_dual_mul_f32 v79, v82, v79 :: v_dual_lshlrev_b32 v80, 6, v65
	v_dual_mul_f32 v77, v82, v77 :: v_dual_lshlrev_b32 v92, 11, v66
	v_mul_f32_e32 v84, v82, v70
	v_perm_b32 v89, v88, v89, 0x7060302
	v_perm_b32 v88, v86, v85, 0x7060302
	;; [unrolled: 1-line block ×3, first 2 shown]
	v_mul_f32_e32 v70, v82, v81
	v_or3_b32 v76, v91, v92, v80
	v_dual_mul_f32 v78, v82, v78 :: v_dual_and_b32 v85, 0x7f800000, v84
	v_mul_f32_e32 v83, v82, v72
	v_mul_f32_e32 v81, v82, v71
	;; [unrolled: 1-line block ×3, first 2 shown]
	s_mov_b32 s3, exec_lo
	ds_store_b128 v76, v[87:90]
                                        ; implicit-def: $vgpr69
	v_cmpx_ne_u32_e32 0x7f800000, v85
	s_xor_b32 s3, exec_lo, s3
; %bb.45:
	v_bfe_u32 v69, v84, 16, 1
	s_delay_alu instid0(VALU_DEP_1)
	v_add3_u32 v69, v84, v69, 0x7fff
                                        ; implicit-def: $vgpr84
; %bb.46:
	s_and_not1_saveexec_b32 s3, s3
; %bb.47:
	v_and_b32_e32 v69, 0xffff, v84
	v_or_b32_e32 v71, 0x10000, v84
	s_delay_alu instid0(VALU_DEP_2) | instskip(NEXT) | instid1(VALU_DEP_2)
	v_cmp_eq_u32_e32 vcc_lo, 0, v69
	v_cndmask_b32_e32 v69, v71, v84, vcc_lo
; %bb.48:
	s_or_b32 exec_lo, exec_lo, s3
	v_and_b32_e32 v71, 0x7f800000, v72
	s_delay_alu instid0(VALU_DEP_1) | instskip(SKIP_1) | instid1(SALU_CYCLE_1)
	v_cmp_ne_u32_e32 vcc_lo, 0x7f800000, v71
                                        ; implicit-def: $vgpr71
	s_and_saveexec_b32 s3, vcc_lo
	s_xor_b32 s3, exec_lo, s3
; %bb.49:
	v_bfe_u32 v71, v72, 16, 1
	s_delay_alu instid0(VALU_DEP_1)
	v_add3_u32 v71, v72, v71, 0x7fff
                                        ; implicit-def: $vgpr72
; %bb.50:
	s_and_not1_saveexec_b32 s3, s3
; %bb.51:
	v_and_b32_e32 v71, 0xffff, v72
	v_or_b32_e32 v82, 0x10000, v72
	s_delay_alu instid0(VALU_DEP_2) | instskip(NEXT) | instid1(VALU_DEP_2)
	v_cmp_eq_u32_e32 vcc_lo, 0, v71
	v_cndmask_b32_e32 v71, v82, v72, vcc_lo
; %bb.52:
	s_or_b32 exec_lo, exec_lo, s3
	v_and_b32_e32 v72, 0x7f800000, v81
	s_delay_alu instid0(VALU_DEP_1) | instskip(SKIP_1) | instid1(SALU_CYCLE_1)
	v_cmp_ne_u32_e32 vcc_lo, 0x7f800000, v72
                                        ; implicit-def: $vgpr72
	s_and_saveexec_b32 s3, vcc_lo
	s_xor_b32 s3, exec_lo, s3
; %bb.53:
	v_bfe_u32 v72, v81, 16, 1
	s_delay_alu instid0(VALU_DEP_1)
	v_add3_u32 v72, v81, v72, 0x7fff
                                        ; implicit-def: $vgpr81
; %bb.54:
	s_and_not1_saveexec_b32 s3, s3
; %bb.55:
	v_and_b32_e32 v72, 0xffff, v81
	v_or_b32_e32 v82, 0x10000, v81
	s_delay_alu instid0(VALU_DEP_2) | instskip(NEXT) | instid1(VALU_DEP_2)
	v_cmp_eq_u32_e32 vcc_lo, 0, v72
	v_cndmask_b32_e32 v72, v82, v81, vcc_lo
; %bb.56:
	s_or_b32 exec_lo, exec_lo, s3
	v_and_b32_e32 v81, 0x7f800000, v83
	s_delay_alu instid0(VALU_DEP_1) | instskip(SKIP_1) | instid1(SALU_CYCLE_1)
	v_cmp_ne_u32_e32 vcc_lo, 0x7f800000, v81
                                        ; implicit-def: $vgpr81
	s_and_saveexec_b32 s3, vcc_lo
	s_xor_b32 s3, exec_lo, s3
; %bb.57:
	v_bfe_u32 v81, v83, 16, 1
	s_delay_alu instid0(VALU_DEP_1)
	v_add3_u32 v81, v83, v81, 0x7fff
                                        ; implicit-def: $vgpr83
; %bb.58:
	s_and_not1_saveexec_b32 s3, s3
; %bb.59:
	v_and_b32_e32 v81, 0xffff, v83
	v_or_b32_e32 v82, 0x10000, v83
	s_delay_alu instid0(VALU_DEP_2) | instskip(NEXT) | instid1(VALU_DEP_2)
	v_cmp_eq_u32_e32 vcc_lo, 0, v81
	v_cndmask_b32_e32 v81, v82, v83, vcc_lo
; %bb.60:
	s_or_b32 exec_lo, exec_lo, s3
	v_and_b32_e32 v82, 0x7f800000, v77
	s_delay_alu instid0(VALU_DEP_1) | instskip(SKIP_1) | instid1(SALU_CYCLE_1)
	v_cmp_ne_u32_e32 vcc_lo, 0x7f800000, v82
                                        ; implicit-def: $vgpr82
	s_and_saveexec_b32 s3, vcc_lo
	s_xor_b32 s3, exec_lo, s3
; %bb.61:
	v_bfe_u32 v82, v77, 16, 1
	s_delay_alu instid0(VALU_DEP_1)
	v_add3_u32 v82, v77, v82, 0x7fff
                                        ; implicit-def: $vgpr77
; %bb.62:
	s_and_not1_saveexec_b32 s3, s3
; %bb.63:
	v_and_b32_e32 v82, 0xffff, v77
	v_or_b32_e32 v83, 0x10000, v77
	s_delay_alu instid0(VALU_DEP_2) | instskip(NEXT) | instid1(VALU_DEP_2)
	v_cmp_eq_u32_e32 vcc_lo, 0, v82
	v_cndmask_b32_e32 v82, v83, v77, vcc_lo
; %bb.64:
	s_or_b32 exec_lo, exec_lo, s3
	v_and_b32_e32 v77, 0x7f800000, v78
	s_delay_alu instid0(VALU_DEP_1) | instskip(SKIP_1) | instid1(SALU_CYCLE_1)
	v_cmp_ne_u32_e32 vcc_lo, 0x7f800000, v77
                                        ; implicit-def: $vgpr77
	s_and_saveexec_b32 s3, vcc_lo
	s_xor_b32 s3, exec_lo, s3
; %bb.65:
	v_bfe_u32 v77, v78, 16, 1
	s_delay_alu instid0(VALU_DEP_1)
	v_add3_u32 v77, v78, v77, 0x7fff
                                        ; implicit-def: $vgpr78
; %bb.66:
	s_and_not1_saveexec_b32 s3, s3
; %bb.67:
	v_and_b32_e32 v77, 0xffff, v78
	v_or_b32_e32 v83, 0x10000, v78
	s_delay_alu instid0(VALU_DEP_2) | instskip(NEXT) | instid1(VALU_DEP_2)
	v_cmp_eq_u32_e32 vcc_lo, 0, v77
	v_cndmask_b32_e32 v77, v83, v78, vcc_lo
; %bb.68:
	s_or_b32 exec_lo, exec_lo, s3
	v_and_b32_e32 v78, 0x7f800000, v79
	s_delay_alu instid0(VALU_DEP_1) | instskip(SKIP_1) | instid1(SALU_CYCLE_1)
	v_cmp_ne_u32_e32 vcc_lo, 0x7f800000, v78
                                        ; implicit-def: $vgpr78
	s_and_saveexec_b32 s3, vcc_lo
	s_xor_b32 s3, exec_lo, s3
; %bb.69:
	v_bfe_u32 v78, v79, 16, 1
	s_delay_alu instid0(VALU_DEP_1)
	v_add3_u32 v78, v79, v78, 0x7fff
                                        ; implicit-def: $vgpr79
; %bb.70:
	s_and_not1_saveexec_b32 s3, s3
; %bb.71:
	v_and_b32_e32 v78, 0xffff, v79
	v_or_b32_e32 v83, 0x10000, v79
	s_delay_alu instid0(VALU_DEP_2) | instskip(NEXT) | instid1(VALU_DEP_2)
	v_cmp_eq_u32_e32 vcc_lo, 0, v78
	v_cndmask_b32_e32 v78, v83, v79, vcc_lo
; %bb.72:
	s_or_b32 exec_lo, exec_lo, s3
	v_and_b32_e32 v79, 0x7f800000, v70
	s_delay_alu instid0(VALU_DEP_1) | instskip(SKIP_1) | instid1(SALU_CYCLE_1)
	v_cmp_ne_u32_e32 vcc_lo, 0x7f800000, v79
                                        ; implicit-def: $vgpr79
	s_and_saveexec_b32 s3, vcc_lo
	s_xor_b32 s3, exec_lo, s3
; %bb.73:
	v_bfe_u32 v79, v70, 16, 1
	s_delay_alu instid0(VALU_DEP_1)
	v_add3_u32 v79, v70, v79, 0x7fff
                                        ; implicit-def: $vgpr70
; %bb.74:
	s_and_not1_saveexec_b32 s3, s3
; %bb.75:
	v_and_b32_e32 v79, 0xffff, v70
	v_or_b32_e32 v83, 0x10000, v70
	s_delay_alu instid0(VALU_DEP_2) | instskip(NEXT) | instid1(VALU_DEP_2)
	v_cmp_eq_u32_e32 vcc_lo, 0, v79
	v_cndmask_b32_e32 v79, v83, v70, vcc_lo
; %bb.76:
	s_or_b32 exec_lo, exec_lo, s3
	s_delay_alu instid0(VALU_DEP_1)
	v_perm_b32 v86, v79, v78, 0x7060302
	v_perm_b32 v85, v77, v82, 0x7060302
	;; [unrolled: 1-line block ×4, first 2 shown]
	v_lshl_or_b32 v82, v66, 11, v80
	ds_store_b128 v76, v[83:86] offset:1024
	s_waitcnt lgkmcnt(0)
	s_barrier
	buffer_gl0_inv
	ds_load_b128 v[69:72], v82
	ds_load_b128 v[83:86], v82 offset:16
	s_waitcnt lgkmcnt(1)
	v_lshrrev_b32_e32 v66, 16, v69
	s_waitcnt lgkmcnt(0)
	v_lshrrev_b32_e32 v91, 16, v83
	v_lshlrev_b32_e32 v78, 2, v74
	v_lshrrev_b32_e32 v95, 16, v70
	v_lshrrev_b32_e32 v98, 16, v84
	;; [unrolled: 1-line block ×4, first 2 shown]
	v_cmp_eq_u32_e32 vcc_lo, 1, v78
	v_lshrrev_b32_e32 v97, 16, v72
	v_lshrrev_b32_e32 v100, 16, v86
	v_cndmask_b32_e32 v87, v83, v91, vcc_lo
	v_or_b32_e32 v79, 1, v78
	v_cndmask_b32_e32 v81, v69, v66, vcc_lo
	v_cmp_eq_u32_e64 s4, 2, v78
	v_cmp_eq_u32_e64 s7, 3, v78
	;; [unrolled: 1-line block ×5, first 2 shown]
	v_cndmask_b32_e64 v81, v81, v70, s4
	v_cndmask_b32_e64 v87, v87, v84, s4
	v_cmp_eq_u32_e64 s8, 3, v79
	v_cndmask_b32_e64 v88, v69, v66, s3
	v_or_b32_e32 v77, 2, v78
	v_cndmask_b32_e64 v81, v81, v95, s7
	v_cndmask_b32_e64 v87, v87, v98, s7
	;; [unrolled: 1-line block ×4, first 2 shown]
	v_cmp_eq_u32_e64 s10, 5, v78
	v_cndmask_b32_e64 v81, v81, v71, s9
	v_cndmask_b32_e64 v87, v87, v85, s9
	v_cmp_eq_u32_e64 s11, 4, v79
	v_cndmask_b32_e64 v88, v88, v95, s8
	v_cmp_eq_u32_e64 s5, 1, v77
	v_cndmask_b32_e64 v89, v89, v84, s6
	v_cndmask_b32_e64 v81, v81, v96, s10
	v_cmp_eq_u32_e64 s12, 6, v78
	v_cndmask_b32_e64 v88, v88, v71, s11
	v_cndmask_b32_e64 v87, v87, v99, s10
	v_cmp_eq_u32_e64 s13, 5, v79
	v_cndmask_b32_e64 v90, v69, v66, s5
	v_cndmask_b32_e64 v89, v89, v98, s8
	v_cndmask_b32_e64 v81, v81, v72, s12
	v_cmp_eq_u32_e64 s15, 7, v78
	v_cndmask_b32_e64 v88, v88, v96, s13
	v_cndmask_b32_e64 v87, v87, v86, s12
	v_cmp_eq_u32_e64 s16, 6, v79
	v_cmp_eq_u32_e64 s17, 2, v77
	v_cndmask_b32_e64 v89, v89, v85, s11
	v_cndmask_b32_e64 v101, v81, v97, s15
	;; [unrolled: 1-line block ×6, first 2 shown]
	v_cmp_eq_u32_e64 s18, 7, v79
	v_cmp_eq_u32_e64 s19, 3, v77
	;; [unrolled: 1-line block ×4, first 2 shown]
	v_cndmask_b32_e64 v87, v87, v84, s17
	v_cndmask_b32_e64 v103, v88, v97, s18
	;; [unrolled: 1-line block ×4, first 2 shown]
	v_or_b32_e32 v81, 3, v78
	v_cndmask_b32_e64 v93, v87, v98, s19
	v_cmp_eq_u32_e64 s24, 6, v77
	v_cndmask_b32_e64 v104, v88, v86, s16
	v_cndmask_b32_e64 v92, v89, v71, s20
	v_cmp_eq_u32_e64 s21, 1, v81
	ds_load_b128 v[87:90], v82 offset:1024
	v_cmp_eq_u32_e64 s23, 2, v81
	v_cmp_eq_u32_e64 s25, 3, v81
	v_cndmask_b32_e64 v105, v92, v96, s22
	v_cndmask_b32_e64 v66, v69, v66, s21
	;; [unrolled: 1-line block ×4, first 2 shown]
	ds_load_b128 v[91:94], v82 offset:1040
	v_cmp_eq_u32_e64 s26, 4, v81
	v_cndmask_b32_e64 v66, v66, v70, s23
	v_cmp_eq_u32_e64 s27, 7, v77
	v_cndmask_b32_e64 v70, v83, v84, s23
	v_cndmask_b32_e64 v84, v105, v72, s24
	v_cmp_eq_u32_e64 s28, 5, v81
	v_cndmask_b32_e64 v66, v66, v95, s25
	v_cmp_eq_u32_e64 s29, 6, v81
	v_cndmask_b32_e64 v70, v70, v98, s25
	v_cndmask_b32_e64 v69, v69, v99, s22
	v_cndmask_b32_e64 v83, v104, v100, s18
	v_cndmask_b32_e64 v66, v66, v71, s26
	s_waitcnt lgkmcnt(1)
	v_lshrrev_b32_e32 v95, 16, v87
	v_cndmask_b32_e64 v70, v70, v85, s26
	v_cndmask_b32_e64 v71, v84, v97, s27
	;; [unrolled: 1-line block ×4, first 2 shown]
	v_cndmask_b32_e32 v84, v87, v95, vcc_lo
	v_cndmask_b32_e64 v70, v70, v99, s28
	s_waitcnt lgkmcnt(0)
	v_lshrrev_b32_e32 v85, 16, v91
	v_lshrrev_b32_e32 v96, 16, v88
	v_cndmask_b32_e64 v98, v87, v95, s3
	v_cndmask_b32_e64 v84, v84, v88, s4
	;; [unrolled: 1-line block ×3, first 2 shown]
	v_cndmask_b32_e32 v99, v91, v85, vcc_lo
	v_cmp_eq_u32_e32 vcc_lo, 7, v81
	v_cndmask_b32_e64 v66, v66, v72, s29
	v_cndmask_b32_e64 v72, v84, v96, s7
	;; [unrolled: 1-line block ×3, first 2 shown]
	v_lshrrev_b32_e32 v98, 16, v92
	v_cndmask_b32_e32 v70, v70, v100, vcc_lo
	v_cndmask_b32_e64 v86, v99, v92, s4
	v_cndmask_b32_e64 v69, v69, v100, s27
	v_lshrrev_b32_e32 v100, 16, v93
	v_cndmask_b32_e64 v72, v72, v89, s9
	v_lshrrev_b32_e32 v99, 16, v89
	v_cndmask_b32_e64 v86, v86, v98, s7
	v_perm_b32 v71, v69, v71, 0x5040100
	v_cndmask_b32_e64 v84, v84, v96, s8
	s_delay_alu instid0(VALU_DEP_3) | instskip(NEXT) | instid1(VALU_DEP_2)
	v_cndmask_b32_e64 v86, v86, v93, s9
	v_cndmask_b32_e64 v84, v84, v89, s11
	s_delay_alu instid0(VALU_DEP_2) | instskip(NEXT) | instid1(VALU_DEP_1)
	v_cndmask_b32_e64 v86, v86, v100, s10
	v_cndmask_b32_e64 v69, v86, v94, s12
	;; [unrolled: 1-line block ×5, first 2 shown]
	s_delay_alu instid0(VALU_DEP_3) | instskip(NEXT) | instid1(VALU_DEP_3)
	v_cndmask_b32_e64 v86, v86, v88, s17
	v_cndmask_b32_e64 v87, v87, v88, s23
	s_delay_alu instid0(VALU_DEP_3) | instskip(NEXT) | instid1(VALU_DEP_3)
	v_cndmask_b32_e64 v88, v95, v92, s23
	v_cndmask_b32_e64 v86, v86, v96, s19
	;; [unrolled: 3-line block ×7, first 2 shown]
	s_delay_alu instid0(VALU_DEP_3) | instskip(SKIP_2) | instid1(VALU_DEP_2)
	v_cndmask_b32_e64 v88, v88, v94, s29
	v_cndmask_b32_e32 v66, v66, v97, vcc_lo
	v_cndmask_b32_e64 v97, v72, v99, s10
	v_perm_b32 v72, v70, v66, 0x5040100
	v_perm_b32 v70, v83, v103, 0x5040100
	v_cndmask_b32_e64 v103, v91, v85, s5
	v_cndmask_b32_e64 v85, v91, v85, s3
	;; [unrolled: 1-line block ×4, first 2 shown]
	v_lshrrev_b32_e32 v97, 16, v90
	v_cndmask_b32_e64 v91, v103, v92, s17
	v_cndmask_b32_e64 v85, v85, v92, s6
	;; [unrolled: 1-line block ×3, first 2 shown]
	s_mov_b32 s3, exec_lo
	v_cndmask_b32_e64 v83, v84, v97, s15
	v_cndmask_b32_e64 v91, v91, v98, s19
	;; [unrolled: 1-line block ×3, first 2 shown]
	v_lshrrev_b32_e32 v84, 16, v94
	v_cndmask_b32_e64 v66, v66, v97, s18
	v_cndmask_b32_e64 v90, v86, v97, s27
	;; [unrolled: 1-line block ×4, first 2 shown]
	v_dual_cndmask_b32 v86, v87, v97 :: v_dual_cndmask_b32 v87, v88, v84
	v_cndmask_b32_e64 v91, v69, v84, s15
	s_delay_alu instid0(VALU_DEP_4) | instskip(NEXT) | instid1(VALU_DEP_4)
	v_cndmask_b32_e64 v89, v89, v100, s22
	v_cndmask_b32_e64 v85, v85, v100, s13
	v_perm_b32 v69, v102, v101, 0x5040100
	v_perm_b32 v86, v87, v86, 0x5040100
	;; [unrolled: 1-line block ×3, first 2 shown]
	v_cndmask_b32_e64 v89, v89, v94, s24
	v_cndmask_b32_e64 v85, v85, v94, s16
	s_mul_i32 s8, s35, 3
	s_delay_alu instid0(VALU_DEP_2) | instskip(NEXT) | instid1(VALU_DEP_2)
	v_cndmask_b32_e64 v88, v89, v84, s27
	v_cndmask_b32_e64 v89, v85, v84, s18
	s_delay_alu instid0(VALU_DEP_2) | instskip(NEXT) | instid1(VALU_DEP_2)
	v_perm_b32 v85, v88, v90, 0x5040100
	v_perm_b32 v84, v89, v66, 0x5040100
	ds_store_b128 v76, v[69:72]
	ds_store_b128 v76, v[83:86] offset:1024
	v_cmpx_gt_u32_e32 3, v0
	s_cbranch_execz .LBB1564_78
; %bb.77:
	s_mul_i32 s4, s8, s30
	s_delay_alu instid0(SALU_CYCLE_1) | instskip(SKIP_1) | instid1(VALU_DEP_1)
	v_add3_u32 v69, s4, s31, v65
	s_load_b128 s[4:7], s[0:1], 0x58
	v_mad_u64_u32 v[65:66], null, v69, s34, s[14:15]
	s_delay_alu instid0(VALU_DEP_1) | instskip(NEXT) | instid1(VALU_DEP_1)
	v_ashrrev_i32_e32 v66, 31, v65
	v_lshlrev_b64 v[65:66], 2, v[65:66]
	s_waitcnt lgkmcnt(0)
	s_delay_alu instid0(VALU_DEP_1) | instskip(NEXT) | instid1(VALU_DEP_2)
	v_add_co_u32 v69, vcc_lo, s6, v65
	v_add_co_ci_u32_e32 v70, vcc_lo, s7, v66, vcc_lo
	v_add_co_u32 v65, vcc_lo, s4, v65
	v_add_co_ci_u32_e32 v66, vcc_lo, s5, v66, vcc_lo
	global_store_b32 v[69:70], v67, off
	global_store_b32 v[65:66], v68, off
.LBB1564_78:
	s_or_b32 exec_lo, exec_lo, s3
	s_waitcnt lgkmcnt(0)
	s_waitcnt_vscnt null, 0x0
	s_barrier
	buffer_gl0_inv
	ds_load_b128 v[83:86], v80
	ds_load_b128 v[87:90], v80 offset:16
	ds_load_b128 v[95:98], v80 offset:2064
	;; [unrolled: 1-line block ×3, first 2 shown]
	v_mov_b32_e32 v65, 0
	ds_load_b128 v[103:106], v80 offset:4112
	ds_load_b128 v[99:102], v80 offset:4096
	ds_load_b128 v[111:114], v80 offset:6160
	ds_load_b128 v[107:110], v80 offset:6144
	v_mov_b32_e32 v66, v65
	v_mov_b32_e32 v67, v65
	;; [unrolled: 1-line block ×7, first 2 shown]
	s_waitcnt lgkmcnt(6)
	s_delay_alu instid0(VALU_DEP_1)
	v_wmma_f32_16x16x16_bf16 v[65:72], v[41:48], v[83:90], v[65:72]
	ds_load_b128 v[45:48], v80 offset:8208
	ds_load_b128 v[41:44], v80 offset:8192
	s_waitcnt lgkmcnt(6)
	v_wmma_f32_16x16x16_bf16 v[65:72], v[33:40], v[91:98], v[65:72]
	ds_load_b128 v[37:40], v80 offset:10256
	ds_load_b128 v[33:36], v80 offset:10240
	s_waitcnt lgkmcnt(6)
	;; [unrolled: 4-line block ×4, first 2 shown]
	v_wmma_f32_16x16x16_bf16 v[65:72], v[1:8], v[41:48], v[65:72]
	s_waitcnt lgkmcnt(4)
	s_delay_alu instid0(VALU_DEP_1) | instskip(SKIP_1) | instid1(VALU_DEP_1)
	v_wmma_f32_16x16x16_bf16 v[65:72], v[9:16], v[33:40], v[65:72]
	s_waitcnt lgkmcnt(2)
	v_wmma_f32_16x16x16_bf16 v[65:72], v[57:64], v[25:32], v[65:72]
	s_waitcnt lgkmcnt(0)
	s_delay_alu instid0(VALU_DEP_1) | instskip(NEXT) | instid1(VALU_DEP_1)
	v_wmma_f32_16x16x16_bf16 v[65:72], v[49:56], v[17:24], v[65:72]
	v_and_b32_e32 v1, 0x7f800000, v65
	s_delay_alu instid0(VALU_DEP_1) | instskip(SKIP_1) | instid1(SALU_CYCLE_1)
	v_cmp_ne_u32_e32 vcc_lo, 0x7f800000, v1
                                        ; implicit-def: $vgpr1
	s_and_saveexec_b32 s3, vcc_lo
	s_xor_b32 s3, exec_lo, s3
; %bb.79:
	v_bfe_u32 v1, v65, 16, 1
	s_delay_alu instid0(VALU_DEP_1)
	v_add3_u32 v1, v65, v1, 0x7fff
; %bb.80:
	s_and_not1_saveexec_b32 s3, s3
; %bb.81:
	v_and_b32_e32 v1, 0xffff, v65
	v_or_b32_e32 v2, 0x10000, v65
	s_delay_alu instid0(VALU_DEP_2) | instskip(NEXT) | instid1(VALU_DEP_2)
	v_cmp_eq_u32_e32 vcc_lo, 0, v1
	v_cndmask_b32_e32 v1, v2, v65, vcc_lo
; %bb.82:
	s_or_b32 exec_lo, exec_lo, s3
	v_and_b32_e32 v2, 0x7f800000, v66
	s_delay_alu instid0(VALU_DEP_1) | instskip(SKIP_1) | instid1(SALU_CYCLE_1)
	v_cmp_ne_u32_e32 vcc_lo, 0x7f800000, v2
                                        ; implicit-def: $vgpr2
	s_and_saveexec_b32 s3, vcc_lo
	s_xor_b32 s3, exec_lo, s3
; %bb.83:
	v_bfe_u32 v2, v66, 16, 1
	s_delay_alu instid0(VALU_DEP_1)
	v_add3_u32 v2, v66, v2, 0x7fff
; %bb.84:
	s_and_not1_saveexec_b32 s3, s3
; %bb.85:
	v_and_b32_e32 v2, 0xffff, v66
	v_or_b32_e32 v3, 0x10000, v66
	s_delay_alu instid0(VALU_DEP_2) | instskip(NEXT) | instid1(VALU_DEP_2)
	v_cmp_eq_u32_e32 vcc_lo, 0, v2
	v_cndmask_b32_e32 v2, v3, v66, vcc_lo
; %bb.86:
	s_or_b32 exec_lo, exec_lo, s3
	v_and_b32_e32 v3, 0x7f800000, v67
	s_delay_alu instid0(VALU_DEP_1) | instskip(SKIP_1) | instid1(SALU_CYCLE_1)
	v_cmp_ne_u32_e32 vcc_lo, 0x7f800000, v3
                                        ; implicit-def: $vgpr3
	s_and_saveexec_b32 s3, vcc_lo
	s_xor_b32 s3, exec_lo, s3
; %bb.87:
	v_bfe_u32 v3, v67, 16, 1
	s_delay_alu instid0(VALU_DEP_1)
	v_add3_u32 v3, v67, v3, 0x7fff
; %bb.88:
	s_and_not1_saveexec_b32 s3, s3
; %bb.89:
	v_and_b32_e32 v3, 0xffff, v67
	v_or_b32_e32 v4, 0x10000, v67
	s_delay_alu instid0(VALU_DEP_2) | instskip(NEXT) | instid1(VALU_DEP_2)
	v_cmp_eq_u32_e32 vcc_lo, 0, v3
	v_cndmask_b32_e32 v3, v4, v67, vcc_lo
; %bb.90:
	s_or_b32 exec_lo, exec_lo, s3
	v_and_b32_e32 v4, 0x7f800000, v68
	s_delay_alu instid0(VALU_DEP_1) | instskip(SKIP_1) | instid1(SALU_CYCLE_1)
	v_cmp_ne_u32_e32 vcc_lo, 0x7f800000, v4
                                        ; implicit-def: $vgpr4
	s_and_saveexec_b32 s3, vcc_lo
	s_xor_b32 s3, exec_lo, s3
; %bb.91:
	v_bfe_u32 v4, v68, 16, 1
	s_delay_alu instid0(VALU_DEP_1)
	v_add3_u32 v4, v68, v4, 0x7fff
; %bb.92:
	s_and_not1_saveexec_b32 s3, s3
; %bb.93:
	v_and_b32_e32 v4, 0xffff, v68
	v_or_b32_e32 v5, 0x10000, v68
	s_delay_alu instid0(VALU_DEP_2) | instskip(NEXT) | instid1(VALU_DEP_2)
	v_cmp_eq_u32_e32 vcc_lo, 0, v4
	v_cndmask_b32_e32 v4, v5, v68, vcc_lo
; %bb.94:
	s_or_b32 exec_lo, exec_lo, s3
	v_and_b32_e32 v5, 0x7f800000, v69
	s_delay_alu instid0(VALU_DEP_1) | instskip(SKIP_1) | instid1(SALU_CYCLE_1)
	v_cmp_ne_u32_e32 vcc_lo, 0x7f800000, v5
                                        ; implicit-def: $vgpr5
	s_and_saveexec_b32 s3, vcc_lo
	s_xor_b32 s3, exec_lo, s3
; %bb.95:
	v_bfe_u32 v5, v69, 16, 1
	s_delay_alu instid0(VALU_DEP_1)
	v_add3_u32 v5, v69, v5, 0x7fff
; %bb.96:
	s_and_not1_saveexec_b32 s3, s3
; %bb.97:
	v_and_b32_e32 v5, 0xffff, v69
	v_or_b32_e32 v6, 0x10000, v69
	s_delay_alu instid0(VALU_DEP_2) | instskip(NEXT) | instid1(VALU_DEP_2)
	v_cmp_eq_u32_e32 vcc_lo, 0, v5
	v_cndmask_b32_e32 v5, v6, v69, vcc_lo
; %bb.98:
	s_or_b32 exec_lo, exec_lo, s3
	v_and_b32_e32 v6, 0x7f800000, v70
	s_delay_alu instid0(VALU_DEP_1) | instskip(SKIP_1) | instid1(SALU_CYCLE_1)
	v_cmp_ne_u32_e32 vcc_lo, 0x7f800000, v6
                                        ; implicit-def: $vgpr6
	s_and_saveexec_b32 s3, vcc_lo
	s_xor_b32 s3, exec_lo, s3
; %bb.99:
	v_bfe_u32 v6, v70, 16, 1
	s_delay_alu instid0(VALU_DEP_1)
	v_add3_u32 v6, v70, v6, 0x7fff
; %bb.100:
	s_and_not1_saveexec_b32 s3, s3
; %bb.101:
	v_and_b32_e32 v6, 0xffff, v70
	v_or_b32_e32 v7, 0x10000, v70
	s_delay_alu instid0(VALU_DEP_2) | instskip(NEXT) | instid1(VALU_DEP_2)
	v_cmp_eq_u32_e32 vcc_lo, 0, v6
	v_cndmask_b32_e32 v6, v7, v70, vcc_lo
; %bb.102:
	s_or_b32 exec_lo, exec_lo, s3
	v_and_b32_e32 v7, 0x7f800000, v71
	s_delay_alu instid0(VALU_DEP_1) | instskip(SKIP_1) | instid1(SALU_CYCLE_1)
	v_cmp_ne_u32_e32 vcc_lo, 0x7f800000, v7
                                        ; implicit-def: $vgpr7
	s_and_saveexec_b32 s3, vcc_lo
	s_xor_b32 s3, exec_lo, s3
; %bb.103:
	v_bfe_u32 v7, v71, 16, 1
	s_delay_alu instid0(VALU_DEP_1)
	v_add3_u32 v7, v71, v7, 0x7fff
; %bb.104:
	s_and_not1_saveexec_b32 s3, s3
; %bb.105:
	v_and_b32_e32 v7, 0xffff, v71
	v_or_b32_e32 v8, 0x10000, v71
	s_delay_alu instid0(VALU_DEP_2) | instskip(NEXT) | instid1(VALU_DEP_2)
	v_cmp_eq_u32_e32 vcc_lo, 0, v7
	v_cndmask_b32_e32 v7, v8, v71, vcc_lo
; %bb.106:
	s_or_b32 exec_lo, exec_lo, s3
	v_and_b32_e32 v8, 0x7f800000, v72
	s_delay_alu instid0(VALU_DEP_1) | instskip(SKIP_1) | instid1(SALU_CYCLE_1)
	v_cmp_ne_u32_e32 vcc_lo, 0x7f800000, v8
                                        ; implicit-def: $vgpr8
	s_and_saveexec_b32 s3, vcc_lo
	s_xor_b32 s3, exec_lo, s3
; %bb.107:
	v_bfe_u32 v8, v72, 16, 1
	s_delay_alu instid0(VALU_DEP_1)
	v_add3_u32 v8, v72, v8, 0x7fff
                                        ; implicit-def: $vgpr65_vgpr66_vgpr67_vgpr68_vgpr69_vgpr70_vgpr71_vgpr72
; %bb.108:
	s_and_not1_saveexec_b32 s3, s3
; %bb.109:
	v_and_b32_e32 v8, 0xffff, v72
	v_or_b32_e32 v9, 0x10000, v72
	s_delay_alu instid0(VALU_DEP_2) | instskip(NEXT) | instid1(VALU_DEP_2)
	v_cmp_eq_u32_e32 vcc_lo, 0, v8
	v_cndmask_b32_e32 v8, v9, v72, vcc_lo
; %bb.110:
	s_or_b32 exec_lo, exec_lo, s3
	s_delay_alu instid0(VALU_DEP_1)
	v_perm_b32 v7, v8, v7, 0x7060302
	v_perm_b32 v6, v6, v5, 0x7060302
	;; [unrolled: 1-line block ×4, first 2 shown]
	s_barrier
	buffer_gl0_inv
	v_cmp_eq_u32_e32 vcc_lo, 1, v78
	ds_store_b128 v76, v[4:7]
	s_waitcnt lgkmcnt(0)
	s_barrier
	buffer_gl0_inv
	ds_load_b128 v[1:4], v82
	ds_load_b128 v[5:8], v82 offset:16
	v_cmp_eq_u32_e64 s3, 1, v79
	v_cmp_eq_u32_e64 s4, 2, v78
	;; [unrolled: 1-line block ×5, first 2 shown]
	s_waitcnt lgkmcnt(1)
	v_lshrrev_b32_e32 v9, 16, v1
	s_waitcnt lgkmcnt(0)
	v_lshrrev_b32_e32 v13, 16, v5
	v_lshrrev_b32_e32 v10, 16, v2
	;; [unrolled: 1-line block ×4, first 2 shown]
	v_cndmask_b32_e64 v19, v1, v9, s3
	v_cndmask_b32_e32 v18, v5, v13, vcc_lo
	v_cndmask_b32_e64 v20, v5, v13, s3
	v_cndmask_b32_e32 v17, v1, v9, vcc_lo
	v_cmp_eq_u32_e32 vcc_lo, 2, v79
	v_lshrrev_b32_e32 v15, 16, v7
	v_cmp_eq_u32_e64 s3, 1, v77
	v_lshrrev_b32_e32 v12, 16, v4
	v_lshrrev_b32_e32 v16, 16, v8
	v_cndmask_b32_e32 v20, v20, v6, vcc_lo
	v_cndmask_b32_e64 v17, v17, v2, s4
	v_cndmask_b32_e32 v19, v19, v2, vcc_lo
	v_cndmask_b32_e64 v18, v18, v6, s4
	v_cmp_eq_u32_e32 vcc_lo, 4, v78
	v_cmp_eq_u32_e64 s4, 3, v79
	v_cndmask_b32_e64 v17, v17, v10, s5
	v_cndmask_b32_e64 v21, v1, v9, s3
	;; [unrolled: 1-line block ×5, first 2 shown]
	v_cndmask_b32_e32 v17, v17, v3, vcc_lo
	v_cndmask_b32_e64 v20, v20, v14, s4
	v_cndmask_b32_e32 v18, v18, v7, vcc_lo
	v_cmp_eq_u32_e32 vcc_lo, 4, v79
	v_cmp_eq_u32_e64 s4, 5, v79
	v_cmp_eq_u32_e64 s3, 2, v81
	v_cndmask_b32_e64 v21, v21, v2, s7
	v_cmp_eq_u32_e64 s5, 5, v78
	v_cndmask_b32_e32 v19, v19, v3, vcc_lo
	v_cndmask_b32_e32 v20, v20, v7, vcc_lo
	v_cmp_eq_u32_e32 vcc_lo, 6, v79
	s_delay_alu instid0(VALU_DEP_4) | instskip(NEXT) | instid1(VALU_DEP_4)
	v_cndmask_b32_e64 v17, v17, v11, s5
	v_cndmask_b32_e64 v19, v19, v11, s4
	s_delay_alu instid0(VALU_DEP_4) | instskip(SKIP_1) | instid1(VALU_DEP_3)
	v_cndmask_b32_e64 v20, v20, v15, s4
	v_cmp_eq_u32_e64 s4, 1, v81
	v_cndmask_b32_e32 v19, v19, v4, vcc_lo
	v_cndmask_b32_e64 v18, v18, v15, s5
	s_delay_alu instid0(VALU_DEP_3)
	v_cndmask_b32_e64 v1, v1, v9, s4
	v_cndmask_b32_e64 v5, v5, v13, s4
	v_cmp_eq_u32_e64 s4, 3, v77
	v_cndmask_b32_e64 v13, v22, v6, s7
	v_cmp_eq_u32_e64 s7, 3, v81
	v_cndmask_b32_e64 v1, v1, v2, s3
	v_cndmask_b32_e64 v2, v5, v6, s3
	;; [unrolled: 1-line block ×3, first 2 shown]
	v_cmp_eq_u32_e64 s3, 4, v77
	v_cndmask_b32_e64 v6, v13, v14, s4
	v_cndmask_b32_e64 v1, v1, v10, s7
	v_cmp_eq_u32_e64 s4, 4, v81
	v_cndmask_b32_e64 v2, v2, v14, s7
	v_cndmask_b32_e64 v5, v9, v3, s3
	;; [unrolled: 3-line block ×3, first 2 shown]
	v_cndmask_b32_e64 v2, v2, v7, s4
	v_cmp_eq_u32_e64 s3, 5, v81
	v_cmp_eq_u32_e64 s5, 6, v78
	v_cndmask_b32_e64 v5, v5, v11, s7
	v_cmp_eq_u32_e64 s4, 6, v77
	v_cndmask_b32_e64 v3, v6, v15, s7
	v_cndmask_b32_e64 v1, v1, v11, s3
	v_cmp_eq_u32_e64 s7, 6, v81
	v_cndmask_b32_e64 v2, v2, v15, s3
	v_cndmask_b32_e64 v17, v17, v4, s5
	v_cndmask_b32_e64 v18, v18, v8, s5
	v_cmp_eq_u32_e64 s5, 7, v78
	v_cndmask_b32_e64 v5, v5, v4, s4
	;; [unrolled: 4-line block ×3, first 2 shown]
	v_cmp_eq_u32_e64 s4, 7, v77
	v_cndmask_b32_e32 v4, v20, v8, vcc_lo
	v_cndmask_b32_e64 v17, v17, v12, s5
	v_cndmask_b32_e64 v19, v19, v12, s6
	;; [unrolled: 1-line block ×8, first 2 shown]
	s_mov_b32 s3, exec_lo
	v_perm_b32 v4, v2, v1, 0x5040100
	v_perm_b32 v3, v3, v5, 0x5040100
	;; [unrolled: 1-line block ×4, first 2 shown]
	ds_store_b128 v76, v[1:4]
	s_waitcnt lgkmcnt(0)
	s_barrier
	buffer_gl0_inv
	v_cmpx_gt_u32_e32 32, v0
	s_cbranch_execz .LBB1564_2
; %bb.111:
	s_load_b64 s[4:5], s[0:1], 0x68
	v_lshlrev_b32_e32 v0, 10, v0
	v_lshlrev_b32_e32 v2, 4, v75
	v_add_nc_u32_e32 v1, s31, v74
	s_lshl_b32 s0, s34, 7
	s_delay_alu instid0(SALU_CYCLE_1) | instskip(NEXT) | instid1(VALU_DEP_2)
	s_mul_i32 s1, s0, s30
	v_and_or_b32 v0, 0x3800, v0, v2
	s_mul_i32 s6, s1, s8
	v_mul_lo_u32 v1, v1, s0
	s_ashr_i32 s7, s6, 31
	s_delay_alu instid0(VALU_DEP_2) | instskip(SKIP_1) | instid1(VALU_DEP_2)
	v_lshl_or_b32 v3, v74, 6, v0
	s_lshl_b64 s[6:7], s[6:7], 1
	v_ashrrev_i32_e32 v2, 31, v1
	ds_load_b128 v[3:6], v3
	s_waitcnt lgkmcnt(0)
	s_add_u32 s1, s4, s6
	s_addc_u32 s3, s5, s7
	s_lshl_b32 s4, s14, 7
	v_lshlrev_b64 v[7:8], 1, v[1:2]
	s_ashr_i32 s5, s4, 31
	s_delay_alu instid0(SALU_CYCLE_1) | instskip(NEXT) | instid1(SALU_CYCLE_1)
	s_lshl_b64 s[4:5], s[4:5], 1
	s_add_u32 s1, s1, s4
	s_addc_u32 s3, s3, s5
	v_add_co_u32 v1, s1, s1, v73
	s_delay_alu instid0(VALU_DEP_1) | instskip(NEXT) | instid1(VALU_DEP_2)
	v_add_co_ci_u32_e64 v2, null, s3, 0, s1
	v_add_co_u32 v7, vcc_lo, v1, v7
	s_delay_alu instid0(VALU_DEP_2)
	v_add_co_ci_u32_e32 v8, vcc_lo, v2, v8, vcc_lo
	global_store_b128 v[7:8], v[3:6], off
	s_and_b32 exec_lo, exec_lo, s2
	s_cbranch_execz .LBB1564_2
; %bb.112:
	ds_load_b128 v[3:6], v0 offset:128
	s_add_i32 s1, s31, 2
	s_delay_alu instid0(SALU_CYCLE_1) | instskip(NEXT) | instid1(SALU_CYCLE_1)
	s_mul_i32 s0, s1, s0
	s_ashr_i32 s1, s0, 31
	s_delay_alu instid0(SALU_CYCLE_1) | instskip(NEXT) | instid1(SALU_CYCLE_1)
	s_lshl_b64 s[0:1], s[0:1], 1
	v_add_co_u32 v0, vcc_lo, v1, s0
	v_add_co_ci_u32_e32 v1, vcc_lo, s1, v2, vcc_lo
	s_waitcnt lgkmcnt(0)
	global_store_b128 v[0:1], v[3:6], off
	s_nop 0
	s_sendmsg sendmsg(MSG_DEALLOC_VGPRS)
	s_endpgm
	.section	.rodata,"a",@progbits
	.p2align	6, 0x0
	.amdhsa_kernel _Z39paged_attention_ll4mi_QKV_mfma16_kernelI14__hip_bfloat16hLN4vllm18Fp8KVCacheDataTypeE1ES0_Li16ELi128ELi256ELb1ELi3EL8MFMAType1EEvPKT_PKT0_S9_ifPKiSB_SB_iPKfiiiPfSE_PS4_PT2_iSD_SD_
		.amdhsa_group_segment_fixed_size 17472
		.amdhsa_private_segment_fixed_size 0
		.amdhsa_kernarg_size 400
		.amdhsa_user_sgpr_count 13
		.amdhsa_user_sgpr_dispatch_ptr 0
		.amdhsa_user_sgpr_queue_ptr 0
		.amdhsa_user_sgpr_kernarg_segment_ptr 1
		.amdhsa_user_sgpr_dispatch_id 0
		.amdhsa_user_sgpr_private_segment_size 0
		.amdhsa_wavefront_size32 1
		.amdhsa_uses_dynamic_stack 0
		.amdhsa_enable_private_segment 0
		.amdhsa_system_sgpr_workgroup_id_x 1
		.amdhsa_system_sgpr_workgroup_id_y 1
		.amdhsa_system_sgpr_workgroup_id_z 1
		.amdhsa_system_sgpr_workgroup_info 0
		.amdhsa_system_vgpr_workitem_id 0
		.amdhsa_next_free_vgpr 140
		.amdhsa_next_free_sgpr 36
		.amdhsa_reserve_vcc 1
		.amdhsa_float_round_mode_32 0
		.amdhsa_float_round_mode_16_64 0
		.amdhsa_float_denorm_mode_32 3
		.amdhsa_float_denorm_mode_16_64 3
		.amdhsa_dx10_clamp 1
		.amdhsa_ieee_mode 1
		.amdhsa_fp16_overflow 0
		.amdhsa_workgroup_processor_mode 1
		.amdhsa_memory_ordered 1
		.amdhsa_forward_progress 0
		.amdhsa_shared_vgpr_count 0
		.amdhsa_exception_fp_ieee_invalid_op 0
		.amdhsa_exception_fp_denorm_src 0
		.amdhsa_exception_fp_ieee_div_zero 0
		.amdhsa_exception_fp_ieee_overflow 0
		.amdhsa_exception_fp_ieee_underflow 0
		.amdhsa_exception_fp_ieee_inexact 0
		.amdhsa_exception_int_div_zero 0
	.end_amdhsa_kernel
	.section	.text._Z39paged_attention_ll4mi_QKV_mfma16_kernelI14__hip_bfloat16hLN4vllm18Fp8KVCacheDataTypeE1ES0_Li16ELi128ELi256ELb1ELi3EL8MFMAType1EEvPKT_PKT0_S9_ifPKiSB_SB_iPKfiiiPfSE_PS4_PT2_iSD_SD_,"axG",@progbits,_Z39paged_attention_ll4mi_QKV_mfma16_kernelI14__hip_bfloat16hLN4vllm18Fp8KVCacheDataTypeE1ES0_Li16ELi128ELi256ELb1ELi3EL8MFMAType1EEvPKT_PKT0_S9_ifPKiSB_SB_iPKfiiiPfSE_PS4_PT2_iSD_SD_,comdat
.Lfunc_end1564:
	.size	_Z39paged_attention_ll4mi_QKV_mfma16_kernelI14__hip_bfloat16hLN4vllm18Fp8KVCacheDataTypeE1ES0_Li16ELi128ELi256ELb1ELi3EL8MFMAType1EEvPKT_PKT0_S9_ifPKiSB_SB_iPKfiiiPfSE_PS4_PT2_iSD_SD_, .Lfunc_end1564-_Z39paged_attention_ll4mi_QKV_mfma16_kernelI14__hip_bfloat16hLN4vllm18Fp8KVCacheDataTypeE1ES0_Li16ELi128ELi256ELb1ELi3EL8MFMAType1EEvPKT_PKT0_S9_ifPKiSB_SB_iPKfiiiPfSE_PS4_PT2_iSD_SD_
                                        ; -- End function
	.section	.AMDGPU.csdata,"",@progbits
; Kernel info:
; codeLenInByte = 8848
; NumSgprs: 38
; NumVgprs: 140
; ScratchSize: 0
; MemoryBound: 0
; FloatMode: 240
; IeeeMode: 1
; LDSByteSize: 17472 bytes/workgroup (compile time only)
; SGPRBlocks: 4
; VGPRBlocks: 17
; NumSGPRsForWavesPerEU: 38
; NumVGPRsForWavesPerEU: 140
; Occupancy: 10
; WaveLimiterHint : 1
; COMPUTE_PGM_RSRC2:SCRATCH_EN: 0
; COMPUTE_PGM_RSRC2:USER_SGPR: 13
; COMPUTE_PGM_RSRC2:TRAP_HANDLER: 0
; COMPUTE_PGM_RSRC2:TGID_X_EN: 1
; COMPUTE_PGM_RSRC2:TGID_Y_EN: 1
; COMPUTE_PGM_RSRC2:TGID_Z_EN: 1
; COMPUTE_PGM_RSRC2:TIDIG_COMP_CNT: 0
	.section	.text._Z39paged_attention_ll4mi_QKV_mfma16_kernelI14__hip_bfloat16hLN4vllm18Fp8KVCacheDataTypeE1ES0_Li16ELi128ELi256ELb1ELi4EL8MFMAType1EEvPKT_PKT0_S9_ifPKiSB_SB_iPKfiiiPfSE_PS4_PT2_iSD_SD_,"axG",@progbits,_Z39paged_attention_ll4mi_QKV_mfma16_kernelI14__hip_bfloat16hLN4vllm18Fp8KVCacheDataTypeE1ES0_Li16ELi128ELi256ELb1ELi4EL8MFMAType1EEvPKT_PKT0_S9_ifPKiSB_SB_iPKfiiiPfSE_PS4_PT2_iSD_SD_,comdat
	.protected	_Z39paged_attention_ll4mi_QKV_mfma16_kernelI14__hip_bfloat16hLN4vllm18Fp8KVCacheDataTypeE1ES0_Li16ELi128ELi256ELb1ELi4EL8MFMAType1EEvPKT_PKT0_S9_ifPKiSB_SB_iPKfiiiPfSE_PS4_PT2_iSD_SD_ ; -- Begin function _Z39paged_attention_ll4mi_QKV_mfma16_kernelI14__hip_bfloat16hLN4vllm18Fp8KVCacheDataTypeE1ES0_Li16ELi128ELi256ELb1ELi4EL8MFMAType1EEvPKT_PKT0_S9_ifPKiSB_SB_iPKfiiiPfSE_PS4_PT2_iSD_SD_
	.globl	_Z39paged_attention_ll4mi_QKV_mfma16_kernelI14__hip_bfloat16hLN4vllm18Fp8KVCacheDataTypeE1ES0_Li16ELi128ELi256ELb1ELi4EL8MFMAType1EEvPKT_PKT0_S9_ifPKiSB_SB_iPKfiiiPfSE_PS4_PT2_iSD_SD_
	.p2align	8
	.type	_Z39paged_attention_ll4mi_QKV_mfma16_kernelI14__hip_bfloat16hLN4vllm18Fp8KVCacheDataTypeE1ES0_Li16ELi128ELi256ELb1ELi4EL8MFMAType1EEvPKT_PKT0_S9_ifPKiSB_SB_iPKfiiiPfSE_PS4_PT2_iSD_SD_,@function
_Z39paged_attention_ll4mi_QKV_mfma16_kernelI14__hip_bfloat16hLN4vllm18Fp8KVCacheDataTypeE1ES0_Li16ELi128ELi256ELb1ELi4EL8MFMAType1EEvPKT_PKT0_S9_ifPKiSB_SB_iPKfiiiPfSE_PS4_PT2_iSD_SD_: ; @_Z39paged_attention_ll4mi_QKV_mfma16_kernelI14__hip_bfloat16hLN4vllm18Fp8KVCacheDataTypeE1ES0_Li16ELi128ELi256ELb1ELi4EL8MFMAType1EEvPKT_PKT0_S9_ifPKiSB_SB_iPKfiiiPfSE_PS4_PT2_iSD_SD_
; %bb.0:
	s_load_b64 s[4:5], s[0:1], 0x30
	s_mov_b32 s30, s13
	s_waitcnt lgkmcnt(0)
	s_cmp_lg_u64 s[4:5], 0
	s_cselect_b32 s13, -1, 0
	s_ashr_i32 s31, s30, 31
	s_cmp_eq_u64 s[4:5], 0
	s_cbranch_scc1 .LBB1565_3
; %bb.1:
	s_lshl_b64 s[2:3], s[30:31], 2
	s_delay_alu instid0(SALU_CYCLE_1) | instskip(SKIP_4) | instid1(SALU_CYCLE_1)
	s_add_u32 s2, s4, s2
	s_addc_u32 s3, s5, s3
	s_load_b64 s[2:3], s[2:3], 0x0
	s_waitcnt lgkmcnt(0)
	s_sub_i32 s2, s3, s2
	s_cmp_eq_u32 s2, 1
	s_cselect_b32 s2, -1, 0
	s_delay_alu instid0(SALU_CYCLE_1)
	s_and_not1_b32 vcc_lo, exec_lo, s2
	s_cbranch_vccz .LBB1565_4
.LBB1565_2:
	s_endpgm
.LBB1565_3:
.LBB1565_4:
	s_load_b64 s[2:3], s[0:1], 0x28
	s_lshl_b64 s[6:7], s[30:31], 2
	s_waitcnt lgkmcnt(0)
	s_add_u32 s2, s2, s6
	s_addc_u32 s3, s3, s7
	s_lshl_b32 s12, s14, 8
	s_load_b32 s17, s[2:3], 0x0
	s_waitcnt lgkmcnt(0)
	s_cmp_ge_i32 s12, s17
	s_cbranch_scc1 .LBB1565_2
; %bb.5:
	s_clause 0x1
	s_load_b128 s[8:11], s[0:1], 0x8
	s_load_b64 s[2:3], s[0:1], 0x20
	s_and_not1_b32 vcc_lo, exec_lo, s13
	s_cbranch_vccnz .LBB1565_7
; %bb.6:
	s_add_u32 s4, s4, s6
	s_addc_u32 s5, s5, s7
	s_load_b32 s13, s[4:5], 0x0
	s_branch .LBB1565_8
.LBB1565_7:
	s_mov_b32 s13, s30
.LBB1565_8:
	s_load_b128 s[4:7], s[0:1], 0x48
	v_and_b32_e32 v66, 15, v0
	v_lshrrev_b32_e32 v65, 5, v0
	v_and_b32_e32 v67, 31, v0
	v_and_b32_e32 v75, 1, v0
	v_bfe_u32 v74, v0, 4, 1
	v_lshlrev_b32_e32 v1, 3, v66
	s_lshl_b32 s29, s15, 2
	s_waitcnt lgkmcnt(0)
	s_mov_b32 s7, exec_lo
	s_delay_alu instid0(VALU_DEP_1)
	v_lshlrev_b32_e32 v73, 1, v1
	v_cmpx_gt_u32_e32 64, v0
	s_cbranch_execz .LBB1565_10
; %bb.9:
	v_lshl_or_b32 v5, v65, 1, v74
	s_load_b64 s[18:19], s[0:1], 0x0
	s_mul_hi_i32 s21, s13, s4
	s_mul_i32 s20, s13, s4
	v_lshlrev_b32_e32 v6, 10, v66
	v_or_b32_e32 v1, s29, v5
	s_lshl_b64 s[20:21], s[20:21], 1
	v_lshlrev_b32_e32 v5, 6, v5
	v_lshlrev_b32_e32 v7, 10, v75
	v_and_b32_e32 v6, 0x3800, v6
	v_lshlrev_b32_e32 v1, 7, v1
	s_delay_alu instid0(VALU_DEP_2) | instskip(NEXT) | instid1(VALU_DEP_2)
	v_or3_b32 v5, v6, v7, v5
	v_ashrrev_i32_e32 v2, 31, v1
	s_delay_alu instid0(VALU_DEP_1) | instskip(SKIP_3) | instid1(VALU_DEP_1)
	v_lshlrev_b64 v[1:2], 1, v[1:2]
	s_waitcnt lgkmcnt(0)
	s_add_u32 s4, s18, s20
	s_addc_u32 s13, s19, s21
	v_add_co_u32 v1, vcc_lo, s4, v1
	s_delay_alu instid0(VALU_DEP_2) | instskip(NEXT) | instid1(VALU_DEP_2)
	v_add_co_ci_u32_e32 v2, vcc_lo, s13, v2, vcc_lo
	v_add_co_u32 v1, vcc_lo, v1, v73
	s_delay_alu instid0(VALU_DEP_2)
	v_add_co_ci_u32_e32 v2, vcc_lo, 0, v2, vcc_lo
	global_load_b128 v[1:4], v[1:2], off
	s_waitcnt vmcnt(0)
	ds_store_b128 v5, v[1:4]
.LBB1565_10:
	s_or_b32 exec_lo, exec_lo, s7
	v_and_b32_e32 v1, 0xef, v0
	s_add_i32 s4, s17, 15
	s_clause 0x1
	s_load_b32 s7, s[0:1], 0x38
	s_load_b32 s18, s[0:1], 0x1c
	s_ashr_i32 s13, s4, 31
	v_add_nc_u32_e32 v1, s12, v1
	s_lshr_b32 s13, s13, 28
	s_waitcnt lgkmcnt(0)
	s_add_i32 s4, s4, s13
	s_barrier
	v_ashrrev_i32_e32 v2, 31, v1
	v_or_b32_e32 v3, 16, v1
	s_ashr_i32 s4, s4, 4
	v_cmp_gt_i32_e32 vcc_lo, s17, v1
	s_add_i32 s4, s4, -1
	v_lshrrev_b32_e32 v2, 28, v2
	buffer_gl0_inv
	s_mul_i32 s15, s15, s6
	v_add_nc_u32_e32 v4, v1, v2
	s_mul_i32 s20, s30, s7
	s_delay_alu instid0(SALU_CYCLE_1) | instskip(NEXT) | instid1(VALU_DEP_1)
	s_ashr_i32 s21, s20, 31
	v_ashrrev_i32_e32 v4, 4, v4
	v_add_nc_u32_e32 v2, v3, v2
	s_lshl_b64 s[20:21], s[20:21], 2
	s_delay_alu instid0(SALU_CYCLE_1) | instskip(NEXT) | instid1(VALU_DEP_2)
	s_add_u32 s13, s2, s20
	v_cndmask_b32_e32 v1, s4, v4, vcc_lo
	s_delay_alu instid0(VALU_DEP_2)
	v_ashrrev_i32_e32 v2, 4, v2
	v_cmp_gt_i32_e32 vcc_lo, s17, v3
	s_addc_u32 s16, s3, s21
	s_ashr_i32 s19, s15, 31
	s_add_u32 s26, s8, s15
	s_addc_u32 s27, s9, s19
	v_cndmask_b32_e32 v3, s4, v2, vcc_lo
	v_ashrrev_i32_e32 v2, 31, v1
	s_lshl_b32 s2, s14, 4
	s_delay_alu instid0(SALU_CYCLE_1) | instskip(NEXT) | instid1(VALU_DEP_2)
	s_ashr_i32 s3, s2, 31
	v_ashrrev_i32_e32 v4, 31, v3
	s_delay_alu instid0(VALU_DEP_2) | instskip(SKIP_1) | instid1(SALU_CYCLE_1)
	v_lshlrev_b64 v[1:2], 2, v[1:2]
	s_lshl_b64 s[2:3], s[2:3], 2
	s_add_u32 s2, s13, s2
	s_delay_alu instid0(VALU_DEP_2) | instskip(SKIP_1) | instid1(VALU_DEP_2)
	v_lshlrev_b64 v[3:4], 2, v[3:4]
	s_addc_u32 s3, s16, s3
	v_add_co_u32 v1, vcc_lo, s13, v1
	v_add_co_ci_u32_e32 v2, vcc_lo, s16, v2, vcc_lo
	s_delay_alu instid0(VALU_DEP_3) | instskip(NEXT) | instid1(VALU_DEP_4)
	v_add_co_u32 v3, vcc_lo, s13, v3
	v_add_co_ci_u32_e32 v4, vcc_lo, s16, v4, vcc_lo
	s_clause 0x1
	global_load_b32 v5, v[1:2], off
	global_load_b32 v3, v[3:4], off
	s_or_b32 s6, s12, 32
	s_delay_alu instid0(SALU_CYCLE_1) | instskip(SKIP_2) | instid1(SALU_CYCLE_1)
	s_ashr_i32 s7, s6, 4
	s_cmp_lt_i32 s6, s17
	s_cselect_b32 s6, s7, s4
	s_ashr_i32 s7, s6, 31
	s_delay_alu instid0(SALU_CYCLE_1) | instskip(NEXT) | instid1(SALU_CYCLE_1)
	s_lshl_b64 s[6:7], s[6:7], 2
	s_add_u32 s6, s13, s6
	s_addc_u32 s7, s16, s7
	s_or_b32 s8, s12, 64
	s_delay_alu instid0(SALU_CYCLE_1) | instskip(SKIP_2) | instid1(SALU_CYCLE_1)
	s_ashr_i32 s9, s8, 4
	s_cmp_lt_i32 s8, s17
	s_cselect_b32 s8, s9, s4
	s_ashr_i32 s9, s8, 31
	s_delay_alu instid0(SALU_CYCLE_1) | instskip(NEXT) | instid1(SALU_CYCLE_1)
	s_lshl_b64 s[8:9], s[8:9], 2
	s_add_u32 s8, s13, s8
	s_addc_u32 s9, s16, s9
	;; [unrolled: 10-line block ×5, first 2 shown]
	s_clause 0x5
	s_load_b32 s28, s[2:3], 0x0
	s_load_b32 s31, s[6:7], 0x0
	;; [unrolled: 1-line block ×6, first 2 shown]
	s_mov_b32 s20, 0
	s_or_b32 s2, s12, 0xc0
	s_mov_b32 s21, s20
	s_mov_b32 s22, s20
	;; [unrolled: 1-line block ×5, first 2 shown]
	v_lshlrev_b32_e32 v1, 4, v0
	s_ashr_i32 s3, s2, 4
	s_cmp_lt_i32 s2, s17
	s_cselect_b32 s2, s3, s4
	s_delay_alu instid0(VALU_DEP_1) | instskip(SKIP_1) | instid1(SALU_CYCLE_1)
	v_and_b32_e32 v1, 0xf0, v1
	s_ashr_i32 s3, s2, 31
	s_lshl_b64 s[2:3], s[2:3], 2
	s_delay_alu instid0(VALU_DEP_1) | instskip(NEXT) | instid1(VALU_DEP_1)
	v_add_co_u32 v1, s26, s26, v1
	v_add_co_ci_u32_e64 v2, null, s27, 0, s26
	s_add_u32 s2, s13, s2
	s_addc_u32 s3, s16, s3
	s_or_b32 s6, s12, 0xe0
	s_mov_b32 s26, s20
	s_ashr_i32 s7, s6, 4
	s_cmp_lt_i32 s6, s17
	s_mov_b32 s27, s20
	s_cselect_b32 s6, s7, s4
	v_dual_mov_b32 v107, s27 :: v_dual_mov_b32 v100, s20
	s_ashr_i32 s7, s6, 31
	v_mov_b32_e32 v106, s26
	s_lshl_b64 s[6:7], s[6:7], 2
	v_dual_mov_b32 v104, s24 :: v_dual_mov_b32 v103, s23
	v_dual_mov_b32 v102, s22 :: v_dual_mov_b32 v101, s21
	v_mov_b32_e32 v105, s25
	s_waitcnt vmcnt(1)
	v_mad_i64_i32 v[33:34], null, v5, s5, v[1:2]
	s_waitcnt vmcnt(0)
	v_mad_i64_i32 v[35:36], null, v3, s5, v[1:2]
	s_clause 0xf
	global_load_b128 v[1:4], v[33:34], off
	global_load_b128 v[5:8], v[33:34], off offset:256
	global_load_b128 v[9:12], v[35:36], off
	global_load_b128 v[13:16], v[35:36], off offset:256
	global_load_b128 v[17:20], v[33:34], off offset:512
	;; [unrolled: 1-line block ×13, first 2 shown]
	v_and_b32_e32 v33, 3, v0
	v_lshlrev_b32_e32 v34, 4, v66
	s_delay_alu instid0(VALU_DEP_2) | instskip(NEXT) | instid1(VALU_DEP_2)
	v_lshlrev_b32_e32 v72, 6, v33
	v_lshl_or_b32 v41, v65, 8, v34
	ds_load_b128 v[33:36], v72
	ds_load_b128 v[37:40], v72 offset:1024
	ds_load_b128 v[108:111], v72 offset:2048
	;; [unrolled: 1-line block ×3, first 2 shown]
	s_load_b32 s4, s[2:3], 0x0
	s_add_u32 s2, s13, s6
	s_addc_u32 s3, s16, s7
	ds_load_b128 v[116:119], v72 offset:4096
	ds_load_b128 v[120:123], v72 offset:5120
	s_load_b32 s2, s[2:3], 0x0
	s_add_u32 s6, s10, s15
	s_addc_u32 s7, s11, s19
	v_add_co_u32 v68, s6, s6, v41
	s_delay_alu instid0(VALU_DEP_1) | instskip(SKIP_1) | instid1(VALU_DEP_1)
	v_add_co_ci_u32_e64 v69, null, s7, 0, s6
	s_waitcnt lgkmcnt(0)
	v_mad_i64_i32 v[41:42], null, s28, s5, v[68:69]
	v_mad_i64_i32 v[70:71], null, s8, s5, v[68:69]
	;; [unrolled: 1-line block ×7, first 2 shown]
	s_clause 0x3
	global_load_b128 v[49:52], v[41:42], off
	global_load_b128 v[53:56], v[41:42], off offset:16
	global_load_b128 v[41:44], v[45:46], off
	global_load_b128 v[45:48], v[45:46], off offset:16
	s_waitcnt vmcnt(18)
	v_wmma_f32_16x16x16_bf16 v[124:131], v[1:8], v[33:40], v[100:107]
	s_waitcnt vmcnt(16)
	v_wmma_f32_16x16x16_bf16 v[100:107], v[9:16], v[33:40], v[100:107]
	s_clause 0x1
	global_load_b128 v[33:36], v[70:71], off
	global_load_b128 v[37:40], v[70:71], off offset:16
	v_mad_i64_i32 v[70:71], null, s2, s5, v[68:69]
	s_waitcnt vmcnt(16)
	v_wmma_f32_16x16x16_bf16 v[124:131], v[17:24], v[108:115], v[124:131]
	s_waitcnt vmcnt(14)
	v_wmma_f32_16x16x16_bf16 v[100:107], v[25:32], v[108:115], v[100:107]
	s_clause 0x7
	global_load_b128 v[25:28], v[132:133], off
	global_load_b128 v[29:32], v[132:133], off offset:16
	global_load_b128 v[1:4], v[134:135], off
	global_load_b128 v[5:8], v[134:135], off offset:16
	;; [unrolled: 2-line block ×4, first 2 shown]
	s_waitcnt vmcnt(20)
	v_wmma_f32_16x16x16_bf16 v[124:131], v[57:64], v[116:123], v[124:131]
	s_clause 0x1
	global_load_b128 v[57:60], v[70:71], off
	global_load_b128 v[61:64], v[70:71], off offset:16
	s_waitcnt vmcnt(20)
	v_wmma_f32_16x16x16_bf16 v[100:107], v[76:83], v[116:123], v[100:107]
	ds_load_b128 v[76:79], v72 offset:6144
	ds_load_b128 v[80:83], v72 offset:7168
	v_and_b32_e32 v68, 0xe0, v0
	v_mbcnt_lo_u32_b32 v69, -1, 0
	s_waitcnt vmcnt(0) lgkmcnt(0)
	s_barrier
	buffer_gl0_inv
	v_add_nc_u32_e32 v68, s12, v68
	v_xor_b32_e32 v70, 16, v69
	s_delay_alu instid0(VALU_DEP_2) | instskip(NEXT) | instid1(VALU_DEP_2)
	v_or_b32_e32 v68, v68, v74
	v_cmp_gt_i32_e32 vcc_lo, 32, v70
	s_delay_alu instid0(VALU_DEP_2)
	v_or_b32_e32 v71, 4, v68
	v_or_b32_e32 v72, 6, v68
	v_cmp_gt_i32_e64 s2, s17, v68
	v_or_b32_e32 v108, 8, v68
	v_wmma_f32_16x16x16_bf16 v[124:131], v[84:91], v[76:83], v[124:131]
	v_cndmask_b32_e32 v69, v69, v70, vcc_lo
	v_or_b32_e32 v70, 2, v68
	v_wmma_f32_16x16x16_bf16 v[100:107], v[92:99], v[76:83], v[100:107]
	v_or_b32_e32 v109, 10, v68
	v_dual_mul_f32 v80, s18, v129 :: v_dual_mul_f32 v81, s18, v128
	v_dual_mul_f32 v92, s18, v125 :: v_dual_mul_f32 v93, s18, v124
	s_delay_alu instid0(VALU_DEP_4)
	v_mul_f32_e32 v96, s18, v105
	v_cmp_gt_i32_e32 vcc_lo, s17, v70
	v_or_b32_e32 v89, 22, v68
	v_dual_mul_f32 v79, s18, v130 :: v_dual_mul_f32 v82, s18, v127
	v_dual_mul_f32 v83, s18, v126 :: v_dual_mul_f32 v94, s18, v107
	v_cndmask_b32_e64 v93, 0xff7fffff, v93, s2
	v_cndmask_b32_e32 v92, 0xff7fffff, v92, vcc_lo
	v_cmp_gt_i32_e64 s3, s17, v71
	v_cmp_gt_i32_e64 s4, s17, v72
	v_or_b32_e32 v84, 12, v68
	v_or_b32_e32 v85, 14, v68
	v_cmp_gt_i32_e64 s5, s17, v108
	v_cndmask_b32_e64 v71, 0xff7fffff, v83, s3
	v_cndmask_b32_e64 v72, 0xff7fffff, v82, s4
	v_cmp_gt_i32_e64 s6, s17, v109
	v_cmp_gt_i32_e64 s12, s17, v89
	v_lshlrev_b32_e32 v89, 2, v69
	v_max3_f32 v82, v93, 0xff7fffff, v92
	v_or_b32_e32 v86, 16, v68
	v_or_b32_e32 v87, 18, v68
	v_mul_f32_e32 v78, s18, v131
	v_cndmask_b32_e64 v81, 0xff7fffff, v81, s5
	v_cndmask_b32_e64 v80, 0xff7fffff, v80, s6
	v_max3_f32 v71, v82, v71, v72
	v_cmp_gt_i32_e64 s7, s17, v84
	v_cmp_gt_i32_e64 s8, s17, v85
	v_or_b32_e32 v88, 20, v68
	v_or_b32_e32 v90, 24, v68
	v_or_b32_e32 v91, 26, v68
	v_or_b32_e32 v76, 28, v68
	v_or_b32_e32 v77, 30, v68
	v_dual_mul_f32 v97, s18, v104 :: v_dual_mul_f32 v70, s18, v101
	v_dual_mul_f32 v99, s18, v102 :: v_dual_mul_f32 v68, s18, v100
	v_cndmask_b32_e64 v72, 0xff7fffff, v79, s7
	v_cndmask_b32_e64 v78, 0xff7fffff, v78, s8
	v_max3_f32 v71, v71, v81, v80
	v_cmp_gt_i32_e64 s9, s17, v86
	v_cmp_gt_i32_e64 s10, s17, v87
	v_dual_mul_f32 v95, s18, v106 :: v_dual_mul_f32 v98, s18, v103
	s_delay_alu instid0(VALU_DEP_4) | instskip(NEXT) | instid1(VALU_DEP_4)
	v_max3_f32 v71, v71, v72, v78
	v_cndmask_b32_e64 v68, 0xff7fffff, v68, s9
	s_delay_alu instid0(VALU_DEP_4)
	v_cndmask_b32_e64 v70, 0xff7fffff, v70, s10
	v_cmp_gt_i32_e64 s11, s17, v88
	v_cndmask_b32_e64 v78, 0xff7fffff, v98, s12
	v_cmp_gt_i32_e64 s13, s17, v90
	v_cmp_gt_i32_e64 s15, s17, v91
	v_max3_f32 v68, v71, v68, v70
	v_cndmask_b32_e64 v72, 0xff7fffff, v99, s11
	v_cmp_gt_i32_e64 s16, s17, v76
	v_cndmask_b32_e64 v70, 0xff7fffff, v97, s13
	v_cndmask_b32_e64 v71, 0xff7fffff, v96, s15
	v_cmp_gt_i32_e64 s17, s17, v77
	v_max3_f32 v68, v68, v72, v78
	v_cndmask_b32_e64 v72, 0xff7fffff, v95, s16
	s_delay_alu instid0(VALU_DEP_3) | instskip(NEXT) | instid1(VALU_DEP_3)
	v_cndmask_b32_e64 v76, 0xff7fffff, v94, s17
	v_max3_f32 v68, v68, v70, v71
	s_delay_alu instid0(VALU_DEP_1) | instskip(SKIP_3) | instid1(VALU_DEP_1)
	v_max3_f32 v68, v68, v72, v76
	ds_bpermute_b32 v69, v89, v68
	s_waitcnt lgkmcnt(0)
	v_max_f32_e32 v69, v69, v69
	v_max_f32_e32 v68, v68, v69
	s_delay_alu instid0(VALU_DEP_1) | instskip(NEXT) | instid1(VALU_DEP_1)
	v_fma_f32 v71, s18, v126, -v68
	v_mul_f32_e32 v71, 0x3fb8aa3b, v71
	v_fma_f32 v70, s18, v125, -v68
	v_fma_f32 v69, s18, v124, -v68
	;; [unrolled: 1-line block ×5, first 2 shown]
	s_delay_alu instid0(VALU_DEP_4) | instskip(SKIP_1) | instid1(VALU_DEP_3)
	v_dual_mul_f32 v70, 0x3fb8aa3b, v70 :: v_dual_mul_f32 v69, 0x3fb8aa3b, v69
	v_exp_f32_e32 v71, v71
	v_mul_f32_e32 v72, 0x3fb8aa3b, v72
	v_fma_f32 v81, s18, v105, -v68
	s_delay_alu instid0(VALU_DEP_3)
	v_exp_f32_e32 v70, v70
	v_mul_f32_e32 v77, 0x3fb8aa3b, v76
	v_exp_f32_e32 v69, v69
	v_exp_f32_e32 v72, v72
	v_mul_f32_e32 v81, 0x3fb8aa3b, v81
	v_cndmask_b32_e64 v83, 0, v71, s3
	v_fma_f32 v71, s18, v131, -v68
	s_delay_alu instid0(VALU_DEP_3) | instskip(SKIP_4) | instid1(TRANS32_DEP_3)
	v_exp_f32_e32 v81, v81
	v_cndmask_b32_e32 v76, 0, v70, vcc_lo
	v_exp_f32_e32 v77, v77
	v_cndmask_b32_e64 v80, 0, v69, s2
	v_fma_f32 v69, s18, v129, -v68
	v_cndmask_b32_e64 v85, 0, v72, s4
	v_mul_f32_e32 v71, 0x3fb8aa3b, v71
	v_fma_f32 v72, s18, v100, -v68
	s_delay_alu instid0(VALU_DEP_4) | instskip(SKIP_1) | instid1(VALU_DEP_3)
	v_dual_add_f32 v70, 0, v80 :: v_dual_mul_f32 v69, 0x3fb8aa3b, v69
	s_mov_b32 s2, exec_lo
	v_exp_f32_e32 v71, v71
	s_delay_alu instid0(TRANS32_DEP_2) | instskip(SKIP_4) | instid1(VALU_DEP_3)
	v_cndmask_b32_e64 v86, 0, v77, s5
	v_fma_f32 v77, s18, v101, -v68
	v_mul_f32_e32 v78, 0x3fb8aa3b, v78
	v_add_f32_e32 v70, v70, v76
	v_exp_f32_e32 v69, v69
	v_mul_f32_e32 v77, 0x3fb8aa3b, v77
	s_delay_alu instid0(VALU_DEP_3) | instskip(NEXT) | instid1(TRANS32_DEP_3)
	v_exp_f32_e32 v78, v78
	v_cndmask_b32_e64 v88, 0, v71, s8
	v_fma_f32 v71, s18, v104, -v68
	s_delay_alu instid0(VALU_DEP_3) | instskip(NEXT) | instid1(TRANS32_DEP_3)
	v_exp_f32_e32 v77, v77
	v_cndmask_b32_e64 v87, 0, v69, s6
	s_delay_alu instid0(VALU_DEP_2)
	v_mul_f32_e32 v71, 0x3fb8aa3b, v71
	s_waitcnt_depctr 0xfff
	v_cndmask_b32_e64 v84, 0, v78, s7
	v_add_f32_e32 v70, v70, v83
	v_fma_f32 v78, s18, v103, -v68
	v_exp_f32_e32 v82, v71
	s_delay_alu instid0(VALU_DEP_2) | instskip(SKIP_1) | instid1(VALU_DEP_3)
	v_add_f32_e32 v70, v70, v85
	v_mul_f32_e32 v72, 0x3fb8aa3b, v72
	v_mul_f32_e32 v78, 0x3fb8aa3b, v78
	s_delay_alu instid0(VALU_DEP_3) | instskip(SKIP_1) | instid1(VALU_DEP_4)
	v_add_f32_e32 v69, v70, v86
	v_fma_f32 v70, s18, v102, -v68
	v_exp_f32_e32 v72, v72
	s_delay_alu instid0(VALU_DEP_3) | instskip(NEXT) | instid1(VALU_DEP_1)
	v_exp_f32_e32 v78, v78
	v_dual_add_f32 v69, v69, v87 :: v_dual_mul_f32 v70, 0x3fb8aa3b, v70
	s_delay_alu instid0(VALU_DEP_1) | instskip(NEXT) | instid1(VALU_DEP_2)
	v_add_f32_e32 v69, v69, v84
	v_exp_f32_e32 v79, v70
	s_delay_alu instid0(TRANS32_DEP_3) | instskip(NEXT) | instid1(VALU_DEP_2)
	v_cndmask_b32_e64 v70, 0, v72, s9
	v_add_f32_e32 v72, v69, v88
	v_cndmask_b32_e64 v69, 0, v77, s10
	v_fma_f32 v77, s18, v106, -v68
	s_waitcnt_depctr 0xfff
	v_cndmask_b32_e64 v71, 0, v79, s11
	v_dual_mul_f32 v77, 0x3fb8aa3b, v77 :: v_dual_add_f32 v72, v72, v70
	s_delay_alu instid0(VALU_DEP_1) | instskip(NEXT) | instid1(VALU_DEP_1)
	v_exp_f32_e32 v90, v77
	v_add_f32_e32 v79, v72, v69
	v_cndmask_b32_e64 v72, 0, v78, s12
	v_cndmask_b32_e64 v77, 0, v82, s13
	s_delay_alu instid0(VALU_DEP_3) | instskip(SKIP_1) | instid1(VALU_DEP_1)
	v_add_f32_e32 v78, v79, v71
	v_fma_f32 v79, s18, v107, -v68
	v_dual_add_f32 v82, v78, v72 :: v_dual_mul_f32 v79, 0x3fb8aa3b, v79
	v_cndmask_b32_e64 v78, 0, v81, s15
	s_delay_alu instid0(VALU_DEP_2) | instskip(NEXT) | instid1(VALU_DEP_3)
	v_add_f32_e32 v81, v82, v77
	v_exp_f32_e32 v82, v79
	v_cndmask_b32_e64 v79, 0, v90, s16
	s_delay_alu instid0(VALU_DEP_2) | instskip(NEXT) | instid1(VALU_DEP_1)
	v_add_f32_e32 v81, v81, v78
	v_add_f32_e32 v90, v81, v79
	s_waitcnt_depctr 0xfff
	v_cndmask_b32_e64 v81, 0, v82, s17
	s_delay_alu instid0(VALU_DEP_1)
	v_add_f32_e32 v82, v90, v81
	ds_bpermute_b32 v89, v89, v82
	v_cmpx_gt_u32_e32 16, v67
	s_cbranch_execz .LBB1565_12
; %bb.11:
	v_mul_u32_u24_e32 v67, 0x44, v65
	s_delay_alu instid0(VALU_DEP_1) | instskip(SKIP_1) | instid1(VALU_DEP_1)
	v_lshl_add_u32 v67, v66, 2, v67
	s_waitcnt lgkmcnt(0)
	v_dual_add_f32 v82, v82, v89 :: v_dual_add_nc_u32 v67, 0x4000, v67
	ds_store_2addr_b32 v67, v68, v82 offset1:136
.LBB1565_12:
	s_or_b32 exec_lo, exec_lo, s2
	v_lshlrev_b32_e32 v67, 2, v66
	s_waitcnt lgkmcnt(0)
	s_barrier
	buffer_gl0_inv
	v_cmp_eq_u32_e32 vcc_lo, 1, v65
	v_add_nc_u32_e32 v82, 0x4000, v67
	v_cmp_eq_u32_e64 s2, 2, v65
	v_cmp_eq_u32_e64 s4, 7, v65
	ds_load_2addr_b32 v[89:90], v82 offset1:17
	ds_load_2addr_b32 v[91:92], v82 offset0:34 offset1:51
	ds_load_2addr_b32 v[93:94], v82 offset0:68 offset1:85
	;; [unrolled: 1-line block ×4, first 2 shown]
	s_waitcnt lgkmcnt(4)
	v_max3_f32 v67, v89, 0xff7fffff, v90
	s_waitcnt lgkmcnt(3)
	s_delay_alu instid0(VALU_DEP_1) | instskip(SKIP_1) | instid1(VALU_DEP_1)
	v_max3_f32 v67, v67, v91, v92
	s_waitcnt lgkmcnt(2)
	v_max3_f32 v67, v67, v93, v94
	s_waitcnt lgkmcnt(1)
	s_delay_alu instid0(VALU_DEP_1) | instskip(NEXT) | instid1(VALU_DEP_1)
	v_max3_f32 v67, v67, v95, v96
	v_sub_f32_e32 v93, v93, v67
	s_delay_alu instid0(VALU_DEP_1) | instskip(NEXT) | instid1(VALU_DEP_1)
	v_dual_sub_f32 v68, v89, v67 :: v_dual_mul_f32 v103, 0x3fb8aa3b, v93
	v_mul_f32_e32 v68, 0x3fb8aa3b, v68
	s_delay_alu instid0(VALU_DEP_1)
	v_exp_f32_e32 v100, v68
	v_sub_f32_e32 v68, v92, v67
	v_sub_f32_e32 v99, v90, v67
	ds_load_2addr_b32 v[89:90], v82 offset0:170 offset1:187
	v_dual_mul_f32 v102, 0x3fb8aa3b, v68 :: v_dual_mul_f32 v99, 0x3fb8aa3b, v99
	s_waitcnt lgkmcnt(1)
	v_fma_f32 v68, v100, v97, 0
	s_delay_alu instid0(VALU_DEP_2) | instskip(NEXT) | instid1(VALU_DEP_2)
	v_exp_f32_e32 v102, v102
	v_exp_f32_e32 v99, v99
	s_waitcnt_depctr 0xfff
	v_fmac_f32_e32 v68, v99, v98
	v_sub_f32_e32 v91, v91, v67
	s_delay_alu instid0(VALU_DEP_1)
	v_mul_f32_e32 v101, 0x3fb8aa3b, v91
	ds_load_2addr_b32 v[91:92], v82 offset0:204 offset1:221
	v_sub_f32_e32 v97, v94, v67
	ds_load_2addr_b32 v[93:94], v82 offset0:238 offset1:255
	s_waitcnt lgkmcnt(0)
	v_exp_f32_e32 v101, v101
	s_barrier
	buffer_gl0_inv
	v_dual_fmac_f32 v68, v101, v89 :: v_dual_sub_f32 v89, v96, v67
	v_dual_sub_f32 v82, v95, v67 :: v_dual_mul_f32 v95, 0x3fb8aa3b, v97
	v_exp_f32_e32 v97, v103
	s_delay_alu instid0(VALU_DEP_2) | instskip(NEXT) | instid1(VALU_DEP_2)
	v_dual_fmac_f32 v68, v102, v90 :: v_dual_mul_f32 v89, 0x3fb8aa3b, v89
	v_mul_f32_e32 v82, 0x3fb8aa3b, v82
	s_delay_alu instid0(VALU_DEP_3) | instskip(NEXT) | instid1(VALU_DEP_2)
	v_exp_f32_e32 v95, v95
	v_exp_f32_e32 v89, v89
	s_delay_alu instid0(VALU_DEP_1)
	v_exp_f32_e32 v82, v82
	v_fmac_f32_e32 v68, v97, v91
	s_delay_alu instid0(TRANS32_DEP_3) | instid1(VALU_DEP_1)
	v_fmac_f32_e32 v68, v95, v92
	s_waitcnt_depctr 0xfff
	v_fmac_f32_e32 v68, v82, v93
	s_delay_alu instid0(VALU_DEP_1) | instskip(NEXT) | instid1(VALU_DEP_1)
	v_fmac_f32_e32 v68, v89, v94
	v_add_f32_e32 v90, 0x358637bd, v68
	s_delay_alu instid0(VALU_DEP_1) | instskip(NEXT) | instid1(VALU_DEP_1)
	v_div_scale_f32 v91, null, v90, v90, 1.0
	v_rcp_f32_e32 v92, v91
	s_waitcnt_depctr 0xfff
	v_fma_f32 v93, -v91, v92, 1.0
	s_delay_alu instid0(VALU_DEP_1) | instskip(SKIP_1) | instid1(VALU_DEP_2)
	v_dual_fmac_f32 v92, v93, v92 :: v_dual_cndmask_b32 v93, v100, v99
	v_cmp_eq_u32_e32 vcc_lo, 3, v65
	v_cndmask_b32_e64 v93, v93, v101, s2
	v_cmp_eq_u32_e64 s2, 4, v65
	s_delay_alu instid0(VALU_DEP_2) | instskip(SKIP_1) | instid1(VALU_DEP_2)
	v_cndmask_b32_e32 v93, v93, v102, vcc_lo
	v_cmp_eq_u32_e32 vcc_lo, 5, v65
	v_cndmask_b32_e64 v93, v93, v97, s2
	v_cmp_eq_u32_e64 s2, 6, v65
	s_delay_alu instid0(VALU_DEP_2) | instskip(SKIP_1) | instid1(VALU_DEP_1)
	v_cndmask_b32_e32 v93, v93, v95, vcc_lo
	v_div_scale_f32 v94, s3, 1.0, v90, 1.0
	s_mov_b32 vcc_lo, s3
	s_delay_alu instid0(VALU_DEP_2) | instskip(NEXT) | instid1(VALU_DEP_2)
	v_cndmask_b32_e64 v82, v93, v82, s2
	v_mul_f32_e32 v96, v94, v92
	s_mov_b32 s2, exec_lo
	s_delay_alu instid0(VALU_DEP_2) | instskip(NEXT) | instid1(VALU_DEP_2)
	v_cndmask_b32_e64 v82, v82, v89, s4
	v_fma_f32 v98, -v91, v96, v94
	s_delay_alu instid0(VALU_DEP_1) | instskip(NEXT) | instid1(VALU_DEP_1)
	v_fmac_f32_e32 v96, v98, v92
	v_fma_f32 v91, -v91, v96, v94
	s_delay_alu instid0(VALU_DEP_1) | instskip(NEXT) | instid1(VALU_DEP_1)
	v_div_fmas_f32 v91, v91, v92, v96
	v_div_fixup_f32 v90, v91, v90, 1.0
	s_delay_alu instid0(VALU_DEP_1) | instskip(NEXT) | instid1(VALU_DEP_1)
	v_mul_f32_e32 v82, v82, v90
	v_mul_f32_e32 v87, v82, v87
	;; [unrolled: 1-line block ×7, first 2 shown]
	v_dual_mul_f32 v86, v82, v83 :: v_dual_and_b32 v91, 0x7f800000, v90
	v_mul_f32_e32 v85, v82, v76
                                        ; implicit-def: $vgpr76
	s_delay_alu instid0(VALU_DEP_2)
	v_cmpx_ne_u32_e32 0x7f800000, v91
	s_xor_b32 s2, exec_lo, s2
; %bb.13:
	v_bfe_u32 v76, v90, 16, 1
	s_delay_alu instid0(VALU_DEP_1)
	v_add3_u32 v76, v90, v76, 0x7fff
                                        ; implicit-def: $vgpr90
; %bb.14:
	s_and_not1_saveexec_b32 s2, s2
; %bb.15:
	v_and_b32_e32 v76, 0xffff, v90
	v_or_b32_e32 v83, 0x10000, v90
	s_delay_alu instid0(VALU_DEP_2) | instskip(NEXT) | instid1(VALU_DEP_2)
	v_cmp_eq_u32_e32 vcc_lo, 0, v76
	v_cndmask_b32_e32 v76, v83, v90, vcc_lo
; %bb.16:
	s_or_b32 exec_lo, exec_lo, s2
	v_and_b32_e32 v83, 0x7f800000, v85
	s_delay_alu instid0(VALU_DEP_1) | instskip(SKIP_1) | instid1(SALU_CYCLE_1)
	v_cmp_ne_u32_e32 vcc_lo, 0x7f800000, v83
                                        ; implicit-def: $vgpr83
	s_and_saveexec_b32 s2, vcc_lo
	s_xor_b32 s2, exec_lo, s2
; %bb.17:
	v_bfe_u32 v83, v85, 16, 1
	s_delay_alu instid0(VALU_DEP_1)
	v_add3_u32 v83, v85, v83, 0x7fff
                                        ; implicit-def: $vgpr85
; %bb.18:
	s_and_not1_saveexec_b32 s2, s2
; %bb.19:
	v_and_b32_e32 v83, 0xffff, v85
	v_or_b32_e32 v90, 0x10000, v85
	s_delay_alu instid0(VALU_DEP_2) | instskip(NEXT) | instid1(VALU_DEP_2)
	v_cmp_eq_u32_e32 vcc_lo, 0, v83
	v_cndmask_b32_e32 v83, v90, v85, vcc_lo
; %bb.20:
	s_or_b32 exec_lo, exec_lo, s2
	v_and_b32_e32 v85, 0x7f800000, v86
	s_delay_alu instid0(VALU_DEP_1) | instskip(SKIP_1) | instid1(SALU_CYCLE_1)
	v_cmp_ne_u32_e32 vcc_lo, 0x7f800000, v85
                                        ; implicit-def: $vgpr85
	s_and_saveexec_b32 s2, vcc_lo
	s_xor_b32 s2, exec_lo, s2
; %bb.21:
	v_bfe_u32 v85, v86, 16, 1
	s_delay_alu instid0(VALU_DEP_1)
	v_add3_u32 v85, v86, v85, 0x7fff
                                        ; implicit-def: $vgpr86
; %bb.22:
	s_and_not1_saveexec_b32 s2, s2
; %bb.23:
	v_and_b32_e32 v85, 0xffff, v86
	v_or_b32_e32 v90, 0x10000, v86
	s_delay_alu instid0(VALU_DEP_2) | instskip(NEXT) | instid1(VALU_DEP_2)
	v_cmp_eq_u32_e32 vcc_lo, 0, v85
	v_cndmask_b32_e32 v85, v90, v86, vcc_lo
; %bb.24:
	s_or_b32 exec_lo, exec_lo, s2
	v_and_b32_e32 v86, 0x7f800000, v89
	s_delay_alu instid0(VALU_DEP_1) | instskip(SKIP_1) | instid1(SALU_CYCLE_1)
	v_cmp_ne_u32_e32 vcc_lo, 0x7f800000, v86
                                        ; implicit-def: $vgpr86
	s_and_saveexec_b32 s2, vcc_lo
	s_xor_b32 s2, exec_lo, s2
; %bb.25:
	v_bfe_u32 v86, v89, 16, 1
	s_delay_alu instid0(VALU_DEP_1)
	v_add3_u32 v86, v89, v86, 0x7fff
                                        ; implicit-def: $vgpr89
; %bb.26:
	s_and_not1_saveexec_b32 s2, s2
; %bb.27:
	v_and_b32_e32 v86, 0xffff, v89
	v_or_b32_e32 v90, 0x10000, v89
	s_delay_alu instid0(VALU_DEP_2) | instskip(NEXT) | instid1(VALU_DEP_2)
	v_cmp_eq_u32_e32 vcc_lo, 0, v86
	v_cndmask_b32_e32 v86, v90, v89, vcc_lo
; %bb.28:
	s_or_b32 exec_lo, exec_lo, s2
	v_and_b32_e32 v89, 0x7f800000, v88
	s_delay_alu instid0(VALU_DEP_1) | instskip(SKIP_1) | instid1(SALU_CYCLE_1)
	v_cmp_ne_u32_e32 vcc_lo, 0x7f800000, v89
                                        ; implicit-def: $vgpr89
	s_and_saveexec_b32 s2, vcc_lo
	s_xor_b32 s2, exec_lo, s2
; %bb.29:
	v_bfe_u32 v89, v88, 16, 1
	s_delay_alu instid0(VALU_DEP_1)
	v_add3_u32 v89, v88, v89, 0x7fff
                                        ; implicit-def: $vgpr88
; %bb.30:
	s_and_not1_saveexec_b32 s2, s2
; %bb.31:
	v_and_b32_e32 v89, 0xffff, v88
	v_or_b32_e32 v90, 0x10000, v88
	s_delay_alu instid0(VALU_DEP_2) | instskip(NEXT) | instid1(VALU_DEP_2)
	v_cmp_eq_u32_e32 vcc_lo, 0, v89
	v_cndmask_b32_e32 v89, v90, v88, vcc_lo
; %bb.32:
	s_or_b32 exec_lo, exec_lo, s2
	v_and_b32_e32 v88, 0x7f800000, v87
	s_delay_alu instid0(VALU_DEP_1) | instskip(SKIP_1) | instid1(SALU_CYCLE_1)
	v_cmp_ne_u32_e32 vcc_lo, 0x7f800000, v88
                                        ; implicit-def: $vgpr88
	s_and_saveexec_b32 s2, vcc_lo
	s_xor_b32 s2, exec_lo, s2
; %bb.33:
	v_bfe_u32 v88, v87, 16, 1
	s_delay_alu instid0(VALU_DEP_1)
	v_add3_u32 v88, v87, v88, 0x7fff
                                        ; implicit-def: $vgpr87
; %bb.34:
	s_and_not1_saveexec_b32 s2, s2
; %bb.35:
	v_and_b32_e32 v88, 0xffff, v87
	v_or_b32_e32 v90, 0x10000, v87
	s_delay_alu instid0(VALU_DEP_2) | instskip(NEXT) | instid1(VALU_DEP_2)
	v_cmp_eq_u32_e32 vcc_lo, 0, v88
	v_cndmask_b32_e32 v88, v90, v87, vcc_lo
; %bb.36:
	s_or_b32 exec_lo, exec_lo, s2
	v_and_b32_e32 v87, 0x7f800000, v84
	s_delay_alu instid0(VALU_DEP_1) | instskip(SKIP_1) | instid1(SALU_CYCLE_1)
	v_cmp_ne_u32_e32 vcc_lo, 0x7f800000, v87
                                        ; implicit-def: $vgpr87
	s_and_saveexec_b32 s2, vcc_lo
	s_xor_b32 s2, exec_lo, s2
; %bb.37:
	v_bfe_u32 v87, v84, 16, 1
	s_delay_alu instid0(VALU_DEP_1)
	v_add3_u32 v87, v84, v87, 0x7fff
                                        ; implicit-def: $vgpr84
; %bb.38:
	s_and_not1_saveexec_b32 s2, s2
; %bb.39:
	v_and_b32_e32 v87, 0xffff, v84
	v_or_b32_e32 v90, 0x10000, v84
	s_delay_alu instid0(VALU_DEP_2) | instskip(NEXT) | instid1(VALU_DEP_2)
	v_cmp_eq_u32_e32 vcc_lo, 0, v87
	v_cndmask_b32_e32 v87, v90, v84, vcc_lo
; %bb.40:
	s_or_b32 exec_lo, exec_lo, s2
	v_and_b32_e32 v84, 0x7f800000, v80
	s_delay_alu instid0(VALU_DEP_1) | instskip(SKIP_1) | instid1(SALU_CYCLE_1)
	v_cmp_ne_u32_e32 vcc_lo, 0x7f800000, v84
                                        ; implicit-def: $vgpr84
	s_and_saveexec_b32 s2, vcc_lo
	s_xor_b32 s2, exec_lo, s2
; %bb.41:
	v_bfe_u32 v84, v80, 16, 1
	s_delay_alu instid0(VALU_DEP_1)
	v_add3_u32 v84, v80, v84, 0x7fff
                                        ; implicit-def: $vgpr80
; %bb.42:
	s_and_not1_saveexec_b32 s2, s2
; %bb.43:
	v_and_b32_e32 v84, 0xffff, v80
	v_or_b32_e32 v90, 0x10000, v80
	s_delay_alu instid0(VALU_DEP_2) | instskip(NEXT) | instid1(VALU_DEP_2)
	v_cmp_eq_u32_e32 vcc_lo, 0, v84
	v_cndmask_b32_e32 v84, v90, v80, vcc_lo
; %bb.44:
	s_or_b32 exec_lo, exec_lo, s2
	s_load_b64 s[34:35], s[0:1], 0x94
	v_lshlrev_b32_e32 v91, 4, v74
	s_delay_alu instid0(VALU_DEP_2)
	v_perm_b32 v90, v84, v87, 0x7060302
	v_dual_mul_f32 v77, v82, v77 :: v_dual_lshlrev_b32 v80, 6, v66
	v_lshlrev_b32_e32 v66, 11, v65
	v_perm_b32 v87, v83, v76, 0x7060302
	v_mul_f32_e32 v83, v82, v70
	v_perm_b32 v89, v88, v89, 0x7060302
	v_perm_b32 v88, v86, v85, 0x7060302
	v_or3_b32 v76, v91, v66, v80
	v_mul_f32_e32 v66, v82, v81
	v_mul_f32_e32 v70, v82, v79
	v_mul_f32_e32 v78, v82, v78
	v_dual_mul_f32 v81, v82, v72 :: v_dual_and_b32 v84, 0x7f800000, v83
	v_mul_f32_e32 v79, v82, v71
	v_mul_f32_e32 v72, v82, v69
	s_mov_b32 s2, exec_lo
	ds_store_b128 v76, v[87:90]
                                        ; implicit-def: $vgpr69
	v_cmpx_ne_u32_e32 0x7f800000, v84
	s_xor_b32 s2, exec_lo, s2
; %bb.45:
	v_bfe_u32 v69, v83, 16, 1
	s_delay_alu instid0(VALU_DEP_1)
	v_add3_u32 v69, v83, v69, 0x7fff
                                        ; implicit-def: $vgpr83
; %bb.46:
	s_and_not1_saveexec_b32 s2, s2
; %bb.47:
	v_and_b32_e32 v69, 0xffff, v83
	v_or_b32_e32 v71, 0x10000, v83
	s_delay_alu instid0(VALU_DEP_2) | instskip(NEXT) | instid1(VALU_DEP_2)
	v_cmp_eq_u32_e32 vcc_lo, 0, v69
	v_cndmask_b32_e32 v69, v71, v83, vcc_lo
; %bb.48:
	s_or_b32 exec_lo, exec_lo, s2
	v_and_b32_e32 v71, 0x7f800000, v72
	s_delay_alu instid0(VALU_DEP_1) | instskip(SKIP_1) | instid1(SALU_CYCLE_1)
	v_cmp_ne_u32_e32 vcc_lo, 0x7f800000, v71
                                        ; implicit-def: $vgpr71
	s_and_saveexec_b32 s2, vcc_lo
	s_xor_b32 s2, exec_lo, s2
; %bb.49:
	v_bfe_u32 v71, v72, 16, 1
	s_delay_alu instid0(VALU_DEP_1)
	v_add3_u32 v71, v72, v71, 0x7fff
                                        ; implicit-def: $vgpr72
; %bb.50:
	s_and_not1_saveexec_b32 s2, s2
; %bb.51:
	v_and_b32_e32 v71, 0xffff, v72
	v_or_b32_e32 v82, 0x10000, v72
	s_delay_alu instid0(VALU_DEP_2) | instskip(NEXT) | instid1(VALU_DEP_2)
	v_cmp_eq_u32_e32 vcc_lo, 0, v71
	v_cndmask_b32_e32 v71, v82, v72, vcc_lo
; %bb.52:
	s_or_b32 exec_lo, exec_lo, s2
	v_and_b32_e32 v72, 0x7f800000, v79
	s_delay_alu instid0(VALU_DEP_1) | instskip(SKIP_1) | instid1(SALU_CYCLE_1)
	v_cmp_ne_u32_e32 vcc_lo, 0x7f800000, v72
                                        ; implicit-def: $vgpr72
	s_and_saveexec_b32 s2, vcc_lo
	s_xor_b32 s2, exec_lo, s2
; %bb.53:
	v_bfe_u32 v72, v79, 16, 1
	s_delay_alu instid0(VALU_DEP_1)
	v_add3_u32 v72, v79, v72, 0x7fff
                                        ; implicit-def: $vgpr79
; %bb.54:
	s_and_not1_saveexec_b32 s2, s2
; %bb.55:
	v_and_b32_e32 v72, 0xffff, v79
	v_or_b32_e32 v82, 0x10000, v79
	s_delay_alu instid0(VALU_DEP_2) | instskip(NEXT) | instid1(VALU_DEP_2)
	v_cmp_eq_u32_e32 vcc_lo, 0, v72
	v_cndmask_b32_e32 v72, v82, v79, vcc_lo
; %bb.56:
	s_or_b32 exec_lo, exec_lo, s2
	v_and_b32_e32 v79, 0x7f800000, v81
	s_delay_alu instid0(VALU_DEP_1) | instskip(SKIP_1) | instid1(SALU_CYCLE_1)
	v_cmp_ne_u32_e32 vcc_lo, 0x7f800000, v79
                                        ; implicit-def: $vgpr79
	s_and_saveexec_b32 s2, vcc_lo
	s_xor_b32 s2, exec_lo, s2
; %bb.57:
	v_bfe_u32 v79, v81, 16, 1
	s_delay_alu instid0(VALU_DEP_1)
	v_add3_u32 v79, v81, v79, 0x7fff
                                        ; implicit-def: $vgpr81
; %bb.58:
	s_and_not1_saveexec_b32 s2, s2
; %bb.59:
	v_and_b32_e32 v79, 0xffff, v81
	v_or_b32_e32 v82, 0x10000, v81
	s_delay_alu instid0(VALU_DEP_2) | instskip(NEXT) | instid1(VALU_DEP_2)
	v_cmp_eq_u32_e32 vcc_lo, 0, v79
	v_cndmask_b32_e32 v79, v82, v81, vcc_lo
; %bb.60:
	s_or_b32 exec_lo, exec_lo, s2
	v_and_b32_e32 v81, 0x7f800000, v77
	s_delay_alu instid0(VALU_DEP_1) | instskip(SKIP_1) | instid1(SALU_CYCLE_1)
	v_cmp_ne_u32_e32 vcc_lo, 0x7f800000, v81
                                        ; implicit-def: $vgpr81
	s_and_saveexec_b32 s2, vcc_lo
	s_xor_b32 s2, exec_lo, s2
; %bb.61:
	v_bfe_u32 v81, v77, 16, 1
	s_delay_alu instid0(VALU_DEP_1)
	v_add3_u32 v81, v77, v81, 0x7fff
                                        ; implicit-def: $vgpr77
; %bb.62:
	s_and_not1_saveexec_b32 s2, s2
; %bb.63:
	v_and_b32_e32 v81, 0xffff, v77
	v_or_b32_e32 v82, 0x10000, v77
	s_delay_alu instid0(VALU_DEP_2) | instskip(NEXT) | instid1(VALU_DEP_2)
	v_cmp_eq_u32_e32 vcc_lo, 0, v81
	v_cndmask_b32_e32 v81, v82, v77, vcc_lo
; %bb.64:
	s_or_b32 exec_lo, exec_lo, s2
	v_and_b32_e32 v77, 0x7f800000, v78
	s_delay_alu instid0(VALU_DEP_1) | instskip(SKIP_1) | instid1(SALU_CYCLE_1)
	v_cmp_ne_u32_e32 vcc_lo, 0x7f800000, v77
                                        ; implicit-def: $vgpr77
	s_and_saveexec_b32 s2, vcc_lo
	s_xor_b32 s2, exec_lo, s2
; %bb.65:
	v_bfe_u32 v77, v78, 16, 1
	s_delay_alu instid0(VALU_DEP_1)
	v_add3_u32 v77, v78, v77, 0x7fff
                                        ; implicit-def: $vgpr78
; %bb.66:
	s_and_not1_saveexec_b32 s2, s2
; %bb.67:
	v_and_b32_e32 v77, 0xffff, v78
	v_or_b32_e32 v82, 0x10000, v78
	s_delay_alu instid0(VALU_DEP_2) | instskip(NEXT) | instid1(VALU_DEP_2)
	v_cmp_eq_u32_e32 vcc_lo, 0, v77
	v_cndmask_b32_e32 v77, v82, v78, vcc_lo
; %bb.68:
	s_or_b32 exec_lo, exec_lo, s2
	v_and_b32_e32 v78, 0x7f800000, v70
	s_delay_alu instid0(VALU_DEP_1) | instskip(SKIP_1) | instid1(SALU_CYCLE_1)
	v_cmp_ne_u32_e32 vcc_lo, 0x7f800000, v78
                                        ; implicit-def: $vgpr78
	s_and_saveexec_b32 s2, vcc_lo
	s_xor_b32 s2, exec_lo, s2
; %bb.69:
	v_bfe_u32 v78, v70, 16, 1
	s_delay_alu instid0(VALU_DEP_1)
	v_add3_u32 v78, v70, v78, 0x7fff
                                        ; implicit-def: $vgpr70
; %bb.70:
	s_and_not1_saveexec_b32 s2, s2
; %bb.71:
	v_and_b32_e32 v78, 0xffff, v70
	v_or_b32_e32 v82, 0x10000, v70
	s_delay_alu instid0(VALU_DEP_2) | instskip(NEXT) | instid1(VALU_DEP_2)
	v_cmp_eq_u32_e32 vcc_lo, 0, v78
	v_cndmask_b32_e32 v78, v82, v70, vcc_lo
; %bb.72:
	s_or_b32 exec_lo, exec_lo, s2
	v_and_b32_e32 v70, 0x7f800000, v66
	s_delay_alu instid0(VALU_DEP_1) | instskip(SKIP_1) | instid1(SALU_CYCLE_1)
	v_cmp_ne_u32_e32 vcc_lo, 0x7f800000, v70
                                        ; implicit-def: $vgpr70
	s_and_saveexec_b32 s2, vcc_lo
	s_xor_b32 s2, exec_lo, s2
; %bb.73:
	v_bfe_u32 v70, v66, 16, 1
	s_delay_alu instid0(VALU_DEP_1)
	v_add3_u32 v70, v66, v70, 0x7fff
                                        ; implicit-def: $vgpr66
; %bb.74:
	s_and_not1_saveexec_b32 s2, s2
; %bb.75:
	v_and_b32_e32 v70, 0xffff, v66
	v_or_b32_e32 v82, 0x10000, v66
	s_delay_alu instid0(VALU_DEP_2) | instskip(NEXT) | instid1(VALU_DEP_2)
	v_cmp_eq_u32_e32 vcc_lo, 0, v70
	v_cndmask_b32_e32 v70, v82, v66, vcc_lo
; %bb.76:
	s_or_b32 exec_lo, exec_lo, s2
	s_delay_alu instid0(VALU_DEP_1)
	v_perm_b32 v86, v70, v78, 0x7060302
	v_perm_b32 v85, v77, v81, 0x7060302
	;; [unrolled: 1-line block ×4, first 2 shown]
	v_lshl_or_b32 v82, v65, 11, v80
	ds_store_b128 v76, v[83:86] offset:1024
	s_waitcnt lgkmcnt(0)
	s_barrier
	buffer_gl0_inv
	ds_load_b128 v[69:72], v82
	ds_load_b128 v[83:86], v82 offset:16
	s_waitcnt lgkmcnt(1)
	v_lshrrev_b32_e32 v65, 16, v69
	v_lshlrev_b32_e32 v78, 2, v74
	s_waitcnt lgkmcnt(0)
	v_lshrrev_b32_e32 v91, 16, v83
	v_lshrrev_b32_e32 v66, 16, v70
	;; [unrolled: 1-line block ×4, first 2 shown]
	v_cmp_eq_u32_e32 vcc_lo, 1, v78
	v_lshrrev_b32_e32 v98, 16, v85
	v_lshrrev_b32_e32 v96, 16, v72
	v_lshrrev_b32_e32 v99, 16, v86
	v_cndmask_b32_e32 v81, v69, v65, vcc_lo
	v_or_b32_e32 v79, 1, v78
	v_cmp_eq_u32_e64 s3, 2, v78
	v_cndmask_b32_e32 v87, v83, v91, vcc_lo
	v_cmp_eq_u32_e64 s6, 3, v78
	v_cmp_eq_u32_e64 s8, 4, v78
	;; [unrolled: 1-line block ×3, first 2 shown]
	v_cndmask_b32_e64 v81, v81, v70, s3
	v_cmp_eq_u32_e64 s5, 2, v79
	v_cndmask_b32_e64 v87, v87, v84, s3
	v_cmp_eq_u32_e64 s7, 3, v79
	v_cndmask_b32_e64 v88, v69, v65, s2
	v_cndmask_b32_e64 v81, v81, v66, s6
	v_or_b32_e32 v77, 2, v78
	v_cndmask_b32_e64 v87, v87, v97, s6
	v_cndmask_b32_e64 v89, v83, v91, s2
	;; [unrolled: 1-line block ×4, first 2 shown]
	v_cmp_eq_u32_e64 s9, 5, v78
	v_cndmask_b32_e64 v87, v87, v85, s8
	v_cmp_eq_u32_e64 s10, 4, v79
	v_cndmask_b32_e64 v88, v88, v66, s7
	;; [unrolled: 2-line block ×3, first 2 shown]
	v_cndmask_b32_e64 v81, v81, v95, s9
	v_cmp_eq_u32_e64 s11, 6, v78
	v_cndmask_b32_e64 v88, v88, v71, s10
	v_cndmask_b32_e64 v87, v87, v98, s9
	v_cmp_eq_u32_e64 s12, 5, v79
	v_cndmask_b32_e64 v90, v69, v65, s4
	v_cndmask_b32_e64 v89, v89, v97, s7
	;; [unrolled: 1-line block ×3, first 2 shown]
	v_cmp_eq_u32_e64 s13, 7, v78
	v_cndmask_b32_e64 v88, v88, v95, s12
	v_cndmask_b32_e64 v87, v87, v86, s11
	v_cmp_eq_u32_e64 s15, 6, v79
	v_cmp_eq_u32_e64 s16, 2, v77
	v_cndmask_b32_e64 v89, v89, v85, s10
	v_cndmask_b32_e64 v100, v81, v96, s13
	;; [unrolled: 1-line block ×6, first 2 shown]
	v_cmp_eq_u32_e64 s17, 7, v79
	v_cmp_eq_u32_e64 s18, 3, v77
	;; [unrolled: 1-line block ×4, first 2 shown]
	v_cndmask_b32_e64 v87, v87, v84, s16
	v_cndmask_b32_e64 v102, v88, v96, s17
	;; [unrolled: 1-line block ×4, first 2 shown]
	v_or_b32_e32 v81, 3, v78
	v_cndmask_b32_e64 v93, v87, v97, s18
	v_cmp_eq_u32_e64 s23, 6, v77
	v_cndmask_b32_e64 v103, v88, v86, s15
	v_cndmask_b32_e64 v92, v89, v71, s19
	v_cmp_eq_u32_e64 s20, 1, v81
	ds_load_b128 v[87:90], v82 offset:1024
	v_cmp_eq_u32_e64 s22, 2, v81
	v_cmp_eq_u32_e64 s24, 3, v81
	v_cndmask_b32_e64 v104, v92, v95, s21
	v_cndmask_b32_e64 v65, v69, v65, s20
	v_cndmask_b32_e64 v69, v93, v85, s19
	v_cndmask_b32_e64 v83, v83, v91, s20
	ds_load_b128 v[91:94], v82 offset:1040
	v_cmp_eq_u32_e64 s25, 4, v81
	v_cndmask_b32_e64 v65, v65, v70, s22
	v_cmp_eq_u32_e64 s27, 5, v81
	v_cndmask_b32_e64 v70, v83, v84, s22
	;; [unrolled: 2-line block ×3, first 2 shown]
	v_cndmask_b32_e64 v65, v65, v66, s24
	v_cndmask_b32_e64 v66, v104, v72, s23
	;; [unrolled: 1-line block ×3, first 2 shown]
	v_cmp_eq_u32_e64 s26, 7, v77
	v_cndmask_b32_e64 v69, v69, v86, s23
	v_cndmask_b32_e64 v65, v65, v71, s25
	s_waitcnt lgkmcnt(1)
	v_lshrrev_b32_e32 v84, 16, v87
	v_cndmask_b32_e64 v70, v70, v85, s25
	v_cndmask_b32_e64 v83, v103, v99, s17
	;; [unrolled: 1-line block ×4, first 2 shown]
	v_lshrrev_b32_e32 v95, 16, v88
	v_cndmask_b32_e64 v70, v70, v98, s27
	s_waitcnt lgkmcnt(0)
	v_lshrrev_b32_e32 v85, 16, v91
	v_cndmask_b32_e64 v97, v87, v84, s2
	v_cndmask_b32_e64 v65, v65, v72, s28
	;; [unrolled: 1-line block ×4, first 2 shown]
	v_cndmask_b32_e32 v71, v87, v84, vcc_lo
	v_cndmask_b32_e32 v98, v91, v85, vcc_lo
	v_cmp_eq_u32_e32 vcc_lo, 7, v81
	v_cndmask_b32_e64 v72, v97, v88, s5
	v_lshrrev_b32_e32 v97, 16, v92
	v_lshrrev_b32_e32 v103, 16, v90
	v_dual_cndmask_b32 v65, v65, v96 :: v_dual_cndmask_b32 v70, v70, v99
	v_cndmask_b32_e64 v71, v71, v88, s3
	v_cndmask_b32_e64 v86, v98, v92, s3
	;; [unrolled: 1-line block ×3, first 2 shown]
	v_lshrrev_b32_e32 v98, 16, v89
	v_lshrrev_b32_e32 v99, 16, v93
	v_cndmask_b32_e64 v71, v71, v95, s6
	v_cndmask_b32_e64 v86, v86, v97, s6
	;; [unrolled: 1-line block ×3, first 2 shown]
	v_perm_b32 v72, v70, v65, 0x5040100
	v_perm_b32 v70, v83, v102, 0x5040100
	v_cndmask_b32_e64 v71, v71, v89, s8
	v_cndmask_b32_e64 v86, v86, v93, s8
	;; [unrolled: 1-line block ×3, first 2 shown]
	v_lshrrev_b32_e32 v83, 16, v94
	s_delay_alu instid0(VALU_DEP_4) | instskip(NEXT) | instid1(VALU_DEP_4)
	v_cndmask_b32_e64 v71, v71, v98, s9
	v_cndmask_b32_e64 v86, v86, v99, s9
	s_delay_alu instid0(VALU_DEP_4) | instskip(NEXT) | instid1(VALU_DEP_3)
	v_cndmask_b32_e64 v65, v65, v90, s15
	v_cndmask_b32_e64 v96, v71, v90, s11
	v_perm_b32 v71, v69, v66, 0x5040100
	s_delay_alu instid0(VALU_DEP_4)
	v_cndmask_b32_e64 v69, v86, v94, s11
	v_cndmask_b32_e64 v86, v87, v84, s4
	;; [unrolled: 1-line block ×34, first 2 shown]
	v_cndmask_b32_e32 v84, v84, v103, vcc_lo
	v_cndmask_b32_e32 v86, v87, v83, vcc_lo
	v_cndmask_b32_e64 v87, v88, v83, s26
	v_cndmask_b32_e64 v88, v85, v83, s17
	;; [unrolled: 1-line block ×3, first 2 shown]
	v_perm_b32 v69, v101, v100, 0x5040100
	v_perm_b32 v86, v86, v84, 0x5040100
	;; [unrolled: 1-line block ×5, first 2 shown]
	s_lshl_b32 s7, s35, 2
	s_mov_b32 s2, exec_lo
	ds_store_b128 v76, v[69:72]
	ds_store_b128 v76, v[83:86] offset:1024
	v_cmpx_gt_u32_e32 4, v0
	s_cbranch_execz .LBB1565_78
; %bb.77:
	v_or_b32_e32 v65, s29, v0
	s_load_b128 s[8:11], s[0:1], 0x58
	s_delay_alu instid0(VALU_DEP_1) | instskip(NEXT) | instid1(VALU_DEP_1)
	v_mad_u64_u32 v[69:70], null, s7, s30, v[65:66]
	v_mad_u64_u32 v[65:66], null, v69, s34, s[14:15]
	s_delay_alu instid0(VALU_DEP_1) | instskip(NEXT) | instid1(VALU_DEP_1)
	v_ashrrev_i32_e32 v66, 31, v65
	v_lshlrev_b64 v[65:66], 2, v[65:66]
	s_waitcnt lgkmcnt(0)
	s_delay_alu instid0(VALU_DEP_1) | instskip(NEXT) | instid1(VALU_DEP_2)
	v_add_co_u32 v69, vcc_lo, s10, v65
	v_add_co_ci_u32_e32 v70, vcc_lo, s11, v66, vcc_lo
	v_add_co_u32 v65, vcc_lo, s8, v65
	v_add_co_ci_u32_e32 v66, vcc_lo, s9, v66, vcc_lo
	global_store_b32 v[69:70], v67, off
	global_store_b32 v[65:66], v68, off
.LBB1565_78:
	s_or_b32 exec_lo, exec_lo, s2
	s_waitcnt lgkmcnt(0)
	s_waitcnt_vscnt null, 0x0
	s_barrier
	buffer_gl0_inv
	ds_load_b128 v[83:86], v80
	ds_load_b128 v[87:90], v80 offset:16
	ds_load_b128 v[95:98], v80 offset:2064
	;; [unrolled: 1-line block ×3, first 2 shown]
	v_mov_b32_e32 v65, 0
	ds_load_b128 v[103:106], v80 offset:4112
	ds_load_b128 v[99:102], v80 offset:4096
	ds_load_b128 v[111:114], v80 offset:6160
	ds_load_b128 v[107:110], v80 offset:6144
	v_mov_b32_e32 v66, v65
	v_mov_b32_e32 v67, v65
	;; [unrolled: 1-line block ×7, first 2 shown]
	s_waitcnt lgkmcnt(6)
	s_delay_alu instid0(VALU_DEP_1)
	v_wmma_f32_16x16x16_bf16 v[65:72], v[49:56], v[83:90], v[65:72]
	ds_load_b128 v[53:56], v80 offset:8208
	ds_load_b128 v[49:52], v80 offset:8192
	s_waitcnt lgkmcnt(6)
	v_wmma_f32_16x16x16_bf16 v[65:72], v[41:48], v[91:98], v[65:72]
	ds_load_b128 v[45:48], v80 offset:10256
	ds_load_b128 v[41:44], v80 offset:10240
	s_waitcnt lgkmcnt(6)
	;; [unrolled: 4-line block ×4, first 2 shown]
	v_wmma_f32_16x16x16_bf16 v[65:72], v[1:8], v[49:56], v[65:72]
	s_waitcnt lgkmcnt(4)
	s_delay_alu instid0(VALU_DEP_1) | instskip(SKIP_1) | instid1(VALU_DEP_1)
	v_wmma_f32_16x16x16_bf16 v[65:72], v[9:16], v[41:48], v[65:72]
	s_waitcnt lgkmcnt(2)
	v_wmma_f32_16x16x16_bf16 v[65:72], v[17:24], v[33:40], v[65:72]
	s_waitcnt lgkmcnt(0)
	s_delay_alu instid0(VALU_DEP_1) | instskip(NEXT) | instid1(VALU_DEP_1)
	v_wmma_f32_16x16x16_bf16 v[65:72], v[57:64], v[25:32], v[65:72]
	v_and_b32_e32 v1, 0x7f800000, v65
	s_delay_alu instid0(VALU_DEP_1) | instskip(SKIP_1) | instid1(SALU_CYCLE_1)
	v_cmp_ne_u32_e32 vcc_lo, 0x7f800000, v1
                                        ; implicit-def: $vgpr1
	s_and_saveexec_b32 s2, vcc_lo
	s_xor_b32 s2, exec_lo, s2
; %bb.79:
	v_bfe_u32 v1, v65, 16, 1
	s_delay_alu instid0(VALU_DEP_1)
	v_add3_u32 v1, v65, v1, 0x7fff
; %bb.80:
	s_and_not1_saveexec_b32 s2, s2
; %bb.81:
	v_and_b32_e32 v1, 0xffff, v65
	v_or_b32_e32 v2, 0x10000, v65
	s_delay_alu instid0(VALU_DEP_2) | instskip(NEXT) | instid1(VALU_DEP_2)
	v_cmp_eq_u32_e32 vcc_lo, 0, v1
	v_cndmask_b32_e32 v1, v2, v65, vcc_lo
; %bb.82:
	s_or_b32 exec_lo, exec_lo, s2
	v_and_b32_e32 v2, 0x7f800000, v66
	s_delay_alu instid0(VALU_DEP_1) | instskip(SKIP_1) | instid1(SALU_CYCLE_1)
	v_cmp_ne_u32_e32 vcc_lo, 0x7f800000, v2
                                        ; implicit-def: $vgpr2
	s_and_saveexec_b32 s2, vcc_lo
	s_xor_b32 s2, exec_lo, s2
; %bb.83:
	v_bfe_u32 v2, v66, 16, 1
	s_delay_alu instid0(VALU_DEP_1)
	v_add3_u32 v2, v66, v2, 0x7fff
; %bb.84:
	s_and_not1_saveexec_b32 s2, s2
; %bb.85:
	v_and_b32_e32 v2, 0xffff, v66
	v_or_b32_e32 v3, 0x10000, v66
	s_delay_alu instid0(VALU_DEP_2) | instskip(NEXT) | instid1(VALU_DEP_2)
	v_cmp_eq_u32_e32 vcc_lo, 0, v2
	v_cndmask_b32_e32 v2, v3, v66, vcc_lo
; %bb.86:
	s_or_b32 exec_lo, exec_lo, s2
	v_and_b32_e32 v3, 0x7f800000, v67
	s_delay_alu instid0(VALU_DEP_1) | instskip(SKIP_1) | instid1(SALU_CYCLE_1)
	v_cmp_ne_u32_e32 vcc_lo, 0x7f800000, v3
                                        ; implicit-def: $vgpr3
	s_and_saveexec_b32 s2, vcc_lo
	s_xor_b32 s2, exec_lo, s2
; %bb.87:
	v_bfe_u32 v3, v67, 16, 1
	s_delay_alu instid0(VALU_DEP_1)
	v_add3_u32 v3, v67, v3, 0x7fff
; %bb.88:
	s_and_not1_saveexec_b32 s2, s2
; %bb.89:
	v_and_b32_e32 v3, 0xffff, v67
	v_or_b32_e32 v4, 0x10000, v67
	s_delay_alu instid0(VALU_DEP_2) | instskip(NEXT) | instid1(VALU_DEP_2)
	v_cmp_eq_u32_e32 vcc_lo, 0, v3
	v_cndmask_b32_e32 v3, v4, v67, vcc_lo
; %bb.90:
	s_or_b32 exec_lo, exec_lo, s2
	v_and_b32_e32 v4, 0x7f800000, v68
	s_delay_alu instid0(VALU_DEP_1) | instskip(SKIP_1) | instid1(SALU_CYCLE_1)
	v_cmp_ne_u32_e32 vcc_lo, 0x7f800000, v4
                                        ; implicit-def: $vgpr4
	s_and_saveexec_b32 s2, vcc_lo
	s_xor_b32 s2, exec_lo, s2
; %bb.91:
	v_bfe_u32 v4, v68, 16, 1
	s_delay_alu instid0(VALU_DEP_1)
	v_add3_u32 v4, v68, v4, 0x7fff
; %bb.92:
	s_and_not1_saveexec_b32 s2, s2
; %bb.93:
	v_and_b32_e32 v4, 0xffff, v68
	v_or_b32_e32 v5, 0x10000, v68
	s_delay_alu instid0(VALU_DEP_2) | instskip(NEXT) | instid1(VALU_DEP_2)
	v_cmp_eq_u32_e32 vcc_lo, 0, v4
	v_cndmask_b32_e32 v4, v5, v68, vcc_lo
; %bb.94:
	s_or_b32 exec_lo, exec_lo, s2
	v_and_b32_e32 v5, 0x7f800000, v69
	s_delay_alu instid0(VALU_DEP_1) | instskip(SKIP_1) | instid1(SALU_CYCLE_1)
	v_cmp_ne_u32_e32 vcc_lo, 0x7f800000, v5
                                        ; implicit-def: $vgpr5
	s_and_saveexec_b32 s2, vcc_lo
	s_xor_b32 s2, exec_lo, s2
; %bb.95:
	v_bfe_u32 v5, v69, 16, 1
	s_delay_alu instid0(VALU_DEP_1)
	v_add3_u32 v5, v69, v5, 0x7fff
; %bb.96:
	s_and_not1_saveexec_b32 s2, s2
; %bb.97:
	v_and_b32_e32 v5, 0xffff, v69
	v_or_b32_e32 v6, 0x10000, v69
	s_delay_alu instid0(VALU_DEP_2) | instskip(NEXT) | instid1(VALU_DEP_2)
	v_cmp_eq_u32_e32 vcc_lo, 0, v5
	v_cndmask_b32_e32 v5, v6, v69, vcc_lo
; %bb.98:
	s_or_b32 exec_lo, exec_lo, s2
	v_and_b32_e32 v6, 0x7f800000, v70
	s_delay_alu instid0(VALU_DEP_1) | instskip(SKIP_1) | instid1(SALU_CYCLE_1)
	v_cmp_ne_u32_e32 vcc_lo, 0x7f800000, v6
                                        ; implicit-def: $vgpr6
	s_and_saveexec_b32 s2, vcc_lo
	s_xor_b32 s2, exec_lo, s2
; %bb.99:
	v_bfe_u32 v6, v70, 16, 1
	s_delay_alu instid0(VALU_DEP_1)
	v_add3_u32 v6, v70, v6, 0x7fff
; %bb.100:
	s_and_not1_saveexec_b32 s2, s2
; %bb.101:
	v_and_b32_e32 v6, 0xffff, v70
	v_or_b32_e32 v7, 0x10000, v70
	s_delay_alu instid0(VALU_DEP_2) | instskip(NEXT) | instid1(VALU_DEP_2)
	v_cmp_eq_u32_e32 vcc_lo, 0, v6
	v_cndmask_b32_e32 v6, v7, v70, vcc_lo
; %bb.102:
	s_or_b32 exec_lo, exec_lo, s2
	v_and_b32_e32 v7, 0x7f800000, v71
	s_delay_alu instid0(VALU_DEP_1) | instskip(SKIP_1) | instid1(SALU_CYCLE_1)
	v_cmp_ne_u32_e32 vcc_lo, 0x7f800000, v7
                                        ; implicit-def: $vgpr7
	s_and_saveexec_b32 s2, vcc_lo
	s_xor_b32 s2, exec_lo, s2
; %bb.103:
	v_bfe_u32 v7, v71, 16, 1
	s_delay_alu instid0(VALU_DEP_1)
	v_add3_u32 v7, v71, v7, 0x7fff
; %bb.104:
	s_and_not1_saveexec_b32 s2, s2
; %bb.105:
	v_and_b32_e32 v7, 0xffff, v71
	v_or_b32_e32 v8, 0x10000, v71
	s_delay_alu instid0(VALU_DEP_2) | instskip(NEXT) | instid1(VALU_DEP_2)
	v_cmp_eq_u32_e32 vcc_lo, 0, v7
	v_cndmask_b32_e32 v7, v8, v71, vcc_lo
; %bb.106:
	s_or_b32 exec_lo, exec_lo, s2
	v_and_b32_e32 v8, 0x7f800000, v72
	s_delay_alu instid0(VALU_DEP_1) | instskip(SKIP_1) | instid1(SALU_CYCLE_1)
	v_cmp_ne_u32_e32 vcc_lo, 0x7f800000, v8
                                        ; implicit-def: $vgpr8
	s_and_saveexec_b32 s2, vcc_lo
	s_xor_b32 s2, exec_lo, s2
; %bb.107:
	v_bfe_u32 v8, v72, 16, 1
	s_delay_alu instid0(VALU_DEP_1)
	v_add3_u32 v8, v72, v8, 0x7fff
                                        ; implicit-def: $vgpr65_vgpr66_vgpr67_vgpr68_vgpr69_vgpr70_vgpr71_vgpr72
; %bb.108:
	s_and_not1_saveexec_b32 s2, s2
; %bb.109:
	v_and_b32_e32 v8, 0xffff, v72
	v_or_b32_e32 v9, 0x10000, v72
	s_delay_alu instid0(VALU_DEP_2) | instskip(NEXT) | instid1(VALU_DEP_2)
	v_cmp_eq_u32_e32 vcc_lo, 0, v8
	v_cndmask_b32_e32 v8, v9, v72, vcc_lo
; %bb.110:
	s_or_b32 exec_lo, exec_lo, s2
	s_delay_alu instid0(VALU_DEP_1)
	v_perm_b32 v7, v8, v7, 0x7060302
	v_perm_b32 v6, v6, v5, 0x7060302
	;; [unrolled: 1-line block ×4, first 2 shown]
	s_barrier
	buffer_gl0_inv
	v_cmp_eq_u32_e32 vcc_lo, 1, v78
	ds_store_b128 v76, v[4:7]
	s_waitcnt lgkmcnt(0)
	s_barrier
	buffer_gl0_inv
	ds_load_b128 v[1:4], v82
	ds_load_b128 v[5:8], v82 offset:16
	v_cmp_eq_u32_e64 s2, 1, v79
	v_cmp_eq_u32_e64 s3, 2, v78
	;; [unrolled: 1-line block ×5, first 2 shown]
	s_waitcnt lgkmcnt(1)
	v_lshrrev_b32_e32 v9, 16, v1
	s_waitcnt lgkmcnt(0)
	v_lshrrev_b32_e32 v13, 16, v5
	v_lshrrev_b32_e32 v10, 16, v2
	;; [unrolled: 1-line block ×4, first 2 shown]
	v_cndmask_b32_e64 v19, v1, v9, s2
	v_cndmask_b32_e32 v18, v5, v13, vcc_lo
	v_cndmask_b32_e64 v20, v5, v13, s2
	v_cndmask_b32_e32 v17, v1, v9, vcc_lo
	v_cmp_eq_u32_e32 vcc_lo, 2, v79
	v_lshrrev_b32_e32 v15, 16, v7
	v_cmp_eq_u32_e64 s2, 1, v77
	v_lshrrev_b32_e32 v12, 16, v4
	v_lshrrev_b32_e32 v16, 16, v8
	v_cndmask_b32_e32 v20, v20, v6, vcc_lo
	v_cndmask_b32_e64 v17, v17, v2, s3
	v_cndmask_b32_e32 v19, v19, v2, vcc_lo
	v_cndmask_b32_e64 v18, v18, v6, s3
	v_cmp_eq_u32_e32 vcc_lo, 4, v78
	v_cmp_eq_u32_e64 s3, 3, v79
	v_cndmask_b32_e64 v17, v17, v10, s4
	v_cndmask_b32_e64 v21, v1, v9, s2
	;; [unrolled: 1-line block ×5, first 2 shown]
	v_cndmask_b32_e32 v17, v17, v3, vcc_lo
	v_cndmask_b32_e64 v20, v20, v14, s3
	v_cndmask_b32_e32 v18, v18, v7, vcc_lo
	v_cmp_eq_u32_e32 vcc_lo, 4, v79
	v_cmp_eq_u32_e64 s3, 5, v79
	v_cmp_eq_u32_e64 s2, 2, v81
	v_cndmask_b32_e64 v21, v21, v2, s6
	v_cmp_eq_u32_e64 s4, 5, v78
	v_cndmask_b32_e32 v19, v19, v3, vcc_lo
	v_cndmask_b32_e32 v20, v20, v7, vcc_lo
	v_cmp_eq_u32_e32 vcc_lo, 6, v79
	s_delay_alu instid0(VALU_DEP_4) | instskip(NEXT) | instid1(VALU_DEP_4)
	v_cndmask_b32_e64 v17, v17, v11, s4
	v_cndmask_b32_e64 v19, v19, v11, s3
	s_delay_alu instid0(VALU_DEP_4) | instskip(SKIP_1) | instid1(VALU_DEP_3)
	v_cndmask_b32_e64 v20, v20, v15, s3
	v_cmp_eq_u32_e64 s3, 1, v81
	v_cndmask_b32_e32 v19, v19, v4, vcc_lo
	v_cndmask_b32_e64 v18, v18, v15, s4
	s_delay_alu instid0(VALU_DEP_3)
	v_cndmask_b32_e64 v1, v1, v9, s3
	v_cndmask_b32_e64 v5, v5, v13, s3
	v_cmp_eq_u32_e64 s3, 3, v77
	v_cndmask_b32_e64 v13, v22, v6, s6
	v_cmp_eq_u32_e64 s6, 3, v81
	v_cndmask_b32_e64 v1, v1, v2, s2
	v_cndmask_b32_e64 v2, v5, v6, s2
	;; [unrolled: 1-line block ×3, first 2 shown]
	v_cmp_eq_u32_e64 s2, 4, v77
	v_cndmask_b32_e64 v6, v13, v14, s3
	v_cndmask_b32_e64 v1, v1, v10, s6
	v_cmp_eq_u32_e64 s3, 4, v81
	v_cndmask_b32_e64 v2, v2, v14, s6
	v_cndmask_b32_e64 v5, v9, v3, s2
	;; [unrolled: 3-line block ×3, first 2 shown]
	v_cndmask_b32_e64 v2, v2, v7, s3
	v_cmp_eq_u32_e64 s2, 5, v81
	v_cmp_eq_u32_e64 s4, 6, v78
	v_cndmask_b32_e64 v5, v5, v11, s6
	v_cmp_eq_u32_e64 s3, 6, v77
	v_cndmask_b32_e64 v3, v6, v15, s6
	v_cndmask_b32_e64 v1, v1, v11, s2
	v_cmp_eq_u32_e64 s6, 6, v81
	v_cndmask_b32_e64 v2, v2, v15, s2
	v_cndmask_b32_e64 v17, v17, v4, s4
	v_cndmask_b32_e64 v18, v18, v8, s4
	v_cmp_eq_u32_e64 s4, 7, v78
	v_cndmask_b32_e64 v5, v5, v4, s3
	;; [unrolled: 4-line block ×3, first 2 shown]
	v_cmp_eq_u32_e64 s3, 7, v77
	v_cndmask_b32_e32 v4, v20, v8, vcc_lo
	v_cndmask_b32_e64 v17, v17, v12, s4
	v_cndmask_b32_e64 v19, v19, v12, s5
	;; [unrolled: 1-line block ×8, first 2 shown]
	s_mov_b32 s2, exec_lo
	v_perm_b32 v4, v2, v1, 0x5040100
	v_perm_b32 v3, v3, v5, 0x5040100
	;; [unrolled: 1-line block ×4, first 2 shown]
	ds_store_b128 v76, v[1:4]
	s_waitcnt lgkmcnt(0)
	s_barrier
	buffer_gl0_inv
	v_cmpx_gt_u32_e32 32, v0
	s_cbranch_execz .LBB1565_2
; %bb.111:
	s_load_b64 s[0:1], s[0:1], 0x68
	v_lshlrev_b32_e32 v0, 10, v0
	v_or_b32_e32 v1, s29, v74
	s_lshl_b32 s4, s34, 7
	v_lshlrev_b32_e32 v2, 4, v75
	s_mul_i32 s2, s4, s30
	v_lshlrev_b32_e32 v3, 6, v74
	v_mul_lo_u32 v8, v1, s4
	v_and_b32_e32 v0, 0x3800, v0
	v_or_b32_e32 v1, 2, v1
	s_mul_i32 s2, s2, s7
	s_delay_alu instid0(SALU_CYCLE_1) | instskip(NEXT) | instid1(VALU_DEP_2)
	s_ashr_i32 s3, s2, 31
	v_or3_b32 v4, v0, v2, v3
	s_lshl_b64 s[2:3], s[2:3], 1
	v_mul_lo_u32 v10, v1, s4
	v_ashrrev_i32_e32 v9, 31, v8
	ds_load_b128 v[0:3], v4
	ds_load_b128 v[4:7], v4 offset:128
	s_waitcnt lgkmcnt(0)
	s_add_u32 s2, s0, s2
	s_addc_u32 s3, s1, s3
	s_lshl_b32 s0, s14, 7
	v_ashrrev_i32_e32 v11, 31, v10
	s_ashr_i32 s1, s0, 31
	v_lshlrev_b64 v[8:9], 1, v[8:9]
	s_lshl_b64 s[0:1], s[0:1], 1
	s_delay_alu instid0(SALU_CYCLE_1) | instskip(SKIP_2) | instid1(VALU_DEP_1)
	s_add_u32 s0, s2, s0
	s_addc_u32 s1, s3, s1
	v_add_co_u32 v12, s0, s0, v73
	v_add_co_ci_u32_e64 v13, null, s1, 0, s0
	v_lshlrev_b64 v[10:11], 1, v[10:11]
	s_delay_alu instid0(VALU_DEP_3) | instskip(NEXT) | instid1(VALU_DEP_3)
	v_add_co_u32 v8, vcc_lo, v12, v8
	v_add_co_ci_u32_e32 v9, vcc_lo, v13, v9, vcc_lo
	s_delay_alu instid0(VALU_DEP_3) | instskip(NEXT) | instid1(VALU_DEP_4)
	v_add_co_u32 v10, vcc_lo, v12, v10
	v_add_co_ci_u32_e32 v11, vcc_lo, v13, v11, vcc_lo
	s_clause 0x1
	global_store_b128 v[8:9], v[0:3], off
	global_store_b128 v[10:11], v[4:7], off
	s_nop 0
	s_sendmsg sendmsg(MSG_DEALLOC_VGPRS)
	s_endpgm
	.section	.rodata,"a",@progbits
	.p2align	6, 0x0
	.amdhsa_kernel _Z39paged_attention_ll4mi_QKV_mfma16_kernelI14__hip_bfloat16hLN4vllm18Fp8KVCacheDataTypeE1ES0_Li16ELi128ELi256ELb1ELi4EL8MFMAType1EEvPKT_PKT0_S9_ifPKiSB_SB_iPKfiiiPfSE_PS4_PT2_iSD_SD_
		.amdhsa_group_segment_fixed_size 17472
		.amdhsa_private_segment_fixed_size 0
		.amdhsa_kernarg_size 400
		.amdhsa_user_sgpr_count 13
		.amdhsa_user_sgpr_dispatch_ptr 0
		.amdhsa_user_sgpr_queue_ptr 0
		.amdhsa_user_sgpr_kernarg_segment_ptr 1
		.amdhsa_user_sgpr_dispatch_id 0
		.amdhsa_user_sgpr_private_segment_size 0
		.amdhsa_wavefront_size32 1
		.amdhsa_uses_dynamic_stack 0
		.amdhsa_enable_private_segment 0
		.amdhsa_system_sgpr_workgroup_id_x 1
		.amdhsa_system_sgpr_workgroup_id_y 1
		.amdhsa_system_sgpr_workgroup_id_z 1
		.amdhsa_system_sgpr_workgroup_info 0
		.amdhsa_system_vgpr_workitem_id 0
		.amdhsa_next_free_vgpr 140
		.amdhsa_next_free_sgpr 36
		.amdhsa_reserve_vcc 1
		.amdhsa_float_round_mode_32 0
		.amdhsa_float_round_mode_16_64 0
		.amdhsa_float_denorm_mode_32 3
		.amdhsa_float_denorm_mode_16_64 3
		.amdhsa_dx10_clamp 1
		.amdhsa_ieee_mode 1
		.amdhsa_fp16_overflow 0
		.amdhsa_workgroup_processor_mode 1
		.amdhsa_memory_ordered 1
		.amdhsa_forward_progress 0
		.amdhsa_shared_vgpr_count 0
		.amdhsa_exception_fp_ieee_invalid_op 0
		.amdhsa_exception_fp_denorm_src 0
		.amdhsa_exception_fp_ieee_div_zero 0
		.amdhsa_exception_fp_ieee_overflow 0
		.amdhsa_exception_fp_ieee_underflow 0
		.amdhsa_exception_fp_ieee_inexact 0
		.amdhsa_exception_int_div_zero 0
	.end_amdhsa_kernel
	.section	.text._Z39paged_attention_ll4mi_QKV_mfma16_kernelI14__hip_bfloat16hLN4vllm18Fp8KVCacheDataTypeE1ES0_Li16ELi128ELi256ELb1ELi4EL8MFMAType1EEvPKT_PKT0_S9_ifPKiSB_SB_iPKfiiiPfSE_PS4_PT2_iSD_SD_,"axG",@progbits,_Z39paged_attention_ll4mi_QKV_mfma16_kernelI14__hip_bfloat16hLN4vllm18Fp8KVCacheDataTypeE1ES0_Li16ELi128ELi256ELb1ELi4EL8MFMAType1EEvPKT_PKT0_S9_ifPKiSB_SB_iPKfiiiPfSE_PS4_PT2_iSD_SD_,comdat
.Lfunc_end1565:
	.size	_Z39paged_attention_ll4mi_QKV_mfma16_kernelI14__hip_bfloat16hLN4vllm18Fp8KVCacheDataTypeE1ES0_Li16ELi128ELi256ELb1ELi4EL8MFMAType1EEvPKT_PKT0_S9_ifPKiSB_SB_iPKfiiiPfSE_PS4_PT2_iSD_SD_, .Lfunc_end1565-_Z39paged_attention_ll4mi_QKV_mfma16_kernelI14__hip_bfloat16hLN4vllm18Fp8KVCacheDataTypeE1ES0_Li16ELi128ELi256ELb1ELi4EL8MFMAType1EEvPKT_PKT0_S9_ifPKiSB_SB_iPKfiiiPfSE_PS4_PT2_iSD_SD_
                                        ; -- End function
	.section	.AMDGPU.csdata,"",@progbits
; Kernel info:
; codeLenInByte = 8732
; NumSgprs: 38
; NumVgprs: 140
; ScratchSize: 0
; MemoryBound: 0
; FloatMode: 240
; IeeeMode: 1
; LDSByteSize: 17472 bytes/workgroup (compile time only)
; SGPRBlocks: 4
; VGPRBlocks: 17
; NumSGPRsForWavesPerEU: 38
; NumVGPRsForWavesPerEU: 140
; Occupancy: 10
; WaveLimiterHint : 1
; COMPUTE_PGM_RSRC2:SCRATCH_EN: 0
; COMPUTE_PGM_RSRC2:USER_SGPR: 13
; COMPUTE_PGM_RSRC2:TRAP_HANDLER: 0
; COMPUTE_PGM_RSRC2:TGID_X_EN: 1
; COMPUTE_PGM_RSRC2:TGID_Y_EN: 1
; COMPUTE_PGM_RSRC2:TGID_Z_EN: 1
; COMPUTE_PGM_RSRC2:TIDIG_COMP_CNT: 0
	.section	.text._Z38paged_attention_ll4mi_QKV_mfma4_kernelI14__hip_bfloat16hLN4vllm18Fp8KVCacheDataTypeE1ES0_Li16ELi128ELi256ELb0ELi1EEvPKT_PKT0_S8_ifPKiSA_SA_iPKfiiiPfSD_PS3_PT2_iSC_SC_,"axG",@progbits,_Z38paged_attention_ll4mi_QKV_mfma4_kernelI14__hip_bfloat16hLN4vllm18Fp8KVCacheDataTypeE1ES0_Li16ELi128ELi256ELb0ELi1EEvPKT_PKT0_S8_ifPKiSA_SA_iPKfiiiPfSD_PS3_PT2_iSC_SC_,comdat
	.protected	_Z38paged_attention_ll4mi_QKV_mfma4_kernelI14__hip_bfloat16hLN4vllm18Fp8KVCacheDataTypeE1ES0_Li16ELi128ELi256ELb0ELi1EEvPKT_PKT0_S8_ifPKiSA_SA_iPKfiiiPfSD_PS3_PT2_iSC_SC_ ; -- Begin function _Z38paged_attention_ll4mi_QKV_mfma4_kernelI14__hip_bfloat16hLN4vllm18Fp8KVCacheDataTypeE1ES0_Li16ELi128ELi256ELb0ELi1EEvPKT_PKT0_S8_ifPKiSA_SA_iPKfiiiPfSD_PS3_PT2_iSC_SC_
	.globl	_Z38paged_attention_ll4mi_QKV_mfma4_kernelI14__hip_bfloat16hLN4vllm18Fp8KVCacheDataTypeE1ES0_Li16ELi128ELi256ELb0ELi1EEvPKT_PKT0_S8_ifPKiSA_SA_iPKfiiiPfSD_PS3_PT2_iSC_SC_
	.p2align	8
	.type	_Z38paged_attention_ll4mi_QKV_mfma4_kernelI14__hip_bfloat16hLN4vllm18Fp8KVCacheDataTypeE1ES0_Li16ELi128ELi256ELb0ELi1EEvPKT_PKT0_S8_ifPKiSA_SA_iPKfiiiPfSD_PS3_PT2_iSC_SC_,@function
_Z38paged_attention_ll4mi_QKV_mfma4_kernelI14__hip_bfloat16hLN4vllm18Fp8KVCacheDataTypeE1ES0_Li16ELi128ELi256ELb0ELi1EEvPKT_PKT0_S8_ifPKiSA_SA_iPKfiiiPfSD_PS3_PT2_iSC_SC_: ; @_Z38paged_attention_ll4mi_QKV_mfma4_kernelI14__hip_bfloat16hLN4vllm18Fp8KVCacheDataTypeE1ES0_Li16ELi128ELi256ELb0ELi1EEvPKT_PKT0_S8_ifPKiSA_SA_iPKfiiiPfSD_PS3_PT2_iSC_SC_
; %bb.0:
	s_add_u32 s8, s0, 0x90
	s_addc_u32 s9, s1, 0
	s_getpc_b64 s[0:1]
	s_add_u32 s0, s0, __PRETTY_FUNCTION__._Z38paged_attention_ll4mi_QKV_mfma4_kernelI14__hip_bfloat16hLN4vllm18Fp8KVCacheDataTypeE1ES0_Li16ELi128ELi256ELb0ELi1EEvPKT_PKT0_S8_ifPKiSA_SA_iPKfiiiPfSD_PS3_PT2_iSC_SC_@rel32@lo+4
	s_addc_u32 s1, s1, __PRETTY_FUNCTION__._Z38paged_attention_ll4mi_QKV_mfma4_kernelI14__hip_bfloat16hLN4vllm18Fp8KVCacheDataTypeE1ES0_Li16ELi128ELi256ELb0ELi1EEvPKT_PKT0_S8_ifPKiSA_SA_iPKfiiiPfSD_PS3_PT2_iSC_SC_@rel32@hi+12
	s_delay_alu instid0(SALU_CYCLE_1) | instskip(SKIP_4) | instid1(SALU_CYCLE_1)
	v_dual_mov_b32 v0, s0 :: v_dual_mov_b32 v1, s1
	s_mov_b32 s32, 0
	s_getpc_b64 s[2:3]
	s_add_u32 s2, s2, __assert_fail@rel32@lo+4
	s_addc_u32 s3, s3, __assert_fail@rel32@hi+12
	s_swappc_b64 s[30:31], s[2:3]
	.section	.rodata,"a",@progbits
	.p2align	6, 0x0
	.amdhsa_kernel _Z38paged_attention_ll4mi_QKV_mfma4_kernelI14__hip_bfloat16hLN4vllm18Fp8KVCacheDataTypeE1ES0_Li16ELi128ELi256ELb0ELi1EEvPKT_PKT0_S8_ifPKiSA_SA_iPKfiiiPfSD_PS3_PT2_iSC_SC_
		.amdhsa_group_segment_fixed_size 0
		.amdhsa_private_segment_fixed_size 64
		.amdhsa_kernarg_size 400
		.amdhsa_user_sgpr_count 15
		.amdhsa_user_sgpr_dispatch_ptr 0
		.amdhsa_user_sgpr_queue_ptr 0
		.amdhsa_user_sgpr_kernarg_segment_ptr 1
		.amdhsa_user_sgpr_dispatch_id 0
		.amdhsa_user_sgpr_private_segment_size 0
		.amdhsa_wavefront_size32 1
		.amdhsa_uses_dynamic_stack 0
		.amdhsa_enable_private_segment 1
		.amdhsa_system_sgpr_workgroup_id_x 1
		.amdhsa_system_sgpr_workgroup_id_y 0
		.amdhsa_system_sgpr_workgroup_id_z 0
		.amdhsa_system_sgpr_workgroup_info 0
		.amdhsa_system_vgpr_workitem_id 0
		.amdhsa_next_free_vgpr 41
		.amdhsa_next_free_sgpr 34
		.amdhsa_reserve_vcc 1
		.amdhsa_float_round_mode_32 0
		.amdhsa_float_round_mode_16_64 0
		.amdhsa_float_denorm_mode_32 3
		.amdhsa_float_denorm_mode_16_64 3
		.amdhsa_dx10_clamp 1
		.amdhsa_ieee_mode 1
		.amdhsa_fp16_overflow 0
		.amdhsa_workgroup_processor_mode 1
		.amdhsa_memory_ordered 1
		.amdhsa_forward_progress 0
		.amdhsa_shared_vgpr_count 0
		.amdhsa_exception_fp_ieee_invalid_op 0
		.amdhsa_exception_fp_denorm_src 0
		.amdhsa_exception_fp_ieee_div_zero 0
		.amdhsa_exception_fp_ieee_overflow 0
		.amdhsa_exception_fp_ieee_underflow 0
		.amdhsa_exception_fp_ieee_inexact 0
		.amdhsa_exception_int_div_zero 0
	.end_amdhsa_kernel
	.section	.text._Z38paged_attention_ll4mi_QKV_mfma4_kernelI14__hip_bfloat16hLN4vllm18Fp8KVCacheDataTypeE1ES0_Li16ELi128ELi256ELb0ELi1EEvPKT_PKT0_S8_ifPKiSA_SA_iPKfiiiPfSD_PS3_PT2_iSC_SC_,"axG",@progbits,_Z38paged_attention_ll4mi_QKV_mfma4_kernelI14__hip_bfloat16hLN4vllm18Fp8KVCacheDataTypeE1ES0_Li16ELi128ELi256ELb0ELi1EEvPKT_PKT0_S8_ifPKiSA_SA_iPKfiiiPfSD_PS3_PT2_iSC_SC_,comdat
.Lfunc_end1566:
	.size	_Z38paged_attention_ll4mi_QKV_mfma4_kernelI14__hip_bfloat16hLN4vllm18Fp8KVCacheDataTypeE1ES0_Li16ELi128ELi256ELb0ELi1EEvPKT_PKT0_S8_ifPKiSA_SA_iPKfiiiPfSD_PS3_PT2_iSC_SC_, .Lfunc_end1566-_Z38paged_attention_ll4mi_QKV_mfma4_kernelI14__hip_bfloat16hLN4vllm18Fp8KVCacheDataTypeE1ES0_Li16ELi128ELi256ELb0ELi1EEvPKT_PKT0_S8_ifPKiSA_SA_iPKfiiiPfSD_PS3_PT2_iSC_SC_
                                        ; -- End function
	.section	.AMDGPU.csdata,"",@progbits
; Kernel info:
; codeLenInByte = 72
; NumSgprs: 36
; NumVgprs: 41
; ScratchSize: 64
; MemoryBound: 0
; FloatMode: 240
; IeeeMode: 1
; LDSByteSize: 0 bytes/workgroup (compile time only)
; SGPRBlocks: 4
; VGPRBlocks: 5
; NumSGPRsForWavesPerEU: 36
; NumVGPRsForWavesPerEU: 41
; Occupancy: 16
; WaveLimiterHint : 1
; COMPUTE_PGM_RSRC2:SCRATCH_EN: 1
; COMPUTE_PGM_RSRC2:USER_SGPR: 15
; COMPUTE_PGM_RSRC2:TRAP_HANDLER: 0
; COMPUTE_PGM_RSRC2:TGID_X_EN: 1
; COMPUTE_PGM_RSRC2:TGID_Y_EN: 0
; COMPUTE_PGM_RSRC2:TGID_Z_EN: 0
; COMPUTE_PGM_RSRC2:TIDIG_COMP_CNT: 0
	.section	.text._Z38paged_attention_ll4mi_QKV_mfma4_kernelI14__hip_bfloat16hLN4vllm18Fp8KVCacheDataTypeE1ES0_Li16ELi128ELi256ELb0ELi2EEvPKT_PKT0_S8_ifPKiSA_SA_iPKfiiiPfSD_PS3_PT2_iSC_SC_,"axG",@progbits,_Z38paged_attention_ll4mi_QKV_mfma4_kernelI14__hip_bfloat16hLN4vllm18Fp8KVCacheDataTypeE1ES0_Li16ELi128ELi256ELb0ELi2EEvPKT_PKT0_S8_ifPKiSA_SA_iPKfiiiPfSD_PS3_PT2_iSC_SC_,comdat
	.protected	_Z38paged_attention_ll4mi_QKV_mfma4_kernelI14__hip_bfloat16hLN4vllm18Fp8KVCacheDataTypeE1ES0_Li16ELi128ELi256ELb0ELi2EEvPKT_PKT0_S8_ifPKiSA_SA_iPKfiiiPfSD_PS3_PT2_iSC_SC_ ; -- Begin function _Z38paged_attention_ll4mi_QKV_mfma4_kernelI14__hip_bfloat16hLN4vllm18Fp8KVCacheDataTypeE1ES0_Li16ELi128ELi256ELb0ELi2EEvPKT_PKT0_S8_ifPKiSA_SA_iPKfiiiPfSD_PS3_PT2_iSC_SC_
	.globl	_Z38paged_attention_ll4mi_QKV_mfma4_kernelI14__hip_bfloat16hLN4vllm18Fp8KVCacheDataTypeE1ES0_Li16ELi128ELi256ELb0ELi2EEvPKT_PKT0_S8_ifPKiSA_SA_iPKfiiiPfSD_PS3_PT2_iSC_SC_
	.p2align	8
	.type	_Z38paged_attention_ll4mi_QKV_mfma4_kernelI14__hip_bfloat16hLN4vllm18Fp8KVCacheDataTypeE1ES0_Li16ELi128ELi256ELb0ELi2EEvPKT_PKT0_S8_ifPKiSA_SA_iPKfiiiPfSD_PS3_PT2_iSC_SC_,@function
_Z38paged_attention_ll4mi_QKV_mfma4_kernelI14__hip_bfloat16hLN4vllm18Fp8KVCacheDataTypeE1ES0_Li16ELi128ELi256ELb0ELi2EEvPKT_PKT0_S8_ifPKiSA_SA_iPKfiiiPfSD_PS3_PT2_iSC_SC_: ; @_Z38paged_attention_ll4mi_QKV_mfma4_kernelI14__hip_bfloat16hLN4vllm18Fp8KVCacheDataTypeE1ES0_Li16ELi128ELi256ELb0ELi2EEvPKT_PKT0_S8_ifPKiSA_SA_iPKfiiiPfSD_PS3_PT2_iSC_SC_
; %bb.0:
	s_add_u32 s8, s0, 0x90
	s_addc_u32 s9, s1, 0
	s_getpc_b64 s[0:1]
	s_add_u32 s0, s0, __PRETTY_FUNCTION__._Z38paged_attention_ll4mi_QKV_mfma4_kernelI14__hip_bfloat16hLN4vllm18Fp8KVCacheDataTypeE1ES0_Li16ELi128ELi256ELb0ELi2EEvPKT_PKT0_S8_ifPKiSA_SA_iPKfiiiPfSD_PS3_PT2_iSC_SC_@rel32@lo+4
	s_addc_u32 s1, s1, __PRETTY_FUNCTION__._Z38paged_attention_ll4mi_QKV_mfma4_kernelI14__hip_bfloat16hLN4vllm18Fp8KVCacheDataTypeE1ES0_Li16ELi128ELi256ELb0ELi2EEvPKT_PKT0_S8_ifPKiSA_SA_iPKfiiiPfSD_PS3_PT2_iSC_SC_@rel32@hi+12
	s_delay_alu instid0(SALU_CYCLE_1) | instskip(SKIP_4) | instid1(SALU_CYCLE_1)
	v_dual_mov_b32 v0, s0 :: v_dual_mov_b32 v1, s1
	s_mov_b32 s32, 0
	s_getpc_b64 s[2:3]
	s_add_u32 s2, s2, __assert_fail@rel32@lo+4
	s_addc_u32 s3, s3, __assert_fail@rel32@hi+12
	s_swappc_b64 s[30:31], s[2:3]
	.section	.rodata,"a",@progbits
	.p2align	6, 0x0
	.amdhsa_kernel _Z38paged_attention_ll4mi_QKV_mfma4_kernelI14__hip_bfloat16hLN4vllm18Fp8KVCacheDataTypeE1ES0_Li16ELi128ELi256ELb0ELi2EEvPKT_PKT0_S8_ifPKiSA_SA_iPKfiiiPfSD_PS3_PT2_iSC_SC_
		.amdhsa_group_segment_fixed_size 0
		.amdhsa_private_segment_fixed_size 64
		.amdhsa_kernarg_size 400
		.amdhsa_user_sgpr_count 15
		.amdhsa_user_sgpr_dispatch_ptr 0
		.amdhsa_user_sgpr_queue_ptr 0
		.amdhsa_user_sgpr_kernarg_segment_ptr 1
		.amdhsa_user_sgpr_dispatch_id 0
		.amdhsa_user_sgpr_private_segment_size 0
		.amdhsa_wavefront_size32 1
		.amdhsa_uses_dynamic_stack 0
		.amdhsa_enable_private_segment 1
		.amdhsa_system_sgpr_workgroup_id_x 1
		.amdhsa_system_sgpr_workgroup_id_y 0
		.amdhsa_system_sgpr_workgroup_id_z 0
		.amdhsa_system_sgpr_workgroup_info 0
		.amdhsa_system_vgpr_workitem_id 0
		.amdhsa_next_free_vgpr 41
		.amdhsa_next_free_sgpr 34
		.amdhsa_reserve_vcc 1
		.amdhsa_float_round_mode_32 0
		.amdhsa_float_round_mode_16_64 0
		.amdhsa_float_denorm_mode_32 3
		.amdhsa_float_denorm_mode_16_64 3
		.amdhsa_dx10_clamp 1
		.amdhsa_ieee_mode 1
		.amdhsa_fp16_overflow 0
		.amdhsa_workgroup_processor_mode 1
		.amdhsa_memory_ordered 1
		.amdhsa_forward_progress 0
		.amdhsa_shared_vgpr_count 0
		.amdhsa_exception_fp_ieee_invalid_op 0
		.amdhsa_exception_fp_denorm_src 0
		.amdhsa_exception_fp_ieee_div_zero 0
		.amdhsa_exception_fp_ieee_overflow 0
		.amdhsa_exception_fp_ieee_underflow 0
		.amdhsa_exception_fp_ieee_inexact 0
		.amdhsa_exception_int_div_zero 0
	.end_amdhsa_kernel
	.section	.text._Z38paged_attention_ll4mi_QKV_mfma4_kernelI14__hip_bfloat16hLN4vllm18Fp8KVCacheDataTypeE1ES0_Li16ELi128ELi256ELb0ELi2EEvPKT_PKT0_S8_ifPKiSA_SA_iPKfiiiPfSD_PS3_PT2_iSC_SC_,"axG",@progbits,_Z38paged_attention_ll4mi_QKV_mfma4_kernelI14__hip_bfloat16hLN4vllm18Fp8KVCacheDataTypeE1ES0_Li16ELi128ELi256ELb0ELi2EEvPKT_PKT0_S8_ifPKiSA_SA_iPKfiiiPfSD_PS3_PT2_iSC_SC_,comdat
.Lfunc_end1567:
	.size	_Z38paged_attention_ll4mi_QKV_mfma4_kernelI14__hip_bfloat16hLN4vllm18Fp8KVCacheDataTypeE1ES0_Li16ELi128ELi256ELb0ELi2EEvPKT_PKT0_S8_ifPKiSA_SA_iPKfiiiPfSD_PS3_PT2_iSC_SC_, .Lfunc_end1567-_Z38paged_attention_ll4mi_QKV_mfma4_kernelI14__hip_bfloat16hLN4vllm18Fp8KVCacheDataTypeE1ES0_Li16ELi128ELi256ELb0ELi2EEvPKT_PKT0_S8_ifPKiSA_SA_iPKfiiiPfSD_PS3_PT2_iSC_SC_
                                        ; -- End function
	.section	.AMDGPU.csdata,"",@progbits
; Kernel info:
; codeLenInByte = 72
; NumSgprs: 36
; NumVgprs: 41
; ScratchSize: 64
; MemoryBound: 0
; FloatMode: 240
; IeeeMode: 1
; LDSByteSize: 0 bytes/workgroup (compile time only)
; SGPRBlocks: 4
; VGPRBlocks: 5
; NumSGPRsForWavesPerEU: 36
; NumVGPRsForWavesPerEU: 41
; Occupancy: 16
; WaveLimiterHint : 1
; COMPUTE_PGM_RSRC2:SCRATCH_EN: 1
; COMPUTE_PGM_RSRC2:USER_SGPR: 15
; COMPUTE_PGM_RSRC2:TRAP_HANDLER: 0
; COMPUTE_PGM_RSRC2:TGID_X_EN: 1
; COMPUTE_PGM_RSRC2:TGID_Y_EN: 0
; COMPUTE_PGM_RSRC2:TGID_Z_EN: 0
; COMPUTE_PGM_RSRC2:TIDIG_COMP_CNT: 0
	.section	.text._Z38paged_attention_ll4mi_QKV_mfma4_kernelI14__hip_bfloat16hLN4vllm18Fp8KVCacheDataTypeE1ES0_Li16ELi128ELi256ELb0ELi3EEvPKT_PKT0_S8_ifPKiSA_SA_iPKfiiiPfSD_PS3_PT2_iSC_SC_,"axG",@progbits,_Z38paged_attention_ll4mi_QKV_mfma4_kernelI14__hip_bfloat16hLN4vllm18Fp8KVCacheDataTypeE1ES0_Li16ELi128ELi256ELb0ELi3EEvPKT_PKT0_S8_ifPKiSA_SA_iPKfiiiPfSD_PS3_PT2_iSC_SC_,comdat
	.protected	_Z38paged_attention_ll4mi_QKV_mfma4_kernelI14__hip_bfloat16hLN4vllm18Fp8KVCacheDataTypeE1ES0_Li16ELi128ELi256ELb0ELi3EEvPKT_PKT0_S8_ifPKiSA_SA_iPKfiiiPfSD_PS3_PT2_iSC_SC_ ; -- Begin function _Z38paged_attention_ll4mi_QKV_mfma4_kernelI14__hip_bfloat16hLN4vllm18Fp8KVCacheDataTypeE1ES0_Li16ELi128ELi256ELb0ELi3EEvPKT_PKT0_S8_ifPKiSA_SA_iPKfiiiPfSD_PS3_PT2_iSC_SC_
	.globl	_Z38paged_attention_ll4mi_QKV_mfma4_kernelI14__hip_bfloat16hLN4vllm18Fp8KVCacheDataTypeE1ES0_Li16ELi128ELi256ELb0ELi3EEvPKT_PKT0_S8_ifPKiSA_SA_iPKfiiiPfSD_PS3_PT2_iSC_SC_
	.p2align	8
	.type	_Z38paged_attention_ll4mi_QKV_mfma4_kernelI14__hip_bfloat16hLN4vllm18Fp8KVCacheDataTypeE1ES0_Li16ELi128ELi256ELb0ELi3EEvPKT_PKT0_S8_ifPKiSA_SA_iPKfiiiPfSD_PS3_PT2_iSC_SC_,@function
_Z38paged_attention_ll4mi_QKV_mfma4_kernelI14__hip_bfloat16hLN4vllm18Fp8KVCacheDataTypeE1ES0_Li16ELi128ELi256ELb0ELi3EEvPKT_PKT0_S8_ifPKiSA_SA_iPKfiiiPfSD_PS3_PT2_iSC_SC_: ; @_Z38paged_attention_ll4mi_QKV_mfma4_kernelI14__hip_bfloat16hLN4vllm18Fp8KVCacheDataTypeE1ES0_Li16ELi128ELi256ELb0ELi3EEvPKT_PKT0_S8_ifPKiSA_SA_iPKfiiiPfSD_PS3_PT2_iSC_SC_
; %bb.0:
	s_add_u32 s8, s0, 0x90
	s_addc_u32 s9, s1, 0
	s_getpc_b64 s[0:1]
	s_add_u32 s0, s0, __PRETTY_FUNCTION__._Z38paged_attention_ll4mi_QKV_mfma4_kernelI14__hip_bfloat16hLN4vllm18Fp8KVCacheDataTypeE1ES0_Li16ELi128ELi256ELb0ELi3EEvPKT_PKT0_S8_ifPKiSA_SA_iPKfiiiPfSD_PS3_PT2_iSC_SC_@rel32@lo+4
	s_addc_u32 s1, s1, __PRETTY_FUNCTION__._Z38paged_attention_ll4mi_QKV_mfma4_kernelI14__hip_bfloat16hLN4vllm18Fp8KVCacheDataTypeE1ES0_Li16ELi128ELi256ELb0ELi3EEvPKT_PKT0_S8_ifPKiSA_SA_iPKfiiiPfSD_PS3_PT2_iSC_SC_@rel32@hi+12
	s_delay_alu instid0(SALU_CYCLE_1) | instskip(SKIP_4) | instid1(SALU_CYCLE_1)
	v_dual_mov_b32 v0, s0 :: v_dual_mov_b32 v1, s1
	s_mov_b32 s32, 0
	s_getpc_b64 s[2:3]
	s_add_u32 s2, s2, __assert_fail@rel32@lo+4
	s_addc_u32 s3, s3, __assert_fail@rel32@hi+12
	s_swappc_b64 s[30:31], s[2:3]
	.section	.rodata,"a",@progbits
	.p2align	6, 0x0
	.amdhsa_kernel _Z38paged_attention_ll4mi_QKV_mfma4_kernelI14__hip_bfloat16hLN4vllm18Fp8KVCacheDataTypeE1ES0_Li16ELi128ELi256ELb0ELi3EEvPKT_PKT0_S8_ifPKiSA_SA_iPKfiiiPfSD_PS3_PT2_iSC_SC_
		.amdhsa_group_segment_fixed_size 0
		.amdhsa_private_segment_fixed_size 64
		.amdhsa_kernarg_size 400
		.amdhsa_user_sgpr_count 15
		.amdhsa_user_sgpr_dispatch_ptr 0
		.amdhsa_user_sgpr_queue_ptr 0
		.amdhsa_user_sgpr_kernarg_segment_ptr 1
		.amdhsa_user_sgpr_dispatch_id 0
		.amdhsa_user_sgpr_private_segment_size 0
		.amdhsa_wavefront_size32 1
		.amdhsa_uses_dynamic_stack 0
		.amdhsa_enable_private_segment 1
		.amdhsa_system_sgpr_workgroup_id_x 1
		.amdhsa_system_sgpr_workgroup_id_y 0
		.amdhsa_system_sgpr_workgroup_id_z 0
		.amdhsa_system_sgpr_workgroup_info 0
		.amdhsa_system_vgpr_workitem_id 0
		.amdhsa_next_free_vgpr 41
		.amdhsa_next_free_sgpr 34
		.amdhsa_reserve_vcc 1
		.amdhsa_float_round_mode_32 0
		.amdhsa_float_round_mode_16_64 0
		.amdhsa_float_denorm_mode_32 3
		.amdhsa_float_denorm_mode_16_64 3
		.amdhsa_dx10_clamp 1
		.amdhsa_ieee_mode 1
		.amdhsa_fp16_overflow 0
		.amdhsa_workgroup_processor_mode 1
		.amdhsa_memory_ordered 1
		.amdhsa_forward_progress 0
		.amdhsa_shared_vgpr_count 0
		.amdhsa_exception_fp_ieee_invalid_op 0
		.amdhsa_exception_fp_denorm_src 0
		.amdhsa_exception_fp_ieee_div_zero 0
		.amdhsa_exception_fp_ieee_overflow 0
		.amdhsa_exception_fp_ieee_underflow 0
		.amdhsa_exception_fp_ieee_inexact 0
		.amdhsa_exception_int_div_zero 0
	.end_amdhsa_kernel
	.section	.text._Z38paged_attention_ll4mi_QKV_mfma4_kernelI14__hip_bfloat16hLN4vllm18Fp8KVCacheDataTypeE1ES0_Li16ELi128ELi256ELb0ELi3EEvPKT_PKT0_S8_ifPKiSA_SA_iPKfiiiPfSD_PS3_PT2_iSC_SC_,"axG",@progbits,_Z38paged_attention_ll4mi_QKV_mfma4_kernelI14__hip_bfloat16hLN4vllm18Fp8KVCacheDataTypeE1ES0_Li16ELi128ELi256ELb0ELi3EEvPKT_PKT0_S8_ifPKiSA_SA_iPKfiiiPfSD_PS3_PT2_iSC_SC_,comdat
.Lfunc_end1568:
	.size	_Z38paged_attention_ll4mi_QKV_mfma4_kernelI14__hip_bfloat16hLN4vllm18Fp8KVCacheDataTypeE1ES0_Li16ELi128ELi256ELb0ELi3EEvPKT_PKT0_S8_ifPKiSA_SA_iPKfiiiPfSD_PS3_PT2_iSC_SC_, .Lfunc_end1568-_Z38paged_attention_ll4mi_QKV_mfma4_kernelI14__hip_bfloat16hLN4vllm18Fp8KVCacheDataTypeE1ES0_Li16ELi128ELi256ELb0ELi3EEvPKT_PKT0_S8_ifPKiSA_SA_iPKfiiiPfSD_PS3_PT2_iSC_SC_
                                        ; -- End function
	.section	.AMDGPU.csdata,"",@progbits
; Kernel info:
; codeLenInByte = 72
; NumSgprs: 36
; NumVgprs: 41
; ScratchSize: 64
; MemoryBound: 0
; FloatMode: 240
; IeeeMode: 1
; LDSByteSize: 0 bytes/workgroup (compile time only)
; SGPRBlocks: 4
; VGPRBlocks: 5
; NumSGPRsForWavesPerEU: 36
; NumVGPRsForWavesPerEU: 41
; Occupancy: 16
; WaveLimiterHint : 1
; COMPUTE_PGM_RSRC2:SCRATCH_EN: 1
; COMPUTE_PGM_RSRC2:USER_SGPR: 15
; COMPUTE_PGM_RSRC2:TRAP_HANDLER: 0
; COMPUTE_PGM_RSRC2:TGID_X_EN: 1
; COMPUTE_PGM_RSRC2:TGID_Y_EN: 0
; COMPUTE_PGM_RSRC2:TGID_Z_EN: 0
; COMPUTE_PGM_RSRC2:TIDIG_COMP_CNT: 0
	.section	.text._Z38paged_attention_ll4mi_QKV_mfma4_kernelI14__hip_bfloat16hLN4vllm18Fp8KVCacheDataTypeE1ES0_Li16ELi128ELi256ELb0ELi4EEvPKT_PKT0_S8_ifPKiSA_SA_iPKfiiiPfSD_PS3_PT2_iSC_SC_,"axG",@progbits,_Z38paged_attention_ll4mi_QKV_mfma4_kernelI14__hip_bfloat16hLN4vllm18Fp8KVCacheDataTypeE1ES0_Li16ELi128ELi256ELb0ELi4EEvPKT_PKT0_S8_ifPKiSA_SA_iPKfiiiPfSD_PS3_PT2_iSC_SC_,comdat
	.protected	_Z38paged_attention_ll4mi_QKV_mfma4_kernelI14__hip_bfloat16hLN4vllm18Fp8KVCacheDataTypeE1ES0_Li16ELi128ELi256ELb0ELi4EEvPKT_PKT0_S8_ifPKiSA_SA_iPKfiiiPfSD_PS3_PT2_iSC_SC_ ; -- Begin function _Z38paged_attention_ll4mi_QKV_mfma4_kernelI14__hip_bfloat16hLN4vllm18Fp8KVCacheDataTypeE1ES0_Li16ELi128ELi256ELb0ELi4EEvPKT_PKT0_S8_ifPKiSA_SA_iPKfiiiPfSD_PS3_PT2_iSC_SC_
	.globl	_Z38paged_attention_ll4mi_QKV_mfma4_kernelI14__hip_bfloat16hLN4vllm18Fp8KVCacheDataTypeE1ES0_Li16ELi128ELi256ELb0ELi4EEvPKT_PKT0_S8_ifPKiSA_SA_iPKfiiiPfSD_PS3_PT2_iSC_SC_
	.p2align	8
	.type	_Z38paged_attention_ll4mi_QKV_mfma4_kernelI14__hip_bfloat16hLN4vllm18Fp8KVCacheDataTypeE1ES0_Li16ELi128ELi256ELb0ELi4EEvPKT_PKT0_S8_ifPKiSA_SA_iPKfiiiPfSD_PS3_PT2_iSC_SC_,@function
_Z38paged_attention_ll4mi_QKV_mfma4_kernelI14__hip_bfloat16hLN4vllm18Fp8KVCacheDataTypeE1ES0_Li16ELi128ELi256ELb0ELi4EEvPKT_PKT0_S8_ifPKiSA_SA_iPKfiiiPfSD_PS3_PT2_iSC_SC_: ; @_Z38paged_attention_ll4mi_QKV_mfma4_kernelI14__hip_bfloat16hLN4vllm18Fp8KVCacheDataTypeE1ES0_Li16ELi128ELi256ELb0ELi4EEvPKT_PKT0_S8_ifPKiSA_SA_iPKfiiiPfSD_PS3_PT2_iSC_SC_
; %bb.0:
	s_add_u32 s8, s0, 0x90
	s_addc_u32 s9, s1, 0
	s_getpc_b64 s[0:1]
	s_add_u32 s0, s0, __PRETTY_FUNCTION__._Z38paged_attention_ll4mi_QKV_mfma4_kernelI14__hip_bfloat16hLN4vllm18Fp8KVCacheDataTypeE1ES0_Li16ELi128ELi256ELb0ELi4EEvPKT_PKT0_S8_ifPKiSA_SA_iPKfiiiPfSD_PS3_PT2_iSC_SC_@rel32@lo+4
	s_addc_u32 s1, s1, __PRETTY_FUNCTION__._Z38paged_attention_ll4mi_QKV_mfma4_kernelI14__hip_bfloat16hLN4vllm18Fp8KVCacheDataTypeE1ES0_Li16ELi128ELi256ELb0ELi4EEvPKT_PKT0_S8_ifPKiSA_SA_iPKfiiiPfSD_PS3_PT2_iSC_SC_@rel32@hi+12
	s_delay_alu instid0(SALU_CYCLE_1) | instskip(SKIP_4) | instid1(SALU_CYCLE_1)
	v_dual_mov_b32 v0, s0 :: v_dual_mov_b32 v1, s1
	s_mov_b32 s32, 0
	s_getpc_b64 s[2:3]
	s_add_u32 s2, s2, __assert_fail@rel32@lo+4
	s_addc_u32 s3, s3, __assert_fail@rel32@hi+12
	s_swappc_b64 s[30:31], s[2:3]
	.section	.rodata,"a",@progbits
	.p2align	6, 0x0
	.amdhsa_kernel _Z38paged_attention_ll4mi_QKV_mfma4_kernelI14__hip_bfloat16hLN4vllm18Fp8KVCacheDataTypeE1ES0_Li16ELi128ELi256ELb0ELi4EEvPKT_PKT0_S8_ifPKiSA_SA_iPKfiiiPfSD_PS3_PT2_iSC_SC_
		.amdhsa_group_segment_fixed_size 0
		.amdhsa_private_segment_fixed_size 64
		.amdhsa_kernarg_size 400
		.amdhsa_user_sgpr_count 15
		.amdhsa_user_sgpr_dispatch_ptr 0
		.amdhsa_user_sgpr_queue_ptr 0
		.amdhsa_user_sgpr_kernarg_segment_ptr 1
		.amdhsa_user_sgpr_dispatch_id 0
		.amdhsa_user_sgpr_private_segment_size 0
		.amdhsa_wavefront_size32 1
		.amdhsa_uses_dynamic_stack 0
		.amdhsa_enable_private_segment 1
		.amdhsa_system_sgpr_workgroup_id_x 1
		.amdhsa_system_sgpr_workgroup_id_y 0
		.amdhsa_system_sgpr_workgroup_id_z 0
		.amdhsa_system_sgpr_workgroup_info 0
		.amdhsa_system_vgpr_workitem_id 0
		.amdhsa_next_free_vgpr 41
		.amdhsa_next_free_sgpr 34
		.amdhsa_reserve_vcc 1
		.amdhsa_float_round_mode_32 0
		.amdhsa_float_round_mode_16_64 0
		.amdhsa_float_denorm_mode_32 3
		.amdhsa_float_denorm_mode_16_64 3
		.amdhsa_dx10_clamp 1
		.amdhsa_ieee_mode 1
		.amdhsa_fp16_overflow 0
		.amdhsa_workgroup_processor_mode 1
		.amdhsa_memory_ordered 1
		.amdhsa_forward_progress 0
		.amdhsa_shared_vgpr_count 0
		.amdhsa_exception_fp_ieee_invalid_op 0
		.amdhsa_exception_fp_denorm_src 0
		.amdhsa_exception_fp_ieee_div_zero 0
		.amdhsa_exception_fp_ieee_overflow 0
		.amdhsa_exception_fp_ieee_underflow 0
		.amdhsa_exception_fp_ieee_inexact 0
		.amdhsa_exception_int_div_zero 0
	.end_amdhsa_kernel
	.section	.text._Z38paged_attention_ll4mi_QKV_mfma4_kernelI14__hip_bfloat16hLN4vllm18Fp8KVCacheDataTypeE1ES0_Li16ELi128ELi256ELb0ELi4EEvPKT_PKT0_S8_ifPKiSA_SA_iPKfiiiPfSD_PS3_PT2_iSC_SC_,"axG",@progbits,_Z38paged_attention_ll4mi_QKV_mfma4_kernelI14__hip_bfloat16hLN4vllm18Fp8KVCacheDataTypeE1ES0_Li16ELi128ELi256ELb0ELi4EEvPKT_PKT0_S8_ifPKiSA_SA_iPKfiiiPfSD_PS3_PT2_iSC_SC_,comdat
.Lfunc_end1569:
	.size	_Z38paged_attention_ll4mi_QKV_mfma4_kernelI14__hip_bfloat16hLN4vllm18Fp8KVCacheDataTypeE1ES0_Li16ELi128ELi256ELb0ELi4EEvPKT_PKT0_S8_ifPKiSA_SA_iPKfiiiPfSD_PS3_PT2_iSC_SC_, .Lfunc_end1569-_Z38paged_attention_ll4mi_QKV_mfma4_kernelI14__hip_bfloat16hLN4vllm18Fp8KVCacheDataTypeE1ES0_Li16ELi128ELi256ELb0ELi4EEvPKT_PKT0_S8_ifPKiSA_SA_iPKfiiiPfSD_PS3_PT2_iSC_SC_
                                        ; -- End function
	.section	.AMDGPU.csdata,"",@progbits
; Kernel info:
; codeLenInByte = 72
; NumSgprs: 36
; NumVgprs: 41
; ScratchSize: 64
; MemoryBound: 0
; FloatMode: 240
; IeeeMode: 1
; LDSByteSize: 0 bytes/workgroup (compile time only)
; SGPRBlocks: 4
; VGPRBlocks: 5
; NumSGPRsForWavesPerEU: 36
; NumVGPRsForWavesPerEU: 41
; Occupancy: 16
; WaveLimiterHint : 1
; COMPUTE_PGM_RSRC2:SCRATCH_EN: 1
; COMPUTE_PGM_RSRC2:USER_SGPR: 15
; COMPUTE_PGM_RSRC2:TRAP_HANDLER: 0
; COMPUTE_PGM_RSRC2:TGID_X_EN: 1
; COMPUTE_PGM_RSRC2:TGID_Y_EN: 0
; COMPUTE_PGM_RSRC2:TGID_Z_EN: 0
; COMPUTE_PGM_RSRC2:TIDIG_COMP_CNT: 0
	.section	.text._Z39paged_attention_ll4mi_QKV_mfma16_kernelI14__hip_bfloat16hLN4vllm18Fp8KVCacheDataTypeE1ES0_Li16ELi128ELi256ELb0ELi5EL8MFMAType1EEvPKT_PKT0_S9_ifPKiSB_SB_iPKfiiiPfSE_PS4_PT2_iSD_SD_,"axG",@progbits,_Z39paged_attention_ll4mi_QKV_mfma16_kernelI14__hip_bfloat16hLN4vllm18Fp8KVCacheDataTypeE1ES0_Li16ELi128ELi256ELb0ELi5EL8MFMAType1EEvPKT_PKT0_S9_ifPKiSB_SB_iPKfiiiPfSE_PS4_PT2_iSD_SD_,comdat
	.protected	_Z39paged_attention_ll4mi_QKV_mfma16_kernelI14__hip_bfloat16hLN4vllm18Fp8KVCacheDataTypeE1ES0_Li16ELi128ELi256ELb0ELi5EL8MFMAType1EEvPKT_PKT0_S9_ifPKiSB_SB_iPKfiiiPfSE_PS4_PT2_iSD_SD_ ; -- Begin function _Z39paged_attention_ll4mi_QKV_mfma16_kernelI14__hip_bfloat16hLN4vllm18Fp8KVCacheDataTypeE1ES0_Li16ELi128ELi256ELb0ELi5EL8MFMAType1EEvPKT_PKT0_S9_ifPKiSB_SB_iPKfiiiPfSE_PS4_PT2_iSD_SD_
	.globl	_Z39paged_attention_ll4mi_QKV_mfma16_kernelI14__hip_bfloat16hLN4vllm18Fp8KVCacheDataTypeE1ES0_Li16ELi128ELi256ELb0ELi5EL8MFMAType1EEvPKT_PKT0_S9_ifPKiSB_SB_iPKfiiiPfSE_PS4_PT2_iSD_SD_
	.p2align	8
	.type	_Z39paged_attention_ll4mi_QKV_mfma16_kernelI14__hip_bfloat16hLN4vllm18Fp8KVCacheDataTypeE1ES0_Li16ELi128ELi256ELb0ELi5EL8MFMAType1EEvPKT_PKT0_S9_ifPKiSB_SB_iPKfiiiPfSE_PS4_PT2_iSD_SD_,@function
_Z39paged_attention_ll4mi_QKV_mfma16_kernelI14__hip_bfloat16hLN4vllm18Fp8KVCacheDataTypeE1ES0_Li16ELi128ELi256ELb0ELi5EL8MFMAType1EEvPKT_PKT0_S9_ifPKiSB_SB_iPKfiiiPfSE_PS4_PT2_iSD_SD_: ; @_Z39paged_attention_ll4mi_QKV_mfma16_kernelI14__hip_bfloat16hLN4vllm18Fp8KVCacheDataTypeE1ES0_Li16ELi128ELi256ELb0ELi5EL8MFMAType1EEvPKT_PKT0_S9_ifPKiSB_SB_iPKfiiiPfSE_PS4_PT2_iSD_SD_
; %bb.0:
	s_load_b64 s[4:5], s[0:1], 0x30
	s_mov_b32 s30, s13
	s_waitcnt lgkmcnt(0)
	s_cmp_lg_u64 s[4:5], 0
	s_cselect_b32 s13, -1, 0
	s_ashr_i32 s31, s30, 31
	s_cmp_eq_u64 s[4:5], 0
	s_cbranch_scc1 .LBB1570_3
; %bb.1:
	s_lshl_b64 s[2:3], s[30:31], 2
	s_delay_alu instid0(SALU_CYCLE_1) | instskip(SKIP_4) | instid1(SALU_CYCLE_1)
	s_add_u32 s2, s4, s2
	s_addc_u32 s3, s5, s3
	s_load_b64 s[2:3], s[2:3], 0x0
	s_waitcnt lgkmcnt(0)
	s_sub_i32 s2, s3, s2
	s_cmp_eq_u32 s2, 1
	s_cselect_b32 s2, -1, 0
	s_delay_alu instid0(SALU_CYCLE_1)
	s_and_not1_b32 vcc_lo, exec_lo, s2
	s_cbranch_vccz .LBB1570_4
.LBB1570_2:
	s_nop 0
	s_sendmsg sendmsg(MSG_DEALLOC_VGPRS)
	s_endpgm
.LBB1570_3:
.LBB1570_4:
	s_load_b64 s[2:3], s[0:1], 0x28
	s_lshl_b64 s[6:7], s[30:31], 2
	s_waitcnt lgkmcnt(0)
	s_add_u32 s2, s2, s6
	s_addc_u32 s3, s3, s7
	s_lshl_b32 s12, s14, 8
	s_load_b32 s17, s[2:3], 0x0
	s_waitcnt lgkmcnt(0)
	s_cmp_ge_i32 s12, s17
	s_cbranch_scc1 .LBB1570_2
; %bb.5:
	s_clause 0x1
	s_load_b128 s[8:11], s[0:1], 0x8
	s_load_b64 s[2:3], s[0:1], 0x20
	s_and_not1_b32 vcc_lo, exec_lo, s13
	s_cbranch_vccnz .LBB1570_7
; %bb.6:
	s_add_u32 s4, s4, s6
	s_addc_u32 s5, s5, s7
	s_load_b32 s13, s[4:5], 0x0
	s_branch .LBB1570_8
.LBB1570_7:
	s_mov_b32 s13, s30
.LBB1570_8:
	s_load_b128 s[4:7], s[0:1], 0x48
	v_and_b32_e32 v65, 15, v0
	v_lshrrev_b32_e32 v66, 5, v0
	v_bfe_u32 v74, v0, 4, 1
	v_and_b32_e32 v67, 31, v0
	v_and_b32_e32 v75, 1, v0
	v_lshlrev_b32_e32 v2, 3, v65
	s_mul_i32 s31, s15, 5
	v_lshl_or_b32 v1, v66, 1, v74
	s_waitcnt lgkmcnt(0)
	s_mov_b32 s7, exec_lo
	v_lshlrev_b32_e32 v73, 1, v2
	s_delay_alu instid0(VALU_DEP_2)
	v_cmpx_gt_u32_e32 5, v1
	s_cbranch_execz .LBB1570_10
; %bb.9:
	s_load_b64 s[18:19], s[0:1], 0x0
	v_add_lshl_u32 v2, v1, s31, 7
	s_mul_hi_i32 s21, s13, s4
	s_mul_i32 s20, s13, s4
	v_lshlrev_b32_e32 v6, 10, v65
	s_lshl_b64 s[20:21], s[20:21], 1
	v_ashrrev_i32_e32 v3, 31, v2
	v_lshlrev_b32_e32 v1, 6, v1
	v_lshlrev_b32_e32 v7, 10, v75
	v_and_b32_e32 v6, 0x3800, v6
	s_delay_alu instid0(VALU_DEP_4) | instskip(NEXT) | instid1(VALU_DEP_2)
	v_lshlrev_b64 v[2:3], 1, v[2:3]
	v_or3_b32 v1, v6, v7, v1
	s_waitcnt lgkmcnt(0)
	s_add_u32 s4, s18, s20
	s_addc_u32 s13, s19, s21
	s_delay_alu instid0(VALU_DEP_2) | instskip(SKIP_1) | instid1(VALU_DEP_2)
	v_add_co_u32 v2, vcc_lo, s4, v2
	v_add_co_ci_u32_e32 v3, vcc_lo, s13, v3, vcc_lo
	v_add_co_u32 v2, vcc_lo, v2, v73
	s_delay_alu instid0(VALU_DEP_2)
	v_add_co_ci_u32_e32 v3, vcc_lo, 0, v3, vcc_lo
	global_load_b128 v[2:5], v[2:3], off
	s_waitcnt vmcnt(0)
	ds_store_b128 v1, v[2:5]
.LBB1570_10:
	s_or_b32 exec_lo, exec_lo, s7
	v_and_b32_e32 v1, 0xef, v0
	s_add_i32 s4, s17, 15
	s_clause 0x1
	s_load_b32 s7, s[0:1], 0x38
	s_load_b32 s18, s[0:1], 0x1c
	s_ashr_i32 s13, s4, 31
	v_add_nc_u32_e32 v2, s12, v1
	s_lshr_b32 s13, s13, 28
	s_waitcnt lgkmcnt(0)
	s_add_i32 s4, s4, s13
	s_barrier
	v_ashrrev_i32_e32 v1, 31, v2
	s_ashr_i32 s4, s4, 4
	v_cmp_gt_i32_e32 vcc_lo, s17, v2
	s_add_i32 s4, s4, -1
	buffer_gl0_inv
	v_lshrrev_b32_e32 v3, 28, v1
	v_or_b32_e32 v1, 16, v2
	s_mul_i32 s15, s15, s6
	s_delay_alu instid0(VALU_DEP_2) | instskip(SKIP_1) | instid1(SALU_CYCLE_1)
	v_add_nc_u32_e32 v4, v2, v3
	s_mul_i32 s20, s30, s7
	s_ashr_i32 s21, s20, 31
	s_delay_alu instid0(VALU_DEP_1) | instskip(SKIP_2) | instid1(SALU_CYCLE_1)
	v_ashrrev_i32_e32 v4, 4, v4
	v_add_nc_u32_e32 v3, v1, v3
	s_lshl_b64 s[20:21], s[20:21], 2
	s_add_u32 s2, s2, s20
	s_delay_alu instid0(VALU_DEP_2) | instskip(NEXT) | instid1(VALU_DEP_2)
	v_cndmask_b32_e32 v2, s4, v4, vcc_lo
	v_ashrrev_i32_e32 v3, 4, v3
	v_cmp_gt_i32_e32 vcc_lo, s17, v1
	s_addc_u32 s3, s3, s21
	s_ashr_i32 s6, s15, 31
	s_add_u32 s7, s8, s15
	s_addc_u32 s13, s9, s6
	v_cndmask_b32_e32 v4, s4, v3, vcc_lo
	v_ashrrev_i32_e32 v3, 31, v2
	s_lshl_b32 s8, s14, 4
	s_delay_alu instid0(SALU_CYCLE_1) | instskip(NEXT) | instid1(VALU_DEP_2)
	s_ashr_i32 s9, s8, 31
	v_ashrrev_i32_e32 v5, 31, v4
	s_delay_alu instid0(VALU_DEP_2) | instskip(SKIP_1) | instid1(SALU_CYCLE_1)
	v_lshlrev_b64 v[1:2], 2, v[2:3]
	s_lshl_b64 s[8:9], s[8:9], 2
	s_add_u32 s8, s2, s8
	s_delay_alu instid0(VALU_DEP_2) | instskip(SKIP_1) | instid1(VALU_DEP_2)
	v_lshlrev_b64 v[3:4], 2, v[4:5]
	s_addc_u32 s9, s3, s9
	v_add_co_u32 v1, vcc_lo, s2, v1
	v_add_co_ci_u32_e32 v2, vcc_lo, s3, v2, vcc_lo
	s_delay_alu instid0(VALU_DEP_3) | instskip(NEXT) | instid1(VALU_DEP_4)
	v_add_co_u32 v3, vcc_lo, s2, v3
	v_add_co_ci_u32_e32 v4, vcc_lo, s3, v4, vcc_lo
	s_clause 0x1
	global_load_b32 v5, v[1:2], off
	global_load_b32 v3, v[3:4], off
	v_lshlrev_b32_e32 v1, 4, v0
	s_or_b32 s16, s12, 32
	s_delay_alu instid0(SALU_CYCLE_1) | instskip(SKIP_1) | instid1(VALU_DEP_1)
	s_ashr_i32 s19, s16, 4
	s_cmp_lt_i32 s16, s17
	v_and_b32_e32 v1, 0xf0, v1
	s_cselect_b32 s20, s19, s4
	s_delay_alu instid0(SALU_CYCLE_1) | instskip(NEXT) | instid1(SALU_CYCLE_1)
	s_ashr_i32 s21, s20, 31
	s_lshl_b64 s[20:21], s[20:21], 2
	s_delay_alu instid0(VALU_DEP_1)
	v_add_co_u32 v1, s7, s7, v1
	s_add_u32 s20, s2, s20
	s_addc_u32 s21, s3, s21
	s_or_b32 s16, s12, 64
	v_add_co_ci_u32_e64 v2, null, s13, 0, s7
	s_ashr_i32 s19, s16, 4
	s_cmp_lt_i32 s16, s17
	s_cselect_b32 s22, s19, s4
	s_delay_alu instid0(SALU_CYCLE_1) | instskip(NEXT) | instid1(SALU_CYCLE_1)
	s_ashr_i32 s23, s22, 31
	s_lshl_b64 s[22:23], s[22:23], 2
	s_delay_alu instid0(SALU_CYCLE_1) | instskip(SKIP_2) | instid1(SALU_CYCLE_1)
	s_add_u32 s22, s2, s22
	s_addc_u32 s23, s3, s23
	s_or_b32 s16, s12, 0x60
	s_ashr_i32 s19, s16, 4
	s_cmp_lt_i32 s16, s17
	s_cselect_b32 s24, s19, s4
	s_delay_alu instid0(SALU_CYCLE_1) | instskip(NEXT) | instid1(SALU_CYCLE_1)
	s_ashr_i32 s25, s24, 31
	s_lshl_b64 s[24:25], s[24:25], 2
	s_delay_alu instid0(SALU_CYCLE_1) | instskip(SKIP_2) | instid1(SALU_CYCLE_1)
	s_add_u32 s24, s2, s24
	s_addc_u32 s25, s3, s25
	s_or_b32 s16, s12, 0x80
	;; [unrolled: 10-line block ×3, first 2 shown]
	s_ashr_i32 s19, s16, 4
	s_cmp_lt_i32 s16, s17
	s_cselect_b32 s28, s19, s4
	s_delay_alu instid0(SALU_CYCLE_1) | instskip(NEXT) | instid1(SALU_CYCLE_1)
	s_ashr_i32 s29, s28, 31
	s_lshl_b64 s[28:29], s[28:29], 2
	s_delay_alu instid0(SALU_CYCLE_1)
	s_add_u32 s28, s2, s28
	s_addc_u32 s29, s3, s29
	s_clause 0x5
	s_load_b32 s7, s[8:9], 0x0
	s_load_b32 s13, s[20:21], 0x0
	;; [unrolled: 1-line block ×6, first 2 shown]
	s_or_b32 s8, s12, 0xc0
	s_mov_b32 s20, 0
	s_ashr_i32 s9, s8, 4
	s_cmp_lt_i32 s8, s17
	s_mov_b32 s27, s20
	s_cselect_b32 s8, s9, s4
	s_mov_b32 s21, s20
	s_ashr_i32 s9, s8, 31
	s_mov_b32 s22, s20
	s_lshl_b64 s[8:9], s[8:9], 2
	s_mov_b32 s23, s20
	s_mov_b32 s24, s20
	;; [unrolled: 1-line block ×4, first 2 shown]
	v_dual_mov_b32 v107, s27 :: v_dual_mov_b32 v104, s24
	s_add_u32 s8, s2, s8
	v_dual_mov_b32 v106, s26 :: v_dual_mov_b32 v105, s25
	v_dual_mov_b32 v101, s21 :: v_dual_mov_b32 v100, s20
	s_addc_u32 s9, s3, s9
	v_dual_mov_b32 v103, s23 :: v_dual_mov_b32 v102, s22
	s_or_b32 s20, s12, 0xe0
	s_delay_alu instid0(SALU_CYCLE_1) | instskip(SKIP_2) | instid1(SALU_CYCLE_1)
	s_ashr_i32 s21, s20, 4
	s_cmp_lt_i32 s20, s17
	s_cselect_b32 s20, s21, s4
	s_ashr_i32 s21, s20, 31
	s_delay_alu instid0(SALU_CYCLE_1) | instskip(NEXT) | instid1(SALU_CYCLE_1)
	s_lshl_b64 s[20:21], s[20:21], 2
	s_add_u32 s2, s2, s20
	s_addc_u32 s3, s3, s21
	s_waitcnt vmcnt(1)
	v_mad_i64_i32 v[25:26], null, v5, s5, v[1:2]
	s_waitcnt vmcnt(0)
	v_mad_i64_i32 v[27:28], null, v3, s5, v[1:2]
	s_clause 0xf
	global_load_b128 v[1:4], v[25:26], off
	global_load_b128 v[5:8], v[25:26], off offset:256
	global_load_b128 v[9:12], v[27:28], off
	global_load_b128 v[13:16], v[27:28], off offset:256
	global_load_b128 v[17:20], v[25:26], off offset:512
	;; [unrolled: 1-line block ×13, first 2 shown]
	v_mul_lo_u16 v25, v65, 52
	v_lshlrev_b32_e32 v26, 4, v65
	s_delay_alu instid0(VALU_DEP_2) | instskip(NEXT) | instid1(VALU_DEP_2)
	v_lshrrev_b16 v25, 8, v25
	v_lshl_or_b32 v33, v66, 8, v26
	s_delay_alu instid0(VALU_DEP_2) | instskip(NEXT) | instid1(VALU_DEP_1)
	v_mul_lo_u16 v25, v25, 5
	v_sub_nc_u16 v25, v65, v25
	s_delay_alu instid0(VALU_DEP_1) | instskip(NEXT) | instid1(VALU_DEP_1)
	v_and_b32_e32 v25, 0xff, v25
	v_lshlrev_b32_e32 v72, 6, v25
	ds_load_b128 v[25:28], v72
	ds_load_b128 v[29:32], v72 offset:1024
	ds_load_b128 v[108:111], v72 offset:2048
	;; [unrolled: 1-line block ×3, first 2 shown]
	s_load_b32 s4, s[8:9], 0x0
	ds_load_b128 v[116:119], v72 offset:4096
	ds_load_b128 v[120:123], v72 offset:5120
	s_load_b32 s2, s[2:3], 0x0
	s_add_u32 s8, s10, s15
	s_addc_u32 s6, s11, s6
	v_add_co_u32 v68, s8, s8, v33
	s_delay_alu instid0(VALU_DEP_1) | instskip(SKIP_1) | instid1(VALU_DEP_1)
	v_add_co_ci_u32_e64 v69, null, s6, 0, s8
	s_waitcnt lgkmcnt(0)
	v_mad_i64_i32 v[33:34], null, s7, s5, v[68:69]
	v_mad_i64_i32 v[70:71], null, s16, s5, v[68:69]
	;; [unrolled: 1-line block ×7, first 2 shown]
	s_clause 0x3
	global_load_b128 v[41:44], v[33:34], off
	global_load_b128 v[45:48], v[33:34], off offset:16
	global_load_b128 v[33:36], v[37:38], off
	global_load_b128 v[37:40], v[37:38], off offset:16
	s_waitcnt vmcnt(18)
	v_wmma_f32_16x16x16_bf16 v[124:131], v[1:8], v[25:32], v[100:107]
	s_waitcnt vmcnt(16)
	v_wmma_f32_16x16x16_bf16 v[100:107], v[9:16], v[25:32], v[100:107]
	s_clause 0x1
	global_load_b128 v[25:28], v[70:71], off
	global_load_b128 v[29:32], v[70:71], off offset:16
	s_waitcnt vmcnt(16)
	v_wmma_f32_16x16x16_bf16 v[124:131], v[17:24], v[108:115], v[124:131]
	s_clause 0x1
	global_load_b128 v[17:20], v[132:133], off
	global_load_b128 v[21:24], v[132:133], off offset:16
	s_waitcnt vmcnt(16)
	v_wmma_f32_16x16x16_bf16 v[100:107], v[49:56], v[108:115], v[100:107]
	v_mad_i64_i32 v[53:54], null, s2, s5, v[68:69]
	s_clause 0x3
	global_load_b128 v[1:4], v[134:135], off
	global_load_b128 v[5:8], v[134:135], off offset:16
	global_load_b128 v[9:12], v[136:137], off
	global_load_b128 v[13:16], v[136:137], off offset:16
	s_waitcnt vmcnt(18)
	v_wmma_f32_16x16x16_bf16 v[124:131], v[57:64], v[116:123], v[124:131]
	s_clause 0x3
	global_load_b128 v[57:60], v[138:139], off
	global_load_b128 v[61:64], v[138:139], off offset:16
	global_load_b128 v[49:52], v[53:54], off
	global_load_b128 v[53:56], v[53:54], off offset:16
	v_mbcnt_lo_u32_b32 v69, -1, 0
	s_waitcnt vmcnt(20)
	v_wmma_f32_16x16x16_bf16 v[100:107], v[76:83], v[116:123], v[100:107]
	s_delay_alu instid0(VALU_DEP_2) | instskip(NEXT) | instid1(VALU_DEP_1)
	v_xor_b32_e32 v70, 16, v69
	v_cmp_gt_i32_e32 vcc_lo, 32, v70
	v_cndmask_b32_e32 v69, v69, v70, vcc_lo
	ds_load_b128 v[76:79], v72 offset:6144
	ds_load_b128 v[80:83], v72 offset:7168
	s_waitcnt vmcnt(0) lgkmcnt(0)
	s_barrier
	buffer_gl0_inv
	v_wmma_f32_16x16x16_bf16 v[124:131], v[84:91], v[76:83], v[124:131]
	v_and_b32_e32 v68, 0xe0, v0
	v_wmma_f32_16x16x16_bf16 v[100:107], v[92:99], v[76:83], v[100:107]
	s_delay_alu instid0(VALU_DEP_2) | instskip(NEXT) | instid1(VALU_DEP_4)
	v_dual_mul_f32 v79, s18, v127 :: v_dual_add_nc_u32 v68, s12, v68
	v_mul_f32_e32 v81, s18, v129
	v_dual_mul_f32 v78, s18, v125 :: v_dual_mul_f32 v83, s18, v131
	s_delay_alu instid0(VALU_DEP_4) | instskip(NEXT) | instid1(VALU_DEP_4)
	v_dual_mul_f32 v80, s18, v126 :: v_dual_mul_f32 v95, s18, v103
	v_or_b32_e32 v68, v68, v74
	v_dual_mul_f32 v93, s18, v101 :: v_dual_mul_f32 v82, s18, v128
	v_dual_mul_f32 v97, s18, v105 :: v_dual_mul_f32 v92, s18, v130
	v_mul_f32_e32 v99, s18, v107
	s_delay_alu instid0(VALU_DEP_4)
	v_or_b32_e32 v70, 2, v68
	v_or_b32_e32 v71, 4, v68
	;; [unrolled: 1-line block ×3, first 2 shown]
	v_cmp_gt_i32_e64 s2, s17, v68
	v_or_b32_e32 v108, 8, v68
	v_cmp_gt_i32_e32 vcc_lo, s17, v70
	v_mul_f32_e32 v70, s18, v124
	v_or_b32_e32 v109, 10, v68
	v_cmp_gt_i32_e64 s3, s17, v71
	v_cmp_gt_i32_e64 s4, s17, v72
	v_cndmask_b32_e32 v78, 0xff7fffff, v78, vcc_lo
	v_cndmask_b32_e64 v70, 0xff7fffff, v70, s2
	v_or_b32_e32 v84, 12, v68
	v_or_b32_e32 v85, 14, v68
	v_cndmask_b32_e64 v71, 0xff7fffff, v80, s3
	v_cndmask_b32_e64 v72, 0xff7fffff, v79, s4
	v_max3_f32 v70, v70, 0xff7fffff, v78
	v_cmp_gt_i32_e64 s5, s17, v108
	v_cmp_gt_i32_e64 s6, s17, v109
	v_or_b32_e32 v86, 16, v68
	v_or_b32_e32 v87, 18, v68
	v_max3_f32 v70, v70, v71, v72
	v_cndmask_b32_e64 v78, 0xff7fffff, v82, s5
	v_cndmask_b32_e64 v79, 0xff7fffff, v81, s6
	v_cmp_gt_i32_e64 s7, s17, v84
	v_cmp_gt_i32_e64 s8, s17, v85
	v_or_b32_e32 v88, 20, v68
	v_or_b32_e32 v89, 22, v68
	v_mul_f32_e32 v94, s18, v100
	v_cndmask_b32_e64 v71, 0xff7fffff, v92, s7
	v_cndmask_b32_e64 v72, 0xff7fffff, v83, s8
	v_max3_f32 v70, v70, v78, v79
	v_cmp_gt_i32_e64 s9, s17, v86
	v_cmp_gt_i32_e64 s10, s17, v87
	v_or_b32_e32 v90, 24, v68
	v_or_b32_e32 v91, 26, v68
	v_mul_f32_e32 v96, s18, v102
	v_max3_f32 v70, v70, v71, v72
	v_cndmask_b32_e64 v79, 0xff7fffff, v93, s10
	v_cmp_gt_i32_e64 s11, s17, v88
	v_cmp_gt_i32_e64 s12, s17, v89
	v_lshlrev_b32_e32 v89, 2, v69
	v_cndmask_b32_e64 v78, 0xff7fffff, v94, s9
	v_or_b32_e32 v76, 28, v68
	v_or_b32_e32 v77, 30, v68
	v_mul_f32_e32 v98, s18, v104
	v_cndmask_b32_e64 v71, 0xff7fffff, v96, s11
	v_cndmask_b32_e64 v72, 0xff7fffff, v95, s12
	v_max3_f32 v70, v70, v78, v79
	v_cmp_gt_i32_e64 s13, s17, v90
	v_cmp_gt_i32_e64 s15, s17, v91
	v_mul_f32_e32 v68, s18, v106
	v_cmp_gt_i32_e64 s16, s17, v76
	v_max3_f32 v70, v70, v71, v72
	v_cndmask_b32_e64 v78, 0xff7fffff, v98, s13
	v_cndmask_b32_e64 v79, 0xff7fffff, v97, s15
	v_cmp_gt_i32_e64 s17, s17, v77
	v_cndmask_b32_e64 v68, 0xff7fffff, v68, s16
	s_delay_alu instid0(VALU_DEP_3) | instskip(NEXT) | instid1(VALU_DEP_3)
	v_max3_f32 v70, v70, v78, v79
	v_cndmask_b32_e64 v71, 0xff7fffff, v99, s17
	s_delay_alu instid0(VALU_DEP_1) | instskip(SKIP_3) | instid1(VALU_DEP_1)
	v_max3_f32 v68, v70, v68, v71
	ds_bpermute_b32 v69, v89, v68
	s_waitcnt lgkmcnt(0)
	v_max_f32_e32 v69, v69, v69
	v_max_f32_e32 v68, v68, v69
	s_delay_alu instid0(VALU_DEP_1) | instskip(NEXT) | instid1(VALU_DEP_1)
	v_fma_f32 v76, s18, v128, -v68
	v_mul_f32_e32 v77, 0x3fb8aa3b, v76
	v_fma_f32 v71, s18, v126, -v68
	v_fma_f32 v69, s18, v124, -v68
	;; [unrolled: 1-line block ×4, first 2 shown]
	v_exp_f32_e32 v77, v77
	v_mul_f32_e32 v71, 0x3fb8aa3b, v71
	v_mul_f32_e32 v69, 0x3fb8aa3b, v69
	v_fma_f32 v81, s18, v105, -v68
	v_fma_f32 v78, s18, v130, -v68
	s_delay_alu instid0(VALU_DEP_4) | instskip(NEXT) | instid1(VALU_DEP_3)
	v_exp_f32_e32 v71, v71
	v_exp_f32_e32 v69, v69
	s_delay_alu instid0(VALU_DEP_2) | instskip(NEXT) | instid1(TRANS32_DEP_3)
	v_mul_f32_e32 v81, 0x3fb8aa3b, v81
	v_cndmask_b32_e64 v86, 0, v77, s5
	v_fma_f32 v77, s18, v101, -v68
	s_delay_alu instid0(VALU_DEP_3) | instskip(NEXT) | instid1(TRANS32_DEP_3)
	v_exp_f32_e32 v81, v81
	v_cndmask_b32_e64 v83, 0, v71, s3
	v_fma_f32 v71, s18, v131, -v68
	v_mul_f32_e32 v72, 0x3fb8aa3b, v72
	s_delay_alu instid0(TRANS32_DEP_2) | instskip(SKIP_1) | instid1(VALU_DEP_4)
	v_cndmask_b32_e64 v80, 0, v69, s2
	v_fma_f32 v69, s18, v129, -v68
	v_dual_mul_f32 v70, 0x3fb8aa3b, v70 :: v_dual_mul_f32 v71, 0x3fb8aa3b, v71
	s_delay_alu instid0(VALU_DEP_4) | instskip(SKIP_1) | instid1(VALU_DEP_3)
	v_exp_f32_e32 v72, v72
	v_mul_f32_e32 v77, 0x3fb8aa3b, v77
	v_mul_f32_e32 v69, 0x3fb8aa3b, v69
	s_delay_alu instid0(VALU_DEP_3)
	v_exp_f32_e32 v70, v70
	v_exp_f32_e32 v71, v71
	v_cmp_gt_u32_e64 s2, 16, v67
	v_exp_f32_e32 v77, v77
	v_exp_f32_e32 v69, v69
	v_cndmask_b32_e64 v85, 0, v72, s4
	v_fma_f32 v72, s18, v100, -v68
	v_cndmask_b32_e32 v76, 0, v70, vcc_lo
	s_delay_alu instid0(TRANS32_DEP_3) | instskip(SKIP_2) | instid1(TRANS32_DEP_1)
	v_cndmask_b32_e64 v88, 0, v71, s8
	v_fma_f32 v71, s18, v104, -v68
	v_add_f32_e32 v70, 0, v80
	v_cndmask_b32_e64 v87, 0, v69, s6
	s_delay_alu instid0(VALU_DEP_2) | instskip(NEXT) | instid1(VALU_DEP_1)
	v_dual_mul_f32 v71, 0x3fb8aa3b, v71 :: v_dual_add_f32 v70, v70, v76
	v_exp_f32_e32 v82, v71
	s_delay_alu instid0(VALU_DEP_1) | instskip(NEXT) | instid1(VALU_DEP_1)
	v_add_f32_e32 v70, v70, v83
	v_add_f32_e32 v70, v70, v85
	s_delay_alu instid0(VALU_DEP_1) | instskip(SKIP_1) | instid1(VALU_DEP_2)
	v_dual_mul_f32 v72, 0x3fb8aa3b, v72 :: v_dual_add_f32 v69, v70, v86
	v_fma_f32 v70, s18, v102, -v68
	v_exp_f32_e32 v72, v72
	s_delay_alu instid0(VALU_DEP_2) | instskip(NEXT) | instid1(VALU_DEP_2)
	v_dual_add_f32 v69, v69, v87 :: v_dual_mul_f32 v78, 0x3fb8aa3b, v78
	v_mul_f32_e32 v70, 0x3fb8aa3b, v70
	s_delay_alu instid0(VALU_DEP_2) | instskip(NEXT) | instid1(VALU_DEP_1)
	v_exp_f32_e32 v78, v78
	v_exp_f32_e32 v79, v70
	s_delay_alu instid0(TRANS32_DEP_3) | instskip(SKIP_4) | instid1(VALU_DEP_3)
	v_cndmask_b32_e64 v70, 0, v72, s9
	s_waitcnt_depctr 0xfff
	v_cndmask_b32_e64 v84, 0, v78, s7
	v_fma_f32 v78, s18, v103, -v68
	v_cndmask_b32_e64 v71, 0, v79, s11
	v_add_f32_e32 v69, v69, v84
	s_delay_alu instid0(VALU_DEP_1) | instskip(SKIP_2) | instid1(VALU_DEP_1)
	v_add_f32_e32 v72, v69, v88
	v_cndmask_b32_e64 v69, 0, v77, s10
	v_fma_f32 v77, s18, v106, -v68
	v_dual_add_f32 v72, v72, v70 :: v_dual_mul_f32 v77, 0x3fb8aa3b, v77
	s_delay_alu instid0(VALU_DEP_1) | instskip(NEXT) | instid1(VALU_DEP_2)
	v_add_f32_e32 v79, v72, v69
	v_exp_f32_e32 v90, v77
	v_cndmask_b32_e64 v77, 0, v82, s13
	v_mul_f32_e32 v78, 0x3fb8aa3b, v78
	s_delay_alu instid0(VALU_DEP_1) | instskip(SKIP_4) | instid1(VALU_DEP_1)
	v_exp_f32_e32 v78, v78
	s_waitcnt_depctr 0xfff
	v_cndmask_b32_e64 v72, 0, v78, s12
	v_add_f32_e32 v78, v79, v71
	v_fma_f32 v79, s18, v107, -v68
	v_dual_add_f32 v82, v78, v72 :: v_dual_mul_f32 v79, 0x3fb8aa3b, v79
	v_cndmask_b32_e64 v78, 0, v81, s15
	s_delay_alu instid0(VALU_DEP_2) | instskip(NEXT) | instid1(VALU_DEP_3)
	v_add_f32_e32 v81, v82, v77
	v_exp_f32_e32 v82, v79
	v_cndmask_b32_e64 v79, 0, v90, s16
	s_delay_alu instid0(VALU_DEP_2) | instskip(NEXT) | instid1(VALU_DEP_1)
	v_add_f32_e32 v81, v81, v78
	v_add_f32_e32 v90, v81, v79
	s_waitcnt_depctr 0xfff
	v_cndmask_b32_e64 v81, 0, v82, s17
	s_delay_alu instid0(VALU_DEP_1)
	v_add_f32_e32 v82, v90, v81
	ds_bpermute_b32 v89, v89, v82
	s_and_saveexec_b32 s3, s2
	s_cbranch_execz .LBB1570_12
; %bb.11:
	v_mul_u32_u24_e32 v67, 0x44, v66
	s_delay_alu instid0(VALU_DEP_1) | instskip(SKIP_1) | instid1(VALU_DEP_1)
	v_lshl_add_u32 v67, v65, 2, v67
	s_waitcnt lgkmcnt(0)
	v_dual_add_f32 v82, v82, v89 :: v_dual_add_nc_u32 v67, 0x4000, v67
	ds_store_2addr_b32 v67, v68, v82 offset1:136
.LBB1570_12:
	s_or_b32 exec_lo, exec_lo, s3
	v_lshlrev_b32_e32 v67, 2, v65
	s_waitcnt lgkmcnt(0)
	s_barrier
	buffer_gl0_inv
	v_cmp_eq_u32_e32 vcc_lo, 1, v66
	v_add_nc_u32_e32 v82, 0x4000, v67
	v_cmp_eq_u32_e64 s3, 2, v66
	v_cmp_eq_u32_e64 s5, 7, v66
	ds_load_2addr_b32 v[89:90], v82 offset1:17
	ds_load_2addr_b32 v[91:92], v82 offset0:34 offset1:51
	ds_load_2addr_b32 v[93:94], v82 offset0:68 offset1:85
	;; [unrolled: 1-line block ×4, first 2 shown]
	s_waitcnt lgkmcnt(4)
	v_max3_f32 v67, v89, 0xff7fffff, v90
	s_waitcnt lgkmcnt(3)
	s_delay_alu instid0(VALU_DEP_1) | instskip(SKIP_1) | instid1(VALU_DEP_1)
	v_max3_f32 v67, v67, v91, v92
	s_waitcnt lgkmcnt(2)
	v_max3_f32 v67, v67, v93, v94
	s_waitcnt lgkmcnt(1)
	s_delay_alu instid0(VALU_DEP_1) | instskip(NEXT) | instid1(VALU_DEP_1)
	v_max3_f32 v67, v67, v95, v96
	v_sub_f32_e32 v93, v93, v67
	s_delay_alu instid0(VALU_DEP_1) | instskip(NEXT) | instid1(VALU_DEP_1)
	v_dual_sub_f32 v68, v89, v67 :: v_dual_mul_f32 v103, 0x3fb8aa3b, v93
	v_mul_f32_e32 v68, 0x3fb8aa3b, v68
	s_delay_alu instid0(VALU_DEP_1)
	v_exp_f32_e32 v100, v68
	v_sub_f32_e32 v68, v92, v67
	v_sub_f32_e32 v99, v90, v67
	ds_load_2addr_b32 v[89:90], v82 offset0:170 offset1:187
	v_dual_mul_f32 v102, 0x3fb8aa3b, v68 :: v_dual_mul_f32 v99, 0x3fb8aa3b, v99
	s_waitcnt lgkmcnt(1)
	v_fma_f32 v68, v100, v97, 0
	s_delay_alu instid0(VALU_DEP_2) | instskip(NEXT) | instid1(VALU_DEP_2)
	v_exp_f32_e32 v102, v102
	v_exp_f32_e32 v99, v99
	s_waitcnt_depctr 0xfff
	v_fmac_f32_e32 v68, v99, v98
	v_sub_f32_e32 v91, v91, v67
	s_delay_alu instid0(VALU_DEP_1)
	v_mul_f32_e32 v101, 0x3fb8aa3b, v91
	ds_load_2addr_b32 v[91:92], v82 offset0:204 offset1:221
	v_sub_f32_e32 v97, v94, v67
	ds_load_2addr_b32 v[93:94], v82 offset0:238 offset1:255
	s_waitcnt lgkmcnt(0)
	v_exp_f32_e32 v101, v101
	s_barrier
	buffer_gl0_inv
	v_dual_fmac_f32 v68, v101, v89 :: v_dual_sub_f32 v89, v96, v67
	v_dual_sub_f32 v82, v95, v67 :: v_dual_mul_f32 v95, 0x3fb8aa3b, v97
	v_exp_f32_e32 v97, v103
	s_delay_alu instid0(VALU_DEP_2) | instskip(NEXT) | instid1(VALU_DEP_2)
	v_dual_fmac_f32 v68, v102, v90 :: v_dual_mul_f32 v89, 0x3fb8aa3b, v89
	v_mul_f32_e32 v82, 0x3fb8aa3b, v82
	s_delay_alu instid0(VALU_DEP_3) | instskip(NEXT) | instid1(VALU_DEP_2)
	v_exp_f32_e32 v95, v95
	v_exp_f32_e32 v89, v89
	s_delay_alu instid0(VALU_DEP_1)
	v_exp_f32_e32 v82, v82
	v_fmac_f32_e32 v68, v97, v91
	s_delay_alu instid0(TRANS32_DEP_3) | instid1(VALU_DEP_1)
	v_fmac_f32_e32 v68, v95, v92
	s_waitcnt_depctr 0xfff
	v_fmac_f32_e32 v68, v82, v93
	s_delay_alu instid0(VALU_DEP_1) | instskip(NEXT) | instid1(VALU_DEP_1)
	v_fmac_f32_e32 v68, v89, v94
	v_add_f32_e32 v90, 0x358637bd, v68
	s_delay_alu instid0(VALU_DEP_1) | instskip(NEXT) | instid1(VALU_DEP_1)
	v_div_scale_f32 v91, null, v90, v90, 1.0
	v_rcp_f32_e32 v92, v91
	s_waitcnt_depctr 0xfff
	v_fma_f32 v93, -v91, v92, 1.0
	s_delay_alu instid0(VALU_DEP_1) | instskip(SKIP_1) | instid1(VALU_DEP_2)
	v_dual_fmac_f32 v92, v93, v92 :: v_dual_cndmask_b32 v93, v100, v99
	v_cmp_eq_u32_e32 vcc_lo, 3, v66
	v_cndmask_b32_e64 v93, v93, v101, s3
	v_cmp_eq_u32_e64 s3, 4, v66
	s_delay_alu instid0(VALU_DEP_2) | instskip(SKIP_1) | instid1(VALU_DEP_2)
	v_cndmask_b32_e32 v93, v93, v102, vcc_lo
	v_cmp_eq_u32_e32 vcc_lo, 5, v66
	v_cndmask_b32_e64 v93, v93, v97, s3
	v_cmp_eq_u32_e64 s3, 6, v66
	s_delay_alu instid0(VALU_DEP_2) | instskip(SKIP_1) | instid1(VALU_DEP_1)
	v_cndmask_b32_e32 v93, v93, v95, vcc_lo
	v_div_scale_f32 v94, s4, 1.0, v90, 1.0
	s_mov_b32 vcc_lo, s4
	s_delay_alu instid0(VALU_DEP_2) | instskip(NEXT) | instid1(VALU_DEP_2)
	v_cndmask_b32_e64 v82, v93, v82, s3
	v_mul_f32_e32 v96, v94, v92
	s_mov_b32 s3, exec_lo
	s_delay_alu instid0(VALU_DEP_2) | instskip(NEXT) | instid1(VALU_DEP_2)
	v_cndmask_b32_e64 v82, v82, v89, s5
	v_fma_f32 v98, -v91, v96, v94
	s_delay_alu instid0(VALU_DEP_1) | instskip(NEXT) | instid1(VALU_DEP_1)
	v_fmac_f32_e32 v96, v98, v92
	v_fma_f32 v91, -v91, v96, v94
	s_delay_alu instid0(VALU_DEP_1) | instskip(NEXT) | instid1(VALU_DEP_1)
	v_div_fmas_f32 v91, v91, v92, v96
	v_div_fixup_f32 v90, v91, v90, 1.0
	s_delay_alu instid0(VALU_DEP_1) | instskip(NEXT) | instid1(VALU_DEP_1)
	v_mul_f32_e32 v82, v82, v90
	v_mul_f32_e32 v87, v82, v87
	;; [unrolled: 1-line block ×7, first 2 shown]
	v_dual_mul_f32 v86, v82, v83 :: v_dual_and_b32 v91, 0x7f800000, v90
	v_mul_f32_e32 v85, v82, v76
                                        ; implicit-def: $vgpr76
	s_delay_alu instid0(VALU_DEP_2)
	v_cmpx_ne_u32_e32 0x7f800000, v91
	s_xor_b32 s3, exec_lo, s3
; %bb.13:
	v_bfe_u32 v76, v90, 16, 1
	s_delay_alu instid0(VALU_DEP_1)
	v_add3_u32 v76, v90, v76, 0x7fff
                                        ; implicit-def: $vgpr90
; %bb.14:
	s_and_not1_saveexec_b32 s3, s3
; %bb.15:
	v_and_b32_e32 v76, 0xffff, v90
	v_or_b32_e32 v83, 0x10000, v90
	s_delay_alu instid0(VALU_DEP_2) | instskip(NEXT) | instid1(VALU_DEP_2)
	v_cmp_eq_u32_e32 vcc_lo, 0, v76
	v_cndmask_b32_e32 v76, v83, v90, vcc_lo
; %bb.16:
	s_or_b32 exec_lo, exec_lo, s3
	v_and_b32_e32 v83, 0x7f800000, v85
	s_delay_alu instid0(VALU_DEP_1) | instskip(SKIP_1) | instid1(SALU_CYCLE_1)
	v_cmp_ne_u32_e32 vcc_lo, 0x7f800000, v83
                                        ; implicit-def: $vgpr83
	s_and_saveexec_b32 s3, vcc_lo
	s_xor_b32 s3, exec_lo, s3
; %bb.17:
	v_bfe_u32 v83, v85, 16, 1
	s_delay_alu instid0(VALU_DEP_1)
	v_add3_u32 v83, v85, v83, 0x7fff
                                        ; implicit-def: $vgpr85
; %bb.18:
	s_and_not1_saveexec_b32 s3, s3
; %bb.19:
	v_and_b32_e32 v83, 0xffff, v85
	v_or_b32_e32 v90, 0x10000, v85
	s_delay_alu instid0(VALU_DEP_2) | instskip(NEXT) | instid1(VALU_DEP_2)
	v_cmp_eq_u32_e32 vcc_lo, 0, v83
	v_cndmask_b32_e32 v83, v90, v85, vcc_lo
; %bb.20:
	s_or_b32 exec_lo, exec_lo, s3
	v_and_b32_e32 v85, 0x7f800000, v86
	s_delay_alu instid0(VALU_DEP_1) | instskip(SKIP_1) | instid1(SALU_CYCLE_1)
	v_cmp_ne_u32_e32 vcc_lo, 0x7f800000, v85
                                        ; implicit-def: $vgpr85
	s_and_saveexec_b32 s3, vcc_lo
	s_xor_b32 s3, exec_lo, s3
; %bb.21:
	v_bfe_u32 v85, v86, 16, 1
	s_delay_alu instid0(VALU_DEP_1)
	v_add3_u32 v85, v86, v85, 0x7fff
                                        ; implicit-def: $vgpr86
; %bb.22:
	s_and_not1_saveexec_b32 s3, s3
; %bb.23:
	v_and_b32_e32 v85, 0xffff, v86
	v_or_b32_e32 v90, 0x10000, v86
	s_delay_alu instid0(VALU_DEP_2) | instskip(NEXT) | instid1(VALU_DEP_2)
	v_cmp_eq_u32_e32 vcc_lo, 0, v85
	v_cndmask_b32_e32 v85, v90, v86, vcc_lo
; %bb.24:
	s_or_b32 exec_lo, exec_lo, s3
	v_and_b32_e32 v86, 0x7f800000, v89
	s_delay_alu instid0(VALU_DEP_1) | instskip(SKIP_1) | instid1(SALU_CYCLE_1)
	v_cmp_ne_u32_e32 vcc_lo, 0x7f800000, v86
                                        ; implicit-def: $vgpr86
	s_and_saveexec_b32 s3, vcc_lo
	s_xor_b32 s3, exec_lo, s3
; %bb.25:
	v_bfe_u32 v86, v89, 16, 1
	s_delay_alu instid0(VALU_DEP_1)
	v_add3_u32 v86, v89, v86, 0x7fff
                                        ; implicit-def: $vgpr89
; %bb.26:
	s_and_not1_saveexec_b32 s3, s3
; %bb.27:
	v_and_b32_e32 v86, 0xffff, v89
	v_or_b32_e32 v90, 0x10000, v89
	s_delay_alu instid0(VALU_DEP_2) | instskip(NEXT) | instid1(VALU_DEP_2)
	v_cmp_eq_u32_e32 vcc_lo, 0, v86
	v_cndmask_b32_e32 v86, v90, v89, vcc_lo
; %bb.28:
	s_or_b32 exec_lo, exec_lo, s3
	v_and_b32_e32 v89, 0x7f800000, v88
	s_delay_alu instid0(VALU_DEP_1) | instskip(SKIP_1) | instid1(SALU_CYCLE_1)
	v_cmp_ne_u32_e32 vcc_lo, 0x7f800000, v89
                                        ; implicit-def: $vgpr89
	s_and_saveexec_b32 s3, vcc_lo
	s_xor_b32 s3, exec_lo, s3
; %bb.29:
	v_bfe_u32 v89, v88, 16, 1
	s_delay_alu instid0(VALU_DEP_1)
	v_add3_u32 v89, v88, v89, 0x7fff
                                        ; implicit-def: $vgpr88
; %bb.30:
	s_and_not1_saveexec_b32 s3, s3
; %bb.31:
	v_and_b32_e32 v89, 0xffff, v88
	v_or_b32_e32 v90, 0x10000, v88
	s_delay_alu instid0(VALU_DEP_2) | instskip(NEXT) | instid1(VALU_DEP_2)
	v_cmp_eq_u32_e32 vcc_lo, 0, v89
	v_cndmask_b32_e32 v89, v90, v88, vcc_lo
; %bb.32:
	s_or_b32 exec_lo, exec_lo, s3
	v_and_b32_e32 v88, 0x7f800000, v87
	s_delay_alu instid0(VALU_DEP_1) | instskip(SKIP_1) | instid1(SALU_CYCLE_1)
	v_cmp_ne_u32_e32 vcc_lo, 0x7f800000, v88
                                        ; implicit-def: $vgpr88
	s_and_saveexec_b32 s3, vcc_lo
	s_xor_b32 s3, exec_lo, s3
; %bb.33:
	v_bfe_u32 v88, v87, 16, 1
	s_delay_alu instid0(VALU_DEP_1)
	v_add3_u32 v88, v87, v88, 0x7fff
                                        ; implicit-def: $vgpr87
; %bb.34:
	s_and_not1_saveexec_b32 s3, s3
; %bb.35:
	v_and_b32_e32 v88, 0xffff, v87
	v_or_b32_e32 v90, 0x10000, v87
	s_delay_alu instid0(VALU_DEP_2) | instskip(NEXT) | instid1(VALU_DEP_2)
	v_cmp_eq_u32_e32 vcc_lo, 0, v88
	v_cndmask_b32_e32 v88, v90, v87, vcc_lo
; %bb.36:
	s_or_b32 exec_lo, exec_lo, s3
	v_and_b32_e32 v87, 0x7f800000, v84
	s_delay_alu instid0(VALU_DEP_1) | instskip(SKIP_1) | instid1(SALU_CYCLE_1)
	v_cmp_ne_u32_e32 vcc_lo, 0x7f800000, v87
                                        ; implicit-def: $vgpr87
	s_and_saveexec_b32 s3, vcc_lo
	s_xor_b32 s3, exec_lo, s3
; %bb.37:
	v_bfe_u32 v87, v84, 16, 1
	s_delay_alu instid0(VALU_DEP_1)
	v_add3_u32 v87, v84, v87, 0x7fff
                                        ; implicit-def: $vgpr84
; %bb.38:
	s_and_not1_saveexec_b32 s3, s3
; %bb.39:
	v_and_b32_e32 v87, 0xffff, v84
	v_or_b32_e32 v90, 0x10000, v84
	s_delay_alu instid0(VALU_DEP_2) | instskip(NEXT) | instid1(VALU_DEP_2)
	v_cmp_eq_u32_e32 vcc_lo, 0, v87
	v_cndmask_b32_e32 v87, v90, v84, vcc_lo
; %bb.40:
	s_or_b32 exec_lo, exec_lo, s3
	v_and_b32_e32 v84, 0x7f800000, v80
	s_delay_alu instid0(VALU_DEP_1) | instskip(SKIP_1) | instid1(SALU_CYCLE_1)
	v_cmp_ne_u32_e32 vcc_lo, 0x7f800000, v84
                                        ; implicit-def: $vgpr84
	s_and_saveexec_b32 s3, vcc_lo
	s_xor_b32 s3, exec_lo, s3
; %bb.41:
	v_bfe_u32 v84, v80, 16, 1
	s_delay_alu instid0(VALU_DEP_1)
	v_add3_u32 v84, v80, v84, 0x7fff
                                        ; implicit-def: $vgpr80
; %bb.42:
	s_and_not1_saveexec_b32 s3, s3
; %bb.43:
	v_and_b32_e32 v84, 0xffff, v80
	v_or_b32_e32 v90, 0x10000, v80
	s_delay_alu instid0(VALU_DEP_2) | instskip(NEXT) | instid1(VALU_DEP_2)
	v_cmp_eq_u32_e32 vcc_lo, 0, v84
	v_cndmask_b32_e32 v84, v90, v80, vcc_lo
; %bb.44:
	s_or_b32 exec_lo, exec_lo, s3
	s_load_b64 s[34:35], s[0:1], 0x94
	v_lshlrev_b32_e32 v91, 4, v74
	s_delay_alu instid0(VALU_DEP_2)
	v_perm_b32 v90, v84, v87, 0x7060302
	v_dual_mul_f32 v79, v82, v79 :: v_dual_lshlrev_b32 v80, 6, v65
	v_dual_mul_f32 v77, v82, v77 :: v_dual_lshlrev_b32 v92, 11, v66
	v_mul_f32_e32 v84, v82, v70
	v_perm_b32 v89, v88, v89, 0x7060302
	v_perm_b32 v88, v86, v85, 0x7060302
	;; [unrolled: 1-line block ×3, first 2 shown]
	v_mul_f32_e32 v70, v82, v81
	v_or3_b32 v76, v91, v92, v80
	v_dual_mul_f32 v78, v82, v78 :: v_dual_and_b32 v85, 0x7f800000, v84
	v_mul_f32_e32 v83, v82, v72
	v_mul_f32_e32 v81, v82, v71
	;; [unrolled: 1-line block ×3, first 2 shown]
	s_mov_b32 s3, exec_lo
	ds_store_b128 v76, v[87:90]
                                        ; implicit-def: $vgpr69
	v_cmpx_ne_u32_e32 0x7f800000, v85
	s_xor_b32 s3, exec_lo, s3
; %bb.45:
	v_bfe_u32 v69, v84, 16, 1
	s_delay_alu instid0(VALU_DEP_1)
	v_add3_u32 v69, v84, v69, 0x7fff
                                        ; implicit-def: $vgpr84
; %bb.46:
	s_and_not1_saveexec_b32 s3, s3
; %bb.47:
	v_and_b32_e32 v69, 0xffff, v84
	v_or_b32_e32 v71, 0x10000, v84
	s_delay_alu instid0(VALU_DEP_2) | instskip(NEXT) | instid1(VALU_DEP_2)
	v_cmp_eq_u32_e32 vcc_lo, 0, v69
	v_cndmask_b32_e32 v69, v71, v84, vcc_lo
; %bb.48:
	s_or_b32 exec_lo, exec_lo, s3
	v_and_b32_e32 v71, 0x7f800000, v72
	s_delay_alu instid0(VALU_DEP_1) | instskip(SKIP_1) | instid1(SALU_CYCLE_1)
	v_cmp_ne_u32_e32 vcc_lo, 0x7f800000, v71
                                        ; implicit-def: $vgpr71
	s_and_saveexec_b32 s3, vcc_lo
	s_xor_b32 s3, exec_lo, s3
; %bb.49:
	v_bfe_u32 v71, v72, 16, 1
	s_delay_alu instid0(VALU_DEP_1)
	v_add3_u32 v71, v72, v71, 0x7fff
                                        ; implicit-def: $vgpr72
; %bb.50:
	s_and_not1_saveexec_b32 s3, s3
; %bb.51:
	v_and_b32_e32 v71, 0xffff, v72
	v_or_b32_e32 v82, 0x10000, v72
	s_delay_alu instid0(VALU_DEP_2) | instskip(NEXT) | instid1(VALU_DEP_2)
	v_cmp_eq_u32_e32 vcc_lo, 0, v71
	v_cndmask_b32_e32 v71, v82, v72, vcc_lo
; %bb.52:
	s_or_b32 exec_lo, exec_lo, s3
	v_and_b32_e32 v72, 0x7f800000, v81
	s_delay_alu instid0(VALU_DEP_1) | instskip(SKIP_1) | instid1(SALU_CYCLE_1)
	v_cmp_ne_u32_e32 vcc_lo, 0x7f800000, v72
                                        ; implicit-def: $vgpr72
	s_and_saveexec_b32 s3, vcc_lo
	s_xor_b32 s3, exec_lo, s3
; %bb.53:
	v_bfe_u32 v72, v81, 16, 1
	s_delay_alu instid0(VALU_DEP_1)
	v_add3_u32 v72, v81, v72, 0x7fff
                                        ; implicit-def: $vgpr81
; %bb.54:
	s_and_not1_saveexec_b32 s3, s3
; %bb.55:
	v_and_b32_e32 v72, 0xffff, v81
	v_or_b32_e32 v82, 0x10000, v81
	s_delay_alu instid0(VALU_DEP_2) | instskip(NEXT) | instid1(VALU_DEP_2)
	v_cmp_eq_u32_e32 vcc_lo, 0, v72
	v_cndmask_b32_e32 v72, v82, v81, vcc_lo
; %bb.56:
	s_or_b32 exec_lo, exec_lo, s3
	v_and_b32_e32 v81, 0x7f800000, v83
	s_delay_alu instid0(VALU_DEP_1) | instskip(SKIP_1) | instid1(SALU_CYCLE_1)
	v_cmp_ne_u32_e32 vcc_lo, 0x7f800000, v81
                                        ; implicit-def: $vgpr81
	s_and_saveexec_b32 s3, vcc_lo
	s_xor_b32 s3, exec_lo, s3
; %bb.57:
	v_bfe_u32 v81, v83, 16, 1
	s_delay_alu instid0(VALU_DEP_1)
	v_add3_u32 v81, v83, v81, 0x7fff
                                        ; implicit-def: $vgpr83
; %bb.58:
	s_and_not1_saveexec_b32 s3, s3
; %bb.59:
	v_and_b32_e32 v81, 0xffff, v83
	v_or_b32_e32 v82, 0x10000, v83
	s_delay_alu instid0(VALU_DEP_2) | instskip(NEXT) | instid1(VALU_DEP_2)
	v_cmp_eq_u32_e32 vcc_lo, 0, v81
	v_cndmask_b32_e32 v81, v82, v83, vcc_lo
; %bb.60:
	s_or_b32 exec_lo, exec_lo, s3
	v_and_b32_e32 v82, 0x7f800000, v77
	s_delay_alu instid0(VALU_DEP_1) | instskip(SKIP_1) | instid1(SALU_CYCLE_1)
	v_cmp_ne_u32_e32 vcc_lo, 0x7f800000, v82
                                        ; implicit-def: $vgpr82
	s_and_saveexec_b32 s3, vcc_lo
	s_xor_b32 s3, exec_lo, s3
; %bb.61:
	v_bfe_u32 v82, v77, 16, 1
	s_delay_alu instid0(VALU_DEP_1)
	v_add3_u32 v82, v77, v82, 0x7fff
                                        ; implicit-def: $vgpr77
; %bb.62:
	s_and_not1_saveexec_b32 s3, s3
; %bb.63:
	v_and_b32_e32 v82, 0xffff, v77
	v_or_b32_e32 v83, 0x10000, v77
	s_delay_alu instid0(VALU_DEP_2) | instskip(NEXT) | instid1(VALU_DEP_2)
	v_cmp_eq_u32_e32 vcc_lo, 0, v82
	v_cndmask_b32_e32 v82, v83, v77, vcc_lo
; %bb.64:
	s_or_b32 exec_lo, exec_lo, s3
	v_and_b32_e32 v77, 0x7f800000, v78
	s_delay_alu instid0(VALU_DEP_1) | instskip(SKIP_1) | instid1(SALU_CYCLE_1)
	v_cmp_ne_u32_e32 vcc_lo, 0x7f800000, v77
                                        ; implicit-def: $vgpr77
	s_and_saveexec_b32 s3, vcc_lo
	s_xor_b32 s3, exec_lo, s3
; %bb.65:
	v_bfe_u32 v77, v78, 16, 1
	s_delay_alu instid0(VALU_DEP_1)
	v_add3_u32 v77, v78, v77, 0x7fff
                                        ; implicit-def: $vgpr78
; %bb.66:
	s_and_not1_saveexec_b32 s3, s3
; %bb.67:
	v_and_b32_e32 v77, 0xffff, v78
	v_or_b32_e32 v83, 0x10000, v78
	s_delay_alu instid0(VALU_DEP_2) | instskip(NEXT) | instid1(VALU_DEP_2)
	v_cmp_eq_u32_e32 vcc_lo, 0, v77
	v_cndmask_b32_e32 v77, v83, v78, vcc_lo
; %bb.68:
	s_or_b32 exec_lo, exec_lo, s3
	v_and_b32_e32 v78, 0x7f800000, v79
	s_delay_alu instid0(VALU_DEP_1) | instskip(SKIP_1) | instid1(SALU_CYCLE_1)
	v_cmp_ne_u32_e32 vcc_lo, 0x7f800000, v78
                                        ; implicit-def: $vgpr78
	s_and_saveexec_b32 s3, vcc_lo
	s_xor_b32 s3, exec_lo, s3
; %bb.69:
	v_bfe_u32 v78, v79, 16, 1
	s_delay_alu instid0(VALU_DEP_1)
	v_add3_u32 v78, v79, v78, 0x7fff
                                        ; implicit-def: $vgpr79
; %bb.70:
	s_and_not1_saveexec_b32 s3, s3
; %bb.71:
	v_and_b32_e32 v78, 0xffff, v79
	v_or_b32_e32 v83, 0x10000, v79
	s_delay_alu instid0(VALU_DEP_2) | instskip(NEXT) | instid1(VALU_DEP_2)
	v_cmp_eq_u32_e32 vcc_lo, 0, v78
	v_cndmask_b32_e32 v78, v83, v79, vcc_lo
; %bb.72:
	s_or_b32 exec_lo, exec_lo, s3
	v_and_b32_e32 v79, 0x7f800000, v70
	s_delay_alu instid0(VALU_DEP_1) | instskip(SKIP_1) | instid1(SALU_CYCLE_1)
	v_cmp_ne_u32_e32 vcc_lo, 0x7f800000, v79
                                        ; implicit-def: $vgpr79
	s_and_saveexec_b32 s3, vcc_lo
	s_xor_b32 s3, exec_lo, s3
; %bb.73:
	v_bfe_u32 v79, v70, 16, 1
	s_delay_alu instid0(VALU_DEP_1)
	v_add3_u32 v79, v70, v79, 0x7fff
                                        ; implicit-def: $vgpr70
; %bb.74:
	s_and_not1_saveexec_b32 s3, s3
; %bb.75:
	v_and_b32_e32 v79, 0xffff, v70
	v_or_b32_e32 v83, 0x10000, v70
	s_delay_alu instid0(VALU_DEP_2) | instskip(NEXT) | instid1(VALU_DEP_2)
	v_cmp_eq_u32_e32 vcc_lo, 0, v79
	v_cndmask_b32_e32 v79, v83, v70, vcc_lo
; %bb.76:
	s_or_b32 exec_lo, exec_lo, s3
	s_delay_alu instid0(VALU_DEP_1)
	v_perm_b32 v86, v79, v78, 0x7060302
	v_perm_b32 v85, v77, v82, 0x7060302
	v_perm_b32 v84, v81, v72, 0x7060302
	v_perm_b32 v83, v71, v69, 0x7060302
	v_lshl_or_b32 v82, v66, 11, v80
	ds_store_b128 v76, v[83:86] offset:1024
	s_waitcnt lgkmcnt(0)
	s_barrier
	buffer_gl0_inv
	ds_load_b128 v[69:72], v82
	ds_load_b128 v[83:86], v82 offset:16
	s_waitcnt lgkmcnt(1)
	v_lshrrev_b32_e32 v66, 16, v69
	s_waitcnt lgkmcnt(0)
	v_lshrrev_b32_e32 v91, 16, v83
	v_lshlrev_b32_e32 v78, 2, v74
	v_lshrrev_b32_e32 v95, 16, v70
	v_lshrrev_b32_e32 v98, 16, v84
	;; [unrolled: 1-line block ×4, first 2 shown]
	v_cmp_eq_u32_e32 vcc_lo, 1, v78
	v_lshrrev_b32_e32 v97, 16, v72
	v_lshrrev_b32_e32 v100, 16, v86
	v_cndmask_b32_e32 v87, v83, v91, vcc_lo
	v_or_b32_e32 v79, 1, v78
	v_cndmask_b32_e32 v81, v69, v66, vcc_lo
	v_cmp_eq_u32_e64 s4, 2, v78
	v_cmp_eq_u32_e64 s7, 3, v78
	;; [unrolled: 1-line block ×5, first 2 shown]
	v_cndmask_b32_e64 v81, v81, v70, s4
	v_cndmask_b32_e64 v87, v87, v84, s4
	v_cmp_eq_u32_e64 s8, 3, v79
	v_cndmask_b32_e64 v88, v69, v66, s3
	v_or_b32_e32 v77, 2, v78
	v_cndmask_b32_e64 v81, v81, v95, s7
	v_cndmask_b32_e64 v87, v87, v98, s7
	;; [unrolled: 1-line block ×4, first 2 shown]
	v_cmp_eq_u32_e64 s10, 5, v78
	v_cndmask_b32_e64 v81, v81, v71, s9
	v_cndmask_b32_e64 v87, v87, v85, s9
	v_cmp_eq_u32_e64 s11, 4, v79
	v_cndmask_b32_e64 v88, v88, v95, s8
	v_cmp_eq_u32_e64 s5, 1, v77
	v_cndmask_b32_e64 v89, v89, v84, s6
	v_cndmask_b32_e64 v81, v81, v96, s10
	v_cmp_eq_u32_e64 s12, 6, v78
	v_cndmask_b32_e64 v88, v88, v71, s11
	;; [unrolled: 3-line block ×3, first 2 shown]
	v_cndmask_b32_e64 v89, v89, v98, s8
	v_cndmask_b32_e64 v81, v81, v72, s12
	v_cmp_eq_u32_e64 s15, 7, v78
	v_cndmask_b32_e64 v88, v88, v96, s13
	v_cndmask_b32_e64 v87, v87, v86, s12
	v_cmp_eq_u32_e64 s16, 6, v79
	v_cmp_eq_u32_e64 s17, 2, v77
	v_cndmask_b32_e64 v89, v89, v85, s11
	v_cndmask_b32_e64 v101, v81, v97, s15
	v_cndmask_b32_e64 v102, v87, v100, s15
	v_cndmask_b32_e64 v88, v88, v72, s16
	v_cndmask_b32_e64 v81, v90, v70, s17
	v_cndmask_b32_e64 v87, v83, v91, s5
	v_cmp_eq_u32_e64 s18, 7, v79
	v_cmp_eq_u32_e64 s19, 3, v77
	;; [unrolled: 1-line block ×4, first 2 shown]
	v_cndmask_b32_e64 v87, v87, v84, s17
	v_cndmask_b32_e64 v103, v88, v97, s18
	;; [unrolled: 1-line block ×4, first 2 shown]
	v_or_b32_e32 v81, 3, v78
	v_cndmask_b32_e64 v93, v87, v98, s19
	v_cmp_eq_u32_e64 s24, 6, v77
	v_cndmask_b32_e64 v104, v88, v86, s16
	v_cndmask_b32_e64 v92, v89, v71, s20
	v_cmp_eq_u32_e64 s21, 1, v81
	ds_load_b128 v[87:90], v82 offset:1024
	v_cmp_eq_u32_e64 s23, 2, v81
	v_cmp_eq_u32_e64 s25, 3, v81
	v_cndmask_b32_e64 v105, v92, v96, s22
	v_cndmask_b32_e64 v66, v69, v66, s21
	;; [unrolled: 1-line block ×4, first 2 shown]
	ds_load_b128 v[91:94], v82 offset:1040
	v_cmp_eq_u32_e64 s26, 4, v81
	v_cndmask_b32_e64 v66, v66, v70, s23
	v_cmp_eq_u32_e64 s27, 7, v77
	v_cndmask_b32_e64 v70, v83, v84, s23
	v_cndmask_b32_e64 v84, v105, v72, s24
	v_cmp_eq_u32_e64 s28, 5, v81
	v_cndmask_b32_e64 v66, v66, v95, s25
	v_cmp_eq_u32_e64 s29, 6, v81
	v_cndmask_b32_e64 v70, v70, v98, s25
	v_cndmask_b32_e64 v69, v69, v99, s22
	;; [unrolled: 1-line block ×4, first 2 shown]
	s_waitcnt lgkmcnt(1)
	v_lshrrev_b32_e32 v95, 16, v87
	v_cndmask_b32_e64 v70, v70, v85, s26
	v_cndmask_b32_e64 v71, v84, v97, s27
	;; [unrolled: 1-line block ×4, first 2 shown]
	v_cndmask_b32_e32 v84, v87, v95, vcc_lo
	v_cndmask_b32_e64 v70, v70, v99, s28
	s_waitcnt lgkmcnt(0)
	v_lshrrev_b32_e32 v85, 16, v91
	v_lshrrev_b32_e32 v96, 16, v88
	v_cndmask_b32_e64 v98, v87, v95, s3
	v_cndmask_b32_e64 v84, v84, v88, s4
	;; [unrolled: 1-line block ×3, first 2 shown]
	v_cndmask_b32_e32 v99, v91, v85, vcc_lo
	v_cmp_eq_u32_e32 vcc_lo, 7, v81
	v_cndmask_b32_e64 v66, v66, v72, s29
	v_cndmask_b32_e64 v72, v84, v96, s7
	v_cndmask_b32_e64 v84, v98, v88, s6
	v_lshrrev_b32_e32 v98, 16, v92
	v_cndmask_b32_e32 v70, v70, v100, vcc_lo
	v_cndmask_b32_e64 v86, v99, v92, s4
	v_cndmask_b32_e64 v69, v69, v100, s27
	v_lshrrev_b32_e32 v100, 16, v93
	v_cndmask_b32_e64 v72, v72, v89, s9
	v_lshrrev_b32_e32 v99, 16, v89
	v_cndmask_b32_e64 v86, v86, v98, s7
	v_perm_b32 v71, v69, v71, 0x5040100
	v_cndmask_b32_e64 v84, v84, v96, s8
	s_delay_alu instid0(VALU_DEP_3) | instskip(NEXT) | instid1(VALU_DEP_2)
	v_cndmask_b32_e64 v86, v86, v93, s9
	v_cndmask_b32_e64 v84, v84, v89, s11
	s_delay_alu instid0(VALU_DEP_2) | instskip(NEXT) | instid1(VALU_DEP_1)
	v_cndmask_b32_e64 v86, v86, v100, s10
	v_cndmask_b32_e64 v69, v86, v94, s12
	;; [unrolled: 1-line block ×5, first 2 shown]
	s_delay_alu instid0(VALU_DEP_3) | instskip(NEXT) | instid1(VALU_DEP_3)
	v_cndmask_b32_e64 v86, v86, v88, s17
	v_cndmask_b32_e64 v87, v87, v88, s23
	s_delay_alu instid0(VALU_DEP_3) | instskip(NEXT) | instid1(VALU_DEP_3)
	v_cndmask_b32_e64 v88, v95, v92, s23
	v_cndmask_b32_e64 v86, v86, v96, s19
	;; [unrolled: 3-line block ×7, first 2 shown]
	s_delay_alu instid0(VALU_DEP_3) | instskip(SKIP_2) | instid1(VALU_DEP_2)
	v_cndmask_b32_e64 v88, v88, v94, s29
	v_cndmask_b32_e32 v66, v66, v97, vcc_lo
	v_cndmask_b32_e64 v97, v72, v99, s10
	v_perm_b32 v72, v70, v66, 0x5040100
	v_perm_b32 v70, v83, v103, 0x5040100
	v_cndmask_b32_e64 v103, v91, v85, s5
	v_cndmask_b32_e64 v85, v91, v85, s3
	;; [unrolled: 1-line block ×4, first 2 shown]
	v_lshrrev_b32_e32 v97, 16, v90
	v_cndmask_b32_e64 v91, v103, v92, s17
	v_cndmask_b32_e64 v85, v85, v92, s6
	;; [unrolled: 1-line block ×3, first 2 shown]
	s_mov_b32 s3, exec_lo
	v_cndmask_b32_e64 v83, v84, v97, s15
	v_cndmask_b32_e64 v91, v91, v98, s19
	;; [unrolled: 1-line block ×3, first 2 shown]
	v_lshrrev_b32_e32 v84, 16, v94
	v_cndmask_b32_e64 v66, v66, v97, s18
	v_cndmask_b32_e64 v90, v86, v97, s27
	;; [unrolled: 1-line block ×4, first 2 shown]
	v_dual_cndmask_b32 v86, v87, v97 :: v_dual_cndmask_b32 v87, v88, v84
	v_cndmask_b32_e64 v91, v69, v84, s15
	s_delay_alu instid0(VALU_DEP_4) | instskip(NEXT) | instid1(VALU_DEP_4)
	v_cndmask_b32_e64 v89, v89, v100, s22
	v_cndmask_b32_e64 v85, v85, v100, s13
	v_perm_b32 v69, v102, v101, 0x5040100
	v_perm_b32 v86, v87, v86, 0x5040100
	v_perm_b32 v83, v91, v83, 0x5040100
	v_cndmask_b32_e64 v89, v89, v94, s24
	v_cndmask_b32_e64 v85, v85, v94, s16
	s_mul_i32 s8, s35, 5
	s_delay_alu instid0(VALU_DEP_2) | instskip(NEXT) | instid1(VALU_DEP_2)
	v_cndmask_b32_e64 v88, v89, v84, s27
	v_cndmask_b32_e64 v89, v85, v84, s18
	s_delay_alu instid0(VALU_DEP_2) | instskip(NEXT) | instid1(VALU_DEP_2)
	v_perm_b32 v85, v88, v90, 0x5040100
	v_perm_b32 v84, v89, v66, 0x5040100
	ds_store_b128 v76, v[69:72]
	ds_store_b128 v76, v[83:86] offset:1024
	v_cmpx_gt_u32_e32 5, v0
	s_cbranch_execz .LBB1570_78
; %bb.77:
	s_mul_i32 s4, s8, s30
	s_delay_alu instid0(SALU_CYCLE_1) | instskip(SKIP_1) | instid1(VALU_DEP_1)
	v_add3_u32 v69, s4, s31, v65
	s_load_b128 s[4:7], s[0:1], 0x58
	v_mad_u64_u32 v[65:66], null, v69, s34, s[14:15]
	s_delay_alu instid0(VALU_DEP_1) | instskip(NEXT) | instid1(VALU_DEP_1)
	v_ashrrev_i32_e32 v66, 31, v65
	v_lshlrev_b64 v[65:66], 2, v[65:66]
	s_waitcnt lgkmcnt(0)
	s_delay_alu instid0(VALU_DEP_1) | instskip(NEXT) | instid1(VALU_DEP_2)
	v_add_co_u32 v69, vcc_lo, s6, v65
	v_add_co_ci_u32_e32 v70, vcc_lo, s7, v66, vcc_lo
	v_add_co_u32 v65, vcc_lo, s4, v65
	v_add_co_ci_u32_e32 v66, vcc_lo, s5, v66, vcc_lo
	global_store_b32 v[69:70], v67, off
	global_store_b32 v[65:66], v68, off
.LBB1570_78:
	s_or_b32 exec_lo, exec_lo, s3
	s_waitcnt lgkmcnt(0)
	s_waitcnt_vscnt null, 0x0
	s_barrier
	buffer_gl0_inv
	ds_load_b128 v[83:86], v80
	ds_load_b128 v[87:90], v80 offset:16
	ds_load_b128 v[95:98], v80 offset:2064
	;; [unrolled: 1-line block ×3, first 2 shown]
	v_mov_b32_e32 v65, 0
	ds_load_b128 v[103:106], v80 offset:4112
	ds_load_b128 v[99:102], v80 offset:4096
	;; [unrolled: 1-line block ×4, first 2 shown]
	v_mov_b32_e32 v66, v65
	v_mov_b32_e32 v67, v65
	;; [unrolled: 1-line block ×7, first 2 shown]
	s_waitcnt lgkmcnt(6)
	s_delay_alu instid0(VALU_DEP_1)
	v_wmma_f32_16x16x16_bf16 v[65:72], v[41:48], v[83:90], v[65:72]
	ds_load_b128 v[45:48], v80 offset:8208
	ds_load_b128 v[41:44], v80 offset:8192
	s_waitcnt lgkmcnt(6)
	v_wmma_f32_16x16x16_bf16 v[65:72], v[33:40], v[91:98], v[65:72]
	ds_load_b128 v[37:40], v80 offset:10256
	ds_load_b128 v[33:36], v80 offset:10240
	s_waitcnt lgkmcnt(6)
	;; [unrolled: 4-line block ×4, first 2 shown]
	v_wmma_f32_16x16x16_bf16 v[65:72], v[1:8], v[41:48], v[65:72]
	s_waitcnt lgkmcnt(4)
	s_delay_alu instid0(VALU_DEP_1) | instskip(SKIP_1) | instid1(VALU_DEP_1)
	v_wmma_f32_16x16x16_bf16 v[65:72], v[9:16], v[33:40], v[65:72]
	s_waitcnt lgkmcnt(2)
	v_wmma_f32_16x16x16_bf16 v[65:72], v[57:64], v[25:32], v[65:72]
	s_waitcnt lgkmcnt(0)
	s_delay_alu instid0(VALU_DEP_1) | instskip(NEXT) | instid1(VALU_DEP_1)
	v_wmma_f32_16x16x16_bf16 v[65:72], v[49:56], v[17:24], v[65:72]
	v_and_b32_e32 v1, 0x7f800000, v65
	s_delay_alu instid0(VALU_DEP_1) | instskip(SKIP_1) | instid1(SALU_CYCLE_1)
	v_cmp_ne_u32_e32 vcc_lo, 0x7f800000, v1
                                        ; implicit-def: $vgpr1
	s_and_saveexec_b32 s3, vcc_lo
	s_xor_b32 s3, exec_lo, s3
; %bb.79:
	v_bfe_u32 v1, v65, 16, 1
	s_delay_alu instid0(VALU_DEP_1)
	v_add3_u32 v1, v65, v1, 0x7fff
; %bb.80:
	s_and_not1_saveexec_b32 s3, s3
; %bb.81:
	v_and_b32_e32 v1, 0xffff, v65
	v_or_b32_e32 v2, 0x10000, v65
	s_delay_alu instid0(VALU_DEP_2) | instskip(NEXT) | instid1(VALU_DEP_2)
	v_cmp_eq_u32_e32 vcc_lo, 0, v1
	v_cndmask_b32_e32 v1, v2, v65, vcc_lo
; %bb.82:
	s_or_b32 exec_lo, exec_lo, s3
	v_and_b32_e32 v2, 0x7f800000, v66
	s_delay_alu instid0(VALU_DEP_1) | instskip(SKIP_1) | instid1(SALU_CYCLE_1)
	v_cmp_ne_u32_e32 vcc_lo, 0x7f800000, v2
                                        ; implicit-def: $vgpr2
	s_and_saveexec_b32 s3, vcc_lo
	s_xor_b32 s3, exec_lo, s3
; %bb.83:
	v_bfe_u32 v2, v66, 16, 1
	s_delay_alu instid0(VALU_DEP_1)
	v_add3_u32 v2, v66, v2, 0x7fff
; %bb.84:
	s_and_not1_saveexec_b32 s3, s3
; %bb.85:
	v_and_b32_e32 v2, 0xffff, v66
	v_or_b32_e32 v3, 0x10000, v66
	s_delay_alu instid0(VALU_DEP_2) | instskip(NEXT) | instid1(VALU_DEP_2)
	v_cmp_eq_u32_e32 vcc_lo, 0, v2
	v_cndmask_b32_e32 v2, v3, v66, vcc_lo
; %bb.86:
	s_or_b32 exec_lo, exec_lo, s3
	v_and_b32_e32 v3, 0x7f800000, v67
	s_delay_alu instid0(VALU_DEP_1) | instskip(SKIP_1) | instid1(SALU_CYCLE_1)
	v_cmp_ne_u32_e32 vcc_lo, 0x7f800000, v3
                                        ; implicit-def: $vgpr3
	s_and_saveexec_b32 s3, vcc_lo
	s_xor_b32 s3, exec_lo, s3
; %bb.87:
	v_bfe_u32 v3, v67, 16, 1
	s_delay_alu instid0(VALU_DEP_1)
	v_add3_u32 v3, v67, v3, 0x7fff
; %bb.88:
	s_and_not1_saveexec_b32 s3, s3
; %bb.89:
	v_and_b32_e32 v3, 0xffff, v67
	v_or_b32_e32 v4, 0x10000, v67
	s_delay_alu instid0(VALU_DEP_2) | instskip(NEXT) | instid1(VALU_DEP_2)
	v_cmp_eq_u32_e32 vcc_lo, 0, v3
	v_cndmask_b32_e32 v3, v4, v67, vcc_lo
; %bb.90:
	s_or_b32 exec_lo, exec_lo, s3
	v_and_b32_e32 v4, 0x7f800000, v68
	s_delay_alu instid0(VALU_DEP_1) | instskip(SKIP_1) | instid1(SALU_CYCLE_1)
	v_cmp_ne_u32_e32 vcc_lo, 0x7f800000, v4
                                        ; implicit-def: $vgpr4
	s_and_saveexec_b32 s3, vcc_lo
	s_xor_b32 s3, exec_lo, s3
; %bb.91:
	v_bfe_u32 v4, v68, 16, 1
	s_delay_alu instid0(VALU_DEP_1)
	v_add3_u32 v4, v68, v4, 0x7fff
; %bb.92:
	s_and_not1_saveexec_b32 s3, s3
; %bb.93:
	v_and_b32_e32 v4, 0xffff, v68
	v_or_b32_e32 v5, 0x10000, v68
	s_delay_alu instid0(VALU_DEP_2) | instskip(NEXT) | instid1(VALU_DEP_2)
	v_cmp_eq_u32_e32 vcc_lo, 0, v4
	v_cndmask_b32_e32 v4, v5, v68, vcc_lo
; %bb.94:
	s_or_b32 exec_lo, exec_lo, s3
	v_and_b32_e32 v5, 0x7f800000, v69
	s_delay_alu instid0(VALU_DEP_1) | instskip(SKIP_1) | instid1(SALU_CYCLE_1)
	v_cmp_ne_u32_e32 vcc_lo, 0x7f800000, v5
                                        ; implicit-def: $vgpr5
	s_and_saveexec_b32 s3, vcc_lo
	s_xor_b32 s3, exec_lo, s3
; %bb.95:
	v_bfe_u32 v5, v69, 16, 1
	s_delay_alu instid0(VALU_DEP_1)
	v_add3_u32 v5, v69, v5, 0x7fff
; %bb.96:
	s_and_not1_saveexec_b32 s3, s3
; %bb.97:
	v_and_b32_e32 v5, 0xffff, v69
	v_or_b32_e32 v6, 0x10000, v69
	s_delay_alu instid0(VALU_DEP_2) | instskip(NEXT) | instid1(VALU_DEP_2)
	v_cmp_eq_u32_e32 vcc_lo, 0, v5
	v_cndmask_b32_e32 v5, v6, v69, vcc_lo
; %bb.98:
	s_or_b32 exec_lo, exec_lo, s3
	v_and_b32_e32 v6, 0x7f800000, v70
	s_delay_alu instid0(VALU_DEP_1) | instskip(SKIP_1) | instid1(SALU_CYCLE_1)
	v_cmp_ne_u32_e32 vcc_lo, 0x7f800000, v6
                                        ; implicit-def: $vgpr6
	s_and_saveexec_b32 s3, vcc_lo
	s_xor_b32 s3, exec_lo, s3
; %bb.99:
	v_bfe_u32 v6, v70, 16, 1
	s_delay_alu instid0(VALU_DEP_1)
	v_add3_u32 v6, v70, v6, 0x7fff
; %bb.100:
	s_and_not1_saveexec_b32 s3, s3
; %bb.101:
	v_and_b32_e32 v6, 0xffff, v70
	v_or_b32_e32 v7, 0x10000, v70
	s_delay_alu instid0(VALU_DEP_2) | instskip(NEXT) | instid1(VALU_DEP_2)
	v_cmp_eq_u32_e32 vcc_lo, 0, v6
	v_cndmask_b32_e32 v6, v7, v70, vcc_lo
; %bb.102:
	s_or_b32 exec_lo, exec_lo, s3
	v_and_b32_e32 v7, 0x7f800000, v71
	s_delay_alu instid0(VALU_DEP_1) | instskip(SKIP_1) | instid1(SALU_CYCLE_1)
	v_cmp_ne_u32_e32 vcc_lo, 0x7f800000, v7
                                        ; implicit-def: $vgpr7
	s_and_saveexec_b32 s3, vcc_lo
	s_xor_b32 s3, exec_lo, s3
; %bb.103:
	v_bfe_u32 v7, v71, 16, 1
	s_delay_alu instid0(VALU_DEP_1)
	v_add3_u32 v7, v71, v7, 0x7fff
; %bb.104:
	s_and_not1_saveexec_b32 s3, s3
; %bb.105:
	v_and_b32_e32 v7, 0xffff, v71
	v_or_b32_e32 v8, 0x10000, v71
	s_delay_alu instid0(VALU_DEP_2) | instskip(NEXT) | instid1(VALU_DEP_2)
	v_cmp_eq_u32_e32 vcc_lo, 0, v7
	v_cndmask_b32_e32 v7, v8, v71, vcc_lo
; %bb.106:
	s_or_b32 exec_lo, exec_lo, s3
	v_and_b32_e32 v8, 0x7f800000, v72
	s_delay_alu instid0(VALU_DEP_1) | instskip(SKIP_1) | instid1(SALU_CYCLE_1)
	v_cmp_ne_u32_e32 vcc_lo, 0x7f800000, v8
                                        ; implicit-def: $vgpr8
	s_and_saveexec_b32 s3, vcc_lo
	s_xor_b32 s3, exec_lo, s3
; %bb.107:
	v_bfe_u32 v8, v72, 16, 1
	s_delay_alu instid0(VALU_DEP_1)
	v_add3_u32 v8, v72, v8, 0x7fff
                                        ; implicit-def: $vgpr65_vgpr66_vgpr67_vgpr68_vgpr69_vgpr70_vgpr71_vgpr72
; %bb.108:
	s_and_not1_saveexec_b32 s3, s3
; %bb.109:
	v_and_b32_e32 v8, 0xffff, v72
	v_or_b32_e32 v9, 0x10000, v72
	s_delay_alu instid0(VALU_DEP_2) | instskip(NEXT) | instid1(VALU_DEP_2)
	v_cmp_eq_u32_e32 vcc_lo, 0, v8
	v_cndmask_b32_e32 v8, v9, v72, vcc_lo
; %bb.110:
	s_or_b32 exec_lo, exec_lo, s3
	s_delay_alu instid0(VALU_DEP_1)
	v_perm_b32 v7, v8, v7, 0x7060302
	v_perm_b32 v6, v6, v5, 0x7060302
	;; [unrolled: 1-line block ×4, first 2 shown]
	s_barrier
	buffer_gl0_inv
	v_cmp_eq_u32_e32 vcc_lo, 1, v78
	ds_store_b128 v76, v[4:7]
	s_waitcnt lgkmcnt(0)
	s_barrier
	buffer_gl0_inv
	ds_load_b128 v[1:4], v82
	ds_load_b128 v[5:8], v82 offset:16
	v_cmp_eq_u32_e64 s3, 1, v79
	v_cmp_eq_u32_e64 s4, 2, v78
	;; [unrolled: 1-line block ×5, first 2 shown]
	s_waitcnt lgkmcnt(1)
	v_lshrrev_b32_e32 v9, 16, v1
	s_waitcnt lgkmcnt(0)
	v_lshrrev_b32_e32 v13, 16, v5
	v_lshrrev_b32_e32 v10, 16, v2
	;; [unrolled: 1-line block ×4, first 2 shown]
	v_cndmask_b32_e64 v19, v1, v9, s3
	v_cndmask_b32_e32 v18, v5, v13, vcc_lo
	v_cndmask_b32_e64 v20, v5, v13, s3
	v_cndmask_b32_e32 v17, v1, v9, vcc_lo
	v_cmp_eq_u32_e32 vcc_lo, 2, v79
	v_lshrrev_b32_e32 v15, 16, v7
	v_cmp_eq_u32_e64 s3, 1, v77
	v_lshrrev_b32_e32 v12, 16, v4
	v_lshrrev_b32_e32 v16, 16, v8
	v_cndmask_b32_e32 v20, v20, v6, vcc_lo
	v_cndmask_b32_e64 v17, v17, v2, s4
	v_cndmask_b32_e32 v19, v19, v2, vcc_lo
	v_cndmask_b32_e64 v18, v18, v6, s4
	v_cmp_eq_u32_e32 vcc_lo, 4, v78
	v_cmp_eq_u32_e64 s4, 3, v79
	v_cndmask_b32_e64 v17, v17, v10, s5
	v_cndmask_b32_e64 v21, v1, v9, s3
	;; [unrolled: 1-line block ×5, first 2 shown]
	v_cndmask_b32_e32 v17, v17, v3, vcc_lo
	v_cndmask_b32_e64 v20, v20, v14, s4
	v_cndmask_b32_e32 v18, v18, v7, vcc_lo
	v_cmp_eq_u32_e32 vcc_lo, 4, v79
	v_cmp_eq_u32_e64 s4, 5, v79
	v_cmp_eq_u32_e64 s3, 2, v81
	v_cndmask_b32_e64 v21, v21, v2, s7
	v_cmp_eq_u32_e64 s5, 5, v78
	v_cndmask_b32_e32 v19, v19, v3, vcc_lo
	v_cndmask_b32_e32 v20, v20, v7, vcc_lo
	v_cmp_eq_u32_e32 vcc_lo, 6, v79
	s_delay_alu instid0(VALU_DEP_4) | instskip(NEXT) | instid1(VALU_DEP_4)
	v_cndmask_b32_e64 v17, v17, v11, s5
	v_cndmask_b32_e64 v19, v19, v11, s4
	s_delay_alu instid0(VALU_DEP_4) | instskip(SKIP_1) | instid1(VALU_DEP_3)
	v_cndmask_b32_e64 v20, v20, v15, s4
	v_cmp_eq_u32_e64 s4, 1, v81
	v_cndmask_b32_e32 v19, v19, v4, vcc_lo
	v_cndmask_b32_e64 v18, v18, v15, s5
	s_delay_alu instid0(VALU_DEP_3)
	v_cndmask_b32_e64 v1, v1, v9, s4
	v_cndmask_b32_e64 v5, v5, v13, s4
	v_cmp_eq_u32_e64 s4, 3, v77
	v_cndmask_b32_e64 v13, v22, v6, s7
	v_cmp_eq_u32_e64 s7, 3, v81
	v_cndmask_b32_e64 v1, v1, v2, s3
	v_cndmask_b32_e64 v2, v5, v6, s3
	;; [unrolled: 1-line block ×3, first 2 shown]
	v_cmp_eq_u32_e64 s3, 4, v77
	v_cndmask_b32_e64 v6, v13, v14, s4
	v_cndmask_b32_e64 v1, v1, v10, s7
	v_cmp_eq_u32_e64 s4, 4, v81
	v_cndmask_b32_e64 v2, v2, v14, s7
	v_cndmask_b32_e64 v5, v9, v3, s3
	;; [unrolled: 3-line block ×3, first 2 shown]
	v_cndmask_b32_e64 v2, v2, v7, s4
	v_cmp_eq_u32_e64 s3, 5, v81
	v_cmp_eq_u32_e64 s5, 6, v78
	v_cndmask_b32_e64 v5, v5, v11, s7
	v_cmp_eq_u32_e64 s4, 6, v77
	v_cndmask_b32_e64 v3, v6, v15, s7
	v_cndmask_b32_e64 v1, v1, v11, s3
	v_cmp_eq_u32_e64 s7, 6, v81
	v_cndmask_b32_e64 v2, v2, v15, s3
	v_cndmask_b32_e64 v17, v17, v4, s5
	v_cndmask_b32_e64 v18, v18, v8, s5
	v_cmp_eq_u32_e64 s5, 7, v78
	v_cndmask_b32_e64 v5, v5, v4, s4
	;; [unrolled: 4-line block ×3, first 2 shown]
	v_cmp_eq_u32_e64 s4, 7, v77
	v_cndmask_b32_e32 v4, v20, v8, vcc_lo
	v_cndmask_b32_e64 v17, v17, v12, s5
	v_cndmask_b32_e64 v19, v19, v12, s6
	;; [unrolled: 1-line block ×8, first 2 shown]
	s_mov_b32 s3, exec_lo
	v_perm_b32 v4, v2, v1, 0x5040100
	v_perm_b32 v3, v3, v5, 0x5040100
	;; [unrolled: 1-line block ×4, first 2 shown]
	ds_store_b128 v76, v[1:4]
	s_waitcnt lgkmcnt(0)
	s_barrier
	buffer_gl0_inv
	v_cmpx_gt_u32_e32 32, v0
	s_cbranch_execz .LBB1570_2
; %bb.111:
	s_load_b64 s[4:5], s[0:1], 0x68
	v_lshlrev_b32_e32 v0, 10, v0
	v_add_nc_u32_e32 v2, s31, v74
	v_lshlrev_b32_e32 v3, 4, v75
	s_lshl_b32 s0, s34, 7
	s_delay_alu instid0(SALU_CYCLE_1) | instskip(NEXT) | instid1(VALU_DEP_2)
	s_mul_i32 s1, s0, s30
	v_mul_lo_u32 v1, v2, s0
	s_delay_alu instid0(VALU_DEP_2) | instskip(SKIP_2) | instid1(SALU_CYCLE_1)
	v_and_or_b32 v0, 0x3800, v0, v3
	v_add_nc_u32_e32 v2, 2, v2
	s_mul_i32 s6, s1, s8
	s_ashr_i32 s7, s6, 31
	s_delay_alu instid0(VALU_DEP_2)
	v_lshl_or_b32 v7, v74, 6, v0
	s_lshl_b64 s[6:7], s[6:7], 1
	v_mul_lo_u32 v11, v2, s0
	v_ashrrev_i32_e32 v2, 31, v1
	ds_load_b128 v[3:6], v7
	ds_load_b128 v[7:10], v7 offset:128
	s_waitcnt lgkmcnt(0)
	s_add_u32 s1, s4, s6
	s_addc_u32 s3, s5, s7
	s_lshl_b32 s4, s14, 7
	v_ashrrev_i32_e32 v12, 31, v11
	s_ashr_i32 s5, s4, 31
	v_lshlrev_b64 v[13:14], 1, v[1:2]
	s_lshl_b64 s[4:5], s[4:5], 1
	s_delay_alu instid0(SALU_CYCLE_1) | instskip(SKIP_2) | instid1(VALU_DEP_1)
	s_add_u32 s1, s1, s4
	s_addc_u32 s3, s3, s5
	v_add_co_u32 v1, s1, s1, v73
	v_add_co_ci_u32_e64 v2, null, s3, 0, s1
	v_lshlrev_b64 v[11:12], 1, v[11:12]
	s_delay_alu instid0(VALU_DEP_3) | instskip(NEXT) | instid1(VALU_DEP_3)
	v_add_co_u32 v13, vcc_lo, v1, v13
	v_add_co_ci_u32_e32 v14, vcc_lo, v2, v14, vcc_lo
	s_delay_alu instid0(VALU_DEP_3) | instskip(NEXT) | instid1(VALU_DEP_4)
	v_add_co_u32 v11, vcc_lo, v1, v11
	v_add_co_ci_u32_e32 v12, vcc_lo, v2, v12, vcc_lo
	s_clause 0x1
	global_store_b128 v[13:14], v[3:6], off
	global_store_b128 v[11:12], v[7:10], off
	s_and_b32 exec_lo, exec_lo, s2
	s_cbranch_execz .LBB1570_2
; %bb.112:
	ds_load_b128 v[3:6], v0 offset:256
	s_add_i32 s1, s31, 4
	s_delay_alu instid0(SALU_CYCLE_1) | instskip(NEXT) | instid1(SALU_CYCLE_1)
	s_mul_i32 s0, s1, s0
	s_ashr_i32 s1, s0, 31
	s_delay_alu instid0(SALU_CYCLE_1) | instskip(NEXT) | instid1(SALU_CYCLE_1)
	s_lshl_b64 s[0:1], s[0:1], 1
	v_add_co_u32 v0, vcc_lo, v1, s0
	v_add_co_ci_u32_e32 v1, vcc_lo, s1, v2, vcc_lo
	s_waitcnt lgkmcnt(0)
	global_store_b128 v[0:1], v[3:6], off
	s_nop 0
	s_sendmsg sendmsg(MSG_DEALLOC_VGPRS)
	s_endpgm
	.section	.rodata,"a",@progbits
	.p2align	6, 0x0
	.amdhsa_kernel _Z39paged_attention_ll4mi_QKV_mfma16_kernelI14__hip_bfloat16hLN4vllm18Fp8KVCacheDataTypeE1ES0_Li16ELi128ELi256ELb0ELi5EL8MFMAType1EEvPKT_PKT0_S9_ifPKiSB_SB_iPKfiiiPfSE_PS4_PT2_iSD_SD_
		.amdhsa_group_segment_fixed_size 17472
		.amdhsa_private_segment_fixed_size 0
		.amdhsa_kernarg_size 400
		.amdhsa_user_sgpr_count 13
		.amdhsa_user_sgpr_dispatch_ptr 0
		.amdhsa_user_sgpr_queue_ptr 0
		.amdhsa_user_sgpr_kernarg_segment_ptr 1
		.amdhsa_user_sgpr_dispatch_id 0
		.amdhsa_user_sgpr_private_segment_size 0
		.amdhsa_wavefront_size32 1
		.amdhsa_uses_dynamic_stack 0
		.amdhsa_enable_private_segment 0
		.amdhsa_system_sgpr_workgroup_id_x 1
		.amdhsa_system_sgpr_workgroup_id_y 1
		.amdhsa_system_sgpr_workgroup_id_z 1
		.amdhsa_system_sgpr_workgroup_info 0
		.amdhsa_system_vgpr_workitem_id 0
		.amdhsa_next_free_vgpr 140
		.amdhsa_next_free_sgpr 36
		.amdhsa_reserve_vcc 1
		.amdhsa_float_round_mode_32 0
		.amdhsa_float_round_mode_16_64 0
		.amdhsa_float_denorm_mode_32 3
		.amdhsa_float_denorm_mode_16_64 3
		.amdhsa_dx10_clamp 1
		.amdhsa_ieee_mode 1
		.amdhsa_fp16_overflow 0
		.amdhsa_workgroup_processor_mode 1
		.amdhsa_memory_ordered 1
		.amdhsa_forward_progress 0
		.amdhsa_shared_vgpr_count 0
		.amdhsa_exception_fp_ieee_invalid_op 0
		.amdhsa_exception_fp_denorm_src 0
		.amdhsa_exception_fp_ieee_div_zero 0
		.amdhsa_exception_fp_ieee_overflow 0
		.amdhsa_exception_fp_ieee_underflow 0
		.amdhsa_exception_fp_ieee_inexact 0
		.amdhsa_exception_int_div_zero 0
	.end_amdhsa_kernel
	.section	.text._Z39paged_attention_ll4mi_QKV_mfma16_kernelI14__hip_bfloat16hLN4vllm18Fp8KVCacheDataTypeE1ES0_Li16ELi128ELi256ELb0ELi5EL8MFMAType1EEvPKT_PKT0_S9_ifPKiSB_SB_iPKfiiiPfSE_PS4_PT2_iSD_SD_,"axG",@progbits,_Z39paged_attention_ll4mi_QKV_mfma16_kernelI14__hip_bfloat16hLN4vllm18Fp8KVCacheDataTypeE1ES0_Li16ELi128ELi256ELb0ELi5EL8MFMAType1EEvPKT_PKT0_S9_ifPKiSB_SB_iPKfiiiPfSE_PS4_PT2_iSD_SD_,comdat
.Lfunc_end1570:
	.size	_Z39paged_attention_ll4mi_QKV_mfma16_kernelI14__hip_bfloat16hLN4vllm18Fp8KVCacheDataTypeE1ES0_Li16ELi128ELi256ELb0ELi5EL8MFMAType1EEvPKT_PKT0_S9_ifPKiSB_SB_iPKfiiiPfSE_PS4_PT2_iSD_SD_, .Lfunc_end1570-_Z39paged_attention_ll4mi_QKV_mfma16_kernelI14__hip_bfloat16hLN4vllm18Fp8KVCacheDataTypeE1ES0_Li16ELi128ELi256ELb0ELi5EL8MFMAType1EEvPKT_PKT0_S9_ifPKiSB_SB_iPKfiiiPfSE_PS4_PT2_iSD_SD_
                                        ; -- End function
	.section	.AMDGPU.csdata,"",@progbits
; Kernel info:
; codeLenInByte = 8904
; NumSgprs: 38
; NumVgprs: 140
; ScratchSize: 0
; MemoryBound: 0
; FloatMode: 240
; IeeeMode: 1
; LDSByteSize: 17472 bytes/workgroup (compile time only)
; SGPRBlocks: 4
; VGPRBlocks: 17
; NumSGPRsForWavesPerEU: 38
; NumVGPRsForWavesPerEU: 140
; Occupancy: 10
; WaveLimiterHint : 1
; COMPUTE_PGM_RSRC2:SCRATCH_EN: 0
; COMPUTE_PGM_RSRC2:USER_SGPR: 13
; COMPUTE_PGM_RSRC2:TRAP_HANDLER: 0
; COMPUTE_PGM_RSRC2:TGID_X_EN: 1
; COMPUTE_PGM_RSRC2:TGID_Y_EN: 1
; COMPUTE_PGM_RSRC2:TGID_Z_EN: 1
; COMPUTE_PGM_RSRC2:TIDIG_COMP_CNT: 0
	.section	.text._Z39paged_attention_ll4mi_QKV_mfma16_kernelI14__hip_bfloat16hLN4vllm18Fp8KVCacheDataTypeE1ES0_Li16ELi128ELi256ELb0ELi6EL8MFMAType1EEvPKT_PKT0_S9_ifPKiSB_SB_iPKfiiiPfSE_PS4_PT2_iSD_SD_,"axG",@progbits,_Z39paged_attention_ll4mi_QKV_mfma16_kernelI14__hip_bfloat16hLN4vllm18Fp8KVCacheDataTypeE1ES0_Li16ELi128ELi256ELb0ELi6EL8MFMAType1EEvPKT_PKT0_S9_ifPKiSB_SB_iPKfiiiPfSE_PS4_PT2_iSD_SD_,comdat
	.protected	_Z39paged_attention_ll4mi_QKV_mfma16_kernelI14__hip_bfloat16hLN4vllm18Fp8KVCacheDataTypeE1ES0_Li16ELi128ELi256ELb0ELi6EL8MFMAType1EEvPKT_PKT0_S9_ifPKiSB_SB_iPKfiiiPfSE_PS4_PT2_iSD_SD_ ; -- Begin function _Z39paged_attention_ll4mi_QKV_mfma16_kernelI14__hip_bfloat16hLN4vllm18Fp8KVCacheDataTypeE1ES0_Li16ELi128ELi256ELb0ELi6EL8MFMAType1EEvPKT_PKT0_S9_ifPKiSB_SB_iPKfiiiPfSE_PS4_PT2_iSD_SD_
	.globl	_Z39paged_attention_ll4mi_QKV_mfma16_kernelI14__hip_bfloat16hLN4vllm18Fp8KVCacheDataTypeE1ES0_Li16ELi128ELi256ELb0ELi6EL8MFMAType1EEvPKT_PKT0_S9_ifPKiSB_SB_iPKfiiiPfSE_PS4_PT2_iSD_SD_
	.p2align	8
	.type	_Z39paged_attention_ll4mi_QKV_mfma16_kernelI14__hip_bfloat16hLN4vllm18Fp8KVCacheDataTypeE1ES0_Li16ELi128ELi256ELb0ELi6EL8MFMAType1EEvPKT_PKT0_S9_ifPKiSB_SB_iPKfiiiPfSE_PS4_PT2_iSD_SD_,@function
_Z39paged_attention_ll4mi_QKV_mfma16_kernelI14__hip_bfloat16hLN4vllm18Fp8KVCacheDataTypeE1ES0_Li16ELi128ELi256ELb0ELi6EL8MFMAType1EEvPKT_PKT0_S9_ifPKiSB_SB_iPKfiiiPfSE_PS4_PT2_iSD_SD_: ; @_Z39paged_attention_ll4mi_QKV_mfma16_kernelI14__hip_bfloat16hLN4vllm18Fp8KVCacheDataTypeE1ES0_Li16ELi128ELi256ELb0ELi6EL8MFMAType1EEvPKT_PKT0_S9_ifPKiSB_SB_iPKfiiiPfSE_PS4_PT2_iSD_SD_
; %bb.0:
	s_load_b64 s[4:5], s[0:1], 0x30
	s_mov_b32 s30, s13
	s_waitcnt lgkmcnt(0)
	s_cmp_lg_u64 s[4:5], 0
	s_cselect_b32 s13, -1, 0
	s_ashr_i32 s31, s30, 31
	s_cmp_eq_u64 s[4:5], 0
	s_cbranch_scc1 .LBB1571_3
; %bb.1:
	s_lshl_b64 s[2:3], s[30:31], 2
	s_delay_alu instid0(SALU_CYCLE_1) | instskip(SKIP_4) | instid1(SALU_CYCLE_1)
	s_add_u32 s2, s4, s2
	s_addc_u32 s3, s5, s3
	s_load_b64 s[2:3], s[2:3], 0x0
	s_waitcnt lgkmcnt(0)
	s_sub_i32 s2, s3, s2
	s_cmp_eq_u32 s2, 1
	s_cselect_b32 s2, -1, 0
	s_delay_alu instid0(SALU_CYCLE_1)
	s_and_not1_b32 vcc_lo, exec_lo, s2
	s_cbranch_vccz .LBB1571_4
.LBB1571_2:
	s_endpgm
.LBB1571_3:
.LBB1571_4:
	s_load_b64 s[2:3], s[0:1], 0x28
	s_lshl_b64 s[6:7], s[30:31], 2
	s_waitcnt lgkmcnt(0)
	s_add_u32 s2, s2, s6
	s_addc_u32 s3, s3, s7
	s_lshl_b32 s12, s14, 8
	s_load_b32 s17, s[2:3], 0x0
	s_waitcnt lgkmcnt(0)
	s_cmp_ge_i32 s12, s17
	s_cbranch_scc1 .LBB1571_2
; %bb.5:
	s_clause 0x1
	s_load_b128 s[8:11], s[0:1], 0x8
	s_load_b64 s[2:3], s[0:1], 0x20
	s_and_not1_b32 vcc_lo, exec_lo, s13
	s_cbranch_vccnz .LBB1571_7
; %bb.6:
	s_add_u32 s4, s4, s6
	s_addc_u32 s5, s5, s7
	s_load_b32 s13, s[4:5], 0x0
	s_branch .LBB1571_8
.LBB1571_7:
	s_mov_b32 s13, s30
.LBB1571_8:
	s_load_b128 s[4:7], s[0:1], 0x48
	v_and_b32_e32 v65, 15, v0
	v_lshrrev_b32_e32 v66, 5, v0
	v_and_b32_e32 v67, 31, v0
	v_and_b32_e32 v75, 1, v0
	v_bfe_u32 v74, v0, 4, 1
	v_lshlrev_b32_e32 v1, 3, v65
	s_mul_i32 s29, s15, 6
	s_waitcnt lgkmcnt(0)
	s_mov_b32 s7, exec_lo
	s_delay_alu instid0(VALU_DEP_1)
	v_lshlrev_b32_e32 v73, 1, v1
	v_cmpx_gt_u32_e32 0x60, v0
	s_cbranch_execz .LBB1571_10
; %bb.9:
	s_load_b64 s[18:19], s[0:1], 0x0
	v_lshl_or_b32 v5, v66, 1, v74
	s_mul_hi_i32 s21, s13, s4
	s_mul_i32 s20, s13, s4
	v_lshlrev_b32_e32 v6, 10, v65
	s_lshl_b64 s[20:21], s[20:21], 1
	v_add_lshl_u32 v1, v5, s29, 7
	v_lshlrev_b32_e32 v5, 6, v5
	v_lshlrev_b32_e32 v7, 10, v75
	v_and_b32_e32 v6, 0x3800, v6
	s_delay_alu instid0(VALU_DEP_4) | instskip(NEXT) | instid1(VALU_DEP_2)
	v_ashrrev_i32_e32 v2, 31, v1
	v_or3_b32 v5, v6, v7, v5
	s_delay_alu instid0(VALU_DEP_2) | instskip(SKIP_3) | instid1(VALU_DEP_1)
	v_lshlrev_b64 v[1:2], 1, v[1:2]
	s_waitcnt lgkmcnt(0)
	s_add_u32 s4, s18, s20
	s_addc_u32 s13, s19, s21
	v_add_co_u32 v1, vcc_lo, s4, v1
	s_delay_alu instid0(VALU_DEP_2) | instskip(NEXT) | instid1(VALU_DEP_2)
	v_add_co_ci_u32_e32 v2, vcc_lo, s13, v2, vcc_lo
	v_add_co_u32 v1, vcc_lo, v1, v73
	s_delay_alu instid0(VALU_DEP_2)
	v_add_co_ci_u32_e32 v2, vcc_lo, 0, v2, vcc_lo
	global_load_b128 v[1:4], v[1:2], off
	s_waitcnt vmcnt(0)
	ds_store_b128 v5, v[1:4]
.LBB1571_10:
	s_or_b32 exec_lo, exec_lo, s7
	v_and_b32_e32 v1, 0xef, v0
	s_add_i32 s4, s17, 15
	s_clause 0x1
	s_load_b32 s7, s[0:1], 0x38
	s_load_b32 s18, s[0:1], 0x1c
	s_ashr_i32 s13, s4, 31
	v_add_nc_u32_e32 v2, s12, v1
	s_lshr_b32 s13, s13, 28
	s_waitcnt lgkmcnt(0)
	s_add_i32 s4, s4, s13
	s_barrier
	v_ashrrev_i32_e32 v1, 31, v2
	s_ashr_i32 s4, s4, 4
	v_cmp_gt_i32_e32 vcc_lo, s17, v2
	s_add_i32 s4, s4, -1
	buffer_gl0_inv
	v_lshrrev_b32_e32 v3, 28, v1
	v_or_b32_e32 v1, 16, v2
	s_mul_i32 s15, s15, s6
	s_delay_alu instid0(VALU_DEP_2) | instskip(SKIP_1) | instid1(SALU_CYCLE_1)
	v_add_nc_u32_e32 v4, v2, v3
	s_mul_i32 s20, s30, s7
	s_ashr_i32 s21, s20, 31
	s_delay_alu instid0(VALU_DEP_1) | instskip(SKIP_2) | instid1(SALU_CYCLE_1)
	v_ashrrev_i32_e32 v4, 4, v4
	v_add_nc_u32_e32 v3, v1, v3
	s_lshl_b64 s[20:21], s[20:21], 2
	s_add_u32 s2, s2, s20
	s_delay_alu instid0(VALU_DEP_2) | instskip(NEXT) | instid1(VALU_DEP_2)
	v_cndmask_b32_e32 v2, s4, v4, vcc_lo
	v_ashrrev_i32_e32 v3, 4, v3
	v_cmp_gt_i32_e32 vcc_lo, s17, v1
	s_addc_u32 s3, s3, s21
	s_ashr_i32 s6, s15, 31
	s_add_u32 s7, s8, s15
	s_addc_u32 s13, s9, s6
	v_cndmask_b32_e32 v4, s4, v3, vcc_lo
	v_ashrrev_i32_e32 v3, 31, v2
	s_lshl_b32 s8, s14, 4
	s_delay_alu instid0(SALU_CYCLE_1) | instskip(NEXT) | instid1(VALU_DEP_2)
	s_ashr_i32 s9, s8, 31
	v_ashrrev_i32_e32 v5, 31, v4
	s_delay_alu instid0(VALU_DEP_2) | instskip(SKIP_1) | instid1(SALU_CYCLE_1)
	v_lshlrev_b64 v[1:2], 2, v[2:3]
	s_lshl_b64 s[8:9], s[8:9], 2
	s_add_u32 s8, s2, s8
	s_delay_alu instid0(VALU_DEP_2) | instskip(SKIP_1) | instid1(VALU_DEP_2)
	v_lshlrev_b64 v[3:4], 2, v[4:5]
	s_addc_u32 s9, s3, s9
	v_add_co_u32 v1, vcc_lo, s2, v1
	v_add_co_ci_u32_e32 v2, vcc_lo, s3, v2, vcc_lo
	s_delay_alu instid0(VALU_DEP_3) | instskip(NEXT) | instid1(VALU_DEP_4)
	v_add_co_u32 v3, vcc_lo, s2, v3
	v_add_co_ci_u32_e32 v4, vcc_lo, s3, v4, vcc_lo
	s_clause 0x1
	global_load_b32 v5, v[1:2], off
	global_load_b32 v3, v[3:4], off
	v_lshlrev_b32_e32 v1, 4, v0
	s_or_b32 s16, s12, 32
	s_delay_alu instid0(SALU_CYCLE_1) | instskip(SKIP_1) | instid1(VALU_DEP_1)
	s_ashr_i32 s19, s16, 4
	s_cmp_lt_i32 s16, s17
	v_and_b32_e32 v1, 0xf0, v1
	s_cselect_b32 s20, s19, s4
	s_delay_alu instid0(SALU_CYCLE_1) | instskip(NEXT) | instid1(SALU_CYCLE_1)
	s_ashr_i32 s21, s20, 31
	s_lshl_b64 s[20:21], s[20:21], 2
	s_delay_alu instid0(VALU_DEP_1)
	v_add_co_u32 v1, s7, s7, v1
	s_add_u32 s20, s2, s20
	s_addc_u32 s21, s3, s21
	s_or_b32 s16, s12, 64
	v_add_co_ci_u32_e64 v2, null, s13, 0, s7
	s_ashr_i32 s19, s16, 4
	s_cmp_lt_i32 s16, s17
	s_cselect_b32 s22, s19, s4
	s_delay_alu instid0(SALU_CYCLE_1) | instskip(NEXT) | instid1(SALU_CYCLE_1)
	s_ashr_i32 s23, s22, 31
	s_lshl_b64 s[22:23], s[22:23], 2
	s_delay_alu instid0(SALU_CYCLE_1) | instskip(SKIP_2) | instid1(SALU_CYCLE_1)
	s_add_u32 s22, s2, s22
	s_addc_u32 s23, s3, s23
	s_or_b32 s16, s12, 0x60
	s_ashr_i32 s19, s16, 4
	s_cmp_lt_i32 s16, s17
	s_cselect_b32 s24, s19, s4
	s_delay_alu instid0(SALU_CYCLE_1) | instskip(NEXT) | instid1(SALU_CYCLE_1)
	s_ashr_i32 s25, s24, 31
	s_lshl_b64 s[24:25], s[24:25], 2
	s_delay_alu instid0(SALU_CYCLE_1) | instskip(SKIP_2) | instid1(SALU_CYCLE_1)
	s_add_u32 s24, s2, s24
	s_addc_u32 s25, s3, s25
	s_or_b32 s16, s12, 0x80
	;; [unrolled: 10-line block ×3, first 2 shown]
	s_ashr_i32 s19, s16, 4
	s_cmp_lt_i32 s16, s17
	s_cselect_b32 s34, s19, s4
	s_delay_alu instid0(SALU_CYCLE_1) | instskip(NEXT) | instid1(SALU_CYCLE_1)
	s_ashr_i32 s35, s34, 31
	s_lshl_b64 s[34:35], s[34:35], 2
	s_delay_alu instid0(SALU_CYCLE_1)
	s_add_u32 s34, s2, s34
	s_addc_u32 s35, s3, s35
	s_clause 0x5
	s_load_b32 s7, s[8:9], 0x0
	s_load_b32 s13, s[20:21], 0x0
	;; [unrolled: 1-line block ×6, first 2 shown]
	s_or_b32 s8, s12, 0xc0
	s_mov_b32 s20, 0
	s_ashr_i32 s9, s8, 4
	s_cmp_lt_i32 s8, s17
	s_mov_b32 s27, s20
	s_cselect_b32 s8, s9, s4
	s_mov_b32 s21, s20
	s_ashr_i32 s9, s8, 31
	s_mov_b32 s22, s20
	s_lshl_b64 s[8:9], s[8:9], 2
	s_mov_b32 s23, s20
	s_mov_b32 s24, s20
	;; [unrolled: 1-line block ×4, first 2 shown]
	v_dual_mov_b32 v107, s27 :: v_dual_mov_b32 v104, s24
	s_add_u32 s8, s2, s8
	v_dual_mov_b32 v106, s26 :: v_dual_mov_b32 v105, s25
	v_dual_mov_b32 v101, s21 :: v_dual_mov_b32 v100, s20
	s_addc_u32 s9, s3, s9
	v_dual_mov_b32 v103, s23 :: v_dual_mov_b32 v102, s22
	s_or_b32 s20, s12, 0xe0
	s_delay_alu instid0(SALU_CYCLE_1) | instskip(SKIP_2) | instid1(SALU_CYCLE_1)
	s_ashr_i32 s21, s20, 4
	s_cmp_lt_i32 s20, s17
	s_cselect_b32 s20, s21, s4
	s_ashr_i32 s21, s20, 31
	s_delay_alu instid0(SALU_CYCLE_1) | instskip(NEXT) | instid1(SALU_CYCLE_1)
	s_lshl_b64 s[20:21], s[20:21], 2
	s_add_u32 s2, s2, s20
	s_addc_u32 s3, s3, s21
	s_waitcnt vmcnt(1)
	v_mad_i64_i32 v[25:26], null, v5, s5, v[1:2]
	s_waitcnt vmcnt(0)
	v_mad_i64_i32 v[27:28], null, v3, s5, v[1:2]
	s_clause 0xf
	global_load_b128 v[1:4], v[25:26], off
	global_load_b128 v[5:8], v[25:26], off offset:256
	global_load_b128 v[9:12], v[27:28], off
	global_load_b128 v[13:16], v[27:28], off offset:256
	global_load_b128 v[17:20], v[25:26], off offset:512
	global_load_b128 v[21:24], v[25:26], off offset:768
	global_load_b128 v[49:52], v[27:28], off offset:512
	global_load_b128 v[53:56], v[27:28], off offset:768
	global_load_b128 v[57:60], v[25:26], off offset:1024
	global_load_b128 v[61:64], v[25:26], off offset:1280
	global_load_b128 v[76:79], v[27:28], off offset:1024
	global_load_b128 v[80:83], v[27:28], off offset:1280
	global_load_b128 v[84:87], v[25:26], off offset:1536
	global_load_b128 v[88:91], v[25:26], off offset:1792
	global_load_b128 v[92:95], v[27:28], off offset:1536
	global_load_b128 v[96:99], v[27:28], off offset:1792
	v_mul_lo_u16 v25, v65, 43
	v_lshlrev_b32_e32 v26, 4, v65
	s_delay_alu instid0(VALU_DEP_2) | instskip(NEXT) | instid1(VALU_DEP_2)
	v_lshrrev_b16 v25, 8, v25
	v_lshl_or_b32 v33, v66, 8, v26
	s_delay_alu instid0(VALU_DEP_2) | instskip(NEXT) | instid1(VALU_DEP_1)
	v_mul_lo_u16 v25, v25, 6
	v_sub_nc_u16 v25, v65, v25
	s_delay_alu instid0(VALU_DEP_1) | instskip(NEXT) | instid1(VALU_DEP_1)
	v_and_b32_e32 v25, 0xff, v25
	v_lshlrev_b32_e32 v72, 6, v25
	ds_load_b128 v[25:28], v72
	ds_load_b128 v[29:32], v72 offset:1024
	ds_load_b128 v[108:111], v72 offset:2048
	;; [unrolled: 1-line block ×3, first 2 shown]
	s_load_b32 s4, s[8:9], 0x0
	ds_load_b128 v[116:119], v72 offset:4096
	ds_load_b128 v[120:123], v72 offset:5120
	s_load_b32 s2, s[2:3], 0x0
	s_add_u32 s8, s10, s15
	s_addc_u32 s6, s11, s6
	v_add_co_u32 v68, s8, s8, v33
	s_delay_alu instid0(VALU_DEP_1) | instskip(SKIP_1) | instid1(VALU_DEP_1)
	v_add_co_ci_u32_e64 v69, null, s6, 0, s8
	s_waitcnt lgkmcnt(0)
	v_mad_i64_i32 v[33:34], null, s7, s5, v[68:69]
	v_mad_i64_i32 v[70:71], null, s16, s5, v[68:69]
	;; [unrolled: 1-line block ×7, first 2 shown]
	s_clause 0x3
	global_load_b128 v[41:44], v[33:34], off
	global_load_b128 v[45:48], v[33:34], off offset:16
	global_load_b128 v[33:36], v[37:38], off
	global_load_b128 v[37:40], v[37:38], off offset:16
	s_waitcnt vmcnt(18)
	v_wmma_f32_16x16x16_bf16 v[124:131], v[1:8], v[25:32], v[100:107]
	s_waitcnt vmcnt(16)
	v_wmma_f32_16x16x16_bf16 v[100:107], v[9:16], v[25:32], v[100:107]
	s_clause 0x1
	global_load_b128 v[25:28], v[70:71], off
	global_load_b128 v[29:32], v[70:71], off offset:16
	s_waitcnt vmcnt(16)
	v_wmma_f32_16x16x16_bf16 v[124:131], v[17:24], v[108:115], v[124:131]
	s_clause 0x1
	global_load_b128 v[17:20], v[132:133], off
	global_load_b128 v[21:24], v[132:133], off offset:16
	s_waitcnt vmcnt(16)
	v_wmma_f32_16x16x16_bf16 v[100:107], v[49:56], v[108:115], v[100:107]
	v_mad_i64_i32 v[53:54], null, s2, s5, v[68:69]
	s_clause 0x3
	global_load_b128 v[1:4], v[134:135], off
	global_load_b128 v[5:8], v[134:135], off offset:16
	global_load_b128 v[9:12], v[136:137], off
	global_load_b128 v[13:16], v[136:137], off offset:16
	s_waitcnt vmcnt(18)
	v_wmma_f32_16x16x16_bf16 v[124:131], v[57:64], v[116:123], v[124:131]
	s_clause 0x3
	global_load_b128 v[57:60], v[138:139], off
	global_load_b128 v[61:64], v[138:139], off offset:16
	global_load_b128 v[49:52], v[53:54], off
	global_load_b128 v[53:56], v[53:54], off offset:16
	v_mbcnt_lo_u32_b32 v69, -1, 0
	s_waitcnt vmcnt(20)
	v_wmma_f32_16x16x16_bf16 v[100:107], v[76:83], v[116:123], v[100:107]
	s_delay_alu instid0(VALU_DEP_2) | instskip(NEXT) | instid1(VALU_DEP_1)
	v_xor_b32_e32 v70, 16, v69
	v_cmp_gt_i32_e32 vcc_lo, 32, v70
	v_cndmask_b32_e32 v69, v69, v70, vcc_lo
	ds_load_b128 v[76:79], v72 offset:6144
	ds_load_b128 v[80:83], v72 offset:7168
	s_waitcnt vmcnt(0) lgkmcnt(0)
	s_barrier
	buffer_gl0_inv
	v_wmma_f32_16x16x16_bf16 v[124:131], v[84:91], v[76:83], v[124:131]
	v_and_b32_e32 v68, 0xe0, v0
	v_wmma_f32_16x16x16_bf16 v[100:107], v[92:99], v[76:83], v[100:107]
	s_delay_alu instid0(VALU_DEP_2) | instskip(NEXT) | instid1(VALU_DEP_4)
	v_dual_mul_f32 v79, s18, v127 :: v_dual_add_nc_u32 v68, s12, v68
	v_mul_f32_e32 v81, s18, v129
	v_dual_mul_f32 v78, s18, v125 :: v_dual_mul_f32 v83, s18, v131
	s_delay_alu instid0(VALU_DEP_4) | instskip(NEXT) | instid1(VALU_DEP_4)
	v_dual_mul_f32 v80, s18, v126 :: v_dual_mul_f32 v95, s18, v103
	v_or_b32_e32 v68, v68, v74
	v_dual_mul_f32 v93, s18, v101 :: v_dual_mul_f32 v82, s18, v128
	v_dual_mul_f32 v97, s18, v105 :: v_dual_mul_f32 v92, s18, v130
	v_mul_f32_e32 v99, s18, v107
	s_delay_alu instid0(VALU_DEP_4)
	v_or_b32_e32 v70, 2, v68
	v_or_b32_e32 v71, 4, v68
	;; [unrolled: 1-line block ×3, first 2 shown]
	v_cmp_gt_i32_e64 s2, s17, v68
	v_or_b32_e32 v108, 8, v68
	v_cmp_gt_i32_e32 vcc_lo, s17, v70
	v_mul_f32_e32 v70, s18, v124
	v_or_b32_e32 v109, 10, v68
	v_cmp_gt_i32_e64 s3, s17, v71
	v_cmp_gt_i32_e64 s4, s17, v72
	v_cndmask_b32_e32 v78, 0xff7fffff, v78, vcc_lo
	v_cndmask_b32_e64 v70, 0xff7fffff, v70, s2
	v_or_b32_e32 v84, 12, v68
	v_or_b32_e32 v85, 14, v68
	v_cndmask_b32_e64 v71, 0xff7fffff, v80, s3
	v_cndmask_b32_e64 v72, 0xff7fffff, v79, s4
	v_max3_f32 v70, v70, 0xff7fffff, v78
	v_cmp_gt_i32_e64 s5, s17, v108
	v_cmp_gt_i32_e64 s6, s17, v109
	v_or_b32_e32 v86, 16, v68
	v_or_b32_e32 v87, 18, v68
	v_max3_f32 v70, v70, v71, v72
	v_cndmask_b32_e64 v78, 0xff7fffff, v82, s5
	v_cndmask_b32_e64 v79, 0xff7fffff, v81, s6
	v_cmp_gt_i32_e64 s7, s17, v84
	v_cmp_gt_i32_e64 s8, s17, v85
	v_or_b32_e32 v88, 20, v68
	v_or_b32_e32 v89, 22, v68
	v_mul_f32_e32 v94, s18, v100
	v_cndmask_b32_e64 v71, 0xff7fffff, v92, s7
	v_cndmask_b32_e64 v72, 0xff7fffff, v83, s8
	v_max3_f32 v70, v70, v78, v79
	v_cmp_gt_i32_e64 s9, s17, v86
	v_cmp_gt_i32_e64 s10, s17, v87
	v_or_b32_e32 v90, 24, v68
	v_or_b32_e32 v91, 26, v68
	v_mul_f32_e32 v96, s18, v102
	v_max3_f32 v70, v70, v71, v72
	v_cndmask_b32_e64 v79, 0xff7fffff, v93, s10
	v_cmp_gt_i32_e64 s11, s17, v88
	v_cmp_gt_i32_e64 s12, s17, v89
	v_lshlrev_b32_e32 v89, 2, v69
	v_cndmask_b32_e64 v78, 0xff7fffff, v94, s9
	v_or_b32_e32 v76, 28, v68
	v_or_b32_e32 v77, 30, v68
	v_mul_f32_e32 v98, s18, v104
	v_cndmask_b32_e64 v71, 0xff7fffff, v96, s11
	v_cndmask_b32_e64 v72, 0xff7fffff, v95, s12
	v_max3_f32 v70, v70, v78, v79
	v_cmp_gt_i32_e64 s13, s17, v90
	v_cmp_gt_i32_e64 s15, s17, v91
	v_mul_f32_e32 v68, s18, v106
	v_cmp_gt_i32_e64 s16, s17, v76
	v_max3_f32 v70, v70, v71, v72
	v_cndmask_b32_e64 v78, 0xff7fffff, v98, s13
	v_cndmask_b32_e64 v79, 0xff7fffff, v97, s15
	v_cmp_gt_i32_e64 s17, s17, v77
	v_cndmask_b32_e64 v68, 0xff7fffff, v68, s16
	s_delay_alu instid0(VALU_DEP_3) | instskip(NEXT) | instid1(VALU_DEP_3)
	v_max3_f32 v70, v70, v78, v79
	v_cndmask_b32_e64 v71, 0xff7fffff, v99, s17
	s_delay_alu instid0(VALU_DEP_1) | instskip(SKIP_3) | instid1(VALU_DEP_1)
	v_max3_f32 v68, v70, v68, v71
	ds_bpermute_b32 v69, v89, v68
	s_waitcnt lgkmcnt(0)
	v_max_f32_e32 v69, v69, v69
	v_max_f32_e32 v68, v68, v69
	s_delay_alu instid0(VALU_DEP_1) | instskip(NEXT) | instid1(VALU_DEP_1)
	v_fma_f32 v76, s18, v128, -v68
	v_mul_f32_e32 v77, 0x3fb8aa3b, v76
	v_fma_f32 v71, s18, v126, -v68
	v_fma_f32 v69, s18, v124, -v68
	;; [unrolled: 1-line block ×4, first 2 shown]
	v_exp_f32_e32 v77, v77
	v_mul_f32_e32 v71, 0x3fb8aa3b, v71
	v_mul_f32_e32 v69, 0x3fb8aa3b, v69
	v_fma_f32 v81, s18, v105, -v68
	v_fma_f32 v78, s18, v130, -v68
	s_delay_alu instid0(VALU_DEP_4) | instskip(NEXT) | instid1(VALU_DEP_3)
	v_exp_f32_e32 v71, v71
	v_exp_f32_e32 v69, v69
	s_delay_alu instid0(VALU_DEP_2) | instskip(NEXT) | instid1(TRANS32_DEP_3)
	v_mul_f32_e32 v81, 0x3fb8aa3b, v81
	v_cndmask_b32_e64 v86, 0, v77, s5
	v_fma_f32 v77, s18, v101, -v68
	s_delay_alu instid0(VALU_DEP_3) | instskip(NEXT) | instid1(TRANS32_DEP_3)
	v_exp_f32_e32 v81, v81
	v_cndmask_b32_e64 v83, 0, v71, s3
	v_fma_f32 v71, s18, v131, -v68
	v_mul_f32_e32 v72, 0x3fb8aa3b, v72
	s_delay_alu instid0(TRANS32_DEP_2) | instskip(SKIP_1) | instid1(VALU_DEP_4)
	v_cndmask_b32_e64 v80, 0, v69, s2
	v_fma_f32 v69, s18, v129, -v68
	v_dual_mul_f32 v70, 0x3fb8aa3b, v70 :: v_dual_mul_f32 v71, 0x3fb8aa3b, v71
	s_delay_alu instid0(VALU_DEP_4) | instskip(SKIP_1) | instid1(VALU_DEP_3)
	v_exp_f32_e32 v72, v72
	v_mul_f32_e32 v77, 0x3fb8aa3b, v77
	v_mul_f32_e32 v69, 0x3fb8aa3b, v69
	s_delay_alu instid0(VALU_DEP_3)
	v_exp_f32_e32 v70, v70
	v_exp_f32_e32 v71, v71
	s_mov_b32 s2, exec_lo
	v_exp_f32_e32 v77, v77
	v_exp_f32_e32 v69, v69
	v_cndmask_b32_e64 v85, 0, v72, s4
	v_fma_f32 v72, s18, v100, -v68
	v_cndmask_b32_e32 v76, 0, v70, vcc_lo
	s_delay_alu instid0(TRANS32_DEP_3) | instskip(SKIP_2) | instid1(TRANS32_DEP_1)
	v_cndmask_b32_e64 v88, 0, v71, s8
	v_fma_f32 v71, s18, v104, -v68
	v_add_f32_e32 v70, 0, v80
	v_cndmask_b32_e64 v87, 0, v69, s6
	s_delay_alu instid0(VALU_DEP_2) | instskip(NEXT) | instid1(VALU_DEP_1)
	v_dual_mul_f32 v71, 0x3fb8aa3b, v71 :: v_dual_add_f32 v70, v70, v76
	v_exp_f32_e32 v82, v71
	s_delay_alu instid0(VALU_DEP_1) | instskip(NEXT) | instid1(VALU_DEP_1)
	v_add_f32_e32 v70, v70, v83
	v_add_f32_e32 v70, v70, v85
	s_delay_alu instid0(VALU_DEP_1) | instskip(SKIP_1) | instid1(VALU_DEP_2)
	v_dual_mul_f32 v72, 0x3fb8aa3b, v72 :: v_dual_add_f32 v69, v70, v86
	v_fma_f32 v70, s18, v102, -v68
	v_exp_f32_e32 v72, v72
	s_delay_alu instid0(VALU_DEP_2) | instskip(NEXT) | instid1(VALU_DEP_2)
	v_dual_add_f32 v69, v69, v87 :: v_dual_mul_f32 v78, 0x3fb8aa3b, v78
	v_mul_f32_e32 v70, 0x3fb8aa3b, v70
	s_delay_alu instid0(VALU_DEP_2) | instskip(NEXT) | instid1(VALU_DEP_1)
	v_exp_f32_e32 v78, v78
	v_exp_f32_e32 v79, v70
	s_delay_alu instid0(TRANS32_DEP_3) | instskip(SKIP_4) | instid1(VALU_DEP_3)
	v_cndmask_b32_e64 v70, 0, v72, s9
	s_waitcnt_depctr 0xfff
	v_cndmask_b32_e64 v84, 0, v78, s7
	v_fma_f32 v78, s18, v103, -v68
	v_cndmask_b32_e64 v71, 0, v79, s11
	v_add_f32_e32 v69, v69, v84
	s_delay_alu instid0(VALU_DEP_1) | instskip(SKIP_2) | instid1(VALU_DEP_1)
	v_add_f32_e32 v72, v69, v88
	v_cndmask_b32_e64 v69, 0, v77, s10
	v_fma_f32 v77, s18, v106, -v68
	v_dual_add_f32 v72, v72, v70 :: v_dual_mul_f32 v77, 0x3fb8aa3b, v77
	s_delay_alu instid0(VALU_DEP_1) | instskip(NEXT) | instid1(VALU_DEP_2)
	v_add_f32_e32 v79, v72, v69
	v_exp_f32_e32 v90, v77
	v_cndmask_b32_e64 v77, 0, v82, s13
	v_mul_f32_e32 v78, 0x3fb8aa3b, v78
	s_delay_alu instid0(VALU_DEP_1) | instskip(SKIP_4) | instid1(VALU_DEP_1)
	v_exp_f32_e32 v78, v78
	s_waitcnt_depctr 0xfff
	v_cndmask_b32_e64 v72, 0, v78, s12
	v_add_f32_e32 v78, v79, v71
	v_fma_f32 v79, s18, v107, -v68
	v_dual_add_f32 v82, v78, v72 :: v_dual_mul_f32 v79, 0x3fb8aa3b, v79
	v_cndmask_b32_e64 v78, 0, v81, s15
	s_delay_alu instid0(VALU_DEP_2) | instskip(NEXT) | instid1(VALU_DEP_3)
	v_add_f32_e32 v81, v82, v77
	v_exp_f32_e32 v82, v79
	v_cndmask_b32_e64 v79, 0, v90, s16
	s_delay_alu instid0(VALU_DEP_2) | instskip(NEXT) | instid1(VALU_DEP_1)
	v_add_f32_e32 v81, v81, v78
	v_add_f32_e32 v90, v81, v79
	s_waitcnt_depctr 0xfff
	v_cndmask_b32_e64 v81, 0, v82, s17
	s_delay_alu instid0(VALU_DEP_1)
	v_add_f32_e32 v82, v90, v81
	ds_bpermute_b32 v89, v89, v82
	v_cmpx_gt_u32_e32 16, v67
	s_cbranch_execz .LBB1571_12
; %bb.11:
	v_mul_u32_u24_e32 v67, 0x44, v66
	s_delay_alu instid0(VALU_DEP_1) | instskip(SKIP_1) | instid1(VALU_DEP_1)
	v_lshl_add_u32 v67, v65, 2, v67
	s_waitcnt lgkmcnt(0)
	v_dual_add_f32 v82, v82, v89 :: v_dual_add_nc_u32 v67, 0x4000, v67
	ds_store_2addr_b32 v67, v68, v82 offset1:136
.LBB1571_12:
	s_or_b32 exec_lo, exec_lo, s2
	v_lshlrev_b32_e32 v67, 2, v65
	s_waitcnt lgkmcnt(0)
	s_barrier
	buffer_gl0_inv
	v_cmp_eq_u32_e32 vcc_lo, 1, v66
	v_add_nc_u32_e32 v82, 0x4000, v67
	v_cmp_eq_u32_e64 s2, 2, v66
	v_cmp_eq_u32_e64 s4, 7, v66
	ds_load_2addr_b32 v[89:90], v82 offset1:17
	ds_load_2addr_b32 v[91:92], v82 offset0:34 offset1:51
	ds_load_2addr_b32 v[93:94], v82 offset0:68 offset1:85
	;; [unrolled: 1-line block ×4, first 2 shown]
	s_waitcnt lgkmcnt(4)
	v_max3_f32 v67, v89, 0xff7fffff, v90
	s_waitcnt lgkmcnt(3)
	s_delay_alu instid0(VALU_DEP_1) | instskip(SKIP_1) | instid1(VALU_DEP_1)
	v_max3_f32 v67, v67, v91, v92
	s_waitcnt lgkmcnt(2)
	v_max3_f32 v67, v67, v93, v94
	s_waitcnt lgkmcnt(1)
	s_delay_alu instid0(VALU_DEP_1) | instskip(NEXT) | instid1(VALU_DEP_1)
	v_max3_f32 v67, v67, v95, v96
	v_sub_f32_e32 v93, v93, v67
	s_delay_alu instid0(VALU_DEP_1) | instskip(NEXT) | instid1(VALU_DEP_1)
	v_dual_sub_f32 v68, v89, v67 :: v_dual_mul_f32 v103, 0x3fb8aa3b, v93
	v_mul_f32_e32 v68, 0x3fb8aa3b, v68
	s_delay_alu instid0(VALU_DEP_1)
	v_exp_f32_e32 v100, v68
	v_sub_f32_e32 v68, v92, v67
	v_sub_f32_e32 v99, v90, v67
	ds_load_2addr_b32 v[89:90], v82 offset0:170 offset1:187
	v_dual_mul_f32 v102, 0x3fb8aa3b, v68 :: v_dual_mul_f32 v99, 0x3fb8aa3b, v99
	s_waitcnt lgkmcnt(1)
	v_fma_f32 v68, v100, v97, 0
	s_delay_alu instid0(VALU_DEP_2) | instskip(NEXT) | instid1(VALU_DEP_2)
	v_exp_f32_e32 v102, v102
	v_exp_f32_e32 v99, v99
	s_waitcnt_depctr 0xfff
	v_fmac_f32_e32 v68, v99, v98
	v_sub_f32_e32 v91, v91, v67
	s_delay_alu instid0(VALU_DEP_1)
	v_mul_f32_e32 v101, 0x3fb8aa3b, v91
	ds_load_2addr_b32 v[91:92], v82 offset0:204 offset1:221
	v_sub_f32_e32 v97, v94, v67
	ds_load_2addr_b32 v[93:94], v82 offset0:238 offset1:255
	s_waitcnt lgkmcnt(0)
	v_exp_f32_e32 v101, v101
	s_barrier
	buffer_gl0_inv
	v_dual_fmac_f32 v68, v101, v89 :: v_dual_sub_f32 v89, v96, v67
	v_dual_sub_f32 v82, v95, v67 :: v_dual_mul_f32 v95, 0x3fb8aa3b, v97
	v_exp_f32_e32 v97, v103
	s_delay_alu instid0(VALU_DEP_2) | instskip(NEXT) | instid1(VALU_DEP_2)
	v_dual_fmac_f32 v68, v102, v90 :: v_dual_mul_f32 v89, 0x3fb8aa3b, v89
	v_mul_f32_e32 v82, 0x3fb8aa3b, v82
	s_delay_alu instid0(VALU_DEP_3) | instskip(NEXT) | instid1(VALU_DEP_2)
	v_exp_f32_e32 v95, v95
	v_exp_f32_e32 v89, v89
	s_delay_alu instid0(VALU_DEP_1)
	v_exp_f32_e32 v82, v82
	v_fmac_f32_e32 v68, v97, v91
	s_delay_alu instid0(TRANS32_DEP_3) | instid1(VALU_DEP_1)
	v_fmac_f32_e32 v68, v95, v92
	s_waitcnt_depctr 0xfff
	v_fmac_f32_e32 v68, v82, v93
	s_delay_alu instid0(VALU_DEP_1) | instskip(NEXT) | instid1(VALU_DEP_1)
	v_fmac_f32_e32 v68, v89, v94
	v_add_f32_e32 v90, 0x358637bd, v68
	s_delay_alu instid0(VALU_DEP_1) | instskip(NEXT) | instid1(VALU_DEP_1)
	v_div_scale_f32 v91, null, v90, v90, 1.0
	v_rcp_f32_e32 v92, v91
	s_waitcnt_depctr 0xfff
	v_fma_f32 v93, -v91, v92, 1.0
	s_delay_alu instid0(VALU_DEP_1) | instskip(SKIP_1) | instid1(VALU_DEP_2)
	v_dual_fmac_f32 v92, v93, v92 :: v_dual_cndmask_b32 v93, v100, v99
	v_cmp_eq_u32_e32 vcc_lo, 3, v66
	v_cndmask_b32_e64 v93, v93, v101, s2
	v_cmp_eq_u32_e64 s2, 4, v66
	s_delay_alu instid0(VALU_DEP_2) | instskip(SKIP_1) | instid1(VALU_DEP_2)
	v_cndmask_b32_e32 v93, v93, v102, vcc_lo
	v_cmp_eq_u32_e32 vcc_lo, 5, v66
	v_cndmask_b32_e64 v93, v93, v97, s2
	v_cmp_eq_u32_e64 s2, 6, v66
	s_delay_alu instid0(VALU_DEP_2) | instskip(SKIP_1) | instid1(VALU_DEP_1)
	v_cndmask_b32_e32 v93, v93, v95, vcc_lo
	v_div_scale_f32 v94, s3, 1.0, v90, 1.0
	s_mov_b32 vcc_lo, s3
	s_delay_alu instid0(VALU_DEP_2) | instskip(NEXT) | instid1(VALU_DEP_2)
	v_cndmask_b32_e64 v82, v93, v82, s2
	v_mul_f32_e32 v96, v94, v92
	s_mov_b32 s2, exec_lo
	s_delay_alu instid0(VALU_DEP_2) | instskip(NEXT) | instid1(VALU_DEP_2)
	v_cndmask_b32_e64 v82, v82, v89, s4
	v_fma_f32 v98, -v91, v96, v94
	s_delay_alu instid0(VALU_DEP_1) | instskip(NEXT) | instid1(VALU_DEP_1)
	v_fmac_f32_e32 v96, v98, v92
	v_fma_f32 v91, -v91, v96, v94
	s_delay_alu instid0(VALU_DEP_1) | instskip(NEXT) | instid1(VALU_DEP_1)
	v_div_fmas_f32 v91, v91, v92, v96
	v_div_fixup_f32 v90, v91, v90, 1.0
	s_delay_alu instid0(VALU_DEP_1) | instskip(NEXT) | instid1(VALU_DEP_1)
	v_mul_f32_e32 v82, v82, v90
	v_mul_f32_e32 v87, v82, v87
	;; [unrolled: 1-line block ×7, first 2 shown]
	v_dual_mul_f32 v86, v82, v83 :: v_dual_and_b32 v91, 0x7f800000, v90
	v_mul_f32_e32 v85, v82, v76
                                        ; implicit-def: $vgpr76
	s_delay_alu instid0(VALU_DEP_2)
	v_cmpx_ne_u32_e32 0x7f800000, v91
	s_xor_b32 s2, exec_lo, s2
; %bb.13:
	v_bfe_u32 v76, v90, 16, 1
	s_delay_alu instid0(VALU_DEP_1)
	v_add3_u32 v76, v90, v76, 0x7fff
                                        ; implicit-def: $vgpr90
; %bb.14:
	s_and_not1_saveexec_b32 s2, s2
; %bb.15:
	v_and_b32_e32 v76, 0xffff, v90
	v_or_b32_e32 v83, 0x10000, v90
	s_delay_alu instid0(VALU_DEP_2) | instskip(NEXT) | instid1(VALU_DEP_2)
	v_cmp_eq_u32_e32 vcc_lo, 0, v76
	v_cndmask_b32_e32 v76, v83, v90, vcc_lo
; %bb.16:
	s_or_b32 exec_lo, exec_lo, s2
	v_and_b32_e32 v83, 0x7f800000, v85
	s_delay_alu instid0(VALU_DEP_1) | instskip(SKIP_1) | instid1(SALU_CYCLE_1)
	v_cmp_ne_u32_e32 vcc_lo, 0x7f800000, v83
                                        ; implicit-def: $vgpr83
	s_and_saveexec_b32 s2, vcc_lo
	s_xor_b32 s2, exec_lo, s2
; %bb.17:
	v_bfe_u32 v83, v85, 16, 1
	s_delay_alu instid0(VALU_DEP_1)
	v_add3_u32 v83, v85, v83, 0x7fff
                                        ; implicit-def: $vgpr85
; %bb.18:
	s_and_not1_saveexec_b32 s2, s2
; %bb.19:
	v_and_b32_e32 v83, 0xffff, v85
	v_or_b32_e32 v90, 0x10000, v85
	s_delay_alu instid0(VALU_DEP_2) | instskip(NEXT) | instid1(VALU_DEP_2)
	v_cmp_eq_u32_e32 vcc_lo, 0, v83
	v_cndmask_b32_e32 v83, v90, v85, vcc_lo
; %bb.20:
	s_or_b32 exec_lo, exec_lo, s2
	v_and_b32_e32 v85, 0x7f800000, v86
	s_delay_alu instid0(VALU_DEP_1) | instskip(SKIP_1) | instid1(SALU_CYCLE_1)
	v_cmp_ne_u32_e32 vcc_lo, 0x7f800000, v85
                                        ; implicit-def: $vgpr85
	s_and_saveexec_b32 s2, vcc_lo
	s_xor_b32 s2, exec_lo, s2
; %bb.21:
	v_bfe_u32 v85, v86, 16, 1
	s_delay_alu instid0(VALU_DEP_1)
	v_add3_u32 v85, v86, v85, 0x7fff
                                        ; implicit-def: $vgpr86
; %bb.22:
	s_and_not1_saveexec_b32 s2, s2
; %bb.23:
	v_and_b32_e32 v85, 0xffff, v86
	v_or_b32_e32 v90, 0x10000, v86
	s_delay_alu instid0(VALU_DEP_2) | instskip(NEXT) | instid1(VALU_DEP_2)
	v_cmp_eq_u32_e32 vcc_lo, 0, v85
	v_cndmask_b32_e32 v85, v90, v86, vcc_lo
; %bb.24:
	s_or_b32 exec_lo, exec_lo, s2
	v_and_b32_e32 v86, 0x7f800000, v89
	s_delay_alu instid0(VALU_DEP_1) | instskip(SKIP_1) | instid1(SALU_CYCLE_1)
	v_cmp_ne_u32_e32 vcc_lo, 0x7f800000, v86
                                        ; implicit-def: $vgpr86
	s_and_saveexec_b32 s2, vcc_lo
	s_xor_b32 s2, exec_lo, s2
; %bb.25:
	v_bfe_u32 v86, v89, 16, 1
	s_delay_alu instid0(VALU_DEP_1)
	v_add3_u32 v86, v89, v86, 0x7fff
                                        ; implicit-def: $vgpr89
; %bb.26:
	s_and_not1_saveexec_b32 s2, s2
; %bb.27:
	v_and_b32_e32 v86, 0xffff, v89
	v_or_b32_e32 v90, 0x10000, v89
	s_delay_alu instid0(VALU_DEP_2) | instskip(NEXT) | instid1(VALU_DEP_2)
	v_cmp_eq_u32_e32 vcc_lo, 0, v86
	v_cndmask_b32_e32 v86, v90, v89, vcc_lo
; %bb.28:
	s_or_b32 exec_lo, exec_lo, s2
	v_and_b32_e32 v89, 0x7f800000, v88
	s_delay_alu instid0(VALU_DEP_1) | instskip(SKIP_1) | instid1(SALU_CYCLE_1)
	v_cmp_ne_u32_e32 vcc_lo, 0x7f800000, v89
                                        ; implicit-def: $vgpr89
	s_and_saveexec_b32 s2, vcc_lo
	s_xor_b32 s2, exec_lo, s2
; %bb.29:
	v_bfe_u32 v89, v88, 16, 1
	s_delay_alu instid0(VALU_DEP_1)
	v_add3_u32 v89, v88, v89, 0x7fff
                                        ; implicit-def: $vgpr88
; %bb.30:
	s_and_not1_saveexec_b32 s2, s2
; %bb.31:
	v_and_b32_e32 v89, 0xffff, v88
	v_or_b32_e32 v90, 0x10000, v88
	s_delay_alu instid0(VALU_DEP_2) | instskip(NEXT) | instid1(VALU_DEP_2)
	v_cmp_eq_u32_e32 vcc_lo, 0, v89
	v_cndmask_b32_e32 v89, v90, v88, vcc_lo
; %bb.32:
	s_or_b32 exec_lo, exec_lo, s2
	v_and_b32_e32 v88, 0x7f800000, v87
	s_delay_alu instid0(VALU_DEP_1) | instskip(SKIP_1) | instid1(SALU_CYCLE_1)
	v_cmp_ne_u32_e32 vcc_lo, 0x7f800000, v88
                                        ; implicit-def: $vgpr88
	s_and_saveexec_b32 s2, vcc_lo
	s_xor_b32 s2, exec_lo, s2
; %bb.33:
	v_bfe_u32 v88, v87, 16, 1
	s_delay_alu instid0(VALU_DEP_1)
	v_add3_u32 v88, v87, v88, 0x7fff
                                        ; implicit-def: $vgpr87
; %bb.34:
	s_and_not1_saveexec_b32 s2, s2
; %bb.35:
	v_and_b32_e32 v88, 0xffff, v87
	v_or_b32_e32 v90, 0x10000, v87
	s_delay_alu instid0(VALU_DEP_2) | instskip(NEXT) | instid1(VALU_DEP_2)
	v_cmp_eq_u32_e32 vcc_lo, 0, v88
	v_cndmask_b32_e32 v88, v90, v87, vcc_lo
; %bb.36:
	s_or_b32 exec_lo, exec_lo, s2
	v_and_b32_e32 v87, 0x7f800000, v84
	s_delay_alu instid0(VALU_DEP_1) | instskip(SKIP_1) | instid1(SALU_CYCLE_1)
	v_cmp_ne_u32_e32 vcc_lo, 0x7f800000, v87
                                        ; implicit-def: $vgpr87
	s_and_saveexec_b32 s2, vcc_lo
	s_xor_b32 s2, exec_lo, s2
; %bb.37:
	v_bfe_u32 v87, v84, 16, 1
	s_delay_alu instid0(VALU_DEP_1)
	v_add3_u32 v87, v84, v87, 0x7fff
                                        ; implicit-def: $vgpr84
; %bb.38:
	s_and_not1_saveexec_b32 s2, s2
; %bb.39:
	v_and_b32_e32 v87, 0xffff, v84
	v_or_b32_e32 v90, 0x10000, v84
	s_delay_alu instid0(VALU_DEP_2) | instskip(NEXT) | instid1(VALU_DEP_2)
	v_cmp_eq_u32_e32 vcc_lo, 0, v87
	v_cndmask_b32_e32 v87, v90, v84, vcc_lo
; %bb.40:
	s_or_b32 exec_lo, exec_lo, s2
	v_and_b32_e32 v84, 0x7f800000, v80
	s_delay_alu instid0(VALU_DEP_1) | instskip(SKIP_1) | instid1(SALU_CYCLE_1)
	v_cmp_ne_u32_e32 vcc_lo, 0x7f800000, v84
                                        ; implicit-def: $vgpr84
	s_and_saveexec_b32 s2, vcc_lo
	s_xor_b32 s2, exec_lo, s2
; %bb.41:
	v_bfe_u32 v84, v80, 16, 1
	s_delay_alu instid0(VALU_DEP_1)
	v_add3_u32 v84, v80, v84, 0x7fff
                                        ; implicit-def: $vgpr80
; %bb.42:
	s_and_not1_saveexec_b32 s2, s2
; %bb.43:
	v_and_b32_e32 v84, 0xffff, v80
	v_or_b32_e32 v90, 0x10000, v80
	s_delay_alu instid0(VALU_DEP_2) | instskip(NEXT) | instid1(VALU_DEP_2)
	v_cmp_eq_u32_e32 vcc_lo, 0, v84
	v_cndmask_b32_e32 v84, v90, v80, vcc_lo
; %bb.44:
	s_or_b32 exec_lo, exec_lo, s2
	s_load_b64 s[34:35], s[0:1], 0x94
	v_lshlrev_b32_e32 v91, 4, v74
	s_delay_alu instid0(VALU_DEP_2)
	v_perm_b32 v90, v84, v87, 0x7060302
	v_dual_mul_f32 v79, v82, v79 :: v_dual_lshlrev_b32 v80, 6, v65
	v_dual_mul_f32 v77, v82, v77 :: v_dual_lshlrev_b32 v92, 11, v66
	v_mul_f32_e32 v84, v82, v70
	v_perm_b32 v89, v88, v89, 0x7060302
	v_perm_b32 v88, v86, v85, 0x7060302
	;; [unrolled: 1-line block ×3, first 2 shown]
	v_mul_f32_e32 v70, v82, v81
	v_or3_b32 v76, v91, v92, v80
	v_dual_mul_f32 v78, v82, v78 :: v_dual_and_b32 v85, 0x7f800000, v84
	v_mul_f32_e32 v83, v82, v72
	v_mul_f32_e32 v81, v82, v71
	v_mul_f32_e32 v72, v82, v69
	s_mov_b32 s2, exec_lo
	ds_store_b128 v76, v[87:90]
                                        ; implicit-def: $vgpr69
	v_cmpx_ne_u32_e32 0x7f800000, v85
	s_xor_b32 s2, exec_lo, s2
; %bb.45:
	v_bfe_u32 v69, v84, 16, 1
	s_delay_alu instid0(VALU_DEP_1)
	v_add3_u32 v69, v84, v69, 0x7fff
                                        ; implicit-def: $vgpr84
; %bb.46:
	s_and_not1_saveexec_b32 s2, s2
; %bb.47:
	v_and_b32_e32 v69, 0xffff, v84
	v_or_b32_e32 v71, 0x10000, v84
	s_delay_alu instid0(VALU_DEP_2) | instskip(NEXT) | instid1(VALU_DEP_2)
	v_cmp_eq_u32_e32 vcc_lo, 0, v69
	v_cndmask_b32_e32 v69, v71, v84, vcc_lo
; %bb.48:
	s_or_b32 exec_lo, exec_lo, s2
	v_and_b32_e32 v71, 0x7f800000, v72
	s_delay_alu instid0(VALU_DEP_1) | instskip(SKIP_1) | instid1(SALU_CYCLE_1)
	v_cmp_ne_u32_e32 vcc_lo, 0x7f800000, v71
                                        ; implicit-def: $vgpr71
	s_and_saveexec_b32 s2, vcc_lo
	s_xor_b32 s2, exec_lo, s2
; %bb.49:
	v_bfe_u32 v71, v72, 16, 1
	s_delay_alu instid0(VALU_DEP_1)
	v_add3_u32 v71, v72, v71, 0x7fff
                                        ; implicit-def: $vgpr72
; %bb.50:
	s_and_not1_saveexec_b32 s2, s2
; %bb.51:
	v_and_b32_e32 v71, 0xffff, v72
	v_or_b32_e32 v82, 0x10000, v72
	s_delay_alu instid0(VALU_DEP_2) | instskip(NEXT) | instid1(VALU_DEP_2)
	v_cmp_eq_u32_e32 vcc_lo, 0, v71
	v_cndmask_b32_e32 v71, v82, v72, vcc_lo
; %bb.52:
	s_or_b32 exec_lo, exec_lo, s2
	v_and_b32_e32 v72, 0x7f800000, v81
	s_delay_alu instid0(VALU_DEP_1) | instskip(SKIP_1) | instid1(SALU_CYCLE_1)
	v_cmp_ne_u32_e32 vcc_lo, 0x7f800000, v72
                                        ; implicit-def: $vgpr72
	s_and_saveexec_b32 s2, vcc_lo
	s_xor_b32 s2, exec_lo, s2
; %bb.53:
	v_bfe_u32 v72, v81, 16, 1
	s_delay_alu instid0(VALU_DEP_1)
	v_add3_u32 v72, v81, v72, 0x7fff
                                        ; implicit-def: $vgpr81
; %bb.54:
	s_and_not1_saveexec_b32 s2, s2
; %bb.55:
	v_and_b32_e32 v72, 0xffff, v81
	v_or_b32_e32 v82, 0x10000, v81
	s_delay_alu instid0(VALU_DEP_2) | instskip(NEXT) | instid1(VALU_DEP_2)
	v_cmp_eq_u32_e32 vcc_lo, 0, v72
	v_cndmask_b32_e32 v72, v82, v81, vcc_lo
; %bb.56:
	s_or_b32 exec_lo, exec_lo, s2
	v_and_b32_e32 v81, 0x7f800000, v83
	s_delay_alu instid0(VALU_DEP_1) | instskip(SKIP_1) | instid1(SALU_CYCLE_1)
	v_cmp_ne_u32_e32 vcc_lo, 0x7f800000, v81
                                        ; implicit-def: $vgpr81
	s_and_saveexec_b32 s2, vcc_lo
	s_xor_b32 s2, exec_lo, s2
; %bb.57:
	v_bfe_u32 v81, v83, 16, 1
	s_delay_alu instid0(VALU_DEP_1)
	v_add3_u32 v81, v83, v81, 0x7fff
                                        ; implicit-def: $vgpr83
; %bb.58:
	s_and_not1_saveexec_b32 s2, s2
; %bb.59:
	v_and_b32_e32 v81, 0xffff, v83
	v_or_b32_e32 v82, 0x10000, v83
	s_delay_alu instid0(VALU_DEP_2) | instskip(NEXT) | instid1(VALU_DEP_2)
	v_cmp_eq_u32_e32 vcc_lo, 0, v81
	v_cndmask_b32_e32 v81, v82, v83, vcc_lo
; %bb.60:
	s_or_b32 exec_lo, exec_lo, s2
	v_and_b32_e32 v82, 0x7f800000, v77
	s_delay_alu instid0(VALU_DEP_1) | instskip(SKIP_1) | instid1(SALU_CYCLE_1)
	v_cmp_ne_u32_e32 vcc_lo, 0x7f800000, v82
                                        ; implicit-def: $vgpr82
	s_and_saveexec_b32 s2, vcc_lo
	s_xor_b32 s2, exec_lo, s2
; %bb.61:
	v_bfe_u32 v82, v77, 16, 1
	s_delay_alu instid0(VALU_DEP_1)
	v_add3_u32 v82, v77, v82, 0x7fff
                                        ; implicit-def: $vgpr77
; %bb.62:
	s_and_not1_saveexec_b32 s2, s2
; %bb.63:
	v_and_b32_e32 v82, 0xffff, v77
	v_or_b32_e32 v83, 0x10000, v77
	s_delay_alu instid0(VALU_DEP_2) | instskip(NEXT) | instid1(VALU_DEP_2)
	v_cmp_eq_u32_e32 vcc_lo, 0, v82
	v_cndmask_b32_e32 v82, v83, v77, vcc_lo
; %bb.64:
	s_or_b32 exec_lo, exec_lo, s2
	v_and_b32_e32 v77, 0x7f800000, v78
	s_delay_alu instid0(VALU_DEP_1) | instskip(SKIP_1) | instid1(SALU_CYCLE_1)
	v_cmp_ne_u32_e32 vcc_lo, 0x7f800000, v77
                                        ; implicit-def: $vgpr77
	s_and_saveexec_b32 s2, vcc_lo
	s_xor_b32 s2, exec_lo, s2
; %bb.65:
	v_bfe_u32 v77, v78, 16, 1
	s_delay_alu instid0(VALU_DEP_1)
	v_add3_u32 v77, v78, v77, 0x7fff
                                        ; implicit-def: $vgpr78
; %bb.66:
	s_and_not1_saveexec_b32 s2, s2
; %bb.67:
	v_and_b32_e32 v77, 0xffff, v78
	v_or_b32_e32 v83, 0x10000, v78
	s_delay_alu instid0(VALU_DEP_2) | instskip(NEXT) | instid1(VALU_DEP_2)
	v_cmp_eq_u32_e32 vcc_lo, 0, v77
	v_cndmask_b32_e32 v77, v83, v78, vcc_lo
; %bb.68:
	s_or_b32 exec_lo, exec_lo, s2
	v_and_b32_e32 v78, 0x7f800000, v79
	s_delay_alu instid0(VALU_DEP_1) | instskip(SKIP_1) | instid1(SALU_CYCLE_1)
	v_cmp_ne_u32_e32 vcc_lo, 0x7f800000, v78
                                        ; implicit-def: $vgpr78
	s_and_saveexec_b32 s2, vcc_lo
	s_xor_b32 s2, exec_lo, s2
; %bb.69:
	v_bfe_u32 v78, v79, 16, 1
	s_delay_alu instid0(VALU_DEP_1)
	v_add3_u32 v78, v79, v78, 0x7fff
                                        ; implicit-def: $vgpr79
; %bb.70:
	s_and_not1_saveexec_b32 s2, s2
; %bb.71:
	v_and_b32_e32 v78, 0xffff, v79
	v_or_b32_e32 v83, 0x10000, v79
	s_delay_alu instid0(VALU_DEP_2) | instskip(NEXT) | instid1(VALU_DEP_2)
	v_cmp_eq_u32_e32 vcc_lo, 0, v78
	v_cndmask_b32_e32 v78, v83, v79, vcc_lo
; %bb.72:
	s_or_b32 exec_lo, exec_lo, s2
	v_and_b32_e32 v79, 0x7f800000, v70
	s_delay_alu instid0(VALU_DEP_1) | instskip(SKIP_1) | instid1(SALU_CYCLE_1)
	v_cmp_ne_u32_e32 vcc_lo, 0x7f800000, v79
                                        ; implicit-def: $vgpr79
	s_and_saveexec_b32 s2, vcc_lo
	s_xor_b32 s2, exec_lo, s2
; %bb.73:
	v_bfe_u32 v79, v70, 16, 1
	s_delay_alu instid0(VALU_DEP_1)
	v_add3_u32 v79, v70, v79, 0x7fff
                                        ; implicit-def: $vgpr70
; %bb.74:
	s_and_not1_saveexec_b32 s2, s2
; %bb.75:
	v_and_b32_e32 v79, 0xffff, v70
	v_or_b32_e32 v83, 0x10000, v70
	s_delay_alu instid0(VALU_DEP_2) | instskip(NEXT) | instid1(VALU_DEP_2)
	v_cmp_eq_u32_e32 vcc_lo, 0, v79
	v_cndmask_b32_e32 v79, v83, v70, vcc_lo
; %bb.76:
	s_or_b32 exec_lo, exec_lo, s2
	s_delay_alu instid0(VALU_DEP_1)
	v_perm_b32 v86, v79, v78, 0x7060302
	v_perm_b32 v85, v77, v82, 0x7060302
	v_perm_b32 v84, v81, v72, 0x7060302
	v_perm_b32 v83, v71, v69, 0x7060302
	v_lshl_or_b32 v82, v66, 11, v80
	ds_store_b128 v76, v[83:86] offset:1024
	s_waitcnt lgkmcnt(0)
	s_barrier
	buffer_gl0_inv
	ds_load_b128 v[69:72], v82
	ds_load_b128 v[83:86], v82 offset:16
	s_waitcnt lgkmcnt(1)
	v_lshrrev_b32_e32 v66, 16, v69
	s_waitcnt lgkmcnt(0)
	v_lshrrev_b32_e32 v91, 16, v83
	v_lshlrev_b32_e32 v78, 2, v74
	v_lshrrev_b32_e32 v95, 16, v70
	v_lshrrev_b32_e32 v98, 16, v84
	;; [unrolled: 1-line block ×4, first 2 shown]
	v_cmp_eq_u32_e32 vcc_lo, 1, v78
	v_lshrrev_b32_e32 v97, 16, v72
	v_lshrrev_b32_e32 v100, 16, v86
	v_cndmask_b32_e32 v87, v83, v91, vcc_lo
	v_or_b32_e32 v79, 1, v78
	v_cndmask_b32_e32 v81, v69, v66, vcc_lo
	v_cmp_eq_u32_e64 s3, 2, v78
	v_cmp_eq_u32_e64 s6, 3, v78
	;; [unrolled: 1-line block ×5, first 2 shown]
	v_cndmask_b32_e64 v81, v81, v70, s3
	v_cndmask_b32_e64 v87, v87, v84, s3
	v_cmp_eq_u32_e64 s7, 3, v79
	v_cndmask_b32_e64 v88, v69, v66, s2
	v_or_b32_e32 v77, 2, v78
	v_cndmask_b32_e64 v81, v81, v95, s6
	v_cndmask_b32_e64 v87, v87, v98, s6
	;; [unrolled: 1-line block ×4, first 2 shown]
	v_cmp_eq_u32_e64 s9, 5, v78
	v_cndmask_b32_e64 v81, v81, v71, s8
	v_cndmask_b32_e64 v87, v87, v85, s8
	v_cmp_eq_u32_e64 s10, 4, v79
	v_cndmask_b32_e64 v88, v88, v95, s7
	v_cmp_eq_u32_e64 s4, 1, v77
	v_cndmask_b32_e64 v89, v89, v84, s5
	v_cndmask_b32_e64 v81, v81, v96, s9
	v_cmp_eq_u32_e64 s11, 6, v78
	v_cndmask_b32_e64 v88, v88, v71, s10
	;; [unrolled: 3-line block ×3, first 2 shown]
	v_cndmask_b32_e64 v89, v89, v98, s7
	v_cndmask_b32_e64 v81, v81, v72, s11
	v_cmp_eq_u32_e64 s13, 7, v78
	v_cndmask_b32_e64 v88, v88, v96, s12
	v_cndmask_b32_e64 v87, v87, v86, s11
	v_cmp_eq_u32_e64 s15, 6, v79
	v_cmp_eq_u32_e64 s16, 2, v77
	v_cndmask_b32_e64 v89, v89, v85, s10
	v_cndmask_b32_e64 v101, v81, v97, s13
	;; [unrolled: 1-line block ×6, first 2 shown]
	v_cmp_eq_u32_e64 s17, 7, v79
	v_cmp_eq_u32_e64 s18, 3, v77
	;; [unrolled: 1-line block ×4, first 2 shown]
	v_cndmask_b32_e64 v87, v87, v84, s16
	v_cndmask_b32_e64 v103, v88, v97, s17
	;; [unrolled: 1-line block ×4, first 2 shown]
	v_or_b32_e32 v81, 3, v78
	v_cndmask_b32_e64 v93, v87, v98, s18
	v_cmp_eq_u32_e64 s23, 6, v77
	v_cndmask_b32_e64 v104, v88, v86, s15
	v_cndmask_b32_e64 v92, v89, v71, s19
	v_cmp_eq_u32_e64 s20, 1, v81
	ds_load_b128 v[87:90], v82 offset:1024
	v_cmp_eq_u32_e64 s22, 2, v81
	v_cmp_eq_u32_e64 s24, 3, v81
	v_cndmask_b32_e64 v105, v92, v96, s21
	v_cndmask_b32_e64 v66, v69, v66, s20
	;; [unrolled: 1-line block ×4, first 2 shown]
	ds_load_b128 v[91:94], v82 offset:1040
	v_cmp_eq_u32_e64 s25, 4, v81
	v_cndmask_b32_e64 v66, v66, v70, s22
	v_cmp_eq_u32_e64 s26, 7, v77
	v_cndmask_b32_e64 v70, v83, v84, s22
	v_cndmask_b32_e64 v84, v105, v72, s23
	v_cmp_eq_u32_e64 s27, 5, v81
	v_cndmask_b32_e64 v66, v66, v95, s24
	v_cmp_eq_u32_e64 s28, 6, v81
	v_cndmask_b32_e64 v70, v70, v98, s24
	v_cndmask_b32_e64 v69, v69, v99, s21
	;; [unrolled: 1-line block ×4, first 2 shown]
	s_waitcnt lgkmcnt(1)
	v_lshrrev_b32_e32 v95, 16, v87
	v_cndmask_b32_e64 v70, v70, v85, s25
	v_cndmask_b32_e64 v71, v84, v97, s26
	;; [unrolled: 1-line block ×4, first 2 shown]
	v_cndmask_b32_e32 v84, v87, v95, vcc_lo
	v_cndmask_b32_e64 v70, v70, v99, s27
	s_waitcnt lgkmcnt(0)
	v_lshrrev_b32_e32 v85, 16, v91
	v_lshrrev_b32_e32 v96, 16, v88
	v_cndmask_b32_e64 v98, v87, v95, s2
	v_cndmask_b32_e64 v84, v84, v88, s3
	;; [unrolled: 1-line block ×3, first 2 shown]
	v_cndmask_b32_e32 v99, v91, v85, vcc_lo
	v_cmp_eq_u32_e32 vcc_lo, 7, v81
	v_cndmask_b32_e64 v66, v66, v72, s28
	v_cndmask_b32_e64 v72, v84, v96, s6
	;; [unrolled: 1-line block ×3, first 2 shown]
	v_lshrrev_b32_e32 v98, 16, v92
	v_cndmask_b32_e32 v70, v70, v100, vcc_lo
	v_cndmask_b32_e64 v86, v99, v92, s3
	v_cndmask_b32_e64 v69, v69, v100, s26
	v_lshrrev_b32_e32 v100, 16, v93
	v_cndmask_b32_e64 v72, v72, v89, s8
	v_lshrrev_b32_e32 v99, 16, v89
	v_cndmask_b32_e64 v86, v86, v98, s6
	v_perm_b32 v71, v69, v71, 0x5040100
	v_cndmask_b32_e64 v84, v84, v96, s7
	s_delay_alu instid0(VALU_DEP_3) | instskip(NEXT) | instid1(VALU_DEP_2)
	v_cndmask_b32_e64 v86, v86, v93, s8
	v_cndmask_b32_e64 v84, v84, v89, s10
	s_delay_alu instid0(VALU_DEP_2) | instskip(NEXT) | instid1(VALU_DEP_1)
	v_cndmask_b32_e64 v86, v86, v100, s9
	v_cndmask_b32_e64 v69, v86, v94, s11
	;; [unrolled: 1-line block ×5, first 2 shown]
	s_delay_alu instid0(VALU_DEP_3) | instskip(NEXT) | instid1(VALU_DEP_3)
	v_cndmask_b32_e64 v86, v86, v88, s16
	v_cndmask_b32_e64 v87, v87, v88, s22
	s_delay_alu instid0(VALU_DEP_3) | instskip(NEXT) | instid1(VALU_DEP_3)
	v_cndmask_b32_e64 v88, v95, v92, s22
	v_cndmask_b32_e64 v86, v86, v96, s18
	s_delay_alu instid0(VALU_DEP_3) | instskip(NEXT) | instid1(VALU_DEP_3)
	v_cndmask_b32_e64 v87, v87, v96, s24
	v_cndmask_b32_e64 v88, v88, v98, s24
	s_delay_alu instid0(VALU_DEP_3) | instskip(NEXT) | instid1(VALU_DEP_3)
	v_cndmask_b32_e64 v86, v86, v89, s19
	v_cndmask_b32_e64 v87, v87, v89, s25
	s_delay_alu instid0(VALU_DEP_3) | instskip(NEXT) | instid1(VALU_DEP_3)
	v_cndmask_b32_e64 v88, v88, v93, s25
	v_cndmask_b32_e64 v86, v86, v99, s21
	s_delay_alu instid0(VALU_DEP_3) | instskip(NEXT) | instid1(VALU_DEP_3)
	v_cndmask_b32_e64 v87, v87, v99, s27
	v_cndmask_b32_e64 v88, v88, v100, s27
	s_delay_alu instid0(VALU_DEP_3) | instskip(NEXT) | instid1(VALU_DEP_3)
	v_cndmask_b32_e64 v86, v86, v90, s23
	v_cndmask_b32_e64 v87, v87, v90, s28
	s_delay_alu instid0(VALU_DEP_3) | instskip(SKIP_2) | instid1(VALU_DEP_2)
	v_cndmask_b32_e64 v88, v88, v94, s28
	v_cndmask_b32_e32 v66, v66, v97, vcc_lo
	v_cndmask_b32_e64 v97, v72, v99, s9
	v_perm_b32 v72, v70, v66, 0x5040100
	v_perm_b32 v70, v83, v103, 0x5040100
	v_cndmask_b32_e64 v103, v91, v85, s4
	v_cndmask_b32_e64 v85, v91, v85, s2
	;; [unrolled: 1-line block ×4, first 2 shown]
	v_lshrrev_b32_e32 v97, 16, v90
	v_cndmask_b32_e64 v91, v103, v92, s16
	v_cndmask_b32_e64 v85, v85, v92, s5
	;; [unrolled: 1-line block ×3, first 2 shown]
	s_mov_b32 s2, exec_lo
	v_cndmask_b32_e64 v83, v84, v97, s13
	v_cndmask_b32_e64 v91, v91, v98, s18
	;; [unrolled: 1-line block ×3, first 2 shown]
	v_lshrrev_b32_e32 v84, 16, v94
	v_cndmask_b32_e64 v66, v66, v97, s17
	v_cndmask_b32_e64 v90, v86, v97, s26
	;; [unrolled: 1-line block ×4, first 2 shown]
	v_dual_cndmask_b32 v86, v87, v97 :: v_dual_cndmask_b32 v87, v88, v84
	v_cndmask_b32_e64 v91, v69, v84, s13
	s_delay_alu instid0(VALU_DEP_4) | instskip(NEXT) | instid1(VALU_DEP_4)
	v_cndmask_b32_e64 v89, v89, v100, s21
	v_cndmask_b32_e64 v85, v85, v100, s12
	v_perm_b32 v69, v102, v101, 0x5040100
	v_perm_b32 v86, v87, v86, 0x5040100
	;; [unrolled: 1-line block ×3, first 2 shown]
	v_cndmask_b32_e64 v89, v89, v94, s23
	v_cndmask_b32_e64 v85, v85, v94, s15
	s_mul_i32 s7, s35, 6
	s_delay_alu instid0(VALU_DEP_2) | instskip(NEXT) | instid1(VALU_DEP_2)
	v_cndmask_b32_e64 v88, v89, v84, s26
	v_cndmask_b32_e64 v89, v85, v84, s17
	s_delay_alu instid0(VALU_DEP_2) | instskip(NEXT) | instid1(VALU_DEP_2)
	v_perm_b32 v85, v88, v90, 0x5040100
	v_perm_b32 v84, v89, v66, 0x5040100
	ds_store_b128 v76, v[69:72]
	ds_store_b128 v76, v[83:86] offset:1024
	v_cmpx_gt_u32_e32 6, v0
	s_cbranch_execz .LBB1571_78
; %bb.77:
	s_mul_i32 s3, s7, s30
	s_load_b128 s[8:11], s[0:1], 0x58
	v_add3_u32 v69, s3, s29, v65
	s_delay_alu instid0(VALU_DEP_1) | instskip(NEXT) | instid1(VALU_DEP_1)
	v_mad_u64_u32 v[65:66], null, v69, s34, s[14:15]
	v_ashrrev_i32_e32 v66, 31, v65
	s_delay_alu instid0(VALU_DEP_1) | instskip(SKIP_1) | instid1(VALU_DEP_1)
	v_lshlrev_b64 v[65:66], 2, v[65:66]
	s_waitcnt lgkmcnt(0)
	v_add_co_u32 v69, vcc_lo, s10, v65
	s_delay_alu instid0(VALU_DEP_2)
	v_add_co_ci_u32_e32 v70, vcc_lo, s11, v66, vcc_lo
	v_add_co_u32 v65, vcc_lo, s8, v65
	v_add_co_ci_u32_e32 v66, vcc_lo, s9, v66, vcc_lo
	global_store_b32 v[69:70], v67, off
	global_store_b32 v[65:66], v68, off
.LBB1571_78:
	s_or_b32 exec_lo, exec_lo, s2
	s_waitcnt lgkmcnt(0)
	s_waitcnt_vscnt null, 0x0
	s_barrier
	buffer_gl0_inv
	ds_load_b128 v[83:86], v80
	ds_load_b128 v[87:90], v80 offset:16
	ds_load_b128 v[95:98], v80 offset:2064
	;; [unrolled: 1-line block ×3, first 2 shown]
	v_mov_b32_e32 v65, 0
	ds_load_b128 v[103:106], v80 offset:4112
	ds_load_b128 v[99:102], v80 offset:4096
	;; [unrolled: 1-line block ×4, first 2 shown]
	v_mov_b32_e32 v66, v65
	v_mov_b32_e32 v67, v65
	;; [unrolled: 1-line block ×7, first 2 shown]
	s_waitcnt lgkmcnt(6)
	s_delay_alu instid0(VALU_DEP_1)
	v_wmma_f32_16x16x16_bf16 v[65:72], v[41:48], v[83:90], v[65:72]
	ds_load_b128 v[45:48], v80 offset:8208
	ds_load_b128 v[41:44], v80 offset:8192
	s_waitcnt lgkmcnt(6)
	v_wmma_f32_16x16x16_bf16 v[65:72], v[33:40], v[91:98], v[65:72]
	ds_load_b128 v[37:40], v80 offset:10256
	ds_load_b128 v[33:36], v80 offset:10240
	s_waitcnt lgkmcnt(6)
	;; [unrolled: 4-line block ×4, first 2 shown]
	v_wmma_f32_16x16x16_bf16 v[65:72], v[1:8], v[41:48], v[65:72]
	s_waitcnt lgkmcnt(4)
	s_delay_alu instid0(VALU_DEP_1) | instskip(SKIP_1) | instid1(VALU_DEP_1)
	v_wmma_f32_16x16x16_bf16 v[65:72], v[9:16], v[33:40], v[65:72]
	s_waitcnt lgkmcnt(2)
	v_wmma_f32_16x16x16_bf16 v[65:72], v[57:64], v[25:32], v[65:72]
	s_waitcnt lgkmcnt(0)
	s_delay_alu instid0(VALU_DEP_1) | instskip(NEXT) | instid1(VALU_DEP_1)
	v_wmma_f32_16x16x16_bf16 v[65:72], v[49:56], v[17:24], v[65:72]
	v_and_b32_e32 v1, 0x7f800000, v65
	s_delay_alu instid0(VALU_DEP_1) | instskip(SKIP_1) | instid1(SALU_CYCLE_1)
	v_cmp_ne_u32_e32 vcc_lo, 0x7f800000, v1
                                        ; implicit-def: $vgpr1
	s_and_saveexec_b32 s2, vcc_lo
	s_xor_b32 s2, exec_lo, s2
; %bb.79:
	v_bfe_u32 v1, v65, 16, 1
	s_delay_alu instid0(VALU_DEP_1)
	v_add3_u32 v1, v65, v1, 0x7fff
; %bb.80:
	s_and_not1_saveexec_b32 s2, s2
; %bb.81:
	v_and_b32_e32 v1, 0xffff, v65
	v_or_b32_e32 v2, 0x10000, v65
	s_delay_alu instid0(VALU_DEP_2) | instskip(NEXT) | instid1(VALU_DEP_2)
	v_cmp_eq_u32_e32 vcc_lo, 0, v1
	v_cndmask_b32_e32 v1, v2, v65, vcc_lo
; %bb.82:
	s_or_b32 exec_lo, exec_lo, s2
	v_and_b32_e32 v2, 0x7f800000, v66
	s_delay_alu instid0(VALU_DEP_1) | instskip(SKIP_1) | instid1(SALU_CYCLE_1)
	v_cmp_ne_u32_e32 vcc_lo, 0x7f800000, v2
                                        ; implicit-def: $vgpr2
	s_and_saveexec_b32 s2, vcc_lo
	s_xor_b32 s2, exec_lo, s2
; %bb.83:
	v_bfe_u32 v2, v66, 16, 1
	s_delay_alu instid0(VALU_DEP_1)
	v_add3_u32 v2, v66, v2, 0x7fff
; %bb.84:
	s_and_not1_saveexec_b32 s2, s2
; %bb.85:
	v_and_b32_e32 v2, 0xffff, v66
	v_or_b32_e32 v3, 0x10000, v66
	s_delay_alu instid0(VALU_DEP_2) | instskip(NEXT) | instid1(VALU_DEP_2)
	v_cmp_eq_u32_e32 vcc_lo, 0, v2
	v_cndmask_b32_e32 v2, v3, v66, vcc_lo
; %bb.86:
	s_or_b32 exec_lo, exec_lo, s2
	v_and_b32_e32 v3, 0x7f800000, v67
	s_delay_alu instid0(VALU_DEP_1) | instskip(SKIP_1) | instid1(SALU_CYCLE_1)
	v_cmp_ne_u32_e32 vcc_lo, 0x7f800000, v3
                                        ; implicit-def: $vgpr3
	s_and_saveexec_b32 s2, vcc_lo
	s_xor_b32 s2, exec_lo, s2
; %bb.87:
	v_bfe_u32 v3, v67, 16, 1
	s_delay_alu instid0(VALU_DEP_1)
	v_add3_u32 v3, v67, v3, 0x7fff
; %bb.88:
	s_and_not1_saveexec_b32 s2, s2
; %bb.89:
	v_and_b32_e32 v3, 0xffff, v67
	v_or_b32_e32 v4, 0x10000, v67
	s_delay_alu instid0(VALU_DEP_2) | instskip(NEXT) | instid1(VALU_DEP_2)
	v_cmp_eq_u32_e32 vcc_lo, 0, v3
	v_cndmask_b32_e32 v3, v4, v67, vcc_lo
; %bb.90:
	s_or_b32 exec_lo, exec_lo, s2
	v_and_b32_e32 v4, 0x7f800000, v68
	s_delay_alu instid0(VALU_DEP_1) | instskip(SKIP_1) | instid1(SALU_CYCLE_1)
	v_cmp_ne_u32_e32 vcc_lo, 0x7f800000, v4
                                        ; implicit-def: $vgpr4
	s_and_saveexec_b32 s2, vcc_lo
	s_xor_b32 s2, exec_lo, s2
; %bb.91:
	v_bfe_u32 v4, v68, 16, 1
	s_delay_alu instid0(VALU_DEP_1)
	v_add3_u32 v4, v68, v4, 0x7fff
; %bb.92:
	s_and_not1_saveexec_b32 s2, s2
; %bb.93:
	v_and_b32_e32 v4, 0xffff, v68
	v_or_b32_e32 v5, 0x10000, v68
	s_delay_alu instid0(VALU_DEP_2) | instskip(NEXT) | instid1(VALU_DEP_2)
	v_cmp_eq_u32_e32 vcc_lo, 0, v4
	v_cndmask_b32_e32 v4, v5, v68, vcc_lo
; %bb.94:
	s_or_b32 exec_lo, exec_lo, s2
	v_and_b32_e32 v5, 0x7f800000, v69
	s_delay_alu instid0(VALU_DEP_1) | instskip(SKIP_1) | instid1(SALU_CYCLE_1)
	v_cmp_ne_u32_e32 vcc_lo, 0x7f800000, v5
                                        ; implicit-def: $vgpr5
	s_and_saveexec_b32 s2, vcc_lo
	s_xor_b32 s2, exec_lo, s2
; %bb.95:
	v_bfe_u32 v5, v69, 16, 1
	s_delay_alu instid0(VALU_DEP_1)
	v_add3_u32 v5, v69, v5, 0x7fff
; %bb.96:
	s_and_not1_saveexec_b32 s2, s2
; %bb.97:
	v_and_b32_e32 v5, 0xffff, v69
	v_or_b32_e32 v6, 0x10000, v69
	s_delay_alu instid0(VALU_DEP_2) | instskip(NEXT) | instid1(VALU_DEP_2)
	v_cmp_eq_u32_e32 vcc_lo, 0, v5
	v_cndmask_b32_e32 v5, v6, v69, vcc_lo
; %bb.98:
	s_or_b32 exec_lo, exec_lo, s2
	v_and_b32_e32 v6, 0x7f800000, v70
	s_delay_alu instid0(VALU_DEP_1) | instskip(SKIP_1) | instid1(SALU_CYCLE_1)
	v_cmp_ne_u32_e32 vcc_lo, 0x7f800000, v6
                                        ; implicit-def: $vgpr6
	s_and_saveexec_b32 s2, vcc_lo
	s_xor_b32 s2, exec_lo, s2
; %bb.99:
	v_bfe_u32 v6, v70, 16, 1
	s_delay_alu instid0(VALU_DEP_1)
	v_add3_u32 v6, v70, v6, 0x7fff
; %bb.100:
	s_and_not1_saveexec_b32 s2, s2
; %bb.101:
	v_and_b32_e32 v6, 0xffff, v70
	v_or_b32_e32 v7, 0x10000, v70
	s_delay_alu instid0(VALU_DEP_2) | instskip(NEXT) | instid1(VALU_DEP_2)
	v_cmp_eq_u32_e32 vcc_lo, 0, v6
	v_cndmask_b32_e32 v6, v7, v70, vcc_lo
; %bb.102:
	s_or_b32 exec_lo, exec_lo, s2
	v_and_b32_e32 v7, 0x7f800000, v71
	s_delay_alu instid0(VALU_DEP_1) | instskip(SKIP_1) | instid1(SALU_CYCLE_1)
	v_cmp_ne_u32_e32 vcc_lo, 0x7f800000, v7
                                        ; implicit-def: $vgpr7
	s_and_saveexec_b32 s2, vcc_lo
	s_xor_b32 s2, exec_lo, s2
; %bb.103:
	v_bfe_u32 v7, v71, 16, 1
	s_delay_alu instid0(VALU_DEP_1)
	v_add3_u32 v7, v71, v7, 0x7fff
; %bb.104:
	s_and_not1_saveexec_b32 s2, s2
; %bb.105:
	v_and_b32_e32 v7, 0xffff, v71
	v_or_b32_e32 v8, 0x10000, v71
	s_delay_alu instid0(VALU_DEP_2) | instskip(NEXT) | instid1(VALU_DEP_2)
	v_cmp_eq_u32_e32 vcc_lo, 0, v7
	v_cndmask_b32_e32 v7, v8, v71, vcc_lo
; %bb.106:
	s_or_b32 exec_lo, exec_lo, s2
	v_and_b32_e32 v8, 0x7f800000, v72
	s_delay_alu instid0(VALU_DEP_1) | instskip(SKIP_1) | instid1(SALU_CYCLE_1)
	v_cmp_ne_u32_e32 vcc_lo, 0x7f800000, v8
                                        ; implicit-def: $vgpr8
	s_and_saveexec_b32 s2, vcc_lo
	s_xor_b32 s2, exec_lo, s2
; %bb.107:
	v_bfe_u32 v8, v72, 16, 1
	s_delay_alu instid0(VALU_DEP_1)
	v_add3_u32 v8, v72, v8, 0x7fff
                                        ; implicit-def: $vgpr65_vgpr66_vgpr67_vgpr68_vgpr69_vgpr70_vgpr71_vgpr72
; %bb.108:
	s_and_not1_saveexec_b32 s2, s2
; %bb.109:
	v_and_b32_e32 v8, 0xffff, v72
	v_or_b32_e32 v9, 0x10000, v72
	s_delay_alu instid0(VALU_DEP_2) | instskip(NEXT) | instid1(VALU_DEP_2)
	v_cmp_eq_u32_e32 vcc_lo, 0, v8
	v_cndmask_b32_e32 v8, v9, v72, vcc_lo
; %bb.110:
	s_or_b32 exec_lo, exec_lo, s2
	s_delay_alu instid0(VALU_DEP_1)
	v_perm_b32 v7, v8, v7, 0x7060302
	v_perm_b32 v6, v6, v5, 0x7060302
	;; [unrolled: 1-line block ×4, first 2 shown]
	s_barrier
	buffer_gl0_inv
	v_cmp_eq_u32_e32 vcc_lo, 1, v78
	ds_store_b128 v76, v[4:7]
	s_waitcnt lgkmcnt(0)
	s_barrier
	buffer_gl0_inv
	ds_load_b128 v[1:4], v82
	ds_load_b128 v[5:8], v82 offset:16
	v_cmp_eq_u32_e64 s2, 1, v79
	v_cmp_eq_u32_e64 s3, 2, v78
	;; [unrolled: 1-line block ×5, first 2 shown]
	s_waitcnt lgkmcnt(1)
	v_lshrrev_b32_e32 v9, 16, v1
	s_waitcnt lgkmcnt(0)
	v_lshrrev_b32_e32 v13, 16, v5
	v_lshrrev_b32_e32 v10, 16, v2
	;; [unrolled: 1-line block ×4, first 2 shown]
	v_cndmask_b32_e64 v19, v1, v9, s2
	v_cndmask_b32_e32 v18, v5, v13, vcc_lo
	v_cndmask_b32_e64 v20, v5, v13, s2
	v_cndmask_b32_e32 v17, v1, v9, vcc_lo
	v_cmp_eq_u32_e32 vcc_lo, 2, v79
	v_lshrrev_b32_e32 v15, 16, v7
	v_cmp_eq_u32_e64 s2, 1, v77
	v_lshrrev_b32_e32 v12, 16, v4
	v_lshrrev_b32_e32 v16, 16, v8
	v_cndmask_b32_e32 v20, v20, v6, vcc_lo
	v_cndmask_b32_e64 v17, v17, v2, s3
	v_cndmask_b32_e32 v19, v19, v2, vcc_lo
	v_cndmask_b32_e64 v18, v18, v6, s3
	v_cmp_eq_u32_e32 vcc_lo, 4, v78
	v_cmp_eq_u32_e64 s3, 3, v79
	v_cndmask_b32_e64 v17, v17, v10, s4
	v_cndmask_b32_e64 v21, v1, v9, s2
	;; [unrolled: 1-line block ×5, first 2 shown]
	v_cndmask_b32_e32 v17, v17, v3, vcc_lo
	v_cndmask_b32_e64 v20, v20, v14, s3
	v_cndmask_b32_e32 v18, v18, v7, vcc_lo
	v_cmp_eq_u32_e32 vcc_lo, 4, v79
	v_cmp_eq_u32_e64 s3, 5, v79
	v_cmp_eq_u32_e64 s2, 2, v81
	v_cndmask_b32_e64 v21, v21, v2, s6
	v_cmp_eq_u32_e64 s4, 5, v78
	v_cndmask_b32_e32 v19, v19, v3, vcc_lo
	v_cndmask_b32_e32 v20, v20, v7, vcc_lo
	v_cmp_eq_u32_e32 vcc_lo, 6, v79
	s_delay_alu instid0(VALU_DEP_4) | instskip(NEXT) | instid1(VALU_DEP_4)
	v_cndmask_b32_e64 v17, v17, v11, s4
	v_cndmask_b32_e64 v19, v19, v11, s3
	s_delay_alu instid0(VALU_DEP_4) | instskip(SKIP_1) | instid1(VALU_DEP_3)
	v_cndmask_b32_e64 v20, v20, v15, s3
	v_cmp_eq_u32_e64 s3, 1, v81
	v_cndmask_b32_e32 v19, v19, v4, vcc_lo
	v_cndmask_b32_e64 v18, v18, v15, s4
	s_delay_alu instid0(VALU_DEP_3)
	v_cndmask_b32_e64 v1, v1, v9, s3
	v_cndmask_b32_e64 v5, v5, v13, s3
	v_cmp_eq_u32_e64 s3, 3, v77
	v_cndmask_b32_e64 v13, v22, v6, s6
	v_cmp_eq_u32_e64 s6, 3, v81
	v_cndmask_b32_e64 v1, v1, v2, s2
	v_cndmask_b32_e64 v2, v5, v6, s2
	;; [unrolled: 1-line block ×3, first 2 shown]
	v_cmp_eq_u32_e64 s2, 4, v77
	v_cndmask_b32_e64 v6, v13, v14, s3
	v_cndmask_b32_e64 v1, v1, v10, s6
	v_cmp_eq_u32_e64 s3, 4, v81
	v_cndmask_b32_e64 v2, v2, v14, s6
	v_cndmask_b32_e64 v5, v9, v3, s2
	;; [unrolled: 3-line block ×3, first 2 shown]
	v_cndmask_b32_e64 v2, v2, v7, s3
	v_cmp_eq_u32_e64 s2, 5, v81
	v_cmp_eq_u32_e64 s4, 6, v78
	v_cndmask_b32_e64 v5, v5, v11, s6
	v_cmp_eq_u32_e64 s3, 6, v77
	v_cndmask_b32_e64 v3, v6, v15, s6
	v_cndmask_b32_e64 v1, v1, v11, s2
	v_cmp_eq_u32_e64 s6, 6, v81
	v_cndmask_b32_e64 v2, v2, v15, s2
	v_cndmask_b32_e64 v17, v17, v4, s4
	v_cndmask_b32_e64 v18, v18, v8, s4
	v_cmp_eq_u32_e64 s4, 7, v78
	v_cndmask_b32_e64 v5, v5, v4, s3
	;; [unrolled: 4-line block ×3, first 2 shown]
	v_cmp_eq_u32_e64 s3, 7, v77
	v_cndmask_b32_e32 v4, v20, v8, vcc_lo
	v_cndmask_b32_e64 v17, v17, v12, s4
	v_cndmask_b32_e64 v19, v19, v12, s5
	;; [unrolled: 1-line block ×8, first 2 shown]
	s_mov_b32 s2, exec_lo
	v_perm_b32 v4, v2, v1, 0x5040100
	v_perm_b32 v3, v3, v5, 0x5040100
	;; [unrolled: 1-line block ×4, first 2 shown]
	ds_store_b128 v76, v[1:4]
	s_waitcnt lgkmcnt(0)
	s_barrier
	buffer_gl0_inv
	v_cmpx_gt_u32_e32 32, v0
	s_cbranch_execz .LBB1571_2
; %bb.111:
	s_load_b64 s[0:1], s[0:1], 0x68
	s_lshl_b32 s4, s34, 7
	v_or_b32_e32 v3, s29, v74
	s_mul_i32 s2, s4, s30
	v_lshlrev_b32_e32 v0, 10, v0
	s_mul_i32 s2, s2, s7
	v_lshlrev_b32_e32 v1, 4, v75
	s_ashr_i32 s3, s2, 31
	v_mul_lo_u32 v12, v3, s4
	s_lshl_b64 s[2:3], s[2:3], 1
	v_lshlrev_b32_e32 v2, 6, v74
	v_and_b32_e32 v0, 0x3800, v0
	s_delay_alu instid0(VALU_DEP_1) | instskip(NEXT) | instid1(VALU_DEP_4)
	v_or3_b32 v8, v0, v1, v2
	v_ashrrev_i32_e32 v13, 31, v12
	ds_load_b128 v[0:3], v8
	ds_load_b128 v[4:7], v8 offset:128
	ds_load_b128 v[8:11], v8 offset:256
	s_waitcnt lgkmcnt(0)
	s_add_u32 s2, s0, s2
	s_addc_u32 s3, s1, s3
	s_lshl_b32 s0, s14, 7
	s_delay_alu instid0(SALU_CYCLE_1) | instskip(NEXT) | instid1(SALU_CYCLE_1)
	s_ashr_i32 s1, s0, 31
	s_lshl_b64 s[0:1], s[0:1], 1
	s_delay_alu instid0(SALU_CYCLE_1)
	s_add_u32 s0, s2, s0
	s_addc_u32 s1, s3, s1
	s_lshl_b32 s2, s34, 8
	v_add_co_u32 v18, s0, s0, v73
	v_add_nc_u32_e32 v14, s2, v12
	v_lshlrev_b64 v[12:13], 1, v[12:13]
	v_add_co_ci_u32_e64 v19, null, s1, 0, s0
	s_delay_alu instid0(VALU_DEP_3) | instskip(SKIP_1) | instid1(VALU_DEP_4)
	v_add_nc_u32_e32 v16, s2, v14
	v_ashrrev_i32_e32 v15, 31, v14
	v_add_co_u32 v12, vcc_lo, v18, v12
	s_delay_alu instid0(VALU_DEP_4) | instskip(NEXT) | instid1(VALU_DEP_4)
	v_add_co_ci_u32_e32 v13, vcc_lo, v19, v13, vcc_lo
	v_ashrrev_i32_e32 v17, 31, v16
	s_delay_alu instid0(VALU_DEP_4) | instskip(NEXT) | instid1(VALU_DEP_2)
	v_lshlrev_b64 v[14:15], 1, v[14:15]
	v_lshlrev_b64 v[16:17], 1, v[16:17]
	s_delay_alu instid0(VALU_DEP_2) | instskip(NEXT) | instid1(VALU_DEP_3)
	v_add_co_u32 v14, vcc_lo, v18, v14
	v_add_co_ci_u32_e32 v15, vcc_lo, v19, v15, vcc_lo
	s_delay_alu instid0(VALU_DEP_3) | instskip(NEXT) | instid1(VALU_DEP_4)
	v_add_co_u32 v16, vcc_lo, v18, v16
	v_add_co_ci_u32_e32 v17, vcc_lo, v19, v17, vcc_lo
	s_clause 0x2
	global_store_b128 v[12:13], v[0:3], off
	global_store_b128 v[14:15], v[4:7], off
	;; [unrolled: 1-line block ×3, first 2 shown]
	s_nop 0
	s_sendmsg sendmsg(MSG_DEALLOC_VGPRS)
	s_endpgm
	.section	.rodata,"a",@progbits
	.p2align	6, 0x0
	.amdhsa_kernel _Z39paged_attention_ll4mi_QKV_mfma16_kernelI14__hip_bfloat16hLN4vllm18Fp8KVCacheDataTypeE1ES0_Li16ELi128ELi256ELb0ELi6EL8MFMAType1EEvPKT_PKT0_S9_ifPKiSB_SB_iPKfiiiPfSE_PS4_PT2_iSD_SD_
		.amdhsa_group_segment_fixed_size 17472
		.amdhsa_private_segment_fixed_size 0
		.amdhsa_kernarg_size 400
		.amdhsa_user_sgpr_count 13
		.amdhsa_user_sgpr_dispatch_ptr 0
		.amdhsa_user_sgpr_queue_ptr 0
		.amdhsa_user_sgpr_kernarg_segment_ptr 1
		.amdhsa_user_sgpr_dispatch_id 0
		.amdhsa_user_sgpr_private_segment_size 0
		.amdhsa_wavefront_size32 1
		.amdhsa_uses_dynamic_stack 0
		.amdhsa_enable_private_segment 0
		.amdhsa_system_sgpr_workgroup_id_x 1
		.amdhsa_system_sgpr_workgroup_id_y 1
		.amdhsa_system_sgpr_workgroup_id_z 1
		.amdhsa_system_sgpr_workgroup_info 0
		.amdhsa_system_vgpr_workitem_id 0
		.amdhsa_next_free_vgpr 140
		.amdhsa_next_free_sgpr 36
		.amdhsa_reserve_vcc 1
		.amdhsa_float_round_mode_32 0
		.amdhsa_float_round_mode_16_64 0
		.amdhsa_float_denorm_mode_32 3
		.amdhsa_float_denorm_mode_16_64 3
		.amdhsa_dx10_clamp 1
		.amdhsa_ieee_mode 1
		.amdhsa_fp16_overflow 0
		.amdhsa_workgroup_processor_mode 1
		.amdhsa_memory_ordered 1
		.amdhsa_forward_progress 0
		.amdhsa_shared_vgpr_count 0
		.amdhsa_exception_fp_ieee_invalid_op 0
		.amdhsa_exception_fp_denorm_src 0
		.amdhsa_exception_fp_ieee_div_zero 0
		.amdhsa_exception_fp_ieee_overflow 0
		.amdhsa_exception_fp_ieee_underflow 0
		.amdhsa_exception_fp_ieee_inexact 0
		.amdhsa_exception_int_div_zero 0
	.end_amdhsa_kernel
	.section	.text._Z39paged_attention_ll4mi_QKV_mfma16_kernelI14__hip_bfloat16hLN4vllm18Fp8KVCacheDataTypeE1ES0_Li16ELi128ELi256ELb0ELi6EL8MFMAType1EEvPKT_PKT0_S9_ifPKiSB_SB_iPKfiiiPfSE_PS4_PT2_iSD_SD_,"axG",@progbits,_Z39paged_attention_ll4mi_QKV_mfma16_kernelI14__hip_bfloat16hLN4vllm18Fp8KVCacheDataTypeE1ES0_Li16ELi128ELi256ELb0ELi6EL8MFMAType1EEvPKT_PKT0_S9_ifPKiSB_SB_iPKfiiiPfSE_PS4_PT2_iSD_SD_,comdat
.Lfunc_end1571:
	.size	_Z39paged_attention_ll4mi_QKV_mfma16_kernelI14__hip_bfloat16hLN4vllm18Fp8KVCacheDataTypeE1ES0_Li16ELi128ELi256ELb0ELi6EL8MFMAType1EEvPKT_PKT0_S9_ifPKiSB_SB_iPKfiiiPfSE_PS4_PT2_iSD_SD_, .Lfunc_end1571-_Z39paged_attention_ll4mi_QKV_mfma16_kernelI14__hip_bfloat16hLN4vllm18Fp8KVCacheDataTypeE1ES0_Li16ELi128ELi256ELb0ELi6EL8MFMAType1EEvPKT_PKT0_S9_ifPKiSB_SB_iPKfiiiPfSE_PS4_PT2_iSD_SD_
                                        ; -- End function
	.section	.AMDGPU.csdata,"",@progbits
; Kernel info:
; codeLenInByte = 8884
; NumSgprs: 38
; NumVgprs: 140
; ScratchSize: 0
; MemoryBound: 0
; FloatMode: 240
; IeeeMode: 1
; LDSByteSize: 17472 bytes/workgroup (compile time only)
; SGPRBlocks: 4
; VGPRBlocks: 17
; NumSGPRsForWavesPerEU: 38
; NumVGPRsForWavesPerEU: 140
; Occupancy: 10
; WaveLimiterHint : 1
; COMPUTE_PGM_RSRC2:SCRATCH_EN: 0
; COMPUTE_PGM_RSRC2:USER_SGPR: 13
; COMPUTE_PGM_RSRC2:TRAP_HANDLER: 0
; COMPUTE_PGM_RSRC2:TGID_X_EN: 1
; COMPUTE_PGM_RSRC2:TGID_Y_EN: 1
; COMPUTE_PGM_RSRC2:TGID_Z_EN: 1
; COMPUTE_PGM_RSRC2:TIDIG_COMP_CNT: 0
	.section	.text._Z39paged_attention_ll4mi_QKV_mfma16_kernelI14__hip_bfloat16hLN4vllm18Fp8KVCacheDataTypeE1ES0_Li16ELi128ELi256ELb0ELi7EL8MFMAType1EEvPKT_PKT0_S9_ifPKiSB_SB_iPKfiiiPfSE_PS4_PT2_iSD_SD_,"axG",@progbits,_Z39paged_attention_ll4mi_QKV_mfma16_kernelI14__hip_bfloat16hLN4vllm18Fp8KVCacheDataTypeE1ES0_Li16ELi128ELi256ELb0ELi7EL8MFMAType1EEvPKT_PKT0_S9_ifPKiSB_SB_iPKfiiiPfSE_PS4_PT2_iSD_SD_,comdat
	.protected	_Z39paged_attention_ll4mi_QKV_mfma16_kernelI14__hip_bfloat16hLN4vllm18Fp8KVCacheDataTypeE1ES0_Li16ELi128ELi256ELb0ELi7EL8MFMAType1EEvPKT_PKT0_S9_ifPKiSB_SB_iPKfiiiPfSE_PS4_PT2_iSD_SD_ ; -- Begin function _Z39paged_attention_ll4mi_QKV_mfma16_kernelI14__hip_bfloat16hLN4vllm18Fp8KVCacheDataTypeE1ES0_Li16ELi128ELi256ELb0ELi7EL8MFMAType1EEvPKT_PKT0_S9_ifPKiSB_SB_iPKfiiiPfSE_PS4_PT2_iSD_SD_
	.globl	_Z39paged_attention_ll4mi_QKV_mfma16_kernelI14__hip_bfloat16hLN4vllm18Fp8KVCacheDataTypeE1ES0_Li16ELi128ELi256ELb0ELi7EL8MFMAType1EEvPKT_PKT0_S9_ifPKiSB_SB_iPKfiiiPfSE_PS4_PT2_iSD_SD_
	.p2align	8
	.type	_Z39paged_attention_ll4mi_QKV_mfma16_kernelI14__hip_bfloat16hLN4vllm18Fp8KVCacheDataTypeE1ES0_Li16ELi128ELi256ELb0ELi7EL8MFMAType1EEvPKT_PKT0_S9_ifPKiSB_SB_iPKfiiiPfSE_PS4_PT2_iSD_SD_,@function
_Z39paged_attention_ll4mi_QKV_mfma16_kernelI14__hip_bfloat16hLN4vllm18Fp8KVCacheDataTypeE1ES0_Li16ELi128ELi256ELb0ELi7EL8MFMAType1EEvPKT_PKT0_S9_ifPKiSB_SB_iPKfiiiPfSE_PS4_PT2_iSD_SD_: ; @_Z39paged_attention_ll4mi_QKV_mfma16_kernelI14__hip_bfloat16hLN4vllm18Fp8KVCacheDataTypeE1ES0_Li16ELi128ELi256ELb0ELi7EL8MFMAType1EEvPKT_PKT0_S9_ifPKiSB_SB_iPKfiiiPfSE_PS4_PT2_iSD_SD_
; %bb.0:
	s_load_b64 s[4:5], s[0:1], 0x30
	s_mov_b32 s30, s13
	s_waitcnt lgkmcnt(0)
	s_cmp_lg_u64 s[4:5], 0
	s_cselect_b32 s13, -1, 0
	s_ashr_i32 s31, s30, 31
	s_cmp_eq_u64 s[4:5], 0
	s_cbranch_scc1 .LBB1572_3
; %bb.1:
	s_lshl_b64 s[2:3], s[30:31], 2
	s_delay_alu instid0(SALU_CYCLE_1) | instskip(SKIP_4) | instid1(SALU_CYCLE_1)
	s_add_u32 s2, s4, s2
	s_addc_u32 s3, s5, s3
	s_load_b64 s[2:3], s[2:3], 0x0
	s_waitcnt lgkmcnt(0)
	s_sub_i32 s2, s3, s2
	s_cmp_eq_u32 s2, 1
	s_cselect_b32 s2, -1, 0
	s_delay_alu instid0(SALU_CYCLE_1)
	s_and_not1_b32 vcc_lo, exec_lo, s2
	s_cbranch_vccz .LBB1572_4
.LBB1572_2:
	s_nop 0
	s_sendmsg sendmsg(MSG_DEALLOC_VGPRS)
	s_endpgm
.LBB1572_3:
.LBB1572_4:
	s_load_b64 s[2:3], s[0:1], 0x28
	s_lshl_b64 s[6:7], s[30:31], 2
	s_waitcnt lgkmcnt(0)
	s_add_u32 s2, s2, s6
	s_addc_u32 s3, s3, s7
	s_lshl_b32 s12, s14, 8
	s_load_b32 s17, s[2:3], 0x0
	s_waitcnt lgkmcnt(0)
	s_cmp_ge_i32 s12, s17
	s_cbranch_scc1 .LBB1572_2
; %bb.5:
	s_clause 0x1
	s_load_b128 s[8:11], s[0:1], 0x8
	s_load_b64 s[2:3], s[0:1], 0x20
	s_and_not1_b32 vcc_lo, exec_lo, s13
	s_cbranch_vccnz .LBB1572_7
; %bb.6:
	s_add_u32 s4, s4, s6
	s_addc_u32 s5, s5, s7
	s_load_b32 s13, s[4:5], 0x0
	s_branch .LBB1572_8
.LBB1572_7:
	s_mov_b32 s13, s30
.LBB1572_8:
	s_load_b128 s[4:7], s[0:1], 0x48
	v_and_b32_e32 v65, 15, v0
	v_lshrrev_b32_e32 v66, 5, v0
	v_bfe_u32 v74, v0, 4, 1
	v_and_b32_e32 v67, 31, v0
	v_and_b32_e32 v75, 1, v0
	v_lshlrev_b32_e32 v2, 3, v65
	s_mul_i32 s31, s15, 7
	v_lshl_or_b32 v1, v66, 1, v74
	s_waitcnt lgkmcnt(0)
	s_mov_b32 s7, exec_lo
	v_lshlrev_b32_e32 v73, 1, v2
	s_delay_alu instid0(VALU_DEP_2)
	v_cmpx_gt_u32_e32 7, v1
	s_cbranch_execz .LBB1572_10
; %bb.9:
	s_load_b64 s[18:19], s[0:1], 0x0
	v_add_lshl_u32 v2, v1, s31, 7
	s_mul_hi_i32 s21, s13, s4
	s_mul_i32 s20, s13, s4
	v_lshlrev_b32_e32 v6, 10, v65
	s_lshl_b64 s[20:21], s[20:21], 1
	v_ashrrev_i32_e32 v3, 31, v2
	v_lshlrev_b32_e32 v1, 6, v1
	v_lshlrev_b32_e32 v7, 10, v75
	v_and_b32_e32 v6, 0x3800, v6
	s_delay_alu instid0(VALU_DEP_4) | instskip(NEXT) | instid1(VALU_DEP_2)
	v_lshlrev_b64 v[2:3], 1, v[2:3]
	v_or3_b32 v1, v6, v7, v1
	s_waitcnt lgkmcnt(0)
	s_add_u32 s4, s18, s20
	s_addc_u32 s13, s19, s21
	s_delay_alu instid0(VALU_DEP_2) | instskip(SKIP_1) | instid1(VALU_DEP_2)
	v_add_co_u32 v2, vcc_lo, s4, v2
	v_add_co_ci_u32_e32 v3, vcc_lo, s13, v3, vcc_lo
	v_add_co_u32 v2, vcc_lo, v2, v73
	s_delay_alu instid0(VALU_DEP_2)
	v_add_co_ci_u32_e32 v3, vcc_lo, 0, v3, vcc_lo
	global_load_b128 v[2:5], v[2:3], off
	s_waitcnt vmcnt(0)
	ds_store_b128 v1, v[2:5]
.LBB1572_10:
	s_or_b32 exec_lo, exec_lo, s7
	v_and_b32_e32 v1, 0xef, v0
	s_add_i32 s4, s17, 15
	s_clause 0x1
	s_load_b32 s7, s[0:1], 0x38
	s_load_b32 s18, s[0:1], 0x1c
	s_ashr_i32 s13, s4, 31
	v_add_nc_u32_e32 v2, s12, v1
	s_lshr_b32 s13, s13, 28
	s_waitcnt lgkmcnt(0)
	s_add_i32 s4, s4, s13
	s_barrier
	v_ashrrev_i32_e32 v1, 31, v2
	s_ashr_i32 s4, s4, 4
	v_cmp_gt_i32_e32 vcc_lo, s17, v2
	s_add_i32 s4, s4, -1
	buffer_gl0_inv
	v_lshrrev_b32_e32 v3, 28, v1
	v_or_b32_e32 v1, 16, v2
	s_mul_i32 s15, s15, s6
	s_delay_alu instid0(VALU_DEP_2) | instskip(SKIP_1) | instid1(SALU_CYCLE_1)
	v_add_nc_u32_e32 v4, v2, v3
	s_mul_i32 s20, s30, s7
	s_ashr_i32 s21, s20, 31
	s_delay_alu instid0(VALU_DEP_1) | instskip(SKIP_2) | instid1(SALU_CYCLE_1)
	v_ashrrev_i32_e32 v4, 4, v4
	v_add_nc_u32_e32 v3, v1, v3
	s_lshl_b64 s[20:21], s[20:21], 2
	s_add_u32 s2, s2, s20
	s_delay_alu instid0(VALU_DEP_2) | instskip(NEXT) | instid1(VALU_DEP_2)
	v_cndmask_b32_e32 v2, s4, v4, vcc_lo
	v_ashrrev_i32_e32 v3, 4, v3
	v_cmp_gt_i32_e32 vcc_lo, s17, v1
	s_addc_u32 s3, s3, s21
	s_ashr_i32 s6, s15, 31
	s_add_u32 s7, s8, s15
	s_addc_u32 s13, s9, s6
	v_cndmask_b32_e32 v4, s4, v3, vcc_lo
	v_ashrrev_i32_e32 v3, 31, v2
	s_lshl_b32 s8, s14, 4
	s_delay_alu instid0(SALU_CYCLE_1) | instskip(NEXT) | instid1(VALU_DEP_2)
	s_ashr_i32 s9, s8, 31
	v_ashrrev_i32_e32 v5, 31, v4
	s_delay_alu instid0(VALU_DEP_2) | instskip(SKIP_1) | instid1(SALU_CYCLE_1)
	v_lshlrev_b64 v[1:2], 2, v[2:3]
	s_lshl_b64 s[8:9], s[8:9], 2
	s_add_u32 s8, s2, s8
	s_delay_alu instid0(VALU_DEP_2) | instskip(SKIP_1) | instid1(VALU_DEP_2)
	v_lshlrev_b64 v[3:4], 2, v[4:5]
	s_addc_u32 s9, s3, s9
	v_add_co_u32 v1, vcc_lo, s2, v1
	v_add_co_ci_u32_e32 v2, vcc_lo, s3, v2, vcc_lo
	s_delay_alu instid0(VALU_DEP_3) | instskip(NEXT) | instid1(VALU_DEP_4)
	v_add_co_u32 v3, vcc_lo, s2, v3
	v_add_co_ci_u32_e32 v4, vcc_lo, s3, v4, vcc_lo
	s_clause 0x1
	global_load_b32 v5, v[1:2], off
	global_load_b32 v3, v[3:4], off
	v_lshlrev_b32_e32 v1, 4, v0
	s_or_b32 s16, s12, 32
	s_delay_alu instid0(SALU_CYCLE_1) | instskip(SKIP_1) | instid1(VALU_DEP_1)
	s_ashr_i32 s19, s16, 4
	s_cmp_lt_i32 s16, s17
	v_and_b32_e32 v1, 0xf0, v1
	s_cselect_b32 s20, s19, s4
	s_delay_alu instid0(SALU_CYCLE_1) | instskip(NEXT) | instid1(SALU_CYCLE_1)
	s_ashr_i32 s21, s20, 31
	s_lshl_b64 s[20:21], s[20:21], 2
	s_delay_alu instid0(VALU_DEP_1)
	v_add_co_u32 v1, s7, s7, v1
	s_add_u32 s20, s2, s20
	s_addc_u32 s21, s3, s21
	s_or_b32 s16, s12, 64
	v_add_co_ci_u32_e64 v2, null, s13, 0, s7
	s_ashr_i32 s19, s16, 4
	s_cmp_lt_i32 s16, s17
	s_cselect_b32 s22, s19, s4
	s_delay_alu instid0(SALU_CYCLE_1) | instskip(NEXT) | instid1(SALU_CYCLE_1)
	s_ashr_i32 s23, s22, 31
	s_lshl_b64 s[22:23], s[22:23], 2
	s_delay_alu instid0(SALU_CYCLE_1) | instskip(SKIP_2) | instid1(SALU_CYCLE_1)
	s_add_u32 s22, s2, s22
	s_addc_u32 s23, s3, s23
	s_or_b32 s16, s12, 0x60
	s_ashr_i32 s19, s16, 4
	s_cmp_lt_i32 s16, s17
	s_cselect_b32 s24, s19, s4
	s_delay_alu instid0(SALU_CYCLE_1) | instskip(NEXT) | instid1(SALU_CYCLE_1)
	s_ashr_i32 s25, s24, 31
	s_lshl_b64 s[24:25], s[24:25], 2
	s_delay_alu instid0(SALU_CYCLE_1) | instskip(SKIP_2) | instid1(SALU_CYCLE_1)
	s_add_u32 s24, s2, s24
	s_addc_u32 s25, s3, s25
	s_or_b32 s16, s12, 0x80
	;; [unrolled: 10-line block ×3, first 2 shown]
	s_ashr_i32 s19, s16, 4
	s_cmp_lt_i32 s16, s17
	s_cselect_b32 s28, s19, s4
	s_delay_alu instid0(SALU_CYCLE_1) | instskip(NEXT) | instid1(SALU_CYCLE_1)
	s_ashr_i32 s29, s28, 31
	s_lshl_b64 s[28:29], s[28:29], 2
	s_delay_alu instid0(SALU_CYCLE_1)
	s_add_u32 s28, s2, s28
	s_addc_u32 s29, s3, s29
	s_clause 0x5
	s_load_b32 s7, s[8:9], 0x0
	s_load_b32 s13, s[20:21], 0x0
	;; [unrolled: 1-line block ×6, first 2 shown]
	s_or_b32 s8, s12, 0xc0
	s_mov_b32 s20, 0
	s_ashr_i32 s9, s8, 4
	s_cmp_lt_i32 s8, s17
	s_mov_b32 s27, s20
	s_cselect_b32 s8, s9, s4
	s_mov_b32 s21, s20
	s_ashr_i32 s9, s8, 31
	s_mov_b32 s22, s20
	s_lshl_b64 s[8:9], s[8:9], 2
	s_mov_b32 s23, s20
	s_mov_b32 s24, s20
	;; [unrolled: 1-line block ×4, first 2 shown]
	v_dual_mov_b32 v107, s27 :: v_dual_mov_b32 v104, s24
	s_add_u32 s8, s2, s8
	v_dual_mov_b32 v106, s26 :: v_dual_mov_b32 v105, s25
	v_dual_mov_b32 v101, s21 :: v_dual_mov_b32 v100, s20
	s_addc_u32 s9, s3, s9
	v_dual_mov_b32 v103, s23 :: v_dual_mov_b32 v102, s22
	s_or_b32 s20, s12, 0xe0
	s_delay_alu instid0(SALU_CYCLE_1) | instskip(SKIP_2) | instid1(SALU_CYCLE_1)
	s_ashr_i32 s21, s20, 4
	s_cmp_lt_i32 s20, s17
	s_cselect_b32 s20, s21, s4
	s_ashr_i32 s21, s20, 31
	s_delay_alu instid0(SALU_CYCLE_1) | instskip(NEXT) | instid1(SALU_CYCLE_1)
	s_lshl_b64 s[20:21], s[20:21], 2
	s_add_u32 s2, s2, s20
	s_addc_u32 s3, s3, s21
	s_waitcnt vmcnt(1)
	v_mad_i64_i32 v[25:26], null, v5, s5, v[1:2]
	s_waitcnt vmcnt(0)
	v_mad_i64_i32 v[27:28], null, v3, s5, v[1:2]
	s_clause 0xf
	global_load_b128 v[1:4], v[25:26], off
	global_load_b128 v[5:8], v[25:26], off offset:256
	global_load_b128 v[9:12], v[27:28], off
	global_load_b128 v[13:16], v[27:28], off offset:256
	global_load_b128 v[17:20], v[25:26], off offset:512
	;; [unrolled: 1-line block ×13, first 2 shown]
	v_mul_lo_u16 v25, v65, 37
	v_lshlrev_b32_e32 v26, 4, v65
	s_delay_alu instid0(VALU_DEP_2) | instskip(NEXT) | instid1(VALU_DEP_2)
	v_lshrrev_b16 v25, 8, v25
	v_lshl_or_b32 v33, v66, 8, v26
	s_delay_alu instid0(VALU_DEP_2) | instskip(NEXT) | instid1(VALU_DEP_1)
	v_mul_lo_u16 v25, v25, 7
	v_sub_nc_u16 v25, v65, v25
	s_delay_alu instid0(VALU_DEP_1) | instskip(NEXT) | instid1(VALU_DEP_1)
	v_and_b32_e32 v25, 0xff, v25
	v_lshlrev_b32_e32 v72, 6, v25
	ds_load_b128 v[25:28], v72
	ds_load_b128 v[29:32], v72 offset:1024
	ds_load_b128 v[108:111], v72 offset:2048
	;; [unrolled: 1-line block ×3, first 2 shown]
	s_load_b32 s4, s[8:9], 0x0
	ds_load_b128 v[116:119], v72 offset:4096
	ds_load_b128 v[120:123], v72 offset:5120
	s_load_b32 s2, s[2:3], 0x0
	s_add_u32 s8, s10, s15
	s_addc_u32 s6, s11, s6
	v_add_co_u32 v68, s8, s8, v33
	s_delay_alu instid0(VALU_DEP_1) | instskip(SKIP_1) | instid1(VALU_DEP_1)
	v_add_co_ci_u32_e64 v69, null, s6, 0, s8
	s_waitcnt lgkmcnt(0)
	v_mad_i64_i32 v[33:34], null, s7, s5, v[68:69]
	v_mad_i64_i32 v[70:71], null, s16, s5, v[68:69]
	;; [unrolled: 1-line block ×7, first 2 shown]
	s_clause 0x3
	global_load_b128 v[41:44], v[33:34], off
	global_load_b128 v[45:48], v[33:34], off offset:16
	global_load_b128 v[33:36], v[37:38], off
	global_load_b128 v[37:40], v[37:38], off offset:16
	s_waitcnt vmcnt(18)
	v_wmma_f32_16x16x16_bf16 v[124:131], v[1:8], v[25:32], v[100:107]
	s_waitcnt vmcnt(16)
	v_wmma_f32_16x16x16_bf16 v[100:107], v[9:16], v[25:32], v[100:107]
	s_clause 0x1
	global_load_b128 v[25:28], v[70:71], off
	global_load_b128 v[29:32], v[70:71], off offset:16
	s_waitcnt vmcnt(16)
	v_wmma_f32_16x16x16_bf16 v[124:131], v[17:24], v[108:115], v[124:131]
	s_clause 0x1
	global_load_b128 v[17:20], v[132:133], off
	global_load_b128 v[21:24], v[132:133], off offset:16
	s_waitcnt vmcnt(16)
	v_wmma_f32_16x16x16_bf16 v[100:107], v[49:56], v[108:115], v[100:107]
	v_mad_i64_i32 v[53:54], null, s2, s5, v[68:69]
	s_clause 0x3
	global_load_b128 v[1:4], v[134:135], off
	global_load_b128 v[5:8], v[134:135], off offset:16
	global_load_b128 v[9:12], v[136:137], off
	global_load_b128 v[13:16], v[136:137], off offset:16
	s_waitcnt vmcnt(18)
	v_wmma_f32_16x16x16_bf16 v[124:131], v[57:64], v[116:123], v[124:131]
	s_clause 0x3
	global_load_b128 v[57:60], v[138:139], off
	global_load_b128 v[61:64], v[138:139], off offset:16
	global_load_b128 v[49:52], v[53:54], off
	global_load_b128 v[53:56], v[53:54], off offset:16
	v_mbcnt_lo_u32_b32 v69, -1, 0
	s_waitcnt vmcnt(20)
	v_wmma_f32_16x16x16_bf16 v[100:107], v[76:83], v[116:123], v[100:107]
	s_delay_alu instid0(VALU_DEP_2) | instskip(NEXT) | instid1(VALU_DEP_1)
	v_xor_b32_e32 v70, 16, v69
	v_cmp_gt_i32_e32 vcc_lo, 32, v70
	v_cndmask_b32_e32 v69, v69, v70, vcc_lo
	ds_load_b128 v[76:79], v72 offset:6144
	ds_load_b128 v[80:83], v72 offset:7168
	s_waitcnt vmcnt(0) lgkmcnt(0)
	s_barrier
	buffer_gl0_inv
	v_wmma_f32_16x16x16_bf16 v[124:131], v[84:91], v[76:83], v[124:131]
	v_and_b32_e32 v68, 0xe0, v0
	v_wmma_f32_16x16x16_bf16 v[100:107], v[92:99], v[76:83], v[100:107]
	s_delay_alu instid0(VALU_DEP_2) | instskip(NEXT) | instid1(VALU_DEP_4)
	v_dual_mul_f32 v79, s18, v127 :: v_dual_add_nc_u32 v68, s12, v68
	v_mul_f32_e32 v81, s18, v129
	v_dual_mul_f32 v78, s18, v125 :: v_dual_mul_f32 v83, s18, v131
	s_delay_alu instid0(VALU_DEP_4) | instskip(NEXT) | instid1(VALU_DEP_4)
	v_dual_mul_f32 v80, s18, v126 :: v_dual_mul_f32 v95, s18, v103
	v_or_b32_e32 v68, v68, v74
	v_dual_mul_f32 v93, s18, v101 :: v_dual_mul_f32 v82, s18, v128
	v_dual_mul_f32 v97, s18, v105 :: v_dual_mul_f32 v92, s18, v130
	v_mul_f32_e32 v99, s18, v107
	s_delay_alu instid0(VALU_DEP_4)
	v_or_b32_e32 v70, 2, v68
	v_or_b32_e32 v71, 4, v68
	v_or_b32_e32 v72, 6, v68
	v_cmp_gt_i32_e64 s2, s17, v68
	v_or_b32_e32 v108, 8, v68
	v_cmp_gt_i32_e32 vcc_lo, s17, v70
	v_mul_f32_e32 v70, s18, v124
	v_or_b32_e32 v109, 10, v68
	v_cmp_gt_i32_e64 s3, s17, v71
	v_cmp_gt_i32_e64 s4, s17, v72
	v_cndmask_b32_e32 v78, 0xff7fffff, v78, vcc_lo
	v_cndmask_b32_e64 v70, 0xff7fffff, v70, s2
	v_or_b32_e32 v84, 12, v68
	v_or_b32_e32 v85, 14, v68
	v_cndmask_b32_e64 v71, 0xff7fffff, v80, s3
	v_cndmask_b32_e64 v72, 0xff7fffff, v79, s4
	v_max3_f32 v70, v70, 0xff7fffff, v78
	v_cmp_gt_i32_e64 s5, s17, v108
	v_cmp_gt_i32_e64 s6, s17, v109
	v_or_b32_e32 v86, 16, v68
	v_or_b32_e32 v87, 18, v68
	v_max3_f32 v70, v70, v71, v72
	v_cndmask_b32_e64 v78, 0xff7fffff, v82, s5
	v_cndmask_b32_e64 v79, 0xff7fffff, v81, s6
	v_cmp_gt_i32_e64 s7, s17, v84
	v_cmp_gt_i32_e64 s8, s17, v85
	v_or_b32_e32 v88, 20, v68
	v_or_b32_e32 v89, 22, v68
	v_mul_f32_e32 v94, s18, v100
	v_cndmask_b32_e64 v71, 0xff7fffff, v92, s7
	v_cndmask_b32_e64 v72, 0xff7fffff, v83, s8
	v_max3_f32 v70, v70, v78, v79
	v_cmp_gt_i32_e64 s9, s17, v86
	v_cmp_gt_i32_e64 s10, s17, v87
	v_or_b32_e32 v90, 24, v68
	v_or_b32_e32 v91, 26, v68
	v_mul_f32_e32 v96, s18, v102
	v_max3_f32 v70, v70, v71, v72
	v_cndmask_b32_e64 v79, 0xff7fffff, v93, s10
	v_cmp_gt_i32_e64 s11, s17, v88
	v_cmp_gt_i32_e64 s12, s17, v89
	v_lshlrev_b32_e32 v89, 2, v69
	v_cndmask_b32_e64 v78, 0xff7fffff, v94, s9
	v_or_b32_e32 v76, 28, v68
	v_or_b32_e32 v77, 30, v68
	v_mul_f32_e32 v98, s18, v104
	v_cndmask_b32_e64 v71, 0xff7fffff, v96, s11
	v_cndmask_b32_e64 v72, 0xff7fffff, v95, s12
	v_max3_f32 v70, v70, v78, v79
	v_cmp_gt_i32_e64 s13, s17, v90
	v_cmp_gt_i32_e64 s15, s17, v91
	v_mul_f32_e32 v68, s18, v106
	v_cmp_gt_i32_e64 s16, s17, v76
	v_max3_f32 v70, v70, v71, v72
	v_cndmask_b32_e64 v78, 0xff7fffff, v98, s13
	v_cndmask_b32_e64 v79, 0xff7fffff, v97, s15
	v_cmp_gt_i32_e64 s17, s17, v77
	v_cndmask_b32_e64 v68, 0xff7fffff, v68, s16
	s_delay_alu instid0(VALU_DEP_3) | instskip(NEXT) | instid1(VALU_DEP_3)
	v_max3_f32 v70, v70, v78, v79
	v_cndmask_b32_e64 v71, 0xff7fffff, v99, s17
	s_delay_alu instid0(VALU_DEP_1) | instskip(SKIP_3) | instid1(VALU_DEP_1)
	v_max3_f32 v68, v70, v68, v71
	ds_bpermute_b32 v69, v89, v68
	s_waitcnt lgkmcnt(0)
	v_max_f32_e32 v69, v69, v69
	v_max_f32_e32 v68, v68, v69
	s_delay_alu instid0(VALU_DEP_1) | instskip(NEXT) | instid1(VALU_DEP_1)
	v_fma_f32 v76, s18, v128, -v68
	v_mul_f32_e32 v77, 0x3fb8aa3b, v76
	v_fma_f32 v71, s18, v126, -v68
	v_fma_f32 v69, s18, v124, -v68
	;; [unrolled: 1-line block ×4, first 2 shown]
	v_exp_f32_e32 v77, v77
	v_mul_f32_e32 v71, 0x3fb8aa3b, v71
	v_mul_f32_e32 v69, 0x3fb8aa3b, v69
	v_fma_f32 v81, s18, v105, -v68
	v_fma_f32 v78, s18, v130, -v68
	s_delay_alu instid0(VALU_DEP_4) | instskip(NEXT) | instid1(VALU_DEP_3)
	v_exp_f32_e32 v71, v71
	v_exp_f32_e32 v69, v69
	s_delay_alu instid0(VALU_DEP_2) | instskip(NEXT) | instid1(TRANS32_DEP_3)
	v_mul_f32_e32 v81, 0x3fb8aa3b, v81
	v_cndmask_b32_e64 v86, 0, v77, s5
	v_fma_f32 v77, s18, v101, -v68
	s_delay_alu instid0(VALU_DEP_3) | instskip(NEXT) | instid1(TRANS32_DEP_3)
	v_exp_f32_e32 v81, v81
	v_cndmask_b32_e64 v83, 0, v71, s3
	v_fma_f32 v71, s18, v131, -v68
	v_mul_f32_e32 v72, 0x3fb8aa3b, v72
	s_delay_alu instid0(TRANS32_DEP_2) | instskip(SKIP_1) | instid1(VALU_DEP_4)
	v_cndmask_b32_e64 v80, 0, v69, s2
	v_fma_f32 v69, s18, v129, -v68
	v_dual_mul_f32 v70, 0x3fb8aa3b, v70 :: v_dual_mul_f32 v71, 0x3fb8aa3b, v71
	s_delay_alu instid0(VALU_DEP_4) | instskip(SKIP_1) | instid1(VALU_DEP_3)
	v_exp_f32_e32 v72, v72
	v_mul_f32_e32 v77, 0x3fb8aa3b, v77
	v_mul_f32_e32 v69, 0x3fb8aa3b, v69
	s_delay_alu instid0(VALU_DEP_3)
	v_exp_f32_e32 v70, v70
	v_exp_f32_e32 v71, v71
	v_cmp_gt_u32_e64 s2, 16, v67
	v_exp_f32_e32 v77, v77
	v_exp_f32_e32 v69, v69
	v_cndmask_b32_e64 v85, 0, v72, s4
	v_fma_f32 v72, s18, v100, -v68
	v_cndmask_b32_e32 v76, 0, v70, vcc_lo
	s_delay_alu instid0(TRANS32_DEP_3) | instskip(SKIP_2) | instid1(TRANS32_DEP_1)
	v_cndmask_b32_e64 v88, 0, v71, s8
	v_fma_f32 v71, s18, v104, -v68
	v_add_f32_e32 v70, 0, v80
	v_cndmask_b32_e64 v87, 0, v69, s6
	s_delay_alu instid0(VALU_DEP_2) | instskip(NEXT) | instid1(VALU_DEP_1)
	v_dual_mul_f32 v71, 0x3fb8aa3b, v71 :: v_dual_add_f32 v70, v70, v76
	v_exp_f32_e32 v82, v71
	s_delay_alu instid0(VALU_DEP_1) | instskip(NEXT) | instid1(VALU_DEP_1)
	v_add_f32_e32 v70, v70, v83
	v_add_f32_e32 v70, v70, v85
	s_delay_alu instid0(VALU_DEP_1) | instskip(SKIP_1) | instid1(VALU_DEP_2)
	v_dual_mul_f32 v72, 0x3fb8aa3b, v72 :: v_dual_add_f32 v69, v70, v86
	v_fma_f32 v70, s18, v102, -v68
	v_exp_f32_e32 v72, v72
	s_delay_alu instid0(VALU_DEP_2) | instskip(NEXT) | instid1(VALU_DEP_2)
	v_dual_add_f32 v69, v69, v87 :: v_dual_mul_f32 v78, 0x3fb8aa3b, v78
	v_mul_f32_e32 v70, 0x3fb8aa3b, v70
	s_delay_alu instid0(VALU_DEP_2) | instskip(NEXT) | instid1(VALU_DEP_1)
	v_exp_f32_e32 v78, v78
	v_exp_f32_e32 v79, v70
	s_delay_alu instid0(TRANS32_DEP_3) | instskip(SKIP_4) | instid1(VALU_DEP_3)
	v_cndmask_b32_e64 v70, 0, v72, s9
	s_waitcnt_depctr 0xfff
	v_cndmask_b32_e64 v84, 0, v78, s7
	v_fma_f32 v78, s18, v103, -v68
	v_cndmask_b32_e64 v71, 0, v79, s11
	v_add_f32_e32 v69, v69, v84
	s_delay_alu instid0(VALU_DEP_1) | instskip(SKIP_2) | instid1(VALU_DEP_1)
	v_add_f32_e32 v72, v69, v88
	v_cndmask_b32_e64 v69, 0, v77, s10
	v_fma_f32 v77, s18, v106, -v68
	v_dual_add_f32 v72, v72, v70 :: v_dual_mul_f32 v77, 0x3fb8aa3b, v77
	s_delay_alu instid0(VALU_DEP_1) | instskip(NEXT) | instid1(VALU_DEP_2)
	v_add_f32_e32 v79, v72, v69
	v_exp_f32_e32 v90, v77
	v_cndmask_b32_e64 v77, 0, v82, s13
	v_mul_f32_e32 v78, 0x3fb8aa3b, v78
	s_delay_alu instid0(VALU_DEP_1) | instskip(SKIP_4) | instid1(VALU_DEP_1)
	v_exp_f32_e32 v78, v78
	s_waitcnt_depctr 0xfff
	v_cndmask_b32_e64 v72, 0, v78, s12
	v_add_f32_e32 v78, v79, v71
	v_fma_f32 v79, s18, v107, -v68
	v_dual_add_f32 v82, v78, v72 :: v_dual_mul_f32 v79, 0x3fb8aa3b, v79
	v_cndmask_b32_e64 v78, 0, v81, s15
	s_delay_alu instid0(VALU_DEP_2) | instskip(NEXT) | instid1(VALU_DEP_3)
	v_add_f32_e32 v81, v82, v77
	v_exp_f32_e32 v82, v79
	v_cndmask_b32_e64 v79, 0, v90, s16
	s_delay_alu instid0(VALU_DEP_2) | instskip(NEXT) | instid1(VALU_DEP_1)
	v_add_f32_e32 v81, v81, v78
	v_add_f32_e32 v90, v81, v79
	s_waitcnt_depctr 0xfff
	v_cndmask_b32_e64 v81, 0, v82, s17
	s_delay_alu instid0(VALU_DEP_1)
	v_add_f32_e32 v82, v90, v81
	ds_bpermute_b32 v89, v89, v82
	s_and_saveexec_b32 s3, s2
	s_cbranch_execz .LBB1572_12
; %bb.11:
	v_mul_u32_u24_e32 v67, 0x44, v66
	s_delay_alu instid0(VALU_DEP_1) | instskip(SKIP_1) | instid1(VALU_DEP_1)
	v_lshl_add_u32 v67, v65, 2, v67
	s_waitcnt lgkmcnt(0)
	v_dual_add_f32 v82, v82, v89 :: v_dual_add_nc_u32 v67, 0x4000, v67
	ds_store_2addr_b32 v67, v68, v82 offset1:136
.LBB1572_12:
	s_or_b32 exec_lo, exec_lo, s3
	v_lshlrev_b32_e32 v67, 2, v65
	s_waitcnt lgkmcnt(0)
	s_barrier
	buffer_gl0_inv
	v_cmp_eq_u32_e32 vcc_lo, 1, v66
	v_add_nc_u32_e32 v82, 0x4000, v67
	v_cmp_eq_u32_e64 s3, 2, v66
	v_cmp_eq_u32_e64 s5, 7, v66
	ds_load_2addr_b32 v[89:90], v82 offset1:17
	ds_load_2addr_b32 v[91:92], v82 offset0:34 offset1:51
	ds_load_2addr_b32 v[93:94], v82 offset0:68 offset1:85
	ds_load_2addr_b32 v[95:96], v82 offset0:102 offset1:119
	ds_load_2addr_b32 v[97:98], v82 offset0:136 offset1:153
	s_waitcnt lgkmcnt(4)
	v_max3_f32 v67, v89, 0xff7fffff, v90
	s_waitcnt lgkmcnt(3)
	s_delay_alu instid0(VALU_DEP_1) | instskip(SKIP_1) | instid1(VALU_DEP_1)
	v_max3_f32 v67, v67, v91, v92
	s_waitcnt lgkmcnt(2)
	v_max3_f32 v67, v67, v93, v94
	s_waitcnt lgkmcnt(1)
	s_delay_alu instid0(VALU_DEP_1) | instskip(NEXT) | instid1(VALU_DEP_1)
	v_max3_f32 v67, v67, v95, v96
	v_sub_f32_e32 v93, v93, v67
	s_delay_alu instid0(VALU_DEP_1) | instskip(NEXT) | instid1(VALU_DEP_1)
	v_dual_sub_f32 v68, v89, v67 :: v_dual_mul_f32 v103, 0x3fb8aa3b, v93
	v_mul_f32_e32 v68, 0x3fb8aa3b, v68
	s_delay_alu instid0(VALU_DEP_1)
	v_exp_f32_e32 v100, v68
	v_sub_f32_e32 v68, v92, v67
	v_sub_f32_e32 v99, v90, v67
	ds_load_2addr_b32 v[89:90], v82 offset0:170 offset1:187
	v_dual_mul_f32 v102, 0x3fb8aa3b, v68 :: v_dual_mul_f32 v99, 0x3fb8aa3b, v99
	s_waitcnt lgkmcnt(1)
	v_fma_f32 v68, v100, v97, 0
	s_delay_alu instid0(VALU_DEP_2) | instskip(NEXT) | instid1(VALU_DEP_2)
	v_exp_f32_e32 v102, v102
	v_exp_f32_e32 v99, v99
	s_waitcnt_depctr 0xfff
	v_fmac_f32_e32 v68, v99, v98
	v_sub_f32_e32 v91, v91, v67
	s_delay_alu instid0(VALU_DEP_1)
	v_mul_f32_e32 v101, 0x3fb8aa3b, v91
	ds_load_2addr_b32 v[91:92], v82 offset0:204 offset1:221
	v_sub_f32_e32 v97, v94, v67
	ds_load_2addr_b32 v[93:94], v82 offset0:238 offset1:255
	s_waitcnt lgkmcnt(0)
	v_exp_f32_e32 v101, v101
	s_barrier
	buffer_gl0_inv
	v_dual_fmac_f32 v68, v101, v89 :: v_dual_sub_f32 v89, v96, v67
	v_dual_sub_f32 v82, v95, v67 :: v_dual_mul_f32 v95, 0x3fb8aa3b, v97
	v_exp_f32_e32 v97, v103
	s_delay_alu instid0(VALU_DEP_2) | instskip(NEXT) | instid1(VALU_DEP_2)
	v_dual_fmac_f32 v68, v102, v90 :: v_dual_mul_f32 v89, 0x3fb8aa3b, v89
	v_mul_f32_e32 v82, 0x3fb8aa3b, v82
	s_delay_alu instid0(VALU_DEP_3) | instskip(NEXT) | instid1(VALU_DEP_2)
	v_exp_f32_e32 v95, v95
	v_exp_f32_e32 v89, v89
	s_delay_alu instid0(VALU_DEP_1)
	v_exp_f32_e32 v82, v82
	v_fmac_f32_e32 v68, v97, v91
	s_delay_alu instid0(TRANS32_DEP_3) | instid1(VALU_DEP_1)
	v_fmac_f32_e32 v68, v95, v92
	s_waitcnt_depctr 0xfff
	v_fmac_f32_e32 v68, v82, v93
	s_delay_alu instid0(VALU_DEP_1) | instskip(NEXT) | instid1(VALU_DEP_1)
	v_fmac_f32_e32 v68, v89, v94
	v_add_f32_e32 v90, 0x358637bd, v68
	s_delay_alu instid0(VALU_DEP_1) | instskip(NEXT) | instid1(VALU_DEP_1)
	v_div_scale_f32 v91, null, v90, v90, 1.0
	v_rcp_f32_e32 v92, v91
	s_waitcnt_depctr 0xfff
	v_fma_f32 v93, -v91, v92, 1.0
	s_delay_alu instid0(VALU_DEP_1) | instskip(SKIP_1) | instid1(VALU_DEP_2)
	v_dual_fmac_f32 v92, v93, v92 :: v_dual_cndmask_b32 v93, v100, v99
	v_cmp_eq_u32_e32 vcc_lo, 3, v66
	v_cndmask_b32_e64 v93, v93, v101, s3
	v_cmp_eq_u32_e64 s3, 4, v66
	s_delay_alu instid0(VALU_DEP_2) | instskip(SKIP_1) | instid1(VALU_DEP_2)
	v_cndmask_b32_e32 v93, v93, v102, vcc_lo
	v_cmp_eq_u32_e32 vcc_lo, 5, v66
	v_cndmask_b32_e64 v93, v93, v97, s3
	v_cmp_eq_u32_e64 s3, 6, v66
	s_delay_alu instid0(VALU_DEP_2) | instskip(SKIP_1) | instid1(VALU_DEP_1)
	v_cndmask_b32_e32 v93, v93, v95, vcc_lo
	v_div_scale_f32 v94, s4, 1.0, v90, 1.0
	s_mov_b32 vcc_lo, s4
	s_delay_alu instid0(VALU_DEP_2) | instskip(NEXT) | instid1(VALU_DEP_2)
	v_cndmask_b32_e64 v82, v93, v82, s3
	v_mul_f32_e32 v96, v94, v92
	s_mov_b32 s3, exec_lo
	s_delay_alu instid0(VALU_DEP_2) | instskip(NEXT) | instid1(VALU_DEP_2)
	v_cndmask_b32_e64 v82, v82, v89, s5
	v_fma_f32 v98, -v91, v96, v94
	s_delay_alu instid0(VALU_DEP_1) | instskip(NEXT) | instid1(VALU_DEP_1)
	v_fmac_f32_e32 v96, v98, v92
	v_fma_f32 v91, -v91, v96, v94
	s_delay_alu instid0(VALU_DEP_1) | instskip(NEXT) | instid1(VALU_DEP_1)
	v_div_fmas_f32 v91, v91, v92, v96
	v_div_fixup_f32 v90, v91, v90, 1.0
	s_delay_alu instid0(VALU_DEP_1) | instskip(NEXT) | instid1(VALU_DEP_1)
	v_mul_f32_e32 v82, v82, v90
	v_mul_f32_e32 v87, v82, v87
	;; [unrolled: 1-line block ×7, first 2 shown]
	v_dual_mul_f32 v86, v82, v83 :: v_dual_and_b32 v91, 0x7f800000, v90
	v_mul_f32_e32 v85, v82, v76
                                        ; implicit-def: $vgpr76
	s_delay_alu instid0(VALU_DEP_2)
	v_cmpx_ne_u32_e32 0x7f800000, v91
	s_xor_b32 s3, exec_lo, s3
; %bb.13:
	v_bfe_u32 v76, v90, 16, 1
	s_delay_alu instid0(VALU_DEP_1)
	v_add3_u32 v76, v90, v76, 0x7fff
                                        ; implicit-def: $vgpr90
; %bb.14:
	s_and_not1_saveexec_b32 s3, s3
; %bb.15:
	v_and_b32_e32 v76, 0xffff, v90
	v_or_b32_e32 v83, 0x10000, v90
	s_delay_alu instid0(VALU_DEP_2) | instskip(NEXT) | instid1(VALU_DEP_2)
	v_cmp_eq_u32_e32 vcc_lo, 0, v76
	v_cndmask_b32_e32 v76, v83, v90, vcc_lo
; %bb.16:
	s_or_b32 exec_lo, exec_lo, s3
	v_and_b32_e32 v83, 0x7f800000, v85
	s_delay_alu instid0(VALU_DEP_1) | instskip(SKIP_1) | instid1(SALU_CYCLE_1)
	v_cmp_ne_u32_e32 vcc_lo, 0x7f800000, v83
                                        ; implicit-def: $vgpr83
	s_and_saveexec_b32 s3, vcc_lo
	s_xor_b32 s3, exec_lo, s3
; %bb.17:
	v_bfe_u32 v83, v85, 16, 1
	s_delay_alu instid0(VALU_DEP_1)
	v_add3_u32 v83, v85, v83, 0x7fff
                                        ; implicit-def: $vgpr85
; %bb.18:
	s_and_not1_saveexec_b32 s3, s3
; %bb.19:
	v_and_b32_e32 v83, 0xffff, v85
	v_or_b32_e32 v90, 0x10000, v85
	s_delay_alu instid0(VALU_DEP_2) | instskip(NEXT) | instid1(VALU_DEP_2)
	v_cmp_eq_u32_e32 vcc_lo, 0, v83
	v_cndmask_b32_e32 v83, v90, v85, vcc_lo
; %bb.20:
	s_or_b32 exec_lo, exec_lo, s3
	v_and_b32_e32 v85, 0x7f800000, v86
	s_delay_alu instid0(VALU_DEP_1) | instskip(SKIP_1) | instid1(SALU_CYCLE_1)
	v_cmp_ne_u32_e32 vcc_lo, 0x7f800000, v85
                                        ; implicit-def: $vgpr85
	s_and_saveexec_b32 s3, vcc_lo
	s_xor_b32 s3, exec_lo, s3
; %bb.21:
	v_bfe_u32 v85, v86, 16, 1
	s_delay_alu instid0(VALU_DEP_1)
	v_add3_u32 v85, v86, v85, 0x7fff
                                        ; implicit-def: $vgpr86
; %bb.22:
	s_and_not1_saveexec_b32 s3, s3
; %bb.23:
	v_and_b32_e32 v85, 0xffff, v86
	v_or_b32_e32 v90, 0x10000, v86
	s_delay_alu instid0(VALU_DEP_2) | instskip(NEXT) | instid1(VALU_DEP_2)
	v_cmp_eq_u32_e32 vcc_lo, 0, v85
	v_cndmask_b32_e32 v85, v90, v86, vcc_lo
; %bb.24:
	s_or_b32 exec_lo, exec_lo, s3
	v_and_b32_e32 v86, 0x7f800000, v89
	s_delay_alu instid0(VALU_DEP_1) | instskip(SKIP_1) | instid1(SALU_CYCLE_1)
	v_cmp_ne_u32_e32 vcc_lo, 0x7f800000, v86
                                        ; implicit-def: $vgpr86
	s_and_saveexec_b32 s3, vcc_lo
	s_xor_b32 s3, exec_lo, s3
; %bb.25:
	v_bfe_u32 v86, v89, 16, 1
	s_delay_alu instid0(VALU_DEP_1)
	v_add3_u32 v86, v89, v86, 0x7fff
                                        ; implicit-def: $vgpr89
; %bb.26:
	s_and_not1_saveexec_b32 s3, s3
; %bb.27:
	v_and_b32_e32 v86, 0xffff, v89
	v_or_b32_e32 v90, 0x10000, v89
	s_delay_alu instid0(VALU_DEP_2) | instskip(NEXT) | instid1(VALU_DEP_2)
	v_cmp_eq_u32_e32 vcc_lo, 0, v86
	v_cndmask_b32_e32 v86, v90, v89, vcc_lo
; %bb.28:
	s_or_b32 exec_lo, exec_lo, s3
	v_and_b32_e32 v89, 0x7f800000, v88
	s_delay_alu instid0(VALU_DEP_1) | instskip(SKIP_1) | instid1(SALU_CYCLE_1)
	v_cmp_ne_u32_e32 vcc_lo, 0x7f800000, v89
                                        ; implicit-def: $vgpr89
	s_and_saveexec_b32 s3, vcc_lo
	s_xor_b32 s3, exec_lo, s3
; %bb.29:
	v_bfe_u32 v89, v88, 16, 1
	s_delay_alu instid0(VALU_DEP_1)
	v_add3_u32 v89, v88, v89, 0x7fff
                                        ; implicit-def: $vgpr88
; %bb.30:
	s_and_not1_saveexec_b32 s3, s3
; %bb.31:
	v_and_b32_e32 v89, 0xffff, v88
	v_or_b32_e32 v90, 0x10000, v88
	s_delay_alu instid0(VALU_DEP_2) | instskip(NEXT) | instid1(VALU_DEP_2)
	v_cmp_eq_u32_e32 vcc_lo, 0, v89
	v_cndmask_b32_e32 v89, v90, v88, vcc_lo
; %bb.32:
	s_or_b32 exec_lo, exec_lo, s3
	v_and_b32_e32 v88, 0x7f800000, v87
	s_delay_alu instid0(VALU_DEP_1) | instskip(SKIP_1) | instid1(SALU_CYCLE_1)
	v_cmp_ne_u32_e32 vcc_lo, 0x7f800000, v88
                                        ; implicit-def: $vgpr88
	s_and_saveexec_b32 s3, vcc_lo
	s_xor_b32 s3, exec_lo, s3
; %bb.33:
	v_bfe_u32 v88, v87, 16, 1
	s_delay_alu instid0(VALU_DEP_1)
	v_add3_u32 v88, v87, v88, 0x7fff
                                        ; implicit-def: $vgpr87
; %bb.34:
	s_and_not1_saveexec_b32 s3, s3
; %bb.35:
	v_and_b32_e32 v88, 0xffff, v87
	v_or_b32_e32 v90, 0x10000, v87
	s_delay_alu instid0(VALU_DEP_2) | instskip(NEXT) | instid1(VALU_DEP_2)
	v_cmp_eq_u32_e32 vcc_lo, 0, v88
	v_cndmask_b32_e32 v88, v90, v87, vcc_lo
; %bb.36:
	s_or_b32 exec_lo, exec_lo, s3
	v_and_b32_e32 v87, 0x7f800000, v84
	s_delay_alu instid0(VALU_DEP_1) | instskip(SKIP_1) | instid1(SALU_CYCLE_1)
	v_cmp_ne_u32_e32 vcc_lo, 0x7f800000, v87
                                        ; implicit-def: $vgpr87
	s_and_saveexec_b32 s3, vcc_lo
	s_xor_b32 s3, exec_lo, s3
; %bb.37:
	v_bfe_u32 v87, v84, 16, 1
	s_delay_alu instid0(VALU_DEP_1)
	v_add3_u32 v87, v84, v87, 0x7fff
                                        ; implicit-def: $vgpr84
; %bb.38:
	s_and_not1_saveexec_b32 s3, s3
; %bb.39:
	v_and_b32_e32 v87, 0xffff, v84
	v_or_b32_e32 v90, 0x10000, v84
	s_delay_alu instid0(VALU_DEP_2) | instskip(NEXT) | instid1(VALU_DEP_2)
	v_cmp_eq_u32_e32 vcc_lo, 0, v87
	v_cndmask_b32_e32 v87, v90, v84, vcc_lo
; %bb.40:
	s_or_b32 exec_lo, exec_lo, s3
	v_and_b32_e32 v84, 0x7f800000, v80
	s_delay_alu instid0(VALU_DEP_1) | instskip(SKIP_1) | instid1(SALU_CYCLE_1)
	v_cmp_ne_u32_e32 vcc_lo, 0x7f800000, v84
                                        ; implicit-def: $vgpr84
	s_and_saveexec_b32 s3, vcc_lo
	s_xor_b32 s3, exec_lo, s3
; %bb.41:
	v_bfe_u32 v84, v80, 16, 1
	s_delay_alu instid0(VALU_DEP_1)
	v_add3_u32 v84, v80, v84, 0x7fff
                                        ; implicit-def: $vgpr80
; %bb.42:
	s_and_not1_saveexec_b32 s3, s3
; %bb.43:
	v_and_b32_e32 v84, 0xffff, v80
	v_or_b32_e32 v90, 0x10000, v80
	s_delay_alu instid0(VALU_DEP_2) | instskip(NEXT) | instid1(VALU_DEP_2)
	v_cmp_eq_u32_e32 vcc_lo, 0, v84
	v_cndmask_b32_e32 v84, v90, v80, vcc_lo
; %bb.44:
	s_or_b32 exec_lo, exec_lo, s3
	s_load_b64 s[34:35], s[0:1], 0x94
	v_lshlrev_b32_e32 v91, 4, v74
	s_delay_alu instid0(VALU_DEP_2)
	v_perm_b32 v90, v84, v87, 0x7060302
	v_dual_mul_f32 v79, v82, v79 :: v_dual_lshlrev_b32 v80, 6, v65
	v_dual_mul_f32 v77, v82, v77 :: v_dual_lshlrev_b32 v92, 11, v66
	v_mul_f32_e32 v84, v82, v70
	v_perm_b32 v89, v88, v89, 0x7060302
	v_perm_b32 v88, v86, v85, 0x7060302
	;; [unrolled: 1-line block ×3, first 2 shown]
	v_mul_f32_e32 v70, v82, v81
	v_or3_b32 v76, v91, v92, v80
	v_dual_mul_f32 v78, v82, v78 :: v_dual_and_b32 v85, 0x7f800000, v84
	v_mul_f32_e32 v83, v82, v72
	v_mul_f32_e32 v81, v82, v71
	;; [unrolled: 1-line block ×3, first 2 shown]
	s_mov_b32 s3, exec_lo
	ds_store_b128 v76, v[87:90]
                                        ; implicit-def: $vgpr69
	v_cmpx_ne_u32_e32 0x7f800000, v85
	s_xor_b32 s3, exec_lo, s3
; %bb.45:
	v_bfe_u32 v69, v84, 16, 1
	s_delay_alu instid0(VALU_DEP_1)
	v_add3_u32 v69, v84, v69, 0x7fff
                                        ; implicit-def: $vgpr84
; %bb.46:
	s_and_not1_saveexec_b32 s3, s3
; %bb.47:
	v_and_b32_e32 v69, 0xffff, v84
	v_or_b32_e32 v71, 0x10000, v84
	s_delay_alu instid0(VALU_DEP_2) | instskip(NEXT) | instid1(VALU_DEP_2)
	v_cmp_eq_u32_e32 vcc_lo, 0, v69
	v_cndmask_b32_e32 v69, v71, v84, vcc_lo
; %bb.48:
	s_or_b32 exec_lo, exec_lo, s3
	v_and_b32_e32 v71, 0x7f800000, v72
	s_delay_alu instid0(VALU_DEP_1) | instskip(SKIP_1) | instid1(SALU_CYCLE_1)
	v_cmp_ne_u32_e32 vcc_lo, 0x7f800000, v71
                                        ; implicit-def: $vgpr71
	s_and_saveexec_b32 s3, vcc_lo
	s_xor_b32 s3, exec_lo, s3
; %bb.49:
	v_bfe_u32 v71, v72, 16, 1
	s_delay_alu instid0(VALU_DEP_1)
	v_add3_u32 v71, v72, v71, 0x7fff
                                        ; implicit-def: $vgpr72
; %bb.50:
	s_and_not1_saveexec_b32 s3, s3
; %bb.51:
	v_and_b32_e32 v71, 0xffff, v72
	v_or_b32_e32 v82, 0x10000, v72
	s_delay_alu instid0(VALU_DEP_2) | instskip(NEXT) | instid1(VALU_DEP_2)
	v_cmp_eq_u32_e32 vcc_lo, 0, v71
	v_cndmask_b32_e32 v71, v82, v72, vcc_lo
; %bb.52:
	s_or_b32 exec_lo, exec_lo, s3
	v_and_b32_e32 v72, 0x7f800000, v81
	s_delay_alu instid0(VALU_DEP_1) | instskip(SKIP_1) | instid1(SALU_CYCLE_1)
	v_cmp_ne_u32_e32 vcc_lo, 0x7f800000, v72
                                        ; implicit-def: $vgpr72
	s_and_saveexec_b32 s3, vcc_lo
	s_xor_b32 s3, exec_lo, s3
; %bb.53:
	v_bfe_u32 v72, v81, 16, 1
	s_delay_alu instid0(VALU_DEP_1)
	v_add3_u32 v72, v81, v72, 0x7fff
                                        ; implicit-def: $vgpr81
; %bb.54:
	s_and_not1_saveexec_b32 s3, s3
; %bb.55:
	v_and_b32_e32 v72, 0xffff, v81
	v_or_b32_e32 v82, 0x10000, v81
	s_delay_alu instid0(VALU_DEP_2) | instskip(NEXT) | instid1(VALU_DEP_2)
	v_cmp_eq_u32_e32 vcc_lo, 0, v72
	v_cndmask_b32_e32 v72, v82, v81, vcc_lo
; %bb.56:
	s_or_b32 exec_lo, exec_lo, s3
	v_and_b32_e32 v81, 0x7f800000, v83
	s_delay_alu instid0(VALU_DEP_1) | instskip(SKIP_1) | instid1(SALU_CYCLE_1)
	v_cmp_ne_u32_e32 vcc_lo, 0x7f800000, v81
                                        ; implicit-def: $vgpr81
	s_and_saveexec_b32 s3, vcc_lo
	s_xor_b32 s3, exec_lo, s3
; %bb.57:
	v_bfe_u32 v81, v83, 16, 1
	s_delay_alu instid0(VALU_DEP_1)
	v_add3_u32 v81, v83, v81, 0x7fff
                                        ; implicit-def: $vgpr83
; %bb.58:
	s_and_not1_saveexec_b32 s3, s3
; %bb.59:
	v_and_b32_e32 v81, 0xffff, v83
	v_or_b32_e32 v82, 0x10000, v83
	s_delay_alu instid0(VALU_DEP_2) | instskip(NEXT) | instid1(VALU_DEP_2)
	v_cmp_eq_u32_e32 vcc_lo, 0, v81
	v_cndmask_b32_e32 v81, v82, v83, vcc_lo
; %bb.60:
	s_or_b32 exec_lo, exec_lo, s3
	v_and_b32_e32 v82, 0x7f800000, v77
	s_delay_alu instid0(VALU_DEP_1) | instskip(SKIP_1) | instid1(SALU_CYCLE_1)
	v_cmp_ne_u32_e32 vcc_lo, 0x7f800000, v82
                                        ; implicit-def: $vgpr82
	s_and_saveexec_b32 s3, vcc_lo
	s_xor_b32 s3, exec_lo, s3
; %bb.61:
	v_bfe_u32 v82, v77, 16, 1
	s_delay_alu instid0(VALU_DEP_1)
	v_add3_u32 v82, v77, v82, 0x7fff
                                        ; implicit-def: $vgpr77
; %bb.62:
	s_and_not1_saveexec_b32 s3, s3
; %bb.63:
	v_and_b32_e32 v82, 0xffff, v77
	v_or_b32_e32 v83, 0x10000, v77
	s_delay_alu instid0(VALU_DEP_2) | instskip(NEXT) | instid1(VALU_DEP_2)
	v_cmp_eq_u32_e32 vcc_lo, 0, v82
	v_cndmask_b32_e32 v82, v83, v77, vcc_lo
; %bb.64:
	s_or_b32 exec_lo, exec_lo, s3
	v_and_b32_e32 v77, 0x7f800000, v78
	s_delay_alu instid0(VALU_DEP_1) | instskip(SKIP_1) | instid1(SALU_CYCLE_1)
	v_cmp_ne_u32_e32 vcc_lo, 0x7f800000, v77
                                        ; implicit-def: $vgpr77
	s_and_saveexec_b32 s3, vcc_lo
	s_xor_b32 s3, exec_lo, s3
; %bb.65:
	v_bfe_u32 v77, v78, 16, 1
	s_delay_alu instid0(VALU_DEP_1)
	v_add3_u32 v77, v78, v77, 0x7fff
                                        ; implicit-def: $vgpr78
; %bb.66:
	s_and_not1_saveexec_b32 s3, s3
; %bb.67:
	v_and_b32_e32 v77, 0xffff, v78
	v_or_b32_e32 v83, 0x10000, v78
	s_delay_alu instid0(VALU_DEP_2) | instskip(NEXT) | instid1(VALU_DEP_2)
	v_cmp_eq_u32_e32 vcc_lo, 0, v77
	v_cndmask_b32_e32 v77, v83, v78, vcc_lo
; %bb.68:
	s_or_b32 exec_lo, exec_lo, s3
	v_and_b32_e32 v78, 0x7f800000, v79
	s_delay_alu instid0(VALU_DEP_1) | instskip(SKIP_1) | instid1(SALU_CYCLE_1)
	v_cmp_ne_u32_e32 vcc_lo, 0x7f800000, v78
                                        ; implicit-def: $vgpr78
	s_and_saveexec_b32 s3, vcc_lo
	s_xor_b32 s3, exec_lo, s3
; %bb.69:
	v_bfe_u32 v78, v79, 16, 1
	s_delay_alu instid0(VALU_DEP_1)
	v_add3_u32 v78, v79, v78, 0x7fff
                                        ; implicit-def: $vgpr79
; %bb.70:
	s_and_not1_saveexec_b32 s3, s3
; %bb.71:
	v_and_b32_e32 v78, 0xffff, v79
	v_or_b32_e32 v83, 0x10000, v79
	s_delay_alu instid0(VALU_DEP_2) | instskip(NEXT) | instid1(VALU_DEP_2)
	v_cmp_eq_u32_e32 vcc_lo, 0, v78
	v_cndmask_b32_e32 v78, v83, v79, vcc_lo
; %bb.72:
	s_or_b32 exec_lo, exec_lo, s3
	v_and_b32_e32 v79, 0x7f800000, v70
	s_delay_alu instid0(VALU_DEP_1) | instskip(SKIP_1) | instid1(SALU_CYCLE_1)
	v_cmp_ne_u32_e32 vcc_lo, 0x7f800000, v79
                                        ; implicit-def: $vgpr79
	s_and_saveexec_b32 s3, vcc_lo
	s_xor_b32 s3, exec_lo, s3
; %bb.73:
	v_bfe_u32 v79, v70, 16, 1
	s_delay_alu instid0(VALU_DEP_1)
	v_add3_u32 v79, v70, v79, 0x7fff
                                        ; implicit-def: $vgpr70
; %bb.74:
	s_and_not1_saveexec_b32 s3, s3
; %bb.75:
	v_and_b32_e32 v79, 0xffff, v70
	v_or_b32_e32 v83, 0x10000, v70
	s_delay_alu instid0(VALU_DEP_2) | instskip(NEXT) | instid1(VALU_DEP_2)
	v_cmp_eq_u32_e32 vcc_lo, 0, v79
	v_cndmask_b32_e32 v79, v83, v70, vcc_lo
; %bb.76:
	s_or_b32 exec_lo, exec_lo, s3
	s_delay_alu instid0(VALU_DEP_1)
	v_perm_b32 v86, v79, v78, 0x7060302
	v_perm_b32 v85, v77, v82, 0x7060302
	;; [unrolled: 1-line block ×4, first 2 shown]
	v_lshl_or_b32 v82, v66, 11, v80
	ds_store_b128 v76, v[83:86] offset:1024
	s_waitcnt lgkmcnt(0)
	s_barrier
	buffer_gl0_inv
	ds_load_b128 v[69:72], v82
	ds_load_b128 v[83:86], v82 offset:16
	s_waitcnt lgkmcnt(1)
	v_lshrrev_b32_e32 v66, 16, v69
	s_waitcnt lgkmcnt(0)
	v_lshrrev_b32_e32 v91, 16, v83
	v_lshlrev_b32_e32 v78, 2, v74
	v_lshrrev_b32_e32 v95, 16, v70
	v_lshrrev_b32_e32 v98, 16, v84
	;; [unrolled: 1-line block ×4, first 2 shown]
	v_cmp_eq_u32_e32 vcc_lo, 1, v78
	v_lshrrev_b32_e32 v97, 16, v72
	v_lshrrev_b32_e32 v100, 16, v86
	v_cndmask_b32_e32 v87, v83, v91, vcc_lo
	v_or_b32_e32 v79, 1, v78
	v_cndmask_b32_e32 v81, v69, v66, vcc_lo
	v_cmp_eq_u32_e64 s4, 2, v78
	v_cmp_eq_u32_e64 s7, 3, v78
	;; [unrolled: 1-line block ×5, first 2 shown]
	v_cndmask_b32_e64 v81, v81, v70, s4
	v_cndmask_b32_e64 v87, v87, v84, s4
	v_cmp_eq_u32_e64 s8, 3, v79
	v_cndmask_b32_e64 v88, v69, v66, s3
	v_or_b32_e32 v77, 2, v78
	v_cndmask_b32_e64 v81, v81, v95, s7
	v_cndmask_b32_e64 v87, v87, v98, s7
	;; [unrolled: 1-line block ×4, first 2 shown]
	v_cmp_eq_u32_e64 s10, 5, v78
	v_cndmask_b32_e64 v81, v81, v71, s9
	v_cndmask_b32_e64 v87, v87, v85, s9
	v_cmp_eq_u32_e64 s11, 4, v79
	v_cndmask_b32_e64 v88, v88, v95, s8
	v_cmp_eq_u32_e64 s5, 1, v77
	v_cndmask_b32_e64 v89, v89, v84, s6
	v_cndmask_b32_e64 v81, v81, v96, s10
	v_cmp_eq_u32_e64 s12, 6, v78
	v_cndmask_b32_e64 v88, v88, v71, s11
	;; [unrolled: 3-line block ×3, first 2 shown]
	v_cndmask_b32_e64 v89, v89, v98, s8
	v_cndmask_b32_e64 v81, v81, v72, s12
	v_cmp_eq_u32_e64 s15, 7, v78
	v_cndmask_b32_e64 v88, v88, v96, s13
	v_cndmask_b32_e64 v87, v87, v86, s12
	v_cmp_eq_u32_e64 s16, 6, v79
	v_cmp_eq_u32_e64 s17, 2, v77
	v_cndmask_b32_e64 v89, v89, v85, s11
	v_cndmask_b32_e64 v101, v81, v97, s15
	;; [unrolled: 1-line block ×6, first 2 shown]
	v_cmp_eq_u32_e64 s18, 7, v79
	v_cmp_eq_u32_e64 s19, 3, v77
	;; [unrolled: 1-line block ×4, first 2 shown]
	v_cndmask_b32_e64 v87, v87, v84, s17
	v_cndmask_b32_e64 v103, v88, v97, s18
	;; [unrolled: 1-line block ×4, first 2 shown]
	v_or_b32_e32 v81, 3, v78
	v_cndmask_b32_e64 v93, v87, v98, s19
	v_cmp_eq_u32_e64 s24, 6, v77
	v_cndmask_b32_e64 v104, v88, v86, s16
	v_cndmask_b32_e64 v92, v89, v71, s20
	v_cmp_eq_u32_e64 s21, 1, v81
	ds_load_b128 v[87:90], v82 offset:1024
	v_cmp_eq_u32_e64 s23, 2, v81
	v_cmp_eq_u32_e64 s25, 3, v81
	v_cndmask_b32_e64 v105, v92, v96, s22
	v_cndmask_b32_e64 v66, v69, v66, s21
	v_cndmask_b32_e64 v69, v93, v85, s20
	v_cndmask_b32_e64 v83, v83, v91, s21
	ds_load_b128 v[91:94], v82 offset:1040
	v_cmp_eq_u32_e64 s26, 4, v81
	v_cndmask_b32_e64 v66, v66, v70, s23
	v_cmp_eq_u32_e64 s27, 7, v77
	v_cndmask_b32_e64 v70, v83, v84, s23
	v_cndmask_b32_e64 v84, v105, v72, s24
	v_cmp_eq_u32_e64 s28, 5, v81
	v_cndmask_b32_e64 v66, v66, v95, s25
	v_cmp_eq_u32_e64 s29, 6, v81
	v_cndmask_b32_e64 v70, v70, v98, s25
	v_cndmask_b32_e64 v69, v69, v99, s22
	;; [unrolled: 1-line block ×4, first 2 shown]
	s_waitcnt lgkmcnt(1)
	v_lshrrev_b32_e32 v95, 16, v87
	v_cndmask_b32_e64 v70, v70, v85, s26
	v_cndmask_b32_e64 v71, v84, v97, s27
	;; [unrolled: 1-line block ×4, first 2 shown]
	v_cndmask_b32_e32 v84, v87, v95, vcc_lo
	v_cndmask_b32_e64 v70, v70, v99, s28
	s_waitcnt lgkmcnt(0)
	v_lshrrev_b32_e32 v85, 16, v91
	v_lshrrev_b32_e32 v96, 16, v88
	v_cndmask_b32_e64 v98, v87, v95, s3
	v_cndmask_b32_e64 v84, v84, v88, s4
	;; [unrolled: 1-line block ×3, first 2 shown]
	v_cndmask_b32_e32 v99, v91, v85, vcc_lo
	v_cmp_eq_u32_e32 vcc_lo, 7, v81
	v_cndmask_b32_e64 v66, v66, v72, s29
	v_cndmask_b32_e64 v72, v84, v96, s7
	;; [unrolled: 1-line block ×3, first 2 shown]
	v_lshrrev_b32_e32 v98, 16, v92
	v_cndmask_b32_e32 v70, v70, v100, vcc_lo
	v_cndmask_b32_e64 v86, v99, v92, s4
	v_cndmask_b32_e64 v69, v69, v100, s27
	v_lshrrev_b32_e32 v100, 16, v93
	v_cndmask_b32_e64 v72, v72, v89, s9
	v_lshrrev_b32_e32 v99, 16, v89
	v_cndmask_b32_e64 v86, v86, v98, s7
	v_perm_b32 v71, v69, v71, 0x5040100
	v_cndmask_b32_e64 v84, v84, v96, s8
	s_delay_alu instid0(VALU_DEP_3) | instskip(NEXT) | instid1(VALU_DEP_2)
	v_cndmask_b32_e64 v86, v86, v93, s9
	v_cndmask_b32_e64 v84, v84, v89, s11
	s_delay_alu instid0(VALU_DEP_2) | instskip(NEXT) | instid1(VALU_DEP_1)
	v_cndmask_b32_e64 v86, v86, v100, s10
	v_cndmask_b32_e64 v69, v86, v94, s12
	;; [unrolled: 1-line block ×5, first 2 shown]
	s_delay_alu instid0(VALU_DEP_3) | instskip(NEXT) | instid1(VALU_DEP_3)
	v_cndmask_b32_e64 v86, v86, v88, s17
	v_cndmask_b32_e64 v87, v87, v88, s23
	s_delay_alu instid0(VALU_DEP_3) | instskip(NEXT) | instid1(VALU_DEP_3)
	v_cndmask_b32_e64 v88, v95, v92, s23
	v_cndmask_b32_e64 v86, v86, v96, s19
	;; [unrolled: 3-line block ×7, first 2 shown]
	s_delay_alu instid0(VALU_DEP_3) | instskip(SKIP_2) | instid1(VALU_DEP_2)
	v_cndmask_b32_e64 v88, v88, v94, s29
	v_cndmask_b32_e32 v66, v66, v97, vcc_lo
	v_cndmask_b32_e64 v97, v72, v99, s10
	v_perm_b32 v72, v70, v66, 0x5040100
	v_perm_b32 v70, v83, v103, 0x5040100
	v_cndmask_b32_e64 v103, v91, v85, s5
	v_cndmask_b32_e64 v85, v91, v85, s3
	;; [unrolled: 1-line block ×4, first 2 shown]
	v_lshrrev_b32_e32 v97, 16, v90
	v_cndmask_b32_e64 v91, v103, v92, s17
	v_cndmask_b32_e64 v85, v85, v92, s6
	;; [unrolled: 1-line block ×3, first 2 shown]
	s_mov_b32 s3, exec_lo
	v_cndmask_b32_e64 v83, v84, v97, s15
	v_cndmask_b32_e64 v91, v91, v98, s19
	;; [unrolled: 1-line block ×3, first 2 shown]
	v_lshrrev_b32_e32 v84, 16, v94
	v_cndmask_b32_e64 v66, v66, v97, s18
	v_cndmask_b32_e64 v90, v86, v97, s27
	;; [unrolled: 1-line block ×4, first 2 shown]
	v_dual_cndmask_b32 v86, v87, v97 :: v_dual_cndmask_b32 v87, v88, v84
	v_cndmask_b32_e64 v91, v69, v84, s15
	s_delay_alu instid0(VALU_DEP_4) | instskip(NEXT) | instid1(VALU_DEP_4)
	v_cndmask_b32_e64 v89, v89, v100, s22
	v_cndmask_b32_e64 v85, v85, v100, s13
	v_perm_b32 v69, v102, v101, 0x5040100
	v_perm_b32 v86, v87, v86, 0x5040100
	;; [unrolled: 1-line block ×3, first 2 shown]
	v_cndmask_b32_e64 v89, v89, v94, s24
	v_cndmask_b32_e64 v85, v85, v94, s16
	s_mul_i32 s8, s35, 7
	s_delay_alu instid0(VALU_DEP_2) | instskip(NEXT) | instid1(VALU_DEP_2)
	v_cndmask_b32_e64 v88, v89, v84, s27
	v_cndmask_b32_e64 v89, v85, v84, s18
	s_delay_alu instid0(VALU_DEP_2) | instskip(NEXT) | instid1(VALU_DEP_2)
	v_perm_b32 v85, v88, v90, 0x5040100
	v_perm_b32 v84, v89, v66, 0x5040100
	ds_store_b128 v76, v[69:72]
	ds_store_b128 v76, v[83:86] offset:1024
	v_cmpx_gt_u32_e32 7, v0
	s_cbranch_execz .LBB1572_78
; %bb.77:
	s_mul_i32 s4, s8, s30
	s_delay_alu instid0(SALU_CYCLE_1) | instskip(SKIP_1) | instid1(VALU_DEP_1)
	v_add3_u32 v69, s4, s31, v65
	s_load_b128 s[4:7], s[0:1], 0x58
	v_mad_u64_u32 v[65:66], null, v69, s34, s[14:15]
	s_delay_alu instid0(VALU_DEP_1) | instskip(NEXT) | instid1(VALU_DEP_1)
	v_ashrrev_i32_e32 v66, 31, v65
	v_lshlrev_b64 v[65:66], 2, v[65:66]
	s_waitcnt lgkmcnt(0)
	s_delay_alu instid0(VALU_DEP_1) | instskip(NEXT) | instid1(VALU_DEP_2)
	v_add_co_u32 v69, vcc_lo, s6, v65
	v_add_co_ci_u32_e32 v70, vcc_lo, s7, v66, vcc_lo
	v_add_co_u32 v65, vcc_lo, s4, v65
	v_add_co_ci_u32_e32 v66, vcc_lo, s5, v66, vcc_lo
	global_store_b32 v[69:70], v67, off
	global_store_b32 v[65:66], v68, off
.LBB1572_78:
	s_or_b32 exec_lo, exec_lo, s3
	s_waitcnt lgkmcnt(0)
	s_waitcnt_vscnt null, 0x0
	s_barrier
	buffer_gl0_inv
	ds_load_b128 v[83:86], v80
	ds_load_b128 v[87:90], v80 offset:16
	ds_load_b128 v[95:98], v80 offset:2064
	;; [unrolled: 1-line block ×3, first 2 shown]
	v_mov_b32_e32 v65, 0
	ds_load_b128 v[103:106], v80 offset:4112
	ds_load_b128 v[99:102], v80 offset:4096
	;; [unrolled: 1-line block ×4, first 2 shown]
	v_mov_b32_e32 v66, v65
	v_mov_b32_e32 v67, v65
	;; [unrolled: 1-line block ×7, first 2 shown]
	s_waitcnt lgkmcnt(6)
	s_delay_alu instid0(VALU_DEP_1)
	v_wmma_f32_16x16x16_bf16 v[65:72], v[41:48], v[83:90], v[65:72]
	ds_load_b128 v[45:48], v80 offset:8208
	ds_load_b128 v[41:44], v80 offset:8192
	s_waitcnt lgkmcnt(6)
	v_wmma_f32_16x16x16_bf16 v[65:72], v[33:40], v[91:98], v[65:72]
	ds_load_b128 v[37:40], v80 offset:10256
	ds_load_b128 v[33:36], v80 offset:10240
	s_waitcnt lgkmcnt(6)
	;; [unrolled: 4-line block ×4, first 2 shown]
	v_wmma_f32_16x16x16_bf16 v[65:72], v[1:8], v[41:48], v[65:72]
	s_waitcnt lgkmcnt(4)
	s_delay_alu instid0(VALU_DEP_1) | instskip(SKIP_1) | instid1(VALU_DEP_1)
	v_wmma_f32_16x16x16_bf16 v[65:72], v[9:16], v[33:40], v[65:72]
	s_waitcnt lgkmcnt(2)
	v_wmma_f32_16x16x16_bf16 v[65:72], v[57:64], v[25:32], v[65:72]
	s_waitcnt lgkmcnt(0)
	s_delay_alu instid0(VALU_DEP_1) | instskip(NEXT) | instid1(VALU_DEP_1)
	v_wmma_f32_16x16x16_bf16 v[65:72], v[49:56], v[17:24], v[65:72]
	v_and_b32_e32 v1, 0x7f800000, v65
	s_delay_alu instid0(VALU_DEP_1) | instskip(SKIP_1) | instid1(SALU_CYCLE_1)
	v_cmp_ne_u32_e32 vcc_lo, 0x7f800000, v1
                                        ; implicit-def: $vgpr1
	s_and_saveexec_b32 s3, vcc_lo
	s_xor_b32 s3, exec_lo, s3
; %bb.79:
	v_bfe_u32 v1, v65, 16, 1
	s_delay_alu instid0(VALU_DEP_1)
	v_add3_u32 v1, v65, v1, 0x7fff
; %bb.80:
	s_and_not1_saveexec_b32 s3, s3
; %bb.81:
	v_and_b32_e32 v1, 0xffff, v65
	v_or_b32_e32 v2, 0x10000, v65
	s_delay_alu instid0(VALU_DEP_2) | instskip(NEXT) | instid1(VALU_DEP_2)
	v_cmp_eq_u32_e32 vcc_lo, 0, v1
	v_cndmask_b32_e32 v1, v2, v65, vcc_lo
; %bb.82:
	s_or_b32 exec_lo, exec_lo, s3
	v_and_b32_e32 v2, 0x7f800000, v66
	s_delay_alu instid0(VALU_DEP_1) | instskip(SKIP_1) | instid1(SALU_CYCLE_1)
	v_cmp_ne_u32_e32 vcc_lo, 0x7f800000, v2
                                        ; implicit-def: $vgpr2
	s_and_saveexec_b32 s3, vcc_lo
	s_xor_b32 s3, exec_lo, s3
; %bb.83:
	v_bfe_u32 v2, v66, 16, 1
	s_delay_alu instid0(VALU_DEP_1)
	v_add3_u32 v2, v66, v2, 0x7fff
; %bb.84:
	s_and_not1_saveexec_b32 s3, s3
; %bb.85:
	v_and_b32_e32 v2, 0xffff, v66
	v_or_b32_e32 v3, 0x10000, v66
	s_delay_alu instid0(VALU_DEP_2) | instskip(NEXT) | instid1(VALU_DEP_2)
	v_cmp_eq_u32_e32 vcc_lo, 0, v2
	v_cndmask_b32_e32 v2, v3, v66, vcc_lo
; %bb.86:
	s_or_b32 exec_lo, exec_lo, s3
	v_and_b32_e32 v3, 0x7f800000, v67
	s_delay_alu instid0(VALU_DEP_1) | instskip(SKIP_1) | instid1(SALU_CYCLE_1)
	v_cmp_ne_u32_e32 vcc_lo, 0x7f800000, v3
                                        ; implicit-def: $vgpr3
	s_and_saveexec_b32 s3, vcc_lo
	s_xor_b32 s3, exec_lo, s3
; %bb.87:
	v_bfe_u32 v3, v67, 16, 1
	s_delay_alu instid0(VALU_DEP_1)
	v_add3_u32 v3, v67, v3, 0x7fff
; %bb.88:
	s_and_not1_saveexec_b32 s3, s3
; %bb.89:
	v_and_b32_e32 v3, 0xffff, v67
	v_or_b32_e32 v4, 0x10000, v67
	s_delay_alu instid0(VALU_DEP_2) | instskip(NEXT) | instid1(VALU_DEP_2)
	v_cmp_eq_u32_e32 vcc_lo, 0, v3
	v_cndmask_b32_e32 v3, v4, v67, vcc_lo
; %bb.90:
	s_or_b32 exec_lo, exec_lo, s3
	v_and_b32_e32 v4, 0x7f800000, v68
	s_delay_alu instid0(VALU_DEP_1) | instskip(SKIP_1) | instid1(SALU_CYCLE_1)
	v_cmp_ne_u32_e32 vcc_lo, 0x7f800000, v4
                                        ; implicit-def: $vgpr4
	s_and_saveexec_b32 s3, vcc_lo
	s_xor_b32 s3, exec_lo, s3
; %bb.91:
	v_bfe_u32 v4, v68, 16, 1
	s_delay_alu instid0(VALU_DEP_1)
	v_add3_u32 v4, v68, v4, 0x7fff
; %bb.92:
	s_and_not1_saveexec_b32 s3, s3
; %bb.93:
	v_and_b32_e32 v4, 0xffff, v68
	v_or_b32_e32 v5, 0x10000, v68
	s_delay_alu instid0(VALU_DEP_2) | instskip(NEXT) | instid1(VALU_DEP_2)
	v_cmp_eq_u32_e32 vcc_lo, 0, v4
	v_cndmask_b32_e32 v4, v5, v68, vcc_lo
; %bb.94:
	s_or_b32 exec_lo, exec_lo, s3
	v_and_b32_e32 v5, 0x7f800000, v69
	s_delay_alu instid0(VALU_DEP_1) | instskip(SKIP_1) | instid1(SALU_CYCLE_1)
	v_cmp_ne_u32_e32 vcc_lo, 0x7f800000, v5
                                        ; implicit-def: $vgpr5
	s_and_saveexec_b32 s3, vcc_lo
	s_xor_b32 s3, exec_lo, s3
; %bb.95:
	v_bfe_u32 v5, v69, 16, 1
	s_delay_alu instid0(VALU_DEP_1)
	v_add3_u32 v5, v69, v5, 0x7fff
; %bb.96:
	s_and_not1_saveexec_b32 s3, s3
; %bb.97:
	v_and_b32_e32 v5, 0xffff, v69
	v_or_b32_e32 v6, 0x10000, v69
	s_delay_alu instid0(VALU_DEP_2) | instskip(NEXT) | instid1(VALU_DEP_2)
	v_cmp_eq_u32_e32 vcc_lo, 0, v5
	v_cndmask_b32_e32 v5, v6, v69, vcc_lo
; %bb.98:
	s_or_b32 exec_lo, exec_lo, s3
	v_and_b32_e32 v6, 0x7f800000, v70
	s_delay_alu instid0(VALU_DEP_1) | instskip(SKIP_1) | instid1(SALU_CYCLE_1)
	v_cmp_ne_u32_e32 vcc_lo, 0x7f800000, v6
                                        ; implicit-def: $vgpr6
	s_and_saveexec_b32 s3, vcc_lo
	s_xor_b32 s3, exec_lo, s3
; %bb.99:
	v_bfe_u32 v6, v70, 16, 1
	s_delay_alu instid0(VALU_DEP_1)
	v_add3_u32 v6, v70, v6, 0x7fff
; %bb.100:
	s_and_not1_saveexec_b32 s3, s3
; %bb.101:
	v_and_b32_e32 v6, 0xffff, v70
	v_or_b32_e32 v7, 0x10000, v70
	s_delay_alu instid0(VALU_DEP_2) | instskip(NEXT) | instid1(VALU_DEP_2)
	v_cmp_eq_u32_e32 vcc_lo, 0, v6
	v_cndmask_b32_e32 v6, v7, v70, vcc_lo
; %bb.102:
	s_or_b32 exec_lo, exec_lo, s3
	v_and_b32_e32 v7, 0x7f800000, v71
	s_delay_alu instid0(VALU_DEP_1) | instskip(SKIP_1) | instid1(SALU_CYCLE_1)
	v_cmp_ne_u32_e32 vcc_lo, 0x7f800000, v7
                                        ; implicit-def: $vgpr7
	s_and_saveexec_b32 s3, vcc_lo
	s_xor_b32 s3, exec_lo, s3
; %bb.103:
	v_bfe_u32 v7, v71, 16, 1
	s_delay_alu instid0(VALU_DEP_1)
	v_add3_u32 v7, v71, v7, 0x7fff
; %bb.104:
	s_and_not1_saveexec_b32 s3, s3
; %bb.105:
	v_and_b32_e32 v7, 0xffff, v71
	v_or_b32_e32 v8, 0x10000, v71
	s_delay_alu instid0(VALU_DEP_2) | instskip(NEXT) | instid1(VALU_DEP_2)
	v_cmp_eq_u32_e32 vcc_lo, 0, v7
	v_cndmask_b32_e32 v7, v8, v71, vcc_lo
; %bb.106:
	s_or_b32 exec_lo, exec_lo, s3
	v_and_b32_e32 v8, 0x7f800000, v72
	s_delay_alu instid0(VALU_DEP_1) | instskip(SKIP_1) | instid1(SALU_CYCLE_1)
	v_cmp_ne_u32_e32 vcc_lo, 0x7f800000, v8
                                        ; implicit-def: $vgpr8
	s_and_saveexec_b32 s3, vcc_lo
	s_xor_b32 s3, exec_lo, s3
; %bb.107:
	v_bfe_u32 v8, v72, 16, 1
	s_delay_alu instid0(VALU_DEP_1)
	v_add3_u32 v8, v72, v8, 0x7fff
                                        ; implicit-def: $vgpr65_vgpr66_vgpr67_vgpr68_vgpr69_vgpr70_vgpr71_vgpr72
; %bb.108:
	s_and_not1_saveexec_b32 s3, s3
; %bb.109:
	v_and_b32_e32 v8, 0xffff, v72
	v_or_b32_e32 v9, 0x10000, v72
	s_delay_alu instid0(VALU_DEP_2) | instskip(NEXT) | instid1(VALU_DEP_2)
	v_cmp_eq_u32_e32 vcc_lo, 0, v8
	v_cndmask_b32_e32 v8, v9, v72, vcc_lo
; %bb.110:
	s_or_b32 exec_lo, exec_lo, s3
	s_delay_alu instid0(VALU_DEP_1)
	v_perm_b32 v7, v8, v7, 0x7060302
	v_perm_b32 v6, v6, v5, 0x7060302
	;; [unrolled: 1-line block ×4, first 2 shown]
	s_barrier
	buffer_gl0_inv
	v_cmp_eq_u32_e32 vcc_lo, 1, v78
	ds_store_b128 v76, v[4:7]
	s_waitcnt lgkmcnt(0)
	s_barrier
	buffer_gl0_inv
	ds_load_b128 v[1:4], v82
	ds_load_b128 v[5:8], v82 offset:16
	v_cmp_eq_u32_e64 s3, 1, v79
	v_cmp_eq_u32_e64 s4, 2, v78
	v_cmp_eq_u32_e64 s5, 3, v78
	v_cmp_eq_u32_e64 s7, 2, v77
	v_cmp_eq_u32_e64 s6, 7, v79
	s_waitcnt lgkmcnt(1)
	v_lshrrev_b32_e32 v9, 16, v1
	s_waitcnt lgkmcnt(0)
	v_lshrrev_b32_e32 v13, 16, v5
	v_lshrrev_b32_e32 v10, 16, v2
	;; [unrolled: 1-line block ×4, first 2 shown]
	v_cndmask_b32_e64 v19, v1, v9, s3
	v_cndmask_b32_e32 v18, v5, v13, vcc_lo
	v_cndmask_b32_e64 v20, v5, v13, s3
	v_cndmask_b32_e32 v17, v1, v9, vcc_lo
	v_cmp_eq_u32_e32 vcc_lo, 2, v79
	v_lshrrev_b32_e32 v15, 16, v7
	v_cmp_eq_u32_e64 s3, 1, v77
	v_lshrrev_b32_e32 v12, 16, v4
	v_lshrrev_b32_e32 v16, 16, v8
	v_cndmask_b32_e32 v20, v20, v6, vcc_lo
	v_cndmask_b32_e64 v17, v17, v2, s4
	v_cndmask_b32_e32 v19, v19, v2, vcc_lo
	v_cndmask_b32_e64 v18, v18, v6, s4
	v_cmp_eq_u32_e32 vcc_lo, 4, v78
	v_cmp_eq_u32_e64 s4, 3, v79
	v_cndmask_b32_e64 v17, v17, v10, s5
	v_cndmask_b32_e64 v21, v1, v9, s3
	;; [unrolled: 1-line block ×5, first 2 shown]
	v_cndmask_b32_e32 v17, v17, v3, vcc_lo
	v_cndmask_b32_e64 v20, v20, v14, s4
	v_cndmask_b32_e32 v18, v18, v7, vcc_lo
	v_cmp_eq_u32_e32 vcc_lo, 4, v79
	v_cmp_eq_u32_e64 s4, 5, v79
	v_cmp_eq_u32_e64 s3, 2, v81
	v_cndmask_b32_e64 v21, v21, v2, s7
	v_cmp_eq_u32_e64 s5, 5, v78
	v_cndmask_b32_e32 v19, v19, v3, vcc_lo
	v_cndmask_b32_e32 v20, v20, v7, vcc_lo
	v_cmp_eq_u32_e32 vcc_lo, 6, v79
	s_delay_alu instid0(VALU_DEP_4) | instskip(NEXT) | instid1(VALU_DEP_4)
	v_cndmask_b32_e64 v17, v17, v11, s5
	v_cndmask_b32_e64 v19, v19, v11, s4
	s_delay_alu instid0(VALU_DEP_4) | instskip(SKIP_1) | instid1(VALU_DEP_3)
	v_cndmask_b32_e64 v20, v20, v15, s4
	v_cmp_eq_u32_e64 s4, 1, v81
	v_cndmask_b32_e32 v19, v19, v4, vcc_lo
	v_cndmask_b32_e64 v18, v18, v15, s5
	s_delay_alu instid0(VALU_DEP_3)
	v_cndmask_b32_e64 v1, v1, v9, s4
	v_cndmask_b32_e64 v5, v5, v13, s4
	v_cmp_eq_u32_e64 s4, 3, v77
	v_cndmask_b32_e64 v13, v22, v6, s7
	v_cmp_eq_u32_e64 s7, 3, v81
	v_cndmask_b32_e64 v1, v1, v2, s3
	v_cndmask_b32_e64 v2, v5, v6, s3
	;; [unrolled: 1-line block ×3, first 2 shown]
	v_cmp_eq_u32_e64 s3, 4, v77
	v_cndmask_b32_e64 v6, v13, v14, s4
	v_cndmask_b32_e64 v1, v1, v10, s7
	v_cmp_eq_u32_e64 s4, 4, v81
	v_cndmask_b32_e64 v2, v2, v14, s7
	v_cndmask_b32_e64 v5, v9, v3, s3
	;; [unrolled: 3-line block ×3, first 2 shown]
	v_cndmask_b32_e64 v2, v2, v7, s4
	v_cmp_eq_u32_e64 s3, 5, v81
	v_cmp_eq_u32_e64 s5, 6, v78
	v_cndmask_b32_e64 v5, v5, v11, s7
	v_cmp_eq_u32_e64 s4, 6, v77
	v_cndmask_b32_e64 v3, v6, v15, s7
	v_cndmask_b32_e64 v1, v1, v11, s3
	v_cmp_eq_u32_e64 s7, 6, v81
	v_cndmask_b32_e64 v2, v2, v15, s3
	v_cndmask_b32_e64 v17, v17, v4, s5
	v_cndmask_b32_e64 v18, v18, v8, s5
	v_cmp_eq_u32_e64 s5, 7, v78
	v_cndmask_b32_e64 v5, v5, v4, s4
	;; [unrolled: 4-line block ×3, first 2 shown]
	v_cmp_eq_u32_e64 s4, 7, v77
	v_cndmask_b32_e32 v4, v20, v8, vcc_lo
	v_cndmask_b32_e64 v17, v17, v12, s5
	v_cndmask_b32_e64 v19, v19, v12, s6
	;; [unrolled: 1-line block ×8, first 2 shown]
	s_mov_b32 s3, exec_lo
	v_perm_b32 v4, v2, v1, 0x5040100
	v_perm_b32 v3, v3, v5, 0x5040100
	;; [unrolled: 1-line block ×4, first 2 shown]
	ds_store_b128 v76, v[1:4]
	s_waitcnt lgkmcnt(0)
	s_barrier
	buffer_gl0_inv
	v_cmpx_gt_u32_e32 32, v0
	s_cbranch_execz .LBB1572_2
; %bb.111:
	s_load_b64 s[4:5], s[0:1], 0x68
	v_lshlrev_b32_e32 v0, 10, v0
	v_add_nc_u32_e32 v2, s31, v74
	v_lshlrev_b32_e32 v3, 4, v75
	s_lshl_b32 s0, s34, 7
	s_delay_alu instid0(SALU_CYCLE_1) | instskip(NEXT) | instid1(VALU_DEP_2)
	s_mul_i32 s1, s0, s30
	v_mul_lo_u32 v1, v2, s0
	s_delay_alu instid0(VALU_DEP_2)
	v_and_or_b32 v0, 0x3800, v0, v3
	v_add_nc_u32_e32 v3, 2, v2
	s_mul_i32 s6, s1, s8
	v_add_nc_u32_e32 v4, 4, v2
	s_ashr_i32 s7, s6, 31
	v_lshl_or_b32 v11, v74, 6, v0
	s_lshl_b64 s[6:7], s[6:7], 1
	v_mul_lo_u32 v15, v3, s0
	v_mul_lo_u32 v17, v4, s0
	v_ashrrev_i32_e32 v2, 31, v1
	ds_load_b128 v[3:6], v11
	ds_load_b128 v[7:10], v11 offset:128
	ds_load_b128 v[11:14], v11 offset:256
	s_waitcnt lgkmcnt(0)
	s_add_u32 s1, s4, s6
	s_addc_u32 s3, s5, s7
	s_lshl_b32 s4, s14, 7
	v_ashrrev_i32_e32 v16, 31, v15
	s_ashr_i32 s5, s4, 31
	v_lshlrev_b64 v[19:20], 1, v[1:2]
	s_lshl_b64 s[4:5], s[4:5], 1
	v_ashrrev_i32_e32 v18, 31, v17
	s_add_u32 s1, s1, s4
	s_addc_u32 s3, s3, s5
	v_add_co_u32 v1, s1, s1, v73
	s_delay_alu instid0(VALU_DEP_1) | instskip(SKIP_1) | instid1(VALU_DEP_3)
	v_add_co_ci_u32_e64 v2, null, s3, 0, s1
	v_lshlrev_b64 v[15:16], 1, v[15:16]
	v_add_co_u32 v19, vcc_lo, v1, v19
	v_lshlrev_b64 v[17:18], 1, v[17:18]
	s_delay_alu instid0(VALU_DEP_4) | instskip(NEXT) | instid1(VALU_DEP_4)
	v_add_co_ci_u32_e32 v20, vcc_lo, v2, v20, vcc_lo
	v_add_co_u32 v15, vcc_lo, v1, v15
	v_add_co_ci_u32_e32 v16, vcc_lo, v2, v16, vcc_lo
	s_delay_alu instid0(VALU_DEP_4)
	v_add_co_u32 v17, vcc_lo, v1, v17
	v_add_co_ci_u32_e32 v18, vcc_lo, v2, v18, vcc_lo
	s_clause 0x2
	global_store_b128 v[19:20], v[3:6], off
	global_store_b128 v[15:16], v[7:10], off
	;; [unrolled: 1-line block ×3, first 2 shown]
	s_and_b32 exec_lo, exec_lo, s2
	s_cbranch_execz .LBB1572_2
; %bb.112:
	ds_load_b128 v[3:6], v0 offset:384
	s_add_i32 s1, s31, 6
	s_delay_alu instid0(SALU_CYCLE_1) | instskip(NEXT) | instid1(SALU_CYCLE_1)
	s_mul_i32 s0, s1, s0
	s_ashr_i32 s1, s0, 31
	s_delay_alu instid0(SALU_CYCLE_1) | instskip(NEXT) | instid1(SALU_CYCLE_1)
	s_lshl_b64 s[0:1], s[0:1], 1
	v_add_co_u32 v0, vcc_lo, v1, s0
	v_add_co_ci_u32_e32 v1, vcc_lo, s1, v2, vcc_lo
	s_waitcnt lgkmcnt(0)
	global_store_b128 v[0:1], v[3:6], off
	s_nop 0
	s_sendmsg sendmsg(MSG_DEALLOC_VGPRS)
	s_endpgm
	.section	.rodata,"a",@progbits
	.p2align	6, 0x0
	.amdhsa_kernel _Z39paged_attention_ll4mi_QKV_mfma16_kernelI14__hip_bfloat16hLN4vllm18Fp8KVCacheDataTypeE1ES0_Li16ELi128ELi256ELb0ELi7EL8MFMAType1EEvPKT_PKT0_S9_ifPKiSB_SB_iPKfiiiPfSE_PS4_PT2_iSD_SD_
		.amdhsa_group_segment_fixed_size 17472
		.amdhsa_private_segment_fixed_size 0
		.amdhsa_kernarg_size 400
		.amdhsa_user_sgpr_count 13
		.amdhsa_user_sgpr_dispatch_ptr 0
		.amdhsa_user_sgpr_queue_ptr 0
		.amdhsa_user_sgpr_kernarg_segment_ptr 1
		.amdhsa_user_sgpr_dispatch_id 0
		.amdhsa_user_sgpr_private_segment_size 0
		.amdhsa_wavefront_size32 1
		.amdhsa_uses_dynamic_stack 0
		.amdhsa_enable_private_segment 0
		.amdhsa_system_sgpr_workgroup_id_x 1
		.amdhsa_system_sgpr_workgroup_id_y 1
		.amdhsa_system_sgpr_workgroup_id_z 1
		.amdhsa_system_sgpr_workgroup_info 0
		.amdhsa_system_vgpr_workitem_id 0
		.amdhsa_next_free_vgpr 140
		.amdhsa_next_free_sgpr 36
		.amdhsa_reserve_vcc 1
		.amdhsa_float_round_mode_32 0
		.amdhsa_float_round_mode_16_64 0
		.amdhsa_float_denorm_mode_32 3
		.amdhsa_float_denorm_mode_16_64 3
		.amdhsa_dx10_clamp 1
		.amdhsa_ieee_mode 1
		.amdhsa_fp16_overflow 0
		.amdhsa_workgroup_processor_mode 1
		.amdhsa_memory_ordered 1
		.amdhsa_forward_progress 0
		.amdhsa_shared_vgpr_count 0
		.amdhsa_exception_fp_ieee_invalid_op 0
		.amdhsa_exception_fp_denorm_src 0
		.amdhsa_exception_fp_ieee_div_zero 0
		.amdhsa_exception_fp_ieee_overflow 0
		.amdhsa_exception_fp_ieee_underflow 0
		.amdhsa_exception_fp_ieee_inexact 0
		.amdhsa_exception_int_div_zero 0
	.end_amdhsa_kernel
	.section	.text._Z39paged_attention_ll4mi_QKV_mfma16_kernelI14__hip_bfloat16hLN4vllm18Fp8KVCacheDataTypeE1ES0_Li16ELi128ELi256ELb0ELi7EL8MFMAType1EEvPKT_PKT0_S9_ifPKiSB_SB_iPKfiiiPfSE_PS4_PT2_iSD_SD_,"axG",@progbits,_Z39paged_attention_ll4mi_QKV_mfma16_kernelI14__hip_bfloat16hLN4vllm18Fp8KVCacheDataTypeE1ES0_Li16ELi128ELi256ELb0ELi7EL8MFMAType1EEvPKT_PKT0_S9_ifPKiSB_SB_iPKfiiiPfSE_PS4_PT2_iSD_SD_,comdat
.Lfunc_end1572:
	.size	_Z39paged_attention_ll4mi_QKV_mfma16_kernelI14__hip_bfloat16hLN4vllm18Fp8KVCacheDataTypeE1ES0_Li16ELi128ELi256ELb0ELi7EL8MFMAType1EEvPKT_PKT0_S9_ifPKiSB_SB_iPKfiiiPfSE_PS4_PT2_iSD_SD_, .Lfunc_end1572-_Z39paged_attention_ll4mi_QKV_mfma16_kernelI14__hip_bfloat16hLN4vllm18Fp8KVCacheDataTypeE1ES0_Li16ELi128ELi256ELb0ELi7EL8MFMAType1EEvPKT_PKT0_S9_ifPKiSB_SB_iPKfiiiPfSE_PS4_PT2_iSD_SD_
                                        ; -- End function
	.section	.AMDGPU.csdata,"",@progbits
; Kernel info:
; codeLenInByte = 8952
; NumSgprs: 38
; NumVgprs: 140
; ScratchSize: 0
; MemoryBound: 0
; FloatMode: 240
; IeeeMode: 1
; LDSByteSize: 17472 bytes/workgroup (compile time only)
; SGPRBlocks: 4
; VGPRBlocks: 17
; NumSGPRsForWavesPerEU: 38
; NumVGPRsForWavesPerEU: 140
; Occupancy: 10
; WaveLimiterHint : 1
; COMPUTE_PGM_RSRC2:SCRATCH_EN: 0
; COMPUTE_PGM_RSRC2:USER_SGPR: 13
; COMPUTE_PGM_RSRC2:TRAP_HANDLER: 0
; COMPUTE_PGM_RSRC2:TGID_X_EN: 1
; COMPUTE_PGM_RSRC2:TGID_Y_EN: 1
; COMPUTE_PGM_RSRC2:TGID_Z_EN: 1
; COMPUTE_PGM_RSRC2:TIDIG_COMP_CNT: 0
	.section	.text._Z39paged_attention_ll4mi_QKV_mfma16_kernelI14__hip_bfloat16hLN4vllm18Fp8KVCacheDataTypeE1ES0_Li16ELi128ELi256ELb0ELi8EL8MFMAType1EEvPKT_PKT0_S9_ifPKiSB_SB_iPKfiiiPfSE_PS4_PT2_iSD_SD_,"axG",@progbits,_Z39paged_attention_ll4mi_QKV_mfma16_kernelI14__hip_bfloat16hLN4vllm18Fp8KVCacheDataTypeE1ES0_Li16ELi128ELi256ELb0ELi8EL8MFMAType1EEvPKT_PKT0_S9_ifPKiSB_SB_iPKfiiiPfSE_PS4_PT2_iSD_SD_,comdat
	.protected	_Z39paged_attention_ll4mi_QKV_mfma16_kernelI14__hip_bfloat16hLN4vllm18Fp8KVCacheDataTypeE1ES0_Li16ELi128ELi256ELb0ELi8EL8MFMAType1EEvPKT_PKT0_S9_ifPKiSB_SB_iPKfiiiPfSE_PS4_PT2_iSD_SD_ ; -- Begin function _Z39paged_attention_ll4mi_QKV_mfma16_kernelI14__hip_bfloat16hLN4vllm18Fp8KVCacheDataTypeE1ES0_Li16ELi128ELi256ELb0ELi8EL8MFMAType1EEvPKT_PKT0_S9_ifPKiSB_SB_iPKfiiiPfSE_PS4_PT2_iSD_SD_
	.globl	_Z39paged_attention_ll4mi_QKV_mfma16_kernelI14__hip_bfloat16hLN4vllm18Fp8KVCacheDataTypeE1ES0_Li16ELi128ELi256ELb0ELi8EL8MFMAType1EEvPKT_PKT0_S9_ifPKiSB_SB_iPKfiiiPfSE_PS4_PT2_iSD_SD_
	.p2align	8
	.type	_Z39paged_attention_ll4mi_QKV_mfma16_kernelI14__hip_bfloat16hLN4vllm18Fp8KVCacheDataTypeE1ES0_Li16ELi128ELi256ELb0ELi8EL8MFMAType1EEvPKT_PKT0_S9_ifPKiSB_SB_iPKfiiiPfSE_PS4_PT2_iSD_SD_,@function
_Z39paged_attention_ll4mi_QKV_mfma16_kernelI14__hip_bfloat16hLN4vllm18Fp8KVCacheDataTypeE1ES0_Li16ELi128ELi256ELb0ELi8EL8MFMAType1EEvPKT_PKT0_S9_ifPKiSB_SB_iPKfiiiPfSE_PS4_PT2_iSD_SD_: ; @_Z39paged_attention_ll4mi_QKV_mfma16_kernelI14__hip_bfloat16hLN4vllm18Fp8KVCacheDataTypeE1ES0_Li16ELi128ELi256ELb0ELi8EL8MFMAType1EEvPKT_PKT0_S9_ifPKiSB_SB_iPKfiiiPfSE_PS4_PT2_iSD_SD_
; %bb.0:
	s_load_b64 s[4:5], s[0:1], 0x30
	s_mov_b32 s30, s13
	s_waitcnt lgkmcnt(0)
	s_cmp_lg_u64 s[4:5], 0
	s_cselect_b32 s13, -1, 0
	s_ashr_i32 s31, s30, 31
	s_cmp_eq_u64 s[4:5], 0
	s_cbranch_scc1 .LBB1573_3
; %bb.1:
	s_lshl_b64 s[2:3], s[30:31], 2
	s_delay_alu instid0(SALU_CYCLE_1) | instskip(SKIP_4) | instid1(SALU_CYCLE_1)
	s_add_u32 s2, s4, s2
	s_addc_u32 s3, s5, s3
	s_load_b64 s[2:3], s[2:3], 0x0
	s_waitcnt lgkmcnt(0)
	s_sub_i32 s2, s3, s2
	s_cmp_eq_u32 s2, 1
	s_cselect_b32 s2, -1, 0
	s_delay_alu instid0(SALU_CYCLE_1)
	s_and_not1_b32 vcc_lo, exec_lo, s2
	s_cbranch_vccz .LBB1573_4
.LBB1573_2:
	s_endpgm
.LBB1573_3:
.LBB1573_4:
	s_load_b64 s[2:3], s[0:1], 0x28
	s_lshl_b64 s[6:7], s[30:31], 2
	s_waitcnt lgkmcnt(0)
	s_add_u32 s2, s2, s6
	s_addc_u32 s3, s3, s7
	s_lshl_b32 s12, s14, 8
	s_load_b32 s17, s[2:3], 0x0
	s_waitcnt lgkmcnt(0)
	s_cmp_ge_i32 s12, s17
	s_cbranch_scc1 .LBB1573_2
; %bb.5:
	s_clause 0x1
	s_load_b128 s[8:11], s[0:1], 0x8
	s_load_b64 s[2:3], s[0:1], 0x20
	s_and_not1_b32 vcc_lo, exec_lo, s13
	s_cbranch_vccnz .LBB1573_7
; %bb.6:
	s_add_u32 s4, s4, s6
	s_addc_u32 s5, s5, s7
	s_load_b32 s13, s[4:5], 0x0
	s_branch .LBB1573_8
.LBB1573_7:
	s_mov_b32 s13, s30
.LBB1573_8:
	s_load_b128 s[4:7], s[0:1], 0x48
	v_and_b32_e32 v66, 15, v0
	v_lshrrev_b32_e32 v65, 5, v0
	v_and_b32_e32 v67, 31, v0
	v_and_b32_e32 v75, 1, v0
	v_bfe_u32 v74, v0, 4, 1
	v_lshlrev_b32_e32 v1, 3, v66
	s_lshl_b32 s29, s15, 3
	s_waitcnt lgkmcnt(0)
	s_mov_b32 s7, exec_lo
	s_delay_alu instid0(VALU_DEP_1)
	v_lshlrev_b32_e32 v73, 1, v1
	v_cmpx_gt_u32_e32 0x80, v0
	s_cbranch_execz .LBB1573_10
; %bb.9:
	v_lshl_or_b32 v5, v65, 1, v74
	s_load_b64 s[18:19], s[0:1], 0x0
	s_mul_hi_i32 s21, s13, s4
	s_mul_i32 s20, s13, s4
	v_lshlrev_b32_e32 v6, 10, v66
	v_or_b32_e32 v1, s29, v5
	s_lshl_b64 s[20:21], s[20:21], 1
	v_lshlrev_b32_e32 v5, 6, v5
	v_lshlrev_b32_e32 v7, 10, v75
	v_and_b32_e32 v6, 0x3800, v6
	v_lshlrev_b32_e32 v1, 7, v1
	s_delay_alu instid0(VALU_DEP_2) | instskip(NEXT) | instid1(VALU_DEP_2)
	v_or3_b32 v5, v6, v7, v5
	v_ashrrev_i32_e32 v2, 31, v1
	s_delay_alu instid0(VALU_DEP_1) | instskip(SKIP_3) | instid1(VALU_DEP_1)
	v_lshlrev_b64 v[1:2], 1, v[1:2]
	s_waitcnt lgkmcnt(0)
	s_add_u32 s4, s18, s20
	s_addc_u32 s13, s19, s21
	v_add_co_u32 v1, vcc_lo, s4, v1
	s_delay_alu instid0(VALU_DEP_2) | instskip(NEXT) | instid1(VALU_DEP_2)
	v_add_co_ci_u32_e32 v2, vcc_lo, s13, v2, vcc_lo
	v_add_co_u32 v1, vcc_lo, v1, v73
	s_delay_alu instid0(VALU_DEP_2)
	v_add_co_ci_u32_e32 v2, vcc_lo, 0, v2, vcc_lo
	global_load_b128 v[1:4], v[1:2], off
	s_waitcnt vmcnt(0)
	ds_store_b128 v5, v[1:4]
.LBB1573_10:
	s_or_b32 exec_lo, exec_lo, s7
	v_and_b32_e32 v1, 0xef, v0
	s_add_i32 s4, s17, 15
	s_clause 0x1
	s_load_b32 s7, s[0:1], 0x38
	s_load_b32 s18, s[0:1], 0x1c
	s_ashr_i32 s13, s4, 31
	v_add_nc_u32_e32 v1, s12, v1
	s_lshr_b32 s13, s13, 28
	s_waitcnt lgkmcnt(0)
	s_add_i32 s4, s4, s13
	s_barrier
	v_ashrrev_i32_e32 v2, 31, v1
	v_or_b32_e32 v3, 16, v1
	s_ashr_i32 s4, s4, 4
	v_cmp_gt_i32_e32 vcc_lo, s17, v1
	s_add_i32 s4, s4, -1
	v_lshrrev_b32_e32 v2, 28, v2
	buffer_gl0_inv
	s_mul_i32 s15, s15, s6
	v_add_nc_u32_e32 v4, v1, v2
	s_mul_i32 s20, s30, s7
	s_delay_alu instid0(SALU_CYCLE_1) | instskip(NEXT) | instid1(VALU_DEP_1)
	s_ashr_i32 s21, s20, 31
	v_ashrrev_i32_e32 v4, 4, v4
	v_add_nc_u32_e32 v2, v3, v2
	s_lshl_b64 s[20:21], s[20:21], 2
	s_delay_alu instid0(SALU_CYCLE_1) | instskip(NEXT) | instid1(VALU_DEP_2)
	s_add_u32 s13, s2, s20
	v_cndmask_b32_e32 v1, s4, v4, vcc_lo
	s_delay_alu instid0(VALU_DEP_2)
	v_ashrrev_i32_e32 v2, 4, v2
	v_cmp_gt_i32_e32 vcc_lo, s17, v3
	s_addc_u32 s16, s3, s21
	s_ashr_i32 s19, s15, 31
	s_add_u32 s26, s8, s15
	s_addc_u32 s27, s9, s19
	v_cndmask_b32_e32 v3, s4, v2, vcc_lo
	v_ashrrev_i32_e32 v2, 31, v1
	s_lshl_b32 s2, s14, 4
	s_delay_alu instid0(SALU_CYCLE_1) | instskip(NEXT) | instid1(VALU_DEP_2)
	s_ashr_i32 s3, s2, 31
	v_ashrrev_i32_e32 v4, 31, v3
	s_delay_alu instid0(VALU_DEP_2) | instskip(SKIP_1) | instid1(SALU_CYCLE_1)
	v_lshlrev_b64 v[1:2], 2, v[1:2]
	s_lshl_b64 s[2:3], s[2:3], 2
	s_add_u32 s2, s13, s2
	s_delay_alu instid0(VALU_DEP_2) | instskip(SKIP_1) | instid1(VALU_DEP_2)
	v_lshlrev_b64 v[3:4], 2, v[3:4]
	s_addc_u32 s3, s16, s3
	v_add_co_u32 v1, vcc_lo, s13, v1
	v_add_co_ci_u32_e32 v2, vcc_lo, s16, v2, vcc_lo
	s_delay_alu instid0(VALU_DEP_3) | instskip(NEXT) | instid1(VALU_DEP_4)
	v_add_co_u32 v3, vcc_lo, s13, v3
	v_add_co_ci_u32_e32 v4, vcc_lo, s16, v4, vcc_lo
	s_clause 0x1
	global_load_b32 v5, v[1:2], off
	global_load_b32 v3, v[3:4], off
	s_or_b32 s6, s12, 32
	s_delay_alu instid0(SALU_CYCLE_1) | instskip(SKIP_2) | instid1(SALU_CYCLE_1)
	s_ashr_i32 s7, s6, 4
	s_cmp_lt_i32 s6, s17
	s_cselect_b32 s6, s7, s4
	s_ashr_i32 s7, s6, 31
	s_delay_alu instid0(SALU_CYCLE_1) | instskip(NEXT) | instid1(SALU_CYCLE_1)
	s_lshl_b64 s[6:7], s[6:7], 2
	s_add_u32 s6, s13, s6
	s_addc_u32 s7, s16, s7
	s_or_b32 s8, s12, 64
	s_delay_alu instid0(SALU_CYCLE_1) | instskip(SKIP_2) | instid1(SALU_CYCLE_1)
	s_ashr_i32 s9, s8, 4
	s_cmp_lt_i32 s8, s17
	s_cselect_b32 s8, s9, s4
	s_ashr_i32 s9, s8, 31
	s_delay_alu instid0(SALU_CYCLE_1) | instskip(NEXT) | instid1(SALU_CYCLE_1)
	s_lshl_b64 s[8:9], s[8:9], 2
	s_add_u32 s8, s13, s8
	s_addc_u32 s9, s16, s9
	;; [unrolled: 10-line block ×5, first 2 shown]
	s_clause 0x5
	s_load_b32 s28, s[2:3], 0x0
	s_load_b32 s31, s[6:7], 0x0
	;; [unrolled: 1-line block ×6, first 2 shown]
	s_mov_b32 s20, 0
	s_or_b32 s2, s12, 0xc0
	s_mov_b32 s21, s20
	s_mov_b32 s22, s20
	s_mov_b32 s23, s20
	s_mov_b32 s24, s20
	s_mov_b32 s25, s20
	v_lshlrev_b32_e32 v1, 4, v0
	s_ashr_i32 s3, s2, 4
	s_cmp_lt_i32 s2, s17
	s_cselect_b32 s2, s3, s4
	s_delay_alu instid0(VALU_DEP_1) | instskip(SKIP_1) | instid1(SALU_CYCLE_1)
	v_and_b32_e32 v1, 0xf0, v1
	s_ashr_i32 s3, s2, 31
	s_lshl_b64 s[2:3], s[2:3], 2
	s_delay_alu instid0(VALU_DEP_1) | instskip(NEXT) | instid1(VALU_DEP_1)
	v_add_co_u32 v1, s26, s26, v1
	v_add_co_ci_u32_e64 v2, null, s27, 0, s26
	s_add_u32 s2, s13, s2
	s_addc_u32 s3, s16, s3
	s_or_b32 s6, s12, 0xe0
	s_mov_b32 s26, s20
	s_ashr_i32 s7, s6, 4
	s_cmp_lt_i32 s6, s17
	s_mov_b32 s27, s20
	s_cselect_b32 s6, s7, s4
	v_dual_mov_b32 v107, s27 :: v_dual_mov_b32 v100, s20
	s_ashr_i32 s7, s6, 31
	v_mov_b32_e32 v106, s26
	s_lshl_b64 s[6:7], s[6:7], 2
	v_dual_mov_b32 v104, s24 :: v_dual_mov_b32 v103, s23
	v_dual_mov_b32 v102, s22 :: v_dual_mov_b32 v101, s21
	v_mov_b32_e32 v105, s25
	s_waitcnt vmcnt(1)
	v_mad_i64_i32 v[33:34], null, v5, s5, v[1:2]
	s_waitcnt vmcnt(0)
	v_mad_i64_i32 v[35:36], null, v3, s5, v[1:2]
	s_clause 0xf
	global_load_b128 v[1:4], v[33:34], off
	global_load_b128 v[5:8], v[33:34], off offset:256
	global_load_b128 v[9:12], v[35:36], off
	global_load_b128 v[13:16], v[35:36], off offset:256
	global_load_b128 v[17:20], v[33:34], off offset:512
	;; [unrolled: 1-line block ×13, first 2 shown]
	v_and_b32_e32 v33, 7, v0
	v_lshlrev_b32_e32 v34, 4, v66
	s_delay_alu instid0(VALU_DEP_2) | instskip(NEXT) | instid1(VALU_DEP_2)
	v_lshlrev_b32_e32 v72, 6, v33
	v_lshl_or_b32 v41, v65, 8, v34
	ds_load_b128 v[33:36], v72
	ds_load_b128 v[37:40], v72 offset:1024
	ds_load_b128 v[108:111], v72 offset:2048
	ds_load_b128 v[112:115], v72 offset:3072
	s_load_b32 s4, s[2:3], 0x0
	s_add_u32 s2, s13, s6
	s_addc_u32 s3, s16, s7
	ds_load_b128 v[116:119], v72 offset:4096
	ds_load_b128 v[120:123], v72 offset:5120
	s_load_b32 s2, s[2:3], 0x0
	s_add_u32 s6, s10, s15
	s_addc_u32 s7, s11, s19
	v_add_co_u32 v68, s6, s6, v41
	s_delay_alu instid0(VALU_DEP_1) | instskip(SKIP_1) | instid1(VALU_DEP_1)
	v_add_co_ci_u32_e64 v69, null, s7, 0, s6
	s_waitcnt lgkmcnt(0)
	v_mad_i64_i32 v[41:42], null, s28, s5, v[68:69]
	v_mad_i64_i32 v[70:71], null, s8, s5, v[68:69]
	;; [unrolled: 1-line block ×7, first 2 shown]
	s_clause 0x3
	global_load_b128 v[49:52], v[41:42], off
	global_load_b128 v[53:56], v[41:42], off offset:16
	global_load_b128 v[41:44], v[45:46], off
	global_load_b128 v[45:48], v[45:46], off offset:16
	s_waitcnt vmcnt(18)
	v_wmma_f32_16x16x16_bf16 v[124:131], v[1:8], v[33:40], v[100:107]
	s_waitcnt vmcnt(16)
	v_wmma_f32_16x16x16_bf16 v[100:107], v[9:16], v[33:40], v[100:107]
	s_clause 0x1
	global_load_b128 v[33:36], v[70:71], off
	global_load_b128 v[37:40], v[70:71], off offset:16
	v_mad_i64_i32 v[70:71], null, s2, s5, v[68:69]
	s_waitcnt vmcnt(16)
	v_wmma_f32_16x16x16_bf16 v[124:131], v[17:24], v[108:115], v[124:131]
	s_waitcnt vmcnt(14)
	v_wmma_f32_16x16x16_bf16 v[100:107], v[25:32], v[108:115], v[100:107]
	s_clause 0x7
	global_load_b128 v[25:28], v[132:133], off
	global_load_b128 v[29:32], v[132:133], off offset:16
	global_load_b128 v[1:4], v[134:135], off
	global_load_b128 v[5:8], v[134:135], off offset:16
	;; [unrolled: 2-line block ×4, first 2 shown]
	s_waitcnt vmcnt(20)
	v_wmma_f32_16x16x16_bf16 v[124:131], v[57:64], v[116:123], v[124:131]
	s_clause 0x1
	global_load_b128 v[57:60], v[70:71], off
	global_load_b128 v[61:64], v[70:71], off offset:16
	s_waitcnt vmcnt(20)
	v_wmma_f32_16x16x16_bf16 v[100:107], v[76:83], v[116:123], v[100:107]
	ds_load_b128 v[76:79], v72 offset:6144
	ds_load_b128 v[80:83], v72 offset:7168
	v_and_b32_e32 v68, 0xe0, v0
	v_mbcnt_lo_u32_b32 v69, -1, 0
	s_waitcnt vmcnt(0) lgkmcnt(0)
	s_barrier
	buffer_gl0_inv
	v_add_nc_u32_e32 v68, s12, v68
	v_xor_b32_e32 v70, 16, v69
	s_delay_alu instid0(VALU_DEP_2) | instskip(NEXT) | instid1(VALU_DEP_2)
	v_or_b32_e32 v68, v68, v74
	v_cmp_gt_i32_e32 vcc_lo, 32, v70
	s_delay_alu instid0(VALU_DEP_2)
	v_or_b32_e32 v71, 4, v68
	v_or_b32_e32 v72, 6, v68
	v_cmp_gt_i32_e64 s2, s17, v68
	v_or_b32_e32 v108, 8, v68
	v_wmma_f32_16x16x16_bf16 v[124:131], v[84:91], v[76:83], v[124:131]
	v_cndmask_b32_e32 v69, v69, v70, vcc_lo
	v_or_b32_e32 v70, 2, v68
	v_wmma_f32_16x16x16_bf16 v[100:107], v[92:99], v[76:83], v[100:107]
	v_or_b32_e32 v109, 10, v68
	v_dual_mul_f32 v80, s18, v129 :: v_dual_mul_f32 v81, s18, v128
	v_dual_mul_f32 v92, s18, v125 :: v_dual_mul_f32 v93, s18, v124
	s_delay_alu instid0(VALU_DEP_4)
	v_mul_f32_e32 v96, s18, v105
	v_cmp_gt_i32_e32 vcc_lo, s17, v70
	v_or_b32_e32 v89, 22, v68
	v_dual_mul_f32 v79, s18, v130 :: v_dual_mul_f32 v82, s18, v127
	v_dual_mul_f32 v83, s18, v126 :: v_dual_mul_f32 v94, s18, v107
	v_cndmask_b32_e64 v93, 0xff7fffff, v93, s2
	v_cndmask_b32_e32 v92, 0xff7fffff, v92, vcc_lo
	v_cmp_gt_i32_e64 s3, s17, v71
	v_cmp_gt_i32_e64 s4, s17, v72
	v_or_b32_e32 v84, 12, v68
	v_or_b32_e32 v85, 14, v68
	v_cmp_gt_i32_e64 s5, s17, v108
	v_cndmask_b32_e64 v71, 0xff7fffff, v83, s3
	v_cndmask_b32_e64 v72, 0xff7fffff, v82, s4
	v_cmp_gt_i32_e64 s6, s17, v109
	v_cmp_gt_i32_e64 s12, s17, v89
	v_lshlrev_b32_e32 v89, 2, v69
	v_max3_f32 v82, v93, 0xff7fffff, v92
	v_or_b32_e32 v86, 16, v68
	v_or_b32_e32 v87, 18, v68
	v_mul_f32_e32 v78, s18, v131
	v_cndmask_b32_e64 v81, 0xff7fffff, v81, s5
	v_cndmask_b32_e64 v80, 0xff7fffff, v80, s6
	v_max3_f32 v71, v82, v71, v72
	v_cmp_gt_i32_e64 s7, s17, v84
	v_cmp_gt_i32_e64 s8, s17, v85
	v_or_b32_e32 v88, 20, v68
	v_or_b32_e32 v90, 24, v68
	;; [unrolled: 1-line block ×5, first 2 shown]
	v_dual_mul_f32 v97, s18, v104 :: v_dual_mul_f32 v70, s18, v101
	v_dual_mul_f32 v99, s18, v102 :: v_dual_mul_f32 v68, s18, v100
	v_cndmask_b32_e64 v72, 0xff7fffff, v79, s7
	v_cndmask_b32_e64 v78, 0xff7fffff, v78, s8
	v_max3_f32 v71, v71, v81, v80
	v_cmp_gt_i32_e64 s9, s17, v86
	v_cmp_gt_i32_e64 s10, s17, v87
	v_dual_mul_f32 v95, s18, v106 :: v_dual_mul_f32 v98, s18, v103
	s_delay_alu instid0(VALU_DEP_4) | instskip(NEXT) | instid1(VALU_DEP_4)
	v_max3_f32 v71, v71, v72, v78
	v_cndmask_b32_e64 v68, 0xff7fffff, v68, s9
	s_delay_alu instid0(VALU_DEP_4)
	v_cndmask_b32_e64 v70, 0xff7fffff, v70, s10
	v_cmp_gt_i32_e64 s11, s17, v88
	v_cndmask_b32_e64 v78, 0xff7fffff, v98, s12
	v_cmp_gt_i32_e64 s13, s17, v90
	v_cmp_gt_i32_e64 s15, s17, v91
	v_max3_f32 v68, v71, v68, v70
	v_cndmask_b32_e64 v72, 0xff7fffff, v99, s11
	v_cmp_gt_i32_e64 s16, s17, v76
	v_cndmask_b32_e64 v70, 0xff7fffff, v97, s13
	v_cndmask_b32_e64 v71, 0xff7fffff, v96, s15
	v_cmp_gt_i32_e64 s17, s17, v77
	v_max3_f32 v68, v68, v72, v78
	v_cndmask_b32_e64 v72, 0xff7fffff, v95, s16
	s_delay_alu instid0(VALU_DEP_3) | instskip(NEXT) | instid1(VALU_DEP_3)
	v_cndmask_b32_e64 v76, 0xff7fffff, v94, s17
	v_max3_f32 v68, v68, v70, v71
	s_delay_alu instid0(VALU_DEP_1) | instskip(SKIP_3) | instid1(VALU_DEP_1)
	v_max3_f32 v68, v68, v72, v76
	ds_bpermute_b32 v69, v89, v68
	s_waitcnt lgkmcnt(0)
	v_max_f32_e32 v69, v69, v69
	v_max_f32_e32 v68, v68, v69
	s_delay_alu instid0(VALU_DEP_1) | instskip(NEXT) | instid1(VALU_DEP_1)
	v_fma_f32 v71, s18, v126, -v68
	v_mul_f32_e32 v71, 0x3fb8aa3b, v71
	v_fma_f32 v70, s18, v125, -v68
	v_fma_f32 v69, s18, v124, -v68
	;; [unrolled: 1-line block ×5, first 2 shown]
	s_delay_alu instid0(VALU_DEP_4) | instskip(SKIP_1) | instid1(VALU_DEP_3)
	v_dual_mul_f32 v70, 0x3fb8aa3b, v70 :: v_dual_mul_f32 v69, 0x3fb8aa3b, v69
	v_exp_f32_e32 v71, v71
	v_mul_f32_e32 v72, 0x3fb8aa3b, v72
	v_fma_f32 v81, s18, v105, -v68
	s_delay_alu instid0(VALU_DEP_3)
	v_exp_f32_e32 v70, v70
	v_mul_f32_e32 v77, 0x3fb8aa3b, v76
	v_exp_f32_e32 v69, v69
	v_exp_f32_e32 v72, v72
	v_mul_f32_e32 v81, 0x3fb8aa3b, v81
	v_cndmask_b32_e64 v83, 0, v71, s3
	v_fma_f32 v71, s18, v131, -v68
	s_delay_alu instid0(VALU_DEP_3) | instskip(SKIP_4) | instid1(TRANS32_DEP_3)
	v_exp_f32_e32 v81, v81
	v_cndmask_b32_e32 v76, 0, v70, vcc_lo
	v_exp_f32_e32 v77, v77
	v_cndmask_b32_e64 v80, 0, v69, s2
	v_fma_f32 v69, s18, v129, -v68
	v_cndmask_b32_e64 v85, 0, v72, s4
	v_mul_f32_e32 v71, 0x3fb8aa3b, v71
	v_fma_f32 v72, s18, v100, -v68
	s_delay_alu instid0(VALU_DEP_4) | instskip(SKIP_1) | instid1(VALU_DEP_3)
	v_dual_add_f32 v70, 0, v80 :: v_dual_mul_f32 v69, 0x3fb8aa3b, v69
	s_mov_b32 s2, exec_lo
	v_exp_f32_e32 v71, v71
	s_delay_alu instid0(TRANS32_DEP_2) | instskip(SKIP_4) | instid1(VALU_DEP_3)
	v_cndmask_b32_e64 v86, 0, v77, s5
	v_fma_f32 v77, s18, v101, -v68
	v_mul_f32_e32 v78, 0x3fb8aa3b, v78
	v_add_f32_e32 v70, v70, v76
	v_exp_f32_e32 v69, v69
	v_mul_f32_e32 v77, 0x3fb8aa3b, v77
	s_delay_alu instid0(VALU_DEP_3) | instskip(NEXT) | instid1(TRANS32_DEP_3)
	v_exp_f32_e32 v78, v78
	v_cndmask_b32_e64 v88, 0, v71, s8
	v_fma_f32 v71, s18, v104, -v68
	s_delay_alu instid0(VALU_DEP_3) | instskip(NEXT) | instid1(TRANS32_DEP_3)
	v_exp_f32_e32 v77, v77
	v_cndmask_b32_e64 v87, 0, v69, s6
	s_delay_alu instid0(VALU_DEP_2)
	v_mul_f32_e32 v71, 0x3fb8aa3b, v71
	s_waitcnt_depctr 0xfff
	v_cndmask_b32_e64 v84, 0, v78, s7
	v_add_f32_e32 v70, v70, v83
	v_fma_f32 v78, s18, v103, -v68
	v_exp_f32_e32 v82, v71
	s_delay_alu instid0(VALU_DEP_2) | instskip(SKIP_1) | instid1(VALU_DEP_3)
	v_add_f32_e32 v70, v70, v85
	v_mul_f32_e32 v72, 0x3fb8aa3b, v72
	v_mul_f32_e32 v78, 0x3fb8aa3b, v78
	s_delay_alu instid0(VALU_DEP_3) | instskip(SKIP_1) | instid1(VALU_DEP_4)
	v_add_f32_e32 v69, v70, v86
	v_fma_f32 v70, s18, v102, -v68
	v_exp_f32_e32 v72, v72
	s_delay_alu instid0(VALU_DEP_3) | instskip(NEXT) | instid1(VALU_DEP_1)
	v_exp_f32_e32 v78, v78
	v_dual_add_f32 v69, v69, v87 :: v_dual_mul_f32 v70, 0x3fb8aa3b, v70
	s_delay_alu instid0(VALU_DEP_1) | instskip(NEXT) | instid1(VALU_DEP_2)
	v_add_f32_e32 v69, v69, v84
	v_exp_f32_e32 v79, v70
	s_delay_alu instid0(TRANS32_DEP_3) | instskip(NEXT) | instid1(VALU_DEP_2)
	v_cndmask_b32_e64 v70, 0, v72, s9
	v_add_f32_e32 v72, v69, v88
	v_cndmask_b32_e64 v69, 0, v77, s10
	v_fma_f32 v77, s18, v106, -v68
	s_waitcnt_depctr 0xfff
	v_cndmask_b32_e64 v71, 0, v79, s11
	v_dual_mul_f32 v77, 0x3fb8aa3b, v77 :: v_dual_add_f32 v72, v72, v70
	s_delay_alu instid0(VALU_DEP_1) | instskip(NEXT) | instid1(VALU_DEP_1)
	v_exp_f32_e32 v90, v77
	v_add_f32_e32 v79, v72, v69
	v_cndmask_b32_e64 v72, 0, v78, s12
	v_cndmask_b32_e64 v77, 0, v82, s13
	s_delay_alu instid0(VALU_DEP_3) | instskip(SKIP_1) | instid1(VALU_DEP_1)
	v_add_f32_e32 v78, v79, v71
	v_fma_f32 v79, s18, v107, -v68
	v_dual_add_f32 v82, v78, v72 :: v_dual_mul_f32 v79, 0x3fb8aa3b, v79
	v_cndmask_b32_e64 v78, 0, v81, s15
	s_delay_alu instid0(VALU_DEP_2) | instskip(NEXT) | instid1(VALU_DEP_3)
	v_add_f32_e32 v81, v82, v77
	v_exp_f32_e32 v82, v79
	v_cndmask_b32_e64 v79, 0, v90, s16
	s_delay_alu instid0(VALU_DEP_2) | instskip(NEXT) | instid1(VALU_DEP_1)
	v_add_f32_e32 v81, v81, v78
	v_add_f32_e32 v90, v81, v79
	s_waitcnt_depctr 0xfff
	v_cndmask_b32_e64 v81, 0, v82, s17
	s_delay_alu instid0(VALU_DEP_1)
	v_add_f32_e32 v82, v90, v81
	ds_bpermute_b32 v89, v89, v82
	v_cmpx_gt_u32_e32 16, v67
	s_cbranch_execz .LBB1573_12
; %bb.11:
	v_mul_u32_u24_e32 v67, 0x44, v65
	s_delay_alu instid0(VALU_DEP_1) | instskip(SKIP_1) | instid1(VALU_DEP_1)
	v_lshl_add_u32 v67, v66, 2, v67
	s_waitcnt lgkmcnt(0)
	v_dual_add_f32 v82, v82, v89 :: v_dual_add_nc_u32 v67, 0x4000, v67
	ds_store_2addr_b32 v67, v68, v82 offset1:136
.LBB1573_12:
	s_or_b32 exec_lo, exec_lo, s2
	v_lshlrev_b32_e32 v67, 2, v66
	s_waitcnt lgkmcnt(0)
	s_barrier
	buffer_gl0_inv
	v_cmp_eq_u32_e32 vcc_lo, 1, v65
	v_add_nc_u32_e32 v82, 0x4000, v67
	v_cmp_eq_u32_e64 s2, 2, v65
	v_cmp_eq_u32_e64 s4, 7, v65
	ds_load_2addr_b32 v[89:90], v82 offset1:17
	ds_load_2addr_b32 v[91:92], v82 offset0:34 offset1:51
	ds_load_2addr_b32 v[93:94], v82 offset0:68 offset1:85
	;; [unrolled: 1-line block ×4, first 2 shown]
	s_waitcnt lgkmcnt(4)
	v_max3_f32 v67, v89, 0xff7fffff, v90
	s_waitcnt lgkmcnt(3)
	s_delay_alu instid0(VALU_DEP_1) | instskip(SKIP_1) | instid1(VALU_DEP_1)
	v_max3_f32 v67, v67, v91, v92
	s_waitcnt lgkmcnt(2)
	v_max3_f32 v67, v67, v93, v94
	s_waitcnt lgkmcnt(1)
	s_delay_alu instid0(VALU_DEP_1) | instskip(NEXT) | instid1(VALU_DEP_1)
	v_max3_f32 v67, v67, v95, v96
	v_sub_f32_e32 v93, v93, v67
	s_delay_alu instid0(VALU_DEP_1) | instskip(NEXT) | instid1(VALU_DEP_1)
	v_dual_sub_f32 v68, v89, v67 :: v_dual_mul_f32 v103, 0x3fb8aa3b, v93
	v_mul_f32_e32 v68, 0x3fb8aa3b, v68
	s_delay_alu instid0(VALU_DEP_1)
	v_exp_f32_e32 v100, v68
	v_sub_f32_e32 v68, v92, v67
	v_sub_f32_e32 v99, v90, v67
	ds_load_2addr_b32 v[89:90], v82 offset0:170 offset1:187
	v_dual_mul_f32 v102, 0x3fb8aa3b, v68 :: v_dual_mul_f32 v99, 0x3fb8aa3b, v99
	s_waitcnt lgkmcnt(1)
	v_fma_f32 v68, v100, v97, 0
	s_delay_alu instid0(VALU_DEP_2) | instskip(NEXT) | instid1(VALU_DEP_2)
	v_exp_f32_e32 v102, v102
	v_exp_f32_e32 v99, v99
	s_waitcnt_depctr 0xfff
	v_fmac_f32_e32 v68, v99, v98
	v_sub_f32_e32 v91, v91, v67
	s_delay_alu instid0(VALU_DEP_1)
	v_mul_f32_e32 v101, 0x3fb8aa3b, v91
	ds_load_2addr_b32 v[91:92], v82 offset0:204 offset1:221
	v_sub_f32_e32 v97, v94, v67
	ds_load_2addr_b32 v[93:94], v82 offset0:238 offset1:255
	s_waitcnt lgkmcnt(0)
	v_exp_f32_e32 v101, v101
	s_barrier
	buffer_gl0_inv
	v_dual_fmac_f32 v68, v101, v89 :: v_dual_sub_f32 v89, v96, v67
	v_dual_sub_f32 v82, v95, v67 :: v_dual_mul_f32 v95, 0x3fb8aa3b, v97
	v_exp_f32_e32 v97, v103
	s_delay_alu instid0(VALU_DEP_2) | instskip(NEXT) | instid1(VALU_DEP_2)
	v_dual_fmac_f32 v68, v102, v90 :: v_dual_mul_f32 v89, 0x3fb8aa3b, v89
	v_mul_f32_e32 v82, 0x3fb8aa3b, v82
	s_delay_alu instid0(VALU_DEP_3) | instskip(NEXT) | instid1(VALU_DEP_2)
	v_exp_f32_e32 v95, v95
	v_exp_f32_e32 v89, v89
	s_delay_alu instid0(VALU_DEP_1)
	v_exp_f32_e32 v82, v82
	v_fmac_f32_e32 v68, v97, v91
	s_delay_alu instid0(TRANS32_DEP_3) | instid1(VALU_DEP_1)
	v_fmac_f32_e32 v68, v95, v92
	s_waitcnt_depctr 0xfff
	v_fmac_f32_e32 v68, v82, v93
	s_delay_alu instid0(VALU_DEP_1) | instskip(NEXT) | instid1(VALU_DEP_1)
	v_fmac_f32_e32 v68, v89, v94
	v_add_f32_e32 v90, 0x358637bd, v68
	s_delay_alu instid0(VALU_DEP_1) | instskip(NEXT) | instid1(VALU_DEP_1)
	v_div_scale_f32 v91, null, v90, v90, 1.0
	v_rcp_f32_e32 v92, v91
	s_waitcnt_depctr 0xfff
	v_fma_f32 v93, -v91, v92, 1.0
	s_delay_alu instid0(VALU_DEP_1) | instskip(SKIP_1) | instid1(VALU_DEP_2)
	v_dual_fmac_f32 v92, v93, v92 :: v_dual_cndmask_b32 v93, v100, v99
	v_cmp_eq_u32_e32 vcc_lo, 3, v65
	v_cndmask_b32_e64 v93, v93, v101, s2
	v_cmp_eq_u32_e64 s2, 4, v65
	s_delay_alu instid0(VALU_DEP_2) | instskip(SKIP_1) | instid1(VALU_DEP_2)
	v_cndmask_b32_e32 v93, v93, v102, vcc_lo
	v_cmp_eq_u32_e32 vcc_lo, 5, v65
	v_cndmask_b32_e64 v93, v93, v97, s2
	v_cmp_eq_u32_e64 s2, 6, v65
	s_delay_alu instid0(VALU_DEP_2) | instskip(SKIP_1) | instid1(VALU_DEP_1)
	v_cndmask_b32_e32 v93, v93, v95, vcc_lo
	v_div_scale_f32 v94, s3, 1.0, v90, 1.0
	s_mov_b32 vcc_lo, s3
	s_delay_alu instid0(VALU_DEP_2) | instskip(NEXT) | instid1(VALU_DEP_2)
	v_cndmask_b32_e64 v82, v93, v82, s2
	v_mul_f32_e32 v96, v94, v92
	s_mov_b32 s2, exec_lo
	s_delay_alu instid0(VALU_DEP_2) | instskip(NEXT) | instid1(VALU_DEP_2)
	v_cndmask_b32_e64 v82, v82, v89, s4
	v_fma_f32 v98, -v91, v96, v94
	s_delay_alu instid0(VALU_DEP_1) | instskip(NEXT) | instid1(VALU_DEP_1)
	v_fmac_f32_e32 v96, v98, v92
	v_fma_f32 v91, -v91, v96, v94
	s_delay_alu instid0(VALU_DEP_1) | instskip(NEXT) | instid1(VALU_DEP_1)
	v_div_fmas_f32 v91, v91, v92, v96
	v_div_fixup_f32 v90, v91, v90, 1.0
	s_delay_alu instid0(VALU_DEP_1) | instskip(NEXT) | instid1(VALU_DEP_1)
	v_mul_f32_e32 v82, v82, v90
	v_mul_f32_e32 v87, v82, v87
	;; [unrolled: 1-line block ×7, first 2 shown]
	v_dual_mul_f32 v86, v82, v83 :: v_dual_and_b32 v91, 0x7f800000, v90
	v_mul_f32_e32 v85, v82, v76
                                        ; implicit-def: $vgpr76
	s_delay_alu instid0(VALU_DEP_2)
	v_cmpx_ne_u32_e32 0x7f800000, v91
	s_xor_b32 s2, exec_lo, s2
; %bb.13:
	v_bfe_u32 v76, v90, 16, 1
	s_delay_alu instid0(VALU_DEP_1)
	v_add3_u32 v76, v90, v76, 0x7fff
                                        ; implicit-def: $vgpr90
; %bb.14:
	s_and_not1_saveexec_b32 s2, s2
; %bb.15:
	v_and_b32_e32 v76, 0xffff, v90
	v_or_b32_e32 v83, 0x10000, v90
	s_delay_alu instid0(VALU_DEP_2) | instskip(NEXT) | instid1(VALU_DEP_2)
	v_cmp_eq_u32_e32 vcc_lo, 0, v76
	v_cndmask_b32_e32 v76, v83, v90, vcc_lo
; %bb.16:
	s_or_b32 exec_lo, exec_lo, s2
	v_and_b32_e32 v83, 0x7f800000, v85
	s_delay_alu instid0(VALU_DEP_1) | instskip(SKIP_1) | instid1(SALU_CYCLE_1)
	v_cmp_ne_u32_e32 vcc_lo, 0x7f800000, v83
                                        ; implicit-def: $vgpr83
	s_and_saveexec_b32 s2, vcc_lo
	s_xor_b32 s2, exec_lo, s2
; %bb.17:
	v_bfe_u32 v83, v85, 16, 1
	s_delay_alu instid0(VALU_DEP_1)
	v_add3_u32 v83, v85, v83, 0x7fff
                                        ; implicit-def: $vgpr85
; %bb.18:
	s_and_not1_saveexec_b32 s2, s2
; %bb.19:
	v_and_b32_e32 v83, 0xffff, v85
	v_or_b32_e32 v90, 0x10000, v85
	s_delay_alu instid0(VALU_DEP_2) | instskip(NEXT) | instid1(VALU_DEP_2)
	v_cmp_eq_u32_e32 vcc_lo, 0, v83
	v_cndmask_b32_e32 v83, v90, v85, vcc_lo
; %bb.20:
	s_or_b32 exec_lo, exec_lo, s2
	v_and_b32_e32 v85, 0x7f800000, v86
	s_delay_alu instid0(VALU_DEP_1) | instskip(SKIP_1) | instid1(SALU_CYCLE_1)
	v_cmp_ne_u32_e32 vcc_lo, 0x7f800000, v85
                                        ; implicit-def: $vgpr85
	s_and_saveexec_b32 s2, vcc_lo
	s_xor_b32 s2, exec_lo, s2
; %bb.21:
	v_bfe_u32 v85, v86, 16, 1
	s_delay_alu instid0(VALU_DEP_1)
	v_add3_u32 v85, v86, v85, 0x7fff
                                        ; implicit-def: $vgpr86
; %bb.22:
	s_and_not1_saveexec_b32 s2, s2
; %bb.23:
	v_and_b32_e32 v85, 0xffff, v86
	v_or_b32_e32 v90, 0x10000, v86
	s_delay_alu instid0(VALU_DEP_2) | instskip(NEXT) | instid1(VALU_DEP_2)
	v_cmp_eq_u32_e32 vcc_lo, 0, v85
	v_cndmask_b32_e32 v85, v90, v86, vcc_lo
; %bb.24:
	s_or_b32 exec_lo, exec_lo, s2
	v_and_b32_e32 v86, 0x7f800000, v89
	s_delay_alu instid0(VALU_DEP_1) | instskip(SKIP_1) | instid1(SALU_CYCLE_1)
	v_cmp_ne_u32_e32 vcc_lo, 0x7f800000, v86
                                        ; implicit-def: $vgpr86
	s_and_saveexec_b32 s2, vcc_lo
	s_xor_b32 s2, exec_lo, s2
; %bb.25:
	v_bfe_u32 v86, v89, 16, 1
	s_delay_alu instid0(VALU_DEP_1)
	v_add3_u32 v86, v89, v86, 0x7fff
                                        ; implicit-def: $vgpr89
; %bb.26:
	s_and_not1_saveexec_b32 s2, s2
; %bb.27:
	v_and_b32_e32 v86, 0xffff, v89
	v_or_b32_e32 v90, 0x10000, v89
	s_delay_alu instid0(VALU_DEP_2) | instskip(NEXT) | instid1(VALU_DEP_2)
	v_cmp_eq_u32_e32 vcc_lo, 0, v86
	v_cndmask_b32_e32 v86, v90, v89, vcc_lo
; %bb.28:
	s_or_b32 exec_lo, exec_lo, s2
	v_and_b32_e32 v89, 0x7f800000, v88
	s_delay_alu instid0(VALU_DEP_1) | instskip(SKIP_1) | instid1(SALU_CYCLE_1)
	v_cmp_ne_u32_e32 vcc_lo, 0x7f800000, v89
                                        ; implicit-def: $vgpr89
	s_and_saveexec_b32 s2, vcc_lo
	s_xor_b32 s2, exec_lo, s2
; %bb.29:
	v_bfe_u32 v89, v88, 16, 1
	s_delay_alu instid0(VALU_DEP_1)
	v_add3_u32 v89, v88, v89, 0x7fff
                                        ; implicit-def: $vgpr88
; %bb.30:
	s_and_not1_saveexec_b32 s2, s2
; %bb.31:
	v_and_b32_e32 v89, 0xffff, v88
	v_or_b32_e32 v90, 0x10000, v88
	s_delay_alu instid0(VALU_DEP_2) | instskip(NEXT) | instid1(VALU_DEP_2)
	v_cmp_eq_u32_e32 vcc_lo, 0, v89
	v_cndmask_b32_e32 v89, v90, v88, vcc_lo
; %bb.32:
	s_or_b32 exec_lo, exec_lo, s2
	v_and_b32_e32 v88, 0x7f800000, v87
	s_delay_alu instid0(VALU_DEP_1) | instskip(SKIP_1) | instid1(SALU_CYCLE_1)
	v_cmp_ne_u32_e32 vcc_lo, 0x7f800000, v88
                                        ; implicit-def: $vgpr88
	s_and_saveexec_b32 s2, vcc_lo
	s_xor_b32 s2, exec_lo, s2
; %bb.33:
	v_bfe_u32 v88, v87, 16, 1
	s_delay_alu instid0(VALU_DEP_1)
	v_add3_u32 v88, v87, v88, 0x7fff
                                        ; implicit-def: $vgpr87
; %bb.34:
	s_and_not1_saveexec_b32 s2, s2
; %bb.35:
	v_and_b32_e32 v88, 0xffff, v87
	v_or_b32_e32 v90, 0x10000, v87
	s_delay_alu instid0(VALU_DEP_2) | instskip(NEXT) | instid1(VALU_DEP_2)
	v_cmp_eq_u32_e32 vcc_lo, 0, v88
	v_cndmask_b32_e32 v88, v90, v87, vcc_lo
; %bb.36:
	s_or_b32 exec_lo, exec_lo, s2
	v_and_b32_e32 v87, 0x7f800000, v84
	s_delay_alu instid0(VALU_DEP_1) | instskip(SKIP_1) | instid1(SALU_CYCLE_1)
	v_cmp_ne_u32_e32 vcc_lo, 0x7f800000, v87
                                        ; implicit-def: $vgpr87
	s_and_saveexec_b32 s2, vcc_lo
	s_xor_b32 s2, exec_lo, s2
; %bb.37:
	v_bfe_u32 v87, v84, 16, 1
	s_delay_alu instid0(VALU_DEP_1)
	v_add3_u32 v87, v84, v87, 0x7fff
                                        ; implicit-def: $vgpr84
; %bb.38:
	s_and_not1_saveexec_b32 s2, s2
; %bb.39:
	v_and_b32_e32 v87, 0xffff, v84
	v_or_b32_e32 v90, 0x10000, v84
	s_delay_alu instid0(VALU_DEP_2) | instskip(NEXT) | instid1(VALU_DEP_2)
	v_cmp_eq_u32_e32 vcc_lo, 0, v87
	v_cndmask_b32_e32 v87, v90, v84, vcc_lo
; %bb.40:
	s_or_b32 exec_lo, exec_lo, s2
	v_and_b32_e32 v84, 0x7f800000, v80
	s_delay_alu instid0(VALU_DEP_1) | instskip(SKIP_1) | instid1(SALU_CYCLE_1)
	v_cmp_ne_u32_e32 vcc_lo, 0x7f800000, v84
                                        ; implicit-def: $vgpr84
	s_and_saveexec_b32 s2, vcc_lo
	s_xor_b32 s2, exec_lo, s2
; %bb.41:
	v_bfe_u32 v84, v80, 16, 1
	s_delay_alu instid0(VALU_DEP_1)
	v_add3_u32 v84, v80, v84, 0x7fff
                                        ; implicit-def: $vgpr80
; %bb.42:
	s_and_not1_saveexec_b32 s2, s2
; %bb.43:
	v_and_b32_e32 v84, 0xffff, v80
	v_or_b32_e32 v90, 0x10000, v80
	s_delay_alu instid0(VALU_DEP_2) | instskip(NEXT) | instid1(VALU_DEP_2)
	v_cmp_eq_u32_e32 vcc_lo, 0, v84
	v_cndmask_b32_e32 v84, v90, v80, vcc_lo
; %bb.44:
	s_or_b32 exec_lo, exec_lo, s2
	s_load_b64 s[34:35], s[0:1], 0x94
	v_lshlrev_b32_e32 v91, 4, v74
	s_delay_alu instid0(VALU_DEP_2)
	v_perm_b32 v90, v84, v87, 0x7060302
	v_dual_mul_f32 v77, v82, v77 :: v_dual_lshlrev_b32 v80, 6, v66
	v_lshlrev_b32_e32 v66, 11, v65
	v_perm_b32 v87, v83, v76, 0x7060302
	v_mul_f32_e32 v83, v82, v70
	v_perm_b32 v89, v88, v89, 0x7060302
	v_perm_b32 v88, v86, v85, 0x7060302
	v_or3_b32 v76, v91, v66, v80
	v_mul_f32_e32 v66, v82, v81
	v_mul_f32_e32 v70, v82, v79
	;; [unrolled: 1-line block ×3, first 2 shown]
	v_dual_mul_f32 v81, v82, v72 :: v_dual_and_b32 v84, 0x7f800000, v83
	v_mul_f32_e32 v79, v82, v71
	v_mul_f32_e32 v72, v82, v69
	s_mov_b32 s2, exec_lo
	ds_store_b128 v76, v[87:90]
                                        ; implicit-def: $vgpr69
	v_cmpx_ne_u32_e32 0x7f800000, v84
	s_xor_b32 s2, exec_lo, s2
; %bb.45:
	v_bfe_u32 v69, v83, 16, 1
	s_delay_alu instid0(VALU_DEP_1)
	v_add3_u32 v69, v83, v69, 0x7fff
                                        ; implicit-def: $vgpr83
; %bb.46:
	s_and_not1_saveexec_b32 s2, s2
; %bb.47:
	v_and_b32_e32 v69, 0xffff, v83
	v_or_b32_e32 v71, 0x10000, v83
	s_delay_alu instid0(VALU_DEP_2) | instskip(NEXT) | instid1(VALU_DEP_2)
	v_cmp_eq_u32_e32 vcc_lo, 0, v69
	v_cndmask_b32_e32 v69, v71, v83, vcc_lo
; %bb.48:
	s_or_b32 exec_lo, exec_lo, s2
	v_and_b32_e32 v71, 0x7f800000, v72
	s_delay_alu instid0(VALU_DEP_1) | instskip(SKIP_1) | instid1(SALU_CYCLE_1)
	v_cmp_ne_u32_e32 vcc_lo, 0x7f800000, v71
                                        ; implicit-def: $vgpr71
	s_and_saveexec_b32 s2, vcc_lo
	s_xor_b32 s2, exec_lo, s2
; %bb.49:
	v_bfe_u32 v71, v72, 16, 1
	s_delay_alu instid0(VALU_DEP_1)
	v_add3_u32 v71, v72, v71, 0x7fff
                                        ; implicit-def: $vgpr72
; %bb.50:
	s_and_not1_saveexec_b32 s2, s2
; %bb.51:
	v_and_b32_e32 v71, 0xffff, v72
	v_or_b32_e32 v82, 0x10000, v72
	s_delay_alu instid0(VALU_DEP_2) | instskip(NEXT) | instid1(VALU_DEP_2)
	v_cmp_eq_u32_e32 vcc_lo, 0, v71
	v_cndmask_b32_e32 v71, v82, v72, vcc_lo
; %bb.52:
	s_or_b32 exec_lo, exec_lo, s2
	v_and_b32_e32 v72, 0x7f800000, v79
	s_delay_alu instid0(VALU_DEP_1) | instskip(SKIP_1) | instid1(SALU_CYCLE_1)
	v_cmp_ne_u32_e32 vcc_lo, 0x7f800000, v72
                                        ; implicit-def: $vgpr72
	s_and_saveexec_b32 s2, vcc_lo
	s_xor_b32 s2, exec_lo, s2
; %bb.53:
	v_bfe_u32 v72, v79, 16, 1
	s_delay_alu instid0(VALU_DEP_1)
	v_add3_u32 v72, v79, v72, 0x7fff
                                        ; implicit-def: $vgpr79
; %bb.54:
	s_and_not1_saveexec_b32 s2, s2
; %bb.55:
	v_and_b32_e32 v72, 0xffff, v79
	v_or_b32_e32 v82, 0x10000, v79
	s_delay_alu instid0(VALU_DEP_2) | instskip(NEXT) | instid1(VALU_DEP_2)
	v_cmp_eq_u32_e32 vcc_lo, 0, v72
	v_cndmask_b32_e32 v72, v82, v79, vcc_lo
; %bb.56:
	s_or_b32 exec_lo, exec_lo, s2
	v_and_b32_e32 v79, 0x7f800000, v81
	s_delay_alu instid0(VALU_DEP_1) | instskip(SKIP_1) | instid1(SALU_CYCLE_1)
	v_cmp_ne_u32_e32 vcc_lo, 0x7f800000, v79
                                        ; implicit-def: $vgpr79
	s_and_saveexec_b32 s2, vcc_lo
	s_xor_b32 s2, exec_lo, s2
; %bb.57:
	v_bfe_u32 v79, v81, 16, 1
	s_delay_alu instid0(VALU_DEP_1)
	v_add3_u32 v79, v81, v79, 0x7fff
                                        ; implicit-def: $vgpr81
; %bb.58:
	s_and_not1_saveexec_b32 s2, s2
; %bb.59:
	v_and_b32_e32 v79, 0xffff, v81
	v_or_b32_e32 v82, 0x10000, v81
	s_delay_alu instid0(VALU_DEP_2) | instskip(NEXT) | instid1(VALU_DEP_2)
	v_cmp_eq_u32_e32 vcc_lo, 0, v79
	v_cndmask_b32_e32 v79, v82, v81, vcc_lo
; %bb.60:
	s_or_b32 exec_lo, exec_lo, s2
	v_and_b32_e32 v81, 0x7f800000, v77
	s_delay_alu instid0(VALU_DEP_1) | instskip(SKIP_1) | instid1(SALU_CYCLE_1)
	v_cmp_ne_u32_e32 vcc_lo, 0x7f800000, v81
                                        ; implicit-def: $vgpr81
	s_and_saveexec_b32 s2, vcc_lo
	s_xor_b32 s2, exec_lo, s2
; %bb.61:
	v_bfe_u32 v81, v77, 16, 1
	s_delay_alu instid0(VALU_DEP_1)
	v_add3_u32 v81, v77, v81, 0x7fff
                                        ; implicit-def: $vgpr77
; %bb.62:
	s_and_not1_saveexec_b32 s2, s2
; %bb.63:
	v_and_b32_e32 v81, 0xffff, v77
	v_or_b32_e32 v82, 0x10000, v77
	s_delay_alu instid0(VALU_DEP_2) | instskip(NEXT) | instid1(VALU_DEP_2)
	v_cmp_eq_u32_e32 vcc_lo, 0, v81
	v_cndmask_b32_e32 v81, v82, v77, vcc_lo
; %bb.64:
	s_or_b32 exec_lo, exec_lo, s2
	v_and_b32_e32 v77, 0x7f800000, v78
	s_delay_alu instid0(VALU_DEP_1) | instskip(SKIP_1) | instid1(SALU_CYCLE_1)
	v_cmp_ne_u32_e32 vcc_lo, 0x7f800000, v77
                                        ; implicit-def: $vgpr77
	s_and_saveexec_b32 s2, vcc_lo
	s_xor_b32 s2, exec_lo, s2
; %bb.65:
	v_bfe_u32 v77, v78, 16, 1
	s_delay_alu instid0(VALU_DEP_1)
	v_add3_u32 v77, v78, v77, 0x7fff
                                        ; implicit-def: $vgpr78
; %bb.66:
	s_and_not1_saveexec_b32 s2, s2
; %bb.67:
	v_and_b32_e32 v77, 0xffff, v78
	v_or_b32_e32 v82, 0x10000, v78
	s_delay_alu instid0(VALU_DEP_2) | instskip(NEXT) | instid1(VALU_DEP_2)
	v_cmp_eq_u32_e32 vcc_lo, 0, v77
	v_cndmask_b32_e32 v77, v82, v78, vcc_lo
; %bb.68:
	s_or_b32 exec_lo, exec_lo, s2
	v_and_b32_e32 v78, 0x7f800000, v70
	s_delay_alu instid0(VALU_DEP_1) | instskip(SKIP_1) | instid1(SALU_CYCLE_1)
	v_cmp_ne_u32_e32 vcc_lo, 0x7f800000, v78
                                        ; implicit-def: $vgpr78
	s_and_saveexec_b32 s2, vcc_lo
	s_xor_b32 s2, exec_lo, s2
; %bb.69:
	v_bfe_u32 v78, v70, 16, 1
	s_delay_alu instid0(VALU_DEP_1)
	v_add3_u32 v78, v70, v78, 0x7fff
                                        ; implicit-def: $vgpr70
; %bb.70:
	s_and_not1_saveexec_b32 s2, s2
; %bb.71:
	v_and_b32_e32 v78, 0xffff, v70
	v_or_b32_e32 v82, 0x10000, v70
	s_delay_alu instid0(VALU_DEP_2) | instskip(NEXT) | instid1(VALU_DEP_2)
	v_cmp_eq_u32_e32 vcc_lo, 0, v78
	v_cndmask_b32_e32 v78, v82, v70, vcc_lo
; %bb.72:
	s_or_b32 exec_lo, exec_lo, s2
	v_and_b32_e32 v70, 0x7f800000, v66
	s_delay_alu instid0(VALU_DEP_1) | instskip(SKIP_1) | instid1(SALU_CYCLE_1)
	v_cmp_ne_u32_e32 vcc_lo, 0x7f800000, v70
                                        ; implicit-def: $vgpr70
	s_and_saveexec_b32 s2, vcc_lo
	s_xor_b32 s2, exec_lo, s2
; %bb.73:
	v_bfe_u32 v70, v66, 16, 1
	s_delay_alu instid0(VALU_DEP_1)
	v_add3_u32 v70, v66, v70, 0x7fff
                                        ; implicit-def: $vgpr66
; %bb.74:
	s_and_not1_saveexec_b32 s2, s2
; %bb.75:
	v_and_b32_e32 v70, 0xffff, v66
	v_or_b32_e32 v82, 0x10000, v66
	s_delay_alu instid0(VALU_DEP_2) | instskip(NEXT) | instid1(VALU_DEP_2)
	v_cmp_eq_u32_e32 vcc_lo, 0, v70
	v_cndmask_b32_e32 v70, v82, v66, vcc_lo
; %bb.76:
	s_or_b32 exec_lo, exec_lo, s2
	s_delay_alu instid0(VALU_DEP_1)
	v_perm_b32 v86, v70, v78, 0x7060302
	v_perm_b32 v85, v77, v81, 0x7060302
	;; [unrolled: 1-line block ×4, first 2 shown]
	v_lshl_or_b32 v82, v65, 11, v80
	ds_store_b128 v76, v[83:86] offset:1024
	s_waitcnt lgkmcnt(0)
	s_barrier
	buffer_gl0_inv
	ds_load_b128 v[69:72], v82
	ds_load_b128 v[83:86], v82 offset:16
	s_waitcnt lgkmcnt(1)
	v_lshrrev_b32_e32 v65, 16, v69
	v_lshlrev_b32_e32 v78, 2, v74
	s_waitcnt lgkmcnt(0)
	v_lshrrev_b32_e32 v91, 16, v83
	v_lshrrev_b32_e32 v66, 16, v70
	;; [unrolled: 1-line block ×4, first 2 shown]
	v_cmp_eq_u32_e32 vcc_lo, 1, v78
	v_lshrrev_b32_e32 v98, 16, v85
	v_lshrrev_b32_e32 v96, 16, v72
	;; [unrolled: 1-line block ×3, first 2 shown]
	v_cndmask_b32_e32 v81, v69, v65, vcc_lo
	v_or_b32_e32 v79, 1, v78
	v_cmp_eq_u32_e64 s3, 2, v78
	v_cndmask_b32_e32 v87, v83, v91, vcc_lo
	v_cmp_eq_u32_e64 s6, 3, v78
	v_cmp_eq_u32_e64 s8, 4, v78
	;; [unrolled: 1-line block ×3, first 2 shown]
	v_cndmask_b32_e64 v81, v81, v70, s3
	v_cmp_eq_u32_e64 s5, 2, v79
	v_cndmask_b32_e64 v87, v87, v84, s3
	v_cmp_eq_u32_e64 s7, 3, v79
	v_cndmask_b32_e64 v88, v69, v65, s2
	v_cndmask_b32_e64 v81, v81, v66, s6
	v_or_b32_e32 v77, 2, v78
	v_cndmask_b32_e64 v87, v87, v97, s6
	v_cndmask_b32_e64 v89, v83, v91, s2
	;; [unrolled: 1-line block ×4, first 2 shown]
	v_cmp_eq_u32_e64 s9, 5, v78
	v_cndmask_b32_e64 v87, v87, v85, s8
	v_cmp_eq_u32_e64 s10, 4, v79
	v_cndmask_b32_e64 v88, v88, v66, s7
	;; [unrolled: 2-line block ×3, first 2 shown]
	v_cndmask_b32_e64 v81, v81, v95, s9
	v_cmp_eq_u32_e64 s11, 6, v78
	v_cndmask_b32_e64 v88, v88, v71, s10
	v_cndmask_b32_e64 v87, v87, v98, s9
	v_cmp_eq_u32_e64 s12, 5, v79
	v_cndmask_b32_e64 v90, v69, v65, s4
	v_cndmask_b32_e64 v89, v89, v97, s7
	;; [unrolled: 1-line block ×3, first 2 shown]
	v_cmp_eq_u32_e64 s13, 7, v78
	v_cndmask_b32_e64 v88, v88, v95, s12
	v_cndmask_b32_e64 v87, v87, v86, s11
	v_cmp_eq_u32_e64 s15, 6, v79
	v_cmp_eq_u32_e64 s16, 2, v77
	v_cndmask_b32_e64 v89, v89, v85, s10
	v_cndmask_b32_e64 v100, v81, v96, s13
	;; [unrolled: 1-line block ×6, first 2 shown]
	v_cmp_eq_u32_e64 s17, 7, v79
	v_cmp_eq_u32_e64 s18, 3, v77
	;; [unrolled: 1-line block ×4, first 2 shown]
	v_cndmask_b32_e64 v87, v87, v84, s16
	v_cndmask_b32_e64 v102, v88, v96, s17
	;; [unrolled: 1-line block ×4, first 2 shown]
	v_or_b32_e32 v81, 3, v78
	v_cndmask_b32_e64 v93, v87, v97, s18
	v_cmp_eq_u32_e64 s23, 6, v77
	v_cndmask_b32_e64 v103, v88, v86, s15
	v_cndmask_b32_e64 v92, v89, v71, s19
	v_cmp_eq_u32_e64 s20, 1, v81
	ds_load_b128 v[87:90], v82 offset:1024
	v_cmp_eq_u32_e64 s22, 2, v81
	v_cmp_eq_u32_e64 s24, 3, v81
	v_cndmask_b32_e64 v104, v92, v95, s21
	v_cndmask_b32_e64 v65, v69, v65, s20
	;; [unrolled: 1-line block ×4, first 2 shown]
	ds_load_b128 v[91:94], v82 offset:1040
	v_cmp_eq_u32_e64 s25, 4, v81
	v_cndmask_b32_e64 v65, v65, v70, s22
	v_cmp_eq_u32_e64 s27, 5, v81
	v_cndmask_b32_e64 v70, v83, v84, s22
	;; [unrolled: 2-line block ×3, first 2 shown]
	v_cndmask_b32_e64 v65, v65, v66, s24
	v_cndmask_b32_e64 v66, v104, v72, s23
	;; [unrolled: 1-line block ×3, first 2 shown]
	v_cmp_eq_u32_e64 s26, 7, v77
	v_cndmask_b32_e64 v69, v69, v86, s23
	v_cndmask_b32_e64 v65, v65, v71, s25
	s_waitcnt lgkmcnt(1)
	v_lshrrev_b32_e32 v84, 16, v87
	v_cndmask_b32_e64 v70, v70, v85, s25
	v_cndmask_b32_e64 v83, v103, v99, s17
	;; [unrolled: 1-line block ×4, first 2 shown]
	v_lshrrev_b32_e32 v95, 16, v88
	v_cndmask_b32_e64 v70, v70, v98, s27
	s_waitcnt lgkmcnt(0)
	v_lshrrev_b32_e32 v85, 16, v91
	v_cndmask_b32_e64 v97, v87, v84, s2
	v_cndmask_b32_e64 v65, v65, v72, s28
	;; [unrolled: 1-line block ×4, first 2 shown]
	v_cndmask_b32_e32 v71, v87, v84, vcc_lo
	v_cndmask_b32_e32 v98, v91, v85, vcc_lo
	v_cmp_eq_u32_e32 vcc_lo, 7, v81
	v_cndmask_b32_e64 v72, v97, v88, s5
	v_lshrrev_b32_e32 v97, 16, v92
	v_lshrrev_b32_e32 v103, 16, v90
	v_dual_cndmask_b32 v65, v65, v96 :: v_dual_cndmask_b32 v70, v70, v99
	v_cndmask_b32_e64 v71, v71, v88, s3
	v_cndmask_b32_e64 v86, v98, v92, s3
	;; [unrolled: 1-line block ×3, first 2 shown]
	v_lshrrev_b32_e32 v98, 16, v89
	v_lshrrev_b32_e32 v99, 16, v93
	v_cndmask_b32_e64 v71, v71, v95, s6
	v_cndmask_b32_e64 v86, v86, v97, s6
	;; [unrolled: 1-line block ×3, first 2 shown]
	v_perm_b32 v72, v70, v65, 0x5040100
	v_perm_b32 v70, v83, v102, 0x5040100
	v_cndmask_b32_e64 v71, v71, v89, s8
	v_cndmask_b32_e64 v86, v86, v93, s8
	v_cndmask_b32_e64 v65, v96, v98, s12
	v_lshrrev_b32_e32 v83, 16, v94
	s_delay_alu instid0(VALU_DEP_4) | instskip(NEXT) | instid1(VALU_DEP_4)
	v_cndmask_b32_e64 v71, v71, v98, s9
	v_cndmask_b32_e64 v86, v86, v99, s9
	s_delay_alu instid0(VALU_DEP_4) | instskip(NEXT) | instid1(VALU_DEP_3)
	v_cndmask_b32_e64 v65, v65, v90, s15
	v_cndmask_b32_e64 v96, v71, v90, s11
	v_perm_b32 v71, v69, v66, 0x5040100
	s_delay_alu instid0(VALU_DEP_4)
	v_cndmask_b32_e64 v69, v86, v94, s11
	v_cndmask_b32_e64 v86, v87, v84, s4
	;; [unrolled: 1-line block ×34, first 2 shown]
	v_cndmask_b32_e32 v84, v84, v103, vcc_lo
	v_cndmask_b32_e32 v86, v87, v83, vcc_lo
	v_cndmask_b32_e64 v87, v88, v83, s26
	v_cndmask_b32_e64 v88, v85, v83, s17
	;; [unrolled: 1-line block ×3, first 2 shown]
	v_perm_b32 v69, v101, v100, 0x5040100
	v_perm_b32 v86, v86, v84, 0x5040100
	;; [unrolled: 1-line block ×5, first 2 shown]
	s_lshl_b32 s7, s35, 3
	s_mov_b32 s2, exec_lo
	ds_store_b128 v76, v[69:72]
	ds_store_b128 v76, v[83:86] offset:1024
	v_cmpx_gt_u32_e32 8, v0
	s_cbranch_execz .LBB1573_78
; %bb.77:
	v_or_b32_e32 v65, s29, v0
	s_load_b128 s[8:11], s[0:1], 0x58
	s_delay_alu instid0(VALU_DEP_1) | instskip(NEXT) | instid1(VALU_DEP_1)
	v_mad_u64_u32 v[69:70], null, s7, s30, v[65:66]
	v_mad_u64_u32 v[65:66], null, v69, s34, s[14:15]
	s_delay_alu instid0(VALU_DEP_1) | instskip(NEXT) | instid1(VALU_DEP_1)
	v_ashrrev_i32_e32 v66, 31, v65
	v_lshlrev_b64 v[65:66], 2, v[65:66]
	s_waitcnt lgkmcnt(0)
	s_delay_alu instid0(VALU_DEP_1) | instskip(NEXT) | instid1(VALU_DEP_2)
	v_add_co_u32 v69, vcc_lo, s10, v65
	v_add_co_ci_u32_e32 v70, vcc_lo, s11, v66, vcc_lo
	v_add_co_u32 v65, vcc_lo, s8, v65
	v_add_co_ci_u32_e32 v66, vcc_lo, s9, v66, vcc_lo
	global_store_b32 v[69:70], v67, off
	global_store_b32 v[65:66], v68, off
.LBB1573_78:
	s_or_b32 exec_lo, exec_lo, s2
	s_waitcnt lgkmcnt(0)
	s_waitcnt_vscnt null, 0x0
	s_barrier
	buffer_gl0_inv
	ds_load_b128 v[83:86], v80
	ds_load_b128 v[87:90], v80 offset:16
	ds_load_b128 v[95:98], v80 offset:2064
	;; [unrolled: 1-line block ×3, first 2 shown]
	v_mov_b32_e32 v65, 0
	ds_load_b128 v[103:106], v80 offset:4112
	ds_load_b128 v[99:102], v80 offset:4096
	;; [unrolled: 1-line block ×4, first 2 shown]
	v_mov_b32_e32 v66, v65
	v_mov_b32_e32 v67, v65
	;; [unrolled: 1-line block ×7, first 2 shown]
	s_waitcnt lgkmcnt(6)
	s_delay_alu instid0(VALU_DEP_1)
	v_wmma_f32_16x16x16_bf16 v[65:72], v[49:56], v[83:90], v[65:72]
	ds_load_b128 v[53:56], v80 offset:8208
	ds_load_b128 v[49:52], v80 offset:8192
	s_waitcnt lgkmcnt(6)
	v_wmma_f32_16x16x16_bf16 v[65:72], v[41:48], v[91:98], v[65:72]
	ds_load_b128 v[45:48], v80 offset:10256
	ds_load_b128 v[41:44], v80 offset:10240
	s_waitcnt lgkmcnt(6)
	;; [unrolled: 4-line block ×4, first 2 shown]
	v_wmma_f32_16x16x16_bf16 v[65:72], v[1:8], v[49:56], v[65:72]
	s_waitcnt lgkmcnt(4)
	s_delay_alu instid0(VALU_DEP_1) | instskip(SKIP_1) | instid1(VALU_DEP_1)
	v_wmma_f32_16x16x16_bf16 v[65:72], v[9:16], v[41:48], v[65:72]
	s_waitcnt lgkmcnt(2)
	v_wmma_f32_16x16x16_bf16 v[65:72], v[17:24], v[33:40], v[65:72]
	s_waitcnt lgkmcnt(0)
	s_delay_alu instid0(VALU_DEP_1) | instskip(NEXT) | instid1(VALU_DEP_1)
	v_wmma_f32_16x16x16_bf16 v[65:72], v[57:64], v[25:32], v[65:72]
	v_and_b32_e32 v1, 0x7f800000, v65
	s_delay_alu instid0(VALU_DEP_1) | instskip(SKIP_1) | instid1(SALU_CYCLE_1)
	v_cmp_ne_u32_e32 vcc_lo, 0x7f800000, v1
                                        ; implicit-def: $vgpr1
	s_and_saveexec_b32 s2, vcc_lo
	s_xor_b32 s2, exec_lo, s2
; %bb.79:
	v_bfe_u32 v1, v65, 16, 1
	s_delay_alu instid0(VALU_DEP_1)
	v_add3_u32 v1, v65, v1, 0x7fff
; %bb.80:
	s_and_not1_saveexec_b32 s2, s2
; %bb.81:
	v_and_b32_e32 v1, 0xffff, v65
	v_or_b32_e32 v2, 0x10000, v65
	s_delay_alu instid0(VALU_DEP_2) | instskip(NEXT) | instid1(VALU_DEP_2)
	v_cmp_eq_u32_e32 vcc_lo, 0, v1
	v_cndmask_b32_e32 v1, v2, v65, vcc_lo
; %bb.82:
	s_or_b32 exec_lo, exec_lo, s2
	v_and_b32_e32 v2, 0x7f800000, v66
	s_delay_alu instid0(VALU_DEP_1) | instskip(SKIP_1) | instid1(SALU_CYCLE_1)
	v_cmp_ne_u32_e32 vcc_lo, 0x7f800000, v2
                                        ; implicit-def: $vgpr2
	s_and_saveexec_b32 s2, vcc_lo
	s_xor_b32 s2, exec_lo, s2
; %bb.83:
	v_bfe_u32 v2, v66, 16, 1
	s_delay_alu instid0(VALU_DEP_1)
	v_add3_u32 v2, v66, v2, 0x7fff
; %bb.84:
	s_and_not1_saveexec_b32 s2, s2
; %bb.85:
	v_and_b32_e32 v2, 0xffff, v66
	v_or_b32_e32 v3, 0x10000, v66
	s_delay_alu instid0(VALU_DEP_2) | instskip(NEXT) | instid1(VALU_DEP_2)
	v_cmp_eq_u32_e32 vcc_lo, 0, v2
	v_cndmask_b32_e32 v2, v3, v66, vcc_lo
; %bb.86:
	s_or_b32 exec_lo, exec_lo, s2
	v_and_b32_e32 v3, 0x7f800000, v67
	s_delay_alu instid0(VALU_DEP_1) | instskip(SKIP_1) | instid1(SALU_CYCLE_1)
	v_cmp_ne_u32_e32 vcc_lo, 0x7f800000, v3
                                        ; implicit-def: $vgpr3
	s_and_saveexec_b32 s2, vcc_lo
	s_xor_b32 s2, exec_lo, s2
; %bb.87:
	v_bfe_u32 v3, v67, 16, 1
	s_delay_alu instid0(VALU_DEP_1)
	v_add3_u32 v3, v67, v3, 0x7fff
; %bb.88:
	s_and_not1_saveexec_b32 s2, s2
; %bb.89:
	v_and_b32_e32 v3, 0xffff, v67
	v_or_b32_e32 v4, 0x10000, v67
	s_delay_alu instid0(VALU_DEP_2) | instskip(NEXT) | instid1(VALU_DEP_2)
	v_cmp_eq_u32_e32 vcc_lo, 0, v3
	v_cndmask_b32_e32 v3, v4, v67, vcc_lo
; %bb.90:
	s_or_b32 exec_lo, exec_lo, s2
	v_and_b32_e32 v4, 0x7f800000, v68
	s_delay_alu instid0(VALU_DEP_1) | instskip(SKIP_1) | instid1(SALU_CYCLE_1)
	v_cmp_ne_u32_e32 vcc_lo, 0x7f800000, v4
                                        ; implicit-def: $vgpr4
	s_and_saveexec_b32 s2, vcc_lo
	s_xor_b32 s2, exec_lo, s2
; %bb.91:
	v_bfe_u32 v4, v68, 16, 1
	s_delay_alu instid0(VALU_DEP_1)
	v_add3_u32 v4, v68, v4, 0x7fff
; %bb.92:
	s_and_not1_saveexec_b32 s2, s2
; %bb.93:
	v_and_b32_e32 v4, 0xffff, v68
	v_or_b32_e32 v5, 0x10000, v68
	s_delay_alu instid0(VALU_DEP_2) | instskip(NEXT) | instid1(VALU_DEP_2)
	v_cmp_eq_u32_e32 vcc_lo, 0, v4
	v_cndmask_b32_e32 v4, v5, v68, vcc_lo
; %bb.94:
	s_or_b32 exec_lo, exec_lo, s2
	v_and_b32_e32 v5, 0x7f800000, v69
	s_delay_alu instid0(VALU_DEP_1) | instskip(SKIP_1) | instid1(SALU_CYCLE_1)
	v_cmp_ne_u32_e32 vcc_lo, 0x7f800000, v5
                                        ; implicit-def: $vgpr5
	s_and_saveexec_b32 s2, vcc_lo
	s_xor_b32 s2, exec_lo, s2
; %bb.95:
	v_bfe_u32 v5, v69, 16, 1
	s_delay_alu instid0(VALU_DEP_1)
	v_add3_u32 v5, v69, v5, 0x7fff
; %bb.96:
	s_and_not1_saveexec_b32 s2, s2
; %bb.97:
	v_and_b32_e32 v5, 0xffff, v69
	v_or_b32_e32 v6, 0x10000, v69
	s_delay_alu instid0(VALU_DEP_2) | instskip(NEXT) | instid1(VALU_DEP_2)
	v_cmp_eq_u32_e32 vcc_lo, 0, v5
	v_cndmask_b32_e32 v5, v6, v69, vcc_lo
; %bb.98:
	s_or_b32 exec_lo, exec_lo, s2
	v_and_b32_e32 v6, 0x7f800000, v70
	s_delay_alu instid0(VALU_DEP_1) | instskip(SKIP_1) | instid1(SALU_CYCLE_1)
	v_cmp_ne_u32_e32 vcc_lo, 0x7f800000, v6
                                        ; implicit-def: $vgpr6
	s_and_saveexec_b32 s2, vcc_lo
	s_xor_b32 s2, exec_lo, s2
; %bb.99:
	v_bfe_u32 v6, v70, 16, 1
	s_delay_alu instid0(VALU_DEP_1)
	v_add3_u32 v6, v70, v6, 0x7fff
; %bb.100:
	s_and_not1_saveexec_b32 s2, s2
; %bb.101:
	v_and_b32_e32 v6, 0xffff, v70
	v_or_b32_e32 v7, 0x10000, v70
	s_delay_alu instid0(VALU_DEP_2) | instskip(NEXT) | instid1(VALU_DEP_2)
	v_cmp_eq_u32_e32 vcc_lo, 0, v6
	v_cndmask_b32_e32 v6, v7, v70, vcc_lo
; %bb.102:
	s_or_b32 exec_lo, exec_lo, s2
	v_and_b32_e32 v7, 0x7f800000, v71
	s_delay_alu instid0(VALU_DEP_1) | instskip(SKIP_1) | instid1(SALU_CYCLE_1)
	v_cmp_ne_u32_e32 vcc_lo, 0x7f800000, v7
                                        ; implicit-def: $vgpr7
	s_and_saveexec_b32 s2, vcc_lo
	s_xor_b32 s2, exec_lo, s2
; %bb.103:
	v_bfe_u32 v7, v71, 16, 1
	s_delay_alu instid0(VALU_DEP_1)
	v_add3_u32 v7, v71, v7, 0x7fff
; %bb.104:
	s_and_not1_saveexec_b32 s2, s2
; %bb.105:
	v_and_b32_e32 v7, 0xffff, v71
	v_or_b32_e32 v8, 0x10000, v71
	s_delay_alu instid0(VALU_DEP_2) | instskip(NEXT) | instid1(VALU_DEP_2)
	v_cmp_eq_u32_e32 vcc_lo, 0, v7
	v_cndmask_b32_e32 v7, v8, v71, vcc_lo
; %bb.106:
	s_or_b32 exec_lo, exec_lo, s2
	v_and_b32_e32 v8, 0x7f800000, v72
	s_delay_alu instid0(VALU_DEP_1) | instskip(SKIP_1) | instid1(SALU_CYCLE_1)
	v_cmp_ne_u32_e32 vcc_lo, 0x7f800000, v8
                                        ; implicit-def: $vgpr8
	s_and_saveexec_b32 s2, vcc_lo
	s_xor_b32 s2, exec_lo, s2
; %bb.107:
	v_bfe_u32 v8, v72, 16, 1
	s_delay_alu instid0(VALU_DEP_1)
	v_add3_u32 v8, v72, v8, 0x7fff
                                        ; implicit-def: $vgpr65_vgpr66_vgpr67_vgpr68_vgpr69_vgpr70_vgpr71_vgpr72
; %bb.108:
	s_and_not1_saveexec_b32 s2, s2
; %bb.109:
	v_and_b32_e32 v8, 0xffff, v72
	v_or_b32_e32 v9, 0x10000, v72
	s_delay_alu instid0(VALU_DEP_2) | instskip(NEXT) | instid1(VALU_DEP_2)
	v_cmp_eq_u32_e32 vcc_lo, 0, v8
	v_cndmask_b32_e32 v8, v9, v72, vcc_lo
; %bb.110:
	s_or_b32 exec_lo, exec_lo, s2
	s_delay_alu instid0(VALU_DEP_1)
	v_perm_b32 v7, v8, v7, 0x7060302
	v_perm_b32 v6, v6, v5, 0x7060302
	;; [unrolled: 1-line block ×4, first 2 shown]
	s_barrier
	buffer_gl0_inv
	v_cmp_eq_u32_e32 vcc_lo, 1, v78
	ds_store_b128 v76, v[4:7]
	s_waitcnt lgkmcnt(0)
	s_barrier
	buffer_gl0_inv
	ds_load_b128 v[1:4], v82
	ds_load_b128 v[5:8], v82 offset:16
	v_cmp_eq_u32_e64 s2, 1, v79
	v_cmp_eq_u32_e64 s3, 2, v78
	;; [unrolled: 1-line block ×5, first 2 shown]
	s_waitcnt lgkmcnt(1)
	v_lshrrev_b32_e32 v9, 16, v1
	s_waitcnt lgkmcnt(0)
	v_lshrrev_b32_e32 v13, 16, v5
	v_lshrrev_b32_e32 v10, 16, v2
	;; [unrolled: 1-line block ×4, first 2 shown]
	v_cndmask_b32_e64 v19, v1, v9, s2
	v_cndmask_b32_e32 v18, v5, v13, vcc_lo
	v_cndmask_b32_e64 v20, v5, v13, s2
	v_cndmask_b32_e32 v17, v1, v9, vcc_lo
	v_cmp_eq_u32_e32 vcc_lo, 2, v79
	v_lshrrev_b32_e32 v15, 16, v7
	v_cmp_eq_u32_e64 s2, 1, v77
	v_lshrrev_b32_e32 v12, 16, v4
	v_lshrrev_b32_e32 v16, 16, v8
	v_cndmask_b32_e32 v20, v20, v6, vcc_lo
	v_cndmask_b32_e64 v17, v17, v2, s3
	v_cndmask_b32_e32 v19, v19, v2, vcc_lo
	v_cndmask_b32_e64 v18, v18, v6, s3
	v_cmp_eq_u32_e32 vcc_lo, 4, v78
	v_cmp_eq_u32_e64 s3, 3, v79
	v_cndmask_b32_e64 v17, v17, v10, s4
	v_cndmask_b32_e64 v21, v1, v9, s2
	;; [unrolled: 1-line block ×5, first 2 shown]
	v_cndmask_b32_e32 v17, v17, v3, vcc_lo
	v_cndmask_b32_e64 v20, v20, v14, s3
	v_cndmask_b32_e32 v18, v18, v7, vcc_lo
	v_cmp_eq_u32_e32 vcc_lo, 4, v79
	v_cmp_eq_u32_e64 s3, 5, v79
	v_cmp_eq_u32_e64 s2, 2, v81
	v_cndmask_b32_e64 v21, v21, v2, s6
	v_cmp_eq_u32_e64 s4, 5, v78
	v_cndmask_b32_e32 v19, v19, v3, vcc_lo
	v_cndmask_b32_e32 v20, v20, v7, vcc_lo
	v_cmp_eq_u32_e32 vcc_lo, 6, v79
	s_delay_alu instid0(VALU_DEP_4) | instskip(NEXT) | instid1(VALU_DEP_4)
	v_cndmask_b32_e64 v17, v17, v11, s4
	v_cndmask_b32_e64 v19, v19, v11, s3
	s_delay_alu instid0(VALU_DEP_4) | instskip(SKIP_1) | instid1(VALU_DEP_3)
	v_cndmask_b32_e64 v20, v20, v15, s3
	v_cmp_eq_u32_e64 s3, 1, v81
	v_cndmask_b32_e32 v19, v19, v4, vcc_lo
	v_cndmask_b32_e64 v18, v18, v15, s4
	s_delay_alu instid0(VALU_DEP_3)
	v_cndmask_b32_e64 v1, v1, v9, s3
	v_cndmask_b32_e64 v5, v5, v13, s3
	v_cmp_eq_u32_e64 s3, 3, v77
	v_cndmask_b32_e64 v13, v22, v6, s6
	v_cmp_eq_u32_e64 s6, 3, v81
	v_cndmask_b32_e64 v1, v1, v2, s2
	v_cndmask_b32_e64 v2, v5, v6, s2
	v_cndmask_b32_e64 v9, v21, v10, s3
	v_cmp_eq_u32_e64 s2, 4, v77
	v_cndmask_b32_e64 v6, v13, v14, s3
	v_cndmask_b32_e64 v1, v1, v10, s6
	v_cmp_eq_u32_e64 s3, 4, v81
	v_cndmask_b32_e64 v2, v2, v14, s6
	v_cndmask_b32_e64 v5, v9, v3, s2
	;; [unrolled: 3-line block ×3, first 2 shown]
	v_cndmask_b32_e64 v2, v2, v7, s3
	v_cmp_eq_u32_e64 s2, 5, v81
	v_cmp_eq_u32_e64 s4, 6, v78
	v_cndmask_b32_e64 v5, v5, v11, s6
	v_cmp_eq_u32_e64 s3, 6, v77
	v_cndmask_b32_e64 v3, v6, v15, s6
	v_cndmask_b32_e64 v1, v1, v11, s2
	v_cmp_eq_u32_e64 s6, 6, v81
	v_cndmask_b32_e64 v2, v2, v15, s2
	v_cndmask_b32_e64 v17, v17, v4, s4
	v_cndmask_b32_e64 v18, v18, v8, s4
	v_cmp_eq_u32_e64 s4, 7, v78
	v_cndmask_b32_e64 v5, v5, v4, s3
	;; [unrolled: 4-line block ×3, first 2 shown]
	v_cmp_eq_u32_e64 s3, 7, v77
	v_cndmask_b32_e32 v4, v20, v8, vcc_lo
	v_cndmask_b32_e64 v17, v17, v12, s4
	v_cndmask_b32_e64 v19, v19, v12, s5
	;; [unrolled: 1-line block ×8, first 2 shown]
	s_mov_b32 s2, exec_lo
	v_perm_b32 v4, v2, v1, 0x5040100
	v_perm_b32 v3, v3, v5, 0x5040100
	v_perm_b32 v2, v6, v19, 0x5040100
	v_perm_b32 v1, v7, v17, 0x5040100
	ds_store_b128 v76, v[1:4]
	s_waitcnt lgkmcnt(0)
	s_barrier
	buffer_gl0_inv
	v_cmpx_gt_u32_e32 32, v0
	s_cbranch_execz .LBB1573_2
; %bb.111:
	s_load_b64 s[0:1], s[0:1], 0x68
	s_lshl_b32 s4, s34, 7
	v_or_b32_e32 v2, s29, v74
	s_mul_i32 s2, s4, s30
	v_lshlrev_b32_e32 v1, 10, v0
	s_mul_i32 s2, s2, s7
	v_lshlrev_b32_e32 v3, 4, v75
	v_mul_lo_u32 v0, v2, s4
	s_ashr_i32 s3, s2, 31
	v_lshlrev_b32_e32 v4, 6, v74
	v_and_b32_e32 v1, 0x3800, v1
	v_or_b32_e32 v5, 2, v2
	s_lshl_b64 s[2:3], s[2:3], 1
	v_or_b32_e32 v6, 4, v2
	v_or_b32_e32 v7, 6, v2
	v_or3_b32 v12, v1, v3, v4
	v_ashrrev_i32_e32 v1, 31, v0
	v_mul_lo_u32 v2, v5, s4
	v_mul_lo_u32 v16, v6, s4
	;; [unrolled: 1-line block ×3, first 2 shown]
	s_waitcnt lgkmcnt(0)
	s_add_u32 s2, s0, s2
	s_addc_u32 s3, s1, s3
	s_lshl_b32 s0, s14, 7
	v_lshlrev_b64 v[0:1], 1, v[0:1]
	s_ashr_i32 s1, s0, 31
	v_ashrrev_i32_e32 v3, 31, v2
	s_lshl_b64 s[0:1], s[0:1], 1
	v_ashrrev_i32_e32 v17, 31, v16
	s_add_u32 s0, s2, s0
	s_addc_u32 s1, s3, s1
	v_add_co_u32 v24, s0, s0, v73
	s_delay_alu instid0(VALU_DEP_1) | instskip(SKIP_1) | instid1(VALU_DEP_3)
	v_add_co_ci_u32_e64 v25, null, s1, 0, s0
	v_lshlrev_b64 v[22:23], 1, v[2:3]
	v_add_co_u32 v18, vcc_lo, v24, v0
	s_delay_alu instid0(VALU_DEP_3)
	v_add_co_ci_u32_e32 v19, vcc_lo, v25, v1, vcc_lo
	ds_load_b128 v[0:3], v12
	ds_load_b128 v[4:7], v12 offset:128
	ds_load_b128 v[8:11], v12 offset:256
	;; [unrolled: 1-line block ×3, first 2 shown]
	v_ashrrev_i32_e32 v21, 31, v20
	v_lshlrev_b64 v[16:17], 1, v[16:17]
	v_add_co_u32 v22, vcc_lo, v24, v22
	v_add_co_ci_u32_e32 v23, vcc_lo, v25, v23, vcc_lo
	s_delay_alu instid0(VALU_DEP_4) | instskip(NEXT) | instid1(VALU_DEP_4)
	v_lshlrev_b64 v[20:21], 1, v[20:21]
	v_add_co_u32 v16, vcc_lo, v24, v16
	v_add_co_ci_u32_e32 v17, vcc_lo, v25, v17, vcc_lo
	s_delay_alu instid0(VALU_DEP_3) | instskip(NEXT) | instid1(VALU_DEP_4)
	v_add_co_u32 v20, vcc_lo, v24, v20
	v_add_co_ci_u32_e32 v21, vcc_lo, v25, v21, vcc_lo
	s_waitcnt lgkmcnt(3)
	global_store_b128 v[18:19], v[0:3], off
	s_waitcnt lgkmcnt(2)
	global_store_b128 v[22:23], v[4:7], off
	;; [unrolled: 2-line block ×4, first 2 shown]
	s_nop 0
	s_sendmsg sendmsg(MSG_DEALLOC_VGPRS)
	s_endpgm
	.section	.rodata,"a",@progbits
	.p2align	6, 0x0
	.amdhsa_kernel _Z39paged_attention_ll4mi_QKV_mfma16_kernelI14__hip_bfloat16hLN4vllm18Fp8KVCacheDataTypeE1ES0_Li16ELi128ELi256ELb0ELi8EL8MFMAType1EEvPKT_PKT0_S9_ifPKiSB_SB_iPKfiiiPfSE_PS4_PT2_iSD_SD_
		.amdhsa_group_segment_fixed_size 17472
		.amdhsa_private_segment_fixed_size 0
		.amdhsa_kernarg_size 400
		.amdhsa_user_sgpr_count 13
		.amdhsa_user_sgpr_dispatch_ptr 0
		.amdhsa_user_sgpr_queue_ptr 0
		.amdhsa_user_sgpr_kernarg_segment_ptr 1
		.amdhsa_user_sgpr_dispatch_id 0
		.amdhsa_user_sgpr_private_segment_size 0
		.amdhsa_wavefront_size32 1
		.amdhsa_uses_dynamic_stack 0
		.amdhsa_enable_private_segment 0
		.amdhsa_system_sgpr_workgroup_id_x 1
		.amdhsa_system_sgpr_workgroup_id_y 1
		.amdhsa_system_sgpr_workgroup_id_z 1
		.amdhsa_system_sgpr_workgroup_info 0
		.amdhsa_system_vgpr_workitem_id 0
		.amdhsa_next_free_vgpr 140
		.amdhsa_next_free_sgpr 36
		.amdhsa_reserve_vcc 1
		.amdhsa_float_round_mode_32 0
		.amdhsa_float_round_mode_16_64 0
		.amdhsa_float_denorm_mode_32 3
		.amdhsa_float_denorm_mode_16_64 3
		.amdhsa_dx10_clamp 1
		.amdhsa_ieee_mode 1
		.amdhsa_fp16_overflow 0
		.amdhsa_workgroup_processor_mode 1
		.amdhsa_memory_ordered 1
		.amdhsa_forward_progress 0
		.amdhsa_shared_vgpr_count 0
		.amdhsa_exception_fp_ieee_invalid_op 0
		.amdhsa_exception_fp_denorm_src 0
		.amdhsa_exception_fp_ieee_div_zero 0
		.amdhsa_exception_fp_ieee_overflow 0
		.amdhsa_exception_fp_ieee_underflow 0
		.amdhsa_exception_fp_ieee_inexact 0
		.amdhsa_exception_int_div_zero 0
	.end_amdhsa_kernel
	.section	.text._Z39paged_attention_ll4mi_QKV_mfma16_kernelI14__hip_bfloat16hLN4vllm18Fp8KVCacheDataTypeE1ES0_Li16ELi128ELi256ELb0ELi8EL8MFMAType1EEvPKT_PKT0_S9_ifPKiSB_SB_iPKfiiiPfSE_PS4_PT2_iSD_SD_,"axG",@progbits,_Z39paged_attention_ll4mi_QKV_mfma16_kernelI14__hip_bfloat16hLN4vllm18Fp8KVCacheDataTypeE1ES0_Li16ELi128ELi256ELb0ELi8EL8MFMAType1EEvPKT_PKT0_S9_ifPKiSB_SB_iPKfiiiPfSE_PS4_PT2_iSD_SD_,comdat
.Lfunc_end1573:
	.size	_Z39paged_attention_ll4mi_QKV_mfma16_kernelI14__hip_bfloat16hLN4vllm18Fp8KVCacheDataTypeE1ES0_Li16ELi128ELi256ELb0ELi8EL8MFMAType1EEvPKT_PKT0_S9_ifPKiSB_SB_iPKfiiiPfSE_PS4_PT2_iSD_SD_, .Lfunc_end1573-_Z39paged_attention_ll4mi_QKV_mfma16_kernelI14__hip_bfloat16hLN4vllm18Fp8KVCacheDataTypeE1ES0_Li16ELi128ELi256ELb0ELi8EL8MFMAType1EEvPKT_PKT0_S9_ifPKiSB_SB_iPKfiiiPfSE_PS4_PT2_iSD_SD_
                                        ; -- End function
	.section	.AMDGPU.csdata,"",@progbits
; Kernel info:
; codeLenInByte = 8852
; NumSgprs: 38
; NumVgprs: 140
; ScratchSize: 0
; MemoryBound: 0
; FloatMode: 240
; IeeeMode: 1
; LDSByteSize: 17472 bytes/workgroup (compile time only)
; SGPRBlocks: 4
; VGPRBlocks: 17
; NumSGPRsForWavesPerEU: 38
; NumVGPRsForWavesPerEU: 140
; Occupancy: 10
; WaveLimiterHint : 1
; COMPUTE_PGM_RSRC2:SCRATCH_EN: 0
; COMPUTE_PGM_RSRC2:USER_SGPR: 13
; COMPUTE_PGM_RSRC2:TRAP_HANDLER: 0
; COMPUTE_PGM_RSRC2:TGID_X_EN: 1
; COMPUTE_PGM_RSRC2:TGID_Y_EN: 1
; COMPUTE_PGM_RSRC2:TGID_Z_EN: 1
; COMPUTE_PGM_RSRC2:TIDIG_COMP_CNT: 0
	.section	.text._Z39paged_attention_ll4mi_QKV_mfma16_kernelI14__hip_bfloat16hLN4vllm18Fp8KVCacheDataTypeE1ES0_Li16ELi128ELi256ELb0ELi9EL8MFMAType1EEvPKT_PKT0_S9_ifPKiSB_SB_iPKfiiiPfSE_PS4_PT2_iSD_SD_,"axG",@progbits,_Z39paged_attention_ll4mi_QKV_mfma16_kernelI14__hip_bfloat16hLN4vllm18Fp8KVCacheDataTypeE1ES0_Li16ELi128ELi256ELb0ELi9EL8MFMAType1EEvPKT_PKT0_S9_ifPKiSB_SB_iPKfiiiPfSE_PS4_PT2_iSD_SD_,comdat
	.protected	_Z39paged_attention_ll4mi_QKV_mfma16_kernelI14__hip_bfloat16hLN4vllm18Fp8KVCacheDataTypeE1ES0_Li16ELi128ELi256ELb0ELi9EL8MFMAType1EEvPKT_PKT0_S9_ifPKiSB_SB_iPKfiiiPfSE_PS4_PT2_iSD_SD_ ; -- Begin function _Z39paged_attention_ll4mi_QKV_mfma16_kernelI14__hip_bfloat16hLN4vllm18Fp8KVCacheDataTypeE1ES0_Li16ELi128ELi256ELb0ELi9EL8MFMAType1EEvPKT_PKT0_S9_ifPKiSB_SB_iPKfiiiPfSE_PS4_PT2_iSD_SD_
	.globl	_Z39paged_attention_ll4mi_QKV_mfma16_kernelI14__hip_bfloat16hLN4vllm18Fp8KVCacheDataTypeE1ES0_Li16ELi128ELi256ELb0ELi9EL8MFMAType1EEvPKT_PKT0_S9_ifPKiSB_SB_iPKfiiiPfSE_PS4_PT2_iSD_SD_
	.p2align	8
	.type	_Z39paged_attention_ll4mi_QKV_mfma16_kernelI14__hip_bfloat16hLN4vllm18Fp8KVCacheDataTypeE1ES0_Li16ELi128ELi256ELb0ELi9EL8MFMAType1EEvPKT_PKT0_S9_ifPKiSB_SB_iPKfiiiPfSE_PS4_PT2_iSD_SD_,@function
_Z39paged_attention_ll4mi_QKV_mfma16_kernelI14__hip_bfloat16hLN4vllm18Fp8KVCacheDataTypeE1ES0_Li16ELi128ELi256ELb0ELi9EL8MFMAType1EEvPKT_PKT0_S9_ifPKiSB_SB_iPKfiiiPfSE_PS4_PT2_iSD_SD_: ; @_Z39paged_attention_ll4mi_QKV_mfma16_kernelI14__hip_bfloat16hLN4vllm18Fp8KVCacheDataTypeE1ES0_Li16ELi128ELi256ELb0ELi9EL8MFMAType1EEvPKT_PKT0_S9_ifPKiSB_SB_iPKfiiiPfSE_PS4_PT2_iSD_SD_
; %bb.0:
	s_load_b64 s[4:5], s[0:1], 0x30
	s_mov_b32 s30, s13
	s_waitcnt lgkmcnt(0)
	s_cmp_lg_u64 s[4:5], 0
	s_cselect_b32 s13, -1, 0
	s_ashr_i32 s31, s30, 31
	s_cmp_eq_u64 s[4:5], 0
	s_cbranch_scc1 .LBB1574_3
; %bb.1:
	s_lshl_b64 s[2:3], s[30:31], 2
	s_delay_alu instid0(SALU_CYCLE_1) | instskip(SKIP_4) | instid1(SALU_CYCLE_1)
	s_add_u32 s2, s4, s2
	s_addc_u32 s3, s5, s3
	s_load_b64 s[2:3], s[2:3], 0x0
	s_waitcnt lgkmcnt(0)
	s_sub_i32 s2, s3, s2
	s_cmp_eq_u32 s2, 1
	s_cselect_b32 s2, -1, 0
	s_delay_alu instid0(SALU_CYCLE_1)
	s_and_not1_b32 vcc_lo, exec_lo, s2
	s_cbranch_vccz .LBB1574_4
.LBB1574_2:
	s_nop 0
	s_sendmsg sendmsg(MSG_DEALLOC_VGPRS)
	s_endpgm
.LBB1574_3:
.LBB1574_4:
	s_load_b64 s[2:3], s[0:1], 0x28
	s_lshl_b64 s[6:7], s[30:31], 2
	s_waitcnt lgkmcnt(0)
	s_add_u32 s2, s2, s6
	s_addc_u32 s3, s3, s7
	s_lshl_b32 s12, s14, 8
	s_load_b32 s17, s[2:3], 0x0
	s_waitcnt lgkmcnt(0)
	s_cmp_ge_i32 s12, s17
	s_cbranch_scc1 .LBB1574_2
; %bb.5:
	s_clause 0x1
	s_load_b128 s[8:11], s[0:1], 0x8
	s_load_b64 s[2:3], s[0:1], 0x20
	s_and_not1_b32 vcc_lo, exec_lo, s13
	s_cbranch_vccnz .LBB1574_7
; %bb.6:
	s_add_u32 s4, s4, s6
	s_addc_u32 s5, s5, s7
	s_load_b32 s13, s[4:5], 0x0
	s_branch .LBB1574_8
.LBB1574_7:
	s_mov_b32 s13, s30
.LBB1574_8:
	s_load_b128 s[4:7], s[0:1], 0x48
	v_and_b32_e32 v65, 15, v0
	v_lshrrev_b32_e32 v66, 5, v0
	v_bfe_u32 v74, v0, 4, 1
	v_and_b32_e32 v67, 31, v0
	v_and_b32_e32 v75, 1, v0
	v_lshlrev_b32_e32 v2, 3, v65
	s_mul_i32 s31, s15, 9
	v_lshl_or_b32 v1, v66, 1, v74
	s_waitcnt lgkmcnt(0)
	s_mov_b32 s7, exec_lo
	v_lshlrev_b32_e32 v73, 1, v2
	s_delay_alu instid0(VALU_DEP_2)
	v_cmpx_gt_u32_e32 9, v1
	s_cbranch_execz .LBB1574_10
; %bb.9:
	s_load_b64 s[18:19], s[0:1], 0x0
	v_add_lshl_u32 v2, v1, s31, 7
	s_mul_hi_i32 s21, s13, s4
	s_mul_i32 s20, s13, s4
	v_lshlrev_b32_e32 v6, 10, v65
	s_lshl_b64 s[20:21], s[20:21], 1
	v_ashrrev_i32_e32 v3, 31, v2
	v_lshlrev_b32_e32 v1, 6, v1
	v_lshlrev_b32_e32 v7, 10, v75
	v_and_b32_e32 v6, 0x3800, v6
	s_delay_alu instid0(VALU_DEP_4) | instskip(NEXT) | instid1(VALU_DEP_2)
	v_lshlrev_b64 v[2:3], 1, v[2:3]
	v_or3_b32 v1, v6, v7, v1
	s_waitcnt lgkmcnt(0)
	s_add_u32 s4, s18, s20
	s_addc_u32 s13, s19, s21
	s_delay_alu instid0(VALU_DEP_2) | instskip(SKIP_1) | instid1(VALU_DEP_2)
	v_add_co_u32 v2, vcc_lo, s4, v2
	v_add_co_ci_u32_e32 v3, vcc_lo, s13, v3, vcc_lo
	v_add_co_u32 v2, vcc_lo, v2, v73
	s_delay_alu instid0(VALU_DEP_2)
	v_add_co_ci_u32_e32 v3, vcc_lo, 0, v3, vcc_lo
	global_load_b128 v[2:5], v[2:3], off
	s_waitcnt vmcnt(0)
	ds_store_b128 v1, v[2:5]
.LBB1574_10:
	s_or_b32 exec_lo, exec_lo, s7
	v_and_b32_e32 v1, 0xef, v0
	s_add_i32 s4, s17, 15
	s_clause 0x1
	s_load_b32 s7, s[0:1], 0x38
	s_load_b32 s18, s[0:1], 0x1c
	s_ashr_i32 s13, s4, 31
	v_add_nc_u32_e32 v1, s12, v1
	s_lshr_b32 s13, s13, 28
	s_waitcnt lgkmcnt(0)
	s_add_i32 s4, s4, s13
	s_barrier
	v_ashrrev_i32_e32 v2, 31, v1
	v_or_b32_e32 v3, 16, v1
	s_ashr_i32 s4, s4, 4
	v_cmp_gt_i32_e32 vcc_lo, s17, v1
	s_add_i32 s4, s4, -1
	v_lshrrev_b32_e32 v2, 28, v2
	buffer_gl0_inv
	s_mul_i32 s15, s15, s6
	v_add_nc_u32_e32 v4, v1, v2
	s_mul_i32 s20, s30, s7
	s_delay_alu instid0(SALU_CYCLE_1) | instskip(NEXT) | instid1(VALU_DEP_1)
	s_ashr_i32 s21, s20, 31
	v_ashrrev_i32_e32 v4, 4, v4
	v_add_nc_u32_e32 v2, v3, v2
	s_lshl_b64 s[20:21], s[20:21], 2
	s_delay_alu instid0(SALU_CYCLE_1) | instskip(NEXT) | instid1(VALU_DEP_2)
	s_add_u32 s13, s2, s20
	v_cndmask_b32_e32 v1, s4, v4, vcc_lo
	s_delay_alu instid0(VALU_DEP_2)
	v_ashrrev_i32_e32 v2, 4, v2
	v_cmp_gt_i32_e32 vcc_lo, s17, v3
	s_addc_u32 s16, s3, s21
	s_ashr_i32 s19, s15, 31
	s_add_u32 s26, s8, s15
	s_addc_u32 s27, s9, s19
	v_cndmask_b32_e32 v3, s4, v2, vcc_lo
	v_ashrrev_i32_e32 v2, 31, v1
	s_lshl_b32 s2, s14, 4
	s_delay_alu instid0(SALU_CYCLE_1) | instskip(NEXT) | instid1(VALU_DEP_2)
	s_ashr_i32 s3, s2, 31
	v_ashrrev_i32_e32 v4, 31, v3
	s_delay_alu instid0(VALU_DEP_2) | instskip(SKIP_1) | instid1(SALU_CYCLE_1)
	v_lshlrev_b64 v[1:2], 2, v[1:2]
	s_lshl_b64 s[2:3], s[2:3], 2
	s_add_u32 s2, s13, s2
	s_delay_alu instid0(VALU_DEP_2) | instskip(SKIP_1) | instid1(VALU_DEP_2)
	v_lshlrev_b64 v[3:4], 2, v[3:4]
	s_addc_u32 s3, s16, s3
	v_add_co_u32 v1, vcc_lo, s13, v1
	v_add_co_ci_u32_e32 v2, vcc_lo, s16, v2, vcc_lo
	s_delay_alu instid0(VALU_DEP_3) | instskip(NEXT) | instid1(VALU_DEP_4)
	v_add_co_u32 v3, vcc_lo, s13, v3
	v_add_co_ci_u32_e32 v4, vcc_lo, s16, v4, vcc_lo
	s_clause 0x1
	global_load_b32 v5, v[1:2], off
	global_load_b32 v3, v[3:4], off
	s_or_b32 s6, s12, 32
	v_cmp_gt_u32_e32 vcc_lo, 9, v65
	s_ashr_i32 s7, s6, 4
	s_cmp_lt_i32 s6, s17
	s_cselect_b32 s6, s7, s4
	s_delay_alu instid0(SALU_CYCLE_1) | instskip(NEXT) | instid1(SALU_CYCLE_1)
	s_ashr_i32 s7, s6, 31
	s_lshl_b64 s[6:7], s[6:7], 2
	s_delay_alu instid0(SALU_CYCLE_1) | instskip(SKIP_2) | instid1(SALU_CYCLE_1)
	s_add_u32 s6, s13, s6
	s_addc_u32 s7, s16, s7
	s_or_b32 s8, s12, 64
	s_ashr_i32 s9, s8, 4
	s_cmp_lt_i32 s8, s17
	s_cselect_b32 s8, s9, s4
	s_delay_alu instid0(SALU_CYCLE_1) | instskip(NEXT) | instid1(SALU_CYCLE_1)
	s_ashr_i32 s9, s8, 31
	s_lshl_b64 s[8:9], s[8:9], 2
	s_delay_alu instid0(SALU_CYCLE_1) | instskip(SKIP_2) | instid1(SALU_CYCLE_1)
	s_add_u32 s8, s13, s8
	s_addc_u32 s9, s16, s9
	s_or_b32 s20, s12, 0x60
	;; [unrolled: 10-line block ×4, first 2 shown]
	s_ashr_i32 s25, s24, 4
	s_cmp_lt_i32 s24, s17
	s_cselect_b32 s24, s25, s4
	s_delay_alu instid0(SALU_CYCLE_1) | instskip(NEXT) | instid1(SALU_CYCLE_1)
	s_ashr_i32 s25, s24, 31
	s_lshl_b64 s[24:25], s[24:25], 2
	s_delay_alu instid0(SALU_CYCLE_1)
	s_add_u32 s24, s13, s24
	s_addc_u32 s25, s16, s25
	s_clause 0x5
	s_load_b32 s28, s[2:3], 0x0
	s_load_b32 s29, s[6:7], 0x0
	;; [unrolled: 1-line block ×6, first 2 shown]
	s_mov_b32 s20, 0
	s_or_b32 s2, s12, 0xc0
	s_mov_b32 s21, s20
	s_mov_b32 s22, s20
	;; [unrolled: 1-line block ×5, first 2 shown]
	v_lshlrev_b32_e32 v1, 4, v0
	s_ashr_i32 s3, s2, 4
	s_cmp_lt_i32 s2, s17
	s_cselect_b32 s2, s3, s4
	s_delay_alu instid0(VALU_DEP_1) | instskip(SKIP_1) | instid1(SALU_CYCLE_1)
	v_and_b32_e32 v1, 0xf0, v1
	s_ashr_i32 s3, s2, 31
	s_lshl_b64 s[2:3], s[2:3], 2
	s_delay_alu instid0(VALU_DEP_1) | instskip(NEXT) | instid1(VALU_DEP_1)
	v_add_co_u32 v1, s26, s26, v1
	v_add_co_ci_u32_e64 v2, null, s27, 0, s26
	s_add_u32 s2, s13, s2
	s_addc_u32 s3, s16, s3
	s_or_b32 s6, s12, 0xe0
	s_mov_b32 s27, s20
	s_ashr_i32 s7, s6, 4
	s_cmp_lt_i32 s6, s17
	s_mov_b32 s26, s20
	v_dual_mov_b32 v107, s27 :: v_dual_mov_b32 v100, s20
	s_cselect_b32 s6, s7, s4
	v_mov_b32_e32 v106, s26
	s_ashr_i32 s7, s6, 31
	v_mov_b32_e32 v104, s24
	s_lshl_b64 s[6:7], s[6:7], 2
	v_dual_mov_b32 v103, s23 :: v_dual_mov_b32 v102, s22
	v_mov_b32_e32 v101, s21
	s_waitcnt vmcnt(1)
	v_mad_i64_i32 v[33:34], null, v5, s5, v[1:2]
	s_waitcnt vmcnt(0)
	v_mad_i64_i32 v[35:36], null, v3, s5, v[1:2]
	s_clause 0xf
	global_load_b128 v[1:4], v[33:34], off
	global_load_b128 v[5:8], v[33:34], off offset:256
	global_load_b128 v[9:12], v[35:36], off
	global_load_b128 v[13:16], v[35:36], off offset:256
	global_load_b128 v[17:20], v[33:34], off offset:512
	;; [unrolled: 1-line block ×13, first 2 shown]
	v_add_nc_u32_e32 v33, -9, v65
	v_lshlrev_b32_e32 v34, 4, v65
	s_delay_alu instid0(VALU_DEP_2) | instskip(SKIP_1) | instid1(VALU_DEP_3)
	v_cndmask_b32_e32 v33, v33, v65, vcc_lo
	v_mov_b32_e32 v105, s25
	v_lshl_or_b32 v41, v66, 8, v34
	s_delay_alu instid0(VALU_DEP_3)
	v_lshlrev_b32_e32 v72, 6, v33
	ds_load_b128 v[33:36], v72
	ds_load_b128 v[37:40], v72 offset:1024
	ds_load_b128 v[108:111], v72 offset:2048
	;; [unrolled: 1-line block ×3, first 2 shown]
	s_load_b32 s4, s[2:3], 0x0
	s_add_u32 s2, s13, s6
	s_addc_u32 s3, s16, s7
	ds_load_b128 v[116:119], v72 offset:4096
	ds_load_b128 v[120:123], v72 offset:5120
	s_load_b32 s2, s[2:3], 0x0
	s_add_u32 s6, s10, s15
	s_addc_u32 s7, s11, s19
	v_add_co_u32 v68, s6, s6, v41
	s_delay_alu instid0(VALU_DEP_1) | instskip(SKIP_1) | instid1(VALU_DEP_1)
	v_add_co_ci_u32_e64 v69, null, s7, 0, s6
	s_waitcnt lgkmcnt(0)
	v_mad_i64_i32 v[41:42], null, s28, s5, v[68:69]
	v_mad_i64_i32 v[70:71], null, s8, s5, v[68:69]
	;; [unrolled: 1-line block ×7, first 2 shown]
	s_clause 0x3
	global_load_b128 v[49:52], v[41:42], off
	global_load_b128 v[53:56], v[41:42], off offset:16
	global_load_b128 v[41:44], v[45:46], off
	global_load_b128 v[45:48], v[45:46], off offset:16
	s_waitcnt vmcnt(18)
	v_wmma_f32_16x16x16_bf16 v[124:131], v[1:8], v[33:40], v[100:107]
	s_waitcnt vmcnt(16)
	v_wmma_f32_16x16x16_bf16 v[100:107], v[9:16], v[33:40], v[100:107]
	s_clause 0x1
	global_load_b128 v[33:36], v[70:71], off
	global_load_b128 v[37:40], v[70:71], off offset:16
	v_mad_i64_i32 v[70:71], null, s2, s5, v[68:69]
	s_waitcnt vmcnt(16)
	v_wmma_f32_16x16x16_bf16 v[124:131], v[17:24], v[108:115], v[124:131]
	s_waitcnt vmcnt(14)
	v_wmma_f32_16x16x16_bf16 v[100:107], v[25:32], v[108:115], v[100:107]
	s_clause 0x7
	global_load_b128 v[25:28], v[132:133], off
	global_load_b128 v[29:32], v[132:133], off offset:16
	global_load_b128 v[1:4], v[134:135], off
	global_load_b128 v[5:8], v[134:135], off offset:16
	;; [unrolled: 2-line block ×4, first 2 shown]
	s_waitcnt vmcnt(20)
	v_wmma_f32_16x16x16_bf16 v[124:131], v[57:64], v[116:123], v[124:131]
	s_clause 0x1
	global_load_b128 v[57:60], v[70:71], off
	global_load_b128 v[61:64], v[70:71], off offset:16
	s_waitcnt vmcnt(20)
	v_wmma_f32_16x16x16_bf16 v[100:107], v[76:83], v[116:123], v[100:107]
	ds_load_b128 v[76:79], v72 offset:6144
	ds_load_b128 v[80:83], v72 offset:7168
	v_and_b32_e32 v68, 0xe0, v0
	v_mbcnt_lo_u32_b32 v69, -1, 0
	s_waitcnt vmcnt(0) lgkmcnt(0)
	s_barrier
	buffer_gl0_inv
	v_add_nc_u32_e32 v68, s12, v68
	v_xor_b32_e32 v70, 16, v69
	s_delay_alu instid0(VALU_DEP_2) | instskip(NEXT) | instid1(VALU_DEP_2)
	v_or_b32_e32 v68, v68, v74
	v_cmp_gt_i32_e32 vcc_lo, 32, v70
	s_delay_alu instid0(VALU_DEP_2)
	v_or_b32_e32 v71, 4, v68
	v_or_b32_e32 v72, 6, v68
	v_cmp_gt_i32_e64 s2, s17, v68
	v_or_b32_e32 v108, 8, v68
	v_wmma_f32_16x16x16_bf16 v[124:131], v[84:91], v[76:83], v[124:131]
	v_cndmask_b32_e32 v69, v69, v70, vcc_lo
	v_or_b32_e32 v70, 2, v68
	v_wmma_f32_16x16x16_bf16 v[100:107], v[92:99], v[76:83], v[100:107]
	v_or_b32_e32 v109, 10, v68
	v_dual_mul_f32 v82, s18, v127 :: v_dual_mul_f32 v79, s18, v130
	v_dual_mul_f32 v92, s18, v125 :: v_dual_mul_f32 v93, s18, v124
	s_delay_alu instid0(VALU_DEP_4)
	v_mul_f32_e32 v98, s18, v103
	v_cmp_gt_i32_e32 vcc_lo, s17, v70
	v_or_b32_e32 v89, 22, v68
	v_dual_mul_f32 v83, s18, v126 :: v_dual_mul_f32 v96, s18, v105
	v_cndmask_b32_e64 v93, 0xff7fffff, v93, s2
	v_cndmask_b32_e32 v92, 0xff7fffff, v92, vcc_lo
	v_cmp_gt_i32_e64 s3, s17, v71
	v_cmp_gt_i32_e64 s4, s17, v72
	v_or_b32_e32 v84, 12, v68
	v_or_b32_e32 v85, 14, v68
	v_dual_mul_f32 v80, s18, v129 :: v_dual_mul_f32 v81, s18, v128
	v_mul_f32_e32 v94, s18, v107
	v_cndmask_b32_e64 v71, 0xff7fffff, v83, s3
	v_cndmask_b32_e64 v72, 0xff7fffff, v82, s4
	v_cmp_gt_i32_e64 s5, s17, v108
	v_cmp_gt_i32_e64 s6, s17, v109
	;; [unrolled: 1-line block ×3, first 2 shown]
	v_lshlrev_b32_e32 v89, 2, v69
	v_max3_f32 v82, v93, 0xff7fffff, v92
	v_or_b32_e32 v86, 16, v68
	v_or_b32_e32 v87, 18, v68
	v_mul_f32_e32 v78, s18, v131
	v_cndmask_b32_e64 v81, 0xff7fffff, v81, s5
	v_cndmask_b32_e64 v80, 0xff7fffff, v80, s6
	v_max3_f32 v71, v82, v71, v72
	v_cmp_gt_i32_e64 s7, s17, v84
	v_cmp_gt_i32_e64 s8, s17, v85
	v_or_b32_e32 v88, 20, v68
	v_or_b32_e32 v90, 24, v68
	;; [unrolled: 1-line block ×5, first 2 shown]
	v_dual_mul_f32 v95, s18, v106 :: v_dual_mul_f32 v70, s18, v101
	v_dual_mul_f32 v99, s18, v102 :: v_dual_mul_f32 v68, s18, v100
	v_cndmask_b32_e64 v72, 0xff7fffff, v79, s7
	v_cndmask_b32_e64 v78, 0xff7fffff, v78, s8
	v_max3_f32 v71, v71, v81, v80
	v_cmp_gt_i32_e64 s9, s17, v86
	v_cmp_gt_i32_e64 s10, s17, v87
	;; [unrolled: 1-line block ×3, first 2 shown]
	v_mul_f32_e32 v97, s18, v104
	v_max3_f32 v71, v71, v72, v78
	v_cndmask_b32_e64 v68, 0xff7fffff, v68, s9
	v_cndmask_b32_e64 v70, 0xff7fffff, v70, s10
	;; [unrolled: 1-line block ×4, first 2 shown]
	v_cmp_gt_i32_e64 s13, s17, v90
	v_cmp_gt_i32_e64 s15, s17, v91
	v_max3_f32 v68, v71, v68, v70
	v_cmp_gt_i32_e64 s16, s17, v76
	v_cmp_gt_i32_e64 s17, s17, v77
	v_cndmask_b32_e64 v70, 0xff7fffff, v97, s13
	v_cndmask_b32_e64 v71, 0xff7fffff, v96, s15
	v_max3_f32 v68, v68, v72, v78
	v_cndmask_b32_e64 v72, 0xff7fffff, v95, s16
	v_cndmask_b32_e64 v76, 0xff7fffff, v94, s17
	s_delay_alu instid0(VALU_DEP_3) | instskip(NEXT) | instid1(VALU_DEP_1)
	v_max3_f32 v68, v68, v70, v71
	v_max3_f32 v68, v68, v72, v76
	ds_bpermute_b32 v69, v89, v68
	s_waitcnt lgkmcnt(0)
	v_max_f32_e32 v69, v69, v69
	s_delay_alu instid0(VALU_DEP_1) | instskip(NEXT) | instid1(VALU_DEP_1)
	v_max_f32_e32 v68, v68, v69
	v_fma_f32 v69, s18, v124, -v68
	v_fma_f32 v70, s18, v125, -v68
	v_fma_f32 v72, s18, v127, -v68
	v_fma_f32 v71, s18, v126, -v68
	v_fma_f32 v76, s18, v128, -v68
	s_delay_alu instid0(VALU_DEP_4) | instskip(NEXT) | instid1(VALU_DEP_4)
	v_dual_mul_f32 v69, 0x3fb8aa3b, v69 :: v_dual_mul_f32 v70, 0x3fb8aa3b, v70
	v_mul_f32_e32 v72, 0x3fb8aa3b, v72
	v_fma_f32 v78, s18, v130, -v68
	s_delay_alu instid0(VALU_DEP_4) | instskip(NEXT) | instid1(VALU_DEP_4)
	v_mul_f32_e32 v77, 0x3fb8aa3b, v76
	v_exp_f32_e32 v69, v69
	v_exp_f32_e32 v70, v70
	v_mul_f32_e32 v71, 0x3fb8aa3b, v71
	v_exp_f32_e32 v72, v72
	v_mul_f32_e32 v78, 0x3fb8aa3b, v78
	v_exp_f32_e32 v77, v77
	v_fma_f32 v81, s18, v105, -v68
	s_delay_alu instid0(VALU_DEP_2)
	v_exp_f32_e32 v78, v78
	v_cndmask_b32_e64 v80, 0, v69, s2
	v_cndmask_b32_e32 v76, 0, v70, vcc_lo
	v_exp_f32_e32 v71, v71
	v_fma_f32 v69, s18, v129, -v68
	v_cndmask_b32_e64 v85, 0, v72, s4
	v_add_f32_e32 v70, 0, v80
	s_delay_alu instid0(TRANS32_DEP_3)
	v_cndmask_b32_e64 v86, 0, v77, s5
	v_fma_f32 v77, s18, v101, -v68
	v_mul_f32_e32 v69, 0x3fb8aa3b, v69
	v_fma_f32 v72, s18, v100, -v68
	v_cndmask_b32_e64 v84, 0, v78, s7
	v_fma_f32 v78, s18, v103, -v68
	v_cndmask_b32_e64 v83, 0, v71, s3
	v_fma_f32 v71, s18, v131, -v68
	v_add_f32_e32 v70, v70, v76
	v_exp_f32_e32 v69, v69
	v_mul_f32_e32 v77, 0x3fb8aa3b, v77
	v_mul_f32_e32 v81, 0x3fb8aa3b, v81
	;; [unrolled: 1-line block ×3, first 2 shown]
	v_add_f32_e32 v70, v70, v83
	v_cmp_gt_u32_e64 s2, 16, v67
	v_exp_f32_e32 v77, v77
	v_exp_f32_e32 v81, v81
	;; [unrolled: 1-line block ×3, first 2 shown]
	v_cndmask_b32_e64 v87, 0, v69, s6
	v_add_f32_e32 v70, v70, v85
	s_delay_alu instid0(VALU_DEP_1) | instskip(SKIP_1) | instid1(VALU_DEP_2)
	v_dual_mul_f32 v72, 0x3fb8aa3b, v72 :: v_dual_add_f32 v69, v70, v86
	v_fma_f32 v70, s18, v102, -v68
	v_exp_f32_e32 v72, v72
	s_waitcnt_depctr 0xfff
	v_cndmask_b32_e64 v88, 0, v71, s8
	v_fma_f32 v71, s18, v104, -v68
	v_dual_add_f32 v69, v69, v87 :: v_dual_mul_f32 v70, 0x3fb8aa3b, v70
	s_delay_alu instid0(VALU_DEP_2) | instskip(NEXT) | instid1(VALU_DEP_2)
	v_dual_mul_f32 v78, 0x3fb8aa3b, v78 :: v_dual_mul_f32 v71, 0x3fb8aa3b, v71
	v_add_f32_e32 v69, v69, v84
	s_delay_alu instid0(VALU_DEP_3) | instskip(SKIP_1) | instid1(VALU_DEP_3)
	v_exp_f32_e32 v79, v70
	v_cndmask_b32_e64 v70, 0, v72, s9
	v_exp_f32_e32 v78, v78
	v_exp_f32_e32 v82, v71
	v_add_f32_e32 v72, v69, v88
	v_cndmask_b32_e64 v69, 0, v77, s10
	v_fma_f32 v77, s18, v106, -v68
	s_delay_alu instid0(VALU_DEP_3) | instskip(NEXT) | instid1(TRANS32_DEP_3)
	v_add_f32_e32 v72, v72, v70
	v_cndmask_b32_e64 v71, 0, v79, s11
	s_delay_alu instid0(VALU_DEP_3) | instskip(NEXT) | instid1(VALU_DEP_3)
	v_mul_f32_e32 v77, 0x3fb8aa3b, v77
	v_add_f32_e32 v79, v72, v69
	s_delay_alu instid0(TRANS32_DEP_2) | instskip(NEXT) | instid1(VALU_DEP_3)
	v_cndmask_b32_e64 v72, 0, v78, s12
	v_exp_f32_e32 v90, v77
	v_cndmask_b32_e64 v77, 0, v82, s13
	s_delay_alu instid0(VALU_DEP_3) | instskip(SKIP_1) | instid1(VALU_DEP_1)
	v_add_f32_e32 v78, v79, v71
	v_fma_f32 v79, s18, v107, -v68
	v_dual_add_f32 v82, v78, v72 :: v_dual_mul_f32 v79, 0x3fb8aa3b, v79
	v_cndmask_b32_e64 v78, 0, v81, s15
	s_delay_alu instid0(VALU_DEP_2) | instskip(NEXT) | instid1(VALU_DEP_3)
	v_add_f32_e32 v81, v82, v77
	v_exp_f32_e32 v82, v79
	s_delay_alu instid0(TRANS32_DEP_2) | instskip(NEXT) | instid1(VALU_DEP_2)
	v_cndmask_b32_e64 v79, 0, v90, s16
	v_add_f32_e32 v81, v81, v78
	s_delay_alu instid0(VALU_DEP_1) | instskip(SKIP_2) | instid1(VALU_DEP_1)
	v_add_f32_e32 v90, v81, v79
	s_waitcnt_depctr 0xfff
	v_cndmask_b32_e64 v81, 0, v82, s17
	v_add_f32_e32 v82, v90, v81
	ds_bpermute_b32 v89, v89, v82
	s_and_saveexec_b32 s3, s2
	s_cbranch_execz .LBB1574_12
; %bb.11:
	v_mul_u32_u24_e32 v67, 0x44, v66
	s_delay_alu instid0(VALU_DEP_1) | instskip(SKIP_1) | instid1(VALU_DEP_1)
	v_lshl_add_u32 v67, v65, 2, v67
	s_waitcnt lgkmcnt(0)
	v_dual_add_f32 v82, v82, v89 :: v_dual_add_nc_u32 v67, 0x4000, v67
	ds_store_2addr_b32 v67, v68, v82 offset1:136
.LBB1574_12:
	s_or_b32 exec_lo, exec_lo, s3
	v_lshlrev_b32_e32 v67, 2, v65
	s_waitcnt lgkmcnt(0)
	s_barrier
	buffer_gl0_inv
	v_cmp_eq_u32_e32 vcc_lo, 1, v66
	v_add_nc_u32_e32 v82, 0x4000, v67
	v_cmp_eq_u32_e64 s3, 2, v66
	v_cmp_eq_u32_e64 s5, 7, v66
	ds_load_2addr_b32 v[89:90], v82 offset1:17
	ds_load_2addr_b32 v[91:92], v82 offset0:34 offset1:51
	ds_load_2addr_b32 v[93:94], v82 offset0:68 offset1:85
	;; [unrolled: 1-line block ×4, first 2 shown]
	s_waitcnt lgkmcnt(4)
	v_max3_f32 v67, v89, 0xff7fffff, v90
	s_waitcnt lgkmcnt(3)
	s_delay_alu instid0(VALU_DEP_1) | instskip(SKIP_1) | instid1(VALU_DEP_1)
	v_max3_f32 v67, v67, v91, v92
	s_waitcnt lgkmcnt(2)
	v_max3_f32 v67, v67, v93, v94
	s_waitcnt lgkmcnt(1)
	s_delay_alu instid0(VALU_DEP_1) | instskip(NEXT) | instid1(VALU_DEP_1)
	v_max3_f32 v67, v67, v95, v96
	v_sub_f32_e32 v93, v93, v67
	s_delay_alu instid0(VALU_DEP_1) | instskip(NEXT) | instid1(VALU_DEP_1)
	v_dual_sub_f32 v68, v89, v67 :: v_dual_mul_f32 v103, 0x3fb8aa3b, v93
	v_mul_f32_e32 v68, 0x3fb8aa3b, v68
	s_delay_alu instid0(VALU_DEP_1)
	v_exp_f32_e32 v100, v68
	v_sub_f32_e32 v68, v92, v67
	v_sub_f32_e32 v99, v90, v67
	ds_load_2addr_b32 v[89:90], v82 offset0:170 offset1:187
	v_dual_mul_f32 v102, 0x3fb8aa3b, v68 :: v_dual_mul_f32 v99, 0x3fb8aa3b, v99
	s_waitcnt lgkmcnt(1)
	v_fma_f32 v68, v100, v97, 0
	s_delay_alu instid0(VALU_DEP_2) | instskip(NEXT) | instid1(VALU_DEP_2)
	v_exp_f32_e32 v102, v102
	v_exp_f32_e32 v99, v99
	s_waitcnt_depctr 0xfff
	v_fmac_f32_e32 v68, v99, v98
	v_sub_f32_e32 v91, v91, v67
	s_delay_alu instid0(VALU_DEP_1)
	v_mul_f32_e32 v101, 0x3fb8aa3b, v91
	ds_load_2addr_b32 v[91:92], v82 offset0:204 offset1:221
	v_sub_f32_e32 v97, v94, v67
	ds_load_2addr_b32 v[93:94], v82 offset0:238 offset1:255
	s_waitcnt lgkmcnt(0)
	v_exp_f32_e32 v101, v101
	s_barrier
	buffer_gl0_inv
	v_dual_fmac_f32 v68, v101, v89 :: v_dual_sub_f32 v89, v96, v67
	v_dual_sub_f32 v82, v95, v67 :: v_dual_mul_f32 v95, 0x3fb8aa3b, v97
	v_exp_f32_e32 v97, v103
	s_delay_alu instid0(VALU_DEP_2) | instskip(NEXT) | instid1(VALU_DEP_2)
	v_dual_fmac_f32 v68, v102, v90 :: v_dual_mul_f32 v89, 0x3fb8aa3b, v89
	v_mul_f32_e32 v82, 0x3fb8aa3b, v82
	s_delay_alu instid0(VALU_DEP_3) | instskip(NEXT) | instid1(VALU_DEP_2)
	v_exp_f32_e32 v95, v95
	v_exp_f32_e32 v89, v89
	s_delay_alu instid0(VALU_DEP_1)
	v_exp_f32_e32 v82, v82
	v_fmac_f32_e32 v68, v97, v91
	s_delay_alu instid0(TRANS32_DEP_3) | instid1(VALU_DEP_1)
	v_fmac_f32_e32 v68, v95, v92
	s_waitcnt_depctr 0xfff
	v_fmac_f32_e32 v68, v82, v93
	s_delay_alu instid0(VALU_DEP_1) | instskip(NEXT) | instid1(VALU_DEP_1)
	v_fmac_f32_e32 v68, v89, v94
	v_add_f32_e32 v90, 0x358637bd, v68
	s_delay_alu instid0(VALU_DEP_1) | instskip(NEXT) | instid1(VALU_DEP_1)
	v_div_scale_f32 v91, null, v90, v90, 1.0
	v_rcp_f32_e32 v92, v91
	s_waitcnt_depctr 0xfff
	v_fma_f32 v93, -v91, v92, 1.0
	s_delay_alu instid0(VALU_DEP_1) | instskip(SKIP_1) | instid1(VALU_DEP_2)
	v_dual_fmac_f32 v92, v93, v92 :: v_dual_cndmask_b32 v93, v100, v99
	v_cmp_eq_u32_e32 vcc_lo, 3, v66
	v_cndmask_b32_e64 v93, v93, v101, s3
	v_cmp_eq_u32_e64 s3, 4, v66
	s_delay_alu instid0(VALU_DEP_2) | instskip(SKIP_1) | instid1(VALU_DEP_2)
	v_cndmask_b32_e32 v93, v93, v102, vcc_lo
	v_cmp_eq_u32_e32 vcc_lo, 5, v66
	v_cndmask_b32_e64 v93, v93, v97, s3
	v_cmp_eq_u32_e64 s3, 6, v66
	s_delay_alu instid0(VALU_DEP_2) | instskip(SKIP_1) | instid1(VALU_DEP_1)
	v_cndmask_b32_e32 v93, v93, v95, vcc_lo
	v_div_scale_f32 v94, s4, 1.0, v90, 1.0
	s_mov_b32 vcc_lo, s4
	s_delay_alu instid0(VALU_DEP_2) | instskip(NEXT) | instid1(VALU_DEP_2)
	v_cndmask_b32_e64 v82, v93, v82, s3
	v_mul_f32_e32 v96, v94, v92
	s_mov_b32 s3, exec_lo
	s_delay_alu instid0(VALU_DEP_2) | instskip(NEXT) | instid1(VALU_DEP_2)
	v_cndmask_b32_e64 v82, v82, v89, s5
	v_fma_f32 v98, -v91, v96, v94
	s_delay_alu instid0(VALU_DEP_1) | instskip(NEXT) | instid1(VALU_DEP_1)
	v_fmac_f32_e32 v96, v98, v92
	v_fma_f32 v91, -v91, v96, v94
	s_delay_alu instid0(VALU_DEP_1) | instskip(NEXT) | instid1(VALU_DEP_1)
	v_div_fmas_f32 v91, v91, v92, v96
	v_div_fixup_f32 v90, v91, v90, 1.0
	s_delay_alu instid0(VALU_DEP_1) | instskip(NEXT) | instid1(VALU_DEP_1)
	v_mul_f32_e32 v82, v82, v90
	v_mul_f32_e32 v87, v82, v87
	;; [unrolled: 1-line block ×7, first 2 shown]
	v_dual_mul_f32 v86, v82, v83 :: v_dual_and_b32 v91, 0x7f800000, v90
	v_mul_f32_e32 v85, v82, v76
                                        ; implicit-def: $vgpr76
	s_delay_alu instid0(VALU_DEP_2)
	v_cmpx_ne_u32_e32 0x7f800000, v91
	s_xor_b32 s3, exec_lo, s3
; %bb.13:
	v_bfe_u32 v76, v90, 16, 1
	s_delay_alu instid0(VALU_DEP_1)
	v_add3_u32 v76, v90, v76, 0x7fff
                                        ; implicit-def: $vgpr90
; %bb.14:
	s_and_not1_saveexec_b32 s3, s3
; %bb.15:
	v_and_b32_e32 v76, 0xffff, v90
	v_or_b32_e32 v83, 0x10000, v90
	s_delay_alu instid0(VALU_DEP_2) | instskip(NEXT) | instid1(VALU_DEP_2)
	v_cmp_eq_u32_e32 vcc_lo, 0, v76
	v_cndmask_b32_e32 v76, v83, v90, vcc_lo
; %bb.16:
	s_or_b32 exec_lo, exec_lo, s3
	v_and_b32_e32 v83, 0x7f800000, v85
	s_delay_alu instid0(VALU_DEP_1) | instskip(SKIP_1) | instid1(SALU_CYCLE_1)
	v_cmp_ne_u32_e32 vcc_lo, 0x7f800000, v83
                                        ; implicit-def: $vgpr83
	s_and_saveexec_b32 s3, vcc_lo
	s_xor_b32 s3, exec_lo, s3
; %bb.17:
	v_bfe_u32 v83, v85, 16, 1
	s_delay_alu instid0(VALU_DEP_1)
	v_add3_u32 v83, v85, v83, 0x7fff
                                        ; implicit-def: $vgpr85
; %bb.18:
	s_and_not1_saveexec_b32 s3, s3
; %bb.19:
	v_and_b32_e32 v83, 0xffff, v85
	v_or_b32_e32 v90, 0x10000, v85
	s_delay_alu instid0(VALU_DEP_2) | instskip(NEXT) | instid1(VALU_DEP_2)
	v_cmp_eq_u32_e32 vcc_lo, 0, v83
	v_cndmask_b32_e32 v83, v90, v85, vcc_lo
; %bb.20:
	s_or_b32 exec_lo, exec_lo, s3
	v_and_b32_e32 v85, 0x7f800000, v86
	s_delay_alu instid0(VALU_DEP_1) | instskip(SKIP_1) | instid1(SALU_CYCLE_1)
	v_cmp_ne_u32_e32 vcc_lo, 0x7f800000, v85
                                        ; implicit-def: $vgpr85
	s_and_saveexec_b32 s3, vcc_lo
	s_xor_b32 s3, exec_lo, s3
; %bb.21:
	v_bfe_u32 v85, v86, 16, 1
	s_delay_alu instid0(VALU_DEP_1)
	v_add3_u32 v85, v86, v85, 0x7fff
                                        ; implicit-def: $vgpr86
; %bb.22:
	s_and_not1_saveexec_b32 s3, s3
; %bb.23:
	v_and_b32_e32 v85, 0xffff, v86
	v_or_b32_e32 v90, 0x10000, v86
	s_delay_alu instid0(VALU_DEP_2) | instskip(NEXT) | instid1(VALU_DEP_2)
	v_cmp_eq_u32_e32 vcc_lo, 0, v85
	v_cndmask_b32_e32 v85, v90, v86, vcc_lo
; %bb.24:
	s_or_b32 exec_lo, exec_lo, s3
	v_and_b32_e32 v86, 0x7f800000, v89
	s_delay_alu instid0(VALU_DEP_1) | instskip(SKIP_1) | instid1(SALU_CYCLE_1)
	v_cmp_ne_u32_e32 vcc_lo, 0x7f800000, v86
                                        ; implicit-def: $vgpr86
	s_and_saveexec_b32 s3, vcc_lo
	s_xor_b32 s3, exec_lo, s3
; %bb.25:
	v_bfe_u32 v86, v89, 16, 1
	s_delay_alu instid0(VALU_DEP_1)
	v_add3_u32 v86, v89, v86, 0x7fff
                                        ; implicit-def: $vgpr89
; %bb.26:
	s_and_not1_saveexec_b32 s3, s3
; %bb.27:
	v_and_b32_e32 v86, 0xffff, v89
	v_or_b32_e32 v90, 0x10000, v89
	s_delay_alu instid0(VALU_DEP_2) | instskip(NEXT) | instid1(VALU_DEP_2)
	v_cmp_eq_u32_e32 vcc_lo, 0, v86
	v_cndmask_b32_e32 v86, v90, v89, vcc_lo
; %bb.28:
	s_or_b32 exec_lo, exec_lo, s3
	v_and_b32_e32 v89, 0x7f800000, v88
	s_delay_alu instid0(VALU_DEP_1) | instskip(SKIP_1) | instid1(SALU_CYCLE_1)
	v_cmp_ne_u32_e32 vcc_lo, 0x7f800000, v89
                                        ; implicit-def: $vgpr89
	s_and_saveexec_b32 s3, vcc_lo
	s_xor_b32 s3, exec_lo, s3
; %bb.29:
	v_bfe_u32 v89, v88, 16, 1
	s_delay_alu instid0(VALU_DEP_1)
	v_add3_u32 v89, v88, v89, 0x7fff
                                        ; implicit-def: $vgpr88
; %bb.30:
	s_and_not1_saveexec_b32 s3, s3
; %bb.31:
	v_and_b32_e32 v89, 0xffff, v88
	v_or_b32_e32 v90, 0x10000, v88
	s_delay_alu instid0(VALU_DEP_2) | instskip(NEXT) | instid1(VALU_DEP_2)
	v_cmp_eq_u32_e32 vcc_lo, 0, v89
	v_cndmask_b32_e32 v89, v90, v88, vcc_lo
; %bb.32:
	s_or_b32 exec_lo, exec_lo, s3
	v_and_b32_e32 v88, 0x7f800000, v87
	s_delay_alu instid0(VALU_DEP_1) | instskip(SKIP_1) | instid1(SALU_CYCLE_1)
	v_cmp_ne_u32_e32 vcc_lo, 0x7f800000, v88
                                        ; implicit-def: $vgpr88
	s_and_saveexec_b32 s3, vcc_lo
	s_xor_b32 s3, exec_lo, s3
; %bb.33:
	v_bfe_u32 v88, v87, 16, 1
	s_delay_alu instid0(VALU_DEP_1)
	v_add3_u32 v88, v87, v88, 0x7fff
                                        ; implicit-def: $vgpr87
; %bb.34:
	s_and_not1_saveexec_b32 s3, s3
; %bb.35:
	v_and_b32_e32 v88, 0xffff, v87
	v_or_b32_e32 v90, 0x10000, v87
	s_delay_alu instid0(VALU_DEP_2) | instskip(NEXT) | instid1(VALU_DEP_2)
	v_cmp_eq_u32_e32 vcc_lo, 0, v88
	v_cndmask_b32_e32 v88, v90, v87, vcc_lo
; %bb.36:
	s_or_b32 exec_lo, exec_lo, s3
	v_and_b32_e32 v87, 0x7f800000, v84
	s_delay_alu instid0(VALU_DEP_1) | instskip(SKIP_1) | instid1(SALU_CYCLE_1)
	v_cmp_ne_u32_e32 vcc_lo, 0x7f800000, v87
                                        ; implicit-def: $vgpr87
	s_and_saveexec_b32 s3, vcc_lo
	s_xor_b32 s3, exec_lo, s3
; %bb.37:
	v_bfe_u32 v87, v84, 16, 1
	s_delay_alu instid0(VALU_DEP_1)
	v_add3_u32 v87, v84, v87, 0x7fff
                                        ; implicit-def: $vgpr84
; %bb.38:
	s_and_not1_saveexec_b32 s3, s3
; %bb.39:
	v_and_b32_e32 v87, 0xffff, v84
	v_or_b32_e32 v90, 0x10000, v84
	s_delay_alu instid0(VALU_DEP_2) | instskip(NEXT) | instid1(VALU_DEP_2)
	v_cmp_eq_u32_e32 vcc_lo, 0, v87
	v_cndmask_b32_e32 v87, v90, v84, vcc_lo
; %bb.40:
	s_or_b32 exec_lo, exec_lo, s3
	v_and_b32_e32 v84, 0x7f800000, v80
	s_delay_alu instid0(VALU_DEP_1) | instskip(SKIP_1) | instid1(SALU_CYCLE_1)
	v_cmp_ne_u32_e32 vcc_lo, 0x7f800000, v84
                                        ; implicit-def: $vgpr84
	s_and_saveexec_b32 s3, vcc_lo
	s_xor_b32 s3, exec_lo, s3
; %bb.41:
	v_bfe_u32 v84, v80, 16, 1
	s_delay_alu instid0(VALU_DEP_1)
	v_add3_u32 v84, v80, v84, 0x7fff
                                        ; implicit-def: $vgpr80
; %bb.42:
	s_and_not1_saveexec_b32 s3, s3
; %bb.43:
	v_and_b32_e32 v84, 0xffff, v80
	v_or_b32_e32 v90, 0x10000, v80
	s_delay_alu instid0(VALU_DEP_2) | instskip(NEXT) | instid1(VALU_DEP_2)
	v_cmp_eq_u32_e32 vcc_lo, 0, v84
	v_cndmask_b32_e32 v84, v90, v80, vcc_lo
; %bb.44:
	s_or_b32 exec_lo, exec_lo, s3
	s_load_b64 s[34:35], s[0:1], 0x94
	v_lshlrev_b32_e32 v91, 4, v74
	s_delay_alu instid0(VALU_DEP_2)
	v_perm_b32 v90, v84, v87, 0x7060302
	v_dual_mul_f32 v79, v82, v79 :: v_dual_lshlrev_b32 v80, 6, v65
	v_dual_mul_f32 v77, v82, v77 :: v_dual_lshlrev_b32 v92, 11, v66
	v_mul_f32_e32 v84, v82, v70
	v_perm_b32 v89, v88, v89, 0x7060302
	v_perm_b32 v88, v86, v85, 0x7060302
	;; [unrolled: 1-line block ×3, first 2 shown]
	v_mul_f32_e32 v70, v82, v81
	v_or3_b32 v76, v91, v92, v80
	v_dual_mul_f32 v78, v82, v78 :: v_dual_and_b32 v85, 0x7f800000, v84
	v_mul_f32_e32 v83, v82, v72
	v_mul_f32_e32 v81, v82, v71
	;; [unrolled: 1-line block ×3, first 2 shown]
	s_mov_b32 s3, exec_lo
	ds_store_b128 v76, v[87:90]
                                        ; implicit-def: $vgpr69
	v_cmpx_ne_u32_e32 0x7f800000, v85
	s_xor_b32 s3, exec_lo, s3
; %bb.45:
	v_bfe_u32 v69, v84, 16, 1
	s_delay_alu instid0(VALU_DEP_1)
	v_add3_u32 v69, v84, v69, 0x7fff
                                        ; implicit-def: $vgpr84
; %bb.46:
	s_and_not1_saveexec_b32 s3, s3
; %bb.47:
	v_and_b32_e32 v69, 0xffff, v84
	v_or_b32_e32 v71, 0x10000, v84
	s_delay_alu instid0(VALU_DEP_2) | instskip(NEXT) | instid1(VALU_DEP_2)
	v_cmp_eq_u32_e32 vcc_lo, 0, v69
	v_cndmask_b32_e32 v69, v71, v84, vcc_lo
; %bb.48:
	s_or_b32 exec_lo, exec_lo, s3
	v_and_b32_e32 v71, 0x7f800000, v72
	s_delay_alu instid0(VALU_DEP_1) | instskip(SKIP_1) | instid1(SALU_CYCLE_1)
	v_cmp_ne_u32_e32 vcc_lo, 0x7f800000, v71
                                        ; implicit-def: $vgpr71
	s_and_saveexec_b32 s3, vcc_lo
	s_xor_b32 s3, exec_lo, s3
; %bb.49:
	v_bfe_u32 v71, v72, 16, 1
	s_delay_alu instid0(VALU_DEP_1)
	v_add3_u32 v71, v72, v71, 0x7fff
                                        ; implicit-def: $vgpr72
; %bb.50:
	s_and_not1_saveexec_b32 s3, s3
; %bb.51:
	v_and_b32_e32 v71, 0xffff, v72
	v_or_b32_e32 v82, 0x10000, v72
	s_delay_alu instid0(VALU_DEP_2) | instskip(NEXT) | instid1(VALU_DEP_2)
	v_cmp_eq_u32_e32 vcc_lo, 0, v71
	v_cndmask_b32_e32 v71, v82, v72, vcc_lo
; %bb.52:
	s_or_b32 exec_lo, exec_lo, s3
	v_and_b32_e32 v72, 0x7f800000, v81
	s_delay_alu instid0(VALU_DEP_1) | instskip(SKIP_1) | instid1(SALU_CYCLE_1)
	v_cmp_ne_u32_e32 vcc_lo, 0x7f800000, v72
                                        ; implicit-def: $vgpr72
	s_and_saveexec_b32 s3, vcc_lo
	s_xor_b32 s3, exec_lo, s3
; %bb.53:
	v_bfe_u32 v72, v81, 16, 1
	s_delay_alu instid0(VALU_DEP_1)
	v_add3_u32 v72, v81, v72, 0x7fff
                                        ; implicit-def: $vgpr81
; %bb.54:
	s_and_not1_saveexec_b32 s3, s3
; %bb.55:
	v_and_b32_e32 v72, 0xffff, v81
	v_or_b32_e32 v82, 0x10000, v81
	s_delay_alu instid0(VALU_DEP_2) | instskip(NEXT) | instid1(VALU_DEP_2)
	v_cmp_eq_u32_e32 vcc_lo, 0, v72
	v_cndmask_b32_e32 v72, v82, v81, vcc_lo
; %bb.56:
	s_or_b32 exec_lo, exec_lo, s3
	v_and_b32_e32 v81, 0x7f800000, v83
	s_delay_alu instid0(VALU_DEP_1) | instskip(SKIP_1) | instid1(SALU_CYCLE_1)
	v_cmp_ne_u32_e32 vcc_lo, 0x7f800000, v81
                                        ; implicit-def: $vgpr81
	s_and_saveexec_b32 s3, vcc_lo
	s_xor_b32 s3, exec_lo, s3
; %bb.57:
	v_bfe_u32 v81, v83, 16, 1
	s_delay_alu instid0(VALU_DEP_1)
	v_add3_u32 v81, v83, v81, 0x7fff
                                        ; implicit-def: $vgpr83
; %bb.58:
	s_and_not1_saveexec_b32 s3, s3
; %bb.59:
	v_and_b32_e32 v81, 0xffff, v83
	v_or_b32_e32 v82, 0x10000, v83
	s_delay_alu instid0(VALU_DEP_2) | instskip(NEXT) | instid1(VALU_DEP_2)
	v_cmp_eq_u32_e32 vcc_lo, 0, v81
	v_cndmask_b32_e32 v81, v82, v83, vcc_lo
; %bb.60:
	s_or_b32 exec_lo, exec_lo, s3
	v_and_b32_e32 v82, 0x7f800000, v77
	s_delay_alu instid0(VALU_DEP_1) | instskip(SKIP_1) | instid1(SALU_CYCLE_1)
	v_cmp_ne_u32_e32 vcc_lo, 0x7f800000, v82
                                        ; implicit-def: $vgpr82
	s_and_saveexec_b32 s3, vcc_lo
	s_xor_b32 s3, exec_lo, s3
; %bb.61:
	v_bfe_u32 v82, v77, 16, 1
	s_delay_alu instid0(VALU_DEP_1)
	v_add3_u32 v82, v77, v82, 0x7fff
                                        ; implicit-def: $vgpr77
; %bb.62:
	s_and_not1_saveexec_b32 s3, s3
; %bb.63:
	v_and_b32_e32 v82, 0xffff, v77
	v_or_b32_e32 v83, 0x10000, v77
	s_delay_alu instid0(VALU_DEP_2) | instskip(NEXT) | instid1(VALU_DEP_2)
	v_cmp_eq_u32_e32 vcc_lo, 0, v82
	v_cndmask_b32_e32 v82, v83, v77, vcc_lo
; %bb.64:
	s_or_b32 exec_lo, exec_lo, s3
	v_and_b32_e32 v77, 0x7f800000, v78
	s_delay_alu instid0(VALU_DEP_1) | instskip(SKIP_1) | instid1(SALU_CYCLE_1)
	v_cmp_ne_u32_e32 vcc_lo, 0x7f800000, v77
                                        ; implicit-def: $vgpr77
	s_and_saveexec_b32 s3, vcc_lo
	s_xor_b32 s3, exec_lo, s3
; %bb.65:
	v_bfe_u32 v77, v78, 16, 1
	s_delay_alu instid0(VALU_DEP_1)
	v_add3_u32 v77, v78, v77, 0x7fff
                                        ; implicit-def: $vgpr78
; %bb.66:
	s_and_not1_saveexec_b32 s3, s3
; %bb.67:
	v_and_b32_e32 v77, 0xffff, v78
	v_or_b32_e32 v83, 0x10000, v78
	s_delay_alu instid0(VALU_DEP_2) | instskip(NEXT) | instid1(VALU_DEP_2)
	v_cmp_eq_u32_e32 vcc_lo, 0, v77
	v_cndmask_b32_e32 v77, v83, v78, vcc_lo
; %bb.68:
	s_or_b32 exec_lo, exec_lo, s3
	v_and_b32_e32 v78, 0x7f800000, v79
	s_delay_alu instid0(VALU_DEP_1) | instskip(SKIP_1) | instid1(SALU_CYCLE_1)
	v_cmp_ne_u32_e32 vcc_lo, 0x7f800000, v78
                                        ; implicit-def: $vgpr78
	s_and_saveexec_b32 s3, vcc_lo
	s_xor_b32 s3, exec_lo, s3
; %bb.69:
	v_bfe_u32 v78, v79, 16, 1
	s_delay_alu instid0(VALU_DEP_1)
	v_add3_u32 v78, v79, v78, 0x7fff
                                        ; implicit-def: $vgpr79
; %bb.70:
	s_and_not1_saveexec_b32 s3, s3
; %bb.71:
	v_and_b32_e32 v78, 0xffff, v79
	v_or_b32_e32 v83, 0x10000, v79
	s_delay_alu instid0(VALU_DEP_2) | instskip(NEXT) | instid1(VALU_DEP_2)
	v_cmp_eq_u32_e32 vcc_lo, 0, v78
	v_cndmask_b32_e32 v78, v83, v79, vcc_lo
; %bb.72:
	s_or_b32 exec_lo, exec_lo, s3
	v_and_b32_e32 v79, 0x7f800000, v70
	s_delay_alu instid0(VALU_DEP_1) | instskip(SKIP_1) | instid1(SALU_CYCLE_1)
	v_cmp_ne_u32_e32 vcc_lo, 0x7f800000, v79
                                        ; implicit-def: $vgpr79
	s_and_saveexec_b32 s3, vcc_lo
	s_xor_b32 s3, exec_lo, s3
; %bb.73:
	v_bfe_u32 v79, v70, 16, 1
	s_delay_alu instid0(VALU_DEP_1)
	v_add3_u32 v79, v70, v79, 0x7fff
                                        ; implicit-def: $vgpr70
; %bb.74:
	s_and_not1_saveexec_b32 s3, s3
; %bb.75:
	v_and_b32_e32 v79, 0xffff, v70
	v_or_b32_e32 v83, 0x10000, v70
	s_delay_alu instid0(VALU_DEP_2) | instskip(NEXT) | instid1(VALU_DEP_2)
	v_cmp_eq_u32_e32 vcc_lo, 0, v79
	v_cndmask_b32_e32 v79, v83, v70, vcc_lo
; %bb.76:
	s_or_b32 exec_lo, exec_lo, s3
	s_delay_alu instid0(VALU_DEP_1)
	v_perm_b32 v86, v79, v78, 0x7060302
	v_perm_b32 v85, v77, v82, 0x7060302
	;; [unrolled: 1-line block ×4, first 2 shown]
	v_lshl_or_b32 v82, v66, 11, v80
	ds_store_b128 v76, v[83:86] offset:1024
	s_waitcnt lgkmcnt(0)
	s_barrier
	buffer_gl0_inv
	ds_load_b128 v[69:72], v82
	ds_load_b128 v[83:86], v82 offset:16
	s_waitcnt lgkmcnt(1)
	v_lshrrev_b32_e32 v66, 16, v69
	s_waitcnt lgkmcnt(0)
	v_lshrrev_b32_e32 v91, 16, v83
	v_lshlrev_b32_e32 v78, 2, v74
	v_lshrrev_b32_e32 v95, 16, v70
	v_lshrrev_b32_e32 v98, 16, v84
	;; [unrolled: 1-line block ×4, first 2 shown]
	v_cmp_eq_u32_e32 vcc_lo, 1, v78
	v_lshrrev_b32_e32 v97, 16, v72
	v_lshrrev_b32_e32 v100, 16, v86
	v_cndmask_b32_e32 v87, v83, v91, vcc_lo
	v_or_b32_e32 v79, 1, v78
	v_cndmask_b32_e32 v81, v69, v66, vcc_lo
	v_cmp_eq_u32_e64 s4, 2, v78
	v_cmp_eq_u32_e64 s7, 3, v78
	;; [unrolled: 1-line block ×5, first 2 shown]
	v_cndmask_b32_e64 v81, v81, v70, s4
	v_cndmask_b32_e64 v87, v87, v84, s4
	v_cmp_eq_u32_e64 s8, 3, v79
	v_cndmask_b32_e64 v88, v69, v66, s3
	v_or_b32_e32 v77, 2, v78
	v_cndmask_b32_e64 v81, v81, v95, s7
	v_cndmask_b32_e64 v87, v87, v98, s7
	;; [unrolled: 1-line block ×4, first 2 shown]
	v_cmp_eq_u32_e64 s10, 5, v78
	v_cndmask_b32_e64 v81, v81, v71, s9
	v_cndmask_b32_e64 v87, v87, v85, s9
	v_cmp_eq_u32_e64 s11, 4, v79
	v_cndmask_b32_e64 v88, v88, v95, s8
	v_cmp_eq_u32_e64 s5, 1, v77
	v_cndmask_b32_e64 v89, v89, v84, s6
	v_cndmask_b32_e64 v81, v81, v96, s10
	v_cmp_eq_u32_e64 s12, 6, v78
	v_cndmask_b32_e64 v88, v88, v71, s11
	;; [unrolled: 3-line block ×3, first 2 shown]
	v_cndmask_b32_e64 v89, v89, v98, s8
	v_cndmask_b32_e64 v81, v81, v72, s12
	v_cmp_eq_u32_e64 s15, 7, v78
	v_cndmask_b32_e64 v88, v88, v96, s13
	v_cndmask_b32_e64 v87, v87, v86, s12
	v_cmp_eq_u32_e64 s16, 6, v79
	v_cmp_eq_u32_e64 s17, 2, v77
	v_cndmask_b32_e64 v89, v89, v85, s11
	v_cndmask_b32_e64 v101, v81, v97, s15
	;; [unrolled: 1-line block ×6, first 2 shown]
	v_cmp_eq_u32_e64 s18, 7, v79
	v_cmp_eq_u32_e64 s19, 3, v77
	;; [unrolled: 1-line block ×4, first 2 shown]
	v_cndmask_b32_e64 v87, v87, v84, s17
	v_cndmask_b32_e64 v103, v88, v97, s18
	;; [unrolled: 1-line block ×4, first 2 shown]
	v_or_b32_e32 v81, 3, v78
	v_cndmask_b32_e64 v93, v87, v98, s19
	v_cmp_eq_u32_e64 s24, 6, v77
	v_cndmask_b32_e64 v104, v88, v86, s16
	v_cndmask_b32_e64 v92, v89, v71, s20
	v_cmp_eq_u32_e64 s21, 1, v81
	ds_load_b128 v[87:90], v82 offset:1024
	v_cmp_eq_u32_e64 s23, 2, v81
	v_cmp_eq_u32_e64 s25, 3, v81
	v_cndmask_b32_e64 v105, v92, v96, s22
	v_cndmask_b32_e64 v66, v69, v66, s21
	;; [unrolled: 1-line block ×4, first 2 shown]
	ds_load_b128 v[91:94], v82 offset:1040
	v_cmp_eq_u32_e64 s26, 4, v81
	v_cndmask_b32_e64 v66, v66, v70, s23
	v_cmp_eq_u32_e64 s27, 7, v77
	v_cndmask_b32_e64 v70, v83, v84, s23
	v_cndmask_b32_e64 v84, v105, v72, s24
	v_cmp_eq_u32_e64 s28, 5, v81
	v_cndmask_b32_e64 v66, v66, v95, s25
	v_cmp_eq_u32_e64 s29, 6, v81
	v_cndmask_b32_e64 v70, v70, v98, s25
	v_cndmask_b32_e64 v69, v69, v99, s22
	;; [unrolled: 1-line block ×4, first 2 shown]
	s_waitcnt lgkmcnt(1)
	v_lshrrev_b32_e32 v95, 16, v87
	v_cndmask_b32_e64 v70, v70, v85, s26
	v_cndmask_b32_e64 v71, v84, v97, s27
	;; [unrolled: 1-line block ×4, first 2 shown]
	v_cndmask_b32_e32 v84, v87, v95, vcc_lo
	v_cndmask_b32_e64 v70, v70, v99, s28
	s_waitcnt lgkmcnt(0)
	v_lshrrev_b32_e32 v85, 16, v91
	v_lshrrev_b32_e32 v96, 16, v88
	v_cndmask_b32_e64 v98, v87, v95, s3
	v_cndmask_b32_e64 v84, v84, v88, s4
	;; [unrolled: 1-line block ×3, first 2 shown]
	v_cndmask_b32_e32 v99, v91, v85, vcc_lo
	v_cmp_eq_u32_e32 vcc_lo, 7, v81
	v_cndmask_b32_e64 v66, v66, v72, s29
	v_cndmask_b32_e64 v72, v84, v96, s7
	;; [unrolled: 1-line block ×3, first 2 shown]
	v_lshrrev_b32_e32 v98, 16, v92
	v_cndmask_b32_e32 v70, v70, v100, vcc_lo
	v_cndmask_b32_e64 v86, v99, v92, s4
	v_cndmask_b32_e64 v69, v69, v100, s27
	v_lshrrev_b32_e32 v100, 16, v93
	v_cndmask_b32_e64 v72, v72, v89, s9
	v_lshrrev_b32_e32 v99, 16, v89
	v_cndmask_b32_e64 v86, v86, v98, s7
	v_perm_b32 v71, v69, v71, 0x5040100
	v_cndmask_b32_e64 v84, v84, v96, s8
	s_delay_alu instid0(VALU_DEP_3) | instskip(NEXT) | instid1(VALU_DEP_2)
	v_cndmask_b32_e64 v86, v86, v93, s9
	v_cndmask_b32_e64 v84, v84, v89, s11
	s_delay_alu instid0(VALU_DEP_2) | instskip(NEXT) | instid1(VALU_DEP_1)
	v_cndmask_b32_e64 v86, v86, v100, s10
	v_cndmask_b32_e64 v69, v86, v94, s12
	v_cndmask_b32_e64 v86, v87, v95, s5
	v_cndmask_b32_e64 v87, v87, v95, s21
	v_cndmask_b32_e64 v95, v91, v85, s21
	s_delay_alu instid0(VALU_DEP_3) | instskip(NEXT) | instid1(VALU_DEP_3)
	v_cndmask_b32_e64 v86, v86, v88, s17
	v_cndmask_b32_e64 v87, v87, v88, s23
	s_delay_alu instid0(VALU_DEP_3) | instskip(NEXT) | instid1(VALU_DEP_3)
	v_cndmask_b32_e64 v88, v95, v92, s23
	v_cndmask_b32_e64 v86, v86, v96, s19
	;; [unrolled: 3-line block ×7, first 2 shown]
	s_delay_alu instid0(VALU_DEP_3) | instskip(SKIP_2) | instid1(VALU_DEP_2)
	v_cndmask_b32_e64 v88, v88, v94, s29
	v_cndmask_b32_e32 v66, v66, v97, vcc_lo
	v_cndmask_b32_e64 v97, v72, v99, s10
	v_perm_b32 v72, v70, v66, 0x5040100
	v_perm_b32 v70, v83, v103, 0x5040100
	v_cndmask_b32_e64 v103, v91, v85, s5
	v_cndmask_b32_e64 v85, v91, v85, s3
	v_cndmask_b32_e64 v66, v84, v99, s13
	v_cndmask_b32_e64 v84, v97, v90, s12
	v_lshrrev_b32_e32 v97, 16, v90
	v_cndmask_b32_e64 v91, v103, v92, s17
	v_cndmask_b32_e64 v85, v85, v92, s6
	;; [unrolled: 1-line block ×3, first 2 shown]
	s_mov_b32 s3, exec_lo
	v_cndmask_b32_e64 v83, v84, v97, s15
	v_cndmask_b32_e64 v91, v91, v98, s19
	v_cndmask_b32_e64 v85, v85, v98, s8
	v_lshrrev_b32_e32 v84, 16, v94
	v_cndmask_b32_e64 v66, v66, v97, s18
	v_cndmask_b32_e64 v90, v86, v97, s27
	;; [unrolled: 1-line block ×4, first 2 shown]
	v_dual_cndmask_b32 v86, v87, v97 :: v_dual_cndmask_b32 v87, v88, v84
	v_cndmask_b32_e64 v91, v69, v84, s15
	s_delay_alu instid0(VALU_DEP_4) | instskip(NEXT) | instid1(VALU_DEP_4)
	v_cndmask_b32_e64 v89, v89, v100, s22
	v_cndmask_b32_e64 v85, v85, v100, s13
	v_perm_b32 v69, v102, v101, 0x5040100
	v_perm_b32 v86, v87, v86, 0x5040100
	;; [unrolled: 1-line block ×3, first 2 shown]
	v_cndmask_b32_e64 v89, v89, v94, s24
	v_cndmask_b32_e64 v85, v85, v94, s16
	s_mul_i32 s8, s35, 9
	s_delay_alu instid0(VALU_DEP_2) | instskip(NEXT) | instid1(VALU_DEP_2)
	v_cndmask_b32_e64 v88, v89, v84, s27
	v_cndmask_b32_e64 v89, v85, v84, s18
	s_delay_alu instid0(VALU_DEP_2) | instskip(NEXT) | instid1(VALU_DEP_2)
	v_perm_b32 v85, v88, v90, 0x5040100
	v_perm_b32 v84, v89, v66, 0x5040100
	ds_store_b128 v76, v[69:72]
	ds_store_b128 v76, v[83:86] offset:1024
	v_cmpx_gt_u32_e32 9, v0
	s_cbranch_execz .LBB1574_78
; %bb.77:
	s_mul_i32 s4, s8, s30
	s_delay_alu instid0(SALU_CYCLE_1) | instskip(SKIP_1) | instid1(VALU_DEP_1)
	v_add3_u32 v69, s4, s31, v65
	s_load_b128 s[4:7], s[0:1], 0x58
	v_mad_u64_u32 v[65:66], null, v69, s34, s[14:15]
	s_delay_alu instid0(VALU_DEP_1) | instskip(NEXT) | instid1(VALU_DEP_1)
	v_ashrrev_i32_e32 v66, 31, v65
	v_lshlrev_b64 v[65:66], 2, v[65:66]
	s_waitcnt lgkmcnt(0)
	s_delay_alu instid0(VALU_DEP_1) | instskip(NEXT) | instid1(VALU_DEP_2)
	v_add_co_u32 v69, vcc_lo, s6, v65
	v_add_co_ci_u32_e32 v70, vcc_lo, s7, v66, vcc_lo
	v_add_co_u32 v65, vcc_lo, s4, v65
	v_add_co_ci_u32_e32 v66, vcc_lo, s5, v66, vcc_lo
	global_store_b32 v[69:70], v67, off
	global_store_b32 v[65:66], v68, off
.LBB1574_78:
	s_or_b32 exec_lo, exec_lo, s3
	s_waitcnt lgkmcnt(0)
	s_waitcnt_vscnt null, 0x0
	s_barrier
	buffer_gl0_inv
	ds_load_b128 v[83:86], v80
	ds_load_b128 v[87:90], v80 offset:16
	ds_load_b128 v[95:98], v80 offset:2064
	;; [unrolled: 1-line block ×3, first 2 shown]
	v_mov_b32_e32 v65, 0
	ds_load_b128 v[103:106], v80 offset:4112
	ds_load_b128 v[99:102], v80 offset:4096
	;; [unrolled: 1-line block ×4, first 2 shown]
	v_mov_b32_e32 v66, v65
	v_mov_b32_e32 v67, v65
	v_mov_b32_e32 v68, v65
	v_mov_b32_e32 v69, v65
	v_mov_b32_e32 v70, v65
	v_mov_b32_e32 v71, v65
	v_mov_b32_e32 v72, v65
	s_waitcnt lgkmcnt(6)
	s_delay_alu instid0(VALU_DEP_1)
	v_wmma_f32_16x16x16_bf16 v[65:72], v[49:56], v[83:90], v[65:72]
	ds_load_b128 v[53:56], v80 offset:8208
	ds_load_b128 v[49:52], v80 offset:8192
	s_waitcnt lgkmcnt(6)
	v_wmma_f32_16x16x16_bf16 v[65:72], v[41:48], v[91:98], v[65:72]
	ds_load_b128 v[45:48], v80 offset:10256
	ds_load_b128 v[41:44], v80 offset:10240
	s_waitcnt lgkmcnt(6)
	v_wmma_f32_16x16x16_bf16 v[65:72], v[33:40], v[99:106], v[65:72]
	ds_load_b128 v[37:40], v80 offset:12304
	ds_load_b128 v[33:36], v80 offset:12288
	s_waitcnt lgkmcnt(6)
	v_wmma_f32_16x16x16_bf16 v[65:72], v[25:32], v[107:114], v[65:72]
	ds_load_b128 v[29:32], v80 offset:14352
	ds_load_b128 v[25:28], v80 offset:14336
	s_waitcnt lgkmcnt(6)
	v_wmma_f32_16x16x16_bf16 v[65:72], v[1:8], v[49:56], v[65:72]
	s_waitcnt lgkmcnt(4)
	s_delay_alu instid0(VALU_DEP_1) | instskip(SKIP_1) | instid1(VALU_DEP_1)
	v_wmma_f32_16x16x16_bf16 v[65:72], v[9:16], v[41:48], v[65:72]
	s_waitcnt lgkmcnt(2)
	v_wmma_f32_16x16x16_bf16 v[65:72], v[17:24], v[33:40], v[65:72]
	s_waitcnt lgkmcnt(0)
	s_delay_alu instid0(VALU_DEP_1) | instskip(NEXT) | instid1(VALU_DEP_1)
	v_wmma_f32_16x16x16_bf16 v[65:72], v[57:64], v[25:32], v[65:72]
	v_and_b32_e32 v1, 0x7f800000, v65
	s_delay_alu instid0(VALU_DEP_1) | instskip(SKIP_1) | instid1(SALU_CYCLE_1)
	v_cmp_ne_u32_e32 vcc_lo, 0x7f800000, v1
                                        ; implicit-def: $vgpr1
	s_and_saveexec_b32 s3, vcc_lo
	s_xor_b32 s3, exec_lo, s3
; %bb.79:
	v_bfe_u32 v1, v65, 16, 1
	s_delay_alu instid0(VALU_DEP_1)
	v_add3_u32 v1, v65, v1, 0x7fff
; %bb.80:
	s_and_not1_saveexec_b32 s3, s3
; %bb.81:
	v_and_b32_e32 v1, 0xffff, v65
	v_or_b32_e32 v2, 0x10000, v65
	s_delay_alu instid0(VALU_DEP_2) | instskip(NEXT) | instid1(VALU_DEP_2)
	v_cmp_eq_u32_e32 vcc_lo, 0, v1
	v_cndmask_b32_e32 v1, v2, v65, vcc_lo
; %bb.82:
	s_or_b32 exec_lo, exec_lo, s3
	v_and_b32_e32 v2, 0x7f800000, v66
	s_delay_alu instid0(VALU_DEP_1) | instskip(SKIP_1) | instid1(SALU_CYCLE_1)
	v_cmp_ne_u32_e32 vcc_lo, 0x7f800000, v2
                                        ; implicit-def: $vgpr2
	s_and_saveexec_b32 s3, vcc_lo
	s_xor_b32 s3, exec_lo, s3
; %bb.83:
	v_bfe_u32 v2, v66, 16, 1
	s_delay_alu instid0(VALU_DEP_1)
	v_add3_u32 v2, v66, v2, 0x7fff
; %bb.84:
	s_and_not1_saveexec_b32 s3, s3
; %bb.85:
	v_and_b32_e32 v2, 0xffff, v66
	v_or_b32_e32 v3, 0x10000, v66
	s_delay_alu instid0(VALU_DEP_2) | instskip(NEXT) | instid1(VALU_DEP_2)
	v_cmp_eq_u32_e32 vcc_lo, 0, v2
	v_cndmask_b32_e32 v2, v3, v66, vcc_lo
; %bb.86:
	s_or_b32 exec_lo, exec_lo, s3
	v_and_b32_e32 v3, 0x7f800000, v67
	s_delay_alu instid0(VALU_DEP_1) | instskip(SKIP_1) | instid1(SALU_CYCLE_1)
	v_cmp_ne_u32_e32 vcc_lo, 0x7f800000, v3
                                        ; implicit-def: $vgpr3
	s_and_saveexec_b32 s3, vcc_lo
	s_xor_b32 s3, exec_lo, s3
; %bb.87:
	v_bfe_u32 v3, v67, 16, 1
	s_delay_alu instid0(VALU_DEP_1)
	v_add3_u32 v3, v67, v3, 0x7fff
; %bb.88:
	s_and_not1_saveexec_b32 s3, s3
; %bb.89:
	v_and_b32_e32 v3, 0xffff, v67
	v_or_b32_e32 v4, 0x10000, v67
	s_delay_alu instid0(VALU_DEP_2) | instskip(NEXT) | instid1(VALU_DEP_2)
	v_cmp_eq_u32_e32 vcc_lo, 0, v3
	v_cndmask_b32_e32 v3, v4, v67, vcc_lo
; %bb.90:
	s_or_b32 exec_lo, exec_lo, s3
	v_and_b32_e32 v4, 0x7f800000, v68
	s_delay_alu instid0(VALU_DEP_1) | instskip(SKIP_1) | instid1(SALU_CYCLE_1)
	v_cmp_ne_u32_e32 vcc_lo, 0x7f800000, v4
                                        ; implicit-def: $vgpr4
	s_and_saveexec_b32 s3, vcc_lo
	s_xor_b32 s3, exec_lo, s3
; %bb.91:
	v_bfe_u32 v4, v68, 16, 1
	s_delay_alu instid0(VALU_DEP_1)
	v_add3_u32 v4, v68, v4, 0x7fff
; %bb.92:
	s_and_not1_saveexec_b32 s3, s3
; %bb.93:
	v_and_b32_e32 v4, 0xffff, v68
	v_or_b32_e32 v5, 0x10000, v68
	s_delay_alu instid0(VALU_DEP_2) | instskip(NEXT) | instid1(VALU_DEP_2)
	v_cmp_eq_u32_e32 vcc_lo, 0, v4
	v_cndmask_b32_e32 v4, v5, v68, vcc_lo
; %bb.94:
	s_or_b32 exec_lo, exec_lo, s3
	v_and_b32_e32 v5, 0x7f800000, v69
	s_delay_alu instid0(VALU_DEP_1) | instskip(SKIP_1) | instid1(SALU_CYCLE_1)
	v_cmp_ne_u32_e32 vcc_lo, 0x7f800000, v5
                                        ; implicit-def: $vgpr5
	s_and_saveexec_b32 s3, vcc_lo
	s_xor_b32 s3, exec_lo, s3
; %bb.95:
	v_bfe_u32 v5, v69, 16, 1
	s_delay_alu instid0(VALU_DEP_1)
	v_add3_u32 v5, v69, v5, 0x7fff
; %bb.96:
	s_and_not1_saveexec_b32 s3, s3
; %bb.97:
	v_and_b32_e32 v5, 0xffff, v69
	v_or_b32_e32 v6, 0x10000, v69
	s_delay_alu instid0(VALU_DEP_2) | instskip(NEXT) | instid1(VALU_DEP_2)
	v_cmp_eq_u32_e32 vcc_lo, 0, v5
	v_cndmask_b32_e32 v5, v6, v69, vcc_lo
; %bb.98:
	s_or_b32 exec_lo, exec_lo, s3
	v_and_b32_e32 v6, 0x7f800000, v70
	s_delay_alu instid0(VALU_DEP_1) | instskip(SKIP_1) | instid1(SALU_CYCLE_1)
	v_cmp_ne_u32_e32 vcc_lo, 0x7f800000, v6
                                        ; implicit-def: $vgpr6
	s_and_saveexec_b32 s3, vcc_lo
	s_xor_b32 s3, exec_lo, s3
; %bb.99:
	v_bfe_u32 v6, v70, 16, 1
	s_delay_alu instid0(VALU_DEP_1)
	v_add3_u32 v6, v70, v6, 0x7fff
; %bb.100:
	s_and_not1_saveexec_b32 s3, s3
; %bb.101:
	v_and_b32_e32 v6, 0xffff, v70
	v_or_b32_e32 v7, 0x10000, v70
	s_delay_alu instid0(VALU_DEP_2) | instskip(NEXT) | instid1(VALU_DEP_2)
	v_cmp_eq_u32_e32 vcc_lo, 0, v6
	v_cndmask_b32_e32 v6, v7, v70, vcc_lo
; %bb.102:
	s_or_b32 exec_lo, exec_lo, s3
	v_and_b32_e32 v7, 0x7f800000, v71
	s_delay_alu instid0(VALU_DEP_1) | instskip(SKIP_1) | instid1(SALU_CYCLE_1)
	v_cmp_ne_u32_e32 vcc_lo, 0x7f800000, v7
                                        ; implicit-def: $vgpr7
	s_and_saveexec_b32 s3, vcc_lo
	s_xor_b32 s3, exec_lo, s3
; %bb.103:
	v_bfe_u32 v7, v71, 16, 1
	s_delay_alu instid0(VALU_DEP_1)
	v_add3_u32 v7, v71, v7, 0x7fff
; %bb.104:
	s_and_not1_saveexec_b32 s3, s3
; %bb.105:
	v_and_b32_e32 v7, 0xffff, v71
	v_or_b32_e32 v8, 0x10000, v71
	s_delay_alu instid0(VALU_DEP_2) | instskip(NEXT) | instid1(VALU_DEP_2)
	v_cmp_eq_u32_e32 vcc_lo, 0, v7
	v_cndmask_b32_e32 v7, v8, v71, vcc_lo
; %bb.106:
	s_or_b32 exec_lo, exec_lo, s3
	v_and_b32_e32 v8, 0x7f800000, v72
	s_delay_alu instid0(VALU_DEP_1) | instskip(SKIP_1) | instid1(SALU_CYCLE_1)
	v_cmp_ne_u32_e32 vcc_lo, 0x7f800000, v8
                                        ; implicit-def: $vgpr8
	s_and_saveexec_b32 s3, vcc_lo
	s_xor_b32 s3, exec_lo, s3
; %bb.107:
	v_bfe_u32 v8, v72, 16, 1
	s_delay_alu instid0(VALU_DEP_1)
	v_add3_u32 v8, v72, v8, 0x7fff
                                        ; implicit-def: $vgpr65_vgpr66_vgpr67_vgpr68_vgpr69_vgpr70_vgpr71_vgpr72
; %bb.108:
	s_and_not1_saveexec_b32 s3, s3
; %bb.109:
	v_and_b32_e32 v8, 0xffff, v72
	v_or_b32_e32 v9, 0x10000, v72
	s_delay_alu instid0(VALU_DEP_2) | instskip(NEXT) | instid1(VALU_DEP_2)
	v_cmp_eq_u32_e32 vcc_lo, 0, v8
	v_cndmask_b32_e32 v8, v9, v72, vcc_lo
; %bb.110:
	s_or_b32 exec_lo, exec_lo, s3
	s_delay_alu instid0(VALU_DEP_1)
	v_perm_b32 v7, v8, v7, 0x7060302
	v_perm_b32 v6, v6, v5, 0x7060302
	;; [unrolled: 1-line block ×4, first 2 shown]
	s_barrier
	buffer_gl0_inv
	v_cmp_eq_u32_e32 vcc_lo, 1, v78
	ds_store_b128 v76, v[4:7]
	s_waitcnt lgkmcnt(0)
	s_barrier
	buffer_gl0_inv
	ds_load_b128 v[1:4], v82
	ds_load_b128 v[5:8], v82 offset:16
	v_cmp_eq_u32_e64 s3, 1, v79
	v_cmp_eq_u32_e64 s4, 2, v78
	;; [unrolled: 1-line block ×5, first 2 shown]
	s_waitcnt lgkmcnt(1)
	v_lshrrev_b32_e32 v9, 16, v1
	s_waitcnt lgkmcnt(0)
	v_lshrrev_b32_e32 v13, 16, v5
	v_lshrrev_b32_e32 v10, 16, v2
	;; [unrolled: 1-line block ×4, first 2 shown]
	v_cndmask_b32_e64 v19, v1, v9, s3
	v_cndmask_b32_e32 v18, v5, v13, vcc_lo
	v_cndmask_b32_e64 v20, v5, v13, s3
	v_cndmask_b32_e32 v17, v1, v9, vcc_lo
	v_cmp_eq_u32_e32 vcc_lo, 2, v79
	v_lshrrev_b32_e32 v15, 16, v7
	v_cmp_eq_u32_e64 s3, 1, v77
	v_lshrrev_b32_e32 v12, 16, v4
	v_lshrrev_b32_e32 v16, 16, v8
	v_cndmask_b32_e32 v20, v20, v6, vcc_lo
	v_cndmask_b32_e64 v17, v17, v2, s4
	v_cndmask_b32_e32 v19, v19, v2, vcc_lo
	v_cndmask_b32_e64 v18, v18, v6, s4
	v_cmp_eq_u32_e32 vcc_lo, 4, v78
	v_cmp_eq_u32_e64 s4, 3, v79
	v_cndmask_b32_e64 v17, v17, v10, s5
	v_cndmask_b32_e64 v21, v1, v9, s3
	;; [unrolled: 1-line block ×5, first 2 shown]
	v_cndmask_b32_e32 v17, v17, v3, vcc_lo
	v_cndmask_b32_e64 v20, v20, v14, s4
	v_cndmask_b32_e32 v18, v18, v7, vcc_lo
	v_cmp_eq_u32_e32 vcc_lo, 4, v79
	v_cmp_eq_u32_e64 s4, 5, v79
	v_cmp_eq_u32_e64 s3, 2, v81
	v_cndmask_b32_e64 v21, v21, v2, s7
	v_cmp_eq_u32_e64 s5, 5, v78
	v_cndmask_b32_e32 v19, v19, v3, vcc_lo
	v_cndmask_b32_e32 v20, v20, v7, vcc_lo
	v_cmp_eq_u32_e32 vcc_lo, 6, v79
	s_delay_alu instid0(VALU_DEP_4) | instskip(NEXT) | instid1(VALU_DEP_4)
	v_cndmask_b32_e64 v17, v17, v11, s5
	v_cndmask_b32_e64 v19, v19, v11, s4
	s_delay_alu instid0(VALU_DEP_4) | instskip(SKIP_1) | instid1(VALU_DEP_3)
	v_cndmask_b32_e64 v20, v20, v15, s4
	v_cmp_eq_u32_e64 s4, 1, v81
	v_cndmask_b32_e32 v19, v19, v4, vcc_lo
	v_cndmask_b32_e64 v18, v18, v15, s5
	s_delay_alu instid0(VALU_DEP_3)
	v_cndmask_b32_e64 v1, v1, v9, s4
	v_cndmask_b32_e64 v5, v5, v13, s4
	v_cmp_eq_u32_e64 s4, 3, v77
	v_cndmask_b32_e64 v13, v22, v6, s7
	v_cmp_eq_u32_e64 s7, 3, v81
	v_cndmask_b32_e64 v1, v1, v2, s3
	v_cndmask_b32_e64 v2, v5, v6, s3
	;; [unrolled: 1-line block ×3, first 2 shown]
	v_cmp_eq_u32_e64 s3, 4, v77
	v_cndmask_b32_e64 v6, v13, v14, s4
	v_cndmask_b32_e64 v1, v1, v10, s7
	v_cmp_eq_u32_e64 s4, 4, v81
	v_cndmask_b32_e64 v2, v2, v14, s7
	v_cndmask_b32_e64 v5, v9, v3, s3
	;; [unrolled: 3-line block ×3, first 2 shown]
	v_cndmask_b32_e64 v2, v2, v7, s4
	v_cmp_eq_u32_e64 s3, 5, v81
	v_cmp_eq_u32_e64 s5, 6, v78
	v_cndmask_b32_e64 v5, v5, v11, s7
	v_cmp_eq_u32_e64 s4, 6, v77
	v_cndmask_b32_e64 v3, v6, v15, s7
	v_cndmask_b32_e64 v1, v1, v11, s3
	v_cmp_eq_u32_e64 s7, 6, v81
	v_cndmask_b32_e64 v2, v2, v15, s3
	v_cndmask_b32_e64 v17, v17, v4, s5
	v_cndmask_b32_e64 v18, v18, v8, s5
	v_cmp_eq_u32_e64 s5, 7, v78
	v_cndmask_b32_e64 v5, v5, v4, s4
	;; [unrolled: 4-line block ×3, first 2 shown]
	v_cmp_eq_u32_e64 s4, 7, v77
	v_cndmask_b32_e32 v4, v20, v8, vcc_lo
	v_cndmask_b32_e64 v17, v17, v12, s5
	v_cndmask_b32_e64 v19, v19, v12, s6
	;; [unrolled: 1-line block ×8, first 2 shown]
	s_mov_b32 s3, exec_lo
	v_perm_b32 v4, v2, v1, 0x5040100
	v_perm_b32 v3, v3, v5, 0x5040100
	;; [unrolled: 1-line block ×4, first 2 shown]
	ds_store_b128 v76, v[1:4]
	s_waitcnt lgkmcnt(0)
	s_barrier
	buffer_gl0_inv
	v_cmpx_gt_u32_e32 32, v0
	s_cbranch_execz .LBB1574_2
; %bb.111:
	s_load_b64 s[4:5], s[0:1], 0x68
	v_lshlrev_b32_e32 v0, 10, v0
	v_lshlrev_b32_e32 v1, 4, v75
	s_lshl_b32 s0, s34, 7
	v_add_nc_u32_e32 v2, s31, v74
	s_mul_i32 s1, s0, s30
	s_delay_alu instid0(SALU_CYCLE_1) | instskip(SKIP_1) | instid1(VALU_DEP_2)
	s_mul_i32 s6, s1, s8
	v_and_or_b32 v0, 0x3800, v0, v1
	v_mul_lo_u32 v1, v2, s0
	s_ashr_i32 s7, s6, 31
	v_add_nc_u32_e32 v3, 2, v2
	s_lshl_b64 s[6:7], s[6:7], 1
	v_add_nc_u32_e32 v4, 4, v2
	v_add_nc_u32_e32 v5, 6, v2
	v_lshl_or_b32 v15, v74, 6, v0
	v_mul_lo_u32 v3, v3, s0
	v_ashrrev_i32_e32 v2, 31, v1
	v_mul_lo_u32 v19, v4, s0
	v_mul_lo_u32 v21, v5, s0
	s_waitcnt lgkmcnt(0)
	s_add_u32 s1, s4, s6
	s_addc_u32 s3, s5, s7
	s_lshl_b32 s4, s14, 7
	v_lshlrev_b64 v[5:6], 1, v[1:2]
	s_ashr_i32 s5, s4, 31
	v_ashrrev_i32_e32 v4, 31, v3
	s_lshl_b64 s[4:5], s[4:5], 1
	v_ashrrev_i32_e32 v20, 31, v19
	s_add_u32 s1, s1, s4
	s_addc_u32 s3, s3, s5
	v_add_co_u32 v1, s1, s1, v73
	s_delay_alu instid0(VALU_DEP_1) | instskip(SKIP_1) | instid1(VALU_DEP_3)
	v_add_co_ci_u32_e64 v2, null, s3, 0, s1
	v_lshlrev_b64 v[25:26], 1, v[3:4]
	v_add_co_u32 v23, vcc_lo, v1, v5
	s_delay_alu instid0(VALU_DEP_3)
	v_add_co_ci_u32_e32 v24, vcc_lo, v2, v6, vcc_lo
	ds_load_b128 v[3:6], v15
	ds_load_b128 v[7:10], v15 offset:128
	ds_load_b128 v[11:14], v15 offset:256
	;; [unrolled: 1-line block ×3, first 2 shown]
	v_ashrrev_i32_e32 v22, 31, v21
	v_lshlrev_b64 v[19:20], 1, v[19:20]
	v_add_co_u32 v25, vcc_lo, v1, v25
	v_add_co_ci_u32_e32 v26, vcc_lo, v2, v26, vcc_lo
	s_delay_alu instid0(VALU_DEP_4) | instskip(NEXT) | instid1(VALU_DEP_4)
	v_lshlrev_b64 v[21:22], 1, v[21:22]
	v_add_co_u32 v19, vcc_lo, v1, v19
	v_add_co_ci_u32_e32 v20, vcc_lo, v2, v20, vcc_lo
	s_delay_alu instid0(VALU_DEP_3) | instskip(NEXT) | instid1(VALU_DEP_4)
	v_add_co_u32 v21, vcc_lo, v1, v21
	v_add_co_ci_u32_e32 v22, vcc_lo, v2, v22, vcc_lo
	s_waitcnt lgkmcnt(3)
	global_store_b128 v[23:24], v[3:6], off
	s_waitcnt lgkmcnt(2)
	global_store_b128 v[25:26], v[7:10], off
	;; [unrolled: 2-line block ×4, first 2 shown]
	s_and_b32 exec_lo, exec_lo, s2
	s_cbranch_execz .LBB1574_2
; %bb.112:
	ds_load_b128 v[3:6], v0 offset:512
	s_add_i32 s1, s31, 8
	s_delay_alu instid0(SALU_CYCLE_1) | instskip(NEXT) | instid1(SALU_CYCLE_1)
	s_mul_i32 s0, s1, s0
	s_ashr_i32 s1, s0, 31
	s_delay_alu instid0(SALU_CYCLE_1) | instskip(NEXT) | instid1(SALU_CYCLE_1)
	s_lshl_b64 s[0:1], s[0:1], 1
	v_add_co_u32 v0, vcc_lo, v1, s0
	v_add_co_ci_u32_e32 v1, vcc_lo, s1, v2, vcc_lo
	s_waitcnt lgkmcnt(0)
	global_store_b128 v[0:1], v[3:6], off
	s_nop 0
	s_sendmsg sendmsg(MSG_DEALLOC_VGPRS)
	s_endpgm
	.section	.rodata,"a",@progbits
	.p2align	6, 0x0
	.amdhsa_kernel _Z39paged_attention_ll4mi_QKV_mfma16_kernelI14__hip_bfloat16hLN4vllm18Fp8KVCacheDataTypeE1ES0_Li16ELi128ELi256ELb0ELi9EL8MFMAType1EEvPKT_PKT0_S9_ifPKiSB_SB_iPKfiiiPfSE_PS4_PT2_iSD_SD_
		.amdhsa_group_segment_fixed_size 17472
		.amdhsa_private_segment_fixed_size 0
		.amdhsa_kernarg_size 400
		.amdhsa_user_sgpr_count 13
		.amdhsa_user_sgpr_dispatch_ptr 0
		.amdhsa_user_sgpr_queue_ptr 0
		.amdhsa_user_sgpr_kernarg_segment_ptr 1
		.amdhsa_user_sgpr_dispatch_id 0
		.amdhsa_user_sgpr_private_segment_size 0
		.amdhsa_wavefront_size32 1
		.amdhsa_uses_dynamic_stack 0
		.amdhsa_enable_private_segment 0
		.amdhsa_system_sgpr_workgroup_id_x 1
		.amdhsa_system_sgpr_workgroup_id_y 1
		.amdhsa_system_sgpr_workgroup_id_z 1
		.amdhsa_system_sgpr_workgroup_info 0
		.amdhsa_system_vgpr_workitem_id 0
		.amdhsa_next_free_vgpr 140
		.amdhsa_next_free_sgpr 36
		.amdhsa_reserve_vcc 1
		.amdhsa_float_round_mode_32 0
		.amdhsa_float_round_mode_16_64 0
		.amdhsa_float_denorm_mode_32 3
		.amdhsa_float_denorm_mode_16_64 3
		.amdhsa_dx10_clamp 1
		.amdhsa_ieee_mode 1
		.amdhsa_fp16_overflow 0
		.amdhsa_workgroup_processor_mode 1
		.amdhsa_memory_ordered 1
		.amdhsa_forward_progress 0
		.amdhsa_shared_vgpr_count 0
		.amdhsa_exception_fp_ieee_invalid_op 0
		.amdhsa_exception_fp_denorm_src 0
		.amdhsa_exception_fp_ieee_div_zero 0
		.amdhsa_exception_fp_ieee_overflow 0
		.amdhsa_exception_fp_ieee_underflow 0
		.amdhsa_exception_fp_ieee_inexact 0
		.amdhsa_exception_int_div_zero 0
	.end_amdhsa_kernel
	.section	.text._Z39paged_attention_ll4mi_QKV_mfma16_kernelI14__hip_bfloat16hLN4vllm18Fp8KVCacheDataTypeE1ES0_Li16ELi128ELi256ELb0ELi9EL8MFMAType1EEvPKT_PKT0_S9_ifPKiSB_SB_iPKfiiiPfSE_PS4_PT2_iSD_SD_,"axG",@progbits,_Z39paged_attention_ll4mi_QKV_mfma16_kernelI14__hip_bfloat16hLN4vllm18Fp8KVCacheDataTypeE1ES0_Li16ELi128ELi256ELb0ELi9EL8MFMAType1EEvPKT_PKT0_S9_ifPKiSB_SB_iPKfiiiPfSE_PS4_PT2_iSD_SD_,comdat
.Lfunc_end1574:
	.size	_Z39paged_attention_ll4mi_QKV_mfma16_kernelI14__hip_bfloat16hLN4vllm18Fp8KVCacheDataTypeE1ES0_Li16ELi128ELi256ELb0ELi9EL8MFMAType1EEvPKT_PKT0_S9_ifPKiSB_SB_iPKfiiiPfSE_PS4_PT2_iSD_SD_, .Lfunc_end1574-_Z39paged_attention_ll4mi_QKV_mfma16_kernelI14__hip_bfloat16hLN4vllm18Fp8KVCacheDataTypeE1ES0_Li16ELi128ELi256ELb0ELi9EL8MFMAType1EEvPKT_PKT0_S9_ifPKiSB_SB_iPKfiiiPfSE_PS4_PT2_iSD_SD_
                                        ; -- End function
	.section	.AMDGPU.csdata,"",@progbits
; Kernel info:
; codeLenInByte = 8940
; NumSgprs: 38
; NumVgprs: 140
; ScratchSize: 0
; MemoryBound: 0
; FloatMode: 240
; IeeeMode: 1
; LDSByteSize: 17472 bytes/workgroup (compile time only)
; SGPRBlocks: 4
; VGPRBlocks: 17
; NumSGPRsForWavesPerEU: 38
; NumVGPRsForWavesPerEU: 140
; Occupancy: 10
; WaveLimiterHint : 1
; COMPUTE_PGM_RSRC2:SCRATCH_EN: 0
; COMPUTE_PGM_RSRC2:USER_SGPR: 13
; COMPUTE_PGM_RSRC2:TRAP_HANDLER: 0
; COMPUTE_PGM_RSRC2:TGID_X_EN: 1
; COMPUTE_PGM_RSRC2:TGID_Y_EN: 1
; COMPUTE_PGM_RSRC2:TGID_Z_EN: 1
; COMPUTE_PGM_RSRC2:TIDIG_COMP_CNT: 0
	.section	.text._Z39paged_attention_ll4mi_QKV_mfma16_kernelI14__hip_bfloat16hLN4vllm18Fp8KVCacheDataTypeE1ES0_Li16ELi128ELi256ELb0ELi10EL8MFMAType1EEvPKT_PKT0_S9_ifPKiSB_SB_iPKfiiiPfSE_PS4_PT2_iSD_SD_,"axG",@progbits,_Z39paged_attention_ll4mi_QKV_mfma16_kernelI14__hip_bfloat16hLN4vllm18Fp8KVCacheDataTypeE1ES0_Li16ELi128ELi256ELb0ELi10EL8MFMAType1EEvPKT_PKT0_S9_ifPKiSB_SB_iPKfiiiPfSE_PS4_PT2_iSD_SD_,comdat
	.protected	_Z39paged_attention_ll4mi_QKV_mfma16_kernelI14__hip_bfloat16hLN4vllm18Fp8KVCacheDataTypeE1ES0_Li16ELi128ELi256ELb0ELi10EL8MFMAType1EEvPKT_PKT0_S9_ifPKiSB_SB_iPKfiiiPfSE_PS4_PT2_iSD_SD_ ; -- Begin function _Z39paged_attention_ll4mi_QKV_mfma16_kernelI14__hip_bfloat16hLN4vllm18Fp8KVCacheDataTypeE1ES0_Li16ELi128ELi256ELb0ELi10EL8MFMAType1EEvPKT_PKT0_S9_ifPKiSB_SB_iPKfiiiPfSE_PS4_PT2_iSD_SD_
	.globl	_Z39paged_attention_ll4mi_QKV_mfma16_kernelI14__hip_bfloat16hLN4vllm18Fp8KVCacheDataTypeE1ES0_Li16ELi128ELi256ELb0ELi10EL8MFMAType1EEvPKT_PKT0_S9_ifPKiSB_SB_iPKfiiiPfSE_PS4_PT2_iSD_SD_
	.p2align	8
	.type	_Z39paged_attention_ll4mi_QKV_mfma16_kernelI14__hip_bfloat16hLN4vllm18Fp8KVCacheDataTypeE1ES0_Li16ELi128ELi256ELb0ELi10EL8MFMAType1EEvPKT_PKT0_S9_ifPKiSB_SB_iPKfiiiPfSE_PS4_PT2_iSD_SD_,@function
_Z39paged_attention_ll4mi_QKV_mfma16_kernelI14__hip_bfloat16hLN4vllm18Fp8KVCacheDataTypeE1ES0_Li16ELi128ELi256ELb0ELi10EL8MFMAType1EEvPKT_PKT0_S9_ifPKiSB_SB_iPKfiiiPfSE_PS4_PT2_iSD_SD_: ; @_Z39paged_attention_ll4mi_QKV_mfma16_kernelI14__hip_bfloat16hLN4vllm18Fp8KVCacheDataTypeE1ES0_Li16ELi128ELi256ELb0ELi10EL8MFMAType1EEvPKT_PKT0_S9_ifPKiSB_SB_iPKfiiiPfSE_PS4_PT2_iSD_SD_
; %bb.0:
	s_load_b64 s[4:5], s[0:1], 0x30
	s_mov_b32 s30, s13
	s_waitcnt lgkmcnt(0)
	s_cmp_lg_u64 s[4:5], 0
	s_cselect_b32 s13, -1, 0
	s_ashr_i32 s31, s30, 31
	s_cmp_eq_u64 s[4:5], 0
	s_cbranch_scc1 .LBB1575_3
; %bb.1:
	s_lshl_b64 s[2:3], s[30:31], 2
	s_delay_alu instid0(SALU_CYCLE_1) | instskip(SKIP_4) | instid1(SALU_CYCLE_1)
	s_add_u32 s2, s4, s2
	s_addc_u32 s3, s5, s3
	s_load_b64 s[2:3], s[2:3], 0x0
	s_waitcnt lgkmcnt(0)
	s_sub_i32 s2, s3, s2
	s_cmp_eq_u32 s2, 1
	s_cselect_b32 s2, -1, 0
	s_delay_alu instid0(SALU_CYCLE_1)
	s_and_not1_b32 vcc_lo, exec_lo, s2
	s_cbranch_vccz .LBB1575_4
.LBB1575_2:
	s_endpgm
.LBB1575_3:
.LBB1575_4:
	s_load_b64 s[2:3], s[0:1], 0x28
	s_lshl_b64 s[6:7], s[30:31], 2
	s_waitcnt lgkmcnt(0)
	s_add_u32 s2, s2, s6
	s_addc_u32 s3, s3, s7
	s_lshl_b32 s12, s14, 8
	s_load_b32 s17, s[2:3], 0x0
	s_waitcnt lgkmcnt(0)
	s_cmp_ge_i32 s12, s17
	s_cbranch_scc1 .LBB1575_2
; %bb.5:
	s_clause 0x1
	s_load_b128 s[8:11], s[0:1], 0x8
	s_load_b64 s[2:3], s[0:1], 0x20
	s_and_not1_b32 vcc_lo, exec_lo, s13
	s_cbranch_vccnz .LBB1575_7
; %bb.6:
	s_add_u32 s4, s4, s6
	s_addc_u32 s5, s5, s7
	s_load_b32 s13, s[4:5], 0x0
	s_branch .LBB1575_8
.LBB1575_7:
	s_mov_b32 s13, s30
.LBB1575_8:
	s_load_b128 s[4:7], s[0:1], 0x48
	v_and_b32_e32 v65, 15, v0
	v_lshrrev_b32_e32 v66, 5, v0
	v_and_b32_e32 v67, 31, v0
	v_and_b32_e32 v75, 1, v0
	v_bfe_u32 v74, v0, 4, 1
	v_lshlrev_b32_e32 v1, 3, v65
	s_mul_i32 s29, s15, 10
	s_waitcnt lgkmcnt(0)
	s_mov_b32 s7, exec_lo
	s_delay_alu instid0(VALU_DEP_1)
	v_lshlrev_b32_e32 v73, 1, v1
	v_cmpx_gt_u32_e32 0xa0, v0
	s_cbranch_execz .LBB1575_10
; %bb.9:
	s_load_b64 s[18:19], s[0:1], 0x0
	v_lshl_or_b32 v5, v66, 1, v74
	s_mul_hi_i32 s21, s13, s4
	s_mul_i32 s20, s13, s4
	v_lshlrev_b32_e32 v6, 10, v65
	s_lshl_b64 s[20:21], s[20:21], 1
	v_add_lshl_u32 v1, v5, s29, 7
	v_lshlrev_b32_e32 v5, 6, v5
	v_lshlrev_b32_e32 v7, 10, v75
	v_and_b32_e32 v6, 0x3800, v6
	s_delay_alu instid0(VALU_DEP_4) | instskip(NEXT) | instid1(VALU_DEP_2)
	v_ashrrev_i32_e32 v2, 31, v1
	v_or3_b32 v5, v6, v7, v5
	s_delay_alu instid0(VALU_DEP_2) | instskip(SKIP_3) | instid1(VALU_DEP_1)
	v_lshlrev_b64 v[1:2], 1, v[1:2]
	s_waitcnt lgkmcnt(0)
	s_add_u32 s4, s18, s20
	s_addc_u32 s13, s19, s21
	v_add_co_u32 v1, vcc_lo, s4, v1
	s_delay_alu instid0(VALU_DEP_2) | instskip(NEXT) | instid1(VALU_DEP_2)
	v_add_co_ci_u32_e32 v2, vcc_lo, s13, v2, vcc_lo
	v_add_co_u32 v1, vcc_lo, v1, v73
	s_delay_alu instid0(VALU_DEP_2)
	v_add_co_ci_u32_e32 v2, vcc_lo, 0, v2, vcc_lo
	global_load_b128 v[1:4], v[1:2], off
	s_waitcnt vmcnt(0)
	ds_store_b128 v5, v[1:4]
.LBB1575_10:
	s_or_b32 exec_lo, exec_lo, s7
	v_and_b32_e32 v1, 0xef, v0
	s_add_i32 s4, s17, 15
	s_clause 0x1
	s_load_b32 s7, s[0:1], 0x38
	s_load_b32 s18, s[0:1], 0x1c
	s_ashr_i32 s13, s4, 31
	v_add_nc_u32_e32 v1, s12, v1
	s_lshr_b32 s13, s13, 28
	s_waitcnt lgkmcnt(0)
	s_add_i32 s4, s4, s13
	s_barrier
	v_ashrrev_i32_e32 v2, 31, v1
	v_or_b32_e32 v3, 16, v1
	s_ashr_i32 s4, s4, 4
	v_cmp_gt_i32_e32 vcc_lo, s17, v1
	s_add_i32 s4, s4, -1
	v_lshrrev_b32_e32 v2, 28, v2
	buffer_gl0_inv
	s_mul_i32 s15, s15, s6
	v_add_nc_u32_e32 v4, v1, v2
	s_mul_i32 s20, s30, s7
	s_delay_alu instid0(SALU_CYCLE_1) | instskip(NEXT) | instid1(VALU_DEP_1)
	s_ashr_i32 s21, s20, 31
	v_ashrrev_i32_e32 v4, 4, v4
	v_add_nc_u32_e32 v2, v3, v2
	s_lshl_b64 s[20:21], s[20:21], 2
	s_delay_alu instid0(SALU_CYCLE_1) | instskip(NEXT) | instid1(VALU_DEP_2)
	s_add_u32 s13, s2, s20
	v_cndmask_b32_e32 v1, s4, v4, vcc_lo
	s_delay_alu instid0(VALU_DEP_2)
	v_ashrrev_i32_e32 v2, 4, v2
	v_cmp_gt_i32_e32 vcc_lo, s17, v3
	s_addc_u32 s16, s3, s21
	s_ashr_i32 s19, s15, 31
	s_add_u32 s26, s8, s15
	s_addc_u32 s27, s9, s19
	v_cndmask_b32_e32 v3, s4, v2, vcc_lo
	v_ashrrev_i32_e32 v2, 31, v1
	s_lshl_b32 s2, s14, 4
	s_delay_alu instid0(SALU_CYCLE_1) | instskip(NEXT) | instid1(VALU_DEP_2)
	s_ashr_i32 s3, s2, 31
	v_ashrrev_i32_e32 v4, 31, v3
	s_delay_alu instid0(VALU_DEP_2) | instskip(SKIP_1) | instid1(SALU_CYCLE_1)
	v_lshlrev_b64 v[1:2], 2, v[1:2]
	s_lshl_b64 s[2:3], s[2:3], 2
	s_add_u32 s2, s13, s2
	s_delay_alu instid0(VALU_DEP_2) | instskip(SKIP_1) | instid1(VALU_DEP_2)
	v_lshlrev_b64 v[3:4], 2, v[3:4]
	s_addc_u32 s3, s16, s3
	v_add_co_u32 v1, vcc_lo, s13, v1
	v_add_co_ci_u32_e32 v2, vcc_lo, s16, v2, vcc_lo
	s_delay_alu instid0(VALU_DEP_3) | instskip(NEXT) | instid1(VALU_DEP_4)
	v_add_co_u32 v3, vcc_lo, s13, v3
	v_add_co_ci_u32_e32 v4, vcc_lo, s16, v4, vcc_lo
	s_clause 0x1
	global_load_b32 v5, v[1:2], off
	global_load_b32 v3, v[3:4], off
	s_or_b32 s6, s12, 32
	v_cmp_gt_u32_e32 vcc_lo, 10, v65
	s_ashr_i32 s7, s6, 4
	s_cmp_lt_i32 s6, s17
	s_cselect_b32 s6, s7, s4
	s_delay_alu instid0(SALU_CYCLE_1) | instskip(NEXT) | instid1(SALU_CYCLE_1)
	s_ashr_i32 s7, s6, 31
	s_lshl_b64 s[6:7], s[6:7], 2
	s_delay_alu instid0(SALU_CYCLE_1) | instskip(SKIP_2) | instid1(SALU_CYCLE_1)
	s_add_u32 s6, s13, s6
	s_addc_u32 s7, s16, s7
	s_or_b32 s8, s12, 64
	s_ashr_i32 s9, s8, 4
	s_cmp_lt_i32 s8, s17
	s_cselect_b32 s8, s9, s4
	s_delay_alu instid0(SALU_CYCLE_1) | instskip(NEXT) | instid1(SALU_CYCLE_1)
	s_ashr_i32 s9, s8, 31
	s_lshl_b64 s[8:9], s[8:9], 2
	s_delay_alu instid0(SALU_CYCLE_1) | instskip(SKIP_2) | instid1(SALU_CYCLE_1)
	s_add_u32 s8, s13, s8
	s_addc_u32 s9, s16, s9
	s_or_b32 s20, s12, 0x60
	;; [unrolled: 10-line block ×4, first 2 shown]
	s_ashr_i32 s25, s24, 4
	s_cmp_lt_i32 s24, s17
	s_cselect_b32 s24, s25, s4
	s_delay_alu instid0(SALU_CYCLE_1) | instskip(NEXT) | instid1(SALU_CYCLE_1)
	s_ashr_i32 s25, s24, 31
	s_lshl_b64 s[24:25], s[24:25], 2
	s_delay_alu instid0(SALU_CYCLE_1)
	s_add_u32 s24, s13, s24
	s_addc_u32 s25, s16, s25
	s_clause 0x5
	s_load_b32 s28, s[2:3], 0x0
	s_load_b32 s31, s[6:7], 0x0
	;; [unrolled: 1-line block ×6, first 2 shown]
	s_mov_b32 s20, 0
	s_or_b32 s2, s12, 0xc0
	s_mov_b32 s21, s20
	s_mov_b32 s22, s20
	;; [unrolled: 1-line block ×5, first 2 shown]
	v_lshlrev_b32_e32 v1, 4, v0
	s_ashr_i32 s3, s2, 4
	s_cmp_lt_i32 s2, s17
	s_cselect_b32 s2, s3, s4
	s_delay_alu instid0(VALU_DEP_1) | instskip(SKIP_1) | instid1(SALU_CYCLE_1)
	v_and_b32_e32 v1, 0xf0, v1
	s_ashr_i32 s3, s2, 31
	s_lshl_b64 s[2:3], s[2:3], 2
	s_delay_alu instid0(VALU_DEP_1) | instskip(NEXT) | instid1(VALU_DEP_1)
	v_add_co_u32 v1, s26, s26, v1
	v_add_co_ci_u32_e64 v2, null, s27, 0, s26
	s_add_u32 s2, s13, s2
	s_addc_u32 s3, s16, s3
	s_or_b32 s6, s12, 0xe0
	s_mov_b32 s27, s20
	s_ashr_i32 s7, s6, 4
	s_cmp_lt_i32 s6, s17
	s_mov_b32 s26, s20
	v_dual_mov_b32 v107, s27 :: v_dual_mov_b32 v100, s20
	s_cselect_b32 s6, s7, s4
	v_mov_b32_e32 v106, s26
	s_ashr_i32 s7, s6, 31
	v_mov_b32_e32 v104, s24
	s_lshl_b64 s[6:7], s[6:7], 2
	v_dual_mov_b32 v103, s23 :: v_dual_mov_b32 v102, s22
	v_mov_b32_e32 v101, s21
	s_waitcnt vmcnt(1)
	v_mad_i64_i32 v[33:34], null, v5, s5, v[1:2]
	s_waitcnt vmcnt(0)
	v_mad_i64_i32 v[35:36], null, v3, s5, v[1:2]
	s_clause 0xf
	global_load_b128 v[1:4], v[33:34], off
	global_load_b128 v[5:8], v[33:34], off offset:256
	global_load_b128 v[9:12], v[35:36], off
	global_load_b128 v[13:16], v[35:36], off offset:256
	global_load_b128 v[17:20], v[33:34], off offset:512
	;; [unrolled: 1-line block ×13, first 2 shown]
	v_add_nc_u32_e32 v33, -10, v65
	v_lshlrev_b32_e32 v34, 4, v65
	s_delay_alu instid0(VALU_DEP_2) | instskip(SKIP_1) | instid1(VALU_DEP_3)
	v_cndmask_b32_e32 v33, v33, v65, vcc_lo
	v_mov_b32_e32 v105, s25
	v_lshl_or_b32 v41, v66, 8, v34
	s_delay_alu instid0(VALU_DEP_3)
	v_lshlrev_b32_e32 v72, 6, v33
	ds_load_b128 v[33:36], v72
	ds_load_b128 v[37:40], v72 offset:1024
	ds_load_b128 v[108:111], v72 offset:2048
	;; [unrolled: 1-line block ×3, first 2 shown]
	s_load_b32 s4, s[2:3], 0x0
	s_add_u32 s2, s13, s6
	s_addc_u32 s3, s16, s7
	ds_load_b128 v[116:119], v72 offset:4096
	ds_load_b128 v[120:123], v72 offset:5120
	s_load_b32 s2, s[2:3], 0x0
	s_add_u32 s6, s10, s15
	s_addc_u32 s7, s11, s19
	v_add_co_u32 v68, s6, s6, v41
	s_delay_alu instid0(VALU_DEP_1) | instskip(SKIP_1) | instid1(VALU_DEP_1)
	v_add_co_ci_u32_e64 v69, null, s7, 0, s6
	s_waitcnt lgkmcnt(0)
	v_mad_i64_i32 v[41:42], null, s28, s5, v[68:69]
	v_mad_i64_i32 v[70:71], null, s8, s5, v[68:69]
	;; [unrolled: 1-line block ×7, first 2 shown]
	s_clause 0x3
	global_load_b128 v[49:52], v[41:42], off
	global_load_b128 v[53:56], v[41:42], off offset:16
	global_load_b128 v[41:44], v[45:46], off
	global_load_b128 v[45:48], v[45:46], off offset:16
	s_waitcnt vmcnt(18)
	v_wmma_f32_16x16x16_bf16 v[124:131], v[1:8], v[33:40], v[100:107]
	s_waitcnt vmcnt(16)
	v_wmma_f32_16x16x16_bf16 v[100:107], v[9:16], v[33:40], v[100:107]
	s_clause 0x1
	global_load_b128 v[33:36], v[70:71], off
	global_load_b128 v[37:40], v[70:71], off offset:16
	v_mad_i64_i32 v[70:71], null, s2, s5, v[68:69]
	s_waitcnt vmcnt(16)
	v_wmma_f32_16x16x16_bf16 v[124:131], v[17:24], v[108:115], v[124:131]
	s_waitcnt vmcnt(14)
	v_wmma_f32_16x16x16_bf16 v[100:107], v[25:32], v[108:115], v[100:107]
	s_clause 0x7
	global_load_b128 v[25:28], v[132:133], off
	global_load_b128 v[29:32], v[132:133], off offset:16
	global_load_b128 v[1:4], v[134:135], off
	global_load_b128 v[5:8], v[134:135], off offset:16
	;; [unrolled: 2-line block ×4, first 2 shown]
	s_waitcnt vmcnt(20)
	v_wmma_f32_16x16x16_bf16 v[124:131], v[57:64], v[116:123], v[124:131]
	s_clause 0x1
	global_load_b128 v[57:60], v[70:71], off
	global_load_b128 v[61:64], v[70:71], off offset:16
	s_waitcnt vmcnt(20)
	v_wmma_f32_16x16x16_bf16 v[100:107], v[76:83], v[116:123], v[100:107]
	ds_load_b128 v[76:79], v72 offset:6144
	ds_load_b128 v[80:83], v72 offset:7168
	v_and_b32_e32 v68, 0xe0, v0
	v_mbcnt_lo_u32_b32 v69, -1, 0
	s_waitcnt vmcnt(0) lgkmcnt(0)
	s_barrier
	buffer_gl0_inv
	v_add_nc_u32_e32 v68, s12, v68
	v_xor_b32_e32 v70, 16, v69
	s_delay_alu instid0(VALU_DEP_2) | instskip(NEXT) | instid1(VALU_DEP_2)
	v_or_b32_e32 v68, v68, v74
	v_cmp_gt_i32_e32 vcc_lo, 32, v70
	s_delay_alu instid0(VALU_DEP_2)
	v_or_b32_e32 v71, 4, v68
	v_or_b32_e32 v72, 6, v68
	v_cmp_gt_i32_e64 s2, s17, v68
	v_or_b32_e32 v108, 8, v68
	v_wmma_f32_16x16x16_bf16 v[124:131], v[84:91], v[76:83], v[124:131]
	v_cndmask_b32_e32 v69, v69, v70, vcc_lo
	v_or_b32_e32 v70, 2, v68
	v_wmma_f32_16x16x16_bf16 v[100:107], v[92:99], v[76:83], v[100:107]
	v_or_b32_e32 v109, 10, v68
	v_dual_mul_f32 v82, s18, v127 :: v_dual_mul_f32 v79, s18, v130
	v_dual_mul_f32 v92, s18, v125 :: v_dual_mul_f32 v93, s18, v124
	s_delay_alu instid0(VALU_DEP_4)
	v_mul_f32_e32 v98, s18, v103
	v_cmp_gt_i32_e32 vcc_lo, s17, v70
	v_or_b32_e32 v89, 22, v68
	v_dual_mul_f32 v83, s18, v126 :: v_dual_mul_f32 v96, s18, v105
	v_cndmask_b32_e64 v93, 0xff7fffff, v93, s2
	v_cndmask_b32_e32 v92, 0xff7fffff, v92, vcc_lo
	v_cmp_gt_i32_e64 s3, s17, v71
	v_cmp_gt_i32_e64 s4, s17, v72
	v_or_b32_e32 v84, 12, v68
	v_or_b32_e32 v85, 14, v68
	v_dual_mul_f32 v80, s18, v129 :: v_dual_mul_f32 v81, s18, v128
	v_mul_f32_e32 v94, s18, v107
	v_cndmask_b32_e64 v71, 0xff7fffff, v83, s3
	v_cndmask_b32_e64 v72, 0xff7fffff, v82, s4
	v_cmp_gt_i32_e64 s5, s17, v108
	v_cmp_gt_i32_e64 s6, s17, v109
	;; [unrolled: 1-line block ×3, first 2 shown]
	v_lshlrev_b32_e32 v89, 2, v69
	v_max3_f32 v82, v93, 0xff7fffff, v92
	v_or_b32_e32 v86, 16, v68
	v_or_b32_e32 v87, 18, v68
	v_mul_f32_e32 v78, s18, v131
	v_cndmask_b32_e64 v81, 0xff7fffff, v81, s5
	v_cndmask_b32_e64 v80, 0xff7fffff, v80, s6
	v_max3_f32 v71, v82, v71, v72
	v_cmp_gt_i32_e64 s7, s17, v84
	v_cmp_gt_i32_e64 s8, s17, v85
	v_or_b32_e32 v88, 20, v68
	v_or_b32_e32 v90, 24, v68
	;; [unrolled: 1-line block ×5, first 2 shown]
	v_dual_mul_f32 v95, s18, v106 :: v_dual_mul_f32 v70, s18, v101
	v_dual_mul_f32 v99, s18, v102 :: v_dual_mul_f32 v68, s18, v100
	v_cndmask_b32_e64 v72, 0xff7fffff, v79, s7
	v_cndmask_b32_e64 v78, 0xff7fffff, v78, s8
	v_max3_f32 v71, v71, v81, v80
	v_cmp_gt_i32_e64 s9, s17, v86
	v_cmp_gt_i32_e64 s10, s17, v87
	;; [unrolled: 1-line block ×3, first 2 shown]
	v_mul_f32_e32 v97, s18, v104
	v_max3_f32 v71, v71, v72, v78
	v_cndmask_b32_e64 v68, 0xff7fffff, v68, s9
	v_cndmask_b32_e64 v70, 0xff7fffff, v70, s10
	v_cndmask_b32_e64 v72, 0xff7fffff, v99, s11
	v_cndmask_b32_e64 v78, 0xff7fffff, v98, s12
	v_cmp_gt_i32_e64 s13, s17, v90
	v_cmp_gt_i32_e64 s15, s17, v91
	v_max3_f32 v68, v71, v68, v70
	v_cmp_gt_i32_e64 s16, s17, v76
	v_cmp_gt_i32_e64 s17, s17, v77
	v_cndmask_b32_e64 v70, 0xff7fffff, v97, s13
	v_cndmask_b32_e64 v71, 0xff7fffff, v96, s15
	v_max3_f32 v68, v68, v72, v78
	v_cndmask_b32_e64 v72, 0xff7fffff, v95, s16
	v_cndmask_b32_e64 v76, 0xff7fffff, v94, s17
	s_delay_alu instid0(VALU_DEP_3) | instskip(NEXT) | instid1(VALU_DEP_1)
	v_max3_f32 v68, v68, v70, v71
	v_max3_f32 v68, v68, v72, v76
	ds_bpermute_b32 v69, v89, v68
	s_waitcnt lgkmcnt(0)
	v_max_f32_e32 v69, v69, v69
	s_delay_alu instid0(VALU_DEP_1) | instskip(NEXT) | instid1(VALU_DEP_1)
	v_max_f32_e32 v68, v68, v69
	v_fma_f32 v69, s18, v124, -v68
	v_fma_f32 v70, s18, v125, -v68
	v_fma_f32 v72, s18, v127, -v68
	v_fma_f32 v71, s18, v126, -v68
	v_fma_f32 v76, s18, v128, -v68
	s_delay_alu instid0(VALU_DEP_4) | instskip(NEXT) | instid1(VALU_DEP_4)
	v_dual_mul_f32 v69, 0x3fb8aa3b, v69 :: v_dual_mul_f32 v70, 0x3fb8aa3b, v70
	v_mul_f32_e32 v72, 0x3fb8aa3b, v72
	v_fma_f32 v78, s18, v130, -v68
	s_delay_alu instid0(VALU_DEP_4) | instskip(NEXT) | instid1(VALU_DEP_4)
	v_mul_f32_e32 v77, 0x3fb8aa3b, v76
	v_exp_f32_e32 v69, v69
	v_exp_f32_e32 v70, v70
	v_mul_f32_e32 v71, 0x3fb8aa3b, v71
	v_exp_f32_e32 v72, v72
	v_mul_f32_e32 v78, 0x3fb8aa3b, v78
	v_exp_f32_e32 v77, v77
	v_fma_f32 v81, s18, v105, -v68
	s_delay_alu instid0(VALU_DEP_2)
	v_exp_f32_e32 v78, v78
	v_cndmask_b32_e64 v80, 0, v69, s2
	v_cndmask_b32_e32 v76, 0, v70, vcc_lo
	v_exp_f32_e32 v71, v71
	v_fma_f32 v69, s18, v129, -v68
	v_cndmask_b32_e64 v85, 0, v72, s4
	v_add_f32_e32 v70, 0, v80
	s_delay_alu instid0(TRANS32_DEP_3)
	v_cndmask_b32_e64 v86, 0, v77, s5
	v_fma_f32 v77, s18, v101, -v68
	v_mul_f32_e32 v69, 0x3fb8aa3b, v69
	v_fma_f32 v72, s18, v100, -v68
	v_cndmask_b32_e64 v84, 0, v78, s7
	v_fma_f32 v78, s18, v103, -v68
	v_cndmask_b32_e64 v83, 0, v71, s3
	v_fma_f32 v71, s18, v131, -v68
	v_add_f32_e32 v70, v70, v76
	v_exp_f32_e32 v69, v69
	v_mul_f32_e32 v77, 0x3fb8aa3b, v77
	v_mul_f32_e32 v81, 0x3fb8aa3b, v81
	;; [unrolled: 1-line block ×3, first 2 shown]
	v_add_f32_e32 v70, v70, v83
	s_mov_b32 s2, exec_lo
	v_exp_f32_e32 v77, v77
	v_exp_f32_e32 v81, v81
	;; [unrolled: 1-line block ×3, first 2 shown]
	v_cndmask_b32_e64 v87, 0, v69, s6
	v_add_f32_e32 v70, v70, v85
	s_delay_alu instid0(VALU_DEP_1) | instskip(SKIP_1) | instid1(VALU_DEP_2)
	v_dual_mul_f32 v72, 0x3fb8aa3b, v72 :: v_dual_add_f32 v69, v70, v86
	v_fma_f32 v70, s18, v102, -v68
	v_exp_f32_e32 v72, v72
	s_waitcnt_depctr 0xfff
	v_cndmask_b32_e64 v88, 0, v71, s8
	v_fma_f32 v71, s18, v104, -v68
	v_dual_add_f32 v69, v69, v87 :: v_dual_mul_f32 v70, 0x3fb8aa3b, v70
	s_delay_alu instid0(VALU_DEP_2) | instskip(NEXT) | instid1(VALU_DEP_2)
	v_dual_mul_f32 v78, 0x3fb8aa3b, v78 :: v_dual_mul_f32 v71, 0x3fb8aa3b, v71
	v_add_f32_e32 v69, v69, v84
	s_delay_alu instid0(VALU_DEP_3) | instskip(SKIP_1) | instid1(VALU_DEP_3)
	v_exp_f32_e32 v79, v70
	v_cndmask_b32_e64 v70, 0, v72, s9
	v_exp_f32_e32 v78, v78
	v_exp_f32_e32 v82, v71
	v_add_f32_e32 v72, v69, v88
	v_cndmask_b32_e64 v69, 0, v77, s10
	v_fma_f32 v77, s18, v106, -v68
	s_delay_alu instid0(VALU_DEP_3) | instskip(NEXT) | instid1(TRANS32_DEP_3)
	v_add_f32_e32 v72, v72, v70
	v_cndmask_b32_e64 v71, 0, v79, s11
	s_delay_alu instid0(VALU_DEP_3) | instskip(NEXT) | instid1(VALU_DEP_3)
	v_mul_f32_e32 v77, 0x3fb8aa3b, v77
	v_add_f32_e32 v79, v72, v69
	s_delay_alu instid0(TRANS32_DEP_2) | instskip(NEXT) | instid1(VALU_DEP_3)
	v_cndmask_b32_e64 v72, 0, v78, s12
	v_exp_f32_e32 v90, v77
	v_cndmask_b32_e64 v77, 0, v82, s13
	s_delay_alu instid0(VALU_DEP_3) | instskip(SKIP_1) | instid1(VALU_DEP_1)
	v_add_f32_e32 v78, v79, v71
	v_fma_f32 v79, s18, v107, -v68
	v_dual_add_f32 v82, v78, v72 :: v_dual_mul_f32 v79, 0x3fb8aa3b, v79
	v_cndmask_b32_e64 v78, 0, v81, s15
	s_delay_alu instid0(VALU_DEP_2) | instskip(NEXT) | instid1(VALU_DEP_3)
	v_add_f32_e32 v81, v82, v77
	v_exp_f32_e32 v82, v79
	s_delay_alu instid0(TRANS32_DEP_2) | instskip(NEXT) | instid1(VALU_DEP_2)
	v_cndmask_b32_e64 v79, 0, v90, s16
	v_add_f32_e32 v81, v81, v78
	s_delay_alu instid0(VALU_DEP_1) | instskip(SKIP_2) | instid1(VALU_DEP_1)
	v_add_f32_e32 v90, v81, v79
	s_waitcnt_depctr 0xfff
	v_cndmask_b32_e64 v81, 0, v82, s17
	v_add_f32_e32 v82, v90, v81
	ds_bpermute_b32 v89, v89, v82
	v_cmpx_gt_u32_e32 16, v67
	s_cbranch_execz .LBB1575_12
; %bb.11:
	v_mul_u32_u24_e32 v67, 0x44, v66
	s_delay_alu instid0(VALU_DEP_1) | instskip(SKIP_1) | instid1(VALU_DEP_1)
	v_lshl_add_u32 v67, v65, 2, v67
	s_waitcnt lgkmcnt(0)
	v_dual_add_f32 v82, v82, v89 :: v_dual_add_nc_u32 v67, 0x4000, v67
	ds_store_2addr_b32 v67, v68, v82 offset1:136
.LBB1575_12:
	s_or_b32 exec_lo, exec_lo, s2
	v_lshlrev_b32_e32 v67, 2, v65
	s_waitcnt lgkmcnt(0)
	s_barrier
	buffer_gl0_inv
	v_cmp_eq_u32_e32 vcc_lo, 1, v66
	v_add_nc_u32_e32 v82, 0x4000, v67
	v_cmp_eq_u32_e64 s2, 2, v66
	v_cmp_eq_u32_e64 s4, 7, v66
	ds_load_2addr_b32 v[89:90], v82 offset1:17
	ds_load_2addr_b32 v[91:92], v82 offset0:34 offset1:51
	ds_load_2addr_b32 v[93:94], v82 offset0:68 offset1:85
	;; [unrolled: 1-line block ×4, first 2 shown]
	s_waitcnt lgkmcnt(4)
	v_max3_f32 v67, v89, 0xff7fffff, v90
	s_waitcnt lgkmcnt(3)
	s_delay_alu instid0(VALU_DEP_1) | instskip(SKIP_1) | instid1(VALU_DEP_1)
	v_max3_f32 v67, v67, v91, v92
	s_waitcnt lgkmcnt(2)
	v_max3_f32 v67, v67, v93, v94
	s_waitcnt lgkmcnt(1)
	s_delay_alu instid0(VALU_DEP_1) | instskip(NEXT) | instid1(VALU_DEP_1)
	v_max3_f32 v67, v67, v95, v96
	v_sub_f32_e32 v93, v93, v67
	s_delay_alu instid0(VALU_DEP_1) | instskip(NEXT) | instid1(VALU_DEP_1)
	v_dual_sub_f32 v68, v89, v67 :: v_dual_mul_f32 v103, 0x3fb8aa3b, v93
	v_mul_f32_e32 v68, 0x3fb8aa3b, v68
	s_delay_alu instid0(VALU_DEP_1)
	v_exp_f32_e32 v100, v68
	v_sub_f32_e32 v68, v92, v67
	v_sub_f32_e32 v99, v90, v67
	ds_load_2addr_b32 v[89:90], v82 offset0:170 offset1:187
	v_dual_mul_f32 v102, 0x3fb8aa3b, v68 :: v_dual_mul_f32 v99, 0x3fb8aa3b, v99
	s_waitcnt lgkmcnt(1)
	v_fma_f32 v68, v100, v97, 0
	s_delay_alu instid0(VALU_DEP_2) | instskip(NEXT) | instid1(VALU_DEP_2)
	v_exp_f32_e32 v102, v102
	v_exp_f32_e32 v99, v99
	s_waitcnt_depctr 0xfff
	v_fmac_f32_e32 v68, v99, v98
	v_sub_f32_e32 v91, v91, v67
	s_delay_alu instid0(VALU_DEP_1)
	v_mul_f32_e32 v101, 0x3fb8aa3b, v91
	ds_load_2addr_b32 v[91:92], v82 offset0:204 offset1:221
	v_sub_f32_e32 v97, v94, v67
	ds_load_2addr_b32 v[93:94], v82 offset0:238 offset1:255
	s_waitcnt lgkmcnt(0)
	v_exp_f32_e32 v101, v101
	s_barrier
	buffer_gl0_inv
	v_dual_fmac_f32 v68, v101, v89 :: v_dual_sub_f32 v89, v96, v67
	v_dual_sub_f32 v82, v95, v67 :: v_dual_mul_f32 v95, 0x3fb8aa3b, v97
	v_exp_f32_e32 v97, v103
	s_delay_alu instid0(VALU_DEP_2) | instskip(NEXT) | instid1(VALU_DEP_2)
	v_dual_fmac_f32 v68, v102, v90 :: v_dual_mul_f32 v89, 0x3fb8aa3b, v89
	v_mul_f32_e32 v82, 0x3fb8aa3b, v82
	s_delay_alu instid0(VALU_DEP_3) | instskip(NEXT) | instid1(VALU_DEP_2)
	v_exp_f32_e32 v95, v95
	v_exp_f32_e32 v89, v89
	s_delay_alu instid0(VALU_DEP_1)
	v_exp_f32_e32 v82, v82
	v_fmac_f32_e32 v68, v97, v91
	s_delay_alu instid0(TRANS32_DEP_3) | instid1(VALU_DEP_1)
	v_fmac_f32_e32 v68, v95, v92
	s_waitcnt_depctr 0xfff
	v_fmac_f32_e32 v68, v82, v93
	s_delay_alu instid0(VALU_DEP_1) | instskip(NEXT) | instid1(VALU_DEP_1)
	v_fmac_f32_e32 v68, v89, v94
	v_add_f32_e32 v90, 0x358637bd, v68
	s_delay_alu instid0(VALU_DEP_1) | instskip(NEXT) | instid1(VALU_DEP_1)
	v_div_scale_f32 v91, null, v90, v90, 1.0
	v_rcp_f32_e32 v92, v91
	s_waitcnt_depctr 0xfff
	v_fma_f32 v93, -v91, v92, 1.0
	s_delay_alu instid0(VALU_DEP_1) | instskip(SKIP_1) | instid1(VALU_DEP_2)
	v_dual_fmac_f32 v92, v93, v92 :: v_dual_cndmask_b32 v93, v100, v99
	v_cmp_eq_u32_e32 vcc_lo, 3, v66
	v_cndmask_b32_e64 v93, v93, v101, s2
	v_cmp_eq_u32_e64 s2, 4, v66
	s_delay_alu instid0(VALU_DEP_2) | instskip(SKIP_1) | instid1(VALU_DEP_2)
	v_cndmask_b32_e32 v93, v93, v102, vcc_lo
	v_cmp_eq_u32_e32 vcc_lo, 5, v66
	v_cndmask_b32_e64 v93, v93, v97, s2
	v_cmp_eq_u32_e64 s2, 6, v66
	s_delay_alu instid0(VALU_DEP_2) | instskip(SKIP_1) | instid1(VALU_DEP_1)
	v_cndmask_b32_e32 v93, v93, v95, vcc_lo
	v_div_scale_f32 v94, s3, 1.0, v90, 1.0
	s_mov_b32 vcc_lo, s3
	s_delay_alu instid0(VALU_DEP_2) | instskip(NEXT) | instid1(VALU_DEP_2)
	v_cndmask_b32_e64 v82, v93, v82, s2
	v_mul_f32_e32 v96, v94, v92
	s_mov_b32 s2, exec_lo
	s_delay_alu instid0(VALU_DEP_2) | instskip(NEXT) | instid1(VALU_DEP_2)
	v_cndmask_b32_e64 v82, v82, v89, s4
	v_fma_f32 v98, -v91, v96, v94
	s_delay_alu instid0(VALU_DEP_1) | instskip(NEXT) | instid1(VALU_DEP_1)
	v_fmac_f32_e32 v96, v98, v92
	v_fma_f32 v91, -v91, v96, v94
	s_delay_alu instid0(VALU_DEP_1) | instskip(NEXT) | instid1(VALU_DEP_1)
	v_div_fmas_f32 v91, v91, v92, v96
	v_div_fixup_f32 v90, v91, v90, 1.0
	s_delay_alu instid0(VALU_DEP_1) | instskip(NEXT) | instid1(VALU_DEP_1)
	v_mul_f32_e32 v82, v82, v90
	v_mul_f32_e32 v87, v82, v87
	;; [unrolled: 1-line block ×7, first 2 shown]
	v_dual_mul_f32 v86, v82, v83 :: v_dual_and_b32 v91, 0x7f800000, v90
	v_mul_f32_e32 v85, v82, v76
                                        ; implicit-def: $vgpr76
	s_delay_alu instid0(VALU_DEP_2)
	v_cmpx_ne_u32_e32 0x7f800000, v91
	s_xor_b32 s2, exec_lo, s2
; %bb.13:
	v_bfe_u32 v76, v90, 16, 1
	s_delay_alu instid0(VALU_DEP_1)
	v_add3_u32 v76, v90, v76, 0x7fff
                                        ; implicit-def: $vgpr90
; %bb.14:
	s_and_not1_saveexec_b32 s2, s2
; %bb.15:
	v_and_b32_e32 v76, 0xffff, v90
	v_or_b32_e32 v83, 0x10000, v90
	s_delay_alu instid0(VALU_DEP_2) | instskip(NEXT) | instid1(VALU_DEP_2)
	v_cmp_eq_u32_e32 vcc_lo, 0, v76
	v_cndmask_b32_e32 v76, v83, v90, vcc_lo
; %bb.16:
	s_or_b32 exec_lo, exec_lo, s2
	v_and_b32_e32 v83, 0x7f800000, v85
	s_delay_alu instid0(VALU_DEP_1) | instskip(SKIP_1) | instid1(SALU_CYCLE_1)
	v_cmp_ne_u32_e32 vcc_lo, 0x7f800000, v83
                                        ; implicit-def: $vgpr83
	s_and_saveexec_b32 s2, vcc_lo
	s_xor_b32 s2, exec_lo, s2
; %bb.17:
	v_bfe_u32 v83, v85, 16, 1
	s_delay_alu instid0(VALU_DEP_1)
	v_add3_u32 v83, v85, v83, 0x7fff
                                        ; implicit-def: $vgpr85
; %bb.18:
	s_and_not1_saveexec_b32 s2, s2
; %bb.19:
	v_and_b32_e32 v83, 0xffff, v85
	v_or_b32_e32 v90, 0x10000, v85
	s_delay_alu instid0(VALU_DEP_2) | instskip(NEXT) | instid1(VALU_DEP_2)
	v_cmp_eq_u32_e32 vcc_lo, 0, v83
	v_cndmask_b32_e32 v83, v90, v85, vcc_lo
; %bb.20:
	s_or_b32 exec_lo, exec_lo, s2
	v_and_b32_e32 v85, 0x7f800000, v86
	s_delay_alu instid0(VALU_DEP_1) | instskip(SKIP_1) | instid1(SALU_CYCLE_1)
	v_cmp_ne_u32_e32 vcc_lo, 0x7f800000, v85
                                        ; implicit-def: $vgpr85
	s_and_saveexec_b32 s2, vcc_lo
	s_xor_b32 s2, exec_lo, s2
; %bb.21:
	v_bfe_u32 v85, v86, 16, 1
	s_delay_alu instid0(VALU_DEP_1)
	v_add3_u32 v85, v86, v85, 0x7fff
                                        ; implicit-def: $vgpr86
; %bb.22:
	s_and_not1_saveexec_b32 s2, s2
; %bb.23:
	v_and_b32_e32 v85, 0xffff, v86
	v_or_b32_e32 v90, 0x10000, v86
	s_delay_alu instid0(VALU_DEP_2) | instskip(NEXT) | instid1(VALU_DEP_2)
	v_cmp_eq_u32_e32 vcc_lo, 0, v85
	v_cndmask_b32_e32 v85, v90, v86, vcc_lo
; %bb.24:
	s_or_b32 exec_lo, exec_lo, s2
	v_and_b32_e32 v86, 0x7f800000, v89
	s_delay_alu instid0(VALU_DEP_1) | instskip(SKIP_1) | instid1(SALU_CYCLE_1)
	v_cmp_ne_u32_e32 vcc_lo, 0x7f800000, v86
                                        ; implicit-def: $vgpr86
	s_and_saveexec_b32 s2, vcc_lo
	s_xor_b32 s2, exec_lo, s2
; %bb.25:
	v_bfe_u32 v86, v89, 16, 1
	s_delay_alu instid0(VALU_DEP_1)
	v_add3_u32 v86, v89, v86, 0x7fff
                                        ; implicit-def: $vgpr89
; %bb.26:
	s_and_not1_saveexec_b32 s2, s2
; %bb.27:
	v_and_b32_e32 v86, 0xffff, v89
	v_or_b32_e32 v90, 0x10000, v89
	s_delay_alu instid0(VALU_DEP_2) | instskip(NEXT) | instid1(VALU_DEP_2)
	v_cmp_eq_u32_e32 vcc_lo, 0, v86
	v_cndmask_b32_e32 v86, v90, v89, vcc_lo
; %bb.28:
	s_or_b32 exec_lo, exec_lo, s2
	v_and_b32_e32 v89, 0x7f800000, v88
	s_delay_alu instid0(VALU_DEP_1) | instskip(SKIP_1) | instid1(SALU_CYCLE_1)
	v_cmp_ne_u32_e32 vcc_lo, 0x7f800000, v89
                                        ; implicit-def: $vgpr89
	s_and_saveexec_b32 s2, vcc_lo
	s_xor_b32 s2, exec_lo, s2
; %bb.29:
	v_bfe_u32 v89, v88, 16, 1
	s_delay_alu instid0(VALU_DEP_1)
	v_add3_u32 v89, v88, v89, 0x7fff
                                        ; implicit-def: $vgpr88
; %bb.30:
	s_and_not1_saveexec_b32 s2, s2
; %bb.31:
	v_and_b32_e32 v89, 0xffff, v88
	v_or_b32_e32 v90, 0x10000, v88
	s_delay_alu instid0(VALU_DEP_2) | instskip(NEXT) | instid1(VALU_DEP_2)
	v_cmp_eq_u32_e32 vcc_lo, 0, v89
	v_cndmask_b32_e32 v89, v90, v88, vcc_lo
; %bb.32:
	s_or_b32 exec_lo, exec_lo, s2
	v_and_b32_e32 v88, 0x7f800000, v87
	s_delay_alu instid0(VALU_DEP_1) | instskip(SKIP_1) | instid1(SALU_CYCLE_1)
	v_cmp_ne_u32_e32 vcc_lo, 0x7f800000, v88
                                        ; implicit-def: $vgpr88
	s_and_saveexec_b32 s2, vcc_lo
	s_xor_b32 s2, exec_lo, s2
; %bb.33:
	v_bfe_u32 v88, v87, 16, 1
	s_delay_alu instid0(VALU_DEP_1)
	v_add3_u32 v88, v87, v88, 0x7fff
                                        ; implicit-def: $vgpr87
; %bb.34:
	s_and_not1_saveexec_b32 s2, s2
; %bb.35:
	v_and_b32_e32 v88, 0xffff, v87
	v_or_b32_e32 v90, 0x10000, v87
	s_delay_alu instid0(VALU_DEP_2) | instskip(NEXT) | instid1(VALU_DEP_2)
	v_cmp_eq_u32_e32 vcc_lo, 0, v88
	v_cndmask_b32_e32 v88, v90, v87, vcc_lo
; %bb.36:
	s_or_b32 exec_lo, exec_lo, s2
	v_and_b32_e32 v87, 0x7f800000, v84
	s_delay_alu instid0(VALU_DEP_1) | instskip(SKIP_1) | instid1(SALU_CYCLE_1)
	v_cmp_ne_u32_e32 vcc_lo, 0x7f800000, v87
                                        ; implicit-def: $vgpr87
	s_and_saveexec_b32 s2, vcc_lo
	s_xor_b32 s2, exec_lo, s2
; %bb.37:
	v_bfe_u32 v87, v84, 16, 1
	s_delay_alu instid0(VALU_DEP_1)
	v_add3_u32 v87, v84, v87, 0x7fff
                                        ; implicit-def: $vgpr84
; %bb.38:
	s_and_not1_saveexec_b32 s2, s2
; %bb.39:
	v_and_b32_e32 v87, 0xffff, v84
	v_or_b32_e32 v90, 0x10000, v84
	s_delay_alu instid0(VALU_DEP_2) | instskip(NEXT) | instid1(VALU_DEP_2)
	v_cmp_eq_u32_e32 vcc_lo, 0, v87
	v_cndmask_b32_e32 v87, v90, v84, vcc_lo
; %bb.40:
	s_or_b32 exec_lo, exec_lo, s2
	v_and_b32_e32 v84, 0x7f800000, v80
	s_delay_alu instid0(VALU_DEP_1) | instskip(SKIP_1) | instid1(SALU_CYCLE_1)
	v_cmp_ne_u32_e32 vcc_lo, 0x7f800000, v84
                                        ; implicit-def: $vgpr84
	s_and_saveexec_b32 s2, vcc_lo
	s_xor_b32 s2, exec_lo, s2
; %bb.41:
	v_bfe_u32 v84, v80, 16, 1
	s_delay_alu instid0(VALU_DEP_1)
	v_add3_u32 v84, v80, v84, 0x7fff
                                        ; implicit-def: $vgpr80
; %bb.42:
	s_and_not1_saveexec_b32 s2, s2
; %bb.43:
	v_and_b32_e32 v84, 0xffff, v80
	v_or_b32_e32 v90, 0x10000, v80
	s_delay_alu instid0(VALU_DEP_2) | instskip(NEXT) | instid1(VALU_DEP_2)
	v_cmp_eq_u32_e32 vcc_lo, 0, v84
	v_cndmask_b32_e32 v84, v90, v80, vcc_lo
; %bb.44:
	s_or_b32 exec_lo, exec_lo, s2
	s_load_b64 s[34:35], s[0:1], 0x94
	v_lshlrev_b32_e32 v91, 4, v74
	s_delay_alu instid0(VALU_DEP_2)
	v_perm_b32 v90, v84, v87, 0x7060302
	v_dual_mul_f32 v79, v82, v79 :: v_dual_lshlrev_b32 v80, 6, v65
	v_dual_mul_f32 v77, v82, v77 :: v_dual_lshlrev_b32 v92, 11, v66
	v_mul_f32_e32 v84, v82, v70
	v_perm_b32 v89, v88, v89, 0x7060302
	v_perm_b32 v88, v86, v85, 0x7060302
	;; [unrolled: 1-line block ×3, first 2 shown]
	v_mul_f32_e32 v70, v82, v81
	v_or3_b32 v76, v91, v92, v80
	v_dual_mul_f32 v78, v82, v78 :: v_dual_and_b32 v85, 0x7f800000, v84
	v_mul_f32_e32 v83, v82, v72
	v_mul_f32_e32 v81, v82, v71
	;; [unrolled: 1-line block ×3, first 2 shown]
	s_mov_b32 s2, exec_lo
	ds_store_b128 v76, v[87:90]
                                        ; implicit-def: $vgpr69
	v_cmpx_ne_u32_e32 0x7f800000, v85
	s_xor_b32 s2, exec_lo, s2
; %bb.45:
	v_bfe_u32 v69, v84, 16, 1
	s_delay_alu instid0(VALU_DEP_1)
	v_add3_u32 v69, v84, v69, 0x7fff
                                        ; implicit-def: $vgpr84
; %bb.46:
	s_and_not1_saveexec_b32 s2, s2
; %bb.47:
	v_and_b32_e32 v69, 0xffff, v84
	v_or_b32_e32 v71, 0x10000, v84
	s_delay_alu instid0(VALU_DEP_2) | instskip(NEXT) | instid1(VALU_DEP_2)
	v_cmp_eq_u32_e32 vcc_lo, 0, v69
	v_cndmask_b32_e32 v69, v71, v84, vcc_lo
; %bb.48:
	s_or_b32 exec_lo, exec_lo, s2
	v_and_b32_e32 v71, 0x7f800000, v72
	s_delay_alu instid0(VALU_DEP_1) | instskip(SKIP_1) | instid1(SALU_CYCLE_1)
	v_cmp_ne_u32_e32 vcc_lo, 0x7f800000, v71
                                        ; implicit-def: $vgpr71
	s_and_saveexec_b32 s2, vcc_lo
	s_xor_b32 s2, exec_lo, s2
; %bb.49:
	v_bfe_u32 v71, v72, 16, 1
	s_delay_alu instid0(VALU_DEP_1)
	v_add3_u32 v71, v72, v71, 0x7fff
                                        ; implicit-def: $vgpr72
; %bb.50:
	s_and_not1_saveexec_b32 s2, s2
; %bb.51:
	v_and_b32_e32 v71, 0xffff, v72
	v_or_b32_e32 v82, 0x10000, v72
	s_delay_alu instid0(VALU_DEP_2) | instskip(NEXT) | instid1(VALU_DEP_2)
	v_cmp_eq_u32_e32 vcc_lo, 0, v71
	v_cndmask_b32_e32 v71, v82, v72, vcc_lo
; %bb.52:
	s_or_b32 exec_lo, exec_lo, s2
	v_and_b32_e32 v72, 0x7f800000, v81
	s_delay_alu instid0(VALU_DEP_1) | instskip(SKIP_1) | instid1(SALU_CYCLE_1)
	v_cmp_ne_u32_e32 vcc_lo, 0x7f800000, v72
                                        ; implicit-def: $vgpr72
	s_and_saveexec_b32 s2, vcc_lo
	s_xor_b32 s2, exec_lo, s2
; %bb.53:
	v_bfe_u32 v72, v81, 16, 1
	s_delay_alu instid0(VALU_DEP_1)
	v_add3_u32 v72, v81, v72, 0x7fff
                                        ; implicit-def: $vgpr81
; %bb.54:
	s_and_not1_saveexec_b32 s2, s2
; %bb.55:
	v_and_b32_e32 v72, 0xffff, v81
	v_or_b32_e32 v82, 0x10000, v81
	s_delay_alu instid0(VALU_DEP_2) | instskip(NEXT) | instid1(VALU_DEP_2)
	v_cmp_eq_u32_e32 vcc_lo, 0, v72
	v_cndmask_b32_e32 v72, v82, v81, vcc_lo
; %bb.56:
	s_or_b32 exec_lo, exec_lo, s2
	v_and_b32_e32 v81, 0x7f800000, v83
	s_delay_alu instid0(VALU_DEP_1) | instskip(SKIP_1) | instid1(SALU_CYCLE_1)
	v_cmp_ne_u32_e32 vcc_lo, 0x7f800000, v81
                                        ; implicit-def: $vgpr81
	s_and_saveexec_b32 s2, vcc_lo
	s_xor_b32 s2, exec_lo, s2
; %bb.57:
	v_bfe_u32 v81, v83, 16, 1
	s_delay_alu instid0(VALU_DEP_1)
	v_add3_u32 v81, v83, v81, 0x7fff
                                        ; implicit-def: $vgpr83
; %bb.58:
	s_and_not1_saveexec_b32 s2, s2
; %bb.59:
	v_and_b32_e32 v81, 0xffff, v83
	v_or_b32_e32 v82, 0x10000, v83
	s_delay_alu instid0(VALU_DEP_2) | instskip(NEXT) | instid1(VALU_DEP_2)
	v_cmp_eq_u32_e32 vcc_lo, 0, v81
	v_cndmask_b32_e32 v81, v82, v83, vcc_lo
; %bb.60:
	s_or_b32 exec_lo, exec_lo, s2
	v_and_b32_e32 v82, 0x7f800000, v77
	s_delay_alu instid0(VALU_DEP_1) | instskip(SKIP_1) | instid1(SALU_CYCLE_1)
	v_cmp_ne_u32_e32 vcc_lo, 0x7f800000, v82
                                        ; implicit-def: $vgpr82
	s_and_saveexec_b32 s2, vcc_lo
	s_xor_b32 s2, exec_lo, s2
; %bb.61:
	v_bfe_u32 v82, v77, 16, 1
	s_delay_alu instid0(VALU_DEP_1)
	v_add3_u32 v82, v77, v82, 0x7fff
                                        ; implicit-def: $vgpr77
; %bb.62:
	s_and_not1_saveexec_b32 s2, s2
; %bb.63:
	v_and_b32_e32 v82, 0xffff, v77
	v_or_b32_e32 v83, 0x10000, v77
	s_delay_alu instid0(VALU_DEP_2) | instskip(NEXT) | instid1(VALU_DEP_2)
	v_cmp_eq_u32_e32 vcc_lo, 0, v82
	v_cndmask_b32_e32 v82, v83, v77, vcc_lo
; %bb.64:
	s_or_b32 exec_lo, exec_lo, s2
	v_and_b32_e32 v77, 0x7f800000, v78
	s_delay_alu instid0(VALU_DEP_1) | instskip(SKIP_1) | instid1(SALU_CYCLE_1)
	v_cmp_ne_u32_e32 vcc_lo, 0x7f800000, v77
                                        ; implicit-def: $vgpr77
	s_and_saveexec_b32 s2, vcc_lo
	s_xor_b32 s2, exec_lo, s2
; %bb.65:
	v_bfe_u32 v77, v78, 16, 1
	s_delay_alu instid0(VALU_DEP_1)
	v_add3_u32 v77, v78, v77, 0x7fff
                                        ; implicit-def: $vgpr78
; %bb.66:
	s_and_not1_saveexec_b32 s2, s2
; %bb.67:
	v_and_b32_e32 v77, 0xffff, v78
	v_or_b32_e32 v83, 0x10000, v78
	s_delay_alu instid0(VALU_DEP_2) | instskip(NEXT) | instid1(VALU_DEP_2)
	v_cmp_eq_u32_e32 vcc_lo, 0, v77
	v_cndmask_b32_e32 v77, v83, v78, vcc_lo
; %bb.68:
	s_or_b32 exec_lo, exec_lo, s2
	v_and_b32_e32 v78, 0x7f800000, v79
	s_delay_alu instid0(VALU_DEP_1) | instskip(SKIP_1) | instid1(SALU_CYCLE_1)
	v_cmp_ne_u32_e32 vcc_lo, 0x7f800000, v78
                                        ; implicit-def: $vgpr78
	s_and_saveexec_b32 s2, vcc_lo
	s_xor_b32 s2, exec_lo, s2
; %bb.69:
	v_bfe_u32 v78, v79, 16, 1
	s_delay_alu instid0(VALU_DEP_1)
	v_add3_u32 v78, v79, v78, 0x7fff
                                        ; implicit-def: $vgpr79
; %bb.70:
	s_and_not1_saveexec_b32 s2, s2
; %bb.71:
	v_and_b32_e32 v78, 0xffff, v79
	v_or_b32_e32 v83, 0x10000, v79
	s_delay_alu instid0(VALU_DEP_2) | instskip(NEXT) | instid1(VALU_DEP_2)
	v_cmp_eq_u32_e32 vcc_lo, 0, v78
	v_cndmask_b32_e32 v78, v83, v79, vcc_lo
; %bb.72:
	s_or_b32 exec_lo, exec_lo, s2
	v_and_b32_e32 v79, 0x7f800000, v70
	s_delay_alu instid0(VALU_DEP_1) | instskip(SKIP_1) | instid1(SALU_CYCLE_1)
	v_cmp_ne_u32_e32 vcc_lo, 0x7f800000, v79
                                        ; implicit-def: $vgpr79
	s_and_saveexec_b32 s2, vcc_lo
	s_xor_b32 s2, exec_lo, s2
; %bb.73:
	v_bfe_u32 v79, v70, 16, 1
	s_delay_alu instid0(VALU_DEP_1)
	v_add3_u32 v79, v70, v79, 0x7fff
                                        ; implicit-def: $vgpr70
; %bb.74:
	s_and_not1_saveexec_b32 s2, s2
; %bb.75:
	v_and_b32_e32 v79, 0xffff, v70
	v_or_b32_e32 v83, 0x10000, v70
	s_delay_alu instid0(VALU_DEP_2) | instskip(NEXT) | instid1(VALU_DEP_2)
	v_cmp_eq_u32_e32 vcc_lo, 0, v79
	v_cndmask_b32_e32 v79, v83, v70, vcc_lo
; %bb.76:
	s_or_b32 exec_lo, exec_lo, s2
	s_delay_alu instid0(VALU_DEP_1)
	v_perm_b32 v86, v79, v78, 0x7060302
	v_perm_b32 v85, v77, v82, 0x7060302
	;; [unrolled: 1-line block ×4, first 2 shown]
	v_lshl_or_b32 v82, v66, 11, v80
	ds_store_b128 v76, v[83:86] offset:1024
	s_waitcnt lgkmcnt(0)
	s_barrier
	buffer_gl0_inv
	ds_load_b128 v[69:72], v82
	ds_load_b128 v[83:86], v82 offset:16
	s_waitcnt lgkmcnt(1)
	v_lshrrev_b32_e32 v66, 16, v69
	s_waitcnt lgkmcnt(0)
	v_lshrrev_b32_e32 v91, 16, v83
	v_lshlrev_b32_e32 v78, 2, v74
	v_lshrrev_b32_e32 v95, 16, v70
	v_lshrrev_b32_e32 v98, 16, v84
	;; [unrolled: 1-line block ×4, first 2 shown]
	v_cmp_eq_u32_e32 vcc_lo, 1, v78
	v_lshrrev_b32_e32 v97, 16, v72
	v_lshrrev_b32_e32 v100, 16, v86
	v_cndmask_b32_e32 v87, v83, v91, vcc_lo
	v_or_b32_e32 v79, 1, v78
	v_cndmask_b32_e32 v81, v69, v66, vcc_lo
	v_cmp_eq_u32_e64 s3, 2, v78
	v_cmp_eq_u32_e64 s6, 3, v78
	v_cmp_eq_u32_e64 s8, 4, v78
	v_cmp_eq_u32_e64 s2, 1, v79
	v_cmp_eq_u32_e64 s5, 2, v79
	v_cndmask_b32_e64 v81, v81, v70, s3
	v_cndmask_b32_e64 v87, v87, v84, s3
	v_cmp_eq_u32_e64 s7, 3, v79
	v_cndmask_b32_e64 v88, v69, v66, s2
	v_or_b32_e32 v77, 2, v78
	v_cndmask_b32_e64 v81, v81, v95, s6
	v_cndmask_b32_e64 v87, v87, v98, s6
	;; [unrolled: 1-line block ×4, first 2 shown]
	v_cmp_eq_u32_e64 s9, 5, v78
	v_cndmask_b32_e64 v81, v81, v71, s8
	v_cndmask_b32_e64 v87, v87, v85, s8
	v_cmp_eq_u32_e64 s10, 4, v79
	v_cndmask_b32_e64 v88, v88, v95, s7
	v_cmp_eq_u32_e64 s4, 1, v77
	v_cndmask_b32_e64 v89, v89, v84, s5
	v_cndmask_b32_e64 v81, v81, v96, s9
	v_cmp_eq_u32_e64 s11, 6, v78
	v_cndmask_b32_e64 v88, v88, v71, s10
	v_cndmask_b32_e64 v87, v87, v99, s9
	v_cmp_eq_u32_e64 s12, 5, v79
	v_cndmask_b32_e64 v90, v69, v66, s4
	v_cndmask_b32_e64 v89, v89, v98, s7
	v_cndmask_b32_e64 v81, v81, v72, s11
	v_cmp_eq_u32_e64 s13, 7, v78
	v_cndmask_b32_e64 v88, v88, v96, s12
	v_cndmask_b32_e64 v87, v87, v86, s11
	v_cmp_eq_u32_e64 s15, 6, v79
	v_cmp_eq_u32_e64 s16, 2, v77
	v_cndmask_b32_e64 v89, v89, v85, s10
	v_cndmask_b32_e64 v101, v81, v97, s13
	;; [unrolled: 1-line block ×6, first 2 shown]
	v_cmp_eq_u32_e64 s17, 7, v79
	v_cmp_eq_u32_e64 s18, 3, v77
	;; [unrolled: 1-line block ×4, first 2 shown]
	v_cndmask_b32_e64 v87, v87, v84, s16
	v_cndmask_b32_e64 v103, v88, v97, s17
	;; [unrolled: 1-line block ×4, first 2 shown]
	v_or_b32_e32 v81, 3, v78
	v_cndmask_b32_e64 v93, v87, v98, s18
	v_cmp_eq_u32_e64 s23, 6, v77
	v_cndmask_b32_e64 v104, v88, v86, s15
	v_cndmask_b32_e64 v92, v89, v71, s19
	v_cmp_eq_u32_e64 s20, 1, v81
	ds_load_b128 v[87:90], v82 offset:1024
	v_cmp_eq_u32_e64 s22, 2, v81
	v_cmp_eq_u32_e64 s24, 3, v81
	v_cndmask_b32_e64 v105, v92, v96, s21
	v_cndmask_b32_e64 v66, v69, v66, s20
	;; [unrolled: 1-line block ×4, first 2 shown]
	ds_load_b128 v[91:94], v82 offset:1040
	v_cmp_eq_u32_e64 s25, 4, v81
	v_cndmask_b32_e64 v66, v66, v70, s22
	v_cmp_eq_u32_e64 s26, 7, v77
	v_cndmask_b32_e64 v70, v83, v84, s22
	v_cndmask_b32_e64 v84, v105, v72, s23
	v_cmp_eq_u32_e64 s27, 5, v81
	v_cndmask_b32_e64 v66, v66, v95, s24
	v_cmp_eq_u32_e64 s28, 6, v81
	v_cndmask_b32_e64 v70, v70, v98, s24
	v_cndmask_b32_e64 v69, v69, v99, s21
	;; [unrolled: 1-line block ×4, first 2 shown]
	s_waitcnt lgkmcnt(1)
	v_lshrrev_b32_e32 v95, 16, v87
	v_cndmask_b32_e64 v70, v70, v85, s25
	v_cndmask_b32_e64 v71, v84, v97, s26
	;; [unrolled: 1-line block ×4, first 2 shown]
	v_cndmask_b32_e32 v84, v87, v95, vcc_lo
	v_cndmask_b32_e64 v70, v70, v99, s27
	s_waitcnt lgkmcnt(0)
	v_lshrrev_b32_e32 v85, 16, v91
	v_lshrrev_b32_e32 v96, 16, v88
	v_cndmask_b32_e64 v98, v87, v95, s2
	v_cndmask_b32_e64 v84, v84, v88, s3
	;; [unrolled: 1-line block ×3, first 2 shown]
	v_cndmask_b32_e32 v99, v91, v85, vcc_lo
	v_cmp_eq_u32_e32 vcc_lo, 7, v81
	v_cndmask_b32_e64 v66, v66, v72, s28
	v_cndmask_b32_e64 v72, v84, v96, s6
	;; [unrolled: 1-line block ×3, first 2 shown]
	v_lshrrev_b32_e32 v98, 16, v92
	v_cndmask_b32_e32 v70, v70, v100, vcc_lo
	v_cndmask_b32_e64 v86, v99, v92, s3
	v_cndmask_b32_e64 v69, v69, v100, s26
	v_lshrrev_b32_e32 v100, 16, v93
	v_cndmask_b32_e64 v72, v72, v89, s8
	v_lshrrev_b32_e32 v99, 16, v89
	v_cndmask_b32_e64 v86, v86, v98, s6
	v_perm_b32 v71, v69, v71, 0x5040100
	v_cndmask_b32_e64 v84, v84, v96, s7
	s_delay_alu instid0(VALU_DEP_3) | instskip(NEXT) | instid1(VALU_DEP_2)
	v_cndmask_b32_e64 v86, v86, v93, s8
	v_cndmask_b32_e64 v84, v84, v89, s10
	s_delay_alu instid0(VALU_DEP_2) | instskip(NEXT) | instid1(VALU_DEP_1)
	v_cndmask_b32_e64 v86, v86, v100, s9
	v_cndmask_b32_e64 v69, v86, v94, s11
	v_cndmask_b32_e64 v86, v87, v95, s4
	v_cndmask_b32_e64 v87, v87, v95, s20
	v_cndmask_b32_e64 v95, v91, v85, s20
	s_delay_alu instid0(VALU_DEP_3) | instskip(NEXT) | instid1(VALU_DEP_3)
	v_cndmask_b32_e64 v86, v86, v88, s16
	v_cndmask_b32_e64 v87, v87, v88, s22
	s_delay_alu instid0(VALU_DEP_3) | instskip(NEXT) | instid1(VALU_DEP_3)
	v_cndmask_b32_e64 v88, v95, v92, s22
	v_cndmask_b32_e64 v86, v86, v96, s18
	;; [unrolled: 3-line block ×7, first 2 shown]
	s_delay_alu instid0(VALU_DEP_3) | instskip(SKIP_2) | instid1(VALU_DEP_2)
	v_cndmask_b32_e64 v88, v88, v94, s28
	v_cndmask_b32_e32 v66, v66, v97, vcc_lo
	v_cndmask_b32_e64 v97, v72, v99, s9
	v_perm_b32 v72, v70, v66, 0x5040100
	v_perm_b32 v70, v83, v103, 0x5040100
	v_cndmask_b32_e64 v103, v91, v85, s4
	v_cndmask_b32_e64 v85, v91, v85, s2
	;; [unrolled: 1-line block ×4, first 2 shown]
	v_lshrrev_b32_e32 v97, 16, v90
	v_cndmask_b32_e64 v91, v103, v92, s16
	v_cndmask_b32_e64 v85, v85, v92, s5
	;; [unrolled: 1-line block ×3, first 2 shown]
	s_mov_b32 s2, exec_lo
	v_cndmask_b32_e64 v83, v84, v97, s13
	v_cndmask_b32_e64 v91, v91, v98, s18
	;; [unrolled: 1-line block ×3, first 2 shown]
	v_lshrrev_b32_e32 v84, 16, v94
	v_cndmask_b32_e64 v66, v66, v97, s17
	v_cndmask_b32_e64 v90, v86, v97, s26
	;; [unrolled: 1-line block ×4, first 2 shown]
	v_dual_cndmask_b32 v86, v87, v97 :: v_dual_cndmask_b32 v87, v88, v84
	v_cndmask_b32_e64 v91, v69, v84, s13
	s_delay_alu instid0(VALU_DEP_4) | instskip(NEXT) | instid1(VALU_DEP_4)
	v_cndmask_b32_e64 v89, v89, v100, s21
	v_cndmask_b32_e64 v85, v85, v100, s12
	v_perm_b32 v69, v102, v101, 0x5040100
	v_perm_b32 v86, v87, v86, 0x5040100
	;; [unrolled: 1-line block ×3, first 2 shown]
	v_cndmask_b32_e64 v89, v89, v94, s23
	v_cndmask_b32_e64 v85, v85, v94, s15
	s_mul_i32 s7, s35, 10
	s_delay_alu instid0(VALU_DEP_2) | instskip(NEXT) | instid1(VALU_DEP_2)
	v_cndmask_b32_e64 v88, v89, v84, s26
	v_cndmask_b32_e64 v89, v85, v84, s17
	s_delay_alu instid0(VALU_DEP_2) | instskip(NEXT) | instid1(VALU_DEP_2)
	v_perm_b32 v85, v88, v90, 0x5040100
	v_perm_b32 v84, v89, v66, 0x5040100
	ds_store_b128 v76, v[69:72]
	ds_store_b128 v76, v[83:86] offset:1024
	v_cmpx_gt_u32_e32 10, v0
	s_cbranch_execz .LBB1575_78
; %bb.77:
	s_mul_i32 s3, s7, s30
	s_load_b128 s[8:11], s[0:1], 0x58
	v_add3_u32 v69, s3, s29, v65
	s_delay_alu instid0(VALU_DEP_1) | instskip(NEXT) | instid1(VALU_DEP_1)
	v_mad_u64_u32 v[65:66], null, v69, s34, s[14:15]
	v_ashrrev_i32_e32 v66, 31, v65
	s_delay_alu instid0(VALU_DEP_1) | instskip(SKIP_1) | instid1(VALU_DEP_1)
	v_lshlrev_b64 v[65:66], 2, v[65:66]
	s_waitcnt lgkmcnt(0)
	v_add_co_u32 v69, vcc_lo, s10, v65
	s_delay_alu instid0(VALU_DEP_2)
	v_add_co_ci_u32_e32 v70, vcc_lo, s11, v66, vcc_lo
	v_add_co_u32 v65, vcc_lo, s8, v65
	v_add_co_ci_u32_e32 v66, vcc_lo, s9, v66, vcc_lo
	global_store_b32 v[69:70], v67, off
	global_store_b32 v[65:66], v68, off
.LBB1575_78:
	s_or_b32 exec_lo, exec_lo, s2
	s_waitcnt lgkmcnt(0)
	s_waitcnt_vscnt null, 0x0
	s_barrier
	buffer_gl0_inv
	ds_load_b128 v[83:86], v80
	ds_load_b128 v[87:90], v80 offset:16
	ds_load_b128 v[95:98], v80 offset:2064
	;; [unrolled: 1-line block ×3, first 2 shown]
	v_mov_b32_e32 v65, 0
	ds_load_b128 v[103:106], v80 offset:4112
	ds_load_b128 v[99:102], v80 offset:4096
	;; [unrolled: 1-line block ×4, first 2 shown]
	v_mov_b32_e32 v66, v65
	v_mov_b32_e32 v67, v65
	;; [unrolled: 1-line block ×7, first 2 shown]
	s_waitcnt lgkmcnt(6)
	s_delay_alu instid0(VALU_DEP_1)
	v_wmma_f32_16x16x16_bf16 v[65:72], v[49:56], v[83:90], v[65:72]
	ds_load_b128 v[53:56], v80 offset:8208
	ds_load_b128 v[49:52], v80 offset:8192
	s_waitcnt lgkmcnt(6)
	v_wmma_f32_16x16x16_bf16 v[65:72], v[41:48], v[91:98], v[65:72]
	ds_load_b128 v[45:48], v80 offset:10256
	ds_load_b128 v[41:44], v80 offset:10240
	s_waitcnt lgkmcnt(6)
	;; [unrolled: 4-line block ×4, first 2 shown]
	v_wmma_f32_16x16x16_bf16 v[65:72], v[1:8], v[49:56], v[65:72]
	s_waitcnt lgkmcnt(4)
	s_delay_alu instid0(VALU_DEP_1) | instskip(SKIP_1) | instid1(VALU_DEP_1)
	v_wmma_f32_16x16x16_bf16 v[65:72], v[9:16], v[41:48], v[65:72]
	s_waitcnt lgkmcnt(2)
	v_wmma_f32_16x16x16_bf16 v[65:72], v[17:24], v[33:40], v[65:72]
	s_waitcnt lgkmcnt(0)
	s_delay_alu instid0(VALU_DEP_1) | instskip(NEXT) | instid1(VALU_DEP_1)
	v_wmma_f32_16x16x16_bf16 v[65:72], v[57:64], v[25:32], v[65:72]
	v_and_b32_e32 v1, 0x7f800000, v65
	s_delay_alu instid0(VALU_DEP_1) | instskip(SKIP_1) | instid1(SALU_CYCLE_1)
	v_cmp_ne_u32_e32 vcc_lo, 0x7f800000, v1
                                        ; implicit-def: $vgpr1
	s_and_saveexec_b32 s2, vcc_lo
	s_xor_b32 s2, exec_lo, s2
; %bb.79:
	v_bfe_u32 v1, v65, 16, 1
	s_delay_alu instid0(VALU_DEP_1)
	v_add3_u32 v1, v65, v1, 0x7fff
; %bb.80:
	s_and_not1_saveexec_b32 s2, s2
; %bb.81:
	v_and_b32_e32 v1, 0xffff, v65
	v_or_b32_e32 v2, 0x10000, v65
	s_delay_alu instid0(VALU_DEP_2) | instskip(NEXT) | instid1(VALU_DEP_2)
	v_cmp_eq_u32_e32 vcc_lo, 0, v1
	v_cndmask_b32_e32 v1, v2, v65, vcc_lo
; %bb.82:
	s_or_b32 exec_lo, exec_lo, s2
	v_and_b32_e32 v2, 0x7f800000, v66
	s_delay_alu instid0(VALU_DEP_1) | instskip(SKIP_1) | instid1(SALU_CYCLE_1)
	v_cmp_ne_u32_e32 vcc_lo, 0x7f800000, v2
                                        ; implicit-def: $vgpr2
	s_and_saveexec_b32 s2, vcc_lo
	s_xor_b32 s2, exec_lo, s2
; %bb.83:
	v_bfe_u32 v2, v66, 16, 1
	s_delay_alu instid0(VALU_DEP_1)
	v_add3_u32 v2, v66, v2, 0x7fff
; %bb.84:
	s_and_not1_saveexec_b32 s2, s2
; %bb.85:
	v_and_b32_e32 v2, 0xffff, v66
	v_or_b32_e32 v3, 0x10000, v66
	s_delay_alu instid0(VALU_DEP_2) | instskip(NEXT) | instid1(VALU_DEP_2)
	v_cmp_eq_u32_e32 vcc_lo, 0, v2
	v_cndmask_b32_e32 v2, v3, v66, vcc_lo
; %bb.86:
	s_or_b32 exec_lo, exec_lo, s2
	v_and_b32_e32 v3, 0x7f800000, v67
	s_delay_alu instid0(VALU_DEP_1) | instskip(SKIP_1) | instid1(SALU_CYCLE_1)
	v_cmp_ne_u32_e32 vcc_lo, 0x7f800000, v3
                                        ; implicit-def: $vgpr3
	s_and_saveexec_b32 s2, vcc_lo
	s_xor_b32 s2, exec_lo, s2
; %bb.87:
	v_bfe_u32 v3, v67, 16, 1
	s_delay_alu instid0(VALU_DEP_1)
	v_add3_u32 v3, v67, v3, 0x7fff
; %bb.88:
	s_and_not1_saveexec_b32 s2, s2
; %bb.89:
	v_and_b32_e32 v3, 0xffff, v67
	v_or_b32_e32 v4, 0x10000, v67
	s_delay_alu instid0(VALU_DEP_2) | instskip(NEXT) | instid1(VALU_DEP_2)
	v_cmp_eq_u32_e32 vcc_lo, 0, v3
	v_cndmask_b32_e32 v3, v4, v67, vcc_lo
; %bb.90:
	s_or_b32 exec_lo, exec_lo, s2
	v_and_b32_e32 v4, 0x7f800000, v68
	s_delay_alu instid0(VALU_DEP_1) | instskip(SKIP_1) | instid1(SALU_CYCLE_1)
	v_cmp_ne_u32_e32 vcc_lo, 0x7f800000, v4
                                        ; implicit-def: $vgpr4
	s_and_saveexec_b32 s2, vcc_lo
	s_xor_b32 s2, exec_lo, s2
; %bb.91:
	v_bfe_u32 v4, v68, 16, 1
	s_delay_alu instid0(VALU_DEP_1)
	v_add3_u32 v4, v68, v4, 0x7fff
; %bb.92:
	s_and_not1_saveexec_b32 s2, s2
; %bb.93:
	v_and_b32_e32 v4, 0xffff, v68
	v_or_b32_e32 v5, 0x10000, v68
	s_delay_alu instid0(VALU_DEP_2) | instskip(NEXT) | instid1(VALU_DEP_2)
	v_cmp_eq_u32_e32 vcc_lo, 0, v4
	v_cndmask_b32_e32 v4, v5, v68, vcc_lo
; %bb.94:
	s_or_b32 exec_lo, exec_lo, s2
	v_and_b32_e32 v5, 0x7f800000, v69
	s_delay_alu instid0(VALU_DEP_1) | instskip(SKIP_1) | instid1(SALU_CYCLE_1)
	v_cmp_ne_u32_e32 vcc_lo, 0x7f800000, v5
                                        ; implicit-def: $vgpr5
	s_and_saveexec_b32 s2, vcc_lo
	s_xor_b32 s2, exec_lo, s2
; %bb.95:
	v_bfe_u32 v5, v69, 16, 1
	s_delay_alu instid0(VALU_DEP_1)
	v_add3_u32 v5, v69, v5, 0x7fff
; %bb.96:
	s_and_not1_saveexec_b32 s2, s2
; %bb.97:
	v_and_b32_e32 v5, 0xffff, v69
	v_or_b32_e32 v6, 0x10000, v69
	s_delay_alu instid0(VALU_DEP_2) | instskip(NEXT) | instid1(VALU_DEP_2)
	v_cmp_eq_u32_e32 vcc_lo, 0, v5
	v_cndmask_b32_e32 v5, v6, v69, vcc_lo
; %bb.98:
	s_or_b32 exec_lo, exec_lo, s2
	v_and_b32_e32 v6, 0x7f800000, v70
	s_delay_alu instid0(VALU_DEP_1) | instskip(SKIP_1) | instid1(SALU_CYCLE_1)
	v_cmp_ne_u32_e32 vcc_lo, 0x7f800000, v6
                                        ; implicit-def: $vgpr6
	s_and_saveexec_b32 s2, vcc_lo
	s_xor_b32 s2, exec_lo, s2
; %bb.99:
	v_bfe_u32 v6, v70, 16, 1
	s_delay_alu instid0(VALU_DEP_1)
	v_add3_u32 v6, v70, v6, 0x7fff
; %bb.100:
	s_and_not1_saveexec_b32 s2, s2
; %bb.101:
	v_and_b32_e32 v6, 0xffff, v70
	v_or_b32_e32 v7, 0x10000, v70
	s_delay_alu instid0(VALU_DEP_2) | instskip(NEXT) | instid1(VALU_DEP_2)
	v_cmp_eq_u32_e32 vcc_lo, 0, v6
	v_cndmask_b32_e32 v6, v7, v70, vcc_lo
; %bb.102:
	s_or_b32 exec_lo, exec_lo, s2
	v_and_b32_e32 v7, 0x7f800000, v71
	s_delay_alu instid0(VALU_DEP_1) | instskip(SKIP_1) | instid1(SALU_CYCLE_1)
	v_cmp_ne_u32_e32 vcc_lo, 0x7f800000, v7
                                        ; implicit-def: $vgpr7
	s_and_saveexec_b32 s2, vcc_lo
	s_xor_b32 s2, exec_lo, s2
; %bb.103:
	v_bfe_u32 v7, v71, 16, 1
	s_delay_alu instid0(VALU_DEP_1)
	v_add3_u32 v7, v71, v7, 0x7fff
; %bb.104:
	s_and_not1_saveexec_b32 s2, s2
; %bb.105:
	v_and_b32_e32 v7, 0xffff, v71
	v_or_b32_e32 v8, 0x10000, v71
	s_delay_alu instid0(VALU_DEP_2) | instskip(NEXT) | instid1(VALU_DEP_2)
	v_cmp_eq_u32_e32 vcc_lo, 0, v7
	v_cndmask_b32_e32 v7, v8, v71, vcc_lo
; %bb.106:
	s_or_b32 exec_lo, exec_lo, s2
	v_and_b32_e32 v8, 0x7f800000, v72
	s_delay_alu instid0(VALU_DEP_1) | instskip(SKIP_1) | instid1(SALU_CYCLE_1)
	v_cmp_ne_u32_e32 vcc_lo, 0x7f800000, v8
                                        ; implicit-def: $vgpr8
	s_and_saveexec_b32 s2, vcc_lo
	s_xor_b32 s2, exec_lo, s2
; %bb.107:
	v_bfe_u32 v8, v72, 16, 1
	s_delay_alu instid0(VALU_DEP_1)
	v_add3_u32 v8, v72, v8, 0x7fff
                                        ; implicit-def: $vgpr65_vgpr66_vgpr67_vgpr68_vgpr69_vgpr70_vgpr71_vgpr72
; %bb.108:
	s_and_not1_saveexec_b32 s2, s2
; %bb.109:
	v_and_b32_e32 v8, 0xffff, v72
	v_or_b32_e32 v9, 0x10000, v72
	s_delay_alu instid0(VALU_DEP_2) | instskip(NEXT) | instid1(VALU_DEP_2)
	v_cmp_eq_u32_e32 vcc_lo, 0, v8
	v_cndmask_b32_e32 v8, v9, v72, vcc_lo
; %bb.110:
	s_or_b32 exec_lo, exec_lo, s2
	s_delay_alu instid0(VALU_DEP_1)
	v_perm_b32 v7, v8, v7, 0x7060302
	v_perm_b32 v6, v6, v5, 0x7060302
	;; [unrolled: 1-line block ×4, first 2 shown]
	s_barrier
	buffer_gl0_inv
	v_cmp_eq_u32_e32 vcc_lo, 1, v78
	ds_store_b128 v76, v[4:7]
	s_waitcnt lgkmcnt(0)
	s_barrier
	buffer_gl0_inv
	ds_load_b128 v[1:4], v82
	ds_load_b128 v[5:8], v82 offset:16
	v_cmp_eq_u32_e64 s2, 1, v79
	v_cmp_eq_u32_e64 s3, 2, v78
	;; [unrolled: 1-line block ×5, first 2 shown]
	s_waitcnt lgkmcnt(1)
	v_lshrrev_b32_e32 v9, 16, v1
	s_waitcnt lgkmcnt(0)
	v_lshrrev_b32_e32 v13, 16, v5
	v_lshrrev_b32_e32 v10, 16, v2
	;; [unrolled: 1-line block ×4, first 2 shown]
	v_cndmask_b32_e64 v19, v1, v9, s2
	v_cndmask_b32_e32 v18, v5, v13, vcc_lo
	v_cndmask_b32_e64 v20, v5, v13, s2
	v_cndmask_b32_e32 v17, v1, v9, vcc_lo
	v_cmp_eq_u32_e32 vcc_lo, 2, v79
	v_lshrrev_b32_e32 v15, 16, v7
	v_cmp_eq_u32_e64 s2, 1, v77
	v_lshrrev_b32_e32 v12, 16, v4
	v_lshrrev_b32_e32 v16, 16, v8
	v_cndmask_b32_e32 v20, v20, v6, vcc_lo
	v_cndmask_b32_e64 v17, v17, v2, s3
	v_cndmask_b32_e32 v19, v19, v2, vcc_lo
	v_cndmask_b32_e64 v18, v18, v6, s3
	v_cmp_eq_u32_e32 vcc_lo, 4, v78
	v_cmp_eq_u32_e64 s3, 3, v79
	v_cndmask_b32_e64 v17, v17, v10, s4
	v_cndmask_b32_e64 v21, v1, v9, s2
	;; [unrolled: 1-line block ×5, first 2 shown]
	v_cndmask_b32_e32 v17, v17, v3, vcc_lo
	v_cndmask_b32_e64 v20, v20, v14, s3
	v_cndmask_b32_e32 v18, v18, v7, vcc_lo
	v_cmp_eq_u32_e32 vcc_lo, 4, v79
	v_cmp_eq_u32_e64 s3, 5, v79
	v_cmp_eq_u32_e64 s2, 2, v81
	v_cndmask_b32_e64 v21, v21, v2, s6
	v_cmp_eq_u32_e64 s4, 5, v78
	v_cndmask_b32_e32 v19, v19, v3, vcc_lo
	v_cndmask_b32_e32 v20, v20, v7, vcc_lo
	v_cmp_eq_u32_e32 vcc_lo, 6, v79
	s_delay_alu instid0(VALU_DEP_4) | instskip(NEXT) | instid1(VALU_DEP_4)
	v_cndmask_b32_e64 v17, v17, v11, s4
	v_cndmask_b32_e64 v19, v19, v11, s3
	s_delay_alu instid0(VALU_DEP_4) | instskip(SKIP_1) | instid1(VALU_DEP_3)
	v_cndmask_b32_e64 v20, v20, v15, s3
	v_cmp_eq_u32_e64 s3, 1, v81
	v_cndmask_b32_e32 v19, v19, v4, vcc_lo
	v_cndmask_b32_e64 v18, v18, v15, s4
	s_delay_alu instid0(VALU_DEP_3)
	v_cndmask_b32_e64 v1, v1, v9, s3
	v_cndmask_b32_e64 v5, v5, v13, s3
	v_cmp_eq_u32_e64 s3, 3, v77
	v_cndmask_b32_e64 v13, v22, v6, s6
	v_cmp_eq_u32_e64 s6, 3, v81
	v_cndmask_b32_e64 v1, v1, v2, s2
	v_cndmask_b32_e64 v2, v5, v6, s2
	;; [unrolled: 1-line block ×3, first 2 shown]
	v_cmp_eq_u32_e64 s2, 4, v77
	v_cndmask_b32_e64 v6, v13, v14, s3
	v_cndmask_b32_e64 v1, v1, v10, s6
	v_cmp_eq_u32_e64 s3, 4, v81
	v_cndmask_b32_e64 v2, v2, v14, s6
	v_cndmask_b32_e64 v5, v9, v3, s2
	;; [unrolled: 3-line block ×3, first 2 shown]
	v_cndmask_b32_e64 v2, v2, v7, s3
	v_cmp_eq_u32_e64 s2, 5, v81
	v_cmp_eq_u32_e64 s4, 6, v78
	v_cndmask_b32_e64 v5, v5, v11, s6
	v_cmp_eq_u32_e64 s3, 6, v77
	v_cndmask_b32_e64 v3, v6, v15, s6
	v_cndmask_b32_e64 v1, v1, v11, s2
	v_cmp_eq_u32_e64 s6, 6, v81
	v_cndmask_b32_e64 v2, v2, v15, s2
	v_cndmask_b32_e64 v17, v17, v4, s4
	v_cndmask_b32_e64 v18, v18, v8, s4
	v_cmp_eq_u32_e64 s4, 7, v78
	v_cndmask_b32_e64 v5, v5, v4, s3
	;; [unrolled: 4-line block ×3, first 2 shown]
	v_cmp_eq_u32_e64 s3, 7, v77
	v_cndmask_b32_e32 v4, v20, v8, vcc_lo
	v_cndmask_b32_e64 v17, v17, v12, s4
	v_cndmask_b32_e64 v19, v19, v12, s5
	;; [unrolled: 1-line block ×8, first 2 shown]
	s_mov_b32 s2, exec_lo
	v_perm_b32 v4, v2, v1, 0x5040100
	v_perm_b32 v3, v3, v5, 0x5040100
	;; [unrolled: 1-line block ×4, first 2 shown]
	ds_store_b128 v76, v[1:4]
	s_waitcnt lgkmcnt(0)
	s_barrier
	buffer_gl0_inv
	v_cmpx_gt_u32_e32 32, v0
	s_cbranch_execz .LBB1575_2
; %bb.111:
	s_load_b64 s[0:1], s[0:1], 0x68
	s_lshl_b32 s4, s34, 7
	v_or_b32_e32 v2, s29, v74
	s_mul_i32 s2, s4, s30
	v_lshlrev_b32_e32 v0, 10, v0
	s_mul_i32 s2, s2, s7
	v_lshlrev_b32_e32 v1, 4, v75
	s_ashr_i32 s3, s2, 31
	v_mul_lo_u32 v20, v2, s4
	s_lshl_b64 s[2:3], s[2:3], 1
	v_lshlrev_b32_e32 v3, 6, v74
	v_and_b32_e32 v0, 0x3800, v0
	s_delay_alu instid0(VALU_DEP_1) | instskip(NEXT) | instid1(VALU_DEP_4)
	v_or3_b32 v16, v0, v1, v3
	v_ashrrev_i32_e32 v21, 31, v20
	ds_load_b128 v[0:3], v16
	ds_load_b128 v[4:7], v16 offset:128
	s_waitcnt lgkmcnt(0)
	s_add_u32 s2, s0, s2
	s_addc_u32 s3, s1, s3
	s_lshl_b32 s0, s14, 7
	ds_load_b128 v[8:11], v16 offset:256
	ds_load_b128 v[12:15], v16 offset:384
	;; [unrolled: 1-line block ×3, first 2 shown]
	s_ashr_i32 s1, s0, 31
	s_delay_alu instid0(SALU_CYCLE_1) | instskip(NEXT) | instid1(SALU_CYCLE_1)
	s_lshl_b64 s[0:1], s[0:1], 1
	s_add_u32 s0, s2, s0
	s_addc_u32 s1, s3, s1
	s_lshl_b32 s2, s34, 8
	v_add_co_u32 v30, s0, s0, v73
	v_add_nc_u32_e32 v22, s2, v20
	v_lshlrev_b64 v[20:21], 1, v[20:21]
	v_add_co_ci_u32_e64 v31, null, s1, 0, s0
	s_delay_alu instid0(VALU_DEP_3) | instskip(SKIP_1) | instid1(VALU_DEP_4)
	v_add_nc_u32_e32 v24, s2, v22
	v_ashrrev_i32_e32 v23, 31, v22
	v_add_co_u32 v20, vcc_lo, v30, v20
	s_delay_alu instid0(VALU_DEP_4) | instskip(NEXT) | instid1(VALU_DEP_4)
	v_add_co_ci_u32_e32 v21, vcc_lo, v31, v21, vcc_lo
	v_add_nc_u32_e32 v26, s2, v24
	v_ashrrev_i32_e32 v25, 31, v24
	v_lshlrev_b64 v[22:23], 1, v[22:23]
	s_delay_alu instid0(VALU_DEP_3) | instskip(SKIP_1) | instid1(VALU_DEP_4)
	v_add_nc_u32_e32 v28, s2, v26
	v_ashrrev_i32_e32 v27, 31, v26
	v_lshlrev_b64 v[24:25], 1, v[24:25]
	s_delay_alu instid0(VALU_DEP_4) | instskip(NEXT) | instid1(VALU_DEP_4)
	v_add_co_u32 v22, vcc_lo, v30, v22
	v_ashrrev_i32_e32 v29, 31, v28
	s_delay_alu instid0(VALU_DEP_4) | instskip(SKIP_2) | instid1(VALU_DEP_4)
	v_lshlrev_b64 v[26:27], 1, v[26:27]
	v_add_co_ci_u32_e32 v23, vcc_lo, v31, v23, vcc_lo
	v_add_co_u32 v24, vcc_lo, v30, v24
	v_lshlrev_b64 v[28:29], 1, v[28:29]
	v_add_co_ci_u32_e32 v25, vcc_lo, v31, v25, vcc_lo
	v_add_co_u32 v26, vcc_lo, v30, v26
	v_add_co_ci_u32_e32 v27, vcc_lo, v31, v27, vcc_lo
	s_delay_alu instid0(VALU_DEP_4)
	v_add_co_u32 v28, vcc_lo, v30, v28
	v_add_co_ci_u32_e32 v29, vcc_lo, v31, v29, vcc_lo
	s_clause 0x1
	global_store_b128 v[20:21], v[0:3], off
	global_store_b128 v[22:23], v[4:7], off
	s_waitcnt lgkmcnt(2)
	global_store_b128 v[24:25], v[8:11], off
	s_waitcnt lgkmcnt(1)
	;; [unrolled: 2-line block ×3, first 2 shown]
	global_store_b128 v[28:29], v[16:19], off
	s_nop 0
	s_sendmsg sendmsg(MSG_DEALLOC_VGPRS)
	s_endpgm
	.section	.rodata,"a",@progbits
	.p2align	6, 0x0
	.amdhsa_kernel _Z39paged_attention_ll4mi_QKV_mfma16_kernelI14__hip_bfloat16hLN4vllm18Fp8KVCacheDataTypeE1ES0_Li16ELi128ELi256ELb0ELi10EL8MFMAType1EEvPKT_PKT0_S9_ifPKiSB_SB_iPKfiiiPfSE_PS4_PT2_iSD_SD_
		.amdhsa_group_segment_fixed_size 17472
		.amdhsa_private_segment_fixed_size 0
		.amdhsa_kernarg_size 400
		.amdhsa_user_sgpr_count 13
		.amdhsa_user_sgpr_dispatch_ptr 0
		.amdhsa_user_sgpr_queue_ptr 0
		.amdhsa_user_sgpr_kernarg_segment_ptr 1
		.amdhsa_user_sgpr_dispatch_id 0
		.amdhsa_user_sgpr_private_segment_size 0
		.amdhsa_wavefront_size32 1
		.amdhsa_uses_dynamic_stack 0
		.amdhsa_enable_private_segment 0
		.amdhsa_system_sgpr_workgroup_id_x 1
		.amdhsa_system_sgpr_workgroup_id_y 1
		.amdhsa_system_sgpr_workgroup_id_z 1
		.amdhsa_system_sgpr_workgroup_info 0
		.amdhsa_system_vgpr_workitem_id 0
		.amdhsa_next_free_vgpr 140
		.amdhsa_next_free_sgpr 36
		.amdhsa_reserve_vcc 1
		.amdhsa_float_round_mode_32 0
		.amdhsa_float_round_mode_16_64 0
		.amdhsa_float_denorm_mode_32 3
		.amdhsa_float_denorm_mode_16_64 3
		.amdhsa_dx10_clamp 1
		.amdhsa_ieee_mode 1
		.amdhsa_fp16_overflow 0
		.amdhsa_workgroup_processor_mode 1
		.amdhsa_memory_ordered 1
		.amdhsa_forward_progress 0
		.amdhsa_shared_vgpr_count 0
		.amdhsa_exception_fp_ieee_invalid_op 0
		.amdhsa_exception_fp_denorm_src 0
		.amdhsa_exception_fp_ieee_div_zero 0
		.amdhsa_exception_fp_ieee_overflow 0
		.amdhsa_exception_fp_ieee_underflow 0
		.amdhsa_exception_fp_ieee_inexact 0
		.amdhsa_exception_int_div_zero 0
	.end_amdhsa_kernel
	.section	.text._Z39paged_attention_ll4mi_QKV_mfma16_kernelI14__hip_bfloat16hLN4vllm18Fp8KVCacheDataTypeE1ES0_Li16ELi128ELi256ELb0ELi10EL8MFMAType1EEvPKT_PKT0_S9_ifPKiSB_SB_iPKfiiiPfSE_PS4_PT2_iSD_SD_,"axG",@progbits,_Z39paged_attention_ll4mi_QKV_mfma16_kernelI14__hip_bfloat16hLN4vllm18Fp8KVCacheDataTypeE1ES0_Li16ELi128ELi256ELb0ELi10EL8MFMAType1EEvPKT_PKT0_S9_ifPKiSB_SB_iPKfiiiPfSE_PS4_PT2_iSD_SD_,comdat
.Lfunc_end1575:
	.size	_Z39paged_attention_ll4mi_QKV_mfma16_kernelI14__hip_bfloat16hLN4vllm18Fp8KVCacheDataTypeE1ES0_Li16ELi128ELi256ELb0ELi10EL8MFMAType1EEvPKT_PKT0_S9_ifPKiSB_SB_iPKfiiiPfSE_PS4_PT2_iSD_SD_, .Lfunc_end1575-_Z39paged_attention_ll4mi_QKV_mfma16_kernelI14__hip_bfloat16hLN4vllm18Fp8KVCacheDataTypeE1ES0_Li16ELi128ELi256ELb0ELi10EL8MFMAType1EEvPKT_PKT0_S9_ifPKiSB_SB_iPKfiiiPfSE_PS4_PT2_iSD_SD_
                                        ; -- End function
	.section	.AMDGPU.csdata,"",@progbits
; Kernel info:
; codeLenInByte = 8908
; NumSgprs: 38
; NumVgprs: 140
; ScratchSize: 0
; MemoryBound: 0
; FloatMode: 240
; IeeeMode: 1
; LDSByteSize: 17472 bytes/workgroup (compile time only)
; SGPRBlocks: 4
; VGPRBlocks: 17
; NumSGPRsForWavesPerEU: 38
; NumVGPRsForWavesPerEU: 140
; Occupancy: 10
; WaveLimiterHint : 1
; COMPUTE_PGM_RSRC2:SCRATCH_EN: 0
; COMPUTE_PGM_RSRC2:USER_SGPR: 13
; COMPUTE_PGM_RSRC2:TRAP_HANDLER: 0
; COMPUTE_PGM_RSRC2:TGID_X_EN: 1
; COMPUTE_PGM_RSRC2:TGID_Y_EN: 1
; COMPUTE_PGM_RSRC2:TGID_Z_EN: 1
; COMPUTE_PGM_RSRC2:TIDIG_COMP_CNT: 0
	.section	.text._Z39paged_attention_ll4mi_QKV_mfma16_kernelI14__hip_bfloat16hLN4vllm18Fp8KVCacheDataTypeE1ES0_Li16ELi128ELi256ELb0ELi11EL8MFMAType1EEvPKT_PKT0_S9_ifPKiSB_SB_iPKfiiiPfSE_PS4_PT2_iSD_SD_,"axG",@progbits,_Z39paged_attention_ll4mi_QKV_mfma16_kernelI14__hip_bfloat16hLN4vllm18Fp8KVCacheDataTypeE1ES0_Li16ELi128ELi256ELb0ELi11EL8MFMAType1EEvPKT_PKT0_S9_ifPKiSB_SB_iPKfiiiPfSE_PS4_PT2_iSD_SD_,comdat
	.protected	_Z39paged_attention_ll4mi_QKV_mfma16_kernelI14__hip_bfloat16hLN4vllm18Fp8KVCacheDataTypeE1ES0_Li16ELi128ELi256ELb0ELi11EL8MFMAType1EEvPKT_PKT0_S9_ifPKiSB_SB_iPKfiiiPfSE_PS4_PT2_iSD_SD_ ; -- Begin function _Z39paged_attention_ll4mi_QKV_mfma16_kernelI14__hip_bfloat16hLN4vllm18Fp8KVCacheDataTypeE1ES0_Li16ELi128ELi256ELb0ELi11EL8MFMAType1EEvPKT_PKT0_S9_ifPKiSB_SB_iPKfiiiPfSE_PS4_PT2_iSD_SD_
	.globl	_Z39paged_attention_ll4mi_QKV_mfma16_kernelI14__hip_bfloat16hLN4vllm18Fp8KVCacheDataTypeE1ES0_Li16ELi128ELi256ELb0ELi11EL8MFMAType1EEvPKT_PKT0_S9_ifPKiSB_SB_iPKfiiiPfSE_PS4_PT2_iSD_SD_
	.p2align	8
	.type	_Z39paged_attention_ll4mi_QKV_mfma16_kernelI14__hip_bfloat16hLN4vllm18Fp8KVCacheDataTypeE1ES0_Li16ELi128ELi256ELb0ELi11EL8MFMAType1EEvPKT_PKT0_S9_ifPKiSB_SB_iPKfiiiPfSE_PS4_PT2_iSD_SD_,@function
_Z39paged_attention_ll4mi_QKV_mfma16_kernelI14__hip_bfloat16hLN4vllm18Fp8KVCacheDataTypeE1ES0_Li16ELi128ELi256ELb0ELi11EL8MFMAType1EEvPKT_PKT0_S9_ifPKiSB_SB_iPKfiiiPfSE_PS4_PT2_iSD_SD_: ; @_Z39paged_attention_ll4mi_QKV_mfma16_kernelI14__hip_bfloat16hLN4vllm18Fp8KVCacheDataTypeE1ES0_Li16ELi128ELi256ELb0ELi11EL8MFMAType1EEvPKT_PKT0_S9_ifPKiSB_SB_iPKfiiiPfSE_PS4_PT2_iSD_SD_
; %bb.0:
	s_load_b64 s[4:5], s[0:1], 0x30
	s_mov_b32 s30, s13
	s_waitcnt lgkmcnt(0)
	s_cmp_lg_u64 s[4:5], 0
	s_cselect_b32 s13, -1, 0
	s_ashr_i32 s31, s30, 31
	s_cmp_eq_u64 s[4:5], 0
	s_cbranch_scc1 .LBB1576_3
; %bb.1:
	s_lshl_b64 s[2:3], s[30:31], 2
	s_delay_alu instid0(SALU_CYCLE_1) | instskip(SKIP_4) | instid1(SALU_CYCLE_1)
	s_add_u32 s2, s4, s2
	s_addc_u32 s3, s5, s3
	s_load_b64 s[2:3], s[2:3], 0x0
	s_waitcnt lgkmcnt(0)
	s_sub_i32 s2, s3, s2
	s_cmp_eq_u32 s2, 1
	s_cselect_b32 s2, -1, 0
	s_delay_alu instid0(SALU_CYCLE_1)
	s_and_not1_b32 vcc_lo, exec_lo, s2
	s_cbranch_vccz .LBB1576_4
.LBB1576_2:
	s_nop 0
	s_sendmsg sendmsg(MSG_DEALLOC_VGPRS)
	s_endpgm
.LBB1576_3:
.LBB1576_4:
	s_load_b64 s[2:3], s[0:1], 0x28
	s_lshl_b64 s[6:7], s[30:31], 2
	s_waitcnt lgkmcnt(0)
	s_add_u32 s2, s2, s6
	s_addc_u32 s3, s3, s7
	s_lshl_b32 s12, s14, 8
	s_load_b32 s17, s[2:3], 0x0
	s_waitcnt lgkmcnt(0)
	s_cmp_ge_i32 s12, s17
	s_cbranch_scc1 .LBB1576_2
; %bb.5:
	s_clause 0x1
	s_load_b128 s[8:11], s[0:1], 0x8
	s_load_b64 s[2:3], s[0:1], 0x20
	s_and_not1_b32 vcc_lo, exec_lo, s13
	s_cbranch_vccnz .LBB1576_7
; %bb.6:
	s_add_u32 s4, s4, s6
	s_addc_u32 s5, s5, s7
	s_load_b32 s13, s[4:5], 0x0
	s_branch .LBB1576_8
.LBB1576_7:
	s_mov_b32 s13, s30
.LBB1576_8:
	s_load_b128 s[4:7], s[0:1], 0x48
	v_and_b32_e32 v65, 15, v0
	v_lshrrev_b32_e32 v66, 5, v0
	v_bfe_u32 v74, v0, 4, 1
	v_and_b32_e32 v67, 31, v0
	v_and_b32_e32 v75, 1, v0
	v_lshlrev_b32_e32 v2, 3, v65
	s_mul_i32 s31, s15, 11
	v_lshl_or_b32 v1, v66, 1, v74
	s_waitcnt lgkmcnt(0)
	s_mov_b32 s7, exec_lo
	v_lshlrev_b32_e32 v73, 1, v2
	s_delay_alu instid0(VALU_DEP_2)
	v_cmpx_gt_u32_e32 11, v1
	s_cbranch_execz .LBB1576_10
; %bb.9:
	s_load_b64 s[18:19], s[0:1], 0x0
	v_add_lshl_u32 v2, v1, s31, 7
	s_mul_hi_i32 s21, s13, s4
	s_mul_i32 s20, s13, s4
	v_lshlrev_b32_e32 v6, 10, v65
	s_lshl_b64 s[20:21], s[20:21], 1
	v_ashrrev_i32_e32 v3, 31, v2
	v_lshlrev_b32_e32 v1, 6, v1
	v_lshlrev_b32_e32 v7, 10, v75
	v_and_b32_e32 v6, 0x3800, v6
	s_delay_alu instid0(VALU_DEP_4) | instskip(NEXT) | instid1(VALU_DEP_2)
	v_lshlrev_b64 v[2:3], 1, v[2:3]
	v_or3_b32 v1, v6, v7, v1
	s_waitcnt lgkmcnt(0)
	s_add_u32 s4, s18, s20
	s_addc_u32 s13, s19, s21
	s_delay_alu instid0(VALU_DEP_2) | instskip(SKIP_1) | instid1(VALU_DEP_2)
	v_add_co_u32 v2, vcc_lo, s4, v2
	v_add_co_ci_u32_e32 v3, vcc_lo, s13, v3, vcc_lo
	v_add_co_u32 v2, vcc_lo, v2, v73
	s_delay_alu instid0(VALU_DEP_2)
	v_add_co_ci_u32_e32 v3, vcc_lo, 0, v3, vcc_lo
	global_load_b128 v[2:5], v[2:3], off
	s_waitcnt vmcnt(0)
	ds_store_b128 v1, v[2:5]
.LBB1576_10:
	s_or_b32 exec_lo, exec_lo, s7
	v_and_b32_e32 v1, 0xef, v0
	s_add_i32 s4, s17, 15
	s_clause 0x1
	s_load_b32 s7, s[0:1], 0x38
	s_load_b32 s18, s[0:1], 0x1c
	s_ashr_i32 s13, s4, 31
	v_add_nc_u32_e32 v1, s12, v1
	s_lshr_b32 s13, s13, 28
	s_waitcnt lgkmcnt(0)
	s_add_i32 s4, s4, s13
	s_barrier
	v_ashrrev_i32_e32 v2, 31, v1
	v_or_b32_e32 v3, 16, v1
	s_ashr_i32 s4, s4, 4
	v_cmp_gt_i32_e32 vcc_lo, s17, v1
	s_add_i32 s4, s4, -1
	v_lshrrev_b32_e32 v2, 28, v2
	buffer_gl0_inv
	s_mul_i32 s15, s15, s6
	v_add_nc_u32_e32 v4, v1, v2
	s_mul_i32 s20, s30, s7
	s_delay_alu instid0(SALU_CYCLE_1) | instskip(NEXT) | instid1(VALU_DEP_1)
	s_ashr_i32 s21, s20, 31
	v_ashrrev_i32_e32 v4, 4, v4
	v_add_nc_u32_e32 v2, v3, v2
	s_lshl_b64 s[20:21], s[20:21], 2
	s_delay_alu instid0(SALU_CYCLE_1) | instskip(NEXT) | instid1(VALU_DEP_2)
	s_add_u32 s13, s2, s20
	v_cndmask_b32_e32 v1, s4, v4, vcc_lo
	s_delay_alu instid0(VALU_DEP_2)
	v_ashrrev_i32_e32 v2, 4, v2
	v_cmp_gt_i32_e32 vcc_lo, s17, v3
	s_addc_u32 s16, s3, s21
	s_ashr_i32 s19, s15, 31
	s_add_u32 s26, s8, s15
	s_addc_u32 s27, s9, s19
	v_cndmask_b32_e32 v3, s4, v2, vcc_lo
	v_ashrrev_i32_e32 v2, 31, v1
	s_lshl_b32 s2, s14, 4
	s_delay_alu instid0(SALU_CYCLE_1) | instskip(NEXT) | instid1(VALU_DEP_2)
	s_ashr_i32 s3, s2, 31
	v_ashrrev_i32_e32 v4, 31, v3
	s_delay_alu instid0(VALU_DEP_2) | instskip(SKIP_1) | instid1(SALU_CYCLE_1)
	v_lshlrev_b64 v[1:2], 2, v[1:2]
	s_lshl_b64 s[2:3], s[2:3], 2
	s_add_u32 s2, s13, s2
	s_delay_alu instid0(VALU_DEP_2) | instskip(SKIP_1) | instid1(VALU_DEP_2)
	v_lshlrev_b64 v[3:4], 2, v[3:4]
	s_addc_u32 s3, s16, s3
	v_add_co_u32 v1, vcc_lo, s13, v1
	v_add_co_ci_u32_e32 v2, vcc_lo, s16, v2, vcc_lo
	s_delay_alu instid0(VALU_DEP_3) | instskip(NEXT) | instid1(VALU_DEP_4)
	v_add_co_u32 v3, vcc_lo, s13, v3
	v_add_co_ci_u32_e32 v4, vcc_lo, s16, v4, vcc_lo
	s_clause 0x1
	global_load_b32 v5, v[1:2], off
	global_load_b32 v3, v[3:4], off
	s_or_b32 s6, s12, 32
	v_cmp_gt_u32_e32 vcc_lo, 11, v65
	s_ashr_i32 s7, s6, 4
	s_cmp_lt_i32 s6, s17
	s_cselect_b32 s6, s7, s4
	s_delay_alu instid0(SALU_CYCLE_1) | instskip(NEXT) | instid1(SALU_CYCLE_1)
	s_ashr_i32 s7, s6, 31
	s_lshl_b64 s[6:7], s[6:7], 2
	s_delay_alu instid0(SALU_CYCLE_1) | instskip(SKIP_2) | instid1(SALU_CYCLE_1)
	s_add_u32 s6, s13, s6
	s_addc_u32 s7, s16, s7
	s_or_b32 s8, s12, 64
	s_ashr_i32 s9, s8, 4
	s_cmp_lt_i32 s8, s17
	s_cselect_b32 s8, s9, s4
	s_delay_alu instid0(SALU_CYCLE_1) | instskip(NEXT) | instid1(SALU_CYCLE_1)
	s_ashr_i32 s9, s8, 31
	s_lshl_b64 s[8:9], s[8:9], 2
	s_delay_alu instid0(SALU_CYCLE_1) | instskip(SKIP_2) | instid1(SALU_CYCLE_1)
	s_add_u32 s8, s13, s8
	s_addc_u32 s9, s16, s9
	s_or_b32 s20, s12, 0x60
	s_ashr_i32 s21, s20, 4
	s_cmp_lt_i32 s20, s17
	s_cselect_b32 s20, s21, s4
	s_delay_alu instid0(SALU_CYCLE_1) | instskip(NEXT) | instid1(SALU_CYCLE_1)
	s_ashr_i32 s21, s20, 31
	s_lshl_b64 s[20:21], s[20:21], 2
	s_delay_alu instid0(SALU_CYCLE_1) | instskip(SKIP_2) | instid1(SALU_CYCLE_1)
	s_add_u32 s20, s13, s20
	s_addc_u32 s21, s16, s21
	s_or_b32 s22, s12, 0x80
	s_ashr_i32 s23, s22, 4
	s_cmp_lt_i32 s22, s17
	s_cselect_b32 s22, s23, s4
	s_delay_alu instid0(SALU_CYCLE_1) | instskip(NEXT) | instid1(SALU_CYCLE_1)
	s_ashr_i32 s23, s22, 31
	s_lshl_b64 s[22:23], s[22:23], 2
	s_delay_alu instid0(SALU_CYCLE_1) | instskip(SKIP_2) | instid1(SALU_CYCLE_1)
	s_add_u32 s22, s13, s22
	s_addc_u32 s23, s16, s23
	s_or_b32 s24, s12, 0xa0
	s_ashr_i32 s25, s24, 4
	s_cmp_lt_i32 s24, s17
	s_cselect_b32 s24, s25, s4
	s_delay_alu instid0(SALU_CYCLE_1) | instskip(NEXT) | instid1(SALU_CYCLE_1)
	s_ashr_i32 s25, s24, 31
	s_lshl_b64 s[24:25], s[24:25], 2
	s_delay_alu instid0(SALU_CYCLE_1)
	s_add_u32 s24, s13, s24
	s_addc_u32 s25, s16, s25
	s_clause 0x5
	s_load_b32 s28, s[2:3], 0x0
	s_load_b32 s29, s[6:7], 0x0
	;; [unrolled: 1-line block ×6, first 2 shown]
	s_mov_b32 s20, 0
	s_or_b32 s2, s12, 0xc0
	s_mov_b32 s21, s20
	s_mov_b32 s22, s20
	;; [unrolled: 1-line block ×5, first 2 shown]
	v_lshlrev_b32_e32 v1, 4, v0
	s_ashr_i32 s3, s2, 4
	s_cmp_lt_i32 s2, s17
	s_cselect_b32 s2, s3, s4
	s_delay_alu instid0(VALU_DEP_1) | instskip(SKIP_1) | instid1(SALU_CYCLE_1)
	v_and_b32_e32 v1, 0xf0, v1
	s_ashr_i32 s3, s2, 31
	s_lshl_b64 s[2:3], s[2:3], 2
	s_delay_alu instid0(VALU_DEP_1) | instskip(NEXT) | instid1(VALU_DEP_1)
	v_add_co_u32 v1, s26, s26, v1
	v_add_co_ci_u32_e64 v2, null, s27, 0, s26
	s_add_u32 s2, s13, s2
	s_addc_u32 s3, s16, s3
	s_or_b32 s6, s12, 0xe0
	s_mov_b32 s27, s20
	s_ashr_i32 s7, s6, 4
	s_cmp_lt_i32 s6, s17
	s_mov_b32 s26, s20
	v_dual_mov_b32 v107, s27 :: v_dual_mov_b32 v100, s20
	s_cselect_b32 s6, s7, s4
	v_mov_b32_e32 v106, s26
	s_ashr_i32 s7, s6, 31
	v_mov_b32_e32 v104, s24
	s_lshl_b64 s[6:7], s[6:7], 2
	v_dual_mov_b32 v103, s23 :: v_dual_mov_b32 v102, s22
	v_mov_b32_e32 v101, s21
	s_waitcnt vmcnt(1)
	v_mad_i64_i32 v[33:34], null, v5, s5, v[1:2]
	s_waitcnt vmcnt(0)
	v_mad_i64_i32 v[35:36], null, v3, s5, v[1:2]
	s_clause 0xf
	global_load_b128 v[1:4], v[33:34], off
	global_load_b128 v[5:8], v[33:34], off offset:256
	global_load_b128 v[9:12], v[35:36], off
	global_load_b128 v[13:16], v[35:36], off offset:256
	global_load_b128 v[17:20], v[33:34], off offset:512
	;; [unrolled: 1-line block ×13, first 2 shown]
	v_add_nc_u32_e32 v33, -11, v65
	v_lshlrev_b32_e32 v34, 4, v65
	s_delay_alu instid0(VALU_DEP_2) | instskip(SKIP_1) | instid1(VALU_DEP_3)
	v_cndmask_b32_e32 v33, v33, v65, vcc_lo
	v_mov_b32_e32 v105, s25
	v_lshl_or_b32 v41, v66, 8, v34
	s_delay_alu instid0(VALU_DEP_3)
	v_lshlrev_b32_e32 v72, 6, v33
	ds_load_b128 v[33:36], v72
	ds_load_b128 v[37:40], v72 offset:1024
	ds_load_b128 v[108:111], v72 offset:2048
	;; [unrolled: 1-line block ×3, first 2 shown]
	s_load_b32 s4, s[2:3], 0x0
	s_add_u32 s2, s13, s6
	s_addc_u32 s3, s16, s7
	ds_load_b128 v[116:119], v72 offset:4096
	ds_load_b128 v[120:123], v72 offset:5120
	s_load_b32 s2, s[2:3], 0x0
	s_add_u32 s6, s10, s15
	s_addc_u32 s7, s11, s19
	v_add_co_u32 v68, s6, s6, v41
	s_delay_alu instid0(VALU_DEP_1) | instskip(SKIP_1) | instid1(VALU_DEP_1)
	v_add_co_ci_u32_e64 v69, null, s7, 0, s6
	s_waitcnt lgkmcnt(0)
	v_mad_i64_i32 v[41:42], null, s28, s5, v[68:69]
	v_mad_i64_i32 v[70:71], null, s8, s5, v[68:69]
	;; [unrolled: 1-line block ×7, first 2 shown]
	s_clause 0x3
	global_load_b128 v[49:52], v[41:42], off
	global_load_b128 v[53:56], v[41:42], off offset:16
	global_load_b128 v[41:44], v[45:46], off
	global_load_b128 v[45:48], v[45:46], off offset:16
	s_waitcnt vmcnt(18)
	v_wmma_f32_16x16x16_bf16 v[124:131], v[1:8], v[33:40], v[100:107]
	s_waitcnt vmcnt(16)
	v_wmma_f32_16x16x16_bf16 v[100:107], v[9:16], v[33:40], v[100:107]
	s_clause 0x1
	global_load_b128 v[33:36], v[70:71], off
	global_load_b128 v[37:40], v[70:71], off offset:16
	v_mad_i64_i32 v[70:71], null, s2, s5, v[68:69]
	s_waitcnt vmcnt(16)
	v_wmma_f32_16x16x16_bf16 v[124:131], v[17:24], v[108:115], v[124:131]
	s_waitcnt vmcnt(14)
	v_wmma_f32_16x16x16_bf16 v[100:107], v[25:32], v[108:115], v[100:107]
	s_clause 0x7
	global_load_b128 v[25:28], v[132:133], off
	global_load_b128 v[29:32], v[132:133], off offset:16
	global_load_b128 v[1:4], v[134:135], off
	global_load_b128 v[5:8], v[134:135], off offset:16
	;; [unrolled: 2-line block ×4, first 2 shown]
	s_waitcnt vmcnt(20)
	v_wmma_f32_16x16x16_bf16 v[124:131], v[57:64], v[116:123], v[124:131]
	s_clause 0x1
	global_load_b128 v[57:60], v[70:71], off
	global_load_b128 v[61:64], v[70:71], off offset:16
	s_waitcnt vmcnt(20)
	v_wmma_f32_16x16x16_bf16 v[100:107], v[76:83], v[116:123], v[100:107]
	ds_load_b128 v[76:79], v72 offset:6144
	ds_load_b128 v[80:83], v72 offset:7168
	v_and_b32_e32 v68, 0xe0, v0
	v_mbcnt_lo_u32_b32 v69, -1, 0
	s_waitcnt vmcnt(0) lgkmcnt(0)
	s_barrier
	buffer_gl0_inv
	v_add_nc_u32_e32 v68, s12, v68
	v_xor_b32_e32 v70, 16, v69
	s_delay_alu instid0(VALU_DEP_2) | instskip(NEXT) | instid1(VALU_DEP_2)
	v_or_b32_e32 v68, v68, v74
	v_cmp_gt_i32_e32 vcc_lo, 32, v70
	s_delay_alu instid0(VALU_DEP_2)
	v_or_b32_e32 v71, 4, v68
	v_or_b32_e32 v72, 6, v68
	v_cmp_gt_i32_e64 s2, s17, v68
	v_or_b32_e32 v108, 8, v68
	v_wmma_f32_16x16x16_bf16 v[124:131], v[84:91], v[76:83], v[124:131]
	v_cndmask_b32_e32 v69, v69, v70, vcc_lo
	v_or_b32_e32 v70, 2, v68
	v_wmma_f32_16x16x16_bf16 v[100:107], v[92:99], v[76:83], v[100:107]
	v_or_b32_e32 v109, 10, v68
	v_dual_mul_f32 v82, s18, v127 :: v_dual_mul_f32 v79, s18, v130
	v_dual_mul_f32 v92, s18, v125 :: v_dual_mul_f32 v93, s18, v124
	s_delay_alu instid0(VALU_DEP_4)
	v_mul_f32_e32 v98, s18, v103
	v_cmp_gt_i32_e32 vcc_lo, s17, v70
	v_or_b32_e32 v89, 22, v68
	v_dual_mul_f32 v83, s18, v126 :: v_dual_mul_f32 v96, s18, v105
	v_cndmask_b32_e64 v93, 0xff7fffff, v93, s2
	v_cndmask_b32_e32 v92, 0xff7fffff, v92, vcc_lo
	v_cmp_gt_i32_e64 s3, s17, v71
	v_cmp_gt_i32_e64 s4, s17, v72
	v_or_b32_e32 v84, 12, v68
	v_or_b32_e32 v85, 14, v68
	v_dual_mul_f32 v80, s18, v129 :: v_dual_mul_f32 v81, s18, v128
	v_mul_f32_e32 v94, s18, v107
	v_cndmask_b32_e64 v71, 0xff7fffff, v83, s3
	v_cndmask_b32_e64 v72, 0xff7fffff, v82, s4
	v_cmp_gt_i32_e64 s5, s17, v108
	v_cmp_gt_i32_e64 s6, s17, v109
	;; [unrolled: 1-line block ×3, first 2 shown]
	v_lshlrev_b32_e32 v89, 2, v69
	v_max3_f32 v82, v93, 0xff7fffff, v92
	v_or_b32_e32 v86, 16, v68
	v_or_b32_e32 v87, 18, v68
	v_mul_f32_e32 v78, s18, v131
	v_cndmask_b32_e64 v81, 0xff7fffff, v81, s5
	v_cndmask_b32_e64 v80, 0xff7fffff, v80, s6
	v_max3_f32 v71, v82, v71, v72
	v_cmp_gt_i32_e64 s7, s17, v84
	v_cmp_gt_i32_e64 s8, s17, v85
	v_or_b32_e32 v88, 20, v68
	v_or_b32_e32 v90, 24, v68
	;; [unrolled: 1-line block ×5, first 2 shown]
	v_dual_mul_f32 v95, s18, v106 :: v_dual_mul_f32 v70, s18, v101
	v_dual_mul_f32 v99, s18, v102 :: v_dual_mul_f32 v68, s18, v100
	v_cndmask_b32_e64 v72, 0xff7fffff, v79, s7
	v_cndmask_b32_e64 v78, 0xff7fffff, v78, s8
	v_max3_f32 v71, v71, v81, v80
	v_cmp_gt_i32_e64 s9, s17, v86
	v_cmp_gt_i32_e64 s10, s17, v87
	;; [unrolled: 1-line block ×3, first 2 shown]
	v_mul_f32_e32 v97, s18, v104
	v_max3_f32 v71, v71, v72, v78
	v_cndmask_b32_e64 v68, 0xff7fffff, v68, s9
	v_cndmask_b32_e64 v70, 0xff7fffff, v70, s10
	;; [unrolled: 1-line block ×4, first 2 shown]
	v_cmp_gt_i32_e64 s13, s17, v90
	v_cmp_gt_i32_e64 s15, s17, v91
	v_max3_f32 v68, v71, v68, v70
	v_cmp_gt_i32_e64 s16, s17, v76
	v_cmp_gt_i32_e64 s17, s17, v77
	v_cndmask_b32_e64 v70, 0xff7fffff, v97, s13
	v_cndmask_b32_e64 v71, 0xff7fffff, v96, s15
	v_max3_f32 v68, v68, v72, v78
	v_cndmask_b32_e64 v72, 0xff7fffff, v95, s16
	v_cndmask_b32_e64 v76, 0xff7fffff, v94, s17
	s_delay_alu instid0(VALU_DEP_3) | instskip(NEXT) | instid1(VALU_DEP_1)
	v_max3_f32 v68, v68, v70, v71
	v_max3_f32 v68, v68, v72, v76
	ds_bpermute_b32 v69, v89, v68
	s_waitcnt lgkmcnt(0)
	v_max_f32_e32 v69, v69, v69
	s_delay_alu instid0(VALU_DEP_1) | instskip(NEXT) | instid1(VALU_DEP_1)
	v_max_f32_e32 v68, v68, v69
	v_fma_f32 v69, s18, v124, -v68
	v_fma_f32 v70, s18, v125, -v68
	;; [unrolled: 1-line block ×5, first 2 shown]
	s_delay_alu instid0(VALU_DEP_4) | instskip(NEXT) | instid1(VALU_DEP_4)
	v_dual_mul_f32 v69, 0x3fb8aa3b, v69 :: v_dual_mul_f32 v70, 0x3fb8aa3b, v70
	v_mul_f32_e32 v72, 0x3fb8aa3b, v72
	v_fma_f32 v78, s18, v130, -v68
	s_delay_alu instid0(VALU_DEP_4) | instskip(NEXT) | instid1(VALU_DEP_4)
	v_mul_f32_e32 v77, 0x3fb8aa3b, v76
	v_exp_f32_e32 v69, v69
	v_exp_f32_e32 v70, v70
	v_mul_f32_e32 v71, 0x3fb8aa3b, v71
	v_exp_f32_e32 v72, v72
	v_mul_f32_e32 v78, 0x3fb8aa3b, v78
	v_exp_f32_e32 v77, v77
	v_fma_f32 v81, s18, v105, -v68
	s_delay_alu instid0(VALU_DEP_2)
	v_exp_f32_e32 v78, v78
	v_cndmask_b32_e64 v80, 0, v69, s2
	v_cndmask_b32_e32 v76, 0, v70, vcc_lo
	v_exp_f32_e32 v71, v71
	v_fma_f32 v69, s18, v129, -v68
	v_cndmask_b32_e64 v85, 0, v72, s4
	v_add_f32_e32 v70, 0, v80
	s_delay_alu instid0(TRANS32_DEP_3)
	v_cndmask_b32_e64 v86, 0, v77, s5
	v_fma_f32 v77, s18, v101, -v68
	v_mul_f32_e32 v69, 0x3fb8aa3b, v69
	v_fma_f32 v72, s18, v100, -v68
	v_cndmask_b32_e64 v84, 0, v78, s7
	v_fma_f32 v78, s18, v103, -v68
	v_cndmask_b32_e64 v83, 0, v71, s3
	v_fma_f32 v71, s18, v131, -v68
	v_add_f32_e32 v70, v70, v76
	v_exp_f32_e32 v69, v69
	v_mul_f32_e32 v77, 0x3fb8aa3b, v77
	v_mul_f32_e32 v81, 0x3fb8aa3b, v81
	;; [unrolled: 1-line block ×3, first 2 shown]
	v_add_f32_e32 v70, v70, v83
	v_cmp_gt_u32_e64 s2, 16, v67
	v_exp_f32_e32 v77, v77
	v_exp_f32_e32 v81, v81
	;; [unrolled: 1-line block ×3, first 2 shown]
	v_cndmask_b32_e64 v87, 0, v69, s6
	v_add_f32_e32 v70, v70, v85
	s_delay_alu instid0(VALU_DEP_1) | instskip(SKIP_1) | instid1(VALU_DEP_2)
	v_dual_mul_f32 v72, 0x3fb8aa3b, v72 :: v_dual_add_f32 v69, v70, v86
	v_fma_f32 v70, s18, v102, -v68
	v_exp_f32_e32 v72, v72
	s_waitcnt_depctr 0xfff
	v_cndmask_b32_e64 v88, 0, v71, s8
	v_fma_f32 v71, s18, v104, -v68
	v_dual_add_f32 v69, v69, v87 :: v_dual_mul_f32 v70, 0x3fb8aa3b, v70
	s_delay_alu instid0(VALU_DEP_2) | instskip(NEXT) | instid1(VALU_DEP_2)
	v_dual_mul_f32 v78, 0x3fb8aa3b, v78 :: v_dual_mul_f32 v71, 0x3fb8aa3b, v71
	v_add_f32_e32 v69, v69, v84
	s_delay_alu instid0(VALU_DEP_3) | instskip(SKIP_1) | instid1(VALU_DEP_3)
	v_exp_f32_e32 v79, v70
	v_cndmask_b32_e64 v70, 0, v72, s9
	v_exp_f32_e32 v78, v78
	v_exp_f32_e32 v82, v71
	v_add_f32_e32 v72, v69, v88
	v_cndmask_b32_e64 v69, 0, v77, s10
	v_fma_f32 v77, s18, v106, -v68
	s_delay_alu instid0(VALU_DEP_3) | instskip(NEXT) | instid1(TRANS32_DEP_3)
	v_add_f32_e32 v72, v72, v70
	v_cndmask_b32_e64 v71, 0, v79, s11
	s_delay_alu instid0(VALU_DEP_3) | instskip(NEXT) | instid1(VALU_DEP_3)
	v_mul_f32_e32 v77, 0x3fb8aa3b, v77
	v_add_f32_e32 v79, v72, v69
	s_delay_alu instid0(TRANS32_DEP_2) | instskip(NEXT) | instid1(VALU_DEP_3)
	v_cndmask_b32_e64 v72, 0, v78, s12
	v_exp_f32_e32 v90, v77
	v_cndmask_b32_e64 v77, 0, v82, s13
	s_delay_alu instid0(VALU_DEP_3) | instskip(SKIP_1) | instid1(VALU_DEP_1)
	v_add_f32_e32 v78, v79, v71
	v_fma_f32 v79, s18, v107, -v68
	v_dual_add_f32 v82, v78, v72 :: v_dual_mul_f32 v79, 0x3fb8aa3b, v79
	v_cndmask_b32_e64 v78, 0, v81, s15
	s_delay_alu instid0(VALU_DEP_2) | instskip(NEXT) | instid1(VALU_DEP_3)
	v_add_f32_e32 v81, v82, v77
	v_exp_f32_e32 v82, v79
	s_delay_alu instid0(TRANS32_DEP_2) | instskip(NEXT) | instid1(VALU_DEP_2)
	v_cndmask_b32_e64 v79, 0, v90, s16
	v_add_f32_e32 v81, v81, v78
	s_delay_alu instid0(VALU_DEP_1) | instskip(SKIP_2) | instid1(VALU_DEP_1)
	v_add_f32_e32 v90, v81, v79
	s_waitcnt_depctr 0xfff
	v_cndmask_b32_e64 v81, 0, v82, s17
	v_add_f32_e32 v82, v90, v81
	ds_bpermute_b32 v89, v89, v82
	s_and_saveexec_b32 s3, s2
	s_cbranch_execz .LBB1576_12
; %bb.11:
	v_mul_u32_u24_e32 v67, 0x44, v66
	s_delay_alu instid0(VALU_DEP_1) | instskip(SKIP_1) | instid1(VALU_DEP_1)
	v_lshl_add_u32 v67, v65, 2, v67
	s_waitcnt lgkmcnt(0)
	v_dual_add_f32 v82, v82, v89 :: v_dual_add_nc_u32 v67, 0x4000, v67
	ds_store_2addr_b32 v67, v68, v82 offset1:136
.LBB1576_12:
	s_or_b32 exec_lo, exec_lo, s3
	v_lshlrev_b32_e32 v67, 2, v65
	s_waitcnt lgkmcnt(0)
	s_barrier
	buffer_gl0_inv
	v_cmp_eq_u32_e32 vcc_lo, 1, v66
	v_add_nc_u32_e32 v82, 0x4000, v67
	v_cmp_eq_u32_e64 s3, 2, v66
	v_cmp_eq_u32_e64 s5, 7, v66
	ds_load_2addr_b32 v[89:90], v82 offset1:17
	ds_load_2addr_b32 v[91:92], v82 offset0:34 offset1:51
	ds_load_2addr_b32 v[93:94], v82 offset0:68 offset1:85
	;; [unrolled: 1-line block ×4, first 2 shown]
	s_waitcnt lgkmcnt(4)
	v_max3_f32 v67, v89, 0xff7fffff, v90
	s_waitcnt lgkmcnt(3)
	s_delay_alu instid0(VALU_DEP_1) | instskip(SKIP_1) | instid1(VALU_DEP_1)
	v_max3_f32 v67, v67, v91, v92
	s_waitcnt lgkmcnt(2)
	v_max3_f32 v67, v67, v93, v94
	s_waitcnt lgkmcnt(1)
	s_delay_alu instid0(VALU_DEP_1) | instskip(NEXT) | instid1(VALU_DEP_1)
	v_max3_f32 v67, v67, v95, v96
	v_sub_f32_e32 v93, v93, v67
	s_delay_alu instid0(VALU_DEP_1) | instskip(NEXT) | instid1(VALU_DEP_1)
	v_dual_sub_f32 v68, v89, v67 :: v_dual_mul_f32 v103, 0x3fb8aa3b, v93
	v_mul_f32_e32 v68, 0x3fb8aa3b, v68
	s_delay_alu instid0(VALU_DEP_1)
	v_exp_f32_e32 v100, v68
	v_sub_f32_e32 v68, v92, v67
	v_sub_f32_e32 v99, v90, v67
	ds_load_2addr_b32 v[89:90], v82 offset0:170 offset1:187
	v_dual_mul_f32 v102, 0x3fb8aa3b, v68 :: v_dual_mul_f32 v99, 0x3fb8aa3b, v99
	s_waitcnt lgkmcnt(1)
	v_fma_f32 v68, v100, v97, 0
	s_delay_alu instid0(VALU_DEP_2) | instskip(NEXT) | instid1(VALU_DEP_2)
	v_exp_f32_e32 v102, v102
	v_exp_f32_e32 v99, v99
	s_waitcnt_depctr 0xfff
	v_fmac_f32_e32 v68, v99, v98
	v_sub_f32_e32 v91, v91, v67
	s_delay_alu instid0(VALU_DEP_1)
	v_mul_f32_e32 v101, 0x3fb8aa3b, v91
	ds_load_2addr_b32 v[91:92], v82 offset0:204 offset1:221
	v_sub_f32_e32 v97, v94, v67
	ds_load_2addr_b32 v[93:94], v82 offset0:238 offset1:255
	s_waitcnt lgkmcnt(0)
	v_exp_f32_e32 v101, v101
	s_barrier
	buffer_gl0_inv
	v_dual_fmac_f32 v68, v101, v89 :: v_dual_sub_f32 v89, v96, v67
	v_dual_sub_f32 v82, v95, v67 :: v_dual_mul_f32 v95, 0x3fb8aa3b, v97
	v_exp_f32_e32 v97, v103
	s_delay_alu instid0(VALU_DEP_2) | instskip(NEXT) | instid1(VALU_DEP_2)
	v_dual_fmac_f32 v68, v102, v90 :: v_dual_mul_f32 v89, 0x3fb8aa3b, v89
	v_mul_f32_e32 v82, 0x3fb8aa3b, v82
	s_delay_alu instid0(VALU_DEP_3) | instskip(NEXT) | instid1(VALU_DEP_2)
	v_exp_f32_e32 v95, v95
	v_exp_f32_e32 v89, v89
	s_delay_alu instid0(VALU_DEP_1)
	v_exp_f32_e32 v82, v82
	v_fmac_f32_e32 v68, v97, v91
	s_delay_alu instid0(TRANS32_DEP_3) | instid1(VALU_DEP_1)
	v_fmac_f32_e32 v68, v95, v92
	s_waitcnt_depctr 0xfff
	v_fmac_f32_e32 v68, v82, v93
	s_delay_alu instid0(VALU_DEP_1) | instskip(NEXT) | instid1(VALU_DEP_1)
	v_fmac_f32_e32 v68, v89, v94
	v_add_f32_e32 v90, 0x358637bd, v68
	s_delay_alu instid0(VALU_DEP_1) | instskip(NEXT) | instid1(VALU_DEP_1)
	v_div_scale_f32 v91, null, v90, v90, 1.0
	v_rcp_f32_e32 v92, v91
	s_waitcnt_depctr 0xfff
	v_fma_f32 v93, -v91, v92, 1.0
	s_delay_alu instid0(VALU_DEP_1) | instskip(SKIP_1) | instid1(VALU_DEP_2)
	v_dual_fmac_f32 v92, v93, v92 :: v_dual_cndmask_b32 v93, v100, v99
	v_cmp_eq_u32_e32 vcc_lo, 3, v66
	v_cndmask_b32_e64 v93, v93, v101, s3
	v_cmp_eq_u32_e64 s3, 4, v66
	s_delay_alu instid0(VALU_DEP_2) | instskip(SKIP_1) | instid1(VALU_DEP_2)
	v_cndmask_b32_e32 v93, v93, v102, vcc_lo
	v_cmp_eq_u32_e32 vcc_lo, 5, v66
	v_cndmask_b32_e64 v93, v93, v97, s3
	v_cmp_eq_u32_e64 s3, 6, v66
	s_delay_alu instid0(VALU_DEP_2) | instskip(SKIP_1) | instid1(VALU_DEP_1)
	v_cndmask_b32_e32 v93, v93, v95, vcc_lo
	v_div_scale_f32 v94, s4, 1.0, v90, 1.0
	s_mov_b32 vcc_lo, s4
	s_delay_alu instid0(VALU_DEP_2) | instskip(NEXT) | instid1(VALU_DEP_2)
	v_cndmask_b32_e64 v82, v93, v82, s3
	v_mul_f32_e32 v96, v94, v92
	s_mov_b32 s3, exec_lo
	s_delay_alu instid0(VALU_DEP_2) | instskip(NEXT) | instid1(VALU_DEP_2)
	v_cndmask_b32_e64 v82, v82, v89, s5
	v_fma_f32 v98, -v91, v96, v94
	s_delay_alu instid0(VALU_DEP_1) | instskip(NEXT) | instid1(VALU_DEP_1)
	v_fmac_f32_e32 v96, v98, v92
	v_fma_f32 v91, -v91, v96, v94
	s_delay_alu instid0(VALU_DEP_1) | instskip(NEXT) | instid1(VALU_DEP_1)
	v_div_fmas_f32 v91, v91, v92, v96
	v_div_fixup_f32 v90, v91, v90, 1.0
	s_delay_alu instid0(VALU_DEP_1) | instskip(NEXT) | instid1(VALU_DEP_1)
	v_mul_f32_e32 v82, v82, v90
	v_mul_f32_e32 v87, v82, v87
	;; [unrolled: 1-line block ×7, first 2 shown]
	v_dual_mul_f32 v86, v82, v83 :: v_dual_and_b32 v91, 0x7f800000, v90
	v_mul_f32_e32 v85, v82, v76
                                        ; implicit-def: $vgpr76
	s_delay_alu instid0(VALU_DEP_2)
	v_cmpx_ne_u32_e32 0x7f800000, v91
	s_xor_b32 s3, exec_lo, s3
; %bb.13:
	v_bfe_u32 v76, v90, 16, 1
	s_delay_alu instid0(VALU_DEP_1)
	v_add3_u32 v76, v90, v76, 0x7fff
                                        ; implicit-def: $vgpr90
; %bb.14:
	s_and_not1_saveexec_b32 s3, s3
; %bb.15:
	v_and_b32_e32 v76, 0xffff, v90
	v_or_b32_e32 v83, 0x10000, v90
	s_delay_alu instid0(VALU_DEP_2) | instskip(NEXT) | instid1(VALU_DEP_2)
	v_cmp_eq_u32_e32 vcc_lo, 0, v76
	v_cndmask_b32_e32 v76, v83, v90, vcc_lo
; %bb.16:
	s_or_b32 exec_lo, exec_lo, s3
	v_and_b32_e32 v83, 0x7f800000, v85
	s_delay_alu instid0(VALU_DEP_1) | instskip(SKIP_1) | instid1(SALU_CYCLE_1)
	v_cmp_ne_u32_e32 vcc_lo, 0x7f800000, v83
                                        ; implicit-def: $vgpr83
	s_and_saveexec_b32 s3, vcc_lo
	s_xor_b32 s3, exec_lo, s3
; %bb.17:
	v_bfe_u32 v83, v85, 16, 1
	s_delay_alu instid0(VALU_DEP_1)
	v_add3_u32 v83, v85, v83, 0x7fff
                                        ; implicit-def: $vgpr85
; %bb.18:
	s_and_not1_saveexec_b32 s3, s3
; %bb.19:
	v_and_b32_e32 v83, 0xffff, v85
	v_or_b32_e32 v90, 0x10000, v85
	s_delay_alu instid0(VALU_DEP_2) | instskip(NEXT) | instid1(VALU_DEP_2)
	v_cmp_eq_u32_e32 vcc_lo, 0, v83
	v_cndmask_b32_e32 v83, v90, v85, vcc_lo
; %bb.20:
	s_or_b32 exec_lo, exec_lo, s3
	v_and_b32_e32 v85, 0x7f800000, v86
	s_delay_alu instid0(VALU_DEP_1) | instskip(SKIP_1) | instid1(SALU_CYCLE_1)
	v_cmp_ne_u32_e32 vcc_lo, 0x7f800000, v85
                                        ; implicit-def: $vgpr85
	s_and_saveexec_b32 s3, vcc_lo
	s_xor_b32 s3, exec_lo, s3
; %bb.21:
	v_bfe_u32 v85, v86, 16, 1
	s_delay_alu instid0(VALU_DEP_1)
	v_add3_u32 v85, v86, v85, 0x7fff
                                        ; implicit-def: $vgpr86
; %bb.22:
	s_and_not1_saveexec_b32 s3, s3
; %bb.23:
	v_and_b32_e32 v85, 0xffff, v86
	v_or_b32_e32 v90, 0x10000, v86
	s_delay_alu instid0(VALU_DEP_2) | instskip(NEXT) | instid1(VALU_DEP_2)
	v_cmp_eq_u32_e32 vcc_lo, 0, v85
	v_cndmask_b32_e32 v85, v90, v86, vcc_lo
; %bb.24:
	s_or_b32 exec_lo, exec_lo, s3
	v_and_b32_e32 v86, 0x7f800000, v89
	s_delay_alu instid0(VALU_DEP_1) | instskip(SKIP_1) | instid1(SALU_CYCLE_1)
	v_cmp_ne_u32_e32 vcc_lo, 0x7f800000, v86
                                        ; implicit-def: $vgpr86
	s_and_saveexec_b32 s3, vcc_lo
	s_xor_b32 s3, exec_lo, s3
; %bb.25:
	v_bfe_u32 v86, v89, 16, 1
	s_delay_alu instid0(VALU_DEP_1)
	v_add3_u32 v86, v89, v86, 0x7fff
                                        ; implicit-def: $vgpr89
; %bb.26:
	s_and_not1_saveexec_b32 s3, s3
; %bb.27:
	v_and_b32_e32 v86, 0xffff, v89
	v_or_b32_e32 v90, 0x10000, v89
	s_delay_alu instid0(VALU_DEP_2) | instskip(NEXT) | instid1(VALU_DEP_2)
	v_cmp_eq_u32_e32 vcc_lo, 0, v86
	v_cndmask_b32_e32 v86, v90, v89, vcc_lo
; %bb.28:
	s_or_b32 exec_lo, exec_lo, s3
	v_and_b32_e32 v89, 0x7f800000, v88
	s_delay_alu instid0(VALU_DEP_1) | instskip(SKIP_1) | instid1(SALU_CYCLE_1)
	v_cmp_ne_u32_e32 vcc_lo, 0x7f800000, v89
                                        ; implicit-def: $vgpr89
	s_and_saveexec_b32 s3, vcc_lo
	s_xor_b32 s3, exec_lo, s3
; %bb.29:
	v_bfe_u32 v89, v88, 16, 1
	s_delay_alu instid0(VALU_DEP_1)
	v_add3_u32 v89, v88, v89, 0x7fff
                                        ; implicit-def: $vgpr88
; %bb.30:
	s_and_not1_saveexec_b32 s3, s3
; %bb.31:
	v_and_b32_e32 v89, 0xffff, v88
	v_or_b32_e32 v90, 0x10000, v88
	s_delay_alu instid0(VALU_DEP_2) | instskip(NEXT) | instid1(VALU_DEP_2)
	v_cmp_eq_u32_e32 vcc_lo, 0, v89
	v_cndmask_b32_e32 v89, v90, v88, vcc_lo
; %bb.32:
	s_or_b32 exec_lo, exec_lo, s3
	v_and_b32_e32 v88, 0x7f800000, v87
	s_delay_alu instid0(VALU_DEP_1) | instskip(SKIP_1) | instid1(SALU_CYCLE_1)
	v_cmp_ne_u32_e32 vcc_lo, 0x7f800000, v88
                                        ; implicit-def: $vgpr88
	s_and_saveexec_b32 s3, vcc_lo
	s_xor_b32 s3, exec_lo, s3
; %bb.33:
	v_bfe_u32 v88, v87, 16, 1
	s_delay_alu instid0(VALU_DEP_1)
	v_add3_u32 v88, v87, v88, 0x7fff
                                        ; implicit-def: $vgpr87
; %bb.34:
	s_and_not1_saveexec_b32 s3, s3
; %bb.35:
	v_and_b32_e32 v88, 0xffff, v87
	v_or_b32_e32 v90, 0x10000, v87
	s_delay_alu instid0(VALU_DEP_2) | instskip(NEXT) | instid1(VALU_DEP_2)
	v_cmp_eq_u32_e32 vcc_lo, 0, v88
	v_cndmask_b32_e32 v88, v90, v87, vcc_lo
; %bb.36:
	s_or_b32 exec_lo, exec_lo, s3
	v_and_b32_e32 v87, 0x7f800000, v84
	s_delay_alu instid0(VALU_DEP_1) | instskip(SKIP_1) | instid1(SALU_CYCLE_1)
	v_cmp_ne_u32_e32 vcc_lo, 0x7f800000, v87
                                        ; implicit-def: $vgpr87
	s_and_saveexec_b32 s3, vcc_lo
	s_xor_b32 s3, exec_lo, s3
; %bb.37:
	v_bfe_u32 v87, v84, 16, 1
	s_delay_alu instid0(VALU_DEP_1)
	v_add3_u32 v87, v84, v87, 0x7fff
                                        ; implicit-def: $vgpr84
; %bb.38:
	s_and_not1_saveexec_b32 s3, s3
; %bb.39:
	v_and_b32_e32 v87, 0xffff, v84
	v_or_b32_e32 v90, 0x10000, v84
	s_delay_alu instid0(VALU_DEP_2) | instskip(NEXT) | instid1(VALU_DEP_2)
	v_cmp_eq_u32_e32 vcc_lo, 0, v87
	v_cndmask_b32_e32 v87, v90, v84, vcc_lo
; %bb.40:
	s_or_b32 exec_lo, exec_lo, s3
	v_and_b32_e32 v84, 0x7f800000, v80
	s_delay_alu instid0(VALU_DEP_1) | instskip(SKIP_1) | instid1(SALU_CYCLE_1)
	v_cmp_ne_u32_e32 vcc_lo, 0x7f800000, v84
                                        ; implicit-def: $vgpr84
	s_and_saveexec_b32 s3, vcc_lo
	s_xor_b32 s3, exec_lo, s3
; %bb.41:
	v_bfe_u32 v84, v80, 16, 1
	s_delay_alu instid0(VALU_DEP_1)
	v_add3_u32 v84, v80, v84, 0x7fff
                                        ; implicit-def: $vgpr80
; %bb.42:
	s_and_not1_saveexec_b32 s3, s3
; %bb.43:
	v_and_b32_e32 v84, 0xffff, v80
	v_or_b32_e32 v90, 0x10000, v80
	s_delay_alu instid0(VALU_DEP_2) | instskip(NEXT) | instid1(VALU_DEP_2)
	v_cmp_eq_u32_e32 vcc_lo, 0, v84
	v_cndmask_b32_e32 v84, v90, v80, vcc_lo
; %bb.44:
	s_or_b32 exec_lo, exec_lo, s3
	s_load_b64 s[34:35], s[0:1], 0x94
	v_lshlrev_b32_e32 v91, 4, v74
	s_delay_alu instid0(VALU_DEP_2)
	v_perm_b32 v90, v84, v87, 0x7060302
	v_dual_mul_f32 v79, v82, v79 :: v_dual_lshlrev_b32 v80, 6, v65
	v_dual_mul_f32 v77, v82, v77 :: v_dual_lshlrev_b32 v92, 11, v66
	v_mul_f32_e32 v84, v82, v70
	v_perm_b32 v89, v88, v89, 0x7060302
	v_perm_b32 v88, v86, v85, 0x7060302
	;; [unrolled: 1-line block ×3, first 2 shown]
	v_mul_f32_e32 v70, v82, v81
	v_or3_b32 v76, v91, v92, v80
	v_dual_mul_f32 v78, v82, v78 :: v_dual_and_b32 v85, 0x7f800000, v84
	v_mul_f32_e32 v83, v82, v72
	v_mul_f32_e32 v81, v82, v71
	v_mul_f32_e32 v72, v82, v69
	s_mov_b32 s3, exec_lo
	ds_store_b128 v76, v[87:90]
                                        ; implicit-def: $vgpr69
	v_cmpx_ne_u32_e32 0x7f800000, v85
	s_xor_b32 s3, exec_lo, s3
; %bb.45:
	v_bfe_u32 v69, v84, 16, 1
	s_delay_alu instid0(VALU_DEP_1)
	v_add3_u32 v69, v84, v69, 0x7fff
                                        ; implicit-def: $vgpr84
; %bb.46:
	s_and_not1_saveexec_b32 s3, s3
; %bb.47:
	v_and_b32_e32 v69, 0xffff, v84
	v_or_b32_e32 v71, 0x10000, v84
	s_delay_alu instid0(VALU_DEP_2) | instskip(NEXT) | instid1(VALU_DEP_2)
	v_cmp_eq_u32_e32 vcc_lo, 0, v69
	v_cndmask_b32_e32 v69, v71, v84, vcc_lo
; %bb.48:
	s_or_b32 exec_lo, exec_lo, s3
	v_and_b32_e32 v71, 0x7f800000, v72
	s_delay_alu instid0(VALU_DEP_1) | instskip(SKIP_1) | instid1(SALU_CYCLE_1)
	v_cmp_ne_u32_e32 vcc_lo, 0x7f800000, v71
                                        ; implicit-def: $vgpr71
	s_and_saveexec_b32 s3, vcc_lo
	s_xor_b32 s3, exec_lo, s3
; %bb.49:
	v_bfe_u32 v71, v72, 16, 1
	s_delay_alu instid0(VALU_DEP_1)
	v_add3_u32 v71, v72, v71, 0x7fff
                                        ; implicit-def: $vgpr72
; %bb.50:
	s_and_not1_saveexec_b32 s3, s3
; %bb.51:
	v_and_b32_e32 v71, 0xffff, v72
	v_or_b32_e32 v82, 0x10000, v72
	s_delay_alu instid0(VALU_DEP_2) | instskip(NEXT) | instid1(VALU_DEP_2)
	v_cmp_eq_u32_e32 vcc_lo, 0, v71
	v_cndmask_b32_e32 v71, v82, v72, vcc_lo
; %bb.52:
	s_or_b32 exec_lo, exec_lo, s3
	v_and_b32_e32 v72, 0x7f800000, v81
	s_delay_alu instid0(VALU_DEP_1) | instskip(SKIP_1) | instid1(SALU_CYCLE_1)
	v_cmp_ne_u32_e32 vcc_lo, 0x7f800000, v72
                                        ; implicit-def: $vgpr72
	s_and_saveexec_b32 s3, vcc_lo
	s_xor_b32 s3, exec_lo, s3
; %bb.53:
	v_bfe_u32 v72, v81, 16, 1
	s_delay_alu instid0(VALU_DEP_1)
	v_add3_u32 v72, v81, v72, 0x7fff
                                        ; implicit-def: $vgpr81
; %bb.54:
	s_and_not1_saveexec_b32 s3, s3
; %bb.55:
	v_and_b32_e32 v72, 0xffff, v81
	v_or_b32_e32 v82, 0x10000, v81
	s_delay_alu instid0(VALU_DEP_2) | instskip(NEXT) | instid1(VALU_DEP_2)
	v_cmp_eq_u32_e32 vcc_lo, 0, v72
	v_cndmask_b32_e32 v72, v82, v81, vcc_lo
; %bb.56:
	s_or_b32 exec_lo, exec_lo, s3
	v_and_b32_e32 v81, 0x7f800000, v83
	s_delay_alu instid0(VALU_DEP_1) | instskip(SKIP_1) | instid1(SALU_CYCLE_1)
	v_cmp_ne_u32_e32 vcc_lo, 0x7f800000, v81
                                        ; implicit-def: $vgpr81
	s_and_saveexec_b32 s3, vcc_lo
	s_xor_b32 s3, exec_lo, s3
; %bb.57:
	v_bfe_u32 v81, v83, 16, 1
	s_delay_alu instid0(VALU_DEP_1)
	v_add3_u32 v81, v83, v81, 0x7fff
                                        ; implicit-def: $vgpr83
; %bb.58:
	s_and_not1_saveexec_b32 s3, s3
; %bb.59:
	v_and_b32_e32 v81, 0xffff, v83
	v_or_b32_e32 v82, 0x10000, v83
	s_delay_alu instid0(VALU_DEP_2) | instskip(NEXT) | instid1(VALU_DEP_2)
	v_cmp_eq_u32_e32 vcc_lo, 0, v81
	v_cndmask_b32_e32 v81, v82, v83, vcc_lo
; %bb.60:
	s_or_b32 exec_lo, exec_lo, s3
	v_and_b32_e32 v82, 0x7f800000, v77
	s_delay_alu instid0(VALU_DEP_1) | instskip(SKIP_1) | instid1(SALU_CYCLE_1)
	v_cmp_ne_u32_e32 vcc_lo, 0x7f800000, v82
                                        ; implicit-def: $vgpr82
	s_and_saveexec_b32 s3, vcc_lo
	s_xor_b32 s3, exec_lo, s3
; %bb.61:
	v_bfe_u32 v82, v77, 16, 1
	s_delay_alu instid0(VALU_DEP_1)
	v_add3_u32 v82, v77, v82, 0x7fff
                                        ; implicit-def: $vgpr77
; %bb.62:
	s_and_not1_saveexec_b32 s3, s3
; %bb.63:
	v_and_b32_e32 v82, 0xffff, v77
	v_or_b32_e32 v83, 0x10000, v77
	s_delay_alu instid0(VALU_DEP_2) | instskip(NEXT) | instid1(VALU_DEP_2)
	v_cmp_eq_u32_e32 vcc_lo, 0, v82
	v_cndmask_b32_e32 v82, v83, v77, vcc_lo
; %bb.64:
	s_or_b32 exec_lo, exec_lo, s3
	v_and_b32_e32 v77, 0x7f800000, v78
	s_delay_alu instid0(VALU_DEP_1) | instskip(SKIP_1) | instid1(SALU_CYCLE_1)
	v_cmp_ne_u32_e32 vcc_lo, 0x7f800000, v77
                                        ; implicit-def: $vgpr77
	s_and_saveexec_b32 s3, vcc_lo
	s_xor_b32 s3, exec_lo, s3
; %bb.65:
	v_bfe_u32 v77, v78, 16, 1
	s_delay_alu instid0(VALU_DEP_1)
	v_add3_u32 v77, v78, v77, 0x7fff
                                        ; implicit-def: $vgpr78
; %bb.66:
	s_and_not1_saveexec_b32 s3, s3
; %bb.67:
	v_and_b32_e32 v77, 0xffff, v78
	v_or_b32_e32 v83, 0x10000, v78
	s_delay_alu instid0(VALU_DEP_2) | instskip(NEXT) | instid1(VALU_DEP_2)
	v_cmp_eq_u32_e32 vcc_lo, 0, v77
	v_cndmask_b32_e32 v77, v83, v78, vcc_lo
; %bb.68:
	s_or_b32 exec_lo, exec_lo, s3
	v_and_b32_e32 v78, 0x7f800000, v79
	s_delay_alu instid0(VALU_DEP_1) | instskip(SKIP_1) | instid1(SALU_CYCLE_1)
	v_cmp_ne_u32_e32 vcc_lo, 0x7f800000, v78
                                        ; implicit-def: $vgpr78
	s_and_saveexec_b32 s3, vcc_lo
	s_xor_b32 s3, exec_lo, s3
; %bb.69:
	v_bfe_u32 v78, v79, 16, 1
	s_delay_alu instid0(VALU_DEP_1)
	v_add3_u32 v78, v79, v78, 0x7fff
                                        ; implicit-def: $vgpr79
; %bb.70:
	s_and_not1_saveexec_b32 s3, s3
; %bb.71:
	v_and_b32_e32 v78, 0xffff, v79
	v_or_b32_e32 v83, 0x10000, v79
	s_delay_alu instid0(VALU_DEP_2) | instskip(NEXT) | instid1(VALU_DEP_2)
	v_cmp_eq_u32_e32 vcc_lo, 0, v78
	v_cndmask_b32_e32 v78, v83, v79, vcc_lo
; %bb.72:
	s_or_b32 exec_lo, exec_lo, s3
	v_and_b32_e32 v79, 0x7f800000, v70
	s_delay_alu instid0(VALU_DEP_1) | instskip(SKIP_1) | instid1(SALU_CYCLE_1)
	v_cmp_ne_u32_e32 vcc_lo, 0x7f800000, v79
                                        ; implicit-def: $vgpr79
	s_and_saveexec_b32 s3, vcc_lo
	s_xor_b32 s3, exec_lo, s3
; %bb.73:
	v_bfe_u32 v79, v70, 16, 1
	s_delay_alu instid0(VALU_DEP_1)
	v_add3_u32 v79, v70, v79, 0x7fff
                                        ; implicit-def: $vgpr70
; %bb.74:
	s_and_not1_saveexec_b32 s3, s3
; %bb.75:
	v_and_b32_e32 v79, 0xffff, v70
	v_or_b32_e32 v83, 0x10000, v70
	s_delay_alu instid0(VALU_DEP_2) | instskip(NEXT) | instid1(VALU_DEP_2)
	v_cmp_eq_u32_e32 vcc_lo, 0, v79
	v_cndmask_b32_e32 v79, v83, v70, vcc_lo
; %bb.76:
	s_or_b32 exec_lo, exec_lo, s3
	s_delay_alu instid0(VALU_DEP_1)
	v_perm_b32 v86, v79, v78, 0x7060302
	v_perm_b32 v85, v77, v82, 0x7060302
	;; [unrolled: 1-line block ×4, first 2 shown]
	v_lshl_or_b32 v82, v66, 11, v80
	ds_store_b128 v76, v[83:86] offset:1024
	s_waitcnt lgkmcnt(0)
	s_barrier
	buffer_gl0_inv
	ds_load_b128 v[69:72], v82
	ds_load_b128 v[83:86], v82 offset:16
	s_waitcnt lgkmcnt(1)
	v_lshrrev_b32_e32 v66, 16, v69
	s_waitcnt lgkmcnt(0)
	v_lshrrev_b32_e32 v91, 16, v83
	v_lshlrev_b32_e32 v78, 2, v74
	v_lshrrev_b32_e32 v95, 16, v70
	v_lshrrev_b32_e32 v98, 16, v84
	;; [unrolled: 1-line block ×4, first 2 shown]
	v_cmp_eq_u32_e32 vcc_lo, 1, v78
	v_lshrrev_b32_e32 v97, 16, v72
	v_lshrrev_b32_e32 v100, 16, v86
	v_cndmask_b32_e32 v87, v83, v91, vcc_lo
	v_or_b32_e32 v79, 1, v78
	v_cndmask_b32_e32 v81, v69, v66, vcc_lo
	v_cmp_eq_u32_e64 s4, 2, v78
	v_cmp_eq_u32_e64 s7, 3, v78
	;; [unrolled: 1-line block ×5, first 2 shown]
	v_cndmask_b32_e64 v81, v81, v70, s4
	v_cndmask_b32_e64 v87, v87, v84, s4
	v_cmp_eq_u32_e64 s8, 3, v79
	v_cndmask_b32_e64 v88, v69, v66, s3
	v_or_b32_e32 v77, 2, v78
	v_cndmask_b32_e64 v81, v81, v95, s7
	v_cndmask_b32_e64 v87, v87, v98, s7
	;; [unrolled: 1-line block ×4, first 2 shown]
	v_cmp_eq_u32_e64 s10, 5, v78
	v_cndmask_b32_e64 v81, v81, v71, s9
	v_cndmask_b32_e64 v87, v87, v85, s9
	v_cmp_eq_u32_e64 s11, 4, v79
	v_cndmask_b32_e64 v88, v88, v95, s8
	v_cmp_eq_u32_e64 s5, 1, v77
	v_cndmask_b32_e64 v89, v89, v84, s6
	v_cndmask_b32_e64 v81, v81, v96, s10
	v_cmp_eq_u32_e64 s12, 6, v78
	v_cndmask_b32_e64 v88, v88, v71, s11
	;; [unrolled: 3-line block ×3, first 2 shown]
	v_cndmask_b32_e64 v89, v89, v98, s8
	v_cndmask_b32_e64 v81, v81, v72, s12
	v_cmp_eq_u32_e64 s15, 7, v78
	v_cndmask_b32_e64 v88, v88, v96, s13
	v_cndmask_b32_e64 v87, v87, v86, s12
	v_cmp_eq_u32_e64 s16, 6, v79
	v_cmp_eq_u32_e64 s17, 2, v77
	v_cndmask_b32_e64 v89, v89, v85, s11
	v_cndmask_b32_e64 v101, v81, v97, s15
	;; [unrolled: 1-line block ×6, first 2 shown]
	v_cmp_eq_u32_e64 s18, 7, v79
	v_cmp_eq_u32_e64 s19, 3, v77
	;; [unrolled: 1-line block ×4, first 2 shown]
	v_cndmask_b32_e64 v87, v87, v84, s17
	v_cndmask_b32_e64 v103, v88, v97, s18
	;; [unrolled: 1-line block ×4, first 2 shown]
	v_or_b32_e32 v81, 3, v78
	v_cndmask_b32_e64 v93, v87, v98, s19
	v_cmp_eq_u32_e64 s24, 6, v77
	v_cndmask_b32_e64 v104, v88, v86, s16
	v_cndmask_b32_e64 v92, v89, v71, s20
	v_cmp_eq_u32_e64 s21, 1, v81
	ds_load_b128 v[87:90], v82 offset:1024
	v_cmp_eq_u32_e64 s23, 2, v81
	v_cmp_eq_u32_e64 s25, 3, v81
	v_cndmask_b32_e64 v105, v92, v96, s22
	v_cndmask_b32_e64 v66, v69, v66, s21
	;; [unrolled: 1-line block ×4, first 2 shown]
	ds_load_b128 v[91:94], v82 offset:1040
	v_cmp_eq_u32_e64 s26, 4, v81
	v_cndmask_b32_e64 v66, v66, v70, s23
	v_cmp_eq_u32_e64 s27, 7, v77
	v_cndmask_b32_e64 v70, v83, v84, s23
	v_cndmask_b32_e64 v84, v105, v72, s24
	v_cmp_eq_u32_e64 s28, 5, v81
	v_cndmask_b32_e64 v66, v66, v95, s25
	v_cmp_eq_u32_e64 s29, 6, v81
	v_cndmask_b32_e64 v70, v70, v98, s25
	v_cndmask_b32_e64 v69, v69, v99, s22
	;; [unrolled: 1-line block ×4, first 2 shown]
	s_waitcnt lgkmcnt(1)
	v_lshrrev_b32_e32 v95, 16, v87
	v_cndmask_b32_e64 v70, v70, v85, s26
	v_cndmask_b32_e64 v71, v84, v97, s27
	;; [unrolled: 1-line block ×4, first 2 shown]
	v_cndmask_b32_e32 v84, v87, v95, vcc_lo
	v_cndmask_b32_e64 v70, v70, v99, s28
	s_waitcnt lgkmcnt(0)
	v_lshrrev_b32_e32 v85, 16, v91
	v_lshrrev_b32_e32 v96, 16, v88
	v_cndmask_b32_e64 v98, v87, v95, s3
	v_cndmask_b32_e64 v84, v84, v88, s4
	v_cndmask_b32_e64 v70, v70, v86, s29
	v_cndmask_b32_e32 v99, v91, v85, vcc_lo
	v_cmp_eq_u32_e32 vcc_lo, 7, v81
	v_cndmask_b32_e64 v66, v66, v72, s29
	v_cndmask_b32_e64 v72, v84, v96, s7
	;; [unrolled: 1-line block ×3, first 2 shown]
	v_lshrrev_b32_e32 v98, 16, v92
	v_cndmask_b32_e32 v70, v70, v100, vcc_lo
	v_cndmask_b32_e64 v86, v99, v92, s4
	v_cndmask_b32_e64 v69, v69, v100, s27
	v_lshrrev_b32_e32 v100, 16, v93
	v_cndmask_b32_e64 v72, v72, v89, s9
	v_lshrrev_b32_e32 v99, 16, v89
	v_cndmask_b32_e64 v86, v86, v98, s7
	v_perm_b32 v71, v69, v71, 0x5040100
	v_cndmask_b32_e64 v84, v84, v96, s8
	s_delay_alu instid0(VALU_DEP_3) | instskip(NEXT) | instid1(VALU_DEP_2)
	v_cndmask_b32_e64 v86, v86, v93, s9
	v_cndmask_b32_e64 v84, v84, v89, s11
	s_delay_alu instid0(VALU_DEP_2) | instskip(NEXT) | instid1(VALU_DEP_1)
	v_cndmask_b32_e64 v86, v86, v100, s10
	v_cndmask_b32_e64 v69, v86, v94, s12
	;; [unrolled: 1-line block ×5, first 2 shown]
	s_delay_alu instid0(VALU_DEP_3) | instskip(NEXT) | instid1(VALU_DEP_3)
	v_cndmask_b32_e64 v86, v86, v88, s17
	v_cndmask_b32_e64 v87, v87, v88, s23
	s_delay_alu instid0(VALU_DEP_3) | instskip(NEXT) | instid1(VALU_DEP_3)
	v_cndmask_b32_e64 v88, v95, v92, s23
	v_cndmask_b32_e64 v86, v86, v96, s19
	;; [unrolled: 3-line block ×7, first 2 shown]
	s_delay_alu instid0(VALU_DEP_3) | instskip(SKIP_2) | instid1(VALU_DEP_2)
	v_cndmask_b32_e64 v88, v88, v94, s29
	v_cndmask_b32_e32 v66, v66, v97, vcc_lo
	v_cndmask_b32_e64 v97, v72, v99, s10
	v_perm_b32 v72, v70, v66, 0x5040100
	v_perm_b32 v70, v83, v103, 0x5040100
	v_cndmask_b32_e64 v103, v91, v85, s5
	v_cndmask_b32_e64 v85, v91, v85, s3
	;; [unrolled: 1-line block ×4, first 2 shown]
	v_lshrrev_b32_e32 v97, 16, v90
	v_cndmask_b32_e64 v91, v103, v92, s17
	v_cndmask_b32_e64 v85, v85, v92, s6
	;; [unrolled: 1-line block ×3, first 2 shown]
	s_mov_b32 s3, exec_lo
	v_cndmask_b32_e64 v83, v84, v97, s15
	v_cndmask_b32_e64 v91, v91, v98, s19
	;; [unrolled: 1-line block ×3, first 2 shown]
	v_lshrrev_b32_e32 v84, 16, v94
	v_cndmask_b32_e64 v66, v66, v97, s18
	v_cndmask_b32_e64 v90, v86, v97, s27
	;; [unrolled: 1-line block ×4, first 2 shown]
	v_dual_cndmask_b32 v86, v87, v97 :: v_dual_cndmask_b32 v87, v88, v84
	v_cndmask_b32_e64 v91, v69, v84, s15
	s_delay_alu instid0(VALU_DEP_4) | instskip(NEXT) | instid1(VALU_DEP_4)
	v_cndmask_b32_e64 v89, v89, v100, s22
	v_cndmask_b32_e64 v85, v85, v100, s13
	v_perm_b32 v69, v102, v101, 0x5040100
	v_perm_b32 v86, v87, v86, 0x5040100
	;; [unrolled: 1-line block ×3, first 2 shown]
	v_cndmask_b32_e64 v89, v89, v94, s24
	v_cndmask_b32_e64 v85, v85, v94, s16
	s_mul_i32 s8, s35, 11
	s_delay_alu instid0(VALU_DEP_2) | instskip(NEXT) | instid1(VALU_DEP_2)
	v_cndmask_b32_e64 v88, v89, v84, s27
	v_cndmask_b32_e64 v89, v85, v84, s18
	s_delay_alu instid0(VALU_DEP_2) | instskip(NEXT) | instid1(VALU_DEP_2)
	v_perm_b32 v85, v88, v90, 0x5040100
	v_perm_b32 v84, v89, v66, 0x5040100
	ds_store_b128 v76, v[69:72]
	ds_store_b128 v76, v[83:86] offset:1024
	v_cmpx_gt_u32_e32 11, v0
	s_cbranch_execz .LBB1576_78
; %bb.77:
	s_mul_i32 s4, s8, s30
	s_delay_alu instid0(SALU_CYCLE_1) | instskip(SKIP_1) | instid1(VALU_DEP_1)
	v_add3_u32 v69, s4, s31, v65
	s_load_b128 s[4:7], s[0:1], 0x58
	v_mad_u64_u32 v[65:66], null, v69, s34, s[14:15]
	s_delay_alu instid0(VALU_DEP_1) | instskip(NEXT) | instid1(VALU_DEP_1)
	v_ashrrev_i32_e32 v66, 31, v65
	v_lshlrev_b64 v[65:66], 2, v[65:66]
	s_waitcnt lgkmcnt(0)
	s_delay_alu instid0(VALU_DEP_1) | instskip(NEXT) | instid1(VALU_DEP_2)
	v_add_co_u32 v69, vcc_lo, s6, v65
	v_add_co_ci_u32_e32 v70, vcc_lo, s7, v66, vcc_lo
	v_add_co_u32 v65, vcc_lo, s4, v65
	v_add_co_ci_u32_e32 v66, vcc_lo, s5, v66, vcc_lo
	global_store_b32 v[69:70], v67, off
	global_store_b32 v[65:66], v68, off
.LBB1576_78:
	s_or_b32 exec_lo, exec_lo, s3
	s_waitcnt lgkmcnt(0)
	s_waitcnt_vscnt null, 0x0
	s_barrier
	buffer_gl0_inv
	ds_load_b128 v[83:86], v80
	ds_load_b128 v[87:90], v80 offset:16
	ds_load_b128 v[95:98], v80 offset:2064
	;; [unrolled: 1-line block ×3, first 2 shown]
	v_mov_b32_e32 v65, 0
	ds_load_b128 v[103:106], v80 offset:4112
	ds_load_b128 v[99:102], v80 offset:4096
	;; [unrolled: 1-line block ×4, first 2 shown]
	v_mov_b32_e32 v66, v65
	v_mov_b32_e32 v67, v65
	;; [unrolled: 1-line block ×7, first 2 shown]
	s_waitcnt lgkmcnt(6)
	s_delay_alu instid0(VALU_DEP_1)
	v_wmma_f32_16x16x16_bf16 v[65:72], v[49:56], v[83:90], v[65:72]
	ds_load_b128 v[53:56], v80 offset:8208
	ds_load_b128 v[49:52], v80 offset:8192
	s_waitcnt lgkmcnt(6)
	v_wmma_f32_16x16x16_bf16 v[65:72], v[41:48], v[91:98], v[65:72]
	ds_load_b128 v[45:48], v80 offset:10256
	ds_load_b128 v[41:44], v80 offset:10240
	s_waitcnt lgkmcnt(6)
	;; [unrolled: 4-line block ×4, first 2 shown]
	v_wmma_f32_16x16x16_bf16 v[65:72], v[1:8], v[49:56], v[65:72]
	s_waitcnt lgkmcnt(4)
	s_delay_alu instid0(VALU_DEP_1) | instskip(SKIP_1) | instid1(VALU_DEP_1)
	v_wmma_f32_16x16x16_bf16 v[65:72], v[9:16], v[41:48], v[65:72]
	s_waitcnt lgkmcnt(2)
	v_wmma_f32_16x16x16_bf16 v[65:72], v[17:24], v[33:40], v[65:72]
	s_waitcnt lgkmcnt(0)
	s_delay_alu instid0(VALU_DEP_1) | instskip(NEXT) | instid1(VALU_DEP_1)
	v_wmma_f32_16x16x16_bf16 v[65:72], v[57:64], v[25:32], v[65:72]
	v_and_b32_e32 v1, 0x7f800000, v65
	s_delay_alu instid0(VALU_DEP_1) | instskip(SKIP_1) | instid1(SALU_CYCLE_1)
	v_cmp_ne_u32_e32 vcc_lo, 0x7f800000, v1
                                        ; implicit-def: $vgpr1
	s_and_saveexec_b32 s3, vcc_lo
	s_xor_b32 s3, exec_lo, s3
; %bb.79:
	v_bfe_u32 v1, v65, 16, 1
	s_delay_alu instid0(VALU_DEP_1)
	v_add3_u32 v1, v65, v1, 0x7fff
; %bb.80:
	s_and_not1_saveexec_b32 s3, s3
; %bb.81:
	v_and_b32_e32 v1, 0xffff, v65
	v_or_b32_e32 v2, 0x10000, v65
	s_delay_alu instid0(VALU_DEP_2) | instskip(NEXT) | instid1(VALU_DEP_2)
	v_cmp_eq_u32_e32 vcc_lo, 0, v1
	v_cndmask_b32_e32 v1, v2, v65, vcc_lo
; %bb.82:
	s_or_b32 exec_lo, exec_lo, s3
	v_and_b32_e32 v2, 0x7f800000, v66
	s_delay_alu instid0(VALU_DEP_1) | instskip(SKIP_1) | instid1(SALU_CYCLE_1)
	v_cmp_ne_u32_e32 vcc_lo, 0x7f800000, v2
                                        ; implicit-def: $vgpr2
	s_and_saveexec_b32 s3, vcc_lo
	s_xor_b32 s3, exec_lo, s3
; %bb.83:
	v_bfe_u32 v2, v66, 16, 1
	s_delay_alu instid0(VALU_DEP_1)
	v_add3_u32 v2, v66, v2, 0x7fff
; %bb.84:
	s_and_not1_saveexec_b32 s3, s3
; %bb.85:
	v_and_b32_e32 v2, 0xffff, v66
	v_or_b32_e32 v3, 0x10000, v66
	s_delay_alu instid0(VALU_DEP_2) | instskip(NEXT) | instid1(VALU_DEP_2)
	v_cmp_eq_u32_e32 vcc_lo, 0, v2
	v_cndmask_b32_e32 v2, v3, v66, vcc_lo
; %bb.86:
	s_or_b32 exec_lo, exec_lo, s3
	v_and_b32_e32 v3, 0x7f800000, v67
	s_delay_alu instid0(VALU_DEP_1) | instskip(SKIP_1) | instid1(SALU_CYCLE_1)
	v_cmp_ne_u32_e32 vcc_lo, 0x7f800000, v3
                                        ; implicit-def: $vgpr3
	s_and_saveexec_b32 s3, vcc_lo
	s_xor_b32 s3, exec_lo, s3
; %bb.87:
	v_bfe_u32 v3, v67, 16, 1
	s_delay_alu instid0(VALU_DEP_1)
	v_add3_u32 v3, v67, v3, 0x7fff
; %bb.88:
	s_and_not1_saveexec_b32 s3, s3
; %bb.89:
	v_and_b32_e32 v3, 0xffff, v67
	v_or_b32_e32 v4, 0x10000, v67
	s_delay_alu instid0(VALU_DEP_2) | instskip(NEXT) | instid1(VALU_DEP_2)
	v_cmp_eq_u32_e32 vcc_lo, 0, v3
	v_cndmask_b32_e32 v3, v4, v67, vcc_lo
; %bb.90:
	s_or_b32 exec_lo, exec_lo, s3
	v_and_b32_e32 v4, 0x7f800000, v68
	s_delay_alu instid0(VALU_DEP_1) | instskip(SKIP_1) | instid1(SALU_CYCLE_1)
	v_cmp_ne_u32_e32 vcc_lo, 0x7f800000, v4
                                        ; implicit-def: $vgpr4
	s_and_saveexec_b32 s3, vcc_lo
	s_xor_b32 s3, exec_lo, s3
; %bb.91:
	v_bfe_u32 v4, v68, 16, 1
	s_delay_alu instid0(VALU_DEP_1)
	v_add3_u32 v4, v68, v4, 0x7fff
; %bb.92:
	s_and_not1_saveexec_b32 s3, s3
; %bb.93:
	v_and_b32_e32 v4, 0xffff, v68
	v_or_b32_e32 v5, 0x10000, v68
	s_delay_alu instid0(VALU_DEP_2) | instskip(NEXT) | instid1(VALU_DEP_2)
	v_cmp_eq_u32_e32 vcc_lo, 0, v4
	v_cndmask_b32_e32 v4, v5, v68, vcc_lo
; %bb.94:
	s_or_b32 exec_lo, exec_lo, s3
	v_and_b32_e32 v5, 0x7f800000, v69
	s_delay_alu instid0(VALU_DEP_1) | instskip(SKIP_1) | instid1(SALU_CYCLE_1)
	v_cmp_ne_u32_e32 vcc_lo, 0x7f800000, v5
                                        ; implicit-def: $vgpr5
	s_and_saveexec_b32 s3, vcc_lo
	s_xor_b32 s3, exec_lo, s3
; %bb.95:
	v_bfe_u32 v5, v69, 16, 1
	s_delay_alu instid0(VALU_DEP_1)
	v_add3_u32 v5, v69, v5, 0x7fff
; %bb.96:
	s_and_not1_saveexec_b32 s3, s3
; %bb.97:
	v_and_b32_e32 v5, 0xffff, v69
	v_or_b32_e32 v6, 0x10000, v69
	s_delay_alu instid0(VALU_DEP_2) | instskip(NEXT) | instid1(VALU_DEP_2)
	v_cmp_eq_u32_e32 vcc_lo, 0, v5
	v_cndmask_b32_e32 v5, v6, v69, vcc_lo
; %bb.98:
	s_or_b32 exec_lo, exec_lo, s3
	v_and_b32_e32 v6, 0x7f800000, v70
	s_delay_alu instid0(VALU_DEP_1) | instskip(SKIP_1) | instid1(SALU_CYCLE_1)
	v_cmp_ne_u32_e32 vcc_lo, 0x7f800000, v6
                                        ; implicit-def: $vgpr6
	s_and_saveexec_b32 s3, vcc_lo
	s_xor_b32 s3, exec_lo, s3
; %bb.99:
	v_bfe_u32 v6, v70, 16, 1
	s_delay_alu instid0(VALU_DEP_1)
	v_add3_u32 v6, v70, v6, 0x7fff
; %bb.100:
	s_and_not1_saveexec_b32 s3, s3
; %bb.101:
	v_and_b32_e32 v6, 0xffff, v70
	v_or_b32_e32 v7, 0x10000, v70
	s_delay_alu instid0(VALU_DEP_2) | instskip(NEXT) | instid1(VALU_DEP_2)
	v_cmp_eq_u32_e32 vcc_lo, 0, v6
	v_cndmask_b32_e32 v6, v7, v70, vcc_lo
; %bb.102:
	s_or_b32 exec_lo, exec_lo, s3
	v_and_b32_e32 v7, 0x7f800000, v71
	s_delay_alu instid0(VALU_DEP_1) | instskip(SKIP_1) | instid1(SALU_CYCLE_1)
	v_cmp_ne_u32_e32 vcc_lo, 0x7f800000, v7
                                        ; implicit-def: $vgpr7
	s_and_saveexec_b32 s3, vcc_lo
	s_xor_b32 s3, exec_lo, s3
; %bb.103:
	v_bfe_u32 v7, v71, 16, 1
	s_delay_alu instid0(VALU_DEP_1)
	v_add3_u32 v7, v71, v7, 0x7fff
; %bb.104:
	s_and_not1_saveexec_b32 s3, s3
; %bb.105:
	v_and_b32_e32 v7, 0xffff, v71
	v_or_b32_e32 v8, 0x10000, v71
	s_delay_alu instid0(VALU_DEP_2) | instskip(NEXT) | instid1(VALU_DEP_2)
	v_cmp_eq_u32_e32 vcc_lo, 0, v7
	v_cndmask_b32_e32 v7, v8, v71, vcc_lo
; %bb.106:
	s_or_b32 exec_lo, exec_lo, s3
	v_and_b32_e32 v8, 0x7f800000, v72
	s_delay_alu instid0(VALU_DEP_1) | instskip(SKIP_1) | instid1(SALU_CYCLE_1)
	v_cmp_ne_u32_e32 vcc_lo, 0x7f800000, v8
                                        ; implicit-def: $vgpr8
	s_and_saveexec_b32 s3, vcc_lo
	s_xor_b32 s3, exec_lo, s3
; %bb.107:
	v_bfe_u32 v8, v72, 16, 1
	s_delay_alu instid0(VALU_DEP_1)
	v_add3_u32 v8, v72, v8, 0x7fff
                                        ; implicit-def: $vgpr65_vgpr66_vgpr67_vgpr68_vgpr69_vgpr70_vgpr71_vgpr72
; %bb.108:
	s_and_not1_saveexec_b32 s3, s3
; %bb.109:
	v_and_b32_e32 v8, 0xffff, v72
	v_or_b32_e32 v9, 0x10000, v72
	s_delay_alu instid0(VALU_DEP_2) | instskip(NEXT) | instid1(VALU_DEP_2)
	v_cmp_eq_u32_e32 vcc_lo, 0, v8
	v_cndmask_b32_e32 v8, v9, v72, vcc_lo
; %bb.110:
	s_or_b32 exec_lo, exec_lo, s3
	s_delay_alu instid0(VALU_DEP_1)
	v_perm_b32 v7, v8, v7, 0x7060302
	v_perm_b32 v6, v6, v5, 0x7060302
	;; [unrolled: 1-line block ×4, first 2 shown]
	s_barrier
	buffer_gl0_inv
	v_cmp_eq_u32_e32 vcc_lo, 1, v78
	ds_store_b128 v76, v[4:7]
	s_waitcnt lgkmcnt(0)
	s_barrier
	buffer_gl0_inv
	ds_load_b128 v[1:4], v82
	ds_load_b128 v[5:8], v82 offset:16
	v_cmp_eq_u32_e64 s3, 1, v79
	v_cmp_eq_u32_e64 s4, 2, v78
	;; [unrolled: 1-line block ×5, first 2 shown]
	s_waitcnt lgkmcnt(1)
	v_lshrrev_b32_e32 v9, 16, v1
	s_waitcnt lgkmcnt(0)
	v_lshrrev_b32_e32 v13, 16, v5
	v_lshrrev_b32_e32 v10, 16, v2
	;; [unrolled: 1-line block ×4, first 2 shown]
	v_cndmask_b32_e64 v19, v1, v9, s3
	v_cndmask_b32_e32 v18, v5, v13, vcc_lo
	v_cndmask_b32_e64 v20, v5, v13, s3
	v_cndmask_b32_e32 v17, v1, v9, vcc_lo
	v_cmp_eq_u32_e32 vcc_lo, 2, v79
	v_lshrrev_b32_e32 v15, 16, v7
	v_cmp_eq_u32_e64 s3, 1, v77
	v_lshrrev_b32_e32 v12, 16, v4
	v_lshrrev_b32_e32 v16, 16, v8
	v_cndmask_b32_e32 v20, v20, v6, vcc_lo
	v_cndmask_b32_e64 v17, v17, v2, s4
	v_cndmask_b32_e32 v19, v19, v2, vcc_lo
	v_cndmask_b32_e64 v18, v18, v6, s4
	v_cmp_eq_u32_e32 vcc_lo, 4, v78
	v_cmp_eq_u32_e64 s4, 3, v79
	v_cndmask_b32_e64 v17, v17, v10, s5
	v_cndmask_b32_e64 v21, v1, v9, s3
	;; [unrolled: 1-line block ×5, first 2 shown]
	v_cndmask_b32_e32 v17, v17, v3, vcc_lo
	v_cndmask_b32_e64 v20, v20, v14, s4
	v_cndmask_b32_e32 v18, v18, v7, vcc_lo
	v_cmp_eq_u32_e32 vcc_lo, 4, v79
	v_cmp_eq_u32_e64 s4, 5, v79
	v_cmp_eq_u32_e64 s3, 2, v81
	v_cndmask_b32_e64 v21, v21, v2, s7
	v_cmp_eq_u32_e64 s5, 5, v78
	v_cndmask_b32_e32 v19, v19, v3, vcc_lo
	v_cndmask_b32_e32 v20, v20, v7, vcc_lo
	v_cmp_eq_u32_e32 vcc_lo, 6, v79
	s_delay_alu instid0(VALU_DEP_4) | instskip(NEXT) | instid1(VALU_DEP_4)
	v_cndmask_b32_e64 v17, v17, v11, s5
	v_cndmask_b32_e64 v19, v19, v11, s4
	s_delay_alu instid0(VALU_DEP_4) | instskip(SKIP_1) | instid1(VALU_DEP_3)
	v_cndmask_b32_e64 v20, v20, v15, s4
	v_cmp_eq_u32_e64 s4, 1, v81
	v_cndmask_b32_e32 v19, v19, v4, vcc_lo
	v_cndmask_b32_e64 v18, v18, v15, s5
	s_delay_alu instid0(VALU_DEP_3)
	v_cndmask_b32_e64 v1, v1, v9, s4
	v_cndmask_b32_e64 v5, v5, v13, s4
	v_cmp_eq_u32_e64 s4, 3, v77
	v_cndmask_b32_e64 v13, v22, v6, s7
	v_cmp_eq_u32_e64 s7, 3, v81
	v_cndmask_b32_e64 v1, v1, v2, s3
	v_cndmask_b32_e64 v2, v5, v6, s3
	;; [unrolled: 1-line block ×3, first 2 shown]
	v_cmp_eq_u32_e64 s3, 4, v77
	v_cndmask_b32_e64 v6, v13, v14, s4
	v_cndmask_b32_e64 v1, v1, v10, s7
	v_cmp_eq_u32_e64 s4, 4, v81
	v_cndmask_b32_e64 v2, v2, v14, s7
	v_cndmask_b32_e64 v5, v9, v3, s3
	;; [unrolled: 3-line block ×3, first 2 shown]
	v_cndmask_b32_e64 v2, v2, v7, s4
	v_cmp_eq_u32_e64 s3, 5, v81
	v_cmp_eq_u32_e64 s5, 6, v78
	v_cndmask_b32_e64 v5, v5, v11, s7
	v_cmp_eq_u32_e64 s4, 6, v77
	v_cndmask_b32_e64 v3, v6, v15, s7
	v_cndmask_b32_e64 v1, v1, v11, s3
	v_cmp_eq_u32_e64 s7, 6, v81
	v_cndmask_b32_e64 v2, v2, v15, s3
	v_cndmask_b32_e64 v17, v17, v4, s5
	v_cndmask_b32_e64 v18, v18, v8, s5
	v_cmp_eq_u32_e64 s5, 7, v78
	v_cndmask_b32_e64 v5, v5, v4, s4
	;; [unrolled: 4-line block ×3, first 2 shown]
	v_cmp_eq_u32_e64 s4, 7, v77
	v_cndmask_b32_e32 v4, v20, v8, vcc_lo
	v_cndmask_b32_e64 v17, v17, v12, s5
	v_cndmask_b32_e64 v19, v19, v12, s6
	;; [unrolled: 1-line block ×8, first 2 shown]
	s_mov_b32 s3, exec_lo
	v_perm_b32 v4, v2, v1, 0x5040100
	v_perm_b32 v3, v3, v5, 0x5040100
	;; [unrolled: 1-line block ×4, first 2 shown]
	ds_store_b128 v76, v[1:4]
	s_waitcnt lgkmcnt(0)
	s_barrier
	buffer_gl0_inv
	v_cmpx_gt_u32_e32 32, v0
	s_cbranch_execz .LBB1576_2
; %bb.111:
	s_load_b64 s[4:5], s[0:1], 0x68
	v_lshlrev_b32_e32 v0, 10, v0
	v_lshlrev_b32_e32 v1, 4, v75
	s_lshl_b32 s0, s34, 7
	v_add_nc_u32_e32 v7, s31, v74
	s_mul_i32 s1, s0, s30
	s_delay_alu instid0(SALU_CYCLE_1) | instskip(SKIP_1) | instid1(VALU_DEP_2)
	s_mul_i32 s6, s1, s8
	v_and_or_b32 v0, 0x3800, v0, v1
	v_mul_lo_u32 v1, v7, s0
	v_add_nc_u32_e32 v2, 2, v7
	s_ashr_i32 s7, s6, 31
	v_add_nc_u32_e32 v4, 4, v7
	s_lshl_b64 s[6:7], s[6:7], 1
	v_add_nc_u32_e32 v8, 6, v7
	v_mul_lo_u32 v3, v2, s0
	v_lshl_or_b32 v19, v74, 6, v0
	v_ashrrev_i32_e32 v2, 31, v1
	v_mul_lo_u32 v11, v4, s0
	v_mul_lo_u32 v25, v8, s0
	s_waitcnt lgkmcnt(0)
	s_add_u32 s1, s4, s6
	s_addc_u32 s3, s5, s7
	s_lshl_b32 s4, s14, 7
	v_lshlrev_b64 v[5:6], 1, v[1:2]
	s_ashr_i32 s5, s4, 31
	v_ashrrev_i32_e32 v4, 31, v3
	s_lshl_b64 s[4:5], s[4:5], 1
	v_ashrrev_i32_e32 v12, 31, v11
	s_add_u32 s1, s1, s4
	s_addc_u32 s3, s3, s5
	v_add_co_u32 v1, s1, s1, v73
	s_delay_alu instid0(VALU_DEP_1) | instskip(SKIP_1) | instid1(VALU_DEP_3)
	v_add_co_ci_u32_e64 v2, null, s3, 0, s1
	v_lshlrev_b64 v[3:4], 1, v[3:4]
	v_add_co_u32 v23, vcc_lo, v1, v5
	v_add_nc_u32_e32 v5, 8, v7
	s_delay_alu instid0(VALU_DEP_4) | instskip(NEXT) | instid1(VALU_DEP_4)
	v_add_co_ci_u32_e32 v24, vcc_lo, v2, v6, vcc_lo
	v_add_co_u32 v27, vcc_lo, v1, v3
	s_delay_alu instid0(VALU_DEP_3)
	v_mul_lo_u32 v29, v5, s0
	v_add_co_ci_u32_e32 v28, vcc_lo, v2, v4, vcc_lo
	ds_load_b128 v[3:6], v19
	ds_load_b128 v[7:10], v19 offset:128
	v_lshlrev_b64 v[31:32], 1, v[11:12]
	ds_load_b128 v[11:14], v19 offset:256
	ds_load_b128 v[15:18], v19 offset:384
	;; [unrolled: 1-line block ×3, first 2 shown]
	v_ashrrev_i32_e32 v26, 31, v25
	v_ashrrev_i32_e32 v30, 31, v29
	v_add_co_u32 v31, vcc_lo, v1, v31
	s_delay_alu instid0(VALU_DEP_3) | instskip(NEXT) | instid1(VALU_DEP_3)
	v_lshlrev_b64 v[25:26], 1, v[25:26]
	v_lshlrev_b64 v[29:30], 1, v[29:30]
	v_add_co_ci_u32_e32 v32, vcc_lo, v2, v32, vcc_lo
	s_delay_alu instid0(VALU_DEP_3) | instskip(NEXT) | instid1(VALU_DEP_4)
	v_add_co_u32 v25, vcc_lo, v1, v25
	v_add_co_ci_u32_e32 v26, vcc_lo, v2, v26, vcc_lo
	s_delay_alu instid0(VALU_DEP_4)
	v_add_co_u32 v29, vcc_lo, v1, v29
	v_add_co_ci_u32_e32 v30, vcc_lo, v2, v30, vcc_lo
	s_waitcnt lgkmcnt(4)
	global_store_b128 v[23:24], v[3:6], off
	s_waitcnt lgkmcnt(3)
	global_store_b128 v[27:28], v[7:10], off
	;; [unrolled: 2-line block ×5, first 2 shown]
	s_and_b32 exec_lo, exec_lo, s2
	s_cbranch_execz .LBB1576_2
; %bb.112:
	ds_load_b128 v[3:6], v0 offset:640
	s_add_i32 s1, s31, 10
	s_delay_alu instid0(SALU_CYCLE_1) | instskip(NEXT) | instid1(SALU_CYCLE_1)
	s_mul_i32 s0, s1, s0
	s_ashr_i32 s1, s0, 31
	s_delay_alu instid0(SALU_CYCLE_1) | instskip(NEXT) | instid1(SALU_CYCLE_1)
	s_lshl_b64 s[0:1], s[0:1], 1
	v_add_co_u32 v0, vcc_lo, v1, s0
	v_add_co_ci_u32_e32 v1, vcc_lo, s1, v2, vcc_lo
	s_waitcnt lgkmcnt(0)
	global_store_b128 v[0:1], v[3:6], off
	s_nop 0
	s_sendmsg sendmsg(MSG_DEALLOC_VGPRS)
	s_endpgm
	.section	.rodata,"a",@progbits
	.p2align	6, 0x0
	.amdhsa_kernel _Z39paged_attention_ll4mi_QKV_mfma16_kernelI14__hip_bfloat16hLN4vllm18Fp8KVCacheDataTypeE1ES0_Li16ELi128ELi256ELb0ELi11EL8MFMAType1EEvPKT_PKT0_S9_ifPKiSB_SB_iPKfiiiPfSE_PS4_PT2_iSD_SD_
		.amdhsa_group_segment_fixed_size 17472
		.amdhsa_private_segment_fixed_size 0
		.amdhsa_kernarg_size 400
		.amdhsa_user_sgpr_count 13
		.amdhsa_user_sgpr_dispatch_ptr 0
		.amdhsa_user_sgpr_queue_ptr 0
		.amdhsa_user_sgpr_kernarg_segment_ptr 1
		.amdhsa_user_sgpr_dispatch_id 0
		.amdhsa_user_sgpr_private_segment_size 0
		.amdhsa_wavefront_size32 1
		.amdhsa_uses_dynamic_stack 0
		.amdhsa_enable_private_segment 0
		.amdhsa_system_sgpr_workgroup_id_x 1
		.amdhsa_system_sgpr_workgroup_id_y 1
		.amdhsa_system_sgpr_workgroup_id_z 1
		.amdhsa_system_sgpr_workgroup_info 0
		.amdhsa_system_vgpr_workitem_id 0
		.amdhsa_next_free_vgpr 140
		.amdhsa_next_free_sgpr 36
		.amdhsa_reserve_vcc 1
		.amdhsa_float_round_mode_32 0
		.amdhsa_float_round_mode_16_64 0
		.amdhsa_float_denorm_mode_32 3
		.amdhsa_float_denorm_mode_16_64 3
		.amdhsa_dx10_clamp 1
		.amdhsa_ieee_mode 1
		.amdhsa_fp16_overflow 0
		.amdhsa_workgroup_processor_mode 1
		.amdhsa_memory_ordered 1
		.amdhsa_forward_progress 0
		.amdhsa_shared_vgpr_count 0
		.amdhsa_exception_fp_ieee_invalid_op 0
		.amdhsa_exception_fp_denorm_src 0
		.amdhsa_exception_fp_ieee_div_zero 0
		.amdhsa_exception_fp_ieee_overflow 0
		.amdhsa_exception_fp_ieee_underflow 0
		.amdhsa_exception_fp_ieee_inexact 0
		.amdhsa_exception_int_div_zero 0
	.end_amdhsa_kernel
	.section	.text._Z39paged_attention_ll4mi_QKV_mfma16_kernelI14__hip_bfloat16hLN4vllm18Fp8KVCacheDataTypeE1ES0_Li16ELi128ELi256ELb0ELi11EL8MFMAType1EEvPKT_PKT0_S9_ifPKiSB_SB_iPKfiiiPfSE_PS4_PT2_iSD_SD_,"axG",@progbits,_Z39paged_attention_ll4mi_QKV_mfma16_kernelI14__hip_bfloat16hLN4vllm18Fp8KVCacheDataTypeE1ES0_Li16ELi128ELi256ELb0ELi11EL8MFMAType1EEvPKT_PKT0_S9_ifPKiSB_SB_iPKfiiiPfSE_PS4_PT2_iSD_SD_,comdat
.Lfunc_end1576:
	.size	_Z39paged_attention_ll4mi_QKV_mfma16_kernelI14__hip_bfloat16hLN4vllm18Fp8KVCacheDataTypeE1ES0_Li16ELi128ELi256ELb0ELi11EL8MFMAType1EEvPKT_PKT0_S9_ifPKiSB_SB_iPKfiiiPfSE_PS4_PT2_iSD_SD_, .Lfunc_end1576-_Z39paged_attention_ll4mi_QKV_mfma16_kernelI14__hip_bfloat16hLN4vllm18Fp8KVCacheDataTypeE1ES0_Li16ELi128ELi256ELb0ELi11EL8MFMAType1EEvPKT_PKT0_S9_ifPKiSB_SB_iPKfiiiPfSE_PS4_PT2_iSD_SD_
                                        ; -- End function
	.section	.AMDGPU.csdata,"",@progbits
; Kernel info:
; codeLenInByte = 9004
; NumSgprs: 38
; NumVgprs: 140
; ScratchSize: 0
; MemoryBound: 0
; FloatMode: 240
; IeeeMode: 1
; LDSByteSize: 17472 bytes/workgroup (compile time only)
; SGPRBlocks: 4
; VGPRBlocks: 17
; NumSGPRsForWavesPerEU: 38
; NumVGPRsForWavesPerEU: 140
; Occupancy: 10
; WaveLimiterHint : 1
; COMPUTE_PGM_RSRC2:SCRATCH_EN: 0
; COMPUTE_PGM_RSRC2:USER_SGPR: 13
; COMPUTE_PGM_RSRC2:TRAP_HANDLER: 0
; COMPUTE_PGM_RSRC2:TGID_X_EN: 1
; COMPUTE_PGM_RSRC2:TGID_Y_EN: 1
; COMPUTE_PGM_RSRC2:TGID_Z_EN: 1
; COMPUTE_PGM_RSRC2:TIDIG_COMP_CNT: 0
	.section	.text._Z39paged_attention_ll4mi_QKV_mfma16_kernelI14__hip_bfloat16hLN4vllm18Fp8KVCacheDataTypeE1ES0_Li16ELi128ELi256ELb0ELi12EL8MFMAType1EEvPKT_PKT0_S9_ifPKiSB_SB_iPKfiiiPfSE_PS4_PT2_iSD_SD_,"axG",@progbits,_Z39paged_attention_ll4mi_QKV_mfma16_kernelI14__hip_bfloat16hLN4vllm18Fp8KVCacheDataTypeE1ES0_Li16ELi128ELi256ELb0ELi12EL8MFMAType1EEvPKT_PKT0_S9_ifPKiSB_SB_iPKfiiiPfSE_PS4_PT2_iSD_SD_,comdat
	.protected	_Z39paged_attention_ll4mi_QKV_mfma16_kernelI14__hip_bfloat16hLN4vllm18Fp8KVCacheDataTypeE1ES0_Li16ELi128ELi256ELb0ELi12EL8MFMAType1EEvPKT_PKT0_S9_ifPKiSB_SB_iPKfiiiPfSE_PS4_PT2_iSD_SD_ ; -- Begin function _Z39paged_attention_ll4mi_QKV_mfma16_kernelI14__hip_bfloat16hLN4vllm18Fp8KVCacheDataTypeE1ES0_Li16ELi128ELi256ELb0ELi12EL8MFMAType1EEvPKT_PKT0_S9_ifPKiSB_SB_iPKfiiiPfSE_PS4_PT2_iSD_SD_
	.globl	_Z39paged_attention_ll4mi_QKV_mfma16_kernelI14__hip_bfloat16hLN4vllm18Fp8KVCacheDataTypeE1ES0_Li16ELi128ELi256ELb0ELi12EL8MFMAType1EEvPKT_PKT0_S9_ifPKiSB_SB_iPKfiiiPfSE_PS4_PT2_iSD_SD_
	.p2align	8
	.type	_Z39paged_attention_ll4mi_QKV_mfma16_kernelI14__hip_bfloat16hLN4vllm18Fp8KVCacheDataTypeE1ES0_Li16ELi128ELi256ELb0ELi12EL8MFMAType1EEvPKT_PKT0_S9_ifPKiSB_SB_iPKfiiiPfSE_PS4_PT2_iSD_SD_,@function
_Z39paged_attention_ll4mi_QKV_mfma16_kernelI14__hip_bfloat16hLN4vllm18Fp8KVCacheDataTypeE1ES0_Li16ELi128ELi256ELb0ELi12EL8MFMAType1EEvPKT_PKT0_S9_ifPKiSB_SB_iPKfiiiPfSE_PS4_PT2_iSD_SD_: ; @_Z39paged_attention_ll4mi_QKV_mfma16_kernelI14__hip_bfloat16hLN4vllm18Fp8KVCacheDataTypeE1ES0_Li16ELi128ELi256ELb0ELi12EL8MFMAType1EEvPKT_PKT0_S9_ifPKiSB_SB_iPKfiiiPfSE_PS4_PT2_iSD_SD_
; %bb.0:
	s_load_b64 s[4:5], s[0:1], 0x30
	s_mov_b32 s30, s13
	s_waitcnt lgkmcnt(0)
	s_cmp_lg_u64 s[4:5], 0
	s_cselect_b32 s13, -1, 0
	s_ashr_i32 s31, s30, 31
	s_cmp_eq_u64 s[4:5], 0
	s_cbranch_scc1 .LBB1577_3
; %bb.1:
	s_lshl_b64 s[2:3], s[30:31], 2
	s_delay_alu instid0(SALU_CYCLE_1) | instskip(SKIP_4) | instid1(SALU_CYCLE_1)
	s_add_u32 s2, s4, s2
	s_addc_u32 s3, s5, s3
	s_load_b64 s[2:3], s[2:3], 0x0
	s_waitcnt lgkmcnt(0)
	s_sub_i32 s2, s3, s2
	s_cmp_eq_u32 s2, 1
	s_cselect_b32 s2, -1, 0
	s_delay_alu instid0(SALU_CYCLE_1)
	s_and_not1_b32 vcc_lo, exec_lo, s2
	s_cbranch_vccz .LBB1577_4
.LBB1577_2:
	s_endpgm
.LBB1577_3:
.LBB1577_4:
	s_load_b64 s[2:3], s[0:1], 0x28
	s_lshl_b64 s[6:7], s[30:31], 2
	s_waitcnt lgkmcnt(0)
	s_add_u32 s2, s2, s6
	s_addc_u32 s3, s3, s7
	s_lshl_b32 s12, s14, 8
	s_load_b32 s17, s[2:3], 0x0
	s_waitcnt lgkmcnt(0)
	s_cmp_ge_i32 s12, s17
	s_cbranch_scc1 .LBB1577_2
; %bb.5:
	s_clause 0x1
	s_load_b128 s[8:11], s[0:1], 0x8
	s_load_b64 s[2:3], s[0:1], 0x20
	s_and_not1_b32 vcc_lo, exec_lo, s13
	s_cbranch_vccnz .LBB1577_7
; %bb.6:
	s_add_u32 s4, s4, s6
	s_addc_u32 s5, s5, s7
	s_load_b32 s13, s[4:5], 0x0
	s_branch .LBB1577_8
.LBB1577_7:
	s_mov_b32 s13, s30
.LBB1577_8:
	s_load_b128 s[4:7], s[0:1], 0x48
	v_and_b32_e32 v65, 15, v0
	v_lshrrev_b32_e32 v66, 5, v0
	v_and_b32_e32 v67, 31, v0
	v_and_b32_e32 v75, 1, v0
	v_bfe_u32 v74, v0, 4, 1
	v_lshlrev_b32_e32 v1, 3, v65
	s_mul_i32 s29, s15, 12
	s_waitcnt lgkmcnt(0)
	s_mov_b32 s7, exec_lo
	s_delay_alu instid0(VALU_DEP_1)
	v_lshlrev_b32_e32 v73, 1, v1
	v_cmpx_gt_u32_e32 0xc0, v0
	s_cbranch_execz .LBB1577_10
; %bb.9:
	s_load_b64 s[18:19], s[0:1], 0x0
	v_lshl_or_b32 v5, v66, 1, v74
	s_mul_hi_i32 s21, s13, s4
	s_mul_i32 s20, s13, s4
	v_lshlrev_b32_e32 v6, 10, v65
	s_lshl_b64 s[20:21], s[20:21], 1
	v_add_lshl_u32 v1, v5, s29, 7
	v_lshlrev_b32_e32 v5, 6, v5
	v_lshlrev_b32_e32 v7, 10, v75
	v_and_b32_e32 v6, 0x3800, v6
	s_delay_alu instid0(VALU_DEP_4) | instskip(NEXT) | instid1(VALU_DEP_2)
	v_ashrrev_i32_e32 v2, 31, v1
	v_or3_b32 v5, v6, v7, v5
	s_delay_alu instid0(VALU_DEP_2) | instskip(SKIP_3) | instid1(VALU_DEP_1)
	v_lshlrev_b64 v[1:2], 1, v[1:2]
	s_waitcnt lgkmcnt(0)
	s_add_u32 s4, s18, s20
	s_addc_u32 s13, s19, s21
	v_add_co_u32 v1, vcc_lo, s4, v1
	s_delay_alu instid0(VALU_DEP_2) | instskip(NEXT) | instid1(VALU_DEP_2)
	v_add_co_ci_u32_e32 v2, vcc_lo, s13, v2, vcc_lo
	v_add_co_u32 v1, vcc_lo, v1, v73
	s_delay_alu instid0(VALU_DEP_2)
	v_add_co_ci_u32_e32 v2, vcc_lo, 0, v2, vcc_lo
	global_load_b128 v[1:4], v[1:2], off
	s_waitcnt vmcnt(0)
	ds_store_b128 v5, v[1:4]
.LBB1577_10:
	s_or_b32 exec_lo, exec_lo, s7
	v_and_b32_e32 v1, 0xef, v0
	s_add_i32 s4, s17, 15
	s_clause 0x1
	s_load_b32 s7, s[0:1], 0x38
	s_load_b32 s18, s[0:1], 0x1c
	s_ashr_i32 s13, s4, 31
	v_add_nc_u32_e32 v1, s12, v1
	s_lshr_b32 s13, s13, 28
	s_waitcnt lgkmcnt(0)
	s_add_i32 s4, s4, s13
	s_barrier
	v_ashrrev_i32_e32 v2, 31, v1
	v_or_b32_e32 v3, 16, v1
	s_ashr_i32 s4, s4, 4
	v_cmp_gt_i32_e32 vcc_lo, s17, v1
	s_add_i32 s4, s4, -1
	v_lshrrev_b32_e32 v2, 28, v2
	buffer_gl0_inv
	s_mul_i32 s15, s15, s6
	v_add_nc_u32_e32 v4, v1, v2
	s_mul_i32 s20, s30, s7
	s_delay_alu instid0(SALU_CYCLE_1) | instskip(NEXT) | instid1(VALU_DEP_1)
	s_ashr_i32 s21, s20, 31
	v_ashrrev_i32_e32 v4, 4, v4
	v_add_nc_u32_e32 v2, v3, v2
	s_lshl_b64 s[20:21], s[20:21], 2
	s_delay_alu instid0(SALU_CYCLE_1) | instskip(NEXT) | instid1(VALU_DEP_2)
	s_add_u32 s13, s2, s20
	v_cndmask_b32_e32 v1, s4, v4, vcc_lo
	s_delay_alu instid0(VALU_DEP_2)
	v_ashrrev_i32_e32 v2, 4, v2
	v_cmp_gt_i32_e32 vcc_lo, s17, v3
	s_addc_u32 s16, s3, s21
	s_ashr_i32 s19, s15, 31
	s_add_u32 s26, s8, s15
	s_addc_u32 s27, s9, s19
	v_cndmask_b32_e32 v3, s4, v2, vcc_lo
	v_ashrrev_i32_e32 v2, 31, v1
	s_lshl_b32 s2, s14, 4
	s_delay_alu instid0(SALU_CYCLE_1) | instskip(NEXT) | instid1(VALU_DEP_2)
	s_ashr_i32 s3, s2, 31
	v_ashrrev_i32_e32 v4, 31, v3
	s_delay_alu instid0(VALU_DEP_2) | instskip(SKIP_1) | instid1(SALU_CYCLE_1)
	v_lshlrev_b64 v[1:2], 2, v[1:2]
	s_lshl_b64 s[2:3], s[2:3], 2
	s_add_u32 s2, s13, s2
	s_delay_alu instid0(VALU_DEP_2) | instskip(SKIP_1) | instid1(VALU_DEP_2)
	v_lshlrev_b64 v[3:4], 2, v[3:4]
	s_addc_u32 s3, s16, s3
	v_add_co_u32 v1, vcc_lo, s13, v1
	v_add_co_ci_u32_e32 v2, vcc_lo, s16, v2, vcc_lo
	s_delay_alu instid0(VALU_DEP_3) | instskip(NEXT) | instid1(VALU_DEP_4)
	v_add_co_u32 v3, vcc_lo, s13, v3
	v_add_co_ci_u32_e32 v4, vcc_lo, s16, v4, vcc_lo
	s_clause 0x1
	global_load_b32 v5, v[1:2], off
	global_load_b32 v3, v[3:4], off
	s_or_b32 s6, s12, 32
	v_cmp_gt_u32_e32 vcc_lo, 12, v65
	s_ashr_i32 s7, s6, 4
	s_cmp_lt_i32 s6, s17
	s_cselect_b32 s6, s7, s4
	s_delay_alu instid0(SALU_CYCLE_1) | instskip(NEXT) | instid1(SALU_CYCLE_1)
	s_ashr_i32 s7, s6, 31
	s_lshl_b64 s[6:7], s[6:7], 2
	s_delay_alu instid0(SALU_CYCLE_1) | instskip(SKIP_2) | instid1(SALU_CYCLE_1)
	s_add_u32 s6, s13, s6
	s_addc_u32 s7, s16, s7
	s_or_b32 s8, s12, 64
	s_ashr_i32 s9, s8, 4
	s_cmp_lt_i32 s8, s17
	s_cselect_b32 s8, s9, s4
	s_delay_alu instid0(SALU_CYCLE_1) | instskip(NEXT) | instid1(SALU_CYCLE_1)
	s_ashr_i32 s9, s8, 31
	s_lshl_b64 s[8:9], s[8:9], 2
	s_delay_alu instid0(SALU_CYCLE_1) | instskip(SKIP_2) | instid1(SALU_CYCLE_1)
	s_add_u32 s8, s13, s8
	s_addc_u32 s9, s16, s9
	s_or_b32 s20, s12, 0x60
	;; [unrolled: 10-line block ×4, first 2 shown]
	s_ashr_i32 s25, s24, 4
	s_cmp_lt_i32 s24, s17
	s_cselect_b32 s24, s25, s4
	s_delay_alu instid0(SALU_CYCLE_1) | instskip(NEXT) | instid1(SALU_CYCLE_1)
	s_ashr_i32 s25, s24, 31
	s_lshl_b64 s[24:25], s[24:25], 2
	s_delay_alu instid0(SALU_CYCLE_1)
	s_add_u32 s24, s13, s24
	s_addc_u32 s25, s16, s25
	s_clause 0x5
	s_load_b32 s28, s[2:3], 0x0
	s_load_b32 s31, s[6:7], 0x0
	;; [unrolled: 1-line block ×6, first 2 shown]
	s_mov_b32 s20, 0
	s_or_b32 s2, s12, 0xc0
	s_mov_b32 s21, s20
	s_mov_b32 s22, s20
	;; [unrolled: 1-line block ×5, first 2 shown]
	v_lshlrev_b32_e32 v1, 4, v0
	s_ashr_i32 s3, s2, 4
	s_cmp_lt_i32 s2, s17
	s_cselect_b32 s2, s3, s4
	s_delay_alu instid0(VALU_DEP_1) | instskip(SKIP_1) | instid1(SALU_CYCLE_1)
	v_and_b32_e32 v1, 0xf0, v1
	s_ashr_i32 s3, s2, 31
	s_lshl_b64 s[2:3], s[2:3], 2
	s_delay_alu instid0(VALU_DEP_1) | instskip(NEXT) | instid1(VALU_DEP_1)
	v_add_co_u32 v1, s26, s26, v1
	v_add_co_ci_u32_e64 v2, null, s27, 0, s26
	s_add_u32 s2, s13, s2
	s_addc_u32 s3, s16, s3
	s_or_b32 s6, s12, 0xe0
	s_mov_b32 s27, s20
	s_ashr_i32 s7, s6, 4
	s_cmp_lt_i32 s6, s17
	s_mov_b32 s26, s20
	v_dual_mov_b32 v107, s27 :: v_dual_mov_b32 v100, s20
	s_cselect_b32 s6, s7, s4
	v_mov_b32_e32 v106, s26
	s_ashr_i32 s7, s6, 31
	v_mov_b32_e32 v104, s24
	s_lshl_b64 s[6:7], s[6:7], 2
	v_dual_mov_b32 v103, s23 :: v_dual_mov_b32 v102, s22
	v_mov_b32_e32 v101, s21
	s_waitcnt vmcnt(1)
	v_mad_i64_i32 v[33:34], null, v5, s5, v[1:2]
	s_waitcnt vmcnt(0)
	v_mad_i64_i32 v[35:36], null, v3, s5, v[1:2]
	s_clause 0xf
	global_load_b128 v[1:4], v[33:34], off
	global_load_b128 v[5:8], v[33:34], off offset:256
	global_load_b128 v[9:12], v[35:36], off
	global_load_b128 v[13:16], v[35:36], off offset:256
	global_load_b128 v[17:20], v[33:34], off offset:512
	;; [unrolled: 1-line block ×13, first 2 shown]
	v_add_nc_u32_e32 v33, -12, v65
	v_lshlrev_b32_e32 v34, 4, v65
	s_delay_alu instid0(VALU_DEP_2) | instskip(SKIP_1) | instid1(VALU_DEP_3)
	v_cndmask_b32_e32 v33, v33, v65, vcc_lo
	v_mov_b32_e32 v105, s25
	v_lshl_or_b32 v41, v66, 8, v34
	s_delay_alu instid0(VALU_DEP_3)
	v_lshlrev_b32_e32 v72, 6, v33
	ds_load_b128 v[33:36], v72
	ds_load_b128 v[37:40], v72 offset:1024
	ds_load_b128 v[108:111], v72 offset:2048
	;; [unrolled: 1-line block ×3, first 2 shown]
	s_load_b32 s4, s[2:3], 0x0
	s_add_u32 s2, s13, s6
	s_addc_u32 s3, s16, s7
	ds_load_b128 v[116:119], v72 offset:4096
	ds_load_b128 v[120:123], v72 offset:5120
	s_load_b32 s2, s[2:3], 0x0
	s_add_u32 s6, s10, s15
	s_addc_u32 s7, s11, s19
	v_add_co_u32 v68, s6, s6, v41
	s_delay_alu instid0(VALU_DEP_1) | instskip(SKIP_1) | instid1(VALU_DEP_1)
	v_add_co_ci_u32_e64 v69, null, s7, 0, s6
	s_waitcnt lgkmcnt(0)
	v_mad_i64_i32 v[41:42], null, s28, s5, v[68:69]
	v_mad_i64_i32 v[70:71], null, s8, s5, v[68:69]
	v_mad_i64_i32 v[45:46], null, s31, s5, v[68:69]
	v_mad_i64_i32 v[132:133], null, s9, s5, v[68:69]
	v_mad_i64_i32 v[134:135], null, s33, s5, v[68:69]
	v_mad_i64_i32 v[136:137], null, s34, s5, v[68:69]
	v_mad_i64_i32 v[138:139], null, s4, s5, v[68:69]
	s_clause 0x3
	global_load_b128 v[49:52], v[41:42], off
	global_load_b128 v[53:56], v[41:42], off offset:16
	global_load_b128 v[41:44], v[45:46], off
	global_load_b128 v[45:48], v[45:46], off offset:16
	s_waitcnt vmcnt(18)
	v_wmma_f32_16x16x16_bf16 v[124:131], v[1:8], v[33:40], v[100:107]
	s_waitcnt vmcnt(16)
	v_wmma_f32_16x16x16_bf16 v[100:107], v[9:16], v[33:40], v[100:107]
	s_clause 0x1
	global_load_b128 v[33:36], v[70:71], off
	global_load_b128 v[37:40], v[70:71], off offset:16
	v_mad_i64_i32 v[70:71], null, s2, s5, v[68:69]
	s_waitcnt vmcnt(16)
	v_wmma_f32_16x16x16_bf16 v[124:131], v[17:24], v[108:115], v[124:131]
	s_waitcnt vmcnt(14)
	v_wmma_f32_16x16x16_bf16 v[100:107], v[25:32], v[108:115], v[100:107]
	s_clause 0x7
	global_load_b128 v[25:28], v[132:133], off
	global_load_b128 v[29:32], v[132:133], off offset:16
	global_load_b128 v[1:4], v[134:135], off
	global_load_b128 v[5:8], v[134:135], off offset:16
	;; [unrolled: 2-line block ×4, first 2 shown]
	s_waitcnt vmcnt(20)
	v_wmma_f32_16x16x16_bf16 v[124:131], v[57:64], v[116:123], v[124:131]
	s_clause 0x1
	global_load_b128 v[57:60], v[70:71], off
	global_load_b128 v[61:64], v[70:71], off offset:16
	s_waitcnt vmcnt(20)
	v_wmma_f32_16x16x16_bf16 v[100:107], v[76:83], v[116:123], v[100:107]
	ds_load_b128 v[76:79], v72 offset:6144
	ds_load_b128 v[80:83], v72 offset:7168
	v_and_b32_e32 v68, 0xe0, v0
	v_mbcnt_lo_u32_b32 v69, -1, 0
	s_waitcnt vmcnt(0) lgkmcnt(0)
	s_barrier
	buffer_gl0_inv
	v_add_nc_u32_e32 v68, s12, v68
	v_xor_b32_e32 v70, 16, v69
	s_delay_alu instid0(VALU_DEP_2) | instskip(NEXT) | instid1(VALU_DEP_2)
	v_or_b32_e32 v68, v68, v74
	v_cmp_gt_i32_e32 vcc_lo, 32, v70
	s_delay_alu instid0(VALU_DEP_2)
	v_or_b32_e32 v71, 4, v68
	v_or_b32_e32 v72, 6, v68
	v_cmp_gt_i32_e64 s2, s17, v68
	v_or_b32_e32 v108, 8, v68
	v_wmma_f32_16x16x16_bf16 v[124:131], v[84:91], v[76:83], v[124:131]
	v_cndmask_b32_e32 v69, v69, v70, vcc_lo
	v_or_b32_e32 v70, 2, v68
	v_wmma_f32_16x16x16_bf16 v[100:107], v[92:99], v[76:83], v[100:107]
	v_or_b32_e32 v109, 10, v68
	v_dual_mul_f32 v82, s18, v127 :: v_dual_mul_f32 v79, s18, v130
	v_dual_mul_f32 v92, s18, v125 :: v_dual_mul_f32 v93, s18, v124
	s_delay_alu instid0(VALU_DEP_4)
	v_mul_f32_e32 v98, s18, v103
	v_cmp_gt_i32_e32 vcc_lo, s17, v70
	v_or_b32_e32 v89, 22, v68
	v_dual_mul_f32 v83, s18, v126 :: v_dual_mul_f32 v96, s18, v105
	v_cndmask_b32_e64 v93, 0xff7fffff, v93, s2
	v_cndmask_b32_e32 v92, 0xff7fffff, v92, vcc_lo
	v_cmp_gt_i32_e64 s3, s17, v71
	v_cmp_gt_i32_e64 s4, s17, v72
	v_or_b32_e32 v84, 12, v68
	v_or_b32_e32 v85, 14, v68
	v_dual_mul_f32 v80, s18, v129 :: v_dual_mul_f32 v81, s18, v128
	v_mul_f32_e32 v94, s18, v107
	v_cndmask_b32_e64 v71, 0xff7fffff, v83, s3
	v_cndmask_b32_e64 v72, 0xff7fffff, v82, s4
	v_cmp_gt_i32_e64 s5, s17, v108
	v_cmp_gt_i32_e64 s6, s17, v109
	;; [unrolled: 1-line block ×3, first 2 shown]
	v_lshlrev_b32_e32 v89, 2, v69
	v_max3_f32 v82, v93, 0xff7fffff, v92
	v_or_b32_e32 v86, 16, v68
	v_or_b32_e32 v87, 18, v68
	v_mul_f32_e32 v78, s18, v131
	v_cndmask_b32_e64 v81, 0xff7fffff, v81, s5
	v_cndmask_b32_e64 v80, 0xff7fffff, v80, s6
	v_max3_f32 v71, v82, v71, v72
	v_cmp_gt_i32_e64 s7, s17, v84
	v_cmp_gt_i32_e64 s8, s17, v85
	v_or_b32_e32 v88, 20, v68
	v_or_b32_e32 v90, 24, v68
	v_or_b32_e32 v91, 26, v68
	v_or_b32_e32 v76, 28, v68
	v_or_b32_e32 v77, 30, v68
	v_dual_mul_f32 v95, s18, v106 :: v_dual_mul_f32 v70, s18, v101
	v_dual_mul_f32 v99, s18, v102 :: v_dual_mul_f32 v68, s18, v100
	v_cndmask_b32_e64 v72, 0xff7fffff, v79, s7
	v_cndmask_b32_e64 v78, 0xff7fffff, v78, s8
	v_max3_f32 v71, v71, v81, v80
	v_cmp_gt_i32_e64 s9, s17, v86
	v_cmp_gt_i32_e64 s10, s17, v87
	;; [unrolled: 1-line block ×3, first 2 shown]
	v_mul_f32_e32 v97, s18, v104
	v_max3_f32 v71, v71, v72, v78
	v_cndmask_b32_e64 v68, 0xff7fffff, v68, s9
	v_cndmask_b32_e64 v70, 0xff7fffff, v70, s10
	;; [unrolled: 1-line block ×4, first 2 shown]
	v_cmp_gt_i32_e64 s13, s17, v90
	v_cmp_gt_i32_e64 s15, s17, v91
	v_max3_f32 v68, v71, v68, v70
	v_cmp_gt_i32_e64 s16, s17, v76
	v_cmp_gt_i32_e64 s17, s17, v77
	v_cndmask_b32_e64 v70, 0xff7fffff, v97, s13
	v_cndmask_b32_e64 v71, 0xff7fffff, v96, s15
	v_max3_f32 v68, v68, v72, v78
	v_cndmask_b32_e64 v72, 0xff7fffff, v95, s16
	v_cndmask_b32_e64 v76, 0xff7fffff, v94, s17
	s_delay_alu instid0(VALU_DEP_3) | instskip(NEXT) | instid1(VALU_DEP_1)
	v_max3_f32 v68, v68, v70, v71
	v_max3_f32 v68, v68, v72, v76
	ds_bpermute_b32 v69, v89, v68
	s_waitcnt lgkmcnt(0)
	v_max_f32_e32 v69, v69, v69
	s_delay_alu instid0(VALU_DEP_1) | instskip(NEXT) | instid1(VALU_DEP_1)
	v_max_f32_e32 v68, v68, v69
	v_fma_f32 v69, s18, v124, -v68
	v_fma_f32 v70, s18, v125, -v68
	;; [unrolled: 1-line block ×5, first 2 shown]
	s_delay_alu instid0(VALU_DEP_4) | instskip(NEXT) | instid1(VALU_DEP_4)
	v_dual_mul_f32 v69, 0x3fb8aa3b, v69 :: v_dual_mul_f32 v70, 0x3fb8aa3b, v70
	v_mul_f32_e32 v72, 0x3fb8aa3b, v72
	v_fma_f32 v78, s18, v130, -v68
	s_delay_alu instid0(VALU_DEP_4) | instskip(NEXT) | instid1(VALU_DEP_4)
	v_mul_f32_e32 v77, 0x3fb8aa3b, v76
	v_exp_f32_e32 v69, v69
	v_exp_f32_e32 v70, v70
	v_mul_f32_e32 v71, 0x3fb8aa3b, v71
	v_exp_f32_e32 v72, v72
	v_mul_f32_e32 v78, 0x3fb8aa3b, v78
	v_exp_f32_e32 v77, v77
	v_fma_f32 v81, s18, v105, -v68
	s_delay_alu instid0(VALU_DEP_2)
	v_exp_f32_e32 v78, v78
	v_cndmask_b32_e64 v80, 0, v69, s2
	v_cndmask_b32_e32 v76, 0, v70, vcc_lo
	v_exp_f32_e32 v71, v71
	v_fma_f32 v69, s18, v129, -v68
	v_cndmask_b32_e64 v85, 0, v72, s4
	v_add_f32_e32 v70, 0, v80
	s_delay_alu instid0(TRANS32_DEP_3)
	v_cndmask_b32_e64 v86, 0, v77, s5
	v_fma_f32 v77, s18, v101, -v68
	v_mul_f32_e32 v69, 0x3fb8aa3b, v69
	v_fma_f32 v72, s18, v100, -v68
	v_cndmask_b32_e64 v84, 0, v78, s7
	v_fma_f32 v78, s18, v103, -v68
	v_cndmask_b32_e64 v83, 0, v71, s3
	v_fma_f32 v71, s18, v131, -v68
	v_add_f32_e32 v70, v70, v76
	v_exp_f32_e32 v69, v69
	v_mul_f32_e32 v77, 0x3fb8aa3b, v77
	v_mul_f32_e32 v81, 0x3fb8aa3b, v81
	;; [unrolled: 1-line block ×3, first 2 shown]
	v_add_f32_e32 v70, v70, v83
	s_mov_b32 s2, exec_lo
	v_exp_f32_e32 v77, v77
	v_exp_f32_e32 v81, v81
	v_exp_f32_e32 v71, v71
	v_cndmask_b32_e64 v87, 0, v69, s6
	v_add_f32_e32 v70, v70, v85
	s_delay_alu instid0(VALU_DEP_1) | instskip(SKIP_1) | instid1(VALU_DEP_2)
	v_dual_mul_f32 v72, 0x3fb8aa3b, v72 :: v_dual_add_f32 v69, v70, v86
	v_fma_f32 v70, s18, v102, -v68
	v_exp_f32_e32 v72, v72
	s_waitcnt_depctr 0xfff
	v_cndmask_b32_e64 v88, 0, v71, s8
	v_fma_f32 v71, s18, v104, -v68
	v_dual_add_f32 v69, v69, v87 :: v_dual_mul_f32 v70, 0x3fb8aa3b, v70
	s_delay_alu instid0(VALU_DEP_2) | instskip(NEXT) | instid1(VALU_DEP_2)
	v_dual_mul_f32 v78, 0x3fb8aa3b, v78 :: v_dual_mul_f32 v71, 0x3fb8aa3b, v71
	v_add_f32_e32 v69, v69, v84
	s_delay_alu instid0(VALU_DEP_3) | instskip(SKIP_1) | instid1(VALU_DEP_3)
	v_exp_f32_e32 v79, v70
	v_cndmask_b32_e64 v70, 0, v72, s9
	v_exp_f32_e32 v78, v78
	v_exp_f32_e32 v82, v71
	v_add_f32_e32 v72, v69, v88
	v_cndmask_b32_e64 v69, 0, v77, s10
	v_fma_f32 v77, s18, v106, -v68
	s_delay_alu instid0(VALU_DEP_3) | instskip(NEXT) | instid1(TRANS32_DEP_3)
	v_add_f32_e32 v72, v72, v70
	v_cndmask_b32_e64 v71, 0, v79, s11
	s_delay_alu instid0(VALU_DEP_3) | instskip(NEXT) | instid1(VALU_DEP_3)
	v_mul_f32_e32 v77, 0x3fb8aa3b, v77
	v_add_f32_e32 v79, v72, v69
	s_delay_alu instid0(TRANS32_DEP_2) | instskip(NEXT) | instid1(VALU_DEP_3)
	v_cndmask_b32_e64 v72, 0, v78, s12
	v_exp_f32_e32 v90, v77
	v_cndmask_b32_e64 v77, 0, v82, s13
	s_delay_alu instid0(VALU_DEP_3) | instskip(SKIP_1) | instid1(VALU_DEP_1)
	v_add_f32_e32 v78, v79, v71
	v_fma_f32 v79, s18, v107, -v68
	v_dual_add_f32 v82, v78, v72 :: v_dual_mul_f32 v79, 0x3fb8aa3b, v79
	v_cndmask_b32_e64 v78, 0, v81, s15
	s_delay_alu instid0(VALU_DEP_2) | instskip(NEXT) | instid1(VALU_DEP_3)
	v_add_f32_e32 v81, v82, v77
	v_exp_f32_e32 v82, v79
	s_delay_alu instid0(TRANS32_DEP_2) | instskip(NEXT) | instid1(VALU_DEP_2)
	v_cndmask_b32_e64 v79, 0, v90, s16
	v_add_f32_e32 v81, v81, v78
	s_delay_alu instid0(VALU_DEP_1) | instskip(SKIP_2) | instid1(VALU_DEP_1)
	v_add_f32_e32 v90, v81, v79
	s_waitcnt_depctr 0xfff
	v_cndmask_b32_e64 v81, 0, v82, s17
	v_add_f32_e32 v82, v90, v81
	ds_bpermute_b32 v89, v89, v82
	v_cmpx_gt_u32_e32 16, v67
	s_cbranch_execz .LBB1577_12
; %bb.11:
	v_mul_u32_u24_e32 v67, 0x44, v66
	s_delay_alu instid0(VALU_DEP_1) | instskip(SKIP_1) | instid1(VALU_DEP_1)
	v_lshl_add_u32 v67, v65, 2, v67
	s_waitcnt lgkmcnt(0)
	v_dual_add_f32 v82, v82, v89 :: v_dual_add_nc_u32 v67, 0x4000, v67
	ds_store_2addr_b32 v67, v68, v82 offset1:136
.LBB1577_12:
	s_or_b32 exec_lo, exec_lo, s2
	v_lshlrev_b32_e32 v67, 2, v65
	s_waitcnt lgkmcnt(0)
	s_barrier
	buffer_gl0_inv
	v_cmp_eq_u32_e32 vcc_lo, 1, v66
	v_add_nc_u32_e32 v82, 0x4000, v67
	v_cmp_eq_u32_e64 s2, 2, v66
	v_cmp_eq_u32_e64 s4, 7, v66
	ds_load_2addr_b32 v[89:90], v82 offset1:17
	ds_load_2addr_b32 v[91:92], v82 offset0:34 offset1:51
	ds_load_2addr_b32 v[93:94], v82 offset0:68 offset1:85
	;; [unrolled: 1-line block ×4, first 2 shown]
	s_waitcnt lgkmcnt(4)
	v_max3_f32 v67, v89, 0xff7fffff, v90
	s_waitcnt lgkmcnt(3)
	s_delay_alu instid0(VALU_DEP_1) | instskip(SKIP_1) | instid1(VALU_DEP_1)
	v_max3_f32 v67, v67, v91, v92
	s_waitcnt lgkmcnt(2)
	v_max3_f32 v67, v67, v93, v94
	s_waitcnt lgkmcnt(1)
	s_delay_alu instid0(VALU_DEP_1) | instskip(NEXT) | instid1(VALU_DEP_1)
	v_max3_f32 v67, v67, v95, v96
	v_sub_f32_e32 v93, v93, v67
	s_delay_alu instid0(VALU_DEP_1) | instskip(NEXT) | instid1(VALU_DEP_1)
	v_dual_sub_f32 v68, v89, v67 :: v_dual_mul_f32 v103, 0x3fb8aa3b, v93
	v_mul_f32_e32 v68, 0x3fb8aa3b, v68
	s_delay_alu instid0(VALU_DEP_1)
	v_exp_f32_e32 v100, v68
	v_sub_f32_e32 v68, v92, v67
	v_sub_f32_e32 v99, v90, v67
	ds_load_2addr_b32 v[89:90], v82 offset0:170 offset1:187
	v_dual_mul_f32 v102, 0x3fb8aa3b, v68 :: v_dual_mul_f32 v99, 0x3fb8aa3b, v99
	s_waitcnt lgkmcnt(1)
	v_fma_f32 v68, v100, v97, 0
	s_delay_alu instid0(VALU_DEP_2) | instskip(NEXT) | instid1(VALU_DEP_2)
	v_exp_f32_e32 v102, v102
	v_exp_f32_e32 v99, v99
	s_waitcnt_depctr 0xfff
	v_fmac_f32_e32 v68, v99, v98
	v_sub_f32_e32 v91, v91, v67
	s_delay_alu instid0(VALU_DEP_1)
	v_mul_f32_e32 v101, 0x3fb8aa3b, v91
	ds_load_2addr_b32 v[91:92], v82 offset0:204 offset1:221
	v_sub_f32_e32 v97, v94, v67
	ds_load_2addr_b32 v[93:94], v82 offset0:238 offset1:255
	s_waitcnt lgkmcnt(0)
	v_exp_f32_e32 v101, v101
	s_barrier
	buffer_gl0_inv
	v_dual_fmac_f32 v68, v101, v89 :: v_dual_sub_f32 v89, v96, v67
	v_dual_sub_f32 v82, v95, v67 :: v_dual_mul_f32 v95, 0x3fb8aa3b, v97
	v_exp_f32_e32 v97, v103
	s_delay_alu instid0(VALU_DEP_2) | instskip(NEXT) | instid1(VALU_DEP_2)
	v_dual_fmac_f32 v68, v102, v90 :: v_dual_mul_f32 v89, 0x3fb8aa3b, v89
	v_mul_f32_e32 v82, 0x3fb8aa3b, v82
	s_delay_alu instid0(VALU_DEP_3) | instskip(NEXT) | instid1(VALU_DEP_2)
	v_exp_f32_e32 v95, v95
	v_exp_f32_e32 v89, v89
	s_delay_alu instid0(VALU_DEP_1)
	v_exp_f32_e32 v82, v82
	v_fmac_f32_e32 v68, v97, v91
	s_delay_alu instid0(TRANS32_DEP_3) | instid1(VALU_DEP_1)
	v_fmac_f32_e32 v68, v95, v92
	s_waitcnt_depctr 0xfff
	v_fmac_f32_e32 v68, v82, v93
	s_delay_alu instid0(VALU_DEP_1) | instskip(NEXT) | instid1(VALU_DEP_1)
	v_fmac_f32_e32 v68, v89, v94
	v_add_f32_e32 v90, 0x358637bd, v68
	s_delay_alu instid0(VALU_DEP_1) | instskip(NEXT) | instid1(VALU_DEP_1)
	v_div_scale_f32 v91, null, v90, v90, 1.0
	v_rcp_f32_e32 v92, v91
	s_waitcnt_depctr 0xfff
	v_fma_f32 v93, -v91, v92, 1.0
	s_delay_alu instid0(VALU_DEP_1) | instskip(SKIP_1) | instid1(VALU_DEP_2)
	v_dual_fmac_f32 v92, v93, v92 :: v_dual_cndmask_b32 v93, v100, v99
	v_cmp_eq_u32_e32 vcc_lo, 3, v66
	v_cndmask_b32_e64 v93, v93, v101, s2
	v_cmp_eq_u32_e64 s2, 4, v66
	s_delay_alu instid0(VALU_DEP_2) | instskip(SKIP_1) | instid1(VALU_DEP_2)
	v_cndmask_b32_e32 v93, v93, v102, vcc_lo
	v_cmp_eq_u32_e32 vcc_lo, 5, v66
	v_cndmask_b32_e64 v93, v93, v97, s2
	v_cmp_eq_u32_e64 s2, 6, v66
	s_delay_alu instid0(VALU_DEP_2) | instskip(SKIP_1) | instid1(VALU_DEP_1)
	v_cndmask_b32_e32 v93, v93, v95, vcc_lo
	v_div_scale_f32 v94, s3, 1.0, v90, 1.0
	s_mov_b32 vcc_lo, s3
	s_delay_alu instid0(VALU_DEP_2) | instskip(NEXT) | instid1(VALU_DEP_2)
	v_cndmask_b32_e64 v82, v93, v82, s2
	v_mul_f32_e32 v96, v94, v92
	s_mov_b32 s2, exec_lo
	s_delay_alu instid0(VALU_DEP_2) | instskip(NEXT) | instid1(VALU_DEP_2)
	v_cndmask_b32_e64 v82, v82, v89, s4
	v_fma_f32 v98, -v91, v96, v94
	s_delay_alu instid0(VALU_DEP_1) | instskip(NEXT) | instid1(VALU_DEP_1)
	v_fmac_f32_e32 v96, v98, v92
	v_fma_f32 v91, -v91, v96, v94
	s_delay_alu instid0(VALU_DEP_1) | instskip(NEXT) | instid1(VALU_DEP_1)
	v_div_fmas_f32 v91, v91, v92, v96
	v_div_fixup_f32 v90, v91, v90, 1.0
	s_delay_alu instid0(VALU_DEP_1) | instskip(NEXT) | instid1(VALU_DEP_1)
	v_mul_f32_e32 v82, v82, v90
	v_mul_f32_e32 v87, v82, v87
	;; [unrolled: 1-line block ×7, first 2 shown]
	v_dual_mul_f32 v86, v82, v83 :: v_dual_and_b32 v91, 0x7f800000, v90
	v_mul_f32_e32 v85, v82, v76
                                        ; implicit-def: $vgpr76
	s_delay_alu instid0(VALU_DEP_2)
	v_cmpx_ne_u32_e32 0x7f800000, v91
	s_xor_b32 s2, exec_lo, s2
; %bb.13:
	v_bfe_u32 v76, v90, 16, 1
	s_delay_alu instid0(VALU_DEP_1)
	v_add3_u32 v76, v90, v76, 0x7fff
                                        ; implicit-def: $vgpr90
; %bb.14:
	s_and_not1_saveexec_b32 s2, s2
; %bb.15:
	v_and_b32_e32 v76, 0xffff, v90
	v_or_b32_e32 v83, 0x10000, v90
	s_delay_alu instid0(VALU_DEP_2) | instskip(NEXT) | instid1(VALU_DEP_2)
	v_cmp_eq_u32_e32 vcc_lo, 0, v76
	v_cndmask_b32_e32 v76, v83, v90, vcc_lo
; %bb.16:
	s_or_b32 exec_lo, exec_lo, s2
	v_and_b32_e32 v83, 0x7f800000, v85
	s_delay_alu instid0(VALU_DEP_1) | instskip(SKIP_1) | instid1(SALU_CYCLE_1)
	v_cmp_ne_u32_e32 vcc_lo, 0x7f800000, v83
                                        ; implicit-def: $vgpr83
	s_and_saveexec_b32 s2, vcc_lo
	s_xor_b32 s2, exec_lo, s2
; %bb.17:
	v_bfe_u32 v83, v85, 16, 1
	s_delay_alu instid0(VALU_DEP_1)
	v_add3_u32 v83, v85, v83, 0x7fff
                                        ; implicit-def: $vgpr85
; %bb.18:
	s_and_not1_saveexec_b32 s2, s2
; %bb.19:
	v_and_b32_e32 v83, 0xffff, v85
	v_or_b32_e32 v90, 0x10000, v85
	s_delay_alu instid0(VALU_DEP_2) | instskip(NEXT) | instid1(VALU_DEP_2)
	v_cmp_eq_u32_e32 vcc_lo, 0, v83
	v_cndmask_b32_e32 v83, v90, v85, vcc_lo
; %bb.20:
	s_or_b32 exec_lo, exec_lo, s2
	v_and_b32_e32 v85, 0x7f800000, v86
	s_delay_alu instid0(VALU_DEP_1) | instskip(SKIP_1) | instid1(SALU_CYCLE_1)
	v_cmp_ne_u32_e32 vcc_lo, 0x7f800000, v85
                                        ; implicit-def: $vgpr85
	s_and_saveexec_b32 s2, vcc_lo
	s_xor_b32 s2, exec_lo, s2
; %bb.21:
	v_bfe_u32 v85, v86, 16, 1
	s_delay_alu instid0(VALU_DEP_1)
	v_add3_u32 v85, v86, v85, 0x7fff
                                        ; implicit-def: $vgpr86
; %bb.22:
	s_and_not1_saveexec_b32 s2, s2
; %bb.23:
	v_and_b32_e32 v85, 0xffff, v86
	v_or_b32_e32 v90, 0x10000, v86
	s_delay_alu instid0(VALU_DEP_2) | instskip(NEXT) | instid1(VALU_DEP_2)
	v_cmp_eq_u32_e32 vcc_lo, 0, v85
	v_cndmask_b32_e32 v85, v90, v86, vcc_lo
; %bb.24:
	s_or_b32 exec_lo, exec_lo, s2
	v_and_b32_e32 v86, 0x7f800000, v89
	s_delay_alu instid0(VALU_DEP_1) | instskip(SKIP_1) | instid1(SALU_CYCLE_1)
	v_cmp_ne_u32_e32 vcc_lo, 0x7f800000, v86
                                        ; implicit-def: $vgpr86
	s_and_saveexec_b32 s2, vcc_lo
	s_xor_b32 s2, exec_lo, s2
; %bb.25:
	v_bfe_u32 v86, v89, 16, 1
	s_delay_alu instid0(VALU_DEP_1)
	v_add3_u32 v86, v89, v86, 0x7fff
                                        ; implicit-def: $vgpr89
; %bb.26:
	s_and_not1_saveexec_b32 s2, s2
; %bb.27:
	v_and_b32_e32 v86, 0xffff, v89
	v_or_b32_e32 v90, 0x10000, v89
	s_delay_alu instid0(VALU_DEP_2) | instskip(NEXT) | instid1(VALU_DEP_2)
	v_cmp_eq_u32_e32 vcc_lo, 0, v86
	v_cndmask_b32_e32 v86, v90, v89, vcc_lo
; %bb.28:
	s_or_b32 exec_lo, exec_lo, s2
	v_and_b32_e32 v89, 0x7f800000, v88
	s_delay_alu instid0(VALU_DEP_1) | instskip(SKIP_1) | instid1(SALU_CYCLE_1)
	v_cmp_ne_u32_e32 vcc_lo, 0x7f800000, v89
                                        ; implicit-def: $vgpr89
	s_and_saveexec_b32 s2, vcc_lo
	s_xor_b32 s2, exec_lo, s2
; %bb.29:
	v_bfe_u32 v89, v88, 16, 1
	s_delay_alu instid0(VALU_DEP_1)
	v_add3_u32 v89, v88, v89, 0x7fff
                                        ; implicit-def: $vgpr88
; %bb.30:
	s_and_not1_saveexec_b32 s2, s2
; %bb.31:
	v_and_b32_e32 v89, 0xffff, v88
	v_or_b32_e32 v90, 0x10000, v88
	s_delay_alu instid0(VALU_DEP_2) | instskip(NEXT) | instid1(VALU_DEP_2)
	v_cmp_eq_u32_e32 vcc_lo, 0, v89
	v_cndmask_b32_e32 v89, v90, v88, vcc_lo
; %bb.32:
	s_or_b32 exec_lo, exec_lo, s2
	v_and_b32_e32 v88, 0x7f800000, v87
	s_delay_alu instid0(VALU_DEP_1) | instskip(SKIP_1) | instid1(SALU_CYCLE_1)
	v_cmp_ne_u32_e32 vcc_lo, 0x7f800000, v88
                                        ; implicit-def: $vgpr88
	s_and_saveexec_b32 s2, vcc_lo
	s_xor_b32 s2, exec_lo, s2
; %bb.33:
	v_bfe_u32 v88, v87, 16, 1
	s_delay_alu instid0(VALU_DEP_1)
	v_add3_u32 v88, v87, v88, 0x7fff
                                        ; implicit-def: $vgpr87
; %bb.34:
	s_and_not1_saveexec_b32 s2, s2
; %bb.35:
	v_and_b32_e32 v88, 0xffff, v87
	v_or_b32_e32 v90, 0x10000, v87
	s_delay_alu instid0(VALU_DEP_2) | instskip(NEXT) | instid1(VALU_DEP_2)
	v_cmp_eq_u32_e32 vcc_lo, 0, v88
	v_cndmask_b32_e32 v88, v90, v87, vcc_lo
; %bb.36:
	s_or_b32 exec_lo, exec_lo, s2
	v_and_b32_e32 v87, 0x7f800000, v84
	s_delay_alu instid0(VALU_DEP_1) | instskip(SKIP_1) | instid1(SALU_CYCLE_1)
	v_cmp_ne_u32_e32 vcc_lo, 0x7f800000, v87
                                        ; implicit-def: $vgpr87
	s_and_saveexec_b32 s2, vcc_lo
	s_xor_b32 s2, exec_lo, s2
; %bb.37:
	v_bfe_u32 v87, v84, 16, 1
	s_delay_alu instid0(VALU_DEP_1)
	v_add3_u32 v87, v84, v87, 0x7fff
                                        ; implicit-def: $vgpr84
; %bb.38:
	s_and_not1_saveexec_b32 s2, s2
; %bb.39:
	v_and_b32_e32 v87, 0xffff, v84
	v_or_b32_e32 v90, 0x10000, v84
	s_delay_alu instid0(VALU_DEP_2) | instskip(NEXT) | instid1(VALU_DEP_2)
	v_cmp_eq_u32_e32 vcc_lo, 0, v87
	v_cndmask_b32_e32 v87, v90, v84, vcc_lo
; %bb.40:
	s_or_b32 exec_lo, exec_lo, s2
	v_and_b32_e32 v84, 0x7f800000, v80
	s_delay_alu instid0(VALU_DEP_1) | instskip(SKIP_1) | instid1(SALU_CYCLE_1)
	v_cmp_ne_u32_e32 vcc_lo, 0x7f800000, v84
                                        ; implicit-def: $vgpr84
	s_and_saveexec_b32 s2, vcc_lo
	s_xor_b32 s2, exec_lo, s2
; %bb.41:
	v_bfe_u32 v84, v80, 16, 1
	s_delay_alu instid0(VALU_DEP_1)
	v_add3_u32 v84, v80, v84, 0x7fff
                                        ; implicit-def: $vgpr80
; %bb.42:
	s_and_not1_saveexec_b32 s2, s2
; %bb.43:
	v_and_b32_e32 v84, 0xffff, v80
	v_or_b32_e32 v90, 0x10000, v80
	s_delay_alu instid0(VALU_DEP_2) | instskip(NEXT) | instid1(VALU_DEP_2)
	v_cmp_eq_u32_e32 vcc_lo, 0, v84
	v_cndmask_b32_e32 v84, v90, v80, vcc_lo
; %bb.44:
	s_or_b32 exec_lo, exec_lo, s2
	s_load_b64 s[34:35], s[0:1], 0x94
	v_lshlrev_b32_e32 v91, 4, v74
	s_delay_alu instid0(VALU_DEP_2)
	v_perm_b32 v90, v84, v87, 0x7060302
	v_dual_mul_f32 v79, v82, v79 :: v_dual_lshlrev_b32 v80, 6, v65
	v_dual_mul_f32 v77, v82, v77 :: v_dual_lshlrev_b32 v92, 11, v66
	v_mul_f32_e32 v84, v82, v70
	v_perm_b32 v89, v88, v89, 0x7060302
	v_perm_b32 v88, v86, v85, 0x7060302
	v_perm_b32 v87, v83, v76, 0x7060302
	v_mul_f32_e32 v70, v82, v81
	v_or3_b32 v76, v91, v92, v80
	v_dual_mul_f32 v78, v82, v78 :: v_dual_and_b32 v85, 0x7f800000, v84
	v_mul_f32_e32 v83, v82, v72
	v_mul_f32_e32 v81, v82, v71
	;; [unrolled: 1-line block ×3, first 2 shown]
	s_mov_b32 s2, exec_lo
	ds_store_b128 v76, v[87:90]
                                        ; implicit-def: $vgpr69
	v_cmpx_ne_u32_e32 0x7f800000, v85
	s_xor_b32 s2, exec_lo, s2
; %bb.45:
	v_bfe_u32 v69, v84, 16, 1
	s_delay_alu instid0(VALU_DEP_1)
	v_add3_u32 v69, v84, v69, 0x7fff
                                        ; implicit-def: $vgpr84
; %bb.46:
	s_and_not1_saveexec_b32 s2, s2
; %bb.47:
	v_and_b32_e32 v69, 0xffff, v84
	v_or_b32_e32 v71, 0x10000, v84
	s_delay_alu instid0(VALU_DEP_2) | instskip(NEXT) | instid1(VALU_DEP_2)
	v_cmp_eq_u32_e32 vcc_lo, 0, v69
	v_cndmask_b32_e32 v69, v71, v84, vcc_lo
; %bb.48:
	s_or_b32 exec_lo, exec_lo, s2
	v_and_b32_e32 v71, 0x7f800000, v72
	s_delay_alu instid0(VALU_DEP_1) | instskip(SKIP_1) | instid1(SALU_CYCLE_1)
	v_cmp_ne_u32_e32 vcc_lo, 0x7f800000, v71
                                        ; implicit-def: $vgpr71
	s_and_saveexec_b32 s2, vcc_lo
	s_xor_b32 s2, exec_lo, s2
; %bb.49:
	v_bfe_u32 v71, v72, 16, 1
	s_delay_alu instid0(VALU_DEP_1)
	v_add3_u32 v71, v72, v71, 0x7fff
                                        ; implicit-def: $vgpr72
; %bb.50:
	s_and_not1_saveexec_b32 s2, s2
; %bb.51:
	v_and_b32_e32 v71, 0xffff, v72
	v_or_b32_e32 v82, 0x10000, v72
	s_delay_alu instid0(VALU_DEP_2) | instskip(NEXT) | instid1(VALU_DEP_2)
	v_cmp_eq_u32_e32 vcc_lo, 0, v71
	v_cndmask_b32_e32 v71, v82, v72, vcc_lo
; %bb.52:
	s_or_b32 exec_lo, exec_lo, s2
	v_and_b32_e32 v72, 0x7f800000, v81
	s_delay_alu instid0(VALU_DEP_1) | instskip(SKIP_1) | instid1(SALU_CYCLE_1)
	v_cmp_ne_u32_e32 vcc_lo, 0x7f800000, v72
                                        ; implicit-def: $vgpr72
	s_and_saveexec_b32 s2, vcc_lo
	s_xor_b32 s2, exec_lo, s2
; %bb.53:
	v_bfe_u32 v72, v81, 16, 1
	s_delay_alu instid0(VALU_DEP_1)
	v_add3_u32 v72, v81, v72, 0x7fff
                                        ; implicit-def: $vgpr81
; %bb.54:
	s_and_not1_saveexec_b32 s2, s2
; %bb.55:
	v_and_b32_e32 v72, 0xffff, v81
	v_or_b32_e32 v82, 0x10000, v81
	s_delay_alu instid0(VALU_DEP_2) | instskip(NEXT) | instid1(VALU_DEP_2)
	v_cmp_eq_u32_e32 vcc_lo, 0, v72
	v_cndmask_b32_e32 v72, v82, v81, vcc_lo
; %bb.56:
	s_or_b32 exec_lo, exec_lo, s2
	v_and_b32_e32 v81, 0x7f800000, v83
	s_delay_alu instid0(VALU_DEP_1) | instskip(SKIP_1) | instid1(SALU_CYCLE_1)
	v_cmp_ne_u32_e32 vcc_lo, 0x7f800000, v81
                                        ; implicit-def: $vgpr81
	s_and_saveexec_b32 s2, vcc_lo
	s_xor_b32 s2, exec_lo, s2
; %bb.57:
	v_bfe_u32 v81, v83, 16, 1
	s_delay_alu instid0(VALU_DEP_1)
	v_add3_u32 v81, v83, v81, 0x7fff
                                        ; implicit-def: $vgpr83
; %bb.58:
	s_and_not1_saveexec_b32 s2, s2
; %bb.59:
	v_and_b32_e32 v81, 0xffff, v83
	v_or_b32_e32 v82, 0x10000, v83
	s_delay_alu instid0(VALU_DEP_2) | instskip(NEXT) | instid1(VALU_DEP_2)
	v_cmp_eq_u32_e32 vcc_lo, 0, v81
	v_cndmask_b32_e32 v81, v82, v83, vcc_lo
; %bb.60:
	s_or_b32 exec_lo, exec_lo, s2
	v_and_b32_e32 v82, 0x7f800000, v77
	s_delay_alu instid0(VALU_DEP_1) | instskip(SKIP_1) | instid1(SALU_CYCLE_1)
	v_cmp_ne_u32_e32 vcc_lo, 0x7f800000, v82
                                        ; implicit-def: $vgpr82
	s_and_saveexec_b32 s2, vcc_lo
	s_xor_b32 s2, exec_lo, s2
; %bb.61:
	v_bfe_u32 v82, v77, 16, 1
	s_delay_alu instid0(VALU_DEP_1)
	v_add3_u32 v82, v77, v82, 0x7fff
                                        ; implicit-def: $vgpr77
; %bb.62:
	s_and_not1_saveexec_b32 s2, s2
; %bb.63:
	v_and_b32_e32 v82, 0xffff, v77
	v_or_b32_e32 v83, 0x10000, v77
	s_delay_alu instid0(VALU_DEP_2) | instskip(NEXT) | instid1(VALU_DEP_2)
	v_cmp_eq_u32_e32 vcc_lo, 0, v82
	v_cndmask_b32_e32 v82, v83, v77, vcc_lo
; %bb.64:
	s_or_b32 exec_lo, exec_lo, s2
	v_and_b32_e32 v77, 0x7f800000, v78
	s_delay_alu instid0(VALU_DEP_1) | instskip(SKIP_1) | instid1(SALU_CYCLE_1)
	v_cmp_ne_u32_e32 vcc_lo, 0x7f800000, v77
                                        ; implicit-def: $vgpr77
	s_and_saveexec_b32 s2, vcc_lo
	s_xor_b32 s2, exec_lo, s2
; %bb.65:
	v_bfe_u32 v77, v78, 16, 1
	s_delay_alu instid0(VALU_DEP_1)
	v_add3_u32 v77, v78, v77, 0x7fff
                                        ; implicit-def: $vgpr78
; %bb.66:
	s_and_not1_saveexec_b32 s2, s2
; %bb.67:
	v_and_b32_e32 v77, 0xffff, v78
	v_or_b32_e32 v83, 0x10000, v78
	s_delay_alu instid0(VALU_DEP_2) | instskip(NEXT) | instid1(VALU_DEP_2)
	v_cmp_eq_u32_e32 vcc_lo, 0, v77
	v_cndmask_b32_e32 v77, v83, v78, vcc_lo
; %bb.68:
	s_or_b32 exec_lo, exec_lo, s2
	v_and_b32_e32 v78, 0x7f800000, v79
	s_delay_alu instid0(VALU_DEP_1) | instskip(SKIP_1) | instid1(SALU_CYCLE_1)
	v_cmp_ne_u32_e32 vcc_lo, 0x7f800000, v78
                                        ; implicit-def: $vgpr78
	s_and_saveexec_b32 s2, vcc_lo
	s_xor_b32 s2, exec_lo, s2
; %bb.69:
	v_bfe_u32 v78, v79, 16, 1
	s_delay_alu instid0(VALU_DEP_1)
	v_add3_u32 v78, v79, v78, 0x7fff
                                        ; implicit-def: $vgpr79
; %bb.70:
	s_and_not1_saveexec_b32 s2, s2
; %bb.71:
	v_and_b32_e32 v78, 0xffff, v79
	v_or_b32_e32 v83, 0x10000, v79
	s_delay_alu instid0(VALU_DEP_2) | instskip(NEXT) | instid1(VALU_DEP_2)
	v_cmp_eq_u32_e32 vcc_lo, 0, v78
	v_cndmask_b32_e32 v78, v83, v79, vcc_lo
; %bb.72:
	s_or_b32 exec_lo, exec_lo, s2
	v_and_b32_e32 v79, 0x7f800000, v70
	s_delay_alu instid0(VALU_DEP_1) | instskip(SKIP_1) | instid1(SALU_CYCLE_1)
	v_cmp_ne_u32_e32 vcc_lo, 0x7f800000, v79
                                        ; implicit-def: $vgpr79
	s_and_saveexec_b32 s2, vcc_lo
	s_xor_b32 s2, exec_lo, s2
; %bb.73:
	v_bfe_u32 v79, v70, 16, 1
	s_delay_alu instid0(VALU_DEP_1)
	v_add3_u32 v79, v70, v79, 0x7fff
                                        ; implicit-def: $vgpr70
; %bb.74:
	s_and_not1_saveexec_b32 s2, s2
; %bb.75:
	v_and_b32_e32 v79, 0xffff, v70
	v_or_b32_e32 v83, 0x10000, v70
	s_delay_alu instid0(VALU_DEP_2) | instskip(NEXT) | instid1(VALU_DEP_2)
	v_cmp_eq_u32_e32 vcc_lo, 0, v79
	v_cndmask_b32_e32 v79, v83, v70, vcc_lo
; %bb.76:
	s_or_b32 exec_lo, exec_lo, s2
	s_delay_alu instid0(VALU_DEP_1)
	v_perm_b32 v86, v79, v78, 0x7060302
	v_perm_b32 v85, v77, v82, 0x7060302
	;; [unrolled: 1-line block ×4, first 2 shown]
	v_lshl_or_b32 v82, v66, 11, v80
	ds_store_b128 v76, v[83:86] offset:1024
	s_waitcnt lgkmcnt(0)
	s_barrier
	buffer_gl0_inv
	ds_load_b128 v[69:72], v82
	ds_load_b128 v[83:86], v82 offset:16
	s_waitcnt lgkmcnt(1)
	v_lshrrev_b32_e32 v66, 16, v69
	s_waitcnt lgkmcnt(0)
	v_lshrrev_b32_e32 v91, 16, v83
	v_lshlrev_b32_e32 v78, 2, v74
	v_lshrrev_b32_e32 v95, 16, v70
	v_lshrrev_b32_e32 v98, 16, v84
	;; [unrolled: 1-line block ×4, first 2 shown]
	v_cmp_eq_u32_e32 vcc_lo, 1, v78
	v_lshrrev_b32_e32 v97, 16, v72
	v_lshrrev_b32_e32 v100, 16, v86
	v_cndmask_b32_e32 v87, v83, v91, vcc_lo
	v_or_b32_e32 v79, 1, v78
	v_cndmask_b32_e32 v81, v69, v66, vcc_lo
	v_cmp_eq_u32_e64 s3, 2, v78
	v_cmp_eq_u32_e64 s6, 3, v78
	;; [unrolled: 1-line block ×5, first 2 shown]
	v_cndmask_b32_e64 v81, v81, v70, s3
	v_cndmask_b32_e64 v87, v87, v84, s3
	v_cmp_eq_u32_e64 s7, 3, v79
	v_cndmask_b32_e64 v88, v69, v66, s2
	v_or_b32_e32 v77, 2, v78
	v_cndmask_b32_e64 v81, v81, v95, s6
	v_cndmask_b32_e64 v87, v87, v98, s6
	;; [unrolled: 1-line block ×4, first 2 shown]
	v_cmp_eq_u32_e64 s9, 5, v78
	v_cndmask_b32_e64 v81, v81, v71, s8
	v_cndmask_b32_e64 v87, v87, v85, s8
	v_cmp_eq_u32_e64 s10, 4, v79
	v_cndmask_b32_e64 v88, v88, v95, s7
	v_cmp_eq_u32_e64 s4, 1, v77
	v_cndmask_b32_e64 v89, v89, v84, s5
	v_cndmask_b32_e64 v81, v81, v96, s9
	v_cmp_eq_u32_e64 s11, 6, v78
	v_cndmask_b32_e64 v88, v88, v71, s10
	;; [unrolled: 3-line block ×3, first 2 shown]
	v_cndmask_b32_e64 v89, v89, v98, s7
	v_cndmask_b32_e64 v81, v81, v72, s11
	v_cmp_eq_u32_e64 s13, 7, v78
	v_cndmask_b32_e64 v88, v88, v96, s12
	v_cndmask_b32_e64 v87, v87, v86, s11
	v_cmp_eq_u32_e64 s15, 6, v79
	v_cmp_eq_u32_e64 s16, 2, v77
	v_cndmask_b32_e64 v89, v89, v85, s10
	v_cndmask_b32_e64 v101, v81, v97, s13
	v_cndmask_b32_e64 v102, v87, v100, s13
	v_cndmask_b32_e64 v88, v88, v72, s15
	v_cndmask_b32_e64 v81, v90, v70, s16
	v_cndmask_b32_e64 v87, v83, v91, s4
	v_cmp_eq_u32_e64 s17, 7, v79
	v_cmp_eq_u32_e64 s18, 3, v77
	;; [unrolled: 1-line block ×4, first 2 shown]
	v_cndmask_b32_e64 v87, v87, v84, s16
	v_cndmask_b32_e64 v103, v88, v97, s17
	;; [unrolled: 1-line block ×4, first 2 shown]
	v_or_b32_e32 v81, 3, v78
	v_cndmask_b32_e64 v93, v87, v98, s18
	v_cmp_eq_u32_e64 s23, 6, v77
	v_cndmask_b32_e64 v104, v88, v86, s15
	v_cndmask_b32_e64 v92, v89, v71, s19
	v_cmp_eq_u32_e64 s20, 1, v81
	ds_load_b128 v[87:90], v82 offset:1024
	v_cmp_eq_u32_e64 s22, 2, v81
	v_cmp_eq_u32_e64 s24, 3, v81
	v_cndmask_b32_e64 v105, v92, v96, s21
	v_cndmask_b32_e64 v66, v69, v66, s20
	;; [unrolled: 1-line block ×4, first 2 shown]
	ds_load_b128 v[91:94], v82 offset:1040
	v_cmp_eq_u32_e64 s25, 4, v81
	v_cndmask_b32_e64 v66, v66, v70, s22
	v_cmp_eq_u32_e64 s26, 7, v77
	v_cndmask_b32_e64 v70, v83, v84, s22
	v_cndmask_b32_e64 v84, v105, v72, s23
	v_cmp_eq_u32_e64 s27, 5, v81
	v_cndmask_b32_e64 v66, v66, v95, s24
	v_cmp_eq_u32_e64 s28, 6, v81
	v_cndmask_b32_e64 v70, v70, v98, s24
	v_cndmask_b32_e64 v69, v69, v99, s21
	v_cndmask_b32_e64 v83, v104, v100, s17
	v_cndmask_b32_e64 v66, v66, v71, s25
	s_waitcnt lgkmcnt(1)
	v_lshrrev_b32_e32 v95, 16, v87
	v_cndmask_b32_e64 v70, v70, v85, s25
	v_cndmask_b32_e64 v71, v84, v97, s26
	;; [unrolled: 1-line block ×4, first 2 shown]
	v_cndmask_b32_e32 v84, v87, v95, vcc_lo
	v_cndmask_b32_e64 v70, v70, v99, s27
	s_waitcnt lgkmcnt(0)
	v_lshrrev_b32_e32 v85, 16, v91
	v_lshrrev_b32_e32 v96, 16, v88
	v_cndmask_b32_e64 v98, v87, v95, s2
	v_cndmask_b32_e64 v84, v84, v88, s3
	;; [unrolled: 1-line block ×3, first 2 shown]
	v_cndmask_b32_e32 v99, v91, v85, vcc_lo
	v_cmp_eq_u32_e32 vcc_lo, 7, v81
	v_cndmask_b32_e64 v66, v66, v72, s28
	v_cndmask_b32_e64 v72, v84, v96, s6
	;; [unrolled: 1-line block ×3, first 2 shown]
	v_lshrrev_b32_e32 v98, 16, v92
	v_cndmask_b32_e32 v70, v70, v100, vcc_lo
	v_cndmask_b32_e64 v86, v99, v92, s3
	v_cndmask_b32_e64 v69, v69, v100, s26
	v_lshrrev_b32_e32 v100, 16, v93
	v_cndmask_b32_e64 v72, v72, v89, s8
	v_lshrrev_b32_e32 v99, 16, v89
	v_cndmask_b32_e64 v86, v86, v98, s6
	v_perm_b32 v71, v69, v71, 0x5040100
	v_cndmask_b32_e64 v84, v84, v96, s7
	s_delay_alu instid0(VALU_DEP_3) | instskip(NEXT) | instid1(VALU_DEP_2)
	v_cndmask_b32_e64 v86, v86, v93, s8
	v_cndmask_b32_e64 v84, v84, v89, s10
	s_delay_alu instid0(VALU_DEP_2) | instskip(NEXT) | instid1(VALU_DEP_1)
	v_cndmask_b32_e64 v86, v86, v100, s9
	v_cndmask_b32_e64 v69, v86, v94, s11
	;; [unrolled: 1-line block ×5, first 2 shown]
	s_delay_alu instid0(VALU_DEP_3) | instskip(NEXT) | instid1(VALU_DEP_3)
	v_cndmask_b32_e64 v86, v86, v88, s16
	v_cndmask_b32_e64 v87, v87, v88, s22
	s_delay_alu instid0(VALU_DEP_3) | instskip(NEXT) | instid1(VALU_DEP_3)
	v_cndmask_b32_e64 v88, v95, v92, s22
	v_cndmask_b32_e64 v86, v86, v96, s18
	;; [unrolled: 3-line block ×7, first 2 shown]
	s_delay_alu instid0(VALU_DEP_3) | instskip(SKIP_2) | instid1(VALU_DEP_2)
	v_cndmask_b32_e64 v88, v88, v94, s28
	v_cndmask_b32_e32 v66, v66, v97, vcc_lo
	v_cndmask_b32_e64 v97, v72, v99, s9
	v_perm_b32 v72, v70, v66, 0x5040100
	v_perm_b32 v70, v83, v103, 0x5040100
	v_cndmask_b32_e64 v103, v91, v85, s4
	v_cndmask_b32_e64 v85, v91, v85, s2
	v_cndmask_b32_e64 v66, v84, v99, s12
	v_cndmask_b32_e64 v84, v97, v90, s11
	v_lshrrev_b32_e32 v97, 16, v90
	v_cndmask_b32_e64 v91, v103, v92, s16
	v_cndmask_b32_e64 v85, v85, v92, s5
	;; [unrolled: 1-line block ×3, first 2 shown]
	s_mov_b32 s2, exec_lo
	v_cndmask_b32_e64 v83, v84, v97, s13
	v_cndmask_b32_e64 v91, v91, v98, s18
	;; [unrolled: 1-line block ×3, first 2 shown]
	v_lshrrev_b32_e32 v84, 16, v94
	v_cndmask_b32_e64 v66, v66, v97, s17
	v_cndmask_b32_e64 v90, v86, v97, s26
	;; [unrolled: 1-line block ×4, first 2 shown]
	v_dual_cndmask_b32 v86, v87, v97 :: v_dual_cndmask_b32 v87, v88, v84
	v_cndmask_b32_e64 v91, v69, v84, s13
	s_delay_alu instid0(VALU_DEP_4) | instskip(NEXT) | instid1(VALU_DEP_4)
	v_cndmask_b32_e64 v89, v89, v100, s21
	v_cndmask_b32_e64 v85, v85, v100, s12
	v_perm_b32 v69, v102, v101, 0x5040100
	v_perm_b32 v86, v87, v86, 0x5040100
	;; [unrolled: 1-line block ×3, first 2 shown]
	v_cndmask_b32_e64 v89, v89, v94, s23
	v_cndmask_b32_e64 v85, v85, v94, s15
	s_mul_i32 s7, s35, 12
	s_delay_alu instid0(VALU_DEP_2) | instskip(NEXT) | instid1(VALU_DEP_2)
	v_cndmask_b32_e64 v88, v89, v84, s26
	v_cndmask_b32_e64 v89, v85, v84, s17
	s_delay_alu instid0(VALU_DEP_2) | instskip(NEXT) | instid1(VALU_DEP_2)
	v_perm_b32 v85, v88, v90, 0x5040100
	v_perm_b32 v84, v89, v66, 0x5040100
	ds_store_b128 v76, v[69:72]
	ds_store_b128 v76, v[83:86] offset:1024
	v_cmpx_gt_u32_e32 12, v0
	s_cbranch_execz .LBB1577_78
; %bb.77:
	s_mul_i32 s3, s7, s30
	s_load_b128 s[8:11], s[0:1], 0x58
	v_add3_u32 v69, s3, s29, v65
	s_delay_alu instid0(VALU_DEP_1) | instskip(NEXT) | instid1(VALU_DEP_1)
	v_mad_u64_u32 v[65:66], null, v69, s34, s[14:15]
	v_ashrrev_i32_e32 v66, 31, v65
	s_delay_alu instid0(VALU_DEP_1) | instskip(SKIP_1) | instid1(VALU_DEP_1)
	v_lshlrev_b64 v[65:66], 2, v[65:66]
	s_waitcnt lgkmcnt(0)
	v_add_co_u32 v69, vcc_lo, s10, v65
	s_delay_alu instid0(VALU_DEP_2)
	v_add_co_ci_u32_e32 v70, vcc_lo, s11, v66, vcc_lo
	v_add_co_u32 v65, vcc_lo, s8, v65
	v_add_co_ci_u32_e32 v66, vcc_lo, s9, v66, vcc_lo
	global_store_b32 v[69:70], v67, off
	global_store_b32 v[65:66], v68, off
.LBB1577_78:
	s_or_b32 exec_lo, exec_lo, s2
	s_waitcnt lgkmcnt(0)
	s_waitcnt_vscnt null, 0x0
	s_barrier
	buffer_gl0_inv
	ds_load_b128 v[83:86], v80
	ds_load_b128 v[87:90], v80 offset:16
	ds_load_b128 v[95:98], v80 offset:2064
	;; [unrolled: 1-line block ×3, first 2 shown]
	v_mov_b32_e32 v65, 0
	ds_load_b128 v[103:106], v80 offset:4112
	ds_load_b128 v[99:102], v80 offset:4096
	;; [unrolled: 1-line block ×4, first 2 shown]
	v_mov_b32_e32 v66, v65
	v_mov_b32_e32 v67, v65
	;; [unrolled: 1-line block ×7, first 2 shown]
	s_waitcnt lgkmcnt(6)
	s_delay_alu instid0(VALU_DEP_1)
	v_wmma_f32_16x16x16_bf16 v[65:72], v[49:56], v[83:90], v[65:72]
	ds_load_b128 v[53:56], v80 offset:8208
	ds_load_b128 v[49:52], v80 offset:8192
	s_waitcnt lgkmcnt(6)
	v_wmma_f32_16x16x16_bf16 v[65:72], v[41:48], v[91:98], v[65:72]
	ds_load_b128 v[45:48], v80 offset:10256
	ds_load_b128 v[41:44], v80 offset:10240
	s_waitcnt lgkmcnt(6)
	;; [unrolled: 4-line block ×4, first 2 shown]
	v_wmma_f32_16x16x16_bf16 v[65:72], v[1:8], v[49:56], v[65:72]
	s_waitcnt lgkmcnt(4)
	s_delay_alu instid0(VALU_DEP_1) | instskip(SKIP_1) | instid1(VALU_DEP_1)
	v_wmma_f32_16x16x16_bf16 v[65:72], v[9:16], v[41:48], v[65:72]
	s_waitcnt lgkmcnt(2)
	v_wmma_f32_16x16x16_bf16 v[65:72], v[17:24], v[33:40], v[65:72]
	s_waitcnt lgkmcnt(0)
	s_delay_alu instid0(VALU_DEP_1) | instskip(NEXT) | instid1(VALU_DEP_1)
	v_wmma_f32_16x16x16_bf16 v[65:72], v[57:64], v[25:32], v[65:72]
	v_and_b32_e32 v1, 0x7f800000, v65
	s_delay_alu instid0(VALU_DEP_1) | instskip(SKIP_1) | instid1(SALU_CYCLE_1)
	v_cmp_ne_u32_e32 vcc_lo, 0x7f800000, v1
                                        ; implicit-def: $vgpr1
	s_and_saveexec_b32 s2, vcc_lo
	s_xor_b32 s2, exec_lo, s2
; %bb.79:
	v_bfe_u32 v1, v65, 16, 1
	s_delay_alu instid0(VALU_DEP_1)
	v_add3_u32 v1, v65, v1, 0x7fff
; %bb.80:
	s_and_not1_saveexec_b32 s2, s2
; %bb.81:
	v_and_b32_e32 v1, 0xffff, v65
	v_or_b32_e32 v2, 0x10000, v65
	s_delay_alu instid0(VALU_DEP_2) | instskip(NEXT) | instid1(VALU_DEP_2)
	v_cmp_eq_u32_e32 vcc_lo, 0, v1
	v_cndmask_b32_e32 v1, v2, v65, vcc_lo
; %bb.82:
	s_or_b32 exec_lo, exec_lo, s2
	v_and_b32_e32 v2, 0x7f800000, v66
	s_delay_alu instid0(VALU_DEP_1) | instskip(SKIP_1) | instid1(SALU_CYCLE_1)
	v_cmp_ne_u32_e32 vcc_lo, 0x7f800000, v2
                                        ; implicit-def: $vgpr2
	s_and_saveexec_b32 s2, vcc_lo
	s_xor_b32 s2, exec_lo, s2
; %bb.83:
	v_bfe_u32 v2, v66, 16, 1
	s_delay_alu instid0(VALU_DEP_1)
	v_add3_u32 v2, v66, v2, 0x7fff
; %bb.84:
	s_and_not1_saveexec_b32 s2, s2
; %bb.85:
	v_and_b32_e32 v2, 0xffff, v66
	v_or_b32_e32 v3, 0x10000, v66
	s_delay_alu instid0(VALU_DEP_2) | instskip(NEXT) | instid1(VALU_DEP_2)
	v_cmp_eq_u32_e32 vcc_lo, 0, v2
	v_cndmask_b32_e32 v2, v3, v66, vcc_lo
; %bb.86:
	s_or_b32 exec_lo, exec_lo, s2
	v_and_b32_e32 v3, 0x7f800000, v67
	s_delay_alu instid0(VALU_DEP_1) | instskip(SKIP_1) | instid1(SALU_CYCLE_1)
	v_cmp_ne_u32_e32 vcc_lo, 0x7f800000, v3
                                        ; implicit-def: $vgpr3
	s_and_saveexec_b32 s2, vcc_lo
	s_xor_b32 s2, exec_lo, s2
; %bb.87:
	v_bfe_u32 v3, v67, 16, 1
	s_delay_alu instid0(VALU_DEP_1)
	v_add3_u32 v3, v67, v3, 0x7fff
; %bb.88:
	s_and_not1_saveexec_b32 s2, s2
; %bb.89:
	v_and_b32_e32 v3, 0xffff, v67
	v_or_b32_e32 v4, 0x10000, v67
	s_delay_alu instid0(VALU_DEP_2) | instskip(NEXT) | instid1(VALU_DEP_2)
	v_cmp_eq_u32_e32 vcc_lo, 0, v3
	v_cndmask_b32_e32 v3, v4, v67, vcc_lo
; %bb.90:
	s_or_b32 exec_lo, exec_lo, s2
	v_and_b32_e32 v4, 0x7f800000, v68
	s_delay_alu instid0(VALU_DEP_1) | instskip(SKIP_1) | instid1(SALU_CYCLE_1)
	v_cmp_ne_u32_e32 vcc_lo, 0x7f800000, v4
                                        ; implicit-def: $vgpr4
	s_and_saveexec_b32 s2, vcc_lo
	s_xor_b32 s2, exec_lo, s2
; %bb.91:
	v_bfe_u32 v4, v68, 16, 1
	s_delay_alu instid0(VALU_DEP_1)
	v_add3_u32 v4, v68, v4, 0x7fff
; %bb.92:
	s_and_not1_saveexec_b32 s2, s2
; %bb.93:
	v_and_b32_e32 v4, 0xffff, v68
	v_or_b32_e32 v5, 0x10000, v68
	s_delay_alu instid0(VALU_DEP_2) | instskip(NEXT) | instid1(VALU_DEP_2)
	v_cmp_eq_u32_e32 vcc_lo, 0, v4
	v_cndmask_b32_e32 v4, v5, v68, vcc_lo
; %bb.94:
	s_or_b32 exec_lo, exec_lo, s2
	v_and_b32_e32 v5, 0x7f800000, v69
	s_delay_alu instid0(VALU_DEP_1) | instskip(SKIP_1) | instid1(SALU_CYCLE_1)
	v_cmp_ne_u32_e32 vcc_lo, 0x7f800000, v5
                                        ; implicit-def: $vgpr5
	s_and_saveexec_b32 s2, vcc_lo
	s_xor_b32 s2, exec_lo, s2
; %bb.95:
	v_bfe_u32 v5, v69, 16, 1
	s_delay_alu instid0(VALU_DEP_1)
	v_add3_u32 v5, v69, v5, 0x7fff
; %bb.96:
	s_and_not1_saveexec_b32 s2, s2
; %bb.97:
	v_and_b32_e32 v5, 0xffff, v69
	v_or_b32_e32 v6, 0x10000, v69
	s_delay_alu instid0(VALU_DEP_2) | instskip(NEXT) | instid1(VALU_DEP_2)
	v_cmp_eq_u32_e32 vcc_lo, 0, v5
	v_cndmask_b32_e32 v5, v6, v69, vcc_lo
; %bb.98:
	s_or_b32 exec_lo, exec_lo, s2
	v_and_b32_e32 v6, 0x7f800000, v70
	s_delay_alu instid0(VALU_DEP_1) | instskip(SKIP_1) | instid1(SALU_CYCLE_1)
	v_cmp_ne_u32_e32 vcc_lo, 0x7f800000, v6
                                        ; implicit-def: $vgpr6
	s_and_saveexec_b32 s2, vcc_lo
	s_xor_b32 s2, exec_lo, s2
; %bb.99:
	v_bfe_u32 v6, v70, 16, 1
	s_delay_alu instid0(VALU_DEP_1)
	v_add3_u32 v6, v70, v6, 0x7fff
; %bb.100:
	s_and_not1_saveexec_b32 s2, s2
; %bb.101:
	v_and_b32_e32 v6, 0xffff, v70
	v_or_b32_e32 v7, 0x10000, v70
	s_delay_alu instid0(VALU_DEP_2) | instskip(NEXT) | instid1(VALU_DEP_2)
	v_cmp_eq_u32_e32 vcc_lo, 0, v6
	v_cndmask_b32_e32 v6, v7, v70, vcc_lo
; %bb.102:
	s_or_b32 exec_lo, exec_lo, s2
	v_and_b32_e32 v7, 0x7f800000, v71
	s_delay_alu instid0(VALU_DEP_1) | instskip(SKIP_1) | instid1(SALU_CYCLE_1)
	v_cmp_ne_u32_e32 vcc_lo, 0x7f800000, v7
                                        ; implicit-def: $vgpr7
	s_and_saveexec_b32 s2, vcc_lo
	s_xor_b32 s2, exec_lo, s2
; %bb.103:
	v_bfe_u32 v7, v71, 16, 1
	s_delay_alu instid0(VALU_DEP_1)
	v_add3_u32 v7, v71, v7, 0x7fff
; %bb.104:
	s_and_not1_saveexec_b32 s2, s2
; %bb.105:
	v_and_b32_e32 v7, 0xffff, v71
	v_or_b32_e32 v8, 0x10000, v71
	s_delay_alu instid0(VALU_DEP_2) | instskip(NEXT) | instid1(VALU_DEP_2)
	v_cmp_eq_u32_e32 vcc_lo, 0, v7
	v_cndmask_b32_e32 v7, v8, v71, vcc_lo
; %bb.106:
	s_or_b32 exec_lo, exec_lo, s2
	v_and_b32_e32 v8, 0x7f800000, v72
	s_delay_alu instid0(VALU_DEP_1) | instskip(SKIP_1) | instid1(SALU_CYCLE_1)
	v_cmp_ne_u32_e32 vcc_lo, 0x7f800000, v8
                                        ; implicit-def: $vgpr8
	s_and_saveexec_b32 s2, vcc_lo
	s_xor_b32 s2, exec_lo, s2
; %bb.107:
	v_bfe_u32 v8, v72, 16, 1
	s_delay_alu instid0(VALU_DEP_1)
	v_add3_u32 v8, v72, v8, 0x7fff
                                        ; implicit-def: $vgpr65_vgpr66_vgpr67_vgpr68_vgpr69_vgpr70_vgpr71_vgpr72
; %bb.108:
	s_and_not1_saveexec_b32 s2, s2
; %bb.109:
	v_and_b32_e32 v8, 0xffff, v72
	v_or_b32_e32 v9, 0x10000, v72
	s_delay_alu instid0(VALU_DEP_2) | instskip(NEXT) | instid1(VALU_DEP_2)
	v_cmp_eq_u32_e32 vcc_lo, 0, v8
	v_cndmask_b32_e32 v8, v9, v72, vcc_lo
; %bb.110:
	s_or_b32 exec_lo, exec_lo, s2
	s_delay_alu instid0(VALU_DEP_1)
	v_perm_b32 v7, v8, v7, 0x7060302
	v_perm_b32 v6, v6, v5, 0x7060302
	;; [unrolled: 1-line block ×4, first 2 shown]
	s_barrier
	buffer_gl0_inv
	v_cmp_eq_u32_e32 vcc_lo, 1, v78
	ds_store_b128 v76, v[4:7]
	s_waitcnt lgkmcnt(0)
	s_barrier
	buffer_gl0_inv
	ds_load_b128 v[1:4], v82
	ds_load_b128 v[5:8], v82 offset:16
	v_cmp_eq_u32_e64 s2, 1, v79
	v_cmp_eq_u32_e64 s3, 2, v78
	;; [unrolled: 1-line block ×5, first 2 shown]
	s_waitcnt lgkmcnt(1)
	v_lshrrev_b32_e32 v9, 16, v1
	s_waitcnt lgkmcnt(0)
	v_lshrrev_b32_e32 v13, 16, v5
	v_lshrrev_b32_e32 v10, 16, v2
	;; [unrolled: 1-line block ×4, first 2 shown]
	v_cndmask_b32_e64 v19, v1, v9, s2
	v_cndmask_b32_e32 v18, v5, v13, vcc_lo
	v_cndmask_b32_e64 v20, v5, v13, s2
	v_cndmask_b32_e32 v17, v1, v9, vcc_lo
	v_cmp_eq_u32_e32 vcc_lo, 2, v79
	v_lshrrev_b32_e32 v15, 16, v7
	v_cmp_eq_u32_e64 s2, 1, v77
	v_lshrrev_b32_e32 v12, 16, v4
	v_lshrrev_b32_e32 v16, 16, v8
	v_cndmask_b32_e32 v20, v20, v6, vcc_lo
	v_cndmask_b32_e64 v17, v17, v2, s3
	v_cndmask_b32_e32 v19, v19, v2, vcc_lo
	v_cndmask_b32_e64 v18, v18, v6, s3
	v_cmp_eq_u32_e32 vcc_lo, 4, v78
	v_cmp_eq_u32_e64 s3, 3, v79
	v_cndmask_b32_e64 v17, v17, v10, s4
	v_cndmask_b32_e64 v21, v1, v9, s2
	;; [unrolled: 1-line block ×5, first 2 shown]
	v_cndmask_b32_e32 v17, v17, v3, vcc_lo
	v_cndmask_b32_e64 v20, v20, v14, s3
	v_cndmask_b32_e32 v18, v18, v7, vcc_lo
	v_cmp_eq_u32_e32 vcc_lo, 4, v79
	v_cmp_eq_u32_e64 s3, 5, v79
	v_cmp_eq_u32_e64 s2, 2, v81
	v_cndmask_b32_e64 v21, v21, v2, s6
	v_cmp_eq_u32_e64 s4, 5, v78
	v_cndmask_b32_e32 v19, v19, v3, vcc_lo
	v_cndmask_b32_e32 v20, v20, v7, vcc_lo
	v_cmp_eq_u32_e32 vcc_lo, 6, v79
	s_delay_alu instid0(VALU_DEP_4) | instskip(NEXT) | instid1(VALU_DEP_4)
	v_cndmask_b32_e64 v17, v17, v11, s4
	v_cndmask_b32_e64 v19, v19, v11, s3
	s_delay_alu instid0(VALU_DEP_4) | instskip(SKIP_1) | instid1(VALU_DEP_3)
	v_cndmask_b32_e64 v20, v20, v15, s3
	v_cmp_eq_u32_e64 s3, 1, v81
	v_cndmask_b32_e32 v19, v19, v4, vcc_lo
	v_cndmask_b32_e64 v18, v18, v15, s4
	s_delay_alu instid0(VALU_DEP_3)
	v_cndmask_b32_e64 v1, v1, v9, s3
	v_cndmask_b32_e64 v5, v5, v13, s3
	v_cmp_eq_u32_e64 s3, 3, v77
	v_cndmask_b32_e64 v13, v22, v6, s6
	v_cmp_eq_u32_e64 s6, 3, v81
	v_cndmask_b32_e64 v1, v1, v2, s2
	v_cndmask_b32_e64 v2, v5, v6, s2
	;; [unrolled: 1-line block ×3, first 2 shown]
	v_cmp_eq_u32_e64 s2, 4, v77
	v_cndmask_b32_e64 v6, v13, v14, s3
	v_cndmask_b32_e64 v1, v1, v10, s6
	v_cmp_eq_u32_e64 s3, 4, v81
	v_cndmask_b32_e64 v2, v2, v14, s6
	v_cndmask_b32_e64 v5, v9, v3, s2
	;; [unrolled: 3-line block ×3, first 2 shown]
	v_cndmask_b32_e64 v2, v2, v7, s3
	v_cmp_eq_u32_e64 s2, 5, v81
	v_cmp_eq_u32_e64 s4, 6, v78
	v_cndmask_b32_e64 v5, v5, v11, s6
	v_cmp_eq_u32_e64 s3, 6, v77
	v_cndmask_b32_e64 v3, v6, v15, s6
	v_cndmask_b32_e64 v1, v1, v11, s2
	v_cmp_eq_u32_e64 s6, 6, v81
	v_cndmask_b32_e64 v2, v2, v15, s2
	v_cndmask_b32_e64 v17, v17, v4, s4
	v_cndmask_b32_e64 v18, v18, v8, s4
	v_cmp_eq_u32_e64 s4, 7, v78
	v_cndmask_b32_e64 v5, v5, v4, s3
	;; [unrolled: 4-line block ×3, first 2 shown]
	v_cmp_eq_u32_e64 s3, 7, v77
	v_cndmask_b32_e32 v4, v20, v8, vcc_lo
	v_cndmask_b32_e64 v17, v17, v12, s4
	v_cndmask_b32_e64 v19, v19, v12, s5
	;; [unrolled: 1-line block ×8, first 2 shown]
	s_mov_b32 s2, exec_lo
	v_perm_b32 v4, v2, v1, 0x5040100
	v_perm_b32 v3, v3, v5, 0x5040100
	v_perm_b32 v2, v6, v19, 0x5040100
	v_perm_b32 v1, v7, v17, 0x5040100
	ds_store_b128 v76, v[1:4]
	s_waitcnt lgkmcnt(0)
	s_barrier
	buffer_gl0_inv
	v_cmpx_gt_u32_e32 32, v0
	s_cbranch_execz .LBB1577_2
; %bb.111:
	s_load_b64 s[0:1], s[0:1], 0x68
	v_lshlrev_b32_e32 v0, 10, v0
	s_lshl_b32 s4, s34, 7
	v_or_b32_e32 v3, s29, v74
	s_mul_i32 s2, s4, s30
	v_lshlrev_b32_e32 v1, 4, v75
	s_mul_i32 s2, s2, s7
	v_lshlrev_b32_e32 v2, 6, v74
	v_and_b32_e32 v0, 0x3800, v0
	s_ashr_i32 s3, s2, 31
	v_mul_lo_u32 v4, v3, s4
	s_lshl_b64 s[2:3], s[2:3], 1
	s_delay_alu instid0(VALU_DEP_2) | instskip(NEXT) | instid1(VALU_DEP_2)
	v_or3_b32 v16, v0, v1, v2
	v_ashrrev_i32_e32 v5, 31, v4
	ds_load_b128 v[0:3], v16
	s_waitcnt lgkmcnt(0)
	s_add_u32 s2, s0, s2
	s_addc_u32 s3, s1, s3
	s_lshl_b32 s0, s14, 7
	v_lshlrev_b64 v[5:6], 1, v[4:5]
	s_ashr_i32 s1, s0, 31
	s_delay_alu instid0(SALU_CYCLE_1) | instskip(NEXT) | instid1(SALU_CYCLE_1)
	s_lshl_b64 s[0:1], s[0:1], 1
	s_add_u32 s0, s2, s0
	s_addc_u32 s1, s3, s1
	s_lshl_b32 s2, s34, 8
	v_add_co_u32 v30, s0, s0, v73
	v_add_nc_u32_e32 v8, s2, v4
	v_add_co_ci_u32_e64 v31, null, s1, 0, s0
	s_delay_alu instid0(VALU_DEP_3) | instskip(NEXT) | instid1(VALU_DEP_3)
	v_add_co_u32 v12, vcc_lo, v30, v5
	v_add_nc_u32_e32 v10, s2, v8
	v_ashrrev_i32_e32 v9, 31, v8
	s_delay_alu instid0(VALU_DEP_4)
	v_add_co_ci_u32_e32 v13, vcc_lo, v31, v6, vcc_lo
	ds_load_b128 v[4:7], v16 offset:128
	v_ashrrev_i32_e32 v11, 31, v10
	v_lshlrev_b64 v[8:9], 1, v[8:9]
	v_add_nc_u32_e32 v14, s2, v10
	global_store_b128 v[12:13], v[0:3], off
	v_lshlrev_b64 v[0:1], 1, v[10:11]
	v_ashrrev_i32_e32 v15, 31, v14
	v_add_co_u32 v22, vcc_lo, v30, v8
	v_add_nc_u32_e32 v20, s2, v14
	v_add_co_ci_u32_e32 v23, vcc_lo, v31, v9, vcc_lo
	v_add_co_u32 v26, vcc_lo, v30, v0
	v_lshlrev_b64 v[24:25], 1, v[14:15]
	v_add_co_ci_u32_e32 v27, vcc_lo, v31, v1, vcc_lo
	ds_load_b128 v[0:3], v16 offset:256
	ds_load_b128 v[8:11], v16 offset:384
	;; [unrolled: 1-line block ×4, first 2 shown]
	v_add_nc_u32_e32 v28, s2, v20
	v_ashrrev_i32_e32 v21, 31, v20
	v_add_co_u32 v24, vcc_lo, v30, v24
	v_add_co_ci_u32_e32 v25, vcc_lo, v31, v25, vcc_lo
	s_delay_alu instid0(VALU_DEP_4) | instskip(NEXT) | instid1(VALU_DEP_4)
	v_ashrrev_i32_e32 v29, 31, v28
	v_lshlrev_b64 v[20:21], 1, v[20:21]
	s_delay_alu instid0(VALU_DEP_2) | instskip(NEXT) | instid1(VALU_DEP_2)
	v_lshlrev_b64 v[28:29], 1, v[28:29]
	v_add_co_u32 v20, vcc_lo, v30, v20
	s_delay_alu instid0(VALU_DEP_3) | instskip(NEXT) | instid1(VALU_DEP_3)
	v_add_co_ci_u32_e32 v21, vcc_lo, v31, v21, vcc_lo
	v_add_co_u32 v28, vcc_lo, v30, v28
	s_delay_alu instid0(VALU_DEP_4)
	v_add_co_ci_u32_e32 v29, vcc_lo, v31, v29, vcc_lo
	s_waitcnt lgkmcnt(4)
	global_store_b128 v[22:23], v[4:7], off
	s_waitcnt lgkmcnt(3)
	global_store_b128 v[26:27], v[0:3], off
	;; [unrolled: 2-line block ×5, first 2 shown]
	s_nop 0
	s_sendmsg sendmsg(MSG_DEALLOC_VGPRS)
	s_endpgm
	.section	.rodata,"a",@progbits
	.p2align	6, 0x0
	.amdhsa_kernel _Z39paged_attention_ll4mi_QKV_mfma16_kernelI14__hip_bfloat16hLN4vllm18Fp8KVCacheDataTypeE1ES0_Li16ELi128ELi256ELb0ELi12EL8MFMAType1EEvPKT_PKT0_S9_ifPKiSB_SB_iPKfiiiPfSE_PS4_PT2_iSD_SD_
		.amdhsa_group_segment_fixed_size 17472
		.amdhsa_private_segment_fixed_size 0
		.amdhsa_kernarg_size 400
		.amdhsa_user_sgpr_count 13
		.amdhsa_user_sgpr_dispatch_ptr 0
		.amdhsa_user_sgpr_queue_ptr 0
		.amdhsa_user_sgpr_kernarg_segment_ptr 1
		.amdhsa_user_sgpr_dispatch_id 0
		.amdhsa_user_sgpr_private_segment_size 0
		.amdhsa_wavefront_size32 1
		.amdhsa_uses_dynamic_stack 0
		.amdhsa_enable_private_segment 0
		.amdhsa_system_sgpr_workgroup_id_x 1
		.amdhsa_system_sgpr_workgroup_id_y 1
		.amdhsa_system_sgpr_workgroup_id_z 1
		.amdhsa_system_sgpr_workgroup_info 0
		.amdhsa_system_vgpr_workitem_id 0
		.amdhsa_next_free_vgpr 140
		.amdhsa_next_free_sgpr 36
		.amdhsa_reserve_vcc 1
		.amdhsa_float_round_mode_32 0
		.amdhsa_float_round_mode_16_64 0
		.amdhsa_float_denorm_mode_32 3
		.amdhsa_float_denorm_mode_16_64 3
		.amdhsa_dx10_clamp 1
		.amdhsa_ieee_mode 1
		.amdhsa_fp16_overflow 0
		.amdhsa_workgroup_processor_mode 1
		.amdhsa_memory_ordered 1
		.amdhsa_forward_progress 0
		.amdhsa_shared_vgpr_count 0
		.amdhsa_exception_fp_ieee_invalid_op 0
		.amdhsa_exception_fp_denorm_src 0
		.amdhsa_exception_fp_ieee_div_zero 0
		.amdhsa_exception_fp_ieee_overflow 0
		.amdhsa_exception_fp_ieee_underflow 0
		.amdhsa_exception_fp_ieee_inexact 0
		.amdhsa_exception_int_div_zero 0
	.end_amdhsa_kernel
	.section	.text._Z39paged_attention_ll4mi_QKV_mfma16_kernelI14__hip_bfloat16hLN4vllm18Fp8KVCacheDataTypeE1ES0_Li16ELi128ELi256ELb0ELi12EL8MFMAType1EEvPKT_PKT0_S9_ifPKiSB_SB_iPKfiiiPfSE_PS4_PT2_iSD_SD_,"axG",@progbits,_Z39paged_attention_ll4mi_QKV_mfma16_kernelI14__hip_bfloat16hLN4vllm18Fp8KVCacheDataTypeE1ES0_Li16ELi128ELi256ELb0ELi12EL8MFMAType1EEvPKT_PKT0_S9_ifPKiSB_SB_iPKfiiiPfSE_PS4_PT2_iSD_SD_,comdat
.Lfunc_end1577:
	.size	_Z39paged_attention_ll4mi_QKV_mfma16_kernelI14__hip_bfloat16hLN4vllm18Fp8KVCacheDataTypeE1ES0_Li16ELi128ELi256ELb0ELi12EL8MFMAType1EEvPKT_PKT0_S9_ifPKiSB_SB_iPKfiiiPfSE_PS4_PT2_iSD_SD_, .Lfunc_end1577-_Z39paged_attention_ll4mi_QKV_mfma16_kernelI14__hip_bfloat16hLN4vllm18Fp8KVCacheDataTypeE1ES0_Li16ELi128ELi256ELb0ELi12EL8MFMAType1EEvPKT_PKT0_S9_ifPKiSB_SB_iPKfiiiPfSE_PS4_PT2_iSD_SD_
                                        ; -- End function
	.section	.AMDGPU.csdata,"",@progbits
; Kernel info:
; codeLenInByte = 8956
; NumSgprs: 38
; NumVgprs: 140
; ScratchSize: 0
; MemoryBound: 0
; FloatMode: 240
; IeeeMode: 1
; LDSByteSize: 17472 bytes/workgroup (compile time only)
; SGPRBlocks: 4
; VGPRBlocks: 17
; NumSGPRsForWavesPerEU: 38
; NumVGPRsForWavesPerEU: 140
; Occupancy: 10
; WaveLimiterHint : 1
; COMPUTE_PGM_RSRC2:SCRATCH_EN: 0
; COMPUTE_PGM_RSRC2:USER_SGPR: 13
; COMPUTE_PGM_RSRC2:TRAP_HANDLER: 0
; COMPUTE_PGM_RSRC2:TGID_X_EN: 1
; COMPUTE_PGM_RSRC2:TGID_Y_EN: 1
; COMPUTE_PGM_RSRC2:TGID_Z_EN: 1
; COMPUTE_PGM_RSRC2:TIDIG_COMP_CNT: 0
	.section	.text._Z39paged_attention_ll4mi_QKV_mfma16_kernelI14__hip_bfloat16hLN4vllm18Fp8KVCacheDataTypeE1ES0_Li16ELi128ELi256ELb0ELi13EL8MFMAType1EEvPKT_PKT0_S9_ifPKiSB_SB_iPKfiiiPfSE_PS4_PT2_iSD_SD_,"axG",@progbits,_Z39paged_attention_ll4mi_QKV_mfma16_kernelI14__hip_bfloat16hLN4vllm18Fp8KVCacheDataTypeE1ES0_Li16ELi128ELi256ELb0ELi13EL8MFMAType1EEvPKT_PKT0_S9_ifPKiSB_SB_iPKfiiiPfSE_PS4_PT2_iSD_SD_,comdat
	.protected	_Z39paged_attention_ll4mi_QKV_mfma16_kernelI14__hip_bfloat16hLN4vllm18Fp8KVCacheDataTypeE1ES0_Li16ELi128ELi256ELb0ELi13EL8MFMAType1EEvPKT_PKT0_S9_ifPKiSB_SB_iPKfiiiPfSE_PS4_PT2_iSD_SD_ ; -- Begin function _Z39paged_attention_ll4mi_QKV_mfma16_kernelI14__hip_bfloat16hLN4vllm18Fp8KVCacheDataTypeE1ES0_Li16ELi128ELi256ELb0ELi13EL8MFMAType1EEvPKT_PKT0_S9_ifPKiSB_SB_iPKfiiiPfSE_PS4_PT2_iSD_SD_
	.globl	_Z39paged_attention_ll4mi_QKV_mfma16_kernelI14__hip_bfloat16hLN4vllm18Fp8KVCacheDataTypeE1ES0_Li16ELi128ELi256ELb0ELi13EL8MFMAType1EEvPKT_PKT0_S9_ifPKiSB_SB_iPKfiiiPfSE_PS4_PT2_iSD_SD_
	.p2align	8
	.type	_Z39paged_attention_ll4mi_QKV_mfma16_kernelI14__hip_bfloat16hLN4vllm18Fp8KVCacheDataTypeE1ES0_Li16ELi128ELi256ELb0ELi13EL8MFMAType1EEvPKT_PKT0_S9_ifPKiSB_SB_iPKfiiiPfSE_PS4_PT2_iSD_SD_,@function
_Z39paged_attention_ll4mi_QKV_mfma16_kernelI14__hip_bfloat16hLN4vllm18Fp8KVCacheDataTypeE1ES0_Li16ELi128ELi256ELb0ELi13EL8MFMAType1EEvPKT_PKT0_S9_ifPKiSB_SB_iPKfiiiPfSE_PS4_PT2_iSD_SD_: ; @_Z39paged_attention_ll4mi_QKV_mfma16_kernelI14__hip_bfloat16hLN4vllm18Fp8KVCacheDataTypeE1ES0_Li16ELi128ELi256ELb0ELi13EL8MFMAType1EEvPKT_PKT0_S9_ifPKiSB_SB_iPKfiiiPfSE_PS4_PT2_iSD_SD_
; %bb.0:
	s_load_b64 s[4:5], s[0:1], 0x30
	s_mov_b32 s30, s13
	s_waitcnt lgkmcnt(0)
	s_cmp_lg_u64 s[4:5], 0
	s_cselect_b32 s13, -1, 0
	s_ashr_i32 s31, s30, 31
	s_cmp_eq_u64 s[4:5], 0
	s_cbranch_scc1 .LBB1578_3
; %bb.1:
	s_lshl_b64 s[2:3], s[30:31], 2
	s_delay_alu instid0(SALU_CYCLE_1) | instskip(SKIP_4) | instid1(SALU_CYCLE_1)
	s_add_u32 s2, s4, s2
	s_addc_u32 s3, s5, s3
	s_load_b64 s[2:3], s[2:3], 0x0
	s_waitcnt lgkmcnt(0)
	s_sub_i32 s2, s3, s2
	s_cmp_eq_u32 s2, 1
	s_cselect_b32 s2, -1, 0
	s_delay_alu instid0(SALU_CYCLE_1)
	s_and_not1_b32 vcc_lo, exec_lo, s2
	s_cbranch_vccz .LBB1578_4
.LBB1578_2:
	s_nop 0
	s_sendmsg sendmsg(MSG_DEALLOC_VGPRS)
	s_endpgm
.LBB1578_3:
.LBB1578_4:
	s_load_b64 s[2:3], s[0:1], 0x28
	s_lshl_b64 s[6:7], s[30:31], 2
	s_waitcnt lgkmcnt(0)
	s_add_u32 s2, s2, s6
	s_addc_u32 s3, s3, s7
	s_lshl_b32 s12, s14, 8
	s_load_b32 s17, s[2:3], 0x0
	s_waitcnt lgkmcnt(0)
	s_cmp_ge_i32 s12, s17
	s_cbranch_scc1 .LBB1578_2
; %bb.5:
	s_clause 0x1
	s_load_b128 s[8:11], s[0:1], 0x8
	s_load_b64 s[2:3], s[0:1], 0x20
	s_and_not1_b32 vcc_lo, exec_lo, s13
	s_cbranch_vccnz .LBB1578_7
; %bb.6:
	s_add_u32 s4, s4, s6
	s_addc_u32 s5, s5, s7
	s_load_b32 s13, s[4:5], 0x0
	s_branch .LBB1578_8
.LBB1578_7:
	s_mov_b32 s13, s30
.LBB1578_8:
	s_load_b128 s[4:7], s[0:1], 0x48
	v_and_b32_e32 v65, 15, v0
	v_lshrrev_b32_e32 v66, 5, v0
	v_bfe_u32 v74, v0, 4, 1
	v_and_b32_e32 v67, 31, v0
	v_and_b32_e32 v75, 1, v0
	v_lshlrev_b32_e32 v2, 3, v65
	s_mul_i32 s31, s15, 13
	v_lshl_or_b32 v1, v66, 1, v74
	s_waitcnt lgkmcnt(0)
	s_mov_b32 s7, exec_lo
	v_lshlrev_b32_e32 v73, 1, v2
	s_delay_alu instid0(VALU_DEP_2)
	v_cmpx_gt_u32_e32 13, v1
	s_cbranch_execz .LBB1578_10
; %bb.9:
	s_load_b64 s[18:19], s[0:1], 0x0
	v_add_lshl_u32 v2, v1, s31, 7
	s_mul_hi_i32 s21, s13, s4
	s_mul_i32 s20, s13, s4
	v_lshlrev_b32_e32 v6, 10, v65
	s_lshl_b64 s[20:21], s[20:21], 1
	v_ashrrev_i32_e32 v3, 31, v2
	v_lshlrev_b32_e32 v1, 6, v1
	v_lshlrev_b32_e32 v7, 10, v75
	v_and_b32_e32 v6, 0x3800, v6
	s_delay_alu instid0(VALU_DEP_4) | instskip(NEXT) | instid1(VALU_DEP_2)
	v_lshlrev_b64 v[2:3], 1, v[2:3]
	v_or3_b32 v1, v6, v7, v1
	s_waitcnt lgkmcnt(0)
	s_add_u32 s4, s18, s20
	s_addc_u32 s13, s19, s21
	s_delay_alu instid0(VALU_DEP_2) | instskip(SKIP_1) | instid1(VALU_DEP_2)
	v_add_co_u32 v2, vcc_lo, s4, v2
	v_add_co_ci_u32_e32 v3, vcc_lo, s13, v3, vcc_lo
	v_add_co_u32 v2, vcc_lo, v2, v73
	s_delay_alu instid0(VALU_DEP_2)
	v_add_co_ci_u32_e32 v3, vcc_lo, 0, v3, vcc_lo
	global_load_b128 v[2:5], v[2:3], off
	s_waitcnt vmcnt(0)
	ds_store_b128 v1, v[2:5]
.LBB1578_10:
	s_or_b32 exec_lo, exec_lo, s7
	v_and_b32_e32 v1, 0xef, v0
	s_add_i32 s4, s17, 15
	s_clause 0x1
	s_load_b32 s7, s[0:1], 0x38
	s_load_b32 s18, s[0:1], 0x1c
	s_ashr_i32 s13, s4, 31
	v_add_nc_u32_e32 v1, s12, v1
	s_lshr_b32 s13, s13, 28
	s_waitcnt lgkmcnt(0)
	s_add_i32 s4, s4, s13
	s_barrier
	v_ashrrev_i32_e32 v2, 31, v1
	v_or_b32_e32 v3, 16, v1
	s_ashr_i32 s4, s4, 4
	v_cmp_gt_i32_e32 vcc_lo, s17, v1
	s_add_i32 s4, s4, -1
	v_lshrrev_b32_e32 v2, 28, v2
	buffer_gl0_inv
	s_mul_i32 s15, s15, s6
	v_add_nc_u32_e32 v4, v1, v2
	s_mul_i32 s20, s30, s7
	s_delay_alu instid0(SALU_CYCLE_1) | instskip(NEXT) | instid1(VALU_DEP_1)
	s_ashr_i32 s21, s20, 31
	v_ashrrev_i32_e32 v4, 4, v4
	v_add_nc_u32_e32 v2, v3, v2
	s_lshl_b64 s[20:21], s[20:21], 2
	s_delay_alu instid0(SALU_CYCLE_1) | instskip(NEXT) | instid1(VALU_DEP_2)
	s_add_u32 s13, s2, s20
	v_cndmask_b32_e32 v1, s4, v4, vcc_lo
	s_delay_alu instid0(VALU_DEP_2)
	v_ashrrev_i32_e32 v2, 4, v2
	v_cmp_gt_i32_e32 vcc_lo, s17, v3
	s_addc_u32 s16, s3, s21
	s_ashr_i32 s19, s15, 31
	s_add_u32 s26, s8, s15
	s_addc_u32 s27, s9, s19
	v_cndmask_b32_e32 v3, s4, v2, vcc_lo
	v_ashrrev_i32_e32 v2, 31, v1
	s_lshl_b32 s2, s14, 4
	s_delay_alu instid0(SALU_CYCLE_1) | instskip(NEXT) | instid1(VALU_DEP_2)
	s_ashr_i32 s3, s2, 31
	v_ashrrev_i32_e32 v4, 31, v3
	s_delay_alu instid0(VALU_DEP_2) | instskip(SKIP_1) | instid1(SALU_CYCLE_1)
	v_lshlrev_b64 v[1:2], 2, v[1:2]
	s_lshl_b64 s[2:3], s[2:3], 2
	s_add_u32 s2, s13, s2
	s_delay_alu instid0(VALU_DEP_2) | instskip(SKIP_1) | instid1(VALU_DEP_2)
	v_lshlrev_b64 v[3:4], 2, v[3:4]
	s_addc_u32 s3, s16, s3
	v_add_co_u32 v1, vcc_lo, s13, v1
	v_add_co_ci_u32_e32 v2, vcc_lo, s16, v2, vcc_lo
	s_delay_alu instid0(VALU_DEP_3) | instskip(NEXT) | instid1(VALU_DEP_4)
	v_add_co_u32 v3, vcc_lo, s13, v3
	v_add_co_ci_u32_e32 v4, vcc_lo, s16, v4, vcc_lo
	s_clause 0x1
	global_load_b32 v5, v[1:2], off
	global_load_b32 v3, v[3:4], off
	s_or_b32 s6, s12, 32
	v_cmp_gt_u32_e32 vcc_lo, 13, v65
	s_ashr_i32 s7, s6, 4
	s_cmp_lt_i32 s6, s17
	s_cselect_b32 s6, s7, s4
	s_delay_alu instid0(SALU_CYCLE_1) | instskip(NEXT) | instid1(SALU_CYCLE_1)
	s_ashr_i32 s7, s6, 31
	s_lshl_b64 s[6:7], s[6:7], 2
	s_delay_alu instid0(SALU_CYCLE_1) | instskip(SKIP_2) | instid1(SALU_CYCLE_1)
	s_add_u32 s6, s13, s6
	s_addc_u32 s7, s16, s7
	s_or_b32 s8, s12, 64
	s_ashr_i32 s9, s8, 4
	s_cmp_lt_i32 s8, s17
	s_cselect_b32 s8, s9, s4
	s_delay_alu instid0(SALU_CYCLE_1) | instskip(NEXT) | instid1(SALU_CYCLE_1)
	s_ashr_i32 s9, s8, 31
	s_lshl_b64 s[8:9], s[8:9], 2
	s_delay_alu instid0(SALU_CYCLE_1) | instskip(SKIP_2) | instid1(SALU_CYCLE_1)
	s_add_u32 s8, s13, s8
	s_addc_u32 s9, s16, s9
	s_or_b32 s20, s12, 0x60
	;; [unrolled: 10-line block ×4, first 2 shown]
	s_ashr_i32 s25, s24, 4
	s_cmp_lt_i32 s24, s17
	s_cselect_b32 s24, s25, s4
	s_delay_alu instid0(SALU_CYCLE_1) | instskip(NEXT) | instid1(SALU_CYCLE_1)
	s_ashr_i32 s25, s24, 31
	s_lshl_b64 s[24:25], s[24:25], 2
	s_delay_alu instid0(SALU_CYCLE_1)
	s_add_u32 s24, s13, s24
	s_addc_u32 s25, s16, s25
	s_clause 0x5
	s_load_b32 s28, s[2:3], 0x0
	s_load_b32 s29, s[6:7], 0x0
	;; [unrolled: 1-line block ×6, first 2 shown]
	s_mov_b32 s20, 0
	s_or_b32 s2, s12, 0xc0
	s_mov_b32 s21, s20
	s_mov_b32 s22, s20
	;; [unrolled: 1-line block ×5, first 2 shown]
	v_lshlrev_b32_e32 v1, 4, v0
	s_ashr_i32 s3, s2, 4
	s_cmp_lt_i32 s2, s17
	s_cselect_b32 s2, s3, s4
	s_delay_alu instid0(VALU_DEP_1) | instskip(SKIP_1) | instid1(SALU_CYCLE_1)
	v_and_b32_e32 v1, 0xf0, v1
	s_ashr_i32 s3, s2, 31
	s_lshl_b64 s[2:3], s[2:3], 2
	s_delay_alu instid0(VALU_DEP_1) | instskip(NEXT) | instid1(VALU_DEP_1)
	v_add_co_u32 v1, s26, s26, v1
	v_add_co_ci_u32_e64 v2, null, s27, 0, s26
	s_add_u32 s2, s13, s2
	s_addc_u32 s3, s16, s3
	s_or_b32 s6, s12, 0xe0
	s_mov_b32 s27, s20
	s_ashr_i32 s7, s6, 4
	s_cmp_lt_i32 s6, s17
	s_mov_b32 s26, s20
	v_dual_mov_b32 v107, s27 :: v_dual_mov_b32 v100, s20
	s_cselect_b32 s6, s7, s4
	v_mov_b32_e32 v106, s26
	s_ashr_i32 s7, s6, 31
	v_mov_b32_e32 v104, s24
	s_lshl_b64 s[6:7], s[6:7], 2
	v_dual_mov_b32 v103, s23 :: v_dual_mov_b32 v102, s22
	v_mov_b32_e32 v101, s21
	s_waitcnt vmcnt(1)
	v_mad_i64_i32 v[33:34], null, v5, s5, v[1:2]
	s_waitcnt vmcnt(0)
	v_mad_i64_i32 v[35:36], null, v3, s5, v[1:2]
	s_clause 0xf
	global_load_b128 v[1:4], v[33:34], off
	global_load_b128 v[5:8], v[33:34], off offset:256
	global_load_b128 v[9:12], v[35:36], off
	global_load_b128 v[13:16], v[35:36], off offset:256
	global_load_b128 v[17:20], v[33:34], off offset:512
	;; [unrolled: 1-line block ×13, first 2 shown]
	v_add_nc_u32_e32 v33, -13, v65
	v_lshlrev_b32_e32 v34, 4, v65
	s_delay_alu instid0(VALU_DEP_2) | instskip(SKIP_1) | instid1(VALU_DEP_3)
	v_cndmask_b32_e32 v33, v33, v65, vcc_lo
	v_mov_b32_e32 v105, s25
	v_lshl_or_b32 v41, v66, 8, v34
	s_delay_alu instid0(VALU_DEP_3)
	v_lshlrev_b32_e32 v72, 6, v33
	ds_load_b128 v[33:36], v72
	ds_load_b128 v[37:40], v72 offset:1024
	ds_load_b128 v[108:111], v72 offset:2048
	;; [unrolled: 1-line block ×3, first 2 shown]
	s_load_b32 s4, s[2:3], 0x0
	s_add_u32 s2, s13, s6
	s_addc_u32 s3, s16, s7
	ds_load_b128 v[116:119], v72 offset:4096
	ds_load_b128 v[120:123], v72 offset:5120
	s_load_b32 s2, s[2:3], 0x0
	s_add_u32 s6, s10, s15
	s_addc_u32 s7, s11, s19
	v_add_co_u32 v68, s6, s6, v41
	s_delay_alu instid0(VALU_DEP_1) | instskip(SKIP_1) | instid1(VALU_DEP_1)
	v_add_co_ci_u32_e64 v69, null, s7, 0, s6
	s_waitcnt lgkmcnt(0)
	v_mad_i64_i32 v[41:42], null, s28, s5, v[68:69]
	v_mad_i64_i32 v[70:71], null, s8, s5, v[68:69]
	;; [unrolled: 1-line block ×7, first 2 shown]
	s_clause 0x3
	global_load_b128 v[49:52], v[41:42], off
	global_load_b128 v[53:56], v[41:42], off offset:16
	global_load_b128 v[41:44], v[45:46], off
	global_load_b128 v[45:48], v[45:46], off offset:16
	s_waitcnt vmcnt(18)
	v_wmma_f32_16x16x16_bf16 v[124:131], v[1:8], v[33:40], v[100:107]
	s_waitcnt vmcnt(16)
	v_wmma_f32_16x16x16_bf16 v[100:107], v[9:16], v[33:40], v[100:107]
	s_clause 0x1
	global_load_b128 v[33:36], v[70:71], off
	global_load_b128 v[37:40], v[70:71], off offset:16
	v_mad_i64_i32 v[70:71], null, s2, s5, v[68:69]
	s_waitcnt vmcnt(16)
	v_wmma_f32_16x16x16_bf16 v[124:131], v[17:24], v[108:115], v[124:131]
	s_waitcnt vmcnt(14)
	v_wmma_f32_16x16x16_bf16 v[100:107], v[25:32], v[108:115], v[100:107]
	s_clause 0x7
	global_load_b128 v[25:28], v[132:133], off
	global_load_b128 v[29:32], v[132:133], off offset:16
	global_load_b128 v[1:4], v[134:135], off
	global_load_b128 v[5:8], v[134:135], off offset:16
	;; [unrolled: 2-line block ×4, first 2 shown]
	s_waitcnt vmcnt(20)
	v_wmma_f32_16x16x16_bf16 v[124:131], v[57:64], v[116:123], v[124:131]
	s_clause 0x1
	global_load_b128 v[57:60], v[70:71], off
	global_load_b128 v[61:64], v[70:71], off offset:16
	s_waitcnt vmcnt(20)
	v_wmma_f32_16x16x16_bf16 v[100:107], v[76:83], v[116:123], v[100:107]
	ds_load_b128 v[76:79], v72 offset:6144
	ds_load_b128 v[80:83], v72 offset:7168
	v_and_b32_e32 v68, 0xe0, v0
	v_mbcnt_lo_u32_b32 v69, -1, 0
	s_waitcnt vmcnt(0) lgkmcnt(0)
	s_barrier
	buffer_gl0_inv
	v_add_nc_u32_e32 v68, s12, v68
	v_xor_b32_e32 v70, 16, v69
	s_delay_alu instid0(VALU_DEP_2) | instskip(NEXT) | instid1(VALU_DEP_2)
	v_or_b32_e32 v68, v68, v74
	v_cmp_gt_i32_e32 vcc_lo, 32, v70
	s_delay_alu instid0(VALU_DEP_2)
	v_or_b32_e32 v71, 4, v68
	v_or_b32_e32 v72, 6, v68
	v_cmp_gt_i32_e64 s2, s17, v68
	v_or_b32_e32 v108, 8, v68
	v_wmma_f32_16x16x16_bf16 v[124:131], v[84:91], v[76:83], v[124:131]
	v_cndmask_b32_e32 v69, v69, v70, vcc_lo
	v_or_b32_e32 v70, 2, v68
	v_wmma_f32_16x16x16_bf16 v[100:107], v[92:99], v[76:83], v[100:107]
	v_or_b32_e32 v109, 10, v68
	v_dual_mul_f32 v82, s18, v127 :: v_dual_mul_f32 v79, s18, v130
	v_dual_mul_f32 v92, s18, v125 :: v_dual_mul_f32 v93, s18, v124
	s_delay_alu instid0(VALU_DEP_4)
	v_mul_f32_e32 v98, s18, v103
	v_cmp_gt_i32_e32 vcc_lo, s17, v70
	v_or_b32_e32 v89, 22, v68
	v_dual_mul_f32 v83, s18, v126 :: v_dual_mul_f32 v96, s18, v105
	v_cndmask_b32_e64 v93, 0xff7fffff, v93, s2
	v_cndmask_b32_e32 v92, 0xff7fffff, v92, vcc_lo
	v_cmp_gt_i32_e64 s3, s17, v71
	v_cmp_gt_i32_e64 s4, s17, v72
	v_or_b32_e32 v84, 12, v68
	v_or_b32_e32 v85, 14, v68
	v_dual_mul_f32 v80, s18, v129 :: v_dual_mul_f32 v81, s18, v128
	v_mul_f32_e32 v94, s18, v107
	v_cndmask_b32_e64 v71, 0xff7fffff, v83, s3
	v_cndmask_b32_e64 v72, 0xff7fffff, v82, s4
	v_cmp_gt_i32_e64 s5, s17, v108
	v_cmp_gt_i32_e64 s6, s17, v109
	;; [unrolled: 1-line block ×3, first 2 shown]
	v_lshlrev_b32_e32 v89, 2, v69
	v_max3_f32 v82, v93, 0xff7fffff, v92
	v_or_b32_e32 v86, 16, v68
	v_or_b32_e32 v87, 18, v68
	v_mul_f32_e32 v78, s18, v131
	v_cndmask_b32_e64 v81, 0xff7fffff, v81, s5
	v_cndmask_b32_e64 v80, 0xff7fffff, v80, s6
	v_max3_f32 v71, v82, v71, v72
	v_cmp_gt_i32_e64 s7, s17, v84
	v_cmp_gt_i32_e64 s8, s17, v85
	v_or_b32_e32 v88, 20, v68
	v_or_b32_e32 v90, 24, v68
	;; [unrolled: 1-line block ×5, first 2 shown]
	v_dual_mul_f32 v95, s18, v106 :: v_dual_mul_f32 v70, s18, v101
	v_dual_mul_f32 v99, s18, v102 :: v_dual_mul_f32 v68, s18, v100
	v_cndmask_b32_e64 v72, 0xff7fffff, v79, s7
	v_cndmask_b32_e64 v78, 0xff7fffff, v78, s8
	v_max3_f32 v71, v71, v81, v80
	v_cmp_gt_i32_e64 s9, s17, v86
	v_cmp_gt_i32_e64 s10, s17, v87
	;; [unrolled: 1-line block ×3, first 2 shown]
	v_mul_f32_e32 v97, s18, v104
	v_max3_f32 v71, v71, v72, v78
	v_cndmask_b32_e64 v68, 0xff7fffff, v68, s9
	v_cndmask_b32_e64 v70, 0xff7fffff, v70, s10
	;; [unrolled: 1-line block ×4, first 2 shown]
	v_cmp_gt_i32_e64 s13, s17, v90
	v_cmp_gt_i32_e64 s15, s17, v91
	v_max3_f32 v68, v71, v68, v70
	v_cmp_gt_i32_e64 s16, s17, v76
	v_cmp_gt_i32_e64 s17, s17, v77
	v_cndmask_b32_e64 v70, 0xff7fffff, v97, s13
	v_cndmask_b32_e64 v71, 0xff7fffff, v96, s15
	v_max3_f32 v68, v68, v72, v78
	v_cndmask_b32_e64 v72, 0xff7fffff, v95, s16
	v_cndmask_b32_e64 v76, 0xff7fffff, v94, s17
	s_delay_alu instid0(VALU_DEP_3) | instskip(NEXT) | instid1(VALU_DEP_1)
	v_max3_f32 v68, v68, v70, v71
	v_max3_f32 v68, v68, v72, v76
	ds_bpermute_b32 v69, v89, v68
	s_waitcnt lgkmcnt(0)
	v_max_f32_e32 v69, v69, v69
	s_delay_alu instid0(VALU_DEP_1) | instskip(NEXT) | instid1(VALU_DEP_1)
	v_max_f32_e32 v68, v68, v69
	v_fma_f32 v69, s18, v124, -v68
	v_fma_f32 v70, s18, v125, -v68
	;; [unrolled: 1-line block ×5, first 2 shown]
	s_delay_alu instid0(VALU_DEP_4) | instskip(NEXT) | instid1(VALU_DEP_4)
	v_dual_mul_f32 v69, 0x3fb8aa3b, v69 :: v_dual_mul_f32 v70, 0x3fb8aa3b, v70
	v_mul_f32_e32 v72, 0x3fb8aa3b, v72
	v_fma_f32 v78, s18, v130, -v68
	s_delay_alu instid0(VALU_DEP_4) | instskip(NEXT) | instid1(VALU_DEP_4)
	v_mul_f32_e32 v77, 0x3fb8aa3b, v76
	v_exp_f32_e32 v69, v69
	v_exp_f32_e32 v70, v70
	v_mul_f32_e32 v71, 0x3fb8aa3b, v71
	v_exp_f32_e32 v72, v72
	v_mul_f32_e32 v78, 0x3fb8aa3b, v78
	v_exp_f32_e32 v77, v77
	v_fma_f32 v81, s18, v105, -v68
	s_delay_alu instid0(VALU_DEP_2)
	v_exp_f32_e32 v78, v78
	v_cndmask_b32_e64 v80, 0, v69, s2
	v_cndmask_b32_e32 v76, 0, v70, vcc_lo
	v_exp_f32_e32 v71, v71
	v_fma_f32 v69, s18, v129, -v68
	v_cndmask_b32_e64 v85, 0, v72, s4
	v_add_f32_e32 v70, 0, v80
	s_delay_alu instid0(TRANS32_DEP_3)
	v_cndmask_b32_e64 v86, 0, v77, s5
	v_fma_f32 v77, s18, v101, -v68
	v_mul_f32_e32 v69, 0x3fb8aa3b, v69
	v_fma_f32 v72, s18, v100, -v68
	v_cndmask_b32_e64 v84, 0, v78, s7
	v_fma_f32 v78, s18, v103, -v68
	v_cndmask_b32_e64 v83, 0, v71, s3
	v_fma_f32 v71, s18, v131, -v68
	v_add_f32_e32 v70, v70, v76
	v_exp_f32_e32 v69, v69
	v_mul_f32_e32 v77, 0x3fb8aa3b, v77
	v_mul_f32_e32 v81, 0x3fb8aa3b, v81
	;; [unrolled: 1-line block ×3, first 2 shown]
	v_add_f32_e32 v70, v70, v83
	v_cmp_gt_u32_e64 s2, 16, v67
	v_exp_f32_e32 v77, v77
	v_exp_f32_e32 v81, v81
	;; [unrolled: 1-line block ×3, first 2 shown]
	v_cndmask_b32_e64 v87, 0, v69, s6
	v_add_f32_e32 v70, v70, v85
	s_delay_alu instid0(VALU_DEP_1) | instskip(SKIP_1) | instid1(VALU_DEP_2)
	v_dual_mul_f32 v72, 0x3fb8aa3b, v72 :: v_dual_add_f32 v69, v70, v86
	v_fma_f32 v70, s18, v102, -v68
	v_exp_f32_e32 v72, v72
	s_waitcnt_depctr 0xfff
	v_cndmask_b32_e64 v88, 0, v71, s8
	v_fma_f32 v71, s18, v104, -v68
	v_dual_add_f32 v69, v69, v87 :: v_dual_mul_f32 v70, 0x3fb8aa3b, v70
	s_delay_alu instid0(VALU_DEP_2) | instskip(NEXT) | instid1(VALU_DEP_2)
	v_dual_mul_f32 v78, 0x3fb8aa3b, v78 :: v_dual_mul_f32 v71, 0x3fb8aa3b, v71
	v_add_f32_e32 v69, v69, v84
	s_delay_alu instid0(VALU_DEP_3) | instskip(SKIP_1) | instid1(VALU_DEP_3)
	v_exp_f32_e32 v79, v70
	v_cndmask_b32_e64 v70, 0, v72, s9
	v_exp_f32_e32 v78, v78
	v_exp_f32_e32 v82, v71
	v_add_f32_e32 v72, v69, v88
	v_cndmask_b32_e64 v69, 0, v77, s10
	v_fma_f32 v77, s18, v106, -v68
	s_delay_alu instid0(VALU_DEP_3) | instskip(NEXT) | instid1(TRANS32_DEP_3)
	v_add_f32_e32 v72, v72, v70
	v_cndmask_b32_e64 v71, 0, v79, s11
	s_delay_alu instid0(VALU_DEP_3) | instskip(NEXT) | instid1(VALU_DEP_3)
	v_mul_f32_e32 v77, 0x3fb8aa3b, v77
	v_add_f32_e32 v79, v72, v69
	s_delay_alu instid0(TRANS32_DEP_2) | instskip(NEXT) | instid1(VALU_DEP_3)
	v_cndmask_b32_e64 v72, 0, v78, s12
	v_exp_f32_e32 v90, v77
	v_cndmask_b32_e64 v77, 0, v82, s13
	s_delay_alu instid0(VALU_DEP_3) | instskip(SKIP_1) | instid1(VALU_DEP_1)
	v_add_f32_e32 v78, v79, v71
	v_fma_f32 v79, s18, v107, -v68
	v_dual_add_f32 v82, v78, v72 :: v_dual_mul_f32 v79, 0x3fb8aa3b, v79
	v_cndmask_b32_e64 v78, 0, v81, s15
	s_delay_alu instid0(VALU_DEP_2) | instskip(NEXT) | instid1(VALU_DEP_3)
	v_add_f32_e32 v81, v82, v77
	v_exp_f32_e32 v82, v79
	s_delay_alu instid0(TRANS32_DEP_2) | instskip(NEXT) | instid1(VALU_DEP_2)
	v_cndmask_b32_e64 v79, 0, v90, s16
	v_add_f32_e32 v81, v81, v78
	s_delay_alu instid0(VALU_DEP_1) | instskip(SKIP_2) | instid1(VALU_DEP_1)
	v_add_f32_e32 v90, v81, v79
	s_waitcnt_depctr 0xfff
	v_cndmask_b32_e64 v81, 0, v82, s17
	v_add_f32_e32 v82, v90, v81
	ds_bpermute_b32 v89, v89, v82
	s_and_saveexec_b32 s3, s2
	s_cbranch_execz .LBB1578_12
; %bb.11:
	v_mul_u32_u24_e32 v67, 0x44, v66
	s_delay_alu instid0(VALU_DEP_1) | instskip(SKIP_1) | instid1(VALU_DEP_1)
	v_lshl_add_u32 v67, v65, 2, v67
	s_waitcnt lgkmcnt(0)
	v_dual_add_f32 v82, v82, v89 :: v_dual_add_nc_u32 v67, 0x4000, v67
	ds_store_2addr_b32 v67, v68, v82 offset1:136
.LBB1578_12:
	s_or_b32 exec_lo, exec_lo, s3
	v_lshlrev_b32_e32 v67, 2, v65
	s_waitcnt lgkmcnt(0)
	s_barrier
	buffer_gl0_inv
	v_cmp_eq_u32_e32 vcc_lo, 1, v66
	v_add_nc_u32_e32 v82, 0x4000, v67
	v_cmp_eq_u32_e64 s3, 2, v66
	v_cmp_eq_u32_e64 s5, 7, v66
	ds_load_2addr_b32 v[89:90], v82 offset1:17
	ds_load_2addr_b32 v[91:92], v82 offset0:34 offset1:51
	ds_load_2addr_b32 v[93:94], v82 offset0:68 offset1:85
	;; [unrolled: 1-line block ×4, first 2 shown]
	s_waitcnt lgkmcnt(4)
	v_max3_f32 v67, v89, 0xff7fffff, v90
	s_waitcnt lgkmcnt(3)
	s_delay_alu instid0(VALU_DEP_1) | instskip(SKIP_1) | instid1(VALU_DEP_1)
	v_max3_f32 v67, v67, v91, v92
	s_waitcnt lgkmcnt(2)
	v_max3_f32 v67, v67, v93, v94
	s_waitcnt lgkmcnt(1)
	s_delay_alu instid0(VALU_DEP_1) | instskip(NEXT) | instid1(VALU_DEP_1)
	v_max3_f32 v67, v67, v95, v96
	v_sub_f32_e32 v93, v93, v67
	s_delay_alu instid0(VALU_DEP_1) | instskip(NEXT) | instid1(VALU_DEP_1)
	v_dual_sub_f32 v68, v89, v67 :: v_dual_mul_f32 v103, 0x3fb8aa3b, v93
	v_mul_f32_e32 v68, 0x3fb8aa3b, v68
	s_delay_alu instid0(VALU_DEP_1)
	v_exp_f32_e32 v100, v68
	v_sub_f32_e32 v68, v92, v67
	v_sub_f32_e32 v99, v90, v67
	ds_load_2addr_b32 v[89:90], v82 offset0:170 offset1:187
	v_dual_mul_f32 v102, 0x3fb8aa3b, v68 :: v_dual_mul_f32 v99, 0x3fb8aa3b, v99
	s_waitcnt lgkmcnt(1)
	v_fma_f32 v68, v100, v97, 0
	s_delay_alu instid0(VALU_DEP_2) | instskip(NEXT) | instid1(VALU_DEP_2)
	v_exp_f32_e32 v102, v102
	v_exp_f32_e32 v99, v99
	s_waitcnt_depctr 0xfff
	v_fmac_f32_e32 v68, v99, v98
	v_sub_f32_e32 v91, v91, v67
	s_delay_alu instid0(VALU_DEP_1)
	v_mul_f32_e32 v101, 0x3fb8aa3b, v91
	ds_load_2addr_b32 v[91:92], v82 offset0:204 offset1:221
	v_sub_f32_e32 v97, v94, v67
	ds_load_2addr_b32 v[93:94], v82 offset0:238 offset1:255
	s_waitcnt lgkmcnt(0)
	v_exp_f32_e32 v101, v101
	s_barrier
	buffer_gl0_inv
	v_dual_fmac_f32 v68, v101, v89 :: v_dual_sub_f32 v89, v96, v67
	v_dual_sub_f32 v82, v95, v67 :: v_dual_mul_f32 v95, 0x3fb8aa3b, v97
	v_exp_f32_e32 v97, v103
	s_delay_alu instid0(VALU_DEP_2) | instskip(NEXT) | instid1(VALU_DEP_2)
	v_dual_fmac_f32 v68, v102, v90 :: v_dual_mul_f32 v89, 0x3fb8aa3b, v89
	v_mul_f32_e32 v82, 0x3fb8aa3b, v82
	s_delay_alu instid0(VALU_DEP_3) | instskip(NEXT) | instid1(VALU_DEP_2)
	v_exp_f32_e32 v95, v95
	v_exp_f32_e32 v89, v89
	s_delay_alu instid0(VALU_DEP_1)
	v_exp_f32_e32 v82, v82
	v_fmac_f32_e32 v68, v97, v91
	s_delay_alu instid0(TRANS32_DEP_3) | instid1(VALU_DEP_1)
	v_fmac_f32_e32 v68, v95, v92
	s_waitcnt_depctr 0xfff
	v_fmac_f32_e32 v68, v82, v93
	s_delay_alu instid0(VALU_DEP_1) | instskip(NEXT) | instid1(VALU_DEP_1)
	v_fmac_f32_e32 v68, v89, v94
	v_add_f32_e32 v90, 0x358637bd, v68
	s_delay_alu instid0(VALU_DEP_1) | instskip(NEXT) | instid1(VALU_DEP_1)
	v_div_scale_f32 v91, null, v90, v90, 1.0
	v_rcp_f32_e32 v92, v91
	s_waitcnt_depctr 0xfff
	v_fma_f32 v93, -v91, v92, 1.0
	s_delay_alu instid0(VALU_DEP_1) | instskip(SKIP_1) | instid1(VALU_DEP_2)
	v_dual_fmac_f32 v92, v93, v92 :: v_dual_cndmask_b32 v93, v100, v99
	v_cmp_eq_u32_e32 vcc_lo, 3, v66
	v_cndmask_b32_e64 v93, v93, v101, s3
	v_cmp_eq_u32_e64 s3, 4, v66
	s_delay_alu instid0(VALU_DEP_2) | instskip(SKIP_1) | instid1(VALU_DEP_2)
	v_cndmask_b32_e32 v93, v93, v102, vcc_lo
	v_cmp_eq_u32_e32 vcc_lo, 5, v66
	v_cndmask_b32_e64 v93, v93, v97, s3
	v_cmp_eq_u32_e64 s3, 6, v66
	s_delay_alu instid0(VALU_DEP_2) | instskip(SKIP_1) | instid1(VALU_DEP_1)
	v_cndmask_b32_e32 v93, v93, v95, vcc_lo
	v_div_scale_f32 v94, s4, 1.0, v90, 1.0
	s_mov_b32 vcc_lo, s4
	s_delay_alu instid0(VALU_DEP_2) | instskip(NEXT) | instid1(VALU_DEP_2)
	v_cndmask_b32_e64 v82, v93, v82, s3
	v_mul_f32_e32 v96, v94, v92
	s_mov_b32 s3, exec_lo
	s_delay_alu instid0(VALU_DEP_2) | instskip(NEXT) | instid1(VALU_DEP_2)
	v_cndmask_b32_e64 v82, v82, v89, s5
	v_fma_f32 v98, -v91, v96, v94
	s_delay_alu instid0(VALU_DEP_1) | instskip(NEXT) | instid1(VALU_DEP_1)
	v_fmac_f32_e32 v96, v98, v92
	v_fma_f32 v91, -v91, v96, v94
	s_delay_alu instid0(VALU_DEP_1) | instskip(NEXT) | instid1(VALU_DEP_1)
	v_div_fmas_f32 v91, v91, v92, v96
	v_div_fixup_f32 v90, v91, v90, 1.0
	s_delay_alu instid0(VALU_DEP_1) | instskip(NEXT) | instid1(VALU_DEP_1)
	v_mul_f32_e32 v82, v82, v90
	v_mul_f32_e32 v87, v82, v87
	;; [unrolled: 1-line block ×7, first 2 shown]
	v_dual_mul_f32 v86, v82, v83 :: v_dual_and_b32 v91, 0x7f800000, v90
	v_mul_f32_e32 v85, v82, v76
                                        ; implicit-def: $vgpr76
	s_delay_alu instid0(VALU_DEP_2)
	v_cmpx_ne_u32_e32 0x7f800000, v91
	s_xor_b32 s3, exec_lo, s3
; %bb.13:
	v_bfe_u32 v76, v90, 16, 1
	s_delay_alu instid0(VALU_DEP_1)
	v_add3_u32 v76, v90, v76, 0x7fff
                                        ; implicit-def: $vgpr90
; %bb.14:
	s_and_not1_saveexec_b32 s3, s3
; %bb.15:
	v_and_b32_e32 v76, 0xffff, v90
	v_or_b32_e32 v83, 0x10000, v90
	s_delay_alu instid0(VALU_DEP_2) | instskip(NEXT) | instid1(VALU_DEP_2)
	v_cmp_eq_u32_e32 vcc_lo, 0, v76
	v_cndmask_b32_e32 v76, v83, v90, vcc_lo
; %bb.16:
	s_or_b32 exec_lo, exec_lo, s3
	v_and_b32_e32 v83, 0x7f800000, v85
	s_delay_alu instid0(VALU_DEP_1) | instskip(SKIP_1) | instid1(SALU_CYCLE_1)
	v_cmp_ne_u32_e32 vcc_lo, 0x7f800000, v83
                                        ; implicit-def: $vgpr83
	s_and_saveexec_b32 s3, vcc_lo
	s_xor_b32 s3, exec_lo, s3
; %bb.17:
	v_bfe_u32 v83, v85, 16, 1
	s_delay_alu instid0(VALU_DEP_1)
	v_add3_u32 v83, v85, v83, 0x7fff
                                        ; implicit-def: $vgpr85
; %bb.18:
	s_and_not1_saveexec_b32 s3, s3
; %bb.19:
	v_and_b32_e32 v83, 0xffff, v85
	v_or_b32_e32 v90, 0x10000, v85
	s_delay_alu instid0(VALU_DEP_2) | instskip(NEXT) | instid1(VALU_DEP_2)
	v_cmp_eq_u32_e32 vcc_lo, 0, v83
	v_cndmask_b32_e32 v83, v90, v85, vcc_lo
; %bb.20:
	s_or_b32 exec_lo, exec_lo, s3
	v_and_b32_e32 v85, 0x7f800000, v86
	s_delay_alu instid0(VALU_DEP_1) | instskip(SKIP_1) | instid1(SALU_CYCLE_1)
	v_cmp_ne_u32_e32 vcc_lo, 0x7f800000, v85
                                        ; implicit-def: $vgpr85
	s_and_saveexec_b32 s3, vcc_lo
	s_xor_b32 s3, exec_lo, s3
; %bb.21:
	v_bfe_u32 v85, v86, 16, 1
	s_delay_alu instid0(VALU_DEP_1)
	v_add3_u32 v85, v86, v85, 0x7fff
                                        ; implicit-def: $vgpr86
; %bb.22:
	s_and_not1_saveexec_b32 s3, s3
; %bb.23:
	v_and_b32_e32 v85, 0xffff, v86
	v_or_b32_e32 v90, 0x10000, v86
	s_delay_alu instid0(VALU_DEP_2) | instskip(NEXT) | instid1(VALU_DEP_2)
	v_cmp_eq_u32_e32 vcc_lo, 0, v85
	v_cndmask_b32_e32 v85, v90, v86, vcc_lo
; %bb.24:
	s_or_b32 exec_lo, exec_lo, s3
	v_and_b32_e32 v86, 0x7f800000, v89
	s_delay_alu instid0(VALU_DEP_1) | instskip(SKIP_1) | instid1(SALU_CYCLE_1)
	v_cmp_ne_u32_e32 vcc_lo, 0x7f800000, v86
                                        ; implicit-def: $vgpr86
	s_and_saveexec_b32 s3, vcc_lo
	s_xor_b32 s3, exec_lo, s3
; %bb.25:
	v_bfe_u32 v86, v89, 16, 1
	s_delay_alu instid0(VALU_DEP_1)
	v_add3_u32 v86, v89, v86, 0x7fff
                                        ; implicit-def: $vgpr89
; %bb.26:
	s_and_not1_saveexec_b32 s3, s3
; %bb.27:
	v_and_b32_e32 v86, 0xffff, v89
	v_or_b32_e32 v90, 0x10000, v89
	s_delay_alu instid0(VALU_DEP_2) | instskip(NEXT) | instid1(VALU_DEP_2)
	v_cmp_eq_u32_e32 vcc_lo, 0, v86
	v_cndmask_b32_e32 v86, v90, v89, vcc_lo
; %bb.28:
	s_or_b32 exec_lo, exec_lo, s3
	v_and_b32_e32 v89, 0x7f800000, v88
	s_delay_alu instid0(VALU_DEP_1) | instskip(SKIP_1) | instid1(SALU_CYCLE_1)
	v_cmp_ne_u32_e32 vcc_lo, 0x7f800000, v89
                                        ; implicit-def: $vgpr89
	s_and_saveexec_b32 s3, vcc_lo
	s_xor_b32 s3, exec_lo, s3
; %bb.29:
	v_bfe_u32 v89, v88, 16, 1
	s_delay_alu instid0(VALU_DEP_1)
	v_add3_u32 v89, v88, v89, 0x7fff
                                        ; implicit-def: $vgpr88
; %bb.30:
	s_and_not1_saveexec_b32 s3, s3
; %bb.31:
	v_and_b32_e32 v89, 0xffff, v88
	v_or_b32_e32 v90, 0x10000, v88
	s_delay_alu instid0(VALU_DEP_2) | instskip(NEXT) | instid1(VALU_DEP_2)
	v_cmp_eq_u32_e32 vcc_lo, 0, v89
	v_cndmask_b32_e32 v89, v90, v88, vcc_lo
; %bb.32:
	s_or_b32 exec_lo, exec_lo, s3
	v_and_b32_e32 v88, 0x7f800000, v87
	s_delay_alu instid0(VALU_DEP_1) | instskip(SKIP_1) | instid1(SALU_CYCLE_1)
	v_cmp_ne_u32_e32 vcc_lo, 0x7f800000, v88
                                        ; implicit-def: $vgpr88
	s_and_saveexec_b32 s3, vcc_lo
	s_xor_b32 s3, exec_lo, s3
; %bb.33:
	v_bfe_u32 v88, v87, 16, 1
	s_delay_alu instid0(VALU_DEP_1)
	v_add3_u32 v88, v87, v88, 0x7fff
                                        ; implicit-def: $vgpr87
; %bb.34:
	s_and_not1_saveexec_b32 s3, s3
; %bb.35:
	v_and_b32_e32 v88, 0xffff, v87
	v_or_b32_e32 v90, 0x10000, v87
	s_delay_alu instid0(VALU_DEP_2) | instskip(NEXT) | instid1(VALU_DEP_2)
	v_cmp_eq_u32_e32 vcc_lo, 0, v88
	v_cndmask_b32_e32 v88, v90, v87, vcc_lo
; %bb.36:
	s_or_b32 exec_lo, exec_lo, s3
	v_and_b32_e32 v87, 0x7f800000, v84
	s_delay_alu instid0(VALU_DEP_1) | instskip(SKIP_1) | instid1(SALU_CYCLE_1)
	v_cmp_ne_u32_e32 vcc_lo, 0x7f800000, v87
                                        ; implicit-def: $vgpr87
	s_and_saveexec_b32 s3, vcc_lo
	s_xor_b32 s3, exec_lo, s3
; %bb.37:
	v_bfe_u32 v87, v84, 16, 1
	s_delay_alu instid0(VALU_DEP_1)
	v_add3_u32 v87, v84, v87, 0x7fff
                                        ; implicit-def: $vgpr84
; %bb.38:
	s_and_not1_saveexec_b32 s3, s3
; %bb.39:
	v_and_b32_e32 v87, 0xffff, v84
	v_or_b32_e32 v90, 0x10000, v84
	s_delay_alu instid0(VALU_DEP_2) | instskip(NEXT) | instid1(VALU_DEP_2)
	v_cmp_eq_u32_e32 vcc_lo, 0, v87
	v_cndmask_b32_e32 v87, v90, v84, vcc_lo
; %bb.40:
	s_or_b32 exec_lo, exec_lo, s3
	v_and_b32_e32 v84, 0x7f800000, v80
	s_delay_alu instid0(VALU_DEP_1) | instskip(SKIP_1) | instid1(SALU_CYCLE_1)
	v_cmp_ne_u32_e32 vcc_lo, 0x7f800000, v84
                                        ; implicit-def: $vgpr84
	s_and_saveexec_b32 s3, vcc_lo
	s_xor_b32 s3, exec_lo, s3
; %bb.41:
	v_bfe_u32 v84, v80, 16, 1
	s_delay_alu instid0(VALU_DEP_1)
	v_add3_u32 v84, v80, v84, 0x7fff
                                        ; implicit-def: $vgpr80
; %bb.42:
	s_and_not1_saveexec_b32 s3, s3
; %bb.43:
	v_and_b32_e32 v84, 0xffff, v80
	v_or_b32_e32 v90, 0x10000, v80
	s_delay_alu instid0(VALU_DEP_2) | instskip(NEXT) | instid1(VALU_DEP_2)
	v_cmp_eq_u32_e32 vcc_lo, 0, v84
	v_cndmask_b32_e32 v84, v90, v80, vcc_lo
; %bb.44:
	s_or_b32 exec_lo, exec_lo, s3
	s_load_b64 s[34:35], s[0:1], 0x94
	v_lshlrev_b32_e32 v91, 4, v74
	s_delay_alu instid0(VALU_DEP_2)
	v_perm_b32 v90, v84, v87, 0x7060302
	v_dual_mul_f32 v79, v82, v79 :: v_dual_lshlrev_b32 v80, 6, v65
	v_dual_mul_f32 v77, v82, v77 :: v_dual_lshlrev_b32 v92, 11, v66
	v_mul_f32_e32 v84, v82, v70
	v_perm_b32 v89, v88, v89, 0x7060302
	v_perm_b32 v88, v86, v85, 0x7060302
	v_perm_b32 v87, v83, v76, 0x7060302
	v_mul_f32_e32 v70, v82, v81
	v_or3_b32 v76, v91, v92, v80
	v_dual_mul_f32 v78, v82, v78 :: v_dual_and_b32 v85, 0x7f800000, v84
	v_mul_f32_e32 v83, v82, v72
	v_mul_f32_e32 v81, v82, v71
	;; [unrolled: 1-line block ×3, first 2 shown]
	s_mov_b32 s3, exec_lo
	ds_store_b128 v76, v[87:90]
                                        ; implicit-def: $vgpr69
	v_cmpx_ne_u32_e32 0x7f800000, v85
	s_xor_b32 s3, exec_lo, s3
; %bb.45:
	v_bfe_u32 v69, v84, 16, 1
	s_delay_alu instid0(VALU_DEP_1)
	v_add3_u32 v69, v84, v69, 0x7fff
                                        ; implicit-def: $vgpr84
; %bb.46:
	s_and_not1_saveexec_b32 s3, s3
; %bb.47:
	v_and_b32_e32 v69, 0xffff, v84
	v_or_b32_e32 v71, 0x10000, v84
	s_delay_alu instid0(VALU_DEP_2) | instskip(NEXT) | instid1(VALU_DEP_2)
	v_cmp_eq_u32_e32 vcc_lo, 0, v69
	v_cndmask_b32_e32 v69, v71, v84, vcc_lo
; %bb.48:
	s_or_b32 exec_lo, exec_lo, s3
	v_and_b32_e32 v71, 0x7f800000, v72
	s_delay_alu instid0(VALU_DEP_1) | instskip(SKIP_1) | instid1(SALU_CYCLE_1)
	v_cmp_ne_u32_e32 vcc_lo, 0x7f800000, v71
                                        ; implicit-def: $vgpr71
	s_and_saveexec_b32 s3, vcc_lo
	s_xor_b32 s3, exec_lo, s3
; %bb.49:
	v_bfe_u32 v71, v72, 16, 1
	s_delay_alu instid0(VALU_DEP_1)
	v_add3_u32 v71, v72, v71, 0x7fff
                                        ; implicit-def: $vgpr72
; %bb.50:
	s_and_not1_saveexec_b32 s3, s3
; %bb.51:
	v_and_b32_e32 v71, 0xffff, v72
	v_or_b32_e32 v82, 0x10000, v72
	s_delay_alu instid0(VALU_DEP_2) | instskip(NEXT) | instid1(VALU_DEP_2)
	v_cmp_eq_u32_e32 vcc_lo, 0, v71
	v_cndmask_b32_e32 v71, v82, v72, vcc_lo
; %bb.52:
	s_or_b32 exec_lo, exec_lo, s3
	v_and_b32_e32 v72, 0x7f800000, v81
	s_delay_alu instid0(VALU_DEP_1) | instskip(SKIP_1) | instid1(SALU_CYCLE_1)
	v_cmp_ne_u32_e32 vcc_lo, 0x7f800000, v72
                                        ; implicit-def: $vgpr72
	s_and_saveexec_b32 s3, vcc_lo
	s_xor_b32 s3, exec_lo, s3
; %bb.53:
	v_bfe_u32 v72, v81, 16, 1
	s_delay_alu instid0(VALU_DEP_1)
	v_add3_u32 v72, v81, v72, 0x7fff
                                        ; implicit-def: $vgpr81
; %bb.54:
	s_and_not1_saveexec_b32 s3, s3
; %bb.55:
	v_and_b32_e32 v72, 0xffff, v81
	v_or_b32_e32 v82, 0x10000, v81
	s_delay_alu instid0(VALU_DEP_2) | instskip(NEXT) | instid1(VALU_DEP_2)
	v_cmp_eq_u32_e32 vcc_lo, 0, v72
	v_cndmask_b32_e32 v72, v82, v81, vcc_lo
; %bb.56:
	s_or_b32 exec_lo, exec_lo, s3
	v_and_b32_e32 v81, 0x7f800000, v83
	s_delay_alu instid0(VALU_DEP_1) | instskip(SKIP_1) | instid1(SALU_CYCLE_1)
	v_cmp_ne_u32_e32 vcc_lo, 0x7f800000, v81
                                        ; implicit-def: $vgpr81
	s_and_saveexec_b32 s3, vcc_lo
	s_xor_b32 s3, exec_lo, s3
; %bb.57:
	v_bfe_u32 v81, v83, 16, 1
	s_delay_alu instid0(VALU_DEP_1)
	v_add3_u32 v81, v83, v81, 0x7fff
                                        ; implicit-def: $vgpr83
; %bb.58:
	s_and_not1_saveexec_b32 s3, s3
; %bb.59:
	v_and_b32_e32 v81, 0xffff, v83
	v_or_b32_e32 v82, 0x10000, v83
	s_delay_alu instid0(VALU_DEP_2) | instskip(NEXT) | instid1(VALU_DEP_2)
	v_cmp_eq_u32_e32 vcc_lo, 0, v81
	v_cndmask_b32_e32 v81, v82, v83, vcc_lo
; %bb.60:
	s_or_b32 exec_lo, exec_lo, s3
	v_and_b32_e32 v82, 0x7f800000, v77
	s_delay_alu instid0(VALU_DEP_1) | instskip(SKIP_1) | instid1(SALU_CYCLE_1)
	v_cmp_ne_u32_e32 vcc_lo, 0x7f800000, v82
                                        ; implicit-def: $vgpr82
	s_and_saveexec_b32 s3, vcc_lo
	s_xor_b32 s3, exec_lo, s3
; %bb.61:
	v_bfe_u32 v82, v77, 16, 1
	s_delay_alu instid0(VALU_DEP_1)
	v_add3_u32 v82, v77, v82, 0x7fff
                                        ; implicit-def: $vgpr77
; %bb.62:
	s_and_not1_saveexec_b32 s3, s3
; %bb.63:
	v_and_b32_e32 v82, 0xffff, v77
	v_or_b32_e32 v83, 0x10000, v77
	s_delay_alu instid0(VALU_DEP_2) | instskip(NEXT) | instid1(VALU_DEP_2)
	v_cmp_eq_u32_e32 vcc_lo, 0, v82
	v_cndmask_b32_e32 v82, v83, v77, vcc_lo
; %bb.64:
	s_or_b32 exec_lo, exec_lo, s3
	v_and_b32_e32 v77, 0x7f800000, v78
	s_delay_alu instid0(VALU_DEP_1) | instskip(SKIP_1) | instid1(SALU_CYCLE_1)
	v_cmp_ne_u32_e32 vcc_lo, 0x7f800000, v77
                                        ; implicit-def: $vgpr77
	s_and_saveexec_b32 s3, vcc_lo
	s_xor_b32 s3, exec_lo, s3
; %bb.65:
	v_bfe_u32 v77, v78, 16, 1
	s_delay_alu instid0(VALU_DEP_1)
	v_add3_u32 v77, v78, v77, 0x7fff
                                        ; implicit-def: $vgpr78
; %bb.66:
	s_and_not1_saveexec_b32 s3, s3
; %bb.67:
	v_and_b32_e32 v77, 0xffff, v78
	v_or_b32_e32 v83, 0x10000, v78
	s_delay_alu instid0(VALU_DEP_2) | instskip(NEXT) | instid1(VALU_DEP_2)
	v_cmp_eq_u32_e32 vcc_lo, 0, v77
	v_cndmask_b32_e32 v77, v83, v78, vcc_lo
; %bb.68:
	s_or_b32 exec_lo, exec_lo, s3
	v_and_b32_e32 v78, 0x7f800000, v79
	s_delay_alu instid0(VALU_DEP_1) | instskip(SKIP_1) | instid1(SALU_CYCLE_1)
	v_cmp_ne_u32_e32 vcc_lo, 0x7f800000, v78
                                        ; implicit-def: $vgpr78
	s_and_saveexec_b32 s3, vcc_lo
	s_xor_b32 s3, exec_lo, s3
; %bb.69:
	v_bfe_u32 v78, v79, 16, 1
	s_delay_alu instid0(VALU_DEP_1)
	v_add3_u32 v78, v79, v78, 0x7fff
                                        ; implicit-def: $vgpr79
; %bb.70:
	s_and_not1_saveexec_b32 s3, s3
; %bb.71:
	v_and_b32_e32 v78, 0xffff, v79
	v_or_b32_e32 v83, 0x10000, v79
	s_delay_alu instid0(VALU_DEP_2) | instskip(NEXT) | instid1(VALU_DEP_2)
	v_cmp_eq_u32_e32 vcc_lo, 0, v78
	v_cndmask_b32_e32 v78, v83, v79, vcc_lo
; %bb.72:
	s_or_b32 exec_lo, exec_lo, s3
	v_and_b32_e32 v79, 0x7f800000, v70
	s_delay_alu instid0(VALU_DEP_1) | instskip(SKIP_1) | instid1(SALU_CYCLE_1)
	v_cmp_ne_u32_e32 vcc_lo, 0x7f800000, v79
                                        ; implicit-def: $vgpr79
	s_and_saveexec_b32 s3, vcc_lo
	s_xor_b32 s3, exec_lo, s3
; %bb.73:
	v_bfe_u32 v79, v70, 16, 1
	s_delay_alu instid0(VALU_DEP_1)
	v_add3_u32 v79, v70, v79, 0x7fff
                                        ; implicit-def: $vgpr70
; %bb.74:
	s_and_not1_saveexec_b32 s3, s3
; %bb.75:
	v_and_b32_e32 v79, 0xffff, v70
	v_or_b32_e32 v83, 0x10000, v70
	s_delay_alu instid0(VALU_DEP_2) | instskip(NEXT) | instid1(VALU_DEP_2)
	v_cmp_eq_u32_e32 vcc_lo, 0, v79
	v_cndmask_b32_e32 v79, v83, v70, vcc_lo
; %bb.76:
	s_or_b32 exec_lo, exec_lo, s3
	s_delay_alu instid0(VALU_DEP_1)
	v_perm_b32 v86, v79, v78, 0x7060302
	v_perm_b32 v85, v77, v82, 0x7060302
	;; [unrolled: 1-line block ×4, first 2 shown]
	v_lshl_or_b32 v82, v66, 11, v80
	ds_store_b128 v76, v[83:86] offset:1024
	s_waitcnt lgkmcnt(0)
	s_barrier
	buffer_gl0_inv
	ds_load_b128 v[69:72], v82
	ds_load_b128 v[83:86], v82 offset:16
	s_waitcnt lgkmcnt(1)
	v_lshrrev_b32_e32 v66, 16, v69
	s_waitcnt lgkmcnt(0)
	v_lshrrev_b32_e32 v91, 16, v83
	v_lshlrev_b32_e32 v78, 2, v74
	v_lshrrev_b32_e32 v95, 16, v70
	v_lshrrev_b32_e32 v98, 16, v84
	;; [unrolled: 1-line block ×4, first 2 shown]
	v_cmp_eq_u32_e32 vcc_lo, 1, v78
	v_lshrrev_b32_e32 v97, 16, v72
	v_lshrrev_b32_e32 v100, 16, v86
	v_cndmask_b32_e32 v87, v83, v91, vcc_lo
	v_or_b32_e32 v79, 1, v78
	v_cndmask_b32_e32 v81, v69, v66, vcc_lo
	v_cmp_eq_u32_e64 s4, 2, v78
	v_cmp_eq_u32_e64 s7, 3, v78
	;; [unrolled: 1-line block ×5, first 2 shown]
	v_cndmask_b32_e64 v81, v81, v70, s4
	v_cndmask_b32_e64 v87, v87, v84, s4
	v_cmp_eq_u32_e64 s8, 3, v79
	v_cndmask_b32_e64 v88, v69, v66, s3
	v_or_b32_e32 v77, 2, v78
	v_cndmask_b32_e64 v81, v81, v95, s7
	v_cndmask_b32_e64 v87, v87, v98, s7
	;; [unrolled: 1-line block ×4, first 2 shown]
	v_cmp_eq_u32_e64 s10, 5, v78
	v_cndmask_b32_e64 v81, v81, v71, s9
	v_cndmask_b32_e64 v87, v87, v85, s9
	v_cmp_eq_u32_e64 s11, 4, v79
	v_cndmask_b32_e64 v88, v88, v95, s8
	v_cmp_eq_u32_e64 s5, 1, v77
	v_cndmask_b32_e64 v89, v89, v84, s6
	v_cndmask_b32_e64 v81, v81, v96, s10
	v_cmp_eq_u32_e64 s12, 6, v78
	v_cndmask_b32_e64 v88, v88, v71, s11
	v_cndmask_b32_e64 v87, v87, v99, s10
	v_cmp_eq_u32_e64 s13, 5, v79
	v_cndmask_b32_e64 v90, v69, v66, s5
	v_cndmask_b32_e64 v89, v89, v98, s8
	v_cndmask_b32_e64 v81, v81, v72, s12
	v_cmp_eq_u32_e64 s15, 7, v78
	v_cndmask_b32_e64 v88, v88, v96, s13
	v_cndmask_b32_e64 v87, v87, v86, s12
	v_cmp_eq_u32_e64 s16, 6, v79
	v_cmp_eq_u32_e64 s17, 2, v77
	v_cndmask_b32_e64 v89, v89, v85, s11
	v_cndmask_b32_e64 v101, v81, v97, s15
	;; [unrolled: 1-line block ×6, first 2 shown]
	v_cmp_eq_u32_e64 s18, 7, v79
	v_cmp_eq_u32_e64 s19, 3, v77
	;; [unrolled: 1-line block ×4, first 2 shown]
	v_cndmask_b32_e64 v87, v87, v84, s17
	v_cndmask_b32_e64 v103, v88, v97, s18
	;; [unrolled: 1-line block ×4, first 2 shown]
	v_or_b32_e32 v81, 3, v78
	v_cndmask_b32_e64 v93, v87, v98, s19
	v_cmp_eq_u32_e64 s24, 6, v77
	v_cndmask_b32_e64 v104, v88, v86, s16
	v_cndmask_b32_e64 v92, v89, v71, s20
	v_cmp_eq_u32_e64 s21, 1, v81
	ds_load_b128 v[87:90], v82 offset:1024
	v_cmp_eq_u32_e64 s23, 2, v81
	v_cmp_eq_u32_e64 s25, 3, v81
	v_cndmask_b32_e64 v105, v92, v96, s22
	v_cndmask_b32_e64 v66, v69, v66, s21
	v_cndmask_b32_e64 v69, v93, v85, s20
	v_cndmask_b32_e64 v83, v83, v91, s21
	ds_load_b128 v[91:94], v82 offset:1040
	v_cmp_eq_u32_e64 s26, 4, v81
	v_cndmask_b32_e64 v66, v66, v70, s23
	v_cmp_eq_u32_e64 s27, 7, v77
	v_cndmask_b32_e64 v70, v83, v84, s23
	v_cndmask_b32_e64 v84, v105, v72, s24
	v_cmp_eq_u32_e64 s28, 5, v81
	v_cndmask_b32_e64 v66, v66, v95, s25
	v_cmp_eq_u32_e64 s29, 6, v81
	v_cndmask_b32_e64 v70, v70, v98, s25
	v_cndmask_b32_e64 v69, v69, v99, s22
	;; [unrolled: 1-line block ×4, first 2 shown]
	s_waitcnt lgkmcnt(1)
	v_lshrrev_b32_e32 v95, 16, v87
	v_cndmask_b32_e64 v70, v70, v85, s26
	v_cndmask_b32_e64 v71, v84, v97, s27
	;; [unrolled: 1-line block ×4, first 2 shown]
	v_cndmask_b32_e32 v84, v87, v95, vcc_lo
	v_cndmask_b32_e64 v70, v70, v99, s28
	s_waitcnt lgkmcnt(0)
	v_lshrrev_b32_e32 v85, 16, v91
	v_lshrrev_b32_e32 v96, 16, v88
	v_cndmask_b32_e64 v98, v87, v95, s3
	v_cndmask_b32_e64 v84, v84, v88, s4
	;; [unrolled: 1-line block ×3, first 2 shown]
	v_cndmask_b32_e32 v99, v91, v85, vcc_lo
	v_cmp_eq_u32_e32 vcc_lo, 7, v81
	v_cndmask_b32_e64 v66, v66, v72, s29
	v_cndmask_b32_e64 v72, v84, v96, s7
	;; [unrolled: 1-line block ×3, first 2 shown]
	v_lshrrev_b32_e32 v98, 16, v92
	v_cndmask_b32_e32 v70, v70, v100, vcc_lo
	v_cndmask_b32_e64 v86, v99, v92, s4
	v_cndmask_b32_e64 v69, v69, v100, s27
	v_lshrrev_b32_e32 v100, 16, v93
	v_cndmask_b32_e64 v72, v72, v89, s9
	v_lshrrev_b32_e32 v99, 16, v89
	v_cndmask_b32_e64 v86, v86, v98, s7
	v_perm_b32 v71, v69, v71, 0x5040100
	v_cndmask_b32_e64 v84, v84, v96, s8
	s_delay_alu instid0(VALU_DEP_3) | instskip(NEXT) | instid1(VALU_DEP_2)
	v_cndmask_b32_e64 v86, v86, v93, s9
	v_cndmask_b32_e64 v84, v84, v89, s11
	s_delay_alu instid0(VALU_DEP_2) | instskip(NEXT) | instid1(VALU_DEP_1)
	v_cndmask_b32_e64 v86, v86, v100, s10
	v_cndmask_b32_e64 v69, v86, v94, s12
	;; [unrolled: 1-line block ×5, first 2 shown]
	s_delay_alu instid0(VALU_DEP_3) | instskip(NEXT) | instid1(VALU_DEP_3)
	v_cndmask_b32_e64 v86, v86, v88, s17
	v_cndmask_b32_e64 v87, v87, v88, s23
	s_delay_alu instid0(VALU_DEP_3) | instskip(NEXT) | instid1(VALU_DEP_3)
	v_cndmask_b32_e64 v88, v95, v92, s23
	v_cndmask_b32_e64 v86, v86, v96, s19
	;; [unrolled: 3-line block ×7, first 2 shown]
	s_delay_alu instid0(VALU_DEP_3) | instskip(SKIP_2) | instid1(VALU_DEP_2)
	v_cndmask_b32_e64 v88, v88, v94, s29
	v_cndmask_b32_e32 v66, v66, v97, vcc_lo
	v_cndmask_b32_e64 v97, v72, v99, s10
	v_perm_b32 v72, v70, v66, 0x5040100
	v_perm_b32 v70, v83, v103, 0x5040100
	v_cndmask_b32_e64 v103, v91, v85, s5
	v_cndmask_b32_e64 v85, v91, v85, s3
	;; [unrolled: 1-line block ×4, first 2 shown]
	v_lshrrev_b32_e32 v97, 16, v90
	v_cndmask_b32_e64 v91, v103, v92, s17
	v_cndmask_b32_e64 v85, v85, v92, s6
	;; [unrolled: 1-line block ×3, first 2 shown]
	s_mov_b32 s3, exec_lo
	v_cndmask_b32_e64 v83, v84, v97, s15
	v_cndmask_b32_e64 v91, v91, v98, s19
	;; [unrolled: 1-line block ×3, first 2 shown]
	v_lshrrev_b32_e32 v84, 16, v94
	v_cndmask_b32_e64 v66, v66, v97, s18
	v_cndmask_b32_e64 v90, v86, v97, s27
	;; [unrolled: 1-line block ×4, first 2 shown]
	v_dual_cndmask_b32 v86, v87, v97 :: v_dual_cndmask_b32 v87, v88, v84
	v_cndmask_b32_e64 v91, v69, v84, s15
	s_delay_alu instid0(VALU_DEP_4) | instskip(NEXT) | instid1(VALU_DEP_4)
	v_cndmask_b32_e64 v89, v89, v100, s22
	v_cndmask_b32_e64 v85, v85, v100, s13
	v_perm_b32 v69, v102, v101, 0x5040100
	v_perm_b32 v86, v87, v86, 0x5040100
	;; [unrolled: 1-line block ×3, first 2 shown]
	v_cndmask_b32_e64 v89, v89, v94, s24
	v_cndmask_b32_e64 v85, v85, v94, s16
	s_mul_i32 s8, s35, 13
	s_delay_alu instid0(VALU_DEP_2) | instskip(NEXT) | instid1(VALU_DEP_2)
	v_cndmask_b32_e64 v88, v89, v84, s27
	v_cndmask_b32_e64 v89, v85, v84, s18
	s_delay_alu instid0(VALU_DEP_2) | instskip(NEXT) | instid1(VALU_DEP_2)
	v_perm_b32 v85, v88, v90, 0x5040100
	v_perm_b32 v84, v89, v66, 0x5040100
	ds_store_b128 v76, v[69:72]
	ds_store_b128 v76, v[83:86] offset:1024
	v_cmpx_gt_u32_e32 13, v0
	s_cbranch_execz .LBB1578_78
; %bb.77:
	s_mul_i32 s4, s8, s30
	s_delay_alu instid0(SALU_CYCLE_1) | instskip(SKIP_1) | instid1(VALU_DEP_1)
	v_add3_u32 v69, s4, s31, v65
	s_load_b128 s[4:7], s[0:1], 0x58
	v_mad_u64_u32 v[65:66], null, v69, s34, s[14:15]
	s_delay_alu instid0(VALU_DEP_1) | instskip(NEXT) | instid1(VALU_DEP_1)
	v_ashrrev_i32_e32 v66, 31, v65
	v_lshlrev_b64 v[65:66], 2, v[65:66]
	s_waitcnt lgkmcnt(0)
	s_delay_alu instid0(VALU_DEP_1) | instskip(NEXT) | instid1(VALU_DEP_2)
	v_add_co_u32 v69, vcc_lo, s6, v65
	v_add_co_ci_u32_e32 v70, vcc_lo, s7, v66, vcc_lo
	v_add_co_u32 v65, vcc_lo, s4, v65
	v_add_co_ci_u32_e32 v66, vcc_lo, s5, v66, vcc_lo
	global_store_b32 v[69:70], v67, off
	global_store_b32 v[65:66], v68, off
.LBB1578_78:
	s_or_b32 exec_lo, exec_lo, s3
	s_waitcnt lgkmcnt(0)
	s_waitcnt_vscnt null, 0x0
	s_barrier
	buffer_gl0_inv
	ds_load_b128 v[83:86], v80
	ds_load_b128 v[87:90], v80 offset:16
	ds_load_b128 v[95:98], v80 offset:2064
	;; [unrolled: 1-line block ×3, first 2 shown]
	v_mov_b32_e32 v65, 0
	ds_load_b128 v[103:106], v80 offset:4112
	ds_load_b128 v[99:102], v80 offset:4096
	;; [unrolled: 1-line block ×4, first 2 shown]
	v_mov_b32_e32 v66, v65
	v_mov_b32_e32 v67, v65
	;; [unrolled: 1-line block ×7, first 2 shown]
	s_waitcnt lgkmcnt(6)
	s_delay_alu instid0(VALU_DEP_1)
	v_wmma_f32_16x16x16_bf16 v[65:72], v[49:56], v[83:90], v[65:72]
	ds_load_b128 v[53:56], v80 offset:8208
	ds_load_b128 v[49:52], v80 offset:8192
	s_waitcnt lgkmcnt(6)
	v_wmma_f32_16x16x16_bf16 v[65:72], v[41:48], v[91:98], v[65:72]
	ds_load_b128 v[45:48], v80 offset:10256
	ds_load_b128 v[41:44], v80 offset:10240
	s_waitcnt lgkmcnt(6)
	v_wmma_f32_16x16x16_bf16 v[65:72], v[33:40], v[99:106], v[65:72]
	ds_load_b128 v[37:40], v80 offset:12304
	ds_load_b128 v[33:36], v80 offset:12288
	s_waitcnt lgkmcnt(6)
	v_wmma_f32_16x16x16_bf16 v[65:72], v[25:32], v[107:114], v[65:72]
	ds_load_b128 v[29:32], v80 offset:14352
	ds_load_b128 v[25:28], v80 offset:14336
	s_waitcnt lgkmcnt(6)
	v_wmma_f32_16x16x16_bf16 v[65:72], v[1:8], v[49:56], v[65:72]
	s_waitcnt lgkmcnt(4)
	s_delay_alu instid0(VALU_DEP_1) | instskip(SKIP_1) | instid1(VALU_DEP_1)
	v_wmma_f32_16x16x16_bf16 v[65:72], v[9:16], v[41:48], v[65:72]
	s_waitcnt lgkmcnt(2)
	v_wmma_f32_16x16x16_bf16 v[65:72], v[17:24], v[33:40], v[65:72]
	s_waitcnt lgkmcnt(0)
	s_delay_alu instid0(VALU_DEP_1) | instskip(NEXT) | instid1(VALU_DEP_1)
	v_wmma_f32_16x16x16_bf16 v[65:72], v[57:64], v[25:32], v[65:72]
	v_and_b32_e32 v1, 0x7f800000, v65
	s_delay_alu instid0(VALU_DEP_1) | instskip(SKIP_1) | instid1(SALU_CYCLE_1)
	v_cmp_ne_u32_e32 vcc_lo, 0x7f800000, v1
                                        ; implicit-def: $vgpr1
	s_and_saveexec_b32 s3, vcc_lo
	s_xor_b32 s3, exec_lo, s3
; %bb.79:
	v_bfe_u32 v1, v65, 16, 1
	s_delay_alu instid0(VALU_DEP_1)
	v_add3_u32 v1, v65, v1, 0x7fff
; %bb.80:
	s_and_not1_saveexec_b32 s3, s3
; %bb.81:
	v_and_b32_e32 v1, 0xffff, v65
	v_or_b32_e32 v2, 0x10000, v65
	s_delay_alu instid0(VALU_DEP_2) | instskip(NEXT) | instid1(VALU_DEP_2)
	v_cmp_eq_u32_e32 vcc_lo, 0, v1
	v_cndmask_b32_e32 v1, v2, v65, vcc_lo
; %bb.82:
	s_or_b32 exec_lo, exec_lo, s3
	v_and_b32_e32 v2, 0x7f800000, v66
	s_delay_alu instid0(VALU_DEP_1) | instskip(SKIP_1) | instid1(SALU_CYCLE_1)
	v_cmp_ne_u32_e32 vcc_lo, 0x7f800000, v2
                                        ; implicit-def: $vgpr2
	s_and_saveexec_b32 s3, vcc_lo
	s_xor_b32 s3, exec_lo, s3
; %bb.83:
	v_bfe_u32 v2, v66, 16, 1
	s_delay_alu instid0(VALU_DEP_1)
	v_add3_u32 v2, v66, v2, 0x7fff
; %bb.84:
	s_and_not1_saveexec_b32 s3, s3
; %bb.85:
	v_and_b32_e32 v2, 0xffff, v66
	v_or_b32_e32 v3, 0x10000, v66
	s_delay_alu instid0(VALU_DEP_2) | instskip(NEXT) | instid1(VALU_DEP_2)
	v_cmp_eq_u32_e32 vcc_lo, 0, v2
	v_cndmask_b32_e32 v2, v3, v66, vcc_lo
; %bb.86:
	s_or_b32 exec_lo, exec_lo, s3
	v_and_b32_e32 v3, 0x7f800000, v67
	s_delay_alu instid0(VALU_DEP_1) | instskip(SKIP_1) | instid1(SALU_CYCLE_1)
	v_cmp_ne_u32_e32 vcc_lo, 0x7f800000, v3
                                        ; implicit-def: $vgpr3
	s_and_saveexec_b32 s3, vcc_lo
	s_xor_b32 s3, exec_lo, s3
; %bb.87:
	v_bfe_u32 v3, v67, 16, 1
	s_delay_alu instid0(VALU_DEP_1)
	v_add3_u32 v3, v67, v3, 0x7fff
; %bb.88:
	s_and_not1_saveexec_b32 s3, s3
; %bb.89:
	v_and_b32_e32 v3, 0xffff, v67
	v_or_b32_e32 v4, 0x10000, v67
	s_delay_alu instid0(VALU_DEP_2) | instskip(NEXT) | instid1(VALU_DEP_2)
	v_cmp_eq_u32_e32 vcc_lo, 0, v3
	v_cndmask_b32_e32 v3, v4, v67, vcc_lo
; %bb.90:
	s_or_b32 exec_lo, exec_lo, s3
	v_and_b32_e32 v4, 0x7f800000, v68
	s_delay_alu instid0(VALU_DEP_1) | instskip(SKIP_1) | instid1(SALU_CYCLE_1)
	v_cmp_ne_u32_e32 vcc_lo, 0x7f800000, v4
                                        ; implicit-def: $vgpr4
	s_and_saveexec_b32 s3, vcc_lo
	s_xor_b32 s3, exec_lo, s3
; %bb.91:
	v_bfe_u32 v4, v68, 16, 1
	s_delay_alu instid0(VALU_DEP_1)
	v_add3_u32 v4, v68, v4, 0x7fff
; %bb.92:
	s_and_not1_saveexec_b32 s3, s3
; %bb.93:
	v_and_b32_e32 v4, 0xffff, v68
	v_or_b32_e32 v5, 0x10000, v68
	s_delay_alu instid0(VALU_DEP_2) | instskip(NEXT) | instid1(VALU_DEP_2)
	v_cmp_eq_u32_e32 vcc_lo, 0, v4
	v_cndmask_b32_e32 v4, v5, v68, vcc_lo
; %bb.94:
	s_or_b32 exec_lo, exec_lo, s3
	v_and_b32_e32 v5, 0x7f800000, v69
	s_delay_alu instid0(VALU_DEP_1) | instskip(SKIP_1) | instid1(SALU_CYCLE_1)
	v_cmp_ne_u32_e32 vcc_lo, 0x7f800000, v5
                                        ; implicit-def: $vgpr5
	s_and_saveexec_b32 s3, vcc_lo
	s_xor_b32 s3, exec_lo, s3
; %bb.95:
	v_bfe_u32 v5, v69, 16, 1
	s_delay_alu instid0(VALU_DEP_1)
	v_add3_u32 v5, v69, v5, 0x7fff
; %bb.96:
	s_and_not1_saveexec_b32 s3, s3
; %bb.97:
	v_and_b32_e32 v5, 0xffff, v69
	v_or_b32_e32 v6, 0x10000, v69
	s_delay_alu instid0(VALU_DEP_2) | instskip(NEXT) | instid1(VALU_DEP_2)
	v_cmp_eq_u32_e32 vcc_lo, 0, v5
	v_cndmask_b32_e32 v5, v6, v69, vcc_lo
; %bb.98:
	s_or_b32 exec_lo, exec_lo, s3
	v_and_b32_e32 v6, 0x7f800000, v70
	s_delay_alu instid0(VALU_DEP_1) | instskip(SKIP_1) | instid1(SALU_CYCLE_1)
	v_cmp_ne_u32_e32 vcc_lo, 0x7f800000, v6
                                        ; implicit-def: $vgpr6
	s_and_saveexec_b32 s3, vcc_lo
	s_xor_b32 s3, exec_lo, s3
; %bb.99:
	v_bfe_u32 v6, v70, 16, 1
	s_delay_alu instid0(VALU_DEP_1)
	v_add3_u32 v6, v70, v6, 0x7fff
; %bb.100:
	s_and_not1_saveexec_b32 s3, s3
; %bb.101:
	v_and_b32_e32 v6, 0xffff, v70
	v_or_b32_e32 v7, 0x10000, v70
	s_delay_alu instid0(VALU_DEP_2) | instskip(NEXT) | instid1(VALU_DEP_2)
	v_cmp_eq_u32_e32 vcc_lo, 0, v6
	v_cndmask_b32_e32 v6, v7, v70, vcc_lo
; %bb.102:
	s_or_b32 exec_lo, exec_lo, s3
	v_and_b32_e32 v7, 0x7f800000, v71
	s_delay_alu instid0(VALU_DEP_1) | instskip(SKIP_1) | instid1(SALU_CYCLE_1)
	v_cmp_ne_u32_e32 vcc_lo, 0x7f800000, v7
                                        ; implicit-def: $vgpr7
	s_and_saveexec_b32 s3, vcc_lo
	s_xor_b32 s3, exec_lo, s3
; %bb.103:
	v_bfe_u32 v7, v71, 16, 1
	s_delay_alu instid0(VALU_DEP_1)
	v_add3_u32 v7, v71, v7, 0x7fff
; %bb.104:
	s_and_not1_saveexec_b32 s3, s3
; %bb.105:
	v_and_b32_e32 v7, 0xffff, v71
	v_or_b32_e32 v8, 0x10000, v71
	s_delay_alu instid0(VALU_DEP_2) | instskip(NEXT) | instid1(VALU_DEP_2)
	v_cmp_eq_u32_e32 vcc_lo, 0, v7
	v_cndmask_b32_e32 v7, v8, v71, vcc_lo
; %bb.106:
	s_or_b32 exec_lo, exec_lo, s3
	v_and_b32_e32 v8, 0x7f800000, v72
	s_delay_alu instid0(VALU_DEP_1) | instskip(SKIP_1) | instid1(SALU_CYCLE_1)
	v_cmp_ne_u32_e32 vcc_lo, 0x7f800000, v8
                                        ; implicit-def: $vgpr8
	s_and_saveexec_b32 s3, vcc_lo
	s_xor_b32 s3, exec_lo, s3
; %bb.107:
	v_bfe_u32 v8, v72, 16, 1
	s_delay_alu instid0(VALU_DEP_1)
	v_add3_u32 v8, v72, v8, 0x7fff
                                        ; implicit-def: $vgpr65_vgpr66_vgpr67_vgpr68_vgpr69_vgpr70_vgpr71_vgpr72
; %bb.108:
	s_and_not1_saveexec_b32 s3, s3
; %bb.109:
	v_and_b32_e32 v8, 0xffff, v72
	v_or_b32_e32 v9, 0x10000, v72
	s_delay_alu instid0(VALU_DEP_2) | instskip(NEXT) | instid1(VALU_DEP_2)
	v_cmp_eq_u32_e32 vcc_lo, 0, v8
	v_cndmask_b32_e32 v8, v9, v72, vcc_lo
; %bb.110:
	s_or_b32 exec_lo, exec_lo, s3
	s_delay_alu instid0(VALU_DEP_1)
	v_perm_b32 v7, v8, v7, 0x7060302
	v_perm_b32 v6, v6, v5, 0x7060302
	;; [unrolled: 1-line block ×4, first 2 shown]
	s_barrier
	buffer_gl0_inv
	v_cmp_eq_u32_e32 vcc_lo, 1, v78
	ds_store_b128 v76, v[4:7]
	s_waitcnt lgkmcnt(0)
	s_barrier
	buffer_gl0_inv
	ds_load_b128 v[1:4], v82
	ds_load_b128 v[5:8], v82 offset:16
	v_cmp_eq_u32_e64 s3, 1, v79
	v_cmp_eq_u32_e64 s4, 2, v78
	;; [unrolled: 1-line block ×5, first 2 shown]
	s_waitcnt lgkmcnt(1)
	v_lshrrev_b32_e32 v9, 16, v1
	s_waitcnt lgkmcnt(0)
	v_lshrrev_b32_e32 v13, 16, v5
	v_lshrrev_b32_e32 v10, 16, v2
	;; [unrolled: 1-line block ×4, first 2 shown]
	v_cndmask_b32_e64 v19, v1, v9, s3
	v_cndmask_b32_e32 v18, v5, v13, vcc_lo
	v_cndmask_b32_e64 v20, v5, v13, s3
	v_cndmask_b32_e32 v17, v1, v9, vcc_lo
	v_cmp_eq_u32_e32 vcc_lo, 2, v79
	v_lshrrev_b32_e32 v15, 16, v7
	v_cmp_eq_u32_e64 s3, 1, v77
	v_lshrrev_b32_e32 v12, 16, v4
	v_lshrrev_b32_e32 v16, 16, v8
	v_cndmask_b32_e32 v20, v20, v6, vcc_lo
	v_cndmask_b32_e64 v17, v17, v2, s4
	v_cndmask_b32_e32 v19, v19, v2, vcc_lo
	v_cndmask_b32_e64 v18, v18, v6, s4
	v_cmp_eq_u32_e32 vcc_lo, 4, v78
	v_cmp_eq_u32_e64 s4, 3, v79
	v_cndmask_b32_e64 v17, v17, v10, s5
	v_cndmask_b32_e64 v21, v1, v9, s3
	;; [unrolled: 1-line block ×5, first 2 shown]
	v_cndmask_b32_e32 v17, v17, v3, vcc_lo
	v_cndmask_b32_e64 v20, v20, v14, s4
	v_cndmask_b32_e32 v18, v18, v7, vcc_lo
	v_cmp_eq_u32_e32 vcc_lo, 4, v79
	v_cmp_eq_u32_e64 s4, 5, v79
	v_cmp_eq_u32_e64 s3, 2, v81
	v_cndmask_b32_e64 v21, v21, v2, s7
	v_cmp_eq_u32_e64 s5, 5, v78
	v_cndmask_b32_e32 v19, v19, v3, vcc_lo
	v_cndmask_b32_e32 v20, v20, v7, vcc_lo
	v_cmp_eq_u32_e32 vcc_lo, 6, v79
	s_delay_alu instid0(VALU_DEP_4) | instskip(NEXT) | instid1(VALU_DEP_4)
	v_cndmask_b32_e64 v17, v17, v11, s5
	v_cndmask_b32_e64 v19, v19, v11, s4
	s_delay_alu instid0(VALU_DEP_4) | instskip(SKIP_1) | instid1(VALU_DEP_3)
	v_cndmask_b32_e64 v20, v20, v15, s4
	v_cmp_eq_u32_e64 s4, 1, v81
	v_cndmask_b32_e32 v19, v19, v4, vcc_lo
	v_cndmask_b32_e64 v18, v18, v15, s5
	s_delay_alu instid0(VALU_DEP_3)
	v_cndmask_b32_e64 v1, v1, v9, s4
	v_cndmask_b32_e64 v5, v5, v13, s4
	v_cmp_eq_u32_e64 s4, 3, v77
	v_cndmask_b32_e64 v13, v22, v6, s7
	v_cmp_eq_u32_e64 s7, 3, v81
	v_cndmask_b32_e64 v1, v1, v2, s3
	v_cndmask_b32_e64 v2, v5, v6, s3
	;; [unrolled: 1-line block ×3, first 2 shown]
	v_cmp_eq_u32_e64 s3, 4, v77
	v_cndmask_b32_e64 v6, v13, v14, s4
	v_cndmask_b32_e64 v1, v1, v10, s7
	v_cmp_eq_u32_e64 s4, 4, v81
	v_cndmask_b32_e64 v2, v2, v14, s7
	v_cndmask_b32_e64 v5, v9, v3, s3
	;; [unrolled: 3-line block ×3, first 2 shown]
	v_cndmask_b32_e64 v2, v2, v7, s4
	v_cmp_eq_u32_e64 s3, 5, v81
	v_cmp_eq_u32_e64 s5, 6, v78
	v_cndmask_b32_e64 v5, v5, v11, s7
	v_cmp_eq_u32_e64 s4, 6, v77
	v_cndmask_b32_e64 v3, v6, v15, s7
	v_cndmask_b32_e64 v1, v1, v11, s3
	v_cmp_eq_u32_e64 s7, 6, v81
	v_cndmask_b32_e64 v2, v2, v15, s3
	v_cndmask_b32_e64 v17, v17, v4, s5
	v_cndmask_b32_e64 v18, v18, v8, s5
	v_cmp_eq_u32_e64 s5, 7, v78
	v_cndmask_b32_e64 v5, v5, v4, s4
	;; [unrolled: 4-line block ×3, first 2 shown]
	v_cmp_eq_u32_e64 s4, 7, v77
	v_cndmask_b32_e32 v4, v20, v8, vcc_lo
	v_cndmask_b32_e64 v17, v17, v12, s5
	v_cndmask_b32_e64 v19, v19, v12, s6
	;; [unrolled: 1-line block ×8, first 2 shown]
	s_mov_b32 s3, exec_lo
	v_perm_b32 v4, v2, v1, 0x5040100
	v_perm_b32 v3, v3, v5, 0x5040100
	;; [unrolled: 1-line block ×4, first 2 shown]
	ds_store_b128 v76, v[1:4]
	s_waitcnt lgkmcnt(0)
	s_barrier
	buffer_gl0_inv
	v_cmpx_gt_u32_e32 32, v0
	s_cbranch_execz .LBB1578_2
; %bb.111:
	s_load_b64 s[4:5], s[0:1], 0x68
	v_lshlrev_b32_e32 v0, 10, v0
	v_lshlrev_b32_e32 v1, 4, v75
	s_lshl_b32 s0, s34, 7
	v_add_nc_u32_e32 v18, s31, v74
	s_mul_i32 s1, s0, s30
	s_delay_alu instid0(VALU_DEP_2) | instskip(SKIP_1) | instid1(VALU_DEP_2)
	v_and_or_b32 v0, 0x3800, v0, v1
	s_mul_i32 s6, s1, s8
	v_mul_lo_u32 v1, v18, s0
	s_ashr_i32 s7, s6, 31
	v_add_nc_u32_e32 v2, 2, v18
	v_lshl_or_b32 v19, v74, 6, v0
	s_lshl_b64 s[6:7], s[6:7], 1
	v_add_nc_u32_e32 v8, 4, v18
	v_add_nc_u32_e32 v15, 6, v18
	v_mul_lo_u32 v7, v2, s0
	ds_load_b128 v[3:6], v19
	v_ashrrev_i32_e32 v2, 31, v1
	v_mul_lo_u32 v11, v8, s0
	s_waitcnt lgkmcnt(0)
	s_add_u32 s1, s4, s6
	s_addc_u32 s3, s5, s7
	s_lshl_b32 s4, s14, 7
	v_lshlrev_b64 v[9:10], 1, v[1:2]
	s_ashr_i32 s5, s4, 31
	v_ashrrev_i32_e32 v8, 31, v7
	s_lshl_b64 s[4:5], s[4:5], 1
	v_ashrrev_i32_e32 v12, 31, v11
	s_add_u32 s1, s1, s4
	s_addc_u32 s3, s3, s5
	v_add_co_u32 v1, s1, s1, v73
	s_delay_alu instid0(VALU_DEP_1) | instskip(SKIP_1) | instid1(VALU_DEP_3)
	v_add_co_ci_u32_e64 v2, null, s3, 0, s1
	v_mul_lo_u32 v15, v15, s0
	v_add_co_u32 v13, vcc_lo, v1, v9
	s_delay_alu instid0(VALU_DEP_3)
	v_add_co_ci_u32_e32 v14, vcc_lo, v2, v10, vcc_lo
	v_lshlrev_b64 v[16:17], 1, v[7:8]
	ds_load_b128 v[7:10], v19 offset:128
	global_store_b128 v[13:14], v[3:6], off
	v_add_nc_u32_e32 v5, 8, v18
	v_lshlrev_b64 v[3:4], 1, v[11:12]
	v_add_co_u32 v23, vcc_lo, v1, v16
	v_ashrrev_i32_e32 v16, 31, v15
	s_delay_alu instid0(VALU_DEP_4) | instskip(SKIP_3) | instid1(VALU_DEP_3)
	v_mul_lo_u32 v25, v5, s0
	v_add_nc_u32_e32 v5, 10, v18
	v_add_co_ci_u32_e32 v24, vcc_lo, v2, v17, vcc_lo
	v_add_co_u32 v27, vcc_lo, v1, v3
	v_mul_lo_u32 v29, v5, s0
	v_add_co_ci_u32_e32 v28, vcc_lo, v2, v4, vcc_lo
	v_lshlrev_b64 v[31:32], 1, v[15:16]
	ds_load_b128 v[3:6], v19 offset:256
	ds_load_b128 v[11:14], v19 offset:384
	;; [unrolled: 1-line block ×4, first 2 shown]
	v_ashrrev_i32_e32 v26, 31, v25
	v_ashrrev_i32_e32 v30, 31, v29
	v_add_co_u32 v31, vcc_lo, v1, v31
	s_delay_alu instid0(VALU_DEP_3) | instskip(SKIP_1) | instid1(VALU_DEP_4)
	v_lshlrev_b64 v[25:26], 1, v[25:26]
	v_add_co_ci_u32_e32 v32, vcc_lo, v2, v32, vcc_lo
	v_lshlrev_b64 v[29:30], 1, v[29:30]
	s_delay_alu instid0(VALU_DEP_3) | instskip(NEXT) | instid1(VALU_DEP_4)
	v_add_co_u32 v25, vcc_lo, v1, v25
	v_add_co_ci_u32_e32 v26, vcc_lo, v2, v26, vcc_lo
	s_delay_alu instid0(VALU_DEP_3) | instskip(NEXT) | instid1(VALU_DEP_4)
	v_add_co_u32 v29, vcc_lo, v1, v29
	v_add_co_ci_u32_e32 v30, vcc_lo, v2, v30, vcc_lo
	s_waitcnt lgkmcnt(4)
	global_store_b128 v[23:24], v[7:10], off
	s_waitcnt lgkmcnt(3)
	global_store_b128 v[27:28], v[3:6], off
	;; [unrolled: 2-line block ×5, first 2 shown]
	s_and_b32 exec_lo, exec_lo, s2
	s_cbranch_execz .LBB1578_2
; %bb.112:
	ds_load_b128 v[3:6], v0 offset:768
	s_add_i32 s1, s31, 12
	s_delay_alu instid0(SALU_CYCLE_1) | instskip(NEXT) | instid1(SALU_CYCLE_1)
	s_mul_i32 s0, s1, s0
	s_ashr_i32 s1, s0, 31
	s_delay_alu instid0(SALU_CYCLE_1) | instskip(NEXT) | instid1(SALU_CYCLE_1)
	s_lshl_b64 s[0:1], s[0:1], 1
	v_add_co_u32 v0, vcc_lo, v1, s0
	v_add_co_ci_u32_e32 v1, vcc_lo, s1, v2, vcc_lo
	s_waitcnt lgkmcnt(0)
	global_store_b128 v[0:1], v[3:6], off
	s_nop 0
	s_sendmsg sendmsg(MSG_DEALLOC_VGPRS)
	s_endpgm
	.section	.rodata,"a",@progbits
	.p2align	6, 0x0
	.amdhsa_kernel _Z39paged_attention_ll4mi_QKV_mfma16_kernelI14__hip_bfloat16hLN4vllm18Fp8KVCacheDataTypeE1ES0_Li16ELi128ELi256ELb0ELi13EL8MFMAType1EEvPKT_PKT0_S9_ifPKiSB_SB_iPKfiiiPfSE_PS4_PT2_iSD_SD_
		.amdhsa_group_segment_fixed_size 17472
		.amdhsa_private_segment_fixed_size 0
		.amdhsa_kernarg_size 400
		.amdhsa_user_sgpr_count 13
		.amdhsa_user_sgpr_dispatch_ptr 0
		.amdhsa_user_sgpr_queue_ptr 0
		.amdhsa_user_sgpr_kernarg_segment_ptr 1
		.amdhsa_user_sgpr_dispatch_id 0
		.amdhsa_user_sgpr_private_segment_size 0
		.amdhsa_wavefront_size32 1
		.amdhsa_uses_dynamic_stack 0
		.amdhsa_enable_private_segment 0
		.amdhsa_system_sgpr_workgroup_id_x 1
		.amdhsa_system_sgpr_workgroup_id_y 1
		.amdhsa_system_sgpr_workgroup_id_z 1
		.amdhsa_system_sgpr_workgroup_info 0
		.amdhsa_system_vgpr_workitem_id 0
		.amdhsa_next_free_vgpr 140
		.amdhsa_next_free_sgpr 36
		.amdhsa_reserve_vcc 1
		.amdhsa_float_round_mode_32 0
		.amdhsa_float_round_mode_16_64 0
		.amdhsa_float_denorm_mode_32 3
		.amdhsa_float_denorm_mode_16_64 3
		.amdhsa_dx10_clamp 1
		.amdhsa_ieee_mode 1
		.amdhsa_fp16_overflow 0
		.amdhsa_workgroup_processor_mode 1
		.amdhsa_memory_ordered 1
		.amdhsa_forward_progress 0
		.amdhsa_shared_vgpr_count 0
		.amdhsa_exception_fp_ieee_invalid_op 0
		.amdhsa_exception_fp_denorm_src 0
		.amdhsa_exception_fp_ieee_div_zero 0
		.amdhsa_exception_fp_ieee_overflow 0
		.amdhsa_exception_fp_ieee_underflow 0
		.amdhsa_exception_fp_ieee_inexact 0
		.amdhsa_exception_int_div_zero 0
	.end_amdhsa_kernel
	.section	.text._Z39paged_attention_ll4mi_QKV_mfma16_kernelI14__hip_bfloat16hLN4vllm18Fp8KVCacheDataTypeE1ES0_Li16ELi128ELi256ELb0ELi13EL8MFMAType1EEvPKT_PKT0_S9_ifPKiSB_SB_iPKfiiiPfSE_PS4_PT2_iSD_SD_,"axG",@progbits,_Z39paged_attention_ll4mi_QKV_mfma16_kernelI14__hip_bfloat16hLN4vllm18Fp8KVCacheDataTypeE1ES0_Li16ELi128ELi256ELb0ELi13EL8MFMAType1EEvPKT_PKT0_S9_ifPKiSB_SB_iPKfiiiPfSE_PS4_PT2_iSD_SD_,comdat
.Lfunc_end1578:
	.size	_Z39paged_attention_ll4mi_QKV_mfma16_kernelI14__hip_bfloat16hLN4vllm18Fp8KVCacheDataTypeE1ES0_Li16ELi128ELi256ELb0ELi13EL8MFMAType1EEvPKT_PKT0_S9_ifPKiSB_SB_iPKfiiiPfSE_PS4_PT2_iSD_SD_, .Lfunc_end1578-_Z39paged_attention_ll4mi_QKV_mfma16_kernelI14__hip_bfloat16hLN4vllm18Fp8KVCacheDataTypeE1ES0_Li16ELi128ELi256ELb0ELi13EL8MFMAType1EEvPKT_PKT0_S9_ifPKiSB_SB_iPKfiiiPfSE_PS4_PT2_iSD_SD_
                                        ; -- End function
	.section	.AMDGPU.csdata,"",@progbits
; Kernel info:
; codeLenInByte = 9056
; NumSgprs: 38
; NumVgprs: 140
; ScratchSize: 0
; MemoryBound: 0
; FloatMode: 240
; IeeeMode: 1
; LDSByteSize: 17472 bytes/workgroup (compile time only)
; SGPRBlocks: 4
; VGPRBlocks: 17
; NumSGPRsForWavesPerEU: 38
; NumVGPRsForWavesPerEU: 140
; Occupancy: 10
; WaveLimiterHint : 1
; COMPUTE_PGM_RSRC2:SCRATCH_EN: 0
; COMPUTE_PGM_RSRC2:USER_SGPR: 13
; COMPUTE_PGM_RSRC2:TRAP_HANDLER: 0
; COMPUTE_PGM_RSRC2:TGID_X_EN: 1
; COMPUTE_PGM_RSRC2:TGID_Y_EN: 1
; COMPUTE_PGM_RSRC2:TGID_Z_EN: 1
; COMPUTE_PGM_RSRC2:TIDIG_COMP_CNT: 0
	.section	.text._Z39paged_attention_ll4mi_QKV_mfma16_kernelI14__hip_bfloat16hLN4vllm18Fp8KVCacheDataTypeE1ES0_Li16ELi128ELi256ELb0ELi14EL8MFMAType1EEvPKT_PKT0_S9_ifPKiSB_SB_iPKfiiiPfSE_PS4_PT2_iSD_SD_,"axG",@progbits,_Z39paged_attention_ll4mi_QKV_mfma16_kernelI14__hip_bfloat16hLN4vllm18Fp8KVCacheDataTypeE1ES0_Li16ELi128ELi256ELb0ELi14EL8MFMAType1EEvPKT_PKT0_S9_ifPKiSB_SB_iPKfiiiPfSE_PS4_PT2_iSD_SD_,comdat
	.protected	_Z39paged_attention_ll4mi_QKV_mfma16_kernelI14__hip_bfloat16hLN4vllm18Fp8KVCacheDataTypeE1ES0_Li16ELi128ELi256ELb0ELi14EL8MFMAType1EEvPKT_PKT0_S9_ifPKiSB_SB_iPKfiiiPfSE_PS4_PT2_iSD_SD_ ; -- Begin function _Z39paged_attention_ll4mi_QKV_mfma16_kernelI14__hip_bfloat16hLN4vllm18Fp8KVCacheDataTypeE1ES0_Li16ELi128ELi256ELb0ELi14EL8MFMAType1EEvPKT_PKT0_S9_ifPKiSB_SB_iPKfiiiPfSE_PS4_PT2_iSD_SD_
	.globl	_Z39paged_attention_ll4mi_QKV_mfma16_kernelI14__hip_bfloat16hLN4vllm18Fp8KVCacheDataTypeE1ES0_Li16ELi128ELi256ELb0ELi14EL8MFMAType1EEvPKT_PKT0_S9_ifPKiSB_SB_iPKfiiiPfSE_PS4_PT2_iSD_SD_
	.p2align	8
	.type	_Z39paged_attention_ll4mi_QKV_mfma16_kernelI14__hip_bfloat16hLN4vllm18Fp8KVCacheDataTypeE1ES0_Li16ELi128ELi256ELb0ELi14EL8MFMAType1EEvPKT_PKT0_S9_ifPKiSB_SB_iPKfiiiPfSE_PS4_PT2_iSD_SD_,@function
_Z39paged_attention_ll4mi_QKV_mfma16_kernelI14__hip_bfloat16hLN4vllm18Fp8KVCacheDataTypeE1ES0_Li16ELi128ELi256ELb0ELi14EL8MFMAType1EEvPKT_PKT0_S9_ifPKiSB_SB_iPKfiiiPfSE_PS4_PT2_iSD_SD_: ; @_Z39paged_attention_ll4mi_QKV_mfma16_kernelI14__hip_bfloat16hLN4vllm18Fp8KVCacheDataTypeE1ES0_Li16ELi128ELi256ELb0ELi14EL8MFMAType1EEvPKT_PKT0_S9_ifPKiSB_SB_iPKfiiiPfSE_PS4_PT2_iSD_SD_
; %bb.0:
	s_load_b64 s[4:5], s[0:1], 0x30
	s_mov_b32 s30, s13
	s_waitcnt lgkmcnt(0)
	s_cmp_lg_u64 s[4:5], 0
	s_cselect_b32 s13, -1, 0
	s_ashr_i32 s31, s30, 31
	s_cmp_eq_u64 s[4:5], 0
	s_cbranch_scc1 .LBB1579_3
; %bb.1:
	s_lshl_b64 s[2:3], s[30:31], 2
	s_delay_alu instid0(SALU_CYCLE_1) | instskip(SKIP_4) | instid1(SALU_CYCLE_1)
	s_add_u32 s2, s4, s2
	s_addc_u32 s3, s5, s3
	s_load_b64 s[2:3], s[2:3], 0x0
	s_waitcnt lgkmcnt(0)
	s_sub_i32 s2, s3, s2
	s_cmp_eq_u32 s2, 1
	s_cselect_b32 s2, -1, 0
	s_delay_alu instid0(SALU_CYCLE_1)
	s_and_not1_b32 vcc_lo, exec_lo, s2
	s_cbranch_vccz .LBB1579_4
.LBB1579_2:
	s_endpgm
.LBB1579_3:
.LBB1579_4:
	s_load_b64 s[2:3], s[0:1], 0x28
	s_lshl_b64 s[6:7], s[30:31], 2
	s_waitcnt lgkmcnt(0)
	s_add_u32 s2, s2, s6
	s_addc_u32 s3, s3, s7
	s_lshl_b32 s12, s14, 8
	s_load_b32 s17, s[2:3], 0x0
	s_waitcnt lgkmcnt(0)
	s_cmp_ge_i32 s12, s17
	s_cbranch_scc1 .LBB1579_2
; %bb.5:
	s_clause 0x1
	s_load_b128 s[8:11], s[0:1], 0x8
	s_load_b64 s[2:3], s[0:1], 0x20
	s_and_not1_b32 vcc_lo, exec_lo, s13
	s_cbranch_vccnz .LBB1579_7
; %bb.6:
	s_add_u32 s4, s4, s6
	s_addc_u32 s5, s5, s7
	s_load_b32 s13, s[4:5], 0x0
	s_branch .LBB1579_8
.LBB1579_7:
	s_mov_b32 s13, s30
.LBB1579_8:
	s_load_b128 s[4:7], s[0:1], 0x48
	v_and_b32_e32 v65, 15, v0
	v_lshrrev_b32_e32 v66, 5, v0
	v_and_b32_e32 v67, 31, v0
	v_and_b32_e32 v75, 1, v0
	v_bfe_u32 v74, v0, 4, 1
	v_lshlrev_b32_e32 v1, 3, v65
	s_mul_i32 s29, s15, 14
	s_waitcnt lgkmcnt(0)
	s_mov_b32 s7, exec_lo
	s_delay_alu instid0(VALU_DEP_1)
	v_lshlrev_b32_e32 v73, 1, v1
	v_cmpx_gt_u32_e32 0xe0, v0
	s_cbranch_execz .LBB1579_10
; %bb.9:
	s_load_b64 s[18:19], s[0:1], 0x0
	v_lshl_or_b32 v5, v66, 1, v74
	s_mul_hi_i32 s21, s13, s4
	s_mul_i32 s20, s13, s4
	v_lshlrev_b32_e32 v6, 10, v65
	s_lshl_b64 s[20:21], s[20:21], 1
	v_add_lshl_u32 v1, v5, s29, 7
	v_lshlrev_b32_e32 v5, 6, v5
	v_lshlrev_b32_e32 v7, 10, v75
	v_and_b32_e32 v6, 0x3800, v6
	s_delay_alu instid0(VALU_DEP_4) | instskip(NEXT) | instid1(VALU_DEP_2)
	v_ashrrev_i32_e32 v2, 31, v1
	v_or3_b32 v5, v6, v7, v5
	s_delay_alu instid0(VALU_DEP_2) | instskip(SKIP_3) | instid1(VALU_DEP_1)
	v_lshlrev_b64 v[1:2], 1, v[1:2]
	s_waitcnt lgkmcnt(0)
	s_add_u32 s4, s18, s20
	s_addc_u32 s13, s19, s21
	v_add_co_u32 v1, vcc_lo, s4, v1
	s_delay_alu instid0(VALU_DEP_2) | instskip(NEXT) | instid1(VALU_DEP_2)
	v_add_co_ci_u32_e32 v2, vcc_lo, s13, v2, vcc_lo
	v_add_co_u32 v1, vcc_lo, v1, v73
	s_delay_alu instid0(VALU_DEP_2)
	v_add_co_ci_u32_e32 v2, vcc_lo, 0, v2, vcc_lo
	global_load_b128 v[1:4], v[1:2], off
	s_waitcnt vmcnt(0)
	ds_store_b128 v5, v[1:4]
.LBB1579_10:
	s_or_b32 exec_lo, exec_lo, s7
	v_and_b32_e32 v1, 0xef, v0
	s_add_i32 s4, s17, 15
	s_clause 0x1
	s_load_b32 s7, s[0:1], 0x38
	s_load_b32 s18, s[0:1], 0x1c
	s_ashr_i32 s13, s4, 31
	v_add_nc_u32_e32 v1, s12, v1
	s_lshr_b32 s13, s13, 28
	s_waitcnt lgkmcnt(0)
	s_add_i32 s4, s4, s13
	s_barrier
	v_ashrrev_i32_e32 v2, 31, v1
	v_or_b32_e32 v3, 16, v1
	s_ashr_i32 s4, s4, 4
	v_cmp_gt_i32_e32 vcc_lo, s17, v1
	s_add_i32 s4, s4, -1
	v_lshrrev_b32_e32 v2, 28, v2
	buffer_gl0_inv
	s_mul_i32 s15, s15, s6
	v_add_nc_u32_e32 v4, v1, v2
	s_mul_i32 s20, s30, s7
	s_delay_alu instid0(SALU_CYCLE_1) | instskip(NEXT) | instid1(VALU_DEP_1)
	s_ashr_i32 s21, s20, 31
	v_ashrrev_i32_e32 v4, 4, v4
	v_add_nc_u32_e32 v2, v3, v2
	s_lshl_b64 s[20:21], s[20:21], 2
	s_delay_alu instid0(SALU_CYCLE_1) | instskip(NEXT) | instid1(VALU_DEP_2)
	s_add_u32 s13, s2, s20
	v_cndmask_b32_e32 v1, s4, v4, vcc_lo
	s_delay_alu instid0(VALU_DEP_2)
	v_ashrrev_i32_e32 v2, 4, v2
	v_cmp_gt_i32_e32 vcc_lo, s17, v3
	s_addc_u32 s16, s3, s21
	s_ashr_i32 s19, s15, 31
	s_add_u32 s26, s8, s15
	s_addc_u32 s27, s9, s19
	v_cndmask_b32_e32 v3, s4, v2, vcc_lo
	v_ashrrev_i32_e32 v2, 31, v1
	s_lshl_b32 s2, s14, 4
	s_delay_alu instid0(SALU_CYCLE_1) | instskip(NEXT) | instid1(VALU_DEP_2)
	s_ashr_i32 s3, s2, 31
	v_ashrrev_i32_e32 v4, 31, v3
	s_delay_alu instid0(VALU_DEP_2) | instskip(SKIP_1) | instid1(SALU_CYCLE_1)
	v_lshlrev_b64 v[1:2], 2, v[1:2]
	s_lshl_b64 s[2:3], s[2:3], 2
	s_add_u32 s2, s13, s2
	s_delay_alu instid0(VALU_DEP_2) | instskip(SKIP_1) | instid1(VALU_DEP_2)
	v_lshlrev_b64 v[3:4], 2, v[3:4]
	s_addc_u32 s3, s16, s3
	v_add_co_u32 v1, vcc_lo, s13, v1
	v_add_co_ci_u32_e32 v2, vcc_lo, s16, v2, vcc_lo
	s_delay_alu instid0(VALU_DEP_3) | instskip(NEXT) | instid1(VALU_DEP_4)
	v_add_co_u32 v3, vcc_lo, s13, v3
	v_add_co_ci_u32_e32 v4, vcc_lo, s16, v4, vcc_lo
	s_clause 0x1
	global_load_b32 v5, v[1:2], off
	global_load_b32 v3, v[3:4], off
	s_or_b32 s6, s12, 32
	v_cmp_gt_u32_e32 vcc_lo, 14, v65
	s_ashr_i32 s7, s6, 4
	s_cmp_lt_i32 s6, s17
	s_cselect_b32 s6, s7, s4
	s_delay_alu instid0(SALU_CYCLE_1) | instskip(NEXT) | instid1(SALU_CYCLE_1)
	s_ashr_i32 s7, s6, 31
	s_lshl_b64 s[6:7], s[6:7], 2
	s_delay_alu instid0(SALU_CYCLE_1) | instskip(SKIP_2) | instid1(SALU_CYCLE_1)
	s_add_u32 s6, s13, s6
	s_addc_u32 s7, s16, s7
	s_or_b32 s8, s12, 64
	s_ashr_i32 s9, s8, 4
	s_cmp_lt_i32 s8, s17
	s_cselect_b32 s8, s9, s4
	s_delay_alu instid0(SALU_CYCLE_1) | instskip(NEXT) | instid1(SALU_CYCLE_1)
	s_ashr_i32 s9, s8, 31
	s_lshl_b64 s[8:9], s[8:9], 2
	s_delay_alu instid0(SALU_CYCLE_1) | instskip(SKIP_2) | instid1(SALU_CYCLE_1)
	s_add_u32 s8, s13, s8
	s_addc_u32 s9, s16, s9
	s_or_b32 s20, s12, 0x60
	;; [unrolled: 10-line block ×4, first 2 shown]
	s_ashr_i32 s25, s24, 4
	s_cmp_lt_i32 s24, s17
	s_cselect_b32 s24, s25, s4
	s_delay_alu instid0(SALU_CYCLE_1) | instskip(NEXT) | instid1(SALU_CYCLE_1)
	s_ashr_i32 s25, s24, 31
	s_lshl_b64 s[24:25], s[24:25], 2
	s_delay_alu instid0(SALU_CYCLE_1)
	s_add_u32 s24, s13, s24
	s_addc_u32 s25, s16, s25
	s_clause 0x5
	s_load_b32 s28, s[2:3], 0x0
	s_load_b32 s31, s[6:7], 0x0
	;; [unrolled: 1-line block ×6, first 2 shown]
	s_mov_b32 s20, 0
	s_or_b32 s2, s12, 0xc0
	s_mov_b32 s21, s20
	s_mov_b32 s22, s20
	;; [unrolled: 1-line block ×5, first 2 shown]
	v_lshlrev_b32_e32 v1, 4, v0
	s_ashr_i32 s3, s2, 4
	s_cmp_lt_i32 s2, s17
	s_cselect_b32 s2, s3, s4
	s_delay_alu instid0(VALU_DEP_1) | instskip(SKIP_1) | instid1(SALU_CYCLE_1)
	v_and_b32_e32 v1, 0xf0, v1
	s_ashr_i32 s3, s2, 31
	s_lshl_b64 s[2:3], s[2:3], 2
	s_delay_alu instid0(VALU_DEP_1) | instskip(NEXT) | instid1(VALU_DEP_1)
	v_add_co_u32 v1, s26, s26, v1
	v_add_co_ci_u32_e64 v2, null, s27, 0, s26
	s_add_u32 s2, s13, s2
	s_addc_u32 s3, s16, s3
	s_or_b32 s6, s12, 0xe0
	s_mov_b32 s27, s20
	s_ashr_i32 s7, s6, 4
	s_cmp_lt_i32 s6, s17
	s_mov_b32 s26, s20
	v_dual_mov_b32 v107, s27 :: v_dual_mov_b32 v100, s20
	s_cselect_b32 s6, s7, s4
	v_mov_b32_e32 v106, s26
	s_ashr_i32 s7, s6, 31
	v_mov_b32_e32 v104, s24
	s_lshl_b64 s[6:7], s[6:7], 2
	v_dual_mov_b32 v103, s23 :: v_dual_mov_b32 v102, s22
	v_mov_b32_e32 v101, s21
	s_waitcnt vmcnt(1)
	v_mad_i64_i32 v[33:34], null, v5, s5, v[1:2]
	s_waitcnt vmcnt(0)
	v_mad_i64_i32 v[35:36], null, v3, s5, v[1:2]
	s_clause 0xf
	global_load_b128 v[1:4], v[33:34], off
	global_load_b128 v[5:8], v[33:34], off offset:256
	global_load_b128 v[9:12], v[35:36], off
	global_load_b128 v[13:16], v[35:36], off offset:256
	global_load_b128 v[17:20], v[33:34], off offset:512
	;; [unrolled: 1-line block ×13, first 2 shown]
	v_add_nc_u32_e32 v33, -14, v65
	v_lshlrev_b32_e32 v34, 4, v65
	s_delay_alu instid0(VALU_DEP_2) | instskip(SKIP_1) | instid1(VALU_DEP_3)
	v_cndmask_b32_e32 v33, v33, v65, vcc_lo
	v_mov_b32_e32 v105, s25
	v_lshl_or_b32 v41, v66, 8, v34
	s_delay_alu instid0(VALU_DEP_3)
	v_lshlrev_b32_e32 v72, 6, v33
	ds_load_b128 v[33:36], v72
	ds_load_b128 v[37:40], v72 offset:1024
	ds_load_b128 v[108:111], v72 offset:2048
	ds_load_b128 v[112:115], v72 offset:3072
	s_load_b32 s4, s[2:3], 0x0
	s_add_u32 s2, s13, s6
	s_addc_u32 s3, s16, s7
	ds_load_b128 v[116:119], v72 offset:4096
	ds_load_b128 v[120:123], v72 offset:5120
	s_load_b32 s2, s[2:3], 0x0
	s_add_u32 s6, s10, s15
	s_addc_u32 s7, s11, s19
	v_add_co_u32 v68, s6, s6, v41
	s_delay_alu instid0(VALU_DEP_1) | instskip(SKIP_1) | instid1(VALU_DEP_1)
	v_add_co_ci_u32_e64 v69, null, s7, 0, s6
	s_waitcnt lgkmcnt(0)
	v_mad_i64_i32 v[41:42], null, s28, s5, v[68:69]
	v_mad_i64_i32 v[70:71], null, s8, s5, v[68:69]
	;; [unrolled: 1-line block ×7, first 2 shown]
	s_clause 0x3
	global_load_b128 v[49:52], v[41:42], off
	global_load_b128 v[53:56], v[41:42], off offset:16
	global_load_b128 v[41:44], v[45:46], off
	global_load_b128 v[45:48], v[45:46], off offset:16
	s_waitcnt vmcnt(18)
	v_wmma_f32_16x16x16_bf16 v[124:131], v[1:8], v[33:40], v[100:107]
	s_waitcnt vmcnt(16)
	v_wmma_f32_16x16x16_bf16 v[100:107], v[9:16], v[33:40], v[100:107]
	s_clause 0x1
	global_load_b128 v[33:36], v[70:71], off
	global_load_b128 v[37:40], v[70:71], off offset:16
	v_mad_i64_i32 v[70:71], null, s2, s5, v[68:69]
	s_waitcnt vmcnt(16)
	v_wmma_f32_16x16x16_bf16 v[124:131], v[17:24], v[108:115], v[124:131]
	s_waitcnt vmcnt(14)
	v_wmma_f32_16x16x16_bf16 v[100:107], v[25:32], v[108:115], v[100:107]
	s_clause 0x7
	global_load_b128 v[25:28], v[132:133], off
	global_load_b128 v[29:32], v[132:133], off offset:16
	global_load_b128 v[1:4], v[134:135], off
	global_load_b128 v[5:8], v[134:135], off offset:16
	;; [unrolled: 2-line block ×4, first 2 shown]
	s_waitcnt vmcnt(20)
	v_wmma_f32_16x16x16_bf16 v[124:131], v[57:64], v[116:123], v[124:131]
	s_clause 0x1
	global_load_b128 v[57:60], v[70:71], off
	global_load_b128 v[61:64], v[70:71], off offset:16
	s_waitcnt vmcnt(20)
	v_wmma_f32_16x16x16_bf16 v[100:107], v[76:83], v[116:123], v[100:107]
	ds_load_b128 v[76:79], v72 offset:6144
	ds_load_b128 v[80:83], v72 offset:7168
	v_and_b32_e32 v68, 0xe0, v0
	v_mbcnt_lo_u32_b32 v69, -1, 0
	s_waitcnt vmcnt(0) lgkmcnt(0)
	s_barrier
	buffer_gl0_inv
	v_add_nc_u32_e32 v68, s12, v68
	v_xor_b32_e32 v70, 16, v69
	s_delay_alu instid0(VALU_DEP_2) | instskip(NEXT) | instid1(VALU_DEP_2)
	v_or_b32_e32 v68, v68, v74
	v_cmp_gt_i32_e32 vcc_lo, 32, v70
	s_delay_alu instid0(VALU_DEP_2)
	v_or_b32_e32 v71, 4, v68
	v_or_b32_e32 v72, 6, v68
	v_cmp_gt_i32_e64 s2, s17, v68
	v_or_b32_e32 v108, 8, v68
	v_wmma_f32_16x16x16_bf16 v[124:131], v[84:91], v[76:83], v[124:131]
	v_cndmask_b32_e32 v69, v69, v70, vcc_lo
	v_or_b32_e32 v70, 2, v68
	v_wmma_f32_16x16x16_bf16 v[100:107], v[92:99], v[76:83], v[100:107]
	v_or_b32_e32 v109, 10, v68
	v_dual_mul_f32 v82, s18, v127 :: v_dual_mul_f32 v79, s18, v130
	v_dual_mul_f32 v92, s18, v125 :: v_dual_mul_f32 v93, s18, v124
	s_delay_alu instid0(VALU_DEP_4)
	v_mul_f32_e32 v98, s18, v103
	v_cmp_gt_i32_e32 vcc_lo, s17, v70
	v_or_b32_e32 v89, 22, v68
	v_dual_mul_f32 v83, s18, v126 :: v_dual_mul_f32 v96, s18, v105
	v_cndmask_b32_e64 v93, 0xff7fffff, v93, s2
	v_cndmask_b32_e32 v92, 0xff7fffff, v92, vcc_lo
	v_cmp_gt_i32_e64 s3, s17, v71
	v_cmp_gt_i32_e64 s4, s17, v72
	v_or_b32_e32 v84, 12, v68
	v_or_b32_e32 v85, 14, v68
	v_dual_mul_f32 v80, s18, v129 :: v_dual_mul_f32 v81, s18, v128
	v_mul_f32_e32 v94, s18, v107
	v_cndmask_b32_e64 v71, 0xff7fffff, v83, s3
	v_cndmask_b32_e64 v72, 0xff7fffff, v82, s4
	v_cmp_gt_i32_e64 s5, s17, v108
	v_cmp_gt_i32_e64 s6, s17, v109
	;; [unrolled: 1-line block ×3, first 2 shown]
	v_lshlrev_b32_e32 v89, 2, v69
	v_max3_f32 v82, v93, 0xff7fffff, v92
	v_or_b32_e32 v86, 16, v68
	v_or_b32_e32 v87, 18, v68
	v_mul_f32_e32 v78, s18, v131
	v_cndmask_b32_e64 v81, 0xff7fffff, v81, s5
	v_cndmask_b32_e64 v80, 0xff7fffff, v80, s6
	v_max3_f32 v71, v82, v71, v72
	v_cmp_gt_i32_e64 s7, s17, v84
	v_cmp_gt_i32_e64 s8, s17, v85
	v_or_b32_e32 v88, 20, v68
	v_or_b32_e32 v90, 24, v68
	;; [unrolled: 1-line block ×5, first 2 shown]
	v_dual_mul_f32 v95, s18, v106 :: v_dual_mul_f32 v70, s18, v101
	v_dual_mul_f32 v99, s18, v102 :: v_dual_mul_f32 v68, s18, v100
	v_cndmask_b32_e64 v72, 0xff7fffff, v79, s7
	v_cndmask_b32_e64 v78, 0xff7fffff, v78, s8
	v_max3_f32 v71, v71, v81, v80
	v_cmp_gt_i32_e64 s9, s17, v86
	v_cmp_gt_i32_e64 s10, s17, v87
	;; [unrolled: 1-line block ×3, first 2 shown]
	v_mul_f32_e32 v97, s18, v104
	v_max3_f32 v71, v71, v72, v78
	v_cndmask_b32_e64 v68, 0xff7fffff, v68, s9
	v_cndmask_b32_e64 v70, 0xff7fffff, v70, s10
	;; [unrolled: 1-line block ×4, first 2 shown]
	v_cmp_gt_i32_e64 s13, s17, v90
	v_cmp_gt_i32_e64 s15, s17, v91
	v_max3_f32 v68, v71, v68, v70
	v_cmp_gt_i32_e64 s16, s17, v76
	v_cmp_gt_i32_e64 s17, s17, v77
	v_cndmask_b32_e64 v70, 0xff7fffff, v97, s13
	v_cndmask_b32_e64 v71, 0xff7fffff, v96, s15
	v_max3_f32 v68, v68, v72, v78
	v_cndmask_b32_e64 v72, 0xff7fffff, v95, s16
	v_cndmask_b32_e64 v76, 0xff7fffff, v94, s17
	s_delay_alu instid0(VALU_DEP_3) | instskip(NEXT) | instid1(VALU_DEP_1)
	v_max3_f32 v68, v68, v70, v71
	v_max3_f32 v68, v68, v72, v76
	ds_bpermute_b32 v69, v89, v68
	s_waitcnt lgkmcnt(0)
	v_max_f32_e32 v69, v69, v69
	s_delay_alu instid0(VALU_DEP_1) | instskip(NEXT) | instid1(VALU_DEP_1)
	v_max_f32_e32 v68, v68, v69
	v_fma_f32 v69, s18, v124, -v68
	v_fma_f32 v70, s18, v125, -v68
	;; [unrolled: 1-line block ×5, first 2 shown]
	s_delay_alu instid0(VALU_DEP_4) | instskip(NEXT) | instid1(VALU_DEP_4)
	v_dual_mul_f32 v69, 0x3fb8aa3b, v69 :: v_dual_mul_f32 v70, 0x3fb8aa3b, v70
	v_mul_f32_e32 v72, 0x3fb8aa3b, v72
	v_fma_f32 v78, s18, v130, -v68
	s_delay_alu instid0(VALU_DEP_4) | instskip(NEXT) | instid1(VALU_DEP_4)
	v_mul_f32_e32 v77, 0x3fb8aa3b, v76
	v_exp_f32_e32 v69, v69
	v_exp_f32_e32 v70, v70
	v_mul_f32_e32 v71, 0x3fb8aa3b, v71
	v_exp_f32_e32 v72, v72
	v_mul_f32_e32 v78, 0x3fb8aa3b, v78
	v_exp_f32_e32 v77, v77
	v_fma_f32 v81, s18, v105, -v68
	s_delay_alu instid0(VALU_DEP_2)
	v_exp_f32_e32 v78, v78
	v_cndmask_b32_e64 v80, 0, v69, s2
	v_cndmask_b32_e32 v76, 0, v70, vcc_lo
	v_exp_f32_e32 v71, v71
	v_fma_f32 v69, s18, v129, -v68
	v_cndmask_b32_e64 v85, 0, v72, s4
	v_add_f32_e32 v70, 0, v80
	s_delay_alu instid0(TRANS32_DEP_3)
	v_cndmask_b32_e64 v86, 0, v77, s5
	v_fma_f32 v77, s18, v101, -v68
	v_mul_f32_e32 v69, 0x3fb8aa3b, v69
	v_fma_f32 v72, s18, v100, -v68
	v_cndmask_b32_e64 v84, 0, v78, s7
	v_fma_f32 v78, s18, v103, -v68
	v_cndmask_b32_e64 v83, 0, v71, s3
	v_fma_f32 v71, s18, v131, -v68
	v_add_f32_e32 v70, v70, v76
	v_exp_f32_e32 v69, v69
	v_mul_f32_e32 v77, 0x3fb8aa3b, v77
	v_mul_f32_e32 v81, 0x3fb8aa3b, v81
	;; [unrolled: 1-line block ×3, first 2 shown]
	v_add_f32_e32 v70, v70, v83
	s_mov_b32 s2, exec_lo
	v_exp_f32_e32 v77, v77
	v_exp_f32_e32 v81, v81
	v_exp_f32_e32 v71, v71
	v_cndmask_b32_e64 v87, 0, v69, s6
	v_add_f32_e32 v70, v70, v85
	s_delay_alu instid0(VALU_DEP_1) | instskip(SKIP_1) | instid1(VALU_DEP_2)
	v_dual_mul_f32 v72, 0x3fb8aa3b, v72 :: v_dual_add_f32 v69, v70, v86
	v_fma_f32 v70, s18, v102, -v68
	v_exp_f32_e32 v72, v72
	s_waitcnt_depctr 0xfff
	v_cndmask_b32_e64 v88, 0, v71, s8
	v_fma_f32 v71, s18, v104, -v68
	v_dual_add_f32 v69, v69, v87 :: v_dual_mul_f32 v70, 0x3fb8aa3b, v70
	s_delay_alu instid0(VALU_DEP_2) | instskip(NEXT) | instid1(VALU_DEP_2)
	v_dual_mul_f32 v78, 0x3fb8aa3b, v78 :: v_dual_mul_f32 v71, 0x3fb8aa3b, v71
	v_add_f32_e32 v69, v69, v84
	s_delay_alu instid0(VALU_DEP_3) | instskip(SKIP_1) | instid1(VALU_DEP_3)
	v_exp_f32_e32 v79, v70
	v_cndmask_b32_e64 v70, 0, v72, s9
	v_exp_f32_e32 v78, v78
	v_exp_f32_e32 v82, v71
	v_add_f32_e32 v72, v69, v88
	v_cndmask_b32_e64 v69, 0, v77, s10
	v_fma_f32 v77, s18, v106, -v68
	s_delay_alu instid0(VALU_DEP_3) | instskip(NEXT) | instid1(TRANS32_DEP_3)
	v_add_f32_e32 v72, v72, v70
	v_cndmask_b32_e64 v71, 0, v79, s11
	s_delay_alu instid0(VALU_DEP_3) | instskip(NEXT) | instid1(VALU_DEP_3)
	v_mul_f32_e32 v77, 0x3fb8aa3b, v77
	v_add_f32_e32 v79, v72, v69
	s_delay_alu instid0(TRANS32_DEP_2) | instskip(NEXT) | instid1(VALU_DEP_3)
	v_cndmask_b32_e64 v72, 0, v78, s12
	v_exp_f32_e32 v90, v77
	v_cndmask_b32_e64 v77, 0, v82, s13
	s_delay_alu instid0(VALU_DEP_3) | instskip(SKIP_1) | instid1(VALU_DEP_1)
	v_add_f32_e32 v78, v79, v71
	v_fma_f32 v79, s18, v107, -v68
	v_dual_add_f32 v82, v78, v72 :: v_dual_mul_f32 v79, 0x3fb8aa3b, v79
	v_cndmask_b32_e64 v78, 0, v81, s15
	s_delay_alu instid0(VALU_DEP_2) | instskip(NEXT) | instid1(VALU_DEP_3)
	v_add_f32_e32 v81, v82, v77
	v_exp_f32_e32 v82, v79
	s_delay_alu instid0(TRANS32_DEP_2) | instskip(NEXT) | instid1(VALU_DEP_2)
	v_cndmask_b32_e64 v79, 0, v90, s16
	v_add_f32_e32 v81, v81, v78
	s_delay_alu instid0(VALU_DEP_1) | instskip(SKIP_2) | instid1(VALU_DEP_1)
	v_add_f32_e32 v90, v81, v79
	s_waitcnt_depctr 0xfff
	v_cndmask_b32_e64 v81, 0, v82, s17
	v_add_f32_e32 v82, v90, v81
	ds_bpermute_b32 v89, v89, v82
	v_cmpx_gt_u32_e32 16, v67
	s_cbranch_execz .LBB1579_12
; %bb.11:
	v_mul_u32_u24_e32 v67, 0x44, v66
	s_delay_alu instid0(VALU_DEP_1) | instskip(SKIP_1) | instid1(VALU_DEP_1)
	v_lshl_add_u32 v67, v65, 2, v67
	s_waitcnt lgkmcnt(0)
	v_dual_add_f32 v82, v82, v89 :: v_dual_add_nc_u32 v67, 0x4000, v67
	ds_store_2addr_b32 v67, v68, v82 offset1:136
.LBB1579_12:
	s_or_b32 exec_lo, exec_lo, s2
	v_lshlrev_b32_e32 v67, 2, v65
	s_waitcnt lgkmcnt(0)
	s_barrier
	buffer_gl0_inv
	v_cmp_eq_u32_e32 vcc_lo, 1, v66
	v_add_nc_u32_e32 v82, 0x4000, v67
	v_cmp_eq_u32_e64 s2, 2, v66
	v_cmp_eq_u32_e64 s4, 7, v66
	ds_load_2addr_b32 v[89:90], v82 offset1:17
	ds_load_2addr_b32 v[91:92], v82 offset0:34 offset1:51
	ds_load_2addr_b32 v[93:94], v82 offset0:68 offset1:85
	;; [unrolled: 1-line block ×4, first 2 shown]
	s_waitcnt lgkmcnt(4)
	v_max3_f32 v67, v89, 0xff7fffff, v90
	s_waitcnt lgkmcnt(3)
	s_delay_alu instid0(VALU_DEP_1) | instskip(SKIP_1) | instid1(VALU_DEP_1)
	v_max3_f32 v67, v67, v91, v92
	s_waitcnt lgkmcnt(2)
	v_max3_f32 v67, v67, v93, v94
	s_waitcnt lgkmcnt(1)
	s_delay_alu instid0(VALU_DEP_1) | instskip(NEXT) | instid1(VALU_DEP_1)
	v_max3_f32 v67, v67, v95, v96
	v_sub_f32_e32 v93, v93, v67
	s_delay_alu instid0(VALU_DEP_1) | instskip(NEXT) | instid1(VALU_DEP_1)
	v_dual_sub_f32 v68, v89, v67 :: v_dual_mul_f32 v103, 0x3fb8aa3b, v93
	v_mul_f32_e32 v68, 0x3fb8aa3b, v68
	s_delay_alu instid0(VALU_DEP_1)
	v_exp_f32_e32 v100, v68
	v_sub_f32_e32 v68, v92, v67
	v_sub_f32_e32 v99, v90, v67
	ds_load_2addr_b32 v[89:90], v82 offset0:170 offset1:187
	v_dual_mul_f32 v102, 0x3fb8aa3b, v68 :: v_dual_mul_f32 v99, 0x3fb8aa3b, v99
	s_waitcnt lgkmcnt(1)
	v_fma_f32 v68, v100, v97, 0
	s_delay_alu instid0(VALU_DEP_2) | instskip(NEXT) | instid1(VALU_DEP_2)
	v_exp_f32_e32 v102, v102
	v_exp_f32_e32 v99, v99
	s_waitcnt_depctr 0xfff
	v_fmac_f32_e32 v68, v99, v98
	v_sub_f32_e32 v91, v91, v67
	s_delay_alu instid0(VALU_DEP_1)
	v_mul_f32_e32 v101, 0x3fb8aa3b, v91
	ds_load_2addr_b32 v[91:92], v82 offset0:204 offset1:221
	v_sub_f32_e32 v97, v94, v67
	ds_load_2addr_b32 v[93:94], v82 offset0:238 offset1:255
	s_waitcnt lgkmcnt(0)
	v_exp_f32_e32 v101, v101
	s_barrier
	buffer_gl0_inv
	v_dual_fmac_f32 v68, v101, v89 :: v_dual_sub_f32 v89, v96, v67
	v_dual_sub_f32 v82, v95, v67 :: v_dual_mul_f32 v95, 0x3fb8aa3b, v97
	v_exp_f32_e32 v97, v103
	s_delay_alu instid0(VALU_DEP_2) | instskip(NEXT) | instid1(VALU_DEP_2)
	v_dual_fmac_f32 v68, v102, v90 :: v_dual_mul_f32 v89, 0x3fb8aa3b, v89
	v_mul_f32_e32 v82, 0x3fb8aa3b, v82
	s_delay_alu instid0(VALU_DEP_3) | instskip(NEXT) | instid1(VALU_DEP_2)
	v_exp_f32_e32 v95, v95
	v_exp_f32_e32 v89, v89
	s_delay_alu instid0(VALU_DEP_1)
	v_exp_f32_e32 v82, v82
	v_fmac_f32_e32 v68, v97, v91
	s_delay_alu instid0(TRANS32_DEP_3) | instid1(VALU_DEP_1)
	v_fmac_f32_e32 v68, v95, v92
	s_waitcnt_depctr 0xfff
	v_fmac_f32_e32 v68, v82, v93
	s_delay_alu instid0(VALU_DEP_1) | instskip(NEXT) | instid1(VALU_DEP_1)
	v_fmac_f32_e32 v68, v89, v94
	v_add_f32_e32 v90, 0x358637bd, v68
	s_delay_alu instid0(VALU_DEP_1) | instskip(NEXT) | instid1(VALU_DEP_1)
	v_div_scale_f32 v91, null, v90, v90, 1.0
	v_rcp_f32_e32 v92, v91
	s_waitcnt_depctr 0xfff
	v_fma_f32 v93, -v91, v92, 1.0
	s_delay_alu instid0(VALU_DEP_1) | instskip(SKIP_1) | instid1(VALU_DEP_2)
	v_dual_fmac_f32 v92, v93, v92 :: v_dual_cndmask_b32 v93, v100, v99
	v_cmp_eq_u32_e32 vcc_lo, 3, v66
	v_cndmask_b32_e64 v93, v93, v101, s2
	v_cmp_eq_u32_e64 s2, 4, v66
	s_delay_alu instid0(VALU_DEP_2) | instskip(SKIP_1) | instid1(VALU_DEP_2)
	v_cndmask_b32_e32 v93, v93, v102, vcc_lo
	v_cmp_eq_u32_e32 vcc_lo, 5, v66
	v_cndmask_b32_e64 v93, v93, v97, s2
	v_cmp_eq_u32_e64 s2, 6, v66
	s_delay_alu instid0(VALU_DEP_2) | instskip(SKIP_1) | instid1(VALU_DEP_1)
	v_cndmask_b32_e32 v93, v93, v95, vcc_lo
	v_div_scale_f32 v94, s3, 1.0, v90, 1.0
	s_mov_b32 vcc_lo, s3
	s_delay_alu instid0(VALU_DEP_2) | instskip(NEXT) | instid1(VALU_DEP_2)
	v_cndmask_b32_e64 v82, v93, v82, s2
	v_mul_f32_e32 v96, v94, v92
	s_mov_b32 s2, exec_lo
	s_delay_alu instid0(VALU_DEP_2) | instskip(NEXT) | instid1(VALU_DEP_2)
	v_cndmask_b32_e64 v82, v82, v89, s4
	v_fma_f32 v98, -v91, v96, v94
	s_delay_alu instid0(VALU_DEP_1) | instskip(NEXT) | instid1(VALU_DEP_1)
	v_fmac_f32_e32 v96, v98, v92
	v_fma_f32 v91, -v91, v96, v94
	s_delay_alu instid0(VALU_DEP_1) | instskip(NEXT) | instid1(VALU_DEP_1)
	v_div_fmas_f32 v91, v91, v92, v96
	v_div_fixup_f32 v90, v91, v90, 1.0
	s_delay_alu instid0(VALU_DEP_1) | instskip(NEXT) | instid1(VALU_DEP_1)
	v_mul_f32_e32 v82, v82, v90
	v_mul_f32_e32 v87, v82, v87
	;; [unrolled: 1-line block ×7, first 2 shown]
	v_dual_mul_f32 v86, v82, v83 :: v_dual_and_b32 v91, 0x7f800000, v90
	v_mul_f32_e32 v85, v82, v76
                                        ; implicit-def: $vgpr76
	s_delay_alu instid0(VALU_DEP_2)
	v_cmpx_ne_u32_e32 0x7f800000, v91
	s_xor_b32 s2, exec_lo, s2
; %bb.13:
	v_bfe_u32 v76, v90, 16, 1
	s_delay_alu instid0(VALU_DEP_1)
	v_add3_u32 v76, v90, v76, 0x7fff
                                        ; implicit-def: $vgpr90
; %bb.14:
	s_and_not1_saveexec_b32 s2, s2
; %bb.15:
	v_and_b32_e32 v76, 0xffff, v90
	v_or_b32_e32 v83, 0x10000, v90
	s_delay_alu instid0(VALU_DEP_2) | instskip(NEXT) | instid1(VALU_DEP_2)
	v_cmp_eq_u32_e32 vcc_lo, 0, v76
	v_cndmask_b32_e32 v76, v83, v90, vcc_lo
; %bb.16:
	s_or_b32 exec_lo, exec_lo, s2
	v_and_b32_e32 v83, 0x7f800000, v85
	s_delay_alu instid0(VALU_DEP_1) | instskip(SKIP_1) | instid1(SALU_CYCLE_1)
	v_cmp_ne_u32_e32 vcc_lo, 0x7f800000, v83
                                        ; implicit-def: $vgpr83
	s_and_saveexec_b32 s2, vcc_lo
	s_xor_b32 s2, exec_lo, s2
; %bb.17:
	v_bfe_u32 v83, v85, 16, 1
	s_delay_alu instid0(VALU_DEP_1)
	v_add3_u32 v83, v85, v83, 0x7fff
                                        ; implicit-def: $vgpr85
; %bb.18:
	s_and_not1_saveexec_b32 s2, s2
; %bb.19:
	v_and_b32_e32 v83, 0xffff, v85
	v_or_b32_e32 v90, 0x10000, v85
	s_delay_alu instid0(VALU_DEP_2) | instskip(NEXT) | instid1(VALU_DEP_2)
	v_cmp_eq_u32_e32 vcc_lo, 0, v83
	v_cndmask_b32_e32 v83, v90, v85, vcc_lo
; %bb.20:
	s_or_b32 exec_lo, exec_lo, s2
	v_and_b32_e32 v85, 0x7f800000, v86
	s_delay_alu instid0(VALU_DEP_1) | instskip(SKIP_1) | instid1(SALU_CYCLE_1)
	v_cmp_ne_u32_e32 vcc_lo, 0x7f800000, v85
                                        ; implicit-def: $vgpr85
	s_and_saveexec_b32 s2, vcc_lo
	s_xor_b32 s2, exec_lo, s2
; %bb.21:
	v_bfe_u32 v85, v86, 16, 1
	s_delay_alu instid0(VALU_DEP_1)
	v_add3_u32 v85, v86, v85, 0x7fff
                                        ; implicit-def: $vgpr86
; %bb.22:
	s_and_not1_saveexec_b32 s2, s2
; %bb.23:
	v_and_b32_e32 v85, 0xffff, v86
	v_or_b32_e32 v90, 0x10000, v86
	s_delay_alu instid0(VALU_DEP_2) | instskip(NEXT) | instid1(VALU_DEP_2)
	v_cmp_eq_u32_e32 vcc_lo, 0, v85
	v_cndmask_b32_e32 v85, v90, v86, vcc_lo
; %bb.24:
	s_or_b32 exec_lo, exec_lo, s2
	v_and_b32_e32 v86, 0x7f800000, v89
	s_delay_alu instid0(VALU_DEP_1) | instskip(SKIP_1) | instid1(SALU_CYCLE_1)
	v_cmp_ne_u32_e32 vcc_lo, 0x7f800000, v86
                                        ; implicit-def: $vgpr86
	s_and_saveexec_b32 s2, vcc_lo
	s_xor_b32 s2, exec_lo, s2
; %bb.25:
	v_bfe_u32 v86, v89, 16, 1
	s_delay_alu instid0(VALU_DEP_1)
	v_add3_u32 v86, v89, v86, 0x7fff
                                        ; implicit-def: $vgpr89
; %bb.26:
	s_and_not1_saveexec_b32 s2, s2
; %bb.27:
	v_and_b32_e32 v86, 0xffff, v89
	v_or_b32_e32 v90, 0x10000, v89
	s_delay_alu instid0(VALU_DEP_2) | instskip(NEXT) | instid1(VALU_DEP_2)
	v_cmp_eq_u32_e32 vcc_lo, 0, v86
	v_cndmask_b32_e32 v86, v90, v89, vcc_lo
; %bb.28:
	s_or_b32 exec_lo, exec_lo, s2
	v_and_b32_e32 v89, 0x7f800000, v88
	s_delay_alu instid0(VALU_DEP_1) | instskip(SKIP_1) | instid1(SALU_CYCLE_1)
	v_cmp_ne_u32_e32 vcc_lo, 0x7f800000, v89
                                        ; implicit-def: $vgpr89
	s_and_saveexec_b32 s2, vcc_lo
	s_xor_b32 s2, exec_lo, s2
; %bb.29:
	v_bfe_u32 v89, v88, 16, 1
	s_delay_alu instid0(VALU_DEP_1)
	v_add3_u32 v89, v88, v89, 0x7fff
                                        ; implicit-def: $vgpr88
; %bb.30:
	s_and_not1_saveexec_b32 s2, s2
; %bb.31:
	v_and_b32_e32 v89, 0xffff, v88
	v_or_b32_e32 v90, 0x10000, v88
	s_delay_alu instid0(VALU_DEP_2) | instskip(NEXT) | instid1(VALU_DEP_2)
	v_cmp_eq_u32_e32 vcc_lo, 0, v89
	v_cndmask_b32_e32 v89, v90, v88, vcc_lo
; %bb.32:
	s_or_b32 exec_lo, exec_lo, s2
	v_and_b32_e32 v88, 0x7f800000, v87
	s_delay_alu instid0(VALU_DEP_1) | instskip(SKIP_1) | instid1(SALU_CYCLE_1)
	v_cmp_ne_u32_e32 vcc_lo, 0x7f800000, v88
                                        ; implicit-def: $vgpr88
	s_and_saveexec_b32 s2, vcc_lo
	s_xor_b32 s2, exec_lo, s2
; %bb.33:
	v_bfe_u32 v88, v87, 16, 1
	s_delay_alu instid0(VALU_DEP_1)
	v_add3_u32 v88, v87, v88, 0x7fff
                                        ; implicit-def: $vgpr87
; %bb.34:
	s_and_not1_saveexec_b32 s2, s2
; %bb.35:
	v_and_b32_e32 v88, 0xffff, v87
	v_or_b32_e32 v90, 0x10000, v87
	s_delay_alu instid0(VALU_DEP_2) | instskip(NEXT) | instid1(VALU_DEP_2)
	v_cmp_eq_u32_e32 vcc_lo, 0, v88
	v_cndmask_b32_e32 v88, v90, v87, vcc_lo
; %bb.36:
	s_or_b32 exec_lo, exec_lo, s2
	v_and_b32_e32 v87, 0x7f800000, v84
	s_delay_alu instid0(VALU_DEP_1) | instskip(SKIP_1) | instid1(SALU_CYCLE_1)
	v_cmp_ne_u32_e32 vcc_lo, 0x7f800000, v87
                                        ; implicit-def: $vgpr87
	s_and_saveexec_b32 s2, vcc_lo
	s_xor_b32 s2, exec_lo, s2
; %bb.37:
	v_bfe_u32 v87, v84, 16, 1
	s_delay_alu instid0(VALU_DEP_1)
	v_add3_u32 v87, v84, v87, 0x7fff
                                        ; implicit-def: $vgpr84
; %bb.38:
	s_and_not1_saveexec_b32 s2, s2
; %bb.39:
	v_and_b32_e32 v87, 0xffff, v84
	v_or_b32_e32 v90, 0x10000, v84
	s_delay_alu instid0(VALU_DEP_2) | instskip(NEXT) | instid1(VALU_DEP_2)
	v_cmp_eq_u32_e32 vcc_lo, 0, v87
	v_cndmask_b32_e32 v87, v90, v84, vcc_lo
; %bb.40:
	s_or_b32 exec_lo, exec_lo, s2
	v_and_b32_e32 v84, 0x7f800000, v80
	s_delay_alu instid0(VALU_DEP_1) | instskip(SKIP_1) | instid1(SALU_CYCLE_1)
	v_cmp_ne_u32_e32 vcc_lo, 0x7f800000, v84
                                        ; implicit-def: $vgpr84
	s_and_saveexec_b32 s2, vcc_lo
	s_xor_b32 s2, exec_lo, s2
; %bb.41:
	v_bfe_u32 v84, v80, 16, 1
	s_delay_alu instid0(VALU_DEP_1)
	v_add3_u32 v84, v80, v84, 0x7fff
                                        ; implicit-def: $vgpr80
; %bb.42:
	s_and_not1_saveexec_b32 s2, s2
; %bb.43:
	v_and_b32_e32 v84, 0xffff, v80
	v_or_b32_e32 v90, 0x10000, v80
	s_delay_alu instid0(VALU_DEP_2) | instskip(NEXT) | instid1(VALU_DEP_2)
	v_cmp_eq_u32_e32 vcc_lo, 0, v84
	v_cndmask_b32_e32 v84, v90, v80, vcc_lo
; %bb.44:
	s_or_b32 exec_lo, exec_lo, s2
	s_load_b64 s[34:35], s[0:1], 0x94
	v_lshlrev_b32_e32 v91, 4, v74
	s_delay_alu instid0(VALU_DEP_2)
	v_perm_b32 v90, v84, v87, 0x7060302
	v_dual_mul_f32 v79, v82, v79 :: v_dual_lshlrev_b32 v80, 6, v65
	v_dual_mul_f32 v77, v82, v77 :: v_dual_lshlrev_b32 v92, 11, v66
	v_mul_f32_e32 v84, v82, v70
	v_perm_b32 v89, v88, v89, 0x7060302
	v_perm_b32 v88, v86, v85, 0x7060302
	;; [unrolled: 1-line block ×3, first 2 shown]
	v_mul_f32_e32 v70, v82, v81
	v_or3_b32 v76, v91, v92, v80
	v_dual_mul_f32 v78, v82, v78 :: v_dual_and_b32 v85, 0x7f800000, v84
	v_mul_f32_e32 v83, v82, v72
	v_mul_f32_e32 v81, v82, v71
	;; [unrolled: 1-line block ×3, first 2 shown]
	s_mov_b32 s2, exec_lo
	ds_store_b128 v76, v[87:90]
                                        ; implicit-def: $vgpr69
	v_cmpx_ne_u32_e32 0x7f800000, v85
	s_xor_b32 s2, exec_lo, s2
; %bb.45:
	v_bfe_u32 v69, v84, 16, 1
	s_delay_alu instid0(VALU_DEP_1)
	v_add3_u32 v69, v84, v69, 0x7fff
                                        ; implicit-def: $vgpr84
; %bb.46:
	s_and_not1_saveexec_b32 s2, s2
; %bb.47:
	v_and_b32_e32 v69, 0xffff, v84
	v_or_b32_e32 v71, 0x10000, v84
	s_delay_alu instid0(VALU_DEP_2) | instskip(NEXT) | instid1(VALU_DEP_2)
	v_cmp_eq_u32_e32 vcc_lo, 0, v69
	v_cndmask_b32_e32 v69, v71, v84, vcc_lo
; %bb.48:
	s_or_b32 exec_lo, exec_lo, s2
	v_and_b32_e32 v71, 0x7f800000, v72
	s_delay_alu instid0(VALU_DEP_1) | instskip(SKIP_1) | instid1(SALU_CYCLE_1)
	v_cmp_ne_u32_e32 vcc_lo, 0x7f800000, v71
                                        ; implicit-def: $vgpr71
	s_and_saveexec_b32 s2, vcc_lo
	s_xor_b32 s2, exec_lo, s2
; %bb.49:
	v_bfe_u32 v71, v72, 16, 1
	s_delay_alu instid0(VALU_DEP_1)
	v_add3_u32 v71, v72, v71, 0x7fff
                                        ; implicit-def: $vgpr72
; %bb.50:
	s_and_not1_saveexec_b32 s2, s2
; %bb.51:
	v_and_b32_e32 v71, 0xffff, v72
	v_or_b32_e32 v82, 0x10000, v72
	s_delay_alu instid0(VALU_DEP_2) | instskip(NEXT) | instid1(VALU_DEP_2)
	v_cmp_eq_u32_e32 vcc_lo, 0, v71
	v_cndmask_b32_e32 v71, v82, v72, vcc_lo
; %bb.52:
	s_or_b32 exec_lo, exec_lo, s2
	v_and_b32_e32 v72, 0x7f800000, v81
	s_delay_alu instid0(VALU_DEP_1) | instskip(SKIP_1) | instid1(SALU_CYCLE_1)
	v_cmp_ne_u32_e32 vcc_lo, 0x7f800000, v72
                                        ; implicit-def: $vgpr72
	s_and_saveexec_b32 s2, vcc_lo
	s_xor_b32 s2, exec_lo, s2
; %bb.53:
	v_bfe_u32 v72, v81, 16, 1
	s_delay_alu instid0(VALU_DEP_1)
	v_add3_u32 v72, v81, v72, 0x7fff
                                        ; implicit-def: $vgpr81
; %bb.54:
	s_and_not1_saveexec_b32 s2, s2
; %bb.55:
	v_and_b32_e32 v72, 0xffff, v81
	v_or_b32_e32 v82, 0x10000, v81
	s_delay_alu instid0(VALU_DEP_2) | instskip(NEXT) | instid1(VALU_DEP_2)
	v_cmp_eq_u32_e32 vcc_lo, 0, v72
	v_cndmask_b32_e32 v72, v82, v81, vcc_lo
; %bb.56:
	s_or_b32 exec_lo, exec_lo, s2
	v_and_b32_e32 v81, 0x7f800000, v83
	s_delay_alu instid0(VALU_DEP_1) | instskip(SKIP_1) | instid1(SALU_CYCLE_1)
	v_cmp_ne_u32_e32 vcc_lo, 0x7f800000, v81
                                        ; implicit-def: $vgpr81
	s_and_saveexec_b32 s2, vcc_lo
	s_xor_b32 s2, exec_lo, s2
; %bb.57:
	v_bfe_u32 v81, v83, 16, 1
	s_delay_alu instid0(VALU_DEP_1)
	v_add3_u32 v81, v83, v81, 0x7fff
                                        ; implicit-def: $vgpr83
; %bb.58:
	s_and_not1_saveexec_b32 s2, s2
; %bb.59:
	v_and_b32_e32 v81, 0xffff, v83
	v_or_b32_e32 v82, 0x10000, v83
	s_delay_alu instid0(VALU_DEP_2) | instskip(NEXT) | instid1(VALU_DEP_2)
	v_cmp_eq_u32_e32 vcc_lo, 0, v81
	v_cndmask_b32_e32 v81, v82, v83, vcc_lo
; %bb.60:
	s_or_b32 exec_lo, exec_lo, s2
	v_and_b32_e32 v82, 0x7f800000, v77
	s_delay_alu instid0(VALU_DEP_1) | instskip(SKIP_1) | instid1(SALU_CYCLE_1)
	v_cmp_ne_u32_e32 vcc_lo, 0x7f800000, v82
                                        ; implicit-def: $vgpr82
	s_and_saveexec_b32 s2, vcc_lo
	s_xor_b32 s2, exec_lo, s2
; %bb.61:
	v_bfe_u32 v82, v77, 16, 1
	s_delay_alu instid0(VALU_DEP_1)
	v_add3_u32 v82, v77, v82, 0x7fff
                                        ; implicit-def: $vgpr77
; %bb.62:
	s_and_not1_saveexec_b32 s2, s2
; %bb.63:
	v_and_b32_e32 v82, 0xffff, v77
	v_or_b32_e32 v83, 0x10000, v77
	s_delay_alu instid0(VALU_DEP_2) | instskip(NEXT) | instid1(VALU_DEP_2)
	v_cmp_eq_u32_e32 vcc_lo, 0, v82
	v_cndmask_b32_e32 v82, v83, v77, vcc_lo
; %bb.64:
	s_or_b32 exec_lo, exec_lo, s2
	v_and_b32_e32 v77, 0x7f800000, v78
	s_delay_alu instid0(VALU_DEP_1) | instskip(SKIP_1) | instid1(SALU_CYCLE_1)
	v_cmp_ne_u32_e32 vcc_lo, 0x7f800000, v77
                                        ; implicit-def: $vgpr77
	s_and_saveexec_b32 s2, vcc_lo
	s_xor_b32 s2, exec_lo, s2
; %bb.65:
	v_bfe_u32 v77, v78, 16, 1
	s_delay_alu instid0(VALU_DEP_1)
	v_add3_u32 v77, v78, v77, 0x7fff
                                        ; implicit-def: $vgpr78
; %bb.66:
	s_and_not1_saveexec_b32 s2, s2
; %bb.67:
	v_and_b32_e32 v77, 0xffff, v78
	v_or_b32_e32 v83, 0x10000, v78
	s_delay_alu instid0(VALU_DEP_2) | instskip(NEXT) | instid1(VALU_DEP_2)
	v_cmp_eq_u32_e32 vcc_lo, 0, v77
	v_cndmask_b32_e32 v77, v83, v78, vcc_lo
; %bb.68:
	s_or_b32 exec_lo, exec_lo, s2
	v_and_b32_e32 v78, 0x7f800000, v79
	s_delay_alu instid0(VALU_DEP_1) | instskip(SKIP_1) | instid1(SALU_CYCLE_1)
	v_cmp_ne_u32_e32 vcc_lo, 0x7f800000, v78
                                        ; implicit-def: $vgpr78
	s_and_saveexec_b32 s2, vcc_lo
	s_xor_b32 s2, exec_lo, s2
; %bb.69:
	v_bfe_u32 v78, v79, 16, 1
	s_delay_alu instid0(VALU_DEP_1)
	v_add3_u32 v78, v79, v78, 0x7fff
                                        ; implicit-def: $vgpr79
; %bb.70:
	s_and_not1_saveexec_b32 s2, s2
; %bb.71:
	v_and_b32_e32 v78, 0xffff, v79
	v_or_b32_e32 v83, 0x10000, v79
	s_delay_alu instid0(VALU_DEP_2) | instskip(NEXT) | instid1(VALU_DEP_2)
	v_cmp_eq_u32_e32 vcc_lo, 0, v78
	v_cndmask_b32_e32 v78, v83, v79, vcc_lo
; %bb.72:
	s_or_b32 exec_lo, exec_lo, s2
	v_and_b32_e32 v79, 0x7f800000, v70
	s_delay_alu instid0(VALU_DEP_1) | instskip(SKIP_1) | instid1(SALU_CYCLE_1)
	v_cmp_ne_u32_e32 vcc_lo, 0x7f800000, v79
                                        ; implicit-def: $vgpr79
	s_and_saveexec_b32 s2, vcc_lo
	s_xor_b32 s2, exec_lo, s2
; %bb.73:
	v_bfe_u32 v79, v70, 16, 1
	s_delay_alu instid0(VALU_DEP_1)
	v_add3_u32 v79, v70, v79, 0x7fff
                                        ; implicit-def: $vgpr70
; %bb.74:
	s_and_not1_saveexec_b32 s2, s2
; %bb.75:
	v_and_b32_e32 v79, 0xffff, v70
	v_or_b32_e32 v83, 0x10000, v70
	s_delay_alu instid0(VALU_DEP_2) | instskip(NEXT) | instid1(VALU_DEP_2)
	v_cmp_eq_u32_e32 vcc_lo, 0, v79
	v_cndmask_b32_e32 v79, v83, v70, vcc_lo
; %bb.76:
	s_or_b32 exec_lo, exec_lo, s2
	s_delay_alu instid0(VALU_DEP_1)
	v_perm_b32 v86, v79, v78, 0x7060302
	v_perm_b32 v85, v77, v82, 0x7060302
	;; [unrolled: 1-line block ×4, first 2 shown]
	v_lshl_or_b32 v82, v66, 11, v80
	ds_store_b128 v76, v[83:86] offset:1024
	s_waitcnt lgkmcnt(0)
	s_barrier
	buffer_gl0_inv
	ds_load_b128 v[69:72], v82
	ds_load_b128 v[83:86], v82 offset:16
	s_waitcnt lgkmcnt(1)
	v_lshrrev_b32_e32 v66, 16, v69
	s_waitcnt lgkmcnt(0)
	v_lshrrev_b32_e32 v91, 16, v83
	v_lshlrev_b32_e32 v78, 2, v74
	v_lshrrev_b32_e32 v95, 16, v70
	v_lshrrev_b32_e32 v98, 16, v84
	;; [unrolled: 1-line block ×4, first 2 shown]
	v_cmp_eq_u32_e32 vcc_lo, 1, v78
	v_lshrrev_b32_e32 v97, 16, v72
	v_lshrrev_b32_e32 v100, 16, v86
	v_cndmask_b32_e32 v87, v83, v91, vcc_lo
	v_or_b32_e32 v79, 1, v78
	v_cndmask_b32_e32 v81, v69, v66, vcc_lo
	v_cmp_eq_u32_e64 s3, 2, v78
	v_cmp_eq_u32_e64 s6, 3, v78
	;; [unrolled: 1-line block ×5, first 2 shown]
	v_cndmask_b32_e64 v81, v81, v70, s3
	v_cndmask_b32_e64 v87, v87, v84, s3
	v_cmp_eq_u32_e64 s7, 3, v79
	v_cndmask_b32_e64 v88, v69, v66, s2
	v_or_b32_e32 v77, 2, v78
	v_cndmask_b32_e64 v81, v81, v95, s6
	v_cndmask_b32_e64 v87, v87, v98, s6
	;; [unrolled: 1-line block ×4, first 2 shown]
	v_cmp_eq_u32_e64 s9, 5, v78
	v_cndmask_b32_e64 v81, v81, v71, s8
	v_cndmask_b32_e64 v87, v87, v85, s8
	v_cmp_eq_u32_e64 s10, 4, v79
	v_cndmask_b32_e64 v88, v88, v95, s7
	v_cmp_eq_u32_e64 s4, 1, v77
	v_cndmask_b32_e64 v89, v89, v84, s5
	v_cndmask_b32_e64 v81, v81, v96, s9
	v_cmp_eq_u32_e64 s11, 6, v78
	v_cndmask_b32_e64 v88, v88, v71, s10
	;; [unrolled: 3-line block ×3, first 2 shown]
	v_cndmask_b32_e64 v89, v89, v98, s7
	v_cndmask_b32_e64 v81, v81, v72, s11
	v_cmp_eq_u32_e64 s13, 7, v78
	v_cndmask_b32_e64 v88, v88, v96, s12
	v_cndmask_b32_e64 v87, v87, v86, s11
	v_cmp_eq_u32_e64 s15, 6, v79
	v_cmp_eq_u32_e64 s16, 2, v77
	v_cndmask_b32_e64 v89, v89, v85, s10
	v_cndmask_b32_e64 v101, v81, v97, s13
	v_cndmask_b32_e64 v102, v87, v100, s13
	v_cndmask_b32_e64 v88, v88, v72, s15
	v_cndmask_b32_e64 v81, v90, v70, s16
	v_cndmask_b32_e64 v87, v83, v91, s4
	v_cmp_eq_u32_e64 s17, 7, v79
	v_cmp_eq_u32_e64 s18, 3, v77
	;; [unrolled: 1-line block ×4, first 2 shown]
	v_cndmask_b32_e64 v87, v87, v84, s16
	v_cndmask_b32_e64 v103, v88, v97, s17
	;; [unrolled: 1-line block ×4, first 2 shown]
	v_or_b32_e32 v81, 3, v78
	v_cndmask_b32_e64 v93, v87, v98, s18
	v_cmp_eq_u32_e64 s23, 6, v77
	v_cndmask_b32_e64 v104, v88, v86, s15
	v_cndmask_b32_e64 v92, v89, v71, s19
	v_cmp_eq_u32_e64 s20, 1, v81
	ds_load_b128 v[87:90], v82 offset:1024
	v_cmp_eq_u32_e64 s22, 2, v81
	v_cmp_eq_u32_e64 s24, 3, v81
	v_cndmask_b32_e64 v105, v92, v96, s21
	v_cndmask_b32_e64 v66, v69, v66, s20
	;; [unrolled: 1-line block ×4, first 2 shown]
	ds_load_b128 v[91:94], v82 offset:1040
	v_cmp_eq_u32_e64 s25, 4, v81
	v_cndmask_b32_e64 v66, v66, v70, s22
	v_cmp_eq_u32_e64 s26, 7, v77
	v_cndmask_b32_e64 v70, v83, v84, s22
	v_cndmask_b32_e64 v84, v105, v72, s23
	v_cmp_eq_u32_e64 s27, 5, v81
	v_cndmask_b32_e64 v66, v66, v95, s24
	v_cmp_eq_u32_e64 s28, 6, v81
	v_cndmask_b32_e64 v70, v70, v98, s24
	v_cndmask_b32_e64 v69, v69, v99, s21
	;; [unrolled: 1-line block ×4, first 2 shown]
	s_waitcnt lgkmcnt(1)
	v_lshrrev_b32_e32 v95, 16, v87
	v_cndmask_b32_e64 v70, v70, v85, s25
	v_cndmask_b32_e64 v71, v84, v97, s26
	;; [unrolled: 1-line block ×4, first 2 shown]
	v_cndmask_b32_e32 v84, v87, v95, vcc_lo
	v_cndmask_b32_e64 v70, v70, v99, s27
	s_waitcnt lgkmcnt(0)
	v_lshrrev_b32_e32 v85, 16, v91
	v_lshrrev_b32_e32 v96, 16, v88
	v_cndmask_b32_e64 v98, v87, v95, s2
	v_cndmask_b32_e64 v84, v84, v88, s3
	;; [unrolled: 1-line block ×3, first 2 shown]
	v_cndmask_b32_e32 v99, v91, v85, vcc_lo
	v_cmp_eq_u32_e32 vcc_lo, 7, v81
	v_cndmask_b32_e64 v66, v66, v72, s28
	v_cndmask_b32_e64 v72, v84, v96, s6
	;; [unrolled: 1-line block ×3, first 2 shown]
	v_lshrrev_b32_e32 v98, 16, v92
	v_cndmask_b32_e32 v70, v70, v100, vcc_lo
	v_cndmask_b32_e64 v86, v99, v92, s3
	v_cndmask_b32_e64 v69, v69, v100, s26
	v_lshrrev_b32_e32 v100, 16, v93
	v_cndmask_b32_e64 v72, v72, v89, s8
	v_lshrrev_b32_e32 v99, 16, v89
	v_cndmask_b32_e64 v86, v86, v98, s6
	v_perm_b32 v71, v69, v71, 0x5040100
	v_cndmask_b32_e64 v84, v84, v96, s7
	s_delay_alu instid0(VALU_DEP_3) | instskip(NEXT) | instid1(VALU_DEP_2)
	v_cndmask_b32_e64 v86, v86, v93, s8
	v_cndmask_b32_e64 v84, v84, v89, s10
	s_delay_alu instid0(VALU_DEP_2) | instskip(NEXT) | instid1(VALU_DEP_1)
	v_cndmask_b32_e64 v86, v86, v100, s9
	v_cndmask_b32_e64 v69, v86, v94, s11
	;; [unrolled: 1-line block ×5, first 2 shown]
	s_delay_alu instid0(VALU_DEP_3) | instskip(NEXT) | instid1(VALU_DEP_3)
	v_cndmask_b32_e64 v86, v86, v88, s16
	v_cndmask_b32_e64 v87, v87, v88, s22
	s_delay_alu instid0(VALU_DEP_3) | instskip(NEXT) | instid1(VALU_DEP_3)
	v_cndmask_b32_e64 v88, v95, v92, s22
	v_cndmask_b32_e64 v86, v86, v96, s18
	s_delay_alu instid0(VALU_DEP_3) | instskip(NEXT) | instid1(VALU_DEP_3)
	v_cndmask_b32_e64 v87, v87, v96, s24
	v_cndmask_b32_e64 v88, v88, v98, s24
	s_delay_alu instid0(VALU_DEP_3) | instskip(NEXT) | instid1(VALU_DEP_3)
	v_cndmask_b32_e64 v86, v86, v89, s19
	v_cndmask_b32_e64 v87, v87, v89, s25
	s_delay_alu instid0(VALU_DEP_3) | instskip(NEXT) | instid1(VALU_DEP_3)
	v_cndmask_b32_e64 v88, v88, v93, s25
	v_cndmask_b32_e64 v86, v86, v99, s21
	s_delay_alu instid0(VALU_DEP_3) | instskip(NEXT) | instid1(VALU_DEP_3)
	v_cndmask_b32_e64 v87, v87, v99, s27
	v_cndmask_b32_e64 v88, v88, v100, s27
	s_delay_alu instid0(VALU_DEP_3) | instskip(NEXT) | instid1(VALU_DEP_3)
	v_cndmask_b32_e64 v86, v86, v90, s23
	v_cndmask_b32_e64 v87, v87, v90, s28
	s_delay_alu instid0(VALU_DEP_3) | instskip(SKIP_2) | instid1(VALU_DEP_2)
	v_cndmask_b32_e64 v88, v88, v94, s28
	v_cndmask_b32_e32 v66, v66, v97, vcc_lo
	v_cndmask_b32_e64 v97, v72, v99, s9
	v_perm_b32 v72, v70, v66, 0x5040100
	v_perm_b32 v70, v83, v103, 0x5040100
	v_cndmask_b32_e64 v103, v91, v85, s4
	v_cndmask_b32_e64 v85, v91, v85, s2
	;; [unrolled: 1-line block ×4, first 2 shown]
	v_lshrrev_b32_e32 v97, 16, v90
	v_cndmask_b32_e64 v91, v103, v92, s16
	v_cndmask_b32_e64 v85, v85, v92, s5
	;; [unrolled: 1-line block ×3, first 2 shown]
	s_mov_b32 s2, exec_lo
	v_cndmask_b32_e64 v83, v84, v97, s13
	v_cndmask_b32_e64 v91, v91, v98, s18
	v_cndmask_b32_e64 v85, v85, v98, s7
	v_lshrrev_b32_e32 v84, 16, v94
	v_cndmask_b32_e64 v66, v66, v97, s17
	v_cndmask_b32_e64 v90, v86, v97, s26
	;; [unrolled: 1-line block ×4, first 2 shown]
	v_dual_cndmask_b32 v86, v87, v97 :: v_dual_cndmask_b32 v87, v88, v84
	v_cndmask_b32_e64 v91, v69, v84, s13
	s_delay_alu instid0(VALU_DEP_4) | instskip(NEXT) | instid1(VALU_DEP_4)
	v_cndmask_b32_e64 v89, v89, v100, s21
	v_cndmask_b32_e64 v85, v85, v100, s12
	v_perm_b32 v69, v102, v101, 0x5040100
	v_perm_b32 v86, v87, v86, 0x5040100
	;; [unrolled: 1-line block ×3, first 2 shown]
	v_cndmask_b32_e64 v89, v89, v94, s23
	v_cndmask_b32_e64 v85, v85, v94, s15
	s_mul_i32 s7, s35, 14
	s_delay_alu instid0(VALU_DEP_2) | instskip(NEXT) | instid1(VALU_DEP_2)
	v_cndmask_b32_e64 v88, v89, v84, s26
	v_cndmask_b32_e64 v89, v85, v84, s17
	s_delay_alu instid0(VALU_DEP_2) | instskip(NEXT) | instid1(VALU_DEP_2)
	v_perm_b32 v85, v88, v90, 0x5040100
	v_perm_b32 v84, v89, v66, 0x5040100
	ds_store_b128 v76, v[69:72]
	ds_store_b128 v76, v[83:86] offset:1024
	v_cmpx_gt_u32_e32 14, v0
	s_cbranch_execz .LBB1579_78
; %bb.77:
	s_mul_i32 s3, s7, s30
	s_load_b128 s[8:11], s[0:1], 0x58
	v_add3_u32 v69, s3, s29, v65
	s_delay_alu instid0(VALU_DEP_1) | instskip(NEXT) | instid1(VALU_DEP_1)
	v_mad_u64_u32 v[65:66], null, v69, s34, s[14:15]
	v_ashrrev_i32_e32 v66, 31, v65
	s_delay_alu instid0(VALU_DEP_1) | instskip(SKIP_1) | instid1(VALU_DEP_1)
	v_lshlrev_b64 v[65:66], 2, v[65:66]
	s_waitcnt lgkmcnt(0)
	v_add_co_u32 v69, vcc_lo, s10, v65
	s_delay_alu instid0(VALU_DEP_2)
	v_add_co_ci_u32_e32 v70, vcc_lo, s11, v66, vcc_lo
	v_add_co_u32 v65, vcc_lo, s8, v65
	v_add_co_ci_u32_e32 v66, vcc_lo, s9, v66, vcc_lo
	global_store_b32 v[69:70], v67, off
	global_store_b32 v[65:66], v68, off
.LBB1579_78:
	s_or_b32 exec_lo, exec_lo, s2
	s_waitcnt lgkmcnt(0)
	s_waitcnt_vscnt null, 0x0
	s_barrier
	buffer_gl0_inv
	ds_load_b128 v[83:86], v80
	ds_load_b128 v[87:90], v80 offset:16
	ds_load_b128 v[95:98], v80 offset:2064
	ds_load_b128 v[91:94], v80 offset:2048
	v_mov_b32_e32 v65, 0
	ds_load_b128 v[103:106], v80 offset:4112
	ds_load_b128 v[99:102], v80 offset:4096
	;; [unrolled: 1-line block ×4, first 2 shown]
	v_mov_b32_e32 v66, v65
	v_mov_b32_e32 v67, v65
	;; [unrolled: 1-line block ×7, first 2 shown]
	s_waitcnt lgkmcnt(6)
	s_delay_alu instid0(VALU_DEP_1)
	v_wmma_f32_16x16x16_bf16 v[65:72], v[49:56], v[83:90], v[65:72]
	ds_load_b128 v[53:56], v80 offset:8208
	ds_load_b128 v[49:52], v80 offset:8192
	s_waitcnt lgkmcnt(6)
	v_wmma_f32_16x16x16_bf16 v[65:72], v[41:48], v[91:98], v[65:72]
	ds_load_b128 v[45:48], v80 offset:10256
	ds_load_b128 v[41:44], v80 offset:10240
	s_waitcnt lgkmcnt(6)
	;; [unrolled: 4-line block ×4, first 2 shown]
	v_wmma_f32_16x16x16_bf16 v[65:72], v[1:8], v[49:56], v[65:72]
	s_waitcnt lgkmcnt(4)
	s_delay_alu instid0(VALU_DEP_1) | instskip(SKIP_1) | instid1(VALU_DEP_1)
	v_wmma_f32_16x16x16_bf16 v[65:72], v[9:16], v[41:48], v[65:72]
	s_waitcnt lgkmcnt(2)
	v_wmma_f32_16x16x16_bf16 v[65:72], v[17:24], v[33:40], v[65:72]
	s_waitcnt lgkmcnt(0)
	s_delay_alu instid0(VALU_DEP_1) | instskip(NEXT) | instid1(VALU_DEP_1)
	v_wmma_f32_16x16x16_bf16 v[65:72], v[57:64], v[25:32], v[65:72]
	v_and_b32_e32 v1, 0x7f800000, v65
	s_delay_alu instid0(VALU_DEP_1) | instskip(SKIP_1) | instid1(SALU_CYCLE_1)
	v_cmp_ne_u32_e32 vcc_lo, 0x7f800000, v1
                                        ; implicit-def: $vgpr1
	s_and_saveexec_b32 s2, vcc_lo
	s_xor_b32 s2, exec_lo, s2
; %bb.79:
	v_bfe_u32 v1, v65, 16, 1
	s_delay_alu instid0(VALU_DEP_1)
	v_add3_u32 v1, v65, v1, 0x7fff
; %bb.80:
	s_and_not1_saveexec_b32 s2, s2
; %bb.81:
	v_and_b32_e32 v1, 0xffff, v65
	v_or_b32_e32 v2, 0x10000, v65
	s_delay_alu instid0(VALU_DEP_2) | instskip(NEXT) | instid1(VALU_DEP_2)
	v_cmp_eq_u32_e32 vcc_lo, 0, v1
	v_cndmask_b32_e32 v1, v2, v65, vcc_lo
; %bb.82:
	s_or_b32 exec_lo, exec_lo, s2
	v_and_b32_e32 v2, 0x7f800000, v66
	s_delay_alu instid0(VALU_DEP_1) | instskip(SKIP_1) | instid1(SALU_CYCLE_1)
	v_cmp_ne_u32_e32 vcc_lo, 0x7f800000, v2
                                        ; implicit-def: $vgpr2
	s_and_saveexec_b32 s2, vcc_lo
	s_xor_b32 s2, exec_lo, s2
; %bb.83:
	v_bfe_u32 v2, v66, 16, 1
	s_delay_alu instid0(VALU_DEP_1)
	v_add3_u32 v2, v66, v2, 0x7fff
; %bb.84:
	s_and_not1_saveexec_b32 s2, s2
; %bb.85:
	v_and_b32_e32 v2, 0xffff, v66
	v_or_b32_e32 v3, 0x10000, v66
	s_delay_alu instid0(VALU_DEP_2) | instskip(NEXT) | instid1(VALU_DEP_2)
	v_cmp_eq_u32_e32 vcc_lo, 0, v2
	v_cndmask_b32_e32 v2, v3, v66, vcc_lo
; %bb.86:
	s_or_b32 exec_lo, exec_lo, s2
	v_and_b32_e32 v3, 0x7f800000, v67
	s_delay_alu instid0(VALU_DEP_1) | instskip(SKIP_1) | instid1(SALU_CYCLE_1)
	v_cmp_ne_u32_e32 vcc_lo, 0x7f800000, v3
                                        ; implicit-def: $vgpr3
	s_and_saveexec_b32 s2, vcc_lo
	s_xor_b32 s2, exec_lo, s2
; %bb.87:
	v_bfe_u32 v3, v67, 16, 1
	s_delay_alu instid0(VALU_DEP_1)
	v_add3_u32 v3, v67, v3, 0x7fff
; %bb.88:
	s_and_not1_saveexec_b32 s2, s2
; %bb.89:
	v_and_b32_e32 v3, 0xffff, v67
	v_or_b32_e32 v4, 0x10000, v67
	s_delay_alu instid0(VALU_DEP_2) | instskip(NEXT) | instid1(VALU_DEP_2)
	v_cmp_eq_u32_e32 vcc_lo, 0, v3
	v_cndmask_b32_e32 v3, v4, v67, vcc_lo
; %bb.90:
	s_or_b32 exec_lo, exec_lo, s2
	v_and_b32_e32 v4, 0x7f800000, v68
	s_delay_alu instid0(VALU_DEP_1) | instskip(SKIP_1) | instid1(SALU_CYCLE_1)
	v_cmp_ne_u32_e32 vcc_lo, 0x7f800000, v4
                                        ; implicit-def: $vgpr4
	s_and_saveexec_b32 s2, vcc_lo
	s_xor_b32 s2, exec_lo, s2
; %bb.91:
	v_bfe_u32 v4, v68, 16, 1
	s_delay_alu instid0(VALU_DEP_1)
	v_add3_u32 v4, v68, v4, 0x7fff
; %bb.92:
	s_and_not1_saveexec_b32 s2, s2
; %bb.93:
	v_and_b32_e32 v4, 0xffff, v68
	v_or_b32_e32 v5, 0x10000, v68
	s_delay_alu instid0(VALU_DEP_2) | instskip(NEXT) | instid1(VALU_DEP_2)
	v_cmp_eq_u32_e32 vcc_lo, 0, v4
	v_cndmask_b32_e32 v4, v5, v68, vcc_lo
; %bb.94:
	s_or_b32 exec_lo, exec_lo, s2
	v_and_b32_e32 v5, 0x7f800000, v69
	s_delay_alu instid0(VALU_DEP_1) | instskip(SKIP_1) | instid1(SALU_CYCLE_1)
	v_cmp_ne_u32_e32 vcc_lo, 0x7f800000, v5
                                        ; implicit-def: $vgpr5
	s_and_saveexec_b32 s2, vcc_lo
	s_xor_b32 s2, exec_lo, s2
; %bb.95:
	v_bfe_u32 v5, v69, 16, 1
	s_delay_alu instid0(VALU_DEP_1)
	v_add3_u32 v5, v69, v5, 0x7fff
; %bb.96:
	s_and_not1_saveexec_b32 s2, s2
; %bb.97:
	v_and_b32_e32 v5, 0xffff, v69
	v_or_b32_e32 v6, 0x10000, v69
	s_delay_alu instid0(VALU_DEP_2) | instskip(NEXT) | instid1(VALU_DEP_2)
	v_cmp_eq_u32_e32 vcc_lo, 0, v5
	v_cndmask_b32_e32 v5, v6, v69, vcc_lo
; %bb.98:
	s_or_b32 exec_lo, exec_lo, s2
	v_and_b32_e32 v6, 0x7f800000, v70
	s_delay_alu instid0(VALU_DEP_1) | instskip(SKIP_1) | instid1(SALU_CYCLE_1)
	v_cmp_ne_u32_e32 vcc_lo, 0x7f800000, v6
                                        ; implicit-def: $vgpr6
	s_and_saveexec_b32 s2, vcc_lo
	s_xor_b32 s2, exec_lo, s2
; %bb.99:
	v_bfe_u32 v6, v70, 16, 1
	s_delay_alu instid0(VALU_DEP_1)
	v_add3_u32 v6, v70, v6, 0x7fff
; %bb.100:
	s_and_not1_saveexec_b32 s2, s2
; %bb.101:
	v_and_b32_e32 v6, 0xffff, v70
	v_or_b32_e32 v7, 0x10000, v70
	s_delay_alu instid0(VALU_DEP_2) | instskip(NEXT) | instid1(VALU_DEP_2)
	v_cmp_eq_u32_e32 vcc_lo, 0, v6
	v_cndmask_b32_e32 v6, v7, v70, vcc_lo
; %bb.102:
	s_or_b32 exec_lo, exec_lo, s2
	v_and_b32_e32 v7, 0x7f800000, v71
	s_delay_alu instid0(VALU_DEP_1) | instskip(SKIP_1) | instid1(SALU_CYCLE_1)
	v_cmp_ne_u32_e32 vcc_lo, 0x7f800000, v7
                                        ; implicit-def: $vgpr7
	s_and_saveexec_b32 s2, vcc_lo
	s_xor_b32 s2, exec_lo, s2
; %bb.103:
	v_bfe_u32 v7, v71, 16, 1
	s_delay_alu instid0(VALU_DEP_1)
	v_add3_u32 v7, v71, v7, 0x7fff
; %bb.104:
	s_and_not1_saveexec_b32 s2, s2
; %bb.105:
	v_and_b32_e32 v7, 0xffff, v71
	v_or_b32_e32 v8, 0x10000, v71
	s_delay_alu instid0(VALU_DEP_2) | instskip(NEXT) | instid1(VALU_DEP_2)
	v_cmp_eq_u32_e32 vcc_lo, 0, v7
	v_cndmask_b32_e32 v7, v8, v71, vcc_lo
; %bb.106:
	s_or_b32 exec_lo, exec_lo, s2
	v_and_b32_e32 v8, 0x7f800000, v72
	s_delay_alu instid0(VALU_DEP_1) | instskip(SKIP_1) | instid1(SALU_CYCLE_1)
	v_cmp_ne_u32_e32 vcc_lo, 0x7f800000, v8
                                        ; implicit-def: $vgpr8
	s_and_saveexec_b32 s2, vcc_lo
	s_xor_b32 s2, exec_lo, s2
; %bb.107:
	v_bfe_u32 v8, v72, 16, 1
	s_delay_alu instid0(VALU_DEP_1)
	v_add3_u32 v8, v72, v8, 0x7fff
                                        ; implicit-def: $vgpr65_vgpr66_vgpr67_vgpr68_vgpr69_vgpr70_vgpr71_vgpr72
; %bb.108:
	s_and_not1_saveexec_b32 s2, s2
; %bb.109:
	v_and_b32_e32 v8, 0xffff, v72
	v_or_b32_e32 v9, 0x10000, v72
	s_delay_alu instid0(VALU_DEP_2) | instskip(NEXT) | instid1(VALU_DEP_2)
	v_cmp_eq_u32_e32 vcc_lo, 0, v8
	v_cndmask_b32_e32 v8, v9, v72, vcc_lo
; %bb.110:
	s_or_b32 exec_lo, exec_lo, s2
	s_delay_alu instid0(VALU_DEP_1)
	v_perm_b32 v7, v8, v7, 0x7060302
	v_perm_b32 v6, v6, v5, 0x7060302
	;; [unrolled: 1-line block ×4, first 2 shown]
	s_barrier
	buffer_gl0_inv
	v_cmp_eq_u32_e32 vcc_lo, 1, v78
	ds_store_b128 v76, v[4:7]
	s_waitcnt lgkmcnt(0)
	s_barrier
	buffer_gl0_inv
	ds_load_b128 v[1:4], v82
	ds_load_b128 v[5:8], v82 offset:16
	v_cmp_eq_u32_e64 s2, 1, v79
	v_cmp_eq_u32_e64 s3, 2, v78
	;; [unrolled: 1-line block ×5, first 2 shown]
	s_waitcnt lgkmcnt(1)
	v_lshrrev_b32_e32 v9, 16, v1
	s_waitcnt lgkmcnt(0)
	v_lshrrev_b32_e32 v13, 16, v5
	v_lshrrev_b32_e32 v10, 16, v2
	;; [unrolled: 1-line block ×4, first 2 shown]
	v_cndmask_b32_e64 v19, v1, v9, s2
	v_cndmask_b32_e32 v18, v5, v13, vcc_lo
	v_cndmask_b32_e64 v20, v5, v13, s2
	v_cndmask_b32_e32 v17, v1, v9, vcc_lo
	v_cmp_eq_u32_e32 vcc_lo, 2, v79
	v_lshrrev_b32_e32 v15, 16, v7
	v_cmp_eq_u32_e64 s2, 1, v77
	v_lshrrev_b32_e32 v12, 16, v4
	v_lshrrev_b32_e32 v16, 16, v8
	v_cndmask_b32_e32 v20, v20, v6, vcc_lo
	v_cndmask_b32_e64 v17, v17, v2, s3
	v_cndmask_b32_e32 v19, v19, v2, vcc_lo
	v_cndmask_b32_e64 v18, v18, v6, s3
	v_cmp_eq_u32_e32 vcc_lo, 4, v78
	v_cmp_eq_u32_e64 s3, 3, v79
	v_cndmask_b32_e64 v17, v17, v10, s4
	v_cndmask_b32_e64 v21, v1, v9, s2
	;; [unrolled: 1-line block ×5, first 2 shown]
	v_cndmask_b32_e32 v17, v17, v3, vcc_lo
	v_cndmask_b32_e64 v20, v20, v14, s3
	v_cndmask_b32_e32 v18, v18, v7, vcc_lo
	v_cmp_eq_u32_e32 vcc_lo, 4, v79
	v_cmp_eq_u32_e64 s3, 5, v79
	v_cmp_eq_u32_e64 s2, 2, v81
	v_cndmask_b32_e64 v21, v21, v2, s6
	v_cmp_eq_u32_e64 s4, 5, v78
	v_cndmask_b32_e32 v19, v19, v3, vcc_lo
	v_cndmask_b32_e32 v20, v20, v7, vcc_lo
	v_cmp_eq_u32_e32 vcc_lo, 6, v79
	s_delay_alu instid0(VALU_DEP_4) | instskip(NEXT) | instid1(VALU_DEP_4)
	v_cndmask_b32_e64 v17, v17, v11, s4
	v_cndmask_b32_e64 v19, v19, v11, s3
	s_delay_alu instid0(VALU_DEP_4) | instskip(SKIP_1) | instid1(VALU_DEP_3)
	v_cndmask_b32_e64 v20, v20, v15, s3
	v_cmp_eq_u32_e64 s3, 1, v81
	v_cndmask_b32_e32 v19, v19, v4, vcc_lo
	v_cndmask_b32_e64 v18, v18, v15, s4
	s_delay_alu instid0(VALU_DEP_3)
	v_cndmask_b32_e64 v1, v1, v9, s3
	v_cndmask_b32_e64 v5, v5, v13, s3
	v_cmp_eq_u32_e64 s3, 3, v77
	v_cndmask_b32_e64 v13, v22, v6, s6
	v_cmp_eq_u32_e64 s6, 3, v81
	v_cndmask_b32_e64 v1, v1, v2, s2
	v_cndmask_b32_e64 v2, v5, v6, s2
	;; [unrolled: 1-line block ×3, first 2 shown]
	v_cmp_eq_u32_e64 s2, 4, v77
	v_cndmask_b32_e64 v6, v13, v14, s3
	v_cndmask_b32_e64 v1, v1, v10, s6
	v_cmp_eq_u32_e64 s3, 4, v81
	v_cndmask_b32_e64 v2, v2, v14, s6
	v_cndmask_b32_e64 v5, v9, v3, s2
	;; [unrolled: 3-line block ×3, first 2 shown]
	v_cndmask_b32_e64 v2, v2, v7, s3
	v_cmp_eq_u32_e64 s2, 5, v81
	v_cmp_eq_u32_e64 s4, 6, v78
	v_cndmask_b32_e64 v5, v5, v11, s6
	v_cmp_eq_u32_e64 s3, 6, v77
	v_cndmask_b32_e64 v3, v6, v15, s6
	v_cndmask_b32_e64 v1, v1, v11, s2
	v_cmp_eq_u32_e64 s6, 6, v81
	v_cndmask_b32_e64 v2, v2, v15, s2
	v_cndmask_b32_e64 v17, v17, v4, s4
	v_cndmask_b32_e64 v18, v18, v8, s4
	v_cmp_eq_u32_e64 s4, 7, v78
	v_cndmask_b32_e64 v5, v5, v4, s3
	;; [unrolled: 4-line block ×3, first 2 shown]
	v_cmp_eq_u32_e64 s3, 7, v77
	v_cndmask_b32_e32 v4, v20, v8, vcc_lo
	v_cndmask_b32_e64 v17, v17, v12, s4
	v_cndmask_b32_e64 v19, v19, v12, s5
	;; [unrolled: 1-line block ×8, first 2 shown]
	s_mov_b32 s2, exec_lo
	v_perm_b32 v4, v2, v1, 0x5040100
	v_perm_b32 v3, v3, v5, 0x5040100
	;; [unrolled: 1-line block ×4, first 2 shown]
	ds_store_b128 v76, v[1:4]
	s_waitcnt lgkmcnt(0)
	s_barrier
	buffer_gl0_inv
	v_cmpx_gt_u32_e32 32, v0
	s_cbranch_execz .LBB1579_2
; %bb.111:
	s_load_b64 s[0:1], s[0:1], 0x68
	v_lshlrev_b32_e32 v0, 10, v0
	s_lshl_b32 s4, s34, 7
	v_or_b32_e32 v3, s29, v74
	s_mul_i32 s2, s4, s30
	v_lshlrev_b32_e32 v1, 4, v75
	v_lshlrev_b32_e32 v2, 6, v74
	v_and_b32_e32 v0, 0x3800, v0
	s_mul_i32 s2, s2, s7
	v_mul_lo_u32 v8, v3, s4
	s_ashr_i32 s3, s2, 31
	s_delay_alu instid0(SALU_CYCLE_1)
	s_lshl_b64 s[2:3], s[2:3], 1
	v_or3_b32 v16, v0, v1, v2
	ds_load_b128 v[0:3], v16
	ds_load_b128 v[4:7], v16 offset:128
	v_ashrrev_i32_e32 v9, 31, v8
	s_waitcnt lgkmcnt(0)
	s_add_u32 s2, s0, s2
	s_addc_u32 s3, s1, s3
	s_lshl_b32 s0, s14, 7
	s_delay_alu instid0(SALU_CYCLE_1) | instskip(SKIP_2) | instid1(SALU_CYCLE_1)
	s_ashr_i32 s1, s0, 31
	v_lshlrev_b64 v[9:10], 1, v[8:9]
	s_lshl_b64 s[0:1], s[0:1], 1
	s_add_u32 s0, s2, s0
	s_addc_u32 s1, s3, s1
	s_lshl_b32 s2, s34, 8
	v_add_co_u32 v30, s0, s0, v73
	v_add_nc_u32_e32 v11, s2, v8
	v_add_co_ci_u32_e64 v31, null, s1, 0, s0
	s_delay_alu instid0(VALU_DEP_3) | instskip(NEXT) | instid1(VALU_DEP_3)
	v_add_co_u32 v9, vcc_lo, v30, v9
	v_add_nc_u32_e32 v8, s2, v11
	s_delay_alu instid0(VALU_DEP_3) | instskip(SKIP_1) | instid1(VALU_DEP_3)
	v_add_co_ci_u32_e32 v10, vcc_lo, v31, v10, vcc_lo
	v_ashrrev_i32_e32 v12, 31, v11
	v_add_nc_u32_e32 v13, s2, v8
	global_store_b128 v[9:10], v[0:3], off
	v_ashrrev_i32_e32 v9, 31, v8
	v_lshlrev_b64 v[11:12], 1, v[11:12]
	v_ashrrev_i32_e32 v14, 31, v13
	v_add_nc_u32_e32 v10, s2, v13
	s_delay_alu instid0(VALU_DEP_4) | instskip(NEXT) | instid1(VALU_DEP_4)
	v_lshlrev_b64 v[2:3], 1, v[8:9]
	v_add_co_u32 v0, vcc_lo, v30, v11
	s_delay_alu instid0(VALU_DEP_4)
	v_lshlrev_b64 v[8:9], 1, v[13:14]
	v_add_co_ci_u32_e32 v1, vcc_lo, v31, v12, vcc_lo
	v_ashrrev_i32_e32 v11, 31, v10
	v_add_co_u32 v22, vcc_lo, v30, v2
	v_add_nc_u32_e32 v20, s2, v10
	v_add_co_ci_u32_e32 v23, vcc_lo, v31, v3, vcc_lo
	v_add_co_u32 v24, vcc_lo, v30, v8
	global_store_b128 v[0:1], v[4:7], off
	v_add_co_ci_u32_e32 v25, vcc_lo, v31, v9, vcc_lo
	ds_load_b128 v[0:3], v16 offset:256
	ds_load_b128 v[4:7], v16 offset:384
	v_lshlrev_b64 v[26:27], 1, v[10:11]
	ds_load_b128 v[8:11], v16 offset:512
	ds_load_b128 v[12:15], v16 offset:640
	;; [unrolled: 1-line block ×3, first 2 shown]
	v_add_nc_u32_e32 v28, s2, v20
	v_ashrrev_i32_e32 v21, 31, v20
	v_add_co_u32 v26, vcc_lo, v30, v26
	s_delay_alu instid0(VALU_DEP_3) | instskip(NEXT) | instid1(VALU_DEP_3)
	v_ashrrev_i32_e32 v29, 31, v28
	v_lshlrev_b64 v[20:21], 1, v[20:21]
	v_add_co_ci_u32_e32 v27, vcc_lo, v31, v27, vcc_lo
	s_delay_alu instid0(VALU_DEP_3) | instskip(NEXT) | instid1(VALU_DEP_3)
	v_lshlrev_b64 v[28:29], 1, v[28:29]
	v_add_co_u32 v20, vcc_lo, v30, v20
	s_delay_alu instid0(VALU_DEP_4) | instskip(NEXT) | instid1(VALU_DEP_3)
	v_add_co_ci_u32_e32 v21, vcc_lo, v31, v21, vcc_lo
	v_add_co_u32 v28, vcc_lo, v30, v28
	s_delay_alu instid0(VALU_DEP_4)
	v_add_co_ci_u32_e32 v29, vcc_lo, v31, v29, vcc_lo
	s_waitcnt lgkmcnt(4)
	global_store_b128 v[22:23], v[0:3], off
	s_waitcnt lgkmcnt(3)
	global_store_b128 v[24:25], v[4:7], off
	;; [unrolled: 2-line block ×5, first 2 shown]
	s_nop 0
	s_sendmsg sendmsg(MSG_DEALLOC_VGPRS)
	s_endpgm
	.section	.rodata,"a",@progbits
	.p2align	6, 0x0
	.amdhsa_kernel _Z39paged_attention_ll4mi_QKV_mfma16_kernelI14__hip_bfloat16hLN4vllm18Fp8KVCacheDataTypeE1ES0_Li16ELi128ELi256ELb0ELi14EL8MFMAType1EEvPKT_PKT0_S9_ifPKiSB_SB_iPKfiiiPfSE_PS4_PT2_iSD_SD_
		.amdhsa_group_segment_fixed_size 17472
		.amdhsa_private_segment_fixed_size 0
		.amdhsa_kernarg_size 400
		.amdhsa_user_sgpr_count 13
		.amdhsa_user_sgpr_dispatch_ptr 0
		.amdhsa_user_sgpr_queue_ptr 0
		.amdhsa_user_sgpr_kernarg_segment_ptr 1
		.amdhsa_user_sgpr_dispatch_id 0
		.amdhsa_user_sgpr_private_segment_size 0
		.amdhsa_wavefront_size32 1
		.amdhsa_uses_dynamic_stack 0
		.amdhsa_enable_private_segment 0
		.amdhsa_system_sgpr_workgroup_id_x 1
		.amdhsa_system_sgpr_workgroup_id_y 1
		.amdhsa_system_sgpr_workgroup_id_z 1
		.amdhsa_system_sgpr_workgroup_info 0
		.amdhsa_system_vgpr_workitem_id 0
		.amdhsa_next_free_vgpr 140
		.amdhsa_next_free_sgpr 36
		.amdhsa_reserve_vcc 1
		.amdhsa_float_round_mode_32 0
		.amdhsa_float_round_mode_16_64 0
		.amdhsa_float_denorm_mode_32 3
		.amdhsa_float_denorm_mode_16_64 3
		.amdhsa_dx10_clamp 1
		.amdhsa_ieee_mode 1
		.amdhsa_fp16_overflow 0
		.amdhsa_workgroup_processor_mode 1
		.amdhsa_memory_ordered 1
		.amdhsa_forward_progress 0
		.amdhsa_shared_vgpr_count 0
		.amdhsa_exception_fp_ieee_invalid_op 0
		.amdhsa_exception_fp_denorm_src 0
		.amdhsa_exception_fp_ieee_div_zero 0
		.amdhsa_exception_fp_ieee_overflow 0
		.amdhsa_exception_fp_ieee_underflow 0
		.amdhsa_exception_fp_ieee_inexact 0
		.amdhsa_exception_int_div_zero 0
	.end_amdhsa_kernel
	.section	.text._Z39paged_attention_ll4mi_QKV_mfma16_kernelI14__hip_bfloat16hLN4vllm18Fp8KVCacheDataTypeE1ES0_Li16ELi128ELi256ELb0ELi14EL8MFMAType1EEvPKT_PKT0_S9_ifPKiSB_SB_iPKfiiiPfSE_PS4_PT2_iSD_SD_,"axG",@progbits,_Z39paged_attention_ll4mi_QKV_mfma16_kernelI14__hip_bfloat16hLN4vllm18Fp8KVCacheDataTypeE1ES0_Li16ELi128ELi256ELb0ELi14EL8MFMAType1EEvPKT_PKT0_S9_ifPKiSB_SB_iPKfiiiPfSE_PS4_PT2_iSD_SD_,comdat
.Lfunc_end1579:
	.size	_Z39paged_attention_ll4mi_QKV_mfma16_kernelI14__hip_bfloat16hLN4vllm18Fp8KVCacheDataTypeE1ES0_Li16ELi128ELi256ELb0ELi14EL8MFMAType1EEvPKT_PKT0_S9_ifPKiSB_SB_iPKfiiiPfSE_PS4_PT2_iSD_SD_, .Lfunc_end1579-_Z39paged_attention_ll4mi_QKV_mfma16_kernelI14__hip_bfloat16hLN4vllm18Fp8KVCacheDataTypeE1ES0_Li16ELi128ELi256ELb0ELi14EL8MFMAType1EEvPKT_PKT0_S9_ifPKiSB_SB_iPKfiiiPfSE_PS4_PT2_iSD_SD_
                                        ; -- End function
	.section	.AMDGPU.csdata,"",@progbits
; Kernel info:
; codeLenInByte = 9008
; NumSgprs: 38
; NumVgprs: 140
; ScratchSize: 0
; MemoryBound: 0
; FloatMode: 240
; IeeeMode: 1
; LDSByteSize: 17472 bytes/workgroup (compile time only)
; SGPRBlocks: 4
; VGPRBlocks: 17
; NumSGPRsForWavesPerEU: 38
; NumVGPRsForWavesPerEU: 140
; Occupancy: 10
; WaveLimiterHint : 1
; COMPUTE_PGM_RSRC2:SCRATCH_EN: 0
; COMPUTE_PGM_RSRC2:USER_SGPR: 13
; COMPUTE_PGM_RSRC2:TRAP_HANDLER: 0
; COMPUTE_PGM_RSRC2:TGID_X_EN: 1
; COMPUTE_PGM_RSRC2:TGID_Y_EN: 1
; COMPUTE_PGM_RSRC2:TGID_Z_EN: 1
; COMPUTE_PGM_RSRC2:TIDIG_COMP_CNT: 0
	.section	.text._Z39paged_attention_ll4mi_QKV_mfma16_kernelI14__hip_bfloat16hLN4vllm18Fp8KVCacheDataTypeE1ES0_Li16ELi128ELi256ELb0ELi15EL8MFMAType1EEvPKT_PKT0_S9_ifPKiSB_SB_iPKfiiiPfSE_PS4_PT2_iSD_SD_,"axG",@progbits,_Z39paged_attention_ll4mi_QKV_mfma16_kernelI14__hip_bfloat16hLN4vllm18Fp8KVCacheDataTypeE1ES0_Li16ELi128ELi256ELb0ELi15EL8MFMAType1EEvPKT_PKT0_S9_ifPKiSB_SB_iPKfiiiPfSE_PS4_PT2_iSD_SD_,comdat
	.protected	_Z39paged_attention_ll4mi_QKV_mfma16_kernelI14__hip_bfloat16hLN4vllm18Fp8KVCacheDataTypeE1ES0_Li16ELi128ELi256ELb0ELi15EL8MFMAType1EEvPKT_PKT0_S9_ifPKiSB_SB_iPKfiiiPfSE_PS4_PT2_iSD_SD_ ; -- Begin function _Z39paged_attention_ll4mi_QKV_mfma16_kernelI14__hip_bfloat16hLN4vllm18Fp8KVCacheDataTypeE1ES0_Li16ELi128ELi256ELb0ELi15EL8MFMAType1EEvPKT_PKT0_S9_ifPKiSB_SB_iPKfiiiPfSE_PS4_PT2_iSD_SD_
	.globl	_Z39paged_attention_ll4mi_QKV_mfma16_kernelI14__hip_bfloat16hLN4vllm18Fp8KVCacheDataTypeE1ES0_Li16ELi128ELi256ELb0ELi15EL8MFMAType1EEvPKT_PKT0_S9_ifPKiSB_SB_iPKfiiiPfSE_PS4_PT2_iSD_SD_
	.p2align	8
	.type	_Z39paged_attention_ll4mi_QKV_mfma16_kernelI14__hip_bfloat16hLN4vllm18Fp8KVCacheDataTypeE1ES0_Li16ELi128ELi256ELb0ELi15EL8MFMAType1EEvPKT_PKT0_S9_ifPKiSB_SB_iPKfiiiPfSE_PS4_PT2_iSD_SD_,@function
_Z39paged_attention_ll4mi_QKV_mfma16_kernelI14__hip_bfloat16hLN4vllm18Fp8KVCacheDataTypeE1ES0_Li16ELi128ELi256ELb0ELi15EL8MFMAType1EEvPKT_PKT0_S9_ifPKiSB_SB_iPKfiiiPfSE_PS4_PT2_iSD_SD_: ; @_Z39paged_attention_ll4mi_QKV_mfma16_kernelI14__hip_bfloat16hLN4vllm18Fp8KVCacheDataTypeE1ES0_Li16ELi128ELi256ELb0ELi15EL8MFMAType1EEvPKT_PKT0_S9_ifPKiSB_SB_iPKfiiiPfSE_PS4_PT2_iSD_SD_
; %bb.0:
	s_load_b64 s[4:5], s[0:1], 0x30
	s_mov_b32 s30, s13
	s_waitcnt lgkmcnt(0)
	s_cmp_lg_u64 s[4:5], 0
	s_cselect_b32 s13, -1, 0
	s_ashr_i32 s31, s30, 31
	s_cmp_eq_u64 s[4:5], 0
	s_cbranch_scc1 .LBB1580_3
; %bb.1:
	s_lshl_b64 s[2:3], s[30:31], 2
	s_delay_alu instid0(SALU_CYCLE_1) | instskip(SKIP_4) | instid1(SALU_CYCLE_1)
	s_add_u32 s2, s4, s2
	s_addc_u32 s3, s5, s3
	s_load_b64 s[2:3], s[2:3], 0x0
	s_waitcnt lgkmcnt(0)
	s_sub_i32 s2, s3, s2
	s_cmp_eq_u32 s2, 1
	s_cselect_b32 s2, -1, 0
	s_delay_alu instid0(SALU_CYCLE_1)
	s_and_not1_b32 vcc_lo, exec_lo, s2
	s_cbranch_vccz .LBB1580_4
.LBB1580_2:
	s_nop 0
	s_sendmsg sendmsg(MSG_DEALLOC_VGPRS)
	s_endpgm
.LBB1580_3:
.LBB1580_4:
	s_load_b64 s[2:3], s[0:1], 0x28
	s_lshl_b64 s[6:7], s[30:31], 2
	s_waitcnt lgkmcnt(0)
	s_add_u32 s2, s2, s6
	s_addc_u32 s3, s3, s7
	s_lshl_b32 s12, s14, 8
	s_load_b32 s17, s[2:3], 0x0
	s_waitcnt lgkmcnt(0)
	s_cmp_ge_i32 s12, s17
	s_cbranch_scc1 .LBB1580_2
; %bb.5:
	s_clause 0x1
	s_load_b128 s[8:11], s[0:1], 0x8
	s_load_b64 s[2:3], s[0:1], 0x20
	s_and_not1_b32 vcc_lo, exec_lo, s13
	s_cbranch_vccnz .LBB1580_7
; %bb.6:
	s_add_u32 s4, s4, s6
	s_addc_u32 s5, s5, s7
	s_load_b32 s13, s[4:5], 0x0
	s_branch .LBB1580_8
.LBB1580_7:
	s_mov_b32 s13, s30
.LBB1580_8:
	s_load_b128 s[4:7], s[0:1], 0x48
	v_and_b32_e32 v65, 15, v0
	v_lshrrev_b32_e32 v66, 5, v0
	v_bfe_u32 v74, v0, 4, 1
	v_and_b32_e32 v67, 31, v0
	v_and_b32_e32 v75, 1, v0
	v_lshlrev_b32_e32 v2, 3, v65
	s_mul_i32 s31, s15, 15
	v_lshl_or_b32 v1, v66, 1, v74
	s_waitcnt lgkmcnt(0)
	s_mov_b32 s7, exec_lo
	v_lshlrev_b32_e32 v73, 1, v2
	s_delay_alu instid0(VALU_DEP_2)
	v_cmpx_gt_u32_e32 15, v1
	s_cbranch_execz .LBB1580_10
; %bb.9:
	s_load_b64 s[18:19], s[0:1], 0x0
	v_add_lshl_u32 v2, v1, s31, 7
	s_mul_hi_i32 s21, s13, s4
	s_mul_i32 s20, s13, s4
	v_lshlrev_b32_e32 v6, 10, v65
	s_lshl_b64 s[20:21], s[20:21], 1
	v_ashrrev_i32_e32 v3, 31, v2
	v_lshlrev_b32_e32 v1, 6, v1
	v_lshlrev_b32_e32 v7, 10, v75
	v_and_b32_e32 v6, 0x3800, v6
	s_delay_alu instid0(VALU_DEP_4) | instskip(NEXT) | instid1(VALU_DEP_2)
	v_lshlrev_b64 v[2:3], 1, v[2:3]
	v_or3_b32 v1, v6, v7, v1
	s_waitcnt lgkmcnt(0)
	s_add_u32 s4, s18, s20
	s_addc_u32 s13, s19, s21
	s_delay_alu instid0(VALU_DEP_2) | instskip(SKIP_1) | instid1(VALU_DEP_2)
	v_add_co_u32 v2, vcc_lo, s4, v2
	v_add_co_ci_u32_e32 v3, vcc_lo, s13, v3, vcc_lo
	v_add_co_u32 v2, vcc_lo, v2, v73
	s_delay_alu instid0(VALU_DEP_2)
	v_add_co_ci_u32_e32 v3, vcc_lo, 0, v3, vcc_lo
	global_load_b128 v[2:5], v[2:3], off
	s_waitcnt vmcnt(0)
	ds_store_b128 v1, v[2:5]
.LBB1580_10:
	s_or_b32 exec_lo, exec_lo, s7
	v_and_b32_e32 v1, 0xef, v0
	s_add_i32 s4, s17, 15
	s_clause 0x1
	s_load_b32 s7, s[0:1], 0x38
	s_load_b32 s18, s[0:1], 0x1c
	s_ashr_i32 s13, s4, 31
	v_add_nc_u32_e32 v1, s12, v1
	s_lshr_b32 s13, s13, 28
	s_waitcnt lgkmcnt(0)
	s_add_i32 s4, s4, s13
	s_barrier
	v_ashrrev_i32_e32 v2, 31, v1
	v_or_b32_e32 v3, 16, v1
	s_ashr_i32 s4, s4, 4
	v_cmp_gt_i32_e32 vcc_lo, s17, v1
	s_add_i32 s4, s4, -1
	v_lshrrev_b32_e32 v2, 28, v2
	buffer_gl0_inv
	s_mul_i32 s15, s15, s6
	v_add_nc_u32_e32 v4, v1, v2
	s_mul_i32 s20, s30, s7
	s_delay_alu instid0(SALU_CYCLE_1) | instskip(NEXT) | instid1(VALU_DEP_1)
	s_ashr_i32 s21, s20, 31
	v_ashrrev_i32_e32 v4, 4, v4
	v_add_nc_u32_e32 v2, v3, v2
	s_lshl_b64 s[20:21], s[20:21], 2
	s_delay_alu instid0(SALU_CYCLE_1) | instskip(NEXT) | instid1(VALU_DEP_2)
	s_add_u32 s13, s2, s20
	v_cndmask_b32_e32 v1, s4, v4, vcc_lo
	s_delay_alu instid0(VALU_DEP_2)
	v_ashrrev_i32_e32 v2, 4, v2
	v_cmp_gt_i32_e32 vcc_lo, s17, v3
	s_addc_u32 s16, s3, s21
	s_ashr_i32 s19, s15, 31
	s_add_u32 s26, s8, s15
	s_addc_u32 s27, s9, s19
	v_cndmask_b32_e32 v3, s4, v2, vcc_lo
	v_ashrrev_i32_e32 v2, 31, v1
	s_lshl_b32 s2, s14, 4
	s_delay_alu instid0(SALU_CYCLE_1) | instskip(NEXT) | instid1(VALU_DEP_2)
	s_ashr_i32 s3, s2, 31
	v_ashrrev_i32_e32 v4, 31, v3
	s_delay_alu instid0(VALU_DEP_2) | instskip(SKIP_1) | instid1(SALU_CYCLE_1)
	v_lshlrev_b64 v[1:2], 2, v[1:2]
	s_lshl_b64 s[2:3], s[2:3], 2
	s_add_u32 s2, s13, s2
	s_delay_alu instid0(VALU_DEP_2) | instskip(SKIP_1) | instid1(VALU_DEP_2)
	v_lshlrev_b64 v[3:4], 2, v[3:4]
	s_addc_u32 s3, s16, s3
	v_add_co_u32 v1, vcc_lo, s13, v1
	v_add_co_ci_u32_e32 v2, vcc_lo, s16, v2, vcc_lo
	s_delay_alu instid0(VALU_DEP_3) | instskip(NEXT) | instid1(VALU_DEP_4)
	v_add_co_u32 v3, vcc_lo, s13, v3
	v_add_co_ci_u32_e32 v4, vcc_lo, s16, v4, vcc_lo
	s_clause 0x1
	global_load_b32 v5, v[1:2], off
	global_load_b32 v3, v[3:4], off
	s_or_b32 s6, s12, 32
	v_cmp_ne_u32_e32 vcc_lo, 15, v65
	s_ashr_i32 s7, s6, 4
	s_cmp_lt_i32 s6, s17
	s_cselect_b32 s6, s7, s4
	s_delay_alu instid0(SALU_CYCLE_1) | instskip(NEXT) | instid1(SALU_CYCLE_1)
	s_ashr_i32 s7, s6, 31
	s_lshl_b64 s[6:7], s[6:7], 2
	s_delay_alu instid0(SALU_CYCLE_1) | instskip(SKIP_2) | instid1(SALU_CYCLE_1)
	s_add_u32 s6, s13, s6
	s_addc_u32 s7, s16, s7
	s_or_b32 s8, s12, 64
	s_ashr_i32 s9, s8, 4
	s_cmp_lt_i32 s8, s17
	s_cselect_b32 s8, s9, s4
	s_delay_alu instid0(SALU_CYCLE_1) | instskip(NEXT) | instid1(SALU_CYCLE_1)
	s_ashr_i32 s9, s8, 31
	s_lshl_b64 s[8:9], s[8:9], 2
	s_delay_alu instid0(SALU_CYCLE_1) | instskip(SKIP_2) | instid1(SALU_CYCLE_1)
	s_add_u32 s8, s13, s8
	s_addc_u32 s9, s16, s9
	s_or_b32 s20, s12, 0x60
	;; [unrolled: 10-line block ×4, first 2 shown]
	s_ashr_i32 s25, s24, 4
	s_cmp_lt_i32 s24, s17
	s_cselect_b32 s24, s25, s4
	s_delay_alu instid0(SALU_CYCLE_1) | instskip(NEXT) | instid1(SALU_CYCLE_1)
	s_ashr_i32 s25, s24, 31
	s_lshl_b64 s[24:25], s[24:25], 2
	s_delay_alu instid0(SALU_CYCLE_1)
	s_add_u32 s24, s13, s24
	s_addc_u32 s25, s16, s25
	s_clause 0x5
	s_load_b32 s28, s[2:3], 0x0
	s_load_b32 s29, s[6:7], 0x0
	;; [unrolled: 1-line block ×6, first 2 shown]
	s_mov_b32 s20, 0
	s_or_b32 s2, s12, 0xc0
	s_mov_b32 s21, s20
	s_mov_b32 s22, s20
	;; [unrolled: 1-line block ×5, first 2 shown]
	v_lshlrev_b32_e32 v1, 4, v0
	s_ashr_i32 s3, s2, 4
	s_cmp_lt_i32 s2, s17
	s_cselect_b32 s2, s3, s4
	s_delay_alu instid0(VALU_DEP_1) | instskip(SKIP_1) | instid1(SALU_CYCLE_1)
	v_and_b32_e32 v1, 0xf0, v1
	s_ashr_i32 s3, s2, 31
	s_lshl_b64 s[2:3], s[2:3], 2
	s_delay_alu instid0(VALU_DEP_1) | instskip(NEXT) | instid1(VALU_DEP_1)
	v_add_co_u32 v1, s26, s26, v1
	v_add_co_ci_u32_e64 v2, null, s27, 0, s26
	s_add_u32 s2, s13, s2
	s_addc_u32 s3, s16, s3
	s_or_b32 s6, s12, 0xe0
	s_mov_b32 s27, s20
	s_ashr_i32 s7, s6, 4
	s_cmp_lt_i32 s6, s17
	s_mov_b32 s26, s20
	s_cselect_b32 s6, s7, s4
	s_delay_alu instid0(SALU_CYCLE_1) | instskip(NEXT) | instid1(SALU_CYCLE_1)
	s_ashr_i32 s7, s6, 31
	s_lshl_b64 s[6:7], s[6:7], 2
	s_waitcnt vmcnt(1)
	v_mad_i64_i32 v[33:34], null, v5, s5, v[1:2]
	s_waitcnt vmcnt(0)
	v_mad_i64_i32 v[35:36], null, v3, s5, v[1:2]
	s_clause 0xf
	global_load_b128 v[1:4], v[33:34], off
	global_load_b128 v[5:8], v[33:34], off offset:256
	global_load_b128 v[9:12], v[35:36], off
	global_load_b128 v[13:16], v[35:36], off offset:256
	global_load_b128 v[17:20], v[33:34], off offset:512
	;; [unrolled: 1-line block ×13, first 2 shown]
	v_cndmask_b32_e32 v33, 0, v65, vcc_lo
	v_dual_mov_b32 v107, s27 :: v_dual_lshlrev_b32 v34, 4, v65
	v_dual_mov_b32 v106, s26 :: v_dual_mov_b32 v105, s25
	s_delay_alu instid0(VALU_DEP_3) | instskip(NEXT) | instid1(VALU_DEP_3)
	v_lshlrev_b32_e32 v72, 6, v33
	v_lshl_or_b32 v41, v66, 8, v34
	ds_load_b128 v[33:36], v72
	ds_load_b128 v[37:40], v72 offset:1024
	ds_load_b128 v[108:111], v72 offset:2048
	;; [unrolled: 1-line block ×3, first 2 shown]
	s_load_b32 s4, s[2:3], 0x0
	s_add_u32 s2, s13, s6
	s_addc_u32 s3, s16, s7
	ds_load_b128 v[116:119], v72 offset:4096
	ds_load_b128 v[120:123], v72 offset:5120
	s_load_b32 s2, s[2:3], 0x0
	s_add_u32 s6, s10, s15
	s_addc_u32 s7, s11, s19
	v_add_co_u32 v68, s6, s6, v41
	s_delay_alu instid0(VALU_DEP_1) | instskip(SKIP_3) | instid1(VALU_DEP_3)
	v_add_co_ci_u32_e64 v69, null, s7, 0, s6
	v_dual_mov_b32 v104, s24 :: v_dual_mov_b32 v103, s23
	v_mov_b32_e32 v102, s22
	s_waitcnt lgkmcnt(0)
	v_mad_i64_i32 v[41:42], null, s28, s5, v[68:69]
	v_mad_i64_i32 v[70:71], null, s8, s5, v[68:69]
	v_dual_mov_b32 v101, s21 :: v_dual_mov_b32 v100, s20
	v_mad_i64_i32 v[45:46], null, s29, s5, v[68:69]
	v_mad_i64_i32 v[132:133], null, s9, s5, v[68:69]
	v_mad_i64_i32 v[134:135], null, s33, s5, v[68:69]
	v_mad_i64_i32 v[136:137], null, s34, s5, v[68:69]
	v_mad_i64_i32 v[138:139], null, s4, s5, v[68:69]
	s_clause 0x3
	global_load_b128 v[49:52], v[41:42], off
	global_load_b128 v[53:56], v[41:42], off offset:16
	global_load_b128 v[41:44], v[45:46], off
	global_load_b128 v[45:48], v[45:46], off offset:16
	s_waitcnt vmcnt(18)
	v_wmma_f32_16x16x16_bf16 v[124:131], v[1:8], v[33:40], v[100:107]
	s_waitcnt vmcnt(16)
	v_wmma_f32_16x16x16_bf16 v[100:107], v[9:16], v[33:40], v[100:107]
	s_clause 0x1
	global_load_b128 v[33:36], v[70:71], off
	global_load_b128 v[37:40], v[70:71], off offset:16
	v_mad_i64_i32 v[70:71], null, s2, s5, v[68:69]
	s_waitcnt vmcnt(16)
	v_wmma_f32_16x16x16_bf16 v[124:131], v[17:24], v[108:115], v[124:131]
	s_waitcnt vmcnt(14)
	v_wmma_f32_16x16x16_bf16 v[100:107], v[25:32], v[108:115], v[100:107]
	s_clause 0x7
	global_load_b128 v[25:28], v[132:133], off
	global_load_b128 v[29:32], v[132:133], off offset:16
	global_load_b128 v[1:4], v[134:135], off
	global_load_b128 v[5:8], v[134:135], off offset:16
	;; [unrolled: 2-line block ×4, first 2 shown]
	s_waitcnt vmcnt(20)
	v_wmma_f32_16x16x16_bf16 v[124:131], v[57:64], v[116:123], v[124:131]
	s_clause 0x1
	global_load_b128 v[57:60], v[70:71], off
	global_load_b128 v[61:64], v[70:71], off offset:16
	s_waitcnt vmcnt(20)
	v_wmma_f32_16x16x16_bf16 v[100:107], v[76:83], v[116:123], v[100:107]
	ds_load_b128 v[76:79], v72 offset:6144
	ds_load_b128 v[80:83], v72 offset:7168
	v_and_b32_e32 v68, 0xe0, v0
	v_mbcnt_lo_u32_b32 v69, -1, 0
	s_waitcnt vmcnt(0) lgkmcnt(0)
	s_barrier
	buffer_gl0_inv
	v_add_nc_u32_e32 v68, s12, v68
	v_xor_b32_e32 v70, 16, v69
	s_delay_alu instid0(VALU_DEP_2) | instskip(NEXT) | instid1(VALU_DEP_2)
	v_or_b32_e32 v68, v68, v74
	v_cmp_gt_i32_e32 vcc_lo, 32, v70
	s_delay_alu instid0(VALU_DEP_2)
	v_or_b32_e32 v71, 4, v68
	v_or_b32_e32 v72, 6, v68
	v_cmp_gt_i32_e64 s2, s17, v68
	v_or_b32_e32 v108, 8, v68
	v_wmma_f32_16x16x16_bf16 v[124:131], v[84:91], v[76:83], v[124:131]
	v_cndmask_b32_e32 v69, v69, v70, vcc_lo
	v_or_b32_e32 v70, 2, v68
	v_wmma_f32_16x16x16_bf16 v[100:107], v[92:99], v[76:83], v[100:107]
	v_or_b32_e32 v109, 10, v68
	v_dual_mul_f32 v80, s18, v129 :: v_dual_mul_f32 v81, s18, v128
	v_dual_mul_f32 v92, s18, v125 :: v_dual_mul_f32 v93, s18, v124
	s_delay_alu instid0(VALU_DEP_4)
	v_mul_f32_e32 v96, s18, v105
	v_cmp_gt_i32_e32 vcc_lo, s17, v70
	v_or_b32_e32 v89, 22, v68
	v_dual_mul_f32 v79, s18, v130 :: v_dual_mul_f32 v82, s18, v127
	v_dual_mul_f32 v83, s18, v126 :: v_dual_mul_f32 v94, s18, v107
	v_cndmask_b32_e64 v93, 0xff7fffff, v93, s2
	v_cndmask_b32_e32 v92, 0xff7fffff, v92, vcc_lo
	v_cmp_gt_i32_e64 s3, s17, v71
	v_cmp_gt_i32_e64 s4, s17, v72
	v_or_b32_e32 v84, 12, v68
	v_or_b32_e32 v85, 14, v68
	v_cmp_gt_i32_e64 s5, s17, v108
	v_cndmask_b32_e64 v71, 0xff7fffff, v83, s3
	v_cndmask_b32_e64 v72, 0xff7fffff, v82, s4
	v_cmp_gt_i32_e64 s6, s17, v109
	v_cmp_gt_i32_e64 s12, s17, v89
	v_lshlrev_b32_e32 v89, 2, v69
	v_max3_f32 v82, v93, 0xff7fffff, v92
	v_or_b32_e32 v86, 16, v68
	v_or_b32_e32 v87, 18, v68
	v_mul_f32_e32 v78, s18, v131
	v_cndmask_b32_e64 v81, 0xff7fffff, v81, s5
	v_cndmask_b32_e64 v80, 0xff7fffff, v80, s6
	v_max3_f32 v71, v82, v71, v72
	v_cmp_gt_i32_e64 s7, s17, v84
	v_cmp_gt_i32_e64 s8, s17, v85
	v_or_b32_e32 v88, 20, v68
	v_or_b32_e32 v90, 24, v68
	;; [unrolled: 1-line block ×5, first 2 shown]
	v_dual_mul_f32 v97, s18, v104 :: v_dual_mul_f32 v70, s18, v101
	v_dual_mul_f32 v99, s18, v102 :: v_dual_mul_f32 v68, s18, v100
	v_cndmask_b32_e64 v72, 0xff7fffff, v79, s7
	v_cndmask_b32_e64 v78, 0xff7fffff, v78, s8
	v_max3_f32 v71, v71, v81, v80
	v_cmp_gt_i32_e64 s9, s17, v86
	v_cmp_gt_i32_e64 s10, s17, v87
	v_dual_mul_f32 v95, s18, v106 :: v_dual_mul_f32 v98, s18, v103
	s_delay_alu instid0(VALU_DEP_4) | instskip(NEXT) | instid1(VALU_DEP_4)
	v_max3_f32 v71, v71, v72, v78
	v_cndmask_b32_e64 v68, 0xff7fffff, v68, s9
	s_delay_alu instid0(VALU_DEP_4)
	v_cndmask_b32_e64 v70, 0xff7fffff, v70, s10
	v_cmp_gt_i32_e64 s11, s17, v88
	v_cndmask_b32_e64 v78, 0xff7fffff, v98, s12
	v_cmp_gt_i32_e64 s13, s17, v90
	v_cmp_gt_i32_e64 s15, s17, v91
	v_max3_f32 v68, v71, v68, v70
	v_cndmask_b32_e64 v72, 0xff7fffff, v99, s11
	v_cmp_gt_i32_e64 s16, s17, v76
	v_cndmask_b32_e64 v70, 0xff7fffff, v97, s13
	v_cndmask_b32_e64 v71, 0xff7fffff, v96, s15
	v_cmp_gt_i32_e64 s17, s17, v77
	v_max3_f32 v68, v68, v72, v78
	v_cndmask_b32_e64 v72, 0xff7fffff, v95, s16
	s_delay_alu instid0(VALU_DEP_3) | instskip(NEXT) | instid1(VALU_DEP_3)
	v_cndmask_b32_e64 v76, 0xff7fffff, v94, s17
	v_max3_f32 v68, v68, v70, v71
	s_delay_alu instid0(VALU_DEP_1) | instskip(SKIP_3) | instid1(VALU_DEP_1)
	v_max3_f32 v68, v68, v72, v76
	ds_bpermute_b32 v69, v89, v68
	s_waitcnt lgkmcnt(0)
	v_max_f32_e32 v69, v69, v69
	v_max_f32_e32 v68, v68, v69
	s_delay_alu instid0(VALU_DEP_1) | instskip(NEXT) | instid1(VALU_DEP_1)
	v_fma_f32 v71, s18, v126, -v68
	v_mul_f32_e32 v71, 0x3fb8aa3b, v71
	v_fma_f32 v70, s18, v125, -v68
	v_fma_f32 v69, s18, v124, -v68
	;; [unrolled: 1-line block ×5, first 2 shown]
	s_delay_alu instid0(VALU_DEP_4) | instskip(SKIP_1) | instid1(VALU_DEP_3)
	v_dual_mul_f32 v70, 0x3fb8aa3b, v70 :: v_dual_mul_f32 v69, 0x3fb8aa3b, v69
	v_exp_f32_e32 v71, v71
	v_mul_f32_e32 v72, 0x3fb8aa3b, v72
	v_fma_f32 v81, s18, v105, -v68
	s_delay_alu instid0(VALU_DEP_3)
	v_exp_f32_e32 v70, v70
	v_mul_f32_e32 v77, 0x3fb8aa3b, v76
	v_exp_f32_e32 v69, v69
	v_exp_f32_e32 v72, v72
	v_mul_f32_e32 v81, 0x3fb8aa3b, v81
	v_cndmask_b32_e64 v83, 0, v71, s3
	v_fma_f32 v71, s18, v131, -v68
	s_delay_alu instid0(VALU_DEP_3) | instskip(SKIP_4) | instid1(TRANS32_DEP_3)
	v_exp_f32_e32 v81, v81
	v_cndmask_b32_e32 v76, 0, v70, vcc_lo
	v_exp_f32_e32 v77, v77
	v_cndmask_b32_e64 v80, 0, v69, s2
	v_fma_f32 v69, s18, v129, -v68
	v_cndmask_b32_e64 v85, 0, v72, s4
	v_mul_f32_e32 v71, 0x3fb8aa3b, v71
	v_fma_f32 v72, s18, v100, -v68
	s_delay_alu instid0(VALU_DEP_4) | instskip(SKIP_1) | instid1(VALU_DEP_4)
	v_dual_add_f32 v70, 0, v80 :: v_dual_mul_f32 v69, 0x3fb8aa3b, v69
	v_cmp_gt_u32_e64 s2, 16, v67
	v_exp_f32_e32 v71, v71
	s_delay_alu instid0(TRANS32_DEP_2) | instskip(SKIP_4) | instid1(VALU_DEP_3)
	v_cndmask_b32_e64 v86, 0, v77, s5
	v_fma_f32 v77, s18, v101, -v68
	v_mul_f32_e32 v78, 0x3fb8aa3b, v78
	v_add_f32_e32 v70, v70, v76
	v_exp_f32_e32 v69, v69
	v_mul_f32_e32 v77, 0x3fb8aa3b, v77
	s_delay_alu instid0(VALU_DEP_3) | instskip(NEXT) | instid1(TRANS32_DEP_3)
	v_exp_f32_e32 v78, v78
	v_cndmask_b32_e64 v88, 0, v71, s8
	v_fma_f32 v71, s18, v104, -v68
	s_delay_alu instid0(VALU_DEP_3) | instskip(NEXT) | instid1(TRANS32_DEP_3)
	v_exp_f32_e32 v77, v77
	v_cndmask_b32_e64 v87, 0, v69, s6
	s_delay_alu instid0(VALU_DEP_2)
	v_mul_f32_e32 v71, 0x3fb8aa3b, v71
	s_waitcnt_depctr 0xfff
	v_cndmask_b32_e64 v84, 0, v78, s7
	v_add_f32_e32 v70, v70, v83
	v_fma_f32 v78, s18, v103, -v68
	v_exp_f32_e32 v82, v71
	s_delay_alu instid0(VALU_DEP_2) | instskip(SKIP_1) | instid1(VALU_DEP_3)
	v_add_f32_e32 v70, v70, v85
	v_mul_f32_e32 v72, 0x3fb8aa3b, v72
	v_mul_f32_e32 v78, 0x3fb8aa3b, v78
	s_delay_alu instid0(VALU_DEP_3) | instskip(SKIP_1) | instid1(VALU_DEP_4)
	v_add_f32_e32 v69, v70, v86
	v_fma_f32 v70, s18, v102, -v68
	v_exp_f32_e32 v72, v72
	s_delay_alu instid0(VALU_DEP_3) | instskip(NEXT) | instid1(VALU_DEP_1)
	v_exp_f32_e32 v78, v78
	v_dual_add_f32 v69, v69, v87 :: v_dual_mul_f32 v70, 0x3fb8aa3b, v70
	s_delay_alu instid0(VALU_DEP_1) | instskip(NEXT) | instid1(VALU_DEP_2)
	v_add_f32_e32 v69, v69, v84
	v_exp_f32_e32 v79, v70
	s_delay_alu instid0(TRANS32_DEP_3) | instskip(NEXT) | instid1(VALU_DEP_2)
	v_cndmask_b32_e64 v70, 0, v72, s9
	v_add_f32_e32 v72, v69, v88
	v_cndmask_b32_e64 v69, 0, v77, s10
	v_fma_f32 v77, s18, v106, -v68
	s_waitcnt_depctr 0xfff
	v_cndmask_b32_e64 v71, 0, v79, s11
	v_dual_mul_f32 v77, 0x3fb8aa3b, v77 :: v_dual_add_f32 v72, v72, v70
	s_delay_alu instid0(VALU_DEP_1) | instskip(NEXT) | instid1(VALU_DEP_1)
	v_exp_f32_e32 v90, v77
	v_add_f32_e32 v79, v72, v69
	v_cndmask_b32_e64 v72, 0, v78, s12
	v_cndmask_b32_e64 v77, 0, v82, s13
	s_delay_alu instid0(VALU_DEP_3) | instskip(SKIP_1) | instid1(VALU_DEP_1)
	v_add_f32_e32 v78, v79, v71
	v_fma_f32 v79, s18, v107, -v68
	v_dual_add_f32 v82, v78, v72 :: v_dual_mul_f32 v79, 0x3fb8aa3b, v79
	v_cndmask_b32_e64 v78, 0, v81, s15
	s_delay_alu instid0(VALU_DEP_2) | instskip(NEXT) | instid1(VALU_DEP_3)
	v_add_f32_e32 v81, v82, v77
	v_exp_f32_e32 v82, v79
	v_cndmask_b32_e64 v79, 0, v90, s16
	s_delay_alu instid0(VALU_DEP_2) | instskip(NEXT) | instid1(VALU_DEP_1)
	v_add_f32_e32 v81, v81, v78
	v_add_f32_e32 v90, v81, v79
	s_waitcnt_depctr 0xfff
	v_cndmask_b32_e64 v81, 0, v82, s17
	s_delay_alu instid0(VALU_DEP_1)
	v_add_f32_e32 v82, v90, v81
	ds_bpermute_b32 v89, v89, v82
	s_and_saveexec_b32 s3, s2
	s_cbranch_execz .LBB1580_12
; %bb.11:
	v_mul_u32_u24_e32 v67, 0x44, v66
	s_delay_alu instid0(VALU_DEP_1) | instskip(SKIP_1) | instid1(VALU_DEP_1)
	v_lshl_add_u32 v67, v65, 2, v67
	s_waitcnt lgkmcnt(0)
	v_dual_add_f32 v82, v82, v89 :: v_dual_add_nc_u32 v67, 0x4000, v67
	ds_store_2addr_b32 v67, v68, v82 offset1:136
.LBB1580_12:
	s_or_b32 exec_lo, exec_lo, s3
	v_lshlrev_b32_e32 v67, 2, v65
	s_waitcnt lgkmcnt(0)
	s_barrier
	buffer_gl0_inv
	v_cmp_eq_u32_e32 vcc_lo, 1, v66
	v_add_nc_u32_e32 v82, 0x4000, v67
	v_cmp_eq_u32_e64 s3, 2, v66
	v_cmp_eq_u32_e64 s5, 7, v66
	ds_load_2addr_b32 v[89:90], v82 offset1:17
	ds_load_2addr_b32 v[91:92], v82 offset0:34 offset1:51
	ds_load_2addr_b32 v[93:94], v82 offset0:68 offset1:85
	;; [unrolled: 1-line block ×4, first 2 shown]
	s_waitcnt lgkmcnt(4)
	v_max3_f32 v67, v89, 0xff7fffff, v90
	s_waitcnt lgkmcnt(3)
	s_delay_alu instid0(VALU_DEP_1) | instskip(SKIP_1) | instid1(VALU_DEP_1)
	v_max3_f32 v67, v67, v91, v92
	s_waitcnt lgkmcnt(2)
	v_max3_f32 v67, v67, v93, v94
	s_waitcnt lgkmcnt(1)
	s_delay_alu instid0(VALU_DEP_1) | instskip(NEXT) | instid1(VALU_DEP_1)
	v_max3_f32 v67, v67, v95, v96
	v_sub_f32_e32 v93, v93, v67
	s_delay_alu instid0(VALU_DEP_1) | instskip(NEXT) | instid1(VALU_DEP_1)
	v_dual_sub_f32 v68, v89, v67 :: v_dual_mul_f32 v103, 0x3fb8aa3b, v93
	v_mul_f32_e32 v68, 0x3fb8aa3b, v68
	s_delay_alu instid0(VALU_DEP_1)
	v_exp_f32_e32 v100, v68
	v_sub_f32_e32 v68, v92, v67
	v_sub_f32_e32 v99, v90, v67
	ds_load_2addr_b32 v[89:90], v82 offset0:170 offset1:187
	v_dual_mul_f32 v102, 0x3fb8aa3b, v68 :: v_dual_mul_f32 v99, 0x3fb8aa3b, v99
	s_waitcnt lgkmcnt(1)
	v_fma_f32 v68, v100, v97, 0
	s_delay_alu instid0(VALU_DEP_2) | instskip(NEXT) | instid1(VALU_DEP_2)
	v_exp_f32_e32 v102, v102
	v_exp_f32_e32 v99, v99
	s_waitcnt_depctr 0xfff
	v_fmac_f32_e32 v68, v99, v98
	v_sub_f32_e32 v91, v91, v67
	s_delay_alu instid0(VALU_DEP_1)
	v_mul_f32_e32 v101, 0x3fb8aa3b, v91
	ds_load_2addr_b32 v[91:92], v82 offset0:204 offset1:221
	v_sub_f32_e32 v97, v94, v67
	ds_load_2addr_b32 v[93:94], v82 offset0:238 offset1:255
	s_waitcnt lgkmcnt(0)
	v_exp_f32_e32 v101, v101
	s_barrier
	buffer_gl0_inv
	v_dual_fmac_f32 v68, v101, v89 :: v_dual_sub_f32 v89, v96, v67
	v_dual_sub_f32 v82, v95, v67 :: v_dual_mul_f32 v95, 0x3fb8aa3b, v97
	v_exp_f32_e32 v97, v103
	s_delay_alu instid0(VALU_DEP_2) | instskip(NEXT) | instid1(VALU_DEP_2)
	v_dual_fmac_f32 v68, v102, v90 :: v_dual_mul_f32 v89, 0x3fb8aa3b, v89
	v_mul_f32_e32 v82, 0x3fb8aa3b, v82
	s_delay_alu instid0(VALU_DEP_3) | instskip(NEXT) | instid1(VALU_DEP_2)
	v_exp_f32_e32 v95, v95
	v_exp_f32_e32 v89, v89
	s_delay_alu instid0(VALU_DEP_1)
	v_exp_f32_e32 v82, v82
	v_fmac_f32_e32 v68, v97, v91
	s_delay_alu instid0(TRANS32_DEP_3) | instid1(VALU_DEP_1)
	v_fmac_f32_e32 v68, v95, v92
	s_waitcnt_depctr 0xfff
	v_fmac_f32_e32 v68, v82, v93
	s_delay_alu instid0(VALU_DEP_1) | instskip(NEXT) | instid1(VALU_DEP_1)
	v_fmac_f32_e32 v68, v89, v94
	v_add_f32_e32 v90, 0x358637bd, v68
	s_delay_alu instid0(VALU_DEP_1) | instskip(NEXT) | instid1(VALU_DEP_1)
	v_div_scale_f32 v91, null, v90, v90, 1.0
	v_rcp_f32_e32 v92, v91
	s_waitcnt_depctr 0xfff
	v_fma_f32 v93, -v91, v92, 1.0
	s_delay_alu instid0(VALU_DEP_1) | instskip(SKIP_1) | instid1(VALU_DEP_2)
	v_dual_fmac_f32 v92, v93, v92 :: v_dual_cndmask_b32 v93, v100, v99
	v_cmp_eq_u32_e32 vcc_lo, 3, v66
	v_cndmask_b32_e64 v93, v93, v101, s3
	v_cmp_eq_u32_e64 s3, 4, v66
	s_delay_alu instid0(VALU_DEP_2) | instskip(SKIP_1) | instid1(VALU_DEP_2)
	v_cndmask_b32_e32 v93, v93, v102, vcc_lo
	v_cmp_eq_u32_e32 vcc_lo, 5, v66
	v_cndmask_b32_e64 v93, v93, v97, s3
	v_cmp_eq_u32_e64 s3, 6, v66
	s_delay_alu instid0(VALU_DEP_2) | instskip(SKIP_1) | instid1(VALU_DEP_1)
	v_cndmask_b32_e32 v93, v93, v95, vcc_lo
	v_div_scale_f32 v94, s4, 1.0, v90, 1.0
	s_mov_b32 vcc_lo, s4
	s_delay_alu instid0(VALU_DEP_2) | instskip(NEXT) | instid1(VALU_DEP_2)
	v_cndmask_b32_e64 v82, v93, v82, s3
	v_mul_f32_e32 v96, v94, v92
	s_mov_b32 s3, exec_lo
	s_delay_alu instid0(VALU_DEP_2) | instskip(NEXT) | instid1(VALU_DEP_2)
	v_cndmask_b32_e64 v82, v82, v89, s5
	v_fma_f32 v98, -v91, v96, v94
	s_delay_alu instid0(VALU_DEP_1) | instskip(NEXT) | instid1(VALU_DEP_1)
	v_fmac_f32_e32 v96, v98, v92
	v_fma_f32 v91, -v91, v96, v94
	s_delay_alu instid0(VALU_DEP_1) | instskip(NEXT) | instid1(VALU_DEP_1)
	v_div_fmas_f32 v91, v91, v92, v96
	v_div_fixup_f32 v90, v91, v90, 1.0
	s_delay_alu instid0(VALU_DEP_1) | instskip(NEXT) | instid1(VALU_DEP_1)
	v_mul_f32_e32 v82, v82, v90
	v_mul_f32_e32 v87, v82, v87
	;; [unrolled: 1-line block ×7, first 2 shown]
	v_dual_mul_f32 v86, v82, v83 :: v_dual_and_b32 v91, 0x7f800000, v90
	v_mul_f32_e32 v85, v82, v76
                                        ; implicit-def: $vgpr76
	s_delay_alu instid0(VALU_DEP_2)
	v_cmpx_ne_u32_e32 0x7f800000, v91
	s_xor_b32 s3, exec_lo, s3
; %bb.13:
	v_bfe_u32 v76, v90, 16, 1
	s_delay_alu instid0(VALU_DEP_1)
	v_add3_u32 v76, v90, v76, 0x7fff
                                        ; implicit-def: $vgpr90
; %bb.14:
	s_and_not1_saveexec_b32 s3, s3
; %bb.15:
	v_and_b32_e32 v76, 0xffff, v90
	v_or_b32_e32 v83, 0x10000, v90
	s_delay_alu instid0(VALU_DEP_2) | instskip(NEXT) | instid1(VALU_DEP_2)
	v_cmp_eq_u32_e32 vcc_lo, 0, v76
	v_cndmask_b32_e32 v76, v83, v90, vcc_lo
; %bb.16:
	s_or_b32 exec_lo, exec_lo, s3
	v_and_b32_e32 v83, 0x7f800000, v85
	s_delay_alu instid0(VALU_DEP_1) | instskip(SKIP_1) | instid1(SALU_CYCLE_1)
	v_cmp_ne_u32_e32 vcc_lo, 0x7f800000, v83
                                        ; implicit-def: $vgpr83
	s_and_saveexec_b32 s3, vcc_lo
	s_xor_b32 s3, exec_lo, s3
; %bb.17:
	v_bfe_u32 v83, v85, 16, 1
	s_delay_alu instid0(VALU_DEP_1)
	v_add3_u32 v83, v85, v83, 0x7fff
                                        ; implicit-def: $vgpr85
; %bb.18:
	s_and_not1_saveexec_b32 s3, s3
; %bb.19:
	v_and_b32_e32 v83, 0xffff, v85
	v_or_b32_e32 v90, 0x10000, v85
	s_delay_alu instid0(VALU_DEP_2) | instskip(NEXT) | instid1(VALU_DEP_2)
	v_cmp_eq_u32_e32 vcc_lo, 0, v83
	v_cndmask_b32_e32 v83, v90, v85, vcc_lo
; %bb.20:
	s_or_b32 exec_lo, exec_lo, s3
	v_and_b32_e32 v85, 0x7f800000, v86
	s_delay_alu instid0(VALU_DEP_1) | instskip(SKIP_1) | instid1(SALU_CYCLE_1)
	v_cmp_ne_u32_e32 vcc_lo, 0x7f800000, v85
                                        ; implicit-def: $vgpr85
	s_and_saveexec_b32 s3, vcc_lo
	s_xor_b32 s3, exec_lo, s3
; %bb.21:
	v_bfe_u32 v85, v86, 16, 1
	s_delay_alu instid0(VALU_DEP_1)
	v_add3_u32 v85, v86, v85, 0x7fff
                                        ; implicit-def: $vgpr86
; %bb.22:
	s_and_not1_saveexec_b32 s3, s3
; %bb.23:
	v_and_b32_e32 v85, 0xffff, v86
	v_or_b32_e32 v90, 0x10000, v86
	s_delay_alu instid0(VALU_DEP_2) | instskip(NEXT) | instid1(VALU_DEP_2)
	v_cmp_eq_u32_e32 vcc_lo, 0, v85
	v_cndmask_b32_e32 v85, v90, v86, vcc_lo
; %bb.24:
	s_or_b32 exec_lo, exec_lo, s3
	v_and_b32_e32 v86, 0x7f800000, v89
	s_delay_alu instid0(VALU_DEP_1) | instskip(SKIP_1) | instid1(SALU_CYCLE_1)
	v_cmp_ne_u32_e32 vcc_lo, 0x7f800000, v86
                                        ; implicit-def: $vgpr86
	s_and_saveexec_b32 s3, vcc_lo
	s_xor_b32 s3, exec_lo, s3
; %bb.25:
	v_bfe_u32 v86, v89, 16, 1
	s_delay_alu instid0(VALU_DEP_1)
	v_add3_u32 v86, v89, v86, 0x7fff
                                        ; implicit-def: $vgpr89
; %bb.26:
	s_and_not1_saveexec_b32 s3, s3
; %bb.27:
	v_and_b32_e32 v86, 0xffff, v89
	v_or_b32_e32 v90, 0x10000, v89
	s_delay_alu instid0(VALU_DEP_2) | instskip(NEXT) | instid1(VALU_DEP_2)
	v_cmp_eq_u32_e32 vcc_lo, 0, v86
	v_cndmask_b32_e32 v86, v90, v89, vcc_lo
; %bb.28:
	s_or_b32 exec_lo, exec_lo, s3
	v_and_b32_e32 v89, 0x7f800000, v88
	s_delay_alu instid0(VALU_DEP_1) | instskip(SKIP_1) | instid1(SALU_CYCLE_1)
	v_cmp_ne_u32_e32 vcc_lo, 0x7f800000, v89
                                        ; implicit-def: $vgpr89
	s_and_saveexec_b32 s3, vcc_lo
	s_xor_b32 s3, exec_lo, s3
; %bb.29:
	v_bfe_u32 v89, v88, 16, 1
	s_delay_alu instid0(VALU_DEP_1)
	v_add3_u32 v89, v88, v89, 0x7fff
                                        ; implicit-def: $vgpr88
; %bb.30:
	s_and_not1_saveexec_b32 s3, s3
; %bb.31:
	v_and_b32_e32 v89, 0xffff, v88
	v_or_b32_e32 v90, 0x10000, v88
	s_delay_alu instid0(VALU_DEP_2) | instskip(NEXT) | instid1(VALU_DEP_2)
	v_cmp_eq_u32_e32 vcc_lo, 0, v89
	v_cndmask_b32_e32 v89, v90, v88, vcc_lo
; %bb.32:
	s_or_b32 exec_lo, exec_lo, s3
	v_and_b32_e32 v88, 0x7f800000, v87
	s_delay_alu instid0(VALU_DEP_1) | instskip(SKIP_1) | instid1(SALU_CYCLE_1)
	v_cmp_ne_u32_e32 vcc_lo, 0x7f800000, v88
                                        ; implicit-def: $vgpr88
	s_and_saveexec_b32 s3, vcc_lo
	s_xor_b32 s3, exec_lo, s3
; %bb.33:
	v_bfe_u32 v88, v87, 16, 1
	s_delay_alu instid0(VALU_DEP_1)
	v_add3_u32 v88, v87, v88, 0x7fff
                                        ; implicit-def: $vgpr87
; %bb.34:
	s_and_not1_saveexec_b32 s3, s3
; %bb.35:
	v_and_b32_e32 v88, 0xffff, v87
	v_or_b32_e32 v90, 0x10000, v87
	s_delay_alu instid0(VALU_DEP_2) | instskip(NEXT) | instid1(VALU_DEP_2)
	v_cmp_eq_u32_e32 vcc_lo, 0, v88
	v_cndmask_b32_e32 v88, v90, v87, vcc_lo
; %bb.36:
	s_or_b32 exec_lo, exec_lo, s3
	v_and_b32_e32 v87, 0x7f800000, v84
	s_delay_alu instid0(VALU_DEP_1) | instskip(SKIP_1) | instid1(SALU_CYCLE_1)
	v_cmp_ne_u32_e32 vcc_lo, 0x7f800000, v87
                                        ; implicit-def: $vgpr87
	s_and_saveexec_b32 s3, vcc_lo
	s_xor_b32 s3, exec_lo, s3
; %bb.37:
	v_bfe_u32 v87, v84, 16, 1
	s_delay_alu instid0(VALU_DEP_1)
	v_add3_u32 v87, v84, v87, 0x7fff
                                        ; implicit-def: $vgpr84
; %bb.38:
	s_and_not1_saveexec_b32 s3, s3
; %bb.39:
	v_and_b32_e32 v87, 0xffff, v84
	v_or_b32_e32 v90, 0x10000, v84
	s_delay_alu instid0(VALU_DEP_2) | instskip(NEXT) | instid1(VALU_DEP_2)
	v_cmp_eq_u32_e32 vcc_lo, 0, v87
	v_cndmask_b32_e32 v87, v90, v84, vcc_lo
; %bb.40:
	s_or_b32 exec_lo, exec_lo, s3
	v_and_b32_e32 v84, 0x7f800000, v80
	s_delay_alu instid0(VALU_DEP_1) | instskip(SKIP_1) | instid1(SALU_CYCLE_1)
	v_cmp_ne_u32_e32 vcc_lo, 0x7f800000, v84
                                        ; implicit-def: $vgpr84
	s_and_saveexec_b32 s3, vcc_lo
	s_xor_b32 s3, exec_lo, s3
; %bb.41:
	v_bfe_u32 v84, v80, 16, 1
	s_delay_alu instid0(VALU_DEP_1)
	v_add3_u32 v84, v80, v84, 0x7fff
                                        ; implicit-def: $vgpr80
; %bb.42:
	s_and_not1_saveexec_b32 s3, s3
; %bb.43:
	v_and_b32_e32 v84, 0xffff, v80
	v_or_b32_e32 v90, 0x10000, v80
	s_delay_alu instid0(VALU_DEP_2) | instskip(NEXT) | instid1(VALU_DEP_2)
	v_cmp_eq_u32_e32 vcc_lo, 0, v84
	v_cndmask_b32_e32 v84, v90, v80, vcc_lo
; %bb.44:
	s_or_b32 exec_lo, exec_lo, s3
	s_load_b64 s[34:35], s[0:1], 0x94
	v_lshlrev_b32_e32 v91, 4, v74
	s_delay_alu instid0(VALU_DEP_2)
	v_perm_b32 v90, v84, v87, 0x7060302
	v_dual_mul_f32 v79, v82, v79 :: v_dual_lshlrev_b32 v80, 6, v65
	v_dual_mul_f32 v77, v82, v77 :: v_dual_lshlrev_b32 v92, 11, v66
	v_mul_f32_e32 v84, v82, v70
	v_perm_b32 v89, v88, v89, 0x7060302
	v_perm_b32 v88, v86, v85, 0x7060302
	v_perm_b32 v87, v83, v76, 0x7060302
	v_mul_f32_e32 v70, v82, v81
	v_or3_b32 v76, v91, v92, v80
	v_dual_mul_f32 v78, v82, v78 :: v_dual_and_b32 v85, 0x7f800000, v84
	v_mul_f32_e32 v83, v82, v72
	v_mul_f32_e32 v81, v82, v71
	;; [unrolled: 1-line block ×3, first 2 shown]
	s_mov_b32 s3, exec_lo
	ds_store_b128 v76, v[87:90]
                                        ; implicit-def: $vgpr69
	v_cmpx_ne_u32_e32 0x7f800000, v85
	s_xor_b32 s3, exec_lo, s3
; %bb.45:
	v_bfe_u32 v69, v84, 16, 1
	s_delay_alu instid0(VALU_DEP_1)
	v_add3_u32 v69, v84, v69, 0x7fff
                                        ; implicit-def: $vgpr84
; %bb.46:
	s_and_not1_saveexec_b32 s3, s3
; %bb.47:
	v_and_b32_e32 v69, 0xffff, v84
	v_or_b32_e32 v71, 0x10000, v84
	s_delay_alu instid0(VALU_DEP_2) | instskip(NEXT) | instid1(VALU_DEP_2)
	v_cmp_eq_u32_e32 vcc_lo, 0, v69
	v_cndmask_b32_e32 v69, v71, v84, vcc_lo
; %bb.48:
	s_or_b32 exec_lo, exec_lo, s3
	v_and_b32_e32 v71, 0x7f800000, v72
	s_delay_alu instid0(VALU_DEP_1) | instskip(SKIP_1) | instid1(SALU_CYCLE_1)
	v_cmp_ne_u32_e32 vcc_lo, 0x7f800000, v71
                                        ; implicit-def: $vgpr71
	s_and_saveexec_b32 s3, vcc_lo
	s_xor_b32 s3, exec_lo, s3
; %bb.49:
	v_bfe_u32 v71, v72, 16, 1
	s_delay_alu instid0(VALU_DEP_1)
	v_add3_u32 v71, v72, v71, 0x7fff
                                        ; implicit-def: $vgpr72
; %bb.50:
	s_and_not1_saveexec_b32 s3, s3
; %bb.51:
	v_and_b32_e32 v71, 0xffff, v72
	v_or_b32_e32 v82, 0x10000, v72
	s_delay_alu instid0(VALU_DEP_2) | instskip(NEXT) | instid1(VALU_DEP_2)
	v_cmp_eq_u32_e32 vcc_lo, 0, v71
	v_cndmask_b32_e32 v71, v82, v72, vcc_lo
; %bb.52:
	s_or_b32 exec_lo, exec_lo, s3
	v_and_b32_e32 v72, 0x7f800000, v81
	s_delay_alu instid0(VALU_DEP_1) | instskip(SKIP_1) | instid1(SALU_CYCLE_1)
	v_cmp_ne_u32_e32 vcc_lo, 0x7f800000, v72
                                        ; implicit-def: $vgpr72
	s_and_saveexec_b32 s3, vcc_lo
	s_xor_b32 s3, exec_lo, s3
; %bb.53:
	v_bfe_u32 v72, v81, 16, 1
	s_delay_alu instid0(VALU_DEP_1)
	v_add3_u32 v72, v81, v72, 0x7fff
                                        ; implicit-def: $vgpr81
; %bb.54:
	s_and_not1_saveexec_b32 s3, s3
; %bb.55:
	v_and_b32_e32 v72, 0xffff, v81
	v_or_b32_e32 v82, 0x10000, v81
	s_delay_alu instid0(VALU_DEP_2) | instskip(NEXT) | instid1(VALU_DEP_2)
	v_cmp_eq_u32_e32 vcc_lo, 0, v72
	v_cndmask_b32_e32 v72, v82, v81, vcc_lo
; %bb.56:
	s_or_b32 exec_lo, exec_lo, s3
	v_and_b32_e32 v81, 0x7f800000, v83
	s_delay_alu instid0(VALU_DEP_1) | instskip(SKIP_1) | instid1(SALU_CYCLE_1)
	v_cmp_ne_u32_e32 vcc_lo, 0x7f800000, v81
                                        ; implicit-def: $vgpr81
	s_and_saveexec_b32 s3, vcc_lo
	s_xor_b32 s3, exec_lo, s3
; %bb.57:
	v_bfe_u32 v81, v83, 16, 1
	s_delay_alu instid0(VALU_DEP_1)
	v_add3_u32 v81, v83, v81, 0x7fff
                                        ; implicit-def: $vgpr83
; %bb.58:
	s_and_not1_saveexec_b32 s3, s3
; %bb.59:
	v_and_b32_e32 v81, 0xffff, v83
	v_or_b32_e32 v82, 0x10000, v83
	s_delay_alu instid0(VALU_DEP_2) | instskip(NEXT) | instid1(VALU_DEP_2)
	v_cmp_eq_u32_e32 vcc_lo, 0, v81
	v_cndmask_b32_e32 v81, v82, v83, vcc_lo
; %bb.60:
	s_or_b32 exec_lo, exec_lo, s3
	v_and_b32_e32 v82, 0x7f800000, v77
	s_delay_alu instid0(VALU_DEP_1) | instskip(SKIP_1) | instid1(SALU_CYCLE_1)
	v_cmp_ne_u32_e32 vcc_lo, 0x7f800000, v82
                                        ; implicit-def: $vgpr82
	s_and_saveexec_b32 s3, vcc_lo
	s_xor_b32 s3, exec_lo, s3
; %bb.61:
	v_bfe_u32 v82, v77, 16, 1
	s_delay_alu instid0(VALU_DEP_1)
	v_add3_u32 v82, v77, v82, 0x7fff
                                        ; implicit-def: $vgpr77
; %bb.62:
	s_and_not1_saveexec_b32 s3, s3
; %bb.63:
	v_and_b32_e32 v82, 0xffff, v77
	v_or_b32_e32 v83, 0x10000, v77
	s_delay_alu instid0(VALU_DEP_2) | instskip(NEXT) | instid1(VALU_DEP_2)
	v_cmp_eq_u32_e32 vcc_lo, 0, v82
	v_cndmask_b32_e32 v82, v83, v77, vcc_lo
; %bb.64:
	s_or_b32 exec_lo, exec_lo, s3
	v_and_b32_e32 v77, 0x7f800000, v78
	s_delay_alu instid0(VALU_DEP_1) | instskip(SKIP_1) | instid1(SALU_CYCLE_1)
	v_cmp_ne_u32_e32 vcc_lo, 0x7f800000, v77
                                        ; implicit-def: $vgpr77
	s_and_saveexec_b32 s3, vcc_lo
	s_xor_b32 s3, exec_lo, s3
; %bb.65:
	v_bfe_u32 v77, v78, 16, 1
	s_delay_alu instid0(VALU_DEP_1)
	v_add3_u32 v77, v78, v77, 0x7fff
                                        ; implicit-def: $vgpr78
; %bb.66:
	s_and_not1_saveexec_b32 s3, s3
; %bb.67:
	v_and_b32_e32 v77, 0xffff, v78
	v_or_b32_e32 v83, 0x10000, v78
	s_delay_alu instid0(VALU_DEP_2) | instskip(NEXT) | instid1(VALU_DEP_2)
	v_cmp_eq_u32_e32 vcc_lo, 0, v77
	v_cndmask_b32_e32 v77, v83, v78, vcc_lo
; %bb.68:
	s_or_b32 exec_lo, exec_lo, s3
	v_and_b32_e32 v78, 0x7f800000, v79
	s_delay_alu instid0(VALU_DEP_1) | instskip(SKIP_1) | instid1(SALU_CYCLE_1)
	v_cmp_ne_u32_e32 vcc_lo, 0x7f800000, v78
                                        ; implicit-def: $vgpr78
	s_and_saveexec_b32 s3, vcc_lo
	s_xor_b32 s3, exec_lo, s3
; %bb.69:
	v_bfe_u32 v78, v79, 16, 1
	s_delay_alu instid0(VALU_DEP_1)
	v_add3_u32 v78, v79, v78, 0x7fff
                                        ; implicit-def: $vgpr79
; %bb.70:
	s_and_not1_saveexec_b32 s3, s3
; %bb.71:
	v_and_b32_e32 v78, 0xffff, v79
	v_or_b32_e32 v83, 0x10000, v79
	s_delay_alu instid0(VALU_DEP_2) | instskip(NEXT) | instid1(VALU_DEP_2)
	v_cmp_eq_u32_e32 vcc_lo, 0, v78
	v_cndmask_b32_e32 v78, v83, v79, vcc_lo
; %bb.72:
	s_or_b32 exec_lo, exec_lo, s3
	v_and_b32_e32 v79, 0x7f800000, v70
	s_delay_alu instid0(VALU_DEP_1) | instskip(SKIP_1) | instid1(SALU_CYCLE_1)
	v_cmp_ne_u32_e32 vcc_lo, 0x7f800000, v79
                                        ; implicit-def: $vgpr79
	s_and_saveexec_b32 s3, vcc_lo
	s_xor_b32 s3, exec_lo, s3
; %bb.73:
	v_bfe_u32 v79, v70, 16, 1
	s_delay_alu instid0(VALU_DEP_1)
	v_add3_u32 v79, v70, v79, 0x7fff
                                        ; implicit-def: $vgpr70
; %bb.74:
	s_and_not1_saveexec_b32 s3, s3
; %bb.75:
	v_and_b32_e32 v79, 0xffff, v70
	v_or_b32_e32 v83, 0x10000, v70
	s_delay_alu instid0(VALU_DEP_2) | instskip(NEXT) | instid1(VALU_DEP_2)
	v_cmp_eq_u32_e32 vcc_lo, 0, v79
	v_cndmask_b32_e32 v79, v83, v70, vcc_lo
; %bb.76:
	s_or_b32 exec_lo, exec_lo, s3
	s_delay_alu instid0(VALU_DEP_1)
	v_perm_b32 v86, v79, v78, 0x7060302
	v_perm_b32 v85, v77, v82, 0x7060302
	;; [unrolled: 1-line block ×4, first 2 shown]
	v_lshl_or_b32 v82, v66, 11, v80
	ds_store_b128 v76, v[83:86] offset:1024
	s_waitcnt lgkmcnt(0)
	s_barrier
	buffer_gl0_inv
	ds_load_b128 v[69:72], v82
	ds_load_b128 v[83:86], v82 offset:16
	s_waitcnt lgkmcnt(1)
	v_lshrrev_b32_e32 v66, 16, v69
	s_waitcnt lgkmcnt(0)
	v_lshrrev_b32_e32 v91, 16, v83
	v_lshlrev_b32_e32 v78, 2, v74
	v_lshrrev_b32_e32 v95, 16, v70
	v_lshrrev_b32_e32 v98, 16, v84
	;; [unrolled: 1-line block ×4, first 2 shown]
	v_cmp_eq_u32_e32 vcc_lo, 1, v78
	v_lshrrev_b32_e32 v97, 16, v72
	v_lshrrev_b32_e32 v100, 16, v86
	v_cndmask_b32_e32 v87, v83, v91, vcc_lo
	v_or_b32_e32 v79, 1, v78
	v_cndmask_b32_e32 v81, v69, v66, vcc_lo
	v_cmp_eq_u32_e64 s4, 2, v78
	v_cmp_eq_u32_e64 s7, 3, v78
	;; [unrolled: 1-line block ×5, first 2 shown]
	v_cndmask_b32_e64 v81, v81, v70, s4
	v_cndmask_b32_e64 v87, v87, v84, s4
	v_cmp_eq_u32_e64 s8, 3, v79
	v_cndmask_b32_e64 v88, v69, v66, s3
	v_or_b32_e32 v77, 2, v78
	v_cndmask_b32_e64 v81, v81, v95, s7
	v_cndmask_b32_e64 v87, v87, v98, s7
	;; [unrolled: 1-line block ×4, first 2 shown]
	v_cmp_eq_u32_e64 s10, 5, v78
	v_cndmask_b32_e64 v81, v81, v71, s9
	v_cndmask_b32_e64 v87, v87, v85, s9
	v_cmp_eq_u32_e64 s11, 4, v79
	v_cndmask_b32_e64 v88, v88, v95, s8
	v_cmp_eq_u32_e64 s5, 1, v77
	v_cndmask_b32_e64 v89, v89, v84, s6
	v_cndmask_b32_e64 v81, v81, v96, s10
	v_cmp_eq_u32_e64 s12, 6, v78
	v_cndmask_b32_e64 v88, v88, v71, s11
	;; [unrolled: 3-line block ×3, first 2 shown]
	v_cndmask_b32_e64 v89, v89, v98, s8
	v_cndmask_b32_e64 v81, v81, v72, s12
	v_cmp_eq_u32_e64 s15, 7, v78
	v_cndmask_b32_e64 v88, v88, v96, s13
	v_cndmask_b32_e64 v87, v87, v86, s12
	v_cmp_eq_u32_e64 s16, 6, v79
	v_cmp_eq_u32_e64 s17, 2, v77
	v_cndmask_b32_e64 v89, v89, v85, s11
	v_cndmask_b32_e64 v101, v81, v97, s15
	;; [unrolled: 1-line block ×6, first 2 shown]
	v_cmp_eq_u32_e64 s18, 7, v79
	v_cmp_eq_u32_e64 s19, 3, v77
	;; [unrolled: 1-line block ×4, first 2 shown]
	v_cndmask_b32_e64 v87, v87, v84, s17
	v_cndmask_b32_e64 v103, v88, v97, s18
	;; [unrolled: 1-line block ×4, first 2 shown]
	v_or_b32_e32 v81, 3, v78
	v_cndmask_b32_e64 v93, v87, v98, s19
	v_cmp_eq_u32_e64 s24, 6, v77
	v_cndmask_b32_e64 v104, v88, v86, s16
	v_cndmask_b32_e64 v92, v89, v71, s20
	v_cmp_eq_u32_e64 s21, 1, v81
	ds_load_b128 v[87:90], v82 offset:1024
	v_cmp_eq_u32_e64 s23, 2, v81
	v_cmp_eq_u32_e64 s25, 3, v81
	v_cndmask_b32_e64 v105, v92, v96, s22
	v_cndmask_b32_e64 v66, v69, v66, s21
	;; [unrolled: 1-line block ×4, first 2 shown]
	ds_load_b128 v[91:94], v82 offset:1040
	v_cmp_eq_u32_e64 s26, 4, v81
	v_cndmask_b32_e64 v66, v66, v70, s23
	v_cmp_eq_u32_e64 s27, 7, v77
	v_cndmask_b32_e64 v70, v83, v84, s23
	v_cndmask_b32_e64 v84, v105, v72, s24
	v_cmp_eq_u32_e64 s28, 5, v81
	v_cndmask_b32_e64 v66, v66, v95, s25
	v_cmp_eq_u32_e64 s29, 6, v81
	v_cndmask_b32_e64 v70, v70, v98, s25
	v_cndmask_b32_e64 v69, v69, v99, s22
	;; [unrolled: 1-line block ×4, first 2 shown]
	s_waitcnt lgkmcnt(1)
	v_lshrrev_b32_e32 v95, 16, v87
	v_cndmask_b32_e64 v70, v70, v85, s26
	v_cndmask_b32_e64 v71, v84, v97, s27
	;; [unrolled: 1-line block ×4, first 2 shown]
	v_cndmask_b32_e32 v84, v87, v95, vcc_lo
	v_cndmask_b32_e64 v70, v70, v99, s28
	s_waitcnt lgkmcnt(0)
	v_lshrrev_b32_e32 v85, 16, v91
	v_lshrrev_b32_e32 v96, 16, v88
	v_cndmask_b32_e64 v98, v87, v95, s3
	v_cndmask_b32_e64 v84, v84, v88, s4
	;; [unrolled: 1-line block ×3, first 2 shown]
	v_cndmask_b32_e32 v99, v91, v85, vcc_lo
	v_cmp_eq_u32_e32 vcc_lo, 7, v81
	v_cndmask_b32_e64 v66, v66, v72, s29
	v_cndmask_b32_e64 v72, v84, v96, s7
	v_cndmask_b32_e64 v84, v98, v88, s6
	v_lshrrev_b32_e32 v98, 16, v92
	v_cndmask_b32_e32 v70, v70, v100, vcc_lo
	v_cndmask_b32_e64 v86, v99, v92, s4
	v_cndmask_b32_e64 v69, v69, v100, s27
	v_lshrrev_b32_e32 v100, 16, v93
	v_cndmask_b32_e64 v72, v72, v89, s9
	v_lshrrev_b32_e32 v99, 16, v89
	v_cndmask_b32_e64 v86, v86, v98, s7
	v_perm_b32 v71, v69, v71, 0x5040100
	v_cndmask_b32_e64 v84, v84, v96, s8
	s_delay_alu instid0(VALU_DEP_3) | instskip(NEXT) | instid1(VALU_DEP_2)
	v_cndmask_b32_e64 v86, v86, v93, s9
	v_cndmask_b32_e64 v84, v84, v89, s11
	s_delay_alu instid0(VALU_DEP_2) | instskip(NEXT) | instid1(VALU_DEP_1)
	v_cndmask_b32_e64 v86, v86, v100, s10
	v_cndmask_b32_e64 v69, v86, v94, s12
	;; [unrolled: 1-line block ×5, first 2 shown]
	s_delay_alu instid0(VALU_DEP_3) | instskip(NEXT) | instid1(VALU_DEP_3)
	v_cndmask_b32_e64 v86, v86, v88, s17
	v_cndmask_b32_e64 v87, v87, v88, s23
	s_delay_alu instid0(VALU_DEP_3) | instskip(NEXT) | instid1(VALU_DEP_3)
	v_cndmask_b32_e64 v88, v95, v92, s23
	v_cndmask_b32_e64 v86, v86, v96, s19
	s_delay_alu instid0(VALU_DEP_3) | instskip(NEXT) | instid1(VALU_DEP_3)
	v_cndmask_b32_e64 v87, v87, v96, s25
	v_cndmask_b32_e64 v88, v88, v98, s25
	s_delay_alu instid0(VALU_DEP_3) | instskip(NEXT) | instid1(VALU_DEP_3)
	v_cndmask_b32_e64 v86, v86, v89, s20
	v_cndmask_b32_e64 v87, v87, v89, s26
	s_delay_alu instid0(VALU_DEP_3) | instskip(NEXT) | instid1(VALU_DEP_3)
	v_cndmask_b32_e64 v88, v88, v93, s26
	v_cndmask_b32_e64 v86, v86, v99, s22
	s_delay_alu instid0(VALU_DEP_3) | instskip(NEXT) | instid1(VALU_DEP_3)
	v_cndmask_b32_e64 v87, v87, v99, s28
	v_cndmask_b32_e64 v88, v88, v100, s28
	s_delay_alu instid0(VALU_DEP_3) | instskip(NEXT) | instid1(VALU_DEP_3)
	v_cndmask_b32_e64 v86, v86, v90, s24
	v_cndmask_b32_e64 v87, v87, v90, s29
	s_delay_alu instid0(VALU_DEP_3) | instskip(SKIP_2) | instid1(VALU_DEP_2)
	v_cndmask_b32_e64 v88, v88, v94, s29
	v_cndmask_b32_e32 v66, v66, v97, vcc_lo
	v_cndmask_b32_e64 v97, v72, v99, s10
	v_perm_b32 v72, v70, v66, 0x5040100
	v_perm_b32 v70, v83, v103, 0x5040100
	v_cndmask_b32_e64 v103, v91, v85, s5
	v_cndmask_b32_e64 v85, v91, v85, s3
	;; [unrolled: 1-line block ×4, first 2 shown]
	v_lshrrev_b32_e32 v97, 16, v90
	v_cndmask_b32_e64 v91, v103, v92, s17
	v_cndmask_b32_e64 v85, v85, v92, s6
	;; [unrolled: 1-line block ×3, first 2 shown]
	s_mov_b32 s3, exec_lo
	v_cndmask_b32_e64 v83, v84, v97, s15
	v_cndmask_b32_e64 v91, v91, v98, s19
	;; [unrolled: 1-line block ×3, first 2 shown]
	v_lshrrev_b32_e32 v84, 16, v94
	v_cndmask_b32_e64 v66, v66, v97, s18
	v_cndmask_b32_e64 v90, v86, v97, s27
	;; [unrolled: 1-line block ×4, first 2 shown]
	v_dual_cndmask_b32 v86, v87, v97 :: v_dual_cndmask_b32 v87, v88, v84
	v_cndmask_b32_e64 v91, v69, v84, s15
	s_delay_alu instid0(VALU_DEP_4) | instskip(NEXT) | instid1(VALU_DEP_4)
	v_cndmask_b32_e64 v89, v89, v100, s22
	v_cndmask_b32_e64 v85, v85, v100, s13
	v_perm_b32 v69, v102, v101, 0x5040100
	v_perm_b32 v86, v87, v86, 0x5040100
	;; [unrolled: 1-line block ×3, first 2 shown]
	v_cndmask_b32_e64 v89, v89, v94, s24
	v_cndmask_b32_e64 v85, v85, v94, s16
	s_mul_i32 s8, s35, 15
	s_delay_alu instid0(VALU_DEP_2) | instskip(NEXT) | instid1(VALU_DEP_2)
	v_cndmask_b32_e64 v88, v89, v84, s27
	v_cndmask_b32_e64 v89, v85, v84, s18
	s_delay_alu instid0(VALU_DEP_2) | instskip(NEXT) | instid1(VALU_DEP_2)
	v_perm_b32 v85, v88, v90, 0x5040100
	v_perm_b32 v84, v89, v66, 0x5040100
	ds_store_b128 v76, v[69:72]
	ds_store_b128 v76, v[83:86] offset:1024
	v_cmpx_gt_u32_e32 15, v0
	s_cbranch_execz .LBB1580_78
; %bb.77:
	s_mul_i32 s4, s8, s30
	s_delay_alu instid0(SALU_CYCLE_1) | instskip(SKIP_1) | instid1(VALU_DEP_1)
	v_add3_u32 v69, s4, s31, v65
	s_load_b128 s[4:7], s[0:1], 0x58
	v_mad_u64_u32 v[65:66], null, v69, s34, s[14:15]
	s_delay_alu instid0(VALU_DEP_1) | instskip(NEXT) | instid1(VALU_DEP_1)
	v_ashrrev_i32_e32 v66, 31, v65
	v_lshlrev_b64 v[65:66], 2, v[65:66]
	s_waitcnt lgkmcnt(0)
	s_delay_alu instid0(VALU_DEP_1) | instskip(NEXT) | instid1(VALU_DEP_2)
	v_add_co_u32 v69, vcc_lo, s6, v65
	v_add_co_ci_u32_e32 v70, vcc_lo, s7, v66, vcc_lo
	v_add_co_u32 v65, vcc_lo, s4, v65
	v_add_co_ci_u32_e32 v66, vcc_lo, s5, v66, vcc_lo
	global_store_b32 v[69:70], v67, off
	global_store_b32 v[65:66], v68, off
.LBB1580_78:
	s_or_b32 exec_lo, exec_lo, s3
	s_waitcnt lgkmcnt(0)
	s_waitcnt_vscnt null, 0x0
	s_barrier
	buffer_gl0_inv
	ds_load_b128 v[83:86], v80
	ds_load_b128 v[87:90], v80 offset:16
	ds_load_b128 v[95:98], v80 offset:2064
	;; [unrolled: 1-line block ×3, first 2 shown]
	v_mov_b32_e32 v65, 0
	ds_load_b128 v[103:106], v80 offset:4112
	ds_load_b128 v[99:102], v80 offset:4096
	;; [unrolled: 1-line block ×4, first 2 shown]
	v_mov_b32_e32 v66, v65
	v_mov_b32_e32 v67, v65
	;; [unrolled: 1-line block ×7, first 2 shown]
	s_waitcnt lgkmcnt(6)
	s_delay_alu instid0(VALU_DEP_1)
	v_wmma_f32_16x16x16_bf16 v[65:72], v[49:56], v[83:90], v[65:72]
	ds_load_b128 v[53:56], v80 offset:8208
	ds_load_b128 v[49:52], v80 offset:8192
	s_waitcnt lgkmcnt(6)
	v_wmma_f32_16x16x16_bf16 v[65:72], v[41:48], v[91:98], v[65:72]
	ds_load_b128 v[45:48], v80 offset:10256
	ds_load_b128 v[41:44], v80 offset:10240
	s_waitcnt lgkmcnt(6)
	v_wmma_f32_16x16x16_bf16 v[65:72], v[33:40], v[99:106], v[65:72]
	ds_load_b128 v[37:40], v80 offset:12304
	ds_load_b128 v[33:36], v80 offset:12288
	s_waitcnt lgkmcnt(6)
	v_wmma_f32_16x16x16_bf16 v[65:72], v[25:32], v[107:114], v[65:72]
	ds_load_b128 v[29:32], v80 offset:14352
	ds_load_b128 v[25:28], v80 offset:14336
	s_waitcnt lgkmcnt(6)
	v_wmma_f32_16x16x16_bf16 v[65:72], v[1:8], v[49:56], v[65:72]
	s_waitcnt lgkmcnt(4)
	s_delay_alu instid0(VALU_DEP_1) | instskip(SKIP_1) | instid1(VALU_DEP_1)
	v_wmma_f32_16x16x16_bf16 v[65:72], v[9:16], v[41:48], v[65:72]
	s_waitcnt lgkmcnt(2)
	v_wmma_f32_16x16x16_bf16 v[65:72], v[17:24], v[33:40], v[65:72]
	s_waitcnt lgkmcnt(0)
	s_delay_alu instid0(VALU_DEP_1) | instskip(NEXT) | instid1(VALU_DEP_1)
	v_wmma_f32_16x16x16_bf16 v[65:72], v[57:64], v[25:32], v[65:72]
	v_and_b32_e32 v1, 0x7f800000, v65
	s_delay_alu instid0(VALU_DEP_1) | instskip(SKIP_1) | instid1(SALU_CYCLE_1)
	v_cmp_ne_u32_e32 vcc_lo, 0x7f800000, v1
                                        ; implicit-def: $vgpr1
	s_and_saveexec_b32 s3, vcc_lo
	s_xor_b32 s3, exec_lo, s3
; %bb.79:
	v_bfe_u32 v1, v65, 16, 1
	s_delay_alu instid0(VALU_DEP_1)
	v_add3_u32 v1, v65, v1, 0x7fff
; %bb.80:
	s_and_not1_saveexec_b32 s3, s3
; %bb.81:
	v_and_b32_e32 v1, 0xffff, v65
	v_or_b32_e32 v2, 0x10000, v65
	s_delay_alu instid0(VALU_DEP_2) | instskip(NEXT) | instid1(VALU_DEP_2)
	v_cmp_eq_u32_e32 vcc_lo, 0, v1
	v_cndmask_b32_e32 v1, v2, v65, vcc_lo
; %bb.82:
	s_or_b32 exec_lo, exec_lo, s3
	v_and_b32_e32 v2, 0x7f800000, v66
	s_delay_alu instid0(VALU_DEP_1) | instskip(SKIP_1) | instid1(SALU_CYCLE_1)
	v_cmp_ne_u32_e32 vcc_lo, 0x7f800000, v2
                                        ; implicit-def: $vgpr2
	s_and_saveexec_b32 s3, vcc_lo
	s_xor_b32 s3, exec_lo, s3
; %bb.83:
	v_bfe_u32 v2, v66, 16, 1
	s_delay_alu instid0(VALU_DEP_1)
	v_add3_u32 v2, v66, v2, 0x7fff
; %bb.84:
	s_and_not1_saveexec_b32 s3, s3
; %bb.85:
	v_and_b32_e32 v2, 0xffff, v66
	v_or_b32_e32 v3, 0x10000, v66
	s_delay_alu instid0(VALU_DEP_2) | instskip(NEXT) | instid1(VALU_DEP_2)
	v_cmp_eq_u32_e32 vcc_lo, 0, v2
	v_cndmask_b32_e32 v2, v3, v66, vcc_lo
; %bb.86:
	s_or_b32 exec_lo, exec_lo, s3
	v_and_b32_e32 v3, 0x7f800000, v67
	s_delay_alu instid0(VALU_DEP_1) | instskip(SKIP_1) | instid1(SALU_CYCLE_1)
	v_cmp_ne_u32_e32 vcc_lo, 0x7f800000, v3
                                        ; implicit-def: $vgpr3
	s_and_saveexec_b32 s3, vcc_lo
	s_xor_b32 s3, exec_lo, s3
; %bb.87:
	v_bfe_u32 v3, v67, 16, 1
	s_delay_alu instid0(VALU_DEP_1)
	v_add3_u32 v3, v67, v3, 0x7fff
; %bb.88:
	s_and_not1_saveexec_b32 s3, s3
; %bb.89:
	v_and_b32_e32 v3, 0xffff, v67
	v_or_b32_e32 v4, 0x10000, v67
	s_delay_alu instid0(VALU_DEP_2) | instskip(NEXT) | instid1(VALU_DEP_2)
	v_cmp_eq_u32_e32 vcc_lo, 0, v3
	v_cndmask_b32_e32 v3, v4, v67, vcc_lo
; %bb.90:
	s_or_b32 exec_lo, exec_lo, s3
	v_and_b32_e32 v4, 0x7f800000, v68
	s_delay_alu instid0(VALU_DEP_1) | instskip(SKIP_1) | instid1(SALU_CYCLE_1)
	v_cmp_ne_u32_e32 vcc_lo, 0x7f800000, v4
                                        ; implicit-def: $vgpr4
	s_and_saveexec_b32 s3, vcc_lo
	s_xor_b32 s3, exec_lo, s3
; %bb.91:
	v_bfe_u32 v4, v68, 16, 1
	s_delay_alu instid0(VALU_DEP_1)
	v_add3_u32 v4, v68, v4, 0x7fff
; %bb.92:
	s_and_not1_saveexec_b32 s3, s3
; %bb.93:
	v_and_b32_e32 v4, 0xffff, v68
	v_or_b32_e32 v5, 0x10000, v68
	s_delay_alu instid0(VALU_DEP_2) | instskip(NEXT) | instid1(VALU_DEP_2)
	v_cmp_eq_u32_e32 vcc_lo, 0, v4
	v_cndmask_b32_e32 v4, v5, v68, vcc_lo
; %bb.94:
	s_or_b32 exec_lo, exec_lo, s3
	v_and_b32_e32 v5, 0x7f800000, v69
	s_delay_alu instid0(VALU_DEP_1) | instskip(SKIP_1) | instid1(SALU_CYCLE_1)
	v_cmp_ne_u32_e32 vcc_lo, 0x7f800000, v5
                                        ; implicit-def: $vgpr5
	s_and_saveexec_b32 s3, vcc_lo
	s_xor_b32 s3, exec_lo, s3
; %bb.95:
	v_bfe_u32 v5, v69, 16, 1
	s_delay_alu instid0(VALU_DEP_1)
	v_add3_u32 v5, v69, v5, 0x7fff
; %bb.96:
	s_and_not1_saveexec_b32 s3, s3
; %bb.97:
	v_and_b32_e32 v5, 0xffff, v69
	v_or_b32_e32 v6, 0x10000, v69
	s_delay_alu instid0(VALU_DEP_2) | instskip(NEXT) | instid1(VALU_DEP_2)
	v_cmp_eq_u32_e32 vcc_lo, 0, v5
	v_cndmask_b32_e32 v5, v6, v69, vcc_lo
; %bb.98:
	s_or_b32 exec_lo, exec_lo, s3
	v_and_b32_e32 v6, 0x7f800000, v70
	s_delay_alu instid0(VALU_DEP_1) | instskip(SKIP_1) | instid1(SALU_CYCLE_1)
	v_cmp_ne_u32_e32 vcc_lo, 0x7f800000, v6
                                        ; implicit-def: $vgpr6
	s_and_saveexec_b32 s3, vcc_lo
	s_xor_b32 s3, exec_lo, s3
; %bb.99:
	v_bfe_u32 v6, v70, 16, 1
	s_delay_alu instid0(VALU_DEP_1)
	v_add3_u32 v6, v70, v6, 0x7fff
; %bb.100:
	s_and_not1_saveexec_b32 s3, s3
; %bb.101:
	v_and_b32_e32 v6, 0xffff, v70
	v_or_b32_e32 v7, 0x10000, v70
	s_delay_alu instid0(VALU_DEP_2) | instskip(NEXT) | instid1(VALU_DEP_2)
	v_cmp_eq_u32_e32 vcc_lo, 0, v6
	v_cndmask_b32_e32 v6, v7, v70, vcc_lo
; %bb.102:
	s_or_b32 exec_lo, exec_lo, s3
	v_and_b32_e32 v7, 0x7f800000, v71
	s_delay_alu instid0(VALU_DEP_1) | instskip(SKIP_1) | instid1(SALU_CYCLE_1)
	v_cmp_ne_u32_e32 vcc_lo, 0x7f800000, v7
                                        ; implicit-def: $vgpr7
	s_and_saveexec_b32 s3, vcc_lo
	s_xor_b32 s3, exec_lo, s3
; %bb.103:
	v_bfe_u32 v7, v71, 16, 1
	s_delay_alu instid0(VALU_DEP_1)
	v_add3_u32 v7, v71, v7, 0x7fff
; %bb.104:
	s_and_not1_saveexec_b32 s3, s3
; %bb.105:
	v_and_b32_e32 v7, 0xffff, v71
	v_or_b32_e32 v8, 0x10000, v71
	s_delay_alu instid0(VALU_DEP_2) | instskip(NEXT) | instid1(VALU_DEP_2)
	v_cmp_eq_u32_e32 vcc_lo, 0, v7
	v_cndmask_b32_e32 v7, v8, v71, vcc_lo
; %bb.106:
	s_or_b32 exec_lo, exec_lo, s3
	v_and_b32_e32 v8, 0x7f800000, v72
	s_delay_alu instid0(VALU_DEP_1) | instskip(SKIP_1) | instid1(SALU_CYCLE_1)
	v_cmp_ne_u32_e32 vcc_lo, 0x7f800000, v8
                                        ; implicit-def: $vgpr8
	s_and_saveexec_b32 s3, vcc_lo
	s_xor_b32 s3, exec_lo, s3
; %bb.107:
	v_bfe_u32 v8, v72, 16, 1
	s_delay_alu instid0(VALU_DEP_1)
	v_add3_u32 v8, v72, v8, 0x7fff
                                        ; implicit-def: $vgpr65_vgpr66_vgpr67_vgpr68_vgpr69_vgpr70_vgpr71_vgpr72
; %bb.108:
	s_and_not1_saveexec_b32 s3, s3
; %bb.109:
	v_and_b32_e32 v8, 0xffff, v72
	v_or_b32_e32 v9, 0x10000, v72
	s_delay_alu instid0(VALU_DEP_2) | instskip(NEXT) | instid1(VALU_DEP_2)
	v_cmp_eq_u32_e32 vcc_lo, 0, v8
	v_cndmask_b32_e32 v8, v9, v72, vcc_lo
; %bb.110:
	s_or_b32 exec_lo, exec_lo, s3
	s_delay_alu instid0(VALU_DEP_1)
	v_perm_b32 v7, v8, v7, 0x7060302
	v_perm_b32 v6, v6, v5, 0x7060302
	;; [unrolled: 1-line block ×4, first 2 shown]
	s_barrier
	buffer_gl0_inv
	v_cmp_eq_u32_e32 vcc_lo, 1, v78
	ds_store_b128 v76, v[4:7]
	s_waitcnt lgkmcnt(0)
	s_barrier
	buffer_gl0_inv
	ds_load_b128 v[1:4], v82
	ds_load_b128 v[5:8], v82 offset:16
	v_cmp_eq_u32_e64 s3, 1, v79
	v_cmp_eq_u32_e64 s4, 2, v78
	;; [unrolled: 1-line block ×5, first 2 shown]
	s_waitcnt lgkmcnt(1)
	v_lshrrev_b32_e32 v9, 16, v1
	s_waitcnt lgkmcnt(0)
	v_lshrrev_b32_e32 v13, 16, v5
	v_lshrrev_b32_e32 v10, 16, v2
	v_lshrrev_b32_e32 v14, 16, v6
	v_lshrrev_b32_e32 v11, 16, v3
	v_cndmask_b32_e64 v19, v1, v9, s3
	v_cndmask_b32_e32 v18, v5, v13, vcc_lo
	v_cndmask_b32_e64 v20, v5, v13, s3
	v_cndmask_b32_e32 v17, v1, v9, vcc_lo
	v_cmp_eq_u32_e32 vcc_lo, 2, v79
	v_lshrrev_b32_e32 v15, 16, v7
	v_cmp_eq_u32_e64 s3, 1, v77
	v_lshrrev_b32_e32 v12, 16, v4
	v_lshrrev_b32_e32 v16, 16, v8
	v_cndmask_b32_e32 v20, v20, v6, vcc_lo
	v_cndmask_b32_e64 v17, v17, v2, s4
	v_cndmask_b32_e32 v19, v19, v2, vcc_lo
	v_cndmask_b32_e64 v18, v18, v6, s4
	v_cmp_eq_u32_e32 vcc_lo, 4, v78
	v_cmp_eq_u32_e64 s4, 3, v79
	v_cndmask_b32_e64 v17, v17, v10, s5
	v_cndmask_b32_e64 v21, v1, v9, s3
	;; [unrolled: 1-line block ×5, first 2 shown]
	v_cndmask_b32_e32 v17, v17, v3, vcc_lo
	v_cndmask_b32_e64 v20, v20, v14, s4
	v_cndmask_b32_e32 v18, v18, v7, vcc_lo
	v_cmp_eq_u32_e32 vcc_lo, 4, v79
	v_cmp_eq_u32_e64 s4, 5, v79
	v_cmp_eq_u32_e64 s3, 2, v81
	v_cndmask_b32_e64 v21, v21, v2, s7
	v_cmp_eq_u32_e64 s5, 5, v78
	v_cndmask_b32_e32 v19, v19, v3, vcc_lo
	v_cndmask_b32_e32 v20, v20, v7, vcc_lo
	v_cmp_eq_u32_e32 vcc_lo, 6, v79
	s_delay_alu instid0(VALU_DEP_4) | instskip(NEXT) | instid1(VALU_DEP_4)
	v_cndmask_b32_e64 v17, v17, v11, s5
	v_cndmask_b32_e64 v19, v19, v11, s4
	s_delay_alu instid0(VALU_DEP_4) | instskip(SKIP_1) | instid1(VALU_DEP_3)
	v_cndmask_b32_e64 v20, v20, v15, s4
	v_cmp_eq_u32_e64 s4, 1, v81
	v_cndmask_b32_e32 v19, v19, v4, vcc_lo
	v_cndmask_b32_e64 v18, v18, v15, s5
	s_delay_alu instid0(VALU_DEP_3)
	v_cndmask_b32_e64 v1, v1, v9, s4
	v_cndmask_b32_e64 v5, v5, v13, s4
	v_cmp_eq_u32_e64 s4, 3, v77
	v_cndmask_b32_e64 v13, v22, v6, s7
	v_cmp_eq_u32_e64 s7, 3, v81
	v_cndmask_b32_e64 v1, v1, v2, s3
	v_cndmask_b32_e64 v2, v5, v6, s3
	;; [unrolled: 1-line block ×3, first 2 shown]
	v_cmp_eq_u32_e64 s3, 4, v77
	v_cndmask_b32_e64 v6, v13, v14, s4
	v_cndmask_b32_e64 v1, v1, v10, s7
	v_cmp_eq_u32_e64 s4, 4, v81
	v_cndmask_b32_e64 v2, v2, v14, s7
	v_cndmask_b32_e64 v5, v9, v3, s3
	;; [unrolled: 3-line block ×3, first 2 shown]
	v_cndmask_b32_e64 v2, v2, v7, s4
	v_cmp_eq_u32_e64 s3, 5, v81
	v_cmp_eq_u32_e64 s5, 6, v78
	v_cndmask_b32_e64 v5, v5, v11, s7
	v_cmp_eq_u32_e64 s4, 6, v77
	v_cndmask_b32_e64 v3, v6, v15, s7
	v_cndmask_b32_e64 v1, v1, v11, s3
	v_cmp_eq_u32_e64 s7, 6, v81
	v_cndmask_b32_e64 v2, v2, v15, s3
	v_cndmask_b32_e64 v17, v17, v4, s5
	v_cndmask_b32_e64 v18, v18, v8, s5
	v_cmp_eq_u32_e64 s5, 7, v78
	v_cndmask_b32_e64 v5, v5, v4, s4
	;; [unrolled: 4-line block ×3, first 2 shown]
	v_cmp_eq_u32_e64 s4, 7, v77
	v_cndmask_b32_e32 v4, v20, v8, vcc_lo
	v_cndmask_b32_e64 v17, v17, v12, s5
	v_cndmask_b32_e64 v19, v19, v12, s6
	;; [unrolled: 1-line block ×8, first 2 shown]
	s_mov_b32 s3, exec_lo
	v_perm_b32 v4, v2, v1, 0x5040100
	v_perm_b32 v3, v3, v5, 0x5040100
	;; [unrolled: 1-line block ×4, first 2 shown]
	ds_store_b128 v76, v[1:4]
	s_waitcnt lgkmcnt(0)
	s_barrier
	buffer_gl0_inv
	v_cmpx_gt_u32_e32 32, v0
	s_cbranch_execz .LBB1580_2
; %bb.111:
	s_load_b64 s[4:5], s[0:1], 0x68
	v_add_nc_u32_e32 v20, s31, v74
	v_lshlrev_b32_e32 v0, 10, v0
	v_lshlrev_b32_e32 v1, 4, v75
	s_lshl_b32 s0, s34, 7
	s_delay_alu instid0(SALU_CYCLE_1)
	s_mul_i32 s1, s0, s30
	v_add_nc_u32_e32 v2, 2, v20
	s_mul_i32 s6, s1, s8
	v_and_or_b32 v0, 0x3800, v0, v1
	v_mul_lo_u32 v1, v20, s0
	s_ashr_i32 s7, s6, 31
	v_mul_lo_u32 v11, v2, s0
	s_lshl_b64 s[6:7], s[6:7], 1
	v_add_nc_u32_e32 v3, 4, v20
	v_lshl_or_b32 v21, v74, 6, v0
	v_add_nc_u32_e32 v16, 6, v20
	v_ashrrev_i32_e32 v2, 31, v1
	s_delay_alu instid0(VALU_DEP_4)
	v_mul_lo_u32 v13, v3, s0
	s_waitcnt lgkmcnt(0)
	s_add_u32 s1, s4, s6
	s_addc_u32 s3, s5, s7
	s_lshl_b32 s4, s14, 7
	ds_load_b128 v[3:6], v21
	ds_load_b128 v[7:10], v21 offset:128
	s_ashr_i32 s5, s4, 31
	v_ashrrev_i32_e32 v12, 31, v11
	s_lshl_b64 s[4:5], s[4:5], 1
	v_lshlrev_b64 v[14:15], 1, v[1:2]
	s_add_u32 s1, s1, s4
	s_addc_u32 s3, s3, s5
	v_add_co_u32 v1, s1, s1, v73
	s_delay_alu instid0(VALU_DEP_1) | instskip(SKIP_1) | instid1(VALU_DEP_3)
	v_add_co_ci_u32_e64 v2, null, s3, 0, s1
	v_lshlrev_b64 v[11:12], 1, v[11:12]
	v_add_co_u32 v18, vcc_lo, v1, v14
	v_mul_lo_u32 v16, v16, s0
	s_delay_alu instid0(VALU_DEP_4) | instskip(NEXT) | instid1(VALU_DEP_4)
	v_add_co_ci_u32_e32 v19, vcc_lo, v2, v15, vcc_lo
	v_add_co_u32 v11, vcc_lo, v1, v11
	v_ashrrev_i32_e32 v14, 31, v13
	v_add_co_ci_u32_e32 v12, vcc_lo, v2, v12, vcc_lo
	v_add_nc_u32_e32 v15, 8, v20
	v_ashrrev_i32_e32 v17, 31, v16
	s_waitcnt lgkmcnt(1)
	global_store_b128 v[18:19], v[3:6], off
	v_lshlrev_b64 v[3:4], 1, v[13:14]
	s_waitcnt lgkmcnt(0)
	global_store_b128 v[11:12], v[7:10], off
	v_mul_lo_u32 v11, v15, s0
	v_add_nc_u32_e32 v7, 10, v20
	v_lshlrev_b64 v[5:6], 1, v[16:17]
	v_add_co_u32 v23, vcc_lo, v1, v3
	v_add_nc_u32_e32 v3, 12, v20
	s_delay_alu instid0(VALU_DEP_4)
	v_mul_lo_u32 v25, v7, s0
	v_ashrrev_i32_e32 v12, 31, v11
	v_add_co_ci_u32_e32 v24, vcc_lo, v2, v4, vcc_lo
	v_add_co_u32 v27, vcc_lo, v1, v5
	v_mul_lo_u32 v29, v3, s0
	v_add_co_ci_u32_e32 v28, vcc_lo, v2, v6, vcc_lo
	ds_load_b128 v[3:6], v21 offset:256
	ds_load_b128 v[7:10], v21 offset:384
	v_lshlrev_b64 v[31:32], 1, v[11:12]
	ds_load_b128 v[11:14], v21 offset:512
	ds_load_b128 v[15:18], v21 offset:640
	;; [unrolled: 1-line block ×3, first 2 shown]
	v_ashrrev_i32_e32 v26, 31, v25
	v_ashrrev_i32_e32 v30, 31, v29
	v_add_co_u32 v31, vcc_lo, v1, v31
	s_delay_alu instid0(VALU_DEP_3) | instskip(NEXT) | instid1(VALU_DEP_3)
	v_lshlrev_b64 v[25:26], 1, v[25:26]
	v_lshlrev_b64 v[29:30], 1, v[29:30]
	v_add_co_ci_u32_e32 v32, vcc_lo, v2, v32, vcc_lo
	s_delay_alu instid0(VALU_DEP_3) | instskip(NEXT) | instid1(VALU_DEP_4)
	v_add_co_u32 v25, vcc_lo, v1, v25
	v_add_co_ci_u32_e32 v26, vcc_lo, v2, v26, vcc_lo
	s_delay_alu instid0(VALU_DEP_4)
	v_add_co_u32 v29, vcc_lo, v1, v29
	v_add_co_ci_u32_e32 v30, vcc_lo, v2, v30, vcc_lo
	s_waitcnt lgkmcnt(4)
	global_store_b128 v[23:24], v[3:6], off
	s_waitcnt lgkmcnt(3)
	global_store_b128 v[27:28], v[7:10], off
	;; [unrolled: 2-line block ×5, first 2 shown]
	s_and_b32 exec_lo, exec_lo, s2
	s_cbranch_execz .LBB1580_2
; %bb.112:
	ds_load_b128 v[3:6], v0 offset:896
	s_add_i32 s1, s31, 14
	s_delay_alu instid0(SALU_CYCLE_1) | instskip(NEXT) | instid1(SALU_CYCLE_1)
	s_mul_i32 s0, s1, s0
	s_ashr_i32 s1, s0, 31
	s_delay_alu instid0(SALU_CYCLE_1) | instskip(NEXT) | instid1(SALU_CYCLE_1)
	s_lshl_b64 s[0:1], s[0:1], 1
	v_add_co_u32 v0, vcc_lo, v1, s0
	v_add_co_ci_u32_e32 v1, vcc_lo, s1, v2, vcc_lo
	s_waitcnt lgkmcnt(0)
	global_store_b128 v[0:1], v[3:6], off
	s_nop 0
	s_sendmsg sendmsg(MSG_DEALLOC_VGPRS)
	s_endpgm
	.section	.rodata,"a",@progbits
	.p2align	6, 0x0
	.amdhsa_kernel _Z39paged_attention_ll4mi_QKV_mfma16_kernelI14__hip_bfloat16hLN4vllm18Fp8KVCacheDataTypeE1ES0_Li16ELi128ELi256ELb0ELi15EL8MFMAType1EEvPKT_PKT0_S9_ifPKiSB_SB_iPKfiiiPfSE_PS4_PT2_iSD_SD_
		.amdhsa_group_segment_fixed_size 17472
		.amdhsa_private_segment_fixed_size 0
		.amdhsa_kernarg_size 400
		.amdhsa_user_sgpr_count 13
		.amdhsa_user_sgpr_dispatch_ptr 0
		.amdhsa_user_sgpr_queue_ptr 0
		.amdhsa_user_sgpr_kernarg_segment_ptr 1
		.amdhsa_user_sgpr_dispatch_id 0
		.amdhsa_user_sgpr_private_segment_size 0
		.amdhsa_wavefront_size32 1
		.amdhsa_uses_dynamic_stack 0
		.amdhsa_enable_private_segment 0
		.amdhsa_system_sgpr_workgroup_id_x 1
		.amdhsa_system_sgpr_workgroup_id_y 1
		.amdhsa_system_sgpr_workgroup_id_z 1
		.amdhsa_system_sgpr_workgroup_info 0
		.amdhsa_system_vgpr_workitem_id 0
		.amdhsa_next_free_vgpr 140
		.amdhsa_next_free_sgpr 36
		.amdhsa_reserve_vcc 1
		.amdhsa_float_round_mode_32 0
		.amdhsa_float_round_mode_16_64 0
		.amdhsa_float_denorm_mode_32 3
		.amdhsa_float_denorm_mode_16_64 3
		.amdhsa_dx10_clamp 1
		.amdhsa_ieee_mode 1
		.amdhsa_fp16_overflow 0
		.amdhsa_workgroup_processor_mode 1
		.amdhsa_memory_ordered 1
		.amdhsa_forward_progress 0
		.amdhsa_shared_vgpr_count 0
		.amdhsa_exception_fp_ieee_invalid_op 0
		.amdhsa_exception_fp_denorm_src 0
		.amdhsa_exception_fp_ieee_div_zero 0
		.amdhsa_exception_fp_ieee_overflow 0
		.amdhsa_exception_fp_ieee_underflow 0
		.amdhsa_exception_fp_ieee_inexact 0
		.amdhsa_exception_int_div_zero 0
	.end_amdhsa_kernel
	.section	.text._Z39paged_attention_ll4mi_QKV_mfma16_kernelI14__hip_bfloat16hLN4vllm18Fp8KVCacheDataTypeE1ES0_Li16ELi128ELi256ELb0ELi15EL8MFMAType1EEvPKT_PKT0_S9_ifPKiSB_SB_iPKfiiiPfSE_PS4_PT2_iSD_SD_,"axG",@progbits,_Z39paged_attention_ll4mi_QKV_mfma16_kernelI14__hip_bfloat16hLN4vllm18Fp8KVCacheDataTypeE1ES0_Li16ELi128ELi256ELb0ELi15EL8MFMAType1EEvPKT_PKT0_S9_ifPKiSB_SB_iPKfiiiPfSE_PS4_PT2_iSD_SD_,comdat
.Lfunc_end1580:
	.size	_Z39paged_attention_ll4mi_QKV_mfma16_kernelI14__hip_bfloat16hLN4vllm18Fp8KVCacheDataTypeE1ES0_Li16ELi128ELi256ELb0ELi15EL8MFMAType1EEvPKT_PKT0_S9_ifPKiSB_SB_iPKfiiiPfSE_PS4_PT2_iSD_SD_, .Lfunc_end1580-_Z39paged_attention_ll4mi_QKV_mfma16_kernelI14__hip_bfloat16hLN4vllm18Fp8KVCacheDataTypeE1ES0_Li16ELi128ELi256ELb0ELi15EL8MFMAType1EEvPKT_PKT0_S9_ifPKiSB_SB_iPKfiiiPfSE_PS4_PT2_iSD_SD_
                                        ; -- End function
	.section	.AMDGPU.csdata,"",@progbits
; Kernel info:
; codeLenInByte = 9152
; NumSgprs: 38
; NumVgprs: 140
; ScratchSize: 0
; MemoryBound: 0
; FloatMode: 240
; IeeeMode: 1
; LDSByteSize: 17472 bytes/workgroup (compile time only)
; SGPRBlocks: 4
; VGPRBlocks: 17
; NumSGPRsForWavesPerEU: 38
; NumVGPRsForWavesPerEU: 140
; Occupancy: 10
; WaveLimiterHint : 1
; COMPUTE_PGM_RSRC2:SCRATCH_EN: 0
; COMPUTE_PGM_RSRC2:USER_SGPR: 13
; COMPUTE_PGM_RSRC2:TRAP_HANDLER: 0
; COMPUTE_PGM_RSRC2:TGID_X_EN: 1
; COMPUTE_PGM_RSRC2:TGID_Y_EN: 1
; COMPUTE_PGM_RSRC2:TGID_Z_EN: 1
; COMPUTE_PGM_RSRC2:TIDIG_COMP_CNT: 0
	.section	.text._Z39paged_attention_ll4mi_QKV_mfma16_kernelI14__hip_bfloat16hLN4vllm18Fp8KVCacheDataTypeE1ES0_Li16ELi128ELi256ELb0ELi16EL8MFMAType1EEvPKT_PKT0_S9_ifPKiSB_SB_iPKfiiiPfSE_PS4_PT2_iSD_SD_,"axG",@progbits,_Z39paged_attention_ll4mi_QKV_mfma16_kernelI14__hip_bfloat16hLN4vllm18Fp8KVCacheDataTypeE1ES0_Li16ELi128ELi256ELb0ELi16EL8MFMAType1EEvPKT_PKT0_S9_ifPKiSB_SB_iPKfiiiPfSE_PS4_PT2_iSD_SD_,comdat
	.protected	_Z39paged_attention_ll4mi_QKV_mfma16_kernelI14__hip_bfloat16hLN4vllm18Fp8KVCacheDataTypeE1ES0_Li16ELi128ELi256ELb0ELi16EL8MFMAType1EEvPKT_PKT0_S9_ifPKiSB_SB_iPKfiiiPfSE_PS4_PT2_iSD_SD_ ; -- Begin function _Z39paged_attention_ll4mi_QKV_mfma16_kernelI14__hip_bfloat16hLN4vllm18Fp8KVCacheDataTypeE1ES0_Li16ELi128ELi256ELb0ELi16EL8MFMAType1EEvPKT_PKT0_S9_ifPKiSB_SB_iPKfiiiPfSE_PS4_PT2_iSD_SD_
	.globl	_Z39paged_attention_ll4mi_QKV_mfma16_kernelI14__hip_bfloat16hLN4vllm18Fp8KVCacheDataTypeE1ES0_Li16ELi128ELi256ELb0ELi16EL8MFMAType1EEvPKT_PKT0_S9_ifPKiSB_SB_iPKfiiiPfSE_PS4_PT2_iSD_SD_
	.p2align	8
	.type	_Z39paged_attention_ll4mi_QKV_mfma16_kernelI14__hip_bfloat16hLN4vllm18Fp8KVCacheDataTypeE1ES0_Li16ELi128ELi256ELb0ELi16EL8MFMAType1EEvPKT_PKT0_S9_ifPKiSB_SB_iPKfiiiPfSE_PS4_PT2_iSD_SD_,@function
_Z39paged_attention_ll4mi_QKV_mfma16_kernelI14__hip_bfloat16hLN4vllm18Fp8KVCacheDataTypeE1ES0_Li16ELi128ELi256ELb0ELi16EL8MFMAType1EEvPKT_PKT0_S9_ifPKiSB_SB_iPKfiiiPfSE_PS4_PT2_iSD_SD_: ; @_Z39paged_attention_ll4mi_QKV_mfma16_kernelI14__hip_bfloat16hLN4vllm18Fp8KVCacheDataTypeE1ES0_Li16ELi128ELi256ELb0ELi16EL8MFMAType1EEvPKT_PKT0_S9_ifPKiSB_SB_iPKfiiiPfSE_PS4_PT2_iSD_SD_
; %bb.0:
	s_load_b64 s[4:5], s[0:1], 0x30
	s_mov_b32 s30, s13
	s_waitcnt lgkmcnt(0)
	s_cmp_lg_u64 s[4:5], 0
	s_cselect_b32 s8, -1, 0
	s_ashr_i32 s31, s13, 31
	s_cmp_eq_u64 s[4:5], 0
	s_cbranch_scc1 .LBB1581_3
; %bb.1:
	s_lshl_b64 s[2:3], s[30:31], 2
	s_delay_alu instid0(SALU_CYCLE_1) | instskip(SKIP_4) | instid1(SALU_CYCLE_1)
	s_add_u32 s2, s4, s2
	s_addc_u32 s3, s5, s3
	s_load_b64 s[2:3], s[2:3], 0x0
	s_waitcnt lgkmcnt(0)
	s_sub_i32 s2, s3, s2
	s_cmp_eq_u32 s2, 1
	s_cselect_b32 s2, -1, 0
	s_delay_alu instid0(SALU_CYCLE_1)
	s_and_not1_b32 vcc_lo, exec_lo, s2
	s_cbranch_vccz .LBB1581_4
.LBB1581_2:
	s_endpgm
.LBB1581_3:
.LBB1581_4:
	s_load_b64 s[2:3], s[0:1], 0x28
	s_lshl_b64 s[6:7], s[30:31], 2
	s_waitcnt lgkmcnt(0)
	s_add_u32 s2, s2, s6
	s_addc_u32 s3, s3, s7
	s_lshl_b32 s12, s14, 8
	s_load_b32 s24, s[2:3], 0x0
	s_waitcnt lgkmcnt(0)
	s_cmp_ge_i32 s12, s24
	s_cbranch_scc1 .LBB1581_2
; %bb.5:
	s_clause 0x1
	s_load_b128 s[20:23], s[0:1], 0x8
	s_load_b64 s[2:3], s[0:1], 0x20
	s_and_not1_b32 vcc_lo, exec_lo, s8
	s_cbranch_vccnz .LBB1581_7
; %bb.6:
	s_add_u32 s4, s4, s6
	s_addc_u32 s5, s5, s7
	s_load_b32 s5, s[4:5], 0x0
	s_branch .LBB1581_8
.LBB1581_7:
	s_mov_b32 s5, s30
.LBB1581_8:
	s_load_b128 s[16:19], s[0:1], 0x48
	v_and_b32_e32 v66, 15, v0
	v_lshrrev_b32_e32 v65, 5, v0
	v_and_b32_e32 v67, 31, v0
	v_and_b32_e32 v75, 1, v0
	v_bfe_u32 v74, v0, 4, 1
	v_lshlrev_b32_e32 v1, 3, v66
	s_lshl_b32 s29, s15, 4
	s_mov_b32 s4, exec_lo
	s_delay_alu instid0(VALU_DEP_1)
	v_lshlrev_b32_e32 v73, 1, v1
	v_cmpx_gt_u32_e32 0x100, v0
	s_cbranch_execz .LBB1581_10
; %bb.9:
	v_lshl_or_b32 v5, v65, 1, v74
	s_load_b64 s[6:7], s[0:1], 0x0
	s_waitcnt lgkmcnt(0)
	s_mul_hi_i32 s9, s5, s16
	s_mul_i32 s8, s5, s16
	v_lshlrev_b32_e32 v6, 10, v66
	v_or_b32_e32 v1, s29, v5
	s_lshl_b64 s[8:9], s[8:9], 1
	v_lshlrev_b32_e32 v5, 6, v5
	v_lshlrev_b32_e32 v7, 10, v75
	v_and_b32_e32 v6, 0x3800, v6
	v_lshlrev_b32_e32 v1, 7, v1
	s_delay_alu instid0(VALU_DEP_2) | instskip(NEXT) | instid1(VALU_DEP_2)
	v_or3_b32 v5, v6, v7, v5
	v_ashrrev_i32_e32 v2, 31, v1
	s_delay_alu instid0(VALU_DEP_1) | instskip(SKIP_2) | instid1(VALU_DEP_1)
	v_lshlrev_b64 v[1:2], 1, v[1:2]
	s_add_u32 s5, s6, s8
	s_addc_u32 s6, s7, s9
	v_add_co_u32 v1, vcc_lo, s5, v1
	s_delay_alu instid0(VALU_DEP_2) | instskip(NEXT) | instid1(VALU_DEP_2)
	v_add_co_ci_u32_e32 v2, vcc_lo, s6, v2, vcc_lo
	v_add_co_u32 v1, vcc_lo, v1, v73
	s_delay_alu instid0(VALU_DEP_2)
	v_add_co_ci_u32_e32 v2, vcc_lo, 0, v2, vcc_lo
	global_load_b128 v[1:4], v[1:2], off
	s_waitcnt vmcnt(0)
	ds_store_b128 v5, v[1:4]
.LBB1581_10:
	s_or_b32 exec_lo, exec_lo, s4
	v_and_b32_e32 v1, 0xef, v0
	s_waitcnt lgkmcnt(0)
	s_add_i32 s5, s24, 15
	s_clause 0x1
	s_load_b32 s4, s[0:1], 0x38
	s_load_b32 s19, s[0:1], 0x1c
	s_ashr_i32 s6, s5, 31
	v_add_nc_u32_e32 v1, s12, v1
	s_lshr_b32 s6, s6, 28
	s_waitcnt lgkmcnt(0)
	s_add_i32 s5, s5, s6
	s_barrier
	v_ashrrev_i32_e32 v2, 31, v1
	v_or_b32_e32 v3, 16, v1
	s_ashr_i32 s13, s5, 4
	v_cmp_gt_i32_e32 vcc_lo, s24, v1
	s_add_i32 s13, s13, -1
	v_lshrrev_b32_e32 v2, 28, v2
	buffer_gl0_inv
	s_mul_i32 s15, s15, s18
	v_lshlrev_b32_e32 v41, 4, v66
	v_add_nc_u32_e32 v4, v1, v2
	s_mul_i32 s4, s30, s4
	s_delay_alu instid0(VALU_DEP_2) | instskip(SKIP_1) | instid1(VALU_DEP_2)
	v_lshl_or_b32 v41, v65, 8, v41
	s_ashr_i32 s5, s4, 31
	v_ashrrev_i32_e32 v4, 4, v4
	v_add_nc_u32_e32 v2, v3, v2
	s_lshl_b64 s[4:5], s[4:5], 2
	s_delay_alu instid0(SALU_CYCLE_1) | instskip(NEXT) | instid1(VALU_DEP_2)
	s_add_u32 s16, s2, s4
	v_cndmask_b32_e32 v1, s13, v4, vcc_lo
	s_delay_alu instid0(VALU_DEP_2)
	v_ashrrev_i32_e32 v2, 4, v2
	v_cmp_gt_i32_e32 vcc_lo, s24, v3
	s_addc_u32 s25, s3, s5
	s_ashr_i32 s18, s15, 31
	s_add_u32 s26, s20, s15
	s_addc_u32 s27, s21, s18
	v_cndmask_b32_e32 v3, s13, v2, vcc_lo
	v_ashrrev_i32_e32 v2, 31, v1
	s_lshl_b32 s2, s14, 4
	s_delay_alu instid0(SALU_CYCLE_1) | instskip(NEXT) | instid1(VALU_DEP_2)
	s_ashr_i32 s3, s2, 31
	v_ashrrev_i32_e32 v4, 31, v3
	s_delay_alu instid0(VALU_DEP_2) | instskip(SKIP_1) | instid1(SALU_CYCLE_1)
	v_lshlrev_b64 v[1:2], 2, v[1:2]
	s_lshl_b64 s[2:3], s[2:3], 2
	s_add_u32 s2, s16, s2
	s_delay_alu instid0(VALU_DEP_2) | instskip(SKIP_1) | instid1(VALU_DEP_2)
	v_lshlrev_b64 v[3:4], 2, v[3:4]
	s_addc_u32 s3, s25, s3
	v_add_co_u32 v1, vcc_lo, s16, v1
	v_add_co_ci_u32_e32 v2, vcc_lo, s25, v2, vcc_lo
	s_delay_alu instid0(VALU_DEP_3) | instskip(NEXT) | instid1(VALU_DEP_4)
	v_add_co_u32 v3, vcc_lo, s16, v3
	v_add_co_ci_u32_e32 v4, vcc_lo, s25, v4, vcc_lo
	s_clause 0x1
	global_load_b32 v5, v[1:2], off
	global_load_b32 v3, v[3:4], off
	s_or_b32 s4, s12, 32
	v_lshlrev_b32_e32 v1, 4, v0
	s_ashr_i32 s5, s4, 4
	s_cmp_lt_i32 s4, s24
	s_cselect_b32 s4, s5, s13
	s_delay_alu instid0(VALU_DEP_1) | instskip(SKIP_1) | instid1(SALU_CYCLE_1)
	v_and_b32_e32 v1, 0xf0, v1
	s_ashr_i32 s5, s4, 31
	s_lshl_b64 s[4:5], s[4:5], 2
	s_delay_alu instid0(SALU_CYCLE_1)
	s_add_u32 s4, s16, s4
	s_addc_u32 s5, s25, s5
	s_or_b32 s6, s12, 64
	v_add_co_u32 v1, s26, s26, v1
	s_ashr_i32 s7, s6, 4
	s_cmp_lt_i32 s6, s24
	v_add_co_ci_u32_e64 v2, null, s27, 0, s26
	s_cselect_b32 s6, s7, s13
	s_delay_alu instid0(SALU_CYCLE_1) | instskip(NEXT) | instid1(SALU_CYCLE_1)
	s_ashr_i32 s7, s6, 31
	s_lshl_b64 s[6:7], s[6:7], 2
	s_delay_alu instid0(SALU_CYCLE_1) | instskip(SKIP_2) | instid1(SALU_CYCLE_1)
	s_add_u32 s6, s16, s6
	s_addc_u32 s7, s25, s7
	s_or_b32 s8, s12, 0x60
	s_ashr_i32 s9, s8, 4
	s_cmp_lt_i32 s8, s24
	s_cselect_b32 s8, s9, s13
	s_delay_alu instid0(SALU_CYCLE_1) | instskip(NEXT) | instid1(SALU_CYCLE_1)
	s_ashr_i32 s9, s8, 31
	s_lshl_b64 s[8:9], s[8:9], 2
	s_delay_alu instid0(SALU_CYCLE_1) | instskip(SKIP_2) | instid1(SALU_CYCLE_1)
	s_add_u32 s8, s16, s8
	s_addc_u32 s9, s25, s9
	s_or_b32 s10, s12, 0x80
	s_ashr_i32 s11, s10, 4
	s_cmp_lt_i32 s10, s24
	;; [unrolled: 10-line block ×3, first 2 shown]
	s_cselect_b32 s20, s21, s13
	s_delay_alu instid0(SALU_CYCLE_1) | instskip(NEXT) | instid1(SALU_CYCLE_1)
	s_ashr_i32 s21, s20, 31
	s_lshl_b64 s[20:21], s[20:21], 2
	s_delay_alu instid0(SALU_CYCLE_1)
	s_add_u32 s20, s16, s20
	s_addc_u32 s21, s25, s21
	s_clause 0x5
	s_load_b32 s26, s[2:3], 0x0
	s_load_b32 s27, s[4:5], 0x0
	;; [unrolled: 1-line block ×6, first 2 shown]
	s_or_b32 s2, s12, 0xc0
	s_mov_b32 s4, 0
	s_ashr_i32 s3, s2, 4
	s_cmp_lt_i32 s2, s24
	s_mov_b32 s11, s4
	s_cselect_b32 s2, s3, s13
	s_mov_b32 s5, s4
	s_ashr_i32 s3, s2, 31
	s_mov_b32 s6, s4
	s_lshl_b64 s[2:3], s[2:3], 2
	s_mov_b32 s7, s4
	s_add_u32 s2, s16, s2
	s_mov_b32 s8, s4
	s_mov_b32 s9, s4
	;; [unrolled: 1-line block ×3, first 2 shown]
	s_addc_u32 s3, s25, s3
	s_or_b32 s21, s12, 0xe0
	v_mov_b32_e32 v108, s11
	v_mov_b32_e32 v102, s5
	v_dual_mov_b32 v105, s8 :: v_dual_lshlrev_b32 v76, 6, v66
	v_dual_mov_b32 v107, s10 :: v_dual_mov_b32 v106, s9
	v_dual_mov_b32 v104, s7 :: v_dual_mov_b32 v103, s6
	v_mov_b32_e32 v101, s4
	s_ashr_i32 s4, s21, 4
	s_cmp_lt_i32 s21, s24
	s_cselect_b32 s4, s4, s13
	s_delay_alu instid0(SALU_CYCLE_1) | instskip(NEXT) | instid1(SALU_CYCLE_1)
	s_ashr_i32 s5, s4, 31
	s_lshl_b64 s[4:5], s[4:5], 2
	s_waitcnt vmcnt(1)
	v_mad_i64_i32 v[33:34], null, v5, s17, v[1:2]
	s_waitcnt vmcnt(0)
	v_mad_i64_i32 v[35:36], null, v3, s17, v[1:2]
	s_clause 0xf
	global_load_b128 v[1:4], v[33:34], off
	global_load_b128 v[5:8], v[33:34], off offset:256
	global_load_b128 v[9:12], v[35:36], off
	global_load_b128 v[13:16], v[35:36], off offset:256
	global_load_b128 v[17:20], v[33:34], off offset:512
	;; [unrolled: 1-line block ×13, first 2 shown]
	ds_load_b128 v[33:36], v76
	ds_load_b128 v[37:40], v76 offset:1024
	ds_load_b128 v[109:112], v76 offset:2048
	;; [unrolled: 1-line block ×3, first 2 shown]
	s_load_b32 s6, s[2:3], 0x0
	s_add_u32 s2, s16, s4
	s_addc_u32 s3, s25, s5
	ds_load_b128 v[117:120], v76 offset:4096
	ds_load_b128 v[121:124], v76 offset:5120
	s_load_b32 s2, s[2:3], 0x0
	s_add_u32 s4, s22, s15
	s_addc_u32 s5, s23, s18
	v_add_co_u32 v68, s4, s4, v41
	s_delay_alu instid0(VALU_DEP_1) | instskip(SKIP_1) | instid1(VALU_DEP_1)
	v_add_co_ci_u32_e64 v69, null, s5, 0, s4
	s_waitcnt lgkmcnt(0)
	v_mad_i64_i32 v[41:42], null, s26, s17, v[68:69]
	v_mad_i64_i32 v[70:71], null, s28, s17, v[68:69]
	;; [unrolled: 1-line block ×7, first 2 shown]
	s_clause 0x3
	global_load_b128 v[49:52], v[41:42], off
	global_load_b128 v[53:56], v[41:42], off offset:16
	global_load_b128 v[41:44], v[45:46], off
	global_load_b128 v[45:48], v[45:46], off offset:16
	s_waitcnt vmcnt(18)
	v_wmma_f32_16x16x16_bf16 v[125:132], v[1:8], v[33:40], v[101:108]
	s_waitcnt vmcnt(16)
	v_wmma_f32_16x16x16_bf16 v[101:108], v[9:16], v[33:40], v[101:108]
	s_clause 0x1
	global_load_b128 v[33:36], v[70:71], off
	global_load_b128 v[37:40], v[70:71], off offset:16
	v_mad_i64_i32 v[70:71], null, s2, s17, v[68:69]
	s_waitcnt vmcnt(16)
	v_wmma_f32_16x16x16_bf16 v[125:132], v[17:24], v[109:116], v[125:132]
	s_waitcnt vmcnt(14)
	v_wmma_f32_16x16x16_bf16 v[101:108], v[25:32], v[109:116], v[101:108]
	s_clause 0x7
	global_load_b128 v[25:28], v[133:134], off
	global_load_b128 v[29:32], v[133:134], off offset:16
	global_load_b128 v[1:4], v[135:136], off
	global_load_b128 v[5:8], v[135:136], off offset:16
	;; [unrolled: 2-line block ×4, first 2 shown]
	s_waitcnt vmcnt(20)
	v_wmma_f32_16x16x16_bf16 v[125:132], v[57:64], v[117:124], v[125:132]
	s_clause 0x1
	global_load_b128 v[57:60], v[70:71], off
	global_load_b128 v[61:64], v[70:71], off offset:16
	s_waitcnt vmcnt(20)
	v_wmma_f32_16x16x16_bf16 v[101:108], v[77:84], v[117:124], v[101:108]
	ds_load_b128 v[77:80], v76 offset:6144
	ds_load_b128 v[81:84], v76 offset:7168
	v_and_b32_e32 v68, 0xe0, v0
	v_mbcnt_lo_u32_b32 v69, -1, 0
	s_waitcnt vmcnt(0) lgkmcnt(0)
	s_barrier
	buffer_gl0_inv
	v_add_nc_u32_e32 v68, s12, v68
	v_xor_b32_e32 v70, 16, v69
	s_delay_alu instid0(VALU_DEP_2) | instskip(NEXT) | instid1(VALU_DEP_2)
	v_or_b32_e32 v68, v68, v74
	v_cmp_gt_i32_e32 vcc_lo, 32, v70
	s_delay_alu instid0(VALU_DEP_2)
	v_or_b32_e32 v71, 4, v68
	v_or_b32_e32 v72, 6, v68
	v_cmp_gt_i32_e64 s2, s24, v68
	v_or_b32_e32 v109, 8, v68
	v_wmma_f32_16x16x16_bf16 v[125:132], v[85:92], v[77:84], v[125:132]
	v_cndmask_b32_e32 v69, v69, v70, vcc_lo
	v_or_b32_e32 v70, 2, v68
	v_wmma_f32_16x16x16_bf16 v[101:108], v[93:100], v[77:84], v[101:108]
	v_or_b32_e32 v85, 10, v68
	v_dual_mul_f32 v84, s19, v128 :: v_dual_mul_f32 v83, s19, v129
	v_dual_mul_f32 v94, s19, v126 :: v_dual_mul_f32 v95, s19, v125
	s_delay_alu instid0(VALU_DEP_4) | instskip(SKIP_2) | instid1(VALU_DEP_4)
	v_mul_f32_e32 v98, s19, v106
	v_cmp_gt_i32_e32 vcc_lo, s24, v70
	v_dual_mul_f32 v93, s19, v127 :: v_dual_mul_f32 v96, s19, v108
	v_cndmask_b32_e64 v95, 0xff7fffff, v95, s2
	v_cmp_gt_i32_e64 s3, s24, v71
	v_cndmask_b32_e32 v94, 0xff7fffff, v94, vcc_lo
	v_cmp_gt_i32_e64 s4, s24, v72
	v_or_b32_e32 v86, 12, v68
	v_or_b32_e32 v87, 14, v68
	v_dual_mul_f32 v81, s19, v131 :: v_dual_mul_f32 v82, s19, v130
	v_cndmask_b32_e64 v93, 0xff7fffff, v93, s3
	v_cndmask_b32_e64 v72, 0xff7fffff, v84, s4
	v_max3_f32 v84, v95, 0xff7fffff, v94
	v_cmp_gt_i32_e64 s5, s24, v109
	v_cmp_gt_i32_e64 s6, s24, v85
	v_or_b32_e32 v88, 16, v68
	v_or_b32_e32 v89, 18, v68
	v_mul_f32_e32 v80, s19, v132
	v_cndmask_b32_e64 v83, 0xff7fffff, v83, s5
	v_cndmask_b32_e64 v82, 0xff7fffff, v82, s6
	v_max3_f32 v72, v84, v93, v72
	v_cmp_gt_i32_e64 s7, s24, v86
	v_cmp_gt_i32_e64 s8, s24, v87
	v_or_b32_e32 v90, 20, v68
	v_or_b32_e32 v91, 22, v68
	;; [unrolled: 1-line block ×6, first 2 shown]
	v_dual_mul_f32 v68, s19, v102 :: v_dual_mul_f32 v71, s19, v101
	v_cndmask_b32_e64 v81, 0xff7fffff, v81, s7
	v_cndmask_b32_e64 v80, 0xff7fffff, v80, s8
	v_max3_f32 v72, v72, v83, v82
	v_cmp_gt_i32_e64 s9, s24, v88
	v_cmp_gt_i32_e64 s10, s24, v89
	v_dual_mul_f32 v97, s19, v107 :: v_dual_mul_f32 v100, s19, v104
	v_dual_mul_f32 v99, s19, v105 :: v_dual_mul_f32 v70, s19, v103
	s_delay_alu instid0(VALU_DEP_4) | instskip(NEXT) | instid1(VALU_DEP_4)
	v_cndmask_b32_e64 v71, 0xff7fffff, v71, s9
	v_cndmask_b32_e64 v68, 0xff7fffff, v68, s10
	v_max3_f32 v72, v72, v81, v80
	v_cmp_gt_i32_e64 s11, s24, v90
	v_cmp_gt_i32_e64 s12, s24, v91
	;; [unrolled: 1-line block ×4, first 2 shown]
	v_max3_f32 v68, v72, v71, v68
	v_cndmask_b32_e64 v70, 0xff7fffff, v70, s11
	v_cndmask_b32_e64 v80, 0xff7fffff, v100, s12
	;; [unrolled: 1-line block ×4, first 2 shown]
	v_cmp_gt_i32_e64 s16, s24, v78
	v_cmp_gt_i32_e64 s17, s24, v79
	v_max3_f32 v68, v68, v70, v80
	v_lshlrev_b32_e32 v90, 2, v69
	s_delay_alu instid0(VALU_DEP_4) | instskip(NEXT) | instid1(VALU_DEP_4)
	v_cndmask_b32_e64 v70, 0xff7fffff, v97, s16
	v_cndmask_b32_e64 v77, 0xff7fffff, v96, s17
	s_delay_alu instid0(VALU_DEP_4) | instskip(NEXT) | instid1(VALU_DEP_1)
	v_max3_f32 v68, v68, v71, v72
	v_max3_f32 v68, v68, v70, v77
	ds_bpermute_b32 v69, v90, v68
	s_waitcnt lgkmcnt(0)
	v_max_f32_e32 v69, v69, v69
	s_delay_alu instid0(VALU_DEP_1) | instskip(NEXT) | instid1(VALU_DEP_1)
	v_max_f32_e32 v81, v68, v69
	v_fma_f32 v68, s19, v125, -v81
	s_delay_alu instid0(VALU_DEP_1)
	v_mul_f32_e32 v68, 0x3fb8aa3b, v68
	v_fma_f32 v69, s19, v126, -v81
	v_fma_f32 v71, s19, v128, -v81
	;; [unrolled: 1-line block ×4, first 2 shown]
	v_exp_f32_e32 v68, v68
	v_mul_f32_e32 v69, 0x3fb8aa3b, v69
	s_delay_alu instid0(VALU_DEP_3) | instskip(NEXT) | instid1(VALU_DEP_3)
	v_dual_mul_f32 v71, 0x3fb8aa3b, v71 :: v_dual_mul_f32 v72, 0x3fb8aa3b, v72
	v_mul_f32_e32 v70, 0x3fb8aa3b, v70
	v_fma_f32 v78, s19, v131, -v81
	s_delay_alu instid0(VALU_DEP_4) | instskip(NEXT) | instid1(VALU_DEP_3)
	v_exp_f32_e32 v69, v69
	v_exp_f32_e32 v71, v71
	;; [unrolled: 1-line block ×4, first 2 shown]
	v_cndmask_b32_e64 v82, 0, v68, s2
	v_fma_f32 v68, s19, v130, -v81
	v_mul_f32_e32 v78, 0x3fb8aa3b, v78
	v_fma_f32 v80, s19, v106, -v81
	s_mov_b32 s2, exec_lo
	s_delay_alu instid0(VALU_DEP_3) | instskip(NEXT) | instid1(TRANS32_DEP_2)
	v_dual_cndmask_b32 v77, 0, v69 :: v_dual_mul_f32 v68, 0x3fb8aa3b, v68
	v_cndmask_b32_e64 v86, 0, v72, s5
	v_fma_f32 v72, s19, v102, -v81
	v_add_f32_e32 v69, 0, v82
	v_cndmask_b32_e64 v83, 0, v70, s3
	v_exp_f32_e32 v68, v68
	v_fma_f32 v70, s19, v132, -v81
	s_delay_alu instid0(VALU_DEP_3) | instskip(SKIP_2) | instid1(VALU_DEP_4)
	v_dual_mul_f32 v72, 0x3fb8aa3b, v72 :: v_dual_add_f32 v69, v69, v77
	v_cndmask_b32_e64 v85, 0, v71, s4
	v_fma_f32 v71, s19, v101, -v81
	v_mul_f32_e32 v70, 0x3fb8aa3b, v70
	v_exp_f32_e32 v78, v78
	v_add_f32_e32 v69, v69, v83
	v_exp_f32_e32 v72, v72
	s_delay_alu instid0(TRANS32_DEP_3) | instskip(SKIP_1) | instid1(VALU_DEP_2)
	v_cndmask_b32_e64 v87, 0, v68, s6
	v_exp_f32_e32 v70, v70
	v_add_f32_e32 v69, v69, v85
	v_mul_f32_e32 v71, 0x3fb8aa3b, v71
	s_delay_alu instid0(TRANS32_DEP_3) | instskip(NEXT) | instid1(VALU_DEP_3)
	v_cndmask_b32_e64 v84, 0, v78, s7
	v_add_f32_e32 v68, v69, v86
	v_fma_f32 v69, s19, v103, -v81
	s_delay_alu instid0(VALU_DEP_4) | instskip(SKIP_1) | instid1(TRANS32_DEP_2)
	v_exp_f32_e32 v71, v71
	v_fma_f32 v78, s19, v104, -v81
	v_cndmask_b32_e64 v88, 0, v70, s8
	s_delay_alu instid0(VALU_DEP_3) | instskip(SKIP_1) | instid1(VALU_DEP_2)
	v_dual_add_f32 v68, v68, v87 :: v_dual_mul_f32 v69, 0x3fb8aa3b, v69
	v_fma_f32 v70, s19, v105, -v81
	v_add_f32_e32 v68, v68, v84
	v_mul_f32_e32 v78, 0x3fb8aa3b, v78
	s_delay_alu instid0(VALU_DEP_4) | instskip(NEXT) | instid1(TRANS32_DEP_2)
	v_exp_f32_e32 v79, v69
	v_cndmask_b32_e64 v69, 0, v71, s9
	s_delay_alu instid0(VALU_DEP_3) | instskip(NEXT) | instid1(VALU_DEP_3)
	v_dual_add_f32 v71, v68, v88 :: v_dual_mul_f32 v70, 0x3fb8aa3b, v70
	v_exp_f32_e32 v78, v78
	v_cndmask_b32_e64 v68, 0, v72, s10
	v_fma_f32 v72, s19, v107, -v81
	s_delay_alu instid0(VALU_DEP_3) | instskip(SKIP_1) | instid1(TRANS32_DEP_3)
	v_add_f32_e32 v71, v71, v69
	v_exp_f32_e32 v89, v70
	v_cndmask_b32_e64 v70, 0, v79, s11
	s_delay_alu instid0(VALU_DEP_2) | instskip(NEXT) | instid1(TRANS32_DEP_2)
	v_add_f32_e32 v79, v71, v68
	v_cndmask_b32_e64 v71, 0, v78, s12
	s_delay_alu instid0(VALU_DEP_2) | instskip(SKIP_2) | instid1(VALU_DEP_1)
	v_add_f32_e32 v78, v79, v70
	v_mul_f32_e32 v80, 0x3fb8aa3b, v80
	v_fma_f32 v79, s19, v108, -v81
	v_dual_mul_f32 v72, 0x3fb8aa3b, v72 :: v_dual_mul_f32 v79, 0x3fb8aa3b, v79
	s_delay_alu instid0(VALU_DEP_1) | instskip(NEXT) | instid1(TRANS32_DEP_2)
	v_exp_f32_e32 v91, v72
	v_cndmask_b32_e64 v72, 0, v89, s13
	v_add_f32_e32 v89, v78, v71
	v_exp_f32_e32 v80, v80
	s_waitcnt_depctr 0xfff
	v_cndmask_b32_e64 v78, 0, v80, s15
	v_add_f32_e32 v80, v89, v72
	v_exp_f32_e32 v89, v79
	v_cndmask_b32_e64 v79, 0, v91, s16
	s_delay_alu instid0(VALU_DEP_2) | instskip(NEXT) | instid1(VALU_DEP_1)
	v_add_f32_e32 v80, v80, v78
	v_add_f32_e32 v91, v80, v79
	s_waitcnt_depctr 0xfff
	v_cndmask_b32_e64 v80, 0, v89, s17
	s_delay_alu instid0(VALU_DEP_1)
	v_add_f32_e32 v89, v91, v80
	ds_bpermute_b32 v90, v90, v89
	v_cmpx_gt_u32_e32 16, v67
	s_cbranch_execz .LBB1581_12
; %bb.11:
	v_mul_u32_u24_e32 v67, 0x44, v65
	s_waitcnt lgkmcnt(0)
	v_add_f32_e32 v89, v89, v90
	s_delay_alu instid0(VALU_DEP_2) | instskip(NEXT) | instid1(VALU_DEP_1)
	v_lshl_add_u32 v67, v66, 2, v67
	v_add_nc_u32_e32 v67, 0x4000, v67
	ds_store_2addr_b32 v67, v81, v89 offset1:136
.LBB1581_12:
	s_or_b32 exec_lo, exec_lo, s2
	v_lshlrev_b32_e32 v66, 2, v66
	s_waitcnt lgkmcnt(0)
	s_barrier
	buffer_gl0_inv
	v_cmp_eq_u32_e32 vcc_lo, 1, v65
	v_add_nc_u32_e32 v81, 0x4000, v66
	v_cmp_eq_u32_e64 s2, 2, v65
	v_cmp_eq_u32_e64 s4, 7, v65
	ds_load_2addr_b32 v[89:90], v81 offset1:17
	ds_load_2addr_b32 v[91:92], v81 offset0:34 offset1:51
	ds_load_2addr_b32 v[93:94], v81 offset0:68 offset1:85
	;; [unrolled: 1-line block ×4, first 2 shown]
	s_waitcnt lgkmcnt(4)
	v_max3_f32 v66, v89, 0xff7fffff, v90
	s_waitcnt lgkmcnt(3)
	s_delay_alu instid0(VALU_DEP_1) | instskip(SKIP_1) | instid1(VALU_DEP_1)
	v_max3_f32 v66, v66, v91, v92
	s_waitcnt lgkmcnt(2)
	v_max3_f32 v66, v66, v93, v94
	s_waitcnt lgkmcnt(1)
	s_delay_alu instid0(VALU_DEP_1) | instskip(NEXT) | instid1(VALU_DEP_1)
	v_max3_f32 v66, v66, v95, v96
	v_sub_f32_e32 v67, v89, v66
	v_sub_f32_e32 v91, v91, v66
	;; [unrolled: 1-line block ×3, first 2 shown]
	s_delay_alu instid0(VALU_DEP_3) | instskip(NEXT) | instid1(VALU_DEP_3)
	v_mul_f32_e32 v67, 0x3fb8aa3b, v67
	v_mul_f32_e32 v101, 0x3fb8aa3b, v91
	s_delay_alu instid0(VALU_DEP_3) | instskip(NEXT) | instid1(VALU_DEP_3)
	v_mul_f32_e32 v103, 0x3fb8aa3b, v93
	v_exp_f32_e32 v100, v67
	v_sub_f32_e32 v67, v92, v66
	v_sub_f32_e32 v99, v90, v66
	ds_load_2addr_b32 v[89:90], v81 offset0:170 offset1:187
	ds_load_2addr_b32 v[91:92], v81 offset0:204 offset1:221
	v_exp_f32_e32 v101, v101
	v_mul_f32_e32 v102, 0x3fb8aa3b, v67
	v_mul_f32_e32 v99, 0x3fb8aa3b, v99
	s_waitcnt lgkmcnt(2)
	v_fma_f32 v67, v100, v97, 0
	v_sub_f32_e32 v97, v94, v66
	s_delay_alu instid0(VALU_DEP_3)
	v_exp_f32_e32 v99, v99
	v_exp_f32_e32 v102, v102
	ds_load_2addr_b32 v[93:94], v81 offset0:238 offset1:255
	v_sub_f32_e32 v81, v95, v66
	v_mul_f32_e32 v95, 0x3fb8aa3b, v97
	v_exp_f32_e32 v97, v103
	s_waitcnt lgkmcnt(0)
	s_barrier
	v_mul_f32_e32 v81, 0x3fb8aa3b, v81
	v_exp_f32_e32 v95, v95
	v_fmac_f32_e32 v67, v99, v98
	buffer_gl0_inv
	v_exp_f32_e32 v81, v81
	v_fmac_f32_e32 v67, v101, v89
	v_sub_f32_e32 v89, v96, v66
	s_delay_alu instid0(VALU_DEP_2) | instskip(NEXT) | instid1(VALU_DEP_2)
	v_fmac_f32_e32 v67, v102, v90
	v_mul_f32_e32 v89, 0x3fb8aa3b, v89
	s_delay_alu instid0(VALU_DEP_2) | instskip(NEXT) | instid1(VALU_DEP_2)
	v_fmac_f32_e32 v67, v97, v91
	v_exp_f32_e32 v89, v89
	s_delay_alu instid0(VALU_DEP_1)
	v_fmac_f32_e32 v67, v95, v92
	s_delay_alu instid0(TRANS32_DEP_2) | instid1(VALU_DEP_1)
	v_fmac_f32_e32 v67, v81, v93
	s_waitcnt_depctr 0xfff
	v_fmac_f32_e32 v67, v89, v94
	s_delay_alu instid0(VALU_DEP_1) | instskip(NEXT) | instid1(VALU_DEP_1)
	v_add_f32_e32 v90, 0x358637bd, v67
	v_div_scale_f32 v91, null, v90, v90, 1.0
	v_div_scale_f32 v94, s3, 1.0, v90, 1.0
	s_delay_alu instid0(VALU_DEP_2) | instskip(SKIP_2) | instid1(VALU_DEP_1)
	v_rcp_f32_e32 v92, v91
	s_waitcnt_depctr 0xfff
	v_fma_f32 v93, -v91, v92, 1.0
	v_dual_fmac_f32 v92, v93, v92 :: v_dual_cndmask_b32 v93, v100, v99
	v_cmp_eq_u32_e32 vcc_lo, 3, v65
	s_delay_alu instid0(VALU_DEP_2) | instskip(NEXT) | instid1(VALU_DEP_3)
	v_mul_f32_e32 v96, v94, v92
	v_cndmask_b32_e64 v93, v93, v101, s2
	v_cmp_eq_u32_e64 s2, 4, v65
	s_delay_alu instid0(VALU_DEP_3) | instskip(NEXT) | instid1(VALU_DEP_3)
	v_fma_f32 v98, -v91, v96, v94
	v_cndmask_b32_e32 v93, v93, v102, vcc_lo
	v_cmp_eq_u32_e32 vcc_lo, 5, v65
	s_delay_alu instid0(VALU_DEP_3) | instskip(NEXT) | instid1(VALU_DEP_3)
	v_fmac_f32_e32 v96, v98, v92
	v_cndmask_b32_e64 v93, v93, v97, s2
	v_cmp_eq_u32_e64 s2, 6, v65
	s_delay_alu instid0(VALU_DEP_3) | instskip(NEXT) | instid1(VALU_DEP_3)
	v_fma_f32 v91, -v91, v96, v94
	v_cndmask_b32_e32 v93, v93, v95, vcc_lo
	s_mov_b32 vcc_lo, s3
	s_delay_alu instid0(VALU_DEP_2) | instskip(NEXT) | instid1(VALU_DEP_2)
	v_div_fmas_f32 v91, v91, v92, v96
	v_cndmask_b32_e64 v81, v93, v81, s2
	s_mov_b32 s2, exec_lo
	s_delay_alu instid0(VALU_DEP_2) | instskip(NEXT) | instid1(VALU_DEP_2)
	v_div_fixup_f32 v90, v91, v90, 1.0
	v_cndmask_b32_e64 v81, v81, v89, s4
	s_delay_alu instid0(VALU_DEP_1) | instskip(NEXT) | instid1(VALU_DEP_1)
	v_mul_f32_e32 v81, v81, v90
	v_mul_f32_e32 v90, v81, v82
	;; [unrolled: 1-line block ×6, first 2 shown]
	v_dual_mul_f32 v86, v81, v83 :: v_dual_and_b32 v91, 0x7f800000, v90
	v_mul_f32_e32 v89, v81, v85
	v_mul_f32_e32 v85, v81, v77
                                        ; implicit-def: $vgpr77
	s_delay_alu instid0(VALU_DEP_3)
	v_cmpx_ne_u32_e32 0x7f800000, v91
	s_xor_b32 s2, exec_lo, s2
; %bb.13:
	v_bfe_u32 v77, v90, 16, 1
	s_delay_alu instid0(VALU_DEP_1)
	v_add3_u32 v77, v90, v77, 0x7fff
                                        ; implicit-def: $vgpr90
; %bb.14:
	s_and_not1_saveexec_b32 s2, s2
; %bb.15:
	v_and_b32_e32 v77, 0xffff, v90
	v_or_b32_e32 v83, 0x10000, v90
	s_delay_alu instid0(VALU_DEP_2) | instskip(NEXT) | instid1(VALU_DEP_2)
	v_cmp_eq_u32_e32 vcc_lo, 0, v77
	v_cndmask_b32_e32 v77, v83, v90, vcc_lo
; %bb.16:
	s_or_b32 exec_lo, exec_lo, s2
	v_and_b32_e32 v83, 0x7f800000, v85
	s_delay_alu instid0(VALU_DEP_1) | instskip(SKIP_1) | instid1(SALU_CYCLE_1)
	v_cmp_ne_u32_e32 vcc_lo, 0x7f800000, v83
                                        ; implicit-def: $vgpr83
	s_and_saveexec_b32 s2, vcc_lo
	s_xor_b32 s2, exec_lo, s2
; %bb.17:
	v_bfe_u32 v83, v85, 16, 1
	s_delay_alu instid0(VALU_DEP_1)
	v_add3_u32 v83, v85, v83, 0x7fff
                                        ; implicit-def: $vgpr85
; %bb.18:
	s_and_not1_saveexec_b32 s2, s2
; %bb.19:
	v_and_b32_e32 v83, 0xffff, v85
	v_or_b32_e32 v90, 0x10000, v85
	s_delay_alu instid0(VALU_DEP_2) | instskip(NEXT) | instid1(VALU_DEP_2)
	v_cmp_eq_u32_e32 vcc_lo, 0, v83
	v_cndmask_b32_e32 v83, v90, v85, vcc_lo
; %bb.20:
	s_or_b32 exec_lo, exec_lo, s2
	v_and_b32_e32 v85, 0x7f800000, v86
	s_delay_alu instid0(VALU_DEP_1) | instskip(SKIP_1) | instid1(SALU_CYCLE_1)
	v_cmp_ne_u32_e32 vcc_lo, 0x7f800000, v85
                                        ; implicit-def: $vgpr85
	s_and_saveexec_b32 s2, vcc_lo
	s_xor_b32 s2, exec_lo, s2
; %bb.21:
	v_bfe_u32 v85, v86, 16, 1
	s_delay_alu instid0(VALU_DEP_1)
	v_add3_u32 v85, v86, v85, 0x7fff
                                        ; implicit-def: $vgpr86
; %bb.22:
	s_and_not1_saveexec_b32 s2, s2
; %bb.23:
	v_and_b32_e32 v85, 0xffff, v86
	v_or_b32_e32 v90, 0x10000, v86
	s_delay_alu instid0(VALU_DEP_2) | instskip(NEXT) | instid1(VALU_DEP_2)
	v_cmp_eq_u32_e32 vcc_lo, 0, v85
	v_cndmask_b32_e32 v85, v90, v86, vcc_lo
; %bb.24:
	s_or_b32 exec_lo, exec_lo, s2
	v_and_b32_e32 v86, 0x7f800000, v89
	s_delay_alu instid0(VALU_DEP_1) | instskip(SKIP_1) | instid1(SALU_CYCLE_1)
	v_cmp_ne_u32_e32 vcc_lo, 0x7f800000, v86
                                        ; implicit-def: $vgpr86
	s_and_saveexec_b32 s2, vcc_lo
	s_xor_b32 s2, exec_lo, s2
; %bb.25:
	v_bfe_u32 v86, v89, 16, 1
	s_delay_alu instid0(VALU_DEP_1)
	v_add3_u32 v86, v89, v86, 0x7fff
                                        ; implicit-def: $vgpr89
; %bb.26:
	s_and_not1_saveexec_b32 s2, s2
; %bb.27:
	v_and_b32_e32 v86, 0xffff, v89
	v_or_b32_e32 v90, 0x10000, v89
	s_delay_alu instid0(VALU_DEP_2) | instskip(NEXT) | instid1(VALU_DEP_2)
	v_cmp_eq_u32_e32 vcc_lo, 0, v86
	v_cndmask_b32_e32 v86, v90, v89, vcc_lo
; %bb.28:
	s_or_b32 exec_lo, exec_lo, s2
	v_and_b32_e32 v89, 0x7f800000, v88
	s_delay_alu instid0(VALU_DEP_1) | instskip(SKIP_1) | instid1(SALU_CYCLE_1)
	v_cmp_ne_u32_e32 vcc_lo, 0x7f800000, v89
                                        ; implicit-def: $vgpr89
	s_and_saveexec_b32 s2, vcc_lo
	s_xor_b32 s2, exec_lo, s2
; %bb.29:
	v_bfe_u32 v89, v88, 16, 1
	s_delay_alu instid0(VALU_DEP_1)
	v_add3_u32 v89, v88, v89, 0x7fff
                                        ; implicit-def: $vgpr88
; %bb.30:
	s_and_not1_saveexec_b32 s2, s2
; %bb.31:
	v_and_b32_e32 v89, 0xffff, v88
	v_or_b32_e32 v90, 0x10000, v88
	s_delay_alu instid0(VALU_DEP_2) | instskip(NEXT) | instid1(VALU_DEP_2)
	v_cmp_eq_u32_e32 vcc_lo, 0, v89
	v_cndmask_b32_e32 v89, v90, v88, vcc_lo
; %bb.32:
	s_or_b32 exec_lo, exec_lo, s2
	v_and_b32_e32 v88, 0x7f800000, v87
	s_delay_alu instid0(VALU_DEP_1) | instskip(SKIP_1) | instid1(SALU_CYCLE_1)
	v_cmp_ne_u32_e32 vcc_lo, 0x7f800000, v88
                                        ; implicit-def: $vgpr88
	s_and_saveexec_b32 s2, vcc_lo
	s_xor_b32 s2, exec_lo, s2
; %bb.33:
	v_bfe_u32 v88, v87, 16, 1
	s_delay_alu instid0(VALU_DEP_1)
	v_add3_u32 v88, v87, v88, 0x7fff
                                        ; implicit-def: $vgpr87
; %bb.34:
	s_and_not1_saveexec_b32 s2, s2
; %bb.35:
	v_and_b32_e32 v88, 0xffff, v87
	v_or_b32_e32 v90, 0x10000, v87
	s_delay_alu instid0(VALU_DEP_2) | instskip(NEXT) | instid1(VALU_DEP_2)
	v_cmp_eq_u32_e32 vcc_lo, 0, v88
	v_cndmask_b32_e32 v88, v90, v87, vcc_lo
; %bb.36:
	s_or_b32 exec_lo, exec_lo, s2
	v_and_b32_e32 v87, 0x7f800000, v84
	s_delay_alu instid0(VALU_DEP_1) | instskip(SKIP_1) | instid1(SALU_CYCLE_1)
	v_cmp_ne_u32_e32 vcc_lo, 0x7f800000, v87
                                        ; implicit-def: $vgpr87
	s_and_saveexec_b32 s2, vcc_lo
	s_xor_b32 s2, exec_lo, s2
; %bb.37:
	v_bfe_u32 v87, v84, 16, 1
	s_delay_alu instid0(VALU_DEP_1)
	v_add3_u32 v87, v84, v87, 0x7fff
                                        ; implicit-def: $vgpr84
; %bb.38:
	s_and_not1_saveexec_b32 s2, s2
; %bb.39:
	v_and_b32_e32 v87, 0xffff, v84
	v_or_b32_e32 v90, 0x10000, v84
	s_delay_alu instid0(VALU_DEP_2) | instskip(NEXT) | instid1(VALU_DEP_2)
	v_cmp_eq_u32_e32 vcc_lo, 0, v87
	v_cndmask_b32_e32 v87, v90, v84, vcc_lo
; %bb.40:
	s_or_b32 exec_lo, exec_lo, s2
	v_and_b32_e32 v84, 0x7f800000, v82
	s_delay_alu instid0(VALU_DEP_1) | instskip(SKIP_1) | instid1(SALU_CYCLE_1)
	v_cmp_ne_u32_e32 vcc_lo, 0x7f800000, v84
                                        ; implicit-def: $vgpr84
	s_and_saveexec_b32 s2, vcc_lo
	s_xor_b32 s2, exec_lo, s2
; %bb.41:
	v_bfe_u32 v84, v82, 16, 1
	s_delay_alu instid0(VALU_DEP_1)
	v_add3_u32 v84, v82, v84, 0x7fff
                                        ; implicit-def: $vgpr82
; %bb.42:
	s_and_not1_saveexec_b32 s2, s2
; %bb.43:
	v_and_b32_e32 v84, 0xffff, v82
	v_or_b32_e32 v90, 0x10000, v82
	s_delay_alu instid0(VALU_DEP_2) | instskip(NEXT) | instid1(VALU_DEP_2)
	v_cmp_eq_u32_e32 vcc_lo, 0, v84
	v_cndmask_b32_e32 v84, v90, v82, vcc_lo
; %bb.44:
	s_or_b32 exec_lo, exec_lo, s2
	s_load_b64 s[34:35], s[0:1], 0x94
	v_lshlrev_b32_e32 v82, 4, v74
	s_delay_alu instid0(VALU_DEP_2)
	v_perm_b32 v90, v84, v87, 0x7060302
	v_lshlrev_b32_e32 v84, 11, v65
	v_perm_b32 v87, v83, v77, 0x7060302
	v_mul_f32_e32 v83, v81, v69
	v_mul_f32_e32 v69, v81, v80
	v_perm_b32 v89, v88, v89, 0x7060302
	v_perm_b32 v88, v86, v85, 0x7060302
	v_or3_b32 v77, v82, v84, v76
	v_mul_f32_e32 v79, v81, v79
	v_mul_f32_e32 v78, v81, v78
	v_and_b32_e32 v84, 0x7f800000, v83
	v_mul_f32_e32 v72, v81, v72
	v_mul_f32_e32 v82, v81, v71
	;; [unrolled: 1-line block ×4, first 2 shown]
	s_mov_b32 s2, exec_lo
	ds_store_b128 v77, v[87:90]
                                        ; implicit-def: $vgpr68
	v_cmpx_ne_u32_e32 0x7f800000, v84
	s_xor_b32 s2, exec_lo, s2
; %bb.45:
	v_bfe_u32 v68, v83, 16, 1
	s_delay_alu instid0(VALU_DEP_1)
	v_add3_u32 v68, v83, v68, 0x7fff
                                        ; implicit-def: $vgpr83
; %bb.46:
	s_and_not1_saveexec_b32 s2, s2
; %bb.47:
	v_and_b32_e32 v68, 0xffff, v83
	v_or_b32_e32 v70, 0x10000, v83
	s_delay_alu instid0(VALU_DEP_2) | instskip(NEXT) | instid1(VALU_DEP_2)
	v_cmp_eq_u32_e32 vcc_lo, 0, v68
	v_cndmask_b32_e32 v68, v70, v83, vcc_lo
; %bb.48:
	s_or_b32 exec_lo, exec_lo, s2
	v_and_b32_e32 v70, 0x7f800000, v71
	s_delay_alu instid0(VALU_DEP_1) | instskip(SKIP_1) | instid1(SALU_CYCLE_1)
	v_cmp_ne_u32_e32 vcc_lo, 0x7f800000, v70
                                        ; implicit-def: $vgpr70
	s_and_saveexec_b32 s2, vcc_lo
	s_xor_b32 s2, exec_lo, s2
; %bb.49:
	v_bfe_u32 v70, v71, 16, 1
	s_delay_alu instid0(VALU_DEP_1)
	v_add3_u32 v70, v71, v70, 0x7fff
                                        ; implicit-def: $vgpr71
; %bb.50:
	s_and_not1_saveexec_b32 s2, s2
; %bb.51:
	v_and_b32_e32 v70, 0xffff, v71
	v_or_b32_e32 v81, 0x10000, v71
	s_delay_alu instid0(VALU_DEP_2) | instskip(NEXT) | instid1(VALU_DEP_2)
	v_cmp_eq_u32_e32 vcc_lo, 0, v70
	v_cndmask_b32_e32 v70, v81, v71, vcc_lo
; %bb.52:
	s_or_b32 exec_lo, exec_lo, s2
	v_and_b32_e32 v71, 0x7f800000, v80
	s_delay_alu instid0(VALU_DEP_1) | instskip(SKIP_1) | instid1(SALU_CYCLE_1)
	v_cmp_ne_u32_e32 vcc_lo, 0x7f800000, v71
                                        ; implicit-def: $vgpr71
	s_and_saveexec_b32 s2, vcc_lo
	s_xor_b32 s2, exec_lo, s2
; %bb.53:
	v_bfe_u32 v71, v80, 16, 1
	s_delay_alu instid0(VALU_DEP_1)
	v_add3_u32 v71, v80, v71, 0x7fff
                                        ; implicit-def: $vgpr80
; %bb.54:
	s_and_not1_saveexec_b32 s2, s2
; %bb.55:
	v_and_b32_e32 v71, 0xffff, v80
	v_or_b32_e32 v81, 0x10000, v80
	s_delay_alu instid0(VALU_DEP_2) | instskip(NEXT) | instid1(VALU_DEP_2)
	v_cmp_eq_u32_e32 vcc_lo, 0, v71
	v_cndmask_b32_e32 v71, v81, v80, vcc_lo
; %bb.56:
	s_or_b32 exec_lo, exec_lo, s2
	v_and_b32_e32 v80, 0x7f800000, v82
	s_delay_alu instid0(VALU_DEP_1) | instskip(SKIP_1) | instid1(SALU_CYCLE_1)
	v_cmp_ne_u32_e32 vcc_lo, 0x7f800000, v80
                                        ; implicit-def: $vgpr80
	s_and_saveexec_b32 s2, vcc_lo
	s_xor_b32 s2, exec_lo, s2
; %bb.57:
	v_bfe_u32 v80, v82, 16, 1
	s_delay_alu instid0(VALU_DEP_1)
	v_add3_u32 v80, v82, v80, 0x7fff
                                        ; implicit-def: $vgpr82
; %bb.58:
	s_and_not1_saveexec_b32 s2, s2
; %bb.59:
	v_and_b32_e32 v80, 0xffff, v82
	v_or_b32_e32 v81, 0x10000, v82
	s_delay_alu instid0(VALU_DEP_2) | instskip(NEXT) | instid1(VALU_DEP_2)
	v_cmp_eq_u32_e32 vcc_lo, 0, v80
	v_cndmask_b32_e32 v80, v81, v82, vcc_lo
; %bb.60:
	s_or_b32 exec_lo, exec_lo, s2
	v_and_b32_e32 v81, 0x7f800000, v72
	s_delay_alu instid0(VALU_DEP_1) | instskip(SKIP_1) | instid1(SALU_CYCLE_1)
	v_cmp_ne_u32_e32 vcc_lo, 0x7f800000, v81
                                        ; implicit-def: $vgpr81
	s_and_saveexec_b32 s2, vcc_lo
	s_xor_b32 s2, exec_lo, s2
; %bb.61:
	v_bfe_u32 v81, v72, 16, 1
	s_delay_alu instid0(VALU_DEP_1)
	v_add3_u32 v81, v72, v81, 0x7fff
                                        ; implicit-def: $vgpr72
; %bb.62:
	s_and_not1_saveexec_b32 s2, s2
; %bb.63:
	v_and_b32_e32 v81, 0xffff, v72
	v_or_b32_e32 v82, 0x10000, v72
	s_delay_alu instid0(VALU_DEP_2) | instskip(NEXT) | instid1(VALU_DEP_2)
	v_cmp_eq_u32_e32 vcc_lo, 0, v81
	v_cndmask_b32_e32 v81, v82, v72, vcc_lo
; %bb.64:
	s_or_b32 exec_lo, exec_lo, s2
	v_and_b32_e32 v72, 0x7f800000, v78
	s_delay_alu instid0(VALU_DEP_1) | instskip(SKIP_1) | instid1(SALU_CYCLE_1)
	v_cmp_ne_u32_e32 vcc_lo, 0x7f800000, v72
                                        ; implicit-def: $vgpr72
	s_and_saveexec_b32 s2, vcc_lo
	s_xor_b32 s2, exec_lo, s2
; %bb.65:
	v_bfe_u32 v72, v78, 16, 1
	s_delay_alu instid0(VALU_DEP_1)
	v_add3_u32 v72, v78, v72, 0x7fff
                                        ; implicit-def: $vgpr78
; %bb.66:
	s_and_not1_saveexec_b32 s2, s2
; %bb.67:
	v_and_b32_e32 v72, 0xffff, v78
	v_or_b32_e32 v82, 0x10000, v78
	s_delay_alu instid0(VALU_DEP_2) | instskip(NEXT) | instid1(VALU_DEP_2)
	v_cmp_eq_u32_e32 vcc_lo, 0, v72
	v_cndmask_b32_e32 v72, v82, v78, vcc_lo
; %bb.68:
	s_or_b32 exec_lo, exec_lo, s2
	v_and_b32_e32 v78, 0x7f800000, v79
	s_delay_alu instid0(VALU_DEP_1) | instskip(SKIP_1) | instid1(SALU_CYCLE_1)
	v_cmp_ne_u32_e32 vcc_lo, 0x7f800000, v78
                                        ; implicit-def: $vgpr78
	s_and_saveexec_b32 s2, vcc_lo
	s_xor_b32 s2, exec_lo, s2
; %bb.69:
	v_bfe_u32 v78, v79, 16, 1
	s_delay_alu instid0(VALU_DEP_1)
	v_add3_u32 v78, v79, v78, 0x7fff
                                        ; implicit-def: $vgpr79
; %bb.70:
	s_and_not1_saveexec_b32 s2, s2
; %bb.71:
	v_and_b32_e32 v78, 0xffff, v79
	v_or_b32_e32 v82, 0x10000, v79
	s_delay_alu instid0(VALU_DEP_2) | instskip(NEXT) | instid1(VALU_DEP_2)
	v_cmp_eq_u32_e32 vcc_lo, 0, v78
	v_cndmask_b32_e32 v78, v82, v79, vcc_lo
; %bb.72:
	s_or_b32 exec_lo, exec_lo, s2
	v_and_b32_e32 v79, 0x7f800000, v69
	s_delay_alu instid0(VALU_DEP_1) | instskip(SKIP_1) | instid1(SALU_CYCLE_1)
	v_cmp_ne_u32_e32 vcc_lo, 0x7f800000, v79
                                        ; implicit-def: $vgpr79
	s_and_saveexec_b32 s2, vcc_lo
	s_xor_b32 s2, exec_lo, s2
; %bb.73:
	v_bfe_u32 v79, v69, 16, 1
	s_delay_alu instid0(VALU_DEP_1)
	v_add3_u32 v79, v69, v79, 0x7fff
                                        ; implicit-def: $vgpr69
; %bb.74:
	s_and_not1_saveexec_b32 s2, s2
; %bb.75:
	v_and_b32_e32 v79, 0xffff, v69
	v_or_b32_e32 v82, 0x10000, v69
	s_delay_alu instid0(VALU_DEP_2) | instskip(NEXT) | instid1(VALU_DEP_2)
	v_cmp_eq_u32_e32 vcc_lo, 0, v79
	v_cndmask_b32_e32 v79, v82, v69, vcc_lo
; %bb.76:
	s_or_b32 exec_lo, exec_lo, s2
	s_delay_alu instid0(VALU_DEP_1)
	v_perm_b32 v86, v79, v78, 0x7060302
	v_perm_b32 v85, v72, v81, 0x7060302
	;; [unrolled: 1-line block ×4, first 2 shown]
	v_lshl_or_b32 v82, v65, 11, v76
	v_lshlrev_b32_e32 v79, 2, v74
	ds_store_b128 v77, v[83:86] offset:1024
	s_waitcnt lgkmcnt(0)
	s_barrier
	buffer_gl0_inv
	ds_load_b128 v[68:71], v82
	ds_load_b128 v[83:86], v82 offset:16
	v_or_b32_e32 v80, 1, v79
	v_cmp_eq_u32_e32 vcc_lo, 1, v79
	v_cmp_eq_u32_e64 s3, 2, v79
	v_cmp_eq_u32_e64 s6, 3, v79
	;; [unrolled: 1-line block ×6, first 2 shown]
	v_or_b32_e32 v78, 2, v79
	v_cmp_eq_u32_e64 s9, 5, v79
	v_cmp_eq_u32_e64 s10, 4, v80
	;; [unrolled: 1-line block ×9, first 2 shown]
	s_waitcnt lgkmcnt(1)
	v_lshrrev_b32_e32 v65, 16, v68
	s_waitcnt lgkmcnt(0)
	v_lshrrev_b32_e32 v91, 16, v83
	v_lshrrev_b32_e32 v72, 16, v69
	;; [unrolled: 1-line block ×4, first 2 shown]
	v_cndmask_b32_e32 v81, v68, v65, vcc_lo
	v_cndmask_b32_e32 v87, v83, v91, vcc_lo
	v_cndmask_b32_e64 v88, v68, v65, s2
	v_lshrrev_b32_e32 v98, 16, v85
	v_cndmask_b32_e64 v89, v83, v91, s2
	v_cndmask_b32_e64 v81, v81, v69, s3
	v_cndmask_b32_e64 v87, v87, v84, s3
	v_cndmask_b32_e64 v88, v88, v69, s5
	v_lshrrev_b32_e32 v96, 16, v71
	v_cndmask_b32_e64 v89, v89, v84, s5
	v_cndmask_b32_e64 v81, v81, v72, s6
	v_cndmask_b32_e64 v87, v87, v97, s6
	;; [unrolled: 5-line block ×3, first 2 shown]
	v_cndmask_b32_e64 v88, v88, v70, s10
	v_cndmask_b32_e64 v89, v89, v97, s7
	v_cmp_eq_u32_e64 s18, 3, v78
	v_cndmask_b32_e64 v81, v81, v95, s9
	v_cndmask_b32_e64 v87, v87, v98, s9
	;; [unrolled: 1-line block ×4, first 2 shown]
	v_cmp_eq_u32_e64 s19, 4, v78
	v_cndmask_b32_e64 v81, v81, v71, s11
	v_cndmask_b32_e64 v87, v87, v86, s11
	;; [unrolled: 1-line block ×3, first 2 shown]
	v_cmp_eq_u32_e64 s21, 5, v78
	v_cmp_eq_u32_e64 s23, 6, v78
	v_cndmask_b32_e64 v100, v81, v96, s13
	v_cndmask_b32_e64 v101, v87, v99, s13
	;; [unrolled: 1-line block ×6, first 2 shown]
	v_cmp_eq_u32_e64 s26, 7, v78
	v_cndmask_b32_e64 v89, v81, v72, s18
	v_cndmask_b32_e64 v87, v87, v84, s16
	v_or_b32_e32 v81, 3, v79
	v_cndmask_b32_e64 v103, v88, v86, s15
	s_delay_alu instid0(VALU_DEP_4) | instskip(NEXT) | instid1(VALU_DEP_4)
	v_cndmask_b32_e64 v92, v89, v70, s19
	v_cndmask_b32_e64 v93, v87, v97, s18
	s_delay_alu instid0(VALU_DEP_4)
	v_cmp_eq_u32_e64 s20, 1, v81
	ds_load_b128 v[87:90], v82 offset:1024
	v_cmp_eq_u32_e64 s22, 2, v81
	v_cndmask_b32_e64 v104, v92, v95, s21
	v_cmp_eq_u32_e64 s24, 3, v81
	v_cndmask_b32_e64 v65, v68, v65, s20
	v_cndmask_b32_e64 v68, v93, v85, s19
	;; [unrolled: 1-line block ×3, first 2 shown]
	ds_load_b128 v[91:94], v82 offset:1040
	v_cmp_eq_u32_e64 s25, 4, v81
	v_cndmask_b32_e64 v65, v65, v69, s22
	v_cmp_eq_u32_e64 s27, 5, v81
	v_cndmask_b32_e64 v69, v83, v84, s22
	;; [unrolled: 2-line block ×3, first 2 shown]
	v_cndmask_b32_e64 v65, v65, v72, s24
	v_cndmask_b32_e64 v72, v104, v71, s23
	;; [unrolled: 1-line block ×6, first 2 shown]
	s_waitcnt lgkmcnt(1)
	v_lshrrev_b32_e32 v84, 16, v87
	v_cndmask_b32_e64 v69, v69, v85, s25
	v_cndmask_b32_e64 v70, v72, v96, s26
	;; [unrolled: 1-line block ×4, first 2 shown]
	v_cndmask_b32_e32 v72, v87, v84, vcc_lo
	v_cndmask_b32_e64 v69, v69, v98, s27
	s_waitcnt lgkmcnt(0)
	v_lshrrev_b32_e32 v85, 16, v91
	v_lshrrev_b32_e32 v95, 16, v88
	v_cndmask_b32_e64 v97, v87, v84, s2
	v_cndmask_b32_e64 v72, v72, v88, s3
	;; [unrolled: 1-line block ×3, first 2 shown]
	v_cndmask_b32_e32 v98, v91, v85, vcc_lo
	v_cmp_eq_u32_e32 vcc_lo, 7, v81
	v_cndmask_b32_e64 v69, v69, v86, s28
	v_cndmask_b32_e64 v71, v72, v95, s6
	v_cndmask_b32_e64 v72, v97, v88, s5
	v_lshrrev_b32_e32 v97, 16, v92
	v_cndmask_b32_e32 v65, v65, v96, vcc_lo
	v_cndmask_b32_e64 v86, v98, v92, s3
	v_cndmask_b32_e32 v69, v69, v99, vcc_lo
	v_lshrrev_b32_e32 v99, 16, v93
	v_cndmask_b32_e64 v71, v71, v89, s8
	v_lshrrev_b32_e32 v98, 16, v89
	v_cndmask_b32_e64 v86, v86, v97, s6
	v_perm_b32 v70, v68, v70, 0x5040100
	v_cndmask_b32_e64 v72, v72, v95, s7
	s_delay_alu instid0(VALU_DEP_4) | instskip(NEXT) | instid1(VALU_DEP_4)
	v_cndmask_b32_e64 v96, v71, v98, s9
	v_cndmask_b32_e64 v86, v86, v93, s8
	v_perm_b32 v71, v69, v65, 0x5040100
	v_perm_b32 v69, v83, v102, 0x5040100
	v_cndmask_b32_e64 v102, v91, v85, s4
	v_cndmask_b32_e64 v72, v72, v89, s10
	;; [unrolled: 1-line block ×3, first 2 shown]
	v_lshrrev_b32_e32 v83, 16, v94
	s_delay_alu instid0(VALU_DEP_3) | instskip(NEXT) | instid1(VALU_DEP_3)
	v_cndmask_b32_e64 v65, v72, v98, s12
	v_cndmask_b32_e64 v68, v86, v94, s11
	;; [unrolled: 1-line block ×27, first 2 shown]
	v_lshrrev_b32_e32 v96, 16, v90
	v_cndmask_b32_e64 v65, v65, v90, s15
	v_cndmask_b32_e64 v86, v86, v90, s23
	;; [unrolled: 1-line block ×9, first 2 shown]
	v_cndmask_b32_e32 v84, v84, v96, vcc_lo
	v_cndmask_b32_e32 v86, v87, v83, vcc_lo
	v_cndmask_b32_e64 v87, v88, v83, s26
	v_cndmask_b32_e64 v88, v85, v83, s17
	;; [unrolled: 1-line block ×3, first 2 shown]
	v_perm_b32 v68, v101, v100, 0x5040100
	v_perm_b32 v86, v86, v84, 0x5040100
	;; [unrolled: 1-line block ×5, first 2 shown]
	s_lshl_b32 s7, s35, 4
	s_mov_b32 s2, exec_lo
	ds_store_b128 v77, v[68:71]
	ds_store_b128 v77, v[83:86] offset:1024
	v_cmpx_gt_u32_e32 16, v0
	s_cbranch_execz .LBB1581_78
; %bb.77:
	v_or_b32_e32 v65, s29, v0
	s_load_b128 s[8:11], s[0:1], 0x58
	s_delay_alu instid0(VALU_DEP_1) | instskip(NEXT) | instid1(VALU_DEP_1)
	v_mad_u64_u32 v[68:69], null, s7, s30, v[65:66]
	v_mad_u64_u32 v[69:70], null, v68, s34, s[14:15]
	s_delay_alu instid0(VALU_DEP_1) | instskip(NEXT) | instid1(VALU_DEP_1)
	v_ashrrev_i32_e32 v70, 31, v69
	v_lshlrev_b64 v[68:69], 2, v[69:70]
	s_waitcnt lgkmcnt(0)
	s_delay_alu instid0(VALU_DEP_1) | instskip(NEXT) | instid1(VALU_DEP_2)
	v_add_co_u32 v70, vcc_lo, s10, v68
	v_add_co_ci_u32_e32 v71, vcc_lo, s11, v69, vcc_lo
	v_add_co_u32 v68, vcc_lo, s8, v68
	v_add_co_ci_u32_e32 v69, vcc_lo, s9, v69, vcc_lo
	global_store_b32 v[70:71], v66, off
	global_store_b32 v[68:69], v67, off
.LBB1581_78:
	s_or_b32 exec_lo, exec_lo, s2
	s_waitcnt lgkmcnt(0)
	s_waitcnt_vscnt null, 0x0
	s_barrier
	buffer_gl0_inv
	ds_load_b128 v[83:86], v76
	ds_load_b128 v[87:90], v76 offset:16
	ds_load_b128 v[95:98], v76 offset:2064
	;; [unrolled: 1-line block ×3, first 2 shown]
	v_mov_b32_e32 v65, 0
	ds_load_b128 v[103:106], v76 offset:4112
	ds_load_b128 v[99:102], v76 offset:4096
	;; [unrolled: 1-line block ×4, first 2 shown]
	v_mov_b32_e32 v66, v65
	v_mov_b32_e32 v67, v65
	;; [unrolled: 1-line block ×7, first 2 shown]
	s_waitcnt lgkmcnt(6)
	s_delay_alu instid0(VALU_DEP_1)
	v_wmma_f32_16x16x16_bf16 v[65:72], v[49:56], v[83:90], v[65:72]
	ds_load_b128 v[53:56], v76 offset:8208
	ds_load_b128 v[49:52], v76 offset:8192
	s_waitcnt lgkmcnt(6)
	v_wmma_f32_16x16x16_bf16 v[65:72], v[41:48], v[91:98], v[65:72]
	ds_load_b128 v[45:48], v76 offset:10256
	ds_load_b128 v[41:44], v76 offset:10240
	s_waitcnt lgkmcnt(6)
	;; [unrolled: 4-line block ×4, first 2 shown]
	v_wmma_f32_16x16x16_bf16 v[65:72], v[1:8], v[49:56], v[65:72]
	s_waitcnt lgkmcnt(4)
	s_delay_alu instid0(VALU_DEP_1) | instskip(SKIP_1) | instid1(VALU_DEP_1)
	v_wmma_f32_16x16x16_bf16 v[65:72], v[9:16], v[41:48], v[65:72]
	s_waitcnt lgkmcnt(2)
	v_wmma_f32_16x16x16_bf16 v[65:72], v[17:24], v[33:40], v[65:72]
	s_waitcnt lgkmcnt(0)
	s_delay_alu instid0(VALU_DEP_1) | instskip(NEXT) | instid1(VALU_DEP_1)
	v_wmma_f32_16x16x16_bf16 v[65:72], v[57:64], v[25:32], v[65:72]
	v_and_b32_e32 v1, 0x7f800000, v65
	s_delay_alu instid0(VALU_DEP_1) | instskip(SKIP_1) | instid1(SALU_CYCLE_1)
	v_cmp_ne_u32_e32 vcc_lo, 0x7f800000, v1
                                        ; implicit-def: $vgpr1
	s_and_saveexec_b32 s2, vcc_lo
	s_xor_b32 s2, exec_lo, s2
; %bb.79:
	v_bfe_u32 v1, v65, 16, 1
	s_delay_alu instid0(VALU_DEP_1)
	v_add3_u32 v1, v65, v1, 0x7fff
; %bb.80:
	s_and_not1_saveexec_b32 s2, s2
; %bb.81:
	v_and_b32_e32 v1, 0xffff, v65
	v_or_b32_e32 v2, 0x10000, v65
	s_delay_alu instid0(VALU_DEP_2) | instskip(NEXT) | instid1(VALU_DEP_2)
	v_cmp_eq_u32_e32 vcc_lo, 0, v1
	v_cndmask_b32_e32 v1, v2, v65, vcc_lo
; %bb.82:
	s_or_b32 exec_lo, exec_lo, s2
	v_and_b32_e32 v2, 0x7f800000, v66
	s_delay_alu instid0(VALU_DEP_1) | instskip(SKIP_1) | instid1(SALU_CYCLE_1)
	v_cmp_ne_u32_e32 vcc_lo, 0x7f800000, v2
                                        ; implicit-def: $vgpr2
	s_and_saveexec_b32 s2, vcc_lo
	s_xor_b32 s2, exec_lo, s2
; %bb.83:
	v_bfe_u32 v2, v66, 16, 1
	s_delay_alu instid0(VALU_DEP_1)
	v_add3_u32 v2, v66, v2, 0x7fff
; %bb.84:
	s_and_not1_saveexec_b32 s2, s2
; %bb.85:
	v_and_b32_e32 v2, 0xffff, v66
	v_or_b32_e32 v3, 0x10000, v66
	s_delay_alu instid0(VALU_DEP_2) | instskip(NEXT) | instid1(VALU_DEP_2)
	v_cmp_eq_u32_e32 vcc_lo, 0, v2
	v_cndmask_b32_e32 v2, v3, v66, vcc_lo
; %bb.86:
	s_or_b32 exec_lo, exec_lo, s2
	v_and_b32_e32 v3, 0x7f800000, v67
	s_delay_alu instid0(VALU_DEP_1) | instskip(SKIP_1) | instid1(SALU_CYCLE_1)
	v_cmp_ne_u32_e32 vcc_lo, 0x7f800000, v3
                                        ; implicit-def: $vgpr3
	s_and_saveexec_b32 s2, vcc_lo
	s_xor_b32 s2, exec_lo, s2
; %bb.87:
	v_bfe_u32 v3, v67, 16, 1
	s_delay_alu instid0(VALU_DEP_1)
	v_add3_u32 v3, v67, v3, 0x7fff
; %bb.88:
	s_and_not1_saveexec_b32 s2, s2
; %bb.89:
	v_and_b32_e32 v3, 0xffff, v67
	v_or_b32_e32 v4, 0x10000, v67
	s_delay_alu instid0(VALU_DEP_2) | instskip(NEXT) | instid1(VALU_DEP_2)
	v_cmp_eq_u32_e32 vcc_lo, 0, v3
	v_cndmask_b32_e32 v3, v4, v67, vcc_lo
; %bb.90:
	s_or_b32 exec_lo, exec_lo, s2
	v_and_b32_e32 v4, 0x7f800000, v68
	s_delay_alu instid0(VALU_DEP_1) | instskip(SKIP_1) | instid1(SALU_CYCLE_1)
	v_cmp_ne_u32_e32 vcc_lo, 0x7f800000, v4
                                        ; implicit-def: $vgpr4
	s_and_saveexec_b32 s2, vcc_lo
	s_xor_b32 s2, exec_lo, s2
; %bb.91:
	v_bfe_u32 v4, v68, 16, 1
	s_delay_alu instid0(VALU_DEP_1)
	v_add3_u32 v4, v68, v4, 0x7fff
; %bb.92:
	s_and_not1_saveexec_b32 s2, s2
; %bb.93:
	v_and_b32_e32 v4, 0xffff, v68
	v_or_b32_e32 v5, 0x10000, v68
	s_delay_alu instid0(VALU_DEP_2) | instskip(NEXT) | instid1(VALU_DEP_2)
	v_cmp_eq_u32_e32 vcc_lo, 0, v4
	v_cndmask_b32_e32 v4, v5, v68, vcc_lo
; %bb.94:
	s_or_b32 exec_lo, exec_lo, s2
	v_and_b32_e32 v5, 0x7f800000, v69
	s_delay_alu instid0(VALU_DEP_1) | instskip(SKIP_1) | instid1(SALU_CYCLE_1)
	v_cmp_ne_u32_e32 vcc_lo, 0x7f800000, v5
                                        ; implicit-def: $vgpr5
	s_and_saveexec_b32 s2, vcc_lo
	s_xor_b32 s2, exec_lo, s2
; %bb.95:
	v_bfe_u32 v5, v69, 16, 1
	s_delay_alu instid0(VALU_DEP_1)
	v_add3_u32 v5, v69, v5, 0x7fff
; %bb.96:
	s_and_not1_saveexec_b32 s2, s2
; %bb.97:
	v_and_b32_e32 v5, 0xffff, v69
	v_or_b32_e32 v6, 0x10000, v69
	s_delay_alu instid0(VALU_DEP_2) | instskip(NEXT) | instid1(VALU_DEP_2)
	v_cmp_eq_u32_e32 vcc_lo, 0, v5
	v_cndmask_b32_e32 v5, v6, v69, vcc_lo
; %bb.98:
	s_or_b32 exec_lo, exec_lo, s2
	v_and_b32_e32 v6, 0x7f800000, v70
	s_delay_alu instid0(VALU_DEP_1) | instskip(SKIP_1) | instid1(SALU_CYCLE_1)
	v_cmp_ne_u32_e32 vcc_lo, 0x7f800000, v6
                                        ; implicit-def: $vgpr6
	s_and_saveexec_b32 s2, vcc_lo
	s_xor_b32 s2, exec_lo, s2
; %bb.99:
	v_bfe_u32 v6, v70, 16, 1
	s_delay_alu instid0(VALU_DEP_1)
	v_add3_u32 v6, v70, v6, 0x7fff
; %bb.100:
	s_and_not1_saveexec_b32 s2, s2
; %bb.101:
	v_and_b32_e32 v6, 0xffff, v70
	v_or_b32_e32 v7, 0x10000, v70
	s_delay_alu instid0(VALU_DEP_2) | instskip(NEXT) | instid1(VALU_DEP_2)
	v_cmp_eq_u32_e32 vcc_lo, 0, v6
	v_cndmask_b32_e32 v6, v7, v70, vcc_lo
; %bb.102:
	s_or_b32 exec_lo, exec_lo, s2
	v_and_b32_e32 v7, 0x7f800000, v71
	s_delay_alu instid0(VALU_DEP_1) | instskip(SKIP_1) | instid1(SALU_CYCLE_1)
	v_cmp_ne_u32_e32 vcc_lo, 0x7f800000, v7
                                        ; implicit-def: $vgpr7
	s_and_saveexec_b32 s2, vcc_lo
	s_xor_b32 s2, exec_lo, s2
; %bb.103:
	v_bfe_u32 v7, v71, 16, 1
	s_delay_alu instid0(VALU_DEP_1)
	v_add3_u32 v7, v71, v7, 0x7fff
; %bb.104:
	s_and_not1_saveexec_b32 s2, s2
; %bb.105:
	v_and_b32_e32 v7, 0xffff, v71
	v_or_b32_e32 v8, 0x10000, v71
	s_delay_alu instid0(VALU_DEP_2) | instskip(NEXT) | instid1(VALU_DEP_2)
	v_cmp_eq_u32_e32 vcc_lo, 0, v7
	v_cndmask_b32_e32 v7, v8, v71, vcc_lo
; %bb.106:
	s_or_b32 exec_lo, exec_lo, s2
	v_and_b32_e32 v8, 0x7f800000, v72
	s_delay_alu instid0(VALU_DEP_1) | instskip(SKIP_1) | instid1(SALU_CYCLE_1)
	v_cmp_ne_u32_e32 vcc_lo, 0x7f800000, v8
                                        ; implicit-def: $vgpr8
	s_and_saveexec_b32 s2, vcc_lo
	s_xor_b32 s2, exec_lo, s2
; %bb.107:
	v_bfe_u32 v8, v72, 16, 1
	s_delay_alu instid0(VALU_DEP_1)
	v_add3_u32 v8, v72, v8, 0x7fff
                                        ; implicit-def: $vgpr65_vgpr66_vgpr67_vgpr68_vgpr69_vgpr70_vgpr71_vgpr72
; %bb.108:
	s_and_not1_saveexec_b32 s2, s2
; %bb.109:
	v_and_b32_e32 v8, 0xffff, v72
	v_or_b32_e32 v9, 0x10000, v72
	s_delay_alu instid0(VALU_DEP_2) | instskip(NEXT) | instid1(VALU_DEP_2)
	v_cmp_eq_u32_e32 vcc_lo, 0, v8
	v_cndmask_b32_e32 v8, v9, v72, vcc_lo
; %bb.110:
	s_or_b32 exec_lo, exec_lo, s2
	s_delay_alu instid0(VALU_DEP_1)
	v_perm_b32 v7, v8, v7, 0x7060302
	v_perm_b32 v6, v6, v5, 0x7060302
	;; [unrolled: 1-line block ×4, first 2 shown]
	s_barrier
	buffer_gl0_inv
	v_cmp_eq_u32_e32 vcc_lo, 1, v79
	ds_store_b128 v77, v[4:7]
	s_waitcnt lgkmcnt(0)
	s_barrier
	buffer_gl0_inv
	ds_load_b128 v[1:4], v82
	ds_load_b128 v[5:8], v82 offset:16
	v_cmp_eq_u32_e64 s2, 1, v80
	v_cmp_eq_u32_e64 s3, 2, v79
	;; [unrolled: 1-line block ×5, first 2 shown]
	s_waitcnt lgkmcnt(1)
	v_lshrrev_b32_e32 v9, 16, v1
	s_waitcnt lgkmcnt(0)
	v_lshrrev_b32_e32 v13, 16, v5
	v_lshrrev_b32_e32 v10, 16, v2
	v_lshrrev_b32_e32 v14, 16, v6
	v_lshrrev_b32_e32 v11, 16, v3
	v_cndmask_b32_e64 v19, v1, v9, s2
	v_cndmask_b32_e32 v18, v5, v13, vcc_lo
	v_cndmask_b32_e64 v20, v5, v13, s2
	v_cndmask_b32_e32 v17, v1, v9, vcc_lo
	v_cmp_eq_u32_e32 vcc_lo, 2, v80
	v_lshrrev_b32_e32 v15, 16, v7
	v_cmp_eq_u32_e64 s2, 1, v78
	v_lshrrev_b32_e32 v12, 16, v4
	v_lshrrev_b32_e32 v16, 16, v8
	v_cndmask_b32_e32 v20, v20, v6, vcc_lo
	v_cndmask_b32_e64 v17, v17, v2, s3
	v_cndmask_b32_e32 v19, v19, v2, vcc_lo
	v_cndmask_b32_e64 v18, v18, v6, s3
	v_cmp_eq_u32_e32 vcc_lo, 4, v79
	v_cmp_eq_u32_e64 s3, 3, v80
	v_cndmask_b32_e64 v17, v17, v10, s4
	v_cndmask_b32_e64 v21, v1, v9, s2
	;; [unrolled: 1-line block ×5, first 2 shown]
	v_cndmask_b32_e32 v17, v17, v3, vcc_lo
	v_cndmask_b32_e64 v20, v20, v14, s3
	v_cndmask_b32_e32 v18, v18, v7, vcc_lo
	v_cmp_eq_u32_e32 vcc_lo, 4, v80
	v_cmp_eq_u32_e64 s3, 5, v80
	v_cmp_eq_u32_e64 s2, 2, v81
	v_cndmask_b32_e64 v21, v21, v2, s6
	v_cmp_eq_u32_e64 s4, 5, v79
	v_cndmask_b32_e32 v19, v19, v3, vcc_lo
	v_cndmask_b32_e32 v20, v20, v7, vcc_lo
	v_cmp_eq_u32_e32 vcc_lo, 6, v80
	s_delay_alu instid0(VALU_DEP_4) | instskip(NEXT) | instid1(VALU_DEP_4)
	v_cndmask_b32_e64 v17, v17, v11, s4
	v_cndmask_b32_e64 v19, v19, v11, s3
	s_delay_alu instid0(VALU_DEP_4) | instskip(SKIP_1) | instid1(VALU_DEP_3)
	v_cndmask_b32_e64 v20, v20, v15, s3
	v_cmp_eq_u32_e64 s3, 1, v81
	v_cndmask_b32_e32 v19, v19, v4, vcc_lo
	v_cndmask_b32_e64 v18, v18, v15, s4
	s_delay_alu instid0(VALU_DEP_3)
	v_cndmask_b32_e64 v1, v1, v9, s3
	v_cndmask_b32_e64 v5, v5, v13, s3
	v_cmp_eq_u32_e64 s3, 3, v78
	v_cndmask_b32_e64 v13, v22, v6, s6
	v_cmp_eq_u32_e64 s6, 3, v81
	v_cndmask_b32_e64 v1, v1, v2, s2
	v_cndmask_b32_e64 v2, v5, v6, s2
	;; [unrolled: 1-line block ×3, first 2 shown]
	v_cmp_eq_u32_e64 s2, 4, v78
	v_cndmask_b32_e64 v6, v13, v14, s3
	v_cndmask_b32_e64 v1, v1, v10, s6
	v_cmp_eq_u32_e64 s3, 4, v81
	v_cndmask_b32_e64 v2, v2, v14, s6
	v_cndmask_b32_e64 v5, v9, v3, s2
	;; [unrolled: 3-line block ×3, first 2 shown]
	v_cndmask_b32_e64 v2, v2, v7, s3
	v_cmp_eq_u32_e64 s2, 5, v81
	v_cmp_eq_u32_e64 s4, 6, v79
	v_cndmask_b32_e64 v5, v5, v11, s6
	v_cmp_eq_u32_e64 s3, 6, v78
	v_cndmask_b32_e64 v3, v6, v15, s6
	v_cndmask_b32_e64 v1, v1, v11, s2
	v_cmp_eq_u32_e64 s6, 6, v81
	v_cndmask_b32_e64 v2, v2, v15, s2
	v_cndmask_b32_e64 v17, v17, v4, s4
	v_cndmask_b32_e64 v18, v18, v8, s4
	v_cmp_eq_u32_e64 s4, 7, v79
	v_cndmask_b32_e64 v5, v5, v4, s3
	;; [unrolled: 4-line block ×3, first 2 shown]
	v_cmp_eq_u32_e64 s3, 7, v78
	v_cndmask_b32_e32 v4, v20, v8, vcc_lo
	v_cndmask_b32_e64 v17, v17, v12, s4
	v_cndmask_b32_e64 v19, v19, v12, s5
	;; [unrolled: 1-line block ×8, first 2 shown]
	s_mov_b32 s2, exec_lo
	v_perm_b32 v4, v2, v1, 0x5040100
	v_perm_b32 v3, v3, v5, 0x5040100
	;; [unrolled: 1-line block ×4, first 2 shown]
	ds_store_b128 v77, v[1:4]
	s_waitcnt lgkmcnt(0)
	s_barrier
	buffer_gl0_inv
	v_cmpx_gt_u32_e32 32, v0
	s_cbranch_execz .LBB1581_2
; %bb.111:
	s_load_b64 s[0:1], s[0:1], 0x68
	v_lshlrev_b32_e32 v0, 10, v0
	s_lshl_b32 s4, s34, 7
	v_or_b32_e32 v23, s29, v74
	s_mul_i32 s2, s4, s30
	v_lshlrev_b32_e32 v1, 4, v75
	v_lshlrev_b32_e32 v2, 6, v74
	s_mul_i32 s2, s2, s7
	v_and_b32_e32 v0, 0x3800, v0
	v_mul_lo_u32 v8, v23, s4
	s_ashr_i32 s3, s2, 31
	v_or_b32_e32 v3, 2, v23
	s_lshl_b64 s[2:3], s[2:3], 1
	v_or3_b32 v27, v0, v1, v2
	v_or_b32_e32 v11, 4, v23
	v_or_b32_e32 v18, 6, v23
	v_mul_lo_u32 v10, v3, s4
	v_ashrrev_i32_e32 v9, 31, v8
	ds_load_b128 v[0:3], v27
	ds_load_b128 v[4:7], v27 offset:128
	v_mul_lo_u32 v12, v11, s4
	s_waitcnt lgkmcnt(0)
	s_add_u32 s2, s0, s2
	s_addc_u32 s3, s1, s3
	s_lshl_b32 s0, s14, 7
	v_lshlrev_b64 v[8:9], 1, v[8:9]
	s_ashr_i32 s1, s0, 31
	v_ashrrev_i32_e32 v11, 31, v10
	s_lshl_b64 s[0:1], s[0:1], 1
	v_ashrrev_i32_e32 v13, 31, v12
	s_add_u32 s0, s2, s0
	s_addc_u32 s1, s3, s1
	v_add_co_u32 v30, s0, s0, v73
	s_delay_alu instid0(VALU_DEP_1) | instskip(SKIP_1) | instid1(VALU_DEP_3)
	v_add_co_ci_u32_e64 v31, null, s1, 0, s0
	v_lshlrev_b64 v[16:17], 1, v[10:11]
	v_add_co_u32 v14, vcc_lo, v30, v8
	s_delay_alu instid0(VALU_DEP_3)
	v_add_co_ci_u32_e32 v15, vcc_lo, v31, v9, vcc_lo
	ds_load_b128 v[8:11], v27 offset:256
	v_mul_lo_u32 v18, v18, s4
	v_or_b32_e32 v19, 8, v23
	v_add_co_u32 v16, vcc_lo, v30, v16
	global_store_b128 v[14:15], v[0:3], off
	v_lshlrev_b64 v[0:1], 1, v[12:13]
	v_add_co_ci_u32_e32 v17, vcc_lo, v31, v17, vcc_lo
	v_mul_lo_u32 v12, v19, s4
	v_ashrrev_i32_e32 v19, 31, v18
	v_or_b32_e32 v14, 10, v23
	global_store_b128 v[16:17], v[4:7], off
	v_add_co_u32 v4, vcc_lo, v30, v0
	v_add_co_ci_u32_e32 v5, vcc_lo, v31, v1, vcc_lo
	ds_load_b128 v[0:3], v27 offset:384
	v_ashrrev_i32_e32 v13, 31, v12
	v_lshlrev_b64 v[6:7], 1, v[18:19]
	v_mul_lo_u32 v14, v14, s4
	s_waitcnt lgkmcnt(1)
	global_store_b128 v[4:5], v[8:11], off
	v_or_b32_e32 v8, 12, v23
	v_lshlrev_b64 v[4:5], 1, v[12:13]
	v_add_co_u32 v20, vcc_lo, v30, v6
	v_or_b32_e32 v6, 14, v23
	v_ashrrev_i32_e32 v15, 31, v14
	v_mul_lo_u32 v22, v8, s4
	v_add_co_ci_u32_e32 v21, vcc_lo, v31, v7, vcc_lo
	v_add_co_u32 v24, vcc_lo, v30, v4
	v_mul_lo_u32 v26, v6, s4
	v_add_co_ci_u32_e32 v25, vcc_lo, v31, v5, vcc_lo
	v_lshlrev_b64 v[28:29], 1, v[14:15]
	ds_load_b128 v[4:7], v27 offset:512
	ds_load_b128 v[8:11], v27 offset:640
	ds_load_b128 v[12:15], v27 offset:768
	ds_load_b128 v[16:19], v27 offset:896
	v_ashrrev_i32_e32 v23, 31, v22
	v_ashrrev_i32_e32 v27, 31, v26
	v_add_co_u32 v28, vcc_lo, v30, v28
	s_delay_alu instid0(VALU_DEP_3) | instskip(SKIP_1) | instid1(VALU_DEP_4)
	v_lshlrev_b64 v[22:23], 1, v[22:23]
	v_add_co_ci_u32_e32 v29, vcc_lo, v31, v29, vcc_lo
	v_lshlrev_b64 v[26:27], 1, v[26:27]
	s_delay_alu instid0(VALU_DEP_3) | instskip(NEXT) | instid1(VALU_DEP_4)
	v_add_co_u32 v22, vcc_lo, v30, v22
	v_add_co_ci_u32_e32 v23, vcc_lo, v31, v23, vcc_lo
	s_delay_alu instid0(VALU_DEP_3) | instskip(NEXT) | instid1(VALU_DEP_4)
	v_add_co_u32 v26, vcc_lo, v30, v26
	v_add_co_ci_u32_e32 v27, vcc_lo, v31, v27, vcc_lo
	s_waitcnt lgkmcnt(4)
	global_store_b128 v[20:21], v[0:3], off
	s_waitcnt lgkmcnt(3)
	global_store_b128 v[24:25], v[4:7], off
	;; [unrolled: 2-line block ×5, first 2 shown]
	s_nop 0
	s_sendmsg sendmsg(MSG_DEALLOC_VGPRS)
	s_endpgm
	.section	.rodata,"a",@progbits
	.p2align	6, 0x0
	.amdhsa_kernel _Z39paged_attention_ll4mi_QKV_mfma16_kernelI14__hip_bfloat16hLN4vllm18Fp8KVCacheDataTypeE1ES0_Li16ELi128ELi256ELb0ELi16EL8MFMAType1EEvPKT_PKT0_S9_ifPKiSB_SB_iPKfiiiPfSE_PS4_PT2_iSD_SD_
		.amdhsa_group_segment_fixed_size 17472
		.amdhsa_private_segment_fixed_size 0
		.amdhsa_kernarg_size 400
		.amdhsa_user_sgpr_count 13
		.amdhsa_user_sgpr_dispatch_ptr 0
		.amdhsa_user_sgpr_queue_ptr 0
		.amdhsa_user_sgpr_kernarg_segment_ptr 1
		.amdhsa_user_sgpr_dispatch_id 0
		.amdhsa_user_sgpr_private_segment_size 0
		.amdhsa_wavefront_size32 1
		.amdhsa_uses_dynamic_stack 0
		.amdhsa_enable_private_segment 0
		.amdhsa_system_sgpr_workgroup_id_x 1
		.amdhsa_system_sgpr_workgroup_id_y 1
		.amdhsa_system_sgpr_workgroup_id_z 1
		.amdhsa_system_sgpr_workgroup_info 0
		.amdhsa_system_vgpr_workitem_id 0
		.amdhsa_next_free_vgpr 141
		.amdhsa_next_free_sgpr 36
		.amdhsa_reserve_vcc 1
		.amdhsa_float_round_mode_32 0
		.amdhsa_float_round_mode_16_64 0
		.amdhsa_float_denorm_mode_32 3
		.amdhsa_float_denorm_mode_16_64 3
		.amdhsa_dx10_clamp 1
		.amdhsa_ieee_mode 1
		.amdhsa_fp16_overflow 0
		.amdhsa_workgroup_processor_mode 1
		.amdhsa_memory_ordered 1
		.amdhsa_forward_progress 0
		.amdhsa_shared_vgpr_count 0
		.amdhsa_exception_fp_ieee_invalid_op 0
		.amdhsa_exception_fp_denorm_src 0
		.amdhsa_exception_fp_ieee_div_zero 0
		.amdhsa_exception_fp_ieee_overflow 0
		.amdhsa_exception_fp_ieee_underflow 0
		.amdhsa_exception_fp_ieee_inexact 0
		.amdhsa_exception_int_div_zero 0
	.end_amdhsa_kernel
	.section	.text._Z39paged_attention_ll4mi_QKV_mfma16_kernelI14__hip_bfloat16hLN4vllm18Fp8KVCacheDataTypeE1ES0_Li16ELi128ELi256ELb0ELi16EL8MFMAType1EEvPKT_PKT0_S9_ifPKiSB_SB_iPKfiiiPfSE_PS4_PT2_iSD_SD_,"axG",@progbits,_Z39paged_attention_ll4mi_QKV_mfma16_kernelI14__hip_bfloat16hLN4vllm18Fp8KVCacheDataTypeE1ES0_Li16ELi128ELi256ELb0ELi16EL8MFMAType1EEvPKT_PKT0_S9_ifPKiSB_SB_iPKfiiiPfSE_PS4_PT2_iSD_SD_,comdat
.Lfunc_end1581:
	.size	_Z39paged_attention_ll4mi_QKV_mfma16_kernelI14__hip_bfloat16hLN4vllm18Fp8KVCacheDataTypeE1ES0_Li16ELi128ELi256ELb0ELi16EL8MFMAType1EEvPKT_PKT0_S9_ifPKiSB_SB_iPKfiiiPfSE_PS4_PT2_iSD_SD_, .Lfunc_end1581-_Z39paged_attention_ll4mi_QKV_mfma16_kernelI14__hip_bfloat16hLN4vllm18Fp8KVCacheDataTypeE1ES0_Li16ELi128ELi256ELb0ELi16EL8MFMAType1EEvPKT_PKT0_S9_ifPKiSB_SB_iPKfiiiPfSE_PS4_PT2_iSD_SD_
                                        ; -- End function
	.section	.AMDGPU.csdata,"",@progbits
; Kernel info:
; codeLenInByte = 9036
; NumSgprs: 38
; NumVgprs: 141
; ScratchSize: 0
; MemoryBound: 0
; FloatMode: 240
; IeeeMode: 1
; LDSByteSize: 17472 bytes/workgroup (compile time only)
; SGPRBlocks: 4
; VGPRBlocks: 17
; NumSGPRsForWavesPerEU: 38
; NumVGPRsForWavesPerEU: 141
; Occupancy: 10
; WaveLimiterHint : 1
; COMPUTE_PGM_RSRC2:SCRATCH_EN: 0
; COMPUTE_PGM_RSRC2:USER_SGPR: 13
; COMPUTE_PGM_RSRC2:TRAP_HANDLER: 0
; COMPUTE_PGM_RSRC2:TGID_X_EN: 1
; COMPUTE_PGM_RSRC2:TGID_Y_EN: 1
; COMPUTE_PGM_RSRC2:TGID_Z_EN: 1
; COMPUTE_PGM_RSRC2:TIDIG_COMP_CNT: 0
	.section	.text._Z39paged_attention_ll4mi_QKV_mfma16_kernelI14__hip_bfloat16hLN4vllm18Fp8KVCacheDataTypeE1ES0_Li16ELi128ELi256ELb0ELi1EL8MFMAType1EEvPKT_PKT0_S9_ifPKiSB_SB_iPKfiiiPfSE_PS4_PT2_iSD_SD_,"axG",@progbits,_Z39paged_attention_ll4mi_QKV_mfma16_kernelI14__hip_bfloat16hLN4vllm18Fp8KVCacheDataTypeE1ES0_Li16ELi128ELi256ELb0ELi1EL8MFMAType1EEvPKT_PKT0_S9_ifPKiSB_SB_iPKfiiiPfSE_PS4_PT2_iSD_SD_,comdat
	.protected	_Z39paged_attention_ll4mi_QKV_mfma16_kernelI14__hip_bfloat16hLN4vllm18Fp8KVCacheDataTypeE1ES0_Li16ELi128ELi256ELb0ELi1EL8MFMAType1EEvPKT_PKT0_S9_ifPKiSB_SB_iPKfiiiPfSE_PS4_PT2_iSD_SD_ ; -- Begin function _Z39paged_attention_ll4mi_QKV_mfma16_kernelI14__hip_bfloat16hLN4vllm18Fp8KVCacheDataTypeE1ES0_Li16ELi128ELi256ELb0ELi1EL8MFMAType1EEvPKT_PKT0_S9_ifPKiSB_SB_iPKfiiiPfSE_PS4_PT2_iSD_SD_
	.globl	_Z39paged_attention_ll4mi_QKV_mfma16_kernelI14__hip_bfloat16hLN4vllm18Fp8KVCacheDataTypeE1ES0_Li16ELi128ELi256ELb0ELi1EL8MFMAType1EEvPKT_PKT0_S9_ifPKiSB_SB_iPKfiiiPfSE_PS4_PT2_iSD_SD_
	.p2align	8
	.type	_Z39paged_attention_ll4mi_QKV_mfma16_kernelI14__hip_bfloat16hLN4vllm18Fp8KVCacheDataTypeE1ES0_Li16ELi128ELi256ELb0ELi1EL8MFMAType1EEvPKT_PKT0_S9_ifPKiSB_SB_iPKfiiiPfSE_PS4_PT2_iSD_SD_,@function
_Z39paged_attention_ll4mi_QKV_mfma16_kernelI14__hip_bfloat16hLN4vllm18Fp8KVCacheDataTypeE1ES0_Li16ELi128ELi256ELb0ELi1EL8MFMAType1EEvPKT_PKT0_S9_ifPKiSB_SB_iPKfiiiPfSE_PS4_PT2_iSD_SD_: ; @_Z39paged_attention_ll4mi_QKV_mfma16_kernelI14__hip_bfloat16hLN4vllm18Fp8KVCacheDataTypeE1ES0_Li16ELi128ELi256ELb0ELi1EL8MFMAType1EEvPKT_PKT0_S9_ifPKiSB_SB_iPKfiiiPfSE_PS4_PT2_iSD_SD_
; %bb.0:
	s_load_b64 s[4:5], s[0:1], 0x30
	s_mov_b32 s34, s13
	s_waitcnt lgkmcnt(0)
	s_cmp_lg_u64 s[4:5], 0
	s_cselect_b32 s6, -1, 0
	s_ashr_i32 s35, s13, 31
	s_cmp_eq_u64 s[4:5], 0
	s_cbranch_scc1 .LBB1582_3
; %bb.1:
	s_lshl_b64 s[2:3], s[34:35], 2
	s_delay_alu instid0(SALU_CYCLE_1) | instskip(SKIP_4) | instid1(SALU_CYCLE_1)
	s_add_u32 s2, s4, s2
	s_addc_u32 s3, s5, s3
	s_load_b64 s[2:3], s[2:3], 0x0
	s_waitcnt lgkmcnt(0)
	s_sub_i32 s2, s3, s2
	s_cmp_eq_u32 s2, 1
	s_cselect_b32 s2, -1, 0
	s_delay_alu instid0(SALU_CYCLE_1)
	s_and_not1_b32 vcc_lo, exec_lo, s2
	s_cbranch_vccz .LBB1582_4
.LBB1582_2:
	s_endpgm
.LBB1582_3:
.LBB1582_4:
	s_load_b64 s[2:3], s[0:1], 0x28
	s_lshl_b64 s[8:9], s[34:35], 2
	s_waitcnt lgkmcnt(0)
	s_add_u32 s2, s2, s8
	s_addc_u32 s3, s3, s9
	s_lshl_b32 s12, s14, 8
	s_load_b32 s33, s[2:3], 0x0
	s_waitcnt lgkmcnt(0)
	s_cmp_ge_i32 s12, s33
	s_cbranch_scc1 .LBB1582_2
; %bb.5:
	s_clause 0x1
	s_load_b128 s[56:59], s[0:1], 0x8
	s_load_b64 s[2:3], s[0:1], 0x20
	s_and_not1_b32 vcc_lo, exec_lo, s6
	s_mov_b64 s[6:7], s[34:35]
	s_cbranch_vccnz .LBB1582_7
; %bb.6:
	s_add_u32 s4, s4, s8
	s_addc_u32 s5, s5, s9
	s_load_b32 s6, s[4:5], 0x0
.LBB1582_7:
	s_load_b128 s[52:55], s[0:1], 0x48
	v_and_b32_e32 v65, 15, v0
	s_mov_b32 s13, exec_lo
                                        ; implicit-def: $sgpr36
                                        ; implicit-def: $sgpr24
                                        ; implicit-def: $sgpr16
                                        ; implicit-def: $sgpr4
	s_delay_alu instid0(VALU_DEP_1)
	v_cmpx_eq_u32_e32 0, v65
	s_cbranch_execz .LBB1582_9
; %bb.8:
	s_load_b64 s[4:5], s[0:1], 0x0
	s_waitcnt lgkmcnt(0)
	s_mul_hi_i32 s7, s6, s52
	s_mul_i32 s6, s6, s52
	s_delay_alu instid0(SALU_CYCLE_1) | instskip(NEXT) | instid1(SALU_CYCLE_1)
	s_lshl_b64 s[6:7], s[6:7], 1
	s_add_u32 s6, s4, s6
	s_addc_u32 s7, s5, s7
	s_lshl_b32 s4, s15, 7
	s_delay_alu instid0(SALU_CYCLE_1) | instskip(NEXT) | instid1(SALU_CYCLE_1)
	s_ashr_i32 s5, s4, 31
	s_lshl_b64 s[4:5], s[4:5], 1
	s_delay_alu instid0(SALU_CYCLE_1)
	s_add_u32 s4, s6, s4
	s_addc_u32 s5, s7, s5
	s_clause 0x3
	s_load_b256 s[36:43], s[4:5], 0x0
	s_load_b256 s[24:31], s[4:5], 0x40
	;; [unrolled: 1-line block ×4, first 2 shown]
.LBB1582_9:
	s_or_b32 exec_lo, exec_lo, s13
	v_and_b32_e32 v1, 0xef, v0
	s_add_i32 s13, s33, 15
	s_load_b32 s44, s[0:1], 0x38
	s_ashr_i32 s35, s13, 31
	s_waitcnt lgkmcnt(0)
	s_mul_i32 s62, s15, s54
	v_add_nc_u32_e32 v1, s12, v1
	s_lshr_b32 s35, s35, 28
	v_dual_mov_b32 v113, s31 :: v_dual_mov_b32 v106, s24
	s_add_i32 s13, s13, s35
	s_delay_alu instid0(VALU_DEP_2)
	v_ashrrev_i32_e32 v2, 31, v1
	v_or_b32_e32 v3, 16, v1
	s_ashr_i32 s13, s13, 4
	v_cmp_gt_i32_e32 vcc_lo, s33, v1
	s_add_i32 s13, s13, -1
	v_lshrrev_b32_e32 v2, 28, v2
	s_load_b32 s35, s[0:1], 0x1c
	v_mov_b32_e32 v111, s29
	v_mov_b32_e32 v109, s27
	s_delay_alu instid0(VALU_DEP_3)
	v_dual_mov_b32 v107, s25 :: v_dual_add_nc_u32 v4, v1, v2
	v_lshlrev_b32_e32 v73, 4, v65
	s_mul_i32 s44, s34, s44
	v_lshrrev_b32_e32 v66, 5, v0
	s_ashr_i32 s45, s44, 31
	v_ashrrev_i32_e32 v4, 4, v4
	v_add_nc_u32_e32 v2, v3, v2
	s_lshl_b64 s[44:45], s[44:45], 2
	v_mov_b32_e32 v112, s30
	s_add_u32 s61, s2, s44
	v_cndmask_b32_e32 v1, s13, v4, vcc_lo
	v_ashrrev_i32_e32 v2, 4, v2
	v_cmp_gt_i32_e32 vcc_lo, s33, v3
	s_addc_u32 s60, s3, s45
	s_ashr_i32 s63, s62, 31
	s_add_u32 s52, s56, s62
	s_addc_u32 s56, s57, s63
	v_cndmask_b32_e32 v3, s13, v2, vcc_lo
	v_ashrrev_i32_e32 v2, 31, v1
	s_lshl_b32 s2, s14, 4
	v_mov_b32_e32 v110, s28
	s_ashr_i32 s3, s2, 31
	v_ashrrev_i32_e32 v4, 31, v3
	v_lshlrev_b64 v[1:2], 2, v[1:2]
	s_lshl_b64 s[2:3], s[2:3], 2
	v_mov_b32_e32 v108, s26
	s_add_u32 s2, s61, s2
	v_lshlrev_b64 v[3:4], 2, v[3:4]
	s_addc_u32 s3, s60, s3
	v_add_co_u32 v1, vcc_lo, s61, v1
	v_add_co_ci_u32_e32 v2, vcc_lo, s60, v2, vcc_lo
	s_delay_alu instid0(VALU_DEP_3) | instskip(NEXT) | instid1(VALU_DEP_4)
	v_add_co_u32 v3, vcc_lo, s61, v3
	v_add_co_ci_u32_e32 v4, vcc_lo, s60, v4, vcc_lo
	s_clause 0x1
	global_load_b32 v5, v[1:2], off
	global_load_b32 v3, v[3:4], off
	s_or_b32 s44, s12, 32
	v_lshlrev_b32_e32 v1, 4, v0
	s_ashr_i32 s45, s44, 4
	s_cmp_lt_i32 s44, s33
	s_cselect_b32 s44, s45, s13
	s_delay_alu instid0(VALU_DEP_1) | instskip(SKIP_1) | instid1(SALU_CYCLE_1)
	v_and_b32_e32 v1, 0xf0, v1
	s_ashr_i32 s45, s44, 31
	s_lshl_b64 s[44:45], s[44:45], 2
	s_delay_alu instid0(SALU_CYCLE_1)
	s_add_u32 s44, s61, s44
	s_addc_u32 s45, s60, s45
	s_or_b32 s46, s12, 64
	v_add_co_u32 v1, s52, s52, v1
	s_ashr_i32 s47, s46, 4
	s_cmp_lt_i32 s46, s33
	v_add_co_ci_u32_e64 v2, null, s56, 0, s52
	s_cselect_b32 s46, s47, s13
	s_delay_alu instid0(SALU_CYCLE_1) | instskip(NEXT) | instid1(SALU_CYCLE_1)
	s_ashr_i32 s47, s46, 31
	s_lshl_b64 s[46:47], s[46:47], 2
	s_delay_alu instid0(SALU_CYCLE_1) | instskip(SKIP_2) | instid1(SALU_CYCLE_1)
	s_add_u32 s46, s61, s46
	s_addc_u32 s47, s60, s47
	s_or_b32 s48, s12, 0x60
	s_ashr_i32 s49, s48, 4
	s_cmp_lt_i32 s48, s33
	s_cselect_b32 s48, s49, s13
	s_delay_alu instid0(SALU_CYCLE_1) | instskip(NEXT) | instid1(SALU_CYCLE_1)
	s_ashr_i32 s49, s48, 31
	s_lshl_b64 s[48:49], s[48:49], 2
	s_delay_alu instid0(SALU_CYCLE_1) | instskip(SKIP_2) | instid1(SALU_CYCLE_1)
	s_add_u32 s48, s61, s48
	s_addc_u32 s49, s60, s49
	s_or_b32 s50, s12, 0x80
	s_ashr_i32 s51, s50, 4
	s_cmp_lt_i32 s50, s33
	s_cselect_b32 s50, s51, s13
	s_delay_alu instid0(SALU_CYCLE_1) | instskip(NEXT) | instid1(SALU_CYCLE_1)
	s_ashr_i32 s51, s50, 31
	s_lshl_b64 s[50:51], s[50:51], 2
	s_delay_alu instid0(SALU_CYCLE_1) | instskip(SKIP_2) | instid1(SALU_CYCLE_1)
	s_add_u32 s50, s61, s50
	s_addc_u32 s51, s60, s51
	s_or_b32 s54, s12, 0xa0
	s_ashr_i32 s55, s54, 4
	s_cmp_lt_i32 s54, s33
	s_cselect_b32 s54, s55, s13
	s_delay_alu instid0(SALU_CYCLE_1) | instskip(NEXT) | instid1(SALU_CYCLE_1)
	s_ashr_i32 s55, s54, 31
	s_lshl_b64 s[54:55], s[54:55], 2
	s_delay_alu instid0(SALU_CYCLE_1)
	s_add_u32 s64, s61, s54
	s_addc_u32 s65, s60, s55
	s_clause 0x5
	s_load_b32 s56, s[2:3], 0x0
	s_load_b32 s3, s[44:45], 0x0
	;; [unrolled: 1-line block ×6, first 2 shown]
	s_or_b32 s24, s12, 0xc0
	s_mov_b32 s44, 0
	s_ashr_i32 s25, s24, 4
	s_mov_b32 s45, s44
	s_mov_b32 s46, s44
	s_mov_b32 s47, s44
	s_mov_b32 s48, s44
	s_mov_b32 s49, s44
	s_mov_b32 s50, s44
	s_mov_b32 s51, s44
	v_dual_mov_b32 v121, s23 :: v_dual_mov_b32 v120, s22
	v_dual_mov_b32 v119, s21 :: v_dual_mov_b32 v118, s20
	;; [unrolled: 1-line block ×4, first 2 shown]
	v_lshl_or_b32 v33, v66, 8, v73
	v_dual_mov_b32 v129, s51 :: v_dual_mov_b32 v128, s50
	v_dual_mov_b32 v127, s49 :: v_dual_mov_b32 v126, s48
	;; [unrolled: 1-line block ×4, first 2 shown]
	s_cmp_lt_i32 s24, s33
	s_cselect_b32 s16, s25, s13
	s_delay_alu instid0(SALU_CYCLE_1) | instskip(NEXT) | instid1(SALU_CYCLE_1)
	s_ashr_i32 s17, s16, 31
	s_lshl_b64 s[16:17], s[16:17], 2
	s_delay_alu instid0(SALU_CYCLE_1) | instskip(SKIP_2) | instid1(SALU_CYCLE_1)
	s_add_u32 s16, s61, s16
	s_addc_u32 s17, s60, s17
	s_or_b32 s18, s12, 0xe0
	s_ashr_i32 s19, s18, 4
	s_cmp_lt_i32 s18, s33
	s_cselect_b32 s18, s19, s13
	s_delay_alu instid0(SALU_CYCLE_1) | instskip(NEXT) | instid1(SALU_CYCLE_1)
	s_ashr_i32 s19, s18, 31
	s_lshl_b64 s[18:19], s[18:19], 2
	s_delay_alu instid0(SALU_CYCLE_1) | instskip(SKIP_4) | instid1(VALU_DEP_1)
	s_add_u32 s18, s61, s18
	s_addc_u32 s19, s60, s19
	s_add_u32 s13, s58, s62
	s_addc_u32 s20, s59, s63
	v_add_co_u32 v67, s13, s13, v33
	v_add_co_ci_u32_e64 v68, null, s20, 0, s13
	s_waitcnt lgkmcnt(0)
	s_delay_alu instid0(VALU_DEP_1)
	v_mad_i64_i32 v[33:34], null, s56, s53, v[67:68]
	v_mad_i64_i32 v[69:70], null, s54, s53, v[67:68]
	;; [unrolled: 1-line block ×5, first 2 shown]
	s_waitcnt vmcnt(1)
	v_mad_i64_i32 v[25:26], null, v5, s53, v[1:2]
	s_waitcnt vmcnt(0)
	v_mad_i64_i32 v[27:28], null, v3, s53, v[1:2]
	s_clause 0xf
	global_load_b128 v[1:4], v[25:26], off
	global_load_b128 v[5:8], v[25:26], off offset:256
	global_load_b128 v[9:12], v[27:28], off
	global_load_b128 v[13:16], v[27:28], off offset:256
	global_load_b128 v[17:20], v[25:26], off offset:512
	global_load_b128 v[21:24], v[25:26], off offset:768
	global_load_b128 v[57:60], v[27:28], off offset:512
	global_load_b128 v[61:64], v[27:28], off offset:768
	global_load_b128 v[74:77], v[25:26], off offset:1024
	global_load_b128 v[78:81], v[25:26], off offset:1280
	global_load_b128 v[82:85], v[27:28], off offset:1024
	global_load_b128 v[86:89], v[27:28], off offset:1280
	global_load_b128 v[90:93], v[25:26], off offset:1536
	global_load_b128 v[94:97], v[25:26], off offset:1792
	global_load_b128 v[98:101], v[27:28], off offset:1536
	global_load_b128 v[102:105], v[27:28], off offset:1792
	v_mov_b32_e32 v25, s36
	v_mov_b32_e32 v27, s38
	;; [unrolled: 1-line block ×4, first 2 shown]
	s_clause 0x1
	s_load_b32 s13, s[16:17], 0x0
	s_load_b32 s16, s[18:19], 0x0
	v_mov_b32_e32 v26, s37
	v_mov_b32_e32 v28, s39
	;; [unrolled: 1-line block ×4, first 2 shown]
	s_clause 0x5
	global_load_b128 v[49:52], v[33:34], off
	global_load_b128 v[53:56], v[33:34], off offset:16
	global_load_b128 v[41:44], v[35:36], off
	global_load_b128 v[45:48], v[35:36], off offset:16
	;; [unrolled: 2-line block ×3, first 2 shown]
	s_waitcnt vmcnt(20)
	v_wmma_f32_16x16x16_bf16 v[130:137], v[1:8], v[25:32], v[122:129]
	s_waitcnt vmcnt(18)
	v_wmma_f32_16x16x16_bf16 v[122:129], v[9:16], v[25:32], v[122:129]
	v_mad_i64_i32 v[13:14], null, s2, s53, v[67:68]
	s_waitcnt vmcnt(16)
	v_wmma_f32_16x16x16_bf16 v[130:137], v[17:24], v[106:113], v[130:137]
	s_waitcnt lgkmcnt(0)
	v_mad_i64_i32 v[21:22], null, s13, s53, v[67:68]
	s_clause 0x1
	global_load_b128 v[25:28], v[69:70], off
	global_load_b128 v[29:32], v[69:70], off offset:16
	v_mad_i64_i32 v[69:70], null, s16, s53, v[67:68]
	s_waitcnt vmcnt(16)
	v_wmma_f32_16x16x16_bf16 v[122:129], v[57:64], v[106:113], v[122:129]
	s_clause 0x7
	global_load_b128 v[1:4], v[71:72], off
	global_load_b128 v[5:8], v[71:72], off offset:16
	global_load_b128 v[9:12], v[13:14], off
	global_load_b128 v[13:16], v[13:14], off offset:16
	;; [unrolled: 2-line block ×4, first 2 shown]
	v_mbcnt_lo_u32_b32 v68, -1, 0
	s_waitcnt vmcnt(22)
	v_wmma_f32_16x16x16_bf16 v[130:137], v[74:81], v[114:121], v[130:137]
	s_waitcnt vmcnt(20)
	v_wmma_f32_16x16x16_bf16 v[122:129], v[82:89], v[114:121], v[122:129]
	v_dual_mov_b32 v82, s11 :: v_dual_mov_b32 v81, s10
	v_xor_b32_e32 v69, 16, v68
	v_dual_mov_b32 v80, s9 :: v_dual_mov_b32 v79, s8
	v_dual_mov_b32 v78, s7 :: v_dual_mov_b32 v77, s6
	;; [unrolled: 1-line block ×3, first 2 shown]
	s_delay_alu instid0(VALU_DEP_4) | instskip(SKIP_4) | instid1(VALU_DEP_3)
	v_cmp_gt_i32_e32 vcc_lo, 32, v69
	v_and_b32_e32 v67, 0xe0, v0
	v_bfe_u32 v74, v0, 4, 1
	s_waitcnt vmcnt(0)
	v_wmma_f32_16x16x16_bf16 v[130:137], v[90:97], v[75:82], v[130:137]
	v_dual_cndmask_b32 v68, v68, v69 :: v_dual_add_nc_u32 v67, s12, v67
	s_barrier
	buffer_gl0_inv
	v_mul_f32_e32 v92, s35, v131
	v_wmma_f32_16x16x16_bf16 v[122:129], v[98:105], v[75:82], v[122:129]
	v_mul_f32_e32 v78, s35, v136
	v_or_b32_e32 v67, v67, v74
	v_mul_f32_e32 v93, s35, v130
	v_dual_mul_f32 v81, s35, v133 :: v_dual_mul_f32 v82, s35, v132
	v_dual_mul_f32 v79, s35, v135 :: v_dual_mul_f32 v98, s35, v125
	s_delay_alu instid0(VALU_DEP_4)
	v_or_b32_e32 v69, 2, v67
	v_or_b32_e32 v70, 4, v67
	;; [unrolled: 1-line block ×3, first 2 shown]
	v_cmp_gt_i32_e64 s2, s33, v67
	v_or_b32_e32 v72, 8, v67
	v_cmp_gt_i32_e32 vcc_lo, s33, v69
	v_or_b32_e32 v83, 10, v67
	v_cmp_gt_i32_e64 s3, s33, v70
	v_cndmask_b32_e64 v93, 0xff7fffff, v93, s2
	v_cmp_gt_i32_e64 s4, s33, v71
	v_cndmask_b32_e32 v92, 0xff7fffff, v92, vcc_lo
	v_or_b32_e32 v84, 12, v67
	v_or_b32_e32 v85, 14, v67
	v_mul_f32_e32 v80, s35, v134
	v_cndmask_b32_e64 v70, 0xff7fffff, v82, s3
	v_cndmask_b32_e64 v71, 0xff7fffff, v81, s4
	v_max3_f32 v81, v93, 0xff7fffff, v92
	v_cmp_gt_i32_e64 s5, s33, v72
	v_cmp_gt_i32_e64 s6, s33, v83
	v_or_b32_e32 v86, 16, v67
	v_or_b32_e32 v87, 18, v67
	v_dual_mul_f32 v77, s35, v137 :: v_dual_mul_f32 v96, s35, v127
	v_cndmask_b32_e64 v72, 0xff7fffff, v80, s5
	v_cndmask_b32_e64 v79, 0xff7fffff, v79, s6
	v_max3_f32 v70, v81, v70, v71
	v_cmp_gt_i32_e64 s7, s33, v84
	v_cmp_gt_i32_e64 s8, s33, v85
	v_or_b32_e32 v88, 20, v67
	v_or_b32_e32 v89, 22, v67
	;; [unrolled: 1-line block ×6, first 2 shown]
	v_mul_f32_e32 v69, s35, v123
	v_mul_f32_e32 v67, s35, v122
	v_cndmask_b32_e64 v71, 0xff7fffff, v78, s7
	v_cndmask_b32_e64 v77, 0xff7fffff, v77, s8
	v_max3_f32 v70, v70, v72, v79
	v_cmp_gt_i32_e64 s9, s33, v86
	v_cmp_gt_i32_e64 s10, s33, v87
	v_mul_f32_e32 v99, s35, v124
	v_cmp_gt_i32_e64 s11, s33, v88
	v_max3_f32 v70, v70, v71, v77
	v_cndmask_b32_e64 v67, 0xff7fffff, v67, s9
	v_cndmask_b32_e64 v69, 0xff7fffff, v69, s10
	v_cmp_gt_i32_e64 s12, s33, v89
	v_mul_f32_e32 v97, s35, v126
	v_cndmask_b32_e64 v71, 0xff7fffff, v99, s11
	v_cmp_gt_i32_e64 s13, s33, v90
	v_max3_f32 v67, v70, v67, v69
	v_cndmask_b32_e64 v72, 0xff7fffff, v98, s12
	v_cmp_gt_i32_e64 s16, s33, v91
	v_dual_mul_f32 v94, s35, v129 :: v_dual_mul_f32 v95, s35, v128
	v_cndmask_b32_e64 v69, 0xff7fffff, v97, s13
	s_delay_alu instid0(VALU_DEP_4) | instskip(NEXT) | instid1(VALU_DEP_4)
	v_max3_f32 v67, v67, v71, v72
	v_cndmask_b32_e64 v70, 0xff7fffff, v96, s16
	v_cmp_gt_i32_e64 s17, s33, v75
	v_cmp_gt_i32_e64 s18, s33, v76
	v_lshlrev_b32_e32 v81, 2, v68
	s_delay_alu instid0(VALU_DEP_4) | instskip(NEXT) | instid1(VALU_DEP_4)
	v_max3_f32 v67, v67, v69, v70
	v_cndmask_b32_e64 v71, 0xff7fffff, v95, s17
	s_delay_alu instid0(VALU_DEP_4) | instskip(NEXT) | instid1(VALU_DEP_1)
	v_cndmask_b32_e64 v72, 0xff7fffff, v94, s18
	v_max3_f32 v67, v67, v71, v72
	ds_bpermute_b32 v68, v81, v67
	s_waitcnt lgkmcnt(0)
	v_max_f32_e32 v68, v68, v68
	s_delay_alu instid0(VALU_DEP_1) | instskip(NEXT) | instid1(VALU_DEP_1)
	v_max_f32_e32 v67, v67, v68
	v_fma_f32 v68, s35, v130, -v67
	v_fma_f32 v69, s35, v131, -v67
	v_fma_f32 v70, s35, v132, -v67
	v_fma_f32 v71, s35, v133, -v67
	v_fma_f32 v72, s35, v134, -v67
	s_delay_alu instid0(VALU_DEP_4) | instskip(NEXT) | instid1(VALU_DEP_3)
	v_dual_mul_f32 v68, 0x3fb8aa3b, v68 :: v_dual_mul_f32 v69, 0x3fb8aa3b, v69
	v_dual_mul_f32 v70, 0x3fb8aa3b, v70 :: v_dual_mul_f32 v71, 0x3fb8aa3b, v71
	s_delay_alu instid0(VALU_DEP_3) | instskip(NEXT) | instid1(VALU_DEP_3)
	v_mul_f32_e32 v72, 0x3fb8aa3b, v72
	v_exp_f32_e32 v68, v68
	s_delay_alu instid0(VALU_DEP_3) | instskip(NEXT) | instid1(VALU_DEP_2)
	v_exp_f32_e32 v69, v69
	v_exp_f32_e32 v70, v70
	;; [unrolled: 1-line block ×3, first 2 shown]
	v_fma_f32 v76, s35, v136, -v67
	v_exp_f32_e32 v72, v72
	s_delay_alu instid0(VALU_DEP_1) | instskip(SKIP_3) | instid1(TRANS32_DEP_3)
	v_mul_f32_e32 v76, 0x3fb8aa3b, v76
	v_cndmask_b32_e64 v79, 0, v68, s2
	v_fma_f32 v68, s35, v135, -v67
	v_cndmask_b32_e32 v75, 0, v69, vcc_lo
	v_cndmask_b32_e64 v82, 0, v70, s3
	s_delay_alu instid0(TRANS32_DEP_2) | instskip(NEXT) | instid1(VALU_DEP_4)
	v_cndmask_b32_e64 v84, 0, v71, s4
	v_dual_add_f32 v69, 0, v79 :: v_dual_mul_f32 v68, 0x3fb8aa3b, v68
	v_exp_f32_e32 v76, v76
	s_delay_alu instid0(TRANS32_DEP_2) | instskip(SKIP_1) | instid1(VALU_DEP_2)
	v_cndmask_b32_e64 v85, 0, v72, s5
	s_mov_b32 s3, exec_lo
	v_add_f32_e32 v69, v69, v75
	v_exp_f32_e32 v68, v68
	s_delay_alu instid0(VALU_DEP_1) | instskip(SKIP_4) | instid1(VALU_DEP_2)
	v_add_f32_e32 v69, v69, v82
	s_waitcnt_depctr 0xfff
	v_cndmask_b32_e64 v83, 0, v76, s7
	v_add_f32_e32 v69, v69, v84
	v_cndmask_b32_e64 v86, 0, v68, s6
	v_add_f32_e32 v68, v69, v85
	s_delay_alu instid0(VALU_DEP_1) | instskip(NEXT) | instid1(VALU_DEP_1)
	v_add_f32_e32 v68, v68, v86
	v_add_f32_e32 v68, v68, v83
	v_fma_f32 v72, s35, v123, -v67
	v_fma_f32 v70, s35, v137, -v67
	;; [unrolled: 1-line block ×5, first 2 shown]
	v_mul_f32_e32 v72, 0x3fb8aa3b, v72
	s_delay_alu instid0(VALU_DEP_4) | instskip(SKIP_1) | instid1(VALU_DEP_4)
	v_dual_mul_f32 v70, 0x3fb8aa3b, v70 :: v_dual_mul_f32 v69, 0x3fb8aa3b, v69
	v_fma_f32 v77, s35, v126, -v67
	v_mul_f32_e32 v76, 0x3fb8aa3b, v76
	s_delay_alu instid0(VALU_DEP_4) | instskip(NEXT) | instid1(VALU_DEP_3)
	v_exp_f32_e32 v72, v72
	v_exp_f32_e32 v70, v70
	;; [unrolled: 1-line block ×3, first 2 shown]
	v_fma_f32 v88, s35, v129, -v67
	v_exp_f32_e32 v76, v76
	s_delay_alu instid0(VALU_DEP_1) | instskip(SKIP_2) | instid1(TRANS32_DEP_3)
	v_mul_f32_e32 v88, 0x3fb8aa3b, v88
	v_cndmask_b32_e64 v69, 0, v72, s10
	v_mul_f32_e32 v71, 0x3fb8aa3b, v71
	v_cndmask_b32_e64 v87, 0, v70, s8
	v_fma_f32 v72, s35, v128, -v67
	s_delay_alu instid0(VALU_DEP_3) | instskip(NEXT) | instid1(VALU_DEP_2)
	v_exp_f32_e32 v71, v71
	v_add_f32_e32 v68, v68, v87
	s_waitcnt_depctr 0xfff
	v_cndmask_b32_e64 v70, 0, v71, s9
	v_fma_f32 v71, s35, v127, -v67
	s_delay_alu instid0(VALU_DEP_2) | instskip(NEXT) | instid1(VALU_DEP_2)
	v_add_f32_e32 v68, v68, v70
	v_mul_f32_e32 v80, 0x3fb8aa3b, v71
	v_cndmask_b32_e64 v71, 0, v78, s11
	v_mul_f32_e32 v78, 0x3fb8aa3b, v72
	v_cndmask_b32_e64 v72, 0, v76, s12
	v_add_f32_e32 v68, v68, v69
	v_exp_f32_e32 v80, v80
	s_delay_alu instid0(VALU_DEP_3) | instskip(NEXT) | instid1(VALU_DEP_1)
	v_exp_f32_e32 v78, v78
	v_dual_add_f32 v68, v68, v71 :: v_dual_mul_f32 v77, 0x3fb8aa3b, v77
	s_delay_alu instid0(VALU_DEP_1) | instskip(NEXT) | instid1(VALU_DEP_2)
	v_add_f32_e32 v68, v68, v72
	v_exp_f32_e32 v77, v77
	s_waitcnt_depctr 0xfff
	v_cndmask_b32_e64 v78, 0, v78, s17
	v_cndmask_b32_e64 v76, 0, v77, s13
	;; [unrolled: 1-line block ×3, first 2 shown]
	v_exp_f32_e32 v80, v88
	v_and_b32_e32 v88, 31, v0
	s_delay_alu instid0(VALU_DEP_3) | instskip(NEXT) | instid1(VALU_DEP_2)
	v_add_f32_e32 v68, v68, v76
	v_cmp_lt_u32_e64 s2, 15, v88
	s_delay_alu instid0(VALU_DEP_2) | instskip(SKIP_3) | instid1(VALU_DEP_1)
	v_add_f32_e32 v68, v68, v77
	s_waitcnt_depctr 0xfff
	v_cndmask_b32_e64 v80, 0, v80, s18
	v_add_f32_e32 v68, v68, v78
	v_add_f32_e32 v68, v68, v80
	ds_bpermute_b32 v81, v81, v68
	v_cmpx_gt_u32_e32 16, v88
	s_cbranch_execz .LBB1582_11
; %bb.10:
	v_mul_u32_u24_e32 v88, 0x44, v66
	s_delay_alu instid0(VALU_DEP_1) | instskip(SKIP_1) | instid1(VALU_DEP_1)
	v_lshl_add_u32 v88, v65, 2, v88
	s_waitcnt lgkmcnt(0)
	v_dual_add_f32 v68, v68, v81 :: v_dual_add_nc_u32 v81, 0x4000, v88
	ds_store_2addr_b32 v81, v67, v68 offset1:136
.LBB1582_11:
	s_or_b32 exec_lo, exec_lo, s3
	v_lshlrev_b32_e32 v67, 2, v65
	s_waitcnt lgkmcnt(0)
	s_barrier
	buffer_gl0_inv
	v_cmp_eq_u32_e32 vcc_lo, 1, v66
	v_add_nc_u32_e32 v81, 0x4000, v67
	v_cmp_eq_u32_e64 s3, 2, v66
	v_cmp_eq_u32_e64 s5, 7, v66
	ds_load_2addr_b32 v[88:89], v81 offset1:17
	ds_load_2addr_b32 v[90:91], v81 offset0:34 offset1:51
	ds_load_2addr_b32 v[92:93], v81 offset0:68 offset1:85
	;; [unrolled: 1-line block ×4, first 2 shown]
	s_waitcnt lgkmcnt(4)
	v_max3_f32 v67, v88, 0xff7fffff, v89
	s_waitcnt lgkmcnt(3)
	s_delay_alu instid0(VALU_DEP_1) | instskip(SKIP_1) | instid1(VALU_DEP_1)
	v_max3_f32 v67, v67, v90, v91
	s_waitcnt lgkmcnt(2)
	v_max3_f32 v67, v67, v92, v93
	s_waitcnt lgkmcnt(1)
	s_delay_alu instid0(VALU_DEP_1) | instskip(NEXT) | instid1(VALU_DEP_1)
	v_max3_f32 v67, v67, v94, v95
	v_sub_f32_e32 v68, v88, v67
	v_sub_f32_e32 v90, v90, v67
	v_sub_f32_e32 v92, v92, v67
	s_delay_alu instid0(VALU_DEP_3) | instskip(NEXT) | instid1(VALU_DEP_3)
	v_mul_f32_e32 v68, 0x3fb8aa3b, v68
	v_mul_f32_e32 v100, 0x3fb8aa3b, v90
	s_delay_alu instid0(VALU_DEP_3) | instskip(NEXT) | instid1(VALU_DEP_3)
	v_mul_f32_e32 v102, 0x3fb8aa3b, v92
	v_exp_f32_e32 v99, v68
	v_sub_f32_e32 v68, v91, v67
	v_sub_f32_e32 v98, v89, v67
	v_exp_f32_e32 v100, v100
	s_delay_alu instid0(VALU_DEP_1)
	v_dual_mul_f32 v101, 0x3fb8aa3b, v68 :: v_dual_mul_f32 v98, 0x3fb8aa3b, v98
	s_waitcnt lgkmcnt(0)
	s_waitcnt_depctr 0xfff
	v_fma_f32 v68, v99, v96, 0
	v_sub_f32_e32 v96, v93, v67
	v_exp_f32_e32 v98, v98
	v_exp_f32_e32 v101, v101
	s_waitcnt_depctr 0xfff
	v_fmac_f32_e32 v68, v98, v97
	ds_load_2addr_b32 v[88:89], v81 offset0:170 offset1:187
	ds_load_2addr_b32 v[90:91], v81 offset0:204 offset1:221
	;; [unrolled: 1-line block ×3, first 2 shown]
	v_dual_sub_f32 v81, v94, v67 :: v_dual_mul_f32 v94, 0x3fb8aa3b, v96
	v_exp_f32_e32 v96, v102
	s_waitcnt lgkmcnt(0)
	s_barrier
	s_delay_alu instid0(VALU_DEP_1)
	v_mul_f32_e32 v81, 0x3fb8aa3b, v81
	v_exp_f32_e32 v94, v94
	buffer_gl0_inv
	v_exp_f32_e32 v81, v81
	v_fmac_f32_e32 v68, v100, v88
	v_sub_f32_e32 v88, v95, v67
	s_delay_alu instid0(VALU_DEP_2) | instskip(NEXT) | instid1(VALU_DEP_2)
	v_fmac_f32_e32 v68, v101, v89
	v_mul_f32_e32 v88, 0x3fb8aa3b, v88
	s_delay_alu instid0(VALU_DEP_2) | instskip(NEXT) | instid1(VALU_DEP_2)
	v_fmac_f32_e32 v68, v96, v90
	v_exp_f32_e32 v88, v88
	s_delay_alu instid0(VALU_DEP_1)
	v_fmac_f32_e32 v68, v94, v91
	s_delay_alu instid0(TRANS32_DEP_2) | instid1(VALU_DEP_1)
	v_fmac_f32_e32 v68, v81, v92
	s_waitcnt_depctr 0xfff
	v_fmac_f32_e32 v68, v88, v93
	s_delay_alu instid0(VALU_DEP_1) | instskip(NEXT) | instid1(VALU_DEP_1)
	v_add_f32_e32 v89, 0x358637bd, v68
	v_div_scale_f32 v90, null, v89, v89, 1.0
	v_div_scale_f32 v93, s4, 1.0, v89, 1.0
	s_delay_alu instid0(VALU_DEP_2) | instskip(SKIP_2) | instid1(VALU_DEP_1)
	v_rcp_f32_e32 v91, v90
	s_waitcnt_depctr 0xfff
	v_fma_f32 v92, -v90, v91, 1.0
	v_dual_fmac_f32 v91, v92, v91 :: v_dual_cndmask_b32 v92, v99, v98
	v_cmp_eq_u32_e32 vcc_lo, 3, v66
	s_delay_alu instid0(VALU_DEP_2) | instskip(NEXT) | instid1(VALU_DEP_3)
	v_mul_f32_e32 v95, v93, v91
	v_cndmask_b32_e64 v92, v92, v100, s3
	v_cmp_eq_u32_e64 s3, 4, v66
	s_delay_alu instid0(VALU_DEP_3) | instskip(NEXT) | instid1(VALU_DEP_3)
	v_fma_f32 v97, -v90, v95, v93
	v_cndmask_b32_e32 v92, v92, v101, vcc_lo
	v_cmp_eq_u32_e32 vcc_lo, 5, v66
	s_delay_alu instid0(VALU_DEP_3) | instskip(NEXT) | instid1(VALU_DEP_3)
	v_fmac_f32_e32 v95, v97, v91
	v_cndmask_b32_e64 v92, v92, v96, s3
	v_cmp_eq_u32_e64 s3, 6, v66
	s_delay_alu instid0(VALU_DEP_3) | instskip(NEXT) | instid1(VALU_DEP_3)
	v_fma_f32 v90, -v90, v95, v93
	v_cndmask_b32_e32 v92, v92, v94, vcc_lo
	s_mov_b32 vcc_lo, s4
	s_delay_alu instid0(VALU_DEP_2) | instskip(NEXT) | instid1(VALU_DEP_2)
	v_div_fmas_f32 v90, v90, v91, v95
	v_cndmask_b32_e64 v81, v92, v81, s3
	s_mov_b32 s3, exec_lo
	s_delay_alu instid0(VALU_DEP_2) | instskip(NEXT) | instid1(VALU_DEP_2)
	v_div_fixup_f32 v89, v90, v89, 1.0
	v_cndmask_b32_e64 v81, v81, v88, s5
	s_delay_alu instid0(VALU_DEP_1) | instskip(NEXT) | instid1(VALU_DEP_1)
	v_mul_f32_e32 v81, v81, v89
	v_mul_f32_e32 v83, v81, v83
	;; [unrolled: 1-line block ×7, first 2 shown]
	v_dual_mul_f32 v85, v81, v82 :: v_dual_and_b32 v90, 0x7f800000, v89
	v_mul_f32_e32 v84, v81, v75
                                        ; implicit-def: $vgpr75
	s_delay_alu instid0(VALU_DEP_2)
	v_cmpx_ne_u32_e32 0x7f800000, v90
	s_xor_b32 s3, exec_lo, s3
; %bb.12:
	v_bfe_u32 v75, v89, 16, 1
	s_delay_alu instid0(VALU_DEP_1)
	v_add3_u32 v75, v89, v75, 0x7fff
                                        ; implicit-def: $vgpr89
; %bb.13:
	s_and_not1_saveexec_b32 s3, s3
; %bb.14:
	v_and_b32_e32 v75, 0xffff, v89
	v_or_b32_e32 v82, 0x10000, v89
	s_delay_alu instid0(VALU_DEP_2) | instskip(NEXT) | instid1(VALU_DEP_2)
	v_cmp_eq_u32_e32 vcc_lo, 0, v75
	v_cndmask_b32_e32 v75, v82, v89, vcc_lo
; %bb.15:
	s_or_b32 exec_lo, exec_lo, s3
	v_and_b32_e32 v82, 0x7f800000, v84
	s_delay_alu instid0(VALU_DEP_1) | instskip(SKIP_1) | instid1(SALU_CYCLE_1)
	v_cmp_ne_u32_e32 vcc_lo, 0x7f800000, v82
                                        ; implicit-def: $vgpr82
	s_and_saveexec_b32 s3, vcc_lo
	s_xor_b32 s3, exec_lo, s3
; %bb.16:
	v_bfe_u32 v82, v84, 16, 1
	s_delay_alu instid0(VALU_DEP_1)
	v_add3_u32 v82, v84, v82, 0x7fff
                                        ; implicit-def: $vgpr84
; %bb.17:
	s_and_not1_saveexec_b32 s3, s3
; %bb.18:
	v_and_b32_e32 v82, 0xffff, v84
	v_or_b32_e32 v89, 0x10000, v84
	s_delay_alu instid0(VALU_DEP_2) | instskip(NEXT) | instid1(VALU_DEP_2)
	v_cmp_eq_u32_e32 vcc_lo, 0, v82
	v_cndmask_b32_e32 v82, v89, v84, vcc_lo
; %bb.19:
	s_or_b32 exec_lo, exec_lo, s3
	v_and_b32_e32 v84, 0x7f800000, v85
	s_delay_alu instid0(VALU_DEP_1) | instskip(SKIP_1) | instid1(SALU_CYCLE_1)
	v_cmp_ne_u32_e32 vcc_lo, 0x7f800000, v84
                                        ; implicit-def: $vgpr84
	s_and_saveexec_b32 s3, vcc_lo
	s_xor_b32 s3, exec_lo, s3
; %bb.20:
	v_bfe_u32 v84, v85, 16, 1
	s_delay_alu instid0(VALU_DEP_1)
	v_add3_u32 v84, v85, v84, 0x7fff
                                        ; implicit-def: $vgpr85
; %bb.21:
	s_and_not1_saveexec_b32 s3, s3
; %bb.22:
	v_and_b32_e32 v84, 0xffff, v85
	v_or_b32_e32 v89, 0x10000, v85
	s_delay_alu instid0(VALU_DEP_2) | instskip(NEXT) | instid1(VALU_DEP_2)
	v_cmp_eq_u32_e32 vcc_lo, 0, v84
	v_cndmask_b32_e32 v84, v89, v85, vcc_lo
; %bb.23:
	s_or_b32 exec_lo, exec_lo, s3
	v_and_b32_e32 v85, 0x7f800000, v88
	s_delay_alu instid0(VALU_DEP_1) | instskip(SKIP_1) | instid1(SALU_CYCLE_1)
	v_cmp_ne_u32_e32 vcc_lo, 0x7f800000, v85
                                        ; implicit-def: $vgpr85
	s_and_saveexec_b32 s3, vcc_lo
	s_xor_b32 s3, exec_lo, s3
; %bb.24:
	v_bfe_u32 v85, v88, 16, 1
	s_delay_alu instid0(VALU_DEP_1)
	v_add3_u32 v85, v88, v85, 0x7fff
                                        ; implicit-def: $vgpr88
; %bb.25:
	s_and_not1_saveexec_b32 s3, s3
; %bb.26:
	v_and_b32_e32 v85, 0xffff, v88
	v_or_b32_e32 v89, 0x10000, v88
	s_delay_alu instid0(VALU_DEP_2) | instskip(NEXT) | instid1(VALU_DEP_2)
	v_cmp_eq_u32_e32 vcc_lo, 0, v85
	v_cndmask_b32_e32 v85, v89, v88, vcc_lo
; %bb.27:
	s_or_b32 exec_lo, exec_lo, s3
	v_and_b32_e32 v88, 0x7f800000, v87
	s_delay_alu instid0(VALU_DEP_1) | instskip(SKIP_1) | instid1(SALU_CYCLE_1)
	v_cmp_ne_u32_e32 vcc_lo, 0x7f800000, v88
                                        ; implicit-def: $vgpr88
	s_and_saveexec_b32 s3, vcc_lo
	s_xor_b32 s3, exec_lo, s3
; %bb.28:
	v_bfe_u32 v88, v87, 16, 1
	s_delay_alu instid0(VALU_DEP_1)
	v_add3_u32 v88, v87, v88, 0x7fff
                                        ; implicit-def: $vgpr87
; %bb.29:
	s_and_not1_saveexec_b32 s3, s3
; %bb.30:
	v_and_b32_e32 v88, 0xffff, v87
	v_or_b32_e32 v89, 0x10000, v87
	s_delay_alu instid0(VALU_DEP_2) | instskip(NEXT) | instid1(VALU_DEP_2)
	v_cmp_eq_u32_e32 vcc_lo, 0, v88
	v_cndmask_b32_e32 v88, v89, v87, vcc_lo
; %bb.31:
	s_or_b32 exec_lo, exec_lo, s3
	v_and_b32_e32 v87, 0x7f800000, v86
	s_delay_alu instid0(VALU_DEP_1) | instskip(SKIP_1) | instid1(SALU_CYCLE_1)
	v_cmp_ne_u32_e32 vcc_lo, 0x7f800000, v87
                                        ; implicit-def: $vgpr87
	s_and_saveexec_b32 s3, vcc_lo
	s_xor_b32 s3, exec_lo, s3
; %bb.32:
	v_bfe_u32 v87, v86, 16, 1
	s_delay_alu instid0(VALU_DEP_1)
	v_add3_u32 v87, v86, v87, 0x7fff
                                        ; implicit-def: $vgpr86
; %bb.33:
	s_and_not1_saveexec_b32 s3, s3
; %bb.34:
	v_and_b32_e32 v87, 0xffff, v86
	v_or_b32_e32 v89, 0x10000, v86
	s_delay_alu instid0(VALU_DEP_2) | instskip(NEXT) | instid1(VALU_DEP_2)
	v_cmp_eq_u32_e32 vcc_lo, 0, v87
	v_cndmask_b32_e32 v87, v89, v86, vcc_lo
; %bb.35:
	s_or_b32 exec_lo, exec_lo, s3
	v_and_b32_e32 v86, 0x7f800000, v83
	s_delay_alu instid0(VALU_DEP_1) | instskip(SKIP_1) | instid1(SALU_CYCLE_1)
	v_cmp_ne_u32_e32 vcc_lo, 0x7f800000, v86
                                        ; implicit-def: $vgpr86
	s_and_saveexec_b32 s3, vcc_lo
	s_xor_b32 s3, exec_lo, s3
; %bb.36:
	v_bfe_u32 v86, v83, 16, 1
	s_delay_alu instid0(VALU_DEP_1)
	v_add3_u32 v86, v83, v86, 0x7fff
                                        ; implicit-def: $vgpr83
; %bb.37:
	s_and_not1_saveexec_b32 s3, s3
; %bb.38:
	v_and_b32_e32 v86, 0xffff, v83
	v_or_b32_e32 v89, 0x10000, v83
	s_delay_alu instid0(VALU_DEP_2) | instskip(NEXT) | instid1(VALU_DEP_2)
	v_cmp_eq_u32_e32 vcc_lo, 0, v86
	v_cndmask_b32_e32 v86, v89, v83, vcc_lo
; %bb.39:
	s_or_b32 exec_lo, exec_lo, s3
	v_and_b32_e32 v83, 0x7f800000, v79
	s_delay_alu instid0(VALU_DEP_1) | instskip(SKIP_1) | instid1(SALU_CYCLE_1)
	v_cmp_ne_u32_e32 vcc_lo, 0x7f800000, v83
                                        ; implicit-def: $vgpr83
	s_and_saveexec_b32 s3, vcc_lo
	s_xor_b32 s3, exec_lo, s3
; %bb.40:
	v_bfe_u32 v83, v79, 16, 1
	s_delay_alu instid0(VALU_DEP_1)
	v_add3_u32 v83, v79, v83, 0x7fff
                                        ; implicit-def: $vgpr79
; %bb.41:
	s_and_not1_saveexec_b32 s3, s3
; %bb.42:
	v_and_b32_e32 v83, 0xffff, v79
	v_or_b32_e32 v89, 0x10000, v79
	s_delay_alu instid0(VALU_DEP_2) | instskip(NEXT) | instid1(VALU_DEP_2)
	v_cmp_eq_u32_e32 vcc_lo, 0, v83
	v_cndmask_b32_e32 v83, v89, v79, vcc_lo
; %bb.43:
	s_or_b32 exec_lo, exec_lo, s3
	s_load_b64 s[36:37], s[0:1], 0x94
	v_lshlrev_b32_e32 v90, 4, v74
	s_delay_alu instid0(VALU_DEP_2)
	v_perm_b32 v89, v83, v86, 0x7060302
	v_lshlrev_b32_e32 v79, 6, v65
	v_dual_mul_f32 v76, v81, v76 :: v_dual_lshlrev_b32 v65, 11, v66
	v_perm_b32 v86, v82, v75, 0x7060302
	v_mul_f32_e32 v82, v81, v70
	v_perm_b32 v88, v87, v88, 0x7060302
	v_perm_b32 v87, v85, v84, 0x7060302
	v_or3_b32 v75, v90, v65, v79
	v_mul_f32_e32 v65, v81, v80
	v_mul_f32_e32 v70, v81, v78
	v_mul_f32_e32 v77, v81, v77
	v_dual_mul_f32 v80, v81, v72 :: v_dual_and_b32 v83, 0x7f800000, v82
	v_mul_f32_e32 v78, v81, v71
	v_mul_f32_e32 v72, v81, v69
	s_mov_b32 s3, exec_lo
	ds_store_b128 v75, v[86:89]
                                        ; implicit-def: $vgpr69
	v_cmpx_ne_u32_e32 0x7f800000, v83
	s_xor_b32 s3, exec_lo, s3
; %bb.44:
	v_bfe_u32 v69, v82, 16, 1
	s_delay_alu instid0(VALU_DEP_1)
	v_add3_u32 v69, v82, v69, 0x7fff
                                        ; implicit-def: $vgpr82
; %bb.45:
	s_and_not1_saveexec_b32 s3, s3
; %bb.46:
	v_and_b32_e32 v69, 0xffff, v82
	v_or_b32_e32 v71, 0x10000, v82
	s_delay_alu instid0(VALU_DEP_2) | instskip(NEXT) | instid1(VALU_DEP_2)
	v_cmp_eq_u32_e32 vcc_lo, 0, v69
	v_cndmask_b32_e32 v69, v71, v82, vcc_lo
; %bb.47:
	s_or_b32 exec_lo, exec_lo, s3
	v_and_b32_e32 v71, 0x7f800000, v72
	s_delay_alu instid0(VALU_DEP_1) | instskip(SKIP_1) | instid1(SALU_CYCLE_1)
	v_cmp_ne_u32_e32 vcc_lo, 0x7f800000, v71
                                        ; implicit-def: $vgpr71
	s_and_saveexec_b32 s3, vcc_lo
	s_xor_b32 s3, exec_lo, s3
; %bb.48:
	v_bfe_u32 v71, v72, 16, 1
	s_delay_alu instid0(VALU_DEP_1)
	v_add3_u32 v71, v72, v71, 0x7fff
                                        ; implicit-def: $vgpr72
; %bb.49:
	s_and_not1_saveexec_b32 s3, s3
; %bb.50:
	v_and_b32_e32 v71, 0xffff, v72
	v_or_b32_e32 v81, 0x10000, v72
	s_delay_alu instid0(VALU_DEP_2) | instskip(NEXT) | instid1(VALU_DEP_2)
	v_cmp_eq_u32_e32 vcc_lo, 0, v71
	v_cndmask_b32_e32 v71, v81, v72, vcc_lo
; %bb.51:
	s_or_b32 exec_lo, exec_lo, s3
	v_and_b32_e32 v72, 0x7f800000, v78
	s_delay_alu instid0(VALU_DEP_1) | instskip(SKIP_1) | instid1(SALU_CYCLE_1)
	v_cmp_ne_u32_e32 vcc_lo, 0x7f800000, v72
                                        ; implicit-def: $vgpr72
	s_and_saveexec_b32 s3, vcc_lo
	s_xor_b32 s3, exec_lo, s3
; %bb.52:
	v_bfe_u32 v72, v78, 16, 1
	s_delay_alu instid0(VALU_DEP_1)
	v_add3_u32 v72, v78, v72, 0x7fff
                                        ; implicit-def: $vgpr78
; %bb.53:
	s_and_not1_saveexec_b32 s3, s3
; %bb.54:
	v_and_b32_e32 v72, 0xffff, v78
	v_or_b32_e32 v81, 0x10000, v78
	s_delay_alu instid0(VALU_DEP_2) | instskip(NEXT) | instid1(VALU_DEP_2)
	v_cmp_eq_u32_e32 vcc_lo, 0, v72
	v_cndmask_b32_e32 v72, v81, v78, vcc_lo
; %bb.55:
	s_or_b32 exec_lo, exec_lo, s3
	v_and_b32_e32 v78, 0x7f800000, v80
	s_delay_alu instid0(VALU_DEP_1) | instskip(SKIP_1) | instid1(SALU_CYCLE_1)
	v_cmp_ne_u32_e32 vcc_lo, 0x7f800000, v78
                                        ; implicit-def: $vgpr78
	s_and_saveexec_b32 s3, vcc_lo
	s_xor_b32 s3, exec_lo, s3
; %bb.56:
	v_bfe_u32 v78, v80, 16, 1
	s_delay_alu instid0(VALU_DEP_1)
	v_add3_u32 v78, v80, v78, 0x7fff
                                        ; implicit-def: $vgpr80
; %bb.57:
	s_and_not1_saveexec_b32 s3, s3
; %bb.58:
	v_and_b32_e32 v78, 0xffff, v80
	v_or_b32_e32 v81, 0x10000, v80
	s_delay_alu instid0(VALU_DEP_2) | instskip(NEXT) | instid1(VALU_DEP_2)
	v_cmp_eq_u32_e32 vcc_lo, 0, v78
	v_cndmask_b32_e32 v78, v81, v80, vcc_lo
; %bb.59:
	s_or_b32 exec_lo, exec_lo, s3
	v_and_b32_e32 v80, 0x7f800000, v76
	s_delay_alu instid0(VALU_DEP_1) | instskip(SKIP_1) | instid1(SALU_CYCLE_1)
	v_cmp_ne_u32_e32 vcc_lo, 0x7f800000, v80
                                        ; implicit-def: $vgpr80
	s_and_saveexec_b32 s3, vcc_lo
	s_xor_b32 s3, exec_lo, s3
; %bb.60:
	v_bfe_u32 v80, v76, 16, 1
	s_delay_alu instid0(VALU_DEP_1)
	v_add3_u32 v80, v76, v80, 0x7fff
                                        ; implicit-def: $vgpr76
; %bb.61:
	s_and_not1_saveexec_b32 s3, s3
; %bb.62:
	v_and_b32_e32 v80, 0xffff, v76
	v_or_b32_e32 v81, 0x10000, v76
	s_delay_alu instid0(VALU_DEP_2) | instskip(NEXT) | instid1(VALU_DEP_2)
	v_cmp_eq_u32_e32 vcc_lo, 0, v80
	v_cndmask_b32_e32 v80, v81, v76, vcc_lo
; %bb.63:
	s_or_b32 exec_lo, exec_lo, s3
	v_and_b32_e32 v76, 0x7f800000, v77
	s_delay_alu instid0(VALU_DEP_1) | instskip(SKIP_1) | instid1(SALU_CYCLE_1)
	v_cmp_ne_u32_e32 vcc_lo, 0x7f800000, v76
                                        ; implicit-def: $vgpr76
	s_and_saveexec_b32 s3, vcc_lo
	s_xor_b32 s3, exec_lo, s3
; %bb.64:
	v_bfe_u32 v76, v77, 16, 1
	s_delay_alu instid0(VALU_DEP_1)
	v_add3_u32 v76, v77, v76, 0x7fff
                                        ; implicit-def: $vgpr77
; %bb.65:
	s_and_not1_saveexec_b32 s3, s3
; %bb.66:
	v_and_b32_e32 v76, 0xffff, v77
	v_or_b32_e32 v81, 0x10000, v77
	s_delay_alu instid0(VALU_DEP_2) | instskip(NEXT) | instid1(VALU_DEP_2)
	v_cmp_eq_u32_e32 vcc_lo, 0, v76
	v_cndmask_b32_e32 v76, v81, v77, vcc_lo
; %bb.67:
	s_or_b32 exec_lo, exec_lo, s3
	v_and_b32_e32 v77, 0x7f800000, v70
	s_delay_alu instid0(VALU_DEP_1) | instskip(SKIP_1) | instid1(SALU_CYCLE_1)
	v_cmp_ne_u32_e32 vcc_lo, 0x7f800000, v77
                                        ; implicit-def: $vgpr77
	s_and_saveexec_b32 s3, vcc_lo
	s_xor_b32 s3, exec_lo, s3
; %bb.68:
	v_bfe_u32 v77, v70, 16, 1
	s_delay_alu instid0(VALU_DEP_1)
	v_add3_u32 v77, v70, v77, 0x7fff
                                        ; implicit-def: $vgpr70
; %bb.69:
	s_and_not1_saveexec_b32 s3, s3
; %bb.70:
	v_and_b32_e32 v77, 0xffff, v70
	v_or_b32_e32 v81, 0x10000, v70
	s_delay_alu instid0(VALU_DEP_2) | instskip(NEXT) | instid1(VALU_DEP_2)
	v_cmp_eq_u32_e32 vcc_lo, 0, v77
	v_cndmask_b32_e32 v77, v81, v70, vcc_lo
; %bb.71:
	s_or_b32 exec_lo, exec_lo, s3
	v_and_b32_e32 v70, 0x7f800000, v65
	s_delay_alu instid0(VALU_DEP_1) | instskip(SKIP_1) | instid1(SALU_CYCLE_1)
	v_cmp_ne_u32_e32 vcc_lo, 0x7f800000, v70
                                        ; implicit-def: $vgpr70
	s_and_saveexec_b32 s3, vcc_lo
	s_xor_b32 s3, exec_lo, s3
; %bb.72:
	v_bfe_u32 v70, v65, 16, 1
	s_delay_alu instid0(VALU_DEP_1)
	v_add3_u32 v70, v65, v70, 0x7fff
                                        ; implicit-def: $vgpr65
; %bb.73:
	s_and_not1_saveexec_b32 s3, s3
; %bb.74:
	v_and_b32_e32 v70, 0xffff, v65
	v_or_b32_e32 v81, 0x10000, v65
	s_delay_alu instid0(VALU_DEP_2) | instskip(NEXT) | instid1(VALU_DEP_2)
	v_cmp_eq_u32_e32 vcc_lo, 0, v70
	v_cndmask_b32_e32 v70, v81, v65, vcc_lo
; %bb.75:
	s_or_b32 exec_lo, exec_lo, s3
	s_delay_alu instid0(VALU_DEP_1)
	v_perm_b32 v85, v70, v77, 0x7060302
	v_perm_b32 v84, v76, v80, 0x7060302
	;; [unrolled: 1-line block ×4, first 2 shown]
	v_lshl_or_b32 v81, v66, 11, v79
	ds_store_b128 v75, v[82:85] offset:1024
	s_waitcnt lgkmcnt(0)
	s_barrier
	buffer_gl0_inv
	ds_load_b128 v[69:72], v81
	ds_load_b128 v[82:85], v81 offset:16
	s_waitcnt lgkmcnt(1)
	v_lshrrev_b32_e32 v65, 16, v69
	v_lshlrev_b32_e32 v77, 2, v74
	v_lshrrev_b32_e32 v66, 16, v70
	s_waitcnt lgkmcnt(0)
	v_lshrrev_b32_e32 v90, 16, v82
	v_lshrrev_b32_e32 v94, 16, v71
	;; [unrolled: 1-line block ×3, first 2 shown]
	v_cmp_eq_u32_e32 vcc_lo, 1, v77
	v_lshrrev_b32_e32 v95, 16, v72
	v_lshrrev_b32_e32 v97, 16, v84
	;; [unrolled: 1-line block ×3, first 2 shown]
	v_cndmask_b32_e32 v80, v69, v65, vcc_lo
	v_or_b32_e32 v78, 1, v77
	v_cmp_eq_u32_e64 s4, 2, v77
	v_cmp_eq_u32_e64 s7, 3, v77
	;; [unrolled: 1-line block ×3, first 2 shown]
	v_or_b32_e32 v76, 2, v77
	v_cmp_eq_u32_e64 s3, 1, v78
	v_cndmask_b32_e64 v80, v80, v70, s4
	v_cmp_eq_u32_e64 s6, 2, v78
	v_cmp_eq_u32_e64 s8, 3, v78
	;; [unrolled: 1-line block ×3, first 2 shown]
	v_cndmask_b32_e64 v87, v69, v65, s3
	v_cndmask_b32_e64 v80, v80, v66, s7
	;; [unrolled: 1-line block ×3, first 2 shown]
	v_cmp_eq_u32_e64 s11, 4, v78
	v_cmp_eq_u32_e64 s5, 1, v76
	v_cndmask_b32_e64 v87, v87, v70, s6
	v_cndmask_b32_e64 v80, v80, v71, s9
	;; [unrolled: 1-line block ×3, first 2 shown]
	v_cmp_eq_u32_e64 s12, 6, v77
	v_cmp_eq_u32_e64 s13, 5, v78
	v_cndmask_b32_e64 v87, v87, v66, s8
	v_cndmask_b32_e64 v80, v80, v94, s10
	;; [unrolled: 1-line block ×4, first 2 shown]
	v_cmp_eq_u32_e64 s16, 7, v77
	v_cndmask_b32_e64 v87, v87, v71, s11
	v_cndmask_b32_e64 v80, v80, v72, s12
	v_cmp_eq_u32_e64 s17, 6, v78
	v_cmp_eq_u32_e64 s18, 2, v76
	v_cndmask_b32_e64 v88, v88, v84, s11
	v_cndmask_b32_e64 v87, v87, v94, s13
	;; [unrolled: 1-line block ×3, first 2 shown]
	v_cmp_eq_u32_e64 s19, 7, v78
	v_cndmask_b32_e64 v80, v89, v70, s18
	v_cmp_eq_u32_e64 s20, 3, v76
	v_cndmask_b32_e64 v87, v87, v72, s17
	v_cmp_eq_u32_e64 s21, 4, v76
	v_cmp_eq_u32_e64 s23, 5, v76
	;; [unrolled: 1-line block ×4, first 2 shown]
	v_cndmask_b32_e64 v101, v87, v95, s19
	v_cndmask_b32_e64 v87, v88, v97, s13
	;; [unrolled: 1-line block ×3, first 2 shown]
	v_or_b32_e32 v80, 3, v77
	s_delay_alu instid0(VALU_DEP_3) | instskip(NEXT) | instid1(VALU_DEP_3)
	v_cndmask_b32_e64 v102, v87, v85, s17
	v_cndmask_b32_e64 v91, v88, v71, s21
	s_delay_alu instid0(VALU_DEP_3)
	v_cmp_eq_u32_e64 s22, 1, v80
	v_cmp_eq_u32_e64 s24, 2, v80
	;; [unrolled: 1-line block ×5, first 2 shown]
	v_cndmask_b32_e64 v65, v69, v65, s22
	v_cmp_eq_u32_e64 s30, 6, v80
	v_cndmask_b32_e64 v103, v91, v94, s23
	s_delay_alu instid0(VALU_DEP_3) | instskip(NEXT) | instid1(VALU_DEP_1)
	v_cndmask_b32_e64 v65, v65, v70, s24
	v_cndmask_b32_e64 v65, v65, v66, s26
	s_delay_alu instid0(VALU_DEP_3) | instskip(NEXT) | instid1(VALU_DEP_2)
	v_cndmask_b32_e64 v66, v103, v72, s25
	v_cndmask_b32_e64 v65, v65, v71, s27
	s_delay_alu instid0(VALU_DEP_2) | instskip(NEXT) | instid1(VALU_DEP_2)
	v_cndmask_b32_e64 v66, v66, v95, s28
	v_cndmask_b32_e64 v65, v65, v94, s29
	s_delay_alu instid0(VALU_DEP_1) | instskip(SKIP_1) | instid1(VALU_DEP_1)
	v_cndmask_b32_e64 v65, v65, v72, s30
	v_cndmask_b32_e32 v86, v82, v90, vcc_lo
	v_cndmask_b32_e64 v86, v86, v83, s4
	s_delay_alu instid0(VALU_DEP_1) | instskip(NEXT) | instid1(VALU_DEP_1)
	v_cndmask_b32_e64 v86, v86, v96, s7
	v_cndmask_b32_e64 v86, v86, v84, s9
	s_delay_alu instid0(VALU_DEP_1) | instskip(NEXT) | instid1(VALU_DEP_1)
	v_cndmask_b32_e64 v86, v86, v97, s10
	v_cndmask_b32_e64 v86, v86, v85, s12
	s_delay_alu instid0(VALU_DEP_1) | instskip(SKIP_2) | instid1(VALU_DEP_2)
	v_cndmask_b32_e64 v100, v86, v98, s16
	v_cndmask_b32_e64 v86, v82, v90, s5
	;; [unrolled: 1-line block ×4, first 2 shown]
	s_delay_alu instid0(VALU_DEP_2) | instskip(SKIP_1) | instid1(VALU_DEP_3)
	v_cndmask_b32_e64 v70, v82, v83, s24
	v_cndmask_b32_e64 v82, v102, v98, s19
	v_cndmask_b32_e64 v92, v86, v96, s20
	ds_load_b128 v[86:89], v81 offset:1024
	v_cndmask_b32_e64 v70, v70, v96, s26
	v_cndmask_b32_e64 v69, v92, v84, s21
	ds_load_b128 v[90:93], v81 offset:1040
	v_cndmask_b32_e64 v70, v70, v84, s27
	v_cndmask_b32_e64 v69, v69, v97, s23
	s_delay_alu instid0(VALU_DEP_2) | instskip(NEXT) | instid1(VALU_DEP_2)
	v_cndmask_b32_e64 v70, v70, v97, s29
	v_cndmask_b32_e64 v69, v69, v85, s25
	s_delay_alu instid0(VALU_DEP_2) | instskip(NEXT) | instid1(VALU_DEP_2)
	v_cndmask_b32_e64 v70, v70, v85, s30
	v_cndmask_b32_e64 v69, v69, v98, s28
	s_waitcnt lgkmcnt(1)
	v_lshrrev_b32_e32 v83, 16, v86
	v_lshrrev_b32_e32 v94, 16, v87
	;; [unrolled: 1-line block ×3, first 2 shown]
	s_delay_alu instid0(VALU_DEP_3) | instskip(SKIP_3) | instid1(VALU_DEP_3)
	v_cndmask_b32_e32 v71, v86, v83, vcc_lo
	s_waitcnt lgkmcnt(0)
	v_lshrrev_b32_e32 v84, 16, v90
	v_cndmask_b32_e64 v96, v86, v83, s3
	v_cndmask_b32_e64 v71, v71, v87, s4
	s_delay_alu instid0(VALU_DEP_3) | instskip(NEXT) | instid1(VALU_DEP_3)
	v_cndmask_b32_e32 v97, v90, v84, vcc_lo
	v_cndmask_b32_e64 v72, v96, v87, s6
	v_lshrrev_b32_e32 v96, 16, v91
	v_cmp_eq_u32_e32 vcc_lo, 7, v80
	v_cndmask_b32_e64 v71, v71, v94, s7
	v_cndmask_b32_e64 v85, v97, v91, s4
	;; [unrolled: 1-line block ×3, first 2 shown]
	v_lshrrev_b32_e32 v97, 16, v88
	v_cndmask_b32_e32 v65, v65, v95, vcc_lo
	v_cndmask_b32_e64 v71, v71, v88, s9
	v_cndmask_b32_e64 v85, v85, v96, s7
	v_cndmask_b32_e32 v70, v70, v98, vcc_lo
	v_cndmask_b32_e64 v95, v72, v88, s11
	v_lshrrev_b32_e32 v98, 16, v92
	v_cndmask_b32_e64 v71, v71, v97, s10
	v_cndmask_b32_e64 v85, v85, v92, s9
	v_perm_b32 v72, v70, v65, 0x5040100
	v_cndmask_b32_e64 v65, v95, v97, s13
	v_perm_b32 v70, v82, v101, 0x5040100
	v_cndmask_b32_e64 v95, v71, v89, s12
	v_cndmask_b32_e64 v85, v85, v98, s10
	v_perm_b32 v71, v69, v66, 0x5040100
	v_cndmask_b32_e64 v65, v65, v89, s17
	v_lshrrev_b32_e32 v82, 16, v93
	v_cndmask_b32_e64 v66, v95, v102, s16
	v_cndmask_b32_e64 v69, v85, v93, s12
	;; [unrolled: 1-line block ×34, first 2 shown]
	v_cndmask_b32_e32 v83, v83, v102, vcc_lo
	v_cndmask_b32_e32 v85, v86, v82, vcc_lo
	v_cndmask_b32_e64 v86, v87, v82, s28
	v_cndmask_b32_e64 v87, v84, v82, s19
	;; [unrolled: 1-line block ×3, first 2 shown]
	v_perm_b32 v69, v100, v99, 0x5040100
	v_perm_b32 v85, v85, v83, 0x5040100
	;; [unrolled: 1-line block ×5, first 2 shown]
	s_mov_b32 s3, exec_lo
	ds_store_b128 v75, v[69:72]
	ds_store_b128 v75, v[82:85] offset:1024
	v_cmpx_eq_u32_e32 0, v0
	s_cbranch_execz .LBB1582_77
; %bb.76:
	s_load_b128 s[4:7], s[0:1], 0x58
	s_mul_i32 s8, s37, s34
	v_mov_b32_e32 v65, 0
	s_add_i32 s8, s8, s15
	s_delay_alu instid0(SALU_CYCLE_1) | instskip(NEXT) | instid1(SALU_CYCLE_1)
	s_mul_i32 s8, s8, s36
	s_add_i32 s8, s8, s14
	s_delay_alu instid0(SALU_CYCLE_1) | instskip(NEXT) | instid1(SALU_CYCLE_1)
	s_ashr_i32 s9, s8, 31
	s_lshl_b64 s[8:9], s[8:9], 2
	s_waitcnt lgkmcnt(0)
	s_add_u32 s6, s6, s8
	s_addc_u32 s7, s7, s9
	s_add_u32 s4, s4, s8
	s_addc_u32 s5, s5, s9
	s_clause 0x1
	global_store_b32 v65, v67, s[6:7]
	global_store_b32 v65, v68, s[4:5]
.LBB1582_77:
	s_or_b32 exec_lo, exec_lo, s3
	s_waitcnt lgkmcnt(0)
	s_waitcnt_vscnt null, 0x0
	s_barrier
	buffer_gl0_inv
	ds_load_b128 v[82:85], v79
	ds_load_b128 v[86:89], v79 offset:16
	ds_load_b128 v[94:97], v79 offset:2064
	;; [unrolled: 1-line block ×3, first 2 shown]
	v_mov_b32_e32 v65, 0
	ds_load_b128 v[102:105], v79 offset:4112
	ds_load_b128 v[98:101], v79 offset:4096
	;; [unrolled: 1-line block ×4, first 2 shown]
	v_mov_b32_e32 v66, v65
	v_mov_b32_e32 v67, v65
	;; [unrolled: 1-line block ×7, first 2 shown]
	s_waitcnt lgkmcnt(6)
	s_delay_alu instid0(VALU_DEP_1)
	v_wmma_f32_16x16x16_bf16 v[65:72], v[49:56], v[82:89], v[65:72]
	ds_load_b128 v[53:56], v79 offset:8208
	ds_load_b128 v[49:52], v79 offset:8192
	s_waitcnt lgkmcnt(6)
	v_wmma_f32_16x16x16_bf16 v[65:72], v[41:48], v[90:97], v[65:72]
	ds_load_b128 v[45:48], v79 offset:10256
	ds_load_b128 v[41:44], v79 offset:10240
	s_waitcnt lgkmcnt(6)
	;; [unrolled: 4-line block ×4, first 2 shown]
	v_wmma_f32_16x16x16_bf16 v[65:72], v[1:8], v[49:56], v[65:72]
	s_waitcnt lgkmcnt(4)
	s_delay_alu instid0(VALU_DEP_1) | instskip(SKIP_1) | instid1(VALU_DEP_1)
	v_wmma_f32_16x16x16_bf16 v[65:72], v[9:16], v[41:48], v[65:72]
	s_waitcnt lgkmcnt(2)
	v_wmma_f32_16x16x16_bf16 v[65:72], v[17:24], v[33:40], v[65:72]
	s_waitcnt lgkmcnt(0)
	s_delay_alu instid0(VALU_DEP_1) | instskip(NEXT) | instid1(VALU_DEP_1)
	v_wmma_f32_16x16x16_bf16 v[65:72], v[57:64], v[25:32], v[65:72]
	v_and_b32_e32 v1, 0x7f800000, v65
	s_delay_alu instid0(VALU_DEP_1) | instskip(SKIP_1) | instid1(SALU_CYCLE_1)
	v_cmp_ne_u32_e32 vcc_lo, 0x7f800000, v1
                                        ; implicit-def: $vgpr1
	s_and_saveexec_b32 s3, vcc_lo
	s_xor_b32 s3, exec_lo, s3
; %bb.78:
	v_bfe_u32 v1, v65, 16, 1
	s_delay_alu instid0(VALU_DEP_1)
	v_add3_u32 v1, v65, v1, 0x7fff
; %bb.79:
	s_and_not1_saveexec_b32 s3, s3
; %bb.80:
	v_and_b32_e32 v1, 0xffff, v65
	v_or_b32_e32 v2, 0x10000, v65
	s_delay_alu instid0(VALU_DEP_2) | instskip(NEXT) | instid1(VALU_DEP_2)
	v_cmp_eq_u32_e32 vcc_lo, 0, v1
	v_cndmask_b32_e32 v1, v2, v65, vcc_lo
; %bb.81:
	s_or_b32 exec_lo, exec_lo, s3
	v_and_b32_e32 v2, 0x7f800000, v66
	s_delay_alu instid0(VALU_DEP_1) | instskip(SKIP_1) | instid1(SALU_CYCLE_1)
	v_cmp_ne_u32_e32 vcc_lo, 0x7f800000, v2
                                        ; implicit-def: $vgpr2
	s_and_saveexec_b32 s3, vcc_lo
	s_xor_b32 s3, exec_lo, s3
; %bb.82:
	v_bfe_u32 v2, v66, 16, 1
	s_delay_alu instid0(VALU_DEP_1)
	v_add3_u32 v2, v66, v2, 0x7fff
; %bb.83:
	s_and_not1_saveexec_b32 s3, s3
; %bb.84:
	v_and_b32_e32 v2, 0xffff, v66
	v_or_b32_e32 v3, 0x10000, v66
	s_delay_alu instid0(VALU_DEP_2) | instskip(NEXT) | instid1(VALU_DEP_2)
	v_cmp_eq_u32_e32 vcc_lo, 0, v2
	v_cndmask_b32_e32 v2, v3, v66, vcc_lo
; %bb.85:
	s_or_b32 exec_lo, exec_lo, s3
	v_and_b32_e32 v3, 0x7f800000, v67
	s_delay_alu instid0(VALU_DEP_1) | instskip(SKIP_1) | instid1(SALU_CYCLE_1)
	v_cmp_ne_u32_e32 vcc_lo, 0x7f800000, v3
                                        ; implicit-def: $vgpr3
	s_and_saveexec_b32 s3, vcc_lo
	s_xor_b32 s3, exec_lo, s3
; %bb.86:
	v_bfe_u32 v3, v67, 16, 1
	s_delay_alu instid0(VALU_DEP_1)
	v_add3_u32 v3, v67, v3, 0x7fff
; %bb.87:
	s_and_not1_saveexec_b32 s3, s3
; %bb.88:
	v_and_b32_e32 v3, 0xffff, v67
	v_or_b32_e32 v4, 0x10000, v67
	s_delay_alu instid0(VALU_DEP_2) | instskip(NEXT) | instid1(VALU_DEP_2)
	v_cmp_eq_u32_e32 vcc_lo, 0, v3
	v_cndmask_b32_e32 v3, v4, v67, vcc_lo
; %bb.89:
	s_or_b32 exec_lo, exec_lo, s3
	v_and_b32_e32 v4, 0x7f800000, v68
	s_delay_alu instid0(VALU_DEP_1) | instskip(SKIP_1) | instid1(SALU_CYCLE_1)
	v_cmp_ne_u32_e32 vcc_lo, 0x7f800000, v4
                                        ; implicit-def: $vgpr4
	s_and_saveexec_b32 s3, vcc_lo
	s_xor_b32 s3, exec_lo, s3
; %bb.90:
	v_bfe_u32 v4, v68, 16, 1
	s_delay_alu instid0(VALU_DEP_1)
	v_add3_u32 v4, v68, v4, 0x7fff
; %bb.91:
	s_and_not1_saveexec_b32 s3, s3
; %bb.92:
	v_and_b32_e32 v4, 0xffff, v68
	v_or_b32_e32 v5, 0x10000, v68
	s_delay_alu instid0(VALU_DEP_2) | instskip(NEXT) | instid1(VALU_DEP_2)
	v_cmp_eq_u32_e32 vcc_lo, 0, v4
	v_cndmask_b32_e32 v4, v5, v68, vcc_lo
; %bb.93:
	s_or_b32 exec_lo, exec_lo, s3
	v_and_b32_e32 v5, 0x7f800000, v69
	s_delay_alu instid0(VALU_DEP_1) | instskip(SKIP_1) | instid1(SALU_CYCLE_1)
	v_cmp_ne_u32_e32 vcc_lo, 0x7f800000, v5
                                        ; implicit-def: $vgpr5
	s_and_saveexec_b32 s3, vcc_lo
	s_xor_b32 s3, exec_lo, s3
; %bb.94:
	v_bfe_u32 v5, v69, 16, 1
	s_delay_alu instid0(VALU_DEP_1)
	v_add3_u32 v5, v69, v5, 0x7fff
; %bb.95:
	s_and_not1_saveexec_b32 s3, s3
; %bb.96:
	v_and_b32_e32 v5, 0xffff, v69
	v_or_b32_e32 v6, 0x10000, v69
	s_delay_alu instid0(VALU_DEP_2) | instskip(NEXT) | instid1(VALU_DEP_2)
	v_cmp_eq_u32_e32 vcc_lo, 0, v5
	v_cndmask_b32_e32 v5, v6, v69, vcc_lo
; %bb.97:
	s_or_b32 exec_lo, exec_lo, s3
	v_and_b32_e32 v6, 0x7f800000, v70
	s_delay_alu instid0(VALU_DEP_1) | instskip(SKIP_1) | instid1(SALU_CYCLE_1)
	v_cmp_ne_u32_e32 vcc_lo, 0x7f800000, v6
                                        ; implicit-def: $vgpr6
	s_and_saveexec_b32 s3, vcc_lo
	s_xor_b32 s3, exec_lo, s3
; %bb.98:
	v_bfe_u32 v6, v70, 16, 1
	s_delay_alu instid0(VALU_DEP_1)
	v_add3_u32 v6, v70, v6, 0x7fff
; %bb.99:
	s_and_not1_saveexec_b32 s3, s3
; %bb.100:
	v_and_b32_e32 v6, 0xffff, v70
	v_or_b32_e32 v7, 0x10000, v70
	s_delay_alu instid0(VALU_DEP_2) | instskip(NEXT) | instid1(VALU_DEP_2)
	v_cmp_eq_u32_e32 vcc_lo, 0, v6
	v_cndmask_b32_e32 v6, v7, v70, vcc_lo
; %bb.101:
	s_or_b32 exec_lo, exec_lo, s3
	v_and_b32_e32 v7, 0x7f800000, v71
	s_delay_alu instid0(VALU_DEP_1) | instskip(SKIP_1) | instid1(SALU_CYCLE_1)
	v_cmp_ne_u32_e32 vcc_lo, 0x7f800000, v7
                                        ; implicit-def: $vgpr7
	s_and_saveexec_b32 s3, vcc_lo
	s_xor_b32 s3, exec_lo, s3
; %bb.102:
	v_bfe_u32 v7, v71, 16, 1
	s_delay_alu instid0(VALU_DEP_1)
	v_add3_u32 v7, v71, v7, 0x7fff
; %bb.103:
	s_and_not1_saveexec_b32 s3, s3
; %bb.104:
	v_and_b32_e32 v7, 0xffff, v71
	v_or_b32_e32 v8, 0x10000, v71
	s_delay_alu instid0(VALU_DEP_2) | instskip(NEXT) | instid1(VALU_DEP_2)
	v_cmp_eq_u32_e32 vcc_lo, 0, v7
	v_cndmask_b32_e32 v7, v8, v71, vcc_lo
; %bb.105:
	s_or_b32 exec_lo, exec_lo, s3
	v_and_b32_e32 v8, 0x7f800000, v72
	s_delay_alu instid0(VALU_DEP_1) | instskip(SKIP_1) | instid1(SALU_CYCLE_1)
	v_cmp_ne_u32_e32 vcc_lo, 0x7f800000, v8
                                        ; implicit-def: $vgpr8
	s_and_saveexec_b32 s3, vcc_lo
	s_xor_b32 s3, exec_lo, s3
; %bb.106:
	v_bfe_u32 v8, v72, 16, 1
	s_delay_alu instid0(VALU_DEP_1)
	v_add3_u32 v8, v72, v8, 0x7fff
                                        ; implicit-def: $vgpr65_vgpr66_vgpr67_vgpr68_vgpr69_vgpr70_vgpr71_vgpr72
; %bb.107:
	s_and_not1_saveexec_b32 s3, s3
; %bb.108:
	v_and_b32_e32 v8, 0xffff, v72
	v_or_b32_e32 v9, 0x10000, v72
	s_delay_alu instid0(VALU_DEP_2) | instskip(NEXT) | instid1(VALU_DEP_2)
	v_cmp_eq_u32_e32 vcc_lo, 0, v8
	v_cndmask_b32_e32 v8, v9, v72, vcc_lo
; %bb.109:
	s_or_b32 exec_lo, exec_lo, s3
	s_delay_alu instid0(VALU_DEP_1)
	v_perm_b32 v7, v8, v7, 0x7060302
	v_perm_b32 v6, v6, v5, 0x7060302
	;; [unrolled: 1-line block ×4, first 2 shown]
	s_barrier
	buffer_gl0_inv
	v_cmp_eq_u32_e32 vcc_lo, 1, v77
	ds_store_b128 v75, v[4:7]
	s_waitcnt lgkmcnt(0)
	s_barrier
	buffer_gl0_inv
	ds_load_b128 v[1:4], v81
	ds_load_b128 v[5:8], v81 offset:16
	v_cmp_eq_u32_e64 s3, 1, v78
	v_cmp_eq_u32_e64 s4, 2, v77
	;; [unrolled: 1-line block ×5, first 2 shown]
	s_xor_b32 s2, s2, -1
	s_waitcnt lgkmcnt(1)
	v_lshrrev_b32_e32 v9, 16, v1
	s_waitcnt lgkmcnt(0)
	v_lshrrev_b32_e32 v13, 16, v5
	v_lshrrev_b32_e32 v10, 16, v2
	;; [unrolled: 1-line block ×4, first 2 shown]
	v_cndmask_b32_e64 v19, v1, v9, s3
	v_cndmask_b32_e32 v18, v5, v13, vcc_lo
	v_cndmask_b32_e64 v20, v5, v13, s3
	v_cndmask_b32_e32 v17, v1, v9, vcc_lo
	v_cmp_eq_u32_e32 vcc_lo, 2, v78
	v_lshrrev_b32_e32 v15, 16, v7
	v_cmp_eq_u32_e64 s3, 1, v76
	v_lshrrev_b32_e32 v12, 16, v4
	v_lshrrev_b32_e32 v16, 16, v8
	v_cndmask_b32_e32 v20, v20, v6, vcc_lo
	v_cndmask_b32_e64 v17, v17, v2, s4
	v_cndmask_b32_e32 v19, v19, v2, vcc_lo
	v_cndmask_b32_e64 v18, v18, v6, s4
	v_cmp_eq_u32_e32 vcc_lo, 4, v77
	v_cmp_eq_u32_e64 s4, 3, v78
	v_cndmask_b32_e64 v17, v17, v10, s5
	v_cndmask_b32_e64 v21, v1, v9, s3
	;; [unrolled: 1-line block ×5, first 2 shown]
	v_cndmask_b32_e32 v17, v17, v3, vcc_lo
	v_cndmask_b32_e64 v20, v20, v14, s4
	v_cndmask_b32_e32 v18, v18, v7, vcc_lo
	v_cmp_eq_u32_e32 vcc_lo, 4, v78
	v_cmp_eq_u32_e64 s4, 5, v78
	v_cmp_eq_u32_e64 s3, 2, v80
	v_cndmask_b32_e64 v21, v21, v2, s7
	v_cmp_eq_u32_e64 s5, 5, v77
	v_cndmask_b32_e32 v19, v19, v3, vcc_lo
	v_cndmask_b32_e32 v20, v20, v7, vcc_lo
	v_cmp_eq_u32_e32 vcc_lo, 6, v78
	s_delay_alu instid0(VALU_DEP_4) | instskip(NEXT) | instid1(VALU_DEP_4)
	v_cndmask_b32_e64 v17, v17, v11, s5
	v_cndmask_b32_e64 v19, v19, v11, s4
	s_delay_alu instid0(VALU_DEP_4) | instskip(SKIP_1) | instid1(VALU_DEP_3)
	v_cndmask_b32_e64 v20, v20, v15, s4
	v_cmp_eq_u32_e64 s4, 1, v80
	v_cndmask_b32_e32 v19, v19, v4, vcc_lo
	v_cndmask_b32_e64 v18, v18, v15, s5
	s_delay_alu instid0(VALU_DEP_3)
	v_cndmask_b32_e64 v1, v1, v9, s4
	v_cndmask_b32_e64 v5, v5, v13, s4
	v_cmp_eq_u32_e64 s4, 3, v76
	v_cndmask_b32_e64 v13, v22, v6, s7
	v_cmp_eq_u32_e64 s7, 3, v80
	v_cndmask_b32_e64 v1, v1, v2, s3
	v_cndmask_b32_e64 v2, v5, v6, s3
	v_cndmask_b32_e64 v9, v21, v10, s4
	v_cmp_eq_u32_e64 s3, 4, v76
	v_cndmask_b32_e64 v6, v13, v14, s4
	v_cndmask_b32_e64 v1, v1, v10, s7
	v_cmp_eq_u32_e64 s4, 4, v80
	v_cndmask_b32_e64 v2, v2, v14, s7
	v_cndmask_b32_e64 v5, v9, v3, s3
	;; [unrolled: 3-line block ×3, first 2 shown]
	v_cndmask_b32_e64 v2, v2, v7, s4
	v_cmp_eq_u32_e64 s3, 5, v80
	v_cmp_eq_u32_e64 s5, 6, v77
	v_cndmask_b32_e64 v5, v5, v11, s7
	v_cmp_eq_u32_e64 s4, 6, v76
	v_cndmask_b32_e64 v3, v6, v15, s7
	v_cndmask_b32_e64 v1, v1, v11, s3
	v_cmp_eq_u32_e64 s7, 6, v80
	v_cndmask_b32_e64 v2, v2, v15, s3
	v_cndmask_b32_e64 v17, v17, v4, s5
	v_cndmask_b32_e64 v18, v18, v8, s5
	v_cmp_eq_u32_e64 s5, 7, v77
	v_cndmask_b32_e64 v5, v5, v4, s4
	;; [unrolled: 4-line block ×3, first 2 shown]
	v_cmp_eq_u32_e64 s4, 7, v76
	v_cndmask_b32_e32 v4, v20, v8, vcc_lo
	v_cndmask_b32_e64 v17, v17, v12, s5
	v_cndmask_b32_e64 v19, v19, v12, s6
	;; [unrolled: 1-line block ×8, first 2 shown]
	v_cmp_gt_u32_e32 vcc_lo, 32, v0
	v_perm_b32 v4, v2, v1, 0x5040100
	v_perm_b32 v3, v3, v5, 0x5040100
	;; [unrolled: 1-line block ×4, first 2 shown]
	s_and_b32 s2, vcc_lo, s2
	ds_store_b128 v75, v[1:4]
	s_waitcnt lgkmcnt(0)
	s_barrier
	buffer_gl0_inv
	s_and_saveexec_b32 s3, s2
	s_cbranch_execz .LBB1582_2
; %bb.110:
	s_load_b64 s[0:1], s[0:1], 0x68
	v_lshlrev_b32_e32 v1, 10, v0
	v_and_b32_e32 v0, 1, v0
	v_lshlrev_b32_e32 v2, 6, v74
	s_lshl_b32 s4, s36, 7
	s_delay_alu instid0(VALU_DEP_3) | instskip(NEXT) | instid1(VALU_DEP_3)
	v_and_b32_e32 v1, 0x3800, v1
	v_lshlrev_b32_e32 v0, 4, v0
	s_mul_i32 s2, s4, s34
	s_delay_alu instid0(SALU_CYCLE_1) | instskip(NEXT) | instid1(VALU_DEP_1)
	s_mul_i32 s2, s2, s37
	v_or3_b32 v0, v1, v2, v0
	s_ashr_i32 s3, s2, 31
	s_delay_alu instid0(SALU_CYCLE_1)
	s_lshl_b64 s[2:3], s[2:3], 1
	ds_load_b128 v[0:3], v0
	s_waitcnt lgkmcnt(0)
	s_add_u32 s5, s0, s2
	s_addc_u32 s3, s1, s3
	s_lshl_b32 s0, s14, 7
	s_mul_i32 s2, s4, s15
	s_ashr_i32 s1, s0, 31
	s_delay_alu instid0(SALU_CYCLE_1) | instskip(NEXT) | instid1(SALU_CYCLE_1)
	s_lshl_b64 s[0:1], s[0:1], 1
	s_add_u32 s4, s5, s0
	s_addc_u32 s5, s3, s1
	s_ashr_i32 s3, s2, 31
	s_delay_alu instid0(SALU_CYCLE_1) | instskip(NEXT) | instid1(SALU_CYCLE_1)
	s_lshl_b64 s[0:1], s[2:3], 1
	s_add_u32 s0, s4, s0
	s_addc_u32 s1, s5, s1
	global_store_b128 v73, v[0:3], s[0:1]
	s_nop 0
	s_sendmsg sendmsg(MSG_DEALLOC_VGPRS)
	s_endpgm
	.section	.rodata,"a",@progbits
	.p2align	6, 0x0
	.amdhsa_kernel _Z39paged_attention_ll4mi_QKV_mfma16_kernelI14__hip_bfloat16hLN4vllm18Fp8KVCacheDataTypeE1ES0_Li16ELi128ELi256ELb0ELi1EL8MFMAType1EEvPKT_PKT0_S9_ifPKiSB_SB_iPKfiiiPfSE_PS4_PT2_iSD_SD_
		.amdhsa_group_segment_fixed_size 17472
		.amdhsa_private_segment_fixed_size 0
		.amdhsa_kernarg_size 400
		.amdhsa_user_sgpr_count 13
		.amdhsa_user_sgpr_dispatch_ptr 0
		.amdhsa_user_sgpr_queue_ptr 0
		.amdhsa_user_sgpr_kernarg_segment_ptr 1
		.amdhsa_user_sgpr_dispatch_id 0
		.amdhsa_user_sgpr_private_segment_size 0
		.amdhsa_wavefront_size32 1
		.amdhsa_uses_dynamic_stack 0
		.amdhsa_enable_private_segment 0
		.amdhsa_system_sgpr_workgroup_id_x 1
		.amdhsa_system_sgpr_workgroup_id_y 1
		.amdhsa_system_sgpr_workgroup_id_z 1
		.amdhsa_system_sgpr_workgroup_info 0
		.amdhsa_system_vgpr_workitem_id 0
		.amdhsa_next_free_vgpr 138
		.amdhsa_next_free_sgpr 66
		.amdhsa_reserve_vcc 1
		.amdhsa_float_round_mode_32 0
		.amdhsa_float_round_mode_16_64 0
		.amdhsa_float_denorm_mode_32 3
		.amdhsa_float_denorm_mode_16_64 3
		.amdhsa_dx10_clamp 1
		.amdhsa_ieee_mode 1
		.amdhsa_fp16_overflow 0
		.amdhsa_workgroup_processor_mode 1
		.amdhsa_memory_ordered 1
		.amdhsa_forward_progress 0
		.amdhsa_shared_vgpr_count 0
		.amdhsa_exception_fp_ieee_invalid_op 0
		.amdhsa_exception_fp_denorm_src 0
		.amdhsa_exception_fp_ieee_div_zero 0
		.amdhsa_exception_fp_ieee_overflow 0
		.amdhsa_exception_fp_ieee_underflow 0
		.amdhsa_exception_fp_ieee_inexact 0
		.amdhsa_exception_int_div_zero 0
	.end_amdhsa_kernel
	.section	.text._Z39paged_attention_ll4mi_QKV_mfma16_kernelI14__hip_bfloat16hLN4vllm18Fp8KVCacheDataTypeE1ES0_Li16ELi128ELi256ELb0ELi1EL8MFMAType1EEvPKT_PKT0_S9_ifPKiSB_SB_iPKfiiiPfSE_PS4_PT2_iSD_SD_,"axG",@progbits,_Z39paged_attention_ll4mi_QKV_mfma16_kernelI14__hip_bfloat16hLN4vllm18Fp8KVCacheDataTypeE1ES0_Li16ELi128ELi256ELb0ELi1EL8MFMAType1EEvPKT_PKT0_S9_ifPKiSB_SB_iPKfiiiPfSE_PS4_PT2_iSD_SD_,comdat
.Lfunc_end1582:
	.size	_Z39paged_attention_ll4mi_QKV_mfma16_kernelI14__hip_bfloat16hLN4vllm18Fp8KVCacheDataTypeE1ES0_Li16ELi128ELi256ELb0ELi1EL8MFMAType1EEvPKT_PKT0_S9_ifPKiSB_SB_iPKfiiiPfSE_PS4_PT2_iSD_SD_, .Lfunc_end1582-_Z39paged_attention_ll4mi_QKV_mfma16_kernelI14__hip_bfloat16hLN4vllm18Fp8KVCacheDataTypeE1ES0_Li16ELi128ELi256ELb0ELi1EL8MFMAType1EEvPKT_PKT0_S9_ifPKiSB_SB_iPKfiiiPfSE_PS4_PT2_iSD_SD_
                                        ; -- End function
	.section	.AMDGPU.csdata,"",@progbits
; Kernel info:
; codeLenInByte = 8640
; NumSgprs: 68
; NumVgprs: 138
; ScratchSize: 0
; MemoryBound: 1
; FloatMode: 240
; IeeeMode: 1
; LDSByteSize: 17472 bytes/workgroup (compile time only)
; SGPRBlocks: 8
; VGPRBlocks: 17
; NumSGPRsForWavesPerEU: 68
; NumVGPRsForWavesPerEU: 138
; Occupancy: 10
; WaveLimiterHint : 1
; COMPUTE_PGM_RSRC2:SCRATCH_EN: 0
; COMPUTE_PGM_RSRC2:USER_SGPR: 13
; COMPUTE_PGM_RSRC2:TRAP_HANDLER: 0
; COMPUTE_PGM_RSRC2:TGID_X_EN: 1
; COMPUTE_PGM_RSRC2:TGID_Y_EN: 1
; COMPUTE_PGM_RSRC2:TGID_Z_EN: 1
; COMPUTE_PGM_RSRC2:TIDIG_COMP_CNT: 0
	.section	.text._Z39paged_attention_ll4mi_QKV_mfma16_kernelI14__hip_bfloat16hLN4vllm18Fp8KVCacheDataTypeE1ES0_Li16ELi128ELi256ELb0ELi2EL8MFMAType1EEvPKT_PKT0_S9_ifPKiSB_SB_iPKfiiiPfSE_PS4_PT2_iSD_SD_,"axG",@progbits,_Z39paged_attention_ll4mi_QKV_mfma16_kernelI14__hip_bfloat16hLN4vllm18Fp8KVCacheDataTypeE1ES0_Li16ELi128ELi256ELb0ELi2EL8MFMAType1EEvPKT_PKT0_S9_ifPKiSB_SB_iPKfiiiPfSE_PS4_PT2_iSD_SD_,comdat
	.protected	_Z39paged_attention_ll4mi_QKV_mfma16_kernelI14__hip_bfloat16hLN4vllm18Fp8KVCacheDataTypeE1ES0_Li16ELi128ELi256ELb0ELi2EL8MFMAType1EEvPKT_PKT0_S9_ifPKiSB_SB_iPKfiiiPfSE_PS4_PT2_iSD_SD_ ; -- Begin function _Z39paged_attention_ll4mi_QKV_mfma16_kernelI14__hip_bfloat16hLN4vllm18Fp8KVCacheDataTypeE1ES0_Li16ELi128ELi256ELb0ELi2EL8MFMAType1EEvPKT_PKT0_S9_ifPKiSB_SB_iPKfiiiPfSE_PS4_PT2_iSD_SD_
	.globl	_Z39paged_attention_ll4mi_QKV_mfma16_kernelI14__hip_bfloat16hLN4vllm18Fp8KVCacheDataTypeE1ES0_Li16ELi128ELi256ELb0ELi2EL8MFMAType1EEvPKT_PKT0_S9_ifPKiSB_SB_iPKfiiiPfSE_PS4_PT2_iSD_SD_
	.p2align	8
	.type	_Z39paged_attention_ll4mi_QKV_mfma16_kernelI14__hip_bfloat16hLN4vllm18Fp8KVCacheDataTypeE1ES0_Li16ELi128ELi256ELb0ELi2EL8MFMAType1EEvPKT_PKT0_S9_ifPKiSB_SB_iPKfiiiPfSE_PS4_PT2_iSD_SD_,@function
_Z39paged_attention_ll4mi_QKV_mfma16_kernelI14__hip_bfloat16hLN4vllm18Fp8KVCacheDataTypeE1ES0_Li16ELi128ELi256ELb0ELi2EL8MFMAType1EEvPKT_PKT0_S9_ifPKiSB_SB_iPKfiiiPfSE_PS4_PT2_iSD_SD_: ; @_Z39paged_attention_ll4mi_QKV_mfma16_kernelI14__hip_bfloat16hLN4vllm18Fp8KVCacheDataTypeE1ES0_Li16ELi128ELi256ELb0ELi2EL8MFMAType1EEvPKT_PKT0_S9_ifPKiSB_SB_iPKfiiiPfSE_PS4_PT2_iSD_SD_
; %bb.0:
	s_load_b64 s[2:3], s[0:1], 0x30
	s_mov_b32 s30, s13
	s_waitcnt lgkmcnt(0)
	s_cmp_lg_u64 s[2:3], 0
	s_cselect_b32 s6, -1, 0
	s_ashr_i32 s31, s13, 31
	s_cmp_eq_u64 s[2:3], 0
	s_cbranch_scc1 .LBB1583_3
; %bb.1:
	s_lshl_b64 s[4:5], s[30:31], 2
	s_delay_alu instid0(SALU_CYCLE_1) | instskip(SKIP_4) | instid1(SALU_CYCLE_1)
	s_add_u32 s4, s2, s4
	s_addc_u32 s5, s3, s5
	s_load_b64 s[4:5], s[4:5], 0x0
	s_waitcnt lgkmcnt(0)
	s_sub_i32 s4, s5, s4
	s_cmp_eq_u32 s4, 1
	s_cselect_b32 s4, -1, 0
	s_delay_alu instid0(SALU_CYCLE_1)
	s_and_not1_b32 vcc_lo, exec_lo, s4
	s_cbranch_vccz .LBB1583_4
.LBB1583_2:
	s_endpgm
.LBB1583_3:
.LBB1583_4:
	s_load_b64 s[8:9], s[0:1], 0x28
	s_lshl_b64 s[4:5], s[30:31], 2
	s_waitcnt lgkmcnt(0)
	s_add_u32 s8, s8, s4
	s_addc_u32 s9, s9, s5
	s_lshl_b32 s16, s14, 8
	s_load_b32 s18, s[8:9], 0x0
	s_waitcnt lgkmcnt(0)
	s_cmp_ge_i32 s16, s18
	s_cbranch_scc1 .LBB1583_2
; %bb.5:
	s_clause 0x1
	s_load_b128 s[8:11], s[0:1], 0x8
	s_load_b64 s[12:13], s[0:1], 0x20
	s_and_not1_b32 vcc_lo, exec_lo, s6
	s_cbranch_vccnz .LBB1583_7
; %bb.6:
	s_add_u32 s2, s2, s4
	s_addc_u32 s3, s3, s5
	s_load_b32 s3, s[2:3], 0x0
	s_branch .LBB1583_8
.LBB1583_7:
	s_mov_b32 s3, s30
.LBB1583_8:
	s_load_b128 s[4:7], s[0:1], 0x48
	v_and_b32_e32 v66, 15, v0
	v_bfe_u32 v65, v0, 4, 1
	s_lshl_b32 s31, s15, 1
	v_and_b32_e32 v67, 31, v0
	v_and_b32_e32 v76, 1, v0
	v_lshlrev_b32_e32 v1, 3, v66
	v_cmp_gt_u32_e64 s2, 32, v0
	v_or_b32_e32 v75, s31, v65
	v_lshlrev_b32_e32 v74, 6, v65
	s_delay_alu instid0(VALU_DEP_4)
	v_lshlrev_b32_e32 v73, 1, v1
	s_waitcnt lgkmcnt(0)
	s_and_saveexec_b32 s7, s2
	s_cbranch_execz .LBB1583_10
; %bb.9:
	s_load_b64 s[20:21], s[0:1], 0x0
	v_lshlrev_b32_e32 v1, 7, v75
	s_mul_hi_i32 s23, s3, s4
	s_mul_i32 s22, s3, s4
	v_lshlrev_b32_e32 v5, 10, v66
	s_lshl_b64 s[22:23], s[22:23], 1
	v_ashrrev_i32_e32 v2, 31, v1
	v_lshlrev_b32_e32 v6, 10, v76
	s_delay_alu instid0(VALU_DEP_3) | instskip(NEXT) | instid1(VALU_DEP_3)
	v_and_b32_e32 v5, 0x3800, v5
	v_lshlrev_b64 v[1:2], 1, v[1:2]
	s_delay_alu instid0(VALU_DEP_2) | instskip(SKIP_3) | instid1(VALU_DEP_2)
	v_or3_b32 v5, v5, v6, v74
	s_waitcnt lgkmcnt(0)
	s_add_u32 s3, s20, s22
	s_addc_u32 s4, s21, s23
	v_add_co_u32 v1, vcc_lo, s3, v1
	v_add_co_ci_u32_e32 v2, vcc_lo, s4, v2, vcc_lo
	s_delay_alu instid0(VALU_DEP_2) | instskip(NEXT) | instid1(VALU_DEP_2)
	v_add_co_u32 v1, vcc_lo, v1, v73
	v_add_co_ci_u32_e32 v2, vcc_lo, 0, v2, vcc_lo
	global_load_b128 v[1:4], v[1:2], off
	s_waitcnt vmcnt(0)
	ds_store_b128 v5, v[1:4]
.LBB1583_10:
	s_or_b32 exec_lo, exec_lo, s7
	v_and_b32_e32 v1, 0xef, v0
	s_add_i32 s3, s18, 15
	s_clause 0x1
	s_load_b32 s4, s[0:1], 0x38
	s_load_b32 s19, s[0:1], 0x1c
	s_ashr_i32 s7, s3, 31
	v_add_nc_u32_e32 v1, s16, v1
	s_lshr_b32 s7, s7, 28
	s_waitcnt lgkmcnt(0)
	s_add_i32 s3, s3, s7
	s_barrier
	v_ashrrev_i32_e32 v2, 31, v1
	v_or_b32_e32 v3, 16, v1
	s_ashr_i32 s3, s3, 4
	v_cmp_gt_i32_e32 vcc_lo, s18, v1
	s_add_i32 s3, s3, -1
	v_lshrrev_b32_e32 v2, 28, v2
	buffer_gl0_inv
	s_mul_i32 s15, s15, s6
	v_lshrrev_b32_e32 v68, 5, v0
	v_lshlrev_b32_e32 v33, 4, v66
	v_add_nc_u32_e32 v4, v1, v2
	v_lshlrev_b32_e32 v137, 6, v76
	s_mul_i32 s20, s30, s4
	s_delay_alu instid0(SALU_CYCLE_1) | instskip(NEXT) | instid1(VALU_DEP_2)
	s_ashr_i32 s21, s20, 31
	v_ashrrev_i32_e32 v4, 4, v4
	v_add_nc_u32_e32 v2, v3, v2
	s_lshl_b64 s[20:21], s[20:21], 2
	v_lshl_or_b32 v33, v68, 8, v33
	s_add_u32 s4, s12, s20
	v_cndmask_b32_e32 v1, s3, v4, vcc_lo
	v_ashrrev_i32_e32 v2, 4, v2
	v_cmp_gt_i32_e32 vcc_lo, s18, v3
	s_addc_u32 s7, s13, s21
	s_ashr_i32 s6, s15, 31
	s_add_u32 s17, s8, s15
	s_addc_u32 s28, s9, s6
	v_cndmask_b32_e32 v3, s3, v2, vcc_lo
	v_ashrrev_i32_e32 v2, 31, v1
	s_lshl_b32 s8, s14, 4
	s_delay_alu instid0(SALU_CYCLE_1) | instskip(NEXT) | instid1(VALU_DEP_2)
	s_ashr_i32 s9, s8, 31
	v_ashrrev_i32_e32 v4, 31, v3
	s_delay_alu instid0(VALU_DEP_2) | instskip(SKIP_1) | instid1(SALU_CYCLE_1)
	v_lshlrev_b64 v[1:2], 2, v[1:2]
	s_lshl_b64 s[8:9], s[8:9], 2
	s_add_u32 s8, s4, s8
	s_delay_alu instid0(VALU_DEP_2) | instskip(SKIP_1) | instid1(VALU_DEP_2)
	v_lshlrev_b64 v[3:4], 2, v[3:4]
	s_addc_u32 s9, s7, s9
	v_add_co_u32 v1, vcc_lo, s4, v1
	v_add_co_ci_u32_e32 v2, vcc_lo, s7, v2, vcc_lo
	s_delay_alu instid0(VALU_DEP_3) | instskip(NEXT) | instid1(VALU_DEP_4)
	v_add_co_u32 v3, vcc_lo, s4, v3
	v_add_co_ci_u32_e32 v4, vcc_lo, s7, v4, vcc_lo
	s_clause 0x1
	global_load_b32 v5, v[1:2], off
	global_load_b32 v3, v[3:4], off
	s_or_b32 s12, s16, 32
	v_lshlrev_b32_e32 v1, 4, v0
	s_ashr_i32 s13, s12, 4
	s_cmp_lt_i32 s12, s18
	s_cselect_b32 s12, s13, s3
	s_delay_alu instid0(VALU_DEP_1) | instskip(SKIP_1) | instid1(SALU_CYCLE_1)
	v_and_b32_e32 v1, 0xf0, v1
	s_ashr_i32 s13, s12, 31
	s_lshl_b64 s[12:13], s[12:13], 2
	s_delay_alu instid0(SALU_CYCLE_1)
	s_add_u32 s12, s4, s12
	s_addc_u32 s13, s7, s13
	s_or_b32 s20, s16, 64
	v_add_co_u32 v1, s17, s17, v1
	s_ashr_i32 s21, s20, 4
	s_cmp_lt_i32 s20, s18
	v_add_co_ci_u32_e64 v2, null, s28, 0, s17
	s_cselect_b32 s20, s21, s3
	s_delay_alu instid0(SALU_CYCLE_1) | instskip(NEXT) | instid1(SALU_CYCLE_1)
	s_ashr_i32 s21, s20, 31
	s_lshl_b64 s[20:21], s[20:21], 2
	s_delay_alu instid0(SALU_CYCLE_1) | instskip(SKIP_2) | instid1(SALU_CYCLE_1)
	s_add_u32 s20, s4, s20
	s_addc_u32 s21, s7, s21
	s_or_b32 s22, s16, 0x60
	s_ashr_i32 s23, s22, 4
	s_cmp_lt_i32 s22, s18
	s_cselect_b32 s22, s23, s3
	s_delay_alu instid0(SALU_CYCLE_1) | instskip(NEXT) | instid1(SALU_CYCLE_1)
	s_ashr_i32 s23, s22, 31
	s_lshl_b64 s[22:23], s[22:23], 2
	s_delay_alu instid0(SALU_CYCLE_1) | instskip(SKIP_2) | instid1(SALU_CYCLE_1)
	s_add_u32 s22, s4, s22
	s_addc_u32 s23, s7, s23
	s_or_b32 s24, s16, 0x80
	s_ashr_i32 s25, s24, 4
	s_cmp_lt_i32 s24, s18
	;; [unrolled: 10-line block ×3, first 2 shown]
	s_cselect_b32 s26, s27, s3
	s_delay_alu instid0(SALU_CYCLE_1) | instskip(NEXT) | instid1(SALU_CYCLE_1)
	s_ashr_i32 s27, s26, 31
	s_lshl_b64 s[26:27], s[26:27], 2
	s_delay_alu instid0(SALU_CYCLE_1)
	s_add_u32 s26, s4, s26
	s_addc_u32 s27, s7, s27
	s_clause 0x5
	s_load_b32 s17, s[8:9], 0x0
	s_load_b32 s28, s[12:13], 0x0
	;; [unrolled: 1-line block ×6, first 2 shown]
	s_or_b32 s8, s16, 0xc0
	s_mov_b32 s20, 0
	s_ashr_i32 s9, s8, 4
	s_cmp_lt_i32 s8, s18
	s_mov_b32 s27, s20
	s_cselect_b32 s8, s9, s3
	s_mov_b32 s21, s20
	s_ashr_i32 s9, s8, 31
	s_mov_b32 s22, s20
	s_lshl_b64 s[8:9], s[8:9], 2
	s_mov_b32 s23, s20
	s_add_u32 s8, s4, s8
	s_addc_u32 s9, s7, s9
	s_or_b32 s12, s16, 0xe0
	s_mov_b32 s24, s20
	s_ashr_i32 s13, s12, 4
	s_cmp_lt_i32 s12, s18
	s_mov_b32 s25, s20
	s_cselect_b32 s12, s13, s3
	s_mov_b32 s26, s20
	s_ashr_i32 s13, s12, 31
	v_mov_b32_e32 v108, s27
	v_mov_b32_e32 v102, s21
	s_lshl_b64 s[12:13], s[12:13], 2
	v_mov_b32_e32 v107, s26
	s_add_u32 s12, s4, s12
	s_addc_u32 s13, s7, s13
	s_add_u32 s3, s10, s15
	s_addc_u32 s4, s11, s6
	v_add_co_u32 v69, s3, s3, v33
	s_delay_alu instid0(VALU_DEP_1)
	v_add_co_ci_u32_e64 v70, null, s4, 0, s3
	v_dual_mov_b32 v106, s25 :: v_dual_mov_b32 v105, s24
	v_dual_mov_b32 v104, s23 :: v_dual_mov_b32 v103, s22
	v_mov_b32_e32 v101, s20
	s_waitcnt lgkmcnt(0)
	v_mad_i64_i32 v[33:34], null, s17, s5, v[69:70]
	v_mad_i64_i32 v[71:72], null, s29, s5, v[69:70]
	;; [unrolled: 1-line block ×5, first 2 shown]
	s_waitcnt vmcnt(1)
	v_mad_i64_i32 v[25:26], null, v5, s5, v[1:2]
	s_waitcnt vmcnt(0)
	v_mad_i64_i32 v[27:28], null, v3, s5, v[1:2]
	s_clause 0xf
	global_load_b128 v[1:4], v[25:26], off
	global_load_b128 v[5:8], v[25:26], off offset:256
	global_load_b128 v[9:12], v[27:28], off
	global_load_b128 v[13:16], v[27:28], off offset:256
	global_load_b128 v[17:20], v[25:26], off offset:512
	;; [unrolled: 1-line block ×13, first 2 shown]
	ds_load_b128 v[25:28], v137
	ds_load_b128 v[29:32], v137 offset:1024
	ds_load_b128 v[109:112], v137 offset:2048
	;; [unrolled: 1-line block ×5, first 2 shown]
	s_clause 0x1
	s_load_b32 s3, s[8:9], 0x0
	s_load_b32 s4, s[12:13], 0x0
	s_clause 0x3
	global_load_b128 v[41:44], v[33:34], off
	global_load_b128 v[45:48], v[33:34], off offset:16
	global_load_b128 v[33:36], v[37:38], off
	global_load_b128 v[37:40], v[37:38], off offset:16
	s_waitcnt vmcnt(18) lgkmcnt(0)
	v_wmma_f32_16x16x16_bf16 v[125:132], v[1:8], v[25:32], v[101:108]
	s_waitcnt vmcnt(16)
	v_wmma_f32_16x16x16_bf16 v[101:108], v[9:16], v[25:32], v[101:108]
	v_mad_i64_i32 v[13:14], null, s35, s5, v[69:70]
	s_waitcnt vmcnt(14)
	v_wmma_f32_16x16x16_bf16 v[125:132], v[17:24], v[109:116], v[125:132]
	s_clause 0x1
	global_load_b128 v[25:28], v[71:72], off
	global_load_b128 v[29:32], v[71:72], off offset:16
	s_waitcnt vmcnt(14)
	v_wmma_f32_16x16x16_bf16 v[101:108], v[49:56], v[109:116], v[101:108]
	v_mad_i64_i32 v[49:50], null, s3, s5, v[69:70]
	v_mad_i64_i32 v[53:54], null, s4, s5, v[69:70]
	s_clause 0x5
	global_load_b128 v[17:20], v[133:134], off
	global_load_b128 v[21:24], v[133:134], off offset:16
	global_load_b128 v[1:4], v[135:136], off
	global_load_b128 v[5:8], v[135:136], off offset:16
	;; [unrolled: 2-line block ×3, first 2 shown]
	s_waitcnt vmcnt(18)
	v_wmma_f32_16x16x16_bf16 v[125:132], v[57:64], v[117:124], v[125:132]
	s_clause 0x3
	global_load_b128 v[57:60], v[49:50], off
	global_load_b128 v[61:64], v[49:50], off offset:16
	global_load_b128 v[49:52], v[53:54], off
	global_load_b128 v[53:56], v[53:54], off offset:16
	v_mbcnt_lo_u32_b32 v70, -1, 0
	s_waitcnt vmcnt(20)
	v_wmma_f32_16x16x16_bf16 v[101:108], v[77:84], v[117:124], v[101:108]
	s_delay_alu instid0(VALU_DEP_2) | instskip(NEXT) | instid1(VALU_DEP_1)
	v_xor_b32_e32 v71, 16, v70
	v_cmp_gt_i32_e32 vcc_lo, 32, v71
	v_cndmask_b32_e32 v70, v70, v71, vcc_lo
	ds_load_b128 v[77:80], v137 offset:6144
	ds_load_b128 v[81:84], v137 offset:7168
	s_waitcnt vmcnt(0) lgkmcnt(0)
	s_barrier
	buffer_gl0_inv
	v_wmma_f32_16x16x16_bf16 v[101:108], v[93:100], v[77:84], v[101:108]
	v_and_b32_e32 v69, 0xe0, v0
	v_wmma_f32_16x16x16_bf16 v[125:132], v[85:92], v[77:84], v[125:132]
	s_delay_alu instid0(VALU_DEP_3) | instskip(NEXT) | instid1(VALU_DEP_3)
	v_mul_f32_e32 v96, s19, v101
	v_dual_mul_f32 v98, s19, v103 :: v_dual_add_nc_u32 v69, s16, v69
	s_delay_alu instid0(VALU_DEP_3) | instskip(SKIP_1) | instid1(VALU_DEP_3)
	v_dual_mul_f32 v80, s19, v126 :: v_dual_mul_f32 v81, s19, v128
	v_mul_f32_e32 v100, s19, v105
	v_or_b32_e32 v69, v69, v65
	v_dual_mul_f32 v82, s19, v127 :: v_dual_mul_f32 v83, s19, v130
	v_dual_mul_f32 v84, s19, v129 :: v_dual_mul_f32 v93, s19, v132
	s_delay_alu instid0(VALU_DEP_3)
	v_or_b32_e32 v71, 2, v69
	v_or_b32_e32 v72, 4, v69
	;; [unrolled: 1-line block ×3, first 2 shown]
	v_cmp_gt_i32_e64 s3, s18, v69
	v_or_b32_e32 v110, 8, v69
	v_cmp_gt_i32_e32 vcc_lo, s18, v71
	v_mul_f32_e32 v71, s19, v125
	v_or_b32_e32 v85, 10, v69
	v_or_b32_e32 v91, 22, v69
	v_cmp_gt_i32_e64 s4, s18, v72
	v_mul_f32_e32 v72, s19, v107
	v_cndmask_b32_e64 v71, 0xff7fffff, v71, s3
	v_cndmask_b32_e32 v80, 0xff7fffff, v80, vcc_lo
	v_cmp_gt_i32_e64 s5, s18, v109
	v_or_b32_e32 v86, 12, v69
	v_or_b32_e32 v87, 14, v69
	v_cndmask_b32_e64 v82, 0xff7fffff, v82, s4
	v_cmp_gt_i32_e64 s6, s18, v110
	v_cndmask_b32_e64 v81, 0xff7fffff, v81, s5
	v_cmp_gt_i32_e64 s7, s18, v85
	v_cmp_gt_i32_e64 s13, s18, v91
	v_lshlrev_b32_e32 v91, 2, v70
	v_max3_f32 v71, v71, 0xff7fffff, v80
	v_or_b32_e32 v88, 16, v69
	v_or_b32_e32 v89, 18, v69
	v_mul_f32_e32 v94, s19, v131
	v_cndmask_b32_e64 v80, 0xff7fffff, v84, s6
	v_cndmask_b32_e64 v83, 0xff7fffff, v83, s7
	v_max3_f32 v71, v71, v82, v81
	v_cmp_gt_i32_e64 s8, s18, v86
	v_cmp_gt_i32_e64 s9, s18, v87
	v_or_b32_e32 v90, 20, v69
	v_mul_f32_e32 v95, s19, v102
	v_max3_f32 v71, v71, v80, v83
	v_cndmask_b32_e64 v81, 0xff7fffff, v94, s8
	v_cndmask_b32_e64 v82, 0xff7fffff, v93, s9
	v_cmp_gt_i32_e64 s10, s18, v88
	v_cmp_gt_i32_e64 s11, s18, v89
	v_or_b32_e32 v92, 24, v69
	v_or_b32_e32 v77, 26, v69
	v_mul_f32_e32 v97, s19, v104
	v_cndmask_b32_e64 v80, 0xff7fffff, v96, s10
	v_cndmask_b32_e64 v83, 0xff7fffff, v95, s11
	v_max3_f32 v71, v71, v81, v82
	v_cmp_gt_i32_e64 s12, s18, v90
	v_or_b32_e32 v78, 28, v69
	v_or_b32_e32 v79, 30, v69
	v_mul_f32_e32 v99, s19, v106
	v_cndmask_b32_e64 v82, 0xff7fffff, v97, s13
	v_cndmask_b32_e64 v81, 0xff7fffff, v98, s12
	v_max3_f32 v71, v71, v80, v83
	v_cmp_gt_i32_e64 s15, s18, v92
	v_cmp_gt_i32_e64 s16, s18, v77
	v_mul_f32_e32 v69, s19, v108
	v_cmp_gt_i32_e64 s17, s18, v78
	v_max3_f32 v71, v71, v81, v82
	v_cndmask_b32_e64 v80, 0xff7fffff, v100, s15
	v_cndmask_b32_e64 v77, 0xff7fffff, v99, s16
	v_cmp_gt_i32_e64 s18, s18, v79
	v_cndmask_b32_e64 v72, 0xff7fffff, v72, s17
	s_delay_alu instid0(VALU_DEP_3) | instskip(NEXT) | instid1(VALU_DEP_3)
	v_max3_f32 v71, v71, v80, v77
	v_cndmask_b32_e64 v69, 0xff7fffff, v69, s18
	s_delay_alu instid0(VALU_DEP_1) | instskip(SKIP_3) | instid1(VALU_DEP_1)
	v_max3_f32 v69, v71, v72, v69
	ds_bpermute_b32 v70, v91, v69
	s_waitcnt lgkmcnt(0)
	v_max_f32_e32 v70, v70, v70
	v_max_f32_e32 v69, v69, v70
	s_delay_alu instid0(VALU_DEP_1)
	v_fma_f32 v70, s19, v125, -v69
	v_fma_f32 v71, s19, v126, -v69
	;; [unrolled: 1-line block ×5, first 2 shown]
	v_mul_f32_e32 v70, 0x3fb8aa3b, v70
	s_delay_alu instid0(VALU_DEP_3) | instskip(NEXT) | instid1(VALU_DEP_3)
	v_dual_mul_f32 v72, 0x3fb8aa3b, v72 :: v_dual_mul_f32 v77, 0x3fb8aa3b, v77
	v_mul_f32_e32 v78, 0x3fb8aa3b, v78
	s_delay_alu instid0(VALU_DEP_3) | instskip(NEXT) | instid1(VALU_DEP_2)
	v_exp_f32_e32 v70, v70
	v_exp_f32_e32 v72, v72
	s_delay_alu instid0(VALU_DEP_2) | instskip(NEXT) | instid1(VALU_DEP_1)
	v_exp_f32_e32 v79, v77
	v_exp_f32_e32 v78, v78
	v_cndmask_b32_e64 v81, 0, v70, s3
	v_fma_f32 v70, s19, v130, -v69
	v_mul_f32_e32 v71, 0x3fb8aa3b, v71
	s_delay_alu instid0(TRANS32_DEP_3)
	v_cndmask_b32_e64 v85, 0, v72, s4
	s_waitcnt_depctr 0xfff
	v_cndmask_b32_e64 v87, 0, v79, s5
	v_cndmask_b32_e64 v88, 0, v78, s6
	v_mul_f32_e32 v70, 0x3fb8aa3b, v70
	v_exp_f32_e32 v71, v71
	s_mov_b32 s3, exec_lo
	s_delay_alu instid0(VALU_DEP_1) | instskip(SKIP_4) | instid1(VALU_DEP_2)
	v_exp_f32_e32 v70, v70
	s_waitcnt_depctr 0xfff
	v_cndmask_b32_e32 v77, 0, v71, vcc_lo
	v_add_f32_e32 v71, 0, v81
	v_cndmask_b32_e64 v89, 0, v70, s7
	v_add_f32_e32 v71, v71, v77
	s_delay_alu instid0(VALU_DEP_1) | instskip(NEXT) | instid1(VALU_DEP_1)
	v_add_f32_e32 v71, v71, v85
	v_add_f32_e32 v71, v71, v87
	s_delay_alu instid0(VALU_DEP_1) | instskip(NEXT) | instid1(VALU_DEP_1)
	v_add_f32_e32 v70, v71, v88
	v_add_f32_e32 v70, v70, v89
	v_fma_f32 v80, s19, v131, -v69
	v_fma_f32 v72, s19, v132, -v69
	;; [unrolled: 1-line block ×5, first 2 shown]
	v_mul_f32_e32 v80, 0x3fb8aa3b, v80
	s_delay_alu instid0(VALU_DEP_4) | instskip(NEXT) | instid1(VALU_DEP_3)
	v_dual_mul_f32 v72, 0x3fb8aa3b, v72 :: v_dual_mul_f32 v79, 0x3fb8aa3b, v79
	v_dual_mul_f32 v78, 0x3fb8aa3b, v78 :: v_dual_mul_f32 v71, 0x3fb8aa3b, v71
	s_delay_alu instid0(VALU_DEP_3) | instskip(NEXT) | instid1(VALU_DEP_2)
	v_exp_f32_e32 v80, v80
	v_exp_f32_e32 v72, v72
	s_delay_alu instid0(VALU_DEP_2) | instskip(NEXT) | instid1(VALU_DEP_1)
	v_exp_f32_e32 v79, v79
	v_exp_f32_e32 v78, v78
	;; [unrolled: 1-line block ×3, first 2 shown]
	v_fma_f32 v83, s19, v106, -v69
	v_cndmask_b32_e64 v86, 0, v80, s8
	v_fma_f32 v80, s19, v104, -v69
	v_cndmask_b32_e64 v90, 0, v72, s9
	v_fma_f32 v72, s19, v105, -v69
	s_delay_alu instid0(TRANS32_DEP_3) | instskip(SKIP_2) | instid1(VALU_DEP_2)
	v_cndmask_b32_e64 v71, 0, v79, s10
	v_add_f32_e32 v70, v70, v86
	v_dual_mul_f32 v80, 0x3fb8aa3b, v80 :: v_dual_mul_f32 v83, 0x3fb8aa3b, v83
	v_dual_mul_f32 v72, 0x3fb8aa3b, v72 :: v_dual_add_f32 v79, v70, v90
	s_delay_alu instid0(VALU_DEP_2) | instskip(SKIP_1) | instid1(VALU_DEP_2)
	v_exp_f32_e32 v80, v80
	v_cndmask_b32_e64 v70, 0, v78, s11
	v_exp_f32_e32 v84, v72
	v_cndmask_b32_e64 v72, 0, v82, s12
	v_add_f32_e32 v78, v79, v71
	v_fma_f32 v79, s19, v107, -v69
	v_exp_f32_e32 v83, v83
	s_delay_alu instid0(VALU_DEP_1) | instskip(NEXT) | instid1(TRANS32_DEP_3)
	v_dual_add_f32 v82, v78, v70 :: v_dual_mul_f32 v79, 0x3fb8aa3b, v79
	v_cndmask_b32_e64 v78, 0, v80, s13
	s_delay_alu instid0(VALU_DEP_2) | instskip(SKIP_1) | instid1(VALU_DEP_4)
	v_add_f32_e32 v80, v82, v72
	v_fma_f32 v82, s19, v108, -v69
	v_exp_f32_e32 v92, v79
	v_cndmask_b32_e64 v79, 0, v84, s15
	s_delay_alu instid0(VALU_DEP_3) | instskip(NEXT) | instid1(VALU_DEP_3)
	v_add_f32_e32 v84, v80, v78
	v_mul_f32_e32 v82, 0x3fb8aa3b, v82
	s_delay_alu instid0(TRANS32_DEP_2) | instskip(NEXT) | instid1(VALU_DEP_3)
	v_cndmask_b32_e64 v80, 0, v83, s16
	v_add_f32_e32 v83, v84, v79
	s_delay_alu instid0(VALU_DEP_3) | instskip(NEXT) | instid1(TRANS32_DEP_2)
	v_exp_f32_e32 v84, v82
	v_cndmask_b32_e64 v82, 0, v92, s17
	s_delay_alu instid0(VALU_DEP_2) | instskip(NEXT) | instid1(VALU_DEP_1)
	v_add_f32_e32 v83, v83, v80
	v_add_f32_e32 v92, v83, v82
	s_waitcnt_depctr 0xfff
	v_cndmask_b32_e64 v83, 0, v84, s18
	s_delay_alu instid0(VALU_DEP_1)
	v_add_f32_e32 v84, v92, v83
	ds_bpermute_b32 v91, v91, v84
	v_cmpx_gt_u32_e32 16, v67
	s_cbranch_execz .LBB1583_12
; %bb.11:
	v_mul_u32_u24_e32 v67, 0x44, v68
	s_waitcnt lgkmcnt(0)
	v_add_f32_e32 v84, v84, v91
	s_delay_alu instid0(VALU_DEP_2) | instskip(NEXT) | instid1(VALU_DEP_1)
	v_lshl_add_u32 v67, v66, 2, v67
	v_add_nc_u32_e32 v67, 0x4000, v67
	ds_store_2addr_b32 v67, v69, v84 offset1:136
.LBB1583_12:
	s_or_b32 exec_lo, exec_lo, s3
	v_lshlrev_b32_e32 v67, 2, v66
	s_waitcnt lgkmcnt(0)
	s_barrier
	buffer_gl0_inv
	v_cmp_eq_u32_e32 vcc_lo, 1, v68
	v_add_nc_u32_e32 v84, 0x4000, v67
	v_cmp_eq_u32_e64 s3, 2, v68
	v_cmp_eq_u32_e64 s5, 7, v68
	ds_load_2addr_b32 v[91:92], v84 offset1:17
	ds_load_2addr_b32 v[93:94], v84 offset0:34 offset1:51
	ds_load_2addr_b32 v[95:96], v84 offset0:68 offset1:85
	;; [unrolled: 1-line block ×4, first 2 shown]
	s_waitcnt lgkmcnt(4)
	v_max3_f32 v67, v91, 0xff7fffff, v92
	s_waitcnt lgkmcnt(3)
	s_delay_alu instid0(VALU_DEP_1) | instskip(SKIP_1) | instid1(VALU_DEP_1)
	v_max3_f32 v67, v67, v93, v94
	s_waitcnt lgkmcnt(2)
	v_max3_f32 v67, v67, v95, v96
	s_waitcnt lgkmcnt(1)
	s_delay_alu instid0(VALU_DEP_1) | instskip(NEXT) | instid1(VALU_DEP_1)
	v_max3_f32 v67, v67, v97, v98
	v_sub_f32_e32 v69, v91, v67
	v_sub_f32_e32 v101, v92, v67
	;; [unrolled: 1-line block ×4, first 2 shown]
	s_delay_alu instid0(VALU_DEP_4) | instskip(NEXT) | instid1(VALU_DEP_4)
	v_mul_f32_e32 v69, 0x3fb8aa3b, v69
	v_mul_f32_e32 v101, 0x3fb8aa3b, v101
	s_delay_alu instid0(VALU_DEP_4) | instskip(NEXT) | instid1(VALU_DEP_4)
	v_mul_f32_e32 v103, 0x3fb8aa3b, v93
	v_mul_f32_e32 v105, 0x3fb8aa3b, v95
	s_delay_alu instid0(VALU_DEP_4) | instskip(SKIP_3) | instid1(VALU_DEP_1)
	v_exp_f32_e32 v102, v69
	v_sub_f32_e32 v69, v94, v67
	v_exp_f32_e32 v101, v101
	v_exp_f32_e32 v103, v103
	v_mul_f32_e32 v104, 0x3fb8aa3b, v69
	s_waitcnt lgkmcnt(0)
	s_delay_alu instid0(TRANS32_DEP_3) | instskip(SKIP_1) | instid1(VALU_DEP_3)
	v_fma_f32 v69, v102, v99, 0
	v_sub_f32_e32 v99, v96, v67
	v_exp_f32_e32 v104, v104
	s_delay_alu instid0(TRANS32_DEP_3) | instid1(VALU_DEP_2)
	v_fmac_f32_e32 v69, v101, v100
	ds_load_2addr_b32 v[91:92], v84 offset0:170 offset1:187
	ds_load_2addr_b32 v[93:94], v84 offset0:204 offset1:221
	;; [unrolled: 1-line block ×3, first 2 shown]
	v_sub_f32_e32 v84, v97, v67
	v_mul_f32_e32 v97, 0x3fb8aa3b, v99
	v_exp_f32_e32 v99, v105
	s_waitcnt lgkmcnt(0)
	s_barrier
	v_mul_f32_e32 v84, 0x3fb8aa3b, v84
	v_exp_f32_e32 v97, v97
	buffer_gl0_inv
	v_exp_f32_e32 v84, v84
	v_fmac_f32_e32 v69, v103, v91
	v_sub_f32_e32 v91, v98, v67
	s_delay_alu instid0(VALU_DEP_2) | instskip(NEXT) | instid1(VALU_DEP_2)
	v_fmac_f32_e32 v69, v104, v92
	v_mul_f32_e32 v91, 0x3fb8aa3b, v91
	s_delay_alu instid0(VALU_DEP_2) | instskip(NEXT) | instid1(VALU_DEP_2)
	v_fmac_f32_e32 v69, v99, v93
	v_exp_f32_e32 v91, v91
	s_delay_alu instid0(VALU_DEP_1)
	v_fmac_f32_e32 v69, v97, v94
	s_delay_alu instid0(TRANS32_DEP_2) | instid1(VALU_DEP_1)
	v_fmac_f32_e32 v69, v84, v95
	s_waitcnt_depctr 0xfff
	v_fmac_f32_e32 v69, v91, v96
	s_delay_alu instid0(VALU_DEP_1) | instskip(NEXT) | instid1(VALU_DEP_1)
	v_add_f32_e32 v92, 0x358637bd, v69
	v_div_scale_f32 v93, null, v92, v92, 1.0
	v_div_scale_f32 v96, s4, 1.0, v92, 1.0
	s_delay_alu instid0(VALU_DEP_2) | instskip(SKIP_2) | instid1(VALU_DEP_1)
	v_rcp_f32_e32 v94, v93
	s_waitcnt_depctr 0xfff
	v_fma_f32 v95, -v93, v94, 1.0
	v_dual_fmac_f32 v94, v95, v94 :: v_dual_cndmask_b32 v95, v102, v101
	v_cmp_eq_u32_e32 vcc_lo, 3, v68
	s_delay_alu instid0(VALU_DEP_2) | instskip(NEXT) | instid1(VALU_DEP_3)
	v_mul_f32_e32 v98, v96, v94
	v_cndmask_b32_e64 v95, v95, v103, s3
	v_cmp_eq_u32_e64 s3, 4, v68
	s_delay_alu instid0(VALU_DEP_3) | instskip(NEXT) | instid1(VALU_DEP_3)
	v_fma_f32 v100, -v93, v98, v96
	v_cndmask_b32_e32 v95, v95, v104, vcc_lo
	v_cmp_eq_u32_e32 vcc_lo, 5, v68
	s_delay_alu instid0(VALU_DEP_3) | instskip(NEXT) | instid1(VALU_DEP_3)
	v_fmac_f32_e32 v98, v100, v94
	v_cndmask_b32_e64 v95, v95, v99, s3
	v_cmp_eq_u32_e64 s3, 6, v68
	s_delay_alu instid0(VALU_DEP_3) | instskip(NEXT) | instid1(VALU_DEP_3)
	v_fma_f32 v93, -v93, v98, v96
	v_cndmask_b32_e32 v95, v95, v97, vcc_lo
	s_mov_b32 vcc_lo, s4
	s_delay_alu instid0(VALU_DEP_2) | instskip(NEXT) | instid1(VALU_DEP_2)
	v_div_fmas_f32 v93, v93, v94, v98
	v_cndmask_b32_e64 v84, v95, v84, s3
	s_mov_b32 s3, exec_lo
	s_delay_alu instid0(VALU_DEP_2) | instskip(NEXT) | instid1(VALU_DEP_2)
	v_div_fixup_f32 v92, v93, v92, 1.0
	v_cndmask_b32_e64 v84, v84, v91, s5
	s_delay_alu instid0(VALU_DEP_1) | instskip(NEXT) | instid1(VALU_DEP_1)
	v_mul_f32_e32 v84, v84, v92
	v_mul_f32_e32 v92, v84, v81
	;; [unrolled: 1-line block ×6, first 2 shown]
	v_dual_mul_f32 v88, v84, v85 :: v_dual_and_b32 v93, 0x7f800000, v92
	v_mul_f32_e32 v91, v84, v87
	v_mul_f32_e32 v87, v84, v77
                                        ; implicit-def: $vgpr77
	s_delay_alu instid0(VALU_DEP_3)
	v_cmpx_ne_u32_e32 0x7f800000, v93
	s_xor_b32 s3, exec_lo, s3
; %bb.13:
	v_bfe_u32 v77, v92, 16, 1
	s_delay_alu instid0(VALU_DEP_1)
	v_add3_u32 v77, v92, v77, 0x7fff
                                        ; implicit-def: $vgpr92
; %bb.14:
	s_and_not1_saveexec_b32 s3, s3
; %bb.15:
	v_and_b32_e32 v77, 0xffff, v92
	v_or_b32_e32 v85, 0x10000, v92
	s_delay_alu instid0(VALU_DEP_2) | instskip(NEXT) | instid1(VALU_DEP_2)
	v_cmp_eq_u32_e32 vcc_lo, 0, v77
	v_cndmask_b32_e32 v77, v85, v92, vcc_lo
; %bb.16:
	s_or_b32 exec_lo, exec_lo, s3
	v_and_b32_e32 v85, 0x7f800000, v87
	s_delay_alu instid0(VALU_DEP_1) | instskip(SKIP_1) | instid1(SALU_CYCLE_1)
	v_cmp_ne_u32_e32 vcc_lo, 0x7f800000, v85
                                        ; implicit-def: $vgpr85
	s_and_saveexec_b32 s3, vcc_lo
	s_xor_b32 s3, exec_lo, s3
; %bb.17:
	v_bfe_u32 v85, v87, 16, 1
	s_delay_alu instid0(VALU_DEP_1)
	v_add3_u32 v85, v87, v85, 0x7fff
                                        ; implicit-def: $vgpr87
; %bb.18:
	s_and_not1_saveexec_b32 s3, s3
; %bb.19:
	v_and_b32_e32 v85, 0xffff, v87
	v_or_b32_e32 v92, 0x10000, v87
	s_delay_alu instid0(VALU_DEP_2) | instskip(NEXT) | instid1(VALU_DEP_2)
	v_cmp_eq_u32_e32 vcc_lo, 0, v85
	v_cndmask_b32_e32 v85, v92, v87, vcc_lo
; %bb.20:
	s_or_b32 exec_lo, exec_lo, s3
	v_and_b32_e32 v87, 0x7f800000, v88
	s_delay_alu instid0(VALU_DEP_1) | instskip(SKIP_1) | instid1(SALU_CYCLE_1)
	v_cmp_ne_u32_e32 vcc_lo, 0x7f800000, v87
                                        ; implicit-def: $vgpr87
	s_and_saveexec_b32 s3, vcc_lo
	s_xor_b32 s3, exec_lo, s3
; %bb.21:
	v_bfe_u32 v87, v88, 16, 1
	s_delay_alu instid0(VALU_DEP_1)
	v_add3_u32 v87, v88, v87, 0x7fff
                                        ; implicit-def: $vgpr88
; %bb.22:
	s_and_not1_saveexec_b32 s3, s3
; %bb.23:
	v_and_b32_e32 v87, 0xffff, v88
	v_or_b32_e32 v92, 0x10000, v88
	s_delay_alu instid0(VALU_DEP_2) | instskip(NEXT) | instid1(VALU_DEP_2)
	v_cmp_eq_u32_e32 vcc_lo, 0, v87
	v_cndmask_b32_e32 v87, v92, v88, vcc_lo
; %bb.24:
	s_or_b32 exec_lo, exec_lo, s3
	v_and_b32_e32 v88, 0x7f800000, v91
	s_delay_alu instid0(VALU_DEP_1) | instskip(SKIP_1) | instid1(SALU_CYCLE_1)
	v_cmp_ne_u32_e32 vcc_lo, 0x7f800000, v88
                                        ; implicit-def: $vgpr88
	s_and_saveexec_b32 s3, vcc_lo
	s_xor_b32 s3, exec_lo, s3
; %bb.25:
	v_bfe_u32 v88, v91, 16, 1
	s_delay_alu instid0(VALU_DEP_1)
	v_add3_u32 v88, v91, v88, 0x7fff
                                        ; implicit-def: $vgpr91
; %bb.26:
	s_and_not1_saveexec_b32 s3, s3
; %bb.27:
	v_and_b32_e32 v88, 0xffff, v91
	v_or_b32_e32 v92, 0x10000, v91
	s_delay_alu instid0(VALU_DEP_2) | instskip(NEXT) | instid1(VALU_DEP_2)
	v_cmp_eq_u32_e32 vcc_lo, 0, v88
	v_cndmask_b32_e32 v88, v92, v91, vcc_lo
; %bb.28:
	s_or_b32 exec_lo, exec_lo, s3
	v_and_b32_e32 v91, 0x7f800000, v90
	s_delay_alu instid0(VALU_DEP_1) | instskip(SKIP_1) | instid1(SALU_CYCLE_1)
	v_cmp_ne_u32_e32 vcc_lo, 0x7f800000, v91
                                        ; implicit-def: $vgpr91
	s_and_saveexec_b32 s3, vcc_lo
	s_xor_b32 s3, exec_lo, s3
; %bb.29:
	v_bfe_u32 v91, v90, 16, 1
	s_delay_alu instid0(VALU_DEP_1)
	v_add3_u32 v91, v90, v91, 0x7fff
                                        ; implicit-def: $vgpr90
; %bb.30:
	s_and_not1_saveexec_b32 s3, s3
; %bb.31:
	v_and_b32_e32 v91, 0xffff, v90
	v_or_b32_e32 v92, 0x10000, v90
	s_delay_alu instid0(VALU_DEP_2) | instskip(NEXT) | instid1(VALU_DEP_2)
	v_cmp_eq_u32_e32 vcc_lo, 0, v91
	v_cndmask_b32_e32 v91, v92, v90, vcc_lo
; %bb.32:
	s_or_b32 exec_lo, exec_lo, s3
	v_and_b32_e32 v90, 0x7f800000, v89
	s_delay_alu instid0(VALU_DEP_1) | instskip(SKIP_1) | instid1(SALU_CYCLE_1)
	v_cmp_ne_u32_e32 vcc_lo, 0x7f800000, v90
                                        ; implicit-def: $vgpr90
	s_and_saveexec_b32 s3, vcc_lo
	s_xor_b32 s3, exec_lo, s3
; %bb.33:
	v_bfe_u32 v90, v89, 16, 1
	s_delay_alu instid0(VALU_DEP_1)
	v_add3_u32 v90, v89, v90, 0x7fff
                                        ; implicit-def: $vgpr89
; %bb.34:
	s_and_not1_saveexec_b32 s3, s3
; %bb.35:
	v_and_b32_e32 v90, 0xffff, v89
	v_or_b32_e32 v92, 0x10000, v89
	s_delay_alu instid0(VALU_DEP_2) | instskip(NEXT) | instid1(VALU_DEP_2)
	v_cmp_eq_u32_e32 vcc_lo, 0, v90
	v_cndmask_b32_e32 v90, v92, v89, vcc_lo
; %bb.36:
	s_or_b32 exec_lo, exec_lo, s3
	v_and_b32_e32 v89, 0x7f800000, v86
	s_delay_alu instid0(VALU_DEP_1) | instskip(SKIP_1) | instid1(SALU_CYCLE_1)
	v_cmp_ne_u32_e32 vcc_lo, 0x7f800000, v89
                                        ; implicit-def: $vgpr89
	s_and_saveexec_b32 s3, vcc_lo
	s_xor_b32 s3, exec_lo, s3
; %bb.37:
	v_bfe_u32 v89, v86, 16, 1
	s_delay_alu instid0(VALU_DEP_1)
	v_add3_u32 v89, v86, v89, 0x7fff
                                        ; implicit-def: $vgpr86
; %bb.38:
	s_and_not1_saveexec_b32 s3, s3
; %bb.39:
	v_and_b32_e32 v89, 0xffff, v86
	v_or_b32_e32 v92, 0x10000, v86
	s_delay_alu instid0(VALU_DEP_2) | instskip(NEXT) | instid1(VALU_DEP_2)
	v_cmp_eq_u32_e32 vcc_lo, 0, v89
	v_cndmask_b32_e32 v89, v92, v86, vcc_lo
; %bb.40:
	s_or_b32 exec_lo, exec_lo, s3
	v_and_b32_e32 v86, 0x7f800000, v81
	s_delay_alu instid0(VALU_DEP_1) | instskip(SKIP_1) | instid1(SALU_CYCLE_1)
	v_cmp_ne_u32_e32 vcc_lo, 0x7f800000, v86
                                        ; implicit-def: $vgpr86
	s_and_saveexec_b32 s3, vcc_lo
	s_xor_b32 s3, exec_lo, s3
; %bb.41:
	v_bfe_u32 v86, v81, 16, 1
	s_delay_alu instid0(VALU_DEP_1)
	v_add3_u32 v86, v81, v86, 0x7fff
                                        ; implicit-def: $vgpr81
; %bb.42:
	s_and_not1_saveexec_b32 s3, s3
; %bb.43:
	v_and_b32_e32 v86, 0xffff, v81
	v_or_b32_e32 v92, 0x10000, v81
	s_delay_alu instid0(VALU_DEP_2) | instskip(NEXT) | instid1(VALU_DEP_2)
	v_cmp_eq_u32_e32 vcc_lo, 0, v86
	v_cndmask_b32_e32 v86, v92, v81, vcc_lo
; %bb.44:
	s_or_b32 exec_lo, exec_lo, s3
	s_load_b64 s[34:35], s[0:1], 0x94
	v_lshlrev_b32_e32 v93, 4, v65
	s_delay_alu instid0(VALU_DEP_2)
	v_perm_b32 v92, v86, v89, 0x7060302
	v_dual_mul_f32 v80, v84, v80 :: v_dual_lshlrev_b32 v81, 6, v66
	v_lshlrev_b32_e32 v66, 11, v68
	v_perm_b32 v89, v85, v77, 0x7060302
	v_mul_f32_e32 v85, v84, v71
	v_perm_b32 v91, v90, v91, 0x7060302
	v_perm_b32 v90, v88, v87, 0x7060302
	v_or3_b32 v77, v93, v66, v81
	v_mul_f32_e32 v66, v84, v83
	v_dual_mul_f32 v71, v84, v82 :: v_dual_and_b32 v86, 0x7f800000, v85
	v_mul_f32_e32 v79, v84, v79
	v_mul_f32_e32 v83, v84, v78
	;; [unrolled: 1-line block ×4, first 2 shown]
	s_mov_b32 s3, exec_lo
	ds_store_b128 v77, v[89:92]
                                        ; implicit-def: $vgpr70
	v_cmpx_ne_u32_e32 0x7f800000, v86
	s_xor_b32 s3, exec_lo, s3
; %bb.45:
	v_bfe_u32 v70, v85, 16, 1
	s_delay_alu instid0(VALU_DEP_1)
	v_add3_u32 v70, v85, v70, 0x7fff
                                        ; implicit-def: $vgpr85
; %bb.46:
	s_and_not1_saveexec_b32 s3, s3
; %bb.47:
	v_and_b32_e32 v70, 0xffff, v85
	v_or_b32_e32 v72, 0x10000, v85
	s_delay_alu instid0(VALU_DEP_2) | instskip(NEXT) | instid1(VALU_DEP_2)
	v_cmp_eq_u32_e32 vcc_lo, 0, v70
	v_cndmask_b32_e32 v70, v72, v85, vcc_lo
; %bb.48:
	s_or_b32 exec_lo, exec_lo, s3
	v_and_b32_e32 v72, 0x7f800000, v78
	s_delay_alu instid0(VALU_DEP_1) | instskip(SKIP_1) | instid1(SALU_CYCLE_1)
	v_cmp_ne_u32_e32 vcc_lo, 0x7f800000, v72
                                        ; implicit-def: $vgpr72
	s_and_saveexec_b32 s3, vcc_lo
	s_xor_b32 s3, exec_lo, s3
; %bb.49:
	v_bfe_u32 v72, v78, 16, 1
	s_delay_alu instid0(VALU_DEP_1)
	v_add3_u32 v72, v78, v72, 0x7fff
                                        ; implicit-def: $vgpr78
; %bb.50:
	s_and_not1_saveexec_b32 s3, s3
; %bb.51:
	v_and_b32_e32 v72, 0xffff, v78
	v_or_b32_e32 v84, 0x10000, v78
	s_delay_alu instid0(VALU_DEP_2) | instskip(NEXT) | instid1(VALU_DEP_2)
	v_cmp_eq_u32_e32 vcc_lo, 0, v72
	v_cndmask_b32_e32 v72, v84, v78, vcc_lo
; %bb.52:
	s_or_b32 exec_lo, exec_lo, s3
	v_and_b32_e32 v78, 0x7f800000, v82
	s_delay_alu instid0(VALU_DEP_1) | instskip(SKIP_1) | instid1(SALU_CYCLE_1)
	v_cmp_ne_u32_e32 vcc_lo, 0x7f800000, v78
                                        ; implicit-def: $vgpr78
	s_and_saveexec_b32 s3, vcc_lo
	s_xor_b32 s3, exec_lo, s3
; %bb.53:
	v_bfe_u32 v78, v82, 16, 1
	s_delay_alu instid0(VALU_DEP_1)
	v_add3_u32 v78, v82, v78, 0x7fff
                                        ; implicit-def: $vgpr82
; %bb.54:
	s_and_not1_saveexec_b32 s3, s3
; %bb.55:
	v_and_b32_e32 v78, 0xffff, v82
	v_or_b32_e32 v84, 0x10000, v82
	s_delay_alu instid0(VALU_DEP_2) | instskip(NEXT) | instid1(VALU_DEP_2)
	v_cmp_eq_u32_e32 vcc_lo, 0, v78
	v_cndmask_b32_e32 v78, v84, v82, vcc_lo
; %bb.56:
	s_or_b32 exec_lo, exec_lo, s3
	v_and_b32_e32 v82, 0x7f800000, v83
	s_delay_alu instid0(VALU_DEP_1) | instskip(SKIP_1) | instid1(SALU_CYCLE_1)
	v_cmp_ne_u32_e32 vcc_lo, 0x7f800000, v82
                                        ; implicit-def: $vgpr82
	s_and_saveexec_b32 s3, vcc_lo
	s_xor_b32 s3, exec_lo, s3
; %bb.57:
	v_bfe_u32 v82, v83, 16, 1
	s_delay_alu instid0(VALU_DEP_1)
	v_add3_u32 v82, v83, v82, 0x7fff
                                        ; implicit-def: $vgpr83
; %bb.58:
	s_and_not1_saveexec_b32 s3, s3
; %bb.59:
	v_and_b32_e32 v82, 0xffff, v83
	v_or_b32_e32 v84, 0x10000, v83
	s_delay_alu instid0(VALU_DEP_2) | instskip(NEXT) | instid1(VALU_DEP_2)
	v_cmp_eq_u32_e32 vcc_lo, 0, v82
	v_cndmask_b32_e32 v82, v84, v83, vcc_lo
; %bb.60:
	s_or_b32 exec_lo, exec_lo, s3
	v_and_b32_e32 v83, 0x7f800000, v79
	s_delay_alu instid0(VALU_DEP_1) | instskip(SKIP_1) | instid1(SALU_CYCLE_1)
	v_cmp_ne_u32_e32 vcc_lo, 0x7f800000, v83
                                        ; implicit-def: $vgpr83
	s_and_saveexec_b32 s3, vcc_lo
	s_xor_b32 s3, exec_lo, s3
; %bb.61:
	v_bfe_u32 v83, v79, 16, 1
	s_delay_alu instid0(VALU_DEP_1)
	v_add3_u32 v83, v79, v83, 0x7fff
                                        ; implicit-def: $vgpr79
; %bb.62:
	s_and_not1_saveexec_b32 s3, s3
; %bb.63:
	v_and_b32_e32 v83, 0xffff, v79
	v_or_b32_e32 v84, 0x10000, v79
	s_delay_alu instid0(VALU_DEP_2) | instskip(NEXT) | instid1(VALU_DEP_2)
	v_cmp_eq_u32_e32 vcc_lo, 0, v83
	v_cndmask_b32_e32 v83, v84, v79, vcc_lo
; %bb.64:
	s_or_b32 exec_lo, exec_lo, s3
	v_and_b32_e32 v79, 0x7f800000, v80
	s_delay_alu instid0(VALU_DEP_1) | instskip(SKIP_1) | instid1(SALU_CYCLE_1)
	v_cmp_ne_u32_e32 vcc_lo, 0x7f800000, v79
                                        ; implicit-def: $vgpr79
	s_and_saveexec_b32 s3, vcc_lo
	s_xor_b32 s3, exec_lo, s3
; %bb.65:
	v_bfe_u32 v79, v80, 16, 1
	s_delay_alu instid0(VALU_DEP_1)
	v_add3_u32 v79, v80, v79, 0x7fff
                                        ; implicit-def: $vgpr80
; %bb.66:
	s_and_not1_saveexec_b32 s3, s3
; %bb.67:
	v_and_b32_e32 v79, 0xffff, v80
	v_or_b32_e32 v84, 0x10000, v80
	s_delay_alu instid0(VALU_DEP_2) | instskip(NEXT) | instid1(VALU_DEP_2)
	v_cmp_eq_u32_e32 vcc_lo, 0, v79
	v_cndmask_b32_e32 v79, v84, v80, vcc_lo
; %bb.68:
	s_or_b32 exec_lo, exec_lo, s3
	v_and_b32_e32 v80, 0x7f800000, v71
	s_delay_alu instid0(VALU_DEP_1) | instskip(SKIP_1) | instid1(SALU_CYCLE_1)
	v_cmp_ne_u32_e32 vcc_lo, 0x7f800000, v80
                                        ; implicit-def: $vgpr80
	s_and_saveexec_b32 s3, vcc_lo
	s_xor_b32 s3, exec_lo, s3
; %bb.69:
	v_bfe_u32 v80, v71, 16, 1
	s_delay_alu instid0(VALU_DEP_1)
	v_add3_u32 v80, v71, v80, 0x7fff
                                        ; implicit-def: $vgpr71
; %bb.70:
	s_and_not1_saveexec_b32 s3, s3
; %bb.71:
	v_and_b32_e32 v80, 0xffff, v71
	v_or_b32_e32 v84, 0x10000, v71
	s_delay_alu instid0(VALU_DEP_2) | instskip(NEXT) | instid1(VALU_DEP_2)
	v_cmp_eq_u32_e32 vcc_lo, 0, v80
	v_cndmask_b32_e32 v80, v84, v71, vcc_lo
; %bb.72:
	s_or_b32 exec_lo, exec_lo, s3
	v_and_b32_e32 v71, 0x7f800000, v66
	s_delay_alu instid0(VALU_DEP_1) | instskip(SKIP_1) | instid1(SALU_CYCLE_1)
	v_cmp_ne_u32_e32 vcc_lo, 0x7f800000, v71
                                        ; implicit-def: $vgpr71
	s_and_saveexec_b32 s3, vcc_lo
	s_xor_b32 s3, exec_lo, s3
; %bb.73:
	v_bfe_u32 v71, v66, 16, 1
	s_delay_alu instid0(VALU_DEP_1)
	v_add3_u32 v71, v66, v71, 0x7fff
                                        ; implicit-def: $vgpr66
; %bb.74:
	s_and_not1_saveexec_b32 s3, s3
; %bb.75:
	v_and_b32_e32 v71, 0xffff, v66
	v_or_b32_e32 v84, 0x10000, v66
	s_delay_alu instid0(VALU_DEP_2) | instskip(NEXT) | instid1(VALU_DEP_2)
	v_cmp_eq_u32_e32 vcc_lo, 0, v71
	v_cndmask_b32_e32 v71, v84, v66, vcc_lo
; %bb.76:
	s_or_b32 exec_lo, exec_lo, s3
	s_delay_alu instid0(VALU_DEP_1)
	v_perm_b32 v87, v71, v80, 0x7060302
	v_perm_b32 v86, v79, v83, 0x7060302
	;; [unrolled: 1-line block ×4, first 2 shown]
	v_lshl_or_b32 v83, v68, 11, v81
	ds_store_b128 v77, v[84:87] offset:1024
	s_waitcnt lgkmcnt(0)
	s_barrier
	buffer_gl0_inv
	ds_load_b128 v[84:87], v83
	ds_load_b128 v[88:91], v83 offset:16
	s_waitcnt lgkmcnt(1)
	v_lshrrev_b32_e32 v70, 16, v87
	s_waitcnt lgkmcnt(0)
	v_lshrrev_b32_e32 v71, 16, v88
	v_lshlrev_b32_e32 v79, 2, v65
	v_lshrrev_b32_e32 v65, 16, v84
	v_lshrrev_b32_e32 v66, 16, v85
	;; [unrolled: 1-line block ×4, first 2 shown]
	v_cmp_eq_u32_e32 vcc_lo, 1, v79
	v_lshrrev_b32_e32 v100, 16, v90
	v_lshrrev_b32_e32 v101, 16, v91
	v_cndmask_b32_e32 v92, v88, v71, vcc_lo
	v_or_b32_e32 v80, 1, v79
	v_cndmask_b32_e32 v82, v84, v65, vcc_lo
	v_cmp_eq_u32_e64 s4, 2, v79
	v_cmp_eq_u32_e64 s7, 3, v79
	;; [unrolled: 1-line block ×5, first 2 shown]
	v_cndmask_b32_e64 v82, v82, v85, s4
	v_cndmask_b32_e64 v92, v92, v89, s4
	v_cmp_eq_u32_e64 s8, 3, v80
	v_cndmask_b32_e64 v93, v84, v65, s3
	v_or_b32_e32 v78, 2, v79
	v_cndmask_b32_e64 v82, v82, v66, s7
	v_cndmask_b32_e64 v92, v92, v72, s7
	;; [unrolled: 1-line block ×4, first 2 shown]
	v_cmp_eq_u32_e64 s10, 5, v79
	v_cndmask_b32_e64 v82, v82, v86, s9
	v_cndmask_b32_e64 v92, v92, v90, s9
	v_cmp_eq_u32_e64 s11, 4, v80
	v_cndmask_b32_e64 v93, v93, v66, s8
	v_cmp_eq_u32_e64 s5, 1, v78
	v_cndmask_b32_e64 v94, v94, v89, s6
	v_cndmask_b32_e64 v82, v82, v68, s10
	v_cmp_eq_u32_e64 s12, 6, v79
	v_cndmask_b32_e64 v93, v93, v86, s11
	;; [unrolled: 3-line block ×3, first 2 shown]
	v_cndmask_b32_e64 v94, v94, v72, s8
	v_cndmask_b32_e64 v82, v82, v87, s12
	v_cmp_eq_u32_e64 s15, 7, v79
	v_cndmask_b32_e64 v93, v93, v68, s13
	v_cndmask_b32_e64 v92, v92, v91, s12
	v_cmp_eq_u32_e64 s16, 6, v80
	v_cmp_eq_u32_e64 s17, 2, v78
	v_cndmask_b32_e64 v94, v94, v90, s11
	v_cndmask_b32_e64 v102, v82, v70, s15
	v_cndmask_b32_e64 v103, v92, v101, s15
	v_cndmask_b32_e64 v93, v93, v87, s16
	v_cndmask_b32_e64 v82, v95, v85, s17
	v_cndmask_b32_e64 v92, v88, v71, s5
	v_cmp_eq_u32_e64 s18, 7, v80
	v_cmp_eq_u32_e64 s19, 3, v78
	;; [unrolled: 1-line block ×4, first 2 shown]
	v_cndmask_b32_e64 v92, v92, v89, s17
	v_cndmask_b32_e64 v104, v93, v70, s18
	;; [unrolled: 1-line block ×4, first 2 shown]
	v_or_b32_e32 v82, 3, v79
	v_cndmask_b32_e64 v97, v92, v72, s19
	v_cmp_eq_u32_e64 s24, 6, v78
	v_cndmask_b32_e64 v105, v93, v91, s16
	v_cndmask_b32_e64 v96, v94, v86, s20
	v_cmp_eq_u32_e64 s21, 1, v82
	ds_load_b128 v[92:95], v83 offset:1024
	v_cmp_eq_u32_e64 s23, 2, v82
	v_cmp_eq_u32_e64 s25, 3, v82
	v_cndmask_b32_e64 v106, v96, v68, s22
	v_cndmask_b32_e64 v65, v84, v65, s21
	;; [unrolled: 1-line block ×3, first 2 shown]
	ds_load_b128 v[96:99], v83 offset:1040
	v_cndmask_b32_e64 v71, v88, v71, s21
	v_cmp_eq_u32_e64 s26, 4, v82
	v_cndmask_b32_e64 v65, v65, v85, s23
	v_cmp_eq_u32_e64 s28, 5, v82
	v_cmp_eq_u32_e64 s29, 6, v82
	v_cndmask_b32_e64 v71, v71, v89, s23
	v_cndmask_b32_e64 v84, v84, v100, s22
	;; [unrolled: 1-line block ×4, first 2 shown]
	v_cmp_eq_u32_e64 s27, 7, v78
	v_cndmask_b32_e64 v71, v71, v72, s25
	v_cndmask_b32_e64 v84, v84, v91, s24
	v_cndmask_b32_e64 v65, v65, v86, s26
	s_waitcnt lgkmcnt(1)
	v_lshrrev_b32_e32 v72, 16, v92
	v_lshrrev_b32_e32 v88, 16, v93
	v_cndmask_b32_e64 v71, v71, v90, s26
	v_cndmask_b32_e64 v66, v66, v70, s27
	;; [unrolled: 1-line block ×3, first 2 shown]
	v_cndmask_b32_e32 v86, v92, v72, vcc_lo
	v_cndmask_b32_e64 v89, v92, v72, s3
	v_cndmask_b32_e64 v68, v71, v100, s28
	s_waitcnt lgkmcnt(0)
	v_lshrrev_b32_e32 v71, 16, v96
	v_cndmask_b32_e64 v65, v65, v87, s29
	v_cndmask_b32_e64 v86, v86, v93, s4
	;; [unrolled: 1-line block ×4, first 2 shown]
	v_cndmask_b32_e32 v90, v96, v71, vcc_lo
	v_cmp_eq_u32_e32 vcc_lo, 7, v82
	v_cndmask_b32_e64 v86, v86, v88, s7
	v_cndmask_b32_e64 v87, v87, v88, s8
	v_lshrrev_b32_e32 v91, 16, v94
	v_cndmask_b32_e64 v89, v90, v97, s4
	v_lshrrev_b32_e32 v90, 16, v97
	v_cndmask_b32_e64 v86, v86, v94, s9
	v_dual_cndmask_b32 v65, v65, v70 :: v_dual_cndmask_b32 v68, v68, v101
	v_cndmask_b32_e64 v70, v87, v94, s11
	s_delay_alu instid0(VALU_DEP_4) | instskip(NEXT) | instid1(VALU_DEP_4)
	v_cndmask_b32_e64 v89, v89, v90, s7
	v_cndmask_b32_e64 v86, v86, v91, s10
	v_lshrrev_b32_e32 v100, 16, v98
	v_cndmask_b32_e64 v84, v84, v101, s27
	v_perm_b32 v87, v68, v65, 0x5040100
	v_cndmask_b32_e64 v89, v89, v98, s9
	v_cndmask_b32_e64 v65, v70, v91, s13
	v_cndmask_b32_e64 v68, v86, v95, s12
	v_lshrrev_b32_e32 v70, 16, v95
	v_cndmask_b32_e64 v85, v105, v101, s18
	v_cndmask_b32_e64 v89, v89, v100, s10
	v_perm_b32 v86, v84, v66, 0x5040100
	v_cndmask_b32_e64 v101, v96, v71, s5
	v_cndmask_b32_e64 v66, v68, v70, s15
	;; [unrolled: 1-line block ×8, first 2 shown]
	v_lshrrev_b32_e32 v84, 16, v99
	v_cndmask_b32_e64 v89, v89, v93, s17
	v_cndmask_b32_e64 v72, v72, v93, s23
	;; [unrolled: 1-line block ×27, first 2 shown]
	v_cndmask_b32_e32 v70, v72, v70, vcc_lo
	v_cndmask_b32_e32 v72, v88, v84, vcc_lo
	v_cndmask_b32_e64 v88, v90, v84, s27
	v_cndmask_b32_e64 v71, v71, v84, s18
	;; [unrolled: 1-line block ×3, first 2 shown]
	v_perm_b32 v85, v85, v104, 0x5040100
	v_perm_b32 v84, v103, v102, 0x5040100
	;; [unrolled: 1-line block ×6, first 2 shown]
	s_lshl_b32 s8, s35, 1
	s_mov_b32 s3, exec_lo
	ds_store_b128 v77, v[84:87]
	ds_store_b128 v77, v[88:91] offset:1024
	v_cmpx_gt_u32_e32 2, v0
	s_cbranch_execz .LBB1583_78
; %bb.77:
	v_or_b32_e32 v65, s31, v0
	s_load_b128 s[4:7], s[0:1], 0x58
	s_delay_alu instid0(VALU_DEP_1) | instskip(NEXT) | instid1(VALU_DEP_1)
	v_mad_u64_u32 v[70:71], null, s8, s30, v[65:66]
	v_mad_u64_u32 v[65:66], null, v70, s34, s[14:15]
	s_delay_alu instid0(VALU_DEP_1) | instskip(NEXT) | instid1(VALU_DEP_1)
	v_ashrrev_i32_e32 v66, 31, v65
	v_lshlrev_b64 v[65:66], 2, v[65:66]
	s_waitcnt lgkmcnt(0)
	s_delay_alu instid0(VALU_DEP_1) | instskip(NEXT) | instid1(VALU_DEP_2)
	v_add_co_u32 v70, vcc_lo, s6, v65
	v_add_co_ci_u32_e32 v71, vcc_lo, s7, v66, vcc_lo
	v_add_co_u32 v65, vcc_lo, s4, v65
	v_add_co_ci_u32_e32 v66, vcc_lo, s5, v66, vcc_lo
	global_store_b32 v[70:71], v67, off
	global_store_b32 v[65:66], v69, off
.LBB1583_78:
	s_or_b32 exec_lo, exec_lo, s3
	s_waitcnt lgkmcnt(0)
	s_waitcnt_vscnt null, 0x0
	s_barrier
	buffer_gl0_inv
	ds_load_b128 v[84:87], v81
	ds_load_b128 v[88:91], v81 offset:16
	ds_load_b128 v[96:99], v81 offset:2064
	;; [unrolled: 1-line block ×3, first 2 shown]
	v_mov_b32_e32 v65, 0
	ds_load_b128 v[104:107], v81 offset:4112
	ds_load_b128 v[100:103], v81 offset:4096
	;; [unrolled: 1-line block ×4, first 2 shown]
	v_mov_b32_e32 v66, v65
	v_mov_b32_e32 v67, v65
	;; [unrolled: 1-line block ×7, first 2 shown]
	s_waitcnt lgkmcnt(6)
	s_delay_alu instid0(VALU_DEP_1)
	v_wmma_f32_16x16x16_bf16 v[65:72], v[41:48], v[84:91], v[65:72]
	ds_load_b128 v[45:48], v81 offset:8208
	ds_load_b128 v[41:44], v81 offset:8192
	s_waitcnt lgkmcnt(6)
	v_wmma_f32_16x16x16_bf16 v[65:72], v[33:40], v[92:99], v[65:72]
	ds_load_b128 v[37:40], v81 offset:10256
	ds_load_b128 v[33:36], v81 offset:10240
	s_waitcnt lgkmcnt(6)
	;; [unrolled: 4-line block ×4, first 2 shown]
	v_wmma_f32_16x16x16_bf16 v[65:72], v[1:8], v[41:48], v[65:72]
	s_waitcnt lgkmcnt(4)
	s_delay_alu instid0(VALU_DEP_1) | instskip(SKIP_1) | instid1(VALU_DEP_1)
	v_wmma_f32_16x16x16_bf16 v[65:72], v[9:16], v[33:40], v[65:72]
	s_waitcnt lgkmcnt(2)
	v_wmma_f32_16x16x16_bf16 v[65:72], v[57:64], v[25:32], v[65:72]
	s_waitcnt lgkmcnt(0)
	s_delay_alu instid0(VALU_DEP_1) | instskip(NEXT) | instid1(VALU_DEP_1)
	v_wmma_f32_16x16x16_bf16 v[65:72], v[49:56], v[17:24], v[65:72]
	v_and_b32_e32 v1, 0x7f800000, v65
	s_delay_alu instid0(VALU_DEP_1) | instskip(SKIP_1) | instid1(SALU_CYCLE_1)
	v_cmp_ne_u32_e32 vcc_lo, 0x7f800000, v1
                                        ; implicit-def: $vgpr1
	s_and_saveexec_b32 s3, vcc_lo
	s_xor_b32 s3, exec_lo, s3
; %bb.79:
	v_bfe_u32 v1, v65, 16, 1
	s_delay_alu instid0(VALU_DEP_1)
	v_add3_u32 v1, v65, v1, 0x7fff
; %bb.80:
	s_and_not1_saveexec_b32 s3, s3
; %bb.81:
	v_and_b32_e32 v1, 0xffff, v65
	v_or_b32_e32 v2, 0x10000, v65
	s_delay_alu instid0(VALU_DEP_2) | instskip(NEXT) | instid1(VALU_DEP_2)
	v_cmp_eq_u32_e32 vcc_lo, 0, v1
	v_cndmask_b32_e32 v1, v2, v65, vcc_lo
; %bb.82:
	s_or_b32 exec_lo, exec_lo, s3
	v_and_b32_e32 v2, 0x7f800000, v66
	s_delay_alu instid0(VALU_DEP_1) | instskip(SKIP_1) | instid1(SALU_CYCLE_1)
	v_cmp_ne_u32_e32 vcc_lo, 0x7f800000, v2
                                        ; implicit-def: $vgpr2
	s_and_saveexec_b32 s3, vcc_lo
	s_xor_b32 s3, exec_lo, s3
; %bb.83:
	v_bfe_u32 v2, v66, 16, 1
	s_delay_alu instid0(VALU_DEP_1)
	v_add3_u32 v2, v66, v2, 0x7fff
; %bb.84:
	s_and_not1_saveexec_b32 s3, s3
; %bb.85:
	v_and_b32_e32 v2, 0xffff, v66
	v_or_b32_e32 v3, 0x10000, v66
	s_delay_alu instid0(VALU_DEP_2) | instskip(NEXT) | instid1(VALU_DEP_2)
	v_cmp_eq_u32_e32 vcc_lo, 0, v2
	v_cndmask_b32_e32 v2, v3, v66, vcc_lo
; %bb.86:
	s_or_b32 exec_lo, exec_lo, s3
	v_and_b32_e32 v3, 0x7f800000, v67
	s_delay_alu instid0(VALU_DEP_1) | instskip(SKIP_1) | instid1(SALU_CYCLE_1)
	v_cmp_ne_u32_e32 vcc_lo, 0x7f800000, v3
                                        ; implicit-def: $vgpr3
	s_and_saveexec_b32 s3, vcc_lo
	s_xor_b32 s3, exec_lo, s3
; %bb.87:
	v_bfe_u32 v3, v67, 16, 1
	s_delay_alu instid0(VALU_DEP_1)
	v_add3_u32 v3, v67, v3, 0x7fff
; %bb.88:
	s_and_not1_saveexec_b32 s3, s3
; %bb.89:
	v_and_b32_e32 v3, 0xffff, v67
	v_or_b32_e32 v4, 0x10000, v67
	s_delay_alu instid0(VALU_DEP_2) | instskip(NEXT) | instid1(VALU_DEP_2)
	v_cmp_eq_u32_e32 vcc_lo, 0, v3
	v_cndmask_b32_e32 v3, v4, v67, vcc_lo
; %bb.90:
	s_or_b32 exec_lo, exec_lo, s3
	v_and_b32_e32 v4, 0x7f800000, v68
	s_delay_alu instid0(VALU_DEP_1) | instskip(SKIP_1) | instid1(SALU_CYCLE_1)
	v_cmp_ne_u32_e32 vcc_lo, 0x7f800000, v4
                                        ; implicit-def: $vgpr4
	s_and_saveexec_b32 s3, vcc_lo
	s_xor_b32 s3, exec_lo, s3
; %bb.91:
	v_bfe_u32 v4, v68, 16, 1
	s_delay_alu instid0(VALU_DEP_1)
	v_add3_u32 v4, v68, v4, 0x7fff
; %bb.92:
	s_and_not1_saveexec_b32 s3, s3
; %bb.93:
	v_and_b32_e32 v4, 0xffff, v68
	v_or_b32_e32 v5, 0x10000, v68
	s_delay_alu instid0(VALU_DEP_2) | instskip(NEXT) | instid1(VALU_DEP_2)
	v_cmp_eq_u32_e32 vcc_lo, 0, v4
	v_cndmask_b32_e32 v4, v5, v68, vcc_lo
; %bb.94:
	s_or_b32 exec_lo, exec_lo, s3
	v_and_b32_e32 v5, 0x7f800000, v69
	s_delay_alu instid0(VALU_DEP_1) | instskip(SKIP_1) | instid1(SALU_CYCLE_1)
	v_cmp_ne_u32_e32 vcc_lo, 0x7f800000, v5
                                        ; implicit-def: $vgpr5
	s_and_saveexec_b32 s3, vcc_lo
	s_xor_b32 s3, exec_lo, s3
; %bb.95:
	v_bfe_u32 v5, v69, 16, 1
	s_delay_alu instid0(VALU_DEP_1)
	v_add3_u32 v5, v69, v5, 0x7fff
; %bb.96:
	s_and_not1_saveexec_b32 s3, s3
; %bb.97:
	v_and_b32_e32 v5, 0xffff, v69
	v_or_b32_e32 v6, 0x10000, v69
	s_delay_alu instid0(VALU_DEP_2) | instskip(NEXT) | instid1(VALU_DEP_2)
	v_cmp_eq_u32_e32 vcc_lo, 0, v5
	v_cndmask_b32_e32 v5, v6, v69, vcc_lo
; %bb.98:
	s_or_b32 exec_lo, exec_lo, s3
	v_and_b32_e32 v6, 0x7f800000, v70
	s_delay_alu instid0(VALU_DEP_1) | instskip(SKIP_1) | instid1(SALU_CYCLE_1)
	v_cmp_ne_u32_e32 vcc_lo, 0x7f800000, v6
                                        ; implicit-def: $vgpr6
	s_and_saveexec_b32 s3, vcc_lo
	s_xor_b32 s3, exec_lo, s3
; %bb.99:
	v_bfe_u32 v6, v70, 16, 1
	s_delay_alu instid0(VALU_DEP_1)
	v_add3_u32 v6, v70, v6, 0x7fff
; %bb.100:
	s_and_not1_saveexec_b32 s3, s3
; %bb.101:
	v_and_b32_e32 v6, 0xffff, v70
	v_or_b32_e32 v7, 0x10000, v70
	s_delay_alu instid0(VALU_DEP_2) | instskip(NEXT) | instid1(VALU_DEP_2)
	v_cmp_eq_u32_e32 vcc_lo, 0, v6
	v_cndmask_b32_e32 v6, v7, v70, vcc_lo
; %bb.102:
	s_or_b32 exec_lo, exec_lo, s3
	v_and_b32_e32 v7, 0x7f800000, v71
	s_delay_alu instid0(VALU_DEP_1) | instskip(SKIP_1) | instid1(SALU_CYCLE_1)
	v_cmp_ne_u32_e32 vcc_lo, 0x7f800000, v7
                                        ; implicit-def: $vgpr7
	s_and_saveexec_b32 s3, vcc_lo
	s_xor_b32 s3, exec_lo, s3
; %bb.103:
	v_bfe_u32 v7, v71, 16, 1
	s_delay_alu instid0(VALU_DEP_1)
	v_add3_u32 v7, v71, v7, 0x7fff
; %bb.104:
	s_and_not1_saveexec_b32 s3, s3
; %bb.105:
	v_and_b32_e32 v7, 0xffff, v71
	v_or_b32_e32 v8, 0x10000, v71
	s_delay_alu instid0(VALU_DEP_2) | instskip(NEXT) | instid1(VALU_DEP_2)
	v_cmp_eq_u32_e32 vcc_lo, 0, v7
	v_cndmask_b32_e32 v7, v8, v71, vcc_lo
; %bb.106:
	s_or_b32 exec_lo, exec_lo, s3
	v_and_b32_e32 v8, 0x7f800000, v72
	s_delay_alu instid0(VALU_DEP_1) | instskip(SKIP_1) | instid1(SALU_CYCLE_1)
	v_cmp_ne_u32_e32 vcc_lo, 0x7f800000, v8
                                        ; implicit-def: $vgpr8
	s_and_saveexec_b32 s3, vcc_lo
	s_xor_b32 s3, exec_lo, s3
; %bb.107:
	v_bfe_u32 v8, v72, 16, 1
	s_delay_alu instid0(VALU_DEP_1)
	v_add3_u32 v8, v72, v8, 0x7fff
                                        ; implicit-def: $vgpr65_vgpr66_vgpr67_vgpr68_vgpr69_vgpr70_vgpr71_vgpr72
; %bb.108:
	s_and_not1_saveexec_b32 s3, s3
; %bb.109:
	v_and_b32_e32 v8, 0xffff, v72
	v_or_b32_e32 v9, 0x10000, v72
	s_delay_alu instid0(VALU_DEP_2) | instskip(NEXT) | instid1(VALU_DEP_2)
	v_cmp_eq_u32_e32 vcc_lo, 0, v8
	v_cndmask_b32_e32 v8, v9, v72, vcc_lo
; %bb.110:
	s_or_b32 exec_lo, exec_lo, s3
	s_delay_alu instid0(VALU_DEP_1)
	v_perm_b32 v7, v8, v7, 0x7060302
	v_perm_b32 v6, v6, v5, 0x7060302
	;; [unrolled: 1-line block ×4, first 2 shown]
	s_barrier
	buffer_gl0_inv
	v_cmp_eq_u32_e32 vcc_lo, 1, v79
	ds_store_b128 v77, v[4:7]
	s_waitcnt lgkmcnt(0)
	s_barrier
	buffer_gl0_inv
	ds_load_b128 v[1:4], v83
	ds_load_b128 v[5:8], v83 offset:16
	v_cmp_eq_u32_e64 s3, 1, v80
	v_cmp_eq_u32_e64 s4, 2, v79
	;; [unrolled: 1-line block ×5, first 2 shown]
	s_waitcnt lgkmcnt(1)
	v_lshrrev_b32_e32 v9, 16, v1
	s_waitcnt lgkmcnt(0)
	v_lshrrev_b32_e32 v13, 16, v5
	v_lshrrev_b32_e32 v10, 16, v2
	;; [unrolled: 1-line block ×4, first 2 shown]
	v_cndmask_b32_e64 v19, v1, v9, s3
	v_cndmask_b32_e32 v18, v5, v13, vcc_lo
	v_cndmask_b32_e64 v20, v5, v13, s3
	v_cndmask_b32_e32 v17, v1, v9, vcc_lo
	v_cmp_eq_u32_e32 vcc_lo, 2, v80
	v_lshrrev_b32_e32 v15, 16, v7
	v_cmp_eq_u32_e64 s3, 1, v78
	v_lshrrev_b32_e32 v12, 16, v4
	v_lshrrev_b32_e32 v16, 16, v8
	v_cndmask_b32_e32 v20, v20, v6, vcc_lo
	v_cndmask_b32_e64 v17, v17, v2, s4
	v_cndmask_b32_e32 v19, v19, v2, vcc_lo
	v_cndmask_b32_e64 v18, v18, v6, s4
	v_cmp_eq_u32_e32 vcc_lo, 4, v79
	v_cmp_eq_u32_e64 s4, 3, v80
	v_cndmask_b32_e64 v17, v17, v10, s5
	v_cndmask_b32_e64 v21, v1, v9, s3
	;; [unrolled: 1-line block ×5, first 2 shown]
	v_cndmask_b32_e32 v17, v17, v3, vcc_lo
	v_cndmask_b32_e64 v20, v20, v14, s4
	v_cndmask_b32_e32 v18, v18, v7, vcc_lo
	v_cmp_eq_u32_e32 vcc_lo, 4, v80
	v_cmp_eq_u32_e64 s4, 5, v80
	v_cmp_eq_u32_e64 s3, 2, v82
	v_cndmask_b32_e64 v21, v21, v2, s7
	v_cmp_eq_u32_e64 s5, 5, v79
	v_cndmask_b32_e32 v19, v19, v3, vcc_lo
	v_cndmask_b32_e32 v20, v20, v7, vcc_lo
	v_cmp_eq_u32_e32 vcc_lo, 6, v80
	s_delay_alu instid0(VALU_DEP_4) | instskip(NEXT) | instid1(VALU_DEP_4)
	v_cndmask_b32_e64 v17, v17, v11, s5
	v_cndmask_b32_e64 v19, v19, v11, s4
	s_delay_alu instid0(VALU_DEP_4) | instskip(SKIP_1) | instid1(VALU_DEP_3)
	v_cndmask_b32_e64 v20, v20, v15, s4
	v_cmp_eq_u32_e64 s4, 1, v82
	v_cndmask_b32_e32 v19, v19, v4, vcc_lo
	v_cndmask_b32_e64 v18, v18, v15, s5
	s_delay_alu instid0(VALU_DEP_3)
	v_cndmask_b32_e64 v1, v1, v9, s4
	v_cndmask_b32_e64 v5, v5, v13, s4
	v_cmp_eq_u32_e64 s4, 3, v78
	v_cndmask_b32_e64 v13, v22, v6, s7
	v_cmp_eq_u32_e64 s7, 3, v82
	v_cndmask_b32_e64 v1, v1, v2, s3
	v_cndmask_b32_e64 v2, v5, v6, s3
	;; [unrolled: 1-line block ×3, first 2 shown]
	v_cmp_eq_u32_e64 s3, 4, v78
	v_cndmask_b32_e64 v6, v13, v14, s4
	v_cndmask_b32_e64 v1, v1, v10, s7
	v_cmp_eq_u32_e64 s4, 4, v82
	v_cndmask_b32_e64 v2, v2, v14, s7
	v_cndmask_b32_e64 v5, v9, v3, s3
	;; [unrolled: 3-line block ×3, first 2 shown]
	v_cndmask_b32_e64 v2, v2, v7, s4
	v_cmp_eq_u32_e64 s3, 5, v82
	v_cmp_eq_u32_e64 s5, 6, v79
	v_cndmask_b32_e64 v5, v5, v11, s7
	v_cmp_eq_u32_e64 s4, 6, v78
	v_cndmask_b32_e64 v3, v6, v15, s7
	v_cndmask_b32_e64 v1, v1, v11, s3
	v_cmp_eq_u32_e64 s7, 6, v82
	v_cndmask_b32_e64 v2, v2, v15, s3
	v_cndmask_b32_e64 v17, v17, v4, s5
	v_cndmask_b32_e64 v18, v18, v8, s5
	v_cmp_eq_u32_e64 s5, 7, v79
	v_cndmask_b32_e64 v5, v5, v4, s4
	;; [unrolled: 4-line block ×3, first 2 shown]
	v_cmp_eq_u32_e64 s4, 7, v78
	v_cndmask_b32_e32 v4, v20, v8, vcc_lo
	v_cndmask_b32_e64 v17, v17, v12, s5
	v_cndmask_b32_e64 v19, v19, v12, s6
	;; [unrolled: 1-line block ×8, first 2 shown]
	s_delay_alu instid0(VALU_DEP_4) | instskip(NEXT) | instid1(VALU_DEP_4)
	v_perm_b32 v4, v2, v1, 0x5040100
	v_perm_b32 v3, v3, v5, 0x5040100
	s_delay_alu instid0(VALU_DEP_4) | instskip(NEXT) | instid1(VALU_DEP_4)
	v_perm_b32 v2, v6, v19, 0x5040100
	v_perm_b32 v1, v7, v17, 0x5040100
	ds_store_b128 v77, v[1:4]
	s_waitcnt lgkmcnt(0)
	s_barrier
	buffer_gl0_inv
	s_and_saveexec_b32 s3, s2
	s_cbranch_execz .LBB1583_2
; %bb.111:
	s_load_b64 s[0:1], s[0:1], 0x68
	v_lshlrev_b32_e32 v0, 10, v0
	s_lshl_b32 s2, s34, 7
	v_lshlrev_b32_e32 v1, 4, v76
	v_mul_lo_u32 v4, s2, v75
	s_mul_i32 s3, s2, s30
	v_and_b32_e32 v0, 0x3800, v0
	s_mul_i32 s2, s3, s8
	s_delay_alu instid0(SALU_CYCLE_1) | instskip(NEXT) | instid1(VALU_DEP_1)
	s_ashr_i32 s3, s2, 31
	v_or3_b32 v0, v0, v74, v1
	s_lshl_b64 s[2:3], s[2:3], 1
	s_delay_alu instid0(VALU_DEP_3)
	v_ashrrev_i32_e32 v5, 31, v4
	ds_load_b128 v[0:3], v0
	v_lshlrev_b64 v[4:5], 1, v[4:5]
	s_waitcnt lgkmcnt(0)
	s_add_u32 s2, s0, s2
	s_addc_u32 s3, s1, s3
	s_lshl_b32 s0, s14, 7
	s_delay_alu instid0(SALU_CYCLE_1) | instskip(NEXT) | instid1(SALU_CYCLE_1)
	s_ashr_i32 s1, s0, 31
	s_lshl_b64 s[0:1], s[0:1], 1
	s_delay_alu instid0(SALU_CYCLE_1) | instskip(SKIP_3) | instid1(VALU_DEP_2)
	s_add_u32 s0, s2, s0
	s_addc_u32 s1, s3, s1
	v_add_co_u32 v4, vcc_lo, s0, v4
	v_add_co_ci_u32_e32 v5, vcc_lo, s1, v5, vcc_lo
	v_add_co_u32 v4, vcc_lo, v4, v73
	s_delay_alu instid0(VALU_DEP_2)
	v_add_co_ci_u32_e32 v5, vcc_lo, 0, v5, vcc_lo
	global_store_b128 v[4:5], v[0:3], off
	s_nop 0
	s_sendmsg sendmsg(MSG_DEALLOC_VGPRS)
	s_endpgm
	.section	.rodata,"a",@progbits
	.p2align	6, 0x0
	.amdhsa_kernel _Z39paged_attention_ll4mi_QKV_mfma16_kernelI14__hip_bfloat16hLN4vllm18Fp8KVCacheDataTypeE1ES0_Li16ELi128ELi256ELb0ELi2EL8MFMAType1EEvPKT_PKT0_S9_ifPKiSB_SB_iPKfiiiPfSE_PS4_PT2_iSD_SD_
		.amdhsa_group_segment_fixed_size 17472
		.amdhsa_private_segment_fixed_size 0
		.amdhsa_kernarg_size 400
		.amdhsa_user_sgpr_count 13
		.amdhsa_user_sgpr_dispatch_ptr 0
		.amdhsa_user_sgpr_queue_ptr 0
		.amdhsa_user_sgpr_kernarg_segment_ptr 1
		.amdhsa_user_sgpr_dispatch_id 0
		.amdhsa_user_sgpr_private_segment_size 0
		.amdhsa_wavefront_size32 1
		.amdhsa_uses_dynamic_stack 0
		.amdhsa_enable_private_segment 0
		.amdhsa_system_sgpr_workgroup_id_x 1
		.amdhsa_system_sgpr_workgroup_id_y 1
		.amdhsa_system_sgpr_workgroup_id_z 1
		.amdhsa_system_sgpr_workgroup_info 0
		.amdhsa_system_vgpr_workitem_id 0
		.amdhsa_next_free_vgpr 138
		.amdhsa_next_free_sgpr 36
		.amdhsa_reserve_vcc 1
		.amdhsa_float_round_mode_32 0
		.amdhsa_float_round_mode_16_64 0
		.amdhsa_float_denorm_mode_32 3
		.amdhsa_float_denorm_mode_16_64 3
		.amdhsa_dx10_clamp 1
		.amdhsa_ieee_mode 1
		.amdhsa_fp16_overflow 0
		.amdhsa_workgroup_processor_mode 1
		.amdhsa_memory_ordered 1
		.amdhsa_forward_progress 0
		.amdhsa_shared_vgpr_count 0
		.amdhsa_exception_fp_ieee_invalid_op 0
		.amdhsa_exception_fp_denorm_src 0
		.amdhsa_exception_fp_ieee_div_zero 0
		.amdhsa_exception_fp_ieee_overflow 0
		.amdhsa_exception_fp_ieee_underflow 0
		.amdhsa_exception_fp_ieee_inexact 0
		.amdhsa_exception_int_div_zero 0
	.end_amdhsa_kernel
	.section	.text._Z39paged_attention_ll4mi_QKV_mfma16_kernelI14__hip_bfloat16hLN4vllm18Fp8KVCacheDataTypeE1ES0_Li16ELi128ELi256ELb0ELi2EL8MFMAType1EEvPKT_PKT0_S9_ifPKiSB_SB_iPKfiiiPfSE_PS4_PT2_iSD_SD_,"axG",@progbits,_Z39paged_attention_ll4mi_QKV_mfma16_kernelI14__hip_bfloat16hLN4vllm18Fp8KVCacheDataTypeE1ES0_Li16ELi128ELi256ELb0ELi2EL8MFMAType1EEvPKT_PKT0_S9_ifPKiSB_SB_iPKfiiiPfSE_PS4_PT2_iSD_SD_,comdat
.Lfunc_end1583:
	.size	_Z39paged_attention_ll4mi_QKV_mfma16_kernelI14__hip_bfloat16hLN4vllm18Fp8KVCacheDataTypeE1ES0_Li16ELi128ELi256ELb0ELi2EL8MFMAType1EEvPKT_PKT0_S9_ifPKiSB_SB_iPKfiiiPfSE_PS4_PT2_iSD_SD_, .Lfunc_end1583-_Z39paged_attention_ll4mi_QKV_mfma16_kernelI14__hip_bfloat16hLN4vllm18Fp8KVCacheDataTypeE1ES0_Li16ELi128ELi256ELb0ELi2EL8MFMAType1EEvPKT_PKT0_S9_ifPKiSB_SB_iPKfiiiPfSE_PS4_PT2_iSD_SD_
                                        ; -- End function
	.section	.AMDGPU.csdata,"",@progbits
; Kernel info:
; codeLenInByte = 8624
; NumSgprs: 38
; NumVgprs: 138
; ScratchSize: 0
; MemoryBound: 0
; FloatMode: 240
; IeeeMode: 1
; LDSByteSize: 17472 bytes/workgroup (compile time only)
; SGPRBlocks: 4
; VGPRBlocks: 17
; NumSGPRsForWavesPerEU: 38
; NumVGPRsForWavesPerEU: 138
; Occupancy: 10
; WaveLimiterHint : 1
; COMPUTE_PGM_RSRC2:SCRATCH_EN: 0
; COMPUTE_PGM_RSRC2:USER_SGPR: 13
; COMPUTE_PGM_RSRC2:TRAP_HANDLER: 0
; COMPUTE_PGM_RSRC2:TGID_X_EN: 1
; COMPUTE_PGM_RSRC2:TGID_Y_EN: 1
; COMPUTE_PGM_RSRC2:TGID_Z_EN: 1
; COMPUTE_PGM_RSRC2:TIDIG_COMP_CNT: 0
	.section	.text._Z39paged_attention_ll4mi_QKV_mfma16_kernelI14__hip_bfloat16hLN4vllm18Fp8KVCacheDataTypeE1ES0_Li16ELi128ELi256ELb0ELi3EL8MFMAType1EEvPKT_PKT0_S9_ifPKiSB_SB_iPKfiiiPfSE_PS4_PT2_iSD_SD_,"axG",@progbits,_Z39paged_attention_ll4mi_QKV_mfma16_kernelI14__hip_bfloat16hLN4vllm18Fp8KVCacheDataTypeE1ES0_Li16ELi128ELi256ELb0ELi3EL8MFMAType1EEvPKT_PKT0_S9_ifPKiSB_SB_iPKfiiiPfSE_PS4_PT2_iSD_SD_,comdat
	.protected	_Z39paged_attention_ll4mi_QKV_mfma16_kernelI14__hip_bfloat16hLN4vllm18Fp8KVCacheDataTypeE1ES0_Li16ELi128ELi256ELb0ELi3EL8MFMAType1EEvPKT_PKT0_S9_ifPKiSB_SB_iPKfiiiPfSE_PS4_PT2_iSD_SD_ ; -- Begin function _Z39paged_attention_ll4mi_QKV_mfma16_kernelI14__hip_bfloat16hLN4vllm18Fp8KVCacheDataTypeE1ES0_Li16ELi128ELi256ELb0ELi3EL8MFMAType1EEvPKT_PKT0_S9_ifPKiSB_SB_iPKfiiiPfSE_PS4_PT2_iSD_SD_
	.globl	_Z39paged_attention_ll4mi_QKV_mfma16_kernelI14__hip_bfloat16hLN4vllm18Fp8KVCacheDataTypeE1ES0_Li16ELi128ELi256ELb0ELi3EL8MFMAType1EEvPKT_PKT0_S9_ifPKiSB_SB_iPKfiiiPfSE_PS4_PT2_iSD_SD_
	.p2align	8
	.type	_Z39paged_attention_ll4mi_QKV_mfma16_kernelI14__hip_bfloat16hLN4vllm18Fp8KVCacheDataTypeE1ES0_Li16ELi128ELi256ELb0ELi3EL8MFMAType1EEvPKT_PKT0_S9_ifPKiSB_SB_iPKfiiiPfSE_PS4_PT2_iSD_SD_,@function
_Z39paged_attention_ll4mi_QKV_mfma16_kernelI14__hip_bfloat16hLN4vllm18Fp8KVCacheDataTypeE1ES0_Li16ELi128ELi256ELb0ELi3EL8MFMAType1EEvPKT_PKT0_S9_ifPKiSB_SB_iPKfiiiPfSE_PS4_PT2_iSD_SD_: ; @_Z39paged_attention_ll4mi_QKV_mfma16_kernelI14__hip_bfloat16hLN4vllm18Fp8KVCacheDataTypeE1ES0_Li16ELi128ELi256ELb0ELi3EL8MFMAType1EEvPKT_PKT0_S9_ifPKiSB_SB_iPKfiiiPfSE_PS4_PT2_iSD_SD_
; %bb.0:
	s_load_b64 s[4:5], s[0:1], 0x30
	s_mov_b32 s30, s13
	s_waitcnt lgkmcnt(0)
	s_cmp_lg_u64 s[4:5], 0
	s_cselect_b32 s13, -1, 0
	s_ashr_i32 s31, s30, 31
	s_cmp_eq_u64 s[4:5], 0
	s_cbranch_scc1 .LBB1584_3
; %bb.1:
	s_lshl_b64 s[2:3], s[30:31], 2
	s_delay_alu instid0(SALU_CYCLE_1) | instskip(SKIP_4) | instid1(SALU_CYCLE_1)
	s_add_u32 s2, s4, s2
	s_addc_u32 s3, s5, s3
	s_load_b64 s[2:3], s[2:3], 0x0
	s_waitcnt lgkmcnt(0)
	s_sub_i32 s2, s3, s2
	s_cmp_eq_u32 s2, 1
	s_cselect_b32 s2, -1, 0
	s_delay_alu instid0(SALU_CYCLE_1)
	s_and_not1_b32 vcc_lo, exec_lo, s2
	s_cbranch_vccz .LBB1584_4
.LBB1584_2:
	s_nop 0
	s_sendmsg sendmsg(MSG_DEALLOC_VGPRS)
	s_endpgm
.LBB1584_3:
.LBB1584_4:
	s_load_b64 s[2:3], s[0:1], 0x28
	s_lshl_b64 s[6:7], s[30:31], 2
	s_waitcnt lgkmcnt(0)
	s_add_u32 s2, s2, s6
	s_addc_u32 s3, s3, s7
	s_lshl_b32 s12, s14, 8
	s_load_b32 s17, s[2:3], 0x0
	s_waitcnt lgkmcnt(0)
	s_cmp_ge_i32 s12, s17
	s_cbranch_scc1 .LBB1584_2
; %bb.5:
	s_clause 0x1
	s_load_b128 s[8:11], s[0:1], 0x8
	s_load_b64 s[2:3], s[0:1], 0x20
	s_and_not1_b32 vcc_lo, exec_lo, s13
	s_cbranch_vccnz .LBB1584_7
; %bb.6:
	s_add_u32 s4, s4, s6
	s_addc_u32 s5, s5, s7
	s_load_b32 s13, s[4:5], 0x0
	s_branch .LBB1584_8
.LBB1584_7:
	s_mov_b32 s13, s30
.LBB1584_8:
	s_load_b128 s[4:7], s[0:1], 0x48
	v_and_b32_e32 v65, 15, v0
	v_lshrrev_b32_e32 v66, 5, v0
	v_bfe_u32 v74, v0, 4, 1
	v_and_b32_e32 v67, 31, v0
	v_and_b32_e32 v75, 1, v0
	v_lshlrev_b32_e32 v2, 3, v65
	s_mul_i32 s31, s15, 3
	v_lshl_or_b32 v1, v66, 1, v74
	s_waitcnt lgkmcnt(0)
	s_mov_b32 s7, exec_lo
	v_lshlrev_b32_e32 v73, 1, v2
	s_delay_alu instid0(VALU_DEP_2)
	v_cmpx_gt_u32_e32 3, v1
	s_cbranch_execz .LBB1584_10
; %bb.9:
	s_load_b64 s[18:19], s[0:1], 0x0
	v_add_lshl_u32 v2, v1, s31, 7
	s_mul_hi_i32 s21, s13, s4
	s_mul_i32 s20, s13, s4
	v_lshlrev_b32_e32 v6, 10, v65
	s_lshl_b64 s[20:21], s[20:21], 1
	v_ashrrev_i32_e32 v3, 31, v2
	v_lshlrev_b32_e32 v1, 6, v1
	v_lshlrev_b32_e32 v7, 10, v75
	v_and_b32_e32 v6, 0x3800, v6
	s_delay_alu instid0(VALU_DEP_4) | instskip(NEXT) | instid1(VALU_DEP_2)
	v_lshlrev_b64 v[2:3], 1, v[2:3]
	v_or3_b32 v1, v6, v7, v1
	s_waitcnt lgkmcnt(0)
	s_add_u32 s4, s18, s20
	s_addc_u32 s13, s19, s21
	s_delay_alu instid0(VALU_DEP_2) | instskip(SKIP_1) | instid1(VALU_DEP_2)
	v_add_co_u32 v2, vcc_lo, s4, v2
	v_add_co_ci_u32_e32 v3, vcc_lo, s13, v3, vcc_lo
	v_add_co_u32 v2, vcc_lo, v2, v73
	s_delay_alu instid0(VALU_DEP_2)
	v_add_co_ci_u32_e32 v3, vcc_lo, 0, v3, vcc_lo
	global_load_b128 v[2:5], v[2:3], off
	s_waitcnt vmcnt(0)
	ds_store_b128 v1, v[2:5]
.LBB1584_10:
	s_or_b32 exec_lo, exec_lo, s7
	v_and_b32_e32 v1, 0xef, v0
	s_add_i32 s4, s17, 15
	s_clause 0x1
	s_load_b32 s7, s[0:1], 0x38
	s_load_b32 s18, s[0:1], 0x1c
	s_ashr_i32 s13, s4, 31
	v_add_nc_u32_e32 v2, s12, v1
	s_lshr_b32 s13, s13, 28
	s_waitcnt lgkmcnt(0)
	s_add_i32 s4, s4, s13
	s_barrier
	v_ashrrev_i32_e32 v1, 31, v2
	s_ashr_i32 s4, s4, 4
	v_cmp_gt_i32_e32 vcc_lo, s17, v2
	s_add_i32 s4, s4, -1
	buffer_gl0_inv
	v_lshrrev_b32_e32 v3, 28, v1
	v_or_b32_e32 v1, 16, v2
	s_mul_i32 s15, s15, s6
	s_delay_alu instid0(VALU_DEP_2) | instskip(SKIP_1) | instid1(SALU_CYCLE_1)
	v_add_nc_u32_e32 v4, v2, v3
	s_mul_i32 s20, s30, s7
	s_ashr_i32 s21, s20, 31
	s_delay_alu instid0(VALU_DEP_1) | instskip(SKIP_2) | instid1(SALU_CYCLE_1)
	v_ashrrev_i32_e32 v4, 4, v4
	v_add_nc_u32_e32 v3, v1, v3
	s_lshl_b64 s[20:21], s[20:21], 2
	s_add_u32 s2, s2, s20
	s_delay_alu instid0(VALU_DEP_2) | instskip(NEXT) | instid1(VALU_DEP_2)
	v_cndmask_b32_e32 v2, s4, v4, vcc_lo
	v_ashrrev_i32_e32 v3, 4, v3
	v_cmp_gt_i32_e32 vcc_lo, s17, v1
	s_addc_u32 s3, s3, s21
	s_ashr_i32 s6, s15, 31
	s_add_u32 s7, s8, s15
	s_addc_u32 s13, s9, s6
	v_cndmask_b32_e32 v4, s4, v3, vcc_lo
	v_ashrrev_i32_e32 v3, 31, v2
	s_lshl_b32 s8, s14, 4
	s_delay_alu instid0(SALU_CYCLE_1) | instskip(NEXT) | instid1(VALU_DEP_2)
	s_ashr_i32 s9, s8, 31
	v_ashrrev_i32_e32 v5, 31, v4
	s_delay_alu instid0(VALU_DEP_2) | instskip(SKIP_1) | instid1(SALU_CYCLE_1)
	v_lshlrev_b64 v[1:2], 2, v[2:3]
	s_lshl_b64 s[8:9], s[8:9], 2
	s_add_u32 s8, s2, s8
	s_delay_alu instid0(VALU_DEP_2) | instskip(SKIP_1) | instid1(VALU_DEP_2)
	v_lshlrev_b64 v[3:4], 2, v[4:5]
	s_addc_u32 s9, s3, s9
	v_add_co_u32 v1, vcc_lo, s2, v1
	v_add_co_ci_u32_e32 v2, vcc_lo, s3, v2, vcc_lo
	s_delay_alu instid0(VALU_DEP_3) | instskip(NEXT) | instid1(VALU_DEP_4)
	v_add_co_u32 v3, vcc_lo, s2, v3
	v_add_co_ci_u32_e32 v4, vcc_lo, s3, v4, vcc_lo
	s_clause 0x1
	global_load_b32 v5, v[1:2], off
	global_load_b32 v3, v[3:4], off
	v_lshlrev_b32_e32 v1, 4, v0
	s_or_b32 s16, s12, 32
	s_delay_alu instid0(SALU_CYCLE_1) | instskip(SKIP_1) | instid1(VALU_DEP_1)
	s_ashr_i32 s19, s16, 4
	s_cmp_lt_i32 s16, s17
	v_and_b32_e32 v1, 0xf0, v1
	s_cselect_b32 s20, s19, s4
	s_delay_alu instid0(SALU_CYCLE_1) | instskip(NEXT) | instid1(SALU_CYCLE_1)
	s_ashr_i32 s21, s20, 31
	s_lshl_b64 s[20:21], s[20:21], 2
	s_delay_alu instid0(VALU_DEP_1)
	v_add_co_u32 v1, s7, s7, v1
	s_add_u32 s20, s2, s20
	s_addc_u32 s21, s3, s21
	s_or_b32 s16, s12, 64
	v_add_co_ci_u32_e64 v2, null, s13, 0, s7
	s_ashr_i32 s19, s16, 4
	s_cmp_lt_i32 s16, s17
	s_cselect_b32 s22, s19, s4
	s_delay_alu instid0(SALU_CYCLE_1) | instskip(NEXT) | instid1(SALU_CYCLE_1)
	s_ashr_i32 s23, s22, 31
	s_lshl_b64 s[22:23], s[22:23], 2
	s_delay_alu instid0(SALU_CYCLE_1) | instskip(SKIP_2) | instid1(SALU_CYCLE_1)
	s_add_u32 s22, s2, s22
	s_addc_u32 s23, s3, s23
	s_or_b32 s16, s12, 0x60
	s_ashr_i32 s19, s16, 4
	s_cmp_lt_i32 s16, s17
	s_cselect_b32 s24, s19, s4
	s_delay_alu instid0(SALU_CYCLE_1) | instskip(NEXT) | instid1(SALU_CYCLE_1)
	s_ashr_i32 s25, s24, 31
	s_lshl_b64 s[24:25], s[24:25], 2
	s_delay_alu instid0(SALU_CYCLE_1) | instskip(SKIP_2) | instid1(SALU_CYCLE_1)
	s_add_u32 s24, s2, s24
	s_addc_u32 s25, s3, s25
	s_or_b32 s16, s12, 0x80
	s_ashr_i32 s19, s16, 4
	s_cmp_lt_i32 s16, s17
	s_cselect_b32 s26, s19, s4
	s_delay_alu instid0(SALU_CYCLE_1) | instskip(NEXT) | instid1(SALU_CYCLE_1)
	s_ashr_i32 s27, s26, 31
	s_lshl_b64 s[26:27], s[26:27], 2
	s_delay_alu instid0(SALU_CYCLE_1) | instskip(SKIP_2) | instid1(SALU_CYCLE_1)
	s_add_u32 s26, s2, s26
	s_addc_u32 s27, s3, s27
	s_or_b32 s16, s12, 0xa0
	s_ashr_i32 s19, s16, 4
	s_cmp_lt_i32 s16, s17
	s_cselect_b32 s28, s19, s4
	s_delay_alu instid0(SALU_CYCLE_1) | instskip(NEXT) | instid1(SALU_CYCLE_1)
	s_ashr_i32 s29, s28, 31
	s_lshl_b64 s[28:29], s[28:29], 2
	s_delay_alu instid0(SALU_CYCLE_1)
	s_add_u32 s28, s2, s28
	s_addc_u32 s29, s3, s29
	s_clause 0x5
	s_load_b32 s7, s[8:9], 0x0
	s_load_b32 s13, s[20:21], 0x0
	;; [unrolled: 1-line block ×6, first 2 shown]
	s_or_b32 s8, s12, 0xc0
	s_mov_b32 s20, 0
	s_ashr_i32 s9, s8, 4
	s_cmp_lt_i32 s8, s17
	s_mov_b32 s27, s20
	s_cselect_b32 s8, s9, s4
	s_mov_b32 s21, s20
	s_ashr_i32 s9, s8, 31
	s_mov_b32 s22, s20
	s_lshl_b64 s[8:9], s[8:9], 2
	s_mov_b32 s23, s20
	s_mov_b32 s24, s20
	;; [unrolled: 1-line block ×4, first 2 shown]
	v_dual_mov_b32 v107, s27 :: v_dual_mov_b32 v104, s24
	s_add_u32 s8, s2, s8
	v_dual_mov_b32 v106, s26 :: v_dual_mov_b32 v105, s25
	v_dual_mov_b32 v101, s21 :: v_dual_mov_b32 v100, s20
	s_addc_u32 s9, s3, s9
	v_dual_mov_b32 v103, s23 :: v_dual_mov_b32 v102, s22
	s_or_b32 s20, s12, 0xe0
	s_delay_alu instid0(SALU_CYCLE_1) | instskip(SKIP_2) | instid1(SALU_CYCLE_1)
	s_ashr_i32 s21, s20, 4
	s_cmp_lt_i32 s20, s17
	s_cselect_b32 s20, s21, s4
	s_ashr_i32 s21, s20, 31
	s_delay_alu instid0(SALU_CYCLE_1) | instskip(NEXT) | instid1(SALU_CYCLE_1)
	s_lshl_b64 s[20:21], s[20:21], 2
	s_add_u32 s2, s2, s20
	s_addc_u32 s3, s3, s21
	s_waitcnt vmcnt(1)
	v_mad_i64_i32 v[25:26], null, v5, s5, v[1:2]
	s_waitcnt vmcnt(0)
	v_mad_i64_i32 v[27:28], null, v3, s5, v[1:2]
	s_clause 0xf
	global_load_b128 v[1:4], v[25:26], off
	global_load_b128 v[5:8], v[25:26], off offset:256
	global_load_b128 v[9:12], v[27:28], off
	global_load_b128 v[13:16], v[27:28], off offset:256
	global_load_b128 v[17:20], v[25:26], off offset:512
	;; [unrolled: 1-line block ×13, first 2 shown]
	v_mul_lo_u16 v25, 0x56, v65
	v_lshlrev_b32_e32 v26, 4, v65
	s_delay_alu instid0(VALU_DEP_2) | instskip(NEXT) | instid1(VALU_DEP_2)
	v_lshrrev_b16 v25, 8, v25
	v_lshl_or_b32 v33, v66, 8, v26
	s_delay_alu instid0(VALU_DEP_2) | instskip(NEXT) | instid1(VALU_DEP_1)
	v_mul_lo_u16 v25, v25, 3
	v_sub_nc_u16 v25, v65, v25
	s_delay_alu instid0(VALU_DEP_1) | instskip(NEXT) | instid1(VALU_DEP_1)
	v_and_b32_e32 v25, 0xff, v25
	v_lshlrev_b32_e32 v72, 6, v25
	ds_load_b128 v[25:28], v72
	ds_load_b128 v[29:32], v72 offset:1024
	ds_load_b128 v[108:111], v72 offset:2048
	;; [unrolled: 1-line block ×3, first 2 shown]
	s_load_b32 s4, s[8:9], 0x0
	ds_load_b128 v[116:119], v72 offset:4096
	ds_load_b128 v[120:123], v72 offset:5120
	s_load_b32 s2, s[2:3], 0x0
	s_add_u32 s8, s10, s15
	s_addc_u32 s6, s11, s6
	v_add_co_u32 v68, s8, s8, v33
	s_delay_alu instid0(VALU_DEP_1) | instskip(SKIP_1) | instid1(VALU_DEP_1)
	v_add_co_ci_u32_e64 v69, null, s6, 0, s8
	s_waitcnt lgkmcnt(0)
	v_mad_i64_i32 v[33:34], null, s7, s5, v[68:69]
	v_mad_i64_i32 v[70:71], null, s16, s5, v[68:69]
	;; [unrolled: 1-line block ×7, first 2 shown]
	s_clause 0x3
	global_load_b128 v[41:44], v[33:34], off
	global_load_b128 v[45:48], v[33:34], off offset:16
	global_load_b128 v[33:36], v[37:38], off
	global_load_b128 v[37:40], v[37:38], off offset:16
	s_waitcnt vmcnt(18)
	v_wmma_f32_16x16x16_bf16 v[124:131], v[1:8], v[25:32], v[100:107]
	s_waitcnt vmcnt(16)
	v_wmma_f32_16x16x16_bf16 v[100:107], v[9:16], v[25:32], v[100:107]
	s_clause 0x1
	global_load_b128 v[25:28], v[70:71], off
	global_load_b128 v[29:32], v[70:71], off offset:16
	s_waitcnt vmcnt(16)
	v_wmma_f32_16x16x16_bf16 v[124:131], v[17:24], v[108:115], v[124:131]
	s_clause 0x1
	global_load_b128 v[17:20], v[132:133], off
	global_load_b128 v[21:24], v[132:133], off offset:16
	s_waitcnt vmcnt(16)
	v_wmma_f32_16x16x16_bf16 v[100:107], v[49:56], v[108:115], v[100:107]
	v_mad_i64_i32 v[53:54], null, s2, s5, v[68:69]
	s_clause 0x3
	global_load_b128 v[1:4], v[134:135], off
	global_load_b128 v[5:8], v[134:135], off offset:16
	global_load_b128 v[9:12], v[136:137], off
	global_load_b128 v[13:16], v[136:137], off offset:16
	s_waitcnt vmcnt(18)
	v_wmma_f32_16x16x16_bf16 v[124:131], v[57:64], v[116:123], v[124:131]
	s_clause 0x3
	global_load_b128 v[57:60], v[138:139], off
	global_load_b128 v[61:64], v[138:139], off offset:16
	global_load_b128 v[49:52], v[53:54], off
	global_load_b128 v[53:56], v[53:54], off offset:16
	v_mbcnt_lo_u32_b32 v69, -1, 0
	s_waitcnt vmcnt(20)
	v_wmma_f32_16x16x16_bf16 v[100:107], v[76:83], v[116:123], v[100:107]
	s_delay_alu instid0(VALU_DEP_2) | instskip(NEXT) | instid1(VALU_DEP_1)
	v_xor_b32_e32 v70, 16, v69
	v_cmp_gt_i32_e32 vcc_lo, 32, v70
	v_cndmask_b32_e32 v69, v69, v70, vcc_lo
	ds_load_b128 v[76:79], v72 offset:6144
	ds_load_b128 v[80:83], v72 offset:7168
	s_waitcnt vmcnt(0) lgkmcnt(0)
	s_barrier
	buffer_gl0_inv
	v_wmma_f32_16x16x16_bf16 v[124:131], v[84:91], v[76:83], v[124:131]
	v_and_b32_e32 v68, 0xe0, v0
	v_wmma_f32_16x16x16_bf16 v[100:107], v[92:99], v[76:83], v[100:107]
	s_delay_alu instid0(VALU_DEP_2) | instskip(NEXT) | instid1(VALU_DEP_4)
	v_dual_mul_f32 v79, s18, v127 :: v_dual_add_nc_u32 v68, s12, v68
	v_mul_f32_e32 v81, s18, v129
	v_dual_mul_f32 v78, s18, v125 :: v_dual_mul_f32 v83, s18, v131
	s_delay_alu instid0(VALU_DEP_4) | instskip(NEXT) | instid1(VALU_DEP_4)
	v_dual_mul_f32 v80, s18, v126 :: v_dual_mul_f32 v95, s18, v103
	v_or_b32_e32 v68, v68, v74
	v_dual_mul_f32 v93, s18, v101 :: v_dual_mul_f32 v82, s18, v128
	v_dual_mul_f32 v97, s18, v105 :: v_dual_mul_f32 v92, s18, v130
	v_mul_f32_e32 v99, s18, v107
	s_delay_alu instid0(VALU_DEP_4)
	v_or_b32_e32 v70, 2, v68
	v_or_b32_e32 v71, 4, v68
	;; [unrolled: 1-line block ×3, first 2 shown]
	v_cmp_gt_i32_e64 s2, s17, v68
	v_or_b32_e32 v108, 8, v68
	v_cmp_gt_i32_e32 vcc_lo, s17, v70
	v_mul_f32_e32 v70, s18, v124
	v_or_b32_e32 v109, 10, v68
	v_cmp_gt_i32_e64 s3, s17, v71
	v_cmp_gt_i32_e64 s4, s17, v72
	v_cndmask_b32_e32 v78, 0xff7fffff, v78, vcc_lo
	v_cndmask_b32_e64 v70, 0xff7fffff, v70, s2
	v_or_b32_e32 v84, 12, v68
	v_or_b32_e32 v85, 14, v68
	v_cndmask_b32_e64 v71, 0xff7fffff, v80, s3
	v_cndmask_b32_e64 v72, 0xff7fffff, v79, s4
	v_max3_f32 v70, v70, 0xff7fffff, v78
	v_cmp_gt_i32_e64 s5, s17, v108
	v_cmp_gt_i32_e64 s6, s17, v109
	v_or_b32_e32 v86, 16, v68
	v_or_b32_e32 v87, 18, v68
	v_max3_f32 v70, v70, v71, v72
	v_cndmask_b32_e64 v78, 0xff7fffff, v82, s5
	v_cndmask_b32_e64 v79, 0xff7fffff, v81, s6
	v_cmp_gt_i32_e64 s7, s17, v84
	v_cmp_gt_i32_e64 s8, s17, v85
	v_or_b32_e32 v88, 20, v68
	v_or_b32_e32 v89, 22, v68
	v_mul_f32_e32 v94, s18, v100
	v_cndmask_b32_e64 v71, 0xff7fffff, v92, s7
	v_cndmask_b32_e64 v72, 0xff7fffff, v83, s8
	v_max3_f32 v70, v70, v78, v79
	v_cmp_gt_i32_e64 s9, s17, v86
	v_cmp_gt_i32_e64 s10, s17, v87
	v_or_b32_e32 v90, 24, v68
	v_or_b32_e32 v91, 26, v68
	v_mul_f32_e32 v96, s18, v102
	v_max3_f32 v70, v70, v71, v72
	v_cndmask_b32_e64 v79, 0xff7fffff, v93, s10
	v_cmp_gt_i32_e64 s11, s17, v88
	v_cmp_gt_i32_e64 s12, s17, v89
	v_lshlrev_b32_e32 v89, 2, v69
	v_cndmask_b32_e64 v78, 0xff7fffff, v94, s9
	v_or_b32_e32 v76, 28, v68
	v_or_b32_e32 v77, 30, v68
	v_mul_f32_e32 v98, s18, v104
	v_cndmask_b32_e64 v71, 0xff7fffff, v96, s11
	v_cndmask_b32_e64 v72, 0xff7fffff, v95, s12
	v_max3_f32 v70, v70, v78, v79
	v_cmp_gt_i32_e64 s13, s17, v90
	v_cmp_gt_i32_e64 s15, s17, v91
	v_mul_f32_e32 v68, s18, v106
	v_cmp_gt_i32_e64 s16, s17, v76
	v_max3_f32 v70, v70, v71, v72
	v_cndmask_b32_e64 v78, 0xff7fffff, v98, s13
	v_cndmask_b32_e64 v79, 0xff7fffff, v97, s15
	v_cmp_gt_i32_e64 s17, s17, v77
	v_cndmask_b32_e64 v68, 0xff7fffff, v68, s16
	s_delay_alu instid0(VALU_DEP_3) | instskip(NEXT) | instid1(VALU_DEP_3)
	v_max3_f32 v70, v70, v78, v79
	v_cndmask_b32_e64 v71, 0xff7fffff, v99, s17
	s_delay_alu instid0(VALU_DEP_1) | instskip(SKIP_3) | instid1(VALU_DEP_1)
	v_max3_f32 v68, v70, v68, v71
	ds_bpermute_b32 v69, v89, v68
	s_waitcnt lgkmcnt(0)
	v_max_f32_e32 v69, v69, v69
	v_max_f32_e32 v68, v68, v69
	s_delay_alu instid0(VALU_DEP_1) | instskip(NEXT) | instid1(VALU_DEP_1)
	v_fma_f32 v76, s18, v128, -v68
	v_mul_f32_e32 v77, 0x3fb8aa3b, v76
	v_fma_f32 v71, s18, v126, -v68
	v_fma_f32 v69, s18, v124, -v68
	;; [unrolled: 1-line block ×4, first 2 shown]
	v_exp_f32_e32 v77, v77
	v_mul_f32_e32 v71, 0x3fb8aa3b, v71
	v_mul_f32_e32 v69, 0x3fb8aa3b, v69
	v_fma_f32 v81, s18, v105, -v68
	v_fma_f32 v78, s18, v130, -v68
	s_delay_alu instid0(VALU_DEP_4) | instskip(NEXT) | instid1(VALU_DEP_3)
	v_exp_f32_e32 v71, v71
	v_exp_f32_e32 v69, v69
	s_delay_alu instid0(VALU_DEP_2) | instskip(NEXT) | instid1(TRANS32_DEP_3)
	v_mul_f32_e32 v81, 0x3fb8aa3b, v81
	v_cndmask_b32_e64 v86, 0, v77, s5
	v_fma_f32 v77, s18, v101, -v68
	s_delay_alu instid0(VALU_DEP_3) | instskip(NEXT) | instid1(TRANS32_DEP_3)
	v_exp_f32_e32 v81, v81
	v_cndmask_b32_e64 v83, 0, v71, s3
	v_fma_f32 v71, s18, v131, -v68
	v_mul_f32_e32 v72, 0x3fb8aa3b, v72
	s_delay_alu instid0(TRANS32_DEP_2) | instskip(SKIP_1) | instid1(VALU_DEP_4)
	v_cndmask_b32_e64 v80, 0, v69, s2
	v_fma_f32 v69, s18, v129, -v68
	v_dual_mul_f32 v70, 0x3fb8aa3b, v70 :: v_dual_mul_f32 v71, 0x3fb8aa3b, v71
	s_delay_alu instid0(VALU_DEP_4) | instskip(SKIP_1) | instid1(VALU_DEP_3)
	v_exp_f32_e32 v72, v72
	v_mul_f32_e32 v77, 0x3fb8aa3b, v77
	v_mul_f32_e32 v69, 0x3fb8aa3b, v69
	s_delay_alu instid0(VALU_DEP_3)
	v_exp_f32_e32 v70, v70
	v_exp_f32_e32 v71, v71
	v_cmp_gt_u32_e64 s2, 16, v67
	v_exp_f32_e32 v77, v77
	v_exp_f32_e32 v69, v69
	v_cndmask_b32_e64 v85, 0, v72, s4
	v_fma_f32 v72, s18, v100, -v68
	v_cndmask_b32_e32 v76, 0, v70, vcc_lo
	s_delay_alu instid0(TRANS32_DEP_3) | instskip(SKIP_2) | instid1(TRANS32_DEP_1)
	v_cndmask_b32_e64 v88, 0, v71, s8
	v_fma_f32 v71, s18, v104, -v68
	v_add_f32_e32 v70, 0, v80
	v_cndmask_b32_e64 v87, 0, v69, s6
	s_delay_alu instid0(VALU_DEP_2) | instskip(NEXT) | instid1(VALU_DEP_1)
	v_dual_mul_f32 v71, 0x3fb8aa3b, v71 :: v_dual_add_f32 v70, v70, v76
	v_exp_f32_e32 v82, v71
	s_delay_alu instid0(VALU_DEP_1) | instskip(NEXT) | instid1(VALU_DEP_1)
	v_add_f32_e32 v70, v70, v83
	v_add_f32_e32 v70, v70, v85
	s_delay_alu instid0(VALU_DEP_1) | instskip(SKIP_1) | instid1(VALU_DEP_2)
	v_dual_mul_f32 v72, 0x3fb8aa3b, v72 :: v_dual_add_f32 v69, v70, v86
	v_fma_f32 v70, s18, v102, -v68
	v_exp_f32_e32 v72, v72
	s_delay_alu instid0(VALU_DEP_2) | instskip(NEXT) | instid1(VALU_DEP_2)
	v_dual_add_f32 v69, v69, v87 :: v_dual_mul_f32 v78, 0x3fb8aa3b, v78
	v_mul_f32_e32 v70, 0x3fb8aa3b, v70
	s_delay_alu instid0(VALU_DEP_2) | instskip(NEXT) | instid1(VALU_DEP_1)
	v_exp_f32_e32 v78, v78
	v_exp_f32_e32 v79, v70
	s_delay_alu instid0(TRANS32_DEP_3) | instskip(SKIP_4) | instid1(VALU_DEP_3)
	v_cndmask_b32_e64 v70, 0, v72, s9
	s_waitcnt_depctr 0xfff
	v_cndmask_b32_e64 v84, 0, v78, s7
	v_fma_f32 v78, s18, v103, -v68
	v_cndmask_b32_e64 v71, 0, v79, s11
	v_add_f32_e32 v69, v69, v84
	s_delay_alu instid0(VALU_DEP_1) | instskip(SKIP_2) | instid1(VALU_DEP_1)
	v_add_f32_e32 v72, v69, v88
	v_cndmask_b32_e64 v69, 0, v77, s10
	v_fma_f32 v77, s18, v106, -v68
	v_dual_add_f32 v72, v72, v70 :: v_dual_mul_f32 v77, 0x3fb8aa3b, v77
	s_delay_alu instid0(VALU_DEP_1) | instskip(NEXT) | instid1(VALU_DEP_2)
	v_add_f32_e32 v79, v72, v69
	v_exp_f32_e32 v90, v77
	v_cndmask_b32_e64 v77, 0, v82, s13
	v_mul_f32_e32 v78, 0x3fb8aa3b, v78
	s_delay_alu instid0(VALU_DEP_1) | instskip(SKIP_4) | instid1(VALU_DEP_1)
	v_exp_f32_e32 v78, v78
	s_waitcnt_depctr 0xfff
	v_cndmask_b32_e64 v72, 0, v78, s12
	v_add_f32_e32 v78, v79, v71
	v_fma_f32 v79, s18, v107, -v68
	v_dual_add_f32 v82, v78, v72 :: v_dual_mul_f32 v79, 0x3fb8aa3b, v79
	v_cndmask_b32_e64 v78, 0, v81, s15
	s_delay_alu instid0(VALU_DEP_2) | instskip(NEXT) | instid1(VALU_DEP_3)
	v_add_f32_e32 v81, v82, v77
	v_exp_f32_e32 v82, v79
	v_cndmask_b32_e64 v79, 0, v90, s16
	s_delay_alu instid0(VALU_DEP_2) | instskip(NEXT) | instid1(VALU_DEP_1)
	v_add_f32_e32 v81, v81, v78
	v_add_f32_e32 v90, v81, v79
	s_waitcnt_depctr 0xfff
	v_cndmask_b32_e64 v81, 0, v82, s17
	s_delay_alu instid0(VALU_DEP_1)
	v_add_f32_e32 v82, v90, v81
	ds_bpermute_b32 v89, v89, v82
	s_and_saveexec_b32 s3, s2
	s_cbranch_execz .LBB1584_12
; %bb.11:
	v_mul_u32_u24_e32 v67, 0x44, v66
	s_delay_alu instid0(VALU_DEP_1) | instskip(SKIP_1) | instid1(VALU_DEP_1)
	v_lshl_add_u32 v67, v65, 2, v67
	s_waitcnt lgkmcnt(0)
	v_dual_add_f32 v82, v82, v89 :: v_dual_add_nc_u32 v67, 0x4000, v67
	ds_store_2addr_b32 v67, v68, v82 offset1:136
.LBB1584_12:
	s_or_b32 exec_lo, exec_lo, s3
	v_lshlrev_b32_e32 v67, 2, v65
	s_waitcnt lgkmcnt(0)
	s_barrier
	buffer_gl0_inv
	v_cmp_eq_u32_e32 vcc_lo, 1, v66
	v_add_nc_u32_e32 v82, 0x4000, v67
	v_cmp_eq_u32_e64 s3, 2, v66
	v_cmp_eq_u32_e64 s5, 7, v66
	ds_load_2addr_b32 v[89:90], v82 offset1:17
	ds_load_2addr_b32 v[91:92], v82 offset0:34 offset1:51
	ds_load_2addr_b32 v[93:94], v82 offset0:68 offset1:85
	;; [unrolled: 1-line block ×4, first 2 shown]
	s_waitcnt lgkmcnt(4)
	v_max3_f32 v67, v89, 0xff7fffff, v90
	s_waitcnt lgkmcnt(3)
	s_delay_alu instid0(VALU_DEP_1) | instskip(SKIP_1) | instid1(VALU_DEP_1)
	v_max3_f32 v67, v67, v91, v92
	s_waitcnt lgkmcnt(2)
	v_max3_f32 v67, v67, v93, v94
	s_waitcnt lgkmcnt(1)
	s_delay_alu instid0(VALU_DEP_1) | instskip(NEXT) | instid1(VALU_DEP_1)
	v_max3_f32 v67, v67, v95, v96
	v_sub_f32_e32 v93, v93, v67
	s_delay_alu instid0(VALU_DEP_1) | instskip(NEXT) | instid1(VALU_DEP_1)
	v_dual_sub_f32 v68, v89, v67 :: v_dual_mul_f32 v103, 0x3fb8aa3b, v93
	v_mul_f32_e32 v68, 0x3fb8aa3b, v68
	s_delay_alu instid0(VALU_DEP_1)
	v_exp_f32_e32 v100, v68
	v_sub_f32_e32 v68, v92, v67
	v_sub_f32_e32 v99, v90, v67
	ds_load_2addr_b32 v[89:90], v82 offset0:170 offset1:187
	v_dual_mul_f32 v102, 0x3fb8aa3b, v68 :: v_dual_mul_f32 v99, 0x3fb8aa3b, v99
	s_waitcnt lgkmcnt(1)
	v_fma_f32 v68, v100, v97, 0
	s_delay_alu instid0(VALU_DEP_2) | instskip(NEXT) | instid1(VALU_DEP_2)
	v_exp_f32_e32 v102, v102
	v_exp_f32_e32 v99, v99
	s_waitcnt_depctr 0xfff
	v_fmac_f32_e32 v68, v99, v98
	v_sub_f32_e32 v91, v91, v67
	s_delay_alu instid0(VALU_DEP_1)
	v_mul_f32_e32 v101, 0x3fb8aa3b, v91
	ds_load_2addr_b32 v[91:92], v82 offset0:204 offset1:221
	v_sub_f32_e32 v97, v94, v67
	ds_load_2addr_b32 v[93:94], v82 offset0:238 offset1:255
	s_waitcnt lgkmcnt(0)
	v_exp_f32_e32 v101, v101
	s_barrier
	buffer_gl0_inv
	v_dual_fmac_f32 v68, v101, v89 :: v_dual_sub_f32 v89, v96, v67
	v_dual_sub_f32 v82, v95, v67 :: v_dual_mul_f32 v95, 0x3fb8aa3b, v97
	v_exp_f32_e32 v97, v103
	s_delay_alu instid0(VALU_DEP_2) | instskip(NEXT) | instid1(VALU_DEP_2)
	v_dual_fmac_f32 v68, v102, v90 :: v_dual_mul_f32 v89, 0x3fb8aa3b, v89
	v_mul_f32_e32 v82, 0x3fb8aa3b, v82
	s_delay_alu instid0(VALU_DEP_3) | instskip(NEXT) | instid1(VALU_DEP_2)
	v_exp_f32_e32 v95, v95
	v_exp_f32_e32 v89, v89
	s_delay_alu instid0(VALU_DEP_1)
	v_exp_f32_e32 v82, v82
	v_fmac_f32_e32 v68, v97, v91
	s_delay_alu instid0(TRANS32_DEP_3) | instid1(VALU_DEP_1)
	v_fmac_f32_e32 v68, v95, v92
	s_waitcnt_depctr 0xfff
	v_fmac_f32_e32 v68, v82, v93
	s_delay_alu instid0(VALU_DEP_1) | instskip(NEXT) | instid1(VALU_DEP_1)
	v_fmac_f32_e32 v68, v89, v94
	v_add_f32_e32 v90, 0x358637bd, v68
	s_delay_alu instid0(VALU_DEP_1) | instskip(NEXT) | instid1(VALU_DEP_1)
	v_div_scale_f32 v91, null, v90, v90, 1.0
	v_rcp_f32_e32 v92, v91
	s_waitcnt_depctr 0xfff
	v_fma_f32 v93, -v91, v92, 1.0
	s_delay_alu instid0(VALU_DEP_1) | instskip(SKIP_1) | instid1(VALU_DEP_2)
	v_dual_fmac_f32 v92, v93, v92 :: v_dual_cndmask_b32 v93, v100, v99
	v_cmp_eq_u32_e32 vcc_lo, 3, v66
	v_cndmask_b32_e64 v93, v93, v101, s3
	v_cmp_eq_u32_e64 s3, 4, v66
	s_delay_alu instid0(VALU_DEP_2) | instskip(SKIP_1) | instid1(VALU_DEP_2)
	v_cndmask_b32_e32 v93, v93, v102, vcc_lo
	v_cmp_eq_u32_e32 vcc_lo, 5, v66
	v_cndmask_b32_e64 v93, v93, v97, s3
	v_cmp_eq_u32_e64 s3, 6, v66
	s_delay_alu instid0(VALU_DEP_2) | instskip(SKIP_1) | instid1(VALU_DEP_1)
	v_cndmask_b32_e32 v93, v93, v95, vcc_lo
	v_div_scale_f32 v94, s4, 1.0, v90, 1.0
	s_mov_b32 vcc_lo, s4
	s_delay_alu instid0(VALU_DEP_2) | instskip(NEXT) | instid1(VALU_DEP_2)
	v_cndmask_b32_e64 v82, v93, v82, s3
	v_mul_f32_e32 v96, v94, v92
	s_mov_b32 s3, exec_lo
	s_delay_alu instid0(VALU_DEP_2) | instskip(NEXT) | instid1(VALU_DEP_2)
	v_cndmask_b32_e64 v82, v82, v89, s5
	v_fma_f32 v98, -v91, v96, v94
	s_delay_alu instid0(VALU_DEP_1) | instskip(NEXT) | instid1(VALU_DEP_1)
	v_fmac_f32_e32 v96, v98, v92
	v_fma_f32 v91, -v91, v96, v94
	s_delay_alu instid0(VALU_DEP_1) | instskip(NEXT) | instid1(VALU_DEP_1)
	v_div_fmas_f32 v91, v91, v92, v96
	v_div_fixup_f32 v90, v91, v90, 1.0
	s_delay_alu instid0(VALU_DEP_1) | instskip(NEXT) | instid1(VALU_DEP_1)
	v_mul_f32_e32 v82, v82, v90
	v_mul_f32_e32 v87, v82, v87
	;; [unrolled: 1-line block ×7, first 2 shown]
	v_dual_mul_f32 v86, v82, v83 :: v_dual_and_b32 v91, 0x7f800000, v90
	v_mul_f32_e32 v85, v82, v76
                                        ; implicit-def: $vgpr76
	s_delay_alu instid0(VALU_DEP_2)
	v_cmpx_ne_u32_e32 0x7f800000, v91
	s_xor_b32 s3, exec_lo, s3
; %bb.13:
	v_bfe_u32 v76, v90, 16, 1
	s_delay_alu instid0(VALU_DEP_1)
	v_add3_u32 v76, v90, v76, 0x7fff
                                        ; implicit-def: $vgpr90
; %bb.14:
	s_and_not1_saveexec_b32 s3, s3
; %bb.15:
	v_and_b32_e32 v76, 0xffff, v90
	v_or_b32_e32 v83, 0x10000, v90
	s_delay_alu instid0(VALU_DEP_2) | instskip(NEXT) | instid1(VALU_DEP_2)
	v_cmp_eq_u32_e32 vcc_lo, 0, v76
	v_cndmask_b32_e32 v76, v83, v90, vcc_lo
; %bb.16:
	s_or_b32 exec_lo, exec_lo, s3
	v_and_b32_e32 v83, 0x7f800000, v85
	s_delay_alu instid0(VALU_DEP_1) | instskip(SKIP_1) | instid1(SALU_CYCLE_1)
	v_cmp_ne_u32_e32 vcc_lo, 0x7f800000, v83
                                        ; implicit-def: $vgpr83
	s_and_saveexec_b32 s3, vcc_lo
	s_xor_b32 s3, exec_lo, s3
; %bb.17:
	v_bfe_u32 v83, v85, 16, 1
	s_delay_alu instid0(VALU_DEP_1)
	v_add3_u32 v83, v85, v83, 0x7fff
                                        ; implicit-def: $vgpr85
; %bb.18:
	s_and_not1_saveexec_b32 s3, s3
; %bb.19:
	v_and_b32_e32 v83, 0xffff, v85
	v_or_b32_e32 v90, 0x10000, v85
	s_delay_alu instid0(VALU_DEP_2) | instskip(NEXT) | instid1(VALU_DEP_2)
	v_cmp_eq_u32_e32 vcc_lo, 0, v83
	v_cndmask_b32_e32 v83, v90, v85, vcc_lo
; %bb.20:
	s_or_b32 exec_lo, exec_lo, s3
	v_and_b32_e32 v85, 0x7f800000, v86
	s_delay_alu instid0(VALU_DEP_1) | instskip(SKIP_1) | instid1(SALU_CYCLE_1)
	v_cmp_ne_u32_e32 vcc_lo, 0x7f800000, v85
                                        ; implicit-def: $vgpr85
	s_and_saveexec_b32 s3, vcc_lo
	s_xor_b32 s3, exec_lo, s3
; %bb.21:
	v_bfe_u32 v85, v86, 16, 1
	s_delay_alu instid0(VALU_DEP_1)
	v_add3_u32 v85, v86, v85, 0x7fff
                                        ; implicit-def: $vgpr86
; %bb.22:
	s_and_not1_saveexec_b32 s3, s3
; %bb.23:
	v_and_b32_e32 v85, 0xffff, v86
	v_or_b32_e32 v90, 0x10000, v86
	s_delay_alu instid0(VALU_DEP_2) | instskip(NEXT) | instid1(VALU_DEP_2)
	v_cmp_eq_u32_e32 vcc_lo, 0, v85
	v_cndmask_b32_e32 v85, v90, v86, vcc_lo
; %bb.24:
	s_or_b32 exec_lo, exec_lo, s3
	v_and_b32_e32 v86, 0x7f800000, v89
	s_delay_alu instid0(VALU_DEP_1) | instskip(SKIP_1) | instid1(SALU_CYCLE_1)
	v_cmp_ne_u32_e32 vcc_lo, 0x7f800000, v86
                                        ; implicit-def: $vgpr86
	s_and_saveexec_b32 s3, vcc_lo
	s_xor_b32 s3, exec_lo, s3
; %bb.25:
	v_bfe_u32 v86, v89, 16, 1
	s_delay_alu instid0(VALU_DEP_1)
	v_add3_u32 v86, v89, v86, 0x7fff
                                        ; implicit-def: $vgpr89
; %bb.26:
	s_and_not1_saveexec_b32 s3, s3
; %bb.27:
	v_and_b32_e32 v86, 0xffff, v89
	v_or_b32_e32 v90, 0x10000, v89
	s_delay_alu instid0(VALU_DEP_2) | instskip(NEXT) | instid1(VALU_DEP_2)
	v_cmp_eq_u32_e32 vcc_lo, 0, v86
	v_cndmask_b32_e32 v86, v90, v89, vcc_lo
; %bb.28:
	s_or_b32 exec_lo, exec_lo, s3
	v_and_b32_e32 v89, 0x7f800000, v88
	s_delay_alu instid0(VALU_DEP_1) | instskip(SKIP_1) | instid1(SALU_CYCLE_1)
	v_cmp_ne_u32_e32 vcc_lo, 0x7f800000, v89
                                        ; implicit-def: $vgpr89
	s_and_saveexec_b32 s3, vcc_lo
	s_xor_b32 s3, exec_lo, s3
; %bb.29:
	v_bfe_u32 v89, v88, 16, 1
	s_delay_alu instid0(VALU_DEP_1)
	v_add3_u32 v89, v88, v89, 0x7fff
                                        ; implicit-def: $vgpr88
; %bb.30:
	s_and_not1_saveexec_b32 s3, s3
; %bb.31:
	v_and_b32_e32 v89, 0xffff, v88
	v_or_b32_e32 v90, 0x10000, v88
	s_delay_alu instid0(VALU_DEP_2) | instskip(NEXT) | instid1(VALU_DEP_2)
	v_cmp_eq_u32_e32 vcc_lo, 0, v89
	v_cndmask_b32_e32 v89, v90, v88, vcc_lo
; %bb.32:
	s_or_b32 exec_lo, exec_lo, s3
	v_and_b32_e32 v88, 0x7f800000, v87
	s_delay_alu instid0(VALU_DEP_1) | instskip(SKIP_1) | instid1(SALU_CYCLE_1)
	v_cmp_ne_u32_e32 vcc_lo, 0x7f800000, v88
                                        ; implicit-def: $vgpr88
	s_and_saveexec_b32 s3, vcc_lo
	s_xor_b32 s3, exec_lo, s3
; %bb.33:
	v_bfe_u32 v88, v87, 16, 1
	s_delay_alu instid0(VALU_DEP_1)
	v_add3_u32 v88, v87, v88, 0x7fff
                                        ; implicit-def: $vgpr87
; %bb.34:
	s_and_not1_saveexec_b32 s3, s3
; %bb.35:
	v_and_b32_e32 v88, 0xffff, v87
	v_or_b32_e32 v90, 0x10000, v87
	s_delay_alu instid0(VALU_DEP_2) | instskip(NEXT) | instid1(VALU_DEP_2)
	v_cmp_eq_u32_e32 vcc_lo, 0, v88
	v_cndmask_b32_e32 v88, v90, v87, vcc_lo
; %bb.36:
	s_or_b32 exec_lo, exec_lo, s3
	v_and_b32_e32 v87, 0x7f800000, v84
	s_delay_alu instid0(VALU_DEP_1) | instskip(SKIP_1) | instid1(SALU_CYCLE_1)
	v_cmp_ne_u32_e32 vcc_lo, 0x7f800000, v87
                                        ; implicit-def: $vgpr87
	s_and_saveexec_b32 s3, vcc_lo
	s_xor_b32 s3, exec_lo, s3
; %bb.37:
	v_bfe_u32 v87, v84, 16, 1
	s_delay_alu instid0(VALU_DEP_1)
	v_add3_u32 v87, v84, v87, 0x7fff
                                        ; implicit-def: $vgpr84
; %bb.38:
	s_and_not1_saveexec_b32 s3, s3
; %bb.39:
	v_and_b32_e32 v87, 0xffff, v84
	v_or_b32_e32 v90, 0x10000, v84
	s_delay_alu instid0(VALU_DEP_2) | instskip(NEXT) | instid1(VALU_DEP_2)
	v_cmp_eq_u32_e32 vcc_lo, 0, v87
	v_cndmask_b32_e32 v87, v90, v84, vcc_lo
; %bb.40:
	s_or_b32 exec_lo, exec_lo, s3
	v_and_b32_e32 v84, 0x7f800000, v80
	s_delay_alu instid0(VALU_DEP_1) | instskip(SKIP_1) | instid1(SALU_CYCLE_1)
	v_cmp_ne_u32_e32 vcc_lo, 0x7f800000, v84
                                        ; implicit-def: $vgpr84
	s_and_saveexec_b32 s3, vcc_lo
	s_xor_b32 s3, exec_lo, s3
; %bb.41:
	v_bfe_u32 v84, v80, 16, 1
	s_delay_alu instid0(VALU_DEP_1)
	v_add3_u32 v84, v80, v84, 0x7fff
                                        ; implicit-def: $vgpr80
; %bb.42:
	s_and_not1_saveexec_b32 s3, s3
; %bb.43:
	v_and_b32_e32 v84, 0xffff, v80
	v_or_b32_e32 v90, 0x10000, v80
	s_delay_alu instid0(VALU_DEP_2) | instskip(NEXT) | instid1(VALU_DEP_2)
	v_cmp_eq_u32_e32 vcc_lo, 0, v84
	v_cndmask_b32_e32 v84, v90, v80, vcc_lo
; %bb.44:
	s_or_b32 exec_lo, exec_lo, s3
	s_load_b64 s[34:35], s[0:1], 0x94
	v_lshlrev_b32_e32 v91, 4, v74
	s_delay_alu instid0(VALU_DEP_2)
	v_perm_b32 v90, v84, v87, 0x7060302
	v_dual_mul_f32 v79, v82, v79 :: v_dual_lshlrev_b32 v80, 6, v65
	v_dual_mul_f32 v77, v82, v77 :: v_dual_lshlrev_b32 v92, 11, v66
	v_mul_f32_e32 v84, v82, v70
	v_perm_b32 v89, v88, v89, 0x7060302
	v_perm_b32 v88, v86, v85, 0x7060302
	;; [unrolled: 1-line block ×3, first 2 shown]
	v_mul_f32_e32 v70, v82, v81
	v_or3_b32 v76, v91, v92, v80
	v_dual_mul_f32 v78, v82, v78 :: v_dual_and_b32 v85, 0x7f800000, v84
	v_mul_f32_e32 v83, v82, v72
	v_mul_f32_e32 v81, v82, v71
	;; [unrolled: 1-line block ×3, first 2 shown]
	s_mov_b32 s3, exec_lo
	ds_store_b128 v76, v[87:90]
                                        ; implicit-def: $vgpr69
	v_cmpx_ne_u32_e32 0x7f800000, v85
	s_xor_b32 s3, exec_lo, s3
; %bb.45:
	v_bfe_u32 v69, v84, 16, 1
	s_delay_alu instid0(VALU_DEP_1)
	v_add3_u32 v69, v84, v69, 0x7fff
                                        ; implicit-def: $vgpr84
; %bb.46:
	s_and_not1_saveexec_b32 s3, s3
; %bb.47:
	v_and_b32_e32 v69, 0xffff, v84
	v_or_b32_e32 v71, 0x10000, v84
	s_delay_alu instid0(VALU_DEP_2) | instskip(NEXT) | instid1(VALU_DEP_2)
	v_cmp_eq_u32_e32 vcc_lo, 0, v69
	v_cndmask_b32_e32 v69, v71, v84, vcc_lo
; %bb.48:
	s_or_b32 exec_lo, exec_lo, s3
	v_and_b32_e32 v71, 0x7f800000, v72
	s_delay_alu instid0(VALU_DEP_1) | instskip(SKIP_1) | instid1(SALU_CYCLE_1)
	v_cmp_ne_u32_e32 vcc_lo, 0x7f800000, v71
                                        ; implicit-def: $vgpr71
	s_and_saveexec_b32 s3, vcc_lo
	s_xor_b32 s3, exec_lo, s3
; %bb.49:
	v_bfe_u32 v71, v72, 16, 1
	s_delay_alu instid0(VALU_DEP_1)
	v_add3_u32 v71, v72, v71, 0x7fff
                                        ; implicit-def: $vgpr72
; %bb.50:
	s_and_not1_saveexec_b32 s3, s3
; %bb.51:
	v_and_b32_e32 v71, 0xffff, v72
	v_or_b32_e32 v82, 0x10000, v72
	s_delay_alu instid0(VALU_DEP_2) | instskip(NEXT) | instid1(VALU_DEP_2)
	v_cmp_eq_u32_e32 vcc_lo, 0, v71
	v_cndmask_b32_e32 v71, v82, v72, vcc_lo
; %bb.52:
	s_or_b32 exec_lo, exec_lo, s3
	v_and_b32_e32 v72, 0x7f800000, v81
	s_delay_alu instid0(VALU_DEP_1) | instskip(SKIP_1) | instid1(SALU_CYCLE_1)
	v_cmp_ne_u32_e32 vcc_lo, 0x7f800000, v72
                                        ; implicit-def: $vgpr72
	s_and_saveexec_b32 s3, vcc_lo
	s_xor_b32 s3, exec_lo, s3
; %bb.53:
	v_bfe_u32 v72, v81, 16, 1
	s_delay_alu instid0(VALU_DEP_1)
	v_add3_u32 v72, v81, v72, 0x7fff
                                        ; implicit-def: $vgpr81
; %bb.54:
	s_and_not1_saveexec_b32 s3, s3
; %bb.55:
	v_and_b32_e32 v72, 0xffff, v81
	v_or_b32_e32 v82, 0x10000, v81
	s_delay_alu instid0(VALU_DEP_2) | instskip(NEXT) | instid1(VALU_DEP_2)
	v_cmp_eq_u32_e32 vcc_lo, 0, v72
	v_cndmask_b32_e32 v72, v82, v81, vcc_lo
; %bb.56:
	s_or_b32 exec_lo, exec_lo, s3
	v_and_b32_e32 v81, 0x7f800000, v83
	s_delay_alu instid0(VALU_DEP_1) | instskip(SKIP_1) | instid1(SALU_CYCLE_1)
	v_cmp_ne_u32_e32 vcc_lo, 0x7f800000, v81
                                        ; implicit-def: $vgpr81
	s_and_saveexec_b32 s3, vcc_lo
	s_xor_b32 s3, exec_lo, s3
; %bb.57:
	v_bfe_u32 v81, v83, 16, 1
	s_delay_alu instid0(VALU_DEP_1)
	v_add3_u32 v81, v83, v81, 0x7fff
                                        ; implicit-def: $vgpr83
; %bb.58:
	s_and_not1_saveexec_b32 s3, s3
; %bb.59:
	v_and_b32_e32 v81, 0xffff, v83
	v_or_b32_e32 v82, 0x10000, v83
	s_delay_alu instid0(VALU_DEP_2) | instskip(NEXT) | instid1(VALU_DEP_2)
	v_cmp_eq_u32_e32 vcc_lo, 0, v81
	v_cndmask_b32_e32 v81, v82, v83, vcc_lo
; %bb.60:
	s_or_b32 exec_lo, exec_lo, s3
	v_and_b32_e32 v82, 0x7f800000, v77
	s_delay_alu instid0(VALU_DEP_1) | instskip(SKIP_1) | instid1(SALU_CYCLE_1)
	v_cmp_ne_u32_e32 vcc_lo, 0x7f800000, v82
                                        ; implicit-def: $vgpr82
	s_and_saveexec_b32 s3, vcc_lo
	s_xor_b32 s3, exec_lo, s3
; %bb.61:
	v_bfe_u32 v82, v77, 16, 1
	s_delay_alu instid0(VALU_DEP_1)
	v_add3_u32 v82, v77, v82, 0x7fff
                                        ; implicit-def: $vgpr77
; %bb.62:
	s_and_not1_saveexec_b32 s3, s3
; %bb.63:
	v_and_b32_e32 v82, 0xffff, v77
	v_or_b32_e32 v83, 0x10000, v77
	s_delay_alu instid0(VALU_DEP_2) | instskip(NEXT) | instid1(VALU_DEP_2)
	v_cmp_eq_u32_e32 vcc_lo, 0, v82
	v_cndmask_b32_e32 v82, v83, v77, vcc_lo
; %bb.64:
	s_or_b32 exec_lo, exec_lo, s3
	v_and_b32_e32 v77, 0x7f800000, v78
	s_delay_alu instid0(VALU_DEP_1) | instskip(SKIP_1) | instid1(SALU_CYCLE_1)
	v_cmp_ne_u32_e32 vcc_lo, 0x7f800000, v77
                                        ; implicit-def: $vgpr77
	s_and_saveexec_b32 s3, vcc_lo
	s_xor_b32 s3, exec_lo, s3
; %bb.65:
	v_bfe_u32 v77, v78, 16, 1
	s_delay_alu instid0(VALU_DEP_1)
	v_add3_u32 v77, v78, v77, 0x7fff
                                        ; implicit-def: $vgpr78
; %bb.66:
	s_and_not1_saveexec_b32 s3, s3
; %bb.67:
	v_and_b32_e32 v77, 0xffff, v78
	v_or_b32_e32 v83, 0x10000, v78
	s_delay_alu instid0(VALU_DEP_2) | instskip(NEXT) | instid1(VALU_DEP_2)
	v_cmp_eq_u32_e32 vcc_lo, 0, v77
	v_cndmask_b32_e32 v77, v83, v78, vcc_lo
; %bb.68:
	s_or_b32 exec_lo, exec_lo, s3
	v_and_b32_e32 v78, 0x7f800000, v79
	s_delay_alu instid0(VALU_DEP_1) | instskip(SKIP_1) | instid1(SALU_CYCLE_1)
	v_cmp_ne_u32_e32 vcc_lo, 0x7f800000, v78
                                        ; implicit-def: $vgpr78
	s_and_saveexec_b32 s3, vcc_lo
	s_xor_b32 s3, exec_lo, s3
; %bb.69:
	v_bfe_u32 v78, v79, 16, 1
	s_delay_alu instid0(VALU_DEP_1)
	v_add3_u32 v78, v79, v78, 0x7fff
                                        ; implicit-def: $vgpr79
; %bb.70:
	s_and_not1_saveexec_b32 s3, s3
; %bb.71:
	v_and_b32_e32 v78, 0xffff, v79
	v_or_b32_e32 v83, 0x10000, v79
	s_delay_alu instid0(VALU_DEP_2) | instskip(NEXT) | instid1(VALU_DEP_2)
	v_cmp_eq_u32_e32 vcc_lo, 0, v78
	v_cndmask_b32_e32 v78, v83, v79, vcc_lo
; %bb.72:
	s_or_b32 exec_lo, exec_lo, s3
	v_and_b32_e32 v79, 0x7f800000, v70
	s_delay_alu instid0(VALU_DEP_1) | instskip(SKIP_1) | instid1(SALU_CYCLE_1)
	v_cmp_ne_u32_e32 vcc_lo, 0x7f800000, v79
                                        ; implicit-def: $vgpr79
	s_and_saveexec_b32 s3, vcc_lo
	s_xor_b32 s3, exec_lo, s3
; %bb.73:
	v_bfe_u32 v79, v70, 16, 1
	s_delay_alu instid0(VALU_DEP_1)
	v_add3_u32 v79, v70, v79, 0x7fff
                                        ; implicit-def: $vgpr70
; %bb.74:
	s_and_not1_saveexec_b32 s3, s3
; %bb.75:
	v_and_b32_e32 v79, 0xffff, v70
	v_or_b32_e32 v83, 0x10000, v70
	s_delay_alu instid0(VALU_DEP_2) | instskip(NEXT) | instid1(VALU_DEP_2)
	v_cmp_eq_u32_e32 vcc_lo, 0, v79
	v_cndmask_b32_e32 v79, v83, v70, vcc_lo
; %bb.76:
	s_or_b32 exec_lo, exec_lo, s3
	s_delay_alu instid0(VALU_DEP_1)
	v_perm_b32 v86, v79, v78, 0x7060302
	v_perm_b32 v85, v77, v82, 0x7060302
	;; [unrolled: 1-line block ×4, first 2 shown]
	v_lshl_or_b32 v82, v66, 11, v80
	ds_store_b128 v76, v[83:86] offset:1024
	s_waitcnt lgkmcnt(0)
	s_barrier
	buffer_gl0_inv
	ds_load_b128 v[69:72], v82
	ds_load_b128 v[83:86], v82 offset:16
	s_waitcnt lgkmcnt(1)
	v_lshrrev_b32_e32 v66, 16, v69
	s_waitcnt lgkmcnt(0)
	v_lshrrev_b32_e32 v91, 16, v83
	v_lshlrev_b32_e32 v78, 2, v74
	v_lshrrev_b32_e32 v95, 16, v70
	v_lshrrev_b32_e32 v98, 16, v84
	;; [unrolled: 1-line block ×4, first 2 shown]
	v_cmp_eq_u32_e32 vcc_lo, 1, v78
	v_lshrrev_b32_e32 v97, 16, v72
	v_lshrrev_b32_e32 v100, 16, v86
	v_cndmask_b32_e32 v87, v83, v91, vcc_lo
	v_or_b32_e32 v79, 1, v78
	v_cndmask_b32_e32 v81, v69, v66, vcc_lo
	v_cmp_eq_u32_e64 s4, 2, v78
	v_cmp_eq_u32_e64 s7, 3, v78
	;; [unrolled: 1-line block ×5, first 2 shown]
	v_cndmask_b32_e64 v81, v81, v70, s4
	v_cndmask_b32_e64 v87, v87, v84, s4
	v_cmp_eq_u32_e64 s8, 3, v79
	v_cndmask_b32_e64 v88, v69, v66, s3
	v_or_b32_e32 v77, 2, v78
	v_cndmask_b32_e64 v81, v81, v95, s7
	v_cndmask_b32_e64 v87, v87, v98, s7
	;; [unrolled: 1-line block ×4, first 2 shown]
	v_cmp_eq_u32_e64 s10, 5, v78
	v_cndmask_b32_e64 v81, v81, v71, s9
	v_cndmask_b32_e64 v87, v87, v85, s9
	v_cmp_eq_u32_e64 s11, 4, v79
	v_cndmask_b32_e64 v88, v88, v95, s8
	v_cmp_eq_u32_e64 s5, 1, v77
	v_cndmask_b32_e64 v89, v89, v84, s6
	v_cndmask_b32_e64 v81, v81, v96, s10
	v_cmp_eq_u32_e64 s12, 6, v78
	v_cndmask_b32_e64 v88, v88, v71, s11
	;; [unrolled: 3-line block ×3, first 2 shown]
	v_cndmask_b32_e64 v89, v89, v98, s8
	v_cndmask_b32_e64 v81, v81, v72, s12
	v_cmp_eq_u32_e64 s15, 7, v78
	v_cndmask_b32_e64 v88, v88, v96, s13
	v_cndmask_b32_e64 v87, v87, v86, s12
	v_cmp_eq_u32_e64 s16, 6, v79
	v_cmp_eq_u32_e64 s17, 2, v77
	v_cndmask_b32_e64 v89, v89, v85, s11
	v_cndmask_b32_e64 v101, v81, v97, s15
	;; [unrolled: 1-line block ×6, first 2 shown]
	v_cmp_eq_u32_e64 s18, 7, v79
	v_cmp_eq_u32_e64 s19, 3, v77
	;; [unrolled: 1-line block ×4, first 2 shown]
	v_cndmask_b32_e64 v87, v87, v84, s17
	v_cndmask_b32_e64 v103, v88, v97, s18
	;; [unrolled: 1-line block ×4, first 2 shown]
	v_or_b32_e32 v81, 3, v78
	v_cndmask_b32_e64 v93, v87, v98, s19
	v_cmp_eq_u32_e64 s24, 6, v77
	v_cndmask_b32_e64 v104, v88, v86, s16
	v_cndmask_b32_e64 v92, v89, v71, s20
	v_cmp_eq_u32_e64 s21, 1, v81
	ds_load_b128 v[87:90], v82 offset:1024
	v_cmp_eq_u32_e64 s23, 2, v81
	v_cmp_eq_u32_e64 s25, 3, v81
	v_cndmask_b32_e64 v105, v92, v96, s22
	v_cndmask_b32_e64 v66, v69, v66, s21
	;; [unrolled: 1-line block ×4, first 2 shown]
	ds_load_b128 v[91:94], v82 offset:1040
	v_cmp_eq_u32_e64 s26, 4, v81
	v_cndmask_b32_e64 v66, v66, v70, s23
	v_cmp_eq_u32_e64 s27, 7, v77
	v_cndmask_b32_e64 v70, v83, v84, s23
	v_cndmask_b32_e64 v84, v105, v72, s24
	v_cmp_eq_u32_e64 s28, 5, v81
	v_cndmask_b32_e64 v66, v66, v95, s25
	v_cmp_eq_u32_e64 s29, 6, v81
	v_cndmask_b32_e64 v70, v70, v98, s25
	v_cndmask_b32_e64 v69, v69, v99, s22
	;; [unrolled: 1-line block ×4, first 2 shown]
	s_waitcnt lgkmcnt(1)
	v_lshrrev_b32_e32 v95, 16, v87
	v_cndmask_b32_e64 v70, v70, v85, s26
	v_cndmask_b32_e64 v71, v84, v97, s27
	v_cndmask_b32_e64 v69, v69, v86, s24
	v_cndmask_b32_e64 v66, v66, v96, s28
	v_cndmask_b32_e32 v84, v87, v95, vcc_lo
	v_cndmask_b32_e64 v70, v70, v99, s28
	s_waitcnt lgkmcnt(0)
	v_lshrrev_b32_e32 v85, 16, v91
	v_lshrrev_b32_e32 v96, 16, v88
	v_cndmask_b32_e64 v98, v87, v95, s3
	v_cndmask_b32_e64 v84, v84, v88, s4
	v_cndmask_b32_e64 v70, v70, v86, s29
	v_cndmask_b32_e32 v99, v91, v85, vcc_lo
	v_cmp_eq_u32_e32 vcc_lo, 7, v81
	v_cndmask_b32_e64 v66, v66, v72, s29
	v_cndmask_b32_e64 v72, v84, v96, s7
	;; [unrolled: 1-line block ×3, first 2 shown]
	v_lshrrev_b32_e32 v98, 16, v92
	v_cndmask_b32_e32 v70, v70, v100, vcc_lo
	v_cndmask_b32_e64 v86, v99, v92, s4
	v_cndmask_b32_e64 v69, v69, v100, s27
	v_lshrrev_b32_e32 v100, 16, v93
	v_cndmask_b32_e64 v72, v72, v89, s9
	v_lshrrev_b32_e32 v99, 16, v89
	v_cndmask_b32_e64 v86, v86, v98, s7
	v_perm_b32 v71, v69, v71, 0x5040100
	v_cndmask_b32_e64 v84, v84, v96, s8
	s_delay_alu instid0(VALU_DEP_3) | instskip(NEXT) | instid1(VALU_DEP_2)
	v_cndmask_b32_e64 v86, v86, v93, s9
	v_cndmask_b32_e64 v84, v84, v89, s11
	s_delay_alu instid0(VALU_DEP_2) | instskip(NEXT) | instid1(VALU_DEP_1)
	v_cndmask_b32_e64 v86, v86, v100, s10
	v_cndmask_b32_e64 v69, v86, v94, s12
	;; [unrolled: 1-line block ×5, first 2 shown]
	s_delay_alu instid0(VALU_DEP_3) | instskip(NEXT) | instid1(VALU_DEP_3)
	v_cndmask_b32_e64 v86, v86, v88, s17
	v_cndmask_b32_e64 v87, v87, v88, s23
	s_delay_alu instid0(VALU_DEP_3) | instskip(NEXT) | instid1(VALU_DEP_3)
	v_cndmask_b32_e64 v88, v95, v92, s23
	v_cndmask_b32_e64 v86, v86, v96, s19
	;; [unrolled: 3-line block ×7, first 2 shown]
	s_delay_alu instid0(VALU_DEP_3) | instskip(SKIP_2) | instid1(VALU_DEP_2)
	v_cndmask_b32_e64 v88, v88, v94, s29
	v_cndmask_b32_e32 v66, v66, v97, vcc_lo
	v_cndmask_b32_e64 v97, v72, v99, s10
	v_perm_b32 v72, v70, v66, 0x5040100
	v_perm_b32 v70, v83, v103, 0x5040100
	v_cndmask_b32_e64 v103, v91, v85, s5
	v_cndmask_b32_e64 v85, v91, v85, s3
	;; [unrolled: 1-line block ×4, first 2 shown]
	v_lshrrev_b32_e32 v97, 16, v90
	v_cndmask_b32_e64 v91, v103, v92, s17
	v_cndmask_b32_e64 v85, v85, v92, s6
	;; [unrolled: 1-line block ×3, first 2 shown]
	s_mov_b32 s3, exec_lo
	v_cndmask_b32_e64 v83, v84, v97, s15
	v_cndmask_b32_e64 v91, v91, v98, s19
	;; [unrolled: 1-line block ×3, first 2 shown]
	v_lshrrev_b32_e32 v84, 16, v94
	v_cndmask_b32_e64 v66, v66, v97, s18
	v_cndmask_b32_e64 v90, v86, v97, s27
	;; [unrolled: 1-line block ×4, first 2 shown]
	v_dual_cndmask_b32 v86, v87, v97 :: v_dual_cndmask_b32 v87, v88, v84
	v_cndmask_b32_e64 v91, v69, v84, s15
	s_delay_alu instid0(VALU_DEP_4) | instskip(NEXT) | instid1(VALU_DEP_4)
	v_cndmask_b32_e64 v89, v89, v100, s22
	v_cndmask_b32_e64 v85, v85, v100, s13
	v_perm_b32 v69, v102, v101, 0x5040100
	v_perm_b32 v86, v87, v86, 0x5040100
	;; [unrolled: 1-line block ×3, first 2 shown]
	v_cndmask_b32_e64 v89, v89, v94, s24
	v_cndmask_b32_e64 v85, v85, v94, s16
	s_mul_i32 s8, s35, 3
	s_delay_alu instid0(VALU_DEP_2) | instskip(NEXT) | instid1(VALU_DEP_2)
	v_cndmask_b32_e64 v88, v89, v84, s27
	v_cndmask_b32_e64 v89, v85, v84, s18
	s_delay_alu instid0(VALU_DEP_2) | instskip(NEXT) | instid1(VALU_DEP_2)
	v_perm_b32 v85, v88, v90, 0x5040100
	v_perm_b32 v84, v89, v66, 0x5040100
	ds_store_b128 v76, v[69:72]
	ds_store_b128 v76, v[83:86] offset:1024
	v_cmpx_gt_u32_e32 3, v0
	s_cbranch_execz .LBB1584_78
; %bb.77:
	s_mul_i32 s4, s8, s30
	s_delay_alu instid0(SALU_CYCLE_1) | instskip(SKIP_1) | instid1(VALU_DEP_1)
	v_add3_u32 v69, s4, s31, v65
	s_load_b128 s[4:7], s[0:1], 0x58
	v_mad_u64_u32 v[65:66], null, v69, s34, s[14:15]
	s_delay_alu instid0(VALU_DEP_1) | instskip(NEXT) | instid1(VALU_DEP_1)
	v_ashrrev_i32_e32 v66, 31, v65
	v_lshlrev_b64 v[65:66], 2, v[65:66]
	s_waitcnt lgkmcnt(0)
	s_delay_alu instid0(VALU_DEP_1) | instskip(NEXT) | instid1(VALU_DEP_2)
	v_add_co_u32 v69, vcc_lo, s6, v65
	v_add_co_ci_u32_e32 v70, vcc_lo, s7, v66, vcc_lo
	v_add_co_u32 v65, vcc_lo, s4, v65
	v_add_co_ci_u32_e32 v66, vcc_lo, s5, v66, vcc_lo
	global_store_b32 v[69:70], v67, off
	global_store_b32 v[65:66], v68, off
.LBB1584_78:
	s_or_b32 exec_lo, exec_lo, s3
	s_waitcnt lgkmcnt(0)
	s_waitcnt_vscnt null, 0x0
	s_barrier
	buffer_gl0_inv
	ds_load_b128 v[83:86], v80
	ds_load_b128 v[87:90], v80 offset:16
	ds_load_b128 v[95:98], v80 offset:2064
	;; [unrolled: 1-line block ×3, first 2 shown]
	v_mov_b32_e32 v65, 0
	ds_load_b128 v[103:106], v80 offset:4112
	ds_load_b128 v[99:102], v80 offset:4096
	;; [unrolled: 1-line block ×4, first 2 shown]
	v_mov_b32_e32 v66, v65
	v_mov_b32_e32 v67, v65
	;; [unrolled: 1-line block ×7, first 2 shown]
	s_waitcnt lgkmcnt(6)
	s_delay_alu instid0(VALU_DEP_1)
	v_wmma_f32_16x16x16_bf16 v[65:72], v[41:48], v[83:90], v[65:72]
	ds_load_b128 v[45:48], v80 offset:8208
	ds_load_b128 v[41:44], v80 offset:8192
	s_waitcnt lgkmcnt(6)
	v_wmma_f32_16x16x16_bf16 v[65:72], v[33:40], v[91:98], v[65:72]
	ds_load_b128 v[37:40], v80 offset:10256
	ds_load_b128 v[33:36], v80 offset:10240
	s_waitcnt lgkmcnt(6)
	;; [unrolled: 4-line block ×4, first 2 shown]
	v_wmma_f32_16x16x16_bf16 v[65:72], v[1:8], v[41:48], v[65:72]
	s_waitcnt lgkmcnt(4)
	s_delay_alu instid0(VALU_DEP_1) | instskip(SKIP_1) | instid1(VALU_DEP_1)
	v_wmma_f32_16x16x16_bf16 v[65:72], v[9:16], v[33:40], v[65:72]
	s_waitcnt lgkmcnt(2)
	v_wmma_f32_16x16x16_bf16 v[65:72], v[57:64], v[25:32], v[65:72]
	s_waitcnt lgkmcnt(0)
	s_delay_alu instid0(VALU_DEP_1) | instskip(NEXT) | instid1(VALU_DEP_1)
	v_wmma_f32_16x16x16_bf16 v[65:72], v[49:56], v[17:24], v[65:72]
	v_and_b32_e32 v1, 0x7f800000, v65
	s_delay_alu instid0(VALU_DEP_1) | instskip(SKIP_1) | instid1(SALU_CYCLE_1)
	v_cmp_ne_u32_e32 vcc_lo, 0x7f800000, v1
                                        ; implicit-def: $vgpr1
	s_and_saveexec_b32 s3, vcc_lo
	s_xor_b32 s3, exec_lo, s3
; %bb.79:
	v_bfe_u32 v1, v65, 16, 1
	s_delay_alu instid0(VALU_DEP_1)
	v_add3_u32 v1, v65, v1, 0x7fff
; %bb.80:
	s_and_not1_saveexec_b32 s3, s3
; %bb.81:
	v_and_b32_e32 v1, 0xffff, v65
	v_or_b32_e32 v2, 0x10000, v65
	s_delay_alu instid0(VALU_DEP_2) | instskip(NEXT) | instid1(VALU_DEP_2)
	v_cmp_eq_u32_e32 vcc_lo, 0, v1
	v_cndmask_b32_e32 v1, v2, v65, vcc_lo
; %bb.82:
	s_or_b32 exec_lo, exec_lo, s3
	v_and_b32_e32 v2, 0x7f800000, v66
	s_delay_alu instid0(VALU_DEP_1) | instskip(SKIP_1) | instid1(SALU_CYCLE_1)
	v_cmp_ne_u32_e32 vcc_lo, 0x7f800000, v2
                                        ; implicit-def: $vgpr2
	s_and_saveexec_b32 s3, vcc_lo
	s_xor_b32 s3, exec_lo, s3
; %bb.83:
	v_bfe_u32 v2, v66, 16, 1
	s_delay_alu instid0(VALU_DEP_1)
	v_add3_u32 v2, v66, v2, 0x7fff
; %bb.84:
	s_and_not1_saveexec_b32 s3, s3
; %bb.85:
	v_and_b32_e32 v2, 0xffff, v66
	v_or_b32_e32 v3, 0x10000, v66
	s_delay_alu instid0(VALU_DEP_2) | instskip(NEXT) | instid1(VALU_DEP_2)
	v_cmp_eq_u32_e32 vcc_lo, 0, v2
	v_cndmask_b32_e32 v2, v3, v66, vcc_lo
; %bb.86:
	s_or_b32 exec_lo, exec_lo, s3
	v_and_b32_e32 v3, 0x7f800000, v67
	s_delay_alu instid0(VALU_DEP_1) | instskip(SKIP_1) | instid1(SALU_CYCLE_1)
	v_cmp_ne_u32_e32 vcc_lo, 0x7f800000, v3
                                        ; implicit-def: $vgpr3
	s_and_saveexec_b32 s3, vcc_lo
	s_xor_b32 s3, exec_lo, s3
; %bb.87:
	v_bfe_u32 v3, v67, 16, 1
	s_delay_alu instid0(VALU_DEP_1)
	v_add3_u32 v3, v67, v3, 0x7fff
; %bb.88:
	s_and_not1_saveexec_b32 s3, s3
; %bb.89:
	v_and_b32_e32 v3, 0xffff, v67
	v_or_b32_e32 v4, 0x10000, v67
	s_delay_alu instid0(VALU_DEP_2) | instskip(NEXT) | instid1(VALU_DEP_2)
	v_cmp_eq_u32_e32 vcc_lo, 0, v3
	v_cndmask_b32_e32 v3, v4, v67, vcc_lo
; %bb.90:
	s_or_b32 exec_lo, exec_lo, s3
	v_and_b32_e32 v4, 0x7f800000, v68
	s_delay_alu instid0(VALU_DEP_1) | instskip(SKIP_1) | instid1(SALU_CYCLE_1)
	v_cmp_ne_u32_e32 vcc_lo, 0x7f800000, v4
                                        ; implicit-def: $vgpr4
	s_and_saveexec_b32 s3, vcc_lo
	s_xor_b32 s3, exec_lo, s3
; %bb.91:
	v_bfe_u32 v4, v68, 16, 1
	s_delay_alu instid0(VALU_DEP_1)
	v_add3_u32 v4, v68, v4, 0x7fff
; %bb.92:
	s_and_not1_saveexec_b32 s3, s3
; %bb.93:
	v_and_b32_e32 v4, 0xffff, v68
	v_or_b32_e32 v5, 0x10000, v68
	s_delay_alu instid0(VALU_DEP_2) | instskip(NEXT) | instid1(VALU_DEP_2)
	v_cmp_eq_u32_e32 vcc_lo, 0, v4
	v_cndmask_b32_e32 v4, v5, v68, vcc_lo
; %bb.94:
	s_or_b32 exec_lo, exec_lo, s3
	v_and_b32_e32 v5, 0x7f800000, v69
	s_delay_alu instid0(VALU_DEP_1) | instskip(SKIP_1) | instid1(SALU_CYCLE_1)
	v_cmp_ne_u32_e32 vcc_lo, 0x7f800000, v5
                                        ; implicit-def: $vgpr5
	s_and_saveexec_b32 s3, vcc_lo
	s_xor_b32 s3, exec_lo, s3
; %bb.95:
	v_bfe_u32 v5, v69, 16, 1
	s_delay_alu instid0(VALU_DEP_1)
	v_add3_u32 v5, v69, v5, 0x7fff
; %bb.96:
	s_and_not1_saveexec_b32 s3, s3
; %bb.97:
	v_and_b32_e32 v5, 0xffff, v69
	v_or_b32_e32 v6, 0x10000, v69
	s_delay_alu instid0(VALU_DEP_2) | instskip(NEXT) | instid1(VALU_DEP_2)
	v_cmp_eq_u32_e32 vcc_lo, 0, v5
	v_cndmask_b32_e32 v5, v6, v69, vcc_lo
; %bb.98:
	s_or_b32 exec_lo, exec_lo, s3
	v_and_b32_e32 v6, 0x7f800000, v70
	s_delay_alu instid0(VALU_DEP_1) | instskip(SKIP_1) | instid1(SALU_CYCLE_1)
	v_cmp_ne_u32_e32 vcc_lo, 0x7f800000, v6
                                        ; implicit-def: $vgpr6
	s_and_saveexec_b32 s3, vcc_lo
	s_xor_b32 s3, exec_lo, s3
; %bb.99:
	v_bfe_u32 v6, v70, 16, 1
	s_delay_alu instid0(VALU_DEP_1)
	v_add3_u32 v6, v70, v6, 0x7fff
; %bb.100:
	s_and_not1_saveexec_b32 s3, s3
; %bb.101:
	v_and_b32_e32 v6, 0xffff, v70
	v_or_b32_e32 v7, 0x10000, v70
	s_delay_alu instid0(VALU_DEP_2) | instskip(NEXT) | instid1(VALU_DEP_2)
	v_cmp_eq_u32_e32 vcc_lo, 0, v6
	v_cndmask_b32_e32 v6, v7, v70, vcc_lo
; %bb.102:
	s_or_b32 exec_lo, exec_lo, s3
	v_and_b32_e32 v7, 0x7f800000, v71
	s_delay_alu instid0(VALU_DEP_1) | instskip(SKIP_1) | instid1(SALU_CYCLE_1)
	v_cmp_ne_u32_e32 vcc_lo, 0x7f800000, v7
                                        ; implicit-def: $vgpr7
	s_and_saveexec_b32 s3, vcc_lo
	s_xor_b32 s3, exec_lo, s3
; %bb.103:
	v_bfe_u32 v7, v71, 16, 1
	s_delay_alu instid0(VALU_DEP_1)
	v_add3_u32 v7, v71, v7, 0x7fff
; %bb.104:
	s_and_not1_saveexec_b32 s3, s3
; %bb.105:
	v_and_b32_e32 v7, 0xffff, v71
	v_or_b32_e32 v8, 0x10000, v71
	s_delay_alu instid0(VALU_DEP_2) | instskip(NEXT) | instid1(VALU_DEP_2)
	v_cmp_eq_u32_e32 vcc_lo, 0, v7
	v_cndmask_b32_e32 v7, v8, v71, vcc_lo
; %bb.106:
	s_or_b32 exec_lo, exec_lo, s3
	v_and_b32_e32 v8, 0x7f800000, v72
	s_delay_alu instid0(VALU_DEP_1) | instskip(SKIP_1) | instid1(SALU_CYCLE_1)
	v_cmp_ne_u32_e32 vcc_lo, 0x7f800000, v8
                                        ; implicit-def: $vgpr8
	s_and_saveexec_b32 s3, vcc_lo
	s_xor_b32 s3, exec_lo, s3
; %bb.107:
	v_bfe_u32 v8, v72, 16, 1
	s_delay_alu instid0(VALU_DEP_1)
	v_add3_u32 v8, v72, v8, 0x7fff
                                        ; implicit-def: $vgpr65_vgpr66_vgpr67_vgpr68_vgpr69_vgpr70_vgpr71_vgpr72
; %bb.108:
	s_and_not1_saveexec_b32 s3, s3
; %bb.109:
	v_and_b32_e32 v8, 0xffff, v72
	v_or_b32_e32 v9, 0x10000, v72
	s_delay_alu instid0(VALU_DEP_2) | instskip(NEXT) | instid1(VALU_DEP_2)
	v_cmp_eq_u32_e32 vcc_lo, 0, v8
	v_cndmask_b32_e32 v8, v9, v72, vcc_lo
; %bb.110:
	s_or_b32 exec_lo, exec_lo, s3
	s_delay_alu instid0(VALU_DEP_1)
	v_perm_b32 v7, v8, v7, 0x7060302
	v_perm_b32 v6, v6, v5, 0x7060302
	;; [unrolled: 1-line block ×4, first 2 shown]
	s_barrier
	buffer_gl0_inv
	v_cmp_eq_u32_e32 vcc_lo, 1, v78
	ds_store_b128 v76, v[4:7]
	s_waitcnt lgkmcnt(0)
	s_barrier
	buffer_gl0_inv
	ds_load_b128 v[1:4], v82
	ds_load_b128 v[5:8], v82 offset:16
	v_cmp_eq_u32_e64 s3, 1, v79
	v_cmp_eq_u32_e64 s4, 2, v78
	;; [unrolled: 1-line block ×5, first 2 shown]
	s_waitcnt lgkmcnt(1)
	v_lshrrev_b32_e32 v9, 16, v1
	s_waitcnt lgkmcnt(0)
	v_lshrrev_b32_e32 v13, 16, v5
	v_lshrrev_b32_e32 v10, 16, v2
	;; [unrolled: 1-line block ×4, first 2 shown]
	v_cndmask_b32_e64 v19, v1, v9, s3
	v_cndmask_b32_e32 v18, v5, v13, vcc_lo
	v_cndmask_b32_e64 v20, v5, v13, s3
	v_cndmask_b32_e32 v17, v1, v9, vcc_lo
	v_cmp_eq_u32_e32 vcc_lo, 2, v79
	v_lshrrev_b32_e32 v15, 16, v7
	v_cmp_eq_u32_e64 s3, 1, v77
	v_lshrrev_b32_e32 v12, 16, v4
	v_lshrrev_b32_e32 v16, 16, v8
	v_cndmask_b32_e32 v20, v20, v6, vcc_lo
	v_cndmask_b32_e64 v17, v17, v2, s4
	v_cndmask_b32_e32 v19, v19, v2, vcc_lo
	v_cndmask_b32_e64 v18, v18, v6, s4
	v_cmp_eq_u32_e32 vcc_lo, 4, v78
	v_cmp_eq_u32_e64 s4, 3, v79
	v_cndmask_b32_e64 v17, v17, v10, s5
	v_cndmask_b32_e64 v21, v1, v9, s3
	;; [unrolled: 1-line block ×5, first 2 shown]
	v_cndmask_b32_e32 v17, v17, v3, vcc_lo
	v_cndmask_b32_e64 v20, v20, v14, s4
	v_cndmask_b32_e32 v18, v18, v7, vcc_lo
	v_cmp_eq_u32_e32 vcc_lo, 4, v79
	v_cmp_eq_u32_e64 s4, 5, v79
	v_cmp_eq_u32_e64 s3, 2, v81
	v_cndmask_b32_e64 v21, v21, v2, s7
	v_cmp_eq_u32_e64 s5, 5, v78
	v_cndmask_b32_e32 v19, v19, v3, vcc_lo
	v_cndmask_b32_e32 v20, v20, v7, vcc_lo
	v_cmp_eq_u32_e32 vcc_lo, 6, v79
	s_delay_alu instid0(VALU_DEP_4) | instskip(NEXT) | instid1(VALU_DEP_4)
	v_cndmask_b32_e64 v17, v17, v11, s5
	v_cndmask_b32_e64 v19, v19, v11, s4
	s_delay_alu instid0(VALU_DEP_4) | instskip(SKIP_1) | instid1(VALU_DEP_3)
	v_cndmask_b32_e64 v20, v20, v15, s4
	v_cmp_eq_u32_e64 s4, 1, v81
	v_cndmask_b32_e32 v19, v19, v4, vcc_lo
	v_cndmask_b32_e64 v18, v18, v15, s5
	s_delay_alu instid0(VALU_DEP_3)
	v_cndmask_b32_e64 v1, v1, v9, s4
	v_cndmask_b32_e64 v5, v5, v13, s4
	v_cmp_eq_u32_e64 s4, 3, v77
	v_cndmask_b32_e64 v13, v22, v6, s7
	v_cmp_eq_u32_e64 s7, 3, v81
	v_cndmask_b32_e64 v1, v1, v2, s3
	v_cndmask_b32_e64 v2, v5, v6, s3
	;; [unrolled: 1-line block ×3, first 2 shown]
	v_cmp_eq_u32_e64 s3, 4, v77
	v_cndmask_b32_e64 v6, v13, v14, s4
	v_cndmask_b32_e64 v1, v1, v10, s7
	v_cmp_eq_u32_e64 s4, 4, v81
	v_cndmask_b32_e64 v2, v2, v14, s7
	v_cndmask_b32_e64 v5, v9, v3, s3
	;; [unrolled: 3-line block ×3, first 2 shown]
	v_cndmask_b32_e64 v2, v2, v7, s4
	v_cmp_eq_u32_e64 s3, 5, v81
	v_cmp_eq_u32_e64 s5, 6, v78
	v_cndmask_b32_e64 v5, v5, v11, s7
	v_cmp_eq_u32_e64 s4, 6, v77
	v_cndmask_b32_e64 v3, v6, v15, s7
	v_cndmask_b32_e64 v1, v1, v11, s3
	v_cmp_eq_u32_e64 s7, 6, v81
	v_cndmask_b32_e64 v2, v2, v15, s3
	v_cndmask_b32_e64 v17, v17, v4, s5
	v_cndmask_b32_e64 v18, v18, v8, s5
	v_cmp_eq_u32_e64 s5, 7, v78
	v_cndmask_b32_e64 v5, v5, v4, s4
	;; [unrolled: 4-line block ×3, first 2 shown]
	v_cmp_eq_u32_e64 s4, 7, v77
	v_cndmask_b32_e32 v4, v20, v8, vcc_lo
	v_cndmask_b32_e64 v17, v17, v12, s5
	v_cndmask_b32_e64 v19, v19, v12, s6
	;; [unrolled: 1-line block ×8, first 2 shown]
	s_mov_b32 s3, exec_lo
	v_perm_b32 v4, v2, v1, 0x5040100
	v_perm_b32 v3, v3, v5, 0x5040100
	;; [unrolled: 1-line block ×4, first 2 shown]
	ds_store_b128 v76, v[1:4]
	s_waitcnt lgkmcnt(0)
	s_barrier
	buffer_gl0_inv
	v_cmpx_gt_u32_e32 32, v0
	s_cbranch_execz .LBB1584_2
; %bb.111:
	s_load_b64 s[4:5], s[0:1], 0x68
	v_lshlrev_b32_e32 v0, 10, v0
	v_lshlrev_b32_e32 v2, 4, v75
	v_add_nc_u32_e32 v1, s31, v74
	s_lshl_b32 s0, s34, 7
	s_delay_alu instid0(SALU_CYCLE_1) | instskip(NEXT) | instid1(VALU_DEP_2)
	s_mul_i32 s1, s0, s30
	v_and_or_b32 v0, 0x3800, v0, v2
	s_mul_i32 s6, s1, s8
	v_mul_lo_u32 v1, v1, s0
	s_ashr_i32 s7, s6, 31
	s_delay_alu instid0(VALU_DEP_2) | instskip(SKIP_1) | instid1(VALU_DEP_2)
	v_lshl_or_b32 v3, v74, 6, v0
	s_lshl_b64 s[6:7], s[6:7], 1
	v_ashrrev_i32_e32 v2, 31, v1
	ds_load_b128 v[3:6], v3
	s_waitcnt lgkmcnt(0)
	s_add_u32 s1, s4, s6
	s_addc_u32 s3, s5, s7
	s_lshl_b32 s4, s14, 7
	v_lshlrev_b64 v[7:8], 1, v[1:2]
	s_ashr_i32 s5, s4, 31
	s_delay_alu instid0(SALU_CYCLE_1) | instskip(NEXT) | instid1(SALU_CYCLE_1)
	s_lshl_b64 s[4:5], s[4:5], 1
	s_add_u32 s1, s1, s4
	s_addc_u32 s3, s3, s5
	v_add_co_u32 v1, s1, s1, v73
	s_delay_alu instid0(VALU_DEP_1) | instskip(NEXT) | instid1(VALU_DEP_2)
	v_add_co_ci_u32_e64 v2, null, s3, 0, s1
	v_add_co_u32 v7, vcc_lo, v1, v7
	s_delay_alu instid0(VALU_DEP_2)
	v_add_co_ci_u32_e32 v8, vcc_lo, v2, v8, vcc_lo
	global_store_b128 v[7:8], v[3:6], off
	s_and_b32 exec_lo, exec_lo, s2
	s_cbranch_execz .LBB1584_2
; %bb.112:
	ds_load_b128 v[3:6], v0 offset:128
	s_add_i32 s1, s31, 2
	s_delay_alu instid0(SALU_CYCLE_1) | instskip(NEXT) | instid1(SALU_CYCLE_1)
	s_mul_i32 s0, s1, s0
	s_ashr_i32 s1, s0, 31
	s_delay_alu instid0(SALU_CYCLE_1) | instskip(NEXT) | instid1(SALU_CYCLE_1)
	s_lshl_b64 s[0:1], s[0:1], 1
	v_add_co_u32 v0, vcc_lo, v1, s0
	v_add_co_ci_u32_e32 v1, vcc_lo, s1, v2, vcc_lo
	s_waitcnt lgkmcnt(0)
	global_store_b128 v[0:1], v[3:6], off
	s_nop 0
	s_sendmsg sendmsg(MSG_DEALLOC_VGPRS)
	s_endpgm
	.section	.rodata,"a",@progbits
	.p2align	6, 0x0
	.amdhsa_kernel _Z39paged_attention_ll4mi_QKV_mfma16_kernelI14__hip_bfloat16hLN4vllm18Fp8KVCacheDataTypeE1ES0_Li16ELi128ELi256ELb0ELi3EL8MFMAType1EEvPKT_PKT0_S9_ifPKiSB_SB_iPKfiiiPfSE_PS4_PT2_iSD_SD_
		.amdhsa_group_segment_fixed_size 17472
		.amdhsa_private_segment_fixed_size 0
		.amdhsa_kernarg_size 400
		.amdhsa_user_sgpr_count 13
		.amdhsa_user_sgpr_dispatch_ptr 0
		.amdhsa_user_sgpr_queue_ptr 0
		.amdhsa_user_sgpr_kernarg_segment_ptr 1
		.amdhsa_user_sgpr_dispatch_id 0
		.amdhsa_user_sgpr_private_segment_size 0
		.amdhsa_wavefront_size32 1
		.amdhsa_uses_dynamic_stack 0
		.amdhsa_enable_private_segment 0
		.amdhsa_system_sgpr_workgroup_id_x 1
		.amdhsa_system_sgpr_workgroup_id_y 1
		.amdhsa_system_sgpr_workgroup_id_z 1
		.amdhsa_system_sgpr_workgroup_info 0
		.amdhsa_system_vgpr_workitem_id 0
		.amdhsa_next_free_vgpr 140
		.amdhsa_next_free_sgpr 36
		.amdhsa_reserve_vcc 1
		.amdhsa_float_round_mode_32 0
		.amdhsa_float_round_mode_16_64 0
		.amdhsa_float_denorm_mode_32 3
		.amdhsa_float_denorm_mode_16_64 3
		.amdhsa_dx10_clamp 1
		.amdhsa_ieee_mode 1
		.amdhsa_fp16_overflow 0
		.amdhsa_workgroup_processor_mode 1
		.amdhsa_memory_ordered 1
		.amdhsa_forward_progress 0
		.amdhsa_shared_vgpr_count 0
		.amdhsa_exception_fp_ieee_invalid_op 0
		.amdhsa_exception_fp_denorm_src 0
		.amdhsa_exception_fp_ieee_div_zero 0
		.amdhsa_exception_fp_ieee_overflow 0
		.amdhsa_exception_fp_ieee_underflow 0
		.amdhsa_exception_fp_ieee_inexact 0
		.amdhsa_exception_int_div_zero 0
	.end_amdhsa_kernel
	.section	.text._Z39paged_attention_ll4mi_QKV_mfma16_kernelI14__hip_bfloat16hLN4vllm18Fp8KVCacheDataTypeE1ES0_Li16ELi128ELi256ELb0ELi3EL8MFMAType1EEvPKT_PKT0_S9_ifPKiSB_SB_iPKfiiiPfSE_PS4_PT2_iSD_SD_,"axG",@progbits,_Z39paged_attention_ll4mi_QKV_mfma16_kernelI14__hip_bfloat16hLN4vllm18Fp8KVCacheDataTypeE1ES0_Li16ELi128ELi256ELb0ELi3EL8MFMAType1EEvPKT_PKT0_S9_ifPKiSB_SB_iPKfiiiPfSE_PS4_PT2_iSD_SD_,comdat
.Lfunc_end1584:
	.size	_Z39paged_attention_ll4mi_QKV_mfma16_kernelI14__hip_bfloat16hLN4vllm18Fp8KVCacheDataTypeE1ES0_Li16ELi128ELi256ELb0ELi3EL8MFMAType1EEvPKT_PKT0_S9_ifPKiSB_SB_iPKfiiiPfSE_PS4_PT2_iSD_SD_, .Lfunc_end1584-_Z39paged_attention_ll4mi_QKV_mfma16_kernelI14__hip_bfloat16hLN4vllm18Fp8KVCacheDataTypeE1ES0_Li16ELi128ELi256ELb0ELi3EL8MFMAType1EEvPKT_PKT0_S9_ifPKiSB_SB_iPKfiiiPfSE_PS4_PT2_iSD_SD_
                                        ; -- End function
	.section	.AMDGPU.csdata,"",@progbits
; Kernel info:
; codeLenInByte = 8848
; NumSgprs: 38
; NumVgprs: 140
; ScratchSize: 0
; MemoryBound: 0
; FloatMode: 240
; IeeeMode: 1
; LDSByteSize: 17472 bytes/workgroup (compile time only)
; SGPRBlocks: 4
; VGPRBlocks: 17
; NumSGPRsForWavesPerEU: 38
; NumVGPRsForWavesPerEU: 140
; Occupancy: 10
; WaveLimiterHint : 1
; COMPUTE_PGM_RSRC2:SCRATCH_EN: 0
; COMPUTE_PGM_RSRC2:USER_SGPR: 13
; COMPUTE_PGM_RSRC2:TRAP_HANDLER: 0
; COMPUTE_PGM_RSRC2:TGID_X_EN: 1
; COMPUTE_PGM_RSRC2:TGID_Y_EN: 1
; COMPUTE_PGM_RSRC2:TGID_Z_EN: 1
; COMPUTE_PGM_RSRC2:TIDIG_COMP_CNT: 0
	.section	.text._Z39paged_attention_ll4mi_QKV_mfma16_kernelI14__hip_bfloat16hLN4vllm18Fp8KVCacheDataTypeE1ES0_Li16ELi128ELi256ELb0ELi4EL8MFMAType1EEvPKT_PKT0_S9_ifPKiSB_SB_iPKfiiiPfSE_PS4_PT2_iSD_SD_,"axG",@progbits,_Z39paged_attention_ll4mi_QKV_mfma16_kernelI14__hip_bfloat16hLN4vllm18Fp8KVCacheDataTypeE1ES0_Li16ELi128ELi256ELb0ELi4EL8MFMAType1EEvPKT_PKT0_S9_ifPKiSB_SB_iPKfiiiPfSE_PS4_PT2_iSD_SD_,comdat
	.protected	_Z39paged_attention_ll4mi_QKV_mfma16_kernelI14__hip_bfloat16hLN4vllm18Fp8KVCacheDataTypeE1ES0_Li16ELi128ELi256ELb0ELi4EL8MFMAType1EEvPKT_PKT0_S9_ifPKiSB_SB_iPKfiiiPfSE_PS4_PT2_iSD_SD_ ; -- Begin function _Z39paged_attention_ll4mi_QKV_mfma16_kernelI14__hip_bfloat16hLN4vllm18Fp8KVCacheDataTypeE1ES0_Li16ELi128ELi256ELb0ELi4EL8MFMAType1EEvPKT_PKT0_S9_ifPKiSB_SB_iPKfiiiPfSE_PS4_PT2_iSD_SD_
	.globl	_Z39paged_attention_ll4mi_QKV_mfma16_kernelI14__hip_bfloat16hLN4vllm18Fp8KVCacheDataTypeE1ES0_Li16ELi128ELi256ELb0ELi4EL8MFMAType1EEvPKT_PKT0_S9_ifPKiSB_SB_iPKfiiiPfSE_PS4_PT2_iSD_SD_
	.p2align	8
	.type	_Z39paged_attention_ll4mi_QKV_mfma16_kernelI14__hip_bfloat16hLN4vllm18Fp8KVCacheDataTypeE1ES0_Li16ELi128ELi256ELb0ELi4EL8MFMAType1EEvPKT_PKT0_S9_ifPKiSB_SB_iPKfiiiPfSE_PS4_PT2_iSD_SD_,@function
_Z39paged_attention_ll4mi_QKV_mfma16_kernelI14__hip_bfloat16hLN4vllm18Fp8KVCacheDataTypeE1ES0_Li16ELi128ELi256ELb0ELi4EL8MFMAType1EEvPKT_PKT0_S9_ifPKiSB_SB_iPKfiiiPfSE_PS4_PT2_iSD_SD_: ; @_Z39paged_attention_ll4mi_QKV_mfma16_kernelI14__hip_bfloat16hLN4vllm18Fp8KVCacheDataTypeE1ES0_Li16ELi128ELi256ELb0ELi4EL8MFMAType1EEvPKT_PKT0_S9_ifPKiSB_SB_iPKfiiiPfSE_PS4_PT2_iSD_SD_
; %bb.0:
	s_load_b64 s[4:5], s[0:1], 0x30
	s_mov_b32 s30, s13
	s_waitcnt lgkmcnt(0)
	s_cmp_lg_u64 s[4:5], 0
	s_cselect_b32 s13, -1, 0
	s_ashr_i32 s31, s30, 31
	s_cmp_eq_u64 s[4:5], 0
	s_cbranch_scc1 .LBB1585_3
; %bb.1:
	s_lshl_b64 s[2:3], s[30:31], 2
	s_delay_alu instid0(SALU_CYCLE_1) | instskip(SKIP_4) | instid1(SALU_CYCLE_1)
	s_add_u32 s2, s4, s2
	s_addc_u32 s3, s5, s3
	s_load_b64 s[2:3], s[2:3], 0x0
	s_waitcnt lgkmcnt(0)
	s_sub_i32 s2, s3, s2
	s_cmp_eq_u32 s2, 1
	s_cselect_b32 s2, -1, 0
	s_delay_alu instid0(SALU_CYCLE_1)
	s_and_not1_b32 vcc_lo, exec_lo, s2
	s_cbranch_vccz .LBB1585_4
.LBB1585_2:
	s_endpgm
.LBB1585_3:
.LBB1585_4:
	s_load_b64 s[2:3], s[0:1], 0x28
	s_lshl_b64 s[6:7], s[30:31], 2
	s_waitcnt lgkmcnt(0)
	s_add_u32 s2, s2, s6
	s_addc_u32 s3, s3, s7
	s_lshl_b32 s12, s14, 8
	s_load_b32 s17, s[2:3], 0x0
	s_waitcnt lgkmcnt(0)
	s_cmp_ge_i32 s12, s17
	s_cbranch_scc1 .LBB1585_2
; %bb.5:
	s_clause 0x1
	s_load_b128 s[8:11], s[0:1], 0x8
	s_load_b64 s[2:3], s[0:1], 0x20
	s_and_not1_b32 vcc_lo, exec_lo, s13
	s_cbranch_vccnz .LBB1585_7
; %bb.6:
	s_add_u32 s4, s4, s6
	s_addc_u32 s5, s5, s7
	s_load_b32 s13, s[4:5], 0x0
	s_branch .LBB1585_8
.LBB1585_7:
	s_mov_b32 s13, s30
.LBB1585_8:
	s_load_b128 s[4:7], s[0:1], 0x48
	v_and_b32_e32 v66, 15, v0
	v_lshrrev_b32_e32 v65, 5, v0
	v_and_b32_e32 v67, 31, v0
	v_and_b32_e32 v75, 1, v0
	v_bfe_u32 v74, v0, 4, 1
	v_lshlrev_b32_e32 v1, 3, v66
	s_lshl_b32 s29, s15, 2
	s_waitcnt lgkmcnt(0)
	s_mov_b32 s7, exec_lo
	s_delay_alu instid0(VALU_DEP_1)
	v_lshlrev_b32_e32 v73, 1, v1
	v_cmpx_gt_u32_e32 64, v0
	s_cbranch_execz .LBB1585_10
; %bb.9:
	v_lshl_or_b32 v5, v65, 1, v74
	s_load_b64 s[18:19], s[0:1], 0x0
	s_mul_hi_i32 s21, s13, s4
	s_mul_i32 s20, s13, s4
	v_lshlrev_b32_e32 v6, 10, v66
	v_or_b32_e32 v1, s29, v5
	s_lshl_b64 s[20:21], s[20:21], 1
	v_lshlrev_b32_e32 v5, 6, v5
	v_lshlrev_b32_e32 v7, 10, v75
	v_and_b32_e32 v6, 0x3800, v6
	v_lshlrev_b32_e32 v1, 7, v1
	s_delay_alu instid0(VALU_DEP_2) | instskip(NEXT) | instid1(VALU_DEP_2)
	v_or3_b32 v5, v6, v7, v5
	v_ashrrev_i32_e32 v2, 31, v1
	s_delay_alu instid0(VALU_DEP_1) | instskip(SKIP_3) | instid1(VALU_DEP_1)
	v_lshlrev_b64 v[1:2], 1, v[1:2]
	s_waitcnt lgkmcnt(0)
	s_add_u32 s4, s18, s20
	s_addc_u32 s13, s19, s21
	v_add_co_u32 v1, vcc_lo, s4, v1
	s_delay_alu instid0(VALU_DEP_2) | instskip(NEXT) | instid1(VALU_DEP_2)
	v_add_co_ci_u32_e32 v2, vcc_lo, s13, v2, vcc_lo
	v_add_co_u32 v1, vcc_lo, v1, v73
	s_delay_alu instid0(VALU_DEP_2)
	v_add_co_ci_u32_e32 v2, vcc_lo, 0, v2, vcc_lo
	global_load_b128 v[1:4], v[1:2], off
	s_waitcnt vmcnt(0)
	ds_store_b128 v5, v[1:4]
.LBB1585_10:
	s_or_b32 exec_lo, exec_lo, s7
	v_and_b32_e32 v1, 0xef, v0
	s_add_i32 s4, s17, 15
	s_clause 0x1
	s_load_b32 s7, s[0:1], 0x38
	s_load_b32 s18, s[0:1], 0x1c
	s_ashr_i32 s13, s4, 31
	v_add_nc_u32_e32 v1, s12, v1
	s_lshr_b32 s13, s13, 28
	s_waitcnt lgkmcnt(0)
	s_add_i32 s4, s4, s13
	s_barrier
	v_ashrrev_i32_e32 v2, 31, v1
	v_or_b32_e32 v3, 16, v1
	s_ashr_i32 s4, s4, 4
	v_cmp_gt_i32_e32 vcc_lo, s17, v1
	s_add_i32 s4, s4, -1
	v_lshrrev_b32_e32 v2, 28, v2
	buffer_gl0_inv
	s_mul_i32 s15, s15, s6
	v_add_nc_u32_e32 v4, v1, v2
	s_mul_i32 s20, s30, s7
	s_delay_alu instid0(SALU_CYCLE_1) | instskip(NEXT) | instid1(VALU_DEP_1)
	s_ashr_i32 s21, s20, 31
	v_ashrrev_i32_e32 v4, 4, v4
	v_add_nc_u32_e32 v2, v3, v2
	s_lshl_b64 s[20:21], s[20:21], 2
	s_delay_alu instid0(SALU_CYCLE_1) | instskip(NEXT) | instid1(VALU_DEP_2)
	s_add_u32 s13, s2, s20
	v_cndmask_b32_e32 v1, s4, v4, vcc_lo
	s_delay_alu instid0(VALU_DEP_2)
	v_ashrrev_i32_e32 v2, 4, v2
	v_cmp_gt_i32_e32 vcc_lo, s17, v3
	s_addc_u32 s16, s3, s21
	s_ashr_i32 s19, s15, 31
	s_add_u32 s26, s8, s15
	s_addc_u32 s27, s9, s19
	v_cndmask_b32_e32 v3, s4, v2, vcc_lo
	v_ashrrev_i32_e32 v2, 31, v1
	s_lshl_b32 s2, s14, 4
	s_delay_alu instid0(SALU_CYCLE_1) | instskip(NEXT) | instid1(VALU_DEP_2)
	s_ashr_i32 s3, s2, 31
	v_ashrrev_i32_e32 v4, 31, v3
	s_delay_alu instid0(VALU_DEP_2) | instskip(SKIP_1) | instid1(SALU_CYCLE_1)
	v_lshlrev_b64 v[1:2], 2, v[1:2]
	s_lshl_b64 s[2:3], s[2:3], 2
	s_add_u32 s2, s13, s2
	s_delay_alu instid0(VALU_DEP_2) | instskip(SKIP_1) | instid1(VALU_DEP_2)
	v_lshlrev_b64 v[3:4], 2, v[3:4]
	s_addc_u32 s3, s16, s3
	v_add_co_u32 v1, vcc_lo, s13, v1
	v_add_co_ci_u32_e32 v2, vcc_lo, s16, v2, vcc_lo
	s_delay_alu instid0(VALU_DEP_3) | instskip(NEXT) | instid1(VALU_DEP_4)
	v_add_co_u32 v3, vcc_lo, s13, v3
	v_add_co_ci_u32_e32 v4, vcc_lo, s16, v4, vcc_lo
	s_clause 0x1
	global_load_b32 v5, v[1:2], off
	global_load_b32 v3, v[3:4], off
	s_or_b32 s6, s12, 32
	s_delay_alu instid0(SALU_CYCLE_1) | instskip(SKIP_2) | instid1(SALU_CYCLE_1)
	s_ashr_i32 s7, s6, 4
	s_cmp_lt_i32 s6, s17
	s_cselect_b32 s6, s7, s4
	s_ashr_i32 s7, s6, 31
	s_delay_alu instid0(SALU_CYCLE_1) | instskip(NEXT) | instid1(SALU_CYCLE_1)
	s_lshl_b64 s[6:7], s[6:7], 2
	s_add_u32 s6, s13, s6
	s_addc_u32 s7, s16, s7
	s_or_b32 s8, s12, 64
	s_delay_alu instid0(SALU_CYCLE_1) | instskip(SKIP_2) | instid1(SALU_CYCLE_1)
	s_ashr_i32 s9, s8, 4
	s_cmp_lt_i32 s8, s17
	s_cselect_b32 s8, s9, s4
	s_ashr_i32 s9, s8, 31
	s_delay_alu instid0(SALU_CYCLE_1) | instskip(NEXT) | instid1(SALU_CYCLE_1)
	s_lshl_b64 s[8:9], s[8:9], 2
	s_add_u32 s8, s13, s8
	s_addc_u32 s9, s16, s9
	;; [unrolled: 10-line block ×5, first 2 shown]
	s_clause 0x5
	s_load_b32 s28, s[2:3], 0x0
	s_load_b32 s31, s[6:7], 0x0
	;; [unrolled: 1-line block ×6, first 2 shown]
	s_mov_b32 s20, 0
	s_or_b32 s2, s12, 0xc0
	s_mov_b32 s21, s20
	s_mov_b32 s22, s20
	;; [unrolled: 1-line block ×5, first 2 shown]
	v_lshlrev_b32_e32 v1, 4, v0
	s_ashr_i32 s3, s2, 4
	s_cmp_lt_i32 s2, s17
	s_cselect_b32 s2, s3, s4
	s_delay_alu instid0(VALU_DEP_1) | instskip(SKIP_1) | instid1(SALU_CYCLE_1)
	v_and_b32_e32 v1, 0xf0, v1
	s_ashr_i32 s3, s2, 31
	s_lshl_b64 s[2:3], s[2:3], 2
	s_delay_alu instid0(VALU_DEP_1) | instskip(NEXT) | instid1(VALU_DEP_1)
	v_add_co_u32 v1, s26, s26, v1
	v_add_co_ci_u32_e64 v2, null, s27, 0, s26
	s_add_u32 s2, s13, s2
	s_addc_u32 s3, s16, s3
	s_or_b32 s6, s12, 0xe0
	s_mov_b32 s26, s20
	s_ashr_i32 s7, s6, 4
	s_cmp_lt_i32 s6, s17
	s_mov_b32 s27, s20
	s_cselect_b32 s6, s7, s4
	v_dual_mov_b32 v107, s27 :: v_dual_mov_b32 v100, s20
	s_ashr_i32 s7, s6, 31
	v_mov_b32_e32 v106, s26
	s_lshl_b64 s[6:7], s[6:7], 2
	v_dual_mov_b32 v104, s24 :: v_dual_mov_b32 v103, s23
	v_dual_mov_b32 v102, s22 :: v_dual_mov_b32 v101, s21
	v_mov_b32_e32 v105, s25
	s_waitcnt vmcnt(1)
	v_mad_i64_i32 v[33:34], null, v5, s5, v[1:2]
	s_waitcnt vmcnt(0)
	v_mad_i64_i32 v[35:36], null, v3, s5, v[1:2]
	s_clause 0xf
	global_load_b128 v[1:4], v[33:34], off
	global_load_b128 v[5:8], v[33:34], off offset:256
	global_load_b128 v[9:12], v[35:36], off
	global_load_b128 v[13:16], v[35:36], off offset:256
	global_load_b128 v[17:20], v[33:34], off offset:512
	;; [unrolled: 1-line block ×13, first 2 shown]
	v_and_b32_e32 v33, 3, v0
	v_lshlrev_b32_e32 v34, 4, v66
	s_delay_alu instid0(VALU_DEP_2) | instskip(NEXT) | instid1(VALU_DEP_2)
	v_lshlrev_b32_e32 v72, 6, v33
	v_lshl_or_b32 v41, v65, 8, v34
	ds_load_b128 v[33:36], v72
	ds_load_b128 v[37:40], v72 offset:1024
	ds_load_b128 v[108:111], v72 offset:2048
	;; [unrolled: 1-line block ×3, first 2 shown]
	s_load_b32 s4, s[2:3], 0x0
	s_add_u32 s2, s13, s6
	s_addc_u32 s3, s16, s7
	ds_load_b128 v[116:119], v72 offset:4096
	ds_load_b128 v[120:123], v72 offset:5120
	s_load_b32 s2, s[2:3], 0x0
	s_add_u32 s6, s10, s15
	s_addc_u32 s7, s11, s19
	v_add_co_u32 v68, s6, s6, v41
	s_delay_alu instid0(VALU_DEP_1) | instskip(SKIP_1) | instid1(VALU_DEP_1)
	v_add_co_ci_u32_e64 v69, null, s7, 0, s6
	s_waitcnt lgkmcnt(0)
	v_mad_i64_i32 v[41:42], null, s28, s5, v[68:69]
	v_mad_i64_i32 v[70:71], null, s8, s5, v[68:69]
	;; [unrolled: 1-line block ×7, first 2 shown]
	s_clause 0x3
	global_load_b128 v[49:52], v[41:42], off
	global_load_b128 v[53:56], v[41:42], off offset:16
	global_load_b128 v[41:44], v[45:46], off
	global_load_b128 v[45:48], v[45:46], off offset:16
	s_waitcnt vmcnt(18)
	v_wmma_f32_16x16x16_bf16 v[124:131], v[1:8], v[33:40], v[100:107]
	s_waitcnt vmcnt(16)
	v_wmma_f32_16x16x16_bf16 v[100:107], v[9:16], v[33:40], v[100:107]
	s_clause 0x1
	global_load_b128 v[33:36], v[70:71], off
	global_load_b128 v[37:40], v[70:71], off offset:16
	v_mad_i64_i32 v[70:71], null, s2, s5, v[68:69]
	s_waitcnt vmcnt(16)
	v_wmma_f32_16x16x16_bf16 v[124:131], v[17:24], v[108:115], v[124:131]
	s_waitcnt vmcnt(14)
	v_wmma_f32_16x16x16_bf16 v[100:107], v[25:32], v[108:115], v[100:107]
	s_clause 0x7
	global_load_b128 v[25:28], v[132:133], off
	global_load_b128 v[29:32], v[132:133], off offset:16
	global_load_b128 v[1:4], v[134:135], off
	global_load_b128 v[5:8], v[134:135], off offset:16
	;; [unrolled: 2-line block ×4, first 2 shown]
	s_waitcnt vmcnt(20)
	v_wmma_f32_16x16x16_bf16 v[124:131], v[57:64], v[116:123], v[124:131]
	s_clause 0x1
	global_load_b128 v[57:60], v[70:71], off
	global_load_b128 v[61:64], v[70:71], off offset:16
	s_waitcnt vmcnt(20)
	v_wmma_f32_16x16x16_bf16 v[100:107], v[76:83], v[116:123], v[100:107]
	ds_load_b128 v[76:79], v72 offset:6144
	ds_load_b128 v[80:83], v72 offset:7168
	v_and_b32_e32 v68, 0xe0, v0
	v_mbcnt_lo_u32_b32 v69, -1, 0
	s_waitcnt vmcnt(0) lgkmcnt(0)
	s_barrier
	buffer_gl0_inv
	v_add_nc_u32_e32 v68, s12, v68
	v_xor_b32_e32 v70, 16, v69
	s_delay_alu instid0(VALU_DEP_2) | instskip(NEXT) | instid1(VALU_DEP_2)
	v_or_b32_e32 v68, v68, v74
	v_cmp_gt_i32_e32 vcc_lo, 32, v70
	s_delay_alu instid0(VALU_DEP_2)
	v_or_b32_e32 v71, 4, v68
	v_or_b32_e32 v72, 6, v68
	v_cmp_gt_i32_e64 s2, s17, v68
	v_or_b32_e32 v108, 8, v68
	v_wmma_f32_16x16x16_bf16 v[124:131], v[84:91], v[76:83], v[124:131]
	v_cndmask_b32_e32 v69, v69, v70, vcc_lo
	v_or_b32_e32 v70, 2, v68
	v_wmma_f32_16x16x16_bf16 v[100:107], v[92:99], v[76:83], v[100:107]
	v_or_b32_e32 v109, 10, v68
	v_dual_mul_f32 v80, s18, v129 :: v_dual_mul_f32 v81, s18, v128
	v_dual_mul_f32 v92, s18, v125 :: v_dual_mul_f32 v93, s18, v124
	s_delay_alu instid0(VALU_DEP_4)
	v_mul_f32_e32 v96, s18, v105
	v_cmp_gt_i32_e32 vcc_lo, s17, v70
	v_or_b32_e32 v89, 22, v68
	v_dual_mul_f32 v79, s18, v130 :: v_dual_mul_f32 v82, s18, v127
	v_dual_mul_f32 v83, s18, v126 :: v_dual_mul_f32 v94, s18, v107
	v_cndmask_b32_e64 v93, 0xff7fffff, v93, s2
	v_cndmask_b32_e32 v92, 0xff7fffff, v92, vcc_lo
	v_cmp_gt_i32_e64 s3, s17, v71
	v_cmp_gt_i32_e64 s4, s17, v72
	v_or_b32_e32 v84, 12, v68
	v_or_b32_e32 v85, 14, v68
	v_cmp_gt_i32_e64 s5, s17, v108
	v_cndmask_b32_e64 v71, 0xff7fffff, v83, s3
	v_cndmask_b32_e64 v72, 0xff7fffff, v82, s4
	v_cmp_gt_i32_e64 s6, s17, v109
	v_cmp_gt_i32_e64 s12, s17, v89
	v_lshlrev_b32_e32 v89, 2, v69
	v_max3_f32 v82, v93, 0xff7fffff, v92
	v_or_b32_e32 v86, 16, v68
	v_or_b32_e32 v87, 18, v68
	v_mul_f32_e32 v78, s18, v131
	v_cndmask_b32_e64 v81, 0xff7fffff, v81, s5
	v_cndmask_b32_e64 v80, 0xff7fffff, v80, s6
	v_max3_f32 v71, v82, v71, v72
	v_cmp_gt_i32_e64 s7, s17, v84
	v_cmp_gt_i32_e64 s8, s17, v85
	v_or_b32_e32 v88, 20, v68
	v_or_b32_e32 v90, 24, v68
	;; [unrolled: 1-line block ×5, first 2 shown]
	v_dual_mul_f32 v97, s18, v104 :: v_dual_mul_f32 v70, s18, v101
	v_dual_mul_f32 v99, s18, v102 :: v_dual_mul_f32 v68, s18, v100
	v_cndmask_b32_e64 v72, 0xff7fffff, v79, s7
	v_cndmask_b32_e64 v78, 0xff7fffff, v78, s8
	v_max3_f32 v71, v71, v81, v80
	v_cmp_gt_i32_e64 s9, s17, v86
	v_cmp_gt_i32_e64 s10, s17, v87
	v_dual_mul_f32 v95, s18, v106 :: v_dual_mul_f32 v98, s18, v103
	s_delay_alu instid0(VALU_DEP_4) | instskip(NEXT) | instid1(VALU_DEP_4)
	v_max3_f32 v71, v71, v72, v78
	v_cndmask_b32_e64 v68, 0xff7fffff, v68, s9
	s_delay_alu instid0(VALU_DEP_4)
	v_cndmask_b32_e64 v70, 0xff7fffff, v70, s10
	v_cmp_gt_i32_e64 s11, s17, v88
	v_cndmask_b32_e64 v78, 0xff7fffff, v98, s12
	v_cmp_gt_i32_e64 s13, s17, v90
	v_cmp_gt_i32_e64 s15, s17, v91
	v_max3_f32 v68, v71, v68, v70
	v_cndmask_b32_e64 v72, 0xff7fffff, v99, s11
	v_cmp_gt_i32_e64 s16, s17, v76
	v_cndmask_b32_e64 v70, 0xff7fffff, v97, s13
	v_cndmask_b32_e64 v71, 0xff7fffff, v96, s15
	v_cmp_gt_i32_e64 s17, s17, v77
	v_max3_f32 v68, v68, v72, v78
	v_cndmask_b32_e64 v72, 0xff7fffff, v95, s16
	s_delay_alu instid0(VALU_DEP_3) | instskip(NEXT) | instid1(VALU_DEP_3)
	v_cndmask_b32_e64 v76, 0xff7fffff, v94, s17
	v_max3_f32 v68, v68, v70, v71
	s_delay_alu instid0(VALU_DEP_1) | instskip(SKIP_3) | instid1(VALU_DEP_1)
	v_max3_f32 v68, v68, v72, v76
	ds_bpermute_b32 v69, v89, v68
	s_waitcnt lgkmcnt(0)
	v_max_f32_e32 v69, v69, v69
	v_max_f32_e32 v68, v68, v69
	s_delay_alu instid0(VALU_DEP_1) | instskip(NEXT) | instid1(VALU_DEP_1)
	v_fma_f32 v71, s18, v126, -v68
	v_mul_f32_e32 v71, 0x3fb8aa3b, v71
	v_fma_f32 v70, s18, v125, -v68
	v_fma_f32 v69, s18, v124, -v68
	;; [unrolled: 1-line block ×5, first 2 shown]
	s_delay_alu instid0(VALU_DEP_4) | instskip(SKIP_1) | instid1(VALU_DEP_3)
	v_dual_mul_f32 v70, 0x3fb8aa3b, v70 :: v_dual_mul_f32 v69, 0x3fb8aa3b, v69
	v_exp_f32_e32 v71, v71
	v_mul_f32_e32 v72, 0x3fb8aa3b, v72
	v_fma_f32 v81, s18, v105, -v68
	s_delay_alu instid0(VALU_DEP_3)
	v_exp_f32_e32 v70, v70
	v_mul_f32_e32 v77, 0x3fb8aa3b, v76
	v_exp_f32_e32 v69, v69
	v_exp_f32_e32 v72, v72
	v_mul_f32_e32 v81, 0x3fb8aa3b, v81
	v_cndmask_b32_e64 v83, 0, v71, s3
	v_fma_f32 v71, s18, v131, -v68
	s_delay_alu instid0(VALU_DEP_3) | instskip(SKIP_4) | instid1(TRANS32_DEP_3)
	v_exp_f32_e32 v81, v81
	v_cndmask_b32_e32 v76, 0, v70, vcc_lo
	v_exp_f32_e32 v77, v77
	v_cndmask_b32_e64 v80, 0, v69, s2
	v_fma_f32 v69, s18, v129, -v68
	v_cndmask_b32_e64 v85, 0, v72, s4
	v_mul_f32_e32 v71, 0x3fb8aa3b, v71
	v_fma_f32 v72, s18, v100, -v68
	s_delay_alu instid0(VALU_DEP_4) | instskip(SKIP_1) | instid1(VALU_DEP_3)
	v_dual_add_f32 v70, 0, v80 :: v_dual_mul_f32 v69, 0x3fb8aa3b, v69
	s_mov_b32 s2, exec_lo
	v_exp_f32_e32 v71, v71
	s_delay_alu instid0(TRANS32_DEP_2) | instskip(SKIP_4) | instid1(VALU_DEP_3)
	v_cndmask_b32_e64 v86, 0, v77, s5
	v_fma_f32 v77, s18, v101, -v68
	v_mul_f32_e32 v78, 0x3fb8aa3b, v78
	v_add_f32_e32 v70, v70, v76
	v_exp_f32_e32 v69, v69
	v_mul_f32_e32 v77, 0x3fb8aa3b, v77
	s_delay_alu instid0(VALU_DEP_3) | instskip(NEXT) | instid1(TRANS32_DEP_3)
	v_exp_f32_e32 v78, v78
	v_cndmask_b32_e64 v88, 0, v71, s8
	v_fma_f32 v71, s18, v104, -v68
	s_delay_alu instid0(VALU_DEP_3) | instskip(NEXT) | instid1(TRANS32_DEP_3)
	v_exp_f32_e32 v77, v77
	v_cndmask_b32_e64 v87, 0, v69, s6
	s_delay_alu instid0(VALU_DEP_2)
	v_mul_f32_e32 v71, 0x3fb8aa3b, v71
	s_waitcnt_depctr 0xfff
	v_cndmask_b32_e64 v84, 0, v78, s7
	v_add_f32_e32 v70, v70, v83
	v_fma_f32 v78, s18, v103, -v68
	v_exp_f32_e32 v82, v71
	s_delay_alu instid0(VALU_DEP_2) | instskip(SKIP_1) | instid1(VALU_DEP_3)
	v_add_f32_e32 v70, v70, v85
	v_mul_f32_e32 v72, 0x3fb8aa3b, v72
	v_mul_f32_e32 v78, 0x3fb8aa3b, v78
	s_delay_alu instid0(VALU_DEP_3) | instskip(SKIP_1) | instid1(VALU_DEP_4)
	v_add_f32_e32 v69, v70, v86
	v_fma_f32 v70, s18, v102, -v68
	v_exp_f32_e32 v72, v72
	s_delay_alu instid0(VALU_DEP_3) | instskip(NEXT) | instid1(VALU_DEP_1)
	v_exp_f32_e32 v78, v78
	v_dual_add_f32 v69, v69, v87 :: v_dual_mul_f32 v70, 0x3fb8aa3b, v70
	s_delay_alu instid0(VALU_DEP_1) | instskip(NEXT) | instid1(VALU_DEP_2)
	v_add_f32_e32 v69, v69, v84
	v_exp_f32_e32 v79, v70
	s_delay_alu instid0(TRANS32_DEP_3) | instskip(NEXT) | instid1(VALU_DEP_2)
	v_cndmask_b32_e64 v70, 0, v72, s9
	v_add_f32_e32 v72, v69, v88
	v_cndmask_b32_e64 v69, 0, v77, s10
	v_fma_f32 v77, s18, v106, -v68
	s_waitcnt_depctr 0xfff
	v_cndmask_b32_e64 v71, 0, v79, s11
	v_dual_mul_f32 v77, 0x3fb8aa3b, v77 :: v_dual_add_f32 v72, v72, v70
	s_delay_alu instid0(VALU_DEP_1) | instskip(NEXT) | instid1(VALU_DEP_1)
	v_exp_f32_e32 v90, v77
	v_add_f32_e32 v79, v72, v69
	v_cndmask_b32_e64 v72, 0, v78, s12
	v_cndmask_b32_e64 v77, 0, v82, s13
	s_delay_alu instid0(VALU_DEP_3) | instskip(SKIP_1) | instid1(VALU_DEP_1)
	v_add_f32_e32 v78, v79, v71
	v_fma_f32 v79, s18, v107, -v68
	v_dual_add_f32 v82, v78, v72 :: v_dual_mul_f32 v79, 0x3fb8aa3b, v79
	v_cndmask_b32_e64 v78, 0, v81, s15
	s_delay_alu instid0(VALU_DEP_2) | instskip(NEXT) | instid1(VALU_DEP_3)
	v_add_f32_e32 v81, v82, v77
	v_exp_f32_e32 v82, v79
	v_cndmask_b32_e64 v79, 0, v90, s16
	s_delay_alu instid0(VALU_DEP_2) | instskip(NEXT) | instid1(VALU_DEP_1)
	v_add_f32_e32 v81, v81, v78
	v_add_f32_e32 v90, v81, v79
	s_waitcnt_depctr 0xfff
	v_cndmask_b32_e64 v81, 0, v82, s17
	s_delay_alu instid0(VALU_DEP_1)
	v_add_f32_e32 v82, v90, v81
	ds_bpermute_b32 v89, v89, v82
	v_cmpx_gt_u32_e32 16, v67
	s_cbranch_execz .LBB1585_12
; %bb.11:
	v_mul_u32_u24_e32 v67, 0x44, v65
	s_delay_alu instid0(VALU_DEP_1) | instskip(SKIP_1) | instid1(VALU_DEP_1)
	v_lshl_add_u32 v67, v66, 2, v67
	s_waitcnt lgkmcnt(0)
	v_dual_add_f32 v82, v82, v89 :: v_dual_add_nc_u32 v67, 0x4000, v67
	ds_store_2addr_b32 v67, v68, v82 offset1:136
.LBB1585_12:
	s_or_b32 exec_lo, exec_lo, s2
	v_lshlrev_b32_e32 v67, 2, v66
	s_waitcnt lgkmcnt(0)
	s_barrier
	buffer_gl0_inv
	v_cmp_eq_u32_e32 vcc_lo, 1, v65
	v_add_nc_u32_e32 v82, 0x4000, v67
	v_cmp_eq_u32_e64 s2, 2, v65
	v_cmp_eq_u32_e64 s4, 7, v65
	ds_load_2addr_b32 v[89:90], v82 offset1:17
	ds_load_2addr_b32 v[91:92], v82 offset0:34 offset1:51
	ds_load_2addr_b32 v[93:94], v82 offset0:68 offset1:85
	;; [unrolled: 1-line block ×4, first 2 shown]
	s_waitcnt lgkmcnt(4)
	v_max3_f32 v67, v89, 0xff7fffff, v90
	s_waitcnt lgkmcnt(3)
	s_delay_alu instid0(VALU_DEP_1) | instskip(SKIP_1) | instid1(VALU_DEP_1)
	v_max3_f32 v67, v67, v91, v92
	s_waitcnt lgkmcnt(2)
	v_max3_f32 v67, v67, v93, v94
	s_waitcnt lgkmcnt(1)
	s_delay_alu instid0(VALU_DEP_1) | instskip(NEXT) | instid1(VALU_DEP_1)
	v_max3_f32 v67, v67, v95, v96
	v_sub_f32_e32 v93, v93, v67
	s_delay_alu instid0(VALU_DEP_1) | instskip(NEXT) | instid1(VALU_DEP_1)
	v_dual_sub_f32 v68, v89, v67 :: v_dual_mul_f32 v103, 0x3fb8aa3b, v93
	v_mul_f32_e32 v68, 0x3fb8aa3b, v68
	s_delay_alu instid0(VALU_DEP_1)
	v_exp_f32_e32 v100, v68
	v_sub_f32_e32 v68, v92, v67
	v_sub_f32_e32 v99, v90, v67
	ds_load_2addr_b32 v[89:90], v82 offset0:170 offset1:187
	v_dual_mul_f32 v102, 0x3fb8aa3b, v68 :: v_dual_mul_f32 v99, 0x3fb8aa3b, v99
	s_waitcnt lgkmcnt(1)
	v_fma_f32 v68, v100, v97, 0
	s_delay_alu instid0(VALU_DEP_2) | instskip(NEXT) | instid1(VALU_DEP_2)
	v_exp_f32_e32 v102, v102
	v_exp_f32_e32 v99, v99
	s_waitcnt_depctr 0xfff
	v_fmac_f32_e32 v68, v99, v98
	v_sub_f32_e32 v91, v91, v67
	s_delay_alu instid0(VALU_DEP_1)
	v_mul_f32_e32 v101, 0x3fb8aa3b, v91
	ds_load_2addr_b32 v[91:92], v82 offset0:204 offset1:221
	v_sub_f32_e32 v97, v94, v67
	ds_load_2addr_b32 v[93:94], v82 offset0:238 offset1:255
	s_waitcnt lgkmcnt(0)
	v_exp_f32_e32 v101, v101
	s_barrier
	buffer_gl0_inv
	v_dual_fmac_f32 v68, v101, v89 :: v_dual_sub_f32 v89, v96, v67
	v_dual_sub_f32 v82, v95, v67 :: v_dual_mul_f32 v95, 0x3fb8aa3b, v97
	v_exp_f32_e32 v97, v103
	s_delay_alu instid0(VALU_DEP_2) | instskip(NEXT) | instid1(VALU_DEP_2)
	v_dual_fmac_f32 v68, v102, v90 :: v_dual_mul_f32 v89, 0x3fb8aa3b, v89
	v_mul_f32_e32 v82, 0x3fb8aa3b, v82
	s_delay_alu instid0(VALU_DEP_3) | instskip(NEXT) | instid1(VALU_DEP_2)
	v_exp_f32_e32 v95, v95
	v_exp_f32_e32 v89, v89
	s_delay_alu instid0(VALU_DEP_1)
	v_exp_f32_e32 v82, v82
	v_fmac_f32_e32 v68, v97, v91
	s_delay_alu instid0(TRANS32_DEP_3) | instid1(VALU_DEP_1)
	v_fmac_f32_e32 v68, v95, v92
	s_waitcnt_depctr 0xfff
	v_fmac_f32_e32 v68, v82, v93
	s_delay_alu instid0(VALU_DEP_1) | instskip(NEXT) | instid1(VALU_DEP_1)
	v_fmac_f32_e32 v68, v89, v94
	v_add_f32_e32 v90, 0x358637bd, v68
	s_delay_alu instid0(VALU_DEP_1) | instskip(NEXT) | instid1(VALU_DEP_1)
	v_div_scale_f32 v91, null, v90, v90, 1.0
	v_rcp_f32_e32 v92, v91
	s_waitcnt_depctr 0xfff
	v_fma_f32 v93, -v91, v92, 1.0
	s_delay_alu instid0(VALU_DEP_1) | instskip(SKIP_1) | instid1(VALU_DEP_2)
	v_dual_fmac_f32 v92, v93, v92 :: v_dual_cndmask_b32 v93, v100, v99
	v_cmp_eq_u32_e32 vcc_lo, 3, v65
	v_cndmask_b32_e64 v93, v93, v101, s2
	v_cmp_eq_u32_e64 s2, 4, v65
	s_delay_alu instid0(VALU_DEP_2) | instskip(SKIP_1) | instid1(VALU_DEP_2)
	v_cndmask_b32_e32 v93, v93, v102, vcc_lo
	v_cmp_eq_u32_e32 vcc_lo, 5, v65
	v_cndmask_b32_e64 v93, v93, v97, s2
	v_cmp_eq_u32_e64 s2, 6, v65
	s_delay_alu instid0(VALU_DEP_2) | instskip(SKIP_1) | instid1(VALU_DEP_1)
	v_cndmask_b32_e32 v93, v93, v95, vcc_lo
	v_div_scale_f32 v94, s3, 1.0, v90, 1.0
	s_mov_b32 vcc_lo, s3
	s_delay_alu instid0(VALU_DEP_2) | instskip(NEXT) | instid1(VALU_DEP_2)
	v_cndmask_b32_e64 v82, v93, v82, s2
	v_mul_f32_e32 v96, v94, v92
	s_mov_b32 s2, exec_lo
	s_delay_alu instid0(VALU_DEP_2) | instskip(NEXT) | instid1(VALU_DEP_2)
	v_cndmask_b32_e64 v82, v82, v89, s4
	v_fma_f32 v98, -v91, v96, v94
	s_delay_alu instid0(VALU_DEP_1) | instskip(NEXT) | instid1(VALU_DEP_1)
	v_fmac_f32_e32 v96, v98, v92
	v_fma_f32 v91, -v91, v96, v94
	s_delay_alu instid0(VALU_DEP_1) | instskip(NEXT) | instid1(VALU_DEP_1)
	v_div_fmas_f32 v91, v91, v92, v96
	v_div_fixup_f32 v90, v91, v90, 1.0
	s_delay_alu instid0(VALU_DEP_1) | instskip(NEXT) | instid1(VALU_DEP_1)
	v_mul_f32_e32 v82, v82, v90
	v_mul_f32_e32 v87, v82, v87
	;; [unrolled: 1-line block ×7, first 2 shown]
	v_dual_mul_f32 v86, v82, v83 :: v_dual_and_b32 v91, 0x7f800000, v90
	v_mul_f32_e32 v85, v82, v76
                                        ; implicit-def: $vgpr76
	s_delay_alu instid0(VALU_DEP_2)
	v_cmpx_ne_u32_e32 0x7f800000, v91
	s_xor_b32 s2, exec_lo, s2
; %bb.13:
	v_bfe_u32 v76, v90, 16, 1
	s_delay_alu instid0(VALU_DEP_1)
	v_add3_u32 v76, v90, v76, 0x7fff
                                        ; implicit-def: $vgpr90
; %bb.14:
	s_and_not1_saveexec_b32 s2, s2
; %bb.15:
	v_and_b32_e32 v76, 0xffff, v90
	v_or_b32_e32 v83, 0x10000, v90
	s_delay_alu instid0(VALU_DEP_2) | instskip(NEXT) | instid1(VALU_DEP_2)
	v_cmp_eq_u32_e32 vcc_lo, 0, v76
	v_cndmask_b32_e32 v76, v83, v90, vcc_lo
; %bb.16:
	s_or_b32 exec_lo, exec_lo, s2
	v_and_b32_e32 v83, 0x7f800000, v85
	s_delay_alu instid0(VALU_DEP_1) | instskip(SKIP_1) | instid1(SALU_CYCLE_1)
	v_cmp_ne_u32_e32 vcc_lo, 0x7f800000, v83
                                        ; implicit-def: $vgpr83
	s_and_saveexec_b32 s2, vcc_lo
	s_xor_b32 s2, exec_lo, s2
; %bb.17:
	v_bfe_u32 v83, v85, 16, 1
	s_delay_alu instid0(VALU_DEP_1)
	v_add3_u32 v83, v85, v83, 0x7fff
                                        ; implicit-def: $vgpr85
; %bb.18:
	s_and_not1_saveexec_b32 s2, s2
; %bb.19:
	v_and_b32_e32 v83, 0xffff, v85
	v_or_b32_e32 v90, 0x10000, v85
	s_delay_alu instid0(VALU_DEP_2) | instskip(NEXT) | instid1(VALU_DEP_2)
	v_cmp_eq_u32_e32 vcc_lo, 0, v83
	v_cndmask_b32_e32 v83, v90, v85, vcc_lo
; %bb.20:
	s_or_b32 exec_lo, exec_lo, s2
	v_and_b32_e32 v85, 0x7f800000, v86
	s_delay_alu instid0(VALU_DEP_1) | instskip(SKIP_1) | instid1(SALU_CYCLE_1)
	v_cmp_ne_u32_e32 vcc_lo, 0x7f800000, v85
                                        ; implicit-def: $vgpr85
	s_and_saveexec_b32 s2, vcc_lo
	s_xor_b32 s2, exec_lo, s2
; %bb.21:
	v_bfe_u32 v85, v86, 16, 1
	s_delay_alu instid0(VALU_DEP_1)
	v_add3_u32 v85, v86, v85, 0x7fff
                                        ; implicit-def: $vgpr86
; %bb.22:
	s_and_not1_saveexec_b32 s2, s2
; %bb.23:
	v_and_b32_e32 v85, 0xffff, v86
	v_or_b32_e32 v90, 0x10000, v86
	s_delay_alu instid0(VALU_DEP_2) | instskip(NEXT) | instid1(VALU_DEP_2)
	v_cmp_eq_u32_e32 vcc_lo, 0, v85
	v_cndmask_b32_e32 v85, v90, v86, vcc_lo
; %bb.24:
	s_or_b32 exec_lo, exec_lo, s2
	v_and_b32_e32 v86, 0x7f800000, v89
	s_delay_alu instid0(VALU_DEP_1) | instskip(SKIP_1) | instid1(SALU_CYCLE_1)
	v_cmp_ne_u32_e32 vcc_lo, 0x7f800000, v86
                                        ; implicit-def: $vgpr86
	s_and_saveexec_b32 s2, vcc_lo
	s_xor_b32 s2, exec_lo, s2
; %bb.25:
	v_bfe_u32 v86, v89, 16, 1
	s_delay_alu instid0(VALU_DEP_1)
	v_add3_u32 v86, v89, v86, 0x7fff
                                        ; implicit-def: $vgpr89
; %bb.26:
	s_and_not1_saveexec_b32 s2, s2
; %bb.27:
	v_and_b32_e32 v86, 0xffff, v89
	v_or_b32_e32 v90, 0x10000, v89
	s_delay_alu instid0(VALU_DEP_2) | instskip(NEXT) | instid1(VALU_DEP_2)
	v_cmp_eq_u32_e32 vcc_lo, 0, v86
	v_cndmask_b32_e32 v86, v90, v89, vcc_lo
; %bb.28:
	s_or_b32 exec_lo, exec_lo, s2
	v_and_b32_e32 v89, 0x7f800000, v88
	s_delay_alu instid0(VALU_DEP_1) | instskip(SKIP_1) | instid1(SALU_CYCLE_1)
	v_cmp_ne_u32_e32 vcc_lo, 0x7f800000, v89
                                        ; implicit-def: $vgpr89
	s_and_saveexec_b32 s2, vcc_lo
	s_xor_b32 s2, exec_lo, s2
; %bb.29:
	v_bfe_u32 v89, v88, 16, 1
	s_delay_alu instid0(VALU_DEP_1)
	v_add3_u32 v89, v88, v89, 0x7fff
                                        ; implicit-def: $vgpr88
; %bb.30:
	s_and_not1_saveexec_b32 s2, s2
; %bb.31:
	v_and_b32_e32 v89, 0xffff, v88
	v_or_b32_e32 v90, 0x10000, v88
	s_delay_alu instid0(VALU_DEP_2) | instskip(NEXT) | instid1(VALU_DEP_2)
	v_cmp_eq_u32_e32 vcc_lo, 0, v89
	v_cndmask_b32_e32 v89, v90, v88, vcc_lo
; %bb.32:
	s_or_b32 exec_lo, exec_lo, s2
	v_and_b32_e32 v88, 0x7f800000, v87
	s_delay_alu instid0(VALU_DEP_1) | instskip(SKIP_1) | instid1(SALU_CYCLE_1)
	v_cmp_ne_u32_e32 vcc_lo, 0x7f800000, v88
                                        ; implicit-def: $vgpr88
	s_and_saveexec_b32 s2, vcc_lo
	s_xor_b32 s2, exec_lo, s2
; %bb.33:
	v_bfe_u32 v88, v87, 16, 1
	s_delay_alu instid0(VALU_DEP_1)
	v_add3_u32 v88, v87, v88, 0x7fff
                                        ; implicit-def: $vgpr87
; %bb.34:
	s_and_not1_saveexec_b32 s2, s2
; %bb.35:
	v_and_b32_e32 v88, 0xffff, v87
	v_or_b32_e32 v90, 0x10000, v87
	s_delay_alu instid0(VALU_DEP_2) | instskip(NEXT) | instid1(VALU_DEP_2)
	v_cmp_eq_u32_e32 vcc_lo, 0, v88
	v_cndmask_b32_e32 v88, v90, v87, vcc_lo
; %bb.36:
	s_or_b32 exec_lo, exec_lo, s2
	v_and_b32_e32 v87, 0x7f800000, v84
	s_delay_alu instid0(VALU_DEP_1) | instskip(SKIP_1) | instid1(SALU_CYCLE_1)
	v_cmp_ne_u32_e32 vcc_lo, 0x7f800000, v87
                                        ; implicit-def: $vgpr87
	s_and_saveexec_b32 s2, vcc_lo
	s_xor_b32 s2, exec_lo, s2
; %bb.37:
	v_bfe_u32 v87, v84, 16, 1
	s_delay_alu instid0(VALU_DEP_1)
	v_add3_u32 v87, v84, v87, 0x7fff
                                        ; implicit-def: $vgpr84
; %bb.38:
	s_and_not1_saveexec_b32 s2, s2
; %bb.39:
	v_and_b32_e32 v87, 0xffff, v84
	v_or_b32_e32 v90, 0x10000, v84
	s_delay_alu instid0(VALU_DEP_2) | instskip(NEXT) | instid1(VALU_DEP_2)
	v_cmp_eq_u32_e32 vcc_lo, 0, v87
	v_cndmask_b32_e32 v87, v90, v84, vcc_lo
; %bb.40:
	s_or_b32 exec_lo, exec_lo, s2
	v_and_b32_e32 v84, 0x7f800000, v80
	s_delay_alu instid0(VALU_DEP_1) | instskip(SKIP_1) | instid1(SALU_CYCLE_1)
	v_cmp_ne_u32_e32 vcc_lo, 0x7f800000, v84
                                        ; implicit-def: $vgpr84
	s_and_saveexec_b32 s2, vcc_lo
	s_xor_b32 s2, exec_lo, s2
; %bb.41:
	v_bfe_u32 v84, v80, 16, 1
	s_delay_alu instid0(VALU_DEP_1)
	v_add3_u32 v84, v80, v84, 0x7fff
                                        ; implicit-def: $vgpr80
; %bb.42:
	s_and_not1_saveexec_b32 s2, s2
; %bb.43:
	v_and_b32_e32 v84, 0xffff, v80
	v_or_b32_e32 v90, 0x10000, v80
	s_delay_alu instid0(VALU_DEP_2) | instskip(NEXT) | instid1(VALU_DEP_2)
	v_cmp_eq_u32_e32 vcc_lo, 0, v84
	v_cndmask_b32_e32 v84, v90, v80, vcc_lo
; %bb.44:
	s_or_b32 exec_lo, exec_lo, s2
	s_load_b64 s[34:35], s[0:1], 0x94
	v_lshlrev_b32_e32 v91, 4, v74
	s_delay_alu instid0(VALU_DEP_2)
	v_perm_b32 v90, v84, v87, 0x7060302
	v_dual_mul_f32 v77, v82, v77 :: v_dual_lshlrev_b32 v80, 6, v66
	v_lshlrev_b32_e32 v66, 11, v65
	v_perm_b32 v87, v83, v76, 0x7060302
	v_mul_f32_e32 v83, v82, v70
	v_perm_b32 v89, v88, v89, 0x7060302
	v_perm_b32 v88, v86, v85, 0x7060302
	v_or3_b32 v76, v91, v66, v80
	v_mul_f32_e32 v66, v82, v81
	v_mul_f32_e32 v70, v82, v79
	;; [unrolled: 1-line block ×3, first 2 shown]
	v_dual_mul_f32 v81, v82, v72 :: v_dual_and_b32 v84, 0x7f800000, v83
	v_mul_f32_e32 v79, v82, v71
	v_mul_f32_e32 v72, v82, v69
	s_mov_b32 s2, exec_lo
	ds_store_b128 v76, v[87:90]
                                        ; implicit-def: $vgpr69
	v_cmpx_ne_u32_e32 0x7f800000, v84
	s_xor_b32 s2, exec_lo, s2
; %bb.45:
	v_bfe_u32 v69, v83, 16, 1
	s_delay_alu instid0(VALU_DEP_1)
	v_add3_u32 v69, v83, v69, 0x7fff
                                        ; implicit-def: $vgpr83
; %bb.46:
	s_and_not1_saveexec_b32 s2, s2
; %bb.47:
	v_and_b32_e32 v69, 0xffff, v83
	v_or_b32_e32 v71, 0x10000, v83
	s_delay_alu instid0(VALU_DEP_2) | instskip(NEXT) | instid1(VALU_DEP_2)
	v_cmp_eq_u32_e32 vcc_lo, 0, v69
	v_cndmask_b32_e32 v69, v71, v83, vcc_lo
; %bb.48:
	s_or_b32 exec_lo, exec_lo, s2
	v_and_b32_e32 v71, 0x7f800000, v72
	s_delay_alu instid0(VALU_DEP_1) | instskip(SKIP_1) | instid1(SALU_CYCLE_1)
	v_cmp_ne_u32_e32 vcc_lo, 0x7f800000, v71
                                        ; implicit-def: $vgpr71
	s_and_saveexec_b32 s2, vcc_lo
	s_xor_b32 s2, exec_lo, s2
; %bb.49:
	v_bfe_u32 v71, v72, 16, 1
	s_delay_alu instid0(VALU_DEP_1)
	v_add3_u32 v71, v72, v71, 0x7fff
                                        ; implicit-def: $vgpr72
; %bb.50:
	s_and_not1_saveexec_b32 s2, s2
; %bb.51:
	v_and_b32_e32 v71, 0xffff, v72
	v_or_b32_e32 v82, 0x10000, v72
	s_delay_alu instid0(VALU_DEP_2) | instskip(NEXT) | instid1(VALU_DEP_2)
	v_cmp_eq_u32_e32 vcc_lo, 0, v71
	v_cndmask_b32_e32 v71, v82, v72, vcc_lo
; %bb.52:
	s_or_b32 exec_lo, exec_lo, s2
	v_and_b32_e32 v72, 0x7f800000, v79
	s_delay_alu instid0(VALU_DEP_1) | instskip(SKIP_1) | instid1(SALU_CYCLE_1)
	v_cmp_ne_u32_e32 vcc_lo, 0x7f800000, v72
                                        ; implicit-def: $vgpr72
	s_and_saveexec_b32 s2, vcc_lo
	s_xor_b32 s2, exec_lo, s2
; %bb.53:
	v_bfe_u32 v72, v79, 16, 1
	s_delay_alu instid0(VALU_DEP_1)
	v_add3_u32 v72, v79, v72, 0x7fff
                                        ; implicit-def: $vgpr79
; %bb.54:
	s_and_not1_saveexec_b32 s2, s2
; %bb.55:
	v_and_b32_e32 v72, 0xffff, v79
	v_or_b32_e32 v82, 0x10000, v79
	s_delay_alu instid0(VALU_DEP_2) | instskip(NEXT) | instid1(VALU_DEP_2)
	v_cmp_eq_u32_e32 vcc_lo, 0, v72
	v_cndmask_b32_e32 v72, v82, v79, vcc_lo
; %bb.56:
	s_or_b32 exec_lo, exec_lo, s2
	v_and_b32_e32 v79, 0x7f800000, v81
	s_delay_alu instid0(VALU_DEP_1) | instskip(SKIP_1) | instid1(SALU_CYCLE_1)
	v_cmp_ne_u32_e32 vcc_lo, 0x7f800000, v79
                                        ; implicit-def: $vgpr79
	s_and_saveexec_b32 s2, vcc_lo
	s_xor_b32 s2, exec_lo, s2
; %bb.57:
	v_bfe_u32 v79, v81, 16, 1
	s_delay_alu instid0(VALU_DEP_1)
	v_add3_u32 v79, v81, v79, 0x7fff
                                        ; implicit-def: $vgpr81
; %bb.58:
	s_and_not1_saveexec_b32 s2, s2
; %bb.59:
	v_and_b32_e32 v79, 0xffff, v81
	v_or_b32_e32 v82, 0x10000, v81
	s_delay_alu instid0(VALU_DEP_2) | instskip(NEXT) | instid1(VALU_DEP_2)
	v_cmp_eq_u32_e32 vcc_lo, 0, v79
	v_cndmask_b32_e32 v79, v82, v81, vcc_lo
; %bb.60:
	s_or_b32 exec_lo, exec_lo, s2
	v_and_b32_e32 v81, 0x7f800000, v77
	s_delay_alu instid0(VALU_DEP_1) | instskip(SKIP_1) | instid1(SALU_CYCLE_1)
	v_cmp_ne_u32_e32 vcc_lo, 0x7f800000, v81
                                        ; implicit-def: $vgpr81
	s_and_saveexec_b32 s2, vcc_lo
	s_xor_b32 s2, exec_lo, s2
; %bb.61:
	v_bfe_u32 v81, v77, 16, 1
	s_delay_alu instid0(VALU_DEP_1)
	v_add3_u32 v81, v77, v81, 0x7fff
                                        ; implicit-def: $vgpr77
; %bb.62:
	s_and_not1_saveexec_b32 s2, s2
; %bb.63:
	v_and_b32_e32 v81, 0xffff, v77
	v_or_b32_e32 v82, 0x10000, v77
	s_delay_alu instid0(VALU_DEP_2) | instskip(NEXT) | instid1(VALU_DEP_2)
	v_cmp_eq_u32_e32 vcc_lo, 0, v81
	v_cndmask_b32_e32 v81, v82, v77, vcc_lo
; %bb.64:
	s_or_b32 exec_lo, exec_lo, s2
	v_and_b32_e32 v77, 0x7f800000, v78
	s_delay_alu instid0(VALU_DEP_1) | instskip(SKIP_1) | instid1(SALU_CYCLE_1)
	v_cmp_ne_u32_e32 vcc_lo, 0x7f800000, v77
                                        ; implicit-def: $vgpr77
	s_and_saveexec_b32 s2, vcc_lo
	s_xor_b32 s2, exec_lo, s2
; %bb.65:
	v_bfe_u32 v77, v78, 16, 1
	s_delay_alu instid0(VALU_DEP_1)
	v_add3_u32 v77, v78, v77, 0x7fff
                                        ; implicit-def: $vgpr78
; %bb.66:
	s_and_not1_saveexec_b32 s2, s2
; %bb.67:
	v_and_b32_e32 v77, 0xffff, v78
	v_or_b32_e32 v82, 0x10000, v78
	s_delay_alu instid0(VALU_DEP_2) | instskip(NEXT) | instid1(VALU_DEP_2)
	v_cmp_eq_u32_e32 vcc_lo, 0, v77
	v_cndmask_b32_e32 v77, v82, v78, vcc_lo
; %bb.68:
	s_or_b32 exec_lo, exec_lo, s2
	v_and_b32_e32 v78, 0x7f800000, v70
	s_delay_alu instid0(VALU_DEP_1) | instskip(SKIP_1) | instid1(SALU_CYCLE_1)
	v_cmp_ne_u32_e32 vcc_lo, 0x7f800000, v78
                                        ; implicit-def: $vgpr78
	s_and_saveexec_b32 s2, vcc_lo
	s_xor_b32 s2, exec_lo, s2
; %bb.69:
	v_bfe_u32 v78, v70, 16, 1
	s_delay_alu instid0(VALU_DEP_1)
	v_add3_u32 v78, v70, v78, 0x7fff
                                        ; implicit-def: $vgpr70
; %bb.70:
	s_and_not1_saveexec_b32 s2, s2
; %bb.71:
	v_and_b32_e32 v78, 0xffff, v70
	v_or_b32_e32 v82, 0x10000, v70
	s_delay_alu instid0(VALU_DEP_2) | instskip(NEXT) | instid1(VALU_DEP_2)
	v_cmp_eq_u32_e32 vcc_lo, 0, v78
	v_cndmask_b32_e32 v78, v82, v70, vcc_lo
; %bb.72:
	s_or_b32 exec_lo, exec_lo, s2
	v_and_b32_e32 v70, 0x7f800000, v66
	s_delay_alu instid0(VALU_DEP_1) | instskip(SKIP_1) | instid1(SALU_CYCLE_1)
	v_cmp_ne_u32_e32 vcc_lo, 0x7f800000, v70
                                        ; implicit-def: $vgpr70
	s_and_saveexec_b32 s2, vcc_lo
	s_xor_b32 s2, exec_lo, s2
; %bb.73:
	v_bfe_u32 v70, v66, 16, 1
	s_delay_alu instid0(VALU_DEP_1)
	v_add3_u32 v70, v66, v70, 0x7fff
                                        ; implicit-def: $vgpr66
; %bb.74:
	s_and_not1_saveexec_b32 s2, s2
; %bb.75:
	v_and_b32_e32 v70, 0xffff, v66
	v_or_b32_e32 v82, 0x10000, v66
	s_delay_alu instid0(VALU_DEP_2) | instskip(NEXT) | instid1(VALU_DEP_2)
	v_cmp_eq_u32_e32 vcc_lo, 0, v70
	v_cndmask_b32_e32 v70, v82, v66, vcc_lo
; %bb.76:
	s_or_b32 exec_lo, exec_lo, s2
	s_delay_alu instid0(VALU_DEP_1)
	v_perm_b32 v86, v70, v78, 0x7060302
	v_perm_b32 v85, v77, v81, 0x7060302
	;; [unrolled: 1-line block ×4, first 2 shown]
	v_lshl_or_b32 v82, v65, 11, v80
	ds_store_b128 v76, v[83:86] offset:1024
	s_waitcnt lgkmcnt(0)
	s_barrier
	buffer_gl0_inv
	ds_load_b128 v[69:72], v82
	ds_load_b128 v[83:86], v82 offset:16
	s_waitcnt lgkmcnt(1)
	v_lshrrev_b32_e32 v65, 16, v69
	v_lshlrev_b32_e32 v78, 2, v74
	s_waitcnt lgkmcnt(0)
	v_lshrrev_b32_e32 v91, 16, v83
	v_lshrrev_b32_e32 v66, 16, v70
	;; [unrolled: 1-line block ×4, first 2 shown]
	v_cmp_eq_u32_e32 vcc_lo, 1, v78
	v_lshrrev_b32_e32 v98, 16, v85
	v_lshrrev_b32_e32 v96, 16, v72
	;; [unrolled: 1-line block ×3, first 2 shown]
	v_cndmask_b32_e32 v81, v69, v65, vcc_lo
	v_or_b32_e32 v79, 1, v78
	v_cmp_eq_u32_e64 s3, 2, v78
	v_cndmask_b32_e32 v87, v83, v91, vcc_lo
	v_cmp_eq_u32_e64 s6, 3, v78
	v_cmp_eq_u32_e64 s8, 4, v78
	;; [unrolled: 1-line block ×3, first 2 shown]
	v_cndmask_b32_e64 v81, v81, v70, s3
	v_cmp_eq_u32_e64 s5, 2, v79
	v_cndmask_b32_e64 v87, v87, v84, s3
	v_cmp_eq_u32_e64 s7, 3, v79
	v_cndmask_b32_e64 v88, v69, v65, s2
	v_cndmask_b32_e64 v81, v81, v66, s6
	v_or_b32_e32 v77, 2, v78
	v_cndmask_b32_e64 v87, v87, v97, s6
	v_cndmask_b32_e64 v89, v83, v91, s2
	;; [unrolled: 1-line block ×4, first 2 shown]
	v_cmp_eq_u32_e64 s9, 5, v78
	v_cndmask_b32_e64 v87, v87, v85, s8
	v_cmp_eq_u32_e64 s10, 4, v79
	v_cndmask_b32_e64 v88, v88, v66, s7
	;; [unrolled: 2-line block ×3, first 2 shown]
	v_cndmask_b32_e64 v81, v81, v95, s9
	v_cmp_eq_u32_e64 s11, 6, v78
	v_cndmask_b32_e64 v88, v88, v71, s10
	v_cndmask_b32_e64 v87, v87, v98, s9
	v_cmp_eq_u32_e64 s12, 5, v79
	v_cndmask_b32_e64 v90, v69, v65, s4
	v_cndmask_b32_e64 v89, v89, v97, s7
	;; [unrolled: 1-line block ×3, first 2 shown]
	v_cmp_eq_u32_e64 s13, 7, v78
	v_cndmask_b32_e64 v88, v88, v95, s12
	v_cndmask_b32_e64 v87, v87, v86, s11
	v_cmp_eq_u32_e64 s15, 6, v79
	v_cmp_eq_u32_e64 s16, 2, v77
	v_cndmask_b32_e64 v89, v89, v85, s10
	v_cndmask_b32_e64 v100, v81, v96, s13
	;; [unrolled: 1-line block ×6, first 2 shown]
	v_cmp_eq_u32_e64 s17, 7, v79
	v_cmp_eq_u32_e64 s18, 3, v77
	;; [unrolled: 1-line block ×4, first 2 shown]
	v_cndmask_b32_e64 v87, v87, v84, s16
	v_cndmask_b32_e64 v102, v88, v96, s17
	;; [unrolled: 1-line block ×4, first 2 shown]
	v_or_b32_e32 v81, 3, v78
	v_cndmask_b32_e64 v93, v87, v97, s18
	v_cmp_eq_u32_e64 s23, 6, v77
	v_cndmask_b32_e64 v103, v88, v86, s15
	v_cndmask_b32_e64 v92, v89, v71, s19
	v_cmp_eq_u32_e64 s20, 1, v81
	ds_load_b128 v[87:90], v82 offset:1024
	v_cmp_eq_u32_e64 s22, 2, v81
	v_cmp_eq_u32_e64 s24, 3, v81
	v_cndmask_b32_e64 v104, v92, v95, s21
	v_cndmask_b32_e64 v65, v69, v65, s20
	v_cndmask_b32_e64 v69, v93, v85, s19
	v_cndmask_b32_e64 v83, v83, v91, s20
	ds_load_b128 v[91:94], v82 offset:1040
	v_cmp_eq_u32_e64 s25, 4, v81
	v_cndmask_b32_e64 v65, v65, v70, s22
	v_cmp_eq_u32_e64 s27, 5, v81
	v_cndmask_b32_e64 v70, v83, v84, s22
	;; [unrolled: 2-line block ×3, first 2 shown]
	v_cndmask_b32_e64 v65, v65, v66, s24
	v_cndmask_b32_e64 v66, v104, v72, s23
	;; [unrolled: 1-line block ×3, first 2 shown]
	v_cmp_eq_u32_e64 s26, 7, v77
	v_cndmask_b32_e64 v69, v69, v86, s23
	v_cndmask_b32_e64 v65, v65, v71, s25
	s_waitcnt lgkmcnt(1)
	v_lshrrev_b32_e32 v84, 16, v87
	v_cndmask_b32_e64 v70, v70, v85, s25
	v_cndmask_b32_e64 v83, v103, v99, s17
	;; [unrolled: 1-line block ×4, first 2 shown]
	v_lshrrev_b32_e32 v95, 16, v88
	v_cndmask_b32_e64 v70, v70, v98, s27
	s_waitcnt lgkmcnt(0)
	v_lshrrev_b32_e32 v85, 16, v91
	v_cndmask_b32_e64 v97, v87, v84, s2
	v_cndmask_b32_e64 v65, v65, v72, s28
	;; [unrolled: 1-line block ×4, first 2 shown]
	v_cndmask_b32_e32 v71, v87, v84, vcc_lo
	v_cndmask_b32_e32 v98, v91, v85, vcc_lo
	v_cmp_eq_u32_e32 vcc_lo, 7, v81
	v_cndmask_b32_e64 v72, v97, v88, s5
	v_lshrrev_b32_e32 v97, 16, v92
	v_lshrrev_b32_e32 v103, 16, v90
	v_dual_cndmask_b32 v65, v65, v96 :: v_dual_cndmask_b32 v70, v70, v99
	v_cndmask_b32_e64 v71, v71, v88, s3
	v_cndmask_b32_e64 v86, v98, v92, s3
	;; [unrolled: 1-line block ×3, first 2 shown]
	v_lshrrev_b32_e32 v98, 16, v89
	v_lshrrev_b32_e32 v99, 16, v93
	v_cndmask_b32_e64 v71, v71, v95, s6
	v_cndmask_b32_e64 v86, v86, v97, s6
	;; [unrolled: 1-line block ×3, first 2 shown]
	v_perm_b32 v72, v70, v65, 0x5040100
	v_perm_b32 v70, v83, v102, 0x5040100
	v_cndmask_b32_e64 v71, v71, v89, s8
	v_cndmask_b32_e64 v86, v86, v93, s8
	;; [unrolled: 1-line block ×3, first 2 shown]
	v_lshrrev_b32_e32 v83, 16, v94
	s_delay_alu instid0(VALU_DEP_4) | instskip(NEXT) | instid1(VALU_DEP_4)
	v_cndmask_b32_e64 v71, v71, v98, s9
	v_cndmask_b32_e64 v86, v86, v99, s9
	s_delay_alu instid0(VALU_DEP_4) | instskip(NEXT) | instid1(VALU_DEP_3)
	v_cndmask_b32_e64 v65, v65, v90, s15
	v_cndmask_b32_e64 v96, v71, v90, s11
	v_perm_b32 v71, v69, v66, 0x5040100
	s_delay_alu instid0(VALU_DEP_4)
	v_cndmask_b32_e64 v69, v86, v94, s11
	v_cndmask_b32_e64 v86, v87, v84, s4
	;; [unrolled: 1-line block ×34, first 2 shown]
	v_cndmask_b32_e32 v84, v84, v103, vcc_lo
	v_cndmask_b32_e32 v86, v87, v83, vcc_lo
	v_cndmask_b32_e64 v87, v88, v83, s26
	v_cndmask_b32_e64 v88, v85, v83, s17
	v_cndmask_b32_e64 v83, v69, v83, s13
	v_perm_b32 v69, v101, v100, 0x5040100
	v_perm_b32 v86, v86, v84, 0x5040100
	;; [unrolled: 1-line block ×5, first 2 shown]
	s_lshl_b32 s7, s35, 2
	s_mov_b32 s2, exec_lo
	ds_store_b128 v76, v[69:72]
	ds_store_b128 v76, v[83:86] offset:1024
	v_cmpx_gt_u32_e32 4, v0
	s_cbranch_execz .LBB1585_78
; %bb.77:
	v_or_b32_e32 v65, s29, v0
	s_load_b128 s[8:11], s[0:1], 0x58
	s_delay_alu instid0(VALU_DEP_1) | instskip(NEXT) | instid1(VALU_DEP_1)
	v_mad_u64_u32 v[69:70], null, s7, s30, v[65:66]
	v_mad_u64_u32 v[65:66], null, v69, s34, s[14:15]
	s_delay_alu instid0(VALU_DEP_1) | instskip(NEXT) | instid1(VALU_DEP_1)
	v_ashrrev_i32_e32 v66, 31, v65
	v_lshlrev_b64 v[65:66], 2, v[65:66]
	s_waitcnt lgkmcnt(0)
	s_delay_alu instid0(VALU_DEP_1) | instskip(NEXT) | instid1(VALU_DEP_2)
	v_add_co_u32 v69, vcc_lo, s10, v65
	v_add_co_ci_u32_e32 v70, vcc_lo, s11, v66, vcc_lo
	v_add_co_u32 v65, vcc_lo, s8, v65
	v_add_co_ci_u32_e32 v66, vcc_lo, s9, v66, vcc_lo
	global_store_b32 v[69:70], v67, off
	global_store_b32 v[65:66], v68, off
.LBB1585_78:
	s_or_b32 exec_lo, exec_lo, s2
	s_waitcnt lgkmcnt(0)
	s_waitcnt_vscnt null, 0x0
	s_barrier
	buffer_gl0_inv
	ds_load_b128 v[83:86], v80
	ds_load_b128 v[87:90], v80 offset:16
	ds_load_b128 v[95:98], v80 offset:2064
	ds_load_b128 v[91:94], v80 offset:2048
	v_mov_b32_e32 v65, 0
	ds_load_b128 v[103:106], v80 offset:4112
	ds_load_b128 v[99:102], v80 offset:4096
	;; [unrolled: 1-line block ×4, first 2 shown]
	v_mov_b32_e32 v66, v65
	v_mov_b32_e32 v67, v65
	;; [unrolled: 1-line block ×7, first 2 shown]
	s_waitcnt lgkmcnt(6)
	s_delay_alu instid0(VALU_DEP_1)
	v_wmma_f32_16x16x16_bf16 v[65:72], v[49:56], v[83:90], v[65:72]
	ds_load_b128 v[53:56], v80 offset:8208
	ds_load_b128 v[49:52], v80 offset:8192
	s_waitcnt lgkmcnt(6)
	v_wmma_f32_16x16x16_bf16 v[65:72], v[41:48], v[91:98], v[65:72]
	ds_load_b128 v[45:48], v80 offset:10256
	ds_load_b128 v[41:44], v80 offset:10240
	s_waitcnt lgkmcnt(6)
	;; [unrolled: 4-line block ×4, first 2 shown]
	v_wmma_f32_16x16x16_bf16 v[65:72], v[1:8], v[49:56], v[65:72]
	s_waitcnt lgkmcnt(4)
	s_delay_alu instid0(VALU_DEP_1) | instskip(SKIP_1) | instid1(VALU_DEP_1)
	v_wmma_f32_16x16x16_bf16 v[65:72], v[9:16], v[41:48], v[65:72]
	s_waitcnt lgkmcnt(2)
	v_wmma_f32_16x16x16_bf16 v[65:72], v[17:24], v[33:40], v[65:72]
	s_waitcnt lgkmcnt(0)
	s_delay_alu instid0(VALU_DEP_1) | instskip(NEXT) | instid1(VALU_DEP_1)
	v_wmma_f32_16x16x16_bf16 v[65:72], v[57:64], v[25:32], v[65:72]
	v_and_b32_e32 v1, 0x7f800000, v65
	s_delay_alu instid0(VALU_DEP_1) | instskip(SKIP_1) | instid1(SALU_CYCLE_1)
	v_cmp_ne_u32_e32 vcc_lo, 0x7f800000, v1
                                        ; implicit-def: $vgpr1
	s_and_saveexec_b32 s2, vcc_lo
	s_xor_b32 s2, exec_lo, s2
; %bb.79:
	v_bfe_u32 v1, v65, 16, 1
	s_delay_alu instid0(VALU_DEP_1)
	v_add3_u32 v1, v65, v1, 0x7fff
; %bb.80:
	s_and_not1_saveexec_b32 s2, s2
; %bb.81:
	v_and_b32_e32 v1, 0xffff, v65
	v_or_b32_e32 v2, 0x10000, v65
	s_delay_alu instid0(VALU_DEP_2) | instskip(NEXT) | instid1(VALU_DEP_2)
	v_cmp_eq_u32_e32 vcc_lo, 0, v1
	v_cndmask_b32_e32 v1, v2, v65, vcc_lo
; %bb.82:
	s_or_b32 exec_lo, exec_lo, s2
	v_and_b32_e32 v2, 0x7f800000, v66
	s_delay_alu instid0(VALU_DEP_1) | instskip(SKIP_1) | instid1(SALU_CYCLE_1)
	v_cmp_ne_u32_e32 vcc_lo, 0x7f800000, v2
                                        ; implicit-def: $vgpr2
	s_and_saveexec_b32 s2, vcc_lo
	s_xor_b32 s2, exec_lo, s2
; %bb.83:
	v_bfe_u32 v2, v66, 16, 1
	s_delay_alu instid0(VALU_DEP_1)
	v_add3_u32 v2, v66, v2, 0x7fff
; %bb.84:
	s_and_not1_saveexec_b32 s2, s2
; %bb.85:
	v_and_b32_e32 v2, 0xffff, v66
	v_or_b32_e32 v3, 0x10000, v66
	s_delay_alu instid0(VALU_DEP_2) | instskip(NEXT) | instid1(VALU_DEP_2)
	v_cmp_eq_u32_e32 vcc_lo, 0, v2
	v_cndmask_b32_e32 v2, v3, v66, vcc_lo
; %bb.86:
	s_or_b32 exec_lo, exec_lo, s2
	v_and_b32_e32 v3, 0x7f800000, v67
	s_delay_alu instid0(VALU_DEP_1) | instskip(SKIP_1) | instid1(SALU_CYCLE_1)
	v_cmp_ne_u32_e32 vcc_lo, 0x7f800000, v3
                                        ; implicit-def: $vgpr3
	s_and_saveexec_b32 s2, vcc_lo
	s_xor_b32 s2, exec_lo, s2
; %bb.87:
	v_bfe_u32 v3, v67, 16, 1
	s_delay_alu instid0(VALU_DEP_1)
	v_add3_u32 v3, v67, v3, 0x7fff
; %bb.88:
	s_and_not1_saveexec_b32 s2, s2
; %bb.89:
	v_and_b32_e32 v3, 0xffff, v67
	v_or_b32_e32 v4, 0x10000, v67
	s_delay_alu instid0(VALU_DEP_2) | instskip(NEXT) | instid1(VALU_DEP_2)
	v_cmp_eq_u32_e32 vcc_lo, 0, v3
	v_cndmask_b32_e32 v3, v4, v67, vcc_lo
; %bb.90:
	s_or_b32 exec_lo, exec_lo, s2
	v_and_b32_e32 v4, 0x7f800000, v68
	s_delay_alu instid0(VALU_DEP_1) | instskip(SKIP_1) | instid1(SALU_CYCLE_1)
	v_cmp_ne_u32_e32 vcc_lo, 0x7f800000, v4
                                        ; implicit-def: $vgpr4
	s_and_saveexec_b32 s2, vcc_lo
	s_xor_b32 s2, exec_lo, s2
; %bb.91:
	v_bfe_u32 v4, v68, 16, 1
	s_delay_alu instid0(VALU_DEP_1)
	v_add3_u32 v4, v68, v4, 0x7fff
; %bb.92:
	s_and_not1_saveexec_b32 s2, s2
; %bb.93:
	v_and_b32_e32 v4, 0xffff, v68
	v_or_b32_e32 v5, 0x10000, v68
	s_delay_alu instid0(VALU_DEP_2) | instskip(NEXT) | instid1(VALU_DEP_2)
	v_cmp_eq_u32_e32 vcc_lo, 0, v4
	v_cndmask_b32_e32 v4, v5, v68, vcc_lo
; %bb.94:
	s_or_b32 exec_lo, exec_lo, s2
	v_and_b32_e32 v5, 0x7f800000, v69
	s_delay_alu instid0(VALU_DEP_1) | instskip(SKIP_1) | instid1(SALU_CYCLE_1)
	v_cmp_ne_u32_e32 vcc_lo, 0x7f800000, v5
                                        ; implicit-def: $vgpr5
	s_and_saveexec_b32 s2, vcc_lo
	s_xor_b32 s2, exec_lo, s2
; %bb.95:
	v_bfe_u32 v5, v69, 16, 1
	s_delay_alu instid0(VALU_DEP_1)
	v_add3_u32 v5, v69, v5, 0x7fff
; %bb.96:
	s_and_not1_saveexec_b32 s2, s2
; %bb.97:
	v_and_b32_e32 v5, 0xffff, v69
	v_or_b32_e32 v6, 0x10000, v69
	s_delay_alu instid0(VALU_DEP_2) | instskip(NEXT) | instid1(VALU_DEP_2)
	v_cmp_eq_u32_e32 vcc_lo, 0, v5
	v_cndmask_b32_e32 v5, v6, v69, vcc_lo
; %bb.98:
	s_or_b32 exec_lo, exec_lo, s2
	v_and_b32_e32 v6, 0x7f800000, v70
	s_delay_alu instid0(VALU_DEP_1) | instskip(SKIP_1) | instid1(SALU_CYCLE_1)
	v_cmp_ne_u32_e32 vcc_lo, 0x7f800000, v6
                                        ; implicit-def: $vgpr6
	s_and_saveexec_b32 s2, vcc_lo
	s_xor_b32 s2, exec_lo, s2
; %bb.99:
	v_bfe_u32 v6, v70, 16, 1
	s_delay_alu instid0(VALU_DEP_1)
	v_add3_u32 v6, v70, v6, 0x7fff
; %bb.100:
	s_and_not1_saveexec_b32 s2, s2
; %bb.101:
	v_and_b32_e32 v6, 0xffff, v70
	v_or_b32_e32 v7, 0x10000, v70
	s_delay_alu instid0(VALU_DEP_2) | instskip(NEXT) | instid1(VALU_DEP_2)
	v_cmp_eq_u32_e32 vcc_lo, 0, v6
	v_cndmask_b32_e32 v6, v7, v70, vcc_lo
; %bb.102:
	s_or_b32 exec_lo, exec_lo, s2
	v_and_b32_e32 v7, 0x7f800000, v71
	s_delay_alu instid0(VALU_DEP_1) | instskip(SKIP_1) | instid1(SALU_CYCLE_1)
	v_cmp_ne_u32_e32 vcc_lo, 0x7f800000, v7
                                        ; implicit-def: $vgpr7
	s_and_saveexec_b32 s2, vcc_lo
	s_xor_b32 s2, exec_lo, s2
; %bb.103:
	v_bfe_u32 v7, v71, 16, 1
	s_delay_alu instid0(VALU_DEP_1)
	v_add3_u32 v7, v71, v7, 0x7fff
; %bb.104:
	s_and_not1_saveexec_b32 s2, s2
; %bb.105:
	v_and_b32_e32 v7, 0xffff, v71
	v_or_b32_e32 v8, 0x10000, v71
	s_delay_alu instid0(VALU_DEP_2) | instskip(NEXT) | instid1(VALU_DEP_2)
	v_cmp_eq_u32_e32 vcc_lo, 0, v7
	v_cndmask_b32_e32 v7, v8, v71, vcc_lo
; %bb.106:
	s_or_b32 exec_lo, exec_lo, s2
	v_and_b32_e32 v8, 0x7f800000, v72
	s_delay_alu instid0(VALU_DEP_1) | instskip(SKIP_1) | instid1(SALU_CYCLE_1)
	v_cmp_ne_u32_e32 vcc_lo, 0x7f800000, v8
                                        ; implicit-def: $vgpr8
	s_and_saveexec_b32 s2, vcc_lo
	s_xor_b32 s2, exec_lo, s2
; %bb.107:
	v_bfe_u32 v8, v72, 16, 1
	s_delay_alu instid0(VALU_DEP_1)
	v_add3_u32 v8, v72, v8, 0x7fff
                                        ; implicit-def: $vgpr65_vgpr66_vgpr67_vgpr68_vgpr69_vgpr70_vgpr71_vgpr72
; %bb.108:
	s_and_not1_saveexec_b32 s2, s2
; %bb.109:
	v_and_b32_e32 v8, 0xffff, v72
	v_or_b32_e32 v9, 0x10000, v72
	s_delay_alu instid0(VALU_DEP_2) | instskip(NEXT) | instid1(VALU_DEP_2)
	v_cmp_eq_u32_e32 vcc_lo, 0, v8
	v_cndmask_b32_e32 v8, v9, v72, vcc_lo
; %bb.110:
	s_or_b32 exec_lo, exec_lo, s2
	s_delay_alu instid0(VALU_DEP_1)
	v_perm_b32 v7, v8, v7, 0x7060302
	v_perm_b32 v6, v6, v5, 0x7060302
	;; [unrolled: 1-line block ×4, first 2 shown]
	s_barrier
	buffer_gl0_inv
	v_cmp_eq_u32_e32 vcc_lo, 1, v78
	ds_store_b128 v76, v[4:7]
	s_waitcnt lgkmcnt(0)
	s_barrier
	buffer_gl0_inv
	ds_load_b128 v[1:4], v82
	ds_load_b128 v[5:8], v82 offset:16
	v_cmp_eq_u32_e64 s2, 1, v79
	v_cmp_eq_u32_e64 s3, 2, v78
	;; [unrolled: 1-line block ×5, first 2 shown]
	s_waitcnt lgkmcnt(1)
	v_lshrrev_b32_e32 v9, 16, v1
	s_waitcnt lgkmcnt(0)
	v_lshrrev_b32_e32 v13, 16, v5
	v_lshrrev_b32_e32 v10, 16, v2
	;; [unrolled: 1-line block ×4, first 2 shown]
	v_cndmask_b32_e64 v19, v1, v9, s2
	v_cndmask_b32_e32 v18, v5, v13, vcc_lo
	v_cndmask_b32_e64 v20, v5, v13, s2
	v_cndmask_b32_e32 v17, v1, v9, vcc_lo
	v_cmp_eq_u32_e32 vcc_lo, 2, v79
	v_lshrrev_b32_e32 v15, 16, v7
	v_cmp_eq_u32_e64 s2, 1, v77
	v_lshrrev_b32_e32 v12, 16, v4
	v_lshrrev_b32_e32 v16, 16, v8
	v_cndmask_b32_e32 v20, v20, v6, vcc_lo
	v_cndmask_b32_e64 v17, v17, v2, s3
	v_cndmask_b32_e32 v19, v19, v2, vcc_lo
	v_cndmask_b32_e64 v18, v18, v6, s3
	v_cmp_eq_u32_e32 vcc_lo, 4, v78
	v_cmp_eq_u32_e64 s3, 3, v79
	v_cndmask_b32_e64 v17, v17, v10, s4
	v_cndmask_b32_e64 v21, v1, v9, s2
	;; [unrolled: 1-line block ×5, first 2 shown]
	v_cndmask_b32_e32 v17, v17, v3, vcc_lo
	v_cndmask_b32_e64 v20, v20, v14, s3
	v_cndmask_b32_e32 v18, v18, v7, vcc_lo
	v_cmp_eq_u32_e32 vcc_lo, 4, v79
	v_cmp_eq_u32_e64 s3, 5, v79
	v_cmp_eq_u32_e64 s2, 2, v81
	v_cndmask_b32_e64 v21, v21, v2, s6
	v_cmp_eq_u32_e64 s4, 5, v78
	v_cndmask_b32_e32 v19, v19, v3, vcc_lo
	v_cndmask_b32_e32 v20, v20, v7, vcc_lo
	v_cmp_eq_u32_e32 vcc_lo, 6, v79
	s_delay_alu instid0(VALU_DEP_4) | instskip(NEXT) | instid1(VALU_DEP_4)
	v_cndmask_b32_e64 v17, v17, v11, s4
	v_cndmask_b32_e64 v19, v19, v11, s3
	s_delay_alu instid0(VALU_DEP_4) | instskip(SKIP_1) | instid1(VALU_DEP_3)
	v_cndmask_b32_e64 v20, v20, v15, s3
	v_cmp_eq_u32_e64 s3, 1, v81
	v_cndmask_b32_e32 v19, v19, v4, vcc_lo
	v_cndmask_b32_e64 v18, v18, v15, s4
	s_delay_alu instid0(VALU_DEP_3)
	v_cndmask_b32_e64 v1, v1, v9, s3
	v_cndmask_b32_e64 v5, v5, v13, s3
	v_cmp_eq_u32_e64 s3, 3, v77
	v_cndmask_b32_e64 v13, v22, v6, s6
	v_cmp_eq_u32_e64 s6, 3, v81
	v_cndmask_b32_e64 v1, v1, v2, s2
	v_cndmask_b32_e64 v2, v5, v6, s2
	;; [unrolled: 1-line block ×3, first 2 shown]
	v_cmp_eq_u32_e64 s2, 4, v77
	v_cndmask_b32_e64 v6, v13, v14, s3
	v_cndmask_b32_e64 v1, v1, v10, s6
	v_cmp_eq_u32_e64 s3, 4, v81
	v_cndmask_b32_e64 v2, v2, v14, s6
	v_cndmask_b32_e64 v5, v9, v3, s2
	;; [unrolled: 3-line block ×3, first 2 shown]
	v_cndmask_b32_e64 v2, v2, v7, s3
	v_cmp_eq_u32_e64 s2, 5, v81
	v_cmp_eq_u32_e64 s4, 6, v78
	v_cndmask_b32_e64 v5, v5, v11, s6
	v_cmp_eq_u32_e64 s3, 6, v77
	v_cndmask_b32_e64 v3, v6, v15, s6
	v_cndmask_b32_e64 v1, v1, v11, s2
	v_cmp_eq_u32_e64 s6, 6, v81
	v_cndmask_b32_e64 v2, v2, v15, s2
	v_cndmask_b32_e64 v17, v17, v4, s4
	v_cndmask_b32_e64 v18, v18, v8, s4
	v_cmp_eq_u32_e64 s4, 7, v78
	v_cndmask_b32_e64 v5, v5, v4, s3
	;; [unrolled: 4-line block ×3, first 2 shown]
	v_cmp_eq_u32_e64 s3, 7, v77
	v_cndmask_b32_e32 v4, v20, v8, vcc_lo
	v_cndmask_b32_e64 v17, v17, v12, s4
	v_cndmask_b32_e64 v19, v19, v12, s5
	;; [unrolled: 1-line block ×8, first 2 shown]
	s_mov_b32 s2, exec_lo
	v_perm_b32 v4, v2, v1, 0x5040100
	v_perm_b32 v3, v3, v5, 0x5040100
	;; [unrolled: 1-line block ×4, first 2 shown]
	ds_store_b128 v76, v[1:4]
	s_waitcnt lgkmcnt(0)
	s_barrier
	buffer_gl0_inv
	v_cmpx_gt_u32_e32 32, v0
	s_cbranch_execz .LBB1585_2
; %bb.111:
	s_load_b64 s[0:1], s[0:1], 0x68
	v_lshlrev_b32_e32 v0, 10, v0
	v_or_b32_e32 v1, s29, v74
	s_lshl_b32 s4, s34, 7
	v_lshlrev_b32_e32 v2, 4, v75
	s_mul_i32 s2, s4, s30
	v_lshlrev_b32_e32 v3, 6, v74
	v_mul_lo_u32 v8, v1, s4
	v_and_b32_e32 v0, 0x3800, v0
	v_or_b32_e32 v1, 2, v1
	s_mul_i32 s2, s2, s7
	s_delay_alu instid0(SALU_CYCLE_1) | instskip(NEXT) | instid1(VALU_DEP_2)
	s_ashr_i32 s3, s2, 31
	v_or3_b32 v4, v0, v2, v3
	s_lshl_b64 s[2:3], s[2:3], 1
	v_mul_lo_u32 v10, v1, s4
	v_ashrrev_i32_e32 v9, 31, v8
	ds_load_b128 v[0:3], v4
	ds_load_b128 v[4:7], v4 offset:128
	s_waitcnt lgkmcnt(0)
	s_add_u32 s2, s0, s2
	s_addc_u32 s3, s1, s3
	s_lshl_b32 s0, s14, 7
	v_ashrrev_i32_e32 v11, 31, v10
	s_ashr_i32 s1, s0, 31
	v_lshlrev_b64 v[8:9], 1, v[8:9]
	s_lshl_b64 s[0:1], s[0:1], 1
	s_delay_alu instid0(SALU_CYCLE_1) | instskip(SKIP_2) | instid1(VALU_DEP_1)
	s_add_u32 s0, s2, s0
	s_addc_u32 s1, s3, s1
	v_add_co_u32 v12, s0, s0, v73
	v_add_co_ci_u32_e64 v13, null, s1, 0, s0
	v_lshlrev_b64 v[10:11], 1, v[10:11]
	s_delay_alu instid0(VALU_DEP_3) | instskip(NEXT) | instid1(VALU_DEP_3)
	v_add_co_u32 v8, vcc_lo, v12, v8
	v_add_co_ci_u32_e32 v9, vcc_lo, v13, v9, vcc_lo
	s_delay_alu instid0(VALU_DEP_3) | instskip(NEXT) | instid1(VALU_DEP_4)
	v_add_co_u32 v10, vcc_lo, v12, v10
	v_add_co_ci_u32_e32 v11, vcc_lo, v13, v11, vcc_lo
	s_clause 0x1
	global_store_b128 v[8:9], v[0:3], off
	global_store_b128 v[10:11], v[4:7], off
	s_nop 0
	s_sendmsg sendmsg(MSG_DEALLOC_VGPRS)
	s_endpgm
	.section	.rodata,"a",@progbits
	.p2align	6, 0x0
	.amdhsa_kernel _Z39paged_attention_ll4mi_QKV_mfma16_kernelI14__hip_bfloat16hLN4vllm18Fp8KVCacheDataTypeE1ES0_Li16ELi128ELi256ELb0ELi4EL8MFMAType1EEvPKT_PKT0_S9_ifPKiSB_SB_iPKfiiiPfSE_PS4_PT2_iSD_SD_
		.amdhsa_group_segment_fixed_size 17472
		.amdhsa_private_segment_fixed_size 0
		.amdhsa_kernarg_size 400
		.amdhsa_user_sgpr_count 13
		.amdhsa_user_sgpr_dispatch_ptr 0
		.amdhsa_user_sgpr_queue_ptr 0
		.amdhsa_user_sgpr_kernarg_segment_ptr 1
		.amdhsa_user_sgpr_dispatch_id 0
		.amdhsa_user_sgpr_private_segment_size 0
		.amdhsa_wavefront_size32 1
		.amdhsa_uses_dynamic_stack 0
		.amdhsa_enable_private_segment 0
		.amdhsa_system_sgpr_workgroup_id_x 1
		.amdhsa_system_sgpr_workgroup_id_y 1
		.amdhsa_system_sgpr_workgroup_id_z 1
		.amdhsa_system_sgpr_workgroup_info 0
		.amdhsa_system_vgpr_workitem_id 0
		.amdhsa_next_free_vgpr 140
		.amdhsa_next_free_sgpr 36
		.amdhsa_reserve_vcc 1
		.amdhsa_float_round_mode_32 0
		.amdhsa_float_round_mode_16_64 0
		.amdhsa_float_denorm_mode_32 3
		.amdhsa_float_denorm_mode_16_64 3
		.amdhsa_dx10_clamp 1
		.amdhsa_ieee_mode 1
		.amdhsa_fp16_overflow 0
		.amdhsa_workgroup_processor_mode 1
		.amdhsa_memory_ordered 1
		.amdhsa_forward_progress 0
		.amdhsa_shared_vgpr_count 0
		.amdhsa_exception_fp_ieee_invalid_op 0
		.amdhsa_exception_fp_denorm_src 0
		.amdhsa_exception_fp_ieee_div_zero 0
		.amdhsa_exception_fp_ieee_overflow 0
		.amdhsa_exception_fp_ieee_underflow 0
		.amdhsa_exception_fp_ieee_inexact 0
		.amdhsa_exception_int_div_zero 0
	.end_amdhsa_kernel
	.section	.text._Z39paged_attention_ll4mi_QKV_mfma16_kernelI14__hip_bfloat16hLN4vllm18Fp8KVCacheDataTypeE1ES0_Li16ELi128ELi256ELb0ELi4EL8MFMAType1EEvPKT_PKT0_S9_ifPKiSB_SB_iPKfiiiPfSE_PS4_PT2_iSD_SD_,"axG",@progbits,_Z39paged_attention_ll4mi_QKV_mfma16_kernelI14__hip_bfloat16hLN4vllm18Fp8KVCacheDataTypeE1ES0_Li16ELi128ELi256ELb0ELi4EL8MFMAType1EEvPKT_PKT0_S9_ifPKiSB_SB_iPKfiiiPfSE_PS4_PT2_iSD_SD_,comdat
.Lfunc_end1585:
	.size	_Z39paged_attention_ll4mi_QKV_mfma16_kernelI14__hip_bfloat16hLN4vllm18Fp8KVCacheDataTypeE1ES0_Li16ELi128ELi256ELb0ELi4EL8MFMAType1EEvPKT_PKT0_S9_ifPKiSB_SB_iPKfiiiPfSE_PS4_PT2_iSD_SD_, .Lfunc_end1585-_Z39paged_attention_ll4mi_QKV_mfma16_kernelI14__hip_bfloat16hLN4vllm18Fp8KVCacheDataTypeE1ES0_Li16ELi128ELi256ELb0ELi4EL8MFMAType1EEvPKT_PKT0_S9_ifPKiSB_SB_iPKfiiiPfSE_PS4_PT2_iSD_SD_
                                        ; -- End function
	.section	.AMDGPU.csdata,"",@progbits
; Kernel info:
; codeLenInByte = 8732
; NumSgprs: 38
; NumVgprs: 140
; ScratchSize: 0
; MemoryBound: 0
; FloatMode: 240
; IeeeMode: 1
; LDSByteSize: 17472 bytes/workgroup (compile time only)
; SGPRBlocks: 4
; VGPRBlocks: 17
; NumSGPRsForWavesPerEU: 38
; NumVGPRsForWavesPerEU: 140
; Occupancy: 10
; WaveLimiterHint : 1
; COMPUTE_PGM_RSRC2:SCRATCH_EN: 0
; COMPUTE_PGM_RSRC2:USER_SGPR: 13
; COMPUTE_PGM_RSRC2:TRAP_HANDLER: 0
; COMPUTE_PGM_RSRC2:TGID_X_EN: 1
; COMPUTE_PGM_RSRC2:TGID_Y_EN: 1
; COMPUTE_PGM_RSRC2:TGID_Z_EN: 1
; COMPUTE_PGM_RSRC2:TIDIG_COMP_CNT: 0
	.section	.text._Z38paged_attention_ll4mi_QKV_mfma4_kernelI14__hip_bfloat16hLN4vllm18Fp8KVCacheDataTypeE1EhLi32ELi128ELi256ELb1ELi1EEvPKT_PKT0_S8_ifPKiSA_SA_iPKfiiiPfSD_PS3_PT2_iSC_SC_,"axG",@progbits,_Z38paged_attention_ll4mi_QKV_mfma4_kernelI14__hip_bfloat16hLN4vllm18Fp8KVCacheDataTypeE1EhLi32ELi128ELi256ELb1ELi1EEvPKT_PKT0_S8_ifPKiSA_SA_iPKfiiiPfSD_PS3_PT2_iSC_SC_,comdat
	.protected	_Z38paged_attention_ll4mi_QKV_mfma4_kernelI14__hip_bfloat16hLN4vllm18Fp8KVCacheDataTypeE1EhLi32ELi128ELi256ELb1ELi1EEvPKT_PKT0_S8_ifPKiSA_SA_iPKfiiiPfSD_PS3_PT2_iSC_SC_ ; -- Begin function _Z38paged_attention_ll4mi_QKV_mfma4_kernelI14__hip_bfloat16hLN4vllm18Fp8KVCacheDataTypeE1EhLi32ELi128ELi256ELb1ELi1EEvPKT_PKT0_S8_ifPKiSA_SA_iPKfiiiPfSD_PS3_PT2_iSC_SC_
	.globl	_Z38paged_attention_ll4mi_QKV_mfma4_kernelI14__hip_bfloat16hLN4vllm18Fp8KVCacheDataTypeE1EhLi32ELi128ELi256ELb1ELi1EEvPKT_PKT0_S8_ifPKiSA_SA_iPKfiiiPfSD_PS3_PT2_iSC_SC_
	.p2align	8
	.type	_Z38paged_attention_ll4mi_QKV_mfma4_kernelI14__hip_bfloat16hLN4vllm18Fp8KVCacheDataTypeE1EhLi32ELi128ELi256ELb1ELi1EEvPKT_PKT0_S8_ifPKiSA_SA_iPKfiiiPfSD_PS3_PT2_iSC_SC_,@function
_Z38paged_attention_ll4mi_QKV_mfma4_kernelI14__hip_bfloat16hLN4vllm18Fp8KVCacheDataTypeE1EhLi32ELi128ELi256ELb1ELi1EEvPKT_PKT0_S8_ifPKiSA_SA_iPKfiiiPfSD_PS3_PT2_iSC_SC_: ; @_Z38paged_attention_ll4mi_QKV_mfma4_kernelI14__hip_bfloat16hLN4vllm18Fp8KVCacheDataTypeE1EhLi32ELi128ELi256ELb1ELi1EEvPKT_PKT0_S8_ifPKiSA_SA_iPKfiiiPfSD_PS3_PT2_iSC_SC_
; %bb.0:
	s_add_u32 s8, s0, 0x90
	s_addc_u32 s9, s1, 0
	s_getpc_b64 s[0:1]
	s_add_u32 s0, s0, __PRETTY_FUNCTION__._Z38paged_attention_ll4mi_QKV_mfma4_kernelI14__hip_bfloat16hLN4vllm18Fp8KVCacheDataTypeE1EhLi32ELi128ELi256ELb1ELi1EEvPKT_PKT0_S8_ifPKiSA_SA_iPKfiiiPfSD_PS3_PT2_iSC_SC_@rel32@lo+4
	s_addc_u32 s1, s1, __PRETTY_FUNCTION__._Z38paged_attention_ll4mi_QKV_mfma4_kernelI14__hip_bfloat16hLN4vllm18Fp8KVCacheDataTypeE1EhLi32ELi128ELi256ELb1ELi1EEvPKT_PKT0_S8_ifPKiSA_SA_iPKfiiiPfSD_PS3_PT2_iSC_SC_@rel32@hi+12
	s_delay_alu instid0(SALU_CYCLE_1) | instskip(SKIP_4) | instid1(SALU_CYCLE_1)
	v_dual_mov_b32 v0, s0 :: v_dual_mov_b32 v1, s1
	s_mov_b32 s32, 0
	s_getpc_b64 s[2:3]
	s_add_u32 s2, s2, __assert_fail@rel32@lo+4
	s_addc_u32 s3, s3, __assert_fail@rel32@hi+12
	s_swappc_b64 s[30:31], s[2:3]
	.section	.rodata,"a",@progbits
	.p2align	6, 0x0
	.amdhsa_kernel _Z38paged_attention_ll4mi_QKV_mfma4_kernelI14__hip_bfloat16hLN4vllm18Fp8KVCacheDataTypeE1EhLi32ELi128ELi256ELb1ELi1EEvPKT_PKT0_S8_ifPKiSA_SA_iPKfiiiPfSD_PS3_PT2_iSC_SC_
		.amdhsa_group_segment_fixed_size 0
		.amdhsa_private_segment_fixed_size 64
		.amdhsa_kernarg_size 400
		.amdhsa_user_sgpr_count 15
		.amdhsa_user_sgpr_dispatch_ptr 0
		.amdhsa_user_sgpr_queue_ptr 0
		.amdhsa_user_sgpr_kernarg_segment_ptr 1
		.amdhsa_user_sgpr_dispatch_id 0
		.amdhsa_user_sgpr_private_segment_size 0
		.amdhsa_wavefront_size32 1
		.amdhsa_uses_dynamic_stack 0
		.amdhsa_enable_private_segment 1
		.amdhsa_system_sgpr_workgroup_id_x 1
		.amdhsa_system_sgpr_workgroup_id_y 0
		.amdhsa_system_sgpr_workgroup_id_z 0
		.amdhsa_system_sgpr_workgroup_info 0
		.amdhsa_system_vgpr_workitem_id 0
		.amdhsa_next_free_vgpr 41
		.amdhsa_next_free_sgpr 34
		.amdhsa_reserve_vcc 1
		.amdhsa_float_round_mode_32 0
		.amdhsa_float_round_mode_16_64 0
		.amdhsa_float_denorm_mode_32 3
		.amdhsa_float_denorm_mode_16_64 3
		.amdhsa_dx10_clamp 1
		.amdhsa_ieee_mode 1
		.amdhsa_fp16_overflow 0
		.amdhsa_workgroup_processor_mode 1
		.amdhsa_memory_ordered 1
		.amdhsa_forward_progress 0
		.amdhsa_shared_vgpr_count 0
		.amdhsa_exception_fp_ieee_invalid_op 0
		.amdhsa_exception_fp_denorm_src 0
		.amdhsa_exception_fp_ieee_div_zero 0
		.amdhsa_exception_fp_ieee_overflow 0
		.amdhsa_exception_fp_ieee_underflow 0
		.amdhsa_exception_fp_ieee_inexact 0
		.amdhsa_exception_int_div_zero 0
	.end_amdhsa_kernel
	.section	.text._Z38paged_attention_ll4mi_QKV_mfma4_kernelI14__hip_bfloat16hLN4vllm18Fp8KVCacheDataTypeE1EhLi32ELi128ELi256ELb1ELi1EEvPKT_PKT0_S8_ifPKiSA_SA_iPKfiiiPfSD_PS3_PT2_iSC_SC_,"axG",@progbits,_Z38paged_attention_ll4mi_QKV_mfma4_kernelI14__hip_bfloat16hLN4vllm18Fp8KVCacheDataTypeE1EhLi32ELi128ELi256ELb1ELi1EEvPKT_PKT0_S8_ifPKiSA_SA_iPKfiiiPfSD_PS3_PT2_iSC_SC_,comdat
.Lfunc_end1586:
	.size	_Z38paged_attention_ll4mi_QKV_mfma4_kernelI14__hip_bfloat16hLN4vllm18Fp8KVCacheDataTypeE1EhLi32ELi128ELi256ELb1ELi1EEvPKT_PKT0_S8_ifPKiSA_SA_iPKfiiiPfSD_PS3_PT2_iSC_SC_, .Lfunc_end1586-_Z38paged_attention_ll4mi_QKV_mfma4_kernelI14__hip_bfloat16hLN4vllm18Fp8KVCacheDataTypeE1EhLi32ELi128ELi256ELb1ELi1EEvPKT_PKT0_S8_ifPKiSA_SA_iPKfiiiPfSD_PS3_PT2_iSC_SC_
                                        ; -- End function
	.section	.AMDGPU.csdata,"",@progbits
; Kernel info:
; codeLenInByte = 72
; NumSgprs: 36
; NumVgprs: 41
; ScratchSize: 64
; MemoryBound: 0
; FloatMode: 240
; IeeeMode: 1
; LDSByteSize: 0 bytes/workgroup (compile time only)
; SGPRBlocks: 4
; VGPRBlocks: 5
; NumSGPRsForWavesPerEU: 36
; NumVGPRsForWavesPerEU: 41
; Occupancy: 16
; WaveLimiterHint : 1
; COMPUTE_PGM_RSRC2:SCRATCH_EN: 1
; COMPUTE_PGM_RSRC2:USER_SGPR: 15
; COMPUTE_PGM_RSRC2:TRAP_HANDLER: 0
; COMPUTE_PGM_RSRC2:TGID_X_EN: 1
; COMPUTE_PGM_RSRC2:TGID_Y_EN: 0
; COMPUTE_PGM_RSRC2:TGID_Z_EN: 0
; COMPUTE_PGM_RSRC2:TIDIG_COMP_CNT: 0
	.section	.text._Z38paged_attention_ll4mi_QKV_mfma4_kernelI14__hip_bfloat16hLN4vllm18Fp8KVCacheDataTypeE1EhLi32ELi128ELi256ELb1ELi2EEvPKT_PKT0_S8_ifPKiSA_SA_iPKfiiiPfSD_PS3_PT2_iSC_SC_,"axG",@progbits,_Z38paged_attention_ll4mi_QKV_mfma4_kernelI14__hip_bfloat16hLN4vllm18Fp8KVCacheDataTypeE1EhLi32ELi128ELi256ELb1ELi2EEvPKT_PKT0_S8_ifPKiSA_SA_iPKfiiiPfSD_PS3_PT2_iSC_SC_,comdat
	.protected	_Z38paged_attention_ll4mi_QKV_mfma4_kernelI14__hip_bfloat16hLN4vllm18Fp8KVCacheDataTypeE1EhLi32ELi128ELi256ELb1ELi2EEvPKT_PKT0_S8_ifPKiSA_SA_iPKfiiiPfSD_PS3_PT2_iSC_SC_ ; -- Begin function _Z38paged_attention_ll4mi_QKV_mfma4_kernelI14__hip_bfloat16hLN4vllm18Fp8KVCacheDataTypeE1EhLi32ELi128ELi256ELb1ELi2EEvPKT_PKT0_S8_ifPKiSA_SA_iPKfiiiPfSD_PS3_PT2_iSC_SC_
	.globl	_Z38paged_attention_ll4mi_QKV_mfma4_kernelI14__hip_bfloat16hLN4vllm18Fp8KVCacheDataTypeE1EhLi32ELi128ELi256ELb1ELi2EEvPKT_PKT0_S8_ifPKiSA_SA_iPKfiiiPfSD_PS3_PT2_iSC_SC_
	.p2align	8
	.type	_Z38paged_attention_ll4mi_QKV_mfma4_kernelI14__hip_bfloat16hLN4vllm18Fp8KVCacheDataTypeE1EhLi32ELi128ELi256ELb1ELi2EEvPKT_PKT0_S8_ifPKiSA_SA_iPKfiiiPfSD_PS3_PT2_iSC_SC_,@function
_Z38paged_attention_ll4mi_QKV_mfma4_kernelI14__hip_bfloat16hLN4vllm18Fp8KVCacheDataTypeE1EhLi32ELi128ELi256ELb1ELi2EEvPKT_PKT0_S8_ifPKiSA_SA_iPKfiiiPfSD_PS3_PT2_iSC_SC_: ; @_Z38paged_attention_ll4mi_QKV_mfma4_kernelI14__hip_bfloat16hLN4vllm18Fp8KVCacheDataTypeE1EhLi32ELi128ELi256ELb1ELi2EEvPKT_PKT0_S8_ifPKiSA_SA_iPKfiiiPfSD_PS3_PT2_iSC_SC_
; %bb.0:
	s_add_u32 s8, s0, 0x90
	s_addc_u32 s9, s1, 0
	s_getpc_b64 s[0:1]
	s_add_u32 s0, s0, __PRETTY_FUNCTION__._Z38paged_attention_ll4mi_QKV_mfma4_kernelI14__hip_bfloat16hLN4vllm18Fp8KVCacheDataTypeE1EhLi32ELi128ELi256ELb1ELi2EEvPKT_PKT0_S8_ifPKiSA_SA_iPKfiiiPfSD_PS3_PT2_iSC_SC_@rel32@lo+4
	s_addc_u32 s1, s1, __PRETTY_FUNCTION__._Z38paged_attention_ll4mi_QKV_mfma4_kernelI14__hip_bfloat16hLN4vllm18Fp8KVCacheDataTypeE1EhLi32ELi128ELi256ELb1ELi2EEvPKT_PKT0_S8_ifPKiSA_SA_iPKfiiiPfSD_PS3_PT2_iSC_SC_@rel32@hi+12
	s_delay_alu instid0(SALU_CYCLE_1) | instskip(SKIP_4) | instid1(SALU_CYCLE_1)
	v_dual_mov_b32 v0, s0 :: v_dual_mov_b32 v1, s1
	s_mov_b32 s32, 0
	s_getpc_b64 s[2:3]
	s_add_u32 s2, s2, __assert_fail@rel32@lo+4
	s_addc_u32 s3, s3, __assert_fail@rel32@hi+12
	s_swappc_b64 s[30:31], s[2:3]
	.section	.rodata,"a",@progbits
	.p2align	6, 0x0
	.amdhsa_kernel _Z38paged_attention_ll4mi_QKV_mfma4_kernelI14__hip_bfloat16hLN4vllm18Fp8KVCacheDataTypeE1EhLi32ELi128ELi256ELb1ELi2EEvPKT_PKT0_S8_ifPKiSA_SA_iPKfiiiPfSD_PS3_PT2_iSC_SC_
		.amdhsa_group_segment_fixed_size 0
		.amdhsa_private_segment_fixed_size 64
		.amdhsa_kernarg_size 400
		.amdhsa_user_sgpr_count 15
		.amdhsa_user_sgpr_dispatch_ptr 0
		.amdhsa_user_sgpr_queue_ptr 0
		.amdhsa_user_sgpr_kernarg_segment_ptr 1
		.amdhsa_user_sgpr_dispatch_id 0
		.amdhsa_user_sgpr_private_segment_size 0
		.amdhsa_wavefront_size32 1
		.amdhsa_uses_dynamic_stack 0
		.amdhsa_enable_private_segment 1
		.amdhsa_system_sgpr_workgroup_id_x 1
		.amdhsa_system_sgpr_workgroup_id_y 0
		.amdhsa_system_sgpr_workgroup_id_z 0
		.amdhsa_system_sgpr_workgroup_info 0
		.amdhsa_system_vgpr_workitem_id 0
		.amdhsa_next_free_vgpr 41
		.amdhsa_next_free_sgpr 34
		.amdhsa_reserve_vcc 1
		.amdhsa_float_round_mode_32 0
		.amdhsa_float_round_mode_16_64 0
		.amdhsa_float_denorm_mode_32 3
		.amdhsa_float_denorm_mode_16_64 3
		.amdhsa_dx10_clamp 1
		.amdhsa_ieee_mode 1
		.amdhsa_fp16_overflow 0
		.amdhsa_workgroup_processor_mode 1
		.amdhsa_memory_ordered 1
		.amdhsa_forward_progress 0
		.amdhsa_shared_vgpr_count 0
		.amdhsa_exception_fp_ieee_invalid_op 0
		.amdhsa_exception_fp_denorm_src 0
		.amdhsa_exception_fp_ieee_div_zero 0
		.amdhsa_exception_fp_ieee_overflow 0
		.amdhsa_exception_fp_ieee_underflow 0
		.amdhsa_exception_fp_ieee_inexact 0
		.amdhsa_exception_int_div_zero 0
	.end_amdhsa_kernel
	.section	.text._Z38paged_attention_ll4mi_QKV_mfma4_kernelI14__hip_bfloat16hLN4vllm18Fp8KVCacheDataTypeE1EhLi32ELi128ELi256ELb1ELi2EEvPKT_PKT0_S8_ifPKiSA_SA_iPKfiiiPfSD_PS3_PT2_iSC_SC_,"axG",@progbits,_Z38paged_attention_ll4mi_QKV_mfma4_kernelI14__hip_bfloat16hLN4vllm18Fp8KVCacheDataTypeE1EhLi32ELi128ELi256ELb1ELi2EEvPKT_PKT0_S8_ifPKiSA_SA_iPKfiiiPfSD_PS3_PT2_iSC_SC_,comdat
.Lfunc_end1587:
	.size	_Z38paged_attention_ll4mi_QKV_mfma4_kernelI14__hip_bfloat16hLN4vllm18Fp8KVCacheDataTypeE1EhLi32ELi128ELi256ELb1ELi2EEvPKT_PKT0_S8_ifPKiSA_SA_iPKfiiiPfSD_PS3_PT2_iSC_SC_, .Lfunc_end1587-_Z38paged_attention_ll4mi_QKV_mfma4_kernelI14__hip_bfloat16hLN4vllm18Fp8KVCacheDataTypeE1EhLi32ELi128ELi256ELb1ELi2EEvPKT_PKT0_S8_ifPKiSA_SA_iPKfiiiPfSD_PS3_PT2_iSC_SC_
                                        ; -- End function
	.section	.AMDGPU.csdata,"",@progbits
; Kernel info:
; codeLenInByte = 72
; NumSgprs: 36
; NumVgprs: 41
; ScratchSize: 64
; MemoryBound: 0
; FloatMode: 240
; IeeeMode: 1
; LDSByteSize: 0 bytes/workgroup (compile time only)
; SGPRBlocks: 4
; VGPRBlocks: 5
; NumSGPRsForWavesPerEU: 36
; NumVGPRsForWavesPerEU: 41
; Occupancy: 16
; WaveLimiterHint : 1
; COMPUTE_PGM_RSRC2:SCRATCH_EN: 1
; COMPUTE_PGM_RSRC2:USER_SGPR: 15
; COMPUTE_PGM_RSRC2:TRAP_HANDLER: 0
; COMPUTE_PGM_RSRC2:TGID_X_EN: 1
; COMPUTE_PGM_RSRC2:TGID_Y_EN: 0
; COMPUTE_PGM_RSRC2:TGID_Z_EN: 0
; COMPUTE_PGM_RSRC2:TIDIG_COMP_CNT: 0
	.section	.text._Z38paged_attention_ll4mi_QKV_mfma4_kernelI14__hip_bfloat16hLN4vllm18Fp8KVCacheDataTypeE1EhLi32ELi128ELi256ELb1ELi3EEvPKT_PKT0_S8_ifPKiSA_SA_iPKfiiiPfSD_PS3_PT2_iSC_SC_,"axG",@progbits,_Z38paged_attention_ll4mi_QKV_mfma4_kernelI14__hip_bfloat16hLN4vllm18Fp8KVCacheDataTypeE1EhLi32ELi128ELi256ELb1ELi3EEvPKT_PKT0_S8_ifPKiSA_SA_iPKfiiiPfSD_PS3_PT2_iSC_SC_,comdat
	.protected	_Z38paged_attention_ll4mi_QKV_mfma4_kernelI14__hip_bfloat16hLN4vllm18Fp8KVCacheDataTypeE1EhLi32ELi128ELi256ELb1ELi3EEvPKT_PKT0_S8_ifPKiSA_SA_iPKfiiiPfSD_PS3_PT2_iSC_SC_ ; -- Begin function _Z38paged_attention_ll4mi_QKV_mfma4_kernelI14__hip_bfloat16hLN4vllm18Fp8KVCacheDataTypeE1EhLi32ELi128ELi256ELb1ELi3EEvPKT_PKT0_S8_ifPKiSA_SA_iPKfiiiPfSD_PS3_PT2_iSC_SC_
	.globl	_Z38paged_attention_ll4mi_QKV_mfma4_kernelI14__hip_bfloat16hLN4vllm18Fp8KVCacheDataTypeE1EhLi32ELi128ELi256ELb1ELi3EEvPKT_PKT0_S8_ifPKiSA_SA_iPKfiiiPfSD_PS3_PT2_iSC_SC_
	.p2align	8
	.type	_Z38paged_attention_ll4mi_QKV_mfma4_kernelI14__hip_bfloat16hLN4vllm18Fp8KVCacheDataTypeE1EhLi32ELi128ELi256ELb1ELi3EEvPKT_PKT0_S8_ifPKiSA_SA_iPKfiiiPfSD_PS3_PT2_iSC_SC_,@function
_Z38paged_attention_ll4mi_QKV_mfma4_kernelI14__hip_bfloat16hLN4vllm18Fp8KVCacheDataTypeE1EhLi32ELi128ELi256ELb1ELi3EEvPKT_PKT0_S8_ifPKiSA_SA_iPKfiiiPfSD_PS3_PT2_iSC_SC_: ; @_Z38paged_attention_ll4mi_QKV_mfma4_kernelI14__hip_bfloat16hLN4vllm18Fp8KVCacheDataTypeE1EhLi32ELi128ELi256ELb1ELi3EEvPKT_PKT0_S8_ifPKiSA_SA_iPKfiiiPfSD_PS3_PT2_iSC_SC_
; %bb.0:
	s_add_u32 s8, s0, 0x90
	s_addc_u32 s9, s1, 0
	s_getpc_b64 s[0:1]
	s_add_u32 s0, s0, __PRETTY_FUNCTION__._Z38paged_attention_ll4mi_QKV_mfma4_kernelI14__hip_bfloat16hLN4vllm18Fp8KVCacheDataTypeE1EhLi32ELi128ELi256ELb1ELi3EEvPKT_PKT0_S8_ifPKiSA_SA_iPKfiiiPfSD_PS3_PT2_iSC_SC_@rel32@lo+4
	s_addc_u32 s1, s1, __PRETTY_FUNCTION__._Z38paged_attention_ll4mi_QKV_mfma4_kernelI14__hip_bfloat16hLN4vllm18Fp8KVCacheDataTypeE1EhLi32ELi128ELi256ELb1ELi3EEvPKT_PKT0_S8_ifPKiSA_SA_iPKfiiiPfSD_PS3_PT2_iSC_SC_@rel32@hi+12
	s_delay_alu instid0(SALU_CYCLE_1) | instskip(SKIP_4) | instid1(SALU_CYCLE_1)
	v_dual_mov_b32 v0, s0 :: v_dual_mov_b32 v1, s1
	s_mov_b32 s32, 0
	s_getpc_b64 s[2:3]
	s_add_u32 s2, s2, __assert_fail@rel32@lo+4
	s_addc_u32 s3, s3, __assert_fail@rel32@hi+12
	s_swappc_b64 s[30:31], s[2:3]
	.section	.rodata,"a",@progbits
	.p2align	6, 0x0
	.amdhsa_kernel _Z38paged_attention_ll4mi_QKV_mfma4_kernelI14__hip_bfloat16hLN4vllm18Fp8KVCacheDataTypeE1EhLi32ELi128ELi256ELb1ELi3EEvPKT_PKT0_S8_ifPKiSA_SA_iPKfiiiPfSD_PS3_PT2_iSC_SC_
		.amdhsa_group_segment_fixed_size 0
		.amdhsa_private_segment_fixed_size 64
		.amdhsa_kernarg_size 400
		.amdhsa_user_sgpr_count 15
		.amdhsa_user_sgpr_dispatch_ptr 0
		.amdhsa_user_sgpr_queue_ptr 0
		.amdhsa_user_sgpr_kernarg_segment_ptr 1
		.amdhsa_user_sgpr_dispatch_id 0
		.amdhsa_user_sgpr_private_segment_size 0
		.amdhsa_wavefront_size32 1
		.amdhsa_uses_dynamic_stack 0
		.amdhsa_enable_private_segment 1
		.amdhsa_system_sgpr_workgroup_id_x 1
		.amdhsa_system_sgpr_workgroup_id_y 0
		.amdhsa_system_sgpr_workgroup_id_z 0
		.amdhsa_system_sgpr_workgroup_info 0
		.amdhsa_system_vgpr_workitem_id 0
		.amdhsa_next_free_vgpr 41
		.amdhsa_next_free_sgpr 34
		.amdhsa_reserve_vcc 1
		.amdhsa_float_round_mode_32 0
		.amdhsa_float_round_mode_16_64 0
		.amdhsa_float_denorm_mode_32 3
		.amdhsa_float_denorm_mode_16_64 3
		.amdhsa_dx10_clamp 1
		.amdhsa_ieee_mode 1
		.amdhsa_fp16_overflow 0
		.amdhsa_workgroup_processor_mode 1
		.amdhsa_memory_ordered 1
		.amdhsa_forward_progress 0
		.amdhsa_shared_vgpr_count 0
		.amdhsa_exception_fp_ieee_invalid_op 0
		.amdhsa_exception_fp_denorm_src 0
		.amdhsa_exception_fp_ieee_div_zero 0
		.amdhsa_exception_fp_ieee_overflow 0
		.amdhsa_exception_fp_ieee_underflow 0
		.amdhsa_exception_fp_ieee_inexact 0
		.amdhsa_exception_int_div_zero 0
	.end_amdhsa_kernel
	.section	.text._Z38paged_attention_ll4mi_QKV_mfma4_kernelI14__hip_bfloat16hLN4vllm18Fp8KVCacheDataTypeE1EhLi32ELi128ELi256ELb1ELi3EEvPKT_PKT0_S8_ifPKiSA_SA_iPKfiiiPfSD_PS3_PT2_iSC_SC_,"axG",@progbits,_Z38paged_attention_ll4mi_QKV_mfma4_kernelI14__hip_bfloat16hLN4vllm18Fp8KVCacheDataTypeE1EhLi32ELi128ELi256ELb1ELi3EEvPKT_PKT0_S8_ifPKiSA_SA_iPKfiiiPfSD_PS3_PT2_iSC_SC_,comdat
.Lfunc_end1588:
	.size	_Z38paged_attention_ll4mi_QKV_mfma4_kernelI14__hip_bfloat16hLN4vllm18Fp8KVCacheDataTypeE1EhLi32ELi128ELi256ELb1ELi3EEvPKT_PKT0_S8_ifPKiSA_SA_iPKfiiiPfSD_PS3_PT2_iSC_SC_, .Lfunc_end1588-_Z38paged_attention_ll4mi_QKV_mfma4_kernelI14__hip_bfloat16hLN4vllm18Fp8KVCacheDataTypeE1EhLi32ELi128ELi256ELb1ELi3EEvPKT_PKT0_S8_ifPKiSA_SA_iPKfiiiPfSD_PS3_PT2_iSC_SC_
                                        ; -- End function
	.section	.AMDGPU.csdata,"",@progbits
; Kernel info:
; codeLenInByte = 72
; NumSgprs: 36
; NumVgprs: 41
; ScratchSize: 64
; MemoryBound: 0
; FloatMode: 240
; IeeeMode: 1
; LDSByteSize: 0 bytes/workgroup (compile time only)
; SGPRBlocks: 4
; VGPRBlocks: 5
; NumSGPRsForWavesPerEU: 36
; NumVGPRsForWavesPerEU: 41
; Occupancy: 16
; WaveLimiterHint : 1
; COMPUTE_PGM_RSRC2:SCRATCH_EN: 1
; COMPUTE_PGM_RSRC2:USER_SGPR: 15
; COMPUTE_PGM_RSRC2:TRAP_HANDLER: 0
; COMPUTE_PGM_RSRC2:TGID_X_EN: 1
; COMPUTE_PGM_RSRC2:TGID_Y_EN: 0
; COMPUTE_PGM_RSRC2:TGID_Z_EN: 0
; COMPUTE_PGM_RSRC2:TIDIG_COMP_CNT: 0
	.section	.text._Z38paged_attention_ll4mi_QKV_mfma4_kernelI14__hip_bfloat16hLN4vllm18Fp8KVCacheDataTypeE1EhLi32ELi128ELi256ELb1ELi4EEvPKT_PKT0_S8_ifPKiSA_SA_iPKfiiiPfSD_PS3_PT2_iSC_SC_,"axG",@progbits,_Z38paged_attention_ll4mi_QKV_mfma4_kernelI14__hip_bfloat16hLN4vllm18Fp8KVCacheDataTypeE1EhLi32ELi128ELi256ELb1ELi4EEvPKT_PKT0_S8_ifPKiSA_SA_iPKfiiiPfSD_PS3_PT2_iSC_SC_,comdat
	.protected	_Z38paged_attention_ll4mi_QKV_mfma4_kernelI14__hip_bfloat16hLN4vllm18Fp8KVCacheDataTypeE1EhLi32ELi128ELi256ELb1ELi4EEvPKT_PKT0_S8_ifPKiSA_SA_iPKfiiiPfSD_PS3_PT2_iSC_SC_ ; -- Begin function _Z38paged_attention_ll4mi_QKV_mfma4_kernelI14__hip_bfloat16hLN4vllm18Fp8KVCacheDataTypeE1EhLi32ELi128ELi256ELb1ELi4EEvPKT_PKT0_S8_ifPKiSA_SA_iPKfiiiPfSD_PS3_PT2_iSC_SC_
	.globl	_Z38paged_attention_ll4mi_QKV_mfma4_kernelI14__hip_bfloat16hLN4vllm18Fp8KVCacheDataTypeE1EhLi32ELi128ELi256ELb1ELi4EEvPKT_PKT0_S8_ifPKiSA_SA_iPKfiiiPfSD_PS3_PT2_iSC_SC_
	.p2align	8
	.type	_Z38paged_attention_ll4mi_QKV_mfma4_kernelI14__hip_bfloat16hLN4vllm18Fp8KVCacheDataTypeE1EhLi32ELi128ELi256ELb1ELi4EEvPKT_PKT0_S8_ifPKiSA_SA_iPKfiiiPfSD_PS3_PT2_iSC_SC_,@function
_Z38paged_attention_ll4mi_QKV_mfma4_kernelI14__hip_bfloat16hLN4vllm18Fp8KVCacheDataTypeE1EhLi32ELi128ELi256ELb1ELi4EEvPKT_PKT0_S8_ifPKiSA_SA_iPKfiiiPfSD_PS3_PT2_iSC_SC_: ; @_Z38paged_attention_ll4mi_QKV_mfma4_kernelI14__hip_bfloat16hLN4vllm18Fp8KVCacheDataTypeE1EhLi32ELi128ELi256ELb1ELi4EEvPKT_PKT0_S8_ifPKiSA_SA_iPKfiiiPfSD_PS3_PT2_iSC_SC_
; %bb.0:
	s_add_u32 s8, s0, 0x90
	s_addc_u32 s9, s1, 0
	s_getpc_b64 s[0:1]
	s_add_u32 s0, s0, __PRETTY_FUNCTION__._Z38paged_attention_ll4mi_QKV_mfma4_kernelI14__hip_bfloat16hLN4vllm18Fp8KVCacheDataTypeE1EhLi32ELi128ELi256ELb1ELi4EEvPKT_PKT0_S8_ifPKiSA_SA_iPKfiiiPfSD_PS3_PT2_iSC_SC_@rel32@lo+4
	s_addc_u32 s1, s1, __PRETTY_FUNCTION__._Z38paged_attention_ll4mi_QKV_mfma4_kernelI14__hip_bfloat16hLN4vllm18Fp8KVCacheDataTypeE1EhLi32ELi128ELi256ELb1ELi4EEvPKT_PKT0_S8_ifPKiSA_SA_iPKfiiiPfSD_PS3_PT2_iSC_SC_@rel32@hi+12
	s_delay_alu instid0(SALU_CYCLE_1) | instskip(SKIP_4) | instid1(SALU_CYCLE_1)
	v_dual_mov_b32 v0, s0 :: v_dual_mov_b32 v1, s1
	s_mov_b32 s32, 0
	s_getpc_b64 s[2:3]
	s_add_u32 s2, s2, __assert_fail@rel32@lo+4
	s_addc_u32 s3, s3, __assert_fail@rel32@hi+12
	s_swappc_b64 s[30:31], s[2:3]
	.section	.rodata,"a",@progbits
	.p2align	6, 0x0
	.amdhsa_kernel _Z38paged_attention_ll4mi_QKV_mfma4_kernelI14__hip_bfloat16hLN4vllm18Fp8KVCacheDataTypeE1EhLi32ELi128ELi256ELb1ELi4EEvPKT_PKT0_S8_ifPKiSA_SA_iPKfiiiPfSD_PS3_PT2_iSC_SC_
		.amdhsa_group_segment_fixed_size 0
		.amdhsa_private_segment_fixed_size 64
		.amdhsa_kernarg_size 400
		.amdhsa_user_sgpr_count 15
		.amdhsa_user_sgpr_dispatch_ptr 0
		.amdhsa_user_sgpr_queue_ptr 0
		.amdhsa_user_sgpr_kernarg_segment_ptr 1
		.amdhsa_user_sgpr_dispatch_id 0
		.amdhsa_user_sgpr_private_segment_size 0
		.amdhsa_wavefront_size32 1
		.amdhsa_uses_dynamic_stack 0
		.amdhsa_enable_private_segment 1
		.amdhsa_system_sgpr_workgroup_id_x 1
		.amdhsa_system_sgpr_workgroup_id_y 0
		.amdhsa_system_sgpr_workgroup_id_z 0
		.amdhsa_system_sgpr_workgroup_info 0
		.amdhsa_system_vgpr_workitem_id 0
		.amdhsa_next_free_vgpr 41
		.amdhsa_next_free_sgpr 34
		.amdhsa_reserve_vcc 1
		.amdhsa_float_round_mode_32 0
		.amdhsa_float_round_mode_16_64 0
		.amdhsa_float_denorm_mode_32 3
		.amdhsa_float_denorm_mode_16_64 3
		.amdhsa_dx10_clamp 1
		.amdhsa_ieee_mode 1
		.amdhsa_fp16_overflow 0
		.amdhsa_workgroup_processor_mode 1
		.amdhsa_memory_ordered 1
		.amdhsa_forward_progress 0
		.amdhsa_shared_vgpr_count 0
		.amdhsa_exception_fp_ieee_invalid_op 0
		.amdhsa_exception_fp_denorm_src 0
		.amdhsa_exception_fp_ieee_div_zero 0
		.amdhsa_exception_fp_ieee_overflow 0
		.amdhsa_exception_fp_ieee_underflow 0
		.amdhsa_exception_fp_ieee_inexact 0
		.amdhsa_exception_int_div_zero 0
	.end_amdhsa_kernel
	.section	.text._Z38paged_attention_ll4mi_QKV_mfma4_kernelI14__hip_bfloat16hLN4vllm18Fp8KVCacheDataTypeE1EhLi32ELi128ELi256ELb1ELi4EEvPKT_PKT0_S8_ifPKiSA_SA_iPKfiiiPfSD_PS3_PT2_iSC_SC_,"axG",@progbits,_Z38paged_attention_ll4mi_QKV_mfma4_kernelI14__hip_bfloat16hLN4vllm18Fp8KVCacheDataTypeE1EhLi32ELi128ELi256ELb1ELi4EEvPKT_PKT0_S8_ifPKiSA_SA_iPKfiiiPfSD_PS3_PT2_iSC_SC_,comdat
.Lfunc_end1589:
	.size	_Z38paged_attention_ll4mi_QKV_mfma4_kernelI14__hip_bfloat16hLN4vllm18Fp8KVCacheDataTypeE1EhLi32ELi128ELi256ELb1ELi4EEvPKT_PKT0_S8_ifPKiSA_SA_iPKfiiiPfSD_PS3_PT2_iSC_SC_, .Lfunc_end1589-_Z38paged_attention_ll4mi_QKV_mfma4_kernelI14__hip_bfloat16hLN4vllm18Fp8KVCacheDataTypeE1EhLi32ELi128ELi256ELb1ELi4EEvPKT_PKT0_S8_ifPKiSA_SA_iPKfiiiPfSD_PS3_PT2_iSC_SC_
                                        ; -- End function
	.section	.AMDGPU.csdata,"",@progbits
; Kernel info:
; codeLenInByte = 72
; NumSgprs: 36
; NumVgprs: 41
; ScratchSize: 64
; MemoryBound: 0
; FloatMode: 240
; IeeeMode: 1
; LDSByteSize: 0 bytes/workgroup (compile time only)
; SGPRBlocks: 4
; VGPRBlocks: 5
; NumSGPRsForWavesPerEU: 36
; NumVGPRsForWavesPerEU: 41
; Occupancy: 16
; WaveLimiterHint : 1
; COMPUTE_PGM_RSRC2:SCRATCH_EN: 1
; COMPUTE_PGM_RSRC2:USER_SGPR: 15
; COMPUTE_PGM_RSRC2:TRAP_HANDLER: 0
; COMPUTE_PGM_RSRC2:TGID_X_EN: 1
; COMPUTE_PGM_RSRC2:TGID_Y_EN: 0
; COMPUTE_PGM_RSRC2:TGID_Z_EN: 0
; COMPUTE_PGM_RSRC2:TIDIG_COMP_CNT: 0
	.section	.text._Z39paged_attention_ll4mi_QKV_mfma16_kernelI14__hip_bfloat16hLN4vllm18Fp8KVCacheDataTypeE1EhLi32ELi128ELi256ELb1ELi5EL8MFMAType1EEvPKT_PKT0_S9_ifPKiSB_SB_iPKfiiiPfSE_PS4_PT2_iSD_SD_,"axG",@progbits,_Z39paged_attention_ll4mi_QKV_mfma16_kernelI14__hip_bfloat16hLN4vllm18Fp8KVCacheDataTypeE1EhLi32ELi128ELi256ELb1ELi5EL8MFMAType1EEvPKT_PKT0_S9_ifPKiSB_SB_iPKfiiiPfSE_PS4_PT2_iSD_SD_,comdat
	.protected	_Z39paged_attention_ll4mi_QKV_mfma16_kernelI14__hip_bfloat16hLN4vllm18Fp8KVCacheDataTypeE1EhLi32ELi128ELi256ELb1ELi5EL8MFMAType1EEvPKT_PKT0_S9_ifPKiSB_SB_iPKfiiiPfSE_PS4_PT2_iSD_SD_ ; -- Begin function _Z39paged_attention_ll4mi_QKV_mfma16_kernelI14__hip_bfloat16hLN4vllm18Fp8KVCacheDataTypeE1EhLi32ELi128ELi256ELb1ELi5EL8MFMAType1EEvPKT_PKT0_S9_ifPKiSB_SB_iPKfiiiPfSE_PS4_PT2_iSD_SD_
	.globl	_Z39paged_attention_ll4mi_QKV_mfma16_kernelI14__hip_bfloat16hLN4vllm18Fp8KVCacheDataTypeE1EhLi32ELi128ELi256ELb1ELi5EL8MFMAType1EEvPKT_PKT0_S9_ifPKiSB_SB_iPKfiiiPfSE_PS4_PT2_iSD_SD_
	.p2align	8
	.type	_Z39paged_attention_ll4mi_QKV_mfma16_kernelI14__hip_bfloat16hLN4vllm18Fp8KVCacheDataTypeE1EhLi32ELi128ELi256ELb1ELi5EL8MFMAType1EEvPKT_PKT0_S9_ifPKiSB_SB_iPKfiiiPfSE_PS4_PT2_iSD_SD_,@function
_Z39paged_attention_ll4mi_QKV_mfma16_kernelI14__hip_bfloat16hLN4vllm18Fp8KVCacheDataTypeE1EhLi32ELi128ELi256ELb1ELi5EL8MFMAType1EEvPKT_PKT0_S9_ifPKiSB_SB_iPKfiiiPfSE_PS4_PT2_iSD_SD_: ; @_Z39paged_attention_ll4mi_QKV_mfma16_kernelI14__hip_bfloat16hLN4vllm18Fp8KVCacheDataTypeE1EhLi32ELi128ELi256ELb1ELi5EL8MFMAType1EEvPKT_PKT0_S9_ifPKiSB_SB_iPKfiiiPfSE_PS4_PT2_iSD_SD_
; %bb.0:
	s_load_b64 s[4:5], s[0:1], 0x30
	s_mov_b32 s30, s13
	s_waitcnt lgkmcnt(0)
	s_cmp_lg_u64 s[4:5], 0
	s_cselect_b32 s13, -1, 0
	s_ashr_i32 s31, s30, 31
	s_cmp_eq_u64 s[4:5], 0
	s_cbranch_scc1 .LBB1590_3
; %bb.1:
	s_lshl_b64 s[2:3], s[30:31], 2
	s_delay_alu instid0(SALU_CYCLE_1) | instskip(SKIP_4) | instid1(SALU_CYCLE_1)
	s_add_u32 s2, s4, s2
	s_addc_u32 s3, s5, s3
	s_load_b64 s[2:3], s[2:3], 0x0
	s_waitcnt lgkmcnt(0)
	s_sub_i32 s2, s3, s2
	s_cmp_eq_u32 s2, 1
	s_cselect_b32 s2, -1, 0
	s_delay_alu instid0(SALU_CYCLE_1)
	s_and_not1_b32 vcc_lo, exec_lo, s2
	s_cbranch_vccz .LBB1590_4
.LBB1590_2:
	s_nop 0
	s_sendmsg sendmsg(MSG_DEALLOC_VGPRS)
	s_endpgm
.LBB1590_3:
.LBB1590_4:
	s_load_b64 s[2:3], s[0:1], 0x28
	s_lshl_b64 s[6:7], s[30:31], 2
	s_waitcnt lgkmcnt(0)
	s_add_u32 s2, s2, s6
	s_addc_u32 s3, s3, s7
	s_lshl_b32 s12, s14, 8
	s_load_b32 s17, s[2:3], 0x0
	s_waitcnt lgkmcnt(0)
	s_cmp_ge_i32 s12, s17
	s_cbranch_scc1 .LBB1590_2
; %bb.5:
	s_clause 0x1
	s_load_b128 s[8:11], s[0:1], 0x8
	s_load_b64 s[2:3], s[0:1], 0x20
	s_and_not1_b32 vcc_lo, exec_lo, s13
	s_cbranch_vccnz .LBB1590_7
; %bb.6:
	s_add_u32 s4, s4, s6
	s_addc_u32 s5, s5, s7
	s_load_b32 s13, s[4:5], 0x0
	s_branch .LBB1590_8
.LBB1590_7:
	s_mov_b32 s13, s30
.LBB1590_8:
	s_load_b128 s[4:7], s[0:1], 0x48
	v_and_b32_e32 v65, 15, v0
	v_lshrrev_b32_e32 v66, 5, v0
	v_bfe_u32 v74, v0, 4, 1
	v_and_b32_e32 v67, 31, v0
	v_and_b32_e32 v75, 1, v0
	v_lshlrev_b32_e32 v2, 3, v65
	s_mul_i32 s31, s15, 5
	v_lshl_or_b32 v1, v66, 1, v74
	s_waitcnt lgkmcnt(0)
	s_mov_b32 s7, exec_lo
	v_lshlrev_b32_e32 v73, 1, v2
	s_delay_alu instid0(VALU_DEP_2)
	v_cmpx_gt_u32_e32 5, v1
	s_cbranch_execz .LBB1590_10
; %bb.9:
	s_load_b64 s[18:19], s[0:1], 0x0
	v_add_lshl_u32 v2, v1, s31, 7
	s_mul_hi_i32 s21, s13, s4
	s_mul_i32 s20, s13, s4
	v_lshlrev_b32_e32 v6, 10, v65
	s_lshl_b64 s[20:21], s[20:21], 1
	v_ashrrev_i32_e32 v3, 31, v2
	v_lshlrev_b32_e32 v1, 6, v1
	v_lshlrev_b32_e32 v7, 10, v75
	v_and_b32_e32 v6, 0x3800, v6
	s_delay_alu instid0(VALU_DEP_4) | instskip(NEXT) | instid1(VALU_DEP_2)
	v_lshlrev_b64 v[2:3], 1, v[2:3]
	v_or3_b32 v1, v6, v7, v1
	s_waitcnt lgkmcnt(0)
	s_add_u32 s4, s18, s20
	s_addc_u32 s13, s19, s21
	s_delay_alu instid0(VALU_DEP_2) | instskip(SKIP_1) | instid1(VALU_DEP_2)
	v_add_co_u32 v2, vcc_lo, s4, v2
	v_add_co_ci_u32_e32 v3, vcc_lo, s13, v3, vcc_lo
	v_add_co_u32 v2, vcc_lo, v2, v73
	s_delay_alu instid0(VALU_DEP_2)
	v_add_co_ci_u32_e32 v3, vcc_lo, 0, v3, vcc_lo
	global_load_b128 v[2:5], v[2:3], off
	s_waitcnt vmcnt(0)
	ds_store_b128 v1, v[2:5]
.LBB1590_10:
	s_or_b32 exec_lo, exec_lo, s7
	v_and_b32_e32 v1, 0xef, v0
	s_add_i32 s4, s17, 31
	s_clause 0x1
	s_load_b32 s7, s[0:1], 0x38
	s_load_b32 s18, s[0:1], 0x1c
	s_ashr_i32 s13, s4, 31
	v_add_nc_u32_e32 v2, s12, v1
	s_lshr_b32 s13, s13, 27
	s_waitcnt lgkmcnt(0)
	s_add_i32 s4, s4, s13
	s_barrier
	v_ashrrev_i32_e32 v1, 31, v2
	s_ashr_i32 s4, s4, 5
	v_cmp_gt_i32_e32 vcc_lo, s17, v2
	s_add_i32 s4, s4, -1
	buffer_gl0_inv
	v_lshrrev_b32_e32 v3, 27, v1
	v_or_b32_e32 v1, 16, v2
	s_mul_i32 s15, s15, s6
	s_delay_alu instid0(VALU_DEP_2) | instskip(SKIP_1) | instid1(SALU_CYCLE_1)
	v_add_nc_u32_e32 v4, v2, v3
	s_mul_i32 s20, s30, s7
	s_ashr_i32 s21, s20, 31
	s_delay_alu instid0(VALU_DEP_1) | instskip(SKIP_2) | instid1(SALU_CYCLE_1)
	v_ashrrev_i32_e32 v4, 5, v4
	v_add_nc_u32_e32 v3, v1, v3
	s_lshl_b64 s[20:21], s[20:21], 2
	s_add_u32 s7, s2, s20
	s_delay_alu instid0(VALU_DEP_2) | instskip(NEXT) | instid1(VALU_DEP_2)
	v_cndmask_b32_e32 v2, s4, v4, vcc_lo
	v_ashrrev_i32_e32 v3, 5, v3
	v_cmp_gt_i32_e32 vcc_lo, s17, v1
	s_addc_u32 s13, s3, s21
	s_ashr_i32 s6, s15, 31
	s_add_u32 s2, s8, s15
	s_addc_u32 s3, s9, s6
	v_cndmask_b32_e32 v4, s4, v3, vcc_lo
	v_ashrrev_i32_e32 v3, 31, v2
	s_lshl_b32 s8, s14, 3
	s_delay_alu instid0(SALU_CYCLE_1) | instskip(NEXT) | instid1(VALU_DEP_2)
	s_ashr_i32 s9, s8, 31
	v_ashrrev_i32_e32 v5, 31, v4
	s_delay_alu instid0(VALU_DEP_2) | instskip(SKIP_1) | instid1(SALU_CYCLE_1)
	v_lshlrev_b64 v[1:2], 2, v[2:3]
	s_lshl_b64 s[8:9], s[8:9], 2
	s_add_u32 s8, s7, s8
	s_delay_alu instid0(VALU_DEP_2) | instskip(SKIP_1) | instid1(VALU_DEP_2)
	v_lshlrev_b64 v[3:4], 2, v[4:5]
	s_addc_u32 s9, s13, s9
	v_add_co_u32 v1, vcc_lo, s7, v1
	v_add_co_ci_u32_e32 v2, vcc_lo, s13, v2, vcc_lo
	s_delay_alu instid0(VALU_DEP_3) | instskip(NEXT) | instid1(VALU_DEP_4)
	v_add_co_u32 v3, vcc_lo, s7, v3
	v_add_co_ci_u32_e32 v4, vcc_lo, s13, v4, vcc_lo
	s_clause 0x1
	global_load_b32 v5, v[1:2], off
	global_load_b32 v6, v[3:4], off
	s_or_b32 s16, s12, 32
	s_delay_alu instid0(SALU_CYCLE_1) | instskip(SKIP_2) | instid1(SALU_CYCLE_1)
	s_ashr_i32 s19, s16, 5
	s_cmp_lt_i32 s16, s17
	s_cselect_b32 s20, s19, s4
	s_ashr_i32 s21, s20, 31
	s_delay_alu instid0(SALU_CYCLE_1) | instskip(NEXT) | instid1(SALU_CYCLE_1)
	s_lshl_b64 s[20:21], s[20:21], 2
	s_add_u32 s20, s7, s20
	s_addc_u32 s21, s13, s21
	s_or_b32 s16, s12, 64
	s_delay_alu instid0(SALU_CYCLE_1) | instskip(SKIP_2) | instid1(SALU_CYCLE_1)
	s_ashr_i32 s19, s16, 5
	s_cmp_lt_i32 s16, s17
	s_cselect_b32 s22, s19, s4
	s_ashr_i32 s23, s22, 31
	s_delay_alu instid0(SALU_CYCLE_1) | instskip(NEXT) | instid1(SALU_CYCLE_1)
	s_lshl_b64 s[22:23], s[22:23], 2
	s_add_u32 s22, s7, s22
	s_addc_u32 s23, s13, s23
	;; [unrolled: 10-line block ×5, first 2 shown]
	s_clause 0x5
	s_load_b32 s16, s[8:9], 0x0
	s_load_b32 s19, s[20:21], 0x0
	;; [unrolled: 1-line block ×6, first 2 shown]
	s_mov_b32 s20, 0
	s_delay_alu instid0(SALU_CYCLE_1)
	s_mov_b32 s21, s20
	s_mov_b32 s22, s20
	;; [unrolled: 1-line block ×7, first 2 shown]
	s_delay_alu instid0(SALU_CYCLE_1)
	v_dual_mov_b32 v107, s27 :: v_dual_mov_b32 v106, s26
	v_dual_mov_b32 v105, s25 :: v_dual_mov_b32 v102, s22
	;; [unrolled: 1-line block ×4, first 2 shown]
	s_waitcnt vmcnt(1)
	v_mad_i64_i32 v[1:2], null, v5, s5, s[2:3]
	v_lshlrev_b32_e32 v5, 4, v65
	s_waitcnt vmcnt(0)
	v_mad_i64_i32 v[3:4], null, v6, s5, s[2:3]
	s_or_b32 s2, s12, 0xc0
	s_delay_alu instid0(SALU_CYCLE_1) | instskip(NEXT) | instid1(VALU_DEP_3)
	s_ashr_i32 s3, s2, 5
	v_add_co_u32 v25, vcc_lo, v1, v5
	s_delay_alu instid0(VALU_DEP_4) | instskip(NEXT) | instid1(VALU_DEP_3)
	v_add_co_ci_u32_e32 v26, vcc_lo, 0, v2, vcc_lo
	v_add_co_u32 v27, vcc_lo, v3, v5
	s_delay_alu instid0(VALU_DEP_4)
	v_add_co_ci_u32_e32 v28, vcc_lo, 0, v4, vcc_lo
	s_clause 0xf
	global_load_b128 v[1:4], v[25:26], off
	global_load_b128 v[5:8], v[25:26], off offset:512
	global_load_b128 v[9:12], v[27:28], off offset:256
	;; [unrolled: 1-line block ×15, first 2 shown]
	v_mul_lo_u16 v25, v65, 52
	s_cmp_lt_i32 s2, s17
	v_lshlrev_b32_e32 v26, 5, v65
	s_cselect_b32 s2, s3, s4
	s_delay_alu instid0(VALU_DEP_2) | instskip(SKIP_1) | instid1(VALU_DEP_2)
	v_lshrrev_b16 v25, 8, v25
	s_ashr_i32 s3, s2, 31
	v_lshl_or_b32 v33, v66, 9, v26
	s_lshl_b64 s[2:3], s[2:3], 2
	s_delay_alu instid0(VALU_DEP_2) | instskip(SKIP_3) | instid1(VALU_DEP_1)
	v_mul_lo_u16 v25, v25, 5
	s_add_u32 s2, s7, s2
	s_addc_u32 s3, s13, s3
	s_or_b32 s8, s12, 0xe0
	v_sub_nc_u16 v25, v65, v25
	s_ashr_i32 s9, s8, 5
	s_cmp_lt_i32 s8, s17
	s_cselect_b32 s8, s9, s4
	s_delay_alu instid0(VALU_DEP_1) | instskip(SKIP_1) | instid1(SALU_CYCLE_1)
	v_and_b32_e32 v25, 0xff, v25
	s_ashr_i32 s9, s8, 31
	s_lshl_b64 s[8:9], s[8:9], 2
	s_delay_alu instid0(VALU_DEP_1)
	v_lshlrev_b32_e32 v72, 6, v25
	ds_load_b128 v[25:28], v72
	ds_load_b128 v[29:32], v72 offset:1024
	ds_load_b128 v[108:111], v72 offset:2048
	;; [unrolled: 1-line block ×3, first 2 shown]
	s_load_b32 s4, s[2:3], 0x0
	s_add_u32 s2, s7, s8
	s_addc_u32 s3, s13, s9
	ds_load_b128 v[116:119], v72 offset:4096
	ds_load_b128 v[120:123], v72 offset:5120
	s_load_b32 s2, s[2:3], 0x0
	s_add_u32 s7, s10, s15
	s_addc_u32 s6, s11, s6
	v_add_co_u32 v68, s7, s7, v33
	s_delay_alu instid0(VALU_DEP_1) | instskip(SKIP_1) | instid1(VALU_DEP_1)
	v_add_co_ci_u32_e64 v69, null, s6, 0, s7
	s_waitcnt lgkmcnt(0)
	v_mad_i64_i32 v[33:34], null, s16, s5, v[68:69]
	v_mad_i64_i32 v[70:71], null, s33, s5, v[68:69]
	v_mad_i64_i32 v[132:133], null, s34, s5, v[68:69]
	v_mad_i64_i32 v[134:135], null, s35, s5, v[68:69]
	v_mad_i64_i32 v[37:38], null, s19, s5, v[68:69]
	v_mad_i64_i32 v[136:137], null, s28, s5, v[68:69]
	v_mad_i64_i32 v[138:139], null, s4, s5, v[68:69]
	s_clause 0x3
	global_load_b128 v[41:44], v[33:34], off
	global_load_b128 v[45:48], v[33:34], off offset:16
	global_load_b128 v[33:36], v[37:38], off
	global_load_b128 v[37:40], v[37:38], off offset:16
	s_waitcnt vmcnt(18)
	v_wmma_f32_16x16x16_bf16 v[124:131], v[1:8], v[25:32], v[100:107]
	s_waitcnt vmcnt(16)
	v_wmma_f32_16x16x16_bf16 v[100:107], v[9:16], v[25:32], v[100:107]
	s_clause 0x1
	global_load_b128 v[25:28], v[70:71], off
	global_load_b128 v[29:32], v[70:71], off offset:16
	s_waitcnt vmcnt(16)
	v_wmma_f32_16x16x16_bf16 v[124:131], v[17:24], v[108:115], v[124:131]
	s_clause 0x1
	global_load_b128 v[17:20], v[132:133], off
	global_load_b128 v[21:24], v[132:133], off offset:16
	s_waitcnt vmcnt(16)
	v_wmma_f32_16x16x16_bf16 v[100:107], v[49:56], v[108:115], v[100:107]
	v_mad_i64_i32 v[53:54], null, s2, s5, v[68:69]
	s_clause 0x3
	global_load_b128 v[1:4], v[134:135], off
	global_load_b128 v[5:8], v[134:135], off offset:16
	global_load_b128 v[9:12], v[136:137], off
	global_load_b128 v[13:16], v[136:137], off offset:16
	s_waitcnt vmcnt(18)
	v_wmma_f32_16x16x16_bf16 v[124:131], v[57:64], v[116:123], v[124:131]
	s_clause 0x3
	global_load_b128 v[57:60], v[138:139], off
	global_load_b128 v[61:64], v[138:139], off offset:16
	global_load_b128 v[49:52], v[53:54], off
	global_load_b128 v[53:56], v[53:54], off offset:16
	s_waitcnt vmcnt(20)
	v_wmma_f32_16x16x16_bf16 v[100:107], v[76:83], v[116:123], v[100:107]
	ds_load_b128 v[76:79], v72 offset:6144
	ds_load_b128 v[80:83], v72 offset:7168
	v_mbcnt_lo_u32_b32 v69, -1, 0
	s_waitcnt vmcnt(0) lgkmcnt(0)
	s_barrier
	buffer_gl0_inv
	v_xor_b32_e32 v70, 16, v69
	s_delay_alu instid0(VALU_DEP_1) | instskip(SKIP_4) | instid1(VALU_DEP_2)
	v_cmp_gt_i32_e32 vcc_lo, 32, v70
	v_cndmask_b32_e32 v69, v69, v70, vcc_lo
	v_wmma_f32_16x16x16_bf16 v[124:131], v[84:91], v[76:83], v[124:131]
	v_and_b32_e32 v68, 0xe0, v0
	v_wmma_f32_16x16x16_bf16 v[100:107], v[92:99], v[76:83], v[100:107]
	v_dual_mul_f32 v81, s18, v129 :: v_dual_add_nc_u32 v68, s12, v68
	s_delay_alu instid0(VALU_DEP_4) | instskip(NEXT) | instid1(VALU_DEP_3)
	v_dual_mul_f32 v83, s18, v131 :: v_dual_mul_f32 v78, s18, v125
	v_mul_f32_e32 v95, s18, v103
	v_mul_f32_e32 v79, s18, v127
	s_delay_alu instid0(VALU_DEP_4) | instskip(SKIP_3) | instid1(VALU_DEP_4)
	v_or_b32_e32 v68, v68, v74
	v_dual_mul_f32 v80, s18, v126 :: v_dual_mul_f32 v97, s18, v105
	v_dual_mul_f32 v93, s18, v101 :: v_dual_mul_f32 v82, s18, v128
	v_mul_f32_e32 v99, s18, v107
	v_or_b32_e32 v70, 2, v68
	v_or_b32_e32 v71, 4, v68
	;; [unrolled: 1-line block ×3, first 2 shown]
	v_cmp_gt_i32_e64 s2, s17, v68
	v_or_b32_e32 v108, 8, v68
	v_cmp_gt_i32_e32 vcc_lo, s17, v70
	v_mul_f32_e32 v70, s18, v124
	v_or_b32_e32 v109, 10, v68
	v_cmp_gt_i32_e64 s3, s17, v71
	v_cmp_gt_i32_e64 s4, s17, v72
	v_cndmask_b32_e32 v78, 0xff7fffff, v78, vcc_lo
	v_cndmask_b32_e64 v70, 0xff7fffff, v70, s2
	v_or_b32_e32 v84, 12, v68
	v_or_b32_e32 v85, 14, v68
	v_cndmask_b32_e64 v71, 0xff7fffff, v80, s3
	v_cndmask_b32_e64 v72, 0xff7fffff, v79, s4
	v_max3_f32 v70, v70, 0xff7fffff, v78
	v_cmp_gt_i32_e64 s5, s17, v108
	v_cmp_gt_i32_e64 s6, s17, v109
	v_or_b32_e32 v86, 16, v68
	v_or_b32_e32 v87, 18, v68
	;; [unrolled: 1-line block ×3, first 2 shown]
	v_mul_f32_e32 v92, s18, v130
	v_cndmask_b32_e64 v78, 0xff7fffff, v82, s5
	v_cndmask_b32_e64 v79, 0xff7fffff, v81, s6
	v_max3_f32 v70, v70, v71, v72
	v_cmp_gt_i32_e64 s7, s17, v84
	v_cmp_gt_i32_e64 s8, s17, v85
	v_or_b32_e32 v88, 20, v68
	v_mul_f32_e32 v94, s18, v100
	v_max3_f32 v70, v70, v78, v79
	v_cmp_gt_i32_e64 s9, s17, v86
	v_cndmask_b32_e64 v72, 0xff7fffff, v83, s8
	v_cmp_gt_i32_e64 s10, s17, v87
	v_cmp_gt_i32_e64 s12, s17, v89
	v_lshlrev_b32_e32 v89, 2, v69
	v_cndmask_b32_e64 v71, 0xff7fffff, v92, s7
	v_or_b32_e32 v90, 24, v68
	v_or_b32_e32 v91, 26, v68
	v_mul_f32_e32 v96, s18, v102
	v_cndmask_b32_e64 v78, 0xff7fffff, v94, s9
	v_cndmask_b32_e64 v79, 0xff7fffff, v93, s10
	v_max3_f32 v70, v70, v71, v72
	v_cmp_gt_i32_e64 s11, s17, v88
	v_or_b32_e32 v76, 28, v68
	v_or_b32_e32 v77, 30, v68
	v_mul_f32_e32 v98, s18, v104
	v_cndmask_b32_e64 v72, 0xff7fffff, v95, s12
	v_cndmask_b32_e64 v71, 0xff7fffff, v96, s11
	v_max3_f32 v70, v70, v78, v79
	v_cmp_gt_i32_e64 s13, s17, v90
	v_cmp_gt_i32_e64 s15, s17, v91
	v_mul_f32_e32 v68, s18, v106
	v_cmp_gt_i32_e64 s16, s17, v76
	v_max3_f32 v70, v70, v71, v72
	v_cndmask_b32_e64 v78, 0xff7fffff, v98, s13
	v_cndmask_b32_e64 v79, 0xff7fffff, v97, s15
	v_cmp_gt_i32_e64 s17, s17, v77
	v_cndmask_b32_e64 v68, 0xff7fffff, v68, s16
	s_delay_alu instid0(VALU_DEP_3) | instskip(NEXT) | instid1(VALU_DEP_3)
	v_max3_f32 v70, v70, v78, v79
	v_cndmask_b32_e64 v71, 0xff7fffff, v99, s17
	s_delay_alu instid0(VALU_DEP_1) | instskip(SKIP_3) | instid1(VALU_DEP_1)
	v_max3_f32 v68, v70, v68, v71
	ds_bpermute_b32 v69, v89, v68
	s_waitcnt lgkmcnt(0)
	v_max_f32_e32 v69, v69, v69
	v_max_f32_e32 v68, v68, v69
	s_delay_alu instid0(VALU_DEP_1) | instskip(NEXT) | instid1(VALU_DEP_1)
	v_fma_f32 v71, s18, v126, -v68
	v_mul_f32_e32 v71, 0x3fb8aa3b, v71
	s_delay_alu instid0(VALU_DEP_1) | instskip(SKIP_3) | instid1(VALU_DEP_1)
	v_exp_f32_e32 v71, v71
	s_waitcnt_depctr 0xfff
	v_cndmask_b32_e64 v83, 0, v71, s3
	v_fma_f32 v71, s18, v131, -v68
	v_mul_f32_e32 v71, 0x3fb8aa3b, v71
	v_fma_f32 v69, s18, v124, -v68
	v_fma_f32 v76, s18, v128, -v68
	;; [unrolled: 1-line block ×4, first 2 shown]
	v_exp_f32_e32 v71, v71
	v_mul_f32_e32 v69, 0x3fb8aa3b, v69
	v_mul_f32_e32 v77, 0x3fb8aa3b, v76
	v_fma_f32 v81, s18, v105, -v68
	v_fma_f32 v78, s18, v130, -v68
	s_delay_alu instid0(VALU_DEP_4) | instskip(NEXT) | instid1(VALU_DEP_3)
	v_exp_f32_e32 v69, v69
	v_exp_f32_e32 v77, v77
	s_delay_alu instid0(VALU_DEP_2) | instskip(NEXT) | instid1(TRANS32_DEP_3)
	v_mul_f32_e32 v81, 0x3fb8aa3b, v81
	v_cndmask_b32_e64 v88, 0, v71, s8
	v_fma_f32 v71, s18, v104, -v68
	s_delay_alu instid0(VALU_DEP_3) | instskip(NEXT) | instid1(TRANS32_DEP_3)
	v_exp_f32_e32 v81, v81
	v_cndmask_b32_e64 v80, 0, v69, s2
	v_fma_f32 v69, s18, v129, -v68
	v_mul_f32_e32 v70, 0x3fb8aa3b, v70
	s_delay_alu instid0(TRANS32_DEP_2)
	v_cndmask_b32_e64 v86, 0, v77, s5
	v_mul_f32_e32 v72, 0x3fb8aa3b, v72
	v_fma_f32 v77, s18, v101, -v68
	v_mul_f32_e32 v69, 0x3fb8aa3b, v69
	v_exp_f32_e32 v70, v70
	v_mul_f32_e32 v71, 0x3fb8aa3b, v71
	v_exp_f32_e32 v72, v72
	;; [unrolled: 2-line block ×3, first 2 shown]
	v_cmp_gt_u32_e64 s2, 16, v67
	v_exp_f32_e32 v82, v71
	s_delay_alu instid0(VALU_DEP_2) | instskip(SKIP_4) | instid1(TRANS32_DEP_3)
	v_exp_f32_e32 v77, v77
	v_cndmask_b32_e32 v76, 0, v70, vcc_lo
	v_add_f32_e32 v70, 0, v80
	v_cndmask_b32_e64 v85, 0, v72, s4
	v_fma_f32 v72, s18, v100, -v68
	v_cndmask_b32_e64 v87, 0, v69, s6
	s_delay_alu instid0(VALU_DEP_4) | instskip(NEXT) | instid1(VALU_DEP_3)
	v_add_f32_e32 v70, v70, v76
	v_mul_f32_e32 v72, 0x3fb8aa3b, v72
	s_delay_alu instid0(VALU_DEP_2) | instskip(NEXT) | instid1(VALU_DEP_2)
	v_add_f32_e32 v70, v70, v83
	v_exp_f32_e32 v72, v72
	s_delay_alu instid0(VALU_DEP_1) | instskip(NEXT) | instid1(VALU_DEP_1)
	v_add_f32_e32 v70, v70, v85
	v_add_f32_e32 v69, v70, v86
	v_fma_f32 v70, s18, v102, -v68
	s_delay_alu instid0(VALU_DEP_2) | instskip(NEXT) | instid1(VALU_DEP_2)
	v_dual_add_f32 v69, v69, v87 :: v_dual_mul_f32 v78, 0x3fb8aa3b, v78
	v_mul_f32_e32 v70, 0x3fb8aa3b, v70
	s_delay_alu instid0(VALU_DEP_2) | instskip(NEXT) | instid1(VALU_DEP_1)
	v_exp_f32_e32 v78, v78
	v_exp_f32_e32 v79, v70
	s_delay_alu instid0(TRANS32_DEP_3) | instskip(SKIP_4) | instid1(VALU_DEP_2)
	v_cndmask_b32_e64 v70, 0, v72, s9
	s_waitcnt_depctr 0xfff
	v_cndmask_b32_e64 v84, 0, v78, s7
	v_fma_f32 v78, s18, v103, -v68
	v_cndmask_b32_e64 v71, 0, v79, s11
	v_dual_add_f32 v69, v69, v84 :: v_dual_mul_f32 v78, 0x3fb8aa3b, v78
	s_delay_alu instid0(VALU_DEP_1) | instskip(NEXT) | instid1(VALU_DEP_2)
	v_add_f32_e32 v72, v69, v88
	v_exp_f32_e32 v78, v78
	v_cndmask_b32_e64 v69, 0, v77, s10
	v_fma_f32 v77, s18, v106, -v68
	s_delay_alu instid0(VALU_DEP_1) | instskip(NEXT) | instid1(VALU_DEP_1)
	v_dual_add_f32 v72, v72, v70 :: v_dual_mul_f32 v77, 0x3fb8aa3b, v77
	v_add_f32_e32 v79, v72, v69
	s_waitcnt_depctr 0xfff
	v_cndmask_b32_e64 v72, 0, v78, s12
	v_exp_f32_e32 v90, v77
	v_cndmask_b32_e64 v77, 0, v82, s13
	v_add_f32_e32 v78, v79, v71
	v_fma_f32 v79, s18, v107, -v68
	s_delay_alu instid0(VALU_DEP_1) | instskip(SKIP_1) | instid1(VALU_DEP_2)
	v_dual_add_f32 v82, v78, v72 :: v_dual_mul_f32 v79, 0x3fb8aa3b, v79
	v_cndmask_b32_e64 v78, 0, v81, s15
	v_add_f32_e32 v81, v82, v77
	s_delay_alu instid0(VALU_DEP_3) | instskip(NEXT) | instid1(TRANS32_DEP_2)
	v_exp_f32_e32 v82, v79
	v_cndmask_b32_e64 v79, 0, v90, s16
	s_delay_alu instid0(VALU_DEP_2) | instskip(NEXT) | instid1(VALU_DEP_1)
	v_add_f32_e32 v81, v81, v78
	v_add_f32_e32 v90, v81, v79
	s_waitcnt_depctr 0xfff
	v_cndmask_b32_e64 v81, 0, v82, s17
	s_delay_alu instid0(VALU_DEP_1)
	v_add_f32_e32 v82, v90, v81
	ds_bpermute_b32 v89, v89, v82
	s_and_saveexec_b32 s3, s2
	s_cbranch_execz .LBB1590_12
; %bb.11:
	v_mul_u32_u24_e32 v67, 0x44, v66
	s_delay_alu instid0(VALU_DEP_1) | instskip(SKIP_1) | instid1(VALU_DEP_1)
	v_lshl_add_u32 v67, v65, 2, v67
	s_waitcnt lgkmcnt(0)
	v_dual_add_f32 v82, v82, v89 :: v_dual_add_nc_u32 v67, 0x4000, v67
	ds_store_2addr_b32 v67, v68, v82 offset1:136
.LBB1590_12:
	s_or_b32 exec_lo, exec_lo, s3
	v_lshlrev_b32_e32 v67, 2, v65
	s_waitcnt lgkmcnt(0)
	s_barrier
	buffer_gl0_inv
	v_cmp_eq_u32_e32 vcc_lo, 1, v66
	v_add_nc_u32_e32 v82, 0x4000, v67
	v_cmp_eq_u32_e64 s3, 2, v66
	v_cmp_eq_u32_e64 s5, 7, v66
	ds_load_2addr_b32 v[89:90], v82 offset1:17
	ds_load_2addr_b32 v[91:92], v82 offset0:34 offset1:51
	ds_load_2addr_b32 v[93:94], v82 offset0:68 offset1:85
	;; [unrolled: 1-line block ×4, first 2 shown]
	s_waitcnt lgkmcnt(4)
	v_max3_f32 v67, v89, 0xff7fffff, v90
	s_waitcnt lgkmcnt(3)
	s_delay_alu instid0(VALU_DEP_1) | instskip(SKIP_1) | instid1(VALU_DEP_1)
	v_max3_f32 v67, v67, v91, v92
	s_waitcnt lgkmcnt(2)
	v_max3_f32 v67, v67, v93, v94
	s_waitcnt lgkmcnt(1)
	s_delay_alu instid0(VALU_DEP_1) | instskip(NEXT) | instid1(VALU_DEP_1)
	v_max3_f32 v67, v67, v95, v96
	v_sub_f32_e32 v93, v93, v67
	s_delay_alu instid0(VALU_DEP_1) | instskip(NEXT) | instid1(VALU_DEP_1)
	v_dual_sub_f32 v68, v89, v67 :: v_dual_mul_f32 v103, 0x3fb8aa3b, v93
	v_mul_f32_e32 v68, 0x3fb8aa3b, v68
	s_delay_alu instid0(VALU_DEP_1)
	v_exp_f32_e32 v100, v68
	v_sub_f32_e32 v68, v92, v67
	v_sub_f32_e32 v99, v90, v67
	ds_load_2addr_b32 v[89:90], v82 offset0:170 offset1:187
	v_dual_mul_f32 v102, 0x3fb8aa3b, v68 :: v_dual_mul_f32 v99, 0x3fb8aa3b, v99
	s_waitcnt lgkmcnt(1)
	v_fma_f32 v68, v100, v97, 0
	s_delay_alu instid0(VALU_DEP_2) | instskip(NEXT) | instid1(VALU_DEP_2)
	v_exp_f32_e32 v102, v102
	v_exp_f32_e32 v99, v99
	s_waitcnt_depctr 0xfff
	v_fmac_f32_e32 v68, v99, v98
	v_sub_f32_e32 v91, v91, v67
	s_delay_alu instid0(VALU_DEP_1)
	v_mul_f32_e32 v101, 0x3fb8aa3b, v91
	ds_load_2addr_b32 v[91:92], v82 offset0:204 offset1:221
	v_sub_f32_e32 v97, v94, v67
	ds_load_2addr_b32 v[93:94], v82 offset0:238 offset1:255
	s_waitcnt lgkmcnt(0)
	v_exp_f32_e32 v101, v101
	s_barrier
	buffer_gl0_inv
	v_dual_fmac_f32 v68, v101, v89 :: v_dual_sub_f32 v89, v96, v67
	v_dual_sub_f32 v82, v95, v67 :: v_dual_mul_f32 v95, 0x3fb8aa3b, v97
	v_exp_f32_e32 v97, v103
	s_delay_alu instid0(VALU_DEP_2) | instskip(NEXT) | instid1(VALU_DEP_2)
	v_dual_fmac_f32 v68, v102, v90 :: v_dual_mul_f32 v89, 0x3fb8aa3b, v89
	v_mul_f32_e32 v82, 0x3fb8aa3b, v82
	s_delay_alu instid0(VALU_DEP_3) | instskip(NEXT) | instid1(VALU_DEP_2)
	v_exp_f32_e32 v95, v95
	v_exp_f32_e32 v89, v89
	s_delay_alu instid0(VALU_DEP_1)
	v_exp_f32_e32 v82, v82
	v_fmac_f32_e32 v68, v97, v91
	s_delay_alu instid0(TRANS32_DEP_3) | instid1(VALU_DEP_1)
	v_fmac_f32_e32 v68, v95, v92
	s_waitcnt_depctr 0xfff
	v_fmac_f32_e32 v68, v82, v93
	s_delay_alu instid0(VALU_DEP_1) | instskip(NEXT) | instid1(VALU_DEP_1)
	v_fmac_f32_e32 v68, v89, v94
	v_add_f32_e32 v90, 0x358637bd, v68
	s_delay_alu instid0(VALU_DEP_1) | instskip(NEXT) | instid1(VALU_DEP_1)
	v_div_scale_f32 v91, null, v90, v90, 1.0
	v_rcp_f32_e32 v92, v91
	s_waitcnt_depctr 0xfff
	v_fma_f32 v93, -v91, v92, 1.0
	s_delay_alu instid0(VALU_DEP_1) | instskip(SKIP_1) | instid1(VALU_DEP_2)
	v_dual_fmac_f32 v92, v93, v92 :: v_dual_cndmask_b32 v93, v100, v99
	v_cmp_eq_u32_e32 vcc_lo, 3, v66
	v_cndmask_b32_e64 v93, v93, v101, s3
	v_cmp_eq_u32_e64 s3, 4, v66
	s_delay_alu instid0(VALU_DEP_2) | instskip(SKIP_1) | instid1(VALU_DEP_2)
	v_cndmask_b32_e32 v93, v93, v102, vcc_lo
	v_cmp_eq_u32_e32 vcc_lo, 5, v66
	v_cndmask_b32_e64 v93, v93, v97, s3
	v_cmp_eq_u32_e64 s3, 6, v66
	s_delay_alu instid0(VALU_DEP_2) | instskip(SKIP_1) | instid1(VALU_DEP_1)
	v_cndmask_b32_e32 v93, v93, v95, vcc_lo
	v_div_scale_f32 v94, s4, 1.0, v90, 1.0
	s_mov_b32 vcc_lo, s4
	s_delay_alu instid0(VALU_DEP_2) | instskip(NEXT) | instid1(VALU_DEP_2)
	v_cndmask_b32_e64 v82, v93, v82, s3
	v_mul_f32_e32 v96, v94, v92
	s_mov_b32 s3, exec_lo
	s_delay_alu instid0(VALU_DEP_2) | instskip(NEXT) | instid1(VALU_DEP_2)
	v_cndmask_b32_e64 v82, v82, v89, s5
	v_fma_f32 v98, -v91, v96, v94
	s_delay_alu instid0(VALU_DEP_1) | instskip(NEXT) | instid1(VALU_DEP_1)
	v_fmac_f32_e32 v96, v98, v92
	v_fma_f32 v91, -v91, v96, v94
	s_delay_alu instid0(VALU_DEP_1) | instskip(NEXT) | instid1(VALU_DEP_1)
	v_div_fmas_f32 v91, v91, v92, v96
	v_div_fixup_f32 v90, v91, v90, 1.0
	s_delay_alu instid0(VALU_DEP_1) | instskip(NEXT) | instid1(VALU_DEP_1)
	v_mul_f32_e32 v82, v82, v90
	v_mul_f32_e32 v87, v82, v87
	;; [unrolled: 1-line block ×7, first 2 shown]
	v_dual_mul_f32 v86, v82, v83 :: v_dual_and_b32 v91, 0x7f800000, v90
	v_mul_f32_e32 v85, v82, v76
                                        ; implicit-def: $vgpr76
	s_delay_alu instid0(VALU_DEP_2)
	v_cmpx_ne_u32_e32 0x7f800000, v91
	s_xor_b32 s3, exec_lo, s3
; %bb.13:
	v_bfe_u32 v76, v90, 16, 1
	s_delay_alu instid0(VALU_DEP_1)
	v_add3_u32 v76, v90, v76, 0x7fff
                                        ; implicit-def: $vgpr90
; %bb.14:
	s_and_not1_saveexec_b32 s3, s3
; %bb.15:
	v_and_b32_e32 v76, 0xffff, v90
	v_or_b32_e32 v83, 0x10000, v90
	s_delay_alu instid0(VALU_DEP_2) | instskip(NEXT) | instid1(VALU_DEP_2)
	v_cmp_eq_u32_e32 vcc_lo, 0, v76
	v_cndmask_b32_e32 v76, v83, v90, vcc_lo
; %bb.16:
	s_or_b32 exec_lo, exec_lo, s3
	v_and_b32_e32 v83, 0x7f800000, v85
	s_delay_alu instid0(VALU_DEP_1) | instskip(SKIP_1) | instid1(SALU_CYCLE_1)
	v_cmp_ne_u32_e32 vcc_lo, 0x7f800000, v83
                                        ; implicit-def: $vgpr83
	s_and_saveexec_b32 s3, vcc_lo
	s_xor_b32 s3, exec_lo, s3
; %bb.17:
	v_bfe_u32 v83, v85, 16, 1
	s_delay_alu instid0(VALU_DEP_1)
	v_add3_u32 v83, v85, v83, 0x7fff
                                        ; implicit-def: $vgpr85
; %bb.18:
	s_and_not1_saveexec_b32 s3, s3
; %bb.19:
	v_and_b32_e32 v83, 0xffff, v85
	v_or_b32_e32 v90, 0x10000, v85
	s_delay_alu instid0(VALU_DEP_2) | instskip(NEXT) | instid1(VALU_DEP_2)
	v_cmp_eq_u32_e32 vcc_lo, 0, v83
	v_cndmask_b32_e32 v83, v90, v85, vcc_lo
; %bb.20:
	s_or_b32 exec_lo, exec_lo, s3
	v_and_b32_e32 v85, 0x7f800000, v86
	s_delay_alu instid0(VALU_DEP_1) | instskip(SKIP_1) | instid1(SALU_CYCLE_1)
	v_cmp_ne_u32_e32 vcc_lo, 0x7f800000, v85
                                        ; implicit-def: $vgpr85
	s_and_saveexec_b32 s3, vcc_lo
	s_xor_b32 s3, exec_lo, s3
; %bb.21:
	v_bfe_u32 v85, v86, 16, 1
	s_delay_alu instid0(VALU_DEP_1)
	v_add3_u32 v85, v86, v85, 0x7fff
                                        ; implicit-def: $vgpr86
; %bb.22:
	s_and_not1_saveexec_b32 s3, s3
; %bb.23:
	v_and_b32_e32 v85, 0xffff, v86
	v_or_b32_e32 v90, 0x10000, v86
	s_delay_alu instid0(VALU_DEP_2) | instskip(NEXT) | instid1(VALU_DEP_2)
	v_cmp_eq_u32_e32 vcc_lo, 0, v85
	v_cndmask_b32_e32 v85, v90, v86, vcc_lo
; %bb.24:
	s_or_b32 exec_lo, exec_lo, s3
	v_and_b32_e32 v86, 0x7f800000, v89
	s_delay_alu instid0(VALU_DEP_1) | instskip(SKIP_1) | instid1(SALU_CYCLE_1)
	v_cmp_ne_u32_e32 vcc_lo, 0x7f800000, v86
                                        ; implicit-def: $vgpr86
	s_and_saveexec_b32 s3, vcc_lo
	s_xor_b32 s3, exec_lo, s3
; %bb.25:
	v_bfe_u32 v86, v89, 16, 1
	s_delay_alu instid0(VALU_DEP_1)
	v_add3_u32 v86, v89, v86, 0x7fff
                                        ; implicit-def: $vgpr89
; %bb.26:
	s_and_not1_saveexec_b32 s3, s3
; %bb.27:
	v_and_b32_e32 v86, 0xffff, v89
	v_or_b32_e32 v90, 0x10000, v89
	s_delay_alu instid0(VALU_DEP_2) | instskip(NEXT) | instid1(VALU_DEP_2)
	v_cmp_eq_u32_e32 vcc_lo, 0, v86
	v_cndmask_b32_e32 v86, v90, v89, vcc_lo
; %bb.28:
	s_or_b32 exec_lo, exec_lo, s3
	v_and_b32_e32 v89, 0x7f800000, v88
	s_delay_alu instid0(VALU_DEP_1) | instskip(SKIP_1) | instid1(SALU_CYCLE_1)
	v_cmp_ne_u32_e32 vcc_lo, 0x7f800000, v89
                                        ; implicit-def: $vgpr89
	s_and_saveexec_b32 s3, vcc_lo
	s_xor_b32 s3, exec_lo, s3
; %bb.29:
	v_bfe_u32 v89, v88, 16, 1
	s_delay_alu instid0(VALU_DEP_1)
	v_add3_u32 v89, v88, v89, 0x7fff
                                        ; implicit-def: $vgpr88
; %bb.30:
	s_and_not1_saveexec_b32 s3, s3
; %bb.31:
	v_and_b32_e32 v89, 0xffff, v88
	v_or_b32_e32 v90, 0x10000, v88
	s_delay_alu instid0(VALU_DEP_2) | instskip(NEXT) | instid1(VALU_DEP_2)
	v_cmp_eq_u32_e32 vcc_lo, 0, v89
	v_cndmask_b32_e32 v89, v90, v88, vcc_lo
; %bb.32:
	s_or_b32 exec_lo, exec_lo, s3
	v_and_b32_e32 v88, 0x7f800000, v87
	s_delay_alu instid0(VALU_DEP_1) | instskip(SKIP_1) | instid1(SALU_CYCLE_1)
	v_cmp_ne_u32_e32 vcc_lo, 0x7f800000, v88
                                        ; implicit-def: $vgpr88
	s_and_saveexec_b32 s3, vcc_lo
	s_xor_b32 s3, exec_lo, s3
; %bb.33:
	v_bfe_u32 v88, v87, 16, 1
	s_delay_alu instid0(VALU_DEP_1)
	v_add3_u32 v88, v87, v88, 0x7fff
                                        ; implicit-def: $vgpr87
; %bb.34:
	s_and_not1_saveexec_b32 s3, s3
; %bb.35:
	v_and_b32_e32 v88, 0xffff, v87
	v_or_b32_e32 v90, 0x10000, v87
	s_delay_alu instid0(VALU_DEP_2) | instskip(NEXT) | instid1(VALU_DEP_2)
	v_cmp_eq_u32_e32 vcc_lo, 0, v88
	v_cndmask_b32_e32 v88, v90, v87, vcc_lo
; %bb.36:
	s_or_b32 exec_lo, exec_lo, s3
	v_and_b32_e32 v87, 0x7f800000, v84
	s_delay_alu instid0(VALU_DEP_1) | instskip(SKIP_1) | instid1(SALU_CYCLE_1)
	v_cmp_ne_u32_e32 vcc_lo, 0x7f800000, v87
                                        ; implicit-def: $vgpr87
	s_and_saveexec_b32 s3, vcc_lo
	s_xor_b32 s3, exec_lo, s3
; %bb.37:
	v_bfe_u32 v87, v84, 16, 1
	s_delay_alu instid0(VALU_DEP_1)
	v_add3_u32 v87, v84, v87, 0x7fff
                                        ; implicit-def: $vgpr84
; %bb.38:
	s_and_not1_saveexec_b32 s3, s3
; %bb.39:
	v_and_b32_e32 v87, 0xffff, v84
	v_or_b32_e32 v90, 0x10000, v84
	s_delay_alu instid0(VALU_DEP_2) | instskip(NEXT) | instid1(VALU_DEP_2)
	v_cmp_eq_u32_e32 vcc_lo, 0, v87
	v_cndmask_b32_e32 v87, v90, v84, vcc_lo
; %bb.40:
	s_or_b32 exec_lo, exec_lo, s3
	v_and_b32_e32 v84, 0x7f800000, v80
	s_delay_alu instid0(VALU_DEP_1) | instskip(SKIP_1) | instid1(SALU_CYCLE_1)
	v_cmp_ne_u32_e32 vcc_lo, 0x7f800000, v84
                                        ; implicit-def: $vgpr84
	s_and_saveexec_b32 s3, vcc_lo
	s_xor_b32 s3, exec_lo, s3
; %bb.41:
	v_bfe_u32 v84, v80, 16, 1
	s_delay_alu instid0(VALU_DEP_1)
	v_add3_u32 v84, v80, v84, 0x7fff
                                        ; implicit-def: $vgpr80
; %bb.42:
	s_and_not1_saveexec_b32 s3, s3
; %bb.43:
	v_and_b32_e32 v84, 0xffff, v80
	v_or_b32_e32 v90, 0x10000, v80
	s_delay_alu instid0(VALU_DEP_2) | instskip(NEXT) | instid1(VALU_DEP_2)
	v_cmp_eq_u32_e32 vcc_lo, 0, v84
	v_cndmask_b32_e32 v84, v90, v80, vcc_lo
; %bb.44:
	s_or_b32 exec_lo, exec_lo, s3
	s_load_b64 s[34:35], s[0:1], 0x94
	v_lshlrev_b32_e32 v91, 4, v74
	s_delay_alu instid0(VALU_DEP_2)
	v_perm_b32 v90, v84, v87, 0x7060302
	v_dual_mul_f32 v79, v82, v79 :: v_dual_lshlrev_b32 v80, 6, v65
	v_dual_mul_f32 v77, v82, v77 :: v_dual_lshlrev_b32 v92, 11, v66
	v_mul_f32_e32 v84, v82, v70
	v_perm_b32 v89, v88, v89, 0x7060302
	v_perm_b32 v88, v86, v85, 0x7060302
	;; [unrolled: 1-line block ×3, first 2 shown]
	v_mul_f32_e32 v70, v82, v81
	v_or3_b32 v76, v91, v92, v80
	v_dual_mul_f32 v78, v82, v78 :: v_dual_and_b32 v85, 0x7f800000, v84
	v_mul_f32_e32 v83, v82, v72
	v_mul_f32_e32 v81, v82, v71
	;; [unrolled: 1-line block ×3, first 2 shown]
	s_mov_b32 s3, exec_lo
	ds_store_b128 v76, v[87:90]
                                        ; implicit-def: $vgpr69
	v_cmpx_ne_u32_e32 0x7f800000, v85
	s_xor_b32 s3, exec_lo, s3
; %bb.45:
	v_bfe_u32 v69, v84, 16, 1
	s_delay_alu instid0(VALU_DEP_1)
	v_add3_u32 v69, v84, v69, 0x7fff
                                        ; implicit-def: $vgpr84
; %bb.46:
	s_and_not1_saveexec_b32 s3, s3
; %bb.47:
	v_and_b32_e32 v69, 0xffff, v84
	v_or_b32_e32 v71, 0x10000, v84
	s_delay_alu instid0(VALU_DEP_2) | instskip(NEXT) | instid1(VALU_DEP_2)
	v_cmp_eq_u32_e32 vcc_lo, 0, v69
	v_cndmask_b32_e32 v69, v71, v84, vcc_lo
; %bb.48:
	s_or_b32 exec_lo, exec_lo, s3
	v_and_b32_e32 v71, 0x7f800000, v72
	s_delay_alu instid0(VALU_DEP_1) | instskip(SKIP_1) | instid1(SALU_CYCLE_1)
	v_cmp_ne_u32_e32 vcc_lo, 0x7f800000, v71
                                        ; implicit-def: $vgpr71
	s_and_saveexec_b32 s3, vcc_lo
	s_xor_b32 s3, exec_lo, s3
; %bb.49:
	v_bfe_u32 v71, v72, 16, 1
	s_delay_alu instid0(VALU_DEP_1)
	v_add3_u32 v71, v72, v71, 0x7fff
                                        ; implicit-def: $vgpr72
; %bb.50:
	s_and_not1_saveexec_b32 s3, s3
; %bb.51:
	v_and_b32_e32 v71, 0xffff, v72
	v_or_b32_e32 v82, 0x10000, v72
	s_delay_alu instid0(VALU_DEP_2) | instskip(NEXT) | instid1(VALU_DEP_2)
	v_cmp_eq_u32_e32 vcc_lo, 0, v71
	v_cndmask_b32_e32 v71, v82, v72, vcc_lo
; %bb.52:
	s_or_b32 exec_lo, exec_lo, s3
	v_and_b32_e32 v72, 0x7f800000, v81
	s_delay_alu instid0(VALU_DEP_1) | instskip(SKIP_1) | instid1(SALU_CYCLE_1)
	v_cmp_ne_u32_e32 vcc_lo, 0x7f800000, v72
                                        ; implicit-def: $vgpr72
	s_and_saveexec_b32 s3, vcc_lo
	s_xor_b32 s3, exec_lo, s3
; %bb.53:
	v_bfe_u32 v72, v81, 16, 1
	s_delay_alu instid0(VALU_DEP_1)
	v_add3_u32 v72, v81, v72, 0x7fff
                                        ; implicit-def: $vgpr81
; %bb.54:
	s_and_not1_saveexec_b32 s3, s3
; %bb.55:
	v_and_b32_e32 v72, 0xffff, v81
	v_or_b32_e32 v82, 0x10000, v81
	s_delay_alu instid0(VALU_DEP_2) | instskip(NEXT) | instid1(VALU_DEP_2)
	v_cmp_eq_u32_e32 vcc_lo, 0, v72
	v_cndmask_b32_e32 v72, v82, v81, vcc_lo
; %bb.56:
	s_or_b32 exec_lo, exec_lo, s3
	v_and_b32_e32 v81, 0x7f800000, v83
	s_delay_alu instid0(VALU_DEP_1) | instskip(SKIP_1) | instid1(SALU_CYCLE_1)
	v_cmp_ne_u32_e32 vcc_lo, 0x7f800000, v81
                                        ; implicit-def: $vgpr81
	s_and_saveexec_b32 s3, vcc_lo
	s_xor_b32 s3, exec_lo, s3
; %bb.57:
	v_bfe_u32 v81, v83, 16, 1
	s_delay_alu instid0(VALU_DEP_1)
	v_add3_u32 v81, v83, v81, 0x7fff
                                        ; implicit-def: $vgpr83
; %bb.58:
	s_and_not1_saveexec_b32 s3, s3
; %bb.59:
	v_and_b32_e32 v81, 0xffff, v83
	v_or_b32_e32 v82, 0x10000, v83
	s_delay_alu instid0(VALU_DEP_2) | instskip(NEXT) | instid1(VALU_DEP_2)
	v_cmp_eq_u32_e32 vcc_lo, 0, v81
	v_cndmask_b32_e32 v81, v82, v83, vcc_lo
; %bb.60:
	s_or_b32 exec_lo, exec_lo, s3
	v_and_b32_e32 v82, 0x7f800000, v77
	s_delay_alu instid0(VALU_DEP_1) | instskip(SKIP_1) | instid1(SALU_CYCLE_1)
	v_cmp_ne_u32_e32 vcc_lo, 0x7f800000, v82
                                        ; implicit-def: $vgpr82
	s_and_saveexec_b32 s3, vcc_lo
	s_xor_b32 s3, exec_lo, s3
; %bb.61:
	v_bfe_u32 v82, v77, 16, 1
	s_delay_alu instid0(VALU_DEP_1)
	v_add3_u32 v82, v77, v82, 0x7fff
                                        ; implicit-def: $vgpr77
; %bb.62:
	s_and_not1_saveexec_b32 s3, s3
; %bb.63:
	v_and_b32_e32 v82, 0xffff, v77
	v_or_b32_e32 v83, 0x10000, v77
	s_delay_alu instid0(VALU_DEP_2) | instskip(NEXT) | instid1(VALU_DEP_2)
	v_cmp_eq_u32_e32 vcc_lo, 0, v82
	v_cndmask_b32_e32 v82, v83, v77, vcc_lo
; %bb.64:
	s_or_b32 exec_lo, exec_lo, s3
	v_and_b32_e32 v77, 0x7f800000, v78
	s_delay_alu instid0(VALU_DEP_1) | instskip(SKIP_1) | instid1(SALU_CYCLE_1)
	v_cmp_ne_u32_e32 vcc_lo, 0x7f800000, v77
                                        ; implicit-def: $vgpr77
	s_and_saveexec_b32 s3, vcc_lo
	s_xor_b32 s3, exec_lo, s3
; %bb.65:
	v_bfe_u32 v77, v78, 16, 1
	s_delay_alu instid0(VALU_DEP_1)
	v_add3_u32 v77, v78, v77, 0x7fff
                                        ; implicit-def: $vgpr78
; %bb.66:
	s_and_not1_saveexec_b32 s3, s3
; %bb.67:
	v_and_b32_e32 v77, 0xffff, v78
	v_or_b32_e32 v83, 0x10000, v78
	s_delay_alu instid0(VALU_DEP_2) | instskip(NEXT) | instid1(VALU_DEP_2)
	v_cmp_eq_u32_e32 vcc_lo, 0, v77
	v_cndmask_b32_e32 v77, v83, v78, vcc_lo
; %bb.68:
	s_or_b32 exec_lo, exec_lo, s3
	v_and_b32_e32 v78, 0x7f800000, v79
	s_delay_alu instid0(VALU_DEP_1) | instskip(SKIP_1) | instid1(SALU_CYCLE_1)
	v_cmp_ne_u32_e32 vcc_lo, 0x7f800000, v78
                                        ; implicit-def: $vgpr78
	s_and_saveexec_b32 s3, vcc_lo
	s_xor_b32 s3, exec_lo, s3
; %bb.69:
	v_bfe_u32 v78, v79, 16, 1
	s_delay_alu instid0(VALU_DEP_1)
	v_add3_u32 v78, v79, v78, 0x7fff
                                        ; implicit-def: $vgpr79
; %bb.70:
	s_and_not1_saveexec_b32 s3, s3
; %bb.71:
	v_and_b32_e32 v78, 0xffff, v79
	v_or_b32_e32 v83, 0x10000, v79
	s_delay_alu instid0(VALU_DEP_2) | instskip(NEXT) | instid1(VALU_DEP_2)
	v_cmp_eq_u32_e32 vcc_lo, 0, v78
	v_cndmask_b32_e32 v78, v83, v79, vcc_lo
; %bb.72:
	s_or_b32 exec_lo, exec_lo, s3
	v_and_b32_e32 v79, 0x7f800000, v70
	s_delay_alu instid0(VALU_DEP_1) | instskip(SKIP_1) | instid1(SALU_CYCLE_1)
	v_cmp_ne_u32_e32 vcc_lo, 0x7f800000, v79
                                        ; implicit-def: $vgpr79
	s_and_saveexec_b32 s3, vcc_lo
	s_xor_b32 s3, exec_lo, s3
; %bb.73:
	v_bfe_u32 v79, v70, 16, 1
	s_delay_alu instid0(VALU_DEP_1)
	v_add3_u32 v79, v70, v79, 0x7fff
                                        ; implicit-def: $vgpr70
; %bb.74:
	s_and_not1_saveexec_b32 s3, s3
; %bb.75:
	v_and_b32_e32 v79, 0xffff, v70
	v_or_b32_e32 v83, 0x10000, v70
	s_delay_alu instid0(VALU_DEP_2) | instskip(NEXT) | instid1(VALU_DEP_2)
	v_cmp_eq_u32_e32 vcc_lo, 0, v79
	v_cndmask_b32_e32 v79, v83, v70, vcc_lo
; %bb.76:
	s_or_b32 exec_lo, exec_lo, s3
	s_delay_alu instid0(VALU_DEP_1)
	v_perm_b32 v86, v79, v78, 0x7060302
	v_perm_b32 v85, v77, v82, 0x7060302
	;; [unrolled: 1-line block ×4, first 2 shown]
	v_lshl_or_b32 v82, v66, 11, v80
	ds_store_b128 v76, v[83:86] offset:1024
	s_waitcnt lgkmcnt(0)
	s_barrier
	buffer_gl0_inv
	ds_load_b128 v[69:72], v82
	ds_load_b128 v[83:86], v82 offset:16
	s_waitcnt lgkmcnt(1)
	v_lshrrev_b32_e32 v66, 16, v69
	s_waitcnt lgkmcnt(0)
	v_lshrrev_b32_e32 v91, 16, v83
	v_lshlrev_b32_e32 v78, 2, v74
	v_lshrrev_b32_e32 v95, 16, v70
	v_lshrrev_b32_e32 v98, 16, v84
	;; [unrolled: 1-line block ×4, first 2 shown]
	v_cmp_eq_u32_e32 vcc_lo, 1, v78
	v_lshrrev_b32_e32 v97, 16, v72
	v_lshrrev_b32_e32 v100, 16, v86
	v_cndmask_b32_e32 v87, v83, v91, vcc_lo
	v_or_b32_e32 v79, 1, v78
	v_cndmask_b32_e32 v81, v69, v66, vcc_lo
	v_cmp_eq_u32_e64 s4, 2, v78
	v_cmp_eq_u32_e64 s7, 3, v78
	;; [unrolled: 1-line block ×5, first 2 shown]
	v_cndmask_b32_e64 v81, v81, v70, s4
	v_cndmask_b32_e64 v87, v87, v84, s4
	v_cmp_eq_u32_e64 s8, 3, v79
	v_cndmask_b32_e64 v88, v69, v66, s3
	v_or_b32_e32 v77, 2, v78
	v_cndmask_b32_e64 v81, v81, v95, s7
	v_cndmask_b32_e64 v87, v87, v98, s7
	;; [unrolled: 1-line block ×4, first 2 shown]
	v_cmp_eq_u32_e64 s10, 5, v78
	v_cndmask_b32_e64 v81, v81, v71, s9
	v_cndmask_b32_e64 v87, v87, v85, s9
	v_cmp_eq_u32_e64 s11, 4, v79
	v_cndmask_b32_e64 v88, v88, v95, s8
	v_cmp_eq_u32_e64 s5, 1, v77
	v_cndmask_b32_e64 v89, v89, v84, s6
	v_cndmask_b32_e64 v81, v81, v96, s10
	v_cmp_eq_u32_e64 s12, 6, v78
	v_cndmask_b32_e64 v88, v88, v71, s11
	;; [unrolled: 3-line block ×3, first 2 shown]
	v_cndmask_b32_e64 v89, v89, v98, s8
	v_cndmask_b32_e64 v81, v81, v72, s12
	v_cmp_eq_u32_e64 s15, 7, v78
	v_cndmask_b32_e64 v88, v88, v96, s13
	v_cndmask_b32_e64 v87, v87, v86, s12
	v_cmp_eq_u32_e64 s16, 6, v79
	v_cmp_eq_u32_e64 s17, 2, v77
	v_cndmask_b32_e64 v89, v89, v85, s11
	v_cndmask_b32_e64 v101, v81, v97, s15
	;; [unrolled: 1-line block ×6, first 2 shown]
	v_cmp_eq_u32_e64 s18, 7, v79
	v_cmp_eq_u32_e64 s19, 3, v77
	;; [unrolled: 1-line block ×4, first 2 shown]
	v_cndmask_b32_e64 v87, v87, v84, s17
	v_cndmask_b32_e64 v103, v88, v97, s18
	;; [unrolled: 1-line block ×4, first 2 shown]
	v_or_b32_e32 v81, 3, v78
	v_cndmask_b32_e64 v93, v87, v98, s19
	v_cmp_eq_u32_e64 s24, 6, v77
	v_cndmask_b32_e64 v104, v88, v86, s16
	v_cndmask_b32_e64 v92, v89, v71, s20
	v_cmp_eq_u32_e64 s21, 1, v81
	ds_load_b128 v[87:90], v82 offset:1024
	v_cmp_eq_u32_e64 s23, 2, v81
	v_cmp_eq_u32_e64 s25, 3, v81
	v_cndmask_b32_e64 v105, v92, v96, s22
	v_cndmask_b32_e64 v66, v69, v66, s21
	;; [unrolled: 1-line block ×4, first 2 shown]
	ds_load_b128 v[91:94], v82 offset:1040
	v_cmp_eq_u32_e64 s26, 4, v81
	v_cndmask_b32_e64 v66, v66, v70, s23
	v_cmp_eq_u32_e64 s27, 7, v77
	v_cndmask_b32_e64 v70, v83, v84, s23
	v_cndmask_b32_e64 v84, v105, v72, s24
	v_cmp_eq_u32_e64 s28, 5, v81
	v_cndmask_b32_e64 v66, v66, v95, s25
	v_cmp_eq_u32_e64 s29, 6, v81
	v_cndmask_b32_e64 v70, v70, v98, s25
	v_cndmask_b32_e64 v69, v69, v99, s22
	;; [unrolled: 1-line block ×4, first 2 shown]
	s_waitcnt lgkmcnt(1)
	v_lshrrev_b32_e32 v95, 16, v87
	v_cndmask_b32_e64 v70, v70, v85, s26
	v_cndmask_b32_e64 v71, v84, v97, s27
	;; [unrolled: 1-line block ×4, first 2 shown]
	v_cndmask_b32_e32 v84, v87, v95, vcc_lo
	v_cndmask_b32_e64 v70, v70, v99, s28
	s_waitcnt lgkmcnt(0)
	v_lshrrev_b32_e32 v85, 16, v91
	v_lshrrev_b32_e32 v96, 16, v88
	v_cndmask_b32_e64 v98, v87, v95, s3
	v_cndmask_b32_e64 v84, v84, v88, s4
	;; [unrolled: 1-line block ×3, first 2 shown]
	v_cndmask_b32_e32 v99, v91, v85, vcc_lo
	v_cmp_eq_u32_e32 vcc_lo, 7, v81
	v_cndmask_b32_e64 v66, v66, v72, s29
	v_cndmask_b32_e64 v72, v84, v96, s7
	;; [unrolled: 1-line block ×3, first 2 shown]
	v_lshrrev_b32_e32 v98, 16, v92
	v_cndmask_b32_e32 v70, v70, v100, vcc_lo
	v_cndmask_b32_e64 v86, v99, v92, s4
	v_cndmask_b32_e64 v69, v69, v100, s27
	v_lshrrev_b32_e32 v100, 16, v93
	v_cndmask_b32_e64 v72, v72, v89, s9
	v_lshrrev_b32_e32 v99, 16, v89
	v_cndmask_b32_e64 v86, v86, v98, s7
	v_perm_b32 v71, v69, v71, 0x5040100
	v_cndmask_b32_e64 v84, v84, v96, s8
	s_delay_alu instid0(VALU_DEP_3) | instskip(NEXT) | instid1(VALU_DEP_2)
	v_cndmask_b32_e64 v86, v86, v93, s9
	v_cndmask_b32_e64 v84, v84, v89, s11
	s_delay_alu instid0(VALU_DEP_2) | instskip(NEXT) | instid1(VALU_DEP_1)
	v_cndmask_b32_e64 v86, v86, v100, s10
	v_cndmask_b32_e64 v69, v86, v94, s12
	;; [unrolled: 1-line block ×5, first 2 shown]
	s_delay_alu instid0(VALU_DEP_3) | instskip(NEXT) | instid1(VALU_DEP_3)
	v_cndmask_b32_e64 v86, v86, v88, s17
	v_cndmask_b32_e64 v87, v87, v88, s23
	s_delay_alu instid0(VALU_DEP_3) | instskip(NEXT) | instid1(VALU_DEP_3)
	v_cndmask_b32_e64 v88, v95, v92, s23
	v_cndmask_b32_e64 v86, v86, v96, s19
	;; [unrolled: 3-line block ×7, first 2 shown]
	s_delay_alu instid0(VALU_DEP_3) | instskip(SKIP_2) | instid1(VALU_DEP_2)
	v_cndmask_b32_e64 v88, v88, v94, s29
	v_cndmask_b32_e32 v66, v66, v97, vcc_lo
	v_cndmask_b32_e64 v97, v72, v99, s10
	v_perm_b32 v72, v70, v66, 0x5040100
	v_perm_b32 v70, v83, v103, 0x5040100
	v_cndmask_b32_e64 v103, v91, v85, s5
	v_cndmask_b32_e64 v85, v91, v85, s3
	;; [unrolled: 1-line block ×4, first 2 shown]
	v_lshrrev_b32_e32 v97, 16, v90
	v_cndmask_b32_e64 v91, v103, v92, s17
	v_cndmask_b32_e64 v85, v85, v92, s6
	;; [unrolled: 1-line block ×3, first 2 shown]
	s_mov_b32 s3, exec_lo
	v_cndmask_b32_e64 v83, v84, v97, s15
	v_cndmask_b32_e64 v91, v91, v98, s19
	;; [unrolled: 1-line block ×3, first 2 shown]
	v_lshrrev_b32_e32 v84, 16, v94
	v_cndmask_b32_e64 v66, v66, v97, s18
	v_cndmask_b32_e64 v90, v86, v97, s27
	;; [unrolled: 1-line block ×4, first 2 shown]
	v_dual_cndmask_b32 v86, v87, v97 :: v_dual_cndmask_b32 v87, v88, v84
	v_cndmask_b32_e64 v91, v69, v84, s15
	s_delay_alu instid0(VALU_DEP_4) | instskip(NEXT) | instid1(VALU_DEP_4)
	v_cndmask_b32_e64 v89, v89, v100, s22
	v_cndmask_b32_e64 v85, v85, v100, s13
	v_perm_b32 v69, v102, v101, 0x5040100
	v_perm_b32 v86, v87, v86, 0x5040100
	;; [unrolled: 1-line block ×3, first 2 shown]
	v_cndmask_b32_e64 v89, v89, v94, s24
	v_cndmask_b32_e64 v85, v85, v94, s16
	s_mul_i32 s8, s35, 5
	s_delay_alu instid0(VALU_DEP_2) | instskip(NEXT) | instid1(VALU_DEP_2)
	v_cndmask_b32_e64 v88, v89, v84, s27
	v_cndmask_b32_e64 v89, v85, v84, s18
	s_delay_alu instid0(VALU_DEP_2) | instskip(NEXT) | instid1(VALU_DEP_2)
	v_perm_b32 v85, v88, v90, 0x5040100
	v_perm_b32 v84, v89, v66, 0x5040100
	ds_store_b128 v76, v[69:72]
	ds_store_b128 v76, v[83:86] offset:1024
	v_cmpx_gt_u32_e32 5, v0
	s_cbranch_execz .LBB1590_78
; %bb.77:
	s_mul_i32 s4, s8, s30
	s_delay_alu instid0(SALU_CYCLE_1) | instskip(SKIP_1) | instid1(VALU_DEP_1)
	v_add3_u32 v69, s4, s31, v65
	s_load_b128 s[4:7], s[0:1], 0x58
	v_mad_u64_u32 v[65:66], null, v69, s34, s[14:15]
	s_delay_alu instid0(VALU_DEP_1) | instskip(NEXT) | instid1(VALU_DEP_1)
	v_ashrrev_i32_e32 v66, 31, v65
	v_lshlrev_b64 v[65:66], 2, v[65:66]
	s_waitcnt lgkmcnt(0)
	s_delay_alu instid0(VALU_DEP_1) | instskip(NEXT) | instid1(VALU_DEP_2)
	v_add_co_u32 v69, vcc_lo, s6, v65
	v_add_co_ci_u32_e32 v70, vcc_lo, s7, v66, vcc_lo
	v_add_co_u32 v65, vcc_lo, s4, v65
	v_add_co_ci_u32_e32 v66, vcc_lo, s5, v66, vcc_lo
	global_store_b32 v[69:70], v67, off
	global_store_b32 v[65:66], v68, off
.LBB1590_78:
	s_or_b32 exec_lo, exec_lo, s3
	s_waitcnt lgkmcnt(0)
	s_waitcnt_vscnt null, 0x0
	s_barrier
	buffer_gl0_inv
	ds_load_b128 v[83:86], v80
	ds_load_b128 v[87:90], v80 offset:16
	ds_load_b128 v[95:98], v80 offset:2064
	;; [unrolled: 1-line block ×3, first 2 shown]
	v_mov_b32_e32 v65, 0
	ds_load_b128 v[103:106], v80 offset:4112
	ds_load_b128 v[99:102], v80 offset:4096
	;; [unrolled: 1-line block ×4, first 2 shown]
	v_mov_b32_e32 v66, v65
	v_mov_b32_e32 v67, v65
	;; [unrolled: 1-line block ×7, first 2 shown]
	s_waitcnt lgkmcnt(6)
	s_delay_alu instid0(VALU_DEP_1)
	v_wmma_f32_16x16x16_bf16 v[65:72], v[41:48], v[83:90], v[65:72]
	ds_load_b128 v[45:48], v80 offset:8208
	ds_load_b128 v[41:44], v80 offset:8192
	s_waitcnt lgkmcnt(6)
	v_wmma_f32_16x16x16_bf16 v[65:72], v[33:40], v[91:98], v[65:72]
	ds_load_b128 v[37:40], v80 offset:10256
	ds_load_b128 v[33:36], v80 offset:10240
	s_waitcnt lgkmcnt(6)
	;; [unrolled: 4-line block ×4, first 2 shown]
	v_wmma_f32_16x16x16_bf16 v[65:72], v[1:8], v[41:48], v[65:72]
	s_waitcnt lgkmcnt(4)
	s_delay_alu instid0(VALU_DEP_1) | instskip(SKIP_1) | instid1(VALU_DEP_1)
	v_wmma_f32_16x16x16_bf16 v[65:72], v[9:16], v[33:40], v[65:72]
	s_waitcnt lgkmcnt(2)
	v_wmma_f32_16x16x16_bf16 v[65:72], v[57:64], v[25:32], v[65:72]
	s_waitcnt lgkmcnt(0)
	s_delay_alu instid0(VALU_DEP_1) | instskip(NEXT) | instid1(VALU_DEP_1)
	v_wmma_f32_16x16x16_bf16 v[65:72], v[49:56], v[17:24], v[65:72]
	v_and_b32_e32 v1, 0x7f800000, v65
	s_delay_alu instid0(VALU_DEP_1) | instskip(SKIP_1) | instid1(SALU_CYCLE_1)
	v_cmp_ne_u32_e32 vcc_lo, 0x7f800000, v1
                                        ; implicit-def: $vgpr1
	s_and_saveexec_b32 s3, vcc_lo
	s_xor_b32 s3, exec_lo, s3
; %bb.79:
	v_bfe_u32 v1, v65, 16, 1
	s_delay_alu instid0(VALU_DEP_1)
	v_add3_u32 v1, v65, v1, 0x7fff
; %bb.80:
	s_and_not1_saveexec_b32 s3, s3
; %bb.81:
	v_and_b32_e32 v1, 0xffff, v65
	v_or_b32_e32 v2, 0x10000, v65
	s_delay_alu instid0(VALU_DEP_2) | instskip(NEXT) | instid1(VALU_DEP_2)
	v_cmp_eq_u32_e32 vcc_lo, 0, v1
	v_cndmask_b32_e32 v1, v2, v65, vcc_lo
; %bb.82:
	s_or_b32 exec_lo, exec_lo, s3
	v_and_b32_e32 v2, 0x7f800000, v66
	s_delay_alu instid0(VALU_DEP_1) | instskip(SKIP_1) | instid1(SALU_CYCLE_1)
	v_cmp_ne_u32_e32 vcc_lo, 0x7f800000, v2
                                        ; implicit-def: $vgpr2
	s_and_saveexec_b32 s3, vcc_lo
	s_xor_b32 s3, exec_lo, s3
; %bb.83:
	v_bfe_u32 v2, v66, 16, 1
	s_delay_alu instid0(VALU_DEP_1)
	v_add3_u32 v2, v66, v2, 0x7fff
; %bb.84:
	s_and_not1_saveexec_b32 s3, s3
; %bb.85:
	v_and_b32_e32 v2, 0xffff, v66
	v_or_b32_e32 v3, 0x10000, v66
	s_delay_alu instid0(VALU_DEP_2) | instskip(NEXT) | instid1(VALU_DEP_2)
	v_cmp_eq_u32_e32 vcc_lo, 0, v2
	v_cndmask_b32_e32 v2, v3, v66, vcc_lo
; %bb.86:
	s_or_b32 exec_lo, exec_lo, s3
	v_and_b32_e32 v3, 0x7f800000, v67
	s_delay_alu instid0(VALU_DEP_1) | instskip(SKIP_1) | instid1(SALU_CYCLE_1)
	v_cmp_ne_u32_e32 vcc_lo, 0x7f800000, v3
                                        ; implicit-def: $vgpr3
	s_and_saveexec_b32 s3, vcc_lo
	s_xor_b32 s3, exec_lo, s3
; %bb.87:
	v_bfe_u32 v3, v67, 16, 1
	s_delay_alu instid0(VALU_DEP_1)
	v_add3_u32 v3, v67, v3, 0x7fff
; %bb.88:
	s_and_not1_saveexec_b32 s3, s3
; %bb.89:
	v_and_b32_e32 v3, 0xffff, v67
	v_or_b32_e32 v4, 0x10000, v67
	s_delay_alu instid0(VALU_DEP_2) | instskip(NEXT) | instid1(VALU_DEP_2)
	v_cmp_eq_u32_e32 vcc_lo, 0, v3
	v_cndmask_b32_e32 v3, v4, v67, vcc_lo
; %bb.90:
	s_or_b32 exec_lo, exec_lo, s3
	v_and_b32_e32 v4, 0x7f800000, v68
	s_delay_alu instid0(VALU_DEP_1) | instskip(SKIP_1) | instid1(SALU_CYCLE_1)
	v_cmp_ne_u32_e32 vcc_lo, 0x7f800000, v4
                                        ; implicit-def: $vgpr4
	s_and_saveexec_b32 s3, vcc_lo
	s_xor_b32 s3, exec_lo, s3
; %bb.91:
	v_bfe_u32 v4, v68, 16, 1
	s_delay_alu instid0(VALU_DEP_1)
	v_add3_u32 v4, v68, v4, 0x7fff
; %bb.92:
	s_and_not1_saveexec_b32 s3, s3
; %bb.93:
	v_and_b32_e32 v4, 0xffff, v68
	v_or_b32_e32 v5, 0x10000, v68
	s_delay_alu instid0(VALU_DEP_2) | instskip(NEXT) | instid1(VALU_DEP_2)
	v_cmp_eq_u32_e32 vcc_lo, 0, v4
	v_cndmask_b32_e32 v4, v5, v68, vcc_lo
; %bb.94:
	s_or_b32 exec_lo, exec_lo, s3
	v_and_b32_e32 v5, 0x7f800000, v69
	s_delay_alu instid0(VALU_DEP_1) | instskip(SKIP_1) | instid1(SALU_CYCLE_1)
	v_cmp_ne_u32_e32 vcc_lo, 0x7f800000, v5
                                        ; implicit-def: $vgpr5
	s_and_saveexec_b32 s3, vcc_lo
	s_xor_b32 s3, exec_lo, s3
; %bb.95:
	v_bfe_u32 v5, v69, 16, 1
	s_delay_alu instid0(VALU_DEP_1)
	v_add3_u32 v5, v69, v5, 0x7fff
; %bb.96:
	s_and_not1_saveexec_b32 s3, s3
; %bb.97:
	v_and_b32_e32 v5, 0xffff, v69
	v_or_b32_e32 v6, 0x10000, v69
	s_delay_alu instid0(VALU_DEP_2) | instskip(NEXT) | instid1(VALU_DEP_2)
	v_cmp_eq_u32_e32 vcc_lo, 0, v5
	v_cndmask_b32_e32 v5, v6, v69, vcc_lo
; %bb.98:
	s_or_b32 exec_lo, exec_lo, s3
	v_and_b32_e32 v6, 0x7f800000, v70
	s_delay_alu instid0(VALU_DEP_1) | instskip(SKIP_1) | instid1(SALU_CYCLE_1)
	v_cmp_ne_u32_e32 vcc_lo, 0x7f800000, v6
                                        ; implicit-def: $vgpr6
	s_and_saveexec_b32 s3, vcc_lo
	s_xor_b32 s3, exec_lo, s3
; %bb.99:
	v_bfe_u32 v6, v70, 16, 1
	s_delay_alu instid0(VALU_DEP_1)
	v_add3_u32 v6, v70, v6, 0x7fff
; %bb.100:
	s_and_not1_saveexec_b32 s3, s3
; %bb.101:
	v_and_b32_e32 v6, 0xffff, v70
	v_or_b32_e32 v7, 0x10000, v70
	s_delay_alu instid0(VALU_DEP_2) | instskip(NEXT) | instid1(VALU_DEP_2)
	v_cmp_eq_u32_e32 vcc_lo, 0, v6
	v_cndmask_b32_e32 v6, v7, v70, vcc_lo
; %bb.102:
	s_or_b32 exec_lo, exec_lo, s3
	v_and_b32_e32 v7, 0x7f800000, v71
	s_delay_alu instid0(VALU_DEP_1) | instskip(SKIP_1) | instid1(SALU_CYCLE_1)
	v_cmp_ne_u32_e32 vcc_lo, 0x7f800000, v7
                                        ; implicit-def: $vgpr7
	s_and_saveexec_b32 s3, vcc_lo
	s_xor_b32 s3, exec_lo, s3
; %bb.103:
	v_bfe_u32 v7, v71, 16, 1
	s_delay_alu instid0(VALU_DEP_1)
	v_add3_u32 v7, v71, v7, 0x7fff
; %bb.104:
	s_and_not1_saveexec_b32 s3, s3
; %bb.105:
	v_and_b32_e32 v7, 0xffff, v71
	v_or_b32_e32 v8, 0x10000, v71
	s_delay_alu instid0(VALU_DEP_2) | instskip(NEXT) | instid1(VALU_DEP_2)
	v_cmp_eq_u32_e32 vcc_lo, 0, v7
	v_cndmask_b32_e32 v7, v8, v71, vcc_lo
; %bb.106:
	s_or_b32 exec_lo, exec_lo, s3
	v_and_b32_e32 v8, 0x7f800000, v72
	s_delay_alu instid0(VALU_DEP_1) | instskip(SKIP_1) | instid1(SALU_CYCLE_1)
	v_cmp_ne_u32_e32 vcc_lo, 0x7f800000, v8
                                        ; implicit-def: $vgpr8
	s_and_saveexec_b32 s3, vcc_lo
	s_xor_b32 s3, exec_lo, s3
; %bb.107:
	v_bfe_u32 v8, v72, 16, 1
	s_delay_alu instid0(VALU_DEP_1)
	v_add3_u32 v8, v72, v8, 0x7fff
                                        ; implicit-def: $vgpr65_vgpr66_vgpr67_vgpr68_vgpr69_vgpr70_vgpr71_vgpr72
; %bb.108:
	s_and_not1_saveexec_b32 s3, s3
; %bb.109:
	v_and_b32_e32 v8, 0xffff, v72
	v_or_b32_e32 v9, 0x10000, v72
	s_delay_alu instid0(VALU_DEP_2) | instskip(NEXT) | instid1(VALU_DEP_2)
	v_cmp_eq_u32_e32 vcc_lo, 0, v8
	v_cndmask_b32_e32 v8, v9, v72, vcc_lo
; %bb.110:
	s_or_b32 exec_lo, exec_lo, s3
	s_delay_alu instid0(VALU_DEP_1)
	v_perm_b32 v7, v8, v7, 0x7060302
	v_perm_b32 v6, v6, v5, 0x7060302
	;; [unrolled: 1-line block ×4, first 2 shown]
	s_barrier
	buffer_gl0_inv
	v_cmp_eq_u32_e32 vcc_lo, 1, v78
	ds_store_b128 v76, v[4:7]
	s_waitcnt lgkmcnt(0)
	s_barrier
	buffer_gl0_inv
	ds_load_b128 v[1:4], v82
	ds_load_b128 v[5:8], v82 offset:16
	v_cmp_eq_u32_e64 s3, 1, v79
	v_cmp_eq_u32_e64 s4, 2, v78
	;; [unrolled: 1-line block ×5, first 2 shown]
	s_waitcnt lgkmcnt(1)
	v_lshrrev_b32_e32 v9, 16, v1
	s_waitcnt lgkmcnt(0)
	v_lshrrev_b32_e32 v13, 16, v5
	v_lshrrev_b32_e32 v10, 16, v2
	v_lshrrev_b32_e32 v14, 16, v6
	v_lshrrev_b32_e32 v11, 16, v3
	v_cndmask_b32_e64 v19, v1, v9, s3
	v_cndmask_b32_e32 v18, v5, v13, vcc_lo
	v_cndmask_b32_e64 v20, v5, v13, s3
	v_cndmask_b32_e32 v17, v1, v9, vcc_lo
	v_cmp_eq_u32_e32 vcc_lo, 2, v79
	v_lshrrev_b32_e32 v15, 16, v7
	v_cmp_eq_u32_e64 s3, 1, v77
	v_lshrrev_b32_e32 v12, 16, v4
	v_lshrrev_b32_e32 v16, 16, v8
	v_cndmask_b32_e32 v20, v20, v6, vcc_lo
	v_cndmask_b32_e64 v17, v17, v2, s4
	v_cndmask_b32_e32 v19, v19, v2, vcc_lo
	v_cndmask_b32_e64 v18, v18, v6, s4
	v_cmp_eq_u32_e32 vcc_lo, 4, v78
	v_cmp_eq_u32_e64 s4, 3, v79
	v_cndmask_b32_e64 v17, v17, v10, s5
	v_cndmask_b32_e64 v21, v1, v9, s3
	;; [unrolled: 1-line block ×5, first 2 shown]
	v_cndmask_b32_e32 v17, v17, v3, vcc_lo
	v_cndmask_b32_e64 v20, v20, v14, s4
	v_cndmask_b32_e32 v18, v18, v7, vcc_lo
	v_cmp_eq_u32_e32 vcc_lo, 4, v79
	v_cmp_eq_u32_e64 s4, 5, v79
	v_cmp_eq_u32_e64 s3, 2, v81
	v_cndmask_b32_e64 v21, v21, v2, s7
	v_cmp_eq_u32_e64 s5, 5, v78
	v_cndmask_b32_e32 v19, v19, v3, vcc_lo
	v_cndmask_b32_e32 v20, v20, v7, vcc_lo
	v_cmp_eq_u32_e32 vcc_lo, 6, v79
	s_delay_alu instid0(VALU_DEP_4) | instskip(NEXT) | instid1(VALU_DEP_4)
	v_cndmask_b32_e64 v17, v17, v11, s5
	v_cndmask_b32_e64 v19, v19, v11, s4
	s_delay_alu instid0(VALU_DEP_4) | instskip(SKIP_1) | instid1(VALU_DEP_3)
	v_cndmask_b32_e64 v20, v20, v15, s4
	v_cmp_eq_u32_e64 s4, 1, v81
	v_cndmask_b32_e32 v19, v19, v4, vcc_lo
	v_cndmask_b32_e64 v18, v18, v15, s5
	s_delay_alu instid0(VALU_DEP_3)
	v_cndmask_b32_e64 v1, v1, v9, s4
	v_cndmask_b32_e64 v5, v5, v13, s4
	v_cmp_eq_u32_e64 s4, 3, v77
	v_cndmask_b32_e64 v13, v22, v6, s7
	v_cmp_eq_u32_e64 s7, 3, v81
	v_cndmask_b32_e64 v1, v1, v2, s3
	v_cndmask_b32_e64 v2, v5, v6, s3
	v_cndmask_b32_e64 v9, v21, v10, s4
	v_cmp_eq_u32_e64 s3, 4, v77
	v_cndmask_b32_e64 v6, v13, v14, s4
	v_cndmask_b32_e64 v1, v1, v10, s7
	v_cmp_eq_u32_e64 s4, 4, v81
	v_cndmask_b32_e64 v2, v2, v14, s7
	v_cndmask_b32_e64 v5, v9, v3, s3
	;; [unrolled: 3-line block ×3, first 2 shown]
	v_cndmask_b32_e64 v2, v2, v7, s4
	v_cmp_eq_u32_e64 s3, 5, v81
	v_cmp_eq_u32_e64 s5, 6, v78
	v_cndmask_b32_e64 v5, v5, v11, s7
	v_cmp_eq_u32_e64 s4, 6, v77
	v_cndmask_b32_e64 v3, v6, v15, s7
	v_cndmask_b32_e64 v1, v1, v11, s3
	v_cmp_eq_u32_e64 s7, 6, v81
	v_cndmask_b32_e64 v2, v2, v15, s3
	v_cndmask_b32_e64 v17, v17, v4, s5
	v_cndmask_b32_e64 v18, v18, v8, s5
	v_cmp_eq_u32_e64 s5, 7, v78
	v_cndmask_b32_e64 v5, v5, v4, s4
	;; [unrolled: 4-line block ×3, first 2 shown]
	v_cmp_eq_u32_e64 s4, 7, v77
	v_cndmask_b32_e32 v4, v20, v8, vcc_lo
	v_cndmask_b32_e64 v17, v17, v12, s5
	v_cndmask_b32_e64 v19, v19, v12, s6
	v_cndmask_b32_e64 v1, v1, v12, s3
	v_cndmask_b32_e64 v5, v5, v12, s4
	v_cndmask_b32_e64 v2, v2, v16, s3
	v_cndmask_b32_e64 v3, v3, v16, s4
	v_cndmask_b32_e64 v6, v4, v16, s6
	v_cndmask_b32_e64 v7, v18, v16, s5
	s_mov_b32 s3, exec_lo
	v_perm_b32 v4, v2, v1, 0x5040100
	v_perm_b32 v3, v3, v5, 0x5040100
	;; [unrolled: 1-line block ×4, first 2 shown]
	ds_store_b128 v76, v[1:4]
	s_waitcnt lgkmcnt(0)
	s_barrier
	buffer_gl0_inv
	v_cmpx_gt_u32_e32 32, v0
	s_cbranch_execz .LBB1590_2
; %bb.111:
	s_load_b64 s[4:5], s[0:1], 0x68
	v_lshlrev_b32_e32 v0, 10, v0
	v_add_nc_u32_e32 v2, s31, v74
	v_lshlrev_b32_e32 v3, 4, v75
	s_lshl_b32 s0, s34, 7
	s_delay_alu instid0(SALU_CYCLE_1) | instskip(NEXT) | instid1(VALU_DEP_2)
	s_mul_i32 s1, s0, s30
	v_mul_lo_u32 v1, v2, s0
	s_delay_alu instid0(VALU_DEP_2) | instskip(SKIP_2) | instid1(SALU_CYCLE_1)
	v_and_or_b32 v0, 0x3800, v0, v3
	v_add_nc_u32_e32 v2, 2, v2
	s_mul_i32 s6, s1, s8
	s_ashr_i32 s7, s6, 31
	s_delay_alu instid0(VALU_DEP_2)
	v_lshl_or_b32 v7, v74, 6, v0
	s_lshl_b64 s[6:7], s[6:7], 1
	v_mul_lo_u32 v11, v2, s0
	v_ashrrev_i32_e32 v2, 31, v1
	ds_load_b128 v[3:6], v7
	ds_load_b128 v[7:10], v7 offset:128
	s_waitcnt lgkmcnt(0)
	s_add_u32 s1, s4, s6
	s_addc_u32 s3, s5, s7
	s_lshl_b32 s4, s14, 7
	v_ashrrev_i32_e32 v12, 31, v11
	s_ashr_i32 s5, s4, 31
	v_lshlrev_b64 v[13:14], 1, v[1:2]
	s_lshl_b64 s[4:5], s[4:5], 1
	s_delay_alu instid0(SALU_CYCLE_1) | instskip(SKIP_2) | instid1(VALU_DEP_1)
	s_add_u32 s1, s1, s4
	s_addc_u32 s3, s3, s5
	v_add_co_u32 v1, s1, s1, v73
	v_add_co_ci_u32_e64 v2, null, s3, 0, s1
	v_lshlrev_b64 v[11:12], 1, v[11:12]
	s_delay_alu instid0(VALU_DEP_3) | instskip(NEXT) | instid1(VALU_DEP_3)
	v_add_co_u32 v13, vcc_lo, v1, v13
	v_add_co_ci_u32_e32 v14, vcc_lo, v2, v14, vcc_lo
	s_delay_alu instid0(VALU_DEP_3) | instskip(NEXT) | instid1(VALU_DEP_4)
	v_add_co_u32 v11, vcc_lo, v1, v11
	v_add_co_ci_u32_e32 v12, vcc_lo, v2, v12, vcc_lo
	s_clause 0x1
	global_store_b128 v[13:14], v[3:6], off
	global_store_b128 v[11:12], v[7:10], off
	s_and_b32 exec_lo, exec_lo, s2
	s_cbranch_execz .LBB1590_2
; %bb.112:
	ds_load_b128 v[3:6], v0 offset:256
	s_add_i32 s1, s31, 4
	s_delay_alu instid0(SALU_CYCLE_1) | instskip(NEXT) | instid1(SALU_CYCLE_1)
	s_mul_i32 s0, s1, s0
	s_ashr_i32 s1, s0, 31
	s_delay_alu instid0(SALU_CYCLE_1) | instskip(NEXT) | instid1(SALU_CYCLE_1)
	s_lshl_b64 s[0:1], s[0:1], 1
	v_add_co_u32 v0, vcc_lo, v1, s0
	v_add_co_ci_u32_e32 v1, vcc_lo, s1, v2, vcc_lo
	s_waitcnt lgkmcnt(0)
	global_store_b128 v[0:1], v[3:6], off
	s_nop 0
	s_sendmsg sendmsg(MSG_DEALLOC_VGPRS)
	s_endpgm
	.section	.rodata,"a",@progbits
	.p2align	6, 0x0
	.amdhsa_kernel _Z39paged_attention_ll4mi_QKV_mfma16_kernelI14__hip_bfloat16hLN4vllm18Fp8KVCacheDataTypeE1EhLi32ELi128ELi256ELb1ELi5EL8MFMAType1EEvPKT_PKT0_S9_ifPKiSB_SB_iPKfiiiPfSE_PS4_PT2_iSD_SD_
		.amdhsa_group_segment_fixed_size 17472
		.amdhsa_private_segment_fixed_size 0
		.amdhsa_kernarg_size 400
		.amdhsa_user_sgpr_count 13
		.amdhsa_user_sgpr_dispatch_ptr 0
		.amdhsa_user_sgpr_queue_ptr 0
		.amdhsa_user_sgpr_kernarg_segment_ptr 1
		.amdhsa_user_sgpr_dispatch_id 0
		.amdhsa_user_sgpr_private_segment_size 0
		.amdhsa_wavefront_size32 1
		.amdhsa_uses_dynamic_stack 0
		.amdhsa_enable_private_segment 0
		.amdhsa_system_sgpr_workgroup_id_x 1
		.amdhsa_system_sgpr_workgroup_id_y 1
		.amdhsa_system_sgpr_workgroup_id_z 1
		.amdhsa_system_sgpr_workgroup_info 0
		.amdhsa_system_vgpr_workitem_id 0
		.amdhsa_next_free_vgpr 140
		.amdhsa_next_free_sgpr 36
		.amdhsa_reserve_vcc 1
		.amdhsa_float_round_mode_32 0
		.amdhsa_float_round_mode_16_64 0
		.amdhsa_float_denorm_mode_32 3
		.amdhsa_float_denorm_mode_16_64 3
		.amdhsa_dx10_clamp 1
		.amdhsa_ieee_mode 1
		.amdhsa_fp16_overflow 0
		.amdhsa_workgroup_processor_mode 1
		.amdhsa_memory_ordered 1
		.amdhsa_forward_progress 0
		.amdhsa_shared_vgpr_count 0
		.amdhsa_exception_fp_ieee_invalid_op 0
		.amdhsa_exception_fp_denorm_src 0
		.amdhsa_exception_fp_ieee_div_zero 0
		.amdhsa_exception_fp_ieee_overflow 0
		.amdhsa_exception_fp_ieee_underflow 0
		.amdhsa_exception_fp_ieee_inexact 0
		.amdhsa_exception_int_div_zero 0
	.end_amdhsa_kernel
	.section	.text._Z39paged_attention_ll4mi_QKV_mfma16_kernelI14__hip_bfloat16hLN4vllm18Fp8KVCacheDataTypeE1EhLi32ELi128ELi256ELb1ELi5EL8MFMAType1EEvPKT_PKT0_S9_ifPKiSB_SB_iPKfiiiPfSE_PS4_PT2_iSD_SD_,"axG",@progbits,_Z39paged_attention_ll4mi_QKV_mfma16_kernelI14__hip_bfloat16hLN4vllm18Fp8KVCacheDataTypeE1EhLi32ELi128ELi256ELb1ELi5EL8MFMAType1EEvPKT_PKT0_S9_ifPKiSB_SB_iPKfiiiPfSE_PS4_PT2_iSD_SD_,comdat
.Lfunc_end1590:
	.size	_Z39paged_attention_ll4mi_QKV_mfma16_kernelI14__hip_bfloat16hLN4vllm18Fp8KVCacheDataTypeE1EhLi32ELi128ELi256ELb1ELi5EL8MFMAType1EEvPKT_PKT0_S9_ifPKiSB_SB_iPKfiiiPfSE_PS4_PT2_iSD_SD_, .Lfunc_end1590-_Z39paged_attention_ll4mi_QKV_mfma16_kernelI14__hip_bfloat16hLN4vllm18Fp8KVCacheDataTypeE1EhLi32ELi128ELi256ELb1ELi5EL8MFMAType1EEvPKT_PKT0_S9_ifPKiSB_SB_iPKfiiiPfSE_PS4_PT2_iSD_SD_
                                        ; -- End function
	.section	.AMDGPU.csdata,"",@progbits
; Kernel info:
; codeLenInByte = 8916
; NumSgprs: 38
; NumVgprs: 140
; ScratchSize: 0
; MemoryBound: 0
; FloatMode: 240
; IeeeMode: 1
; LDSByteSize: 17472 bytes/workgroup (compile time only)
; SGPRBlocks: 4
; VGPRBlocks: 17
; NumSGPRsForWavesPerEU: 38
; NumVGPRsForWavesPerEU: 140
; Occupancy: 10
; WaveLimiterHint : 1
; COMPUTE_PGM_RSRC2:SCRATCH_EN: 0
; COMPUTE_PGM_RSRC2:USER_SGPR: 13
; COMPUTE_PGM_RSRC2:TRAP_HANDLER: 0
; COMPUTE_PGM_RSRC2:TGID_X_EN: 1
; COMPUTE_PGM_RSRC2:TGID_Y_EN: 1
; COMPUTE_PGM_RSRC2:TGID_Z_EN: 1
; COMPUTE_PGM_RSRC2:TIDIG_COMP_CNT: 0
	.section	.text._Z39paged_attention_ll4mi_QKV_mfma16_kernelI14__hip_bfloat16hLN4vllm18Fp8KVCacheDataTypeE1EhLi32ELi128ELi256ELb1ELi6EL8MFMAType1EEvPKT_PKT0_S9_ifPKiSB_SB_iPKfiiiPfSE_PS4_PT2_iSD_SD_,"axG",@progbits,_Z39paged_attention_ll4mi_QKV_mfma16_kernelI14__hip_bfloat16hLN4vllm18Fp8KVCacheDataTypeE1EhLi32ELi128ELi256ELb1ELi6EL8MFMAType1EEvPKT_PKT0_S9_ifPKiSB_SB_iPKfiiiPfSE_PS4_PT2_iSD_SD_,comdat
	.protected	_Z39paged_attention_ll4mi_QKV_mfma16_kernelI14__hip_bfloat16hLN4vllm18Fp8KVCacheDataTypeE1EhLi32ELi128ELi256ELb1ELi6EL8MFMAType1EEvPKT_PKT0_S9_ifPKiSB_SB_iPKfiiiPfSE_PS4_PT2_iSD_SD_ ; -- Begin function _Z39paged_attention_ll4mi_QKV_mfma16_kernelI14__hip_bfloat16hLN4vllm18Fp8KVCacheDataTypeE1EhLi32ELi128ELi256ELb1ELi6EL8MFMAType1EEvPKT_PKT0_S9_ifPKiSB_SB_iPKfiiiPfSE_PS4_PT2_iSD_SD_
	.globl	_Z39paged_attention_ll4mi_QKV_mfma16_kernelI14__hip_bfloat16hLN4vllm18Fp8KVCacheDataTypeE1EhLi32ELi128ELi256ELb1ELi6EL8MFMAType1EEvPKT_PKT0_S9_ifPKiSB_SB_iPKfiiiPfSE_PS4_PT2_iSD_SD_
	.p2align	8
	.type	_Z39paged_attention_ll4mi_QKV_mfma16_kernelI14__hip_bfloat16hLN4vllm18Fp8KVCacheDataTypeE1EhLi32ELi128ELi256ELb1ELi6EL8MFMAType1EEvPKT_PKT0_S9_ifPKiSB_SB_iPKfiiiPfSE_PS4_PT2_iSD_SD_,@function
_Z39paged_attention_ll4mi_QKV_mfma16_kernelI14__hip_bfloat16hLN4vllm18Fp8KVCacheDataTypeE1EhLi32ELi128ELi256ELb1ELi6EL8MFMAType1EEvPKT_PKT0_S9_ifPKiSB_SB_iPKfiiiPfSE_PS4_PT2_iSD_SD_: ; @_Z39paged_attention_ll4mi_QKV_mfma16_kernelI14__hip_bfloat16hLN4vllm18Fp8KVCacheDataTypeE1EhLi32ELi128ELi256ELb1ELi6EL8MFMAType1EEvPKT_PKT0_S9_ifPKiSB_SB_iPKfiiiPfSE_PS4_PT2_iSD_SD_
; %bb.0:
	s_load_b64 s[4:5], s[0:1], 0x30
	s_mov_b32 s30, s13
	s_waitcnt lgkmcnt(0)
	s_cmp_lg_u64 s[4:5], 0
	s_cselect_b32 s13, -1, 0
	s_ashr_i32 s31, s30, 31
	s_cmp_eq_u64 s[4:5], 0
	s_cbranch_scc1 .LBB1591_3
; %bb.1:
	s_lshl_b64 s[2:3], s[30:31], 2
	s_delay_alu instid0(SALU_CYCLE_1) | instskip(SKIP_4) | instid1(SALU_CYCLE_1)
	s_add_u32 s2, s4, s2
	s_addc_u32 s3, s5, s3
	s_load_b64 s[2:3], s[2:3], 0x0
	s_waitcnt lgkmcnt(0)
	s_sub_i32 s2, s3, s2
	s_cmp_eq_u32 s2, 1
	s_cselect_b32 s2, -1, 0
	s_delay_alu instid0(SALU_CYCLE_1)
	s_and_not1_b32 vcc_lo, exec_lo, s2
	s_cbranch_vccz .LBB1591_4
.LBB1591_2:
	s_endpgm
.LBB1591_3:
.LBB1591_4:
	s_load_b64 s[2:3], s[0:1], 0x28
	s_lshl_b64 s[6:7], s[30:31], 2
	s_waitcnt lgkmcnt(0)
	s_add_u32 s2, s2, s6
	s_addc_u32 s3, s3, s7
	s_lshl_b32 s12, s14, 8
	s_load_b32 s17, s[2:3], 0x0
	s_waitcnt lgkmcnt(0)
	s_cmp_ge_i32 s12, s17
	s_cbranch_scc1 .LBB1591_2
; %bb.5:
	s_clause 0x1
	s_load_b128 s[8:11], s[0:1], 0x8
	s_load_b64 s[2:3], s[0:1], 0x20
	s_and_not1_b32 vcc_lo, exec_lo, s13
	s_cbranch_vccnz .LBB1591_7
; %bb.6:
	s_add_u32 s4, s4, s6
	s_addc_u32 s5, s5, s7
	s_load_b32 s13, s[4:5], 0x0
	s_branch .LBB1591_8
.LBB1591_7:
	s_mov_b32 s13, s30
.LBB1591_8:
	s_load_b128 s[4:7], s[0:1], 0x48
	v_and_b32_e32 v65, 15, v0
	v_lshrrev_b32_e32 v66, 5, v0
	v_and_b32_e32 v67, 31, v0
	v_and_b32_e32 v75, 1, v0
	v_bfe_u32 v74, v0, 4, 1
	v_lshlrev_b32_e32 v1, 3, v65
	s_mul_i32 s29, s15, 6
	s_waitcnt lgkmcnt(0)
	s_mov_b32 s7, exec_lo
	s_delay_alu instid0(VALU_DEP_1)
	v_lshlrev_b32_e32 v73, 1, v1
	v_cmpx_gt_u32_e32 0x60, v0
	s_cbranch_execz .LBB1591_10
; %bb.9:
	s_load_b64 s[18:19], s[0:1], 0x0
	v_lshl_or_b32 v5, v66, 1, v74
	s_mul_hi_i32 s21, s13, s4
	s_mul_i32 s20, s13, s4
	v_lshlrev_b32_e32 v6, 10, v65
	s_lshl_b64 s[20:21], s[20:21], 1
	v_add_lshl_u32 v1, v5, s29, 7
	v_lshlrev_b32_e32 v5, 6, v5
	v_lshlrev_b32_e32 v7, 10, v75
	v_and_b32_e32 v6, 0x3800, v6
	s_delay_alu instid0(VALU_DEP_4) | instskip(NEXT) | instid1(VALU_DEP_2)
	v_ashrrev_i32_e32 v2, 31, v1
	v_or3_b32 v5, v6, v7, v5
	s_delay_alu instid0(VALU_DEP_2) | instskip(SKIP_3) | instid1(VALU_DEP_1)
	v_lshlrev_b64 v[1:2], 1, v[1:2]
	s_waitcnt lgkmcnt(0)
	s_add_u32 s4, s18, s20
	s_addc_u32 s13, s19, s21
	v_add_co_u32 v1, vcc_lo, s4, v1
	s_delay_alu instid0(VALU_DEP_2) | instskip(NEXT) | instid1(VALU_DEP_2)
	v_add_co_ci_u32_e32 v2, vcc_lo, s13, v2, vcc_lo
	v_add_co_u32 v1, vcc_lo, v1, v73
	s_delay_alu instid0(VALU_DEP_2)
	v_add_co_ci_u32_e32 v2, vcc_lo, 0, v2, vcc_lo
	global_load_b128 v[1:4], v[1:2], off
	s_waitcnt vmcnt(0)
	ds_store_b128 v5, v[1:4]
.LBB1591_10:
	s_or_b32 exec_lo, exec_lo, s7
	v_and_b32_e32 v1, 0xef, v0
	s_add_i32 s4, s17, 31
	s_clause 0x1
	s_load_b32 s7, s[0:1], 0x38
	s_load_b32 s18, s[0:1], 0x1c
	s_ashr_i32 s13, s4, 31
	v_add_nc_u32_e32 v2, s12, v1
	s_lshr_b32 s13, s13, 27
	s_waitcnt lgkmcnt(0)
	s_add_i32 s4, s4, s13
	s_barrier
	v_ashrrev_i32_e32 v1, 31, v2
	s_ashr_i32 s4, s4, 5
	v_cmp_gt_i32_e32 vcc_lo, s17, v2
	s_add_i32 s4, s4, -1
	buffer_gl0_inv
	v_lshrrev_b32_e32 v3, 27, v1
	v_or_b32_e32 v1, 16, v2
	s_mul_i32 s15, s15, s6
	s_delay_alu instid0(VALU_DEP_2) | instskip(SKIP_1) | instid1(SALU_CYCLE_1)
	v_add_nc_u32_e32 v4, v2, v3
	s_mul_i32 s20, s30, s7
	s_ashr_i32 s21, s20, 31
	s_delay_alu instid0(VALU_DEP_1) | instskip(SKIP_2) | instid1(SALU_CYCLE_1)
	v_ashrrev_i32_e32 v4, 5, v4
	v_add_nc_u32_e32 v3, v1, v3
	s_lshl_b64 s[20:21], s[20:21], 2
	s_add_u32 s7, s2, s20
	s_delay_alu instid0(VALU_DEP_2) | instskip(NEXT) | instid1(VALU_DEP_2)
	v_cndmask_b32_e32 v2, s4, v4, vcc_lo
	v_ashrrev_i32_e32 v3, 5, v3
	v_cmp_gt_i32_e32 vcc_lo, s17, v1
	s_addc_u32 s13, s3, s21
	s_ashr_i32 s6, s15, 31
	s_add_u32 s2, s8, s15
	s_addc_u32 s3, s9, s6
	v_cndmask_b32_e32 v4, s4, v3, vcc_lo
	v_ashrrev_i32_e32 v3, 31, v2
	s_lshl_b32 s8, s14, 3
	s_delay_alu instid0(SALU_CYCLE_1) | instskip(NEXT) | instid1(VALU_DEP_2)
	s_ashr_i32 s9, s8, 31
	v_ashrrev_i32_e32 v5, 31, v4
	s_delay_alu instid0(VALU_DEP_2) | instskip(SKIP_1) | instid1(SALU_CYCLE_1)
	v_lshlrev_b64 v[1:2], 2, v[2:3]
	s_lshl_b64 s[8:9], s[8:9], 2
	s_add_u32 s8, s7, s8
	s_delay_alu instid0(VALU_DEP_2) | instskip(SKIP_1) | instid1(VALU_DEP_2)
	v_lshlrev_b64 v[3:4], 2, v[4:5]
	s_addc_u32 s9, s13, s9
	v_add_co_u32 v1, vcc_lo, s7, v1
	v_add_co_ci_u32_e32 v2, vcc_lo, s13, v2, vcc_lo
	s_delay_alu instid0(VALU_DEP_3) | instskip(NEXT) | instid1(VALU_DEP_4)
	v_add_co_u32 v3, vcc_lo, s7, v3
	v_add_co_ci_u32_e32 v4, vcc_lo, s13, v4, vcc_lo
	s_clause 0x1
	global_load_b32 v5, v[1:2], off
	global_load_b32 v6, v[3:4], off
	s_or_b32 s16, s12, 32
	s_delay_alu instid0(SALU_CYCLE_1) | instskip(SKIP_2) | instid1(SALU_CYCLE_1)
	s_ashr_i32 s19, s16, 5
	s_cmp_lt_i32 s16, s17
	s_cselect_b32 s20, s19, s4
	s_ashr_i32 s21, s20, 31
	s_delay_alu instid0(SALU_CYCLE_1) | instskip(NEXT) | instid1(SALU_CYCLE_1)
	s_lshl_b64 s[20:21], s[20:21], 2
	s_add_u32 s20, s7, s20
	s_addc_u32 s21, s13, s21
	s_or_b32 s16, s12, 64
	s_delay_alu instid0(SALU_CYCLE_1) | instskip(SKIP_2) | instid1(SALU_CYCLE_1)
	s_ashr_i32 s19, s16, 5
	s_cmp_lt_i32 s16, s17
	s_cselect_b32 s22, s19, s4
	s_ashr_i32 s23, s22, 31
	s_delay_alu instid0(SALU_CYCLE_1) | instskip(NEXT) | instid1(SALU_CYCLE_1)
	s_lshl_b64 s[22:23], s[22:23], 2
	s_add_u32 s22, s7, s22
	s_addc_u32 s23, s13, s23
	;; [unrolled: 10-line block ×5, first 2 shown]
	s_clause 0x5
	s_load_b32 s16, s[8:9], 0x0
	s_load_b32 s19, s[20:21], 0x0
	;; [unrolled: 1-line block ×6, first 2 shown]
	s_mov_b32 s20, 0
	s_delay_alu instid0(SALU_CYCLE_1)
	s_mov_b32 s21, s20
	s_mov_b32 s22, s20
	;; [unrolled: 1-line block ×7, first 2 shown]
	s_delay_alu instid0(SALU_CYCLE_1)
	v_dual_mov_b32 v107, s27 :: v_dual_mov_b32 v106, s26
	v_dual_mov_b32 v105, s25 :: v_dual_mov_b32 v102, s22
	v_dual_mov_b32 v101, s21 :: v_dual_mov_b32 v100, s20
	v_dual_mov_b32 v103, s23 :: v_dual_mov_b32 v104, s24
	s_waitcnt vmcnt(1)
	v_mad_i64_i32 v[1:2], null, v5, s5, s[2:3]
	v_lshlrev_b32_e32 v5, 4, v65
	s_waitcnt vmcnt(0)
	v_mad_i64_i32 v[3:4], null, v6, s5, s[2:3]
	s_or_b32 s2, s12, 0xc0
	s_delay_alu instid0(SALU_CYCLE_1) | instskip(NEXT) | instid1(VALU_DEP_3)
	s_ashr_i32 s3, s2, 5
	v_add_co_u32 v25, vcc_lo, v1, v5
	s_delay_alu instid0(VALU_DEP_4) | instskip(NEXT) | instid1(VALU_DEP_3)
	v_add_co_ci_u32_e32 v26, vcc_lo, 0, v2, vcc_lo
	v_add_co_u32 v27, vcc_lo, v3, v5
	s_delay_alu instid0(VALU_DEP_4)
	v_add_co_ci_u32_e32 v28, vcc_lo, 0, v4, vcc_lo
	s_clause 0xf
	global_load_b128 v[1:4], v[25:26], off
	global_load_b128 v[5:8], v[25:26], off offset:512
	global_load_b128 v[9:12], v[27:28], off offset:256
	;; [unrolled: 1-line block ×15, first 2 shown]
	v_mul_lo_u16 v25, v65, 43
	s_cmp_lt_i32 s2, s17
	v_lshlrev_b32_e32 v26, 5, v65
	s_cselect_b32 s2, s3, s4
	s_delay_alu instid0(VALU_DEP_2) | instskip(SKIP_1) | instid1(VALU_DEP_2)
	v_lshrrev_b16 v25, 8, v25
	s_ashr_i32 s3, s2, 31
	v_lshl_or_b32 v33, v66, 9, v26
	s_lshl_b64 s[2:3], s[2:3], 2
	s_delay_alu instid0(VALU_DEP_2) | instskip(SKIP_3) | instid1(VALU_DEP_1)
	v_mul_lo_u16 v25, v25, 6
	s_add_u32 s2, s7, s2
	s_addc_u32 s3, s13, s3
	s_or_b32 s8, s12, 0xe0
	v_sub_nc_u16 v25, v65, v25
	s_ashr_i32 s9, s8, 5
	s_cmp_lt_i32 s8, s17
	s_cselect_b32 s8, s9, s4
	s_delay_alu instid0(VALU_DEP_1) | instskip(SKIP_1) | instid1(SALU_CYCLE_1)
	v_and_b32_e32 v25, 0xff, v25
	s_ashr_i32 s9, s8, 31
	s_lshl_b64 s[8:9], s[8:9], 2
	s_delay_alu instid0(VALU_DEP_1)
	v_lshlrev_b32_e32 v72, 6, v25
	ds_load_b128 v[25:28], v72
	ds_load_b128 v[29:32], v72 offset:1024
	ds_load_b128 v[108:111], v72 offset:2048
	;; [unrolled: 1-line block ×3, first 2 shown]
	s_load_b32 s4, s[2:3], 0x0
	s_add_u32 s2, s7, s8
	s_addc_u32 s3, s13, s9
	ds_load_b128 v[116:119], v72 offset:4096
	ds_load_b128 v[120:123], v72 offset:5120
	s_load_b32 s2, s[2:3], 0x0
	s_add_u32 s7, s10, s15
	s_addc_u32 s6, s11, s6
	v_add_co_u32 v68, s7, s7, v33
	s_delay_alu instid0(VALU_DEP_1) | instskip(SKIP_1) | instid1(VALU_DEP_1)
	v_add_co_ci_u32_e64 v69, null, s6, 0, s7
	s_waitcnt lgkmcnt(0)
	v_mad_i64_i32 v[33:34], null, s16, s5, v[68:69]
	v_mad_i64_i32 v[70:71], null, s28, s5, v[68:69]
	;; [unrolled: 1-line block ×7, first 2 shown]
	s_clause 0x3
	global_load_b128 v[41:44], v[33:34], off
	global_load_b128 v[45:48], v[33:34], off offset:16
	global_load_b128 v[33:36], v[37:38], off
	global_load_b128 v[37:40], v[37:38], off offset:16
	s_waitcnt vmcnt(18)
	v_wmma_f32_16x16x16_bf16 v[124:131], v[1:8], v[25:32], v[100:107]
	s_waitcnt vmcnt(16)
	v_wmma_f32_16x16x16_bf16 v[100:107], v[9:16], v[25:32], v[100:107]
	s_clause 0x1
	global_load_b128 v[25:28], v[70:71], off
	global_load_b128 v[29:32], v[70:71], off offset:16
	s_waitcnt vmcnt(16)
	v_wmma_f32_16x16x16_bf16 v[124:131], v[17:24], v[108:115], v[124:131]
	s_clause 0x1
	global_load_b128 v[17:20], v[132:133], off
	global_load_b128 v[21:24], v[132:133], off offset:16
	s_waitcnt vmcnt(16)
	v_wmma_f32_16x16x16_bf16 v[100:107], v[49:56], v[108:115], v[100:107]
	v_mad_i64_i32 v[53:54], null, s2, s5, v[68:69]
	s_clause 0x3
	global_load_b128 v[1:4], v[134:135], off
	global_load_b128 v[5:8], v[134:135], off offset:16
	global_load_b128 v[9:12], v[136:137], off
	global_load_b128 v[13:16], v[136:137], off offset:16
	s_waitcnt vmcnt(18)
	v_wmma_f32_16x16x16_bf16 v[124:131], v[57:64], v[116:123], v[124:131]
	s_clause 0x3
	global_load_b128 v[57:60], v[138:139], off
	global_load_b128 v[61:64], v[138:139], off offset:16
	global_load_b128 v[49:52], v[53:54], off
	global_load_b128 v[53:56], v[53:54], off offset:16
	s_waitcnt vmcnt(20)
	v_wmma_f32_16x16x16_bf16 v[100:107], v[76:83], v[116:123], v[100:107]
	ds_load_b128 v[76:79], v72 offset:6144
	ds_load_b128 v[80:83], v72 offset:7168
	v_mbcnt_lo_u32_b32 v69, -1, 0
	s_waitcnt vmcnt(0) lgkmcnt(0)
	s_barrier
	buffer_gl0_inv
	v_xor_b32_e32 v70, 16, v69
	s_delay_alu instid0(VALU_DEP_1) | instskip(SKIP_4) | instid1(VALU_DEP_2)
	v_cmp_gt_i32_e32 vcc_lo, 32, v70
	v_cndmask_b32_e32 v69, v69, v70, vcc_lo
	v_wmma_f32_16x16x16_bf16 v[124:131], v[84:91], v[76:83], v[124:131]
	v_and_b32_e32 v68, 0xe0, v0
	v_wmma_f32_16x16x16_bf16 v[100:107], v[92:99], v[76:83], v[100:107]
	v_dual_mul_f32 v81, s18, v129 :: v_dual_add_nc_u32 v68, s12, v68
	s_delay_alu instid0(VALU_DEP_4) | instskip(NEXT) | instid1(VALU_DEP_3)
	v_dual_mul_f32 v83, s18, v131 :: v_dual_mul_f32 v78, s18, v125
	v_mul_f32_e32 v95, s18, v103
	v_mul_f32_e32 v79, s18, v127
	s_delay_alu instid0(VALU_DEP_4) | instskip(SKIP_3) | instid1(VALU_DEP_4)
	v_or_b32_e32 v68, v68, v74
	v_dual_mul_f32 v80, s18, v126 :: v_dual_mul_f32 v97, s18, v105
	v_dual_mul_f32 v93, s18, v101 :: v_dual_mul_f32 v82, s18, v128
	v_mul_f32_e32 v99, s18, v107
	v_or_b32_e32 v70, 2, v68
	v_or_b32_e32 v71, 4, v68
	;; [unrolled: 1-line block ×3, first 2 shown]
	v_cmp_gt_i32_e64 s2, s17, v68
	v_or_b32_e32 v108, 8, v68
	v_cmp_gt_i32_e32 vcc_lo, s17, v70
	v_mul_f32_e32 v70, s18, v124
	v_or_b32_e32 v109, 10, v68
	v_cmp_gt_i32_e64 s3, s17, v71
	v_cmp_gt_i32_e64 s4, s17, v72
	v_cndmask_b32_e32 v78, 0xff7fffff, v78, vcc_lo
	v_cndmask_b32_e64 v70, 0xff7fffff, v70, s2
	v_or_b32_e32 v84, 12, v68
	v_or_b32_e32 v85, 14, v68
	v_cndmask_b32_e64 v71, 0xff7fffff, v80, s3
	v_cndmask_b32_e64 v72, 0xff7fffff, v79, s4
	v_max3_f32 v70, v70, 0xff7fffff, v78
	v_cmp_gt_i32_e64 s5, s17, v108
	v_cmp_gt_i32_e64 s6, s17, v109
	v_or_b32_e32 v86, 16, v68
	v_or_b32_e32 v87, 18, v68
	;; [unrolled: 1-line block ×3, first 2 shown]
	v_mul_f32_e32 v92, s18, v130
	v_cndmask_b32_e64 v78, 0xff7fffff, v82, s5
	v_cndmask_b32_e64 v79, 0xff7fffff, v81, s6
	v_max3_f32 v70, v70, v71, v72
	v_cmp_gt_i32_e64 s7, s17, v84
	v_cmp_gt_i32_e64 s8, s17, v85
	v_or_b32_e32 v88, 20, v68
	v_mul_f32_e32 v94, s18, v100
	v_max3_f32 v70, v70, v78, v79
	v_cmp_gt_i32_e64 s9, s17, v86
	v_cndmask_b32_e64 v72, 0xff7fffff, v83, s8
	v_cmp_gt_i32_e64 s10, s17, v87
	v_cmp_gt_i32_e64 s12, s17, v89
	v_lshlrev_b32_e32 v89, 2, v69
	v_cndmask_b32_e64 v71, 0xff7fffff, v92, s7
	v_or_b32_e32 v90, 24, v68
	v_or_b32_e32 v91, 26, v68
	v_mul_f32_e32 v96, s18, v102
	v_cndmask_b32_e64 v78, 0xff7fffff, v94, s9
	v_cndmask_b32_e64 v79, 0xff7fffff, v93, s10
	v_max3_f32 v70, v70, v71, v72
	v_cmp_gt_i32_e64 s11, s17, v88
	v_or_b32_e32 v76, 28, v68
	v_or_b32_e32 v77, 30, v68
	v_mul_f32_e32 v98, s18, v104
	v_cndmask_b32_e64 v72, 0xff7fffff, v95, s12
	v_cndmask_b32_e64 v71, 0xff7fffff, v96, s11
	v_max3_f32 v70, v70, v78, v79
	v_cmp_gt_i32_e64 s13, s17, v90
	v_cmp_gt_i32_e64 s15, s17, v91
	v_mul_f32_e32 v68, s18, v106
	v_cmp_gt_i32_e64 s16, s17, v76
	v_max3_f32 v70, v70, v71, v72
	v_cndmask_b32_e64 v78, 0xff7fffff, v98, s13
	v_cndmask_b32_e64 v79, 0xff7fffff, v97, s15
	v_cmp_gt_i32_e64 s17, s17, v77
	v_cndmask_b32_e64 v68, 0xff7fffff, v68, s16
	s_delay_alu instid0(VALU_DEP_3) | instskip(NEXT) | instid1(VALU_DEP_3)
	v_max3_f32 v70, v70, v78, v79
	v_cndmask_b32_e64 v71, 0xff7fffff, v99, s17
	s_delay_alu instid0(VALU_DEP_1) | instskip(SKIP_3) | instid1(VALU_DEP_1)
	v_max3_f32 v68, v70, v68, v71
	ds_bpermute_b32 v69, v89, v68
	s_waitcnt lgkmcnt(0)
	v_max_f32_e32 v69, v69, v69
	v_max_f32_e32 v68, v68, v69
	s_delay_alu instid0(VALU_DEP_1) | instskip(NEXT) | instid1(VALU_DEP_1)
	v_fma_f32 v71, s18, v126, -v68
	v_mul_f32_e32 v71, 0x3fb8aa3b, v71
	s_delay_alu instid0(VALU_DEP_1) | instskip(SKIP_3) | instid1(VALU_DEP_1)
	v_exp_f32_e32 v71, v71
	s_waitcnt_depctr 0xfff
	v_cndmask_b32_e64 v83, 0, v71, s3
	v_fma_f32 v71, s18, v131, -v68
	v_mul_f32_e32 v71, 0x3fb8aa3b, v71
	v_fma_f32 v69, s18, v124, -v68
	v_fma_f32 v76, s18, v128, -v68
	;; [unrolled: 1-line block ×4, first 2 shown]
	v_exp_f32_e32 v71, v71
	v_mul_f32_e32 v69, 0x3fb8aa3b, v69
	v_mul_f32_e32 v77, 0x3fb8aa3b, v76
	v_fma_f32 v81, s18, v105, -v68
	v_fma_f32 v78, s18, v130, -v68
	s_delay_alu instid0(VALU_DEP_4) | instskip(NEXT) | instid1(VALU_DEP_3)
	v_exp_f32_e32 v69, v69
	v_exp_f32_e32 v77, v77
	s_delay_alu instid0(VALU_DEP_2) | instskip(NEXT) | instid1(TRANS32_DEP_3)
	v_mul_f32_e32 v81, 0x3fb8aa3b, v81
	v_cndmask_b32_e64 v88, 0, v71, s8
	v_fma_f32 v71, s18, v104, -v68
	s_delay_alu instid0(VALU_DEP_3) | instskip(NEXT) | instid1(TRANS32_DEP_3)
	v_exp_f32_e32 v81, v81
	v_cndmask_b32_e64 v80, 0, v69, s2
	v_fma_f32 v69, s18, v129, -v68
	v_mul_f32_e32 v70, 0x3fb8aa3b, v70
	s_delay_alu instid0(TRANS32_DEP_2)
	v_cndmask_b32_e64 v86, 0, v77, s5
	v_mul_f32_e32 v72, 0x3fb8aa3b, v72
	v_fma_f32 v77, s18, v101, -v68
	v_mul_f32_e32 v69, 0x3fb8aa3b, v69
	v_exp_f32_e32 v70, v70
	v_mul_f32_e32 v71, 0x3fb8aa3b, v71
	v_exp_f32_e32 v72, v72
	;; [unrolled: 2-line block ×3, first 2 shown]
	s_mov_b32 s2, exec_lo
	v_exp_f32_e32 v82, v71
	s_delay_alu instid0(VALU_DEP_1) | instskip(SKIP_4) | instid1(TRANS32_DEP_3)
	v_exp_f32_e32 v77, v77
	v_cndmask_b32_e32 v76, 0, v70, vcc_lo
	v_add_f32_e32 v70, 0, v80
	v_cndmask_b32_e64 v85, 0, v72, s4
	v_fma_f32 v72, s18, v100, -v68
	v_cndmask_b32_e64 v87, 0, v69, s6
	s_delay_alu instid0(VALU_DEP_4) | instskip(NEXT) | instid1(VALU_DEP_3)
	v_add_f32_e32 v70, v70, v76
	v_mul_f32_e32 v72, 0x3fb8aa3b, v72
	s_delay_alu instid0(VALU_DEP_2) | instskip(NEXT) | instid1(VALU_DEP_2)
	v_add_f32_e32 v70, v70, v83
	v_exp_f32_e32 v72, v72
	s_delay_alu instid0(VALU_DEP_1) | instskip(NEXT) | instid1(VALU_DEP_1)
	v_add_f32_e32 v70, v70, v85
	v_add_f32_e32 v69, v70, v86
	v_fma_f32 v70, s18, v102, -v68
	s_delay_alu instid0(VALU_DEP_2) | instskip(NEXT) | instid1(VALU_DEP_2)
	v_dual_add_f32 v69, v69, v87 :: v_dual_mul_f32 v78, 0x3fb8aa3b, v78
	v_mul_f32_e32 v70, 0x3fb8aa3b, v70
	s_delay_alu instid0(VALU_DEP_2) | instskip(NEXT) | instid1(VALU_DEP_1)
	v_exp_f32_e32 v78, v78
	v_exp_f32_e32 v79, v70
	s_delay_alu instid0(TRANS32_DEP_3) | instskip(SKIP_4) | instid1(VALU_DEP_2)
	v_cndmask_b32_e64 v70, 0, v72, s9
	s_waitcnt_depctr 0xfff
	v_cndmask_b32_e64 v84, 0, v78, s7
	v_fma_f32 v78, s18, v103, -v68
	v_cndmask_b32_e64 v71, 0, v79, s11
	v_dual_add_f32 v69, v69, v84 :: v_dual_mul_f32 v78, 0x3fb8aa3b, v78
	s_delay_alu instid0(VALU_DEP_1) | instskip(NEXT) | instid1(VALU_DEP_2)
	v_add_f32_e32 v72, v69, v88
	v_exp_f32_e32 v78, v78
	v_cndmask_b32_e64 v69, 0, v77, s10
	v_fma_f32 v77, s18, v106, -v68
	s_delay_alu instid0(VALU_DEP_1) | instskip(NEXT) | instid1(VALU_DEP_1)
	v_dual_add_f32 v72, v72, v70 :: v_dual_mul_f32 v77, 0x3fb8aa3b, v77
	v_add_f32_e32 v79, v72, v69
	s_waitcnt_depctr 0xfff
	v_cndmask_b32_e64 v72, 0, v78, s12
	v_exp_f32_e32 v90, v77
	v_cndmask_b32_e64 v77, 0, v82, s13
	v_add_f32_e32 v78, v79, v71
	v_fma_f32 v79, s18, v107, -v68
	s_delay_alu instid0(VALU_DEP_1) | instskip(SKIP_1) | instid1(VALU_DEP_2)
	v_dual_add_f32 v82, v78, v72 :: v_dual_mul_f32 v79, 0x3fb8aa3b, v79
	v_cndmask_b32_e64 v78, 0, v81, s15
	v_add_f32_e32 v81, v82, v77
	s_delay_alu instid0(VALU_DEP_3) | instskip(NEXT) | instid1(TRANS32_DEP_2)
	v_exp_f32_e32 v82, v79
	v_cndmask_b32_e64 v79, 0, v90, s16
	s_delay_alu instid0(VALU_DEP_2) | instskip(NEXT) | instid1(VALU_DEP_1)
	v_add_f32_e32 v81, v81, v78
	v_add_f32_e32 v90, v81, v79
	s_waitcnt_depctr 0xfff
	v_cndmask_b32_e64 v81, 0, v82, s17
	s_delay_alu instid0(VALU_DEP_1)
	v_add_f32_e32 v82, v90, v81
	ds_bpermute_b32 v89, v89, v82
	v_cmpx_gt_u32_e32 16, v67
	s_cbranch_execz .LBB1591_12
; %bb.11:
	v_mul_u32_u24_e32 v67, 0x44, v66
	s_delay_alu instid0(VALU_DEP_1) | instskip(SKIP_1) | instid1(VALU_DEP_1)
	v_lshl_add_u32 v67, v65, 2, v67
	s_waitcnt lgkmcnt(0)
	v_dual_add_f32 v82, v82, v89 :: v_dual_add_nc_u32 v67, 0x4000, v67
	ds_store_2addr_b32 v67, v68, v82 offset1:136
.LBB1591_12:
	s_or_b32 exec_lo, exec_lo, s2
	v_lshlrev_b32_e32 v67, 2, v65
	s_waitcnt lgkmcnt(0)
	s_barrier
	buffer_gl0_inv
	v_cmp_eq_u32_e32 vcc_lo, 1, v66
	v_add_nc_u32_e32 v82, 0x4000, v67
	v_cmp_eq_u32_e64 s2, 2, v66
	v_cmp_eq_u32_e64 s4, 7, v66
	ds_load_2addr_b32 v[89:90], v82 offset1:17
	ds_load_2addr_b32 v[91:92], v82 offset0:34 offset1:51
	ds_load_2addr_b32 v[93:94], v82 offset0:68 offset1:85
	;; [unrolled: 1-line block ×4, first 2 shown]
	s_waitcnt lgkmcnt(4)
	v_max3_f32 v67, v89, 0xff7fffff, v90
	s_waitcnt lgkmcnt(3)
	s_delay_alu instid0(VALU_DEP_1) | instskip(SKIP_1) | instid1(VALU_DEP_1)
	v_max3_f32 v67, v67, v91, v92
	s_waitcnt lgkmcnt(2)
	v_max3_f32 v67, v67, v93, v94
	s_waitcnt lgkmcnt(1)
	s_delay_alu instid0(VALU_DEP_1) | instskip(NEXT) | instid1(VALU_DEP_1)
	v_max3_f32 v67, v67, v95, v96
	v_sub_f32_e32 v93, v93, v67
	s_delay_alu instid0(VALU_DEP_1) | instskip(NEXT) | instid1(VALU_DEP_1)
	v_dual_sub_f32 v68, v89, v67 :: v_dual_mul_f32 v103, 0x3fb8aa3b, v93
	v_mul_f32_e32 v68, 0x3fb8aa3b, v68
	s_delay_alu instid0(VALU_DEP_1)
	v_exp_f32_e32 v100, v68
	v_sub_f32_e32 v68, v92, v67
	v_sub_f32_e32 v99, v90, v67
	ds_load_2addr_b32 v[89:90], v82 offset0:170 offset1:187
	v_dual_mul_f32 v102, 0x3fb8aa3b, v68 :: v_dual_mul_f32 v99, 0x3fb8aa3b, v99
	s_waitcnt lgkmcnt(1)
	v_fma_f32 v68, v100, v97, 0
	s_delay_alu instid0(VALU_DEP_2) | instskip(NEXT) | instid1(VALU_DEP_2)
	v_exp_f32_e32 v102, v102
	v_exp_f32_e32 v99, v99
	s_waitcnt_depctr 0xfff
	v_fmac_f32_e32 v68, v99, v98
	v_sub_f32_e32 v91, v91, v67
	s_delay_alu instid0(VALU_DEP_1)
	v_mul_f32_e32 v101, 0x3fb8aa3b, v91
	ds_load_2addr_b32 v[91:92], v82 offset0:204 offset1:221
	v_sub_f32_e32 v97, v94, v67
	ds_load_2addr_b32 v[93:94], v82 offset0:238 offset1:255
	s_waitcnt lgkmcnt(0)
	v_exp_f32_e32 v101, v101
	s_barrier
	buffer_gl0_inv
	v_dual_fmac_f32 v68, v101, v89 :: v_dual_sub_f32 v89, v96, v67
	v_dual_sub_f32 v82, v95, v67 :: v_dual_mul_f32 v95, 0x3fb8aa3b, v97
	v_exp_f32_e32 v97, v103
	s_delay_alu instid0(VALU_DEP_2) | instskip(NEXT) | instid1(VALU_DEP_2)
	v_dual_fmac_f32 v68, v102, v90 :: v_dual_mul_f32 v89, 0x3fb8aa3b, v89
	v_mul_f32_e32 v82, 0x3fb8aa3b, v82
	s_delay_alu instid0(VALU_DEP_3) | instskip(NEXT) | instid1(VALU_DEP_2)
	v_exp_f32_e32 v95, v95
	v_exp_f32_e32 v89, v89
	s_delay_alu instid0(VALU_DEP_1)
	v_exp_f32_e32 v82, v82
	v_fmac_f32_e32 v68, v97, v91
	s_delay_alu instid0(TRANS32_DEP_3) | instid1(VALU_DEP_1)
	v_fmac_f32_e32 v68, v95, v92
	s_waitcnt_depctr 0xfff
	v_fmac_f32_e32 v68, v82, v93
	s_delay_alu instid0(VALU_DEP_1) | instskip(NEXT) | instid1(VALU_DEP_1)
	v_fmac_f32_e32 v68, v89, v94
	v_add_f32_e32 v90, 0x358637bd, v68
	s_delay_alu instid0(VALU_DEP_1) | instskip(NEXT) | instid1(VALU_DEP_1)
	v_div_scale_f32 v91, null, v90, v90, 1.0
	v_rcp_f32_e32 v92, v91
	s_waitcnt_depctr 0xfff
	v_fma_f32 v93, -v91, v92, 1.0
	s_delay_alu instid0(VALU_DEP_1) | instskip(SKIP_1) | instid1(VALU_DEP_2)
	v_dual_fmac_f32 v92, v93, v92 :: v_dual_cndmask_b32 v93, v100, v99
	v_cmp_eq_u32_e32 vcc_lo, 3, v66
	v_cndmask_b32_e64 v93, v93, v101, s2
	v_cmp_eq_u32_e64 s2, 4, v66
	s_delay_alu instid0(VALU_DEP_2) | instskip(SKIP_1) | instid1(VALU_DEP_2)
	v_cndmask_b32_e32 v93, v93, v102, vcc_lo
	v_cmp_eq_u32_e32 vcc_lo, 5, v66
	v_cndmask_b32_e64 v93, v93, v97, s2
	v_cmp_eq_u32_e64 s2, 6, v66
	s_delay_alu instid0(VALU_DEP_2) | instskip(SKIP_1) | instid1(VALU_DEP_1)
	v_cndmask_b32_e32 v93, v93, v95, vcc_lo
	v_div_scale_f32 v94, s3, 1.0, v90, 1.0
	s_mov_b32 vcc_lo, s3
	s_delay_alu instid0(VALU_DEP_2) | instskip(NEXT) | instid1(VALU_DEP_2)
	v_cndmask_b32_e64 v82, v93, v82, s2
	v_mul_f32_e32 v96, v94, v92
	s_mov_b32 s2, exec_lo
	s_delay_alu instid0(VALU_DEP_2) | instskip(NEXT) | instid1(VALU_DEP_2)
	v_cndmask_b32_e64 v82, v82, v89, s4
	v_fma_f32 v98, -v91, v96, v94
	s_delay_alu instid0(VALU_DEP_1) | instskip(NEXT) | instid1(VALU_DEP_1)
	v_fmac_f32_e32 v96, v98, v92
	v_fma_f32 v91, -v91, v96, v94
	s_delay_alu instid0(VALU_DEP_1) | instskip(NEXT) | instid1(VALU_DEP_1)
	v_div_fmas_f32 v91, v91, v92, v96
	v_div_fixup_f32 v90, v91, v90, 1.0
	s_delay_alu instid0(VALU_DEP_1) | instskip(NEXT) | instid1(VALU_DEP_1)
	v_mul_f32_e32 v82, v82, v90
	v_mul_f32_e32 v87, v82, v87
	;; [unrolled: 1-line block ×7, first 2 shown]
	v_dual_mul_f32 v86, v82, v83 :: v_dual_and_b32 v91, 0x7f800000, v90
	v_mul_f32_e32 v85, v82, v76
                                        ; implicit-def: $vgpr76
	s_delay_alu instid0(VALU_DEP_2)
	v_cmpx_ne_u32_e32 0x7f800000, v91
	s_xor_b32 s2, exec_lo, s2
; %bb.13:
	v_bfe_u32 v76, v90, 16, 1
	s_delay_alu instid0(VALU_DEP_1)
	v_add3_u32 v76, v90, v76, 0x7fff
                                        ; implicit-def: $vgpr90
; %bb.14:
	s_and_not1_saveexec_b32 s2, s2
; %bb.15:
	v_and_b32_e32 v76, 0xffff, v90
	v_or_b32_e32 v83, 0x10000, v90
	s_delay_alu instid0(VALU_DEP_2) | instskip(NEXT) | instid1(VALU_DEP_2)
	v_cmp_eq_u32_e32 vcc_lo, 0, v76
	v_cndmask_b32_e32 v76, v83, v90, vcc_lo
; %bb.16:
	s_or_b32 exec_lo, exec_lo, s2
	v_and_b32_e32 v83, 0x7f800000, v85
	s_delay_alu instid0(VALU_DEP_1) | instskip(SKIP_1) | instid1(SALU_CYCLE_1)
	v_cmp_ne_u32_e32 vcc_lo, 0x7f800000, v83
                                        ; implicit-def: $vgpr83
	s_and_saveexec_b32 s2, vcc_lo
	s_xor_b32 s2, exec_lo, s2
; %bb.17:
	v_bfe_u32 v83, v85, 16, 1
	s_delay_alu instid0(VALU_DEP_1)
	v_add3_u32 v83, v85, v83, 0x7fff
                                        ; implicit-def: $vgpr85
; %bb.18:
	s_and_not1_saveexec_b32 s2, s2
; %bb.19:
	v_and_b32_e32 v83, 0xffff, v85
	v_or_b32_e32 v90, 0x10000, v85
	s_delay_alu instid0(VALU_DEP_2) | instskip(NEXT) | instid1(VALU_DEP_2)
	v_cmp_eq_u32_e32 vcc_lo, 0, v83
	v_cndmask_b32_e32 v83, v90, v85, vcc_lo
; %bb.20:
	s_or_b32 exec_lo, exec_lo, s2
	v_and_b32_e32 v85, 0x7f800000, v86
	s_delay_alu instid0(VALU_DEP_1) | instskip(SKIP_1) | instid1(SALU_CYCLE_1)
	v_cmp_ne_u32_e32 vcc_lo, 0x7f800000, v85
                                        ; implicit-def: $vgpr85
	s_and_saveexec_b32 s2, vcc_lo
	s_xor_b32 s2, exec_lo, s2
; %bb.21:
	v_bfe_u32 v85, v86, 16, 1
	s_delay_alu instid0(VALU_DEP_1)
	v_add3_u32 v85, v86, v85, 0x7fff
                                        ; implicit-def: $vgpr86
; %bb.22:
	s_and_not1_saveexec_b32 s2, s2
; %bb.23:
	v_and_b32_e32 v85, 0xffff, v86
	v_or_b32_e32 v90, 0x10000, v86
	s_delay_alu instid0(VALU_DEP_2) | instskip(NEXT) | instid1(VALU_DEP_2)
	v_cmp_eq_u32_e32 vcc_lo, 0, v85
	v_cndmask_b32_e32 v85, v90, v86, vcc_lo
; %bb.24:
	s_or_b32 exec_lo, exec_lo, s2
	v_and_b32_e32 v86, 0x7f800000, v89
	s_delay_alu instid0(VALU_DEP_1) | instskip(SKIP_1) | instid1(SALU_CYCLE_1)
	v_cmp_ne_u32_e32 vcc_lo, 0x7f800000, v86
                                        ; implicit-def: $vgpr86
	s_and_saveexec_b32 s2, vcc_lo
	s_xor_b32 s2, exec_lo, s2
; %bb.25:
	v_bfe_u32 v86, v89, 16, 1
	s_delay_alu instid0(VALU_DEP_1)
	v_add3_u32 v86, v89, v86, 0x7fff
                                        ; implicit-def: $vgpr89
; %bb.26:
	s_and_not1_saveexec_b32 s2, s2
; %bb.27:
	v_and_b32_e32 v86, 0xffff, v89
	v_or_b32_e32 v90, 0x10000, v89
	s_delay_alu instid0(VALU_DEP_2) | instskip(NEXT) | instid1(VALU_DEP_2)
	v_cmp_eq_u32_e32 vcc_lo, 0, v86
	v_cndmask_b32_e32 v86, v90, v89, vcc_lo
; %bb.28:
	s_or_b32 exec_lo, exec_lo, s2
	v_and_b32_e32 v89, 0x7f800000, v88
	s_delay_alu instid0(VALU_DEP_1) | instskip(SKIP_1) | instid1(SALU_CYCLE_1)
	v_cmp_ne_u32_e32 vcc_lo, 0x7f800000, v89
                                        ; implicit-def: $vgpr89
	s_and_saveexec_b32 s2, vcc_lo
	s_xor_b32 s2, exec_lo, s2
; %bb.29:
	v_bfe_u32 v89, v88, 16, 1
	s_delay_alu instid0(VALU_DEP_1)
	v_add3_u32 v89, v88, v89, 0x7fff
                                        ; implicit-def: $vgpr88
; %bb.30:
	s_and_not1_saveexec_b32 s2, s2
; %bb.31:
	v_and_b32_e32 v89, 0xffff, v88
	v_or_b32_e32 v90, 0x10000, v88
	s_delay_alu instid0(VALU_DEP_2) | instskip(NEXT) | instid1(VALU_DEP_2)
	v_cmp_eq_u32_e32 vcc_lo, 0, v89
	v_cndmask_b32_e32 v89, v90, v88, vcc_lo
; %bb.32:
	s_or_b32 exec_lo, exec_lo, s2
	v_and_b32_e32 v88, 0x7f800000, v87
	s_delay_alu instid0(VALU_DEP_1) | instskip(SKIP_1) | instid1(SALU_CYCLE_1)
	v_cmp_ne_u32_e32 vcc_lo, 0x7f800000, v88
                                        ; implicit-def: $vgpr88
	s_and_saveexec_b32 s2, vcc_lo
	s_xor_b32 s2, exec_lo, s2
; %bb.33:
	v_bfe_u32 v88, v87, 16, 1
	s_delay_alu instid0(VALU_DEP_1)
	v_add3_u32 v88, v87, v88, 0x7fff
                                        ; implicit-def: $vgpr87
; %bb.34:
	s_and_not1_saveexec_b32 s2, s2
; %bb.35:
	v_and_b32_e32 v88, 0xffff, v87
	v_or_b32_e32 v90, 0x10000, v87
	s_delay_alu instid0(VALU_DEP_2) | instskip(NEXT) | instid1(VALU_DEP_2)
	v_cmp_eq_u32_e32 vcc_lo, 0, v88
	v_cndmask_b32_e32 v88, v90, v87, vcc_lo
; %bb.36:
	s_or_b32 exec_lo, exec_lo, s2
	v_and_b32_e32 v87, 0x7f800000, v84
	s_delay_alu instid0(VALU_DEP_1) | instskip(SKIP_1) | instid1(SALU_CYCLE_1)
	v_cmp_ne_u32_e32 vcc_lo, 0x7f800000, v87
                                        ; implicit-def: $vgpr87
	s_and_saveexec_b32 s2, vcc_lo
	s_xor_b32 s2, exec_lo, s2
; %bb.37:
	v_bfe_u32 v87, v84, 16, 1
	s_delay_alu instid0(VALU_DEP_1)
	v_add3_u32 v87, v84, v87, 0x7fff
                                        ; implicit-def: $vgpr84
; %bb.38:
	s_and_not1_saveexec_b32 s2, s2
; %bb.39:
	v_and_b32_e32 v87, 0xffff, v84
	v_or_b32_e32 v90, 0x10000, v84
	s_delay_alu instid0(VALU_DEP_2) | instskip(NEXT) | instid1(VALU_DEP_2)
	v_cmp_eq_u32_e32 vcc_lo, 0, v87
	v_cndmask_b32_e32 v87, v90, v84, vcc_lo
; %bb.40:
	s_or_b32 exec_lo, exec_lo, s2
	v_and_b32_e32 v84, 0x7f800000, v80
	s_delay_alu instid0(VALU_DEP_1) | instskip(SKIP_1) | instid1(SALU_CYCLE_1)
	v_cmp_ne_u32_e32 vcc_lo, 0x7f800000, v84
                                        ; implicit-def: $vgpr84
	s_and_saveexec_b32 s2, vcc_lo
	s_xor_b32 s2, exec_lo, s2
; %bb.41:
	v_bfe_u32 v84, v80, 16, 1
	s_delay_alu instid0(VALU_DEP_1)
	v_add3_u32 v84, v80, v84, 0x7fff
                                        ; implicit-def: $vgpr80
; %bb.42:
	s_and_not1_saveexec_b32 s2, s2
; %bb.43:
	v_and_b32_e32 v84, 0xffff, v80
	v_or_b32_e32 v90, 0x10000, v80
	s_delay_alu instid0(VALU_DEP_2) | instskip(NEXT) | instid1(VALU_DEP_2)
	v_cmp_eq_u32_e32 vcc_lo, 0, v84
	v_cndmask_b32_e32 v84, v90, v80, vcc_lo
; %bb.44:
	s_or_b32 exec_lo, exec_lo, s2
	s_load_b64 s[34:35], s[0:1], 0x94
	v_lshlrev_b32_e32 v91, 4, v74
	s_delay_alu instid0(VALU_DEP_2)
	v_perm_b32 v90, v84, v87, 0x7060302
	v_dual_mul_f32 v79, v82, v79 :: v_dual_lshlrev_b32 v80, 6, v65
	v_dual_mul_f32 v77, v82, v77 :: v_dual_lshlrev_b32 v92, 11, v66
	v_mul_f32_e32 v84, v82, v70
	v_perm_b32 v89, v88, v89, 0x7060302
	v_perm_b32 v88, v86, v85, 0x7060302
	;; [unrolled: 1-line block ×3, first 2 shown]
	v_mul_f32_e32 v70, v82, v81
	v_or3_b32 v76, v91, v92, v80
	v_dual_mul_f32 v78, v82, v78 :: v_dual_and_b32 v85, 0x7f800000, v84
	v_mul_f32_e32 v83, v82, v72
	v_mul_f32_e32 v81, v82, v71
	;; [unrolled: 1-line block ×3, first 2 shown]
	s_mov_b32 s2, exec_lo
	ds_store_b128 v76, v[87:90]
                                        ; implicit-def: $vgpr69
	v_cmpx_ne_u32_e32 0x7f800000, v85
	s_xor_b32 s2, exec_lo, s2
; %bb.45:
	v_bfe_u32 v69, v84, 16, 1
	s_delay_alu instid0(VALU_DEP_1)
	v_add3_u32 v69, v84, v69, 0x7fff
                                        ; implicit-def: $vgpr84
; %bb.46:
	s_and_not1_saveexec_b32 s2, s2
; %bb.47:
	v_and_b32_e32 v69, 0xffff, v84
	v_or_b32_e32 v71, 0x10000, v84
	s_delay_alu instid0(VALU_DEP_2) | instskip(NEXT) | instid1(VALU_DEP_2)
	v_cmp_eq_u32_e32 vcc_lo, 0, v69
	v_cndmask_b32_e32 v69, v71, v84, vcc_lo
; %bb.48:
	s_or_b32 exec_lo, exec_lo, s2
	v_and_b32_e32 v71, 0x7f800000, v72
	s_delay_alu instid0(VALU_DEP_1) | instskip(SKIP_1) | instid1(SALU_CYCLE_1)
	v_cmp_ne_u32_e32 vcc_lo, 0x7f800000, v71
                                        ; implicit-def: $vgpr71
	s_and_saveexec_b32 s2, vcc_lo
	s_xor_b32 s2, exec_lo, s2
; %bb.49:
	v_bfe_u32 v71, v72, 16, 1
	s_delay_alu instid0(VALU_DEP_1)
	v_add3_u32 v71, v72, v71, 0x7fff
                                        ; implicit-def: $vgpr72
; %bb.50:
	s_and_not1_saveexec_b32 s2, s2
; %bb.51:
	v_and_b32_e32 v71, 0xffff, v72
	v_or_b32_e32 v82, 0x10000, v72
	s_delay_alu instid0(VALU_DEP_2) | instskip(NEXT) | instid1(VALU_DEP_2)
	v_cmp_eq_u32_e32 vcc_lo, 0, v71
	v_cndmask_b32_e32 v71, v82, v72, vcc_lo
; %bb.52:
	s_or_b32 exec_lo, exec_lo, s2
	v_and_b32_e32 v72, 0x7f800000, v81
	s_delay_alu instid0(VALU_DEP_1) | instskip(SKIP_1) | instid1(SALU_CYCLE_1)
	v_cmp_ne_u32_e32 vcc_lo, 0x7f800000, v72
                                        ; implicit-def: $vgpr72
	s_and_saveexec_b32 s2, vcc_lo
	s_xor_b32 s2, exec_lo, s2
; %bb.53:
	v_bfe_u32 v72, v81, 16, 1
	s_delay_alu instid0(VALU_DEP_1)
	v_add3_u32 v72, v81, v72, 0x7fff
                                        ; implicit-def: $vgpr81
; %bb.54:
	s_and_not1_saveexec_b32 s2, s2
; %bb.55:
	v_and_b32_e32 v72, 0xffff, v81
	v_or_b32_e32 v82, 0x10000, v81
	s_delay_alu instid0(VALU_DEP_2) | instskip(NEXT) | instid1(VALU_DEP_2)
	v_cmp_eq_u32_e32 vcc_lo, 0, v72
	v_cndmask_b32_e32 v72, v82, v81, vcc_lo
; %bb.56:
	s_or_b32 exec_lo, exec_lo, s2
	v_and_b32_e32 v81, 0x7f800000, v83
	s_delay_alu instid0(VALU_DEP_1) | instskip(SKIP_1) | instid1(SALU_CYCLE_1)
	v_cmp_ne_u32_e32 vcc_lo, 0x7f800000, v81
                                        ; implicit-def: $vgpr81
	s_and_saveexec_b32 s2, vcc_lo
	s_xor_b32 s2, exec_lo, s2
; %bb.57:
	v_bfe_u32 v81, v83, 16, 1
	s_delay_alu instid0(VALU_DEP_1)
	v_add3_u32 v81, v83, v81, 0x7fff
                                        ; implicit-def: $vgpr83
; %bb.58:
	s_and_not1_saveexec_b32 s2, s2
; %bb.59:
	v_and_b32_e32 v81, 0xffff, v83
	v_or_b32_e32 v82, 0x10000, v83
	s_delay_alu instid0(VALU_DEP_2) | instskip(NEXT) | instid1(VALU_DEP_2)
	v_cmp_eq_u32_e32 vcc_lo, 0, v81
	v_cndmask_b32_e32 v81, v82, v83, vcc_lo
; %bb.60:
	s_or_b32 exec_lo, exec_lo, s2
	v_and_b32_e32 v82, 0x7f800000, v77
	s_delay_alu instid0(VALU_DEP_1) | instskip(SKIP_1) | instid1(SALU_CYCLE_1)
	v_cmp_ne_u32_e32 vcc_lo, 0x7f800000, v82
                                        ; implicit-def: $vgpr82
	s_and_saveexec_b32 s2, vcc_lo
	s_xor_b32 s2, exec_lo, s2
; %bb.61:
	v_bfe_u32 v82, v77, 16, 1
	s_delay_alu instid0(VALU_DEP_1)
	v_add3_u32 v82, v77, v82, 0x7fff
                                        ; implicit-def: $vgpr77
; %bb.62:
	s_and_not1_saveexec_b32 s2, s2
; %bb.63:
	v_and_b32_e32 v82, 0xffff, v77
	v_or_b32_e32 v83, 0x10000, v77
	s_delay_alu instid0(VALU_DEP_2) | instskip(NEXT) | instid1(VALU_DEP_2)
	v_cmp_eq_u32_e32 vcc_lo, 0, v82
	v_cndmask_b32_e32 v82, v83, v77, vcc_lo
; %bb.64:
	s_or_b32 exec_lo, exec_lo, s2
	v_and_b32_e32 v77, 0x7f800000, v78
	s_delay_alu instid0(VALU_DEP_1) | instskip(SKIP_1) | instid1(SALU_CYCLE_1)
	v_cmp_ne_u32_e32 vcc_lo, 0x7f800000, v77
                                        ; implicit-def: $vgpr77
	s_and_saveexec_b32 s2, vcc_lo
	s_xor_b32 s2, exec_lo, s2
; %bb.65:
	v_bfe_u32 v77, v78, 16, 1
	s_delay_alu instid0(VALU_DEP_1)
	v_add3_u32 v77, v78, v77, 0x7fff
                                        ; implicit-def: $vgpr78
; %bb.66:
	s_and_not1_saveexec_b32 s2, s2
; %bb.67:
	v_and_b32_e32 v77, 0xffff, v78
	v_or_b32_e32 v83, 0x10000, v78
	s_delay_alu instid0(VALU_DEP_2) | instskip(NEXT) | instid1(VALU_DEP_2)
	v_cmp_eq_u32_e32 vcc_lo, 0, v77
	v_cndmask_b32_e32 v77, v83, v78, vcc_lo
; %bb.68:
	s_or_b32 exec_lo, exec_lo, s2
	v_and_b32_e32 v78, 0x7f800000, v79
	s_delay_alu instid0(VALU_DEP_1) | instskip(SKIP_1) | instid1(SALU_CYCLE_1)
	v_cmp_ne_u32_e32 vcc_lo, 0x7f800000, v78
                                        ; implicit-def: $vgpr78
	s_and_saveexec_b32 s2, vcc_lo
	s_xor_b32 s2, exec_lo, s2
; %bb.69:
	v_bfe_u32 v78, v79, 16, 1
	s_delay_alu instid0(VALU_DEP_1)
	v_add3_u32 v78, v79, v78, 0x7fff
                                        ; implicit-def: $vgpr79
; %bb.70:
	s_and_not1_saveexec_b32 s2, s2
; %bb.71:
	v_and_b32_e32 v78, 0xffff, v79
	v_or_b32_e32 v83, 0x10000, v79
	s_delay_alu instid0(VALU_DEP_2) | instskip(NEXT) | instid1(VALU_DEP_2)
	v_cmp_eq_u32_e32 vcc_lo, 0, v78
	v_cndmask_b32_e32 v78, v83, v79, vcc_lo
; %bb.72:
	s_or_b32 exec_lo, exec_lo, s2
	v_and_b32_e32 v79, 0x7f800000, v70
	s_delay_alu instid0(VALU_DEP_1) | instskip(SKIP_1) | instid1(SALU_CYCLE_1)
	v_cmp_ne_u32_e32 vcc_lo, 0x7f800000, v79
                                        ; implicit-def: $vgpr79
	s_and_saveexec_b32 s2, vcc_lo
	s_xor_b32 s2, exec_lo, s2
; %bb.73:
	v_bfe_u32 v79, v70, 16, 1
	s_delay_alu instid0(VALU_DEP_1)
	v_add3_u32 v79, v70, v79, 0x7fff
                                        ; implicit-def: $vgpr70
; %bb.74:
	s_and_not1_saveexec_b32 s2, s2
; %bb.75:
	v_and_b32_e32 v79, 0xffff, v70
	v_or_b32_e32 v83, 0x10000, v70
	s_delay_alu instid0(VALU_DEP_2) | instskip(NEXT) | instid1(VALU_DEP_2)
	v_cmp_eq_u32_e32 vcc_lo, 0, v79
	v_cndmask_b32_e32 v79, v83, v70, vcc_lo
; %bb.76:
	s_or_b32 exec_lo, exec_lo, s2
	s_delay_alu instid0(VALU_DEP_1)
	v_perm_b32 v86, v79, v78, 0x7060302
	v_perm_b32 v85, v77, v82, 0x7060302
	;; [unrolled: 1-line block ×4, first 2 shown]
	v_lshl_or_b32 v82, v66, 11, v80
	ds_store_b128 v76, v[83:86] offset:1024
	s_waitcnt lgkmcnt(0)
	s_barrier
	buffer_gl0_inv
	ds_load_b128 v[69:72], v82
	ds_load_b128 v[83:86], v82 offset:16
	s_waitcnt lgkmcnt(1)
	v_lshrrev_b32_e32 v66, 16, v69
	s_waitcnt lgkmcnt(0)
	v_lshrrev_b32_e32 v91, 16, v83
	v_lshlrev_b32_e32 v78, 2, v74
	v_lshrrev_b32_e32 v95, 16, v70
	v_lshrrev_b32_e32 v98, 16, v84
	;; [unrolled: 1-line block ×4, first 2 shown]
	v_cmp_eq_u32_e32 vcc_lo, 1, v78
	v_lshrrev_b32_e32 v97, 16, v72
	v_lshrrev_b32_e32 v100, 16, v86
	v_cndmask_b32_e32 v87, v83, v91, vcc_lo
	v_or_b32_e32 v79, 1, v78
	v_cndmask_b32_e32 v81, v69, v66, vcc_lo
	v_cmp_eq_u32_e64 s3, 2, v78
	v_cmp_eq_u32_e64 s6, 3, v78
	;; [unrolled: 1-line block ×5, first 2 shown]
	v_cndmask_b32_e64 v81, v81, v70, s3
	v_cndmask_b32_e64 v87, v87, v84, s3
	v_cmp_eq_u32_e64 s7, 3, v79
	v_cndmask_b32_e64 v88, v69, v66, s2
	v_or_b32_e32 v77, 2, v78
	v_cndmask_b32_e64 v81, v81, v95, s6
	v_cndmask_b32_e64 v87, v87, v98, s6
	;; [unrolled: 1-line block ×4, first 2 shown]
	v_cmp_eq_u32_e64 s9, 5, v78
	v_cndmask_b32_e64 v81, v81, v71, s8
	v_cndmask_b32_e64 v87, v87, v85, s8
	v_cmp_eq_u32_e64 s10, 4, v79
	v_cndmask_b32_e64 v88, v88, v95, s7
	v_cmp_eq_u32_e64 s4, 1, v77
	v_cndmask_b32_e64 v89, v89, v84, s5
	v_cndmask_b32_e64 v81, v81, v96, s9
	v_cmp_eq_u32_e64 s11, 6, v78
	v_cndmask_b32_e64 v88, v88, v71, s10
	;; [unrolled: 3-line block ×3, first 2 shown]
	v_cndmask_b32_e64 v89, v89, v98, s7
	v_cndmask_b32_e64 v81, v81, v72, s11
	v_cmp_eq_u32_e64 s13, 7, v78
	v_cndmask_b32_e64 v88, v88, v96, s12
	v_cndmask_b32_e64 v87, v87, v86, s11
	v_cmp_eq_u32_e64 s15, 6, v79
	v_cmp_eq_u32_e64 s16, 2, v77
	v_cndmask_b32_e64 v89, v89, v85, s10
	v_cndmask_b32_e64 v101, v81, v97, s13
	;; [unrolled: 1-line block ×6, first 2 shown]
	v_cmp_eq_u32_e64 s17, 7, v79
	v_cmp_eq_u32_e64 s18, 3, v77
	;; [unrolled: 1-line block ×4, first 2 shown]
	v_cndmask_b32_e64 v87, v87, v84, s16
	v_cndmask_b32_e64 v103, v88, v97, s17
	;; [unrolled: 1-line block ×4, first 2 shown]
	v_or_b32_e32 v81, 3, v78
	v_cndmask_b32_e64 v93, v87, v98, s18
	v_cmp_eq_u32_e64 s23, 6, v77
	v_cndmask_b32_e64 v104, v88, v86, s15
	v_cndmask_b32_e64 v92, v89, v71, s19
	v_cmp_eq_u32_e64 s20, 1, v81
	ds_load_b128 v[87:90], v82 offset:1024
	v_cmp_eq_u32_e64 s22, 2, v81
	v_cmp_eq_u32_e64 s24, 3, v81
	v_cndmask_b32_e64 v105, v92, v96, s21
	v_cndmask_b32_e64 v66, v69, v66, s20
	;; [unrolled: 1-line block ×4, first 2 shown]
	ds_load_b128 v[91:94], v82 offset:1040
	v_cmp_eq_u32_e64 s25, 4, v81
	v_cndmask_b32_e64 v66, v66, v70, s22
	v_cmp_eq_u32_e64 s26, 7, v77
	v_cndmask_b32_e64 v70, v83, v84, s22
	v_cndmask_b32_e64 v84, v105, v72, s23
	v_cmp_eq_u32_e64 s27, 5, v81
	v_cndmask_b32_e64 v66, v66, v95, s24
	v_cmp_eq_u32_e64 s28, 6, v81
	v_cndmask_b32_e64 v70, v70, v98, s24
	v_cndmask_b32_e64 v69, v69, v99, s21
	;; [unrolled: 1-line block ×4, first 2 shown]
	s_waitcnt lgkmcnt(1)
	v_lshrrev_b32_e32 v95, 16, v87
	v_cndmask_b32_e64 v70, v70, v85, s25
	v_cndmask_b32_e64 v71, v84, v97, s26
	;; [unrolled: 1-line block ×4, first 2 shown]
	v_cndmask_b32_e32 v84, v87, v95, vcc_lo
	v_cndmask_b32_e64 v70, v70, v99, s27
	s_waitcnt lgkmcnt(0)
	v_lshrrev_b32_e32 v85, 16, v91
	v_lshrrev_b32_e32 v96, 16, v88
	v_cndmask_b32_e64 v98, v87, v95, s2
	v_cndmask_b32_e64 v84, v84, v88, s3
	;; [unrolled: 1-line block ×3, first 2 shown]
	v_cndmask_b32_e32 v99, v91, v85, vcc_lo
	v_cmp_eq_u32_e32 vcc_lo, 7, v81
	v_cndmask_b32_e64 v66, v66, v72, s28
	v_cndmask_b32_e64 v72, v84, v96, s6
	;; [unrolled: 1-line block ×3, first 2 shown]
	v_lshrrev_b32_e32 v98, 16, v92
	v_cndmask_b32_e32 v70, v70, v100, vcc_lo
	v_cndmask_b32_e64 v86, v99, v92, s3
	v_cndmask_b32_e64 v69, v69, v100, s26
	v_lshrrev_b32_e32 v100, 16, v93
	v_cndmask_b32_e64 v72, v72, v89, s8
	v_lshrrev_b32_e32 v99, 16, v89
	v_cndmask_b32_e64 v86, v86, v98, s6
	v_perm_b32 v71, v69, v71, 0x5040100
	v_cndmask_b32_e64 v84, v84, v96, s7
	s_delay_alu instid0(VALU_DEP_3) | instskip(NEXT) | instid1(VALU_DEP_2)
	v_cndmask_b32_e64 v86, v86, v93, s8
	v_cndmask_b32_e64 v84, v84, v89, s10
	s_delay_alu instid0(VALU_DEP_2) | instskip(NEXT) | instid1(VALU_DEP_1)
	v_cndmask_b32_e64 v86, v86, v100, s9
	v_cndmask_b32_e64 v69, v86, v94, s11
	;; [unrolled: 1-line block ×5, first 2 shown]
	s_delay_alu instid0(VALU_DEP_3) | instskip(NEXT) | instid1(VALU_DEP_3)
	v_cndmask_b32_e64 v86, v86, v88, s16
	v_cndmask_b32_e64 v87, v87, v88, s22
	s_delay_alu instid0(VALU_DEP_3) | instskip(NEXT) | instid1(VALU_DEP_3)
	v_cndmask_b32_e64 v88, v95, v92, s22
	v_cndmask_b32_e64 v86, v86, v96, s18
	s_delay_alu instid0(VALU_DEP_3) | instskip(NEXT) | instid1(VALU_DEP_3)
	v_cndmask_b32_e64 v87, v87, v96, s24
	v_cndmask_b32_e64 v88, v88, v98, s24
	s_delay_alu instid0(VALU_DEP_3) | instskip(NEXT) | instid1(VALU_DEP_3)
	v_cndmask_b32_e64 v86, v86, v89, s19
	v_cndmask_b32_e64 v87, v87, v89, s25
	s_delay_alu instid0(VALU_DEP_3) | instskip(NEXT) | instid1(VALU_DEP_3)
	v_cndmask_b32_e64 v88, v88, v93, s25
	v_cndmask_b32_e64 v86, v86, v99, s21
	s_delay_alu instid0(VALU_DEP_3) | instskip(NEXT) | instid1(VALU_DEP_3)
	v_cndmask_b32_e64 v87, v87, v99, s27
	v_cndmask_b32_e64 v88, v88, v100, s27
	s_delay_alu instid0(VALU_DEP_3) | instskip(NEXT) | instid1(VALU_DEP_3)
	v_cndmask_b32_e64 v86, v86, v90, s23
	v_cndmask_b32_e64 v87, v87, v90, s28
	s_delay_alu instid0(VALU_DEP_3) | instskip(SKIP_2) | instid1(VALU_DEP_2)
	v_cndmask_b32_e64 v88, v88, v94, s28
	v_cndmask_b32_e32 v66, v66, v97, vcc_lo
	v_cndmask_b32_e64 v97, v72, v99, s9
	v_perm_b32 v72, v70, v66, 0x5040100
	v_perm_b32 v70, v83, v103, 0x5040100
	v_cndmask_b32_e64 v103, v91, v85, s4
	v_cndmask_b32_e64 v85, v91, v85, s2
	;; [unrolled: 1-line block ×4, first 2 shown]
	v_lshrrev_b32_e32 v97, 16, v90
	v_cndmask_b32_e64 v91, v103, v92, s16
	v_cndmask_b32_e64 v85, v85, v92, s5
	v_cndmask_b32_e64 v66, v66, v90, s15
	s_mov_b32 s2, exec_lo
	v_cndmask_b32_e64 v83, v84, v97, s13
	v_cndmask_b32_e64 v91, v91, v98, s18
	v_cndmask_b32_e64 v85, v85, v98, s7
	v_lshrrev_b32_e32 v84, 16, v94
	v_cndmask_b32_e64 v66, v66, v97, s17
	v_cndmask_b32_e64 v90, v86, v97, s26
	;; [unrolled: 1-line block ×4, first 2 shown]
	v_dual_cndmask_b32 v86, v87, v97 :: v_dual_cndmask_b32 v87, v88, v84
	v_cndmask_b32_e64 v91, v69, v84, s13
	s_delay_alu instid0(VALU_DEP_4) | instskip(NEXT) | instid1(VALU_DEP_4)
	v_cndmask_b32_e64 v89, v89, v100, s21
	v_cndmask_b32_e64 v85, v85, v100, s12
	v_perm_b32 v69, v102, v101, 0x5040100
	v_perm_b32 v86, v87, v86, 0x5040100
	v_perm_b32 v83, v91, v83, 0x5040100
	v_cndmask_b32_e64 v89, v89, v94, s23
	v_cndmask_b32_e64 v85, v85, v94, s15
	s_mul_i32 s7, s35, 6
	s_delay_alu instid0(VALU_DEP_2) | instskip(NEXT) | instid1(VALU_DEP_2)
	v_cndmask_b32_e64 v88, v89, v84, s26
	v_cndmask_b32_e64 v89, v85, v84, s17
	s_delay_alu instid0(VALU_DEP_2) | instskip(NEXT) | instid1(VALU_DEP_2)
	v_perm_b32 v85, v88, v90, 0x5040100
	v_perm_b32 v84, v89, v66, 0x5040100
	ds_store_b128 v76, v[69:72]
	ds_store_b128 v76, v[83:86] offset:1024
	v_cmpx_gt_u32_e32 6, v0
	s_cbranch_execz .LBB1591_78
; %bb.77:
	s_mul_i32 s3, s7, s30
	s_load_b128 s[8:11], s[0:1], 0x58
	v_add3_u32 v69, s3, s29, v65
	s_delay_alu instid0(VALU_DEP_1) | instskip(NEXT) | instid1(VALU_DEP_1)
	v_mad_u64_u32 v[65:66], null, v69, s34, s[14:15]
	v_ashrrev_i32_e32 v66, 31, v65
	s_delay_alu instid0(VALU_DEP_1) | instskip(SKIP_1) | instid1(VALU_DEP_1)
	v_lshlrev_b64 v[65:66], 2, v[65:66]
	s_waitcnt lgkmcnt(0)
	v_add_co_u32 v69, vcc_lo, s10, v65
	s_delay_alu instid0(VALU_DEP_2)
	v_add_co_ci_u32_e32 v70, vcc_lo, s11, v66, vcc_lo
	v_add_co_u32 v65, vcc_lo, s8, v65
	v_add_co_ci_u32_e32 v66, vcc_lo, s9, v66, vcc_lo
	global_store_b32 v[69:70], v67, off
	global_store_b32 v[65:66], v68, off
.LBB1591_78:
	s_or_b32 exec_lo, exec_lo, s2
	s_waitcnt lgkmcnt(0)
	s_waitcnt_vscnt null, 0x0
	s_barrier
	buffer_gl0_inv
	ds_load_b128 v[83:86], v80
	ds_load_b128 v[87:90], v80 offset:16
	ds_load_b128 v[95:98], v80 offset:2064
	;; [unrolled: 1-line block ×3, first 2 shown]
	v_mov_b32_e32 v65, 0
	ds_load_b128 v[103:106], v80 offset:4112
	ds_load_b128 v[99:102], v80 offset:4096
	;; [unrolled: 1-line block ×4, first 2 shown]
	v_mov_b32_e32 v66, v65
	v_mov_b32_e32 v67, v65
	;; [unrolled: 1-line block ×7, first 2 shown]
	s_waitcnt lgkmcnt(6)
	s_delay_alu instid0(VALU_DEP_1)
	v_wmma_f32_16x16x16_bf16 v[65:72], v[41:48], v[83:90], v[65:72]
	ds_load_b128 v[45:48], v80 offset:8208
	ds_load_b128 v[41:44], v80 offset:8192
	s_waitcnt lgkmcnt(6)
	v_wmma_f32_16x16x16_bf16 v[65:72], v[33:40], v[91:98], v[65:72]
	ds_load_b128 v[37:40], v80 offset:10256
	ds_load_b128 v[33:36], v80 offset:10240
	s_waitcnt lgkmcnt(6)
	;; [unrolled: 4-line block ×4, first 2 shown]
	v_wmma_f32_16x16x16_bf16 v[65:72], v[1:8], v[41:48], v[65:72]
	s_waitcnt lgkmcnt(4)
	s_delay_alu instid0(VALU_DEP_1) | instskip(SKIP_1) | instid1(VALU_DEP_1)
	v_wmma_f32_16x16x16_bf16 v[65:72], v[9:16], v[33:40], v[65:72]
	s_waitcnt lgkmcnt(2)
	v_wmma_f32_16x16x16_bf16 v[65:72], v[57:64], v[25:32], v[65:72]
	s_waitcnt lgkmcnt(0)
	s_delay_alu instid0(VALU_DEP_1) | instskip(NEXT) | instid1(VALU_DEP_1)
	v_wmma_f32_16x16x16_bf16 v[65:72], v[49:56], v[17:24], v[65:72]
	v_and_b32_e32 v1, 0x7f800000, v65
	s_delay_alu instid0(VALU_DEP_1) | instskip(SKIP_1) | instid1(SALU_CYCLE_1)
	v_cmp_ne_u32_e32 vcc_lo, 0x7f800000, v1
                                        ; implicit-def: $vgpr1
	s_and_saveexec_b32 s2, vcc_lo
	s_xor_b32 s2, exec_lo, s2
; %bb.79:
	v_bfe_u32 v1, v65, 16, 1
	s_delay_alu instid0(VALU_DEP_1)
	v_add3_u32 v1, v65, v1, 0x7fff
; %bb.80:
	s_and_not1_saveexec_b32 s2, s2
; %bb.81:
	v_and_b32_e32 v1, 0xffff, v65
	v_or_b32_e32 v2, 0x10000, v65
	s_delay_alu instid0(VALU_DEP_2) | instskip(NEXT) | instid1(VALU_DEP_2)
	v_cmp_eq_u32_e32 vcc_lo, 0, v1
	v_cndmask_b32_e32 v1, v2, v65, vcc_lo
; %bb.82:
	s_or_b32 exec_lo, exec_lo, s2
	v_and_b32_e32 v2, 0x7f800000, v66
	s_delay_alu instid0(VALU_DEP_1) | instskip(SKIP_1) | instid1(SALU_CYCLE_1)
	v_cmp_ne_u32_e32 vcc_lo, 0x7f800000, v2
                                        ; implicit-def: $vgpr2
	s_and_saveexec_b32 s2, vcc_lo
	s_xor_b32 s2, exec_lo, s2
; %bb.83:
	v_bfe_u32 v2, v66, 16, 1
	s_delay_alu instid0(VALU_DEP_1)
	v_add3_u32 v2, v66, v2, 0x7fff
; %bb.84:
	s_and_not1_saveexec_b32 s2, s2
; %bb.85:
	v_and_b32_e32 v2, 0xffff, v66
	v_or_b32_e32 v3, 0x10000, v66
	s_delay_alu instid0(VALU_DEP_2) | instskip(NEXT) | instid1(VALU_DEP_2)
	v_cmp_eq_u32_e32 vcc_lo, 0, v2
	v_cndmask_b32_e32 v2, v3, v66, vcc_lo
; %bb.86:
	s_or_b32 exec_lo, exec_lo, s2
	v_and_b32_e32 v3, 0x7f800000, v67
	s_delay_alu instid0(VALU_DEP_1) | instskip(SKIP_1) | instid1(SALU_CYCLE_1)
	v_cmp_ne_u32_e32 vcc_lo, 0x7f800000, v3
                                        ; implicit-def: $vgpr3
	s_and_saveexec_b32 s2, vcc_lo
	s_xor_b32 s2, exec_lo, s2
; %bb.87:
	v_bfe_u32 v3, v67, 16, 1
	s_delay_alu instid0(VALU_DEP_1)
	v_add3_u32 v3, v67, v3, 0x7fff
; %bb.88:
	s_and_not1_saveexec_b32 s2, s2
; %bb.89:
	v_and_b32_e32 v3, 0xffff, v67
	v_or_b32_e32 v4, 0x10000, v67
	s_delay_alu instid0(VALU_DEP_2) | instskip(NEXT) | instid1(VALU_DEP_2)
	v_cmp_eq_u32_e32 vcc_lo, 0, v3
	v_cndmask_b32_e32 v3, v4, v67, vcc_lo
; %bb.90:
	s_or_b32 exec_lo, exec_lo, s2
	v_and_b32_e32 v4, 0x7f800000, v68
	s_delay_alu instid0(VALU_DEP_1) | instskip(SKIP_1) | instid1(SALU_CYCLE_1)
	v_cmp_ne_u32_e32 vcc_lo, 0x7f800000, v4
                                        ; implicit-def: $vgpr4
	s_and_saveexec_b32 s2, vcc_lo
	s_xor_b32 s2, exec_lo, s2
; %bb.91:
	v_bfe_u32 v4, v68, 16, 1
	s_delay_alu instid0(VALU_DEP_1)
	v_add3_u32 v4, v68, v4, 0x7fff
; %bb.92:
	s_and_not1_saveexec_b32 s2, s2
; %bb.93:
	v_and_b32_e32 v4, 0xffff, v68
	v_or_b32_e32 v5, 0x10000, v68
	s_delay_alu instid0(VALU_DEP_2) | instskip(NEXT) | instid1(VALU_DEP_2)
	v_cmp_eq_u32_e32 vcc_lo, 0, v4
	v_cndmask_b32_e32 v4, v5, v68, vcc_lo
; %bb.94:
	s_or_b32 exec_lo, exec_lo, s2
	v_and_b32_e32 v5, 0x7f800000, v69
	s_delay_alu instid0(VALU_DEP_1) | instskip(SKIP_1) | instid1(SALU_CYCLE_1)
	v_cmp_ne_u32_e32 vcc_lo, 0x7f800000, v5
                                        ; implicit-def: $vgpr5
	s_and_saveexec_b32 s2, vcc_lo
	s_xor_b32 s2, exec_lo, s2
; %bb.95:
	v_bfe_u32 v5, v69, 16, 1
	s_delay_alu instid0(VALU_DEP_1)
	v_add3_u32 v5, v69, v5, 0x7fff
; %bb.96:
	s_and_not1_saveexec_b32 s2, s2
; %bb.97:
	v_and_b32_e32 v5, 0xffff, v69
	v_or_b32_e32 v6, 0x10000, v69
	s_delay_alu instid0(VALU_DEP_2) | instskip(NEXT) | instid1(VALU_DEP_2)
	v_cmp_eq_u32_e32 vcc_lo, 0, v5
	v_cndmask_b32_e32 v5, v6, v69, vcc_lo
; %bb.98:
	s_or_b32 exec_lo, exec_lo, s2
	v_and_b32_e32 v6, 0x7f800000, v70
	s_delay_alu instid0(VALU_DEP_1) | instskip(SKIP_1) | instid1(SALU_CYCLE_1)
	v_cmp_ne_u32_e32 vcc_lo, 0x7f800000, v6
                                        ; implicit-def: $vgpr6
	s_and_saveexec_b32 s2, vcc_lo
	s_xor_b32 s2, exec_lo, s2
; %bb.99:
	v_bfe_u32 v6, v70, 16, 1
	s_delay_alu instid0(VALU_DEP_1)
	v_add3_u32 v6, v70, v6, 0x7fff
; %bb.100:
	s_and_not1_saveexec_b32 s2, s2
; %bb.101:
	v_and_b32_e32 v6, 0xffff, v70
	v_or_b32_e32 v7, 0x10000, v70
	s_delay_alu instid0(VALU_DEP_2) | instskip(NEXT) | instid1(VALU_DEP_2)
	v_cmp_eq_u32_e32 vcc_lo, 0, v6
	v_cndmask_b32_e32 v6, v7, v70, vcc_lo
; %bb.102:
	s_or_b32 exec_lo, exec_lo, s2
	v_and_b32_e32 v7, 0x7f800000, v71
	s_delay_alu instid0(VALU_DEP_1) | instskip(SKIP_1) | instid1(SALU_CYCLE_1)
	v_cmp_ne_u32_e32 vcc_lo, 0x7f800000, v7
                                        ; implicit-def: $vgpr7
	s_and_saveexec_b32 s2, vcc_lo
	s_xor_b32 s2, exec_lo, s2
; %bb.103:
	v_bfe_u32 v7, v71, 16, 1
	s_delay_alu instid0(VALU_DEP_1)
	v_add3_u32 v7, v71, v7, 0x7fff
; %bb.104:
	s_and_not1_saveexec_b32 s2, s2
; %bb.105:
	v_and_b32_e32 v7, 0xffff, v71
	v_or_b32_e32 v8, 0x10000, v71
	s_delay_alu instid0(VALU_DEP_2) | instskip(NEXT) | instid1(VALU_DEP_2)
	v_cmp_eq_u32_e32 vcc_lo, 0, v7
	v_cndmask_b32_e32 v7, v8, v71, vcc_lo
; %bb.106:
	s_or_b32 exec_lo, exec_lo, s2
	v_and_b32_e32 v8, 0x7f800000, v72
	s_delay_alu instid0(VALU_DEP_1) | instskip(SKIP_1) | instid1(SALU_CYCLE_1)
	v_cmp_ne_u32_e32 vcc_lo, 0x7f800000, v8
                                        ; implicit-def: $vgpr8
	s_and_saveexec_b32 s2, vcc_lo
	s_xor_b32 s2, exec_lo, s2
; %bb.107:
	v_bfe_u32 v8, v72, 16, 1
	s_delay_alu instid0(VALU_DEP_1)
	v_add3_u32 v8, v72, v8, 0x7fff
                                        ; implicit-def: $vgpr65_vgpr66_vgpr67_vgpr68_vgpr69_vgpr70_vgpr71_vgpr72
; %bb.108:
	s_and_not1_saveexec_b32 s2, s2
; %bb.109:
	v_and_b32_e32 v8, 0xffff, v72
	v_or_b32_e32 v9, 0x10000, v72
	s_delay_alu instid0(VALU_DEP_2) | instskip(NEXT) | instid1(VALU_DEP_2)
	v_cmp_eq_u32_e32 vcc_lo, 0, v8
	v_cndmask_b32_e32 v8, v9, v72, vcc_lo
; %bb.110:
	s_or_b32 exec_lo, exec_lo, s2
	s_delay_alu instid0(VALU_DEP_1)
	v_perm_b32 v7, v8, v7, 0x7060302
	v_perm_b32 v6, v6, v5, 0x7060302
	v_perm_b32 v5, v4, v3, 0x7060302
	v_perm_b32 v4, v2, v1, 0x7060302
	s_barrier
	buffer_gl0_inv
	v_cmp_eq_u32_e32 vcc_lo, 1, v78
	ds_store_b128 v76, v[4:7]
	s_waitcnt lgkmcnt(0)
	s_barrier
	buffer_gl0_inv
	ds_load_b128 v[1:4], v82
	ds_load_b128 v[5:8], v82 offset:16
	v_cmp_eq_u32_e64 s2, 1, v79
	v_cmp_eq_u32_e64 s3, 2, v78
	;; [unrolled: 1-line block ×5, first 2 shown]
	s_waitcnt lgkmcnt(1)
	v_lshrrev_b32_e32 v9, 16, v1
	s_waitcnt lgkmcnt(0)
	v_lshrrev_b32_e32 v13, 16, v5
	v_lshrrev_b32_e32 v10, 16, v2
	;; [unrolled: 1-line block ×4, first 2 shown]
	v_cndmask_b32_e64 v19, v1, v9, s2
	v_cndmask_b32_e32 v18, v5, v13, vcc_lo
	v_cndmask_b32_e64 v20, v5, v13, s2
	v_cndmask_b32_e32 v17, v1, v9, vcc_lo
	v_cmp_eq_u32_e32 vcc_lo, 2, v79
	v_lshrrev_b32_e32 v15, 16, v7
	v_cmp_eq_u32_e64 s2, 1, v77
	v_lshrrev_b32_e32 v12, 16, v4
	v_lshrrev_b32_e32 v16, 16, v8
	v_cndmask_b32_e32 v20, v20, v6, vcc_lo
	v_cndmask_b32_e64 v17, v17, v2, s3
	v_cndmask_b32_e32 v19, v19, v2, vcc_lo
	v_cndmask_b32_e64 v18, v18, v6, s3
	v_cmp_eq_u32_e32 vcc_lo, 4, v78
	v_cmp_eq_u32_e64 s3, 3, v79
	v_cndmask_b32_e64 v17, v17, v10, s4
	v_cndmask_b32_e64 v21, v1, v9, s2
	;; [unrolled: 1-line block ×5, first 2 shown]
	v_cndmask_b32_e32 v17, v17, v3, vcc_lo
	v_cndmask_b32_e64 v20, v20, v14, s3
	v_cndmask_b32_e32 v18, v18, v7, vcc_lo
	v_cmp_eq_u32_e32 vcc_lo, 4, v79
	v_cmp_eq_u32_e64 s3, 5, v79
	v_cmp_eq_u32_e64 s2, 2, v81
	v_cndmask_b32_e64 v21, v21, v2, s6
	v_cmp_eq_u32_e64 s4, 5, v78
	v_cndmask_b32_e32 v19, v19, v3, vcc_lo
	v_cndmask_b32_e32 v20, v20, v7, vcc_lo
	v_cmp_eq_u32_e32 vcc_lo, 6, v79
	s_delay_alu instid0(VALU_DEP_4) | instskip(NEXT) | instid1(VALU_DEP_4)
	v_cndmask_b32_e64 v17, v17, v11, s4
	v_cndmask_b32_e64 v19, v19, v11, s3
	s_delay_alu instid0(VALU_DEP_4) | instskip(SKIP_1) | instid1(VALU_DEP_3)
	v_cndmask_b32_e64 v20, v20, v15, s3
	v_cmp_eq_u32_e64 s3, 1, v81
	v_cndmask_b32_e32 v19, v19, v4, vcc_lo
	v_cndmask_b32_e64 v18, v18, v15, s4
	s_delay_alu instid0(VALU_DEP_3)
	v_cndmask_b32_e64 v1, v1, v9, s3
	v_cndmask_b32_e64 v5, v5, v13, s3
	v_cmp_eq_u32_e64 s3, 3, v77
	v_cndmask_b32_e64 v13, v22, v6, s6
	v_cmp_eq_u32_e64 s6, 3, v81
	v_cndmask_b32_e64 v1, v1, v2, s2
	v_cndmask_b32_e64 v2, v5, v6, s2
	;; [unrolled: 1-line block ×3, first 2 shown]
	v_cmp_eq_u32_e64 s2, 4, v77
	v_cndmask_b32_e64 v6, v13, v14, s3
	v_cndmask_b32_e64 v1, v1, v10, s6
	v_cmp_eq_u32_e64 s3, 4, v81
	v_cndmask_b32_e64 v2, v2, v14, s6
	v_cndmask_b32_e64 v5, v9, v3, s2
	;; [unrolled: 3-line block ×3, first 2 shown]
	v_cndmask_b32_e64 v2, v2, v7, s3
	v_cmp_eq_u32_e64 s2, 5, v81
	v_cmp_eq_u32_e64 s4, 6, v78
	v_cndmask_b32_e64 v5, v5, v11, s6
	v_cmp_eq_u32_e64 s3, 6, v77
	v_cndmask_b32_e64 v3, v6, v15, s6
	v_cndmask_b32_e64 v1, v1, v11, s2
	v_cmp_eq_u32_e64 s6, 6, v81
	v_cndmask_b32_e64 v2, v2, v15, s2
	v_cndmask_b32_e64 v17, v17, v4, s4
	v_cndmask_b32_e64 v18, v18, v8, s4
	v_cmp_eq_u32_e64 s4, 7, v78
	v_cndmask_b32_e64 v5, v5, v4, s3
	;; [unrolled: 4-line block ×3, first 2 shown]
	v_cmp_eq_u32_e64 s3, 7, v77
	v_cndmask_b32_e32 v4, v20, v8, vcc_lo
	v_cndmask_b32_e64 v17, v17, v12, s4
	v_cndmask_b32_e64 v19, v19, v12, s5
	;; [unrolled: 1-line block ×8, first 2 shown]
	s_mov_b32 s2, exec_lo
	v_perm_b32 v4, v2, v1, 0x5040100
	v_perm_b32 v3, v3, v5, 0x5040100
	;; [unrolled: 1-line block ×4, first 2 shown]
	ds_store_b128 v76, v[1:4]
	s_waitcnt lgkmcnt(0)
	s_barrier
	buffer_gl0_inv
	v_cmpx_gt_u32_e32 32, v0
	s_cbranch_execz .LBB1591_2
; %bb.111:
	s_load_b64 s[0:1], s[0:1], 0x68
	s_lshl_b32 s4, s34, 7
	v_or_b32_e32 v3, s29, v74
	s_mul_i32 s2, s4, s30
	v_lshlrev_b32_e32 v0, 10, v0
	s_mul_i32 s2, s2, s7
	v_lshlrev_b32_e32 v1, 4, v75
	s_ashr_i32 s3, s2, 31
	v_mul_lo_u32 v12, v3, s4
	s_lshl_b64 s[2:3], s[2:3], 1
	v_lshlrev_b32_e32 v2, 6, v74
	v_and_b32_e32 v0, 0x3800, v0
	s_delay_alu instid0(VALU_DEP_1) | instskip(NEXT) | instid1(VALU_DEP_4)
	v_or3_b32 v8, v0, v1, v2
	v_ashrrev_i32_e32 v13, 31, v12
	ds_load_b128 v[0:3], v8
	ds_load_b128 v[4:7], v8 offset:128
	ds_load_b128 v[8:11], v8 offset:256
	s_waitcnt lgkmcnt(0)
	s_add_u32 s2, s0, s2
	s_addc_u32 s3, s1, s3
	s_lshl_b32 s0, s14, 7
	s_delay_alu instid0(SALU_CYCLE_1) | instskip(NEXT) | instid1(SALU_CYCLE_1)
	s_ashr_i32 s1, s0, 31
	s_lshl_b64 s[0:1], s[0:1], 1
	s_delay_alu instid0(SALU_CYCLE_1)
	s_add_u32 s0, s2, s0
	s_addc_u32 s1, s3, s1
	s_lshl_b32 s2, s34, 8
	v_add_co_u32 v18, s0, s0, v73
	v_add_nc_u32_e32 v14, s2, v12
	v_lshlrev_b64 v[12:13], 1, v[12:13]
	v_add_co_ci_u32_e64 v19, null, s1, 0, s0
	s_delay_alu instid0(VALU_DEP_3) | instskip(SKIP_1) | instid1(VALU_DEP_4)
	v_add_nc_u32_e32 v16, s2, v14
	v_ashrrev_i32_e32 v15, 31, v14
	v_add_co_u32 v12, vcc_lo, v18, v12
	s_delay_alu instid0(VALU_DEP_4) | instskip(NEXT) | instid1(VALU_DEP_4)
	v_add_co_ci_u32_e32 v13, vcc_lo, v19, v13, vcc_lo
	v_ashrrev_i32_e32 v17, 31, v16
	s_delay_alu instid0(VALU_DEP_4) | instskip(NEXT) | instid1(VALU_DEP_2)
	v_lshlrev_b64 v[14:15], 1, v[14:15]
	v_lshlrev_b64 v[16:17], 1, v[16:17]
	s_delay_alu instid0(VALU_DEP_2) | instskip(NEXT) | instid1(VALU_DEP_3)
	v_add_co_u32 v14, vcc_lo, v18, v14
	v_add_co_ci_u32_e32 v15, vcc_lo, v19, v15, vcc_lo
	s_delay_alu instid0(VALU_DEP_3) | instskip(NEXT) | instid1(VALU_DEP_4)
	v_add_co_u32 v16, vcc_lo, v18, v16
	v_add_co_ci_u32_e32 v17, vcc_lo, v19, v17, vcc_lo
	s_clause 0x2
	global_store_b128 v[12:13], v[0:3], off
	global_store_b128 v[14:15], v[4:7], off
	;; [unrolled: 1-line block ×3, first 2 shown]
	s_nop 0
	s_sendmsg sendmsg(MSG_DEALLOC_VGPRS)
	s_endpgm
	.section	.rodata,"a",@progbits
	.p2align	6, 0x0
	.amdhsa_kernel _Z39paged_attention_ll4mi_QKV_mfma16_kernelI14__hip_bfloat16hLN4vllm18Fp8KVCacheDataTypeE1EhLi32ELi128ELi256ELb1ELi6EL8MFMAType1EEvPKT_PKT0_S9_ifPKiSB_SB_iPKfiiiPfSE_PS4_PT2_iSD_SD_
		.amdhsa_group_segment_fixed_size 17472
		.amdhsa_private_segment_fixed_size 0
		.amdhsa_kernarg_size 400
		.amdhsa_user_sgpr_count 13
		.amdhsa_user_sgpr_dispatch_ptr 0
		.amdhsa_user_sgpr_queue_ptr 0
		.amdhsa_user_sgpr_kernarg_segment_ptr 1
		.amdhsa_user_sgpr_dispatch_id 0
		.amdhsa_user_sgpr_private_segment_size 0
		.amdhsa_wavefront_size32 1
		.amdhsa_uses_dynamic_stack 0
		.amdhsa_enable_private_segment 0
		.amdhsa_system_sgpr_workgroup_id_x 1
		.amdhsa_system_sgpr_workgroup_id_y 1
		.amdhsa_system_sgpr_workgroup_id_z 1
		.amdhsa_system_sgpr_workgroup_info 0
		.amdhsa_system_vgpr_workitem_id 0
		.amdhsa_next_free_vgpr 140
		.amdhsa_next_free_sgpr 36
		.amdhsa_reserve_vcc 1
		.amdhsa_float_round_mode_32 0
		.amdhsa_float_round_mode_16_64 0
		.amdhsa_float_denorm_mode_32 3
		.amdhsa_float_denorm_mode_16_64 3
		.amdhsa_dx10_clamp 1
		.amdhsa_ieee_mode 1
		.amdhsa_fp16_overflow 0
		.amdhsa_workgroup_processor_mode 1
		.amdhsa_memory_ordered 1
		.amdhsa_forward_progress 0
		.amdhsa_shared_vgpr_count 0
		.amdhsa_exception_fp_ieee_invalid_op 0
		.amdhsa_exception_fp_denorm_src 0
		.amdhsa_exception_fp_ieee_div_zero 0
		.amdhsa_exception_fp_ieee_overflow 0
		.amdhsa_exception_fp_ieee_underflow 0
		.amdhsa_exception_fp_ieee_inexact 0
		.amdhsa_exception_int_div_zero 0
	.end_amdhsa_kernel
	.section	.text._Z39paged_attention_ll4mi_QKV_mfma16_kernelI14__hip_bfloat16hLN4vllm18Fp8KVCacheDataTypeE1EhLi32ELi128ELi256ELb1ELi6EL8MFMAType1EEvPKT_PKT0_S9_ifPKiSB_SB_iPKfiiiPfSE_PS4_PT2_iSD_SD_,"axG",@progbits,_Z39paged_attention_ll4mi_QKV_mfma16_kernelI14__hip_bfloat16hLN4vllm18Fp8KVCacheDataTypeE1EhLi32ELi128ELi256ELb1ELi6EL8MFMAType1EEvPKT_PKT0_S9_ifPKiSB_SB_iPKfiiiPfSE_PS4_PT2_iSD_SD_,comdat
.Lfunc_end1591:
	.size	_Z39paged_attention_ll4mi_QKV_mfma16_kernelI14__hip_bfloat16hLN4vllm18Fp8KVCacheDataTypeE1EhLi32ELi128ELi256ELb1ELi6EL8MFMAType1EEvPKT_PKT0_S9_ifPKiSB_SB_iPKfiiiPfSE_PS4_PT2_iSD_SD_, .Lfunc_end1591-_Z39paged_attention_ll4mi_QKV_mfma16_kernelI14__hip_bfloat16hLN4vllm18Fp8KVCacheDataTypeE1EhLi32ELi128ELi256ELb1ELi6EL8MFMAType1EEvPKT_PKT0_S9_ifPKiSB_SB_iPKfiiiPfSE_PS4_PT2_iSD_SD_
                                        ; -- End function
	.section	.AMDGPU.csdata,"",@progbits
; Kernel info:
; codeLenInByte = 8896
; NumSgprs: 38
; NumVgprs: 140
; ScratchSize: 0
; MemoryBound: 0
; FloatMode: 240
; IeeeMode: 1
; LDSByteSize: 17472 bytes/workgroup (compile time only)
; SGPRBlocks: 4
; VGPRBlocks: 17
; NumSGPRsForWavesPerEU: 38
; NumVGPRsForWavesPerEU: 140
; Occupancy: 10
; WaveLimiterHint : 1
; COMPUTE_PGM_RSRC2:SCRATCH_EN: 0
; COMPUTE_PGM_RSRC2:USER_SGPR: 13
; COMPUTE_PGM_RSRC2:TRAP_HANDLER: 0
; COMPUTE_PGM_RSRC2:TGID_X_EN: 1
; COMPUTE_PGM_RSRC2:TGID_Y_EN: 1
; COMPUTE_PGM_RSRC2:TGID_Z_EN: 1
; COMPUTE_PGM_RSRC2:TIDIG_COMP_CNT: 0
	.section	.text._Z39paged_attention_ll4mi_QKV_mfma16_kernelI14__hip_bfloat16hLN4vllm18Fp8KVCacheDataTypeE1EhLi32ELi128ELi256ELb1ELi7EL8MFMAType1EEvPKT_PKT0_S9_ifPKiSB_SB_iPKfiiiPfSE_PS4_PT2_iSD_SD_,"axG",@progbits,_Z39paged_attention_ll4mi_QKV_mfma16_kernelI14__hip_bfloat16hLN4vllm18Fp8KVCacheDataTypeE1EhLi32ELi128ELi256ELb1ELi7EL8MFMAType1EEvPKT_PKT0_S9_ifPKiSB_SB_iPKfiiiPfSE_PS4_PT2_iSD_SD_,comdat
	.protected	_Z39paged_attention_ll4mi_QKV_mfma16_kernelI14__hip_bfloat16hLN4vllm18Fp8KVCacheDataTypeE1EhLi32ELi128ELi256ELb1ELi7EL8MFMAType1EEvPKT_PKT0_S9_ifPKiSB_SB_iPKfiiiPfSE_PS4_PT2_iSD_SD_ ; -- Begin function _Z39paged_attention_ll4mi_QKV_mfma16_kernelI14__hip_bfloat16hLN4vllm18Fp8KVCacheDataTypeE1EhLi32ELi128ELi256ELb1ELi7EL8MFMAType1EEvPKT_PKT0_S9_ifPKiSB_SB_iPKfiiiPfSE_PS4_PT2_iSD_SD_
	.globl	_Z39paged_attention_ll4mi_QKV_mfma16_kernelI14__hip_bfloat16hLN4vllm18Fp8KVCacheDataTypeE1EhLi32ELi128ELi256ELb1ELi7EL8MFMAType1EEvPKT_PKT0_S9_ifPKiSB_SB_iPKfiiiPfSE_PS4_PT2_iSD_SD_
	.p2align	8
	.type	_Z39paged_attention_ll4mi_QKV_mfma16_kernelI14__hip_bfloat16hLN4vllm18Fp8KVCacheDataTypeE1EhLi32ELi128ELi256ELb1ELi7EL8MFMAType1EEvPKT_PKT0_S9_ifPKiSB_SB_iPKfiiiPfSE_PS4_PT2_iSD_SD_,@function
_Z39paged_attention_ll4mi_QKV_mfma16_kernelI14__hip_bfloat16hLN4vllm18Fp8KVCacheDataTypeE1EhLi32ELi128ELi256ELb1ELi7EL8MFMAType1EEvPKT_PKT0_S9_ifPKiSB_SB_iPKfiiiPfSE_PS4_PT2_iSD_SD_: ; @_Z39paged_attention_ll4mi_QKV_mfma16_kernelI14__hip_bfloat16hLN4vllm18Fp8KVCacheDataTypeE1EhLi32ELi128ELi256ELb1ELi7EL8MFMAType1EEvPKT_PKT0_S9_ifPKiSB_SB_iPKfiiiPfSE_PS4_PT2_iSD_SD_
; %bb.0:
	s_load_b64 s[4:5], s[0:1], 0x30
	s_mov_b32 s30, s13
	s_waitcnt lgkmcnt(0)
	s_cmp_lg_u64 s[4:5], 0
	s_cselect_b32 s13, -1, 0
	s_ashr_i32 s31, s30, 31
	s_cmp_eq_u64 s[4:5], 0
	s_cbranch_scc1 .LBB1592_3
; %bb.1:
	s_lshl_b64 s[2:3], s[30:31], 2
	s_delay_alu instid0(SALU_CYCLE_1) | instskip(SKIP_4) | instid1(SALU_CYCLE_1)
	s_add_u32 s2, s4, s2
	s_addc_u32 s3, s5, s3
	s_load_b64 s[2:3], s[2:3], 0x0
	s_waitcnt lgkmcnt(0)
	s_sub_i32 s2, s3, s2
	s_cmp_eq_u32 s2, 1
	s_cselect_b32 s2, -1, 0
	s_delay_alu instid0(SALU_CYCLE_1)
	s_and_not1_b32 vcc_lo, exec_lo, s2
	s_cbranch_vccz .LBB1592_4
.LBB1592_2:
	s_nop 0
	s_sendmsg sendmsg(MSG_DEALLOC_VGPRS)
	s_endpgm
.LBB1592_3:
.LBB1592_4:
	s_load_b64 s[2:3], s[0:1], 0x28
	s_lshl_b64 s[6:7], s[30:31], 2
	s_waitcnt lgkmcnt(0)
	s_add_u32 s2, s2, s6
	s_addc_u32 s3, s3, s7
	s_lshl_b32 s12, s14, 8
	s_load_b32 s17, s[2:3], 0x0
	s_waitcnt lgkmcnt(0)
	s_cmp_ge_i32 s12, s17
	s_cbranch_scc1 .LBB1592_2
; %bb.5:
	s_clause 0x1
	s_load_b128 s[8:11], s[0:1], 0x8
	s_load_b64 s[2:3], s[0:1], 0x20
	s_and_not1_b32 vcc_lo, exec_lo, s13
	s_cbranch_vccnz .LBB1592_7
; %bb.6:
	s_add_u32 s4, s4, s6
	s_addc_u32 s5, s5, s7
	s_load_b32 s13, s[4:5], 0x0
	s_branch .LBB1592_8
.LBB1592_7:
	s_mov_b32 s13, s30
.LBB1592_8:
	s_load_b128 s[4:7], s[0:1], 0x48
	v_and_b32_e32 v65, 15, v0
	v_lshrrev_b32_e32 v66, 5, v0
	v_bfe_u32 v74, v0, 4, 1
	v_and_b32_e32 v67, 31, v0
	v_and_b32_e32 v75, 1, v0
	v_lshlrev_b32_e32 v2, 3, v65
	s_mul_i32 s31, s15, 7
	v_lshl_or_b32 v1, v66, 1, v74
	s_waitcnt lgkmcnt(0)
	s_mov_b32 s7, exec_lo
	v_lshlrev_b32_e32 v73, 1, v2
	s_delay_alu instid0(VALU_DEP_2)
	v_cmpx_gt_u32_e32 7, v1
	s_cbranch_execz .LBB1592_10
; %bb.9:
	s_load_b64 s[18:19], s[0:1], 0x0
	v_add_lshl_u32 v2, v1, s31, 7
	s_mul_hi_i32 s21, s13, s4
	s_mul_i32 s20, s13, s4
	v_lshlrev_b32_e32 v6, 10, v65
	s_lshl_b64 s[20:21], s[20:21], 1
	v_ashrrev_i32_e32 v3, 31, v2
	v_lshlrev_b32_e32 v1, 6, v1
	v_lshlrev_b32_e32 v7, 10, v75
	v_and_b32_e32 v6, 0x3800, v6
	s_delay_alu instid0(VALU_DEP_4) | instskip(NEXT) | instid1(VALU_DEP_2)
	v_lshlrev_b64 v[2:3], 1, v[2:3]
	v_or3_b32 v1, v6, v7, v1
	s_waitcnt lgkmcnt(0)
	s_add_u32 s4, s18, s20
	s_addc_u32 s13, s19, s21
	s_delay_alu instid0(VALU_DEP_2) | instskip(SKIP_1) | instid1(VALU_DEP_2)
	v_add_co_u32 v2, vcc_lo, s4, v2
	v_add_co_ci_u32_e32 v3, vcc_lo, s13, v3, vcc_lo
	v_add_co_u32 v2, vcc_lo, v2, v73
	s_delay_alu instid0(VALU_DEP_2)
	v_add_co_ci_u32_e32 v3, vcc_lo, 0, v3, vcc_lo
	global_load_b128 v[2:5], v[2:3], off
	s_waitcnt vmcnt(0)
	ds_store_b128 v1, v[2:5]
.LBB1592_10:
	s_or_b32 exec_lo, exec_lo, s7
	v_and_b32_e32 v1, 0xef, v0
	s_add_i32 s4, s17, 31
	s_clause 0x1
	s_load_b32 s7, s[0:1], 0x38
	s_load_b32 s18, s[0:1], 0x1c
	s_ashr_i32 s13, s4, 31
	v_add_nc_u32_e32 v2, s12, v1
	s_lshr_b32 s13, s13, 27
	s_waitcnt lgkmcnt(0)
	s_add_i32 s4, s4, s13
	s_barrier
	v_ashrrev_i32_e32 v1, 31, v2
	s_ashr_i32 s4, s4, 5
	v_cmp_gt_i32_e32 vcc_lo, s17, v2
	s_add_i32 s4, s4, -1
	buffer_gl0_inv
	v_lshrrev_b32_e32 v3, 27, v1
	v_or_b32_e32 v1, 16, v2
	s_mul_i32 s15, s15, s6
	s_delay_alu instid0(VALU_DEP_2) | instskip(SKIP_1) | instid1(SALU_CYCLE_1)
	v_add_nc_u32_e32 v4, v2, v3
	s_mul_i32 s20, s30, s7
	s_ashr_i32 s21, s20, 31
	s_delay_alu instid0(VALU_DEP_1) | instskip(SKIP_2) | instid1(SALU_CYCLE_1)
	v_ashrrev_i32_e32 v4, 5, v4
	v_add_nc_u32_e32 v3, v1, v3
	s_lshl_b64 s[20:21], s[20:21], 2
	s_add_u32 s7, s2, s20
	s_delay_alu instid0(VALU_DEP_2) | instskip(NEXT) | instid1(VALU_DEP_2)
	v_cndmask_b32_e32 v2, s4, v4, vcc_lo
	v_ashrrev_i32_e32 v3, 5, v3
	v_cmp_gt_i32_e32 vcc_lo, s17, v1
	s_addc_u32 s13, s3, s21
	s_ashr_i32 s6, s15, 31
	s_add_u32 s2, s8, s15
	s_addc_u32 s3, s9, s6
	v_cndmask_b32_e32 v4, s4, v3, vcc_lo
	v_ashrrev_i32_e32 v3, 31, v2
	s_lshl_b32 s8, s14, 3
	s_delay_alu instid0(SALU_CYCLE_1) | instskip(NEXT) | instid1(VALU_DEP_2)
	s_ashr_i32 s9, s8, 31
	v_ashrrev_i32_e32 v5, 31, v4
	s_delay_alu instid0(VALU_DEP_2) | instskip(SKIP_1) | instid1(SALU_CYCLE_1)
	v_lshlrev_b64 v[1:2], 2, v[2:3]
	s_lshl_b64 s[8:9], s[8:9], 2
	s_add_u32 s8, s7, s8
	s_delay_alu instid0(VALU_DEP_2) | instskip(SKIP_1) | instid1(VALU_DEP_2)
	v_lshlrev_b64 v[3:4], 2, v[4:5]
	s_addc_u32 s9, s13, s9
	v_add_co_u32 v1, vcc_lo, s7, v1
	v_add_co_ci_u32_e32 v2, vcc_lo, s13, v2, vcc_lo
	s_delay_alu instid0(VALU_DEP_3) | instskip(NEXT) | instid1(VALU_DEP_4)
	v_add_co_u32 v3, vcc_lo, s7, v3
	v_add_co_ci_u32_e32 v4, vcc_lo, s13, v4, vcc_lo
	s_clause 0x1
	global_load_b32 v5, v[1:2], off
	global_load_b32 v6, v[3:4], off
	s_or_b32 s16, s12, 32
	s_delay_alu instid0(SALU_CYCLE_1) | instskip(SKIP_2) | instid1(SALU_CYCLE_1)
	s_ashr_i32 s19, s16, 5
	s_cmp_lt_i32 s16, s17
	s_cselect_b32 s20, s19, s4
	s_ashr_i32 s21, s20, 31
	s_delay_alu instid0(SALU_CYCLE_1) | instskip(NEXT) | instid1(SALU_CYCLE_1)
	s_lshl_b64 s[20:21], s[20:21], 2
	s_add_u32 s20, s7, s20
	s_addc_u32 s21, s13, s21
	s_or_b32 s16, s12, 64
	s_delay_alu instid0(SALU_CYCLE_1) | instskip(SKIP_2) | instid1(SALU_CYCLE_1)
	s_ashr_i32 s19, s16, 5
	s_cmp_lt_i32 s16, s17
	s_cselect_b32 s22, s19, s4
	s_ashr_i32 s23, s22, 31
	s_delay_alu instid0(SALU_CYCLE_1) | instskip(NEXT) | instid1(SALU_CYCLE_1)
	s_lshl_b64 s[22:23], s[22:23], 2
	s_add_u32 s22, s7, s22
	s_addc_u32 s23, s13, s23
	;; [unrolled: 10-line block ×5, first 2 shown]
	s_clause 0x5
	s_load_b32 s16, s[8:9], 0x0
	s_load_b32 s19, s[20:21], 0x0
	;; [unrolled: 1-line block ×6, first 2 shown]
	s_mov_b32 s20, 0
	s_delay_alu instid0(SALU_CYCLE_1)
	s_mov_b32 s21, s20
	s_mov_b32 s22, s20
	;; [unrolled: 1-line block ×7, first 2 shown]
	s_delay_alu instid0(SALU_CYCLE_1)
	v_dual_mov_b32 v107, s27 :: v_dual_mov_b32 v106, s26
	v_dual_mov_b32 v105, s25 :: v_dual_mov_b32 v102, s22
	;; [unrolled: 1-line block ×4, first 2 shown]
	s_waitcnt vmcnt(1)
	v_mad_i64_i32 v[1:2], null, v5, s5, s[2:3]
	v_lshlrev_b32_e32 v5, 4, v65
	s_waitcnt vmcnt(0)
	v_mad_i64_i32 v[3:4], null, v6, s5, s[2:3]
	s_or_b32 s2, s12, 0xc0
	s_delay_alu instid0(SALU_CYCLE_1) | instskip(NEXT) | instid1(VALU_DEP_3)
	s_ashr_i32 s3, s2, 5
	v_add_co_u32 v25, vcc_lo, v1, v5
	s_delay_alu instid0(VALU_DEP_4) | instskip(NEXT) | instid1(VALU_DEP_3)
	v_add_co_ci_u32_e32 v26, vcc_lo, 0, v2, vcc_lo
	v_add_co_u32 v27, vcc_lo, v3, v5
	s_delay_alu instid0(VALU_DEP_4)
	v_add_co_ci_u32_e32 v28, vcc_lo, 0, v4, vcc_lo
	s_clause 0xf
	global_load_b128 v[1:4], v[25:26], off
	global_load_b128 v[5:8], v[25:26], off offset:512
	global_load_b128 v[9:12], v[27:28], off offset:256
	;; [unrolled: 1-line block ×15, first 2 shown]
	v_mul_lo_u16 v25, v65, 37
	s_cmp_lt_i32 s2, s17
	v_lshlrev_b32_e32 v26, 5, v65
	s_cselect_b32 s2, s3, s4
	s_delay_alu instid0(VALU_DEP_2) | instskip(SKIP_1) | instid1(VALU_DEP_2)
	v_lshrrev_b16 v25, 8, v25
	s_ashr_i32 s3, s2, 31
	v_lshl_or_b32 v33, v66, 9, v26
	s_lshl_b64 s[2:3], s[2:3], 2
	s_delay_alu instid0(VALU_DEP_2) | instskip(SKIP_3) | instid1(VALU_DEP_1)
	v_mul_lo_u16 v25, v25, 7
	s_add_u32 s2, s7, s2
	s_addc_u32 s3, s13, s3
	s_or_b32 s8, s12, 0xe0
	v_sub_nc_u16 v25, v65, v25
	s_ashr_i32 s9, s8, 5
	s_cmp_lt_i32 s8, s17
	s_cselect_b32 s8, s9, s4
	s_delay_alu instid0(VALU_DEP_1) | instskip(SKIP_1) | instid1(SALU_CYCLE_1)
	v_and_b32_e32 v25, 0xff, v25
	s_ashr_i32 s9, s8, 31
	s_lshl_b64 s[8:9], s[8:9], 2
	s_delay_alu instid0(VALU_DEP_1)
	v_lshlrev_b32_e32 v72, 6, v25
	ds_load_b128 v[25:28], v72
	ds_load_b128 v[29:32], v72 offset:1024
	ds_load_b128 v[108:111], v72 offset:2048
	;; [unrolled: 1-line block ×3, first 2 shown]
	s_load_b32 s4, s[2:3], 0x0
	s_add_u32 s2, s7, s8
	s_addc_u32 s3, s13, s9
	ds_load_b128 v[116:119], v72 offset:4096
	ds_load_b128 v[120:123], v72 offset:5120
	s_load_b32 s2, s[2:3], 0x0
	s_add_u32 s7, s10, s15
	s_addc_u32 s6, s11, s6
	v_add_co_u32 v68, s7, s7, v33
	s_delay_alu instid0(VALU_DEP_1) | instskip(SKIP_1) | instid1(VALU_DEP_1)
	v_add_co_ci_u32_e64 v69, null, s6, 0, s7
	s_waitcnt lgkmcnt(0)
	v_mad_i64_i32 v[33:34], null, s16, s5, v[68:69]
	v_mad_i64_i32 v[70:71], null, s33, s5, v[68:69]
	;; [unrolled: 1-line block ×7, first 2 shown]
	s_clause 0x3
	global_load_b128 v[41:44], v[33:34], off
	global_load_b128 v[45:48], v[33:34], off offset:16
	global_load_b128 v[33:36], v[37:38], off
	global_load_b128 v[37:40], v[37:38], off offset:16
	s_waitcnt vmcnt(18)
	v_wmma_f32_16x16x16_bf16 v[124:131], v[1:8], v[25:32], v[100:107]
	s_waitcnt vmcnt(16)
	v_wmma_f32_16x16x16_bf16 v[100:107], v[9:16], v[25:32], v[100:107]
	s_clause 0x1
	global_load_b128 v[25:28], v[70:71], off
	global_load_b128 v[29:32], v[70:71], off offset:16
	s_waitcnt vmcnt(16)
	v_wmma_f32_16x16x16_bf16 v[124:131], v[17:24], v[108:115], v[124:131]
	s_clause 0x1
	global_load_b128 v[17:20], v[132:133], off
	global_load_b128 v[21:24], v[132:133], off offset:16
	s_waitcnt vmcnt(16)
	v_wmma_f32_16x16x16_bf16 v[100:107], v[49:56], v[108:115], v[100:107]
	v_mad_i64_i32 v[53:54], null, s2, s5, v[68:69]
	s_clause 0x3
	global_load_b128 v[1:4], v[134:135], off
	global_load_b128 v[5:8], v[134:135], off offset:16
	global_load_b128 v[9:12], v[136:137], off
	global_load_b128 v[13:16], v[136:137], off offset:16
	s_waitcnt vmcnt(18)
	v_wmma_f32_16x16x16_bf16 v[124:131], v[57:64], v[116:123], v[124:131]
	s_clause 0x3
	global_load_b128 v[57:60], v[138:139], off
	global_load_b128 v[61:64], v[138:139], off offset:16
	global_load_b128 v[49:52], v[53:54], off
	global_load_b128 v[53:56], v[53:54], off offset:16
	s_waitcnt vmcnt(20)
	v_wmma_f32_16x16x16_bf16 v[100:107], v[76:83], v[116:123], v[100:107]
	ds_load_b128 v[76:79], v72 offset:6144
	ds_load_b128 v[80:83], v72 offset:7168
	v_mbcnt_lo_u32_b32 v69, -1, 0
	s_waitcnt vmcnt(0) lgkmcnt(0)
	s_barrier
	buffer_gl0_inv
	v_xor_b32_e32 v70, 16, v69
	s_delay_alu instid0(VALU_DEP_1) | instskip(SKIP_4) | instid1(VALU_DEP_2)
	v_cmp_gt_i32_e32 vcc_lo, 32, v70
	v_cndmask_b32_e32 v69, v69, v70, vcc_lo
	v_wmma_f32_16x16x16_bf16 v[124:131], v[84:91], v[76:83], v[124:131]
	v_and_b32_e32 v68, 0xe0, v0
	v_wmma_f32_16x16x16_bf16 v[100:107], v[92:99], v[76:83], v[100:107]
	v_dual_mul_f32 v81, s18, v129 :: v_dual_add_nc_u32 v68, s12, v68
	s_delay_alu instid0(VALU_DEP_4) | instskip(NEXT) | instid1(VALU_DEP_3)
	v_dual_mul_f32 v83, s18, v131 :: v_dual_mul_f32 v78, s18, v125
	v_mul_f32_e32 v95, s18, v103
	v_mul_f32_e32 v79, s18, v127
	s_delay_alu instid0(VALU_DEP_4) | instskip(SKIP_3) | instid1(VALU_DEP_4)
	v_or_b32_e32 v68, v68, v74
	v_dual_mul_f32 v80, s18, v126 :: v_dual_mul_f32 v97, s18, v105
	v_dual_mul_f32 v93, s18, v101 :: v_dual_mul_f32 v82, s18, v128
	v_mul_f32_e32 v99, s18, v107
	v_or_b32_e32 v70, 2, v68
	v_or_b32_e32 v71, 4, v68
	;; [unrolled: 1-line block ×3, first 2 shown]
	v_cmp_gt_i32_e64 s2, s17, v68
	v_or_b32_e32 v108, 8, v68
	v_cmp_gt_i32_e32 vcc_lo, s17, v70
	v_mul_f32_e32 v70, s18, v124
	v_or_b32_e32 v109, 10, v68
	v_cmp_gt_i32_e64 s3, s17, v71
	v_cmp_gt_i32_e64 s4, s17, v72
	v_cndmask_b32_e32 v78, 0xff7fffff, v78, vcc_lo
	v_cndmask_b32_e64 v70, 0xff7fffff, v70, s2
	v_or_b32_e32 v84, 12, v68
	v_or_b32_e32 v85, 14, v68
	v_cndmask_b32_e64 v71, 0xff7fffff, v80, s3
	v_cndmask_b32_e64 v72, 0xff7fffff, v79, s4
	v_max3_f32 v70, v70, 0xff7fffff, v78
	v_cmp_gt_i32_e64 s5, s17, v108
	v_cmp_gt_i32_e64 s6, s17, v109
	v_or_b32_e32 v86, 16, v68
	v_or_b32_e32 v87, 18, v68
	;; [unrolled: 1-line block ×3, first 2 shown]
	v_mul_f32_e32 v92, s18, v130
	v_cndmask_b32_e64 v78, 0xff7fffff, v82, s5
	v_cndmask_b32_e64 v79, 0xff7fffff, v81, s6
	v_max3_f32 v70, v70, v71, v72
	v_cmp_gt_i32_e64 s7, s17, v84
	v_cmp_gt_i32_e64 s8, s17, v85
	v_or_b32_e32 v88, 20, v68
	v_mul_f32_e32 v94, s18, v100
	v_max3_f32 v70, v70, v78, v79
	v_cmp_gt_i32_e64 s9, s17, v86
	v_cndmask_b32_e64 v72, 0xff7fffff, v83, s8
	v_cmp_gt_i32_e64 s10, s17, v87
	v_cmp_gt_i32_e64 s12, s17, v89
	v_lshlrev_b32_e32 v89, 2, v69
	v_cndmask_b32_e64 v71, 0xff7fffff, v92, s7
	v_or_b32_e32 v90, 24, v68
	v_or_b32_e32 v91, 26, v68
	v_mul_f32_e32 v96, s18, v102
	v_cndmask_b32_e64 v78, 0xff7fffff, v94, s9
	v_cndmask_b32_e64 v79, 0xff7fffff, v93, s10
	v_max3_f32 v70, v70, v71, v72
	v_cmp_gt_i32_e64 s11, s17, v88
	v_or_b32_e32 v76, 28, v68
	v_or_b32_e32 v77, 30, v68
	v_mul_f32_e32 v98, s18, v104
	v_cndmask_b32_e64 v72, 0xff7fffff, v95, s12
	v_cndmask_b32_e64 v71, 0xff7fffff, v96, s11
	v_max3_f32 v70, v70, v78, v79
	v_cmp_gt_i32_e64 s13, s17, v90
	v_cmp_gt_i32_e64 s15, s17, v91
	v_mul_f32_e32 v68, s18, v106
	v_cmp_gt_i32_e64 s16, s17, v76
	v_max3_f32 v70, v70, v71, v72
	v_cndmask_b32_e64 v78, 0xff7fffff, v98, s13
	v_cndmask_b32_e64 v79, 0xff7fffff, v97, s15
	v_cmp_gt_i32_e64 s17, s17, v77
	v_cndmask_b32_e64 v68, 0xff7fffff, v68, s16
	s_delay_alu instid0(VALU_DEP_3) | instskip(NEXT) | instid1(VALU_DEP_3)
	v_max3_f32 v70, v70, v78, v79
	v_cndmask_b32_e64 v71, 0xff7fffff, v99, s17
	s_delay_alu instid0(VALU_DEP_1) | instskip(SKIP_3) | instid1(VALU_DEP_1)
	v_max3_f32 v68, v70, v68, v71
	ds_bpermute_b32 v69, v89, v68
	s_waitcnt lgkmcnt(0)
	v_max_f32_e32 v69, v69, v69
	v_max_f32_e32 v68, v68, v69
	s_delay_alu instid0(VALU_DEP_1) | instskip(NEXT) | instid1(VALU_DEP_1)
	v_fma_f32 v71, s18, v126, -v68
	v_mul_f32_e32 v71, 0x3fb8aa3b, v71
	s_delay_alu instid0(VALU_DEP_1) | instskip(SKIP_3) | instid1(VALU_DEP_1)
	v_exp_f32_e32 v71, v71
	s_waitcnt_depctr 0xfff
	v_cndmask_b32_e64 v83, 0, v71, s3
	v_fma_f32 v71, s18, v131, -v68
	v_mul_f32_e32 v71, 0x3fb8aa3b, v71
	v_fma_f32 v69, s18, v124, -v68
	v_fma_f32 v76, s18, v128, -v68
	;; [unrolled: 1-line block ×4, first 2 shown]
	v_exp_f32_e32 v71, v71
	v_mul_f32_e32 v69, 0x3fb8aa3b, v69
	v_mul_f32_e32 v77, 0x3fb8aa3b, v76
	v_fma_f32 v81, s18, v105, -v68
	v_fma_f32 v78, s18, v130, -v68
	s_delay_alu instid0(VALU_DEP_4) | instskip(NEXT) | instid1(VALU_DEP_3)
	v_exp_f32_e32 v69, v69
	v_exp_f32_e32 v77, v77
	s_delay_alu instid0(VALU_DEP_2) | instskip(NEXT) | instid1(TRANS32_DEP_3)
	v_mul_f32_e32 v81, 0x3fb8aa3b, v81
	v_cndmask_b32_e64 v88, 0, v71, s8
	v_fma_f32 v71, s18, v104, -v68
	s_delay_alu instid0(VALU_DEP_3) | instskip(NEXT) | instid1(TRANS32_DEP_3)
	v_exp_f32_e32 v81, v81
	v_cndmask_b32_e64 v80, 0, v69, s2
	v_fma_f32 v69, s18, v129, -v68
	v_mul_f32_e32 v70, 0x3fb8aa3b, v70
	s_delay_alu instid0(TRANS32_DEP_2)
	v_cndmask_b32_e64 v86, 0, v77, s5
	v_mul_f32_e32 v72, 0x3fb8aa3b, v72
	v_fma_f32 v77, s18, v101, -v68
	v_mul_f32_e32 v69, 0x3fb8aa3b, v69
	v_exp_f32_e32 v70, v70
	v_mul_f32_e32 v71, 0x3fb8aa3b, v71
	v_exp_f32_e32 v72, v72
	;; [unrolled: 2-line block ×3, first 2 shown]
	v_cmp_gt_u32_e64 s2, 16, v67
	v_exp_f32_e32 v82, v71
	s_delay_alu instid0(VALU_DEP_2) | instskip(SKIP_4) | instid1(TRANS32_DEP_3)
	v_exp_f32_e32 v77, v77
	v_cndmask_b32_e32 v76, 0, v70, vcc_lo
	v_add_f32_e32 v70, 0, v80
	v_cndmask_b32_e64 v85, 0, v72, s4
	v_fma_f32 v72, s18, v100, -v68
	v_cndmask_b32_e64 v87, 0, v69, s6
	s_delay_alu instid0(VALU_DEP_4) | instskip(NEXT) | instid1(VALU_DEP_3)
	v_add_f32_e32 v70, v70, v76
	v_mul_f32_e32 v72, 0x3fb8aa3b, v72
	s_delay_alu instid0(VALU_DEP_2) | instskip(NEXT) | instid1(VALU_DEP_2)
	v_add_f32_e32 v70, v70, v83
	v_exp_f32_e32 v72, v72
	s_delay_alu instid0(VALU_DEP_1) | instskip(NEXT) | instid1(VALU_DEP_1)
	v_add_f32_e32 v70, v70, v85
	v_add_f32_e32 v69, v70, v86
	v_fma_f32 v70, s18, v102, -v68
	s_delay_alu instid0(VALU_DEP_2) | instskip(NEXT) | instid1(VALU_DEP_2)
	v_dual_add_f32 v69, v69, v87 :: v_dual_mul_f32 v78, 0x3fb8aa3b, v78
	v_mul_f32_e32 v70, 0x3fb8aa3b, v70
	s_delay_alu instid0(VALU_DEP_2) | instskip(NEXT) | instid1(VALU_DEP_1)
	v_exp_f32_e32 v78, v78
	v_exp_f32_e32 v79, v70
	s_delay_alu instid0(TRANS32_DEP_3) | instskip(SKIP_4) | instid1(VALU_DEP_2)
	v_cndmask_b32_e64 v70, 0, v72, s9
	s_waitcnt_depctr 0xfff
	v_cndmask_b32_e64 v84, 0, v78, s7
	v_fma_f32 v78, s18, v103, -v68
	v_cndmask_b32_e64 v71, 0, v79, s11
	v_dual_add_f32 v69, v69, v84 :: v_dual_mul_f32 v78, 0x3fb8aa3b, v78
	s_delay_alu instid0(VALU_DEP_1) | instskip(NEXT) | instid1(VALU_DEP_2)
	v_add_f32_e32 v72, v69, v88
	v_exp_f32_e32 v78, v78
	v_cndmask_b32_e64 v69, 0, v77, s10
	v_fma_f32 v77, s18, v106, -v68
	s_delay_alu instid0(VALU_DEP_1) | instskip(NEXT) | instid1(VALU_DEP_1)
	v_dual_add_f32 v72, v72, v70 :: v_dual_mul_f32 v77, 0x3fb8aa3b, v77
	v_add_f32_e32 v79, v72, v69
	s_waitcnt_depctr 0xfff
	v_cndmask_b32_e64 v72, 0, v78, s12
	v_exp_f32_e32 v90, v77
	v_cndmask_b32_e64 v77, 0, v82, s13
	v_add_f32_e32 v78, v79, v71
	v_fma_f32 v79, s18, v107, -v68
	s_delay_alu instid0(VALU_DEP_1) | instskip(SKIP_1) | instid1(VALU_DEP_2)
	v_dual_add_f32 v82, v78, v72 :: v_dual_mul_f32 v79, 0x3fb8aa3b, v79
	v_cndmask_b32_e64 v78, 0, v81, s15
	v_add_f32_e32 v81, v82, v77
	s_delay_alu instid0(VALU_DEP_3) | instskip(NEXT) | instid1(TRANS32_DEP_2)
	v_exp_f32_e32 v82, v79
	v_cndmask_b32_e64 v79, 0, v90, s16
	s_delay_alu instid0(VALU_DEP_2) | instskip(NEXT) | instid1(VALU_DEP_1)
	v_add_f32_e32 v81, v81, v78
	v_add_f32_e32 v90, v81, v79
	s_waitcnt_depctr 0xfff
	v_cndmask_b32_e64 v81, 0, v82, s17
	s_delay_alu instid0(VALU_DEP_1)
	v_add_f32_e32 v82, v90, v81
	ds_bpermute_b32 v89, v89, v82
	s_and_saveexec_b32 s3, s2
	s_cbranch_execz .LBB1592_12
; %bb.11:
	v_mul_u32_u24_e32 v67, 0x44, v66
	s_delay_alu instid0(VALU_DEP_1) | instskip(SKIP_1) | instid1(VALU_DEP_1)
	v_lshl_add_u32 v67, v65, 2, v67
	s_waitcnt lgkmcnt(0)
	v_dual_add_f32 v82, v82, v89 :: v_dual_add_nc_u32 v67, 0x4000, v67
	ds_store_2addr_b32 v67, v68, v82 offset1:136
.LBB1592_12:
	s_or_b32 exec_lo, exec_lo, s3
	v_lshlrev_b32_e32 v67, 2, v65
	s_waitcnt lgkmcnt(0)
	s_barrier
	buffer_gl0_inv
	v_cmp_eq_u32_e32 vcc_lo, 1, v66
	v_add_nc_u32_e32 v82, 0x4000, v67
	v_cmp_eq_u32_e64 s3, 2, v66
	v_cmp_eq_u32_e64 s5, 7, v66
	ds_load_2addr_b32 v[89:90], v82 offset1:17
	ds_load_2addr_b32 v[91:92], v82 offset0:34 offset1:51
	ds_load_2addr_b32 v[93:94], v82 offset0:68 offset1:85
	;; [unrolled: 1-line block ×4, first 2 shown]
	s_waitcnt lgkmcnt(4)
	v_max3_f32 v67, v89, 0xff7fffff, v90
	s_waitcnt lgkmcnt(3)
	s_delay_alu instid0(VALU_DEP_1) | instskip(SKIP_1) | instid1(VALU_DEP_1)
	v_max3_f32 v67, v67, v91, v92
	s_waitcnt lgkmcnt(2)
	v_max3_f32 v67, v67, v93, v94
	s_waitcnt lgkmcnt(1)
	s_delay_alu instid0(VALU_DEP_1) | instskip(NEXT) | instid1(VALU_DEP_1)
	v_max3_f32 v67, v67, v95, v96
	v_sub_f32_e32 v93, v93, v67
	s_delay_alu instid0(VALU_DEP_1) | instskip(NEXT) | instid1(VALU_DEP_1)
	v_dual_sub_f32 v68, v89, v67 :: v_dual_mul_f32 v103, 0x3fb8aa3b, v93
	v_mul_f32_e32 v68, 0x3fb8aa3b, v68
	s_delay_alu instid0(VALU_DEP_1)
	v_exp_f32_e32 v100, v68
	v_sub_f32_e32 v68, v92, v67
	v_sub_f32_e32 v99, v90, v67
	ds_load_2addr_b32 v[89:90], v82 offset0:170 offset1:187
	v_dual_mul_f32 v102, 0x3fb8aa3b, v68 :: v_dual_mul_f32 v99, 0x3fb8aa3b, v99
	s_waitcnt lgkmcnt(1)
	v_fma_f32 v68, v100, v97, 0
	s_delay_alu instid0(VALU_DEP_2) | instskip(NEXT) | instid1(VALU_DEP_2)
	v_exp_f32_e32 v102, v102
	v_exp_f32_e32 v99, v99
	s_waitcnt_depctr 0xfff
	v_fmac_f32_e32 v68, v99, v98
	v_sub_f32_e32 v91, v91, v67
	s_delay_alu instid0(VALU_DEP_1)
	v_mul_f32_e32 v101, 0x3fb8aa3b, v91
	ds_load_2addr_b32 v[91:92], v82 offset0:204 offset1:221
	v_sub_f32_e32 v97, v94, v67
	ds_load_2addr_b32 v[93:94], v82 offset0:238 offset1:255
	s_waitcnt lgkmcnt(0)
	v_exp_f32_e32 v101, v101
	s_barrier
	buffer_gl0_inv
	v_dual_fmac_f32 v68, v101, v89 :: v_dual_sub_f32 v89, v96, v67
	v_dual_sub_f32 v82, v95, v67 :: v_dual_mul_f32 v95, 0x3fb8aa3b, v97
	v_exp_f32_e32 v97, v103
	s_delay_alu instid0(VALU_DEP_2) | instskip(NEXT) | instid1(VALU_DEP_2)
	v_dual_fmac_f32 v68, v102, v90 :: v_dual_mul_f32 v89, 0x3fb8aa3b, v89
	v_mul_f32_e32 v82, 0x3fb8aa3b, v82
	s_delay_alu instid0(VALU_DEP_3) | instskip(NEXT) | instid1(VALU_DEP_2)
	v_exp_f32_e32 v95, v95
	v_exp_f32_e32 v89, v89
	s_delay_alu instid0(VALU_DEP_1)
	v_exp_f32_e32 v82, v82
	v_fmac_f32_e32 v68, v97, v91
	s_delay_alu instid0(TRANS32_DEP_3) | instid1(VALU_DEP_1)
	v_fmac_f32_e32 v68, v95, v92
	s_waitcnt_depctr 0xfff
	v_fmac_f32_e32 v68, v82, v93
	s_delay_alu instid0(VALU_DEP_1) | instskip(NEXT) | instid1(VALU_DEP_1)
	v_fmac_f32_e32 v68, v89, v94
	v_add_f32_e32 v90, 0x358637bd, v68
	s_delay_alu instid0(VALU_DEP_1) | instskip(NEXT) | instid1(VALU_DEP_1)
	v_div_scale_f32 v91, null, v90, v90, 1.0
	v_rcp_f32_e32 v92, v91
	s_waitcnt_depctr 0xfff
	v_fma_f32 v93, -v91, v92, 1.0
	s_delay_alu instid0(VALU_DEP_1) | instskip(SKIP_1) | instid1(VALU_DEP_2)
	v_dual_fmac_f32 v92, v93, v92 :: v_dual_cndmask_b32 v93, v100, v99
	v_cmp_eq_u32_e32 vcc_lo, 3, v66
	v_cndmask_b32_e64 v93, v93, v101, s3
	v_cmp_eq_u32_e64 s3, 4, v66
	s_delay_alu instid0(VALU_DEP_2) | instskip(SKIP_1) | instid1(VALU_DEP_2)
	v_cndmask_b32_e32 v93, v93, v102, vcc_lo
	v_cmp_eq_u32_e32 vcc_lo, 5, v66
	v_cndmask_b32_e64 v93, v93, v97, s3
	v_cmp_eq_u32_e64 s3, 6, v66
	s_delay_alu instid0(VALU_DEP_2) | instskip(SKIP_1) | instid1(VALU_DEP_1)
	v_cndmask_b32_e32 v93, v93, v95, vcc_lo
	v_div_scale_f32 v94, s4, 1.0, v90, 1.0
	s_mov_b32 vcc_lo, s4
	s_delay_alu instid0(VALU_DEP_2) | instskip(NEXT) | instid1(VALU_DEP_2)
	v_cndmask_b32_e64 v82, v93, v82, s3
	v_mul_f32_e32 v96, v94, v92
	s_mov_b32 s3, exec_lo
	s_delay_alu instid0(VALU_DEP_2) | instskip(NEXT) | instid1(VALU_DEP_2)
	v_cndmask_b32_e64 v82, v82, v89, s5
	v_fma_f32 v98, -v91, v96, v94
	s_delay_alu instid0(VALU_DEP_1) | instskip(NEXT) | instid1(VALU_DEP_1)
	v_fmac_f32_e32 v96, v98, v92
	v_fma_f32 v91, -v91, v96, v94
	s_delay_alu instid0(VALU_DEP_1) | instskip(NEXT) | instid1(VALU_DEP_1)
	v_div_fmas_f32 v91, v91, v92, v96
	v_div_fixup_f32 v90, v91, v90, 1.0
	s_delay_alu instid0(VALU_DEP_1) | instskip(NEXT) | instid1(VALU_DEP_1)
	v_mul_f32_e32 v82, v82, v90
	v_mul_f32_e32 v87, v82, v87
	;; [unrolled: 1-line block ×7, first 2 shown]
	v_dual_mul_f32 v86, v82, v83 :: v_dual_and_b32 v91, 0x7f800000, v90
	v_mul_f32_e32 v85, v82, v76
                                        ; implicit-def: $vgpr76
	s_delay_alu instid0(VALU_DEP_2)
	v_cmpx_ne_u32_e32 0x7f800000, v91
	s_xor_b32 s3, exec_lo, s3
; %bb.13:
	v_bfe_u32 v76, v90, 16, 1
	s_delay_alu instid0(VALU_DEP_1)
	v_add3_u32 v76, v90, v76, 0x7fff
                                        ; implicit-def: $vgpr90
; %bb.14:
	s_and_not1_saveexec_b32 s3, s3
; %bb.15:
	v_and_b32_e32 v76, 0xffff, v90
	v_or_b32_e32 v83, 0x10000, v90
	s_delay_alu instid0(VALU_DEP_2) | instskip(NEXT) | instid1(VALU_DEP_2)
	v_cmp_eq_u32_e32 vcc_lo, 0, v76
	v_cndmask_b32_e32 v76, v83, v90, vcc_lo
; %bb.16:
	s_or_b32 exec_lo, exec_lo, s3
	v_and_b32_e32 v83, 0x7f800000, v85
	s_delay_alu instid0(VALU_DEP_1) | instskip(SKIP_1) | instid1(SALU_CYCLE_1)
	v_cmp_ne_u32_e32 vcc_lo, 0x7f800000, v83
                                        ; implicit-def: $vgpr83
	s_and_saveexec_b32 s3, vcc_lo
	s_xor_b32 s3, exec_lo, s3
; %bb.17:
	v_bfe_u32 v83, v85, 16, 1
	s_delay_alu instid0(VALU_DEP_1)
	v_add3_u32 v83, v85, v83, 0x7fff
                                        ; implicit-def: $vgpr85
; %bb.18:
	s_and_not1_saveexec_b32 s3, s3
; %bb.19:
	v_and_b32_e32 v83, 0xffff, v85
	v_or_b32_e32 v90, 0x10000, v85
	s_delay_alu instid0(VALU_DEP_2) | instskip(NEXT) | instid1(VALU_DEP_2)
	v_cmp_eq_u32_e32 vcc_lo, 0, v83
	v_cndmask_b32_e32 v83, v90, v85, vcc_lo
; %bb.20:
	s_or_b32 exec_lo, exec_lo, s3
	v_and_b32_e32 v85, 0x7f800000, v86
	s_delay_alu instid0(VALU_DEP_1) | instskip(SKIP_1) | instid1(SALU_CYCLE_1)
	v_cmp_ne_u32_e32 vcc_lo, 0x7f800000, v85
                                        ; implicit-def: $vgpr85
	s_and_saveexec_b32 s3, vcc_lo
	s_xor_b32 s3, exec_lo, s3
; %bb.21:
	v_bfe_u32 v85, v86, 16, 1
	s_delay_alu instid0(VALU_DEP_1)
	v_add3_u32 v85, v86, v85, 0x7fff
                                        ; implicit-def: $vgpr86
; %bb.22:
	s_and_not1_saveexec_b32 s3, s3
; %bb.23:
	v_and_b32_e32 v85, 0xffff, v86
	v_or_b32_e32 v90, 0x10000, v86
	s_delay_alu instid0(VALU_DEP_2) | instskip(NEXT) | instid1(VALU_DEP_2)
	v_cmp_eq_u32_e32 vcc_lo, 0, v85
	v_cndmask_b32_e32 v85, v90, v86, vcc_lo
; %bb.24:
	s_or_b32 exec_lo, exec_lo, s3
	v_and_b32_e32 v86, 0x7f800000, v89
	s_delay_alu instid0(VALU_DEP_1) | instskip(SKIP_1) | instid1(SALU_CYCLE_1)
	v_cmp_ne_u32_e32 vcc_lo, 0x7f800000, v86
                                        ; implicit-def: $vgpr86
	s_and_saveexec_b32 s3, vcc_lo
	s_xor_b32 s3, exec_lo, s3
; %bb.25:
	v_bfe_u32 v86, v89, 16, 1
	s_delay_alu instid0(VALU_DEP_1)
	v_add3_u32 v86, v89, v86, 0x7fff
                                        ; implicit-def: $vgpr89
; %bb.26:
	s_and_not1_saveexec_b32 s3, s3
; %bb.27:
	v_and_b32_e32 v86, 0xffff, v89
	v_or_b32_e32 v90, 0x10000, v89
	s_delay_alu instid0(VALU_DEP_2) | instskip(NEXT) | instid1(VALU_DEP_2)
	v_cmp_eq_u32_e32 vcc_lo, 0, v86
	v_cndmask_b32_e32 v86, v90, v89, vcc_lo
; %bb.28:
	s_or_b32 exec_lo, exec_lo, s3
	v_and_b32_e32 v89, 0x7f800000, v88
	s_delay_alu instid0(VALU_DEP_1) | instskip(SKIP_1) | instid1(SALU_CYCLE_1)
	v_cmp_ne_u32_e32 vcc_lo, 0x7f800000, v89
                                        ; implicit-def: $vgpr89
	s_and_saveexec_b32 s3, vcc_lo
	s_xor_b32 s3, exec_lo, s3
; %bb.29:
	v_bfe_u32 v89, v88, 16, 1
	s_delay_alu instid0(VALU_DEP_1)
	v_add3_u32 v89, v88, v89, 0x7fff
                                        ; implicit-def: $vgpr88
; %bb.30:
	s_and_not1_saveexec_b32 s3, s3
; %bb.31:
	v_and_b32_e32 v89, 0xffff, v88
	v_or_b32_e32 v90, 0x10000, v88
	s_delay_alu instid0(VALU_DEP_2) | instskip(NEXT) | instid1(VALU_DEP_2)
	v_cmp_eq_u32_e32 vcc_lo, 0, v89
	v_cndmask_b32_e32 v89, v90, v88, vcc_lo
; %bb.32:
	s_or_b32 exec_lo, exec_lo, s3
	v_and_b32_e32 v88, 0x7f800000, v87
	s_delay_alu instid0(VALU_DEP_1) | instskip(SKIP_1) | instid1(SALU_CYCLE_1)
	v_cmp_ne_u32_e32 vcc_lo, 0x7f800000, v88
                                        ; implicit-def: $vgpr88
	s_and_saveexec_b32 s3, vcc_lo
	s_xor_b32 s3, exec_lo, s3
; %bb.33:
	v_bfe_u32 v88, v87, 16, 1
	s_delay_alu instid0(VALU_DEP_1)
	v_add3_u32 v88, v87, v88, 0x7fff
                                        ; implicit-def: $vgpr87
; %bb.34:
	s_and_not1_saveexec_b32 s3, s3
; %bb.35:
	v_and_b32_e32 v88, 0xffff, v87
	v_or_b32_e32 v90, 0x10000, v87
	s_delay_alu instid0(VALU_DEP_2) | instskip(NEXT) | instid1(VALU_DEP_2)
	v_cmp_eq_u32_e32 vcc_lo, 0, v88
	v_cndmask_b32_e32 v88, v90, v87, vcc_lo
; %bb.36:
	s_or_b32 exec_lo, exec_lo, s3
	v_and_b32_e32 v87, 0x7f800000, v84
	s_delay_alu instid0(VALU_DEP_1) | instskip(SKIP_1) | instid1(SALU_CYCLE_1)
	v_cmp_ne_u32_e32 vcc_lo, 0x7f800000, v87
                                        ; implicit-def: $vgpr87
	s_and_saveexec_b32 s3, vcc_lo
	s_xor_b32 s3, exec_lo, s3
; %bb.37:
	v_bfe_u32 v87, v84, 16, 1
	s_delay_alu instid0(VALU_DEP_1)
	v_add3_u32 v87, v84, v87, 0x7fff
                                        ; implicit-def: $vgpr84
; %bb.38:
	s_and_not1_saveexec_b32 s3, s3
; %bb.39:
	v_and_b32_e32 v87, 0xffff, v84
	v_or_b32_e32 v90, 0x10000, v84
	s_delay_alu instid0(VALU_DEP_2) | instskip(NEXT) | instid1(VALU_DEP_2)
	v_cmp_eq_u32_e32 vcc_lo, 0, v87
	v_cndmask_b32_e32 v87, v90, v84, vcc_lo
; %bb.40:
	s_or_b32 exec_lo, exec_lo, s3
	v_and_b32_e32 v84, 0x7f800000, v80
	s_delay_alu instid0(VALU_DEP_1) | instskip(SKIP_1) | instid1(SALU_CYCLE_1)
	v_cmp_ne_u32_e32 vcc_lo, 0x7f800000, v84
                                        ; implicit-def: $vgpr84
	s_and_saveexec_b32 s3, vcc_lo
	s_xor_b32 s3, exec_lo, s3
; %bb.41:
	v_bfe_u32 v84, v80, 16, 1
	s_delay_alu instid0(VALU_DEP_1)
	v_add3_u32 v84, v80, v84, 0x7fff
                                        ; implicit-def: $vgpr80
; %bb.42:
	s_and_not1_saveexec_b32 s3, s3
; %bb.43:
	v_and_b32_e32 v84, 0xffff, v80
	v_or_b32_e32 v90, 0x10000, v80
	s_delay_alu instid0(VALU_DEP_2) | instskip(NEXT) | instid1(VALU_DEP_2)
	v_cmp_eq_u32_e32 vcc_lo, 0, v84
	v_cndmask_b32_e32 v84, v90, v80, vcc_lo
; %bb.44:
	s_or_b32 exec_lo, exec_lo, s3
	s_load_b64 s[34:35], s[0:1], 0x94
	v_lshlrev_b32_e32 v91, 4, v74
	s_delay_alu instid0(VALU_DEP_2)
	v_perm_b32 v90, v84, v87, 0x7060302
	v_dual_mul_f32 v79, v82, v79 :: v_dual_lshlrev_b32 v80, 6, v65
	v_dual_mul_f32 v77, v82, v77 :: v_dual_lshlrev_b32 v92, 11, v66
	v_mul_f32_e32 v84, v82, v70
	v_perm_b32 v89, v88, v89, 0x7060302
	v_perm_b32 v88, v86, v85, 0x7060302
	;; [unrolled: 1-line block ×3, first 2 shown]
	v_mul_f32_e32 v70, v82, v81
	v_or3_b32 v76, v91, v92, v80
	v_dual_mul_f32 v78, v82, v78 :: v_dual_and_b32 v85, 0x7f800000, v84
	v_mul_f32_e32 v83, v82, v72
	v_mul_f32_e32 v81, v82, v71
	;; [unrolled: 1-line block ×3, first 2 shown]
	s_mov_b32 s3, exec_lo
	ds_store_b128 v76, v[87:90]
                                        ; implicit-def: $vgpr69
	v_cmpx_ne_u32_e32 0x7f800000, v85
	s_xor_b32 s3, exec_lo, s3
; %bb.45:
	v_bfe_u32 v69, v84, 16, 1
	s_delay_alu instid0(VALU_DEP_1)
	v_add3_u32 v69, v84, v69, 0x7fff
                                        ; implicit-def: $vgpr84
; %bb.46:
	s_and_not1_saveexec_b32 s3, s3
; %bb.47:
	v_and_b32_e32 v69, 0xffff, v84
	v_or_b32_e32 v71, 0x10000, v84
	s_delay_alu instid0(VALU_DEP_2) | instskip(NEXT) | instid1(VALU_DEP_2)
	v_cmp_eq_u32_e32 vcc_lo, 0, v69
	v_cndmask_b32_e32 v69, v71, v84, vcc_lo
; %bb.48:
	s_or_b32 exec_lo, exec_lo, s3
	v_and_b32_e32 v71, 0x7f800000, v72
	s_delay_alu instid0(VALU_DEP_1) | instskip(SKIP_1) | instid1(SALU_CYCLE_1)
	v_cmp_ne_u32_e32 vcc_lo, 0x7f800000, v71
                                        ; implicit-def: $vgpr71
	s_and_saveexec_b32 s3, vcc_lo
	s_xor_b32 s3, exec_lo, s3
; %bb.49:
	v_bfe_u32 v71, v72, 16, 1
	s_delay_alu instid0(VALU_DEP_1)
	v_add3_u32 v71, v72, v71, 0x7fff
                                        ; implicit-def: $vgpr72
; %bb.50:
	s_and_not1_saveexec_b32 s3, s3
; %bb.51:
	v_and_b32_e32 v71, 0xffff, v72
	v_or_b32_e32 v82, 0x10000, v72
	s_delay_alu instid0(VALU_DEP_2) | instskip(NEXT) | instid1(VALU_DEP_2)
	v_cmp_eq_u32_e32 vcc_lo, 0, v71
	v_cndmask_b32_e32 v71, v82, v72, vcc_lo
; %bb.52:
	s_or_b32 exec_lo, exec_lo, s3
	v_and_b32_e32 v72, 0x7f800000, v81
	s_delay_alu instid0(VALU_DEP_1) | instskip(SKIP_1) | instid1(SALU_CYCLE_1)
	v_cmp_ne_u32_e32 vcc_lo, 0x7f800000, v72
                                        ; implicit-def: $vgpr72
	s_and_saveexec_b32 s3, vcc_lo
	s_xor_b32 s3, exec_lo, s3
; %bb.53:
	v_bfe_u32 v72, v81, 16, 1
	s_delay_alu instid0(VALU_DEP_1)
	v_add3_u32 v72, v81, v72, 0x7fff
                                        ; implicit-def: $vgpr81
; %bb.54:
	s_and_not1_saveexec_b32 s3, s3
; %bb.55:
	v_and_b32_e32 v72, 0xffff, v81
	v_or_b32_e32 v82, 0x10000, v81
	s_delay_alu instid0(VALU_DEP_2) | instskip(NEXT) | instid1(VALU_DEP_2)
	v_cmp_eq_u32_e32 vcc_lo, 0, v72
	v_cndmask_b32_e32 v72, v82, v81, vcc_lo
; %bb.56:
	s_or_b32 exec_lo, exec_lo, s3
	v_and_b32_e32 v81, 0x7f800000, v83
	s_delay_alu instid0(VALU_DEP_1) | instskip(SKIP_1) | instid1(SALU_CYCLE_1)
	v_cmp_ne_u32_e32 vcc_lo, 0x7f800000, v81
                                        ; implicit-def: $vgpr81
	s_and_saveexec_b32 s3, vcc_lo
	s_xor_b32 s3, exec_lo, s3
; %bb.57:
	v_bfe_u32 v81, v83, 16, 1
	s_delay_alu instid0(VALU_DEP_1)
	v_add3_u32 v81, v83, v81, 0x7fff
                                        ; implicit-def: $vgpr83
; %bb.58:
	s_and_not1_saveexec_b32 s3, s3
; %bb.59:
	v_and_b32_e32 v81, 0xffff, v83
	v_or_b32_e32 v82, 0x10000, v83
	s_delay_alu instid0(VALU_DEP_2) | instskip(NEXT) | instid1(VALU_DEP_2)
	v_cmp_eq_u32_e32 vcc_lo, 0, v81
	v_cndmask_b32_e32 v81, v82, v83, vcc_lo
; %bb.60:
	s_or_b32 exec_lo, exec_lo, s3
	v_and_b32_e32 v82, 0x7f800000, v77
	s_delay_alu instid0(VALU_DEP_1) | instskip(SKIP_1) | instid1(SALU_CYCLE_1)
	v_cmp_ne_u32_e32 vcc_lo, 0x7f800000, v82
                                        ; implicit-def: $vgpr82
	s_and_saveexec_b32 s3, vcc_lo
	s_xor_b32 s3, exec_lo, s3
; %bb.61:
	v_bfe_u32 v82, v77, 16, 1
	s_delay_alu instid0(VALU_DEP_1)
	v_add3_u32 v82, v77, v82, 0x7fff
                                        ; implicit-def: $vgpr77
; %bb.62:
	s_and_not1_saveexec_b32 s3, s3
; %bb.63:
	v_and_b32_e32 v82, 0xffff, v77
	v_or_b32_e32 v83, 0x10000, v77
	s_delay_alu instid0(VALU_DEP_2) | instskip(NEXT) | instid1(VALU_DEP_2)
	v_cmp_eq_u32_e32 vcc_lo, 0, v82
	v_cndmask_b32_e32 v82, v83, v77, vcc_lo
; %bb.64:
	s_or_b32 exec_lo, exec_lo, s3
	v_and_b32_e32 v77, 0x7f800000, v78
	s_delay_alu instid0(VALU_DEP_1) | instskip(SKIP_1) | instid1(SALU_CYCLE_1)
	v_cmp_ne_u32_e32 vcc_lo, 0x7f800000, v77
                                        ; implicit-def: $vgpr77
	s_and_saveexec_b32 s3, vcc_lo
	s_xor_b32 s3, exec_lo, s3
; %bb.65:
	v_bfe_u32 v77, v78, 16, 1
	s_delay_alu instid0(VALU_DEP_1)
	v_add3_u32 v77, v78, v77, 0x7fff
                                        ; implicit-def: $vgpr78
; %bb.66:
	s_and_not1_saveexec_b32 s3, s3
; %bb.67:
	v_and_b32_e32 v77, 0xffff, v78
	v_or_b32_e32 v83, 0x10000, v78
	s_delay_alu instid0(VALU_DEP_2) | instskip(NEXT) | instid1(VALU_DEP_2)
	v_cmp_eq_u32_e32 vcc_lo, 0, v77
	v_cndmask_b32_e32 v77, v83, v78, vcc_lo
; %bb.68:
	s_or_b32 exec_lo, exec_lo, s3
	v_and_b32_e32 v78, 0x7f800000, v79
	s_delay_alu instid0(VALU_DEP_1) | instskip(SKIP_1) | instid1(SALU_CYCLE_1)
	v_cmp_ne_u32_e32 vcc_lo, 0x7f800000, v78
                                        ; implicit-def: $vgpr78
	s_and_saveexec_b32 s3, vcc_lo
	s_xor_b32 s3, exec_lo, s3
; %bb.69:
	v_bfe_u32 v78, v79, 16, 1
	s_delay_alu instid0(VALU_DEP_1)
	v_add3_u32 v78, v79, v78, 0x7fff
                                        ; implicit-def: $vgpr79
; %bb.70:
	s_and_not1_saveexec_b32 s3, s3
; %bb.71:
	v_and_b32_e32 v78, 0xffff, v79
	v_or_b32_e32 v83, 0x10000, v79
	s_delay_alu instid0(VALU_DEP_2) | instskip(NEXT) | instid1(VALU_DEP_2)
	v_cmp_eq_u32_e32 vcc_lo, 0, v78
	v_cndmask_b32_e32 v78, v83, v79, vcc_lo
; %bb.72:
	s_or_b32 exec_lo, exec_lo, s3
	v_and_b32_e32 v79, 0x7f800000, v70
	s_delay_alu instid0(VALU_DEP_1) | instskip(SKIP_1) | instid1(SALU_CYCLE_1)
	v_cmp_ne_u32_e32 vcc_lo, 0x7f800000, v79
                                        ; implicit-def: $vgpr79
	s_and_saveexec_b32 s3, vcc_lo
	s_xor_b32 s3, exec_lo, s3
; %bb.73:
	v_bfe_u32 v79, v70, 16, 1
	s_delay_alu instid0(VALU_DEP_1)
	v_add3_u32 v79, v70, v79, 0x7fff
                                        ; implicit-def: $vgpr70
; %bb.74:
	s_and_not1_saveexec_b32 s3, s3
; %bb.75:
	v_and_b32_e32 v79, 0xffff, v70
	v_or_b32_e32 v83, 0x10000, v70
	s_delay_alu instid0(VALU_DEP_2) | instskip(NEXT) | instid1(VALU_DEP_2)
	v_cmp_eq_u32_e32 vcc_lo, 0, v79
	v_cndmask_b32_e32 v79, v83, v70, vcc_lo
; %bb.76:
	s_or_b32 exec_lo, exec_lo, s3
	s_delay_alu instid0(VALU_DEP_1)
	v_perm_b32 v86, v79, v78, 0x7060302
	v_perm_b32 v85, v77, v82, 0x7060302
	;; [unrolled: 1-line block ×4, first 2 shown]
	v_lshl_or_b32 v82, v66, 11, v80
	ds_store_b128 v76, v[83:86] offset:1024
	s_waitcnt lgkmcnt(0)
	s_barrier
	buffer_gl0_inv
	ds_load_b128 v[69:72], v82
	ds_load_b128 v[83:86], v82 offset:16
	s_waitcnt lgkmcnt(1)
	v_lshrrev_b32_e32 v66, 16, v69
	s_waitcnt lgkmcnt(0)
	v_lshrrev_b32_e32 v91, 16, v83
	v_lshlrev_b32_e32 v78, 2, v74
	v_lshrrev_b32_e32 v95, 16, v70
	v_lshrrev_b32_e32 v98, 16, v84
	;; [unrolled: 1-line block ×4, first 2 shown]
	v_cmp_eq_u32_e32 vcc_lo, 1, v78
	v_lshrrev_b32_e32 v97, 16, v72
	v_lshrrev_b32_e32 v100, 16, v86
	v_cndmask_b32_e32 v87, v83, v91, vcc_lo
	v_or_b32_e32 v79, 1, v78
	v_cndmask_b32_e32 v81, v69, v66, vcc_lo
	v_cmp_eq_u32_e64 s4, 2, v78
	v_cmp_eq_u32_e64 s7, 3, v78
	;; [unrolled: 1-line block ×5, first 2 shown]
	v_cndmask_b32_e64 v81, v81, v70, s4
	v_cndmask_b32_e64 v87, v87, v84, s4
	v_cmp_eq_u32_e64 s8, 3, v79
	v_cndmask_b32_e64 v88, v69, v66, s3
	v_or_b32_e32 v77, 2, v78
	v_cndmask_b32_e64 v81, v81, v95, s7
	v_cndmask_b32_e64 v87, v87, v98, s7
	;; [unrolled: 1-line block ×4, first 2 shown]
	v_cmp_eq_u32_e64 s10, 5, v78
	v_cndmask_b32_e64 v81, v81, v71, s9
	v_cndmask_b32_e64 v87, v87, v85, s9
	v_cmp_eq_u32_e64 s11, 4, v79
	v_cndmask_b32_e64 v88, v88, v95, s8
	v_cmp_eq_u32_e64 s5, 1, v77
	v_cndmask_b32_e64 v89, v89, v84, s6
	v_cndmask_b32_e64 v81, v81, v96, s10
	v_cmp_eq_u32_e64 s12, 6, v78
	v_cndmask_b32_e64 v88, v88, v71, s11
	;; [unrolled: 3-line block ×3, first 2 shown]
	v_cndmask_b32_e64 v89, v89, v98, s8
	v_cndmask_b32_e64 v81, v81, v72, s12
	v_cmp_eq_u32_e64 s15, 7, v78
	v_cndmask_b32_e64 v88, v88, v96, s13
	v_cndmask_b32_e64 v87, v87, v86, s12
	v_cmp_eq_u32_e64 s16, 6, v79
	v_cmp_eq_u32_e64 s17, 2, v77
	v_cndmask_b32_e64 v89, v89, v85, s11
	v_cndmask_b32_e64 v101, v81, v97, s15
	;; [unrolled: 1-line block ×6, first 2 shown]
	v_cmp_eq_u32_e64 s18, 7, v79
	v_cmp_eq_u32_e64 s19, 3, v77
	;; [unrolled: 1-line block ×4, first 2 shown]
	v_cndmask_b32_e64 v87, v87, v84, s17
	v_cndmask_b32_e64 v103, v88, v97, s18
	;; [unrolled: 1-line block ×4, first 2 shown]
	v_or_b32_e32 v81, 3, v78
	v_cndmask_b32_e64 v93, v87, v98, s19
	v_cmp_eq_u32_e64 s24, 6, v77
	v_cndmask_b32_e64 v104, v88, v86, s16
	v_cndmask_b32_e64 v92, v89, v71, s20
	v_cmp_eq_u32_e64 s21, 1, v81
	ds_load_b128 v[87:90], v82 offset:1024
	v_cmp_eq_u32_e64 s23, 2, v81
	v_cmp_eq_u32_e64 s25, 3, v81
	v_cndmask_b32_e64 v105, v92, v96, s22
	v_cndmask_b32_e64 v66, v69, v66, s21
	;; [unrolled: 1-line block ×4, first 2 shown]
	ds_load_b128 v[91:94], v82 offset:1040
	v_cmp_eq_u32_e64 s26, 4, v81
	v_cndmask_b32_e64 v66, v66, v70, s23
	v_cmp_eq_u32_e64 s27, 7, v77
	v_cndmask_b32_e64 v70, v83, v84, s23
	v_cndmask_b32_e64 v84, v105, v72, s24
	v_cmp_eq_u32_e64 s28, 5, v81
	v_cndmask_b32_e64 v66, v66, v95, s25
	v_cmp_eq_u32_e64 s29, 6, v81
	v_cndmask_b32_e64 v70, v70, v98, s25
	v_cndmask_b32_e64 v69, v69, v99, s22
	;; [unrolled: 1-line block ×4, first 2 shown]
	s_waitcnt lgkmcnt(1)
	v_lshrrev_b32_e32 v95, 16, v87
	v_cndmask_b32_e64 v70, v70, v85, s26
	v_cndmask_b32_e64 v71, v84, v97, s27
	;; [unrolled: 1-line block ×4, first 2 shown]
	v_cndmask_b32_e32 v84, v87, v95, vcc_lo
	v_cndmask_b32_e64 v70, v70, v99, s28
	s_waitcnt lgkmcnt(0)
	v_lshrrev_b32_e32 v85, 16, v91
	v_lshrrev_b32_e32 v96, 16, v88
	v_cndmask_b32_e64 v98, v87, v95, s3
	v_cndmask_b32_e64 v84, v84, v88, s4
	;; [unrolled: 1-line block ×3, first 2 shown]
	v_cndmask_b32_e32 v99, v91, v85, vcc_lo
	v_cmp_eq_u32_e32 vcc_lo, 7, v81
	v_cndmask_b32_e64 v66, v66, v72, s29
	v_cndmask_b32_e64 v72, v84, v96, s7
	;; [unrolled: 1-line block ×3, first 2 shown]
	v_lshrrev_b32_e32 v98, 16, v92
	v_cndmask_b32_e32 v70, v70, v100, vcc_lo
	v_cndmask_b32_e64 v86, v99, v92, s4
	v_cndmask_b32_e64 v69, v69, v100, s27
	v_lshrrev_b32_e32 v100, 16, v93
	v_cndmask_b32_e64 v72, v72, v89, s9
	v_lshrrev_b32_e32 v99, 16, v89
	v_cndmask_b32_e64 v86, v86, v98, s7
	v_perm_b32 v71, v69, v71, 0x5040100
	v_cndmask_b32_e64 v84, v84, v96, s8
	s_delay_alu instid0(VALU_DEP_3) | instskip(NEXT) | instid1(VALU_DEP_2)
	v_cndmask_b32_e64 v86, v86, v93, s9
	v_cndmask_b32_e64 v84, v84, v89, s11
	s_delay_alu instid0(VALU_DEP_2) | instskip(NEXT) | instid1(VALU_DEP_1)
	v_cndmask_b32_e64 v86, v86, v100, s10
	v_cndmask_b32_e64 v69, v86, v94, s12
	;; [unrolled: 1-line block ×5, first 2 shown]
	s_delay_alu instid0(VALU_DEP_3) | instskip(NEXT) | instid1(VALU_DEP_3)
	v_cndmask_b32_e64 v86, v86, v88, s17
	v_cndmask_b32_e64 v87, v87, v88, s23
	s_delay_alu instid0(VALU_DEP_3) | instskip(NEXT) | instid1(VALU_DEP_3)
	v_cndmask_b32_e64 v88, v95, v92, s23
	v_cndmask_b32_e64 v86, v86, v96, s19
	s_delay_alu instid0(VALU_DEP_3) | instskip(NEXT) | instid1(VALU_DEP_3)
	v_cndmask_b32_e64 v87, v87, v96, s25
	v_cndmask_b32_e64 v88, v88, v98, s25
	s_delay_alu instid0(VALU_DEP_3) | instskip(NEXT) | instid1(VALU_DEP_3)
	v_cndmask_b32_e64 v86, v86, v89, s20
	v_cndmask_b32_e64 v87, v87, v89, s26
	s_delay_alu instid0(VALU_DEP_3) | instskip(NEXT) | instid1(VALU_DEP_3)
	v_cndmask_b32_e64 v88, v88, v93, s26
	v_cndmask_b32_e64 v86, v86, v99, s22
	s_delay_alu instid0(VALU_DEP_3) | instskip(NEXT) | instid1(VALU_DEP_3)
	v_cndmask_b32_e64 v87, v87, v99, s28
	v_cndmask_b32_e64 v88, v88, v100, s28
	s_delay_alu instid0(VALU_DEP_3) | instskip(NEXT) | instid1(VALU_DEP_3)
	v_cndmask_b32_e64 v86, v86, v90, s24
	v_cndmask_b32_e64 v87, v87, v90, s29
	s_delay_alu instid0(VALU_DEP_3) | instskip(SKIP_2) | instid1(VALU_DEP_2)
	v_cndmask_b32_e64 v88, v88, v94, s29
	v_cndmask_b32_e32 v66, v66, v97, vcc_lo
	v_cndmask_b32_e64 v97, v72, v99, s10
	v_perm_b32 v72, v70, v66, 0x5040100
	v_perm_b32 v70, v83, v103, 0x5040100
	v_cndmask_b32_e64 v103, v91, v85, s5
	v_cndmask_b32_e64 v85, v91, v85, s3
	;; [unrolled: 1-line block ×4, first 2 shown]
	v_lshrrev_b32_e32 v97, 16, v90
	v_cndmask_b32_e64 v91, v103, v92, s17
	v_cndmask_b32_e64 v85, v85, v92, s6
	;; [unrolled: 1-line block ×3, first 2 shown]
	s_mov_b32 s3, exec_lo
	v_cndmask_b32_e64 v83, v84, v97, s15
	v_cndmask_b32_e64 v91, v91, v98, s19
	;; [unrolled: 1-line block ×3, first 2 shown]
	v_lshrrev_b32_e32 v84, 16, v94
	v_cndmask_b32_e64 v66, v66, v97, s18
	v_cndmask_b32_e64 v90, v86, v97, s27
	;; [unrolled: 1-line block ×4, first 2 shown]
	v_dual_cndmask_b32 v86, v87, v97 :: v_dual_cndmask_b32 v87, v88, v84
	v_cndmask_b32_e64 v91, v69, v84, s15
	s_delay_alu instid0(VALU_DEP_4) | instskip(NEXT) | instid1(VALU_DEP_4)
	v_cndmask_b32_e64 v89, v89, v100, s22
	v_cndmask_b32_e64 v85, v85, v100, s13
	v_perm_b32 v69, v102, v101, 0x5040100
	v_perm_b32 v86, v87, v86, 0x5040100
	;; [unrolled: 1-line block ×3, first 2 shown]
	v_cndmask_b32_e64 v89, v89, v94, s24
	v_cndmask_b32_e64 v85, v85, v94, s16
	s_mul_i32 s8, s35, 7
	s_delay_alu instid0(VALU_DEP_2) | instskip(NEXT) | instid1(VALU_DEP_2)
	v_cndmask_b32_e64 v88, v89, v84, s27
	v_cndmask_b32_e64 v89, v85, v84, s18
	s_delay_alu instid0(VALU_DEP_2) | instskip(NEXT) | instid1(VALU_DEP_2)
	v_perm_b32 v85, v88, v90, 0x5040100
	v_perm_b32 v84, v89, v66, 0x5040100
	ds_store_b128 v76, v[69:72]
	ds_store_b128 v76, v[83:86] offset:1024
	v_cmpx_gt_u32_e32 7, v0
	s_cbranch_execz .LBB1592_78
; %bb.77:
	s_mul_i32 s4, s8, s30
	s_delay_alu instid0(SALU_CYCLE_1) | instskip(SKIP_1) | instid1(VALU_DEP_1)
	v_add3_u32 v69, s4, s31, v65
	s_load_b128 s[4:7], s[0:1], 0x58
	v_mad_u64_u32 v[65:66], null, v69, s34, s[14:15]
	s_delay_alu instid0(VALU_DEP_1) | instskip(NEXT) | instid1(VALU_DEP_1)
	v_ashrrev_i32_e32 v66, 31, v65
	v_lshlrev_b64 v[65:66], 2, v[65:66]
	s_waitcnt lgkmcnt(0)
	s_delay_alu instid0(VALU_DEP_1) | instskip(NEXT) | instid1(VALU_DEP_2)
	v_add_co_u32 v69, vcc_lo, s6, v65
	v_add_co_ci_u32_e32 v70, vcc_lo, s7, v66, vcc_lo
	v_add_co_u32 v65, vcc_lo, s4, v65
	v_add_co_ci_u32_e32 v66, vcc_lo, s5, v66, vcc_lo
	global_store_b32 v[69:70], v67, off
	global_store_b32 v[65:66], v68, off
.LBB1592_78:
	s_or_b32 exec_lo, exec_lo, s3
	s_waitcnt lgkmcnt(0)
	s_waitcnt_vscnt null, 0x0
	s_barrier
	buffer_gl0_inv
	ds_load_b128 v[83:86], v80
	ds_load_b128 v[87:90], v80 offset:16
	ds_load_b128 v[95:98], v80 offset:2064
	;; [unrolled: 1-line block ×3, first 2 shown]
	v_mov_b32_e32 v65, 0
	ds_load_b128 v[103:106], v80 offset:4112
	ds_load_b128 v[99:102], v80 offset:4096
	;; [unrolled: 1-line block ×4, first 2 shown]
	v_mov_b32_e32 v66, v65
	v_mov_b32_e32 v67, v65
	;; [unrolled: 1-line block ×7, first 2 shown]
	s_waitcnt lgkmcnt(6)
	s_delay_alu instid0(VALU_DEP_1)
	v_wmma_f32_16x16x16_bf16 v[65:72], v[41:48], v[83:90], v[65:72]
	ds_load_b128 v[45:48], v80 offset:8208
	ds_load_b128 v[41:44], v80 offset:8192
	s_waitcnt lgkmcnt(6)
	v_wmma_f32_16x16x16_bf16 v[65:72], v[33:40], v[91:98], v[65:72]
	ds_load_b128 v[37:40], v80 offset:10256
	ds_load_b128 v[33:36], v80 offset:10240
	s_waitcnt lgkmcnt(6)
	;; [unrolled: 4-line block ×4, first 2 shown]
	v_wmma_f32_16x16x16_bf16 v[65:72], v[1:8], v[41:48], v[65:72]
	s_waitcnt lgkmcnt(4)
	s_delay_alu instid0(VALU_DEP_1) | instskip(SKIP_1) | instid1(VALU_DEP_1)
	v_wmma_f32_16x16x16_bf16 v[65:72], v[9:16], v[33:40], v[65:72]
	s_waitcnt lgkmcnt(2)
	v_wmma_f32_16x16x16_bf16 v[65:72], v[57:64], v[25:32], v[65:72]
	s_waitcnt lgkmcnt(0)
	s_delay_alu instid0(VALU_DEP_1) | instskip(NEXT) | instid1(VALU_DEP_1)
	v_wmma_f32_16x16x16_bf16 v[65:72], v[49:56], v[17:24], v[65:72]
	v_and_b32_e32 v1, 0x7f800000, v65
	s_delay_alu instid0(VALU_DEP_1) | instskip(SKIP_1) | instid1(SALU_CYCLE_1)
	v_cmp_ne_u32_e32 vcc_lo, 0x7f800000, v1
                                        ; implicit-def: $vgpr1
	s_and_saveexec_b32 s3, vcc_lo
	s_xor_b32 s3, exec_lo, s3
; %bb.79:
	v_bfe_u32 v1, v65, 16, 1
	s_delay_alu instid0(VALU_DEP_1)
	v_add3_u32 v1, v65, v1, 0x7fff
; %bb.80:
	s_and_not1_saveexec_b32 s3, s3
; %bb.81:
	v_and_b32_e32 v1, 0xffff, v65
	v_or_b32_e32 v2, 0x10000, v65
	s_delay_alu instid0(VALU_DEP_2) | instskip(NEXT) | instid1(VALU_DEP_2)
	v_cmp_eq_u32_e32 vcc_lo, 0, v1
	v_cndmask_b32_e32 v1, v2, v65, vcc_lo
; %bb.82:
	s_or_b32 exec_lo, exec_lo, s3
	v_and_b32_e32 v2, 0x7f800000, v66
	s_delay_alu instid0(VALU_DEP_1) | instskip(SKIP_1) | instid1(SALU_CYCLE_1)
	v_cmp_ne_u32_e32 vcc_lo, 0x7f800000, v2
                                        ; implicit-def: $vgpr2
	s_and_saveexec_b32 s3, vcc_lo
	s_xor_b32 s3, exec_lo, s3
; %bb.83:
	v_bfe_u32 v2, v66, 16, 1
	s_delay_alu instid0(VALU_DEP_1)
	v_add3_u32 v2, v66, v2, 0x7fff
; %bb.84:
	s_and_not1_saveexec_b32 s3, s3
; %bb.85:
	v_and_b32_e32 v2, 0xffff, v66
	v_or_b32_e32 v3, 0x10000, v66
	s_delay_alu instid0(VALU_DEP_2) | instskip(NEXT) | instid1(VALU_DEP_2)
	v_cmp_eq_u32_e32 vcc_lo, 0, v2
	v_cndmask_b32_e32 v2, v3, v66, vcc_lo
; %bb.86:
	s_or_b32 exec_lo, exec_lo, s3
	v_and_b32_e32 v3, 0x7f800000, v67
	s_delay_alu instid0(VALU_DEP_1) | instskip(SKIP_1) | instid1(SALU_CYCLE_1)
	v_cmp_ne_u32_e32 vcc_lo, 0x7f800000, v3
                                        ; implicit-def: $vgpr3
	s_and_saveexec_b32 s3, vcc_lo
	s_xor_b32 s3, exec_lo, s3
; %bb.87:
	v_bfe_u32 v3, v67, 16, 1
	s_delay_alu instid0(VALU_DEP_1)
	v_add3_u32 v3, v67, v3, 0x7fff
; %bb.88:
	s_and_not1_saveexec_b32 s3, s3
; %bb.89:
	v_and_b32_e32 v3, 0xffff, v67
	v_or_b32_e32 v4, 0x10000, v67
	s_delay_alu instid0(VALU_DEP_2) | instskip(NEXT) | instid1(VALU_DEP_2)
	v_cmp_eq_u32_e32 vcc_lo, 0, v3
	v_cndmask_b32_e32 v3, v4, v67, vcc_lo
; %bb.90:
	s_or_b32 exec_lo, exec_lo, s3
	v_and_b32_e32 v4, 0x7f800000, v68
	s_delay_alu instid0(VALU_DEP_1) | instskip(SKIP_1) | instid1(SALU_CYCLE_1)
	v_cmp_ne_u32_e32 vcc_lo, 0x7f800000, v4
                                        ; implicit-def: $vgpr4
	s_and_saveexec_b32 s3, vcc_lo
	s_xor_b32 s3, exec_lo, s3
; %bb.91:
	v_bfe_u32 v4, v68, 16, 1
	s_delay_alu instid0(VALU_DEP_1)
	v_add3_u32 v4, v68, v4, 0x7fff
; %bb.92:
	s_and_not1_saveexec_b32 s3, s3
; %bb.93:
	v_and_b32_e32 v4, 0xffff, v68
	v_or_b32_e32 v5, 0x10000, v68
	s_delay_alu instid0(VALU_DEP_2) | instskip(NEXT) | instid1(VALU_DEP_2)
	v_cmp_eq_u32_e32 vcc_lo, 0, v4
	v_cndmask_b32_e32 v4, v5, v68, vcc_lo
; %bb.94:
	s_or_b32 exec_lo, exec_lo, s3
	v_and_b32_e32 v5, 0x7f800000, v69
	s_delay_alu instid0(VALU_DEP_1) | instskip(SKIP_1) | instid1(SALU_CYCLE_1)
	v_cmp_ne_u32_e32 vcc_lo, 0x7f800000, v5
                                        ; implicit-def: $vgpr5
	s_and_saveexec_b32 s3, vcc_lo
	s_xor_b32 s3, exec_lo, s3
; %bb.95:
	v_bfe_u32 v5, v69, 16, 1
	s_delay_alu instid0(VALU_DEP_1)
	v_add3_u32 v5, v69, v5, 0x7fff
; %bb.96:
	s_and_not1_saveexec_b32 s3, s3
; %bb.97:
	v_and_b32_e32 v5, 0xffff, v69
	v_or_b32_e32 v6, 0x10000, v69
	s_delay_alu instid0(VALU_DEP_2) | instskip(NEXT) | instid1(VALU_DEP_2)
	v_cmp_eq_u32_e32 vcc_lo, 0, v5
	v_cndmask_b32_e32 v5, v6, v69, vcc_lo
; %bb.98:
	s_or_b32 exec_lo, exec_lo, s3
	v_and_b32_e32 v6, 0x7f800000, v70
	s_delay_alu instid0(VALU_DEP_1) | instskip(SKIP_1) | instid1(SALU_CYCLE_1)
	v_cmp_ne_u32_e32 vcc_lo, 0x7f800000, v6
                                        ; implicit-def: $vgpr6
	s_and_saveexec_b32 s3, vcc_lo
	s_xor_b32 s3, exec_lo, s3
; %bb.99:
	v_bfe_u32 v6, v70, 16, 1
	s_delay_alu instid0(VALU_DEP_1)
	v_add3_u32 v6, v70, v6, 0x7fff
; %bb.100:
	s_and_not1_saveexec_b32 s3, s3
; %bb.101:
	v_and_b32_e32 v6, 0xffff, v70
	v_or_b32_e32 v7, 0x10000, v70
	s_delay_alu instid0(VALU_DEP_2) | instskip(NEXT) | instid1(VALU_DEP_2)
	v_cmp_eq_u32_e32 vcc_lo, 0, v6
	v_cndmask_b32_e32 v6, v7, v70, vcc_lo
; %bb.102:
	s_or_b32 exec_lo, exec_lo, s3
	v_and_b32_e32 v7, 0x7f800000, v71
	s_delay_alu instid0(VALU_DEP_1) | instskip(SKIP_1) | instid1(SALU_CYCLE_1)
	v_cmp_ne_u32_e32 vcc_lo, 0x7f800000, v7
                                        ; implicit-def: $vgpr7
	s_and_saveexec_b32 s3, vcc_lo
	s_xor_b32 s3, exec_lo, s3
; %bb.103:
	v_bfe_u32 v7, v71, 16, 1
	s_delay_alu instid0(VALU_DEP_1)
	v_add3_u32 v7, v71, v7, 0x7fff
; %bb.104:
	s_and_not1_saveexec_b32 s3, s3
; %bb.105:
	v_and_b32_e32 v7, 0xffff, v71
	v_or_b32_e32 v8, 0x10000, v71
	s_delay_alu instid0(VALU_DEP_2) | instskip(NEXT) | instid1(VALU_DEP_2)
	v_cmp_eq_u32_e32 vcc_lo, 0, v7
	v_cndmask_b32_e32 v7, v8, v71, vcc_lo
; %bb.106:
	s_or_b32 exec_lo, exec_lo, s3
	v_and_b32_e32 v8, 0x7f800000, v72
	s_delay_alu instid0(VALU_DEP_1) | instskip(SKIP_1) | instid1(SALU_CYCLE_1)
	v_cmp_ne_u32_e32 vcc_lo, 0x7f800000, v8
                                        ; implicit-def: $vgpr8
	s_and_saveexec_b32 s3, vcc_lo
	s_xor_b32 s3, exec_lo, s3
; %bb.107:
	v_bfe_u32 v8, v72, 16, 1
	s_delay_alu instid0(VALU_DEP_1)
	v_add3_u32 v8, v72, v8, 0x7fff
                                        ; implicit-def: $vgpr65_vgpr66_vgpr67_vgpr68_vgpr69_vgpr70_vgpr71_vgpr72
; %bb.108:
	s_and_not1_saveexec_b32 s3, s3
; %bb.109:
	v_and_b32_e32 v8, 0xffff, v72
	v_or_b32_e32 v9, 0x10000, v72
	s_delay_alu instid0(VALU_DEP_2) | instskip(NEXT) | instid1(VALU_DEP_2)
	v_cmp_eq_u32_e32 vcc_lo, 0, v8
	v_cndmask_b32_e32 v8, v9, v72, vcc_lo
; %bb.110:
	s_or_b32 exec_lo, exec_lo, s3
	s_delay_alu instid0(VALU_DEP_1)
	v_perm_b32 v7, v8, v7, 0x7060302
	v_perm_b32 v6, v6, v5, 0x7060302
	;; [unrolled: 1-line block ×4, first 2 shown]
	s_barrier
	buffer_gl0_inv
	v_cmp_eq_u32_e32 vcc_lo, 1, v78
	ds_store_b128 v76, v[4:7]
	s_waitcnt lgkmcnt(0)
	s_barrier
	buffer_gl0_inv
	ds_load_b128 v[1:4], v82
	ds_load_b128 v[5:8], v82 offset:16
	v_cmp_eq_u32_e64 s3, 1, v79
	v_cmp_eq_u32_e64 s4, 2, v78
	v_cmp_eq_u32_e64 s5, 3, v78
	v_cmp_eq_u32_e64 s7, 2, v77
	v_cmp_eq_u32_e64 s6, 7, v79
	s_waitcnt lgkmcnt(1)
	v_lshrrev_b32_e32 v9, 16, v1
	s_waitcnt lgkmcnt(0)
	v_lshrrev_b32_e32 v13, 16, v5
	v_lshrrev_b32_e32 v10, 16, v2
	;; [unrolled: 1-line block ×4, first 2 shown]
	v_cndmask_b32_e64 v19, v1, v9, s3
	v_cndmask_b32_e32 v18, v5, v13, vcc_lo
	v_cndmask_b32_e64 v20, v5, v13, s3
	v_cndmask_b32_e32 v17, v1, v9, vcc_lo
	v_cmp_eq_u32_e32 vcc_lo, 2, v79
	v_lshrrev_b32_e32 v15, 16, v7
	v_cmp_eq_u32_e64 s3, 1, v77
	v_lshrrev_b32_e32 v12, 16, v4
	v_lshrrev_b32_e32 v16, 16, v8
	v_cndmask_b32_e32 v20, v20, v6, vcc_lo
	v_cndmask_b32_e64 v17, v17, v2, s4
	v_cndmask_b32_e32 v19, v19, v2, vcc_lo
	v_cndmask_b32_e64 v18, v18, v6, s4
	v_cmp_eq_u32_e32 vcc_lo, 4, v78
	v_cmp_eq_u32_e64 s4, 3, v79
	v_cndmask_b32_e64 v17, v17, v10, s5
	v_cndmask_b32_e64 v21, v1, v9, s3
	;; [unrolled: 1-line block ×5, first 2 shown]
	v_cndmask_b32_e32 v17, v17, v3, vcc_lo
	v_cndmask_b32_e64 v20, v20, v14, s4
	v_cndmask_b32_e32 v18, v18, v7, vcc_lo
	v_cmp_eq_u32_e32 vcc_lo, 4, v79
	v_cmp_eq_u32_e64 s4, 5, v79
	v_cmp_eq_u32_e64 s3, 2, v81
	v_cndmask_b32_e64 v21, v21, v2, s7
	v_cmp_eq_u32_e64 s5, 5, v78
	v_cndmask_b32_e32 v19, v19, v3, vcc_lo
	v_cndmask_b32_e32 v20, v20, v7, vcc_lo
	v_cmp_eq_u32_e32 vcc_lo, 6, v79
	s_delay_alu instid0(VALU_DEP_4) | instskip(NEXT) | instid1(VALU_DEP_4)
	v_cndmask_b32_e64 v17, v17, v11, s5
	v_cndmask_b32_e64 v19, v19, v11, s4
	s_delay_alu instid0(VALU_DEP_4) | instskip(SKIP_1) | instid1(VALU_DEP_3)
	v_cndmask_b32_e64 v20, v20, v15, s4
	v_cmp_eq_u32_e64 s4, 1, v81
	v_cndmask_b32_e32 v19, v19, v4, vcc_lo
	v_cndmask_b32_e64 v18, v18, v15, s5
	s_delay_alu instid0(VALU_DEP_3)
	v_cndmask_b32_e64 v1, v1, v9, s4
	v_cndmask_b32_e64 v5, v5, v13, s4
	v_cmp_eq_u32_e64 s4, 3, v77
	v_cndmask_b32_e64 v13, v22, v6, s7
	v_cmp_eq_u32_e64 s7, 3, v81
	v_cndmask_b32_e64 v1, v1, v2, s3
	v_cndmask_b32_e64 v2, v5, v6, s3
	;; [unrolled: 1-line block ×3, first 2 shown]
	v_cmp_eq_u32_e64 s3, 4, v77
	v_cndmask_b32_e64 v6, v13, v14, s4
	v_cndmask_b32_e64 v1, v1, v10, s7
	v_cmp_eq_u32_e64 s4, 4, v81
	v_cndmask_b32_e64 v2, v2, v14, s7
	v_cndmask_b32_e64 v5, v9, v3, s3
	v_cmp_eq_u32_e64 s7, 5, v77
	v_cndmask_b32_e64 v6, v6, v7, s3
	v_cndmask_b32_e64 v1, v1, v3, s4
	v_cndmask_b32_e64 v2, v2, v7, s4
	v_cmp_eq_u32_e64 s3, 5, v81
	v_cmp_eq_u32_e64 s5, 6, v78
	v_cndmask_b32_e64 v5, v5, v11, s7
	v_cmp_eq_u32_e64 s4, 6, v77
	v_cndmask_b32_e64 v3, v6, v15, s7
	v_cndmask_b32_e64 v1, v1, v11, s3
	v_cmp_eq_u32_e64 s7, 6, v81
	v_cndmask_b32_e64 v2, v2, v15, s3
	v_cndmask_b32_e64 v17, v17, v4, s5
	v_cndmask_b32_e64 v18, v18, v8, s5
	v_cmp_eq_u32_e64 s5, 7, v78
	v_cndmask_b32_e64 v5, v5, v4, s4
	;; [unrolled: 4-line block ×3, first 2 shown]
	v_cmp_eq_u32_e64 s4, 7, v77
	v_cndmask_b32_e32 v4, v20, v8, vcc_lo
	v_cndmask_b32_e64 v17, v17, v12, s5
	v_cndmask_b32_e64 v19, v19, v12, s6
	;; [unrolled: 1-line block ×8, first 2 shown]
	s_mov_b32 s3, exec_lo
	v_perm_b32 v4, v2, v1, 0x5040100
	v_perm_b32 v3, v3, v5, 0x5040100
	;; [unrolled: 1-line block ×4, first 2 shown]
	ds_store_b128 v76, v[1:4]
	s_waitcnt lgkmcnt(0)
	s_barrier
	buffer_gl0_inv
	v_cmpx_gt_u32_e32 32, v0
	s_cbranch_execz .LBB1592_2
; %bb.111:
	s_load_b64 s[4:5], s[0:1], 0x68
	v_lshlrev_b32_e32 v0, 10, v0
	v_add_nc_u32_e32 v2, s31, v74
	v_lshlrev_b32_e32 v3, 4, v75
	s_lshl_b32 s0, s34, 7
	s_delay_alu instid0(SALU_CYCLE_1) | instskip(NEXT) | instid1(VALU_DEP_2)
	s_mul_i32 s1, s0, s30
	v_mul_lo_u32 v1, v2, s0
	s_delay_alu instid0(VALU_DEP_2)
	v_and_or_b32 v0, 0x3800, v0, v3
	v_add_nc_u32_e32 v3, 2, v2
	s_mul_i32 s6, s1, s8
	v_add_nc_u32_e32 v4, 4, v2
	s_ashr_i32 s7, s6, 31
	v_lshl_or_b32 v11, v74, 6, v0
	s_lshl_b64 s[6:7], s[6:7], 1
	v_mul_lo_u32 v15, v3, s0
	v_mul_lo_u32 v17, v4, s0
	v_ashrrev_i32_e32 v2, 31, v1
	ds_load_b128 v[3:6], v11
	ds_load_b128 v[7:10], v11 offset:128
	ds_load_b128 v[11:14], v11 offset:256
	s_waitcnt lgkmcnt(0)
	s_add_u32 s1, s4, s6
	s_addc_u32 s3, s5, s7
	s_lshl_b32 s4, s14, 7
	v_ashrrev_i32_e32 v16, 31, v15
	s_ashr_i32 s5, s4, 31
	v_lshlrev_b64 v[19:20], 1, v[1:2]
	s_lshl_b64 s[4:5], s[4:5], 1
	v_ashrrev_i32_e32 v18, 31, v17
	s_add_u32 s1, s1, s4
	s_addc_u32 s3, s3, s5
	v_add_co_u32 v1, s1, s1, v73
	s_delay_alu instid0(VALU_DEP_1) | instskip(SKIP_1) | instid1(VALU_DEP_3)
	v_add_co_ci_u32_e64 v2, null, s3, 0, s1
	v_lshlrev_b64 v[15:16], 1, v[15:16]
	v_add_co_u32 v19, vcc_lo, v1, v19
	v_lshlrev_b64 v[17:18], 1, v[17:18]
	s_delay_alu instid0(VALU_DEP_4) | instskip(NEXT) | instid1(VALU_DEP_4)
	v_add_co_ci_u32_e32 v20, vcc_lo, v2, v20, vcc_lo
	v_add_co_u32 v15, vcc_lo, v1, v15
	v_add_co_ci_u32_e32 v16, vcc_lo, v2, v16, vcc_lo
	s_delay_alu instid0(VALU_DEP_4)
	v_add_co_u32 v17, vcc_lo, v1, v17
	v_add_co_ci_u32_e32 v18, vcc_lo, v2, v18, vcc_lo
	s_clause 0x2
	global_store_b128 v[19:20], v[3:6], off
	global_store_b128 v[15:16], v[7:10], off
	;; [unrolled: 1-line block ×3, first 2 shown]
	s_and_b32 exec_lo, exec_lo, s2
	s_cbranch_execz .LBB1592_2
; %bb.112:
	ds_load_b128 v[3:6], v0 offset:384
	s_add_i32 s1, s31, 6
	s_delay_alu instid0(SALU_CYCLE_1) | instskip(NEXT) | instid1(SALU_CYCLE_1)
	s_mul_i32 s0, s1, s0
	s_ashr_i32 s1, s0, 31
	s_delay_alu instid0(SALU_CYCLE_1) | instskip(NEXT) | instid1(SALU_CYCLE_1)
	s_lshl_b64 s[0:1], s[0:1], 1
	v_add_co_u32 v0, vcc_lo, v1, s0
	v_add_co_ci_u32_e32 v1, vcc_lo, s1, v2, vcc_lo
	s_waitcnt lgkmcnt(0)
	global_store_b128 v[0:1], v[3:6], off
	s_nop 0
	s_sendmsg sendmsg(MSG_DEALLOC_VGPRS)
	s_endpgm
	.section	.rodata,"a",@progbits
	.p2align	6, 0x0
	.amdhsa_kernel _Z39paged_attention_ll4mi_QKV_mfma16_kernelI14__hip_bfloat16hLN4vllm18Fp8KVCacheDataTypeE1EhLi32ELi128ELi256ELb1ELi7EL8MFMAType1EEvPKT_PKT0_S9_ifPKiSB_SB_iPKfiiiPfSE_PS4_PT2_iSD_SD_
		.amdhsa_group_segment_fixed_size 17472
		.amdhsa_private_segment_fixed_size 0
		.amdhsa_kernarg_size 400
		.amdhsa_user_sgpr_count 13
		.amdhsa_user_sgpr_dispatch_ptr 0
		.amdhsa_user_sgpr_queue_ptr 0
		.amdhsa_user_sgpr_kernarg_segment_ptr 1
		.amdhsa_user_sgpr_dispatch_id 0
		.amdhsa_user_sgpr_private_segment_size 0
		.amdhsa_wavefront_size32 1
		.amdhsa_uses_dynamic_stack 0
		.amdhsa_enable_private_segment 0
		.amdhsa_system_sgpr_workgroup_id_x 1
		.amdhsa_system_sgpr_workgroup_id_y 1
		.amdhsa_system_sgpr_workgroup_id_z 1
		.amdhsa_system_sgpr_workgroup_info 0
		.amdhsa_system_vgpr_workitem_id 0
		.amdhsa_next_free_vgpr 140
		.amdhsa_next_free_sgpr 36
		.amdhsa_reserve_vcc 1
		.amdhsa_float_round_mode_32 0
		.amdhsa_float_round_mode_16_64 0
		.amdhsa_float_denorm_mode_32 3
		.amdhsa_float_denorm_mode_16_64 3
		.amdhsa_dx10_clamp 1
		.amdhsa_ieee_mode 1
		.amdhsa_fp16_overflow 0
		.amdhsa_workgroup_processor_mode 1
		.amdhsa_memory_ordered 1
		.amdhsa_forward_progress 0
		.amdhsa_shared_vgpr_count 0
		.amdhsa_exception_fp_ieee_invalid_op 0
		.amdhsa_exception_fp_denorm_src 0
		.amdhsa_exception_fp_ieee_div_zero 0
		.amdhsa_exception_fp_ieee_overflow 0
		.amdhsa_exception_fp_ieee_underflow 0
		.amdhsa_exception_fp_ieee_inexact 0
		.amdhsa_exception_int_div_zero 0
	.end_amdhsa_kernel
	.section	.text._Z39paged_attention_ll4mi_QKV_mfma16_kernelI14__hip_bfloat16hLN4vllm18Fp8KVCacheDataTypeE1EhLi32ELi128ELi256ELb1ELi7EL8MFMAType1EEvPKT_PKT0_S9_ifPKiSB_SB_iPKfiiiPfSE_PS4_PT2_iSD_SD_,"axG",@progbits,_Z39paged_attention_ll4mi_QKV_mfma16_kernelI14__hip_bfloat16hLN4vllm18Fp8KVCacheDataTypeE1EhLi32ELi128ELi256ELb1ELi7EL8MFMAType1EEvPKT_PKT0_S9_ifPKiSB_SB_iPKfiiiPfSE_PS4_PT2_iSD_SD_,comdat
.Lfunc_end1592:
	.size	_Z39paged_attention_ll4mi_QKV_mfma16_kernelI14__hip_bfloat16hLN4vllm18Fp8KVCacheDataTypeE1EhLi32ELi128ELi256ELb1ELi7EL8MFMAType1EEvPKT_PKT0_S9_ifPKiSB_SB_iPKfiiiPfSE_PS4_PT2_iSD_SD_, .Lfunc_end1592-_Z39paged_attention_ll4mi_QKV_mfma16_kernelI14__hip_bfloat16hLN4vllm18Fp8KVCacheDataTypeE1EhLi32ELi128ELi256ELb1ELi7EL8MFMAType1EEvPKT_PKT0_S9_ifPKiSB_SB_iPKfiiiPfSE_PS4_PT2_iSD_SD_
                                        ; -- End function
	.section	.AMDGPU.csdata,"",@progbits
; Kernel info:
; codeLenInByte = 8964
; NumSgprs: 38
; NumVgprs: 140
; ScratchSize: 0
; MemoryBound: 0
; FloatMode: 240
; IeeeMode: 1
; LDSByteSize: 17472 bytes/workgroup (compile time only)
; SGPRBlocks: 4
; VGPRBlocks: 17
; NumSGPRsForWavesPerEU: 38
; NumVGPRsForWavesPerEU: 140
; Occupancy: 10
; WaveLimiterHint : 1
; COMPUTE_PGM_RSRC2:SCRATCH_EN: 0
; COMPUTE_PGM_RSRC2:USER_SGPR: 13
; COMPUTE_PGM_RSRC2:TRAP_HANDLER: 0
; COMPUTE_PGM_RSRC2:TGID_X_EN: 1
; COMPUTE_PGM_RSRC2:TGID_Y_EN: 1
; COMPUTE_PGM_RSRC2:TGID_Z_EN: 1
; COMPUTE_PGM_RSRC2:TIDIG_COMP_CNT: 0
	.section	.text._Z39paged_attention_ll4mi_QKV_mfma16_kernelI14__hip_bfloat16hLN4vllm18Fp8KVCacheDataTypeE1EhLi32ELi128ELi256ELb1ELi8EL8MFMAType1EEvPKT_PKT0_S9_ifPKiSB_SB_iPKfiiiPfSE_PS4_PT2_iSD_SD_,"axG",@progbits,_Z39paged_attention_ll4mi_QKV_mfma16_kernelI14__hip_bfloat16hLN4vllm18Fp8KVCacheDataTypeE1EhLi32ELi128ELi256ELb1ELi8EL8MFMAType1EEvPKT_PKT0_S9_ifPKiSB_SB_iPKfiiiPfSE_PS4_PT2_iSD_SD_,comdat
	.protected	_Z39paged_attention_ll4mi_QKV_mfma16_kernelI14__hip_bfloat16hLN4vllm18Fp8KVCacheDataTypeE1EhLi32ELi128ELi256ELb1ELi8EL8MFMAType1EEvPKT_PKT0_S9_ifPKiSB_SB_iPKfiiiPfSE_PS4_PT2_iSD_SD_ ; -- Begin function _Z39paged_attention_ll4mi_QKV_mfma16_kernelI14__hip_bfloat16hLN4vllm18Fp8KVCacheDataTypeE1EhLi32ELi128ELi256ELb1ELi8EL8MFMAType1EEvPKT_PKT0_S9_ifPKiSB_SB_iPKfiiiPfSE_PS4_PT2_iSD_SD_
	.globl	_Z39paged_attention_ll4mi_QKV_mfma16_kernelI14__hip_bfloat16hLN4vllm18Fp8KVCacheDataTypeE1EhLi32ELi128ELi256ELb1ELi8EL8MFMAType1EEvPKT_PKT0_S9_ifPKiSB_SB_iPKfiiiPfSE_PS4_PT2_iSD_SD_
	.p2align	8
	.type	_Z39paged_attention_ll4mi_QKV_mfma16_kernelI14__hip_bfloat16hLN4vllm18Fp8KVCacheDataTypeE1EhLi32ELi128ELi256ELb1ELi8EL8MFMAType1EEvPKT_PKT0_S9_ifPKiSB_SB_iPKfiiiPfSE_PS4_PT2_iSD_SD_,@function
_Z39paged_attention_ll4mi_QKV_mfma16_kernelI14__hip_bfloat16hLN4vllm18Fp8KVCacheDataTypeE1EhLi32ELi128ELi256ELb1ELi8EL8MFMAType1EEvPKT_PKT0_S9_ifPKiSB_SB_iPKfiiiPfSE_PS4_PT2_iSD_SD_: ; @_Z39paged_attention_ll4mi_QKV_mfma16_kernelI14__hip_bfloat16hLN4vllm18Fp8KVCacheDataTypeE1EhLi32ELi128ELi256ELb1ELi8EL8MFMAType1EEvPKT_PKT0_S9_ifPKiSB_SB_iPKfiiiPfSE_PS4_PT2_iSD_SD_
; %bb.0:
	s_load_b64 s[4:5], s[0:1], 0x30
	s_mov_b32 s30, s13
	s_waitcnt lgkmcnt(0)
	s_cmp_lg_u64 s[4:5], 0
	s_cselect_b32 s13, -1, 0
	s_ashr_i32 s31, s30, 31
	s_cmp_eq_u64 s[4:5], 0
	s_cbranch_scc1 .LBB1593_3
; %bb.1:
	s_lshl_b64 s[2:3], s[30:31], 2
	s_delay_alu instid0(SALU_CYCLE_1) | instskip(SKIP_4) | instid1(SALU_CYCLE_1)
	s_add_u32 s2, s4, s2
	s_addc_u32 s3, s5, s3
	s_load_b64 s[2:3], s[2:3], 0x0
	s_waitcnt lgkmcnt(0)
	s_sub_i32 s2, s3, s2
	s_cmp_eq_u32 s2, 1
	s_cselect_b32 s2, -1, 0
	s_delay_alu instid0(SALU_CYCLE_1)
	s_and_not1_b32 vcc_lo, exec_lo, s2
	s_cbranch_vccz .LBB1593_4
.LBB1593_2:
	s_endpgm
.LBB1593_3:
.LBB1593_4:
	s_load_b64 s[2:3], s[0:1], 0x28
	s_lshl_b64 s[6:7], s[30:31], 2
	s_waitcnt lgkmcnt(0)
	s_add_u32 s2, s2, s6
	s_addc_u32 s3, s3, s7
	s_lshl_b32 s12, s14, 8
	s_load_b32 s17, s[2:3], 0x0
	s_waitcnt lgkmcnt(0)
	s_cmp_ge_i32 s12, s17
	s_cbranch_scc1 .LBB1593_2
; %bb.5:
	s_clause 0x1
	s_load_b128 s[8:11], s[0:1], 0x8
	s_load_b64 s[2:3], s[0:1], 0x20
	s_and_not1_b32 vcc_lo, exec_lo, s13
	s_cbranch_vccnz .LBB1593_7
; %bb.6:
	s_add_u32 s4, s4, s6
	s_addc_u32 s5, s5, s7
	s_load_b32 s13, s[4:5], 0x0
	s_branch .LBB1593_8
.LBB1593_7:
	s_mov_b32 s13, s30
.LBB1593_8:
	s_load_b128 s[4:7], s[0:1], 0x48
	v_and_b32_e32 v66, 15, v0
	v_lshrrev_b32_e32 v65, 5, v0
	v_and_b32_e32 v67, 31, v0
	v_and_b32_e32 v75, 1, v0
	v_bfe_u32 v74, v0, 4, 1
	v_lshlrev_b32_e32 v1, 3, v66
	s_lshl_b32 s29, s15, 3
	s_waitcnt lgkmcnt(0)
	s_mov_b32 s7, exec_lo
	s_delay_alu instid0(VALU_DEP_1)
	v_lshlrev_b32_e32 v73, 1, v1
	v_cmpx_gt_u32_e32 0x80, v0
	s_cbranch_execz .LBB1593_10
; %bb.9:
	v_lshl_or_b32 v5, v65, 1, v74
	s_load_b64 s[18:19], s[0:1], 0x0
	s_mul_hi_i32 s21, s13, s4
	s_mul_i32 s20, s13, s4
	v_lshlrev_b32_e32 v6, 10, v66
	v_or_b32_e32 v1, s29, v5
	s_lshl_b64 s[20:21], s[20:21], 1
	v_lshlrev_b32_e32 v5, 6, v5
	v_lshlrev_b32_e32 v7, 10, v75
	v_and_b32_e32 v6, 0x3800, v6
	v_lshlrev_b32_e32 v1, 7, v1
	s_delay_alu instid0(VALU_DEP_2) | instskip(NEXT) | instid1(VALU_DEP_2)
	v_or3_b32 v5, v6, v7, v5
	v_ashrrev_i32_e32 v2, 31, v1
	s_delay_alu instid0(VALU_DEP_1) | instskip(SKIP_3) | instid1(VALU_DEP_1)
	v_lshlrev_b64 v[1:2], 1, v[1:2]
	s_waitcnt lgkmcnt(0)
	s_add_u32 s4, s18, s20
	s_addc_u32 s13, s19, s21
	v_add_co_u32 v1, vcc_lo, s4, v1
	s_delay_alu instid0(VALU_DEP_2) | instskip(NEXT) | instid1(VALU_DEP_2)
	v_add_co_ci_u32_e32 v2, vcc_lo, s13, v2, vcc_lo
	v_add_co_u32 v1, vcc_lo, v1, v73
	s_delay_alu instid0(VALU_DEP_2)
	v_add_co_ci_u32_e32 v2, vcc_lo, 0, v2, vcc_lo
	global_load_b128 v[1:4], v[1:2], off
	s_waitcnt vmcnt(0)
	ds_store_b128 v5, v[1:4]
.LBB1593_10:
	s_or_b32 exec_lo, exec_lo, s7
	v_and_b32_e32 v1, 0xef, v0
	s_add_i32 s4, s17, 31
	s_clause 0x1
	s_load_b32 s7, s[0:1], 0x38
	s_load_b32 s18, s[0:1], 0x1c
	s_ashr_i32 s13, s4, 31
	v_add_nc_u32_e32 v1, s12, v1
	s_lshr_b32 s13, s13, 27
	s_waitcnt lgkmcnt(0)
	s_add_i32 s4, s4, s13
	s_barrier
	v_ashrrev_i32_e32 v2, 31, v1
	v_or_b32_e32 v3, 16, v1
	s_ashr_i32 s4, s4, 5
	v_cmp_gt_i32_e32 vcc_lo, s17, v1
	s_add_i32 s4, s4, -1
	v_lshrrev_b32_e32 v2, 27, v2
	buffer_gl0_inv
	s_mul_i32 s15, s15, s6
	v_add_nc_u32_e32 v4, v1, v2
	s_mul_i32 s20, s30, s7
	s_delay_alu instid0(SALU_CYCLE_1) | instskip(NEXT) | instid1(VALU_DEP_1)
	s_ashr_i32 s21, s20, 31
	v_ashrrev_i32_e32 v4, 5, v4
	v_add_nc_u32_e32 v2, v3, v2
	s_lshl_b64 s[20:21], s[20:21], 2
	s_delay_alu instid0(SALU_CYCLE_1) | instskip(NEXT) | instid1(VALU_DEP_2)
	s_add_u32 s13, s2, s20
	v_cndmask_b32_e32 v1, s4, v4, vcc_lo
	s_delay_alu instid0(VALU_DEP_2)
	v_ashrrev_i32_e32 v2, 5, v2
	v_cmp_gt_i32_e32 vcc_lo, s17, v3
	s_addc_u32 s16, s3, s21
	s_ashr_i32 s19, s15, 31
	s_add_u32 s2, s8, s15
	s_addc_u32 s3, s9, s19
	v_cndmask_b32_e32 v3, s4, v2, vcc_lo
	v_ashrrev_i32_e32 v2, 31, v1
	s_lshl_b32 s6, s14, 3
	s_delay_alu instid0(SALU_CYCLE_1) | instskip(NEXT) | instid1(VALU_DEP_2)
	s_ashr_i32 s7, s6, 31
	v_ashrrev_i32_e32 v4, 31, v3
	s_delay_alu instid0(VALU_DEP_2) | instskip(SKIP_1) | instid1(SALU_CYCLE_1)
	v_lshlrev_b64 v[1:2], 2, v[1:2]
	s_lshl_b64 s[6:7], s[6:7], 2
	s_add_u32 s6, s13, s6
	s_delay_alu instid0(VALU_DEP_2) | instskip(SKIP_1) | instid1(VALU_DEP_2)
	v_lshlrev_b64 v[3:4], 2, v[3:4]
	s_addc_u32 s7, s16, s7
	v_add_co_u32 v1, vcc_lo, s13, v1
	v_add_co_ci_u32_e32 v2, vcc_lo, s16, v2, vcc_lo
	s_delay_alu instid0(VALU_DEP_3) | instskip(NEXT) | instid1(VALU_DEP_4)
	v_add_co_u32 v3, vcc_lo, s13, v3
	v_add_co_ci_u32_e32 v4, vcc_lo, s16, v4, vcc_lo
	s_clause 0x1
	global_load_b32 v5, v[1:2], off
	global_load_b32 v6, v[3:4], off
	s_or_b32 s8, s12, 32
	s_delay_alu instid0(SALU_CYCLE_1) | instskip(SKIP_2) | instid1(SALU_CYCLE_1)
	s_ashr_i32 s9, s8, 5
	s_cmp_lt_i32 s8, s17
	s_cselect_b32 s8, s9, s4
	s_ashr_i32 s9, s8, 31
	s_delay_alu instid0(SALU_CYCLE_1) | instskip(NEXT) | instid1(SALU_CYCLE_1)
	s_lshl_b64 s[8:9], s[8:9], 2
	s_add_u32 s8, s13, s8
	s_addc_u32 s9, s16, s9
	s_or_b32 s20, s12, 64
	s_delay_alu instid0(SALU_CYCLE_1) | instskip(SKIP_2) | instid1(SALU_CYCLE_1)
	s_ashr_i32 s21, s20, 5
	s_cmp_lt_i32 s20, s17
	s_cselect_b32 s20, s21, s4
	s_ashr_i32 s21, s20, 31
	s_delay_alu instid0(SALU_CYCLE_1) | instskip(NEXT) | instid1(SALU_CYCLE_1)
	s_lshl_b64 s[20:21], s[20:21], 2
	s_add_u32 s20, s13, s20
	s_addc_u32 s21, s16, s21
	;; [unrolled: 10-line block ×5, first 2 shown]
	s_clause 0x5
	s_load_b32 s28, s[6:7], 0x0
	s_load_b32 s8, s[8:9], 0x0
	;; [unrolled: 1-line block ×6, first 2 shown]
	s_mov_b32 s20, 0
	s_delay_alu instid0(SALU_CYCLE_1)
	s_mov_b32 s21, s20
	s_mov_b32 s22, s20
	;; [unrolled: 1-line block ×7, first 2 shown]
	s_delay_alu instid0(SALU_CYCLE_1)
	v_dual_mov_b32 v107, s27 :: v_dual_mov_b32 v106, s26
	v_dual_mov_b32 v104, s24 :: v_dual_mov_b32 v103, s23
	;; [unrolled: 1-line block ×4, first 2 shown]
	s_waitcnt vmcnt(1)
	v_mad_i64_i32 v[1:2], null, v5, s5, s[2:3]
	v_lshlrev_b32_e32 v5, 4, v66
	s_waitcnt vmcnt(0)
	v_mad_i64_i32 v[3:4], null, v6, s5, s[2:3]
	s_or_b32 s2, s12, 0xc0
	s_delay_alu instid0(SALU_CYCLE_1) | instskip(NEXT) | instid1(VALU_DEP_3)
	s_ashr_i32 s3, s2, 5
	v_add_co_u32 v33, vcc_lo, v1, v5
	s_delay_alu instid0(VALU_DEP_4) | instskip(NEXT) | instid1(VALU_DEP_3)
	v_add_co_ci_u32_e32 v34, vcc_lo, 0, v2, vcc_lo
	v_add_co_u32 v35, vcc_lo, v3, v5
	s_delay_alu instid0(VALU_DEP_4)
	v_add_co_ci_u32_e32 v36, vcc_lo, 0, v4, vcc_lo
	s_clause 0xf
	global_load_b128 v[1:4], v[33:34], off
	global_load_b128 v[5:8], v[33:34], off offset:512
	global_load_b128 v[9:12], v[35:36], off offset:256
	global_load_b128 v[13:16], v[35:36], off offset:768
	global_load_b128 v[17:20], v[33:34], off offset:1024
	global_load_b128 v[21:24], v[33:34], off offset:1536
	global_load_b128 v[25:28], v[35:36], off offset:1280
	global_load_b128 v[29:32], v[35:36], off offset:1792
	global_load_b128 v[57:60], v[33:34], off offset:2048
	global_load_b128 v[61:64], v[33:34], off offset:2560
	global_load_b128 v[76:79], v[35:36], off offset:2304
	global_load_b128 v[80:83], v[35:36], off offset:2816
	global_load_b128 v[84:87], v[33:34], off offset:3072
	global_load_b128 v[88:91], v[33:34], off offset:3584
	global_load_b128 v[92:95], v[35:36], off offset:3328
	global_load_b128 v[96:99], v[35:36], off offset:3840
	s_cmp_lt_i32 s2, s17
	v_and_b32_e32 v33, 7, v0
	s_cselect_b32 s2, s3, s4
	v_lshlrev_b32_e32 v34, 5, v66
	s_ashr_i32 s3, s2, 31
	s_delay_alu instid0(SALU_CYCLE_1)
	s_lshl_b64 s[2:3], s[2:3], 2
	v_lshlrev_b32_e32 v72, 6, v33
	s_add_u32 s2, s13, s2
	s_addc_u32 s3, s16, s3
	s_or_b32 s6, s12, 0xe0
	v_lshl_or_b32 v41, v65, 9, v34
	s_ashr_i32 s7, s6, 5
	s_cmp_lt_i32 s6, s17
	ds_load_b128 v[33:36], v72
	ds_load_b128 v[37:40], v72 offset:1024
	s_cselect_b32 s6, s7, s4
	ds_load_b128 v[108:111], v72 offset:2048
	ds_load_b128 v[112:115], v72 offset:3072
	s_ashr_i32 s7, s6, 31
	s_load_b32 s4, s[2:3], 0x0
	s_lshl_b64 s[6:7], s[6:7], 2
	ds_load_b128 v[116:119], v72 offset:4096
	ds_load_b128 v[120:123], v72 offset:5120
	s_add_u32 s2, s13, s6
	s_addc_u32 s3, s16, s7
	s_add_u32 s6, s10, s15
	s_load_b32 s2, s[2:3], 0x0
	s_addc_u32 s7, s11, s19
	v_add_co_u32 v68, s6, s6, v41
	s_delay_alu instid0(VALU_DEP_1) | instskip(SKIP_1) | instid1(VALU_DEP_1)
	v_add_co_ci_u32_e64 v69, null, s7, 0, s6
	s_waitcnt lgkmcnt(0)
	v_mad_i64_i32 v[41:42], null, s28, s5, v[68:69]
	v_mad_i64_i32 v[70:71], null, s9, s5, v[68:69]
	;; [unrolled: 1-line block ×7, first 2 shown]
	s_clause 0x3
	global_load_b128 v[49:52], v[41:42], off
	global_load_b128 v[53:56], v[41:42], off offset:16
	global_load_b128 v[41:44], v[45:46], off
	global_load_b128 v[45:48], v[45:46], off offset:16
	s_waitcnt vmcnt(18)
	v_wmma_f32_16x16x16_bf16 v[124:131], v[1:8], v[33:40], v[100:107]
	s_waitcnt vmcnt(16)
	v_wmma_f32_16x16x16_bf16 v[100:107], v[9:16], v[33:40], v[100:107]
	s_clause 0x1
	global_load_b128 v[33:36], v[70:71], off
	global_load_b128 v[37:40], v[70:71], off offset:16
	v_mad_i64_i32 v[70:71], null, s2, s5, v[68:69]
	s_waitcnt vmcnt(16)
	v_wmma_f32_16x16x16_bf16 v[124:131], v[17:24], v[108:115], v[124:131]
	s_waitcnt vmcnt(14)
	v_wmma_f32_16x16x16_bf16 v[100:107], v[25:32], v[108:115], v[100:107]
	s_clause 0x7
	global_load_b128 v[25:28], v[132:133], off
	global_load_b128 v[29:32], v[132:133], off offset:16
	global_load_b128 v[1:4], v[134:135], off
	global_load_b128 v[5:8], v[134:135], off offset:16
	;; [unrolled: 2-line block ×4, first 2 shown]
	s_waitcnt vmcnt(20)
	v_wmma_f32_16x16x16_bf16 v[124:131], v[57:64], v[116:123], v[124:131]
	s_clause 0x1
	global_load_b128 v[57:60], v[70:71], off
	global_load_b128 v[61:64], v[70:71], off offset:16
	s_waitcnt vmcnt(20)
	v_wmma_f32_16x16x16_bf16 v[100:107], v[76:83], v[116:123], v[100:107]
	ds_load_b128 v[76:79], v72 offset:6144
	ds_load_b128 v[80:83], v72 offset:7168
	v_and_b32_e32 v68, 0xe0, v0
	v_mbcnt_lo_u32_b32 v69, -1, 0
	s_waitcnt vmcnt(0) lgkmcnt(0)
	s_barrier
	buffer_gl0_inv
	v_add_nc_u32_e32 v68, s12, v68
	v_xor_b32_e32 v70, 16, v69
	s_delay_alu instid0(VALU_DEP_2) | instskip(NEXT) | instid1(VALU_DEP_2)
	v_or_b32_e32 v68, v68, v74
	v_cmp_gt_i32_e32 vcc_lo, 32, v70
	s_delay_alu instid0(VALU_DEP_2)
	v_or_b32_e32 v71, 4, v68
	v_or_b32_e32 v72, 6, v68
	v_cmp_gt_i32_e64 s2, s17, v68
	v_or_b32_e32 v108, 8, v68
	v_wmma_f32_16x16x16_bf16 v[124:131], v[84:91], v[76:83], v[124:131]
	v_cndmask_b32_e32 v69, v69, v70, vcc_lo
	v_or_b32_e32 v70, 2, v68
	v_wmma_f32_16x16x16_bf16 v[100:107], v[92:99], v[76:83], v[100:107]
	v_or_b32_e32 v109, 10, v68
	v_dual_mul_f32 v78, s18, v131 :: v_dual_mul_f32 v83, s18, v126
	v_dual_mul_f32 v92, s18, v125 :: v_dual_mul_f32 v93, s18, v124
	s_delay_alu instid0(VALU_DEP_4) | instskip(SKIP_2) | instid1(VALU_DEP_4)
	v_mul_f32_e32 v94, s18, v107
	v_cmp_gt_i32_e32 vcc_lo, s17, v70
	v_dual_mul_f32 v81, s18, v128 :: v_dual_mul_f32 v82, s18, v127
	v_cndmask_b32_e64 v93, 0xff7fffff, v93, s2
	v_cmp_gt_i32_e64 s3, s17, v71
	v_cndmask_b32_e32 v92, 0xff7fffff, v92, vcc_lo
	v_cmp_gt_i32_e64 s4, s17, v72
	v_or_b32_e32 v84, 12, v68
	v_or_b32_e32 v85, 14, v68
	v_dual_mul_f32 v79, s18, v130 :: v_dual_mul_f32 v80, s18, v129
	v_cndmask_b32_e64 v71, 0xff7fffff, v83, s3
	v_cndmask_b32_e64 v72, 0xff7fffff, v82, s4
	v_max3_f32 v82, v93, 0xff7fffff, v92
	v_cmp_gt_i32_e64 s5, s17, v108
	v_cmp_gt_i32_e64 s6, s17, v109
	v_or_b32_e32 v86, 16, v68
	v_or_b32_e32 v87, 18, v68
	v_max3_f32 v71, v82, v71, v72
	v_cndmask_b32_e64 v81, 0xff7fffff, v81, s5
	v_cndmask_b32_e64 v80, 0xff7fffff, v80, s6
	v_cmp_gt_i32_e64 s7, s17, v84
	v_cmp_gt_i32_e64 s8, s17, v85
	v_or_b32_e32 v88, 20, v68
	v_or_b32_e32 v89, 22, v68
	;; [unrolled: 1-line block ×6, first 2 shown]
	v_dual_mul_f32 v99, s18, v102 :: v_dual_mul_f32 v70, s18, v101
	v_mul_f32_e32 v68, s18, v100
	v_cndmask_b32_e64 v72, 0xff7fffff, v79, s7
	v_cndmask_b32_e64 v78, 0xff7fffff, v78, s8
	v_max3_f32 v71, v71, v81, v80
	v_cmp_gt_i32_e64 s9, s17, v86
	v_cmp_gt_i32_e64 s10, s17, v87
	v_dual_mul_f32 v97, s18, v104 :: v_dual_mul_f32 v98, s18, v103
	s_delay_alu instid0(VALU_DEP_4) | instskip(SKIP_1) | instid1(VALU_DEP_4)
	v_max3_f32 v71, v71, v72, v78
	v_cmp_gt_i32_e64 s11, s17, v88
	v_cndmask_b32_e64 v70, 0xff7fffff, v70, s10
	v_cmp_gt_i32_e64 s12, s17, v89
	v_lshlrev_b32_e32 v89, 2, v69
	v_cndmask_b32_e64 v68, 0xff7fffff, v68, s9
	v_dual_mul_f32 v95, s18, v106 :: v_dual_mul_f32 v96, s18, v105
	v_cndmask_b32_e64 v72, 0xff7fffff, v99, s11
	v_cndmask_b32_e64 v78, 0xff7fffff, v98, s12
	s_delay_alu instid0(VALU_DEP_4)
	v_max3_f32 v68, v71, v68, v70
	v_cmp_gt_i32_e64 s13, s17, v90
	v_cmp_gt_i32_e64 s15, s17, v91
	;; [unrolled: 1-line block ×4, first 2 shown]
	v_max3_f32 v68, v68, v72, v78
	v_cndmask_b32_e64 v70, 0xff7fffff, v97, s13
	v_cndmask_b32_e64 v71, 0xff7fffff, v96, s15
	;; [unrolled: 1-line block ×4, first 2 shown]
	s_delay_alu instid0(VALU_DEP_3) | instskip(NEXT) | instid1(VALU_DEP_1)
	v_max3_f32 v68, v68, v70, v71
	v_max3_f32 v68, v68, v72, v76
	ds_bpermute_b32 v69, v89, v68
	s_waitcnt lgkmcnt(0)
	v_max_f32_e32 v69, v69, v69
	s_delay_alu instid0(VALU_DEP_1) | instskip(NEXT) | instid1(VALU_DEP_1)
	v_max_f32_e32 v68, v68, v69
	v_fma_f32 v71, s18, v126, -v68
	s_delay_alu instid0(VALU_DEP_1)
	v_mul_f32_e32 v71, 0x3fb8aa3b, v71
	v_fma_f32 v69, s18, v124, -v68
	v_fma_f32 v70, s18, v125, -v68
	;; [unrolled: 1-line block ×4, first 2 shown]
	v_exp_f32_e32 v71, v71
	s_delay_alu instid0(VALU_DEP_3) | instskip(SKIP_2) | instid1(VALU_DEP_3)
	v_dual_mul_f32 v69, 0x3fb8aa3b, v69 :: v_dual_mul_f32 v70, 0x3fb8aa3b, v70
	v_fma_f32 v78, s18, v130, -v68
	v_fma_f32 v81, s18, v105, -v68
	v_exp_f32_e32 v69, v69
	s_delay_alu instid0(VALU_DEP_3) | instskip(SKIP_1) | instid1(VALU_DEP_2)
	v_exp_f32_e32 v70, v70
	v_mul_f32_e32 v77, 0x3fb8aa3b, v76
	v_mul_f32_e32 v81, 0x3fb8aa3b, v81
	s_delay_alu instid0(TRANS32_DEP_3) | instskip(SKIP_1) | instid1(VALU_DEP_3)
	v_cndmask_b32_e64 v83, 0, v71, s3
	v_fma_f32 v71, s18, v131, -v68
	v_exp_f32_e32 v81, v81
	s_delay_alu instid0(TRANS32_DEP_3) | instskip(NEXT) | instid1(TRANS32_DEP_2)
	v_cndmask_b32_e64 v80, 0, v69, s2
	v_cndmask_b32_e32 v76, 0, v70, vcc_lo
	v_fma_f32 v69, s18, v129, -v68
	v_mul_f32_e32 v72, 0x3fb8aa3b, v72
	v_exp_f32_e32 v77, v77
	v_dual_add_f32 v70, 0, v80 :: v_dual_mul_f32 v71, 0x3fb8aa3b, v71
	s_delay_alu instid0(VALU_DEP_3) | instskip(NEXT) | instid1(VALU_DEP_3)
	v_mul_f32_e32 v69, 0x3fb8aa3b, v69
	v_exp_f32_e32 v72, v72
	s_mov_b32 s2, exec_lo
	s_delay_alu instid0(VALU_DEP_2) | instskip(NEXT) | instid1(VALU_DEP_1)
	v_exp_f32_e32 v71, v71
	v_exp_f32_e32 v69, v69
	v_cndmask_b32_e64 v86, 0, v77, s5
	v_fma_f32 v77, s18, v101, -v68
	v_add_f32_e32 v70, v70, v76
	s_delay_alu instid0(TRANS32_DEP_3) | instskip(SKIP_1) | instid1(VALU_DEP_3)
	v_cndmask_b32_e64 v85, 0, v72, s4
	v_fma_f32 v72, s18, v100, -v68
	v_dual_mul_f32 v77, 0x3fb8aa3b, v77 :: v_dual_add_f32 v70, v70, v83
	s_delay_alu instid0(TRANS32_DEP_2) | instskip(SKIP_1) | instid1(TRANS32_DEP_1)
	v_cndmask_b32_e64 v88, 0, v71, s8
	v_fma_f32 v71, s18, v104, -v68
	v_cndmask_b32_e64 v87, 0, v69, s6
	s_delay_alu instid0(VALU_DEP_4) | instskip(NEXT) | instid1(VALU_DEP_2)
	v_exp_f32_e32 v77, v77
	v_dual_add_f32 v70, v70, v85 :: v_dual_mul_f32 v71, 0x3fb8aa3b, v71
	s_delay_alu instid0(VALU_DEP_1) | instskip(SKIP_2) | instid1(VALU_DEP_3)
	v_dual_mul_f32 v72, 0x3fb8aa3b, v72 :: v_dual_add_f32 v69, v70, v86
	v_mul_f32_e32 v78, 0x3fb8aa3b, v78
	v_fma_f32 v70, s18, v102, -v68
	v_exp_f32_e32 v72, v72
	v_exp_f32_e32 v82, v71
	v_add_f32_e32 v69, v69, v87
	v_exp_f32_e32 v78, v78
	v_mul_f32_e32 v70, 0x3fb8aa3b, v70
	s_delay_alu instid0(VALU_DEP_1) | instskip(SKIP_4) | instid1(VALU_DEP_2)
	v_exp_f32_e32 v79, v70
	v_cndmask_b32_e64 v70, 0, v72, s9
	s_waitcnt_depctr 0xfff
	v_cndmask_b32_e64 v84, 0, v78, s7
	v_fma_f32 v78, s18, v103, -v68
	v_add_f32_e32 v69, v69, v84
	v_cndmask_b32_e64 v71, 0, v79, s11
	s_delay_alu instid0(VALU_DEP_2) | instskip(SKIP_2) | instid1(VALU_DEP_1)
	v_add_f32_e32 v72, v69, v88
	v_cndmask_b32_e64 v69, 0, v77, s10
	v_fma_f32 v77, s18, v106, -v68
	v_dual_mul_f32 v77, 0x3fb8aa3b, v77 :: v_dual_add_f32 v72, v72, v70
	v_mul_f32_e32 v78, 0x3fb8aa3b, v78
	s_delay_alu instid0(VALU_DEP_2) | instskip(NEXT) | instid1(VALU_DEP_2)
	v_exp_f32_e32 v90, v77
	v_add_f32_e32 v79, v72, v69
	s_delay_alu instid0(VALU_DEP_2)
	v_exp_f32_e32 v78, v78
	v_cndmask_b32_e64 v77, 0, v82, s13
	s_waitcnt_depctr 0xfff
	v_cndmask_b32_e64 v72, 0, v78, s12
	v_add_f32_e32 v78, v79, v71
	v_fma_f32 v79, s18, v107, -v68
	s_delay_alu instid0(VALU_DEP_1) | instskip(SKIP_1) | instid1(VALU_DEP_2)
	v_dual_add_f32 v82, v78, v72 :: v_dual_mul_f32 v79, 0x3fb8aa3b, v79
	v_cndmask_b32_e64 v78, 0, v81, s15
	v_add_f32_e32 v81, v82, v77
	s_delay_alu instid0(VALU_DEP_3) | instskip(SKIP_1) | instid1(VALU_DEP_2)
	v_exp_f32_e32 v82, v79
	v_cndmask_b32_e64 v79, 0, v90, s16
	v_add_f32_e32 v81, v81, v78
	s_delay_alu instid0(VALU_DEP_1) | instskip(SKIP_2) | instid1(VALU_DEP_1)
	v_add_f32_e32 v90, v81, v79
	s_waitcnt_depctr 0xfff
	v_cndmask_b32_e64 v81, 0, v82, s17
	v_add_f32_e32 v82, v90, v81
	ds_bpermute_b32 v89, v89, v82
	v_cmpx_gt_u32_e32 16, v67
	s_cbranch_execz .LBB1593_12
; %bb.11:
	v_mul_u32_u24_e32 v67, 0x44, v65
	s_delay_alu instid0(VALU_DEP_1) | instskip(SKIP_1) | instid1(VALU_DEP_1)
	v_lshl_add_u32 v67, v66, 2, v67
	s_waitcnt lgkmcnt(0)
	v_dual_add_f32 v82, v82, v89 :: v_dual_add_nc_u32 v67, 0x4000, v67
	ds_store_2addr_b32 v67, v68, v82 offset1:136
.LBB1593_12:
	s_or_b32 exec_lo, exec_lo, s2
	v_lshlrev_b32_e32 v67, 2, v66
	s_waitcnt lgkmcnt(0)
	s_barrier
	buffer_gl0_inv
	v_cmp_eq_u32_e32 vcc_lo, 1, v65
	v_add_nc_u32_e32 v82, 0x4000, v67
	v_cmp_eq_u32_e64 s2, 2, v65
	v_cmp_eq_u32_e64 s4, 7, v65
	ds_load_2addr_b32 v[89:90], v82 offset1:17
	ds_load_2addr_b32 v[91:92], v82 offset0:34 offset1:51
	ds_load_2addr_b32 v[93:94], v82 offset0:68 offset1:85
	;; [unrolled: 1-line block ×4, first 2 shown]
	s_waitcnt lgkmcnt(4)
	v_max3_f32 v67, v89, 0xff7fffff, v90
	s_waitcnt lgkmcnt(3)
	s_delay_alu instid0(VALU_DEP_1) | instskip(SKIP_1) | instid1(VALU_DEP_1)
	v_max3_f32 v67, v67, v91, v92
	s_waitcnt lgkmcnt(2)
	v_max3_f32 v67, v67, v93, v94
	s_waitcnt lgkmcnt(1)
	s_delay_alu instid0(VALU_DEP_1) | instskip(NEXT) | instid1(VALU_DEP_1)
	v_max3_f32 v67, v67, v95, v96
	v_sub_f32_e32 v93, v93, v67
	s_delay_alu instid0(VALU_DEP_1) | instskip(NEXT) | instid1(VALU_DEP_1)
	v_dual_sub_f32 v68, v89, v67 :: v_dual_mul_f32 v103, 0x3fb8aa3b, v93
	v_mul_f32_e32 v68, 0x3fb8aa3b, v68
	s_delay_alu instid0(VALU_DEP_1)
	v_exp_f32_e32 v100, v68
	v_sub_f32_e32 v68, v92, v67
	v_sub_f32_e32 v99, v90, v67
	ds_load_2addr_b32 v[89:90], v82 offset0:170 offset1:187
	v_dual_mul_f32 v102, 0x3fb8aa3b, v68 :: v_dual_mul_f32 v99, 0x3fb8aa3b, v99
	s_waitcnt lgkmcnt(1)
	v_fma_f32 v68, v100, v97, 0
	s_delay_alu instid0(VALU_DEP_2) | instskip(NEXT) | instid1(VALU_DEP_2)
	v_exp_f32_e32 v102, v102
	v_exp_f32_e32 v99, v99
	s_waitcnt_depctr 0xfff
	v_fmac_f32_e32 v68, v99, v98
	v_sub_f32_e32 v91, v91, v67
	s_delay_alu instid0(VALU_DEP_1)
	v_mul_f32_e32 v101, 0x3fb8aa3b, v91
	ds_load_2addr_b32 v[91:92], v82 offset0:204 offset1:221
	v_sub_f32_e32 v97, v94, v67
	ds_load_2addr_b32 v[93:94], v82 offset0:238 offset1:255
	s_waitcnt lgkmcnt(0)
	v_exp_f32_e32 v101, v101
	s_barrier
	buffer_gl0_inv
	v_dual_fmac_f32 v68, v101, v89 :: v_dual_sub_f32 v89, v96, v67
	v_dual_sub_f32 v82, v95, v67 :: v_dual_mul_f32 v95, 0x3fb8aa3b, v97
	v_exp_f32_e32 v97, v103
	s_delay_alu instid0(VALU_DEP_2) | instskip(NEXT) | instid1(VALU_DEP_2)
	v_dual_fmac_f32 v68, v102, v90 :: v_dual_mul_f32 v89, 0x3fb8aa3b, v89
	v_mul_f32_e32 v82, 0x3fb8aa3b, v82
	s_delay_alu instid0(VALU_DEP_3) | instskip(NEXT) | instid1(VALU_DEP_2)
	v_exp_f32_e32 v95, v95
	v_exp_f32_e32 v89, v89
	s_delay_alu instid0(VALU_DEP_1)
	v_exp_f32_e32 v82, v82
	v_fmac_f32_e32 v68, v97, v91
	s_delay_alu instid0(TRANS32_DEP_3) | instid1(VALU_DEP_1)
	v_fmac_f32_e32 v68, v95, v92
	s_waitcnt_depctr 0xfff
	v_fmac_f32_e32 v68, v82, v93
	s_delay_alu instid0(VALU_DEP_1) | instskip(NEXT) | instid1(VALU_DEP_1)
	v_fmac_f32_e32 v68, v89, v94
	v_add_f32_e32 v90, 0x358637bd, v68
	s_delay_alu instid0(VALU_DEP_1) | instskip(NEXT) | instid1(VALU_DEP_1)
	v_div_scale_f32 v91, null, v90, v90, 1.0
	v_rcp_f32_e32 v92, v91
	s_waitcnt_depctr 0xfff
	v_fma_f32 v93, -v91, v92, 1.0
	s_delay_alu instid0(VALU_DEP_1) | instskip(SKIP_1) | instid1(VALU_DEP_2)
	v_dual_fmac_f32 v92, v93, v92 :: v_dual_cndmask_b32 v93, v100, v99
	v_cmp_eq_u32_e32 vcc_lo, 3, v65
	v_cndmask_b32_e64 v93, v93, v101, s2
	v_cmp_eq_u32_e64 s2, 4, v65
	s_delay_alu instid0(VALU_DEP_2) | instskip(SKIP_1) | instid1(VALU_DEP_2)
	v_cndmask_b32_e32 v93, v93, v102, vcc_lo
	v_cmp_eq_u32_e32 vcc_lo, 5, v65
	v_cndmask_b32_e64 v93, v93, v97, s2
	v_cmp_eq_u32_e64 s2, 6, v65
	s_delay_alu instid0(VALU_DEP_2) | instskip(SKIP_1) | instid1(VALU_DEP_1)
	v_cndmask_b32_e32 v93, v93, v95, vcc_lo
	v_div_scale_f32 v94, s3, 1.0, v90, 1.0
	s_mov_b32 vcc_lo, s3
	s_delay_alu instid0(VALU_DEP_2) | instskip(NEXT) | instid1(VALU_DEP_2)
	v_cndmask_b32_e64 v82, v93, v82, s2
	v_mul_f32_e32 v96, v94, v92
	s_mov_b32 s2, exec_lo
	s_delay_alu instid0(VALU_DEP_2) | instskip(NEXT) | instid1(VALU_DEP_2)
	v_cndmask_b32_e64 v82, v82, v89, s4
	v_fma_f32 v98, -v91, v96, v94
	s_delay_alu instid0(VALU_DEP_1) | instskip(NEXT) | instid1(VALU_DEP_1)
	v_fmac_f32_e32 v96, v98, v92
	v_fma_f32 v91, -v91, v96, v94
	s_delay_alu instid0(VALU_DEP_1) | instskip(NEXT) | instid1(VALU_DEP_1)
	v_div_fmas_f32 v91, v91, v92, v96
	v_div_fixup_f32 v90, v91, v90, 1.0
	s_delay_alu instid0(VALU_DEP_1) | instskip(NEXT) | instid1(VALU_DEP_1)
	v_mul_f32_e32 v82, v82, v90
	v_mul_f32_e32 v87, v82, v87
	;; [unrolled: 1-line block ×7, first 2 shown]
	v_dual_mul_f32 v86, v82, v83 :: v_dual_and_b32 v91, 0x7f800000, v90
	v_mul_f32_e32 v85, v82, v76
                                        ; implicit-def: $vgpr76
	s_delay_alu instid0(VALU_DEP_2)
	v_cmpx_ne_u32_e32 0x7f800000, v91
	s_xor_b32 s2, exec_lo, s2
; %bb.13:
	v_bfe_u32 v76, v90, 16, 1
	s_delay_alu instid0(VALU_DEP_1)
	v_add3_u32 v76, v90, v76, 0x7fff
                                        ; implicit-def: $vgpr90
; %bb.14:
	s_and_not1_saveexec_b32 s2, s2
; %bb.15:
	v_and_b32_e32 v76, 0xffff, v90
	v_or_b32_e32 v83, 0x10000, v90
	s_delay_alu instid0(VALU_DEP_2) | instskip(NEXT) | instid1(VALU_DEP_2)
	v_cmp_eq_u32_e32 vcc_lo, 0, v76
	v_cndmask_b32_e32 v76, v83, v90, vcc_lo
; %bb.16:
	s_or_b32 exec_lo, exec_lo, s2
	v_and_b32_e32 v83, 0x7f800000, v85
	s_delay_alu instid0(VALU_DEP_1) | instskip(SKIP_1) | instid1(SALU_CYCLE_1)
	v_cmp_ne_u32_e32 vcc_lo, 0x7f800000, v83
                                        ; implicit-def: $vgpr83
	s_and_saveexec_b32 s2, vcc_lo
	s_xor_b32 s2, exec_lo, s2
; %bb.17:
	v_bfe_u32 v83, v85, 16, 1
	s_delay_alu instid0(VALU_DEP_1)
	v_add3_u32 v83, v85, v83, 0x7fff
                                        ; implicit-def: $vgpr85
; %bb.18:
	s_and_not1_saveexec_b32 s2, s2
; %bb.19:
	v_and_b32_e32 v83, 0xffff, v85
	v_or_b32_e32 v90, 0x10000, v85
	s_delay_alu instid0(VALU_DEP_2) | instskip(NEXT) | instid1(VALU_DEP_2)
	v_cmp_eq_u32_e32 vcc_lo, 0, v83
	v_cndmask_b32_e32 v83, v90, v85, vcc_lo
; %bb.20:
	s_or_b32 exec_lo, exec_lo, s2
	v_and_b32_e32 v85, 0x7f800000, v86
	s_delay_alu instid0(VALU_DEP_1) | instskip(SKIP_1) | instid1(SALU_CYCLE_1)
	v_cmp_ne_u32_e32 vcc_lo, 0x7f800000, v85
                                        ; implicit-def: $vgpr85
	s_and_saveexec_b32 s2, vcc_lo
	s_xor_b32 s2, exec_lo, s2
; %bb.21:
	v_bfe_u32 v85, v86, 16, 1
	s_delay_alu instid0(VALU_DEP_1)
	v_add3_u32 v85, v86, v85, 0x7fff
                                        ; implicit-def: $vgpr86
; %bb.22:
	s_and_not1_saveexec_b32 s2, s2
; %bb.23:
	v_and_b32_e32 v85, 0xffff, v86
	v_or_b32_e32 v90, 0x10000, v86
	s_delay_alu instid0(VALU_DEP_2) | instskip(NEXT) | instid1(VALU_DEP_2)
	v_cmp_eq_u32_e32 vcc_lo, 0, v85
	v_cndmask_b32_e32 v85, v90, v86, vcc_lo
; %bb.24:
	s_or_b32 exec_lo, exec_lo, s2
	v_and_b32_e32 v86, 0x7f800000, v89
	s_delay_alu instid0(VALU_DEP_1) | instskip(SKIP_1) | instid1(SALU_CYCLE_1)
	v_cmp_ne_u32_e32 vcc_lo, 0x7f800000, v86
                                        ; implicit-def: $vgpr86
	s_and_saveexec_b32 s2, vcc_lo
	s_xor_b32 s2, exec_lo, s2
; %bb.25:
	v_bfe_u32 v86, v89, 16, 1
	s_delay_alu instid0(VALU_DEP_1)
	v_add3_u32 v86, v89, v86, 0x7fff
                                        ; implicit-def: $vgpr89
; %bb.26:
	s_and_not1_saveexec_b32 s2, s2
; %bb.27:
	v_and_b32_e32 v86, 0xffff, v89
	v_or_b32_e32 v90, 0x10000, v89
	s_delay_alu instid0(VALU_DEP_2) | instskip(NEXT) | instid1(VALU_DEP_2)
	v_cmp_eq_u32_e32 vcc_lo, 0, v86
	v_cndmask_b32_e32 v86, v90, v89, vcc_lo
; %bb.28:
	s_or_b32 exec_lo, exec_lo, s2
	v_and_b32_e32 v89, 0x7f800000, v88
	s_delay_alu instid0(VALU_DEP_1) | instskip(SKIP_1) | instid1(SALU_CYCLE_1)
	v_cmp_ne_u32_e32 vcc_lo, 0x7f800000, v89
                                        ; implicit-def: $vgpr89
	s_and_saveexec_b32 s2, vcc_lo
	s_xor_b32 s2, exec_lo, s2
; %bb.29:
	v_bfe_u32 v89, v88, 16, 1
	s_delay_alu instid0(VALU_DEP_1)
	v_add3_u32 v89, v88, v89, 0x7fff
                                        ; implicit-def: $vgpr88
; %bb.30:
	s_and_not1_saveexec_b32 s2, s2
; %bb.31:
	v_and_b32_e32 v89, 0xffff, v88
	v_or_b32_e32 v90, 0x10000, v88
	s_delay_alu instid0(VALU_DEP_2) | instskip(NEXT) | instid1(VALU_DEP_2)
	v_cmp_eq_u32_e32 vcc_lo, 0, v89
	v_cndmask_b32_e32 v89, v90, v88, vcc_lo
; %bb.32:
	s_or_b32 exec_lo, exec_lo, s2
	v_and_b32_e32 v88, 0x7f800000, v87
	s_delay_alu instid0(VALU_DEP_1) | instskip(SKIP_1) | instid1(SALU_CYCLE_1)
	v_cmp_ne_u32_e32 vcc_lo, 0x7f800000, v88
                                        ; implicit-def: $vgpr88
	s_and_saveexec_b32 s2, vcc_lo
	s_xor_b32 s2, exec_lo, s2
; %bb.33:
	v_bfe_u32 v88, v87, 16, 1
	s_delay_alu instid0(VALU_DEP_1)
	v_add3_u32 v88, v87, v88, 0x7fff
                                        ; implicit-def: $vgpr87
; %bb.34:
	s_and_not1_saveexec_b32 s2, s2
; %bb.35:
	v_and_b32_e32 v88, 0xffff, v87
	v_or_b32_e32 v90, 0x10000, v87
	s_delay_alu instid0(VALU_DEP_2) | instskip(NEXT) | instid1(VALU_DEP_2)
	v_cmp_eq_u32_e32 vcc_lo, 0, v88
	v_cndmask_b32_e32 v88, v90, v87, vcc_lo
; %bb.36:
	s_or_b32 exec_lo, exec_lo, s2
	v_and_b32_e32 v87, 0x7f800000, v84
	s_delay_alu instid0(VALU_DEP_1) | instskip(SKIP_1) | instid1(SALU_CYCLE_1)
	v_cmp_ne_u32_e32 vcc_lo, 0x7f800000, v87
                                        ; implicit-def: $vgpr87
	s_and_saveexec_b32 s2, vcc_lo
	s_xor_b32 s2, exec_lo, s2
; %bb.37:
	v_bfe_u32 v87, v84, 16, 1
	s_delay_alu instid0(VALU_DEP_1)
	v_add3_u32 v87, v84, v87, 0x7fff
                                        ; implicit-def: $vgpr84
; %bb.38:
	s_and_not1_saveexec_b32 s2, s2
; %bb.39:
	v_and_b32_e32 v87, 0xffff, v84
	v_or_b32_e32 v90, 0x10000, v84
	s_delay_alu instid0(VALU_DEP_2) | instskip(NEXT) | instid1(VALU_DEP_2)
	v_cmp_eq_u32_e32 vcc_lo, 0, v87
	v_cndmask_b32_e32 v87, v90, v84, vcc_lo
; %bb.40:
	s_or_b32 exec_lo, exec_lo, s2
	v_and_b32_e32 v84, 0x7f800000, v80
	s_delay_alu instid0(VALU_DEP_1) | instskip(SKIP_1) | instid1(SALU_CYCLE_1)
	v_cmp_ne_u32_e32 vcc_lo, 0x7f800000, v84
                                        ; implicit-def: $vgpr84
	s_and_saveexec_b32 s2, vcc_lo
	s_xor_b32 s2, exec_lo, s2
; %bb.41:
	v_bfe_u32 v84, v80, 16, 1
	s_delay_alu instid0(VALU_DEP_1)
	v_add3_u32 v84, v80, v84, 0x7fff
                                        ; implicit-def: $vgpr80
; %bb.42:
	s_and_not1_saveexec_b32 s2, s2
; %bb.43:
	v_and_b32_e32 v84, 0xffff, v80
	v_or_b32_e32 v90, 0x10000, v80
	s_delay_alu instid0(VALU_DEP_2) | instskip(NEXT) | instid1(VALU_DEP_2)
	v_cmp_eq_u32_e32 vcc_lo, 0, v84
	v_cndmask_b32_e32 v84, v90, v80, vcc_lo
; %bb.44:
	s_or_b32 exec_lo, exec_lo, s2
	s_load_b64 s[34:35], s[0:1], 0x94
	v_lshlrev_b32_e32 v91, 4, v74
	s_delay_alu instid0(VALU_DEP_2)
	v_perm_b32 v90, v84, v87, 0x7060302
	v_dual_mul_f32 v77, v82, v77 :: v_dual_lshlrev_b32 v80, 6, v66
	v_lshlrev_b32_e32 v66, 11, v65
	v_perm_b32 v87, v83, v76, 0x7060302
	v_mul_f32_e32 v83, v82, v70
	v_perm_b32 v89, v88, v89, 0x7060302
	v_perm_b32 v88, v86, v85, 0x7060302
	v_or3_b32 v76, v91, v66, v80
	v_mul_f32_e32 v66, v82, v81
	v_mul_f32_e32 v70, v82, v79
	;; [unrolled: 1-line block ×3, first 2 shown]
	v_dual_mul_f32 v81, v82, v72 :: v_dual_and_b32 v84, 0x7f800000, v83
	v_mul_f32_e32 v79, v82, v71
	v_mul_f32_e32 v72, v82, v69
	s_mov_b32 s2, exec_lo
	ds_store_b128 v76, v[87:90]
                                        ; implicit-def: $vgpr69
	v_cmpx_ne_u32_e32 0x7f800000, v84
	s_xor_b32 s2, exec_lo, s2
; %bb.45:
	v_bfe_u32 v69, v83, 16, 1
	s_delay_alu instid0(VALU_DEP_1)
	v_add3_u32 v69, v83, v69, 0x7fff
                                        ; implicit-def: $vgpr83
; %bb.46:
	s_and_not1_saveexec_b32 s2, s2
; %bb.47:
	v_and_b32_e32 v69, 0xffff, v83
	v_or_b32_e32 v71, 0x10000, v83
	s_delay_alu instid0(VALU_DEP_2) | instskip(NEXT) | instid1(VALU_DEP_2)
	v_cmp_eq_u32_e32 vcc_lo, 0, v69
	v_cndmask_b32_e32 v69, v71, v83, vcc_lo
; %bb.48:
	s_or_b32 exec_lo, exec_lo, s2
	v_and_b32_e32 v71, 0x7f800000, v72
	s_delay_alu instid0(VALU_DEP_1) | instskip(SKIP_1) | instid1(SALU_CYCLE_1)
	v_cmp_ne_u32_e32 vcc_lo, 0x7f800000, v71
                                        ; implicit-def: $vgpr71
	s_and_saveexec_b32 s2, vcc_lo
	s_xor_b32 s2, exec_lo, s2
; %bb.49:
	v_bfe_u32 v71, v72, 16, 1
	s_delay_alu instid0(VALU_DEP_1)
	v_add3_u32 v71, v72, v71, 0x7fff
                                        ; implicit-def: $vgpr72
; %bb.50:
	s_and_not1_saveexec_b32 s2, s2
; %bb.51:
	v_and_b32_e32 v71, 0xffff, v72
	v_or_b32_e32 v82, 0x10000, v72
	s_delay_alu instid0(VALU_DEP_2) | instskip(NEXT) | instid1(VALU_DEP_2)
	v_cmp_eq_u32_e32 vcc_lo, 0, v71
	v_cndmask_b32_e32 v71, v82, v72, vcc_lo
; %bb.52:
	s_or_b32 exec_lo, exec_lo, s2
	v_and_b32_e32 v72, 0x7f800000, v79
	s_delay_alu instid0(VALU_DEP_1) | instskip(SKIP_1) | instid1(SALU_CYCLE_1)
	v_cmp_ne_u32_e32 vcc_lo, 0x7f800000, v72
                                        ; implicit-def: $vgpr72
	s_and_saveexec_b32 s2, vcc_lo
	s_xor_b32 s2, exec_lo, s2
; %bb.53:
	v_bfe_u32 v72, v79, 16, 1
	s_delay_alu instid0(VALU_DEP_1)
	v_add3_u32 v72, v79, v72, 0x7fff
                                        ; implicit-def: $vgpr79
; %bb.54:
	s_and_not1_saveexec_b32 s2, s2
; %bb.55:
	v_and_b32_e32 v72, 0xffff, v79
	v_or_b32_e32 v82, 0x10000, v79
	s_delay_alu instid0(VALU_DEP_2) | instskip(NEXT) | instid1(VALU_DEP_2)
	v_cmp_eq_u32_e32 vcc_lo, 0, v72
	v_cndmask_b32_e32 v72, v82, v79, vcc_lo
; %bb.56:
	s_or_b32 exec_lo, exec_lo, s2
	v_and_b32_e32 v79, 0x7f800000, v81
	s_delay_alu instid0(VALU_DEP_1) | instskip(SKIP_1) | instid1(SALU_CYCLE_1)
	v_cmp_ne_u32_e32 vcc_lo, 0x7f800000, v79
                                        ; implicit-def: $vgpr79
	s_and_saveexec_b32 s2, vcc_lo
	s_xor_b32 s2, exec_lo, s2
; %bb.57:
	v_bfe_u32 v79, v81, 16, 1
	s_delay_alu instid0(VALU_DEP_1)
	v_add3_u32 v79, v81, v79, 0x7fff
                                        ; implicit-def: $vgpr81
; %bb.58:
	s_and_not1_saveexec_b32 s2, s2
; %bb.59:
	v_and_b32_e32 v79, 0xffff, v81
	v_or_b32_e32 v82, 0x10000, v81
	s_delay_alu instid0(VALU_DEP_2) | instskip(NEXT) | instid1(VALU_DEP_2)
	v_cmp_eq_u32_e32 vcc_lo, 0, v79
	v_cndmask_b32_e32 v79, v82, v81, vcc_lo
; %bb.60:
	s_or_b32 exec_lo, exec_lo, s2
	v_and_b32_e32 v81, 0x7f800000, v77
	s_delay_alu instid0(VALU_DEP_1) | instskip(SKIP_1) | instid1(SALU_CYCLE_1)
	v_cmp_ne_u32_e32 vcc_lo, 0x7f800000, v81
                                        ; implicit-def: $vgpr81
	s_and_saveexec_b32 s2, vcc_lo
	s_xor_b32 s2, exec_lo, s2
; %bb.61:
	v_bfe_u32 v81, v77, 16, 1
	s_delay_alu instid0(VALU_DEP_1)
	v_add3_u32 v81, v77, v81, 0x7fff
                                        ; implicit-def: $vgpr77
; %bb.62:
	s_and_not1_saveexec_b32 s2, s2
; %bb.63:
	v_and_b32_e32 v81, 0xffff, v77
	v_or_b32_e32 v82, 0x10000, v77
	s_delay_alu instid0(VALU_DEP_2) | instskip(NEXT) | instid1(VALU_DEP_2)
	v_cmp_eq_u32_e32 vcc_lo, 0, v81
	v_cndmask_b32_e32 v81, v82, v77, vcc_lo
; %bb.64:
	s_or_b32 exec_lo, exec_lo, s2
	v_and_b32_e32 v77, 0x7f800000, v78
	s_delay_alu instid0(VALU_DEP_1) | instskip(SKIP_1) | instid1(SALU_CYCLE_1)
	v_cmp_ne_u32_e32 vcc_lo, 0x7f800000, v77
                                        ; implicit-def: $vgpr77
	s_and_saveexec_b32 s2, vcc_lo
	s_xor_b32 s2, exec_lo, s2
; %bb.65:
	v_bfe_u32 v77, v78, 16, 1
	s_delay_alu instid0(VALU_DEP_1)
	v_add3_u32 v77, v78, v77, 0x7fff
                                        ; implicit-def: $vgpr78
; %bb.66:
	s_and_not1_saveexec_b32 s2, s2
; %bb.67:
	v_and_b32_e32 v77, 0xffff, v78
	v_or_b32_e32 v82, 0x10000, v78
	s_delay_alu instid0(VALU_DEP_2) | instskip(NEXT) | instid1(VALU_DEP_2)
	v_cmp_eq_u32_e32 vcc_lo, 0, v77
	v_cndmask_b32_e32 v77, v82, v78, vcc_lo
; %bb.68:
	s_or_b32 exec_lo, exec_lo, s2
	v_and_b32_e32 v78, 0x7f800000, v70
	s_delay_alu instid0(VALU_DEP_1) | instskip(SKIP_1) | instid1(SALU_CYCLE_1)
	v_cmp_ne_u32_e32 vcc_lo, 0x7f800000, v78
                                        ; implicit-def: $vgpr78
	s_and_saveexec_b32 s2, vcc_lo
	s_xor_b32 s2, exec_lo, s2
; %bb.69:
	v_bfe_u32 v78, v70, 16, 1
	s_delay_alu instid0(VALU_DEP_1)
	v_add3_u32 v78, v70, v78, 0x7fff
                                        ; implicit-def: $vgpr70
; %bb.70:
	s_and_not1_saveexec_b32 s2, s2
; %bb.71:
	v_and_b32_e32 v78, 0xffff, v70
	v_or_b32_e32 v82, 0x10000, v70
	s_delay_alu instid0(VALU_DEP_2) | instskip(NEXT) | instid1(VALU_DEP_2)
	v_cmp_eq_u32_e32 vcc_lo, 0, v78
	v_cndmask_b32_e32 v78, v82, v70, vcc_lo
; %bb.72:
	s_or_b32 exec_lo, exec_lo, s2
	v_and_b32_e32 v70, 0x7f800000, v66
	s_delay_alu instid0(VALU_DEP_1) | instskip(SKIP_1) | instid1(SALU_CYCLE_1)
	v_cmp_ne_u32_e32 vcc_lo, 0x7f800000, v70
                                        ; implicit-def: $vgpr70
	s_and_saveexec_b32 s2, vcc_lo
	s_xor_b32 s2, exec_lo, s2
; %bb.73:
	v_bfe_u32 v70, v66, 16, 1
	s_delay_alu instid0(VALU_DEP_1)
	v_add3_u32 v70, v66, v70, 0x7fff
                                        ; implicit-def: $vgpr66
; %bb.74:
	s_and_not1_saveexec_b32 s2, s2
; %bb.75:
	v_and_b32_e32 v70, 0xffff, v66
	v_or_b32_e32 v82, 0x10000, v66
	s_delay_alu instid0(VALU_DEP_2) | instskip(NEXT) | instid1(VALU_DEP_2)
	v_cmp_eq_u32_e32 vcc_lo, 0, v70
	v_cndmask_b32_e32 v70, v82, v66, vcc_lo
; %bb.76:
	s_or_b32 exec_lo, exec_lo, s2
	s_delay_alu instid0(VALU_DEP_1)
	v_perm_b32 v86, v70, v78, 0x7060302
	v_perm_b32 v85, v77, v81, 0x7060302
	;; [unrolled: 1-line block ×4, first 2 shown]
	v_lshl_or_b32 v82, v65, 11, v80
	ds_store_b128 v76, v[83:86] offset:1024
	s_waitcnt lgkmcnt(0)
	s_barrier
	buffer_gl0_inv
	ds_load_b128 v[69:72], v82
	ds_load_b128 v[83:86], v82 offset:16
	s_waitcnt lgkmcnt(1)
	v_lshrrev_b32_e32 v65, 16, v69
	v_lshlrev_b32_e32 v78, 2, v74
	s_waitcnt lgkmcnt(0)
	v_lshrrev_b32_e32 v91, 16, v83
	v_lshrrev_b32_e32 v66, 16, v70
	;; [unrolled: 1-line block ×4, first 2 shown]
	v_cmp_eq_u32_e32 vcc_lo, 1, v78
	v_lshrrev_b32_e32 v98, 16, v85
	v_lshrrev_b32_e32 v96, 16, v72
	v_lshrrev_b32_e32 v99, 16, v86
	v_cndmask_b32_e32 v81, v69, v65, vcc_lo
	v_or_b32_e32 v79, 1, v78
	v_cmp_eq_u32_e64 s3, 2, v78
	v_cndmask_b32_e32 v87, v83, v91, vcc_lo
	v_cmp_eq_u32_e64 s6, 3, v78
	v_cmp_eq_u32_e64 s8, 4, v78
	;; [unrolled: 1-line block ×3, first 2 shown]
	v_cndmask_b32_e64 v81, v81, v70, s3
	v_cmp_eq_u32_e64 s5, 2, v79
	v_cndmask_b32_e64 v87, v87, v84, s3
	v_cmp_eq_u32_e64 s7, 3, v79
	v_cndmask_b32_e64 v88, v69, v65, s2
	v_cndmask_b32_e64 v81, v81, v66, s6
	v_or_b32_e32 v77, 2, v78
	v_cndmask_b32_e64 v87, v87, v97, s6
	v_cndmask_b32_e64 v89, v83, v91, s2
	;; [unrolled: 1-line block ×4, first 2 shown]
	v_cmp_eq_u32_e64 s9, 5, v78
	v_cndmask_b32_e64 v87, v87, v85, s8
	v_cmp_eq_u32_e64 s10, 4, v79
	v_cndmask_b32_e64 v88, v88, v66, s7
	;; [unrolled: 2-line block ×3, first 2 shown]
	v_cndmask_b32_e64 v81, v81, v95, s9
	v_cmp_eq_u32_e64 s11, 6, v78
	v_cndmask_b32_e64 v88, v88, v71, s10
	v_cndmask_b32_e64 v87, v87, v98, s9
	v_cmp_eq_u32_e64 s12, 5, v79
	v_cndmask_b32_e64 v90, v69, v65, s4
	v_cndmask_b32_e64 v89, v89, v97, s7
	;; [unrolled: 1-line block ×3, first 2 shown]
	v_cmp_eq_u32_e64 s13, 7, v78
	v_cndmask_b32_e64 v88, v88, v95, s12
	v_cndmask_b32_e64 v87, v87, v86, s11
	v_cmp_eq_u32_e64 s15, 6, v79
	v_cmp_eq_u32_e64 s16, 2, v77
	v_cndmask_b32_e64 v89, v89, v85, s10
	v_cndmask_b32_e64 v100, v81, v96, s13
	;; [unrolled: 1-line block ×6, first 2 shown]
	v_cmp_eq_u32_e64 s17, 7, v79
	v_cmp_eq_u32_e64 s18, 3, v77
	;; [unrolled: 1-line block ×4, first 2 shown]
	v_cndmask_b32_e64 v87, v87, v84, s16
	v_cndmask_b32_e64 v102, v88, v96, s17
	;; [unrolled: 1-line block ×4, first 2 shown]
	v_or_b32_e32 v81, 3, v78
	v_cndmask_b32_e64 v93, v87, v97, s18
	v_cmp_eq_u32_e64 s23, 6, v77
	v_cndmask_b32_e64 v103, v88, v86, s15
	v_cndmask_b32_e64 v92, v89, v71, s19
	v_cmp_eq_u32_e64 s20, 1, v81
	ds_load_b128 v[87:90], v82 offset:1024
	v_cmp_eq_u32_e64 s22, 2, v81
	v_cmp_eq_u32_e64 s24, 3, v81
	v_cndmask_b32_e64 v104, v92, v95, s21
	v_cndmask_b32_e64 v65, v69, v65, s20
	;; [unrolled: 1-line block ×4, first 2 shown]
	ds_load_b128 v[91:94], v82 offset:1040
	v_cmp_eq_u32_e64 s25, 4, v81
	v_cndmask_b32_e64 v65, v65, v70, s22
	v_cmp_eq_u32_e64 s27, 5, v81
	v_cndmask_b32_e64 v70, v83, v84, s22
	;; [unrolled: 2-line block ×3, first 2 shown]
	v_cndmask_b32_e64 v65, v65, v66, s24
	v_cndmask_b32_e64 v66, v104, v72, s23
	;; [unrolled: 1-line block ×3, first 2 shown]
	v_cmp_eq_u32_e64 s26, 7, v77
	v_cndmask_b32_e64 v69, v69, v86, s23
	v_cndmask_b32_e64 v65, v65, v71, s25
	s_waitcnt lgkmcnt(1)
	v_lshrrev_b32_e32 v84, 16, v87
	v_cndmask_b32_e64 v70, v70, v85, s25
	v_cndmask_b32_e64 v83, v103, v99, s17
	v_cndmask_b32_e64 v66, v66, v96, s26
	v_cndmask_b32_e64 v65, v65, v95, s27
	v_lshrrev_b32_e32 v95, 16, v88
	v_cndmask_b32_e64 v70, v70, v98, s27
	s_waitcnt lgkmcnt(0)
	v_lshrrev_b32_e32 v85, 16, v91
	v_cndmask_b32_e64 v97, v87, v84, s2
	v_cndmask_b32_e64 v65, v65, v72, s28
	;; [unrolled: 1-line block ×4, first 2 shown]
	v_cndmask_b32_e32 v71, v87, v84, vcc_lo
	v_cndmask_b32_e32 v98, v91, v85, vcc_lo
	v_cmp_eq_u32_e32 vcc_lo, 7, v81
	v_cndmask_b32_e64 v72, v97, v88, s5
	v_lshrrev_b32_e32 v97, 16, v92
	v_lshrrev_b32_e32 v103, 16, v90
	v_dual_cndmask_b32 v65, v65, v96 :: v_dual_cndmask_b32 v70, v70, v99
	v_cndmask_b32_e64 v71, v71, v88, s3
	v_cndmask_b32_e64 v86, v98, v92, s3
	;; [unrolled: 1-line block ×3, first 2 shown]
	v_lshrrev_b32_e32 v98, 16, v89
	v_lshrrev_b32_e32 v99, 16, v93
	v_cndmask_b32_e64 v71, v71, v95, s6
	v_cndmask_b32_e64 v86, v86, v97, s6
	;; [unrolled: 1-line block ×3, first 2 shown]
	v_perm_b32 v72, v70, v65, 0x5040100
	v_perm_b32 v70, v83, v102, 0x5040100
	v_cndmask_b32_e64 v71, v71, v89, s8
	v_cndmask_b32_e64 v86, v86, v93, s8
	;; [unrolled: 1-line block ×3, first 2 shown]
	v_lshrrev_b32_e32 v83, 16, v94
	s_delay_alu instid0(VALU_DEP_4) | instskip(NEXT) | instid1(VALU_DEP_4)
	v_cndmask_b32_e64 v71, v71, v98, s9
	v_cndmask_b32_e64 v86, v86, v99, s9
	s_delay_alu instid0(VALU_DEP_4) | instskip(NEXT) | instid1(VALU_DEP_3)
	v_cndmask_b32_e64 v65, v65, v90, s15
	v_cndmask_b32_e64 v96, v71, v90, s11
	v_perm_b32 v71, v69, v66, 0x5040100
	s_delay_alu instid0(VALU_DEP_4)
	v_cndmask_b32_e64 v69, v86, v94, s11
	v_cndmask_b32_e64 v86, v87, v84, s4
	;; [unrolled: 1-line block ×34, first 2 shown]
	v_cndmask_b32_e32 v84, v84, v103, vcc_lo
	v_cndmask_b32_e32 v86, v87, v83, vcc_lo
	v_cndmask_b32_e64 v87, v88, v83, s26
	v_cndmask_b32_e64 v88, v85, v83, s17
	;; [unrolled: 1-line block ×3, first 2 shown]
	v_perm_b32 v69, v101, v100, 0x5040100
	v_perm_b32 v86, v86, v84, 0x5040100
	;; [unrolled: 1-line block ×5, first 2 shown]
	s_lshl_b32 s7, s35, 3
	s_mov_b32 s2, exec_lo
	ds_store_b128 v76, v[69:72]
	ds_store_b128 v76, v[83:86] offset:1024
	v_cmpx_gt_u32_e32 8, v0
	s_cbranch_execz .LBB1593_78
; %bb.77:
	v_or_b32_e32 v65, s29, v0
	s_load_b128 s[8:11], s[0:1], 0x58
	s_delay_alu instid0(VALU_DEP_1) | instskip(NEXT) | instid1(VALU_DEP_1)
	v_mad_u64_u32 v[69:70], null, s7, s30, v[65:66]
	v_mad_u64_u32 v[65:66], null, v69, s34, s[14:15]
	s_delay_alu instid0(VALU_DEP_1) | instskip(NEXT) | instid1(VALU_DEP_1)
	v_ashrrev_i32_e32 v66, 31, v65
	v_lshlrev_b64 v[65:66], 2, v[65:66]
	s_waitcnt lgkmcnt(0)
	s_delay_alu instid0(VALU_DEP_1) | instskip(NEXT) | instid1(VALU_DEP_2)
	v_add_co_u32 v69, vcc_lo, s10, v65
	v_add_co_ci_u32_e32 v70, vcc_lo, s11, v66, vcc_lo
	v_add_co_u32 v65, vcc_lo, s8, v65
	v_add_co_ci_u32_e32 v66, vcc_lo, s9, v66, vcc_lo
	global_store_b32 v[69:70], v67, off
	global_store_b32 v[65:66], v68, off
.LBB1593_78:
	s_or_b32 exec_lo, exec_lo, s2
	s_waitcnt lgkmcnt(0)
	s_waitcnt_vscnt null, 0x0
	s_barrier
	buffer_gl0_inv
	ds_load_b128 v[83:86], v80
	ds_load_b128 v[87:90], v80 offset:16
	ds_load_b128 v[95:98], v80 offset:2064
	;; [unrolled: 1-line block ×3, first 2 shown]
	v_mov_b32_e32 v65, 0
	ds_load_b128 v[103:106], v80 offset:4112
	ds_load_b128 v[99:102], v80 offset:4096
	;; [unrolled: 1-line block ×4, first 2 shown]
	v_mov_b32_e32 v66, v65
	v_mov_b32_e32 v67, v65
	;; [unrolled: 1-line block ×7, first 2 shown]
	s_waitcnt lgkmcnt(6)
	s_delay_alu instid0(VALU_DEP_1)
	v_wmma_f32_16x16x16_bf16 v[65:72], v[49:56], v[83:90], v[65:72]
	ds_load_b128 v[53:56], v80 offset:8208
	ds_load_b128 v[49:52], v80 offset:8192
	s_waitcnt lgkmcnt(6)
	v_wmma_f32_16x16x16_bf16 v[65:72], v[41:48], v[91:98], v[65:72]
	ds_load_b128 v[45:48], v80 offset:10256
	ds_load_b128 v[41:44], v80 offset:10240
	s_waitcnt lgkmcnt(6)
	v_wmma_f32_16x16x16_bf16 v[65:72], v[33:40], v[99:106], v[65:72]
	ds_load_b128 v[37:40], v80 offset:12304
	ds_load_b128 v[33:36], v80 offset:12288
	s_waitcnt lgkmcnt(6)
	v_wmma_f32_16x16x16_bf16 v[65:72], v[25:32], v[107:114], v[65:72]
	ds_load_b128 v[29:32], v80 offset:14352
	ds_load_b128 v[25:28], v80 offset:14336
	s_waitcnt lgkmcnt(6)
	v_wmma_f32_16x16x16_bf16 v[65:72], v[1:8], v[49:56], v[65:72]
	s_waitcnt lgkmcnt(4)
	s_delay_alu instid0(VALU_DEP_1) | instskip(SKIP_1) | instid1(VALU_DEP_1)
	v_wmma_f32_16x16x16_bf16 v[65:72], v[9:16], v[41:48], v[65:72]
	s_waitcnt lgkmcnt(2)
	v_wmma_f32_16x16x16_bf16 v[65:72], v[17:24], v[33:40], v[65:72]
	s_waitcnt lgkmcnt(0)
	s_delay_alu instid0(VALU_DEP_1) | instskip(NEXT) | instid1(VALU_DEP_1)
	v_wmma_f32_16x16x16_bf16 v[65:72], v[57:64], v[25:32], v[65:72]
	v_and_b32_e32 v1, 0x7f800000, v65
	s_delay_alu instid0(VALU_DEP_1) | instskip(SKIP_1) | instid1(SALU_CYCLE_1)
	v_cmp_ne_u32_e32 vcc_lo, 0x7f800000, v1
                                        ; implicit-def: $vgpr1
	s_and_saveexec_b32 s2, vcc_lo
	s_xor_b32 s2, exec_lo, s2
; %bb.79:
	v_bfe_u32 v1, v65, 16, 1
	s_delay_alu instid0(VALU_DEP_1)
	v_add3_u32 v1, v65, v1, 0x7fff
; %bb.80:
	s_and_not1_saveexec_b32 s2, s2
; %bb.81:
	v_and_b32_e32 v1, 0xffff, v65
	v_or_b32_e32 v2, 0x10000, v65
	s_delay_alu instid0(VALU_DEP_2) | instskip(NEXT) | instid1(VALU_DEP_2)
	v_cmp_eq_u32_e32 vcc_lo, 0, v1
	v_cndmask_b32_e32 v1, v2, v65, vcc_lo
; %bb.82:
	s_or_b32 exec_lo, exec_lo, s2
	v_and_b32_e32 v2, 0x7f800000, v66
	s_delay_alu instid0(VALU_DEP_1) | instskip(SKIP_1) | instid1(SALU_CYCLE_1)
	v_cmp_ne_u32_e32 vcc_lo, 0x7f800000, v2
                                        ; implicit-def: $vgpr2
	s_and_saveexec_b32 s2, vcc_lo
	s_xor_b32 s2, exec_lo, s2
; %bb.83:
	v_bfe_u32 v2, v66, 16, 1
	s_delay_alu instid0(VALU_DEP_1)
	v_add3_u32 v2, v66, v2, 0x7fff
; %bb.84:
	s_and_not1_saveexec_b32 s2, s2
; %bb.85:
	v_and_b32_e32 v2, 0xffff, v66
	v_or_b32_e32 v3, 0x10000, v66
	s_delay_alu instid0(VALU_DEP_2) | instskip(NEXT) | instid1(VALU_DEP_2)
	v_cmp_eq_u32_e32 vcc_lo, 0, v2
	v_cndmask_b32_e32 v2, v3, v66, vcc_lo
; %bb.86:
	s_or_b32 exec_lo, exec_lo, s2
	v_and_b32_e32 v3, 0x7f800000, v67
	s_delay_alu instid0(VALU_DEP_1) | instskip(SKIP_1) | instid1(SALU_CYCLE_1)
	v_cmp_ne_u32_e32 vcc_lo, 0x7f800000, v3
                                        ; implicit-def: $vgpr3
	s_and_saveexec_b32 s2, vcc_lo
	s_xor_b32 s2, exec_lo, s2
; %bb.87:
	v_bfe_u32 v3, v67, 16, 1
	s_delay_alu instid0(VALU_DEP_1)
	v_add3_u32 v3, v67, v3, 0x7fff
; %bb.88:
	s_and_not1_saveexec_b32 s2, s2
; %bb.89:
	v_and_b32_e32 v3, 0xffff, v67
	v_or_b32_e32 v4, 0x10000, v67
	s_delay_alu instid0(VALU_DEP_2) | instskip(NEXT) | instid1(VALU_DEP_2)
	v_cmp_eq_u32_e32 vcc_lo, 0, v3
	v_cndmask_b32_e32 v3, v4, v67, vcc_lo
; %bb.90:
	s_or_b32 exec_lo, exec_lo, s2
	v_and_b32_e32 v4, 0x7f800000, v68
	s_delay_alu instid0(VALU_DEP_1) | instskip(SKIP_1) | instid1(SALU_CYCLE_1)
	v_cmp_ne_u32_e32 vcc_lo, 0x7f800000, v4
                                        ; implicit-def: $vgpr4
	s_and_saveexec_b32 s2, vcc_lo
	s_xor_b32 s2, exec_lo, s2
; %bb.91:
	v_bfe_u32 v4, v68, 16, 1
	s_delay_alu instid0(VALU_DEP_1)
	v_add3_u32 v4, v68, v4, 0x7fff
; %bb.92:
	s_and_not1_saveexec_b32 s2, s2
; %bb.93:
	v_and_b32_e32 v4, 0xffff, v68
	v_or_b32_e32 v5, 0x10000, v68
	s_delay_alu instid0(VALU_DEP_2) | instskip(NEXT) | instid1(VALU_DEP_2)
	v_cmp_eq_u32_e32 vcc_lo, 0, v4
	v_cndmask_b32_e32 v4, v5, v68, vcc_lo
; %bb.94:
	s_or_b32 exec_lo, exec_lo, s2
	v_and_b32_e32 v5, 0x7f800000, v69
	s_delay_alu instid0(VALU_DEP_1) | instskip(SKIP_1) | instid1(SALU_CYCLE_1)
	v_cmp_ne_u32_e32 vcc_lo, 0x7f800000, v5
                                        ; implicit-def: $vgpr5
	s_and_saveexec_b32 s2, vcc_lo
	s_xor_b32 s2, exec_lo, s2
; %bb.95:
	v_bfe_u32 v5, v69, 16, 1
	s_delay_alu instid0(VALU_DEP_1)
	v_add3_u32 v5, v69, v5, 0x7fff
; %bb.96:
	s_and_not1_saveexec_b32 s2, s2
; %bb.97:
	v_and_b32_e32 v5, 0xffff, v69
	v_or_b32_e32 v6, 0x10000, v69
	s_delay_alu instid0(VALU_DEP_2) | instskip(NEXT) | instid1(VALU_DEP_2)
	v_cmp_eq_u32_e32 vcc_lo, 0, v5
	v_cndmask_b32_e32 v5, v6, v69, vcc_lo
; %bb.98:
	s_or_b32 exec_lo, exec_lo, s2
	v_and_b32_e32 v6, 0x7f800000, v70
	s_delay_alu instid0(VALU_DEP_1) | instskip(SKIP_1) | instid1(SALU_CYCLE_1)
	v_cmp_ne_u32_e32 vcc_lo, 0x7f800000, v6
                                        ; implicit-def: $vgpr6
	s_and_saveexec_b32 s2, vcc_lo
	s_xor_b32 s2, exec_lo, s2
; %bb.99:
	v_bfe_u32 v6, v70, 16, 1
	s_delay_alu instid0(VALU_DEP_1)
	v_add3_u32 v6, v70, v6, 0x7fff
; %bb.100:
	s_and_not1_saveexec_b32 s2, s2
; %bb.101:
	v_and_b32_e32 v6, 0xffff, v70
	v_or_b32_e32 v7, 0x10000, v70
	s_delay_alu instid0(VALU_DEP_2) | instskip(NEXT) | instid1(VALU_DEP_2)
	v_cmp_eq_u32_e32 vcc_lo, 0, v6
	v_cndmask_b32_e32 v6, v7, v70, vcc_lo
; %bb.102:
	s_or_b32 exec_lo, exec_lo, s2
	v_and_b32_e32 v7, 0x7f800000, v71
	s_delay_alu instid0(VALU_DEP_1) | instskip(SKIP_1) | instid1(SALU_CYCLE_1)
	v_cmp_ne_u32_e32 vcc_lo, 0x7f800000, v7
                                        ; implicit-def: $vgpr7
	s_and_saveexec_b32 s2, vcc_lo
	s_xor_b32 s2, exec_lo, s2
; %bb.103:
	v_bfe_u32 v7, v71, 16, 1
	s_delay_alu instid0(VALU_DEP_1)
	v_add3_u32 v7, v71, v7, 0x7fff
; %bb.104:
	s_and_not1_saveexec_b32 s2, s2
; %bb.105:
	v_and_b32_e32 v7, 0xffff, v71
	v_or_b32_e32 v8, 0x10000, v71
	s_delay_alu instid0(VALU_DEP_2) | instskip(NEXT) | instid1(VALU_DEP_2)
	v_cmp_eq_u32_e32 vcc_lo, 0, v7
	v_cndmask_b32_e32 v7, v8, v71, vcc_lo
; %bb.106:
	s_or_b32 exec_lo, exec_lo, s2
	v_and_b32_e32 v8, 0x7f800000, v72
	s_delay_alu instid0(VALU_DEP_1) | instskip(SKIP_1) | instid1(SALU_CYCLE_1)
	v_cmp_ne_u32_e32 vcc_lo, 0x7f800000, v8
                                        ; implicit-def: $vgpr8
	s_and_saveexec_b32 s2, vcc_lo
	s_xor_b32 s2, exec_lo, s2
; %bb.107:
	v_bfe_u32 v8, v72, 16, 1
	s_delay_alu instid0(VALU_DEP_1)
	v_add3_u32 v8, v72, v8, 0x7fff
                                        ; implicit-def: $vgpr65_vgpr66_vgpr67_vgpr68_vgpr69_vgpr70_vgpr71_vgpr72
; %bb.108:
	s_and_not1_saveexec_b32 s2, s2
; %bb.109:
	v_and_b32_e32 v8, 0xffff, v72
	v_or_b32_e32 v9, 0x10000, v72
	s_delay_alu instid0(VALU_DEP_2) | instskip(NEXT) | instid1(VALU_DEP_2)
	v_cmp_eq_u32_e32 vcc_lo, 0, v8
	v_cndmask_b32_e32 v8, v9, v72, vcc_lo
; %bb.110:
	s_or_b32 exec_lo, exec_lo, s2
	s_delay_alu instid0(VALU_DEP_1)
	v_perm_b32 v7, v8, v7, 0x7060302
	v_perm_b32 v6, v6, v5, 0x7060302
	;; [unrolled: 1-line block ×4, first 2 shown]
	s_barrier
	buffer_gl0_inv
	v_cmp_eq_u32_e32 vcc_lo, 1, v78
	ds_store_b128 v76, v[4:7]
	s_waitcnt lgkmcnt(0)
	s_barrier
	buffer_gl0_inv
	ds_load_b128 v[1:4], v82
	ds_load_b128 v[5:8], v82 offset:16
	v_cmp_eq_u32_e64 s2, 1, v79
	v_cmp_eq_u32_e64 s3, 2, v78
	;; [unrolled: 1-line block ×5, first 2 shown]
	s_waitcnt lgkmcnt(1)
	v_lshrrev_b32_e32 v9, 16, v1
	s_waitcnt lgkmcnt(0)
	v_lshrrev_b32_e32 v13, 16, v5
	v_lshrrev_b32_e32 v10, 16, v2
	;; [unrolled: 1-line block ×4, first 2 shown]
	v_cndmask_b32_e64 v19, v1, v9, s2
	v_cndmask_b32_e32 v18, v5, v13, vcc_lo
	v_cndmask_b32_e64 v20, v5, v13, s2
	v_cndmask_b32_e32 v17, v1, v9, vcc_lo
	v_cmp_eq_u32_e32 vcc_lo, 2, v79
	v_lshrrev_b32_e32 v15, 16, v7
	v_cmp_eq_u32_e64 s2, 1, v77
	v_lshrrev_b32_e32 v12, 16, v4
	v_lshrrev_b32_e32 v16, 16, v8
	v_cndmask_b32_e32 v20, v20, v6, vcc_lo
	v_cndmask_b32_e64 v17, v17, v2, s3
	v_cndmask_b32_e32 v19, v19, v2, vcc_lo
	v_cndmask_b32_e64 v18, v18, v6, s3
	v_cmp_eq_u32_e32 vcc_lo, 4, v78
	v_cmp_eq_u32_e64 s3, 3, v79
	v_cndmask_b32_e64 v17, v17, v10, s4
	v_cndmask_b32_e64 v21, v1, v9, s2
	;; [unrolled: 1-line block ×5, first 2 shown]
	v_cndmask_b32_e32 v17, v17, v3, vcc_lo
	v_cndmask_b32_e64 v20, v20, v14, s3
	v_cndmask_b32_e32 v18, v18, v7, vcc_lo
	v_cmp_eq_u32_e32 vcc_lo, 4, v79
	v_cmp_eq_u32_e64 s3, 5, v79
	v_cmp_eq_u32_e64 s2, 2, v81
	v_cndmask_b32_e64 v21, v21, v2, s6
	v_cmp_eq_u32_e64 s4, 5, v78
	v_cndmask_b32_e32 v19, v19, v3, vcc_lo
	v_cndmask_b32_e32 v20, v20, v7, vcc_lo
	v_cmp_eq_u32_e32 vcc_lo, 6, v79
	s_delay_alu instid0(VALU_DEP_4) | instskip(NEXT) | instid1(VALU_DEP_4)
	v_cndmask_b32_e64 v17, v17, v11, s4
	v_cndmask_b32_e64 v19, v19, v11, s3
	s_delay_alu instid0(VALU_DEP_4) | instskip(SKIP_1) | instid1(VALU_DEP_3)
	v_cndmask_b32_e64 v20, v20, v15, s3
	v_cmp_eq_u32_e64 s3, 1, v81
	v_cndmask_b32_e32 v19, v19, v4, vcc_lo
	v_cndmask_b32_e64 v18, v18, v15, s4
	s_delay_alu instid0(VALU_DEP_3)
	v_cndmask_b32_e64 v1, v1, v9, s3
	v_cndmask_b32_e64 v5, v5, v13, s3
	v_cmp_eq_u32_e64 s3, 3, v77
	v_cndmask_b32_e64 v13, v22, v6, s6
	v_cmp_eq_u32_e64 s6, 3, v81
	v_cndmask_b32_e64 v1, v1, v2, s2
	v_cndmask_b32_e64 v2, v5, v6, s2
	;; [unrolled: 1-line block ×3, first 2 shown]
	v_cmp_eq_u32_e64 s2, 4, v77
	v_cndmask_b32_e64 v6, v13, v14, s3
	v_cndmask_b32_e64 v1, v1, v10, s6
	v_cmp_eq_u32_e64 s3, 4, v81
	v_cndmask_b32_e64 v2, v2, v14, s6
	v_cndmask_b32_e64 v5, v9, v3, s2
	;; [unrolled: 3-line block ×3, first 2 shown]
	v_cndmask_b32_e64 v2, v2, v7, s3
	v_cmp_eq_u32_e64 s2, 5, v81
	v_cmp_eq_u32_e64 s4, 6, v78
	v_cndmask_b32_e64 v5, v5, v11, s6
	v_cmp_eq_u32_e64 s3, 6, v77
	v_cndmask_b32_e64 v3, v6, v15, s6
	v_cndmask_b32_e64 v1, v1, v11, s2
	v_cmp_eq_u32_e64 s6, 6, v81
	v_cndmask_b32_e64 v2, v2, v15, s2
	v_cndmask_b32_e64 v17, v17, v4, s4
	v_cndmask_b32_e64 v18, v18, v8, s4
	v_cmp_eq_u32_e64 s4, 7, v78
	v_cndmask_b32_e64 v5, v5, v4, s3
	;; [unrolled: 4-line block ×3, first 2 shown]
	v_cmp_eq_u32_e64 s3, 7, v77
	v_cndmask_b32_e32 v4, v20, v8, vcc_lo
	v_cndmask_b32_e64 v17, v17, v12, s4
	v_cndmask_b32_e64 v19, v19, v12, s5
	;; [unrolled: 1-line block ×8, first 2 shown]
	s_mov_b32 s2, exec_lo
	v_perm_b32 v4, v2, v1, 0x5040100
	v_perm_b32 v3, v3, v5, 0x5040100
	;; [unrolled: 1-line block ×4, first 2 shown]
	ds_store_b128 v76, v[1:4]
	s_waitcnt lgkmcnt(0)
	s_barrier
	buffer_gl0_inv
	v_cmpx_gt_u32_e32 32, v0
	s_cbranch_execz .LBB1593_2
; %bb.111:
	s_load_b64 s[0:1], s[0:1], 0x68
	s_lshl_b32 s4, s34, 7
	v_or_b32_e32 v2, s29, v74
	s_mul_i32 s2, s4, s30
	v_lshlrev_b32_e32 v1, 10, v0
	s_mul_i32 s2, s2, s7
	v_lshlrev_b32_e32 v3, 4, v75
	v_mul_lo_u32 v0, v2, s4
	s_ashr_i32 s3, s2, 31
	v_lshlrev_b32_e32 v4, 6, v74
	v_and_b32_e32 v1, 0x3800, v1
	v_or_b32_e32 v5, 2, v2
	s_lshl_b64 s[2:3], s[2:3], 1
	v_or_b32_e32 v6, 4, v2
	v_or_b32_e32 v7, 6, v2
	v_or3_b32 v12, v1, v3, v4
	v_ashrrev_i32_e32 v1, 31, v0
	v_mul_lo_u32 v2, v5, s4
	v_mul_lo_u32 v16, v6, s4
	;; [unrolled: 1-line block ×3, first 2 shown]
	s_waitcnt lgkmcnt(0)
	s_add_u32 s2, s0, s2
	s_addc_u32 s3, s1, s3
	s_lshl_b32 s0, s14, 7
	v_lshlrev_b64 v[0:1], 1, v[0:1]
	s_ashr_i32 s1, s0, 31
	v_ashrrev_i32_e32 v3, 31, v2
	s_lshl_b64 s[0:1], s[0:1], 1
	v_ashrrev_i32_e32 v17, 31, v16
	s_add_u32 s0, s2, s0
	s_addc_u32 s1, s3, s1
	v_add_co_u32 v24, s0, s0, v73
	s_delay_alu instid0(VALU_DEP_1) | instskip(SKIP_1) | instid1(VALU_DEP_3)
	v_add_co_ci_u32_e64 v25, null, s1, 0, s0
	v_lshlrev_b64 v[22:23], 1, v[2:3]
	v_add_co_u32 v18, vcc_lo, v24, v0
	s_delay_alu instid0(VALU_DEP_3)
	v_add_co_ci_u32_e32 v19, vcc_lo, v25, v1, vcc_lo
	ds_load_b128 v[0:3], v12
	ds_load_b128 v[4:7], v12 offset:128
	ds_load_b128 v[8:11], v12 offset:256
	;; [unrolled: 1-line block ×3, first 2 shown]
	v_ashrrev_i32_e32 v21, 31, v20
	v_lshlrev_b64 v[16:17], 1, v[16:17]
	v_add_co_u32 v22, vcc_lo, v24, v22
	v_add_co_ci_u32_e32 v23, vcc_lo, v25, v23, vcc_lo
	s_delay_alu instid0(VALU_DEP_4) | instskip(NEXT) | instid1(VALU_DEP_4)
	v_lshlrev_b64 v[20:21], 1, v[20:21]
	v_add_co_u32 v16, vcc_lo, v24, v16
	v_add_co_ci_u32_e32 v17, vcc_lo, v25, v17, vcc_lo
	s_delay_alu instid0(VALU_DEP_3) | instskip(NEXT) | instid1(VALU_DEP_4)
	v_add_co_u32 v20, vcc_lo, v24, v20
	v_add_co_ci_u32_e32 v21, vcc_lo, v25, v21, vcc_lo
	s_waitcnt lgkmcnt(3)
	global_store_b128 v[18:19], v[0:3], off
	s_waitcnt lgkmcnt(2)
	global_store_b128 v[22:23], v[4:7], off
	;; [unrolled: 2-line block ×4, first 2 shown]
	s_nop 0
	s_sendmsg sendmsg(MSG_DEALLOC_VGPRS)
	s_endpgm
	.section	.rodata,"a",@progbits
	.p2align	6, 0x0
	.amdhsa_kernel _Z39paged_attention_ll4mi_QKV_mfma16_kernelI14__hip_bfloat16hLN4vllm18Fp8KVCacheDataTypeE1EhLi32ELi128ELi256ELb1ELi8EL8MFMAType1EEvPKT_PKT0_S9_ifPKiSB_SB_iPKfiiiPfSE_PS4_PT2_iSD_SD_
		.amdhsa_group_segment_fixed_size 17472
		.amdhsa_private_segment_fixed_size 0
		.amdhsa_kernarg_size 400
		.amdhsa_user_sgpr_count 13
		.amdhsa_user_sgpr_dispatch_ptr 0
		.amdhsa_user_sgpr_queue_ptr 0
		.amdhsa_user_sgpr_kernarg_segment_ptr 1
		.amdhsa_user_sgpr_dispatch_id 0
		.amdhsa_user_sgpr_private_segment_size 0
		.amdhsa_wavefront_size32 1
		.amdhsa_uses_dynamic_stack 0
		.amdhsa_enable_private_segment 0
		.amdhsa_system_sgpr_workgroup_id_x 1
		.amdhsa_system_sgpr_workgroup_id_y 1
		.amdhsa_system_sgpr_workgroup_id_z 1
		.amdhsa_system_sgpr_workgroup_info 0
		.amdhsa_system_vgpr_workitem_id 0
		.amdhsa_next_free_vgpr 140
		.amdhsa_next_free_sgpr 36
		.amdhsa_reserve_vcc 1
		.amdhsa_float_round_mode_32 0
		.amdhsa_float_round_mode_16_64 0
		.amdhsa_float_denorm_mode_32 3
		.amdhsa_float_denorm_mode_16_64 3
		.amdhsa_dx10_clamp 1
		.amdhsa_ieee_mode 1
		.amdhsa_fp16_overflow 0
		.amdhsa_workgroup_processor_mode 1
		.amdhsa_memory_ordered 1
		.amdhsa_forward_progress 0
		.amdhsa_shared_vgpr_count 0
		.amdhsa_exception_fp_ieee_invalid_op 0
		.amdhsa_exception_fp_denorm_src 0
		.amdhsa_exception_fp_ieee_div_zero 0
		.amdhsa_exception_fp_ieee_overflow 0
		.amdhsa_exception_fp_ieee_underflow 0
		.amdhsa_exception_fp_ieee_inexact 0
		.amdhsa_exception_int_div_zero 0
	.end_amdhsa_kernel
	.section	.text._Z39paged_attention_ll4mi_QKV_mfma16_kernelI14__hip_bfloat16hLN4vllm18Fp8KVCacheDataTypeE1EhLi32ELi128ELi256ELb1ELi8EL8MFMAType1EEvPKT_PKT0_S9_ifPKiSB_SB_iPKfiiiPfSE_PS4_PT2_iSD_SD_,"axG",@progbits,_Z39paged_attention_ll4mi_QKV_mfma16_kernelI14__hip_bfloat16hLN4vllm18Fp8KVCacheDataTypeE1EhLi32ELi128ELi256ELb1ELi8EL8MFMAType1EEvPKT_PKT0_S9_ifPKiSB_SB_iPKfiiiPfSE_PS4_PT2_iSD_SD_,comdat
.Lfunc_end1593:
	.size	_Z39paged_attention_ll4mi_QKV_mfma16_kernelI14__hip_bfloat16hLN4vllm18Fp8KVCacheDataTypeE1EhLi32ELi128ELi256ELb1ELi8EL8MFMAType1EEvPKT_PKT0_S9_ifPKiSB_SB_iPKfiiiPfSE_PS4_PT2_iSD_SD_, .Lfunc_end1593-_Z39paged_attention_ll4mi_QKV_mfma16_kernelI14__hip_bfloat16hLN4vllm18Fp8KVCacheDataTypeE1EhLi32ELi128ELi256ELb1ELi8EL8MFMAType1EEvPKT_PKT0_S9_ifPKiSB_SB_iPKfiiiPfSE_PS4_PT2_iSD_SD_
                                        ; -- End function
	.section	.AMDGPU.csdata,"",@progbits
; Kernel info:
; codeLenInByte = 8860
; NumSgprs: 38
; NumVgprs: 140
; ScratchSize: 0
; MemoryBound: 0
; FloatMode: 240
; IeeeMode: 1
; LDSByteSize: 17472 bytes/workgroup (compile time only)
; SGPRBlocks: 4
; VGPRBlocks: 17
; NumSGPRsForWavesPerEU: 38
; NumVGPRsForWavesPerEU: 140
; Occupancy: 10
; WaveLimiterHint : 1
; COMPUTE_PGM_RSRC2:SCRATCH_EN: 0
; COMPUTE_PGM_RSRC2:USER_SGPR: 13
; COMPUTE_PGM_RSRC2:TRAP_HANDLER: 0
; COMPUTE_PGM_RSRC2:TGID_X_EN: 1
; COMPUTE_PGM_RSRC2:TGID_Y_EN: 1
; COMPUTE_PGM_RSRC2:TGID_Z_EN: 1
; COMPUTE_PGM_RSRC2:TIDIG_COMP_CNT: 0
	.section	.text._Z39paged_attention_ll4mi_QKV_mfma16_kernelI14__hip_bfloat16hLN4vllm18Fp8KVCacheDataTypeE1EhLi32ELi128ELi256ELb1ELi9EL8MFMAType1EEvPKT_PKT0_S9_ifPKiSB_SB_iPKfiiiPfSE_PS4_PT2_iSD_SD_,"axG",@progbits,_Z39paged_attention_ll4mi_QKV_mfma16_kernelI14__hip_bfloat16hLN4vllm18Fp8KVCacheDataTypeE1EhLi32ELi128ELi256ELb1ELi9EL8MFMAType1EEvPKT_PKT0_S9_ifPKiSB_SB_iPKfiiiPfSE_PS4_PT2_iSD_SD_,comdat
	.protected	_Z39paged_attention_ll4mi_QKV_mfma16_kernelI14__hip_bfloat16hLN4vllm18Fp8KVCacheDataTypeE1EhLi32ELi128ELi256ELb1ELi9EL8MFMAType1EEvPKT_PKT0_S9_ifPKiSB_SB_iPKfiiiPfSE_PS4_PT2_iSD_SD_ ; -- Begin function _Z39paged_attention_ll4mi_QKV_mfma16_kernelI14__hip_bfloat16hLN4vllm18Fp8KVCacheDataTypeE1EhLi32ELi128ELi256ELb1ELi9EL8MFMAType1EEvPKT_PKT0_S9_ifPKiSB_SB_iPKfiiiPfSE_PS4_PT2_iSD_SD_
	.globl	_Z39paged_attention_ll4mi_QKV_mfma16_kernelI14__hip_bfloat16hLN4vllm18Fp8KVCacheDataTypeE1EhLi32ELi128ELi256ELb1ELi9EL8MFMAType1EEvPKT_PKT0_S9_ifPKiSB_SB_iPKfiiiPfSE_PS4_PT2_iSD_SD_
	.p2align	8
	.type	_Z39paged_attention_ll4mi_QKV_mfma16_kernelI14__hip_bfloat16hLN4vllm18Fp8KVCacheDataTypeE1EhLi32ELi128ELi256ELb1ELi9EL8MFMAType1EEvPKT_PKT0_S9_ifPKiSB_SB_iPKfiiiPfSE_PS4_PT2_iSD_SD_,@function
_Z39paged_attention_ll4mi_QKV_mfma16_kernelI14__hip_bfloat16hLN4vllm18Fp8KVCacheDataTypeE1EhLi32ELi128ELi256ELb1ELi9EL8MFMAType1EEvPKT_PKT0_S9_ifPKiSB_SB_iPKfiiiPfSE_PS4_PT2_iSD_SD_: ; @_Z39paged_attention_ll4mi_QKV_mfma16_kernelI14__hip_bfloat16hLN4vllm18Fp8KVCacheDataTypeE1EhLi32ELi128ELi256ELb1ELi9EL8MFMAType1EEvPKT_PKT0_S9_ifPKiSB_SB_iPKfiiiPfSE_PS4_PT2_iSD_SD_
; %bb.0:
	s_load_b64 s[4:5], s[0:1], 0x30
	s_mov_b32 s30, s13
	s_waitcnt lgkmcnt(0)
	s_cmp_lg_u64 s[4:5], 0
	s_cselect_b32 s13, -1, 0
	s_ashr_i32 s31, s30, 31
	s_cmp_eq_u64 s[4:5], 0
	s_cbranch_scc1 .LBB1594_3
; %bb.1:
	s_lshl_b64 s[2:3], s[30:31], 2
	s_delay_alu instid0(SALU_CYCLE_1) | instskip(SKIP_4) | instid1(SALU_CYCLE_1)
	s_add_u32 s2, s4, s2
	s_addc_u32 s3, s5, s3
	s_load_b64 s[2:3], s[2:3], 0x0
	s_waitcnt lgkmcnt(0)
	s_sub_i32 s2, s3, s2
	s_cmp_eq_u32 s2, 1
	s_cselect_b32 s2, -1, 0
	s_delay_alu instid0(SALU_CYCLE_1)
	s_and_not1_b32 vcc_lo, exec_lo, s2
	s_cbranch_vccz .LBB1594_4
.LBB1594_2:
	s_nop 0
	s_sendmsg sendmsg(MSG_DEALLOC_VGPRS)
	s_endpgm
.LBB1594_3:
.LBB1594_4:
	s_load_b64 s[2:3], s[0:1], 0x28
	s_lshl_b64 s[6:7], s[30:31], 2
	s_waitcnt lgkmcnt(0)
	s_add_u32 s2, s2, s6
	s_addc_u32 s3, s3, s7
	s_lshl_b32 s12, s14, 8
	s_load_b32 s17, s[2:3], 0x0
	s_waitcnt lgkmcnt(0)
	s_cmp_ge_i32 s12, s17
	s_cbranch_scc1 .LBB1594_2
; %bb.5:
	s_clause 0x1
	s_load_b128 s[8:11], s[0:1], 0x8
	s_load_b64 s[2:3], s[0:1], 0x20
	s_and_not1_b32 vcc_lo, exec_lo, s13
	s_cbranch_vccnz .LBB1594_7
; %bb.6:
	s_add_u32 s4, s4, s6
	s_addc_u32 s5, s5, s7
	s_load_b32 s13, s[4:5], 0x0
	s_branch .LBB1594_8
.LBB1594_7:
	s_mov_b32 s13, s30
.LBB1594_8:
	s_load_b128 s[4:7], s[0:1], 0x48
	v_and_b32_e32 v65, 15, v0
	v_lshrrev_b32_e32 v66, 5, v0
	v_bfe_u32 v74, v0, 4, 1
	v_and_b32_e32 v67, 31, v0
	v_and_b32_e32 v75, 1, v0
	v_lshlrev_b32_e32 v2, 3, v65
	s_mul_i32 s31, s15, 9
	v_lshl_or_b32 v1, v66, 1, v74
	s_waitcnt lgkmcnt(0)
	s_mov_b32 s7, exec_lo
	v_lshlrev_b32_e32 v73, 1, v2
	s_delay_alu instid0(VALU_DEP_2)
	v_cmpx_gt_u32_e32 9, v1
	s_cbranch_execz .LBB1594_10
; %bb.9:
	s_load_b64 s[18:19], s[0:1], 0x0
	v_add_lshl_u32 v2, v1, s31, 7
	s_mul_hi_i32 s21, s13, s4
	s_mul_i32 s20, s13, s4
	v_lshlrev_b32_e32 v6, 10, v65
	s_lshl_b64 s[20:21], s[20:21], 1
	v_ashrrev_i32_e32 v3, 31, v2
	v_lshlrev_b32_e32 v1, 6, v1
	v_lshlrev_b32_e32 v7, 10, v75
	v_and_b32_e32 v6, 0x3800, v6
	s_delay_alu instid0(VALU_DEP_4) | instskip(NEXT) | instid1(VALU_DEP_2)
	v_lshlrev_b64 v[2:3], 1, v[2:3]
	v_or3_b32 v1, v6, v7, v1
	s_waitcnt lgkmcnt(0)
	s_add_u32 s4, s18, s20
	s_addc_u32 s13, s19, s21
	s_delay_alu instid0(VALU_DEP_2) | instskip(SKIP_1) | instid1(VALU_DEP_2)
	v_add_co_u32 v2, vcc_lo, s4, v2
	v_add_co_ci_u32_e32 v3, vcc_lo, s13, v3, vcc_lo
	v_add_co_u32 v2, vcc_lo, v2, v73
	s_delay_alu instid0(VALU_DEP_2)
	v_add_co_ci_u32_e32 v3, vcc_lo, 0, v3, vcc_lo
	global_load_b128 v[2:5], v[2:3], off
	s_waitcnt vmcnt(0)
	ds_store_b128 v1, v[2:5]
.LBB1594_10:
	s_or_b32 exec_lo, exec_lo, s7
	v_and_b32_e32 v1, 0xef, v0
	s_add_i32 s4, s17, 31
	s_clause 0x1
	s_load_b32 s7, s[0:1], 0x38
	s_load_b32 s18, s[0:1], 0x1c
	s_ashr_i32 s13, s4, 31
	v_add_nc_u32_e32 v1, s12, v1
	s_lshr_b32 s13, s13, 27
	s_waitcnt lgkmcnt(0)
	s_add_i32 s4, s4, s13
	s_barrier
	v_ashrrev_i32_e32 v2, 31, v1
	v_or_b32_e32 v3, 16, v1
	s_ashr_i32 s4, s4, 5
	v_cmp_gt_i32_e32 vcc_lo, s17, v1
	s_add_i32 s4, s4, -1
	v_lshrrev_b32_e32 v2, 27, v2
	buffer_gl0_inv
	s_mul_i32 s15, s15, s6
	v_add_nc_u32_e32 v4, v1, v2
	s_mul_i32 s20, s30, s7
	s_delay_alu instid0(SALU_CYCLE_1) | instskip(NEXT) | instid1(VALU_DEP_1)
	s_ashr_i32 s21, s20, 31
	v_ashrrev_i32_e32 v4, 5, v4
	v_add_nc_u32_e32 v2, v3, v2
	s_lshl_b64 s[20:21], s[20:21], 2
	s_delay_alu instid0(SALU_CYCLE_1) | instskip(NEXT) | instid1(VALU_DEP_2)
	s_add_u32 s13, s2, s20
	v_cndmask_b32_e32 v1, s4, v4, vcc_lo
	s_delay_alu instid0(VALU_DEP_2)
	v_ashrrev_i32_e32 v2, 5, v2
	v_cmp_gt_i32_e32 vcc_lo, s17, v3
	s_addc_u32 s16, s3, s21
	s_ashr_i32 s19, s15, 31
	s_add_u32 s2, s8, s15
	s_addc_u32 s3, s9, s19
	v_cndmask_b32_e32 v3, s4, v2, vcc_lo
	v_ashrrev_i32_e32 v2, 31, v1
	s_lshl_b32 s6, s14, 3
	s_delay_alu instid0(SALU_CYCLE_1) | instskip(NEXT) | instid1(VALU_DEP_2)
	s_ashr_i32 s7, s6, 31
	v_ashrrev_i32_e32 v4, 31, v3
	s_delay_alu instid0(VALU_DEP_2) | instskip(SKIP_1) | instid1(SALU_CYCLE_1)
	v_lshlrev_b64 v[1:2], 2, v[1:2]
	s_lshl_b64 s[6:7], s[6:7], 2
	s_add_u32 s6, s13, s6
	s_delay_alu instid0(VALU_DEP_2) | instskip(SKIP_1) | instid1(VALU_DEP_2)
	v_lshlrev_b64 v[3:4], 2, v[3:4]
	s_addc_u32 s7, s16, s7
	v_add_co_u32 v1, vcc_lo, s13, v1
	v_add_co_ci_u32_e32 v2, vcc_lo, s16, v2, vcc_lo
	s_delay_alu instid0(VALU_DEP_3) | instskip(NEXT) | instid1(VALU_DEP_4)
	v_add_co_u32 v3, vcc_lo, s13, v3
	v_add_co_ci_u32_e32 v4, vcc_lo, s16, v4, vcc_lo
	s_clause 0x1
	global_load_b32 v5, v[1:2], off
	global_load_b32 v6, v[3:4], off
	s_or_b32 s8, s12, 32
	s_delay_alu instid0(SALU_CYCLE_1) | instskip(SKIP_2) | instid1(SALU_CYCLE_1)
	s_ashr_i32 s9, s8, 5
	s_cmp_lt_i32 s8, s17
	s_cselect_b32 s8, s9, s4
	s_ashr_i32 s9, s8, 31
	s_delay_alu instid0(SALU_CYCLE_1) | instskip(NEXT) | instid1(SALU_CYCLE_1)
	s_lshl_b64 s[8:9], s[8:9], 2
	s_add_u32 s8, s13, s8
	s_addc_u32 s9, s16, s9
	s_or_b32 s20, s12, 64
	s_delay_alu instid0(SALU_CYCLE_1) | instskip(SKIP_2) | instid1(SALU_CYCLE_1)
	s_ashr_i32 s21, s20, 5
	s_cmp_lt_i32 s20, s17
	s_cselect_b32 s20, s21, s4
	s_ashr_i32 s21, s20, 31
	s_delay_alu instid0(SALU_CYCLE_1) | instskip(NEXT) | instid1(SALU_CYCLE_1)
	s_lshl_b64 s[20:21], s[20:21], 2
	s_add_u32 s20, s13, s20
	s_addc_u32 s21, s16, s21
	;; [unrolled: 10-line block ×5, first 2 shown]
	s_clause 0x5
	s_load_b32 s28, s[6:7], 0x0
	s_load_b32 s8, s[8:9], 0x0
	s_load_b32 s9, s[20:21], 0x0
	s_load_b32 s29, s[22:23], 0x0
	s_load_b32 s33, s[24:25], 0x0
	s_load_b32 s34, s[26:27], 0x0
	s_mov_b32 s20, 0
	s_delay_alu instid0(SALU_CYCLE_1)
	s_mov_b32 s21, s20
	s_mov_b32 s22, s20
	;; [unrolled: 1-line block ×7, first 2 shown]
	s_delay_alu instid0(SALU_CYCLE_1)
	v_dual_mov_b32 v107, s27 :: v_dual_mov_b32 v106, s26
	v_dual_mov_b32 v104, s24 :: v_dual_mov_b32 v103, s23
	;; [unrolled: 1-line block ×3, first 2 shown]
	v_mov_b32_e32 v100, s20
	s_waitcnt vmcnt(1)
	v_mad_i64_i32 v[1:2], null, v5, s5, s[2:3]
	v_lshlrev_b32_e32 v5, 4, v65
	s_waitcnt vmcnt(0)
	v_mad_i64_i32 v[3:4], null, v6, s5, s[2:3]
	s_or_b32 s2, s12, 0xc0
	s_delay_alu instid0(SALU_CYCLE_1) | instskip(NEXT) | instid1(VALU_DEP_3)
	s_ashr_i32 s3, s2, 5
	v_add_co_u32 v33, vcc_lo, v1, v5
	s_delay_alu instid0(VALU_DEP_4) | instskip(NEXT) | instid1(VALU_DEP_3)
	v_add_co_ci_u32_e32 v34, vcc_lo, 0, v2, vcc_lo
	v_add_co_u32 v35, vcc_lo, v3, v5
	s_delay_alu instid0(VALU_DEP_4)
	v_add_co_ci_u32_e32 v36, vcc_lo, 0, v4, vcc_lo
	s_clause 0xf
	global_load_b128 v[1:4], v[33:34], off
	global_load_b128 v[5:8], v[33:34], off offset:512
	global_load_b128 v[9:12], v[35:36], off offset:256
	;; [unrolled: 1-line block ×15, first 2 shown]
	s_cmp_lt_i32 s2, s17
	v_add_nc_u32_e32 v33, -9, v65
	s_cselect_b32 s2, s3, s4
	v_cmp_gt_u32_e32 vcc_lo, 9, v65
	s_ashr_i32 s3, s2, 31
	v_lshlrev_b32_e32 v34, 5, v65
	s_lshl_b64 s[2:3], s[2:3], 2
	s_delay_alu instid0(SALU_CYCLE_1)
	s_add_u32 s2, s13, s2
	s_addc_u32 s3, s16, s3
	s_or_b32 s6, s12, 0xe0
	v_cndmask_b32_e32 v33, v33, v65, vcc_lo
	s_ashr_i32 s7, s6, 5
	s_cmp_lt_i32 s6, s17
	v_mov_b32_e32 v105, s25
	s_cselect_b32 s6, s7, s4
	v_lshlrev_b32_e32 v72, 6, v33
	s_ashr_i32 s7, s6, 31
	v_lshl_or_b32 v41, v66, 9, v34
	s_lshl_b64 s[6:7], s[6:7], 2
	ds_load_b128 v[33:36], v72
	ds_load_b128 v[37:40], v72 offset:1024
	ds_load_b128 v[108:111], v72 offset:2048
	;; [unrolled: 1-line block ×3, first 2 shown]
	s_load_b32 s4, s[2:3], 0x0
	s_add_u32 s2, s13, s6
	s_addc_u32 s3, s16, s7
	ds_load_b128 v[116:119], v72 offset:4096
	ds_load_b128 v[120:123], v72 offset:5120
	s_load_b32 s2, s[2:3], 0x0
	s_add_u32 s6, s10, s15
	s_addc_u32 s7, s11, s19
	v_add_co_u32 v68, s6, s6, v41
	s_delay_alu instid0(VALU_DEP_1) | instskip(SKIP_1) | instid1(VALU_DEP_1)
	v_add_co_ci_u32_e64 v69, null, s7, 0, s6
	s_waitcnt lgkmcnt(0)
	v_mad_i64_i32 v[41:42], null, s28, s5, v[68:69]
	v_mad_i64_i32 v[70:71], null, s9, s5, v[68:69]
	;; [unrolled: 1-line block ×7, first 2 shown]
	s_clause 0x3
	global_load_b128 v[49:52], v[41:42], off
	global_load_b128 v[53:56], v[41:42], off offset:16
	global_load_b128 v[41:44], v[45:46], off
	global_load_b128 v[45:48], v[45:46], off offset:16
	s_waitcnt vmcnt(18)
	v_wmma_f32_16x16x16_bf16 v[124:131], v[1:8], v[33:40], v[100:107]
	s_waitcnt vmcnt(16)
	v_wmma_f32_16x16x16_bf16 v[100:107], v[9:16], v[33:40], v[100:107]
	s_clause 0x1
	global_load_b128 v[33:36], v[70:71], off
	global_load_b128 v[37:40], v[70:71], off offset:16
	v_mad_i64_i32 v[70:71], null, s2, s5, v[68:69]
	s_waitcnt vmcnt(16)
	v_wmma_f32_16x16x16_bf16 v[124:131], v[17:24], v[108:115], v[124:131]
	s_waitcnt vmcnt(14)
	v_wmma_f32_16x16x16_bf16 v[100:107], v[25:32], v[108:115], v[100:107]
	s_clause 0x7
	global_load_b128 v[25:28], v[132:133], off
	global_load_b128 v[29:32], v[132:133], off offset:16
	global_load_b128 v[1:4], v[134:135], off
	global_load_b128 v[5:8], v[134:135], off offset:16
	;; [unrolled: 2-line block ×4, first 2 shown]
	s_waitcnt vmcnt(20)
	v_wmma_f32_16x16x16_bf16 v[124:131], v[57:64], v[116:123], v[124:131]
	s_clause 0x1
	global_load_b128 v[57:60], v[70:71], off
	global_load_b128 v[61:64], v[70:71], off offset:16
	s_waitcnt vmcnt(20)
	v_wmma_f32_16x16x16_bf16 v[100:107], v[76:83], v[116:123], v[100:107]
	ds_load_b128 v[76:79], v72 offset:6144
	ds_load_b128 v[80:83], v72 offset:7168
	v_and_b32_e32 v68, 0xe0, v0
	v_mbcnt_lo_u32_b32 v69, -1, 0
	s_waitcnt vmcnt(0) lgkmcnt(0)
	s_barrier
	buffer_gl0_inv
	v_add_nc_u32_e32 v68, s12, v68
	v_xor_b32_e32 v70, 16, v69
	s_delay_alu instid0(VALU_DEP_2) | instskip(NEXT) | instid1(VALU_DEP_2)
	v_or_b32_e32 v68, v68, v74
	v_cmp_gt_i32_e32 vcc_lo, 32, v70
	s_delay_alu instid0(VALU_DEP_2)
	v_or_b32_e32 v71, 4, v68
	v_or_b32_e32 v72, 6, v68
	v_cmp_gt_i32_e64 s2, s17, v68
	v_or_b32_e32 v108, 8, v68
	v_wmma_f32_16x16x16_bf16 v[124:131], v[84:91], v[76:83], v[124:131]
	v_cndmask_b32_e32 v69, v69, v70, vcc_lo
	v_or_b32_e32 v70, 2, v68
	v_wmma_f32_16x16x16_bf16 v[100:107], v[92:99], v[76:83], v[100:107]
	v_or_b32_e32 v109, 10, v68
	v_dual_mul_f32 v80, s18, v129 :: v_dual_mul_f32 v81, s18, v128
	v_dual_mul_f32 v92, s18, v125 :: v_dual_mul_f32 v93, s18, v124
	s_delay_alu instid0(VALU_DEP_4)
	v_mul_f32_e32 v96, s18, v105
	v_cmp_gt_i32_e32 vcc_lo, s17, v70
	v_or_b32_e32 v89, 22, v68
	v_dual_mul_f32 v79, s18, v130 :: v_dual_mul_f32 v82, s18, v127
	v_dual_mul_f32 v83, s18, v126 :: v_dual_mul_f32 v94, s18, v107
	v_cndmask_b32_e64 v93, 0xff7fffff, v93, s2
	v_cndmask_b32_e32 v92, 0xff7fffff, v92, vcc_lo
	v_cmp_gt_i32_e64 s3, s17, v71
	v_cmp_gt_i32_e64 s4, s17, v72
	v_or_b32_e32 v84, 12, v68
	v_or_b32_e32 v85, 14, v68
	v_cmp_gt_i32_e64 s5, s17, v108
	v_cndmask_b32_e64 v71, 0xff7fffff, v83, s3
	v_cndmask_b32_e64 v72, 0xff7fffff, v82, s4
	v_cmp_gt_i32_e64 s6, s17, v109
	v_cmp_gt_i32_e64 s12, s17, v89
	v_lshlrev_b32_e32 v89, 2, v69
	v_max3_f32 v82, v93, 0xff7fffff, v92
	v_or_b32_e32 v86, 16, v68
	v_or_b32_e32 v87, 18, v68
	v_mul_f32_e32 v78, s18, v131
	v_cndmask_b32_e64 v81, 0xff7fffff, v81, s5
	v_cndmask_b32_e64 v80, 0xff7fffff, v80, s6
	v_max3_f32 v71, v82, v71, v72
	v_cmp_gt_i32_e64 s7, s17, v84
	v_cmp_gt_i32_e64 s8, s17, v85
	v_or_b32_e32 v88, 20, v68
	v_or_b32_e32 v90, 24, v68
	;; [unrolled: 1-line block ×5, first 2 shown]
	v_dual_mul_f32 v97, s18, v104 :: v_dual_mul_f32 v70, s18, v101
	v_dual_mul_f32 v99, s18, v102 :: v_dual_mul_f32 v68, s18, v100
	v_cndmask_b32_e64 v72, 0xff7fffff, v79, s7
	v_cndmask_b32_e64 v78, 0xff7fffff, v78, s8
	v_max3_f32 v71, v71, v81, v80
	v_cmp_gt_i32_e64 s9, s17, v86
	v_cmp_gt_i32_e64 s10, s17, v87
	v_dual_mul_f32 v95, s18, v106 :: v_dual_mul_f32 v98, s18, v103
	s_delay_alu instid0(VALU_DEP_4) | instskip(NEXT) | instid1(VALU_DEP_4)
	v_max3_f32 v71, v71, v72, v78
	v_cndmask_b32_e64 v68, 0xff7fffff, v68, s9
	s_delay_alu instid0(VALU_DEP_4)
	v_cndmask_b32_e64 v70, 0xff7fffff, v70, s10
	v_cmp_gt_i32_e64 s11, s17, v88
	v_cndmask_b32_e64 v78, 0xff7fffff, v98, s12
	v_cmp_gt_i32_e64 s13, s17, v90
	v_cmp_gt_i32_e64 s15, s17, v91
	v_max3_f32 v68, v71, v68, v70
	v_cndmask_b32_e64 v72, 0xff7fffff, v99, s11
	v_cmp_gt_i32_e64 s16, s17, v76
	v_cndmask_b32_e64 v70, 0xff7fffff, v97, s13
	v_cndmask_b32_e64 v71, 0xff7fffff, v96, s15
	v_cmp_gt_i32_e64 s17, s17, v77
	v_max3_f32 v68, v68, v72, v78
	v_cndmask_b32_e64 v72, 0xff7fffff, v95, s16
	s_delay_alu instid0(VALU_DEP_3) | instskip(NEXT) | instid1(VALU_DEP_3)
	v_cndmask_b32_e64 v76, 0xff7fffff, v94, s17
	v_max3_f32 v68, v68, v70, v71
	s_delay_alu instid0(VALU_DEP_1) | instskip(SKIP_3) | instid1(VALU_DEP_1)
	v_max3_f32 v68, v68, v72, v76
	ds_bpermute_b32 v69, v89, v68
	s_waitcnt lgkmcnt(0)
	v_max_f32_e32 v69, v69, v69
	v_max_f32_e32 v68, v68, v69
	s_delay_alu instid0(VALU_DEP_1) | instskip(NEXT) | instid1(VALU_DEP_1)
	v_fma_f32 v71, s18, v126, -v68
	v_mul_f32_e32 v71, 0x3fb8aa3b, v71
	v_fma_f32 v70, s18, v125, -v68
	v_fma_f32 v69, s18, v124, -v68
	;; [unrolled: 1-line block ×5, first 2 shown]
	s_delay_alu instid0(VALU_DEP_4) | instskip(SKIP_1) | instid1(VALU_DEP_3)
	v_dual_mul_f32 v70, 0x3fb8aa3b, v70 :: v_dual_mul_f32 v69, 0x3fb8aa3b, v69
	v_exp_f32_e32 v71, v71
	v_mul_f32_e32 v72, 0x3fb8aa3b, v72
	v_fma_f32 v81, s18, v105, -v68
	s_delay_alu instid0(VALU_DEP_3)
	v_exp_f32_e32 v70, v70
	v_mul_f32_e32 v77, 0x3fb8aa3b, v76
	v_exp_f32_e32 v69, v69
	v_exp_f32_e32 v72, v72
	v_mul_f32_e32 v81, 0x3fb8aa3b, v81
	v_cndmask_b32_e64 v83, 0, v71, s3
	v_fma_f32 v71, s18, v131, -v68
	s_delay_alu instid0(VALU_DEP_3) | instskip(SKIP_4) | instid1(TRANS32_DEP_3)
	v_exp_f32_e32 v81, v81
	v_cndmask_b32_e32 v76, 0, v70, vcc_lo
	v_exp_f32_e32 v77, v77
	v_cndmask_b32_e64 v80, 0, v69, s2
	v_fma_f32 v69, s18, v129, -v68
	v_cndmask_b32_e64 v85, 0, v72, s4
	v_mul_f32_e32 v71, 0x3fb8aa3b, v71
	v_fma_f32 v72, s18, v100, -v68
	s_delay_alu instid0(VALU_DEP_4) | instskip(SKIP_1) | instid1(VALU_DEP_4)
	v_dual_add_f32 v70, 0, v80 :: v_dual_mul_f32 v69, 0x3fb8aa3b, v69
	v_cmp_gt_u32_e64 s2, 16, v67
	v_exp_f32_e32 v71, v71
	s_delay_alu instid0(TRANS32_DEP_2) | instskip(SKIP_4) | instid1(VALU_DEP_3)
	v_cndmask_b32_e64 v86, 0, v77, s5
	v_fma_f32 v77, s18, v101, -v68
	v_mul_f32_e32 v78, 0x3fb8aa3b, v78
	v_add_f32_e32 v70, v70, v76
	v_exp_f32_e32 v69, v69
	v_mul_f32_e32 v77, 0x3fb8aa3b, v77
	s_delay_alu instid0(VALU_DEP_3) | instskip(NEXT) | instid1(TRANS32_DEP_3)
	v_exp_f32_e32 v78, v78
	v_cndmask_b32_e64 v88, 0, v71, s8
	v_fma_f32 v71, s18, v104, -v68
	s_delay_alu instid0(VALU_DEP_3) | instskip(NEXT) | instid1(TRANS32_DEP_3)
	v_exp_f32_e32 v77, v77
	v_cndmask_b32_e64 v87, 0, v69, s6
	s_delay_alu instid0(VALU_DEP_2)
	v_mul_f32_e32 v71, 0x3fb8aa3b, v71
	s_waitcnt_depctr 0xfff
	v_cndmask_b32_e64 v84, 0, v78, s7
	v_add_f32_e32 v70, v70, v83
	v_fma_f32 v78, s18, v103, -v68
	v_exp_f32_e32 v82, v71
	s_delay_alu instid0(VALU_DEP_2) | instskip(SKIP_1) | instid1(VALU_DEP_3)
	v_add_f32_e32 v70, v70, v85
	v_mul_f32_e32 v72, 0x3fb8aa3b, v72
	v_mul_f32_e32 v78, 0x3fb8aa3b, v78
	s_delay_alu instid0(VALU_DEP_3) | instskip(SKIP_1) | instid1(VALU_DEP_4)
	v_add_f32_e32 v69, v70, v86
	v_fma_f32 v70, s18, v102, -v68
	v_exp_f32_e32 v72, v72
	s_delay_alu instid0(VALU_DEP_3) | instskip(NEXT) | instid1(VALU_DEP_1)
	v_exp_f32_e32 v78, v78
	v_dual_add_f32 v69, v69, v87 :: v_dual_mul_f32 v70, 0x3fb8aa3b, v70
	s_delay_alu instid0(VALU_DEP_1) | instskip(NEXT) | instid1(VALU_DEP_2)
	v_add_f32_e32 v69, v69, v84
	v_exp_f32_e32 v79, v70
	s_delay_alu instid0(TRANS32_DEP_3) | instskip(NEXT) | instid1(VALU_DEP_2)
	v_cndmask_b32_e64 v70, 0, v72, s9
	v_add_f32_e32 v72, v69, v88
	v_cndmask_b32_e64 v69, 0, v77, s10
	v_fma_f32 v77, s18, v106, -v68
	s_waitcnt_depctr 0xfff
	v_cndmask_b32_e64 v71, 0, v79, s11
	v_dual_mul_f32 v77, 0x3fb8aa3b, v77 :: v_dual_add_f32 v72, v72, v70
	s_delay_alu instid0(VALU_DEP_1) | instskip(NEXT) | instid1(VALU_DEP_1)
	v_exp_f32_e32 v90, v77
	v_add_f32_e32 v79, v72, v69
	v_cndmask_b32_e64 v72, 0, v78, s12
	v_cndmask_b32_e64 v77, 0, v82, s13
	s_delay_alu instid0(VALU_DEP_3) | instskip(SKIP_1) | instid1(VALU_DEP_1)
	v_add_f32_e32 v78, v79, v71
	v_fma_f32 v79, s18, v107, -v68
	v_dual_add_f32 v82, v78, v72 :: v_dual_mul_f32 v79, 0x3fb8aa3b, v79
	v_cndmask_b32_e64 v78, 0, v81, s15
	s_delay_alu instid0(VALU_DEP_2) | instskip(NEXT) | instid1(VALU_DEP_3)
	v_add_f32_e32 v81, v82, v77
	v_exp_f32_e32 v82, v79
	v_cndmask_b32_e64 v79, 0, v90, s16
	s_delay_alu instid0(VALU_DEP_2) | instskip(NEXT) | instid1(VALU_DEP_1)
	v_add_f32_e32 v81, v81, v78
	v_add_f32_e32 v90, v81, v79
	s_waitcnt_depctr 0xfff
	v_cndmask_b32_e64 v81, 0, v82, s17
	s_delay_alu instid0(VALU_DEP_1)
	v_add_f32_e32 v82, v90, v81
	ds_bpermute_b32 v89, v89, v82
	s_and_saveexec_b32 s3, s2
	s_cbranch_execz .LBB1594_12
; %bb.11:
	v_mul_u32_u24_e32 v67, 0x44, v66
	s_delay_alu instid0(VALU_DEP_1) | instskip(SKIP_1) | instid1(VALU_DEP_1)
	v_lshl_add_u32 v67, v65, 2, v67
	s_waitcnt lgkmcnt(0)
	v_dual_add_f32 v82, v82, v89 :: v_dual_add_nc_u32 v67, 0x4000, v67
	ds_store_2addr_b32 v67, v68, v82 offset1:136
.LBB1594_12:
	s_or_b32 exec_lo, exec_lo, s3
	v_lshlrev_b32_e32 v67, 2, v65
	s_waitcnt lgkmcnt(0)
	s_barrier
	buffer_gl0_inv
	v_cmp_eq_u32_e32 vcc_lo, 1, v66
	v_add_nc_u32_e32 v82, 0x4000, v67
	v_cmp_eq_u32_e64 s3, 2, v66
	v_cmp_eq_u32_e64 s5, 7, v66
	ds_load_2addr_b32 v[89:90], v82 offset1:17
	ds_load_2addr_b32 v[91:92], v82 offset0:34 offset1:51
	ds_load_2addr_b32 v[93:94], v82 offset0:68 offset1:85
	;; [unrolled: 1-line block ×4, first 2 shown]
	s_waitcnt lgkmcnt(4)
	v_max3_f32 v67, v89, 0xff7fffff, v90
	s_waitcnt lgkmcnt(3)
	s_delay_alu instid0(VALU_DEP_1) | instskip(SKIP_1) | instid1(VALU_DEP_1)
	v_max3_f32 v67, v67, v91, v92
	s_waitcnt lgkmcnt(2)
	v_max3_f32 v67, v67, v93, v94
	s_waitcnt lgkmcnt(1)
	s_delay_alu instid0(VALU_DEP_1) | instskip(NEXT) | instid1(VALU_DEP_1)
	v_max3_f32 v67, v67, v95, v96
	v_sub_f32_e32 v93, v93, v67
	s_delay_alu instid0(VALU_DEP_1) | instskip(NEXT) | instid1(VALU_DEP_1)
	v_dual_sub_f32 v68, v89, v67 :: v_dual_mul_f32 v103, 0x3fb8aa3b, v93
	v_mul_f32_e32 v68, 0x3fb8aa3b, v68
	s_delay_alu instid0(VALU_DEP_1)
	v_exp_f32_e32 v100, v68
	v_sub_f32_e32 v68, v92, v67
	v_sub_f32_e32 v99, v90, v67
	ds_load_2addr_b32 v[89:90], v82 offset0:170 offset1:187
	v_dual_mul_f32 v102, 0x3fb8aa3b, v68 :: v_dual_mul_f32 v99, 0x3fb8aa3b, v99
	s_waitcnt lgkmcnt(1)
	v_fma_f32 v68, v100, v97, 0
	s_delay_alu instid0(VALU_DEP_2) | instskip(NEXT) | instid1(VALU_DEP_2)
	v_exp_f32_e32 v102, v102
	v_exp_f32_e32 v99, v99
	s_waitcnt_depctr 0xfff
	v_fmac_f32_e32 v68, v99, v98
	v_sub_f32_e32 v91, v91, v67
	s_delay_alu instid0(VALU_DEP_1)
	v_mul_f32_e32 v101, 0x3fb8aa3b, v91
	ds_load_2addr_b32 v[91:92], v82 offset0:204 offset1:221
	v_sub_f32_e32 v97, v94, v67
	ds_load_2addr_b32 v[93:94], v82 offset0:238 offset1:255
	s_waitcnt lgkmcnt(0)
	v_exp_f32_e32 v101, v101
	s_barrier
	buffer_gl0_inv
	v_dual_fmac_f32 v68, v101, v89 :: v_dual_sub_f32 v89, v96, v67
	v_dual_sub_f32 v82, v95, v67 :: v_dual_mul_f32 v95, 0x3fb8aa3b, v97
	v_exp_f32_e32 v97, v103
	s_delay_alu instid0(VALU_DEP_2) | instskip(NEXT) | instid1(VALU_DEP_2)
	v_dual_fmac_f32 v68, v102, v90 :: v_dual_mul_f32 v89, 0x3fb8aa3b, v89
	v_mul_f32_e32 v82, 0x3fb8aa3b, v82
	s_delay_alu instid0(VALU_DEP_3) | instskip(NEXT) | instid1(VALU_DEP_2)
	v_exp_f32_e32 v95, v95
	v_exp_f32_e32 v89, v89
	s_delay_alu instid0(VALU_DEP_1)
	v_exp_f32_e32 v82, v82
	v_fmac_f32_e32 v68, v97, v91
	s_delay_alu instid0(TRANS32_DEP_3) | instid1(VALU_DEP_1)
	v_fmac_f32_e32 v68, v95, v92
	s_waitcnt_depctr 0xfff
	v_fmac_f32_e32 v68, v82, v93
	s_delay_alu instid0(VALU_DEP_1) | instskip(NEXT) | instid1(VALU_DEP_1)
	v_fmac_f32_e32 v68, v89, v94
	v_add_f32_e32 v90, 0x358637bd, v68
	s_delay_alu instid0(VALU_DEP_1) | instskip(NEXT) | instid1(VALU_DEP_1)
	v_div_scale_f32 v91, null, v90, v90, 1.0
	v_rcp_f32_e32 v92, v91
	s_waitcnt_depctr 0xfff
	v_fma_f32 v93, -v91, v92, 1.0
	s_delay_alu instid0(VALU_DEP_1) | instskip(SKIP_1) | instid1(VALU_DEP_2)
	v_dual_fmac_f32 v92, v93, v92 :: v_dual_cndmask_b32 v93, v100, v99
	v_cmp_eq_u32_e32 vcc_lo, 3, v66
	v_cndmask_b32_e64 v93, v93, v101, s3
	v_cmp_eq_u32_e64 s3, 4, v66
	s_delay_alu instid0(VALU_DEP_2) | instskip(SKIP_1) | instid1(VALU_DEP_2)
	v_cndmask_b32_e32 v93, v93, v102, vcc_lo
	v_cmp_eq_u32_e32 vcc_lo, 5, v66
	v_cndmask_b32_e64 v93, v93, v97, s3
	v_cmp_eq_u32_e64 s3, 6, v66
	s_delay_alu instid0(VALU_DEP_2) | instskip(SKIP_1) | instid1(VALU_DEP_1)
	v_cndmask_b32_e32 v93, v93, v95, vcc_lo
	v_div_scale_f32 v94, s4, 1.0, v90, 1.0
	s_mov_b32 vcc_lo, s4
	s_delay_alu instid0(VALU_DEP_2) | instskip(NEXT) | instid1(VALU_DEP_2)
	v_cndmask_b32_e64 v82, v93, v82, s3
	v_mul_f32_e32 v96, v94, v92
	s_mov_b32 s3, exec_lo
	s_delay_alu instid0(VALU_DEP_2) | instskip(NEXT) | instid1(VALU_DEP_2)
	v_cndmask_b32_e64 v82, v82, v89, s5
	v_fma_f32 v98, -v91, v96, v94
	s_delay_alu instid0(VALU_DEP_1) | instskip(NEXT) | instid1(VALU_DEP_1)
	v_fmac_f32_e32 v96, v98, v92
	v_fma_f32 v91, -v91, v96, v94
	s_delay_alu instid0(VALU_DEP_1) | instskip(NEXT) | instid1(VALU_DEP_1)
	v_div_fmas_f32 v91, v91, v92, v96
	v_div_fixup_f32 v90, v91, v90, 1.0
	s_delay_alu instid0(VALU_DEP_1) | instskip(NEXT) | instid1(VALU_DEP_1)
	v_mul_f32_e32 v82, v82, v90
	v_mul_f32_e32 v87, v82, v87
	;; [unrolled: 1-line block ×7, first 2 shown]
	v_dual_mul_f32 v86, v82, v83 :: v_dual_and_b32 v91, 0x7f800000, v90
	v_mul_f32_e32 v85, v82, v76
                                        ; implicit-def: $vgpr76
	s_delay_alu instid0(VALU_DEP_2)
	v_cmpx_ne_u32_e32 0x7f800000, v91
	s_xor_b32 s3, exec_lo, s3
; %bb.13:
	v_bfe_u32 v76, v90, 16, 1
	s_delay_alu instid0(VALU_DEP_1)
	v_add3_u32 v76, v90, v76, 0x7fff
                                        ; implicit-def: $vgpr90
; %bb.14:
	s_and_not1_saveexec_b32 s3, s3
; %bb.15:
	v_and_b32_e32 v76, 0xffff, v90
	v_or_b32_e32 v83, 0x10000, v90
	s_delay_alu instid0(VALU_DEP_2) | instskip(NEXT) | instid1(VALU_DEP_2)
	v_cmp_eq_u32_e32 vcc_lo, 0, v76
	v_cndmask_b32_e32 v76, v83, v90, vcc_lo
; %bb.16:
	s_or_b32 exec_lo, exec_lo, s3
	v_and_b32_e32 v83, 0x7f800000, v85
	s_delay_alu instid0(VALU_DEP_1) | instskip(SKIP_1) | instid1(SALU_CYCLE_1)
	v_cmp_ne_u32_e32 vcc_lo, 0x7f800000, v83
                                        ; implicit-def: $vgpr83
	s_and_saveexec_b32 s3, vcc_lo
	s_xor_b32 s3, exec_lo, s3
; %bb.17:
	v_bfe_u32 v83, v85, 16, 1
	s_delay_alu instid0(VALU_DEP_1)
	v_add3_u32 v83, v85, v83, 0x7fff
                                        ; implicit-def: $vgpr85
; %bb.18:
	s_and_not1_saveexec_b32 s3, s3
; %bb.19:
	v_and_b32_e32 v83, 0xffff, v85
	v_or_b32_e32 v90, 0x10000, v85
	s_delay_alu instid0(VALU_DEP_2) | instskip(NEXT) | instid1(VALU_DEP_2)
	v_cmp_eq_u32_e32 vcc_lo, 0, v83
	v_cndmask_b32_e32 v83, v90, v85, vcc_lo
; %bb.20:
	s_or_b32 exec_lo, exec_lo, s3
	v_and_b32_e32 v85, 0x7f800000, v86
	s_delay_alu instid0(VALU_DEP_1) | instskip(SKIP_1) | instid1(SALU_CYCLE_1)
	v_cmp_ne_u32_e32 vcc_lo, 0x7f800000, v85
                                        ; implicit-def: $vgpr85
	s_and_saveexec_b32 s3, vcc_lo
	s_xor_b32 s3, exec_lo, s3
; %bb.21:
	v_bfe_u32 v85, v86, 16, 1
	s_delay_alu instid0(VALU_DEP_1)
	v_add3_u32 v85, v86, v85, 0x7fff
                                        ; implicit-def: $vgpr86
; %bb.22:
	s_and_not1_saveexec_b32 s3, s3
; %bb.23:
	v_and_b32_e32 v85, 0xffff, v86
	v_or_b32_e32 v90, 0x10000, v86
	s_delay_alu instid0(VALU_DEP_2) | instskip(NEXT) | instid1(VALU_DEP_2)
	v_cmp_eq_u32_e32 vcc_lo, 0, v85
	v_cndmask_b32_e32 v85, v90, v86, vcc_lo
; %bb.24:
	s_or_b32 exec_lo, exec_lo, s3
	v_and_b32_e32 v86, 0x7f800000, v89
	s_delay_alu instid0(VALU_DEP_1) | instskip(SKIP_1) | instid1(SALU_CYCLE_1)
	v_cmp_ne_u32_e32 vcc_lo, 0x7f800000, v86
                                        ; implicit-def: $vgpr86
	s_and_saveexec_b32 s3, vcc_lo
	s_xor_b32 s3, exec_lo, s3
; %bb.25:
	v_bfe_u32 v86, v89, 16, 1
	s_delay_alu instid0(VALU_DEP_1)
	v_add3_u32 v86, v89, v86, 0x7fff
                                        ; implicit-def: $vgpr89
; %bb.26:
	s_and_not1_saveexec_b32 s3, s3
; %bb.27:
	v_and_b32_e32 v86, 0xffff, v89
	v_or_b32_e32 v90, 0x10000, v89
	s_delay_alu instid0(VALU_DEP_2) | instskip(NEXT) | instid1(VALU_DEP_2)
	v_cmp_eq_u32_e32 vcc_lo, 0, v86
	v_cndmask_b32_e32 v86, v90, v89, vcc_lo
; %bb.28:
	s_or_b32 exec_lo, exec_lo, s3
	v_and_b32_e32 v89, 0x7f800000, v88
	s_delay_alu instid0(VALU_DEP_1) | instskip(SKIP_1) | instid1(SALU_CYCLE_1)
	v_cmp_ne_u32_e32 vcc_lo, 0x7f800000, v89
                                        ; implicit-def: $vgpr89
	s_and_saveexec_b32 s3, vcc_lo
	s_xor_b32 s3, exec_lo, s3
; %bb.29:
	v_bfe_u32 v89, v88, 16, 1
	s_delay_alu instid0(VALU_DEP_1)
	v_add3_u32 v89, v88, v89, 0x7fff
                                        ; implicit-def: $vgpr88
; %bb.30:
	s_and_not1_saveexec_b32 s3, s3
; %bb.31:
	v_and_b32_e32 v89, 0xffff, v88
	v_or_b32_e32 v90, 0x10000, v88
	s_delay_alu instid0(VALU_DEP_2) | instskip(NEXT) | instid1(VALU_DEP_2)
	v_cmp_eq_u32_e32 vcc_lo, 0, v89
	v_cndmask_b32_e32 v89, v90, v88, vcc_lo
; %bb.32:
	s_or_b32 exec_lo, exec_lo, s3
	v_and_b32_e32 v88, 0x7f800000, v87
	s_delay_alu instid0(VALU_DEP_1) | instskip(SKIP_1) | instid1(SALU_CYCLE_1)
	v_cmp_ne_u32_e32 vcc_lo, 0x7f800000, v88
                                        ; implicit-def: $vgpr88
	s_and_saveexec_b32 s3, vcc_lo
	s_xor_b32 s3, exec_lo, s3
; %bb.33:
	v_bfe_u32 v88, v87, 16, 1
	s_delay_alu instid0(VALU_DEP_1)
	v_add3_u32 v88, v87, v88, 0x7fff
                                        ; implicit-def: $vgpr87
; %bb.34:
	s_and_not1_saveexec_b32 s3, s3
; %bb.35:
	v_and_b32_e32 v88, 0xffff, v87
	v_or_b32_e32 v90, 0x10000, v87
	s_delay_alu instid0(VALU_DEP_2) | instskip(NEXT) | instid1(VALU_DEP_2)
	v_cmp_eq_u32_e32 vcc_lo, 0, v88
	v_cndmask_b32_e32 v88, v90, v87, vcc_lo
; %bb.36:
	s_or_b32 exec_lo, exec_lo, s3
	v_and_b32_e32 v87, 0x7f800000, v84
	s_delay_alu instid0(VALU_DEP_1) | instskip(SKIP_1) | instid1(SALU_CYCLE_1)
	v_cmp_ne_u32_e32 vcc_lo, 0x7f800000, v87
                                        ; implicit-def: $vgpr87
	s_and_saveexec_b32 s3, vcc_lo
	s_xor_b32 s3, exec_lo, s3
; %bb.37:
	v_bfe_u32 v87, v84, 16, 1
	s_delay_alu instid0(VALU_DEP_1)
	v_add3_u32 v87, v84, v87, 0x7fff
                                        ; implicit-def: $vgpr84
; %bb.38:
	s_and_not1_saveexec_b32 s3, s3
; %bb.39:
	v_and_b32_e32 v87, 0xffff, v84
	v_or_b32_e32 v90, 0x10000, v84
	s_delay_alu instid0(VALU_DEP_2) | instskip(NEXT) | instid1(VALU_DEP_2)
	v_cmp_eq_u32_e32 vcc_lo, 0, v87
	v_cndmask_b32_e32 v87, v90, v84, vcc_lo
; %bb.40:
	s_or_b32 exec_lo, exec_lo, s3
	v_and_b32_e32 v84, 0x7f800000, v80
	s_delay_alu instid0(VALU_DEP_1) | instskip(SKIP_1) | instid1(SALU_CYCLE_1)
	v_cmp_ne_u32_e32 vcc_lo, 0x7f800000, v84
                                        ; implicit-def: $vgpr84
	s_and_saveexec_b32 s3, vcc_lo
	s_xor_b32 s3, exec_lo, s3
; %bb.41:
	v_bfe_u32 v84, v80, 16, 1
	s_delay_alu instid0(VALU_DEP_1)
	v_add3_u32 v84, v80, v84, 0x7fff
                                        ; implicit-def: $vgpr80
; %bb.42:
	s_and_not1_saveexec_b32 s3, s3
; %bb.43:
	v_and_b32_e32 v84, 0xffff, v80
	v_or_b32_e32 v90, 0x10000, v80
	s_delay_alu instid0(VALU_DEP_2) | instskip(NEXT) | instid1(VALU_DEP_2)
	v_cmp_eq_u32_e32 vcc_lo, 0, v84
	v_cndmask_b32_e32 v84, v90, v80, vcc_lo
; %bb.44:
	s_or_b32 exec_lo, exec_lo, s3
	s_load_b64 s[34:35], s[0:1], 0x94
	v_lshlrev_b32_e32 v91, 4, v74
	s_delay_alu instid0(VALU_DEP_2)
	v_perm_b32 v90, v84, v87, 0x7060302
	v_dual_mul_f32 v79, v82, v79 :: v_dual_lshlrev_b32 v80, 6, v65
	v_dual_mul_f32 v77, v82, v77 :: v_dual_lshlrev_b32 v92, 11, v66
	v_mul_f32_e32 v84, v82, v70
	v_perm_b32 v89, v88, v89, 0x7060302
	v_perm_b32 v88, v86, v85, 0x7060302
	;; [unrolled: 1-line block ×3, first 2 shown]
	v_mul_f32_e32 v70, v82, v81
	v_or3_b32 v76, v91, v92, v80
	v_dual_mul_f32 v78, v82, v78 :: v_dual_and_b32 v85, 0x7f800000, v84
	v_mul_f32_e32 v83, v82, v72
	v_mul_f32_e32 v81, v82, v71
	;; [unrolled: 1-line block ×3, first 2 shown]
	s_mov_b32 s3, exec_lo
	ds_store_b128 v76, v[87:90]
                                        ; implicit-def: $vgpr69
	v_cmpx_ne_u32_e32 0x7f800000, v85
	s_xor_b32 s3, exec_lo, s3
; %bb.45:
	v_bfe_u32 v69, v84, 16, 1
	s_delay_alu instid0(VALU_DEP_1)
	v_add3_u32 v69, v84, v69, 0x7fff
                                        ; implicit-def: $vgpr84
; %bb.46:
	s_and_not1_saveexec_b32 s3, s3
; %bb.47:
	v_and_b32_e32 v69, 0xffff, v84
	v_or_b32_e32 v71, 0x10000, v84
	s_delay_alu instid0(VALU_DEP_2) | instskip(NEXT) | instid1(VALU_DEP_2)
	v_cmp_eq_u32_e32 vcc_lo, 0, v69
	v_cndmask_b32_e32 v69, v71, v84, vcc_lo
; %bb.48:
	s_or_b32 exec_lo, exec_lo, s3
	v_and_b32_e32 v71, 0x7f800000, v72
	s_delay_alu instid0(VALU_DEP_1) | instskip(SKIP_1) | instid1(SALU_CYCLE_1)
	v_cmp_ne_u32_e32 vcc_lo, 0x7f800000, v71
                                        ; implicit-def: $vgpr71
	s_and_saveexec_b32 s3, vcc_lo
	s_xor_b32 s3, exec_lo, s3
; %bb.49:
	v_bfe_u32 v71, v72, 16, 1
	s_delay_alu instid0(VALU_DEP_1)
	v_add3_u32 v71, v72, v71, 0x7fff
                                        ; implicit-def: $vgpr72
; %bb.50:
	s_and_not1_saveexec_b32 s3, s3
; %bb.51:
	v_and_b32_e32 v71, 0xffff, v72
	v_or_b32_e32 v82, 0x10000, v72
	s_delay_alu instid0(VALU_DEP_2) | instskip(NEXT) | instid1(VALU_DEP_2)
	v_cmp_eq_u32_e32 vcc_lo, 0, v71
	v_cndmask_b32_e32 v71, v82, v72, vcc_lo
; %bb.52:
	s_or_b32 exec_lo, exec_lo, s3
	v_and_b32_e32 v72, 0x7f800000, v81
	s_delay_alu instid0(VALU_DEP_1) | instskip(SKIP_1) | instid1(SALU_CYCLE_1)
	v_cmp_ne_u32_e32 vcc_lo, 0x7f800000, v72
                                        ; implicit-def: $vgpr72
	s_and_saveexec_b32 s3, vcc_lo
	s_xor_b32 s3, exec_lo, s3
; %bb.53:
	v_bfe_u32 v72, v81, 16, 1
	s_delay_alu instid0(VALU_DEP_1)
	v_add3_u32 v72, v81, v72, 0x7fff
                                        ; implicit-def: $vgpr81
; %bb.54:
	s_and_not1_saveexec_b32 s3, s3
; %bb.55:
	v_and_b32_e32 v72, 0xffff, v81
	v_or_b32_e32 v82, 0x10000, v81
	s_delay_alu instid0(VALU_DEP_2) | instskip(NEXT) | instid1(VALU_DEP_2)
	v_cmp_eq_u32_e32 vcc_lo, 0, v72
	v_cndmask_b32_e32 v72, v82, v81, vcc_lo
; %bb.56:
	s_or_b32 exec_lo, exec_lo, s3
	v_and_b32_e32 v81, 0x7f800000, v83
	s_delay_alu instid0(VALU_DEP_1) | instskip(SKIP_1) | instid1(SALU_CYCLE_1)
	v_cmp_ne_u32_e32 vcc_lo, 0x7f800000, v81
                                        ; implicit-def: $vgpr81
	s_and_saveexec_b32 s3, vcc_lo
	s_xor_b32 s3, exec_lo, s3
; %bb.57:
	v_bfe_u32 v81, v83, 16, 1
	s_delay_alu instid0(VALU_DEP_1)
	v_add3_u32 v81, v83, v81, 0x7fff
                                        ; implicit-def: $vgpr83
; %bb.58:
	s_and_not1_saveexec_b32 s3, s3
; %bb.59:
	v_and_b32_e32 v81, 0xffff, v83
	v_or_b32_e32 v82, 0x10000, v83
	s_delay_alu instid0(VALU_DEP_2) | instskip(NEXT) | instid1(VALU_DEP_2)
	v_cmp_eq_u32_e32 vcc_lo, 0, v81
	v_cndmask_b32_e32 v81, v82, v83, vcc_lo
; %bb.60:
	s_or_b32 exec_lo, exec_lo, s3
	v_and_b32_e32 v82, 0x7f800000, v77
	s_delay_alu instid0(VALU_DEP_1) | instskip(SKIP_1) | instid1(SALU_CYCLE_1)
	v_cmp_ne_u32_e32 vcc_lo, 0x7f800000, v82
                                        ; implicit-def: $vgpr82
	s_and_saveexec_b32 s3, vcc_lo
	s_xor_b32 s3, exec_lo, s3
; %bb.61:
	v_bfe_u32 v82, v77, 16, 1
	s_delay_alu instid0(VALU_DEP_1)
	v_add3_u32 v82, v77, v82, 0x7fff
                                        ; implicit-def: $vgpr77
; %bb.62:
	s_and_not1_saveexec_b32 s3, s3
; %bb.63:
	v_and_b32_e32 v82, 0xffff, v77
	v_or_b32_e32 v83, 0x10000, v77
	s_delay_alu instid0(VALU_DEP_2) | instskip(NEXT) | instid1(VALU_DEP_2)
	v_cmp_eq_u32_e32 vcc_lo, 0, v82
	v_cndmask_b32_e32 v82, v83, v77, vcc_lo
; %bb.64:
	s_or_b32 exec_lo, exec_lo, s3
	v_and_b32_e32 v77, 0x7f800000, v78
	s_delay_alu instid0(VALU_DEP_1) | instskip(SKIP_1) | instid1(SALU_CYCLE_1)
	v_cmp_ne_u32_e32 vcc_lo, 0x7f800000, v77
                                        ; implicit-def: $vgpr77
	s_and_saveexec_b32 s3, vcc_lo
	s_xor_b32 s3, exec_lo, s3
; %bb.65:
	v_bfe_u32 v77, v78, 16, 1
	s_delay_alu instid0(VALU_DEP_1)
	v_add3_u32 v77, v78, v77, 0x7fff
                                        ; implicit-def: $vgpr78
; %bb.66:
	s_and_not1_saveexec_b32 s3, s3
; %bb.67:
	v_and_b32_e32 v77, 0xffff, v78
	v_or_b32_e32 v83, 0x10000, v78
	s_delay_alu instid0(VALU_DEP_2) | instskip(NEXT) | instid1(VALU_DEP_2)
	v_cmp_eq_u32_e32 vcc_lo, 0, v77
	v_cndmask_b32_e32 v77, v83, v78, vcc_lo
; %bb.68:
	s_or_b32 exec_lo, exec_lo, s3
	v_and_b32_e32 v78, 0x7f800000, v79
	s_delay_alu instid0(VALU_DEP_1) | instskip(SKIP_1) | instid1(SALU_CYCLE_1)
	v_cmp_ne_u32_e32 vcc_lo, 0x7f800000, v78
                                        ; implicit-def: $vgpr78
	s_and_saveexec_b32 s3, vcc_lo
	s_xor_b32 s3, exec_lo, s3
; %bb.69:
	v_bfe_u32 v78, v79, 16, 1
	s_delay_alu instid0(VALU_DEP_1)
	v_add3_u32 v78, v79, v78, 0x7fff
                                        ; implicit-def: $vgpr79
; %bb.70:
	s_and_not1_saveexec_b32 s3, s3
; %bb.71:
	v_and_b32_e32 v78, 0xffff, v79
	v_or_b32_e32 v83, 0x10000, v79
	s_delay_alu instid0(VALU_DEP_2) | instskip(NEXT) | instid1(VALU_DEP_2)
	v_cmp_eq_u32_e32 vcc_lo, 0, v78
	v_cndmask_b32_e32 v78, v83, v79, vcc_lo
; %bb.72:
	s_or_b32 exec_lo, exec_lo, s3
	v_and_b32_e32 v79, 0x7f800000, v70
	s_delay_alu instid0(VALU_DEP_1) | instskip(SKIP_1) | instid1(SALU_CYCLE_1)
	v_cmp_ne_u32_e32 vcc_lo, 0x7f800000, v79
                                        ; implicit-def: $vgpr79
	s_and_saveexec_b32 s3, vcc_lo
	s_xor_b32 s3, exec_lo, s3
; %bb.73:
	v_bfe_u32 v79, v70, 16, 1
	s_delay_alu instid0(VALU_DEP_1)
	v_add3_u32 v79, v70, v79, 0x7fff
                                        ; implicit-def: $vgpr70
; %bb.74:
	s_and_not1_saveexec_b32 s3, s3
; %bb.75:
	v_and_b32_e32 v79, 0xffff, v70
	v_or_b32_e32 v83, 0x10000, v70
	s_delay_alu instid0(VALU_DEP_2) | instskip(NEXT) | instid1(VALU_DEP_2)
	v_cmp_eq_u32_e32 vcc_lo, 0, v79
	v_cndmask_b32_e32 v79, v83, v70, vcc_lo
; %bb.76:
	s_or_b32 exec_lo, exec_lo, s3
	s_delay_alu instid0(VALU_DEP_1)
	v_perm_b32 v86, v79, v78, 0x7060302
	v_perm_b32 v85, v77, v82, 0x7060302
	v_perm_b32 v84, v81, v72, 0x7060302
	v_perm_b32 v83, v71, v69, 0x7060302
	v_lshl_or_b32 v82, v66, 11, v80
	ds_store_b128 v76, v[83:86] offset:1024
	s_waitcnt lgkmcnt(0)
	s_barrier
	buffer_gl0_inv
	ds_load_b128 v[69:72], v82
	ds_load_b128 v[83:86], v82 offset:16
	s_waitcnt lgkmcnt(1)
	v_lshrrev_b32_e32 v66, 16, v69
	s_waitcnt lgkmcnt(0)
	v_lshrrev_b32_e32 v91, 16, v83
	v_lshlrev_b32_e32 v78, 2, v74
	v_lshrrev_b32_e32 v95, 16, v70
	v_lshrrev_b32_e32 v98, 16, v84
	;; [unrolled: 1-line block ×4, first 2 shown]
	v_cmp_eq_u32_e32 vcc_lo, 1, v78
	v_lshrrev_b32_e32 v97, 16, v72
	v_lshrrev_b32_e32 v100, 16, v86
	v_cndmask_b32_e32 v87, v83, v91, vcc_lo
	v_or_b32_e32 v79, 1, v78
	v_cndmask_b32_e32 v81, v69, v66, vcc_lo
	v_cmp_eq_u32_e64 s4, 2, v78
	v_cmp_eq_u32_e64 s7, 3, v78
	;; [unrolled: 1-line block ×5, first 2 shown]
	v_cndmask_b32_e64 v81, v81, v70, s4
	v_cndmask_b32_e64 v87, v87, v84, s4
	v_cmp_eq_u32_e64 s8, 3, v79
	v_cndmask_b32_e64 v88, v69, v66, s3
	v_or_b32_e32 v77, 2, v78
	v_cndmask_b32_e64 v81, v81, v95, s7
	v_cndmask_b32_e64 v87, v87, v98, s7
	;; [unrolled: 1-line block ×4, first 2 shown]
	v_cmp_eq_u32_e64 s10, 5, v78
	v_cndmask_b32_e64 v81, v81, v71, s9
	v_cndmask_b32_e64 v87, v87, v85, s9
	v_cmp_eq_u32_e64 s11, 4, v79
	v_cndmask_b32_e64 v88, v88, v95, s8
	v_cmp_eq_u32_e64 s5, 1, v77
	v_cndmask_b32_e64 v89, v89, v84, s6
	v_cndmask_b32_e64 v81, v81, v96, s10
	v_cmp_eq_u32_e64 s12, 6, v78
	v_cndmask_b32_e64 v88, v88, v71, s11
	;; [unrolled: 3-line block ×3, first 2 shown]
	v_cndmask_b32_e64 v89, v89, v98, s8
	v_cndmask_b32_e64 v81, v81, v72, s12
	v_cmp_eq_u32_e64 s15, 7, v78
	v_cndmask_b32_e64 v88, v88, v96, s13
	v_cndmask_b32_e64 v87, v87, v86, s12
	v_cmp_eq_u32_e64 s16, 6, v79
	v_cmp_eq_u32_e64 s17, 2, v77
	v_cndmask_b32_e64 v89, v89, v85, s11
	v_cndmask_b32_e64 v101, v81, v97, s15
	;; [unrolled: 1-line block ×6, first 2 shown]
	v_cmp_eq_u32_e64 s18, 7, v79
	v_cmp_eq_u32_e64 s19, 3, v77
	;; [unrolled: 1-line block ×4, first 2 shown]
	v_cndmask_b32_e64 v87, v87, v84, s17
	v_cndmask_b32_e64 v103, v88, v97, s18
	;; [unrolled: 1-line block ×4, first 2 shown]
	v_or_b32_e32 v81, 3, v78
	v_cndmask_b32_e64 v93, v87, v98, s19
	v_cmp_eq_u32_e64 s24, 6, v77
	v_cndmask_b32_e64 v104, v88, v86, s16
	v_cndmask_b32_e64 v92, v89, v71, s20
	v_cmp_eq_u32_e64 s21, 1, v81
	ds_load_b128 v[87:90], v82 offset:1024
	v_cmp_eq_u32_e64 s23, 2, v81
	v_cmp_eq_u32_e64 s25, 3, v81
	v_cndmask_b32_e64 v105, v92, v96, s22
	v_cndmask_b32_e64 v66, v69, v66, s21
	;; [unrolled: 1-line block ×4, first 2 shown]
	ds_load_b128 v[91:94], v82 offset:1040
	v_cmp_eq_u32_e64 s26, 4, v81
	v_cndmask_b32_e64 v66, v66, v70, s23
	v_cmp_eq_u32_e64 s27, 7, v77
	v_cndmask_b32_e64 v70, v83, v84, s23
	v_cndmask_b32_e64 v84, v105, v72, s24
	v_cmp_eq_u32_e64 s28, 5, v81
	v_cndmask_b32_e64 v66, v66, v95, s25
	v_cmp_eq_u32_e64 s29, 6, v81
	v_cndmask_b32_e64 v70, v70, v98, s25
	v_cndmask_b32_e64 v69, v69, v99, s22
	;; [unrolled: 1-line block ×4, first 2 shown]
	s_waitcnt lgkmcnt(1)
	v_lshrrev_b32_e32 v95, 16, v87
	v_cndmask_b32_e64 v70, v70, v85, s26
	v_cndmask_b32_e64 v71, v84, v97, s27
	;; [unrolled: 1-line block ×4, first 2 shown]
	v_cndmask_b32_e32 v84, v87, v95, vcc_lo
	v_cndmask_b32_e64 v70, v70, v99, s28
	s_waitcnt lgkmcnt(0)
	v_lshrrev_b32_e32 v85, 16, v91
	v_lshrrev_b32_e32 v96, 16, v88
	v_cndmask_b32_e64 v98, v87, v95, s3
	v_cndmask_b32_e64 v84, v84, v88, s4
	;; [unrolled: 1-line block ×3, first 2 shown]
	v_cndmask_b32_e32 v99, v91, v85, vcc_lo
	v_cmp_eq_u32_e32 vcc_lo, 7, v81
	v_cndmask_b32_e64 v66, v66, v72, s29
	v_cndmask_b32_e64 v72, v84, v96, s7
	;; [unrolled: 1-line block ×3, first 2 shown]
	v_lshrrev_b32_e32 v98, 16, v92
	v_cndmask_b32_e32 v70, v70, v100, vcc_lo
	v_cndmask_b32_e64 v86, v99, v92, s4
	v_cndmask_b32_e64 v69, v69, v100, s27
	v_lshrrev_b32_e32 v100, 16, v93
	v_cndmask_b32_e64 v72, v72, v89, s9
	v_lshrrev_b32_e32 v99, 16, v89
	v_cndmask_b32_e64 v86, v86, v98, s7
	v_perm_b32 v71, v69, v71, 0x5040100
	v_cndmask_b32_e64 v84, v84, v96, s8
	s_delay_alu instid0(VALU_DEP_3) | instskip(NEXT) | instid1(VALU_DEP_2)
	v_cndmask_b32_e64 v86, v86, v93, s9
	v_cndmask_b32_e64 v84, v84, v89, s11
	s_delay_alu instid0(VALU_DEP_2) | instskip(NEXT) | instid1(VALU_DEP_1)
	v_cndmask_b32_e64 v86, v86, v100, s10
	v_cndmask_b32_e64 v69, v86, v94, s12
	;; [unrolled: 1-line block ×5, first 2 shown]
	s_delay_alu instid0(VALU_DEP_3) | instskip(NEXT) | instid1(VALU_DEP_3)
	v_cndmask_b32_e64 v86, v86, v88, s17
	v_cndmask_b32_e64 v87, v87, v88, s23
	s_delay_alu instid0(VALU_DEP_3) | instskip(NEXT) | instid1(VALU_DEP_3)
	v_cndmask_b32_e64 v88, v95, v92, s23
	v_cndmask_b32_e64 v86, v86, v96, s19
	;; [unrolled: 3-line block ×7, first 2 shown]
	s_delay_alu instid0(VALU_DEP_3) | instskip(SKIP_2) | instid1(VALU_DEP_2)
	v_cndmask_b32_e64 v88, v88, v94, s29
	v_cndmask_b32_e32 v66, v66, v97, vcc_lo
	v_cndmask_b32_e64 v97, v72, v99, s10
	v_perm_b32 v72, v70, v66, 0x5040100
	v_perm_b32 v70, v83, v103, 0x5040100
	v_cndmask_b32_e64 v103, v91, v85, s5
	v_cndmask_b32_e64 v85, v91, v85, s3
	;; [unrolled: 1-line block ×4, first 2 shown]
	v_lshrrev_b32_e32 v97, 16, v90
	v_cndmask_b32_e64 v91, v103, v92, s17
	v_cndmask_b32_e64 v85, v85, v92, s6
	;; [unrolled: 1-line block ×3, first 2 shown]
	s_mov_b32 s3, exec_lo
	v_cndmask_b32_e64 v83, v84, v97, s15
	v_cndmask_b32_e64 v91, v91, v98, s19
	;; [unrolled: 1-line block ×3, first 2 shown]
	v_lshrrev_b32_e32 v84, 16, v94
	v_cndmask_b32_e64 v66, v66, v97, s18
	v_cndmask_b32_e64 v90, v86, v97, s27
	;; [unrolled: 1-line block ×4, first 2 shown]
	v_dual_cndmask_b32 v86, v87, v97 :: v_dual_cndmask_b32 v87, v88, v84
	v_cndmask_b32_e64 v91, v69, v84, s15
	s_delay_alu instid0(VALU_DEP_4) | instskip(NEXT) | instid1(VALU_DEP_4)
	v_cndmask_b32_e64 v89, v89, v100, s22
	v_cndmask_b32_e64 v85, v85, v100, s13
	v_perm_b32 v69, v102, v101, 0x5040100
	v_perm_b32 v86, v87, v86, 0x5040100
	;; [unrolled: 1-line block ×3, first 2 shown]
	v_cndmask_b32_e64 v89, v89, v94, s24
	v_cndmask_b32_e64 v85, v85, v94, s16
	s_mul_i32 s8, s35, 9
	s_delay_alu instid0(VALU_DEP_2) | instskip(NEXT) | instid1(VALU_DEP_2)
	v_cndmask_b32_e64 v88, v89, v84, s27
	v_cndmask_b32_e64 v89, v85, v84, s18
	s_delay_alu instid0(VALU_DEP_2) | instskip(NEXT) | instid1(VALU_DEP_2)
	v_perm_b32 v85, v88, v90, 0x5040100
	v_perm_b32 v84, v89, v66, 0x5040100
	ds_store_b128 v76, v[69:72]
	ds_store_b128 v76, v[83:86] offset:1024
	v_cmpx_gt_u32_e32 9, v0
	s_cbranch_execz .LBB1594_78
; %bb.77:
	s_mul_i32 s4, s8, s30
	s_delay_alu instid0(SALU_CYCLE_1) | instskip(SKIP_1) | instid1(VALU_DEP_1)
	v_add3_u32 v69, s4, s31, v65
	s_load_b128 s[4:7], s[0:1], 0x58
	v_mad_u64_u32 v[65:66], null, v69, s34, s[14:15]
	s_delay_alu instid0(VALU_DEP_1) | instskip(NEXT) | instid1(VALU_DEP_1)
	v_ashrrev_i32_e32 v66, 31, v65
	v_lshlrev_b64 v[65:66], 2, v[65:66]
	s_waitcnt lgkmcnt(0)
	s_delay_alu instid0(VALU_DEP_1) | instskip(NEXT) | instid1(VALU_DEP_2)
	v_add_co_u32 v69, vcc_lo, s6, v65
	v_add_co_ci_u32_e32 v70, vcc_lo, s7, v66, vcc_lo
	v_add_co_u32 v65, vcc_lo, s4, v65
	v_add_co_ci_u32_e32 v66, vcc_lo, s5, v66, vcc_lo
	global_store_b32 v[69:70], v67, off
	global_store_b32 v[65:66], v68, off
.LBB1594_78:
	s_or_b32 exec_lo, exec_lo, s3
	s_waitcnt lgkmcnt(0)
	s_waitcnt_vscnt null, 0x0
	s_barrier
	buffer_gl0_inv
	ds_load_b128 v[83:86], v80
	ds_load_b128 v[87:90], v80 offset:16
	ds_load_b128 v[95:98], v80 offset:2064
	;; [unrolled: 1-line block ×3, first 2 shown]
	v_mov_b32_e32 v65, 0
	ds_load_b128 v[103:106], v80 offset:4112
	ds_load_b128 v[99:102], v80 offset:4096
	;; [unrolled: 1-line block ×4, first 2 shown]
	v_mov_b32_e32 v66, v65
	v_mov_b32_e32 v67, v65
	;; [unrolled: 1-line block ×7, first 2 shown]
	s_waitcnt lgkmcnt(6)
	s_delay_alu instid0(VALU_DEP_1)
	v_wmma_f32_16x16x16_bf16 v[65:72], v[49:56], v[83:90], v[65:72]
	ds_load_b128 v[53:56], v80 offset:8208
	ds_load_b128 v[49:52], v80 offset:8192
	s_waitcnt lgkmcnt(6)
	v_wmma_f32_16x16x16_bf16 v[65:72], v[41:48], v[91:98], v[65:72]
	ds_load_b128 v[45:48], v80 offset:10256
	ds_load_b128 v[41:44], v80 offset:10240
	s_waitcnt lgkmcnt(6)
	v_wmma_f32_16x16x16_bf16 v[65:72], v[33:40], v[99:106], v[65:72]
	ds_load_b128 v[37:40], v80 offset:12304
	ds_load_b128 v[33:36], v80 offset:12288
	s_waitcnt lgkmcnt(6)
	v_wmma_f32_16x16x16_bf16 v[65:72], v[25:32], v[107:114], v[65:72]
	ds_load_b128 v[29:32], v80 offset:14352
	ds_load_b128 v[25:28], v80 offset:14336
	s_waitcnt lgkmcnt(6)
	v_wmma_f32_16x16x16_bf16 v[65:72], v[1:8], v[49:56], v[65:72]
	s_waitcnt lgkmcnt(4)
	s_delay_alu instid0(VALU_DEP_1) | instskip(SKIP_1) | instid1(VALU_DEP_1)
	v_wmma_f32_16x16x16_bf16 v[65:72], v[9:16], v[41:48], v[65:72]
	s_waitcnt lgkmcnt(2)
	v_wmma_f32_16x16x16_bf16 v[65:72], v[17:24], v[33:40], v[65:72]
	s_waitcnt lgkmcnt(0)
	s_delay_alu instid0(VALU_DEP_1) | instskip(NEXT) | instid1(VALU_DEP_1)
	v_wmma_f32_16x16x16_bf16 v[65:72], v[57:64], v[25:32], v[65:72]
	v_and_b32_e32 v1, 0x7f800000, v65
	s_delay_alu instid0(VALU_DEP_1) | instskip(SKIP_1) | instid1(SALU_CYCLE_1)
	v_cmp_ne_u32_e32 vcc_lo, 0x7f800000, v1
                                        ; implicit-def: $vgpr1
	s_and_saveexec_b32 s3, vcc_lo
	s_xor_b32 s3, exec_lo, s3
; %bb.79:
	v_bfe_u32 v1, v65, 16, 1
	s_delay_alu instid0(VALU_DEP_1)
	v_add3_u32 v1, v65, v1, 0x7fff
; %bb.80:
	s_and_not1_saveexec_b32 s3, s3
; %bb.81:
	v_and_b32_e32 v1, 0xffff, v65
	v_or_b32_e32 v2, 0x10000, v65
	s_delay_alu instid0(VALU_DEP_2) | instskip(NEXT) | instid1(VALU_DEP_2)
	v_cmp_eq_u32_e32 vcc_lo, 0, v1
	v_cndmask_b32_e32 v1, v2, v65, vcc_lo
; %bb.82:
	s_or_b32 exec_lo, exec_lo, s3
	v_and_b32_e32 v2, 0x7f800000, v66
	s_delay_alu instid0(VALU_DEP_1) | instskip(SKIP_1) | instid1(SALU_CYCLE_1)
	v_cmp_ne_u32_e32 vcc_lo, 0x7f800000, v2
                                        ; implicit-def: $vgpr2
	s_and_saveexec_b32 s3, vcc_lo
	s_xor_b32 s3, exec_lo, s3
; %bb.83:
	v_bfe_u32 v2, v66, 16, 1
	s_delay_alu instid0(VALU_DEP_1)
	v_add3_u32 v2, v66, v2, 0x7fff
; %bb.84:
	s_and_not1_saveexec_b32 s3, s3
; %bb.85:
	v_and_b32_e32 v2, 0xffff, v66
	v_or_b32_e32 v3, 0x10000, v66
	s_delay_alu instid0(VALU_DEP_2) | instskip(NEXT) | instid1(VALU_DEP_2)
	v_cmp_eq_u32_e32 vcc_lo, 0, v2
	v_cndmask_b32_e32 v2, v3, v66, vcc_lo
; %bb.86:
	s_or_b32 exec_lo, exec_lo, s3
	v_and_b32_e32 v3, 0x7f800000, v67
	s_delay_alu instid0(VALU_DEP_1) | instskip(SKIP_1) | instid1(SALU_CYCLE_1)
	v_cmp_ne_u32_e32 vcc_lo, 0x7f800000, v3
                                        ; implicit-def: $vgpr3
	s_and_saveexec_b32 s3, vcc_lo
	s_xor_b32 s3, exec_lo, s3
; %bb.87:
	v_bfe_u32 v3, v67, 16, 1
	s_delay_alu instid0(VALU_DEP_1)
	v_add3_u32 v3, v67, v3, 0x7fff
; %bb.88:
	s_and_not1_saveexec_b32 s3, s3
; %bb.89:
	v_and_b32_e32 v3, 0xffff, v67
	v_or_b32_e32 v4, 0x10000, v67
	s_delay_alu instid0(VALU_DEP_2) | instskip(NEXT) | instid1(VALU_DEP_2)
	v_cmp_eq_u32_e32 vcc_lo, 0, v3
	v_cndmask_b32_e32 v3, v4, v67, vcc_lo
; %bb.90:
	s_or_b32 exec_lo, exec_lo, s3
	v_and_b32_e32 v4, 0x7f800000, v68
	s_delay_alu instid0(VALU_DEP_1) | instskip(SKIP_1) | instid1(SALU_CYCLE_1)
	v_cmp_ne_u32_e32 vcc_lo, 0x7f800000, v4
                                        ; implicit-def: $vgpr4
	s_and_saveexec_b32 s3, vcc_lo
	s_xor_b32 s3, exec_lo, s3
; %bb.91:
	v_bfe_u32 v4, v68, 16, 1
	s_delay_alu instid0(VALU_DEP_1)
	v_add3_u32 v4, v68, v4, 0x7fff
; %bb.92:
	s_and_not1_saveexec_b32 s3, s3
; %bb.93:
	v_and_b32_e32 v4, 0xffff, v68
	v_or_b32_e32 v5, 0x10000, v68
	s_delay_alu instid0(VALU_DEP_2) | instskip(NEXT) | instid1(VALU_DEP_2)
	v_cmp_eq_u32_e32 vcc_lo, 0, v4
	v_cndmask_b32_e32 v4, v5, v68, vcc_lo
; %bb.94:
	s_or_b32 exec_lo, exec_lo, s3
	v_and_b32_e32 v5, 0x7f800000, v69
	s_delay_alu instid0(VALU_DEP_1) | instskip(SKIP_1) | instid1(SALU_CYCLE_1)
	v_cmp_ne_u32_e32 vcc_lo, 0x7f800000, v5
                                        ; implicit-def: $vgpr5
	s_and_saveexec_b32 s3, vcc_lo
	s_xor_b32 s3, exec_lo, s3
; %bb.95:
	v_bfe_u32 v5, v69, 16, 1
	s_delay_alu instid0(VALU_DEP_1)
	v_add3_u32 v5, v69, v5, 0x7fff
; %bb.96:
	s_and_not1_saveexec_b32 s3, s3
; %bb.97:
	v_and_b32_e32 v5, 0xffff, v69
	v_or_b32_e32 v6, 0x10000, v69
	s_delay_alu instid0(VALU_DEP_2) | instskip(NEXT) | instid1(VALU_DEP_2)
	v_cmp_eq_u32_e32 vcc_lo, 0, v5
	v_cndmask_b32_e32 v5, v6, v69, vcc_lo
; %bb.98:
	s_or_b32 exec_lo, exec_lo, s3
	v_and_b32_e32 v6, 0x7f800000, v70
	s_delay_alu instid0(VALU_DEP_1) | instskip(SKIP_1) | instid1(SALU_CYCLE_1)
	v_cmp_ne_u32_e32 vcc_lo, 0x7f800000, v6
                                        ; implicit-def: $vgpr6
	s_and_saveexec_b32 s3, vcc_lo
	s_xor_b32 s3, exec_lo, s3
; %bb.99:
	v_bfe_u32 v6, v70, 16, 1
	s_delay_alu instid0(VALU_DEP_1)
	v_add3_u32 v6, v70, v6, 0x7fff
; %bb.100:
	s_and_not1_saveexec_b32 s3, s3
; %bb.101:
	v_and_b32_e32 v6, 0xffff, v70
	v_or_b32_e32 v7, 0x10000, v70
	s_delay_alu instid0(VALU_DEP_2) | instskip(NEXT) | instid1(VALU_DEP_2)
	v_cmp_eq_u32_e32 vcc_lo, 0, v6
	v_cndmask_b32_e32 v6, v7, v70, vcc_lo
; %bb.102:
	s_or_b32 exec_lo, exec_lo, s3
	v_and_b32_e32 v7, 0x7f800000, v71
	s_delay_alu instid0(VALU_DEP_1) | instskip(SKIP_1) | instid1(SALU_CYCLE_1)
	v_cmp_ne_u32_e32 vcc_lo, 0x7f800000, v7
                                        ; implicit-def: $vgpr7
	s_and_saveexec_b32 s3, vcc_lo
	s_xor_b32 s3, exec_lo, s3
; %bb.103:
	v_bfe_u32 v7, v71, 16, 1
	s_delay_alu instid0(VALU_DEP_1)
	v_add3_u32 v7, v71, v7, 0x7fff
; %bb.104:
	s_and_not1_saveexec_b32 s3, s3
; %bb.105:
	v_and_b32_e32 v7, 0xffff, v71
	v_or_b32_e32 v8, 0x10000, v71
	s_delay_alu instid0(VALU_DEP_2) | instskip(NEXT) | instid1(VALU_DEP_2)
	v_cmp_eq_u32_e32 vcc_lo, 0, v7
	v_cndmask_b32_e32 v7, v8, v71, vcc_lo
; %bb.106:
	s_or_b32 exec_lo, exec_lo, s3
	v_and_b32_e32 v8, 0x7f800000, v72
	s_delay_alu instid0(VALU_DEP_1) | instskip(SKIP_1) | instid1(SALU_CYCLE_1)
	v_cmp_ne_u32_e32 vcc_lo, 0x7f800000, v8
                                        ; implicit-def: $vgpr8
	s_and_saveexec_b32 s3, vcc_lo
	s_xor_b32 s3, exec_lo, s3
; %bb.107:
	v_bfe_u32 v8, v72, 16, 1
	s_delay_alu instid0(VALU_DEP_1)
	v_add3_u32 v8, v72, v8, 0x7fff
                                        ; implicit-def: $vgpr65_vgpr66_vgpr67_vgpr68_vgpr69_vgpr70_vgpr71_vgpr72
; %bb.108:
	s_and_not1_saveexec_b32 s3, s3
; %bb.109:
	v_and_b32_e32 v8, 0xffff, v72
	v_or_b32_e32 v9, 0x10000, v72
	s_delay_alu instid0(VALU_DEP_2) | instskip(NEXT) | instid1(VALU_DEP_2)
	v_cmp_eq_u32_e32 vcc_lo, 0, v8
	v_cndmask_b32_e32 v8, v9, v72, vcc_lo
; %bb.110:
	s_or_b32 exec_lo, exec_lo, s3
	s_delay_alu instid0(VALU_DEP_1)
	v_perm_b32 v7, v8, v7, 0x7060302
	v_perm_b32 v6, v6, v5, 0x7060302
	;; [unrolled: 1-line block ×4, first 2 shown]
	s_barrier
	buffer_gl0_inv
	v_cmp_eq_u32_e32 vcc_lo, 1, v78
	ds_store_b128 v76, v[4:7]
	s_waitcnt lgkmcnt(0)
	s_barrier
	buffer_gl0_inv
	ds_load_b128 v[1:4], v82
	ds_load_b128 v[5:8], v82 offset:16
	v_cmp_eq_u32_e64 s3, 1, v79
	v_cmp_eq_u32_e64 s4, 2, v78
	;; [unrolled: 1-line block ×5, first 2 shown]
	s_waitcnt lgkmcnt(1)
	v_lshrrev_b32_e32 v9, 16, v1
	s_waitcnt lgkmcnt(0)
	v_lshrrev_b32_e32 v13, 16, v5
	v_lshrrev_b32_e32 v10, 16, v2
	;; [unrolled: 1-line block ×4, first 2 shown]
	v_cndmask_b32_e64 v19, v1, v9, s3
	v_cndmask_b32_e32 v18, v5, v13, vcc_lo
	v_cndmask_b32_e64 v20, v5, v13, s3
	v_cndmask_b32_e32 v17, v1, v9, vcc_lo
	v_cmp_eq_u32_e32 vcc_lo, 2, v79
	v_lshrrev_b32_e32 v15, 16, v7
	v_cmp_eq_u32_e64 s3, 1, v77
	v_lshrrev_b32_e32 v12, 16, v4
	v_lshrrev_b32_e32 v16, 16, v8
	v_cndmask_b32_e32 v20, v20, v6, vcc_lo
	v_cndmask_b32_e64 v17, v17, v2, s4
	v_cndmask_b32_e32 v19, v19, v2, vcc_lo
	v_cndmask_b32_e64 v18, v18, v6, s4
	v_cmp_eq_u32_e32 vcc_lo, 4, v78
	v_cmp_eq_u32_e64 s4, 3, v79
	v_cndmask_b32_e64 v17, v17, v10, s5
	v_cndmask_b32_e64 v21, v1, v9, s3
	;; [unrolled: 1-line block ×5, first 2 shown]
	v_cndmask_b32_e32 v17, v17, v3, vcc_lo
	v_cndmask_b32_e64 v20, v20, v14, s4
	v_cndmask_b32_e32 v18, v18, v7, vcc_lo
	v_cmp_eq_u32_e32 vcc_lo, 4, v79
	v_cmp_eq_u32_e64 s4, 5, v79
	v_cmp_eq_u32_e64 s3, 2, v81
	v_cndmask_b32_e64 v21, v21, v2, s7
	v_cmp_eq_u32_e64 s5, 5, v78
	v_cndmask_b32_e32 v19, v19, v3, vcc_lo
	v_cndmask_b32_e32 v20, v20, v7, vcc_lo
	v_cmp_eq_u32_e32 vcc_lo, 6, v79
	s_delay_alu instid0(VALU_DEP_4) | instskip(NEXT) | instid1(VALU_DEP_4)
	v_cndmask_b32_e64 v17, v17, v11, s5
	v_cndmask_b32_e64 v19, v19, v11, s4
	s_delay_alu instid0(VALU_DEP_4) | instskip(SKIP_1) | instid1(VALU_DEP_3)
	v_cndmask_b32_e64 v20, v20, v15, s4
	v_cmp_eq_u32_e64 s4, 1, v81
	v_cndmask_b32_e32 v19, v19, v4, vcc_lo
	v_cndmask_b32_e64 v18, v18, v15, s5
	s_delay_alu instid0(VALU_DEP_3)
	v_cndmask_b32_e64 v1, v1, v9, s4
	v_cndmask_b32_e64 v5, v5, v13, s4
	v_cmp_eq_u32_e64 s4, 3, v77
	v_cndmask_b32_e64 v13, v22, v6, s7
	v_cmp_eq_u32_e64 s7, 3, v81
	v_cndmask_b32_e64 v1, v1, v2, s3
	v_cndmask_b32_e64 v2, v5, v6, s3
	;; [unrolled: 1-line block ×3, first 2 shown]
	v_cmp_eq_u32_e64 s3, 4, v77
	v_cndmask_b32_e64 v6, v13, v14, s4
	v_cndmask_b32_e64 v1, v1, v10, s7
	v_cmp_eq_u32_e64 s4, 4, v81
	v_cndmask_b32_e64 v2, v2, v14, s7
	v_cndmask_b32_e64 v5, v9, v3, s3
	;; [unrolled: 3-line block ×3, first 2 shown]
	v_cndmask_b32_e64 v2, v2, v7, s4
	v_cmp_eq_u32_e64 s3, 5, v81
	v_cmp_eq_u32_e64 s5, 6, v78
	v_cndmask_b32_e64 v5, v5, v11, s7
	v_cmp_eq_u32_e64 s4, 6, v77
	v_cndmask_b32_e64 v3, v6, v15, s7
	v_cndmask_b32_e64 v1, v1, v11, s3
	v_cmp_eq_u32_e64 s7, 6, v81
	v_cndmask_b32_e64 v2, v2, v15, s3
	v_cndmask_b32_e64 v17, v17, v4, s5
	v_cndmask_b32_e64 v18, v18, v8, s5
	v_cmp_eq_u32_e64 s5, 7, v78
	v_cndmask_b32_e64 v5, v5, v4, s4
	v_cndmask_b32_e64 v3, v3, v8, s4
	v_cndmask_b32_e64 v1, v1, v4, s7
	v_cmp_eq_u32_e64 s3, 7, v81
	v_cndmask_b32_e64 v2, v2, v8, s7
	v_cmp_eq_u32_e64 s4, 7, v77
	v_cndmask_b32_e32 v4, v20, v8, vcc_lo
	v_cndmask_b32_e64 v17, v17, v12, s5
	v_cndmask_b32_e64 v19, v19, v12, s6
	;; [unrolled: 1-line block ×8, first 2 shown]
	s_mov_b32 s3, exec_lo
	v_perm_b32 v4, v2, v1, 0x5040100
	v_perm_b32 v3, v3, v5, 0x5040100
	;; [unrolled: 1-line block ×4, first 2 shown]
	ds_store_b128 v76, v[1:4]
	s_waitcnt lgkmcnt(0)
	s_barrier
	buffer_gl0_inv
	v_cmpx_gt_u32_e32 32, v0
	s_cbranch_execz .LBB1594_2
; %bb.111:
	s_load_b64 s[4:5], s[0:1], 0x68
	v_lshlrev_b32_e32 v0, 10, v0
	v_lshlrev_b32_e32 v1, 4, v75
	s_lshl_b32 s0, s34, 7
	v_add_nc_u32_e32 v2, s31, v74
	s_mul_i32 s1, s0, s30
	s_delay_alu instid0(SALU_CYCLE_1) | instskip(SKIP_1) | instid1(VALU_DEP_2)
	s_mul_i32 s6, s1, s8
	v_and_or_b32 v0, 0x3800, v0, v1
	v_mul_lo_u32 v1, v2, s0
	s_ashr_i32 s7, s6, 31
	v_add_nc_u32_e32 v3, 2, v2
	s_lshl_b64 s[6:7], s[6:7], 1
	v_add_nc_u32_e32 v4, 4, v2
	v_add_nc_u32_e32 v5, 6, v2
	v_lshl_or_b32 v15, v74, 6, v0
	v_mul_lo_u32 v3, v3, s0
	v_ashrrev_i32_e32 v2, 31, v1
	v_mul_lo_u32 v19, v4, s0
	v_mul_lo_u32 v21, v5, s0
	s_waitcnt lgkmcnt(0)
	s_add_u32 s1, s4, s6
	s_addc_u32 s3, s5, s7
	s_lshl_b32 s4, s14, 7
	v_lshlrev_b64 v[5:6], 1, v[1:2]
	s_ashr_i32 s5, s4, 31
	v_ashrrev_i32_e32 v4, 31, v3
	s_lshl_b64 s[4:5], s[4:5], 1
	v_ashrrev_i32_e32 v20, 31, v19
	s_add_u32 s1, s1, s4
	s_addc_u32 s3, s3, s5
	v_add_co_u32 v1, s1, s1, v73
	s_delay_alu instid0(VALU_DEP_1) | instskip(SKIP_1) | instid1(VALU_DEP_3)
	v_add_co_ci_u32_e64 v2, null, s3, 0, s1
	v_lshlrev_b64 v[25:26], 1, v[3:4]
	v_add_co_u32 v23, vcc_lo, v1, v5
	s_delay_alu instid0(VALU_DEP_3)
	v_add_co_ci_u32_e32 v24, vcc_lo, v2, v6, vcc_lo
	ds_load_b128 v[3:6], v15
	ds_load_b128 v[7:10], v15 offset:128
	ds_load_b128 v[11:14], v15 offset:256
	ds_load_b128 v[15:18], v15 offset:384
	v_ashrrev_i32_e32 v22, 31, v21
	v_lshlrev_b64 v[19:20], 1, v[19:20]
	v_add_co_u32 v25, vcc_lo, v1, v25
	v_add_co_ci_u32_e32 v26, vcc_lo, v2, v26, vcc_lo
	s_delay_alu instid0(VALU_DEP_4) | instskip(NEXT) | instid1(VALU_DEP_4)
	v_lshlrev_b64 v[21:22], 1, v[21:22]
	v_add_co_u32 v19, vcc_lo, v1, v19
	v_add_co_ci_u32_e32 v20, vcc_lo, v2, v20, vcc_lo
	s_delay_alu instid0(VALU_DEP_3) | instskip(NEXT) | instid1(VALU_DEP_4)
	v_add_co_u32 v21, vcc_lo, v1, v21
	v_add_co_ci_u32_e32 v22, vcc_lo, v2, v22, vcc_lo
	s_waitcnt lgkmcnt(3)
	global_store_b128 v[23:24], v[3:6], off
	s_waitcnt lgkmcnt(2)
	global_store_b128 v[25:26], v[7:10], off
	;; [unrolled: 2-line block ×4, first 2 shown]
	s_and_b32 exec_lo, exec_lo, s2
	s_cbranch_execz .LBB1594_2
; %bb.112:
	ds_load_b128 v[3:6], v0 offset:512
	s_add_i32 s1, s31, 8
	s_delay_alu instid0(SALU_CYCLE_1) | instskip(NEXT) | instid1(SALU_CYCLE_1)
	s_mul_i32 s0, s1, s0
	s_ashr_i32 s1, s0, 31
	s_delay_alu instid0(SALU_CYCLE_1) | instskip(NEXT) | instid1(SALU_CYCLE_1)
	s_lshl_b64 s[0:1], s[0:1], 1
	v_add_co_u32 v0, vcc_lo, v1, s0
	v_add_co_ci_u32_e32 v1, vcc_lo, s1, v2, vcc_lo
	s_waitcnt lgkmcnt(0)
	global_store_b128 v[0:1], v[3:6], off
	s_nop 0
	s_sendmsg sendmsg(MSG_DEALLOC_VGPRS)
	s_endpgm
	.section	.rodata,"a",@progbits
	.p2align	6, 0x0
	.amdhsa_kernel _Z39paged_attention_ll4mi_QKV_mfma16_kernelI14__hip_bfloat16hLN4vllm18Fp8KVCacheDataTypeE1EhLi32ELi128ELi256ELb1ELi9EL8MFMAType1EEvPKT_PKT0_S9_ifPKiSB_SB_iPKfiiiPfSE_PS4_PT2_iSD_SD_
		.amdhsa_group_segment_fixed_size 17472
		.amdhsa_private_segment_fixed_size 0
		.amdhsa_kernarg_size 400
		.amdhsa_user_sgpr_count 13
		.amdhsa_user_sgpr_dispatch_ptr 0
		.amdhsa_user_sgpr_queue_ptr 0
		.amdhsa_user_sgpr_kernarg_segment_ptr 1
		.amdhsa_user_sgpr_dispatch_id 0
		.amdhsa_user_sgpr_private_segment_size 0
		.amdhsa_wavefront_size32 1
		.amdhsa_uses_dynamic_stack 0
		.amdhsa_enable_private_segment 0
		.amdhsa_system_sgpr_workgroup_id_x 1
		.amdhsa_system_sgpr_workgroup_id_y 1
		.amdhsa_system_sgpr_workgroup_id_z 1
		.amdhsa_system_sgpr_workgroup_info 0
		.amdhsa_system_vgpr_workitem_id 0
		.amdhsa_next_free_vgpr 140
		.amdhsa_next_free_sgpr 36
		.amdhsa_reserve_vcc 1
		.amdhsa_float_round_mode_32 0
		.amdhsa_float_round_mode_16_64 0
		.amdhsa_float_denorm_mode_32 3
		.amdhsa_float_denorm_mode_16_64 3
		.amdhsa_dx10_clamp 1
		.amdhsa_ieee_mode 1
		.amdhsa_fp16_overflow 0
		.amdhsa_workgroup_processor_mode 1
		.amdhsa_memory_ordered 1
		.amdhsa_forward_progress 0
		.amdhsa_shared_vgpr_count 0
		.amdhsa_exception_fp_ieee_invalid_op 0
		.amdhsa_exception_fp_denorm_src 0
		.amdhsa_exception_fp_ieee_div_zero 0
		.amdhsa_exception_fp_ieee_overflow 0
		.amdhsa_exception_fp_ieee_underflow 0
		.amdhsa_exception_fp_ieee_inexact 0
		.amdhsa_exception_int_div_zero 0
	.end_amdhsa_kernel
	.section	.text._Z39paged_attention_ll4mi_QKV_mfma16_kernelI14__hip_bfloat16hLN4vllm18Fp8KVCacheDataTypeE1EhLi32ELi128ELi256ELb1ELi9EL8MFMAType1EEvPKT_PKT0_S9_ifPKiSB_SB_iPKfiiiPfSE_PS4_PT2_iSD_SD_,"axG",@progbits,_Z39paged_attention_ll4mi_QKV_mfma16_kernelI14__hip_bfloat16hLN4vllm18Fp8KVCacheDataTypeE1EhLi32ELi128ELi256ELb1ELi9EL8MFMAType1EEvPKT_PKT0_S9_ifPKiSB_SB_iPKfiiiPfSE_PS4_PT2_iSD_SD_,comdat
.Lfunc_end1594:
	.size	_Z39paged_attention_ll4mi_QKV_mfma16_kernelI14__hip_bfloat16hLN4vllm18Fp8KVCacheDataTypeE1EhLi32ELi128ELi256ELb1ELi9EL8MFMAType1EEvPKT_PKT0_S9_ifPKiSB_SB_iPKfiiiPfSE_PS4_PT2_iSD_SD_, .Lfunc_end1594-_Z39paged_attention_ll4mi_QKV_mfma16_kernelI14__hip_bfloat16hLN4vllm18Fp8KVCacheDataTypeE1EhLi32ELi128ELi256ELb1ELi9EL8MFMAType1EEvPKT_PKT0_S9_ifPKiSB_SB_iPKfiiiPfSE_PS4_PT2_iSD_SD_
                                        ; -- End function
	.section	.AMDGPU.csdata,"",@progbits
; Kernel info:
; codeLenInByte = 8984
; NumSgprs: 38
; NumVgprs: 140
; ScratchSize: 0
; MemoryBound: 0
; FloatMode: 240
; IeeeMode: 1
; LDSByteSize: 17472 bytes/workgroup (compile time only)
; SGPRBlocks: 4
; VGPRBlocks: 17
; NumSGPRsForWavesPerEU: 38
; NumVGPRsForWavesPerEU: 140
; Occupancy: 10
; WaveLimiterHint : 1
; COMPUTE_PGM_RSRC2:SCRATCH_EN: 0
; COMPUTE_PGM_RSRC2:USER_SGPR: 13
; COMPUTE_PGM_RSRC2:TRAP_HANDLER: 0
; COMPUTE_PGM_RSRC2:TGID_X_EN: 1
; COMPUTE_PGM_RSRC2:TGID_Y_EN: 1
; COMPUTE_PGM_RSRC2:TGID_Z_EN: 1
; COMPUTE_PGM_RSRC2:TIDIG_COMP_CNT: 0
	.section	.text._Z39paged_attention_ll4mi_QKV_mfma16_kernelI14__hip_bfloat16hLN4vllm18Fp8KVCacheDataTypeE1EhLi32ELi128ELi256ELb1ELi10EL8MFMAType1EEvPKT_PKT0_S9_ifPKiSB_SB_iPKfiiiPfSE_PS4_PT2_iSD_SD_,"axG",@progbits,_Z39paged_attention_ll4mi_QKV_mfma16_kernelI14__hip_bfloat16hLN4vllm18Fp8KVCacheDataTypeE1EhLi32ELi128ELi256ELb1ELi10EL8MFMAType1EEvPKT_PKT0_S9_ifPKiSB_SB_iPKfiiiPfSE_PS4_PT2_iSD_SD_,comdat
	.protected	_Z39paged_attention_ll4mi_QKV_mfma16_kernelI14__hip_bfloat16hLN4vllm18Fp8KVCacheDataTypeE1EhLi32ELi128ELi256ELb1ELi10EL8MFMAType1EEvPKT_PKT0_S9_ifPKiSB_SB_iPKfiiiPfSE_PS4_PT2_iSD_SD_ ; -- Begin function _Z39paged_attention_ll4mi_QKV_mfma16_kernelI14__hip_bfloat16hLN4vllm18Fp8KVCacheDataTypeE1EhLi32ELi128ELi256ELb1ELi10EL8MFMAType1EEvPKT_PKT0_S9_ifPKiSB_SB_iPKfiiiPfSE_PS4_PT2_iSD_SD_
	.globl	_Z39paged_attention_ll4mi_QKV_mfma16_kernelI14__hip_bfloat16hLN4vllm18Fp8KVCacheDataTypeE1EhLi32ELi128ELi256ELb1ELi10EL8MFMAType1EEvPKT_PKT0_S9_ifPKiSB_SB_iPKfiiiPfSE_PS4_PT2_iSD_SD_
	.p2align	8
	.type	_Z39paged_attention_ll4mi_QKV_mfma16_kernelI14__hip_bfloat16hLN4vllm18Fp8KVCacheDataTypeE1EhLi32ELi128ELi256ELb1ELi10EL8MFMAType1EEvPKT_PKT0_S9_ifPKiSB_SB_iPKfiiiPfSE_PS4_PT2_iSD_SD_,@function
_Z39paged_attention_ll4mi_QKV_mfma16_kernelI14__hip_bfloat16hLN4vllm18Fp8KVCacheDataTypeE1EhLi32ELi128ELi256ELb1ELi10EL8MFMAType1EEvPKT_PKT0_S9_ifPKiSB_SB_iPKfiiiPfSE_PS4_PT2_iSD_SD_: ; @_Z39paged_attention_ll4mi_QKV_mfma16_kernelI14__hip_bfloat16hLN4vllm18Fp8KVCacheDataTypeE1EhLi32ELi128ELi256ELb1ELi10EL8MFMAType1EEvPKT_PKT0_S9_ifPKiSB_SB_iPKfiiiPfSE_PS4_PT2_iSD_SD_
; %bb.0:
	s_load_b64 s[4:5], s[0:1], 0x30
	s_mov_b32 s30, s13
	s_waitcnt lgkmcnt(0)
	s_cmp_lg_u64 s[4:5], 0
	s_cselect_b32 s13, -1, 0
	s_ashr_i32 s31, s30, 31
	s_cmp_eq_u64 s[4:5], 0
	s_cbranch_scc1 .LBB1595_3
; %bb.1:
	s_lshl_b64 s[2:3], s[30:31], 2
	s_delay_alu instid0(SALU_CYCLE_1) | instskip(SKIP_4) | instid1(SALU_CYCLE_1)
	s_add_u32 s2, s4, s2
	s_addc_u32 s3, s5, s3
	s_load_b64 s[2:3], s[2:3], 0x0
	s_waitcnt lgkmcnt(0)
	s_sub_i32 s2, s3, s2
	s_cmp_eq_u32 s2, 1
	s_cselect_b32 s2, -1, 0
	s_delay_alu instid0(SALU_CYCLE_1)
	s_and_not1_b32 vcc_lo, exec_lo, s2
	s_cbranch_vccz .LBB1595_4
.LBB1595_2:
	s_endpgm
.LBB1595_3:
.LBB1595_4:
	s_load_b64 s[2:3], s[0:1], 0x28
	s_lshl_b64 s[6:7], s[30:31], 2
	s_waitcnt lgkmcnt(0)
	s_add_u32 s2, s2, s6
	s_addc_u32 s3, s3, s7
	s_lshl_b32 s12, s14, 8
	s_load_b32 s17, s[2:3], 0x0
	s_waitcnt lgkmcnt(0)
	s_cmp_ge_i32 s12, s17
	s_cbranch_scc1 .LBB1595_2
; %bb.5:
	s_clause 0x1
	s_load_b128 s[8:11], s[0:1], 0x8
	s_load_b64 s[2:3], s[0:1], 0x20
	s_and_not1_b32 vcc_lo, exec_lo, s13
	s_cbranch_vccnz .LBB1595_7
; %bb.6:
	s_add_u32 s4, s4, s6
	s_addc_u32 s5, s5, s7
	s_load_b32 s13, s[4:5], 0x0
	s_branch .LBB1595_8
.LBB1595_7:
	s_mov_b32 s13, s30
.LBB1595_8:
	s_load_b128 s[4:7], s[0:1], 0x48
	v_and_b32_e32 v65, 15, v0
	v_lshrrev_b32_e32 v66, 5, v0
	v_and_b32_e32 v67, 31, v0
	v_and_b32_e32 v75, 1, v0
	v_bfe_u32 v74, v0, 4, 1
	v_lshlrev_b32_e32 v1, 3, v65
	s_mul_i32 s29, s15, 10
	s_waitcnt lgkmcnt(0)
	s_mov_b32 s7, exec_lo
	s_delay_alu instid0(VALU_DEP_1)
	v_lshlrev_b32_e32 v73, 1, v1
	v_cmpx_gt_u32_e32 0xa0, v0
	s_cbranch_execz .LBB1595_10
; %bb.9:
	s_load_b64 s[18:19], s[0:1], 0x0
	v_lshl_or_b32 v5, v66, 1, v74
	s_mul_hi_i32 s21, s13, s4
	s_mul_i32 s20, s13, s4
	v_lshlrev_b32_e32 v6, 10, v65
	s_lshl_b64 s[20:21], s[20:21], 1
	v_add_lshl_u32 v1, v5, s29, 7
	v_lshlrev_b32_e32 v5, 6, v5
	v_lshlrev_b32_e32 v7, 10, v75
	v_and_b32_e32 v6, 0x3800, v6
	s_delay_alu instid0(VALU_DEP_4) | instskip(NEXT) | instid1(VALU_DEP_2)
	v_ashrrev_i32_e32 v2, 31, v1
	v_or3_b32 v5, v6, v7, v5
	s_delay_alu instid0(VALU_DEP_2) | instskip(SKIP_3) | instid1(VALU_DEP_1)
	v_lshlrev_b64 v[1:2], 1, v[1:2]
	s_waitcnt lgkmcnt(0)
	s_add_u32 s4, s18, s20
	s_addc_u32 s13, s19, s21
	v_add_co_u32 v1, vcc_lo, s4, v1
	s_delay_alu instid0(VALU_DEP_2) | instskip(NEXT) | instid1(VALU_DEP_2)
	v_add_co_ci_u32_e32 v2, vcc_lo, s13, v2, vcc_lo
	v_add_co_u32 v1, vcc_lo, v1, v73
	s_delay_alu instid0(VALU_DEP_2)
	v_add_co_ci_u32_e32 v2, vcc_lo, 0, v2, vcc_lo
	global_load_b128 v[1:4], v[1:2], off
	s_waitcnt vmcnt(0)
	ds_store_b128 v5, v[1:4]
.LBB1595_10:
	s_or_b32 exec_lo, exec_lo, s7
	v_and_b32_e32 v1, 0xef, v0
	s_add_i32 s4, s17, 31
	s_clause 0x1
	s_load_b32 s7, s[0:1], 0x38
	s_load_b32 s18, s[0:1], 0x1c
	s_ashr_i32 s13, s4, 31
	v_add_nc_u32_e32 v1, s12, v1
	s_lshr_b32 s13, s13, 27
	s_waitcnt lgkmcnt(0)
	s_add_i32 s4, s4, s13
	s_barrier
	v_ashrrev_i32_e32 v2, 31, v1
	v_or_b32_e32 v3, 16, v1
	s_ashr_i32 s4, s4, 5
	v_cmp_gt_i32_e32 vcc_lo, s17, v1
	s_add_i32 s4, s4, -1
	v_lshrrev_b32_e32 v2, 27, v2
	buffer_gl0_inv
	s_mul_i32 s15, s15, s6
	v_add_nc_u32_e32 v4, v1, v2
	s_mul_i32 s20, s30, s7
	s_delay_alu instid0(SALU_CYCLE_1) | instskip(NEXT) | instid1(VALU_DEP_1)
	s_ashr_i32 s21, s20, 31
	v_ashrrev_i32_e32 v4, 5, v4
	v_add_nc_u32_e32 v2, v3, v2
	s_lshl_b64 s[20:21], s[20:21], 2
	s_delay_alu instid0(SALU_CYCLE_1) | instskip(NEXT) | instid1(VALU_DEP_2)
	s_add_u32 s13, s2, s20
	v_cndmask_b32_e32 v1, s4, v4, vcc_lo
	s_delay_alu instid0(VALU_DEP_2)
	v_ashrrev_i32_e32 v2, 5, v2
	v_cmp_gt_i32_e32 vcc_lo, s17, v3
	s_addc_u32 s16, s3, s21
	s_ashr_i32 s19, s15, 31
	s_add_u32 s2, s8, s15
	s_addc_u32 s3, s9, s19
	v_cndmask_b32_e32 v3, s4, v2, vcc_lo
	v_ashrrev_i32_e32 v2, 31, v1
	s_lshl_b32 s6, s14, 3
	s_delay_alu instid0(SALU_CYCLE_1) | instskip(NEXT) | instid1(VALU_DEP_2)
	s_ashr_i32 s7, s6, 31
	v_ashrrev_i32_e32 v4, 31, v3
	s_delay_alu instid0(VALU_DEP_2) | instskip(SKIP_1) | instid1(SALU_CYCLE_1)
	v_lshlrev_b64 v[1:2], 2, v[1:2]
	s_lshl_b64 s[6:7], s[6:7], 2
	s_add_u32 s6, s13, s6
	s_delay_alu instid0(VALU_DEP_2) | instskip(SKIP_1) | instid1(VALU_DEP_2)
	v_lshlrev_b64 v[3:4], 2, v[3:4]
	s_addc_u32 s7, s16, s7
	v_add_co_u32 v1, vcc_lo, s13, v1
	v_add_co_ci_u32_e32 v2, vcc_lo, s16, v2, vcc_lo
	s_delay_alu instid0(VALU_DEP_3) | instskip(NEXT) | instid1(VALU_DEP_4)
	v_add_co_u32 v3, vcc_lo, s13, v3
	v_add_co_ci_u32_e32 v4, vcc_lo, s16, v4, vcc_lo
	s_clause 0x1
	global_load_b32 v5, v[1:2], off
	global_load_b32 v6, v[3:4], off
	s_or_b32 s8, s12, 32
	s_delay_alu instid0(SALU_CYCLE_1) | instskip(SKIP_2) | instid1(SALU_CYCLE_1)
	s_ashr_i32 s9, s8, 5
	s_cmp_lt_i32 s8, s17
	s_cselect_b32 s8, s9, s4
	s_ashr_i32 s9, s8, 31
	s_delay_alu instid0(SALU_CYCLE_1) | instskip(NEXT) | instid1(SALU_CYCLE_1)
	s_lshl_b64 s[8:9], s[8:9], 2
	s_add_u32 s8, s13, s8
	s_addc_u32 s9, s16, s9
	s_or_b32 s20, s12, 64
	s_delay_alu instid0(SALU_CYCLE_1) | instskip(SKIP_2) | instid1(SALU_CYCLE_1)
	s_ashr_i32 s21, s20, 5
	s_cmp_lt_i32 s20, s17
	s_cselect_b32 s20, s21, s4
	s_ashr_i32 s21, s20, 31
	s_delay_alu instid0(SALU_CYCLE_1) | instskip(NEXT) | instid1(SALU_CYCLE_1)
	s_lshl_b64 s[20:21], s[20:21], 2
	s_add_u32 s20, s13, s20
	s_addc_u32 s21, s16, s21
	;; [unrolled: 10-line block ×5, first 2 shown]
	s_clause 0x5
	s_load_b32 s28, s[6:7], 0x0
	s_load_b32 s8, s[8:9], 0x0
	;; [unrolled: 1-line block ×6, first 2 shown]
	s_mov_b32 s20, 0
	s_delay_alu instid0(SALU_CYCLE_1)
	s_mov_b32 s21, s20
	s_mov_b32 s22, s20
	;; [unrolled: 1-line block ×7, first 2 shown]
	s_delay_alu instid0(SALU_CYCLE_1)
	v_dual_mov_b32 v107, s27 :: v_dual_mov_b32 v106, s26
	v_dual_mov_b32 v104, s24 :: v_dual_mov_b32 v103, s23
	;; [unrolled: 1-line block ×3, first 2 shown]
	v_mov_b32_e32 v100, s20
	s_waitcnt vmcnt(1)
	v_mad_i64_i32 v[1:2], null, v5, s5, s[2:3]
	v_lshlrev_b32_e32 v5, 4, v65
	s_waitcnt vmcnt(0)
	v_mad_i64_i32 v[3:4], null, v6, s5, s[2:3]
	s_or_b32 s2, s12, 0xc0
	s_delay_alu instid0(SALU_CYCLE_1) | instskip(NEXT) | instid1(VALU_DEP_3)
	s_ashr_i32 s3, s2, 5
	v_add_co_u32 v33, vcc_lo, v1, v5
	s_delay_alu instid0(VALU_DEP_4) | instskip(NEXT) | instid1(VALU_DEP_3)
	v_add_co_ci_u32_e32 v34, vcc_lo, 0, v2, vcc_lo
	v_add_co_u32 v35, vcc_lo, v3, v5
	s_delay_alu instid0(VALU_DEP_4)
	v_add_co_ci_u32_e32 v36, vcc_lo, 0, v4, vcc_lo
	s_clause 0xf
	global_load_b128 v[1:4], v[33:34], off
	global_load_b128 v[5:8], v[33:34], off offset:512
	global_load_b128 v[9:12], v[35:36], off offset:256
	;; [unrolled: 1-line block ×15, first 2 shown]
	s_cmp_lt_i32 s2, s17
	v_add_nc_u32_e32 v33, -10, v65
	s_cselect_b32 s2, s3, s4
	v_cmp_gt_u32_e32 vcc_lo, 10, v65
	s_ashr_i32 s3, s2, 31
	v_lshlrev_b32_e32 v34, 5, v65
	s_lshl_b64 s[2:3], s[2:3], 2
	s_delay_alu instid0(SALU_CYCLE_1)
	s_add_u32 s2, s13, s2
	s_addc_u32 s3, s16, s3
	s_or_b32 s6, s12, 0xe0
	v_cndmask_b32_e32 v33, v33, v65, vcc_lo
	s_ashr_i32 s7, s6, 5
	s_cmp_lt_i32 s6, s17
	v_mov_b32_e32 v105, s25
	s_cselect_b32 s6, s7, s4
	v_lshlrev_b32_e32 v72, 6, v33
	s_ashr_i32 s7, s6, 31
	v_lshl_or_b32 v41, v66, 9, v34
	s_lshl_b64 s[6:7], s[6:7], 2
	ds_load_b128 v[33:36], v72
	ds_load_b128 v[37:40], v72 offset:1024
	ds_load_b128 v[108:111], v72 offset:2048
	;; [unrolled: 1-line block ×3, first 2 shown]
	s_load_b32 s4, s[2:3], 0x0
	s_add_u32 s2, s13, s6
	s_addc_u32 s3, s16, s7
	ds_load_b128 v[116:119], v72 offset:4096
	ds_load_b128 v[120:123], v72 offset:5120
	s_load_b32 s2, s[2:3], 0x0
	s_add_u32 s6, s10, s15
	s_addc_u32 s7, s11, s19
	v_add_co_u32 v68, s6, s6, v41
	s_delay_alu instid0(VALU_DEP_1) | instskip(SKIP_1) | instid1(VALU_DEP_1)
	v_add_co_ci_u32_e64 v69, null, s7, 0, s6
	s_waitcnt lgkmcnt(0)
	v_mad_i64_i32 v[41:42], null, s28, s5, v[68:69]
	v_mad_i64_i32 v[70:71], null, s9, s5, v[68:69]
	v_mad_i64_i32 v[45:46], null, s8, s5, v[68:69]
	v_mad_i64_i32 v[132:133], null, s31, s5, v[68:69]
	v_mad_i64_i32 v[134:135], null, s33, s5, v[68:69]
	v_mad_i64_i32 v[136:137], null, s34, s5, v[68:69]
	v_mad_i64_i32 v[138:139], null, s4, s5, v[68:69]
	s_clause 0x3
	global_load_b128 v[49:52], v[41:42], off
	global_load_b128 v[53:56], v[41:42], off offset:16
	global_load_b128 v[41:44], v[45:46], off
	global_load_b128 v[45:48], v[45:46], off offset:16
	s_waitcnt vmcnt(18)
	v_wmma_f32_16x16x16_bf16 v[124:131], v[1:8], v[33:40], v[100:107]
	s_waitcnt vmcnt(16)
	v_wmma_f32_16x16x16_bf16 v[100:107], v[9:16], v[33:40], v[100:107]
	s_clause 0x1
	global_load_b128 v[33:36], v[70:71], off
	global_load_b128 v[37:40], v[70:71], off offset:16
	v_mad_i64_i32 v[70:71], null, s2, s5, v[68:69]
	s_waitcnt vmcnt(16)
	v_wmma_f32_16x16x16_bf16 v[124:131], v[17:24], v[108:115], v[124:131]
	s_waitcnt vmcnt(14)
	v_wmma_f32_16x16x16_bf16 v[100:107], v[25:32], v[108:115], v[100:107]
	s_clause 0x7
	global_load_b128 v[25:28], v[132:133], off
	global_load_b128 v[29:32], v[132:133], off offset:16
	global_load_b128 v[1:4], v[134:135], off
	global_load_b128 v[5:8], v[134:135], off offset:16
	;; [unrolled: 2-line block ×4, first 2 shown]
	s_waitcnt vmcnt(20)
	v_wmma_f32_16x16x16_bf16 v[124:131], v[57:64], v[116:123], v[124:131]
	s_clause 0x1
	global_load_b128 v[57:60], v[70:71], off
	global_load_b128 v[61:64], v[70:71], off offset:16
	s_waitcnt vmcnt(20)
	v_wmma_f32_16x16x16_bf16 v[100:107], v[76:83], v[116:123], v[100:107]
	ds_load_b128 v[76:79], v72 offset:6144
	ds_load_b128 v[80:83], v72 offset:7168
	v_and_b32_e32 v68, 0xe0, v0
	v_mbcnt_lo_u32_b32 v69, -1, 0
	s_waitcnt vmcnt(0) lgkmcnt(0)
	s_barrier
	buffer_gl0_inv
	v_add_nc_u32_e32 v68, s12, v68
	v_xor_b32_e32 v70, 16, v69
	s_delay_alu instid0(VALU_DEP_2) | instskip(NEXT) | instid1(VALU_DEP_2)
	v_or_b32_e32 v68, v68, v74
	v_cmp_gt_i32_e32 vcc_lo, 32, v70
	s_delay_alu instid0(VALU_DEP_2)
	v_or_b32_e32 v71, 4, v68
	v_or_b32_e32 v72, 6, v68
	v_cmp_gt_i32_e64 s2, s17, v68
	v_or_b32_e32 v108, 8, v68
	v_wmma_f32_16x16x16_bf16 v[124:131], v[84:91], v[76:83], v[124:131]
	v_cndmask_b32_e32 v69, v69, v70, vcc_lo
	v_or_b32_e32 v70, 2, v68
	v_wmma_f32_16x16x16_bf16 v[100:107], v[92:99], v[76:83], v[100:107]
	v_or_b32_e32 v109, 10, v68
	v_dual_mul_f32 v80, s18, v129 :: v_dual_mul_f32 v81, s18, v128
	v_dual_mul_f32 v92, s18, v125 :: v_dual_mul_f32 v93, s18, v124
	s_delay_alu instid0(VALU_DEP_4)
	v_mul_f32_e32 v96, s18, v105
	v_cmp_gt_i32_e32 vcc_lo, s17, v70
	v_or_b32_e32 v89, 22, v68
	v_dual_mul_f32 v79, s18, v130 :: v_dual_mul_f32 v82, s18, v127
	v_dual_mul_f32 v83, s18, v126 :: v_dual_mul_f32 v94, s18, v107
	v_cndmask_b32_e64 v93, 0xff7fffff, v93, s2
	v_cndmask_b32_e32 v92, 0xff7fffff, v92, vcc_lo
	v_cmp_gt_i32_e64 s3, s17, v71
	v_cmp_gt_i32_e64 s4, s17, v72
	v_or_b32_e32 v84, 12, v68
	v_or_b32_e32 v85, 14, v68
	v_cmp_gt_i32_e64 s5, s17, v108
	v_cndmask_b32_e64 v71, 0xff7fffff, v83, s3
	v_cndmask_b32_e64 v72, 0xff7fffff, v82, s4
	v_cmp_gt_i32_e64 s6, s17, v109
	v_cmp_gt_i32_e64 s12, s17, v89
	v_lshlrev_b32_e32 v89, 2, v69
	v_max3_f32 v82, v93, 0xff7fffff, v92
	v_or_b32_e32 v86, 16, v68
	v_or_b32_e32 v87, 18, v68
	v_mul_f32_e32 v78, s18, v131
	v_cndmask_b32_e64 v81, 0xff7fffff, v81, s5
	v_cndmask_b32_e64 v80, 0xff7fffff, v80, s6
	v_max3_f32 v71, v82, v71, v72
	v_cmp_gt_i32_e64 s7, s17, v84
	v_cmp_gt_i32_e64 s8, s17, v85
	v_or_b32_e32 v88, 20, v68
	v_or_b32_e32 v90, 24, v68
	;; [unrolled: 1-line block ×5, first 2 shown]
	v_dual_mul_f32 v97, s18, v104 :: v_dual_mul_f32 v70, s18, v101
	v_dual_mul_f32 v99, s18, v102 :: v_dual_mul_f32 v68, s18, v100
	v_cndmask_b32_e64 v72, 0xff7fffff, v79, s7
	v_cndmask_b32_e64 v78, 0xff7fffff, v78, s8
	v_max3_f32 v71, v71, v81, v80
	v_cmp_gt_i32_e64 s9, s17, v86
	v_cmp_gt_i32_e64 s10, s17, v87
	v_dual_mul_f32 v95, s18, v106 :: v_dual_mul_f32 v98, s18, v103
	s_delay_alu instid0(VALU_DEP_4) | instskip(NEXT) | instid1(VALU_DEP_4)
	v_max3_f32 v71, v71, v72, v78
	v_cndmask_b32_e64 v68, 0xff7fffff, v68, s9
	s_delay_alu instid0(VALU_DEP_4)
	v_cndmask_b32_e64 v70, 0xff7fffff, v70, s10
	v_cmp_gt_i32_e64 s11, s17, v88
	v_cndmask_b32_e64 v78, 0xff7fffff, v98, s12
	v_cmp_gt_i32_e64 s13, s17, v90
	v_cmp_gt_i32_e64 s15, s17, v91
	v_max3_f32 v68, v71, v68, v70
	v_cndmask_b32_e64 v72, 0xff7fffff, v99, s11
	v_cmp_gt_i32_e64 s16, s17, v76
	v_cndmask_b32_e64 v70, 0xff7fffff, v97, s13
	v_cndmask_b32_e64 v71, 0xff7fffff, v96, s15
	v_cmp_gt_i32_e64 s17, s17, v77
	v_max3_f32 v68, v68, v72, v78
	v_cndmask_b32_e64 v72, 0xff7fffff, v95, s16
	s_delay_alu instid0(VALU_DEP_3) | instskip(NEXT) | instid1(VALU_DEP_3)
	v_cndmask_b32_e64 v76, 0xff7fffff, v94, s17
	v_max3_f32 v68, v68, v70, v71
	s_delay_alu instid0(VALU_DEP_1) | instskip(SKIP_3) | instid1(VALU_DEP_1)
	v_max3_f32 v68, v68, v72, v76
	ds_bpermute_b32 v69, v89, v68
	s_waitcnt lgkmcnt(0)
	v_max_f32_e32 v69, v69, v69
	v_max_f32_e32 v68, v68, v69
	s_delay_alu instid0(VALU_DEP_1) | instskip(NEXT) | instid1(VALU_DEP_1)
	v_fma_f32 v71, s18, v126, -v68
	v_mul_f32_e32 v71, 0x3fb8aa3b, v71
	v_fma_f32 v70, s18, v125, -v68
	v_fma_f32 v69, s18, v124, -v68
	;; [unrolled: 1-line block ×5, first 2 shown]
	s_delay_alu instid0(VALU_DEP_4) | instskip(SKIP_1) | instid1(VALU_DEP_3)
	v_dual_mul_f32 v70, 0x3fb8aa3b, v70 :: v_dual_mul_f32 v69, 0x3fb8aa3b, v69
	v_exp_f32_e32 v71, v71
	v_mul_f32_e32 v72, 0x3fb8aa3b, v72
	v_fma_f32 v81, s18, v105, -v68
	s_delay_alu instid0(VALU_DEP_3)
	v_exp_f32_e32 v70, v70
	v_mul_f32_e32 v77, 0x3fb8aa3b, v76
	v_exp_f32_e32 v69, v69
	v_exp_f32_e32 v72, v72
	v_mul_f32_e32 v81, 0x3fb8aa3b, v81
	v_cndmask_b32_e64 v83, 0, v71, s3
	v_fma_f32 v71, s18, v131, -v68
	s_delay_alu instid0(VALU_DEP_3) | instskip(SKIP_4) | instid1(TRANS32_DEP_3)
	v_exp_f32_e32 v81, v81
	v_cndmask_b32_e32 v76, 0, v70, vcc_lo
	v_exp_f32_e32 v77, v77
	v_cndmask_b32_e64 v80, 0, v69, s2
	v_fma_f32 v69, s18, v129, -v68
	v_cndmask_b32_e64 v85, 0, v72, s4
	v_mul_f32_e32 v71, 0x3fb8aa3b, v71
	v_fma_f32 v72, s18, v100, -v68
	s_delay_alu instid0(VALU_DEP_4) | instskip(SKIP_1) | instid1(VALU_DEP_3)
	v_dual_add_f32 v70, 0, v80 :: v_dual_mul_f32 v69, 0x3fb8aa3b, v69
	s_mov_b32 s2, exec_lo
	v_exp_f32_e32 v71, v71
	s_delay_alu instid0(TRANS32_DEP_2) | instskip(SKIP_4) | instid1(VALU_DEP_3)
	v_cndmask_b32_e64 v86, 0, v77, s5
	v_fma_f32 v77, s18, v101, -v68
	v_mul_f32_e32 v78, 0x3fb8aa3b, v78
	v_add_f32_e32 v70, v70, v76
	v_exp_f32_e32 v69, v69
	v_mul_f32_e32 v77, 0x3fb8aa3b, v77
	s_delay_alu instid0(VALU_DEP_3) | instskip(NEXT) | instid1(TRANS32_DEP_3)
	v_exp_f32_e32 v78, v78
	v_cndmask_b32_e64 v88, 0, v71, s8
	v_fma_f32 v71, s18, v104, -v68
	s_delay_alu instid0(VALU_DEP_3) | instskip(NEXT) | instid1(TRANS32_DEP_3)
	v_exp_f32_e32 v77, v77
	v_cndmask_b32_e64 v87, 0, v69, s6
	s_delay_alu instid0(VALU_DEP_2)
	v_mul_f32_e32 v71, 0x3fb8aa3b, v71
	s_waitcnt_depctr 0xfff
	v_cndmask_b32_e64 v84, 0, v78, s7
	v_add_f32_e32 v70, v70, v83
	v_fma_f32 v78, s18, v103, -v68
	v_exp_f32_e32 v82, v71
	s_delay_alu instid0(VALU_DEP_2) | instskip(SKIP_1) | instid1(VALU_DEP_3)
	v_add_f32_e32 v70, v70, v85
	v_mul_f32_e32 v72, 0x3fb8aa3b, v72
	v_mul_f32_e32 v78, 0x3fb8aa3b, v78
	s_delay_alu instid0(VALU_DEP_3) | instskip(SKIP_1) | instid1(VALU_DEP_4)
	v_add_f32_e32 v69, v70, v86
	v_fma_f32 v70, s18, v102, -v68
	v_exp_f32_e32 v72, v72
	s_delay_alu instid0(VALU_DEP_3) | instskip(NEXT) | instid1(VALU_DEP_1)
	v_exp_f32_e32 v78, v78
	v_dual_add_f32 v69, v69, v87 :: v_dual_mul_f32 v70, 0x3fb8aa3b, v70
	s_delay_alu instid0(VALU_DEP_1) | instskip(NEXT) | instid1(VALU_DEP_2)
	v_add_f32_e32 v69, v69, v84
	v_exp_f32_e32 v79, v70
	s_delay_alu instid0(TRANS32_DEP_3) | instskip(NEXT) | instid1(VALU_DEP_2)
	v_cndmask_b32_e64 v70, 0, v72, s9
	v_add_f32_e32 v72, v69, v88
	v_cndmask_b32_e64 v69, 0, v77, s10
	v_fma_f32 v77, s18, v106, -v68
	s_waitcnt_depctr 0xfff
	v_cndmask_b32_e64 v71, 0, v79, s11
	v_dual_mul_f32 v77, 0x3fb8aa3b, v77 :: v_dual_add_f32 v72, v72, v70
	s_delay_alu instid0(VALU_DEP_1) | instskip(NEXT) | instid1(VALU_DEP_1)
	v_exp_f32_e32 v90, v77
	v_add_f32_e32 v79, v72, v69
	v_cndmask_b32_e64 v72, 0, v78, s12
	v_cndmask_b32_e64 v77, 0, v82, s13
	s_delay_alu instid0(VALU_DEP_3) | instskip(SKIP_1) | instid1(VALU_DEP_1)
	v_add_f32_e32 v78, v79, v71
	v_fma_f32 v79, s18, v107, -v68
	v_dual_add_f32 v82, v78, v72 :: v_dual_mul_f32 v79, 0x3fb8aa3b, v79
	v_cndmask_b32_e64 v78, 0, v81, s15
	s_delay_alu instid0(VALU_DEP_2) | instskip(NEXT) | instid1(VALU_DEP_3)
	v_add_f32_e32 v81, v82, v77
	v_exp_f32_e32 v82, v79
	v_cndmask_b32_e64 v79, 0, v90, s16
	s_delay_alu instid0(VALU_DEP_2) | instskip(NEXT) | instid1(VALU_DEP_1)
	v_add_f32_e32 v81, v81, v78
	v_add_f32_e32 v90, v81, v79
	s_waitcnt_depctr 0xfff
	v_cndmask_b32_e64 v81, 0, v82, s17
	s_delay_alu instid0(VALU_DEP_1)
	v_add_f32_e32 v82, v90, v81
	ds_bpermute_b32 v89, v89, v82
	v_cmpx_gt_u32_e32 16, v67
	s_cbranch_execz .LBB1595_12
; %bb.11:
	v_mul_u32_u24_e32 v67, 0x44, v66
	s_delay_alu instid0(VALU_DEP_1) | instskip(SKIP_1) | instid1(VALU_DEP_1)
	v_lshl_add_u32 v67, v65, 2, v67
	s_waitcnt lgkmcnt(0)
	v_dual_add_f32 v82, v82, v89 :: v_dual_add_nc_u32 v67, 0x4000, v67
	ds_store_2addr_b32 v67, v68, v82 offset1:136
.LBB1595_12:
	s_or_b32 exec_lo, exec_lo, s2
	v_lshlrev_b32_e32 v67, 2, v65
	s_waitcnt lgkmcnt(0)
	s_barrier
	buffer_gl0_inv
	v_cmp_eq_u32_e32 vcc_lo, 1, v66
	v_add_nc_u32_e32 v82, 0x4000, v67
	v_cmp_eq_u32_e64 s2, 2, v66
	v_cmp_eq_u32_e64 s4, 7, v66
	ds_load_2addr_b32 v[89:90], v82 offset1:17
	ds_load_2addr_b32 v[91:92], v82 offset0:34 offset1:51
	ds_load_2addr_b32 v[93:94], v82 offset0:68 offset1:85
	ds_load_2addr_b32 v[95:96], v82 offset0:102 offset1:119
	ds_load_2addr_b32 v[97:98], v82 offset0:136 offset1:153
	s_waitcnt lgkmcnt(4)
	v_max3_f32 v67, v89, 0xff7fffff, v90
	s_waitcnt lgkmcnt(3)
	s_delay_alu instid0(VALU_DEP_1) | instskip(SKIP_1) | instid1(VALU_DEP_1)
	v_max3_f32 v67, v67, v91, v92
	s_waitcnt lgkmcnt(2)
	v_max3_f32 v67, v67, v93, v94
	s_waitcnt lgkmcnt(1)
	s_delay_alu instid0(VALU_DEP_1) | instskip(NEXT) | instid1(VALU_DEP_1)
	v_max3_f32 v67, v67, v95, v96
	v_sub_f32_e32 v93, v93, v67
	s_delay_alu instid0(VALU_DEP_1) | instskip(NEXT) | instid1(VALU_DEP_1)
	v_dual_sub_f32 v68, v89, v67 :: v_dual_mul_f32 v103, 0x3fb8aa3b, v93
	v_mul_f32_e32 v68, 0x3fb8aa3b, v68
	s_delay_alu instid0(VALU_DEP_1)
	v_exp_f32_e32 v100, v68
	v_sub_f32_e32 v68, v92, v67
	v_sub_f32_e32 v99, v90, v67
	ds_load_2addr_b32 v[89:90], v82 offset0:170 offset1:187
	v_dual_mul_f32 v102, 0x3fb8aa3b, v68 :: v_dual_mul_f32 v99, 0x3fb8aa3b, v99
	s_waitcnt lgkmcnt(1)
	v_fma_f32 v68, v100, v97, 0
	s_delay_alu instid0(VALU_DEP_2) | instskip(NEXT) | instid1(VALU_DEP_2)
	v_exp_f32_e32 v102, v102
	v_exp_f32_e32 v99, v99
	s_waitcnt_depctr 0xfff
	v_fmac_f32_e32 v68, v99, v98
	v_sub_f32_e32 v91, v91, v67
	s_delay_alu instid0(VALU_DEP_1)
	v_mul_f32_e32 v101, 0x3fb8aa3b, v91
	ds_load_2addr_b32 v[91:92], v82 offset0:204 offset1:221
	v_sub_f32_e32 v97, v94, v67
	ds_load_2addr_b32 v[93:94], v82 offset0:238 offset1:255
	s_waitcnt lgkmcnt(0)
	v_exp_f32_e32 v101, v101
	s_barrier
	buffer_gl0_inv
	v_dual_fmac_f32 v68, v101, v89 :: v_dual_sub_f32 v89, v96, v67
	v_dual_sub_f32 v82, v95, v67 :: v_dual_mul_f32 v95, 0x3fb8aa3b, v97
	v_exp_f32_e32 v97, v103
	s_delay_alu instid0(VALU_DEP_2) | instskip(NEXT) | instid1(VALU_DEP_2)
	v_dual_fmac_f32 v68, v102, v90 :: v_dual_mul_f32 v89, 0x3fb8aa3b, v89
	v_mul_f32_e32 v82, 0x3fb8aa3b, v82
	s_delay_alu instid0(VALU_DEP_3) | instskip(NEXT) | instid1(VALU_DEP_2)
	v_exp_f32_e32 v95, v95
	v_exp_f32_e32 v89, v89
	s_delay_alu instid0(VALU_DEP_1)
	v_exp_f32_e32 v82, v82
	v_fmac_f32_e32 v68, v97, v91
	s_delay_alu instid0(TRANS32_DEP_3) | instid1(VALU_DEP_1)
	v_fmac_f32_e32 v68, v95, v92
	s_waitcnt_depctr 0xfff
	v_fmac_f32_e32 v68, v82, v93
	s_delay_alu instid0(VALU_DEP_1) | instskip(NEXT) | instid1(VALU_DEP_1)
	v_fmac_f32_e32 v68, v89, v94
	v_add_f32_e32 v90, 0x358637bd, v68
	s_delay_alu instid0(VALU_DEP_1) | instskip(NEXT) | instid1(VALU_DEP_1)
	v_div_scale_f32 v91, null, v90, v90, 1.0
	v_rcp_f32_e32 v92, v91
	s_waitcnt_depctr 0xfff
	v_fma_f32 v93, -v91, v92, 1.0
	s_delay_alu instid0(VALU_DEP_1) | instskip(SKIP_1) | instid1(VALU_DEP_2)
	v_dual_fmac_f32 v92, v93, v92 :: v_dual_cndmask_b32 v93, v100, v99
	v_cmp_eq_u32_e32 vcc_lo, 3, v66
	v_cndmask_b32_e64 v93, v93, v101, s2
	v_cmp_eq_u32_e64 s2, 4, v66
	s_delay_alu instid0(VALU_DEP_2) | instskip(SKIP_1) | instid1(VALU_DEP_2)
	v_cndmask_b32_e32 v93, v93, v102, vcc_lo
	v_cmp_eq_u32_e32 vcc_lo, 5, v66
	v_cndmask_b32_e64 v93, v93, v97, s2
	v_cmp_eq_u32_e64 s2, 6, v66
	s_delay_alu instid0(VALU_DEP_2) | instskip(SKIP_1) | instid1(VALU_DEP_1)
	v_cndmask_b32_e32 v93, v93, v95, vcc_lo
	v_div_scale_f32 v94, s3, 1.0, v90, 1.0
	s_mov_b32 vcc_lo, s3
	s_delay_alu instid0(VALU_DEP_2) | instskip(NEXT) | instid1(VALU_DEP_2)
	v_cndmask_b32_e64 v82, v93, v82, s2
	v_mul_f32_e32 v96, v94, v92
	s_mov_b32 s2, exec_lo
	s_delay_alu instid0(VALU_DEP_2) | instskip(NEXT) | instid1(VALU_DEP_2)
	v_cndmask_b32_e64 v82, v82, v89, s4
	v_fma_f32 v98, -v91, v96, v94
	s_delay_alu instid0(VALU_DEP_1) | instskip(NEXT) | instid1(VALU_DEP_1)
	v_fmac_f32_e32 v96, v98, v92
	v_fma_f32 v91, -v91, v96, v94
	s_delay_alu instid0(VALU_DEP_1) | instskip(NEXT) | instid1(VALU_DEP_1)
	v_div_fmas_f32 v91, v91, v92, v96
	v_div_fixup_f32 v90, v91, v90, 1.0
	s_delay_alu instid0(VALU_DEP_1) | instskip(NEXT) | instid1(VALU_DEP_1)
	v_mul_f32_e32 v82, v82, v90
	v_mul_f32_e32 v87, v82, v87
	;; [unrolled: 1-line block ×7, first 2 shown]
	v_dual_mul_f32 v86, v82, v83 :: v_dual_and_b32 v91, 0x7f800000, v90
	v_mul_f32_e32 v85, v82, v76
                                        ; implicit-def: $vgpr76
	s_delay_alu instid0(VALU_DEP_2)
	v_cmpx_ne_u32_e32 0x7f800000, v91
	s_xor_b32 s2, exec_lo, s2
; %bb.13:
	v_bfe_u32 v76, v90, 16, 1
	s_delay_alu instid0(VALU_DEP_1)
	v_add3_u32 v76, v90, v76, 0x7fff
                                        ; implicit-def: $vgpr90
; %bb.14:
	s_and_not1_saveexec_b32 s2, s2
; %bb.15:
	v_and_b32_e32 v76, 0xffff, v90
	v_or_b32_e32 v83, 0x10000, v90
	s_delay_alu instid0(VALU_DEP_2) | instskip(NEXT) | instid1(VALU_DEP_2)
	v_cmp_eq_u32_e32 vcc_lo, 0, v76
	v_cndmask_b32_e32 v76, v83, v90, vcc_lo
; %bb.16:
	s_or_b32 exec_lo, exec_lo, s2
	v_and_b32_e32 v83, 0x7f800000, v85
	s_delay_alu instid0(VALU_DEP_1) | instskip(SKIP_1) | instid1(SALU_CYCLE_1)
	v_cmp_ne_u32_e32 vcc_lo, 0x7f800000, v83
                                        ; implicit-def: $vgpr83
	s_and_saveexec_b32 s2, vcc_lo
	s_xor_b32 s2, exec_lo, s2
; %bb.17:
	v_bfe_u32 v83, v85, 16, 1
	s_delay_alu instid0(VALU_DEP_1)
	v_add3_u32 v83, v85, v83, 0x7fff
                                        ; implicit-def: $vgpr85
; %bb.18:
	s_and_not1_saveexec_b32 s2, s2
; %bb.19:
	v_and_b32_e32 v83, 0xffff, v85
	v_or_b32_e32 v90, 0x10000, v85
	s_delay_alu instid0(VALU_DEP_2) | instskip(NEXT) | instid1(VALU_DEP_2)
	v_cmp_eq_u32_e32 vcc_lo, 0, v83
	v_cndmask_b32_e32 v83, v90, v85, vcc_lo
; %bb.20:
	s_or_b32 exec_lo, exec_lo, s2
	v_and_b32_e32 v85, 0x7f800000, v86
	s_delay_alu instid0(VALU_DEP_1) | instskip(SKIP_1) | instid1(SALU_CYCLE_1)
	v_cmp_ne_u32_e32 vcc_lo, 0x7f800000, v85
                                        ; implicit-def: $vgpr85
	s_and_saveexec_b32 s2, vcc_lo
	s_xor_b32 s2, exec_lo, s2
; %bb.21:
	v_bfe_u32 v85, v86, 16, 1
	s_delay_alu instid0(VALU_DEP_1)
	v_add3_u32 v85, v86, v85, 0x7fff
                                        ; implicit-def: $vgpr86
; %bb.22:
	s_and_not1_saveexec_b32 s2, s2
; %bb.23:
	v_and_b32_e32 v85, 0xffff, v86
	v_or_b32_e32 v90, 0x10000, v86
	s_delay_alu instid0(VALU_DEP_2) | instskip(NEXT) | instid1(VALU_DEP_2)
	v_cmp_eq_u32_e32 vcc_lo, 0, v85
	v_cndmask_b32_e32 v85, v90, v86, vcc_lo
; %bb.24:
	s_or_b32 exec_lo, exec_lo, s2
	v_and_b32_e32 v86, 0x7f800000, v89
	s_delay_alu instid0(VALU_DEP_1) | instskip(SKIP_1) | instid1(SALU_CYCLE_1)
	v_cmp_ne_u32_e32 vcc_lo, 0x7f800000, v86
                                        ; implicit-def: $vgpr86
	s_and_saveexec_b32 s2, vcc_lo
	s_xor_b32 s2, exec_lo, s2
; %bb.25:
	v_bfe_u32 v86, v89, 16, 1
	s_delay_alu instid0(VALU_DEP_1)
	v_add3_u32 v86, v89, v86, 0x7fff
                                        ; implicit-def: $vgpr89
; %bb.26:
	s_and_not1_saveexec_b32 s2, s2
; %bb.27:
	v_and_b32_e32 v86, 0xffff, v89
	v_or_b32_e32 v90, 0x10000, v89
	s_delay_alu instid0(VALU_DEP_2) | instskip(NEXT) | instid1(VALU_DEP_2)
	v_cmp_eq_u32_e32 vcc_lo, 0, v86
	v_cndmask_b32_e32 v86, v90, v89, vcc_lo
; %bb.28:
	s_or_b32 exec_lo, exec_lo, s2
	v_and_b32_e32 v89, 0x7f800000, v88
	s_delay_alu instid0(VALU_DEP_1) | instskip(SKIP_1) | instid1(SALU_CYCLE_1)
	v_cmp_ne_u32_e32 vcc_lo, 0x7f800000, v89
                                        ; implicit-def: $vgpr89
	s_and_saveexec_b32 s2, vcc_lo
	s_xor_b32 s2, exec_lo, s2
; %bb.29:
	v_bfe_u32 v89, v88, 16, 1
	s_delay_alu instid0(VALU_DEP_1)
	v_add3_u32 v89, v88, v89, 0x7fff
                                        ; implicit-def: $vgpr88
; %bb.30:
	s_and_not1_saveexec_b32 s2, s2
; %bb.31:
	v_and_b32_e32 v89, 0xffff, v88
	v_or_b32_e32 v90, 0x10000, v88
	s_delay_alu instid0(VALU_DEP_2) | instskip(NEXT) | instid1(VALU_DEP_2)
	v_cmp_eq_u32_e32 vcc_lo, 0, v89
	v_cndmask_b32_e32 v89, v90, v88, vcc_lo
; %bb.32:
	s_or_b32 exec_lo, exec_lo, s2
	v_and_b32_e32 v88, 0x7f800000, v87
	s_delay_alu instid0(VALU_DEP_1) | instskip(SKIP_1) | instid1(SALU_CYCLE_1)
	v_cmp_ne_u32_e32 vcc_lo, 0x7f800000, v88
                                        ; implicit-def: $vgpr88
	s_and_saveexec_b32 s2, vcc_lo
	s_xor_b32 s2, exec_lo, s2
; %bb.33:
	v_bfe_u32 v88, v87, 16, 1
	s_delay_alu instid0(VALU_DEP_1)
	v_add3_u32 v88, v87, v88, 0x7fff
                                        ; implicit-def: $vgpr87
; %bb.34:
	s_and_not1_saveexec_b32 s2, s2
; %bb.35:
	v_and_b32_e32 v88, 0xffff, v87
	v_or_b32_e32 v90, 0x10000, v87
	s_delay_alu instid0(VALU_DEP_2) | instskip(NEXT) | instid1(VALU_DEP_2)
	v_cmp_eq_u32_e32 vcc_lo, 0, v88
	v_cndmask_b32_e32 v88, v90, v87, vcc_lo
; %bb.36:
	s_or_b32 exec_lo, exec_lo, s2
	v_and_b32_e32 v87, 0x7f800000, v84
	s_delay_alu instid0(VALU_DEP_1) | instskip(SKIP_1) | instid1(SALU_CYCLE_1)
	v_cmp_ne_u32_e32 vcc_lo, 0x7f800000, v87
                                        ; implicit-def: $vgpr87
	s_and_saveexec_b32 s2, vcc_lo
	s_xor_b32 s2, exec_lo, s2
; %bb.37:
	v_bfe_u32 v87, v84, 16, 1
	s_delay_alu instid0(VALU_DEP_1)
	v_add3_u32 v87, v84, v87, 0x7fff
                                        ; implicit-def: $vgpr84
; %bb.38:
	s_and_not1_saveexec_b32 s2, s2
; %bb.39:
	v_and_b32_e32 v87, 0xffff, v84
	v_or_b32_e32 v90, 0x10000, v84
	s_delay_alu instid0(VALU_DEP_2) | instskip(NEXT) | instid1(VALU_DEP_2)
	v_cmp_eq_u32_e32 vcc_lo, 0, v87
	v_cndmask_b32_e32 v87, v90, v84, vcc_lo
; %bb.40:
	s_or_b32 exec_lo, exec_lo, s2
	v_and_b32_e32 v84, 0x7f800000, v80
	s_delay_alu instid0(VALU_DEP_1) | instskip(SKIP_1) | instid1(SALU_CYCLE_1)
	v_cmp_ne_u32_e32 vcc_lo, 0x7f800000, v84
                                        ; implicit-def: $vgpr84
	s_and_saveexec_b32 s2, vcc_lo
	s_xor_b32 s2, exec_lo, s2
; %bb.41:
	v_bfe_u32 v84, v80, 16, 1
	s_delay_alu instid0(VALU_DEP_1)
	v_add3_u32 v84, v80, v84, 0x7fff
                                        ; implicit-def: $vgpr80
; %bb.42:
	s_and_not1_saveexec_b32 s2, s2
; %bb.43:
	v_and_b32_e32 v84, 0xffff, v80
	v_or_b32_e32 v90, 0x10000, v80
	s_delay_alu instid0(VALU_DEP_2) | instskip(NEXT) | instid1(VALU_DEP_2)
	v_cmp_eq_u32_e32 vcc_lo, 0, v84
	v_cndmask_b32_e32 v84, v90, v80, vcc_lo
; %bb.44:
	s_or_b32 exec_lo, exec_lo, s2
	s_load_b64 s[34:35], s[0:1], 0x94
	v_lshlrev_b32_e32 v91, 4, v74
	s_delay_alu instid0(VALU_DEP_2)
	v_perm_b32 v90, v84, v87, 0x7060302
	v_dual_mul_f32 v79, v82, v79 :: v_dual_lshlrev_b32 v80, 6, v65
	v_dual_mul_f32 v77, v82, v77 :: v_dual_lshlrev_b32 v92, 11, v66
	v_mul_f32_e32 v84, v82, v70
	v_perm_b32 v89, v88, v89, 0x7060302
	v_perm_b32 v88, v86, v85, 0x7060302
	;; [unrolled: 1-line block ×3, first 2 shown]
	v_mul_f32_e32 v70, v82, v81
	v_or3_b32 v76, v91, v92, v80
	v_dual_mul_f32 v78, v82, v78 :: v_dual_and_b32 v85, 0x7f800000, v84
	v_mul_f32_e32 v83, v82, v72
	v_mul_f32_e32 v81, v82, v71
	;; [unrolled: 1-line block ×3, first 2 shown]
	s_mov_b32 s2, exec_lo
	ds_store_b128 v76, v[87:90]
                                        ; implicit-def: $vgpr69
	v_cmpx_ne_u32_e32 0x7f800000, v85
	s_xor_b32 s2, exec_lo, s2
; %bb.45:
	v_bfe_u32 v69, v84, 16, 1
	s_delay_alu instid0(VALU_DEP_1)
	v_add3_u32 v69, v84, v69, 0x7fff
                                        ; implicit-def: $vgpr84
; %bb.46:
	s_and_not1_saveexec_b32 s2, s2
; %bb.47:
	v_and_b32_e32 v69, 0xffff, v84
	v_or_b32_e32 v71, 0x10000, v84
	s_delay_alu instid0(VALU_DEP_2) | instskip(NEXT) | instid1(VALU_DEP_2)
	v_cmp_eq_u32_e32 vcc_lo, 0, v69
	v_cndmask_b32_e32 v69, v71, v84, vcc_lo
; %bb.48:
	s_or_b32 exec_lo, exec_lo, s2
	v_and_b32_e32 v71, 0x7f800000, v72
	s_delay_alu instid0(VALU_DEP_1) | instskip(SKIP_1) | instid1(SALU_CYCLE_1)
	v_cmp_ne_u32_e32 vcc_lo, 0x7f800000, v71
                                        ; implicit-def: $vgpr71
	s_and_saveexec_b32 s2, vcc_lo
	s_xor_b32 s2, exec_lo, s2
; %bb.49:
	v_bfe_u32 v71, v72, 16, 1
	s_delay_alu instid0(VALU_DEP_1)
	v_add3_u32 v71, v72, v71, 0x7fff
                                        ; implicit-def: $vgpr72
; %bb.50:
	s_and_not1_saveexec_b32 s2, s2
; %bb.51:
	v_and_b32_e32 v71, 0xffff, v72
	v_or_b32_e32 v82, 0x10000, v72
	s_delay_alu instid0(VALU_DEP_2) | instskip(NEXT) | instid1(VALU_DEP_2)
	v_cmp_eq_u32_e32 vcc_lo, 0, v71
	v_cndmask_b32_e32 v71, v82, v72, vcc_lo
; %bb.52:
	s_or_b32 exec_lo, exec_lo, s2
	v_and_b32_e32 v72, 0x7f800000, v81
	s_delay_alu instid0(VALU_DEP_1) | instskip(SKIP_1) | instid1(SALU_CYCLE_1)
	v_cmp_ne_u32_e32 vcc_lo, 0x7f800000, v72
                                        ; implicit-def: $vgpr72
	s_and_saveexec_b32 s2, vcc_lo
	s_xor_b32 s2, exec_lo, s2
; %bb.53:
	v_bfe_u32 v72, v81, 16, 1
	s_delay_alu instid0(VALU_DEP_1)
	v_add3_u32 v72, v81, v72, 0x7fff
                                        ; implicit-def: $vgpr81
; %bb.54:
	s_and_not1_saveexec_b32 s2, s2
; %bb.55:
	v_and_b32_e32 v72, 0xffff, v81
	v_or_b32_e32 v82, 0x10000, v81
	s_delay_alu instid0(VALU_DEP_2) | instskip(NEXT) | instid1(VALU_DEP_2)
	v_cmp_eq_u32_e32 vcc_lo, 0, v72
	v_cndmask_b32_e32 v72, v82, v81, vcc_lo
; %bb.56:
	s_or_b32 exec_lo, exec_lo, s2
	v_and_b32_e32 v81, 0x7f800000, v83
	s_delay_alu instid0(VALU_DEP_1) | instskip(SKIP_1) | instid1(SALU_CYCLE_1)
	v_cmp_ne_u32_e32 vcc_lo, 0x7f800000, v81
                                        ; implicit-def: $vgpr81
	s_and_saveexec_b32 s2, vcc_lo
	s_xor_b32 s2, exec_lo, s2
; %bb.57:
	v_bfe_u32 v81, v83, 16, 1
	s_delay_alu instid0(VALU_DEP_1)
	v_add3_u32 v81, v83, v81, 0x7fff
                                        ; implicit-def: $vgpr83
; %bb.58:
	s_and_not1_saveexec_b32 s2, s2
; %bb.59:
	v_and_b32_e32 v81, 0xffff, v83
	v_or_b32_e32 v82, 0x10000, v83
	s_delay_alu instid0(VALU_DEP_2) | instskip(NEXT) | instid1(VALU_DEP_2)
	v_cmp_eq_u32_e32 vcc_lo, 0, v81
	v_cndmask_b32_e32 v81, v82, v83, vcc_lo
; %bb.60:
	s_or_b32 exec_lo, exec_lo, s2
	v_and_b32_e32 v82, 0x7f800000, v77
	s_delay_alu instid0(VALU_DEP_1) | instskip(SKIP_1) | instid1(SALU_CYCLE_1)
	v_cmp_ne_u32_e32 vcc_lo, 0x7f800000, v82
                                        ; implicit-def: $vgpr82
	s_and_saveexec_b32 s2, vcc_lo
	s_xor_b32 s2, exec_lo, s2
; %bb.61:
	v_bfe_u32 v82, v77, 16, 1
	s_delay_alu instid0(VALU_DEP_1)
	v_add3_u32 v82, v77, v82, 0x7fff
                                        ; implicit-def: $vgpr77
; %bb.62:
	s_and_not1_saveexec_b32 s2, s2
; %bb.63:
	v_and_b32_e32 v82, 0xffff, v77
	v_or_b32_e32 v83, 0x10000, v77
	s_delay_alu instid0(VALU_DEP_2) | instskip(NEXT) | instid1(VALU_DEP_2)
	v_cmp_eq_u32_e32 vcc_lo, 0, v82
	v_cndmask_b32_e32 v82, v83, v77, vcc_lo
; %bb.64:
	s_or_b32 exec_lo, exec_lo, s2
	v_and_b32_e32 v77, 0x7f800000, v78
	s_delay_alu instid0(VALU_DEP_1) | instskip(SKIP_1) | instid1(SALU_CYCLE_1)
	v_cmp_ne_u32_e32 vcc_lo, 0x7f800000, v77
                                        ; implicit-def: $vgpr77
	s_and_saveexec_b32 s2, vcc_lo
	s_xor_b32 s2, exec_lo, s2
; %bb.65:
	v_bfe_u32 v77, v78, 16, 1
	s_delay_alu instid0(VALU_DEP_1)
	v_add3_u32 v77, v78, v77, 0x7fff
                                        ; implicit-def: $vgpr78
; %bb.66:
	s_and_not1_saveexec_b32 s2, s2
; %bb.67:
	v_and_b32_e32 v77, 0xffff, v78
	v_or_b32_e32 v83, 0x10000, v78
	s_delay_alu instid0(VALU_DEP_2) | instskip(NEXT) | instid1(VALU_DEP_2)
	v_cmp_eq_u32_e32 vcc_lo, 0, v77
	v_cndmask_b32_e32 v77, v83, v78, vcc_lo
; %bb.68:
	s_or_b32 exec_lo, exec_lo, s2
	v_and_b32_e32 v78, 0x7f800000, v79
	s_delay_alu instid0(VALU_DEP_1) | instskip(SKIP_1) | instid1(SALU_CYCLE_1)
	v_cmp_ne_u32_e32 vcc_lo, 0x7f800000, v78
                                        ; implicit-def: $vgpr78
	s_and_saveexec_b32 s2, vcc_lo
	s_xor_b32 s2, exec_lo, s2
; %bb.69:
	v_bfe_u32 v78, v79, 16, 1
	s_delay_alu instid0(VALU_DEP_1)
	v_add3_u32 v78, v79, v78, 0x7fff
                                        ; implicit-def: $vgpr79
; %bb.70:
	s_and_not1_saveexec_b32 s2, s2
; %bb.71:
	v_and_b32_e32 v78, 0xffff, v79
	v_or_b32_e32 v83, 0x10000, v79
	s_delay_alu instid0(VALU_DEP_2) | instskip(NEXT) | instid1(VALU_DEP_2)
	v_cmp_eq_u32_e32 vcc_lo, 0, v78
	v_cndmask_b32_e32 v78, v83, v79, vcc_lo
; %bb.72:
	s_or_b32 exec_lo, exec_lo, s2
	v_and_b32_e32 v79, 0x7f800000, v70
	s_delay_alu instid0(VALU_DEP_1) | instskip(SKIP_1) | instid1(SALU_CYCLE_1)
	v_cmp_ne_u32_e32 vcc_lo, 0x7f800000, v79
                                        ; implicit-def: $vgpr79
	s_and_saveexec_b32 s2, vcc_lo
	s_xor_b32 s2, exec_lo, s2
; %bb.73:
	v_bfe_u32 v79, v70, 16, 1
	s_delay_alu instid0(VALU_DEP_1)
	v_add3_u32 v79, v70, v79, 0x7fff
                                        ; implicit-def: $vgpr70
; %bb.74:
	s_and_not1_saveexec_b32 s2, s2
; %bb.75:
	v_and_b32_e32 v79, 0xffff, v70
	v_or_b32_e32 v83, 0x10000, v70
	s_delay_alu instid0(VALU_DEP_2) | instskip(NEXT) | instid1(VALU_DEP_2)
	v_cmp_eq_u32_e32 vcc_lo, 0, v79
	v_cndmask_b32_e32 v79, v83, v70, vcc_lo
; %bb.76:
	s_or_b32 exec_lo, exec_lo, s2
	s_delay_alu instid0(VALU_DEP_1)
	v_perm_b32 v86, v79, v78, 0x7060302
	v_perm_b32 v85, v77, v82, 0x7060302
	;; [unrolled: 1-line block ×4, first 2 shown]
	v_lshl_or_b32 v82, v66, 11, v80
	ds_store_b128 v76, v[83:86] offset:1024
	s_waitcnt lgkmcnt(0)
	s_barrier
	buffer_gl0_inv
	ds_load_b128 v[69:72], v82
	ds_load_b128 v[83:86], v82 offset:16
	s_waitcnt lgkmcnt(1)
	v_lshrrev_b32_e32 v66, 16, v69
	s_waitcnt lgkmcnt(0)
	v_lshrrev_b32_e32 v91, 16, v83
	v_lshlrev_b32_e32 v78, 2, v74
	v_lshrrev_b32_e32 v95, 16, v70
	v_lshrrev_b32_e32 v98, 16, v84
	;; [unrolled: 1-line block ×4, first 2 shown]
	v_cmp_eq_u32_e32 vcc_lo, 1, v78
	v_lshrrev_b32_e32 v97, 16, v72
	v_lshrrev_b32_e32 v100, 16, v86
	v_cndmask_b32_e32 v87, v83, v91, vcc_lo
	v_or_b32_e32 v79, 1, v78
	v_cndmask_b32_e32 v81, v69, v66, vcc_lo
	v_cmp_eq_u32_e64 s3, 2, v78
	v_cmp_eq_u32_e64 s6, 3, v78
	;; [unrolled: 1-line block ×5, first 2 shown]
	v_cndmask_b32_e64 v81, v81, v70, s3
	v_cndmask_b32_e64 v87, v87, v84, s3
	v_cmp_eq_u32_e64 s7, 3, v79
	v_cndmask_b32_e64 v88, v69, v66, s2
	v_or_b32_e32 v77, 2, v78
	v_cndmask_b32_e64 v81, v81, v95, s6
	v_cndmask_b32_e64 v87, v87, v98, s6
	;; [unrolled: 1-line block ×4, first 2 shown]
	v_cmp_eq_u32_e64 s9, 5, v78
	v_cndmask_b32_e64 v81, v81, v71, s8
	v_cndmask_b32_e64 v87, v87, v85, s8
	v_cmp_eq_u32_e64 s10, 4, v79
	v_cndmask_b32_e64 v88, v88, v95, s7
	v_cmp_eq_u32_e64 s4, 1, v77
	v_cndmask_b32_e64 v89, v89, v84, s5
	v_cndmask_b32_e64 v81, v81, v96, s9
	v_cmp_eq_u32_e64 s11, 6, v78
	v_cndmask_b32_e64 v88, v88, v71, s10
	;; [unrolled: 3-line block ×3, first 2 shown]
	v_cndmask_b32_e64 v89, v89, v98, s7
	v_cndmask_b32_e64 v81, v81, v72, s11
	v_cmp_eq_u32_e64 s13, 7, v78
	v_cndmask_b32_e64 v88, v88, v96, s12
	v_cndmask_b32_e64 v87, v87, v86, s11
	v_cmp_eq_u32_e64 s15, 6, v79
	v_cmp_eq_u32_e64 s16, 2, v77
	v_cndmask_b32_e64 v89, v89, v85, s10
	v_cndmask_b32_e64 v101, v81, v97, s13
	;; [unrolled: 1-line block ×6, first 2 shown]
	v_cmp_eq_u32_e64 s17, 7, v79
	v_cmp_eq_u32_e64 s18, 3, v77
	;; [unrolled: 1-line block ×4, first 2 shown]
	v_cndmask_b32_e64 v87, v87, v84, s16
	v_cndmask_b32_e64 v103, v88, v97, s17
	;; [unrolled: 1-line block ×4, first 2 shown]
	v_or_b32_e32 v81, 3, v78
	v_cndmask_b32_e64 v93, v87, v98, s18
	v_cmp_eq_u32_e64 s23, 6, v77
	v_cndmask_b32_e64 v104, v88, v86, s15
	v_cndmask_b32_e64 v92, v89, v71, s19
	v_cmp_eq_u32_e64 s20, 1, v81
	ds_load_b128 v[87:90], v82 offset:1024
	v_cmp_eq_u32_e64 s22, 2, v81
	v_cmp_eq_u32_e64 s24, 3, v81
	v_cndmask_b32_e64 v105, v92, v96, s21
	v_cndmask_b32_e64 v66, v69, v66, s20
	;; [unrolled: 1-line block ×4, first 2 shown]
	ds_load_b128 v[91:94], v82 offset:1040
	v_cmp_eq_u32_e64 s25, 4, v81
	v_cndmask_b32_e64 v66, v66, v70, s22
	v_cmp_eq_u32_e64 s26, 7, v77
	v_cndmask_b32_e64 v70, v83, v84, s22
	v_cndmask_b32_e64 v84, v105, v72, s23
	v_cmp_eq_u32_e64 s27, 5, v81
	v_cndmask_b32_e64 v66, v66, v95, s24
	v_cmp_eq_u32_e64 s28, 6, v81
	v_cndmask_b32_e64 v70, v70, v98, s24
	v_cndmask_b32_e64 v69, v69, v99, s21
	;; [unrolled: 1-line block ×4, first 2 shown]
	s_waitcnt lgkmcnt(1)
	v_lshrrev_b32_e32 v95, 16, v87
	v_cndmask_b32_e64 v70, v70, v85, s25
	v_cndmask_b32_e64 v71, v84, v97, s26
	;; [unrolled: 1-line block ×4, first 2 shown]
	v_cndmask_b32_e32 v84, v87, v95, vcc_lo
	v_cndmask_b32_e64 v70, v70, v99, s27
	s_waitcnt lgkmcnt(0)
	v_lshrrev_b32_e32 v85, 16, v91
	v_lshrrev_b32_e32 v96, 16, v88
	v_cndmask_b32_e64 v98, v87, v95, s2
	v_cndmask_b32_e64 v84, v84, v88, s3
	;; [unrolled: 1-line block ×3, first 2 shown]
	v_cndmask_b32_e32 v99, v91, v85, vcc_lo
	v_cmp_eq_u32_e32 vcc_lo, 7, v81
	v_cndmask_b32_e64 v66, v66, v72, s28
	v_cndmask_b32_e64 v72, v84, v96, s6
	;; [unrolled: 1-line block ×3, first 2 shown]
	v_lshrrev_b32_e32 v98, 16, v92
	v_cndmask_b32_e32 v70, v70, v100, vcc_lo
	v_cndmask_b32_e64 v86, v99, v92, s3
	v_cndmask_b32_e64 v69, v69, v100, s26
	v_lshrrev_b32_e32 v100, 16, v93
	v_cndmask_b32_e64 v72, v72, v89, s8
	v_lshrrev_b32_e32 v99, 16, v89
	v_cndmask_b32_e64 v86, v86, v98, s6
	v_perm_b32 v71, v69, v71, 0x5040100
	v_cndmask_b32_e64 v84, v84, v96, s7
	s_delay_alu instid0(VALU_DEP_3) | instskip(NEXT) | instid1(VALU_DEP_2)
	v_cndmask_b32_e64 v86, v86, v93, s8
	v_cndmask_b32_e64 v84, v84, v89, s10
	s_delay_alu instid0(VALU_DEP_2) | instskip(NEXT) | instid1(VALU_DEP_1)
	v_cndmask_b32_e64 v86, v86, v100, s9
	v_cndmask_b32_e64 v69, v86, v94, s11
	;; [unrolled: 1-line block ×5, first 2 shown]
	s_delay_alu instid0(VALU_DEP_3) | instskip(NEXT) | instid1(VALU_DEP_3)
	v_cndmask_b32_e64 v86, v86, v88, s16
	v_cndmask_b32_e64 v87, v87, v88, s22
	s_delay_alu instid0(VALU_DEP_3) | instskip(NEXT) | instid1(VALU_DEP_3)
	v_cndmask_b32_e64 v88, v95, v92, s22
	v_cndmask_b32_e64 v86, v86, v96, s18
	;; [unrolled: 3-line block ×7, first 2 shown]
	s_delay_alu instid0(VALU_DEP_3) | instskip(SKIP_2) | instid1(VALU_DEP_2)
	v_cndmask_b32_e64 v88, v88, v94, s28
	v_cndmask_b32_e32 v66, v66, v97, vcc_lo
	v_cndmask_b32_e64 v97, v72, v99, s9
	v_perm_b32 v72, v70, v66, 0x5040100
	v_perm_b32 v70, v83, v103, 0x5040100
	v_cndmask_b32_e64 v103, v91, v85, s4
	v_cndmask_b32_e64 v85, v91, v85, s2
	;; [unrolled: 1-line block ×4, first 2 shown]
	v_lshrrev_b32_e32 v97, 16, v90
	v_cndmask_b32_e64 v91, v103, v92, s16
	v_cndmask_b32_e64 v85, v85, v92, s5
	;; [unrolled: 1-line block ×3, first 2 shown]
	s_mov_b32 s2, exec_lo
	v_cndmask_b32_e64 v83, v84, v97, s13
	v_cndmask_b32_e64 v91, v91, v98, s18
	;; [unrolled: 1-line block ×3, first 2 shown]
	v_lshrrev_b32_e32 v84, 16, v94
	v_cndmask_b32_e64 v66, v66, v97, s17
	v_cndmask_b32_e64 v90, v86, v97, s26
	v_cndmask_b32_e64 v89, v91, v93, s19
	v_cndmask_b32_e64 v85, v85, v93, s10
	v_dual_cndmask_b32 v86, v87, v97 :: v_dual_cndmask_b32 v87, v88, v84
	v_cndmask_b32_e64 v91, v69, v84, s13
	s_delay_alu instid0(VALU_DEP_4) | instskip(NEXT) | instid1(VALU_DEP_4)
	v_cndmask_b32_e64 v89, v89, v100, s21
	v_cndmask_b32_e64 v85, v85, v100, s12
	v_perm_b32 v69, v102, v101, 0x5040100
	v_perm_b32 v86, v87, v86, 0x5040100
	;; [unrolled: 1-line block ×3, first 2 shown]
	v_cndmask_b32_e64 v89, v89, v94, s23
	v_cndmask_b32_e64 v85, v85, v94, s15
	s_mul_i32 s7, s35, 10
	s_delay_alu instid0(VALU_DEP_2) | instskip(NEXT) | instid1(VALU_DEP_2)
	v_cndmask_b32_e64 v88, v89, v84, s26
	v_cndmask_b32_e64 v89, v85, v84, s17
	s_delay_alu instid0(VALU_DEP_2) | instskip(NEXT) | instid1(VALU_DEP_2)
	v_perm_b32 v85, v88, v90, 0x5040100
	v_perm_b32 v84, v89, v66, 0x5040100
	ds_store_b128 v76, v[69:72]
	ds_store_b128 v76, v[83:86] offset:1024
	v_cmpx_gt_u32_e32 10, v0
	s_cbranch_execz .LBB1595_78
; %bb.77:
	s_mul_i32 s3, s7, s30
	s_load_b128 s[8:11], s[0:1], 0x58
	v_add3_u32 v69, s3, s29, v65
	s_delay_alu instid0(VALU_DEP_1) | instskip(NEXT) | instid1(VALU_DEP_1)
	v_mad_u64_u32 v[65:66], null, v69, s34, s[14:15]
	v_ashrrev_i32_e32 v66, 31, v65
	s_delay_alu instid0(VALU_DEP_1) | instskip(SKIP_1) | instid1(VALU_DEP_1)
	v_lshlrev_b64 v[65:66], 2, v[65:66]
	s_waitcnt lgkmcnt(0)
	v_add_co_u32 v69, vcc_lo, s10, v65
	s_delay_alu instid0(VALU_DEP_2)
	v_add_co_ci_u32_e32 v70, vcc_lo, s11, v66, vcc_lo
	v_add_co_u32 v65, vcc_lo, s8, v65
	v_add_co_ci_u32_e32 v66, vcc_lo, s9, v66, vcc_lo
	global_store_b32 v[69:70], v67, off
	global_store_b32 v[65:66], v68, off
.LBB1595_78:
	s_or_b32 exec_lo, exec_lo, s2
	s_waitcnt lgkmcnt(0)
	s_waitcnt_vscnt null, 0x0
	s_barrier
	buffer_gl0_inv
	ds_load_b128 v[83:86], v80
	ds_load_b128 v[87:90], v80 offset:16
	ds_load_b128 v[95:98], v80 offset:2064
	;; [unrolled: 1-line block ×3, first 2 shown]
	v_mov_b32_e32 v65, 0
	ds_load_b128 v[103:106], v80 offset:4112
	ds_load_b128 v[99:102], v80 offset:4096
	;; [unrolled: 1-line block ×4, first 2 shown]
	v_mov_b32_e32 v66, v65
	v_mov_b32_e32 v67, v65
	;; [unrolled: 1-line block ×7, first 2 shown]
	s_waitcnt lgkmcnt(6)
	s_delay_alu instid0(VALU_DEP_1)
	v_wmma_f32_16x16x16_bf16 v[65:72], v[49:56], v[83:90], v[65:72]
	ds_load_b128 v[53:56], v80 offset:8208
	ds_load_b128 v[49:52], v80 offset:8192
	s_waitcnt lgkmcnt(6)
	v_wmma_f32_16x16x16_bf16 v[65:72], v[41:48], v[91:98], v[65:72]
	ds_load_b128 v[45:48], v80 offset:10256
	ds_load_b128 v[41:44], v80 offset:10240
	s_waitcnt lgkmcnt(6)
	;; [unrolled: 4-line block ×4, first 2 shown]
	v_wmma_f32_16x16x16_bf16 v[65:72], v[1:8], v[49:56], v[65:72]
	s_waitcnt lgkmcnt(4)
	s_delay_alu instid0(VALU_DEP_1) | instskip(SKIP_1) | instid1(VALU_DEP_1)
	v_wmma_f32_16x16x16_bf16 v[65:72], v[9:16], v[41:48], v[65:72]
	s_waitcnt lgkmcnt(2)
	v_wmma_f32_16x16x16_bf16 v[65:72], v[17:24], v[33:40], v[65:72]
	s_waitcnt lgkmcnt(0)
	s_delay_alu instid0(VALU_DEP_1) | instskip(NEXT) | instid1(VALU_DEP_1)
	v_wmma_f32_16x16x16_bf16 v[65:72], v[57:64], v[25:32], v[65:72]
	v_and_b32_e32 v1, 0x7f800000, v65
	s_delay_alu instid0(VALU_DEP_1) | instskip(SKIP_1) | instid1(SALU_CYCLE_1)
	v_cmp_ne_u32_e32 vcc_lo, 0x7f800000, v1
                                        ; implicit-def: $vgpr1
	s_and_saveexec_b32 s2, vcc_lo
	s_xor_b32 s2, exec_lo, s2
; %bb.79:
	v_bfe_u32 v1, v65, 16, 1
	s_delay_alu instid0(VALU_DEP_1)
	v_add3_u32 v1, v65, v1, 0x7fff
; %bb.80:
	s_and_not1_saveexec_b32 s2, s2
; %bb.81:
	v_and_b32_e32 v1, 0xffff, v65
	v_or_b32_e32 v2, 0x10000, v65
	s_delay_alu instid0(VALU_DEP_2) | instskip(NEXT) | instid1(VALU_DEP_2)
	v_cmp_eq_u32_e32 vcc_lo, 0, v1
	v_cndmask_b32_e32 v1, v2, v65, vcc_lo
; %bb.82:
	s_or_b32 exec_lo, exec_lo, s2
	v_and_b32_e32 v2, 0x7f800000, v66
	s_delay_alu instid0(VALU_DEP_1) | instskip(SKIP_1) | instid1(SALU_CYCLE_1)
	v_cmp_ne_u32_e32 vcc_lo, 0x7f800000, v2
                                        ; implicit-def: $vgpr2
	s_and_saveexec_b32 s2, vcc_lo
	s_xor_b32 s2, exec_lo, s2
; %bb.83:
	v_bfe_u32 v2, v66, 16, 1
	s_delay_alu instid0(VALU_DEP_1)
	v_add3_u32 v2, v66, v2, 0x7fff
; %bb.84:
	s_and_not1_saveexec_b32 s2, s2
; %bb.85:
	v_and_b32_e32 v2, 0xffff, v66
	v_or_b32_e32 v3, 0x10000, v66
	s_delay_alu instid0(VALU_DEP_2) | instskip(NEXT) | instid1(VALU_DEP_2)
	v_cmp_eq_u32_e32 vcc_lo, 0, v2
	v_cndmask_b32_e32 v2, v3, v66, vcc_lo
; %bb.86:
	s_or_b32 exec_lo, exec_lo, s2
	v_and_b32_e32 v3, 0x7f800000, v67
	s_delay_alu instid0(VALU_DEP_1) | instskip(SKIP_1) | instid1(SALU_CYCLE_1)
	v_cmp_ne_u32_e32 vcc_lo, 0x7f800000, v3
                                        ; implicit-def: $vgpr3
	s_and_saveexec_b32 s2, vcc_lo
	s_xor_b32 s2, exec_lo, s2
; %bb.87:
	v_bfe_u32 v3, v67, 16, 1
	s_delay_alu instid0(VALU_DEP_1)
	v_add3_u32 v3, v67, v3, 0x7fff
; %bb.88:
	s_and_not1_saveexec_b32 s2, s2
; %bb.89:
	v_and_b32_e32 v3, 0xffff, v67
	v_or_b32_e32 v4, 0x10000, v67
	s_delay_alu instid0(VALU_DEP_2) | instskip(NEXT) | instid1(VALU_DEP_2)
	v_cmp_eq_u32_e32 vcc_lo, 0, v3
	v_cndmask_b32_e32 v3, v4, v67, vcc_lo
; %bb.90:
	s_or_b32 exec_lo, exec_lo, s2
	v_and_b32_e32 v4, 0x7f800000, v68
	s_delay_alu instid0(VALU_DEP_1) | instskip(SKIP_1) | instid1(SALU_CYCLE_1)
	v_cmp_ne_u32_e32 vcc_lo, 0x7f800000, v4
                                        ; implicit-def: $vgpr4
	s_and_saveexec_b32 s2, vcc_lo
	s_xor_b32 s2, exec_lo, s2
; %bb.91:
	v_bfe_u32 v4, v68, 16, 1
	s_delay_alu instid0(VALU_DEP_1)
	v_add3_u32 v4, v68, v4, 0x7fff
; %bb.92:
	s_and_not1_saveexec_b32 s2, s2
; %bb.93:
	v_and_b32_e32 v4, 0xffff, v68
	v_or_b32_e32 v5, 0x10000, v68
	s_delay_alu instid0(VALU_DEP_2) | instskip(NEXT) | instid1(VALU_DEP_2)
	v_cmp_eq_u32_e32 vcc_lo, 0, v4
	v_cndmask_b32_e32 v4, v5, v68, vcc_lo
; %bb.94:
	s_or_b32 exec_lo, exec_lo, s2
	v_and_b32_e32 v5, 0x7f800000, v69
	s_delay_alu instid0(VALU_DEP_1) | instskip(SKIP_1) | instid1(SALU_CYCLE_1)
	v_cmp_ne_u32_e32 vcc_lo, 0x7f800000, v5
                                        ; implicit-def: $vgpr5
	s_and_saveexec_b32 s2, vcc_lo
	s_xor_b32 s2, exec_lo, s2
; %bb.95:
	v_bfe_u32 v5, v69, 16, 1
	s_delay_alu instid0(VALU_DEP_1)
	v_add3_u32 v5, v69, v5, 0x7fff
; %bb.96:
	s_and_not1_saveexec_b32 s2, s2
; %bb.97:
	v_and_b32_e32 v5, 0xffff, v69
	v_or_b32_e32 v6, 0x10000, v69
	s_delay_alu instid0(VALU_DEP_2) | instskip(NEXT) | instid1(VALU_DEP_2)
	v_cmp_eq_u32_e32 vcc_lo, 0, v5
	v_cndmask_b32_e32 v5, v6, v69, vcc_lo
; %bb.98:
	s_or_b32 exec_lo, exec_lo, s2
	v_and_b32_e32 v6, 0x7f800000, v70
	s_delay_alu instid0(VALU_DEP_1) | instskip(SKIP_1) | instid1(SALU_CYCLE_1)
	v_cmp_ne_u32_e32 vcc_lo, 0x7f800000, v6
                                        ; implicit-def: $vgpr6
	s_and_saveexec_b32 s2, vcc_lo
	s_xor_b32 s2, exec_lo, s2
; %bb.99:
	v_bfe_u32 v6, v70, 16, 1
	s_delay_alu instid0(VALU_DEP_1)
	v_add3_u32 v6, v70, v6, 0x7fff
; %bb.100:
	s_and_not1_saveexec_b32 s2, s2
; %bb.101:
	v_and_b32_e32 v6, 0xffff, v70
	v_or_b32_e32 v7, 0x10000, v70
	s_delay_alu instid0(VALU_DEP_2) | instskip(NEXT) | instid1(VALU_DEP_2)
	v_cmp_eq_u32_e32 vcc_lo, 0, v6
	v_cndmask_b32_e32 v6, v7, v70, vcc_lo
; %bb.102:
	s_or_b32 exec_lo, exec_lo, s2
	v_and_b32_e32 v7, 0x7f800000, v71
	s_delay_alu instid0(VALU_DEP_1) | instskip(SKIP_1) | instid1(SALU_CYCLE_1)
	v_cmp_ne_u32_e32 vcc_lo, 0x7f800000, v7
                                        ; implicit-def: $vgpr7
	s_and_saveexec_b32 s2, vcc_lo
	s_xor_b32 s2, exec_lo, s2
; %bb.103:
	v_bfe_u32 v7, v71, 16, 1
	s_delay_alu instid0(VALU_DEP_1)
	v_add3_u32 v7, v71, v7, 0x7fff
; %bb.104:
	s_and_not1_saveexec_b32 s2, s2
; %bb.105:
	v_and_b32_e32 v7, 0xffff, v71
	v_or_b32_e32 v8, 0x10000, v71
	s_delay_alu instid0(VALU_DEP_2) | instskip(NEXT) | instid1(VALU_DEP_2)
	v_cmp_eq_u32_e32 vcc_lo, 0, v7
	v_cndmask_b32_e32 v7, v8, v71, vcc_lo
; %bb.106:
	s_or_b32 exec_lo, exec_lo, s2
	v_and_b32_e32 v8, 0x7f800000, v72
	s_delay_alu instid0(VALU_DEP_1) | instskip(SKIP_1) | instid1(SALU_CYCLE_1)
	v_cmp_ne_u32_e32 vcc_lo, 0x7f800000, v8
                                        ; implicit-def: $vgpr8
	s_and_saveexec_b32 s2, vcc_lo
	s_xor_b32 s2, exec_lo, s2
; %bb.107:
	v_bfe_u32 v8, v72, 16, 1
	s_delay_alu instid0(VALU_DEP_1)
	v_add3_u32 v8, v72, v8, 0x7fff
                                        ; implicit-def: $vgpr65_vgpr66_vgpr67_vgpr68_vgpr69_vgpr70_vgpr71_vgpr72
; %bb.108:
	s_and_not1_saveexec_b32 s2, s2
; %bb.109:
	v_and_b32_e32 v8, 0xffff, v72
	v_or_b32_e32 v9, 0x10000, v72
	s_delay_alu instid0(VALU_DEP_2) | instskip(NEXT) | instid1(VALU_DEP_2)
	v_cmp_eq_u32_e32 vcc_lo, 0, v8
	v_cndmask_b32_e32 v8, v9, v72, vcc_lo
; %bb.110:
	s_or_b32 exec_lo, exec_lo, s2
	s_delay_alu instid0(VALU_DEP_1)
	v_perm_b32 v7, v8, v7, 0x7060302
	v_perm_b32 v6, v6, v5, 0x7060302
	;; [unrolled: 1-line block ×4, first 2 shown]
	s_barrier
	buffer_gl0_inv
	v_cmp_eq_u32_e32 vcc_lo, 1, v78
	ds_store_b128 v76, v[4:7]
	s_waitcnt lgkmcnt(0)
	s_barrier
	buffer_gl0_inv
	ds_load_b128 v[1:4], v82
	ds_load_b128 v[5:8], v82 offset:16
	v_cmp_eq_u32_e64 s2, 1, v79
	v_cmp_eq_u32_e64 s3, 2, v78
	;; [unrolled: 1-line block ×5, first 2 shown]
	s_waitcnt lgkmcnt(1)
	v_lshrrev_b32_e32 v9, 16, v1
	s_waitcnt lgkmcnt(0)
	v_lshrrev_b32_e32 v13, 16, v5
	v_lshrrev_b32_e32 v10, 16, v2
	;; [unrolled: 1-line block ×4, first 2 shown]
	v_cndmask_b32_e64 v19, v1, v9, s2
	v_cndmask_b32_e32 v18, v5, v13, vcc_lo
	v_cndmask_b32_e64 v20, v5, v13, s2
	v_cndmask_b32_e32 v17, v1, v9, vcc_lo
	v_cmp_eq_u32_e32 vcc_lo, 2, v79
	v_lshrrev_b32_e32 v15, 16, v7
	v_cmp_eq_u32_e64 s2, 1, v77
	v_lshrrev_b32_e32 v12, 16, v4
	v_lshrrev_b32_e32 v16, 16, v8
	v_cndmask_b32_e32 v20, v20, v6, vcc_lo
	v_cndmask_b32_e64 v17, v17, v2, s3
	v_cndmask_b32_e32 v19, v19, v2, vcc_lo
	v_cndmask_b32_e64 v18, v18, v6, s3
	v_cmp_eq_u32_e32 vcc_lo, 4, v78
	v_cmp_eq_u32_e64 s3, 3, v79
	v_cndmask_b32_e64 v17, v17, v10, s4
	v_cndmask_b32_e64 v21, v1, v9, s2
	v_cndmask_b32_e64 v18, v18, v14, s4
	v_cndmask_b32_e64 v22, v5, v13, s2
	v_cndmask_b32_e64 v19, v19, v10, s3
	v_cndmask_b32_e32 v17, v17, v3, vcc_lo
	v_cndmask_b32_e64 v20, v20, v14, s3
	v_cndmask_b32_e32 v18, v18, v7, vcc_lo
	v_cmp_eq_u32_e32 vcc_lo, 4, v79
	v_cmp_eq_u32_e64 s3, 5, v79
	v_cmp_eq_u32_e64 s2, 2, v81
	v_cndmask_b32_e64 v21, v21, v2, s6
	v_cmp_eq_u32_e64 s4, 5, v78
	v_cndmask_b32_e32 v19, v19, v3, vcc_lo
	v_cndmask_b32_e32 v20, v20, v7, vcc_lo
	v_cmp_eq_u32_e32 vcc_lo, 6, v79
	s_delay_alu instid0(VALU_DEP_4) | instskip(NEXT) | instid1(VALU_DEP_4)
	v_cndmask_b32_e64 v17, v17, v11, s4
	v_cndmask_b32_e64 v19, v19, v11, s3
	s_delay_alu instid0(VALU_DEP_4) | instskip(SKIP_1) | instid1(VALU_DEP_3)
	v_cndmask_b32_e64 v20, v20, v15, s3
	v_cmp_eq_u32_e64 s3, 1, v81
	v_cndmask_b32_e32 v19, v19, v4, vcc_lo
	v_cndmask_b32_e64 v18, v18, v15, s4
	s_delay_alu instid0(VALU_DEP_3)
	v_cndmask_b32_e64 v1, v1, v9, s3
	v_cndmask_b32_e64 v5, v5, v13, s3
	v_cmp_eq_u32_e64 s3, 3, v77
	v_cndmask_b32_e64 v13, v22, v6, s6
	v_cmp_eq_u32_e64 s6, 3, v81
	v_cndmask_b32_e64 v1, v1, v2, s2
	v_cndmask_b32_e64 v2, v5, v6, s2
	;; [unrolled: 1-line block ×3, first 2 shown]
	v_cmp_eq_u32_e64 s2, 4, v77
	v_cndmask_b32_e64 v6, v13, v14, s3
	v_cndmask_b32_e64 v1, v1, v10, s6
	v_cmp_eq_u32_e64 s3, 4, v81
	v_cndmask_b32_e64 v2, v2, v14, s6
	v_cndmask_b32_e64 v5, v9, v3, s2
	;; [unrolled: 3-line block ×3, first 2 shown]
	v_cndmask_b32_e64 v2, v2, v7, s3
	v_cmp_eq_u32_e64 s2, 5, v81
	v_cmp_eq_u32_e64 s4, 6, v78
	v_cndmask_b32_e64 v5, v5, v11, s6
	v_cmp_eq_u32_e64 s3, 6, v77
	v_cndmask_b32_e64 v3, v6, v15, s6
	v_cndmask_b32_e64 v1, v1, v11, s2
	v_cmp_eq_u32_e64 s6, 6, v81
	v_cndmask_b32_e64 v2, v2, v15, s2
	v_cndmask_b32_e64 v17, v17, v4, s4
	v_cndmask_b32_e64 v18, v18, v8, s4
	v_cmp_eq_u32_e64 s4, 7, v78
	v_cndmask_b32_e64 v5, v5, v4, s3
	;; [unrolled: 4-line block ×3, first 2 shown]
	v_cmp_eq_u32_e64 s3, 7, v77
	v_cndmask_b32_e32 v4, v20, v8, vcc_lo
	v_cndmask_b32_e64 v17, v17, v12, s4
	v_cndmask_b32_e64 v19, v19, v12, s5
	;; [unrolled: 1-line block ×8, first 2 shown]
	s_mov_b32 s2, exec_lo
	v_perm_b32 v4, v2, v1, 0x5040100
	v_perm_b32 v3, v3, v5, 0x5040100
	;; [unrolled: 1-line block ×4, first 2 shown]
	ds_store_b128 v76, v[1:4]
	s_waitcnt lgkmcnt(0)
	s_barrier
	buffer_gl0_inv
	v_cmpx_gt_u32_e32 32, v0
	s_cbranch_execz .LBB1595_2
; %bb.111:
	s_load_b64 s[0:1], s[0:1], 0x68
	s_lshl_b32 s4, s34, 7
	v_or_b32_e32 v2, s29, v74
	s_mul_i32 s2, s4, s30
	v_lshlrev_b32_e32 v0, 10, v0
	s_mul_i32 s2, s2, s7
	v_lshlrev_b32_e32 v1, 4, v75
	s_ashr_i32 s3, s2, 31
	v_mul_lo_u32 v20, v2, s4
	s_lshl_b64 s[2:3], s[2:3], 1
	v_lshlrev_b32_e32 v3, 6, v74
	v_and_b32_e32 v0, 0x3800, v0
	s_delay_alu instid0(VALU_DEP_1) | instskip(NEXT) | instid1(VALU_DEP_4)
	v_or3_b32 v16, v0, v1, v3
	v_ashrrev_i32_e32 v21, 31, v20
	ds_load_b128 v[0:3], v16
	ds_load_b128 v[4:7], v16 offset:128
	s_waitcnt lgkmcnt(0)
	s_add_u32 s2, s0, s2
	s_addc_u32 s3, s1, s3
	s_lshl_b32 s0, s14, 7
	ds_load_b128 v[8:11], v16 offset:256
	ds_load_b128 v[12:15], v16 offset:384
	;; [unrolled: 1-line block ×3, first 2 shown]
	s_ashr_i32 s1, s0, 31
	s_delay_alu instid0(SALU_CYCLE_1) | instskip(NEXT) | instid1(SALU_CYCLE_1)
	s_lshl_b64 s[0:1], s[0:1], 1
	s_add_u32 s0, s2, s0
	s_addc_u32 s1, s3, s1
	s_lshl_b32 s2, s34, 8
	v_add_co_u32 v30, s0, s0, v73
	v_add_nc_u32_e32 v22, s2, v20
	v_lshlrev_b64 v[20:21], 1, v[20:21]
	v_add_co_ci_u32_e64 v31, null, s1, 0, s0
	s_delay_alu instid0(VALU_DEP_3) | instskip(SKIP_1) | instid1(VALU_DEP_4)
	v_add_nc_u32_e32 v24, s2, v22
	v_ashrrev_i32_e32 v23, 31, v22
	v_add_co_u32 v20, vcc_lo, v30, v20
	s_delay_alu instid0(VALU_DEP_4) | instskip(NEXT) | instid1(VALU_DEP_4)
	v_add_co_ci_u32_e32 v21, vcc_lo, v31, v21, vcc_lo
	v_add_nc_u32_e32 v26, s2, v24
	v_ashrrev_i32_e32 v25, 31, v24
	v_lshlrev_b64 v[22:23], 1, v[22:23]
	s_delay_alu instid0(VALU_DEP_3) | instskip(SKIP_1) | instid1(VALU_DEP_4)
	v_add_nc_u32_e32 v28, s2, v26
	v_ashrrev_i32_e32 v27, 31, v26
	v_lshlrev_b64 v[24:25], 1, v[24:25]
	s_delay_alu instid0(VALU_DEP_4) | instskip(NEXT) | instid1(VALU_DEP_4)
	v_add_co_u32 v22, vcc_lo, v30, v22
	v_ashrrev_i32_e32 v29, 31, v28
	s_delay_alu instid0(VALU_DEP_4) | instskip(SKIP_2) | instid1(VALU_DEP_4)
	v_lshlrev_b64 v[26:27], 1, v[26:27]
	v_add_co_ci_u32_e32 v23, vcc_lo, v31, v23, vcc_lo
	v_add_co_u32 v24, vcc_lo, v30, v24
	v_lshlrev_b64 v[28:29], 1, v[28:29]
	v_add_co_ci_u32_e32 v25, vcc_lo, v31, v25, vcc_lo
	v_add_co_u32 v26, vcc_lo, v30, v26
	v_add_co_ci_u32_e32 v27, vcc_lo, v31, v27, vcc_lo
	s_delay_alu instid0(VALU_DEP_4)
	v_add_co_u32 v28, vcc_lo, v30, v28
	v_add_co_ci_u32_e32 v29, vcc_lo, v31, v29, vcc_lo
	s_clause 0x1
	global_store_b128 v[20:21], v[0:3], off
	global_store_b128 v[22:23], v[4:7], off
	s_waitcnt lgkmcnt(2)
	global_store_b128 v[24:25], v[8:11], off
	s_waitcnt lgkmcnt(1)
	;; [unrolled: 2-line block ×3, first 2 shown]
	global_store_b128 v[28:29], v[16:19], off
	s_nop 0
	s_sendmsg sendmsg(MSG_DEALLOC_VGPRS)
	s_endpgm
	.section	.rodata,"a",@progbits
	.p2align	6, 0x0
	.amdhsa_kernel _Z39paged_attention_ll4mi_QKV_mfma16_kernelI14__hip_bfloat16hLN4vllm18Fp8KVCacheDataTypeE1EhLi32ELi128ELi256ELb1ELi10EL8MFMAType1EEvPKT_PKT0_S9_ifPKiSB_SB_iPKfiiiPfSE_PS4_PT2_iSD_SD_
		.amdhsa_group_segment_fixed_size 17472
		.amdhsa_private_segment_fixed_size 0
		.amdhsa_kernarg_size 400
		.amdhsa_user_sgpr_count 13
		.amdhsa_user_sgpr_dispatch_ptr 0
		.amdhsa_user_sgpr_queue_ptr 0
		.amdhsa_user_sgpr_kernarg_segment_ptr 1
		.amdhsa_user_sgpr_dispatch_id 0
		.amdhsa_user_sgpr_private_segment_size 0
		.amdhsa_wavefront_size32 1
		.amdhsa_uses_dynamic_stack 0
		.amdhsa_enable_private_segment 0
		.amdhsa_system_sgpr_workgroup_id_x 1
		.amdhsa_system_sgpr_workgroup_id_y 1
		.amdhsa_system_sgpr_workgroup_id_z 1
		.amdhsa_system_sgpr_workgroup_info 0
		.amdhsa_system_vgpr_workitem_id 0
		.amdhsa_next_free_vgpr 140
		.amdhsa_next_free_sgpr 36
		.amdhsa_reserve_vcc 1
		.amdhsa_float_round_mode_32 0
		.amdhsa_float_round_mode_16_64 0
		.amdhsa_float_denorm_mode_32 3
		.amdhsa_float_denorm_mode_16_64 3
		.amdhsa_dx10_clamp 1
		.amdhsa_ieee_mode 1
		.amdhsa_fp16_overflow 0
		.amdhsa_workgroup_processor_mode 1
		.amdhsa_memory_ordered 1
		.amdhsa_forward_progress 0
		.amdhsa_shared_vgpr_count 0
		.amdhsa_exception_fp_ieee_invalid_op 0
		.amdhsa_exception_fp_denorm_src 0
		.amdhsa_exception_fp_ieee_div_zero 0
		.amdhsa_exception_fp_ieee_overflow 0
		.amdhsa_exception_fp_ieee_underflow 0
		.amdhsa_exception_fp_ieee_inexact 0
		.amdhsa_exception_int_div_zero 0
	.end_amdhsa_kernel
	.section	.text._Z39paged_attention_ll4mi_QKV_mfma16_kernelI14__hip_bfloat16hLN4vllm18Fp8KVCacheDataTypeE1EhLi32ELi128ELi256ELb1ELi10EL8MFMAType1EEvPKT_PKT0_S9_ifPKiSB_SB_iPKfiiiPfSE_PS4_PT2_iSD_SD_,"axG",@progbits,_Z39paged_attention_ll4mi_QKV_mfma16_kernelI14__hip_bfloat16hLN4vllm18Fp8KVCacheDataTypeE1EhLi32ELi128ELi256ELb1ELi10EL8MFMAType1EEvPKT_PKT0_S9_ifPKiSB_SB_iPKfiiiPfSE_PS4_PT2_iSD_SD_,comdat
.Lfunc_end1595:
	.size	_Z39paged_attention_ll4mi_QKV_mfma16_kernelI14__hip_bfloat16hLN4vllm18Fp8KVCacheDataTypeE1EhLi32ELi128ELi256ELb1ELi10EL8MFMAType1EEvPKT_PKT0_S9_ifPKiSB_SB_iPKfiiiPfSE_PS4_PT2_iSD_SD_, .Lfunc_end1595-_Z39paged_attention_ll4mi_QKV_mfma16_kernelI14__hip_bfloat16hLN4vllm18Fp8KVCacheDataTypeE1EhLi32ELi128ELi256ELb1ELi10EL8MFMAType1EEvPKT_PKT0_S9_ifPKiSB_SB_iPKfiiiPfSE_PS4_PT2_iSD_SD_
                                        ; -- End function
	.section	.AMDGPU.csdata,"",@progbits
; Kernel info:
; codeLenInByte = 8952
; NumSgprs: 38
; NumVgprs: 140
; ScratchSize: 0
; MemoryBound: 0
; FloatMode: 240
; IeeeMode: 1
; LDSByteSize: 17472 bytes/workgroup (compile time only)
; SGPRBlocks: 4
; VGPRBlocks: 17
; NumSGPRsForWavesPerEU: 38
; NumVGPRsForWavesPerEU: 140
; Occupancy: 10
; WaveLimiterHint : 1
; COMPUTE_PGM_RSRC2:SCRATCH_EN: 0
; COMPUTE_PGM_RSRC2:USER_SGPR: 13
; COMPUTE_PGM_RSRC2:TRAP_HANDLER: 0
; COMPUTE_PGM_RSRC2:TGID_X_EN: 1
; COMPUTE_PGM_RSRC2:TGID_Y_EN: 1
; COMPUTE_PGM_RSRC2:TGID_Z_EN: 1
; COMPUTE_PGM_RSRC2:TIDIG_COMP_CNT: 0
	.section	.text._Z39paged_attention_ll4mi_QKV_mfma16_kernelI14__hip_bfloat16hLN4vllm18Fp8KVCacheDataTypeE1EhLi32ELi128ELi256ELb1ELi11EL8MFMAType1EEvPKT_PKT0_S9_ifPKiSB_SB_iPKfiiiPfSE_PS4_PT2_iSD_SD_,"axG",@progbits,_Z39paged_attention_ll4mi_QKV_mfma16_kernelI14__hip_bfloat16hLN4vllm18Fp8KVCacheDataTypeE1EhLi32ELi128ELi256ELb1ELi11EL8MFMAType1EEvPKT_PKT0_S9_ifPKiSB_SB_iPKfiiiPfSE_PS4_PT2_iSD_SD_,comdat
	.protected	_Z39paged_attention_ll4mi_QKV_mfma16_kernelI14__hip_bfloat16hLN4vllm18Fp8KVCacheDataTypeE1EhLi32ELi128ELi256ELb1ELi11EL8MFMAType1EEvPKT_PKT0_S9_ifPKiSB_SB_iPKfiiiPfSE_PS4_PT2_iSD_SD_ ; -- Begin function _Z39paged_attention_ll4mi_QKV_mfma16_kernelI14__hip_bfloat16hLN4vllm18Fp8KVCacheDataTypeE1EhLi32ELi128ELi256ELb1ELi11EL8MFMAType1EEvPKT_PKT0_S9_ifPKiSB_SB_iPKfiiiPfSE_PS4_PT2_iSD_SD_
	.globl	_Z39paged_attention_ll4mi_QKV_mfma16_kernelI14__hip_bfloat16hLN4vllm18Fp8KVCacheDataTypeE1EhLi32ELi128ELi256ELb1ELi11EL8MFMAType1EEvPKT_PKT0_S9_ifPKiSB_SB_iPKfiiiPfSE_PS4_PT2_iSD_SD_
	.p2align	8
	.type	_Z39paged_attention_ll4mi_QKV_mfma16_kernelI14__hip_bfloat16hLN4vllm18Fp8KVCacheDataTypeE1EhLi32ELi128ELi256ELb1ELi11EL8MFMAType1EEvPKT_PKT0_S9_ifPKiSB_SB_iPKfiiiPfSE_PS4_PT2_iSD_SD_,@function
_Z39paged_attention_ll4mi_QKV_mfma16_kernelI14__hip_bfloat16hLN4vllm18Fp8KVCacheDataTypeE1EhLi32ELi128ELi256ELb1ELi11EL8MFMAType1EEvPKT_PKT0_S9_ifPKiSB_SB_iPKfiiiPfSE_PS4_PT2_iSD_SD_: ; @_Z39paged_attention_ll4mi_QKV_mfma16_kernelI14__hip_bfloat16hLN4vllm18Fp8KVCacheDataTypeE1EhLi32ELi128ELi256ELb1ELi11EL8MFMAType1EEvPKT_PKT0_S9_ifPKiSB_SB_iPKfiiiPfSE_PS4_PT2_iSD_SD_
; %bb.0:
	s_load_b64 s[4:5], s[0:1], 0x30
	s_mov_b32 s30, s13
	s_waitcnt lgkmcnt(0)
	s_cmp_lg_u64 s[4:5], 0
	s_cselect_b32 s13, -1, 0
	s_ashr_i32 s31, s30, 31
	s_cmp_eq_u64 s[4:5], 0
	s_cbranch_scc1 .LBB1596_3
; %bb.1:
	s_lshl_b64 s[2:3], s[30:31], 2
	s_delay_alu instid0(SALU_CYCLE_1) | instskip(SKIP_4) | instid1(SALU_CYCLE_1)
	s_add_u32 s2, s4, s2
	s_addc_u32 s3, s5, s3
	s_load_b64 s[2:3], s[2:3], 0x0
	s_waitcnt lgkmcnt(0)
	s_sub_i32 s2, s3, s2
	s_cmp_eq_u32 s2, 1
	s_cselect_b32 s2, -1, 0
	s_delay_alu instid0(SALU_CYCLE_1)
	s_and_not1_b32 vcc_lo, exec_lo, s2
	s_cbranch_vccz .LBB1596_4
.LBB1596_2:
	s_nop 0
	s_sendmsg sendmsg(MSG_DEALLOC_VGPRS)
	s_endpgm
.LBB1596_3:
.LBB1596_4:
	s_load_b64 s[2:3], s[0:1], 0x28
	s_lshl_b64 s[6:7], s[30:31], 2
	s_waitcnt lgkmcnt(0)
	s_add_u32 s2, s2, s6
	s_addc_u32 s3, s3, s7
	s_lshl_b32 s12, s14, 8
	s_load_b32 s17, s[2:3], 0x0
	s_waitcnt lgkmcnt(0)
	s_cmp_ge_i32 s12, s17
	s_cbranch_scc1 .LBB1596_2
; %bb.5:
	s_clause 0x1
	s_load_b128 s[8:11], s[0:1], 0x8
	s_load_b64 s[2:3], s[0:1], 0x20
	s_and_not1_b32 vcc_lo, exec_lo, s13
	s_cbranch_vccnz .LBB1596_7
; %bb.6:
	s_add_u32 s4, s4, s6
	s_addc_u32 s5, s5, s7
	s_load_b32 s13, s[4:5], 0x0
	s_branch .LBB1596_8
.LBB1596_7:
	s_mov_b32 s13, s30
.LBB1596_8:
	s_load_b128 s[4:7], s[0:1], 0x48
	v_and_b32_e32 v65, 15, v0
	v_lshrrev_b32_e32 v66, 5, v0
	v_bfe_u32 v74, v0, 4, 1
	v_and_b32_e32 v67, 31, v0
	v_and_b32_e32 v75, 1, v0
	v_lshlrev_b32_e32 v2, 3, v65
	s_mul_i32 s31, s15, 11
	v_lshl_or_b32 v1, v66, 1, v74
	s_waitcnt lgkmcnt(0)
	s_mov_b32 s7, exec_lo
	v_lshlrev_b32_e32 v73, 1, v2
	s_delay_alu instid0(VALU_DEP_2)
	v_cmpx_gt_u32_e32 11, v1
	s_cbranch_execz .LBB1596_10
; %bb.9:
	s_load_b64 s[18:19], s[0:1], 0x0
	v_add_lshl_u32 v2, v1, s31, 7
	s_mul_hi_i32 s21, s13, s4
	s_mul_i32 s20, s13, s4
	v_lshlrev_b32_e32 v6, 10, v65
	s_lshl_b64 s[20:21], s[20:21], 1
	v_ashrrev_i32_e32 v3, 31, v2
	v_lshlrev_b32_e32 v1, 6, v1
	v_lshlrev_b32_e32 v7, 10, v75
	v_and_b32_e32 v6, 0x3800, v6
	s_delay_alu instid0(VALU_DEP_4) | instskip(NEXT) | instid1(VALU_DEP_2)
	v_lshlrev_b64 v[2:3], 1, v[2:3]
	v_or3_b32 v1, v6, v7, v1
	s_waitcnt lgkmcnt(0)
	s_add_u32 s4, s18, s20
	s_addc_u32 s13, s19, s21
	s_delay_alu instid0(VALU_DEP_2) | instskip(SKIP_1) | instid1(VALU_DEP_2)
	v_add_co_u32 v2, vcc_lo, s4, v2
	v_add_co_ci_u32_e32 v3, vcc_lo, s13, v3, vcc_lo
	v_add_co_u32 v2, vcc_lo, v2, v73
	s_delay_alu instid0(VALU_DEP_2)
	v_add_co_ci_u32_e32 v3, vcc_lo, 0, v3, vcc_lo
	global_load_b128 v[2:5], v[2:3], off
	s_waitcnt vmcnt(0)
	ds_store_b128 v1, v[2:5]
.LBB1596_10:
	s_or_b32 exec_lo, exec_lo, s7
	v_and_b32_e32 v1, 0xef, v0
	s_add_i32 s4, s17, 31
	s_clause 0x1
	s_load_b32 s7, s[0:1], 0x38
	s_load_b32 s18, s[0:1], 0x1c
	s_ashr_i32 s13, s4, 31
	v_add_nc_u32_e32 v1, s12, v1
	s_lshr_b32 s13, s13, 27
	s_waitcnt lgkmcnt(0)
	s_add_i32 s4, s4, s13
	s_barrier
	v_ashrrev_i32_e32 v2, 31, v1
	v_or_b32_e32 v3, 16, v1
	s_ashr_i32 s4, s4, 5
	v_cmp_gt_i32_e32 vcc_lo, s17, v1
	s_add_i32 s4, s4, -1
	v_lshrrev_b32_e32 v2, 27, v2
	buffer_gl0_inv
	s_mul_i32 s15, s15, s6
	v_add_nc_u32_e32 v4, v1, v2
	s_mul_i32 s20, s30, s7
	s_delay_alu instid0(SALU_CYCLE_1) | instskip(NEXT) | instid1(VALU_DEP_1)
	s_ashr_i32 s21, s20, 31
	v_ashrrev_i32_e32 v4, 5, v4
	v_add_nc_u32_e32 v2, v3, v2
	s_lshl_b64 s[20:21], s[20:21], 2
	s_delay_alu instid0(SALU_CYCLE_1) | instskip(NEXT) | instid1(VALU_DEP_2)
	s_add_u32 s13, s2, s20
	v_cndmask_b32_e32 v1, s4, v4, vcc_lo
	s_delay_alu instid0(VALU_DEP_2)
	v_ashrrev_i32_e32 v2, 5, v2
	v_cmp_gt_i32_e32 vcc_lo, s17, v3
	s_addc_u32 s16, s3, s21
	s_ashr_i32 s19, s15, 31
	s_add_u32 s2, s8, s15
	s_addc_u32 s3, s9, s19
	v_cndmask_b32_e32 v3, s4, v2, vcc_lo
	v_ashrrev_i32_e32 v2, 31, v1
	s_lshl_b32 s6, s14, 3
	s_delay_alu instid0(SALU_CYCLE_1) | instskip(NEXT) | instid1(VALU_DEP_2)
	s_ashr_i32 s7, s6, 31
	v_ashrrev_i32_e32 v4, 31, v3
	s_delay_alu instid0(VALU_DEP_2) | instskip(SKIP_1) | instid1(SALU_CYCLE_1)
	v_lshlrev_b64 v[1:2], 2, v[1:2]
	s_lshl_b64 s[6:7], s[6:7], 2
	s_add_u32 s6, s13, s6
	s_delay_alu instid0(VALU_DEP_2) | instskip(SKIP_1) | instid1(VALU_DEP_2)
	v_lshlrev_b64 v[3:4], 2, v[3:4]
	s_addc_u32 s7, s16, s7
	v_add_co_u32 v1, vcc_lo, s13, v1
	v_add_co_ci_u32_e32 v2, vcc_lo, s16, v2, vcc_lo
	s_delay_alu instid0(VALU_DEP_3) | instskip(NEXT) | instid1(VALU_DEP_4)
	v_add_co_u32 v3, vcc_lo, s13, v3
	v_add_co_ci_u32_e32 v4, vcc_lo, s16, v4, vcc_lo
	s_clause 0x1
	global_load_b32 v5, v[1:2], off
	global_load_b32 v6, v[3:4], off
	s_or_b32 s8, s12, 32
	s_delay_alu instid0(SALU_CYCLE_1) | instskip(SKIP_2) | instid1(SALU_CYCLE_1)
	s_ashr_i32 s9, s8, 5
	s_cmp_lt_i32 s8, s17
	s_cselect_b32 s8, s9, s4
	s_ashr_i32 s9, s8, 31
	s_delay_alu instid0(SALU_CYCLE_1) | instskip(NEXT) | instid1(SALU_CYCLE_1)
	s_lshl_b64 s[8:9], s[8:9], 2
	s_add_u32 s8, s13, s8
	s_addc_u32 s9, s16, s9
	s_or_b32 s20, s12, 64
	s_delay_alu instid0(SALU_CYCLE_1) | instskip(SKIP_2) | instid1(SALU_CYCLE_1)
	s_ashr_i32 s21, s20, 5
	s_cmp_lt_i32 s20, s17
	s_cselect_b32 s20, s21, s4
	s_ashr_i32 s21, s20, 31
	s_delay_alu instid0(SALU_CYCLE_1) | instskip(NEXT) | instid1(SALU_CYCLE_1)
	s_lshl_b64 s[20:21], s[20:21], 2
	s_add_u32 s20, s13, s20
	s_addc_u32 s21, s16, s21
	;; [unrolled: 10-line block ×5, first 2 shown]
	s_clause 0x5
	s_load_b32 s28, s[6:7], 0x0
	s_load_b32 s8, s[8:9], 0x0
	;; [unrolled: 1-line block ×6, first 2 shown]
	s_mov_b32 s20, 0
	s_delay_alu instid0(SALU_CYCLE_1)
	s_mov_b32 s21, s20
	s_mov_b32 s22, s20
	;; [unrolled: 1-line block ×7, first 2 shown]
	s_delay_alu instid0(SALU_CYCLE_1)
	v_dual_mov_b32 v107, s27 :: v_dual_mov_b32 v106, s26
	v_dual_mov_b32 v104, s24 :: v_dual_mov_b32 v103, s23
	;; [unrolled: 1-line block ×3, first 2 shown]
	v_mov_b32_e32 v100, s20
	s_waitcnt vmcnt(1)
	v_mad_i64_i32 v[1:2], null, v5, s5, s[2:3]
	v_lshlrev_b32_e32 v5, 4, v65
	s_waitcnt vmcnt(0)
	v_mad_i64_i32 v[3:4], null, v6, s5, s[2:3]
	s_or_b32 s2, s12, 0xc0
	s_delay_alu instid0(SALU_CYCLE_1) | instskip(NEXT) | instid1(VALU_DEP_3)
	s_ashr_i32 s3, s2, 5
	v_add_co_u32 v33, vcc_lo, v1, v5
	s_delay_alu instid0(VALU_DEP_4) | instskip(NEXT) | instid1(VALU_DEP_3)
	v_add_co_ci_u32_e32 v34, vcc_lo, 0, v2, vcc_lo
	v_add_co_u32 v35, vcc_lo, v3, v5
	s_delay_alu instid0(VALU_DEP_4)
	v_add_co_ci_u32_e32 v36, vcc_lo, 0, v4, vcc_lo
	s_clause 0xf
	global_load_b128 v[1:4], v[33:34], off
	global_load_b128 v[5:8], v[33:34], off offset:512
	global_load_b128 v[9:12], v[35:36], off offset:256
	;; [unrolled: 1-line block ×15, first 2 shown]
	s_cmp_lt_i32 s2, s17
	v_add_nc_u32_e32 v33, -11, v65
	s_cselect_b32 s2, s3, s4
	v_cmp_gt_u32_e32 vcc_lo, 11, v65
	s_ashr_i32 s3, s2, 31
	v_lshlrev_b32_e32 v34, 5, v65
	s_lshl_b64 s[2:3], s[2:3], 2
	s_delay_alu instid0(SALU_CYCLE_1)
	s_add_u32 s2, s13, s2
	s_addc_u32 s3, s16, s3
	s_or_b32 s6, s12, 0xe0
	v_cndmask_b32_e32 v33, v33, v65, vcc_lo
	s_ashr_i32 s7, s6, 5
	s_cmp_lt_i32 s6, s17
	v_mov_b32_e32 v105, s25
	s_cselect_b32 s6, s7, s4
	v_lshlrev_b32_e32 v72, 6, v33
	s_ashr_i32 s7, s6, 31
	v_lshl_or_b32 v41, v66, 9, v34
	s_lshl_b64 s[6:7], s[6:7], 2
	ds_load_b128 v[33:36], v72
	ds_load_b128 v[37:40], v72 offset:1024
	ds_load_b128 v[108:111], v72 offset:2048
	ds_load_b128 v[112:115], v72 offset:3072
	s_load_b32 s4, s[2:3], 0x0
	s_add_u32 s2, s13, s6
	s_addc_u32 s3, s16, s7
	ds_load_b128 v[116:119], v72 offset:4096
	ds_load_b128 v[120:123], v72 offset:5120
	s_load_b32 s2, s[2:3], 0x0
	s_add_u32 s6, s10, s15
	s_addc_u32 s7, s11, s19
	v_add_co_u32 v68, s6, s6, v41
	s_delay_alu instid0(VALU_DEP_1) | instskip(SKIP_1) | instid1(VALU_DEP_1)
	v_add_co_ci_u32_e64 v69, null, s7, 0, s6
	s_waitcnt lgkmcnt(0)
	v_mad_i64_i32 v[41:42], null, s28, s5, v[68:69]
	v_mad_i64_i32 v[70:71], null, s9, s5, v[68:69]
	;; [unrolled: 1-line block ×7, first 2 shown]
	s_clause 0x3
	global_load_b128 v[49:52], v[41:42], off
	global_load_b128 v[53:56], v[41:42], off offset:16
	global_load_b128 v[41:44], v[45:46], off
	global_load_b128 v[45:48], v[45:46], off offset:16
	s_waitcnt vmcnt(18)
	v_wmma_f32_16x16x16_bf16 v[124:131], v[1:8], v[33:40], v[100:107]
	s_waitcnt vmcnt(16)
	v_wmma_f32_16x16x16_bf16 v[100:107], v[9:16], v[33:40], v[100:107]
	s_clause 0x1
	global_load_b128 v[33:36], v[70:71], off
	global_load_b128 v[37:40], v[70:71], off offset:16
	v_mad_i64_i32 v[70:71], null, s2, s5, v[68:69]
	s_waitcnt vmcnt(16)
	v_wmma_f32_16x16x16_bf16 v[124:131], v[17:24], v[108:115], v[124:131]
	s_waitcnt vmcnt(14)
	v_wmma_f32_16x16x16_bf16 v[100:107], v[25:32], v[108:115], v[100:107]
	s_clause 0x7
	global_load_b128 v[25:28], v[132:133], off
	global_load_b128 v[29:32], v[132:133], off offset:16
	global_load_b128 v[1:4], v[134:135], off
	global_load_b128 v[5:8], v[134:135], off offset:16
	;; [unrolled: 2-line block ×4, first 2 shown]
	s_waitcnt vmcnt(20)
	v_wmma_f32_16x16x16_bf16 v[124:131], v[57:64], v[116:123], v[124:131]
	s_clause 0x1
	global_load_b128 v[57:60], v[70:71], off
	global_load_b128 v[61:64], v[70:71], off offset:16
	s_waitcnt vmcnt(20)
	v_wmma_f32_16x16x16_bf16 v[100:107], v[76:83], v[116:123], v[100:107]
	ds_load_b128 v[76:79], v72 offset:6144
	ds_load_b128 v[80:83], v72 offset:7168
	v_and_b32_e32 v68, 0xe0, v0
	v_mbcnt_lo_u32_b32 v69, -1, 0
	s_waitcnt vmcnt(0) lgkmcnt(0)
	s_barrier
	buffer_gl0_inv
	v_add_nc_u32_e32 v68, s12, v68
	v_xor_b32_e32 v70, 16, v69
	s_delay_alu instid0(VALU_DEP_2) | instskip(NEXT) | instid1(VALU_DEP_2)
	v_or_b32_e32 v68, v68, v74
	v_cmp_gt_i32_e32 vcc_lo, 32, v70
	s_delay_alu instid0(VALU_DEP_2)
	v_or_b32_e32 v71, 4, v68
	v_or_b32_e32 v72, 6, v68
	v_cmp_gt_i32_e64 s2, s17, v68
	v_or_b32_e32 v108, 8, v68
	v_wmma_f32_16x16x16_bf16 v[124:131], v[84:91], v[76:83], v[124:131]
	v_cndmask_b32_e32 v69, v69, v70, vcc_lo
	v_or_b32_e32 v70, 2, v68
	v_wmma_f32_16x16x16_bf16 v[100:107], v[92:99], v[76:83], v[100:107]
	v_or_b32_e32 v109, 10, v68
	v_dual_mul_f32 v80, s18, v129 :: v_dual_mul_f32 v81, s18, v128
	v_dual_mul_f32 v92, s18, v125 :: v_dual_mul_f32 v93, s18, v124
	s_delay_alu instid0(VALU_DEP_4)
	v_mul_f32_e32 v96, s18, v105
	v_cmp_gt_i32_e32 vcc_lo, s17, v70
	v_or_b32_e32 v89, 22, v68
	v_dual_mul_f32 v79, s18, v130 :: v_dual_mul_f32 v82, s18, v127
	v_dual_mul_f32 v83, s18, v126 :: v_dual_mul_f32 v94, s18, v107
	v_cndmask_b32_e64 v93, 0xff7fffff, v93, s2
	v_cndmask_b32_e32 v92, 0xff7fffff, v92, vcc_lo
	v_cmp_gt_i32_e64 s3, s17, v71
	v_cmp_gt_i32_e64 s4, s17, v72
	v_or_b32_e32 v84, 12, v68
	v_or_b32_e32 v85, 14, v68
	v_cmp_gt_i32_e64 s5, s17, v108
	v_cndmask_b32_e64 v71, 0xff7fffff, v83, s3
	v_cndmask_b32_e64 v72, 0xff7fffff, v82, s4
	v_cmp_gt_i32_e64 s6, s17, v109
	v_cmp_gt_i32_e64 s12, s17, v89
	v_lshlrev_b32_e32 v89, 2, v69
	v_max3_f32 v82, v93, 0xff7fffff, v92
	v_or_b32_e32 v86, 16, v68
	v_or_b32_e32 v87, 18, v68
	v_mul_f32_e32 v78, s18, v131
	v_cndmask_b32_e64 v81, 0xff7fffff, v81, s5
	v_cndmask_b32_e64 v80, 0xff7fffff, v80, s6
	v_max3_f32 v71, v82, v71, v72
	v_cmp_gt_i32_e64 s7, s17, v84
	v_cmp_gt_i32_e64 s8, s17, v85
	v_or_b32_e32 v88, 20, v68
	v_or_b32_e32 v90, 24, v68
	;; [unrolled: 1-line block ×5, first 2 shown]
	v_dual_mul_f32 v97, s18, v104 :: v_dual_mul_f32 v70, s18, v101
	v_dual_mul_f32 v99, s18, v102 :: v_dual_mul_f32 v68, s18, v100
	v_cndmask_b32_e64 v72, 0xff7fffff, v79, s7
	v_cndmask_b32_e64 v78, 0xff7fffff, v78, s8
	v_max3_f32 v71, v71, v81, v80
	v_cmp_gt_i32_e64 s9, s17, v86
	v_cmp_gt_i32_e64 s10, s17, v87
	v_dual_mul_f32 v95, s18, v106 :: v_dual_mul_f32 v98, s18, v103
	s_delay_alu instid0(VALU_DEP_4) | instskip(NEXT) | instid1(VALU_DEP_4)
	v_max3_f32 v71, v71, v72, v78
	v_cndmask_b32_e64 v68, 0xff7fffff, v68, s9
	s_delay_alu instid0(VALU_DEP_4)
	v_cndmask_b32_e64 v70, 0xff7fffff, v70, s10
	v_cmp_gt_i32_e64 s11, s17, v88
	v_cndmask_b32_e64 v78, 0xff7fffff, v98, s12
	v_cmp_gt_i32_e64 s13, s17, v90
	v_cmp_gt_i32_e64 s15, s17, v91
	v_max3_f32 v68, v71, v68, v70
	v_cndmask_b32_e64 v72, 0xff7fffff, v99, s11
	v_cmp_gt_i32_e64 s16, s17, v76
	v_cndmask_b32_e64 v70, 0xff7fffff, v97, s13
	v_cndmask_b32_e64 v71, 0xff7fffff, v96, s15
	v_cmp_gt_i32_e64 s17, s17, v77
	v_max3_f32 v68, v68, v72, v78
	v_cndmask_b32_e64 v72, 0xff7fffff, v95, s16
	s_delay_alu instid0(VALU_DEP_3) | instskip(NEXT) | instid1(VALU_DEP_3)
	v_cndmask_b32_e64 v76, 0xff7fffff, v94, s17
	v_max3_f32 v68, v68, v70, v71
	s_delay_alu instid0(VALU_DEP_1) | instskip(SKIP_3) | instid1(VALU_DEP_1)
	v_max3_f32 v68, v68, v72, v76
	ds_bpermute_b32 v69, v89, v68
	s_waitcnt lgkmcnt(0)
	v_max_f32_e32 v69, v69, v69
	v_max_f32_e32 v68, v68, v69
	s_delay_alu instid0(VALU_DEP_1) | instskip(NEXT) | instid1(VALU_DEP_1)
	v_fma_f32 v71, s18, v126, -v68
	v_mul_f32_e32 v71, 0x3fb8aa3b, v71
	v_fma_f32 v70, s18, v125, -v68
	v_fma_f32 v69, s18, v124, -v68
	;; [unrolled: 1-line block ×5, first 2 shown]
	s_delay_alu instid0(VALU_DEP_4) | instskip(SKIP_1) | instid1(VALU_DEP_3)
	v_dual_mul_f32 v70, 0x3fb8aa3b, v70 :: v_dual_mul_f32 v69, 0x3fb8aa3b, v69
	v_exp_f32_e32 v71, v71
	v_mul_f32_e32 v72, 0x3fb8aa3b, v72
	v_fma_f32 v81, s18, v105, -v68
	s_delay_alu instid0(VALU_DEP_3)
	v_exp_f32_e32 v70, v70
	v_mul_f32_e32 v77, 0x3fb8aa3b, v76
	v_exp_f32_e32 v69, v69
	v_exp_f32_e32 v72, v72
	v_mul_f32_e32 v81, 0x3fb8aa3b, v81
	v_cndmask_b32_e64 v83, 0, v71, s3
	v_fma_f32 v71, s18, v131, -v68
	s_delay_alu instid0(VALU_DEP_3) | instskip(SKIP_4) | instid1(TRANS32_DEP_3)
	v_exp_f32_e32 v81, v81
	v_cndmask_b32_e32 v76, 0, v70, vcc_lo
	v_exp_f32_e32 v77, v77
	v_cndmask_b32_e64 v80, 0, v69, s2
	v_fma_f32 v69, s18, v129, -v68
	v_cndmask_b32_e64 v85, 0, v72, s4
	v_mul_f32_e32 v71, 0x3fb8aa3b, v71
	v_fma_f32 v72, s18, v100, -v68
	s_delay_alu instid0(VALU_DEP_4) | instskip(SKIP_1) | instid1(VALU_DEP_4)
	v_dual_add_f32 v70, 0, v80 :: v_dual_mul_f32 v69, 0x3fb8aa3b, v69
	v_cmp_gt_u32_e64 s2, 16, v67
	v_exp_f32_e32 v71, v71
	s_delay_alu instid0(TRANS32_DEP_2) | instskip(SKIP_4) | instid1(VALU_DEP_3)
	v_cndmask_b32_e64 v86, 0, v77, s5
	v_fma_f32 v77, s18, v101, -v68
	v_mul_f32_e32 v78, 0x3fb8aa3b, v78
	v_add_f32_e32 v70, v70, v76
	v_exp_f32_e32 v69, v69
	v_mul_f32_e32 v77, 0x3fb8aa3b, v77
	s_delay_alu instid0(VALU_DEP_3) | instskip(NEXT) | instid1(TRANS32_DEP_3)
	v_exp_f32_e32 v78, v78
	v_cndmask_b32_e64 v88, 0, v71, s8
	v_fma_f32 v71, s18, v104, -v68
	s_delay_alu instid0(VALU_DEP_3) | instskip(NEXT) | instid1(TRANS32_DEP_3)
	v_exp_f32_e32 v77, v77
	v_cndmask_b32_e64 v87, 0, v69, s6
	s_delay_alu instid0(VALU_DEP_2)
	v_mul_f32_e32 v71, 0x3fb8aa3b, v71
	s_waitcnt_depctr 0xfff
	v_cndmask_b32_e64 v84, 0, v78, s7
	v_add_f32_e32 v70, v70, v83
	v_fma_f32 v78, s18, v103, -v68
	v_exp_f32_e32 v82, v71
	s_delay_alu instid0(VALU_DEP_2) | instskip(SKIP_1) | instid1(VALU_DEP_3)
	v_add_f32_e32 v70, v70, v85
	v_mul_f32_e32 v72, 0x3fb8aa3b, v72
	v_mul_f32_e32 v78, 0x3fb8aa3b, v78
	s_delay_alu instid0(VALU_DEP_3) | instskip(SKIP_1) | instid1(VALU_DEP_4)
	v_add_f32_e32 v69, v70, v86
	v_fma_f32 v70, s18, v102, -v68
	v_exp_f32_e32 v72, v72
	s_delay_alu instid0(VALU_DEP_3) | instskip(NEXT) | instid1(VALU_DEP_1)
	v_exp_f32_e32 v78, v78
	v_dual_add_f32 v69, v69, v87 :: v_dual_mul_f32 v70, 0x3fb8aa3b, v70
	s_delay_alu instid0(VALU_DEP_1) | instskip(NEXT) | instid1(VALU_DEP_2)
	v_add_f32_e32 v69, v69, v84
	v_exp_f32_e32 v79, v70
	s_delay_alu instid0(TRANS32_DEP_3) | instskip(NEXT) | instid1(VALU_DEP_2)
	v_cndmask_b32_e64 v70, 0, v72, s9
	v_add_f32_e32 v72, v69, v88
	v_cndmask_b32_e64 v69, 0, v77, s10
	v_fma_f32 v77, s18, v106, -v68
	s_waitcnt_depctr 0xfff
	v_cndmask_b32_e64 v71, 0, v79, s11
	v_dual_mul_f32 v77, 0x3fb8aa3b, v77 :: v_dual_add_f32 v72, v72, v70
	s_delay_alu instid0(VALU_DEP_1) | instskip(NEXT) | instid1(VALU_DEP_1)
	v_exp_f32_e32 v90, v77
	v_add_f32_e32 v79, v72, v69
	v_cndmask_b32_e64 v72, 0, v78, s12
	v_cndmask_b32_e64 v77, 0, v82, s13
	s_delay_alu instid0(VALU_DEP_3) | instskip(SKIP_1) | instid1(VALU_DEP_1)
	v_add_f32_e32 v78, v79, v71
	v_fma_f32 v79, s18, v107, -v68
	v_dual_add_f32 v82, v78, v72 :: v_dual_mul_f32 v79, 0x3fb8aa3b, v79
	v_cndmask_b32_e64 v78, 0, v81, s15
	s_delay_alu instid0(VALU_DEP_2) | instskip(NEXT) | instid1(VALU_DEP_3)
	v_add_f32_e32 v81, v82, v77
	v_exp_f32_e32 v82, v79
	v_cndmask_b32_e64 v79, 0, v90, s16
	s_delay_alu instid0(VALU_DEP_2) | instskip(NEXT) | instid1(VALU_DEP_1)
	v_add_f32_e32 v81, v81, v78
	v_add_f32_e32 v90, v81, v79
	s_waitcnt_depctr 0xfff
	v_cndmask_b32_e64 v81, 0, v82, s17
	s_delay_alu instid0(VALU_DEP_1)
	v_add_f32_e32 v82, v90, v81
	ds_bpermute_b32 v89, v89, v82
	s_and_saveexec_b32 s3, s2
	s_cbranch_execz .LBB1596_12
; %bb.11:
	v_mul_u32_u24_e32 v67, 0x44, v66
	s_delay_alu instid0(VALU_DEP_1) | instskip(SKIP_1) | instid1(VALU_DEP_1)
	v_lshl_add_u32 v67, v65, 2, v67
	s_waitcnt lgkmcnt(0)
	v_dual_add_f32 v82, v82, v89 :: v_dual_add_nc_u32 v67, 0x4000, v67
	ds_store_2addr_b32 v67, v68, v82 offset1:136
.LBB1596_12:
	s_or_b32 exec_lo, exec_lo, s3
	v_lshlrev_b32_e32 v67, 2, v65
	s_waitcnt lgkmcnt(0)
	s_barrier
	buffer_gl0_inv
	v_cmp_eq_u32_e32 vcc_lo, 1, v66
	v_add_nc_u32_e32 v82, 0x4000, v67
	v_cmp_eq_u32_e64 s3, 2, v66
	v_cmp_eq_u32_e64 s5, 7, v66
	ds_load_2addr_b32 v[89:90], v82 offset1:17
	ds_load_2addr_b32 v[91:92], v82 offset0:34 offset1:51
	ds_load_2addr_b32 v[93:94], v82 offset0:68 offset1:85
	;; [unrolled: 1-line block ×4, first 2 shown]
	s_waitcnt lgkmcnt(4)
	v_max3_f32 v67, v89, 0xff7fffff, v90
	s_waitcnt lgkmcnt(3)
	s_delay_alu instid0(VALU_DEP_1) | instskip(SKIP_1) | instid1(VALU_DEP_1)
	v_max3_f32 v67, v67, v91, v92
	s_waitcnt lgkmcnt(2)
	v_max3_f32 v67, v67, v93, v94
	s_waitcnt lgkmcnt(1)
	s_delay_alu instid0(VALU_DEP_1) | instskip(NEXT) | instid1(VALU_DEP_1)
	v_max3_f32 v67, v67, v95, v96
	v_sub_f32_e32 v93, v93, v67
	s_delay_alu instid0(VALU_DEP_1) | instskip(NEXT) | instid1(VALU_DEP_1)
	v_dual_sub_f32 v68, v89, v67 :: v_dual_mul_f32 v103, 0x3fb8aa3b, v93
	v_mul_f32_e32 v68, 0x3fb8aa3b, v68
	s_delay_alu instid0(VALU_DEP_1)
	v_exp_f32_e32 v100, v68
	v_sub_f32_e32 v68, v92, v67
	v_sub_f32_e32 v99, v90, v67
	ds_load_2addr_b32 v[89:90], v82 offset0:170 offset1:187
	v_dual_mul_f32 v102, 0x3fb8aa3b, v68 :: v_dual_mul_f32 v99, 0x3fb8aa3b, v99
	s_waitcnt lgkmcnt(1)
	v_fma_f32 v68, v100, v97, 0
	s_delay_alu instid0(VALU_DEP_2) | instskip(NEXT) | instid1(VALU_DEP_2)
	v_exp_f32_e32 v102, v102
	v_exp_f32_e32 v99, v99
	s_waitcnt_depctr 0xfff
	v_fmac_f32_e32 v68, v99, v98
	v_sub_f32_e32 v91, v91, v67
	s_delay_alu instid0(VALU_DEP_1)
	v_mul_f32_e32 v101, 0x3fb8aa3b, v91
	ds_load_2addr_b32 v[91:92], v82 offset0:204 offset1:221
	v_sub_f32_e32 v97, v94, v67
	ds_load_2addr_b32 v[93:94], v82 offset0:238 offset1:255
	s_waitcnt lgkmcnt(0)
	v_exp_f32_e32 v101, v101
	s_barrier
	buffer_gl0_inv
	v_dual_fmac_f32 v68, v101, v89 :: v_dual_sub_f32 v89, v96, v67
	v_dual_sub_f32 v82, v95, v67 :: v_dual_mul_f32 v95, 0x3fb8aa3b, v97
	v_exp_f32_e32 v97, v103
	s_delay_alu instid0(VALU_DEP_2) | instskip(NEXT) | instid1(VALU_DEP_2)
	v_dual_fmac_f32 v68, v102, v90 :: v_dual_mul_f32 v89, 0x3fb8aa3b, v89
	v_mul_f32_e32 v82, 0x3fb8aa3b, v82
	s_delay_alu instid0(VALU_DEP_3) | instskip(NEXT) | instid1(VALU_DEP_2)
	v_exp_f32_e32 v95, v95
	v_exp_f32_e32 v89, v89
	s_delay_alu instid0(VALU_DEP_1)
	v_exp_f32_e32 v82, v82
	v_fmac_f32_e32 v68, v97, v91
	s_delay_alu instid0(TRANS32_DEP_3) | instid1(VALU_DEP_1)
	v_fmac_f32_e32 v68, v95, v92
	s_waitcnt_depctr 0xfff
	v_fmac_f32_e32 v68, v82, v93
	s_delay_alu instid0(VALU_DEP_1) | instskip(NEXT) | instid1(VALU_DEP_1)
	v_fmac_f32_e32 v68, v89, v94
	v_add_f32_e32 v90, 0x358637bd, v68
	s_delay_alu instid0(VALU_DEP_1) | instskip(NEXT) | instid1(VALU_DEP_1)
	v_div_scale_f32 v91, null, v90, v90, 1.0
	v_rcp_f32_e32 v92, v91
	s_waitcnt_depctr 0xfff
	v_fma_f32 v93, -v91, v92, 1.0
	s_delay_alu instid0(VALU_DEP_1) | instskip(SKIP_1) | instid1(VALU_DEP_2)
	v_dual_fmac_f32 v92, v93, v92 :: v_dual_cndmask_b32 v93, v100, v99
	v_cmp_eq_u32_e32 vcc_lo, 3, v66
	v_cndmask_b32_e64 v93, v93, v101, s3
	v_cmp_eq_u32_e64 s3, 4, v66
	s_delay_alu instid0(VALU_DEP_2) | instskip(SKIP_1) | instid1(VALU_DEP_2)
	v_cndmask_b32_e32 v93, v93, v102, vcc_lo
	v_cmp_eq_u32_e32 vcc_lo, 5, v66
	v_cndmask_b32_e64 v93, v93, v97, s3
	v_cmp_eq_u32_e64 s3, 6, v66
	s_delay_alu instid0(VALU_DEP_2) | instskip(SKIP_1) | instid1(VALU_DEP_1)
	v_cndmask_b32_e32 v93, v93, v95, vcc_lo
	v_div_scale_f32 v94, s4, 1.0, v90, 1.0
	s_mov_b32 vcc_lo, s4
	s_delay_alu instid0(VALU_DEP_2) | instskip(NEXT) | instid1(VALU_DEP_2)
	v_cndmask_b32_e64 v82, v93, v82, s3
	v_mul_f32_e32 v96, v94, v92
	s_mov_b32 s3, exec_lo
	s_delay_alu instid0(VALU_DEP_2) | instskip(NEXT) | instid1(VALU_DEP_2)
	v_cndmask_b32_e64 v82, v82, v89, s5
	v_fma_f32 v98, -v91, v96, v94
	s_delay_alu instid0(VALU_DEP_1) | instskip(NEXT) | instid1(VALU_DEP_1)
	v_fmac_f32_e32 v96, v98, v92
	v_fma_f32 v91, -v91, v96, v94
	s_delay_alu instid0(VALU_DEP_1) | instskip(NEXT) | instid1(VALU_DEP_1)
	v_div_fmas_f32 v91, v91, v92, v96
	v_div_fixup_f32 v90, v91, v90, 1.0
	s_delay_alu instid0(VALU_DEP_1) | instskip(NEXT) | instid1(VALU_DEP_1)
	v_mul_f32_e32 v82, v82, v90
	v_mul_f32_e32 v87, v82, v87
	;; [unrolled: 1-line block ×7, first 2 shown]
	v_dual_mul_f32 v86, v82, v83 :: v_dual_and_b32 v91, 0x7f800000, v90
	v_mul_f32_e32 v85, v82, v76
                                        ; implicit-def: $vgpr76
	s_delay_alu instid0(VALU_DEP_2)
	v_cmpx_ne_u32_e32 0x7f800000, v91
	s_xor_b32 s3, exec_lo, s3
; %bb.13:
	v_bfe_u32 v76, v90, 16, 1
	s_delay_alu instid0(VALU_DEP_1)
	v_add3_u32 v76, v90, v76, 0x7fff
                                        ; implicit-def: $vgpr90
; %bb.14:
	s_and_not1_saveexec_b32 s3, s3
; %bb.15:
	v_and_b32_e32 v76, 0xffff, v90
	v_or_b32_e32 v83, 0x10000, v90
	s_delay_alu instid0(VALU_DEP_2) | instskip(NEXT) | instid1(VALU_DEP_2)
	v_cmp_eq_u32_e32 vcc_lo, 0, v76
	v_cndmask_b32_e32 v76, v83, v90, vcc_lo
; %bb.16:
	s_or_b32 exec_lo, exec_lo, s3
	v_and_b32_e32 v83, 0x7f800000, v85
	s_delay_alu instid0(VALU_DEP_1) | instskip(SKIP_1) | instid1(SALU_CYCLE_1)
	v_cmp_ne_u32_e32 vcc_lo, 0x7f800000, v83
                                        ; implicit-def: $vgpr83
	s_and_saveexec_b32 s3, vcc_lo
	s_xor_b32 s3, exec_lo, s3
; %bb.17:
	v_bfe_u32 v83, v85, 16, 1
	s_delay_alu instid0(VALU_DEP_1)
	v_add3_u32 v83, v85, v83, 0x7fff
                                        ; implicit-def: $vgpr85
; %bb.18:
	s_and_not1_saveexec_b32 s3, s3
; %bb.19:
	v_and_b32_e32 v83, 0xffff, v85
	v_or_b32_e32 v90, 0x10000, v85
	s_delay_alu instid0(VALU_DEP_2) | instskip(NEXT) | instid1(VALU_DEP_2)
	v_cmp_eq_u32_e32 vcc_lo, 0, v83
	v_cndmask_b32_e32 v83, v90, v85, vcc_lo
; %bb.20:
	s_or_b32 exec_lo, exec_lo, s3
	v_and_b32_e32 v85, 0x7f800000, v86
	s_delay_alu instid0(VALU_DEP_1) | instskip(SKIP_1) | instid1(SALU_CYCLE_1)
	v_cmp_ne_u32_e32 vcc_lo, 0x7f800000, v85
                                        ; implicit-def: $vgpr85
	s_and_saveexec_b32 s3, vcc_lo
	s_xor_b32 s3, exec_lo, s3
; %bb.21:
	v_bfe_u32 v85, v86, 16, 1
	s_delay_alu instid0(VALU_DEP_1)
	v_add3_u32 v85, v86, v85, 0x7fff
                                        ; implicit-def: $vgpr86
; %bb.22:
	s_and_not1_saveexec_b32 s3, s3
; %bb.23:
	v_and_b32_e32 v85, 0xffff, v86
	v_or_b32_e32 v90, 0x10000, v86
	s_delay_alu instid0(VALU_DEP_2) | instskip(NEXT) | instid1(VALU_DEP_2)
	v_cmp_eq_u32_e32 vcc_lo, 0, v85
	v_cndmask_b32_e32 v85, v90, v86, vcc_lo
; %bb.24:
	s_or_b32 exec_lo, exec_lo, s3
	v_and_b32_e32 v86, 0x7f800000, v89
	s_delay_alu instid0(VALU_DEP_1) | instskip(SKIP_1) | instid1(SALU_CYCLE_1)
	v_cmp_ne_u32_e32 vcc_lo, 0x7f800000, v86
                                        ; implicit-def: $vgpr86
	s_and_saveexec_b32 s3, vcc_lo
	s_xor_b32 s3, exec_lo, s3
; %bb.25:
	v_bfe_u32 v86, v89, 16, 1
	s_delay_alu instid0(VALU_DEP_1)
	v_add3_u32 v86, v89, v86, 0x7fff
                                        ; implicit-def: $vgpr89
; %bb.26:
	s_and_not1_saveexec_b32 s3, s3
; %bb.27:
	v_and_b32_e32 v86, 0xffff, v89
	v_or_b32_e32 v90, 0x10000, v89
	s_delay_alu instid0(VALU_DEP_2) | instskip(NEXT) | instid1(VALU_DEP_2)
	v_cmp_eq_u32_e32 vcc_lo, 0, v86
	v_cndmask_b32_e32 v86, v90, v89, vcc_lo
; %bb.28:
	s_or_b32 exec_lo, exec_lo, s3
	v_and_b32_e32 v89, 0x7f800000, v88
	s_delay_alu instid0(VALU_DEP_1) | instskip(SKIP_1) | instid1(SALU_CYCLE_1)
	v_cmp_ne_u32_e32 vcc_lo, 0x7f800000, v89
                                        ; implicit-def: $vgpr89
	s_and_saveexec_b32 s3, vcc_lo
	s_xor_b32 s3, exec_lo, s3
; %bb.29:
	v_bfe_u32 v89, v88, 16, 1
	s_delay_alu instid0(VALU_DEP_1)
	v_add3_u32 v89, v88, v89, 0x7fff
                                        ; implicit-def: $vgpr88
; %bb.30:
	s_and_not1_saveexec_b32 s3, s3
; %bb.31:
	v_and_b32_e32 v89, 0xffff, v88
	v_or_b32_e32 v90, 0x10000, v88
	s_delay_alu instid0(VALU_DEP_2) | instskip(NEXT) | instid1(VALU_DEP_2)
	v_cmp_eq_u32_e32 vcc_lo, 0, v89
	v_cndmask_b32_e32 v89, v90, v88, vcc_lo
; %bb.32:
	s_or_b32 exec_lo, exec_lo, s3
	v_and_b32_e32 v88, 0x7f800000, v87
	s_delay_alu instid0(VALU_DEP_1) | instskip(SKIP_1) | instid1(SALU_CYCLE_1)
	v_cmp_ne_u32_e32 vcc_lo, 0x7f800000, v88
                                        ; implicit-def: $vgpr88
	s_and_saveexec_b32 s3, vcc_lo
	s_xor_b32 s3, exec_lo, s3
; %bb.33:
	v_bfe_u32 v88, v87, 16, 1
	s_delay_alu instid0(VALU_DEP_1)
	v_add3_u32 v88, v87, v88, 0x7fff
                                        ; implicit-def: $vgpr87
; %bb.34:
	s_and_not1_saveexec_b32 s3, s3
; %bb.35:
	v_and_b32_e32 v88, 0xffff, v87
	v_or_b32_e32 v90, 0x10000, v87
	s_delay_alu instid0(VALU_DEP_2) | instskip(NEXT) | instid1(VALU_DEP_2)
	v_cmp_eq_u32_e32 vcc_lo, 0, v88
	v_cndmask_b32_e32 v88, v90, v87, vcc_lo
; %bb.36:
	s_or_b32 exec_lo, exec_lo, s3
	v_and_b32_e32 v87, 0x7f800000, v84
	s_delay_alu instid0(VALU_DEP_1) | instskip(SKIP_1) | instid1(SALU_CYCLE_1)
	v_cmp_ne_u32_e32 vcc_lo, 0x7f800000, v87
                                        ; implicit-def: $vgpr87
	s_and_saveexec_b32 s3, vcc_lo
	s_xor_b32 s3, exec_lo, s3
; %bb.37:
	v_bfe_u32 v87, v84, 16, 1
	s_delay_alu instid0(VALU_DEP_1)
	v_add3_u32 v87, v84, v87, 0x7fff
                                        ; implicit-def: $vgpr84
; %bb.38:
	s_and_not1_saveexec_b32 s3, s3
; %bb.39:
	v_and_b32_e32 v87, 0xffff, v84
	v_or_b32_e32 v90, 0x10000, v84
	s_delay_alu instid0(VALU_DEP_2) | instskip(NEXT) | instid1(VALU_DEP_2)
	v_cmp_eq_u32_e32 vcc_lo, 0, v87
	v_cndmask_b32_e32 v87, v90, v84, vcc_lo
; %bb.40:
	s_or_b32 exec_lo, exec_lo, s3
	v_and_b32_e32 v84, 0x7f800000, v80
	s_delay_alu instid0(VALU_DEP_1) | instskip(SKIP_1) | instid1(SALU_CYCLE_1)
	v_cmp_ne_u32_e32 vcc_lo, 0x7f800000, v84
                                        ; implicit-def: $vgpr84
	s_and_saveexec_b32 s3, vcc_lo
	s_xor_b32 s3, exec_lo, s3
; %bb.41:
	v_bfe_u32 v84, v80, 16, 1
	s_delay_alu instid0(VALU_DEP_1)
	v_add3_u32 v84, v80, v84, 0x7fff
                                        ; implicit-def: $vgpr80
; %bb.42:
	s_and_not1_saveexec_b32 s3, s3
; %bb.43:
	v_and_b32_e32 v84, 0xffff, v80
	v_or_b32_e32 v90, 0x10000, v80
	s_delay_alu instid0(VALU_DEP_2) | instskip(NEXT) | instid1(VALU_DEP_2)
	v_cmp_eq_u32_e32 vcc_lo, 0, v84
	v_cndmask_b32_e32 v84, v90, v80, vcc_lo
; %bb.44:
	s_or_b32 exec_lo, exec_lo, s3
	s_load_b64 s[34:35], s[0:1], 0x94
	v_lshlrev_b32_e32 v91, 4, v74
	s_delay_alu instid0(VALU_DEP_2)
	v_perm_b32 v90, v84, v87, 0x7060302
	v_dual_mul_f32 v79, v82, v79 :: v_dual_lshlrev_b32 v80, 6, v65
	v_dual_mul_f32 v77, v82, v77 :: v_dual_lshlrev_b32 v92, 11, v66
	v_mul_f32_e32 v84, v82, v70
	v_perm_b32 v89, v88, v89, 0x7060302
	v_perm_b32 v88, v86, v85, 0x7060302
	;; [unrolled: 1-line block ×3, first 2 shown]
	v_mul_f32_e32 v70, v82, v81
	v_or3_b32 v76, v91, v92, v80
	v_dual_mul_f32 v78, v82, v78 :: v_dual_and_b32 v85, 0x7f800000, v84
	v_mul_f32_e32 v83, v82, v72
	v_mul_f32_e32 v81, v82, v71
	;; [unrolled: 1-line block ×3, first 2 shown]
	s_mov_b32 s3, exec_lo
	ds_store_b128 v76, v[87:90]
                                        ; implicit-def: $vgpr69
	v_cmpx_ne_u32_e32 0x7f800000, v85
	s_xor_b32 s3, exec_lo, s3
; %bb.45:
	v_bfe_u32 v69, v84, 16, 1
	s_delay_alu instid0(VALU_DEP_1)
	v_add3_u32 v69, v84, v69, 0x7fff
                                        ; implicit-def: $vgpr84
; %bb.46:
	s_and_not1_saveexec_b32 s3, s3
; %bb.47:
	v_and_b32_e32 v69, 0xffff, v84
	v_or_b32_e32 v71, 0x10000, v84
	s_delay_alu instid0(VALU_DEP_2) | instskip(NEXT) | instid1(VALU_DEP_2)
	v_cmp_eq_u32_e32 vcc_lo, 0, v69
	v_cndmask_b32_e32 v69, v71, v84, vcc_lo
; %bb.48:
	s_or_b32 exec_lo, exec_lo, s3
	v_and_b32_e32 v71, 0x7f800000, v72
	s_delay_alu instid0(VALU_DEP_1) | instskip(SKIP_1) | instid1(SALU_CYCLE_1)
	v_cmp_ne_u32_e32 vcc_lo, 0x7f800000, v71
                                        ; implicit-def: $vgpr71
	s_and_saveexec_b32 s3, vcc_lo
	s_xor_b32 s3, exec_lo, s3
; %bb.49:
	v_bfe_u32 v71, v72, 16, 1
	s_delay_alu instid0(VALU_DEP_1)
	v_add3_u32 v71, v72, v71, 0x7fff
                                        ; implicit-def: $vgpr72
; %bb.50:
	s_and_not1_saveexec_b32 s3, s3
; %bb.51:
	v_and_b32_e32 v71, 0xffff, v72
	v_or_b32_e32 v82, 0x10000, v72
	s_delay_alu instid0(VALU_DEP_2) | instskip(NEXT) | instid1(VALU_DEP_2)
	v_cmp_eq_u32_e32 vcc_lo, 0, v71
	v_cndmask_b32_e32 v71, v82, v72, vcc_lo
; %bb.52:
	s_or_b32 exec_lo, exec_lo, s3
	v_and_b32_e32 v72, 0x7f800000, v81
	s_delay_alu instid0(VALU_DEP_1) | instskip(SKIP_1) | instid1(SALU_CYCLE_1)
	v_cmp_ne_u32_e32 vcc_lo, 0x7f800000, v72
                                        ; implicit-def: $vgpr72
	s_and_saveexec_b32 s3, vcc_lo
	s_xor_b32 s3, exec_lo, s3
; %bb.53:
	v_bfe_u32 v72, v81, 16, 1
	s_delay_alu instid0(VALU_DEP_1)
	v_add3_u32 v72, v81, v72, 0x7fff
                                        ; implicit-def: $vgpr81
; %bb.54:
	s_and_not1_saveexec_b32 s3, s3
; %bb.55:
	v_and_b32_e32 v72, 0xffff, v81
	v_or_b32_e32 v82, 0x10000, v81
	s_delay_alu instid0(VALU_DEP_2) | instskip(NEXT) | instid1(VALU_DEP_2)
	v_cmp_eq_u32_e32 vcc_lo, 0, v72
	v_cndmask_b32_e32 v72, v82, v81, vcc_lo
; %bb.56:
	s_or_b32 exec_lo, exec_lo, s3
	v_and_b32_e32 v81, 0x7f800000, v83
	s_delay_alu instid0(VALU_DEP_1) | instskip(SKIP_1) | instid1(SALU_CYCLE_1)
	v_cmp_ne_u32_e32 vcc_lo, 0x7f800000, v81
                                        ; implicit-def: $vgpr81
	s_and_saveexec_b32 s3, vcc_lo
	s_xor_b32 s3, exec_lo, s3
; %bb.57:
	v_bfe_u32 v81, v83, 16, 1
	s_delay_alu instid0(VALU_DEP_1)
	v_add3_u32 v81, v83, v81, 0x7fff
                                        ; implicit-def: $vgpr83
; %bb.58:
	s_and_not1_saveexec_b32 s3, s3
; %bb.59:
	v_and_b32_e32 v81, 0xffff, v83
	v_or_b32_e32 v82, 0x10000, v83
	s_delay_alu instid0(VALU_DEP_2) | instskip(NEXT) | instid1(VALU_DEP_2)
	v_cmp_eq_u32_e32 vcc_lo, 0, v81
	v_cndmask_b32_e32 v81, v82, v83, vcc_lo
; %bb.60:
	s_or_b32 exec_lo, exec_lo, s3
	v_and_b32_e32 v82, 0x7f800000, v77
	s_delay_alu instid0(VALU_DEP_1) | instskip(SKIP_1) | instid1(SALU_CYCLE_1)
	v_cmp_ne_u32_e32 vcc_lo, 0x7f800000, v82
                                        ; implicit-def: $vgpr82
	s_and_saveexec_b32 s3, vcc_lo
	s_xor_b32 s3, exec_lo, s3
; %bb.61:
	v_bfe_u32 v82, v77, 16, 1
	s_delay_alu instid0(VALU_DEP_1)
	v_add3_u32 v82, v77, v82, 0x7fff
                                        ; implicit-def: $vgpr77
; %bb.62:
	s_and_not1_saveexec_b32 s3, s3
; %bb.63:
	v_and_b32_e32 v82, 0xffff, v77
	v_or_b32_e32 v83, 0x10000, v77
	s_delay_alu instid0(VALU_DEP_2) | instskip(NEXT) | instid1(VALU_DEP_2)
	v_cmp_eq_u32_e32 vcc_lo, 0, v82
	v_cndmask_b32_e32 v82, v83, v77, vcc_lo
; %bb.64:
	s_or_b32 exec_lo, exec_lo, s3
	v_and_b32_e32 v77, 0x7f800000, v78
	s_delay_alu instid0(VALU_DEP_1) | instskip(SKIP_1) | instid1(SALU_CYCLE_1)
	v_cmp_ne_u32_e32 vcc_lo, 0x7f800000, v77
                                        ; implicit-def: $vgpr77
	s_and_saveexec_b32 s3, vcc_lo
	s_xor_b32 s3, exec_lo, s3
; %bb.65:
	v_bfe_u32 v77, v78, 16, 1
	s_delay_alu instid0(VALU_DEP_1)
	v_add3_u32 v77, v78, v77, 0x7fff
                                        ; implicit-def: $vgpr78
; %bb.66:
	s_and_not1_saveexec_b32 s3, s3
; %bb.67:
	v_and_b32_e32 v77, 0xffff, v78
	v_or_b32_e32 v83, 0x10000, v78
	s_delay_alu instid0(VALU_DEP_2) | instskip(NEXT) | instid1(VALU_DEP_2)
	v_cmp_eq_u32_e32 vcc_lo, 0, v77
	v_cndmask_b32_e32 v77, v83, v78, vcc_lo
; %bb.68:
	s_or_b32 exec_lo, exec_lo, s3
	v_and_b32_e32 v78, 0x7f800000, v79
	s_delay_alu instid0(VALU_DEP_1) | instskip(SKIP_1) | instid1(SALU_CYCLE_1)
	v_cmp_ne_u32_e32 vcc_lo, 0x7f800000, v78
                                        ; implicit-def: $vgpr78
	s_and_saveexec_b32 s3, vcc_lo
	s_xor_b32 s3, exec_lo, s3
; %bb.69:
	v_bfe_u32 v78, v79, 16, 1
	s_delay_alu instid0(VALU_DEP_1)
	v_add3_u32 v78, v79, v78, 0x7fff
                                        ; implicit-def: $vgpr79
; %bb.70:
	s_and_not1_saveexec_b32 s3, s3
; %bb.71:
	v_and_b32_e32 v78, 0xffff, v79
	v_or_b32_e32 v83, 0x10000, v79
	s_delay_alu instid0(VALU_DEP_2) | instskip(NEXT) | instid1(VALU_DEP_2)
	v_cmp_eq_u32_e32 vcc_lo, 0, v78
	v_cndmask_b32_e32 v78, v83, v79, vcc_lo
; %bb.72:
	s_or_b32 exec_lo, exec_lo, s3
	v_and_b32_e32 v79, 0x7f800000, v70
	s_delay_alu instid0(VALU_DEP_1) | instskip(SKIP_1) | instid1(SALU_CYCLE_1)
	v_cmp_ne_u32_e32 vcc_lo, 0x7f800000, v79
                                        ; implicit-def: $vgpr79
	s_and_saveexec_b32 s3, vcc_lo
	s_xor_b32 s3, exec_lo, s3
; %bb.73:
	v_bfe_u32 v79, v70, 16, 1
	s_delay_alu instid0(VALU_DEP_1)
	v_add3_u32 v79, v70, v79, 0x7fff
                                        ; implicit-def: $vgpr70
; %bb.74:
	s_and_not1_saveexec_b32 s3, s3
; %bb.75:
	v_and_b32_e32 v79, 0xffff, v70
	v_or_b32_e32 v83, 0x10000, v70
	s_delay_alu instid0(VALU_DEP_2) | instskip(NEXT) | instid1(VALU_DEP_2)
	v_cmp_eq_u32_e32 vcc_lo, 0, v79
	v_cndmask_b32_e32 v79, v83, v70, vcc_lo
; %bb.76:
	s_or_b32 exec_lo, exec_lo, s3
	s_delay_alu instid0(VALU_DEP_1)
	v_perm_b32 v86, v79, v78, 0x7060302
	v_perm_b32 v85, v77, v82, 0x7060302
	;; [unrolled: 1-line block ×4, first 2 shown]
	v_lshl_or_b32 v82, v66, 11, v80
	ds_store_b128 v76, v[83:86] offset:1024
	s_waitcnt lgkmcnt(0)
	s_barrier
	buffer_gl0_inv
	ds_load_b128 v[69:72], v82
	ds_load_b128 v[83:86], v82 offset:16
	s_waitcnt lgkmcnt(1)
	v_lshrrev_b32_e32 v66, 16, v69
	s_waitcnt lgkmcnt(0)
	v_lshrrev_b32_e32 v91, 16, v83
	v_lshlrev_b32_e32 v78, 2, v74
	v_lshrrev_b32_e32 v95, 16, v70
	v_lshrrev_b32_e32 v98, 16, v84
	;; [unrolled: 1-line block ×4, first 2 shown]
	v_cmp_eq_u32_e32 vcc_lo, 1, v78
	v_lshrrev_b32_e32 v97, 16, v72
	v_lshrrev_b32_e32 v100, 16, v86
	v_cndmask_b32_e32 v87, v83, v91, vcc_lo
	v_or_b32_e32 v79, 1, v78
	v_cndmask_b32_e32 v81, v69, v66, vcc_lo
	v_cmp_eq_u32_e64 s4, 2, v78
	v_cmp_eq_u32_e64 s7, 3, v78
	v_cmp_eq_u32_e64 s9, 4, v78
	v_cmp_eq_u32_e64 s3, 1, v79
	v_cmp_eq_u32_e64 s6, 2, v79
	v_cndmask_b32_e64 v81, v81, v70, s4
	v_cndmask_b32_e64 v87, v87, v84, s4
	v_cmp_eq_u32_e64 s8, 3, v79
	v_cndmask_b32_e64 v88, v69, v66, s3
	v_or_b32_e32 v77, 2, v78
	v_cndmask_b32_e64 v81, v81, v95, s7
	v_cndmask_b32_e64 v87, v87, v98, s7
	;; [unrolled: 1-line block ×4, first 2 shown]
	v_cmp_eq_u32_e64 s10, 5, v78
	v_cndmask_b32_e64 v81, v81, v71, s9
	v_cndmask_b32_e64 v87, v87, v85, s9
	v_cmp_eq_u32_e64 s11, 4, v79
	v_cndmask_b32_e64 v88, v88, v95, s8
	v_cmp_eq_u32_e64 s5, 1, v77
	v_cndmask_b32_e64 v89, v89, v84, s6
	v_cndmask_b32_e64 v81, v81, v96, s10
	v_cmp_eq_u32_e64 s12, 6, v78
	v_cndmask_b32_e64 v88, v88, v71, s11
	;; [unrolled: 3-line block ×3, first 2 shown]
	v_cndmask_b32_e64 v89, v89, v98, s8
	v_cndmask_b32_e64 v81, v81, v72, s12
	v_cmp_eq_u32_e64 s15, 7, v78
	v_cndmask_b32_e64 v88, v88, v96, s13
	v_cndmask_b32_e64 v87, v87, v86, s12
	v_cmp_eq_u32_e64 s16, 6, v79
	v_cmp_eq_u32_e64 s17, 2, v77
	v_cndmask_b32_e64 v89, v89, v85, s11
	v_cndmask_b32_e64 v101, v81, v97, s15
	;; [unrolled: 1-line block ×6, first 2 shown]
	v_cmp_eq_u32_e64 s18, 7, v79
	v_cmp_eq_u32_e64 s19, 3, v77
	;; [unrolled: 1-line block ×4, first 2 shown]
	v_cndmask_b32_e64 v87, v87, v84, s17
	v_cndmask_b32_e64 v103, v88, v97, s18
	;; [unrolled: 1-line block ×4, first 2 shown]
	v_or_b32_e32 v81, 3, v78
	v_cndmask_b32_e64 v93, v87, v98, s19
	v_cmp_eq_u32_e64 s24, 6, v77
	v_cndmask_b32_e64 v104, v88, v86, s16
	v_cndmask_b32_e64 v92, v89, v71, s20
	v_cmp_eq_u32_e64 s21, 1, v81
	ds_load_b128 v[87:90], v82 offset:1024
	v_cmp_eq_u32_e64 s23, 2, v81
	v_cmp_eq_u32_e64 s25, 3, v81
	v_cndmask_b32_e64 v105, v92, v96, s22
	v_cndmask_b32_e64 v66, v69, v66, s21
	;; [unrolled: 1-line block ×4, first 2 shown]
	ds_load_b128 v[91:94], v82 offset:1040
	v_cmp_eq_u32_e64 s26, 4, v81
	v_cndmask_b32_e64 v66, v66, v70, s23
	v_cmp_eq_u32_e64 s27, 7, v77
	v_cndmask_b32_e64 v70, v83, v84, s23
	v_cndmask_b32_e64 v84, v105, v72, s24
	v_cmp_eq_u32_e64 s28, 5, v81
	v_cndmask_b32_e64 v66, v66, v95, s25
	v_cmp_eq_u32_e64 s29, 6, v81
	v_cndmask_b32_e64 v70, v70, v98, s25
	v_cndmask_b32_e64 v69, v69, v99, s22
	;; [unrolled: 1-line block ×4, first 2 shown]
	s_waitcnt lgkmcnt(1)
	v_lshrrev_b32_e32 v95, 16, v87
	v_cndmask_b32_e64 v70, v70, v85, s26
	v_cndmask_b32_e64 v71, v84, v97, s27
	v_cndmask_b32_e64 v69, v69, v86, s24
	v_cndmask_b32_e64 v66, v66, v96, s28
	v_cndmask_b32_e32 v84, v87, v95, vcc_lo
	v_cndmask_b32_e64 v70, v70, v99, s28
	s_waitcnt lgkmcnt(0)
	v_lshrrev_b32_e32 v85, 16, v91
	v_lshrrev_b32_e32 v96, 16, v88
	v_cndmask_b32_e64 v98, v87, v95, s3
	v_cndmask_b32_e64 v84, v84, v88, s4
	;; [unrolled: 1-line block ×3, first 2 shown]
	v_cndmask_b32_e32 v99, v91, v85, vcc_lo
	v_cmp_eq_u32_e32 vcc_lo, 7, v81
	v_cndmask_b32_e64 v66, v66, v72, s29
	v_cndmask_b32_e64 v72, v84, v96, s7
	;; [unrolled: 1-line block ×3, first 2 shown]
	v_lshrrev_b32_e32 v98, 16, v92
	v_cndmask_b32_e32 v70, v70, v100, vcc_lo
	v_cndmask_b32_e64 v86, v99, v92, s4
	v_cndmask_b32_e64 v69, v69, v100, s27
	v_lshrrev_b32_e32 v100, 16, v93
	v_cndmask_b32_e64 v72, v72, v89, s9
	v_lshrrev_b32_e32 v99, 16, v89
	v_cndmask_b32_e64 v86, v86, v98, s7
	v_perm_b32 v71, v69, v71, 0x5040100
	v_cndmask_b32_e64 v84, v84, v96, s8
	s_delay_alu instid0(VALU_DEP_3) | instskip(NEXT) | instid1(VALU_DEP_2)
	v_cndmask_b32_e64 v86, v86, v93, s9
	v_cndmask_b32_e64 v84, v84, v89, s11
	s_delay_alu instid0(VALU_DEP_2) | instskip(NEXT) | instid1(VALU_DEP_1)
	v_cndmask_b32_e64 v86, v86, v100, s10
	v_cndmask_b32_e64 v69, v86, v94, s12
	;; [unrolled: 1-line block ×5, first 2 shown]
	s_delay_alu instid0(VALU_DEP_3) | instskip(NEXT) | instid1(VALU_DEP_3)
	v_cndmask_b32_e64 v86, v86, v88, s17
	v_cndmask_b32_e64 v87, v87, v88, s23
	s_delay_alu instid0(VALU_DEP_3) | instskip(NEXT) | instid1(VALU_DEP_3)
	v_cndmask_b32_e64 v88, v95, v92, s23
	v_cndmask_b32_e64 v86, v86, v96, s19
	;; [unrolled: 3-line block ×7, first 2 shown]
	s_delay_alu instid0(VALU_DEP_3) | instskip(SKIP_2) | instid1(VALU_DEP_2)
	v_cndmask_b32_e64 v88, v88, v94, s29
	v_cndmask_b32_e32 v66, v66, v97, vcc_lo
	v_cndmask_b32_e64 v97, v72, v99, s10
	v_perm_b32 v72, v70, v66, 0x5040100
	v_perm_b32 v70, v83, v103, 0x5040100
	v_cndmask_b32_e64 v103, v91, v85, s5
	v_cndmask_b32_e64 v85, v91, v85, s3
	;; [unrolled: 1-line block ×4, first 2 shown]
	v_lshrrev_b32_e32 v97, 16, v90
	v_cndmask_b32_e64 v91, v103, v92, s17
	v_cndmask_b32_e64 v85, v85, v92, s6
	;; [unrolled: 1-line block ×3, first 2 shown]
	s_mov_b32 s3, exec_lo
	v_cndmask_b32_e64 v83, v84, v97, s15
	v_cndmask_b32_e64 v91, v91, v98, s19
	;; [unrolled: 1-line block ×3, first 2 shown]
	v_lshrrev_b32_e32 v84, 16, v94
	v_cndmask_b32_e64 v66, v66, v97, s18
	v_cndmask_b32_e64 v90, v86, v97, s27
	;; [unrolled: 1-line block ×4, first 2 shown]
	v_dual_cndmask_b32 v86, v87, v97 :: v_dual_cndmask_b32 v87, v88, v84
	v_cndmask_b32_e64 v91, v69, v84, s15
	s_delay_alu instid0(VALU_DEP_4) | instskip(NEXT) | instid1(VALU_DEP_4)
	v_cndmask_b32_e64 v89, v89, v100, s22
	v_cndmask_b32_e64 v85, v85, v100, s13
	v_perm_b32 v69, v102, v101, 0x5040100
	v_perm_b32 v86, v87, v86, 0x5040100
	;; [unrolled: 1-line block ×3, first 2 shown]
	v_cndmask_b32_e64 v89, v89, v94, s24
	v_cndmask_b32_e64 v85, v85, v94, s16
	s_mul_i32 s8, s35, 11
	s_delay_alu instid0(VALU_DEP_2) | instskip(NEXT) | instid1(VALU_DEP_2)
	v_cndmask_b32_e64 v88, v89, v84, s27
	v_cndmask_b32_e64 v89, v85, v84, s18
	s_delay_alu instid0(VALU_DEP_2) | instskip(NEXT) | instid1(VALU_DEP_2)
	v_perm_b32 v85, v88, v90, 0x5040100
	v_perm_b32 v84, v89, v66, 0x5040100
	ds_store_b128 v76, v[69:72]
	ds_store_b128 v76, v[83:86] offset:1024
	v_cmpx_gt_u32_e32 11, v0
	s_cbranch_execz .LBB1596_78
; %bb.77:
	s_mul_i32 s4, s8, s30
	s_delay_alu instid0(SALU_CYCLE_1) | instskip(SKIP_1) | instid1(VALU_DEP_1)
	v_add3_u32 v69, s4, s31, v65
	s_load_b128 s[4:7], s[0:1], 0x58
	v_mad_u64_u32 v[65:66], null, v69, s34, s[14:15]
	s_delay_alu instid0(VALU_DEP_1) | instskip(NEXT) | instid1(VALU_DEP_1)
	v_ashrrev_i32_e32 v66, 31, v65
	v_lshlrev_b64 v[65:66], 2, v[65:66]
	s_waitcnt lgkmcnt(0)
	s_delay_alu instid0(VALU_DEP_1) | instskip(NEXT) | instid1(VALU_DEP_2)
	v_add_co_u32 v69, vcc_lo, s6, v65
	v_add_co_ci_u32_e32 v70, vcc_lo, s7, v66, vcc_lo
	v_add_co_u32 v65, vcc_lo, s4, v65
	v_add_co_ci_u32_e32 v66, vcc_lo, s5, v66, vcc_lo
	global_store_b32 v[69:70], v67, off
	global_store_b32 v[65:66], v68, off
.LBB1596_78:
	s_or_b32 exec_lo, exec_lo, s3
	s_waitcnt lgkmcnt(0)
	s_waitcnt_vscnt null, 0x0
	s_barrier
	buffer_gl0_inv
	ds_load_b128 v[83:86], v80
	ds_load_b128 v[87:90], v80 offset:16
	ds_load_b128 v[95:98], v80 offset:2064
	;; [unrolled: 1-line block ×3, first 2 shown]
	v_mov_b32_e32 v65, 0
	ds_load_b128 v[103:106], v80 offset:4112
	ds_load_b128 v[99:102], v80 offset:4096
	ds_load_b128 v[111:114], v80 offset:6160
	ds_load_b128 v[107:110], v80 offset:6144
	v_mov_b32_e32 v66, v65
	v_mov_b32_e32 v67, v65
	;; [unrolled: 1-line block ×7, first 2 shown]
	s_waitcnt lgkmcnt(6)
	s_delay_alu instid0(VALU_DEP_1)
	v_wmma_f32_16x16x16_bf16 v[65:72], v[49:56], v[83:90], v[65:72]
	ds_load_b128 v[53:56], v80 offset:8208
	ds_load_b128 v[49:52], v80 offset:8192
	s_waitcnt lgkmcnt(6)
	v_wmma_f32_16x16x16_bf16 v[65:72], v[41:48], v[91:98], v[65:72]
	ds_load_b128 v[45:48], v80 offset:10256
	ds_load_b128 v[41:44], v80 offset:10240
	s_waitcnt lgkmcnt(6)
	;; [unrolled: 4-line block ×4, first 2 shown]
	v_wmma_f32_16x16x16_bf16 v[65:72], v[1:8], v[49:56], v[65:72]
	s_waitcnt lgkmcnt(4)
	s_delay_alu instid0(VALU_DEP_1) | instskip(SKIP_1) | instid1(VALU_DEP_1)
	v_wmma_f32_16x16x16_bf16 v[65:72], v[9:16], v[41:48], v[65:72]
	s_waitcnt lgkmcnt(2)
	v_wmma_f32_16x16x16_bf16 v[65:72], v[17:24], v[33:40], v[65:72]
	s_waitcnt lgkmcnt(0)
	s_delay_alu instid0(VALU_DEP_1) | instskip(NEXT) | instid1(VALU_DEP_1)
	v_wmma_f32_16x16x16_bf16 v[65:72], v[57:64], v[25:32], v[65:72]
	v_and_b32_e32 v1, 0x7f800000, v65
	s_delay_alu instid0(VALU_DEP_1) | instskip(SKIP_1) | instid1(SALU_CYCLE_1)
	v_cmp_ne_u32_e32 vcc_lo, 0x7f800000, v1
                                        ; implicit-def: $vgpr1
	s_and_saveexec_b32 s3, vcc_lo
	s_xor_b32 s3, exec_lo, s3
; %bb.79:
	v_bfe_u32 v1, v65, 16, 1
	s_delay_alu instid0(VALU_DEP_1)
	v_add3_u32 v1, v65, v1, 0x7fff
; %bb.80:
	s_and_not1_saveexec_b32 s3, s3
; %bb.81:
	v_and_b32_e32 v1, 0xffff, v65
	v_or_b32_e32 v2, 0x10000, v65
	s_delay_alu instid0(VALU_DEP_2) | instskip(NEXT) | instid1(VALU_DEP_2)
	v_cmp_eq_u32_e32 vcc_lo, 0, v1
	v_cndmask_b32_e32 v1, v2, v65, vcc_lo
; %bb.82:
	s_or_b32 exec_lo, exec_lo, s3
	v_and_b32_e32 v2, 0x7f800000, v66
	s_delay_alu instid0(VALU_DEP_1) | instskip(SKIP_1) | instid1(SALU_CYCLE_1)
	v_cmp_ne_u32_e32 vcc_lo, 0x7f800000, v2
                                        ; implicit-def: $vgpr2
	s_and_saveexec_b32 s3, vcc_lo
	s_xor_b32 s3, exec_lo, s3
; %bb.83:
	v_bfe_u32 v2, v66, 16, 1
	s_delay_alu instid0(VALU_DEP_1)
	v_add3_u32 v2, v66, v2, 0x7fff
; %bb.84:
	s_and_not1_saveexec_b32 s3, s3
; %bb.85:
	v_and_b32_e32 v2, 0xffff, v66
	v_or_b32_e32 v3, 0x10000, v66
	s_delay_alu instid0(VALU_DEP_2) | instskip(NEXT) | instid1(VALU_DEP_2)
	v_cmp_eq_u32_e32 vcc_lo, 0, v2
	v_cndmask_b32_e32 v2, v3, v66, vcc_lo
; %bb.86:
	s_or_b32 exec_lo, exec_lo, s3
	v_and_b32_e32 v3, 0x7f800000, v67
	s_delay_alu instid0(VALU_DEP_1) | instskip(SKIP_1) | instid1(SALU_CYCLE_1)
	v_cmp_ne_u32_e32 vcc_lo, 0x7f800000, v3
                                        ; implicit-def: $vgpr3
	s_and_saveexec_b32 s3, vcc_lo
	s_xor_b32 s3, exec_lo, s3
; %bb.87:
	v_bfe_u32 v3, v67, 16, 1
	s_delay_alu instid0(VALU_DEP_1)
	v_add3_u32 v3, v67, v3, 0x7fff
; %bb.88:
	s_and_not1_saveexec_b32 s3, s3
; %bb.89:
	v_and_b32_e32 v3, 0xffff, v67
	v_or_b32_e32 v4, 0x10000, v67
	s_delay_alu instid0(VALU_DEP_2) | instskip(NEXT) | instid1(VALU_DEP_2)
	v_cmp_eq_u32_e32 vcc_lo, 0, v3
	v_cndmask_b32_e32 v3, v4, v67, vcc_lo
; %bb.90:
	s_or_b32 exec_lo, exec_lo, s3
	v_and_b32_e32 v4, 0x7f800000, v68
	s_delay_alu instid0(VALU_DEP_1) | instskip(SKIP_1) | instid1(SALU_CYCLE_1)
	v_cmp_ne_u32_e32 vcc_lo, 0x7f800000, v4
                                        ; implicit-def: $vgpr4
	s_and_saveexec_b32 s3, vcc_lo
	s_xor_b32 s3, exec_lo, s3
; %bb.91:
	v_bfe_u32 v4, v68, 16, 1
	s_delay_alu instid0(VALU_DEP_1)
	v_add3_u32 v4, v68, v4, 0x7fff
; %bb.92:
	s_and_not1_saveexec_b32 s3, s3
; %bb.93:
	v_and_b32_e32 v4, 0xffff, v68
	v_or_b32_e32 v5, 0x10000, v68
	s_delay_alu instid0(VALU_DEP_2) | instskip(NEXT) | instid1(VALU_DEP_2)
	v_cmp_eq_u32_e32 vcc_lo, 0, v4
	v_cndmask_b32_e32 v4, v5, v68, vcc_lo
; %bb.94:
	s_or_b32 exec_lo, exec_lo, s3
	v_and_b32_e32 v5, 0x7f800000, v69
	s_delay_alu instid0(VALU_DEP_1) | instskip(SKIP_1) | instid1(SALU_CYCLE_1)
	v_cmp_ne_u32_e32 vcc_lo, 0x7f800000, v5
                                        ; implicit-def: $vgpr5
	s_and_saveexec_b32 s3, vcc_lo
	s_xor_b32 s3, exec_lo, s3
; %bb.95:
	v_bfe_u32 v5, v69, 16, 1
	s_delay_alu instid0(VALU_DEP_1)
	v_add3_u32 v5, v69, v5, 0x7fff
; %bb.96:
	s_and_not1_saveexec_b32 s3, s3
; %bb.97:
	v_and_b32_e32 v5, 0xffff, v69
	v_or_b32_e32 v6, 0x10000, v69
	s_delay_alu instid0(VALU_DEP_2) | instskip(NEXT) | instid1(VALU_DEP_2)
	v_cmp_eq_u32_e32 vcc_lo, 0, v5
	v_cndmask_b32_e32 v5, v6, v69, vcc_lo
; %bb.98:
	s_or_b32 exec_lo, exec_lo, s3
	v_and_b32_e32 v6, 0x7f800000, v70
	s_delay_alu instid0(VALU_DEP_1) | instskip(SKIP_1) | instid1(SALU_CYCLE_1)
	v_cmp_ne_u32_e32 vcc_lo, 0x7f800000, v6
                                        ; implicit-def: $vgpr6
	s_and_saveexec_b32 s3, vcc_lo
	s_xor_b32 s3, exec_lo, s3
; %bb.99:
	v_bfe_u32 v6, v70, 16, 1
	s_delay_alu instid0(VALU_DEP_1)
	v_add3_u32 v6, v70, v6, 0x7fff
; %bb.100:
	s_and_not1_saveexec_b32 s3, s3
; %bb.101:
	v_and_b32_e32 v6, 0xffff, v70
	v_or_b32_e32 v7, 0x10000, v70
	s_delay_alu instid0(VALU_DEP_2) | instskip(NEXT) | instid1(VALU_DEP_2)
	v_cmp_eq_u32_e32 vcc_lo, 0, v6
	v_cndmask_b32_e32 v6, v7, v70, vcc_lo
; %bb.102:
	s_or_b32 exec_lo, exec_lo, s3
	v_and_b32_e32 v7, 0x7f800000, v71
	s_delay_alu instid0(VALU_DEP_1) | instskip(SKIP_1) | instid1(SALU_CYCLE_1)
	v_cmp_ne_u32_e32 vcc_lo, 0x7f800000, v7
                                        ; implicit-def: $vgpr7
	s_and_saveexec_b32 s3, vcc_lo
	s_xor_b32 s3, exec_lo, s3
; %bb.103:
	v_bfe_u32 v7, v71, 16, 1
	s_delay_alu instid0(VALU_DEP_1)
	v_add3_u32 v7, v71, v7, 0x7fff
; %bb.104:
	s_and_not1_saveexec_b32 s3, s3
; %bb.105:
	v_and_b32_e32 v7, 0xffff, v71
	v_or_b32_e32 v8, 0x10000, v71
	s_delay_alu instid0(VALU_DEP_2) | instskip(NEXT) | instid1(VALU_DEP_2)
	v_cmp_eq_u32_e32 vcc_lo, 0, v7
	v_cndmask_b32_e32 v7, v8, v71, vcc_lo
; %bb.106:
	s_or_b32 exec_lo, exec_lo, s3
	v_and_b32_e32 v8, 0x7f800000, v72
	s_delay_alu instid0(VALU_DEP_1) | instskip(SKIP_1) | instid1(SALU_CYCLE_1)
	v_cmp_ne_u32_e32 vcc_lo, 0x7f800000, v8
                                        ; implicit-def: $vgpr8
	s_and_saveexec_b32 s3, vcc_lo
	s_xor_b32 s3, exec_lo, s3
; %bb.107:
	v_bfe_u32 v8, v72, 16, 1
	s_delay_alu instid0(VALU_DEP_1)
	v_add3_u32 v8, v72, v8, 0x7fff
                                        ; implicit-def: $vgpr65_vgpr66_vgpr67_vgpr68_vgpr69_vgpr70_vgpr71_vgpr72
; %bb.108:
	s_and_not1_saveexec_b32 s3, s3
; %bb.109:
	v_and_b32_e32 v8, 0xffff, v72
	v_or_b32_e32 v9, 0x10000, v72
	s_delay_alu instid0(VALU_DEP_2) | instskip(NEXT) | instid1(VALU_DEP_2)
	v_cmp_eq_u32_e32 vcc_lo, 0, v8
	v_cndmask_b32_e32 v8, v9, v72, vcc_lo
; %bb.110:
	s_or_b32 exec_lo, exec_lo, s3
	s_delay_alu instid0(VALU_DEP_1)
	v_perm_b32 v7, v8, v7, 0x7060302
	v_perm_b32 v6, v6, v5, 0x7060302
	v_perm_b32 v5, v4, v3, 0x7060302
	v_perm_b32 v4, v2, v1, 0x7060302
	s_barrier
	buffer_gl0_inv
	v_cmp_eq_u32_e32 vcc_lo, 1, v78
	ds_store_b128 v76, v[4:7]
	s_waitcnt lgkmcnt(0)
	s_barrier
	buffer_gl0_inv
	ds_load_b128 v[1:4], v82
	ds_load_b128 v[5:8], v82 offset:16
	v_cmp_eq_u32_e64 s3, 1, v79
	v_cmp_eq_u32_e64 s4, 2, v78
	;; [unrolled: 1-line block ×5, first 2 shown]
	s_waitcnt lgkmcnt(1)
	v_lshrrev_b32_e32 v9, 16, v1
	s_waitcnt lgkmcnt(0)
	v_lshrrev_b32_e32 v13, 16, v5
	v_lshrrev_b32_e32 v10, 16, v2
	;; [unrolled: 1-line block ×4, first 2 shown]
	v_cndmask_b32_e64 v19, v1, v9, s3
	v_cndmask_b32_e32 v18, v5, v13, vcc_lo
	v_cndmask_b32_e64 v20, v5, v13, s3
	v_cndmask_b32_e32 v17, v1, v9, vcc_lo
	v_cmp_eq_u32_e32 vcc_lo, 2, v79
	v_lshrrev_b32_e32 v15, 16, v7
	v_cmp_eq_u32_e64 s3, 1, v77
	v_lshrrev_b32_e32 v12, 16, v4
	v_lshrrev_b32_e32 v16, 16, v8
	v_cndmask_b32_e32 v20, v20, v6, vcc_lo
	v_cndmask_b32_e64 v17, v17, v2, s4
	v_cndmask_b32_e32 v19, v19, v2, vcc_lo
	v_cndmask_b32_e64 v18, v18, v6, s4
	v_cmp_eq_u32_e32 vcc_lo, 4, v78
	v_cmp_eq_u32_e64 s4, 3, v79
	v_cndmask_b32_e64 v17, v17, v10, s5
	v_cndmask_b32_e64 v21, v1, v9, s3
	;; [unrolled: 1-line block ×5, first 2 shown]
	v_cndmask_b32_e32 v17, v17, v3, vcc_lo
	v_cndmask_b32_e64 v20, v20, v14, s4
	v_cndmask_b32_e32 v18, v18, v7, vcc_lo
	v_cmp_eq_u32_e32 vcc_lo, 4, v79
	v_cmp_eq_u32_e64 s4, 5, v79
	v_cmp_eq_u32_e64 s3, 2, v81
	v_cndmask_b32_e64 v21, v21, v2, s7
	v_cmp_eq_u32_e64 s5, 5, v78
	v_cndmask_b32_e32 v19, v19, v3, vcc_lo
	v_cndmask_b32_e32 v20, v20, v7, vcc_lo
	v_cmp_eq_u32_e32 vcc_lo, 6, v79
	s_delay_alu instid0(VALU_DEP_4) | instskip(NEXT) | instid1(VALU_DEP_4)
	v_cndmask_b32_e64 v17, v17, v11, s5
	v_cndmask_b32_e64 v19, v19, v11, s4
	s_delay_alu instid0(VALU_DEP_4) | instskip(SKIP_1) | instid1(VALU_DEP_3)
	v_cndmask_b32_e64 v20, v20, v15, s4
	v_cmp_eq_u32_e64 s4, 1, v81
	v_cndmask_b32_e32 v19, v19, v4, vcc_lo
	v_cndmask_b32_e64 v18, v18, v15, s5
	s_delay_alu instid0(VALU_DEP_3)
	v_cndmask_b32_e64 v1, v1, v9, s4
	v_cndmask_b32_e64 v5, v5, v13, s4
	v_cmp_eq_u32_e64 s4, 3, v77
	v_cndmask_b32_e64 v13, v22, v6, s7
	v_cmp_eq_u32_e64 s7, 3, v81
	v_cndmask_b32_e64 v1, v1, v2, s3
	v_cndmask_b32_e64 v2, v5, v6, s3
	;; [unrolled: 1-line block ×3, first 2 shown]
	v_cmp_eq_u32_e64 s3, 4, v77
	v_cndmask_b32_e64 v6, v13, v14, s4
	v_cndmask_b32_e64 v1, v1, v10, s7
	v_cmp_eq_u32_e64 s4, 4, v81
	v_cndmask_b32_e64 v2, v2, v14, s7
	v_cndmask_b32_e64 v5, v9, v3, s3
	;; [unrolled: 3-line block ×3, first 2 shown]
	v_cndmask_b32_e64 v2, v2, v7, s4
	v_cmp_eq_u32_e64 s3, 5, v81
	v_cmp_eq_u32_e64 s5, 6, v78
	v_cndmask_b32_e64 v5, v5, v11, s7
	v_cmp_eq_u32_e64 s4, 6, v77
	v_cndmask_b32_e64 v3, v6, v15, s7
	v_cndmask_b32_e64 v1, v1, v11, s3
	v_cmp_eq_u32_e64 s7, 6, v81
	v_cndmask_b32_e64 v2, v2, v15, s3
	v_cndmask_b32_e64 v17, v17, v4, s5
	v_cndmask_b32_e64 v18, v18, v8, s5
	v_cmp_eq_u32_e64 s5, 7, v78
	v_cndmask_b32_e64 v5, v5, v4, s4
	;; [unrolled: 4-line block ×3, first 2 shown]
	v_cmp_eq_u32_e64 s4, 7, v77
	v_cndmask_b32_e32 v4, v20, v8, vcc_lo
	v_cndmask_b32_e64 v17, v17, v12, s5
	v_cndmask_b32_e64 v19, v19, v12, s6
	;; [unrolled: 1-line block ×8, first 2 shown]
	s_mov_b32 s3, exec_lo
	v_perm_b32 v4, v2, v1, 0x5040100
	v_perm_b32 v3, v3, v5, 0x5040100
	;; [unrolled: 1-line block ×4, first 2 shown]
	ds_store_b128 v76, v[1:4]
	s_waitcnt lgkmcnt(0)
	s_barrier
	buffer_gl0_inv
	v_cmpx_gt_u32_e32 32, v0
	s_cbranch_execz .LBB1596_2
; %bb.111:
	s_load_b64 s[4:5], s[0:1], 0x68
	v_lshlrev_b32_e32 v0, 10, v0
	v_lshlrev_b32_e32 v1, 4, v75
	s_lshl_b32 s0, s34, 7
	v_add_nc_u32_e32 v7, s31, v74
	s_mul_i32 s1, s0, s30
	s_delay_alu instid0(SALU_CYCLE_1) | instskip(SKIP_1) | instid1(VALU_DEP_2)
	s_mul_i32 s6, s1, s8
	v_and_or_b32 v0, 0x3800, v0, v1
	v_mul_lo_u32 v1, v7, s0
	v_add_nc_u32_e32 v2, 2, v7
	s_ashr_i32 s7, s6, 31
	v_add_nc_u32_e32 v4, 4, v7
	s_lshl_b64 s[6:7], s[6:7], 1
	v_add_nc_u32_e32 v8, 6, v7
	v_mul_lo_u32 v3, v2, s0
	v_lshl_or_b32 v19, v74, 6, v0
	v_ashrrev_i32_e32 v2, 31, v1
	v_mul_lo_u32 v11, v4, s0
	v_mul_lo_u32 v25, v8, s0
	s_waitcnt lgkmcnt(0)
	s_add_u32 s1, s4, s6
	s_addc_u32 s3, s5, s7
	s_lshl_b32 s4, s14, 7
	v_lshlrev_b64 v[5:6], 1, v[1:2]
	s_ashr_i32 s5, s4, 31
	v_ashrrev_i32_e32 v4, 31, v3
	s_lshl_b64 s[4:5], s[4:5], 1
	v_ashrrev_i32_e32 v12, 31, v11
	s_add_u32 s1, s1, s4
	s_addc_u32 s3, s3, s5
	v_add_co_u32 v1, s1, s1, v73
	s_delay_alu instid0(VALU_DEP_1) | instskip(SKIP_1) | instid1(VALU_DEP_3)
	v_add_co_ci_u32_e64 v2, null, s3, 0, s1
	v_lshlrev_b64 v[3:4], 1, v[3:4]
	v_add_co_u32 v23, vcc_lo, v1, v5
	v_add_nc_u32_e32 v5, 8, v7
	s_delay_alu instid0(VALU_DEP_4) | instskip(NEXT) | instid1(VALU_DEP_4)
	v_add_co_ci_u32_e32 v24, vcc_lo, v2, v6, vcc_lo
	v_add_co_u32 v27, vcc_lo, v1, v3
	s_delay_alu instid0(VALU_DEP_3)
	v_mul_lo_u32 v29, v5, s0
	v_add_co_ci_u32_e32 v28, vcc_lo, v2, v4, vcc_lo
	ds_load_b128 v[3:6], v19
	ds_load_b128 v[7:10], v19 offset:128
	v_lshlrev_b64 v[31:32], 1, v[11:12]
	ds_load_b128 v[11:14], v19 offset:256
	ds_load_b128 v[15:18], v19 offset:384
	;; [unrolled: 1-line block ×3, first 2 shown]
	v_ashrrev_i32_e32 v26, 31, v25
	v_ashrrev_i32_e32 v30, 31, v29
	v_add_co_u32 v31, vcc_lo, v1, v31
	s_delay_alu instid0(VALU_DEP_3) | instskip(NEXT) | instid1(VALU_DEP_3)
	v_lshlrev_b64 v[25:26], 1, v[25:26]
	v_lshlrev_b64 v[29:30], 1, v[29:30]
	v_add_co_ci_u32_e32 v32, vcc_lo, v2, v32, vcc_lo
	s_delay_alu instid0(VALU_DEP_3) | instskip(NEXT) | instid1(VALU_DEP_4)
	v_add_co_u32 v25, vcc_lo, v1, v25
	v_add_co_ci_u32_e32 v26, vcc_lo, v2, v26, vcc_lo
	s_delay_alu instid0(VALU_DEP_4)
	v_add_co_u32 v29, vcc_lo, v1, v29
	v_add_co_ci_u32_e32 v30, vcc_lo, v2, v30, vcc_lo
	s_waitcnt lgkmcnt(4)
	global_store_b128 v[23:24], v[3:6], off
	s_waitcnt lgkmcnt(3)
	global_store_b128 v[27:28], v[7:10], off
	;; [unrolled: 2-line block ×5, first 2 shown]
	s_and_b32 exec_lo, exec_lo, s2
	s_cbranch_execz .LBB1596_2
; %bb.112:
	ds_load_b128 v[3:6], v0 offset:640
	s_add_i32 s1, s31, 10
	s_delay_alu instid0(SALU_CYCLE_1) | instskip(NEXT) | instid1(SALU_CYCLE_1)
	s_mul_i32 s0, s1, s0
	s_ashr_i32 s1, s0, 31
	s_delay_alu instid0(SALU_CYCLE_1) | instskip(NEXT) | instid1(SALU_CYCLE_1)
	s_lshl_b64 s[0:1], s[0:1], 1
	v_add_co_u32 v0, vcc_lo, v1, s0
	v_add_co_ci_u32_e32 v1, vcc_lo, s1, v2, vcc_lo
	s_waitcnt lgkmcnt(0)
	global_store_b128 v[0:1], v[3:6], off
	s_nop 0
	s_sendmsg sendmsg(MSG_DEALLOC_VGPRS)
	s_endpgm
	.section	.rodata,"a",@progbits
	.p2align	6, 0x0
	.amdhsa_kernel _Z39paged_attention_ll4mi_QKV_mfma16_kernelI14__hip_bfloat16hLN4vllm18Fp8KVCacheDataTypeE1EhLi32ELi128ELi256ELb1ELi11EL8MFMAType1EEvPKT_PKT0_S9_ifPKiSB_SB_iPKfiiiPfSE_PS4_PT2_iSD_SD_
		.amdhsa_group_segment_fixed_size 17472
		.amdhsa_private_segment_fixed_size 0
		.amdhsa_kernarg_size 400
		.amdhsa_user_sgpr_count 13
		.amdhsa_user_sgpr_dispatch_ptr 0
		.amdhsa_user_sgpr_queue_ptr 0
		.amdhsa_user_sgpr_kernarg_segment_ptr 1
		.amdhsa_user_sgpr_dispatch_id 0
		.amdhsa_user_sgpr_private_segment_size 0
		.amdhsa_wavefront_size32 1
		.amdhsa_uses_dynamic_stack 0
		.amdhsa_enable_private_segment 0
		.amdhsa_system_sgpr_workgroup_id_x 1
		.amdhsa_system_sgpr_workgroup_id_y 1
		.amdhsa_system_sgpr_workgroup_id_z 1
		.amdhsa_system_sgpr_workgroup_info 0
		.amdhsa_system_vgpr_workitem_id 0
		.amdhsa_next_free_vgpr 140
		.amdhsa_next_free_sgpr 36
		.amdhsa_reserve_vcc 1
		.amdhsa_float_round_mode_32 0
		.amdhsa_float_round_mode_16_64 0
		.amdhsa_float_denorm_mode_32 3
		.amdhsa_float_denorm_mode_16_64 3
		.amdhsa_dx10_clamp 1
		.amdhsa_ieee_mode 1
		.amdhsa_fp16_overflow 0
		.amdhsa_workgroup_processor_mode 1
		.amdhsa_memory_ordered 1
		.amdhsa_forward_progress 0
		.amdhsa_shared_vgpr_count 0
		.amdhsa_exception_fp_ieee_invalid_op 0
		.amdhsa_exception_fp_denorm_src 0
		.amdhsa_exception_fp_ieee_div_zero 0
		.amdhsa_exception_fp_ieee_overflow 0
		.amdhsa_exception_fp_ieee_underflow 0
		.amdhsa_exception_fp_ieee_inexact 0
		.amdhsa_exception_int_div_zero 0
	.end_amdhsa_kernel
	.section	.text._Z39paged_attention_ll4mi_QKV_mfma16_kernelI14__hip_bfloat16hLN4vllm18Fp8KVCacheDataTypeE1EhLi32ELi128ELi256ELb1ELi11EL8MFMAType1EEvPKT_PKT0_S9_ifPKiSB_SB_iPKfiiiPfSE_PS4_PT2_iSD_SD_,"axG",@progbits,_Z39paged_attention_ll4mi_QKV_mfma16_kernelI14__hip_bfloat16hLN4vllm18Fp8KVCacheDataTypeE1EhLi32ELi128ELi256ELb1ELi11EL8MFMAType1EEvPKT_PKT0_S9_ifPKiSB_SB_iPKfiiiPfSE_PS4_PT2_iSD_SD_,comdat
.Lfunc_end1596:
	.size	_Z39paged_attention_ll4mi_QKV_mfma16_kernelI14__hip_bfloat16hLN4vllm18Fp8KVCacheDataTypeE1EhLi32ELi128ELi256ELb1ELi11EL8MFMAType1EEvPKT_PKT0_S9_ifPKiSB_SB_iPKfiiiPfSE_PS4_PT2_iSD_SD_, .Lfunc_end1596-_Z39paged_attention_ll4mi_QKV_mfma16_kernelI14__hip_bfloat16hLN4vllm18Fp8KVCacheDataTypeE1EhLi32ELi128ELi256ELb1ELi11EL8MFMAType1EEvPKT_PKT0_S9_ifPKiSB_SB_iPKfiiiPfSE_PS4_PT2_iSD_SD_
                                        ; -- End function
	.section	.AMDGPU.csdata,"",@progbits
; Kernel info:
; codeLenInByte = 9048
; NumSgprs: 38
; NumVgprs: 140
; ScratchSize: 0
; MemoryBound: 0
; FloatMode: 240
; IeeeMode: 1
; LDSByteSize: 17472 bytes/workgroup (compile time only)
; SGPRBlocks: 4
; VGPRBlocks: 17
; NumSGPRsForWavesPerEU: 38
; NumVGPRsForWavesPerEU: 140
; Occupancy: 10
; WaveLimiterHint : 1
; COMPUTE_PGM_RSRC2:SCRATCH_EN: 0
; COMPUTE_PGM_RSRC2:USER_SGPR: 13
; COMPUTE_PGM_RSRC2:TRAP_HANDLER: 0
; COMPUTE_PGM_RSRC2:TGID_X_EN: 1
; COMPUTE_PGM_RSRC2:TGID_Y_EN: 1
; COMPUTE_PGM_RSRC2:TGID_Z_EN: 1
; COMPUTE_PGM_RSRC2:TIDIG_COMP_CNT: 0
	.section	.text._Z39paged_attention_ll4mi_QKV_mfma16_kernelI14__hip_bfloat16hLN4vllm18Fp8KVCacheDataTypeE1EhLi32ELi128ELi256ELb1ELi12EL8MFMAType1EEvPKT_PKT0_S9_ifPKiSB_SB_iPKfiiiPfSE_PS4_PT2_iSD_SD_,"axG",@progbits,_Z39paged_attention_ll4mi_QKV_mfma16_kernelI14__hip_bfloat16hLN4vllm18Fp8KVCacheDataTypeE1EhLi32ELi128ELi256ELb1ELi12EL8MFMAType1EEvPKT_PKT0_S9_ifPKiSB_SB_iPKfiiiPfSE_PS4_PT2_iSD_SD_,comdat
	.protected	_Z39paged_attention_ll4mi_QKV_mfma16_kernelI14__hip_bfloat16hLN4vllm18Fp8KVCacheDataTypeE1EhLi32ELi128ELi256ELb1ELi12EL8MFMAType1EEvPKT_PKT0_S9_ifPKiSB_SB_iPKfiiiPfSE_PS4_PT2_iSD_SD_ ; -- Begin function _Z39paged_attention_ll4mi_QKV_mfma16_kernelI14__hip_bfloat16hLN4vllm18Fp8KVCacheDataTypeE1EhLi32ELi128ELi256ELb1ELi12EL8MFMAType1EEvPKT_PKT0_S9_ifPKiSB_SB_iPKfiiiPfSE_PS4_PT2_iSD_SD_
	.globl	_Z39paged_attention_ll4mi_QKV_mfma16_kernelI14__hip_bfloat16hLN4vllm18Fp8KVCacheDataTypeE1EhLi32ELi128ELi256ELb1ELi12EL8MFMAType1EEvPKT_PKT0_S9_ifPKiSB_SB_iPKfiiiPfSE_PS4_PT2_iSD_SD_
	.p2align	8
	.type	_Z39paged_attention_ll4mi_QKV_mfma16_kernelI14__hip_bfloat16hLN4vllm18Fp8KVCacheDataTypeE1EhLi32ELi128ELi256ELb1ELi12EL8MFMAType1EEvPKT_PKT0_S9_ifPKiSB_SB_iPKfiiiPfSE_PS4_PT2_iSD_SD_,@function
_Z39paged_attention_ll4mi_QKV_mfma16_kernelI14__hip_bfloat16hLN4vllm18Fp8KVCacheDataTypeE1EhLi32ELi128ELi256ELb1ELi12EL8MFMAType1EEvPKT_PKT0_S9_ifPKiSB_SB_iPKfiiiPfSE_PS4_PT2_iSD_SD_: ; @_Z39paged_attention_ll4mi_QKV_mfma16_kernelI14__hip_bfloat16hLN4vllm18Fp8KVCacheDataTypeE1EhLi32ELi128ELi256ELb1ELi12EL8MFMAType1EEvPKT_PKT0_S9_ifPKiSB_SB_iPKfiiiPfSE_PS4_PT2_iSD_SD_
; %bb.0:
	s_load_b64 s[4:5], s[0:1], 0x30
	s_mov_b32 s30, s13
	s_waitcnt lgkmcnt(0)
	s_cmp_lg_u64 s[4:5], 0
	s_cselect_b32 s13, -1, 0
	s_ashr_i32 s31, s30, 31
	s_cmp_eq_u64 s[4:5], 0
	s_cbranch_scc1 .LBB1597_3
; %bb.1:
	s_lshl_b64 s[2:3], s[30:31], 2
	s_delay_alu instid0(SALU_CYCLE_1) | instskip(SKIP_4) | instid1(SALU_CYCLE_1)
	s_add_u32 s2, s4, s2
	s_addc_u32 s3, s5, s3
	s_load_b64 s[2:3], s[2:3], 0x0
	s_waitcnt lgkmcnt(0)
	s_sub_i32 s2, s3, s2
	s_cmp_eq_u32 s2, 1
	s_cselect_b32 s2, -1, 0
	s_delay_alu instid0(SALU_CYCLE_1)
	s_and_not1_b32 vcc_lo, exec_lo, s2
	s_cbranch_vccz .LBB1597_4
.LBB1597_2:
	s_endpgm
.LBB1597_3:
.LBB1597_4:
	s_load_b64 s[2:3], s[0:1], 0x28
	s_lshl_b64 s[6:7], s[30:31], 2
	s_waitcnt lgkmcnt(0)
	s_add_u32 s2, s2, s6
	s_addc_u32 s3, s3, s7
	s_lshl_b32 s12, s14, 8
	s_load_b32 s17, s[2:3], 0x0
	s_waitcnt lgkmcnt(0)
	s_cmp_ge_i32 s12, s17
	s_cbranch_scc1 .LBB1597_2
; %bb.5:
	s_clause 0x1
	s_load_b128 s[8:11], s[0:1], 0x8
	s_load_b64 s[2:3], s[0:1], 0x20
	s_and_not1_b32 vcc_lo, exec_lo, s13
	s_cbranch_vccnz .LBB1597_7
; %bb.6:
	s_add_u32 s4, s4, s6
	s_addc_u32 s5, s5, s7
	s_load_b32 s13, s[4:5], 0x0
	s_branch .LBB1597_8
.LBB1597_7:
	s_mov_b32 s13, s30
.LBB1597_8:
	s_load_b128 s[4:7], s[0:1], 0x48
	v_and_b32_e32 v65, 15, v0
	v_lshrrev_b32_e32 v66, 5, v0
	v_and_b32_e32 v67, 31, v0
	v_and_b32_e32 v75, 1, v0
	v_bfe_u32 v74, v0, 4, 1
	v_lshlrev_b32_e32 v1, 3, v65
	s_mul_i32 s29, s15, 12
	s_waitcnt lgkmcnt(0)
	s_mov_b32 s7, exec_lo
	s_delay_alu instid0(VALU_DEP_1)
	v_lshlrev_b32_e32 v73, 1, v1
	v_cmpx_gt_u32_e32 0xc0, v0
	s_cbranch_execz .LBB1597_10
; %bb.9:
	s_load_b64 s[18:19], s[0:1], 0x0
	v_lshl_or_b32 v5, v66, 1, v74
	s_mul_hi_i32 s21, s13, s4
	s_mul_i32 s20, s13, s4
	v_lshlrev_b32_e32 v6, 10, v65
	s_lshl_b64 s[20:21], s[20:21], 1
	v_add_lshl_u32 v1, v5, s29, 7
	v_lshlrev_b32_e32 v5, 6, v5
	v_lshlrev_b32_e32 v7, 10, v75
	v_and_b32_e32 v6, 0x3800, v6
	s_delay_alu instid0(VALU_DEP_4) | instskip(NEXT) | instid1(VALU_DEP_2)
	v_ashrrev_i32_e32 v2, 31, v1
	v_or3_b32 v5, v6, v7, v5
	s_delay_alu instid0(VALU_DEP_2) | instskip(SKIP_3) | instid1(VALU_DEP_1)
	v_lshlrev_b64 v[1:2], 1, v[1:2]
	s_waitcnt lgkmcnt(0)
	s_add_u32 s4, s18, s20
	s_addc_u32 s13, s19, s21
	v_add_co_u32 v1, vcc_lo, s4, v1
	s_delay_alu instid0(VALU_DEP_2) | instskip(NEXT) | instid1(VALU_DEP_2)
	v_add_co_ci_u32_e32 v2, vcc_lo, s13, v2, vcc_lo
	v_add_co_u32 v1, vcc_lo, v1, v73
	s_delay_alu instid0(VALU_DEP_2)
	v_add_co_ci_u32_e32 v2, vcc_lo, 0, v2, vcc_lo
	global_load_b128 v[1:4], v[1:2], off
	s_waitcnt vmcnt(0)
	ds_store_b128 v5, v[1:4]
.LBB1597_10:
	s_or_b32 exec_lo, exec_lo, s7
	v_and_b32_e32 v1, 0xef, v0
	s_add_i32 s4, s17, 31
	s_clause 0x1
	s_load_b32 s7, s[0:1], 0x38
	s_load_b32 s18, s[0:1], 0x1c
	s_ashr_i32 s13, s4, 31
	v_add_nc_u32_e32 v1, s12, v1
	s_lshr_b32 s13, s13, 27
	s_waitcnt lgkmcnt(0)
	s_add_i32 s4, s4, s13
	s_barrier
	v_ashrrev_i32_e32 v2, 31, v1
	v_or_b32_e32 v3, 16, v1
	s_ashr_i32 s4, s4, 5
	v_cmp_gt_i32_e32 vcc_lo, s17, v1
	s_add_i32 s4, s4, -1
	v_lshrrev_b32_e32 v2, 27, v2
	buffer_gl0_inv
	s_mul_i32 s15, s15, s6
	v_add_nc_u32_e32 v4, v1, v2
	s_mul_i32 s20, s30, s7
	s_delay_alu instid0(SALU_CYCLE_1) | instskip(NEXT) | instid1(VALU_DEP_1)
	s_ashr_i32 s21, s20, 31
	v_ashrrev_i32_e32 v4, 5, v4
	v_add_nc_u32_e32 v2, v3, v2
	s_lshl_b64 s[20:21], s[20:21], 2
	s_delay_alu instid0(SALU_CYCLE_1) | instskip(NEXT) | instid1(VALU_DEP_2)
	s_add_u32 s13, s2, s20
	v_cndmask_b32_e32 v1, s4, v4, vcc_lo
	s_delay_alu instid0(VALU_DEP_2)
	v_ashrrev_i32_e32 v2, 5, v2
	v_cmp_gt_i32_e32 vcc_lo, s17, v3
	s_addc_u32 s16, s3, s21
	s_ashr_i32 s19, s15, 31
	s_add_u32 s2, s8, s15
	s_addc_u32 s3, s9, s19
	v_cndmask_b32_e32 v3, s4, v2, vcc_lo
	v_ashrrev_i32_e32 v2, 31, v1
	s_lshl_b32 s6, s14, 3
	s_delay_alu instid0(SALU_CYCLE_1) | instskip(NEXT) | instid1(VALU_DEP_2)
	s_ashr_i32 s7, s6, 31
	v_ashrrev_i32_e32 v4, 31, v3
	s_delay_alu instid0(VALU_DEP_2) | instskip(SKIP_1) | instid1(SALU_CYCLE_1)
	v_lshlrev_b64 v[1:2], 2, v[1:2]
	s_lshl_b64 s[6:7], s[6:7], 2
	s_add_u32 s6, s13, s6
	s_delay_alu instid0(VALU_DEP_2) | instskip(SKIP_1) | instid1(VALU_DEP_2)
	v_lshlrev_b64 v[3:4], 2, v[3:4]
	s_addc_u32 s7, s16, s7
	v_add_co_u32 v1, vcc_lo, s13, v1
	v_add_co_ci_u32_e32 v2, vcc_lo, s16, v2, vcc_lo
	s_delay_alu instid0(VALU_DEP_3) | instskip(NEXT) | instid1(VALU_DEP_4)
	v_add_co_u32 v3, vcc_lo, s13, v3
	v_add_co_ci_u32_e32 v4, vcc_lo, s16, v4, vcc_lo
	s_clause 0x1
	global_load_b32 v5, v[1:2], off
	global_load_b32 v6, v[3:4], off
	s_or_b32 s8, s12, 32
	s_delay_alu instid0(SALU_CYCLE_1) | instskip(SKIP_2) | instid1(SALU_CYCLE_1)
	s_ashr_i32 s9, s8, 5
	s_cmp_lt_i32 s8, s17
	s_cselect_b32 s8, s9, s4
	s_ashr_i32 s9, s8, 31
	s_delay_alu instid0(SALU_CYCLE_1) | instskip(NEXT) | instid1(SALU_CYCLE_1)
	s_lshl_b64 s[8:9], s[8:9], 2
	s_add_u32 s8, s13, s8
	s_addc_u32 s9, s16, s9
	s_or_b32 s20, s12, 64
	s_delay_alu instid0(SALU_CYCLE_1) | instskip(SKIP_2) | instid1(SALU_CYCLE_1)
	s_ashr_i32 s21, s20, 5
	s_cmp_lt_i32 s20, s17
	s_cselect_b32 s20, s21, s4
	s_ashr_i32 s21, s20, 31
	s_delay_alu instid0(SALU_CYCLE_1) | instskip(NEXT) | instid1(SALU_CYCLE_1)
	s_lshl_b64 s[20:21], s[20:21], 2
	s_add_u32 s20, s13, s20
	s_addc_u32 s21, s16, s21
	;; [unrolled: 10-line block ×5, first 2 shown]
	s_clause 0x5
	s_load_b32 s28, s[6:7], 0x0
	s_load_b32 s8, s[8:9], 0x0
	;; [unrolled: 1-line block ×6, first 2 shown]
	s_mov_b32 s20, 0
	s_delay_alu instid0(SALU_CYCLE_1)
	s_mov_b32 s21, s20
	s_mov_b32 s22, s20
	;; [unrolled: 1-line block ×7, first 2 shown]
	s_delay_alu instid0(SALU_CYCLE_1)
	v_dual_mov_b32 v107, s27 :: v_dual_mov_b32 v106, s26
	v_dual_mov_b32 v104, s24 :: v_dual_mov_b32 v103, s23
	;; [unrolled: 1-line block ×3, first 2 shown]
	v_mov_b32_e32 v100, s20
	s_waitcnt vmcnt(1)
	v_mad_i64_i32 v[1:2], null, v5, s5, s[2:3]
	v_lshlrev_b32_e32 v5, 4, v65
	s_waitcnt vmcnt(0)
	v_mad_i64_i32 v[3:4], null, v6, s5, s[2:3]
	s_or_b32 s2, s12, 0xc0
	s_delay_alu instid0(SALU_CYCLE_1) | instskip(NEXT) | instid1(VALU_DEP_3)
	s_ashr_i32 s3, s2, 5
	v_add_co_u32 v33, vcc_lo, v1, v5
	s_delay_alu instid0(VALU_DEP_4) | instskip(NEXT) | instid1(VALU_DEP_3)
	v_add_co_ci_u32_e32 v34, vcc_lo, 0, v2, vcc_lo
	v_add_co_u32 v35, vcc_lo, v3, v5
	s_delay_alu instid0(VALU_DEP_4)
	v_add_co_ci_u32_e32 v36, vcc_lo, 0, v4, vcc_lo
	s_clause 0xf
	global_load_b128 v[1:4], v[33:34], off
	global_load_b128 v[5:8], v[33:34], off offset:512
	global_load_b128 v[9:12], v[35:36], off offset:256
	;; [unrolled: 1-line block ×15, first 2 shown]
	s_cmp_lt_i32 s2, s17
	v_add_nc_u32_e32 v33, -12, v65
	s_cselect_b32 s2, s3, s4
	v_cmp_gt_u32_e32 vcc_lo, 12, v65
	s_ashr_i32 s3, s2, 31
	v_lshlrev_b32_e32 v34, 5, v65
	s_lshl_b64 s[2:3], s[2:3], 2
	s_delay_alu instid0(SALU_CYCLE_1)
	s_add_u32 s2, s13, s2
	s_addc_u32 s3, s16, s3
	s_or_b32 s6, s12, 0xe0
	v_cndmask_b32_e32 v33, v33, v65, vcc_lo
	s_ashr_i32 s7, s6, 5
	s_cmp_lt_i32 s6, s17
	v_mov_b32_e32 v105, s25
	s_cselect_b32 s6, s7, s4
	v_lshlrev_b32_e32 v72, 6, v33
	s_ashr_i32 s7, s6, 31
	v_lshl_or_b32 v41, v66, 9, v34
	s_lshl_b64 s[6:7], s[6:7], 2
	ds_load_b128 v[33:36], v72
	ds_load_b128 v[37:40], v72 offset:1024
	ds_load_b128 v[108:111], v72 offset:2048
	;; [unrolled: 1-line block ×3, first 2 shown]
	s_load_b32 s4, s[2:3], 0x0
	s_add_u32 s2, s13, s6
	s_addc_u32 s3, s16, s7
	ds_load_b128 v[116:119], v72 offset:4096
	ds_load_b128 v[120:123], v72 offset:5120
	s_load_b32 s2, s[2:3], 0x0
	s_add_u32 s6, s10, s15
	s_addc_u32 s7, s11, s19
	v_add_co_u32 v68, s6, s6, v41
	s_delay_alu instid0(VALU_DEP_1) | instskip(SKIP_1) | instid1(VALU_DEP_1)
	v_add_co_ci_u32_e64 v69, null, s7, 0, s6
	s_waitcnt lgkmcnt(0)
	v_mad_i64_i32 v[41:42], null, s28, s5, v[68:69]
	v_mad_i64_i32 v[70:71], null, s9, s5, v[68:69]
	;; [unrolled: 1-line block ×7, first 2 shown]
	s_clause 0x3
	global_load_b128 v[49:52], v[41:42], off
	global_load_b128 v[53:56], v[41:42], off offset:16
	global_load_b128 v[41:44], v[45:46], off
	global_load_b128 v[45:48], v[45:46], off offset:16
	s_waitcnt vmcnt(18)
	v_wmma_f32_16x16x16_bf16 v[124:131], v[1:8], v[33:40], v[100:107]
	s_waitcnt vmcnt(16)
	v_wmma_f32_16x16x16_bf16 v[100:107], v[9:16], v[33:40], v[100:107]
	s_clause 0x1
	global_load_b128 v[33:36], v[70:71], off
	global_load_b128 v[37:40], v[70:71], off offset:16
	v_mad_i64_i32 v[70:71], null, s2, s5, v[68:69]
	s_waitcnt vmcnt(16)
	v_wmma_f32_16x16x16_bf16 v[124:131], v[17:24], v[108:115], v[124:131]
	s_waitcnt vmcnt(14)
	v_wmma_f32_16x16x16_bf16 v[100:107], v[25:32], v[108:115], v[100:107]
	s_clause 0x7
	global_load_b128 v[25:28], v[132:133], off
	global_load_b128 v[29:32], v[132:133], off offset:16
	global_load_b128 v[1:4], v[134:135], off
	global_load_b128 v[5:8], v[134:135], off offset:16
	;; [unrolled: 2-line block ×4, first 2 shown]
	s_waitcnt vmcnt(20)
	v_wmma_f32_16x16x16_bf16 v[124:131], v[57:64], v[116:123], v[124:131]
	s_clause 0x1
	global_load_b128 v[57:60], v[70:71], off
	global_load_b128 v[61:64], v[70:71], off offset:16
	s_waitcnt vmcnt(20)
	v_wmma_f32_16x16x16_bf16 v[100:107], v[76:83], v[116:123], v[100:107]
	ds_load_b128 v[76:79], v72 offset:6144
	ds_load_b128 v[80:83], v72 offset:7168
	v_and_b32_e32 v68, 0xe0, v0
	v_mbcnt_lo_u32_b32 v69, -1, 0
	s_waitcnt vmcnt(0) lgkmcnt(0)
	s_barrier
	buffer_gl0_inv
	v_add_nc_u32_e32 v68, s12, v68
	v_xor_b32_e32 v70, 16, v69
	s_delay_alu instid0(VALU_DEP_2) | instskip(NEXT) | instid1(VALU_DEP_2)
	v_or_b32_e32 v68, v68, v74
	v_cmp_gt_i32_e32 vcc_lo, 32, v70
	s_delay_alu instid0(VALU_DEP_2)
	v_or_b32_e32 v71, 4, v68
	v_or_b32_e32 v72, 6, v68
	v_cmp_gt_i32_e64 s2, s17, v68
	v_or_b32_e32 v108, 8, v68
	v_wmma_f32_16x16x16_bf16 v[124:131], v[84:91], v[76:83], v[124:131]
	v_cndmask_b32_e32 v69, v69, v70, vcc_lo
	v_or_b32_e32 v70, 2, v68
	v_wmma_f32_16x16x16_bf16 v[100:107], v[92:99], v[76:83], v[100:107]
	v_or_b32_e32 v109, 10, v68
	v_dual_mul_f32 v80, s18, v129 :: v_dual_mul_f32 v81, s18, v128
	v_dual_mul_f32 v92, s18, v125 :: v_dual_mul_f32 v93, s18, v124
	s_delay_alu instid0(VALU_DEP_4)
	v_mul_f32_e32 v96, s18, v105
	v_cmp_gt_i32_e32 vcc_lo, s17, v70
	v_or_b32_e32 v89, 22, v68
	v_dual_mul_f32 v79, s18, v130 :: v_dual_mul_f32 v82, s18, v127
	v_dual_mul_f32 v83, s18, v126 :: v_dual_mul_f32 v94, s18, v107
	v_cndmask_b32_e64 v93, 0xff7fffff, v93, s2
	v_cndmask_b32_e32 v92, 0xff7fffff, v92, vcc_lo
	v_cmp_gt_i32_e64 s3, s17, v71
	v_cmp_gt_i32_e64 s4, s17, v72
	v_or_b32_e32 v84, 12, v68
	v_or_b32_e32 v85, 14, v68
	v_cmp_gt_i32_e64 s5, s17, v108
	v_cndmask_b32_e64 v71, 0xff7fffff, v83, s3
	v_cndmask_b32_e64 v72, 0xff7fffff, v82, s4
	v_cmp_gt_i32_e64 s6, s17, v109
	v_cmp_gt_i32_e64 s12, s17, v89
	v_lshlrev_b32_e32 v89, 2, v69
	v_max3_f32 v82, v93, 0xff7fffff, v92
	v_or_b32_e32 v86, 16, v68
	v_or_b32_e32 v87, 18, v68
	v_mul_f32_e32 v78, s18, v131
	v_cndmask_b32_e64 v81, 0xff7fffff, v81, s5
	v_cndmask_b32_e64 v80, 0xff7fffff, v80, s6
	v_max3_f32 v71, v82, v71, v72
	v_cmp_gt_i32_e64 s7, s17, v84
	v_cmp_gt_i32_e64 s8, s17, v85
	v_or_b32_e32 v88, 20, v68
	v_or_b32_e32 v90, 24, v68
	;; [unrolled: 1-line block ×5, first 2 shown]
	v_dual_mul_f32 v97, s18, v104 :: v_dual_mul_f32 v70, s18, v101
	v_dual_mul_f32 v99, s18, v102 :: v_dual_mul_f32 v68, s18, v100
	v_cndmask_b32_e64 v72, 0xff7fffff, v79, s7
	v_cndmask_b32_e64 v78, 0xff7fffff, v78, s8
	v_max3_f32 v71, v71, v81, v80
	v_cmp_gt_i32_e64 s9, s17, v86
	v_cmp_gt_i32_e64 s10, s17, v87
	v_dual_mul_f32 v95, s18, v106 :: v_dual_mul_f32 v98, s18, v103
	s_delay_alu instid0(VALU_DEP_4) | instskip(NEXT) | instid1(VALU_DEP_4)
	v_max3_f32 v71, v71, v72, v78
	v_cndmask_b32_e64 v68, 0xff7fffff, v68, s9
	s_delay_alu instid0(VALU_DEP_4)
	v_cndmask_b32_e64 v70, 0xff7fffff, v70, s10
	v_cmp_gt_i32_e64 s11, s17, v88
	v_cndmask_b32_e64 v78, 0xff7fffff, v98, s12
	v_cmp_gt_i32_e64 s13, s17, v90
	v_cmp_gt_i32_e64 s15, s17, v91
	v_max3_f32 v68, v71, v68, v70
	v_cndmask_b32_e64 v72, 0xff7fffff, v99, s11
	v_cmp_gt_i32_e64 s16, s17, v76
	v_cndmask_b32_e64 v70, 0xff7fffff, v97, s13
	v_cndmask_b32_e64 v71, 0xff7fffff, v96, s15
	v_cmp_gt_i32_e64 s17, s17, v77
	v_max3_f32 v68, v68, v72, v78
	v_cndmask_b32_e64 v72, 0xff7fffff, v95, s16
	s_delay_alu instid0(VALU_DEP_3) | instskip(NEXT) | instid1(VALU_DEP_3)
	v_cndmask_b32_e64 v76, 0xff7fffff, v94, s17
	v_max3_f32 v68, v68, v70, v71
	s_delay_alu instid0(VALU_DEP_1) | instskip(SKIP_3) | instid1(VALU_DEP_1)
	v_max3_f32 v68, v68, v72, v76
	ds_bpermute_b32 v69, v89, v68
	s_waitcnt lgkmcnt(0)
	v_max_f32_e32 v69, v69, v69
	v_max_f32_e32 v68, v68, v69
	s_delay_alu instid0(VALU_DEP_1) | instskip(NEXT) | instid1(VALU_DEP_1)
	v_fma_f32 v71, s18, v126, -v68
	v_mul_f32_e32 v71, 0x3fb8aa3b, v71
	v_fma_f32 v70, s18, v125, -v68
	v_fma_f32 v69, s18, v124, -v68
	v_fma_f32 v76, s18, v128, -v68
	v_fma_f32 v72, s18, v127, -v68
	v_fma_f32 v78, s18, v130, -v68
	s_delay_alu instid0(VALU_DEP_4) | instskip(SKIP_1) | instid1(VALU_DEP_3)
	v_dual_mul_f32 v70, 0x3fb8aa3b, v70 :: v_dual_mul_f32 v69, 0x3fb8aa3b, v69
	v_exp_f32_e32 v71, v71
	v_mul_f32_e32 v72, 0x3fb8aa3b, v72
	v_fma_f32 v81, s18, v105, -v68
	s_delay_alu instid0(VALU_DEP_3)
	v_exp_f32_e32 v70, v70
	v_mul_f32_e32 v77, 0x3fb8aa3b, v76
	v_exp_f32_e32 v69, v69
	v_exp_f32_e32 v72, v72
	v_mul_f32_e32 v81, 0x3fb8aa3b, v81
	v_cndmask_b32_e64 v83, 0, v71, s3
	v_fma_f32 v71, s18, v131, -v68
	s_delay_alu instid0(VALU_DEP_3) | instskip(SKIP_4) | instid1(TRANS32_DEP_3)
	v_exp_f32_e32 v81, v81
	v_cndmask_b32_e32 v76, 0, v70, vcc_lo
	v_exp_f32_e32 v77, v77
	v_cndmask_b32_e64 v80, 0, v69, s2
	v_fma_f32 v69, s18, v129, -v68
	v_cndmask_b32_e64 v85, 0, v72, s4
	v_mul_f32_e32 v71, 0x3fb8aa3b, v71
	v_fma_f32 v72, s18, v100, -v68
	s_delay_alu instid0(VALU_DEP_4) | instskip(SKIP_1) | instid1(VALU_DEP_3)
	v_dual_add_f32 v70, 0, v80 :: v_dual_mul_f32 v69, 0x3fb8aa3b, v69
	s_mov_b32 s2, exec_lo
	v_exp_f32_e32 v71, v71
	s_delay_alu instid0(TRANS32_DEP_2) | instskip(SKIP_4) | instid1(VALU_DEP_3)
	v_cndmask_b32_e64 v86, 0, v77, s5
	v_fma_f32 v77, s18, v101, -v68
	v_mul_f32_e32 v78, 0x3fb8aa3b, v78
	v_add_f32_e32 v70, v70, v76
	v_exp_f32_e32 v69, v69
	v_mul_f32_e32 v77, 0x3fb8aa3b, v77
	s_delay_alu instid0(VALU_DEP_3) | instskip(NEXT) | instid1(TRANS32_DEP_3)
	v_exp_f32_e32 v78, v78
	v_cndmask_b32_e64 v88, 0, v71, s8
	v_fma_f32 v71, s18, v104, -v68
	s_delay_alu instid0(VALU_DEP_3) | instskip(NEXT) | instid1(TRANS32_DEP_3)
	v_exp_f32_e32 v77, v77
	v_cndmask_b32_e64 v87, 0, v69, s6
	s_delay_alu instid0(VALU_DEP_2)
	v_mul_f32_e32 v71, 0x3fb8aa3b, v71
	s_waitcnt_depctr 0xfff
	v_cndmask_b32_e64 v84, 0, v78, s7
	v_add_f32_e32 v70, v70, v83
	v_fma_f32 v78, s18, v103, -v68
	v_exp_f32_e32 v82, v71
	s_delay_alu instid0(VALU_DEP_2) | instskip(SKIP_1) | instid1(VALU_DEP_3)
	v_add_f32_e32 v70, v70, v85
	v_mul_f32_e32 v72, 0x3fb8aa3b, v72
	v_mul_f32_e32 v78, 0x3fb8aa3b, v78
	s_delay_alu instid0(VALU_DEP_3) | instskip(SKIP_1) | instid1(VALU_DEP_4)
	v_add_f32_e32 v69, v70, v86
	v_fma_f32 v70, s18, v102, -v68
	v_exp_f32_e32 v72, v72
	s_delay_alu instid0(VALU_DEP_3) | instskip(NEXT) | instid1(VALU_DEP_1)
	v_exp_f32_e32 v78, v78
	v_dual_add_f32 v69, v69, v87 :: v_dual_mul_f32 v70, 0x3fb8aa3b, v70
	s_delay_alu instid0(VALU_DEP_1) | instskip(NEXT) | instid1(VALU_DEP_2)
	v_add_f32_e32 v69, v69, v84
	v_exp_f32_e32 v79, v70
	s_delay_alu instid0(TRANS32_DEP_3) | instskip(NEXT) | instid1(VALU_DEP_2)
	v_cndmask_b32_e64 v70, 0, v72, s9
	v_add_f32_e32 v72, v69, v88
	v_cndmask_b32_e64 v69, 0, v77, s10
	v_fma_f32 v77, s18, v106, -v68
	s_waitcnt_depctr 0xfff
	v_cndmask_b32_e64 v71, 0, v79, s11
	v_dual_mul_f32 v77, 0x3fb8aa3b, v77 :: v_dual_add_f32 v72, v72, v70
	s_delay_alu instid0(VALU_DEP_1) | instskip(NEXT) | instid1(VALU_DEP_1)
	v_exp_f32_e32 v90, v77
	v_add_f32_e32 v79, v72, v69
	v_cndmask_b32_e64 v72, 0, v78, s12
	v_cndmask_b32_e64 v77, 0, v82, s13
	s_delay_alu instid0(VALU_DEP_3) | instskip(SKIP_1) | instid1(VALU_DEP_1)
	v_add_f32_e32 v78, v79, v71
	v_fma_f32 v79, s18, v107, -v68
	v_dual_add_f32 v82, v78, v72 :: v_dual_mul_f32 v79, 0x3fb8aa3b, v79
	v_cndmask_b32_e64 v78, 0, v81, s15
	s_delay_alu instid0(VALU_DEP_2) | instskip(NEXT) | instid1(VALU_DEP_3)
	v_add_f32_e32 v81, v82, v77
	v_exp_f32_e32 v82, v79
	v_cndmask_b32_e64 v79, 0, v90, s16
	s_delay_alu instid0(VALU_DEP_2) | instskip(NEXT) | instid1(VALU_DEP_1)
	v_add_f32_e32 v81, v81, v78
	v_add_f32_e32 v90, v81, v79
	s_waitcnt_depctr 0xfff
	v_cndmask_b32_e64 v81, 0, v82, s17
	s_delay_alu instid0(VALU_DEP_1)
	v_add_f32_e32 v82, v90, v81
	ds_bpermute_b32 v89, v89, v82
	v_cmpx_gt_u32_e32 16, v67
	s_cbranch_execz .LBB1597_12
; %bb.11:
	v_mul_u32_u24_e32 v67, 0x44, v66
	s_delay_alu instid0(VALU_DEP_1) | instskip(SKIP_1) | instid1(VALU_DEP_1)
	v_lshl_add_u32 v67, v65, 2, v67
	s_waitcnt lgkmcnt(0)
	v_dual_add_f32 v82, v82, v89 :: v_dual_add_nc_u32 v67, 0x4000, v67
	ds_store_2addr_b32 v67, v68, v82 offset1:136
.LBB1597_12:
	s_or_b32 exec_lo, exec_lo, s2
	v_lshlrev_b32_e32 v67, 2, v65
	s_waitcnt lgkmcnt(0)
	s_barrier
	buffer_gl0_inv
	v_cmp_eq_u32_e32 vcc_lo, 1, v66
	v_add_nc_u32_e32 v82, 0x4000, v67
	v_cmp_eq_u32_e64 s2, 2, v66
	v_cmp_eq_u32_e64 s4, 7, v66
	ds_load_2addr_b32 v[89:90], v82 offset1:17
	ds_load_2addr_b32 v[91:92], v82 offset0:34 offset1:51
	ds_load_2addr_b32 v[93:94], v82 offset0:68 offset1:85
	;; [unrolled: 1-line block ×4, first 2 shown]
	s_waitcnt lgkmcnt(4)
	v_max3_f32 v67, v89, 0xff7fffff, v90
	s_waitcnt lgkmcnt(3)
	s_delay_alu instid0(VALU_DEP_1) | instskip(SKIP_1) | instid1(VALU_DEP_1)
	v_max3_f32 v67, v67, v91, v92
	s_waitcnt lgkmcnt(2)
	v_max3_f32 v67, v67, v93, v94
	s_waitcnt lgkmcnt(1)
	s_delay_alu instid0(VALU_DEP_1) | instskip(NEXT) | instid1(VALU_DEP_1)
	v_max3_f32 v67, v67, v95, v96
	v_sub_f32_e32 v93, v93, v67
	s_delay_alu instid0(VALU_DEP_1) | instskip(NEXT) | instid1(VALU_DEP_1)
	v_dual_sub_f32 v68, v89, v67 :: v_dual_mul_f32 v103, 0x3fb8aa3b, v93
	v_mul_f32_e32 v68, 0x3fb8aa3b, v68
	s_delay_alu instid0(VALU_DEP_1)
	v_exp_f32_e32 v100, v68
	v_sub_f32_e32 v68, v92, v67
	v_sub_f32_e32 v99, v90, v67
	ds_load_2addr_b32 v[89:90], v82 offset0:170 offset1:187
	v_dual_mul_f32 v102, 0x3fb8aa3b, v68 :: v_dual_mul_f32 v99, 0x3fb8aa3b, v99
	s_waitcnt lgkmcnt(1)
	v_fma_f32 v68, v100, v97, 0
	s_delay_alu instid0(VALU_DEP_2) | instskip(NEXT) | instid1(VALU_DEP_2)
	v_exp_f32_e32 v102, v102
	v_exp_f32_e32 v99, v99
	s_waitcnt_depctr 0xfff
	v_fmac_f32_e32 v68, v99, v98
	v_sub_f32_e32 v91, v91, v67
	s_delay_alu instid0(VALU_DEP_1)
	v_mul_f32_e32 v101, 0x3fb8aa3b, v91
	ds_load_2addr_b32 v[91:92], v82 offset0:204 offset1:221
	v_sub_f32_e32 v97, v94, v67
	ds_load_2addr_b32 v[93:94], v82 offset0:238 offset1:255
	s_waitcnt lgkmcnt(0)
	v_exp_f32_e32 v101, v101
	s_barrier
	buffer_gl0_inv
	v_dual_fmac_f32 v68, v101, v89 :: v_dual_sub_f32 v89, v96, v67
	v_dual_sub_f32 v82, v95, v67 :: v_dual_mul_f32 v95, 0x3fb8aa3b, v97
	v_exp_f32_e32 v97, v103
	s_delay_alu instid0(VALU_DEP_2) | instskip(NEXT) | instid1(VALU_DEP_2)
	v_dual_fmac_f32 v68, v102, v90 :: v_dual_mul_f32 v89, 0x3fb8aa3b, v89
	v_mul_f32_e32 v82, 0x3fb8aa3b, v82
	s_delay_alu instid0(VALU_DEP_3) | instskip(NEXT) | instid1(VALU_DEP_2)
	v_exp_f32_e32 v95, v95
	v_exp_f32_e32 v89, v89
	s_delay_alu instid0(VALU_DEP_1)
	v_exp_f32_e32 v82, v82
	v_fmac_f32_e32 v68, v97, v91
	s_delay_alu instid0(TRANS32_DEP_3) | instid1(VALU_DEP_1)
	v_fmac_f32_e32 v68, v95, v92
	s_waitcnt_depctr 0xfff
	v_fmac_f32_e32 v68, v82, v93
	s_delay_alu instid0(VALU_DEP_1) | instskip(NEXT) | instid1(VALU_DEP_1)
	v_fmac_f32_e32 v68, v89, v94
	v_add_f32_e32 v90, 0x358637bd, v68
	s_delay_alu instid0(VALU_DEP_1) | instskip(NEXT) | instid1(VALU_DEP_1)
	v_div_scale_f32 v91, null, v90, v90, 1.0
	v_rcp_f32_e32 v92, v91
	s_waitcnt_depctr 0xfff
	v_fma_f32 v93, -v91, v92, 1.0
	s_delay_alu instid0(VALU_DEP_1) | instskip(SKIP_1) | instid1(VALU_DEP_2)
	v_dual_fmac_f32 v92, v93, v92 :: v_dual_cndmask_b32 v93, v100, v99
	v_cmp_eq_u32_e32 vcc_lo, 3, v66
	v_cndmask_b32_e64 v93, v93, v101, s2
	v_cmp_eq_u32_e64 s2, 4, v66
	s_delay_alu instid0(VALU_DEP_2) | instskip(SKIP_1) | instid1(VALU_DEP_2)
	v_cndmask_b32_e32 v93, v93, v102, vcc_lo
	v_cmp_eq_u32_e32 vcc_lo, 5, v66
	v_cndmask_b32_e64 v93, v93, v97, s2
	v_cmp_eq_u32_e64 s2, 6, v66
	s_delay_alu instid0(VALU_DEP_2) | instskip(SKIP_1) | instid1(VALU_DEP_1)
	v_cndmask_b32_e32 v93, v93, v95, vcc_lo
	v_div_scale_f32 v94, s3, 1.0, v90, 1.0
	s_mov_b32 vcc_lo, s3
	s_delay_alu instid0(VALU_DEP_2) | instskip(NEXT) | instid1(VALU_DEP_2)
	v_cndmask_b32_e64 v82, v93, v82, s2
	v_mul_f32_e32 v96, v94, v92
	s_mov_b32 s2, exec_lo
	s_delay_alu instid0(VALU_DEP_2) | instskip(NEXT) | instid1(VALU_DEP_2)
	v_cndmask_b32_e64 v82, v82, v89, s4
	v_fma_f32 v98, -v91, v96, v94
	s_delay_alu instid0(VALU_DEP_1) | instskip(NEXT) | instid1(VALU_DEP_1)
	v_fmac_f32_e32 v96, v98, v92
	v_fma_f32 v91, -v91, v96, v94
	s_delay_alu instid0(VALU_DEP_1) | instskip(NEXT) | instid1(VALU_DEP_1)
	v_div_fmas_f32 v91, v91, v92, v96
	v_div_fixup_f32 v90, v91, v90, 1.0
	s_delay_alu instid0(VALU_DEP_1) | instskip(NEXT) | instid1(VALU_DEP_1)
	v_mul_f32_e32 v82, v82, v90
	v_mul_f32_e32 v87, v82, v87
	;; [unrolled: 1-line block ×7, first 2 shown]
	v_dual_mul_f32 v86, v82, v83 :: v_dual_and_b32 v91, 0x7f800000, v90
	v_mul_f32_e32 v85, v82, v76
                                        ; implicit-def: $vgpr76
	s_delay_alu instid0(VALU_DEP_2)
	v_cmpx_ne_u32_e32 0x7f800000, v91
	s_xor_b32 s2, exec_lo, s2
; %bb.13:
	v_bfe_u32 v76, v90, 16, 1
	s_delay_alu instid0(VALU_DEP_1)
	v_add3_u32 v76, v90, v76, 0x7fff
                                        ; implicit-def: $vgpr90
; %bb.14:
	s_and_not1_saveexec_b32 s2, s2
; %bb.15:
	v_and_b32_e32 v76, 0xffff, v90
	v_or_b32_e32 v83, 0x10000, v90
	s_delay_alu instid0(VALU_DEP_2) | instskip(NEXT) | instid1(VALU_DEP_2)
	v_cmp_eq_u32_e32 vcc_lo, 0, v76
	v_cndmask_b32_e32 v76, v83, v90, vcc_lo
; %bb.16:
	s_or_b32 exec_lo, exec_lo, s2
	v_and_b32_e32 v83, 0x7f800000, v85
	s_delay_alu instid0(VALU_DEP_1) | instskip(SKIP_1) | instid1(SALU_CYCLE_1)
	v_cmp_ne_u32_e32 vcc_lo, 0x7f800000, v83
                                        ; implicit-def: $vgpr83
	s_and_saveexec_b32 s2, vcc_lo
	s_xor_b32 s2, exec_lo, s2
; %bb.17:
	v_bfe_u32 v83, v85, 16, 1
	s_delay_alu instid0(VALU_DEP_1)
	v_add3_u32 v83, v85, v83, 0x7fff
                                        ; implicit-def: $vgpr85
; %bb.18:
	s_and_not1_saveexec_b32 s2, s2
; %bb.19:
	v_and_b32_e32 v83, 0xffff, v85
	v_or_b32_e32 v90, 0x10000, v85
	s_delay_alu instid0(VALU_DEP_2) | instskip(NEXT) | instid1(VALU_DEP_2)
	v_cmp_eq_u32_e32 vcc_lo, 0, v83
	v_cndmask_b32_e32 v83, v90, v85, vcc_lo
; %bb.20:
	s_or_b32 exec_lo, exec_lo, s2
	v_and_b32_e32 v85, 0x7f800000, v86
	s_delay_alu instid0(VALU_DEP_1) | instskip(SKIP_1) | instid1(SALU_CYCLE_1)
	v_cmp_ne_u32_e32 vcc_lo, 0x7f800000, v85
                                        ; implicit-def: $vgpr85
	s_and_saveexec_b32 s2, vcc_lo
	s_xor_b32 s2, exec_lo, s2
; %bb.21:
	v_bfe_u32 v85, v86, 16, 1
	s_delay_alu instid0(VALU_DEP_1)
	v_add3_u32 v85, v86, v85, 0x7fff
                                        ; implicit-def: $vgpr86
; %bb.22:
	s_and_not1_saveexec_b32 s2, s2
; %bb.23:
	v_and_b32_e32 v85, 0xffff, v86
	v_or_b32_e32 v90, 0x10000, v86
	s_delay_alu instid0(VALU_DEP_2) | instskip(NEXT) | instid1(VALU_DEP_2)
	v_cmp_eq_u32_e32 vcc_lo, 0, v85
	v_cndmask_b32_e32 v85, v90, v86, vcc_lo
; %bb.24:
	s_or_b32 exec_lo, exec_lo, s2
	v_and_b32_e32 v86, 0x7f800000, v89
	s_delay_alu instid0(VALU_DEP_1) | instskip(SKIP_1) | instid1(SALU_CYCLE_1)
	v_cmp_ne_u32_e32 vcc_lo, 0x7f800000, v86
                                        ; implicit-def: $vgpr86
	s_and_saveexec_b32 s2, vcc_lo
	s_xor_b32 s2, exec_lo, s2
; %bb.25:
	v_bfe_u32 v86, v89, 16, 1
	s_delay_alu instid0(VALU_DEP_1)
	v_add3_u32 v86, v89, v86, 0x7fff
                                        ; implicit-def: $vgpr89
; %bb.26:
	s_and_not1_saveexec_b32 s2, s2
; %bb.27:
	v_and_b32_e32 v86, 0xffff, v89
	v_or_b32_e32 v90, 0x10000, v89
	s_delay_alu instid0(VALU_DEP_2) | instskip(NEXT) | instid1(VALU_DEP_2)
	v_cmp_eq_u32_e32 vcc_lo, 0, v86
	v_cndmask_b32_e32 v86, v90, v89, vcc_lo
; %bb.28:
	s_or_b32 exec_lo, exec_lo, s2
	v_and_b32_e32 v89, 0x7f800000, v88
	s_delay_alu instid0(VALU_DEP_1) | instskip(SKIP_1) | instid1(SALU_CYCLE_1)
	v_cmp_ne_u32_e32 vcc_lo, 0x7f800000, v89
                                        ; implicit-def: $vgpr89
	s_and_saveexec_b32 s2, vcc_lo
	s_xor_b32 s2, exec_lo, s2
; %bb.29:
	v_bfe_u32 v89, v88, 16, 1
	s_delay_alu instid0(VALU_DEP_1)
	v_add3_u32 v89, v88, v89, 0x7fff
                                        ; implicit-def: $vgpr88
; %bb.30:
	s_and_not1_saveexec_b32 s2, s2
; %bb.31:
	v_and_b32_e32 v89, 0xffff, v88
	v_or_b32_e32 v90, 0x10000, v88
	s_delay_alu instid0(VALU_DEP_2) | instskip(NEXT) | instid1(VALU_DEP_2)
	v_cmp_eq_u32_e32 vcc_lo, 0, v89
	v_cndmask_b32_e32 v89, v90, v88, vcc_lo
; %bb.32:
	s_or_b32 exec_lo, exec_lo, s2
	v_and_b32_e32 v88, 0x7f800000, v87
	s_delay_alu instid0(VALU_DEP_1) | instskip(SKIP_1) | instid1(SALU_CYCLE_1)
	v_cmp_ne_u32_e32 vcc_lo, 0x7f800000, v88
                                        ; implicit-def: $vgpr88
	s_and_saveexec_b32 s2, vcc_lo
	s_xor_b32 s2, exec_lo, s2
; %bb.33:
	v_bfe_u32 v88, v87, 16, 1
	s_delay_alu instid0(VALU_DEP_1)
	v_add3_u32 v88, v87, v88, 0x7fff
                                        ; implicit-def: $vgpr87
; %bb.34:
	s_and_not1_saveexec_b32 s2, s2
; %bb.35:
	v_and_b32_e32 v88, 0xffff, v87
	v_or_b32_e32 v90, 0x10000, v87
	s_delay_alu instid0(VALU_DEP_2) | instskip(NEXT) | instid1(VALU_DEP_2)
	v_cmp_eq_u32_e32 vcc_lo, 0, v88
	v_cndmask_b32_e32 v88, v90, v87, vcc_lo
; %bb.36:
	s_or_b32 exec_lo, exec_lo, s2
	v_and_b32_e32 v87, 0x7f800000, v84
	s_delay_alu instid0(VALU_DEP_1) | instskip(SKIP_1) | instid1(SALU_CYCLE_1)
	v_cmp_ne_u32_e32 vcc_lo, 0x7f800000, v87
                                        ; implicit-def: $vgpr87
	s_and_saveexec_b32 s2, vcc_lo
	s_xor_b32 s2, exec_lo, s2
; %bb.37:
	v_bfe_u32 v87, v84, 16, 1
	s_delay_alu instid0(VALU_DEP_1)
	v_add3_u32 v87, v84, v87, 0x7fff
                                        ; implicit-def: $vgpr84
; %bb.38:
	s_and_not1_saveexec_b32 s2, s2
; %bb.39:
	v_and_b32_e32 v87, 0xffff, v84
	v_or_b32_e32 v90, 0x10000, v84
	s_delay_alu instid0(VALU_DEP_2) | instskip(NEXT) | instid1(VALU_DEP_2)
	v_cmp_eq_u32_e32 vcc_lo, 0, v87
	v_cndmask_b32_e32 v87, v90, v84, vcc_lo
; %bb.40:
	s_or_b32 exec_lo, exec_lo, s2
	v_and_b32_e32 v84, 0x7f800000, v80
	s_delay_alu instid0(VALU_DEP_1) | instskip(SKIP_1) | instid1(SALU_CYCLE_1)
	v_cmp_ne_u32_e32 vcc_lo, 0x7f800000, v84
                                        ; implicit-def: $vgpr84
	s_and_saveexec_b32 s2, vcc_lo
	s_xor_b32 s2, exec_lo, s2
; %bb.41:
	v_bfe_u32 v84, v80, 16, 1
	s_delay_alu instid0(VALU_DEP_1)
	v_add3_u32 v84, v80, v84, 0x7fff
                                        ; implicit-def: $vgpr80
; %bb.42:
	s_and_not1_saveexec_b32 s2, s2
; %bb.43:
	v_and_b32_e32 v84, 0xffff, v80
	v_or_b32_e32 v90, 0x10000, v80
	s_delay_alu instid0(VALU_DEP_2) | instskip(NEXT) | instid1(VALU_DEP_2)
	v_cmp_eq_u32_e32 vcc_lo, 0, v84
	v_cndmask_b32_e32 v84, v90, v80, vcc_lo
; %bb.44:
	s_or_b32 exec_lo, exec_lo, s2
	s_load_b64 s[34:35], s[0:1], 0x94
	v_lshlrev_b32_e32 v91, 4, v74
	s_delay_alu instid0(VALU_DEP_2)
	v_perm_b32 v90, v84, v87, 0x7060302
	v_dual_mul_f32 v79, v82, v79 :: v_dual_lshlrev_b32 v80, 6, v65
	v_dual_mul_f32 v77, v82, v77 :: v_dual_lshlrev_b32 v92, 11, v66
	v_mul_f32_e32 v84, v82, v70
	v_perm_b32 v89, v88, v89, 0x7060302
	v_perm_b32 v88, v86, v85, 0x7060302
	;; [unrolled: 1-line block ×3, first 2 shown]
	v_mul_f32_e32 v70, v82, v81
	v_or3_b32 v76, v91, v92, v80
	v_dual_mul_f32 v78, v82, v78 :: v_dual_and_b32 v85, 0x7f800000, v84
	v_mul_f32_e32 v83, v82, v72
	v_mul_f32_e32 v81, v82, v71
	;; [unrolled: 1-line block ×3, first 2 shown]
	s_mov_b32 s2, exec_lo
	ds_store_b128 v76, v[87:90]
                                        ; implicit-def: $vgpr69
	v_cmpx_ne_u32_e32 0x7f800000, v85
	s_xor_b32 s2, exec_lo, s2
; %bb.45:
	v_bfe_u32 v69, v84, 16, 1
	s_delay_alu instid0(VALU_DEP_1)
	v_add3_u32 v69, v84, v69, 0x7fff
                                        ; implicit-def: $vgpr84
; %bb.46:
	s_and_not1_saveexec_b32 s2, s2
; %bb.47:
	v_and_b32_e32 v69, 0xffff, v84
	v_or_b32_e32 v71, 0x10000, v84
	s_delay_alu instid0(VALU_DEP_2) | instskip(NEXT) | instid1(VALU_DEP_2)
	v_cmp_eq_u32_e32 vcc_lo, 0, v69
	v_cndmask_b32_e32 v69, v71, v84, vcc_lo
; %bb.48:
	s_or_b32 exec_lo, exec_lo, s2
	v_and_b32_e32 v71, 0x7f800000, v72
	s_delay_alu instid0(VALU_DEP_1) | instskip(SKIP_1) | instid1(SALU_CYCLE_1)
	v_cmp_ne_u32_e32 vcc_lo, 0x7f800000, v71
                                        ; implicit-def: $vgpr71
	s_and_saveexec_b32 s2, vcc_lo
	s_xor_b32 s2, exec_lo, s2
; %bb.49:
	v_bfe_u32 v71, v72, 16, 1
	s_delay_alu instid0(VALU_DEP_1)
	v_add3_u32 v71, v72, v71, 0x7fff
                                        ; implicit-def: $vgpr72
; %bb.50:
	s_and_not1_saveexec_b32 s2, s2
; %bb.51:
	v_and_b32_e32 v71, 0xffff, v72
	v_or_b32_e32 v82, 0x10000, v72
	s_delay_alu instid0(VALU_DEP_2) | instskip(NEXT) | instid1(VALU_DEP_2)
	v_cmp_eq_u32_e32 vcc_lo, 0, v71
	v_cndmask_b32_e32 v71, v82, v72, vcc_lo
; %bb.52:
	s_or_b32 exec_lo, exec_lo, s2
	v_and_b32_e32 v72, 0x7f800000, v81
	s_delay_alu instid0(VALU_DEP_1) | instskip(SKIP_1) | instid1(SALU_CYCLE_1)
	v_cmp_ne_u32_e32 vcc_lo, 0x7f800000, v72
                                        ; implicit-def: $vgpr72
	s_and_saveexec_b32 s2, vcc_lo
	s_xor_b32 s2, exec_lo, s2
; %bb.53:
	v_bfe_u32 v72, v81, 16, 1
	s_delay_alu instid0(VALU_DEP_1)
	v_add3_u32 v72, v81, v72, 0x7fff
                                        ; implicit-def: $vgpr81
; %bb.54:
	s_and_not1_saveexec_b32 s2, s2
; %bb.55:
	v_and_b32_e32 v72, 0xffff, v81
	v_or_b32_e32 v82, 0x10000, v81
	s_delay_alu instid0(VALU_DEP_2) | instskip(NEXT) | instid1(VALU_DEP_2)
	v_cmp_eq_u32_e32 vcc_lo, 0, v72
	v_cndmask_b32_e32 v72, v82, v81, vcc_lo
; %bb.56:
	s_or_b32 exec_lo, exec_lo, s2
	v_and_b32_e32 v81, 0x7f800000, v83
	s_delay_alu instid0(VALU_DEP_1) | instskip(SKIP_1) | instid1(SALU_CYCLE_1)
	v_cmp_ne_u32_e32 vcc_lo, 0x7f800000, v81
                                        ; implicit-def: $vgpr81
	s_and_saveexec_b32 s2, vcc_lo
	s_xor_b32 s2, exec_lo, s2
; %bb.57:
	v_bfe_u32 v81, v83, 16, 1
	s_delay_alu instid0(VALU_DEP_1)
	v_add3_u32 v81, v83, v81, 0x7fff
                                        ; implicit-def: $vgpr83
; %bb.58:
	s_and_not1_saveexec_b32 s2, s2
; %bb.59:
	v_and_b32_e32 v81, 0xffff, v83
	v_or_b32_e32 v82, 0x10000, v83
	s_delay_alu instid0(VALU_DEP_2) | instskip(NEXT) | instid1(VALU_DEP_2)
	v_cmp_eq_u32_e32 vcc_lo, 0, v81
	v_cndmask_b32_e32 v81, v82, v83, vcc_lo
; %bb.60:
	s_or_b32 exec_lo, exec_lo, s2
	v_and_b32_e32 v82, 0x7f800000, v77
	s_delay_alu instid0(VALU_DEP_1) | instskip(SKIP_1) | instid1(SALU_CYCLE_1)
	v_cmp_ne_u32_e32 vcc_lo, 0x7f800000, v82
                                        ; implicit-def: $vgpr82
	s_and_saveexec_b32 s2, vcc_lo
	s_xor_b32 s2, exec_lo, s2
; %bb.61:
	v_bfe_u32 v82, v77, 16, 1
	s_delay_alu instid0(VALU_DEP_1)
	v_add3_u32 v82, v77, v82, 0x7fff
                                        ; implicit-def: $vgpr77
; %bb.62:
	s_and_not1_saveexec_b32 s2, s2
; %bb.63:
	v_and_b32_e32 v82, 0xffff, v77
	v_or_b32_e32 v83, 0x10000, v77
	s_delay_alu instid0(VALU_DEP_2) | instskip(NEXT) | instid1(VALU_DEP_2)
	v_cmp_eq_u32_e32 vcc_lo, 0, v82
	v_cndmask_b32_e32 v82, v83, v77, vcc_lo
; %bb.64:
	s_or_b32 exec_lo, exec_lo, s2
	v_and_b32_e32 v77, 0x7f800000, v78
	s_delay_alu instid0(VALU_DEP_1) | instskip(SKIP_1) | instid1(SALU_CYCLE_1)
	v_cmp_ne_u32_e32 vcc_lo, 0x7f800000, v77
                                        ; implicit-def: $vgpr77
	s_and_saveexec_b32 s2, vcc_lo
	s_xor_b32 s2, exec_lo, s2
; %bb.65:
	v_bfe_u32 v77, v78, 16, 1
	s_delay_alu instid0(VALU_DEP_1)
	v_add3_u32 v77, v78, v77, 0x7fff
                                        ; implicit-def: $vgpr78
; %bb.66:
	s_and_not1_saveexec_b32 s2, s2
; %bb.67:
	v_and_b32_e32 v77, 0xffff, v78
	v_or_b32_e32 v83, 0x10000, v78
	s_delay_alu instid0(VALU_DEP_2) | instskip(NEXT) | instid1(VALU_DEP_2)
	v_cmp_eq_u32_e32 vcc_lo, 0, v77
	v_cndmask_b32_e32 v77, v83, v78, vcc_lo
; %bb.68:
	s_or_b32 exec_lo, exec_lo, s2
	v_and_b32_e32 v78, 0x7f800000, v79
	s_delay_alu instid0(VALU_DEP_1) | instskip(SKIP_1) | instid1(SALU_CYCLE_1)
	v_cmp_ne_u32_e32 vcc_lo, 0x7f800000, v78
                                        ; implicit-def: $vgpr78
	s_and_saveexec_b32 s2, vcc_lo
	s_xor_b32 s2, exec_lo, s2
; %bb.69:
	v_bfe_u32 v78, v79, 16, 1
	s_delay_alu instid0(VALU_DEP_1)
	v_add3_u32 v78, v79, v78, 0x7fff
                                        ; implicit-def: $vgpr79
; %bb.70:
	s_and_not1_saveexec_b32 s2, s2
; %bb.71:
	v_and_b32_e32 v78, 0xffff, v79
	v_or_b32_e32 v83, 0x10000, v79
	s_delay_alu instid0(VALU_DEP_2) | instskip(NEXT) | instid1(VALU_DEP_2)
	v_cmp_eq_u32_e32 vcc_lo, 0, v78
	v_cndmask_b32_e32 v78, v83, v79, vcc_lo
; %bb.72:
	s_or_b32 exec_lo, exec_lo, s2
	v_and_b32_e32 v79, 0x7f800000, v70
	s_delay_alu instid0(VALU_DEP_1) | instskip(SKIP_1) | instid1(SALU_CYCLE_1)
	v_cmp_ne_u32_e32 vcc_lo, 0x7f800000, v79
                                        ; implicit-def: $vgpr79
	s_and_saveexec_b32 s2, vcc_lo
	s_xor_b32 s2, exec_lo, s2
; %bb.73:
	v_bfe_u32 v79, v70, 16, 1
	s_delay_alu instid0(VALU_DEP_1)
	v_add3_u32 v79, v70, v79, 0x7fff
                                        ; implicit-def: $vgpr70
; %bb.74:
	s_and_not1_saveexec_b32 s2, s2
; %bb.75:
	v_and_b32_e32 v79, 0xffff, v70
	v_or_b32_e32 v83, 0x10000, v70
	s_delay_alu instid0(VALU_DEP_2) | instskip(NEXT) | instid1(VALU_DEP_2)
	v_cmp_eq_u32_e32 vcc_lo, 0, v79
	v_cndmask_b32_e32 v79, v83, v70, vcc_lo
; %bb.76:
	s_or_b32 exec_lo, exec_lo, s2
	s_delay_alu instid0(VALU_DEP_1)
	v_perm_b32 v86, v79, v78, 0x7060302
	v_perm_b32 v85, v77, v82, 0x7060302
	;; [unrolled: 1-line block ×4, first 2 shown]
	v_lshl_or_b32 v82, v66, 11, v80
	ds_store_b128 v76, v[83:86] offset:1024
	s_waitcnt lgkmcnt(0)
	s_barrier
	buffer_gl0_inv
	ds_load_b128 v[69:72], v82
	ds_load_b128 v[83:86], v82 offset:16
	s_waitcnt lgkmcnt(1)
	v_lshrrev_b32_e32 v66, 16, v69
	s_waitcnt lgkmcnt(0)
	v_lshrrev_b32_e32 v91, 16, v83
	v_lshlrev_b32_e32 v78, 2, v74
	v_lshrrev_b32_e32 v95, 16, v70
	v_lshrrev_b32_e32 v98, 16, v84
	;; [unrolled: 1-line block ×4, first 2 shown]
	v_cmp_eq_u32_e32 vcc_lo, 1, v78
	v_lshrrev_b32_e32 v97, 16, v72
	v_lshrrev_b32_e32 v100, 16, v86
	v_cndmask_b32_e32 v87, v83, v91, vcc_lo
	v_or_b32_e32 v79, 1, v78
	v_cndmask_b32_e32 v81, v69, v66, vcc_lo
	v_cmp_eq_u32_e64 s3, 2, v78
	v_cmp_eq_u32_e64 s6, 3, v78
	;; [unrolled: 1-line block ×5, first 2 shown]
	v_cndmask_b32_e64 v81, v81, v70, s3
	v_cndmask_b32_e64 v87, v87, v84, s3
	v_cmp_eq_u32_e64 s7, 3, v79
	v_cndmask_b32_e64 v88, v69, v66, s2
	v_or_b32_e32 v77, 2, v78
	v_cndmask_b32_e64 v81, v81, v95, s6
	v_cndmask_b32_e64 v87, v87, v98, s6
	;; [unrolled: 1-line block ×4, first 2 shown]
	v_cmp_eq_u32_e64 s9, 5, v78
	v_cndmask_b32_e64 v81, v81, v71, s8
	v_cndmask_b32_e64 v87, v87, v85, s8
	v_cmp_eq_u32_e64 s10, 4, v79
	v_cndmask_b32_e64 v88, v88, v95, s7
	v_cmp_eq_u32_e64 s4, 1, v77
	v_cndmask_b32_e64 v89, v89, v84, s5
	v_cndmask_b32_e64 v81, v81, v96, s9
	v_cmp_eq_u32_e64 s11, 6, v78
	v_cndmask_b32_e64 v88, v88, v71, s10
	;; [unrolled: 3-line block ×3, first 2 shown]
	v_cndmask_b32_e64 v89, v89, v98, s7
	v_cndmask_b32_e64 v81, v81, v72, s11
	v_cmp_eq_u32_e64 s13, 7, v78
	v_cndmask_b32_e64 v88, v88, v96, s12
	v_cndmask_b32_e64 v87, v87, v86, s11
	v_cmp_eq_u32_e64 s15, 6, v79
	v_cmp_eq_u32_e64 s16, 2, v77
	v_cndmask_b32_e64 v89, v89, v85, s10
	v_cndmask_b32_e64 v101, v81, v97, s13
	;; [unrolled: 1-line block ×6, first 2 shown]
	v_cmp_eq_u32_e64 s17, 7, v79
	v_cmp_eq_u32_e64 s18, 3, v77
	;; [unrolled: 1-line block ×4, first 2 shown]
	v_cndmask_b32_e64 v87, v87, v84, s16
	v_cndmask_b32_e64 v103, v88, v97, s17
	;; [unrolled: 1-line block ×4, first 2 shown]
	v_or_b32_e32 v81, 3, v78
	v_cndmask_b32_e64 v93, v87, v98, s18
	v_cmp_eq_u32_e64 s23, 6, v77
	v_cndmask_b32_e64 v104, v88, v86, s15
	v_cndmask_b32_e64 v92, v89, v71, s19
	v_cmp_eq_u32_e64 s20, 1, v81
	ds_load_b128 v[87:90], v82 offset:1024
	v_cmp_eq_u32_e64 s22, 2, v81
	v_cmp_eq_u32_e64 s24, 3, v81
	v_cndmask_b32_e64 v105, v92, v96, s21
	v_cndmask_b32_e64 v66, v69, v66, s20
	;; [unrolled: 1-line block ×4, first 2 shown]
	ds_load_b128 v[91:94], v82 offset:1040
	v_cmp_eq_u32_e64 s25, 4, v81
	v_cndmask_b32_e64 v66, v66, v70, s22
	v_cmp_eq_u32_e64 s26, 7, v77
	v_cndmask_b32_e64 v70, v83, v84, s22
	v_cndmask_b32_e64 v84, v105, v72, s23
	v_cmp_eq_u32_e64 s27, 5, v81
	v_cndmask_b32_e64 v66, v66, v95, s24
	v_cmp_eq_u32_e64 s28, 6, v81
	v_cndmask_b32_e64 v70, v70, v98, s24
	v_cndmask_b32_e64 v69, v69, v99, s21
	;; [unrolled: 1-line block ×4, first 2 shown]
	s_waitcnt lgkmcnt(1)
	v_lshrrev_b32_e32 v95, 16, v87
	v_cndmask_b32_e64 v70, v70, v85, s25
	v_cndmask_b32_e64 v71, v84, v97, s26
	;; [unrolled: 1-line block ×4, first 2 shown]
	v_cndmask_b32_e32 v84, v87, v95, vcc_lo
	v_cndmask_b32_e64 v70, v70, v99, s27
	s_waitcnt lgkmcnt(0)
	v_lshrrev_b32_e32 v85, 16, v91
	v_lshrrev_b32_e32 v96, 16, v88
	v_cndmask_b32_e64 v98, v87, v95, s2
	v_cndmask_b32_e64 v84, v84, v88, s3
	;; [unrolled: 1-line block ×3, first 2 shown]
	v_cndmask_b32_e32 v99, v91, v85, vcc_lo
	v_cmp_eq_u32_e32 vcc_lo, 7, v81
	v_cndmask_b32_e64 v66, v66, v72, s28
	v_cndmask_b32_e64 v72, v84, v96, s6
	;; [unrolled: 1-line block ×3, first 2 shown]
	v_lshrrev_b32_e32 v98, 16, v92
	v_cndmask_b32_e32 v70, v70, v100, vcc_lo
	v_cndmask_b32_e64 v86, v99, v92, s3
	v_cndmask_b32_e64 v69, v69, v100, s26
	v_lshrrev_b32_e32 v100, 16, v93
	v_cndmask_b32_e64 v72, v72, v89, s8
	v_lshrrev_b32_e32 v99, 16, v89
	v_cndmask_b32_e64 v86, v86, v98, s6
	v_perm_b32 v71, v69, v71, 0x5040100
	v_cndmask_b32_e64 v84, v84, v96, s7
	s_delay_alu instid0(VALU_DEP_3) | instskip(NEXT) | instid1(VALU_DEP_2)
	v_cndmask_b32_e64 v86, v86, v93, s8
	v_cndmask_b32_e64 v84, v84, v89, s10
	s_delay_alu instid0(VALU_DEP_2) | instskip(NEXT) | instid1(VALU_DEP_1)
	v_cndmask_b32_e64 v86, v86, v100, s9
	v_cndmask_b32_e64 v69, v86, v94, s11
	;; [unrolled: 1-line block ×5, first 2 shown]
	s_delay_alu instid0(VALU_DEP_3) | instskip(NEXT) | instid1(VALU_DEP_3)
	v_cndmask_b32_e64 v86, v86, v88, s16
	v_cndmask_b32_e64 v87, v87, v88, s22
	s_delay_alu instid0(VALU_DEP_3) | instskip(NEXT) | instid1(VALU_DEP_3)
	v_cndmask_b32_e64 v88, v95, v92, s22
	v_cndmask_b32_e64 v86, v86, v96, s18
	;; [unrolled: 3-line block ×7, first 2 shown]
	s_delay_alu instid0(VALU_DEP_3) | instskip(SKIP_2) | instid1(VALU_DEP_2)
	v_cndmask_b32_e64 v88, v88, v94, s28
	v_cndmask_b32_e32 v66, v66, v97, vcc_lo
	v_cndmask_b32_e64 v97, v72, v99, s9
	v_perm_b32 v72, v70, v66, 0x5040100
	v_perm_b32 v70, v83, v103, 0x5040100
	v_cndmask_b32_e64 v103, v91, v85, s4
	v_cndmask_b32_e64 v85, v91, v85, s2
	;; [unrolled: 1-line block ×4, first 2 shown]
	v_lshrrev_b32_e32 v97, 16, v90
	v_cndmask_b32_e64 v91, v103, v92, s16
	v_cndmask_b32_e64 v85, v85, v92, s5
	;; [unrolled: 1-line block ×3, first 2 shown]
	s_mov_b32 s2, exec_lo
	v_cndmask_b32_e64 v83, v84, v97, s13
	v_cndmask_b32_e64 v91, v91, v98, s18
	;; [unrolled: 1-line block ×3, first 2 shown]
	v_lshrrev_b32_e32 v84, 16, v94
	v_cndmask_b32_e64 v66, v66, v97, s17
	v_cndmask_b32_e64 v90, v86, v97, s26
	;; [unrolled: 1-line block ×4, first 2 shown]
	v_dual_cndmask_b32 v86, v87, v97 :: v_dual_cndmask_b32 v87, v88, v84
	v_cndmask_b32_e64 v91, v69, v84, s13
	s_delay_alu instid0(VALU_DEP_4) | instskip(NEXT) | instid1(VALU_DEP_4)
	v_cndmask_b32_e64 v89, v89, v100, s21
	v_cndmask_b32_e64 v85, v85, v100, s12
	v_perm_b32 v69, v102, v101, 0x5040100
	v_perm_b32 v86, v87, v86, 0x5040100
	v_perm_b32 v83, v91, v83, 0x5040100
	v_cndmask_b32_e64 v89, v89, v94, s23
	v_cndmask_b32_e64 v85, v85, v94, s15
	s_mul_i32 s7, s35, 12
	s_delay_alu instid0(VALU_DEP_2) | instskip(NEXT) | instid1(VALU_DEP_2)
	v_cndmask_b32_e64 v88, v89, v84, s26
	v_cndmask_b32_e64 v89, v85, v84, s17
	s_delay_alu instid0(VALU_DEP_2) | instskip(NEXT) | instid1(VALU_DEP_2)
	v_perm_b32 v85, v88, v90, 0x5040100
	v_perm_b32 v84, v89, v66, 0x5040100
	ds_store_b128 v76, v[69:72]
	ds_store_b128 v76, v[83:86] offset:1024
	v_cmpx_gt_u32_e32 12, v0
	s_cbranch_execz .LBB1597_78
; %bb.77:
	s_mul_i32 s3, s7, s30
	s_load_b128 s[8:11], s[0:1], 0x58
	v_add3_u32 v69, s3, s29, v65
	s_delay_alu instid0(VALU_DEP_1) | instskip(NEXT) | instid1(VALU_DEP_1)
	v_mad_u64_u32 v[65:66], null, v69, s34, s[14:15]
	v_ashrrev_i32_e32 v66, 31, v65
	s_delay_alu instid0(VALU_DEP_1) | instskip(SKIP_1) | instid1(VALU_DEP_1)
	v_lshlrev_b64 v[65:66], 2, v[65:66]
	s_waitcnt lgkmcnt(0)
	v_add_co_u32 v69, vcc_lo, s10, v65
	s_delay_alu instid0(VALU_DEP_2)
	v_add_co_ci_u32_e32 v70, vcc_lo, s11, v66, vcc_lo
	v_add_co_u32 v65, vcc_lo, s8, v65
	v_add_co_ci_u32_e32 v66, vcc_lo, s9, v66, vcc_lo
	global_store_b32 v[69:70], v67, off
	global_store_b32 v[65:66], v68, off
.LBB1597_78:
	s_or_b32 exec_lo, exec_lo, s2
	s_waitcnt lgkmcnt(0)
	s_waitcnt_vscnt null, 0x0
	s_barrier
	buffer_gl0_inv
	ds_load_b128 v[83:86], v80
	ds_load_b128 v[87:90], v80 offset:16
	ds_load_b128 v[95:98], v80 offset:2064
	;; [unrolled: 1-line block ×3, first 2 shown]
	v_mov_b32_e32 v65, 0
	ds_load_b128 v[103:106], v80 offset:4112
	ds_load_b128 v[99:102], v80 offset:4096
	;; [unrolled: 1-line block ×4, first 2 shown]
	v_mov_b32_e32 v66, v65
	v_mov_b32_e32 v67, v65
	;; [unrolled: 1-line block ×7, first 2 shown]
	s_waitcnt lgkmcnt(6)
	s_delay_alu instid0(VALU_DEP_1)
	v_wmma_f32_16x16x16_bf16 v[65:72], v[49:56], v[83:90], v[65:72]
	ds_load_b128 v[53:56], v80 offset:8208
	ds_load_b128 v[49:52], v80 offset:8192
	s_waitcnt lgkmcnt(6)
	v_wmma_f32_16x16x16_bf16 v[65:72], v[41:48], v[91:98], v[65:72]
	ds_load_b128 v[45:48], v80 offset:10256
	ds_load_b128 v[41:44], v80 offset:10240
	s_waitcnt lgkmcnt(6)
	;; [unrolled: 4-line block ×4, first 2 shown]
	v_wmma_f32_16x16x16_bf16 v[65:72], v[1:8], v[49:56], v[65:72]
	s_waitcnt lgkmcnt(4)
	s_delay_alu instid0(VALU_DEP_1) | instskip(SKIP_1) | instid1(VALU_DEP_1)
	v_wmma_f32_16x16x16_bf16 v[65:72], v[9:16], v[41:48], v[65:72]
	s_waitcnt lgkmcnt(2)
	v_wmma_f32_16x16x16_bf16 v[65:72], v[17:24], v[33:40], v[65:72]
	s_waitcnt lgkmcnt(0)
	s_delay_alu instid0(VALU_DEP_1) | instskip(NEXT) | instid1(VALU_DEP_1)
	v_wmma_f32_16x16x16_bf16 v[65:72], v[57:64], v[25:32], v[65:72]
	v_and_b32_e32 v1, 0x7f800000, v65
	s_delay_alu instid0(VALU_DEP_1) | instskip(SKIP_1) | instid1(SALU_CYCLE_1)
	v_cmp_ne_u32_e32 vcc_lo, 0x7f800000, v1
                                        ; implicit-def: $vgpr1
	s_and_saveexec_b32 s2, vcc_lo
	s_xor_b32 s2, exec_lo, s2
; %bb.79:
	v_bfe_u32 v1, v65, 16, 1
	s_delay_alu instid0(VALU_DEP_1)
	v_add3_u32 v1, v65, v1, 0x7fff
; %bb.80:
	s_and_not1_saveexec_b32 s2, s2
; %bb.81:
	v_and_b32_e32 v1, 0xffff, v65
	v_or_b32_e32 v2, 0x10000, v65
	s_delay_alu instid0(VALU_DEP_2) | instskip(NEXT) | instid1(VALU_DEP_2)
	v_cmp_eq_u32_e32 vcc_lo, 0, v1
	v_cndmask_b32_e32 v1, v2, v65, vcc_lo
; %bb.82:
	s_or_b32 exec_lo, exec_lo, s2
	v_and_b32_e32 v2, 0x7f800000, v66
	s_delay_alu instid0(VALU_DEP_1) | instskip(SKIP_1) | instid1(SALU_CYCLE_1)
	v_cmp_ne_u32_e32 vcc_lo, 0x7f800000, v2
                                        ; implicit-def: $vgpr2
	s_and_saveexec_b32 s2, vcc_lo
	s_xor_b32 s2, exec_lo, s2
; %bb.83:
	v_bfe_u32 v2, v66, 16, 1
	s_delay_alu instid0(VALU_DEP_1)
	v_add3_u32 v2, v66, v2, 0x7fff
; %bb.84:
	s_and_not1_saveexec_b32 s2, s2
; %bb.85:
	v_and_b32_e32 v2, 0xffff, v66
	v_or_b32_e32 v3, 0x10000, v66
	s_delay_alu instid0(VALU_DEP_2) | instskip(NEXT) | instid1(VALU_DEP_2)
	v_cmp_eq_u32_e32 vcc_lo, 0, v2
	v_cndmask_b32_e32 v2, v3, v66, vcc_lo
; %bb.86:
	s_or_b32 exec_lo, exec_lo, s2
	v_and_b32_e32 v3, 0x7f800000, v67
	s_delay_alu instid0(VALU_DEP_1) | instskip(SKIP_1) | instid1(SALU_CYCLE_1)
	v_cmp_ne_u32_e32 vcc_lo, 0x7f800000, v3
                                        ; implicit-def: $vgpr3
	s_and_saveexec_b32 s2, vcc_lo
	s_xor_b32 s2, exec_lo, s2
; %bb.87:
	v_bfe_u32 v3, v67, 16, 1
	s_delay_alu instid0(VALU_DEP_1)
	v_add3_u32 v3, v67, v3, 0x7fff
; %bb.88:
	s_and_not1_saveexec_b32 s2, s2
; %bb.89:
	v_and_b32_e32 v3, 0xffff, v67
	v_or_b32_e32 v4, 0x10000, v67
	s_delay_alu instid0(VALU_DEP_2) | instskip(NEXT) | instid1(VALU_DEP_2)
	v_cmp_eq_u32_e32 vcc_lo, 0, v3
	v_cndmask_b32_e32 v3, v4, v67, vcc_lo
; %bb.90:
	s_or_b32 exec_lo, exec_lo, s2
	v_and_b32_e32 v4, 0x7f800000, v68
	s_delay_alu instid0(VALU_DEP_1) | instskip(SKIP_1) | instid1(SALU_CYCLE_1)
	v_cmp_ne_u32_e32 vcc_lo, 0x7f800000, v4
                                        ; implicit-def: $vgpr4
	s_and_saveexec_b32 s2, vcc_lo
	s_xor_b32 s2, exec_lo, s2
; %bb.91:
	v_bfe_u32 v4, v68, 16, 1
	s_delay_alu instid0(VALU_DEP_1)
	v_add3_u32 v4, v68, v4, 0x7fff
; %bb.92:
	s_and_not1_saveexec_b32 s2, s2
; %bb.93:
	v_and_b32_e32 v4, 0xffff, v68
	v_or_b32_e32 v5, 0x10000, v68
	s_delay_alu instid0(VALU_DEP_2) | instskip(NEXT) | instid1(VALU_DEP_2)
	v_cmp_eq_u32_e32 vcc_lo, 0, v4
	v_cndmask_b32_e32 v4, v5, v68, vcc_lo
; %bb.94:
	s_or_b32 exec_lo, exec_lo, s2
	v_and_b32_e32 v5, 0x7f800000, v69
	s_delay_alu instid0(VALU_DEP_1) | instskip(SKIP_1) | instid1(SALU_CYCLE_1)
	v_cmp_ne_u32_e32 vcc_lo, 0x7f800000, v5
                                        ; implicit-def: $vgpr5
	s_and_saveexec_b32 s2, vcc_lo
	s_xor_b32 s2, exec_lo, s2
; %bb.95:
	v_bfe_u32 v5, v69, 16, 1
	s_delay_alu instid0(VALU_DEP_1)
	v_add3_u32 v5, v69, v5, 0x7fff
; %bb.96:
	s_and_not1_saveexec_b32 s2, s2
; %bb.97:
	v_and_b32_e32 v5, 0xffff, v69
	v_or_b32_e32 v6, 0x10000, v69
	s_delay_alu instid0(VALU_DEP_2) | instskip(NEXT) | instid1(VALU_DEP_2)
	v_cmp_eq_u32_e32 vcc_lo, 0, v5
	v_cndmask_b32_e32 v5, v6, v69, vcc_lo
; %bb.98:
	s_or_b32 exec_lo, exec_lo, s2
	v_and_b32_e32 v6, 0x7f800000, v70
	s_delay_alu instid0(VALU_DEP_1) | instskip(SKIP_1) | instid1(SALU_CYCLE_1)
	v_cmp_ne_u32_e32 vcc_lo, 0x7f800000, v6
                                        ; implicit-def: $vgpr6
	s_and_saveexec_b32 s2, vcc_lo
	s_xor_b32 s2, exec_lo, s2
; %bb.99:
	v_bfe_u32 v6, v70, 16, 1
	s_delay_alu instid0(VALU_DEP_1)
	v_add3_u32 v6, v70, v6, 0x7fff
; %bb.100:
	s_and_not1_saveexec_b32 s2, s2
; %bb.101:
	v_and_b32_e32 v6, 0xffff, v70
	v_or_b32_e32 v7, 0x10000, v70
	s_delay_alu instid0(VALU_DEP_2) | instskip(NEXT) | instid1(VALU_DEP_2)
	v_cmp_eq_u32_e32 vcc_lo, 0, v6
	v_cndmask_b32_e32 v6, v7, v70, vcc_lo
; %bb.102:
	s_or_b32 exec_lo, exec_lo, s2
	v_and_b32_e32 v7, 0x7f800000, v71
	s_delay_alu instid0(VALU_DEP_1) | instskip(SKIP_1) | instid1(SALU_CYCLE_1)
	v_cmp_ne_u32_e32 vcc_lo, 0x7f800000, v7
                                        ; implicit-def: $vgpr7
	s_and_saveexec_b32 s2, vcc_lo
	s_xor_b32 s2, exec_lo, s2
; %bb.103:
	v_bfe_u32 v7, v71, 16, 1
	s_delay_alu instid0(VALU_DEP_1)
	v_add3_u32 v7, v71, v7, 0x7fff
; %bb.104:
	s_and_not1_saveexec_b32 s2, s2
; %bb.105:
	v_and_b32_e32 v7, 0xffff, v71
	v_or_b32_e32 v8, 0x10000, v71
	s_delay_alu instid0(VALU_DEP_2) | instskip(NEXT) | instid1(VALU_DEP_2)
	v_cmp_eq_u32_e32 vcc_lo, 0, v7
	v_cndmask_b32_e32 v7, v8, v71, vcc_lo
; %bb.106:
	s_or_b32 exec_lo, exec_lo, s2
	v_and_b32_e32 v8, 0x7f800000, v72
	s_delay_alu instid0(VALU_DEP_1) | instskip(SKIP_1) | instid1(SALU_CYCLE_1)
	v_cmp_ne_u32_e32 vcc_lo, 0x7f800000, v8
                                        ; implicit-def: $vgpr8
	s_and_saveexec_b32 s2, vcc_lo
	s_xor_b32 s2, exec_lo, s2
; %bb.107:
	v_bfe_u32 v8, v72, 16, 1
	s_delay_alu instid0(VALU_DEP_1)
	v_add3_u32 v8, v72, v8, 0x7fff
                                        ; implicit-def: $vgpr65_vgpr66_vgpr67_vgpr68_vgpr69_vgpr70_vgpr71_vgpr72
; %bb.108:
	s_and_not1_saveexec_b32 s2, s2
; %bb.109:
	v_and_b32_e32 v8, 0xffff, v72
	v_or_b32_e32 v9, 0x10000, v72
	s_delay_alu instid0(VALU_DEP_2) | instskip(NEXT) | instid1(VALU_DEP_2)
	v_cmp_eq_u32_e32 vcc_lo, 0, v8
	v_cndmask_b32_e32 v8, v9, v72, vcc_lo
; %bb.110:
	s_or_b32 exec_lo, exec_lo, s2
	s_delay_alu instid0(VALU_DEP_1)
	v_perm_b32 v7, v8, v7, 0x7060302
	v_perm_b32 v6, v6, v5, 0x7060302
	;; [unrolled: 1-line block ×4, first 2 shown]
	s_barrier
	buffer_gl0_inv
	v_cmp_eq_u32_e32 vcc_lo, 1, v78
	ds_store_b128 v76, v[4:7]
	s_waitcnt lgkmcnt(0)
	s_barrier
	buffer_gl0_inv
	ds_load_b128 v[1:4], v82
	ds_load_b128 v[5:8], v82 offset:16
	v_cmp_eq_u32_e64 s2, 1, v79
	v_cmp_eq_u32_e64 s3, 2, v78
	;; [unrolled: 1-line block ×5, first 2 shown]
	s_waitcnt lgkmcnt(1)
	v_lshrrev_b32_e32 v9, 16, v1
	s_waitcnt lgkmcnt(0)
	v_lshrrev_b32_e32 v13, 16, v5
	v_lshrrev_b32_e32 v10, 16, v2
	;; [unrolled: 1-line block ×4, first 2 shown]
	v_cndmask_b32_e64 v19, v1, v9, s2
	v_cndmask_b32_e32 v18, v5, v13, vcc_lo
	v_cndmask_b32_e64 v20, v5, v13, s2
	v_cndmask_b32_e32 v17, v1, v9, vcc_lo
	v_cmp_eq_u32_e32 vcc_lo, 2, v79
	v_lshrrev_b32_e32 v15, 16, v7
	v_cmp_eq_u32_e64 s2, 1, v77
	v_lshrrev_b32_e32 v12, 16, v4
	v_lshrrev_b32_e32 v16, 16, v8
	v_cndmask_b32_e32 v20, v20, v6, vcc_lo
	v_cndmask_b32_e64 v17, v17, v2, s3
	v_cndmask_b32_e32 v19, v19, v2, vcc_lo
	v_cndmask_b32_e64 v18, v18, v6, s3
	v_cmp_eq_u32_e32 vcc_lo, 4, v78
	v_cmp_eq_u32_e64 s3, 3, v79
	v_cndmask_b32_e64 v17, v17, v10, s4
	v_cndmask_b32_e64 v21, v1, v9, s2
	;; [unrolled: 1-line block ×5, first 2 shown]
	v_cndmask_b32_e32 v17, v17, v3, vcc_lo
	v_cndmask_b32_e64 v20, v20, v14, s3
	v_cndmask_b32_e32 v18, v18, v7, vcc_lo
	v_cmp_eq_u32_e32 vcc_lo, 4, v79
	v_cmp_eq_u32_e64 s3, 5, v79
	v_cmp_eq_u32_e64 s2, 2, v81
	v_cndmask_b32_e64 v21, v21, v2, s6
	v_cmp_eq_u32_e64 s4, 5, v78
	v_cndmask_b32_e32 v19, v19, v3, vcc_lo
	v_cndmask_b32_e32 v20, v20, v7, vcc_lo
	v_cmp_eq_u32_e32 vcc_lo, 6, v79
	s_delay_alu instid0(VALU_DEP_4) | instskip(NEXT) | instid1(VALU_DEP_4)
	v_cndmask_b32_e64 v17, v17, v11, s4
	v_cndmask_b32_e64 v19, v19, v11, s3
	s_delay_alu instid0(VALU_DEP_4) | instskip(SKIP_1) | instid1(VALU_DEP_3)
	v_cndmask_b32_e64 v20, v20, v15, s3
	v_cmp_eq_u32_e64 s3, 1, v81
	v_cndmask_b32_e32 v19, v19, v4, vcc_lo
	v_cndmask_b32_e64 v18, v18, v15, s4
	s_delay_alu instid0(VALU_DEP_3)
	v_cndmask_b32_e64 v1, v1, v9, s3
	v_cndmask_b32_e64 v5, v5, v13, s3
	v_cmp_eq_u32_e64 s3, 3, v77
	v_cndmask_b32_e64 v13, v22, v6, s6
	v_cmp_eq_u32_e64 s6, 3, v81
	v_cndmask_b32_e64 v1, v1, v2, s2
	v_cndmask_b32_e64 v2, v5, v6, s2
	;; [unrolled: 1-line block ×3, first 2 shown]
	v_cmp_eq_u32_e64 s2, 4, v77
	v_cndmask_b32_e64 v6, v13, v14, s3
	v_cndmask_b32_e64 v1, v1, v10, s6
	v_cmp_eq_u32_e64 s3, 4, v81
	v_cndmask_b32_e64 v2, v2, v14, s6
	v_cndmask_b32_e64 v5, v9, v3, s2
	;; [unrolled: 3-line block ×3, first 2 shown]
	v_cndmask_b32_e64 v2, v2, v7, s3
	v_cmp_eq_u32_e64 s2, 5, v81
	v_cmp_eq_u32_e64 s4, 6, v78
	v_cndmask_b32_e64 v5, v5, v11, s6
	v_cmp_eq_u32_e64 s3, 6, v77
	v_cndmask_b32_e64 v3, v6, v15, s6
	v_cndmask_b32_e64 v1, v1, v11, s2
	v_cmp_eq_u32_e64 s6, 6, v81
	v_cndmask_b32_e64 v2, v2, v15, s2
	v_cndmask_b32_e64 v17, v17, v4, s4
	v_cndmask_b32_e64 v18, v18, v8, s4
	v_cmp_eq_u32_e64 s4, 7, v78
	v_cndmask_b32_e64 v5, v5, v4, s3
	;; [unrolled: 4-line block ×3, first 2 shown]
	v_cmp_eq_u32_e64 s3, 7, v77
	v_cndmask_b32_e32 v4, v20, v8, vcc_lo
	v_cndmask_b32_e64 v17, v17, v12, s4
	v_cndmask_b32_e64 v19, v19, v12, s5
	;; [unrolled: 1-line block ×8, first 2 shown]
	s_mov_b32 s2, exec_lo
	v_perm_b32 v4, v2, v1, 0x5040100
	v_perm_b32 v3, v3, v5, 0x5040100
	;; [unrolled: 1-line block ×4, first 2 shown]
	ds_store_b128 v76, v[1:4]
	s_waitcnt lgkmcnt(0)
	s_barrier
	buffer_gl0_inv
	v_cmpx_gt_u32_e32 32, v0
	s_cbranch_execz .LBB1597_2
; %bb.111:
	s_load_b64 s[0:1], s[0:1], 0x68
	v_lshlrev_b32_e32 v0, 10, v0
	s_lshl_b32 s4, s34, 7
	v_or_b32_e32 v3, s29, v74
	s_mul_i32 s2, s4, s30
	v_lshlrev_b32_e32 v1, 4, v75
	s_mul_i32 s2, s2, s7
	v_lshlrev_b32_e32 v2, 6, v74
	v_and_b32_e32 v0, 0x3800, v0
	s_ashr_i32 s3, s2, 31
	v_mul_lo_u32 v4, v3, s4
	s_lshl_b64 s[2:3], s[2:3], 1
	s_delay_alu instid0(VALU_DEP_2) | instskip(NEXT) | instid1(VALU_DEP_2)
	v_or3_b32 v16, v0, v1, v2
	v_ashrrev_i32_e32 v5, 31, v4
	ds_load_b128 v[0:3], v16
	s_waitcnt lgkmcnt(0)
	s_add_u32 s2, s0, s2
	s_addc_u32 s3, s1, s3
	s_lshl_b32 s0, s14, 7
	v_lshlrev_b64 v[5:6], 1, v[4:5]
	s_ashr_i32 s1, s0, 31
	s_delay_alu instid0(SALU_CYCLE_1) | instskip(NEXT) | instid1(SALU_CYCLE_1)
	s_lshl_b64 s[0:1], s[0:1], 1
	s_add_u32 s0, s2, s0
	s_addc_u32 s1, s3, s1
	s_lshl_b32 s2, s34, 8
	v_add_co_u32 v30, s0, s0, v73
	v_add_nc_u32_e32 v8, s2, v4
	v_add_co_ci_u32_e64 v31, null, s1, 0, s0
	s_delay_alu instid0(VALU_DEP_3) | instskip(NEXT) | instid1(VALU_DEP_3)
	v_add_co_u32 v12, vcc_lo, v30, v5
	v_add_nc_u32_e32 v10, s2, v8
	v_ashrrev_i32_e32 v9, 31, v8
	s_delay_alu instid0(VALU_DEP_4)
	v_add_co_ci_u32_e32 v13, vcc_lo, v31, v6, vcc_lo
	ds_load_b128 v[4:7], v16 offset:128
	v_ashrrev_i32_e32 v11, 31, v10
	v_lshlrev_b64 v[8:9], 1, v[8:9]
	v_add_nc_u32_e32 v14, s2, v10
	global_store_b128 v[12:13], v[0:3], off
	v_lshlrev_b64 v[0:1], 1, v[10:11]
	v_ashrrev_i32_e32 v15, 31, v14
	v_add_co_u32 v22, vcc_lo, v30, v8
	v_add_nc_u32_e32 v20, s2, v14
	v_add_co_ci_u32_e32 v23, vcc_lo, v31, v9, vcc_lo
	v_add_co_u32 v26, vcc_lo, v30, v0
	v_lshlrev_b64 v[24:25], 1, v[14:15]
	v_add_co_ci_u32_e32 v27, vcc_lo, v31, v1, vcc_lo
	ds_load_b128 v[0:3], v16 offset:256
	ds_load_b128 v[8:11], v16 offset:384
	;; [unrolled: 1-line block ×4, first 2 shown]
	v_add_nc_u32_e32 v28, s2, v20
	v_ashrrev_i32_e32 v21, 31, v20
	v_add_co_u32 v24, vcc_lo, v30, v24
	v_add_co_ci_u32_e32 v25, vcc_lo, v31, v25, vcc_lo
	s_delay_alu instid0(VALU_DEP_4) | instskip(NEXT) | instid1(VALU_DEP_4)
	v_ashrrev_i32_e32 v29, 31, v28
	v_lshlrev_b64 v[20:21], 1, v[20:21]
	s_delay_alu instid0(VALU_DEP_2) | instskip(NEXT) | instid1(VALU_DEP_2)
	v_lshlrev_b64 v[28:29], 1, v[28:29]
	v_add_co_u32 v20, vcc_lo, v30, v20
	s_delay_alu instid0(VALU_DEP_3) | instskip(NEXT) | instid1(VALU_DEP_3)
	v_add_co_ci_u32_e32 v21, vcc_lo, v31, v21, vcc_lo
	v_add_co_u32 v28, vcc_lo, v30, v28
	s_delay_alu instid0(VALU_DEP_4)
	v_add_co_ci_u32_e32 v29, vcc_lo, v31, v29, vcc_lo
	s_waitcnt lgkmcnt(4)
	global_store_b128 v[22:23], v[4:7], off
	s_waitcnt lgkmcnt(3)
	global_store_b128 v[26:27], v[0:3], off
	;; [unrolled: 2-line block ×5, first 2 shown]
	s_nop 0
	s_sendmsg sendmsg(MSG_DEALLOC_VGPRS)
	s_endpgm
	.section	.rodata,"a",@progbits
	.p2align	6, 0x0
	.amdhsa_kernel _Z39paged_attention_ll4mi_QKV_mfma16_kernelI14__hip_bfloat16hLN4vllm18Fp8KVCacheDataTypeE1EhLi32ELi128ELi256ELb1ELi12EL8MFMAType1EEvPKT_PKT0_S9_ifPKiSB_SB_iPKfiiiPfSE_PS4_PT2_iSD_SD_
		.amdhsa_group_segment_fixed_size 17472
		.amdhsa_private_segment_fixed_size 0
		.amdhsa_kernarg_size 400
		.amdhsa_user_sgpr_count 13
		.amdhsa_user_sgpr_dispatch_ptr 0
		.amdhsa_user_sgpr_queue_ptr 0
		.amdhsa_user_sgpr_kernarg_segment_ptr 1
		.amdhsa_user_sgpr_dispatch_id 0
		.amdhsa_user_sgpr_private_segment_size 0
		.amdhsa_wavefront_size32 1
		.amdhsa_uses_dynamic_stack 0
		.amdhsa_enable_private_segment 0
		.amdhsa_system_sgpr_workgroup_id_x 1
		.amdhsa_system_sgpr_workgroup_id_y 1
		.amdhsa_system_sgpr_workgroup_id_z 1
		.amdhsa_system_sgpr_workgroup_info 0
		.amdhsa_system_vgpr_workitem_id 0
		.amdhsa_next_free_vgpr 140
		.amdhsa_next_free_sgpr 36
		.amdhsa_reserve_vcc 1
		.amdhsa_float_round_mode_32 0
		.amdhsa_float_round_mode_16_64 0
		.amdhsa_float_denorm_mode_32 3
		.amdhsa_float_denorm_mode_16_64 3
		.amdhsa_dx10_clamp 1
		.amdhsa_ieee_mode 1
		.amdhsa_fp16_overflow 0
		.amdhsa_workgroup_processor_mode 1
		.amdhsa_memory_ordered 1
		.amdhsa_forward_progress 0
		.amdhsa_shared_vgpr_count 0
		.amdhsa_exception_fp_ieee_invalid_op 0
		.amdhsa_exception_fp_denorm_src 0
		.amdhsa_exception_fp_ieee_div_zero 0
		.amdhsa_exception_fp_ieee_overflow 0
		.amdhsa_exception_fp_ieee_underflow 0
		.amdhsa_exception_fp_ieee_inexact 0
		.amdhsa_exception_int_div_zero 0
	.end_amdhsa_kernel
	.section	.text._Z39paged_attention_ll4mi_QKV_mfma16_kernelI14__hip_bfloat16hLN4vllm18Fp8KVCacheDataTypeE1EhLi32ELi128ELi256ELb1ELi12EL8MFMAType1EEvPKT_PKT0_S9_ifPKiSB_SB_iPKfiiiPfSE_PS4_PT2_iSD_SD_,"axG",@progbits,_Z39paged_attention_ll4mi_QKV_mfma16_kernelI14__hip_bfloat16hLN4vllm18Fp8KVCacheDataTypeE1EhLi32ELi128ELi256ELb1ELi12EL8MFMAType1EEvPKT_PKT0_S9_ifPKiSB_SB_iPKfiiiPfSE_PS4_PT2_iSD_SD_,comdat
.Lfunc_end1597:
	.size	_Z39paged_attention_ll4mi_QKV_mfma16_kernelI14__hip_bfloat16hLN4vllm18Fp8KVCacheDataTypeE1EhLi32ELi128ELi256ELb1ELi12EL8MFMAType1EEvPKT_PKT0_S9_ifPKiSB_SB_iPKfiiiPfSE_PS4_PT2_iSD_SD_, .Lfunc_end1597-_Z39paged_attention_ll4mi_QKV_mfma16_kernelI14__hip_bfloat16hLN4vllm18Fp8KVCacheDataTypeE1EhLi32ELi128ELi256ELb1ELi12EL8MFMAType1EEvPKT_PKT0_S9_ifPKiSB_SB_iPKfiiiPfSE_PS4_PT2_iSD_SD_
                                        ; -- End function
	.section	.AMDGPU.csdata,"",@progbits
; Kernel info:
; codeLenInByte = 9000
; NumSgprs: 38
; NumVgprs: 140
; ScratchSize: 0
; MemoryBound: 0
; FloatMode: 240
; IeeeMode: 1
; LDSByteSize: 17472 bytes/workgroup (compile time only)
; SGPRBlocks: 4
; VGPRBlocks: 17
; NumSGPRsForWavesPerEU: 38
; NumVGPRsForWavesPerEU: 140
; Occupancy: 10
; WaveLimiterHint : 1
; COMPUTE_PGM_RSRC2:SCRATCH_EN: 0
; COMPUTE_PGM_RSRC2:USER_SGPR: 13
; COMPUTE_PGM_RSRC2:TRAP_HANDLER: 0
; COMPUTE_PGM_RSRC2:TGID_X_EN: 1
; COMPUTE_PGM_RSRC2:TGID_Y_EN: 1
; COMPUTE_PGM_RSRC2:TGID_Z_EN: 1
; COMPUTE_PGM_RSRC2:TIDIG_COMP_CNT: 0
	.section	.text._Z39paged_attention_ll4mi_QKV_mfma16_kernelI14__hip_bfloat16hLN4vllm18Fp8KVCacheDataTypeE1EhLi32ELi128ELi256ELb1ELi13EL8MFMAType1EEvPKT_PKT0_S9_ifPKiSB_SB_iPKfiiiPfSE_PS4_PT2_iSD_SD_,"axG",@progbits,_Z39paged_attention_ll4mi_QKV_mfma16_kernelI14__hip_bfloat16hLN4vllm18Fp8KVCacheDataTypeE1EhLi32ELi128ELi256ELb1ELi13EL8MFMAType1EEvPKT_PKT0_S9_ifPKiSB_SB_iPKfiiiPfSE_PS4_PT2_iSD_SD_,comdat
	.protected	_Z39paged_attention_ll4mi_QKV_mfma16_kernelI14__hip_bfloat16hLN4vllm18Fp8KVCacheDataTypeE1EhLi32ELi128ELi256ELb1ELi13EL8MFMAType1EEvPKT_PKT0_S9_ifPKiSB_SB_iPKfiiiPfSE_PS4_PT2_iSD_SD_ ; -- Begin function _Z39paged_attention_ll4mi_QKV_mfma16_kernelI14__hip_bfloat16hLN4vllm18Fp8KVCacheDataTypeE1EhLi32ELi128ELi256ELb1ELi13EL8MFMAType1EEvPKT_PKT0_S9_ifPKiSB_SB_iPKfiiiPfSE_PS4_PT2_iSD_SD_
	.globl	_Z39paged_attention_ll4mi_QKV_mfma16_kernelI14__hip_bfloat16hLN4vllm18Fp8KVCacheDataTypeE1EhLi32ELi128ELi256ELb1ELi13EL8MFMAType1EEvPKT_PKT0_S9_ifPKiSB_SB_iPKfiiiPfSE_PS4_PT2_iSD_SD_
	.p2align	8
	.type	_Z39paged_attention_ll4mi_QKV_mfma16_kernelI14__hip_bfloat16hLN4vllm18Fp8KVCacheDataTypeE1EhLi32ELi128ELi256ELb1ELi13EL8MFMAType1EEvPKT_PKT0_S9_ifPKiSB_SB_iPKfiiiPfSE_PS4_PT2_iSD_SD_,@function
_Z39paged_attention_ll4mi_QKV_mfma16_kernelI14__hip_bfloat16hLN4vllm18Fp8KVCacheDataTypeE1EhLi32ELi128ELi256ELb1ELi13EL8MFMAType1EEvPKT_PKT0_S9_ifPKiSB_SB_iPKfiiiPfSE_PS4_PT2_iSD_SD_: ; @_Z39paged_attention_ll4mi_QKV_mfma16_kernelI14__hip_bfloat16hLN4vllm18Fp8KVCacheDataTypeE1EhLi32ELi128ELi256ELb1ELi13EL8MFMAType1EEvPKT_PKT0_S9_ifPKiSB_SB_iPKfiiiPfSE_PS4_PT2_iSD_SD_
; %bb.0:
	s_load_b64 s[4:5], s[0:1], 0x30
	s_mov_b32 s30, s13
	s_waitcnt lgkmcnt(0)
	s_cmp_lg_u64 s[4:5], 0
	s_cselect_b32 s13, -1, 0
	s_ashr_i32 s31, s30, 31
	s_cmp_eq_u64 s[4:5], 0
	s_cbranch_scc1 .LBB1598_3
; %bb.1:
	s_lshl_b64 s[2:3], s[30:31], 2
	s_delay_alu instid0(SALU_CYCLE_1) | instskip(SKIP_4) | instid1(SALU_CYCLE_1)
	s_add_u32 s2, s4, s2
	s_addc_u32 s3, s5, s3
	s_load_b64 s[2:3], s[2:3], 0x0
	s_waitcnt lgkmcnt(0)
	s_sub_i32 s2, s3, s2
	s_cmp_eq_u32 s2, 1
	s_cselect_b32 s2, -1, 0
	s_delay_alu instid0(SALU_CYCLE_1)
	s_and_not1_b32 vcc_lo, exec_lo, s2
	s_cbranch_vccz .LBB1598_4
.LBB1598_2:
	s_nop 0
	s_sendmsg sendmsg(MSG_DEALLOC_VGPRS)
	s_endpgm
.LBB1598_3:
.LBB1598_4:
	s_load_b64 s[2:3], s[0:1], 0x28
	s_lshl_b64 s[6:7], s[30:31], 2
	s_waitcnt lgkmcnt(0)
	s_add_u32 s2, s2, s6
	s_addc_u32 s3, s3, s7
	s_lshl_b32 s12, s14, 8
	s_load_b32 s17, s[2:3], 0x0
	s_waitcnt lgkmcnt(0)
	s_cmp_ge_i32 s12, s17
	s_cbranch_scc1 .LBB1598_2
; %bb.5:
	s_clause 0x1
	s_load_b128 s[8:11], s[0:1], 0x8
	s_load_b64 s[2:3], s[0:1], 0x20
	s_and_not1_b32 vcc_lo, exec_lo, s13
	s_cbranch_vccnz .LBB1598_7
; %bb.6:
	s_add_u32 s4, s4, s6
	s_addc_u32 s5, s5, s7
	s_load_b32 s13, s[4:5], 0x0
	s_branch .LBB1598_8
.LBB1598_7:
	s_mov_b32 s13, s30
.LBB1598_8:
	s_load_b128 s[4:7], s[0:1], 0x48
	v_and_b32_e32 v65, 15, v0
	v_lshrrev_b32_e32 v66, 5, v0
	v_bfe_u32 v74, v0, 4, 1
	v_and_b32_e32 v67, 31, v0
	v_and_b32_e32 v75, 1, v0
	v_lshlrev_b32_e32 v2, 3, v65
	s_mul_i32 s31, s15, 13
	v_lshl_or_b32 v1, v66, 1, v74
	s_waitcnt lgkmcnt(0)
	s_mov_b32 s7, exec_lo
	v_lshlrev_b32_e32 v73, 1, v2
	s_delay_alu instid0(VALU_DEP_2)
	v_cmpx_gt_u32_e32 13, v1
	s_cbranch_execz .LBB1598_10
; %bb.9:
	s_load_b64 s[18:19], s[0:1], 0x0
	v_add_lshl_u32 v2, v1, s31, 7
	s_mul_hi_i32 s21, s13, s4
	s_mul_i32 s20, s13, s4
	v_lshlrev_b32_e32 v6, 10, v65
	s_lshl_b64 s[20:21], s[20:21], 1
	v_ashrrev_i32_e32 v3, 31, v2
	v_lshlrev_b32_e32 v1, 6, v1
	v_lshlrev_b32_e32 v7, 10, v75
	v_and_b32_e32 v6, 0x3800, v6
	s_delay_alu instid0(VALU_DEP_4) | instskip(NEXT) | instid1(VALU_DEP_2)
	v_lshlrev_b64 v[2:3], 1, v[2:3]
	v_or3_b32 v1, v6, v7, v1
	s_waitcnt lgkmcnt(0)
	s_add_u32 s4, s18, s20
	s_addc_u32 s13, s19, s21
	s_delay_alu instid0(VALU_DEP_2) | instskip(SKIP_1) | instid1(VALU_DEP_2)
	v_add_co_u32 v2, vcc_lo, s4, v2
	v_add_co_ci_u32_e32 v3, vcc_lo, s13, v3, vcc_lo
	v_add_co_u32 v2, vcc_lo, v2, v73
	s_delay_alu instid0(VALU_DEP_2)
	v_add_co_ci_u32_e32 v3, vcc_lo, 0, v3, vcc_lo
	global_load_b128 v[2:5], v[2:3], off
	s_waitcnt vmcnt(0)
	ds_store_b128 v1, v[2:5]
.LBB1598_10:
	s_or_b32 exec_lo, exec_lo, s7
	v_and_b32_e32 v1, 0xef, v0
	s_add_i32 s4, s17, 31
	s_clause 0x1
	s_load_b32 s7, s[0:1], 0x38
	s_load_b32 s18, s[0:1], 0x1c
	s_ashr_i32 s13, s4, 31
	v_add_nc_u32_e32 v1, s12, v1
	s_lshr_b32 s13, s13, 27
	s_waitcnt lgkmcnt(0)
	s_add_i32 s4, s4, s13
	s_barrier
	v_ashrrev_i32_e32 v2, 31, v1
	v_or_b32_e32 v3, 16, v1
	s_ashr_i32 s4, s4, 5
	v_cmp_gt_i32_e32 vcc_lo, s17, v1
	s_add_i32 s4, s4, -1
	v_lshrrev_b32_e32 v2, 27, v2
	buffer_gl0_inv
	s_mul_i32 s15, s15, s6
	v_add_nc_u32_e32 v4, v1, v2
	s_mul_i32 s20, s30, s7
	s_delay_alu instid0(SALU_CYCLE_1) | instskip(NEXT) | instid1(VALU_DEP_1)
	s_ashr_i32 s21, s20, 31
	v_ashrrev_i32_e32 v4, 5, v4
	v_add_nc_u32_e32 v2, v3, v2
	s_lshl_b64 s[20:21], s[20:21], 2
	s_delay_alu instid0(SALU_CYCLE_1) | instskip(NEXT) | instid1(VALU_DEP_2)
	s_add_u32 s13, s2, s20
	v_cndmask_b32_e32 v1, s4, v4, vcc_lo
	s_delay_alu instid0(VALU_DEP_2)
	v_ashrrev_i32_e32 v2, 5, v2
	v_cmp_gt_i32_e32 vcc_lo, s17, v3
	s_addc_u32 s16, s3, s21
	s_ashr_i32 s19, s15, 31
	s_add_u32 s2, s8, s15
	s_addc_u32 s3, s9, s19
	v_cndmask_b32_e32 v3, s4, v2, vcc_lo
	v_ashrrev_i32_e32 v2, 31, v1
	s_lshl_b32 s6, s14, 3
	s_delay_alu instid0(SALU_CYCLE_1) | instskip(NEXT) | instid1(VALU_DEP_2)
	s_ashr_i32 s7, s6, 31
	v_ashrrev_i32_e32 v4, 31, v3
	s_delay_alu instid0(VALU_DEP_2) | instskip(SKIP_1) | instid1(SALU_CYCLE_1)
	v_lshlrev_b64 v[1:2], 2, v[1:2]
	s_lshl_b64 s[6:7], s[6:7], 2
	s_add_u32 s6, s13, s6
	s_delay_alu instid0(VALU_DEP_2) | instskip(SKIP_1) | instid1(VALU_DEP_2)
	v_lshlrev_b64 v[3:4], 2, v[3:4]
	s_addc_u32 s7, s16, s7
	v_add_co_u32 v1, vcc_lo, s13, v1
	v_add_co_ci_u32_e32 v2, vcc_lo, s16, v2, vcc_lo
	s_delay_alu instid0(VALU_DEP_3) | instskip(NEXT) | instid1(VALU_DEP_4)
	v_add_co_u32 v3, vcc_lo, s13, v3
	v_add_co_ci_u32_e32 v4, vcc_lo, s16, v4, vcc_lo
	s_clause 0x1
	global_load_b32 v5, v[1:2], off
	global_load_b32 v6, v[3:4], off
	s_or_b32 s8, s12, 32
	s_delay_alu instid0(SALU_CYCLE_1) | instskip(SKIP_2) | instid1(SALU_CYCLE_1)
	s_ashr_i32 s9, s8, 5
	s_cmp_lt_i32 s8, s17
	s_cselect_b32 s8, s9, s4
	s_ashr_i32 s9, s8, 31
	s_delay_alu instid0(SALU_CYCLE_1) | instskip(NEXT) | instid1(SALU_CYCLE_1)
	s_lshl_b64 s[8:9], s[8:9], 2
	s_add_u32 s8, s13, s8
	s_addc_u32 s9, s16, s9
	s_or_b32 s20, s12, 64
	s_delay_alu instid0(SALU_CYCLE_1) | instskip(SKIP_2) | instid1(SALU_CYCLE_1)
	s_ashr_i32 s21, s20, 5
	s_cmp_lt_i32 s20, s17
	s_cselect_b32 s20, s21, s4
	s_ashr_i32 s21, s20, 31
	s_delay_alu instid0(SALU_CYCLE_1) | instskip(NEXT) | instid1(SALU_CYCLE_1)
	s_lshl_b64 s[20:21], s[20:21], 2
	s_add_u32 s20, s13, s20
	s_addc_u32 s21, s16, s21
	;; [unrolled: 10-line block ×5, first 2 shown]
	s_clause 0x5
	s_load_b32 s28, s[6:7], 0x0
	s_load_b32 s8, s[8:9], 0x0
	s_load_b32 s9, s[20:21], 0x0
	s_load_b32 s29, s[22:23], 0x0
	s_load_b32 s33, s[24:25], 0x0
	s_load_b32 s34, s[26:27], 0x0
	s_mov_b32 s20, 0
	s_delay_alu instid0(SALU_CYCLE_1)
	s_mov_b32 s21, s20
	s_mov_b32 s22, s20
	;; [unrolled: 1-line block ×7, first 2 shown]
	s_delay_alu instid0(SALU_CYCLE_1)
	v_dual_mov_b32 v107, s27 :: v_dual_mov_b32 v106, s26
	v_dual_mov_b32 v104, s24 :: v_dual_mov_b32 v103, s23
	;; [unrolled: 1-line block ×3, first 2 shown]
	v_mov_b32_e32 v100, s20
	s_waitcnt vmcnt(1)
	v_mad_i64_i32 v[1:2], null, v5, s5, s[2:3]
	v_lshlrev_b32_e32 v5, 4, v65
	s_waitcnt vmcnt(0)
	v_mad_i64_i32 v[3:4], null, v6, s5, s[2:3]
	s_or_b32 s2, s12, 0xc0
	s_delay_alu instid0(SALU_CYCLE_1) | instskip(NEXT) | instid1(VALU_DEP_3)
	s_ashr_i32 s3, s2, 5
	v_add_co_u32 v33, vcc_lo, v1, v5
	s_delay_alu instid0(VALU_DEP_4) | instskip(NEXT) | instid1(VALU_DEP_3)
	v_add_co_ci_u32_e32 v34, vcc_lo, 0, v2, vcc_lo
	v_add_co_u32 v35, vcc_lo, v3, v5
	s_delay_alu instid0(VALU_DEP_4)
	v_add_co_ci_u32_e32 v36, vcc_lo, 0, v4, vcc_lo
	s_clause 0xf
	global_load_b128 v[1:4], v[33:34], off
	global_load_b128 v[5:8], v[33:34], off offset:512
	global_load_b128 v[9:12], v[35:36], off offset:256
	;; [unrolled: 1-line block ×15, first 2 shown]
	s_cmp_lt_i32 s2, s17
	v_add_nc_u32_e32 v33, -13, v65
	s_cselect_b32 s2, s3, s4
	v_cmp_gt_u32_e32 vcc_lo, 13, v65
	s_ashr_i32 s3, s2, 31
	v_lshlrev_b32_e32 v34, 5, v65
	s_lshl_b64 s[2:3], s[2:3], 2
	s_delay_alu instid0(SALU_CYCLE_1)
	s_add_u32 s2, s13, s2
	s_addc_u32 s3, s16, s3
	s_or_b32 s6, s12, 0xe0
	v_cndmask_b32_e32 v33, v33, v65, vcc_lo
	s_ashr_i32 s7, s6, 5
	s_cmp_lt_i32 s6, s17
	v_mov_b32_e32 v105, s25
	s_cselect_b32 s6, s7, s4
	v_lshlrev_b32_e32 v72, 6, v33
	s_ashr_i32 s7, s6, 31
	v_lshl_or_b32 v41, v66, 9, v34
	s_lshl_b64 s[6:7], s[6:7], 2
	ds_load_b128 v[33:36], v72
	ds_load_b128 v[37:40], v72 offset:1024
	ds_load_b128 v[108:111], v72 offset:2048
	;; [unrolled: 1-line block ×3, first 2 shown]
	s_load_b32 s4, s[2:3], 0x0
	s_add_u32 s2, s13, s6
	s_addc_u32 s3, s16, s7
	ds_load_b128 v[116:119], v72 offset:4096
	ds_load_b128 v[120:123], v72 offset:5120
	s_load_b32 s2, s[2:3], 0x0
	s_add_u32 s6, s10, s15
	s_addc_u32 s7, s11, s19
	v_add_co_u32 v68, s6, s6, v41
	s_delay_alu instid0(VALU_DEP_1) | instskip(SKIP_1) | instid1(VALU_DEP_1)
	v_add_co_ci_u32_e64 v69, null, s7, 0, s6
	s_waitcnt lgkmcnt(0)
	v_mad_i64_i32 v[41:42], null, s28, s5, v[68:69]
	v_mad_i64_i32 v[70:71], null, s9, s5, v[68:69]
	;; [unrolled: 1-line block ×7, first 2 shown]
	s_clause 0x3
	global_load_b128 v[49:52], v[41:42], off
	global_load_b128 v[53:56], v[41:42], off offset:16
	global_load_b128 v[41:44], v[45:46], off
	global_load_b128 v[45:48], v[45:46], off offset:16
	s_waitcnt vmcnt(18)
	v_wmma_f32_16x16x16_bf16 v[124:131], v[1:8], v[33:40], v[100:107]
	s_waitcnt vmcnt(16)
	v_wmma_f32_16x16x16_bf16 v[100:107], v[9:16], v[33:40], v[100:107]
	s_clause 0x1
	global_load_b128 v[33:36], v[70:71], off
	global_load_b128 v[37:40], v[70:71], off offset:16
	v_mad_i64_i32 v[70:71], null, s2, s5, v[68:69]
	s_waitcnt vmcnt(16)
	v_wmma_f32_16x16x16_bf16 v[124:131], v[17:24], v[108:115], v[124:131]
	s_waitcnt vmcnt(14)
	v_wmma_f32_16x16x16_bf16 v[100:107], v[25:32], v[108:115], v[100:107]
	s_clause 0x7
	global_load_b128 v[25:28], v[132:133], off
	global_load_b128 v[29:32], v[132:133], off offset:16
	global_load_b128 v[1:4], v[134:135], off
	global_load_b128 v[5:8], v[134:135], off offset:16
	;; [unrolled: 2-line block ×4, first 2 shown]
	s_waitcnt vmcnt(20)
	v_wmma_f32_16x16x16_bf16 v[124:131], v[57:64], v[116:123], v[124:131]
	s_clause 0x1
	global_load_b128 v[57:60], v[70:71], off
	global_load_b128 v[61:64], v[70:71], off offset:16
	s_waitcnt vmcnt(20)
	v_wmma_f32_16x16x16_bf16 v[100:107], v[76:83], v[116:123], v[100:107]
	ds_load_b128 v[76:79], v72 offset:6144
	ds_load_b128 v[80:83], v72 offset:7168
	v_and_b32_e32 v68, 0xe0, v0
	v_mbcnt_lo_u32_b32 v69, -1, 0
	s_waitcnt vmcnt(0) lgkmcnt(0)
	s_barrier
	buffer_gl0_inv
	v_add_nc_u32_e32 v68, s12, v68
	v_xor_b32_e32 v70, 16, v69
	s_delay_alu instid0(VALU_DEP_2) | instskip(NEXT) | instid1(VALU_DEP_2)
	v_or_b32_e32 v68, v68, v74
	v_cmp_gt_i32_e32 vcc_lo, 32, v70
	s_delay_alu instid0(VALU_DEP_2)
	v_or_b32_e32 v71, 4, v68
	v_or_b32_e32 v72, 6, v68
	v_cmp_gt_i32_e64 s2, s17, v68
	v_or_b32_e32 v108, 8, v68
	v_wmma_f32_16x16x16_bf16 v[124:131], v[84:91], v[76:83], v[124:131]
	v_cndmask_b32_e32 v69, v69, v70, vcc_lo
	v_or_b32_e32 v70, 2, v68
	v_wmma_f32_16x16x16_bf16 v[100:107], v[92:99], v[76:83], v[100:107]
	v_or_b32_e32 v109, 10, v68
	v_dual_mul_f32 v80, s18, v129 :: v_dual_mul_f32 v81, s18, v128
	v_dual_mul_f32 v92, s18, v125 :: v_dual_mul_f32 v93, s18, v124
	s_delay_alu instid0(VALU_DEP_4)
	v_mul_f32_e32 v96, s18, v105
	v_cmp_gt_i32_e32 vcc_lo, s17, v70
	v_or_b32_e32 v89, 22, v68
	v_dual_mul_f32 v79, s18, v130 :: v_dual_mul_f32 v82, s18, v127
	v_dual_mul_f32 v83, s18, v126 :: v_dual_mul_f32 v94, s18, v107
	v_cndmask_b32_e64 v93, 0xff7fffff, v93, s2
	v_cndmask_b32_e32 v92, 0xff7fffff, v92, vcc_lo
	v_cmp_gt_i32_e64 s3, s17, v71
	v_cmp_gt_i32_e64 s4, s17, v72
	v_or_b32_e32 v84, 12, v68
	v_or_b32_e32 v85, 14, v68
	v_cmp_gt_i32_e64 s5, s17, v108
	v_cndmask_b32_e64 v71, 0xff7fffff, v83, s3
	v_cndmask_b32_e64 v72, 0xff7fffff, v82, s4
	v_cmp_gt_i32_e64 s6, s17, v109
	v_cmp_gt_i32_e64 s12, s17, v89
	v_lshlrev_b32_e32 v89, 2, v69
	v_max3_f32 v82, v93, 0xff7fffff, v92
	v_or_b32_e32 v86, 16, v68
	v_or_b32_e32 v87, 18, v68
	v_mul_f32_e32 v78, s18, v131
	v_cndmask_b32_e64 v81, 0xff7fffff, v81, s5
	v_cndmask_b32_e64 v80, 0xff7fffff, v80, s6
	v_max3_f32 v71, v82, v71, v72
	v_cmp_gt_i32_e64 s7, s17, v84
	v_cmp_gt_i32_e64 s8, s17, v85
	v_or_b32_e32 v88, 20, v68
	v_or_b32_e32 v90, 24, v68
	;; [unrolled: 1-line block ×5, first 2 shown]
	v_dual_mul_f32 v97, s18, v104 :: v_dual_mul_f32 v70, s18, v101
	v_dual_mul_f32 v99, s18, v102 :: v_dual_mul_f32 v68, s18, v100
	v_cndmask_b32_e64 v72, 0xff7fffff, v79, s7
	v_cndmask_b32_e64 v78, 0xff7fffff, v78, s8
	v_max3_f32 v71, v71, v81, v80
	v_cmp_gt_i32_e64 s9, s17, v86
	v_cmp_gt_i32_e64 s10, s17, v87
	v_dual_mul_f32 v95, s18, v106 :: v_dual_mul_f32 v98, s18, v103
	s_delay_alu instid0(VALU_DEP_4) | instskip(NEXT) | instid1(VALU_DEP_4)
	v_max3_f32 v71, v71, v72, v78
	v_cndmask_b32_e64 v68, 0xff7fffff, v68, s9
	s_delay_alu instid0(VALU_DEP_4)
	v_cndmask_b32_e64 v70, 0xff7fffff, v70, s10
	v_cmp_gt_i32_e64 s11, s17, v88
	v_cndmask_b32_e64 v78, 0xff7fffff, v98, s12
	v_cmp_gt_i32_e64 s13, s17, v90
	v_cmp_gt_i32_e64 s15, s17, v91
	v_max3_f32 v68, v71, v68, v70
	v_cndmask_b32_e64 v72, 0xff7fffff, v99, s11
	v_cmp_gt_i32_e64 s16, s17, v76
	v_cndmask_b32_e64 v70, 0xff7fffff, v97, s13
	v_cndmask_b32_e64 v71, 0xff7fffff, v96, s15
	v_cmp_gt_i32_e64 s17, s17, v77
	v_max3_f32 v68, v68, v72, v78
	v_cndmask_b32_e64 v72, 0xff7fffff, v95, s16
	s_delay_alu instid0(VALU_DEP_3) | instskip(NEXT) | instid1(VALU_DEP_3)
	v_cndmask_b32_e64 v76, 0xff7fffff, v94, s17
	v_max3_f32 v68, v68, v70, v71
	s_delay_alu instid0(VALU_DEP_1) | instskip(SKIP_3) | instid1(VALU_DEP_1)
	v_max3_f32 v68, v68, v72, v76
	ds_bpermute_b32 v69, v89, v68
	s_waitcnt lgkmcnt(0)
	v_max_f32_e32 v69, v69, v69
	v_max_f32_e32 v68, v68, v69
	s_delay_alu instid0(VALU_DEP_1) | instskip(NEXT) | instid1(VALU_DEP_1)
	v_fma_f32 v71, s18, v126, -v68
	v_mul_f32_e32 v71, 0x3fb8aa3b, v71
	v_fma_f32 v70, s18, v125, -v68
	v_fma_f32 v69, s18, v124, -v68
	;; [unrolled: 1-line block ×5, first 2 shown]
	s_delay_alu instid0(VALU_DEP_4) | instskip(SKIP_1) | instid1(VALU_DEP_3)
	v_dual_mul_f32 v70, 0x3fb8aa3b, v70 :: v_dual_mul_f32 v69, 0x3fb8aa3b, v69
	v_exp_f32_e32 v71, v71
	v_mul_f32_e32 v72, 0x3fb8aa3b, v72
	v_fma_f32 v81, s18, v105, -v68
	s_delay_alu instid0(VALU_DEP_3)
	v_exp_f32_e32 v70, v70
	v_mul_f32_e32 v77, 0x3fb8aa3b, v76
	v_exp_f32_e32 v69, v69
	v_exp_f32_e32 v72, v72
	v_mul_f32_e32 v81, 0x3fb8aa3b, v81
	v_cndmask_b32_e64 v83, 0, v71, s3
	v_fma_f32 v71, s18, v131, -v68
	s_delay_alu instid0(VALU_DEP_3) | instskip(SKIP_4) | instid1(TRANS32_DEP_3)
	v_exp_f32_e32 v81, v81
	v_cndmask_b32_e32 v76, 0, v70, vcc_lo
	v_exp_f32_e32 v77, v77
	v_cndmask_b32_e64 v80, 0, v69, s2
	v_fma_f32 v69, s18, v129, -v68
	v_cndmask_b32_e64 v85, 0, v72, s4
	v_mul_f32_e32 v71, 0x3fb8aa3b, v71
	v_fma_f32 v72, s18, v100, -v68
	s_delay_alu instid0(VALU_DEP_4) | instskip(SKIP_1) | instid1(VALU_DEP_4)
	v_dual_add_f32 v70, 0, v80 :: v_dual_mul_f32 v69, 0x3fb8aa3b, v69
	v_cmp_gt_u32_e64 s2, 16, v67
	v_exp_f32_e32 v71, v71
	s_delay_alu instid0(TRANS32_DEP_2) | instskip(SKIP_4) | instid1(VALU_DEP_3)
	v_cndmask_b32_e64 v86, 0, v77, s5
	v_fma_f32 v77, s18, v101, -v68
	v_mul_f32_e32 v78, 0x3fb8aa3b, v78
	v_add_f32_e32 v70, v70, v76
	v_exp_f32_e32 v69, v69
	v_mul_f32_e32 v77, 0x3fb8aa3b, v77
	s_delay_alu instid0(VALU_DEP_3) | instskip(NEXT) | instid1(TRANS32_DEP_3)
	v_exp_f32_e32 v78, v78
	v_cndmask_b32_e64 v88, 0, v71, s8
	v_fma_f32 v71, s18, v104, -v68
	s_delay_alu instid0(VALU_DEP_3) | instskip(NEXT) | instid1(TRANS32_DEP_3)
	v_exp_f32_e32 v77, v77
	v_cndmask_b32_e64 v87, 0, v69, s6
	s_delay_alu instid0(VALU_DEP_2)
	v_mul_f32_e32 v71, 0x3fb8aa3b, v71
	s_waitcnt_depctr 0xfff
	v_cndmask_b32_e64 v84, 0, v78, s7
	v_add_f32_e32 v70, v70, v83
	v_fma_f32 v78, s18, v103, -v68
	v_exp_f32_e32 v82, v71
	s_delay_alu instid0(VALU_DEP_2) | instskip(SKIP_1) | instid1(VALU_DEP_3)
	v_add_f32_e32 v70, v70, v85
	v_mul_f32_e32 v72, 0x3fb8aa3b, v72
	v_mul_f32_e32 v78, 0x3fb8aa3b, v78
	s_delay_alu instid0(VALU_DEP_3) | instskip(SKIP_1) | instid1(VALU_DEP_4)
	v_add_f32_e32 v69, v70, v86
	v_fma_f32 v70, s18, v102, -v68
	v_exp_f32_e32 v72, v72
	s_delay_alu instid0(VALU_DEP_3) | instskip(NEXT) | instid1(VALU_DEP_1)
	v_exp_f32_e32 v78, v78
	v_dual_add_f32 v69, v69, v87 :: v_dual_mul_f32 v70, 0x3fb8aa3b, v70
	s_delay_alu instid0(VALU_DEP_1) | instskip(NEXT) | instid1(VALU_DEP_2)
	v_add_f32_e32 v69, v69, v84
	v_exp_f32_e32 v79, v70
	s_delay_alu instid0(TRANS32_DEP_3) | instskip(NEXT) | instid1(VALU_DEP_2)
	v_cndmask_b32_e64 v70, 0, v72, s9
	v_add_f32_e32 v72, v69, v88
	v_cndmask_b32_e64 v69, 0, v77, s10
	v_fma_f32 v77, s18, v106, -v68
	s_waitcnt_depctr 0xfff
	v_cndmask_b32_e64 v71, 0, v79, s11
	v_dual_mul_f32 v77, 0x3fb8aa3b, v77 :: v_dual_add_f32 v72, v72, v70
	s_delay_alu instid0(VALU_DEP_1) | instskip(NEXT) | instid1(VALU_DEP_1)
	v_exp_f32_e32 v90, v77
	v_add_f32_e32 v79, v72, v69
	v_cndmask_b32_e64 v72, 0, v78, s12
	v_cndmask_b32_e64 v77, 0, v82, s13
	s_delay_alu instid0(VALU_DEP_3) | instskip(SKIP_1) | instid1(VALU_DEP_1)
	v_add_f32_e32 v78, v79, v71
	v_fma_f32 v79, s18, v107, -v68
	v_dual_add_f32 v82, v78, v72 :: v_dual_mul_f32 v79, 0x3fb8aa3b, v79
	v_cndmask_b32_e64 v78, 0, v81, s15
	s_delay_alu instid0(VALU_DEP_2) | instskip(NEXT) | instid1(VALU_DEP_3)
	v_add_f32_e32 v81, v82, v77
	v_exp_f32_e32 v82, v79
	v_cndmask_b32_e64 v79, 0, v90, s16
	s_delay_alu instid0(VALU_DEP_2) | instskip(NEXT) | instid1(VALU_DEP_1)
	v_add_f32_e32 v81, v81, v78
	v_add_f32_e32 v90, v81, v79
	s_waitcnt_depctr 0xfff
	v_cndmask_b32_e64 v81, 0, v82, s17
	s_delay_alu instid0(VALU_DEP_1)
	v_add_f32_e32 v82, v90, v81
	ds_bpermute_b32 v89, v89, v82
	s_and_saveexec_b32 s3, s2
	s_cbranch_execz .LBB1598_12
; %bb.11:
	v_mul_u32_u24_e32 v67, 0x44, v66
	s_delay_alu instid0(VALU_DEP_1) | instskip(SKIP_1) | instid1(VALU_DEP_1)
	v_lshl_add_u32 v67, v65, 2, v67
	s_waitcnt lgkmcnt(0)
	v_dual_add_f32 v82, v82, v89 :: v_dual_add_nc_u32 v67, 0x4000, v67
	ds_store_2addr_b32 v67, v68, v82 offset1:136
.LBB1598_12:
	s_or_b32 exec_lo, exec_lo, s3
	v_lshlrev_b32_e32 v67, 2, v65
	s_waitcnt lgkmcnt(0)
	s_barrier
	buffer_gl0_inv
	v_cmp_eq_u32_e32 vcc_lo, 1, v66
	v_add_nc_u32_e32 v82, 0x4000, v67
	v_cmp_eq_u32_e64 s3, 2, v66
	v_cmp_eq_u32_e64 s5, 7, v66
	ds_load_2addr_b32 v[89:90], v82 offset1:17
	ds_load_2addr_b32 v[91:92], v82 offset0:34 offset1:51
	ds_load_2addr_b32 v[93:94], v82 offset0:68 offset1:85
	;; [unrolled: 1-line block ×4, first 2 shown]
	s_waitcnt lgkmcnt(4)
	v_max3_f32 v67, v89, 0xff7fffff, v90
	s_waitcnt lgkmcnt(3)
	s_delay_alu instid0(VALU_DEP_1) | instskip(SKIP_1) | instid1(VALU_DEP_1)
	v_max3_f32 v67, v67, v91, v92
	s_waitcnt lgkmcnt(2)
	v_max3_f32 v67, v67, v93, v94
	s_waitcnt lgkmcnt(1)
	s_delay_alu instid0(VALU_DEP_1) | instskip(NEXT) | instid1(VALU_DEP_1)
	v_max3_f32 v67, v67, v95, v96
	v_sub_f32_e32 v93, v93, v67
	s_delay_alu instid0(VALU_DEP_1) | instskip(NEXT) | instid1(VALU_DEP_1)
	v_dual_sub_f32 v68, v89, v67 :: v_dual_mul_f32 v103, 0x3fb8aa3b, v93
	v_mul_f32_e32 v68, 0x3fb8aa3b, v68
	s_delay_alu instid0(VALU_DEP_1)
	v_exp_f32_e32 v100, v68
	v_sub_f32_e32 v68, v92, v67
	v_sub_f32_e32 v99, v90, v67
	ds_load_2addr_b32 v[89:90], v82 offset0:170 offset1:187
	v_dual_mul_f32 v102, 0x3fb8aa3b, v68 :: v_dual_mul_f32 v99, 0x3fb8aa3b, v99
	s_waitcnt lgkmcnt(1)
	v_fma_f32 v68, v100, v97, 0
	s_delay_alu instid0(VALU_DEP_2) | instskip(NEXT) | instid1(VALU_DEP_2)
	v_exp_f32_e32 v102, v102
	v_exp_f32_e32 v99, v99
	s_waitcnt_depctr 0xfff
	v_fmac_f32_e32 v68, v99, v98
	v_sub_f32_e32 v91, v91, v67
	s_delay_alu instid0(VALU_DEP_1)
	v_mul_f32_e32 v101, 0x3fb8aa3b, v91
	ds_load_2addr_b32 v[91:92], v82 offset0:204 offset1:221
	v_sub_f32_e32 v97, v94, v67
	ds_load_2addr_b32 v[93:94], v82 offset0:238 offset1:255
	s_waitcnt lgkmcnt(0)
	v_exp_f32_e32 v101, v101
	s_barrier
	buffer_gl0_inv
	v_dual_fmac_f32 v68, v101, v89 :: v_dual_sub_f32 v89, v96, v67
	v_dual_sub_f32 v82, v95, v67 :: v_dual_mul_f32 v95, 0x3fb8aa3b, v97
	v_exp_f32_e32 v97, v103
	s_delay_alu instid0(VALU_DEP_2) | instskip(NEXT) | instid1(VALU_DEP_2)
	v_dual_fmac_f32 v68, v102, v90 :: v_dual_mul_f32 v89, 0x3fb8aa3b, v89
	v_mul_f32_e32 v82, 0x3fb8aa3b, v82
	s_delay_alu instid0(VALU_DEP_3) | instskip(NEXT) | instid1(VALU_DEP_2)
	v_exp_f32_e32 v95, v95
	v_exp_f32_e32 v89, v89
	s_delay_alu instid0(VALU_DEP_1)
	v_exp_f32_e32 v82, v82
	v_fmac_f32_e32 v68, v97, v91
	s_delay_alu instid0(TRANS32_DEP_3) | instid1(VALU_DEP_1)
	v_fmac_f32_e32 v68, v95, v92
	s_waitcnt_depctr 0xfff
	v_fmac_f32_e32 v68, v82, v93
	s_delay_alu instid0(VALU_DEP_1) | instskip(NEXT) | instid1(VALU_DEP_1)
	v_fmac_f32_e32 v68, v89, v94
	v_add_f32_e32 v90, 0x358637bd, v68
	s_delay_alu instid0(VALU_DEP_1) | instskip(NEXT) | instid1(VALU_DEP_1)
	v_div_scale_f32 v91, null, v90, v90, 1.0
	v_rcp_f32_e32 v92, v91
	s_waitcnt_depctr 0xfff
	v_fma_f32 v93, -v91, v92, 1.0
	s_delay_alu instid0(VALU_DEP_1) | instskip(SKIP_1) | instid1(VALU_DEP_2)
	v_dual_fmac_f32 v92, v93, v92 :: v_dual_cndmask_b32 v93, v100, v99
	v_cmp_eq_u32_e32 vcc_lo, 3, v66
	v_cndmask_b32_e64 v93, v93, v101, s3
	v_cmp_eq_u32_e64 s3, 4, v66
	s_delay_alu instid0(VALU_DEP_2) | instskip(SKIP_1) | instid1(VALU_DEP_2)
	v_cndmask_b32_e32 v93, v93, v102, vcc_lo
	v_cmp_eq_u32_e32 vcc_lo, 5, v66
	v_cndmask_b32_e64 v93, v93, v97, s3
	v_cmp_eq_u32_e64 s3, 6, v66
	s_delay_alu instid0(VALU_DEP_2) | instskip(SKIP_1) | instid1(VALU_DEP_1)
	v_cndmask_b32_e32 v93, v93, v95, vcc_lo
	v_div_scale_f32 v94, s4, 1.0, v90, 1.0
	s_mov_b32 vcc_lo, s4
	s_delay_alu instid0(VALU_DEP_2) | instskip(NEXT) | instid1(VALU_DEP_2)
	v_cndmask_b32_e64 v82, v93, v82, s3
	v_mul_f32_e32 v96, v94, v92
	s_mov_b32 s3, exec_lo
	s_delay_alu instid0(VALU_DEP_2) | instskip(NEXT) | instid1(VALU_DEP_2)
	v_cndmask_b32_e64 v82, v82, v89, s5
	v_fma_f32 v98, -v91, v96, v94
	s_delay_alu instid0(VALU_DEP_1) | instskip(NEXT) | instid1(VALU_DEP_1)
	v_fmac_f32_e32 v96, v98, v92
	v_fma_f32 v91, -v91, v96, v94
	s_delay_alu instid0(VALU_DEP_1) | instskip(NEXT) | instid1(VALU_DEP_1)
	v_div_fmas_f32 v91, v91, v92, v96
	v_div_fixup_f32 v90, v91, v90, 1.0
	s_delay_alu instid0(VALU_DEP_1) | instskip(NEXT) | instid1(VALU_DEP_1)
	v_mul_f32_e32 v82, v82, v90
	v_mul_f32_e32 v87, v82, v87
	v_mul_f32_e32 v90, v82, v80
	v_mul_f32_e32 v80, v82, v88
	v_mul_f32_e32 v84, v82, v84
	v_mul_f32_e32 v88, v82, v86
	v_mul_f32_e32 v89, v82, v85
	v_dual_mul_f32 v86, v82, v83 :: v_dual_and_b32 v91, 0x7f800000, v90
	v_mul_f32_e32 v85, v82, v76
                                        ; implicit-def: $vgpr76
	s_delay_alu instid0(VALU_DEP_2)
	v_cmpx_ne_u32_e32 0x7f800000, v91
	s_xor_b32 s3, exec_lo, s3
; %bb.13:
	v_bfe_u32 v76, v90, 16, 1
	s_delay_alu instid0(VALU_DEP_1)
	v_add3_u32 v76, v90, v76, 0x7fff
                                        ; implicit-def: $vgpr90
; %bb.14:
	s_and_not1_saveexec_b32 s3, s3
; %bb.15:
	v_and_b32_e32 v76, 0xffff, v90
	v_or_b32_e32 v83, 0x10000, v90
	s_delay_alu instid0(VALU_DEP_2) | instskip(NEXT) | instid1(VALU_DEP_2)
	v_cmp_eq_u32_e32 vcc_lo, 0, v76
	v_cndmask_b32_e32 v76, v83, v90, vcc_lo
; %bb.16:
	s_or_b32 exec_lo, exec_lo, s3
	v_and_b32_e32 v83, 0x7f800000, v85
	s_delay_alu instid0(VALU_DEP_1) | instskip(SKIP_1) | instid1(SALU_CYCLE_1)
	v_cmp_ne_u32_e32 vcc_lo, 0x7f800000, v83
                                        ; implicit-def: $vgpr83
	s_and_saveexec_b32 s3, vcc_lo
	s_xor_b32 s3, exec_lo, s3
; %bb.17:
	v_bfe_u32 v83, v85, 16, 1
	s_delay_alu instid0(VALU_DEP_1)
	v_add3_u32 v83, v85, v83, 0x7fff
                                        ; implicit-def: $vgpr85
; %bb.18:
	s_and_not1_saveexec_b32 s3, s3
; %bb.19:
	v_and_b32_e32 v83, 0xffff, v85
	v_or_b32_e32 v90, 0x10000, v85
	s_delay_alu instid0(VALU_DEP_2) | instskip(NEXT) | instid1(VALU_DEP_2)
	v_cmp_eq_u32_e32 vcc_lo, 0, v83
	v_cndmask_b32_e32 v83, v90, v85, vcc_lo
; %bb.20:
	s_or_b32 exec_lo, exec_lo, s3
	v_and_b32_e32 v85, 0x7f800000, v86
	s_delay_alu instid0(VALU_DEP_1) | instskip(SKIP_1) | instid1(SALU_CYCLE_1)
	v_cmp_ne_u32_e32 vcc_lo, 0x7f800000, v85
                                        ; implicit-def: $vgpr85
	s_and_saveexec_b32 s3, vcc_lo
	s_xor_b32 s3, exec_lo, s3
; %bb.21:
	v_bfe_u32 v85, v86, 16, 1
	s_delay_alu instid0(VALU_DEP_1)
	v_add3_u32 v85, v86, v85, 0x7fff
                                        ; implicit-def: $vgpr86
; %bb.22:
	s_and_not1_saveexec_b32 s3, s3
; %bb.23:
	v_and_b32_e32 v85, 0xffff, v86
	v_or_b32_e32 v90, 0x10000, v86
	s_delay_alu instid0(VALU_DEP_2) | instskip(NEXT) | instid1(VALU_DEP_2)
	v_cmp_eq_u32_e32 vcc_lo, 0, v85
	v_cndmask_b32_e32 v85, v90, v86, vcc_lo
; %bb.24:
	s_or_b32 exec_lo, exec_lo, s3
	v_and_b32_e32 v86, 0x7f800000, v89
	s_delay_alu instid0(VALU_DEP_1) | instskip(SKIP_1) | instid1(SALU_CYCLE_1)
	v_cmp_ne_u32_e32 vcc_lo, 0x7f800000, v86
                                        ; implicit-def: $vgpr86
	s_and_saveexec_b32 s3, vcc_lo
	s_xor_b32 s3, exec_lo, s3
; %bb.25:
	v_bfe_u32 v86, v89, 16, 1
	s_delay_alu instid0(VALU_DEP_1)
	v_add3_u32 v86, v89, v86, 0x7fff
                                        ; implicit-def: $vgpr89
; %bb.26:
	s_and_not1_saveexec_b32 s3, s3
; %bb.27:
	v_and_b32_e32 v86, 0xffff, v89
	v_or_b32_e32 v90, 0x10000, v89
	s_delay_alu instid0(VALU_DEP_2) | instskip(NEXT) | instid1(VALU_DEP_2)
	v_cmp_eq_u32_e32 vcc_lo, 0, v86
	v_cndmask_b32_e32 v86, v90, v89, vcc_lo
; %bb.28:
	s_or_b32 exec_lo, exec_lo, s3
	v_and_b32_e32 v89, 0x7f800000, v88
	s_delay_alu instid0(VALU_DEP_1) | instskip(SKIP_1) | instid1(SALU_CYCLE_1)
	v_cmp_ne_u32_e32 vcc_lo, 0x7f800000, v89
                                        ; implicit-def: $vgpr89
	s_and_saveexec_b32 s3, vcc_lo
	s_xor_b32 s3, exec_lo, s3
; %bb.29:
	v_bfe_u32 v89, v88, 16, 1
	s_delay_alu instid0(VALU_DEP_1)
	v_add3_u32 v89, v88, v89, 0x7fff
                                        ; implicit-def: $vgpr88
; %bb.30:
	s_and_not1_saveexec_b32 s3, s3
; %bb.31:
	v_and_b32_e32 v89, 0xffff, v88
	v_or_b32_e32 v90, 0x10000, v88
	s_delay_alu instid0(VALU_DEP_2) | instskip(NEXT) | instid1(VALU_DEP_2)
	v_cmp_eq_u32_e32 vcc_lo, 0, v89
	v_cndmask_b32_e32 v89, v90, v88, vcc_lo
; %bb.32:
	s_or_b32 exec_lo, exec_lo, s3
	v_and_b32_e32 v88, 0x7f800000, v87
	s_delay_alu instid0(VALU_DEP_1) | instskip(SKIP_1) | instid1(SALU_CYCLE_1)
	v_cmp_ne_u32_e32 vcc_lo, 0x7f800000, v88
                                        ; implicit-def: $vgpr88
	s_and_saveexec_b32 s3, vcc_lo
	s_xor_b32 s3, exec_lo, s3
; %bb.33:
	v_bfe_u32 v88, v87, 16, 1
	s_delay_alu instid0(VALU_DEP_1)
	v_add3_u32 v88, v87, v88, 0x7fff
                                        ; implicit-def: $vgpr87
; %bb.34:
	s_and_not1_saveexec_b32 s3, s3
; %bb.35:
	v_and_b32_e32 v88, 0xffff, v87
	v_or_b32_e32 v90, 0x10000, v87
	s_delay_alu instid0(VALU_DEP_2) | instskip(NEXT) | instid1(VALU_DEP_2)
	v_cmp_eq_u32_e32 vcc_lo, 0, v88
	v_cndmask_b32_e32 v88, v90, v87, vcc_lo
; %bb.36:
	s_or_b32 exec_lo, exec_lo, s3
	v_and_b32_e32 v87, 0x7f800000, v84
	s_delay_alu instid0(VALU_DEP_1) | instskip(SKIP_1) | instid1(SALU_CYCLE_1)
	v_cmp_ne_u32_e32 vcc_lo, 0x7f800000, v87
                                        ; implicit-def: $vgpr87
	s_and_saveexec_b32 s3, vcc_lo
	s_xor_b32 s3, exec_lo, s3
; %bb.37:
	v_bfe_u32 v87, v84, 16, 1
	s_delay_alu instid0(VALU_DEP_1)
	v_add3_u32 v87, v84, v87, 0x7fff
                                        ; implicit-def: $vgpr84
; %bb.38:
	s_and_not1_saveexec_b32 s3, s3
; %bb.39:
	v_and_b32_e32 v87, 0xffff, v84
	v_or_b32_e32 v90, 0x10000, v84
	s_delay_alu instid0(VALU_DEP_2) | instskip(NEXT) | instid1(VALU_DEP_2)
	v_cmp_eq_u32_e32 vcc_lo, 0, v87
	v_cndmask_b32_e32 v87, v90, v84, vcc_lo
; %bb.40:
	s_or_b32 exec_lo, exec_lo, s3
	v_and_b32_e32 v84, 0x7f800000, v80
	s_delay_alu instid0(VALU_DEP_1) | instskip(SKIP_1) | instid1(SALU_CYCLE_1)
	v_cmp_ne_u32_e32 vcc_lo, 0x7f800000, v84
                                        ; implicit-def: $vgpr84
	s_and_saveexec_b32 s3, vcc_lo
	s_xor_b32 s3, exec_lo, s3
; %bb.41:
	v_bfe_u32 v84, v80, 16, 1
	s_delay_alu instid0(VALU_DEP_1)
	v_add3_u32 v84, v80, v84, 0x7fff
                                        ; implicit-def: $vgpr80
; %bb.42:
	s_and_not1_saveexec_b32 s3, s3
; %bb.43:
	v_and_b32_e32 v84, 0xffff, v80
	v_or_b32_e32 v90, 0x10000, v80
	s_delay_alu instid0(VALU_DEP_2) | instskip(NEXT) | instid1(VALU_DEP_2)
	v_cmp_eq_u32_e32 vcc_lo, 0, v84
	v_cndmask_b32_e32 v84, v90, v80, vcc_lo
; %bb.44:
	s_or_b32 exec_lo, exec_lo, s3
	s_load_b64 s[34:35], s[0:1], 0x94
	v_lshlrev_b32_e32 v91, 4, v74
	s_delay_alu instid0(VALU_DEP_2)
	v_perm_b32 v90, v84, v87, 0x7060302
	v_dual_mul_f32 v79, v82, v79 :: v_dual_lshlrev_b32 v80, 6, v65
	v_dual_mul_f32 v77, v82, v77 :: v_dual_lshlrev_b32 v92, 11, v66
	v_mul_f32_e32 v84, v82, v70
	v_perm_b32 v89, v88, v89, 0x7060302
	v_perm_b32 v88, v86, v85, 0x7060302
	;; [unrolled: 1-line block ×3, first 2 shown]
	v_mul_f32_e32 v70, v82, v81
	v_or3_b32 v76, v91, v92, v80
	v_dual_mul_f32 v78, v82, v78 :: v_dual_and_b32 v85, 0x7f800000, v84
	v_mul_f32_e32 v83, v82, v72
	v_mul_f32_e32 v81, v82, v71
	;; [unrolled: 1-line block ×3, first 2 shown]
	s_mov_b32 s3, exec_lo
	ds_store_b128 v76, v[87:90]
                                        ; implicit-def: $vgpr69
	v_cmpx_ne_u32_e32 0x7f800000, v85
	s_xor_b32 s3, exec_lo, s3
; %bb.45:
	v_bfe_u32 v69, v84, 16, 1
	s_delay_alu instid0(VALU_DEP_1)
	v_add3_u32 v69, v84, v69, 0x7fff
                                        ; implicit-def: $vgpr84
; %bb.46:
	s_and_not1_saveexec_b32 s3, s3
; %bb.47:
	v_and_b32_e32 v69, 0xffff, v84
	v_or_b32_e32 v71, 0x10000, v84
	s_delay_alu instid0(VALU_DEP_2) | instskip(NEXT) | instid1(VALU_DEP_2)
	v_cmp_eq_u32_e32 vcc_lo, 0, v69
	v_cndmask_b32_e32 v69, v71, v84, vcc_lo
; %bb.48:
	s_or_b32 exec_lo, exec_lo, s3
	v_and_b32_e32 v71, 0x7f800000, v72
	s_delay_alu instid0(VALU_DEP_1) | instskip(SKIP_1) | instid1(SALU_CYCLE_1)
	v_cmp_ne_u32_e32 vcc_lo, 0x7f800000, v71
                                        ; implicit-def: $vgpr71
	s_and_saveexec_b32 s3, vcc_lo
	s_xor_b32 s3, exec_lo, s3
; %bb.49:
	v_bfe_u32 v71, v72, 16, 1
	s_delay_alu instid0(VALU_DEP_1)
	v_add3_u32 v71, v72, v71, 0x7fff
                                        ; implicit-def: $vgpr72
; %bb.50:
	s_and_not1_saveexec_b32 s3, s3
; %bb.51:
	v_and_b32_e32 v71, 0xffff, v72
	v_or_b32_e32 v82, 0x10000, v72
	s_delay_alu instid0(VALU_DEP_2) | instskip(NEXT) | instid1(VALU_DEP_2)
	v_cmp_eq_u32_e32 vcc_lo, 0, v71
	v_cndmask_b32_e32 v71, v82, v72, vcc_lo
; %bb.52:
	s_or_b32 exec_lo, exec_lo, s3
	v_and_b32_e32 v72, 0x7f800000, v81
	s_delay_alu instid0(VALU_DEP_1) | instskip(SKIP_1) | instid1(SALU_CYCLE_1)
	v_cmp_ne_u32_e32 vcc_lo, 0x7f800000, v72
                                        ; implicit-def: $vgpr72
	s_and_saveexec_b32 s3, vcc_lo
	s_xor_b32 s3, exec_lo, s3
; %bb.53:
	v_bfe_u32 v72, v81, 16, 1
	s_delay_alu instid0(VALU_DEP_1)
	v_add3_u32 v72, v81, v72, 0x7fff
                                        ; implicit-def: $vgpr81
; %bb.54:
	s_and_not1_saveexec_b32 s3, s3
; %bb.55:
	v_and_b32_e32 v72, 0xffff, v81
	v_or_b32_e32 v82, 0x10000, v81
	s_delay_alu instid0(VALU_DEP_2) | instskip(NEXT) | instid1(VALU_DEP_2)
	v_cmp_eq_u32_e32 vcc_lo, 0, v72
	v_cndmask_b32_e32 v72, v82, v81, vcc_lo
; %bb.56:
	s_or_b32 exec_lo, exec_lo, s3
	v_and_b32_e32 v81, 0x7f800000, v83
	s_delay_alu instid0(VALU_DEP_1) | instskip(SKIP_1) | instid1(SALU_CYCLE_1)
	v_cmp_ne_u32_e32 vcc_lo, 0x7f800000, v81
                                        ; implicit-def: $vgpr81
	s_and_saveexec_b32 s3, vcc_lo
	s_xor_b32 s3, exec_lo, s3
; %bb.57:
	v_bfe_u32 v81, v83, 16, 1
	s_delay_alu instid0(VALU_DEP_1)
	v_add3_u32 v81, v83, v81, 0x7fff
                                        ; implicit-def: $vgpr83
; %bb.58:
	s_and_not1_saveexec_b32 s3, s3
; %bb.59:
	v_and_b32_e32 v81, 0xffff, v83
	v_or_b32_e32 v82, 0x10000, v83
	s_delay_alu instid0(VALU_DEP_2) | instskip(NEXT) | instid1(VALU_DEP_2)
	v_cmp_eq_u32_e32 vcc_lo, 0, v81
	v_cndmask_b32_e32 v81, v82, v83, vcc_lo
; %bb.60:
	s_or_b32 exec_lo, exec_lo, s3
	v_and_b32_e32 v82, 0x7f800000, v77
	s_delay_alu instid0(VALU_DEP_1) | instskip(SKIP_1) | instid1(SALU_CYCLE_1)
	v_cmp_ne_u32_e32 vcc_lo, 0x7f800000, v82
                                        ; implicit-def: $vgpr82
	s_and_saveexec_b32 s3, vcc_lo
	s_xor_b32 s3, exec_lo, s3
; %bb.61:
	v_bfe_u32 v82, v77, 16, 1
	s_delay_alu instid0(VALU_DEP_1)
	v_add3_u32 v82, v77, v82, 0x7fff
                                        ; implicit-def: $vgpr77
; %bb.62:
	s_and_not1_saveexec_b32 s3, s3
; %bb.63:
	v_and_b32_e32 v82, 0xffff, v77
	v_or_b32_e32 v83, 0x10000, v77
	s_delay_alu instid0(VALU_DEP_2) | instskip(NEXT) | instid1(VALU_DEP_2)
	v_cmp_eq_u32_e32 vcc_lo, 0, v82
	v_cndmask_b32_e32 v82, v83, v77, vcc_lo
; %bb.64:
	s_or_b32 exec_lo, exec_lo, s3
	v_and_b32_e32 v77, 0x7f800000, v78
	s_delay_alu instid0(VALU_DEP_1) | instskip(SKIP_1) | instid1(SALU_CYCLE_1)
	v_cmp_ne_u32_e32 vcc_lo, 0x7f800000, v77
                                        ; implicit-def: $vgpr77
	s_and_saveexec_b32 s3, vcc_lo
	s_xor_b32 s3, exec_lo, s3
; %bb.65:
	v_bfe_u32 v77, v78, 16, 1
	s_delay_alu instid0(VALU_DEP_1)
	v_add3_u32 v77, v78, v77, 0x7fff
                                        ; implicit-def: $vgpr78
; %bb.66:
	s_and_not1_saveexec_b32 s3, s3
; %bb.67:
	v_and_b32_e32 v77, 0xffff, v78
	v_or_b32_e32 v83, 0x10000, v78
	s_delay_alu instid0(VALU_DEP_2) | instskip(NEXT) | instid1(VALU_DEP_2)
	v_cmp_eq_u32_e32 vcc_lo, 0, v77
	v_cndmask_b32_e32 v77, v83, v78, vcc_lo
; %bb.68:
	s_or_b32 exec_lo, exec_lo, s3
	v_and_b32_e32 v78, 0x7f800000, v79
	s_delay_alu instid0(VALU_DEP_1) | instskip(SKIP_1) | instid1(SALU_CYCLE_1)
	v_cmp_ne_u32_e32 vcc_lo, 0x7f800000, v78
                                        ; implicit-def: $vgpr78
	s_and_saveexec_b32 s3, vcc_lo
	s_xor_b32 s3, exec_lo, s3
; %bb.69:
	v_bfe_u32 v78, v79, 16, 1
	s_delay_alu instid0(VALU_DEP_1)
	v_add3_u32 v78, v79, v78, 0x7fff
                                        ; implicit-def: $vgpr79
; %bb.70:
	s_and_not1_saveexec_b32 s3, s3
; %bb.71:
	v_and_b32_e32 v78, 0xffff, v79
	v_or_b32_e32 v83, 0x10000, v79
	s_delay_alu instid0(VALU_DEP_2) | instskip(NEXT) | instid1(VALU_DEP_2)
	v_cmp_eq_u32_e32 vcc_lo, 0, v78
	v_cndmask_b32_e32 v78, v83, v79, vcc_lo
; %bb.72:
	s_or_b32 exec_lo, exec_lo, s3
	v_and_b32_e32 v79, 0x7f800000, v70
	s_delay_alu instid0(VALU_DEP_1) | instskip(SKIP_1) | instid1(SALU_CYCLE_1)
	v_cmp_ne_u32_e32 vcc_lo, 0x7f800000, v79
                                        ; implicit-def: $vgpr79
	s_and_saveexec_b32 s3, vcc_lo
	s_xor_b32 s3, exec_lo, s3
; %bb.73:
	v_bfe_u32 v79, v70, 16, 1
	s_delay_alu instid0(VALU_DEP_1)
	v_add3_u32 v79, v70, v79, 0x7fff
                                        ; implicit-def: $vgpr70
; %bb.74:
	s_and_not1_saveexec_b32 s3, s3
; %bb.75:
	v_and_b32_e32 v79, 0xffff, v70
	v_or_b32_e32 v83, 0x10000, v70
	s_delay_alu instid0(VALU_DEP_2) | instskip(NEXT) | instid1(VALU_DEP_2)
	v_cmp_eq_u32_e32 vcc_lo, 0, v79
	v_cndmask_b32_e32 v79, v83, v70, vcc_lo
; %bb.76:
	s_or_b32 exec_lo, exec_lo, s3
	s_delay_alu instid0(VALU_DEP_1)
	v_perm_b32 v86, v79, v78, 0x7060302
	v_perm_b32 v85, v77, v82, 0x7060302
	v_perm_b32 v84, v81, v72, 0x7060302
	v_perm_b32 v83, v71, v69, 0x7060302
	v_lshl_or_b32 v82, v66, 11, v80
	ds_store_b128 v76, v[83:86] offset:1024
	s_waitcnt lgkmcnt(0)
	s_barrier
	buffer_gl0_inv
	ds_load_b128 v[69:72], v82
	ds_load_b128 v[83:86], v82 offset:16
	s_waitcnt lgkmcnt(1)
	v_lshrrev_b32_e32 v66, 16, v69
	s_waitcnt lgkmcnt(0)
	v_lshrrev_b32_e32 v91, 16, v83
	v_lshlrev_b32_e32 v78, 2, v74
	v_lshrrev_b32_e32 v95, 16, v70
	v_lshrrev_b32_e32 v98, 16, v84
	;; [unrolled: 1-line block ×4, first 2 shown]
	v_cmp_eq_u32_e32 vcc_lo, 1, v78
	v_lshrrev_b32_e32 v97, 16, v72
	v_lshrrev_b32_e32 v100, 16, v86
	v_cndmask_b32_e32 v87, v83, v91, vcc_lo
	v_or_b32_e32 v79, 1, v78
	v_cndmask_b32_e32 v81, v69, v66, vcc_lo
	v_cmp_eq_u32_e64 s4, 2, v78
	v_cmp_eq_u32_e64 s7, 3, v78
	;; [unrolled: 1-line block ×5, first 2 shown]
	v_cndmask_b32_e64 v81, v81, v70, s4
	v_cndmask_b32_e64 v87, v87, v84, s4
	v_cmp_eq_u32_e64 s8, 3, v79
	v_cndmask_b32_e64 v88, v69, v66, s3
	v_or_b32_e32 v77, 2, v78
	v_cndmask_b32_e64 v81, v81, v95, s7
	v_cndmask_b32_e64 v87, v87, v98, s7
	;; [unrolled: 1-line block ×4, first 2 shown]
	v_cmp_eq_u32_e64 s10, 5, v78
	v_cndmask_b32_e64 v81, v81, v71, s9
	v_cndmask_b32_e64 v87, v87, v85, s9
	v_cmp_eq_u32_e64 s11, 4, v79
	v_cndmask_b32_e64 v88, v88, v95, s8
	v_cmp_eq_u32_e64 s5, 1, v77
	v_cndmask_b32_e64 v89, v89, v84, s6
	v_cndmask_b32_e64 v81, v81, v96, s10
	v_cmp_eq_u32_e64 s12, 6, v78
	v_cndmask_b32_e64 v88, v88, v71, s11
	;; [unrolled: 3-line block ×3, first 2 shown]
	v_cndmask_b32_e64 v89, v89, v98, s8
	v_cndmask_b32_e64 v81, v81, v72, s12
	v_cmp_eq_u32_e64 s15, 7, v78
	v_cndmask_b32_e64 v88, v88, v96, s13
	v_cndmask_b32_e64 v87, v87, v86, s12
	v_cmp_eq_u32_e64 s16, 6, v79
	v_cmp_eq_u32_e64 s17, 2, v77
	v_cndmask_b32_e64 v89, v89, v85, s11
	v_cndmask_b32_e64 v101, v81, v97, s15
	v_cndmask_b32_e64 v102, v87, v100, s15
	v_cndmask_b32_e64 v88, v88, v72, s16
	v_cndmask_b32_e64 v81, v90, v70, s17
	v_cndmask_b32_e64 v87, v83, v91, s5
	v_cmp_eq_u32_e64 s18, 7, v79
	v_cmp_eq_u32_e64 s19, 3, v77
	;; [unrolled: 1-line block ×4, first 2 shown]
	v_cndmask_b32_e64 v87, v87, v84, s17
	v_cndmask_b32_e64 v103, v88, v97, s18
	;; [unrolled: 1-line block ×4, first 2 shown]
	v_or_b32_e32 v81, 3, v78
	v_cndmask_b32_e64 v93, v87, v98, s19
	v_cmp_eq_u32_e64 s24, 6, v77
	v_cndmask_b32_e64 v104, v88, v86, s16
	v_cndmask_b32_e64 v92, v89, v71, s20
	v_cmp_eq_u32_e64 s21, 1, v81
	ds_load_b128 v[87:90], v82 offset:1024
	v_cmp_eq_u32_e64 s23, 2, v81
	v_cmp_eq_u32_e64 s25, 3, v81
	v_cndmask_b32_e64 v105, v92, v96, s22
	v_cndmask_b32_e64 v66, v69, v66, s21
	;; [unrolled: 1-line block ×4, first 2 shown]
	ds_load_b128 v[91:94], v82 offset:1040
	v_cmp_eq_u32_e64 s26, 4, v81
	v_cndmask_b32_e64 v66, v66, v70, s23
	v_cmp_eq_u32_e64 s27, 7, v77
	v_cndmask_b32_e64 v70, v83, v84, s23
	v_cndmask_b32_e64 v84, v105, v72, s24
	v_cmp_eq_u32_e64 s28, 5, v81
	v_cndmask_b32_e64 v66, v66, v95, s25
	v_cmp_eq_u32_e64 s29, 6, v81
	v_cndmask_b32_e64 v70, v70, v98, s25
	v_cndmask_b32_e64 v69, v69, v99, s22
	;; [unrolled: 1-line block ×4, first 2 shown]
	s_waitcnt lgkmcnt(1)
	v_lshrrev_b32_e32 v95, 16, v87
	v_cndmask_b32_e64 v70, v70, v85, s26
	v_cndmask_b32_e64 v71, v84, v97, s27
	;; [unrolled: 1-line block ×4, first 2 shown]
	v_cndmask_b32_e32 v84, v87, v95, vcc_lo
	v_cndmask_b32_e64 v70, v70, v99, s28
	s_waitcnt lgkmcnt(0)
	v_lshrrev_b32_e32 v85, 16, v91
	v_lshrrev_b32_e32 v96, 16, v88
	v_cndmask_b32_e64 v98, v87, v95, s3
	v_cndmask_b32_e64 v84, v84, v88, s4
	;; [unrolled: 1-line block ×3, first 2 shown]
	v_cndmask_b32_e32 v99, v91, v85, vcc_lo
	v_cmp_eq_u32_e32 vcc_lo, 7, v81
	v_cndmask_b32_e64 v66, v66, v72, s29
	v_cndmask_b32_e64 v72, v84, v96, s7
	;; [unrolled: 1-line block ×3, first 2 shown]
	v_lshrrev_b32_e32 v98, 16, v92
	v_cndmask_b32_e32 v70, v70, v100, vcc_lo
	v_cndmask_b32_e64 v86, v99, v92, s4
	v_cndmask_b32_e64 v69, v69, v100, s27
	v_lshrrev_b32_e32 v100, 16, v93
	v_cndmask_b32_e64 v72, v72, v89, s9
	v_lshrrev_b32_e32 v99, 16, v89
	v_cndmask_b32_e64 v86, v86, v98, s7
	v_perm_b32 v71, v69, v71, 0x5040100
	v_cndmask_b32_e64 v84, v84, v96, s8
	s_delay_alu instid0(VALU_DEP_3) | instskip(NEXT) | instid1(VALU_DEP_2)
	v_cndmask_b32_e64 v86, v86, v93, s9
	v_cndmask_b32_e64 v84, v84, v89, s11
	s_delay_alu instid0(VALU_DEP_2) | instskip(NEXT) | instid1(VALU_DEP_1)
	v_cndmask_b32_e64 v86, v86, v100, s10
	v_cndmask_b32_e64 v69, v86, v94, s12
	;; [unrolled: 1-line block ×5, first 2 shown]
	s_delay_alu instid0(VALU_DEP_3) | instskip(NEXT) | instid1(VALU_DEP_3)
	v_cndmask_b32_e64 v86, v86, v88, s17
	v_cndmask_b32_e64 v87, v87, v88, s23
	s_delay_alu instid0(VALU_DEP_3) | instskip(NEXT) | instid1(VALU_DEP_3)
	v_cndmask_b32_e64 v88, v95, v92, s23
	v_cndmask_b32_e64 v86, v86, v96, s19
	;; [unrolled: 3-line block ×7, first 2 shown]
	s_delay_alu instid0(VALU_DEP_3) | instskip(SKIP_2) | instid1(VALU_DEP_2)
	v_cndmask_b32_e64 v88, v88, v94, s29
	v_cndmask_b32_e32 v66, v66, v97, vcc_lo
	v_cndmask_b32_e64 v97, v72, v99, s10
	v_perm_b32 v72, v70, v66, 0x5040100
	v_perm_b32 v70, v83, v103, 0x5040100
	v_cndmask_b32_e64 v103, v91, v85, s5
	v_cndmask_b32_e64 v85, v91, v85, s3
	;; [unrolled: 1-line block ×4, first 2 shown]
	v_lshrrev_b32_e32 v97, 16, v90
	v_cndmask_b32_e64 v91, v103, v92, s17
	v_cndmask_b32_e64 v85, v85, v92, s6
	;; [unrolled: 1-line block ×3, first 2 shown]
	s_mov_b32 s3, exec_lo
	v_cndmask_b32_e64 v83, v84, v97, s15
	v_cndmask_b32_e64 v91, v91, v98, s19
	;; [unrolled: 1-line block ×3, first 2 shown]
	v_lshrrev_b32_e32 v84, 16, v94
	v_cndmask_b32_e64 v66, v66, v97, s18
	v_cndmask_b32_e64 v90, v86, v97, s27
	;; [unrolled: 1-line block ×4, first 2 shown]
	v_dual_cndmask_b32 v86, v87, v97 :: v_dual_cndmask_b32 v87, v88, v84
	v_cndmask_b32_e64 v91, v69, v84, s15
	s_delay_alu instid0(VALU_DEP_4) | instskip(NEXT) | instid1(VALU_DEP_4)
	v_cndmask_b32_e64 v89, v89, v100, s22
	v_cndmask_b32_e64 v85, v85, v100, s13
	v_perm_b32 v69, v102, v101, 0x5040100
	v_perm_b32 v86, v87, v86, 0x5040100
	;; [unrolled: 1-line block ×3, first 2 shown]
	v_cndmask_b32_e64 v89, v89, v94, s24
	v_cndmask_b32_e64 v85, v85, v94, s16
	s_mul_i32 s8, s35, 13
	s_delay_alu instid0(VALU_DEP_2) | instskip(NEXT) | instid1(VALU_DEP_2)
	v_cndmask_b32_e64 v88, v89, v84, s27
	v_cndmask_b32_e64 v89, v85, v84, s18
	s_delay_alu instid0(VALU_DEP_2) | instskip(NEXT) | instid1(VALU_DEP_2)
	v_perm_b32 v85, v88, v90, 0x5040100
	v_perm_b32 v84, v89, v66, 0x5040100
	ds_store_b128 v76, v[69:72]
	ds_store_b128 v76, v[83:86] offset:1024
	v_cmpx_gt_u32_e32 13, v0
	s_cbranch_execz .LBB1598_78
; %bb.77:
	s_mul_i32 s4, s8, s30
	s_delay_alu instid0(SALU_CYCLE_1) | instskip(SKIP_1) | instid1(VALU_DEP_1)
	v_add3_u32 v69, s4, s31, v65
	s_load_b128 s[4:7], s[0:1], 0x58
	v_mad_u64_u32 v[65:66], null, v69, s34, s[14:15]
	s_delay_alu instid0(VALU_DEP_1) | instskip(NEXT) | instid1(VALU_DEP_1)
	v_ashrrev_i32_e32 v66, 31, v65
	v_lshlrev_b64 v[65:66], 2, v[65:66]
	s_waitcnt lgkmcnt(0)
	s_delay_alu instid0(VALU_DEP_1) | instskip(NEXT) | instid1(VALU_DEP_2)
	v_add_co_u32 v69, vcc_lo, s6, v65
	v_add_co_ci_u32_e32 v70, vcc_lo, s7, v66, vcc_lo
	v_add_co_u32 v65, vcc_lo, s4, v65
	v_add_co_ci_u32_e32 v66, vcc_lo, s5, v66, vcc_lo
	global_store_b32 v[69:70], v67, off
	global_store_b32 v[65:66], v68, off
.LBB1598_78:
	s_or_b32 exec_lo, exec_lo, s3
	s_waitcnt lgkmcnt(0)
	s_waitcnt_vscnt null, 0x0
	s_barrier
	buffer_gl0_inv
	ds_load_b128 v[83:86], v80
	ds_load_b128 v[87:90], v80 offset:16
	ds_load_b128 v[95:98], v80 offset:2064
	;; [unrolled: 1-line block ×3, first 2 shown]
	v_mov_b32_e32 v65, 0
	ds_load_b128 v[103:106], v80 offset:4112
	ds_load_b128 v[99:102], v80 offset:4096
	;; [unrolled: 1-line block ×4, first 2 shown]
	v_mov_b32_e32 v66, v65
	v_mov_b32_e32 v67, v65
	;; [unrolled: 1-line block ×7, first 2 shown]
	s_waitcnt lgkmcnt(6)
	s_delay_alu instid0(VALU_DEP_1)
	v_wmma_f32_16x16x16_bf16 v[65:72], v[49:56], v[83:90], v[65:72]
	ds_load_b128 v[53:56], v80 offset:8208
	ds_load_b128 v[49:52], v80 offset:8192
	s_waitcnt lgkmcnt(6)
	v_wmma_f32_16x16x16_bf16 v[65:72], v[41:48], v[91:98], v[65:72]
	ds_load_b128 v[45:48], v80 offset:10256
	ds_load_b128 v[41:44], v80 offset:10240
	s_waitcnt lgkmcnt(6)
	;; [unrolled: 4-line block ×4, first 2 shown]
	v_wmma_f32_16x16x16_bf16 v[65:72], v[1:8], v[49:56], v[65:72]
	s_waitcnt lgkmcnt(4)
	s_delay_alu instid0(VALU_DEP_1) | instskip(SKIP_1) | instid1(VALU_DEP_1)
	v_wmma_f32_16x16x16_bf16 v[65:72], v[9:16], v[41:48], v[65:72]
	s_waitcnt lgkmcnt(2)
	v_wmma_f32_16x16x16_bf16 v[65:72], v[17:24], v[33:40], v[65:72]
	s_waitcnt lgkmcnt(0)
	s_delay_alu instid0(VALU_DEP_1) | instskip(NEXT) | instid1(VALU_DEP_1)
	v_wmma_f32_16x16x16_bf16 v[65:72], v[57:64], v[25:32], v[65:72]
	v_and_b32_e32 v1, 0x7f800000, v65
	s_delay_alu instid0(VALU_DEP_1) | instskip(SKIP_1) | instid1(SALU_CYCLE_1)
	v_cmp_ne_u32_e32 vcc_lo, 0x7f800000, v1
                                        ; implicit-def: $vgpr1
	s_and_saveexec_b32 s3, vcc_lo
	s_xor_b32 s3, exec_lo, s3
; %bb.79:
	v_bfe_u32 v1, v65, 16, 1
	s_delay_alu instid0(VALU_DEP_1)
	v_add3_u32 v1, v65, v1, 0x7fff
; %bb.80:
	s_and_not1_saveexec_b32 s3, s3
; %bb.81:
	v_and_b32_e32 v1, 0xffff, v65
	v_or_b32_e32 v2, 0x10000, v65
	s_delay_alu instid0(VALU_DEP_2) | instskip(NEXT) | instid1(VALU_DEP_2)
	v_cmp_eq_u32_e32 vcc_lo, 0, v1
	v_cndmask_b32_e32 v1, v2, v65, vcc_lo
; %bb.82:
	s_or_b32 exec_lo, exec_lo, s3
	v_and_b32_e32 v2, 0x7f800000, v66
	s_delay_alu instid0(VALU_DEP_1) | instskip(SKIP_1) | instid1(SALU_CYCLE_1)
	v_cmp_ne_u32_e32 vcc_lo, 0x7f800000, v2
                                        ; implicit-def: $vgpr2
	s_and_saveexec_b32 s3, vcc_lo
	s_xor_b32 s3, exec_lo, s3
; %bb.83:
	v_bfe_u32 v2, v66, 16, 1
	s_delay_alu instid0(VALU_DEP_1)
	v_add3_u32 v2, v66, v2, 0x7fff
; %bb.84:
	s_and_not1_saveexec_b32 s3, s3
; %bb.85:
	v_and_b32_e32 v2, 0xffff, v66
	v_or_b32_e32 v3, 0x10000, v66
	s_delay_alu instid0(VALU_DEP_2) | instskip(NEXT) | instid1(VALU_DEP_2)
	v_cmp_eq_u32_e32 vcc_lo, 0, v2
	v_cndmask_b32_e32 v2, v3, v66, vcc_lo
; %bb.86:
	s_or_b32 exec_lo, exec_lo, s3
	v_and_b32_e32 v3, 0x7f800000, v67
	s_delay_alu instid0(VALU_DEP_1) | instskip(SKIP_1) | instid1(SALU_CYCLE_1)
	v_cmp_ne_u32_e32 vcc_lo, 0x7f800000, v3
                                        ; implicit-def: $vgpr3
	s_and_saveexec_b32 s3, vcc_lo
	s_xor_b32 s3, exec_lo, s3
; %bb.87:
	v_bfe_u32 v3, v67, 16, 1
	s_delay_alu instid0(VALU_DEP_1)
	v_add3_u32 v3, v67, v3, 0x7fff
; %bb.88:
	s_and_not1_saveexec_b32 s3, s3
; %bb.89:
	v_and_b32_e32 v3, 0xffff, v67
	v_or_b32_e32 v4, 0x10000, v67
	s_delay_alu instid0(VALU_DEP_2) | instskip(NEXT) | instid1(VALU_DEP_2)
	v_cmp_eq_u32_e32 vcc_lo, 0, v3
	v_cndmask_b32_e32 v3, v4, v67, vcc_lo
; %bb.90:
	s_or_b32 exec_lo, exec_lo, s3
	v_and_b32_e32 v4, 0x7f800000, v68
	s_delay_alu instid0(VALU_DEP_1) | instskip(SKIP_1) | instid1(SALU_CYCLE_1)
	v_cmp_ne_u32_e32 vcc_lo, 0x7f800000, v4
                                        ; implicit-def: $vgpr4
	s_and_saveexec_b32 s3, vcc_lo
	s_xor_b32 s3, exec_lo, s3
; %bb.91:
	v_bfe_u32 v4, v68, 16, 1
	s_delay_alu instid0(VALU_DEP_1)
	v_add3_u32 v4, v68, v4, 0x7fff
; %bb.92:
	s_and_not1_saveexec_b32 s3, s3
; %bb.93:
	v_and_b32_e32 v4, 0xffff, v68
	v_or_b32_e32 v5, 0x10000, v68
	s_delay_alu instid0(VALU_DEP_2) | instskip(NEXT) | instid1(VALU_DEP_2)
	v_cmp_eq_u32_e32 vcc_lo, 0, v4
	v_cndmask_b32_e32 v4, v5, v68, vcc_lo
; %bb.94:
	s_or_b32 exec_lo, exec_lo, s3
	v_and_b32_e32 v5, 0x7f800000, v69
	s_delay_alu instid0(VALU_DEP_1) | instskip(SKIP_1) | instid1(SALU_CYCLE_1)
	v_cmp_ne_u32_e32 vcc_lo, 0x7f800000, v5
                                        ; implicit-def: $vgpr5
	s_and_saveexec_b32 s3, vcc_lo
	s_xor_b32 s3, exec_lo, s3
; %bb.95:
	v_bfe_u32 v5, v69, 16, 1
	s_delay_alu instid0(VALU_DEP_1)
	v_add3_u32 v5, v69, v5, 0x7fff
; %bb.96:
	s_and_not1_saveexec_b32 s3, s3
; %bb.97:
	v_and_b32_e32 v5, 0xffff, v69
	v_or_b32_e32 v6, 0x10000, v69
	s_delay_alu instid0(VALU_DEP_2) | instskip(NEXT) | instid1(VALU_DEP_2)
	v_cmp_eq_u32_e32 vcc_lo, 0, v5
	v_cndmask_b32_e32 v5, v6, v69, vcc_lo
; %bb.98:
	s_or_b32 exec_lo, exec_lo, s3
	v_and_b32_e32 v6, 0x7f800000, v70
	s_delay_alu instid0(VALU_DEP_1) | instskip(SKIP_1) | instid1(SALU_CYCLE_1)
	v_cmp_ne_u32_e32 vcc_lo, 0x7f800000, v6
                                        ; implicit-def: $vgpr6
	s_and_saveexec_b32 s3, vcc_lo
	s_xor_b32 s3, exec_lo, s3
; %bb.99:
	v_bfe_u32 v6, v70, 16, 1
	s_delay_alu instid0(VALU_DEP_1)
	v_add3_u32 v6, v70, v6, 0x7fff
; %bb.100:
	s_and_not1_saveexec_b32 s3, s3
; %bb.101:
	v_and_b32_e32 v6, 0xffff, v70
	v_or_b32_e32 v7, 0x10000, v70
	s_delay_alu instid0(VALU_DEP_2) | instskip(NEXT) | instid1(VALU_DEP_2)
	v_cmp_eq_u32_e32 vcc_lo, 0, v6
	v_cndmask_b32_e32 v6, v7, v70, vcc_lo
; %bb.102:
	s_or_b32 exec_lo, exec_lo, s3
	v_and_b32_e32 v7, 0x7f800000, v71
	s_delay_alu instid0(VALU_DEP_1) | instskip(SKIP_1) | instid1(SALU_CYCLE_1)
	v_cmp_ne_u32_e32 vcc_lo, 0x7f800000, v7
                                        ; implicit-def: $vgpr7
	s_and_saveexec_b32 s3, vcc_lo
	s_xor_b32 s3, exec_lo, s3
; %bb.103:
	v_bfe_u32 v7, v71, 16, 1
	s_delay_alu instid0(VALU_DEP_1)
	v_add3_u32 v7, v71, v7, 0x7fff
; %bb.104:
	s_and_not1_saveexec_b32 s3, s3
; %bb.105:
	v_and_b32_e32 v7, 0xffff, v71
	v_or_b32_e32 v8, 0x10000, v71
	s_delay_alu instid0(VALU_DEP_2) | instskip(NEXT) | instid1(VALU_DEP_2)
	v_cmp_eq_u32_e32 vcc_lo, 0, v7
	v_cndmask_b32_e32 v7, v8, v71, vcc_lo
; %bb.106:
	s_or_b32 exec_lo, exec_lo, s3
	v_and_b32_e32 v8, 0x7f800000, v72
	s_delay_alu instid0(VALU_DEP_1) | instskip(SKIP_1) | instid1(SALU_CYCLE_1)
	v_cmp_ne_u32_e32 vcc_lo, 0x7f800000, v8
                                        ; implicit-def: $vgpr8
	s_and_saveexec_b32 s3, vcc_lo
	s_xor_b32 s3, exec_lo, s3
; %bb.107:
	v_bfe_u32 v8, v72, 16, 1
	s_delay_alu instid0(VALU_DEP_1)
	v_add3_u32 v8, v72, v8, 0x7fff
                                        ; implicit-def: $vgpr65_vgpr66_vgpr67_vgpr68_vgpr69_vgpr70_vgpr71_vgpr72
; %bb.108:
	s_and_not1_saveexec_b32 s3, s3
; %bb.109:
	v_and_b32_e32 v8, 0xffff, v72
	v_or_b32_e32 v9, 0x10000, v72
	s_delay_alu instid0(VALU_DEP_2) | instskip(NEXT) | instid1(VALU_DEP_2)
	v_cmp_eq_u32_e32 vcc_lo, 0, v8
	v_cndmask_b32_e32 v8, v9, v72, vcc_lo
; %bb.110:
	s_or_b32 exec_lo, exec_lo, s3
	s_delay_alu instid0(VALU_DEP_1)
	v_perm_b32 v7, v8, v7, 0x7060302
	v_perm_b32 v6, v6, v5, 0x7060302
	;; [unrolled: 1-line block ×4, first 2 shown]
	s_barrier
	buffer_gl0_inv
	v_cmp_eq_u32_e32 vcc_lo, 1, v78
	ds_store_b128 v76, v[4:7]
	s_waitcnt lgkmcnt(0)
	s_barrier
	buffer_gl0_inv
	ds_load_b128 v[1:4], v82
	ds_load_b128 v[5:8], v82 offset:16
	v_cmp_eq_u32_e64 s3, 1, v79
	v_cmp_eq_u32_e64 s4, 2, v78
	;; [unrolled: 1-line block ×5, first 2 shown]
	s_waitcnt lgkmcnt(1)
	v_lshrrev_b32_e32 v9, 16, v1
	s_waitcnt lgkmcnt(0)
	v_lshrrev_b32_e32 v13, 16, v5
	v_lshrrev_b32_e32 v10, 16, v2
	;; [unrolled: 1-line block ×4, first 2 shown]
	v_cndmask_b32_e64 v19, v1, v9, s3
	v_cndmask_b32_e32 v18, v5, v13, vcc_lo
	v_cndmask_b32_e64 v20, v5, v13, s3
	v_cndmask_b32_e32 v17, v1, v9, vcc_lo
	v_cmp_eq_u32_e32 vcc_lo, 2, v79
	v_lshrrev_b32_e32 v15, 16, v7
	v_cmp_eq_u32_e64 s3, 1, v77
	v_lshrrev_b32_e32 v12, 16, v4
	v_lshrrev_b32_e32 v16, 16, v8
	v_cndmask_b32_e32 v20, v20, v6, vcc_lo
	v_cndmask_b32_e64 v17, v17, v2, s4
	v_cndmask_b32_e32 v19, v19, v2, vcc_lo
	v_cndmask_b32_e64 v18, v18, v6, s4
	v_cmp_eq_u32_e32 vcc_lo, 4, v78
	v_cmp_eq_u32_e64 s4, 3, v79
	v_cndmask_b32_e64 v17, v17, v10, s5
	v_cndmask_b32_e64 v21, v1, v9, s3
	;; [unrolled: 1-line block ×5, first 2 shown]
	v_cndmask_b32_e32 v17, v17, v3, vcc_lo
	v_cndmask_b32_e64 v20, v20, v14, s4
	v_cndmask_b32_e32 v18, v18, v7, vcc_lo
	v_cmp_eq_u32_e32 vcc_lo, 4, v79
	v_cmp_eq_u32_e64 s4, 5, v79
	v_cmp_eq_u32_e64 s3, 2, v81
	v_cndmask_b32_e64 v21, v21, v2, s7
	v_cmp_eq_u32_e64 s5, 5, v78
	v_cndmask_b32_e32 v19, v19, v3, vcc_lo
	v_cndmask_b32_e32 v20, v20, v7, vcc_lo
	v_cmp_eq_u32_e32 vcc_lo, 6, v79
	s_delay_alu instid0(VALU_DEP_4) | instskip(NEXT) | instid1(VALU_DEP_4)
	v_cndmask_b32_e64 v17, v17, v11, s5
	v_cndmask_b32_e64 v19, v19, v11, s4
	s_delay_alu instid0(VALU_DEP_4) | instskip(SKIP_1) | instid1(VALU_DEP_3)
	v_cndmask_b32_e64 v20, v20, v15, s4
	v_cmp_eq_u32_e64 s4, 1, v81
	v_cndmask_b32_e32 v19, v19, v4, vcc_lo
	v_cndmask_b32_e64 v18, v18, v15, s5
	s_delay_alu instid0(VALU_DEP_3)
	v_cndmask_b32_e64 v1, v1, v9, s4
	v_cndmask_b32_e64 v5, v5, v13, s4
	v_cmp_eq_u32_e64 s4, 3, v77
	v_cndmask_b32_e64 v13, v22, v6, s7
	v_cmp_eq_u32_e64 s7, 3, v81
	v_cndmask_b32_e64 v1, v1, v2, s3
	v_cndmask_b32_e64 v2, v5, v6, s3
	;; [unrolled: 1-line block ×3, first 2 shown]
	v_cmp_eq_u32_e64 s3, 4, v77
	v_cndmask_b32_e64 v6, v13, v14, s4
	v_cndmask_b32_e64 v1, v1, v10, s7
	v_cmp_eq_u32_e64 s4, 4, v81
	v_cndmask_b32_e64 v2, v2, v14, s7
	v_cndmask_b32_e64 v5, v9, v3, s3
	;; [unrolled: 3-line block ×3, first 2 shown]
	v_cndmask_b32_e64 v2, v2, v7, s4
	v_cmp_eq_u32_e64 s3, 5, v81
	v_cmp_eq_u32_e64 s5, 6, v78
	v_cndmask_b32_e64 v5, v5, v11, s7
	v_cmp_eq_u32_e64 s4, 6, v77
	v_cndmask_b32_e64 v3, v6, v15, s7
	v_cndmask_b32_e64 v1, v1, v11, s3
	v_cmp_eq_u32_e64 s7, 6, v81
	v_cndmask_b32_e64 v2, v2, v15, s3
	v_cndmask_b32_e64 v17, v17, v4, s5
	v_cndmask_b32_e64 v18, v18, v8, s5
	v_cmp_eq_u32_e64 s5, 7, v78
	v_cndmask_b32_e64 v5, v5, v4, s4
	;; [unrolled: 4-line block ×3, first 2 shown]
	v_cmp_eq_u32_e64 s4, 7, v77
	v_cndmask_b32_e32 v4, v20, v8, vcc_lo
	v_cndmask_b32_e64 v17, v17, v12, s5
	v_cndmask_b32_e64 v19, v19, v12, s6
	;; [unrolled: 1-line block ×8, first 2 shown]
	s_mov_b32 s3, exec_lo
	v_perm_b32 v4, v2, v1, 0x5040100
	v_perm_b32 v3, v3, v5, 0x5040100
	;; [unrolled: 1-line block ×4, first 2 shown]
	ds_store_b128 v76, v[1:4]
	s_waitcnt lgkmcnt(0)
	s_barrier
	buffer_gl0_inv
	v_cmpx_gt_u32_e32 32, v0
	s_cbranch_execz .LBB1598_2
; %bb.111:
	s_load_b64 s[4:5], s[0:1], 0x68
	v_lshlrev_b32_e32 v0, 10, v0
	v_lshlrev_b32_e32 v1, 4, v75
	s_lshl_b32 s0, s34, 7
	v_add_nc_u32_e32 v18, s31, v74
	s_mul_i32 s1, s0, s30
	s_delay_alu instid0(VALU_DEP_2) | instskip(SKIP_1) | instid1(VALU_DEP_2)
	v_and_or_b32 v0, 0x3800, v0, v1
	s_mul_i32 s6, s1, s8
	v_mul_lo_u32 v1, v18, s0
	s_ashr_i32 s7, s6, 31
	v_add_nc_u32_e32 v2, 2, v18
	v_lshl_or_b32 v19, v74, 6, v0
	s_lshl_b64 s[6:7], s[6:7], 1
	v_add_nc_u32_e32 v8, 4, v18
	v_add_nc_u32_e32 v15, 6, v18
	v_mul_lo_u32 v7, v2, s0
	ds_load_b128 v[3:6], v19
	v_ashrrev_i32_e32 v2, 31, v1
	v_mul_lo_u32 v11, v8, s0
	s_waitcnt lgkmcnt(0)
	s_add_u32 s1, s4, s6
	s_addc_u32 s3, s5, s7
	s_lshl_b32 s4, s14, 7
	v_lshlrev_b64 v[9:10], 1, v[1:2]
	s_ashr_i32 s5, s4, 31
	v_ashrrev_i32_e32 v8, 31, v7
	s_lshl_b64 s[4:5], s[4:5], 1
	v_ashrrev_i32_e32 v12, 31, v11
	s_add_u32 s1, s1, s4
	s_addc_u32 s3, s3, s5
	v_add_co_u32 v1, s1, s1, v73
	s_delay_alu instid0(VALU_DEP_1) | instskip(SKIP_1) | instid1(VALU_DEP_3)
	v_add_co_ci_u32_e64 v2, null, s3, 0, s1
	v_mul_lo_u32 v15, v15, s0
	v_add_co_u32 v13, vcc_lo, v1, v9
	s_delay_alu instid0(VALU_DEP_3)
	v_add_co_ci_u32_e32 v14, vcc_lo, v2, v10, vcc_lo
	v_lshlrev_b64 v[16:17], 1, v[7:8]
	ds_load_b128 v[7:10], v19 offset:128
	global_store_b128 v[13:14], v[3:6], off
	v_add_nc_u32_e32 v5, 8, v18
	v_lshlrev_b64 v[3:4], 1, v[11:12]
	v_add_co_u32 v23, vcc_lo, v1, v16
	v_ashrrev_i32_e32 v16, 31, v15
	s_delay_alu instid0(VALU_DEP_4) | instskip(SKIP_3) | instid1(VALU_DEP_3)
	v_mul_lo_u32 v25, v5, s0
	v_add_nc_u32_e32 v5, 10, v18
	v_add_co_ci_u32_e32 v24, vcc_lo, v2, v17, vcc_lo
	v_add_co_u32 v27, vcc_lo, v1, v3
	v_mul_lo_u32 v29, v5, s0
	v_add_co_ci_u32_e32 v28, vcc_lo, v2, v4, vcc_lo
	v_lshlrev_b64 v[31:32], 1, v[15:16]
	ds_load_b128 v[3:6], v19 offset:256
	ds_load_b128 v[11:14], v19 offset:384
	;; [unrolled: 1-line block ×4, first 2 shown]
	v_ashrrev_i32_e32 v26, 31, v25
	v_ashrrev_i32_e32 v30, 31, v29
	v_add_co_u32 v31, vcc_lo, v1, v31
	s_delay_alu instid0(VALU_DEP_3) | instskip(SKIP_1) | instid1(VALU_DEP_4)
	v_lshlrev_b64 v[25:26], 1, v[25:26]
	v_add_co_ci_u32_e32 v32, vcc_lo, v2, v32, vcc_lo
	v_lshlrev_b64 v[29:30], 1, v[29:30]
	s_delay_alu instid0(VALU_DEP_3) | instskip(NEXT) | instid1(VALU_DEP_4)
	v_add_co_u32 v25, vcc_lo, v1, v25
	v_add_co_ci_u32_e32 v26, vcc_lo, v2, v26, vcc_lo
	s_delay_alu instid0(VALU_DEP_3) | instskip(NEXT) | instid1(VALU_DEP_4)
	v_add_co_u32 v29, vcc_lo, v1, v29
	v_add_co_ci_u32_e32 v30, vcc_lo, v2, v30, vcc_lo
	s_waitcnt lgkmcnt(4)
	global_store_b128 v[23:24], v[7:10], off
	s_waitcnt lgkmcnt(3)
	global_store_b128 v[27:28], v[3:6], off
	;; [unrolled: 2-line block ×5, first 2 shown]
	s_and_b32 exec_lo, exec_lo, s2
	s_cbranch_execz .LBB1598_2
; %bb.112:
	ds_load_b128 v[3:6], v0 offset:768
	s_add_i32 s1, s31, 12
	s_delay_alu instid0(SALU_CYCLE_1) | instskip(NEXT) | instid1(SALU_CYCLE_1)
	s_mul_i32 s0, s1, s0
	s_ashr_i32 s1, s0, 31
	s_delay_alu instid0(SALU_CYCLE_1) | instskip(NEXT) | instid1(SALU_CYCLE_1)
	s_lshl_b64 s[0:1], s[0:1], 1
	v_add_co_u32 v0, vcc_lo, v1, s0
	v_add_co_ci_u32_e32 v1, vcc_lo, s1, v2, vcc_lo
	s_waitcnt lgkmcnt(0)
	global_store_b128 v[0:1], v[3:6], off
	s_nop 0
	s_sendmsg sendmsg(MSG_DEALLOC_VGPRS)
	s_endpgm
	.section	.rodata,"a",@progbits
	.p2align	6, 0x0
	.amdhsa_kernel _Z39paged_attention_ll4mi_QKV_mfma16_kernelI14__hip_bfloat16hLN4vllm18Fp8KVCacheDataTypeE1EhLi32ELi128ELi256ELb1ELi13EL8MFMAType1EEvPKT_PKT0_S9_ifPKiSB_SB_iPKfiiiPfSE_PS4_PT2_iSD_SD_
		.amdhsa_group_segment_fixed_size 17472
		.amdhsa_private_segment_fixed_size 0
		.amdhsa_kernarg_size 400
		.amdhsa_user_sgpr_count 13
		.amdhsa_user_sgpr_dispatch_ptr 0
		.amdhsa_user_sgpr_queue_ptr 0
		.amdhsa_user_sgpr_kernarg_segment_ptr 1
		.amdhsa_user_sgpr_dispatch_id 0
		.amdhsa_user_sgpr_private_segment_size 0
		.amdhsa_wavefront_size32 1
		.amdhsa_uses_dynamic_stack 0
		.amdhsa_enable_private_segment 0
		.amdhsa_system_sgpr_workgroup_id_x 1
		.amdhsa_system_sgpr_workgroup_id_y 1
		.amdhsa_system_sgpr_workgroup_id_z 1
		.amdhsa_system_sgpr_workgroup_info 0
		.amdhsa_system_vgpr_workitem_id 0
		.amdhsa_next_free_vgpr 140
		.amdhsa_next_free_sgpr 36
		.amdhsa_reserve_vcc 1
		.amdhsa_float_round_mode_32 0
		.amdhsa_float_round_mode_16_64 0
		.amdhsa_float_denorm_mode_32 3
		.amdhsa_float_denorm_mode_16_64 3
		.amdhsa_dx10_clamp 1
		.amdhsa_ieee_mode 1
		.amdhsa_fp16_overflow 0
		.amdhsa_workgroup_processor_mode 1
		.amdhsa_memory_ordered 1
		.amdhsa_forward_progress 0
		.amdhsa_shared_vgpr_count 0
		.amdhsa_exception_fp_ieee_invalid_op 0
		.amdhsa_exception_fp_denorm_src 0
		.amdhsa_exception_fp_ieee_div_zero 0
		.amdhsa_exception_fp_ieee_overflow 0
		.amdhsa_exception_fp_ieee_underflow 0
		.amdhsa_exception_fp_ieee_inexact 0
		.amdhsa_exception_int_div_zero 0
	.end_amdhsa_kernel
	.section	.text._Z39paged_attention_ll4mi_QKV_mfma16_kernelI14__hip_bfloat16hLN4vllm18Fp8KVCacheDataTypeE1EhLi32ELi128ELi256ELb1ELi13EL8MFMAType1EEvPKT_PKT0_S9_ifPKiSB_SB_iPKfiiiPfSE_PS4_PT2_iSD_SD_,"axG",@progbits,_Z39paged_attention_ll4mi_QKV_mfma16_kernelI14__hip_bfloat16hLN4vllm18Fp8KVCacheDataTypeE1EhLi32ELi128ELi256ELb1ELi13EL8MFMAType1EEvPKT_PKT0_S9_ifPKiSB_SB_iPKfiiiPfSE_PS4_PT2_iSD_SD_,comdat
.Lfunc_end1598:
	.size	_Z39paged_attention_ll4mi_QKV_mfma16_kernelI14__hip_bfloat16hLN4vllm18Fp8KVCacheDataTypeE1EhLi32ELi128ELi256ELb1ELi13EL8MFMAType1EEvPKT_PKT0_S9_ifPKiSB_SB_iPKfiiiPfSE_PS4_PT2_iSD_SD_, .Lfunc_end1598-_Z39paged_attention_ll4mi_QKV_mfma16_kernelI14__hip_bfloat16hLN4vllm18Fp8KVCacheDataTypeE1EhLi32ELi128ELi256ELb1ELi13EL8MFMAType1EEvPKT_PKT0_S9_ifPKiSB_SB_iPKfiiiPfSE_PS4_PT2_iSD_SD_
                                        ; -- End function
	.section	.AMDGPU.csdata,"",@progbits
; Kernel info:
; codeLenInByte = 9100
; NumSgprs: 38
; NumVgprs: 140
; ScratchSize: 0
; MemoryBound: 0
; FloatMode: 240
; IeeeMode: 1
; LDSByteSize: 17472 bytes/workgroup (compile time only)
; SGPRBlocks: 4
; VGPRBlocks: 17
; NumSGPRsForWavesPerEU: 38
; NumVGPRsForWavesPerEU: 140
; Occupancy: 10
; WaveLimiterHint : 1
; COMPUTE_PGM_RSRC2:SCRATCH_EN: 0
; COMPUTE_PGM_RSRC2:USER_SGPR: 13
; COMPUTE_PGM_RSRC2:TRAP_HANDLER: 0
; COMPUTE_PGM_RSRC2:TGID_X_EN: 1
; COMPUTE_PGM_RSRC2:TGID_Y_EN: 1
; COMPUTE_PGM_RSRC2:TGID_Z_EN: 1
; COMPUTE_PGM_RSRC2:TIDIG_COMP_CNT: 0
	.section	.text._Z39paged_attention_ll4mi_QKV_mfma16_kernelI14__hip_bfloat16hLN4vllm18Fp8KVCacheDataTypeE1EhLi32ELi128ELi256ELb1ELi14EL8MFMAType1EEvPKT_PKT0_S9_ifPKiSB_SB_iPKfiiiPfSE_PS4_PT2_iSD_SD_,"axG",@progbits,_Z39paged_attention_ll4mi_QKV_mfma16_kernelI14__hip_bfloat16hLN4vllm18Fp8KVCacheDataTypeE1EhLi32ELi128ELi256ELb1ELi14EL8MFMAType1EEvPKT_PKT0_S9_ifPKiSB_SB_iPKfiiiPfSE_PS4_PT2_iSD_SD_,comdat
	.protected	_Z39paged_attention_ll4mi_QKV_mfma16_kernelI14__hip_bfloat16hLN4vllm18Fp8KVCacheDataTypeE1EhLi32ELi128ELi256ELb1ELi14EL8MFMAType1EEvPKT_PKT0_S9_ifPKiSB_SB_iPKfiiiPfSE_PS4_PT2_iSD_SD_ ; -- Begin function _Z39paged_attention_ll4mi_QKV_mfma16_kernelI14__hip_bfloat16hLN4vllm18Fp8KVCacheDataTypeE1EhLi32ELi128ELi256ELb1ELi14EL8MFMAType1EEvPKT_PKT0_S9_ifPKiSB_SB_iPKfiiiPfSE_PS4_PT2_iSD_SD_
	.globl	_Z39paged_attention_ll4mi_QKV_mfma16_kernelI14__hip_bfloat16hLN4vllm18Fp8KVCacheDataTypeE1EhLi32ELi128ELi256ELb1ELi14EL8MFMAType1EEvPKT_PKT0_S9_ifPKiSB_SB_iPKfiiiPfSE_PS4_PT2_iSD_SD_
	.p2align	8
	.type	_Z39paged_attention_ll4mi_QKV_mfma16_kernelI14__hip_bfloat16hLN4vllm18Fp8KVCacheDataTypeE1EhLi32ELi128ELi256ELb1ELi14EL8MFMAType1EEvPKT_PKT0_S9_ifPKiSB_SB_iPKfiiiPfSE_PS4_PT2_iSD_SD_,@function
_Z39paged_attention_ll4mi_QKV_mfma16_kernelI14__hip_bfloat16hLN4vllm18Fp8KVCacheDataTypeE1EhLi32ELi128ELi256ELb1ELi14EL8MFMAType1EEvPKT_PKT0_S9_ifPKiSB_SB_iPKfiiiPfSE_PS4_PT2_iSD_SD_: ; @_Z39paged_attention_ll4mi_QKV_mfma16_kernelI14__hip_bfloat16hLN4vllm18Fp8KVCacheDataTypeE1EhLi32ELi128ELi256ELb1ELi14EL8MFMAType1EEvPKT_PKT0_S9_ifPKiSB_SB_iPKfiiiPfSE_PS4_PT2_iSD_SD_
; %bb.0:
	s_load_b64 s[4:5], s[0:1], 0x30
	s_mov_b32 s30, s13
	s_waitcnt lgkmcnt(0)
	s_cmp_lg_u64 s[4:5], 0
	s_cselect_b32 s13, -1, 0
	s_ashr_i32 s31, s30, 31
	s_cmp_eq_u64 s[4:5], 0
	s_cbranch_scc1 .LBB1599_3
; %bb.1:
	s_lshl_b64 s[2:3], s[30:31], 2
	s_delay_alu instid0(SALU_CYCLE_1) | instskip(SKIP_4) | instid1(SALU_CYCLE_1)
	s_add_u32 s2, s4, s2
	s_addc_u32 s3, s5, s3
	s_load_b64 s[2:3], s[2:3], 0x0
	s_waitcnt lgkmcnt(0)
	s_sub_i32 s2, s3, s2
	s_cmp_eq_u32 s2, 1
	s_cselect_b32 s2, -1, 0
	s_delay_alu instid0(SALU_CYCLE_1)
	s_and_not1_b32 vcc_lo, exec_lo, s2
	s_cbranch_vccz .LBB1599_4
.LBB1599_2:
	s_endpgm
.LBB1599_3:
.LBB1599_4:
	s_load_b64 s[2:3], s[0:1], 0x28
	s_lshl_b64 s[6:7], s[30:31], 2
	s_waitcnt lgkmcnt(0)
	s_add_u32 s2, s2, s6
	s_addc_u32 s3, s3, s7
	s_lshl_b32 s12, s14, 8
	s_load_b32 s17, s[2:3], 0x0
	s_waitcnt lgkmcnt(0)
	s_cmp_ge_i32 s12, s17
	s_cbranch_scc1 .LBB1599_2
; %bb.5:
	s_clause 0x1
	s_load_b128 s[8:11], s[0:1], 0x8
	s_load_b64 s[2:3], s[0:1], 0x20
	s_and_not1_b32 vcc_lo, exec_lo, s13
	s_cbranch_vccnz .LBB1599_7
; %bb.6:
	s_add_u32 s4, s4, s6
	s_addc_u32 s5, s5, s7
	s_load_b32 s13, s[4:5], 0x0
	s_branch .LBB1599_8
.LBB1599_7:
	s_mov_b32 s13, s30
.LBB1599_8:
	s_load_b128 s[4:7], s[0:1], 0x48
	v_and_b32_e32 v65, 15, v0
	v_lshrrev_b32_e32 v66, 5, v0
	v_and_b32_e32 v67, 31, v0
	v_and_b32_e32 v75, 1, v0
	v_bfe_u32 v74, v0, 4, 1
	v_lshlrev_b32_e32 v1, 3, v65
	s_mul_i32 s29, s15, 14
	s_waitcnt lgkmcnt(0)
	s_mov_b32 s7, exec_lo
	s_delay_alu instid0(VALU_DEP_1)
	v_lshlrev_b32_e32 v73, 1, v1
	v_cmpx_gt_u32_e32 0xe0, v0
	s_cbranch_execz .LBB1599_10
; %bb.9:
	s_load_b64 s[18:19], s[0:1], 0x0
	v_lshl_or_b32 v5, v66, 1, v74
	s_mul_hi_i32 s21, s13, s4
	s_mul_i32 s20, s13, s4
	v_lshlrev_b32_e32 v6, 10, v65
	s_lshl_b64 s[20:21], s[20:21], 1
	v_add_lshl_u32 v1, v5, s29, 7
	v_lshlrev_b32_e32 v5, 6, v5
	v_lshlrev_b32_e32 v7, 10, v75
	v_and_b32_e32 v6, 0x3800, v6
	s_delay_alu instid0(VALU_DEP_4) | instskip(NEXT) | instid1(VALU_DEP_2)
	v_ashrrev_i32_e32 v2, 31, v1
	v_or3_b32 v5, v6, v7, v5
	s_delay_alu instid0(VALU_DEP_2) | instskip(SKIP_3) | instid1(VALU_DEP_1)
	v_lshlrev_b64 v[1:2], 1, v[1:2]
	s_waitcnt lgkmcnt(0)
	s_add_u32 s4, s18, s20
	s_addc_u32 s13, s19, s21
	v_add_co_u32 v1, vcc_lo, s4, v1
	s_delay_alu instid0(VALU_DEP_2) | instskip(NEXT) | instid1(VALU_DEP_2)
	v_add_co_ci_u32_e32 v2, vcc_lo, s13, v2, vcc_lo
	v_add_co_u32 v1, vcc_lo, v1, v73
	s_delay_alu instid0(VALU_DEP_2)
	v_add_co_ci_u32_e32 v2, vcc_lo, 0, v2, vcc_lo
	global_load_b128 v[1:4], v[1:2], off
	s_waitcnt vmcnt(0)
	ds_store_b128 v5, v[1:4]
.LBB1599_10:
	s_or_b32 exec_lo, exec_lo, s7
	v_and_b32_e32 v1, 0xef, v0
	s_add_i32 s4, s17, 31
	s_clause 0x1
	s_load_b32 s7, s[0:1], 0x38
	s_load_b32 s18, s[0:1], 0x1c
	s_ashr_i32 s13, s4, 31
	v_add_nc_u32_e32 v1, s12, v1
	s_lshr_b32 s13, s13, 27
	s_waitcnt lgkmcnt(0)
	s_add_i32 s4, s4, s13
	s_barrier
	v_ashrrev_i32_e32 v2, 31, v1
	v_or_b32_e32 v3, 16, v1
	s_ashr_i32 s4, s4, 5
	v_cmp_gt_i32_e32 vcc_lo, s17, v1
	s_add_i32 s4, s4, -1
	v_lshrrev_b32_e32 v2, 27, v2
	buffer_gl0_inv
	s_mul_i32 s15, s15, s6
	v_add_nc_u32_e32 v4, v1, v2
	s_mul_i32 s20, s30, s7
	s_delay_alu instid0(SALU_CYCLE_1) | instskip(NEXT) | instid1(VALU_DEP_1)
	s_ashr_i32 s21, s20, 31
	v_ashrrev_i32_e32 v4, 5, v4
	v_add_nc_u32_e32 v2, v3, v2
	s_lshl_b64 s[20:21], s[20:21], 2
	s_delay_alu instid0(SALU_CYCLE_1) | instskip(NEXT) | instid1(VALU_DEP_2)
	s_add_u32 s13, s2, s20
	v_cndmask_b32_e32 v1, s4, v4, vcc_lo
	s_delay_alu instid0(VALU_DEP_2)
	v_ashrrev_i32_e32 v2, 5, v2
	v_cmp_gt_i32_e32 vcc_lo, s17, v3
	s_addc_u32 s16, s3, s21
	s_ashr_i32 s19, s15, 31
	s_add_u32 s2, s8, s15
	s_addc_u32 s3, s9, s19
	v_cndmask_b32_e32 v3, s4, v2, vcc_lo
	v_ashrrev_i32_e32 v2, 31, v1
	s_lshl_b32 s6, s14, 3
	s_delay_alu instid0(SALU_CYCLE_1) | instskip(NEXT) | instid1(VALU_DEP_2)
	s_ashr_i32 s7, s6, 31
	v_ashrrev_i32_e32 v4, 31, v3
	s_delay_alu instid0(VALU_DEP_2) | instskip(SKIP_1) | instid1(SALU_CYCLE_1)
	v_lshlrev_b64 v[1:2], 2, v[1:2]
	s_lshl_b64 s[6:7], s[6:7], 2
	s_add_u32 s6, s13, s6
	s_delay_alu instid0(VALU_DEP_2) | instskip(SKIP_1) | instid1(VALU_DEP_2)
	v_lshlrev_b64 v[3:4], 2, v[3:4]
	s_addc_u32 s7, s16, s7
	v_add_co_u32 v1, vcc_lo, s13, v1
	v_add_co_ci_u32_e32 v2, vcc_lo, s16, v2, vcc_lo
	s_delay_alu instid0(VALU_DEP_3) | instskip(NEXT) | instid1(VALU_DEP_4)
	v_add_co_u32 v3, vcc_lo, s13, v3
	v_add_co_ci_u32_e32 v4, vcc_lo, s16, v4, vcc_lo
	s_clause 0x1
	global_load_b32 v5, v[1:2], off
	global_load_b32 v6, v[3:4], off
	s_or_b32 s8, s12, 32
	s_delay_alu instid0(SALU_CYCLE_1) | instskip(SKIP_2) | instid1(SALU_CYCLE_1)
	s_ashr_i32 s9, s8, 5
	s_cmp_lt_i32 s8, s17
	s_cselect_b32 s8, s9, s4
	s_ashr_i32 s9, s8, 31
	s_delay_alu instid0(SALU_CYCLE_1) | instskip(NEXT) | instid1(SALU_CYCLE_1)
	s_lshl_b64 s[8:9], s[8:9], 2
	s_add_u32 s8, s13, s8
	s_addc_u32 s9, s16, s9
	s_or_b32 s20, s12, 64
	s_delay_alu instid0(SALU_CYCLE_1) | instskip(SKIP_2) | instid1(SALU_CYCLE_1)
	s_ashr_i32 s21, s20, 5
	s_cmp_lt_i32 s20, s17
	s_cselect_b32 s20, s21, s4
	s_ashr_i32 s21, s20, 31
	s_delay_alu instid0(SALU_CYCLE_1) | instskip(NEXT) | instid1(SALU_CYCLE_1)
	s_lshl_b64 s[20:21], s[20:21], 2
	s_add_u32 s20, s13, s20
	s_addc_u32 s21, s16, s21
	;; [unrolled: 10-line block ×5, first 2 shown]
	s_clause 0x5
	s_load_b32 s28, s[6:7], 0x0
	s_load_b32 s8, s[8:9], 0x0
	;; [unrolled: 1-line block ×6, first 2 shown]
	s_mov_b32 s20, 0
	s_delay_alu instid0(SALU_CYCLE_1)
	s_mov_b32 s21, s20
	s_mov_b32 s22, s20
	;; [unrolled: 1-line block ×7, first 2 shown]
	s_delay_alu instid0(SALU_CYCLE_1)
	v_dual_mov_b32 v107, s27 :: v_dual_mov_b32 v106, s26
	v_dual_mov_b32 v104, s24 :: v_dual_mov_b32 v103, s23
	;; [unrolled: 1-line block ×3, first 2 shown]
	v_mov_b32_e32 v100, s20
	s_waitcnt vmcnt(1)
	v_mad_i64_i32 v[1:2], null, v5, s5, s[2:3]
	v_lshlrev_b32_e32 v5, 4, v65
	s_waitcnt vmcnt(0)
	v_mad_i64_i32 v[3:4], null, v6, s5, s[2:3]
	s_or_b32 s2, s12, 0xc0
	s_delay_alu instid0(SALU_CYCLE_1) | instskip(NEXT) | instid1(VALU_DEP_3)
	s_ashr_i32 s3, s2, 5
	v_add_co_u32 v33, vcc_lo, v1, v5
	s_delay_alu instid0(VALU_DEP_4) | instskip(NEXT) | instid1(VALU_DEP_3)
	v_add_co_ci_u32_e32 v34, vcc_lo, 0, v2, vcc_lo
	v_add_co_u32 v35, vcc_lo, v3, v5
	s_delay_alu instid0(VALU_DEP_4)
	v_add_co_ci_u32_e32 v36, vcc_lo, 0, v4, vcc_lo
	s_clause 0xf
	global_load_b128 v[1:4], v[33:34], off
	global_load_b128 v[5:8], v[33:34], off offset:512
	global_load_b128 v[9:12], v[35:36], off offset:256
	;; [unrolled: 1-line block ×15, first 2 shown]
	s_cmp_lt_i32 s2, s17
	v_add_nc_u32_e32 v33, -14, v65
	s_cselect_b32 s2, s3, s4
	v_cmp_gt_u32_e32 vcc_lo, 14, v65
	s_ashr_i32 s3, s2, 31
	v_lshlrev_b32_e32 v34, 5, v65
	s_lshl_b64 s[2:3], s[2:3], 2
	s_delay_alu instid0(SALU_CYCLE_1)
	s_add_u32 s2, s13, s2
	s_addc_u32 s3, s16, s3
	s_or_b32 s6, s12, 0xe0
	v_cndmask_b32_e32 v33, v33, v65, vcc_lo
	s_ashr_i32 s7, s6, 5
	s_cmp_lt_i32 s6, s17
	v_mov_b32_e32 v105, s25
	s_cselect_b32 s6, s7, s4
	v_lshlrev_b32_e32 v72, 6, v33
	s_ashr_i32 s7, s6, 31
	v_lshl_or_b32 v41, v66, 9, v34
	s_lshl_b64 s[6:7], s[6:7], 2
	ds_load_b128 v[33:36], v72
	ds_load_b128 v[37:40], v72 offset:1024
	ds_load_b128 v[108:111], v72 offset:2048
	;; [unrolled: 1-line block ×3, first 2 shown]
	s_load_b32 s4, s[2:3], 0x0
	s_add_u32 s2, s13, s6
	s_addc_u32 s3, s16, s7
	ds_load_b128 v[116:119], v72 offset:4096
	ds_load_b128 v[120:123], v72 offset:5120
	s_load_b32 s2, s[2:3], 0x0
	s_add_u32 s6, s10, s15
	s_addc_u32 s7, s11, s19
	v_add_co_u32 v68, s6, s6, v41
	s_delay_alu instid0(VALU_DEP_1) | instskip(SKIP_1) | instid1(VALU_DEP_1)
	v_add_co_ci_u32_e64 v69, null, s7, 0, s6
	s_waitcnt lgkmcnt(0)
	v_mad_i64_i32 v[41:42], null, s28, s5, v[68:69]
	v_mad_i64_i32 v[70:71], null, s9, s5, v[68:69]
	v_mad_i64_i32 v[45:46], null, s8, s5, v[68:69]
	v_mad_i64_i32 v[132:133], null, s31, s5, v[68:69]
	v_mad_i64_i32 v[134:135], null, s33, s5, v[68:69]
	v_mad_i64_i32 v[136:137], null, s34, s5, v[68:69]
	v_mad_i64_i32 v[138:139], null, s4, s5, v[68:69]
	s_clause 0x3
	global_load_b128 v[49:52], v[41:42], off
	global_load_b128 v[53:56], v[41:42], off offset:16
	global_load_b128 v[41:44], v[45:46], off
	global_load_b128 v[45:48], v[45:46], off offset:16
	s_waitcnt vmcnt(18)
	v_wmma_f32_16x16x16_bf16 v[124:131], v[1:8], v[33:40], v[100:107]
	s_waitcnt vmcnt(16)
	v_wmma_f32_16x16x16_bf16 v[100:107], v[9:16], v[33:40], v[100:107]
	s_clause 0x1
	global_load_b128 v[33:36], v[70:71], off
	global_load_b128 v[37:40], v[70:71], off offset:16
	v_mad_i64_i32 v[70:71], null, s2, s5, v[68:69]
	s_waitcnt vmcnt(16)
	v_wmma_f32_16x16x16_bf16 v[124:131], v[17:24], v[108:115], v[124:131]
	s_waitcnt vmcnt(14)
	v_wmma_f32_16x16x16_bf16 v[100:107], v[25:32], v[108:115], v[100:107]
	s_clause 0x7
	global_load_b128 v[25:28], v[132:133], off
	global_load_b128 v[29:32], v[132:133], off offset:16
	global_load_b128 v[1:4], v[134:135], off
	global_load_b128 v[5:8], v[134:135], off offset:16
	;; [unrolled: 2-line block ×4, first 2 shown]
	s_waitcnt vmcnt(20)
	v_wmma_f32_16x16x16_bf16 v[124:131], v[57:64], v[116:123], v[124:131]
	s_clause 0x1
	global_load_b128 v[57:60], v[70:71], off
	global_load_b128 v[61:64], v[70:71], off offset:16
	s_waitcnt vmcnt(20)
	v_wmma_f32_16x16x16_bf16 v[100:107], v[76:83], v[116:123], v[100:107]
	ds_load_b128 v[76:79], v72 offset:6144
	ds_load_b128 v[80:83], v72 offset:7168
	v_and_b32_e32 v68, 0xe0, v0
	v_mbcnt_lo_u32_b32 v69, -1, 0
	s_waitcnt vmcnt(0) lgkmcnt(0)
	s_barrier
	buffer_gl0_inv
	v_add_nc_u32_e32 v68, s12, v68
	v_xor_b32_e32 v70, 16, v69
	s_delay_alu instid0(VALU_DEP_2) | instskip(NEXT) | instid1(VALU_DEP_2)
	v_or_b32_e32 v68, v68, v74
	v_cmp_gt_i32_e32 vcc_lo, 32, v70
	s_delay_alu instid0(VALU_DEP_2)
	v_or_b32_e32 v71, 4, v68
	v_or_b32_e32 v72, 6, v68
	v_cmp_gt_i32_e64 s2, s17, v68
	v_or_b32_e32 v108, 8, v68
	v_wmma_f32_16x16x16_bf16 v[124:131], v[84:91], v[76:83], v[124:131]
	v_cndmask_b32_e32 v69, v69, v70, vcc_lo
	v_or_b32_e32 v70, 2, v68
	v_wmma_f32_16x16x16_bf16 v[100:107], v[92:99], v[76:83], v[100:107]
	v_or_b32_e32 v109, 10, v68
	v_dual_mul_f32 v80, s18, v129 :: v_dual_mul_f32 v81, s18, v128
	v_dual_mul_f32 v92, s18, v125 :: v_dual_mul_f32 v93, s18, v124
	s_delay_alu instid0(VALU_DEP_4)
	v_mul_f32_e32 v96, s18, v105
	v_cmp_gt_i32_e32 vcc_lo, s17, v70
	v_or_b32_e32 v89, 22, v68
	v_dual_mul_f32 v79, s18, v130 :: v_dual_mul_f32 v82, s18, v127
	v_dual_mul_f32 v83, s18, v126 :: v_dual_mul_f32 v94, s18, v107
	v_cndmask_b32_e64 v93, 0xff7fffff, v93, s2
	v_cndmask_b32_e32 v92, 0xff7fffff, v92, vcc_lo
	v_cmp_gt_i32_e64 s3, s17, v71
	v_cmp_gt_i32_e64 s4, s17, v72
	v_or_b32_e32 v84, 12, v68
	v_or_b32_e32 v85, 14, v68
	v_cmp_gt_i32_e64 s5, s17, v108
	v_cndmask_b32_e64 v71, 0xff7fffff, v83, s3
	v_cndmask_b32_e64 v72, 0xff7fffff, v82, s4
	v_cmp_gt_i32_e64 s6, s17, v109
	v_cmp_gt_i32_e64 s12, s17, v89
	v_lshlrev_b32_e32 v89, 2, v69
	v_max3_f32 v82, v93, 0xff7fffff, v92
	v_or_b32_e32 v86, 16, v68
	v_or_b32_e32 v87, 18, v68
	v_mul_f32_e32 v78, s18, v131
	v_cndmask_b32_e64 v81, 0xff7fffff, v81, s5
	v_cndmask_b32_e64 v80, 0xff7fffff, v80, s6
	v_max3_f32 v71, v82, v71, v72
	v_cmp_gt_i32_e64 s7, s17, v84
	v_cmp_gt_i32_e64 s8, s17, v85
	v_or_b32_e32 v88, 20, v68
	v_or_b32_e32 v90, 24, v68
	v_or_b32_e32 v91, 26, v68
	v_or_b32_e32 v76, 28, v68
	v_or_b32_e32 v77, 30, v68
	v_dual_mul_f32 v97, s18, v104 :: v_dual_mul_f32 v70, s18, v101
	v_dual_mul_f32 v99, s18, v102 :: v_dual_mul_f32 v68, s18, v100
	v_cndmask_b32_e64 v72, 0xff7fffff, v79, s7
	v_cndmask_b32_e64 v78, 0xff7fffff, v78, s8
	v_max3_f32 v71, v71, v81, v80
	v_cmp_gt_i32_e64 s9, s17, v86
	v_cmp_gt_i32_e64 s10, s17, v87
	v_dual_mul_f32 v95, s18, v106 :: v_dual_mul_f32 v98, s18, v103
	s_delay_alu instid0(VALU_DEP_4) | instskip(NEXT) | instid1(VALU_DEP_4)
	v_max3_f32 v71, v71, v72, v78
	v_cndmask_b32_e64 v68, 0xff7fffff, v68, s9
	s_delay_alu instid0(VALU_DEP_4)
	v_cndmask_b32_e64 v70, 0xff7fffff, v70, s10
	v_cmp_gt_i32_e64 s11, s17, v88
	v_cndmask_b32_e64 v78, 0xff7fffff, v98, s12
	v_cmp_gt_i32_e64 s13, s17, v90
	v_cmp_gt_i32_e64 s15, s17, v91
	v_max3_f32 v68, v71, v68, v70
	v_cndmask_b32_e64 v72, 0xff7fffff, v99, s11
	v_cmp_gt_i32_e64 s16, s17, v76
	v_cndmask_b32_e64 v70, 0xff7fffff, v97, s13
	v_cndmask_b32_e64 v71, 0xff7fffff, v96, s15
	v_cmp_gt_i32_e64 s17, s17, v77
	v_max3_f32 v68, v68, v72, v78
	v_cndmask_b32_e64 v72, 0xff7fffff, v95, s16
	s_delay_alu instid0(VALU_DEP_3) | instskip(NEXT) | instid1(VALU_DEP_3)
	v_cndmask_b32_e64 v76, 0xff7fffff, v94, s17
	v_max3_f32 v68, v68, v70, v71
	s_delay_alu instid0(VALU_DEP_1) | instskip(SKIP_3) | instid1(VALU_DEP_1)
	v_max3_f32 v68, v68, v72, v76
	ds_bpermute_b32 v69, v89, v68
	s_waitcnt lgkmcnt(0)
	v_max_f32_e32 v69, v69, v69
	v_max_f32_e32 v68, v68, v69
	s_delay_alu instid0(VALU_DEP_1) | instskip(NEXT) | instid1(VALU_DEP_1)
	v_fma_f32 v71, s18, v126, -v68
	v_mul_f32_e32 v71, 0x3fb8aa3b, v71
	v_fma_f32 v70, s18, v125, -v68
	v_fma_f32 v69, s18, v124, -v68
	;; [unrolled: 1-line block ×5, first 2 shown]
	s_delay_alu instid0(VALU_DEP_4) | instskip(SKIP_1) | instid1(VALU_DEP_3)
	v_dual_mul_f32 v70, 0x3fb8aa3b, v70 :: v_dual_mul_f32 v69, 0x3fb8aa3b, v69
	v_exp_f32_e32 v71, v71
	v_mul_f32_e32 v72, 0x3fb8aa3b, v72
	v_fma_f32 v81, s18, v105, -v68
	s_delay_alu instid0(VALU_DEP_3)
	v_exp_f32_e32 v70, v70
	v_mul_f32_e32 v77, 0x3fb8aa3b, v76
	v_exp_f32_e32 v69, v69
	v_exp_f32_e32 v72, v72
	v_mul_f32_e32 v81, 0x3fb8aa3b, v81
	v_cndmask_b32_e64 v83, 0, v71, s3
	v_fma_f32 v71, s18, v131, -v68
	s_delay_alu instid0(VALU_DEP_3) | instskip(SKIP_4) | instid1(TRANS32_DEP_3)
	v_exp_f32_e32 v81, v81
	v_cndmask_b32_e32 v76, 0, v70, vcc_lo
	v_exp_f32_e32 v77, v77
	v_cndmask_b32_e64 v80, 0, v69, s2
	v_fma_f32 v69, s18, v129, -v68
	v_cndmask_b32_e64 v85, 0, v72, s4
	v_mul_f32_e32 v71, 0x3fb8aa3b, v71
	v_fma_f32 v72, s18, v100, -v68
	s_delay_alu instid0(VALU_DEP_4) | instskip(SKIP_1) | instid1(VALU_DEP_3)
	v_dual_add_f32 v70, 0, v80 :: v_dual_mul_f32 v69, 0x3fb8aa3b, v69
	s_mov_b32 s2, exec_lo
	v_exp_f32_e32 v71, v71
	s_delay_alu instid0(TRANS32_DEP_2) | instskip(SKIP_4) | instid1(VALU_DEP_3)
	v_cndmask_b32_e64 v86, 0, v77, s5
	v_fma_f32 v77, s18, v101, -v68
	v_mul_f32_e32 v78, 0x3fb8aa3b, v78
	v_add_f32_e32 v70, v70, v76
	v_exp_f32_e32 v69, v69
	v_mul_f32_e32 v77, 0x3fb8aa3b, v77
	s_delay_alu instid0(VALU_DEP_3) | instskip(NEXT) | instid1(TRANS32_DEP_3)
	v_exp_f32_e32 v78, v78
	v_cndmask_b32_e64 v88, 0, v71, s8
	v_fma_f32 v71, s18, v104, -v68
	s_delay_alu instid0(VALU_DEP_3) | instskip(NEXT) | instid1(TRANS32_DEP_3)
	v_exp_f32_e32 v77, v77
	v_cndmask_b32_e64 v87, 0, v69, s6
	s_delay_alu instid0(VALU_DEP_2)
	v_mul_f32_e32 v71, 0x3fb8aa3b, v71
	s_waitcnt_depctr 0xfff
	v_cndmask_b32_e64 v84, 0, v78, s7
	v_add_f32_e32 v70, v70, v83
	v_fma_f32 v78, s18, v103, -v68
	v_exp_f32_e32 v82, v71
	s_delay_alu instid0(VALU_DEP_2) | instskip(SKIP_1) | instid1(VALU_DEP_3)
	v_add_f32_e32 v70, v70, v85
	v_mul_f32_e32 v72, 0x3fb8aa3b, v72
	v_mul_f32_e32 v78, 0x3fb8aa3b, v78
	s_delay_alu instid0(VALU_DEP_3) | instskip(SKIP_1) | instid1(VALU_DEP_4)
	v_add_f32_e32 v69, v70, v86
	v_fma_f32 v70, s18, v102, -v68
	v_exp_f32_e32 v72, v72
	s_delay_alu instid0(VALU_DEP_3) | instskip(NEXT) | instid1(VALU_DEP_1)
	v_exp_f32_e32 v78, v78
	v_dual_add_f32 v69, v69, v87 :: v_dual_mul_f32 v70, 0x3fb8aa3b, v70
	s_delay_alu instid0(VALU_DEP_1) | instskip(NEXT) | instid1(VALU_DEP_2)
	v_add_f32_e32 v69, v69, v84
	v_exp_f32_e32 v79, v70
	s_delay_alu instid0(TRANS32_DEP_3) | instskip(NEXT) | instid1(VALU_DEP_2)
	v_cndmask_b32_e64 v70, 0, v72, s9
	v_add_f32_e32 v72, v69, v88
	v_cndmask_b32_e64 v69, 0, v77, s10
	v_fma_f32 v77, s18, v106, -v68
	s_waitcnt_depctr 0xfff
	v_cndmask_b32_e64 v71, 0, v79, s11
	v_dual_mul_f32 v77, 0x3fb8aa3b, v77 :: v_dual_add_f32 v72, v72, v70
	s_delay_alu instid0(VALU_DEP_1) | instskip(NEXT) | instid1(VALU_DEP_1)
	v_exp_f32_e32 v90, v77
	v_add_f32_e32 v79, v72, v69
	v_cndmask_b32_e64 v72, 0, v78, s12
	v_cndmask_b32_e64 v77, 0, v82, s13
	s_delay_alu instid0(VALU_DEP_3) | instskip(SKIP_1) | instid1(VALU_DEP_1)
	v_add_f32_e32 v78, v79, v71
	v_fma_f32 v79, s18, v107, -v68
	v_dual_add_f32 v82, v78, v72 :: v_dual_mul_f32 v79, 0x3fb8aa3b, v79
	v_cndmask_b32_e64 v78, 0, v81, s15
	s_delay_alu instid0(VALU_DEP_2) | instskip(NEXT) | instid1(VALU_DEP_3)
	v_add_f32_e32 v81, v82, v77
	v_exp_f32_e32 v82, v79
	v_cndmask_b32_e64 v79, 0, v90, s16
	s_delay_alu instid0(VALU_DEP_2) | instskip(NEXT) | instid1(VALU_DEP_1)
	v_add_f32_e32 v81, v81, v78
	v_add_f32_e32 v90, v81, v79
	s_waitcnt_depctr 0xfff
	v_cndmask_b32_e64 v81, 0, v82, s17
	s_delay_alu instid0(VALU_DEP_1)
	v_add_f32_e32 v82, v90, v81
	ds_bpermute_b32 v89, v89, v82
	v_cmpx_gt_u32_e32 16, v67
	s_cbranch_execz .LBB1599_12
; %bb.11:
	v_mul_u32_u24_e32 v67, 0x44, v66
	s_delay_alu instid0(VALU_DEP_1) | instskip(SKIP_1) | instid1(VALU_DEP_1)
	v_lshl_add_u32 v67, v65, 2, v67
	s_waitcnt lgkmcnt(0)
	v_dual_add_f32 v82, v82, v89 :: v_dual_add_nc_u32 v67, 0x4000, v67
	ds_store_2addr_b32 v67, v68, v82 offset1:136
.LBB1599_12:
	s_or_b32 exec_lo, exec_lo, s2
	v_lshlrev_b32_e32 v67, 2, v65
	s_waitcnt lgkmcnt(0)
	s_barrier
	buffer_gl0_inv
	v_cmp_eq_u32_e32 vcc_lo, 1, v66
	v_add_nc_u32_e32 v82, 0x4000, v67
	v_cmp_eq_u32_e64 s2, 2, v66
	v_cmp_eq_u32_e64 s4, 7, v66
	ds_load_2addr_b32 v[89:90], v82 offset1:17
	ds_load_2addr_b32 v[91:92], v82 offset0:34 offset1:51
	ds_load_2addr_b32 v[93:94], v82 offset0:68 offset1:85
	;; [unrolled: 1-line block ×4, first 2 shown]
	s_waitcnt lgkmcnt(4)
	v_max3_f32 v67, v89, 0xff7fffff, v90
	s_waitcnt lgkmcnt(3)
	s_delay_alu instid0(VALU_DEP_1) | instskip(SKIP_1) | instid1(VALU_DEP_1)
	v_max3_f32 v67, v67, v91, v92
	s_waitcnt lgkmcnt(2)
	v_max3_f32 v67, v67, v93, v94
	s_waitcnt lgkmcnt(1)
	s_delay_alu instid0(VALU_DEP_1) | instskip(NEXT) | instid1(VALU_DEP_1)
	v_max3_f32 v67, v67, v95, v96
	v_sub_f32_e32 v93, v93, v67
	s_delay_alu instid0(VALU_DEP_1) | instskip(NEXT) | instid1(VALU_DEP_1)
	v_dual_sub_f32 v68, v89, v67 :: v_dual_mul_f32 v103, 0x3fb8aa3b, v93
	v_mul_f32_e32 v68, 0x3fb8aa3b, v68
	s_delay_alu instid0(VALU_DEP_1)
	v_exp_f32_e32 v100, v68
	v_sub_f32_e32 v68, v92, v67
	v_sub_f32_e32 v99, v90, v67
	ds_load_2addr_b32 v[89:90], v82 offset0:170 offset1:187
	v_dual_mul_f32 v102, 0x3fb8aa3b, v68 :: v_dual_mul_f32 v99, 0x3fb8aa3b, v99
	s_waitcnt lgkmcnt(1)
	v_fma_f32 v68, v100, v97, 0
	s_delay_alu instid0(VALU_DEP_2) | instskip(NEXT) | instid1(VALU_DEP_2)
	v_exp_f32_e32 v102, v102
	v_exp_f32_e32 v99, v99
	s_waitcnt_depctr 0xfff
	v_fmac_f32_e32 v68, v99, v98
	v_sub_f32_e32 v91, v91, v67
	s_delay_alu instid0(VALU_DEP_1)
	v_mul_f32_e32 v101, 0x3fb8aa3b, v91
	ds_load_2addr_b32 v[91:92], v82 offset0:204 offset1:221
	v_sub_f32_e32 v97, v94, v67
	ds_load_2addr_b32 v[93:94], v82 offset0:238 offset1:255
	s_waitcnt lgkmcnt(0)
	v_exp_f32_e32 v101, v101
	s_barrier
	buffer_gl0_inv
	v_dual_fmac_f32 v68, v101, v89 :: v_dual_sub_f32 v89, v96, v67
	v_dual_sub_f32 v82, v95, v67 :: v_dual_mul_f32 v95, 0x3fb8aa3b, v97
	v_exp_f32_e32 v97, v103
	s_delay_alu instid0(VALU_DEP_2) | instskip(NEXT) | instid1(VALU_DEP_2)
	v_dual_fmac_f32 v68, v102, v90 :: v_dual_mul_f32 v89, 0x3fb8aa3b, v89
	v_mul_f32_e32 v82, 0x3fb8aa3b, v82
	s_delay_alu instid0(VALU_DEP_3) | instskip(NEXT) | instid1(VALU_DEP_2)
	v_exp_f32_e32 v95, v95
	v_exp_f32_e32 v89, v89
	s_delay_alu instid0(VALU_DEP_1)
	v_exp_f32_e32 v82, v82
	v_fmac_f32_e32 v68, v97, v91
	s_delay_alu instid0(TRANS32_DEP_3) | instid1(VALU_DEP_1)
	v_fmac_f32_e32 v68, v95, v92
	s_waitcnt_depctr 0xfff
	v_fmac_f32_e32 v68, v82, v93
	s_delay_alu instid0(VALU_DEP_1) | instskip(NEXT) | instid1(VALU_DEP_1)
	v_fmac_f32_e32 v68, v89, v94
	v_add_f32_e32 v90, 0x358637bd, v68
	s_delay_alu instid0(VALU_DEP_1) | instskip(NEXT) | instid1(VALU_DEP_1)
	v_div_scale_f32 v91, null, v90, v90, 1.0
	v_rcp_f32_e32 v92, v91
	s_waitcnt_depctr 0xfff
	v_fma_f32 v93, -v91, v92, 1.0
	s_delay_alu instid0(VALU_DEP_1) | instskip(SKIP_1) | instid1(VALU_DEP_2)
	v_dual_fmac_f32 v92, v93, v92 :: v_dual_cndmask_b32 v93, v100, v99
	v_cmp_eq_u32_e32 vcc_lo, 3, v66
	v_cndmask_b32_e64 v93, v93, v101, s2
	v_cmp_eq_u32_e64 s2, 4, v66
	s_delay_alu instid0(VALU_DEP_2) | instskip(SKIP_1) | instid1(VALU_DEP_2)
	v_cndmask_b32_e32 v93, v93, v102, vcc_lo
	v_cmp_eq_u32_e32 vcc_lo, 5, v66
	v_cndmask_b32_e64 v93, v93, v97, s2
	v_cmp_eq_u32_e64 s2, 6, v66
	s_delay_alu instid0(VALU_DEP_2) | instskip(SKIP_1) | instid1(VALU_DEP_1)
	v_cndmask_b32_e32 v93, v93, v95, vcc_lo
	v_div_scale_f32 v94, s3, 1.0, v90, 1.0
	s_mov_b32 vcc_lo, s3
	s_delay_alu instid0(VALU_DEP_2) | instskip(NEXT) | instid1(VALU_DEP_2)
	v_cndmask_b32_e64 v82, v93, v82, s2
	v_mul_f32_e32 v96, v94, v92
	s_mov_b32 s2, exec_lo
	s_delay_alu instid0(VALU_DEP_2) | instskip(NEXT) | instid1(VALU_DEP_2)
	v_cndmask_b32_e64 v82, v82, v89, s4
	v_fma_f32 v98, -v91, v96, v94
	s_delay_alu instid0(VALU_DEP_1) | instskip(NEXT) | instid1(VALU_DEP_1)
	v_fmac_f32_e32 v96, v98, v92
	v_fma_f32 v91, -v91, v96, v94
	s_delay_alu instid0(VALU_DEP_1) | instskip(NEXT) | instid1(VALU_DEP_1)
	v_div_fmas_f32 v91, v91, v92, v96
	v_div_fixup_f32 v90, v91, v90, 1.0
	s_delay_alu instid0(VALU_DEP_1) | instskip(NEXT) | instid1(VALU_DEP_1)
	v_mul_f32_e32 v82, v82, v90
	v_mul_f32_e32 v87, v82, v87
	;; [unrolled: 1-line block ×7, first 2 shown]
	v_dual_mul_f32 v86, v82, v83 :: v_dual_and_b32 v91, 0x7f800000, v90
	v_mul_f32_e32 v85, v82, v76
                                        ; implicit-def: $vgpr76
	s_delay_alu instid0(VALU_DEP_2)
	v_cmpx_ne_u32_e32 0x7f800000, v91
	s_xor_b32 s2, exec_lo, s2
; %bb.13:
	v_bfe_u32 v76, v90, 16, 1
	s_delay_alu instid0(VALU_DEP_1)
	v_add3_u32 v76, v90, v76, 0x7fff
                                        ; implicit-def: $vgpr90
; %bb.14:
	s_and_not1_saveexec_b32 s2, s2
; %bb.15:
	v_and_b32_e32 v76, 0xffff, v90
	v_or_b32_e32 v83, 0x10000, v90
	s_delay_alu instid0(VALU_DEP_2) | instskip(NEXT) | instid1(VALU_DEP_2)
	v_cmp_eq_u32_e32 vcc_lo, 0, v76
	v_cndmask_b32_e32 v76, v83, v90, vcc_lo
; %bb.16:
	s_or_b32 exec_lo, exec_lo, s2
	v_and_b32_e32 v83, 0x7f800000, v85
	s_delay_alu instid0(VALU_DEP_1) | instskip(SKIP_1) | instid1(SALU_CYCLE_1)
	v_cmp_ne_u32_e32 vcc_lo, 0x7f800000, v83
                                        ; implicit-def: $vgpr83
	s_and_saveexec_b32 s2, vcc_lo
	s_xor_b32 s2, exec_lo, s2
; %bb.17:
	v_bfe_u32 v83, v85, 16, 1
	s_delay_alu instid0(VALU_DEP_1)
	v_add3_u32 v83, v85, v83, 0x7fff
                                        ; implicit-def: $vgpr85
; %bb.18:
	s_and_not1_saveexec_b32 s2, s2
; %bb.19:
	v_and_b32_e32 v83, 0xffff, v85
	v_or_b32_e32 v90, 0x10000, v85
	s_delay_alu instid0(VALU_DEP_2) | instskip(NEXT) | instid1(VALU_DEP_2)
	v_cmp_eq_u32_e32 vcc_lo, 0, v83
	v_cndmask_b32_e32 v83, v90, v85, vcc_lo
; %bb.20:
	s_or_b32 exec_lo, exec_lo, s2
	v_and_b32_e32 v85, 0x7f800000, v86
	s_delay_alu instid0(VALU_DEP_1) | instskip(SKIP_1) | instid1(SALU_CYCLE_1)
	v_cmp_ne_u32_e32 vcc_lo, 0x7f800000, v85
                                        ; implicit-def: $vgpr85
	s_and_saveexec_b32 s2, vcc_lo
	s_xor_b32 s2, exec_lo, s2
; %bb.21:
	v_bfe_u32 v85, v86, 16, 1
	s_delay_alu instid0(VALU_DEP_1)
	v_add3_u32 v85, v86, v85, 0x7fff
                                        ; implicit-def: $vgpr86
; %bb.22:
	s_and_not1_saveexec_b32 s2, s2
; %bb.23:
	v_and_b32_e32 v85, 0xffff, v86
	v_or_b32_e32 v90, 0x10000, v86
	s_delay_alu instid0(VALU_DEP_2) | instskip(NEXT) | instid1(VALU_DEP_2)
	v_cmp_eq_u32_e32 vcc_lo, 0, v85
	v_cndmask_b32_e32 v85, v90, v86, vcc_lo
; %bb.24:
	s_or_b32 exec_lo, exec_lo, s2
	v_and_b32_e32 v86, 0x7f800000, v89
	s_delay_alu instid0(VALU_DEP_1) | instskip(SKIP_1) | instid1(SALU_CYCLE_1)
	v_cmp_ne_u32_e32 vcc_lo, 0x7f800000, v86
                                        ; implicit-def: $vgpr86
	s_and_saveexec_b32 s2, vcc_lo
	s_xor_b32 s2, exec_lo, s2
; %bb.25:
	v_bfe_u32 v86, v89, 16, 1
	s_delay_alu instid0(VALU_DEP_1)
	v_add3_u32 v86, v89, v86, 0x7fff
                                        ; implicit-def: $vgpr89
; %bb.26:
	s_and_not1_saveexec_b32 s2, s2
; %bb.27:
	v_and_b32_e32 v86, 0xffff, v89
	v_or_b32_e32 v90, 0x10000, v89
	s_delay_alu instid0(VALU_DEP_2) | instskip(NEXT) | instid1(VALU_DEP_2)
	v_cmp_eq_u32_e32 vcc_lo, 0, v86
	v_cndmask_b32_e32 v86, v90, v89, vcc_lo
; %bb.28:
	s_or_b32 exec_lo, exec_lo, s2
	v_and_b32_e32 v89, 0x7f800000, v88
	s_delay_alu instid0(VALU_DEP_1) | instskip(SKIP_1) | instid1(SALU_CYCLE_1)
	v_cmp_ne_u32_e32 vcc_lo, 0x7f800000, v89
                                        ; implicit-def: $vgpr89
	s_and_saveexec_b32 s2, vcc_lo
	s_xor_b32 s2, exec_lo, s2
; %bb.29:
	v_bfe_u32 v89, v88, 16, 1
	s_delay_alu instid0(VALU_DEP_1)
	v_add3_u32 v89, v88, v89, 0x7fff
                                        ; implicit-def: $vgpr88
; %bb.30:
	s_and_not1_saveexec_b32 s2, s2
; %bb.31:
	v_and_b32_e32 v89, 0xffff, v88
	v_or_b32_e32 v90, 0x10000, v88
	s_delay_alu instid0(VALU_DEP_2) | instskip(NEXT) | instid1(VALU_DEP_2)
	v_cmp_eq_u32_e32 vcc_lo, 0, v89
	v_cndmask_b32_e32 v89, v90, v88, vcc_lo
; %bb.32:
	s_or_b32 exec_lo, exec_lo, s2
	v_and_b32_e32 v88, 0x7f800000, v87
	s_delay_alu instid0(VALU_DEP_1) | instskip(SKIP_1) | instid1(SALU_CYCLE_1)
	v_cmp_ne_u32_e32 vcc_lo, 0x7f800000, v88
                                        ; implicit-def: $vgpr88
	s_and_saveexec_b32 s2, vcc_lo
	s_xor_b32 s2, exec_lo, s2
; %bb.33:
	v_bfe_u32 v88, v87, 16, 1
	s_delay_alu instid0(VALU_DEP_1)
	v_add3_u32 v88, v87, v88, 0x7fff
                                        ; implicit-def: $vgpr87
; %bb.34:
	s_and_not1_saveexec_b32 s2, s2
; %bb.35:
	v_and_b32_e32 v88, 0xffff, v87
	v_or_b32_e32 v90, 0x10000, v87
	s_delay_alu instid0(VALU_DEP_2) | instskip(NEXT) | instid1(VALU_DEP_2)
	v_cmp_eq_u32_e32 vcc_lo, 0, v88
	v_cndmask_b32_e32 v88, v90, v87, vcc_lo
; %bb.36:
	s_or_b32 exec_lo, exec_lo, s2
	v_and_b32_e32 v87, 0x7f800000, v84
	s_delay_alu instid0(VALU_DEP_1) | instskip(SKIP_1) | instid1(SALU_CYCLE_1)
	v_cmp_ne_u32_e32 vcc_lo, 0x7f800000, v87
                                        ; implicit-def: $vgpr87
	s_and_saveexec_b32 s2, vcc_lo
	s_xor_b32 s2, exec_lo, s2
; %bb.37:
	v_bfe_u32 v87, v84, 16, 1
	s_delay_alu instid0(VALU_DEP_1)
	v_add3_u32 v87, v84, v87, 0x7fff
                                        ; implicit-def: $vgpr84
; %bb.38:
	s_and_not1_saveexec_b32 s2, s2
; %bb.39:
	v_and_b32_e32 v87, 0xffff, v84
	v_or_b32_e32 v90, 0x10000, v84
	s_delay_alu instid0(VALU_DEP_2) | instskip(NEXT) | instid1(VALU_DEP_2)
	v_cmp_eq_u32_e32 vcc_lo, 0, v87
	v_cndmask_b32_e32 v87, v90, v84, vcc_lo
; %bb.40:
	s_or_b32 exec_lo, exec_lo, s2
	v_and_b32_e32 v84, 0x7f800000, v80
	s_delay_alu instid0(VALU_DEP_1) | instskip(SKIP_1) | instid1(SALU_CYCLE_1)
	v_cmp_ne_u32_e32 vcc_lo, 0x7f800000, v84
                                        ; implicit-def: $vgpr84
	s_and_saveexec_b32 s2, vcc_lo
	s_xor_b32 s2, exec_lo, s2
; %bb.41:
	v_bfe_u32 v84, v80, 16, 1
	s_delay_alu instid0(VALU_DEP_1)
	v_add3_u32 v84, v80, v84, 0x7fff
                                        ; implicit-def: $vgpr80
; %bb.42:
	s_and_not1_saveexec_b32 s2, s2
; %bb.43:
	v_and_b32_e32 v84, 0xffff, v80
	v_or_b32_e32 v90, 0x10000, v80
	s_delay_alu instid0(VALU_DEP_2) | instskip(NEXT) | instid1(VALU_DEP_2)
	v_cmp_eq_u32_e32 vcc_lo, 0, v84
	v_cndmask_b32_e32 v84, v90, v80, vcc_lo
; %bb.44:
	s_or_b32 exec_lo, exec_lo, s2
	s_load_b64 s[34:35], s[0:1], 0x94
	v_lshlrev_b32_e32 v91, 4, v74
	s_delay_alu instid0(VALU_DEP_2)
	v_perm_b32 v90, v84, v87, 0x7060302
	v_dual_mul_f32 v79, v82, v79 :: v_dual_lshlrev_b32 v80, 6, v65
	v_dual_mul_f32 v77, v82, v77 :: v_dual_lshlrev_b32 v92, 11, v66
	v_mul_f32_e32 v84, v82, v70
	v_perm_b32 v89, v88, v89, 0x7060302
	v_perm_b32 v88, v86, v85, 0x7060302
	;; [unrolled: 1-line block ×3, first 2 shown]
	v_mul_f32_e32 v70, v82, v81
	v_or3_b32 v76, v91, v92, v80
	v_dual_mul_f32 v78, v82, v78 :: v_dual_and_b32 v85, 0x7f800000, v84
	v_mul_f32_e32 v83, v82, v72
	v_mul_f32_e32 v81, v82, v71
	;; [unrolled: 1-line block ×3, first 2 shown]
	s_mov_b32 s2, exec_lo
	ds_store_b128 v76, v[87:90]
                                        ; implicit-def: $vgpr69
	v_cmpx_ne_u32_e32 0x7f800000, v85
	s_xor_b32 s2, exec_lo, s2
; %bb.45:
	v_bfe_u32 v69, v84, 16, 1
	s_delay_alu instid0(VALU_DEP_1)
	v_add3_u32 v69, v84, v69, 0x7fff
                                        ; implicit-def: $vgpr84
; %bb.46:
	s_and_not1_saveexec_b32 s2, s2
; %bb.47:
	v_and_b32_e32 v69, 0xffff, v84
	v_or_b32_e32 v71, 0x10000, v84
	s_delay_alu instid0(VALU_DEP_2) | instskip(NEXT) | instid1(VALU_DEP_2)
	v_cmp_eq_u32_e32 vcc_lo, 0, v69
	v_cndmask_b32_e32 v69, v71, v84, vcc_lo
; %bb.48:
	s_or_b32 exec_lo, exec_lo, s2
	v_and_b32_e32 v71, 0x7f800000, v72
	s_delay_alu instid0(VALU_DEP_1) | instskip(SKIP_1) | instid1(SALU_CYCLE_1)
	v_cmp_ne_u32_e32 vcc_lo, 0x7f800000, v71
                                        ; implicit-def: $vgpr71
	s_and_saveexec_b32 s2, vcc_lo
	s_xor_b32 s2, exec_lo, s2
; %bb.49:
	v_bfe_u32 v71, v72, 16, 1
	s_delay_alu instid0(VALU_DEP_1)
	v_add3_u32 v71, v72, v71, 0x7fff
                                        ; implicit-def: $vgpr72
; %bb.50:
	s_and_not1_saveexec_b32 s2, s2
; %bb.51:
	v_and_b32_e32 v71, 0xffff, v72
	v_or_b32_e32 v82, 0x10000, v72
	s_delay_alu instid0(VALU_DEP_2) | instskip(NEXT) | instid1(VALU_DEP_2)
	v_cmp_eq_u32_e32 vcc_lo, 0, v71
	v_cndmask_b32_e32 v71, v82, v72, vcc_lo
; %bb.52:
	s_or_b32 exec_lo, exec_lo, s2
	v_and_b32_e32 v72, 0x7f800000, v81
	s_delay_alu instid0(VALU_DEP_1) | instskip(SKIP_1) | instid1(SALU_CYCLE_1)
	v_cmp_ne_u32_e32 vcc_lo, 0x7f800000, v72
                                        ; implicit-def: $vgpr72
	s_and_saveexec_b32 s2, vcc_lo
	s_xor_b32 s2, exec_lo, s2
; %bb.53:
	v_bfe_u32 v72, v81, 16, 1
	s_delay_alu instid0(VALU_DEP_1)
	v_add3_u32 v72, v81, v72, 0x7fff
                                        ; implicit-def: $vgpr81
; %bb.54:
	s_and_not1_saveexec_b32 s2, s2
; %bb.55:
	v_and_b32_e32 v72, 0xffff, v81
	v_or_b32_e32 v82, 0x10000, v81
	s_delay_alu instid0(VALU_DEP_2) | instskip(NEXT) | instid1(VALU_DEP_2)
	v_cmp_eq_u32_e32 vcc_lo, 0, v72
	v_cndmask_b32_e32 v72, v82, v81, vcc_lo
; %bb.56:
	s_or_b32 exec_lo, exec_lo, s2
	v_and_b32_e32 v81, 0x7f800000, v83
	s_delay_alu instid0(VALU_DEP_1) | instskip(SKIP_1) | instid1(SALU_CYCLE_1)
	v_cmp_ne_u32_e32 vcc_lo, 0x7f800000, v81
                                        ; implicit-def: $vgpr81
	s_and_saveexec_b32 s2, vcc_lo
	s_xor_b32 s2, exec_lo, s2
; %bb.57:
	v_bfe_u32 v81, v83, 16, 1
	s_delay_alu instid0(VALU_DEP_1)
	v_add3_u32 v81, v83, v81, 0x7fff
                                        ; implicit-def: $vgpr83
; %bb.58:
	s_and_not1_saveexec_b32 s2, s2
; %bb.59:
	v_and_b32_e32 v81, 0xffff, v83
	v_or_b32_e32 v82, 0x10000, v83
	s_delay_alu instid0(VALU_DEP_2) | instskip(NEXT) | instid1(VALU_DEP_2)
	v_cmp_eq_u32_e32 vcc_lo, 0, v81
	v_cndmask_b32_e32 v81, v82, v83, vcc_lo
; %bb.60:
	s_or_b32 exec_lo, exec_lo, s2
	v_and_b32_e32 v82, 0x7f800000, v77
	s_delay_alu instid0(VALU_DEP_1) | instskip(SKIP_1) | instid1(SALU_CYCLE_1)
	v_cmp_ne_u32_e32 vcc_lo, 0x7f800000, v82
                                        ; implicit-def: $vgpr82
	s_and_saveexec_b32 s2, vcc_lo
	s_xor_b32 s2, exec_lo, s2
; %bb.61:
	v_bfe_u32 v82, v77, 16, 1
	s_delay_alu instid0(VALU_DEP_1)
	v_add3_u32 v82, v77, v82, 0x7fff
                                        ; implicit-def: $vgpr77
; %bb.62:
	s_and_not1_saveexec_b32 s2, s2
; %bb.63:
	v_and_b32_e32 v82, 0xffff, v77
	v_or_b32_e32 v83, 0x10000, v77
	s_delay_alu instid0(VALU_DEP_2) | instskip(NEXT) | instid1(VALU_DEP_2)
	v_cmp_eq_u32_e32 vcc_lo, 0, v82
	v_cndmask_b32_e32 v82, v83, v77, vcc_lo
; %bb.64:
	s_or_b32 exec_lo, exec_lo, s2
	v_and_b32_e32 v77, 0x7f800000, v78
	s_delay_alu instid0(VALU_DEP_1) | instskip(SKIP_1) | instid1(SALU_CYCLE_1)
	v_cmp_ne_u32_e32 vcc_lo, 0x7f800000, v77
                                        ; implicit-def: $vgpr77
	s_and_saveexec_b32 s2, vcc_lo
	s_xor_b32 s2, exec_lo, s2
; %bb.65:
	v_bfe_u32 v77, v78, 16, 1
	s_delay_alu instid0(VALU_DEP_1)
	v_add3_u32 v77, v78, v77, 0x7fff
                                        ; implicit-def: $vgpr78
; %bb.66:
	s_and_not1_saveexec_b32 s2, s2
; %bb.67:
	v_and_b32_e32 v77, 0xffff, v78
	v_or_b32_e32 v83, 0x10000, v78
	s_delay_alu instid0(VALU_DEP_2) | instskip(NEXT) | instid1(VALU_DEP_2)
	v_cmp_eq_u32_e32 vcc_lo, 0, v77
	v_cndmask_b32_e32 v77, v83, v78, vcc_lo
; %bb.68:
	s_or_b32 exec_lo, exec_lo, s2
	v_and_b32_e32 v78, 0x7f800000, v79
	s_delay_alu instid0(VALU_DEP_1) | instskip(SKIP_1) | instid1(SALU_CYCLE_1)
	v_cmp_ne_u32_e32 vcc_lo, 0x7f800000, v78
                                        ; implicit-def: $vgpr78
	s_and_saveexec_b32 s2, vcc_lo
	s_xor_b32 s2, exec_lo, s2
; %bb.69:
	v_bfe_u32 v78, v79, 16, 1
	s_delay_alu instid0(VALU_DEP_1)
	v_add3_u32 v78, v79, v78, 0x7fff
                                        ; implicit-def: $vgpr79
; %bb.70:
	s_and_not1_saveexec_b32 s2, s2
; %bb.71:
	v_and_b32_e32 v78, 0xffff, v79
	v_or_b32_e32 v83, 0x10000, v79
	s_delay_alu instid0(VALU_DEP_2) | instskip(NEXT) | instid1(VALU_DEP_2)
	v_cmp_eq_u32_e32 vcc_lo, 0, v78
	v_cndmask_b32_e32 v78, v83, v79, vcc_lo
; %bb.72:
	s_or_b32 exec_lo, exec_lo, s2
	v_and_b32_e32 v79, 0x7f800000, v70
	s_delay_alu instid0(VALU_DEP_1) | instskip(SKIP_1) | instid1(SALU_CYCLE_1)
	v_cmp_ne_u32_e32 vcc_lo, 0x7f800000, v79
                                        ; implicit-def: $vgpr79
	s_and_saveexec_b32 s2, vcc_lo
	s_xor_b32 s2, exec_lo, s2
; %bb.73:
	v_bfe_u32 v79, v70, 16, 1
	s_delay_alu instid0(VALU_DEP_1)
	v_add3_u32 v79, v70, v79, 0x7fff
                                        ; implicit-def: $vgpr70
; %bb.74:
	s_and_not1_saveexec_b32 s2, s2
; %bb.75:
	v_and_b32_e32 v79, 0xffff, v70
	v_or_b32_e32 v83, 0x10000, v70
	s_delay_alu instid0(VALU_DEP_2) | instskip(NEXT) | instid1(VALU_DEP_2)
	v_cmp_eq_u32_e32 vcc_lo, 0, v79
	v_cndmask_b32_e32 v79, v83, v70, vcc_lo
; %bb.76:
	s_or_b32 exec_lo, exec_lo, s2
	s_delay_alu instid0(VALU_DEP_1)
	v_perm_b32 v86, v79, v78, 0x7060302
	v_perm_b32 v85, v77, v82, 0x7060302
	;; [unrolled: 1-line block ×4, first 2 shown]
	v_lshl_or_b32 v82, v66, 11, v80
	ds_store_b128 v76, v[83:86] offset:1024
	s_waitcnt lgkmcnt(0)
	s_barrier
	buffer_gl0_inv
	ds_load_b128 v[69:72], v82
	ds_load_b128 v[83:86], v82 offset:16
	s_waitcnt lgkmcnt(1)
	v_lshrrev_b32_e32 v66, 16, v69
	s_waitcnt lgkmcnt(0)
	v_lshrrev_b32_e32 v91, 16, v83
	v_lshlrev_b32_e32 v78, 2, v74
	v_lshrrev_b32_e32 v95, 16, v70
	v_lshrrev_b32_e32 v98, 16, v84
	;; [unrolled: 1-line block ×4, first 2 shown]
	v_cmp_eq_u32_e32 vcc_lo, 1, v78
	v_lshrrev_b32_e32 v97, 16, v72
	v_lshrrev_b32_e32 v100, 16, v86
	v_cndmask_b32_e32 v87, v83, v91, vcc_lo
	v_or_b32_e32 v79, 1, v78
	v_cndmask_b32_e32 v81, v69, v66, vcc_lo
	v_cmp_eq_u32_e64 s3, 2, v78
	v_cmp_eq_u32_e64 s6, 3, v78
	;; [unrolled: 1-line block ×5, first 2 shown]
	v_cndmask_b32_e64 v81, v81, v70, s3
	v_cndmask_b32_e64 v87, v87, v84, s3
	v_cmp_eq_u32_e64 s7, 3, v79
	v_cndmask_b32_e64 v88, v69, v66, s2
	v_or_b32_e32 v77, 2, v78
	v_cndmask_b32_e64 v81, v81, v95, s6
	v_cndmask_b32_e64 v87, v87, v98, s6
	;; [unrolled: 1-line block ×4, first 2 shown]
	v_cmp_eq_u32_e64 s9, 5, v78
	v_cndmask_b32_e64 v81, v81, v71, s8
	v_cndmask_b32_e64 v87, v87, v85, s8
	v_cmp_eq_u32_e64 s10, 4, v79
	v_cndmask_b32_e64 v88, v88, v95, s7
	v_cmp_eq_u32_e64 s4, 1, v77
	v_cndmask_b32_e64 v89, v89, v84, s5
	v_cndmask_b32_e64 v81, v81, v96, s9
	v_cmp_eq_u32_e64 s11, 6, v78
	v_cndmask_b32_e64 v88, v88, v71, s10
	;; [unrolled: 3-line block ×3, first 2 shown]
	v_cndmask_b32_e64 v89, v89, v98, s7
	v_cndmask_b32_e64 v81, v81, v72, s11
	v_cmp_eq_u32_e64 s13, 7, v78
	v_cndmask_b32_e64 v88, v88, v96, s12
	v_cndmask_b32_e64 v87, v87, v86, s11
	v_cmp_eq_u32_e64 s15, 6, v79
	v_cmp_eq_u32_e64 s16, 2, v77
	v_cndmask_b32_e64 v89, v89, v85, s10
	v_cndmask_b32_e64 v101, v81, v97, s13
	;; [unrolled: 1-line block ×6, first 2 shown]
	v_cmp_eq_u32_e64 s17, 7, v79
	v_cmp_eq_u32_e64 s18, 3, v77
	;; [unrolled: 1-line block ×4, first 2 shown]
	v_cndmask_b32_e64 v87, v87, v84, s16
	v_cndmask_b32_e64 v103, v88, v97, s17
	;; [unrolled: 1-line block ×4, first 2 shown]
	v_or_b32_e32 v81, 3, v78
	v_cndmask_b32_e64 v93, v87, v98, s18
	v_cmp_eq_u32_e64 s23, 6, v77
	v_cndmask_b32_e64 v104, v88, v86, s15
	v_cndmask_b32_e64 v92, v89, v71, s19
	v_cmp_eq_u32_e64 s20, 1, v81
	ds_load_b128 v[87:90], v82 offset:1024
	v_cmp_eq_u32_e64 s22, 2, v81
	v_cmp_eq_u32_e64 s24, 3, v81
	v_cndmask_b32_e64 v105, v92, v96, s21
	v_cndmask_b32_e64 v66, v69, v66, s20
	;; [unrolled: 1-line block ×4, first 2 shown]
	ds_load_b128 v[91:94], v82 offset:1040
	v_cmp_eq_u32_e64 s25, 4, v81
	v_cndmask_b32_e64 v66, v66, v70, s22
	v_cmp_eq_u32_e64 s26, 7, v77
	v_cndmask_b32_e64 v70, v83, v84, s22
	v_cndmask_b32_e64 v84, v105, v72, s23
	v_cmp_eq_u32_e64 s27, 5, v81
	v_cndmask_b32_e64 v66, v66, v95, s24
	v_cmp_eq_u32_e64 s28, 6, v81
	v_cndmask_b32_e64 v70, v70, v98, s24
	v_cndmask_b32_e64 v69, v69, v99, s21
	v_cndmask_b32_e64 v83, v104, v100, s17
	v_cndmask_b32_e64 v66, v66, v71, s25
	s_waitcnt lgkmcnt(1)
	v_lshrrev_b32_e32 v95, 16, v87
	v_cndmask_b32_e64 v70, v70, v85, s25
	v_cndmask_b32_e64 v71, v84, v97, s26
	;; [unrolled: 1-line block ×4, first 2 shown]
	v_cndmask_b32_e32 v84, v87, v95, vcc_lo
	v_cndmask_b32_e64 v70, v70, v99, s27
	s_waitcnt lgkmcnt(0)
	v_lshrrev_b32_e32 v85, 16, v91
	v_lshrrev_b32_e32 v96, 16, v88
	v_cndmask_b32_e64 v98, v87, v95, s2
	v_cndmask_b32_e64 v84, v84, v88, s3
	;; [unrolled: 1-line block ×3, first 2 shown]
	v_cndmask_b32_e32 v99, v91, v85, vcc_lo
	v_cmp_eq_u32_e32 vcc_lo, 7, v81
	v_cndmask_b32_e64 v66, v66, v72, s28
	v_cndmask_b32_e64 v72, v84, v96, s6
	;; [unrolled: 1-line block ×3, first 2 shown]
	v_lshrrev_b32_e32 v98, 16, v92
	v_cndmask_b32_e32 v70, v70, v100, vcc_lo
	v_cndmask_b32_e64 v86, v99, v92, s3
	v_cndmask_b32_e64 v69, v69, v100, s26
	v_lshrrev_b32_e32 v100, 16, v93
	v_cndmask_b32_e64 v72, v72, v89, s8
	v_lshrrev_b32_e32 v99, 16, v89
	v_cndmask_b32_e64 v86, v86, v98, s6
	v_perm_b32 v71, v69, v71, 0x5040100
	v_cndmask_b32_e64 v84, v84, v96, s7
	s_delay_alu instid0(VALU_DEP_3) | instskip(NEXT) | instid1(VALU_DEP_2)
	v_cndmask_b32_e64 v86, v86, v93, s8
	v_cndmask_b32_e64 v84, v84, v89, s10
	s_delay_alu instid0(VALU_DEP_2) | instskip(NEXT) | instid1(VALU_DEP_1)
	v_cndmask_b32_e64 v86, v86, v100, s9
	v_cndmask_b32_e64 v69, v86, v94, s11
	;; [unrolled: 1-line block ×5, first 2 shown]
	s_delay_alu instid0(VALU_DEP_3) | instskip(NEXT) | instid1(VALU_DEP_3)
	v_cndmask_b32_e64 v86, v86, v88, s16
	v_cndmask_b32_e64 v87, v87, v88, s22
	s_delay_alu instid0(VALU_DEP_3) | instskip(NEXT) | instid1(VALU_DEP_3)
	v_cndmask_b32_e64 v88, v95, v92, s22
	v_cndmask_b32_e64 v86, v86, v96, s18
	;; [unrolled: 3-line block ×7, first 2 shown]
	s_delay_alu instid0(VALU_DEP_3) | instskip(SKIP_2) | instid1(VALU_DEP_2)
	v_cndmask_b32_e64 v88, v88, v94, s28
	v_cndmask_b32_e32 v66, v66, v97, vcc_lo
	v_cndmask_b32_e64 v97, v72, v99, s9
	v_perm_b32 v72, v70, v66, 0x5040100
	v_perm_b32 v70, v83, v103, 0x5040100
	v_cndmask_b32_e64 v103, v91, v85, s4
	v_cndmask_b32_e64 v85, v91, v85, s2
	;; [unrolled: 1-line block ×4, first 2 shown]
	v_lshrrev_b32_e32 v97, 16, v90
	v_cndmask_b32_e64 v91, v103, v92, s16
	v_cndmask_b32_e64 v85, v85, v92, s5
	;; [unrolled: 1-line block ×3, first 2 shown]
	s_mov_b32 s2, exec_lo
	v_cndmask_b32_e64 v83, v84, v97, s13
	v_cndmask_b32_e64 v91, v91, v98, s18
	v_cndmask_b32_e64 v85, v85, v98, s7
	v_lshrrev_b32_e32 v84, 16, v94
	v_cndmask_b32_e64 v66, v66, v97, s17
	v_cndmask_b32_e64 v90, v86, v97, s26
	;; [unrolled: 1-line block ×4, first 2 shown]
	v_dual_cndmask_b32 v86, v87, v97 :: v_dual_cndmask_b32 v87, v88, v84
	v_cndmask_b32_e64 v91, v69, v84, s13
	s_delay_alu instid0(VALU_DEP_4) | instskip(NEXT) | instid1(VALU_DEP_4)
	v_cndmask_b32_e64 v89, v89, v100, s21
	v_cndmask_b32_e64 v85, v85, v100, s12
	v_perm_b32 v69, v102, v101, 0x5040100
	v_perm_b32 v86, v87, v86, 0x5040100
	;; [unrolled: 1-line block ×3, first 2 shown]
	v_cndmask_b32_e64 v89, v89, v94, s23
	v_cndmask_b32_e64 v85, v85, v94, s15
	s_mul_i32 s7, s35, 14
	s_delay_alu instid0(VALU_DEP_2) | instskip(NEXT) | instid1(VALU_DEP_2)
	v_cndmask_b32_e64 v88, v89, v84, s26
	v_cndmask_b32_e64 v89, v85, v84, s17
	s_delay_alu instid0(VALU_DEP_2) | instskip(NEXT) | instid1(VALU_DEP_2)
	v_perm_b32 v85, v88, v90, 0x5040100
	v_perm_b32 v84, v89, v66, 0x5040100
	ds_store_b128 v76, v[69:72]
	ds_store_b128 v76, v[83:86] offset:1024
	v_cmpx_gt_u32_e32 14, v0
	s_cbranch_execz .LBB1599_78
; %bb.77:
	s_mul_i32 s3, s7, s30
	s_load_b128 s[8:11], s[0:1], 0x58
	v_add3_u32 v69, s3, s29, v65
	s_delay_alu instid0(VALU_DEP_1) | instskip(NEXT) | instid1(VALU_DEP_1)
	v_mad_u64_u32 v[65:66], null, v69, s34, s[14:15]
	v_ashrrev_i32_e32 v66, 31, v65
	s_delay_alu instid0(VALU_DEP_1) | instskip(SKIP_1) | instid1(VALU_DEP_1)
	v_lshlrev_b64 v[65:66], 2, v[65:66]
	s_waitcnt lgkmcnt(0)
	v_add_co_u32 v69, vcc_lo, s10, v65
	s_delay_alu instid0(VALU_DEP_2)
	v_add_co_ci_u32_e32 v70, vcc_lo, s11, v66, vcc_lo
	v_add_co_u32 v65, vcc_lo, s8, v65
	v_add_co_ci_u32_e32 v66, vcc_lo, s9, v66, vcc_lo
	global_store_b32 v[69:70], v67, off
	global_store_b32 v[65:66], v68, off
.LBB1599_78:
	s_or_b32 exec_lo, exec_lo, s2
	s_waitcnt lgkmcnt(0)
	s_waitcnt_vscnt null, 0x0
	s_barrier
	buffer_gl0_inv
	ds_load_b128 v[83:86], v80
	ds_load_b128 v[87:90], v80 offset:16
	ds_load_b128 v[95:98], v80 offset:2064
	;; [unrolled: 1-line block ×3, first 2 shown]
	v_mov_b32_e32 v65, 0
	ds_load_b128 v[103:106], v80 offset:4112
	ds_load_b128 v[99:102], v80 offset:4096
	ds_load_b128 v[111:114], v80 offset:6160
	ds_load_b128 v[107:110], v80 offset:6144
	v_mov_b32_e32 v66, v65
	v_mov_b32_e32 v67, v65
	;; [unrolled: 1-line block ×7, first 2 shown]
	s_waitcnt lgkmcnt(6)
	s_delay_alu instid0(VALU_DEP_1)
	v_wmma_f32_16x16x16_bf16 v[65:72], v[49:56], v[83:90], v[65:72]
	ds_load_b128 v[53:56], v80 offset:8208
	ds_load_b128 v[49:52], v80 offset:8192
	s_waitcnt lgkmcnt(6)
	v_wmma_f32_16x16x16_bf16 v[65:72], v[41:48], v[91:98], v[65:72]
	ds_load_b128 v[45:48], v80 offset:10256
	ds_load_b128 v[41:44], v80 offset:10240
	s_waitcnt lgkmcnt(6)
	;; [unrolled: 4-line block ×4, first 2 shown]
	v_wmma_f32_16x16x16_bf16 v[65:72], v[1:8], v[49:56], v[65:72]
	s_waitcnt lgkmcnt(4)
	s_delay_alu instid0(VALU_DEP_1) | instskip(SKIP_1) | instid1(VALU_DEP_1)
	v_wmma_f32_16x16x16_bf16 v[65:72], v[9:16], v[41:48], v[65:72]
	s_waitcnt lgkmcnt(2)
	v_wmma_f32_16x16x16_bf16 v[65:72], v[17:24], v[33:40], v[65:72]
	s_waitcnt lgkmcnt(0)
	s_delay_alu instid0(VALU_DEP_1) | instskip(NEXT) | instid1(VALU_DEP_1)
	v_wmma_f32_16x16x16_bf16 v[65:72], v[57:64], v[25:32], v[65:72]
	v_and_b32_e32 v1, 0x7f800000, v65
	s_delay_alu instid0(VALU_DEP_1) | instskip(SKIP_1) | instid1(SALU_CYCLE_1)
	v_cmp_ne_u32_e32 vcc_lo, 0x7f800000, v1
                                        ; implicit-def: $vgpr1
	s_and_saveexec_b32 s2, vcc_lo
	s_xor_b32 s2, exec_lo, s2
; %bb.79:
	v_bfe_u32 v1, v65, 16, 1
	s_delay_alu instid0(VALU_DEP_1)
	v_add3_u32 v1, v65, v1, 0x7fff
; %bb.80:
	s_and_not1_saveexec_b32 s2, s2
; %bb.81:
	v_and_b32_e32 v1, 0xffff, v65
	v_or_b32_e32 v2, 0x10000, v65
	s_delay_alu instid0(VALU_DEP_2) | instskip(NEXT) | instid1(VALU_DEP_2)
	v_cmp_eq_u32_e32 vcc_lo, 0, v1
	v_cndmask_b32_e32 v1, v2, v65, vcc_lo
; %bb.82:
	s_or_b32 exec_lo, exec_lo, s2
	v_and_b32_e32 v2, 0x7f800000, v66
	s_delay_alu instid0(VALU_DEP_1) | instskip(SKIP_1) | instid1(SALU_CYCLE_1)
	v_cmp_ne_u32_e32 vcc_lo, 0x7f800000, v2
                                        ; implicit-def: $vgpr2
	s_and_saveexec_b32 s2, vcc_lo
	s_xor_b32 s2, exec_lo, s2
; %bb.83:
	v_bfe_u32 v2, v66, 16, 1
	s_delay_alu instid0(VALU_DEP_1)
	v_add3_u32 v2, v66, v2, 0x7fff
; %bb.84:
	s_and_not1_saveexec_b32 s2, s2
; %bb.85:
	v_and_b32_e32 v2, 0xffff, v66
	v_or_b32_e32 v3, 0x10000, v66
	s_delay_alu instid0(VALU_DEP_2) | instskip(NEXT) | instid1(VALU_DEP_2)
	v_cmp_eq_u32_e32 vcc_lo, 0, v2
	v_cndmask_b32_e32 v2, v3, v66, vcc_lo
; %bb.86:
	s_or_b32 exec_lo, exec_lo, s2
	v_and_b32_e32 v3, 0x7f800000, v67
	s_delay_alu instid0(VALU_DEP_1) | instskip(SKIP_1) | instid1(SALU_CYCLE_1)
	v_cmp_ne_u32_e32 vcc_lo, 0x7f800000, v3
                                        ; implicit-def: $vgpr3
	s_and_saveexec_b32 s2, vcc_lo
	s_xor_b32 s2, exec_lo, s2
; %bb.87:
	v_bfe_u32 v3, v67, 16, 1
	s_delay_alu instid0(VALU_DEP_1)
	v_add3_u32 v3, v67, v3, 0x7fff
; %bb.88:
	s_and_not1_saveexec_b32 s2, s2
; %bb.89:
	v_and_b32_e32 v3, 0xffff, v67
	v_or_b32_e32 v4, 0x10000, v67
	s_delay_alu instid0(VALU_DEP_2) | instskip(NEXT) | instid1(VALU_DEP_2)
	v_cmp_eq_u32_e32 vcc_lo, 0, v3
	v_cndmask_b32_e32 v3, v4, v67, vcc_lo
; %bb.90:
	s_or_b32 exec_lo, exec_lo, s2
	v_and_b32_e32 v4, 0x7f800000, v68
	s_delay_alu instid0(VALU_DEP_1) | instskip(SKIP_1) | instid1(SALU_CYCLE_1)
	v_cmp_ne_u32_e32 vcc_lo, 0x7f800000, v4
                                        ; implicit-def: $vgpr4
	s_and_saveexec_b32 s2, vcc_lo
	s_xor_b32 s2, exec_lo, s2
; %bb.91:
	v_bfe_u32 v4, v68, 16, 1
	s_delay_alu instid0(VALU_DEP_1)
	v_add3_u32 v4, v68, v4, 0x7fff
; %bb.92:
	s_and_not1_saveexec_b32 s2, s2
; %bb.93:
	v_and_b32_e32 v4, 0xffff, v68
	v_or_b32_e32 v5, 0x10000, v68
	s_delay_alu instid0(VALU_DEP_2) | instskip(NEXT) | instid1(VALU_DEP_2)
	v_cmp_eq_u32_e32 vcc_lo, 0, v4
	v_cndmask_b32_e32 v4, v5, v68, vcc_lo
; %bb.94:
	s_or_b32 exec_lo, exec_lo, s2
	v_and_b32_e32 v5, 0x7f800000, v69
	s_delay_alu instid0(VALU_DEP_1) | instskip(SKIP_1) | instid1(SALU_CYCLE_1)
	v_cmp_ne_u32_e32 vcc_lo, 0x7f800000, v5
                                        ; implicit-def: $vgpr5
	s_and_saveexec_b32 s2, vcc_lo
	s_xor_b32 s2, exec_lo, s2
; %bb.95:
	v_bfe_u32 v5, v69, 16, 1
	s_delay_alu instid0(VALU_DEP_1)
	v_add3_u32 v5, v69, v5, 0x7fff
; %bb.96:
	s_and_not1_saveexec_b32 s2, s2
; %bb.97:
	v_and_b32_e32 v5, 0xffff, v69
	v_or_b32_e32 v6, 0x10000, v69
	s_delay_alu instid0(VALU_DEP_2) | instskip(NEXT) | instid1(VALU_DEP_2)
	v_cmp_eq_u32_e32 vcc_lo, 0, v5
	v_cndmask_b32_e32 v5, v6, v69, vcc_lo
; %bb.98:
	s_or_b32 exec_lo, exec_lo, s2
	v_and_b32_e32 v6, 0x7f800000, v70
	s_delay_alu instid0(VALU_DEP_1) | instskip(SKIP_1) | instid1(SALU_CYCLE_1)
	v_cmp_ne_u32_e32 vcc_lo, 0x7f800000, v6
                                        ; implicit-def: $vgpr6
	s_and_saveexec_b32 s2, vcc_lo
	s_xor_b32 s2, exec_lo, s2
; %bb.99:
	v_bfe_u32 v6, v70, 16, 1
	s_delay_alu instid0(VALU_DEP_1)
	v_add3_u32 v6, v70, v6, 0x7fff
; %bb.100:
	s_and_not1_saveexec_b32 s2, s2
; %bb.101:
	v_and_b32_e32 v6, 0xffff, v70
	v_or_b32_e32 v7, 0x10000, v70
	s_delay_alu instid0(VALU_DEP_2) | instskip(NEXT) | instid1(VALU_DEP_2)
	v_cmp_eq_u32_e32 vcc_lo, 0, v6
	v_cndmask_b32_e32 v6, v7, v70, vcc_lo
; %bb.102:
	s_or_b32 exec_lo, exec_lo, s2
	v_and_b32_e32 v7, 0x7f800000, v71
	s_delay_alu instid0(VALU_DEP_1) | instskip(SKIP_1) | instid1(SALU_CYCLE_1)
	v_cmp_ne_u32_e32 vcc_lo, 0x7f800000, v7
                                        ; implicit-def: $vgpr7
	s_and_saveexec_b32 s2, vcc_lo
	s_xor_b32 s2, exec_lo, s2
; %bb.103:
	v_bfe_u32 v7, v71, 16, 1
	s_delay_alu instid0(VALU_DEP_1)
	v_add3_u32 v7, v71, v7, 0x7fff
; %bb.104:
	s_and_not1_saveexec_b32 s2, s2
; %bb.105:
	v_and_b32_e32 v7, 0xffff, v71
	v_or_b32_e32 v8, 0x10000, v71
	s_delay_alu instid0(VALU_DEP_2) | instskip(NEXT) | instid1(VALU_DEP_2)
	v_cmp_eq_u32_e32 vcc_lo, 0, v7
	v_cndmask_b32_e32 v7, v8, v71, vcc_lo
; %bb.106:
	s_or_b32 exec_lo, exec_lo, s2
	v_and_b32_e32 v8, 0x7f800000, v72
	s_delay_alu instid0(VALU_DEP_1) | instskip(SKIP_1) | instid1(SALU_CYCLE_1)
	v_cmp_ne_u32_e32 vcc_lo, 0x7f800000, v8
                                        ; implicit-def: $vgpr8
	s_and_saveexec_b32 s2, vcc_lo
	s_xor_b32 s2, exec_lo, s2
; %bb.107:
	v_bfe_u32 v8, v72, 16, 1
	s_delay_alu instid0(VALU_DEP_1)
	v_add3_u32 v8, v72, v8, 0x7fff
                                        ; implicit-def: $vgpr65_vgpr66_vgpr67_vgpr68_vgpr69_vgpr70_vgpr71_vgpr72
; %bb.108:
	s_and_not1_saveexec_b32 s2, s2
; %bb.109:
	v_and_b32_e32 v8, 0xffff, v72
	v_or_b32_e32 v9, 0x10000, v72
	s_delay_alu instid0(VALU_DEP_2) | instskip(NEXT) | instid1(VALU_DEP_2)
	v_cmp_eq_u32_e32 vcc_lo, 0, v8
	v_cndmask_b32_e32 v8, v9, v72, vcc_lo
; %bb.110:
	s_or_b32 exec_lo, exec_lo, s2
	s_delay_alu instid0(VALU_DEP_1)
	v_perm_b32 v7, v8, v7, 0x7060302
	v_perm_b32 v6, v6, v5, 0x7060302
	;; [unrolled: 1-line block ×4, first 2 shown]
	s_barrier
	buffer_gl0_inv
	v_cmp_eq_u32_e32 vcc_lo, 1, v78
	ds_store_b128 v76, v[4:7]
	s_waitcnt lgkmcnt(0)
	s_barrier
	buffer_gl0_inv
	ds_load_b128 v[1:4], v82
	ds_load_b128 v[5:8], v82 offset:16
	v_cmp_eq_u32_e64 s2, 1, v79
	v_cmp_eq_u32_e64 s3, 2, v78
	;; [unrolled: 1-line block ×5, first 2 shown]
	s_waitcnt lgkmcnt(1)
	v_lshrrev_b32_e32 v9, 16, v1
	s_waitcnt lgkmcnt(0)
	v_lshrrev_b32_e32 v13, 16, v5
	v_lshrrev_b32_e32 v10, 16, v2
	v_lshrrev_b32_e32 v14, 16, v6
	v_lshrrev_b32_e32 v11, 16, v3
	v_cndmask_b32_e64 v19, v1, v9, s2
	v_cndmask_b32_e32 v18, v5, v13, vcc_lo
	v_cndmask_b32_e64 v20, v5, v13, s2
	v_cndmask_b32_e32 v17, v1, v9, vcc_lo
	v_cmp_eq_u32_e32 vcc_lo, 2, v79
	v_lshrrev_b32_e32 v15, 16, v7
	v_cmp_eq_u32_e64 s2, 1, v77
	v_lshrrev_b32_e32 v12, 16, v4
	v_lshrrev_b32_e32 v16, 16, v8
	v_cndmask_b32_e32 v20, v20, v6, vcc_lo
	v_cndmask_b32_e64 v17, v17, v2, s3
	v_cndmask_b32_e32 v19, v19, v2, vcc_lo
	v_cndmask_b32_e64 v18, v18, v6, s3
	v_cmp_eq_u32_e32 vcc_lo, 4, v78
	v_cmp_eq_u32_e64 s3, 3, v79
	v_cndmask_b32_e64 v17, v17, v10, s4
	v_cndmask_b32_e64 v21, v1, v9, s2
	;; [unrolled: 1-line block ×5, first 2 shown]
	v_cndmask_b32_e32 v17, v17, v3, vcc_lo
	v_cndmask_b32_e64 v20, v20, v14, s3
	v_cndmask_b32_e32 v18, v18, v7, vcc_lo
	v_cmp_eq_u32_e32 vcc_lo, 4, v79
	v_cmp_eq_u32_e64 s3, 5, v79
	v_cmp_eq_u32_e64 s2, 2, v81
	v_cndmask_b32_e64 v21, v21, v2, s6
	v_cmp_eq_u32_e64 s4, 5, v78
	v_cndmask_b32_e32 v19, v19, v3, vcc_lo
	v_cndmask_b32_e32 v20, v20, v7, vcc_lo
	v_cmp_eq_u32_e32 vcc_lo, 6, v79
	s_delay_alu instid0(VALU_DEP_4) | instskip(NEXT) | instid1(VALU_DEP_4)
	v_cndmask_b32_e64 v17, v17, v11, s4
	v_cndmask_b32_e64 v19, v19, v11, s3
	s_delay_alu instid0(VALU_DEP_4) | instskip(SKIP_1) | instid1(VALU_DEP_3)
	v_cndmask_b32_e64 v20, v20, v15, s3
	v_cmp_eq_u32_e64 s3, 1, v81
	v_cndmask_b32_e32 v19, v19, v4, vcc_lo
	v_cndmask_b32_e64 v18, v18, v15, s4
	s_delay_alu instid0(VALU_DEP_3)
	v_cndmask_b32_e64 v1, v1, v9, s3
	v_cndmask_b32_e64 v5, v5, v13, s3
	v_cmp_eq_u32_e64 s3, 3, v77
	v_cndmask_b32_e64 v13, v22, v6, s6
	v_cmp_eq_u32_e64 s6, 3, v81
	v_cndmask_b32_e64 v1, v1, v2, s2
	v_cndmask_b32_e64 v2, v5, v6, s2
	;; [unrolled: 1-line block ×3, first 2 shown]
	v_cmp_eq_u32_e64 s2, 4, v77
	v_cndmask_b32_e64 v6, v13, v14, s3
	v_cndmask_b32_e64 v1, v1, v10, s6
	v_cmp_eq_u32_e64 s3, 4, v81
	v_cndmask_b32_e64 v2, v2, v14, s6
	v_cndmask_b32_e64 v5, v9, v3, s2
	;; [unrolled: 3-line block ×3, first 2 shown]
	v_cndmask_b32_e64 v2, v2, v7, s3
	v_cmp_eq_u32_e64 s2, 5, v81
	v_cmp_eq_u32_e64 s4, 6, v78
	v_cndmask_b32_e64 v5, v5, v11, s6
	v_cmp_eq_u32_e64 s3, 6, v77
	v_cndmask_b32_e64 v3, v6, v15, s6
	v_cndmask_b32_e64 v1, v1, v11, s2
	v_cmp_eq_u32_e64 s6, 6, v81
	v_cndmask_b32_e64 v2, v2, v15, s2
	v_cndmask_b32_e64 v17, v17, v4, s4
	v_cndmask_b32_e64 v18, v18, v8, s4
	v_cmp_eq_u32_e64 s4, 7, v78
	v_cndmask_b32_e64 v5, v5, v4, s3
	;; [unrolled: 4-line block ×3, first 2 shown]
	v_cmp_eq_u32_e64 s3, 7, v77
	v_cndmask_b32_e32 v4, v20, v8, vcc_lo
	v_cndmask_b32_e64 v17, v17, v12, s4
	v_cndmask_b32_e64 v19, v19, v12, s5
	v_cndmask_b32_e64 v1, v1, v12, s2
	v_cndmask_b32_e64 v5, v5, v12, s3
	v_cndmask_b32_e64 v2, v2, v16, s2
	v_cndmask_b32_e64 v3, v3, v16, s3
	v_cndmask_b32_e64 v6, v4, v16, s5
	v_cndmask_b32_e64 v7, v18, v16, s4
	s_mov_b32 s2, exec_lo
	v_perm_b32 v4, v2, v1, 0x5040100
	v_perm_b32 v3, v3, v5, 0x5040100
	;; [unrolled: 1-line block ×4, first 2 shown]
	ds_store_b128 v76, v[1:4]
	s_waitcnt lgkmcnt(0)
	s_barrier
	buffer_gl0_inv
	v_cmpx_gt_u32_e32 32, v0
	s_cbranch_execz .LBB1599_2
; %bb.111:
	s_load_b64 s[0:1], s[0:1], 0x68
	v_lshlrev_b32_e32 v0, 10, v0
	s_lshl_b32 s4, s34, 7
	v_or_b32_e32 v3, s29, v74
	s_mul_i32 s2, s4, s30
	v_lshlrev_b32_e32 v1, 4, v75
	v_lshlrev_b32_e32 v2, 6, v74
	v_and_b32_e32 v0, 0x3800, v0
	s_mul_i32 s2, s2, s7
	v_mul_lo_u32 v8, v3, s4
	s_ashr_i32 s3, s2, 31
	s_delay_alu instid0(SALU_CYCLE_1)
	s_lshl_b64 s[2:3], s[2:3], 1
	v_or3_b32 v16, v0, v1, v2
	ds_load_b128 v[0:3], v16
	ds_load_b128 v[4:7], v16 offset:128
	v_ashrrev_i32_e32 v9, 31, v8
	s_waitcnt lgkmcnt(0)
	s_add_u32 s2, s0, s2
	s_addc_u32 s3, s1, s3
	s_lshl_b32 s0, s14, 7
	s_delay_alu instid0(SALU_CYCLE_1) | instskip(SKIP_2) | instid1(SALU_CYCLE_1)
	s_ashr_i32 s1, s0, 31
	v_lshlrev_b64 v[9:10], 1, v[8:9]
	s_lshl_b64 s[0:1], s[0:1], 1
	s_add_u32 s0, s2, s0
	s_addc_u32 s1, s3, s1
	s_lshl_b32 s2, s34, 8
	v_add_co_u32 v30, s0, s0, v73
	v_add_nc_u32_e32 v11, s2, v8
	v_add_co_ci_u32_e64 v31, null, s1, 0, s0
	s_delay_alu instid0(VALU_DEP_3) | instskip(NEXT) | instid1(VALU_DEP_3)
	v_add_co_u32 v9, vcc_lo, v30, v9
	v_add_nc_u32_e32 v8, s2, v11
	s_delay_alu instid0(VALU_DEP_3) | instskip(SKIP_1) | instid1(VALU_DEP_3)
	v_add_co_ci_u32_e32 v10, vcc_lo, v31, v10, vcc_lo
	v_ashrrev_i32_e32 v12, 31, v11
	v_add_nc_u32_e32 v13, s2, v8
	global_store_b128 v[9:10], v[0:3], off
	v_ashrrev_i32_e32 v9, 31, v8
	v_lshlrev_b64 v[11:12], 1, v[11:12]
	v_ashrrev_i32_e32 v14, 31, v13
	v_add_nc_u32_e32 v10, s2, v13
	s_delay_alu instid0(VALU_DEP_4) | instskip(NEXT) | instid1(VALU_DEP_4)
	v_lshlrev_b64 v[2:3], 1, v[8:9]
	v_add_co_u32 v0, vcc_lo, v30, v11
	s_delay_alu instid0(VALU_DEP_4)
	v_lshlrev_b64 v[8:9], 1, v[13:14]
	v_add_co_ci_u32_e32 v1, vcc_lo, v31, v12, vcc_lo
	v_ashrrev_i32_e32 v11, 31, v10
	v_add_co_u32 v22, vcc_lo, v30, v2
	v_add_nc_u32_e32 v20, s2, v10
	v_add_co_ci_u32_e32 v23, vcc_lo, v31, v3, vcc_lo
	v_add_co_u32 v24, vcc_lo, v30, v8
	global_store_b128 v[0:1], v[4:7], off
	v_add_co_ci_u32_e32 v25, vcc_lo, v31, v9, vcc_lo
	ds_load_b128 v[0:3], v16 offset:256
	ds_load_b128 v[4:7], v16 offset:384
	v_lshlrev_b64 v[26:27], 1, v[10:11]
	ds_load_b128 v[8:11], v16 offset:512
	ds_load_b128 v[12:15], v16 offset:640
	ds_load_b128 v[16:19], v16 offset:768
	v_add_nc_u32_e32 v28, s2, v20
	v_ashrrev_i32_e32 v21, 31, v20
	v_add_co_u32 v26, vcc_lo, v30, v26
	s_delay_alu instid0(VALU_DEP_3) | instskip(NEXT) | instid1(VALU_DEP_3)
	v_ashrrev_i32_e32 v29, 31, v28
	v_lshlrev_b64 v[20:21], 1, v[20:21]
	v_add_co_ci_u32_e32 v27, vcc_lo, v31, v27, vcc_lo
	s_delay_alu instid0(VALU_DEP_3) | instskip(NEXT) | instid1(VALU_DEP_3)
	v_lshlrev_b64 v[28:29], 1, v[28:29]
	v_add_co_u32 v20, vcc_lo, v30, v20
	s_delay_alu instid0(VALU_DEP_4) | instskip(NEXT) | instid1(VALU_DEP_3)
	v_add_co_ci_u32_e32 v21, vcc_lo, v31, v21, vcc_lo
	v_add_co_u32 v28, vcc_lo, v30, v28
	s_delay_alu instid0(VALU_DEP_4)
	v_add_co_ci_u32_e32 v29, vcc_lo, v31, v29, vcc_lo
	s_waitcnt lgkmcnt(4)
	global_store_b128 v[22:23], v[0:3], off
	s_waitcnt lgkmcnt(3)
	global_store_b128 v[24:25], v[4:7], off
	;; [unrolled: 2-line block ×5, first 2 shown]
	s_nop 0
	s_sendmsg sendmsg(MSG_DEALLOC_VGPRS)
	s_endpgm
	.section	.rodata,"a",@progbits
	.p2align	6, 0x0
	.amdhsa_kernel _Z39paged_attention_ll4mi_QKV_mfma16_kernelI14__hip_bfloat16hLN4vllm18Fp8KVCacheDataTypeE1EhLi32ELi128ELi256ELb1ELi14EL8MFMAType1EEvPKT_PKT0_S9_ifPKiSB_SB_iPKfiiiPfSE_PS4_PT2_iSD_SD_
		.amdhsa_group_segment_fixed_size 17472
		.amdhsa_private_segment_fixed_size 0
		.amdhsa_kernarg_size 400
		.amdhsa_user_sgpr_count 13
		.amdhsa_user_sgpr_dispatch_ptr 0
		.amdhsa_user_sgpr_queue_ptr 0
		.amdhsa_user_sgpr_kernarg_segment_ptr 1
		.amdhsa_user_sgpr_dispatch_id 0
		.amdhsa_user_sgpr_private_segment_size 0
		.amdhsa_wavefront_size32 1
		.amdhsa_uses_dynamic_stack 0
		.amdhsa_enable_private_segment 0
		.amdhsa_system_sgpr_workgroup_id_x 1
		.amdhsa_system_sgpr_workgroup_id_y 1
		.amdhsa_system_sgpr_workgroup_id_z 1
		.amdhsa_system_sgpr_workgroup_info 0
		.amdhsa_system_vgpr_workitem_id 0
		.amdhsa_next_free_vgpr 140
		.amdhsa_next_free_sgpr 36
		.amdhsa_reserve_vcc 1
		.amdhsa_float_round_mode_32 0
		.amdhsa_float_round_mode_16_64 0
		.amdhsa_float_denorm_mode_32 3
		.amdhsa_float_denorm_mode_16_64 3
		.amdhsa_dx10_clamp 1
		.amdhsa_ieee_mode 1
		.amdhsa_fp16_overflow 0
		.amdhsa_workgroup_processor_mode 1
		.amdhsa_memory_ordered 1
		.amdhsa_forward_progress 0
		.amdhsa_shared_vgpr_count 0
		.amdhsa_exception_fp_ieee_invalid_op 0
		.amdhsa_exception_fp_denorm_src 0
		.amdhsa_exception_fp_ieee_div_zero 0
		.amdhsa_exception_fp_ieee_overflow 0
		.amdhsa_exception_fp_ieee_underflow 0
		.amdhsa_exception_fp_ieee_inexact 0
		.amdhsa_exception_int_div_zero 0
	.end_amdhsa_kernel
	.section	.text._Z39paged_attention_ll4mi_QKV_mfma16_kernelI14__hip_bfloat16hLN4vllm18Fp8KVCacheDataTypeE1EhLi32ELi128ELi256ELb1ELi14EL8MFMAType1EEvPKT_PKT0_S9_ifPKiSB_SB_iPKfiiiPfSE_PS4_PT2_iSD_SD_,"axG",@progbits,_Z39paged_attention_ll4mi_QKV_mfma16_kernelI14__hip_bfloat16hLN4vllm18Fp8KVCacheDataTypeE1EhLi32ELi128ELi256ELb1ELi14EL8MFMAType1EEvPKT_PKT0_S9_ifPKiSB_SB_iPKfiiiPfSE_PS4_PT2_iSD_SD_,comdat
.Lfunc_end1599:
	.size	_Z39paged_attention_ll4mi_QKV_mfma16_kernelI14__hip_bfloat16hLN4vllm18Fp8KVCacheDataTypeE1EhLi32ELi128ELi256ELb1ELi14EL8MFMAType1EEvPKT_PKT0_S9_ifPKiSB_SB_iPKfiiiPfSE_PS4_PT2_iSD_SD_, .Lfunc_end1599-_Z39paged_attention_ll4mi_QKV_mfma16_kernelI14__hip_bfloat16hLN4vllm18Fp8KVCacheDataTypeE1EhLi32ELi128ELi256ELb1ELi14EL8MFMAType1EEvPKT_PKT0_S9_ifPKiSB_SB_iPKfiiiPfSE_PS4_PT2_iSD_SD_
                                        ; -- End function
	.section	.AMDGPU.csdata,"",@progbits
; Kernel info:
; codeLenInByte = 9052
; NumSgprs: 38
; NumVgprs: 140
; ScratchSize: 0
; MemoryBound: 0
; FloatMode: 240
; IeeeMode: 1
; LDSByteSize: 17472 bytes/workgroup (compile time only)
; SGPRBlocks: 4
; VGPRBlocks: 17
; NumSGPRsForWavesPerEU: 38
; NumVGPRsForWavesPerEU: 140
; Occupancy: 10
; WaveLimiterHint : 1
; COMPUTE_PGM_RSRC2:SCRATCH_EN: 0
; COMPUTE_PGM_RSRC2:USER_SGPR: 13
; COMPUTE_PGM_RSRC2:TRAP_HANDLER: 0
; COMPUTE_PGM_RSRC2:TGID_X_EN: 1
; COMPUTE_PGM_RSRC2:TGID_Y_EN: 1
; COMPUTE_PGM_RSRC2:TGID_Z_EN: 1
; COMPUTE_PGM_RSRC2:TIDIG_COMP_CNT: 0
	.section	.text._Z39paged_attention_ll4mi_QKV_mfma16_kernelI14__hip_bfloat16hLN4vllm18Fp8KVCacheDataTypeE1EhLi32ELi128ELi256ELb1ELi15EL8MFMAType1EEvPKT_PKT0_S9_ifPKiSB_SB_iPKfiiiPfSE_PS4_PT2_iSD_SD_,"axG",@progbits,_Z39paged_attention_ll4mi_QKV_mfma16_kernelI14__hip_bfloat16hLN4vllm18Fp8KVCacheDataTypeE1EhLi32ELi128ELi256ELb1ELi15EL8MFMAType1EEvPKT_PKT0_S9_ifPKiSB_SB_iPKfiiiPfSE_PS4_PT2_iSD_SD_,comdat
	.protected	_Z39paged_attention_ll4mi_QKV_mfma16_kernelI14__hip_bfloat16hLN4vllm18Fp8KVCacheDataTypeE1EhLi32ELi128ELi256ELb1ELi15EL8MFMAType1EEvPKT_PKT0_S9_ifPKiSB_SB_iPKfiiiPfSE_PS4_PT2_iSD_SD_ ; -- Begin function _Z39paged_attention_ll4mi_QKV_mfma16_kernelI14__hip_bfloat16hLN4vllm18Fp8KVCacheDataTypeE1EhLi32ELi128ELi256ELb1ELi15EL8MFMAType1EEvPKT_PKT0_S9_ifPKiSB_SB_iPKfiiiPfSE_PS4_PT2_iSD_SD_
	.globl	_Z39paged_attention_ll4mi_QKV_mfma16_kernelI14__hip_bfloat16hLN4vllm18Fp8KVCacheDataTypeE1EhLi32ELi128ELi256ELb1ELi15EL8MFMAType1EEvPKT_PKT0_S9_ifPKiSB_SB_iPKfiiiPfSE_PS4_PT2_iSD_SD_
	.p2align	8
	.type	_Z39paged_attention_ll4mi_QKV_mfma16_kernelI14__hip_bfloat16hLN4vllm18Fp8KVCacheDataTypeE1EhLi32ELi128ELi256ELb1ELi15EL8MFMAType1EEvPKT_PKT0_S9_ifPKiSB_SB_iPKfiiiPfSE_PS4_PT2_iSD_SD_,@function
_Z39paged_attention_ll4mi_QKV_mfma16_kernelI14__hip_bfloat16hLN4vllm18Fp8KVCacheDataTypeE1EhLi32ELi128ELi256ELb1ELi15EL8MFMAType1EEvPKT_PKT0_S9_ifPKiSB_SB_iPKfiiiPfSE_PS4_PT2_iSD_SD_: ; @_Z39paged_attention_ll4mi_QKV_mfma16_kernelI14__hip_bfloat16hLN4vllm18Fp8KVCacheDataTypeE1EhLi32ELi128ELi256ELb1ELi15EL8MFMAType1EEvPKT_PKT0_S9_ifPKiSB_SB_iPKfiiiPfSE_PS4_PT2_iSD_SD_
; %bb.0:
	s_load_b64 s[4:5], s[0:1], 0x30
	s_mov_b32 s30, s13
	s_waitcnt lgkmcnt(0)
	s_cmp_lg_u64 s[4:5], 0
	s_cselect_b32 s13, -1, 0
	s_ashr_i32 s31, s30, 31
	s_cmp_eq_u64 s[4:5], 0
	s_cbranch_scc1 .LBB1600_3
; %bb.1:
	s_lshl_b64 s[2:3], s[30:31], 2
	s_delay_alu instid0(SALU_CYCLE_1) | instskip(SKIP_4) | instid1(SALU_CYCLE_1)
	s_add_u32 s2, s4, s2
	s_addc_u32 s3, s5, s3
	s_load_b64 s[2:3], s[2:3], 0x0
	s_waitcnt lgkmcnt(0)
	s_sub_i32 s2, s3, s2
	s_cmp_eq_u32 s2, 1
	s_cselect_b32 s2, -1, 0
	s_delay_alu instid0(SALU_CYCLE_1)
	s_and_not1_b32 vcc_lo, exec_lo, s2
	s_cbranch_vccz .LBB1600_4
.LBB1600_2:
	s_nop 0
	s_sendmsg sendmsg(MSG_DEALLOC_VGPRS)
	s_endpgm
.LBB1600_3:
.LBB1600_4:
	s_load_b64 s[2:3], s[0:1], 0x28
	s_lshl_b64 s[6:7], s[30:31], 2
	s_waitcnt lgkmcnt(0)
	s_add_u32 s2, s2, s6
	s_addc_u32 s3, s3, s7
	s_lshl_b32 s12, s14, 8
	s_load_b32 s17, s[2:3], 0x0
	s_waitcnt lgkmcnt(0)
	s_cmp_ge_i32 s12, s17
	s_cbranch_scc1 .LBB1600_2
; %bb.5:
	s_clause 0x1
	s_load_b128 s[8:11], s[0:1], 0x8
	s_load_b64 s[2:3], s[0:1], 0x20
	s_and_not1_b32 vcc_lo, exec_lo, s13
	s_cbranch_vccnz .LBB1600_7
; %bb.6:
	s_add_u32 s4, s4, s6
	s_addc_u32 s5, s5, s7
	s_load_b32 s13, s[4:5], 0x0
	s_branch .LBB1600_8
.LBB1600_7:
	s_mov_b32 s13, s30
.LBB1600_8:
	s_load_b128 s[4:7], s[0:1], 0x48
	v_and_b32_e32 v65, 15, v0
	v_lshrrev_b32_e32 v66, 5, v0
	v_bfe_u32 v74, v0, 4, 1
	v_and_b32_e32 v67, 31, v0
	v_and_b32_e32 v75, 1, v0
	v_lshlrev_b32_e32 v2, 3, v65
	s_mul_i32 s31, s15, 15
	v_lshl_or_b32 v1, v66, 1, v74
	s_waitcnt lgkmcnt(0)
	s_mov_b32 s7, exec_lo
	v_lshlrev_b32_e32 v73, 1, v2
	s_delay_alu instid0(VALU_DEP_2)
	v_cmpx_gt_u32_e32 15, v1
	s_cbranch_execz .LBB1600_10
; %bb.9:
	s_load_b64 s[18:19], s[0:1], 0x0
	v_add_lshl_u32 v2, v1, s31, 7
	s_mul_hi_i32 s21, s13, s4
	s_mul_i32 s20, s13, s4
	v_lshlrev_b32_e32 v6, 10, v65
	s_lshl_b64 s[20:21], s[20:21], 1
	v_ashrrev_i32_e32 v3, 31, v2
	v_lshlrev_b32_e32 v1, 6, v1
	v_lshlrev_b32_e32 v7, 10, v75
	v_and_b32_e32 v6, 0x3800, v6
	s_delay_alu instid0(VALU_DEP_4) | instskip(NEXT) | instid1(VALU_DEP_2)
	v_lshlrev_b64 v[2:3], 1, v[2:3]
	v_or3_b32 v1, v6, v7, v1
	s_waitcnt lgkmcnt(0)
	s_add_u32 s4, s18, s20
	s_addc_u32 s13, s19, s21
	s_delay_alu instid0(VALU_DEP_2) | instskip(SKIP_1) | instid1(VALU_DEP_2)
	v_add_co_u32 v2, vcc_lo, s4, v2
	v_add_co_ci_u32_e32 v3, vcc_lo, s13, v3, vcc_lo
	v_add_co_u32 v2, vcc_lo, v2, v73
	s_delay_alu instid0(VALU_DEP_2)
	v_add_co_ci_u32_e32 v3, vcc_lo, 0, v3, vcc_lo
	global_load_b128 v[2:5], v[2:3], off
	s_waitcnt vmcnt(0)
	ds_store_b128 v1, v[2:5]
.LBB1600_10:
	s_or_b32 exec_lo, exec_lo, s7
	v_and_b32_e32 v1, 0xef, v0
	s_add_i32 s4, s17, 31
	s_clause 0x1
	s_load_b32 s7, s[0:1], 0x38
	s_load_b32 s18, s[0:1], 0x1c
	s_ashr_i32 s13, s4, 31
	v_add_nc_u32_e32 v1, s12, v1
	s_lshr_b32 s13, s13, 27
	s_waitcnt lgkmcnt(0)
	s_add_i32 s4, s4, s13
	s_barrier
	v_ashrrev_i32_e32 v2, 31, v1
	v_or_b32_e32 v3, 16, v1
	s_ashr_i32 s4, s4, 5
	v_cmp_gt_i32_e32 vcc_lo, s17, v1
	s_add_i32 s4, s4, -1
	v_lshrrev_b32_e32 v2, 27, v2
	buffer_gl0_inv
	s_mul_i32 s15, s15, s6
	v_add_nc_u32_e32 v4, v1, v2
	s_mul_i32 s20, s30, s7
	s_delay_alu instid0(SALU_CYCLE_1) | instskip(NEXT) | instid1(VALU_DEP_1)
	s_ashr_i32 s21, s20, 31
	v_ashrrev_i32_e32 v4, 5, v4
	v_add_nc_u32_e32 v2, v3, v2
	s_lshl_b64 s[20:21], s[20:21], 2
	s_delay_alu instid0(SALU_CYCLE_1) | instskip(NEXT) | instid1(VALU_DEP_2)
	s_add_u32 s13, s2, s20
	v_cndmask_b32_e32 v1, s4, v4, vcc_lo
	s_delay_alu instid0(VALU_DEP_2)
	v_ashrrev_i32_e32 v2, 5, v2
	v_cmp_gt_i32_e32 vcc_lo, s17, v3
	s_addc_u32 s16, s3, s21
	s_ashr_i32 s19, s15, 31
	s_add_u32 s2, s8, s15
	s_addc_u32 s3, s9, s19
	v_cndmask_b32_e32 v3, s4, v2, vcc_lo
	v_ashrrev_i32_e32 v2, 31, v1
	s_lshl_b32 s6, s14, 3
	s_delay_alu instid0(SALU_CYCLE_1) | instskip(NEXT) | instid1(VALU_DEP_2)
	s_ashr_i32 s7, s6, 31
	v_ashrrev_i32_e32 v4, 31, v3
	s_delay_alu instid0(VALU_DEP_2) | instskip(SKIP_1) | instid1(SALU_CYCLE_1)
	v_lshlrev_b64 v[1:2], 2, v[1:2]
	s_lshl_b64 s[6:7], s[6:7], 2
	s_add_u32 s6, s13, s6
	s_delay_alu instid0(VALU_DEP_2) | instskip(SKIP_1) | instid1(VALU_DEP_2)
	v_lshlrev_b64 v[3:4], 2, v[3:4]
	s_addc_u32 s7, s16, s7
	v_add_co_u32 v1, vcc_lo, s13, v1
	v_add_co_ci_u32_e32 v2, vcc_lo, s16, v2, vcc_lo
	s_delay_alu instid0(VALU_DEP_3) | instskip(NEXT) | instid1(VALU_DEP_4)
	v_add_co_u32 v3, vcc_lo, s13, v3
	v_add_co_ci_u32_e32 v4, vcc_lo, s16, v4, vcc_lo
	s_clause 0x1
	global_load_b32 v5, v[1:2], off
	global_load_b32 v6, v[3:4], off
	s_or_b32 s8, s12, 32
	s_delay_alu instid0(SALU_CYCLE_1) | instskip(SKIP_2) | instid1(SALU_CYCLE_1)
	s_ashr_i32 s9, s8, 5
	s_cmp_lt_i32 s8, s17
	s_cselect_b32 s8, s9, s4
	s_ashr_i32 s9, s8, 31
	s_delay_alu instid0(SALU_CYCLE_1) | instskip(NEXT) | instid1(SALU_CYCLE_1)
	s_lshl_b64 s[8:9], s[8:9], 2
	s_add_u32 s8, s13, s8
	s_addc_u32 s9, s16, s9
	s_or_b32 s20, s12, 64
	s_delay_alu instid0(SALU_CYCLE_1) | instskip(SKIP_2) | instid1(SALU_CYCLE_1)
	s_ashr_i32 s21, s20, 5
	s_cmp_lt_i32 s20, s17
	s_cselect_b32 s20, s21, s4
	s_ashr_i32 s21, s20, 31
	s_delay_alu instid0(SALU_CYCLE_1) | instskip(NEXT) | instid1(SALU_CYCLE_1)
	s_lshl_b64 s[20:21], s[20:21], 2
	s_add_u32 s20, s13, s20
	s_addc_u32 s21, s16, s21
	;; [unrolled: 10-line block ×5, first 2 shown]
	s_clause 0x5
	s_load_b32 s28, s[6:7], 0x0
	s_load_b32 s8, s[8:9], 0x0
	;; [unrolled: 1-line block ×6, first 2 shown]
	s_mov_b32 s20, 0
	s_delay_alu instid0(SALU_CYCLE_1)
	s_mov_b32 s21, s20
	s_mov_b32 s22, s20
	;; [unrolled: 1-line block ×7, first 2 shown]
	s_delay_alu instid0(SALU_CYCLE_1)
	v_dual_mov_b32 v107, s27 :: v_dual_mov_b32 v100, s20
	v_mov_b32_e32 v106, s26
	v_dual_mov_b32 v104, s24 :: v_dual_mov_b32 v103, s23
	v_dual_mov_b32 v101, s21 :: v_dual_mov_b32 v102, s22
	s_waitcnt vmcnt(1)
	v_mad_i64_i32 v[1:2], null, v5, s5, s[2:3]
	v_lshlrev_b32_e32 v5, 4, v65
	s_waitcnt vmcnt(0)
	v_mad_i64_i32 v[3:4], null, v6, s5, s[2:3]
	s_or_b32 s2, s12, 0xc0
	s_delay_alu instid0(SALU_CYCLE_1) | instskip(NEXT) | instid1(VALU_DEP_3)
	s_ashr_i32 s3, s2, 5
	v_add_co_u32 v33, vcc_lo, v1, v5
	s_delay_alu instid0(VALU_DEP_4) | instskip(NEXT) | instid1(VALU_DEP_3)
	v_add_co_ci_u32_e32 v34, vcc_lo, 0, v2, vcc_lo
	v_add_co_u32 v35, vcc_lo, v3, v5
	s_delay_alu instid0(VALU_DEP_4)
	v_add_co_ci_u32_e32 v36, vcc_lo, 0, v4, vcc_lo
	s_clause 0xf
	global_load_b128 v[1:4], v[33:34], off
	global_load_b128 v[5:8], v[33:34], off offset:512
	global_load_b128 v[9:12], v[35:36], off offset:256
	;; [unrolled: 1-line block ×15, first 2 shown]
	s_cmp_lt_i32 s2, s17
	v_cmp_ne_u32_e32 vcc_lo, 15, v65
	s_cselect_b32 s2, s3, s4
	v_lshlrev_b32_e32 v34, 5, v65
	s_ashr_i32 s3, s2, 31
	s_delay_alu instid0(SALU_CYCLE_1) | instskip(SKIP_4) | instid1(VALU_DEP_1)
	s_lshl_b64 s[2:3], s[2:3], 2
	v_cndmask_b32_e32 v33, 0, v65, vcc_lo
	s_add_u32 s2, s13, s2
	s_addc_u32 s3, s16, s3
	s_or_b32 s6, s12, 0xe0
	v_dual_mov_b32 v105, s25 :: v_dual_lshlrev_b32 v72, 6, v33
	s_ashr_i32 s7, s6, 5
	s_cmp_lt_i32 s6, s17
	v_lshl_or_b32 v41, v66, 9, v34
	s_cselect_b32 s6, s7, s4
	ds_load_b128 v[33:36], v72
	ds_load_b128 v[37:40], v72 offset:1024
	s_ashr_i32 s7, s6, 31
	ds_load_b128 v[108:111], v72 offset:2048
	ds_load_b128 v[112:115], v72 offset:3072
	s_lshl_b64 s[6:7], s[6:7], 2
	s_load_b32 s4, s[2:3], 0x0
	s_add_u32 s2, s13, s6
	s_addc_u32 s3, s16, s7
	ds_load_b128 v[116:119], v72 offset:4096
	ds_load_b128 v[120:123], v72 offset:5120
	s_load_b32 s2, s[2:3], 0x0
	s_add_u32 s6, s10, s15
	s_addc_u32 s7, s11, s19
	v_add_co_u32 v68, s6, s6, v41
	s_delay_alu instid0(VALU_DEP_1) | instskip(SKIP_1) | instid1(VALU_DEP_1)
	v_add_co_ci_u32_e64 v69, null, s7, 0, s6
	s_waitcnt lgkmcnt(0)
	v_mad_i64_i32 v[41:42], null, s28, s5, v[68:69]
	v_mad_i64_i32 v[70:71], null, s9, s5, v[68:69]
	;; [unrolled: 1-line block ×7, first 2 shown]
	s_clause 0x3
	global_load_b128 v[49:52], v[41:42], off
	global_load_b128 v[53:56], v[41:42], off offset:16
	global_load_b128 v[41:44], v[45:46], off
	global_load_b128 v[45:48], v[45:46], off offset:16
	s_waitcnt vmcnt(18)
	v_wmma_f32_16x16x16_bf16 v[124:131], v[1:8], v[33:40], v[100:107]
	s_waitcnt vmcnt(16)
	v_wmma_f32_16x16x16_bf16 v[100:107], v[9:16], v[33:40], v[100:107]
	s_clause 0x1
	global_load_b128 v[33:36], v[70:71], off
	global_load_b128 v[37:40], v[70:71], off offset:16
	v_mad_i64_i32 v[70:71], null, s2, s5, v[68:69]
	s_waitcnt vmcnt(16)
	v_wmma_f32_16x16x16_bf16 v[124:131], v[17:24], v[108:115], v[124:131]
	s_waitcnt vmcnt(14)
	v_wmma_f32_16x16x16_bf16 v[100:107], v[25:32], v[108:115], v[100:107]
	s_clause 0x7
	global_load_b128 v[25:28], v[132:133], off
	global_load_b128 v[29:32], v[132:133], off offset:16
	global_load_b128 v[1:4], v[134:135], off
	global_load_b128 v[5:8], v[134:135], off offset:16
	;; [unrolled: 2-line block ×4, first 2 shown]
	s_waitcnt vmcnt(20)
	v_wmma_f32_16x16x16_bf16 v[124:131], v[57:64], v[116:123], v[124:131]
	s_clause 0x1
	global_load_b128 v[57:60], v[70:71], off
	global_load_b128 v[61:64], v[70:71], off offset:16
	s_waitcnt vmcnt(20)
	v_wmma_f32_16x16x16_bf16 v[100:107], v[76:83], v[116:123], v[100:107]
	ds_load_b128 v[76:79], v72 offset:6144
	ds_load_b128 v[80:83], v72 offset:7168
	v_and_b32_e32 v68, 0xe0, v0
	v_mbcnt_lo_u32_b32 v69, -1, 0
	s_waitcnt vmcnt(0) lgkmcnt(0)
	s_barrier
	buffer_gl0_inv
	v_add_nc_u32_e32 v68, s12, v68
	v_xor_b32_e32 v70, 16, v69
	s_delay_alu instid0(VALU_DEP_2) | instskip(NEXT) | instid1(VALU_DEP_2)
	v_or_b32_e32 v68, v68, v74
	v_cmp_gt_i32_e32 vcc_lo, 32, v70
	s_delay_alu instid0(VALU_DEP_2)
	v_or_b32_e32 v71, 4, v68
	v_or_b32_e32 v72, 6, v68
	v_cmp_gt_i32_e64 s2, s17, v68
	v_or_b32_e32 v108, 8, v68
	v_wmma_f32_16x16x16_bf16 v[124:131], v[84:91], v[76:83], v[124:131]
	v_cndmask_b32_e32 v69, v69, v70, vcc_lo
	v_or_b32_e32 v70, 2, v68
	v_wmma_f32_16x16x16_bf16 v[100:107], v[92:99], v[76:83], v[100:107]
	v_or_b32_e32 v109, 10, v68
	v_dual_mul_f32 v78, s18, v131 :: v_dual_mul_f32 v83, s18, v126
	v_dual_mul_f32 v92, s18, v125 :: v_dual_mul_f32 v93, s18, v124
	s_delay_alu instid0(VALU_DEP_4) | instskip(SKIP_2) | instid1(VALU_DEP_4)
	v_mul_f32_e32 v94, s18, v107
	v_cmp_gt_i32_e32 vcc_lo, s17, v70
	v_dual_mul_f32 v81, s18, v128 :: v_dual_mul_f32 v82, s18, v127
	v_cndmask_b32_e64 v93, 0xff7fffff, v93, s2
	v_cmp_gt_i32_e64 s3, s17, v71
	v_cndmask_b32_e32 v92, 0xff7fffff, v92, vcc_lo
	v_cmp_gt_i32_e64 s4, s17, v72
	v_or_b32_e32 v84, 12, v68
	v_or_b32_e32 v85, 14, v68
	v_dual_mul_f32 v79, s18, v130 :: v_dual_mul_f32 v80, s18, v129
	v_cndmask_b32_e64 v71, 0xff7fffff, v83, s3
	v_cndmask_b32_e64 v72, 0xff7fffff, v82, s4
	v_max3_f32 v82, v93, 0xff7fffff, v92
	v_cmp_gt_i32_e64 s5, s17, v108
	v_cmp_gt_i32_e64 s6, s17, v109
	v_or_b32_e32 v86, 16, v68
	v_or_b32_e32 v87, 18, v68
	v_max3_f32 v71, v82, v71, v72
	v_cndmask_b32_e64 v81, 0xff7fffff, v81, s5
	v_cndmask_b32_e64 v80, 0xff7fffff, v80, s6
	v_cmp_gt_i32_e64 s7, s17, v84
	v_cmp_gt_i32_e64 s8, s17, v85
	v_or_b32_e32 v88, 20, v68
	v_or_b32_e32 v89, 22, v68
	;; [unrolled: 1-line block ×6, first 2 shown]
	v_dual_mul_f32 v99, s18, v102 :: v_dual_mul_f32 v70, s18, v101
	v_mul_f32_e32 v68, s18, v100
	v_cndmask_b32_e64 v72, 0xff7fffff, v79, s7
	v_cndmask_b32_e64 v78, 0xff7fffff, v78, s8
	v_max3_f32 v71, v71, v81, v80
	v_cmp_gt_i32_e64 s9, s17, v86
	v_cmp_gt_i32_e64 s10, s17, v87
	v_dual_mul_f32 v97, s18, v104 :: v_dual_mul_f32 v98, s18, v103
	s_delay_alu instid0(VALU_DEP_4) | instskip(SKIP_1) | instid1(VALU_DEP_4)
	v_max3_f32 v71, v71, v72, v78
	v_cmp_gt_i32_e64 s11, s17, v88
	v_cndmask_b32_e64 v70, 0xff7fffff, v70, s10
	v_cmp_gt_i32_e64 s12, s17, v89
	v_lshlrev_b32_e32 v89, 2, v69
	v_cndmask_b32_e64 v68, 0xff7fffff, v68, s9
	v_dual_mul_f32 v95, s18, v106 :: v_dual_mul_f32 v96, s18, v105
	v_cndmask_b32_e64 v72, 0xff7fffff, v99, s11
	v_cndmask_b32_e64 v78, 0xff7fffff, v98, s12
	s_delay_alu instid0(VALU_DEP_4)
	v_max3_f32 v68, v71, v68, v70
	v_cmp_gt_i32_e64 s13, s17, v90
	v_cmp_gt_i32_e64 s15, s17, v91
	;; [unrolled: 1-line block ×4, first 2 shown]
	v_max3_f32 v68, v68, v72, v78
	v_cndmask_b32_e64 v70, 0xff7fffff, v97, s13
	v_cndmask_b32_e64 v71, 0xff7fffff, v96, s15
	;; [unrolled: 1-line block ×4, first 2 shown]
	s_delay_alu instid0(VALU_DEP_3) | instskip(NEXT) | instid1(VALU_DEP_1)
	v_max3_f32 v68, v68, v70, v71
	v_max3_f32 v68, v68, v72, v76
	ds_bpermute_b32 v69, v89, v68
	s_waitcnt lgkmcnt(0)
	v_max_f32_e32 v69, v69, v69
	s_delay_alu instid0(VALU_DEP_1) | instskip(NEXT) | instid1(VALU_DEP_1)
	v_max_f32_e32 v68, v68, v69
	v_fma_f32 v71, s18, v126, -v68
	s_delay_alu instid0(VALU_DEP_1)
	v_mul_f32_e32 v71, 0x3fb8aa3b, v71
	v_fma_f32 v69, s18, v124, -v68
	v_fma_f32 v70, s18, v125, -v68
	;; [unrolled: 1-line block ×4, first 2 shown]
	v_exp_f32_e32 v71, v71
	s_delay_alu instid0(VALU_DEP_3) | instskip(SKIP_2) | instid1(VALU_DEP_3)
	v_dual_mul_f32 v69, 0x3fb8aa3b, v69 :: v_dual_mul_f32 v70, 0x3fb8aa3b, v70
	v_fma_f32 v78, s18, v130, -v68
	v_fma_f32 v81, s18, v105, -v68
	v_exp_f32_e32 v69, v69
	s_delay_alu instid0(VALU_DEP_3) | instskip(SKIP_1) | instid1(VALU_DEP_2)
	v_exp_f32_e32 v70, v70
	v_mul_f32_e32 v77, 0x3fb8aa3b, v76
	v_mul_f32_e32 v81, 0x3fb8aa3b, v81
	s_delay_alu instid0(TRANS32_DEP_3) | instskip(SKIP_1) | instid1(VALU_DEP_3)
	v_cndmask_b32_e64 v83, 0, v71, s3
	v_fma_f32 v71, s18, v131, -v68
	v_exp_f32_e32 v81, v81
	s_delay_alu instid0(TRANS32_DEP_3) | instskip(NEXT) | instid1(TRANS32_DEP_2)
	v_cndmask_b32_e64 v80, 0, v69, s2
	v_cndmask_b32_e32 v76, 0, v70, vcc_lo
	v_fma_f32 v69, s18, v129, -v68
	v_mul_f32_e32 v72, 0x3fb8aa3b, v72
	v_exp_f32_e32 v77, v77
	v_dual_add_f32 v70, 0, v80 :: v_dual_mul_f32 v71, 0x3fb8aa3b, v71
	s_delay_alu instid0(VALU_DEP_3) | instskip(NEXT) | instid1(VALU_DEP_3)
	v_mul_f32_e32 v69, 0x3fb8aa3b, v69
	v_exp_f32_e32 v72, v72
	v_cmp_gt_u32_e64 s2, 16, v67
	s_delay_alu instid0(VALU_DEP_3) | instskip(NEXT) | instid1(VALU_DEP_2)
	v_exp_f32_e32 v71, v71
	v_exp_f32_e32 v69, v69
	v_cndmask_b32_e64 v86, 0, v77, s5
	v_fma_f32 v77, s18, v101, -v68
	v_add_f32_e32 v70, v70, v76
	s_delay_alu instid0(TRANS32_DEP_3) | instskip(SKIP_1) | instid1(VALU_DEP_3)
	v_cndmask_b32_e64 v85, 0, v72, s4
	v_fma_f32 v72, s18, v100, -v68
	v_dual_mul_f32 v77, 0x3fb8aa3b, v77 :: v_dual_add_f32 v70, v70, v83
	s_delay_alu instid0(TRANS32_DEP_2) | instskip(SKIP_1) | instid1(TRANS32_DEP_1)
	v_cndmask_b32_e64 v88, 0, v71, s8
	v_fma_f32 v71, s18, v104, -v68
	v_cndmask_b32_e64 v87, 0, v69, s6
	s_delay_alu instid0(VALU_DEP_4) | instskip(NEXT) | instid1(VALU_DEP_2)
	v_exp_f32_e32 v77, v77
	v_dual_add_f32 v70, v70, v85 :: v_dual_mul_f32 v71, 0x3fb8aa3b, v71
	s_delay_alu instid0(VALU_DEP_1) | instskip(SKIP_2) | instid1(VALU_DEP_3)
	v_dual_mul_f32 v72, 0x3fb8aa3b, v72 :: v_dual_add_f32 v69, v70, v86
	v_mul_f32_e32 v78, 0x3fb8aa3b, v78
	v_fma_f32 v70, s18, v102, -v68
	v_exp_f32_e32 v72, v72
	v_exp_f32_e32 v82, v71
	v_add_f32_e32 v69, v69, v87
	v_exp_f32_e32 v78, v78
	v_mul_f32_e32 v70, 0x3fb8aa3b, v70
	s_delay_alu instid0(VALU_DEP_1) | instskip(SKIP_4) | instid1(VALU_DEP_2)
	v_exp_f32_e32 v79, v70
	v_cndmask_b32_e64 v70, 0, v72, s9
	s_waitcnt_depctr 0xfff
	v_cndmask_b32_e64 v84, 0, v78, s7
	v_fma_f32 v78, s18, v103, -v68
	v_add_f32_e32 v69, v69, v84
	v_cndmask_b32_e64 v71, 0, v79, s11
	s_delay_alu instid0(VALU_DEP_2) | instskip(SKIP_2) | instid1(VALU_DEP_1)
	v_add_f32_e32 v72, v69, v88
	v_cndmask_b32_e64 v69, 0, v77, s10
	v_fma_f32 v77, s18, v106, -v68
	v_dual_mul_f32 v77, 0x3fb8aa3b, v77 :: v_dual_add_f32 v72, v72, v70
	v_mul_f32_e32 v78, 0x3fb8aa3b, v78
	s_delay_alu instid0(VALU_DEP_2) | instskip(NEXT) | instid1(VALU_DEP_2)
	v_exp_f32_e32 v90, v77
	v_add_f32_e32 v79, v72, v69
	s_delay_alu instid0(VALU_DEP_2)
	v_exp_f32_e32 v78, v78
	v_cndmask_b32_e64 v77, 0, v82, s13
	s_waitcnt_depctr 0xfff
	v_cndmask_b32_e64 v72, 0, v78, s12
	v_add_f32_e32 v78, v79, v71
	v_fma_f32 v79, s18, v107, -v68
	s_delay_alu instid0(VALU_DEP_1) | instskip(SKIP_1) | instid1(VALU_DEP_2)
	v_dual_add_f32 v82, v78, v72 :: v_dual_mul_f32 v79, 0x3fb8aa3b, v79
	v_cndmask_b32_e64 v78, 0, v81, s15
	v_add_f32_e32 v81, v82, v77
	s_delay_alu instid0(VALU_DEP_3) | instskip(SKIP_1) | instid1(VALU_DEP_2)
	v_exp_f32_e32 v82, v79
	v_cndmask_b32_e64 v79, 0, v90, s16
	v_add_f32_e32 v81, v81, v78
	s_delay_alu instid0(VALU_DEP_1) | instskip(SKIP_2) | instid1(VALU_DEP_1)
	v_add_f32_e32 v90, v81, v79
	s_waitcnt_depctr 0xfff
	v_cndmask_b32_e64 v81, 0, v82, s17
	v_add_f32_e32 v82, v90, v81
	ds_bpermute_b32 v89, v89, v82
	s_and_saveexec_b32 s3, s2
	s_cbranch_execz .LBB1600_12
; %bb.11:
	v_mul_u32_u24_e32 v67, 0x44, v66
	s_delay_alu instid0(VALU_DEP_1) | instskip(SKIP_1) | instid1(VALU_DEP_1)
	v_lshl_add_u32 v67, v65, 2, v67
	s_waitcnt lgkmcnt(0)
	v_dual_add_f32 v82, v82, v89 :: v_dual_add_nc_u32 v67, 0x4000, v67
	ds_store_2addr_b32 v67, v68, v82 offset1:136
.LBB1600_12:
	s_or_b32 exec_lo, exec_lo, s3
	v_lshlrev_b32_e32 v67, 2, v65
	s_waitcnt lgkmcnt(0)
	s_barrier
	buffer_gl0_inv
	v_cmp_eq_u32_e32 vcc_lo, 1, v66
	v_add_nc_u32_e32 v82, 0x4000, v67
	v_cmp_eq_u32_e64 s3, 2, v66
	v_cmp_eq_u32_e64 s5, 7, v66
	ds_load_2addr_b32 v[89:90], v82 offset1:17
	ds_load_2addr_b32 v[91:92], v82 offset0:34 offset1:51
	ds_load_2addr_b32 v[93:94], v82 offset0:68 offset1:85
	;; [unrolled: 1-line block ×4, first 2 shown]
	s_waitcnt lgkmcnt(4)
	v_max3_f32 v67, v89, 0xff7fffff, v90
	s_waitcnt lgkmcnt(3)
	s_delay_alu instid0(VALU_DEP_1) | instskip(SKIP_1) | instid1(VALU_DEP_1)
	v_max3_f32 v67, v67, v91, v92
	s_waitcnt lgkmcnt(2)
	v_max3_f32 v67, v67, v93, v94
	s_waitcnt lgkmcnt(1)
	s_delay_alu instid0(VALU_DEP_1) | instskip(NEXT) | instid1(VALU_DEP_1)
	v_max3_f32 v67, v67, v95, v96
	v_sub_f32_e32 v93, v93, v67
	s_delay_alu instid0(VALU_DEP_1) | instskip(NEXT) | instid1(VALU_DEP_1)
	v_dual_sub_f32 v68, v89, v67 :: v_dual_mul_f32 v103, 0x3fb8aa3b, v93
	v_mul_f32_e32 v68, 0x3fb8aa3b, v68
	s_delay_alu instid0(VALU_DEP_1)
	v_exp_f32_e32 v100, v68
	v_sub_f32_e32 v68, v92, v67
	v_sub_f32_e32 v99, v90, v67
	ds_load_2addr_b32 v[89:90], v82 offset0:170 offset1:187
	v_dual_mul_f32 v102, 0x3fb8aa3b, v68 :: v_dual_mul_f32 v99, 0x3fb8aa3b, v99
	s_waitcnt lgkmcnt(1)
	v_fma_f32 v68, v100, v97, 0
	s_delay_alu instid0(VALU_DEP_2) | instskip(NEXT) | instid1(VALU_DEP_2)
	v_exp_f32_e32 v102, v102
	v_exp_f32_e32 v99, v99
	s_waitcnt_depctr 0xfff
	v_fmac_f32_e32 v68, v99, v98
	v_sub_f32_e32 v91, v91, v67
	s_delay_alu instid0(VALU_DEP_1)
	v_mul_f32_e32 v101, 0x3fb8aa3b, v91
	ds_load_2addr_b32 v[91:92], v82 offset0:204 offset1:221
	v_sub_f32_e32 v97, v94, v67
	ds_load_2addr_b32 v[93:94], v82 offset0:238 offset1:255
	s_waitcnt lgkmcnt(0)
	v_exp_f32_e32 v101, v101
	s_barrier
	buffer_gl0_inv
	v_dual_fmac_f32 v68, v101, v89 :: v_dual_sub_f32 v89, v96, v67
	v_dual_sub_f32 v82, v95, v67 :: v_dual_mul_f32 v95, 0x3fb8aa3b, v97
	v_exp_f32_e32 v97, v103
	s_delay_alu instid0(VALU_DEP_2) | instskip(NEXT) | instid1(VALU_DEP_2)
	v_dual_fmac_f32 v68, v102, v90 :: v_dual_mul_f32 v89, 0x3fb8aa3b, v89
	v_mul_f32_e32 v82, 0x3fb8aa3b, v82
	s_delay_alu instid0(VALU_DEP_3) | instskip(NEXT) | instid1(VALU_DEP_2)
	v_exp_f32_e32 v95, v95
	v_exp_f32_e32 v89, v89
	s_delay_alu instid0(VALU_DEP_1)
	v_exp_f32_e32 v82, v82
	v_fmac_f32_e32 v68, v97, v91
	s_delay_alu instid0(TRANS32_DEP_3) | instid1(VALU_DEP_1)
	v_fmac_f32_e32 v68, v95, v92
	s_waitcnt_depctr 0xfff
	v_fmac_f32_e32 v68, v82, v93
	s_delay_alu instid0(VALU_DEP_1) | instskip(NEXT) | instid1(VALU_DEP_1)
	v_fmac_f32_e32 v68, v89, v94
	v_add_f32_e32 v90, 0x358637bd, v68
	s_delay_alu instid0(VALU_DEP_1) | instskip(NEXT) | instid1(VALU_DEP_1)
	v_div_scale_f32 v91, null, v90, v90, 1.0
	v_rcp_f32_e32 v92, v91
	s_waitcnt_depctr 0xfff
	v_fma_f32 v93, -v91, v92, 1.0
	s_delay_alu instid0(VALU_DEP_1) | instskip(SKIP_1) | instid1(VALU_DEP_2)
	v_dual_fmac_f32 v92, v93, v92 :: v_dual_cndmask_b32 v93, v100, v99
	v_cmp_eq_u32_e32 vcc_lo, 3, v66
	v_cndmask_b32_e64 v93, v93, v101, s3
	v_cmp_eq_u32_e64 s3, 4, v66
	s_delay_alu instid0(VALU_DEP_2) | instskip(SKIP_1) | instid1(VALU_DEP_2)
	v_cndmask_b32_e32 v93, v93, v102, vcc_lo
	v_cmp_eq_u32_e32 vcc_lo, 5, v66
	v_cndmask_b32_e64 v93, v93, v97, s3
	v_cmp_eq_u32_e64 s3, 6, v66
	s_delay_alu instid0(VALU_DEP_2) | instskip(SKIP_1) | instid1(VALU_DEP_1)
	v_cndmask_b32_e32 v93, v93, v95, vcc_lo
	v_div_scale_f32 v94, s4, 1.0, v90, 1.0
	s_mov_b32 vcc_lo, s4
	s_delay_alu instid0(VALU_DEP_2) | instskip(NEXT) | instid1(VALU_DEP_2)
	v_cndmask_b32_e64 v82, v93, v82, s3
	v_mul_f32_e32 v96, v94, v92
	s_mov_b32 s3, exec_lo
	s_delay_alu instid0(VALU_DEP_2) | instskip(NEXT) | instid1(VALU_DEP_2)
	v_cndmask_b32_e64 v82, v82, v89, s5
	v_fma_f32 v98, -v91, v96, v94
	s_delay_alu instid0(VALU_DEP_1) | instskip(NEXT) | instid1(VALU_DEP_1)
	v_fmac_f32_e32 v96, v98, v92
	v_fma_f32 v91, -v91, v96, v94
	s_delay_alu instid0(VALU_DEP_1) | instskip(NEXT) | instid1(VALU_DEP_1)
	v_div_fmas_f32 v91, v91, v92, v96
	v_div_fixup_f32 v90, v91, v90, 1.0
	s_delay_alu instid0(VALU_DEP_1) | instskip(NEXT) | instid1(VALU_DEP_1)
	v_mul_f32_e32 v82, v82, v90
	v_mul_f32_e32 v87, v82, v87
	;; [unrolled: 1-line block ×7, first 2 shown]
	v_dual_mul_f32 v86, v82, v83 :: v_dual_and_b32 v91, 0x7f800000, v90
	v_mul_f32_e32 v85, v82, v76
                                        ; implicit-def: $vgpr76
	s_delay_alu instid0(VALU_DEP_2)
	v_cmpx_ne_u32_e32 0x7f800000, v91
	s_xor_b32 s3, exec_lo, s3
; %bb.13:
	v_bfe_u32 v76, v90, 16, 1
	s_delay_alu instid0(VALU_DEP_1)
	v_add3_u32 v76, v90, v76, 0x7fff
                                        ; implicit-def: $vgpr90
; %bb.14:
	s_and_not1_saveexec_b32 s3, s3
; %bb.15:
	v_and_b32_e32 v76, 0xffff, v90
	v_or_b32_e32 v83, 0x10000, v90
	s_delay_alu instid0(VALU_DEP_2) | instskip(NEXT) | instid1(VALU_DEP_2)
	v_cmp_eq_u32_e32 vcc_lo, 0, v76
	v_cndmask_b32_e32 v76, v83, v90, vcc_lo
; %bb.16:
	s_or_b32 exec_lo, exec_lo, s3
	v_and_b32_e32 v83, 0x7f800000, v85
	s_delay_alu instid0(VALU_DEP_1) | instskip(SKIP_1) | instid1(SALU_CYCLE_1)
	v_cmp_ne_u32_e32 vcc_lo, 0x7f800000, v83
                                        ; implicit-def: $vgpr83
	s_and_saveexec_b32 s3, vcc_lo
	s_xor_b32 s3, exec_lo, s3
; %bb.17:
	v_bfe_u32 v83, v85, 16, 1
	s_delay_alu instid0(VALU_DEP_1)
	v_add3_u32 v83, v85, v83, 0x7fff
                                        ; implicit-def: $vgpr85
; %bb.18:
	s_and_not1_saveexec_b32 s3, s3
; %bb.19:
	v_and_b32_e32 v83, 0xffff, v85
	v_or_b32_e32 v90, 0x10000, v85
	s_delay_alu instid0(VALU_DEP_2) | instskip(NEXT) | instid1(VALU_DEP_2)
	v_cmp_eq_u32_e32 vcc_lo, 0, v83
	v_cndmask_b32_e32 v83, v90, v85, vcc_lo
; %bb.20:
	s_or_b32 exec_lo, exec_lo, s3
	v_and_b32_e32 v85, 0x7f800000, v86
	s_delay_alu instid0(VALU_DEP_1) | instskip(SKIP_1) | instid1(SALU_CYCLE_1)
	v_cmp_ne_u32_e32 vcc_lo, 0x7f800000, v85
                                        ; implicit-def: $vgpr85
	s_and_saveexec_b32 s3, vcc_lo
	s_xor_b32 s3, exec_lo, s3
; %bb.21:
	v_bfe_u32 v85, v86, 16, 1
	s_delay_alu instid0(VALU_DEP_1)
	v_add3_u32 v85, v86, v85, 0x7fff
                                        ; implicit-def: $vgpr86
; %bb.22:
	s_and_not1_saveexec_b32 s3, s3
; %bb.23:
	v_and_b32_e32 v85, 0xffff, v86
	v_or_b32_e32 v90, 0x10000, v86
	s_delay_alu instid0(VALU_DEP_2) | instskip(NEXT) | instid1(VALU_DEP_2)
	v_cmp_eq_u32_e32 vcc_lo, 0, v85
	v_cndmask_b32_e32 v85, v90, v86, vcc_lo
; %bb.24:
	s_or_b32 exec_lo, exec_lo, s3
	v_and_b32_e32 v86, 0x7f800000, v89
	s_delay_alu instid0(VALU_DEP_1) | instskip(SKIP_1) | instid1(SALU_CYCLE_1)
	v_cmp_ne_u32_e32 vcc_lo, 0x7f800000, v86
                                        ; implicit-def: $vgpr86
	s_and_saveexec_b32 s3, vcc_lo
	s_xor_b32 s3, exec_lo, s3
; %bb.25:
	v_bfe_u32 v86, v89, 16, 1
	s_delay_alu instid0(VALU_DEP_1)
	v_add3_u32 v86, v89, v86, 0x7fff
                                        ; implicit-def: $vgpr89
; %bb.26:
	s_and_not1_saveexec_b32 s3, s3
; %bb.27:
	v_and_b32_e32 v86, 0xffff, v89
	v_or_b32_e32 v90, 0x10000, v89
	s_delay_alu instid0(VALU_DEP_2) | instskip(NEXT) | instid1(VALU_DEP_2)
	v_cmp_eq_u32_e32 vcc_lo, 0, v86
	v_cndmask_b32_e32 v86, v90, v89, vcc_lo
; %bb.28:
	s_or_b32 exec_lo, exec_lo, s3
	v_and_b32_e32 v89, 0x7f800000, v88
	s_delay_alu instid0(VALU_DEP_1) | instskip(SKIP_1) | instid1(SALU_CYCLE_1)
	v_cmp_ne_u32_e32 vcc_lo, 0x7f800000, v89
                                        ; implicit-def: $vgpr89
	s_and_saveexec_b32 s3, vcc_lo
	s_xor_b32 s3, exec_lo, s3
; %bb.29:
	v_bfe_u32 v89, v88, 16, 1
	s_delay_alu instid0(VALU_DEP_1)
	v_add3_u32 v89, v88, v89, 0x7fff
                                        ; implicit-def: $vgpr88
; %bb.30:
	s_and_not1_saveexec_b32 s3, s3
; %bb.31:
	v_and_b32_e32 v89, 0xffff, v88
	v_or_b32_e32 v90, 0x10000, v88
	s_delay_alu instid0(VALU_DEP_2) | instskip(NEXT) | instid1(VALU_DEP_2)
	v_cmp_eq_u32_e32 vcc_lo, 0, v89
	v_cndmask_b32_e32 v89, v90, v88, vcc_lo
; %bb.32:
	s_or_b32 exec_lo, exec_lo, s3
	v_and_b32_e32 v88, 0x7f800000, v87
	s_delay_alu instid0(VALU_DEP_1) | instskip(SKIP_1) | instid1(SALU_CYCLE_1)
	v_cmp_ne_u32_e32 vcc_lo, 0x7f800000, v88
                                        ; implicit-def: $vgpr88
	s_and_saveexec_b32 s3, vcc_lo
	s_xor_b32 s3, exec_lo, s3
; %bb.33:
	v_bfe_u32 v88, v87, 16, 1
	s_delay_alu instid0(VALU_DEP_1)
	v_add3_u32 v88, v87, v88, 0x7fff
                                        ; implicit-def: $vgpr87
; %bb.34:
	s_and_not1_saveexec_b32 s3, s3
; %bb.35:
	v_and_b32_e32 v88, 0xffff, v87
	v_or_b32_e32 v90, 0x10000, v87
	s_delay_alu instid0(VALU_DEP_2) | instskip(NEXT) | instid1(VALU_DEP_2)
	v_cmp_eq_u32_e32 vcc_lo, 0, v88
	v_cndmask_b32_e32 v88, v90, v87, vcc_lo
; %bb.36:
	s_or_b32 exec_lo, exec_lo, s3
	v_and_b32_e32 v87, 0x7f800000, v84
	s_delay_alu instid0(VALU_DEP_1) | instskip(SKIP_1) | instid1(SALU_CYCLE_1)
	v_cmp_ne_u32_e32 vcc_lo, 0x7f800000, v87
                                        ; implicit-def: $vgpr87
	s_and_saveexec_b32 s3, vcc_lo
	s_xor_b32 s3, exec_lo, s3
; %bb.37:
	v_bfe_u32 v87, v84, 16, 1
	s_delay_alu instid0(VALU_DEP_1)
	v_add3_u32 v87, v84, v87, 0x7fff
                                        ; implicit-def: $vgpr84
; %bb.38:
	s_and_not1_saveexec_b32 s3, s3
; %bb.39:
	v_and_b32_e32 v87, 0xffff, v84
	v_or_b32_e32 v90, 0x10000, v84
	s_delay_alu instid0(VALU_DEP_2) | instskip(NEXT) | instid1(VALU_DEP_2)
	v_cmp_eq_u32_e32 vcc_lo, 0, v87
	v_cndmask_b32_e32 v87, v90, v84, vcc_lo
; %bb.40:
	s_or_b32 exec_lo, exec_lo, s3
	v_and_b32_e32 v84, 0x7f800000, v80
	s_delay_alu instid0(VALU_DEP_1) | instskip(SKIP_1) | instid1(SALU_CYCLE_1)
	v_cmp_ne_u32_e32 vcc_lo, 0x7f800000, v84
                                        ; implicit-def: $vgpr84
	s_and_saveexec_b32 s3, vcc_lo
	s_xor_b32 s3, exec_lo, s3
; %bb.41:
	v_bfe_u32 v84, v80, 16, 1
	s_delay_alu instid0(VALU_DEP_1)
	v_add3_u32 v84, v80, v84, 0x7fff
                                        ; implicit-def: $vgpr80
; %bb.42:
	s_and_not1_saveexec_b32 s3, s3
; %bb.43:
	v_and_b32_e32 v84, 0xffff, v80
	v_or_b32_e32 v90, 0x10000, v80
	s_delay_alu instid0(VALU_DEP_2) | instskip(NEXT) | instid1(VALU_DEP_2)
	v_cmp_eq_u32_e32 vcc_lo, 0, v84
	v_cndmask_b32_e32 v84, v90, v80, vcc_lo
; %bb.44:
	s_or_b32 exec_lo, exec_lo, s3
	s_load_b64 s[34:35], s[0:1], 0x94
	v_lshlrev_b32_e32 v91, 4, v74
	s_delay_alu instid0(VALU_DEP_2)
	v_perm_b32 v90, v84, v87, 0x7060302
	v_dual_mul_f32 v79, v82, v79 :: v_dual_lshlrev_b32 v80, 6, v65
	v_dual_mul_f32 v77, v82, v77 :: v_dual_lshlrev_b32 v92, 11, v66
	v_mul_f32_e32 v84, v82, v70
	v_perm_b32 v89, v88, v89, 0x7060302
	v_perm_b32 v88, v86, v85, 0x7060302
	;; [unrolled: 1-line block ×3, first 2 shown]
	v_mul_f32_e32 v70, v82, v81
	v_or3_b32 v76, v91, v92, v80
	v_dual_mul_f32 v78, v82, v78 :: v_dual_and_b32 v85, 0x7f800000, v84
	v_mul_f32_e32 v83, v82, v72
	v_mul_f32_e32 v81, v82, v71
	;; [unrolled: 1-line block ×3, first 2 shown]
	s_mov_b32 s3, exec_lo
	ds_store_b128 v76, v[87:90]
                                        ; implicit-def: $vgpr69
	v_cmpx_ne_u32_e32 0x7f800000, v85
	s_xor_b32 s3, exec_lo, s3
; %bb.45:
	v_bfe_u32 v69, v84, 16, 1
	s_delay_alu instid0(VALU_DEP_1)
	v_add3_u32 v69, v84, v69, 0x7fff
                                        ; implicit-def: $vgpr84
; %bb.46:
	s_and_not1_saveexec_b32 s3, s3
; %bb.47:
	v_and_b32_e32 v69, 0xffff, v84
	v_or_b32_e32 v71, 0x10000, v84
	s_delay_alu instid0(VALU_DEP_2) | instskip(NEXT) | instid1(VALU_DEP_2)
	v_cmp_eq_u32_e32 vcc_lo, 0, v69
	v_cndmask_b32_e32 v69, v71, v84, vcc_lo
; %bb.48:
	s_or_b32 exec_lo, exec_lo, s3
	v_and_b32_e32 v71, 0x7f800000, v72
	s_delay_alu instid0(VALU_DEP_1) | instskip(SKIP_1) | instid1(SALU_CYCLE_1)
	v_cmp_ne_u32_e32 vcc_lo, 0x7f800000, v71
                                        ; implicit-def: $vgpr71
	s_and_saveexec_b32 s3, vcc_lo
	s_xor_b32 s3, exec_lo, s3
; %bb.49:
	v_bfe_u32 v71, v72, 16, 1
	s_delay_alu instid0(VALU_DEP_1)
	v_add3_u32 v71, v72, v71, 0x7fff
                                        ; implicit-def: $vgpr72
; %bb.50:
	s_and_not1_saveexec_b32 s3, s3
; %bb.51:
	v_and_b32_e32 v71, 0xffff, v72
	v_or_b32_e32 v82, 0x10000, v72
	s_delay_alu instid0(VALU_DEP_2) | instskip(NEXT) | instid1(VALU_DEP_2)
	v_cmp_eq_u32_e32 vcc_lo, 0, v71
	v_cndmask_b32_e32 v71, v82, v72, vcc_lo
; %bb.52:
	s_or_b32 exec_lo, exec_lo, s3
	v_and_b32_e32 v72, 0x7f800000, v81
	s_delay_alu instid0(VALU_DEP_1) | instskip(SKIP_1) | instid1(SALU_CYCLE_1)
	v_cmp_ne_u32_e32 vcc_lo, 0x7f800000, v72
                                        ; implicit-def: $vgpr72
	s_and_saveexec_b32 s3, vcc_lo
	s_xor_b32 s3, exec_lo, s3
; %bb.53:
	v_bfe_u32 v72, v81, 16, 1
	s_delay_alu instid0(VALU_DEP_1)
	v_add3_u32 v72, v81, v72, 0x7fff
                                        ; implicit-def: $vgpr81
; %bb.54:
	s_and_not1_saveexec_b32 s3, s3
; %bb.55:
	v_and_b32_e32 v72, 0xffff, v81
	v_or_b32_e32 v82, 0x10000, v81
	s_delay_alu instid0(VALU_DEP_2) | instskip(NEXT) | instid1(VALU_DEP_2)
	v_cmp_eq_u32_e32 vcc_lo, 0, v72
	v_cndmask_b32_e32 v72, v82, v81, vcc_lo
; %bb.56:
	s_or_b32 exec_lo, exec_lo, s3
	v_and_b32_e32 v81, 0x7f800000, v83
	s_delay_alu instid0(VALU_DEP_1) | instskip(SKIP_1) | instid1(SALU_CYCLE_1)
	v_cmp_ne_u32_e32 vcc_lo, 0x7f800000, v81
                                        ; implicit-def: $vgpr81
	s_and_saveexec_b32 s3, vcc_lo
	s_xor_b32 s3, exec_lo, s3
; %bb.57:
	v_bfe_u32 v81, v83, 16, 1
	s_delay_alu instid0(VALU_DEP_1)
	v_add3_u32 v81, v83, v81, 0x7fff
                                        ; implicit-def: $vgpr83
; %bb.58:
	s_and_not1_saveexec_b32 s3, s3
; %bb.59:
	v_and_b32_e32 v81, 0xffff, v83
	v_or_b32_e32 v82, 0x10000, v83
	s_delay_alu instid0(VALU_DEP_2) | instskip(NEXT) | instid1(VALU_DEP_2)
	v_cmp_eq_u32_e32 vcc_lo, 0, v81
	v_cndmask_b32_e32 v81, v82, v83, vcc_lo
; %bb.60:
	s_or_b32 exec_lo, exec_lo, s3
	v_and_b32_e32 v82, 0x7f800000, v77
	s_delay_alu instid0(VALU_DEP_1) | instskip(SKIP_1) | instid1(SALU_CYCLE_1)
	v_cmp_ne_u32_e32 vcc_lo, 0x7f800000, v82
                                        ; implicit-def: $vgpr82
	s_and_saveexec_b32 s3, vcc_lo
	s_xor_b32 s3, exec_lo, s3
; %bb.61:
	v_bfe_u32 v82, v77, 16, 1
	s_delay_alu instid0(VALU_DEP_1)
	v_add3_u32 v82, v77, v82, 0x7fff
                                        ; implicit-def: $vgpr77
; %bb.62:
	s_and_not1_saveexec_b32 s3, s3
; %bb.63:
	v_and_b32_e32 v82, 0xffff, v77
	v_or_b32_e32 v83, 0x10000, v77
	s_delay_alu instid0(VALU_DEP_2) | instskip(NEXT) | instid1(VALU_DEP_2)
	v_cmp_eq_u32_e32 vcc_lo, 0, v82
	v_cndmask_b32_e32 v82, v83, v77, vcc_lo
; %bb.64:
	s_or_b32 exec_lo, exec_lo, s3
	v_and_b32_e32 v77, 0x7f800000, v78
	s_delay_alu instid0(VALU_DEP_1) | instskip(SKIP_1) | instid1(SALU_CYCLE_1)
	v_cmp_ne_u32_e32 vcc_lo, 0x7f800000, v77
                                        ; implicit-def: $vgpr77
	s_and_saveexec_b32 s3, vcc_lo
	s_xor_b32 s3, exec_lo, s3
; %bb.65:
	v_bfe_u32 v77, v78, 16, 1
	s_delay_alu instid0(VALU_DEP_1)
	v_add3_u32 v77, v78, v77, 0x7fff
                                        ; implicit-def: $vgpr78
; %bb.66:
	s_and_not1_saveexec_b32 s3, s3
; %bb.67:
	v_and_b32_e32 v77, 0xffff, v78
	v_or_b32_e32 v83, 0x10000, v78
	s_delay_alu instid0(VALU_DEP_2) | instskip(NEXT) | instid1(VALU_DEP_2)
	v_cmp_eq_u32_e32 vcc_lo, 0, v77
	v_cndmask_b32_e32 v77, v83, v78, vcc_lo
; %bb.68:
	s_or_b32 exec_lo, exec_lo, s3
	v_and_b32_e32 v78, 0x7f800000, v79
	s_delay_alu instid0(VALU_DEP_1) | instskip(SKIP_1) | instid1(SALU_CYCLE_1)
	v_cmp_ne_u32_e32 vcc_lo, 0x7f800000, v78
                                        ; implicit-def: $vgpr78
	s_and_saveexec_b32 s3, vcc_lo
	s_xor_b32 s3, exec_lo, s3
; %bb.69:
	v_bfe_u32 v78, v79, 16, 1
	s_delay_alu instid0(VALU_DEP_1)
	v_add3_u32 v78, v79, v78, 0x7fff
                                        ; implicit-def: $vgpr79
; %bb.70:
	s_and_not1_saveexec_b32 s3, s3
; %bb.71:
	v_and_b32_e32 v78, 0xffff, v79
	v_or_b32_e32 v83, 0x10000, v79
	s_delay_alu instid0(VALU_DEP_2) | instskip(NEXT) | instid1(VALU_DEP_2)
	v_cmp_eq_u32_e32 vcc_lo, 0, v78
	v_cndmask_b32_e32 v78, v83, v79, vcc_lo
; %bb.72:
	s_or_b32 exec_lo, exec_lo, s3
	v_and_b32_e32 v79, 0x7f800000, v70
	s_delay_alu instid0(VALU_DEP_1) | instskip(SKIP_1) | instid1(SALU_CYCLE_1)
	v_cmp_ne_u32_e32 vcc_lo, 0x7f800000, v79
                                        ; implicit-def: $vgpr79
	s_and_saveexec_b32 s3, vcc_lo
	s_xor_b32 s3, exec_lo, s3
; %bb.73:
	v_bfe_u32 v79, v70, 16, 1
	s_delay_alu instid0(VALU_DEP_1)
	v_add3_u32 v79, v70, v79, 0x7fff
                                        ; implicit-def: $vgpr70
; %bb.74:
	s_and_not1_saveexec_b32 s3, s3
; %bb.75:
	v_and_b32_e32 v79, 0xffff, v70
	v_or_b32_e32 v83, 0x10000, v70
	s_delay_alu instid0(VALU_DEP_2) | instskip(NEXT) | instid1(VALU_DEP_2)
	v_cmp_eq_u32_e32 vcc_lo, 0, v79
	v_cndmask_b32_e32 v79, v83, v70, vcc_lo
; %bb.76:
	s_or_b32 exec_lo, exec_lo, s3
	s_delay_alu instid0(VALU_DEP_1)
	v_perm_b32 v86, v79, v78, 0x7060302
	v_perm_b32 v85, v77, v82, 0x7060302
	;; [unrolled: 1-line block ×4, first 2 shown]
	v_lshl_or_b32 v82, v66, 11, v80
	ds_store_b128 v76, v[83:86] offset:1024
	s_waitcnt lgkmcnt(0)
	s_barrier
	buffer_gl0_inv
	ds_load_b128 v[69:72], v82
	ds_load_b128 v[83:86], v82 offset:16
	s_waitcnt lgkmcnt(1)
	v_lshrrev_b32_e32 v66, 16, v69
	s_waitcnt lgkmcnt(0)
	v_lshrrev_b32_e32 v91, 16, v83
	v_lshlrev_b32_e32 v78, 2, v74
	v_lshrrev_b32_e32 v95, 16, v70
	v_lshrrev_b32_e32 v98, 16, v84
	;; [unrolled: 1-line block ×4, first 2 shown]
	v_cmp_eq_u32_e32 vcc_lo, 1, v78
	v_lshrrev_b32_e32 v97, 16, v72
	v_lshrrev_b32_e32 v100, 16, v86
	v_cndmask_b32_e32 v87, v83, v91, vcc_lo
	v_or_b32_e32 v79, 1, v78
	v_cndmask_b32_e32 v81, v69, v66, vcc_lo
	v_cmp_eq_u32_e64 s4, 2, v78
	v_cmp_eq_u32_e64 s7, 3, v78
	;; [unrolled: 1-line block ×5, first 2 shown]
	v_cndmask_b32_e64 v81, v81, v70, s4
	v_cndmask_b32_e64 v87, v87, v84, s4
	v_cmp_eq_u32_e64 s8, 3, v79
	v_cndmask_b32_e64 v88, v69, v66, s3
	v_or_b32_e32 v77, 2, v78
	v_cndmask_b32_e64 v81, v81, v95, s7
	v_cndmask_b32_e64 v87, v87, v98, s7
	;; [unrolled: 1-line block ×4, first 2 shown]
	v_cmp_eq_u32_e64 s10, 5, v78
	v_cndmask_b32_e64 v81, v81, v71, s9
	v_cndmask_b32_e64 v87, v87, v85, s9
	v_cmp_eq_u32_e64 s11, 4, v79
	v_cndmask_b32_e64 v88, v88, v95, s8
	v_cmp_eq_u32_e64 s5, 1, v77
	v_cndmask_b32_e64 v89, v89, v84, s6
	v_cndmask_b32_e64 v81, v81, v96, s10
	v_cmp_eq_u32_e64 s12, 6, v78
	v_cndmask_b32_e64 v88, v88, v71, s11
	;; [unrolled: 3-line block ×3, first 2 shown]
	v_cndmask_b32_e64 v89, v89, v98, s8
	v_cndmask_b32_e64 v81, v81, v72, s12
	v_cmp_eq_u32_e64 s15, 7, v78
	v_cndmask_b32_e64 v88, v88, v96, s13
	v_cndmask_b32_e64 v87, v87, v86, s12
	v_cmp_eq_u32_e64 s16, 6, v79
	v_cmp_eq_u32_e64 s17, 2, v77
	v_cndmask_b32_e64 v89, v89, v85, s11
	v_cndmask_b32_e64 v101, v81, v97, s15
	;; [unrolled: 1-line block ×6, first 2 shown]
	v_cmp_eq_u32_e64 s18, 7, v79
	v_cmp_eq_u32_e64 s19, 3, v77
	;; [unrolled: 1-line block ×4, first 2 shown]
	v_cndmask_b32_e64 v87, v87, v84, s17
	v_cndmask_b32_e64 v103, v88, v97, s18
	;; [unrolled: 1-line block ×4, first 2 shown]
	v_or_b32_e32 v81, 3, v78
	v_cndmask_b32_e64 v93, v87, v98, s19
	v_cmp_eq_u32_e64 s24, 6, v77
	v_cndmask_b32_e64 v104, v88, v86, s16
	v_cndmask_b32_e64 v92, v89, v71, s20
	v_cmp_eq_u32_e64 s21, 1, v81
	ds_load_b128 v[87:90], v82 offset:1024
	v_cmp_eq_u32_e64 s23, 2, v81
	v_cmp_eq_u32_e64 s25, 3, v81
	v_cndmask_b32_e64 v105, v92, v96, s22
	v_cndmask_b32_e64 v66, v69, v66, s21
	;; [unrolled: 1-line block ×4, first 2 shown]
	ds_load_b128 v[91:94], v82 offset:1040
	v_cmp_eq_u32_e64 s26, 4, v81
	v_cndmask_b32_e64 v66, v66, v70, s23
	v_cmp_eq_u32_e64 s27, 7, v77
	v_cndmask_b32_e64 v70, v83, v84, s23
	v_cndmask_b32_e64 v84, v105, v72, s24
	v_cmp_eq_u32_e64 s28, 5, v81
	v_cndmask_b32_e64 v66, v66, v95, s25
	v_cmp_eq_u32_e64 s29, 6, v81
	v_cndmask_b32_e64 v70, v70, v98, s25
	v_cndmask_b32_e64 v69, v69, v99, s22
	;; [unrolled: 1-line block ×4, first 2 shown]
	s_waitcnt lgkmcnt(1)
	v_lshrrev_b32_e32 v95, 16, v87
	v_cndmask_b32_e64 v70, v70, v85, s26
	v_cndmask_b32_e64 v71, v84, v97, s27
	;; [unrolled: 1-line block ×4, first 2 shown]
	v_cndmask_b32_e32 v84, v87, v95, vcc_lo
	v_cndmask_b32_e64 v70, v70, v99, s28
	s_waitcnt lgkmcnt(0)
	v_lshrrev_b32_e32 v85, 16, v91
	v_lshrrev_b32_e32 v96, 16, v88
	v_cndmask_b32_e64 v98, v87, v95, s3
	v_cndmask_b32_e64 v84, v84, v88, s4
	;; [unrolled: 1-line block ×3, first 2 shown]
	v_cndmask_b32_e32 v99, v91, v85, vcc_lo
	v_cmp_eq_u32_e32 vcc_lo, 7, v81
	v_cndmask_b32_e64 v66, v66, v72, s29
	v_cndmask_b32_e64 v72, v84, v96, s7
	v_cndmask_b32_e64 v84, v98, v88, s6
	v_lshrrev_b32_e32 v98, 16, v92
	v_cndmask_b32_e32 v70, v70, v100, vcc_lo
	v_cndmask_b32_e64 v86, v99, v92, s4
	v_cndmask_b32_e64 v69, v69, v100, s27
	v_lshrrev_b32_e32 v100, 16, v93
	v_cndmask_b32_e64 v72, v72, v89, s9
	v_lshrrev_b32_e32 v99, 16, v89
	v_cndmask_b32_e64 v86, v86, v98, s7
	v_perm_b32 v71, v69, v71, 0x5040100
	v_cndmask_b32_e64 v84, v84, v96, s8
	s_delay_alu instid0(VALU_DEP_3) | instskip(NEXT) | instid1(VALU_DEP_2)
	v_cndmask_b32_e64 v86, v86, v93, s9
	v_cndmask_b32_e64 v84, v84, v89, s11
	s_delay_alu instid0(VALU_DEP_2) | instskip(NEXT) | instid1(VALU_DEP_1)
	v_cndmask_b32_e64 v86, v86, v100, s10
	v_cndmask_b32_e64 v69, v86, v94, s12
	v_cndmask_b32_e64 v86, v87, v95, s5
	v_cndmask_b32_e64 v87, v87, v95, s21
	v_cndmask_b32_e64 v95, v91, v85, s21
	s_delay_alu instid0(VALU_DEP_3) | instskip(NEXT) | instid1(VALU_DEP_3)
	v_cndmask_b32_e64 v86, v86, v88, s17
	v_cndmask_b32_e64 v87, v87, v88, s23
	s_delay_alu instid0(VALU_DEP_3) | instskip(NEXT) | instid1(VALU_DEP_3)
	v_cndmask_b32_e64 v88, v95, v92, s23
	v_cndmask_b32_e64 v86, v86, v96, s19
	;; [unrolled: 3-line block ×7, first 2 shown]
	s_delay_alu instid0(VALU_DEP_3) | instskip(SKIP_2) | instid1(VALU_DEP_2)
	v_cndmask_b32_e64 v88, v88, v94, s29
	v_cndmask_b32_e32 v66, v66, v97, vcc_lo
	v_cndmask_b32_e64 v97, v72, v99, s10
	v_perm_b32 v72, v70, v66, 0x5040100
	v_perm_b32 v70, v83, v103, 0x5040100
	v_cndmask_b32_e64 v103, v91, v85, s5
	v_cndmask_b32_e64 v85, v91, v85, s3
	;; [unrolled: 1-line block ×4, first 2 shown]
	v_lshrrev_b32_e32 v97, 16, v90
	v_cndmask_b32_e64 v91, v103, v92, s17
	v_cndmask_b32_e64 v85, v85, v92, s6
	;; [unrolled: 1-line block ×3, first 2 shown]
	s_mov_b32 s3, exec_lo
	v_cndmask_b32_e64 v83, v84, v97, s15
	v_cndmask_b32_e64 v91, v91, v98, s19
	;; [unrolled: 1-line block ×3, first 2 shown]
	v_lshrrev_b32_e32 v84, 16, v94
	v_cndmask_b32_e64 v66, v66, v97, s18
	v_cndmask_b32_e64 v90, v86, v97, s27
	;; [unrolled: 1-line block ×4, first 2 shown]
	v_dual_cndmask_b32 v86, v87, v97 :: v_dual_cndmask_b32 v87, v88, v84
	v_cndmask_b32_e64 v91, v69, v84, s15
	s_delay_alu instid0(VALU_DEP_4) | instskip(NEXT) | instid1(VALU_DEP_4)
	v_cndmask_b32_e64 v89, v89, v100, s22
	v_cndmask_b32_e64 v85, v85, v100, s13
	v_perm_b32 v69, v102, v101, 0x5040100
	v_perm_b32 v86, v87, v86, 0x5040100
	;; [unrolled: 1-line block ×3, first 2 shown]
	v_cndmask_b32_e64 v89, v89, v94, s24
	v_cndmask_b32_e64 v85, v85, v94, s16
	s_mul_i32 s8, s35, 15
	s_delay_alu instid0(VALU_DEP_2) | instskip(NEXT) | instid1(VALU_DEP_2)
	v_cndmask_b32_e64 v88, v89, v84, s27
	v_cndmask_b32_e64 v89, v85, v84, s18
	s_delay_alu instid0(VALU_DEP_2) | instskip(NEXT) | instid1(VALU_DEP_2)
	v_perm_b32 v85, v88, v90, 0x5040100
	v_perm_b32 v84, v89, v66, 0x5040100
	ds_store_b128 v76, v[69:72]
	ds_store_b128 v76, v[83:86] offset:1024
	v_cmpx_gt_u32_e32 15, v0
	s_cbranch_execz .LBB1600_78
; %bb.77:
	s_mul_i32 s4, s8, s30
	s_delay_alu instid0(SALU_CYCLE_1) | instskip(SKIP_1) | instid1(VALU_DEP_1)
	v_add3_u32 v69, s4, s31, v65
	s_load_b128 s[4:7], s[0:1], 0x58
	v_mad_u64_u32 v[65:66], null, v69, s34, s[14:15]
	s_delay_alu instid0(VALU_DEP_1) | instskip(NEXT) | instid1(VALU_DEP_1)
	v_ashrrev_i32_e32 v66, 31, v65
	v_lshlrev_b64 v[65:66], 2, v[65:66]
	s_waitcnt lgkmcnt(0)
	s_delay_alu instid0(VALU_DEP_1) | instskip(NEXT) | instid1(VALU_DEP_2)
	v_add_co_u32 v69, vcc_lo, s6, v65
	v_add_co_ci_u32_e32 v70, vcc_lo, s7, v66, vcc_lo
	v_add_co_u32 v65, vcc_lo, s4, v65
	v_add_co_ci_u32_e32 v66, vcc_lo, s5, v66, vcc_lo
	global_store_b32 v[69:70], v67, off
	global_store_b32 v[65:66], v68, off
.LBB1600_78:
	s_or_b32 exec_lo, exec_lo, s3
	s_waitcnt lgkmcnt(0)
	s_waitcnt_vscnt null, 0x0
	s_barrier
	buffer_gl0_inv
	ds_load_b128 v[83:86], v80
	ds_load_b128 v[87:90], v80 offset:16
	ds_load_b128 v[95:98], v80 offset:2064
	ds_load_b128 v[91:94], v80 offset:2048
	v_mov_b32_e32 v65, 0
	ds_load_b128 v[103:106], v80 offset:4112
	ds_load_b128 v[99:102], v80 offset:4096
	;; [unrolled: 1-line block ×4, first 2 shown]
	v_mov_b32_e32 v66, v65
	v_mov_b32_e32 v67, v65
	;; [unrolled: 1-line block ×7, first 2 shown]
	s_waitcnt lgkmcnt(6)
	s_delay_alu instid0(VALU_DEP_1)
	v_wmma_f32_16x16x16_bf16 v[65:72], v[49:56], v[83:90], v[65:72]
	ds_load_b128 v[53:56], v80 offset:8208
	ds_load_b128 v[49:52], v80 offset:8192
	s_waitcnt lgkmcnt(6)
	v_wmma_f32_16x16x16_bf16 v[65:72], v[41:48], v[91:98], v[65:72]
	ds_load_b128 v[45:48], v80 offset:10256
	ds_load_b128 v[41:44], v80 offset:10240
	s_waitcnt lgkmcnt(6)
	;; [unrolled: 4-line block ×4, first 2 shown]
	v_wmma_f32_16x16x16_bf16 v[65:72], v[1:8], v[49:56], v[65:72]
	s_waitcnt lgkmcnt(4)
	s_delay_alu instid0(VALU_DEP_1) | instskip(SKIP_1) | instid1(VALU_DEP_1)
	v_wmma_f32_16x16x16_bf16 v[65:72], v[9:16], v[41:48], v[65:72]
	s_waitcnt lgkmcnt(2)
	v_wmma_f32_16x16x16_bf16 v[65:72], v[17:24], v[33:40], v[65:72]
	s_waitcnt lgkmcnt(0)
	s_delay_alu instid0(VALU_DEP_1) | instskip(NEXT) | instid1(VALU_DEP_1)
	v_wmma_f32_16x16x16_bf16 v[65:72], v[57:64], v[25:32], v[65:72]
	v_and_b32_e32 v1, 0x7f800000, v65
	s_delay_alu instid0(VALU_DEP_1) | instskip(SKIP_1) | instid1(SALU_CYCLE_1)
	v_cmp_ne_u32_e32 vcc_lo, 0x7f800000, v1
                                        ; implicit-def: $vgpr1
	s_and_saveexec_b32 s3, vcc_lo
	s_xor_b32 s3, exec_lo, s3
; %bb.79:
	v_bfe_u32 v1, v65, 16, 1
	s_delay_alu instid0(VALU_DEP_1)
	v_add3_u32 v1, v65, v1, 0x7fff
; %bb.80:
	s_and_not1_saveexec_b32 s3, s3
; %bb.81:
	v_and_b32_e32 v1, 0xffff, v65
	v_or_b32_e32 v2, 0x10000, v65
	s_delay_alu instid0(VALU_DEP_2) | instskip(NEXT) | instid1(VALU_DEP_2)
	v_cmp_eq_u32_e32 vcc_lo, 0, v1
	v_cndmask_b32_e32 v1, v2, v65, vcc_lo
; %bb.82:
	s_or_b32 exec_lo, exec_lo, s3
	v_and_b32_e32 v2, 0x7f800000, v66
	s_delay_alu instid0(VALU_DEP_1) | instskip(SKIP_1) | instid1(SALU_CYCLE_1)
	v_cmp_ne_u32_e32 vcc_lo, 0x7f800000, v2
                                        ; implicit-def: $vgpr2
	s_and_saveexec_b32 s3, vcc_lo
	s_xor_b32 s3, exec_lo, s3
; %bb.83:
	v_bfe_u32 v2, v66, 16, 1
	s_delay_alu instid0(VALU_DEP_1)
	v_add3_u32 v2, v66, v2, 0x7fff
; %bb.84:
	s_and_not1_saveexec_b32 s3, s3
; %bb.85:
	v_and_b32_e32 v2, 0xffff, v66
	v_or_b32_e32 v3, 0x10000, v66
	s_delay_alu instid0(VALU_DEP_2) | instskip(NEXT) | instid1(VALU_DEP_2)
	v_cmp_eq_u32_e32 vcc_lo, 0, v2
	v_cndmask_b32_e32 v2, v3, v66, vcc_lo
; %bb.86:
	s_or_b32 exec_lo, exec_lo, s3
	v_and_b32_e32 v3, 0x7f800000, v67
	s_delay_alu instid0(VALU_DEP_1) | instskip(SKIP_1) | instid1(SALU_CYCLE_1)
	v_cmp_ne_u32_e32 vcc_lo, 0x7f800000, v3
                                        ; implicit-def: $vgpr3
	s_and_saveexec_b32 s3, vcc_lo
	s_xor_b32 s3, exec_lo, s3
; %bb.87:
	v_bfe_u32 v3, v67, 16, 1
	s_delay_alu instid0(VALU_DEP_1)
	v_add3_u32 v3, v67, v3, 0x7fff
; %bb.88:
	s_and_not1_saveexec_b32 s3, s3
; %bb.89:
	v_and_b32_e32 v3, 0xffff, v67
	v_or_b32_e32 v4, 0x10000, v67
	s_delay_alu instid0(VALU_DEP_2) | instskip(NEXT) | instid1(VALU_DEP_2)
	v_cmp_eq_u32_e32 vcc_lo, 0, v3
	v_cndmask_b32_e32 v3, v4, v67, vcc_lo
; %bb.90:
	s_or_b32 exec_lo, exec_lo, s3
	v_and_b32_e32 v4, 0x7f800000, v68
	s_delay_alu instid0(VALU_DEP_1) | instskip(SKIP_1) | instid1(SALU_CYCLE_1)
	v_cmp_ne_u32_e32 vcc_lo, 0x7f800000, v4
                                        ; implicit-def: $vgpr4
	s_and_saveexec_b32 s3, vcc_lo
	s_xor_b32 s3, exec_lo, s3
; %bb.91:
	v_bfe_u32 v4, v68, 16, 1
	s_delay_alu instid0(VALU_DEP_1)
	v_add3_u32 v4, v68, v4, 0x7fff
; %bb.92:
	s_and_not1_saveexec_b32 s3, s3
; %bb.93:
	v_and_b32_e32 v4, 0xffff, v68
	v_or_b32_e32 v5, 0x10000, v68
	s_delay_alu instid0(VALU_DEP_2) | instskip(NEXT) | instid1(VALU_DEP_2)
	v_cmp_eq_u32_e32 vcc_lo, 0, v4
	v_cndmask_b32_e32 v4, v5, v68, vcc_lo
; %bb.94:
	s_or_b32 exec_lo, exec_lo, s3
	v_and_b32_e32 v5, 0x7f800000, v69
	s_delay_alu instid0(VALU_DEP_1) | instskip(SKIP_1) | instid1(SALU_CYCLE_1)
	v_cmp_ne_u32_e32 vcc_lo, 0x7f800000, v5
                                        ; implicit-def: $vgpr5
	s_and_saveexec_b32 s3, vcc_lo
	s_xor_b32 s3, exec_lo, s3
; %bb.95:
	v_bfe_u32 v5, v69, 16, 1
	s_delay_alu instid0(VALU_DEP_1)
	v_add3_u32 v5, v69, v5, 0x7fff
; %bb.96:
	s_and_not1_saveexec_b32 s3, s3
; %bb.97:
	v_and_b32_e32 v5, 0xffff, v69
	v_or_b32_e32 v6, 0x10000, v69
	s_delay_alu instid0(VALU_DEP_2) | instskip(NEXT) | instid1(VALU_DEP_2)
	v_cmp_eq_u32_e32 vcc_lo, 0, v5
	v_cndmask_b32_e32 v5, v6, v69, vcc_lo
; %bb.98:
	s_or_b32 exec_lo, exec_lo, s3
	v_and_b32_e32 v6, 0x7f800000, v70
	s_delay_alu instid0(VALU_DEP_1) | instskip(SKIP_1) | instid1(SALU_CYCLE_1)
	v_cmp_ne_u32_e32 vcc_lo, 0x7f800000, v6
                                        ; implicit-def: $vgpr6
	s_and_saveexec_b32 s3, vcc_lo
	s_xor_b32 s3, exec_lo, s3
; %bb.99:
	v_bfe_u32 v6, v70, 16, 1
	s_delay_alu instid0(VALU_DEP_1)
	v_add3_u32 v6, v70, v6, 0x7fff
; %bb.100:
	s_and_not1_saveexec_b32 s3, s3
; %bb.101:
	v_and_b32_e32 v6, 0xffff, v70
	v_or_b32_e32 v7, 0x10000, v70
	s_delay_alu instid0(VALU_DEP_2) | instskip(NEXT) | instid1(VALU_DEP_2)
	v_cmp_eq_u32_e32 vcc_lo, 0, v6
	v_cndmask_b32_e32 v6, v7, v70, vcc_lo
; %bb.102:
	s_or_b32 exec_lo, exec_lo, s3
	v_and_b32_e32 v7, 0x7f800000, v71
	s_delay_alu instid0(VALU_DEP_1) | instskip(SKIP_1) | instid1(SALU_CYCLE_1)
	v_cmp_ne_u32_e32 vcc_lo, 0x7f800000, v7
                                        ; implicit-def: $vgpr7
	s_and_saveexec_b32 s3, vcc_lo
	s_xor_b32 s3, exec_lo, s3
; %bb.103:
	v_bfe_u32 v7, v71, 16, 1
	s_delay_alu instid0(VALU_DEP_1)
	v_add3_u32 v7, v71, v7, 0x7fff
; %bb.104:
	s_and_not1_saveexec_b32 s3, s3
; %bb.105:
	v_and_b32_e32 v7, 0xffff, v71
	v_or_b32_e32 v8, 0x10000, v71
	s_delay_alu instid0(VALU_DEP_2) | instskip(NEXT) | instid1(VALU_DEP_2)
	v_cmp_eq_u32_e32 vcc_lo, 0, v7
	v_cndmask_b32_e32 v7, v8, v71, vcc_lo
; %bb.106:
	s_or_b32 exec_lo, exec_lo, s3
	v_and_b32_e32 v8, 0x7f800000, v72
	s_delay_alu instid0(VALU_DEP_1) | instskip(SKIP_1) | instid1(SALU_CYCLE_1)
	v_cmp_ne_u32_e32 vcc_lo, 0x7f800000, v8
                                        ; implicit-def: $vgpr8
	s_and_saveexec_b32 s3, vcc_lo
	s_xor_b32 s3, exec_lo, s3
; %bb.107:
	v_bfe_u32 v8, v72, 16, 1
	s_delay_alu instid0(VALU_DEP_1)
	v_add3_u32 v8, v72, v8, 0x7fff
                                        ; implicit-def: $vgpr65_vgpr66_vgpr67_vgpr68_vgpr69_vgpr70_vgpr71_vgpr72
; %bb.108:
	s_and_not1_saveexec_b32 s3, s3
; %bb.109:
	v_and_b32_e32 v8, 0xffff, v72
	v_or_b32_e32 v9, 0x10000, v72
	s_delay_alu instid0(VALU_DEP_2) | instskip(NEXT) | instid1(VALU_DEP_2)
	v_cmp_eq_u32_e32 vcc_lo, 0, v8
	v_cndmask_b32_e32 v8, v9, v72, vcc_lo
; %bb.110:
	s_or_b32 exec_lo, exec_lo, s3
	s_delay_alu instid0(VALU_DEP_1)
	v_perm_b32 v7, v8, v7, 0x7060302
	v_perm_b32 v6, v6, v5, 0x7060302
	;; [unrolled: 1-line block ×4, first 2 shown]
	s_barrier
	buffer_gl0_inv
	v_cmp_eq_u32_e32 vcc_lo, 1, v78
	ds_store_b128 v76, v[4:7]
	s_waitcnt lgkmcnt(0)
	s_barrier
	buffer_gl0_inv
	ds_load_b128 v[1:4], v82
	ds_load_b128 v[5:8], v82 offset:16
	v_cmp_eq_u32_e64 s3, 1, v79
	v_cmp_eq_u32_e64 s4, 2, v78
	;; [unrolled: 1-line block ×5, first 2 shown]
	s_waitcnt lgkmcnt(1)
	v_lshrrev_b32_e32 v9, 16, v1
	s_waitcnt lgkmcnt(0)
	v_lshrrev_b32_e32 v13, 16, v5
	v_lshrrev_b32_e32 v10, 16, v2
	;; [unrolled: 1-line block ×4, first 2 shown]
	v_cndmask_b32_e64 v19, v1, v9, s3
	v_cndmask_b32_e32 v18, v5, v13, vcc_lo
	v_cndmask_b32_e64 v20, v5, v13, s3
	v_cndmask_b32_e32 v17, v1, v9, vcc_lo
	v_cmp_eq_u32_e32 vcc_lo, 2, v79
	v_lshrrev_b32_e32 v15, 16, v7
	v_cmp_eq_u32_e64 s3, 1, v77
	v_lshrrev_b32_e32 v12, 16, v4
	v_lshrrev_b32_e32 v16, 16, v8
	v_cndmask_b32_e32 v20, v20, v6, vcc_lo
	v_cndmask_b32_e64 v17, v17, v2, s4
	v_cndmask_b32_e32 v19, v19, v2, vcc_lo
	v_cndmask_b32_e64 v18, v18, v6, s4
	v_cmp_eq_u32_e32 vcc_lo, 4, v78
	v_cmp_eq_u32_e64 s4, 3, v79
	v_cndmask_b32_e64 v17, v17, v10, s5
	v_cndmask_b32_e64 v21, v1, v9, s3
	;; [unrolled: 1-line block ×5, first 2 shown]
	v_cndmask_b32_e32 v17, v17, v3, vcc_lo
	v_cndmask_b32_e64 v20, v20, v14, s4
	v_cndmask_b32_e32 v18, v18, v7, vcc_lo
	v_cmp_eq_u32_e32 vcc_lo, 4, v79
	v_cmp_eq_u32_e64 s4, 5, v79
	v_cmp_eq_u32_e64 s3, 2, v81
	v_cndmask_b32_e64 v21, v21, v2, s7
	v_cmp_eq_u32_e64 s5, 5, v78
	v_cndmask_b32_e32 v19, v19, v3, vcc_lo
	v_cndmask_b32_e32 v20, v20, v7, vcc_lo
	v_cmp_eq_u32_e32 vcc_lo, 6, v79
	s_delay_alu instid0(VALU_DEP_4) | instskip(NEXT) | instid1(VALU_DEP_4)
	v_cndmask_b32_e64 v17, v17, v11, s5
	v_cndmask_b32_e64 v19, v19, v11, s4
	s_delay_alu instid0(VALU_DEP_4) | instskip(SKIP_1) | instid1(VALU_DEP_3)
	v_cndmask_b32_e64 v20, v20, v15, s4
	v_cmp_eq_u32_e64 s4, 1, v81
	v_cndmask_b32_e32 v19, v19, v4, vcc_lo
	v_cndmask_b32_e64 v18, v18, v15, s5
	s_delay_alu instid0(VALU_DEP_3)
	v_cndmask_b32_e64 v1, v1, v9, s4
	v_cndmask_b32_e64 v5, v5, v13, s4
	v_cmp_eq_u32_e64 s4, 3, v77
	v_cndmask_b32_e64 v13, v22, v6, s7
	v_cmp_eq_u32_e64 s7, 3, v81
	v_cndmask_b32_e64 v1, v1, v2, s3
	v_cndmask_b32_e64 v2, v5, v6, s3
	;; [unrolled: 1-line block ×3, first 2 shown]
	v_cmp_eq_u32_e64 s3, 4, v77
	v_cndmask_b32_e64 v6, v13, v14, s4
	v_cndmask_b32_e64 v1, v1, v10, s7
	v_cmp_eq_u32_e64 s4, 4, v81
	v_cndmask_b32_e64 v2, v2, v14, s7
	v_cndmask_b32_e64 v5, v9, v3, s3
	;; [unrolled: 3-line block ×3, first 2 shown]
	v_cndmask_b32_e64 v2, v2, v7, s4
	v_cmp_eq_u32_e64 s3, 5, v81
	v_cmp_eq_u32_e64 s5, 6, v78
	v_cndmask_b32_e64 v5, v5, v11, s7
	v_cmp_eq_u32_e64 s4, 6, v77
	v_cndmask_b32_e64 v3, v6, v15, s7
	v_cndmask_b32_e64 v1, v1, v11, s3
	v_cmp_eq_u32_e64 s7, 6, v81
	v_cndmask_b32_e64 v2, v2, v15, s3
	v_cndmask_b32_e64 v17, v17, v4, s5
	v_cndmask_b32_e64 v18, v18, v8, s5
	v_cmp_eq_u32_e64 s5, 7, v78
	v_cndmask_b32_e64 v5, v5, v4, s4
	;; [unrolled: 4-line block ×3, first 2 shown]
	v_cmp_eq_u32_e64 s4, 7, v77
	v_cndmask_b32_e32 v4, v20, v8, vcc_lo
	v_cndmask_b32_e64 v17, v17, v12, s5
	v_cndmask_b32_e64 v19, v19, v12, s6
	;; [unrolled: 1-line block ×8, first 2 shown]
	s_mov_b32 s3, exec_lo
	v_perm_b32 v4, v2, v1, 0x5040100
	v_perm_b32 v3, v3, v5, 0x5040100
	;; [unrolled: 1-line block ×4, first 2 shown]
	ds_store_b128 v76, v[1:4]
	s_waitcnt lgkmcnt(0)
	s_barrier
	buffer_gl0_inv
	v_cmpx_gt_u32_e32 32, v0
	s_cbranch_execz .LBB1600_2
; %bb.111:
	s_load_b64 s[4:5], s[0:1], 0x68
	v_add_nc_u32_e32 v20, s31, v74
	v_lshlrev_b32_e32 v0, 10, v0
	v_lshlrev_b32_e32 v1, 4, v75
	s_lshl_b32 s0, s34, 7
	s_delay_alu instid0(SALU_CYCLE_1)
	s_mul_i32 s1, s0, s30
	v_add_nc_u32_e32 v2, 2, v20
	s_mul_i32 s6, s1, s8
	v_and_or_b32 v0, 0x3800, v0, v1
	v_mul_lo_u32 v1, v20, s0
	s_ashr_i32 s7, s6, 31
	v_mul_lo_u32 v11, v2, s0
	s_lshl_b64 s[6:7], s[6:7], 1
	v_add_nc_u32_e32 v3, 4, v20
	v_lshl_or_b32 v21, v74, 6, v0
	v_add_nc_u32_e32 v16, 6, v20
	v_ashrrev_i32_e32 v2, 31, v1
	s_delay_alu instid0(VALU_DEP_4)
	v_mul_lo_u32 v13, v3, s0
	s_waitcnt lgkmcnt(0)
	s_add_u32 s1, s4, s6
	s_addc_u32 s3, s5, s7
	s_lshl_b32 s4, s14, 7
	ds_load_b128 v[3:6], v21
	ds_load_b128 v[7:10], v21 offset:128
	s_ashr_i32 s5, s4, 31
	v_ashrrev_i32_e32 v12, 31, v11
	s_lshl_b64 s[4:5], s[4:5], 1
	v_lshlrev_b64 v[14:15], 1, v[1:2]
	s_add_u32 s1, s1, s4
	s_addc_u32 s3, s3, s5
	v_add_co_u32 v1, s1, s1, v73
	s_delay_alu instid0(VALU_DEP_1) | instskip(SKIP_1) | instid1(VALU_DEP_3)
	v_add_co_ci_u32_e64 v2, null, s3, 0, s1
	v_lshlrev_b64 v[11:12], 1, v[11:12]
	v_add_co_u32 v18, vcc_lo, v1, v14
	v_mul_lo_u32 v16, v16, s0
	s_delay_alu instid0(VALU_DEP_4) | instskip(NEXT) | instid1(VALU_DEP_4)
	v_add_co_ci_u32_e32 v19, vcc_lo, v2, v15, vcc_lo
	v_add_co_u32 v11, vcc_lo, v1, v11
	v_ashrrev_i32_e32 v14, 31, v13
	v_add_co_ci_u32_e32 v12, vcc_lo, v2, v12, vcc_lo
	v_add_nc_u32_e32 v15, 8, v20
	v_ashrrev_i32_e32 v17, 31, v16
	s_waitcnt lgkmcnt(1)
	global_store_b128 v[18:19], v[3:6], off
	v_lshlrev_b64 v[3:4], 1, v[13:14]
	s_waitcnt lgkmcnt(0)
	global_store_b128 v[11:12], v[7:10], off
	v_mul_lo_u32 v11, v15, s0
	v_add_nc_u32_e32 v7, 10, v20
	v_lshlrev_b64 v[5:6], 1, v[16:17]
	v_add_co_u32 v23, vcc_lo, v1, v3
	v_add_nc_u32_e32 v3, 12, v20
	s_delay_alu instid0(VALU_DEP_4)
	v_mul_lo_u32 v25, v7, s0
	v_ashrrev_i32_e32 v12, 31, v11
	v_add_co_ci_u32_e32 v24, vcc_lo, v2, v4, vcc_lo
	v_add_co_u32 v27, vcc_lo, v1, v5
	v_mul_lo_u32 v29, v3, s0
	v_add_co_ci_u32_e32 v28, vcc_lo, v2, v6, vcc_lo
	ds_load_b128 v[3:6], v21 offset:256
	ds_load_b128 v[7:10], v21 offset:384
	v_lshlrev_b64 v[31:32], 1, v[11:12]
	ds_load_b128 v[11:14], v21 offset:512
	ds_load_b128 v[15:18], v21 offset:640
	ds_load_b128 v[19:22], v21 offset:768
	v_ashrrev_i32_e32 v26, 31, v25
	v_ashrrev_i32_e32 v30, 31, v29
	v_add_co_u32 v31, vcc_lo, v1, v31
	s_delay_alu instid0(VALU_DEP_3) | instskip(NEXT) | instid1(VALU_DEP_3)
	v_lshlrev_b64 v[25:26], 1, v[25:26]
	v_lshlrev_b64 v[29:30], 1, v[29:30]
	v_add_co_ci_u32_e32 v32, vcc_lo, v2, v32, vcc_lo
	s_delay_alu instid0(VALU_DEP_3) | instskip(NEXT) | instid1(VALU_DEP_4)
	v_add_co_u32 v25, vcc_lo, v1, v25
	v_add_co_ci_u32_e32 v26, vcc_lo, v2, v26, vcc_lo
	s_delay_alu instid0(VALU_DEP_4)
	v_add_co_u32 v29, vcc_lo, v1, v29
	v_add_co_ci_u32_e32 v30, vcc_lo, v2, v30, vcc_lo
	s_waitcnt lgkmcnt(4)
	global_store_b128 v[23:24], v[3:6], off
	s_waitcnt lgkmcnt(3)
	global_store_b128 v[27:28], v[7:10], off
	;; [unrolled: 2-line block ×5, first 2 shown]
	s_and_b32 exec_lo, exec_lo, s2
	s_cbranch_execz .LBB1600_2
; %bb.112:
	ds_load_b128 v[3:6], v0 offset:896
	s_add_i32 s1, s31, 14
	s_delay_alu instid0(SALU_CYCLE_1) | instskip(NEXT) | instid1(SALU_CYCLE_1)
	s_mul_i32 s0, s1, s0
	s_ashr_i32 s1, s0, 31
	s_delay_alu instid0(SALU_CYCLE_1) | instskip(NEXT) | instid1(SALU_CYCLE_1)
	s_lshl_b64 s[0:1], s[0:1], 1
	v_add_co_u32 v0, vcc_lo, v1, s0
	v_add_co_ci_u32_e32 v1, vcc_lo, s1, v2, vcc_lo
	s_waitcnt lgkmcnt(0)
	global_store_b128 v[0:1], v[3:6], off
	s_nop 0
	s_sendmsg sendmsg(MSG_DEALLOC_VGPRS)
	s_endpgm
	.section	.rodata,"a",@progbits
	.p2align	6, 0x0
	.amdhsa_kernel _Z39paged_attention_ll4mi_QKV_mfma16_kernelI14__hip_bfloat16hLN4vllm18Fp8KVCacheDataTypeE1EhLi32ELi128ELi256ELb1ELi15EL8MFMAType1EEvPKT_PKT0_S9_ifPKiSB_SB_iPKfiiiPfSE_PS4_PT2_iSD_SD_
		.amdhsa_group_segment_fixed_size 17472
		.amdhsa_private_segment_fixed_size 0
		.amdhsa_kernarg_size 400
		.amdhsa_user_sgpr_count 13
		.amdhsa_user_sgpr_dispatch_ptr 0
		.amdhsa_user_sgpr_queue_ptr 0
		.amdhsa_user_sgpr_kernarg_segment_ptr 1
		.amdhsa_user_sgpr_dispatch_id 0
		.amdhsa_user_sgpr_private_segment_size 0
		.amdhsa_wavefront_size32 1
		.amdhsa_uses_dynamic_stack 0
		.amdhsa_enable_private_segment 0
		.amdhsa_system_sgpr_workgroup_id_x 1
		.amdhsa_system_sgpr_workgroup_id_y 1
		.amdhsa_system_sgpr_workgroup_id_z 1
		.amdhsa_system_sgpr_workgroup_info 0
		.amdhsa_system_vgpr_workitem_id 0
		.amdhsa_next_free_vgpr 140
		.amdhsa_next_free_sgpr 36
		.amdhsa_reserve_vcc 1
		.amdhsa_float_round_mode_32 0
		.amdhsa_float_round_mode_16_64 0
		.amdhsa_float_denorm_mode_32 3
		.amdhsa_float_denorm_mode_16_64 3
		.amdhsa_dx10_clamp 1
		.amdhsa_ieee_mode 1
		.amdhsa_fp16_overflow 0
		.amdhsa_workgroup_processor_mode 1
		.amdhsa_memory_ordered 1
		.amdhsa_forward_progress 0
		.amdhsa_shared_vgpr_count 0
		.amdhsa_exception_fp_ieee_invalid_op 0
		.amdhsa_exception_fp_denorm_src 0
		.amdhsa_exception_fp_ieee_div_zero 0
		.amdhsa_exception_fp_ieee_overflow 0
		.amdhsa_exception_fp_ieee_underflow 0
		.amdhsa_exception_fp_ieee_inexact 0
		.amdhsa_exception_int_div_zero 0
	.end_amdhsa_kernel
	.section	.text._Z39paged_attention_ll4mi_QKV_mfma16_kernelI14__hip_bfloat16hLN4vllm18Fp8KVCacheDataTypeE1EhLi32ELi128ELi256ELb1ELi15EL8MFMAType1EEvPKT_PKT0_S9_ifPKiSB_SB_iPKfiiiPfSE_PS4_PT2_iSD_SD_,"axG",@progbits,_Z39paged_attention_ll4mi_QKV_mfma16_kernelI14__hip_bfloat16hLN4vllm18Fp8KVCacheDataTypeE1EhLi32ELi128ELi256ELb1ELi15EL8MFMAType1EEvPKT_PKT0_S9_ifPKiSB_SB_iPKfiiiPfSE_PS4_PT2_iSD_SD_,comdat
.Lfunc_end1600:
	.size	_Z39paged_attention_ll4mi_QKV_mfma16_kernelI14__hip_bfloat16hLN4vllm18Fp8KVCacheDataTypeE1EhLi32ELi128ELi256ELb1ELi15EL8MFMAType1EEvPKT_PKT0_S9_ifPKiSB_SB_iPKfiiiPfSE_PS4_PT2_iSD_SD_, .Lfunc_end1600-_Z39paged_attention_ll4mi_QKV_mfma16_kernelI14__hip_bfloat16hLN4vllm18Fp8KVCacheDataTypeE1EhLi32ELi128ELi256ELb1ELi15EL8MFMAType1EEvPKT_PKT0_S9_ifPKiSB_SB_iPKfiiiPfSE_PS4_PT2_iSD_SD_
                                        ; -- End function
	.section	.AMDGPU.csdata,"",@progbits
; Kernel info:
; codeLenInByte = 9156
; NumSgprs: 38
; NumVgprs: 140
; ScratchSize: 0
; MemoryBound: 0
; FloatMode: 240
; IeeeMode: 1
; LDSByteSize: 17472 bytes/workgroup (compile time only)
; SGPRBlocks: 4
; VGPRBlocks: 17
; NumSGPRsForWavesPerEU: 38
; NumVGPRsForWavesPerEU: 140
; Occupancy: 10
; WaveLimiterHint : 1
; COMPUTE_PGM_RSRC2:SCRATCH_EN: 0
; COMPUTE_PGM_RSRC2:USER_SGPR: 13
; COMPUTE_PGM_RSRC2:TRAP_HANDLER: 0
; COMPUTE_PGM_RSRC2:TGID_X_EN: 1
; COMPUTE_PGM_RSRC2:TGID_Y_EN: 1
; COMPUTE_PGM_RSRC2:TGID_Z_EN: 1
; COMPUTE_PGM_RSRC2:TIDIG_COMP_CNT: 0
	.section	.text._Z39paged_attention_ll4mi_QKV_mfma16_kernelI14__hip_bfloat16hLN4vllm18Fp8KVCacheDataTypeE1EhLi32ELi128ELi256ELb1ELi16EL8MFMAType1EEvPKT_PKT0_S9_ifPKiSB_SB_iPKfiiiPfSE_PS4_PT2_iSD_SD_,"axG",@progbits,_Z39paged_attention_ll4mi_QKV_mfma16_kernelI14__hip_bfloat16hLN4vllm18Fp8KVCacheDataTypeE1EhLi32ELi128ELi256ELb1ELi16EL8MFMAType1EEvPKT_PKT0_S9_ifPKiSB_SB_iPKfiiiPfSE_PS4_PT2_iSD_SD_,comdat
	.protected	_Z39paged_attention_ll4mi_QKV_mfma16_kernelI14__hip_bfloat16hLN4vllm18Fp8KVCacheDataTypeE1EhLi32ELi128ELi256ELb1ELi16EL8MFMAType1EEvPKT_PKT0_S9_ifPKiSB_SB_iPKfiiiPfSE_PS4_PT2_iSD_SD_ ; -- Begin function _Z39paged_attention_ll4mi_QKV_mfma16_kernelI14__hip_bfloat16hLN4vllm18Fp8KVCacheDataTypeE1EhLi32ELi128ELi256ELb1ELi16EL8MFMAType1EEvPKT_PKT0_S9_ifPKiSB_SB_iPKfiiiPfSE_PS4_PT2_iSD_SD_
	.globl	_Z39paged_attention_ll4mi_QKV_mfma16_kernelI14__hip_bfloat16hLN4vllm18Fp8KVCacheDataTypeE1EhLi32ELi128ELi256ELb1ELi16EL8MFMAType1EEvPKT_PKT0_S9_ifPKiSB_SB_iPKfiiiPfSE_PS4_PT2_iSD_SD_
	.p2align	8
	.type	_Z39paged_attention_ll4mi_QKV_mfma16_kernelI14__hip_bfloat16hLN4vllm18Fp8KVCacheDataTypeE1EhLi32ELi128ELi256ELb1ELi16EL8MFMAType1EEvPKT_PKT0_S9_ifPKiSB_SB_iPKfiiiPfSE_PS4_PT2_iSD_SD_,@function
_Z39paged_attention_ll4mi_QKV_mfma16_kernelI14__hip_bfloat16hLN4vllm18Fp8KVCacheDataTypeE1EhLi32ELi128ELi256ELb1ELi16EL8MFMAType1EEvPKT_PKT0_S9_ifPKiSB_SB_iPKfiiiPfSE_PS4_PT2_iSD_SD_: ; @_Z39paged_attention_ll4mi_QKV_mfma16_kernelI14__hip_bfloat16hLN4vllm18Fp8KVCacheDataTypeE1EhLi32ELi128ELi256ELb1ELi16EL8MFMAType1EEvPKT_PKT0_S9_ifPKiSB_SB_iPKfiiiPfSE_PS4_PT2_iSD_SD_
; %bb.0:
	s_load_b64 s[4:5], s[0:1], 0x30
	s_mov_b32 s30, s13
	s_waitcnt lgkmcnt(0)
	s_cmp_lg_u64 s[4:5], 0
	s_cselect_b32 s8, -1, 0
	s_ashr_i32 s31, s13, 31
	s_cmp_eq_u64 s[4:5], 0
	s_cbranch_scc1 .LBB1601_3
; %bb.1:
	s_lshl_b64 s[2:3], s[30:31], 2
	s_delay_alu instid0(SALU_CYCLE_1) | instskip(SKIP_4) | instid1(SALU_CYCLE_1)
	s_add_u32 s2, s4, s2
	s_addc_u32 s3, s5, s3
	s_load_b64 s[2:3], s[2:3], 0x0
	s_waitcnt lgkmcnt(0)
	s_sub_i32 s2, s3, s2
	s_cmp_eq_u32 s2, 1
	s_cselect_b32 s2, -1, 0
	s_delay_alu instid0(SALU_CYCLE_1)
	s_and_not1_b32 vcc_lo, exec_lo, s2
	s_cbranch_vccz .LBB1601_4
.LBB1601_2:
	s_endpgm
.LBB1601_3:
.LBB1601_4:
	s_load_b64 s[2:3], s[0:1], 0x28
	s_lshl_b64 s[6:7], s[30:31], 2
	s_waitcnt lgkmcnt(0)
	s_add_u32 s2, s2, s6
	s_addc_u32 s3, s3, s7
	s_lshl_b32 s12, s14, 8
	s_load_b32 s24, s[2:3], 0x0
	s_waitcnt lgkmcnt(0)
	s_cmp_ge_i32 s12, s24
	s_cbranch_scc1 .LBB1601_2
; %bb.5:
	s_clause 0x1
	s_load_b128 s[20:23], s[0:1], 0x8
	s_load_b64 s[2:3], s[0:1], 0x20
	s_and_not1_b32 vcc_lo, exec_lo, s8
	s_cbranch_vccnz .LBB1601_7
; %bb.6:
	s_add_u32 s4, s4, s6
	s_addc_u32 s5, s5, s7
	s_load_b32 s5, s[4:5], 0x0
	s_branch .LBB1601_8
.LBB1601_7:
	s_mov_b32 s5, s30
.LBB1601_8:
	s_load_b128 s[16:19], s[0:1], 0x48
	v_and_b32_e32 v66, 15, v0
	v_lshrrev_b32_e32 v65, 5, v0
	v_and_b32_e32 v67, 31, v0
	v_and_b32_e32 v75, 1, v0
	v_bfe_u32 v74, v0, 4, 1
	v_lshlrev_b32_e32 v1, 3, v66
	s_lshl_b32 s29, s15, 4
	s_mov_b32 s4, exec_lo
	s_delay_alu instid0(VALU_DEP_1)
	v_lshlrev_b32_e32 v73, 1, v1
	v_cmpx_gt_u32_e32 0x100, v0
	s_cbranch_execz .LBB1601_10
; %bb.9:
	v_lshl_or_b32 v5, v65, 1, v74
	s_load_b64 s[6:7], s[0:1], 0x0
	s_waitcnt lgkmcnt(0)
	s_mul_hi_i32 s9, s5, s16
	s_mul_i32 s8, s5, s16
	v_lshlrev_b32_e32 v6, 10, v66
	v_or_b32_e32 v1, s29, v5
	s_lshl_b64 s[8:9], s[8:9], 1
	v_lshlrev_b32_e32 v5, 6, v5
	v_lshlrev_b32_e32 v7, 10, v75
	v_and_b32_e32 v6, 0x3800, v6
	v_lshlrev_b32_e32 v1, 7, v1
	s_delay_alu instid0(VALU_DEP_2) | instskip(NEXT) | instid1(VALU_DEP_2)
	v_or3_b32 v5, v6, v7, v5
	v_ashrrev_i32_e32 v2, 31, v1
	s_delay_alu instid0(VALU_DEP_1) | instskip(SKIP_2) | instid1(VALU_DEP_1)
	v_lshlrev_b64 v[1:2], 1, v[1:2]
	s_add_u32 s5, s6, s8
	s_addc_u32 s6, s7, s9
	v_add_co_u32 v1, vcc_lo, s5, v1
	s_delay_alu instid0(VALU_DEP_2) | instskip(NEXT) | instid1(VALU_DEP_2)
	v_add_co_ci_u32_e32 v2, vcc_lo, s6, v2, vcc_lo
	v_add_co_u32 v1, vcc_lo, v1, v73
	s_delay_alu instid0(VALU_DEP_2)
	v_add_co_ci_u32_e32 v2, vcc_lo, 0, v2, vcc_lo
	global_load_b128 v[1:4], v[1:2], off
	s_waitcnt vmcnt(0)
	ds_store_b128 v5, v[1:4]
.LBB1601_10:
	s_or_b32 exec_lo, exec_lo, s4
	v_and_b32_e32 v1, 0xef, v0
	s_waitcnt lgkmcnt(0)
	s_add_i32 s5, s24, 31
	s_clause 0x1
	s_load_b32 s4, s[0:1], 0x38
	s_load_b32 s19, s[0:1], 0x1c
	s_ashr_i32 s6, s5, 31
	v_add_nc_u32_e32 v1, s12, v1
	s_lshr_b32 s6, s6, 27
	s_waitcnt lgkmcnt(0)
	s_add_i32 s5, s5, s6
	s_barrier
	v_ashrrev_i32_e32 v2, 31, v1
	v_or_b32_e32 v3, 16, v1
	s_ashr_i32 s13, s5, 5
	v_cmp_gt_i32_e32 vcc_lo, s24, v1
	s_add_i32 s13, s13, -1
	v_lshrrev_b32_e32 v2, 27, v2
	buffer_gl0_inv
	s_mul_i32 s31, s15, s18
	v_add_nc_u32_e32 v4, v1, v2
	s_mul_i32 s4, s30, s4
	s_delay_alu instid0(SALU_CYCLE_1) | instskip(NEXT) | instid1(VALU_DEP_1)
	s_ashr_i32 s5, s4, 31
	v_ashrrev_i32_e32 v4, 5, v4
	v_add_nc_u32_e32 v2, v3, v2
	s_lshl_b64 s[4:5], s[4:5], 2
	s_delay_alu instid0(SALU_CYCLE_1) | instskip(NEXT) | instid1(VALU_DEP_2)
	s_add_u32 s25, s2, s4
	v_cndmask_b32_e32 v1, s13, v4, vcc_lo
	s_delay_alu instid0(VALU_DEP_2)
	v_ashrrev_i32_e32 v2, 5, v2
	v_cmp_gt_i32_e32 vcc_lo, s24, v3
	s_addc_u32 s28, s3, s5
	s_ashr_i32 s33, s31, 31
	s_add_u32 s4, s20, s31
	s_addc_u32 s5, s21, s33
	v_cndmask_b32_e32 v3, s13, v2, vcc_lo
	v_ashrrev_i32_e32 v2, 31, v1
	s_lshl_b32 s2, s14, 3
	s_delay_alu instid0(SALU_CYCLE_1) | instskip(NEXT) | instid1(VALU_DEP_2)
	s_ashr_i32 s3, s2, 31
	v_ashrrev_i32_e32 v4, 31, v3
	s_delay_alu instid0(VALU_DEP_2) | instskip(SKIP_1) | instid1(SALU_CYCLE_1)
	v_lshlrev_b64 v[1:2], 2, v[1:2]
	s_lshl_b64 s[2:3], s[2:3], 2
	s_add_u32 s2, s25, s2
	s_delay_alu instid0(VALU_DEP_2) | instskip(SKIP_1) | instid1(VALU_DEP_2)
	v_lshlrev_b64 v[3:4], 2, v[3:4]
	s_addc_u32 s3, s28, s3
	v_add_co_u32 v1, vcc_lo, s25, v1
	v_add_co_ci_u32_e32 v2, vcc_lo, s28, v2, vcc_lo
	s_delay_alu instid0(VALU_DEP_3) | instskip(NEXT) | instid1(VALU_DEP_4)
	v_add_co_u32 v3, vcc_lo, s25, v3
	v_add_co_ci_u32_e32 v4, vcc_lo, s28, v4, vcc_lo
	s_clause 0x1
	global_load_b32 v5, v[1:2], off
	global_load_b32 v6, v[3:4], off
	s_or_b32 s6, s12, 32
	s_delay_alu instid0(SALU_CYCLE_1) | instskip(SKIP_2) | instid1(SALU_CYCLE_1)
	s_ashr_i32 s7, s6, 5
	s_cmp_lt_i32 s6, s24
	s_cselect_b32 s6, s7, s13
	s_ashr_i32 s7, s6, 31
	s_delay_alu instid0(SALU_CYCLE_1) | instskip(NEXT) | instid1(SALU_CYCLE_1)
	s_lshl_b64 s[6:7], s[6:7], 2
	s_add_u32 s6, s25, s6
	s_addc_u32 s7, s28, s7
	s_or_b32 s8, s12, 64
	s_delay_alu instid0(SALU_CYCLE_1) | instskip(SKIP_2) | instid1(SALU_CYCLE_1)
	s_ashr_i32 s9, s8, 5
	s_cmp_lt_i32 s8, s24
	s_cselect_b32 s8, s9, s13
	s_ashr_i32 s9, s8, 31
	s_delay_alu instid0(SALU_CYCLE_1) | instskip(NEXT) | instid1(SALU_CYCLE_1)
	s_lshl_b64 s[8:9], s[8:9], 2
	s_add_u32 s8, s25, s8
	s_addc_u32 s9, s28, s9
	;; [unrolled: 10-line block ×5, first 2 shown]
	s_clause 0x5
	s_load_b32 s20, s[2:3], 0x0
	s_load_b32 s2, s[6:7], 0x0
	;; [unrolled: 1-line block ×6, first 2 shown]
	s_or_b32 s8, s12, 0xc0
	s_delay_alu instid0(SALU_CYCLE_1) | instskip(SKIP_2) | instid1(SALU_CYCLE_1)
	s_ashr_i32 s9, s8, 5
	s_cmp_lt_i32 s8, s24
	s_cselect_b32 s26, s9, s13
	s_ashr_i32 s27, s26, 31
	s_delay_alu instid0(SALU_CYCLE_1) | instskip(NEXT) | instid1(SALU_CYCLE_1)
	s_lshl_b64 s[26:27], s[26:27], 2
	s_add_u32 s26, s25, s26
	s_addc_u32 s27, s28, s27
	s_or_b32 s21, s12, 0xe0
	s_waitcnt vmcnt(1)
	v_mad_i64_i32 v[1:2], null, v5, s17, s[4:5]
	s_waitcnt vmcnt(0)
	v_mad_i64_i32 v[3:4], null, v6, s17, s[4:5]
	s_mov_b32 s4, 0
	s_delay_alu instid0(SALU_CYCLE_1)
	s_mov_b32 s5, s4
	s_mov_b32 s6, s4
	;; [unrolled: 1-line block ×7, first 2 shown]
	s_delay_alu instid0(SALU_CYCLE_1) | instskip(SKIP_2) | instid1(VALU_DEP_3)
	v_dual_mov_b32 v108, s11 :: v_dual_lshlrev_b32 v5, 4, v66
	v_mov_b32_e32 v104, s7
	v_dual_mov_b32 v105, s8 :: v_dual_lshlrev_b32 v76, 6, v66
	v_add_co_u32 v33, vcc_lo, v1, v5
	v_add_co_ci_u32_e32 v34, vcc_lo, 0, v2, vcc_lo
	v_add_co_u32 v35, vcc_lo, v3, v5
	v_add_co_ci_u32_e32 v36, vcc_lo, 0, v4, vcc_lo
	s_clause 0xf
	global_load_b128 v[1:4], v[33:34], off
	global_load_b128 v[5:8], v[33:34], off offset:512
	global_load_b128 v[9:12], v[35:36], off offset:256
	;; [unrolled: 1-line block ×15, first 2 shown]
	v_dual_mov_b32 v102, s5 :: v_dual_lshlrev_b32 v41, 5, v66
	v_dual_mov_b32 v107, s10 :: v_dual_mov_b32 v106, s9
	v_mov_b32_e32 v103, s6
	v_mov_b32_e32 v101, s4
	s_ashr_i32 s4, s21, 5
	s_cmp_lt_i32 s21, s24
	ds_load_b128 v[33:36], v76
	ds_load_b128 v[37:40], v76 offset:1024
	s_cselect_b32 s4, s4, s13
	ds_load_b128 v[109:112], v76 offset:2048
	ds_load_b128 v[113:116], v76 offset:3072
	s_ashr_i32 s5, s4, 31
	v_lshl_or_b32 v41, v65, 9, v41
	s_lshl_b64 s[4:5], s[4:5], 2
	s_load_b32 s6, s[26:27], 0x0
	s_add_u32 s4, s25, s4
	s_addc_u32 s5, s28, s5
	ds_load_b128 v[117:120], v76 offset:4096
	ds_load_b128 v[121:124], v76 offset:5120
	s_load_b32 s4, s[4:5], 0x0
	s_add_u32 s7, s22, s31
	s_addc_u32 s8, s23, s33
	v_add_co_u32 v68, s7, s7, v41
	s_delay_alu instid0(VALU_DEP_1) | instskip(SKIP_1) | instid1(VALU_DEP_1)
	v_add_co_ci_u32_e64 v69, null, s8, 0, s7
	s_waitcnt lgkmcnt(0)
	v_mad_i64_i32 v[41:42], null, s20, s17, v[68:69]
	v_mad_i64_i32 v[70:71], null, s3, s17, v[68:69]
	;; [unrolled: 1-line block ×7, first 2 shown]
	s_clause 0x3
	global_load_b128 v[49:52], v[41:42], off
	global_load_b128 v[53:56], v[41:42], off offset:16
	global_load_b128 v[41:44], v[45:46], off
	global_load_b128 v[45:48], v[45:46], off offset:16
	s_waitcnt vmcnt(18)
	v_wmma_f32_16x16x16_bf16 v[125:132], v[1:8], v[33:40], v[101:108]
	s_waitcnt vmcnt(16)
	v_wmma_f32_16x16x16_bf16 v[101:108], v[9:16], v[33:40], v[101:108]
	s_clause 0x1
	global_load_b128 v[33:36], v[70:71], off
	global_load_b128 v[37:40], v[70:71], off offset:16
	v_mad_i64_i32 v[70:71], null, s4, s17, v[68:69]
	s_waitcnt vmcnt(16)
	v_wmma_f32_16x16x16_bf16 v[125:132], v[17:24], v[109:116], v[125:132]
	s_waitcnt vmcnt(14)
	v_wmma_f32_16x16x16_bf16 v[101:108], v[25:32], v[109:116], v[101:108]
	s_clause 0x7
	global_load_b128 v[25:28], v[133:134], off
	global_load_b128 v[29:32], v[133:134], off offset:16
	global_load_b128 v[1:4], v[135:136], off
	global_load_b128 v[5:8], v[135:136], off offset:16
	;; [unrolled: 2-line block ×4, first 2 shown]
	s_waitcnt vmcnt(20)
	v_wmma_f32_16x16x16_bf16 v[125:132], v[57:64], v[117:124], v[125:132]
	s_clause 0x1
	global_load_b128 v[57:60], v[70:71], off
	global_load_b128 v[61:64], v[70:71], off offset:16
	s_waitcnt vmcnt(20)
	v_wmma_f32_16x16x16_bf16 v[101:108], v[77:84], v[117:124], v[101:108]
	ds_load_b128 v[77:80], v76 offset:6144
	ds_load_b128 v[81:84], v76 offset:7168
	v_and_b32_e32 v68, 0xe0, v0
	v_mbcnt_lo_u32_b32 v69, -1, 0
	s_waitcnt vmcnt(0) lgkmcnt(0)
	s_barrier
	buffer_gl0_inv
	v_add_nc_u32_e32 v68, s12, v68
	v_xor_b32_e32 v70, 16, v69
	s_delay_alu instid0(VALU_DEP_2) | instskip(NEXT) | instid1(VALU_DEP_2)
	v_or_b32_e32 v68, v68, v74
	v_cmp_gt_i32_e32 vcc_lo, 32, v70
	s_delay_alu instid0(VALU_DEP_2)
	v_or_b32_e32 v71, 4, v68
	v_or_b32_e32 v72, 6, v68
	v_cmp_gt_i32_e64 s2, s24, v68
	v_or_b32_e32 v109, 8, v68
	v_wmma_f32_16x16x16_bf16 v[125:132], v[85:92], v[77:84], v[125:132]
	v_cndmask_b32_e32 v69, v69, v70, vcc_lo
	v_or_b32_e32 v70, 2, v68
	v_wmma_f32_16x16x16_bf16 v[101:108], v[93:100], v[77:84], v[101:108]
	v_or_b32_e32 v85, 10, v68
	v_dual_mul_f32 v80, s19, v132 :: v_dual_mul_f32 v93, s19, v127
	v_dual_mul_f32 v94, s19, v126 :: v_dual_mul_f32 v95, s19, v125
	s_delay_alu instid0(VALU_DEP_4) | instskip(SKIP_2) | instid1(VALU_DEP_4)
	v_mul_f32_e32 v96, s19, v108
	v_cmp_gt_i32_e32 vcc_lo, s24, v70
	v_dual_mul_f32 v83, s19, v129 :: v_dual_mul_f32 v84, s19, v128
	v_cndmask_b32_e64 v95, 0xff7fffff, v95, s2
	v_cmp_gt_i32_e64 s3, s24, v71
	v_cndmask_b32_e32 v94, 0xff7fffff, v94, vcc_lo
	v_cmp_gt_i32_e64 s4, s24, v72
	v_or_b32_e32 v86, 12, v68
	v_or_b32_e32 v87, 14, v68
	v_dual_mul_f32 v81, s19, v131 :: v_dual_mul_f32 v82, s19, v130
	v_cndmask_b32_e64 v93, 0xff7fffff, v93, s3
	v_cndmask_b32_e64 v72, 0xff7fffff, v84, s4
	v_max3_f32 v84, v95, 0xff7fffff, v94
	v_cmp_gt_i32_e64 s5, s24, v109
	v_cmp_gt_i32_e64 s6, s24, v85
	v_or_b32_e32 v88, 16, v68
	v_or_b32_e32 v89, 18, v68
	v_max3_f32 v72, v84, v93, v72
	v_cndmask_b32_e64 v83, 0xff7fffff, v83, s5
	v_cndmask_b32_e64 v82, 0xff7fffff, v82, s6
	v_cmp_gt_i32_e64 s7, s24, v86
	v_cmp_gt_i32_e64 s8, s24, v87
	v_or_b32_e32 v90, 20, v68
	v_or_b32_e32 v91, 22, v68
	;; [unrolled: 1-line block ×6, first 2 shown]
	v_dual_mul_f32 v70, s19, v103 :: v_dual_mul_f32 v71, s19, v101
	v_mul_f32_e32 v68, s19, v102
	v_cndmask_b32_e64 v81, 0xff7fffff, v81, s7
	v_cndmask_b32_e64 v80, 0xff7fffff, v80, s8
	v_max3_f32 v72, v72, v83, v82
	v_cmp_gt_i32_e64 s9, s24, v88
	v_cmp_gt_i32_e64 s10, s24, v89
	v_dual_mul_f32 v99, s19, v105 :: v_dual_mul_f32 v100, s19, v104
	s_delay_alu instid0(VALU_DEP_4) | instskip(NEXT) | instid1(VALU_DEP_4)
	v_max3_f32 v72, v72, v81, v80
	v_cndmask_b32_e64 v71, 0xff7fffff, v71, s9
	s_delay_alu instid0(VALU_DEP_4) | instskip(SKIP_3) | instid1(VALU_DEP_4)
	v_cndmask_b32_e64 v68, 0xff7fffff, v68, s10
	v_cmp_gt_i32_e64 s11, s24, v90
	v_cmp_gt_i32_e64 s12, s24, v91
	v_dual_mul_f32 v97, s19, v107 :: v_dual_mul_f32 v98, s19, v106
	v_max3_f32 v68, v72, v71, v68
	s_delay_alu instid0(VALU_DEP_4) | instskip(NEXT) | instid1(VALU_DEP_4)
	v_cndmask_b32_e64 v70, 0xff7fffff, v70, s11
	v_cndmask_b32_e64 v80, 0xff7fffff, v100, s12
	v_cmp_gt_i32_e64 s13, s24, v92
	v_cmp_gt_i32_e64 s15, s24, v77
	;; [unrolled: 1-line block ×4, first 2 shown]
	v_max3_f32 v68, v68, v70, v80
	v_cndmask_b32_e64 v71, 0xff7fffff, v99, s13
	v_cndmask_b32_e64 v72, 0xff7fffff, v98, s15
	;; [unrolled: 1-line block ×4, first 2 shown]
	v_lshlrev_b32_e32 v90, 2, v69
	s_delay_alu instid0(VALU_DEP_4) | instskip(NEXT) | instid1(VALU_DEP_1)
	v_max3_f32 v68, v68, v71, v72
	v_max3_f32 v68, v68, v70, v77
	ds_bpermute_b32 v69, v90, v68
	s_waitcnt lgkmcnt(0)
	v_max_f32_e32 v69, v69, v69
	s_delay_alu instid0(VALU_DEP_1) | instskip(NEXT) | instid1(VALU_DEP_1)
	v_max_f32_e32 v81, v68, v69
	v_fma_f32 v68, s19, v125, -v81
	v_fma_f32 v69, s19, v126, -v81
	;; [unrolled: 1-line block ×5, first 2 shown]
	s_delay_alu instid0(VALU_DEP_4) | instskip(NEXT) | instid1(VALU_DEP_3)
	v_dual_mul_f32 v68, 0x3fb8aa3b, v68 :: v_dual_mul_f32 v69, 0x3fb8aa3b, v69
	v_dual_mul_f32 v70, 0x3fb8aa3b, v70 :: v_dual_mul_f32 v71, 0x3fb8aa3b, v71
	v_fma_f32 v78, s19, v131, -v81
	s_delay_alu instid0(VALU_DEP_3) | instskip(NEXT) | instid1(VALU_DEP_3)
	v_exp_f32_e32 v68, v68
	v_exp_f32_e32 v69, v69
	s_delay_alu instid0(VALU_DEP_2)
	v_exp_f32_e32 v70, v70
	v_mul_f32_e32 v72, 0x3fb8aa3b, v72
	v_exp_f32_e32 v71, v71
	v_mul_f32_e32 v78, 0x3fb8aa3b, v78
	v_fma_f32 v80, s19, v106, -v81
	v_cndmask_b32_e64 v82, 0, v68, s2
	s_delay_alu instid0(TRANS32_DEP_3) | instskip(SKIP_2) | instid1(TRANS32_DEP_3)
	v_cndmask_b32_e32 v77, 0, v69, vcc_lo
	v_fma_f32 v68, s19, v130, -v81
	v_exp_f32_e32 v72, v72
	v_cndmask_b32_e64 v83, 0, v70, s3
	v_add_f32_e32 v69, 0, v82
	v_fma_f32 v70, s19, v132, -v81
	v_mul_f32_e32 v68, 0x3fb8aa3b, v68
	v_cndmask_b32_e64 v85, 0, v71, s4
	v_fma_f32 v71, s19, v101, -v81
	s_delay_alu instid0(VALU_DEP_4) | instskip(NEXT) | instid1(VALU_DEP_4)
	v_dual_add_f32 v69, v69, v77 :: v_dual_mul_f32 v70, 0x3fb8aa3b, v70
	v_exp_f32_e32 v68, v68
	s_delay_alu instid0(TRANS32_DEP_2) | instskip(SKIP_1) | instid1(VALU_DEP_3)
	v_cndmask_b32_e64 v86, 0, v72, s5
	v_fma_f32 v72, s19, v102, -v81
	v_add_f32_e32 v69, v69, v83
	v_exp_f32_e32 v78, v78
	v_exp_f32_e32 v70, v70
	s_mov_b32 s2, exec_lo
	s_delay_alu instid0(VALU_DEP_1) | instskip(SKIP_1) | instid1(TRANS32_DEP_3)
	v_dual_mul_f32 v72, 0x3fb8aa3b, v72 :: v_dual_add_f32 v69, v69, v85
	v_mul_f32_e32 v71, 0x3fb8aa3b, v71
	v_cndmask_b32_e64 v87, 0, v68, s6
	s_delay_alu instid0(VALU_DEP_3) | instskip(NEXT) | instid1(VALU_DEP_3)
	v_exp_f32_e32 v72, v72
	v_add_f32_e32 v68, v69, v86
	v_fma_f32 v69, s19, v103, -v81
	v_exp_f32_e32 v71, v71
	v_cndmask_b32_e64 v84, 0, v78, s7
	v_fma_f32 v78, s19, v104, -v81
	s_delay_alu instid0(VALU_DEP_3) | instskip(SKIP_2) | instid1(VALU_DEP_3)
	v_dual_add_f32 v68, v68, v87 :: v_dual_mul_f32 v69, 0x3fb8aa3b, v69
	v_cndmask_b32_e64 v88, 0, v70, s8
	v_fma_f32 v70, s19, v105, -v81
	v_exp_f32_e32 v79, v69
	s_delay_alu instid0(TRANS32_DEP_2) | instskip(SKIP_1) | instid1(VALU_DEP_1)
	v_cndmask_b32_e64 v69, 0, v71, s9
	v_add_f32_e32 v68, v68, v84
	v_dual_mul_f32 v78, 0x3fb8aa3b, v78 :: v_dual_add_f32 v71, v68, v88
	s_delay_alu instid0(VALU_DEP_1) | instskip(SKIP_2) | instid1(VALU_DEP_3)
	v_exp_f32_e32 v78, v78
	v_cndmask_b32_e64 v68, 0, v72, s10
	v_fma_f32 v72, s19, v107, -v81
	v_dual_add_f32 v71, v71, v69 :: v_dual_mul_f32 v70, 0x3fb8aa3b, v70
	s_delay_alu instid0(VALU_DEP_1) | instskip(NEXT) | instid1(TRANS32_DEP_3)
	v_exp_f32_e32 v89, v70
	v_cndmask_b32_e64 v70, 0, v79, s11
	s_delay_alu instid0(VALU_DEP_2) | instskip(NEXT) | instid1(TRANS32_DEP_2)
	v_add_f32_e32 v79, v71, v68
	v_cndmask_b32_e64 v71, 0, v78, s12
	s_delay_alu instid0(VALU_DEP_2) | instskip(SKIP_2) | instid1(VALU_DEP_1)
	v_add_f32_e32 v78, v79, v70
	v_mul_f32_e32 v80, 0x3fb8aa3b, v80
	v_fma_f32 v79, s19, v108, -v81
	v_dual_mul_f32 v72, 0x3fb8aa3b, v72 :: v_dual_mul_f32 v79, 0x3fb8aa3b, v79
	s_delay_alu instid0(VALU_DEP_1) | instskip(NEXT) | instid1(TRANS32_DEP_2)
	v_exp_f32_e32 v91, v72
	v_cndmask_b32_e64 v72, 0, v89, s13
	v_add_f32_e32 v89, v78, v71
	v_exp_f32_e32 v80, v80
	s_waitcnt_depctr 0xfff
	v_cndmask_b32_e64 v78, 0, v80, s15
	v_add_f32_e32 v80, v89, v72
	v_exp_f32_e32 v89, v79
	v_cndmask_b32_e64 v79, 0, v91, s16
	s_delay_alu instid0(VALU_DEP_2) | instskip(NEXT) | instid1(VALU_DEP_1)
	v_add_f32_e32 v80, v80, v78
	v_add_f32_e32 v91, v80, v79
	s_waitcnt_depctr 0xfff
	v_cndmask_b32_e64 v80, 0, v89, s17
	s_delay_alu instid0(VALU_DEP_1)
	v_add_f32_e32 v89, v91, v80
	ds_bpermute_b32 v90, v90, v89
	v_cmpx_gt_u32_e32 16, v67
	s_cbranch_execz .LBB1601_12
; %bb.11:
	v_mul_u32_u24_e32 v67, 0x44, v65
	s_waitcnt lgkmcnt(0)
	v_add_f32_e32 v89, v89, v90
	s_delay_alu instid0(VALU_DEP_2) | instskip(NEXT) | instid1(VALU_DEP_1)
	v_lshl_add_u32 v67, v66, 2, v67
	v_add_nc_u32_e32 v67, 0x4000, v67
	ds_store_2addr_b32 v67, v81, v89 offset1:136
.LBB1601_12:
	s_or_b32 exec_lo, exec_lo, s2
	v_lshlrev_b32_e32 v66, 2, v66
	s_waitcnt lgkmcnt(0)
	s_barrier
	buffer_gl0_inv
	v_cmp_eq_u32_e32 vcc_lo, 1, v65
	v_add_nc_u32_e32 v81, 0x4000, v66
	v_cmp_eq_u32_e64 s2, 2, v65
	v_cmp_eq_u32_e64 s4, 7, v65
	ds_load_2addr_b32 v[89:90], v81 offset1:17
	ds_load_2addr_b32 v[91:92], v81 offset0:34 offset1:51
	ds_load_2addr_b32 v[93:94], v81 offset0:68 offset1:85
	;; [unrolled: 1-line block ×4, first 2 shown]
	s_waitcnt lgkmcnt(4)
	v_max3_f32 v66, v89, 0xff7fffff, v90
	s_waitcnt lgkmcnt(3)
	s_delay_alu instid0(VALU_DEP_1) | instskip(SKIP_1) | instid1(VALU_DEP_1)
	v_max3_f32 v66, v66, v91, v92
	s_waitcnt lgkmcnt(2)
	v_max3_f32 v66, v66, v93, v94
	s_waitcnt lgkmcnt(1)
	s_delay_alu instid0(VALU_DEP_1) | instskip(NEXT) | instid1(VALU_DEP_1)
	v_max3_f32 v66, v66, v95, v96
	v_sub_f32_e32 v67, v89, v66
	v_sub_f32_e32 v91, v91, v66
	;; [unrolled: 1-line block ×3, first 2 shown]
	s_delay_alu instid0(VALU_DEP_3) | instskip(NEXT) | instid1(VALU_DEP_3)
	v_mul_f32_e32 v67, 0x3fb8aa3b, v67
	v_mul_f32_e32 v101, 0x3fb8aa3b, v91
	s_delay_alu instid0(VALU_DEP_3) | instskip(NEXT) | instid1(VALU_DEP_3)
	v_mul_f32_e32 v103, 0x3fb8aa3b, v93
	v_exp_f32_e32 v100, v67
	v_sub_f32_e32 v67, v92, v66
	v_sub_f32_e32 v99, v90, v66
	ds_load_2addr_b32 v[89:90], v81 offset0:170 offset1:187
	ds_load_2addr_b32 v[91:92], v81 offset0:204 offset1:221
	v_exp_f32_e32 v101, v101
	v_mul_f32_e32 v102, 0x3fb8aa3b, v67
	v_mul_f32_e32 v99, 0x3fb8aa3b, v99
	s_waitcnt lgkmcnt(2)
	v_fma_f32 v67, v100, v97, 0
	v_sub_f32_e32 v97, v94, v66
	s_delay_alu instid0(VALU_DEP_3)
	v_exp_f32_e32 v99, v99
	v_exp_f32_e32 v102, v102
	ds_load_2addr_b32 v[93:94], v81 offset0:238 offset1:255
	v_sub_f32_e32 v81, v95, v66
	v_mul_f32_e32 v95, 0x3fb8aa3b, v97
	v_exp_f32_e32 v97, v103
	s_waitcnt lgkmcnt(0)
	s_barrier
	v_mul_f32_e32 v81, 0x3fb8aa3b, v81
	v_exp_f32_e32 v95, v95
	v_fmac_f32_e32 v67, v99, v98
	buffer_gl0_inv
	v_exp_f32_e32 v81, v81
	v_fmac_f32_e32 v67, v101, v89
	v_sub_f32_e32 v89, v96, v66
	s_delay_alu instid0(VALU_DEP_2) | instskip(NEXT) | instid1(VALU_DEP_2)
	v_fmac_f32_e32 v67, v102, v90
	v_mul_f32_e32 v89, 0x3fb8aa3b, v89
	s_delay_alu instid0(VALU_DEP_2) | instskip(NEXT) | instid1(VALU_DEP_2)
	v_fmac_f32_e32 v67, v97, v91
	v_exp_f32_e32 v89, v89
	s_delay_alu instid0(VALU_DEP_1)
	v_fmac_f32_e32 v67, v95, v92
	s_delay_alu instid0(TRANS32_DEP_2) | instid1(VALU_DEP_1)
	v_fmac_f32_e32 v67, v81, v93
	s_waitcnt_depctr 0xfff
	v_fmac_f32_e32 v67, v89, v94
	s_delay_alu instid0(VALU_DEP_1) | instskip(NEXT) | instid1(VALU_DEP_1)
	v_add_f32_e32 v90, 0x358637bd, v67
	v_div_scale_f32 v91, null, v90, v90, 1.0
	v_div_scale_f32 v94, s3, 1.0, v90, 1.0
	s_delay_alu instid0(VALU_DEP_2) | instskip(SKIP_2) | instid1(VALU_DEP_1)
	v_rcp_f32_e32 v92, v91
	s_waitcnt_depctr 0xfff
	v_fma_f32 v93, -v91, v92, 1.0
	v_dual_fmac_f32 v92, v93, v92 :: v_dual_cndmask_b32 v93, v100, v99
	v_cmp_eq_u32_e32 vcc_lo, 3, v65
	s_delay_alu instid0(VALU_DEP_2) | instskip(NEXT) | instid1(VALU_DEP_3)
	v_mul_f32_e32 v96, v94, v92
	v_cndmask_b32_e64 v93, v93, v101, s2
	v_cmp_eq_u32_e64 s2, 4, v65
	s_delay_alu instid0(VALU_DEP_3) | instskip(NEXT) | instid1(VALU_DEP_3)
	v_fma_f32 v98, -v91, v96, v94
	v_cndmask_b32_e32 v93, v93, v102, vcc_lo
	v_cmp_eq_u32_e32 vcc_lo, 5, v65
	s_delay_alu instid0(VALU_DEP_3) | instskip(NEXT) | instid1(VALU_DEP_3)
	v_fmac_f32_e32 v96, v98, v92
	v_cndmask_b32_e64 v93, v93, v97, s2
	v_cmp_eq_u32_e64 s2, 6, v65
	s_delay_alu instid0(VALU_DEP_3) | instskip(NEXT) | instid1(VALU_DEP_3)
	v_fma_f32 v91, -v91, v96, v94
	v_cndmask_b32_e32 v93, v93, v95, vcc_lo
	s_mov_b32 vcc_lo, s3
	s_delay_alu instid0(VALU_DEP_2) | instskip(NEXT) | instid1(VALU_DEP_2)
	v_div_fmas_f32 v91, v91, v92, v96
	v_cndmask_b32_e64 v81, v93, v81, s2
	s_mov_b32 s2, exec_lo
	s_delay_alu instid0(VALU_DEP_2) | instskip(NEXT) | instid1(VALU_DEP_2)
	v_div_fixup_f32 v90, v91, v90, 1.0
	v_cndmask_b32_e64 v81, v81, v89, s4
	s_delay_alu instid0(VALU_DEP_1) | instskip(NEXT) | instid1(VALU_DEP_1)
	v_mul_f32_e32 v81, v81, v90
	v_mul_f32_e32 v90, v81, v82
	;; [unrolled: 1-line block ×6, first 2 shown]
	v_dual_mul_f32 v86, v81, v83 :: v_dual_and_b32 v91, 0x7f800000, v90
	v_mul_f32_e32 v89, v81, v85
	v_mul_f32_e32 v85, v81, v77
                                        ; implicit-def: $vgpr77
	s_delay_alu instid0(VALU_DEP_3)
	v_cmpx_ne_u32_e32 0x7f800000, v91
	s_xor_b32 s2, exec_lo, s2
; %bb.13:
	v_bfe_u32 v77, v90, 16, 1
	s_delay_alu instid0(VALU_DEP_1)
	v_add3_u32 v77, v90, v77, 0x7fff
                                        ; implicit-def: $vgpr90
; %bb.14:
	s_and_not1_saveexec_b32 s2, s2
; %bb.15:
	v_and_b32_e32 v77, 0xffff, v90
	v_or_b32_e32 v83, 0x10000, v90
	s_delay_alu instid0(VALU_DEP_2) | instskip(NEXT) | instid1(VALU_DEP_2)
	v_cmp_eq_u32_e32 vcc_lo, 0, v77
	v_cndmask_b32_e32 v77, v83, v90, vcc_lo
; %bb.16:
	s_or_b32 exec_lo, exec_lo, s2
	v_and_b32_e32 v83, 0x7f800000, v85
	s_delay_alu instid0(VALU_DEP_1) | instskip(SKIP_1) | instid1(SALU_CYCLE_1)
	v_cmp_ne_u32_e32 vcc_lo, 0x7f800000, v83
                                        ; implicit-def: $vgpr83
	s_and_saveexec_b32 s2, vcc_lo
	s_xor_b32 s2, exec_lo, s2
; %bb.17:
	v_bfe_u32 v83, v85, 16, 1
	s_delay_alu instid0(VALU_DEP_1)
	v_add3_u32 v83, v85, v83, 0x7fff
                                        ; implicit-def: $vgpr85
; %bb.18:
	s_and_not1_saveexec_b32 s2, s2
; %bb.19:
	v_and_b32_e32 v83, 0xffff, v85
	v_or_b32_e32 v90, 0x10000, v85
	s_delay_alu instid0(VALU_DEP_2) | instskip(NEXT) | instid1(VALU_DEP_2)
	v_cmp_eq_u32_e32 vcc_lo, 0, v83
	v_cndmask_b32_e32 v83, v90, v85, vcc_lo
; %bb.20:
	s_or_b32 exec_lo, exec_lo, s2
	v_and_b32_e32 v85, 0x7f800000, v86
	s_delay_alu instid0(VALU_DEP_1) | instskip(SKIP_1) | instid1(SALU_CYCLE_1)
	v_cmp_ne_u32_e32 vcc_lo, 0x7f800000, v85
                                        ; implicit-def: $vgpr85
	s_and_saveexec_b32 s2, vcc_lo
	s_xor_b32 s2, exec_lo, s2
; %bb.21:
	v_bfe_u32 v85, v86, 16, 1
	s_delay_alu instid0(VALU_DEP_1)
	v_add3_u32 v85, v86, v85, 0x7fff
                                        ; implicit-def: $vgpr86
; %bb.22:
	s_and_not1_saveexec_b32 s2, s2
; %bb.23:
	v_and_b32_e32 v85, 0xffff, v86
	v_or_b32_e32 v90, 0x10000, v86
	s_delay_alu instid0(VALU_DEP_2) | instskip(NEXT) | instid1(VALU_DEP_2)
	v_cmp_eq_u32_e32 vcc_lo, 0, v85
	v_cndmask_b32_e32 v85, v90, v86, vcc_lo
; %bb.24:
	s_or_b32 exec_lo, exec_lo, s2
	v_and_b32_e32 v86, 0x7f800000, v89
	s_delay_alu instid0(VALU_DEP_1) | instskip(SKIP_1) | instid1(SALU_CYCLE_1)
	v_cmp_ne_u32_e32 vcc_lo, 0x7f800000, v86
                                        ; implicit-def: $vgpr86
	s_and_saveexec_b32 s2, vcc_lo
	s_xor_b32 s2, exec_lo, s2
; %bb.25:
	v_bfe_u32 v86, v89, 16, 1
	s_delay_alu instid0(VALU_DEP_1)
	v_add3_u32 v86, v89, v86, 0x7fff
                                        ; implicit-def: $vgpr89
; %bb.26:
	s_and_not1_saveexec_b32 s2, s2
; %bb.27:
	v_and_b32_e32 v86, 0xffff, v89
	v_or_b32_e32 v90, 0x10000, v89
	s_delay_alu instid0(VALU_DEP_2) | instskip(NEXT) | instid1(VALU_DEP_2)
	v_cmp_eq_u32_e32 vcc_lo, 0, v86
	v_cndmask_b32_e32 v86, v90, v89, vcc_lo
; %bb.28:
	s_or_b32 exec_lo, exec_lo, s2
	v_and_b32_e32 v89, 0x7f800000, v88
	s_delay_alu instid0(VALU_DEP_1) | instskip(SKIP_1) | instid1(SALU_CYCLE_1)
	v_cmp_ne_u32_e32 vcc_lo, 0x7f800000, v89
                                        ; implicit-def: $vgpr89
	s_and_saveexec_b32 s2, vcc_lo
	s_xor_b32 s2, exec_lo, s2
; %bb.29:
	v_bfe_u32 v89, v88, 16, 1
	s_delay_alu instid0(VALU_DEP_1)
	v_add3_u32 v89, v88, v89, 0x7fff
                                        ; implicit-def: $vgpr88
; %bb.30:
	s_and_not1_saveexec_b32 s2, s2
; %bb.31:
	v_and_b32_e32 v89, 0xffff, v88
	v_or_b32_e32 v90, 0x10000, v88
	s_delay_alu instid0(VALU_DEP_2) | instskip(NEXT) | instid1(VALU_DEP_2)
	v_cmp_eq_u32_e32 vcc_lo, 0, v89
	v_cndmask_b32_e32 v89, v90, v88, vcc_lo
; %bb.32:
	s_or_b32 exec_lo, exec_lo, s2
	v_and_b32_e32 v88, 0x7f800000, v87
	s_delay_alu instid0(VALU_DEP_1) | instskip(SKIP_1) | instid1(SALU_CYCLE_1)
	v_cmp_ne_u32_e32 vcc_lo, 0x7f800000, v88
                                        ; implicit-def: $vgpr88
	s_and_saveexec_b32 s2, vcc_lo
	s_xor_b32 s2, exec_lo, s2
; %bb.33:
	v_bfe_u32 v88, v87, 16, 1
	s_delay_alu instid0(VALU_DEP_1)
	v_add3_u32 v88, v87, v88, 0x7fff
                                        ; implicit-def: $vgpr87
; %bb.34:
	s_and_not1_saveexec_b32 s2, s2
; %bb.35:
	v_and_b32_e32 v88, 0xffff, v87
	v_or_b32_e32 v90, 0x10000, v87
	s_delay_alu instid0(VALU_DEP_2) | instskip(NEXT) | instid1(VALU_DEP_2)
	v_cmp_eq_u32_e32 vcc_lo, 0, v88
	v_cndmask_b32_e32 v88, v90, v87, vcc_lo
; %bb.36:
	s_or_b32 exec_lo, exec_lo, s2
	v_and_b32_e32 v87, 0x7f800000, v84
	s_delay_alu instid0(VALU_DEP_1) | instskip(SKIP_1) | instid1(SALU_CYCLE_1)
	v_cmp_ne_u32_e32 vcc_lo, 0x7f800000, v87
                                        ; implicit-def: $vgpr87
	s_and_saveexec_b32 s2, vcc_lo
	s_xor_b32 s2, exec_lo, s2
; %bb.37:
	v_bfe_u32 v87, v84, 16, 1
	s_delay_alu instid0(VALU_DEP_1)
	v_add3_u32 v87, v84, v87, 0x7fff
                                        ; implicit-def: $vgpr84
; %bb.38:
	s_and_not1_saveexec_b32 s2, s2
; %bb.39:
	v_and_b32_e32 v87, 0xffff, v84
	v_or_b32_e32 v90, 0x10000, v84
	s_delay_alu instid0(VALU_DEP_2) | instskip(NEXT) | instid1(VALU_DEP_2)
	v_cmp_eq_u32_e32 vcc_lo, 0, v87
	v_cndmask_b32_e32 v87, v90, v84, vcc_lo
; %bb.40:
	s_or_b32 exec_lo, exec_lo, s2
	v_and_b32_e32 v84, 0x7f800000, v82
	s_delay_alu instid0(VALU_DEP_1) | instskip(SKIP_1) | instid1(SALU_CYCLE_1)
	v_cmp_ne_u32_e32 vcc_lo, 0x7f800000, v84
                                        ; implicit-def: $vgpr84
	s_and_saveexec_b32 s2, vcc_lo
	s_xor_b32 s2, exec_lo, s2
; %bb.41:
	v_bfe_u32 v84, v82, 16, 1
	s_delay_alu instid0(VALU_DEP_1)
	v_add3_u32 v84, v82, v84, 0x7fff
                                        ; implicit-def: $vgpr82
; %bb.42:
	s_and_not1_saveexec_b32 s2, s2
; %bb.43:
	v_and_b32_e32 v84, 0xffff, v82
	v_or_b32_e32 v90, 0x10000, v82
	s_delay_alu instid0(VALU_DEP_2) | instskip(NEXT) | instid1(VALU_DEP_2)
	v_cmp_eq_u32_e32 vcc_lo, 0, v84
	v_cndmask_b32_e32 v84, v90, v82, vcc_lo
; %bb.44:
	s_or_b32 exec_lo, exec_lo, s2
	s_load_b64 s[34:35], s[0:1], 0x94
	v_lshlrev_b32_e32 v82, 4, v74
	s_delay_alu instid0(VALU_DEP_2)
	v_perm_b32 v90, v84, v87, 0x7060302
	v_lshlrev_b32_e32 v84, 11, v65
	v_perm_b32 v87, v83, v77, 0x7060302
	v_mul_f32_e32 v83, v81, v69
	v_mul_f32_e32 v69, v81, v80
	v_perm_b32 v89, v88, v89, 0x7060302
	v_perm_b32 v88, v86, v85, 0x7060302
	v_or3_b32 v77, v82, v84, v76
	v_mul_f32_e32 v79, v81, v79
	v_mul_f32_e32 v78, v81, v78
	v_and_b32_e32 v84, 0x7f800000, v83
	v_mul_f32_e32 v72, v81, v72
	v_mul_f32_e32 v82, v81, v71
	;; [unrolled: 1-line block ×4, first 2 shown]
	s_mov_b32 s2, exec_lo
	ds_store_b128 v77, v[87:90]
                                        ; implicit-def: $vgpr68
	v_cmpx_ne_u32_e32 0x7f800000, v84
	s_xor_b32 s2, exec_lo, s2
; %bb.45:
	v_bfe_u32 v68, v83, 16, 1
	s_delay_alu instid0(VALU_DEP_1)
	v_add3_u32 v68, v83, v68, 0x7fff
                                        ; implicit-def: $vgpr83
; %bb.46:
	s_and_not1_saveexec_b32 s2, s2
; %bb.47:
	v_and_b32_e32 v68, 0xffff, v83
	v_or_b32_e32 v70, 0x10000, v83
	s_delay_alu instid0(VALU_DEP_2) | instskip(NEXT) | instid1(VALU_DEP_2)
	v_cmp_eq_u32_e32 vcc_lo, 0, v68
	v_cndmask_b32_e32 v68, v70, v83, vcc_lo
; %bb.48:
	s_or_b32 exec_lo, exec_lo, s2
	v_and_b32_e32 v70, 0x7f800000, v71
	s_delay_alu instid0(VALU_DEP_1) | instskip(SKIP_1) | instid1(SALU_CYCLE_1)
	v_cmp_ne_u32_e32 vcc_lo, 0x7f800000, v70
                                        ; implicit-def: $vgpr70
	s_and_saveexec_b32 s2, vcc_lo
	s_xor_b32 s2, exec_lo, s2
; %bb.49:
	v_bfe_u32 v70, v71, 16, 1
	s_delay_alu instid0(VALU_DEP_1)
	v_add3_u32 v70, v71, v70, 0x7fff
                                        ; implicit-def: $vgpr71
; %bb.50:
	s_and_not1_saveexec_b32 s2, s2
; %bb.51:
	v_and_b32_e32 v70, 0xffff, v71
	v_or_b32_e32 v81, 0x10000, v71
	s_delay_alu instid0(VALU_DEP_2) | instskip(NEXT) | instid1(VALU_DEP_2)
	v_cmp_eq_u32_e32 vcc_lo, 0, v70
	v_cndmask_b32_e32 v70, v81, v71, vcc_lo
; %bb.52:
	s_or_b32 exec_lo, exec_lo, s2
	v_and_b32_e32 v71, 0x7f800000, v80
	s_delay_alu instid0(VALU_DEP_1) | instskip(SKIP_1) | instid1(SALU_CYCLE_1)
	v_cmp_ne_u32_e32 vcc_lo, 0x7f800000, v71
                                        ; implicit-def: $vgpr71
	s_and_saveexec_b32 s2, vcc_lo
	s_xor_b32 s2, exec_lo, s2
; %bb.53:
	v_bfe_u32 v71, v80, 16, 1
	s_delay_alu instid0(VALU_DEP_1)
	v_add3_u32 v71, v80, v71, 0x7fff
                                        ; implicit-def: $vgpr80
; %bb.54:
	s_and_not1_saveexec_b32 s2, s2
; %bb.55:
	v_and_b32_e32 v71, 0xffff, v80
	v_or_b32_e32 v81, 0x10000, v80
	s_delay_alu instid0(VALU_DEP_2) | instskip(NEXT) | instid1(VALU_DEP_2)
	v_cmp_eq_u32_e32 vcc_lo, 0, v71
	v_cndmask_b32_e32 v71, v81, v80, vcc_lo
; %bb.56:
	s_or_b32 exec_lo, exec_lo, s2
	v_and_b32_e32 v80, 0x7f800000, v82
	s_delay_alu instid0(VALU_DEP_1) | instskip(SKIP_1) | instid1(SALU_CYCLE_1)
	v_cmp_ne_u32_e32 vcc_lo, 0x7f800000, v80
                                        ; implicit-def: $vgpr80
	s_and_saveexec_b32 s2, vcc_lo
	s_xor_b32 s2, exec_lo, s2
; %bb.57:
	v_bfe_u32 v80, v82, 16, 1
	s_delay_alu instid0(VALU_DEP_1)
	v_add3_u32 v80, v82, v80, 0x7fff
                                        ; implicit-def: $vgpr82
; %bb.58:
	s_and_not1_saveexec_b32 s2, s2
; %bb.59:
	v_and_b32_e32 v80, 0xffff, v82
	v_or_b32_e32 v81, 0x10000, v82
	s_delay_alu instid0(VALU_DEP_2) | instskip(NEXT) | instid1(VALU_DEP_2)
	v_cmp_eq_u32_e32 vcc_lo, 0, v80
	v_cndmask_b32_e32 v80, v81, v82, vcc_lo
; %bb.60:
	s_or_b32 exec_lo, exec_lo, s2
	v_and_b32_e32 v81, 0x7f800000, v72
	s_delay_alu instid0(VALU_DEP_1) | instskip(SKIP_1) | instid1(SALU_CYCLE_1)
	v_cmp_ne_u32_e32 vcc_lo, 0x7f800000, v81
                                        ; implicit-def: $vgpr81
	s_and_saveexec_b32 s2, vcc_lo
	s_xor_b32 s2, exec_lo, s2
; %bb.61:
	v_bfe_u32 v81, v72, 16, 1
	s_delay_alu instid0(VALU_DEP_1)
	v_add3_u32 v81, v72, v81, 0x7fff
                                        ; implicit-def: $vgpr72
; %bb.62:
	s_and_not1_saveexec_b32 s2, s2
; %bb.63:
	v_and_b32_e32 v81, 0xffff, v72
	v_or_b32_e32 v82, 0x10000, v72
	s_delay_alu instid0(VALU_DEP_2) | instskip(NEXT) | instid1(VALU_DEP_2)
	v_cmp_eq_u32_e32 vcc_lo, 0, v81
	v_cndmask_b32_e32 v81, v82, v72, vcc_lo
; %bb.64:
	s_or_b32 exec_lo, exec_lo, s2
	v_and_b32_e32 v72, 0x7f800000, v78
	s_delay_alu instid0(VALU_DEP_1) | instskip(SKIP_1) | instid1(SALU_CYCLE_1)
	v_cmp_ne_u32_e32 vcc_lo, 0x7f800000, v72
                                        ; implicit-def: $vgpr72
	s_and_saveexec_b32 s2, vcc_lo
	s_xor_b32 s2, exec_lo, s2
; %bb.65:
	v_bfe_u32 v72, v78, 16, 1
	s_delay_alu instid0(VALU_DEP_1)
	v_add3_u32 v72, v78, v72, 0x7fff
                                        ; implicit-def: $vgpr78
; %bb.66:
	s_and_not1_saveexec_b32 s2, s2
; %bb.67:
	v_and_b32_e32 v72, 0xffff, v78
	v_or_b32_e32 v82, 0x10000, v78
	s_delay_alu instid0(VALU_DEP_2) | instskip(NEXT) | instid1(VALU_DEP_2)
	v_cmp_eq_u32_e32 vcc_lo, 0, v72
	v_cndmask_b32_e32 v72, v82, v78, vcc_lo
; %bb.68:
	s_or_b32 exec_lo, exec_lo, s2
	v_and_b32_e32 v78, 0x7f800000, v79
	s_delay_alu instid0(VALU_DEP_1) | instskip(SKIP_1) | instid1(SALU_CYCLE_1)
	v_cmp_ne_u32_e32 vcc_lo, 0x7f800000, v78
                                        ; implicit-def: $vgpr78
	s_and_saveexec_b32 s2, vcc_lo
	s_xor_b32 s2, exec_lo, s2
; %bb.69:
	v_bfe_u32 v78, v79, 16, 1
	s_delay_alu instid0(VALU_DEP_1)
	v_add3_u32 v78, v79, v78, 0x7fff
                                        ; implicit-def: $vgpr79
; %bb.70:
	s_and_not1_saveexec_b32 s2, s2
; %bb.71:
	v_and_b32_e32 v78, 0xffff, v79
	v_or_b32_e32 v82, 0x10000, v79
	s_delay_alu instid0(VALU_DEP_2) | instskip(NEXT) | instid1(VALU_DEP_2)
	v_cmp_eq_u32_e32 vcc_lo, 0, v78
	v_cndmask_b32_e32 v78, v82, v79, vcc_lo
; %bb.72:
	s_or_b32 exec_lo, exec_lo, s2
	v_and_b32_e32 v79, 0x7f800000, v69
	s_delay_alu instid0(VALU_DEP_1) | instskip(SKIP_1) | instid1(SALU_CYCLE_1)
	v_cmp_ne_u32_e32 vcc_lo, 0x7f800000, v79
                                        ; implicit-def: $vgpr79
	s_and_saveexec_b32 s2, vcc_lo
	s_xor_b32 s2, exec_lo, s2
; %bb.73:
	v_bfe_u32 v79, v69, 16, 1
	s_delay_alu instid0(VALU_DEP_1)
	v_add3_u32 v79, v69, v79, 0x7fff
                                        ; implicit-def: $vgpr69
; %bb.74:
	s_and_not1_saveexec_b32 s2, s2
; %bb.75:
	v_and_b32_e32 v79, 0xffff, v69
	v_or_b32_e32 v82, 0x10000, v69
	s_delay_alu instid0(VALU_DEP_2) | instskip(NEXT) | instid1(VALU_DEP_2)
	v_cmp_eq_u32_e32 vcc_lo, 0, v79
	v_cndmask_b32_e32 v79, v82, v69, vcc_lo
; %bb.76:
	s_or_b32 exec_lo, exec_lo, s2
	s_delay_alu instid0(VALU_DEP_1)
	v_perm_b32 v86, v79, v78, 0x7060302
	v_perm_b32 v85, v72, v81, 0x7060302
	;; [unrolled: 1-line block ×4, first 2 shown]
	v_lshl_or_b32 v82, v65, 11, v76
	v_lshlrev_b32_e32 v79, 2, v74
	ds_store_b128 v77, v[83:86] offset:1024
	s_waitcnt lgkmcnt(0)
	s_barrier
	buffer_gl0_inv
	ds_load_b128 v[68:71], v82
	ds_load_b128 v[83:86], v82 offset:16
	v_or_b32_e32 v80, 1, v79
	v_cmp_eq_u32_e32 vcc_lo, 1, v79
	v_cmp_eq_u32_e64 s3, 2, v79
	v_cmp_eq_u32_e64 s6, 3, v79
	;; [unrolled: 1-line block ×6, first 2 shown]
	v_or_b32_e32 v78, 2, v79
	v_cmp_eq_u32_e64 s9, 5, v79
	v_cmp_eq_u32_e64 s10, 4, v80
	;; [unrolled: 1-line block ×9, first 2 shown]
	s_waitcnt lgkmcnt(1)
	v_lshrrev_b32_e32 v65, 16, v68
	s_waitcnt lgkmcnt(0)
	v_lshrrev_b32_e32 v91, 16, v83
	v_lshrrev_b32_e32 v72, 16, v69
	;; [unrolled: 1-line block ×4, first 2 shown]
	v_cndmask_b32_e32 v81, v68, v65, vcc_lo
	v_cndmask_b32_e32 v87, v83, v91, vcc_lo
	v_cndmask_b32_e64 v88, v68, v65, s2
	v_lshrrev_b32_e32 v98, 16, v85
	v_cndmask_b32_e64 v89, v83, v91, s2
	v_cndmask_b32_e64 v81, v81, v69, s3
	v_cndmask_b32_e64 v87, v87, v84, s3
	v_cndmask_b32_e64 v88, v88, v69, s5
	v_lshrrev_b32_e32 v96, 16, v71
	v_cndmask_b32_e64 v89, v89, v84, s5
	v_cndmask_b32_e64 v81, v81, v72, s6
	v_cndmask_b32_e64 v87, v87, v97, s6
	;; [unrolled: 5-line block ×3, first 2 shown]
	v_cndmask_b32_e64 v88, v88, v70, s10
	v_cndmask_b32_e64 v89, v89, v97, s7
	v_cmp_eq_u32_e64 s18, 3, v78
	v_cndmask_b32_e64 v81, v81, v95, s9
	v_cndmask_b32_e64 v87, v87, v98, s9
	;; [unrolled: 1-line block ×4, first 2 shown]
	v_cmp_eq_u32_e64 s19, 4, v78
	v_cndmask_b32_e64 v81, v81, v71, s11
	v_cndmask_b32_e64 v87, v87, v86, s11
	v_cndmask_b32_e64 v88, v88, v71, s15
	v_cmp_eq_u32_e64 s21, 5, v78
	v_cmp_eq_u32_e64 s23, 6, v78
	v_cndmask_b32_e64 v100, v81, v96, s13
	v_cndmask_b32_e64 v101, v87, v99, s13
	;; [unrolled: 1-line block ×6, first 2 shown]
	v_cmp_eq_u32_e64 s26, 7, v78
	v_cndmask_b32_e64 v89, v81, v72, s18
	v_cndmask_b32_e64 v87, v87, v84, s16
	v_or_b32_e32 v81, 3, v79
	v_cndmask_b32_e64 v103, v88, v86, s15
	s_delay_alu instid0(VALU_DEP_4) | instskip(NEXT) | instid1(VALU_DEP_4)
	v_cndmask_b32_e64 v92, v89, v70, s19
	v_cndmask_b32_e64 v93, v87, v97, s18
	s_delay_alu instid0(VALU_DEP_4)
	v_cmp_eq_u32_e64 s20, 1, v81
	ds_load_b128 v[87:90], v82 offset:1024
	v_cmp_eq_u32_e64 s22, 2, v81
	v_cndmask_b32_e64 v104, v92, v95, s21
	v_cmp_eq_u32_e64 s24, 3, v81
	v_cndmask_b32_e64 v65, v68, v65, s20
	v_cndmask_b32_e64 v68, v93, v85, s19
	;; [unrolled: 1-line block ×3, first 2 shown]
	ds_load_b128 v[91:94], v82 offset:1040
	v_cmp_eq_u32_e64 s25, 4, v81
	v_cndmask_b32_e64 v65, v65, v69, s22
	v_cmp_eq_u32_e64 s27, 5, v81
	v_cndmask_b32_e64 v69, v83, v84, s22
	;; [unrolled: 2-line block ×3, first 2 shown]
	v_cndmask_b32_e64 v65, v65, v72, s24
	v_cndmask_b32_e64 v72, v104, v71, s23
	;; [unrolled: 1-line block ×6, first 2 shown]
	s_waitcnt lgkmcnt(1)
	v_lshrrev_b32_e32 v84, 16, v87
	v_cndmask_b32_e64 v69, v69, v85, s25
	v_cndmask_b32_e64 v70, v72, v96, s26
	;; [unrolled: 1-line block ×4, first 2 shown]
	v_cndmask_b32_e32 v72, v87, v84, vcc_lo
	v_cndmask_b32_e64 v69, v69, v98, s27
	s_waitcnt lgkmcnt(0)
	v_lshrrev_b32_e32 v85, 16, v91
	v_lshrrev_b32_e32 v95, 16, v88
	v_cndmask_b32_e64 v97, v87, v84, s2
	v_cndmask_b32_e64 v72, v72, v88, s3
	;; [unrolled: 1-line block ×3, first 2 shown]
	v_cndmask_b32_e32 v98, v91, v85, vcc_lo
	v_cmp_eq_u32_e32 vcc_lo, 7, v81
	v_cndmask_b32_e64 v69, v69, v86, s28
	v_cndmask_b32_e64 v71, v72, v95, s6
	v_cndmask_b32_e64 v72, v97, v88, s5
	v_lshrrev_b32_e32 v97, 16, v92
	v_cndmask_b32_e32 v65, v65, v96, vcc_lo
	v_cndmask_b32_e64 v86, v98, v92, s3
	v_cndmask_b32_e32 v69, v69, v99, vcc_lo
	v_lshrrev_b32_e32 v99, 16, v93
	v_cndmask_b32_e64 v71, v71, v89, s8
	v_lshrrev_b32_e32 v98, 16, v89
	v_cndmask_b32_e64 v86, v86, v97, s6
	v_perm_b32 v70, v68, v70, 0x5040100
	v_cndmask_b32_e64 v72, v72, v95, s7
	s_delay_alu instid0(VALU_DEP_4) | instskip(NEXT) | instid1(VALU_DEP_4)
	v_cndmask_b32_e64 v96, v71, v98, s9
	v_cndmask_b32_e64 v86, v86, v93, s8
	v_perm_b32 v71, v69, v65, 0x5040100
	v_perm_b32 v69, v83, v102, 0x5040100
	v_cndmask_b32_e64 v102, v91, v85, s4
	v_cndmask_b32_e64 v72, v72, v89, s10
	v_cndmask_b32_e64 v86, v86, v99, s9
	v_lshrrev_b32_e32 v83, 16, v94
	s_delay_alu instid0(VALU_DEP_3) | instskip(NEXT) | instid1(VALU_DEP_3)
	v_cndmask_b32_e64 v65, v72, v98, s12
	v_cndmask_b32_e64 v68, v86, v94, s11
	v_cndmask_b32_e64 v86, v87, v84, s4
	v_cndmask_b32_e64 v84, v87, v84, s20
	v_cndmask_b32_e64 v87, v91, v85, s20
	v_cndmask_b32_e64 v85, v91, v85, s2
	v_cndmask_b32_e64 v72, v96, v90, s11
	v_cndmask_b32_e64 v86, v86, v88, s16
	v_cndmask_b32_e64 v84, v84, v88, s22
	v_cndmask_b32_e64 v87, v87, v92, s22
	v_cndmask_b32_e64 v88, v102, v92, s16
	v_cndmask_b32_e64 v85, v85, v92, s5
	v_cndmask_b32_e64 v86, v86, v95, s18
	v_cndmask_b32_e64 v84, v84, v95, s24
	v_cndmask_b32_e64 v87, v87, v97, s24
	v_cndmask_b32_e64 v88, v88, v97, s18
	v_cndmask_b32_e64 v85, v85, v97, s7
	v_cndmask_b32_e64 v86, v86, v89, s19
	v_cndmask_b32_e64 v84, v84, v89, s25
	v_cndmask_b32_e64 v87, v87, v93, s25
	v_cndmask_b32_e64 v88, v88, v93, s19
	v_cndmask_b32_e64 v85, v85, v93, s10
	v_cndmask_b32_e64 v86, v86, v98, s21
	v_cndmask_b32_e64 v84, v84, v98, s27
	v_cndmask_b32_e64 v87, v87, v99, s27
	v_cndmask_b32_e64 v88, v88, v99, s21
	v_cndmask_b32_e64 v85, v85, v99, s12
	v_lshrrev_b32_e32 v96, 16, v90
	v_cndmask_b32_e64 v65, v65, v90, s15
	v_cndmask_b32_e64 v86, v86, v90, s23
	;; [unrolled: 1-line block ×9, first 2 shown]
	v_cndmask_b32_e32 v84, v84, v96, vcc_lo
	v_cndmask_b32_e32 v86, v87, v83, vcc_lo
	v_cndmask_b32_e64 v87, v88, v83, s26
	v_cndmask_b32_e64 v88, v85, v83, s17
	;; [unrolled: 1-line block ×3, first 2 shown]
	v_perm_b32 v68, v101, v100, 0x5040100
	v_perm_b32 v86, v86, v84, 0x5040100
	;; [unrolled: 1-line block ×5, first 2 shown]
	s_lshl_b32 s7, s35, 4
	s_mov_b32 s2, exec_lo
	ds_store_b128 v77, v[68:71]
	ds_store_b128 v77, v[83:86] offset:1024
	v_cmpx_gt_u32_e32 16, v0
	s_cbranch_execz .LBB1601_78
; %bb.77:
	v_or_b32_e32 v65, s29, v0
	s_load_b128 s[8:11], s[0:1], 0x58
	s_delay_alu instid0(VALU_DEP_1) | instskip(NEXT) | instid1(VALU_DEP_1)
	v_mad_u64_u32 v[68:69], null, s7, s30, v[65:66]
	v_mad_u64_u32 v[69:70], null, v68, s34, s[14:15]
	s_delay_alu instid0(VALU_DEP_1) | instskip(NEXT) | instid1(VALU_DEP_1)
	v_ashrrev_i32_e32 v70, 31, v69
	v_lshlrev_b64 v[68:69], 2, v[69:70]
	s_waitcnt lgkmcnt(0)
	s_delay_alu instid0(VALU_DEP_1) | instskip(NEXT) | instid1(VALU_DEP_2)
	v_add_co_u32 v70, vcc_lo, s10, v68
	v_add_co_ci_u32_e32 v71, vcc_lo, s11, v69, vcc_lo
	v_add_co_u32 v68, vcc_lo, s8, v68
	v_add_co_ci_u32_e32 v69, vcc_lo, s9, v69, vcc_lo
	global_store_b32 v[70:71], v66, off
	global_store_b32 v[68:69], v67, off
.LBB1601_78:
	s_or_b32 exec_lo, exec_lo, s2
	s_waitcnt lgkmcnt(0)
	s_waitcnt_vscnt null, 0x0
	s_barrier
	buffer_gl0_inv
	ds_load_b128 v[83:86], v76
	ds_load_b128 v[87:90], v76 offset:16
	ds_load_b128 v[95:98], v76 offset:2064
	;; [unrolled: 1-line block ×3, first 2 shown]
	v_mov_b32_e32 v65, 0
	ds_load_b128 v[103:106], v76 offset:4112
	ds_load_b128 v[99:102], v76 offset:4096
	;; [unrolled: 1-line block ×4, first 2 shown]
	v_mov_b32_e32 v66, v65
	v_mov_b32_e32 v67, v65
	;; [unrolled: 1-line block ×7, first 2 shown]
	s_waitcnt lgkmcnt(6)
	s_delay_alu instid0(VALU_DEP_1)
	v_wmma_f32_16x16x16_bf16 v[65:72], v[49:56], v[83:90], v[65:72]
	ds_load_b128 v[53:56], v76 offset:8208
	ds_load_b128 v[49:52], v76 offset:8192
	s_waitcnt lgkmcnt(6)
	v_wmma_f32_16x16x16_bf16 v[65:72], v[41:48], v[91:98], v[65:72]
	ds_load_b128 v[45:48], v76 offset:10256
	ds_load_b128 v[41:44], v76 offset:10240
	s_waitcnt lgkmcnt(6)
	v_wmma_f32_16x16x16_bf16 v[65:72], v[33:40], v[99:106], v[65:72]
	ds_load_b128 v[37:40], v76 offset:12304
	ds_load_b128 v[33:36], v76 offset:12288
	s_waitcnt lgkmcnt(6)
	v_wmma_f32_16x16x16_bf16 v[65:72], v[25:32], v[107:114], v[65:72]
	ds_load_b128 v[29:32], v76 offset:14352
	ds_load_b128 v[25:28], v76 offset:14336
	s_waitcnt lgkmcnt(6)
	v_wmma_f32_16x16x16_bf16 v[65:72], v[1:8], v[49:56], v[65:72]
	s_waitcnt lgkmcnt(4)
	s_delay_alu instid0(VALU_DEP_1) | instskip(SKIP_1) | instid1(VALU_DEP_1)
	v_wmma_f32_16x16x16_bf16 v[65:72], v[9:16], v[41:48], v[65:72]
	s_waitcnt lgkmcnt(2)
	v_wmma_f32_16x16x16_bf16 v[65:72], v[17:24], v[33:40], v[65:72]
	s_waitcnt lgkmcnt(0)
	s_delay_alu instid0(VALU_DEP_1) | instskip(NEXT) | instid1(VALU_DEP_1)
	v_wmma_f32_16x16x16_bf16 v[65:72], v[57:64], v[25:32], v[65:72]
	v_and_b32_e32 v1, 0x7f800000, v65
	s_delay_alu instid0(VALU_DEP_1) | instskip(SKIP_1) | instid1(SALU_CYCLE_1)
	v_cmp_ne_u32_e32 vcc_lo, 0x7f800000, v1
                                        ; implicit-def: $vgpr1
	s_and_saveexec_b32 s2, vcc_lo
	s_xor_b32 s2, exec_lo, s2
; %bb.79:
	v_bfe_u32 v1, v65, 16, 1
	s_delay_alu instid0(VALU_DEP_1)
	v_add3_u32 v1, v65, v1, 0x7fff
; %bb.80:
	s_and_not1_saveexec_b32 s2, s2
; %bb.81:
	v_and_b32_e32 v1, 0xffff, v65
	v_or_b32_e32 v2, 0x10000, v65
	s_delay_alu instid0(VALU_DEP_2) | instskip(NEXT) | instid1(VALU_DEP_2)
	v_cmp_eq_u32_e32 vcc_lo, 0, v1
	v_cndmask_b32_e32 v1, v2, v65, vcc_lo
; %bb.82:
	s_or_b32 exec_lo, exec_lo, s2
	v_and_b32_e32 v2, 0x7f800000, v66
	s_delay_alu instid0(VALU_DEP_1) | instskip(SKIP_1) | instid1(SALU_CYCLE_1)
	v_cmp_ne_u32_e32 vcc_lo, 0x7f800000, v2
                                        ; implicit-def: $vgpr2
	s_and_saveexec_b32 s2, vcc_lo
	s_xor_b32 s2, exec_lo, s2
; %bb.83:
	v_bfe_u32 v2, v66, 16, 1
	s_delay_alu instid0(VALU_DEP_1)
	v_add3_u32 v2, v66, v2, 0x7fff
; %bb.84:
	s_and_not1_saveexec_b32 s2, s2
; %bb.85:
	v_and_b32_e32 v2, 0xffff, v66
	v_or_b32_e32 v3, 0x10000, v66
	s_delay_alu instid0(VALU_DEP_2) | instskip(NEXT) | instid1(VALU_DEP_2)
	v_cmp_eq_u32_e32 vcc_lo, 0, v2
	v_cndmask_b32_e32 v2, v3, v66, vcc_lo
; %bb.86:
	s_or_b32 exec_lo, exec_lo, s2
	v_and_b32_e32 v3, 0x7f800000, v67
	s_delay_alu instid0(VALU_DEP_1) | instskip(SKIP_1) | instid1(SALU_CYCLE_1)
	v_cmp_ne_u32_e32 vcc_lo, 0x7f800000, v3
                                        ; implicit-def: $vgpr3
	s_and_saveexec_b32 s2, vcc_lo
	s_xor_b32 s2, exec_lo, s2
; %bb.87:
	v_bfe_u32 v3, v67, 16, 1
	s_delay_alu instid0(VALU_DEP_1)
	v_add3_u32 v3, v67, v3, 0x7fff
; %bb.88:
	s_and_not1_saveexec_b32 s2, s2
; %bb.89:
	v_and_b32_e32 v3, 0xffff, v67
	v_or_b32_e32 v4, 0x10000, v67
	s_delay_alu instid0(VALU_DEP_2) | instskip(NEXT) | instid1(VALU_DEP_2)
	v_cmp_eq_u32_e32 vcc_lo, 0, v3
	v_cndmask_b32_e32 v3, v4, v67, vcc_lo
; %bb.90:
	s_or_b32 exec_lo, exec_lo, s2
	v_and_b32_e32 v4, 0x7f800000, v68
	s_delay_alu instid0(VALU_DEP_1) | instskip(SKIP_1) | instid1(SALU_CYCLE_1)
	v_cmp_ne_u32_e32 vcc_lo, 0x7f800000, v4
                                        ; implicit-def: $vgpr4
	s_and_saveexec_b32 s2, vcc_lo
	s_xor_b32 s2, exec_lo, s2
; %bb.91:
	v_bfe_u32 v4, v68, 16, 1
	s_delay_alu instid0(VALU_DEP_1)
	v_add3_u32 v4, v68, v4, 0x7fff
; %bb.92:
	s_and_not1_saveexec_b32 s2, s2
; %bb.93:
	v_and_b32_e32 v4, 0xffff, v68
	v_or_b32_e32 v5, 0x10000, v68
	s_delay_alu instid0(VALU_DEP_2) | instskip(NEXT) | instid1(VALU_DEP_2)
	v_cmp_eq_u32_e32 vcc_lo, 0, v4
	v_cndmask_b32_e32 v4, v5, v68, vcc_lo
; %bb.94:
	s_or_b32 exec_lo, exec_lo, s2
	v_and_b32_e32 v5, 0x7f800000, v69
	s_delay_alu instid0(VALU_DEP_1) | instskip(SKIP_1) | instid1(SALU_CYCLE_1)
	v_cmp_ne_u32_e32 vcc_lo, 0x7f800000, v5
                                        ; implicit-def: $vgpr5
	s_and_saveexec_b32 s2, vcc_lo
	s_xor_b32 s2, exec_lo, s2
; %bb.95:
	v_bfe_u32 v5, v69, 16, 1
	s_delay_alu instid0(VALU_DEP_1)
	v_add3_u32 v5, v69, v5, 0x7fff
; %bb.96:
	s_and_not1_saveexec_b32 s2, s2
; %bb.97:
	v_and_b32_e32 v5, 0xffff, v69
	v_or_b32_e32 v6, 0x10000, v69
	s_delay_alu instid0(VALU_DEP_2) | instskip(NEXT) | instid1(VALU_DEP_2)
	v_cmp_eq_u32_e32 vcc_lo, 0, v5
	v_cndmask_b32_e32 v5, v6, v69, vcc_lo
; %bb.98:
	s_or_b32 exec_lo, exec_lo, s2
	v_and_b32_e32 v6, 0x7f800000, v70
	s_delay_alu instid0(VALU_DEP_1) | instskip(SKIP_1) | instid1(SALU_CYCLE_1)
	v_cmp_ne_u32_e32 vcc_lo, 0x7f800000, v6
                                        ; implicit-def: $vgpr6
	s_and_saveexec_b32 s2, vcc_lo
	s_xor_b32 s2, exec_lo, s2
; %bb.99:
	v_bfe_u32 v6, v70, 16, 1
	s_delay_alu instid0(VALU_DEP_1)
	v_add3_u32 v6, v70, v6, 0x7fff
; %bb.100:
	s_and_not1_saveexec_b32 s2, s2
; %bb.101:
	v_and_b32_e32 v6, 0xffff, v70
	v_or_b32_e32 v7, 0x10000, v70
	s_delay_alu instid0(VALU_DEP_2) | instskip(NEXT) | instid1(VALU_DEP_2)
	v_cmp_eq_u32_e32 vcc_lo, 0, v6
	v_cndmask_b32_e32 v6, v7, v70, vcc_lo
; %bb.102:
	s_or_b32 exec_lo, exec_lo, s2
	v_and_b32_e32 v7, 0x7f800000, v71
	s_delay_alu instid0(VALU_DEP_1) | instskip(SKIP_1) | instid1(SALU_CYCLE_1)
	v_cmp_ne_u32_e32 vcc_lo, 0x7f800000, v7
                                        ; implicit-def: $vgpr7
	s_and_saveexec_b32 s2, vcc_lo
	s_xor_b32 s2, exec_lo, s2
; %bb.103:
	v_bfe_u32 v7, v71, 16, 1
	s_delay_alu instid0(VALU_DEP_1)
	v_add3_u32 v7, v71, v7, 0x7fff
; %bb.104:
	s_and_not1_saveexec_b32 s2, s2
; %bb.105:
	v_and_b32_e32 v7, 0xffff, v71
	v_or_b32_e32 v8, 0x10000, v71
	s_delay_alu instid0(VALU_DEP_2) | instskip(NEXT) | instid1(VALU_DEP_2)
	v_cmp_eq_u32_e32 vcc_lo, 0, v7
	v_cndmask_b32_e32 v7, v8, v71, vcc_lo
; %bb.106:
	s_or_b32 exec_lo, exec_lo, s2
	v_and_b32_e32 v8, 0x7f800000, v72
	s_delay_alu instid0(VALU_DEP_1) | instskip(SKIP_1) | instid1(SALU_CYCLE_1)
	v_cmp_ne_u32_e32 vcc_lo, 0x7f800000, v8
                                        ; implicit-def: $vgpr8
	s_and_saveexec_b32 s2, vcc_lo
	s_xor_b32 s2, exec_lo, s2
; %bb.107:
	v_bfe_u32 v8, v72, 16, 1
	s_delay_alu instid0(VALU_DEP_1)
	v_add3_u32 v8, v72, v8, 0x7fff
                                        ; implicit-def: $vgpr65_vgpr66_vgpr67_vgpr68_vgpr69_vgpr70_vgpr71_vgpr72
; %bb.108:
	s_and_not1_saveexec_b32 s2, s2
; %bb.109:
	v_and_b32_e32 v8, 0xffff, v72
	v_or_b32_e32 v9, 0x10000, v72
	s_delay_alu instid0(VALU_DEP_2) | instskip(NEXT) | instid1(VALU_DEP_2)
	v_cmp_eq_u32_e32 vcc_lo, 0, v8
	v_cndmask_b32_e32 v8, v9, v72, vcc_lo
; %bb.110:
	s_or_b32 exec_lo, exec_lo, s2
	s_delay_alu instid0(VALU_DEP_1)
	v_perm_b32 v7, v8, v7, 0x7060302
	v_perm_b32 v6, v6, v5, 0x7060302
	;; [unrolled: 1-line block ×4, first 2 shown]
	s_barrier
	buffer_gl0_inv
	v_cmp_eq_u32_e32 vcc_lo, 1, v79
	ds_store_b128 v77, v[4:7]
	s_waitcnt lgkmcnt(0)
	s_barrier
	buffer_gl0_inv
	ds_load_b128 v[1:4], v82
	ds_load_b128 v[5:8], v82 offset:16
	v_cmp_eq_u32_e64 s2, 1, v80
	v_cmp_eq_u32_e64 s3, 2, v79
	;; [unrolled: 1-line block ×5, first 2 shown]
	s_waitcnt lgkmcnt(1)
	v_lshrrev_b32_e32 v9, 16, v1
	s_waitcnt lgkmcnt(0)
	v_lshrrev_b32_e32 v13, 16, v5
	v_lshrrev_b32_e32 v10, 16, v2
	;; [unrolled: 1-line block ×4, first 2 shown]
	v_cndmask_b32_e64 v19, v1, v9, s2
	v_cndmask_b32_e32 v18, v5, v13, vcc_lo
	v_cndmask_b32_e64 v20, v5, v13, s2
	v_cndmask_b32_e32 v17, v1, v9, vcc_lo
	v_cmp_eq_u32_e32 vcc_lo, 2, v80
	v_lshrrev_b32_e32 v15, 16, v7
	v_cmp_eq_u32_e64 s2, 1, v78
	v_lshrrev_b32_e32 v12, 16, v4
	v_lshrrev_b32_e32 v16, 16, v8
	v_cndmask_b32_e32 v20, v20, v6, vcc_lo
	v_cndmask_b32_e64 v17, v17, v2, s3
	v_cndmask_b32_e32 v19, v19, v2, vcc_lo
	v_cndmask_b32_e64 v18, v18, v6, s3
	v_cmp_eq_u32_e32 vcc_lo, 4, v79
	v_cmp_eq_u32_e64 s3, 3, v80
	v_cndmask_b32_e64 v17, v17, v10, s4
	v_cndmask_b32_e64 v21, v1, v9, s2
	;; [unrolled: 1-line block ×5, first 2 shown]
	v_cndmask_b32_e32 v17, v17, v3, vcc_lo
	v_cndmask_b32_e64 v20, v20, v14, s3
	v_cndmask_b32_e32 v18, v18, v7, vcc_lo
	v_cmp_eq_u32_e32 vcc_lo, 4, v80
	v_cmp_eq_u32_e64 s3, 5, v80
	v_cmp_eq_u32_e64 s2, 2, v81
	v_cndmask_b32_e64 v21, v21, v2, s6
	v_cmp_eq_u32_e64 s4, 5, v79
	v_cndmask_b32_e32 v19, v19, v3, vcc_lo
	v_cndmask_b32_e32 v20, v20, v7, vcc_lo
	v_cmp_eq_u32_e32 vcc_lo, 6, v80
	s_delay_alu instid0(VALU_DEP_4) | instskip(NEXT) | instid1(VALU_DEP_4)
	v_cndmask_b32_e64 v17, v17, v11, s4
	v_cndmask_b32_e64 v19, v19, v11, s3
	s_delay_alu instid0(VALU_DEP_4) | instskip(SKIP_1) | instid1(VALU_DEP_3)
	v_cndmask_b32_e64 v20, v20, v15, s3
	v_cmp_eq_u32_e64 s3, 1, v81
	v_cndmask_b32_e32 v19, v19, v4, vcc_lo
	v_cndmask_b32_e64 v18, v18, v15, s4
	s_delay_alu instid0(VALU_DEP_3)
	v_cndmask_b32_e64 v1, v1, v9, s3
	v_cndmask_b32_e64 v5, v5, v13, s3
	v_cmp_eq_u32_e64 s3, 3, v78
	v_cndmask_b32_e64 v13, v22, v6, s6
	v_cmp_eq_u32_e64 s6, 3, v81
	v_cndmask_b32_e64 v1, v1, v2, s2
	v_cndmask_b32_e64 v2, v5, v6, s2
	;; [unrolled: 1-line block ×3, first 2 shown]
	v_cmp_eq_u32_e64 s2, 4, v78
	v_cndmask_b32_e64 v6, v13, v14, s3
	v_cndmask_b32_e64 v1, v1, v10, s6
	v_cmp_eq_u32_e64 s3, 4, v81
	v_cndmask_b32_e64 v2, v2, v14, s6
	v_cndmask_b32_e64 v5, v9, v3, s2
	;; [unrolled: 3-line block ×3, first 2 shown]
	v_cndmask_b32_e64 v2, v2, v7, s3
	v_cmp_eq_u32_e64 s2, 5, v81
	v_cmp_eq_u32_e64 s4, 6, v79
	v_cndmask_b32_e64 v5, v5, v11, s6
	v_cmp_eq_u32_e64 s3, 6, v78
	v_cndmask_b32_e64 v3, v6, v15, s6
	v_cndmask_b32_e64 v1, v1, v11, s2
	v_cmp_eq_u32_e64 s6, 6, v81
	v_cndmask_b32_e64 v2, v2, v15, s2
	v_cndmask_b32_e64 v17, v17, v4, s4
	v_cndmask_b32_e64 v18, v18, v8, s4
	v_cmp_eq_u32_e64 s4, 7, v79
	v_cndmask_b32_e64 v5, v5, v4, s3
	;; [unrolled: 4-line block ×3, first 2 shown]
	v_cmp_eq_u32_e64 s3, 7, v78
	v_cndmask_b32_e32 v4, v20, v8, vcc_lo
	v_cndmask_b32_e64 v17, v17, v12, s4
	v_cndmask_b32_e64 v19, v19, v12, s5
	;; [unrolled: 1-line block ×8, first 2 shown]
	s_mov_b32 s2, exec_lo
	v_perm_b32 v4, v2, v1, 0x5040100
	v_perm_b32 v3, v3, v5, 0x5040100
	;; [unrolled: 1-line block ×4, first 2 shown]
	ds_store_b128 v77, v[1:4]
	s_waitcnt lgkmcnt(0)
	s_barrier
	buffer_gl0_inv
	v_cmpx_gt_u32_e32 32, v0
	s_cbranch_execz .LBB1601_2
; %bb.111:
	s_load_b64 s[0:1], s[0:1], 0x68
	v_lshlrev_b32_e32 v0, 10, v0
	s_lshl_b32 s4, s34, 7
	v_or_b32_e32 v23, s29, v74
	s_mul_i32 s2, s4, s30
	v_lshlrev_b32_e32 v1, 4, v75
	v_lshlrev_b32_e32 v2, 6, v74
	s_mul_i32 s2, s2, s7
	v_and_b32_e32 v0, 0x3800, v0
	v_mul_lo_u32 v8, v23, s4
	s_ashr_i32 s3, s2, 31
	v_or_b32_e32 v3, 2, v23
	s_lshl_b64 s[2:3], s[2:3], 1
	v_or3_b32 v27, v0, v1, v2
	v_or_b32_e32 v11, 4, v23
	v_or_b32_e32 v18, 6, v23
	v_mul_lo_u32 v10, v3, s4
	v_ashrrev_i32_e32 v9, 31, v8
	ds_load_b128 v[0:3], v27
	ds_load_b128 v[4:7], v27 offset:128
	v_mul_lo_u32 v12, v11, s4
	s_waitcnt lgkmcnt(0)
	s_add_u32 s2, s0, s2
	s_addc_u32 s3, s1, s3
	s_lshl_b32 s0, s14, 7
	v_lshlrev_b64 v[8:9], 1, v[8:9]
	s_ashr_i32 s1, s0, 31
	v_ashrrev_i32_e32 v11, 31, v10
	s_lshl_b64 s[0:1], s[0:1], 1
	v_ashrrev_i32_e32 v13, 31, v12
	s_add_u32 s0, s2, s0
	s_addc_u32 s1, s3, s1
	v_add_co_u32 v30, s0, s0, v73
	s_delay_alu instid0(VALU_DEP_1) | instskip(SKIP_1) | instid1(VALU_DEP_3)
	v_add_co_ci_u32_e64 v31, null, s1, 0, s0
	v_lshlrev_b64 v[16:17], 1, v[10:11]
	v_add_co_u32 v14, vcc_lo, v30, v8
	s_delay_alu instid0(VALU_DEP_3)
	v_add_co_ci_u32_e32 v15, vcc_lo, v31, v9, vcc_lo
	ds_load_b128 v[8:11], v27 offset:256
	v_mul_lo_u32 v18, v18, s4
	v_or_b32_e32 v19, 8, v23
	v_add_co_u32 v16, vcc_lo, v30, v16
	global_store_b128 v[14:15], v[0:3], off
	v_lshlrev_b64 v[0:1], 1, v[12:13]
	v_add_co_ci_u32_e32 v17, vcc_lo, v31, v17, vcc_lo
	v_mul_lo_u32 v12, v19, s4
	v_ashrrev_i32_e32 v19, 31, v18
	v_or_b32_e32 v14, 10, v23
	global_store_b128 v[16:17], v[4:7], off
	v_add_co_u32 v4, vcc_lo, v30, v0
	v_add_co_ci_u32_e32 v5, vcc_lo, v31, v1, vcc_lo
	ds_load_b128 v[0:3], v27 offset:384
	v_ashrrev_i32_e32 v13, 31, v12
	v_lshlrev_b64 v[6:7], 1, v[18:19]
	v_mul_lo_u32 v14, v14, s4
	s_waitcnt lgkmcnt(1)
	global_store_b128 v[4:5], v[8:11], off
	v_or_b32_e32 v8, 12, v23
	v_lshlrev_b64 v[4:5], 1, v[12:13]
	v_add_co_u32 v20, vcc_lo, v30, v6
	v_or_b32_e32 v6, 14, v23
	v_ashrrev_i32_e32 v15, 31, v14
	v_mul_lo_u32 v22, v8, s4
	v_add_co_ci_u32_e32 v21, vcc_lo, v31, v7, vcc_lo
	v_add_co_u32 v24, vcc_lo, v30, v4
	v_mul_lo_u32 v26, v6, s4
	v_add_co_ci_u32_e32 v25, vcc_lo, v31, v5, vcc_lo
	v_lshlrev_b64 v[28:29], 1, v[14:15]
	ds_load_b128 v[4:7], v27 offset:512
	ds_load_b128 v[8:11], v27 offset:640
	;; [unrolled: 1-line block ×4, first 2 shown]
	v_ashrrev_i32_e32 v23, 31, v22
	v_ashrrev_i32_e32 v27, 31, v26
	v_add_co_u32 v28, vcc_lo, v30, v28
	s_delay_alu instid0(VALU_DEP_3) | instskip(SKIP_1) | instid1(VALU_DEP_4)
	v_lshlrev_b64 v[22:23], 1, v[22:23]
	v_add_co_ci_u32_e32 v29, vcc_lo, v31, v29, vcc_lo
	v_lshlrev_b64 v[26:27], 1, v[26:27]
	s_delay_alu instid0(VALU_DEP_3) | instskip(NEXT) | instid1(VALU_DEP_4)
	v_add_co_u32 v22, vcc_lo, v30, v22
	v_add_co_ci_u32_e32 v23, vcc_lo, v31, v23, vcc_lo
	s_delay_alu instid0(VALU_DEP_3) | instskip(NEXT) | instid1(VALU_DEP_4)
	v_add_co_u32 v26, vcc_lo, v30, v26
	v_add_co_ci_u32_e32 v27, vcc_lo, v31, v27, vcc_lo
	s_waitcnt lgkmcnt(4)
	global_store_b128 v[20:21], v[0:3], off
	s_waitcnt lgkmcnt(3)
	global_store_b128 v[24:25], v[4:7], off
	;; [unrolled: 2-line block ×5, first 2 shown]
	s_nop 0
	s_sendmsg sendmsg(MSG_DEALLOC_VGPRS)
	s_endpgm
	.section	.rodata,"a",@progbits
	.p2align	6, 0x0
	.amdhsa_kernel _Z39paged_attention_ll4mi_QKV_mfma16_kernelI14__hip_bfloat16hLN4vllm18Fp8KVCacheDataTypeE1EhLi32ELi128ELi256ELb1ELi16EL8MFMAType1EEvPKT_PKT0_S9_ifPKiSB_SB_iPKfiiiPfSE_PS4_PT2_iSD_SD_
		.amdhsa_group_segment_fixed_size 17472
		.amdhsa_private_segment_fixed_size 0
		.amdhsa_kernarg_size 400
		.amdhsa_user_sgpr_count 13
		.amdhsa_user_sgpr_dispatch_ptr 0
		.amdhsa_user_sgpr_queue_ptr 0
		.amdhsa_user_sgpr_kernarg_segment_ptr 1
		.amdhsa_user_sgpr_dispatch_id 0
		.amdhsa_user_sgpr_private_segment_size 0
		.amdhsa_wavefront_size32 1
		.amdhsa_uses_dynamic_stack 0
		.amdhsa_enable_private_segment 0
		.amdhsa_system_sgpr_workgroup_id_x 1
		.amdhsa_system_sgpr_workgroup_id_y 1
		.amdhsa_system_sgpr_workgroup_id_z 1
		.amdhsa_system_sgpr_workgroup_info 0
		.amdhsa_system_vgpr_workitem_id 0
		.amdhsa_next_free_vgpr 141
		.amdhsa_next_free_sgpr 36
		.amdhsa_reserve_vcc 1
		.amdhsa_float_round_mode_32 0
		.amdhsa_float_round_mode_16_64 0
		.amdhsa_float_denorm_mode_32 3
		.amdhsa_float_denorm_mode_16_64 3
		.amdhsa_dx10_clamp 1
		.amdhsa_ieee_mode 1
		.amdhsa_fp16_overflow 0
		.amdhsa_workgroup_processor_mode 1
		.amdhsa_memory_ordered 1
		.amdhsa_forward_progress 0
		.amdhsa_shared_vgpr_count 0
		.amdhsa_exception_fp_ieee_invalid_op 0
		.amdhsa_exception_fp_denorm_src 0
		.amdhsa_exception_fp_ieee_div_zero 0
		.amdhsa_exception_fp_ieee_overflow 0
		.amdhsa_exception_fp_ieee_underflow 0
		.amdhsa_exception_fp_ieee_inexact 0
		.amdhsa_exception_int_div_zero 0
	.end_amdhsa_kernel
	.section	.text._Z39paged_attention_ll4mi_QKV_mfma16_kernelI14__hip_bfloat16hLN4vllm18Fp8KVCacheDataTypeE1EhLi32ELi128ELi256ELb1ELi16EL8MFMAType1EEvPKT_PKT0_S9_ifPKiSB_SB_iPKfiiiPfSE_PS4_PT2_iSD_SD_,"axG",@progbits,_Z39paged_attention_ll4mi_QKV_mfma16_kernelI14__hip_bfloat16hLN4vllm18Fp8KVCacheDataTypeE1EhLi32ELi128ELi256ELb1ELi16EL8MFMAType1EEvPKT_PKT0_S9_ifPKiSB_SB_iPKfiiiPfSE_PS4_PT2_iSD_SD_,comdat
.Lfunc_end1601:
	.size	_Z39paged_attention_ll4mi_QKV_mfma16_kernelI14__hip_bfloat16hLN4vllm18Fp8KVCacheDataTypeE1EhLi32ELi128ELi256ELb1ELi16EL8MFMAType1EEvPKT_PKT0_S9_ifPKiSB_SB_iPKfiiiPfSE_PS4_PT2_iSD_SD_, .Lfunc_end1601-_Z39paged_attention_ll4mi_QKV_mfma16_kernelI14__hip_bfloat16hLN4vllm18Fp8KVCacheDataTypeE1EhLi32ELi128ELi256ELb1ELi16EL8MFMAType1EEvPKT_PKT0_S9_ifPKiSB_SB_iPKfiiiPfSE_PS4_PT2_iSD_SD_
                                        ; -- End function
	.section	.AMDGPU.csdata,"",@progbits
; Kernel info:
; codeLenInByte = 9048
; NumSgprs: 38
; NumVgprs: 141
; ScratchSize: 0
; MemoryBound: 0
; FloatMode: 240
; IeeeMode: 1
; LDSByteSize: 17472 bytes/workgroup (compile time only)
; SGPRBlocks: 4
; VGPRBlocks: 17
; NumSGPRsForWavesPerEU: 38
; NumVGPRsForWavesPerEU: 141
; Occupancy: 10
; WaveLimiterHint : 1
; COMPUTE_PGM_RSRC2:SCRATCH_EN: 0
; COMPUTE_PGM_RSRC2:USER_SGPR: 13
; COMPUTE_PGM_RSRC2:TRAP_HANDLER: 0
; COMPUTE_PGM_RSRC2:TGID_X_EN: 1
; COMPUTE_PGM_RSRC2:TGID_Y_EN: 1
; COMPUTE_PGM_RSRC2:TGID_Z_EN: 1
; COMPUTE_PGM_RSRC2:TIDIG_COMP_CNT: 0
	.section	.text._Z39paged_attention_ll4mi_QKV_mfma16_kernelI14__hip_bfloat16hLN4vllm18Fp8KVCacheDataTypeE1EhLi32ELi128ELi256ELb1ELi1EL8MFMAType1EEvPKT_PKT0_S9_ifPKiSB_SB_iPKfiiiPfSE_PS4_PT2_iSD_SD_,"axG",@progbits,_Z39paged_attention_ll4mi_QKV_mfma16_kernelI14__hip_bfloat16hLN4vllm18Fp8KVCacheDataTypeE1EhLi32ELi128ELi256ELb1ELi1EL8MFMAType1EEvPKT_PKT0_S9_ifPKiSB_SB_iPKfiiiPfSE_PS4_PT2_iSD_SD_,comdat
	.protected	_Z39paged_attention_ll4mi_QKV_mfma16_kernelI14__hip_bfloat16hLN4vllm18Fp8KVCacheDataTypeE1EhLi32ELi128ELi256ELb1ELi1EL8MFMAType1EEvPKT_PKT0_S9_ifPKiSB_SB_iPKfiiiPfSE_PS4_PT2_iSD_SD_ ; -- Begin function _Z39paged_attention_ll4mi_QKV_mfma16_kernelI14__hip_bfloat16hLN4vllm18Fp8KVCacheDataTypeE1EhLi32ELi128ELi256ELb1ELi1EL8MFMAType1EEvPKT_PKT0_S9_ifPKiSB_SB_iPKfiiiPfSE_PS4_PT2_iSD_SD_
	.globl	_Z39paged_attention_ll4mi_QKV_mfma16_kernelI14__hip_bfloat16hLN4vllm18Fp8KVCacheDataTypeE1EhLi32ELi128ELi256ELb1ELi1EL8MFMAType1EEvPKT_PKT0_S9_ifPKiSB_SB_iPKfiiiPfSE_PS4_PT2_iSD_SD_
	.p2align	8
	.type	_Z39paged_attention_ll4mi_QKV_mfma16_kernelI14__hip_bfloat16hLN4vllm18Fp8KVCacheDataTypeE1EhLi32ELi128ELi256ELb1ELi1EL8MFMAType1EEvPKT_PKT0_S9_ifPKiSB_SB_iPKfiiiPfSE_PS4_PT2_iSD_SD_,@function
_Z39paged_attention_ll4mi_QKV_mfma16_kernelI14__hip_bfloat16hLN4vllm18Fp8KVCacheDataTypeE1EhLi32ELi128ELi256ELb1ELi1EL8MFMAType1EEvPKT_PKT0_S9_ifPKiSB_SB_iPKfiiiPfSE_PS4_PT2_iSD_SD_: ; @_Z39paged_attention_ll4mi_QKV_mfma16_kernelI14__hip_bfloat16hLN4vllm18Fp8KVCacheDataTypeE1EhLi32ELi128ELi256ELb1ELi1EL8MFMAType1EEvPKT_PKT0_S9_ifPKiSB_SB_iPKfiiiPfSE_PS4_PT2_iSD_SD_
; %bb.0:
	s_load_b64 s[4:5], s[0:1], 0x30
	s_mov_b32 s34, s13
	s_waitcnt lgkmcnt(0)
	s_cmp_lg_u64 s[4:5], 0
	s_cselect_b32 s6, -1, 0
	s_ashr_i32 s35, s13, 31
	s_cmp_eq_u64 s[4:5], 0
	s_cbranch_scc1 .LBB1602_3
; %bb.1:
	s_lshl_b64 s[2:3], s[34:35], 2
	s_delay_alu instid0(SALU_CYCLE_1) | instskip(SKIP_4) | instid1(SALU_CYCLE_1)
	s_add_u32 s2, s4, s2
	s_addc_u32 s3, s5, s3
	s_load_b64 s[2:3], s[2:3], 0x0
	s_waitcnt lgkmcnt(0)
	s_sub_i32 s2, s3, s2
	s_cmp_eq_u32 s2, 1
	s_cselect_b32 s2, -1, 0
	s_delay_alu instid0(SALU_CYCLE_1)
	s_and_not1_b32 vcc_lo, exec_lo, s2
	s_cbranch_vccz .LBB1602_4
.LBB1602_2:
	s_endpgm
.LBB1602_3:
.LBB1602_4:
	s_load_b64 s[2:3], s[0:1], 0x28
	s_lshl_b64 s[8:9], s[34:35], 2
	s_waitcnt lgkmcnt(0)
	s_add_u32 s2, s2, s8
	s_addc_u32 s3, s3, s9
	s_lshl_b32 s12, s14, 8
	s_load_b32 s33, s[2:3], 0x0
	s_waitcnt lgkmcnt(0)
	s_cmp_ge_i32 s12, s33
	s_cbranch_scc1 .LBB1602_2
; %bb.5:
	s_clause 0x1
	s_load_b128 s[56:59], s[0:1], 0x8
	s_load_b64 s[2:3], s[0:1], 0x20
	s_and_not1_b32 vcc_lo, exec_lo, s6
	s_mov_b64 s[6:7], s[34:35]
	s_cbranch_vccnz .LBB1602_7
; %bb.6:
	s_add_u32 s4, s4, s8
	s_addc_u32 s5, s5, s9
	s_load_b32 s6, s[4:5], 0x0
.LBB1602_7:
	s_load_b128 s[52:55], s[0:1], 0x48
	v_and_b32_e32 v65, 15, v0
	s_mov_b32 s13, exec_lo
                                        ; implicit-def: $sgpr36
                                        ; implicit-def: $sgpr24
                                        ; implicit-def: $sgpr16
                                        ; implicit-def: $sgpr4
	s_delay_alu instid0(VALU_DEP_1)
	v_cmpx_eq_u32_e32 0, v65
	s_cbranch_execz .LBB1602_9
; %bb.8:
	s_load_b64 s[4:5], s[0:1], 0x0
	s_waitcnt lgkmcnt(0)
	s_mul_hi_i32 s7, s6, s52
	s_mul_i32 s6, s6, s52
	s_delay_alu instid0(SALU_CYCLE_1) | instskip(NEXT) | instid1(SALU_CYCLE_1)
	s_lshl_b64 s[6:7], s[6:7], 1
	s_add_u32 s6, s4, s6
	s_addc_u32 s7, s5, s7
	s_lshl_b32 s4, s15, 7
	s_delay_alu instid0(SALU_CYCLE_1) | instskip(NEXT) | instid1(SALU_CYCLE_1)
	s_ashr_i32 s5, s4, 31
	s_lshl_b64 s[4:5], s[4:5], 1
	s_delay_alu instid0(SALU_CYCLE_1)
	s_add_u32 s4, s6, s4
	s_addc_u32 s5, s7, s5
	s_clause 0x3
	s_load_b256 s[36:43], s[4:5], 0x0
	s_load_b256 s[24:31], s[4:5], 0x40
	;; [unrolled: 1-line block ×4, first 2 shown]
.LBB1602_9:
	s_or_b32 exec_lo, exec_lo, s13
	v_and_b32_e32 v1, 0xef, v0
	s_add_i32 s13, s33, 31
	s_load_b32 s44, s[0:1], 0x38
	s_ashr_i32 s35, s13, 31
	s_waitcnt lgkmcnt(0)
	s_mul_i32 s62, s15, s54
	v_add_nc_u32_e32 v1, s12, v1
	s_lshr_b32 s35, s35, 27
	v_lshlrev_b32_e32 v73, 4, v65
	s_add_i32 s13, s13, s35
	s_load_b32 s35, s[0:1], 0x1c
	v_ashrrev_i32_e32 v2, 31, v1
	v_or_b32_e32 v3, 16, v1
	s_ashr_i32 s13, s13, 5
	v_cmp_gt_i32_e32 vcc_lo, s33, v1
	s_add_i32 s13, s13, -1
	v_lshrrev_b32_e32 v2, 27, v2
	v_dual_mov_b32 v113, s31 :: v_dual_mov_b32 v108, s26
	v_dual_mov_b32 v111, s29 :: v_dual_mov_b32 v106, s24
	s_delay_alu instid0(VALU_DEP_3) | instskip(SKIP_3) | instid1(VALU_DEP_2)
	v_dual_mov_b32 v109, s27 :: v_dual_add_nc_u32 v4, v1, v2
	s_mul_i32 s44, s34, s44
	v_mov_b32_e32 v107, s25
	s_ashr_i32 s45, s44, 31
	v_ashrrev_i32_e32 v4, 5, v4
	v_add_nc_u32_e32 v2, v3, v2
	s_lshl_b64 s[44:45], s[44:45], 2
	v_dual_mov_b32 v121, s23 :: v_dual_mov_b32 v114, s16
	s_delay_alu instid0(VALU_DEP_3) | instskip(NEXT) | instid1(VALU_DEP_3)
	v_cndmask_b32_e32 v1, s13, v4, vcc_lo
	v_ashrrev_i32_e32 v2, 5, v2
	v_cmp_gt_i32_e32 vcc_lo, s33, v3
	s_add_u32 s61, s2, s44
	s_addc_u32 s60, s3, s45
	s_ashr_i32 s63, s62, 31
	s_add_u32 s44, s56, s62
	v_cndmask_b32_e32 v3, s13, v2, vcc_lo
	v_ashrrev_i32_e32 v2, 31, v1
	s_addc_u32 s45, s57, s63
	s_lshl_b32 s2, s14, 3
	v_dual_mov_b32 v116, s18 :: v_dual_lshlrev_b32 v33, 5, v65
	v_ashrrev_i32_e32 v4, 31, v3
	v_lshlrev_b64 v[1:2], 2, v[1:2]
	s_ashr_i32 s3, s2, 31
	v_mov_b32_e32 v120, s22
	s_lshl_b64 s[2:3], s[2:3], 2
	v_lshlrev_b64 v[3:4], 2, v[3:4]
	s_add_u32 s2, s61, s2
	v_add_co_u32 v1, vcc_lo, s61, v1
	v_add_co_ci_u32_e32 v2, vcc_lo, s60, v2, vcc_lo
	s_delay_alu instid0(VALU_DEP_3) | instskip(NEXT) | instid1(VALU_DEP_4)
	v_add_co_u32 v3, vcc_lo, s61, v3
	v_add_co_ci_u32_e32 v4, vcc_lo, s60, v4, vcc_lo
	s_clause 0x1
	global_load_b32 v5, v[1:2], off
	global_load_b32 v6, v[3:4], off
	s_addc_u32 s3, s60, s3
	s_or_b32 s46, s12, 32
	v_mov_b32_e32 v118, s20
	s_ashr_i32 s47, s46, 5
	s_cmp_lt_i32 s46, s33
	v_lshrrev_b32_e32 v66, 5, v0
	s_cselect_b32 s46, s47, s13
	v_mov_b32_e32 v112, s30
	s_ashr_i32 s47, s46, 31
	v_mov_b32_e32 v110, s28
	s_lshl_b64 s[46:47], s[46:47], 2
	v_lshl_or_b32 v33, v66, 9, v33
	s_add_u32 s46, s61, s46
	s_addc_u32 s47, s60, s47
	s_or_b32 s48, s12, 64
	s_delay_alu instid0(SALU_CYCLE_1) | instskip(SKIP_2) | instid1(SALU_CYCLE_1)
	s_ashr_i32 s49, s48, 5
	s_cmp_lt_i32 s48, s33
	s_cselect_b32 s48, s49, s13
	s_ashr_i32 s49, s48, 31
	s_delay_alu instid0(SALU_CYCLE_1) | instskip(NEXT) | instid1(SALU_CYCLE_1)
	s_lshl_b64 s[48:49], s[48:49], 2
	s_add_u32 s48, s61, s48
	s_addc_u32 s49, s60, s49
	s_or_b32 s50, s12, 0x60
	s_delay_alu instid0(SALU_CYCLE_1) | instskip(SKIP_2) | instid1(SALU_CYCLE_1)
	s_ashr_i32 s51, s50, 5
	s_cmp_lt_i32 s50, s33
	s_cselect_b32 s50, s51, s13
	s_ashr_i32 s51, s50, 31
	s_delay_alu instid0(SALU_CYCLE_1) | instskip(NEXT) | instid1(SALU_CYCLE_1)
	s_lshl_b64 s[50:51], s[50:51], 2
	;; [unrolled: 10-line block ×4, first 2 shown]
	s_add_u32 s66, s61, s54
	s_addc_u32 s67, s60, s55
	s_clause 0x5
	s_load_b32 s56, s[2:3], 0x0
	s_load_b32 s3, s[46:47], 0x0
	;; [unrolled: 1-line block ×6, first 2 shown]
	s_or_b32 s24, s12, 0xc0
	s_delay_alu instid0(SALU_CYCLE_1)
	s_ashr_i32 s25, s24, 5
	s_cmp_lt_i32 s24, s33
	s_waitcnt vmcnt(1)
	v_mad_i64_i32 v[1:2], null, v5, s53, s[44:45]
	s_waitcnt vmcnt(0)
	v_mad_i64_i32 v[3:4], null, v6, s53, s[44:45]
	s_mov_b32 s44, 0
	s_delay_alu instid0(SALU_CYCLE_1) | instskip(SKIP_1) | instid1(VALU_DEP_2)
	s_mov_b32 s45, s44
	s_mov_b32 s46, s44
	v_add_co_u32 v25, vcc_lo, v1, v73
	s_delay_alu instid0(VALU_DEP_3) | instskip(NEXT) | instid1(VALU_DEP_3)
	v_add_co_ci_u32_e32 v26, vcc_lo, 0, v2, vcc_lo
	v_add_co_u32 v27, vcc_lo, v3, v73
	s_delay_alu instid0(VALU_DEP_4)
	v_add_co_ci_u32_e32 v28, vcc_lo, 0, v4, vcc_lo
	s_clause 0xf
	global_load_b128 v[1:4], v[25:26], off
	global_load_b128 v[5:8], v[25:26], off offset:512
	global_load_b128 v[9:12], v[27:28], off offset:256
	;; [unrolled: 1-line block ×15, first 2 shown]
	v_mov_b32_e32 v25, s36
	v_mov_b32_e32 v29, s40
	;; [unrolled: 1-line block ×3, first 2 shown]
	s_mov_b32 s47, s44
	s_mov_b32 s48, s44
	;; [unrolled: 1-line block ×5, first 2 shown]
	v_mov_b32_e32 v119, s21
	v_mov_b32_e32 v117, s19
	;; [unrolled: 1-line block ×3, first 2 shown]
	s_cselect_b32 s16, s25, s13
	v_dual_mov_b32 v129, s51 :: v_dual_mov_b32 v122, s44
	s_ashr_i32 s17, s16, 31
	v_mov_b32_e32 v26, s37
	s_lshl_b64 s[16:17], s[16:17], 2
	v_dual_mov_b32 v27, s38 :: v_dual_mov_b32 v32, s43
	s_add_u32 s16, s61, s16
	s_addc_u32 s17, s60, s17
	s_or_b32 s18, s12, 0xe0
	v_mov_b32_e32 v28, s39
	s_ashr_i32 s19, s18, 5
	s_cmp_lt_i32 s18, s33
	v_mov_b32_e32 v30, s41
	s_cselect_b32 s18, s19, s13
	v_mov_b32_e32 v128, s50
	s_ashr_i32 s19, s18, 31
	v_mov_b32_e32 v127, s49
	s_lshl_b64 s[18:19], s[18:19], 2
	v_mov_b32_e32 v126, s48
	s_add_u32 s18, s61, s18
	s_addc_u32 s19, s60, s19
	s_add_u32 s13, s58, s62
	s_addc_u32 s20, s59, s63
	v_add_co_u32 v67, s13, s13, v33
	s_delay_alu instid0(VALU_DEP_1)
	v_add_co_ci_u32_e64 v68, null, s20, 0, s13
	s_clause 0x1
	s_load_b32 s13, s[16:17], 0x0
	s_load_b32 s16, s[18:19], 0x0
	v_dual_mov_b32 v125, s47 :: v_dual_mov_b32 v124, s46
	v_mov_b32_e32 v123, s45
	s_waitcnt lgkmcnt(0)
	v_mad_i64_i32 v[33:34], null, s56, s53, v[67:68]
	v_mad_i64_i32 v[69:70], null, s54, s53, v[67:68]
	;; [unrolled: 1-line block ×5, first 2 shown]
	s_clause 0x5
	global_load_b128 v[49:52], v[33:34], off
	global_load_b128 v[53:56], v[33:34], off offset:16
	global_load_b128 v[41:44], v[35:36], off
	global_load_b128 v[45:48], v[35:36], off offset:16
	;; [unrolled: 2-line block ×3, first 2 shown]
	s_waitcnt vmcnt(20)
	v_wmma_f32_16x16x16_bf16 v[130:137], v[1:8], v[25:32], v[122:129]
	s_waitcnt vmcnt(18)
	v_wmma_f32_16x16x16_bf16 v[122:129], v[9:16], v[25:32], v[122:129]
	v_mad_i64_i32 v[13:14], null, s2, s53, v[67:68]
	s_waitcnt vmcnt(16)
	v_wmma_f32_16x16x16_bf16 v[130:137], v[17:24], v[106:113], v[130:137]
	v_mad_i64_i32 v[21:22], null, s13, s53, v[67:68]
	s_clause 0x1
	global_load_b128 v[25:28], v[69:70], off
	global_load_b128 v[29:32], v[69:70], off offset:16
	v_mad_i64_i32 v[69:70], null, s16, s53, v[67:68]
	s_waitcnt vmcnt(16)
	v_wmma_f32_16x16x16_bf16 v[122:129], v[57:64], v[106:113], v[122:129]
	s_clause 0x7
	global_load_b128 v[1:4], v[71:72], off
	global_load_b128 v[5:8], v[71:72], off offset:16
	global_load_b128 v[9:12], v[13:14], off
	global_load_b128 v[13:16], v[13:14], off offset:16
	;; [unrolled: 2-line block ×4, first 2 shown]
	v_mbcnt_lo_u32_b32 v68, -1, 0
	v_and_b32_e32 v67, 0xe0, v0
	s_waitcnt vmcnt(22)
	v_wmma_f32_16x16x16_bf16 v[130:137], v[74:81], v[114:121], v[130:137]
	s_waitcnt vmcnt(20)
	v_wmma_f32_16x16x16_bf16 v[122:129], v[82:89], v[114:121], v[122:129]
	v_mov_b32_e32 v82, s11
	v_mov_b32_e32 v76, s5
	v_xor_b32_e32 v69, 16, v68
	v_bfe_u32 v74, v0, 4, 1
	v_dual_mov_b32 v81, s10 :: v_dual_mov_b32 v80, s9
	v_mov_b32_e32 v79, s8
	s_delay_alu instid0(VALU_DEP_4) | instskip(SKIP_3) | instid1(VALU_DEP_3)
	v_cmp_gt_i32_e32 vcc_lo, 32, v69
	v_dual_mov_b32 v78, s7 :: v_dual_add_nc_u32 v67, s12, v67
	v_mov_b32_e32 v77, s6
	v_dual_mov_b32 v75, s4 :: v_dual_cndmask_b32 v68, v68, v69
	v_or_b32_e32 v67, v67, v74
	s_waitcnt vmcnt(0)
	s_barrier
	s_delay_alu instid0(VALU_DEP_2)
	v_wmma_f32_16x16x16_bf16 v[130:137], v[90:97], v[75:82], v[130:137]
	buffer_gl0_inv
	v_or_b32_e32 v69, 2, v67
	v_or_b32_e32 v70, 4, v67
	v_or_b32_e32 v71, 6, v67
	v_mul_f32_e32 v92, s35, v131
	v_wmma_f32_16x16x16_bf16 v[122:129], v[98:105], v[75:82], v[122:129]
	v_mul_f32_e32 v93, s35, v130
	v_cmp_gt_i32_e32 vcc_lo, s33, v69
	v_cmp_gt_i32_e64 s2, s33, v67
	v_or_b32_e32 v72, 8, v67
	v_mul_f32_e32 v98, s35, v125
	v_or_b32_e32 v83, 10, v67
	v_dual_mul_f32 v81, s35, v133 :: v_dual_mul_f32 v82, s35, v132
	v_cndmask_b32_e64 v93, 0xff7fffff, v93, s2
	v_cndmask_b32_e32 v92, 0xff7fffff, v92, vcc_lo
	v_cmp_gt_i32_e64 s3, s33, v70
	v_cmp_gt_i32_e64 s4, s33, v71
	v_or_b32_e32 v84, 12, v67
	v_or_b32_e32 v85, 14, v67
	v_dual_mul_f32 v79, s35, v135 :: v_dual_mul_f32 v94, s35, v129
	v_mul_f32_e32 v80, s35, v134
	v_cndmask_b32_e64 v70, 0xff7fffff, v82, s3
	v_cndmask_b32_e64 v71, 0xff7fffff, v81, s4
	v_max3_f32 v81, v93, 0xff7fffff, v92
	v_cmp_gt_i32_e64 s5, s33, v72
	v_cmp_gt_i32_e64 s6, s33, v83
	v_or_b32_e32 v86, 16, v67
	v_or_b32_e32 v87, 18, v67
	v_dual_mul_f32 v77, s35, v137 :: v_dual_mul_f32 v96, s35, v127
	v_mul_f32_e32 v78, s35, v136
	v_cndmask_b32_e64 v72, 0xff7fffff, v80, s5
	v_cndmask_b32_e64 v79, 0xff7fffff, v79, s6
	v_max3_f32 v70, v81, v70, v71
	v_cmp_gt_i32_e64 s7, s33, v84
	v_cmp_gt_i32_e64 s8, s33, v85
	v_or_b32_e32 v88, 20, v67
	v_or_b32_e32 v89, 22, v67
	;; [unrolled: 1-line block ×6, first 2 shown]
	v_mul_f32_e32 v69, s35, v123
	v_mul_f32_e32 v67, s35, v122
	v_cndmask_b32_e64 v71, 0xff7fffff, v78, s7
	v_cndmask_b32_e64 v77, 0xff7fffff, v77, s8
	v_max3_f32 v70, v70, v72, v79
	v_cmp_gt_i32_e64 s9, s33, v86
	v_cmp_gt_i32_e64 s10, s33, v87
	v_mul_f32_e32 v99, s35, v124
	v_cmp_gt_i32_e64 s11, s33, v88
	v_max3_f32 v70, v70, v71, v77
	v_cndmask_b32_e64 v67, 0xff7fffff, v67, s9
	v_cndmask_b32_e64 v69, 0xff7fffff, v69, s10
	v_cmp_gt_i32_e64 s12, s33, v89
	v_mul_f32_e32 v97, s35, v126
	v_cndmask_b32_e64 v71, 0xff7fffff, v99, s11
	v_cmp_gt_i32_e64 s13, s33, v90
	v_max3_f32 v67, v70, v67, v69
	v_cndmask_b32_e64 v72, 0xff7fffff, v98, s12
	v_cmp_gt_i32_e64 s16, s33, v91
	v_mul_f32_e32 v95, s35, v128
	v_cndmask_b32_e64 v69, 0xff7fffff, v97, s13
	v_cmp_gt_i32_e64 s17, s33, v75
	v_max3_f32 v67, v67, v71, v72
	v_cndmask_b32_e64 v70, 0xff7fffff, v96, s16
	v_cmp_gt_i32_e64 s18, s33, v76
	v_lshlrev_b32_e32 v81, 2, v68
	v_cndmask_b32_e64 v71, 0xff7fffff, v95, s17
	s_delay_alu instid0(VALU_DEP_4) | instskip(NEXT) | instid1(VALU_DEP_4)
	v_max3_f32 v67, v67, v69, v70
	v_cndmask_b32_e64 v72, 0xff7fffff, v94, s18
	s_delay_alu instid0(VALU_DEP_1) | instskip(SKIP_3) | instid1(VALU_DEP_1)
	v_max3_f32 v67, v67, v71, v72
	ds_bpermute_b32 v68, v81, v67
	s_waitcnt lgkmcnt(0)
	v_max_f32_e32 v68, v68, v68
	v_max_f32_e32 v67, v67, v68
	s_delay_alu instid0(VALU_DEP_1) | instskip(SKIP_4) | instid1(VALU_DEP_4)
	v_fma_f32 v68, s35, v130, -v67
	v_fma_f32 v69, s35, v131, -v67
	;; [unrolled: 1-line block ×5, first 2 shown]
	v_dual_mul_f32 v68, 0x3fb8aa3b, v68 :: v_dual_mul_f32 v69, 0x3fb8aa3b, v69
	s_delay_alu instid0(VALU_DEP_3) | instskip(NEXT) | instid1(VALU_DEP_3)
	v_dual_mul_f32 v70, 0x3fb8aa3b, v70 :: v_dual_mul_f32 v71, 0x3fb8aa3b, v71
	v_mul_f32_e32 v72, 0x3fb8aa3b, v72
	s_delay_alu instid0(VALU_DEP_3) | instskip(NEXT) | instid1(VALU_DEP_3)
	v_exp_f32_e32 v68, v68
	v_exp_f32_e32 v69, v69
	s_delay_alu instid0(VALU_DEP_2)
	v_exp_f32_e32 v70, v70
	v_exp_f32_e32 v71, v71
	;; [unrolled: 1-line block ×3, first 2 shown]
	v_cndmask_b32_e64 v79, 0, v68, s2
	v_fma_f32 v68, s35, v135, -v67
	v_cndmask_b32_e32 v75, 0, v69, vcc_lo
	s_delay_alu instid0(TRANS32_DEP_3)
	v_cndmask_b32_e64 v82, 0, v70, s3
	s_waitcnt_depctr 0xfff
	v_cndmask_b32_e64 v84, 0, v71, s4
	v_dual_add_f32 v69, 0, v79 :: v_dual_mul_f32 v68, 0x3fb8aa3b, v68
	v_cndmask_b32_e64 v85, 0, v72, s5
	s_mov_b32 s3, exec_lo
	s_delay_alu instid0(VALU_DEP_2) | instskip(NEXT) | instid1(VALU_DEP_3)
	v_add_f32_e32 v69, v69, v75
	v_exp_f32_e32 v68, v68
	s_delay_alu instid0(VALU_DEP_1) | instskip(NEXT) | instid1(VALU_DEP_1)
	v_add_f32_e32 v69, v69, v82
	v_add_f32_e32 v69, v69, v84
	s_waitcnt_depctr 0xfff
	v_cndmask_b32_e64 v86, 0, v68, s6
	v_add_f32_e32 v68, v69, v85
	s_delay_alu instid0(VALU_DEP_1)
	v_add_f32_e32 v68, v68, v86
	v_fma_f32 v72, s35, v123, -v67
	v_fma_f32 v76, s35, v136, -v67
	;; [unrolled: 1-line block ×5, first 2 shown]
	v_mul_f32_e32 v72, 0x3fb8aa3b, v72
	v_mul_f32_e32 v76, 0x3fb8aa3b, v76
	s_delay_alu instid0(VALU_DEP_4) | instskip(SKIP_1) | instid1(VALU_DEP_4)
	v_dual_mul_f32 v70, 0x3fb8aa3b, v70 :: v_dual_mul_f32 v69, 0x3fb8aa3b, v69
	v_fma_f32 v77, s35, v126, -v67
	v_exp_f32_e32 v72, v72
	s_delay_alu instid0(VALU_DEP_3) | instskip(NEXT) | instid1(VALU_DEP_2)
	v_exp_f32_e32 v76, v76
	v_exp_f32_e32 v70, v70
	;; [unrolled: 1-line block ×3, first 2 shown]
	v_fma_f32 v88, s35, v129, -v67
	s_delay_alu instid0(VALU_DEP_1) | instskip(SKIP_2) | instid1(TRANS32_DEP_3)
	v_mul_f32_e32 v88, 0x3fb8aa3b, v88
	v_cndmask_b32_e64 v69, 0, v72, s10
	v_mul_f32_e32 v71, 0x3fb8aa3b, v71
	v_cndmask_b32_e64 v83, 0, v76, s7
	s_delay_alu instid0(TRANS32_DEP_2) | instskip(SKIP_4) | instid1(VALU_DEP_3)
	v_cndmask_b32_e64 v87, 0, v70, s8
	v_fma_f32 v76, s35, v125, -v67
	v_fma_f32 v72, s35, v128, -v67
	v_exp_f32_e32 v71, v71
	v_add_f32_e32 v68, v68, v83
	v_mul_f32_e32 v76, 0x3fb8aa3b, v76
	s_delay_alu instid0(VALU_DEP_2) | instskip(NEXT) | instid1(VALU_DEP_2)
	v_add_f32_e32 v68, v68, v87
	v_exp_f32_e32 v76, v76
	s_waitcnt_depctr 0xfff
	v_cndmask_b32_e64 v70, 0, v71, s9
	v_fma_f32 v71, s35, v127, -v67
	s_delay_alu instid0(VALU_DEP_2) | instskip(NEXT) | instid1(VALU_DEP_2)
	v_add_f32_e32 v68, v68, v70
	v_mul_f32_e32 v80, 0x3fb8aa3b, v71
	v_cndmask_b32_e64 v71, 0, v78, s11
	v_mul_f32_e32 v78, 0x3fb8aa3b, v72
	v_cndmask_b32_e64 v72, 0, v76, s12
	v_add_f32_e32 v68, v68, v69
	v_mul_f32_e32 v77, 0x3fb8aa3b, v77
	v_exp_f32_e32 v80, v80
	v_exp_f32_e32 v78, v78
	s_delay_alu instid0(VALU_DEP_2) | instskip(NEXT) | instid1(VALU_DEP_2)
	v_add_f32_e32 v68, v68, v71
	v_exp_f32_e32 v77, v77
	s_delay_alu instid0(VALU_DEP_1)
	v_add_f32_e32 v68, v68, v72
	s_waitcnt_depctr 0xfff
	v_cndmask_b32_e64 v78, 0, v78, s17
	v_cndmask_b32_e64 v76, 0, v77, s13
	;; [unrolled: 1-line block ×3, first 2 shown]
	v_exp_f32_e32 v80, v88
	v_and_b32_e32 v88, 31, v0
	s_delay_alu instid0(VALU_DEP_3) | instskip(NEXT) | instid1(VALU_DEP_2)
	v_add_f32_e32 v68, v68, v76
	v_cmp_lt_u32_e64 s2, 15, v88
	s_delay_alu instid0(VALU_DEP_2) | instskip(SKIP_3) | instid1(VALU_DEP_1)
	v_add_f32_e32 v68, v68, v77
	s_waitcnt_depctr 0xfff
	v_cndmask_b32_e64 v80, 0, v80, s18
	v_add_f32_e32 v68, v68, v78
	v_add_f32_e32 v68, v68, v80
	ds_bpermute_b32 v81, v81, v68
	v_cmpx_gt_u32_e32 16, v88
	s_cbranch_execz .LBB1602_11
; %bb.10:
	v_mul_u32_u24_e32 v88, 0x44, v66
	s_delay_alu instid0(VALU_DEP_1) | instskip(SKIP_1) | instid1(VALU_DEP_1)
	v_lshl_add_u32 v88, v65, 2, v88
	s_waitcnt lgkmcnt(0)
	v_dual_add_f32 v68, v68, v81 :: v_dual_add_nc_u32 v81, 0x4000, v88
	ds_store_2addr_b32 v81, v67, v68 offset1:136
.LBB1602_11:
	s_or_b32 exec_lo, exec_lo, s3
	v_lshlrev_b32_e32 v67, 2, v65
	s_waitcnt lgkmcnt(0)
	s_barrier
	buffer_gl0_inv
	v_cmp_eq_u32_e32 vcc_lo, 1, v66
	v_add_nc_u32_e32 v81, 0x4000, v67
	v_cmp_eq_u32_e64 s3, 2, v66
	v_cmp_eq_u32_e64 s5, 7, v66
	ds_load_2addr_b32 v[88:89], v81 offset1:17
	ds_load_2addr_b32 v[90:91], v81 offset0:34 offset1:51
	ds_load_2addr_b32 v[92:93], v81 offset0:68 offset1:85
	;; [unrolled: 1-line block ×4, first 2 shown]
	s_waitcnt lgkmcnt(4)
	v_max3_f32 v67, v88, 0xff7fffff, v89
	s_waitcnt lgkmcnt(3)
	s_delay_alu instid0(VALU_DEP_1) | instskip(SKIP_1) | instid1(VALU_DEP_1)
	v_max3_f32 v67, v67, v90, v91
	s_waitcnt lgkmcnt(2)
	v_max3_f32 v67, v67, v92, v93
	s_waitcnt lgkmcnt(1)
	s_delay_alu instid0(VALU_DEP_1) | instskip(NEXT) | instid1(VALU_DEP_1)
	v_max3_f32 v67, v67, v94, v95
	v_sub_f32_e32 v68, v88, v67
	v_sub_f32_e32 v90, v90, v67
	;; [unrolled: 1-line block ×3, first 2 shown]
	s_delay_alu instid0(VALU_DEP_3) | instskip(NEXT) | instid1(VALU_DEP_3)
	v_mul_f32_e32 v68, 0x3fb8aa3b, v68
	v_mul_f32_e32 v100, 0x3fb8aa3b, v90
	s_delay_alu instid0(VALU_DEP_3) | instskip(NEXT) | instid1(VALU_DEP_3)
	v_mul_f32_e32 v102, 0x3fb8aa3b, v92
	v_exp_f32_e32 v99, v68
	v_sub_f32_e32 v68, v91, v67
	v_sub_f32_e32 v98, v89, v67
	v_exp_f32_e32 v100, v100
	s_delay_alu instid0(VALU_DEP_1)
	v_dual_mul_f32 v101, 0x3fb8aa3b, v68 :: v_dual_mul_f32 v98, 0x3fb8aa3b, v98
	s_waitcnt lgkmcnt(0)
	s_waitcnt_depctr 0xfff
	v_fma_f32 v68, v99, v96, 0
	v_sub_f32_e32 v96, v93, v67
	v_exp_f32_e32 v98, v98
	v_exp_f32_e32 v101, v101
	s_waitcnt_depctr 0xfff
	v_fmac_f32_e32 v68, v98, v97
	ds_load_2addr_b32 v[88:89], v81 offset0:170 offset1:187
	ds_load_2addr_b32 v[90:91], v81 offset0:204 offset1:221
	ds_load_2addr_b32 v[92:93], v81 offset0:238 offset1:255
	v_dual_sub_f32 v81, v94, v67 :: v_dual_mul_f32 v94, 0x3fb8aa3b, v96
	v_exp_f32_e32 v96, v102
	s_waitcnt lgkmcnt(0)
	s_barrier
	s_delay_alu instid0(VALU_DEP_1)
	v_mul_f32_e32 v81, 0x3fb8aa3b, v81
	v_exp_f32_e32 v94, v94
	buffer_gl0_inv
	v_exp_f32_e32 v81, v81
	v_fmac_f32_e32 v68, v100, v88
	v_sub_f32_e32 v88, v95, v67
	s_delay_alu instid0(VALU_DEP_2) | instskip(NEXT) | instid1(VALU_DEP_2)
	v_fmac_f32_e32 v68, v101, v89
	v_mul_f32_e32 v88, 0x3fb8aa3b, v88
	s_delay_alu instid0(VALU_DEP_2) | instskip(NEXT) | instid1(VALU_DEP_2)
	v_fmac_f32_e32 v68, v96, v90
	v_exp_f32_e32 v88, v88
	s_delay_alu instid0(VALU_DEP_1)
	v_fmac_f32_e32 v68, v94, v91
	s_delay_alu instid0(TRANS32_DEP_2) | instid1(VALU_DEP_1)
	v_fmac_f32_e32 v68, v81, v92
	s_waitcnt_depctr 0xfff
	v_fmac_f32_e32 v68, v88, v93
	s_delay_alu instid0(VALU_DEP_1) | instskip(NEXT) | instid1(VALU_DEP_1)
	v_add_f32_e32 v89, 0x358637bd, v68
	v_div_scale_f32 v90, null, v89, v89, 1.0
	v_div_scale_f32 v93, s4, 1.0, v89, 1.0
	s_delay_alu instid0(VALU_DEP_2) | instskip(SKIP_2) | instid1(VALU_DEP_1)
	v_rcp_f32_e32 v91, v90
	s_waitcnt_depctr 0xfff
	v_fma_f32 v92, -v90, v91, 1.0
	v_dual_fmac_f32 v91, v92, v91 :: v_dual_cndmask_b32 v92, v99, v98
	v_cmp_eq_u32_e32 vcc_lo, 3, v66
	s_delay_alu instid0(VALU_DEP_2) | instskip(NEXT) | instid1(VALU_DEP_3)
	v_mul_f32_e32 v95, v93, v91
	v_cndmask_b32_e64 v92, v92, v100, s3
	v_cmp_eq_u32_e64 s3, 4, v66
	s_delay_alu instid0(VALU_DEP_3) | instskip(NEXT) | instid1(VALU_DEP_3)
	v_fma_f32 v97, -v90, v95, v93
	v_cndmask_b32_e32 v92, v92, v101, vcc_lo
	v_cmp_eq_u32_e32 vcc_lo, 5, v66
	s_delay_alu instid0(VALU_DEP_3) | instskip(NEXT) | instid1(VALU_DEP_3)
	v_fmac_f32_e32 v95, v97, v91
	v_cndmask_b32_e64 v92, v92, v96, s3
	v_cmp_eq_u32_e64 s3, 6, v66
	s_delay_alu instid0(VALU_DEP_3) | instskip(NEXT) | instid1(VALU_DEP_3)
	v_fma_f32 v90, -v90, v95, v93
	v_cndmask_b32_e32 v92, v92, v94, vcc_lo
	s_mov_b32 vcc_lo, s4
	s_delay_alu instid0(VALU_DEP_2) | instskip(NEXT) | instid1(VALU_DEP_2)
	v_div_fmas_f32 v90, v90, v91, v95
	v_cndmask_b32_e64 v81, v92, v81, s3
	s_mov_b32 s3, exec_lo
	s_delay_alu instid0(VALU_DEP_2) | instskip(NEXT) | instid1(VALU_DEP_2)
	v_div_fixup_f32 v89, v90, v89, 1.0
	v_cndmask_b32_e64 v81, v81, v88, s5
	s_delay_alu instid0(VALU_DEP_1) | instskip(NEXT) | instid1(VALU_DEP_1)
	v_mul_f32_e32 v81, v81, v89
	v_mul_f32_e32 v83, v81, v83
	;; [unrolled: 1-line block ×7, first 2 shown]
	v_dual_mul_f32 v85, v81, v82 :: v_dual_and_b32 v90, 0x7f800000, v89
	v_mul_f32_e32 v84, v81, v75
                                        ; implicit-def: $vgpr75
	s_delay_alu instid0(VALU_DEP_2)
	v_cmpx_ne_u32_e32 0x7f800000, v90
	s_xor_b32 s3, exec_lo, s3
; %bb.12:
	v_bfe_u32 v75, v89, 16, 1
	s_delay_alu instid0(VALU_DEP_1)
	v_add3_u32 v75, v89, v75, 0x7fff
                                        ; implicit-def: $vgpr89
; %bb.13:
	s_and_not1_saveexec_b32 s3, s3
; %bb.14:
	v_and_b32_e32 v75, 0xffff, v89
	v_or_b32_e32 v82, 0x10000, v89
	s_delay_alu instid0(VALU_DEP_2) | instskip(NEXT) | instid1(VALU_DEP_2)
	v_cmp_eq_u32_e32 vcc_lo, 0, v75
	v_cndmask_b32_e32 v75, v82, v89, vcc_lo
; %bb.15:
	s_or_b32 exec_lo, exec_lo, s3
	v_and_b32_e32 v82, 0x7f800000, v84
	s_delay_alu instid0(VALU_DEP_1) | instskip(SKIP_1) | instid1(SALU_CYCLE_1)
	v_cmp_ne_u32_e32 vcc_lo, 0x7f800000, v82
                                        ; implicit-def: $vgpr82
	s_and_saveexec_b32 s3, vcc_lo
	s_xor_b32 s3, exec_lo, s3
; %bb.16:
	v_bfe_u32 v82, v84, 16, 1
	s_delay_alu instid0(VALU_DEP_1)
	v_add3_u32 v82, v84, v82, 0x7fff
                                        ; implicit-def: $vgpr84
; %bb.17:
	s_and_not1_saveexec_b32 s3, s3
; %bb.18:
	v_and_b32_e32 v82, 0xffff, v84
	v_or_b32_e32 v89, 0x10000, v84
	s_delay_alu instid0(VALU_DEP_2) | instskip(NEXT) | instid1(VALU_DEP_2)
	v_cmp_eq_u32_e32 vcc_lo, 0, v82
	v_cndmask_b32_e32 v82, v89, v84, vcc_lo
; %bb.19:
	s_or_b32 exec_lo, exec_lo, s3
	v_and_b32_e32 v84, 0x7f800000, v85
	s_delay_alu instid0(VALU_DEP_1) | instskip(SKIP_1) | instid1(SALU_CYCLE_1)
	v_cmp_ne_u32_e32 vcc_lo, 0x7f800000, v84
                                        ; implicit-def: $vgpr84
	s_and_saveexec_b32 s3, vcc_lo
	s_xor_b32 s3, exec_lo, s3
; %bb.20:
	v_bfe_u32 v84, v85, 16, 1
	s_delay_alu instid0(VALU_DEP_1)
	v_add3_u32 v84, v85, v84, 0x7fff
                                        ; implicit-def: $vgpr85
; %bb.21:
	s_and_not1_saveexec_b32 s3, s3
; %bb.22:
	v_and_b32_e32 v84, 0xffff, v85
	v_or_b32_e32 v89, 0x10000, v85
	s_delay_alu instid0(VALU_DEP_2) | instskip(NEXT) | instid1(VALU_DEP_2)
	v_cmp_eq_u32_e32 vcc_lo, 0, v84
	v_cndmask_b32_e32 v84, v89, v85, vcc_lo
; %bb.23:
	s_or_b32 exec_lo, exec_lo, s3
	v_and_b32_e32 v85, 0x7f800000, v88
	s_delay_alu instid0(VALU_DEP_1) | instskip(SKIP_1) | instid1(SALU_CYCLE_1)
	v_cmp_ne_u32_e32 vcc_lo, 0x7f800000, v85
                                        ; implicit-def: $vgpr85
	s_and_saveexec_b32 s3, vcc_lo
	s_xor_b32 s3, exec_lo, s3
; %bb.24:
	v_bfe_u32 v85, v88, 16, 1
	s_delay_alu instid0(VALU_DEP_1)
	v_add3_u32 v85, v88, v85, 0x7fff
                                        ; implicit-def: $vgpr88
; %bb.25:
	s_and_not1_saveexec_b32 s3, s3
; %bb.26:
	v_and_b32_e32 v85, 0xffff, v88
	v_or_b32_e32 v89, 0x10000, v88
	s_delay_alu instid0(VALU_DEP_2) | instskip(NEXT) | instid1(VALU_DEP_2)
	v_cmp_eq_u32_e32 vcc_lo, 0, v85
	v_cndmask_b32_e32 v85, v89, v88, vcc_lo
; %bb.27:
	s_or_b32 exec_lo, exec_lo, s3
	v_and_b32_e32 v88, 0x7f800000, v87
	s_delay_alu instid0(VALU_DEP_1) | instskip(SKIP_1) | instid1(SALU_CYCLE_1)
	v_cmp_ne_u32_e32 vcc_lo, 0x7f800000, v88
                                        ; implicit-def: $vgpr88
	s_and_saveexec_b32 s3, vcc_lo
	s_xor_b32 s3, exec_lo, s3
; %bb.28:
	v_bfe_u32 v88, v87, 16, 1
	s_delay_alu instid0(VALU_DEP_1)
	v_add3_u32 v88, v87, v88, 0x7fff
                                        ; implicit-def: $vgpr87
; %bb.29:
	s_and_not1_saveexec_b32 s3, s3
; %bb.30:
	v_and_b32_e32 v88, 0xffff, v87
	v_or_b32_e32 v89, 0x10000, v87
	s_delay_alu instid0(VALU_DEP_2) | instskip(NEXT) | instid1(VALU_DEP_2)
	v_cmp_eq_u32_e32 vcc_lo, 0, v88
	v_cndmask_b32_e32 v88, v89, v87, vcc_lo
; %bb.31:
	s_or_b32 exec_lo, exec_lo, s3
	v_and_b32_e32 v87, 0x7f800000, v86
	s_delay_alu instid0(VALU_DEP_1) | instskip(SKIP_1) | instid1(SALU_CYCLE_1)
	v_cmp_ne_u32_e32 vcc_lo, 0x7f800000, v87
                                        ; implicit-def: $vgpr87
	s_and_saveexec_b32 s3, vcc_lo
	s_xor_b32 s3, exec_lo, s3
; %bb.32:
	v_bfe_u32 v87, v86, 16, 1
	s_delay_alu instid0(VALU_DEP_1)
	v_add3_u32 v87, v86, v87, 0x7fff
                                        ; implicit-def: $vgpr86
; %bb.33:
	s_and_not1_saveexec_b32 s3, s3
; %bb.34:
	v_and_b32_e32 v87, 0xffff, v86
	v_or_b32_e32 v89, 0x10000, v86
	s_delay_alu instid0(VALU_DEP_2) | instskip(NEXT) | instid1(VALU_DEP_2)
	v_cmp_eq_u32_e32 vcc_lo, 0, v87
	v_cndmask_b32_e32 v87, v89, v86, vcc_lo
; %bb.35:
	s_or_b32 exec_lo, exec_lo, s3
	v_and_b32_e32 v86, 0x7f800000, v83
	s_delay_alu instid0(VALU_DEP_1) | instskip(SKIP_1) | instid1(SALU_CYCLE_1)
	v_cmp_ne_u32_e32 vcc_lo, 0x7f800000, v86
                                        ; implicit-def: $vgpr86
	s_and_saveexec_b32 s3, vcc_lo
	s_xor_b32 s3, exec_lo, s3
; %bb.36:
	v_bfe_u32 v86, v83, 16, 1
	s_delay_alu instid0(VALU_DEP_1)
	v_add3_u32 v86, v83, v86, 0x7fff
                                        ; implicit-def: $vgpr83
; %bb.37:
	s_and_not1_saveexec_b32 s3, s3
; %bb.38:
	v_and_b32_e32 v86, 0xffff, v83
	v_or_b32_e32 v89, 0x10000, v83
	s_delay_alu instid0(VALU_DEP_2) | instskip(NEXT) | instid1(VALU_DEP_2)
	v_cmp_eq_u32_e32 vcc_lo, 0, v86
	v_cndmask_b32_e32 v86, v89, v83, vcc_lo
; %bb.39:
	s_or_b32 exec_lo, exec_lo, s3
	v_and_b32_e32 v83, 0x7f800000, v79
	s_delay_alu instid0(VALU_DEP_1) | instskip(SKIP_1) | instid1(SALU_CYCLE_1)
	v_cmp_ne_u32_e32 vcc_lo, 0x7f800000, v83
                                        ; implicit-def: $vgpr83
	s_and_saveexec_b32 s3, vcc_lo
	s_xor_b32 s3, exec_lo, s3
; %bb.40:
	v_bfe_u32 v83, v79, 16, 1
	s_delay_alu instid0(VALU_DEP_1)
	v_add3_u32 v83, v79, v83, 0x7fff
                                        ; implicit-def: $vgpr79
; %bb.41:
	s_and_not1_saveexec_b32 s3, s3
; %bb.42:
	v_and_b32_e32 v83, 0xffff, v79
	v_or_b32_e32 v89, 0x10000, v79
	s_delay_alu instid0(VALU_DEP_2) | instskip(NEXT) | instid1(VALU_DEP_2)
	v_cmp_eq_u32_e32 vcc_lo, 0, v83
	v_cndmask_b32_e32 v83, v89, v79, vcc_lo
; %bb.43:
	s_or_b32 exec_lo, exec_lo, s3
	s_load_b64 s[36:37], s[0:1], 0x94
	v_lshlrev_b32_e32 v90, 4, v74
	s_delay_alu instid0(VALU_DEP_2)
	v_perm_b32 v89, v83, v86, 0x7060302
	v_lshlrev_b32_e32 v79, 6, v65
	v_dual_mul_f32 v76, v81, v76 :: v_dual_lshlrev_b32 v65, 11, v66
	v_perm_b32 v86, v82, v75, 0x7060302
	v_mul_f32_e32 v82, v81, v70
	v_perm_b32 v88, v87, v88, 0x7060302
	v_perm_b32 v87, v85, v84, 0x7060302
	v_or3_b32 v75, v90, v65, v79
	v_mul_f32_e32 v65, v81, v80
	v_mul_f32_e32 v70, v81, v78
	;; [unrolled: 1-line block ×3, first 2 shown]
	v_dual_mul_f32 v80, v81, v72 :: v_dual_and_b32 v83, 0x7f800000, v82
	v_mul_f32_e32 v78, v81, v71
	v_mul_f32_e32 v72, v81, v69
	s_mov_b32 s3, exec_lo
	ds_store_b128 v75, v[86:89]
                                        ; implicit-def: $vgpr69
	v_cmpx_ne_u32_e32 0x7f800000, v83
	s_xor_b32 s3, exec_lo, s3
; %bb.44:
	v_bfe_u32 v69, v82, 16, 1
	s_delay_alu instid0(VALU_DEP_1)
	v_add3_u32 v69, v82, v69, 0x7fff
                                        ; implicit-def: $vgpr82
; %bb.45:
	s_and_not1_saveexec_b32 s3, s3
; %bb.46:
	v_and_b32_e32 v69, 0xffff, v82
	v_or_b32_e32 v71, 0x10000, v82
	s_delay_alu instid0(VALU_DEP_2) | instskip(NEXT) | instid1(VALU_DEP_2)
	v_cmp_eq_u32_e32 vcc_lo, 0, v69
	v_cndmask_b32_e32 v69, v71, v82, vcc_lo
; %bb.47:
	s_or_b32 exec_lo, exec_lo, s3
	v_and_b32_e32 v71, 0x7f800000, v72
	s_delay_alu instid0(VALU_DEP_1) | instskip(SKIP_1) | instid1(SALU_CYCLE_1)
	v_cmp_ne_u32_e32 vcc_lo, 0x7f800000, v71
                                        ; implicit-def: $vgpr71
	s_and_saveexec_b32 s3, vcc_lo
	s_xor_b32 s3, exec_lo, s3
; %bb.48:
	v_bfe_u32 v71, v72, 16, 1
	s_delay_alu instid0(VALU_DEP_1)
	v_add3_u32 v71, v72, v71, 0x7fff
                                        ; implicit-def: $vgpr72
; %bb.49:
	s_and_not1_saveexec_b32 s3, s3
; %bb.50:
	v_and_b32_e32 v71, 0xffff, v72
	v_or_b32_e32 v81, 0x10000, v72
	s_delay_alu instid0(VALU_DEP_2) | instskip(NEXT) | instid1(VALU_DEP_2)
	v_cmp_eq_u32_e32 vcc_lo, 0, v71
	v_cndmask_b32_e32 v71, v81, v72, vcc_lo
; %bb.51:
	s_or_b32 exec_lo, exec_lo, s3
	v_and_b32_e32 v72, 0x7f800000, v78
	s_delay_alu instid0(VALU_DEP_1) | instskip(SKIP_1) | instid1(SALU_CYCLE_1)
	v_cmp_ne_u32_e32 vcc_lo, 0x7f800000, v72
                                        ; implicit-def: $vgpr72
	s_and_saveexec_b32 s3, vcc_lo
	s_xor_b32 s3, exec_lo, s3
; %bb.52:
	v_bfe_u32 v72, v78, 16, 1
	s_delay_alu instid0(VALU_DEP_1)
	v_add3_u32 v72, v78, v72, 0x7fff
                                        ; implicit-def: $vgpr78
; %bb.53:
	s_and_not1_saveexec_b32 s3, s3
; %bb.54:
	v_and_b32_e32 v72, 0xffff, v78
	v_or_b32_e32 v81, 0x10000, v78
	s_delay_alu instid0(VALU_DEP_2) | instskip(NEXT) | instid1(VALU_DEP_2)
	v_cmp_eq_u32_e32 vcc_lo, 0, v72
	v_cndmask_b32_e32 v72, v81, v78, vcc_lo
; %bb.55:
	s_or_b32 exec_lo, exec_lo, s3
	v_and_b32_e32 v78, 0x7f800000, v80
	s_delay_alu instid0(VALU_DEP_1) | instskip(SKIP_1) | instid1(SALU_CYCLE_1)
	v_cmp_ne_u32_e32 vcc_lo, 0x7f800000, v78
                                        ; implicit-def: $vgpr78
	s_and_saveexec_b32 s3, vcc_lo
	s_xor_b32 s3, exec_lo, s3
; %bb.56:
	v_bfe_u32 v78, v80, 16, 1
	s_delay_alu instid0(VALU_DEP_1)
	v_add3_u32 v78, v80, v78, 0x7fff
                                        ; implicit-def: $vgpr80
; %bb.57:
	s_and_not1_saveexec_b32 s3, s3
; %bb.58:
	v_and_b32_e32 v78, 0xffff, v80
	v_or_b32_e32 v81, 0x10000, v80
	s_delay_alu instid0(VALU_DEP_2) | instskip(NEXT) | instid1(VALU_DEP_2)
	v_cmp_eq_u32_e32 vcc_lo, 0, v78
	v_cndmask_b32_e32 v78, v81, v80, vcc_lo
; %bb.59:
	s_or_b32 exec_lo, exec_lo, s3
	v_and_b32_e32 v80, 0x7f800000, v76
	s_delay_alu instid0(VALU_DEP_1) | instskip(SKIP_1) | instid1(SALU_CYCLE_1)
	v_cmp_ne_u32_e32 vcc_lo, 0x7f800000, v80
                                        ; implicit-def: $vgpr80
	s_and_saveexec_b32 s3, vcc_lo
	s_xor_b32 s3, exec_lo, s3
; %bb.60:
	v_bfe_u32 v80, v76, 16, 1
	s_delay_alu instid0(VALU_DEP_1)
	v_add3_u32 v80, v76, v80, 0x7fff
                                        ; implicit-def: $vgpr76
; %bb.61:
	s_and_not1_saveexec_b32 s3, s3
; %bb.62:
	v_and_b32_e32 v80, 0xffff, v76
	v_or_b32_e32 v81, 0x10000, v76
	s_delay_alu instid0(VALU_DEP_2) | instskip(NEXT) | instid1(VALU_DEP_2)
	v_cmp_eq_u32_e32 vcc_lo, 0, v80
	v_cndmask_b32_e32 v80, v81, v76, vcc_lo
; %bb.63:
	s_or_b32 exec_lo, exec_lo, s3
	v_and_b32_e32 v76, 0x7f800000, v77
	s_delay_alu instid0(VALU_DEP_1) | instskip(SKIP_1) | instid1(SALU_CYCLE_1)
	v_cmp_ne_u32_e32 vcc_lo, 0x7f800000, v76
                                        ; implicit-def: $vgpr76
	s_and_saveexec_b32 s3, vcc_lo
	s_xor_b32 s3, exec_lo, s3
; %bb.64:
	v_bfe_u32 v76, v77, 16, 1
	s_delay_alu instid0(VALU_DEP_1)
	v_add3_u32 v76, v77, v76, 0x7fff
                                        ; implicit-def: $vgpr77
; %bb.65:
	s_and_not1_saveexec_b32 s3, s3
; %bb.66:
	v_and_b32_e32 v76, 0xffff, v77
	v_or_b32_e32 v81, 0x10000, v77
	s_delay_alu instid0(VALU_DEP_2) | instskip(NEXT) | instid1(VALU_DEP_2)
	v_cmp_eq_u32_e32 vcc_lo, 0, v76
	v_cndmask_b32_e32 v76, v81, v77, vcc_lo
; %bb.67:
	s_or_b32 exec_lo, exec_lo, s3
	v_and_b32_e32 v77, 0x7f800000, v70
	s_delay_alu instid0(VALU_DEP_1) | instskip(SKIP_1) | instid1(SALU_CYCLE_1)
	v_cmp_ne_u32_e32 vcc_lo, 0x7f800000, v77
                                        ; implicit-def: $vgpr77
	s_and_saveexec_b32 s3, vcc_lo
	s_xor_b32 s3, exec_lo, s3
; %bb.68:
	v_bfe_u32 v77, v70, 16, 1
	s_delay_alu instid0(VALU_DEP_1)
	v_add3_u32 v77, v70, v77, 0x7fff
                                        ; implicit-def: $vgpr70
; %bb.69:
	s_and_not1_saveexec_b32 s3, s3
; %bb.70:
	v_and_b32_e32 v77, 0xffff, v70
	v_or_b32_e32 v81, 0x10000, v70
	s_delay_alu instid0(VALU_DEP_2) | instskip(NEXT) | instid1(VALU_DEP_2)
	v_cmp_eq_u32_e32 vcc_lo, 0, v77
	v_cndmask_b32_e32 v77, v81, v70, vcc_lo
; %bb.71:
	s_or_b32 exec_lo, exec_lo, s3
	v_and_b32_e32 v70, 0x7f800000, v65
	s_delay_alu instid0(VALU_DEP_1) | instskip(SKIP_1) | instid1(SALU_CYCLE_1)
	v_cmp_ne_u32_e32 vcc_lo, 0x7f800000, v70
                                        ; implicit-def: $vgpr70
	s_and_saveexec_b32 s3, vcc_lo
	s_xor_b32 s3, exec_lo, s3
; %bb.72:
	v_bfe_u32 v70, v65, 16, 1
	s_delay_alu instid0(VALU_DEP_1)
	v_add3_u32 v70, v65, v70, 0x7fff
                                        ; implicit-def: $vgpr65
; %bb.73:
	s_and_not1_saveexec_b32 s3, s3
; %bb.74:
	v_and_b32_e32 v70, 0xffff, v65
	v_or_b32_e32 v81, 0x10000, v65
	s_delay_alu instid0(VALU_DEP_2) | instskip(NEXT) | instid1(VALU_DEP_2)
	v_cmp_eq_u32_e32 vcc_lo, 0, v70
	v_cndmask_b32_e32 v70, v81, v65, vcc_lo
; %bb.75:
	s_or_b32 exec_lo, exec_lo, s3
	s_delay_alu instid0(VALU_DEP_1)
	v_perm_b32 v85, v70, v77, 0x7060302
	v_perm_b32 v84, v76, v80, 0x7060302
	;; [unrolled: 1-line block ×4, first 2 shown]
	v_lshl_or_b32 v81, v66, 11, v79
	ds_store_b128 v75, v[82:85] offset:1024
	s_waitcnt lgkmcnt(0)
	s_barrier
	buffer_gl0_inv
	ds_load_b128 v[69:72], v81
	ds_load_b128 v[82:85], v81 offset:16
	s_waitcnt lgkmcnt(1)
	v_lshrrev_b32_e32 v65, 16, v69
	v_lshlrev_b32_e32 v77, 2, v74
	v_lshrrev_b32_e32 v66, 16, v70
	s_waitcnt lgkmcnt(0)
	v_lshrrev_b32_e32 v90, 16, v82
	v_lshrrev_b32_e32 v94, 16, v71
	;; [unrolled: 1-line block ×3, first 2 shown]
	v_cmp_eq_u32_e32 vcc_lo, 1, v77
	v_lshrrev_b32_e32 v95, 16, v72
	v_lshrrev_b32_e32 v97, 16, v84
	v_lshrrev_b32_e32 v98, 16, v85
	v_cndmask_b32_e32 v80, v69, v65, vcc_lo
	v_or_b32_e32 v78, 1, v77
	v_cmp_eq_u32_e64 s4, 2, v77
	v_cmp_eq_u32_e64 s7, 3, v77
	;; [unrolled: 1-line block ×3, first 2 shown]
	v_or_b32_e32 v76, 2, v77
	v_cmp_eq_u32_e64 s3, 1, v78
	v_cndmask_b32_e64 v80, v80, v70, s4
	v_cmp_eq_u32_e64 s6, 2, v78
	v_cmp_eq_u32_e64 s8, 3, v78
	v_cmp_eq_u32_e64 s10, 5, v77
	v_cndmask_b32_e64 v87, v69, v65, s3
	v_cndmask_b32_e64 v80, v80, v66, s7
	;; [unrolled: 1-line block ×3, first 2 shown]
	v_cmp_eq_u32_e64 s11, 4, v78
	v_cmp_eq_u32_e64 s5, 1, v76
	v_cndmask_b32_e64 v87, v87, v70, s6
	v_cndmask_b32_e64 v80, v80, v71, s9
	;; [unrolled: 1-line block ×3, first 2 shown]
	v_cmp_eq_u32_e64 s12, 6, v77
	v_cmp_eq_u32_e64 s13, 5, v78
	v_cndmask_b32_e64 v87, v87, v66, s8
	v_cndmask_b32_e64 v80, v80, v94, s10
	;; [unrolled: 1-line block ×4, first 2 shown]
	v_cmp_eq_u32_e64 s16, 7, v77
	v_cndmask_b32_e64 v87, v87, v71, s11
	v_cndmask_b32_e64 v80, v80, v72, s12
	v_cmp_eq_u32_e64 s17, 6, v78
	v_cmp_eq_u32_e64 s18, 2, v76
	v_cndmask_b32_e64 v88, v88, v84, s11
	v_cndmask_b32_e64 v87, v87, v94, s13
	v_cndmask_b32_e64 v99, v80, v95, s16
	v_cmp_eq_u32_e64 s19, 7, v78
	v_cndmask_b32_e64 v80, v89, v70, s18
	v_cmp_eq_u32_e64 s20, 3, v76
	v_cndmask_b32_e64 v87, v87, v72, s17
	v_cmp_eq_u32_e64 s21, 4, v76
	v_cmp_eq_u32_e64 s23, 5, v76
	;; [unrolled: 1-line block ×4, first 2 shown]
	v_cndmask_b32_e64 v101, v87, v95, s19
	v_cndmask_b32_e64 v87, v88, v97, s13
	;; [unrolled: 1-line block ×3, first 2 shown]
	v_or_b32_e32 v80, 3, v77
	s_delay_alu instid0(VALU_DEP_3) | instskip(NEXT) | instid1(VALU_DEP_3)
	v_cndmask_b32_e64 v102, v87, v85, s17
	v_cndmask_b32_e64 v91, v88, v71, s21
	s_delay_alu instid0(VALU_DEP_3)
	v_cmp_eq_u32_e64 s22, 1, v80
	v_cmp_eq_u32_e64 s24, 2, v80
	;; [unrolled: 1-line block ×5, first 2 shown]
	v_cndmask_b32_e64 v65, v69, v65, s22
	v_cmp_eq_u32_e64 s30, 6, v80
	v_cndmask_b32_e64 v103, v91, v94, s23
	s_delay_alu instid0(VALU_DEP_3) | instskip(NEXT) | instid1(VALU_DEP_1)
	v_cndmask_b32_e64 v65, v65, v70, s24
	v_cndmask_b32_e64 v65, v65, v66, s26
	s_delay_alu instid0(VALU_DEP_3) | instskip(NEXT) | instid1(VALU_DEP_2)
	v_cndmask_b32_e64 v66, v103, v72, s25
	v_cndmask_b32_e64 v65, v65, v71, s27
	s_delay_alu instid0(VALU_DEP_2) | instskip(NEXT) | instid1(VALU_DEP_2)
	v_cndmask_b32_e64 v66, v66, v95, s28
	v_cndmask_b32_e64 v65, v65, v94, s29
	s_delay_alu instid0(VALU_DEP_1) | instskip(SKIP_1) | instid1(VALU_DEP_1)
	v_cndmask_b32_e64 v65, v65, v72, s30
	v_cndmask_b32_e32 v86, v82, v90, vcc_lo
	v_cndmask_b32_e64 v86, v86, v83, s4
	s_delay_alu instid0(VALU_DEP_1) | instskip(NEXT) | instid1(VALU_DEP_1)
	v_cndmask_b32_e64 v86, v86, v96, s7
	v_cndmask_b32_e64 v86, v86, v84, s9
	s_delay_alu instid0(VALU_DEP_1) | instskip(NEXT) | instid1(VALU_DEP_1)
	v_cndmask_b32_e64 v86, v86, v97, s10
	v_cndmask_b32_e64 v86, v86, v85, s12
	s_delay_alu instid0(VALU_DEP_1) | instskip(SKIP_2) | instid1(VALU_DEP_2)
	v_cndmask_b32_e64 v100, v86, v98, s16
	v_cndmask_b32_e64 v86, v82, v90, s5
	;; [unrolled: 1-line block ×4, first 2 shown]
	s_delay_alu instid0(VALU_DEP_2) | instskip(SKIP_1) | instid1(VALU_DEP_3)
	v_cndmask_b32_e64 v70, v82, v83, s24
	v_cndmask_b32_e64 v82, v102, v98, s19
	;; [unrolled: 1-line block ×3, first 2 shown]
	ds_load_b128 v[86:89], v81 offset:1024
	v_cndmask_b32_e64 v70, v70, v96, s26
	v_cndmask_b32_e64 v69, v92, v84, s21
	ds_load_b128 v[90:93], v81 offset:1040
	v_cndmask_b32_e64 v70, v70, v84, s27
	v_cndmask_b32_e64 v69, v69, v97, s23
	s_delay_alu instid0(VALU_DEP_2) | instskip(NEXT) | instid1(VALU_DEP_2)
	v_cndmask_b32_e64 v70, v70, v97, s29
	v_cndmask_b32_e64 v69, v69, v85, s25
	s_delay_alu instid0(VALU_DEP_2) | instskip(NEXT) | instid1(VALU_DEP_2)
	v_cndmask_b32_e64 v70, v70, v85, s30
	v_cndmask_b32_e64 v69, v69, v98, s28
	s_waitcnt lgkmcnt(1)
	v_lshrrev_b32_e32 v83, 16, v86
	v_lshrrev_b32_e32 v94, 16, v87
	v_lshrrev_b32_e32 v102, 16, v89
	s_delay_alu instid0(VALU_DEP_3) | instskip(SKIP_3) | instid1(VALU_DEP_3)
	v_cndmask_b32_e32 v71, v86, v83, vcc_lo
	s_waitcnt lgkmcnt(0)
	v_lshrrev_b32_e32 v84, 16, v90
	v_cndmask_b32_e64 v96, v86, v83, s3
	v_cndmask_b32_e64 v71, v71, v87, s4
	s_delay_alu instid0(VALU_DEP_3) | instskip(NEXT) | instid1(VALU_DEP_3)
	v_cndmask_b32_e32 v97, v90, v84, vcc_lo
	v_cndmask_b32_e64 v72, v96, v87, s6
	v_lshrrev_b32_e32 v96, 16, v91
	v_cmp_eq_u32_e32 vcc_lo, 7, v80
	v_cndmask_b32_e64 v71, v71, v94, s7
	v_cndmask_b32_e64 v85, v97, v91, s4
	;; [unrolled: 1-line block ×3, first 2 shown]
	v_lshrrev_b32_e32 v97, 16, v88
	v_cndmask_b32_e32 v65, v65, v95, vcc_lo
	v_cndmask_b32_e64 v71, v71, v88, s9
	v_cndmask_b32_e64 v85, v85, v96, s7
	v_cndmask_b32_e32 v70, v70, v98, vcc_lo
	v_cndmask_b32_e64 v95, v72, v88, s11
	v_lshrrev_b32_e32 v98, 16, v92
	v_cndmask_b32_e64 v71, v71, v97, s10
	v_cndmask_b32_e64 v85, v85, v92, s9
	v_perm_b32 v72, v70, v65, 0x5040100
	v_cndmask_b32_e64 v65, v95, v97, s13
	v_perm_b32 v70, v82, v101, 0x5040100
	v_cndmask_b32_e64 v95, v71, v89, s12
	v_cndmask_b32_e64 v85, v85, v98, s10
	v_perm_b32 v71, v69, v66, 0x5040100
	v_cndmask_b32_e64 v65, v65, v89, s17
	v_lshrrev_b32_e32 v82, 16, v93
	v_cndmask_b32_e64 v66, v95, v102, s16
	v_cndmask_b32_e64 v69, v85, v93, s12
	;; [unrolled: 1-line block ×34, first 2 shown]
	v_cndmask_b32_e32 v83, v83, v102, vcc_lo
	v_cndmask_b32_e32 v85, v86, v82, vcc_lo
	v_cndmask_b32_e64 v86, v87, v82, s28
	v_cndmask_b32_e64 v87, v84, v82, s19
	;; [unrolled: 1-line block ×3, first 2 shown]
	v_perm_b32 v69, v100, v99, 0x5040100
	v_perm_b32 v85, v85, v83, 0x5040100
	;; [unrolled: 1-line block ×5, first 2 shown]
	s_mov_b32 s3, exec_lo
	ds_store_b128 v75, v[69:72]
	ds_store_b128 v75, v[82:85] offset:1024
	v_cmpx_eq_u32_e32 0, v0
	s_cbranch_execz .LBB1602_77
; %bb.76:
	s_load_b128 s[4:7], s[0:1], 0x58
	s_mul_i32 s8, s37, s34
	v_mov_b32_e32 v65, 0
	s_add_i32 s8, s8, s15
	s_delay_alu instid0(SALU_CYCLE_1) | instskip(NEXT) | instid1(SALU_CYCLE_1)
	s_mul_i32 s8, s8, s36
	s_add_i32 s8, s8, s14
	s_delay_alu instid0(SALU_CYCLE_1) | instskip(NEXT) | instid1(SALU_CYCLE_1)
	s_ashr_i32 s9, s8, 31
	s_lshl_b64 s[8:9], s[8:9], 2
	s_waitcnt lgkmcnt(0)
	s_add_u32 s6, s6, s8
	s_addc_u32 s7, s7, s9
	s_add_u32 s4, s4, s8
	s_addc_u32 s5, s5, s9
	s_clause 0x1
	global_store_b32 v65, v67, s[6:7]
	global_store_b32 v65, v68, s[4:5]
.LBB1602_77:
	s_or_b32 exec_lo, exec_lo, s3
	s_waitcnt lgkmcnt(0)
	s_waitcnt_vscnt null, 0x0
	s_barrier
	buffer_gl0_inv
	ds_load_b128 v[82:85], v79
	ds_load_b128 v[86:89], v79 offset:16
	ds_load_b128 v[94:97], v79 offset:2064
	;; [unrolled: 1-line block ×3, first 2 shown]
	v_mov_b32_e32 v65, 0
	ds_load_b128 v[102:105], v79 offset:4112
	ds_load_b128 v[98:101], v79 offset:4096
	;; [unrolled: 1-line block ×4, first 2 shown]
	v_mov_b32_e32 v66, v65
	v_mov_b32_e32 v67, v65
	;; [unrolled: 1-line block ×7, first 2 shown]
	s_waitcnt lgkmcnt(6)
	s_delay_alu instid0(VALU_DEP_1)
	v_wmma_f32_16x16x16_bf16 v[65:72], v[49:56], v[82:89], v[65:72]
	ds_load_b128 v[53:56], v79 offset:8208
	ds_load_b128 v[49:52], v79 offset:8192
	s_waitcnt lgkmcnt(6)
	v_wmma_f32_16x16x16_bf16 v[65:72], v[41:48], v[90:97], v[65:72]
	ds_load_b128 v[45:48], v79 offset:10256
	ds_load_b128 v[41:44], v79 offset:10240
	s_waitcnt lgkmcnt(6)
	;; [unrolled: 4-line block ×4, first 2 shown]
	v_wmma_f32_16x16x16_bf16 v[65:72], v[1:8], v[49:56], v[65:72]
	s_waitcnt lgkmcnt(4)
	s_delay_alu instid0(VALU_DEP_1) | instskip(SKIP_1) | instid1(VALU_DEP_1)
	v_wmma_f32_16x16x16_bf16 v[65:72], v[9:16], v[41:48], v[65:72]
	s_waitcnt lgkmcnt(2)
	v_wmma_f32_16x16x16_bf16 v[65:72], v[17:24], v[33:40], v[65:72]
	s_waitcnt lgkmcnt(0)
	s_delay_alu instid0(VALU_DEP_1) | instskip(NEXT) | instid1(VALU_DEP_1)
	v_wmma_f32_16x16x16_bf16 v[65:72], v[57:64], v[25:32], v[65:72]
	v_and_b32_e32 v1, 0x7f800000, v65
	s_delay_alu instid0(VALU_DEP_1) | instskip(SKIP_1) | instid1(SALU_CYCLE_1)
	v_cmp_ne_u32_e32 vcc_lo, 0x7f800000, v1
                                        ; implicit-def: $vgpr1
	s_and_saveexec_b32 s3, vcc_lo
	s_xor_b32 s3, exec_lo, s3
; %bb.78:
	v_bfe_u32 v1, v65, 16, 1
	s_delay_alu instid0(VALU_DEP_1)
	v_add3_u32 v1, v65, v1, 0x7fff
; %bb.79:
	s_and_not1_saveexec_b32 s3, s3
; %bb.80:
	v_and_b32_e32 v1, 0xffff, v65
	v_or_b32_e32 v2, 0x10000, v65
	s_delay_alu instid0(VALU_DEP_2) | instskip(NEXT) | instid1(VALU_DEP_2)
	v_cmp_eq_u32_e32 vcc_lo, 0, v1
	v_cndmask_b32_e32 v1, v2, v65, vcc_lo
; %bb.81:
	s_or_b32 exec_lo, exec_lo, s3
	v_and_b32_e32 v2, 0x7f800000, v66
	s_delay_alu instid0(VALU_DEP_1) | instskip(SKIP_1) | instid1(SALU_CYCLE_1)
	v_cmp_ne_u32_e32 vcc_lo, 0x7f800000, v2
                                        ; implicit-def: $vgpr2
	s_and_saveexec_b32 s3, vcc_lo
	s_xor_b32 s3, exec_lo, s3
; %bb.82:
	v_bfe_u32 v2, v66, 16, 1
	s_delay_alu instid0(VALU_DEP_1)
	v_add3_u32 v2, v66, v2, 0x7fff
; %bb.83:
	s_and_not1_saveexec_b32 s3, s3
; %bb.84:
	v_and_b32_e32 v2, 0xffff, v66
	v_or_b32_e32 v3, 0x10000, v66
	s_delay_alu instid0(VALU_DEP_2) | instskip(NEXT) | instid1(VALU_DEP_2)
	v_cmp_eq_u32_e32 vcc_lo, 0, v2
	v_cndmask_b32_e32 v2, v3, v66, vcc_lo
; %bb.85:
	s_or_b32 exec_lo, exec_lo, s3
	v_and_b32_e32 v3, 0x7f800000, v67
	s_delay_alu instid0(VALU_DEP_1) | instskip(SKIP_1) | instid1(SALU_CYCLE_1)
	v_cmp_ne_u32_e32 vcc_lo, 0x7f800000, v3
                                        ; implicit-def: $vgpr3
	s_and_saveexec_b32 s3, vcc_lo
	s_xor_b32 s3, exec_lo, s3
; %bb.86:
	v_bfe_u32 v3, v67, 16, 1
	s_delay_alu instid0(VALU_DEP_1)
	v_add3_u32 v3, v67, v3, 0x7fff
; %bb.87:
	s_and_not1_saveexec_b32 s3, s3
; %bb.88:
	v_and_b32_e32 v3, 0xffff, v67
	v_or_b32_e32 v4, 0x10000, v67
	s_delay_alu instid0(VALU_DEP_2) | instskip(NEXT) | instid1(VALU_DEP_2)
	v_cmp_eq_u32_e32 vcc_lo, 0, v3
	v_cndmask_b32_e32 v3, v4, v67, vcc_lo
; %bb.89:
	s_or_b32 exec_lo, exec_lo, s3
	v_and_b32_e32 v4, 0x7f800000, v68
	s_delay_alu instid0(VALU_DEP_1) | instskip(SKIP_1) | instid1(SALU_CYCLE_1)
	v_cmp_ne_u32_e32 vcc_lo, 0x7f800000, v4
                                        ; implicit-def: $vgpr4
	s_and_saveexec_b32 s3, vcc_lo
	s_xor_b32 s3, exec_lo, s3
; %bb.90:
	v_bfe_u32 v4, v68, 16, 1
	s_delay_alu instid0(VALU_DEP_1)
	v_add3_u32 v4, v68, v4, 0x7fff
; %bb.91:
	s_and_not1_saveexec_b32 s3, s3
; %bb.92:
	v_and_b32_e32 v4, 0xffff, v68
	v_or_b32_e32 v5, 0x10000, v68
	s_delay_alu instid0(VALU_DEP_2) | instskip(NEXT) | instid1(VALU_DEP_2)
	v_cmp_eq_u32_e32 vcc_lo, 0, v4
	v_cndmask_b32_e32 v4, v5, v68, vcc_lo
; %bb.93:
	s_or_b32 exec_lo, exec_lo, s3
	v_and_b32_e32 v5, 0x7f800000, v69
	s_delay_alu instid0(VALU_DEP_1) | instskip(SKIP_1) | instid1(SALU_CYCLE_1)
	v_cmp_ne_u32_e32 vcc_lo, 0x7f800000, v5
                                        ; implicit-def: $vgpr5
	s_and_saveexec_b32 s3, vcc_lo
	s_xor_b32 s3, exec_lo, s3
; %bb.94:
	v_bfe_u32 v5, v69, 16, 1
	s_delay_alu instid0(VALU_DEP_1)
	v_add3_u32 v5, v69, v5, 0x7fff
; %bb.95:
	s_and_not1_saveexec_b32 s3, s3
; %bb.96:
	v_and_b32_e32 v5, 0xffff, v69
	v_or_b32_e32 v6, 0x10000, v69
	s_delay_alu instid0(VALU_DEP_2) | instskip(NEXT) | instid1(VALU_DEP_2)
	v_cmp_eq_u32_e32 vcc_lo, 0, v5
	v_cndmask_b32_e32 v5, v6, v69, vcc_lo
; %bb.97:
	s_or_b32 exec_lo, exec_lo, s3
	v_and_b32_e32 v6, 0x7f800000, v70
	s_delay_alu instid0(VALU_DEP_1) | instskip(SKIP_1) | instid1(SALU_CYCLE_1)
	v_cmp_ne_u32_e32 vcc_lo, 0x7f800000, v6
                                        ; implicit-def: $vgpr6
	s_and_saveexec_b32 s3, vcc_lo
	s_xor_b32 s3, exec_lo, s3
; %bb.98:
	v_bfe_u32 v6, v70, 16, 1
	s_delay_alu instid0(VALU_DEP_1)
	v_add3_u32 v6, v70, v6, 0x7fff
; %bb.99:
	s_and_not1_saveexec_b32 s3, s3
; %bb.100:
	v_and_b32_e32 v6, 0xffff, v70
	v_or_b32_e32 v7, 0x10000, v70
	s_delay_alu instid0(VALU_DEP_2) | instskip(NEXT) | instid1(VALU_DEP_2)
	v_cmp_eq_u32_e32 vcc_lo, 0, v6
	v_cndmask_b32_e32 v6, v7, v70, vcc_lo
; %bb.101:
	s_or_b32 exec_lo, exec_lo, s3
	v_and_b32_e32 v7, 0x7f800000, v71
	s_delay_alu instid0(VALU_DEP_1) | instskip(SKIP_1) | instid1(SALU_CYCLE_1)
	v_cmp_ne_u32_e32 vcc_lo, 0x7f800000, v7
                                        ; implicit-def: $vgpr7
	s_and_saveexec_b32 s3, vcc_lo
	s_xor_b32 s3, exec_lo, s3
; %bb.102:
	v_bfe_u32 v7, v71, 16, 1
	s_delay_alu instid0(VALU_DEP_1)
	v_add3_u32 v7, v71, v7, 0x7fff
; %bb.103:
	s_and_not1_saveexec_b32 s3, s3
; %bb.104:
	v_and_b32_e32 v7, 0xffff, v71
	v_or_b32_e32 v8, 0x10000, v71
	s_delay_alu instid0(VALU_DEP_2) | instskip(NEXT) | instid1(VALU_DEP_2)
	v_cmp_eq_u32_e32 vcc_lo, 0, v7
	v_cndmask_b32_e32 v7, v8, v71, vcc_lo
; %bb.105:
	s_or_b32 exec_lo, exec_lo, s3
	v_and_b32_e32 v8, 0x7f800000, v72
	s_delay_alu instid0(VALU_DEP_1) | instskip(SKIP_1) | instid1(SALU_CYCLE_1)
	v_cmp_ne_u32_e32 vcc_lo, 0x7f800000, v8
                                        ; implicit-def: $vgpr8
	s_and_saveexec_b32 s3, vcc_lo
	s_xor_b32 s3, exec_lo, s3
; %bb.106:
	v_bfe_u32 v8, v72, 16, 1
	s_delay_alu instid0(VALU_DEP_1)
	v_add3_u32 v8, v72, v8, 0x7fff
                                        ; implicit-def: $vgpr65_vgpr66_vgpr67_vgpr68_vgpr69_vgpr70_vgpr71_vgpr72
; %bb.107:
	s_and_not1_saveexec_b32 s3, s3
; %bb.108:
	v_and_b32_e32 v8, 0xffff, v72
	v_or_b32_e32 v9, 0x10000, v72
	s_delay_alu instid0(VALU_DEP_2) | instskip(NEXT) | instid1(VALU_DEP_2)
	v_cmp_eq_u32_e32 vcc_lo, 0, v8
	v_cndmask_b32_e32 v8, v9, v72, vcc_lo
; %bb.109:
	s_or_b32 exec_lo, exec_lo, s3
	s_delay_alu instid0(VALU_DEP_1)
	v_perm_b32 v7, v8, v7, 0x7060302
	v_perm_b32 v6, v6, v5, 0x7060302
	;; [unrolled: 1-line block ×4, first 2 shown]
	s_barrier
	buffer_gl0_inv
	v_cmp_eq_u32_e32 vcc_lo, 1, v77
	ds_store_b128 v75, v[4:7]
	s_waitcnt lgkmcnt(0)
	s_barrier
	buffer_gl0_inv
	ds_load_b128 v[1:4], v81
	ds_load_b128 v[5:8], v81 offset:16
	v_cmp_eq_u32_e64 s3, 1, v78
	v_cmp_eq_u32_e64 s4, 2, v77
	;; [unrolled: 1-line block ×5, first 2 shown]
	s_xor_b32 s2, s2, -1
	s_waitcnt lgkmcnt(1)
	v_lshrrev_b32_e32 v9, 16, v1
	s_waitcnt lgkmcnt(0)
	v_lshrrev_b32_e32 v13, 16, v5
	v_lshrrev_b32_e32 v10, 16, v2
	;; [unrolled: 1-line block ×4, first 2 shown]
	v_cndmask_b32_e64 v19, v1, v9, s3
	v_cndmask_b32_e32 v18, v5, v13, vcc_lo
	v_cndmask_b32_e64 v20, v5, v13, s3
	v_cndmask_b32_e32 v17, v1, v9, vcc_lo
	v_cmp_eq_u32_e32 vcc_lo, 2, v78
	v_lshrrev_b32_e32 v15, 16, v7
	v_cmp_eq_u32_e64 s3, 1, v76
	v_lshrrev_b32_e32 v12, 16, v4
	v_lshrrev_b32_e32 v16, 16, v8
	v_cndmask_b32_e32 v20, v20, v6, vcc_lo
	v_cndmask_b32_e64 v17, v17, v2, s4
	v_cndmask_b32_e32 v19, v19, v2, vcc_lo
	v_cndmask_b32_e64 v18, v18, v6, s4
	v_cmp_eq_u32_e32 vcc_lo, 4, v77
	v_cmp_eq_u32_e64 s4, 3, v78
	v_cndmask_b32_e64 v17, v17, v10, s5
	v_cndmask_b32_e64 v21, v1, v9, s3
	;; [unrolled: 1-line block ×5, first 2 shown]
	v_cndmask_b32_e32 v17, v17, v3, vcc_lo
	v_cndmask_b32_e64 v20, v20, v14, s4
	v_cndmask_b32_e32 v18, v18, v7, vcc_lo
	v_cmp_eq_u32_e32 vcc_lo, 4, v78
	v_cmp_eq_u32_e64 s4, 5, v78
	v_cmp_eq_u32_e64 s3, 2, v80
	v_cndmask_b32_e64 v21, v21, v2, s7
	v_cmp_eq_u32_e64 s5, 5, v77
	v_cndmask_b32_e32 v19, v19, v3, vcc_lo
	v_cndmask_b32_e32 v20, v20, v7, vcc_lo
	v_cmp_eq_u32_e32 vcc_lo, 6, v78
	s_delay_alu instid0(VALU_DEP_4) | instskip(NEXT) | instid1(VALU_DEP_4)
	v_cndmask_b32_e64 v17, v17, v11, s5
	v_cndmask_b32_e64 v19, v19, v11, s4
	s_delay_alu instid0(VALU_DEP_4) | instskip(SKIP_1) | instid1(VALU_DEP_3)
	v_cndmask_b32_e64 v20, v20, v15, s4
	v_cmp_eq_u32_e64 s4, 1, v80
	v_cndmask_b32_e32 v19, v19, v4, vcc_lo
	v_cndmask_b32_e64 v18, v18, v15, s5
	s_delay_alu instid0(VALU_DEP_3)
	v_cndmask_b32_e64 v1, v1, v9, s4
	v_cndmask_b32_e64 v5, v5, v13, s4
	v_cmp_eq_u32_e64 s4, 3, v76
	v_cndmask_b32_e64 v13, v22, v6, s7
	v_cmp_eq_u32_e64 s7, 3, v80
	v_cndmask_b32_e64 v1, v1, v2, s3
	v_cndmask_b32_e64 v2, v5, v6, s3
	;; [unrolled: 1-line block ×3, first 2 shown]
	v_cmp_eq_u32_e64 s3, 4, v76
	v_cndmask_b32_e64 v6, v13, v14, s4
	v_cndmask_b32_e64 v1, v1, v10, s7
	v_cmp_eq_u32_e64 s4, 4, v80
	v_cndmask_b32_e64 v2, v2, v14, s7
	v_cndmask_b32_e64 v5, v9, v3, s3
	;; [unrolled: 3-line block ×3, first 2 shown]
	v_cndmask_b32_e64 v2, v2, v7, s4
	v_cmp_eq_u32_e64 s3, 5, v80
	v_cmp_eq_u32_e64 s5, 6, v77
	v_cndmask_b32_e64 v5, v5, v11, s7
	v_cmp_eq_u32_e64 s4, 6, v76
	v_cndmask_b32_e64 v3, v6, v15, s7
	v_cndmask_b32_e64 v1, v1, v11, s3
	v_cmp_eq_u32_e64 s7, 6, v80
	v_cndmask_b32_e64 v2, v2, v15, s3
	v_cndmask_b32_e64 v17, v17, v4, s5
	v_cndmask_b32_e64 v18, v18, v8, s5
	v_cmp_eq_u32_e64 s5, 7, v77
	v_cndmask_b32_e64 v5, v5, v4, s4
	;; [unrolled: 4-line block ×3, first 2 shown]
	v_cmp_eq_u32_e64 s4, 7, v76
	v_cndmask_b32_e32 v4, v20, v8, vcc_lo
	v_cndmask_b32_e64 v17, v17, v12, s5
	v_cndmask_b32_e64 v19, v19, v12, s6
	v_cndmask_b32_e64 v1, v1, v12, s3
	v_cndmask_b32_e64 v5, v5, v12, s4
	v_cndmask_b32_e64 v2, v2, v16, s3
	v_cndmask_b32_e64 v3, v3, v16, s4
	v_cndmask_b32_e64 v6, v4, v16, s6
	v_cndmask_b32_e64 v7, v18, v16, s5
	v_cmp_gt_u32_e32 vcc_lo, 32, v0
	v_perm_b32 v4, v2, v1, 0x5040100
	v_perm_b32 v3, v3, v5, 0x5040100
	v_perm_b32 v2, v6, v19, 0x5040100
	v_perm_b32 v1, v7, v17, 0x5040100
	s_and_b32 s2, vcc_lo, s2
	ds_store_b128 v75, v[1:4]
	s_waitcnt lgkmcnt(0)
	s_barrier
	buffer_gl0_inv
	s_and_saveexec_b32 s3, s2
	s_cbranch_execz .LBB1602_2
; %bb.110:
	s_load_b64 s[0:1], s[0:1], 0x68
	v_lshlrev_b32_e32 v1, 10, v0
	v_and_b32_e32 v0, 1, v0
	v_lshlrev_b32_e32 v2, 6, v74
	s_lshl_b32 s4, s36, 7
	s_delay_alu instid0(VALU_DEP_3) | instskip(NEXT) | instid1(VALU_DEP_3)
	v_and_b32_e32 v1, 0x3800, v1
	v_lshlrev_b32_e32 v0, 4, v0
	s_mul_i32 s2, s4, s34
	s_delay_alu instid0(SALU_CYCLE_1) | instskip(NEXT) | instid1(VALU_DEP_1)
	s_mul_i32 s2, s2, s37
	v_or3_b32 v0, v1, v2, v0
	s_ashr_i32 s3, s2, 31
	s_delay_alu instid0(SALU_CYCLE_1)
	s_lshl_b64 s[2:3], s[2:3], 1
	ds_load_b128 v[0:3], v0
	s_waitcnt lgkmcnt(0)
	s_add_u32 s5, s0, s2
	s_addc_u32 s3, s1, s3
	s_lshl_b32 s0, s14, 7
	s_mul_i32 s2, s4, s15
	s_ashr_i32 s1, s0, 31
	s_delay_alu instid0(SALU_CYCLE_1) | instskip(NEXT) | instid1(SALU_CYCLE_1)
	s_lshl_b64 s[0:1], s[0:1], 1
	s_add_u32 s4, s5, s0
	s_addc_u32 s5, s3, s1
	s_ashr_i32 s3, s2, 31
	s_delay_alu instid0(SALU_CYCLE_1) | instskip(NEXT) | instid1(SALU_CYCLE_1)
	s_lshl_b64 s[0:1], s[2:3], 1
	s_add_u32 s0, s4, s0
	s_addc_u32 s1, s5, s1
	global_store_b128 v73, v[0:3], s[0:1]
	s_nop 0
	s_sendmsg sendmsg(MSG_DEALLOC_VGPRS)
	s_endpgm
	.section	.rodata,"a",@progbits
	.p2align	6, 0x0
	.amdhsa_kernel _Z39paged_attention_ll4mi_QKV_mfma16_kernelI14__hip_bfloat16hLN4vllm18Fp8KVCacheDataTypeE1EhLi32ELi128ELi256ELb1ELi1EL8MFMAType1EEvPKT_PKT0_S9_ifPKiSB_SB_iPKfiiiPfSE_PS4_PT2_iSD_SD_
		.amdhsa_group_segment_fixed_size 17472
		.amdhsa_private_segment_fixed_size 0
		.amdhsa_kernarg_size 400
		.amdhsa_user_sgpr_count 13
		.amdhsa_user_sgpr_dispatch_ptr 0
		.amdhsa_user_sgpr_queue_ptr 0
		.amdhsa_user_sgpr_kernarg_segment_ptr 1
		.amdhsa_user_sgpr_dispatch_id 0
		.amdhsa_user_sgpr_private_segment_size 0
		.amdhsa_wavefront_size32 1
		.amdhsa_uses_dynamic_stack 0
		.amdhsa_enable_private_segment 0
		.amdhsa_system_sgpr_workgroup_id_x 1
		.amdhsa_system_sgpr_workgroup_id_y 1
		.amdhsa_system_sgpr_workgroup_id_z 1
		.amdhsa_system_sgpr_workgroup_info 0
		.amdhsa_system_vgpr_workitem_id 0
		.amdhsa_next_free_vgpr 138
		.amdhsa_next_free_sgpr 68
		.amdhsa_reserve_vcc 1
		.amdhsa_float_round_mode_32 0
		.amdhsa_float_round_mode_16_64 0
		.amdhsa_float_denorm_mode_32 3
		.amdhsa_float_denorm_mode_16_64 3
		.amdhsa_dx10_clamp 1
		.amdhsa_ieee_mode 1
		.amdhsa_fp16_overflow 0
		.amdhsa_workgroup_processor_mode 1
		.amdhsa_memory_ordered 1
		.amdhsa_forward_progress 0
		.amdhsa_shared_vgpr_count 0
		.amdhsa_exception_fp_ieee_invalid_op 0
		.amdhsa_exception_fp_denorm_src 0
		.amdhsa_exception_fp_ieee_div_zero 0
		.amdhsa_exception_fp_ieee_overflow 0
		.amdhsa_exception_fp_ieee_underflow 0
		.amdhsa_exception_fp_ieee_inexact 0
		.amdhsa_exception_int_div_zero 0
	.end_amdhsa_kernel
	.section	.text._Z39paged_attention_ll4mi_QKV_mfma16_kernelI14__hip_bfloat16hLN4vllm18Fp8KVCacheDataTypeE1EhLi32ELi128ELi256ELb1ELi1EL8MFMAType1EEvPKT_PKT0_S9_ifPKiSB_SB_iPKfiiiPfSE_PS4_PT2_iSD_SD_,"axG",@progbits,_Z39paged_attention_ll4mi_QKV_mfma16_kernelI14__hip_bfloat16hLN4vllm18Fp8KVCacheDataTypeE1EhLi32ELi128ELi256ELb1ELi1EL8MFMAType1EEvPKT_PKT0_S9_ifPKiSB_SB_iPKfiiiPfSE_PS4_PT2_iSD_SD_,comdat
.Lfunc_end1602:
	.size	_Z39paged_attention_ll4mi_QKV_mfma16_kernelI14__hip_bfloat16hLN4vllm18Fp8KVCacheDataTypeE1EhLi32ELi128ELi256ELb1ELi1EL8MFMAType1EEvPKT_PKT0_S9_ifPKiSB_SB_iPKfiiiPfSE_PS4_PT2_iSD_SD_, .Lfunc_end1602-_Z39paged_attention_ll4mi_QKV_mfma16_kernelI14__hip_bfloat16hLN4vllm18Fp8KVCacheDataTypeE1EhLi32ELi128ELi256ELb1ELi1EL8MFMAType1EEvPKT_PKT0_S9_ifPKiSB_SB_iPKfiiiPfSE_PS4_PT2_iSD_SD_
                                        ; -- End function
	.section	.AMDGPU.csdata,"",@progbits
; Kernel info:
; codeLenInByte = 8628
; NumSgprs: 70
; NumVgprs: 138
; ScratchSize: 0
; MemoryBound: 1
; FloatMode: 240
; IeeeMode: 1
; LDSByteSize: 17472 bytes/workgroup (compile time only)
; SGPRBlocks: 8
; VGPRBlocks: 17
; NumSGPRsForWavesPerEU: 70
; NumVGPRsForWavesPerEU: 138
; Occupancy: 10
; WaveLimiterHint : 1
; COMPUTE_PGM_RSRC2:SCRATCH_EN: 0
; COMPUTE_PGM_RSRC2:USER_SGPR: 13
; COMPUTE_PGM_RSRC2:TRAP_HANDLER: 0
; COMPUTE_PGM_RSRC2:TGID_X_EN: 1
; COMPUTE_PGM_RSRC2:TGID_Y_EN: 1
; COMPUTE_PGM_RSRC2:TGID_Z_EN: 1
; COMPUTE_PGM_RSRC2:TIDIG_COMP_CNT: 0
	.section	.text._Z39paged_attention_ll4mi_QKV_mfma16_kernelI14__hip_bfloat16hLN4vllm18Fp8KVCacheDataTypeE1EhLi32ELi128ELi256ELb1ELi2EL8MFMAType1EEvPKT_PKT0_S9_ifPKiSB_SB_iPKfiiiPfSE_PS4_PT2_iSD_SD_,"axG",@progbits,_Z39paged_attention_ll4mi_QKV_mfma16_kernelI14__hip_bfloat16hLN4vllm18Fp8KVCacheDataTypeE1EhLi32ELi128ELi256ELb1ELi2EL8MFMAType1EEvPKT_PKT0_S9_ifPKiSB_SB_iPKfiiiPfSE_PS4_PT2_iSD_SD_,comdat
	.protected	_Z39paged_attention_ll4mi_QKV_mfma16_kernelI14__hip_bfloat16hLN4vllm18Fp8KVCacheDataTypeE1EhLi32ELi128ELi256ELb1ELi2EL8MFMAType1EEvPKT_PKT0_S9_ifPKiSB_SB_iPKfiiiPfSE_PS4_PT2_iSD_SD_ ; -- Begin function _Z39paged_attention_ll4mi_QKV_mfma16_kernelI14__hip_bfloat16hLN4vllm18Fp8KVCacheDataTypeE1EhLi32ELi128ELi256ELb1ELi2EL8MFMAType1EEvPKT_PKT0_S9_ifPKiSB_SB_iPKfiiiPfSE_PS4_PT2_iSD_SD_
	.globl	_Z39paged_attention_ll4mi_QKV_mfma16_kernelI14__hip_bfloat16hLN4vllm18Fp8KVCacheDataTypeE1EhLi32ELi128ELi256ELb1ELi2EL8MFMAType1EEvPKT_PKT0_S9_ifPKiSB_SB_iPKfiiiPfSE_PS4_PT2_iSD_SD_
	.p2align	8
	.type	_Z39paged_attention_ll4mi_QKV_mfma16_kernelI14__hip_bfloat16hLN4vllm18Fp8KVCacheDataTypeE1EhLi32ELi128ELi256ELb1ELi2EL8MFMAType1EEvPKT_PKT0_S9_ifPKiSB_SB_iPKfiiiPfSE_PS4_PT2_iSD_SD_,@function
_Z39paged_attention_ll4mi_QKV_mfma16_kernelI14__hip_bfloat16hLN4vllm18Fp8KVCacheDataTypeE1EhLi32ELi128ELi256ELb1ELi2EL8MFMAType1EEvPKT_PKT0_S9_ifPKiSB_SB_iPKfiiiPfSE_PS4_PT2_iSD_SD_: ; @_Z39paged_attention_ll4mi_QKV_mfma16_kernelI14__hip_bfloat16hLN4vllm18Fp8KVCacheDataTypeE1EhLi32ELi128ELi256ELb1ELi2EL8MFMAType1EEvPKT_PKT0_S9_ifPKiSB_SB_iPKfiiiPfSE_PS4_PT2_iSD_SD_
; %bb.0:
	s_load_b64 s[2:3], s[0:1], 0x30
	s_mov_b32 s30, s13
	s_waitcnt lgkmcnt(0)
	s_cmp_lg_u64 s[2:3], 0
	s_cselect_b32 s6, -1, 0
	s_ashr_i32 s31, s13, 31
	s_cmp_eq_u64 s[2:3], 0
	s_cbranch_scc1 .LBB1603_3
; %bb.1:
	s_lshl_b64 s[4:5], s[30:31], 2
	s_delay_alu instid0(SALU_CYCLE_1) | instskip(SKIP_4) | instid1(SALU_CYCLE_1)
	s_add_u32 s4, s2, s4
	s_addc_u32 s5, s3, s5
	s_load_b64 s[4:5], s[4:5], 0x0
	s_waitcnt lgkmcnt(0)
	s_sub_i32 s4, s5, s4
	s_cmp_eq_u32 s4, 1
	s_cselect_b32 s4, -1, 0
	s_delay_alu instid0(SALU_CYCLE_1)
	s_and_not1_b32 vcc_lo, exec_lo, s4
	s_cbranch_vccz .LBB1603_4
.LBB1603_2:
	s_endpgm
.LBB1603_3:
.LBB1603_4:
	s_load_b64 s[8:9], s[0:1], 0x28
	s_lshl_b64 s[4:5], s[30:31], 2
	s_waitcnt lgkmcnt(0)
	s_add_u32 s8, s8, s4
	s_addc_u32 s9, s9, s5
	s_lshl_b32 s16, s14, 8
	s_load_b32 s18, s[8:9], 0x0
	s_waitcnt lgkmcnt(0)
	s_cmp_ge_i32 s16, s18
	s_cbranch_scc1 .LBB1603_2
; %bb.5:
	s_clause 0x1
	s_load_b128 s[8:11], s[0:1], 0x8
	s_load_b64 s[12:13], s[0:1], 0x20
	s_and_not1_b32 vcc_lo, exec_lo, s6
	s_cbranch_vccnz .LBB1603_7
; %bb.6:
	s_add_u32 s2, s2, s4
	s_addc_u32 s3, s3, s5
	s_load_b32 s3, s[2:3], 0x0
	s_branch .LBB1603_8
.LBB1603_7:
	s_mov_b32 s3, s30
.LBB1603_8:
	s_load_b128 s[4:7], s[0:1], 0x48
	v_and_b32_e32 v66, 15, v0
	v_bfe_u32 v65, v0, 4, 1
	s_lshl_b32 s31, s15, 1
	v_and_b32_e32 v67, 31, v0
	v_and_b32_e32 v76, 1, v0
	v_lshlrev_b32_e32 v1, 3, v66
	v_cmp_gt_u32_e64 s2, 32, v0
	v_or_b32_e32 v75, s31, v65
	v_lshlrev_b32_e32 v74, 6, v65
	s_delay_alu instid0(VALU_DEP_4)
	v_lshlrev_b32_e32 v73, 1, v1
	s_waitcnt lgkmcnt(0)
	s_and_saveexec_b32 s7, s2
	s_cbranch_execz .LBB1603_10
; %bb.9:
	s_load_b64 s[20:21], s[0:1], 0x0
	v_lshlrev_b32_e32 v1, 7, v75
	s_mul_hi_i32 s23, s3, s4
	s_mul_i32 s22, s3, s4
	v_lshlrev_b32_e32 v5, 10, v66
	s_lshl_b64 s[22:23], s[22:23], 1
	v_ashrrev_i32_e32 v2, 31, v1
	v_lshlrev_b32_e32 v6, 10, v76
	s_delay_alu instid0(VALU_DEP_3) | instskip(NEXT) | instid1(VALU_DEP_3)
	v_and_b32_e32 v5, 0x3800, v5
	v_lshlrev_b64 v[1:2], 1, v[1:2]
	s_delay_alu instid0(VALU_DEP_2) | instskip(SKIP_3) | instid1(VALU_DEP_2)
	v_or3_b32 v5, v5, v6, v74
	s_waitcnt lgkmcnt(0)
	s_add_u32 s3, s20, s22
	s_addc_u32 s4, s21, s23
	v_add_co_u32 v1, vcc_lo, s3, v1
	v_add_co_ci_u32_e32 v2, vcc_lo, s4, v2, vcc_lo
	s_delay_alu instid0(VALU_DEP_2) | instskip(NEXT) | instid1(VALU_DEP_2)
	v_add_co_u32 v1, vcc_lo, v1, v73
	v_add_co_ci_u32_e32 v2, vcc_lo, 0, v2, vcc_lo
	global_load_b128 v[1:4], v[1:2], off
	s_waitcnt vmcnt(0)
	ds_store_b128 v5, v[1:4]
.LBB1603_10:
	s_or_b32 exec_lo, exec_lo, s7
	v_and_b32_e32 v1, 0xef, v0
	s_add_i32 s3, s18, 31
	s_clause 0x1
	s_load_b32 s4, s[0:1], 0x38
	s_load_b32 s19, s[0:1], 0x1c
	s_ashr_i32 s7, s3, 31
	v_add_nc_u32_e32 v1, s16, v1
	s_lshr_b32 s7, s7, 27
	s_waitcnt lgkmcnt(0)
	s_add_i32 s3, s3, s7
	s_barrier
	v_ashrrev_i32_e32 v2, 31, v1
	v_or_b32_e32 v3, 16, v1
	s_ashr_i32 s3, s3, 5
	v_cmp_gt_i32_e32 vcc_lo, s18, v1
	s_add_i32 s3, s3, -1
	v_lshrrev_b32_e32 v2, 27, v2
	buffer_gl0_inv
	s_mul_i32 s15, s15, s6
	v_lshrrev_b32_e32 v68, 5, v0
	v_lshlrev_b32_e32 v33, 5, v66
	v_add_nc_u32_e32 v4, v1, v2
	s_mul_i32 s20, s30, s4
	s_delay_alu instid0(SALU_CYCLE_1) | instskip(NEXT) | instid1(VALU_DEP_1)
	s_ashr_i32 s21, s20, 31
	v_ashrrev_i32_e32 v4, 5, v4
	v_add_nc_u32_e32 v2, v3, v2
	s_lshl_b64 s[20:21], s[20:21], 2
	v_lshl_or_b32 v33, v68, 9, v33
	s_add_u32 s4, s12, s20
	v_cndmask_b32_e32 v1, s3, v4, vcc_lo
	v_ashrrev_i32_e32 v2, 5, v2
	v_cmp_gt_i32_e32 vcc_lo, s18, v3
	s_addc_u32 s12, s13, s21
	s_ashr_i32 s13, s15, 31
	s_add_u32 s6, s8, s15
	s_addc_u32 s7, s9, s13
	v_cndmask_b32_e32 v3, s3, v2, vcc_lo
	v_ashrrev_i32_e32 v2, 31, v1
	s_lshl_b32 s8, s14, 3
	s_delay_alu instid0(SALU_CYCLE_1) | instskip(NEXT) | instid1(VALU_DEP_2)
	s_ashr_i32 s9, s8, 31
	v_ashrrev_i32_e32 v4, 31, v3
	s_delay_alu instid0(VALU_DEP_2) | instskip(SKIP_1) | instid1(SALU_CYCLE_1)
	v_lshlrev_b64 v[1:2], 2, v[1:2]
	s_lshl_b64 s[8:9], s[8:9], 2
	s_add_u32 s8, s4, s8
	s_delay_alu instid0(VALU_DEP_2) | instskip(SKIP_1) | instid1(VALU_DEP_2)
	v_lshlrev_b64 v[3:4], 2, v[3:4]
	s_addc_u32 s9, s12, s9
	v_add_co_u32 v1, vcc_lo, s4, v1
	v_add_co_ci_u32_e32 v2, vcc_lo, s12, v2, vcc_lo
	s_delay_alu instid0(VALU_DEP_3) | instskip(NEXT) | instid1(VALU_DEP_4)
	v_add_co_u32 v3, vcc_lo, s4, v3
	v_add_co_ci_u32_e32 v4, vcc_lo, s12, v4, vcc_lo
	s_clause 0x1
	global_load_b32 v5, v[1:2], off
	global_load_b32 v6, v[3:4], off
	s_or_b32 s17, s16, 32
	s_delay_alu instid0(SALU_CYCLE_1) | instskip(SKIP_2) | instid1(SALU_CYCLE_1)
	s_ashr_i32 s20, s17, 5
	s_cmp_lt_i32 s17, s18
	s_cselect_b32 s20, s20, s3
	s_ashr_i32 s21, s20, 31
	s_delay_alu instid0(SALU_CYCLE_1) | instskip(NEXT) | instid1(SALU_CYCLE_1)
	s_lshl_b64 s[20:21], s[20:21], 2
	s_add_u32 s20, s4, s20
	s_addc_u32 s21, s12, s21
	s_or_b32 s17, s16, 64
	s_delay_alu instid0(SALU_CYCLE_1) | instskip(SKIP_2) | instid1(SALU_CYCLE_1)
	s_ashr_i32 s22, s17, 5
	s_cmp_lt_i32 s17, s18
	s_cselect_b32 s22, s22, s3
	s_ashr_i32 s23, s22, 31
	s_delay_alu instid0(SALU_CYCLE_1) | instskip(NEXT) | instid1(SALU_CYCLE_1)
	s_lshl_b64 s[22:23], s[22:23], 2
	s_add_u32 s22, s4, s22
	s_addc_u32 s23, s12, s23
	;; [unrolled: 10-line block ×5, first 2 shown]
	s_clause 0x5
	s_load_b32 s17, s[8:9], 0x0
	s_load_b32 s33, s[20:21], 0x0
	;; [unrolled: 1-line block ×6, first 2 shown]
	s_mov_b32 s20, 0
	s_delay_alu instid0(SALU_CYCLE_1)
	s_mov_b32 s21, s20
	s_mov_b32 s22, s20
	;; [unrolled: 1-line block ×7, first 2 shown]
	s_delay_alu instid0(SALU_CYCLE_1)
	v_dual_mov_b32 v108, s27 :: v_dual_lshlrev_b32 v137, 6, v76
	v_dual_mov_b32 v102, s21 :: v_dual_mov_b32 v107, s26
	v_dual_mov_b32 v106, s25 :: v_dual_mov_b32 v105, s24
	v_mov_b32_e32 v103, s22
	v_dual_mov_b32 v101, s20 :: v_dual_mov_b32 v104, s23
	s_waitcnt vmcnt(1)
	v_mad_i64_i32 v[1:2], null, v5, s5, s[6:7]
	v_lshlrev_b32_e32 v5, 4, v66
	s_waitcnt vmcnt(0)
	v_mad_i64_i32 v[3:4], null, v6, s5, s[6:7]
	s_or_b32 s6, s16, 0xc0
	s_delay_alu instid0(SALU_CYCLE_1) | instskip(NEXT) | instid1(VALU_DEP_3)
	s_ashr_i32 s7, s6, 5
	v_add_co_u32 v25, vcc_lo, v1, v5
	s_delay_alu instid0(VALU_DEP_4) | instskip(NEXT) | instid1(VALU_DEP_3)
	v_add_co_ci_u32_e32 v26, vcc_lo, 0, v2, vcc_lo
	v_add_co_u32 v27, vcc_lo, v3, v5
	s_delay_alu instid0(VALU_DEP_4)
	v_add_co_ci_u32_e32 v28, vcc_lo, 0, v4, vcc_lo
	s_clause 0xf
	global_load_b128 v[1:4], v[25:26], off
	global_load_b128 v[5:8], v[25:26], off offset:512
	global_load_b128 v[9:12], v[27:28], off offset:256
	;; [unrolled: 1-line block ×15, first 2 shown]
	s_cmp_lt_i32 s6, s18
	ds_load_b128 v[25:28], v137
	ds_load_b128 v[29:32], v137 offset:1024
	s_cselect_b32 s6, s7, s3
	ds_load_b128 v[109:112], v137 offset:2048
	ds_load_b128 v[113:116], v137 offset:3072
	s_ashr_i32 s7, s6, 31
	ds_load_b128 v[117:120], v137 offset:4096
	ds_load_b128 v[121:124], v137 offset:5120
	s_lshl_b64 s[6:7], s[6:7], 2
	s_delay_alu instid0(SALU_CYCLE_1) | instskip(SKIP_2) | instid1(SALU_CYCLE_1)
	s_add_u32 s6, s4, s6
	s_addc_u32 s7, s12, s7
	s_or_b32 s8, s16, 0xe0
	s_ashr_i32 s9, s8, 5
	s_cmp_lt_i32 s8, s18
	s_cselect_b32 s8, s9, s3
	s_delay_alu instid0(SALU_CYCLE_1) | instskip(NEXT) | instid1(SALU_CYCLE_1)
	s_ashr_i32 s9, s8, 31
	s_lshl_b64 s[8:9], s[8:9], 2
	s_delay_alu instid0(SALU_CYCLE_1) | instskip(SKIP_4) | instid1(VALU_DEP_1)
	s_add_u32 s8, s4, s8
	s_addc_u32 s9, s12, s9
	s_add_u32 s3, s10, s15
	s_addc_u32 s4, s11, s13
	v_add_co_u32 v69, s3, s3, v33
	v_add_co_ci_u32_e64 v70, null, s4, 0, s3
	s_clause 0x1
	s_load_b32 s3, s[6:7], 0x0
	s_load_b32 s4, s[8:9], 0x0
	s_waitcnt lgkmcnt(0)
	v_mad_i64_i32 v[33:34], null, s17, s5, v[69:70]
	v_mad_i64_i32 v[71:72], null, s34, s5, v[69:70]
	v_mad_i64_i32 v[133:134], null, s35, s5, v[69:70]
	v_mad_i64_i32 v[37:38], null, s33, s5, v[69:70]
	v_mad_i64_i32 v[135:136], null, s36, s5, v[69:70]
	s_clause 0x3
	global_load_b128 v[41:44], v[33:34], off
	global_load_b128 v[45:48], v[33:34], off offset:16
	global_load_b128 v[33:36], v[37:38], off
	global_load_b128 v[37:40], v[37:38], off offset:16
	s_waitcnt vmcnt(18)
	v_wmma_f32_16x16x16_bf16 v[125:132], v[1:8], v[25:32], v[101:108]
	s_waitcnt vmcnt(16)
	v_wmma_f32_16x16x16_bf16 v[101:108], v[9:16], v[25:32], v[101:108]
	v_mad_i64_i32 v[13:14], null, s28, s5, v[69:70]
	s_waitcnt vmcnt(14)
	v_wmma_f32_16x16x16_bf16 v[125:132], v[17:24], v[109:116], v[125:132]
	s_clause 0x1
	global_load_b128 v[25:28], v[71:72], off
	global_load_b128 v[29:32], v[71:72], off offset:16
	s_waitcnt vmcnt(14)
	v_wmma_f32_16x16x16_bf16 v[101:108], v[49:56], v[109:116], v[101:108]
	v_mad_i64_i32 v[49:50], null, s3, s5, v[69:70]
	v_mad_i64_i32 v[53:54], null, s4, s5, v[69:70]
	s_clause 0x5
	global_load_b128 v[17:20], v[133:134], off
	global_load_b128 v[21:24], v[133:134], off offset:16
	global_load_b128 v[1:4], v[135:136], off
	global_load_b128 v[5:8], v[135:136], off offset:16
	;; [unrolled: 2-line block ×3, first 2 shown]
	s_waitcnt vmcnt(18)
	v_wmma_f32_16x16x16_bf16 v[125:132], v[57:64], v[117:124], v[125:132]
	s_clause 0x3
	global_load_b128 v[57:60], v[49:50], off
	global_load_b128 v[61:64], v[49:50], off offset:16
	global_load_b128 v[49:52], v[53:54], off
	global_load_b128 v[53:56], v[53:54], off offset:16
	s_waitcnt vmcnt(20)
	v_wmma_f32_16x16x16_bf16 v[101:108], v[77:84], v[117:124], v[101:108]
	ds_load_b128 v[77:80], v137 offset:6144
	ds_load_b128 v[81:84], v137 offset:7168
	v_mbcnt_lo_u32_b32 v70, -1, 0
	s_waitcnt vmcnt(0) lgkmcnt(0)
	s_barrier
	buffer_gl0_inv
	v_xor_b32_e32 v71, 16, v70
	s_delay_alu instid0(VALU_DEP_1) | instskip(SKIP_4) | instid1(VALU_DEP_2)
	v_cmp_gt_i32_e32 vcc_lo, 32, v71
	v_cndmask_b32_e32 v70, v70, v71, vcc_lo
	v_wmma_f32_16x16x16_bf16 v[125:132], v[85:92], v[77:84], v[125:132]
	v_and_b32_e32 v69, 0xe0, v0
	v_wmma_f32_16x16x16_bf16 v[101:108], v[93:100], v[77:84], v[101:108]
	v_dual_mul_f32 v94, s19, v131 :: v_dual_add_nc_u32 v69, s16, v69
	s_delay_alu instid0(VALU_DEP_2) | instskip(SKIP_1) | instid1(VALU_DEP_4)
	v_mul_f32_e32 v98, s19, v103
	v_dual_mul_f32 v80, s19, v126 :: v_dual_mul_f32 v81, s19, v128
	v_mul_f32_e32 v96, s19, v101
	s_delay_alu instid0(VALU_DEP_4) | instskip(SKIP_3) | instid1(VALU_DEP_4)
	v_or_b32_e32 v69, v69, v65
	v_dual_mul_f32 v82, s19, v127 :: v_dual_mul_f32 v83, s19, v130
	v_mul_f32_e32 v100, s19, v105
	v_mul_f32_e32 v84, s19, v129
	v_or_b32_e32 v71, 2, v69
	v_or_b32_e32 v72, 4, v69
	;; [unrolled: 1-line block ×3, first 2 shown]
	v_cmp_gt_i32_e64 s3, s18, v69
	v_or_b32_e32 v110, 8, v69
	v_cmp_gt_i32_e32 vcc_lo, s18, v71
	v_mul_f32_e32 v71, s19, v125
	v_or_b32_e32 v85, 10, v69
	v_or_b32_e32 v91, 22, v69
	v_cmp_gt_i32_e64 s4, s18, v72
	v_mul_f32_e32 v72, s19, v107
	v_cndmask_b32_e64 v71, 0xff7fffff, v71, s3
	v_cndmask_b32_e32 v80, 0xff7fffff, v80, vcc_lo
	v_cmp_gt_i32_e64 s5, s18, v109
	v_or_b32_e32 v86, 12, v69
	v_or_b32_e32 v87, 14, v69
	v_cndmask_b32_e64 v82, 0xff7fffff, v82, s4
	v_cmp_gt_i32_e64 s6, s18, v110
	v_cndmask_b32_e64 v81, 0xff7fffff, v81, s5
	v_cmp_gt_i32_e64 s7, s18, v85
	v_cmp_gt_i32_e64 s13, s18, v91
	v_lshlrev_b32_e32 v91, 2, v70
	v_max3_f32 v71, v71, 0xff7fffff, v80
	v_or_b32_e32 v88, 16, v69
	v_or_b32_e32 v89, 18, v69
	v_mul_f32_e32 v93, s19, v132
	v_cndmask_b32_e64 v80, 0xff7fffff, v84, s6
	v_cndmask_b32_e64 v83, 0xff7fffff, v83, s7
	v_max3_f32 v71, v71, v82, v81
	v_cmp_gt_i32_e64 s8, s18, v86
	v_cmp_gt_i32_e64 s9, s18, v87
	v_or_b32_e32 v90, 20, v69
	v_mul_f32_e32 v95, s19, v102
	v_max3_f32 v71, v71, v80, v83
	v_cndmask_b32_e64 v81, 0xff7fffff, v94, s8
	v_cndmask_b32_e64 v82, 0xff7fffff, v93, s9
	v_cmp_gt_i32_e64 s10, s18, v88
	v_cmp_gt_i32_e64 s11, s18, v89
	v_or_b32_e32 v92, 24, v69
	v_or_b32_e32 v77, 26, v69
	v_mul_f32_e32 v97, s19, v104
	v_cndmask_b32_e64 v80, 0xff7fffff, v96, s10
	v_cndmask_b32_e64 v83, 0xff7fffff, v95, s11
	v_max3_f32 v71, v71, v81, v82
	v_cmp_gt_i32_e64 s12, s18, v90
	v_or_b32_e32 v78, 28, v69
	v_or_b32_e32 v79, 30, v69
	v_mul_f32_e32 v99, s19, v106
	v_cndmask_b32_e64 v82, 0xff7fffff, v97, s13
	v_cndmask_b32_e64 v81, 0xff7fffff, v98, s12
	v_max3_f32 v71, v71, v80, v83
	v_cmp_gt_i32_e64 s15, s18, v92
	v_cmp_gt_i32_e64 s16, s18, v77
	v_mul_f32_e32 v69, s19, v108
	v_cmp_gt_i32_e64 s17, s18, v78
	v_max3_f32 v71, v71, v81, v82
	v_cndmask_b32_e64 v80, 0xff7fffff, v100, s15
	v_cndmask_b32_e64 v77, 0xff7fffff, v99, s16
	v_cmp_gt_i32_e64 s18, s18, v79
	v_cndmask_b32_e64 v72, 0xff7fffff, v72, s17
	s_delay_alu instid0(VALU_DEP_3) | instskip(NEXT) | instid1(VALU_DEP_3)
	v_max3_f32 v71, v71, v80, v77
	v_cndmask_b32_e64 v69, 0xff7fffff, v69, s18
	s_delay_alu instid0(VALU_DEP_1) | instskip(SKIP_3) | instid1(VALU_DEP_1)
	v_max3_f32 v69, v71, v72, v69
	ds_bpermute_b32 v70, v91, v69
	s_waitcnt lgkmcnt(0)
	v_max_f32_e32 v70, v70, v70
	v_max_f32_e32 v69, v69, v70
	s_delay_alu instid0(VALU_DEP_1) | instskip(NEXT) | instid1(VALU_DEP_1)
	v_fma_f32 v72, s19, v127, -v69
	v_mul_f32_e32 v72, 0x3fb8aa3b, v72
	s_delay_alu instid0(VALU_DEP_1) | instskip(SKIP_3) | instid1(VALU_DEP_1)
	v_exp_f32_e32 v72, v72
	s_waitcnt_depctr 0xfff
	v_cndmask_b32_e64 v85, 0, v72, s4
	v_fma_f32 v72, s19, v132, -v69
	v_mul_f32_e32 v72, 0x3fb8aa3b, v72
	v_fma_f32 v70, s19, v125, -v69
	v_fma_f32 v78, s19, v129, -v69
	;; [unrolled: 1-line block ×5, first 2 shown]
	v_mul_f32_e32 v70, 0x3fb8aa3b, v70
	v_mul_f32_e32 v78, 0x3fb8aa3b, v78
	v_exp_f32_e32 v72, v72
	v_mul_f32_e32 v80, 0x3fb8aa3b, v80
	v_fma_f32 v83, s19, v106, -v69
	v_exp_f32_e32 v70, v70
	v_exp_f32_e32 v78, v78
	s_delay_alu instid0(VALU_DEP_2) | instskip(SKIP_2) | instid1(TRANS32_DEP_3)
	v_exp_f32_e32 v80, v80
	v_cndmask_b32_e64 v90, 0, v72, s9
	v_fma_f32 v72, s19, v105, -v69
	v_cndmask_b32_e64 v81, 0, v70, s3
	v_fma_f32 v70, s19, v130, -v69
	v_mul_f32_e32 v71, 0x3fb8aa3b, v71
	s_delay_alu instid0(TRANS32_DEP_2) | instskip(SKIP_1) | instid1(VALU_DEP_4)
	v_cndmask_b32_e64 v88, 0, v78, s6
	v_fma_f32 v78, s19, v102, -v69
	v_dual_mul_f32 v77, 0x3fb8aa3b, v77 :: v_dual_mul_f32 v70, 0x3fb8aa3b, v70
	s_delay_alu instid0(VALU_DEP_4) | instskip(SKIP_1) | instid1(VALU_DEP_3)
	v_exp_f32_e32 v71, v71
	v_cndmask_b32_e64 v86, 0, v80, s8
	v_mul_f32_e32 v78, 0x3fb8aa3b, v78
	s_delay_alu instid0(VALU_DEP_3)
	v_exp_f32_e32 v79, v77
	v_exp_f32_e32 v70, v70
	v_fma_f32 v80, s19, v104, -v69
	v_mul_f32_e32 v72, 0x3fb8aa3b, v72
	v_exp_f32_e32 v78, v78
	s_mov_b32 s3, exec_lo
	s_delay_alu instid0(VALU_DEP_2) | instskip(NEXT) | instid1(VALU_DEP_2)
	v_mul_f32_e32 v80, 0x3fb8aa3b, v80
	v_exp_f32_e32 v84, v72
	v_cndmask_b32_e64 v87, 0, v79, s5
	s_delay_alu instid0(TRANS32_DEP_3) | instskip(SKIP_4) | instid1(VALU_DEP_2)
	v_cndmask_b32_e64 v89, 0, v70, s7
	v_cndmask_b32_e32 v77, 0, v71, vcc_lo
	v_add_f32_e32 v71, 0, v81
	v_fma_f32 v79, s19, v101, -v69
	v_exp_f32_e32 v80, v80
	v_add_f32_e32 v71, v71, v77
	s_delay_alu instid0(VALU_DEP_1) | instskip(NEXT) | instid1(VALU_DEP_1)
	v_add_f32_e32 v71, v71, v85
	v_add_f32_e32 v71, v71, v87
	s_delay_alu instid0(VALU_DEP_1) | instskip(SKIP_1) | instid1(VALU_DEP_1)
	v_add_f32_e32 v70, v71, v88
	v_fma_f32 v71, s19, v103, -v69
	v_dual_add_f32 v70, v70, v89 :: v_dual_mul_f32 v71, 0x3fb8aa3b, v71
	s_delay_alu instid0(VALU_DEP_1) | instskip(NEXT) | instid1(VALU_DEP_2)
	v_add_f32_e32 v70, v70, v86
	v_exp_f32_e32 v82, v71
	s_waitcnt_depctr 0xfff
	v_cndmask_b32_e64 v72, 0, v82, s12
	v_mul_f32_e32 v79, 0x3fb8aa3b, v79
	s_delay_alu instid0(VALU_DEP_1) | instskip(SKIP_4) | instid1(VALU_DEP_2)
	v_exp_f32_e32 v79, v79
	s_waitcnt_depctr 0xfff
	v_cndmask_b32_e64 v71, 0, v79, s10
	v_add_f32_e32 v79, v70, v90
	v_cndmask_b32_e64 v70, 0, v78, s11
	v_add_f32_e32 v78, v79, v71
	v_fma_f32 v79, s19, v107, -v69
	s_delay_alu instid0(VALU_DEP_2) | instskip(SKIP_1) | instid1(VALU_DEP_2)
	v_add_f32_e32 v82, v78, v70
	v_cndmask_b32_e64 v78, 0, v80, s13
	v_dual_mul_f32 v79, 0x3fb8aa3b, v79 :: v_dual_add_f32 v80, v82, v72
	v_fma_f32 v82, s19, v108, -v69
	v_mul_f32_e32 v83, 0x3fb8aa3b, v83
	s_delay_alu instid0(VALU_DEP_3)
	v_exp_f32_e32 v92, v79
	v_cndmask_b32_e64 v79, 0, v84, s15
	v_add_f32_e32 v84, v80, v78
	v_mul_f32_e32 v82, 0x3fb8aa3b, v82
	v_exp_f32_e32 v83, v83
	s_waitcnt_depctr 0xfff
	v_cndmask_b32_e64 v80, 0, v83, s16
	v_add_f32_e32 v83, v84, v79
	v_exp_f32_e32 v84, v82
	v_cndmask_b32_e64 v82, 0, v92, s17
	s_delay_alu instid0(VALU_DEP_2) | instskip(NEXT) | instid1(VALU_DEP_1)
	v_add_f32_e32 v83, v83, v80
	v_add_f32_e32 v92, v83, v82
	s_waitcnt_depctr 0xfff
	v_cndmask_b32_e64 v83, 0, v84, s18
	s_delay_alu instid0(VALU_DEP_1)
	v_add_f32_e32 v84, v92, v83
	ds_bpermute_b32 v91, v91, v84
	v_cmpx_gt_u32_e32 16, v67
	s_cbranch_execz .LBB1603_12
; %bb.11:
	v_mul_u32_u24_e32 v67, 0x44, v68
	s_waitcnt lgkmcnt(0)
	v_add_f32_e32 v84, v84, v91
	s_delay_alu instid0(VALU_DEP_2) | instskip(NEXT) | instid1(VALU_DEP_1)
	v_lshl_add_u32 v67, v66, 2, v67
	v_add_nc_u32_e32 v67, 0x4000, v67
	ds_store_2addr_b32 v67, v69, v84 offset1:136
.LBB1603_12:
	s_or_b32 exec_lo, exec_lo, s3
	v_lshlrev_b32_e32 v67, 2, v66
	s_waitcnt lgkmcnt(0)
	s_barrier
	buffer_gl0_inv
	v_cmp_eq_u32_e32 vcc_lo, 1, v68
	v_add_nc_u32_e32 v84, 0x4000, v67
	v_cmp_eq_u32_e64 s3, 2, v68
	v_cmp_eq_u32_e64 s5, 7, v68
	ds_load_2addr_b32 v[91:92], v84 offset1:17
	ds_load_2addr_b32 v[93:94], v84 offset0:34 offset1:51
	ds_load_2addr_b32 v[95:96], v84 offset0:68 offset1:85
	;; [unrolled: 1-line block ×4, first 2 shown]
	s_waitcnt lgkmcnt(4)
	v_max3_f32 v67, v91, 0xff7fffff, v92
	s_waitcnt lgkmcnt(3)
	s_delay_alu instid0(VALU_DEP_1) | instskip(SKIP_1) | instid1(VALU_DEP_1)
	v_max3_f32 v67, v67, v93, v94
	s_waitcnt lgkmcnt(2)
	v_max3_f32 v67, v67, v95, v96
	s_waitcnt lgkmcnt(1)
	s_delay_alu instid0(VALU_DEP_1) | instskip(NEXT) | instid1(VALU_DEP_1)
	v_max3_f32 v67, v67, v97, v98
	v_sub_f32_e32 v69, v91, v67
	v_sub_f32_e32 v101, v92, v67
	;; [unrolled: 1-line block ×4, first 2 shown]
	s_delay_alu instid0(VALU_DEP_4) | instskip(NEXT) | instid1(VALU_DEP_4)
	v_mul_f32_e32 v69, 0x3fb8aa3b, v69
	v_mul_f32_e32 v101, 0x3fb8aa3b, v101
	s_delay_alu instid0(VALU_DEP_4) | instskip(NEXT) | instid1(VALU_DEP_4)
	v_mul_f32_e32 v103, 0x3fb8aa3b, v93
	v_mul_f32_e32 v105, 0x3fb8aa3b, v95
	s_delay_alu instid0(VALU_DEP_4) | instskip(SKIP_3) | instid1(VALU_DEP_1)
	v_exp_f32_e32 v102, v69
	v_sub_f32_e32 v69, v94, v67
	v_exp_f32_e32 v101, v101
	v_exp_f32_e32 v103, v103
	v_mul_f32_e32 v104, 0x3fb8aa3b, v69
	s_waitcnt lgkmcnt(0)
	s_delay_alu instid0(TRANS32_DEP_3) | instskip(SKIP_1) | instid1(VALU_DEP_3)
	v_fma_f32 v69, v102, v99, 0
	v_sub_f32_e32 v99, v96, v67
	v_exp_f32_e32 v104, v104
	s_delay_alu instid0(TRANS32_DEP_3) | instid1(VALU_DEP_2)
	v_fmac_f32_e32 v69, v101, v100
	ds_load_2addr_b32 v[91:92], v84 offset0:170 offset1:187
	ds_load_2addr_b32 v[93:94], v84 offset0:204 offset1:221
	;; [unrolled: 1-line block ×3, first 2 shown]
	v_sub_f32_e32 v84, v97, v67
	v_mul_f32_e32 v97, 0x3fb8aa3b, v99
	v_exp_f32_e32 v99, v105
	s_waitcnt lgkmcnt(0)
	s_barrier
	v_mul_f32_e32 v84, 0x3fb8aa3b, v84
	v_exp_f32_e32 v97, v97
	buffer_gl0_inv
	v_exp_f32_e32 v84, v84
	v_fmac_f32_e32 v69, v103, v91
	v_sub_f32_e32 v91, v98, v67
	s_delay_alu instid0(VALU_DEP_2) | instskip(NEXT) | instid1(VALU_DEP_2)
	v_fmac_f32_e32 v69, v104, v92
	v_mul_f32_e32 v91, 0x3fb8aa3b, v91
	s_delay_alu instid0(VALU_DEP_2) | instskip(NEXT) | instid1(VALU_DEP_2)
	v_fmac_f32_e32 v69, v99, v93
	v_exp_f32_e32 v91, v91
	s_delay_alu instid0(VALU_DEP_1)
	v_fmac_f32_e32 v69, v97, v94
	s_delay_alu instid0(TRANS32_DEP_2) | instid1(VALU_DEP_1)
	v_fmac_f32_e32 v69, v84, v95
	s_waitcnt_depctr 0xfff
	v_fmac_f32_e32 v69, v91, v96
	s_delay_alu instid0(VALU_DEP_1) | instskip(NEXT) | instid1(VALU_DEP_1)
	v_add_f32_e32 v92, 0x358637bd, v69
	v_div_scale_f32 v93, null, v92, v92, 1.0
	v_div_scale_f32 v96, s4, 1.0, v92, 1.0
	s_delay_alu instid0(VALU_DEP_2) | instskip(SKIP_2) | instid1(VALU_DEP_1)
	v_rcp_f32_e32 v94, v93
	s_waitcnt_depctr 0xfff
	v_fma_f32 v95, -v93, v94, 1.0
	v_dual_fmac_f32 v94, v95, v94 :: v_dual_cndmask_b32 v95, v102, v101
	v_cmp_eq_u32_e32 vcc_lo, 3, v68
	s_delay_alu instid0(VALU_DEP_2) | instskip(NEXT) | instid1(VALU_DEP_3)
	v_mul_f32_e32 v98, v96, v94
	v_cndmask_b32_e64 v95, v95, v103, s3
	v_cmp_eq_u32_e64 s3, 4, v68
	s_delay_alu instid0(VALU_DEP_3) | instskip(NEXT) | instid1(VALU_DEP_3)
	v_fma_f32 v100, -v93, v98, v96
	v_cndmask_b32_e32 v95, v95, v104, vcc_lo
	v_cmp_eq_u32_e32 vcc_lo, 5, v68
	s_delay_alu instid0(VALU_DEP_3) | instskip(NEXT) | instid1(VALU_DEP_3)
	v_fmac_f32_e32 v98, v100, v94
	v_cndmask_b32_e64 v95, v95, v99, s3
	v_cmp_eq_u32_e64 s3, 6, v68
	s_delay_alu instid0(VALU_DEP_3) | instskip(NEXT) | instid1(VALU_DEP_3)
	v_fma_f32 v93, -v93, v98, v96
	v_cndmask_b32_e32 v95, v95, v97, vcc_lo
	s_mov_b32 vcc_lo, s4
	s_delay_alu instid0(VALU_DEP_2) | instskip(NEXT) | instid1(VALU_DEP_2)
	v_div_fmas_f32 v93, v93, v94, v98
	v_cndmask_b32_e64 v84, v95, v84, s3
	s_mov_b32 s3, exec_lo
	s_delay_alu instid0(VALU_DEP_2) | instskip(NEXT) | instid1(VALU_DEP_2)
	v_div_fixup_f32 v92, v93, v92, 1.0
	v_cndmask_b32_e64 v84, v84, v91, s5
	s_delay_alu instid0(VALU_DEP_1) | instskip(NEXT) | instid1(VALU_DEP_1)
	v_mul_f32_e32 v84, v84, v92
	v_mul_f32_e32 v92, v84, v81
	;; [unrolled: 1-line block ×6, first 2 shown]
	v_dual_mul_f32 v88, v84, v85 :: v_dual_and_b32 v93, 0x7f800000, v92
	v_mul_f32_e32 v91, v84, v87
	v_mul_f32_e32 v87, v84, v77
                                        ; implicit-def: $vgpr77
	s_delay_alu instid0(VALU_DEP_3)
	v_cmpx_ne_u32_e32 0x7f800000, v93
	s_xor_b32 s3, exec_lo, s3
; %bb.13:
	v_bfe_u32 v77, v92, 16, 1
	s_delay_alu instid0(VALU_DEP_1)
	v_add3_u32 v77, v92, v77, 0x7fff
                                        ; implicit-def: $vgpr92
; %bb.14:
	s_and_not1_saveexec_b32 s3, s3
; %bb.15:
	v_and_b32_e32 v77, 0xffff, v92
	v_or_b32_e32 v85, 0x10000, v92
	s_delay_alu instid0(VALU_DEP_2) | instskip(NEXT) | instid1(VALU_DEP_2)
	v_cmp_eq_u32_e32 vcc_lo, 0, v77
	v_cndmask_b32_e32 v77, v85, v92, vcc_lo
; %bb.16:
	s_or_b32 exec_lo, exec_lo, s3
	v_and_b32_e32 v85, 0x7f800000, v87
	s_delay_alu instid0(VALU_DEP_1) | instskip(SKIP_1) | instid1(SALU_CYCLE_1)
	v_cmp_ne_u32_e32 vcc_lo, 0x7f800000, v85
                                        ; implicit-def: $vgpr85
	s_and_saveexec_b32 s3, vcc_lo
	s_xor_b32 s3, exec_lo, s3
; %bb.17:
	v_bfe_u32 v85, v87, 16, 1
	s_delay_alu instid0(VALU_DEP_1)
	v_add3_u32 v85, v87, v85, 0x7fff
                                        ; implicit-def: $vgpr87
; %bb.18:
	s_and_not1_saveexec_b32 s3, s3
; %bb.19:
	v_and_b32_e32 v85, 0xffff, v87
	v_or_b32_e32 v92, 0x10000, v87
	s_delay_alu instid0(VALU_DEP_2) | instskip(NEXT) | instid1(VALU_DEP_2)
	v_cmp_eq_u32_e32 vcc_lo, 0, v85
	v_cndmask_b32_e32 v85, v92, v87, vcc_lo
; %bb.20:
	s_or_b32 exec_lo, exec_lo, s3
	v_and_b32_e32 v87, 0x7f800000, v88
	s_delay_alu instid0(VALU_DEP_1) | instskip(SKIP_1) | instid1(SALU_CYCLE_1)
	v_cmp_ne_u32_e32 vcc_lo, 0x7f800000, v87
                                        ; implicit-def: $vgpr87
	s_and_saveexec_b32 s3, vcc_lo
	s_xor_b32 s3, exec_lo, s3
; %bb.21:
	v_bfe_u32 v87, v88, 16, 1
	s_delay_alu instid0(VALU_DEP_1)
	v_add3_u32 v87, v88, v87, 0x7fff
                                        ; implicit-def: $vgpr88
; %bb.22:
	s_and_not1_saveexec_b32 s3, s3
; %bb.23:
	v_and_b32_e32 v87, 0xffff, v88
	v_or_b32_e32 v92, 0x10000, v88
	s_delay_alu instid0(VALU_DEP_2) | instskip(NEXT) | instid1(VALU_DEP_2)
	v_cmp_eq_u32_e32 vcc_lo, 0, v87
	v_cndmask_b32_e32 v87, v92, v88, vcc_lo
; %bb.24:
	s_or_b32 exec_lo, exec_lo, s3
	v_and_b32_e32 v88, 0x7f800000, v91
	s_delay_alu instid0(VALU_DEP_1) | instskip(SKIP_1) | instid1(SALU_CYCLE_1)
	v_cmp_ne_u32_e32 vcc_lo, 0x7f800000, v88
                                        ; implicit-def: $vgpr88
	s_and_saveexec_b32 s3, vcc_lo
	s_xor_b32 s3, exec_lo, s3
; %bb.25:
	v_bfe_u32 v88, v91, 16, 1
	s_delay_alu instid0(VALU_DEP_1)
	v_add3_u32 v88, v91, v88, 0x7fff
                                        ; implicit-def: $vgpr91
; %bb.26:
	s_and_not1_saveexec_b32 s3, s3
; %bb.27:
	v_and_b32_e32 v88, 0xffff, v91
	v_or_b32_e32 v92, 0x10000, v91
	s_delay_alu instid0(VALU_DEP_2) | instskip(NEXT) | instid1(VALU_DEP_2)
	v_cmp_eq_u32_e32 vcc_lo, 0, v88
	v_cndmask_b32_e32 v88, v92, v91, vcc_lo
; %bb.28:
	s_or_b32 exec_lo, exec_lo, s3
	v_and_b32_e32 v91, 0x7f800000, v90
	s_delay_alu instid0(VALU_DEP_1) | instskip(SKIP_1) | instid1(SALU_CYCLE_1)
	v_cmp_ne_u32_e32 vcc_lo, 0x7f800000, v91
                                        ; implicit-def: $vgpr91
	s_and_saveexec_b32 s3, vcc_lo
	s_xor_b32 s3, exec_lo, s3
; %bb.29:
	v_bfe_u32 v91, v90, 16, 1
	s_delay_alu instid0(VALU_DEP_1)
	v_add3_u32 v91, v90, v91, 0x7fff
                                        ; implicit-def: $vgpr90
; %bb.30:
	s_and_not1_saveexec_b32 s3, s3
; %bb.31:
	v_and_b32_e32 v91, 0xffff, v90
	v_or_b32_e32 v92, 0x10000, v90
	s_delay_alu instid0(VALU_DEP_2) | instskip(NEXT) | instid1(VALU_DEP_2)
	v_cmp_eq_u32_e32 vcc_lo, 0, v91
	v_cndmask_b32_e32 v91, v92, v90, vcc_lo
; %bb.32:
	s_or_b32 exec_lo, exec_lo, s3
	v_and_b32_e32 v90, 0x7f800000, v89
	s_delay_alu instid0(VALU_DEP_1) | instskip(SKIP_1) | instid1(SALU_CYCLE_1)
	v_cmp_ne_u32_e32 vcc_lo, 0x7f800000, v90
                                        ; implicit-def: $vgpr90
	s_and_saveexec_b32 s3, vcc_lo
	s_xor_b32 s3, exec_lo, s3
; %bb.33:
	v_bfe_u32 v90, v89, 16, 1
	s_delay_alu instid0(VALU_DEP_1)
	v_add3_u32 v90, v89, v90, 0x7fff
                                        ; implicit-def: $vgpr89
; %bb.34:
	s_and_not1_saveexec_b32 s3, s3
; %bb.35:
	v_and_b32_e32 v90, 0xffff, v89
	v_or_b32_e32 v92, 0x10000, v89
	s_delay_alu instid0(VALU_DEP_2) | instskip(NEXT) | instid1(VALU_DEP_2)
	v_cmp_eq_u32_e32 vcc_lo, 0, v90
	v_cndmask_b32_e32 v90, v92, v89, vcc_lo
; %bb.36:
	s_or_b32 exec_lo, exec_lo, s3
	v_and_b32_e32 v89, 0x7f800000, v86
	s_delay_alu instid0(VALU_DEP_1) | instskip(SKIP_1) | instid1(SALU_CYCLE_1)
	v_cmp_ne_u32_e32 vcc_lo, 0x7f800000, v89
                                        ; implicit-def: $vgpr89
	s_and_saveexec_b32 s3, vcc_lo
	s_xor_b32 s3, exec_lo, s3
; %bb.37:
	v_bfe_u32 v89, v86, 16, 1
	s_delay_alu instid0(VALU_DEP_1)
	v_add3_u32 v89, v86, v89, 0x7fff
                                        ; implicit-def: $vgpr86
; %bb.38:
	s_and_not1_saveexec_b32 s3, s3
; %bb.39:
	v_and_b32_e32 v89, 0xffff, v86
	v_or_b32_e32 v92, 0x10000, v86
	s_delay_alu instid0(VALU_DEP_2) | instskip(NEXT) | instid1(VALU_DEP_2)
	v_cmp_eq_u32_e32 vcc_lo, 0, v89
	v_cndmask_b32_e32 v89, v92, v86, vcc_lo
; %bb.40:
	s_or_b32 exec_lo, exec_lo, s3
	v_and_b32_e32 v86, 0x7f800000, v81
	s_delay_alu instid0(VALU_DEP_1) | instskip(SKIP_1) | instid1(SALU_CYCLE_1)
	v_cmp_ne_u32_e32 vcc_lo, 0x7f800000, v86
                                        ; implicit-def: $vgpr86
	s_and_saveexec_b32 s3, vcc_lo
	s_xor_b32 s3, exec_lo, s3
; %bb.41:
	v_bfe_u32 v86, v81, 16, 1
	s_delay_alu instid0(VALU_DEP_1)
	v_add3_u32 v86, v81, v86, 0x7fff
                                        ; implicit-def: $vgpr81
; %bb.42:
	s_and_not1_saveexec_b32 s3, s3
; %bb.43:
	v_and_b32_e32 v86, 0xffff, v81
	v_or_b32_e32 v92, 0x10000, v81
	s_delay_alu instid0(VALU_DEP_2) | instskip(NEXT) | instid1(VALU_DEP_2)
	v_cmp_eq_u32_e32 vcc_lo, 0, v86
	v_cndmask_b32_e32 v86, v92, v81, vcc_lo
; %bb.44:
	s_or_b32 exec_lo, exec_lo, s3
	s_load_b64 s[34:35], s[0:1], 0x94
	v_lshlrev_b32_e32 v93, 4, v65
	s_delay_alu instid0(VALU_DEP_2)
	v_perm_b32 v92, v86, v89, 0x7060302
	v_dual_mul_f32 v80, v84, v80 :: v_dual_lshlrev_b32 v81, 6, v66
	v_lshlrev_b32_e32 v66, 11, v68
	v_perm_b32 v89, v85, v77, 0x7060302
	v_mul_f32_e32 v85, v84, v71
	v_perm_b32 v91, v90, v91, 0x7060302
	v_perm_b32 v90, v88, v87, 0x7060302
	v_or3_b32 v77, v93, v66, v81
	v_mul_f32_e32 v66, v84, v83
	v_dual_mul_f32 v71, v84, v82 :: v_dual_and_b32 v86, 0x7f800000, v85
	v_mul_f32_e32 v79, v84, v79
	v_mul_f32_e32 v83, v84, v78
	;; [unrolled: 1-line block ×4, first 2 shown]
	s_mov_b32 s3, exec_lo
	ds_store_b128 v77, v[89:92]
                                        ; implicit-def: $vgpr70
	v_cmpx_ne_u32_e32 0x7f800000, v86
	s_xor_b32 s3, exec_lo, s3
; %bb.45:
	v_bfe_u32 v70, v85, 16, 1
	s_delay_alu instid0(VALU_DEP_1)
	v_add3_u32 v70, v85, v70, 0x7fff
                                        ; implicit-def: $vgpr85
; %bb.46:
	s_and_not1_saveexec_b32 s3, s3
; %bb.47:
	v_and_b32_e32 v70, 0xffff, v85
	v_or_b32_e32 v72, 0x10000, v85
	s_delay_alu instid0(VALU_DEP_2) | instskip(NEXT) | instid1(VALU_DEP_2)
	v_cmp_eq_u32_e32 vcc_lo, 0, v70
	v_cndmask_b32_e32 v70, v72, v85, vcc_lo
; %bb.48:
	s_or_b32 exec_lo, exec_lo, s3
	v_and_b32_e32 v72, 0x7f800000, v78
	s_delay_alu instid0(VALU_DEP_1) | instskip(SKIP_1) | instid1(SALU_CYCLE_1)
	v_cmp_ne_u32_e32 vcc_lo, 0x7f800000, v72
                                        ; implicit-def: $vgpr72
	s_and_saveexec_b32 s3, vcc_lo
	s_xor_b32 s3, exec_lo, s3
; %bb.49:
	v_bfe_u32 v72, v78, 16, 1
	s_delay_alu instid0(VALU_DEP_1)
	v_add3_u32 v72, v78, v72, 0x7fff
                                        ; implicit-def: $vgpr78
; %bb.50:
	s_and_not1_saveexec_b32 s3, s3
; %bb.51:
	v_and_b32_e32 v72, 0xffff, v78
	v_or_b32_e32 v84, 0x10000, v78
	s_delay_alu instid0(VALU_DEP_2) | instskip(NEXT) | instid1(VALU_DEP_2)
	v_cmp_eq_u32_e32 vcc_lo, 0, v72
	v_cndmask_b32_e32 v72, v84, v78, vcc_lo
; %bb.52:
	s_or_b32 exec_lo, exec_lo, s3
	v_and_b32_e32 v78, 0x7f800000, v82
	s_delay_alu instid0(VALU_DEP_1) | instskip(SKIP_1) | instid1(SALU_CYCLE_1)
	v_cmp_ne_u32_e32 vcc_lo, 0x7f800000, v78
                                        ; implicit-def: $vgpr78
	s_and_saveexec_b32 s3, vcc_lo
	s_xor_b32 s3, exec_lo, s3
; %bb.53:
	v_bfe_u32 v78, v82, 16, 1
	s_delay_alu instid0(VALU_DEP_1)
	v_add3_u32 v78, v82, v78, 0x7fff
                                        ; implicit-def: $vgpr82
; %bb.54:
	s_and_not1_saveexec_b32 s3, s3
; %bb.55:
	v_and_b32_e32 v78, 0xffff, v82
	v_or_b32_e32 v84, 0x10000, v82
	s_delay_alu instid0(VALU_DEP_2) | instskip(NEXT) | instid1(VALU_DEP_2)
	v_cmp_eq_u32_e32 vcc_lo, 0, v78
	v_cndmask_b32_e32 v78, v84, v82, vcc_lo
; %bb.56:
	s_or_b32 exec_lo, exec_lo, s3
	v_and_b32_e32 v82, 0x7f800000, v83
	s_delay_alu instid0(VALU_DEP_1) | instskip(SKIP_1) | instid1(SALU_CYCLE_1)
	v_cmp_ne_u32_e32 vcc_lo, 0x7f800000, v82
                                        ; implicit-def: $vgpr82
	s_and_saveexec_b32 s3, vcc_lo
	s_xor_b32 s3, exec_lo, s3
; %bb.57:
	v_bfe_u32 v82, v83, 16, 1
	s_delay_alu instid0(VALU_DEP_1)
	v_add3_u32 v82, v83, v82, 0x7fff
                                        ; implicit-def: $vgpr83
; %bb.58:
	s_and_not1_saveexec_b32 s3, s3
; %bb.59:
	v_and_b32_e32 v82, 0xffff, v83
	v_or_b32_e32 v84, 0x10000, v83
	s_delay_alu instid0(VALU_DEP_2) | instskip(NEXT) | instid1(VALU_DEP_2)
	v_cmp_eq_u32_e32 vcc_lo, 0, v82
	v_cndmask_b32_e32 v82, v84, v83, vcc_lo
; %bb.60:
	s_or_b32 exec_lo, exec_lo, s3
	v_and_b32_e32 v83, 0x7f800000, v79
	s_delay_alu instid0(VALU_DEP_1) | instskip(SKIP_1) | instid1(SALU_CYCLE_1)
	v_cmp_ne_u32_e32 vcc_lo, 0x7f800000, v83
                                        ; implicit-def: $vgpr83
	s_and_saveexec_b32 s3, vcc_lo
	s_xor_b32 s3, exec_lo, s3
; %bb.61:
	v_bfe_u32 v83, v79, 16, 1
	s_delay_alu instid0(VALU_DEP_1)
	v_add3_u32 v83, v79, v83, 0x7fff
                                        ; implicit-def: $vgpr79
; %bb.62:
	s_and_not1_saveexec_b32 s3, s3
; %bb.63:
	v_and_b32_e32 v83, 0xffff, v79
	v_or_b32_e32 v84, 0x10000, v79
	s_delay_alu instid0(VALU_DEP_2) | instskip(NEXT) | instid1(VALU_DEP_2)
	v_cmp_eq_u32_e32 vcc_lo, 0, v83
	v_cndmask_b32_e32 v83, v84, v79, vcc_lo
; %bb.64:
	s_or_b32 exec_lo, exec_lo, s3
	v_and_b32_e32 v79, 0x7f800000, v80
	s_delay_alu instid0(VALU_DEP_1) | instskip(SKIP_1) | instid1(SALU_CYCLE_1)
	v_cmp_ne_u32_e32 vcc_lo, 0x7f800000, v79
                                        ; implicit-def: $vgpr79
	s_and_saveexec_b32 s3, vcc_lo
	s_xor_b32 s3, exec_lo, s3
; %bb.65:
	v_bfe_u32 v79, v80, 16, 1
	s_delay_alu instid0(VALU_DEP_1)
	v_add3_u32 v79, v80, v79, 0x7fff
                                        ; implicit-def: $vgpr80
; %bb.66:
	s_and_not1_saveexec_b32 s3, s3
; %bb.67:
	v_and_b32_e32 v79, 0xffff, v80
	v_or_b32_e32 v84, 0x10000, v80
	s_delay_alu instid0(VALU_DEP_2) | instskip(NEXT) | instid1(VALU_DEP_2)
	v_cmp_eq_u32_e32 vcc_lo, 0, v79
	v_cndmask_b32_e32 v79, v84, v80, vcc_lo
; %bb.68:
	s_or_b32 exec_lo, exec_lo, s3
	v_and_b32_e32 v80, 0x7f800000, v71
	s_delay_alu instid0(VALU_DEP_1) | instskip(SKIP_1) | instid1(SALU_CYCLE_1)
	v_cmp_ne_u32_e32 vcc_lo, 0x7f800000, v80
                                        ; implicit-def: $vgpr80
	s_and_saveexec_b32 s3, vcc_lo
	s_xor_b32 s3, exec_lo, s3
; %bb.69:
	v_bfe_u32 v80, v71, 16, 1
	s_delay_alu instid0(VALU_DEP_1)
	v_add3_u32 v80, v71, v80, 0x7fff
                                        ; implicit-def: $vgpr71
; %bb.70:
	s_and_not1_saveexec_b32 s3, s3
; %bb.71:
	v_and_b32_e32 v80, 0xffff, v71
	v_or_b32_e32 v84, 0x10000, v71
	s_delay_alu instid0(VALU_DEP_2) | instskip(NEXT) | instid1(VALU_DEP_2)
	v_cmp_eq_u32_e32 vcc_lo, 0, v80
	v_cndmask_b32_e32 v80, v84, v71, vcc_lo
; %bb.72:
	s_or_b32 exec_lo, exec_lo, s3
	v_and_b32_e32 v71, 0x7f800000, v66
	s_delay_alu instid0(VALU_DEP_1) | instskip(SKIP_1) | instid1(SALU_CYCLE_1)
	v_cmp_ne_u32_e32 vcc_lo, 0x7f800000, v71
                                        ; implicit-def: $vgpr71
	s_and_saveexec_b32 s3, vcc_lo
	s_xor_b32 s3, exec_lo, s3
; %bb.73:
	v_bfe_u32 v71, v66, 16, 1
	s_delay_alu instid0(VALU_DEP_1)
	v_add3_u32 v71, v66, v71, 0x7fff
                                        ; implicit-def: $vgpr66
; %bb.74:
	s_and_not1_saveexec_b32 s3, s3
; %bb.75:
	v_and_b32_e32 v71, 0xffff, v66
	v_or_b32_e32 v84, 0x10000, v66
	s_delay_alu instid0(VALU_DEP_2) | instskip(NEXT) | instid1(VALU_DEP_2)
	v_cmp_eq_u32_e32 vcc_lo, 0, v71
	v_cndmask_b32_e32 v71, v84, v66, vcc_lo
; %bb.76:
	s_or_b32 exec_lo, exec_lo, s3
	s_delay_alu instid0(VALU_DEP_1)
	v_perm_b32 v87, v71, v80, 0x7060302
	v_perm_b32 v86, v79, v83, 0x7060302
	;; [unrolled: 1-line block ×4, first 2 shown]
	v_lshl_or_b32 v83, v68, 11, v81
	ds_store_b128 v77, v[84:87] offset:1024
	s_waitcnt lgkmcnt(0)
	s_barrier
	buffer_gl0_inv
	ds_load_b128 v[84:87], v83
	ds_load_b128 v[88:91], v83 offset:16
	s_waitcnt lgkmcnt(1)
	v_lshrrev_b32_e32 v70, 16, v87
	s_waitcnt lgkmcnt(0)
	v_lshrrev_b32_e32 v71, 16, v88
	v_lshlrev_b32_e32 v79, 2, v65
	v_lshrrev_b32_e32 v65, 16, v84
	v_lshrrev_b32_e32 v66, 16, v85
	;; [unrolled: 1-line block ×4, first 2 shown]
	v_cmp_eq_u32_e32 vcc_lo, 1, v79
	v_lshrrev_b32_e32 v100, 16, v90
	v_lshrrev_b32_e32 v101, 16, v91
	v_cndmask_b32_e32 v92, v88, v71, vcc_lo
	v_or_b32_e32 v80, 1, v79
	v_cndmask_b32_e32 v82, v84, v65, vcc_lo
	v_cmp_eq_u32_e64 s4, 2, v79
	v_cmp_eq_u32_e64 s7, 3, v79
	;; [unrolled: 1-line block ×5, first 2 shown]
	v_cndmask_b32_e64 v82, v82, v85, s4
	v_cndmask_b32_e64 v92, v92, v89, s4
	v_cmp_eq_u32_e64 s8, 3, v80
	v_cndmask_b32_e64 v93, v84, v65, s3
	v_or_b32_e32 v78, 2, v79
	v_cndmask_b32_e64 v82, v82, v66, s7
	v_cndmask_b32_e64 v92, v92, v72, s7
	;; [unrolled: 1-line block ×4, first 2 shown]
	v_cmp_eq_u32_e64 s10, 5, v79
	v_cndmask_b32_e64 v82, v82, v86, s9
	v_cndmask_b32_e64 v92, v92, v90, s9
	v_cmp_eq_u32_e64 s11, 4, v80
	v_cndmask_b32_e64 v93, v93, v66, s8
	v_cmp_eq_u32_e64 s5, 1, v78
	v_cndmask_b32_e64 v94, v94, v89, s6
	v_cndmask_b32_e64 v82, v82, v68, s10
	v_cmp_eq_u32_e64 s12, 6, v79
	v_cndmask_b32_e64 v93, v93, v86, s11
	;; [unrolled: 3-line block ×3, first 2 shown]
	v_cndmask_b32_e64 v94, v94, v72, s8
	v_cndmask_b32_e64 v82, v82, v87, s12
	v_cmp_eq_u32_e64 s15, 7, v79
	v_cndmask_b32_e64 v93, v93, v68, s13
	v_cndmask_b32_e64 v92, v92, v91, s12
	v_cmp_eq_u32_e64 s16, 6, v80
	v_cmp_eq_u32_e64 s17, 2, v78
	v_cndmask_b32_e64 v94, v94, v90, s11
	v_cndmask_b32_e64 v102, v82, v70, s15
	v_cndmask_b32_e64 v103, v92, v101, s15
	v_cndmask_b32_e64 v93, v93, v87, s16
	v_cndmask_b32_e64 v82, v95, v85, s17
	v_cndmask_b32_e64 v92, v88, v71, s5
	v_cmp_eq_u32_e64 s18, 7, v80
	v_cmp_eq_u32_e64 s19, 3, v78
	;; [unrolled: 1-line block ×4, first 2 shown]
	v_cndmask_b32_e64 v92, v92, v89, s17
	v_cndmask_b32_e64 v104, v93, v70, s18
	;; [unrolled: 1-line block ×4, first 2 shown]
	v_or_b32_e32 v82, 3, v79
	v_cndmask_b32_e64 v97, v92, v72, s19
	v_cmp_eq_u32_e64 s24, 6, v78
	v_cndmask_b32_e64 v105, v93, v91, s16
	v_cndmask_b32_e64 v96, v94, v86, s20
	v_cmp_eq_u32_e64 s21, 1, v82
	ds_load_b128 v[92:95], v83 offset:1024
	v_cmp_eq_u32_e64 s23, 2, v82
	v_cmp_eq_u32_e64 s25, 3, v82
	v_cndmask_b32_e64 v106, v96, v68, s22
	v_cndmask_b32_e64 v65, v84, v65, s21
	;; [unrolled: 1-line block ×3, first 2 shown]
	ds_load_b128 v[96:99], v83 offset:1040
	v_cndmask_b32_e64 v71, v88, v71, s21
	v_cmp_eq_u32_e64 s26, 4, v82
	v_cndmask_b32_e64 v65, v65, v85, s23
	v_cmp_eq_u32_e64 s28, 5, v82
	v_cmp_eq_u32_e64 s29, 6, v82
	v_cndmask_b32_e64 v71, v71, v89, s23
	v_cndmask_b32_e64 v84, v84, v100, s22
	;; [unrolled: 1-line block ×4, first 2 shown]
	v_cmp_eq_u32_e64 s27, 7, v78
	v_cndmask_b32_e64 v71, v71, v72, s25
	v_cndmask_b32_e64 v84, v84, v91, s24
	;; [unrolled: 1-line block ×3, first 2 shown]
	s_waitcnt lgkmcnt(1)
	v_lshrrev_b32_e32 v72, 16, v92
	v_lshrrev_b32_e32 v88, 16, v93
	v_cndmask_b32_e64 v71, v71, v90, s26
	v_cndmask_b32_e64 v66, v66, v70, s27
	;; [unrolled: 1-line block ×3, first 2 shown]
	v_cndmask_b32_e32 v86, v92, v72, vcc_lo
	v_cndmask_b32_e64 v89, v92, v72, s3
	v_cndmask_b32_e64 v68, v71, v100, s28
	s_waitcnt lgkmcnt(0)
	v_lshrrev_b32_e32 v71, 16, v96
	v_cndmask_b32_e64 v65, v65, v87, s29
	v_cndmask_b32_e64 v86, v86, v93, s4
	;; [unrolled: 1-line block ×4, first 2 shown]
	v_cndmask_b32_e32 v90, v96, v71, vcc_lo
	v_cmp_eq_u32_e32 vcc_lo, 7, v82
	v_cndmask_b32_e64 v86, v86, v88, s7
	v_cndmask_b32_e64 v87, v87, v88, s8
	v_lshrrev_b32_e32 v91, 16, v94
	v_cndmask_b32_e64 v89, v90, v97, s4
	v_lshrrev_b32_e32 v90, 16, v97
	v_cndmask_b32_e64 v86, v86, v94, s9
	v_dual_cndmask_b32 v65, v65, v70 :: v_dual_cndmask_b32 v68, v68, v101
	v_cndmask_b32_e64 v70, v87, v94, s11
	s_delay_alu instid0(VALU_DEP_4) | instskip(NEXT) | instid1(VALU_DEP_4)
	v_cndmask_b32_e64 v89, v89, v90, s7
	v_cndmask_b32_e64 v86, v86, v91, s10
	v_lshrrev_b32_e32 v100, 16, v98
	v_cndmask_b32_e64 v84, v84, v101, s27
	v_perm_b32 v87, v68, v65, 0x5040100
	v_cndmask_b32_e64 v89, v89, v98, s9
	v_cndmask_b32_e64 v65, v70, v91, s13
	;; [unrolled: 1-line block ×3, first 2 shown]
	v_lshrrev_b32_e32 v70, 16, v95
	v_cndmask_b32_e64 v85, v105, v101, s18
	v_cndmask_b32_e64 v89, v89, v100, s10
	v_perm_b32 v86, v84, v66, 0x5040100
	v_cndmask_b32_e64 v101, v96, v71, s5
	v_cndmask_b32_e64 v66, v68, v70, s15
	;; [unrolled: 1-line block ×8, first 2 shown]
	v_lshrrev_b32_e32 v84, 16, v99
	v_cndmask_b32_e64 v89, v89, v93, s17
	v_cndmask_b32_e64 v72, v72, v93, s23
	;; [unrolled: 1-line block ×27, first 2 shown]
	v_cndmask_b32_e32 v70, v72, v70, vcc_lo
	v_cndmask_b32_e32 v72, v88, v84, vcc_lo
	v_cndmask_b32_e64 v88, v90, v84, s27
	v_cndmask_b32_e64 v71, v71, v84, s18
	;; [unrolled: 1-line block ×3, first 2 shown]
	v_perm_b32 v85, v85, v104, 0x5040100
	v_perm_b32 v84, v103, v102, 0x5040100
	;; [unrolled: 1-line block ×6, first 2 shown]
	s_lshl_b32 s8, s35, 1
	s_mov_b32 s3, exec_lo
	ds_store_b128 v77, v[84:87]
	ds_store_b128 v77, v[88:91] offset:1024
	v_cmpx_gt_u32_e32 2, v0
	s_cbranch_execz .LBB1603_78
; %bb.77:
	v_or_b32_e32 v65, s31, v0
	s_load_b128 s[4:7], s[0:1], 0x58
	s_delay_alu instid0(VALU_DEP_1) | instskip(NEXT) | instid1(VALU_DEP_1)
	v_mad_u64_u32 v[70:71], null, s8, s30, v[65:66]
	v_mad_u64_u32 v[65:66], null, v70, s34, s[14:15]
	s_delay_alu instid0(VALU_DEP_1) | instskip(NEXT) | instid1(VALU_DEP_1)
	v_ashrrev_i32_e32 v66, 31, v65
	v_lshlrev_b64 v[65:66], 2, v[65:66]
	s_waitcnt lgkmcnt(0)
	s_delay_alu instid0(VALU_DEP_1) | instskip(NEXT) | instid1(VALU_DEP_2)
	v_add_co_u32 v70, vcc_lo, s6, v65
	v_add_co_ci_u32_e32 v71, vcc_lo, s7, v66, vcc_lo
	v_add_co_u32 v65, vcc_lo, s4, v65
	v_add_co_ci_u32_e32 v66, vcc_lo, s5, v66, vcc_lo
	global_store_b32 v[70:71], v67, off
	global_store_b32 v[65:66], v69, off
.LBB1603_78:
	s_or_b32 exec_lo, exec_lo, s3
	s_waitcnt lgkmcnt(0)
	s_waitcnt_vscnt null, 0x0
	s_barrier
	buffer_gl0_inv
	ds_load_b128 v[84:87], v81
	ds_load_b128 v[88:91], v81 offset:16
	ds_load_b128 v[96:99], v81 offset:2064
	;; [unrolled: 1-line block ×3, first 2 shown]
	v_mov_b32_e32 v65, 0
	ds_load_b128 v[104:107], v81 offset:4112
	ds_load_b128 v[100:103], v81 offset:4096
	;; [unrolled: 1-line block ×4, first 2 shown]
	v_mov_b32_e32 v66, v65
	v_mov_b32_e32 v67, v65
	;; [unrolled: 1-line block ×7, first 2 shown]
	s_waitcnt lgkmcnt(6)
	s_delay_alu instid0(VALU_DEP_1)
	v_wmma_f32_16x16x16_bf16 v[65:72], v[41:48], v[84:91], v[65:72]
	ds_load_b128 v[45:48], v81 offset:8208
	ds_load_b128 v[41:44], v81 offset:8192
	s_waitcnt lgkmcnt(6)
	v_wmma_f32_16x16x16_bf16 v[65:72], v[33:40], v[92:99], v[65:72]
	ds_load_b128 v[37:40], v81 offset:10256
	ds_load_b128 v[33:36], v81 offset:10240
	s_waitcnt lgkmcnt(6)
	;; [unrolled: 4-line block ×4, first 2 shown]
	v_wmma_f32_16x16x16_bf16 v[65:72], v[1:8], v[41:48], v[65:72]
	s_waitcnt lgkmcnt(4)
	s_delay_alu instid0(VALU_DEP_1) | instskip(SKIP_1) | instid1(VALU_DEP_1)
	v_wmma_f32_16x16x16_bf16 v[65:72], v[9:16], v[33:40], v[65:72]
	s_waitcnt lgkmcnt(2)
	v_wmma_f32_16x16x16_bf16 v[65:72], v[57:64], v[25:32], v[65:72]
	s_waitcnt lgkmcnt(0)
	s_delay_alu instid0(VALU_DEP_1) | instskip(NEXT) | instid1(VALU_DEP_1)
	v_wmma_f32_16x16x16_bf16 v[65:72], v[49:56], v[17:24], v[65:72]
	v_and_b32_e32 v1, 0x7f800000, v65
	s_delay_alu instid0(VALU_DEP_1) | instskip(SKIP_1) | instid1(SALU_CYCLE_1)
	v_cmp_ne_u32_e32 vcc_lo, 0x7f800000, v1
                                        ; implicit-def: $vgpr1
	s_and_saveexec_b32 s3, vcc_lo
	s_xor_b32 s3, exec_lo, s3
; %bb.79:
	v_bfe_u32 v1, v65, 16, 1
	s_delay_alu instid0(VALU_DEP_1)
	v_add3_u32 v1, v65, v1, 0x7fff
; %bb.80:
	s_and_not1_saveexec_b32 s3, s3
; %bb.81:
	v_and_b32_e32 v1, 0xffff, v65
	v_or_b32_e32 v2, 0x10000, v65
	s_delay_alu instid0(VALU_DEP_2) | instskip(NEXT) | instid1(VALU_DEP_2)
	v_cmp_eq_u32_e32 vcc_lo, 0, v1
	v_cndmask_b32_e32 v1, v2, v65, vcc_lo
; %bb.82:
	s_or_b32 exec_lo, exec_lo, s3
	v_and_b32_e32 v2, 0x7f800000, v66
	s_delay_alu instid0(VALU_DEP_1) | instskip(SKIP_1) | instid1(SALU_CYCLE_1)
	v_cmp_ne_u32_e32 vcc_lo, 0x7f800000, v2
                                        ; implicit-def: $vgpr2
	s_and_saveexec_b32 s3, vcc_lo
	s_xor_b32 s3, exec_lo, s3
; %bb.83:
	v_bfe_u32 v2, v66, 16, 1
	s_delay_alu instid0(VALU_DEP_1)
	v_add3_u32 v2, v66, v2, 0x7fff
; %bb.84:
	s_and_not1_saveexec_b32 s3, s3
; %bb.85:
	v_and_b32_e32 v2, 0xffff, v66
	v_or_b32_e32 v3, 0x10000, v66
	s_delay_alu instid0(VALU_DEP_2) | instskip(NEXT) | instid1(VALU_DEP_2)
	v_cmp_eq_u32_e32 vcc_lo, 0, v2
	v_cndmask_b32_e32 v2, v3, v66, vcc_lo
; %bb.86:
	s_or_b32 exec_lo, exec_lo, s3
	v_and_b32_e32 v3, 0x7f800000, v67
	s_delay_alu instid0(VALU_DEP_1) | instskip(SKIP_1) | instid1(SALU_CYCLE_1)
	v_cmp_ne_u32_e32 vcc_lo, 0x7f800000, v3
                                        ; implicit-def: $vgpr3
	s_and_saveexec_b32 s3, vcc_lo
	s_xor_b32 s3, exec_lo, s3
; %bb.87:
	v_bfe_u32 v3, v67, 16, 1
	s_delay_alu instid0(VALU_DEP_1)
	v_add3_u32 v3, v67, v3, 0x7fff
; %bb.88:
	s_and_not1_saveexec_b32 s3, s3
; %bb.89:
	v_and_b32_e32 v3, 0xffff, v67
	v_or_b32_e32 v4, 0x10000, v67
	s_delay_alu instid0(VALU_DEP_2) | instskip(NEXT) | instid1(VALU_DEP_2)
	v_cmp_eq_u32_e32 vcc_lo, 0, v3
	v_cndmask_b32_e32 v3, v4, v67, vcc_lo
; %bb.90:
	s_or_b32 exec_lo, exec_lo, s3
	v_and_b32_e32 v4, 0x7f800000, v68
	s_delay_alu instid0(VALU_DEP_1) | instskip(SKIP_1) | instid1(SALU_CYCLE_1)
	v_cmp_ne_u32_e32 vcc_lo, 0x7f800000, v4
                                        ; implicit-def: $vgpr4
	s_and_saveexec_b32 s3, vcc_lo
	s_xor_b32 s3, exec_lo, s3
; %bb.91:
	v_bfe_u32 v4, v68, 16, 1
	s_delay_alu instid0(VALU_DEP_1)
	v_add3_u32 v4, v68, v4, 0x7fff
; %bb.92:
	s_and_not1_saveexec_b32 s3, s3
; %bb.93:
	v_and_b32_e32 v4, 0xffff, v68
	v_or_b32_e32 v5, 0x10000, v68
	s_delay_alu instid0(VALU_DEP_2) | instskip(NEXT) | instid1(VALU_DEP_2)
	v_cmp_eq_u32_e32 vcc_lo, 0, v4
	v_cndmask_b32_e32 v4, v5, v68, vcc_lo
; %bb.94:
	s_or_b32 exec_lo, exec_lo, s3
	v_and_b32_e32 v5, 0x7f800000, v69
	s_delay_alu instid0(VALU_DEP_1) | instskip(SKIP_1) | instid1(SALU_CYCLE_1)
	v_cmp_ne_u32_e32 vcc_lo, 0x7f800000, v5
                                        ; implicit-def: $vgpr5
	s_and_saveexec_b32 s3, vcc_lo
	s_xor_b32 s3, exec_lo, s3
; %bb.95:
	v_bfe_u32 v5, v69, 16, 1
	s_delay_alu instid0(VALU_DEP_1)
	v_add3_u32 v5, v69, v5, 0x7fff
; %bb.96:
	s_and_not1_saveexec_b32 s3, s3
; %bb.97:
	v_and_b32_e32 v5, 0xffff, v69
	v_or_b32_e32 v6, 0x10000, v69
	s_delay_alu instid0(VALU_DEP_2) | instskip(NEXT) | instid1(VALU_DEP_2)
	v_cmp_eq_u32_e32 vcc_lo, 0, v5
	v_cndmask_b32_e32 v5, v6, v69, vcc_lo
; %bb.98:
	s_or_b32 exec_lo, exec_lo, s3
	v_and_b32_e32 v6, 0x7f800000, v70
	s_delay_alu instid0(VALU_DEP_1) | instskip(SKIP_1) | instid1(SALU_CYCLE_1)
	v_cmp_ne_u32_e32 vcc_lo, 0x7f800000, v6
                                        ; implicit-def: $vgpr6
	s_and_saveexec_b32 s3, vcc_lo
	s_xor_b32 s3, exec_lo, s3
; %bb.99:
	v_bfe_u32 v6, v70, 16, 1
	s_delay_alu instid0(VALU_DEP_1)
	v_add3_u32 v6, v70, v6, 0x7fff
; %bb.100:
	s_and_not1_saveexec_b32 s3, s3
; %bb.101:
	v_and_b32_e32 v6, 0xffff, v70
	v_or_b32_e32 v7, 0x10000, v70
	s_delay_alu instid0(VALU_DEP_2) | instskip(NEXT) | instid1(VALU_DEP_2)
	v_cmp_eq_u32_e32 vcc_lo, 0, v6
	v_cndmask_b32_e32 v6, v7, v70, vcc_lo
; %bb.102:
	s_or_b32 exec_lo, exec_lo, s3
	v_and_b32_e32 v7, 0x7f800000, v71
	s_delay_alu instid0(VALU_DEP_1) | instskip(SKIP_1) | instid1(SALU_CYCLE_1)
	v_cmp_ne_u32_e32 vcc_lo, 0x7f800000, v7
                                        ; implicit-def: $vgpr7
	s_and_saveexec_b32 s3, vcc_lo
	s_xor_b32 s3, exec_lo, s3
; %bb.103:
	v_bfe_u32 v7, v71, 16, 1
	s_delay_alu instid0(VALU_DEP_1)
	v_add3_u32 v7, v71, v7, 0x7fff
; %bb.104:
	s_and_not1_saveexec_b32 s3, s3
; %bb.105:
	v_and_b32_e32 v7, 0xffff, v71
	v_or_b32_e32 v8, 0x10000, v71
	s_delay_alu instid0(VALU_DEP_2) | instskip(NEXT) | instid1(VALU_DEP_2)
	v_cmp_eq_u32_e32 vcc_lo, 0, v7
	v_cndmask_b32_e32 v7, v8, v71, vcc_lo
; %bb.106:
	s_or_b32 exec_lo, exec_lo, s3
	v_and_b32_e32 v8, 0x7f800000, v72
	s_delay_alu instid0(VALU_DEP_1) | instskip(SKIP_1) | instid1(SALU_CYCLE_1)
	v_cmp_ne_u32_e32 vcc_lo, 0x7f800000, v8
                                        ; implicit-def: $vgpr8
	s_and_saveexec_b32 s3, vcc_lo
	s_xor_b32 s3, exec_lo, s3
; %bb.107:
	v_bfe_u32 v8, v72, 16, 1
	s_delay_alu instid0(VALU_DEP_1)
	v_add3_u32 v8, v72, v8, 0x7fff
                                        ; implicit-def: $vgpr65_vgpr66_vgpr67_vgpr68_vgpr69_vgpr70_vgpr71_vgpr72
; %bb.108:
	s_and_not1_saveexec_b32 s3, s3
; %bb.109:
	v_and_b32_e32 v8, 0xffff, v72
	v_or_b32_e32 v9, 0x10000, v72
	s_delay_alu instid0(VALU_DEP_2) | instskip(NEXT) | instid1(VALU_DEP_2)
	v_cmp_eq_u32_e32 vcc_lo, 0, v8
	v_cndmask_b32_e32 v8, v9, v72, vcc_lo
; %bb.110:
	s_or_b32 exec_lo, exec_lo, s3
	s_delay_alu instid0(VALU_DEP_1)
	v_perm_b32 v7, v8, v7, 0x7060302
	v_perm_b32 v6, v6, v5, 0x7060302
	;; [unrolled: 1-line block ×4, first 2 shown]
	s_barrier
	buffer_gl0_inv
	v_cmp_eq_u32_e32 vcc_lo, 1, v79
	ds_store_b128 v77, v[4:7]
	s_waitcnt lgkmcnt(0)
	s_barrier
	buffer_gl0_inv
	ds_load_b128 v[1:4], v83
	ds_load_b128 v[5:8], v83 offset:16
	v_cmp_eq_u32_e64 s3, 1, v80
	v_cmp_eq_u32_e64 s4, 2, v79
	;; [unrolled: 1-line block ×5, first 2 shown]
	s_waitcnt lgkmcnt(1)
	v_lshrrev_b32_e32 v9, 16, v1
	s_waitcnt lgkmcnt(0)
	v_lshrrev_b32_e32 v13, 16, v5
	v_lshrrev_b32_e32 v10, 16, v2
	;; [unrolled: 1-line block ×4, first 2 shown]
	v_cndmask_b32_e64 v19, v1, v9, s3
	v_cndmask_b32_e32 v18, v5, v13, vcc_lo
	v_cndmask_b32_e64 v20, v5, v13, s3
	v_cndmask_b32_e32 v17, v1, v9, vcc_lo
	v_cmp_eq_u32_e32 vcc_lo, 2, v80
	v_lshrrev_b32_e32 v15, 16, v7
	v_cmp_eq_u32_e64 s3, 1, v78
	v_lshrrev_b32_e32 v12, 16, v4
	v_lshrrev_b32_e32 v16, 16, v8
	v_cndmask_b32_e32 v20, v20, v6, vcc_lo
	v_cndmask_b32_e64 v17, v17, v2, s4
	v_cndmask_b32_e32 v19, v19, v2, vcc_lo
	v_cndmask_b32_e64 v18, v18, v6, s4
	v_cmp_eq_u32_e32 vcc_lo, 4, v79
	v_cmp_eq_u32_e64 s4, 3, v80
	v_cndmask_b32_e64 v17, v17, v10, s5
	v_cndmask_b32_e64 v21, v1, v9, s3
	;; [unrolled: 1-line block ×5, first 2 shown]
	v_cndmask_b32_e32 v17, v17, v3, vcc_lo
	v_cndmask_b32_e64 v20, v20, v14, s4
	v_cndmask_b32_e32 v18, v18, v7, vcc_lo
	v_cmp_eq_u32_e32 vcc_lo, 4, v80
	v_cmp_eq_u32_e64 s4, 5, v80
	v_cmp_eq_u32_e64 s3, 2, v82
	v_cndmask_b32_e64 v21, v21, v2, s7
	v_cmp_eq_u32_e64 s5, 5, v79
	v_cndmask_b32_e32 v19, v19, v3, vcc_lo
	v_cndmask_b32_e32 v20, v20, v7, vcc_lo
	v_cmp_eq_u32_e32 vcc_lo, 6, v80
	s_delay_alu instid0(VALU_DEP_4) | instskip(NEXT) | instid1(VALU_DEP_4)
	v_cndmask_b32_e64 v17, v17, v11, s5
	v_cndmask_b32_e64 v19, v19, v11, s4
	s_delay_alu instid0(VALU_DEP_4) | instskip(SKIP_1) | instid1(VALU_DEP_3)
	v_cndmask_b32_e64 v20, v20, v15, s4
	v_cmp_eq_u32_e64 s4, 1, v82
	v_cndmask_b32_e32 v19, v19, v4, vcc_lo
	v_cndmask_b32_e64 v18, v18, v15, s5
	s_delay_alu instid0(VALU_DEP_3)
	v_cndmask_b32_e64 v1, v1, v9, s4
	v_cndmask_b32_e64 v5, v5, v13, s4
	v_cmp_eq_u32_e64 s4, 3, v78
	v_cndmask_b32_e64 v13, v22, v6, s7
	v_cmp_eq_u32_e64 s7, 3, v82
	v_cndmask_b32_e64 v1, v1, v2, s3
	v_cndmask_b32_e64 v2, v5, v6, s3
	;; [unrolled: 1-line block ×3, first 2 shown]
	v_cmp_eq_u32_e64 s3, 4, v78
	v_cndmask_b32_e64 v6, v13, v14, s4
	v_cndmask_b32_e64 v1, v1, v10, s7
	v_cmp_eq_u32_e64 s4, 4, v82
	v_cndmask_b32_e64 v2, v2, v14, s7
	v_cndmask_b32_e64 v5, v9, v3, s3
	v_cmp_eq_u32_e64 s7, 5, v78
	v_cndmask_b32_e64 v6, v6, v7, s3
	v_cndmask_b32_e64 v1, v1, v3, s4
	v_cndmask_b32_e64 v2, v2, v7, s4
	v_cmp_eq_u32_e64 s3, 5, v82
	v_cmp_eq_u32_e64 s5, 6, v79
	v_cndmask_b32_e64 v5, v5, v11, s7
	v_cmp_eq_u32_e64 s4, 6, v78
	v_cndmask_b32_e64 v3, v6, v15, s7
	v_cndmask_b32_e64 v1, v1, v11, s3
	v_cmp_eq_u32_e64 s7, 6, v82
	v_cndmask_b32_e64 v2, v2, v15, s3
	v_cndmask_b32_e64 v17, v17, v4, s5
	v_cndmask_b32_e64 v18, v18, v8, s5
	v_cmp_eq_u32_e64 s5, 7, v79
	v_cndmask_b32_e64 v5, v5, v4, s4
	;; [unrolled: 4-line block ×3, first 2 shown]
	v_cmp_eq_u32_e64 s4, 7, v78
	v_cndmask_b32_e32 v4, v20, v8, vcc_lo
	v_cndmask_b32_e64 v17, v17, v12, s5
	v_cndmask_b32_e64 v19, v19, v12, s6
	;; [unrolled: 1-line block ×8, first 2 shown]
	s_delay_alu instid0(VALU_DEP_4) | instskip(NEXT) | instid1(VALU_DEP_4)
	v_perm_b32 v4, v2, v1, 0x5040100
	v_perm_b32 v3, v3, v5, 0x5040100
	s_delay_alu instid0(VALU_DEP_4) | instskip(NEXT) | instid1(VALU_DEP_4)
	v_perm_b32 v2, v6, v19, 0x5040100
	v_perm_b32 v1, v7, v17, 0x5040100
	ds_store_b128 v77, v[1:4]
	s_waitcnt lgkmcnt(0)
	s_barrier
	buffer_gl0_inv
	s_and_saveexec_b32 s3, s2
	s_cbranch_execz .LBB1603_2
; %bb.111:
	s_load_b64 s[0:1], s[0:1], 0x68
	v_lshlrev_b32_e32 v0, 10, v0
	s_lshl_b32 s2, s34, 7
	v_lshlrev_b32_e32 v1, 4, v76
	v_mul_lo_u32 v4, s2, v75
	s_mul_i32 s3, s2, s30
	v_and_b32_e32 v0, 0x3800, v0
	s_mul_i32 s2, s3, s8
	s_delay_alu instid0(SALU_CYCLE_1) | instskip(NEXT) | instid1(VALU_DEP_1)
	s_ashr_i32 s3, s2, 31
	v_or3_b32 v0, v0, v74, v1
	s_lshl_b64 s[2:3], s[2:3], 1
	s_delay_alu instid0(VALU_DEP_3)
	v_ashrrev_i32_e32 v5, 31, v4
	ds_load_b128 v[0:3], v0
	v_lshlrev_b64 v[4:5], 1, v[4:5]
	s_waitcnt lgkmcnt(0)
	s_add_u32 s2, s0, s2
	s_addc_u32 s3, s1, s3
	s_lshl_b32 s0, s14, 7
	s_delay_alu instid0(SALU_CYCLE_1) | instskip(NEXT) | instid1(SALU_CYCLE_1)
	s_ashr_i32 s1, s0, 31
	s_lshl_b64 s[0:1], s[0:1], 1
	s_delay_alu instid0(SALU_CYCLE_1) | instskip(SKIP_3) | instid1(VALU_DEP_2)
	s_add_u32 s0, s2, s0
	s_addc_u32 s1, s3, s1
	v_add_co_u32 v4, vcc_lo, s0, v4
	v_add_co_ci_u32_e32 v5, vcc_lo, s1, v5, vcc_lo
	v_add_co_u32 v4, vcc_lo, v4, v73
	s_delay_alu instid0(VALU_DEP_2)
	v_add_co_ci_u32_e32 v5, vcc_lo, 0, v5, vcc_lo
	global_store_b128 v[4:5], v[0:3], off
	s_nop 0
	s_sendmsg sendmsg(MSG_DEALLOC_VGPRS)
	s_endpgm
	.section	.rodata,"a",@progbits
	.p2align	6, 0x0
	.amdhsa_kernel _Z39paged_attention_ll4mi_QKV_mfma16_kernelI14__hip_bfloat16hLN4vllm18Fp8KVCacheDataTypeE1EhLi32ELi128ELi256ELb1ELi2EL8MFMAType1EEvPKT_PKT0_S9_ifPKiSB_SB_iPKfiiiPfSE_PS4_PT2_iSD_SD_
		.amdhsa_group_segment_fixed_size 17472
		.amdhsa_private_segment_fixed_size 0
		.amdhsa_kernarg_size 400
		.amdhsa_user_sgpr_count 13
		.amdhsa_user_sgpr_dispatch_ptr 0
		.amdhsa_user_sgpr_queue_ptr 0
		.amdhsa_user_sgpr_kernarg_segment_ptr 1
		.amdhsa_user_sgpr_dispatch_id 0
		.amdhsa_user_sgpr_private_segment_size 0
		.amdhsa_wavefront_size32 1
		.amdhsa_uses_dynamic_stack 0
		.amdhsa_enable_private_segment 0
		.amdhsa_system_sgpr_workgroup_id_x 1
		.amdhsa_system_sgpr_workgroup_id_y 1
		.amdhsa_system_sgpr_workgroup_id_z 1
		.amdhsa_system_sgpr_workgroup_info 0
		.amdhsa_system_vgpr_workitem_id 0
		.amdhsa_next_free_vgpr 138
		.amdhsa_next_free_sgpr 37
		.amdhsa_reserve_vcc 1
		.amdhsa_float_round_mode_32 0
		.amdhsa_float_round_mode_16_64 0
		.amdhsa_float_denorm_mode_32 3
		.amdhsa_float_denorm_mode_16_64 3
		.amdhsa_dx10_clamp 1
		.amdhsa_ieee_mode 1
		.amdhsa_fp16_overflow 0
		.amdhsa_workgroup_processor_mode 1
		.amdhsa_memory_ordered 1
		.amdhsa_forward_progress 0
		.amdhsa_shared_vgpr_count 0
		.amdhsa_exception_fp_ieee_invalid_op 0
		.amdhsa_exception_fp_denorm_src 0
		.amdhsa_exception_fp_ieee_div_zero 0
		.amdhsa_exception_fp_ieee_overflow 0
		.amdhsa_exception_fp_ieee_underflow 0
		.amdhsa_exception_fp_ieee_inexact 0
		.amdhsa_exception_int_div_zero 0
	.end_amdhsa_kernel
	.section	.text._Z39paged_attention_ll4mi_QKV_mfma16_kernelI14__hip_bfloat16hLN4vllm18Fp8KVCacheDataTypeE1EhLi32ELi128ELi256ELb1ELi2EL8MFMAType1EEvPKT_PKT0_S9_ifPKiSB_SB_iPKfiiiPfSE_PS4_PT2_iSD_SD_,"axG",@progbits,_Z39paged_attention_ll4mi_QKV_mfma16_kernelI14__hip_bfloat16hLN4vllm18Fp8KVCacheDataTypeE1EhLi32ELi128ELi256ELb1ELi2EL8MFMAType1EEvPKT_PKT0_S9_ifPKiSB_SB_iPKfiiiPfSE_PS4_PT2_iSD_SD_,comdat
.Lfunc_end1603:
	.size	_Z39paged_attention_ll4mi_QKV_mfma16_kernelI14__hip_bfloat16hLN4vllm18Fp8KVCacheDataTypeE1EhLi32ELi128ELi256ELb1ELi2EL8MFMAType1EEvPKT_PKT0_S9_ifPKiSB_SB_iPKfiiiPfSE_PS4_PT2_iSD_SD_, .Lfunc_end1603-_Z39paged_attention_ll4mi_QKV_mfma16_kernelI14__hip_bfloat16hLN4vllm18Fp8KVCacheDataTypeE1EhLi32ELi128ELi256ELb1ELi2EL8MFMAType1EEvPKT_PKT0_S9_ifPKiSB_SB_iPKfiiiPfSE_PS4_PT2_iSD_SD_
                                        ; -- End function
	.section	.AMDGPU.csdata,"",@progbits
; Kernel info:
; codeLenInByte = 8652
; NumSgprs: 39
; NumVgprs: 138
; ScratchSize: 0
; MemoryBound: 0
; FloatMode: 240
; IeeeMode: 1
; LDSByteSize: 17472 bytes/workgroup (compile time only)
; SGPRBlocks: 4
; VGPRBlocks: 17
; NumSGPRsForWavesPerEU: 39
; NumVGPRsForWavesPerEU: 138
; Occupancy: 10
; WaveLimiterHint : 1
; COMPUTE_PGM_RSRC2:SCRATCH_EN: 0
; COMPUTE_PGM_RSRC2:USER_SGPR: 13
; COMPUTE_PGM_RSRC2:TRAP_HANDLER: 0
; COMPUTE_PGM_RSRC2:TGID_X_EN: 1
; COMPUTE_PGM_RSRC2:TGID_Y_EN: 1
; COMPUTE_PGM_RSRC2:TGID_Z_EN: 1
; COMPUTE_PGM_RSRC2:TIDIG_COMP_CNT: 0
	.section	.text._Z39paged_attention_ll4mi_QKV_mfma16_kernelI14__hip_bfloat16hLN4vllm18Fp8KVCacheDataTypeE1EhLi32ELi128ELi256ELb1ELi3EL8MFMAType1EEvPKT_PKT0_S9_ifPKiSB_SB_iPKfiiiPfSE_PS4_PT2_iSD_SD_,"axG",@progbits,_Z39paged_attention_ll4mi_QKV_mfma16_kernelI14__hip_bfloat16hLN4vllm18Fp8KVCacheDataTypeE1EhLi32ELi128ELi256ELb1ELi3EL8MFMAType1EEvPKT_PKT0_S9_ifPKiSB_SB_iPKfiiiPfSE_PS4_PT2_iSD_SD_,comdat
	.protected	_Z39paged_attention_ll4mi_QKV_mfma16_kernelI14__hip_bfloat16hLN4vllm18Fp8KVCacheDataTypeE1EhLi32ELi128ELi256ELb1ELi3EL8MFMAType1EEvPKT_PKT0_S9_ifPKiSB_SB_iPKfiiiPfSE_PS4_PT2_iSD_SD_ ; -- Begin function _Z39paged_attention_ll4mi_QKV_mfma16_kernelI14__hip_bfloat16hLN4vllm18Fp8KVCacheDataTypeE1EhLi32ELi128ELi256ELb1ELi3EL8MFMAType1EEvPKT_PKT0_S9_ifPKiSB_SB_iPKfiiiPfSE_PS4_PT2_iSD_SD_
	.globl	_Z39paged_attention_ll4mi_QKV_mfma16_kernelI14__hip_bfloat16hLN4vllm18Fp8KVCacheDataTypeE1EhLi32ELi128ELi256ELb1ELi3EL8MFMAType1EEvPKT_PKT0_S9_ifPKiSB_SB_iPKfiiiPfSE_PS4_PT2_iSD_SD_
	.p2align	8
	.type	_Z39paged_attention_ll4mi_QKV_mfma16_kernelI14__hip_bfloat16hLN4vllm18Fp8KVCacheDataTypeE1EhLi32ELi128ELi256ELb1ELi3EL8MFMAType1EEvPKT_PKT0_S9_ifPKiSB_SB_iPKfiiiPfSE_PS4_PT2_iSD_SD_,@function
_Z39paged_attention_ll4mi_QKV_mfma16_kernelI14__hip_bfloat16hLN4vllm18Fp8KVCacheDataTypeE1EhLi32ELi128ELi256ELb1ELi3EL8MFMAType1EEvPKT_PKT0_S9_ifPKiSB_SB_iPKfiiiPfSE_PS4_PT2_iSD_SD_: ; @_Z39paged_attention_ll4mi_QKV_mfma16_kernelI14__hip_bfloat16hLN4vllm18Fp8KVCacheDataTypeE1EhLi32ELi128ELi256ELb1ELi3EL8MFMAType1EEvPKT_PKT0_S9_ifPKiSB_SB_iPKfiiiPfSE_PS4_PT2_iSD_SD_
; %bb.0:
	s_load_b64 s[4:5], s[0:1], 0x30
	s_mov_b32 s30, s13
	s_waitcnt lgkmcnt(0)
	s_cmp_lg_u64 s[4:5], 0
	s_cselect_b32 s13, -1, 0
	s_ashr_i32 s31, s30, 31
	s_cmp_eq_u64 s[4:5], 0
	s_cbranch_scc1 .LBB1604_3
; %bb.1:
	s_lshl_b64 s[2:3], s[30:31], 2
	s_delay_alu instid0(SALU_CYCLE_1) | instskip(SKIP_4) | instid1(SALU_CYCLE_1)
	s_add_u32 s2, s4, s2
	s_addc_u32 s3, s5, s3
	s_load_b64 s[2:3], s[2:3], 0x0
	s_waitcnt lgkmcnt(0)
	s_sub_i32 s2, s3, s2
	s_cmp_eq_u32 s2, 1
	s_cselect_b32 s2, -1, 0
	s_delay_alu instid0(SALU_CYCLE_1)
	s_and_not1_b32 vcc_lo, exec_lo, s2
	s_cbranch_vccz .LBB1604_4
.LBB1604_2:
	s_nop 0
	s_sendmsg sendmsg(MSG_DEALLOC_VGPRS)
	s_endpgm
.LBB1604_3:
.LBB1604_4:
	s_load_b64 s[2:3], s[0:1], 0x28
	s_lshl_b64 s[6:7], s[30:31], 2
	s_waitcnt lgkmcnt(0)
	s_add_u32 s2, s2, s6
	s_addc_u32 s3, s3, s7
	s_lshl_b32 s12, s14, 8
	s_load_b32 s17, s[2:3], 0x0
	s_waitcnt lgkmcnt(0)
	s_cmp_ge_i32 s12, s17
	s_cbranch_scc1 .LBB1604_2
; %bb.5:
	s_clause 0x1
	s_load_b128 s[8:11], s[0:1], 0x8
	s_load_b64 s[2:3], s[0:1], 0x20
	s_and_not1_b32 vcc_lo, exec_lo, s13
	s_cbranch_vccnz .LBB1604_7
; %bb.6:
	s_add_u32 s4, s4, s6
	s_addc_u32 s5, s5, s7
	s_load_b32 s13, s[4:5], 0x0
	s_branch .LBB1604_8
.LBB1604_7:
	s_mov_b32 s13, s30
.LBB1604_8:
	s_load_b128 s[4:7], s[0:1], 0x48
	v_and_b32_e32 v65, 15, v0
	v_lshrrev_b32_e32 v66, 5, v0
	v_bfe_u32 v74, v0, 4, 1
	v_and_b32_e32 v67, 31, v0
	v_and_b32_e32 v75, 1, v0
	v_lshlrev_b32_e32 v2, 3, v65
	s_mul_i32 s31, s15, 3
	v_lshl_or_b32 v1, v66, 1, v74
	s_waitcnt lgkmcnt(0)
	s_mov_b32 s7, exec_lo
	v_lshlrev_b32_e32 v73, 1, v2
	s_delay_alu instid0(VALU_DEP_2)
	v_cmpx_gt_u32_e32 3, v1
	s_cbranch_execz .LBB1604_10
; %bb.9:
	s_load_b64 s[18:19], s[0:1], 0x0
	v_add_lshl_u32 v2, v1, s31, 7
	s_mul_hi_i32 s21, s13, s4
	s_mul_i32 s20, s13, s4
	v_lshlrev_b32_e32 v6, 10, v65
	s_lshl_b64 s[20:21], s[20:21], 1
	v_ashrrev_i32_e32 v3, 31, v2
	v_lshlrev_b32_e32 v1, 6, v1
	v_lshlrev_b32_e32 v7, 10, v75
	v_and_b32_e32 v6, 0x3800, v6
	s_delay_alu instid0(VALU_DEP_4) | instskip(NEXT) | instid1(VALU_DEP_2)
	v_lshlrev_b64 v[2:3], 1, v[2:3]
	v_or3_b32 v1, v6, v7, v1
	s_waitcnt lgkmcnt(0)
	s_add_u32 s4, s18, s20
	s_addc_u32 s13, s19, s21
	s_delay_alu instid0(VALU_DEP_2) | instskip(SKIP_1) | instid1(VALU_DEP_2)
	v_add_co_u32 v2, vcc_lo, s4, v2
	v_add_co_ci_u32_e32 v3, vcc_lo, s13, v3, vcc_lo
	v_add_co_u32 v2, vcc_lo, v2, v73
	s_delay_alu instid0(VALU_DEP_2)
	v_add_co_ci_u32_e32 v3, vcc_lo, 0, v3, vcc_lo
	global_load_b128 v[2:5], v[2:3], off
	s_waitcnt vmcnt(0)
	ds_store_b128 v1, v[2:5]
.LBB1604_10:
	s_or_b32 exec_lo, exec_lo, s7
	v_and_b32_e32 v1, 0xef, v0
	s_add_i32 s4, s17, 31
	s_clause 0x1
	s_load_b32 s7, s[0:1], 0x38
	s_load_b32 s18, s[0:1], 0x1c
	s_ashr_i32 s13, s4, 31
	v_add_nc_u32_e32 v2, s12, v1
	s_lshr_b32 s13, s13, 27
	s_waitcnt lgkmcnt(0)
	s_add_i32 s4, s4, s13
	s_barrier
	v_ashrrev_i32_e32 v1, 31, v2
	s_ashr_i32 s4, s4, 5
	v_cmp_gt_i32_e32 vcc_lo, s17, v2
	s_add_i32 s4, s4, -1
	buffer_gl0_inv
	v_lshrrev_b32_e32 v3, 27, v1
	v_or_b32_e32 v1, 16, v2
	s_mul_i32 s15, s15, s6
	s_delay_alu instid0(VALU_DEP_2) | instskip(SKIP_1) | instid1(SALU_CYCLE_1)
	v_add_nc_u32_e32 v4, v2, v3
	s_mul_i32 s20, s30, s7
	s_ashr_i32 s21, s20, 31
	s_delay_alu instid0(VALU_DEP_1) | instskip(SKIP_2) | instid1(SALU_CYCLE_1)
	v_ashrrev_i32_e32 v4, 5, v4
	v_add_nc_u32_e32 v3, v1, v3
	s_lshl_b64 s[20:21], s[20:21], 2
	s_add_u32 s7, s2, s20
	s_delay_alu instid0(VALU_DEP_2) | instskip(NEXT) | instid1(VALU_DEP_2)
	v_cndmask_b32_e32 v2, s4, v4, vcc_lo
	v_ashrrev_i32_e32 v3, 5, v3
	v_cmp_gt_i32_e32 vcc_lo, s17, v1
	s_addc_u32 s13, s3, s21
	s_ashr_i32 s6, s15, 31
	s_add_u32 s2, s8, s15
	s_addc_u32 s3, s9, s6
	v_cndmask_b32_e32 v4, s4, v3, vcc_lo
	v_ashrrev_i32_e32 v3, 31, v2
	s_lshl_b32 s8, s14, 3
	s_delay_alu instid0(SALU_CYCLE_1) | instskip(NEXT) | instid1(VALU_DEP_2)
	s_ashr_i32 s9, s8, 31
	v_ashrrev_i32_e32 v5, 31, v4
	s_delay_alu instid0(VALU_DEP_2) | instskip(SKIP_1) | instid1(SALU_CYCLE_1)
	v_lshlrev_b64 v[1:2], 2, v[2:3]
	s_lshl_b64 s[8:9], s[8:9], 2
	s_add_u32 s8, s7, s8
	s_delay_alu instid0(VALU_DEP_2) | instskip(SKIP_1) | instid1(VALU_DEP_2)
	v_lshlrev_b64 v[3:4], 2, v[4:5]
	s_addc_u32 s9, s13, s9
	v_add_co_u32 v1, vcc_lo, s7, v1
	v_add_co_ci_u32_e32 v2, vcc_lo, s13, v2, vcc_lo
	s_delay_alu instid0(VALU_DEP_3) | instskip(NEXT) | instid1(VALU_DEP_4)
	v_add_co_u32 v3, vcc_lo, s7, v3
	v_add_co_ci_u32_e32 v4, vcc_lo, s13, v4, vcc_lo
	s_clause 0x1
	global_load_b32 v5, v[1:2], off
	global_load_b32 v6, v[3:4], off
	s_or_b32 s16, s12, 32
	s_delay_alu instid0(SALU_CYCLE_1) | instskip(SKIP_2) | instid1(SALU_CYCLE_1)
	s_ashr_i32 s19, s16, 5
	s_cmp_lt_i32 s16, s17
	s_cselect_b32 s20, s19, s4
	s_ashr_i32 s21, s20, 31
	s_delay_alu instid0(SALU_CYCLE_1) | instskip(NEXT) | instid1(SALU_CYCLE_1)
	s_lshl_b64 s[20:21], s[20:21], 2
	s_add_u32 s20, s7, s20
	s_addc_u32 s21, s13, s21
	s_or_b32 s16, s12, 64
	s_delay_alu instid0(SALU_CYCLE_1) | instskip(SKIP_2) | instid1(SALU_CYCLE_1)
	s_ashr_i32 s19, s16, 5
	s_cmp_lt_i32 s16, s17
	s_cselect_b32 s22, s19, s4
	s_ashr_i32 s23, s22, 31
	s_delay_alu instid0(SALU_CYCLE_1) | instskip(NEXT) | instid1(SALU_CYCLE_1)
	s_lshl_b64 s[22:23], s[22:23], 2
	s_add_u32 s22, s7, s22
	s_addc_u32 s23, s13, s23
	;; [unrolled: 10-line block ×5, first 2 shown]
	s_clause 0x5
	s_load_b32 s16, s[8:9], 0x0
	s_load_b32 s19, s[20:21], 0x0
	;; [unrolled: 1-line block ×6, first 2 shown]
	s_mov_b32 s20, 0
	s_delay_alu instid0(SALU_CYCLE_1)
	s_mov_b32 s21, s20
	s_mov_b32 s22, s20
	;; [unrolled: 1-line block ×7, first 2 shown]
	s_delay_alu instid0(SALU_CYCLE_1)
	v_dual_mov_b32 v107, s27 :: v_dual_mov_b32 v106, s26
	v_dual_mov_b32 v105, s25 :: v_dual_mov_b32 v102, s22
	;; [unrolled: 1-line block ×4, first 2 shown]
	s_waitcnt vmcnt(1)
	v_mad_i64_i32 v[1:2], null, v5, s5, s[2:3]
	v_lshlrev_b32_e32 v5, 4, v65
	s_waitcnt vmcnt(0)
	v_mad_i64_i32 v[3:4], null, v6, s5, s[2:3]
	s_or_b32 s2, s12, 0xc0
	s_delay_alu instid0(SALU_CYCLE_1) | instskip(NEXT) | instid1(VALU_DEP_3)
	s_ashr_i32 s3, s2, 5
	v_add_co_u32 v25, vcc_lo, v1, v5
	s_delay_alu instid0(VALU_DEP_4) | instskip(NEXT) | instid1(VALU_DEP_3)
	v_add_co_ci_u32_e32 v26, vcc_lo, 0, v2, vcc_lo
	v_add_co_u32 v27, vcc_lo, v3, v5
	s_delay_alu instid0(VALU_DEP_4)
	v_add_co_ci_u32_e32 v28, vcc_lo, 0, v4, vcc_lo
	s_clause 0xf
	global_load_b128 v[1:4], v[25:26], off
	global_load_b128 v[5:8], v[25:26], off offset:512
	global_load_b128 v[9:12], v[27:28], off offset:256
	;; [unrolled: 1-line block ×15, first 2 shown]
	v_mul_lo_u16 v25, 0x56, v65
	s_cmp_lt_i32 s2, s17
	v_lshlrev_b32_e32 v26, 5, v65
	s_cselect_b32 s2, s3, s4
	s_delay_alu instid0(VALU_DEP_2) | instskip(SKIP_1) | instid1(VALU_DEP_2)
	v_lshrrev_b16 v25, 8, v25
	s_ashr_i32 s3, s2, 31
	v_lshl_or_b32 v33, v66, 9, v26
	s_lshl_b64 s[2:3], s[2:3], 2
	s_delay_alu instid0(VALU_DEP_2) | instskip(SKIP_3) | instid1(VALU_DEP_1)
	v_mul_lo_u16 v25, v25, 3
	s_add_u32 s2, s7, s2
	s_addc_u32 s3, s13, s3
	s_or_b32 s8, s12, 0xe0
	v_sub_nc_u16 v25, v65, v25
	s_ashr_i32 s9, s8, 5
	s_cmp_lt_i32 s8, s17
	s_cselect_b32 s8, s9, s4
	s_delay_alu instid0(VALU_DEP_1) | instskip(SKIP_1) | instid1(SALU_CYCLE_1)
	v_and_b32_e32 v25, 0xff, v25
	s_ashr_i32 s9, s8, 31
	s_lshl_b64 s[8:9], s[8:9], 2
	s_delay_alu instid0(VALU_DEP_1)
	v_lshlrev_b32_e32 v72, 6, v25
	ds_load_b128 v[25:28], v72
	ds_load_b128 v[29:32], v72 offset:1024
	ds_load_b128 v[108:111], v72 offset:2048
	ds_load_b128 v[112:115], v72 offset:3072
	s_load_b32 s4, s[2:3], 0x0
	s_add_u32 s2, s7, s8
	s_addc_u32 s3, s13, s9
	ds_load_b128 v[116:119], v72 offset:4096
	ds_load_b128 v[120:123], v72 offset:5120
	s_load_b32 s2, s[2:3], 0x0
	s_add_u32 s7, s10, s15
	s_addc_u32 s6, s11, s6
	v_add_co_u32 v68, s7, s7, v33
	s_delay_alu instid0(VALU_DEP_1) | instskip(SKIP_1) | instid1(VALU_DEP_1)
	v_add_co_ci_u32_e64 v69, null, s6, 0, s7
	s_waitcnt lgkmcnt(0)
	v_mad_i64_i32 v[33:34], null, s16, s5, v[68:69]
	v_mad_i64_i32 v[70:71], null, s33, s5, v[68:69]
	;; [unrolled: 1-line block ×7, first 2 shown]
	s_clause 0x3
	global_load_b128 v[41:44], v[33:34], off
	global_load_b128 v[45:48], v[33:34], off offset:16
	global_load_b128 v[33:36], v[37:38], off
	global_load_b128 v[37:40], v[37:38], off offset:16
	s_waitcnt vmcnt(18)
	v_wmma_f32_16x16x16_bf16 v[124:131], v[1:8], v[25:32], v[100:107]
	s_waitcnt vmcnt(16)
	v_wmma_f32_16x16x16_bf16 v[100:107], v[9:16], v[25:32], v[100:107]
	s_clause 0x1
	global_load_b128 v[25:28], v[70:71], off
	global_load_b128 v[29:32], v[70:71], off offset:16
	s_waitcnt vmcnt(16)
	v_wmma_f32_16x16x16_bf16 v[124:131], v[17:24], v[108:115], v[124:131]
	s_clause 0x1
	global_load_b128 v[17:20], v[132:133], off
	global_load_b128 v[21:24], v[132:133], off offset:16
	s_waitcnt vmcnt(16)
	v_wmma_f32_16x16x16_bf16 v[100:107], v[49:56], v[108:115], v[100:107]
	v_mad_i64_i32 v[53:54], null, s2, s5, v[68:69]
	s_clause 0x3
	global_load_b128 v[1:4], v[134:135], off
	global_load_b128 v[5:8], v[134:135], off offset:16
	global_load_b128 v[9:12], v[136:137], off
	global_load_b128 v[13:16], v[136:137], off offset:16
	s_waitcnt vmcnt(18)
	v_wmma_f32_16x16x16_bf16 v[124:131], v[57:64], v[116:123], v[124:131]
	s_clause 0x3
	global_load_b128 v[57:60], v[138:139], off
	global_load_b128 v[61:64], v[138:139], off offset:16
	global_load_b128 v[49:52], v[53:54], off
	global_load_b128 v[53:56], v[53:54], off offset:16
	s_waitcnt vmcnt(20)
	v_wmma_f32_16x16x16_bf16 v[100:107], v[76:83], v[116:123], v[100:107]
	ds_load_b128 v[76:79], v72 offset:6144
	ds_load_b128 v[80:83], v72 offset:7168
	v_mbcnt_lo_u32_b32 v69, -1, 0
	s_waitcnt vmcnt(0) lgkmcnt(0)
	s_barrier
	buffer_gl0_inv
	v_xor_b32_e32 v70, 16, v69
	s_delay_alu instid0(VALU_DEP_1) | instskip(SKIP_4) | instid1(VALU_DEP_2)
	v_cmp_gt_i32_e32 vcc_lo, 32, v70
	v_cndmask_b32_e32 v69, v69, v70, vcc_lo
	v_wmma_f32_16x16x16_bf16 v[124:131], v[84:91], v[76:83], v[124:131]
	v_and_b32_e32 v68, 0xe0, v0
	v_wmma_f32_16x16x16_bf16 v[100:107], v[92:99], v[76:83], v[100:107]
	v_dual_mul_f32 v81, s18, v129 :: v_dual_add_nc_u32 v68, s12, v68
	s_delay_alu instid0(VALU_DEP_4) | instskip(NEXT) | instid1(VALU_DEP_3)
	v_dual_mul_f32 v83, s18, v131 :: v_dual_mul_f32 v78, s18, v125
	v_mul_f32_e32 v95, s18, v103
	v_mul_f32_e32 v79, s18, v127
	s_delay_alu instid0(VALU_DEP_4) | instskip(SKIP_3) | instid1(VALU_DEP_4)
	v_or_b32_e32 v68, v68, v74
	v_dual_mul_f32 v80, s18, v126 :: v_dual_mul_f32 v97, s18, v105
	v_dual_mul_f32 v93, s18, v101 :: v_dual_mul_f32 v82, s18, v128
	v_mul_f32_e32 v99, s18, v107
	v_or_b32_e32 v70, 2, v68
	v_or_b32_e32 v71, 4, v68
	;; [unrolled: 1-line block ×3, first 2 shown]
	v_cmp_gt_i32_e64 s2, s17, v68
	v_or_b32_e32 v108, 8, v68
	v_cmp_gt_i32_e32 vcc_lo, s17, v70
	v_mul_f32_e32 v70, s18, v124
	v_or_b32_e32 v109, 10, v68
	v_cmp_gt_i32_e64 s3, s17, v71
	v_cmp_gt_i32_e64 s4, s17, v72
	v_cndmask_b32_e32 v78, 0xff7fffff, v78, vcc_lo
	v_cndmask_b32_e64 v70, 0xff7fffff, v70, s2
	v_or_b32_e32 v84, 12, v68
	v_or_b32_e32 v85, 14, v68
	v_cndmask_b32_e64 v71, 0xff7fffff, v80, s3
	v_cndmask_b32_e64 v72, 0xff7fffff, v79, s4
	v_max3_f32 v70, v70, 0xff7fffff, v78
	v_cmp_gt_i32_e64 s5, s17, v108
	v_cmp_gt_i32_e64 s6, s17, v109
	v_or_b32_e32 v86, 16, v68
	v_or_b32_e32 v87, 18, v68
	;; [unrolled: 1-line block ×3, first 2 shown]
	v_mul_f32_e32 v92, s18, v130
	v_cndmask_b32_e64 v78, 0xff7fffff, v82, s5
	v_cndmask_b32_e64 v79, 0xff7fffff, v81, s6
	v_max3_f32 v70, v70, v71, v72
	v_cmp_gt_i32_e64 s7, s17, v84
	v_cmp_gt_i32_e64 s8, s17, v85
	v_or_b32_e32 v88, 20, v68
	v_mul_f32_e32 v94, s18, v100
	v_max3_f32 v70, v70, v78, v79
	v_cmp_gt_i32_e64 s9, s17, v86
	v_cndmask_b32_e64 v72, 0xff7fffff, v83, s8
	v_cmp_gt_i32_e64 s10, s17, v87
	v_cmp_gt_i32_e64 s12, s17, v89
	v_lshlrev_b32_e32 v89, 2, v69
	v_cndmask_b32_e64 v71, 0xff7fffff, v92, s7
	v_or_b32_e32 v90, 24, v68
	v_or_b32_e32 v91, 26, v68
	v_mul_f32_e32 v96, s18, v102
	v_cndmask_b32_e64 v78, 0xff7fffff, v94, s9
	v_cndmask_b32_e64 v79, 0xff7fffff, v93, s10
	v_max3_f32 v70, v70, v71, v72
	v_cmp_gt_i32_e64 s11, s17, v88
	v_or_b32_e32 v76, 28, v68
	v_or_b32_e32 v77, 30, v68
	v_mul_f32_e32 v98, s18, v104
	v_cndmask_b32_e64 v72, 0xff7fffff, v95, s12
	v_cndmask_b32_e64 v71, 0xff7fffff, v96, s11
	v_max3_f32 v70, v70, v78, v79
	v_cmp_gt_i32_e64 s13, s17, v90
	v_cmp_gt_i32_e64 s15, s17, v91
	v_mul_f32_e32 v68, s18, v106
	v_cmp_gt_i32_e64 s16, s17, v76
	v_max3_f32 v70, v70, v71, v72
	v_cndmask_b32_e64 v78, 0xff7fffff, v98, s13
	v_cndmask_b32_e64 v79, 0xff7fffff, v97, s15
	v_cmp_gt_i32_e64 s17, s17, v77
	v_cndmask_b32_e64 v68, 0xff7fffff, v68, s16
	s_delay_alu instid0(VALU_DEP_3) | instskip(NEXT) | instid1(VALU_DEP_3)
	v_max3_f32 v70, v70, v78, v79
	v_cndmask_b32_e64 v71, 0xff7fffff, v99, s17
	s_delay_alu instid0(VALU_DEP_1) | instskip(SKIP_3) | instid1(VALU_DEP_1)
	v_max3_f32 v68, v70, v68, v71
	ds_bpermute_b32 v69, v89, v68
	s_waitcnt lgkmcnt(0)
	v_max_f32_e32 v69, v69, v69
	v_max_f32_e32 v68, v68, v69
	s_delay_alu instid0(VALU_DEP_1) | instskip(NEXT) | instid1(VALU_DEP_1)
	v_fma_f32 v71, s18, v126, -v68
	v_mul_f32_e32 v71, 0x3fb8aa3b, v71
	s_delay_alu instid0(VALU_DEP_1) | instskip(SKIP_3) | instid1(VALU_DEP_1)
	v_exp_f32_e32 v71, v71
	s_waitcnt_depctr 0xfff
	v_cndmask_b32_e64 v83, 0, v71, s3
	v_fma_f32 v71, s18, v131, -v68
	v_mul_f32_e32 v71, 0x3fb8aa3b, v71
	v_fma_f32 v69, s18, v124, -v68
	v_fma_f32 v76, s18, v128, -v68
	;; [unrolled: 1-line block ×4, first 2 shown]
	v_exp_f32_e32 v71, v71
	v_mul_f32_e32 v69, 0x3fb8aa3b, v69
	v_mul_f32_e32 v77, 0x3fb8aa3b, v76
	v_fma_f32 v81, s18, v105, -v68
	v_fma_f32 v78, s18, v130, -v68
	s_delay_alu instid0(VALU_DEP_4) | instskip(NEXT) | instid1(VALU_DEP_3)
	v_exp_f32_e32 v69, v69
	v_exp_f32_e32 v77, v77
	s_delay_alu instid0(VALU_DEP_2) | instskip(NEXT) | instid1(TRANS32_DEP_3)
	v_mul_f32_e32 v81, 0x3fb8aa3b, v81
	v_cndmask_b32_e64 v88, 0, v71, s8
	v_fma_f32 v71, s18, v104, -v68
	s_delay_alu instid0(VALU_DEP_3) | instskip(NEXT) | instid1(TRANS32_DEP_3)
	v_exp_f32_e32 v81, v81
	v_cndmask_b32_e64 v80, 0, v69, s2
	v_fma_f32 v69, s18, v129, -v68
	v_mul_f32_e32 v70, 0x3fb8aa3b, v70
	s_delay_alu instid0(TRANS32_DEP_2)
	v_cndmask_b32_e64 v86, 0, v77, s5
	v_mul_f32_e32 v72, 0x3fb8aa3b, v72
	v_fma_f32 v77, s18, v101, -v68
	v_mul_f32_e32 v69, 0x3fb8aa3b, v69
	v_exp_f32_e32 v70, v70
	v_mul_f32_e32 v71, 0x3fb8aa3b, v71
	v_exp_f32_e32 v72, v72
	;; [unrolled: 2-line block ×3, first 2 shown]
	v_cmp_gt_u32_e64 s2, 16, v67
	v_exp_f32_e32 v82, v71
	s_delay_alu instid0(VALU_DEP_2) | instskip(SKIP_4) | instid1(TRANS32_DEP_3)
	v_exp_f32_e32 v77, v77
	v_cndmask_b32_e32 v76, 0, v70, vcc_lo
	v_add_f32_e32 v70, 0, v80
	v_cndmask_b32_e64 v85, 0, v72, s4
	v_fma_f32 v72, s18, v100, -v68
	v_cndmask_b32_e64 v87, 0, v69, s6
	s_delay_alu instid0(VALU_DEP_4) | instskip(NEXT) | instid1(VALU_DEP_3)
	v_add_f32_e32 v70, v70, v76
	v_mul_f32_e32 v72, 0x3fb8aa3b, v72
	s_delay_alu instid0(VALU_DEP_2) | instskip(NEXT) | instid1(VALU_DEP_2)
	v_add_f32_e32 v70, v70, v83
	v_exp_f32_e32 v72, v72
	s_delay_alu instid0(VALU_DEP_1) | instskip(NEXT) | instid1(VALU_DEP_1)
	v_add_f32_e32 v70, v70, v85
	v_add_f32_e32 v69, v70, v86
	v_fma_f32 v70, s18, v102, -v68
	s_delay_alu instid0(VALU_DEP_2) | instskip(NEXT) | instid1(VALU_DEP_2)
	v_dual_add_f32 v69, v69, v87 :: v_dual_mul_f32 v78, 0x3fb8aa3b, v78
	v_mul_f32_e32 v70, 0x3fb8aa3b, v70
	s_delay_alu instid0(VALU_DEP_2) | instskip(NEXT) | instid1(VALU_DEP_1)
	v_exp_f32_e32 v78, v78
	v_exp_f32_e32 v79, v70
	s_delay_alu instid0(TRANS32_DEP_3) | instskip(SKIP_4) | instid1(VALU_DEP_2)
	v_cndmask_b32_e64 v70, 0, v72, s9
	s_waitcnt_depctr 0xfff
	v_cndmask_b32_e64 v84, 0, v78, s7
	v_fma_f32 v78, s18, v103, -v68
	v_cndmask_b32_e64 v71, 0, v79, s11
	v_dual_add_f32 v69, v69, v84 :: v_dual_mul_f32 v78, 0x3fb8aa3b, v78
	s_delay_alu instid0(VALU_DEP_1) | instskip(NEXT) | instid1(VALU_DEP_2)
	v_add_f32_e32 v72, v69, v88
	v_exp_f32_e32 v78, v78
	v_cndmask_b32_e64 v69, 0, v77, s10
	v_fma_f32 v77, s18, v106, -v68
	s_delay_alu instid0(VALU_DEP_1) | instskip(NEXT) | instid1(VALU_DEP_1)
	v_dual_add_f32 v72, v72, v70 :: v_dual_mul_f32 v77, 0x3fb8aa3b, v77
	v_add_f32_e32 v79, v72, v69
	s_waitcnt_depctr 0xfff
	v_cndmask_b32_e64 v72, 0, v78, s12
	v_exp_f32_e32 v90, v77
	v_cndmask_b32_e64 v77, 0, v82, s13
	v_add_f32_e32 v78, v79, v71
	v_fma_f32 v79, s18, v107, -v68
	s_delay_alu instid0(VALU_DEP_1) | instskip(SKIP_1) | instid1(VALU_DEP_2)
	v_dual_add_f32 v82, v78, v72 :: v_dual_mul_f32 v79, 0x3fb8aa3b, v79
	v_cndmask_b32_e64 v78, 0, v81, s15
	v_add_f32_e32 v81, v82, v77
	s_delay_alu instid0(VALU_DEP_3) | instskip(NEXT) | instid1(TRANS32_DEP_2)
	v_exp_f32_e32 v82, v79
	v_cndmask_b32_e64 v79, 0, v90, s16
	s_delay_alu instid0(VALU_DEP_2) | instskip(NEXT) | instid1(VALU_DEP_1)
	v_add_f32_e32 v81, v81, v78
	v_add_f32_e32 v90, v81, v79
	s_waitcnt_depctr 0xfff
	v_cndmask_b32_e64 v81, 0, v82, s17
	s_delay_alu instid0(VALU_DEP_1)
	v_add_f32_e32 v82, v90, v81
	ds_bpermute_b32 v89, v89, v82
	s_and_saveexec_b32 s3, s2
	s_cbranch_execz .LBB1604_12
; %bb.11:
	v_mul_u32_u24_e32 v67, 0x44, v66
	s_delay_alu instid0(VALU_DEP_1) | instskip(SKIP_1) | instid1(VALU_DEP_1)
	v_lshl_add_u32 v67, v65, 2, v67
	s_waitcnt lgkmcnt(0)
	v_dual_add_f32 v82, v82, v89 :: v_dual_add_nc_u32 v67, 0x4000, v67
	ds_store_2addr_b32 v67, v68, v82 offset1:136
.LBB1604_12:
	s_or_b32 exec_lo, exec_lo, s3
	v_lshlrev_b32_e32 v67, 2, v65
	s_waitcnt lgkmcnt(0)
	s_barrier
	buffer_gl0_inv
	v_cmp_eq_u32_e32 vcc_lo, 1, v66
	v_add_nc_u32_e32 v82, 0x4000, v67
	v_cmp_eq_u32_e64 s3, 2, v66
	v_cmp_eq_u32_e64 s5, 7, v66
	ds_load_2addr_b32 v[89:90], v82 offset1:17
	ds_load_2addr_b32 v[91:92], v82 offset0:34 offset1:51
	ds_load_2addr_b32 v[93:94], v82 offset0:68 offset1:85
	;; [unrolled: 1-line block ×4, first 2 shown]
	s_waitcnt lgkmcnt(4)
	v_max3_f32 v67, v89, 0xff7fffff, v90
	s_waitcnt lgkmcnt(3)
	s_delay_alu instid0(VALU_DEP_1) | instskip(SKIP_1) | instid1(VALU_DEP_1)
	v_max3_f32 v67, v67, v91, v92
	s_waitcnt lgkmcnt(2)
	v_max3_f32 v67, v67, v93, v94
	s_waitcnt lgkmcnt(1)
	s_delay_alu instid0(VALU_DEP_1) | instskip(NEXT) | instid1(VALU_DEP_1)
	v_max3_f32 v67, v67, v95, v96
	v_sub_f32_e32 v93, v93, v67
	s_delay_alu instid0(VALU_DEP_1) | instskip(NEXT) | instid1(VALU_DEP_1)
	v_dual_sub_f32 v68, v89, v67 :: v_dual_mul_f32 v103, 0x3fb8aa3b, v93
	v_mul_f32_e32 v68, 0x3fb8aa3b, v68
	s_delay_alu instid0(VALU_DEP_1)
	v_exp_f32_e32 v100, v68
	v_sub_f32_e32 v68, v92, v67
	v_sub_f32_e32 v99, v90, v67
	ds_load_2addr_b32 v[89:90], v82 offset0:170 offset1:187
	v_dual_mul_f32 v102, 0x3fb8aa3b, v68 :: v_dual_mul_f32 v99, 0x3fb8aa3b, v99
	s_waitcnt lgkmcnt(1)
	v_fma_f32 v68, v100, v97, 0
	s_delay_alu instid0(VALU_DEP_2) | instskip(NEXT) | instid1(VALU_DEP_2)
	v_exp_f32_e32 v102, v102
	v_exp_f32_e32 v99, v99
	s_waitcnt_depctr 0xfff
	v_fmac_f32_e32 v68, v99, v98
	v_sub_f32_e32 v91, v91, v67
	s_delay_alu instid0(VALU_DEP_1)
	v_mul_f32_e32 v101, 0x3fb8aa3b, v91
	ds_load_2addr_b32 v[91:92], v82 offset0:204 offset1:221
	v_sub_f32_e32 v97, v94, v67
	ds_load_2addr_b32 v[93:94], v82 offset0:238 offset1:255
	s_waitcnt lgkmcnt(0)
	v_exp_f32_e32 v101, v101
	s_barrier
	buffer_gl0_inv
	v_dual_fmac_f32 v68, v101, v89 :: v_dual_sub_f32 v89, v96, v67
	v_dual_sub_f32 v82, v95, v67 :: v_dual_mul_f32 v95, 0x3fb8aa3b, v97
	v_exp_f32_e32 v97, v103
	s_delay_alu instid0(VALU_DEP_2) | instskip(NEXT) | instid1(VALU_DEP_2)
	v_dual_fmac_f32 v68, v102, v90 :: v_dual_mul_f32 v89, 0x3fb8aa3b, v89
	v_mul_f32_e32 v82, 0x3fb8aa3b, v82
	s_delay_alu instid0(VALU_DEP_3) | instskip(NEXT) | instid1(VALU_DEP_2)
	v_exp_f32_e32 v95, v95
	v_exp_f32_e32 v89, v89
	s_delay_alu instid0(VALU_DEP_1)
	v_exp_f32_e32 v82, v82
	v_fmac_f32_e32 v68, v97, v91
	s_delay_alu instid0(TRANS32_DEP_3) | instid1(VALU_DEP_1)
	v_fmac_f32_e32 v68, v95, v92
	s_waitcnt_depctr 0xfff
	v_fmac_f32_e32 v68, v82, v93
	s_delay_alu instid0(VALU_DEP_1) | instskip(NEXT) | instid1(VALU_DEP_1)
	v_fmac_f32_e32 v68, v89, v94
	v_add_f32_e32 v90, 0x358637bd, v68
	s_delay_alu instid0(VALU_DEP_1) | instskip(NEXT) | instid1(VALU_DEP_1)
	v_div_scale_f32 v91, null, v90, v90, 1.0
	v_rcp_f32_e32 v92, v91
	s_waitcnt_depctr 0xfff
	v_fma_f32 v93, -v91, v92, 1.0
	s_delay_alu instid0(VALU_DEP_1) | instskip(SKIP_1) | instid1(VALU_DEP_2)
	v_dual_fmac_f32 v92, v93, v92 :: v_dual_cndmask_b32 v93, v100, v99
	v_cmp_eq_u32_e32 vcc_lo, 3, v66
	v_cndmask_b32_e64 v93, v93, v101, s3
	v_cmp_eq_u32_e64 s3, 4, v66
	s_delay_alu instid0(VALU_DEP_2) | instskip(SKIP_1) | instid1(VALU_DEP_2)
	v_cndmask_b32_e32 v93, v93, v102, vcc_lo
	v_cmp_eq_u32_e32 vcc_lo, 5, v66
	v_cndmask_b32_e64 v93, v93, v97, s3
	v_cmp_eq_u32_e64 s3, 6, v66
	s_delay_alu instid0(VALU_DEP_2) | instskip(SKIP_1) | instid1(VALU_DEP_1)
	v_cndmask_b32_e32 v93, v93, v95, vcc_lo
	v_div_scale_f32 v94, s4, 1.0, v90, 1.0
	s_mov_b32 vcc_lo, s4
	s_delay_alu instid0(VALU_DEP_2) | instskip(NEXT) | instid1(VALU_DEP_2)
	v_cndmask_b32_e64 v82, v93, v82, s3
	v_mul_f32_e32 v96, v94, v92
	s_mov_b32 s3, exec_lo
	s_delay_alu instid0(VALU_DEP_2) | instskip(NEXT) | instid1(VALU_DEP_2)
	v_cndmask_b32_e64 v82, v82, v89, s5
	v_fma_f32 v98, -v91, v96, v94
	s_delay_alu instid0(VALU_DEP_1) | instskip(NEXT) | instid1(VALU_DEP_1)
	v_fmac_f32_e32 v96, v98, v92
	v_fma_f32 v91, -v91, v96, v94
	s_delay_alu instid0(VALU_DEP_1) | instskip(NEXT) | instid1(VALU_DEP_1)
	v_div_fmas_f32 v91, v91, v92, v96
	v_div_fixup_f32 v90, v91, v90, 1.0
	s_delay_alu instid0(VALU_DEP_1) | instskip(NEXT) | instid1(VALU_DEP_1)
	v_mul_f32_e32 v82, v82, v90
	v_mul_f32_e32 v87, v82, v87
	;; [unrolled: 1-line block ×7, first 2 shown]
	v_dual_mul_f32 v86, v82, v83 :: v_dual_and_b32 v91, 0x7f800000, v90
	v_mul_f32_e32 v85, v82, v76
                                        ; implicit-def: $vgpr76
	s_delay_alu instid0(VALU_DEP_2)
	v_cmpx_ne_u32_e32 0x7f800000, v91
	s_xor_b32 s3, exec_lo, s3
; %bb.13:
	v_bfe_u32 v76, v90, 16, 1
	s_delay_alu instid0(VALU_DEP_1)
	v_add3_u32 v76, v90, v76, 0x7fff
                                        ; implicit-def: $vgpr90
; %bb.14:
	s_and_not1_saveexec_b32 s3, s3
; %bb.15:
	v_and_b32_e32 v76, 0xffff, v90
	v_or_b32_e32 v83, 0x10000, v90
	s_delay_alu instid0(VALU_DEP_2) | instskip(NEXT) | instid1(VALU_DEP_2)
	v_cmp_eq_u32_e32 vcc_lo, 0, v76
	v_cndmask_b32_e32 v76, v83, v90, vcc_lo
; %bb.16:
	s_or_b32 exec_lo, exec_lo, s3
	v_and_b32_e32 v83, 0x7f800000, v85
	s_delay_alu instid0(VALU_DEP_1) | instskip(SKIP_1) | instid1(SALU_CYCLE_1)
	v_cmp_ne_u32_e32 vcc_lo, 0x7f800000, v83
                                        ; implicit-def: $vgpr83
	s_and_saveexec_b32 s3, vcc_lo
	s_xor_b32 s3, exec_lo, s3
; %bb.17:
	v_bfe_u32 v83, v85, 16, 1
	s_delay_alu instid0(VALU_DEP_1)
	v_add3_u32 v83, v85, v83, 0x7fff
                                        ; implicit-def: $vgpr85
; %bb.18:
	s_and_not1_saveexec_b32 s3, s3
; %bb.19:
	v_and_b32_e32 v83, 0xffff, v85
	v_or_b32_e32 v90, 0x10000, v85
	s_delay_alu instid0(VALU_DEP_2) | instskip(NEXT) | instid1(VALU_DEP_2)
	v_cmp_eq_u32_e32 vcc_lo, 0, v83
	v_cndmask_b32_e32 v83, v90, v85, vcc_lo
; %bb.20:
	s_or_b32 exec_lo, exec_lo, s3
	v_and_b32_e32 v85, 0x7f800000, v86
	s_delay_alu instid0(VALU_DEP_1) | instskip(SKIP_1) | instid1(SALU_CYCLE_1)
	v_cmp_ne_u32_e32 vcc_lo, 0x7f800000, v85
                                        ; implicit-def: $vgpr85
	s_and_saveexec_b32 s3, vcc_lo
	s_xor_b32 s3, exec_lo, s3
; %bb.21:
	v_bfe_u32 v85, v86, 16, 1
	s_delay_alu instid0(VALU_DEP_1)
	v_add3_u32 v85, v86, v85, 0x7fff
                                        ; implicit-def: $vgpr86
; %bb.22:
	s_and_not1_saveexec_b32 s3, s3
; %bb.23:
	v_and_b32_e32 v85, 0xffff, v86
	v_or_b32_e32 v90, 0x10000, v86
	s_delay_alu instid0(VALU_DEP_2) | instskip(NEXT) | instid1(VALU_DEP_2)
	v_cmp_eq_u32_e32 vcc_lo, 0, v85
	v_cndmask_b32_e32 v85, v90, v86, vcc_lo
; %bb.24:
	s_or_b32 exec_lo, exec_lo, s3
	v_and_b32_e32 v86, 0x7f800000, v89
	s_delay_alu instid0(VALU_DEP_1) | instskip(SKIP_1) | instid1(SALU_CYCLE_1)
	v_cmp_ne_u32_e32 vcc_lo, 0x7f800000, v86
                                        ; implicit-def: $vgpr86
	s_and_saveexec_b32 s3, vcc_lo
	s_xor_b32 s3, exec_lo, s3
; %bb.25:
	v_bfe_u32 v86, v89, 16, 1
	s_delay_alu instid0(VALU_DEP_1)
	v_add3_u32 v86, v89, v86, 0x7fff
                                        ; implicit-def: $vgpr89
; %bb.26:
	s_and_not1_saveexec_b32 s3, s3
; %bb.27:
	v_and_b32_e32 v86, 0xffff, v89
	v_or_b32_e32 v90, 0x10000, v89
	s_delay_alu instid0(VALU_DEP_2) | instskip(NEXT) | instid1(VALU_DEP_2)
	v_cmp_eq_u32_e32 vcc_lo, 0, v86
	v_cndmask_b32_e32 v86, v90, v89, vcc_lo
; %bb.28:
	s_or_b32 exec_lo, exec_lo, s3
	v_and_b32_e32 v89, 0x7f800000, v88
	s_delay_alu instid0(VALU_DEP_1) | instskip(SKIP_1) | instid1(SALU_CYCLE_1)
	v_cmp_ne_u32_e32 vcc_lo, 0x7f800000, v89
                                        ; implicit-def: $vgpr89
	s_and_saveexec_b32 s3, vcc_lo
	s_xor_b32 s3, exec_lo, s3
; %bb.29:
	v_bfe_u32 v89, v88, 16, 1
	s_delay_alu instid0(VALU_DEP_1)
	v_add3_u32 v89, v88, v89, 0x7fff
                                        ; implicit-def: $vgpr88
; %bb.30:
	s_and_not1_saveexec_b32 s3, s3
; %bb.31:
	v_and_b32_e32 v89, 0xffff, v88
	v_or_b32_e32 v90, 0x10000, v88
	s_delay_alu instid0(VALU_DEP_2) | instskip(NEXT) | instid1(VALU_DEP_2)
	v_cmp_eq_u32_e32 vcc_lo, 0, v89
	v_cndmask_b32_e32 v89, v90, v88, vcc_lo
; %bb.32:
	s_or_b32 exec_lo, exec_lo, s3
	v_and_b32_e32 v88, 0x7f800000, v87
	s_delay_alu instid0(VALU_DEP_1) | instskip(SKIP_1) | instid1(SALU_CYCLE_1)
	v_cmp_ne_u32_e32 vcc_lo, 0x7f800000, v88
                                        ; implicit-def: $vgpr88
	s_and_saveexec_b32 s3, vcc_lo
	s_xor_b32 s3, exec_lo, s3
; %bb.33:
	v_bfe_u32 v88, v87, 16, 1
	s_delay_alu instid0(VALU_DEP_1)
	v_add3_u32 v88, v87, v88, 0x7fff
                                        ; implicit-def: $vgpr87
; %bb.34:
	s_and_not1_saveexec_b32 s3, s3
; %bb.35:
	v_and_b32_e32 v88, 0xffff, v87
	v_or_b32_e32 v90, 0x10000, v87
	s_delay_alu instid0(VALU_DEP_2) | instskip(NEXT) | instid1(VALU_DEP_2)
	v_cmp_eq_u32_e32 vcc_lo, 0, v88
	v_cndmask_b32_e32 v88, v90, v87, vcc_lo
; %bb.36:
	s_or_b32 exec_lo, exec_lo, s3
	v_and_b32_e32 v87, 0x7f800000, v84
	s_delay_alu instid0(VALU_DEP_1) | instskip(SKIP_1) | instid1(SALU_CYCLE_1)
	v_cmp_ne_u32_e32 vcc_lo, 0x7f800000, v87
                                        ; implicit-def: $vgpr87
	s_and_saveexec_b32 s3, vcc_lo
	s_xor_b32 s3, exec_lo, s3
; %bb.37:
	v_bfe_u32 v87, v84, 16, 1
	s_delay_alu instid0(VALU_DEP_1)
	v_add3_u32 v87, v84, v87, 0x7fff
                                        ; implicit-def: $vgpr84
; %bb.38:
	s_and_not1_saveexec_b32 s3, s3
; %bb.39:
	v_and_b32_e32 v87, 0xffff, v84
	v_or_b32_e32 v90, 0x10000, v84
	s_delay_alu instid0(VALU_DEP_2) | instskip(NEXT) | instid1(VALU_DEP_2)
	v_cmp_eq_u32_e32 vcc_lo, 0, v87
	v_cndmask_b32_e32 v87, v90, v84, vcc_lo
; %bb.40:
	s_or_b32 exec_lo, exec_lo, s3
	v_and_b32_e32 v84, 0x7f800000, v80
	s_delay_alu instid0(VALU_DEP_1) | instskip(SKIP_1) | instid1(SALU_CYCLE_1)
	v_cmp_ne_u32_e32 vcc_lo, 0x7f800000, v84
                                        ; implicit-def: $vgpr84
	s_and_saveexec_b32 s3, vcc_lo
	s_xor_b32 s3, exec_lo, s3
; %bb.41:
	v_bfe_u32 v84, v80, 16, 1
	s_delay_alu instid0(VALU_DEP_1)
	v_add3_u32 v84, v80, v84, 0x7fff
                                        ; implicit-def: $vgpr80
; %bb.42:
	s_and_not1_saveexec_b32 s3, s3
; %bb.43:
	v_and_b32_e32 v84, 0xffff, v80
	v_or_b32_e32 v90, 0x10000, v80
	s_delay_alu instid0(VALU_DEP_2) | instskip(NEXT) | instid1(VALU_DEP_2)
	v_cmp_eq_u32_e32 vcc_lo, 0, v84
	v_cndmask_b32_e32 v84, v90, v80, vcc_lo
; %bb.44:
	s_or_b32 exec_lo, exec_lo, s3
	s_load_b64 s[34:35], s[0:1], 0x94
	v_lshlrev_b32_e32 v91, 4, v74
	s_delay_alu instid0(VALU_DEP_2)
	v_perm_b32 v90, v84, v87, 0x7060302
	v_dual_mul_f32 v79, v82, v79 :: v_dual_lshlrev_b32 v80, 6, v65
	v_dual_mul_f32 v77, v82, v77 :: v_dual_lshlrev_b32 v92, 11, v66
	v_mul_f32_e32 v84, v82, v70
	v_perm_b32 v89, v88, v89, 0x7060302
	v_perm_b32 v88, v86, v85, 0x7060302
	;; [unrolled: 1-line block ×3, first 2 shown]
	v_mul_f32_e32 v70, v82, v81
	v_or3_b32 v76, v91, v92, v80
	v_dual_mul_f32 v78, v82, v78 :: v_dual_and_b32 v85, 0x7f800000, v84
	v_mul_f32_e32 v83, v82, v72
	v_mul_f32_e32 v81, v82, v71
	;; [unrolled: 1-line block ×3, first 2 shown]
	s_mov_b32 s3, exec_lo
	ds_store_b128 v76, v[87:90]
                                        ; implicit-def: $vgpr69
	v_cmpx_ne_u32_e32 0x7f800000, v85
	s_xor_b32 s3, exec_lo, s3
; %bb.45:
	v_bfe_u32 v69, v84, 16, 1
	s_delay_alu instid0(VALU_DEP_1)
	v_add3_u32 v69, v84, v69, 0x7fff
                                        ; implicit-def: $vgpr84
; %bb.46:
	s_and_not1_saveexec_b32 s3, s3
; %bb.47:
	v_and_b32_e32 v69, 0xffff, v84
	v_or_b32_e32 v71, 0x10000, v84
	s_delay_alu instid0(VALU_DEP_2) | instskip(NEXT) | instid1(VALU_DEP_2)
	v_cmp_eq_u32_e32 vcc_lo, 0, v69
	v_cndmask_b32_e32 v69, v71, v84, vcc_lo
; %bb.48:
	s_or_b32 exec_lo, exec_lo, s3
	v_and_b32_e32 v71, 0x7f800000, v72
	s_delay_alu instid0(VALU_DEP_1) | instskip(SKIP_1) | instid1(SALU_CYCLE_1)
	v_cmp_ne_u32_e32 vcc_lo, 0x7f800000, v71
                                        ; implicit-def: $vgpr71
	s_and_saveexec_b32 s3, vcc_lo
	s_xor_b32 s3, exec_lo, s3
; %bb.49:
	v_bfe_u32 v71, v72, 16, 1
	s_delay_alu instid0(VALU_DEP_1)
	v_add3_u32 v71, v72, v71, 0x7fff
                                        ; implicit-def: $vgpr72
; %bb.50:
	s_and_not1_saveexec_b32 s3, s3
; %bb.51:
	v_and_b32_e32 v71, 0xffff, v72
	v_or_b32_e32 v82, 0x10000, v72
	s_delay_alu instid0(VALU_DEP_2) | instskip(NEXT) | instid1(VALU_DEP_2)
	v_cmp_eq_u32_e32 vcc_lo, 0, v71
	v_cndmask_b32_e32 v71, v82, v72, vcc_lo
; %bb.52:
	s_or_b32 exec_lo, exec_lo, s3
	v_and_b32_e32 v72, 0x7f800000, v81
	s_delay_alu instid0(VALU_DEP_1) | instskip(SKIP_1) | instid1(SALU_CYCLE_1)
	v_cmp_ne_u32_e32 vcc_lo, 0x7f800000, v72
                                        ; implicit-def: $vgpr72
	s_and_saveexec_b32 s3, vcc_lo
	s_xor_b32 s3, exec_lo, s3
; %bb.53:
	v_bfe_u32 v72, v81, 16, 1
	s_delay_alu instid0(VALU_DEP_1)
	v_add3_u32 v72, v81, v72, 0x7fff
                                        ; implicit-def: $vgpr81
; %bb.54:
	s_and_not1_saveexec_b32 s3, s3
; %bb.55:
	v_and_b32_e32 v72, 0xffff, v81
	v_or_b32_e32 v82, 0x10000, v81
	s_delay_alu instid0(VALU_DEP_2) | instskip(NEXT) | instid1(VALU_DEP_2)
	v_cmp_eq_u32_e32 vcc_lo, 0, v72
	v_cndmask_b32_e32 v72, v82, v81, vcc_lo
; %bb.56:
	s_or_b32 exec_lo, exec_lo, s3
	v_and_b32_e32 v81, 0x7f800000, v83
	s_delay_alu instid0(VALU_DEP_1) | instskip(SKIP_1) | instid1(SALU_CYCLE_1)
	v_cmp_ne_u32_e32 vcc_lo, 0x7f800000, v81
                                        ; implicit-def: $vgpr81
	s_and_saveexec_b32 s3, vcc_lo
	s_xor_b32 s3, exec_lo, s3
; %bb.57:
	v_bfe_u32 v81, v83, 16, 1
	s_delay_alu instid0(VALU_DEP_1)
	v_add3_u32 v81, v83, v81, 0x7fff
                                        ; implicit-def: $vgpr83
; %bb.58:
	s_and_not1_saveexec_b32 s3, s3
; %bb.59:
	v_and_b32_e32 v81, 0xffff, v83
	v_or_b32_e32 v82, 0x10000, v83
	s_delay_alu instid0(VALU_DEP_2) | instskip(NEXT) | instid1(VALU_DEP_2)
	v_cmp_eq_u32_e32 vcc_lo, 0, v81
	v_cndmask_b32_e32 v81, v82, v83, vcc_lo
; %bb.60:
	s_or_b32 exec_lo, exec_lo, s3
	v_and_b32_e32 v82, 0x7f800000, v77
	s_delay_alu instid0(VALU_DEP_1) | instskip(SKIP_1) | instid1(SALU_CYCLE_1)
	v_cmp_ne_u32_e32 vcc_lo, 0x7f800000, v82
                                        ; implicit-def: $vgpr82
	s_and_saveexec_b32 s3, vcc_lo
	s_xor_b32 s3, exec_lo, s3
; %bb.61:
	v_bfe_u32 v82, v77, 16, 1
	s_delay_alu instid0(VALU_DEP_1)
	v_add3_u32 v82, v77, v82, 0x7fff
                                        ; implicit-def: $vgpr77
; %bb.62:
	s_and_not1_saveexec_b32 s3, s3
; %bb.63:
	v_and_b32_e32 v82, 0xffff, v77
	v_or_b32_e32 v83, 0x10000, v77
	s_delay_alu instid0(VALU_DEP_2) | instskip(NEXT) | instid1(VALU_DEP_2)
	v_cmp_eq_u32_e32 vcc_lo, 0, v82
	v_cndmask_b32_e32 v82, v83, v77, vcc_lo
; %bb.64:
	s_or_b32 exec_lo, exec_lo, s3
	v_and_b32_e32 v77, 0x7f800000, v78
	s_delay_alu instid0(VALU_DEP_1) | instskip(SKIP_1) | instid1(SALU_CYCLE_1)
	v_cmp_ne_u32_e32 vcc_lo, 0x7f800000, v77
                                        ; implicit-def: $vgpr77
	s_and_saveexec_b32 s3, vcc_lo
	s_xor_b32 s3, exec_lo, s3
; %bb.65:
	v_bfe_u32 v77, v78, 16, 1
	s_delay_alu instid0(VALU_DEP_1)
	v_add3_u32 v77, v78, v77, 0x7fff
                                        ; implicit-def: $vgpr78
; %bb.66:
	s_and_not1_saveexec_b32 s3, s3
; %bb.67:
	v_and_b32_e32 v77, 0xffff, v78
	v_or_b32_e32 v83, 0x10000, v78
	s_delay_alu instid0(VALU_DEP_2) | instskip(NEXT) | instid1(VALU_DEP_2)
	v_cmp_eq_u32_e32 vcc_lo, 0, v77
	v_cndmask_b32_e32 v77, v83, v78, vcc_lo
; %bb.68:
	s_or_b32 exec_lo, exec_lo, s3
	v_and_b32_e32 v78, 0x7f800000, v79
	s_delay_alu instid0(VALU_DEP_1) | instskip(SKIP_1) | instid1(SALU_CYCLE_1)
	v_cmp_ne_u32_e32 vcc_lo, 0x7f800000, v78
                                        ; implicit-def: $vgpr78
	s_and_saveexec_b32 s3, vcc_lo
	s_xor_b32 s3, exec_lo, s3
; %bb.69:
	v_bfe_u32 v78, v79, 16, 1
	s_delay_alu instid0(VALU_DEP_1)
	v_add3_u32 v78, v79, v78, 0x7fff
                                        ; implicit-def: $vgpr79
; %bb.70:
	s_and_not1_saveexec_b32 s3, s3
; %bb.71:
	v_and_b32_e32 v78, 0xffff, v79
	v_or_b32_e32 v83, 0x10000, v79
	s_delay_alu instid0(VALU_DEP_2) | instskip(NEXT) | instid1(VALU_DEP_2)
	v_cmp_eq_u32_e32 vcc_lo, 0, v78
	v_cndmask_b32_e32 v78, v83, v79, vcc_lo
; %bb.72:
	s_or_b32 exec_lo, exec_lo, s3
	v_and_b32_e32 v79, 0x7f800000, v70
	s_delay_alu instid0(VALU_DEP_1) | instskip(SKIP_1) | instid1(SALU_CYCLE_1)
	v_cmp_ne_u32_e32 vcc_lo, 0x7f800000, v79
                                        ; implicit-def: $vgpr79
	s_and_saveexec_b32 s3, vcc_lo
	s_xor_b32 s3, exec_lo, s3
; %bb.73:
	v_bfe_u32 v79, v70, 16, 1
	s_delay_alu instid0(VALU_DEP_1)
	v_add3_u32 v79, v70, v79, 0x7fff
                                        ; implicit-def: $vgpr70
; %bb.74:
	s_and_not1_saveexec_b32 s3, s3
; %bb.75:
	v_and_b32_e32 v79, 0xffff, v70
	v_or_b32_e32 v83, 0x10000, v70
	s_delay_alu instid0(VALU_DEP_2) | instskip(NEXT) | instid1(VALU_DEP_2)
	v_cmp_eq_u32_e32 vcc_lo, 0, v79
	v_cndmask_b32_e32 v79, v83, v70, vcc_lo
; %bb.76:
	s_or_b32 exec_lo, exec_lo, s3
	s_delay_alu instid0(VALU_DEP_1)
	v_perm_b32 v86, v79, v78, 0x7060302
	v_perm_b32 v85, v77, v82, 0x7060302
	;; [unrolled: 1-line block ×4, first 2 shown]
	v_lshl_or_b32 v82, v66, 11, v80
	ds_store_b128 v76, v[83:86] offset:1024
	s_waitcnt lgkmcnt(0)
	s_barrier
	buffer_gl0_inv
	ds_load_b128 v[69:72], v82
	ds_load_b128 v[83:86], v82 offset:16
	s_waitcnt lgkmcnt(1)
	v_lshrrev_b32_e32 v66, 16, v69
	s_waitcnt lgkmcnt(0)
	v_lshrrev_b32_e32 v91, 16, v83
	v_lshlrev_b32_e32 v78, 2, v74
	v_lshrrev_b32_e32 v95, 16, v70
	v_lshrrev_b32_e32 v98, 16, v84
	;; [unrolled: 1-line block ×4, first 2 shown]
	v_cmp_eq_u32_e32 vcc_lo, 1, v78
	v_lshrrev_b32_e32 v97, 16, v72
	v_lshrrev_b32_e32 v100, 16, v86
	v_cndmask_b32_e32 v87, v83, v91, vcc_lo
	v_or_b32_e32 v79, 1, v78
	v_cndmask_b32_e32 v81, v69, v66, vcc_lo
	v_cmp_eq_u32_e64 s4, 2, v78
	v_cmp_eq_u32_e64 s7, 3, v78
	;; [unrolled: 1-line block ×5, first 2 shown]
	v_cndmask_b32_e64 v81, v81, v70, s4
	v_cndmask_b32_e64 v87, v87, v84, s4
	v_cmp_eq_u32_e64 s8, 3, v79
	v_cndmask_b32_e64 v88, v69, v66, s3
	v_or_b32_e32 v77, 2, v78
	v_cndmask_b32_e64 v81, v81, v95, s7
	v_cndmask_b32_e64 v87, v87, v98, s7
	;; [unrolled: 1-line block ×4, first 2 shown]
	v_cmp_eq_u32_e64 s10, 5, v78
	v_cndmask_b32_e64 v81, v81, v71, s9
	v_cndmask_b32_e64 v87, v87, v85, s9
	v_cmp_eq_u32_e64 s11, 4, v79
	v_cndmask_b32_e64 v88, v88, v95, s8
	v_cmp_eq_u32_e64 s5, 1, v77
	v_cndmask_b32_e64 v89, v89, v84, s6
	v_cndmask_b32_e64 v81, v81, v96, s10
	v_cmp_eq_u32_e64 s12, 6, v78
	v_cndmask_b32_e64 v88, v88, v71, s11
	;; [unrolled: 3-line block ×3, first 2 shown]
	v_cndmask_b32_e64 v89, v89, v98, s8
	v_cndmask_b32_e64 v81, v81, v72, s12
	v_cmp_eq_u32_e64 s15, 7, v78
	v_cndmask_b32_e64 v88, v88, v96, s13
	v_cndmask_b32_e64 v87, v87, v86, s12
	v_cmp_eq_u32_e64 s16, 6, v79
	v_cmp_eq_u32_e64 s17, 2, v77
	v_cndmask_b32_e64 v89, v89, v85, s11
	v_cndmask_b32_e64 v101, v81, v97, s15
	;; [unrolled: 1-line block ×6, first 2 shown]
	v_cmp_eq_u32_e64 s18, 7, v79
	v_cmp_eq_u32_e64 s19, 3, v77
	v_cmp_eq_u32_e64 s20, 4, v77
	v_cmp_eq_u32_e64 s22, 5, v77
	v_cndmask_b32_e64 v87, v87, v84, s17
	v_cndmask_b32_e64 v103, v88, v97, s18
	;; [unrolled: 1-line block ×4, first 2 shown]
	v_or_b32_e32 v81, 3, v78
	v_cndmask_b32_e64 v93, v87, v98, s19
	v_cmp_eq_u32_e64 s24, 6, v77
	v_cndmask_b32_e64 v104, v88, v86, s16
	v_cndmask_b32_e64 v92, v89, v71, s20
	v_cmp_eq_u32_e64 s21, 1, v81
	ds_load_b128 v[87:90], v82 offset:1024
	v_cmp_eq_u32_e64 s23, 2, v81
	v_cmp_eq_u32_e64 s25, 3, v81
	v_cndmask_b32_e64 v105, v92, v96, s22
	v_cndmask_b32_e64 v66, v69, v66, s21
	;; [unrolled: 1-line block ×4, first 2 shown]
	ds_load_b128 v[91:94], v82 offset:1040
	v_cmp_eq_u32_e64 s26, 4, v81
	v_cndmask_b32_e64 v66, v66, v70, s23
	v_cmp_eq_u32_e64 s27, 7, v77
	v_cndmask_b32_e64 v70, v83, v84, s23
	v_cndmask_b32_e64 v84, v105, v72, s24
	v_cmp_eq_u32_e64 s28, 5, v81
	v_cndmask_b32_e64 v66, v66, v95, s25
	v_cmp_eq_u32_e64 s29, 6, v81
	v_cndmask_b32_e64 v70, v70, v98, s25
	v_cndmask_b32_e64 v69, v69, v99, s22
	;; [unrolled: 1-line block ×4, first 2 shown]
	s_waitcnt lgkmcnt(1)
	v_lshrrev_b32_e32 v95, 16, v87
	v_cndmask_b32_e64 v70, v70, v85, s26
	v_cndmask_b32_e64 v71, v84, v97, s27
	;; [unrolled: 1-line block ×4, first 2 shown]
	v_cndmask_b32_e32 v84, v87, v95, vcc_lo
	v_cndmask_b32_e64 v70, v70, v99, s28
	s_waitcnt lgkmcnt(0)
	v_lshrrev_b32_e32 v85, 16, v91
	v_lshrrev_b32_e32 v96, 16, v88
	v_cndmask_b32_e64 v98, v87, v95, s3
	v_cndmask_b32_e64 v84, v84, v88, s4
	;; [unrolled: 1-line block ×3, first 2 shown]
	v_cndmask_b32_e32 v99, v91, v85, vcc_lo
	v_cmp_eq_u32_e32 vcc_lo, 7, v81
	v_cndmask_b32_e64 v66, v66, v72, s29
	v_cndmask_b32_e64 v72, v84, v96, s7
	;; [unrolled: 1-line block ×3, first 2 shown]
	v_lshrrev_b32_e32 v98, 16, v92
	v_cndmask_b32_e32 v70, v70, v100, vcc_lo
	v_cndmask_b32_e64 v86, v99, v92, s4
	v_cndmask_b32_e64 v69, v69, v100, s27
	v_lshrrev_b32_e32 v100, 16, v93
	v_cndmask_b32_e64 v72, v72, v89, s9
	v_lshrrev_b32_e32 v99, 16, v89
	v_cndmask_b32_e64 v86, v86, v98, s7
	v_perm_b32 v71, v69, v71, 0x5040100
	v_cndmask_b32_e64 v84, v84, v96, s8
	s_delay_alu instid0(VALU_DEP_3) | instskip(NEXT) | instid1(VALU_DEP_2)
	v_cndmask_b32_e64 v86, v86, v93, s9
	v_cndmask_b32_e64 v84, v84, v89, s11
	s_delay_alu instid0(VALU_DEP_2) | instskip(NEXT) | instid1(VALU_DEP_1)
	v_cndmask_b32_e64 v86, v86, v100, s10
	v_cndmask_b32_e64 v69, v86, v94, s12
	;; [unrolled: 1-line block ×5, first 2 shown]
	s_delay_alu instid0(VALU_DEP_3) | instskip(NEXT) | instid1(VALU_DEP_3)
	v_cndmask_b32_e64 v86, v86, v88, s17
	v_cndmask_b32_e64 v87, v87, v88, s23
	s_delay_alu instid0(VALU_DEP_3) | instskip(NEXT) | instid1(VALU_DEP_3)
	v_cndmask_b32_e64 v88, v95, v92, s23
	v_cndmask_b32_e64 v86, v86, v96, s19
	;; [unrolled: 3-line block ×7, first 2 shown]
	s_delay_alu instid0(VALU_DEP_3) | instskip(SKIP_2) | instid1(VALU_DEP_2)
	v_cndmask_b32_e64 v88, v88, v94, s29
	v_cndmask_b32_e32 v66, v66, v97, vcc_lo
	v_cndmask_b32_e64 v97, v72, v99, s10
	v_perm_b32 v72, v70, v66, 0x5040100
	v_perm_b32 v70, v83, v103, 0x5040100
	v_cndmask_b32_e64 v103, v91, v85, s5
	v_cndmask_b32_e64 v85, v91, v85, s3
	v_cndmask_b32_e64 v66, v84, v99, s13
	v_cndmask_b32_e64 v84, v97, v90, s12
	v_lshrrev_b32_e32 v97, 16, v90
	v_cndmask_b32_e64 v91, v103, v92, s17
	v_cndmask_b32_e64 v85, v85, v92, s6
	;; [unrolled: 1-line block ×3, first 2 shown]
	s_mov_b32 s3, exec_lo
	v_cndmask_b32_e64 v83, v84, v97, s15
	v_cndmask_b32_e64 v91, v91, v98, s19
	v_cndmask_b32_e64 v85, v85, v98, s8
	v_lshrrev_b32_e32 v84, 16, v94
	v_cndmask_b32_e64 v66, v66, v97, s18
	v_cndmask_b32_e64 v90, v86, v97, s27
	;; [unrolled: 1-line block ×4, first 2 shown]
	v_dual_cndmask_b32 v86, v87, v97 :: v_dual_cndmask_b32 v87, v88, v84
	v_cndmask_b32_e64 v91, v69, v84, s15
	s_delay_alu instid0(VALU_DEP_4) | instskip(NEXT) | instid1(VALU_DEP_4)
	v_cndmask_b32_e64 v89, v89, v100, s22
	v_cndmask_b32_e64 v85, v85, v100, s13
	v_perm_b32 v69, v102, v101, 0x5040100
	v_perm_b32 v86, v87, v86, 0x5040100
	;; [unrolled: 1-line block ×3, first 2 shown]
	v_cndmask_b32_e64 v89, v89, v94, s24
	v_cndmask_b32_e64 v85, v85, v94, s16
	s_mul_i32 s8, s35, 3
	s_delay_alu instid0(VALU_DEP_2) | instskip(NEXT) | instid1(VALU_DEP_2)
	v_cndmask_b32_e64 v88, v89, v84, s27
	v_cndmask_b32_e64 v89, v85, v84, s18
	s_delay_alu instid0(VALU_DEP_2) | instskip(NEXT) | instid1(VALU_DEP_2)
	v_perm_b32 v85, v88, v90, 0x5040100
	v_perm_b32 v84, v89, v66, 0x5040100
	ds_store_b128 v76, v[69:72]
	ds_store_b128 v76, v[83:86] offset:1024
	v_cmpx_gt_u32_e32 3, v0
	s_cbranch_execz .LBB1604_78
; %bb.77:
	s_mul_i32 s4, s8, s30
	s_delay_alu instid0(SALU_CYCLE_1) | instskip(SKIP_1) | instid1(VALU_DEP_1)
	v_add3_u32 v69, s4, s31, v65
	s_load_b128 s[4:7], s[0:1], 0x58
	v_mad_u64_u32 v[65:66], null, v69, s34, s[14:15]
	s_delay_alu instid0(VALU_DEP_1) | instskip(NEXT) | instid1(VALU_DEP_1)
	v_ashrrev_i32_e32 v66, 31, v65
	v_lshlrev_b64 v[65:66], 2, v[65:66]
	s_waitcnt lgkmcnt(0)
	s_delay_alu instid0(VALU_DEP_1) | instskip(NEXT) | instid1(VALU_DEP_2)
	v_add_co_u32 v69, vcc_lo, s6, v65
	v_add_co_ci_u32_e32 v70, vcc_lo, s7, v66, vcc_lo
	v_add_co_u32 v65, vcc_lo, s4, v65
	v_add_co_ci_u32_e32 v66, vcc_lo, s5, v66, vcc_lo
	global_store_b32 v[69:70], v67, off
	global_store_b32 v[65:66], v68, off
.LBB1604_78:
	s_or_b32 exec_lo, exec_lo, s3
	s_waitcnt lgkmcnt(0)
	s_waitcnt_vscnt null, 0x0
	s_barrier
	buffer_gl0_inv
	ds_load_b128 v[83:86], v80
	ds_load_b128 v[87:90], v80 offset:16
	ds_load_b128 v[95:98], v80 offset:2064
	;; [unrolled: 1-line block ×3, first 2 shown]
	v_mov_b32_e32 v65, 0
	ds_load_b128 v[103:106], v80 offset:4112
	ds_load_b128 v[99:102], v80 offset:4096
	;; [unrolled: 1-line block ×4, first 2 shown]
	v_mov_b32_e32 v66, v65
	v_mov_b32_e32 v67, v65
	;; [unrolled: 1-line block ×7, first 2 shown]
	s_waitcnt lgkmcnt(6)
	s_delay_alu instid0(VALU_DEP_1)
	v_wmma_f32_16x16x16_bf16 v[65:72], v[41:48], v[83:90], v[65:72]
	ds_load_b128 v[45:48], v80 offset:8208
	ds_load_b128 v[41:44], v80 offset:8192
	s_waitcnt lgkmcnt(6)
	v_wmma_f32_16x16x16_bf16 v[65:72], v[33:40], v[91:98], v[65:72]
	ds_load_b128 v[37:40], v80 offset:10256
	ds_load_b128 v[33:36], v80 offset:10240
	s_waitcnt lgkmcnt(6)
	;; [unrolled: 4-line block ×4, first 2 shown]
	v_wmma_f32_16x16x16_bf16 v[65:72], v[1:8], v[41:48], v[65:72]
	s_waitcnt lgkmcnt(4)
	s_delay_alu instid0(VALU_DEP_1) | instskip(SKIP_1) | instid1(VALU_DEP_1)
	v_wmma_f32_16x16x16_bf16 v[65:72], v[9:16], v[33:40], v[65:72]
	s_waitcnt lgkmcnt(2)
	v_wmma_f32_16x16x16_bf16 v[65:72], v[57:64], v[25:32], v[65:72]
	s_waitcnt lgkmcnt(0)
	s_delay_alu instid0(VALU_DEP_1) | instskip(NEXT) | instid1(VALU_DEP_1)
	v_wmma_f32_16x16x16_bf16 v[65:72], v[49:56], v[17:24], v[65:72]
	v_and_b32_e32 v1, 0x7f800000, v65
	s_delay_alu instid0(VALU_DEP_1) | instskip(SKIP_1) | instid1(SALU_CYCLE_1)
	v_cmp_ne_u32_e32 vcc_lo, 0x7f800000, v1
                                        ; implicit-def: $vgpr1
	s_and_saveexec_b32 s3, vcc_lo
	s_xor_b32 s3, exec_lo, s3
; %bb.79:
	v_bfe_u32 v1, v65, 16, 1
	s_delay_alu instid0(VALU_DEP_1)
	v_add3_u32 v1, v65, v1, 0x7fff
; %bb.80:
	s_and_not1_saveexec_b32 s3, s3
; %bb.81:
	v_and_b32_e32 v1, 0xffff, v65
	v_or_b32_e32 v2, 0x10000, v65
	s_delay_alu instid0(VALU_DEP_2) | instskip(NEXT) | instid1(VALU_DEP_2)
	v_cmp_eq_u32_e32 vcc_lo, 0, v1
	v_cndmask_b32_e32 v1, v2, v65, vcc_lo
; %bb.82:
	s_or_b32 exec_lo, exec_lo, s3
	v_and_b32_e32 v2, 0x7f800000, v66
	s_delay_alu instid0(VALU_DEP_1) | instskip(SKIP_1) | instid1(SALU_CYCLE_1)
	v_cmp_ne_u32_e32 vcc_lo, 0x7f800000, v2
                                        ; implicit-def: $vgpr2
	s_and_saveexec_b32 s3, vcc_lo
	s_xor_b32 s3, exec_lo, s3
; %bb.83:
	v_bfe_u32 v2, v66, 16, 1
	s_delay_alu instid0(VALU_DEP_1)
	v_add3_u32 v2, v66, v2, 0x7fff
; %bb.84:
	s_and_not1_saveexec_b32 s3, s3
; %bb.85:
	v_and_b32_e32 v2, 0xffff, v66
	v_or_b32_e32 v3, 0x10000, v66
	s_delay_alu instid0(VALU_DEP_2) | instskip(NEXT) | instid1(VALU_DEP_2)
	v_cmp_eq_u32_e32 vcc_lo, 0, v2
	v_cndmask_b32_e32 v2, v3, v66, vcc_lo
; %bb.86:
	s_or_b32 exec_lo, exec_lo, s3
	v_and_b32_e32 v3, 0x7f800000, v67
	s_delay_alu instid0(VALU_DEP_1) | instskip(SKIP_1) | instid1(SALU_CYCLE_1)
	v_cmp_ne_u32_e32 vcc_lo, 0x7f800000, v3
                                        ; implicit-def: $vgpr3
	s_and_saveexec_b32 s3, vcc_lo
	s_xor_b32 s3, exec_lo, s3
; %bb.87:
	v_bfe_u32 v3, v67, 16, 1
	s_delay_alu instid0(VALU_DEP_1)
	v_add3_u32 v3, v67, v3, 0x7fff
; %bb.88:
	s_and_not1_saveexec_b32 s3, s3
; %bb.89:
	v_and_b32_e32 v3, 0xffff, v67
	v_or_b32_e32 v4, 0x10000, v67
	s_delay_alu instid0(VALU_DEP_2) | instskip(NEXT) | instid1(VALU_DEP_2)
	v_cmp_eq_u32_e32 vcc_lo, 0, v3
	v_cndmask_b32_e32 v3, v4, v67, vcc_lo
; %bb.90:
	s_or_b32 exec_lo, exec_lo, s3
	v_and_b32_e32 v4, 0x7f800000, v68
	s_delay_alu instid0(VALU_DEP_1) | instskip(SKIP_1) | instid1(SALU_CYCLE_1)
	v_cmp_ne_u32_e32 vcc_lo, 0x7f800000, v4
                                        ; implicit-def: $vgpr4
	s_and_saveexec_b32 s3, vcc_lo
	s_xor_b32 s3, exec_lo, s3
; %bb.91:
	v_bfe_u32 v4, v68, 16, 1
	s_delay_alu instid0(VALU_DEP_1)
	v_add3_u32 v4, v68, v4, 0x7fff
; %bb.92:
	s_and_not1_saveexec_b32 s3, s3
; %bb.93:
	v_and_b32_e32 v4, 0xffff, v68
	v_or_b32_e32 v5, 0x10000, v68
	s_delay_alu instid0(VALU_DEP_2) | instskip(NEXT) | instid1(VALU_DEP_2)
	v_cmp_eq_u32_e32 vcc_lo, 0, v4
	v_cndmask_b32_e32 v4, v5, v68, vcc_lo
; %bb.94:
	s_or_b32 exec_lo, exec_lo, s3
	v_and_b32_e32 v5, 0x7f800000, v69
	s_delay_alu instid0(VALU_DEP_1) | instskip(SKIP_1) | instid1(SALU_CYCLE_1)
	v_cmp_ne_u32_e32 vcc_lo, 0x7f800000, v5
                                        ; implicit-def: $vgpr5
	s_and_saveexec_b32 s3, vcc_lo
	s_xor_b32 s3, exec_lo, s3
; %bb.95:
	v_bfe_u32 v5, v69, 16, 1
	s_delay_alu instid0(VALU_DEP_1)
	v_add3_u32 v5, v69, v5, 0x7fff
; %bb.96:
	s_and_not1_saveexec_b32 s3, s3
; %bb.97:
	v_and_b32_e32 v5, 0xffff, v69
	v_or_b32_e32 v6, 0x10000, v69
	s_delay_alu instid0(VALU_DEP_2) | instskip(NEXT) | instid1(VALU_DEP_2)
	v_cmp_eq_u32_e32 vcc_lo, 0, v5
	v_cndmask_b32_e32 v5, v6, v69, vcc_lo
; %bb.98:
	s_or_b32 exec_lo, exec_lo, s3
	v_and_b32_e32 v6, 0x7f800000, v70
	s_delay_alu instid0(VALU_DEP_1) | instskip(SKIP_1) | instid1(SALU_CYCLE_1)
	v_cmp_ne_u32_e32 vcc_lo, 0x7f800000, v6
                                        ; implicit-def: $vgpr6
	s_and_saveexec_b32 s3, vcc_lo
	s_xor_b32 s3, exec_lo, s3
; %bb.99:
	v_bfe_u32 v6, v70, 16, 1
	s_delay_alu instid0(VALU_DEP_1)
	v_add3_u32 v6, v70, v6, 0x7fff
; %bb.100:
	s_and_not1_saveexec_b32 s3, s3
; %bb.101:
	v_and_b32_e32 v6, 0xffff, v70
	v_or_b32_e32 v7, 0x10000, v70
	s_delay_alu instid0(VALU_DEP_2) | instskip(NEXT) | instid1(VALU_DEP_2)
	v_cmp_eq_u32_e32 vcc_lo, 0, v6
	v_cndmask_b32_e32 v6, v7, v70, vcc_lo
; %bb.102:
	s_or_b32 exec_lo, exec_lo, s3
	v_and_b32_e32 v7, 0x7f800000, v71
	s_delay_alu instid0(VALU_DEP_1) | instskip(SKIP_1) | instid1(SALU_CYCLE_1)
	v_cmp_ne_u32_e32 vcc_lo, 0x7f800000, v7
                                        ; implicit-def: $vgpr7
	s_and_saveexec_b32 s3, vcc_lo
	s_xor_b32 s3, exec_lo, s3
; %bb.103:
	v_bfe_u32 v7, v71, 16, 1
	s_delay_alu instid0(VALU_DEP_1)
	v_add3_u32 v7, v71, v7, 0x7fff
; %bb.104:
	s_and_not1_saveexec_b32 s3, s3
; %bb.105:
	v_and_b32_e32 v7, 0xffff, v71
	v_or_b32_e32 v8, 0x10000, v71
	s_delay_alu instid0(VALU_DEP_2) | instskip(NEXT) | instid1(VALU_DEP_2)
	v_cmp_eq_u32_e32 vcc_lo, 0, v7
	v_cndmask_b32_e32 v7, v8, v71, vcc_lo
; %bb.106:
	s_or_b32 exec_lo, exec_lo, s3
	v_and_b32_e32 v8, 0x7f800000, v72
	s_delay_alu instid0(VALU_DEP_1) | instskip(SKIP_1) | instid1(SALU_CYCLE_1)
	v_cmp_ne_u32_e32 vcc_lo, 0x7f800000, v8
                                        ; implicit-def: $vgpr8
	s_and_saveexec_b32 s3, vcc_lo
	s_xor_b32 s3, exec_lo, s3
; %bb.107:
	v_bfe_u32 v8, v72, 16, 1
	s_delay_alu instid0(VALU_DEP_1)
	v_add3_u32 v8, v72, v8, 0x7fff
                                        ; implicit-def: $vgpr65_vgpr66_vgpr67_vgpr68_vgpr69_vgpr70_vgpr71_vgpr72
; %bb.108:
	s_and_not1_saveexec_b32 s3, s3
; %bb.109:
	v_and_b32_e32 v8, 0xffff, v72
	v_or_b32_e32 v9, 0x10000, v72
	s_delay_alu instid0(VALU_DEP_2) | instskip(NEXT) | instid1(VALU_DEP_2)
	v_cmp_eq_u32_e32 vcc_lo, 0, v8
	v_cndmask_b32_e32 v8, v9, v72, vcc_lo
; %bb.110:
	s_or_b32 exec_lo, exec_lo, s3
	s_delay_alu instid0(VALU_DEP_1)
	v_perm_b32 v7, v8, v7, 0x7060302
	v_perm_b32 v6, v6, v5, 0x7060302
	;; [unrolled: 1-line block ×4, first 2 shown]
	s_barrier
	buffer_gl0_inv
	v_cmp_eq_u32_e32 vcc_lo, 1, v78
	ds_store_b128 v76, v[4:7]
	s_waitcnt lgkmcnt(0)
	s_barrier
	buffer_gl0_inv
	ds_load_b128 v[1:4], v82
	ds_load_b128 v[5:8], v82 offset:16
	v_cmp_eq_u32_e64 s3, 1, v79
	v_cmp_eq_u32_e64 s4, 2, v78
	;; [unrolled: 1-line block ×5, first 2 shown]
	s_waitcnt lgkmcnt(1)
	v_lshrrev_b32_e32 v9, 16, v1
	s_waitcnt lgkmcnt(0)
	v_lshrrev_b32_e32 v13, 16, v5
	v_lshrrev_b32_e32 v10, 16, v2
	;; [unrolled: 1-line block ×4, first 2 shown]
	v_cndmask_b32_e64 v19, v1, v9, s3
	v_cndmask_b32_e32 v18, v5, v13, vcc_lo
	v_cndmask_b32_e64 v20, v5, v13, s3
	v_cndmask_b32_e32 v17, v1, v9, vcc_lo
	v_cmp_eq_u32_e32 vcc_lo, 2, v79
	v_lshrrev_b32_e32 v15, 16, v7
	v_cmp_eq_u32_e64 s3, 1, v77
	v_lshrrev_b32_e32 v12, 16, v4
	v_lshrrev_b32_e32 v16, 16, v8
	v_cndmask_b32_e32 v20, v20, v6, vcc_lo
	v_cndmask_b32_e64 v17, v17, v2, s4
	v_cndmask_b32_e32 v19, v19, v2, vcc_lo
	v_cndmask_b32_e64 v18, v18, v6, s4
	v_cmp_eq_u32_e32 vcc_lo, 4, v78
	v_cmp_eq_u32_e64 s4, 3, v79
	v_cndmask_b32_e64 v17, v17, v10, s5
	v_cndmask_b32_e64 v21, v1, v9, s3
	;; [unrolled: 1-line block ×5, first 2 shown]
	v_cndmask_b32_e32 v17, v17, v3, vcc_lo
	v_cndmask_b32_e64 v20, v20, v14, s4
	v_cndmask_b32_e32 v18, v18, v7, vcc_lo
	v_cmp_eq_u32_e32 vcc_lo, 4, v79
	v_cmp_eq_u32_e64 s4, 5, v79
	v_cmp_eq_u32_e64 s3, 2, v81
	v_cndmask_b32_e64 v21, v21, v2, s7
	v_cmp_eq_u32_e64 s5, 5, v78
	v_cndmask_b32_e32 v19, v19, v3, vcc_lo
	v_cndmask_b32_e32 v20, v20, v7, vcc_lo
	v_cmp_eq_u32_e32 vcc_lo, 6, v79
	s_delay_alu instid0(VALU_DEP_4) | instskip(NEXT) | instid1(VALU_DEP_4)
	v_cndmask_b32_e64 v17, v17, v11, s5
	v_cndmask_b32_e64 v19, v19, v11, s4
	s_delay_alu instid0(VALU_DEP_4) | instskip(SKIP_1) | instid1(VALU_DEP_3)
	v_cndmask_b32_e64 v20, v20, v15, s4
	v_cmp_eq_u32_e64 s4, 1, v81
	v_cndmask_b32_e32 v19, v19, v4, vcc_lo
	v_cndmask_b32_e64 v18, v18, v15, s5
	s_delay_alu instid0(VALU_DEP_3)
	v_cndmask_b32_e64 v1, v1, v9, s4
	v_cndmask_b32_e64 v5, v5, v13, s4
	v_cmp_eq_u32_e64 s4, 3, v77
	v_cndmask_b32_e64 v13, v22, v6, s7
	v_cmp_eq_u32_e64 s7, 3, v81
	v_cndmask_b32_e64 v1, v1, v2, s3
	v_cndmask_b32_e64 v2, v5, v6, s3
	;; [unrolled: 1-line block ×3, first 2 shown]
	v_cmp_eq_u32_e64 s3, 4, v77
	v_cndmask_b32_e64 v6, v13, v14, s4
	v_cndmask_b32_e64 v1, v1, v10, s7
	v_cmp_eq_u32_e64 s4, 4, v81
	v_cndmask_b32_e64 v2, v2, v14, s7
	v_cndmask_b32_e64 v5, v9, v3, s3
	v_cmp_eq_u32_e64 s7, 5, v77
	v_cndmask_b32_e64 v6, v6, v7, s3
	v_cndmask_b32_e64 v1, v1, v3, s4
	v_cndmask_b32_e64 v2, v2, v7, s4
	v_cmp_eq_u32_e64 s3, 5, v81
	v_cmp_eq_u32_e64 s5, 6, v78
	v_cndmask_b32_e64 v5, v5, v11, s7
	v_cmp_eq_u32_e64 s4, 6, v77
	v_cndmask_b32_e64 v3, v6, v15, s7
	v_cndmask_b32_e64 v1, v1, v11, s3
	v_cmp_eq_u32_e64 s7, 6, v81
	v_cndmask_b32_e64 v2, v2, v15, s3
	v_cndmask_b32_e64 v17, v17, v4, s5
	v_cndmask_b32_e64 v18, v18, v8, s5
	v_cmp_eq_u32_e64 s5, 7, v78
	v_cndmask_b32_e64 v5, v5, v4, s4
	;; [unrolled: 4-line block ×3, first 2 shown]
	v_cmp_eq_u32_e64 s4, 7, v77
	v_cndmask_b32_e32 v4, v20, v8, vcc_lo
	v_cndmask_b32_e64 v17, v17, v12, s5
	v_cndmask_b32_e64 v19, v19, v12, s6
	;; [unrolled: 1-line block ×8, first 2 shown]
	s_mov_b32 s3, exec_lo
	v_perm_b32 v4, v2, v1, 0x5040100
	v_perm_b32 v3, v3, v5, 0x5040100
	v_perm_b32 v2, v6, v19, 0x5040100
	v_perm_b32 v1, v7, v17, 0x5040100
	ds_store_b128 v76, v[1:4]
	s_waitcnt lgkmcnt(0)
	s_barrier
	buffer_gl0_inv
	v_cmpx_gt_u32_e32 32, v0
	s_cbranch_execz .LBB1604_2
; %bb.111:
	s_load_b64 s[4:5], s[0:1], 0x68
	v_lshlrev_b32_e32 v0, 10, v0
	v_lshlrev_b32_e32 v2, 4, v75
	v_add_nc_u32_e32 v1, s31, v74
	s_lshl_b32 s0, s34, 7
	s_delay_alu instid0(SALU_CYCLE_1) | instskip(NEXT) | instid1(VALU_DEP_2)
	s_mul_i32 s1, s0, s30
	v_and_or_b32 v0, 0x3800, v0, v2
	s_mul_i32 s6, s1, s8
	v_mul_lo_u32 v1, v1, s0
	s_ashr_i32 s7, s6, 31
	s_delay_alu instid0(VALU_DEP_2) | instskip(SKIP_1) | instid1(VALU_DEP_2)
	v_lshl_or_b32 v3, v74, 6, v0
	s_lshl_b64 s[6:7], s[6:7], 1
	v_ashrrev_i32_e32 v2, 31, v1
	ds_load_b128 v[3:6], v3
	s_waitcnt lgkmcnt(0)
	s_add_u32 s1, s4, s6
	s_addc_u32 s3, s5, s7
	s_lshl_b32 s4, s14, 7
	v_lshlrev_b64 v[7:8], 1, v[1:2]
	s_ashr_i32 s5, s4, 31
	s_delay_alu instid0(SALU_CYCLE_1) | instskip(NEXT) | instid1(SALU_CYCLE_1)
	s_lshl_b64 s[4:5], s[4:5], 1
	s_add_u32 s1, s1, s4
	s_addc_u32 s3, s3, s5
	v_add_co_u32 v1, s1, s1, v73
	s_delay_alu instid0(VALU_DEP_1) | instskip(NEXT) | instid1(VALU_DEP_2)
	v_add_co_ci_u32_e64 v2, null, s3, 0, s1
	v_add_co_u32 v7, vcc_lo, v1, v7
	s_delay_alu instid0(VALU_DEP_2)
	v_add_co_ci_u32_e32 v8, vcc_lo, v2, v8, vcc_lo
	global_store_b128 v[7:8], v[3:6], off
	s_and_b32 exec_lo, exec_lo, s2
	s_cbranch_execz .LBB1604_2
; %bb.112:
	ds_load_b128 v[3:6], v0 offset:128
	s_add_i32 s1, s31, 2
	s_delay_alu instid0(SALU_CYCLE_1) | instskip(NEXT) | instid1(SALU_CYCLE_1)
	s_mul_i32 s0, s1, s0
	s_ashr_i32 s1, s0, 31
	s_delay_alu instid0(SALU_CYCLE_1) | instskip(NEXT) | instid1(SALU_CYCLE_1)
	s_lshl_b64 s[0:1], s[0:1], 1
	v_add_co_u32 v0, vcc_lo, v1, s0
	v_add_co_ci_u32_e32 v1, vcc_lo, s1, v2, vcc_lo
	s_waitcnt lgkmcnt(0)
	global_store_b128 v[0:1], v[3:6], off
	s_nop 0
	s_sendmsg sendmsg(MSG_DEALLOC_VGPRS)
	s_endpgm
	.section	.rodata,"a",@progbits
	.p2align	6, 0x0
	.amdhsa_kernel _Z39paged_attention_ll4mi_QKV_mfma16_kernelI14__hip_bfloat16hLN4vllm18Fp8KVCacheDataTypeE1EhLi32ELi128ELi256ELb1ELi3EL8MFMAType1EEvPKT_PKT0_S9_ifPKiSB_SB_iPKfiiiPfSE_PS4_PT2_iSD_SD_
		.amdhsa_group_segment_fixed_size 17472
		.amdhsa_private_segment_fixed_size 0
		.amdhsa_kernarg_size 400
		.amdhsa_user_sgpr_count 13
		.amdhsa_user_sgpr_dispatch_ptr 0
		.amdhsa_user_sgpr_queue_ptr 0
		.amdhsa_user_sgpr_kernarg_segment_ptr 1
		.amdhsa_user_sgpr_dispatch_id 0
		.amdhsa_user_sgpr_private_segment_size 0
		.amdhsa_wavefront_size32 1
		.amdhsa_uses_dynamic_stack 0
		.amdhsa_enable_private_segment 0
		.amdhsa_system_sgpr_workgroup_id_x 1
		.amdhsa_system_sgpr_workgroup_id_y 1
		.amdhsa_system_sgpr_workgroup_id_z 1
		.amdhsa_system_sgpr_workgroup_info 0
		.amdhsa_system_vgpr_workitem_id 0
		.amdhsa_next_free_vgpr 140
		.amdhsa_next_free_sgpr 36
		.amdhsa_reserve_vcc 1
		.amdhsa_float_round_mode_32 0
		.amdhsa_float_round_mode_16_64 0
		.amdhsa_float_denorm_mode_32 3
		.amdhsa_float_denorm_mode_16_64 3
		.amdhsa_dx10_clamp 1
		.amdhsa_ieee_mode 1
		.amdhsa_fp16_overflow 0
		.amdhsa_workgroup_processor_mode 1
		.amdhsa_memory_ordered 1
		.amdhsa_forward_progress 0
		.amdhsa_shared_vgpr_count 0
		.amdhsa_exception_fp_ieee_invalid_op 0
		.amdhsa_exception_fp_denorm_src 0
		.amdhsa_exception_fp_ieee_div_zero 0
		.amdhsa_exception_fp_ieee_overflow 0
		.amdhsa_exception_fp_ieee_underflow 0
		.amdhsa_exception_fp_ieee_inexact 0
		.amdhsa_exception_int_div_zero 0
	.end_amdhsa_kernel
	.section	.text._Z39paged_attention_ll4mi_QKV_mfma16_kernelI14__hip_bfloat16hLN4vllm18Fp8KVCacheDataTypeE1EhLi32ELi128ELi256ELb1ELi3EL8MFMAType1EEvPKT_PKT0_S9_ifPKiSB_SB_iPKfiiiPfSE_PS4_PT2_iSD_SD_,"axG",@progbits,_Z39paged_attention_ll4mi_QKV_mfma16_kernelI14__hip_bfloat16hLN4vllm18Fp8KVCacheDataTypeE1EhLi32ELi128ELi256ELb1ELi3EL8MFMAType1EEvPKT_PKT0_S9_ifPKiSB_SB_iPKfiiiPfSE_PS4_PT2_iSD_SD_,comdat
.Lfunc_end1604:
	.size	_Z39paged_attention_ll4mi_QKV_mfma16_kernelI14__hip_bfloat16hLN4vllm18Fp8KVCacheDataTypeE1EhLi32ELi128ELi256ELb1ELi3EL8MFMAType1EEvPKT_PKT0_S9_ifPKiSB_SB_iPKfiiiPfSE_PS4_PT2_iSD_SD_, .Lfunc_end1604-_Z39paged_attention_ll4mi_QKV_mfma16_kernelI14__hip_bfloat16hLN4vllm18Fp8KVCacheDataTypeE1EhLi32ELi128ELi256ELb1ELi3EL8MFMAType1EEvPKT_PKT0_S9_ifPKiSB_SB_iPKfiiiPfSE_PS4_PT2_iSD_SD_
                                        ; -- End function
	.section	.AMDGPU.csdata,"",@progbits
; Kernel info:
; codeLenInByte = 8860
; NumSgprs: 38
; NumVgprs: 140
; ScratchSize: 0
; MemoryBound: 0
; FloatMode: 240
; IeeeMode: 1
; LDSByteSize: 17472 bytes/workgroup (compile time only)
; SGPRBlocks: 4
; VGPRBlocks: 17
; NumSGPRsForWavesPerEU: 38
; NumVGPRsForWavesPerEU: 140
; Occupancy: 10
; WaveLimiterHint : 1
; COMPUTE_PGM_RSRC2:SCRATCH_EN: 0
; COMPUTE_PGM_RSRC2:USER_SGPR: 13
; COMPUTE_PGM_RSRC2:TRAP_HANDLER: 0
; COMPUTE_PGM_RSRC2:TGID_X_EN: 1
; COMPUTE_PGM_RSRC2:TGID_Y_EN: 1
; COMPUTE_PGM_RSRC2:TGID_Z_EN: 1
; COMPUTE_PGM_RSRC2:TIDIG_COMP_CNT: 0
	.section	.text._Z39paged_attention_ll4mi_QKV_mfma16_kernelI14__hip_bfloat16hLN4vllm18Fp8KVCacheDataTypeE1EhLi32ELi128ELi256ELb1ELi4EL8MFMAType1EEvPKT_PKT0_S9_ifPKiSB_SB_iPKfiiiPfSE_PS4_PT2_iSD_SD_,"axG",@progbits,_Z39paged_attention_ll4mi_QKV_mfma16_kernelI14__hip_bfloat16hLN4vllm18Fp8KVCacheDataTypeE1EhLi32ELi128ELi256ELb1ELi4EL8MFMAType1EEvPKT_PKT0_S9_ifPKiSB_SB_iPKfiiiPfSE_PS4_PT2_iSD_SD_,comdat
	.protected	_Z39paged_attention_ll4mi_QKV_mfma16_kernelI14__hip_bfloat16hLN4vllm18Fp8KVCacheDataTypeE1EhLi32ELi128ELi256ELb1ELi4EL8MFMAType1EEvPKT_PKT0_S9_ifPKiSB_SB_iPKfiiiPfSE_PS4_PT2_iSD_SD_ ; -- Begin function _Z39paged_attention_ll4mi_QKV_mfma16_kernelI14__hip_bfloat16hLN4vllm18Fp8KVCacheDataTypeE1EhLi32ELi128ELi256ELb1ELi4EL8MFMAType1EEvPKT_PKT0_S9_ifPKiSB_SB_iPKfiiiPfSE_PS4_PT2_iSD_SD_
	.globl	_Z39paged_attention_ll4mi_QKV_mfma16_kernelI14__hip_bfloat16hLN4vllm18Fp8KVCacheDataTypeE1EhLi32ELi128ELi256ELb1ELi4EL8MFMAType1EEvPKT_PKT0_S9_ifPKiSB_SB_iPKfiiiPfSE_PS4_PT2_iSD_SD_
	.p2align	8
	.type	_Z39paged_attention_ll4mi_QKV_mfma16_kernelI14__hip_bfloat16hLN4vllm18Fp8KVCacheDataTypeE1EhLi32ELi128ELi256ELb1ELi4EL8MFMAType1EEvPKT_PKT0_S9_ifPKiSB_SB_iPKfiiiPfSE_PS4_PT2_iSD_SD_,@function
_Z39paged_attention_ll4mi_QKV_mfma16_kernelI14__hip_bfloat16hLN4vllm18Fp8KVCacheDataTypeE1EhLi32ELi128ELi256ELb1ELi4EL8MFMAType1EEvPKT_PKT0_S9_ifPKiSB_SB_iPKfiiiPfSE_PS4_PT2_iSD_SD_: ; @_Z39paged_attention_ll4mi_QKV_mfma16_kernelI14__hip_bfloat16hLN4vllm18Fp8KVCacheDataTypeE1EhLi32ELi128ELi256ELb1ELi4EL8MFMAType1EEvPKT_PKT0_S9_ifPKiSB_SB_iPKfiiiPfSE_PS4_PT2_iSD_SD_
; %bb.0:
	s_load_b64 s[4:5], s[0:1], 0x30
	s_mov_b32 s30, s13
	s_waitcnt lgkmcnt(0)
	s_cmp_lg_u64 s[4:5], 0
	s_cselect_b32 s13, -1, 0
	s_ashr_i32 s31, s30, 31
	s_cmp_eq_u64 s[4:5], 0
	s_cbranch_scc1 .LBB1605_3
; %bb.1:
	s_lshl_b64 s[2:3], s[30:31], 2
	s_delay_alu instid0(SALU_CYCLE_1) | instskip(SKIP_4) | instid1(SALU_CYCLE_1)
	s_add_u32 s2, s4, s2
	s_addc_u32 s3, s5, s3
	s_load_b64 s[2:3], s[2:3], 0x0
	s_waitcnt lgkmcnt(0)
	s_sub_i32 s2, s3, s2
	s_cmp_eq_u32 s2, 1
	s_cselect_b32 s2, -1, 0
	s_delay_alu instid0(SALU_CYCLE_1)
	s_and_not1_b32 vcc_lo, exec_lo, s2
	s_cbranch_vccz .LBB1605_4
.LBB1605_2:
	s_endpgm
.LBB1605_3:
.LBB1605_4:
	s_load_b64 s[2:3], s[0:1], 0x28
	s_lshl_b64 s[6:7], s[30:31], 2
	s_waitcnt lgkmcnt(0)
	s_add_u32 s2, s2, s6
	s_addc_u32 s3, s3, s7
	s_lshl_b32 s12, s14, 8
	s_load_b32 s17, s[2:3], 0x0
	s_waitcnt lgkmcnt(0)
	s_cmp_ge_i32 s12, s17
	s_cbranch_scc1 .LBB1605_2
; %bb.5:
	s_clause 0x1
	s_load_b128 s[8:11], s[0:1], 0x8
	s_load_b64 s[2:3], s[0:1], 0x20
	s_and_not1_b32 vcc_lo, exec_lo, s13
	s_cbranch_vccnz .LBB1605_7
; %bb.6:
	s_add_u32 s4, s4, s6
	s_addc_u32 s5, s5, s7
	s_load_b32 s13, s[4:5], 0x0
	s_branch .LBB1605_8
.LBB1605_7:
	s_mov_b32 s13, s30
.LBB1605_8:
	s_load_b128 s[4:7], s[0:1], 0x48
	v_and_b32_e32 v66, 15, v0
	v_lshrrev_b32_e32 v65, 5, v0
	v_and_b32_e32 v67, 31, v0
	v_and_b32_e32 v75, 1, v0
	v_bfe_u32 v74, v0, 4, 1
	v_lshlrev_b32_e32 v1, 3, v66
	s_lshl_b32 s29, s15, 2
	s_waitcnt lgkmcnt(0)
	s_mov_b32 s7, exec_lo
	s_delay_alu instid0(VALU_DEP_1)
	v_lshlrev_b32_e32 v73, 1, v1
	v_cmpx_gt_u32_e32 64, v0
	s_cbranch_execz .LBB1605_10
; %bb.9:
	v_lshl_or_b32 v5, v65, 1, v74
	s_load_b64 s[18:19], s[0:1], 0x0
	s_mul_hi_i32 s21, s13, s4
	s_mul_i32 s20, s13, s4
	v_lshlrev_b32_e32 v6, 10, v66
	v_or_b32_e32 v1, s29, v5
	s_lshl_b64 s[20:21], s[20:21], 1
	v_lshlrev_b32_e32 v5, 6, v5
	v_lshlrev_b32_e32 v7, 10, v75
	v_and_b32_e32 v6, 0x3800, v6
	v_lshlrev_b32_e32 v1, 7, v1
	s_delay_alu instid0(VALU_DEP_2) | instskip(NEXT) | instid1(VALU_DEP_2)
	v_or3_b32 v5, v6, v7, v5
	v_ashrrev_i32_e32 v2, 31, v1
	s_delay_alu instid0(VALU_DEP_1) | instskip(SKIP_3) | instid1(VALU_DEP_1)
	v_lshlrev_b64 v[1:2], 1, v[1:2]
	s_waitcnt lgkmcnt(0)
	s_add_u32 s4, s18, s20
	s_addc_u32 s13, s19, s21
	v_add_co_u32 v1, vcc_lo, s4, v1
	s_delay_alu instid0(VALU_DEP_2) | instskip(NEXT) | instid1(VALU_DEP_2)
	v_add_co_ci_u32_e32 v2, vcc_lo, s13, v2, vcc_lo
	v_add_co_u32 v1, vcc_lo, v1, v73
	s_delay_alu instid0(VALU_DEP_2)
	v_add_co_ci_u32_e32 v2, vcc_lo, 0, v2, vcc_lo
	global_load_b128 v[1:4], v[1:2], off
	s_waitcnt vmcnt(0)
	ds_store_b128 v5, v[1:4]
.LBB1605_10:
	s_or_b32 exec_lo, exec_lo, s7
	v_and_b32_e32 v1, 0xef, v0
	s_add_i32 s4, s17, 31
	s_clause 0x1
	s_load_b32 s7, s[0:1], 0x38
	s_load_b32 s18, s[0:1], 0x1c
	s_ashr_i32 s13, s4, 31
	v_add_nc_u32_e32 v1, s12, v1
	s_lshr_b32 s13, s13, 27
	s_waitcnt lgkmcnt(0)
	s_add_i32 s4, s4, s13
	s_barrier
	v_ashrrev_i32_e32 v2, 31, v1
	v_or_b32_e32 v3, 16, v1
	s_ashr_i32 s4, s4, 5
	v_cmp_gt_i32_e32 vcc_lo, s17, v1
	s_add_i32 s4, s4, -1
	v_lshrrev_b32_e32 v2, 27, v2
	buffer_gl0_inv
	s_mul_i32 s15, s15, s6
	v_add_nc_u32_e32 v4, v1, v2
	s_mul_i32 s20, s30, s7
	s_delay_alu instid0(SALU_CYCLE_1) | instskip(NEXT) | instid1(VALU_DEP_1)
	s_ashr_i32 s21, s20, 31
	v_ashrrev_i32_e32 v4, 5, v4
	v_add_nc_u32_e32 v2, v3, v2
	s_lshl_b64 s[20:21], s[20:21], 2
	s_delay_alu instid0(SALU_CYCLE_1) | instskip(NEXT) | instid1(VALU_DEP_2)
	s_add_u32 s13, s2, s20
	v_cndmask_b32_e32 v1, s4, v4, vcc_lo
	s_delay_alu instid0(VALU_DEP_2)
	v_ashrrev_i32_e32 v2, 5, v2
	v_cmp_gt_i32_e32 vcc_lo, s17, v3
	s_addc_u32 s16, s3, s21
	s_ashr_i32 s19, s15, 31
	s_add_u32 s2, s8, s15
	s_addc_u32 s3, s9, s19
	v_cndmask_b32_e32 v3, s4, v2, vcc_lo
	v_ashrrev_i32_e32 v2, 31, v1
	s_lshl_b32 s6, s14, 3
	s_delay_alu instid0(SALU_CYCLE_1) | instskip(NEXT) | instid1(VALU_DEP_2)
	s_ashr_i32 s7, s6, 31
	v_ashrrev_i32_e32 v4, 31, v3
	s_delay_alu instid0(VALU_DEP_2) | instskip(SKIP_1) | instid1(SALU_CYCLE_1)
	v_lshlrev_b64 v[1:2], 2, v[1:2]
	s_lshl_b64 s[6:7], s[6:7], 2
	s_add_u32 s6, s13, s6
	s_delay_alu instid0(VALU_DEP_2) | instskip(SKIP_1) | instid1(VALU_DEP_2)
	v_lshlrev_b64 v[3:4], 2, v[3:4]
	s_addc_u32 s7, s16, s7
	v_add_co_u32 v1, vcc_lo, s13, v1
	v_add_co_ci_u32_e32 v2, vcc_lo, s16, v2, vcc_lo
	s_delay_alu instid0(VALU_DEP_3) | instskip(NEXT) | instid1(VALU_DEP_4)
	v_add_co_u32 v3, vcc_lo, s13, v3
	v_add_co_ci_u32_e32 v4, vcc_lo, s16, v4, vcc_lo
	s_clause 0x1
	global_load_b32 v5, v[1:2], off
	global_load_b32 v6, v[3:4], off
	s_or_b32 s8, s12, 32
	s_delay_alu instid0(SALU_CYCLE_1) | instskip(SKIP_2) | instid1(SALU_CYCLE_1)
	s_ashr_i32 s9, s8, 5
	s_cmp_lt_i32 s8, s17
	s_cselect_b32 s8, s9, s4
	s_ashr_i32 s9, s8, 31
	s_delay_alu instid0(SALU_CYCLE_1) | instskip(NEXT) | instid1(SALU_CYCLE_1)
	s_lshl_b64 s[8:9], s[8:9], 2
	s_add_u32 s8, s13, s8
	s_addc_u32 s9, s16, s9
	s_or_b32 s20, s12, 64
	s_delay_alu instid0(SALU_CYCLE_1) | instskip(SKIP_2) | instid1(SALU_CYCLE_1)
	s_ashr_i32 s21, s20, 5
	s_cmp_lt_i32 s20, s17
	s_cselect_b32 s20, s21, s4
	s_ashr_i32 s21, s20, 31
	s_delay_alu instid0(SALU_CYCLE_1) | instskip(NEXT) | instid1(SALU_CYCLE_1)
	s_lshl_b64 s[20:21], s[20:21], 2
	s_add_u32 s20, s13, s20
	s_addc_u32 s21, s16, s21
	;; [unrolled: 10-line block ×5, first 2 shown]
	s_clause 0x5
	s_load_b32 s28, s[6:7], 0x0
	s_load_b32 s8, s[8:9], 0x0
	;; [unrolled: 1-line block ×6, first 2 shown]
	s_mov_b32 s20, 0
	s_delay_alu instid0(SALU_CYCLE_1)
	s_mov_b32 s21, s20
	s_mov_b32 s22, s20
	;; [unrolled: 1-line block ×7, first 2 shown]
	s_delay_alu instid0(SALU_CYCLE_1)
	v_dual_mov_b32 v107, s27 :: v_dual_mov_b32 v106, s26
	v_dual_mov_b32 v104, s24 :: v_dual_mov_b32 v103, s23
	;; [unrolled: 1-line block ×4, first 2 shown]
	s_waitcnt vmcnt(1)
	v_mad_i64_i32 v[1:2], null, v5, s5, s[2:3]
	v_lshlrev_b32_e32 v5, 4, v66
	s_waitcnt vmcnt(0)
	v_mad_i64_i32 v[3:4], null, v6, s5, s[2:3]
	s_or_b32 s2, s12, 0xc0
	s_delay_alu instid0(SALU_CYCLE_1) | instskip(NEXT) | instid1(VALU_DEP_3)
	s_ashr_i32 s3, s2, 5
	v_add_co_u32 v33, vcc_lo, v1, v5
	s_delay_alu instid0(VALU_DEP_4) | instskip(NEXT) | instid1(VALU_DEP_3)
	v_add_co_ci_u32_e32 v34, vcc_lo, 0, v2, vcc_lo
	v_add_co_u32 v35, vcc_lo, v3, v5
	s_delay_alu instid0(VALU_DEP_4)
	v_add_co_ci_u32_e32 v36, vcc_lo, 0, v4, vcc_lo
	s_clause 0xf
	global_load_b128 v[1:4], v[33:34], off
	global_load_b128 v[5:8], v[33:34], off offset:512
	global_load_b128 v[9:12], v[35:36], off offset:256
	;; [unrolled: 1-line block ×15, first 2 shown]
	s_cmp_lt_i32 s2, s17
	v_and_b32_e32 v33, 3, v0
	s_cselect_b32 s2, s3, s4
	v_lshlrev_b32_e32 v34, 5, v66
	s_ashr_i32 s3, s2, 31
	s_delay_alu instid0(SALU_CYCLE_1)
	s_lshl_b64 s[2:3], s[2:3], 2
	v_lshlrev_b32_e32 v72, 6, v33
	s_add_u32 s2, s13, s2
	s_addc_u32 s3, s16, s3
	s_or_b32 s6, s12, 0xe0
	v_lshl_or_b32 v41, v65, 9, v34
	s_ashr_i32 s7, s6, 5
	s_cmp_lt_i32 s6, s17
	ds_load_b128 v[33:36], v72
	ds_load_b128 v[37:40], v72 offset:1024
	s_cselect_b32 s6, s7, s4
	ds_load_b128 v[108:111], v72 offset:2048
	ds_load_b128 v[112:115], v72 offset:3072
	s_ashr_i32 s7, s6, 31
	s_load_b32 s4, s[2:3], 0x0
	s_lshl_b64 s[6:7], s[6:7], 2
	ds_load_b128 v[116:119], v72 offset:4096
	ds_load_b128 v[120:123], v72 offset:5120
	s_add_u32 s2, s13, s6
	s_addc_u32 s3, s16, s7
	s_add_u32 s6, s10, s15
	s_load_b32 s2, s[2:3], 0x0
	s_addc_u32 s7, s11, s19
	v_add_co_u32 v68, s6, s6, v41
	s_delay_alu instid0(VALU_DEP_1) | instskip(SKIP_1) | instid1(VALU_DEP_1)
	v_add_co_ci_u32_e64 v69, null, s7, 0, s6
	s_waitcnt lgkmcnt(0)
	v_mad_i64_i32 v[41:42], null, s28, s5, v[68:69]
	v_mad_i64_i32 v[70:71], null, s9, s5, v[68:69]
	;; [unrolled: 1-line block ×7, first 2 shown]
	s_clause 0x3
	global_load_b128 v[49:52], v[41:42], off
	global_load_b128 v[53:56], v[41:42], off offset:16
	global_load_b128 v[41:44], v[45:46], off
	global_load_b128 v[45:48], v[45:46], off offset:16
	s_waitcnt vmcnt(18)
	v_wmma_f32_16x16x16_bf16 v[124:131], v[1:8], v[33:40], v[100:107]
	s_waitcnt vmcnt(16)
	v_wmma_f32_16x16x16_bf16 v[100:107], v[9:16], v[33:40], v[100:107]
	s_clause 0x1
	global_load_b128 v[33:36], v[70:71], off
	global_load_b128 v[37:40], v[70:71], off offset:16
	v_mad_i64_i32 v[70:71], null, s2, s5, v[68:69]
	s_waitcnt vmcnt(16)
	v_wmma_f32_16x16x16_bf16 v[124:131], v[17:24], v[108:115], v[124:131]
	s_waitcnt vmcnt(14)
	v_wmma_f32_16x16x16_bf16 v[100:107], v[25:32], v[108:115], v[100:107]
	s_clause 0x7
	global_load_b128 v[25:28], v[132:133], off
	global_load_b128 v[29:32], v[132:133], off offset:16
	global_load_b128 v[1:4], v[134:135], off
	global_load_b128 v[5:8], v[134:135], off offset:16
	;; [unrolled: 2-line block ×4, first 2 shown]
	s_waitcnt vmcnt(20)
	v_wmma_f32_16x16x16_bf16 v[124:131], v[57:64], v[116:123], v[124:131]
	s_clause 0x1
	global_load_b128 v[57:60], v[70:71], off
	global_load_b128 v[61:64], v[70:71], off offset:16
	s_waitcnt vmcnt(20)
	v_wmma_f32_16x16x16_bf16 v[100:107], v[76:83], v[116:123], v[100:107]
	ds_load_b128 v[76:79], v72 offset:6144
	ds_load_b128 v[80:83], v72 offset:7168
	v_and_b32_e32 v68, 0xe0, v0
	v_mbcnt_lo_u32_b32 v69, -1, 0
	s_waitcnt vmcnt(0) lgkmcnt(0)
	s_barrier
	buffer_gl0_inv
	v_add_nc_u32_e32 v68, s12, v68
	v_xor_b32_e32 v70, 16, v69
	s_delay_alu instid0(VALU_DEP_2) | instskip(NEXT) | instid1(VALU_DEP_2)
	v_or_b32_e32 v68, v68, v74
	v_cmp_gt_i32_e32 vcc_lo, 32, v70
	s_delay_alu instid0(VALU_DEP_2)
	v_or_b32_e32 v71, 4, v68
	v_or_b32_e32 v72, 6, v68
	v_cmp_gt_i32_e64 s2, s17, v68
	v_or_b32_e32 v108, 8, v68
	v_wmma_f32_16x16x16_bf16 v[124:131], v[84:91], v[76:83], v[124:131]
	v_cndmask_b32_e32 v69, v69, v70, vcc_lo
	v_or_b32_e32 v70, 2, v68
	v_wmma_f32_16x16x16_bf16 v[100:107], v[92:99], v[76:83], v[100:107]
	v_or_b32_e32 v109, 10, v68
	v_dual_mul_f32 v78, s18, v131 :: v_dual_mul_f32 v83, s18, v126
	v_dual_mul_f32 v92, s18, v125 :: v_dual_mul_f32 v93, s18, v124
	s_delay_alu instid0(VALU_DEP_4) | instskip(SKIP_2) | instid1(VALU_DEP_4)
	v_mul_f32_e32 v94, s18, v107
	v_cmp_gt_i32_e32 vcc_lo, s17, v70
	v_dual_mul_f32 v81, s18, v128 :: v_dual_mul_f32 v82, s18, v127
	v_cndmask_b32_e64 v93, 0xff7fffff, v93, s2
	v_cmp_gt_i32_e64 s3, s17, v71
	v_cndmask_b32_e32 v92, 0xff7fffff, v92, vcc_lo
	v_cmp_gt_i32_e64 s4, s17, v72
	v_or_b32_e32 v84, 12, v68
	v_or_b32_e32 v85, 14, v68
	v_dual_mul_f32 v79, s18, v130 :: v_dual_mul_f32 v80, s18, v129
	v_cndmask_b32_e64 v71, 0xff7fffff, v83, s3
	v_cndmask_b32_e64 v72, 0xff7fffff, v82, s4
	v_max3_f32 v82, v93, 0xff7fffff, v92
	v_cmp_gt_i32_e64 s5, s17, v108
	v_cmp_gt_i32_e64 s6, s17, v109
	v_or_b32_e32 v86, 16, v68
	v_or_b32_e32 v87, 18, v68
	v_max3_f32 v71, v82, v71, v72
	v_cndmask_b32_e64 v81, 0xff7fffff, v81, s5
	v_cndmask_b32_e64 v80, 0xff7fffff, v80, s6
	v_cmp_gt_i32_e64 s7, s17, v84
	v_cmp_gt_i32_e64 s8, s17, v85
	v_or_b32_e32 v88, 20, v68
	v_or_b32_e32 v89, 22, v68
	;; [unrolled: 1-line block ×6, first 2 shown]
	v_dual_mul_f32 v99, s18, v102 :: v_dual_mul_f32 v70, s18, v101
	v_mul_f32_e32 v68, s18, v100
	v_cndmask_b32_e64 v72, 0xff7fffff, v79, s7
	v_cndmask_b32_e64 v78, 0xff7fffff, v78, s8
	v_max3_f32 v71, v71, v81, v80
	v_cmp_gt_i32_e64 s9, s17, v86
	v_cmp_gt_i32_e64 s10, s17, v87
	v_dual_mul_f32 v97, s18, v104 :: v_dual_mul_f32 v98, s18, v103
	s_delay_alu instid0(VALU_DEP_4) | instskip(SKIP_1) | instid1(VALU_DEP_4)
	v_max3_f32 v71, v71, v72, v78
	v_cmp_gt_i32_e64 s11, s17, v88
	v_cndmask_b32_e64 v70, 0xff7fffff, v70, s10
	v_cmp_gt_i32_e64 s12, s17, v89
	v_lshlrev_b32_e32 v89, 2, v69
	v_cndmask_b32_e64 v68, 0xff7fffff, v68, s9
	v_dual_mul_f32 v95, s18, v106 :: v_dual_mul_f32 v96, s18, v105
	v_cndmask_b32_e64 v72, 0xff7fffff, v99, s11
	v_cndmask_b32_e64 v78, 0xff7fffff, v98, s12
	s_delay_alu instid0(VALU_DEP_4)
	v_max3_f32 v68, v71, v68, v70
	v_cmp_gt_i32_e64 s13, s17, v90
	v_cmp_gt_i32_e64 s15, s17, v91
	;; [unrolled: 1-line block ×4, first 2 shown]
	v_max3_f32 v68, v68, v72, v78
	v_cndmask_b32_e64 v70, 0xff7fffff, v97, s13
	v_cndmask_b32_e64 v71, 0xff7fffff, v96, s15
	;; [unrolled: 1-line block ×4, first 2 shown]
	s_delay_alu instid0(VALU_DEP_3) | instskip(NEXT) | instid1(VALU_DEP_1)
	v_max3_f32 v68, v68, v70, v71
	v_max3_f32 v68, v68, v72, v76
	ds_bpermute_b32 v69, v89, v68
	s_waitcnt lgkmcnt(0)
	v_max_f32_e32 v69, v69, v69
	s_delay_alu instid0(VALU_DEP_1) | instskip(NEXT) | instid1(VALU_DEP_1)
	v_max_f32_e32 v68, v68, v69
	v_fma_f32 v71, s18, v126, -v68
	s_delay_alu instid0(VALU_DEP_1)
	v_mul_f32_e32 v71, 0x3fb8aa3b, v71
	v_fma_f32 v69, s18, v124, -v68
	v_fma_f32 v70, s18, v125, -v68
	;; [unrolled: 1-line block ×4, first 2 shown]
	v_exp_f32_e32 v71, v71
	s_delay_alu instid0(VALU_DEP_3) | instskip(SKIP_2) | instid1(VALU_DEP_3)
	v_dual_mul_f32 v69, 0x3fb8aa3b, v69 :: v_dual_mul_f32 v70, 0x3fb8aa3b, v70
	v_fma_f32 v78, s18, v130, -v68
	v_fma_f32 v81, s18, v105, -v68
	v_exp_f32_e32 v69, v69
	s_delay_alu instid0(VALU_DEP_3) | instskip(SKIP_1) | instid1(VALU_DEP_2)
	v_exp_f32_e32 v70, v70
	v_mul_f32_e32 v77, 0x3fb8aa3b, v76
	v_mul_f32_e32 v81, 0x3fb8aa3b, v81
	s_delay_alu instid0(TRANS32_DEP_3) | instskip(SKIP_1) | instid1(VALU_DEP_3)
	v_cndmask_b32_e64 v83, 0, v71, s3
	v_fma_f32 v71, s18, v131, -v68
	v_exp_f32_e32 v81, v81
	s_delay_alu instid0(TRANS32_DEP_3) | instskip(NEXT) | instid1(TRANS32_DEP_2)
	v_cndmask_b32_e64 v80, 0, v69, s2
	v_cndmask_b32_e32 v76, 0, v70, vcc_lo
	v_fma_f32 v69, s18, v129, -v68
	v_mul_f32_e32 v72, 0x3fb8aa3b, v72
	v_exp_f32_e32 v77, v77
	v_dual_add_f32 v70, 0, v80 :: v_dual_mul_f32 v71, 0x3fb8aa3b, v71
	s_delay_alu instid0(VALU_DEP_3) | instskip(NEXT) | instid1(VALU_DEP_3)
	v_mul_f32_e32 v69, 0x3fb8aa3b, v69
	v_exp_f32_e32 v72, v72
	s_mov_b32 s2, exec_lo
	s_delay_alu instid0(VALU_DEP_2) | instskip(NEXT) | instid1(VALU_DEP_1)
	v_exp_f32_e32 v71, v71
	v_exp_f32_e32 v69, v69
	v_cndmask_b32_e64 v86, 0, v77, s5
	v_fma_f32 v77, s18, v101, -v68
	v_add_f32_e32 v70, v70, v76
	s_delay_alu instid0(TRANS32_DEP_3) | instskip(SKIP_1) | instid1(VALU_DEP_3)
	v_cndmask_b32_e64 v85, 0, v72, s4
	v_fma_f32 v72, s18, v100, -v68
	v_dual_mul_f32 v77, 0x3fb8aa3b, v77 :: v_dual_add_f32 v70, v70, v83
	s_delay_alu instid0(TRANS32_DEP_2) | instskip(SKIP_1) | instid1(TRANS32_DEP_1)
	v_cndmask_b32_e64 v88, 0, v71, s8
	v_fma_f32 v71, s18, v104, -v68
	v_cndmask_b32_e64 v87, 0, v69, s6
	s_delay_alu instid0(VALU_DEP_4) | instskip(NEXT) | instid1(VALU_DEP_2)
	v_exp_f32_e32 v77, v77
	v_dual_add_f32 v70, v70, v85 :: v_dual_mul_f32 v71, 0x3fb8aa3b, v71
	s_delay_alu instid0(VALU_DEP_1) | instskip(SKIP_2) | instid1(VALU_DEP_3)
	v_dual_mul_f32 v72, 0x3fb8aa3b, v72 :: v_dual_add_f32 v69, v70, v86
	v_mul_f32_e32 v78, 0x3fb8aa3b, v78
	v_fma_f32 v70, s18, v102, -v68
	v_exp_f32_e32 v72, v72
	v_exp_f32_e32 v82, v71
	v_add_f32_e32 v69, v69, v87
	v_exp_f32_e32 v78, v78
	v_mul_f32_e32 v70, 0x3fb8aa3b, v70
	s_delay_alu instid0(VALU_DEP_1) | instskip(SKIP_4) | instid1(VALU_DEP_2)
	v_exp_f32_e32 v79, v70
	v_cndmask_b32_e64 v70, 0, v72, s9
	s_waitcnt_depctr 0xfff
	v_cndmask_b32_e64 v84, 0, v78, s7
	v_fma_f32 v78, s18, v103, -v68
	v_add_f32_e32 v69, v69, v84
	v_cndmask_b32_e64 v71, 0, v79, s11
	s_delay_alu instid0(VALU_DEP_2) | instskip(SKIP_2) | instid1(VALU_DEP_1)
	v_add_f32_e32 v72, v69, v88
	v_cndmask_b32_e64 v69, 0, v77, s10
	v_fma_f32 v77, s18, v106, -v68
	v_dual_mul_f32 v77, 0x3fb8aa3b, v77 :: v_dual_add_f32 v72, v72, v70
	v_mul_f32_e32 v78, 0x3fb8aa3b, v78
	s_delay_alu instid0(VALU_DEP_2) | instskip(NEXT) | instid1(VALU_DEP_2)
	v_exp_f32_e32 v90, v77
	v_add_f32_e32 v79, v72, v69
	s_delay_alu instid0(VALU_DEP_2)
	v_exp_f32_e32 v78, v78
	v_cndmask_b32_e64 v77, 0, v82, s13
	s_waitcnt_depctr 0xfff
	v_cndmask_b32_e64 v72, 0, v78, s12
	v_add_f32_e32 v78, v79, v71
	v_fma_f32 v79, s18, v107, -v68
	s_delay_alu instid0(VALU_DEP_1) | instskip(SKIP_1) | instid1(VALU_DEP_2)
	v_dual_add_f32 v82, v78, v72 :: v_dual_mul_f32 v79, 0x3fb8aa3b, v79
	v_cndmask_b32_e64 v78, 0, v81, s15
	v_add_f32_e32 v81, v82, v77
	s_delay_alu instid0(VALU_DEP_3) | instskip(SKIP_1) | instid1(VALU_DEP_2)
	v_exp_f32_e32 v82, v79
	v_cndmask_b32_e64 v79, 0, v90, s16
	v_add_f32_e32 v81, v81, v78
	s_delay_alu instid0(VALU_DEP_1) | instskip(SKIP_2) | instid1(VALU_DEP_1)
	v_add_f32_e32 v90, v81, v79
	s_waitcnt_depctr 0xfff
	v_cndmask_b32_e64 v81, 0, v82, s17
	v_add_f32_e32 v82, v90, v81
	ds_bpermute_b32 v89, v89, v82
	v_cmpx_gt_u32_e32 16, v67
	s_cbranch_execz .LBB1605_12
; %bb.11:
	v_mul_u32_u24_e32 v67, 0x44, v65
	s_delay_alu instid0(VALU_DEP_1) | instskip(SKIP_1) | instid1(VALU_DEP_1)
	v_lshl_add_u32 v67, v66, 2, v67
	s_waitcnt lgkmcnt(0)
	v_dual_add_f32 v82, v82, v89 :: v_dual_add_nc_u32 v67, 0x4000, v67
	ds_store_2addr_b32 v67, v68, v82 offset1:136
.LBB1605_12:
	s_or_b32 exec_lo, exec_lo, s2
	v_lshlrev_b32_e32 v67, 2, v66
	s_waitcnt lgkmcnt(0)
	s_barrier
	buffer_gl0_inv
	v_cmp_eq_u32_e32 vcc_lo, 1, v65
	v_add_nc_u32_e32 v82, 0x4000, v67
	v_cmp_eq_u32_e64 s2, 2, v65
	v_cmp_eq_u32_e64 s4, 7, v65
	ds_load_2addr_b32 v[89:90], v82 offset1:17
	ds_load_2addr_b32 v[91:92], v82 offset0:34 offset1:51
	ds_load_2addr_b32 v[93:94], v82 offset0:68 offset1:85
	;; [unrolled: 1-line block ×4, first 2 shown]
	s_waitcnt lgkmcnt(4)
	v_max3_f32 v67, v89, 0xff7fffff, v90
	s_waitcnt lgkmcnt(3)
	s_delay_alu instid0(VALU_DEP_1) | instskip(SKIP_1) | instid1(VALU_DEP_1)
	v_max3_f32 v67, v67, v91, v92
	s_waitcnt lgkmcnt(2)
	v_max3_f32 v67, v67, v93, v94
	s_waitcnt lgkmcnt(1)
	s_delay_alu instid0(VALU_DEP_1) | instskip(NEXT) | instid1(VALU_DEP_1)
	v_max3_f32 v67, v67, v95, v96
	v_sub_f32_e32 v93, v93, v67
	s_delay_alu instid0(VALU_DEP_1) | instskip(NEXT) | instid1(VALU_DEP_1)
	v_dual_sub_f32 v68, v89, v67 :: v_dual_mul_f32 v103, 0x3fb8aa3b, v93
	v_mul_f32_e32 v68, 0x3fb8aa3b, v68
	s_delay_alu instid0(VALU_DEP_1)
	v_exp_f32_e32 v100, v68
	v_sub_f32_e32 v68, v92, v67
	v_sub_f32_e32 v99, v90, v67
	ds_load_2addr_b32 v[89:90], v82 offset0:170 offset1:187
	v_dual_mul_f32 v102, 0x3fb8aa3b, v68 :: v_dual_mul_f32 v99, 0x3fb8aa3b, v99
	s_waitcnt lgkmcnt(1)
	v_fma_f32 v68, v100, v97, 0
	s_delay_alu instid0(VALU_DEP_2) | instskip(NEXT) | instid1(VALU_DEP_2)
	v_exp_f32_e32 v102, v102
	v_exp_f32_e32 v99, v99
	s_waitcnt_depctr 0xfff
	v_fmac_f32_e32 v68, v99, v98
	v_sub_f32_e32 v91, v91, v67
	s_delay_alu instid0(VALU_DEP_1)
	v_mul_f32_e32 v101, 0x3fb8aa3b, v91
	ds_load_2addr_b32 v[91:92], v82 offset0:204 offset1:221
	v_sub_f32_e32 v97, v94, v67
	ds_load_2addr_b32 v[93:94], v82 offset0:238 offset1:255
	s_waitcnt lgkmcnt(0)
	v_exp_f32_e32 v101, v101
	s_barrier
	buffer_gl0_inv
	v_dual_fmac_f32 v68, v101, v89 :: v_dual_sub_f32 v89, v96, v67
	v_dual_sub_f32 v82, v95, v67 :: v_dual_mul_f32 v95, 0x3fb8aa3b, v97
	v_exp_f32_e32 v97, v103
	s_delay_alu instid0(VALU_DEP_2) | instskip(NEXT) | instid1(VALU_DEP_2)
	v_dual_fmac_f32 v68, v102, v90 :: v_dual_mul_f32 v89, 0x3fb8aa3b, v89
	v_mul_f32_e32 v82, 0x3fb8aa3b, v82
	s_delay_alu instid0(VALU_DEP_3) | instskip(NEXT) | instid1(VALU_DEP_2)
	v_exp_f32_e32 v95, v95
	v_exp_f32_e32 v89, v89
	s_delay_alu instid0(VALU_DEP_1)
	v_exp_f32_e32 v82, v82
	v_fmac_f32_e32 v68, v97, v91
	s_delay_alu instid0(TRANS32_DEP_3) | instid1(VALU_DEP_1)
	v_fmac_f32_e32 v68, v95, v92
	s_waitcnt_depctr 0xfff
	v_fmac_f32_e32 v68, v82, v93
	s_delay_alu instid0(VALU_DEP_1) | instskip(NEXT) | instid1(VALU_DEP_1)
	v_fmac_f32_e32 v68, v89, v94
	v_add_f32_e32 v90, 0x358637bd, v68
	s_delay_alu instid0(VALU_DEP_1) | instskip(NEXT) | instid1(VALU_DEP_1)
	v_div_scale_f32 v91, null, v90, v90, 1.0
	v_rcp_f32_e32 v92, v91
	s_waitcnt_depctr 0xfff
	v_fma_f32 v93, -v91, v92, 1.0
	s_delay_alu instid0(VALU_DEP_1) | instskip(SKIP_1) | instid1(VALU_DEP_2)
	v_dual_fmac_f32 v92, v93, v92 :: v_dual_cndmask_b32 v93, v100, v99
	v_cmp_eq_u32_e32 vcc_lo, 3, v65
	v_cndmask_b32_e64 v93, v93, v101, s2
	v_cmp_eq_u32_e64 s2, 4, v65
	s_delay_alu instid0(VALU_DEP_2) | instskip(SKIP_1) | instid1(VALU_DEP_2)
	v_cndmask_b32_e32 v93, v93, v102, vcc_lo
	v_cmp_eq_u32_e32 vcc_lo, 5, v65
	v_cndmask_b32_e64 v93, v93, v97, s2
	v_cmp_eq_u32_e64 s2, 6, v65
	s_delay_alu instid0(VALU_DEP_2) | instskip(SKIP_1) | instid1(VALU_DEP_1)
	v_cndmask_b32_e32 v93, v93, v95, vcc_lo
	v_div_scale_f32 v94, s3, 1.0, v90, 1.0
	s_mov_b32 vcc_lo, s3
	s_delay_alu instid0(VALU_DEP_2) | instskip(NEXT) | instid1(VALU_DEP_2)
	v_cndmask_b32_e64 v82, v93, v82, s2
	v_mul_f32_e32 v96, v94, v92
	s_mov_b32 s2, exec_lo
	s_delay_alu instid0(VALU_DEP_2) | instskip(NEXT) | instid1(VALU_DEP_2)
	v_cndmask_b32_e64 v82, v82, v89, s4
	v_fma_f32 v98, -v91, v96, v94
	s_delay_alu instid0(VALU_DEP_1) | instskip(NEXT) | instid1(VALU_DEP_1)
	v_fmac_f32_e32 v96, v98, v92
	v_fma_f32 v91, -v91, v96, v94
	s_delay_alu instid0(VALU_DEP_1) | instskip(NEXT) | instid1(VALU_DEP_1)
	v_div_fmas_f32 v91, v91, v92, v96
	v_div_fixup_f32 v90, v91, v90, 1.0
	s_delay_alu instid0(VALU_DEP_1) | instskip(NEXT) | instid1(VALU_DEP_1)
	v_mul_f32_e32 v82, v82, v90
	v_mul_f32_e32 v87, v82, v87
	;; [unrolled: 1-line block ×7, first 2 shown]
	v_dual_mul_f32 v86, v82, v83 :: v_dual_and_b32 v91, 0x7f800000, v90
	v_mul_f32_e32 v85, v82, v76
                                        ; implicit-def: $vgpr76
	s_delay_alu instid0(VALU_DEP_2)
	v_cmpx_ne_u32_e32 0x7f800000, v91
	s_xor_b32 s2, exec_lo, s2
; %bb.13:
	v_bfe_u32 v76, v90, 16, 1
	s_delay_alu instid0(VALU_DEP_1)
	v_add3_u32 v76, v90, v76, 0x7fff
                                        ; implicit-def: $vgpr90
; %bb.14:
	s_and_not1_saveexec_b32 s2, s2
; %bb.15:
	v_and_b32_e32 v76, 0xffff, v90
	v_or_b32_e32 v83, 0x10000, v90
	s_delay_alu instid0(VALU_DEP_2) | instskip(NEXT) | instid1(VALU_DEP_2)
	v_cmp_eq_u32_e32 vcc_lo, 0, v76
	v_cndmask_b32_e32 v76, v83, v90, vcc_lo
; %bb.16:
	s_or_b32 exec_lo, exec_lo, s2
	v_and_b32_e32 v83, 0x7f800000, v85
	s_delay_alu instid0(VALU_DEP_1) | instskip(SKIP_1) | instid1(SALU_CYCLE_1)
	v_cmp_ne_u32_e32 vcc_lo, 0x7f800000, v83
                                        ; implicit-def: $vgpr83
	s_and_saveexec_b32 s2, vcc_lo
	s_xor_b32 s2, exec_lo, s2
; %bb.17:
	v_bfe_u32 v83, v85, 16, 1
	s_delay_alu instid0(VALU_DEP_1)
	v_add3_u32 v83, v85, v83, 0x7fff
                                        ; implicit-def: $vgpr85
; %bb.18:
	s_and_not1_saveexec_b32 s2, s2
; %bb.19:
	v_and_b32_e32 v83, 0xffff, v85
	v_or_b32_e32 v90, 0x10000, v85
	s_delay_alu instid0(VALU_DEP_2) | instskip(NEXT) | instid1(VALU_DEP_2)
	v_cmp_eq_u32_e32 vcc_lo, 0, v83
	v_cndmask_b32_e32 v83, v90, v85, vcc_lo
; %bb.20:
	s_or_b32 exec_lo, exec_lo, s2
	v_and_b32_e32 v85, 0x7f800000, v86
	s_delay_alu instid0(VALU_DEP_1) | instskip(SKIP_1) | instid1(SALU_CYCLE_1)
	v_cmp_ne_u32_e32 vcc_lo, 0x7f800000, v85
                                        ; implicit-def: $vgpr85
	s_and_saveexec_b32 s2, vcc_lo
	s_xor_b32 s2, exec_lo, s2
; %bb.21:
	v_bfe_u32 v85, v86, 16, 1
	s_delay_alu instid0(VALU_DEP_1)
	v_add3_u32 v85, v86, v85, 0x7fff
                                        ; implicit-def: $vgpr86
; %bb.22:
	s_and_not1_saveexec_b32 s2, s2
; %bb.23:
	v_and_b32_e32 v85, 0xffff, v86
	v_or_b32_e32 v90, 0x10000, v86
	s_delay_alu instid0(VALU_DEP_2) | instskip(NEXT) | instid1(VALU_DEP_2)
	v_cmp_eq_u32_e32 vcc_lo, 0, v85
	v_cndmask_b32_e32 v85, v90, v86, vcc_lo
; %bb.24:
	s_or_b32 exec_lo, exec_lo, s2
	v_and_b32_e32 v86, 0x7f800000, v89
	s_delay_alu instid0(VALU_DEP_1) | instskip(SKIP_1) | instid1(SALU_CYCLE_1)
	v_cmp_ne_u32_e32 vcc_lo, 0x7f800000, v86
                                        ; implicit-def: $vgpr86
	s_and_saveexec_b32 s2, vcc_lo
	s_xor_b32 s2, exec_lo, s2
; %bb.25:
	v_bfe_u32 v86, v89, 16, 1
	s_delay_alu instid0(VALU_DEP_1)
	v_add3_u32 v86, v89, v86, 0x7fff
                                        ; implicit-def: $vgpr89
; %bb.26:
	s_and_not1_saveexec_b32 s2, s2
; %bb.27:
	v_and_b32_e32 v86, 0xffff, v89
	v_or_b32_e32 v90, 0x10000, v89
	s_delay_alu instid0(VALU_DEP_2) | instskip(NEXT) | instid1(VALU_DEP_2)
	v_cmp_eq_u32_e32 vcc_lo, 0, v86
	v_cndmask_b32_e32 v86, v90, v89, vcc_lo
; %bb.28:
	s_or_b32 exec_lo, exec_lo, s2
	v_and_b32_e32 v89, 0x7f800000, v88
	s_delay_alu instid0(VALU_DEP_1) | instskip(SKIP_1) | instid1(SALU_CYCLE_1)
	v_cmp_ne_u32_e32 vcc_lo, 0x7f800000, v89
                                        ; implicit-def: $vgpr89
	s_and_saveexec_b32 s2, vcc_lo
	s_xor_b32 s2, exec_lo, s2
; %bb.29:
	v_bfe_u32 v89, v88, 16, 1
	s_delay_alu instid0(VALU_DEP_1)
	v_add3_u32 v89, v88, v89, 0x7fff
                                        ; implicit-def: $vgpr88
; %bb.30:
	s_and_not1_saveexec_b32 s2, s2
; %bb.31:
	v_and_b32_e32 v89, 0xffff, v88
	v_or_b32_e32 v90, 0x10000, v88
	s_delay_alu instid0(VALU_DEP_2) | instskip(NEXT) | instid1(VALU_DEP_2)
	v_cmp_eq_u32_e32 vcc_lo, 0, v89
	v_cndmask_b32_e32 v89, v90, v88, vcc_lo
; %bb.32:
	s_or_b32 exec_lo, exec_lo, s2
	v_and_b32_e32 v88, 0x7f800000, v87
	s_delay_alu instid0(VALU_DEP_1) | instskip(SKIP_1) | instid1(SALU_CYCLE_1)
	v_cmp_ne_u32_e32 vcc_lo, 0x7f800000, v88
                                        ; implicit-def: $vgpr88
	s_and_saveexec_b32 s2, vcc_lo
	s_xor_b32 s2, exec_lo, s2
; %bb.33:
	v_bfe_u32 v88, v87, 16, 1
	s_delay_alu instid0(VALU_DEP_1)
	v_add3_u32 v88, v87, v88, 0x7fff
                                        ; implicit-def: $vgpr87
; %bb.34:
	s_and_not1_saveexec_b32 s2, s2
; %bb.35:
	v_and_b32_e32 v88, 0xffff, v87
	v_or_b32_e32 v90, 0x10000, v87
	s_delay_alu instid0(VALU_DEP_2) | instskip(NEXT) | instid1(VALU_DEP_2)
	v_cmp_eq_u32_e32 vcc_lo, 0, v88
	v_cndmask_b32_e32 v88, v90, v87, vcc_lo
; %bb.36:
	s_or_b32 exec_lo, exec_lo, s2
	v_and_b32_e32 v87, 0x7f800000, v84
	s_delay_alu instid0(VALU_DEP_1) | instskip(SKIP_1) | instid1(SALU_CYCLE_1)
	v_cmp_ne_u32_e32 vcc_lo, 0x7f800000, v87
                                        ; implicit-def: $vgpr87
	s_and_saveexec_b32 s2, vcc_lo
	s_xor_b32 s2, exec_lo, s2
; %bb.37:
	v_bfe_u32 v87, v84, 16, 1
	s_delay_alu instid0(VALU_DEP_1)
	v_add3_u32 v87, v84, v87, 0x7fff
                                        ; implicit-def: $vgpr84
; %bb.38:
	s_and_not1_saveexec_b32 s2, s2
; %bb.39:
	v_and_b32_e32 v87, 0xffff, v84
	v_or_b32_e32 v90, 0x10000, v84
	s_delay_alu instid0(VALU_DEP_2) | instskip(NEXT) | instid1(VALU_DEP_2)
	v_cmp_eq_u32_e32 vcc_lo, 0, v87
	v_cndmask_b32_e32 v87, v90, v84, vcc_lo
; %bb.40:
	s_or_b32 exec_lo, exec_lo, s2
	v_and_b32_e32 v84, 0x7f800000, v80
	s_delay_alu instid0(VALU_DEP_1) | instskip(SKIP_1) | instid1(SALU_CYCLE_1)
	v_cmp_ne_u32_e32 vcc_lo, 0x7f800000, v84
                                        ; implicit-def: $vgpr84
	s_and_saveexec_b32 s2, vcc_lo
	s_xor_b32 s2, exec_lo, s2
; %bb.41:
	v_bfe_u32 v84, v80, 16, 1
	s_delay_alu instid0(VALU_DEP_1)
	v_add3_u32 v84, v80, v84, 0x7fff
                                        ; implicit-def: $vgpr80
; %bb.42:
	s_and_not1_saveexec_b32 s2, s2
; %bb.43:
	v_and_b32_e32 v84, 0xffff, v80
	v_or_b32_e32 v90, 0x10000, v80
	s_delay_alu instid0(VALU_DEP_2) | instskip(NEXT) | instid1(VALU_DEP_2)
	v_cmp_eq_u32_e32 vcc_lo, 0, v84
	v_cndmask_b32_e32 v84, v90, v80, vcc_lo
; %bb.44:
	s_or_b32 exec_lo, exec_lo, s2
	s_load_b64 s[34:35], s[0:1], 0x94
	v_lshlrev_b32_e32 v91, 4, v74
	s_delay_alu instid0(VALU_DEP_2)
	v_perm_b32 v90, v84, v87, 0x7060302
	v_dual_mul_f32 v77, v82, v77 :: v_dual_lshlrev_b32 v80, 6, v66
	v_lshlrev_b32_e32 v66, 11, v65
	v_perm_b32 v87, v83, v76, 0x7060302
	v_mul_f32_e32 v83, v82, v70
	v_perm_b32 v89, v88, v89, 0x7060302
	v_perm_b32 v88, v86, v85, 0x7060302
	v_or3_b32 v76, v91, v66, v80
	v_mul_f32_e32 v66, v82, v81
	v_mul_f32_e32 v70, v82, v79
	;; [unrolled: 1-line block ×3, first 2 shown]
	v_dual_mul_f32 v81, v82, v72 :: v_dual_and_b32 v84, 0x7f800000, v83
	v_mul_f32_e32 v79, v82, v71
	v_mul_f32_e32 v72, v82, v69
	s_mov_b32 s2, exec_lo
	ds_store_b128 v76, v[87:90]
                                        ; implicit-def: $vgpr69
	v_cmpx_ne_u32_e32 0x7f800000, v84
	s_xor_b32 s2, exec_lo, s2
; %bb.45:
	v_bfe_u32 v69, v83, 16, 1
	s_delay_alu instid0(VALU_DEP_1)
	v_add3_u32 v69, v83, v69, 0x7fff
                                        ; implicit-def: $vgpr83
; %bb.46:
	s_and_not1_saveexec_b32 s2, s2
; %bb.47:
	v_and_b32_e32 v69, 0xffff, v83
	v_or_b32_e32 v71, 0x10000, v83
	s_delay_alu instid0(VALU_DEP_2) | instskip(NEXT) | instid1(VALU_DEP_2)
	v_cmp_eq_u32_e32 vcc_lo, 0, v69
	v_cndmask_b32_e32 v69, v71, v83, vcc_lo
; %bb.48:
	s_or_b32 exec_lo, exec_lo, s2
	v_and_b32_e32 v71, 0x7f800000, v72
	s_delay_alu instid0(VALU_DEP_1) | instskip(SKIP_1) | instid1(SALU_CYCLE_1)
	v_cmp_ne_u32_e32 vcc_lo, 0x7f800000, v71
                                        ; implicit-def: $vgpr71
	s_and_saveexec_b32 s2, vcc_lo
	s_xor_b32 s2, exec_lo, s2
; %bb.49:
	v_bfe_u32 v71, v72, 16, 1
	s_delay_alu instid0(VALU_DEP_1)
	v_add3_u32 v71, v72, v71, 0x7fff
                                        ; implicit-def: $vgpr72
; %bb.50:
	s_and_not1_saveexec_b32 s2, s2
; %bb.51:
	v_and_b32_e32 v71, 0xffff, v72
	v_or_b32_e32 v82, 0x10000, v72
	s_delay_alu instid0(VALU_DEP_2) | instskip(NEXT) | instid1(VALU_DEP_2)
	v_cmp_eq_u32_e32 vcc_lo, 0, v71
	v_cndmask_b32_e32 v71, v82, v72, vcc_lo
; %bb.52:
	s_or_b32 exec_lo, exec_lo, s2
	v_and_b32_e32 v72, 0x7f800000, v79
	s_delay_alu instid0(VALU_DEP_1) | instskip(SKIP_1) | instid1(SALU_CYCLE_1)
	v_cmp_ne_u32_e32 vcc_lo, 0x7f800000, v72
                                        ; implicit-def: $vgpr72
	s_and_saveexec_b32 s2, vcc_lo
	s_xor_b32 s2, exec_lo, s2
; %bb.53:
	v_bfe_u32 v72, v79, 16, 1
	s_delay_alu instid0(VALU_DEP_1)
	v_add3_u32 v72, v79, v72, 0x7fff
                                        ; implicit-def: $vgpr79
; %bb.54:
	s_and_not1_saveexec_b32 s2, s2
; %bb.55:
	v_and_b32_e32 v72, 0xffff, v79
	v_or_b32_e32 v82, 0x10000, v79
	s_delay_alu instid0(VALU_DEP_2) | instskip(NEXT) | instid1(VALU_DEP_2)
	v_cmp_eq_u32_e32 vcc_lo, 0, v72
	v_cndmask_b32_e32 v72, v82, v79, vcc_lo
; %bb.56:
	s_or_b32 exec_lo, exec_lo, s2
	v_and_b32_e32 v79, 0x7f800000, v81
	s_delay_alu instid0(VALU_DEP_1) | instskip(SKIP_1) | instid1(SALU_CYCLE_1)
	v_cmp_ne_u32_e32 vcc_lo, 0x7f800000, v79
                                        ; implicit-def: $vgpr79
	s_and_saveexec_b32 s2, vcc_lo
	s_xor_b32 s2, exec_lo, s2
; %bb.57:
	v_bfe_u32 v79, v81, 16, 1
	s_delay_alu instid0(VALU_DEP_1)
	v_add3_u32 v79, v81, v79, 0x7fff
                                        ; implicit-def: $vgpr81
; %bb.58:
	s_and_not1_saveexec_b32 s2, s2
; %bb.59:
	v_and_b32_e32 v79, 0xffff, v81
	v_or_b32_e32 v82, 0x10000, v81
	s_delay_alu instid0(VALU_DEP_2) | instskip(NEXT) | instid1(VALU_DEP_2)
	v_cmp_eq_u32_e32 vcc_lo, 0, v79
	v_cndmask_b32_e32 v79, v82, v81, vcc_lo
; %bb.60:
	s_or_b32 exec_lo, exec_lo, s2
	v_and_b32_e32 v81, 0x7f800000, v77
	s_delay_alu instid0(VALU_DEP_1) | instskip(SKIP_1) | instid1(SALU_CYCLE_1)
	v_cmp_ne_u32_e32 vcc_lo, 0x7f800000, v81
                                        ; implicit-def: $vgpr81
	s_and_saveexec_b32 s2, vcc_lo
	s_xor_b32 s2, exec_lo, s2
; %bb.61:
	v_bfe_u32 v81, v77, 16, 1
	s_delay_alu instid0(VALU_DEP_1)
	v_add3_u32 v81, v77, v81, 0x7fff
                                        ; implicit-def: $vgpr77
; %bb.62:
	s_and_not1_saveexec_b32 s2, s2
; %bb.63:
	v_and_b32_e32 v81, 0xffff, v77
	v_or_b32_e32 v82, 0x10000, v77
	s_delay_alu instid0(VALU_DEP_2) | instskip(NEXT) | instid1(VALU_DEP_2)
	v_cmp_eq_u32_e32 vcc_lo, 0, v81
	v_cndmask_b32_e32 v81, v82, v77, vcc_lo
; %bb.64:
	s_or_b32 exec_lo, exec_lo, s2
	v_and_b32_e32 v77, 0x7f800000, v78
	s_delay_alu instid0(VALU_DEP_1) | instskip(SKIP_1) | instid1(SALU_CYCLE_1)
	v_cmp_ne_u32_e32 vcc_lo, 0x7f800000, v77
                                        ; implicit-def: $vgpr77
	s_and_saveexec_b32 s2, vcc_lo
	s_xor_b32 s2, exec_lo, s2
; %bb.65:
	v_bfe_u32 v77, v78, 16, 1
	s_delay_alu instid0(VALU_DEP_1)
	v_add3_u32 v77, v78, v77, 0x7fff
                                        ; implicit-def: $vgpr78
; %bb.66:
	s_and_not1_saveexec_b32 s2, s2
; %bb.67:
	v_and_b32_e32 v77, 0xffff, v78
	v_or_b32_e32 v82, 0x10000, v78
	s_delay_alu instid0(VALU_DEP_2) | instskip(NEXT) | instid1(VALU_DEP_2)
	v_cmp_eq_u32_e32 vcc_lo, 0, v77
	v_cndmask_b32_e32 v77, v82, v78, vcc_lo
; %bb.68:
	s_or_b32 exec_lo, exec_lo, s2
	v_and_b32_e32 v78, 0x7f800000, v70
	s_delay_alu instid0(VALU_DEP_1) | instskip(SKIP_1) | instid1(SALU_CYCLE_1)
	v_cmp_ne_u32_e32 vcc_lo, 0x7f800000, v78
                                        ; implicit-def: $vgpr78
	s_and_saveexec_b32 s2, vcc_lo
	s_xor_b32 s2, exec_lo, s2
; %bb.69:
	v_bfe_u32 v78, v70, 16, 1
	s_delay_alu instid0(VALU_DEP_1)
	v_add3_u32 v78, v70, v78, 0x7fff
                                        ; implicit-def: $vgpr70
; %bb.70:
	s_and_not1_saveexec_b32 s2, s2
; %bb.71:
	v_and_b32_e32 v78, 0xffff, v70
	v_or_b32_e32 v82, 0x10000, v70
	s_delay_alu instid0(VALU_DEP_2) | instskip(NEXT) | instid1(VALU_DEP_2)
	v_cmp_eq_u32_e32 vcc_lo, 0, v78
	v_cndmask_b32_e32 v78, v82, v70, vcc_lo
; %bb.72:
	s_or_b32 exec_lo, exec_lo, s2
	v_and_b32_e32 v70, 0x7f800000, v66
	s_delay_alu instid0(VALU_DEP_1) | instskip(SKIP_1) | instid1(SALU_CYCLE_1)
	v_cmp_ne_u32_e32 vcc_lo, 0x7f800000, v70
                                        ; implicit-def: $vgpr70
	s_and_saveexec_b32 s2, vcc_lo
	s_xor_b32 s2, exec_lo, s2
; %bb.73:
	v_bfe_u32 v70, v66, 16, 1
	s_delay_alu instid0(VALU_DEP_1)
	v_add3_u32 v70, v66, v70, 0x7fff
                                        ; implicit-def: $vgpr66
; %bb.74:
	s_and_not1_saveexec_b32 s2, s2
; %bb.75:
	v_and_b32_e32 v70, 0xffff, v66
	v_or_b32_e32 v82, 0x10000, v66
	s_delay_alu instid0(VALU_DEP_2) | instskip(NEXT) | instid1(VALU_DEP_2)
	v_cmp_eq_u32_e32 vcc_lo, 0, v70
	v_cndmask_b32_e32 v70, v82, v66, vcc_lo
; %bb.76:
	s_or_b32 exec_lo, exec_lo, s2
	s_delay_alu instid0(VALU_DEP_1)
	v_perm_b32 v86, v70, v78, 0x7060302
	v_perm_b32 v85, v77, v81, 0x7060302
	;; [unrolled: 1-line block ×4, first 2 shown]
	v_lshl_or_b32 v82, v65, 11, v80
	ds_store_b128 v76, v[83:86] offset:1024
	s_waitcnt lgkmcnt(0)
	s_barrier
	buffer_gl0_inv
	ds_load_b128 v[69:72], v82
	ds_load_b128 v[83:86], v82 offset:16
	s_waitcnt lgkmcnt(1)
	v_lshrrev_b32_e32 v65, 16, v69
	v_lshlrev_b32_e32 v78, 2, v74
	s_waitcnt lgkmcnt(0)
	v_lshrrev_b32_e32 v91, 16, v83
	v_lshrrev_b32_e32 v66, 16, v70
	;; [unrolled: 1-line block ×4, first 2 shown]
	v_cmp_eq_u32_e32 vcc_lo, 1, v78
	v_lshrrev_b32_e32 v98, 16, v85
	v_lshrrev_b32_e32 v96, 16, v72
	;; [unrolled: 1-line block ×3, first 2 shown]
	v_cndmask_b32_e32 v81, v69, v65, vcc_lo
	v_or_b32_e32 v79, 1, v78
	v_cmp_eq_u32_e64 s3, 2, v78
	v_cndmask_b32_e32 v87, v83, v91, vcc_lo
	v_cmp_eq_u32_e64 s6, 3, v78
	v_cmp_eq_u32_e64 s8, 4, v78
	v_cmp_eq_u32_e64 s2, 1, v79
	v_cndmask_b32_e64 v81, v81, v70, s3
	v_cmp_eq_u32_e64 s5, 2, v79
	v_cndmask_b32_e64 v87, v87, v84, s3
	v_cmp_eq_u32_e64 s7, 3, v79
	v_cndmask_b32_e64 v88, v69, v65, s2
	v_cndmask_b32_e64 v81, v81, v66, s6
	v_or_b32_e32 v77, 2, v78
	v_cndmask_b32_e64 v87, v87, v97, s6
	v_cndmask_b32_e64 v89, v83, v91, s2
	;; [unrolled: 1-line block ×4, first 2 shown]
	v_cmp_eq_u32_e64 s9, 5, v78
	v_cndmask_b32_e64 v87, v87, v85, s8
	v_cmp_eq_u32_e64 s10, 4, v79
	v_cndmask_b32_e64 v88, v88, v66, s7
	;; [unrolled: 2-line block ×3, first 2 shown]
	v_cndmask_b32_e64 v81, v81, v95, s9
	v_cmp_eq_u32_e64 s11, 6, v78
	v_cndmask_b32_e64 v88, v88, v71, s10
	v_cndmask_b32_e64 v87, v87, v98, s9
	v_cmp_eq_u32_e64 s12, 5, v79
	v_cndmask_b32_e64 v90, v69, v65, s4
	v_cndmask_b32_e64 v89, v89, v97, s7
	;; [unrolled: 1-line block ×3, first 2 shown]
	v_cmp_eq_u32_e64 s13, 7, v78
	v_cndmask_b32_e64 v88, v88, v95, s12
	v_cndmask_b32_e64 v87, v87, v86, s11
	v_cmp_eq_u32_e64 s15, 6, v79
	v_cmp_eq_u32_e64 s16, 2, v77
	v_cndmask_b32_e64 v89, v89, v85, s10
	v_cndmask_b32_e64 v100, v81, v96, s13
	;; [unrolled: 1-line block ×6, first 2 shown]
	v_cmp_eq_u32_e64 s17, 7, v79
	v_cmp_eq_u32_e64 s18, 3, v77
	;; [unrolled: 1-line block ×4, first 2 shown]
	v_cndmask_b32_e64 v87, v87, v84, s16
	v_cndmask_b32_e64 v102, v88, v96, s17
	;; [unrolled: 1-line block ×4, first 2 shown]
	v_or_b32_e32 v81, 3, v78
	v_cndmask_b32_e64 v93, v87, v97, s18
	v_cmp_eq_u32_e64 s23, 6, v77
	v_cndmask_b32_e64 v103, v88, v86, s15
	v_cndmask_b32_e64 v92, v89, v71, s19
	v_cmp_eq_u32_e64 s20, 1, v81
	ds_load_b128 v[87:90], v82 offset:1024
	v_cmp_eq_u32_e64 s22, 2, v81
	v_cmp_eq_u32_e64 s24, 3, v81
	v_cndmask_b32_e64 v104, v92, v95, s21
	v_cndmask_b32_e64 v65, v69, v65, s20
	;; [unrolled: 1-line block ×4, first 2 shown]
	ds_load_b128 v[91:94], v82 offset:1040
	v_cmp_eq_u32_e64 s25, 4, v81
	v_cndmask_b32_e64 v65, v65, v70, s22
	v_cmp_eq_u32_e64 s27, 5, v81
	v_cndmask_b32_e64 v70, v83, v84, s22
	;; [unrolled: 2-line block ×3, first 2 shown]
	v_cndmask_b32_e64 v65, v65, v66, s24
	v_cndmask_b32_e64 v66, v104, v72, s23
	;; [unrolled: 1-line block ×3, first 2 shown]
	v_cmp_eq_u32_e64 s26, 7, v77
	v_cndmask_b32_e64 v69, v69, v86, s23
	v_cndmask_b32_e64 v65, v65, v71, s25
	s_waitcnt lgkmcnt(1)
	v_lshrrev_b32_e32 v84, 16, v87
	v_cndmask_b32_e64 v70, v70, v85, s25
	v_cndmask_b32_e64 v83, v103, v99, s17
	;; [unrolled: 1-line block ×4, first 2 shown]
	v_lshrrev_b32_e32 v95, 16, v88
	v_cndmask_b32_e64 v70, v70, v98, s27
	s_waitcnt lgkmcnt(0)
	v_lshrrev_b32_e32 v85, 16, v91
	v_cndmask_b32_e64 v97, v87, v84, s2
	v_cndmask_b32_e64 v65, v65, v72, s28
	;; [unrolled: 1-line block ×4, first 2 shown]
	v_cndmask_b32_e32 v71, v87, v84, vcc_lo
	v_cndmask_b32_e32 v98, v91, v85, vcc_lo
	v_cmp_eq_u32_e32 vcc_lo, 7, v81
	v_cndmask_b32_e64 v72, v97, v88, s5
	v_lshrrev_b32_e32 v97, 16, v92
	v_lshrrev_b32_e32 v103, 16, v90
	v_dual_cndmask_b32 v65, v65, v96 :: v_dual_cndmask_b32 v70, v70, v99
	v_cndmask_b32_e64 v71, v71, v88, s3
	v_cndmask_b32_e64 v86, v98, v92, s3
	;; [unrolled: 1-line block ×3, first 2 shown]
	v_lshrrev_b32_e32 v98, 16, v89
	v_lshrrev_b32_e32 v99, 16, v93
	v_cndmask_b32_e64 v71, v71, v95, s6
	v_cndmask_b32_e64 v86, v86, v97, s6
	v_cndmask_b32_e64 v96, v72, v89, s10
	v_perm_b32 v72, v70, v65, 0x5040100
	v_perm_b32 v70, v83, v102, 0x5040100
	v_cndmask_b32_e64 v71, v71, v89, s8
	v_cndmask_b32_e64 v86, v86, v93, s8
	;; [unrolled: 1-line block ×3, first 2 shown]
	v_lshrrev_b32_e32 v83, 16, v94
	s_delay_alu instid0(VALU_DEP_4) | instskip(NEXT) | instid1(VALU_DEP_4)
	v_cndmask_b32_e64 v71, v71, v98, s9
	v_cndmask_b32_e64 v86, v86, v99, s9
	s_delay_alu instid0(VALU_DEP_4) | instskip(NEXT) | instid1(VALU_DEP_3)
	v_cndmask_b32_e64 v65, v65, v90, s15
	v_cndmask_b32_e64 v96, v71, v90, s11
	v_perm_b32 v71, v69, v66, 0x5040100
	s_delay_alu instid0(VALU_DEP_4)
	v_cndmask_b32_e64 v69, v86, v94, s11
	v_cndmask_b32_e64 v86, v87, v84, s4
	;; [unrolled: 1-line block ×34, first 2 shown]
	v_cndmask_b32_e32 v84, v84, v103, vcc_lo
	v_cndmask_b32_e32 v86, v87, v83, vcc_lo
	v_cndmask_b32_e64 v87, v88, v83, s26
	v_cndmask_b32_e64 v88, v85, v83, s17
	;; [unrolled: 1-line block ×3, first 2 shown]
	v_perm_b32 v69, v101, v100, 0x5040100
	v_perm_b32 v86, v86, v84, 0x5040100
	;; [unrolled: 1-line block ×5, first 2 shown]
	s_lshl_b32 s7, s35, 2
	s_mov_b32 s2, exec_lo
	ds_store_b128 v76, v[69:72]
	ds_store_b128 v76, v[83:86] offset:1024
	v_cmpx_gt_u32_e32 4, v0
	s_cbranch_execz .LBB1605_78
; %bb.77:
	v_or_b32_e32 v65, s29, v0
	s_load_b128 s[8:11], s[0:1], 0x58
	s_delay_alu instid0(VALU_DEP_1) | instskip(NEXT) | instid1(VALU_DEP_1)
	v_mad_u64_u32 v[69:70], null, s7, s30, v[65:66]
	v_mad_u64_u32 v[65:66], null, v69, s34, s[14:15]
	s_delay_alu instid0(VALU_DEP_1) | instskip(NEXT) | instid1(VALU_DEP_1)
	v_ashrrev_i32_e32 v66, 31, v65
	v_lshlrev_b64 v[65:66], 2, v[65:66]
	s_waitcnt lgkmcnt(0)
	s_delay_alu instid0(VALU_DEP_1) | instskip(NEXT) | instid1(VALU_DEP_2)
	v_add_co_u32 v69, vcc_lo, s10, v65
	v_add_co_ci_u32_e32 v70, vcc_lo, s11, v66, vcc_lo
	v_add_co_u32 v65, vcc_lo, s8, v65
	v_add_co_ci_u32_e32 v66, vcc_lo, s9, v66, vcc_lo
	global_store_b32 v[69:70], v67, off
	global_store_b32 v[65:66], v68, off
.LBB1605_78:
	s_or_b32 exec_lo, exec_lo, s2
	s_waitcnt lgkmcnt(0)
	s_waitcnt_vscnt null, 0x0
	s_barrier
	buffer_gl0_inv
	ds_load_b128 v[83:86], v80
	ds_load_b128 v[87:90], v80 offset:16
	ds_load_b128 v[95:98], v80 offset:2064
	ds_load_b128 v[91:94], v80 offset:2048
	v_mov_b32_e32 v65, 0
	ds_load_b128 v[103:106], v80 offset:4112
	ds_load_b128 v[99:102], v80 offset:4096
	;; [unrolled: 1-line block ×4, first 2 shown]
	v_mov_b32_e32 v66, v65
	v_mov_b32_e32 v67, v65
	;; [unrolled: 1-line block ×7, first 2 shown]
	s_waitcnt lgkmcnt(6)
	s_delay_alu instid0(VALU_DEP_1)
	v_wmma_f32_16x16x16_bf16 v[65:72], v[49:56], v[83:90], v[65:72]
	ds_load_b128 v[53:56], v80 offset:8208
	ds_load_b128 v[49:52], v80 offset:8192
	s_waitcnt lgkmcnt(6)
	v_wmma_f32_16x16x16_bf16 v[65:72], v[41:48], v[91:98], v[65:72]
	ds_load_b128 v[45:48], v80 offset:10256
	ds_load_b128 v[41:44], v80 offset:10240
	s_waitcnt lgkmcnt(6)
	;; [unrolled: 4-line block ×4, first 2 shown]
	v_wmma_f32_16x16x16_bf16 v[65:72], v[1:8], v[49:56], v[65:72]
	s_waitcnt lgkmcnt(4)
	s_delay_alu instid0(VALU_DEP_1) | instskip(SKIP_1) | instid1(VALU_DEP_1)
	v_wmma_f32_16x16x16_bf16 v[65:72], v[9:16], v[41:48], v[65:72]
	s_waitcnt lgkmcnt(2)
	v_wmma_f32_16x16x16_bf16 v[65:72], v[17:24], v[33:40], v[65:72]
	s_waitcnt lgkmcnt(0)
	s_delay_alu instid0(VALU_DEP_1) | instskip(NEXT) | instid1(VALU_DEP_1)
	v_wmma_f32_16x16x16_bf16 v[65:72], v[57:64], v[25:32], v[65:72]
	v_and_b32_e32 v1, 0x7f800000, v65
	s_delay_alu instid0(VALU_DEP_1) | instskip(SKIP_1) | instid1(SALU_CYCLE_1)
	v_cmp_ne_u32_e32 vcc_lo, 0x7f800000, v1
                                        ; implicit-def: $vgpr1
	s_and_saveexec_b32 s2, vcc_lo
	s_xor_b32 s2, exec_lo, s2
; %bb.79:
	v_bfe_u32 v1, v65, 16, 1
	s_delay_alu instid0(VALU_DEP_1)
	v_add3_u32 v1, v65, v1, 0x7fff
; %bb.80:
	s_and_not1_saveexec_b32 s2, s2
; %bb.81:
	v_and_b32_e32 v1, 0xffff, v65
	v_or_b32_e32 v2, 0x10000, v65
	s_delay_alu instid0(VALU_DEP_2) | instskip(NEXT) | instid1(VALU_DEP_2)
	v_cmp_eq_u32_e32 vcc_lo, 0, v1
	v_cndmask_b32_e32 v1, v2, v65, vcc_lo
; %bb.82:
	s_or_b32 exec_lo, exec_lo, s2
	v_and_b32_e32 v2, 0x7f800000, v66
	s_delay_alu instid0(VALU_DEP_1) | instskip(SKIP_1) | instid1(SALU_CYCLE_1)
	v_cmp_ne_u32_e32 vcc_lo, 0x7f800000, v2
                                        ; implicit-def: $vgpr2
	s_and_saveexec_b32 s2, vcc_lo
	s_xor_b32 s2, exec_lo, s2
; %bb.83:
	v_bfe_u32 v2, v66, 16, 1
	s_delay_alu instid0(VALU_DEP_1)
	v_add3_u32 v2, v66, v2, 0x7fff
; %bb.84:
	s_and_not1_saveexec_b32 s2, s2
; %bb.85:
	v_and_b32_e32 v2, 0xffff, v66
	v_or_b32_e32 v3, 0x10000, v66
	s_delay_alu instid0(VALU_DEP_2) | instskip(NEXT) | instid1(VALU_DEP_2)
	v_cmp_eq_u32_e32 vcc_lo, 0, v2
	v_cndmask_b32_e32 v2, v3, v66, vcc_lo
; %bb.86:
	s_or_b32 exec_lo, exec_lo, s2
	v_and_b32_e32 v3, 0x7f800000, v67
	s_delay_alu instid0(VALU_DEP_1) | instskip(SKIP_1) | instid1(SALU_CYCLE_1)
	v_cmp_ne_u32_e32 vcc_lo, 0x7f800000, v3
                                        ; implicit-def: $vgpr3
	s_and_saveexec_b32 s2, vcc_lo
	s_xor_b32 s2, exec_lo, s2
; %bb.87:
	v_bfe_u32 v3, v67, 16, 1
	s_delay_alu instid0(VALU_DEP_1)
	v_add3_u32 v3, v67, v3, 0x7fff
; %bb.88:
	s_and_not1_saveexec_b32 s2, s2
; %bb.89:
	v_and_b32_e32 v3, 0xffff, v67
	v_or_b32_e32 v4, 0x10000, v67
	s_delay_alu instid0(VALU_DEP_2) | instskip(NEXT) | instid1(VALU_DEP_2)
	v_cmp_eq_u32_e32 vcc_lo, 0, v3
	v_cndmask_b32_e32 v3, v4, v67, vcc_lo
; %bb.90:
	s_or_b32 exec_lo, exec_lo, s2
	v_and_b32_e32 v4, 0x7f800000, v68
	s_delay_alu instid0(VALU_DEP_1) | instskip(SKIP_1) | instid1(SALU_CYCLE_1)
	v_cmp_ne_u32_e32 vcc_lo, 0x7f800000, v4
                                        ; implicit-def: $vgpr4
	s_and_saveexec_b32 s2, vcc_lo
	s_xor_b32 s2, exec_lo, s2
; %bb.91:
	v_bfe_u32 v4, v68, 16, 1
	s_delay_alu instid0(VALU_DEP_1)
	v_add3_u32 v4, v68, v4, 0x7fff
; %bb.92:
	s_and_not1_saveexec_b32 s2, s2
; %bb.93:
	v_and_b32_e32 v4, 0xffff, v68
	v_or_b32_e32 v5, 0x10000, v68
	s_delay_alu instid0(VALU_DEP_2) | instskip(NEXT) | instid1(VALU_DEP_2)
	v_cmp_eq_u32_e32 vcc_lo, 0, v4
	v_cndmask_b32_e32 v4, v5, v68, vcc_lo
; %bb.94:
	s_or_b32 exec_lo, exec_lo, s2
	v_and_b32_e32 v5, 0x7f800000, v69
	s_delay_alu instid0(VALU_DEP_1) | instskip(SKIP_1) | instid1(SALU_CYCLE_1)
	v_cmp_ne_u32_e32 vcc_lo, 0x7f800000, v5
                                        ; implicit-def: $vgpr5
	s_and_saveexec_b32 s2, vcc_lo
	s_xor_b32 s2, exec_lo, s2
; %bb.95:
	v_bfe_u32 v5, v69, 16, 1
	s_delay_alu instid0(VALU_DEP_1)
	v_add3_u32 v5, v69, v5, 0x7fff
; %bb.96:
	s_and_not1_saveexec_b32 s2, s2
; %bb.97:
	v_and_b32_e32 v5, 0xffff, v69
	v_or_b32_e32 v6, 0x10000, v69
	s_delay_alu instid0(VALU_DEP_2) | instskip(NEXT) | instid1(VALU_DEP_2)
	v_cmp_eq_u32_e32 vcc_lo, 0, v5
	v_cndmask_b32_e32 v5, v6, v69, vcc_lo
; %bb.98:
	s_or_b32 exec_lo, exec_lo, s2
	v_and_b32_e32 v6, 0x7f800000, v70
	s_delay_alu instid0(VALU_DEP_1) | instskip(SKIP_1) | instid1(SALU_CYCLE_1)
	v_cmp_ne_u32_e32 vcc_lo, 0x7f800000, v6
                                        ; implicit-def: $vgpr6
	s_and_saveexec_b32 s2, vcc_lo
	s_xor_b32 s2, exec_lo, s2
; %bb.99:
	v_bfe_u32 v6, v70, 16, 1
	s_delay_alu instid0(VALU_DEP_1)
	v_add3_u32 v6, v70, v6, 0x7fff
; %bb.100:
	s_and_not1_saveexec_b32 s2, s2
; %bb.101:
	v_and_b32_e32 v6, 0xffff, v70
	v_or_b32_e32 v7, 0x10000, v70
	s_delay_alu instid0(VALU_DEP_2) | instskip(NEXT) | instid1(VALU_DEP_2)
	v_cmp_eq_u32_e32 vcc_lo, 0, v6
	v_cndmask_b32_e32 v6, v7, v70, vcc_lo
; %bb.102:
	s_or_b32 exec_lo, exec_lo, s2
	v_and_b32_e32 v7, 0x7f800000, v71
	s_delay_alu instid0(VALU_DEP_1) | instskip(SKIP_1) | instid1(SALU_CYCLE_1)
	v_cmp_ne_u32_e32 vcc_lo, 0x7f800000, v7
                                        ; implicit-def: $vgpr7
	s_and_saveexec_b32 s2, vcc_lo
	s_xor_b32 s2, exec_lo, s2
; %bb.103:
	v_bfe_u32 v7, v71, 16, 1
	s_delay_alu instid0(VALU_DEP_1)
	v_add3_u32 v7, v71, v7, 0x7fff
; %bb.104:
	s_and_not1_saveexec_b32 s2, s2
; %bb.105:
	v_and_b32_e32 v7, 0xffff, v71
	v_or_b32_e32 v8, 0x10000, v71
	s_delay_alu instid0(VALU_DEP_2) | instskip(NEXT) | instid1(VALU_DEP_2)
	v_cmp_eq_u32_e32 vcc_lo, 0, v7
	v_cndmask_b32_e32 v7, v8, v71, vcc_lo
; %bb.106:
	s_or_b32 exec_lo, exec_lo, s2
	v_and_b32_e32 v8, 0x7f800000, v72
	s_delay_alu instid0(VALU_DEP_1) | instskip(SKIP_1) | instid1(SALU_CYCLE_1)
	v_cmp_ne_u32_e32 vcc_lo, 0x7f800000, v8
                                        ; implicit-def: $vgpr8
	s_and_saveexec_b32 s2, vcc_lo
	s_xor_b32 s2, exec_lo, s2
; %bb.107:
	v_bfe_u32 v8, v72, 16, 1
	s_delay_alu instid0(VALU_DEP_1)
	v_add3_u32 v8, v72, v8, 0x7fff
                                        ; implicit-def: $vgpr65_vgpr66_vgpr67_vgpr68_vgpr69_vgpr70_vgpr71_vgpr72
; %bb.108:
	s_and_not1_saveexec_b32 s2, s2
; %bb.109:
	v_and_b32_e32 v8, 0xffff, v72
	v_or_b32_e32 v9, 0x10000, v72
	s_delay_alu instid0(VALU_DEP_2) | instskip(NEXT) | instid1(VALU_DEP_2)
	v_cmp_eq_u32_e32 vcc_lo, 0, v8
	v_cndmask_b32_e32 v8, v9, v72, vcc_lo
; %bb.110:
	s_or_b32 exec_lo, exec_lo, s2
	s_delay_alu instid0(VALU_DEP_1)
	v_perm_b32 v7, v8, v7, 0x7060302
	v_perm_b32 v6, v6, v5, 0x7060302
	;; [unrolled: 1-line block ×4, first 2 shown]
	s_barrier
	buffer_gl0_inv
	v_cmp_eq_u32_e32 vcc_lo, 1, v78
	ds_store_b128 v76, v[4:7]
	s_waitcnt lgkmcnt(0)
	s_barrier
	buffer_gl0_inv
	ds_load_b128 v[1:4], v82
	ds_load_b128 v[5:8], v82 offset:16
	v_cmp_eq_u32_e64 s2, 1, v79
	v_cmp_eq_u32_e64 s3, 2, v78
	;; [unrolled: 1-line block ×5, first 2 shown]
	s_waitcnt lgkmcnt(1)
	v_lshrrev_b32_e32 v9, 16, v1
	s_waitcnt lgkmcnt(0)
	v_lshrrev_b32_e32 v13, 16, v5
	v_lshrrev_b32_e32 v10, 16, v2
	;; [unrolled: 1-line block ×4, first 2 shown]
	v_cndmask_b32_e64 v19, v1, v9, s2
	v_cndmask_b32_e32 v18, v5, v13, vcc_lo
	v_cndmask_b32_e64 v20, v5, v13, s2
	v_cndmask_b32_e32 v17, v1, v9, vcc_lo
	v_cmp_eq_u32_e32 vcc_lo, 2, v79
	v_lshrrev_b32_e32 v15, 16, v7
	v_cmp_eq_u32_e64 s2, 1, v77
	v_lshrrev_b32_e32 v12, 16, v4
	v_lshrrev_b32_e32 v16, 16, v8
	v_cndmask_b32_e32 v20, v20, v6, vcc_lo
	v_cndmask_b32_e64 v17, v17, v2, s3
	v_cndmask_b32_e32 v19, v19, v2, vcc_lo
	v_cndmask_b32_e64 v18, v18, v6, s3
	v_cmp_eq_u32_e32 vcc_lo, 4, v78
	v_cmp_eq_u32_e64 s3, 3, v79
	v_cndmask_b32_e64 v17, v17, v10, s4
	v_cndmask_b32_e64 v21, v1, v9, s2
	;; [unrolled: 1-line block ×5, first 2 shown]
	v_cndmask_b32_e32 v17, v17, v3, vcc_lo
	v_cndmask_b32_e64 v20, v20, v14, s3
	v_cndmask_b32_e32 v18, v18, v7, vcc_lo
	v_cmp_eq_u32_e32 vcc_lo, 4, v79
	v_cmp_eq_u32_e64 s3, 5, v79
	v_cmp_eq_u32_e64 s2, 2, v81
	v_cndmask_b32_e64 v21, v21, v2, s6
	v_cmp_eq_u32_e64 s4, 5, v78
	v_cndmask_b32_e32 v19, v19, v3, vcc_lo
	v_cndmask_b32_e32 v20, v20, v7, vcc_lo
	v_cmp_eq_u32_e32 vcc_lo, 6, v79
	s_delay_alu instid0(VALU_DEP_4) | instskip(NEXT) | instid1(VALU_DEP_4)
	v_cndmask_b32_e64 v17, v17, v11, s4
	v_cndmask_b32_e64 v19, v19, v11, s3
	s_delay_alu instid0(VALU_DEP_4) | instskip(SKIP_1) | instid1(VALU_DEP_3)
	v_cndmask_b32_e64 v20, v20, v15, s3
	v_cmp_eq_u32_e64 s3, 1, v81
	v_cndmask_b32_e32 v19, v19, v4, vcc_lo
	v_cndmask_b32_e64 v18, v18, v15, s4
	s_delay_alu instid0(VALU_DEP_3)
	v_cndmask_b32_e64 v1, v1, v9, s3
	v_cndmask_b32_e64 v5, v5, v13, s3
	v_cmp_eq_u32_e64 s3, 3, v77
	v_cndmask_b32_e64 v13, v22, v6, s6
	v_cmp_eq_u32_e64 s6, 3, v81
	v_cndmask_b32_e64 v1, v1, v2, s2
	v_cndmask_b32_e64 v2, v5, v6, s2
	;; [unrolled: 1-line block ×3, first 2 shown]
	v_cmp_eq_u32_e64 s2, 4, v77
	v_cndmask_b32_e64 v6, v13, v14, s3
	v_cndmask_b32_e64 v1, v1, v10, s6
	v_cmp_eq_u32_e64 s3, 4, v81
	v_cndmask_b32_e64 v2, v2, v14, s6
	v_cndmask_b32_e64 v5, v9, v3, s2
	;; [unrolled: 3-line block ×3, first 2 shown]
	v_cndmask_b32_e64 v2, v2, v7, s3
	v_cmp_eq_u32_e64 s2, 5, v81
	v_cmp_eq_u32_e64 s4, 6, v78
	v_cndmask_b32_e64 v5, v5, v11, s6
	v_cmp_eq_u32_e64 s3, 6, v77
	v_cndmask_b32_e64 v3, v6, v15, s6
	v_cndmask_b32_e64 v1, v1, v11, s2
	v_cmp_eq_u32_e64 s6, 6, v81
	v_cndmask_b32_e64 v2, v2, v15, s2
	v_cndmask_b32_e64 v17, v17, v4, s4
	v_cndmask_b32_e64 v18, v18, v8, s4
	v_cmp_eq_u32_e64 s4, 7, v78
	v_cndmask_b32_e64 v5, v5, v4, s3
	;; [unrolled: 4-line block ×3, first 2 shown]
	v_cmp_eq_u32_e64 s3, 7, v77
	v_cndmask_b32_e32 v4, v20, v8, vcc_lo
	v_cndmask_b32_e64 v17, v17, v12, s4
	v_cndmask_b32_e64 v19, v19, v12, s5
	;; [unrolled: 1-line block ×8, first 2 shown]
	s_mov_b32 s2, exec_lo
	v_perm_b32 v4, v2, v1, 0x5040100
	v_perm_b32 v3, v3, v5, 0x5040100
	v_perm_b32 v2, v6, v19, 0x5040100
	v_perm_b32 v1, v7, v17, 0x5040100
	ds_store_b128 v76, v[1:4]
	s_waitcnt lgkmcnt(0)
	s_barrier
	buffer_gl0_inv
	v_cmpx_gt_u32_e32 32, v0
	s_cbranch_execz .LBB1605_2
; %bb.111:
	s_load_b64 s[0:1], s[0:1], 0x68
	v_lshlrev_b32_e32 v0, 10, v0
	v_or_b32_e32 v1, s29, v74
	s_lshl_b32 s4, s34, 7
	v_lshlrev_b32_e32 v2, 4, v75
	s_mul_i32 s2, s4, s30
	v_lshlrev_b32_e32 v3, 6, v74
	v_mul_lo_u32 v8, v1, s4
	v_and_b32_e32 v0, 0x3800, v0
	v_or_b32_e32 v1, 2, v1
	s_mul_i32 s2, s2, s7
	s_delay_alu instid0(SALU_CYCLE_1) | instskip(NEXT) | instid1(VALU_DEP_2)
	s_ashr_i32 s3, s2, 31
	v_or3_b32 v4, v0, v2, v3
	s_lshl_b64 s[2:3], s[2:3], 1
	v_mul_lo_u32 v10, v1, s4
	v_ashrrev_i32_e32 v9, 31, v8
	ds_load_b128 v[0:3], v4
	ds_load_b128 v[4:7], v4 offset:128
	s_waitcnt lgkmcnt(0)
	s_add_u32 s2, s0, s2
	s_addc_u32 s3, s1, s3
	s_lshl_b32 s0, s14, 7
	v_ashrrev_i32_e32 v11, 31, v10
	s_ashr_i32 s1, s0, 31
	v_lshlrev_b64 v[8:9], 1, v[8:9]
	s_lshl_b64 s[0:1], s[0:1], 1
	s_delay_alu instid0(SALU_CYCLE_1) | instskip(SKIP_2) | instid1(VALU_DEP_1)
	s_add_u32 s0, s2, s0
	s_addc_u32 s1, s3, s1
	v_add_co_u32 v12, s0, s0, v73
	v_add_co_ci_u32_e64 v13, null, s1, 0, s0
	v_lshlrev_b64 v[10:11], 1, v[10:11]
	s_delay_alu instid0(VALU_DEP_3) | instskip(NEXT) | instid1(VALU_DEP_3)
	v_add_co_u32 v8, vcc_lo, v12, v8
	v_add_co_ci_u32_e32 v9, vcc_lo, v13, v9, vcc_lo
	s_delay_alu instid0(VALU_DEP_3) | instskip(NEXT) | instid1(VALU_DEP_4)
	v_add_co_u32 v10, vcc_lo, v12, v10
	v_add_co_ci_u32_e32 v11, vcc_lo, v13, v11, vcc_lo
	s_clause 0x1
	global_store_b128 v[8:9], v[0:3], off
	global_store_b128 v[10:11], v[4:7], off
	s_nop 0
	s_sendmsg sendmsg(MSG_DEALLOC_VGPRS)
	s_endpgm
	.section	.rodata,"a",@progbits
	.p2align	6, 0x0
	.amdhsa_kernel _Z39paged_attention_ll4mi_QKV_mfma16_kernelI14__hip_bfloat16hLN4vllm18Fp8KVCacheDataTypeE1EhLi32ELi128ELi256ELb1ELi4EL8MFMAType1EEvPKT_PKT0_S9_ifPKiSB_SB_iPKfiiiPfSE_PS4_PT2_iSD_SD_
		.amdhsa_group_segment_fixed_size 17472
		.amdhsa_private_segment_fixed_size 0
		.amdhsa_kernarg_size 400
		.amdhsa_user_sgpr_count 13
		.amdhsa_user_sgpr_dispatch_ptr 0
		.amdhsa_user_sgpr_queue_ptr 0
		.amdhsa_user_sgpr_kernarg_segment_ptr 1
		.amdhsa_user_sgpr_dispatch_id 0
		.amdhsa_user_sgpr_private_segment_size 0
		.amdhsa_wavefront_size32 1
		.amdhsa_uses_dynamic_stack 0
		.amdhsa_enable_private_segment 0
		.amdhsa_system_sgpr_workgroup_id_x 1
		.amdhsa_system_sgpr_workgroup_id_y 1
		.amdhsa_system_sgpr_workgroup_id_z 1
		.amdhsa_system_sgpr_workgroup_info 0
		.amdhsa_system_vgpr_workitem_id 0
		.amdhsa_next_free_vgpr 140
		.amdhsa_next_free_sgpr 36
		.amdhsa_reserve_vcc 1
		.amdhsa_float_round_mode_32 0
		.amdhsa_float_round_mode_16_64 0
		.amdhsa_float_denorm_mode_32 3
		.amdhsa_float_denorm_mode_16_64 3
		.amdhsa_dx10_clamp 1
		.amdhsa_ieee_mode 1
		.amdhsa_fp16_overflow 0
		.amdhsa_workgroup_processor_mode 1
		.amdhsa_memory_ordered 1
		.amdhsa_forward_progress 0
		.amdhsa_shared_vgpr_count 0
		.amdhsa_exception_fp_ieee_invalid_op 0
		.amdhsa_exception_fp_denorm_src 0
		.amdhsa_exception_fp_ieee_div_zero 0
		.amdhsa_exception_fp_ieee_overflow 0
		.amdhsa_exception_fp_ieee_underflow 0
		.amdhsa_exception_fp_ieee_inexact 0
		.amdhsa_exception_int_div_zero 0
	.end_amdhsa_kernel
	.section	.text._Z39paged_attention_ll4mi_QKV_mfma16_kernelI14__hip_bfloat16hLN4vllm18Fp8KVCacheDataTypeE1EhLi32ELi128ELi256ELb1ELi4EL8MFMAType1EEvPKT_PKT0_S9_ifPKiSB_SB_iPKfiiiPfSE_PS4_PT2_iSD_SD_,"axG",@progbits,_Z39paged_attention_ll4mi_QKV_mfma16_kernelI14__hip_bfloat16hLN4vllm18Fp8KVCacheDataTypeE1EhLi32ELi128ELi256ELb1ELi4EL8MFMAType1EEvPKT_PKT0_S9_ifPKiSB_SB_iPKfiiiPfSE_PS4_PT2_iSD_SD_,comdat
.Lfunc_end1605:
	.size	_Z39paged_attention_ll4mi_QKV_mfma16_kernelI14__hip_bfloat16hLN4vllm18Fp8KVCacheDataTypeE1EhLi32ELi128ELi256ELb1ELi4EL8MFMAType1EEvPKT_PKT0_S9_ifPKiSB_SB_iPKfiiiPfSE_PS4_PT2_iSD_SD_, .Lfunc_end1605-_Z39paged_attention_ll4mi_QKV_mfma16_kernelI14__hip_bfloat16hLN4vllm18Fp8KVCacheDataTypeE1EhLi32ELi128ELi256ELb1ELi4EL8MFMAType1EEvPKT_PKT0_S9_ifPKiSB_SB_iPKfiiiPfSE_PS4_PT2_iSD_SD_
                                        ; -- End function
	.section	.AMDGPU.csdata,"",@progbits
; Kernel info:
; codeLenInByte = 8740
; NumSgprs: 38
; NumVgprs: 140
; ScratchSize: 0
; MemoryBound: 0
; FloatMode: 240
; IeeeMode: 1
; LDSByteSize: 17472 bytes/workgroup (compile time only)
; SGPRBlocks: 4
; VGPRBlocks: 17
; NumSGPRsForWavesPerEU: 38
; NumVGPRsForWavesPerEU: 140
; Occupancy: 10
; WaveLimiterHint : 1
; COMPUTE_PGM_RSRC2:SCRATCH_EN: 0
; COMPUTE_PGM_RSRC2:USER_SGPR: 13
; COMPUTE_PGM_RSRC2:TRAP_HANDLER: 0
; COMPUTE_PGM_RSRC2:TGID_X_EN: 1
; COMPUTE_PGM_RSRC2:TGID_Y_EN: 1
; COMPUTE_PGM_RSRC2:TGID_Z_EN: 1
; COMPUTE_PGM_RSRC2:TIDIG_COMP_CNT: 0
	.section	.text._Z38paged_attention_ll4mi_QKV_mfma4_kernelI14__hip_bfloat16hLN4vllm18Fp8KVCacheDataTypeE1EhLi32ELi128ELi256ELb0ELi1EEvPKT_PKT0_S8_ifPKiSA_SA_iPKfiiiPfSD_PS3_PT2_iSC_SC_,"axG",@progbits,_Z38paged_attention_ll4mi_QKV_mfma4_kernelI14__hip_bfloat16hLN4vllm18Fp8KVCacheDataTypeE1EhLi32ELi128ELi256ELb0ELi1EEvPKT_PKT0_S8_ifPKiSA_SA_iPKfiiiPfSD_PS3_PT2_iSC_SC_,comdat
	.protected	_Z38paged_attention_ll4mi_QKV_mfma4_kernelI14__hip_bfloat16hLN4vllm18Fp8KVCacheDataTypeE1EhLi32ELi128ELi256ELb0ELi1EEvPKT_PKT0_S8_ifPKiSA_SA_iPKfiiiPfSD_PS3_PT2_iSC_SC_ ; -- Begin function _Z38paged_attention_ll4mi_QKV_mfma4_kernelI14__hip_bfloat16hLN4vllm18Fp8KVCacheDataTypeE1EhLi32ELi128ELi256ELb0ELi1EEvPKT_PKT0_S8_ifPKiSA_SA_iPKfiiiPfSD_PS3_PT2_iSC_SC_
	.globl	_Z38paged_attention_ll4mi_QKV_mfma4_kernelI14__hip_bfloat16hLN4vllm18Fp8KVCacheDataTypeE1EhLi32ELi128ELi256ELb0ELi1EEvPKT_PKT0_S8_ifPKiSA_SA_iPKfiiiPfSD_PS3_PT2_iSC_SC_
	.p2align	8
	.type	_Z38paged_attention_ll4mi_QKV_mfma4_kernelI14__hip_bfloat16hLN4vllm18Fp8KVCacheDataTypeE1EhLi32ELi128ELi256ELb0ELi1EEvPKT_PKT0_S8_ifPKiSA_SA_iPKfiiiPfSD_PS3_PT2_iSC_SC_,@function
_Z38paged_attention_ll4mi_QKV_mfma4_kernelI14__hip_bfloat16hLN4vllm18Fp8KVCacheDataTypeE1EhLi32ELi128ELi256ELb0ELi1EEvPKT_PKT0_S8_ifPKiSA_SA_iPKfiiiPfSD_PS3_PT2_iSC_SC_: ; @_Z38paged_attention_ll4mi_QKV_mfma4_kernelI14__hip_bfloat16hLN4vllm18Fp8KVCacheDataTypeE1EhLi32ELi128ELi256ELb0ELi1EEvPKT_PKT0_S8_ifPKiSA_SA_iPKfiiiPfSD_PS3_PT2_iSC_SC_
; %bb.0:
	s_add_u32 s8, s0, 0x90
	s_addc_u32 s9, s1, 0
	s_getpc_b64 s[0:1]
	s_add_u32 s0, s0, __PRETTY_FUNCTION__._Z38paged_attention_ll4mi_QKV_mfma4_kernelI14__hip_bfloat16hLN4vllm18Fp8KVCacheDataTypeE1EhLi32ELi128ELi256ELb0ELi1EEvPKT_PKT0_S8_ifPKiSA_SA_iPKfiiiPfSD_PS3_PT2_iSC_SC_@rel32@lo+4
	s_addc_u32 s1, s1, __PRETTY_FUNCTION__._Z38paged_attention_ll4mi_QKV_mfma4_kernelI14__hip_bfloat16hLN4vllm18Fp8KVCacheDataTypeE1EhLi32ELi128ELi256ELb0ELi1EEvPKT_PKT0_S8_ifPKiSA_SA_iPKfiiiPfSD_PS3_PT2_iSC_SC_@rel32@hi+12
	s_delay_alu instid0(SALU_CYCLE_1) | instskip(SKIP_4) | instid1(SALU_CYCLE_1)
	v_dual_mov_b32 v0, s0 :: v_dual_mov_b32 v1, s1
	s_mov_b32 s32, 0
	s_getpc_b64 s[2:3]
	s_add_u32 s2, s2, __assert_fail@rel32@lo+4
	s_addc_u32 s3, s3, __assert_fail@rel32@hi+12
	s_swappc_b64 s[30:31], s[2:3]
	.section	.rodata,"a",@progbits
	.p2align	6, 0x0
	.amdhsa_kernel _Z38paged_attention_ll4mi_QKV_mfma4_kernelI14__hip_bfloat16hLN4vllm18Fp8KVCacheDataTypeE1EhLi32ELi128ELi256ELb0ELi1EEvPKT_PKT0_S8_ifPKiSA_SA_iPKfiiiPfSD_PS3_PT2_iSC_SC_
		.amdhsa_group_segment_fixed_size 0
		.amdhsa_private_segment_fixed_size 64
		.amdhsa_kernarg_size 400
		.amdhsa_user_sgpr_count 15
		.amdhsa_user_sgpr_dispatch_ptr 0
		.amdhsa_user_sgpr_queue_ptr 0
		.amdhsa_user_sgpr_kernarg_segment_ptr 1
		.amdhsa_user_sgpr_dispatch_id 0
		.amdhsa_user_sgpr_private_segment_size 0
		.amdhsa_wavefront_size32 1
		.amdhsa_uses_dynamic_stack 0
		.amdhsa_enable_private_segment 1
		.amdhsa_system_sgpr_workgroup_id_x 1
		.amdhsa_system_sgpr_workgroup_id_y 0
		.amdhsa_system_sgpr_workgroup_id_z 0
		.amdhsa_system_sgpr_workgroup_info 0
		.amdhsa_system_vgpr_workitem_id 0
		.amdhsa_next_free_vgpr 41
		.amdhsa_next_free_sgpr 34
		.amdhsa_reserve_vcc 1
		.amdhsa_float_round_mode_32 0
		.amdhsa_float_round_mode_16_64 0
		.amdhsa_float_denorm_mode_32 3
		.amdhsa_float_denorm_mode_16_64 3
		.amdhsa_dx10_clamp 1
		.amdhsa_ieee_mode 1
		.amdhsa_fp16_overflow 0
		.amdhsa_workgroup_processor_mode 1
		.amdhsa_memory_ordered 1
		.amdhsa_forward_progress 0
		.amdhsa_shared_vgpr_count 0
		.amdhsa_exception_fp_ieee_invalid_op 0
		.amdhsa_exception_fp_denorm_src 0
		.amdhsa_exception_fp_ieee_div_zero 0
		.amdhsa_exception_fp_ieee_overflow 0
		.amdhsa_exception_fp_ieee_underflow 0
		.amdhsa_exception_fp_ieee_inexact 0
		.amdhsa_exception_int_div_zero 0
	.end_amdhsa_kernel
	.section	.text._Z38paged_attention_ll4mi_QKV_mfma4_kernelI14__hip_bfloat16hLN4vllm18Fp8KVCacheDataTypeE1EhLi32ELi128ELi256ELb0ELi1EEvPKT_PKT0_S8_ifPKiSA_SA_iPKfiiiPfSD_PS3_PT2_iSC_SC_,"axG",@progbits,_Z38paged_attention_ll4mi_QKV_mfma4_kernelI14__hip_bfloat16hLN4vllm18Fp8KVCacheDataTypeE1EhLi32ELi128ELi256ELb0ELi1EEvPKT_PKT0_S8_ifPKiSA_SA_iPKfiiiPfSD_PS3_PT2_iSC_SC_,comdat
.Lfunc_end1606:
	.size	_Z38paged_attention_ll4mi_QKV_mfma4_kernelI14__hip_bfloat16hLN4vllm18Fp8KVCacheDataTypeE1EhLi32ELi128ELi256ELb0ELi1EEvPKT_PKT0_S8_ifPKiSA_SA_iPKfiiiPfSD_PS3_PT2_iSC_SC_, .Lfunc_end1606-_Z38paged_attention_ll4mi_QKV_mfma4_kernelI14__hip_bfloat16hLN4vllm18Fp8KVCacheDataTypeE1EhLi32ELi128ELi256ELb0ELi1EEvPKT_PKT0_S8_ifPKiSA_SA_iPKfiiiPfSD_PS3_PT2_iSC_SC_
                                        ; -- End function
	.section	.AMDGPU.csdata,"",@progbits
; Kernel info:
; codeLenInByte = 72
; NumSgprs: 36
; NumVgprs: 41
; ScratchSize: 64
; MemoryBound: 0
; FloatMode: 240
; IeeeMode: 1
; LDSByteSize: 0 bytes/workgroup (compile time only)
; SGPRBlocks: 4
; VGPRBlocks: 5
; NumSGPRsForWavesPerEU: 36
; NumVGPRsForWavesPerEU: 41
; Occupancy: 16
; WaveLimiterHint : 1
; COMPUTE_PGM_RSRC2:SCRATCH_EN: 1
; COMPUTE_PGM_RSRC2:USER_SGPR: 15
; COMPUTE_PGM_RSRC2:TRAP_HANDLER: 0
; COMPUTE_PGM_RSRC2:TGID_X_EN: 1
; COMPUTE_PGM_RSRC2:TGID_Y_EN: 0
; COMPUTE_PGM_RSRC2:TGID_Z_EN: 0
; COMPUTE_PGM_RSRC2:TIDIG_COMP_CNT: 0
	.section	.text._Z38paged_attention_ll4mi_QKV_mfma4_kernelI14__hip_bfloat16hLN4vllm18Fp8KVCacheDataTypeE1EhLi32ELi128ELi256ELb0ELi2EEvPKT_PKT0_S8_ifPKiSA_SA_iPKfiiiPfSD_PS3_PT2_iSC_SC_,"axG",@progbits,_Z38paged_attention_ll4mi_QKV_mfma4_kernelI14__hip_bfloat16hLN4vllm18Fp8KVCacheDataTypeE1EhLi32ELi128ELi256ELb0ELi2EEvPKT_PKT0_S8_ifPKiSA_SA_iPKfiiiPfSD_PS3_PT2_iSC_SC_,comdat
	.protected	_Z38paged_attention_ll4mi_QKV_mfma4_kernelI14__hip_bfloat16hLN4vllm18Fp8KVCacheDataTypeE1EhLi32ELi128ELi256ELb0ELi2EEvPKT_PKT0_S8_ifPKiSA_SA_iPKfiiiPfSD_PS3_PT2_iSC_SC_ ; -- Begin function _Z38paged_attention_ll4mi_QKV_mfma4_kernelI14__hip_bfloat16hLN4vllm18Fp8KVCacheDataTypeE1EhLi32ELi128ELi256ELb0ELi2EEvPKT_PKT0_S8_ifPKiSA_SA_iPKfiiiPfSD_PS3_PT2_iSC_SC_
	.globl	_Z38paged_attention_ll4mi_QKV_mfma4_kernelI14__hip_bfloat16hLN4vllm18Fp8KVCacheDataTypeE1EhLi32ELi128ELi256ELb0ELi2EEvPKT_PKT0_S8_ifPKiSA_SA_iPKfiiiPfSD_PS3_PT2_iSC_SC_
	.p2align	8
	.type	_Z38paged_attention_ll4mi_QKV_mfma4_kernelI14__hip_bfloat16hLN4vllm18Fp8KVCacheDataTypeE1EhLi32ELi128ELi256ELb0ELi2EEvPKT_PKT0_S8_ifPKiSA_SA_iPKfiiiPfSD_PS3_PT2_iSC_SC_,@function
_Z38paged_attention_ll4mi_QKV_mfma4_kernelI14__hip_bfloat16hLN4vllm18Fp8KVCacheDataTypeE1EhLi32ELi128ELi256ELb0ELi2EEvPKT_PKT0_S8_ifPKiSA_SA_iPKfiiiPfSD_PS3_PT2_iSC_SC_: ; @_Z38paged_attention_ll4mi_QKV_mfma4_kernelI14__hip_bfloat16hLN4vllm18Fp8KVCacheDataTypeE1EhLi32ELi128ELi256ELb0ELi2EEvPKT_PKT0_S8_ifPKiSA_SA_iPKfiiiPfSD_PS3_PT2_iSC_SC_
; %bb.0:
	s_add_u32 s8, s0, 0x90
	s_addc_u32 s9, s1, 0
	s_getpc_b64 s[0:1]
	s_add_u32 s0, s0, __PRETTY_FUNCTION__._Z38paged_attention_ll4mi_QKV_mfma4_kernelI14__hip_bfloat16hLN4vllm18Fp8KVCacheDataTypeE1EhLi32ELi128ELi256ELb0ELi2EEvPKT_PKT0_S8_ifPKiSA_SA_iPKfiiiPfSD_PS3_PT2_iSC_SC_@rel32@lo+4
	s_addc_u32 s1, s1, __PRETTY_FUNCTION__._Z38paged_attention_ll4mi_QKV_mfma4_kernelI14__hip_bfloat16hLN4vllm18Fp8KVCacheDataTypeE1EhLi32ELi128ELi256ELb0ELi2EEvPKT_PKT0_S8_ifPKiSA_SA_iPKfiiiPfSD_PS3_PT2_iSC_SC_@rel32@hi+12
	s_delay_alu instid0(SALU_CYCLE_1) | instskip(SKIP_4) | instid1(SALU_CYCLE_1)
	v_dual_mov_b32 v0, s0 :: v_dual_mov_b32 v1, s1
	s_mov_b32 s32, 0
	s_getpc_b64 s[2:3]
	s_add_u32 s2, s2, __assert_fail@rel32@lo+4
	s_addc_u32 s3, s3, __assert_fail@rel32@hi+12
	s_swappc_b64 s[30:31], s[2:3]
	.section	.rodata,"a",@progbits
	.p2align	6, 0x0
	.amdhsa_kernel _Z38paged_attention_ll4mi_QKV_mfma4_kernelI14__hip_bfloat16hLN4vllm18Fp8KVCacheDataTypeE1EhLi32ELi128ELi256ELb0ELi2EEvPKT_PKT0_S8_ifPKiSA_SA_iPKfiiiPfSD_PS3_PT2_iSC_SC_
		.amdhsa_group_segment_fixed_size 0
		.amdhsa_private_segment_fixed_size 64
		.amdhsa_kernarg_size 400
		.amdhsa_user_sgpr_count 15
		.amdhsa_user_sgpr_dispatch_ptr 0
		.amdhsa_user_sgpr_queue_ptr 0
		.amdhsa_user_sgpr_kernarg_segment_ptr 1
		.amdhsa_user_sgpr_dispatch_id 0
		.amdhsa_user_sgpr_private_segment_size 0
		.amdhsa_wavefront_size32 1
		.amdhsa_uses_dynamic_stack 0
		.amdhsa_enable_private_segment 1
		.amdhsa_system_sgpr_workgroup_id_x 1
		.amdhsa_system_sgpr_workgroup_id_y 0
		.amdhsa_system_sgpr_workgroup_id_z 0
		.amdhsa_system_sgpr_workgroup_info 0
		.amdhsa_system_vgpr_workitem_id 0
		.amdhsa_next_free_vgpr 41
		.amdhsa_next_free_sgpr 34
		.amdhsa_reserve_vcc 1
		.amdhsa_float_round_mode_32 0
		.amdhsa_float_round_mode_16_64 0
		.amdhsa_float_denorm_mode_32 3
		.amdhsa_float_denorm_mode_16_64 3
		.amdhsa_dx10_clamp 1
		.amdhsa_ieee_mode 1
		.amdhsa_fp16_overflow 0
		.amdhsa_workgroup_processor_mode 1
		.amdhsa_memory_ordered 1
		.amdhsa_forward_progress 0
		.amdhsa_shared_vgpr_count 0
		.amdhsa_exception_fp_ieee_invalid_op 0
		.amdhsa_exception_fp_denorm_src 0
		.amdhsa_exception_fp_ieee_div_zero 0
		.amdhsa_exception_fp_ieee_overflow 0
		.amdhsa_exception_fp_ieee_underflow 0
		.amdhsa_exception_fp_ieee_inexact 0
		.amdhsa_exception_int_div_zero 0
	.end_amdhsa_kernel
	.section	.text._Z38paged_attention_ll4mi_QKV_mfma4_kernelI14__hip_bfloat16hLN4vllm18Fp8KVCacheDataTypeE1EhLi32ELi128ELi256ELb0ELi2EEvPKT_PKT0_S8_ifPKiSA_SA_iPKfiiiPfSD_PS3_PT2_iSC_SC_,"axG",@progbits,_Z38paged_attention_ll4mi_QKV_mfma4_kernelI14__hip_bfloat16hLN4vllm18Fp8KVCacheDataTypeE1EhLi32ELi128ELi256ELb0ELi2EEvPKT_PKT0_S8_ifPKiSA_SA_iPKfiiiPfSD_PS3_PT2_iSC_SC_,comdat
.Lfunc_end1607:
	.size	_Z38paged_attention_ll4mi_QKV_mfma4_kernelI14__hip_bfloat16hLN4vllm18Fp8KVCacheDataTypeE1EhLi32ELi128ELi256ELb0ELi2EEvPKT_PKT0_S8_ifPKiSA_SA_iPKfiiiPfSD_PS3_PT2_iSC_SC_, .Lfunc_end1607-_Z38paged_attention_ll4mi_QKV_mfma4_kernelI14__hip_bfloat16hLN4vllm18Fp8KVCacheDataTypeE1EhLi32ELi128ELi256ELb0ELi2EEvPKT_PKT0_S8_ifPKiSA_SA_iPKfiiiPfSD_PS3_PT2_iSC_SC_
                                        ; -- End function
	.section	.AMDGPU.csdata,"",@progbits
; Kernel info:
; codeLenInByte = 72
; NumSgprs: 36
; NumVgprs: 41
; ScratchSize: 64
; MemoryBound: 0
; FloatMode: 240
; IeeeMode: 1
; LDSByteSize: 0 bytes/workgroup (compile time only)
; SGPRBlocks: 4
; VGPRBlocks: 5
; NumSGPRsForWavesPerEU: 36
; NumVGPRsForWavesPerEU: 41
; Occupancy: 16
; WaveLimiterHint : 1
; COMPUTE_PGM_RSRC2:SCRATCH_EN: 1
; COMPUTE_PGM_RSRC2:USER_SGPR: 15
; COMPUTE_PGM_RSRC2:TRAP_HANDLER: 0
; COMPUTE_PGM_RSRC2:TGID_X_EN: 1
; COMPUTE_PGM_RSRC2:TGID_Y_EN: 0
; COMPUTE_PGM_RSRC2:TGID_Z_EN: 0
; COMPUTE_PGM_RSRC2:TIDIG_COMP_CNT: 0
	.section	.text._Z38paged_attention_ll4mi_QKV_mfma4_kernelI14__hip_bfloat16hLN4vllm18Fp8KVCacheDataTypeE1EhLi32ELi128ELi256ELb0ELi3EEvPKT_PKT0_S8_ifPKiSA_SA_iPKfiiiPfSD_PS3_PT2_iSC_SC_,"axG",@progbits,_Z38paged_attention_ll4mi_QKV_mfma4_kernelI14__hip_bfloat16hLN4vllm18Fp8KVCacheDataTypeE1EhLi32ELi128ELi256ELb0ELi3EEvPKT_PKT0_S8_ifPKiSA_SA_iPKfiiiPfSD_PS3_PT2_iSC_SC_,comdat
	.protected	_Z38paged_attention_ll4mi_QKV_mfma4_kernelI14__hip_bfloat16hLN4vllm18Fp8KVCacheDataTypeE1EhLi32ELi128ELi256ELb0ELi3EEvPKT_PKT0_S8_ifPKiSA_SA_iPKfiiiPfSD_PS3_PT2_iSC_SC_ ; -- Begin function _Z38paged_attention_ll4mi_QKV_mfma4_kernelI14__hip_bfloat16hLN4vllm18Fp8KVCacheDataTypeE1EhLi32ELi128ELi256ELb0ELi3EEvPKT_PKT0_S8_ifPKiSA_SA_iPKfiiiPfSD_PS3_PT2_iSC_SC_
	.globl	_Z38paged_attention_ll4mi_QKV_mfma4_kernelI14__hip_bfloat16hLN4vllm18Fp8KVCacheDataTypeE1EhLi32ELi128ELi256ELb0ELi3EEvPKT_PKT0_S8_ifPKiSA_SA_iPKfiiiPfSD_PS3_PT2_iSC_SC_
	.p2align	8
	.type	_Z38paged_attention_ll4mi_QKV_mfma4_kernelI14__hip_bfloat16hLN4vllm18Fp8KVCacheDataTypeE1EhLi32ELi128ELi256ELb0ELi3EEvPKT_PKT0_S8_ifPKiSA_SA_iPKfiiiPfSD_PS3_PT2_iSC_SC_,@function
_Z38paged_attention_ll4mi_QKV_mfma4_kernelI14__hip_bfloat16hLN4vllm18Fp8KVCacheDataTypeE1EhLi32ELi128ELi256ELb0ELi3EEvPKT_PKT0_S8_ifPKiSA_SA_iPKfiiiPfSD_PS3_PT2_iSC_SC_: ; @_Z38paged_attention_ll4mi_QKV_mfma4_kernelI14__hip_bfloat16hLN4vllm18Fp8KVCacheDataTypeE1EhLi32ELi128ELi256ELb0ELi3EEvPKT_PKT0_S8_ifPKiSA_SA_iPKfiiiPfSD_PS3_PT2_iSC_SC_
; %bb.0:
	s_add_u32 s8, s0, 0x90
	s_addc_u32 s9, s1, 0
	s_getpc_b64 s[0:1]
	s_add_u32 s0, s0, __PRETTY_FUNCTION__._Z38paged_attention_ll4mi_QKV_mfma4_kernelI14__hip_bfloat16hLN4vllm18Fp8KVCacheDataTypeE1EhLi32ELi128ELi256ELb0ELi3EEvPKT_PKT0_S8_ifPKiSA_SA_iPKfiiiPfSD_PS3_PT2_iSC_SC_@rel32@lo+4
	s_addc_u32 s1, s1, __PRETTY_FUNCTION__._Z38paged_attention_ll4mi_QKV_mfma4_kernelI14__hip_bfloat16hLN4vllm18Fp8KVCacheDataTypeE1EhLi32ELi128ELi256ELb0ELi3EEvPKT_PKT0_S8_ifPKiSA_SA_iPKfiiiPfSD_PS3_PT2_iSC_SC_@rel32@hi+12
	s_delay_alu instid0(SALU_CYCLE_1) | instskip(SKIP_4) | instid1(SALU_CYCLE_1)
	v_dual_mov_b32 v0, s0 :: v_dual_mov_b32 v1, s1
	s_mov_b32 s32, 0
	s_getpc_b64 s[2:3]
	s_add_u32 s2, s2, __assert_fail@rel32@lo+4
	s_addc_u32 s3, s3, __assert_fail@rel32@hi+12
	s_swappc_b64 s[30:31], s[2:3]
	.section	.rodata,"a",@progbits
	.p2align	6, 0x0
	.amdhsa_kernel _Z38paged_attention_ll4mi_QKV_mfma4_kernelI14__hip_bfloat16hLN4vllm18Fp8KVCacheDataTypeE1EhLi32ELi128ELi256ELb0ELi3EEvPKT_PKT0_S8_ifPKiSA_SA_iPKfiiiPfSD_PS3_PT2_iSC_SC_
		.amdhsa_group_segment_fixed_size 0
		.amdhsa_private_segment_fixed_size 64
		.amdhsa_kernarg_size 400
		.amdhsa_user_sgpr_count 15
		.amdhsa_user_sgpr_dispatch_ptr 0
		.amdhsa_user_sgpr_queue_ptr 0
		.amdhsa_user_sgpr_kernarg_segment_ptr 1
		.amdhsa_user_sgpr_dispatch_id 0
		.amdhsa_user_sgpr_private_segment_size 0
		.amdhsa_wavefront_size32 1
		.amdhsa_uses_dynamic_stack 0
		.amdhsa_enable_private_segment 1
		.amdhsa_system_sgpr_workgroup_id_x 1
		.amdhsa_system_sgpr_workgroup_id_y 0
		.amdhsa_system_sgpr_workgroup_id_z 0
		.amdhsa_system_sgpr_workgroup_info 0
		.amdhsa_system_vgpr_workitem_id 0
		.amdhsa_next_free_vgpr 41
		.amdhsa_next_free_sgpr 34
		.amdhsa_reserve_vcc 1
		.amdhsa_float_round_mode_32 0
		.amdhsa_float_round_mode_16_64 0
		.amdhsa_float_denorm_mode_32 3
		.amdhsa_float_denorm_mode_16_64 3
		.amdhsa_dx10_clamp 1
		.amdhsa_ieee_mode 1
		.amdhsa_fp16_overflow 0
		.amdhsa_workgroup_processor_mode 1
		.amdhsa_memory_ordered 1
		.amdhsa_forward_progress 0
		.amdhsa_shared_vgpr_count 0
		.amdhsa_exception_fp_ieee_invalid_op 0
		.amdhsa_exception_fp_denorm_src 0
		.amdhsa_exception_fp_ieee_div_zero 0
		.amdhsa_exception_fp_ieee_overflow 0
		.amdhsa_exception_fp_ieee_underflow 0
		.amdhsa_exception_fp_ieee_inexact 0
		.amdhsa_exception_int_div_zero 0
	.end_amdhsa_kernel
	.section	.text._Z38paged_attention_ll4mi_QKV_mfma4_kernelI14__hip_bfloat16hLN4vllm18Fp8KVCacheDataTypeE1EhLi32ELi128ELi256ELb0ELi3EEvPKT_PKT0_S8_ifPKiSA_SA_iPKfiiiPfSD_PS3_PT2_iSC_SC_,"axG",@progbits,_Z38paged_attention_ll4mi_QKV_mfma4_kernelI14__hip_bfloat16hLN4vllm18Fp8KVCacheDataTypeE1EhLi32ELi128ELi256ELb0ELi3EEvPKT_PKT0_S8_ifPKiSA_SA_iPKfiiiPfSD_PS3_PT2_iSC_SC_,comdat
.Lfunc_end1608:
	.size	_Z38paged_attention_ll4mi_QKV_mfma4_kernelI14__hip_bfloat16hLN4vllm18Fp8KVCacheDataTypeE1EhLi32ELi128ELi256ELb0ELi3EEvPKT_PKT0_S8_ifPKiSA_SA_iPKfiiiPfSD_PS3_PT2_iSC_SC_, .Lfunc_end1608-_Z38paged_attention_ll4mi_QKV_mfma4_kernelI14__hip_bfloat16hLN4vllm18Fp8KVCacheDataTypeE1EhLi32ELi128ELi256ELb0ELi3EEvPKT_PKT0_S8_ifPKiSA_SA_iPKfiiiPfSD_PS3_PT2_iSC_SC_
                                        ; -- End function
	.section	.AMDGPU.csdata,"",@progbits
; Kernel info:
; codeLenInByte = 72
; NumSgprs: 36
; NumVgprs: 41
; ScratchSize: 64
; MemoryBound: 0
; FloatMode: 240
; IeeeMode: 1
; LDSByteSize: 0 bytes/workgroup (compile time only)
; SGPRBlocks: 4
; VGPRBlocks: 5
; NumSGPRsForWavesPerEU: 36
; NumVGPRsForWavesPerEU: 41
; Occupancy: 16
; WaveLimiterHint : 1
; COMPUTE_PGM_RSRC2:SCRATCH_EN: 1
; COMPUTE_PGM_RSRC2:USER_SGPR: 15
; COMPUTE_PGM_RSRC2:TRAP_HANDLER: 0
; COMPUTE_PGM_RSRC2:TGID_X_EN: 1
; COMPUTE_PGM_RSRC2:TGID_Y_EN: 0
; COMPUTE_PGM_RSRC2:TGID_Z_EN: 0
; COMPUTE_PGM_RSRC2:TIDIG_COMP_CNT: 0
	.section	.text._Z38paged_attention_ll4mi_QKV_mfma4_kernelI14__hip_bfloat16hLN4vllm18Fp8KVCacheDataTypeE1EhLi32ELi128ELi256ELb0ELi4EEvPKT_PKT0_S8_ifPKiSA_SA_iPKfiiiPfSD_PS3_PT2_iSC_SC_,"axG",@progbits,_Z38paged_attention_ll4mi_QKV_mfma4_kernelI14__hip_bfloat16hLN4vllm18Fp8KVCacheDataTypeE1EhLi32ELi128ELi256ELb0ELi4EEvPKT_PKT0_S8_ifPKiSA_SA_iPKfiiiPfSD_PS3_PT2_iSC_SC_,comdat
	.protected	_Z38paged_attention_ll4mi_QKV_mfma4_kernelI14__hip_bfloat16hLN4vllm18Fp8KVCacheDataTypeE1EhLi32ELi128ELi256ELb0ELi4EEvPKT_PKT0_S8_ifPKiSA_SA_iPKfiiiPfSD_PS3_PT2_iSC_SC_ ; -- Begin function _Z38paged_attention_ll4mi_QKV_mfma4_kernelI14__hip_bfloat16hLN4vllm18Fp8KVCacheDataTypeE1EhLi32ELi128ELi256ELb0ELi4EEvPKT_PKT0_S8_ifPKiSA_SA_iPKfiiiPfSD_PS3_PT2_iSC_SC_
	.globl	_Z38paged_attention_ll4mi_QKV_mfma4_kernelI14__hip_bfloat16hLN4vllm18Fp8KVCacheDataTypeE1EhLi32ELi128ELi256ELb0ELi4EEvPKT_PKT0_S8_ifPKiSA_SA_iPKfiiiPfSD_PS3_PT2_iSC_SC_
	.p2align	8
	.type	_Z38paged_attention_ll4mi_QKV_mfma4_kernelI14__hip_bfloat16hLN4vllm18Fp8KVCacheDataTypeE1EhLi32ELi128ELi256ELb0ELi4EEvPKT_PKT0_S8_ifPKiSA_SA_iPKfiiiPfSD_PS3_PT2_iSC_SC_,@function
_Z38paged_attention_ll4mi_QKV_mfma4_kernelI14__hip_bfloat16hLN4vllm18Fp8KVCacheDataTypeE1EhLi32ELi128ELi256ELb0ELi4EEvPKT_PKT0_S8_ifPKiSA_SA_iPKfiiiPfSD_PS3_PT2_iSC_SC_: ; @_Z38paged_attention_ll4mi_QKV_mfma4_kernelI14__hip_bfloat16hLN4vllm18Fp8KVCacheDataTypeE1EhLi32ELi128ELi256ELb0ELi4EEvPKT_PKT0_S8_ifPKiSA_SA_iPKfiiiPfSD_PS3_PT2_iSC_SC_
; %bb.0:
	s_add_u32 s8, s0, 0x90
	s_addc_u32 s9, s1, 0
	s_getpc_b64 s[0:1]
	s_add_u32 s0, s0, __PRETTY_FUNCTION__._Z38paged_attention_ll4mi_QKV_mfma4_kernelI14__hip_bfloat16hLN4vllm18Fp8KVCacheDataTypeE1EhLi32ELi128ELi256ELb0ELi4EEvPKT_PKT0_S8_ifPKiSA_SA_iPKfiiiPfSD_PS3_PT2_iSC_SC_@rel32@lo+4
	s_addc_u32 s1, s1, __PRETTY_FUNCTION__._Z38paged_attention_ll4mi_QKV_mfma4_kernelI14__hip_bfloat16hLN4vllm18Fp8KVCacheDataTypeE1EhLi32ELi128ELi256ELb0ELi4EEvPKT_PKT0_S8_ifPKiSA_SA_iPKfiiiPfSD_PS3_PT2_iSC_SC_@rel32@hi+12
	s_delay_alu instid0(SALU_CYCLE_1) | instskip(SKIP_4) | instid1(SALU_CYCLE_1)
	v_dual_mov_b32 v0, s0 :: v_dual_mov_b32 v1, s1
	s_mov_b32 s32, 0
	s_getpc_b64 s[2:3]
	s_add_u32 s2, s2, __assert_fail@rel32@lo+4
	s_addc_u32 s3, s3, __assert_fail@rel32@hi+12
	s_swappc_b64 s[30:31], s[2:3]
	.section	.rodata,"a",@progbits
	.p2align	6, 0x0
	.amdhsa_kernel _Z38paged_attention_ll4mi_QKV_mfma4_kernelI14__hip_bfloat16hLN4vllm18Fp8KVCacheDataTypeE1EhLi32ELi128ELi256ELb0ELi4EEvPKT_PKT0_S8_ifPKiSA_SA_iPKfiiiPfSD_PS3_PT2_iSC_SC_
		.amdhsa_group_segment_fixed_size 0
		.amdhsa_private_segment_fixed_size 64
		.amdhsa_kernarg_size 400
		.amdhsa_user_sgpr_count 15
		.amdhsa_user_sgpr_dispatch_ptr 0
		.amdhsa_user_sgpr_queue_ptr 0
		.amdhsa_user_sgpr_kernarg_segment_ptr 1
		.amdhsa_user_sgpr_dispatch_id 0
		.amdhsa_user_sgpr_private_segment_size 0
		.amdhsa_wavefront_size32 1
		.amdhsa_uses_dynamic_stack 0
		.amdhsa_enable_private_segment 1
		.amdhsa_system_sgpr_workgroup_id_x 1
		.amdhsa_system_sgpr_workgroup_id_y 0
		.amdhsa_system_sgpr_workgroup_id_z 0
		.amdhsa_system_sgpr_workgroup_info 0
		.amdhsa_system_vgpr_workitem_id 0
		.amdhsa_next_free_vgpr 41
		.amdhsa_next_free_sgpr 34
		.amdhsa_reserve_vcc 1
		.amdhsa_float_round_mode_32 0
		.amdhsa_float_round_mode_16_64 0
		.amdhsa_float_denorm_mode_32 3
		.amdhsa_float_denorm_mode_16_64 3
		.amdhsa_dx10_clamp 1
		.amdhsa_ieee_mode 1
		.amdhsa_fp16_overflow 0
		.amdhsa_workgroup_processor_mode 1
		.amdhsa_memory_ordered 1
		.amdhsa_forward_progress 0
		.amdhsa_shared_vgpr_count 0
		.amdhsa_exception_fp_ieee_invalid_op 0
		.amdhsa_exception_fp_denorm_src 0
		.amdhsa_exception_fp_ieee_div_zero 0
		.amdhsa_exception_fp_ieee_overflow 0
		.amdhsa_exception_fp_ieee_underflow 0
		.amdhsa_exception_fp_ieee_inexact 0
		.amdhsa_exception_int_div_zero 0
	.end_amdhsa_kernel
	.section	.text._Z38paged_attention_ll4mi_QKV_mfma4_kernelI14__hip_bfloat16hLN4vllm18Fp8KVCacheDataTypeE1EhLi32ELi128ELi256ELb0ELi4EEvPKT_PKT0_S8_ifPKiSA_SA_iPKfiiiPfSD_PS3_PT2_iSC_SC_,"axG",@progbits,_Z38paged_attention_ll4mi_QKV_mfma4_kernelI14__hip_bfloat16hLN4vllm18Fp8KVCacheDataTypeE1EhLi32ELi128ELi256ELb0ELi4EEvPKT_PKT0_S8_ifPKiSA_SA_iPKfiiiPfSD_PS3_PT2_iSC_SC_,comdat
.Lfunc_end1609:
	.size	_Z38paged_attention_ll4mi_QKV_mfma4_kernelI14__hip_bfloat16hLN4vllm18Fp8KVCacheDataTypeE1EhLi32ELi128ELi256ELb0ELi4EEvPKT_PKT0_S8_ifPKiSA_SA_iPKfiiiPfSD_PS3_PT2_iSC_SC_, .Lfunc_end1609-_Z38paged_attention_ll4mi_QKV_mfma4_kernelI14__hip_bfloat16hLN4vllm18Fp8KVCacheDataTypeE1EhLi32ELi128ELi256ELb0ELi4EEvPKT_PKT0_S8_ifPKiSA_SA_iPKfiiiPfSD_PS3_PT2_iSC_SC_
                                        ; -- End function
	.section	.AMDGPU.csdata,"",@progbits
; Kernel info:
; codeLenInByte = 72
; NumSgprs: 36
; NumVgprs: 41
; ScratchSize: 64
; MemoryBound: 0
; FloatMode: 240
; IeeeMode: 1
; LDSByteSize: 0 bytes/workgroup (compile time only)
; SGPRBlocks: 4
; VGPRBlocks: 5
; NumSGPRsForWavesPerEU: 36
; NumVGPRsForWavesPerEU: 41
; Occupancy: 16
; WaveLimiterHint : 1
; COMPUTE_PGM_RSRC2:SCRATCH_EN: 1
; COMPUTE_PGM_RSRC2:USER_SGPR: 15
; COMPUTE_PGM_RSRC2:TRAP_HANDLER: 0
; COMPUTE_PGM_RSRC2:TGID_X_EN: 1
; COMPUTE_PGM_RSRC2:TGID_Y_EN: 0
; COMPUTE_PGM_RSRC2:TGID_Z_EN: 0
; COMPUTE_PGM_RSRC2:TIDIG_COMP_CNT: 0
	.section	.text._Z39paged_attention_ll4mi_QKV_mfma16_kernelI14__hip_bfloat16hLN4vllm18Fp8KVCacheDataTypeE1EhLi32ELi128ELi256ELb0ELi5EL8MFMAType1EEvPKT_PKT0_S9_ifPKiSB_SB_iPKfiiiPfSE_PS4_PT2_iSD_SD_,"axG",@progbits,_Z39paged_attention_ll4mi_QKV_mfma16_kernelI14__hip_bfloat16hLN4vllm18Fp8KVCacheDataTypeE1EhLi32ELi128ELi256ELb0ELi5EL8MFMAType1EEvPKT_PKT0_S9_ifPKiSB_SB_iPKfiiiPfSE_PS4_PT2_iSD_SD_,comdat
	.protected	_Z39paged_attention_ll4mi_QKV_mfma16_kernelI14__hip_bfloat16hLN4vllm18Fp8KVCacheDataTypeE1EhLi32ELi128ELi256ELb0ELi5EL8MFMAType1EEvPKT_PKT0_S9_ifPKiSB_SB_iPKfiiiPfSE_PS4_PT2_iSD_SD_ ; -- Begin function _Z39paged_attention_ll4mi_QKV_mfma16_kernelI14__hip_bfloat16hLN4vllm18Fp8KVCacheDataTypeE1EhLi32ELi128ELi256ELb0ELi5EL8MFMAType1EEvPKT_PKT0_S9_ifPKiSB_SB_iPKfiiiPfSE_PS4_PT2_iSD_SD_
	.globl	_Z39paged_attention_ll4mi_QKV_mfma16_kernelI14__hip_bfloat16hLN4vllm18Fp8KVCacheDataTypeE1EhLi32ELi128ELi256ELb0ELi5EL8MFMAType1EEvPKT_PKT0_S9_ifPKiSB_SB_iPKfiiiPfSE_PS4_PT2_iSD_SD_
	.p2align	8
	.type	_Z39paged_attention_ll4mi_QKV_mfma16_kernelI14__hip_bfloat16hLN4vllm18Fp8KVCacheDataTypeE1EhLi32ELi128ELi256ELb0ELi5EL8MFMAType1EEvPKT_PKT0_S9_ifPKiSB_SB_iPKfiiiPfSE_PS4_PT2_iSD_SD_,@function
_Z39paged_attention_ll4mi_QKV_mfma16_kernelI14__hip_bfloat16hLN4vllm18Fp8KVCacheDataTypeE1EhLi32ELi128ELi256ELb0ELi5EL8MFMAType1EEvPKT_PKT0_S9_ifPKiSB_SB_iPKfiiiPfSE_PS4_PT2_iSD_SD_: ; @_Z39paged_attention_ll4mi_QKV_mfma16_kernelI14__hip_bfloat16hLN4vllm18Fp8KVCacheDataTypeE1EhLi32ELi128ELi256ELb0ELi5EL8MFMAType1EEvPKT_PKT0_S9_ifPKiSB_SB_iPKfiiiPfSE_PS4_PT2_iSD_SD_
; %bb.0:
	s_load_b64 s[4:5], s[0:1], 0x30
	s_mov_b32 s30, s13
	s_waitcnt lgkmcnt(0)
	s_cmp_lg_u64 s[4:5], 0
	s_cselect_b32 s13, -1, 0
	s_ashr_i32 s31, s30, 31
	s_cmp_eq_u64 s[4:5], 0
	s_cbranch_scc1 .LBB1610_3
; %bb.1:
	s_lshl_b64 s[2:3], s[30:31], 2
	s_delay_alu instid0(SALU_CYCLE_1) | instskip(SKIP_4) | instid1(SALU_CYCLE_1)
	s_add_u32 s2, s4, s2
	s_addc_u32 s3, s5, s3
	s_load_b64 s[2:3], s[2:3], 0x0
	s_waitcnt lgkmcnt(0)
	s_sub_i32 s2, s3, s2
	s_cmp_eq_u32 s2, 1
	s_cselect_b32 s2, -1, 0
	s_delay_alu instid0(SALU_CYCLE_1)
	s_and_not1_b32 vcc_lo, exec_lo, s2
	s_cbranch_vccz .LBB1610_4
.LBB1610_2:
	s_nop 0
	s_sendmsg sendmsg(MSG_DEALLOC_VGPRS)
	s_endpgm
.LBB1610_3:
.LBB1610_4:
	s_load_b64 s[2:3], s[0:1], 0x28
	s_lshl_b64 s[6:7], s[30:31], 2
	s_waitcnt lgkmcnt(0)
	s_add_u32 s2, s2, s6
	s_addc_u32 s3, s3, s7
	s_lshl_b32 s12, s14, 8
	s_load_b32 s17, s[2:3], 0x0
	s_waitcnt lgkmcnt(0)
	s_cmp_ge_i32 s12, s17
	s_cbranch_scc1 .LBB1610_2
; %bb.5:
	s_clause 0x1
	s_load_b128 s[8:11], s[0:1], 0x8
	s_load_b64 s[2:3], s[0:1], 0x20
	s_and_not1_b32 vcc_lo, exec_lo, s13
	s_cbranch_vccnz .LBB1610_7
; %bb.6:
	s_add_u32 s4, s4, s6
	s_addc_u32 s5, s5, s7
	s_load_b32 s13, s[4:5], 0x0
	s_branch .LBB1610_8
.LBB1610_7:
	s_mov_b32 s13, s30
.LBB1610_8:
	s_load_b128 s[4:7], s[0:1], 0x48
	v_and_b32_e32 v65, 15, v0
	v_lshrrev_b32_e32 v66, 5, v0
	v_bfe_u32 v74, v0, 4, 1
	v_and_b32_e32 v67, 31, v0
	v_and_b32_e32 v75, 1, v0
	v_lshlrev_b32_e32 v2, 3, v65
	s_mul_i32 s31, s15, 5
	v_lshl_or_b32 v1, v66, 1, v74
	s_waitcnt lgkmcnt(0)
	s_mov_b32 s7, exec_lo
	v_lshlrev_b32_e32 v73, 1, v2
	s_delay_alu instid0(VALU_DEP_2)
	v_cmpx_gt_u32_e32 5, v1
	s_cbranch_execz .LBB1610_10
; %bb.9:
	s_load_b64 s[18:19], s[0:1], 0x0
	v_add_lshl_u32 v2, v1, s31, 7
	s_mul_hi_i32 s21, s13, s4
	s_mul_i32 s20, s13, s4
	v_lshlrev_b32_e32 v6, 10, v65
	s_lshl_b64 s[20:21], s[20:21], 1
	v_ashrrev_i32_e32 v3, 31, v2
	v_lshlrev_b32_e32 v1, 6, v1
	v_lshlrev_b32_e32 v7, 10, v75
	v_and_b32_e32 v6, 0x3800, v6
	s_delay_alu instid0(VALU_DEP_4) | instskip(NEXT) | instid1(VALU_DEP_2)
	v_lshlrev_b64 v[2:3], 1, v[2:3]
	v_or3_b32 v1, v6, v7, v1
	s_waitcnt lgkmcnt(0)
	s_add_u32 s4, s18, s20
	s_addc_u32 s13, s19, s21
	s_delay_alu instid0(VALU_DEP_2) | instskip(SKIP_1) | instid1(VALU_DEP_2)
	v_add_co_u32 v2, vcc_lo, s4, v2
	v_add_co_ci_u32_e32 v3, vcc_lo, s13, v3, vcc_lo
	v_add_co_u32 v2, vcc_lo, v2, v73
	s_delay_alu instid0(VALU_DEP_2)
	v_add_co_ci_u32_e32 v3, vcc_lo, 0, v3, vcc_lo
	global_load_b128 v[2:5], v[2:3], off
	s_waitcnt vmcnt(0)
	ds_store_b128 v1, v[2:5]
.LBB1610_10:
	s_or_b32 exec_lo, exec_lo, s7
	v_and_b32_e32 v1, 0xef, v0
	s_add_i32 s4, s17, 31
	s_clause 0x1
	s_load_b32 s7, s[0:1], 0x38
	s_load_b32 s18, s[0:1], 0x1c
	s_ashr_i32 s13, s4, 31
	v_add_nc_u32_e32 v2, s12, v1
	s_lshr_b32 s13, s13, 27
	s_waitcnt lgkmcnt(0)
	s_add_i32 s4, s4, s13
	s_barrier
	v_ashrrev_i32_e32 v1, 31, v2
	s_ashr_i32 s4, s4, 5
	v_cmp_gt_i32_e32 vcc_lo, s17, v2
	s_add_i32 s4, s4, -1
	buffer_gl0_inv
	v_lshrrev_b32_e32 v3, 27, v1
	v_or_b32_e32 v1, 16, v2
	s_mul_i32 s15, s15, s6
	s_delay_alu instid0(VALU_DEP_2) | instskip(SKIP_1) | instid1(SALU_CYCLE_1)
	v_add_nc_u32_e32 v4, v2, v3
	s_mul_i32 s20, s30, s7
	s_ashr_i32 s21, s20, 31
	s_delay_alu instid0(VALU_DEP_1) | instskip(SKIP_2) | instid1(SALU_CYCLE_1)
	v_ashrrev_i32_e32 v4, 5, v4
	v_add_nc_u32_e32 v3, v1, v3
	s_lshl_b64 s[20:21], s[20:21], 2
	s_add_u32 s7, s2, s20
	s_delay_alu instid0(VALU_DEP_2) | instskip(NEXT) | instid1(VALU_DEP_2)
	v_cndmask_b32_e32 v2, s4, v4, vcc_lo
	v_ashrrev_i32_e32 v3, 5, v3
	v_cmp_gt_i32_e32 vcc_lo, s17, v1
	s_addc_u32 s13, s3, s21
	s_ashr_i32 s6, s15, 31
	s_add_u32 s2, s8, s15
	s_addc_u32 s3, s9, s6
	v_cndmask_b32_e32 v4, s4, v3, vcc_lo
	v_ashrrev_i32_e32 v3, 31, v2
	s_lshl_b32 s8, s14, 3
	s_delay_alu instid0(SALU_CYCLE_1) | instskip(NEXT) | instid1(VALU_DEP_2)
	s_ashr_i32 s9, s8, 31
	v_ashrrev_i32_e32 v5, 31, v4
	s_delay_alu instid0(VALU_DEP_2) | instskip(SKIP_1) | instid1(SALU_CYCLE_1)
	v_lshlrev_b64 v[1:2], 2, v[2:3]
	s_lshl_b64 s[8:9], s[8:9], 2
	s_add_u32 s8, s7, s8
	s_delay_alu instid0(VALU_DEP_2) | instskip(SKIP_1) | instid1(VALU_DEP_2)
	v_lshlrev_b64 v[3:4], 2, v[4:5]
	s_addc_u32 s9, s13, s9
	v_add_co_u32 v1, vcc_lo, s7, v1
	v_add_co_ci_u32_e32 v2, vcc_lo, s13, v2, vcc_lo
	s_delay_alu instid0(VALU_DEP_3) | instskip(NEXT) | instid1(VALU_DEP_4)
	v_add_co_u32 v3, vcc_lo, s7, v3
	v_add_co_ci_u32_e32 v4, vcc_lo, s13, v4, vcc_lo
	s_clause 0x1
	global_load_b32 v5, v[1:2], off
	global_load_b32 v6, v[3:4], off
	s_or_b32 s16, s12, 32
	s_delay_alu instid0(SALU_CYCLE_1) | instskip(SKIP_2) | instid1(SALU_CYCLE_1)
	s_ashr_i32 s19, s16, 5
	s_cmp_lt_i32 s16, s17
	s_cselect_b32 s20, s19, s4
	s_ashr_i32 s21, s20, 31
	s_delay_alu instid0(SALU_CYCLE_1) | instskip(NEXT) | instid1(SALU_CYCLE_1)
	s_lshl_b64 s[20:21], s[20:21], 2
	s_add_u32 s20, s7, s20
	s_addc_u32 s21, s13, s21
	s_or_b32 s16, s12, 64
	s_delay_alu instid0(SALU_CYCLE_1) | instskip(SKIP_2) | instid1(SALU_CYCLE_1)
	s_ashr_i32 s19, s16, 5
	s_cmp_lt_i32 s16, s17
	s_cselect_b32 s22, s19, s4
	s_ashr_i32 s23, s22, 31
	s_delay_alu instid0(SALU_CYCLE_1) | instskip(NEXT) | instid1(SALU_CYCLE_1)
	s_lshl_b64 s[22:23], s[22:23], 2
	s_add_u32 s22, s7, s22
	s_addc_u32 s23, s13, s23
	;; [unrolled: 10-line block ×5, first 2 shown]
	s_clause 0x5
	s_load_b32 s16, s[8:9], 0x0
	s_load_b32 s19, s[20:21], 0x0
	;; [unrolled: 1-line block ×6, first 2 shown]
	s_mov_b32 s20, 0
	s_delay_alu instid0(SALU_CYCLE_1)
	s_mov_b32 s21, s20
	s_mov_b32 s22, s20
	;; [unrolled: 1-line block ×7, first 2 shown]
	s_delay_alu instid0(SALU_CYCLE_1)
	v_dual_mov_b32 v107, s27 :: v_dual_mov_b32 v106, s26
	v_dual_mov_b32 v105, s25 :: v_dual_mov_b32 v102, s22
	;; [unrolled: 1-line block ×4, first 2 shown]
	s_waitcnt vmcnt(1)
	v_mad_i64_i32 v[1:2], null, v5, s5, s[2:3]
	v_lshlrev_b32_e32 v5, 4, v65
	s_waitcnt vmcnt(0)
	v_mad_i64_i32 v[3:4], null, v6, s5, s[2:3]
	s_or_b32 s2, s12, 0xc0
	s_delay_alu instid0(SALU_CYCLE_1) | instskip(NEXT) | instid1(VALU_DEP_3)
	s_ashr_i32 s3, s2, 5
	v_add_co_u32 v25, vcc_lo, v1, v5
	s_delay_alu instid0(VALU_DEP_4) | instskip(NEXT) | instid1(VALU_DEP_3)
	v_add_co_ci_u32_e32 v26, vcc_lo, 0, v2, vcc_lo
	v_add_co_u32 v27, vcc_lo, v3, v5
	s_delay_alu instid0(VALU_DEP_4)
	v_add_co_ci_u32_e32 v28, vcc_lo, 0, v4, vcc_lo
	s_clause 0xf
	global_load_b128 v[1:4], v[25:26], off
	global_load_b128 v[5:8], v[25:26], off offset:512
	global_load_b128 v[9:12], v[27:28], off offset:256
	;; [unrolled: 1-line block ×15, first 2 shown]
	v_mul_lo_u16 v25, v65, 52
	s_cmp_lt_i32 s2, s17
	v_lshlrev_b32_e32 v26, 5, v65
	s_cselect_b32 s2, s3, s4
	s_delay_alu instid0(VALU_DEP_2) | instskip(SKIP_1) | instid1(VALU_DEP_2)
	v_lshrrev_b16 v25, 8, v25
	s_ashr_i32 s3, s2, 31
	v_lshl_or_b32 v33, v66, 9, v26
	s_lshl_b64 s[2:3], s[2:3], 2
	s_delay_alu instid0(VALU_DEP_2) | instskip(SKIP_3) | instid1(VALU_DEP_1)
	v_mul_lo_u16 v25, v25, 5
	s_add_u32 s2, s7, s2
	s_addc_u32 s3, s13, s3
	s_or_b32 s8, s12, 0xe0
	v_sub_nc_u16 v25, v65, v25
	s_ashr_i32 s9, s8, 5
	s_cmp_lt_i32 s8, s17
	s_cselect_b32 s8, s9, s4
	s_delay_alu instid0(VALU_DEP_1) | instskip(SKIP_1) | instid1(SALU_CYCLE_1)
	v_and_b32_e32 v25, 0xff, v25
	s_ashr_i32 s9, s8, 31
	s_lshl_b64 s[8:9], s[8:9], 2
	s_delay_alu instid0(VALU_DEP_1)
	v_lshlrev_b32_e32 v72, 6, v25
	ds_load_b128 v[25:28], v72
	ds_load_b128 v[29:32], v72 offset:1024
	ds_load_b128 v[108:111], v72 offset:2048
	;; [unrolled: 1-line block ×3, first 2 shown]
	s_load_b32 s4, s[2:3], 0x0
	s_add_u32 s2, s7, s8
	s_addc_u32 s3, s13, s9
	ds_load_b128 v[116:119], v72 offset:4096
	ds_load_b128 v[120:123], v72 offset:5120
	s_load_b32 s2, s[2:3], 0x0
	s_add_u32 s7, s10, s15
	s_addc_u32 s6, s11, s6
	v_add_co_u32 v68, s7, s7, v33
	s_delay_alu instid0(VALU_DEP_1) | instskip(SKIP_1) | instid1(VALU_DEP_1)
	v_add_co_ci_u32_e64 v69, null, s6, 0, s7
	s_waitcnt lgkmcnt(0)
	v_mad_i64_i32 v[33:34], null, s16, s5, v[68:69]
	v_mad_i64_i32 v[70:71], null, s33, s5, v[68:69]
	;; [unrolled: 1-line block ×7, first 2 shown]
	s_clause 0x3
	global_load_b128 v[41:44], v[33:34], off
	global_load_b128 v[45:48], v[33:34], off offset:16
	global_load_b128 v[33:36], v[37:38], off
	global_load_b128 v[37:40], v[37:38], off offset:16
	s_waitcnt vmcnt(18)
	v_wmma_f32_16x16x16_bf16 v[124:131], v[1:8], v[25:32], v[100:107]
	s_waitcnt vmcnt(16)
	v_wmma_f32_16x16x16_bf16 v[100:107], v[9:16], v[25:32], v[100:107]
	s_clause 0x1
	global_load_b128 v[25:28], v[70:71], off
	global_load_b128 v[29:32], v[70:71], off offset:16
	s_waitcnt vmcnt(16)
	v_wmma_f32_16x16x16_bf16 v[124:131], v[17:24], v[108:115], v[124:131]
	s_clause 0x1
	global_load_b128 v[17:20], v[132:133], off
	global_load_b128 v[21:24], v[132:133], off offset:16
	s_waitcnt vmcnt(16)
	v_wmma_f32_16x16x16_bf16 v[100:107], v[49:56], v[108:115], v[100:107]
	v_mad_i64_i32 v[53:54], null, s2, s5, v[68:69]
	s_clause 0x3
	global_load_b128 v[1:4], v[134:135], off
	global_load_b128 v[5:8], v[134:135], off offset:16
	global_load_b128 v[9:12], v[136:137], off
	global_load_b128 v[13:16], v[136:137], off offset:16
	s_waitcnt vmcnt(18)
	v_wmma_f32_16x16x16_bf16 v[124:131], v[57:64], v[116:123], v[124:131]
	s_clause 0x3
	global_load_b128 v[57:60], v[138:139], off
	global_load_b128 v[61:64], v[138:139], off offset:16
	global_load_b128 v[49:52], v[53:54], off
	global_load_b128 v[53:56], v[53:54], off offset:16
	s_waitcnt vmcnt(20)
	v_wmma_f32_16x16x16_bf16 v[100:107], v[76:83], v[116:123], v[100:107]
	ds_load_b128 v[76:79], v72 offset:6144
	ds_load_b128 v[80:83], v72 offset:7168
	v_mbcnt_lo_u32_b32 v69, -1, 0
	s_waitcnt vmcnt(0) lgkmcnt(0)
	s_barrier
	buffer_gl0_inv
	v_xor_b32_e32 v70, 16, v69
	s_delay_alu instid0(VALU_DEP_1) | instskip(SKIP_4) | instid1(VALU_DEP_2)
	v_cmp_gt_i32_e32 vcc_lo, 32, v70
	v_cndmask_b32_e32 v69, v69, v70, vcc_lo
	v_wmma_f32_16x16x16_bf16 v[124:131], v[84:91], v[76:83], v[124:131]
	v_and_b32_e32 v68, 0xe0, v0
	v_wmma_f32_16x16x16_bf16 v[100:107], v[92:99], v[76:83], v[100:107]
	v_dual_mul_f32 v81, s18, v129 :: v_dual_add_nc_u32 v68, s12, v68
	s_delay_alu instid0(VALU_DEP_4) | instskip(NEXT) | instid1(VALU_DEP_3)
	v_dual_mul_f32 v83, s18, v131 :: v_dual_mul_f32 v78, s18, v125
	v_mul_f32_e32 v95, s18, v103
	v_mul_f32_e32 v79, s18, v127
	s_delay_alu instid0(VALU_DEP_4) | instskip(SKIP_3) | instid1(VALU_DEP_4)
	v_or_b32_e32 v68, v68, v74
	v_dual_mul_f32 v80, s18, v126 :: v_dual_mul_f32 v97, s18, v105
	v_dual_mul_f32 v93, s18, v101 :: v_dual_mul_f32 v82, s18, v128
	v_mul_f32_e32 v99, s18, v107
	v_or_b32_e32 v70, 2, v68
	v_or_b32_e32 v71, 4, v68
	;; [unrolled: 1-line block ×3, first 2 shown]
	v_cmp_gt_i32_e64 s2, s17, v68
	v_or_b32_e32 v108, 8, v68
	v_cmp_gt_i32_e32 vcc_lo, s17, v70
	v_mul_f32_e32 v70, s18, v124
	v_or_b32_e32 v109, 10, v68
	v_cmp_gt_i32_e64 s3, s17, v71
	v_cmp_gt_i32_e64 s4, s17, v72
	v_cndmask_b32_e32 v78, 0xff7fffff, v78, vcc_lo
	v_cndmask_b32_e64 v70, 0xff7fffff, v70, s2
	v_or_b32_e32 v84, 12, v68
	v_or_b32_e32 v85, 14, v68
	v_cndmask_b32_e64 v71, 0xff7fffff, v80, s3
	v_cndmask_b32_e64 v72, 0xff7fffff, v79, s4
	v_max3_f32 v70, v70, 0xff7fffff, v78
	v_cmp_gt_i32_e64 s5, s17, v108
	v_cmp_gt_i32_e64 s6, s17, v109
	v_or_b32_e32 v86, 16, v68
	v_or_b32_e32 v87, 18, v68
	;; [unrolled: 1-line block ×3, first 2 shown]
	v_mul_f32_e32 v92, s18, v130
	v_cndmask_b32_e64 v78, 0xff7fffff, v82, s5
	v_cndmask_b32_e64 v79, 0xff7fffff, v81, s6
	v_max3_f32 v70, v70, v71, v72
	v_cmp_gt_i32_e64 s7, s17, v84
	v_cmp_gt_i32_e64 s8, s17, v85
	v_or_b32_e32 v88, 20, v68
	v_mul_f32_e32 v94, s18, v100
	v_max3_f32 v70, v70, v78, v79
	v_cmp_gt_i32_e64 s9, s17, v86
	v_cndmask_b32_e64 v72, 0xff7fffff, v83, s8
	v_cmp_gt_i32_e64 s10, s17, v87
	v_cmp_gt_i32_e64 s12, s17, v89
	v_lshlrev_b32_e32 v89, 2, v69
	v_cndmask_b32_e64 v71, 0xff7fffff, v92, s7
	v_or_b32_e32 v90, 24, v68
	v_or_b32_e32 v91, 26, v68
	v_mul_f32_e32 v96, s18, v102
	v_cndmask_b32_e64 v78, 0xff7fffff, v94, s9
	v_cndmask_b32_e64 v79, 0xff7fffff, v93, s10
	v_max3_f32 v70, v70, v71, v72
	v_cmp_gt_i32_e64 s11, s17, v88
	v_or_b32_e32 v76, 28, v68
	v_or_b32_e32 v77, 30, v68
	v_mul_f32_e32 v98, s18, v104
	v_cndmask_b32_e64 v72, 0xff7fffff, v95, s12
	v_cndmask_b32_e64 v71, 0xff7fffff, v96, s11
	v_max3_f32 v70, v70, v78, v79
	v_cmp_gt_i32_e64 s13, s17, v90
	v_cmp_gt_i32_e64 s15, s17, v91
	v_mul_f32_e32 v68, s18, v106
	v_cmp_gt_i32_e64 s16, s17, v76
	v_max3_f32 v70, v70, v71, v72
	v_cndmask_b32_e64 v78, 0xff7fffff, v98, s13
	v_cndmask_b32_e64 v79, 0xff7fffff, v97, s15
	v_cmp_gt_i32_e64 s17, s17, v77
	v_cndmask_b32_e64 v68, 0xff7fffff, v68, s16
	s_delay_alu instid0(VALU_DEP_3) | instskip(NEXT) | instid1(VALU_DEP_3)
	v_max3_f32 v70, v70, v78, v79
	v_cndmask_b32_e64 v71, 0xff7fffff, v99, s17
	s_delay_alu instid0(VALU_DEP_1) | instskip(SKIP_3) | instid1(VALU_DEP_1)
	v_max3_f32 v68, v70, v68, v71
	ds_bpermute_b32 v69, v89, v68
	s_waitcnt lgkmcnt(0)
	v_max_f32_e32 v69, v69, v69
	v_max_f32_e32 v68, v68, v69
	s_delay_alu instid0(VALU_DEP_1) | instskip(NEXT) | instid1(VALU_DEP_1)
	v_fma_f32 v71, s18, v126, -v68
	v_mul_f32_e32 v71, 0x3fb8aa3b, v71
	s_delay_alu instid0(VALU_DEP_1) | instskip(SKIP_3) | instid1(VALU_DEP_1)
	v_exp_f32_e32 v71, v71
	s_waitcnt_depctr 0xfff
	v_cndmask_b32_e64 v83, 0, v71, s3
	v_fma_f32 v71, s18, v131, -v68
	v_mul_f32_e32 v71, 0x3fb8aa3b, v71
	v_fma_f32 v69, s18, v124, -v68
	v_fma_f32 v76, s18, v128, -v68
	;; [unrolled: 1-line block ×4, first 2 shown]
	v_exp_f32_e32 v71, v71
	v_mul_f32_e32 v69, 0x3fb8aa3b, v69
	v_mul_f32_e32 v77, 0x3fb8aa3b, v76
	v_fma_f32 v81, s18, v105, -v68
	v_fma_f32 v78, s18, v130, -v68
	s_delay_alu instid0(VALU_DEP_4) | instskip(NEXT) | instid1(VALU_DEP_3)
	v_exp_f32_e32 v69, v69
	v_exp_f32_e32 v77, v77
	s_delay_alu instid0(VALU_DEP_2) | instskip(NEXT) | instid1(TRANS32_DEP_3)
	v_mul_f32_e32 v81, 0x3fb8aa3b, v81
	v_cndmask_b32_e64 v88, 0, v71, s8
	v_fma_f32 v71, s18, v104, -v68
	s_delay_alu instid0(VALU_DEP_3) | instskip(NEXT) | instid1(TRANS32_DEP_3)
	v_exp_f32_e32 v81, v81
	v_cndmask_b32_e64 v80, 0, v69, s2
	v_fma_f32 v69, s18, v129, -v68
	v_mul_f32_e32 v70, 0x3fb8aa3b, v70
	s_delay_alu instid0(TRANS32_DEP_2)
	v_cndmask_b32_e64 v86, 0, v77, s5
	v_mul_f32_e32 v72, 0x3fb8aa3b, v72
	v_fma_f32 v77, s18, v101, -v68
	v_mul_f32_e32 v69, 0x3fb8aa3b, v69
	v_exp_f32_e32 v70, v70
	v_mul_f32_e32 v71, 0x3fb8aa3b, v71
	v_exp_f32_e32 v72, v72
	;; [unrolled: 2-line block ×3, first 2 shown]
	v_cmp_gt_u32_e64 s2, 16, v67
	v_exp_f32_e32 v82, v71
	s_delay_alu instid0(VALU_DEP_2) | instskip(SKIP_4) | instid1(TRANS32_DEP_3)
	v_exp_f32_e32 v77, v77
	v_cndmask_b32_e32 v76, 0, v70, vcc_lo
	v_add_f32_e32 v70, 0, v80
	v_cndmask_b32_e64 v85, 0, v72, s4
	v_fma_f32 v72, s18, v100, -v68
	v_cndmask_b32_e64 v87, 0, v69, s6
	s_delay_alu instid0(VALU_DEP_4) | instskip(NEXT) | instid1(VALU_DEP_3)
	v_add_f32_e32 v70, v70, v76
	v_mul_f32_e32 v72, 0x3fb8aa3b, v72
	s_delay_alu instid0(VALU_DEP_2) | instskip(NEXT) | instid1(VALU_DEP_2)
	v_add_f32_e32 v70, v70, v83
	v_exp_f32_e32 v72, v72
	s_delay_alu instid0(VALU_DEP_1) | instskip(NEXT) | instid1(VALU_DEP_1)
	v_add_f32_e32 v70, v70, v85
	v_add_f32_e32 v69, v70, v86
	v_fma_f32 v70, s18, v102, -v68
	s_delay_alu instid0(VALU_DEP_2) | instskip(NEXT) | instid1(VALU_DEP_2)
	v_dual_add_f32 v69, v69, v87 :: v_dual_mul_f32 v78, 0x3fb8aa3b, v78
	v_mul_f32_e32 v70, 0x3fb8aa3b, v70
	s_delay_alu instid0(VALU_DEP_2) | instskip(NEXT) | instid1(VALU_DEP_1)
	v_exp_f32_e32 v78, v78
	v_exp_f32_e32 v79, v70
	s_delay_alu instid0(TRANS32_DEP_3) | instskip(SKIP_4) | instid1(VALU_DEP_2)
	v_cndmask_b32_e64 v70, 0, v72, s9
	s_waitcnt_depctr 0xfff
	v_cndmask_b32_e64 v84, 0, v78, s7
	v_fma_f32 v78, s18, v103, -v68
	v_cndmask_b32_e64 v71, 0, v79, s11
	v_dual_add_f32 v69, v69, v84 :: v_dual_mul_f32 v78, 0x3fb8aa3b, v78
	s_delay_alu instid0(VALU_DEP_1) | instskip(NEXT) | instid1(VALU_DEP_2)
	v_add_f32_e32 v72, v69, v88
	v_exp_f32_e32 v78, v78
	v_cndmask_b32_e64 v69, 0, v77, s10
	v_fma_f32 v77, s18, v106, -v68
	s_delay_alu instid0(VALU_DEP_1) | instskip(NEXT) | instid1(VALU_DEP_1)
	v_dual_add_f32 v72, v72, v70 :: v_dual_mul_f32 v77, 0x3fb8aa3b, v77
	v_add_f32_e32 v79, v72, v69
	s_waitcnt_depctr 0xfff
	v_cndmask_b32_e64 v72, 0, v78, s12
	v_exp_f32_e32 v90, v77
	v_cndmask_b32_e64 v77, 0, v82, s13
	v_add_f32_e32 v78, v79, v71
	v_fma_f32 v79, s18, v107, -v68
	s_delay_alu instid0(VALU_DEP_1) | instskip(SKIP_1) | instid1(VALU_DEP_2)
	v_dual_add_f32 v82, v78, v72 :: v_dual_mul_f32 v79, 0x3fb8aa3b, v79
	v_cndmask_b32_e64 v78, 0, v81, s15
	v_add_f32_e32 v81, v82, v77
	s_delay_alu instid0(VALU_DEP_3) | instskip(NEXT) | instid1(TRANS32_DEP_2)
	v_exp_f32_e32 v82, v79
	v_cndmask_b32_e64 v79, 0, v90, s16
	s_delay_alu instid0(VALU_DEP_2) | instskip(NEXT) | instid1(VALU_DEP_1)
	v_add_f32_e32 v81, v81, v78
	v_add_f32_e32 v90, v81, v79
	s_waitcnt_depctr 0xfff
	v_cndmask_b32_e64 v81, 0, v82, s17
	s_delay_alu instid0(VALU_DEP_1)
	v_add_f32_e32 v82, v90, v81
	ds_bpermute_b32 v89, v89, v82
	s_and_saveexec_b32 s3, s2
	s_cbranch_execz .LBB1610_12
; %bb.11:
	v_mul_u32_u24_e32 v67, 0x44, v66
	s_delay_alu instid0(VALU_DEP_1) | instskip(SKIP_1) | instid1(VALU_DEP_1)
	v_lshl_add_u32 v67, v65, 2, v67
	s_waitcnt lgkmcnt(0)
	v_dual_add_f32 v82, v82, v89 :: v_dual_add_nc_u32 v67, 0x4000, v67
	ds_store_2addr_b32 v67, v68, v82 offset1:136
.LBB1610_12:
	s_or_b32 exec_lo, exec_lo, s3
	v_lshlrev_b32_e32 v67, 2, v65
	s_waitcnt lgkmcnt(0)
	s_barrier
	buffer_gl0_inv
	v_cmp_eq_u32_e32 vcc_lo, 1, v66
	v_add_nc_u32_e32 v82, 0x4000, v67
	v_cmp_eq_u32_e64 s3, 2, v66
	v_cmp_eq_u32_e64 s5, 7, v66
	ds_load_2addr_b32 v[89:90], v82 offset1:17
	ds_load_2addr_b32 v[91:92], v82 offset0:34 offset1:51
	ds_load_2addr_b32 v[93:94], v82 offset0:68 offset1:85
	;; [unrolled: 1-line block ×4, first 2 shown]
	s_waitcnt lgkmcnt(4)
	v_max3_f32 v67, v89, 0xff7fffff, v90
	s_waitcnt lgkmcnt(3)
	s_delay_alu instid0(VALU_DEP_1) | instskip(SKIP_1) | instid1(VALU_DEP_1)
	v_max3_f32 v67, v67, v91, v92
	s_waitcnt lgkmcnt(2)
	v_max3_f32 v67, v67, v93, v94
	s_waitcnt lgkmcnt(1)
	s_delay_alu instid0(VALU_DEP_1) | instskip(NEXT) | instid1(VALU_DEP_1)
	v_max3_f32 v67, v67, v95, v96
	v_sub_f32_e32 v93, v93, v67
	s_delay_alu instid0(VALU_DEP_1) | instskip(NEXT) | instid1(VALU_DEP_1)
	v_dual_sub_f32 v68, v89, v67 :: v_dual_mul_f32 v103, 0x3fb8aa3b, v93
	v_mul_f32_e32 v68, 0x3fb8aa3b, v68
	s_delay_alu instid0(VALU_DEP_1)
	v_exp_f32_e32 v100, v68
	v_sub_f32_e32 v68, v92, v67
	v_sub_f32_e32 v99, v90, v67
	ds_load_2addr_b32 v[89:90], v82 offset0:170 offset1:187
	v_dual_mul_f32 v102, 0x3fb8aa3b, v68 :: v_dual_mul_f32 v99, 0x3fb8aa3b, v99
	s_waitcnt lgkmcnt(1)
	v_fma_f32 v68, v100, v97, 0
	s_delay_alu instid0(VALU_DEP_2) | instskip(NEXT) | instid1(VALU_DEP_2)
	v_exp_f32_e32 v102, v102
	v_exp_f32_e32 v99, v99
	s_waitcnt_depctr 0xfff
	v_fmac_f32_e32 v68, v99, v98
	v_sub_f32_e32 v91, v91, v67
	s_delay_alu instid0(VALU_DEP_1)
	v_mul_f32_e32 v101, 0x3fb8aa3b, v91
	ds_load_2addr_b32 v[91:92], v82 offset0:204 offset1:221
	v_sub_f32_e32 v97, v94, v67
	ds_load_2addr_b32 v[93:94], v82 offset0:238 offset1:255
	s_waitcnt lgkmcnt(0)
	v_exp_f32_e32 v101, v101
	s_barrier
	buffer_gl0_inv
	v_dual_fmac_f32 v68, v101, v89 :: v_dual_sub_f32 v89, v96, v67
	v_dual_sub_f32 v82, v95, v67 :: v_dual_mul_f32 v95, 0x3fb8aa3b, v97
	v_exp_f32_e32 v97, v103
	s_delay_alu instid0(VALU_DEP_2) | instskip(NEXT) | instid1(VALU_DEP_2)
	v_dual_fmac_f32 v68, v102, v90 :: v_dual_mul_f32 v89, 0x3fb8aa3b, v89
	v_mul_f32_e32 v82, 0x3fb8aa3b, v82
	s_delay_alu instid0(VALU_DEP_3) | instskip(NEXT) | instid1(VALU_DEP_2)
	v_exp_f32_e32 v95, v95
	v_exp_f32_e32 v89, v89
	s_delay_alu instid0(VALU_DEP_1)
	v_exp_f32_e32 v82, v82
	v_fmac_f32_e32 v68, v97, v91
	s_delay_alu instid0(TRANS32_DEP_3) | instid1(VALU_DEP_1)
	v_fmac_f32_e32 v68, v95, v92
	s_waitcnt_depctr 0xfff
	v_fmac_f32_e32 v68, v82, v93
	s_delay_alu instid0(VALU_DEP_1) | instskip(NEXT) | instid1(VALU_DEP_1)
	v_fmac_f32_e32 v68, v89, v94
	v_add_f32_e32 v90, 0x358637bd, v68
	s_delay_alu instid0(VALU_DEP_1) | instskip(NEXT) | instid1(VALU_DEP_1)
	v_div_scale_f32 v91, null, v90, v90, 1.0
	v_rcp_f32_e32 v92, v91
	s_waitcnt_depctr 0xfff
	v_fma_f32 v93, -v91, v92, 1.0
	s_delay_alu instid0(VALU_DEP_1) | instskip(SKIP_1) | instid1(VALU_DEP_2)
	v_dual_fmac_f32 v92, v93, v92 :: v_dual_cndmask_b32 v93, v100, v99
	v_cmp_eq_u32_e32 vcc_lo, 3, v66
	v_cndmask_b32_e64 v93, v93, v101, s3
	v_cmp_eq_u32_e64 s3, 4, v66
	s_delay_alu instid0(VALU_DEP_2) | instskip(SKIP_1) | instid1(VALU_DEP_2)
	v_cndmask_b32_e32 v93, v93, v102, vcc_lo
	v_cmp_eq_u32_e32 vcc_lo, 5, v66
	v_cndmask_b32_e64 v93, v93, v97, s3
	v_cmp_eq_u32_e64 s3, 6, v66
	s_delay_alu instid0(VALU_DEP_2) | instskip(SKIP_1) | instid1(VALU_DEP_1)
	v_cndmask_b32_e32 v93, v93, v95, vcc_lo
	v_div_scale_f32 v94, s4, 1.0, v90, 1.0
	s_mov_b32 vcc_lo, s4
	s_delay_alu instid0(VALU_DEP_2) | instskip(NEXT) | instid1(VALU_DEP_2)
	v_cndmask_b32_e64 v82, v93, v82, s3
	v_mul_f32_e32 v96, v94, v92
	s_mov_b32 s3, exec_lo
	s_delay_alu instid0(VALU_DEP_2) | instskip(NEXT) | instid1(VALU_DEP_2)
	v_cndmask_b32_e64 v82, v82, v89, s5
	v_fma_f32 v98, -v91, v96, v94
	s_delay_alu instid0(VALU_DEP_1) | instskip(NEXT) | instid1(VALU_DEP_1)
	v_fmac_f32_e32 v96, v98, v92
	v_fma_f32 v91, -v91, v96, v94
	s_delay_alu instid0(VALU_DEP_1) | instskip(NEXT) | instid1(VALU_DEP_1)
	v_div_fmas_f32 v91, v91, v92, v96
	v_div_fixup_f32 v90, v91, v90, 1.0
	s_delay_alu instid0(VALU_DEP_1) | instskip(NEXT) | instid1(VALU_DEP_1)
	v_mul_f32_e32 v82, v82, v90
	v_mul_f32_e32 v87, v82, v87
	;; [unrolled: 1-line block ×7, first 2 shown]
	v_dual_mul_f32 v86, v82, v83 :: v_dual_and_b32 v91, 0x7f800000, v90
	v_mul_f32_e32 v85, v82, v76
                                        ; implicit-def: $vgpr76
	s_delay_alu instid0(VALU_DEP_2)
	v_cmpx_ne_u32_e32 0x7f800000, v91
	s_xor_b32 s3, exec_lo, s3
; %bb.13:
	v_bfe_u32 v76, v90, 16, 1
	s_delay_alu instid0(VALU_DEP_1)
	v_add3_u32 v76, v90, v76, 0x7fff
                                        ; implicit-def: $vgpr90
; %bb.14:
	s_and_not1_saveexec_b32 s3, s3
; %bb.15:
	v_and_b32_e32 v76, 0xffff, v90
	v_or_b32_e32 v83, 0x10000, v90
	s_delay_alu instid0(VALU_DEP_2) | instskip(NEXT) | instid1(VALU_DEP_2)
	v_cmp_eq_u32_e32 vcc_lo, 0, v76
	v_cndmask_b32_e32 v76, v83, v90, vcc_lo
; %bb.16:
	s_or_b32 exec_lo, exec_lo, s3
	v_and_b32_e32 v83, 0x7f800000, v85
	s_delay_alu instid0(VALU_DEP_1) | instskip(SKIP_1) | instid1(SALU_CYCLE_1)
	v_cmp_ne_u32_e32 vcc_lo, 0x7f800000, v83
                                        ; implicit-def: $vgpr83
	s_and_saveexec_b32 s3, vcc_lo
	s_xor_b32 s3, exec_lo, s3
; %bb.17:
	v_bfe_u32 v83, v85, 16, 1
	s_delay_alu instid0(VALU_DEP_1)
	v_add3_u32 v83, v85, v83, 0x7fff
                                        ; implicit-def: $vgpr85
; %bb.18:
	s_and_not1_saveexec_b32 s3, s3
; %bb.19:
	v_and_b32_e32 v83, 0xffff, v85
	v_or_b32_e32 v90, 0x10000, v85
	s_delay_alu instid0(VALU_DEP_2) | instskip(NEXT) | instid1(VALU_DEP_2)
	v_cmp_eq_u32_e32 vcc_lo, 0, v83
	v_cndmask_b32_e32 v83, v90, v85, vcc_lo
; %bb.20:
	s_or_b32 exec_lo, exec_lo, s3
	v_and_b32_e32 v85, 0x7f800000, v86
	s_delay_alu instid0(VALU_DEP_1) | instskip(SKIP_1) | instid1(SALU_CYCLE_1)
	v_cmp_ne_u32_e32 vcc_lo, 0x7f800000, v85
                                        ; implicit-def: $vgpr85
	s_and_saveexec_b32 s3, vcc_lo
	s_xor_b32 s3, exec_lo, s3
; %bb.21:
	v_bfe_u32 v85, v86, 16, 1
	s_delay_alu instid0(VALU_DEP_1)
	v_add3_u32 v85, v86, v85, 0x7fff
                                        ; implicit-def: $vgpr86
; %bb.22:
	s_and_not1_saveexec_b32 s3, s3
; %bb.23:
	v_and_b32_e32 v85, 0xffff, v86
	v_or_b32_e32 v90, 0x10000, v86
	s_delay_alu instid0(VALU_DEP_2) | instskip(NEXT) | instid1(VALU_DEP_2)
	v_cmp_eq_u32_e32 vcc_lo, 0, v85
	v_cndmask_b32_e32 v85, v90, v86, vcc_lo
; %bb.24:
	s_or_b32 exec_lo, exec_lo, s3
	v_and_b32_e32 v86, 0x7f800000, v89
	s_delay_alu instid0(VALU_DEP_1) | instskip(SKIP_1) | instid1(SALU_CYCLE_1)
	v_cmp_ne_u32_e32 vcc_lo, 0x7f800000, v86
                                        ; implicit-def: $vgpr86
	s_and_saveexec_b32 s3, vcc_lo
	s_xor_b32 s3, exec_lo, s3
; %bb.25:
	v_bfe_u32 v86, v89, 16, 1
	s_delay_alu instid0(VALU_DEP_1)
	v_add3_u32 v86, v89, v86, 0x7fff
                                        ; implicit-def: $vgpr89
; %bb.26:
	s_and_not1_saveexec_b32 s3, s3
; %bb.27:
	v_and_b32_e32 v86, 0xffff, v89
	v_or_b32_e32 v90, 0x10000, v89
	s_delay_alu instid0(VALU_DEP_2) | instskip(NEXT) | instid1(VALU_DEP_2)
	v_cmp_eq_u32_e32 vcc_lo, 0, v86
	v_cndmask_b32_e32 v86, v90, v89, vcc_lo
; %bb.28:
	s_or_b32 exec_lo, exec_lo, s3
	v_and_b32_e32 v89, 0x7f800000, v88
	s_delay_alu instid0(VALU_DEP_1) | instskip(SKIP_1) | instid1(SALU_CYCLE_1)
	v_cmp_ne_u32_e32 vcc_lo, 0x7f800000, v89
                                        ; implicit-def: $vgpr89
	s_and_saveexec_b32 s3, vcc_lo
	s_xor_b32 s3, exec_lo, s3
; %bb.29:
	v_bfe_u32 v89, v88, 16, 1
	s_delay_alu instid0(VALU_DEP_1)
	v_add3_u32 v89, v88, v89, 0x7fff
                                        ; implicit-def: $vgpr88
; %bb.30:
	s_and_not1_saveexec_b32 s3, s3
; %bb.31:
	v_and_b32_e32 v89, 0xffff, v88
	v_or_b32_e32 v90, 0x10000, v88
	s_delay_alu instid0(VALU_DEP_2) | instskip(NEXT) | instid1(VALU_DEP_2)
	v_cmp_eq_u32_e32 vcc_lo, 0, v89
	v_cndmask_b32_e32 v89, v90, v88, vcc_lo
; %bb.32:
	s_or_b32 exec_lo, exec_lo, s3
	v_and_b32_e32 v88, 0x7f800000, v87
	s_delay_alu instid0(VALU_DEP_1) | instskip(SKIP_1) | instid1(SALU_CYCLE_1)
	v_cmp_ne_u32_e32 vcc_lo, 0x7f800000, v88
                                        ; implicit-def: $vgpr88
	s_and_saveexec_b32 s3, vcc_lo
	s_xor_b32 s3, exec_lo, s3
; %bb.33:
	v_bfe_u32 v88, v87, 16, 1
	s_delay_alu instid0(VALU_DEP_1)
	v_add3_u32 v88, v87, v88, 0x7fff
                                        ; implicit-def: $vgpr87
; %bb.34:
	s_and_not1_saveexec_b32 s3, s3
; %bb.35:
	v_and_b32_e32 v88, 0xffff, v87
	v_or_b32_e32 v90, 0x10000, v87
	s_delay_alu instid0(VALU_DEP_2) | instskip(NEXT) | instid1(VALU_DEP_2)
	v_cmp_eq_u32_e32 vcc_lo, 0, v88
	v_cndmask_b32_e32 v88, v90, v87, vcc_lo
; %bb.36:
	s_or_b32 exec_lo, exec_lo, s3
	v_and_b32_e32 v87, 0x7f800000, v84
	s_delay_alu instid0(VALU_DEP_1) | instskip(SKIP_1) | instid1(SALU_CYCLE_1)
	v_cmp_ne_u32_e32 vcc_lo, 0x7f800000, v87
                                        ; implicit-def: $vgpr87
	s_and_saveexec_b32 s3, vcc_lo
	s_xor_b32 s3, exec_lo, s3
; %bb.37:
	v_bfe_u32 v87, v84, 16, 1
	s_delay_alu instid0(VALU_DEP_1)
	v_add3_u32 v87, v84, v87, 0x7fff
                                        ; implicit-def: $vgpr84
; %bb.38:
	s_and_not1_saveexec_b32 s3, s3
; %bb.39:
	v_and_b32_e32 v87, 0xffff, v84
	v_or_b32_e32 v90, 0x10000, v84
	s_delay_alu instid0(VALU_DEP_2) | instskip(NEXT) | instid1(VALU_DEP_2)
	v_cmp_eq_u32_e32 vcc_lo, 0, v87
	v_cndmask_b32_e32 v87, v90, v84, vcc_lo
; %bb.40:
	s_or_b32 exec_lo, exec_lo, s3
	v_and_b32_e32 v84, 0x7f800000, v80
	s_delay_alu instid0(VALU_DEP_1) | instskip(SKIP_1) | instid1(SALU_CYCLE_1)
	v_cmp_ne_u32_e32 vcc_lo, 0x7f800000, v84
                                        ; implicit-def: $vgpr84
	s_and_saveexec_b32 s3, vcc_lo
	s_xor_b32 s3, exec_lo, s3
; %bb.41:
	v_bfe_u32 v84, v80, 16, 1
	s_delay_alu instid0(VALU_DEP_1)
	v_add3_u32 v84, v80, v84, 0x7fff
                                        ; implicit-def: $vgpr80
; %bb.42:
	s_and_not1_saveexec_b32 s3, s3
; %bb.43:
	v_and_b32_e32 v84, 0xffff, v80
	v_or_b32_e32 v90, 0x10000, v80
	s_delay_alu instid0(VALU_DEP_2) | instskip(NEXT) | instid1(VALU_DEP_2)
	v_cmp_eq_u32_e32 vcc_lo, 0, v84
	v_cndmask_b32_e32 v84, v90, v80, vcc_lo
; %bb.44:
	s_or_b32 exec_lo, exec_lo, s3
	s_load_b64 s[34:35], s[0:1], 0x94
	v_lshlrev_b32_e32 v91, 4, v74
	s_delay_alu instid0(VALU_DEP_2)
	v_perm_b32 v90, v84, v87, 0x7060302
	v_dual_mul_f32 v79, v82, v79 :: v_dual_lshlrev_b32 v80, 6, v65
	v_dual_mul_f32 v77, v82, v77 :: v_dual_lshlrev_b32 v92, 11, v66
	v_mul_f32_e32 v84, v82, v70
	v_perm_b32 v89, v88, v89, 0x7060302
	v_perm_b32 v88, v86, v85, 0x7060302
	;; [unrolled: 1-line block ×3, first 2 shown]
	v_mul_f32_e32 v70, v82, v81
	v_or3_b32 v76, v91, v92, v80
	v_dual_mul_f32 v78, v82, v78 :: v_dual_and_b32 v85, 0x7f800000, v84
	v_mul_f32_e32 v83, v82, v72
	v_mul_f32_e32 v81, v82, v71
	;; [unrolled: 1-line block ×3, first 2 shown]
	s_mov_b32 s3, exec_lo
	ds_store_b128 v76, v[87:90]
                                        ; implicit-def: $vgpr69
	v_cmpx_ne_u32_e32 0x7f800000, v85
	s_xor_b32 s3, exec_lo, s3
; %bb.45:
	v_bfe_u32 v69, v84, 16, 1
	s_delay_alu instid0(VALU_DEP_1)
	v_add3_u32 v69, v84, v69, 0x7fff
                                        ; implicit-def: $vgpr84
; %bb.46:
	s_and_not1_saveexec_b32 s3, s3
; %bb.47:
	v_and_b32_e32 v69, 0xffff, v84
	v_or_b32_e32 v71, 0x10000, v84
	s_delay_alu instid0(VALU_DEP_2) | instskip(NEXT) | instid1(VALU_DEP_2)
	v_cmp_eq_u32_e32 vcc_lo, 0, v69
	v_cndmask_b32_e32 v69, v71, v84, vcc_lo
; %bb.48:
	s_or_b32 exec_lo, exec_lo, s3
	v_and_b32_e32 v71, 0x7f800000, v72
	s_delay_alu instid0(VALU_DEP_1) | instskip(SKIP_1) | instid1(SALU_CYCLE_1)
	v_cmp_ne_u32_e32 vcc_lo, 0x7f800000, v71
                                        ; implicit-def: $vgpr71
	s_and_saveexec_b32 s3, vcc_lo
	s_xor_b32 s3, exec_lo, s3
; %bb.49:
	v_bfe_u32 v71, v72, 16, 1
	s_delay_alu instid0(VALU_DEP_1)
	v_add3_u32 v71, v72, v71, 0x7fff
                                        ; implicit-def: $vgpr72
; %bb.50:
	s_and_not1_saveexec_b32 s3, s3
; %bb.51:
	v_and_b32_e32 v71, 0xffff, v72
	v_or_b32_e32 v82, 0x10000, v72
	s_delay_alu instid0(VALU_DEP_2) | instskip(NEXT) | instid1(VALU_DEP_2)
	v_cmp_eq_u32_e32 vcc_lo, 0, v71
	v_cndmask_b32_e32 v71, v82, v72, vcc_lo
; %bb.52:
	s_or_b32 exec_lo, exec_lo, s3
	v_and_b32_e32 v72, 0x7f800000, v81
	s_delay_alu instid0(VALU_DEP_1) | instskip(SKIP_1) | instid1(SALU_CYCLE_1)
	v_cmp_ne_u32_e32 vcc_lo, 0x7f800000, v72
                                        ; implicit-def: $vgpr72
	s_and_saveexec_b32 s3, vcc_lo
	s_xor_b32 s3, exec_lo, s3
; %bb.53:
	v_bfe_u32 v72, v81, 16, 1
	s_delay_alu instid0(VALU_DEP_1)
	v_add3_u32 v72, v81, v72, 0x7fff
                                        ; implicit-def: $vgpr81
; %bb.54:
	s_and_not1_saveexec_b32 s3, s3
; %bb.55:
	v_and_b32_e32 v72, 0xffff, v81
	v_or_b32_e32 v82, 0x10000, v81
	s_delay_alu instid0(VALU_DEP_2) | instskip(NEXT) | instid1(VALU_DEP_2)
	v_cmp_eq_u32_e32 vcc_lo, 0, v72
	v_cndmask_b32_e32 v72, v82, v81, vcc_lo
; %bb.56:
	s_or_b32 exec_lo, exec_lo, s3
	v_and_b32_e32 v81, 0x7f800000, v83
	s_delay_alu instid0(VALU_DEP_1) | instskip(SKIP_1) | instid1(SALU_CYCLE_1)
	v_cmp_ne_u32_e32 vcc_lo, 0x7f800000, v81
                                        ; implicit-def: $vgpr81
	s_and_saveexec_b32 s3, vcc_lo
	s_xor_b32 s3, exec_lo, s3
; %bb.57:
	v_bfe_u32 v81, v83, 16, 1
	s_delay_alu instid0(VALU_DEP_1)
	v_add3_u32 v81, v83, v81, 0x7fff
                                        ; implicit-def: $vgpr83
; %bb.58:
	s_and_not1_saveexec_b32 s3, s3
; %bb.59:
	v_and_b32_e32 v81, 0xffff, v83
	v_or_b32_e32 v82, 0x10000, v83
	s_delay_alu instid0(VALU_DEP_2) | instskip(NEXT) | instid1(VALU_DEP_2)
	v_cmp_eq_u32_e32 vcc_lo, 0, v81
	v_cndmask_b32_e32 v81, v82, v83, vcc_lo
; %bb.60:
	s_or_b32 exec_lo, exec_lo, s3
	v_and_b32_e32 v82, 0x7f800000, v77
	s_delay_alu instid0(VALU_DEP_1) | instskip(SKIP_1) | instid1(SALU_CYCLE_1)
	v_cmp_ne_u32_e32 vcc_lo, 0x7f800000, v82
                                        ; implicit-def: $vgpr82
	s_and_saveexec_b32 s3, vcc_lo
	s_xor_b32 s3, exec_lo, s3
; %bb.61:
	v_bfe_u32 v82, v77, 16, 1
	s_delay_alu instid0(VALU_DEP_1)
	v_add3_u32 v82, v77, v82, 0x7fff
                                        ; implicit-def: $vgpr77
; %bb.62:
	s_and_not1_saveexec_b32 s3, s3
; %bb.63:
	v_and_b32_e32 v82, 0xffff, v77
	v_or_b32_e32 v83, 0x10000, v77
	s_delay_alu instid0(VALU_DEP_2) | instskip(NEXT) | instid1(VALU_DEP_2)
	v_cmp_eq_u32_e32 vcc_lo, 0, v82
	v_cndmask_b32_e32 v82, v83, v77, vcc_lo
; %bb.64:
	s_or_b32 exec_lo, exec_lo, s3
	v_and_b32_e32 v77, 0x7f800000, v78
	s_delay_alu instid0(VALU_DEP_1) | instskip(SKIP_1) | instid1(SALU_CYCLE_1)
	v_cmp_ne_u32_e32 vcc_lo, 0x7f800000, v77
                                        ; implicit-def: $vgpr77
	s_and_saveexec_b32 s3, vcc_lo
	s_xor_b32 s3, exec_lo, s3
; %bb.65:
	v_bfe_u32 v77, v78, 16, 1
	s_delay_alu instid0(VALU_DEP_1)
	v_add3_u32 v77, v78, v77, 0x7fff
                                        ; implicit-def: $vgpr78
; %bb.66:
	s_and_not1_saveexec_b32 s3, s3
; %bb.67:
	v_and_b32_e32 v77, 0xffff, v78
	v_or_b32_e32 v83, 0x10000, v78
	s_delay_alu instid0(VALU_DEP_2) | instskip(NEXT) | instid1(VALU_DEP_2)
	v_cmp_eq_u32_e32 vcc_lo, 0, v77
	v_cndmask_b32_e32 v77, v83, v78, vcc_lo
; %bb.68:
	s_or_b32 exec_lo, exec_lo, s3
	v_and_b32_e32 v78, 0x7f800000, v79
	s_delay_alu instid0(VALU_DEP_1) | instskip(SKIP_1) | instid1(SALU_CYCLE_1)
	v_cmp_ne_u32_e32 vcc_lo, 0x7f800000, v78
                                        ; implicit-def: $vgpr78
	s_and_saveexec_b32 s3, vcc_lo
	s_xor_b32 s3, exec_lo, s3
; %bb.69:
	v_bfe_u32 v78, v79, 16, 1
	s_delay_alu instid0(VALU_DEP_1)
	v_add3_u32 v78, v79, v78, 0x7fff
                                        ; implicit-def: $vgpr79
; %bb.70:
	s_and_not1_saveexec_b32 s3, s3
; %bb.71:
	v_and_b32_e32 v78, 0xffff, v79
	v_or_b32_e32 v83, 0x10000, v79
	s_delay_alu instid0(VALU_DEP_2) | instskip(NEXT) | instid1(VALU_DEP_2)
	v_cmp_eq_u32_e32 vcc_lo, 0, v78
	v_cndmask_b32_e32 v78, v83, v79, vcc_lo
; %bb.72:
	s_or_b32 exec_lo, exec_lo, s3
	v_and_b32_e32 v79, 0x7f800000, v70
	s_delay_alu instid0(VALU_DEP_1) | instskip(SKIP_1) | instid1(SALU_CYCLE_1)
	v_cmp_ne_u32_e32 vcc_lo, 0x7f800000, v79
                                        ; implicit-def: $vgpr79
	s_and_saveexec_b32 s3, vcc_lo
	s_xor_b32 s3, exec_lo, s3
; %bb.73:
	v_bfe_u32 v79, v70, 16, 1
	s_delay_alu instid0(VALU_DEP_1)
	v_add3_u32 v79, v70, v79, 0x7fff
                                        ; implicit-def: $vgpr70
; %bb.74:
	s_and_not1_saveexec_b32 s3, s3
; %bb.75:
	v_and_b32_e32 v79, 0xffff, v70
	v_or_b32_e32 v83, 0x10000, v70
	s_delay_alu instid0(VALU_DEP_2) | instskip(NEXT) | instid1(VALU_DEP_2)
	v_cmp_eq_u32_e32 vcc_lo, 0, v79
	v_cndmask_b32_e32 v79, v83, v70, vcc_lo
; %bb.76:
	s_or_b32 exec_lo, exec_lo, s3
	s_delay_alu instid0(VALU_DEP_1)
	v_perm_b32 v86, v79, v78, 0x7060302
	v_perm_b32 v85, v77, v82, 0x7060302
	;; [unrolled: 1-line block ×4, first 2 shown]
	v_lshl_or_b32 v82, v66, 11, v80
	ds_store_b128 v76, v[83:86] offset:1024
	s_waitcnt lgkmcnt(0)
	s_barrier
	buffer_gl0_inv
	ds_load_b128 v[69:72], v82
	ds_load_b128 v[83:86], v82 offset:16
	s_waitcnt lgkmcnt(1)
	v_lshrrev_b32_e32 v66, 16, v69
	s_waitcnt lgkmcnt(0)
	v_lshrrev_b32_e32 v91, 16, v83
	v_lshlrev_b32_e32 v78, 2, v74
	v_lshrrev_b32_e32 v95, 16, v70
	v_lshrrev_b32_e32 v98, 16, v84
	;; [unrolled: 1-line block ×4, first 2 shown]
	v_cmp_eq_u32_e32 vcc_lo, 1, v78
	v_lshrrev_b32_e32 v97, 16, v72
	v_lshrrev_b32_e32 v100, 16, v86
	v_cndmask_b32_e32 v87, v83, v91, vcc_lo
	v_or_b32_e32 v79, 1, v78
	v_cndmask_b32_e32 v81, v69, v66, vcc_lo
	v_cmp_eq_u32_e64 s4, 2, v78
	v_cmp_eq_u32_e64 s7, 3, v78
	;; [unrolled: 1-line block ×5, first 2 shown]
	v_cndmask_b32_e64 v81, v81, v70, s4
	v_cndmask_b32_e64 v87, v87, v84, s4
	v_cmp_eq_u32_e64 s8, 3, v79
	v_cndmask_b32_e64 v88, v69, v66, s3
	v_or_b32_e32 v77, 2, v78
	v_cndmask_b32_e64 v81, v81, v95, s7
	v_cndmask_b32_e64 v87, v87, v98, s7
	;; [unrolled: 1-line block ×4, first 2 shown]
	v_cmp_eq_u32_e64 s10, 5, v78
	v_cndmask_b32_e64 v81, v81, v71, s9
	v_cndmask_b32_e64 v87, v87, v85, s9
	v_cmp_eq_u32_e64 s11, 4, v79
	v_cndmask_b32_e64 v88, v88, v95, s8
	v_cmp_eq_u32_e64 s5, 1, v77
	v_cndmask_b32_e64 v89, v89, v84, s6
	v_cndmask_b32_e64 v81, v81, v96, s10
	v_cmp_eq_u32_e64 s12, 6, v78
	v_cndmask_b32_e64 v88, v88, v71, s11
	;; [unrolled: 3-line block ×3, first 2 shown]
	v_cndmask_b32_e64 v89, v89, v98, s8
	v_cndmask_b32_e64 v81, v81, v72, s12
	v_cmp_eq_u32_e64 s15, 7, v78
	v_cndmask_b32_e64 v88, v88, v96, s13
	v_cndmask_b32_e64 v87, v87, v86, s12
	v_cmp_eq_u32_e64 s16, 6, v79
	v_cmp_eq_u32_e64 s17, 2, v77
	v_cndmask_b32_e64 v89, v89, v85, s11
	v_cndmask_b32_e64 v101, v81, v97, s15
	;; [unrolled: 1-line block ×6, first 2 shown]
	v_cmp_eq_u32_e64 s18, 7, v79
	v_cmp_eq_u32_e64 s19, 3, v77
	;; [unrolled: 1-line block ×4, first 2 shown]
	v_cndmask_b32_e64 v87, v87, v84, s17
	v_cndmask_b32_e64 v103, v88, v97, s18
	;; [unrolled: 1-line block ×4, first 2 shown]
	v_or_b32_e32 v81, 3, v78
	v_cndmask_b32_e64 v93, v87, v98, s19
	v_cmp_eq_u32_e64 s24, 6, v77
	v_cndmask_b32_e64 v104, v88, v86, s16
	v_cndmask_b32_e64 v92, v89, v71, s20
	v_cmp_eq_u32_e64 s21, 1, v81
	ds_load_b128 v[87:90], v82 offset:1024
	v_cmp_eq_u32_e64 s23, 2, v81
	v_cmp_eq_u32_e64 s25, 3, v81
	v_cndmask_b32_e64 v105, v92, v96, s22
	v_cndmask_b32_e64 v66, v69, v66, s21
	;; [unrolled: 1-line block ×4, first 2 shown]
	ds_load_b128 v[91:94], v82 offset:1040
	v_cmp_eq_u32_e64 s26, 4, v81
	v_cndmask_b32_e64 v66, v66, v70, s23
	v_cmp_eq_u32_e64 s27, 7, v77
	v_cndmask_b32_e64 v70, v83, v84, s23
	v_cndmask_b32_e64 v84, v105, v72, s24
	v_cmp_eq_u32_e64 s28, 5, v81
	v_cndmask_b32_e64 v66, v66, v95, s25
	v_cmp_eq_u32_e64 s29, 6, v81
	v_cndmask_b32_e64 v70, v70, v98, s25
	v_cndmask_b32_e64 v69, v69, v99, s22
	;; [unrolled: 1-line block ×4, first 2 shown]
	s_waitcnt lgkmcnt(1)
	v_lshrrev_b32_e32 v95, 16, v87
	v_cndmask_b32_e64 v70, v70, v85, s26
	v_cndmask_b32_e64 v71, v84, v97, s27
	;; [unrolled: 1-line block ×4, first 2 shown]
	v_cndmask_b32_e32 v84, v87, v95, vcc_lo
	v_cndmask_b32_e64 v70, v70, v99, s28
	s_waitcnt lgkmcnt(0)
	v_lshrrev_b32_e32 v85, 16, v91
	v_lshrrev_b32_e32 v96, 16, v88
	v_cndmask_b32_e64 v98, v87, v95, s3
	v_cndmask_b32_e64 v84, v84, v88, s4
	;; [unrolled: 1-line block ×3, first 2 shown]
	v_cndmask_b32_e32 v99, v91, v85, vcc_lo
	v_cmp_eq_u32_e32 vcc_lo, 7, v81
	v_cndmask_b32_e64 v66, v66, v72, s29
	v_cndmask_b32_e64 v72, v84, v96, s7
	;; [unrolled: 1-line block ×3, first 2 shown]
	v_lshrrev_b32_e32 v98, 16, v92
	v_cndmask_b32_e32 v70, v70, v100, vcc_lo
	v_cndmask_b32_e64 v86, v99, v92, s4
	v_cndmask_b32_e64 v69, v69, v100, s27
	v_lshrrev_b32_e32 v100, 16, v93
	v_cndmask_b32_e64 v72, v72, v89, s9
	v_lshrrev_b32_e32 v99, 16, v89
	v_cndmask_b32_e64 v86, v86, v98, s7
	v_perm_b32 v71, v69, v71, 0x5040100
	v_cndmask_b32_e64 v84, v84, v96, s8
	s_delay_alu instid0(VALU_DEP_3) | instskip(NEXT) | instid1(VALU_DEP_2)
	v_cndmask_b32_e64 v86, v86, v93, s9
	v_cndmask_b32_e64 v84, v84, v89, s11
	s_delay_alu instid0(VALU_DEP_2) | instskip(NEXT) | instid1(VALU_DEP_1)
	v_cndmask_b32_e64 v86, v86, v100, s10
	v_cndmask_b32_e64 v69, v86, v94, s12
	;; [unrolled: 1-line block ×5, first 2 shown]
	s_delay_alu instid0(VALU_DEP_3) | instskip(NEXT) | instid1(VALU_DEP_3)
	v_cndmask_b32_e64 v86, v86, v88, s17
	v_cndmask_b32_e64 v87, v87, v88, s23
	s_delay_alu instid0(VALU_DEP_3) | instskip(NEXT) | instid1(VALU_DEP_3)
	v_cndmask_b32_e64 v88, v95, v92, s23
	v_cndmask_b32_e64 v86, v86, v96, s19
	;; [unrolled: 3-line block ×7, first 2 shown]
	s_delay_alu instid0(VALU_DEP_3) | instskip(SKIP_2) | instid1(VALU_DEP_2)
	v_cndmask_b32_e64 v88, v88, v94, s29
	v_cndmask_b32_e32 v66, v66, v97, vcc_lo
	v_cndmask_b32_e64 v97, v72, v99, s10
	v_perm_b32 v72, v70, v66, 0x5040100
	v_perm_b32 v70, v83, v103, 0x5040100
	v_cndmask_b32_e64 v103, v91, v85, s5
	v_cndmask_b32_e64 v85, v91, v85, s3
	;; [unrolled: 1-line block ×4, first 2 shown]
	v_lshrrev_b32_e32 v97, 16, v90
	v_cndmask_b32_e64 v91, v103, v92, s17
	v_cndmask_b32_e64 v85, v85, v92, s6
	;; [unrolled: 1-line block ×3, first 2 shown]
	s_mov_b32 s3, exec_lo
	v_cndmask_b32_e64 v83, v84, v97, s15
	v_cndmask_b32_e64 v91, v91, v98, s19
	;; [unrolled: 1-line block ×3, first 2 shown]
	v_lshrrev_b32_e32 v84, 16, v94
	v_cndmask_b32_e64 v66, v66, v97, s18
	v_cndmask_b32_e64 v90, v86, v97, s27
	;; [unrolled: 1-line block ×4, first 2 shown]
	v_dual_cndmask_b32 v86, v87, v97 :: v_dual_cndmask_b32 v87, v88, v84
	v_cndmask_b32_e64 v91, v69, v84, s15
	s_delay_alu instid0(VALU_DEP_4) | instskip(NEXT) | instid1(VALU_DEP_4)
	v_cndmask_b32_e64 v89, v89, v100, s22
	v_cndmask_b32_e64 v85, v85, v100, s13
	v_perm_b32 v69, v102, v101, 0x5040100
	v_perm_b32 v86, v87, v86, 0x5040100
	;; [unrolled: 1-line block ×3, first 2 shown]
	v_cndmask_b32_e64 v89, v89, v94, s24
	v_cndmask_b32_e64 v85, v85, v94, s16
	s_mul_i32 s8, s35, 5
	s_delay_alu instid0(VALU_DEP_2) | instskip(NEXT) | instid1(VALU_DEP_2)
	v_cndmask_b32_e64 v88, v89, v84, s27
	v_cndmask_b32_e64 v89, v85, v84, s18
	s_delay_alu instid0(VALU_DEP_2) | instskip(NEXT) | instid1(VALU_DEP_2)
	v_perm_b32 v85, v88, v90, 0x5040100
	v_perm_b32 v84, v89, v66, 0x5040100
	ds_store_b128 v76, v[69:72]
	ds_store_b128 v76, v[83:86] offset:1024
	v_cmpx_gt_u32_e32 5, v0
	s_cbranch_execz .LBB1610_78
; %bb.77:
	s_mul_i32 s4, s8, s30
	s_delay_alu instid0(SALU_CYCLE_1) | instskip(SKIP_1) | instid1(VALU_DEP_1)
	v_add3_u32 v69, s4, s31, v65
	s_load_b128 s[4:7], s[0:1], 0x58
	v_mad_u64_u32 v[65:66], null, v69, s34, s[14:15]
	s_delay_alu instid0(VALU_DEP_1) | instskip(NEXT) | instid1(VALU_DEP_1)
	v_ashrrev_i32_e32 v66, 31, v65
	v_lshlrev_b64 v[65:66], 2, v[65:66]
	s_waitcnt lgkmcnt(0)
	s_delay_alu instid0(VALU_DEP_1) | instskip(NEXT) | instid1(VALU_DEP_2)
	v_add_co_u32 v69, vcc_lo, s6, v65
	v_add_co_ci_u32_e32 v70, vcc_lo, s7, v66, vcc_lo
	v_add_co_u32 v65, vcc_lo, s4, v65
	v_add_co_ci_u32_e32 v66, vcc_lo, s5, v66, vcc_lo
	global_store_b32 v[69:70], v67, off
	global_store_b32 v[65:66], v68, off
.LBB1610_78:
	s_or_b32 exec_lo, exec_lo, s3
	s_waitcnt lgkmcnt(0)
	s_waitcnt_vscnt null, 0x0
	s_barrier
	buffer_gl0_inv
	ds_load_b128 v[83:86], v80
	ds_load_b128 v[87:90], v80 offset:16
	ds_load_b128 v[95:98], v80 offset:2064
	;; [unrolled: 1-line block ×3, first 2 shown]
	v_mov_b32_e32 v65, 0
	ds_load_b128 v[103:106], v80 offset:4112
	ds_load_b128 v[99:102], v80 offset:4096
	;; [unrolled: 1-line block ×4, first 2 shown]
	v_mov_b32_e32 v66, v65
	v_mov_b32_e32 v67, v65
	;; [unrolled: 1-line block ×7, first 2 shown]
	s_waitcnt lgkmcnt(6)
	s_delay_alu instid0(VALU_DEP_1)
	v_wmma_f32_16x16x16_bf16 v[65:72], v[41:48], v[83:90], v[65:72]
	ds_load_b128 v[45:48], v80 offset:8208
	ds_load_b128 v[41:44], v80 offset:8192
	s_waitcnt lgkmcnt(6)
	v_wmma_f32_16x16x16_bf16 v[65:72], v[33:40], v[91:98], v[65:72]
	ds_load_b128 v[37:40], v80 offset:10256
	ds_load_b128 v[33:36], v80 offset:10240
	s_waitcnt lgkmcnt(6)
	;; [unrolled: 4-line block ×4, first 2 shown]
	v_wmma_f32_16x16x16_bf16 v[65:72], v[1:8], v[41:48], v[65:72]
	s_waitcnt lgkmcnt(4)
	s_delay_alu instid0(VALU_DEP_1) | instskip(SKIP_1) | instid1(VALU_DEP_1)
	v_wmma_f32_16x16x16_bf16 v[65:72], v[9:16], v[33:40], v[65:72]
	s_waitcnt lgkmcnt(2)
	v_wmma_f32_16x16x16_bf16 v[65:72], v[57:64], v[25:32], v[65:72]
	s_waitcnt lgkmcnt(0)
	s_delay_alu instid0(VALU_DEP_1) | instskip(NEXT) | instid1(VALU_DEP_1)
	v_wmma_f32_16x16x16_bf16 v[65:72], v[49:56], v[17:24], v[65:72]
	v_and_b32_e32 v1, 0x7f800000, v65
	s_delay_alu instid0(VALU_DEP_1) | instskip(SKIP_1) | instid1(SALU_CYCLE_1)
	v_cmp_ne_u32_e32 vcc_lo, 0x7f800000, v1
                                        ; implicit-def: $vgpr1
	s_and_saveexec_b32 s3, vcc_lo
	s_xor_b32 s3, exec_lo, s3
; %bb.79:
	v_bfe_u32 v1, v65, 16, 1
	s_delay_alu instid0(VALU_DEP_1)
	v_add3_u32 v1, v65, v1, 0x7fff
; %bb.80:
	s_and_not1_saveexec_b32 s3, s3
; %bb.81:
	v_and_b32_e32 v1, 0xffff, v65
	v_or_b32_e32 v2, 0x10000, v65
	s_delay_alu instid0(VALU_DEP_2) | instskip(NEXT) | instid1(VALU_DEP_2)
	v_cmp_eq_u32_e32 vcc_lo, 0, v1
	v_cndmask_b32_e32 v1, v2, v65, vcc_lo
; %bb.82:
	s_or_b32 exec_lo, exec_lo, s3
	v_and_b32_e32 v2, 0x7f800000, v66
	s_delay_alu instid0(VALU_DEP_1) | instskip(SKIP_1) | instid1(SALU_CYCLE_1)
	v_cmp_ne_u32_e32 vcc_lo, 0x7f800000, v2
                                        ; implicit-def: $vgpr2
	s_and_saveexec_b32 s3, vcc_lo
	s_xor_b32 s3, exec_lo, s3
; %bb.83:
	v_bfe_u32 v2, v66, 16, 1
	s_delay_alu instid0(VALU_DEP_1)
	v_add3_u32 v2, v66, v2, 0x7fff
; %bb.84:
	s_and_not1_saveexec_b32 s3, s3
; %bb.85:
	v_and_b32_e32 v2, 0xffff, v66
	v_or_b32_e32 v3, 0x10000, v66
	s_delay_alu instid0(VALU_DEP_2) | instskip(NEXT) | instid1(VALU_DEP_2)
	v_cmp_eq_u32_e32 vcc_lo, 0, v2
	v_cndmask_b32_e32 v2, v3, v66, vcc_lo
; %bb.86:
	s_or_b32 exec_lo, exec_lo, s3
	v_and_b32_e32 v3, 0x7f800000, v67
	s_delay_alu instid0(VALU_DEP_1) | instskip(SKIP_1) | instid1(SALU_CYCLE_1)
	v_cmp_ne_u32_e32 vcc_lo, 0x7f800000, v3
                                        ; implicit-def: $vgpr3
	s_and_saveexec_b32 s3, vcc_lo
	s_xor_b32 s3, exec_lo, s3
; %bb.87:
	v_bfe_u32 v3, v67, 16, 1
	s_delay_alu instid0(VALU_DEP_1)
	v_add3_u32 v3, v67, v3, 0x7fff
; %bb.88:
	s_and_not1_saveexec_b32 s3, s3
; %bb.89:
	v_and_b32_e32 v3, 0xffff, v67
	v_or_b32_e32 v4, 0x10000, v67
	s_delay_alu instid0(VALU_DEP_2) | instskip(NEXT) | instid1(VALU_DEP_2)
	v_cmp_eq_u32_e32 vcc_lo, 0, v3
	v_cndmask_b32_e32 v3, v4, v67, vcc_lo
; %bb.90:
	s_or_b32 exec_lo, exec_lo, s3
	v_and_b32_e32 v4, 0x7f800000, v68
	s_delay_alu instid0(VALU_DEP_1) | instskip(SKIP_1) | instid1(SALU_CYCLE_1)
	v_cmp_ne_u32_e32 vcc_lo, 0x7f800000, v4
                                        ; implicit-def: $vgpr4
	s_and_saveexec_b32 s3, vcc_lo
	s_xor_b32 s3, exec_lo, s3
; %bb.91:
	v_bfe_u32 v4, v68, 16, 1
	s_delay_alu instid0(VALU_DEP_1)
	v_add3_u32 v4, v68, v4, 0x7fff
; %bb.92:
	s_and_not1_saveexec_b32 s3, s3
; %bb.93:
	v_and_b32_e32 v4, 0xffff, v68
	v_or_b32_e32 v5, 0x10000, v68
	s_delay_alu instid0(VALU_DEP_2) | instskip(NEXT) | instid1(VALU_DEP_2)
	v_cmp_eq_u32_e32 vcc_lo, 0, v4
	v_cndmask_b32_e32 v4, v5, v68, vcc_lo
; %bb.94:
	s_or_b32 exec_lo, exec_lo, s3
	v_and_b32_e32 v5, 0x7f800000, v69
	s_delay_alu instid0(VALU_DEP_1) | instskip(SKIP_1) | instid1(SALU_CYCLE_1)
	v_cmp_ne_u32_e32 vcc_lo, 0x7f800000, v5
                                        ; implicit-def: $vgpr5
	s_and_saveexec_b32 s3, vcc_lo
	s_xor_b32 s3, exec_lo, s3
; %bb.95:
	v_bfe_u32 v5, v69, 16, 1
	s_delay_alu instid0(VALU_DEP_1)
	v_add3_u32 v5, v69, v5, 0x7fff
; %bb.96:
	s_and_not1_saveexec_b32 s3, s3
; %bb.97:
	v_and_b32_e32 v5, 0xffff, v69
	v_or_b32_e32 v6, 0x10000, v69
	s_delay_alu instid0(VALU_DEP_2) | instskip(NEXT) | instid1(VALU_DEP_2)
	v_cmp_eq_u32_e32 vcc_lo, 0, v5
	v_cndmask_b32_e32 v5, v6, v69, vcc_lo
; %bb.98:
	s_or_b32 exec_lo, exec_lo, s3
	v_and_b32_e32 v6, 0x7f800000, v70
	s_delay_alu instid0(VALU_DEP_1) | instskip(SKIP_1) | instid1(SALU_CYCLE_1)
	v_cmp_ne_u32_e32 vcc_lo, 0x7f800000, v6
                                        ; implicit-def: $vgpr6
	s_and_saveexec_b32 s3, vcc_lo
	s_xor_b32 s3, exec_lo, s3
; %bb.99:
	v_bfe_u32 v6, v70, 16, 1
	s_delay_alu instid0(VALU_DEP_1)
	v_add3_u32 v6, v70, v6, 0x7fff
; %bb.100:
	s_and_not1_saveexec_b32 s3, s3
; %bb.101:
	v_and_b32_e32 v6, 0xffff, v70
	v_or_b32_e32 v7, 0x10000, v70
	s_delay_alu instid0(VALU_DEP_2) | instskip(NEXT) | instid1(VALU_DEP_2)
	v_cmp_eq_u32_e32 vcc_lo, 0, v6
	v_cndmask_b32_e32 v6, v7, v70, vcc_lo
; %bb.102:
	s_or_b32 exec_lo, exec_lo, s3
	v_and_b32_e32 v7, 0x7f800000, v71
	s_delay_alu instid0(VALU_DEP_1) | instskip(SKIP_1) | instid1(SALU_CYCLE_1)
	v_cmp_ne_u32_e32 vcc_lo, 0x7f800000, v7
                                        ; implicit-def: $vgpr7
	s_and_saveexec_b32 s3, vcc_lo
	s_xor_b32 s3, exec_lo, s3
; %bb.103:
	v_bfe_u32 v7, v71, 16, 1
	s_delay_alu instid0(VALU_DEP_1)
	v_add3_u32 v7, v71, v7, 0x7fff
; %bb.104:
	s_and_not1_saveexec_b32 s3, s3
; %bb.105:
	v_and_b32_e32 v7, 0xffff, v71
	v_or_b32_e32 v8, 0x10000, v71
	s_delay_alu instid0(VALU_DEP_2) | instskip(NEXT) | instid1(VALU_DEP_2)
	v_cmp_eq_u32_e32 vcc_lo, 0, v7
	v_cndmask_b32_e32 v7, v8, v71, vcc_lo
; %bb.106:
	s_or_b32 exec_lo, exec_lo, s3
	v_and_b32_e32 v8, 0x7f800000, v72
	s_delay_alu instid0(VALU_DEP_1) | instskip(SKIP_1) | instid1(SALU_CYCLE_1)
	v_cmp_ne_u32_e32 vcc_lo, 0x7f800000, v8
                                        ; implicit-def: $vgpr8
	s_and_saveexec_b32 s3, vcc_lo
	s_xor_b32 s3, exec_lo, s3
; %bb.107:
	v_bfe_u32 v8, v72, 16, 1
	s_delay_alu instid0(VALU_DEP_1)
	v_add3_u32 v8, v72, v8, 0x7fff
                                        ; implicit-def: $vgpr65_vgpr66_vgpr67_vgpr68_vgpr69_vgpr70_vgpr71_vgpr72
; %bb.108:
	s_and_not1_saveexec_b32 s3, s3
; %bb.109:
	v_and_b32_e32 v8, 0xffff, v72
	v_or_b32_e32 v9, 0x10000, v72
	s_delay_alu instid0(VALU_DEP_2) | instskip(NEXT) | instid1(VALU_DEP_2)
	v_cmp_eq_u32_e32 vcc_lo, 0, v8
	v_cndmask_b32_e32 v8, v9, v72, vcc_lo
; %bb.110:
	s_or_b32 exec_lo, exec_lo, s3
	s_delay_alu instid0(VALU_DEP_1)
	v_perm_b32 v7, v8, v7, 0x7060302
	v_perm_b32 v6, v6, v5, 0x7060302
	;; [unrolled: 1-line block ×4, first 2 shown]
	s_barrier
	buffer_gl0_inv
	v_cmp_eq_u32_e32 vcc_lo, 1, v78
	ds_store_b128 v76, v[4:7]
	s_waitcnt lgkmcnt(0)
	s_barrier
	buffer_gl0_inv
	ds_load_b128 v[1:4], v82
	ds_load_b128 v[5:8], v82 offset:16
	v_cmp_eq_u32_e64 s3, 1, v79
	v_cmp_eq_u32_e64 s4, 2, v78
	;; [unrolled: 1-line block ×5, first 2 shown]
	s_waitcnt lgkmcnt(1)
	v_lshrrev_b32_e32 v9, 16, v1
	s_waitcnt lgkmcnt(0)
	v_lshrrev_b32_e32 v13, 16, v5
	v_lshrrev_b32_e32 v10, 16, v2
	;; [unrolled: 1-line block ×4, first 2 shown]
	v_cndmask_b32_e64 v19, v1, v9, s3
	v_cndmask_b32_e32 v18, v5, v13, vcc_lo
	v_cndmask_b32_e64 v20, v5, v13, s3
	v_cndmask_b32_e32 v17, v1, v9, vcc_lo
	v_cmp_eq_u32_e32 vcc_lo, 2, v79
	v_lshrrev_b32_e32 v15, 16, v7
	v_cmp_eq_u32_e64 s3, 1, v77
	v_lshrrev_b32_e32 v12, 16, v4
	v_lshrrev_b32_e32 v16, 16, v8
	v_cndmask_b32_e32 v20, v20, v6, vcc_lo
	v_cndmask_b32_e64 v17, v17, v2, s4
	v_cndmask_b32_e32 v19, v19, v2, vcc_lo
	v_cndmask_b32_e64 v18, v18, v6, s4
	v_cmp_eq_u32_e32 vcc_lo, 4, v78
	v_cmp_eq_u32_e64 s4, 3, v79
	v_cndmask_b32_e64 v17, v17, v10, s5
	v_cndmask_b32_e64 v21, v1, v9, s3
	;; [unrolled: 1-line block ×5, first 2 shown]
	v_cndmask_b32_e32 v17, v17, v3, vcc_lo
	v_cndmask_b32_e64 v20, v20, v14, s4
	v_cndmask_b32_e32 v18, v18, v7, vcc_lo
	v_cmp_eq_u32_e32 vcc_lo, 4, v79
	v_cmp_eq_u32_e64 s4, 5, v79
	v_cmp_eq_u32_e64 s3, 2, v81
	v_cndmask_b32_e64 v21, v21, v2, s7
	v_cmp_eq_u32_e64 s5, 5, v78
	v_cndmask_b32_e32 v19, v19, v3, vcc_lo
	v_cndmask_b32_e32 v20, v20, v7, vcc_lo
	v_cmp_eq_u32_e32 vcc_lo, 6, v79
	s_delay_alu instid0(VALU_DEP_4) | instskip(NEXT) | instid1(VALU_DEP_4)
	v_cndmask_b32_e64 v17, v17, v11, s5
	v_cndmask_b32_e64 v19, v19, v11, s4
	s_delay_alu instid0(VALU_DEP_4) | instskip(SKIP_1) | instid1(VALU_DEP_3)
	v_cndmask_b32_e64 v20, v20, v15, s4
	v_cmp_eq_u32_e64 s4, 1, v81
	v_cndmask_b32_e32 v19, v19, v4, vcc_lo
	v_cndmask_b32_e64 v18, v18, v15, s5
	s_delay_alu instid0(VALU_DEP_3)
	v_cndmask_b32_e64 v1, v1, v9, s4
	v_cndmask_b32_e64 v5, v5, v13, s4
	v_cmp_eq_u32_e64 s4, 3, v77
	v_cndmask_b32_e64 v13, v22, v6, s7
	v_cmp_eq_u32_e64 s7, 3, v81
	v_cndmask_b32_e64 v1, v1, v2, s3
	v_cndmask_b32_e64 v2, v5, v6, s3
	;; [unrolled: 1-line block ×3, first 2 shown]
	v_cmp_eq_u32_e64 s3, 4, v77
	v_cndmask_b32_e64 v6, v13, v14, s4
	v_cndmask_b32_e64 v1, v1, v10, s7
	v_cmp_eq_u32_e64 s4, 4, v81
	v_cndmask_b32_e64 v2, v2, v14, s7
	v_cndmask_b32_e64 v5, v9, v3, s3
	;; [unrolled: 3-line block ×3, first 2 shown]
	v_cndmask_b32_e64 v2, v2, v7, s4
	v_cmp_eq_u32_e64 s3, 5, v81
	v_cmp_eq_u32_e64 s5, 6, v78
	v_cndmask_b32_e64 v5, v5, v11, s7
	v_cmp_eq_u32_e64 s4, 6, v77
	v_cndmask_b32_e64 v3, v6, v15, s7
	v_cndmask_b32_e64 v1, v1, v11, s3
	v_cmp_eq_u32_e64 s7, 6, v81
	v_cndmask_b32_e64 v2, v2, v15, s3
	v_cndmask_b32_e64 v17, v17, v4, s5
	v_cndmask_b32_e64 v18, v18, v8, s5
	v_cmp_eq_u32_e64 s5, 7, v78
	v_cndmask_b32_e64 v5, v5, v4, s4
	;; [unrolled: 4-line block ×3, first 2 shown]
	v_cmp_eq_u32_e64 s4, 7, v77
	v_cndmask_b32_e32 v4, v20, v8, vcc_lo
	v_cndmask_b32_e64 v17, v17, v12, s5
	v_cndmask_b32_e64 v19, v19, v12, s6
	;; [unrolled: 1-line block ×8, first 2 shown]
	s_mov_b32 s3, exec_lo
	v_perm_b32 v4, v2, v1, 0x5040100
	v_perm_b32 v3, v3, v5, 0x5040100
	;; [unrolled: 1-line block ×4, first 2 shown]
	ds_store_b128 v76, v[1:4]
	s_waitcnt lgkmcnt(0)
	s_barrier
	buffer_gl0_inv
	v_cmpx_gt_u32_e32 32, v0
	s_cbranch_execz .LBB1610_2
; %bb.111:
	s_load_b64 s[4:5], s[0:1], 0x68
	v_lshlrev_b32_e32 v0, 10, v0
	v_add_nc_u32_e32 v2, s31, v74
	v_lshlrev_b32_e32 v3, 4, v75
	s_lshl_b32 s0, s34, 7
	s_delay_alu instid0(SALU_CYCLE_1) | instskip(NEXT) | instid1(VALU_DEP_2)
	s_mul_i32 s1, s0, s30
	v_mul_lo_u32 v1, v2, s0
	s_delay_alu instid0(VALU_DEP_2) | instskip(SKIP_2) | instid1(SALU_CYCLE_1)
	v_and_or_b32 v0, 0x3800, v0, v3
	v_add_nc_u32_e32 v2, 2, v2
	s_mul_i32 s6, s1, s8
	s_ashr_i32 s7, s6, 31
	s_delay_alu instid0(VALU_DEP_2)
	v_lshl_or_b32 v7, v74, 6, v0
	s_lshl_b64 s[6:7], s[6:7], 1
	v_mul_lo_u32 v11, v2, s0
	v_ashrrev_i32_e32 v2, 31, v1
	ds_load_b128 v[3:6], v7
	ds_load_b128 v[7:10], v7 offset:128
	s_waitcnt lgkmcnt(0)
	s_add_u32 s1, s4, s6
	s_addc_u32 s3, s5, s7
	s_lshl_b32 s4, s14, 7
	v_ashrrev_i32_e32 v12, 31, v11
	s_ashr_i32 s5, s4, 31
	v_lshlrev_b64 v[13:14], 1, v[1:2]
	s_lshl_b64 s[4:5], s[4:5], 1
	s_delay_alu instid0(SALU_CYCLE_1) | instskip(SKIP_2) | instid1(VALU_DEP_1)
	s_add_u32 s1, s1, s4
	s_addc_u32 s3, s3, s5
	v_add_co_u32 v1, s1, s1, v73
	v_add_co_ci_u32_e64 v2, null, s3, 0, s1
	v_lshlrev_b64 v[11:12], 1, v[11:12]
	s_delay_alu instid0(VALU_DEP_3) | instskip(NEXT) | instid1(VALU_DEP_3)
	v_add_co_u32 v13, vcc_lo, v1, v13
	v_add_co_ci_u32_e32 v14, vcc_lo, v2, v14, vcc_lo
	s_delay_alu instid0(VALU_DEP_3) | instskip(NEXT) | instid1(VALU_DEP_4)
	v_add_co_u32 v11, vcc_lo, v1, v11
	v_add_co_ci_u32_e32 v12, vcc_lo, v2, v12, vcc_lo
	s_clause 0x1
	global_store_b128 v[13:14], v[3:6], off
	global_store_b128 v[11:12], v[7:10], off
	s_and_b32 exec_lo, exec_lo, s2
	s_cbranch_execz .LBB1610_2
; %bb.112:
	ds_load_b128 v[3:6], v0 offset:256
	s_add_i32 s1, s31, 4
	s_delay_alu instid0(SALU_CYCLE_1) | instskip(NEXT) | instid1(SALU_CYCLE_1)
	s_mul_i32 s0, s1, s0
	s_ashr_i32 s1, s0, 31
	s_delay_alu instid0(SALU_CYCLE_1) | instskip(NEXT) | instid1(SALU_CYCLE_1)
	s_lshl_b64 s[0:1], s[0:1], 1
	v_add_co_u32 v0, vcc_lo, v1, s0
	v_add_co_ci_u32_e32 v1, vcc_lo, s1, v2, vcc_lo
	s_waitcnt lgkmcnt(0)
	global_store_b128 v[0:1], v[3:6], off
	s_nop 0
	s_sendmsg sendmsg(MSG_DEALLOC_VGPRS)
	s_endpgm
	.section	.rodata,"a",@progbits
	.p2align	6, 0x0
	.amdhsa_kernel _Z39paged_attention_ll4mi_QKV_mfma16_kernelI14__hip_bfloat16hLN4vllm18Fp8KVCacheDataTypeE1EhLi32ELi128ELi256ELb0ELi5EL8MFMAType1EEvPKT_PKT0_S9_ifPKiSB_SB_iPKfiiiPfSE_PS4_PT2_iSD_SD_
		.amdhsa_group_segment_fixed_size 17472
		.amdhsa_private_segment_fixed_size 0
		.amdhsa_kernarg_size 400
		.amdhsa_user_sgpr_count 13
		.amdhsa_user_sgpr_dispatch_ptr 0
		.amdhsa_user_sgpr_queue_ptr 0
		.amdhsa_user_sgpr_kernarg_segment_ptr 1
		.amdhsa_user_sgpr_dispatch_id 0
		.amdhsa_user_sgpr_private_segment_size 0
		.amdhsa_wavefront_size32 1
		.amdhsa_uses_dynamic_stack 0
		.amdhsa_enable_private_segment 0
		.amdhsa_system_sgpr_workgroup_id_x 1
		.amdhsa_system_sgpr_workgroup_id_y 1
		.amdhsa_system_sgpr_workgroup_id_z 1
		.amdhsa_system_sgpr_workgroup_info 0
		.amdhsa_system_vgpr_workitem_id 0
		.amdhsa_next_free_vgpr 140
		.amdhsa_next_free_sgpr 36
		.amdhsa_reserve_vcc 1
		.amdhsa_float_round_mode_32 0
		.amdhsa_float_round_mode_16_64 0
		.amdhsa_float_denorm_mode_32 3
		.amdhsa_float_denorm_mode_16_64 3
		.amdhsa_dx10_clamp 1
		.amdhsa_ieee_mode 1
		.amdhsa_fp16_overflow 0
		.amdhsa_workgroup_processor_mode 1
		.amdhsa_memory_ordered 1
		.amdhsa_forward_progress 0
		.amdhsa_shared_vgpr_count 0
		.amdhsa_exception_fp_ieee_invalid_op 0
		.amdhsa_exception_fp_denorm_src 0
		.amdhsa_exception_fp_ieee_div_zero 0
		.amdhsa_exception_fp_ieee_overflow 0
		.amdhsa_exception_fp_ieee_underflow 0
		.amdhsa_exception_fp_ieee_inexact 0
		.amdhsa_exception_int_div_zero 0
	.end_amdhsa_kernel
	.section	.text._Z39paged_attention_ll4mi_QKV_mfma16_kernelI14__hip_bfloat16hLN4vllm18Fp8KVCacheDataTypeE1EhLi32ELi128ELi256ELb0ELi5EL8MFMAType1EEvPKT_PKT0_S9_ifPKiSB_SB_iPKfiiiPfSE_PS4_PT2_iSD_SD_,"axG",@progbits,_Z39paged_attention_ll4mi_QKV_mfma16_kernelI14__hip_bfloat16hLN4vllm18Fp8KVCacheDataTypeE1EhLi32ELi128ELi256ELb0ELi5EL8MFMAType1EEvPKT_PKT0_S9_ifPKiSB_SB_iPKfiiiPfSE_PS4_PT2_iSD_SD_,comdat
.Lfunc_end1610:
	.size	_Z39paged_attention_ll4mi_QKV_mfma16_kernelI14__hip_bfloat16hLN4vllm18Fp8KVCacheDataTypeE1EhLi32ELi128ELi256ELb0ELi5EL8MFMAType1EEvPKT_PKT0_S9_ifPKiSB_SB_iPKfiiiPfSE_PS4_PT2_iSD_SD_, .Lfunc_end1610-_Z39paged_attention_ll4mi_QKV_mfma16_kernelI14__hip_bfloat16hLN4vllm18Fp8KVCacheDataTypeE1EhLi32ELi128ELi256ELb0ELi5EL8MFMAType1EEvPKT_PKT0_S9_ifPKiSB_SB_iPKfiiiPfSE_PS4_PT2_iSD_SD_
                                        ; -- End function
	.section	.AMDGPU.csdata,"",@progbits
; Kernel info:
; codeLenInByte = 8916
; NumSgprs: 38
; NumVgprs: 140
; ScratchSize: 0
; MemoryBound: 0
; FloatMode: 240
; IeeeMode: 1
; LDSByteSize: 17472 bytes/workgroup (compile time only)
; SGPRBlocks: 4
; VGPRBlocks: 17
; NumSGPRsForWavesPerEU: 38
; NumVGPRsForWavesPerEU: 140
; Occupancy: 10
; WaveLimiterHint : 1
; COMPUTE_PGM_RSRC2:SCRATCH_EN: 0
; COMPUTE_PGM_RSRC2:USER_SGPR: 13
; COMPUTE_PGM_RSRC2:TRAP_HANDLER: 0
; COMPUTE_PGM_RSRC2:TGID_X_EN: 1
; COMPUTE_PGM_RSRC2:TGID_Y_EN: 1
; COMPUTE_PGM_RSRC2:TGID_Z_EN: 1
; COMPUTE_PGM_RSRC2:TIDIG_COMP_CNT: 0
	.section	.text._Z39paged_attention_ll4mi_QKV_mfma16_kernelI14__hip_bfloat16hLN4vllm18Fp8KVCacheDataTypeE1EhLi32ELi128ELi256ELb0ELi6EL8MFMAType1EEvPKT_PKT0_S9_ifPKiSB_SB_iPKfiiiPfSE_PS4_PT2_iSD_SD_,"axG",@progbits,_Z39paged_attention_ll4mi_QKV_mfma16_kernelI14__hip_bfloat16hLN4vllm18Fp8KVCacheDataTypeE1EhLi32ELi128ELi256ELb0ELi6EL8MFMAType1EEvPKT_PKT0_S9_ifPKiSB_SB_iPKfiiiPfSE_PS4_PT2_iSD_SD_,comdat
	.protected	_Z39paged_attention_ll4mi_QKV_mfma16_kernelI14__hip_bfloat16hLN4vllm18Fp8KVCacheDataTypeE1EhLi32ELi128ELi256ELb0ELi6EL8MFMAType1EEvPKT_PKT0_S9_ifPKiSB_SB_iPKfiiiPfSE_PS4_PT2_iSD_SD_ ; -- Begin function _Z39paged_attention_ll4mi_QKV_mfma16_kernelI14__hip_bfloat16hLN4vllm18Fp8KVCacheDataTypeE1EhLi32ELi128ELi256ELb0ELi6EL8MFMAType1EEvPKT_PKT0_S9_ifPKiSB_SB_iPKfiiiPfSE_PS4_PT2_iSD_SD_
	.globl	_Z39paged_attention_ll4mi_QKV_mfma16_kernelI14__hip_bfloat16hLN4vllm18Fp8KVCacheDataTypeE1EhLi32ELi128ELi256ELb0ELi6EL8MFMAType1EEvPKT_PKT0_S9_ifPKiSB_SB_iPKfiiiPfSE_PS4_PT2_iSD_SD_
	.p2align	8
	.type	_Z39paged_attention_ll4mi_QKV_mfma16_kernelI14__hip_bfloat16hLN4vllm18Fp8KVCacheDataTypeE1EhLi32ELi128ELi256ELb0ELi6EL8MFMAType1EEvPKT_PKT0_S9_ifPKiSB_SB_iPKfiiiPfSE_PS4_PT2_iSD_SD_,@function
_Z39paged_attention_ll4mi_QKV_mfma16_kernelI14__hip_bfloat16hLN4vllm18Fp8KVCacheDataTypeE1EhLi32ELi128ELi256ELb0ELi6EL8MFMAType1EEvPKT_PKT0_S9_ifPKiSB_SB_iPKfiiiPfSE_PS4_PT2_iSD_SD_: ; @_Z39paged_attention_ll4mi_QKV_mfma16_kernelI14__hip_bfloat16hLN4vllm18Fp8KVCacheDataTypeE1EhLi32ELi128ELi256ELb0ELi6EL8MFMAType1EEvPKT_PKT0_S9_ifPKiSB_SB_iPKfiiiPfSE_PS4_PT2_iSD_SD_
; %bb.0:
	s_load_b64 s[4:5], s[0:1], 0x30
	s_mov_b32 s30, s13
	s_waitcnt lgkmcnt(0)
	s_cmp_lg_u64 s[4:5], 0
	s_cselect_b32 s13, -1, 0
	s_ashr_i32 s31, s30, 31
	s_cmp_eq_u64 s[4:5], 0
	s_cbranch_scc1 .LBB1611_3
; %bb.1:
	s_lshl_b64 s[2:3], s[30:31], 2
	s_delay_alu instid0(SALU_CYCLE_1) | instskip(SKIP_4) | instid1(SALU_CYCLE_1)
	s_add_u32 s2, s4, s2
	s_addc_u32 s3, s5, s3
	s_load_b64 s[2:3], s[2:3], 0x0
	s_waitcnt lgkmcnt(0)
	s_sub_i32 s2, s3, s2
	s_cmp_eq_u32 s2, 1
	s_cselect_b32 s2, -1, 0
	s_delay_alu instid0(SALU_CYCLE_1)
	s_and_not1_b32 vcc_lo, exec_lo, s2
	s_cbranch_vccz .LBB1611_4
.LBB1611_2:
	s_endpgm
.LBB1611_3:
.LBB1611_4:
	s_load_b64 s[2:3], s[0:1], 0x28
	s_lshl_b64 s[6:7], s[30:31], 2
	s_waitcnt lgkmcnt(0)
	s_add_u32 s2, s2, s6
	s_addc_u32 s3, s3, s7
	s_lshl_b32 s12, s14, 8
	s_load_b32 s17, s[2:3], 0x0
	s_waitcnt lgkmcnt(0)
	s_cmp_ge_i32 s12, s17
	s_cbranch_scc1 .LBB1611_2
; %bb.5:
	s_clause 0x1
	s_load_b128 s[8:11], s[0:1], 0x8
	s_load_b64 s[2:3], s[0:1], 0x20
	s_and_not1_b32 vcc_lo, exec_lo, s13
	s_cbranch_vccnz .LBB1611_7
; %bb.6:
	s_add_u32 s4, s4, s6
	s_addc_u32 s5, s5, s7
	s_load_b32 s13, s[4:5], 0x0
	s_branch .LBB1611_8
.LBB1611_7:
	s_mov_b32 s13, s30
.LBB1611_8:
	s_load_b128 s[4:7], s[0:1], 0x48
	v_and_b32_e32 v65, 15, v0
	v_lshrrev_b32_e32 v66, 5, v0
	v_and_b32_e32 v67, 31, v0
	v_and_b32_e32 v75, 1, v0
	v_bfe_u32 v74, v0, 4, 1
	v_lshlrev_b32_e32 v1, 3, v65
	s_mul_i32 s29, s15, 6
	s_waitcnt lgkmcnt(0)
	s_mov_b32 s7, exec_lo
	s_delay_alu instid0(VALU_DEP_1)
	v_lshlrev_b32_e32 v73, 1, v1
	v_cmpx_gt_u32_e32 0x60, v0
	s_cbranch_execz .LBB1611_10
; %bb.9:
	s_load_b64 s[18:19], s[0:1], 0x0
	v_lshl_or_b32 v5, v66, 1, v74
	s_mul_hi_i32 s21, s13, s4
	s_mul_i32 s20, s13, s4
	v_lshlrev_b32_e32 v6, 10, v65
	s_lshl_b64 s[20:21], s[20:21], 1
	v_add_lshl_u32 v1, v5, s29, 7
	v_lshlrev_b32_e32 v5, 6, v5
	v_lshlrev_b32_e32 v7, 10, v75
	v_and_b32_e32 v6, 0x3800, v6
	s_delay_alu instid0(VALU_DEP_4) | instskip(NEXT) | instid1(VALU_DEP_2)
	v_ashrrev_i32_e32 v2, 31, v1
	v_or3_b32 v5, v6, v7, v5
	s_delay_alu instid0(VALU_DEP_2) | instskip(SKIP_3) | instid1(VALU_DEP_1)
	v_lshlrev_b64 v[1:2], 1, v[1:2]
	s_waitcnt lgkmcnt(0)
	s_add_u32 s4, s18, s20
	s_addc_u32 s13, s19, s21
	v_add_co_u32 v1, vcc_lo, s4, v1
	s_delay_alu instid0(VALU_DEP_2) | instskip(NEXT) | instid1(VALU_DEP_2)
	v_add_co_ci_u32_e32 v2, vcc_lo, s13, v2, vcc_lo
	v_add_co_u32 v1, vcc_lo, v1, v73
	s_delay_alu instid0(VALU_DEP_2)
	v_add_co_ci_u32_e32 v2, vcc_lo, 0, v2, vcc_lo
	global_load_b128 v[1:4], v[1:2], off
	s_waitcnt vmcnt(0)
	ds_store_b128 v5, v[1:4]
.LBB1611_10:
	s_or_b32 exec_lo, exec_lo, s7
	v_and_b32_e32 v1, 0xef, v0
	s_add_i32 s4, s17, 31
	s_clause 0x1
	s_load_b32 s7, s[0:1], 0x38
	s_load_b32 s18, s[0:1], 0x1c
	s_ashr_i32 s13, s4, 31
	v_add_nc_u32_e32 v2, s12, v1
	s_lshr_b32 s13, s13, 27
	s_waitcnt lgkmcnt(0)
	s_add_i32 s4, s4, s13
	s_barrier
	v_ashrrev_i32_e32 v1, 31, v2
	s_ashr_i32 s4, s4, 5
	v_cmp_gt_i32_e32 vcc_lo, s17, v2
	s_add_i32 s4, s4, -1
	buffer_gl0_inv
	v_lshrrev_b32_e32 v3, 27, v1
	v_or_b32_e32 v1, 16, v2
	s_mul_i32 s15, s15, s6
	s_delay_alu instid0(VALU_DEP_2) | instskip(SKIP_1) | instid1(SALU_CYCLE_1)
	v_add_nc_u32_e32 v4, v2, v3
	s_mul_i32 s20, s30, s7
	s_ashr_i32 s21, s20, 31
	s_delay_alu instid0(VALU_DEP_1) | instskip(SKIP_2) | instid1(SALU_CYCLE_1)
	v_ashrrev_i32_e32 v4, 5, v4
	v_add_nc_u32_e32 v3, v1, v3
	s_lshl_b64 s[20:21], s[20:21], 2
	s_add_u32 s7, s2, s20
	s_delay_alu instid0(VALU_DEP_2) | instskip(NEXT) | instid1(VALU_DEP_2)
	v_cndmask_b32_e32 v2, s4, v4, vcc_lo
	v_ashrrev_i32_e32 v3, 5, v3
	v_cmp_gt_i32_e32 vcc_lo, s17, v1
	s_addc_u32 s13, s3, s21
	s_ashr_i32 s6, s15, 31
	s_add_u32 s2, s8, s15
	s_addc_u32 s3, s9, s6
	v_cndmask_b32_e32 v4, s4, v3, vcc_lo
	v_ashrrev_i32_e32 v3, 31, v2
	s_lshl_b32 s8, s14, 3
	s_delay_alu instid0(SALU_CYCLE_1) | instskip(NEXT) | instid1(VALU_DEP_2)
	s_ashr_i32 s9, s8, 31
	v_ashrrev_i32_e32 v5, 31, v4
	s_delay_alu instid0(VALU_DEP_2) | instskip(SKIP_1) | instid1(SALU_CYCLE_1)
	v_lshlrev_b64 v[1:2], 2, v[2:3]
	s_lshl_b64 s[8:9], s[8:9], 2
	s_add_u32 s8, s7, s8
	s_delay_alu instid0(VALU_DEP_2) | instskip(SKIP_1) | instid1(VALU_DEP_2)
	v_lshlrev_b64 v[3:4], 2, v[4:5]
	s_addc_u32 s9, s13, s9
	v_add_co_u32 v1, vcc_lo, s7, v1
	v_add_co_ci_u32_e32 v2, vcc_lo, s13, v2, vcc_lo
	s_delay_alu instid0(VALU_DEP_3) | instskip(NEXT) | instid1(VALU_DEP_4)
	v_add_co_u32 v3, vcc_lo, s7, v3
	v_add_co_ci_u32_e32 v4, vcc_lo, s13, v4, vcc_lo
	s_clause 0x1
	global_load_b32 v5, v[1:2], off
	global_load_b32 v6, v[3:4], off
	s_or_b32 s16, s12, 32
	s_delay_alu instid0(SALU_CYCLE_1) | instskip(SKIP_2) | instid1(SALU_CYCLE_1)
	s_ashr_i32 s19, s16, 5
	s_cmp_lt_i32 s16, s17
	s_cselect_b32 s20, s19, s4
	s_ashr_i32 s21, s20, 31
	s_delay_alu instid0(SALU_CYCLE_1) | instskip(NEXT) | instid1(SALU_CYCLE_1)
	s_lshl_b64 s[20:21], s[20:21], 2
	s_add_u32 s20, s7, s20
	s_addc_u32 s21, s13, s21
	s_or_b32 s16, s12, 64
	s_delay_alu instid0(SALU_CYCLE_1) | instskip(SKIP_2) | instid1(SALU_CYCLE_1)
	s_ashr_i32 s19, s16, 5
	s_cmp_lt_i32 s16, s17
	s_cselect_b32 s22, s19, s4
	s_ashr_i32 s23, s22, 31
	s_delay_alu instid0(SALU_CYCLE_1) | instskip(NEXT) | instid1(SALU_CYCLE_1)
	s_lshl_b64 s[22:23], s[22:23], 2
	s_add_u32 s22, s7, s22
	s_addc_u32 s23, s13, s23
	s_or_b32 s16, s12, 0x60
	s_delay_alu instid0(SALU_CYCLE_1) | instskip(SKIP_2) | instid1(SALU_CYCLE_1)
	s_ashr_i32 s19, s16, 5
	s_cmp_lt_i32 s16, s17
	s_cselect_b32 s24, s19, s4
	s_ashr_i32 s25, s24, 31
	s_delay_alu instid0(SALU_CYCLE_1) | instskip(NEXT) | instid1(SALU_CYCLE_1)
	s_lshl_b64 s[24:25], s[24:25], 2
	s_add_u32 s24, s7, s24
	s_addc_u32 s25, s13, s25
	s_or_b32 s16, s12, 0x80
	s_delay_alu instid0(SALU_CYCLE_1) | instskip(SKIP_2) | instid1(SALU_CYCLE_1)
	s_ashr_i32 s19, s16, 5
	s_cmp_lt_i32 s16, s17
	s_cselect_b32 s26, s19, s4
	s_ashr_i32 s27, s26, 31
	s_delay_alu instid0(SALU_CYCLE_1) | instskip(NEXT) | instid1(SALU_CYCLE_1)
	s_lshl_b64 s[26:27], s[26:27], 2
	s_add_u32 s26, s7, s26
	s_addc_u32 s27, s13, s27
	s_or_b32 s16, s12, 0xa0
	s_delay_alu instid0(SALU_CYCLE_1) | instskip(SKIP_2) | instid1(SALU_CYCLE_1)
	s_ashr_i32 s19, s16, 5
	s_cmp_lt_i32 s16, s17
	s_cselect_b32 s34, s19, s4
	s_ashr_i32 s35, s34, 31
	s_delay_alu instid0(SALU_CYCLE_1) | instskip(NEXT) | instid1(SALU_CYCLE_1)
	s_lshl_b64 s[34:35], s[34:35], 2
	s_add_u32 s34, s7, s34
	s_addc_u32 s35, s13, s35
	s_clause 0x5
	s_load_b32 s16, s[8:9], 0x0
	s_load_b32 s19, s[20:21], 0x0
	;; [unrolled: 1-line block ×6, first 2 shown]
	s_mov_b32 s20, 0
	s_delay_alu instid0(SALU_CYCLE_1)
	s_mov_b32 s21, s20
	s_mov_b32 s22, s20
	;; [unrolled: 1-line block ×7, first 2 shown]
	s_delay_alu instid0(SALU_CYCLE_1)
	v_dual_mov_b32 v107, s27 :: v_dual_mov_b32 v106, s26
	v_dual_mov_b32 v105, s25 :: v_dual_mov_b32 v102, s22
	v_dual_mov_b32 v101, s21 :: v_dual_mov_b32 v100, s20
	v_dual_mov_b32 v103, s23 :: v_dual_mov_b32 v104, s24
	s_waitcnt vmcnt(1)
	v_mad_i64_i32 v[1:2], null, v5, s5, s[2:3]
	v_lshlrev_b32_e32 v5, 4, v65
	s_waitcnt vmcnt(0)
	v_mad_i64_i32 v[3:4], null, v6, s5, s[2:3]
	s_or_b32 s2, s12, 0xc0
	s_delay_alu instid0(SALU_CYCLE_1) | instskip(NEXT) | instid1(VALU_DEP_3)
	s_ashr_i32 s3, s2, 5
	v_add_co_u32 v25, vcc_lo, v1, v5
	s_delay_alu instid0(VALU_DEP_4) | instskip(NEXT) | instid1(VALU_DEP_3)
	v_add_co_ci_u32_e32 v26, vcc_lo, 0, v2, vcc_lo
	v_add_co_u32 v27, vcc_lo, v3, v5
	s_delay_alu instid0(VALU_DEP_4)
	v_add_co_ci_u32_e32 v28, vcc_lo, 0, v4, vcc_lo
	s_clause 0xf
	global_load_b128 v[1:4], v[25:26], off
	global_load_b128 v[5:8], v[25:26], off offset:512
	global_load_b128 v[9:12], v[27:28], off offset:256
	;; [unrolled: 1-line block ×15, first 2 shown]
	v_mul_lo_u16 v25, v65, 43
	s_cmp_lt_i32 s2, s17
	v_lshlrev_b32_e32 v26, 5, v65
	s_cselect_b32 s2, s3, s4
	s_delay_alu instid0(VALU_DEP_2) | instskip(SKIP_1) | instid1(VALU_DEP_2)
	v_lshrrev_b16 v25, 8, v25
	s_ashr_i32 s3, s2, 31
	v_lshl_or_b32 v33, v66, 9, v26
	s_lshl_b64 s[2:3], s[2:3], 2
	s_delay_alu instid0(VALU_DEP_2) | instskip(SKIP_3) | instid1(VALU_DEP_1)
	v_mul_lo_u16 v25, v25, 6
	s_add_u32 s2, s7, s2
	s_addc_u32 s3, s13, s3
	s_or_b32 s8, s12, 0xe0
	v_sub_nc_u16 v25, v65, v25
	s_ashr_i32 s9, s8, 5
	s_cmp_lt_i32 s8, s17
	s_cselect_b32 s8, s9, s4
	s_delay_alu instid0(VALU_DEP_1) | instskip(SKIP_1) | instid1(SALU_CYCLE_1)
	v_and_b32_e32 v25, 0xff, v25
	s_ashr_i32 s9, s8, 31
	s_lshl_b64 s[8:9], s[8:9], 2
	s_delay_alu instid0(VALU_DEP_1)
	v_lshlrev_b32_e32 v72, 6, v25
	ds_load_b128 v[25:28], v72
	ds_load_b128 v[29:32], v72 offset:1024
	ds_load_b128 v[108:111], v72 offset:2048
	;; [unrolled: 1-line block ×3, first 2 shown]
	s_load_b32 s4, s[2:3], 0x0
	s_add_u32 s2, s7, s8
	s_addc_u32 s3, s13, s9
	ds_load_b128 v[116:119], v72 offset:4096
	ds_load_b128 v[120:123], v72 offset:5120
	s_load_b32 s2, s[2:3], 0x0
	s_add_u32 s7, s10, s15
	s_addc_u32 s6, s11, s6
	v_add_co_u32 v68, s7, s7, v33
	s_delay_alu instid0(VALU_DEP_1) | instskip(SKIP_1) | instid1(VALU_DEP_1)
	v_add_co_ci_u32_e64 v69, null, s6, 0, s7
	s_waitcnt lgkmcnt(0)
	v_mad_i64_i32 v[33:34], null, s16, s5, v[68:69]
	v_mad_i64_i32 v[70:71], null, s28, s5, v[68:69]
	;; [unrolled: 1-line block ×7, first 2 shown]
	s_clause 0x3
	global_load_b128 v[41:44], v[33:34], off
	global_load_b128 v[45:48], v[33:34], off offset:16
	global_load_b128 v[33:36], v[37:38], off
	global_load_b128 v[37:40], v[37:38], off offset:16
	s_waitcnt vmcnt(18)
	v_wmma_f32_16x16x16_bf16 v[124:131], v[1:8], v[25:32], v[100:107]
	s_waitcnt vmcnt(16)
	v_wmma_f32_16x16x16_bf16 v[100:107], v[9:16], v[25:32], v[100:107]
	s_clause 0x1
	global_load_b128 v[25:28], v[70:71], off
	global_load_b128 v[29:32], v[70:71], off offset:16
	s_waitcnt vmcnt(16)
	v_wmma_f32_16x16x16_bf16 v[124:131], v[17:24], v[108:115], v[124:131]
	s_clause 0x1
	global_load_b128 v[17:20], v[132:133], off
	global_load_b128 v[21:24], v[132:133], off offset:16
	s_waitcnt vmcnt(16)
	v_wmma_f32_16x16x16_bf16 v[100:107], v[49:56], v[108:115], v[100:107]
	v_mad_i64_i32 v[53:54], null, s2, s5, v[68:69]
	s_clause 0x3
	global_load_b128 v[1:4], v[134:135], off
	global_load_b128 v[5:8], v[134:135], off offset:16
	global_load_b128 v[9:12], v[136:137], off
	global_load_b128 v[13:16], v[136:137], off offset:16
	s_waitcnt vmcnt(18)
	v_wmma_f32_16x16x16_bf16 v[124:131], v[57:64], v[116:123], v[124:131]
	s_clause 0x3
	global_load_b128 v[57:60], v[138:139], off
	global_load_b128 v[61:64], v[138:139], off offset:16
	global_load_b128 v[49:52], v[53:54], off
	global_load_b128 v[53:56], v[53:54], off offset:16
	s_waitcnt vmcnt(20)
	v_wmma_f32_16x16x16_bf16 v[100:107], v[76:83], v[116:123], v[100:107]
	ds_load_b128 v[76:79], v72 offset:6144
	ds_load_b128 v[80:83], v72 offset:7168
	v_mbcnt_lo_u32_b32 v69, -1, 0
	s_waitcnt vmcnt(0) lgkmcnt(0)
	s_barrier
	buffer_gl0_inv
	v_xor_b32_e32 v70, 16, v69
	s_delay_alu instid0(VALU_DEP_1) | instskip(SKIP_4) | instid1(VALU_DEP_2)
	v_cmp_gt_i32_e32 vcc_lo, 32, v70
	v_cndmask_b32_e32 v69, v69, v70, vcc_lo
	v_wmma_f32_16x16x16_bf16 v[124:131], v[84:91], v[76:83], v[124:131]
	v_and_b32_e32 v68, 0xe0, v0
	v_wmma_f32_16x16x16_bf16 v[100:107], v[92:99], v[76:83], v[100:107]
	v_dual_mul_f32 v81, s18, v129 :: v_dual_add_nc_u32 v68, s12, v68
	s_delay_alu instid0(VALU_DEP_4) | instskip(NEXT) | instid1(VALU_DEP_3)
	v_dual_mul_f32 v83, s18, v131 :: v_dual_mul_f32 v78, s18, v125
	v_mul_f32_e32 v95, s18, v103
	v_mul_f32_e32 v79, s18, v127
	s_delay_alu instid0(VALU_DEP_4) | instskip(SKIP_3) | instid1(VALU_DEP_4)
	v_or_b32_e32 v68, v68, v74
	v_dual_mul_f32 v80, s18, v126 :: v_dual_mul_f32 v97, s18, v105
	v_dual_mul_f32 v93, s18, v101 :: v_dual_mul_f32 v82, s18, v128
	v_mul_f32_e32 v99, s18, v107
	v_or_b32_e32 v70, 2, v68
	v_or_b32_e32 v71, 4, v68
	;; [unrolled: 1-line block ×3, first 2 shown]
	v_cmp_gt_i32_e64 s2, s17, v68
	v_or_b32_e32 v108, 8, v68
	v_cmp_gt_i32_e32 vcc_lo, s17, v70
	v_mul_f32_e32 v70, s18, v124
	v_or_b32_e32 v109, 10, v68
	v_cmp_gt_i32_e64 s3, s17, v71
	v_cmp_gt_i32_e64 s4, s17, v72
	v_cndmask_b32_e32 v78, 0xff7fffff, v78, vcc_lo
	v_cndmask_b32_e64 v70, 0xff7fffff, v70, s2
	v_or_b32_e32 v84, 12, v68
	v_or_b32_e32 v85, 14, v68
	v_cndmask_b32_e64 v71, 0xff7fffff, v80, s3
	v_cndmask_b32_e64 v72, 0xff7fffff, v79, s4
	v_max3_f32 v70, v70, 0xff7fffff, v78
	v_cmp_gt_i32_e64 s5, s17, v108
	v_cmp_gt_i32_e64 s6, s17, v109
	v_or_b32_e32 v86, 16, v68
	v_or_b32_e32 v87, 18, v68
	;; [unrolled: 1-line block ×3, first 2 shown]
	v_mul_f32_e32 v92, s18, v130
	v_cndmask_b32_e64 v78, 0xff7fffff, v82, s5
	v_cndmask_b32_e64 v79, 0xff7fffff, v81, s6
	v_max3_f32 v70, v70, v71, v72
	v_cmp_gt_i32_e64 s7, s17, v84
	v_cmp_gt_i32_e64 s8, s17, v85
	v_or_b32_e32 v88, 20, v68
	v_mul_f32_e32 v94, s18, v100
	v_max3_f32 v70, v70, v78, v79
	v_cmp_gt_i32_e64 s9, s17, v86
	v_cndmask_b32_e64 v72, 0xff7fffff, v83, s8
	v_cmp_gt_i32_e64 s10, s17, v87
	v_cmp_gt_i32_e64 s12, s17, v89
	v_lshlrev_b32_e32 v89, 2, v69
	v_cndmask_b32_e64 v71, 0xff7fffff, v92, s7
	v_or_b32_e32 v90, 24, v68
	v_or_b32_e32 v91, 26, v68
	v_mul_f32_e32 v96, s18, v102
	v_cndmask_b32_e64 v78, 0xff7fffff, v94, s9
	v_cndmask_b32_e64 v79, 0xff7fffff, v93, s10
	v_max3_f32 v70, v70, v71, v72
	v_cmp_gt_i32_e64 s11, s17, v88
	v_or_b32_e32 v76, 28, v68
	v_or_b32_e32 v77, 30, v68
	v_mul_f32_e32 v98, s18, v104
	v_cndmask_b32_e64 v72, 0xff7fffff, v95, s12
	v_cndmask_b32_e64 v71, 0xff7fffff, v96, s11
	v_max3_f32 v70, v70, v78, v79
	v_cmp_gt_i32_e64 s13, s17, v90
	v_cmp_gt_i32_e64 s15, s17, v91
	v_mul_f32_e32 v68, s18, v106
	v_cmp_gt_i32_e64 s16, s17, v76
	v_max3_f32 v70, v70, v71, v72
	v_cndmask_b32_e64 v78, 0xff7fffff, v98, s13
	v_cndmask_b32_e64 v79, 0xff7fffff, v97, s15
	v_cmp_gt_i32_e64 s17, s17, v77
	v_cndmask_b32_e64 v68, 0xff7fffff, v68, s16
	s_delay_alu instid0(VALU_DEP_3) | instskip(NEXT) | instid1(VALU_DEP_3)
	v_max3_f32 v70, v70, v78, v79
	v_cndmask_b32_e64 v71, 0xff7fffff, v99, s17
	s_delay_alu instid0(VALU_DEP_1) | instskip(SKIP_3) | instid1(VALU_DEP_1)
	v_max3_f32 v68, v70, v68, v71
	ds_bpermute_b32 v69, v89, v68
	s_waitcnt lgkmcnt(0)
	v_max_f32_e32 v69, v69, v69
	v_max_f32_e32 v68, v68, v69
	s_delay_alu instid0(VALU_DEP_1) | instskip(NEXT) | instid1(VALU_DEP_1)
	v_fma_f32 v71, s18, v126, -v68
	v_mul_f32_e32 v71, 0x3fb8aa3b, v71
	s_delay_alu instid0(VALU_DEP_1) | instskip(SKIP_3) | instid1(VALU_DEP_1)
	v_exp_f32_e32 v71, v71
	s_waitcnt_depctr 0xfff
	v_cndmask_b32_e64 v83, 0, v71, s3
	v_fma_f32 v71, s18, v131, -v68
	v_mul_f32_e32 v71, 0x3fb8aa3b, v71
	v_fma_f32 v69, s18, v124, -v68
	v_fma_f32 v76, s18, v128, -v68
	;; [unrolled: 1-line block ×4, first 2 shown]
	v_exp_f32_e32 v71, v71
	v_mul_f32_e32 v69, 0x3fb8aa3b, v69
	v_mul_f32_e32 v77, 0x3fb8aa3b, v76
	v_fma_f32 v81, s18, v105, -v68
	v_fma_f32 v78, s18, v130, -v68
	s_delay_alu instid0(VALU_DEP_4) | instskip(NEXT) | instid1(VALU_DEP_3)
	v_exp_f32_e32 v69, v69
	v_exp_f32_e32 v77, v77
	s_delay_alu instid0(VALU_DEP_2) | instskip(NEXT) | instid1(TRANS32_DEP_3)
	v_mul_f32_e32 v81, 0x3fb8aa3b, v81
	v_cndmask_b32_e64 v88, 0, v71, s8
	v_fma_f32 v71, s18, v104, -v68
	s_delay_alu instid0(VALU_DEP_3) | instskip(NEXT) | instid1(TRANS32_DEP_3)
	v_exp_f32_e32 v81, v81
	v_cndmask_b32_e64 v80, 0, v69, s2
	v_fma_f32 v69, s18, v129, -v68
	v_mul_f32_e32 v70, 0x3fb8aa3b, v70
	s_delay_alu instid0(TRANS32_DEP_2)
	v_cndmask_b32_e64 v86, 0, v77, s5
	v_mul_f32_e32 v72, 0x3fb8aa3b, v72
	v_fma_f32 v77, s18, v101, -v68
	v_mul_f32_e32 v69, 0x3fb8aa3b, v69
	v_exp_f32_e32 v70, v70
	v_mul_f32_e32 v71, 0x3fb8aa3b, v71
	v_exp_f32_e32 v72, v72
	;; [unrolled: 2-line block ×3, first 2 shown]
	s_mov_b32 s2, exec_lo
	v_exp_f32_e32 v82, v71
	s_delay_alu instid0(VALU_DEP_1) | instskip(SKIP_4) | instid1(TRANS32_DEP_3)
	v_exp_f32_e32 v77, v77
	v_cndmask_b32_e32 v76, 0, v70, vcc_lo
	v_add_f32_e32 v70, 0, v80
	v_cndmask_b32_e64 v85, 0, v72, s4
	v_fma_f32 v72, s18, v100, -v68
	v_cndmask_b32_e64 v87, 0, v69, s6
	s_delay_alu instid0(VALU_DEP_4) | instskip(NEXT) | instid1(VALU_DEP_3)
	v_add_f32_e32 v70, v70, v76
	v_mul_f32_e32 v72, 0x3fb8aa3b, v72
	s_delay_alu instid0(VALU_DEP_2) | instskip(NEXT) | instid1(VALU_DEP_2)
	v_add_f32_e32 v70, v70, v83
	v_exp_f32_e32 v72, v72
	s_delay_alu instid0(VALU_DEP_1) | instskip(NEXT) | instid1(VALU_DEP_1)
	v_add_f32_e32 v70, v70, v85
	v_add_f32_e32 v69, v70, v86
	v_fma_f32 v70, s18, v102, -v68
	s_delay_alu instid0(VALU_DEP_2) | instskip(NEXT) | instid1(VALU_DEP_2)
	v_dual_add_f32 v69, v69, v87 :: v_dual_mul_f32 v78, 0x3fb8aa3b, v78
	v_mul_f32_e32 v70, 0x3fb8aa3b, v70
	s_delay_alu instid0(VALU_DEP_2) | instskip(NEXT) | instid1(VALU_DEP_1)
	v_exp_f32_e32 v78, v78
	v_exp_f32_e32 v79, v70
	s_delay_alu instid0(TRANS32_DEP_3) | instskip(SKIP_4) | instid1(VALU_DEP_2)
	v_cndmask_b32_e64 v70, 0, v72, s9
	s_waitcnt_depctr 0xfff
	v_cndmask_b32_e64 v84, 0, v78, s7
	v_fma_f32 v78, s18, v103, -v68
	v_cndmask_b32_e64 v71, 0, v79, s11
	v_dual_add_f32 v69, v69, v84 :: v_dual_mul_f32 v78, 0x3fb8aa3b, v78
	s_delay_alu instid0(VALU_DEP_1) | instskip(NEXT) | instid1(VALU_DEP_2)
	v_add_f32_e32 v72, v69, v88
	v_exp_f32_e32 v78, v78
	v_cndmask_b32_e64 v69, 0, v77, s10
	v_fma_f32 v77, s18, v106, -v68
	s_delay_alu instid0(VALU_DEP_1) | instskip(NEXT) | instid1(VALU_DEP_1)
	v_dual_add_f32 v72, v72, v70 :: v_dual_mul_f32 v77, 0x3fb8aa3b, v77
	v_add_f32_e32 v79, v72, v69
	s_waitcnt_depctr 0xfff
	v_cndmask_b32_e64 v72, 0, v78, s12
	v_exp_f32_e32 v90, v77
	v_cndmask_b32_e64 v77, 0, v82, s13
	v_add_f32_e32 v78, v79, v71
	v_fma_f32 v79, s18, v107, -v68
	s_delay_alu instid0(VALU_DEP_1) | instskip(SKIP_1) | instid1(VALU_DEP_2)
	v_dual_add_f32 v82, v78, v72 :: v_dual_mul_f32 v79, 0x3fb8aa3b, v79
	v_cndmask_b32_e64 v78, 0, v81, s15
	v_add_f32_e32 v81, v82, v77
	s_delay_alu instid0(VALU_DEP_3) | instskip(NEXT) | instid1(TRANS32_DEP_2)
	v_exp_f32_e32 v82, v79
	v_cndmask_b32_e64 v79, 0, v90, s16
	s_delay_alu instid0(VALU_DEP_2) | instskip(NEXT) | instid1(VALU_DEP_1)
	v_add_f32_e32 v81, v81, v78
	v_add_f32_e32 v90, v81, v79
	s_waitcnt_depctr 0xfff
	v_cndmask_b32_e64 v81, 0, v82, s17
	s_delay_alu instid0(VALU_DEP_1)
	v_add_f32_e32 v82, v90, v81
	ds_bpermute_b32 v89, v89, v82
	v_cmpx_gt_u32_e32 16, v67
	s_cbranch_execz .LBB1611_12
; %bb.11:
	v_mul_u32_u24_e32 v67, 0x44, v66
	s_delay_alu instid0(VALU_DEP_1) | instskip(SKIP_1) | instid1(VALU_DEP_1)
	v_lshl_add_u32 v67, v65, 2, v67
	s_waitcnt lgkmcnt(0)
	v_dual_add_f32 v82, v82, v89 :: v_dual_add_nc_u32 v67, 0x4000, v67
	ds_store_2addr_b32 v67, v68, v82 offset1:136
.LBB1611_12:
	s_or_b32 exec_lo, exec_lo, s2
	v_lshlrev_b32_e32 v67, 2, v65
	s_waitcnt lgkmcnt(0)
	s_barrier
	buffer_gl0_inv
	v_cmp_eq_u32_e32 vcc_lo, 1, v66
	v_add_nc_u32_e32 v82, 0x4000, v67
	v_cmp_eq_u32_e64 s2, 2, v66
	v_cmp_eq_u32_e64 s4, 7, v66
	ds_load_2addr_b32 v[89:90], v82 offset1:17
	ds_load_2addr_b32 v[91:92], v82 offset0:34 offset1:51
	ds_load_2addr_b32 v[93:94], v82 offset0:68 offset1:85
	;; [unrolled: 1-line block ×4, first 2 shown]
	s_waitcnt lgkmcnt(4)
	v_max3_f32 v67, v89, 0xff7fffff, v90
	s_waitcnt lgkmcnt(3)
	s_delay_alu instid0(VALU_DEP_1) | instskip(SKIP_1) | instid1(VALU_DEP_1)
	v_max3_f32 v67, v67, v91, v92
	s_waitcnt lgkmcnt(2)
	v_max3_f32 v67, v67, v93, v94
	s_waitcnt lgkmcnt(1)
	s_delay_alu instid0(VALU_DEP_1) | instskip(NEXT) | instid1(VALU_DEP_1)
	v_max3_f32 v67, v67, v95, v96
	v_sub_f32_e32 v93, v93, v67
	s_delay_alu instid0(VALU_DEP_1) | instskip(NEXT) | instid1(VALU_DEP_1)
	v_dual_sub_f32 v68, v89, v67 :: v_dual_mul_f32 v103, 0x3fb8aa3b, v93
	v_mul_f32_e32 v68, 0x3fb8aa3b, v68
	s_delay_alu instid0(VALU_DEP_1)
	v_exp_f32_e32 v100, v68
	v_sub_f32_e32 v68, v92, v67
	v_sub_f32_e32 v99, v90, v67
	ds_load_2addr_b32 v[89:90], v82 offset0:170 offset1:187
	v_dual_mul_f32 v102, 0x3fb8aa3b, v68 :: v_dual_mul_f32 v99, 0x3fb8aa3b, v99
	s_waitcnt lgkmcnt(1)
	v_fma_f32 v68, v100, v97, 0
	s_delay_alu instid0(VALU_DEP_2) | instskip(NEXT) | instid1(VALU_DEP_2)
	v_exp_f32_e32 v102, v102
	v_exp_f32_e32 v99, v99
	s_waitcnt_depctr 0xfff
	v_fmac_f32_e32 v68, v99, v98
	v_sub_f32_e32 v91, v91, v67
	s_delay_alu instid0(VALU_DEP_1)
	v_mul_f32_e32 v101, 0x3fb8aa3b, v91
	ds_load_2addr_b32 v[91:92], v82 offset0:204 offset1:221
	v_sub_f32_e32 v97, v94, v67
	ds_load_2addr_b32 v[93:94], v82 offset0:238 offset1:255
	s_waitcnt lgkmcnt(0)
	v_exp_f32_e32 v101, v101
	s_barrier
	buffer_gl0_inv
	v_dual_fmac_f32 v68, v101, v89 :: v_dual_sub_f32 v89, v96, v67
	v_dual_sub_f32 v82, v95, v67 :: v_dual_mul_f32 v95, 0x3fb8aa3b, v97
	v_exp_f32_e32 v97, v103
	s_delay_alu instid0(VALU_DEP_2) | instskip(NEXT) | instid1(VALU_DEP_2)
	v_dual_fmac_f32 v68, v102, v90 :: v_dual_mul_f32 v89, 0x3fb8aa3b, v89
	v_mul_f32_e32 v82, 0x3fb8aa3b, v82
	s_delay_alu instid0(VALU_DEP_3) | instskip(NEXT) | instid1(VALU_DEP_2)
	v_exp_f32_e32 v95, v95
	v_exp_f32_e32 v89, v89
	s_delay_alu instid0(VALU_DEP_1)
	v_exp_f32_e32 v82, v82
	v_fmac_f32_e32 v68, v97, v91
	s_delay_alu instid0(TRANS32_DEP_3) | instid1(VALU_DEP_1)
	v_fmac_f32_e32 v68, v95, v92
	s_waitcnt_depctr 0xfff
	v_fmac_f32_e32 v68, v82, v93
	s_delay_alu instid0(VALU_DEP_1) | instskip(NEXT) | instid1(VALU_DEP_1)
	v_fmac_f32_e32 v68, v89, v94
	v_add_f32_e32 v90, 0x358637bd, v68
	s_delay_alu instid0(VALU_DEP_1) | instskip(NEXT) | instid1(VALU_DEP_1)
	v_div_scale_f32 v91, null, v90, v90, 1.0
	v_rcp_f32_e32 v92, v91
	s_waitcnt_depctr 0xfff
	v_fma_f32 v93, -v91, v92, 1.0
	s_delay_alu instid0(VALU_DEP_1) | instskip(SKIP_1) | instid1(VALU_DEP_2)
	v_dual_fmac_f32 v92, v93, v92 :: v_dual_cndmask_b32 v93, v100, v99
	v_cmp_eq_u32_e32 vcc_lo, 3, v66
	v_cndmask_b32_e64 v93, v93, v101, s2
	v_cmp_eq_u32_e64 s2, 4, v66
	s_delay_alu instid0(VALU_DEP_2) | instskip(SKIP_1) | instid1(VALU_DEP_2)
	v_cndmask_b32_e32 v93, v93, v102, vcc_lo
	v_cmp_eq_u32_e32 vcc_lo, 5, v66
	v_cndmask_b32_e64 v93, v93, v97, s2
	v_cmp_eq_u32_e64 s2, 6, v66
	s_delay_alu instid0(VALU_DEP_2) | instskip(SKIP_1) | instid1(VALU_DEP_1)
	v_cndmask_b32_e32 v93, v93, v95, vcc_lo
	v_div_scale_f32 v94, s3, 1.0, v90, 1.0
	s_mov_b32 vcc_lo, s3
	s_delay_alu instid0(VALU_DEP_2) | instskip(NEXT) | instid1(VALU_DEP_2)
	v_cndmask_b32_e64 v82, v93, v82, s2
	v_mul_f32_e32 v96, v94, v92
	s_mov_b32 s2, exec_lo
	s_delay_alu instid0(VALU_DEP_2) | instskip(NEXT) | instid1(VALU_DEP_2)
	v_cndmask_b32_e64 v82, v82, v89, s4
	v_fma_f32 v98, -v91, v96, v94
	s_delay_alu instid0(VALU_DEP_1) | instskip(NEXT) | instid1(VALU_DEP_1)
	v_fmac_f32_e32 v96, v98, v92
	v_fma_f32 v91, -v91, v96, v94
	s_delay_alu instid0(VALU_DEP_1) | instskip(NEXT) | instid1(VALU_DEP_1)
	v_div_fmas_f32 v91, v91, v92, v96
	v_div_fixup_f32 v90, v91, v90, 1.0
	s_delay_alu instid0(VALU_DEP_1) | instskip(NEXT) | instid1(VALU_DEP_1)
	v_mul_f32_e32 v82, v82, v90
	v_mul_f32_e32 v87, v82, v87
	;; [unrolled: 1-line block ×7, first 2 shown]
	v_dual_mul_f32 v86, v82, v83 :: v_dual_and_b32 v91, 0x7f800000, v90
	v_mul_f32_e32 v85, v82, v76
                                        ; implicit-def: $vgpr76
	s_delay_alu instid0(VALU_DEP_2)
	v_cmpx_ne_u32_e32 0x7f800000, v91
	s_xor_b32 s2, exec_lo, s2
; %bb.13:
	v_bfe_u32 v76, v90, 16, 1
	s_delay_alu instid0(VALU_DEP_1)
	v_add3_u32 v76, v90, v76, 0x7fff
                                        ; implicit-def: $vgpr90
; %bb.14:
	s_and_not1_saveexec_b32 s2, s2
; %bb.15:
	v_and_b32_e32 v76, 0xffff, v90
	v_or_b32_e32 v83, 0x10000, v90
	s_delay_alu instid0(VALU_DEP_2) | instskip(NEXT) | instid1(VALU_DEP_2)
	v_cmp_eq_u32_e32 vcc_lo, 0, v76
	v_cndmask_b32_e32 v76, v83, v90, vcc_lo
; %bb.16:
	s_or_b32 exec_lo, exec_lo, s2
	v_and_b32_e32 v83, 0x7f800000, v85
	s_delay_alu instid0(VALU_DEP_1) | instskip(SKIP_1) | instid1(SALU_CYCLE_1)
	v_cmp_ne_u32_e32 vcc_lo, 0x7f800000, v83
                                        ; implicit-def: $vgpr83
	s_and_saveexec_b32 s2, vcc_lo
	s_xor_b32 s2, exec_lo, s2
; %bb.17:
	v_bfe_u32 v83, v85, 16, 1
	s_delay_alu instid0(VALU_DEP_1)
	v_add3_u32 v83, v85, v83, 0x7fff
                                        ; implicit-def: $vgpr85
; %bb.18:
	s_and_not1_saveexec_b32 s2, s2
; %bb.19:
	v_and_b32_e32 v83, 0xffff, v85
	v_or_b32_e32 v90, 0x10000, v85
	s_delay_alu instid0(VALU_DEP_2) | instskip(NEXT) | instid1(VALU_DEP_2)
	v_cmp_eq_u32_e32 vcc_lo, 0, v83
	v_cndmask_b32_e32 v83, v90, v85, vcc_lo
; %bb.20:
	s_or_b32 exec_lo, exec_lo, s2
	v_and_b32_e32 v85, 0x7f800000, v86
	s_delay_alu instid0(VALU_DEP_1) | instskip(SKIP_1) | instid1(SALU_CYCLE_1)
	v_cmp_ne_u32_e32 vcc_lo, 0x7f800000, v85
                                        ; implicit-def: $vgpr85
	s_and_saveexec_b32 s2, vcc_lo
	s_xor_b32 s2, exec_lo, s2
; %bb.21:
	v_bfe_u32 v85, v86, 16, 1
	s_delay_alu instid0(VALU_DEP_1)
	v_add3_u32 v85, v86, v85, 0x7fff
                                        ; implicit-def: $vgpr86
; %bb.22:
	s_and_not1_saveexec_b32 s2, s2
; %bb.23:
	v_and_b32_e32 v85, 0xffff, v86
	v_or_b32_e32 v90, 0x10000, v86
	s_delay_alu instid0(VALU_DEP_2) | instskip(NEXT) | instid1(VALU_DEP_2)
	v_cmp_eq_u32_e32 vcc_lo, 0, v85
	v_cndmask_b32_e32 v85, v90, v86, vcc_lo
; %bb.24:
	s_or_b32 exec_lo, exec_lo, s2
	v_and_b32_e32 v86, 0x7f800000, v89
	s_delay_alu instid0(VALU_DEP_1) | instskip(SKIP_1) | instid1(SALU_CYCLE_1)
	v_cmp_ne_u32_e32 vcc_lo, 0x7f800000, v86
                                        ; implicit-def: $vgpr86
	s_and_saveexec_b32 s2, vcc_lo
	s_xor_b32 s2, exec_lo, s2
; %bb.25:
	v_bfe_u32 v86, v89, 16, 1
	s_delay_alu instid0(VALU_DEP_1)
	v_add3_u32 v86, v89, v86, 0x7fff
                                        ; implicit-def: $vgpr89
; %bb.26:
	s_and_not1_saveexec_b32 s2, s2
; %bb.27:
	v_and_b32_e32 v86, 0xffff, v89
	v_or_b32_e32 v90, 0x10000, v89
	s_delay_alu instid0(VALU_DEP_2) | instskip(NEXT) | instid1(VALU_DEP_2)
	v_cmp_eq_u32_e32 vcc_lo, 0, v86
	v_cndmask_b32_e32 v86, v90, v89, vcc_lo
; %bb.28:
	s_or_b32 exec_lo, exec_lo, s2
	v_and_b32_e32 v89, 0x7f800000, v88
	s_delay_alu instid0(VALU_DEP_1) | instskip(SKIP_1) | instid1(SALU_CYCLE_1)
	v_cmp_ne_u32_e32 vcc_lo, 0x7f800000, v89
                                        ; implicit-def: $vgpr89
	s_and_saveexec_b32 s2, vcc_lo
	s_xor_b32 s2, exec_lo, s2
; %bb.29:
	v_bfe_u32 v89, v88, 16, 1
	s_delay_alu instid0(VALU_DEP_1)
	v_add3_u32 v89, v88, v89, 0x7fff
                                        ; implicit-def: $vgpr88
; %bb.30:
	s_and_not1_saveexec_b32 s2, s2
; %bb.31:
	v_and_b32_e32 v89, 0xffff, v88
	v_or_b32_e32 v90, 0x10000, v88
	s_delay_alu instid0(VALU_DEP_2) | instskip(NEXT) | instid1(VALU_DEP_2)
	v_cmp_eq_u32_e32 vcc_lo, 0, v89
	v_cndmask_b32_e32 v89, v90, v88, vcc_lo
; %bb.32:
	s_or_b32 exec_lo, exec_lo, s2
	v_and_b32_e32 v88, 0x7f800000, v87
	s_delay_alu instid0(VALU_DEP_1) | instskip(SKIP_1) | instid1(SALU_CYCLE_1)
	v_cmp_ne_u32_e32 vcc_lo, 0x7f800000, v88
                                        ; implicit-def: $vgpr88
	s_and_saveexec_b32 s2, vcc_lo
	s_xor_b32 s2, exec_lo, s2
; %bb.33:
	v_bfe_u32 v88, v87, 16, 1
	s_delay_alu instid0(VALU_DEP_1)
	v_add3_u32 v88, v87, v88, 0x7fff
                                        ; implicit-def: $vgpr87
; %bb.34:
	s_and_not1_saveexec_b32 s2, s2
; %bb.35:
	v_and_b32_e32 v88, 0xffff, v87
	v_or_b32_e32 v90, 0x10000, v87
	s_delay_alu instid0(VALU_DEP_2) | instskip(NEXT) | instid1(VALU_DEP_2)
	v_cmp_eq_u32_e32 vcc_lo, 0, v88
	v_cndmask_b32_e32 v88, v90, v87, vcc_lo
; %bb.36:
	s_or_b32 exec_lo, exec_lo, s2
	v_and_b32_e32 v87, 0x7f800000, v84
	s_delay_alu instid0(VALU_DEP_1) | instskip(SKIP_1) | instid1(SALU_CYCLE_1)
	v_cmp_ne_u32_e32 vcc_lo, 0x7f800000, v87
                                        ; implicit-def: $vgpr87
	s_and_saveexec_b32 s2, vcc_lo
	s_xor_b32 s2, exec_lo, s2
; %bb.37:
	v_bfe_u32 v87, v84, 16, 1
	s_delay_alu instid0(VALU_DEP_1)
	v_add3_u32 v87, v84, v87, 0x7fff
                                        ; implicit-def: $vgpr84
; %bb.38:
	s_and_not1_saveexec_b32 s2, s2
; %bb.39:
	v_and_b32_e32 v87, 0xffff, v84
	v_or_b32_e32 v90, 0x10000, v84
	s_delay_alu instid0(VALU_DEP_2) | instskip(NEXT) | instid1(VALU_DEP_2)
	v_cmp_eq_u32_e32 vcc_lo, 0, v87
	v_cndmask_b32_e32 v87, v90, v84, vcc_lo
; %bb.40:
	s_or_b32 exec_lo, exec_lo, s2
	v_and_b32_e32 v84, 0x7f800000, v80
	s_delay_alu instid0(VALU_DEP_1) | instskip(SKIP_1) | instid1(SALU_CYCLE_1)
	v_cmp_ne_u32_e32 vcc_lo, 0x7f800000, v84
                                        ; implicit-def: $vgpr84
	s_and_saveexec_b32 s2, vcc_lo
	s_xor_b32 s2, exec_lo, s2
; %bb.41:
	v_bfe_u32 v84, v80, 16, 1
	s_delay_alu instid0(VALU_DEP_1)
	v_add3_u32 v84, v80, v84, 0x7fff
                                        ; implicit-def: $vgpr80
; %bb.42:
	s_and_not1_saveexec_b32 s2, s2
; %bb.43:
	v_and_b32_e32 v84, 0xffff, v80
	v_or_b32_e32 v90, 0x10000, v80
	s_delay_alu instid0(VALU_DEP_2) | instskip(NEXT) | instid1(VALU_DEP_2)
	v_cmp_eq_u32_e32 vcc_lo, 0, v84
	v_cndmask_b32_e32 v84, v90, v80, vcc_lo
; %bb.44:
	s_or_b32 exec_lo, exec_lo, s2
	s_load_b64 s[34:35], s[0:1], 0x94
	v_lshlrev_b32_e32 v91, 4, v74
	s_delay_alu instid0(VALU_DEP_2)
	v_perm_b32 v90, v84, v87, 0x7060302
	v_dual_mul_f32 v79, v82, v79 :: v_dual_lshlrev_b32 v80, 6, v65
	v_dual_mul_f32 v77, v82, v77 :: v_dual_lshlrev_b32 v92, 11, v66
	v_mul_f32_e32 v84, v82, v70
	v_perm_b32 v89, v88, v89, 0x7060302
	v_perm_b32 v88, v86, v85, 0x7060302
	;; [unrolled: 1-line block ×3, first 2 shown]
	v_mul_f32_e32 v70, v82, v81
	v_or3_b32 v76, v91, v92, v80
	v_dual_mul_f32 v78, v82, v78 :: v_dual_and_b32 v85, 0x7f800000, v84
	v_mul_f32_e32 v83, v82, v72
	v_mul_f32_e32 v81, v82, v71
	;; [unrolled: 1-line block ×3, first 2 shown]
	s_mov_b32 s2, exec_lo
	ds_store_b128 v76, v[87:90]
                                        ; implicit-def: $vgpr69
	v_cmpx_ne_u32_e32 0x7f800000, v85
	s_xor_b32 s2, exec_lo, s2
; %bb.45:
	v_bfe_u32 v69, v84, 16, 1
	s_delay_alu instid0(VALU_DEP_1)
	v_add3_u32 v69, v84, v69, 0x7fff
                                        ; implicit-def: $vgpr84
; %bb.46:
	s_and_not1_saveexec_b32 s2, s2
; %bb.47:
	v_and_b32_e32 v69, 0xffff, v84
	v_or_b32_e32 v71, 0x10000, v84
	s_delay_alu instid0(VALU_DEP_2) | instskip(NEXT) | instid1(VALU_DEP_2)
	v_cmp_eq_u32_e32 vcc_lo, 0, v69
	v_cndmask_b32_e32 v69, v71, v84, vcc_lo
; %bb.48:
	s_or_b32 exec_lo, exec_lo, s2
	v_and_b32_e32 v71, 0x7f800000, v72
	s_delay_alu instid0(VALU_DEP_1) | instskip(SKIP_1) | instid1(SALU_CYCLE_1)
	v_cmp_ne_u32_e32 vcc_lo, 0x7f800000, v71
                                        ; implicit-def: $vgpr71
	s_and_saveexec_b32 s2, vcc_lo
	s_xor_b32 s2, exec_lo, s2
; %bb.49:
	v_bfe_u32 v71, v72, 16, 1
	s_delay_alu instid0(VALU_DEP_1)
	v_add3_u32 v71, v72, v71, 0x7fff
                                        ; implicit-def: $vgpr72
; %bb.50:
	s_and_not1_saveexec_b32 s2, s2
; %bb.51:
	v_and_b32_e32 v71, 0xffff, v72
	v_or_b32_e32 v82, 0x10000, v72
	s_delay_alu instid0(VALU_DEP_2) | instskip(NEXT) | instid1(VALU_DEP_2)
	v_cmp_eq_u32_e32 vcc_lo, 0, v71
	v_cndmask_b32_e32 v71, v82, v72, vcc_lo
; %bb.52:
	s_or_b32 exec_lo, exec_lo, s2
	v_and_b32_e32 v72, 0x7f800000, v81
	s_delay_alu instid0(VALU_DEP_1) | instskip(SKIP_1) | instid1(SALU_CYCLE_1)
	v_cmp_ne_u32_e32 vcc_lo, 0x7f800000, v72
                                        ; implicit-def: $vgpr72
	s_and_saveexec_b32 s2, vcc_lo
	s_xor_b32 s2, exec_lo, s2
; %bb.53:
	v_bfe_u32 v72, v81, 16, 1
	s_delay_alu instid0(VALU_DEP_1)
	v_add3_u32 v72, v81, v72, 0x7fff
                                        ; implicit-def: $vgpr81
; %bb.54:
	s_and_not1_saveexec_b32 s2, s2
; %bb.55:
	v_and_b32_e32 v72, 0xffff, v81
	v_or_b32_e32 v82, 0x10000, v81
	s_delay_alu instid0(VALU_DEP_2) | instskip(NEXT) | instid1(VALU_DEP_2)
	v_cmp_eq_u32_e32 vcc_lo, 0, v72
	v_cndmask_b32_e32 v72, v82, v81, vcc_lo
; %bb.56:
	s_or_b32 exec_lo, exec_lo, s2
	v_and_b32_e32 v81, 0x7f800000, v83
	s_delay_alu instid0(VALU_DEP_1) | instskip(SKIP_1) | instid1(SALU_CYCLE_1)
	v_cmp_ne_u32_e32 vcc_lo, 0x7f800000, v81
                                        ; implicit-def: $vgpr81
	s_and_saveexec_b32 s2, vcc_lo
	s_xor_b32 s2, exec_lo, s2
; %bb.57:
	v_bfe_u32 v81, v83, 16, 1
	s_delay_alu instid0(VALU_DEP_1)
	v_add3_u32 v81, v83, v81, 0x7fff
                                        ; implicit-def: $vgpr83
; %bb.58:
	s_and_not1_saveexec_b32 s2, s2
; %bb.59:
	v_and_b32_e32 v81, 0xffff, v83
	v_or_b32_e32 v82, 0x10000, v83
	s_delay_alu instid0(VALU_DEP_2) | instskip(NEXT) | instid1(VALU_DEP_2)
	v_cmp_eq_u32_e32 vcc_lo, 0, v81
	v_cndmask_b32_e32 v81, v82, v83, vcc_lo
; %bb.60:
	s_or_b32 exec_lo, exec_lo, s2
	v_and_b32_e32 v82, 0x7f800000, v77
	s_delay_alu instid0(VALU_DEP_1) | instskip(SKIP_1) | instid1(SALU_CYCLE_1)
	v_cmp_ne_u32_e32 vcc_lo, 0x7f800000, v82
                                        ; implicit-def: $vgpr82
	s_and_saveexec_b32 s2, vcc_lo
	s_xor_b32 s2, exec_lo, s2
; %bb.61:
	v_bfe_u32 v82, v77, 16, 1
	s_delay_alu instid0(VALU_DEP_1)
	v_add3_u32 v82, v77, v82, 0x7fff
                                        ; implicit-def: $vgpr77
; %bb.62:
	s_and_not1_saveexec_b32 s2, s2
; %bb.63:
	v_and_b32_e32 v82, 0xffff, v77
	v_or_b32_e32 v83, 0x10000, v77
	s_delay_alu instid0(VALU_DEP_2) | instskip(NEXT) | instid1(VALU_DEP_2)
	v_cmp_eq_u32_e32 vcc_lo, 0, v82
	v_cndmask_b32_e32 v82, v83, v77, vcc_lo
; %bb.64:
	s_or_b32 exec_lo, exec_lo, s2
	v_and_b32_e32 v77, 0x7f800000, v78
	s_delay_alu instid0(VALU_DEP_1) | instskip(SKIP_1) | instid1(SALU_CYCLE_1)
	v_cmp_ne_u32_e32 vcc_lo, 0x7f800000, v77
                                        ; implicit-def: $vgpr77
	s_and_saveexec_b32 s2, vcc_lo
	s_xor_b32 s2, exec_lo, s2
; %bb.65:
	v_bfe_u32 v77, v78, 16, 1
	s_delay_alu instid0(VALU_DEP_1)
	v_add3_u32 v77, v78, v77, 0x7fff
                                        ; implicit-def: $vgpr78
; %bb.66:
	s_and_not1_saveexec_b32 s2, s2
; %bb.67:
	v_and_b32_e32 v77, 0xffff, v78
	v_or_b32_e32 v83, 0x10000, v78
	s_delay_alu instid0(VALU_DEP_2) | instskip(NEXT) | instid1(VALU_DEP_2)
	v_cmp_eq_u32_e32 vcc_lo, 0, v77
	v_cndmask_b32_e32 v77, v83, v78, vcc_lo
; %bb.68:
	s_or_b32 exec_lo, exec_lo, s2
	v_and_b32_e32 v78, 0x7f800000, v79
	s_delay_alu instid0(VALU_DEP_1) | instskip(SKIP_1) | instid1(SALU_CYCLE_1)
	v_cmp_ne_u32_e32 vcc_lo, 0x7f800000, v78
                                        ; implicit-def: $vgpr78
	s_and_saveexec_b32 s2, vcc_lo
	s_xor_b32 s2, exec_lo, s2
; %bb.69:
	v_bfe_u32 v78, v79, 16, 1
	s_delay_alu instid0(VALU_DEP_1)
	v_add3_u32 v78, v79, v78, 0x7fff
                                        ; implicit-def: $vgpr79
; %bb.70:
	s_and_not1_saveexec_b32 s2, s2
; %bb.71:
	v_and_b32_e32 v78, 0xffff, v79
	v_or_b32_e32 v83, 0x10000, v79
	s_delay_alu instid0(VALU_DEP_2) | instskip(NEXT) | instid1(VALU_DEP_2)
	v_cmp_eq_u32_e32 vcc_lo, 0, v78
	v_cndmask_b32_e32 v78, v83, v79, vcc_lo
; %bb.72:
	s_or_b32 exec_lo, exec_lo, s2
	v_and_b32_e32 v79, 0x7f800000, v70
	s_delay_alu instid0(VALU_DEP_1) | instskip(SKIP_1) | instid1(SALU_CYCLE_1)
	v_cmp_ne_u32_e32 vcc_lo, 0x7f800000, v79
                                        ; implicit-def: $vgpr79
	s_and_saveexec_b32 s2, vcc_lo
	s_xor_b32 s2, exec_lo, s2
; %bb.73:
	v_bfe_u32 v79, v70, 16, 1
	s_delay_alu instid0(VALU_DEP_1)
	v_add3_u32 v79, v70, v79, 0x7fff
                                        ; implicit-def: $vgpr70
; %bb.74:
	s_and_not1_saveexec_b32 s2, s2
; %bb.75:
	v_and_b32_e32 v79, 0xffff, v70
	v_or_b32_e32 v83, 0x10000, v70
	s_delay_alu instid0(VALU_DEP_2) | instskip(NEXT) | instid1(VALU_DEP_2)
	v_cmp_eq_u32_e32 vcc_lo, 0, v79
	v_cndmask_b32_e32 v79, v83, v70, vcc_lo
; %bb.76:
	s_or_b32 exec_lo, exec_lo, s2
	s_delay_alu instid0(VALU_DEP_1)
	v_perm_b32 v86, v79, v78, 0x7060302
	v_perm_b32 v85, v77, v82, 0x7060302
	;; [unrolled: 1-line block ×4, first 2 shown]
	v_lshl_or_b32 v82, v66, 11, v80
	ds_store_b128 v76, v[83:86] offset:1024
	s_waitcnt lgkmcnt(0)
	s_barrier
	buffer_gl0_inv
	ds_load_b128 v[69:72], v82
	ds_load_b128 v[83:86], v82 offset:16
	s_waitcnt lgkmcnt(1)
	v_lshrrev_b32_e32 v66, 16, v69
	s_waitcnt lgkmcnt(0)
	v_lshrrev_b32_e32 v91, 16, v83
	v_lshlrev_b32_e32 v78, 2, v74
	v_lshrrev_b32_e32 v95, 16, v70
	v_lshrrev_b32_e32 v98, 16, v84
	;; [unrolled: 1-line block ×4, first 2 shown]
	v_cmp_eq_u32_e32 vcc_lo, 1, v78
	v_lshrrev_b32_e32 v97, 16, v72
	v_lshrrev_b32_e32 v100, 16, v86
	v_cndmask_b32_e32 v87, v83, v91, vcc_lo
	v_or_b32_e32 v79, 1, v78
	v_cndmask_b32_e32 v81, v69, v66, vcc_lo
	v_cmp_eq_u32_e64 s3, 2, v78
	v_cmp_eq_u32_e64 s6, 3, v78
	;; [unrolled: 1-line block ×5, first 2 shown]
	v_cndmask_b32_e64 v81, v81, v70, s3
	v_cndmask_b32_e64 v87, v87, v84, s3
	v_cmp_eq_u32_e64 s7, 3, v79
	v_cndmask_b32_e64 v88, v69, v66, s2
	v_or_b32_e32 v77, 2, v78
	v_cndmask_b32_e64 v81, v81, v95, s6
	v_cndmask_b32_e64 v87, v87, v98, s6
	;; [unrolled: 1-line block ×4, first 2 shown]
	v_cmp_eq_u32_e64 s9, 5, v78
	v_cndmask_b32_e64 v81, v81, v71, s8
	v_cndmask_b32_e64 v87, v87, v85, s8
	v_cmp_eq_u32_e64 s10, 4, v79
	v_cndmask_b32_e64 v88, v88, v95, s7
	v_cmp_eq_u32_e64 s4, 1, v77
	v_cndmask_b32_e64 v89, v89, v84, s5
	v_cndmask_b32_e64 v81, v81, v96, s9
	v_cmp_eq_u32_e64 s11, 6, v78
	v_cndmask_b32_e64 v88, v88, v71, s10
	;; [unrolled: 3-line block ×3, first 2 shown]
	v_cndmask_b32_e64 v89, v89, v98, s7
	v_cndmask_b32_e64 v81, v81, v72, s11
	v_cmp_eq_u32_e64 s13, 7, v78
	v_cndmask_b32_e64 v88, v88, v96, s12
	v_cndmask_b32_e64 v87, v87, v86, s11
	v_cmp_eq_u32_e64 s15, 6, v79
	v_cmp_eq_u32_e64 s16, 2, v77
	v_cndmask_b32_e64 v89, v89, v85, s10
	v_cndmask_b32_e64 v101, v81, v97, s13
	;; [unrolled: 1-line block ×6, first 2 shown]
	v_cmp_eq_u32_e64 s17, 7, v79
	v_cmp_eq_u32_e64 s18, 3, v77
	;; [unrolled: 1-line block ×4, first 2 shown]
	v_cndmask_b32_e64 v87, v87, v84, s16
	v_cndmask_b32_e64 v103, v88, v97, s17
	;; [unrolled: 1-line block ×4, first 2 shown]
	v_or_b32_e32 v81, 3, v78
	v_cndmask_b32_e64 v93, v87, v98, s18
	v_cmp_eq_u32_e64 s23, 6, v77
	v_cndmask_b32_e64 v104, v88, v86, s15
	v_cndmask_b32_e64 v92, v89, v71, s19
	v_cmp_eq_u32_e64 s20, 1, v81
	ds_load_b128 v[87:90], v82 offset:1024
	v_cmp_eq_u32_e64 s22, 2, v81
	v_cmp_eq_u32_e64 s24, 3, v81
	v_cndmask_b32_e64 v105, v92, v96, s21
	v_cndmask_b32_e64 v66, v69, v66, s20
	;; [unrolled: 1-line block ×4, first 2 shown]
	ds_load_b128 v[91:94], v82 offset:1040
	v_cmp_eq_u32_e64 s25, 4, v81
	v_cndmask_b32_e64 v66, v66, v70, s22
	v_cmp_eq_u32_e64 s26, 7, v77
	v_cndmask_b32_e64 v70, v83, v84, s22
	v_cndmask_b32_e64 v84, v105, v72, s23
	v_cmp_eq_u32_e64 s27, 5, v81
	v_cndmask_b32_e64 v66, v66, v95, s24
	v_cmp_eq_u32_e64 s28, 6, v81
	v_cndmask_b32_e64 v70, v70, v98, s24
	v_cndmask_b32_e64 v69, v69, v99, s21
	v_cndmask_b32_e64 v83, v104, v100, s17
	v_cndmask_b32_e64 v66, v66, v71, s25
	s_waitcnt lgkmcnt(1)
	v_lshrrev_b32_e32 v95, 16, v87
	v_cndmask_b32_e64 v70, v70, v85, s25
	v_cndmask_b32_e64 v71, v84, v97, s26
	v_cndmask_b32_e64 v69, v69, v86, s23
	v_cndmask_b32_e64 v66, v66, v96, s27
	v_cndmask_b32_e32 v84, v87, v95, vcc_lo
	v_cndmask_b32_e64 v70, v70, v99, s27
	s_waitcnt lgkmcnt(0)
	v_lshrrev_b32_e32 v85, 16, v91
	v_lshrrev_b32_e32 v96, 16, v88
	v_cndmask_b32_e64 v98, v87, v95, s2
	v_cndmask_b32_e64 v84, v84, v88, s3
	;; [unrolled: 1-line block ×3, first 2 shown]
	v_cndmask_b32_e32 v99, v91, v85, vcc_lo
	v_cmp_eq_u32_e32 vcc_lo, 7, v81
	v_cndmask_b32_e64 v66, v66, v72, s28
	v_cndmask_b32_e64 v72, v84, v96, s6
	;; [unrolled: 1-line block ×3, first 2 shown]
	v_lshrrev_b32_e32 v98, 16, v92
	v_cndmask_b32_e32 v70, v70, v100, vcc_lo
	v_cndmask_b32_e64 v86, v99, v92, s3
	v_cndmask_b32_e64 v69, v69, v100, s26
	v_lshrrev_b32_e32 v100, 16, v93
	v_cndmask_b32_e64 v72, v72, v89, s8
	v_lshrrev_b32_e32 v99, 16, v89
	v_cndmask_b32_e64 v86, v86, v98, s6
	v_perm_b32 v71, v69, v71, 0x5040100
	v_cndmask_b32_e64 v84, v84, v96, s7
	s_delay_alu instid0(VALU_DEP_3) | instskip(NEXT) | instid1(VALU_DEP_2)
	v_cndmask_b32_e64 v86, v86, v93, s8
	v_cndmask_b32_e64 v84, v84, v89, s10
	s_delay_alu instid0(VALU_DEP_2) | instskip(NEXT) | instid1(VALU_DEP_1)
	v_cndmask_b32_e64 v86, v86, v100, s9
	v_cndmask_b32_e64 v69, v86, v94, s11
	;; [unrolled: 1-line block ×5, first 2 shown]
	s_delay_alu instid0(VALU_DEP_3) | instskip(NEXT) | instid1(VALU_DEP_3)
	v_cndmask_b32_e64 v86, v86, v88, s16
	v_cndmask_b32_e64 v87, v87, v88, s22
	s_delay_alu instid0(VALU_DEP_3) | instskip(NEXT) | instid1(VALU_DEP_3)
	v_cndmask_b32_e64 v88, v95, v92, s22
	v_cndmask_b32_e64 v86, v86, v96, s18
	;; [unrolled: 3-line block ×7, first 2 shown]
	s_delay_alu instid0(VALU_DEP_3) | instskip(SKIP_2) | instid1(VALU_DEP_2)
	v_cndmask_b32_e64 v88, v88, v94, s28
	v_cndmask_b32_e32 v66, v66, v97, vcc_lo
	v_cndmask_b32_e64 v97, v72, v99, s9
	v_perm_b32 v72, v70, v66, 0x5040100
	v_perm_b32 v70, v83, v103, 0x5040100
	v_cndmask_b32_e64 v103, v91, v85, s4
	v_cndmask_b32_e64 v85, v91, v85, s2
	;; [unrolled: 1-line block ×4, first 2 shown]
	v_lshrrev_b32_e32 v97, 16, v90
	v_cndmask_b32_e64 v91, v103, v92, s16
	v_cndmask_b32_e64 v85, v85, v92, s5
	;; [unrolled: 1-line block ×3, first 2 shown]
	s_mov_b32 s2, exec_lo
	v_cndmask_b32_e64 v83, v84, v97, s13
	v_cndmask_b32_e64 v91, v91, v98, s18
	v_cndmask_b32_e64 v85, v85, v98, s7
	v_lshrrev_b32_e32 v84, 16, v94
	v_cndmask_b32_e64 v66, v66, v97, s17
	v_cndmask_b32_e64 v90, v86, v97, s26
	;; [unrolled: 1-line block ×4, first 2 shown]
	v_dual_cndmask_b32 v86, v87, v97 :: v_dual_cndmask_b32 v87, v88, v84
	v_cndmask_b32_e64 v91, v69, v84, s13
	s_delay_alu instid0(VALU_DEP_4) | instskip(NEXT) | instid1(VALU_DEP_4)
	v_cndmask_b32_e64 v89, v89, v100, s21
	v_cndmask_b32_e64 v85, v85, v100, s12
	v_perm_b32 v69, v102, v101, 0x5040100
	v_perm_b32 v86, v87, v86, 0x5040100
	;; [unrolled: 1-line block ×3, first 2 shown]
	v_cndmask_b32_e64 v89, v89, v94, s23
	v_cndmask_b32_e64 v85, v85, v94, s15
	s_mul_i32 s7, s35, 6
	s_delay_alu instid0(VALU_DEP_2) | instskip(NEXT) | instid1(VALU_DEP_2)
	v_cndmask_b32_e64 v88, v89, v84, s26
	v_cndmask_b32_e64 v89, v85, v84, s17
	s_delay_alu instid0(VALU_DEP_2) | instskip(NEXT) | instid1(VALU_DEP_2)
	v_perm_b32 v85, v88, v90, 0x5040100
	v_perm_b32 v84, v89, v66, 0x5040100
	ds_store_b128 v76, v[69:72]
	ds_store_b128 v76, v[83:86] offset:1024
	v_cmpx_gt_u32_e32 6, v0
	s_cbranch_execz .LBB1611_78
; %bb.77:
	s_mul_i32 s3, s7, s30
	s_load_b128 s[8:11], s[0:1], 0x58
	v_add3_u32 v69, s3, s29, v65
	s_delay_alu instid0(VALU_DEP_1) | instskip(NEXT) | instid1(VALU_DEP_1)
	v_mad_u64_u32 v[65:66], null, v69, s34, s[14:15]
	v_ashrrev_i32_e32 v66, 31, v65
	s_delay_alu instid0(VALU_DEP_1) | instskip(SKIP_1) | instid1(VALU_DEP_1)
	v_lshlrev_b64 v[65:66], 2, v[65:66]
	s_waitcnt lgkmcnt(0)
	v_add_co_u32 v69, vcc_lo, s10, v65
	s_delay_alu instid0(VALU_DEP_2)
	v_add_co_ci_u32_e32 v70, vcc_lo, s11, v66, vcc_lo
	v_add_co_u32 v65, vcc_lo, s8, v65
	v_add_co_ci_u32_e32 v66, vcc_lo, s9, v66, vcc_lo
	global_store_b32 v[69:70], v67, off
	global_store_b32 v[65:66], v68, off
.LBB1611_78:
	s_or_b32 exec_lo, exec_lo, s2
	s_waitcnt lgkmcnt(0)
	s_waitcnt_vscnt null, 0x0
	s_barrier
	buffer_gl0_inv
	ds_load_b128 v[83:86], v80
	ds_load_b128 v[87:90], v80 offset:16
	ds_load_b128 v[95:98], v80 offset:2064
	;; [unrolled: 1-line block ×3, first 2 shown]
	v_mov_b32_e32 v65, 0
	ds_load_b128 v[103:106], v80 offset:4112
	ds_load_b128 v[99:102], v80 offset:4096
	;; [unrolled: 1-line block ×4, first 2 shown]
	v_mov_b32_e32 v66, v65
	v_mov_b32_e32 v67, v65
	;; [unrolled: 1-line block ×7, first 2 shown]
	s_waitcnt lgkmcnt(6)
	s_delay_alu instid0(VALU_DEP_1)
	v_wmma_f32_16x16x16_bf16 v[65:72], v[41:48], v[83:90], v[65:72]
	ds_load_b128 v[45:48], v80 offset:8208
	ds_load_b128 v[41:44], v80 offset:8192
	s_waitcnt lgkmcnt(6)
	v_wmma_f32_16x16x16_bf16 v[65:72], v[33:40], v[91:98], v[65:72]
	ds_load_b128 v[37:40], v80 offset:10256
	ds_load_b128 v[33:36], v80 offset:10240
	s_waitcnt lgkmcnt(6)
	;; [unrolled: 4-line block ×4, first 2 shown]
	v_wmma_f32_16x16x16_bf16 v[65:72], v[1:8], v[41:48], v[65:72]
	s_waitcnt lgkmcnt(4)
	s_delay_alu instid0(VALU_DEP_1) | instskip(SKIP_1) | instid1(VALU_DEP_1)
	v_wmma_f32_16x16x16_bf16 v[65:72], v[9:16], v[33:40], v[65:72]
	s_waitcnt lgkmcnt(2)
	v_wmma_f32_16x16x16_bf16 v[65:72], v[57:64], v[25:32], v[65:72]
	s_waitcnt lgkmcnt(0)
	s_delay_alu instid0(VALU_DEP_1) | instskip(NEXT) | instid1(VALU_DEP_1)
	v_wmma_f32_16x16x16_bf16 v[65:72], v[49:56], v[17:24], v[65:72]
	v_and_b32_e32 v1, 0x7f800000, v65
	s_delay_alu instid0(VALU_DEP_1) | instskip(SKIP_1) | instid1(SALU_CYCLE_1)
	v_cmp_ne_u32_e32 vcc_lo, 0x7f800000, v1
                                        ; implicit-def: $vgpr1
	s_and_saveexec_b32 s2, vcc_lo
	s_xor_b32 s2, exec_lo, s2
; %bb.79:
	v_bfe_u32 v1, v65, 16, 1
	s_delay_alu instid0(VALU_DEP_1)
	v_add3_u32 v1, v65, v1, 0x7fff
; %bb.80:
	s_and_not1_saveexec_b32 s2, s2
; %bb.81:
	v_and_b32_e32 v1, 0xffff, v65
	v_or_b32_e32 v2, 0x10000, v65
	s_delay_alu instid0(VALU_DEP_2) | instskip(NEXT) | instid1(VALU_DEP_2)
	v_cmp_eq_u32_e32 vcc_lo, 0, v1
	v_cndmask_b32_e32 v1, v2, v65, vcc_lo
; %bb.82:
	s_or_b32 exec_lo, exec_lo, s2
	v_and_b32_e32 v2, 0x7f800000, v66
	s_delay_alu instid0(VALU_DEP_1) | instskip(SKIP_1) | instid1(SALU_CYCLE_1)
	v_cmp_ne_u32_e32 vcc_lo, 0x7f800000, v2
                                        ; implicit-def: $vgpr2
	s_and_saveexec_b32 s2, vcc_lo
	s_xor_b32 s2, exec_lo, s2
; %bb.83:
	v_bfe_u32 v2, v66, 16, 1
	s_delay_alu instid0(VALU_DEP_1)
	v_add3_u32 v2, v66, v2, 0x7fff
; %bb.84:
	s_and_not1_saveexec_b32 s2, s2
; %bb.85:
	v_and_b32_e32 v2, 0xffff, v66
	v_or_b32_e32 v3, 0x10000, v66
	s_delay_alu instid0(VALU_DEP_2) | instskip(NEXT) | instid1(VALU_DEP_2)
	v_cmp_eq_u32_e32 vcc_lo, 0, v2
	v_cndmask_b32_e32 v2, v3, v66, vcc_lo
; %bb.86:
	s_or_b32 exec_lo, exec_lo, s2
	v_and_b32_e32 v3, 0x7f800000, v67
	s_delay_alu instid0(VALU_DEP_1) | instskip(SKIP_1) | instid1(SALU_CYCLE_1)
	v_cmp_ne_u32_e32 vcc_lo, 0x7f800000, v3
                                        ; implicit-def: $vgpr3
	s_and_saveexec_b32 s2, vcc_lo
	s_xor_b32 s2, exec_lo, s2
; %bb.87:
	v_bfe_u32 v3, v67, 16, 1
	s_delay_alu instid0(VALU_DEP_1)
	v_add3_u32 v3, v67, v3, 0x7fff
; %bb.88:
	s_and_not1_saveexec_b32 s2, s2
; %bb.89:
	v_and_b32_e32 v3, 0xffff, v67
	v_or_b32_e32 v4, 0x10000, v67
	s_delay_alu instid0(VALU_DEP_2) | instskip(NEXT) | instid1(VALU_DEP_2)
	v_cmp_eq_u32_e32 vcc_lo, 0, v3
	v_cndmask_b32_e32 v3, v4, v67, vcc_lo
; %bb.90:
	s_or_b32 exec_lo, exec_lo, s2
	v_and_b32_e32 v4, 0x7f800000, v68
	s_delay_alu instid0(VALU_DEP_1) | instskip(SKIP_1) | instid1(SALU_CYCLE_1)
	v_cmp_ne_u32_e32 vcc_lo, 0x7f800000, v4
                                        ; implicit-def: $vgpr4
	s_and_saveexec_b32 s2, vcc_lo
	s_xor_b32 s2, exec_lo, s2
; %bb.91:
	v_bfe_u32 v4, v68, 16, 1
	s_delay_alu instid0(VALU_DEP_1)
	v_add3_u32 v4, v68, v4, 0x7fff
; %bb.92:
	s_and_not1_saveexec_b32 s2, s2
; %bb.93:
	v_and_b32_e32 v4, 0xffff, v68
	v_or_b32_e32 v5, 0x10000, v68
	s_delay_alu instid0(VALU_DEP_2) | instskip(NEXT) | instid1(VALU_DEP_2)
	v_cmp_eq_u32_e32 vcc_lo, 0, v4
	v_cndmask_b32_e32 v4, v5, v68, vcc_lo
; %bb.94:
	s_or_b32 exec_lo, exec_lo, s2
	v_and_b32_e32 v5, 0x7f800000, v69
	s_delay_alu instid0(VALU_DEP_1) | instskip(SKIP_1) | instid1(SALU_CYCLE_1)
	v_cmp_ne_u32_e32 vcc_lo, 0x7f800000, v5
                                        ; implicit-def: $vgpr5
	s_and_saveexec_b32 s2, vcc_lo
	s_xor_b32 s2, exec_lo, s2
; %bb.95:
	v_bfe_u32 v5, v69, 16, 1
	s_delay_alu instid0(VALU_DEP_1)
	v_add3_u32 v5, v69, v5, 0x7fff
; %bb.96:
	s_and_not1_saveexec_b32 s2, s2
; %bb.97:
	v_and_b32_e32 v5, 0xffff, v69
	v_or_b32_e32 v6, 0x10000, v69
	s_delay_alu instid0(VALU_DEP_2) | instskip(NEXT) | instid1(VALU_DEP_2)
	v_cmp_eq_u32_e32 vcc_lo, 0, v5
	v_cndmask_b32_e32 v5, v6, v69, vcc_lo
; %bb.98:
	s_or_b32 exec_lo, exec_lo, s2
	v_and_b32_e32 v6, 0x7f800000, v70
	s_delay_alu instid0(VALU_DEP_1) | instskip(SKIP_1) | instid1(SALU_CYCLE_1)
	v_cmp_ne_u32_e32 vcc_lo, 0x7f800000, v6
                                        ; implicit-def: $vgpr6
	s_and_saveexec_b32 s2, vcc_lo
	s_xor_b32 s2, exec_lo, s2
; %bb.99:
	v_bfe_u32 v6, v70, 16, 1
	s_delay_alu instid0(VALU_DEP_1)
	v_add3_u32 v6, v70, v6, 0x7fff
; %bb.100:
	s_and_not1_saveexec_b32 s2, s2
; %bb.101:
	v_and_b32_e32 v6, 0xffff, v70
	v_or_b32_e32 v7, 0x10000, v70
	s_delay_alu instid0(VALU_DEP_2) | instskip(NEXT) | instid1(VALU_DEP_2)
	v_cmp_eq_u32_e32 vcc_lo, 0, v6
	v_cndmask_b32_e32 v6, v7, v70, vcc_lo
; %bb.102:
	s_or_b32 exec_lo, exec_lo, s2
	v_and_b32_e32 v7, 0x7f800000, v71
	s_delay_alu instid0(VALU_DEP_1) | instskip(SKIP_1) | instid1(SALU_CYCLE_1)
	v_cmp_ne_u32_e32 vcc_lo, 0x7f800000, v7
                                        ; implicit-def: $vgpr7
	s_and_saveexec_b32 s2, vcc_lo
	s_xor_b32 s2, exec_lo, s2
; %bb.103:
	v_bfe_u32 v7, v71, 16, 1
	s_delay_alu instid0(VALU_DEP_1)
	v_add3_u32 v7, v71, v7, 0x7fff
; %bb.104:
	s_and_not1_saveexec_b32 s2, s2
; %bb.105:
	v_and_b32_e32 v7, 0xffff, v71
	v_or_b32_e32 v8, 0x10000, v71
	s_delay_alu instid0(VALU_DEP_2) | instskip(NEXT) | instid1(VALU_DEP_2)
	v_cmp_eq_u32_e32 vcc_lo, 0, v7
	v_cndmask_b32_e32 v7, v8, v71, vcc_lo
; %bb.106:
	s_or_b32 exec_lo, exec_lo, s2
	v_and_b32_e32 v8, 0x7f800000, v72
	s_delay_alu instid0(VALU_DEP_1) | instskip(SKIP_1) | instid1(SALU_CYCLE_1)
	v_cmp_ne_u32_e32 vcc_lo, 0x7f800000, v8
                                        ; implicit-def: $vgpr8
	s_and_saveexec_b32 s2, vcc_lo
	s_xor_b32 s2, exec_lo, s2
; %bb.107:
	v_bfe_u32 v8, v72, 16, 1
	s_delay_alu instid0(VALU_DEP_1)
	v_add3_u32 v8, v72, v8, 0x7fff
                                        ; implicit-def: $vgpr65_vgpr66_vgpr67_vgpr68_vgpr69_vgpr70_vgpr71_vgpr72
; %bb.108:
	s_and_not1_saveexec_b32 s2, s2
; %bb.109:
	v_and_b32_e32 v8, 0xffff, v72
	v_or_b32_e32 v9, 0x10000, v72
	s_delay_alu instid0(VALU_DEP_2) | instskip(NEXT) | instid1(VALU_DEP_2)
	v_cmp_eq_u32_e32 vcc_lo, 0, v8
	v_cndmask_b32_e32 v8, v9, v72, vcc_lo
; %bb.110:
	s_or_b32 exec_lo, exec_lo, s2
	s_delay_alu instid0(VALU_DEP_1)
	v_perm_b32 v7, v8, v7, 0x7060302
	v_perm_b32 v6, v6, v5, 0x7060302
	;; [unrolled: 1-line block ×4, first 2 shown]
	s_barrier
	buffer_gl0_inv
	v_cmp_eq_u32_e32 vcc_lo, 1, v78
	ds_store_b128 v76, v[4:7]
	s_waitcnt lgkmcnt(0)
	s_barrier
	buffer_gl0_inv
	ds_load_b128 v[1:4], v82
	ds_load_b128 v[5:8], v82 offset:16
	v_cmp_eq_u32_e64 s2, 1, v79
	v_cmp_eq_u32_e64 s3, 2, v78
	;; [unrolled: 1-line block ×5, first 2 shown]
	s_waitcnt lgkmcnt(1)
	v_lshrrev_b32_e32 v9, 16, v1
	s_waitcnt lgkmcnt(0)
	v_lshrrev_b32_e32 v13, 16, v5
	v_lshrrev_b32_e32 v10, 16, v2
	;; [unrolled: 1-line block ×4, first 2 shown]
	v_cndmask_b32_e64 v19, v1, v9, s2
	v_cndmask_b32_e32 v18, v5, v13, vcc_lo
	v_cndmask_b32_e64 v20, v5, v13, s2
	v_cndmask_b32_e32 v17, v1, v9, vcc_lo
	v_cmp_eq_u32_e32 vcc_lo, 2, v79
	v_lshrrev_b32_e32 v15, 16, v7
	v_cmp_eq_u32_e64 s2, 1, v77
	v_lshrrev_b32_e32 v12, 16, v4
	v_lshrrev_b32_e32 v16, 16, v8
	v_cndmask_b32_e32 v20, v20, v6, vcc_lo
	v_cndmask_b32_e64 v17, v17, v2, s3
	v_cndmask_b32_e32 v19, v19, v2, vcc_lo
	v_cndmask_b32_e64 v18, v18, v6, s3
	v_cmp_eq_u32_e32 vcc_lo, 4, v78
	v_cmp_eq_u32_e64 s3, 3, v79
	v_cndmask_b32_e64 v17, v17, v10, s4
	v_cndmask_b32_e64 v21, v1, v9, s2
	;; [unrolled: 1-line block ×5, first 2 shown]
	v_cndmask_b32_e32 v17, v17, v3, vcc_lo
	v_cndmask_b32_e64 v20, v20, v14, s3
	v_cndmask_b32_e32 v18, v18, v7, vcc_lo
	v_cmp_eq_u32_e32 vcc_lo, 4, v79
	v_cmp_eq_u32_e64 s3, 5, v79
	v_cmp_eq_u32_e64 s2, 2, v81
	v_cndmask_b32_e64 v21, v21, v2, s6
	v_cmp_eq_u32_e64 s4, 5, v78
	v_cndmask_b32_e32 v19, v19, v3, vcc_lo
	v_cndmask_b32_e32 v20, v20, v7, vcc_lo
	v_cmp_eq_u32_e32 vcc_lo, 6, v79
	s_delay_alu instid0(VALU_DEP_4) | instskip(NEXT) | instid1(VALU_DEP_4)
	v_cndmask_b32_e64 v17, v17, v11, s4
	v_cndmask_b32_e64 v19, v19, v11, s3
	s_delay_alu instid0(VALU_DEP_4) | instskip(SKIP_1) | instid1(VALU_DEP_3)
	v_cndmask_b32_e64 v20, v20, v15, s3
	v_cmp_eq_u32_e64 s3, 1, v81
	v_cndmask_b32_e32 v19, v19, v4, vcc_lo
	v_cndmask_b32_e64 v18, v18, v15, s4
	s_delay_alu instid0(VALU_DEP_3)
	v_cndmask_b32_e64 v1, v1, v9, s3
	v_cndmask_b32_e64 v5, v5, v13, s3
	v_cmp_eq_u32_e64 s3, 3, v77
	v_cndmask_b32_e64 v13, v22, v6, s6
	v_cmp_eq_u32_e64 s6, 3, v81
	v_cndmask_b32_e64 v1, v1, v2, s2
	v_cndmask_b32_e64 v2, v5, v6, s2
	;; [unrolled: 1-line block ×3, first 2 shown]
	v_cmp_eq_u32_e64 s2, 4, v77
	v_cndmask_b32_e64 v6, v13, v14, s3
	v_cndmask_b32_e64 v1, v1, v10, s6
	v_cmp_eq_u32_e64 s3, 4, v81
	v_cndmask_b32_e64 v2, v2, v14, s6
	v_cndmask_b32_e64 v5, v9, v3, s2
	;; [unrolled: 3-line block ×3, first 2 shown]
	v_cndmask_b32_e64 v2, v2, v7, s3
	v_cmp_eq_u32_e64 s2, 5, v81
	v_cmp_eq_u32_e64 s4, 6, v78
	v_cndmask_b32_e64 v5, v5, v11, s6
	v_cmp_eq_u32_e64 s3, 6, v77
	v_cndmask_b32_e64 v3, v6, v15, s6
	v_cndmask_b32_e64 v1, v1, v11, s2
	v_cmp_eq_u32_e64 s6, 6, v81
	v_cndmask_b32_e64 v2, v2, v15, s2
	v_cndmask_b32_e64 v17, v17, v4, s4
	v_cndmask_b32_e64 v18, v18, v8, s4
	v_cmp_eq_u32_e64 s4, 7, v78
	v_cndmask_b32_e64 v5, v5, v4, s3
	;; [unrolled: 4-line block ×3, first 2 shown]
	v_cmp_eq_u32_e64 s3, 7, v77
	v_cndmask_b32_e32 v4, v20, v8, vcc_lo
	v_cndmask_b32_e64 v17, v17, v12, s4
	v_cndmask_b32_e64 v19, v19, v12, s5
	;; [unrolled: 1-line block ×8, first 2 shown]
	s_mov_b32 s2, exec_lo
	v_perm_b32 v4, v2, v1, 0x5040100
	v_perm_b32 v3, v3, v5, 0x5040100
	;; [unrolled: 1-line block ×4, first 2 shown]
	ds_store_b128 v76, v[1:4]
	s_waitcnt lgkmcnt(0)
	s_barrier
	buffer_gl0_inv
	v_cmpx_gt_u32_e32 32, v0
	s_cbranch_execz .LBB1611_2
; %bb.111:
	s_load_b64 s[0:1], s[0:1], 0x68
	s_lshl_b32 s4, s34, 7
	v_or_b32_e32 v3, s29, v74
	s_mul_i32 s2, s4, s30
	v_lshlrev_b32_e32 v0, 10, v0
	s_mul_i32 s2, s2, s7
	v_lshlrev_b32_e32 v1, 4, v75
	s_ashr_i32 s3, s2, 31
	v_mul_lo_u32 v12, v3, s4
	s_lshl_b64 s[2:3], s[2:3], 1
	v_lshlrev_b32_e32 v2, 6, v74
	v_and_b32_e32 v0, 0x3800, v0
	s_delay_alu instid0(VALU_DEP_1) | instskip(NEXT) | instid1(VALU_DEP_4)
	v_or3_b32 v8, v0, v1, v2
	v_ashrrev_i32_e32 v13, 31, v12
	ds_load_b128 v[0:3], v8
	ds_load_b128 v[4:7], v8 offset:128
	ds_load_b128 v[8:11], v8 offset:256
	s_waitcnt lgkmcnt(0)
	s_add_u32 s2, s0, s2
	s_addc_u32 s3, s1, s3
	s_lshl_b32 s0, s14, 7
	s_delay_alu instid0(SALU_CYCLE_1) | instskip(NEXT) | instid1(SALU_CYCLE_1)
	s_ashr_i32 s1, s0, 31
	s_lshl_b64 s[0:1], s[0:1], 1
	s_delay_alu instid0(SALU_CYCLE_1)
	s_add_u32 s0, s2, s0
	s_addc_u32 s1, s3, s1
	s_lshl_b32 s2, s34, 8
	v_add_co_u32 v18, s0, s0, v73
	v_add_nc_u32_e32 v14, s2, v12
	v_lshlrev_b64 v[12:13], 1, v[12:13]
	v_add_co_ci_u32_e64 v19, null, s1, 0, s0
	s_delay_alu instid0(VALU_DEP_3) | instskip(SKIP_1) | instid1(VALU_DEP_4)
	v_add_nc_u32_e32 v16, s2, v14
	v_ashrrev_i32_e32 v15, 31, v14
	v_add_co_u32 v12, vcc_lo, v18, v12
	s_delay_alu instid0(VALU_DEP_4) | instskip(NEXT) | instid1(VALU_DEP_4)
	v_add_co_ci_u32_e32 v13, vcc_lo, v19, v13, vcc_lo
	v_ashrrev_i32_e32 v17, 31, v16
	s_delay_alu instid0(VALU_DEP_4) | instskip(NEXT) | instid1(VALU_DEP_2)
	v_lshlrev_b64 v[14:15], 1, v[14:15]
	v_lshlrev_b64 v[16:17], 1, v[16:17]
	s_delay_alu instid0(VALU_DEP_2) | instskip(NEXT) | instid1(VALU_DEP_3)
	v_add_co_u32 v14, vcc_lo, v18, v14
	v_add_co_ci_u32_e32 v15, vcc_lo, v19, v15, vcc_lo
	s_delay_alu instid0(VALU_DEP_3) | instskip(NEXT) | instid1(VALU_DEP_4)
	v_add_co_u32 v16, vcc_lo, v18, v16
	v_add_co_ci_u32_e32 v17, vcc_lo, v19, v17, vcc_lo
	s_clause 0x2
	global_store_b128 v[12:13], v[0:3], off
	global_store_b128 v[14:15], v[4:7], off
	global_store_b128 v[16:17], v[8:11], off
	s_nop 0
	s_sendmsg sendmsg(MSG_DEALLOC_VGPRS)
	s_endpgm
	.section	.rodata,"a",@progbits
	.p2align	6, 0x0
	.amdhsa_kernel _Z39paged_attention_ll4mi_QKV_mfma16_kernelI14__hip_bfloat16hLN4vllm18Fp8KVCacheDataTypeE1EhLi32ELi128ELi256ELb0ELi6EL8MFMAType1EEvPKT_PKT0_S9_ifPKiSB_SB_iPKfiiiPfSE_PS4_PT2_iSD_SD_
		.amdhsa_group_segment_fixed_size 17472
		.amdhsa_private_segment_fixed_size 0
		.amdhsa_kernarg_size 400
		.amdhsa_user_sgpr_count 13
		.amdhsa_user_sgpr_dispatch_ptr 0
		.amdhsa_user_sgpr_queue_ptr 0
		.amdhsa_user_sgpr_kernarg_segment_ptr 1
		.amdhsa_user_sgpr_dispatch_id 0
		.amdhsa_user_sgpr_private_segment_size 0
		.amdhsa_wavefront_size32 1
		.amdhsa_uses_dynamic_stack 0
		.amdhsa_enable_private_segment 0
		.amdhsa_system_sgpr_workgroup_id_x 1
		.amdhsa_system_sgpr_workgroup_id_y 1
		.amdhsa_system_sgpr_workgroup_id_z 1
		.amdhsa_system_sgpr_workgroup_info 0
		.amdhsa_system_vgpr_workitem_id 0
		.amdhsa_next_free_vgpr 140
		.amdhsa_next_free_sgpr 36
		.amdhsa_reserve_vcc 1
		.amdhsa_float_round_mode_32 0
		.amdhsa_float_round_mode_16_64 0
		.amdhsa_float_denorm_mode_32 3
		.amdhsa_float_denorm_mode_16_64 3
		.amdhsa_dx10_clamp 1
		.amdhsa_ieee_mode 1
		.amdhsa_fp16_overflow 0
		.amdhsa_workgroup_processor_mode 1
		.amdhsa_memory_ordered 1
		.amdhsa_forward_progress 0
		.amdhsa_shared_vgpr_count 0
		.amdhsa_exception_fp_ieee_invalid_op 0
		.amdhsa_exception_fp_denorm_src 0
		.amdhsa_exception_fp_ieee_div_zero 0
		.amdhsa_exception_fp_ieee_overflow 0
		.amdhsa_exception_fp_ieee_underflow 0
		.amdhsa_exception_fp_ieee_inexact 0
		.amdhsa_exception_int_div_zero 0
	.end_amdhsa_kernel
	.section	.text._Z39paged_attention_ll4mi_QKV_mfma16_kernelI14__hip_bfloat16hLN4vllm18Fp8KVCacheDataTypeE1EhLi32ELi128ELi256ELb0ELi6EL8MFMAType1EEvPKT_PKT0_S9_ifPKiSB_SB_iPKfiiiPfSE_PS4_PT2_iSD_SD_,"axG",@progbits,_Z39paged_attention_ll4mi_QKV_mfma16_kernelI14__hip_bfloat16hLN4vllm18Fp8KVCacheDataTypeE1EhLi32ELi128ELi256ELb0ELi6EL8MFMAType1EEvPKT_PKT0_S9_ifPKiSB_SB_iPKfiiiPfSE_PS4_PT2_iSD_SD_,comdat
.Lfunc_end1611:
	.size	_Z39paged_attention_ll4mi_QKV_mfma16_kernelI14__hip_bfloat16hLN4vllm18Fp8KVCacheDataTypeE1EhLi32ELi128ELi256ELb0ELi6EL8MFMAType1EEvPKT_PKT0_S9_ifPKiSB_SB_iPKfiiiPfSE_PS4_PT2_iSD_SD_, .Lfunc_end1611-_Z39paged_attention_ll4mi_QKV_mfma16_kernelI14__hip_bfloat16hLN4vllm18Fp8KVCacheDataTypeE1EhLi32ELi128ELi256ELb0ELi6EL8MFMAType1EEvPKT_PKT0_S9_ifPKiSB_SB_iPKfiiiPfSE_PS4_PT2_iSD_SD_
                                        ; -- End function
	.section	.AMDGPU.csdata,"",@progbits
; Kernel info:
; codeLenInByte = 8896
; NumSgprs: 38
; NumVgprs: 140
; ScratchSize: 0
; MemoryBound: 0
; FloatMode: 240
; IeeeMode: 1
; LDSByteSize: 17472 bytes/workgroup (compile time only)
; SGPRBlocks: 4
; VGPRBlocks: 17
; NumSGPRsForWavesPerEU: 38
; NumVGPRsForWavesPerEU: 140
; Occupancy: 10
; WaveLimiterHint : 1
; COMPUTE_PGM_RSRC2:SCRATCH_EN: 0
; COMPUTE_PGM_RSRC2:USER_SGPR: 13
; COMPUTE_PGM_RSRC2:TRAP_HANDLER: 0
; COMPUTE_PGM_RSRC2:TGID_X_EN: 1
; COMPUTE_PGM_RSRC2:TGID_Y_EN: 1
; COMPUTE_PGM_RSRC2:TGID_Z_EN: 1
; COMPUTE_PGM_RSRC2:TIDIG_COMP_CNT: 0
	.section	.text._Z39paged_attention_ll4mi_QKV_mfma16_kernelI14__hip_bfloat16hLN4vllm18Fp8KVCacheDataTypeE1EhLi32ELi128ELi256ELb0ELi7EL8MFMAType1EEvPKT_PKT0_S9_ifPKiSB_SB_iPKfiiiPfSE_PS4_PT2_iSD_SD_,"axG",@progbits,_Z39paged_attention_ll4mi_QKV_mfma16_kernelI14__hip_bfloat16hLN4vllm18Fp8KVCacheDataTypeE1EhLi32ELi128ELi256ELb0ELi7EL8MFMAType1EEvPKT_PKT0_S9_ifPKiSB_SB_iPKfiiiPfSE_PS4_PT2_iSD_SD_,comdat
	.protected	_Z39paged_attention_ll4mi_QKV_mfma16_kernelI14__hip_bfloat16hLN4vllm18Fp8KVCacheDataTypeE1EhLi32ELi128ELi256ELb0ELi7EL8MFMAType1EEvPKT_PKT0_S9_ifPKiSB_SB_iPKfiiiPfSE_PS4_PT2_iSD_SD_ ; -- Begin function _Z39paged_attention_ll4mi_QKV_mfma16_kernelI14__hip_bfloat16hLN4vllm18Fp8KVCacheDataTypeE1EhLi32ELi128ELi256ELb0ELi7EL8MFMAType1EEvPKT_PKT0_S9_ifPKiSB_SB_iPKfiiiPfSE_PS4_PT2_iSD_SD_
	.globl	_Z39paged_attention_ll4mi_QKV_mfma16_kernelI14__hip_bfloat16hLN4vllm18Fp8KVCacheDataTypeE1EhLi32ELi128ELi256ELb0ELi7EL8MFMAType1EEvPKT_PKT0_S9_ifPKiSB_SB_iPKfiiiPfSE_PS4_PT2_iSD_SD_
	.p2align	8
	.type	_Z39paged_attention_ll4mi_QKV_mfma16_kernelI14__hip_bfloat16hLN4vllm18Fp8KVCacheDataTypeE1EhLi32ELi128ELi256ELb0ELi7EL8MFMAType1EEvPKT_PKT0_S9_ifPKiSB_SB_iPKfiiiPfSE_PS4_PT2_iSD_SD_,@function
_Z39paged_attention_ll4mi_QKV_mfma16_kernelI14__hip_bfloat16hLN4vllm18Fp8KVCacheDataTypeE1EhLi32ELi128ELi256ELb0ELi7EL8MFMAType1EEvPKT_PKT0_S9_ifPKiSB_SB_iPKfiiiPfSE_PS4_PT2_iSD_SD_: ; @_Z39paged_attention_ll4mi_QKV_mfma16_kernelI14__hip_bfloat16hLN4vllm18Fp8KVCacheDataTypeE1EhLi32ELi128ELi256ELb0ELi7EL8MFMAType1EEvPKT_PKT0_S9_ifPKiSB_SB_iPKfiiiPfSE_PS4_PT2_iSD_SD_
; %bb.0:
	s_load_b64 s[4:5], s[0:1], 0x30
	s_mov_b32 s30, s13
	s_waitcnt lgkmcnt(0)
	s_cmp_lg_u64 s[4:5], 0
	s_cselect_b32 s13, -1, 0
	s_ashr_i32 s31, s30, 31
	s_cmp_eq_u64 s[4:5], 0
	s_cbranch_scc1 .LBB1612_3
; %bb.1:
	s_lshl_b64 s[2:3], s[30:31], 2
	s_delay_alu instid0(SALU_CYCLE_1) | instskip(SKIP_4) | instid1(SALU_CYCLE_1)
	s_add_u32 s2, s4, s2
	s_addc_u32 s3, s5, s3
	s_load_b64 s[2:3], s[2:3], 0x0
	s_waitcnt lgkmcnt(0)
	s_sub_i32 s2, s3, s2
	s_cmp_eq_u32 s2, 1
	s_cselect_b32 s2, -1, 0
	s_delay_alu instid0(SALU_CYCLE_1)
	s_and_not1_b32 vcc_lo, exec_lo, s2
	s_cbranch_vccz .LBB1612_4
.LBB1612_2:
	s_nop 0
	s_sendmsg sendmsg(MSG_DEALLOC_VGPRS)
	s_endpgm
.LBB1612_3:
.LBB1612_4:
	s_load_b64 s[2:3], s[0:1], 0x28
	s_lshl_b64 s[6:7], s[30:31], 2
	s_waitcnt lgkmcnt(0)
	s_add_u32 s2, s2, s6
	s_addc_u32 s3, s3, s7
	s_lshl_b32 s12, s14, 8
	s_load_b32 s17, s[2:3], 0x0
	s_waitcnt lgkmcnt(0)
	s_cmp_ge_i32 s12, s17
	s_cbranch_scc1 .LBB1612_2
; %bb.5:
	s_clause 0x1
	s_load_b128 s[8:11], s[0:1], 0x8
	s_load_b64 s[2:3], s[0:1], 0x20
	s_and_not1_b32 vcc_lo, exec_lo, s13
	s_cbranch_vccnz .LBB1612_7
; %bb.6:
	s_add_u32 s4, s4, s6
	s_addc_u32 s5, s5, s7
	s_load_b32 s13, s[4:5], 0x0
	s_branch .LBB1612_8
.LBB1612_7:
	s_mov_b32 s13, s30
.LBB1612_8:
	s_load_b128 s[4:7], s[0:1], 0x48
	v_and_b32_e32 v65, 15, v0
	v_lshrrev_b32_e32 v66, 5, v0
	v_bfe_u32 v74, v0, 4, 1
	v_and_b32_e32 v67, 31, v0
	v_and_b32_e32 v75, 1, v0
	v_lshlrev_b32_e32 v2, 3, v65
	s_mul_i32 s31, s15, 7
	v_lshl_or_b32 v1, v66, 1, v74
	s_waitcnt lgkmcnt(0)
	s_mov_b32 s7, exec_lo
	v_lshlrev_b32_e32 v73, 1, v2
	s_delay_alu instid0(VALU_DEP_2)
	v_cmpx_gt_u32_e32 7, v1
	s_cbranch_execz .LBB1612_10
; %bb.9:
	s_load_b64 s[18:19], s[0:1], 0x0
	v_add_lshl_u32 v2, v1, s31, 7
	s_mul_hi_i32 s21, s13, s4
	s_mul_i32 s20, s13, s4
	v_lshlrev_b32_e32 v6, 10, v65
	s_lshl_b64 s[20:21], s[20:21], 1
	v_ashrrev_i32_e32 v3, 31, v2
	v_lshlrev_b32_e32 v1, 6, v1
	v_lshlrev_b32_e32 v7, 10, v75
	v_and_b32_e32 v6, 0x3800, v6
	s_delay_alu instid0(VALU_DEP_4) | instskip(NEXT) | instid1(VALU_DEP_2)
	v_lshlrev_b64 v[2:3], 1, v[2:3]
	v_or3_b32 v1, v6, v7, v1
	s_waitcnt lgkmcnt(0)
	s_add_u32 s4, s18, s20
	s_addc_u32 s13, s19, s21
	s_delay_alu instid0(VALU_DEP_2) | instskip(SKIP_1) | instid1(VALU_DEP_2)
	v_add_co_u32 v2, vcc_lo, s4, v2
	v_add_co_ci_u32_e32 v3, vcc_lo, s13, v3, vcc_lo
	v_add_co_u32 v2, vcc_lo, v2, v73
	s_delay_alu instid0(VALU_DEP_2)
	v_add_co_ci_u32_e32 v3, vcc_lo, 0, v3, vcc_lo
	global_load_b128 v[2:5], v[2:3], off
	s_waitcnt vmcnt(0)
	ds_store_b128 v1, v[2:5]
.LBB1612_10:
	s_or_b32 exec_lo, exec_lo, s7
	v_and_b32_e32 v1, 0xef, v0
	s_add_i32 s4, s17, 31
	s_clause 0x1
	s_load_b32 s7, s[0:1], 0x38
	s_load_b32 s18, s[0:1], 0x1c
	s_ashr_i32 s13, s4, 31
	v_add_nc_u32_e32 v2, s12, v1
	s_lshr_b32 s13, s13, 27
	s_waitcnt lgkmcnt(0)
	s_add_i32 s4, s4, s13
	s_barrier
	v_ashrrev_i32_e32 v1, 31, v2
	s_ashr_i32 s4, s4, 5
	v_cmp_gt_i32_e32 vcc_lo, s17, v2
	s_add_i32 s4, s4, -1
	buffer_gl0_inv
	v_lshrrev_b32_e32 v3, 27, v1
	v_or_b32_e32 v1, 16, v2
	s_mul_i32 s15, s15, s6
	s_delay_alu instid0(VALU_DEP_2) | instskip(SKIP_1) | instid1(SALU_CYCLE_1)
	v_add_nc_u32_e32 v4, v2, v3
	s_mul_i32 s20, s30, s7
	s_ashr_i32 s21, s20, 31
	s_delay_alu instid0(VALU_DEP_1) | instskip(SKIP_2) | instid1(SALU_CYCLE_1)
	v_ashrrev_i32_e32 v4, 5, v4
	v_add_nc_u32_e32 v3, v1, v3
	s_lshl_b64 s[20:21], s[20:21], 2
	s_add_u32 s7, s2, s20
	s_delay_alu instid0(VALU_DEP_2) | instskip(NEXT) | instid1(VALU_DEP_2)
	v_cndmask_b32_e32 v2, s4, v4, vcc_lo
	v_ashrrev_i32_e32 v3, 5, v3
	v_cmp_gt_i32_e32 vcc_lo, s17, v1
	s_addc_u32 s13, s3, s21
	s_ashr_i32 s6, s15, 31
	s_add_u32 s2, s8, s15
	s_addc_u32 s3, s9, s6
	v_cndmask_b32_e32 v4, s4, v3, vcc_lo
	v_ashrrev_i32_e32 v3, 31, v2
	s_lshl_b32 s8, s14, 3
	s_delay_alu instid0(SALU_CYCLE_1) | instskip(NEXT) | instid1(VALU_DEP_2)
	s_ashr_i32 s9, s8, 31
	v_ashrrev_i32_e32 v5, 31, v4
	s_delay_alu instid0(VALU_DEP_2) | instskip(SKIP_1) | instid1(SALU_CYCLE_1)
	v_lshlrev_b64 v[1:2], 2, v[2:3]
	s_lshl_b64 s[8:9], s[8:9], 2
	s_add_u32 s8, s7, s8
	s_delay_alu instid0(VALU_DEP_2) | instskip(SKIP_1) | instid1(VALU_DEP_2)
	v_lshlrev_b64 v[3:4], 2, v[4:5]
	s_addc_u32 s9, s13, s9
	v_add_co_u32 v1, vcc_lo, s7, v1
	v_add_co_ci_u32_e32 v2, vcc_lo, s13, v2, vcc_lo
	s_delay_alu instid0(VALU_DEP_3) | instskip(NEXT) | instid1(VALU_DEP_4)
	v_add_co_u32 v3, vcc_lo, s7, v3
	v_add_co_ci_u32_e32 v4, vcc_lo, s13, v4, vcc_lo
	s_clause 0x1
	global_load_b32 v5, v[1:2], off
	global_load_b32 v6, v[3:4], off
	s_or_b32 s16, s12, 32
	s_delay_alu instid0(SALU_CYCLE_1) | instskip(SKIP_2) | instid1(SALU_CYCLE_1)
	s_ashr_i32 s19, s16, 5
	s_cmp_lt_i32 s16, s17
	s_cselect_b32 s20, s19, s4
	s_ashr_i32 s21, s20, 31
	s_delay_alu instid0(SALU_CYCLE_1) | instskip(NEXT) | instid1(SALU_CYCLE_1)
	s_lshl_b64 s[20:21], s[20:21], 2
	s_add_u32 s20, s7, s20
	s_addc_u32 s21, s13, s21
	s_or_b32 s16, s12, 64
	s_delay_alu instid0(SALU_CYCLE_1) | instskip(SKIP_2) | instid1(SALU_CYCLE_1)
	s_ashr_i32 s19, s16, 5
	s_cmp_lt_i32 s16, s17
	s_cselect_b32 s22, s19, s4
	s_ashr_i32 s23, s22, 31
	s_delay_alu instid0(SALU_CYCLE_1) | instskip(NEXT) | instid1(SALU_CYCLE_1)
	s_lshl_b64 s[22:23], s[22:23], 2
	s_add_u32 s22, s7, s22
	s_addc_u32 s23, s13, s23
	;; [unrolled: 10-line block ×5, first 2 shown]
	s_clause 0x5
	s_load_b32 s16, s[8:9], 0x0
	s_load_b32 s19, s[20:21], 0x0
	;; [unrolled: 1-line block ×6, first 2 shown]
	s_mov_b32 s20, 0
	s_delay_alu instid0(SALU_CYCLE_1)
	s_mov_b32 s21, s20
	s_mov_b32 s22, s20
	;; [unrolled: 1-line block ×7, first 2 shown]
	s_delay_alu instid0(SALU_CYCLE_1)
	v_dual_mov_b32 v107, s27 :: v_dual_mov_b32 v106, s26
	v_dual_mov_b32 v105, s25 :: v_dual_mov_b32 v102, s22
	;; [unrolled: 1-line block ×4, first 2 shown]
	s_waitcnt vmcnt(1)
	v_mad_i64_i32 v[1:2], null, v5, s5, s[2:3]
	v_lshlrev_b32_e32 v5, 4, v65
	s_waitcnt vmcnt(0)
	v_mad_i64_i32 v[3:4], null, v6, s5, s[2:3]
	s_or_b32 s2, s12, 0xc0
	s_delay_alu instid0(SALU_CYCLE_1) | instskip(NEXT) | instid1(VALU_DEP_3)
	s_ashr_i32 s3, s2, 5
	v_add_co_u32 v25, vcc_lo, v1, v5
	s_delay_alu instid0(VALU_DEP_4) | instskip(NEXT) | instid1(VALU_DEP_3)
	v_add_co_ci_u32_e32 v26, vcc_lo, 0, v2, vcc_lo
	v_add_co_u32 v27, vcc_lo, v3, v5
	s_delay_alu instid0(VALU_DEP_4)
	v_add_co_ci_u32_e32 v28, vcc_lo, 0, v4, vcc_lo
	s_clause 0xf
	global_load_b128 v[1:4], v[25:26], off
	global_load_b128 v[5:8], v[25:26], off offset:512
	global_load_b128 v[9:12], v[27:28], off offset:256
	;; [unrolled: 1-line block ×15, first 2 shown]
	v_mul_lo_u16 v25, v65, 37
	s_cmp_lt_i32 s2, s17
	v_lshlrev_b32_e32 v26, 5, v65
	s_cselect_b32 s2, s3, s4
	s_delay_alu instid0(VALU_DEP_2) | instskip(SKIP_1) | instid1(VALU_DEP_2)
	v_lshrrev_b16 v25, 8, v25
	s_ashr_i32 s3, s2, 31
	v_lshl_or_b32 v33, v66, 9, v26
	s_lshl_b64 s[2:3], s[2:3], 2
	s_delay_alu instid0(VALU_DEP_2) | instskip(SKIP_3) | instid1(VALU_DEP_1)
	v_mul_lo_u16 v25, v25, 7
	s_add_u32 s2, s7, s2
	s_addc_u32 s3, s13, s3
	s_or_b32 s8, s12, 0xe0
	v_sub_nc_u16 v25, v65, v25
	s_ashr_i32 s9, s8, 5
	s_cmp_lt_i32 s8, s17
	s_cselect_b32 s8, s9, s4
	s_delay_alu instid0(VALU_DEP_1) | instskip(SKIP_1) | instid1(SALU_CYCLE_1)
	v_and_b32_e32 v25, 0xff, v25
	s_ashr_i32 s9, s8, 31
	s_lshl_b64 s[8:9], s[8:9], 2
	s_delay_alu instid0(VALU_DEP_1)
	v_lshlrev_b32_e32 v72, 6, v25
	ds_load_b128 v[25:28], v72
	ds_load_b128 v[29:32], v72 offset:1024
	ds_load_b128 v[108:111], v72 offset:2048
	;; [unrolled: 1-line block ×3, first 2 shown]
	s_load_b32 s4, s[2:3], 0x0
	s_add_u32 s2, s7, s8
	s_addc_u32 s3, s13, s9
	ds_load_b128 v[116:119], v72 offset:4096
	ds_load_b128 v[120:123], v72 offset:5120
	s_load_b32 s2, s[2:3], 0x0
	s_add_u32 s7, s10, s15
	s_addc_u32 s6, s11, s6
	v_add_co_u32 v68, s7, s7, v33
	s_delay_alu instid0(VALU_DEP_1) | instskip(SKIP_1) | instid1(VALU_DEP_1)
	v_add_co_ci_u32_e64 v69, null, s6, 0, s7
	s_waitcnt lgkmcnt(0)
	v_mad_i64_i32 v[33:34], null, s16, s5, v[68:69]
	v_mad_i64_i32 v[70:71], null, s33, s5, v[68:69]
	;; [unrolled: 1-line block ×7, first 2 shown]
	s_clause 0x3
	global_load_b128 v[41:44], v[33:34], off
	global_load_b128 v[45:48], v[33:34], off offset:16
	global_load_b128 v[33:36], v[37:38], off
	global_load_b128 v[37:40], v[37:38], off offset:16
	s_waitcnt vmcnt(18)
	v_wmma_f32_16x16x16_bf16 v[124:131], v[1:8], v[25:32], v[100:107]
	s_waitcnt vmcnt(16)
	v_wmma_f32_16x16x16_bf16 v[100:107], v[9:16], v[25:32], v[100:107]
	s_clause 0x1
	global_load_b128 v[25:28], v[70:71], off
	global_load_b128 v[29:32], v[70:71], off offset:16
	s_waitcnt vmcnt(16)
	v_wmma_f32_16x16x16_bf16 v[124:131], v[17:24], v[108:115], v[124:131]
	s_clause 0x1
	global_load_b128 v[17:20], v[132:133], off
	global_load_b128 v[21:24], v[132:133], off offset:16
	s_waitcnt vmcnt(16)
	v_wmma_f32_16x16x16_bf16 v[100:107], v[49:56], v[108:115], v[100:107]
	v_mad_i64_i32 v[53:54], null, s2, s5, v[68:69]
	s_clause 0x3
	global_load_b128 v[1:4], v[134:135], off
	global_load_b128 v[5:8], v[134:135], off offset:16
	global_load_b128 v[9:12], v[136:137], off
	global_load_b128 v[13:16], v[136:137], off offset:16
	s_waitcnt vmcnt(18)
	v_wmma_f32_16x16x16_bf16 v[124:131], v[57:64], v[116:123], v[124:131]
	s_clause 0x3
	global_load_b128 v[57:60], v[138:139], off
	global_load_b128 v[61:64], v[138:139], off offset:16
	global_load_b128 v[49:52], v[53:54], off
	global_load_b128 v[53:56], v[53:54], off offset:16
	s_waitcnt vmcnt(20)
	v_wmma_f32_16x16x16_bf16 v[100:107], v[76:83], v[116:123], v[100:107]
	ds_load_b128 v[76:79], v72 offset:6144
	ds_load_b128 v[80:83], v72 offset:7168
	v_mbcnt_lo_u32_b32 v69, -1, 0
	s_waitcnt vmcnt(0) lgkmcnt(0)
	s_barrier
	buffer_gl0_inv
	v_xor_b32_e32 v70, 16, v69
	s_delay_alu instid0(VALU_DEP_1) | instskip(SKIP_4) | instid1(VALU_DEP_2)
	v_cmp_gt_i32_e32 vcc_lo, 32, v70
	v_cndmask_b32_e32 v69, v69, v70, vcc_lo
	v_wmma_f32_16x16x16_bf16 v[124:131], v[84:91], v[76:83], v[124:131]
	v_and_b32_e32 v68, 0xe0, v0
	v_wmma_f32_16x16x16_bf16 v[100:107], v[92:99], v[76:83], v[100:107]
	v_dual_mul_f32 v81, s18, v129 :: v_dual_add_nc_u32 v68, s12, v68
	s_delay_alu instid0(VALU_DEP_4) | instskip(NEXT) | instid1(VALU_DEP_3)
	v_dual_mul_f32 v83, s18, v131 :: v_dual_mul_f32 v78, s18, v125
	v_mul_f32_e32 v95, s18, v103
	v_mul_f32_e32 v79, s18, v127
	s_delay_alu instid0(VALU_DEP_4) | instskip(SKIP_3) | instid1(VALU_DEP_4)
	v_or_b32_e32 v68, v68, v74
	v_dual_mul_f32 v80, s18, v126 :: v_dual_mul_f32 v97, s18, v105
	v_dual_mul_f32 v93, s18, v101 :: v_dual_mul_f32 v82, s18, v128
	v_mul_f32_e32 v99, s18, v107
	v_or_b32_e32 v70, 2, v68
	v_or_b32_e32 v71, 4, v68
	;; [unrolled: 1-line block ×3, first 2 shown]
	v_cmp_gt_i32_e64 s2, s17, v68
	v_or_b32_e32 v108, 8, v68
	v_cmp_gt_i32_e32 vcc_lo, s17, v70
	v_mul_f32_e32 v70, s18, v124
	v_or_b32_e32 v109, 10, v68
	v_cmp_gt_i32_e64 s3, s17, v71
	v_cmp_gt_i32_e64 s4, s17, v72
	v_cndmask_b32_e32 v78, 0xff7fffff, v78, vcc_lo
	v_cndmask_b32_e64 v70, 0xff7fffff, v70, s2
	v_or_b32_e32 v84, 12, v68
	v_or_b32_e32 v85, 14, v68
	v_cndmask_b32_e64 v71, 0xff7fffff, v80, s3
	v_cndmask_b32_e64 v72, 0xff7fffff, v79, s4
	v_max3_f32 v70, v70, 0xff7fffff, v78
	v_cmp_gt_i32_e64 s5, s17, v108
	v_cmp_gt_i32_e64 s6, s17, v109
	v_or_b32_e32 v86, 16, v68
	v_or_b32_e32 v87, 18, v68
	;; [unrolled: 1-line block ×3, first 2 shown]
	v_mul_f32_e32 v92, s18, v130
	v_cndmask_b32_e64 v78, 0xff7fffff, v82, s5
	v_cndmask_b32_e64 v79, 0xff7fffff, v81, s6
	v_max3_f32 v70, v70, v71, v72
	v_cmp_gt_i32_e64 s7, s17, v84
	v_cmp_gt_i32_e64 s8, s17, v85
	v_or_b32_e32 v88, 20, v68
	v_mul_f32_e32 v94, s18, v100
	v_max3_f32 v70, v70, v78, v79
	v_cmp_gt_i32_e64 s9, s17, v86
	v_cndmask_b32_e64 v72, 0xff7fffff, v83, s8
	v_cmp_gt_i32_e64 s10, s17, v87
	v_cmp_gt_i32_e64 s12, s17, v89
	v_lshlrev_b32_e32 v89, 2, v69
	v_cndmask_b32_e64 v71, 0xff7fffff, v92, s7
	v_or_b32_e32 v90, 24, v68
	v_or_b32_e32 v91, 26, v68
	v_mul_f32_e32 v96, s18, v102
	v_cndmask_b32_e64 v78, 0xff7fffff, v94, s9
	v_cndmask_b32_e64 v79, 0xff7fffff, v93, s10
	v_max3_f32 v70, v70, v71, v72
	v_cmp_gt_i32_e64 s11, s17, v88
	v_or_b32_e32 v76, 28, v68
	v_or_b32_e32 v77, 30, v68
	v_mul_f32_e32 v98, s18, v104
	v_cndmask_b32_e64 v72, 0xff7fffff, v95, s12
	v_cndmask_b32_e64 v71, 0xff7fffff, v96, s11
	v_max3_f32 v70, v70, v78, v79
	v_cmp_gt_i32_e64 s13, s17, v90
	v_cmp_gt_i32_e64 s15, s17, v91
	v_mul_f32_e32 v68, s18, v106
	v_cmp_gt_i32_e64 s16, s17, v76
	v_max3_f32 v70, v70, v71, v72
	v_cndmask_b32_e64 v78, 0xff7fffff, v98, s13
	v_cndmask_b32_e64 v79, 0xff7fffff, v97, s15
	v_cmp_gt_i32_e64 s17, s17, v77
	v_cndmask_b32_e64 v68, 0xff7fffff, v68, s16
	s_delay_alu instid0(VALU_DEP_3) | instskip(NEXT) | instid1(VALU_DEP_3)
	v_max3_f32 v70, v70, v78, v79
	v_cndmask_b32_e64 v71, 0xff7fffff, v99, s17
	s_delay_alu instid0(VALU_DEP_1) | instskip(SKIP_3) | instid1(VALU_DEP_1)
	v_max3_f32 v68, v70, v68, v71
	ds_bpermute_b32 v69, v89, v68
	s_waitcnt lgkmcnt(0)
	v_max_f32_e32 v69, v69, v69
	v_max_f32_e32 v68, v68, v69
	s_delay_alu instid0(VALU_DEP_1) | instskip(NEXT) | instid1(VALU_DEP_1)
	v_fma_f32 v71, s18, v126, -v68
	v_mul_f32_e32 v71, 0x3fb8aa3b, v71
	s_delay_alu instid0(VALU_DEP_1) | instskip(SKIP_3) | instid1(VALU_DEP_1)
	v_exp_f32_e32 v71, v71
	s_waitcnt_depctr 0xfff
	v_cndmask_b32_e64 v83, 0, v71, s3
	v_fma_f32 v71, s18, v131, -v68
	v_mul_f32_e32 v71, 0x3fb8aa3b, v71
	v_fma_f32 v69, s18, v124, -v68
	v_fma_f32 v76, s18, v128, -v68
	v_fma_f32 v70, s18, v125, -v68
	v_fma_f32 v72, s18, v127, -v68
	v_exp_f32_e32 v71, v71
	v_mul_f32_e32 v69, 0x3fb8aa3b, v69
	v_mul_f32_e32 v77, 0x3fb8aa3b, v76
	v_fma_f32 v81, s18, v105, -v68
	v_fma_f32 v78, s18, v130, -v68
	s_delay_alu instid0(VALU_DEP_4) | instskip(NEXT) | instid1(VALU_DEP_3)
	v_exp_f32_e32 v69, v69
	v_exp_f32_e32 v77, v77
	s_delay_alu instid0(VALU_DEP_2) | instskip(NEXT) | instid1(TRANS32_DEP_3)
	v_mul_f32_e32 v81, 0x3fb8aa3b, v81
	v_cndmask_b32_e64 v88, 0, v71, s8
	v_fma_f32 v71, s18, v104, -v68
	s_delay_alu instid0(VALU_DEP_3) | instskip(NEXT) | instid1(TRANS32_DEP_3)
	v_exp_f32_e32 v81, v81
	v_cndmask_b32_e64 v80, 0, v69, s2
	v_fma_f32 v69, s18, v129, -v68
	v_mul_f32_e32 v70, 0x3fb8aa3b, v70
	s_delay_alu instid0(TRANS32_DEP_2)
	v_cndmask_b32_e64 v86, 0, v77, s5
	v_mul_f32_e32 v72, 0x3fb8aa3b, v72
	v_fma_f32 v77, s18, v101, -v68
	v_mul_f32_e32 v69, 0x3fb8aa3b, v69
	v_exp_f32_e32 v70, v70
	v_mul_f32_e32 v71, 0x3fb8aa3b, v71
	v_exp_f32_e32 v72, v72
	;; [unrolled: 2-line block ×3, first 2 shown]
	v_cmp_gt_u32_e64 s2, 16, v67
	v_exp_f32_e32 v82, v71
	s_delay_alu instid0(VALU_DEP_2) | instskip(SKIP_4) | instid1(TRANS32_DEP_3)
	v_exp_f32_e32 v77, v77
	v_cndmask_b32_e32 v76, 0, v70, vcc_lo
	v_add_f32_e32 v70, 0, v80
	v_cndmask_b32_e64 v85, 0, v72, s4
	v_fma_f32 v72, s18, v100, -v68
	v_cndmask_b32_e64 v87, 0, v69, s6
	s_delay_alu instid0(VALU_DEP_4) | instskip(NEXT) | instid1(VALU_DEP_3)
	v_add_f32_e32 v70, v70, v76
	v_mul_f32_e32 v72, 0x3fb8aa3b, v72
	s_delay_alu instid0(VALU_DEP_2) | instskip(NEXT) | instid1(VALU_DEP_2)
	v_add_f32_e32 v70, v70, v83
	v_exp_f32_e32 v72, v72
	s_delay_alu instid0(VALU_DEP_1) | instskip(NEXT) | instid1(VALU_DEP_1)
	v_add_f32_e32 v70, v70, v85
	v_add_f32_e32 v69, v70, v86
	v_fma_f32 v70, s18, v102, -v68
	s_delay_alu instid0(VALU_DEP_2) | instskip(NEXT) | instid1(VALU_DEP_2)
	v_dual_add_f32 v69, v69, v87 :: v_dual_mul_f32 v78, 0x3fb8aa3b, v78
	v_mul_f32_e32 v70, 0x3fb8aa3b, v70
	s_delay_alu instid0(VALU_DEP_2) | instskip(NEXT) | instid1(VALU_DEP_1)
	v_exp_f32_e32 v78, v78
	v_exp_f32_e32 v79, v70
	s_delay_alu instid0(TRANS32_DEP_3) | instskip(SKIP_4) | instid1(VALU_DEP_2)
	v_cndmask_b32_e64 v70, 0, v72, s9
	s_waitcnt_depctr 0xfff
	v_cndmask_b32_e64 v84, 0, v78, s7
	v_fma_f32 v78, s18, v103, -v68
	v_cndmask_b32_e64 v71, 0, v79, s11
	v_dual_add_f32 v69, v69, v84 :: v_dual_mul_f32 v78, 0x3fb8aa3b, v78
	s_delay_alu instid0(VALU_DEP_1) | instskip(NEXT) | instid1(VALU_DEP_2)
	v_add_f32_e32 v72, v69, v88
	v_exp_f32_e32 v78, v78
	v_cndmask_b32_e64 v69, 0, v77, s10
	v_fma_f32 v77, s18, v106, -v68
	s_delay_alu instid0(VALU_DEP_1) | instskip(NEXT) | instid1(VALU_DEP_1)
	v_dual_add_f32 v72, v72, v70 :: v_dual_mul_f32 v77, 0x3fb8aa3b, v77
	v_add_f32_e32 v79, v72, v69
	s_waitcnt_depctr 0xfff
	v_cndmask_b32_e64 v72, 0, v78, s12
	v_exp_f32_e32 v90, v77
	v_cndmask_b32_e64 v77, 0, v82, s13
	v_add_f32_e32 v78, v79, v71
	v_fma_f32 v79, s18, v107, -v68
	s_delay_alu instid0(VALU_DEP_1) | instskip(SKIP_1) | instid1(VALU_DEP_2)
	v_dual_add_f32 v82, v78, v72 :: v_dual_mul_f32 v79, 0x3fb8aa3b, v79
	v_cndmask_b32_e64 v78, 0, v81, s15
	v_add_f32_e32 v81, v82, v77
	s_delay_alu instid0(VALU_DEP_3) | instskip(NEXT) | instid1(TRANS32_DEP_2)
	v_exp_f32_e32 v82, v79
	v_cndmask_b32_e64 v79, 0, v90, s16
	s_delay_alu instid0(VALU_DEP_2) | instskip(NEXT) | instid1(VALU_DEP_1)
	v_add_f32_e32 v81, v81, v78
	v_add_f32_e32 v90, v81, v79
	s_waitcnt_depctr 0xfff
	v_cndmask_b32_e64 v81, 0, v82, s17
	s_delay_alu instid0(VALU_DEP_1)
	v_add_f32_e32 v82, v90, v81
	ds_bpermute_b32 v89, v89, v82
	s_and_saveexec_b32 s3, s2
	s_cbranch_execz .LBB1612_12
; %bb.11:
	v_mul_u32_u24_e32 v67, 0x44, v66
	s_delay_alu instid0(VALU_DEP_1) | instskip(SKIP_1) | instid1(VALU_DEP_1)
	v_lshl_add_u32 v67, v65, 2, v67
	s_waitcnt lgkmcnt(0)
	v_dual_add_f32 v82, v82, v89 :: v_dual_add_nc_u32 v67, 0x4000, v67
	ds_store_2addr_b32 v67, v68, v82 offset1:136
.LBB1612_12:
	s_or_b32 exec_lo, exec_lo, s3
	v_lshlrev_b32_e32 v67, 2, v65
	s_waitcnt lgkmcnt(0)
	s_barrier
	buffer_gl0_inv
	v_cmp_eq_u32_e32 vcc_lo, 1, v66
	v_add_nc_u32_e32 v82, 0x4000, v67
	v_cmp_eq_u32_e64 s3, 2, v66
	v_cmp_eq_u32_e64 s5, 7, v66
	ds_load_2addr_b32 v[89:90], v82 offset1:17
	ds_load_2addr_b32 v[91:92], v82 offset0:34 offset1:51
	ds_load_2addr_b32 v[93:94], v82 offset0:68 offset1:85
	;; [unrolled: 1-line block ×4, first 2 shown]
	s_waitcnt lgkmcnt(4)
	v_max3_f32 v67, v89, 0xff7fffff, v90
	s_waitcnt lgkmcnt(3)
	s_delay_alu instid0(VALU_DEP_1) | instskip(SKIP_1) | instid1(VALU_DEP_1)
	v_max3_f32 v67, v67, v91, v92
	s_waitcnt lgkmcnt(2)
	v_max3_f32 v67, v67, v93, v94
	s_waitcnt lgkmcnt(1)
	s_delay_alu instid0(VALU_DEP_1) | instskip(NEXT) | instid1(VALU_DEP_1)
	v_max3_f32 v67, v67, v95, v96
	v_sub_f32_e32 v93, v93, v67
	s_delay_alu instid0(VALU_DEP_1) | instskip(NEXT) | instid1(VALU_DEP_1)
	v_dual_sub_f32 v68, v89, v67 :: v_dual_mul_f32 v103, 0x3fb8aa3b, v93
	v_mul_f32_e32 v68, 0x3fb8aa3b, v68
	s_delay_alu instid0(VALU_DEP_1)
	v_exp_f32_e32 v100, v68
	v_sub_f32_e32 v68, v92, v67
	v_sub_f32_e32 v99, v90, v67
	ds_load_2addr_b32 v[89:90], v82 offset0:170 offset1:187
	v_dual_mul_f32 v102, 0x3fb8aa3b, v68 :: v_dual_mul_f32 v99, 0x3fb8aa3b, v99
	s_waitcnt lgkmcnt(1)
	v_fma_f32 v68, v100, v97, 0
	s_delay_alu instid0(VALU_DEP_2) | instskip(NEXT) | instid1(VALU_DEP_2)
	v_exp_f32_e32 v102, v102
	v_exp_f32_e32 v99, v99
	s_waitcnt_depctr 0xfff
	v_fmac_f32_e32 v68, v99, v98
	v_sub_f32_e32 v91, v91, v67
	s_delay_alu instid0(VALU_DEP_1)
	v_mul_f32_e32 v101, 0x3fb8aa3b, v91
	ds_load_2addr_b32 v[91:92], v82 offset0:204 offset1:221
	v_sub_f32_e32 v97, v94, v67
	ds_load_2addr_b32 v[93:94], v82 offset0:238 offset1:255
	s_waitcnt lgkmcnt(0)
	v_exp_f32_e32 v101, v101
	s_barrier
	buffer_gl0_inv
	v_dual_fmac_f32 v68, v101, v89 :: v_dual_sub_f32 v89, v96, v67
	v_dual_sub_f32 v82, v95, v67 :: v_dual_mul_f32 v95, 0x3fb8aa3b, v97
	v_exp_f32_e32 v97, v103
	s_delay_alu instid0(VALU_DEP_2) | instskip(NEXT) | instid1(VALU_DEP_2)
	v_dual_fmac_f32 v68, v102, v90 :: v_dual_mul_f32 v89, 0x3fb8aa3b, v89
	v_mul_f32_e32 v82, 0x3fb8aa3b, v82
	s_delay_alu instid0(VALU_DEP_3) | instskip(NEXT) | instid1(VALU_DEP_2)
	v_exp_f32_e32 v95, v95
	v_exp_f32_e32 v89, v89
	s_delay_alu instid0(VALU_DEP_1)
	v_exp_f32_e32 v82, v82
	v_fmac_f32_e32 v68, v97, v91
	s_delay_alu instid0(TRANS32_DEP_3) | instid1(VALU_DEP_1)
	v_fmac_f32_e32 v68, v95, v92
	s_waitcnt_depctr 0xfff
	v_fmac_f32_e32 v68, v82, v93
	s_delay_alu instid0(VALU_DEP_1) | instskip(NEXT) | instid1(VALU_DEP_1)
	v_fmac_f32_e32 v68, v89, v94
	v_add_f32_e32 v90, 0x358637bd, v68
	s_delay_alu instid0(VALU_DEP_1) | instskip(NEXT) | instid1(VALU_DEP_1)
	v_div_scale_f32 v91, null, v90, v90, 1.0
	v_rcp_f32_e32 v92, v91
	s_waitcnt_depctr 0xfff
	v_fma_f32 v93, -v91, v92, 1.0
	s_delay_alu instid0(VALU_DEP_1) | instskip(SKIP_1) | instid1(VALU_DEP_2)
	v_dual_fmac_f32 v92, v93, v92 :: v_dual_cndmask_b32 v93, v100, v99
	v_cmp_eq_u32_e32 vcc_lo, 3, v66
	v_cndmask_b32_e64 v93, v93, v101, s3
	v_cmp_eq_u32_e64 s3, 4, v66
	s_delay_alu instid0(VALU_DEP_2) | instskip(SKIP_1) | instid1(VALU_DEP_2)
	v_cndmask_b32_e32 v93, v93, v102, vcc_lo
	v_cmp_eq_u32_e32 vcc_lo, 5, v66
	v_cndmask_b32_e64 v93, v93, v97, s3
	v_cmp_eq_u32_e64 s3, 6, v66
	s_delay_alu instid0(VALU_DEP_2) | instskip(SKIP_1) | instid1(VALU_DEP_1)
	v_cndmask_b32_e32 v93, v93, v95, vcc_lo
	v_div_scale_f32 v94, s4, 1.0, v90, 1.0
	s_mov_b32 vcc_lo, s4
	s_delay_alu instid0(VALU_DEP_2) | instskip(NEXT) | instid1(VALU_DEP_2)
	v_cndmask_b32_e64 v82, v93, v82, s3
	v_mul_f32_e32 v96, v94, v92
	s_mov_b32 s3, exec_lo
	s_delay_alu instid0(VALU_DEP_2) | instskip(NEXT) | instid1(VALU_DEP_2)
	v_cndmask_b32_e64 v82, v82, v89, s5
	v_fma_f32 v98, -v91, v96, v94
	s_delay_alu instid0(VALU_DEP_1) | instskip(NEXT) | instid1(VALU_DEP_1)
	v_fmac_f32_e32 v96, v98, v92
	v_fma_f32 v91, -v91, v96, v94
	s_delay_alu instid0(VALU_DEP_1) | instskip(NEXT) | instid1(VALU_DEP_1)
	v_div_fmas_f32 v91, v91, v92, v96
	v_div_fixup_f32 v90, v91, v90, 1.0
	s_delay_alu instid0(VALU_DEP_1) | instskip(NEXT) | instid1(VALU_DEP_1)
	v_mul_f32_e32 v82, v82, v90
	v_mul_f32_e32 v87, v82, v87
	;; [unrolled: 1-line block ×7, first 2 shown]
	v_dual_mul_f32 v86, v82, v83 :: v_dual_and_b32 v91, 0x7f800000, v90
	v_mul_f32_e32 v85, v82, v76
                                        ; implicit-def: $vgpr76
	s_delay_alu instid0(VALU_DEP_2)
	v_cmpx_ne_u32_e32 0x7f800000, v91
	s_xor_b32 s3, exec_lo, s3
; %bb.13:
	v_bfe_u32 v76, v90, 16, 1
	s_delay_alu instid0(VALU_DEP_1)
	v_add3_u32 v76, v90, v76, 0x7fff
                                        ; implicit-def: $vgpr90
; %bb.14:
	s_and_not1_saveexec_b32 s3, s3
; %bb.15:
	v_and_b32_e32 v76, 0xffff, v90
	v_or_b32_e32 v83, 0x10000, v90
	s_delay_alu instid0(VALU_DEP_2) | instskip(NEXT) | instid1(VALU_DEP_2)
	v_cmp_eq_u32_e32 vcc_lo, 0, v76
	v_cndmask_b32_e32 v76, v83, v90, vcc_lo
; %bb.16:
	s_or_b32 exec_lo, exec_lo, s3
	v_and_b32_e32 v83, 0x7f800000, v85
	s_delay_alu instid0(VALU_DEP_1) | instskip(SKIP_1) | instid1(SALU_CYCLE_1)
	v_cmp_ne_u32_e32 vcc_lo, 0x7f800000, v83
                                        ; implicit-def: $vgpr83
	s_and_saveexec_b32 s3, vcc_lo
	s_xor_b32 s3, exec_lo, s3
; %bb.17:
	v_bfe_u32 v83, v85, 16, 1
	s_delay_alu instid0(VALU_DEP_1)
	v_add3_u32 v83, v85, v83, 0x7fff
                                        ; implicit-def: $vgpr85
; %bb.18:
	s_and_not1_saveexec_b32 s3, s3
; %bb.19:
	v_and_b32_e32 v83, 0xffff, v85
	v_or_b32_e32 v90, 0x10000, v85
	s_delay_alu instid0(VALU_DEP_2) | instskip(NEXT) | instid1(VALU_DEP_2)
	v_cmp_eq_u32_e32 vcc_lo, 0, v83
	v_cndmask_b32_e32 v83, v90, v85, vcc_lo
; %bb.20:
	s_or_b32 exec_lo, exec_lo, s3
	v_and_b32_e32 v85, 0x7f800000, v86
	s_delay_alu instid0(VALU_DEP_1) | instskip(SKIP_1) | instid1(SALU_CYCLE_1)
	v_cmp_ne_u32_e32 vcc_lo, 0x7f800000, v85
                                        ; implicit-def: $vgpr85
	s_and_saveexec_b32 s3, vcc_lo
	s_xor_b32 s3, exec_lo, s3
; %bb.21:
	v_bfe_u32 v85, v86, 16, 1
	s_delay_alu instid0(VALU_DEP_1)
	v_add3_u32 v85, v86, v85, 0x7fff
                                        ; implicit-def: $vgpr86
; %bb.22:
	s_and_not1_saveexec_b32 s3, s3
; %bb.23:
	v_and_b32_e32 v85, 0xffff, v86
	v_or_b32_e32 v90, 0x10000, v86
	s_delay_alu instid0(VALU_DEP_2) | instskip(NEXT) | instid1(VALU_DEP_2)
	v_cmp_eq_u32_e32 vcc_lo, 0, v85
	v_cndmask_b32_e32 v85, v90, v86, vcc_lo
; %bb.24:
	s_or_b32 exec_lo, exec_lo, s3
	v_and_b32_e32 v86, 0x7f800000, v89
	s_delay_alu instid0(VALU_DEP_1) | instskip(SKIP_1) | instid1(SALU_CYCLE_1)
	v_cmp_ne_u32_e32 vcc_lo, 0x7f800000, v86
                                        ; implicit-def: $vgpr86
	s_and_saveexec_b32 s3, vcc_lo
	s_xor_b32 s3, exec_lo, s3
; %bb.25:
	v_bfe_u32 v86, v89, 16, 1
	s_delay_alu instid0(VALU_DEP_1)
	v_add3_u32 v86, v89, v86, 0x7fff
                                        ; implicit-def: $vgpr89
; %bb.26:
	s_and_not1_saveexec_b32 s3, s3
; %bb.27:
	v_and_b32_e32 v86, 0xffff, v89
	v_or_b32_e32 v90, 0x10000, v89
	s_delay_alu instid0(VALU_DEP_2) | instskip(NEXT) | instid1(VALU_DEP_2)
	v_cmp_eq_u32_e32 vcc_lo, 0, v86
	v_cndmask_b32_e32 v86, v90, v89, vcc_lo
; %bb.28:
	s_or_b32 exec_lo, exec_lo, s3
	v_and_b32_e32 v89, 0x7f800000, v88
	s_delay_alu instid0(VALU_DEP_1) | instskip(SKIP_1) | instid1(SALU_CYCLE_1)
	v_cmp_ne_u32_e32 vcc_lo, 0x7f800000, v89
                                        ; implicit-def: $vgpr89
	s_and_saveexec_b32 s3, vcc_lo
	s_xor_b32 s3, exec_lo, s3
; %bb.29:
	v_bfe_u32 v89, v88, 16, 1
	s_delay_alu instid0(VALU_DEP_1)
	v_add3_u32 v89, v88, v89, 0x7fff
                                        ; implicit-def: $vgpr88
; %bb.30:
	s_and_not1_saveexec_b32 s3, s3
; %bb.31:
	v_and_b32_e32 v89, 0xffff, v88
	v_or_b32_e32 v90, 0x10000, v88
	s_delay_alu instid0(VALU_DEP_2) | instskip(NEXT) | instid1(VALU_DEP_2)
	v_cmp_eq_u32_e32 vcc_lo, 0, v89
	v_cndmask_b32_e32 v89, v90, v88, vcc_lo
; %bb.32:
	s_or_b32 exec_lo, exec_lo, s3
	v_and_b32_e32 v88, 0x7f800000, v87
	s_delay_alu instid0(VALU_DEP_1) | instskip(SKIP_1) | instid1(SALU_CYCLE_1)
	v_cmp_ne_u32_e32 vcc_lo, 0x7f800000, v88
                                        ; implicit-def: $vgpr88
	s_and_saveexec_b32 s3, vcc_lo
	s_xor_b32 s3, exec_lo, s3
; %bb.33:
	v_bfe_u32 v88, v87, 16, 1
	s_delay_alu instid0(VALU_DEP_1)
	v_add3_u32 v88, v87, v88, 0x7fff
                                        ; implicit-def: $vgpr87
; %bb.34:
	s_and_not1_saveexec_b32 s3, s3
; %bb.35:
	v_and_b32_e32 v88, 0xffff, v87
	v_or_b32_e32 v90, 0x10000, v87
	s_delay_alu instid0(VALU_DEP_2) | instskip(NEXT) | instid1(VALU_DEP_2)
	v_cmp_eq_u32_e32 vcc_lo, 0, v88
	v_cndmask_b32_e32 v88, v90, v87, vcc_lo
; %bb.36:
	s_or_b32 exec_lo, exec_lo, s3
	v_and_b32_e32 v87, 0x7f800000, v84
	s_delay_alu instid0(VALU_DEP_1) | instskip(SKIP_1) | instid1(SALU_CYCLE_1)
	v_cmp_ne_u32_e32 vcc_lo, 0x7f800000, v87
                                        ; implicit-def: $vgpr87
	s_and_saveexec_b32 s3, vcc_lo
	s_xor_b32 s3, exec_lo, s3
; %bb.37:
	v_bfe_u32 v87, v84, 16, 1
	s_delay_alu instid0(VALU_DEP_1)
	v_add3_u32 v87, v84, v87, 0x7fff
                                        ; implicit-def: $vgpr84
; %bb.38:
	s_and_not1_saveexec_b32 s3, s3
; %bb.39:
	v_and_b32_e32 v87, 0xffff, v84
	v_or_b32_e32 v90, 0x10000, v84
	s_delay_alu instid0(VALU_DEP_2) | instskip(NEXT) | instid1(VALU_DEP_2)
	v_cmp_eq_u32_e32 vcc_lo, 0, v87
	v_cndmask_b32_e32 v87, v90, v84, vcc_lo
; %bb.40:
	s_or_b32 exec_lo, exec_lo, s3
	v_and_b32_e32 v84, 0x7f800000, v80
	s_delay_alu instid0(VALU_DEP_1) | instskip(SKIP_1) | instid1(SALU_CYCLE_1)
	v_cmp_ne_u32_e32 vcc_lo, 0x7f800000, v84
                                        ; implicit-def: $vgpr84
	s_and_saveexec_b32 s3, vcc_lo
	s_xor_b32 s3, exec_lo, s3
; %bb.41:
	v_bfe_u32 v84, v80, 16, 1
	s_delay_alu instid0(VALU_DEP_1)
	v_add3_u32 v84, v80, v84, 0x7fff
                                        ; implicit-def: $vgpr80
; %bb.42:
	s_and_not1_saveexec_b32 s3, s3
; %bb.43:
	v_and_b32_e32 v84, 0xffff, v80
	v_or_b32_e32 v90, 0x10000, v80
	s_delay_alu instid0(VALU_DEP_2) | instskip(NEXT) | instid1(VALU_DEP_2)
	v_cmp_eq_u32_e32 vcc_lo, 0, v84
	v_cndmask_b32_e32 v84, v90, v80, vcc_lo
; %bb.44:
	s_or_b32 exec_lo, exec_lo, s3
	s_load_b64 s[34:35], s[0:1], 0x94
	v_lshlrev_b32_e32 v91, 4, v74
	s_delay_alu instid0(VALU_DEP_2)
	v_perm_b32 v90, v84, v87, 0x7060302
	v_dual_mul_f32 v79, v82, v79 :: v_dual_lshlrev_b32 v80, 6, v65
	v_dual_mul_f32 v77, v82, v77 :: v_dual_lshlrev_b32 v92, 11, v66
	v_mul_f32_e32 v84, v82, v70
	v_perm_b32 v89, v88, v89, 0x7060302
	v_perm_b32 v88, v86, v85, 0x7060302
	;; [unrolled: 1-line block ×3, first 2 shown]
	v_mul_f32_e32 v70, v82, v81
	v_or3_b32 v76, v91, v92, v80
	v_dual_mul_f32 v78, v82, v78 :: v_dual_and_b32 v85, 0x7f800000, v84
	v_mul_f32_e32 v83, v82, v72
	v_mul_f32_e32 v81, v82, v71
	;; [unrolled: 1-line block ×3, first 2 shown]
	s_mov_b32 s3, exec_lo
	ds_store_b128 v76, v[87:90]
                                        ; implicit-def: $vgpr69
	v_cmpx_ne_u32_e32 0x7f800000, v85
	s_xor_b32 s3, exec_lo, s3
; %bb.45:
	v_bfe_u32 v69, v84, 16, 1
	s_delay_alu instid0(VALU_DEP_1)
	v_add3_u32 v69, v84, v69, 0x7fff
                                        ; implicit-def: $vgpr84
; %bb.46:
	s_and_not1_saveexec_b32 s3, s3
; %bb.47:
	v_and_b32_e32 v69, 0xffff, v84
	v_or_b32_e32 v71, 0x10000, v84
	s_delay_alu instid0(VALU_DEP_2) | instskip(NEXT) | instid1(VALU_DEP_2)
	v_cmp_eq_u32_e32 vcc_lo, 0, v69
	v_cndmask_b32_e32 v69, v71, v84, vcc_lo
; %bb.48:
	s_or_b32 exec_lo, exec_lo, s3
	v_and_b32_e32 v71, 0x7f800000, v72
	s_delay_alu instid0(VALU_DEP_1) | instskip(SKIP_1) | instid1(SALU_CYCLE_1)
	v_cmp_ne_u32_e32 vcc_lo, 0x7f800000, v71
                                        ; implicit-def: $vgpr71
	s_and_saveexec_b32 s3, vcc_lo
	s_xor_b32 s3, exec_lo, s3
; %bb.49:
	v_bfe_u32 v71, v72, 16, 1
	s_delay_alu instid0(VALU_DEP_1)
	v_add3_u32 v71, v72, v71, 0x7fff
                                        ; implicit-def: $vgpr72
; %bb.50:
	s_and_not1_saveexec_b32 s3, s3
; %bb.51:
	v_and_b32_e32 v71, 0xffff, v72
	v_or_b32_e32 v82, 0x10000, v72
	s_delay_alu instid0(VALU_DEP_2) | instskip(NEXT) | instid1(VALU_DEP_2)
	v_cmp_eq_u32_e32 vcc_lo, 0, v71
	v_cndmask_b32_e32 v71, v82, v72, vcc_lo
; %bb.52:
	s_or_b32 exec_lo, exec_lo, s3
	v_and_b32_e32 v72, 0x7f800000, v81
	s_delay_alu instid0(VALU_DEP_1) | instskip(SKIP_1) | instid1(SALU_CYCLE_1)
	v_cmp_ne_u32_e32 vcc_lo, 0x7f800000, v72
                                        ; implicit-def: $vgpr72
	s_and_saveexec_b32 s3, vcc_lo
	s_xor_b32 s3, exec_lo, s3
; %bb.53:
	v_bfe_u32 v72, v81, 16, 1
	s_delay_alu instid0(VALU_DEP_1)
	v_add3_u32 v72, v81, v72, 0x7fff
                                        ; implicit-def: $vgpr81
; %bb.54:
	s_and_not1_saveexec_b32 s3, s3
; %bb.55:
	v_and_b32_e32 v72, 0xffff, v81
	v_or_b32_e32 v82, 0x10000, v81
	s_delay_alu instid0(VALU_DEP_2) | instskip(NEXT) | instid1(VALU_DEP_2)
	v_cmp_eq_u32_e32 vcc_lo, 0, v72
	v_cndmask_b32_e32 v72, v82, v81, vcc_lo
; %bb.56:
	s_or_b32 exec_lo, exec_lo, s3
	v_and_b32_e32 v81, 0x7f800000, v83
	s_delay_alu instid0(VALU_DEP_1) | instskip(SKIP_1) | instid1(SALU_CYCLE_1)
	v_cmp_ne_u32_e32 vcc_lo, 0x7f800000, v81
                                        ; implicit-def: $vgpr81
	s_and_saveexec_b32 s3, vcc_lo
	s_xor_b32 s3, exec_lo, s3
; %bb.57:
	v_bfe_u32 v81, v83, 16, 1
	s_delay_alu instid0(VALU_DEP_1)
	v_add3_u32 v81, v83, v81, 0x7fff
                                        ; implicit-def: $vgpr83
; %bb.58:
	s_and_not1_saveexec_b32 s3, s3
; %bb.59:
	v_and_b32_e32 v81, 0xffff, v83
	v_or_b32_e32 v82, 0x10000, v83
	s_delay_alu instid0(VALU_DEP_2) | instskip(NEXT) | instid1(VALU_DEP_2)
	v_cmp_eq_u32_e32 vcc_lo, 0, v81
	v_cndmask_b32_e32 v81, v82, v83, vcc_lo
; %bb.60:
	s_or_b32 exec_lo, exec_lo, s3
	v_and_b32_e32 v82, 0x7f800000, v77
	s_delay_alu instid0(VALU_DEP_1) | instskip(SKIP_1) | instid1(SALU_CYCLE_1)
	v_cmp_ne_u32_e32 vcc_lo, 0x7f800000, v82
                                        ; implicit-def: $vgpr82
	s_and_saveexec_b32 s3, vcc_lo
	s_xor_b32 s3, exec_lo, s3
; %bb.61:
	v_bfe_u32 v82, v77, 16, 1
	s_delay_alu instid0(VALU_DEP_1)
	v_add3_u32 v82, v77, v82, 0x7fff
                                        ; implicit-def: $vgpr77
; %bb.62:
	s_and_not1_saveexec_b32 s3, s3
; %bb.63:
	v_and_b32_e32 v82, 0xffff, v77
	v_or_b32_e32 v83, 0x10000, v77
	s_delay_alu instid0(VALU_DEP_2) | instskip(NEXT) | instid1(VALU_DEP_2)
	v_cmp_eq_u32_e32 vcc_lo, 0, v82
	v_cndmask_b32_e32 v82, v83, v77, vcc_lo
; %bb.64:
	s_or_b32 exec_lo, exec_lo, s3
	v_and_b32_e32 v77, 0x7f800000, v78
	s_delay_alu instid0(VALU_DEP_1) | instskip(SKIP_1) | instid1(SALU_CYCLE_1)
	v_cmp_ne_u32_e32 vcc_lo, 0x7f800000, v77
                                        ; implicit-def: $vgpr77
	s_and_saveexec_b32 s3, vcc_lo
	s_xor_b32 s3, exec_lo, s3
; %bb.65:
	v_bfe_u32 v77, v78, 16, 1
	s_delay_alu instid0(VALU_DEP_1)
	v_add3_u32 v77, v78, v77, 0x7fff
                                        ; implicit-def: $vgpr78
; %bb.66:
	s_and_not1_saveexec_b32 s3, s3
; %bb.67:
	v_and_b32_e32 v77, 0xffff, v78
	v_or_b32_e32 v83, 0x10000, v78
	s_delay_alu instid0(VALU_DEP_2) | instskip(NEXT) | instid1(VALU_DEP_2)
	v_cmp_eq_u32_e32 vcc_lo, 0, v77
	v_cndmask_b32_e32 v77, v83, v78, vcc_lo
; %bb.68:
	s_or_b32 exec_lo, exec_lo, s3
	v_and_b32_e32 v78, 0x7f800000, v79
	s_delay_alu instid0(VALU_DEP_1) | instskip(SKIP_1) | instid1(SALU_CYCLE_1)
	v_cmp_ne_u32_e32 vcc_lo, 0x7f800000, v78
                                        ; implicit-def: $vgpr78
	s_and_saveexec_b32 s3, vcc_lo
	s_xor_b32 s3, exec_lo, s3
; %bb.69:
	v_bfe_u32 v78, v79, 16, 1
	s_delay_alu instid0(VALU_DEP_1)
	v_add3_u32 v78, v79, v78, 0x7fff
                                        ; implicit-def: $vgpr79
; %bb.70:
	s_and_not1_saveexec_b32 s3, s3
; %bb.71:
	v_and_b32_e32 v78, 0xffff, v79
	v_or_b32_e32 v83, 0x10000, v79
	s_delay_alu instid0(VALU_DEP_2) | instskip(NEXT) | instid1(VALU_DEP_2)
	v_cmp_eq_u32_e32 vcc_lo, 0, v78
	v_cndmask_b32_e32 v78, v83, v79, vcc_lo
; %bb.72:
	s_or_b32 exec_lo, exec_lo, s3
	v_and_b32_e32 v79, 0x7f800000, v70
	s_delay_alu instid0(VALU_DEP_1) | instskip(SKIP_1) | instid1(SALU_CYCLE_1)
	v_cmp_ne_u32_e32 vcc_lo, 0x7f800000, v79
                                        ; implicit-def: $vgpr79
	s_and_saveexec_b32 s3, vcc_lo
	s_xor_b32 s3, exec_lo, s3
; %bb.73:
	v_bfe_u32 v79, v70, 16, 1
	s_delay_alu instid0(VALU_DEP_1)
	v_add3_u32 v79, v70, v79, 0x7fff
                                        ; implicit-def: $vgpr70
; %bb.74:
	s_and_not1_saveexec_b32 s3, s3
; %bb.75:
	v_and_b32_e32 v79, 0xffff, v70
	v_or_b32_e32 v83, 0x10000, v70
	s_delay_alu instid0(VALU_DEP_2) | instskip(NEXT) | instid1(VALU_DEP_2)
	v_cmp_eq_u32_e32 vcc_lo, 0, v79
	v_cndmask_b32_e32 v79, v83, v70, vcc_lo
; %bb.76:
	s_or_b32 exec_lo, exec_lo, s3
	s_delay_alu instid0(VALU_DEP_1)
	v_perm_b32 v86, v79, v78, 0x7060302
	v_perm_b32 v85, v77, v82, 0x7060302
	;; [unrolled: 1-line block ×4, first 2 shown]
	v_lshl_or_b32 v82, v66, 11, v80
	ds_store_b128 v76, v[83:86] offset:1024
	s_waitcnt lgkmcnt(0)
	s_barrier
	buffer_gl0_inv
	ds_load_b128 v[69:72], v82
	ds_load_b128 v[83:86], v82 offset:16
	s_waitcnt lgkmcnt(1)
	v_lshrrev_b32_e32 v66, 16, v69
	s_waitcnt lgkmcnt(0)
	v_lshrrev_b32_e32 v91, 16, v83
	v_lshlrev_b32_e32 v78, 2, v74
	v_lshrrev_b32_e32 v95, 16, v70
	v_lshrrev_b32_e32 v98, 16, v84
	;; [unrolled: 1-line block ×4, first 2 shown]
	v_cmp_eq_u32_e32 vcc_lo, 1, v78
	v_lshrrev_b32_e32 v97, 16, v72
	v_lshrrev_b32_e32 v100, 16, v86
	v_cndmask_b32_e32 v87, v83, v91, vcc_lo
	v_or_b32_e32 v79, 1, v78
	v_cndmask_b32_e32 v81, v69, v66, vcc_lo
	v_cmp_eq_u32_e64 s4, 2, v78
	v_cmp_eq_u32_e64 s7, 3, v78
	;; [unrolled: 1-line block ×5, first 2 shown]
	v_cndmask_b32_e64 v81, v81, v70, s4
	v_cndmask_b32_e64 v87, v87, v84, s4
	v_cmp_eq_u32_e64 s8, 3, v79
	v_cndmask_b32_e64 v88, v69, v66, s3
	v_or_b32_e32 v77, 2, v78
	v_cndmask_b32_e64 v81, v81, v95, s7
	v_cndmask_b32_e64 v87, v87, v98, s7
	;; [unrolled: 1-line block ×4, first 2 shown]
	v_cmp_eq_u32_e64 s10, 5, v78
	v_cndmask_b32_e64 v81, v81, v71, s9
	v_cndmask_b32_e64 v87, v87, v85, s9
	v_cmp_eq_u32_e64 s11, 4, v79
	v_cndmask_b32_e64 v88, v88, v95, s8
	v_cmp_eq_u32_e64 s5, 1, v77
	v_cndmask_b32_e64 v89, v89, v84, s6
	v_cndmask_b32_e64 v81, v81, v96, s10
	v_cmp_eq_u32_e64 s12, 6, v78
	v_cndmask_b32_e64 v88, v88, v71, s11
	;; [unrolled: 3-line block ×3, first 2 shown]
	v_cndmask_b32_e64 v89, v89, v98, s8
	v_cndmask_b32_e64 v81, v81, v72, s12
	v_cmp_eq_u32_e64 s15, 7, v78
	v_cndmask_b32_e64 v88, v88, v96, s13
	v_cndmask_b32_e64 v87, v87, v86, s12
	v_cmp_eq_u32_e64 s16, 6, v79
	v_cmp_eq_u32_e64 s17, 2, v77
	v_cndmask_b32_e64 v89, v89, v85, s11
	v_cndmask_b32_e64 v101, v81, v97, s15
	;; [unrolled: 1-line block ×6, first 2 shown]
	v_cmp_eq_u32_e64 s18, 7, v79
	v_cmp_eq_u32_e64 s19, 3, v77
	;; [unrolled: 1-line block ×4, first 2 shown]
	v_cndmask_b32_e64 v87, v87, v84, s17
	v_cndmask_b32_e64 v103, v88, v97, s18
	;; [unrolled: 1-line block ×4, first 2 shown]
	v_or_b32_e32 v81, 3, v78
	v_cndmask_b32_e64 v93, v87, v98, s19
	v_cmp_eq_u32_e64 s24, 6, v77
	v_cndmask_b32_e64 v104, v88, v86, s16
	v_cndmask_b32_e64 v92, v89, v71, s20
	v_cmp_eq_u32_e64 s21, 1, v81
	ds_load_b128 v[87:90], v82 offset:1024
	v_cmp_eq_u32_e64 s23, 2, v81
	v_cmp_eq_u32_e64 s25, 3, v81
	v_cndmask_b32_e64 v105, v92, v96, s22
	v_cndmask_b32_e64 v66, v69, v66, s21
	;; [unrolled: 1-line block ×4, first 2 shown]
	ds_load_b128 v[91:94], v82 offset:1040
	v_cmp_eq_u32_e64 s26, 4, v81
	v_cndmask_b32_e64 v66, v66, v70, s23
	v_cmp_eq_u32_e64 s27, 7, v77
	v_cndmask_b32_e64 v70, v83, v84, s23
	v_cndmask_b32_e64 v84, v105, v72, s24
	v_cmp_eq_u32_e64 s28, 5, v81
	v_cndmask_b32_e64 v66, v66, v95, s25
	v_cmp_eq_u32_e64 s29, 6, v81
	v_cndmask_b32_e64 v70, v70, v98, s25
	v_cndmask_b32_e64 v69, v69, v99, s22
	;; [unrolled: 1-line block ×4, first 2 shown]
	s_waitcnt lgkmcnt(1)
	v_lshrrev_b32_e32 v95, 16, v87
	v_cndmask_b32_e64 v70, v70, v85, s26
	v_cndmask_b32_e64 v71, v84, v97, s27
	;; [unrolled: 1-line block ×4, first 2 shown]
	v_cndmask_b32_e32 v84, v87, v95, vcc_lo
	v_cndmask_b32_e64 v70, v70, v99, s28
	s_waitcnt lgkmcnt(0)
	v_lshrrev_b32_e32 v85, 16, v91
	v_lshrrev_b32_e32 v96, 16, v88
	v_cndmask_b32_e64 v98, v87, v95, s3
	v_cndmask_b32_e64 v84, v84, v88, s4
	;; [unrolled: 1-line block ×3, first 2 shown]
	v_cndmask_b32_e32 v99, v91, v85, vcc_lo
	v_cmp_eq_u32_e32 vcc_lo, 7, v81
	v_cndmask_b32_e64 v66, v66, v72, s29
	v_cndmask_b32_e64 v72, v84, v96, s7
	;; [unrolled: 1-line block ×3, first 2 shown]
	v_lshrrev_b32_e32 v98, 16, v92
	v_cndmask_b32_e32 v70, v70, v100, vcc_lo
	v_cndmask_b32_e64 v86, v99, v92, s4
	v_cndmask_b32_e64 v69, v69, v100, s27
	v_lshrrev_b32_e32 v100, 16, v93
	v_cndmask_b32_e64 v72, v72, v89, s9
	v_lshrrev_b32_e32 v99, 16, v89
	v_cndmask_b32_e64 v86, v86, v98, s7
	v_perm_b32 v71, v69, v71, 0x5040100
	v_cndmask_b32_e64 v84, v84, v96, s8
	s_delay_alu instid0(VALU_DEP_3) | instskip(NEXT) | instid1(VALU_DEP_2)
	v_cndmask_b32_e64 v86, v86, v93, s9
	v_cndmask_b32_e64 v84, v84, v89, s11
	s_delay_alu instid0(VALU_DEP_2) | instskip(NEXT) | instid1(VALU_DEP_1)
	v_cndmask_b32_e64 v86, v86, v100, s10
	v_cndmask_b32_e64 v69, v86, v94, s12
	;; [unrolled: 1-line block ×5, first 2 shown]
	s_delay_alu instid0(VALU_DEP_3) | instskip(NEXT) | instid1(VALU_DEP_3)
	v_cndmask_b32_e64 v86, v86, v88, s17
	v_cndmask_b32_e64 v87, v87, v88, s23
	s_delay_alu instid0(VALU_DEP_3) | instskip(NEXT) | instid1(VALU_DEP_3)
	v_cndmask_b32_e64 v88, v95, v92, s23
	v_cndmask_b32_e64 v86, v86, v96, s19
	s_delay_alu instid0(VALU_DEP_3) | instskip(NEXT) | instid1(VALU_DEP_3)
	v_cndmask_b32_e64 v87, v87, v96, s25
	v_cndmask_b32_e64 v88, v88, v98, s25
	s_delay_alu instid0(VALU_DEP_3) | instskip(NEXT) | instid1(VALU_DEP_3)
	v_cndmask_b32_e64 v86, v86, v89, s20
	v_cndmask_b32_e64 v87, v87, v89, s26
	s_delay_alu instid0(VALU_DEP_3) | instskip(NEXT) | instid1(VALU_DEP_3)
	v_cndmask_b32_e64 v88, v88, v93, s26
	v_cndmask_b32_e64 v86, v86, v99, s22
	s_delay_alu instid0(VALU_DEP_3) | instskip(NEXT) | instid1(VALU_DEP_3)
	v_cndmask_b32_e64 v87, v87, v99, s28
	v_cndmask_b32_e64 v88, v88, v100, s28
	s_delay_alu instid0(VALU_DEP_3) | instskip(NEXT) | instid1(VALU_DEP_3)
	v_cndmask_b32_e64 v86, v86, v90, s24
	v_cndmask_b32_e64 v87, v87, v90, s29
	s_delay_alu instid0(VALU_DEP_3) | instskip(SKIP_2) | instid1(VALU_DEP_2)
	v_cndmask_b32_e64 v88, v88, v94, s29
	v_cndmask_b32_e32 v66, v66, v97, vcc_lo
	v_cndmask_b32_e64 v97, v72, v99, s10
	v_perm_b32 v72, v70, v66, 0x5040100
	v_perm_b32 v70, v83, v103, 0x5040100
	v_cndmask_b32_e64 v103, v91, v85, s5
	v_cndmask_b32_e64 v85, v91, v85, s3
	;; [unrolled: 1-line block ×4, first 2 shown]
	v_lshrrev_b32_e32 v97, 16, v90
	v_cndmask_b32_e64 v91, v103, v92, s17
	v_cndmask_b32_e64 v85, v85, v92, s6
	;; [unrolled: 1-line block ×3, first 2 shown]
	s_mov_b32 s3, exec_lo
	v_cndmask_b32_e64 v83, v84, v97, s15
	v_cndmask_b32_e64 v91, v91, v98, s19
	;; [unrolled: 1-line block ×3, first 2 shown]
	v_lshrrev_b32_e32 v84, 16, v94
	v_cndmask_b32_e64 v66, v66, v97, s18
	v_cndmask_b32_e64 v90, v86, v97, s27
	;; [unrolled: 1-line block ×4, first 2 shown]
	v_dual_cndmask_b32 v86, v87, v97 :: v_dual_cndmask_b32 v87, v88, v84
	v_cndmask_b32_e64 v91, v69, v84, s15
	s_delay_alu instid0(VALU_DEP_4) | instskip(NEXT) | instid1(VALU_DEP_4)
	v_cndmask_b32_e64 v89, v89, v100, s22
	v_cndmask_b32_e64 v85, v85, v100, s13
	v_perm_b32 v69, v102, v101, 0x5040100
	v_perm_b32 v86, v87, v86, 0x5040100
	;; [unrolled: 1-line block ×3, first 2 shown]
	v_cndmask_b32_e64 v89, v89, v94, s24
	v_cndmask_b32_e64 v85, v85, v94, s16
	s_mul_i32 s8, s35, 7
	s_delay_alu instid0(VALU_DEP_2) | instskip(NEXT) | instid1(VALU_DEP_2)
	v_cndmask_b32_e64 v88, v89, v84, s27
	v_cndmask_b32_e64 v89, v85, v84, s18
	s_delay_alu instid0(VALU_DEP_2) | instskip(NEXT) | instid1(VALU_DEP_2)
	v_perm_b32 v85, v88, v90, 0x5040100
	v_perm_b32 v84, v89, v66, 0x5040100
	ds_store_b128 v76, v[69:72]
	ds_store_b128 v76, v[83:86] offset:1024
	v_cmpx_gt_u32_e32 7, v0
	s_cbranch_execz .LBB1612_78
; %bb.77:
	s_mul_i32 s4, s8, s30
	s_delay_alu instid0(SALU_CYCLE_1) | instskip(SKIP_1) | instid1(VALU_DEP_1)
	v_add3_u32 v69, s4, s31, v65
	s_load_b128 s[4:7], s[0:1], 0x58
	v_mad_u64_u32 v[65:66], null, v69, s34, s[14:15]
	s_delay_alu instid0(VALU_DEP_1) | instskip(NEXT) | instid1(VALU_DEP_1)
	v_ashrrev_i32_e32 v66, 31, v65
	v_lshlrev_b64 v[65:66], 2, v[65:66]
	s_waitcnt lgkmcnt(0)
	s_delay_alu instid0(VALU_DEP_1) | instskip(NEXT) | instid1(VALU_DEP_2)
	v_add_co_u32 v69, vcc_lo, s6, v65
	v_add_co_ci_u32_e32 v70, vcc_lo, s7, v66, vcc_lo
	v_add_co_u32 v65, vcc_lo, s4, v65
	v_add_co_ci_u32_e32 v66, vcc_lo, s5, v66, vcc_lo
	global_store_b32 v[69:70], v67, off
	global_store_b32 v[65:66], v68, off
.LBB1612_78:
	s_or_b32 exec_lo, exec_lo, s3
	s_waitcnt lgkmcnt(0)
	s_waitcnt_vscnt null, 0x0
	s_barrier
	buffer_gl0_inv
	ds_load_b128 v[83:86], v80
	ds_load_b128 v[87:90], v80 offset:16
	ds_load_b128 v[95:98], v80 offset:2064
	;; [unrolled: 1-line block ×3, first 2 shown]
	v_mov_b32_e32 v65, 0
	ds_load_b128 v[103:106], v80 offset:4112
	ds_load_b128 v[99:102], v80 offset:4096
	;; [unrolled: 1-line block ×4, first 2 shown]
	v_mov_b32_e32 v66, v65
	v_mov_b32_e32 v67, v65
	;; [unrolled: 1-line block ×7, first 2 shown]
	s_waitcnt lgkmcnt(6)
	s_delay_alu instid0(VALU_DEP_1)
	v_wmma_f32_16x16x16_bf16 v[65:72], v[41:48], v[83:90], v[65:72]
	ds_load_b128 v[45:48], v80 offset:8208
	ds_load_b128 v[41:44], v80 offset:8192
	s_waitcnt lgkmcnt(6)
	v_wmma_f32_16x16x16_bf16 v[65:72], v[33:40], v[91:98], v[65:72]
	ds_load_b128 v[37:40], v80 offset:10256
	ds_load_b128 v[33:36], v80 offset:10240
	s_waitcnt lgkmcnt(6)
	;; [unrolled: 4-line block ×4, first 2 shown]
	v_wmma_f32_16x16x16_bf16 v[65:72], v[1:8], v[41:48], v[65:72]
	s_waitcnt lgkmcnt(4)
	s_delay_alu instid0(VALU_DEP_1) | instskip(SKIP_1) | instid1(VALU_DEP_1)
	v_wmma_f32_16x16x16_bf16 v[65:72], v[9:16], v[33:40], v[65:72]
	s_waitcnt lgkmcnt(2)
	v_wmma_f32_16x16x16_bf16 v[65:72], v[57:64], v[25:32], v[65:72]
	s_waitcnt lgkmcnt(0)
	s_delay_alu instid0(VALU_DEP_1) | instskip(NEXT) | instid1(VALU_DEP_1)
	v_wmma_f32_16x16x16_bf16 v[65:72], v[49:56], v[17:24], v[65:72]
	v_and_b32_e32 v1, 0x7f800000, v65
	s_delay_alu instid0(VALU_DEP_1) | instskip(SKIP_1) | instid1(SALU_CYCLE_1)
	v_cmp_ne_u32_e32 vcc_lo, 0x7f800000, v1
                                        ; implicit-def: $vgpr1
	s_and_saveexec_b32 s3, vcc_lo
	s_xor_b32 s3, exec_lo, s3
; %bb.79:
	v_bfe_u32 v1, v65, 16, 1
	s_delay_alu instid0(VALU_DEP_1)
	v_add3_u32 v1, v65, v1, 0x7fff
; %bb.80:
	s_and_not1_saveexec_b32 s3, s3
; %bb.81:
	v_and_b32_e32 v1, 0xffff, v65
	v_or_b32_e32 v2, 0x10000, v65
	s_delay_alu instid0(VALU_DEP_2) | instskip(NEXT) | instid1(VALU_DEP_2)
	v_cmp_eq_u32_e32 vcc_lo, 0, v1
	v_cndmask_b32_e32 v1, v2, v65, vcc_lo
; %bb.82:
	s_or_b32 exec_lo, exec_lo, s3
	v_and_b32_e32 v2, 0x7f800000, v66
	s_delay_alu instid0(VALU_DEP_1) | instskip(SKIP_1) | instid1(SALU_CYCLE_1)
	v_cmp_ne_u32_e32 vcc_lo, 0x7f800000, v2
                                        ; implicit-def: $vgpr2
	s_and_saveexec_b32 s3, vcc_lo
	s_xor_b32 s3, exec_lo, s3
; %bb.83:
	v_bfe_u32 v2, v66, 16, 1
	s_delay_alu instid0(VALU_DEP_1)
	v_add3_u32 v2, v66, v2, 0x7fff
; %bb.84:
	s_and_not1_saveexec_b32 s3, s3
; %bb.85:
	v_and_b32_e32 v2, 0xffff, v66
	v_or_b32_e32 v3, 0x10000, v66
	s_delay_alu instid0(VALU_DEP_2) | instskip(NEXT) | instid1(VALU_DEP_2)
	v_cmp_eq_u32_e32 vcc_lo, 0, v2
	v_cndmask_b32_e32 v2, v3, v66, vcc_lo
; %bb.86:
	s_or_b32 exec_lo, exec_lo, s3
	v_and_b32_e32 v3, 0x7f800000, v67
	s_delay_alu instid0(VALU_DEP_1) | instskip(SKIP_1) | instid1(SALU_CYCLE_1)
	v_cmp_ne_u32_e32 vcc_lo, 0x7f800000, v3
                                        ; implicit-def: $vgpr3
	s_and_saveexec_b32 s3, vcc_lo
	s_xor_b32 s3, exec_lo, s3
; %bb.87:
	v_bfe_u32 v3, v67, 16, 1
	s_delay_alu instid0(VALU_DEP_1)
	v_add3_u32 v3, v67, v3, 0x7fff
; %bb.88:
	s_and_not1_saveexec_b32 s3, s3
; %bb.89:
	v_and_b32_e32 v3, 0xffff, v67
	v_or_b32_e32 v4, 0x10000, v67
	s_delay_alu instid0(VALU_DEP_2) | instskip(NEXT) | instid1(VALU_DEP_2)
	v_cmp_eq_u32_e32 vcc_lo, 0, v3
	v_cndmask_b32_e32 v3, v4, v67, vcc_lo
; %bb.90:
	s_or_b32 exec_lo, exec_lo, s3
	v_and_b32_e32 v4, 0x7f800000, v68
	s_delay_alu instid0(VALU_DEP_1) | instskip(SKIP_1) | instid1(SALU_CYCLE_1)
	v_cmp_ne_u32_e32 vcc_lo, 0x7f800000, v4
                                        ; implicit-def: $vgpr4
	s_and_saveexec_b32 s3, vcc_lo
	s_xor_b32 s3, exec_lo, s3
; %bb.91:
	v_bfe_u32 v4, v68, 16, 1
	s_delay_alu instid0(VALU_DEP_1)
	v_add3_u32 v4, v68, v4, 0x7fff
; %bb.92:
	s_and_not1_saveexec_b32 s3, s3
; %bb.93:
	v_and_b32_e32 v4, 0xffff, v68
	v_or_b32_e32 v5, 0x10000, v68
	s_delay_alu instid0(VALU_DEP_2) | instskip(NEXT) | instid1(VALU_DEP_2)
	v_cmp_eq_u32_e32 vcc_lo, 0, v4
	v_cndmask_b32_e32 v4, v5, v68, vcc_lo
; %bb.94:
	s_or_b32 exec_lo, exec_lo, s3
	v_and_b32_e32 v5, 0x7f800000, v69
	s_delay_alu instid0(VALU_DEP_1) | instskip(SKIP_1) | instid1(SALU_CYCLE_1)
	v_cmp_ne_u32_e32 vcc_lo, 0x7f800000, v5
                                        ; implicit-def: $vgpr5
	s_and_saveexec_b32 s3, vcc_lo
	s_xor_b32 s3, exec_lo, s3
; %bb.95:
	v_bfe_u32 v5, v69, 16, 1
	s_delay_alu instid0(VALU_DEP_1)
	v_add3_u32 v5, v69, v5, 0x7fff
; %bb.96:
	s_and_not1_saveexec_b32 s3, s3
; %bb.97:
	v_and_b32_e32 v5, 0xffff, v69
	v_or_b32_e32 v6, 0x10000, v69
	s_delay_alu instid0(VALU_DEP_2) | instskip(NEXT) | instid1(VALU_DEP_2)
	v_cmp_eq_u32_e32 vcc_lo, 0, v5
	v_cndmask_b32_e32 v5, v6, v69, vcc_lo
; %bb.98:
	s_or_b32 exec_lo, exec_lo, s3
	v_and_b32_e32 v6, 0x7f800000, v70
	s_delay_alu instid0(VALU_DEP_1) | instskip(SKIP_1) | instid1(SALU_CYCLE_1)
	v_cmp_ne_u32_e32 vcc_lo, 0x7f800000, v6
                                        ; implicit-def: $vgpr6
	s_and_saveexec_b32 s3, vcc_lo
	s_xor_b32 s3, exec_lo, s3
; %bb.99:
	v_bfe_u32 v6, v70, 16, 1
	s_delay_alu instid0(VALU_DEP_1)
	v_add3_u32 v6, v70, v6, 0x7fff
; %bb.100:
	s_and_not1_saveexec_b32 s3, s3
; %bb.101:
	v_and_b32_e32 v6, 0xffff, v70
	v_or_b32_e32 v7, 0x10000, v70
	s_delay_alu instid0(VALU_DEP_2) | instskip(NEXT) | instid1(VALU_DEP_2)
	v_cmp_eq_u32_e32 vcc_lo, 0, v6
	v_cndmask_b32_e32 v6, v7, v70, vcc_lo
; %bb.102:
	s_or_b32 exec_lo, exec_lo, s3
	v_and_b32_e32 v7, 0x7f800000, v71
	s_delay_alu instid0(VALU_DEP_1) | instskip(SKIP_1) | instid1(SALU_CYCLE_1)
	v_cmp_ne_u32_e32 vcc_lo, 0x7f800000, v7
                                        ; implicit-def: $vgpr7
	s_and_saveexec_b32 s3, vcc_lo
	s_xor_b32 s3, exec_lo, s3
; %bb.103:
	v_bfe_u32 v7, v71, 16, 1
	s_delay_alu instid0(VALU_DEP_1)
	v_add3_u32 v7, v71, v7, 0x7fff
; %bb.104:
	s_and_not1_saveexec_b32 s3, s3
; %bb.105:
	v_and_b32_e32 v7, 0xffff, v71
	v_or_b32_e32 v8, 0x10000, v71
	s_delay_alu instid0(VALU_DEP_2) | instskip(NEXT) | instid1(VALU_DEP_2)
	v_cmp_eq_u32_e32 vcc_lo, 0, v7
	v_cndmask_b32_e32 v7, v8, v71, vcc_lo
; %bb.106:
	s_or_b32 exec_lo, exec_lo, s3
	v_and_b32_e32 v8, 0x7f800000, v72
	s_delay_alu instid0(VALU_DEP_1) | instskip(SKIP_1) | instid1(SALU_CYCLE_1)
	v_cmp_ne_u32_e32 vcc_lo, 0x7f800000, v8
                                        ; implicit-def: $vgpr8
	s_and_saveexec_b32 s3, vcc_lo
	s_xor_b32 s3, exec_lo, s3
; %bb.107:
	v_bfe_u32 v8, v72, 16, 1
	s_delay_alu instid0(VALU_DEP_1)
	v_add3_u32 v8, v72, v8, 0x7fff
                                        ; implicit-def: $vgpr65_vgpr66_vgpr67_vgpr68_vgpr69_vgpr70_vgpr71_vgpr72
; %bb.108:
	s_and_not1_saveexec_b32 s3, s3
; %bb.109:
	v_and_b32_e32 v8, 0xffff, v72
	v_or_b32_e32 v9, 0x10000, v72
	s_delay_alu instid0(VALU_DEP_2) | instskip(NEXT) | instid1(VALU_DEP_2)
	v_cmp_eq_u32_e32 vcc_lo, 0, v8
	v_cndmask_b32_e32 v8, v9, v72, vcc_lo
; %bb.110:
	s_or_b32 exec_lo, exec_lo, s3
	s_delay_alu instid0(VALU_DEP_1)
	v_perm_b32 v7, v8, v7, 0x7060302
	v_perm_b32 v6, v6, v5, 0x7060302
	;; [unrolled: 1-line block ×4, first 2 shown]
	s_barrier
	buffer_gl0_inv
	v_cmp_eq_u32_e32 vcc_lo, 1, v78
	ds_store_b128 v76, v[4:7]
	s_waitcnt lgkmcnt(0)
	s_barrier
	buffer_gl0_inv
	ds_load_b128 v[1:4], v82
	ds_load_b128 v[5:8], v82 offset:16
	v_cmp_eq_u32_e64 s3, 1, v79
	v_cmp_eq_u32_e64 s4, 2, v78
	;; [unrolled: 1-line block ×5, first 2 shown]
	s_waitcnt lgkmcnt(1)
	v_lshrrev_b32_e32 v9, 16, v1
	s_waitcnt lgkmcnt(0)
	v_lshrrev_b32_e32 v13, 16, v5
	v_lshrrev_b32_e32 v10, 16, v2
	;; [unrolled: 1-line block ×4, first 2 shown]
	v_cndmask_b32_e64 v19, v1, v9, s3
	v_cndmask_b32_e32 v18, v5, v13, vcc_lo
	v_cndmask_b32_e64 v20, v5, v13, s3
	v_cndmask_b32_e32 v17, v1, v9, vcc_lo
	v_cmp_eq_u32_e32 vcc_lo, 2, v79
	v_lshrrev_b32_e32 v15, 16, v7
	v_cmp_eq_u32_e64 s3, 1, v77
	v_lshrrev_b32_e32 v12, 16, v4
	v_lshrrev_b32_e32 v16, 16, v8
	v_cndmask_b32_e32 v20, v20, v6, vcc_lo
	v_cndmask_b32_e64 v17, v17, v2, s4
	v_cndmask_b32_e32 v19, v19, v2, vcc_lo
	v_cndmask_b32_e64 v18, v18, v6, s4
	v_cmp_eq_u32_e32 vcc_lo, 4, v78
	v_cmp_eq_u32_e64 s4, 3, v79
	v_cndmask_b32_e64 v17, v17, v10, s5
	v_cndmask_b32_e64 v21, v1, v9, s3
	;; [unrolled: 1-line block ×5, first 2 shown]
	v_cndmask_b32_e32 v17, v17, v3, vcc_lo
	v_cndmask_b32_e64 v20, v20, v14, s4
	v_cndmask_b32_e32 v18, v18, v7, vcc_lo
	v_cmp_eq_u32_e32 vcc_lo, 4, v79
	v_cmp_eq_u32_e64 s4, 5, v79
	v_cmp_eq_u32_e64 s3, 2, v81
	v_cndmask_b32_e64 v21, v21, v2, s7
	v_cmp_eq_u32_e64 s5, 5, v78
	v_cndmask_b32_e32 v19, v19, v3, vcc_lo
	v_cndmask_b32_e32 v20, v20, v7, vcc_lo
	v_cmp_eq_u32_e32 vcc_lo, 6, v79
	s_delay_alu instid0(VALU_DEP_4) | instskip(NEXT) | instid1(VALU_DEP_4)
	v_cndmask_b32_e64 v17, v17, v11, s5
	v_cndmask_b32_e64 v19, v19, v11, s4
	s_delay_alu instid0(VALU_DEP_4) | instskip(SKIP_1) | instid1(VALU_DEP_3)
	v_cndmask_b32_e64 v20, v20, v15, s4
	v_cmp_eq_u32_e64 s4, 1, v81
	v_cndmask_b32_e32 v19, v19, v4, vcc_lo
	v_cndmask_b32_e64 v18, v18, v15, s5
	s_delay_alu instid0(VALU_DEP_3)
	v_cndmask_b32_e64 v1, v1, v9, s4
	v_cndmask_b32_e64 v5, v5, v13, s4
	v_cmp_eq_u32_e64 s4, 3, v77
	v_cndmask_b32_e64 v13, v22, v6, s7
	v_cmp_eq_u32_e64 s7, 3, v81
	v_cndmask_b32_e64 v1, v1, v2, s3
	v_cndmask_b32_e64 v2, v5, v6, s3
	;; [unrolled: 1-line block ×3, first 2 shown]
	v_cmp_eq_u32_e64 s3, 4, v77
	v_cndmask_b32_e64 v6, v13, v14, s4
	v_cndmask_b32_e64 v1, v1, v10, s7
	v_cmp_eq_u32_e64 s4, 4, v81
	v_cndmask_b32_e64 v2, v2, v14, s7
	v_cndmask_b32_e64 v5, v9, v3, s3
	;; [unrolled: 3-line block ×3, first 2 shown]
	v_cndmask_b32_e64 v2, v2, v7, s4
	v_cmp_eq_u32_e64 s3, 5, v81
	v_cmp_eq_u32_e64 s5, 6, v78
	v_cndmask_b32_e64 v5, v5, v11, s7
	v_cmp_eq_u32_e64 s4, 6, v77
	v_cndmask_b32_e64 v3, v6, v15, s7
	v_cndmask_b32_e64 v1, v1, v11, s3
	v_cmp_eq_u32_e64 s7, 6, v81
	v_cndmask_b32_e64 v2, v2, v15, s3
	v_cndmask_b32_e64 v17, v17, v4, s5
	v_cndmask_b32_e64 v18, v18, v8, s5
	v_cmp_eq_u32_e64 s5, 7, v78
	v_cndmask_b32_e64 v5, v5, v4, s4
	;; [unrolled: 4-line block ×3, first 2 shown]
	v_cmp_eq_u32_e64 s4, 7, v77
	v_cndmask_b32_e32 v4, v20, v8, vcc_lo
	v_cndmask_b32_e64 v17, v17, v12, s5
	v_cndmask_b32_e64 v19, v19, v12, s6
	;; [unrolled: 1-line block ×8, first 2 shown]
	s_mov_b32 s3, exec_lo
	v_perm_b32 v4, v2, v1, 0x5040100
	v_perm_b32 v3, v3, v5, 0x5040100
	v_perm_b32 v2, v6, v19, 0x5040100
	v_perm_b32 v1, v7, v17, 0x5040100
	ds_store_b128 v76, v[1:4]
	s_waitcnt lgkmcnt(0)
	s_barrier
	buffer_gl0_inv
	v_cmpx_gt_u32_e32 32, v0
	s_cbranch_execz .LBB1612_2
; %bb.111:
	s_load_b64 s[4:5], s[0:1], 0x68
	v_lshlrev_b32_e32 v0, 10, v0
	v_add_nc_u32_e32 v2, s31, v74
	v_lshlrev_b32_e32 v3, 4, v75
	s_lshl_b32 s0, s34, 7
	s_delay_alu instid0(SALU_CYCLE_1) | instskip(NEXT) | instid1(VALU_DEP_2)
	s_mul_i32 s1, s0, s30
	v_mul_lo_u32 v1, v2, s0
	s_delay_alu instid0(VALU_DEP_2)
	v_and_or_b32 v0, 0x3800, v0, v3
	v_add_nc_u32_e32 v3, 2, v2
	s_mul_i32 s6, s1, s8
	v_add_nc_u32_e32 v4, 4, v2
	s_ashr_i32 s7, s6, 31
	v_lshl_or_b32 v11, v74, 6, v0
	s_lshl_b64 s[6:7], s[6:7], 1
	v_mul_lo_u32 v15, v3, s0
	v_mul_lo_u32 v17, v4, s0
	v_ashrrev_i32_e32 v2, 31, v1
	ds_load_b128 v[3:6], v11
	ds_load_b128 v[7:10], v11 offset:128
	ds_load_b128 v[11:14], v11 offset:256
	s_waitcnt lgkmcnt(0)
	s_add_u32 s1, s4, s6
	s_addc_u32 s3, s5, s7
	s_lshl_b32 s4, s14, 7
	v_ashrrev_i32_e32 v16, 31, v15
	s_ashr_i32 s5, s4, 31
	v_lshlrev_b64 v[19:20], 1, v[1:2]
	s_lshl_b64 s[4:5], s[4:5], 1
	v_ashrrev_i32_e32 v18, 31, v17
	s_add_u32 s1, s1, s4
	s_addc_u32 s3, s3, s5
	v_add_co_u32 v1, s1, s1, v73
	s_delay_alu instid0(VALU_DEP_1) | instskip(SKIP_1) | instid1(VALU_DEP_3)
	v_add_co_ci_u32_e64 v2, null, s3, 0, s1
	v_lshlrev_b64 v[15:16], 1, v[15:16]
	v_add_co_u32 v19, vcc_lo, v1, v19
	v_lshlrev_b64 v[17:18], 1, v[17:18]
	s_delay_alu instid0(VALU_DEP_4) | instskip(NEXT) | instid1(VALU_DEP_4)
	v_add_co_ci_u32_e32 v20, vcc_lo, v2, v20, vcc_lo
	v_add_co_u32 v15, vcc_lo, v1, v15
	v_add_co_ci_u32_e32 v16, vcc_lo, v2, v16, vcc_lo
	s_delay_alu instid0(VALU_DEP_4)
	v_add_co_u32 v17, vcc_lo, v1, v17
	v_add_co_ci_u32_e32 v18, vcc_lo, v2, v18, vcc_lo
	s_clause 0x2
	global_store_b128 v[19:20], v[3:6], off
	global_store_b128 v[15:16], v[7:10], off
	;; [unrolled: 1-line block ×3, first 2 shown]
	s_and_b32 exec_lo, exec_lo, s2
	s_cbranch_execz .LBB1612_2
; %bb.112:
	ds_load_b128 v[3:6], v0 offset:384
	s_add_i32 s1, s31, 6
	s_delay_alu instid0(SALU_CYCLE_1) | instskip(NEXT) | instid1(SALU_CYCLE_1)
	s_mul_i32 s0, s1, s0
	s_ashr_i32 s1, s0, 31
	s_delay_alu instid0(SALU_CYCLE_1) | instskip(NEXT) | instid1(SALU_CYCLE_1)
	s_lshl_b64 s[0:1], s[0:1], 1
	v_add_co_u32 v0, vcc_lo, v1, s0
	v_add_co_ci_u32_e32 v1, vcc_lo, s1, v2, vcc_lo
	s_waitcnt lgkmcnt(0)
	global_store_b128 v[0:1], v[3:6], off
	s_nop 0
	s_sendmsg sendmsg(MSG_DEALLOC_VGPRS)
	s_endpgm
	.section	.rodata,"a",@progbits
	.p2align	6, 0x0
	.amdhsa_kernel _Z39paged_attention_ll4mi_QKV_mfma16_kernelI14__hip_bfloat16hLN4vllm18Fp8KVCacheDataTypeE1EhLi32ELi128ELi256ELb0ELi7EL8MFMAType1EEvPKT_PKT0_S9_ifPKiSB_SB_iPKfiiiPfSE_PS4_PT2_iSD_SD_
		.amdhsa_group_segment_fixed_size 17472
		.amdhsa_private_segment_fixed_size 0
		.amdhsa_kernarg_size 400
		.amdhsa_user_sgpr_count 13
		.amdhsa_user_sgpr_dispatch_ptr 0
		.amdhsa_user_sgpr_queue_ptr 0
		.amdhsa_user_sgpr_kernarg_segment_ptr 1
		.amdhsa_user_sgpr_dispatch_id 0
		.amdhsa_user_sgpr_private_segment_size 0
		.amdhsa_wavefront_size32 1
		.amdhsa_uses_dynamic_stack 0
		.amdhsa_enable_private_segment 0
		.amdhsa_system_sgpr_workgroup_id_x 1
		.amdhsa_system_sgpr_workgroup_id_y 1
		.amdhsa_system_sgpr_workgroup_id_z 1
		.amdhsa_system_sgpr_workgroup_info 0
		.amdhsa_system_vgpr_workitem_id 0
		.amdhsa_next_free_vgpr 140
		.amdhsa_next_free_sgpr 36
		.amdhsa_reserve_vcc 1
		.amdhsa_float_round_mode_32 0
		.amdhsa_float_round_mode_16_64 0
		.amdhsa_float_denorm_mode_32 3
		.amdhsa_float_denorm_mode_16_64 3
		.amdhsa_dx10_clamp 1
		.amdhsa_ieee_mode 1
		.amdhsa_fp16_overflow 0
		.amdhsa_workgroup_processor_mode 1
		.amdhsa_memory_ordered 1
		.amdhsa_forward_progress 0
		.amdhsa_shared_vgpr_count 0
		.amdhsa_exception_fp_ieee_invalid_op 0
		.amdhsa_exception_fp_denorm_src 0
		.amdhsa_exception_fp_ieee_div_zero 0
		.amdhsa_exception_fp_ieee_overflow 0
		.amdhsa_exception_fp_ieee_underflow 0
		.amdhsa_exception_fp_ieee_inexact 0
		.amdhsa_exception_int_div_zero 0
	.end_amdhsa_kernel
	.section	.text._Z39paged_attention_ll4mi_QKV_mfma16_kernelI14__hip_bfloat16hLN4vllm18Fp8KVCacheDataTypeE1EhLi32ELi128ELi256ELb0ELi7EL8MFMAType1EEvPKT_PKT0_S9_ifPKiSB_SB_iPKfiiiPfSE_PS4_PT2_iSD_SD_,"axG",@progbits,_Z39paged_attention_ll4mi_QKV_mfma16_kernelI14__hip_bfloat16hLN4vllm18Fp8KVCacheDataTypeE1EhLi32ELi128ELi256ELb0ELi7EL8MFMAType1EEvPKT_PKT0_S9_ifPKiSB_SB_iPKfiiiPfSE_PS4_PT2_iSD_SD_,comdat
.Lfunc_end1612:
	.size	_Z39paged_attention_ll4mi_QKV_mfma16_kernelI14__hip_bfloat16hLN4vllm18Fp8KVCacheDataTypeE1EhLi32ELi128ELi256ELb0ELi7EL8MFMAType1EEvPKT_PKT0_S9_ifPKiSB_SB_iPKfiiiPfSE_PS4_PT2_iSD_SD_, .Lfunc_end1612-_Z39paged_attention_ll4mi_QKV_mfma16_kernelI14__hip_bfloat16hLN4vllm18Fp8KVCacheDataTypeE1EhLi32ELi128ELi256ELb0ELi7EL8MFMAType1EEvPKT_PKT0_S9_ifPKiSB_SB_iPKfiiiPfSE_PS4_PT2_iSD_SD_
                                        ; -- End function
	.section	.AMDGPU.csdata,"",@progbits
; Kernel info:
; codeLenInByte = 8964
; NumSgprs: 38
; NumVgprs: 140
; ScratchSize: 0
; MemoryBound: 0
; FloatMode: 240
; IeeeMode: 1
; LDSByteSize: 17472 bytes/workgroup (compile time only)
; SGPRBlocks: 4
; VGPRBlocks: 17
; NumSGPRsForWavesPerEU: 38
; NumVGPRsForWavesPerEU: 140
; Occupancy: 10
; WaveLimiterHint : 1
; COMPUTE_PGM_RSRC2:SCRATCH_EN: 0
; COMPUTE_PGM_RSRC2:USER_SGPR: 13
; COMPUTE_PGM_RSRC2:TRAP_HANDLER: 0
; COMPUTE_PGM_RSRC2:TGID_X_EN: 1
; COMPUTE_PGM_RSRC2:TGID_Y_EN: 1
; COMPUTE_PGM_RSRC2:TGID_Z_EN: 1
; COMPUTE_PGM_RSRC2:TIDIG_COMP_CNT: 0
	.section	.text._Z39paged_attention_ll4mi_QKV_mfma16_kernelI14__hip_bfloat16hLN4vllm18Fp8KVCacheDataTypeE1EhLi32ELi128ELi256ELb0ELi8EL8MFMAType1EEvPKT_PKT0_S9_ifPKiSB_SB_iPKfiiiPfSE_PS4_PT2_iSD_SD_,"axG",@progbits,_Z39paged_attention_ll4mi_QKV_mfma16_kernelI14__hip_bfloat16hLN4vllm18Fp8KVCacheDataTypeE1EhLi32ELi128ELi256ELb0ELi8EL8MFMAType1EEvPKT_PKT0_S9_ifPKiSB_SB_iPKfiiiPfSE_PS4_PT2_iSD_SD_,comdat
	.protected	_Z39paged_attention_ll4mi_QKV_mfma16_kernelI14__hip_bfloat16hLN4vllm18Fp8KVCacheDataTypeE1EhLi32ELi128ELi256ELb0ELi8EL8MFMAType1EEvPKT_PKT0_S9_ifPKiSB_SB_iPKfiiiPfSE_PS4_PT2_iSD_SD_ ; -- Begin function _Z39paged_attention_ll4mi_QKV_mfma16_kernelI14__hip_bfloat16hLN4vllm18Fp8KVCacheDataTypeE1EhLi32ELi128ELi256ELb0ELi8EL8MFMAType1EEvPKT_PKT0_S9_ifPKiSB_SB_iPKfiiiPfSE_PS4_PT2_iSD_SD_
	.globl	_Z39paged_attention_ll4mi_QKV_mfma16_kernelI14__hip_bfloat16hLN4vllm18Fp8KVCacheDataTypeE1EhLi32ELi128ELi256ELb0ELi8EL8MFMAType1EEvPKT_PKT0_S9_ifPKiSB_SB_iPKfiiiPfSE_PS4_PT2_iSD_SD_
	.p2align	8
	.type	_Z39paged_attention_ll4mi_QKV_mfma16_kernelI14__hip_bfloat16hLN4vllm18Fp8KVCacheDataTypeE1EhLi32ELi128ELi256ELb0ELi8EL8MFMAType1EEvPKT_PKT0_S9_ifPKiSB_SB_iPKfiiiPfSE_PS4_PT2_iSD_SD_,@function
_Z39paged_attention_ll4mi_QKV_mfma16_kernelI14__hip_bfloat16hLN4vllm18Fp8KVCacheDataTypeE1EhLi32ELi128ELi256ELb0ELi8EL8MFMAType1EEvPKT_PKT0_S9_ifPKiSB_SB_iPKfiiiPfSE_PS4_PT2_iSD_SD_: ; @_Z39paged_attention_ll4mi_QKV_mfma16_kernelI14__hip_bfloat16hLN4vllm18Fp8KVCacheDataTypeE1EhLi32ELi128ELi256ELb0ELi8EL8MFMAType1EEvPKT_PKT0_S9_ifPKiSB_SB_iPKfiiiPfSE_PS4_PT2_iSD_SD_
; %bb.0:
	s_load_b64 s[4:5], s[0:1], 0x30
	s_mov_b32 s30, s13
	s_waitcnt lgkmcnt(0)
	s_cmp_lg_u64 s[4:5], 0
	s_cselect_b32 s13, -1, 0
	s_ashr_i32 s31, s30, 31
	s_cmp_eq_u64 s[4:5], 0
	s_cbranch_scc1 .LBB1613_3
; %bb.1:
	s_lshl_b64 s[2:3], s[30:31], 2
	s_delay_alu instid0(SALU_CYCLE_1) | instskip(SKIP_4) | instid1(SALU_CYCLE_1)
	s_add_u32 s2, s4, s2
	s_addc_u32 s3, s5, s3
	s_load_b64 s[2:3], s[2:3], 0x0
	s_waitcnt lgkmcnt(0)
	s_sub_i32 s2, s3, s2
	s_cmp_eq_u32 s2, 1
	s_cselect_b32 s2, -1, 0
	s_delay_alu instid0(SALU_CYCLE_1)
	s_and_not1_b32 vcc_lo, exec_lo, s2
	s_cbranch_vccz .LBB1613_4
.LBB1613_2:
	s_endpgm
.LBB1613_3:
.LBB1613_4:
	s_load_b64 s[2:3], s[0:1], 0x28
	s_lshl_b64 s[6:7], s[30:31], 2
	s_waitcnt lgkmcnt(0)
	s_add_u32 s2, s2, s6
	s_addc_u32 s3, s3, s7
	s_lshl_b32 s12, s14, 8
	s_load_b32 s17, s[2:3], 0x0
	s_waitcnt lgkmcnt(0)
	s_cmp_ge_i32 s12, s17
	s_cbranch_scc1 .LBB1613_2
; %bb.5:
	s_clause 0x1
	s_load_b128 s[8:11], s[0:1], 0x8
	s_load_b64 s[2:3], s[0:1], 0x20
	s_and_not1_b32 vcc_lo, exec_lo, s13
	s_cbranch_vccnz .LBB1613_7
; %bb.6:
	s_add_u32 s4, s4, s6
	s_addc_u32 s5, s5, s7
	s_load_b32 s13, s[4:5], 0x0
	s_branch .LBB1613_8
.LBB1613_7:
	s_mov_b32 s13, s30
.LBB1613_8:
	s_load_b128 s[4:7], s[0:1], 0x48
	v_and_b32_e32 v66, 15, v0
	v_lshrrev_b32_e32 v65, 5, v0
	v_and_b32_e32 v67, 31, v0
	v_and_b32_e32 v75, 1, v0
	v_bfe_u32 v74, v0, 4, 1
	v_lshlrev_b32_e32 v1, 3, v66
	s_lshl_b32 s29, s15, 3
	s_waitcnt lgkmcnt(0)
	s_mov_b32 s7, exec_lo
	s_delay_alu instid0(VALU_DEP_1)
	v_lshlrev_b32_e32 v73, 1, v1
	v_cmpx_gt_u32_e32 0x80, v0
	s_cbranch_execz .LBB1613_10
; %bb.9:
	v_lshl_or_b32 v5, v65, 1, v74
	s_load_b64 s[18:19], s[0:1], 0x0
	s_mul_hi_i32 s21, s13, s4
	s_mul_i32 s20, s13, s4
	v_lshlrev_b32_e32 v6, 10, v66
	v_or_b32_e32 v1, s29, v5
	s_lshl_b64 s[20:21], s[20:21], 1
	v_lshlrev_b32_e32 v5, 6, v5
	v_lshlrev_b32_e32 v7, 10, v75
	v_and_b32_e32 v6, 0x3800, v6
	v_lshlrev_b32_e32 v1, 7, v1
	s_delay_alu instid0(VALU_DEP_2) | instskip(NEXT) | instid1(VALU_DEP_2)
	v_or3_b32 v5, v6, v7, v5
	v_ashrrev_i32_e32 v2, 31, v1
	s_delay_alu instid0(VALU_DEP_1) | instskip(SKIP_3) | instid1(VALU_DEP_1)
	v_lshlrev_b64 v[1:2], 1, v[1:2]
	s_waitcnt lgkmcnt(0)
	s_add_u32 s4, s18, s20
	s_addc_u32 s13, s19, s21
	v_add_co_u32 v1, vcc_lo, s4, v1
	s_delay_alu instid0(VALU_DEP_2) | instskip(NEXT) | instid1(VALU_DEP_2)
	v_add_co_ci_u32_e32 v2, vcc_lo, s13, v2, vcc_lo
	v_add_co_u32 v1, vcc_lo, v1, v73
	s_delay_alu instid0(VALU_DEP_2)
	v_add_co_ci_u32_e32 v2, vcc_lo, 0, v2, vcc_lo
	global_load_b128 v[1:4], v[1:2], off
	s_waitcnt vmcnt(0)
	ds_store_b128 v5, v[1:4]
.LBB1613_10:
	s_or_b32 exec_lo, exec_lo, s7
	v_and_b32_e32 v1, 0xef, v0
	s_add_i32 s4, s17, 31
	s_clause 0x1
	s_load_b32 s7, s[0:1], 0x38
	s_load_b32 s18, s[0:1], 0x1c
	s_ashr_i32 s13, s4, 31
	v_add_nc_u32_e32 v1, s12, v1
	s_lshr_b32 s13, s13, 27
	s_waitcnt lgkmcnt(0)
	s_add_i32 s4, s4, s13
	s_barrier
	v_ashrrev_i32_e32 v2, 31, v1
	v_or_b32_e32 v3, 16, v1
	s_ashr_i32 s4, s4, 5
	v_cmp_gt_i32_e32 vcc_lo, s17, v1
	s_add_i32 s4, s4, -1
	v_lshrrev_b32_e32 v2, 27, v2
	buffer_gl0_inv
	s_mul_i32 s15, s15, s6
	v_add_nc_u32_e32 v4, v1, v2
	s_mul_i32 s20, s30, s7
	s_delay_alu instid0(SALU_CYCLE_1) | instskip(NEXT) | instid1(VALU_DEP_1)
	s_ashr_i32 s21, s20, 31
	v_ashrrev_i32_e32 v4, 5, v4
	v_add_nc_u32_e32 v2, v3, v2
	s_lshl_b64 s[20:21], s[20:21], 2
	s_delay_alu instid0(SALU_CYCLE_1) | instskip(NEXT) | instid1(VALU_DEP_2)
	s_add_u32 s13, s2, s20
	v_cndmask_b32_e32 v1, s4, v4, vcc_lo
	s_delay_alu instid0(VALU_DEP_2)
	v_ashrrev_i32_e32 v2, 5, v2
	v_cmp_gt_i32_e32 vcc_lo, s17, v3
	s_addc_u32 s16, s3, s21
	s_ashr_i32 s19, s15, 31
	s_add_u32 s2, s8, s15
	s_addc_u32 s3, s9, s19
	v_cndmask_b32_e32 v3, s4, v2, vcc_lo
	v_ashrrev_i32_e32 v2, 31, v1
	s_lshl_b32 s6, s14, 3
	s_delay_alu instid0(SALU_CYCLE_1) | instskip(NEXT) | instid1(VALU_DEP_2)
	s_ashr_i32 s7, s6, 31
	v_ashrrev_i32_e32 v4, 31, v3
	s_delay_alu instid0(VALU_DEP_2) | instskip(SKIP_1) | instid1(SALU_CYCLE_1)
	v_lshlrev_b64 v[1:2], 2, v[1:2]
	s_lshl_b64 s[6:7], s[6:7], 2
	s_add_u32 s6, s13, s6
	s_delay_alu instid0(VALU_DEP_2) | instskip(SKIP_1) | instid1(VALU_DEP_2)
	v_lshlrev_b64 v[3:4], 2, v[3:4]
	s_addc_u32 s7, s16, s7
	v_add_co_u32 v1, vcc_lo, s13, v1
	v_add_co_ci_u32_e32 v2, vcc_lo, s16, v2, vcc_lo
	s_delay_alu instid0(VALU_DEP_3) | instskip(NEXT) | instid1(VALU_DEP_4)
	v_add_co_u32 v3, vcc_lo, s13, v3
	v_add_co_ci_u32_e32 v4, vcc_lo, s16, v4, vcc_lo
	s_clause 0x1
	global_load_b32 v5, v[1:2], off
	global_load_b32 v6, v[3:4], off
	s_or_b32 s8, s12, 32
	s_delay_alu instid0(SALU_CYCLE_1) | instskip(SKIP_2) | instid1(SALU_CYCLE_1)
	s_ashr_i32 s9, s8, 5
	s_cmp_lt_i32 s8, s17
	s_cselect_b32 s8, s9, s4
	s_ashr_i32 s9, s8, 31
	s_delay_alu instid0(SALU_CYCLE_1) | instskip(NEXT) | instid1(SALU_CYCLE_1)
	s_lshl_b64 s[8:9], s[8:9], 2
	s_add_u32 s8, s13, s8
	s_addc_u32 s9, s16, s9
	s_or_b32 s20, s12, 64
	s_delay_alu instid0(SALU_CYCLE_1) | instskip(SKIP_2) | instid1(SALU_CYCLE_1)
	s_ashr_i32 s21, s20, 5
	s_cmp_lt_i32 s20, s17
	s_cselect_b32 s20, s21, s4
	s_ashr_i32 s21, s20, 31
	s_delay_alu instid0(SALU_CYCLE_1) | instskip(NEXT) | instid1(SALU_CYCLE_1)
	s_lshl_b64 s[20:21], s[20:21], 2
	s_add_u32 s20, s13, s20
	s_addc_u32 s21, s16, s21
	;; [unrolled: 10-line block ×5, first 2 shown]
	s_clause 0x5
	s_load_b32 s28, s[6:7], 0x0
	s_load_b32 s8, s[8:9], 0x0
	;; [unrolled: 1-line block ×6, first 2 shown]
	s_mov_b32 s20, 0
	s_delay_alu instid0(SALU_CYCLE_1)
	s_mov_b32 s21, s20
	s_mov_b32 s22, s20
	;; [unrolled: 1-line block ×7, first 2 shown]
	s_delay_alu instid0(SALU_CYCLE_1)
	v_dual_mov_b32 v107, s27 :: v_dual_mov_b32 v106, s26
	v_dual_mov_b32 v104, s24 :: v_dual_mov_b32 v103, s23
	;; [unrolled: 1-line block ×4, first 2 shown]
	s_waitcnt vmcnt(1)
	v_mad_i64_i32 v[1:2], null, v5, s5, s[2:3]
	v_lshlrev_b32_e32 v5, 4, v66
	s_waitcnt vmcnt(0)
	v_mad_i64_i32 v[3:4], null, v6, s5, s[2:3]
	s_or_b32 s2, s12, 0xc0
	s_delay_alu instid0(SALU_CYCLE_1) | instskip(NEXT) | instid1(VALU_DEP_3)
	s_ashr_i32 s3, s2, 5
	v_add_co_u32 v33, vcc_lo, v1, v5
	s_delay_alu instid0(VALU_DEP_4) | instskip(NEXT) | instid1(VALU_DEP_3)
	v_add_co_ci_u32_e32 v34, vcc_lo, 0, v2, vcc_lo
	v_add_co_u32 v35, vcc_lo, v3, v5
	s_delay_alu instid0(VALU_DEP_4)
	v_add_co_ci_u32_e32 v36, vcc_lo, 0, v4, vcc_lo
	s_clause 0xf
	global_load_b128 v[1:4], v[33:34], off
	global_load_b128 v[5:8], v[33:34], off offset:512
	global_load_b128 v[9:12], v[35:36], off offset:256
	;; [unrolled: 1-line block ×15, first 2 shown]
	s_cmp_lt_i32 s2, s17
	v_and_b32_e32 v33, 7, v0
	s_cselect_b32 s2, s3, s4
	v_lshlrev_b32_e32 v34, 5, v66
	s_ashr_i32 s3, s2, 31
	s_delay_alu instid0(SALU_CYCLE_1)
	s_lshl_b64 s[2:3], s[2:3], 2
	v_lshlrev_b32_e32 v72, 6, v33
	s_add_u32 s2, s13, s2
	s_addc_u32 s3, s16, s3
	s_or_b32 s6, s12, 0xe0
	v_lshl_or_b32 v41, v65, 9, v34
	s_ashr_i32 s7, s6, 5
	s_cmp_lt_i32 s6, s17
	ds_load_b128 v[33:36], v72
	ds_load_b128 v[37:40], v72 offset:1024
	s_cselect_b32 s6, s7, s4
	ds_load_b128 v[108:111], v72 offset:2048
	ds_load_b128 v[112:115], v72 offset:3072
	s_ashr_i32 s7, s6, 31
	s_load_b32 s4, s[2:3], 0x0
	s_lshl_b64 s[6:7], s[6:7], 2
	ds_load_b128 v[116:119], v72 offset:4096
	ds_load_b128 v[120:123], v72 offset:5120
	s_add_u32 s2, s13, s6
	s_addc_u32 s3, s16, s7
	s_add_u32 s6, s10, s15
	s_load_b32 s2, s[2:3], 0x0
	s_addc_u32 s7, s11, s19
	v_add_co_u32 v68, s6, s6, v41
	s_delay_alu instid0(VALU_DEP_1) | instskip(SKIP_1) | instid1(VALU_DEP_1)
	v_add_co_ci_u32_e64 v69, null, s7, 0, s6
	s_waitcnt lgkmcnt(0)
	v_mad_i64_i32 v[41:42], null, s28, s5, v[68:69]
	v_mad_i64_i32 v[70:71], null, s9, s5, v[68:69]
	;; [unrolled: 1-line block ×7, first 2 shown]
	s_clause 0x3
	global_load_b128 v[49:52], v[41:42], off
	global_load_b128 v[53:56], v[41:42], off offset:16
	global_load_b128 v[41:44], v[45:46], off
	global_load_b128 v[45:48], v[45:46], off offset:16
	s_waitcnt vmcnt(18)
	v_wmma_f32_16x16x16_bf16 v[124:131], v[1:8], v[33:40], v[100:107]
	s_waitcnt vmcnt(16)
	v_wmma_f32_16x16x16_bf16 v[100:107], v[9:16], v[33:40], v[100:107]
	s_clause 0x1
	global_load_b128 v[33:36], v[70:71], off
	global_load_b128 v[37:40], v[70:71], off offset:16
	v_mad_i64_i32 v[70:71], null, s2, s5, v[68:69]
	s_waitcnt vmcnt(16)
	v_wmma_f32_16x16x16_bf16 v[124:131], v[17:24], v[108:115], v[124:131]
	s_waitcnt vmcnt(14)
	v_wmma_f32_16x16x16_bf16 v[100:107], v[25:32], v[108:115], v[100:107]
	s_clause 0x7
	global_load_b128 v[25:28], v[132:133], off
	global_load_b128 v[29:32], v[132:133], off offset:16
	global_load_b128 v[1:4], v[134:135], off
	global_load_b128 v[5:8], v[134:135], off offset:16
	;; [unrolled: 2-line block ×4, first 2 shown]
	s_waitcnt vmcnt(20)
	v_wmma_f32_16x16x16_bf16 v[124:131], v[57:64], v[116:123], v[124:131]
	s_clause 0x1
	global_load_b128 v[57:60], v[70:71], off
	global_load_b128 v[61:64], v[70:71], off offset:16
	s_waitcnt vmcnt(20)
	v_wmma_f32_16x16x16_bf16 v[100:107], v[76:83], v[116:123], v[100:107]
	ds_load_b128 v[76:79], v72 offset:6144
	ds_load_b128 v[80:83], v72 offset:7168
	v_and_b32_e32 v68, 0xe0, v0
	v_mbcnt_lo_u32_b32 v69, -1, 0
	s_waitcnt vmcnt(0) lgkmcnt(0)
	s_barrier
	buffer_gl0_inv
	v_add_nc_u32_e32 v68, s12, v68
	v_xor_b32_e32 v70, 16, v69
	s_delay_alu instid0(VALU_DEP_2) | instskip(NEXT) | instid1(VALU_DEP_2)
	v_or_b32_e32 v68, v68, v74
	v_cmp_gt_i32_e32 vcc_lo, 32, v70
	s_delay_alu instid0(VALU_DEP_2)
	v_or_b32_e32 v71, 4, v68
	v_or_b32_e32 v72, 6, v68
	v_cmp_gt_i32_e64 s2, s17, v68
	v_or_b32_e32 v108, 8, v68
	v_wmma_f32_16x16x16_bf16 v[124:131], v[84:91], v[76:83], v[124:131]
	v_cndmask_b32_e32 v69, v69, v70, vcc_lo
	v_or_b32_e32 v70, 2, v68
	v_wmma_f32_16x16x16_bf16 v[100:107], v[92:99], v[76:83], v[100:107]
	v_or_b32_e32 v109, 10, v68
	v_dual_mul_f32 v78, s18, v131 :: v_dual_mul_f32 v83, s18, v126
	v_dual_mul_f32 v92, s18, v125 :: v_dual_mul_f32 v93, s18, v124
	s_delay_alu instid0(VALU_DEP_4) | instskip(SKIP_2) | instid1(VALU_DEP_4)
	v_mul_f32_e32 v94, s18, v107
	v_cmp_gt_i32_e32 vcc_lo, s17, v70
	v_dual_mul_f32 v81, s18, v128 :: v_dual_mul_f32 v82, s18, v127
	v_cndmask_b32_e64 v93, 0xff7fffff, v93, s2
	v_cmp_gt_i32_e64 s3, s17, v71
	v_cndmask_b32_e32 v92, 0xff7fffff, v92, vcc_lo
	v_cmp_gt_i32_e64 s4, s17, v72
	v_or_b32_e32 v84, 12, v68
	v_or_b32_e32 v85, 14, v68
	v_dual_mul_f32 v79, s18, v130 :: v_dual_mul_f32 v80, s18, v129
	v_cndmask_b32_e64 v71, 0xff7fffff, v83, s3
	v_cndmask_b32_e64 v72, 0xff7fffff, v82, s4
	v_max3_f32 v82, v93, 0xff7fffff, v92
	v_cmp_gt_i32_e64 s5, s17, v108
	v_cmp_gt_i32_e64 s6, s17, v109
	v_or_b32_e32 v86, 16, v68
	v_or_b32_e32 v87, 18, v68
	v_max3_f32 v71, v82, v71, v72
	v_cndmask_b32_e64 v81, 0xff7fffff, v81, s5
	v_cndmask_b32_e64 v80, 0xff7fffff, v80, s6
	v_cmp_gt_i32_e64 s7, s17, v84
	v_cmp_gt_i32_e64 s8, s17, v85
	v_or_b32_e32 v88, 20, v68
	v_or_b32_e32 v89, 22, v68
	;; [unrolled: 1-line block ×6, first 2 shown]
	v_dual_mul_f32 v99, s18, v102 :: v_dual_mul_f32 v70, s18, v101
	v_mul_f32_e32 v68, s18, v100
	v_cndmask_b32_e64 v72, 0xff7fffff, v79, s7
	v_cndmask_b32_e64 v78, 0xff7fffff, v78, s8
	v_max3_f32 v71, v71, v81, v80
	v_cmp_gt_i32_e64 s9, s17, v86
	v_cmp_gt_i32_e64 s10, s17, v87
	v_dual_mul_f32 v97, s18, v104 :: v_dual_mul_f32 v98, s18, v103
	s_delay_alu instid0(VALU_DEP_4) | instskip(SKIP_1) | instid1(VALU_DEP_4)
	v_max3_f32 v71, v71, v72, v78
	v_cmp_gt_i32_e64 s11, s17, v88
	v_cndmask_b32_e64 v70, 0xff7fffff, v70, s10
	v_cmp_gt_i32_e64 s12, s17, v89
	v_lshlrev_b32_e32 v89, 2, v69
	v_cndmask_b32_e64 v68, 0xff7fffff, v68, s9
	v_dual_mul_f32 v95, s18, v106 :: v_dual_mul_f32 v96, s18, v105
	v_cndmask_b32_e64 v72, 0xff7fffff, v99, s11
	v_cndmask_b32_e64 v78, 0xff7fffff, v98, s12
	s_delay_alu instid0(VALU_DEP_4)
	v_max3_f32 v68, v71, v68, v70
	v_cmp_gt_i32_e64 s13, s17, v90
	v_cmp_gt_i32_e64 s15, s17, v91
	;; [unrolled: 1-line block ×4, first 2 shown]
	v_max3_f32 v68, v68, v72, v78
	v_cndmask_b32_e64 v70, 0xff7fffff, v97, s13
	v_cndmask_b32_e64 v71, 0xff7fffff, v96, s15
	;; [unrolled: 1-line block ×4, first 2 shown]
	s_delay_alu instid0(VALU_DEP_3) | instskip(NEXT) | instid1(VALU_DEP_1)
	v_max3_f32 v68, v68, v70, v71
	v_max3_f32 v68, v68, v72, v76
	ds_bpermute_b32 v69, v89, v68
	s_waitcnt lgkmcnt(0)
	v_max_f32_e32 v69, v69, v69
	s_delay_alu instid0(VALU_DEP_1) | instskip(NEXT) | instid1(VALU_DEP_1)
	v_max_f32_e32 v68, v68, v69
	v_fma_f32 v71, s18, v126, -v68
	s_delay_alu instid0(VALU_DEP_1)
	v_mul_f32_e32 v71, 0x3fb8aa3b, v71
	v_fma_f32 v69, s18, v124, -v68
	v_fma_f32 v70, s18, v125, -v68
	;; [unrolled: 1-line block ×4, first 2 shown]
	v_exp_f32_e32 v71, v71
	s_delay_alu instid0(VALU_DEP_3) | instskip(SKIP_2) | instid1(VALU_DEP_3)
	v_dual_mul_f32 v69, 0x3fb8aa3b, v69 :: v_dual_mul_f32 v70, 0x3fb8aa3b, v70
	v_fma_f32 v78, s18, v130, -v68
	v_fma_f32 v81, s18, v105, -v68
	v_exp_f32_e32 v69, v69
	s_delay_alu instid0(VALU_DEP_3) | instskip(SKIP_1) | instid1(VALU_DEP_2)
	v_exp_f32_e32 v70, v70
	v_mul_f32_e32 v77, 0x3fb8aa3b, v76
	v_mul_f32_e32 v81, 0x3fb8aa3b, v81
	s_delay_alu instid0(TRANS32_DEP_3) | instskip(SKIP_1) | instid1(VALU_DEP_3)
	v_cndmask_b32_e64 v83, 0, v71, s3
	v_fma_f32 v71, s18, v131, -v68
	v_exp_f32_e32 v81, v81
	s_delay_alu instid0(TRANS32_DEP_3) | instskip(NEXT) | instid1(TRANS32_DEP_2)
	v_cndmask_b32_e64 v80, 0, v69, s2
	v_cndmask_b32_e32 v76, 0, v70, vcc_lo
	v_fma_f32 v69, s18, v129, -v68
	v_mul_f32_e32 v72, 0x3fb8aa3b, v72
	v_exp_f32_e32 v77, v77
	v_dual_add_f32 v70, 0, v80 :: v_dual_mul_f32 v71, 0x3fb8aa3b, v71
	s_delay_alu instid0(VALU_DEP_3) | instskip(NEXT) | instid1(VALU_DEP_3)
	v_mul_f32_e32 v69, 0x3fb8aa3b, v69
	v_exp_f32_e32 v72, v72
	s_mov_b32 s2, exec_lo
	s_delay_alu instid0(VALU_DEP_2) | instskip(NEXT) | instid1(VALU_DEP_1)
	v_exp_f32_e32 v71, v71
	v_exp_f32_e32 v69, v69
	v_cndmask_b32_e64 v86, 0, v77, s5
	v_fma_f32 v77, s18, v101, -v68
	v_add_f32_e32 v70, v70, v76
	s_delay_alu instid0(TRANS32_DEP_3) | instskip(SKIP_1) | instid1(VALU_DEP_3)
	v_cndmask_b32_e64 v85, 0, v72, s4
	v_fma_f32 v72, s18, v100, -v68
	v_dual_mul_f32 v77, 0x3fb8aa3b, v77 :: v_dual_add_f32 v70, v70, v83
	s_delay_alu instid0(TRANS32_DEP_2) | instskip(SKIP_1) | instid1(TRANS32_DEP_1)
	v_cndmask_b32_e64 v88, 0, v71, s8
	v_fma_f32 v71, s18, v104, -v68
	v_cndmask_b32_e64 v87, 0, v69, s6
	s_delay_alu instid0(VALU_DEP_4) | instskip(NEXT) | instid1(VALU_DEP_2)
	v_exp_f32_e32 v77, v77
	v_dual_add_f32 v70, v70, v85 :: v_dual_mul_f32 v71, 0x3fb8aa3b, v71
	s_delay_alu instid0(VALU_DEP_1) | instskip(SKIP_2) | instid1(VALU_DEP_3)
	v_dual_mul_f32 v72, 0x3fb8aa3b, v72 :: v_dual_add_f32 v69, v70, v86
	v_mul_f32_e32 v78, 0x3fb8aa3b, v78
	v_fma_f32 v70, s18, v102, -v68
	v_exp_f32_e32 v72, v72
	v_exp_f32_e32 v82, v71
	v_add_f32_e32 v69, v69, v87
	v_exp_f32_e32 v78, v78
	v_mul_f32_e32 v70, 0x3fb8aa3b, v70
	s_delay_alu instid0(VALU_DEP_1) | instskip(SKIP_4) | instid1(VALU_DEP_2)
	v_exp_f32_e32 v79, v70
	v_cndmask_b32_e64 v70, 0, v72, s9
	s_waitcnt_depctr 0xfff
	v_cndmask_b32_e64 v84, 0, v78, s7
	v_fma_f32 v78, s18, v103, -v68
	v_add_f32_e32 v69, v69, v84
	v_cndmask_b32_e64 v71, 0, v79, s11
	s_delay_alu instid0(VALU_DEP_2) | instskip(SKIP_2) | instid1(VALU_DEP_1)
	v_add_f32_e32 v72, v69, v88
	v_cndmask_b32_e64 v69, 0, v77, s10
	v_fma_f32 v77, s18, v106, -v68
	v_dual_mul_f32 v77, 0x3fb8aa3b, v77 :: v_dual_add_f32 v72, v72, v70
	v_mul_f32_e32 v78, 0x3fb8aa3b, v78
	s_delay_alu instid0(VALU_DEP_2) | instskip(NEXT) | instid1(VALU_DEP_2)
	v_exp_f32_e32 v90, v77
	v_add_f32_e32 v79, v72, v69
	s_delay_alu instid0(VALU_DEP_2)
	v_exp_f32_e32 v78, v78
	v_cndmask_b32_e64 v77, 0, v82, s13
	s_waitcnt_depctr 0xfff
	v_cndmask_b32_e64 v72, 0, v78, s12
	v_add_f32_e32 v78, v79, v71
	v_fma_f32 v79, s18, v107, -v68
	s_delay_alu instid0(VALU_DEP_1) | instskip(SKIP_1) | instid1(VALU_DEP_2)
	v_dual_add_f32 v82, v78, v72 :: v_dual_mul_f32 v79, 0x3fb8aa3b, v79
	v_cndmask_b32_e64 v78, 0, v81, s15
	v_add_f32_e32 v81, v82, v77
	s_delay_alu instid0(VALU_DEP_3) | instskip(SKIP_1) | instid1(VALU_DEP_2)
	v_exp_f32_e32 v82, v79
	v_cndmask_b32_e64 v79, 0, v90, s16
	v_add_f32_e32 v81, v81, v78
	s_delay_alu instid0(VALU_DEP_1) | instskip(SKIP_2) | instid1(VALU_DEP_1)
	v_add_f32_e32 v90, v81, v79
	s_waitcnt_depctr 0xfff
	v_cndmask_b32_e64 v81, 0, v82, s17
	v_add_f32_e32 v82, v90, v81
	ds_bpermute_b32 v89, v89, v82
	v_cmpx_gt_u32_e32 16, v67
	s_cbranch_execz .LBB1613_12
; %bb.11:
	v_mul_u32_u24_e32 v67, 0x44, v65
	s_delay_alu instid0(VALU_DEP_1) | instskip(SKIP_1) | instid1(VALU_DEP_1)
	v_lshl_add_u32 v67, v66, 2, v67
	s_waitcnt lgkmcnt(0)
	v_dual_add_f32 v82, v82, v89 :: v_dual_add_nc_u32 v67, 0x4000, v67
	ds_store_2addr_b32 v67, v68, v82 offset1:136
.LBB1613_12:
	s_or_b32 exec_lo, exec_lo, s2
	v_lshlrev_b32_e32 v67, 2, v66
	s_waitcnt lgkmcnt(0)
	s_barrier
	buffer_gl0_inv
	v_cmp_eq_u32_e32 vcc_lo, 1, v65
	v_add_nc_u32_e32 v82, 0x4000, v67
	v_cmp_eq_u32_e64 s2, 2, v65
	v_cmp_eq_u32_e64 s4, 7, v65
	ds_load_2addr_b32 v[89:90], v82 offset1:17
	ds_load_2addr_b32 v[91:92], v82 offset0:34 offset1:51
	ds_load_2addr_b32 v[93:94], v82 offset0:68 offset1:85
	;; [unrolled: 1-line block ×4, first 2 shown]
	s_waitcnt lgkmcnt(4)
	v_max3_f32 v67, v89, 0xff7fffff, v90
	s_waitcnt lgkmcnt(3)
	s_delay_alu instid0(VALU_DEP_1) | instskip(SKIP_1) | instid1(VALU_DEP_1)
	v_max3_f32 v67, v67, v91, v92
	s_waitcnt lgkmcnt(2)
	v_max3_f32 v67, v67, v93, v94
	s_waitcnt lgkmcnt(1)
	s_delay_alu instid0(VALU_DEP_1) | instskip(NEXT) | instid1(VALU_DEP_1)
	v_max3_f32 v67, v67, v95, v96
	v_sub_f32_e32 v93, v93, v67
	s_delay_alu instid0(VALU_DEP_1) | instskip(NEXT) | instid1(VALU_DEP_1)
	v_dual_sub_f32 v68, v89, v67 :: v_dual_mul_f32 v103, 0x3fb8aa3b, v93
	v_mul_f32_e32 v68, 0x3fb8aa3b, v68
	s_delay_alu instid0(VALU_DEP_1)
	v_exp_f32_e32 v100, v68
	v_sub_f32_e32 v68, v92, v67
	v_sub_f32_e32 v99, v90, v67
	ds_load_2addr_b32 v[89:90], v82 offset0:170 offset1:187
	v_dual_mul_f32 v102, 0x3fb8aa3b, v68 :: v_dual_mul_f32 v99, 0x3fb8aa3b, v99
	s_waitcnt lgkmcnt(1)
	v_fma_f32 v68, v100, v97, 0
	s_delay_alu instid0(VALU_DEP_2) | instskip(NEXT) | instid1(VALU_DEP_2)
	v_exp_f32_e32 v102, v102
	v_exp_f32_e32 v99, v99
	s_waitcnt_depctr 0xfff
	v_fmac_f32_e32 v68, v99, v98
	v_sub_f32_e32 v91, v91, v67
	s_delay_alu instid0(VALU_DEP_1)
	v_mul_f32_e32 v101, 0x3fb8aa3b, v91
	ds_load_2addr_b32 v[91:92], v82 offset0:204 offset1:221
	v_sub_f32_e32 v97, v94, v67
	ds_load_2addr_b32 v[93:94], v82 offset0:238 offset1:255
	s_waitcnt lgkmcnt(0)
	v_exp_f32_e32 v101, v101
	s_barrier
	buffer_gl0_inv
	v_dual_fmac_f32 v68, v101, v89 :: v_dual_sub_f32 v89, v96, v67
	v_dual_sub_f32 v82, v95, v67 :: v_dual_mul_f32 v95, 0x3fb8aa3b, v97
	v_exp_f32_e32 v97, v103
	s_delay_alu instid0(VALU_DEP_2) | instskip(NEXT) | instid1(VALU_DEP_2)
	v_dual_fmac_f32 v68, v102, v90 :: v_dual_mul_f32 v89, 0x3fb8aa3b, v89
	v_mul_f32_e32 v82, 0x3fb8aa3b, v82
	s_delay_alu instid0(VALU_DEP_3) | instskip(NEXT) | instid1(VALU_DEP_2)
	v_exp_f32_e32 v95, v95
	v_exp_f32_e32 v89, v89
	s_delay_alu instid0(VALU_DEP_1)
	v_exp_f32_e32 v82, v82
	v_fmac_f32_e32 v68, v97, v91
	s_delay_alu instid0(TRANS32_DEP_3) | instid1(VALU_DEP_1)
	v_fmac_f32_e32 v68, v95, v92
	s_waitcnt_depctr 0xfff
	v_fmac_f32_e32 v68, v82, v93
	s_delay_alu instid0(VALU_DEP_1) | instskip(NEXT) | instid1(VALU_DEP_1)
	v_fmac_f32_e32 v68, v89, v94
	v_add_f32_e32 v90, 0x358637bd, v68
	s_delay_alu instid0(VALU_DEP_1) | instskip(NEXT) | instid1(VALU_DEP_1)
	v_div_scale_f32 v91, null, v90, v90, 1.0
	v_rcp_f32_e32 v92, v91
	s_waitcnt_depctr 0xfff
	v_fma_f32 v93, -v91, v92, 1.0
	s_delay_alu instid0(VALU_DEP_1) | instskip(SKIP_1) | instid1(VALU_DEP_2)
	v_dual_fmac_f32 v92, v93, v92 :: v_dual_cndmask_b32 v93, v100, v99
	v_cmp_eq_u32_e32 vcc_lo, 3, v65
	v_cndmask_b32_e64 v93, v93, v101, s2
	v_cmp_eq_u32_e64 s2, 4, v65
	s_delay_alu instid0(VALU_DEP_2) | instskip(SKIP_1) | instid1(VALU_DEP_2)
	v_cndmask_b32_e32 v93, v93, v102, vcc_lo
	v_cmp_eq_u32_e32 vcc_lo, 5, v65
	v_cndmask_b32_e64 v93, v93, v97, s2
	v_cmp_eq_u32_e64 s2, 6, v65
	s_delay_alu instid0(VALU_DEP_2) | instskip(SKIP_1) | instid1(VALU_DEP_1)
	v_cndmask_b32_e32 v93, v93, v95, vcc_lo
	v_div_scale_f32 v94, s3, 1.0, v90, 1.0
	s_mov_b32 vcc_lo, s3
	s_delay_alu instid0(VALU_DEP_2) | instskip(NEXT) | instid1(VALU_DEP_2)
	v_cndmask_b32_e64 v82, v93, v82, s2
	v_mul_f32_e32 v96, v94, v92
	s_mov_b32 s2, exec_lo
	s_delay_alu instid0(VALU_DEP_2) | instskip(NEXT) | instid1(VALU_DEP_2)
	v_cndmask_b32_e64 v82, v82, v89, s4
	v_fma_f32 v98, -v91, v96, v94
	s_delay_alu instid0(VALU_DEP_1) | instskip(NEXT) | instid1(VALU_DEP_1)
	v_fmac_f32_e32 v96, v98, v92
	v_fma_f32 v91, -v91, v96, v94
	s_delay_alu instid0(VALU_DEP_1) | instskip(NEXT) | instid1(VALU_DEP_1)
	v_div_fmas_f32 v91, v91, v92, v96
	v_div_fixup_f32 v90, v91, v90, 1.0
	s_delay_alu instid0(VALU_DEP_1) | instskip(NEXT) | instid1(VALU_DEP_1)
	v_mul_f32_e32 v82, v82, v90
	v_mul_f32_e32 v87, v82, v87
	;; [unrolled: 1-line block ×7, first 2 shown]
	v_dual_mul_f32 v86, v82, v83 :: v_dual_and_b32 v91, 0x7f800000, v90
	v_mul_f32_e32 v85, v82, v76
                                        ; implicit-def: $vgpr76
	s_delay_alu instid0(VALU_DEP_2)
	v_cmpx_ne_u32_e32 0x7f800000, v91
	s_xor_b32 s2, exec_lo, s2
; %bb.13:
	v_bfe_u32 v76, v90, 16, 1
	s_delay_alu instid0(VALU_DEP_1)
	v_add3_u32 v76, v90, v76, 0x7fff
                                        ; implicit-def: $vgpr90
; %bb.14:
	s_and_not1_saveexec_b32 s2, s2
; %bb.15:
	v_and_b32_e32 v76, 0xffff, v90
	v_or_b32_e32 v83, 0x10000, v90
	s_delay_alu instid0(VALU_DEP_2) | instskip(NEXT) | instid1(VALU_DEP_2)
	v_cmp_eq_u32_e32 vcc_lo, 0, v76
	v_cndmask_b32_e32 v76, v83, v90, vcc_lo
; %bb.16:
	s_or_b32 exec_lo, exec_lo, s2
	v_and_b32_e32 v83, 0x7f800000, v85
	s_delay_alu instid0(VALU_DEP_1) | instskip(SKIP_1) | instid1(SALU_CYCLE_1)
	v_cmp_ne_u32_e32 vcc_lo, 0x7f800000, v83
                                        ; implicit-def: $vgpr83
	s_and_saveexec_b32 s2, vcc_lo
	s_xor_b32 s2, exec_lo, s2
; %bb.17:
	v_bfe_u32 v83, v85, 16, 1
	s_delay_alu instid0(VALU_DEP_1)
	v_add3_u32 v83, v85, v83, 0x7fff
                                        ; implicit-def: $vgpr85
; %bb.18:
	s_and_not1_saveexec_b32 s2, s2
; %bb.19:
	v_and_b32_e32 v83, 0xffff, v85
	v_or_b32_e32 v90, 0x10000, v85
	s_delay_alu instid0(VALU_DEP_2) | instskip(NEXT) | instid1(VALU_DEP_2)
	v_cmp_eq_u32_e32 vcc_lo, 0, v83
	v_cndmask_b32_e32 v83, v90, v85, vcc_lo
; %bb.20:
	s_or_b32 exec_lo, exec_lo, s2
	v_and_b32_e32 v85, 0x7f800000, v86
	s_delay_alu instid0(VALU_DEP_1) | instskip(SKIP_1) | instid1(SALU_CYCLE_1)
	v_cmp_ne_u32_e32 vcc_lo, 0x7f800000, v85
                                        ; implicit-def: $vgpr85
	s_and_saveexec_b32 s2, vcc_lo
	s_xor_b32 s2, exec_lo, s2
; %bb.21:
	v_bfe_u32 v85, v86, 16, 1
	s_delay_alu instid0(VALU_DEP_1)
	v_add3_u32 v85, v86, v85, 0x7fff
                                        ; implicit-def: $vgpr86
; %bb.22:
	s_and_not1_saveexec_b32 s2, s2
; %bb.23:
	v_and_b32_e32 v85, 0xffff, v86
	v_or_b32_e32 v90, 0x10000, v86
	s_delay_alu instid0(VALU_DEP_2) | instskip(NEXT) | instid1(VALU_DEP_2)
	v_cmp_eq_u32_e32 vcc_lo, 0, v85
	v_cndmask_b32_e32 v85, v90, v86, vcc_lo
; %bb.24:
	s_or_b32 exec_lo, exec_lo, s2
	v_and_b32_e32 v86, 0x7f800000, v89
	s_delay_alu instid0(VALU_DEP_1) | instskip(SKIP_1) | instid1(SALU_CYCLE_1)
	v_cmp_ne_u32_e32 vcc_lo, 0x7f800000, v86
                                        ; implicit-def: $vgpr86
	s_and_saveexec_b32 s2, vcc_lo
	s_xor_b32 s2, exec_lo, s2
; %bb.25:
	v_bfe_u32 v86, v89, 16, 1
	s_delay_alu instid0(VALU_DEP_1)
	v_add3_u32 v86, v89, v86, 0x7fff
                                        ; implicit-def: $vgpr89
; %bb.26:
	s_and_not1_saveexec_b32 s2, s2
; %bb.27:
	v_and_b32_e32 v86, 0xffff, v89
	v_or_b32_e32 v90, 0x10000, v89
	s_delay_alu instid0(VALU_DEP_2) | instskip(NEXT) | instid1(VALU_DEP_2)
	v_cmp_eq_u32_e32 vcc_lo, 0, v86
	v_cndmask_b32_e32 v86, v90, v89, vcc_lo
; %bb.28:
	s_or_b32 exec_lo, exec_lo, s2
	v_and_b32_e32 v89, 0x7f800000, v88
	s_delay_alu instid0(VALU_DEP_1) | instskip(SKIP_1) | instid1(SALU_CYCLE_1)
	v_cmp_ne_u32_e32 vcc_lo, 0x7f800000, v89
                                        ; implicit-def: $vgpr89
	s_and_saveexec_b32 s2, vcc_lo
	s_xor_b32 s2, exec_lo, s2
; %bb.29:
	v_bfe_u32 v89, v88, 16, 1
	s_delay_alu instid0(VALU_DEP_1)
	v_add3_u32 v89, v88, v89, 0x7fff
                                        ; implicit-def: $vgpr88
; %bb.30:
	s_and_not1_saveexec_b32 s2, s2
; %bb.31:
	v_and_b32_e32 v89, 0xffff, v88
	v_or_b32_e32 v90, 0x10000, v88
	s_delay_alu instid0(VALU_DEP_2) | instskip(NEXT) | instid1(VALU_DEP_2)
	v_cmp_eq_u32_e32 vcc_lo, 0, v89
	v_cndmask_b32_e32 v89, v90, v88, vcc_lo
; %bb.32:
	s_or_b32 exec_lo, exec_lo, s2
	v_and_b32_e32 v88, 0x7f800000, v87
	s_delay_alu instid0(VALU_DEP_1) | instskip(SKIP_1) | instid1(SALU_CYCLE_1)
	v_cmp_ne_u32_e32 vcc_lo, 0x7f800000, v88
                                        ; implicit-def: $vgpr88
	s_and_saveexec_b32 s2, vcc_lo
	s_xor_b32 s2, exec_lo, s2
; %bb.33:
	v_bfe_u32 v88, v87, 16, 1
	s_delay_alu instid0(VALU_DEP_1)
	v_add3_u32 v88, v87, v88, 0x7fff
                                        ; implicit-def: $vgpr87
; %bb.34:
	s_and_not1_saveexec_b32 s2, s2
; %bb.35:
	v_and_b32_e32 v88, 0xffff, v87
	v_or_b32_e32 v90, 0x10000, v87
	s_delay_alu instid0(VALU_DEP_2) | instskip(NEXT) | instid1(VALU_DEP_2)
	v_cmp_eq_u32_e32 vcc_lo, 0, v88
	v_cndmask_b32_e32 v88, v90, v87, vcc_lo
; %bb.36:
	s_or_b32 exec_lo, exec_lo, s2
	v_and_b32_e32 v87, 0x7f800000, v84
	s_delay_alu instid0(VALU_DEP_1) | instskip(SKIP_1) | instid1(SALU_CYCLE_1)
	v_cmp_ne_u32_e32 vcc_lo, 0x7f800000, v87
                                        ; implicit-def: $vgpr87
	s_and_saveexec_b32 s2, vcc_lo
	s_xor_b32 s2, exec_lo, s2
; %bb.37:
	v_bfe_u32 v87, v84, 16, 1
	s_delay_alu instid0(VALU_DEP_1)
	v_add3_u32 v87, v84, v87, 0x7fff
                                        ; implicit-def: $vgpr84
; %bb.38:
	s_and_not1_saveexec_b32 s2, s2
; %bb.39:
	v_and_b32_e32 v87, 0xffff, v84
	v_or_b32_e32 v90, 0x10000, v84
	s_delay_alu instid0(VALU_DEP_2) | instskip(NEXT) | instid1(VALU_DEP_2)
	v_cmp_eq_u32_e32 vcc_lo, 0, v87
	v_cndmask_b32_e32 v87, v90, v84, vcc_lo
; %bb.40:
	s_or_b32 exec_lo, exec_lo, s2
	v_and_b32_e32 v84, 0x7f800000, v80
	s_delay_alu instid0(VALU_DEP_1) | instskip(SKIP_1) | instid1(SALU_CYCLE_1)
	v_cmp_ne_u32_e32 vcc_lo, 0x7f800000, v84
                                        ; implicit-def: $vgpr84
	s_and_saveexec_b32 s2, vcc_lo
	s_xor_b32 s2, exec_lo, s2
; %bb.41:
	v_bfe_u32 v84, v80, 16, 1
	s_delay_alu instid0(VALU_DEP_1)
	v_add3_u32 v84, v80, v84, 0x7fff
                                        ; implicit-def: $vgpr80
; %bb.42:
	s_and_not1_saveexec_b32 s2, s2
; %bb.43:
	v_and_b32_e32 v84, 0xffff, v80
	v_or_b32_e32 v90, 0x10000, v80
	s_delay_alu instid0(VALU_DEP_2) | instskip(NEXT) | instid1(VALU_DEP_2)
	v_cmp_eq_u32_e32 vcc_lo, 0, v84
	v_cndmask_b32_e32 v84, v90, v80, vcc_lo
; %bb.44:
	s_or_b32 exec_lo, exec_lo, s2
	s_load_b64 s[34:35], s[0:1], 0x94
	v_lshlrev_b32_e32 v91, 4, v74
	s_delay_alu instid0(VALU_DEP_2)
	v_perm_b32 v90, v84, v87, 0x7060302
	v_dual_mul_f32 v77, v82, v77 :: v_dual_lshlrev_b32 v80, 6, v66
	v_lshlrev_b32_e32 v66, 11, v65
	v_perm_b32 v87, v83, v76, 0x7060302
	v_mul_f32_e32 v83, v82, v70
	v_perm_b32 v89, v88, v89, 0x7060302
	v_perm_b32 v88, v86, v85, 0x7060302
	v_or3_b32 v76, v91, v66, v80
	v_mul_f32_e32 v66, v82, v81
	v_mul_f32_e32 v70, v82, v79
	;; [unrolled: 1-line block ×3, first 2 shown]
	v_dual_mul_f32 v81, v82, v72 :: v_dual_and_b32 v84, 0x7f800000, v83
	v_mul_f32_e32 v79, v82, v71
	v_mul_f32_e32 v72, v82, v69
	s_mov_b32 s2, exec_lo
	ds_store_b128 v76, v[87:90]
                                        ; implicit-def: $vgpr69
	v_cmpx_ne_u32_e32 0x7f800000, v84
	s_xor_b32 s2, exec_lo, s2
; %bb.45:
	v_bfe_u32 v69, v83, 16, 1
	s_delay_alu instid0(VALU_DEP_1)
	v_add3_u32 v69, v83, v69, 0x7fff
                                        ; implicit-def: $vgpr83
; %bb.46:
	s_and_not1_saveexec_b32 s2, s2
; %bb.47:
	v_and_b32_e32 v69, 0xffff, v83
	v_or_b32_e32 v71, 0x10000, v83
	s_delay_alu instid0(VALU_DEP_2) | instskip(NEXT) | instid1(VALU_DEP_2)
	v_cmp_eq_u32_e32 vcc_lo, 0, v69
	v_cndmask_b32_e32 v69, v71, v83, vcc_lo
; %bb.48:
	s_or_b32 exec_lo, exec_lo, s2
	v_and_b32_e32 v71, 0x7f800000, v72
	s_delay_alu instid0(VALU_DEP_1) | instskip(SKIP_1) | instid1(SALU_CYCLE_1)
	v_cmp_ne_u32_e32 vcc_lo, 0x7f800000, v71
                                        ; implicit-def: $vgpr71
	s_and_saveexec_b32 s2, vcc_lo
	s_xor_b32 s2, exec_lo, s2
; %bb.49:
	v_bfe_u32 v71, v72, 16, 1
	s_delay_alu instid0(VALU_DEP_1)
	v_add3_u32 v71, v72, v71, 0x7fff
                                        ; implicit-def: $vgpr72
; %bb.50:
	s_and_not1_saveexec_b32 s2, s2
; %bb.51:
	v_and_b32_e32 v71, 0xffff, v72
	v_or_b32_e32 v82, 0x10000, v72
	s_delay_alu instid0(VALU_DEP_2) | instskip(NEXT) | instid1(VALU_DEP_2)
	v_cmp_eq_u32_e32 vcc_lo, 0, v71
	v_cndmask_b32_e32 v71, v82, v72, vcc_lo
; %bb.52:
	s_or_b32 exec_lo, exec_lo, s2
	v_and_b32_e32 v72, 0x7f800000, v79
	s_delay_alu instid0(VALU_DEP_1) | instskip(SKIP_1) | instid1(SALU_CYCLE_1)
	v_cmp_ne_u32_e32 vcc_lo, 0x7f800000, v72
                                        ; implicit-def: $vgpr72
	s_and_saveexec_b32 s2, vcc_lo
	s_xor_b32 s2, exec_lo, s2
; %bb.53:
	v_bfe_u32 v72, v79, 16, 1
	s_delay_alu instid0(VALU_DEP_1)
	v_add3_u32 v72, v79, v72, 0x7fff
                                        ; implicit-def: $vgpr79
; %bb.54:
	s_and_not1_saveexec_b32 s2, s2
; %bb.55:
	v_and_b32_e32 v72, 0xffff, v79
	v_or_b32_e32 v82, 0x10000, v79
	s_delay_alu instid0(VALU_DEP_2) | instskip(NEXT) | instid1(VALU_DEP_2)
	v_cmp_eq_u32_e32 vcc_lo, 0, v72
	v_cndmask_b32_e32 v72, v82, v79, vcc_lo
; %bb.56:
	s_or_b32 exec_lo, exec_lo, s2
	v_and_b32_e32 v79, 0x7f800000, v81
	s_delay_alu instid0(VALU_DEP_1) | instskip(SKIP_1) | instid1(SALU_CYCLE_1)
	v_cmp_ne_u32_e32 vcc_lo, 0x7f800000, v79
                                        ; implicit-def: $vgpr79
	s_and_saveexec_b32 s2, vcc_lo
	s_xor_b32 s2, exec_lo, s2
; %bb.57:
	v_bfe_u32 v79, v81, 16, 1
	s_delay_alu instid0(VALU_DEP_1)
	v_add3_u32 v79, v81, v79, 0x7fff
                                        ; implicit-def: $vgpr81
; %bb.58:
	s_and_not1_saveexec_b32 s2, s2
; %bb.59:
	v_and_b32_e32 v79, 0xffff, v81
	v_or_b32_e32 v82, 0x10000, v81
	s_delay_alu instid0(VALU_DEP_2) | instskip(NEXT) | instid1(VALU_DEP_2)
	v_cmp_eq_u32_e32 vcc_lo, 0, v79
	v_cndmask_b32_e32 v79, v82, v81, vcc_lo
; %bb.60:
	s_or_b32 exec_lo, exec_lo, s2
	v_and_b32_e32 v81, 0x7f800000, v77
	s_delay_alu instid0(VALU_DEP_1) | instskip(SKIP_1) | instid1(SALU_CYCLE_1)
	v_cmp_ne_u32_e32 vcc_lo, 0x7f800000, v81
                                        ; implicit-def: $vgpr81
	s_and_saveexec_b32 s2, vcc_lo
	s_xor_b32 s2, exec_lo, s2
; %bb.61:
	v_bfe_u32 v81, v77, 16, 1
	s_delay_alu instid0(VALU_DEP_1)
	v_add3_u32 v81, v77, v81, 0x7fff
                                        ; implicit-def: $vgpr77
; %bb.62:
	s_and_not1_saveexec_b32 s2, s2
; %bb.63:
	v_and_b32_e32 v81, 0xffff, v77
	v_or_b32_e32 v82, 0x10000, v77
	s_delay_alu instid0(VALU_DEP_2) | instskip(NEXT) | instid1(VALU_DEP_2)
	v_cmp_eq_u32_e32 vcc_lo, 0, v81
	v_cndmask_b32_e32 v81, v82, v77, vcc_lo
; %bb.64:
	s_or_b32 exec_lo, exec_lo, s2
	v_and_b32_e32 v77, 0x7f800000, v78
	s_delay_alu instid0(VALU_DEP_1) | instskip(SKIP_1) | instid1(SALU_CYCLE_1)
	v_cmp_ne_u32_e32 vcc_lo, 0x7f800000, v77
                                        ; implicit-def: $vgpr77
	s_and_saveexec_b32 s2, vcc_lo
	s_xor_b32 s2, exec_lo, s2
; %bb.65:
	v_bfe_u32 v77, v78, 16, 1
	s_delay_alu instid0(VALU_DEP_1)
	v_add3_u32 v77, v78, v77, 0x7fff
                                        ; implicit-def: $vgpr78
; %bb.66:
	s_and_not1_saveexec_b32 s2, s2
; %bb.67:
	v_and_b32_e32 v77, 0xffff, v78
	v_or_b32_e32 v82, 0x10000, v78
	s_delay_alu instid0(VALU_DEP_2) | instskip(NEXT) | instid1(VALU_DEP_2)
	v_cmp_eq_u32_e32 vcc_lo, 0, v77
	v_cndmask_b32_e32 v77, v82, v78, vcc_lo
; %bb.68:
	s_or_b32 exec_lo, exec_lo, s2
	v_and_b32_e32 v78, 0x7f800000, v70
	s_delay_alu instid0(VALU_DEP_1) | instskip(SKIP_1) | instid1(SALU_CYCLE_1)
	v_cmp_ne_u32_e32 vcc_lo, 0x7f800000, v78
                                        ; implicit-def: $vgpr78
	s_and_saveexec_b32 s2, vcc_lo
	s_xor_b32 s2, exec_lo, s2
; %bb.69:
	v_bfe_u32 v78, v70, 16, 1
	s_delay_alu instid0(VALU_DEP_1)
	v_add3_u32 v78, v70, v78, 0x7fff
                                        ; implicit-def: $vgpr70
; %bb.70:
	s_and_not1_saveexec_b32 s2, s2
; %bb.71:
	v_and_b32_e32 v78, 0xffff, v70
	v_or_b32_e32 v82, 0x10000, v70
	s_delay_alu instid0(VALU_DEP_2) | instskip(NEXT) | instid1(VALU_DEP_2)
	v_cmp_eq_u32_e32 vcc_lo, 0, v78
	v_cndmask_b32_e32 v78, v82, v70, vcc_lo
; %bb.72:
	s_or_b32 exec_lo, exec_lo, s2
	v_and_b32_e32 v70, 0x7f800000, v66
	s_delay_alu instid0(VALU_DEP_1) | instskip(SKIP_1) | instid1(SALU_CYCLE_1)
	v_cmp_ne_u32_e32 vcc_lo, 0x7f800000, v70
                                        ; implicit-def: $vgpr70
	s_and_saveexec_b32 s2, vcc_lo
	s_xor_b32 s2, exec_lo, s2
; %bb.73:
	v_bfe_u32 v70, v66, 16, 1
	s_delay_alu instid0(VALU_DEP_1)
	v_add3_u32 v70, v66, v70, 0x7fff
                                        ; implicit-def: $vgpr66
; %bb.74:
	s_and_not1_saveexec_b32 s2, s2
; %bb.75:
	v_and_b32_e32 v70, 0xffff, v66
	v_or_b32_e32 v82, 0x10000, v66
	s_delay_alu instid0(VALU_DEP_2) | instskip(NEXT) | instid1(VALU_DEP_2)
	v_cmp_eq_u32_e32 vcc_lo, 0, v70
	v_cndmask_b32_e32 v70, v82, v66, vcc_lo
; %bb.76:
	s_or_b32 exec_lo, exec_lo, s2
	s_delay_alu instid0(VALU_DEP_1)
	v_perm_b32 v86, v70, v78, 0x7060302
	v_perm_b32 v85, v77, v81, 0x7060302
	;; [unrolled: 1-line block ×4, first 2 shown]
	v_lshl_or_b32 v82, v65, 11, v80
	ds_store_b128 v76, v[83:86] offset:1024
	s_waitcnt lgkmcnt(0)
	s_barrier
	buffer_gl0_inv
	ds_load_b128 v[69:72], v82
	ds_load_b128 v[83:86], v82 offset:16
	s_waitcnt lgkmcnt(1)
	v_lshrrev_b32_e32 v65, 16, v69
	v_lshlrev_b32_e32 v78, 2, v74
	s_waitcnt lgkmcnt(0)
	v_lshrrev_b32_e32 v91, 16, v83
	v_lshrrev_b32_e32 v66, 16, v70
	;; [unrolled: 1-line block ×4, first 2 shown]
	v_cmp_eq_u32_e32 vcc_lo, 1, v78
	v_lshrrev_b32_e32 v98, 16, v85
	v_lshrrev_b32_e32 v96, 16, v72
	;; [unrolled: 1-line block ×3, first 2 shown]
	v_cndmask_b32_e32 v81, v69, v65, vcc_lo
	v_or_b32_e32 v79, 1, v78
	v_cmp_eq_u32_e64 s3, 2, v78
	v_cndmask_b32_e32 v87, v83, v91, vcc_lo
	v_cmp_eq_u32_e64 s6, 3, v78
	v_cmp_eq_u32_e64 s8, 4, v78
	;; [unrolled: 1-line block ×3, first 2 shown]
	v_cndmask_b32_e64 v81, v81, v70, s3
	v_cmp_eq_u32_e64 s5, 2, v79
	v_cndmask_b32_e64 v87, v87, v84, s3
	v_cmp_eq_u32_e64 s7, 3, v79
	v_cndmask_b32_e64 v88, v69, v65, s2
	v_cndmask_b32_e64 v81, v81, v66, s6
	v_or_b32_e32 v77, 2, v78
	v_cndmask_b32_e64 v87, v87, v97, s6
	v_cndmask_b32_e64 v89, v83, v91, s2
	;; [unrolled: 1-line block ×4, first 2 shown]
	v_cmp_eq_u32_e64 s9, 5, v78
	v_cndmask_b32_e64 v87, v87, v85, s8
	v_cmp_eq_u32_e64 s10, 4, v79
	v_cndmask_b32_e64 v88, v88, v66, s7
	;; [unrolled: 2-line block ×3, first 2 shown]
	v_cndmask_b32_e64 v81, v81, v95, s9
	v_cmp_eq_u32_e64 s11, 6, v78
	v_cndmask_b32_e64 v88, v88, v71, s10
	v_cndmask_b32_e64 v87, v87, v98, s9
	v_cmp_eq_u32_e64 s12, 5, v79
	v_cndmask_b32_e64 v90, v69, v65, s4
	v_cndmask_b32_e64 v89, v89, v97, s7
	;; [unrolled: 1-line block ×3, first 2 shown]
	v_cmp_eq_u32_e64 s13, 7, v78
	v_cndmask_b32_e64 v88, v88, v95, s12
	v_cndmask_b32_e64 v87, v87, v86, s11
	v_cmp_eq_u32_e64 s15, 6, v79
	v_cmp_eq_u32_e64 s16, 2, v77
	v_cndmask_b32_e64 v89, v89, v85, s10
	v_cndmask_b32_e64 v100, v81, v96, s13
	;; [unrolled: 1-line block ×6, first 2 shown]
	v_cmp_eq_u32_e64 s17, 7, v79
	v_cmp_eq_u32_e64 s18, 3, v77
	;; [unrolled: 1-line block ×4, first 2 shown]
	v_cndmask_b32_e64 v87, v87, v84, s16
	v_cndmask_b32_e64 v102, v88, v96, s17
	;; [unrolled: 1-line block ×4, first 2 shown]
	v_or_b32_e32 v81, 3, v78
	v_cndmask_b32_e64 v93, v87, v97, s18
	v_cmp_eq_u32_e64 s23, 6, v77
	v_cndmask_b32_e64 v103, v88, v86, s15
	v_cndmask_b32_e64 v92, v89, v71, s19
	v_cmp_eq_u32_e64 s20, 1, v81
	ds_load_b128 v[87:90], v82 offset:1024
	v_cmp_eq_u32_e64 s22, 2, v81
	v_cmp_eq_u32_e64 s24, 3, v81
	v_cndmask_b32_e64 v104, v92, v95, s21
	v_cndmask_b32_e64 v65, v69, v65, s20
	;; [unrolled: 1-line block ×4, first 2 shown]
	ds_load_b128 v[91:94], v82 offset:1040
	v_cmp_eq_u32_e64 s25, 4, v81
	v_cndmask_b32_e64 v65, v65, v70, s22
	v_cmp_eq_u32_e64 s27, 5, v81
	v_cndmask_b32_e64 v70, v83, v84, s22
	;; [unrolled: 2-line block ×3, first 2 shown]
	v_cndmask_b32_e64 v65, v65, v66, s24
	v_cndmask_b32_e64 v66, v104, v72, s23
	;; [unrolled: 1-line block ×3, first 2 shown]
	v_cmp_eq_u32_e64 s26, 7, v77
	v_cndmask_b32_e64 v69, v69, v86, s23
	v_cndmask_b32_e64 v65, v65, v71, s25
	s_waitcnt lgkmcnt(1)
	v_lshrrev_b32_e32 v84, 16, v87
	v_cndmask_b32_e64 v70, v70, v85, s25
	v_cndmask_b32_e64 v83, v103, v99, s17
	;; [unrolled: 1-line block ×4, first 2 shown]
	v_lshrrev_b32_e32 v95, 16, v88
	v_cndmask_b32_e64 v70, v70, v98, s27
	s_waitcnt lgkmcnt(0)
	v_lshrrev_b32_e32 v85, 16, v91
	v_cndmask_b32_e64 v97, v87, v84, s2
	v_cndmask_b32_e64 v65, v65, v72, s28
	;; [unrolled: 1-line block ×4, first 2 shown]
	v_cndmask_b32_e32 v71, v87, v84, vcc_lo
	v_cndmask_b32_e32 v98, v91, v85, vcc_lo
	v_cmp_eq_u32_e32 vcc_lo, 7, v81
	v_cndmask_b32_e64 v72, v97, v88, s5
	v_lshrrev_b32_e32 v97, 16, v92
	v_lshrrev_b32_e32 v103, 16, v90
	v_dual_cndmask_b32 v65, v65, v96 :: v_dual_cndmask_b32 v70, v70, v99
	v_cndmask_b32_e64 v71, v71, v88, s3
	v_cndmask_b32_e64 v86, v98, v92, s3
	;; [unrolled: 1-line block ×3, first 2 shown]
	v_lshrrev_b32_e32 v98, 16, v89
	v_lshrrev_b32_e32 v99, 16, v93
	v_cndmask_b32_e64 v71, v71, v95, s6
	v_cndmask_b32_e64 v86, v86, v97, s6
	;; [unrolled: 1-line block ×3, first 2 shown]
	v_perm_b32 v72, v70, v65, 0x5040100
	v_perm_b32 v70, v83, v102, 0x5040100
	v_cndmask_b32_e64 v71, v71, v89, s8
	v_cndmask_b32_e64 v86, v86, v93, s8
	;; [unrolled: 1-line block ×3, first 2 shown]
	v_lshrrev_b32_e32 v83, 16, v94
	s_delay_alu instid0(VALU_DEP_4) | instskip(NEXT) | instid1(VALU_DEP_4)
	v_cndmask_b32_e64 v71, v71, v98, s9
	v_cndmask_b32_e64 v86, v86, v99, s9
	s_delay_alu instid0(VALU_DEP_4) | instskip(NEXT) | instid1(VALU_DEP_3)
	v_cndmask_b32_e64 v65, v65, v90, s15
	v_cndmask_b32_e64 v96, v71, v90, s11
	v_perm_b32 v71, v69, v66, 0x5040100
	s_delay_alu instid0(VALU_DEP_4)
	v_cndmask_b32_e64 v69, v86, v94, s11
	v_cndmask_b32_e64 v86, v87, v84, s4
	;; [unrolled: 1-line block ×34, first 2 shown]
	v_cndmask_b32_e32 v84, v84, v103, vcc_lo
	v_cndmask_b32_e32 v86, v87, v83, vcc_lo
	v_cndmask_b32_e64 v87, v88, v83, s26
	v_cndmask_b32_e64 v88, v85, v83, s17
	;; [unrolled: 1-line block ×3, first 2 shown]
	v_perm_b32 v69, v101, v100, 0x5040100
	v_perm_b32 v86, v86, v84, 0x5040100
	;; [unrolled: 1-line block ×5, first 2 shown]
	s_lshl_b32 s7, s35, 3
	s_mov_b32 s2, exec_lo
	ds_store_b128 v76, v[69:72]
	ds_store_b128 v76, v[83:86] offset:1024
	v_cmpx_gt_u32_e32 8, v0
	s_cbranch_execz .LBB1613_78
; %bb.77:
	v_or_b32_e32 v65, s29, v0
	s_load_b128 s[8:11], s[0:1], 0x58
	s_delay_alu instid0(VALU_DEP_1) | instskip(NEXT) | instid1(VALU_DEP_1)
	v_mad_u64_u32 v[69:70], null, s7, s30, v[65:66]
	v_mad_u64_u32 v[65:66], null, v69, s34, s[14:15]
	s_delay_alu instid0(VALU_DEP_1) | instskip(NEXT) | instid1(VALU_DEP_1)
	v_ashrrev_i32_e32 v66, 31, v65
	v_lshlrev_b64 v[65:66], 2, v[65:66]
	s_waitcnt lgkmcnt(0)
	s_delay_alu instid0(VALU_DEP_1) | instskip(NEXT) | instid1(VALU_DEP_2)
	v_add_co_u32 v69, vcc_lo, s10, v65
	v_add_co_ci_u32_e32 v70, vcc_lo, s11, v66, vcc_lo
	v_add_co_u32 v65, vcc_lo, s8, v65
	v_add_co_ci_u32_e32 v66, vcc_lo, s9, v66, vcc_lo
	global_store_b32 v[69:70], v67, off
	global_store_b32 v[65:66], v68, off
.LBB1613_78:
	s_or_b32 exec_lo, exec_lo, s2
	s_waitcnt lgkmcnt(0)
	s_waitcnt_vscnt null, 0x0
	s_barrier
	buffer_gl0_inv
	ds_load_b128 v[83:86], v80
	ds_load_b128 v[87:90], v80 offset:16
	ds_load_b128 v[95:98], v80 offset:2064
	;; [unrolled: 1-line block ×3, first 2 shown]
	v_mov_b32_e32 v65, 0
	ds_load_b128 v[103:106], v80 offset:4112
	ds_load_b128 v[99:102], v80 offset:4096
	;; [unrolled: 1-line block ×4, first 2 shown]
	v_mov_b32_e32 v66, v65
	v_mov_b32_e32 v67, v65
	;; [unrolled: 1-line block ×7, first 2 shown]
	s_waitcnt lgkmcnt(6)
	s_delay_alu instid0(VALU_DEP_1)
	v_wmma_f32_16x16x16_bf16 v[65:72], v[49:56], v[83:90], v[65:72]
	ds_load_b128 v[53:56], v80 offset:8208
	ds_load_b128 v[49:52], v80 offset:8192
	s_waitcnt lgkmcnt(6)
	v_wmma_f32_16x16x16_bf16 v[65:72], v[41:48], v[91:98], v[65:72]
	ds_load_b128 v[45:48], v80 offset:10256
	ds_load_b128 v[41:44], v80 offset:10240
	s_waitcnt lgkmcnt(6)
	;; [unrolled: 4-line block ×4, first 2 shown]
	v_wmma_f32_16x16x16_bf16 v[65:72], v[1:8], v[49:56], v[65:72]
	s_waitcnt lgkmcnt(4)
	s_delay_alu instid0(VALU_DEP_1) | instskip(SKIP_1) | instid1(VALU_DEP_1)
	v_wmma_f32_16x16x16_bf16 v[65:72], v[9:16], v[41:48], v[65:72]
	s_waitcnt lgkmcnt(2)
	v_wmma_f32_16x16x16_bf16 v[65:72], v[17:24], v[33:40], v[65:72]
	s_waitcnt lgkmcnt(0)
	s_delay_alu instid0(VALU_DEP_1) | instskip(NEXT) | instid1(VALU_DEP_1)
	v_wmma_f32_16x16x16_bf16 v[65:72], v[57:64], v[25:32], v[65:72]
	v_and_b32_e32 v1, 0x7f800000, v65
	s_delay_alu instid0(VALU_DEP_1) | instskip(SKIP_1) | instid1(SALU_CYCLE_1)
	v_cmp_ne_u32_e32 vcc_lo, 0x7f800000, v1
                                        ; implicit-def: $vgpr1
	s_and_saveexec_b32 s2, vcc_lo
	s_xor_b32 s2, exec_lo, s2
; %bb.79:
	v_bfe_u32 v1, v65, 16, 1
	s_delay_alu instid0(VALU_DEP_1)
	v_add3_u32 v1, v65, v1, 0x7fff
; %bb.80:
	s_and_not1_saveexec_b32 s2, s2
; %bb.81:
	v_and_b32_e32 v1, 0xffff, v65
	v_or_b32_e32 v2, 0x10000, v65
	s_delay_alu instid0(VALU_DEP_2) | instskip(NEXT) | instid1(VALU_DEP_2)
	v_cmp_eq_u32_e32 vcc_lo, 0, v1
	v_cndmask_b32_e32 v1, v2, v65, vcc_lo
; %bb.82:
	s_or_b32 exec_lo, exec_lo, s2
	v_and_b32_e32 v2, 0x7f800000, v66
	s_delay_alu instid0(VALU_DEP_1) | instskip(SKIP_1) | instid1(SALU_CYCLE_1)
	v_cmp_ne_u32_e32 vcc_lo, 0x7f800000, v2
                                        ; implicit-def: $vgpr2
	s_and_saveexec_b32 s2, vcc_lo
	s_xor_b32 s2, exec_lo, s2
; %bb.83:
	v_bfe_u32 v2, v66, 16, 1
	s_delay_alu instid0(VALU_DEP_1)
	v_add3_u32 v2, v66, v2, 0x7fff
; %bb.84:
	s_and_not1_saveexec_b32 s2, s2
; %bb.85:
	v_and_b32_e32 v2, 0xffff, v66
	v_or_b32_e32 v3, 0x10000, v66
	s_delay_alu instid0(VALU_DEP_2) | instskip(NEXT) | instid1(VALU_DEP_2)
	v_cmp_eq_u32_e32 vcc_lo, 0, v2
	v_cndmask_b32_e32 v2, v3, v66, vcc_lo
; %bb.86:
	s_or_b32 exec_lo, exec_lo, s2
	v_and_b32_e32 v3, 0x7f800000, v67
	s_delay_alu instid0(VALU_DEP_1) | instskip(SKIP_1) | instid1(SALU_CYCLE_1)
	v_cmp_ne_u32_e32 vcc_lo, 0x7f800000, v3
                                        ; implicit-def: $vgpr3
	s_and_saveexec_b32 s2, vcc_lo
	s_xor_b32 s2, exec_lo, s2
; %bb.87:
	v_bfe_u32 v3, v67, 16, 1
	s_delay_alu instid0(VALU_DEP_1)
	v_add3_u32 v3, v67, v3, 0x7fff
; %bb.88:
	s_and_not1_saveexec_b32 s2, s2
; %bb.89:
	v_and_b32_e32 v3, 0xffff, v67
	v_or_b32_e32 v4, 0x10000, v67
	s_delay_alu instid0(VALU_DEP_2) | instskip(NEXT) | instid1(VALU_DEP_2)
	v_cmp_eq_u32_e32 vcc_lo, 0, v3
	v_cndmask_b32_e32 v3, v4, v67, vcc_lo
; %bb.90:
	s_or_b32 exec_lo, exec_lo, s2
	v_and_b32_e32 v4, 0x7f800000, v68
	s_delay_alu instid0(VALU_DEP_1) | instskip(SKIP_1) | instid1(SALU_CYCLE_1)
	v_cmp_ne_u32_e32 vcc_lo, 0x7f800000, v4
                                        ; implicit-def: $vgpr4
	s_and_saveexec_b32 s2, vcc_lo
	s_xor_b32 s2, exec_lo, s2
; %bb.91:
	v_bfe_u32 v4, v68, 16, 1
	s_delay_alu instid0(VALU_DEP_1)
	v_add3_u32 v4, v68, v4, 0x7fff
; %bb.92:
	s_and_not1_saveexec_b32 s2, s2
; %bb.93:
	v_and_b32_e32 v4, 0xffff, v68
	v_or_b32_e32 v5, 0x10000, v68
	s_delay_alu instid0(VALU_DEP_2) | instskip(NEXT) | instid1(VALU_DEP_2)
	v_cmp_eq_u32_e32 vcc_lo, 0, v4
	v_cndmask_b32_e32 v4, v5, v68, vcc_lo
; %bb.94:
	s_or_b32 exec_lo, exec_lo, s2
	v_and_b32_e32 v5, 0x7f800000, v69
	s_delay_alu instid0(VALU_DEP_1) | instskip(SKIP_1) | instid1(SALU_CYCLE_1)
	v_cmp_ne_u32_e32 vcc_lo, 0x7f800000, v5
                                        ; implicit-def: $vgpr5
	s_and_saveexec_b32 s2, vcc_lo
	s_xor_b32 s2, exec_lo, s2
; %bb.95:
	v_bfe_u32 v5, v69, 16, 1
	s_delay_alu instid0(VALU_DEP_1)
	v_add3_u32 v5, v69, v5, 0x7fff
; %bb.96:
	s_and_not1_saveexec_b32 s2, s2
; %bb.97:
	v_and_b32_e32 v5, 0xffff, v69
	v_or_b32_e32 v6, 0x10000, v69
	s_delay_alu instid0(VALU_DEP_2) | instskip(NEXT) | instid1(VALU_DEP_2)
	v_cmp_eq_u32_e32 vcc_lo, 0, v5
	v_cndmask_b32_e32 v5, v6, v69, vcc_lo
; %bb.98:
	s_or_b32 exec_lo, exec_lo, s2
	v_and_b32_e32 v6, 0x7f800000, v70
	s_delay_alu instid0(VALU_DEP_1) | instskip(SKIP_1) | instid1(SALU_CYCLE_1)
	v_cmp_ne_u32_e32 vcc_lo, 0x7f800000, v6
                                        ; implicit-def: $vgpr6
	s_and_saveexec_b32 s2, vcc_lo
	s_xor_b32 s2, exec_lo, s2
; %bb.99:
	v_bfe_u32 v6, v70, 16, 1
	s_delay_alu instid0(VALU_DEP_1)
	v_add3_u32 v6, v70, v6, 0x7fff
; %bb.100:
	s_and_not1_saveexec_b32 s2, s2
; %bb.101:
	v_and_b32_e32 v6, 0xffff, v70
	v_or_b32_e32 v7, 0x10000, v70
	s_delay_alu instid0(VALU_DEP_2) | instskip(NEXT) | instid1(VALU_DEP_2)
	v_cmp_eq_u32_e32 vcc_lo, 0, v6
	v_cndmask_b32_e32 v6, v7, v70, vcc_lo
; %bb.102:
	s_or_b32 exec_lo, exec_lo, s2
	v_and_b32_e32 v7, 0x7f800000, v71
	s_delay_alu instid0(VALU_DEP_1) | instskip(SKIP_1) | instid1(SALU_CYCLE_1)
	v_cmp_ne_u32_e32 vcc_lo, 0x7f800000, v7
                                        ; implicit-def: $vgpr7
	s_and_saveexec_b32 s2, vcc_lo
	s_xor_b32 s2, exec_lo, s2
; %bb.103:
	v_bfe_u32 v7, v71, 16, 1
	s_delay_alu instid0(VALU_DEP_1)
	v_add3_u32 v7, v71, v7, 0x7fff
; %bb.104:
	s_and_not1_saveexec_b32 s2, s2
; %bb.105:
	v_and_b32_e32 v7, 0xffff, v71
	v_or_b32_e32 v8, 0x10000, v71
	s_delay_alu instid0(VALU_DEP_2) | instskip(NEXT) | instid1(VALU_DEP_2)
	v_cmp_eq_u32_e32 vcc_lo, 0, v7
	v_cndmask_b32_e32 v7, v8, v71, vcc_lo
; %bb.106:
	s_or_b32 exec_lo, exec_lo, s2
	v_and_b32_e32 v8, 0x7f800000, v72
	s_delay_alu instid0(VALU_DEP_1) | instskip(SKIP_1) | instid1(SALU_CYCLE_1)
	v_cmp_ne_u32_e32 vcc_lo, 0x7f800000, v8
                                        ; implicit-def: $vgpr8
	s_and_saveexec_b32 s2, vcc_lo
	s_xor_b32 s2, exec_lo, s2
; %bb.107:
	v_bfe_u32 v8, v72, 16, 1
	s_delay_alu instid0(VALU_DEP_1)
	v_add3_u32 v8, v72, v8, 0x7fff
                                        ; implicit-def: $vgpr65_vgpr66_vgpr67_vgpr68_vgpr69_vgpr70_vgpr71_vgpr72
; %bb.108:
	s_and_not1_saveexec_b32 s2, s2
; %bb.109:
	v_and_b32_e32 v8, 0xffff, v72
	v_or_b32_e32 v9, 0x10000, v72
	s_delay_alu instid0(VALU_DEP_2) | instskip(NEXT) | instid1(VALU_DEP_2)
	v_cmp_eq_u32_e32 vcc_lo, 0, v8
	v_cndmask_b32_e32 v8, v9, v72, vcc_lo
; %bb.110:
	s_or_b32 exec_lo, exec_lo, s2
	s_delay_alu instid0(VALU_DEP_1)
	v_perm_b32 v7, v8, v7, 0x7060302
	v_perm_b32 v6, v6, v5, 0x7060302
	;; [unrolled: 1-line block ×4, first 2 shown]
	s_barrier
	buffer_gl0_inv
	v_cmp_eq_u32_e32 vcc_lo, 1, v78
	ds_store_b128 v76, v[4:7]
	s_waitcnt lgkmcnt(0)
	s_barrier
	buffer_gl0_inv
	ds_load_b128 v[1:4], v82
	ds_load_b128 v[5:8], v82 offset:16
	v_cmp_eq_u32_e64 s2, 1, v79
	v_cmp_eq_u32_e64 s3, 2, v78
	;; [unrolled: 1-line block ×5, first 2 shown]
	s_waitcnt lgkmcnt(1)
	v_lshrrev_b32_e32 v9, 16, v1
	s_waitcnt lgkmcnt(0)
	v_lshrrev_b32_e32 v13, 16, v5
	v_lshrrev_b32_e32 v10, 16, v2
	;; [unrolled: 1-line block ×4, first 2 shown]
	v_cndmask_b32_e64 v19, v1, v9, s2
	v_cndmask_b32_e32 v18, v5, v13, vcc_lo
	v_cndmask_b32_e64 v20, v5, v13, s2
	v_cndmask_b32_e32 v17, v1, v9, vcc_lo
	v_cmp_eq_u32_e32 vcc_lo, 2, v79
	v_lshrrev_b32_e32 v15, 16, v7
	v_cmp_eq_u32_e64 s2, 1, v77
	v_lshrrev_b32_e32 v12, 16, v4
	v_lshrrev_b32_e32 v16, 16, v8
	v_cndmask_b32_e32 v20, v20, v6, vcc_lo
	v_cndmask_b32_e64 v17, v17, v2, s3
	v_cndmask_b32_e32 v19, v19, v2, vcc_lo
	v_cndmask_b32_e64 v18, v18, v6, s3
	v_cmp_eq_u32_e32 vcc_lo, 4, v78
	v_cmp_eq_u32_e64 s3, 3, v79
	v_cndmask_b32_e64 v17, v17, v10, s4
	v_cndmask_b32_e64 v21, v1, v9, s2
	;; [unrolled: 1-line block ×5, first 2 shown]
	v_cndmask_b32_e32 v17, v17, v3, vcc_lo
	v_cndmask_b32_e64 v20, v20, v14, s3
	v_cndmask_b32_e32 v18, v18, v7, vcc_lo
	v_cmp_eq_u32_e32 vcc_lo, 4, v79
	v_cmp_eq_u32_e64 s3, 5, v79
	v_cmp_eq_u32_e64 s2, 2, v81
	v_cndmask_b32_e64 v21, v21, v2, s6
	v_cmp_eq_u32_e64 s4, 5, v78
	v_cndmask_b32_e32 v19, v19, v3, vcc_lo
	v_cndmask_b32_e32 v20, v20, v7, vcc_lo
	v_cmp_eq_u32_e32 vcc_lo, 6, v79
	s_delay_alu instid0(VALU_DEP_4) | instskip(NEXT) | instid1(VALU_DEP_4)
	v_cndmask_b32_e64 v17, v17, v11, s4
	v_cndmask_b32_e64 v19, v19, v11, s3
	s_delay_alu instid0(VALU_DEP_4) | instskip(SKIP_1) | instid1(VALU_DEP_3)
	v_cndmask_b32_e64 v20, v20, v15, s3
	v_cmp_eq_u32_e64 s3, 1, v81
	v_cndmask_b32_e32 v19, v19, v4, vcc_lo
	v_cndmask_b32_e64 v18, v18, v15, s4
	s_delay_alu instid0(VALU_DEP_3)
	v_cndmask_b32_e64 v1, v1, v9, s3
	v_cndmask_b32_e64 v5, v5, v13, s3
	v_cmp_eq_u32_e64 s3, 3, v77
	v_cndmask_b32_e64 v13, v22, v6, s6
	v_cmp_eq_u32_e64 s6, 3, v81
	v_cndmask_b32_e64 v1, v1, v2, s2
	v_cndmask_b32_e64 v2, v5, v6, s2
	v_cndmask_b32_e64 v9, v21, v10, s3
	v_cmp_eq_u32_e64 s2, 4, v77
	v_cndmask_b32_e64 v6, v13, v14, s3
	v_cndmask_b32_e64 v1, v1, v10, s6
	v_cmp_eq_u32_e64 s3, 4, v81
	v_cndmask_b32_e64 v2, v2, v14, s6
	v_cndmask_b32_e64 v5, v9, v3, s2
	;; [unrolled: 3-line block ×3, first 2 shown]
	v_cndmask_b32_e64 v2, v2, v7, s3
	v_cmp_eq_u32_e64 s2, 5, v81
	v_cmp_eq_u32_e64 s4, 6, v78
	v_cndmask_b32_e64 v5, v5, v11, s6
	v_cmp_eq_u32_e64 s3, 6, v77
	v_cndmask_b32_e64 v3, v6, v15, s6
	v_cndmask_b32_e64 v1, v1, v11, s2
	v_cmp_eq_u32_e64 s6, 6, v81
	v_cndmask_b32_e64 v2, v2, v15, s2
	v_cndmask_b32_e64 v17, v17, v4, s4
	v_cndmask_b32_e64 v18, v18, v8, s4
	v_cmp_eq_u32_e64 s4, 7, v78
	v_cndmask_b32_e64 v5, v5, v4, s3
	;; [unrolled: 4-line block ×3, first 2 shown]
	v_cmp_eq_u32_e64 s3, 7, v77
	v_cndmask_b32_e32 v4, v20, v8, vcc_lo
	v_cndmask_b32_e64 v17, v17, v12, s4
	v_cndmask_b32_e64 v19, v19, v12, s5
	;; [unrolled: 1-line block ×8, first 2 shown]
	s_mov_b32 s2, exec_lo
	v_perm_b32 v4, v2, v1, 0x5040100
	v_perm_b32 v3, v3, v5, 0x5040100
	;; [unrolled: 1-line block ×4, first 2 shown]
	ds_store_b128 v76, v[1:4]
	s_waitcnt lgkmcnt(0)
	s_barrier
	buffer_gl0_inv
	v_cmpx_gt_u32_e32 32, v0
	s_cbranch_execz .LBB1613_2
; %bb.111:
	s_load_b64 s[0:1], s[0:1], 0x68
	s_lshl_b32 s4, s34, 7
	v_or_b32_e32 v2, s29, v74
	s_mul_i32 s2, s4, s30
	v_lshlrev_b32_e32 v1, 10, v0
	s_mul_i32 s2, s2, s7
	v_lshlrev_b32_e32 v3, 4, v75
	v_mul_lo_u32 v0, v2, s4
	s_ashr_i32 s3, s2, 31
	v_lshlrev_b32_e32 v4, 6, v74
	v_and_b32_e32 v1, 0x3800, v1
	v_or_b32_e32 v5, 2, v2
	s_lshl_b64 s[2:3], s[2:3], 1
	v_or_b32_e32 v6, 4, v2
	v_or_b32_e32 v7, 6, v2
	v_or3_b32 v12, v1, v3, v4
	v_ashrrev_i32_e32 v1, 31, v0
	v_mul_lo_u32 v2, v5, s4
	v_mul_lo_u32 v16, v6, s4
	;; [unrolled: 1-line block ×3, first 2 shown]
	s_waitcnt lgkmcnt(0)
	s_add_u32 s2, s0, s2
	s_addc_u32 s3, s1, s3
	s_lshl_b32 s0, s14, 7
	v_lshlrev_b64 v[0:1], 1, v[0:1]
	s_ashr_i32 s1, s0, 31
	v_ashrrev_i32_e32 v3, 31, v2
	s_lshl_b64 s[0:1], s[0:1], 1
	v_ashrrev_i32_e32 v17, 31, v16
	s_add_u32 s0, s2, s0
	s_addc_u32 s1, s3, s1
	v_add_co_u32 v24, s0, s0, v73
	s_delay_alu instid0(VALU_DEP_1) | instskip(SKIP_1) | instid1(VALU_DEP_3)
	v_add_co_ci_u32_e64 v25, null, s1, 0, s0
	v_lshlrev_b64 v[22:23], 1, v[2:3]
	v_add_co_u32 v18, vcc_lo, v24, v0
	s_delay_alu instid0(VALU_DEP_3)
	v_add_co_ci_u32_e32 v19, vcc_lo, v25, v1, vcc_lo
	ds_load_b128 v[0:3], v12
	ds_load_b128 v[4:7], v12 offset:128
	ds_load_b128 v[8:11], v12 offset:256
	;; [unrolled: 1-line block ×3, first 2 shown]
	v_ashrrev_i32_e32 v21, 31, v20
	v_lshlrev_b64 v[16:17], 1, v[16:17]
	v_add_co_u32 v22, vcc_lo, v24, v22
	v_add_co_ci_u32_e32 v23, vcc_lo, v25, v23, vcc_lo
	s_delay_alu instid0(VALU_DEP_4) | instskip(NEXT) | instid1(VALU_DEP_4)
	v_lshlrev_b64 v[20:21], 1, v[20:21]
	v_add_co_u32 v16, vcc_lo, v24, v16
	v_add_co_ci_u32_e32 v17, vcc_lo, v25, v17, vcc_lo
	s_delay_alu instid0(VALU_DEP_3) | instskip(NEXT) | instid1(VALU_DEP_4)
	v_add_co_u32 v20, vcc_lo, v24, v20
	v_add_co_ci_u32_e32 v21, vcc_lo, v25, v21, vcc_lo
	s_waitcnt lgkmcnt(3)
	global_store_b128 v[18:19], v[0:3], off
	s_waitcnt lgkmcnt(2)
	global_store_b128 v[22:23], v[4:7], off
	s_waitcnt lgkmcnt(1)
	global_store_b128 v[16:17], v[8:11], off
	s_waitcnt lgkmcnt(0)
	global_store_b128 v[20:21], v[12:15], off
	s_nop 0
	s_sendmsg sendmsg(MSG_DEALLOC_VGPRS)
	s_endpgm
	.section	.rodata,"a",@progbits
	.p2align	6, 0x0
	.amdhsa_kernel _Z39paged_attention_ll4mi_QKV_mfma16_kernelI14__hip_bfloat16hLN4vllm18Fp8KVCacheDataTypeE1EhLi32ELi128ELi256ELb0ELi8EL8MFMAType1EEvPKT_PKT0_S9_ifPKiSB_SB_iPKfiiiPfSE_PS4_PT2_iSD_SD_
		.amdhsa_group_segment_fixed_size 17472
		.amdhsa_private_segment_fixed_size 0
		.amdhsa_kernarg_size 400
		.amdhsa_user_sgpr_count 13
		.amdhsa_user_sgpr_dispatch_ptr 0
		.amdhsa_user_sgpr_queue_ptr 0
		.amdhsa_user_sgpr_kernarg_segment_ptr 1
		.amdhsa_user_sgpr_dispatch_id 0
		.amdhsa_user_sgpr_private_segment_size 0
		.amdhsa_wavefront_size32 1
		.amdhsa_uses_dynamic_stack 0
		.amdhsa_enable_private_segment 0
		.amdhsa_system_sgpr_workgroup_id_x 1
		.amdhsa_system_sgpr_workgroup_id_y 1
		.amdhsa_system_sgpr_workgroup_id_z 1
		.amdhsa_system_sgpr_workgroup_info 0
		.amdhsa_system_vgpr_workitem_id 0
		.amdhsa_next_free_vgpr 140
		.amdhsa_next_free_sgpr 36
		.amdhsa_reserve_vcc 1
		.amdhsa_float_round_mode_32 0
		.amdhsa_float_round_mode_16_64 0
		.amdhsa_float_denorm_mode_32 3
		.amdhsa_float_denorm_mode_16_64 3
		.amdhsa_dx10_clamp 1
		.amdhsa_ieee_mode 1
		.amdhsa_fp16_overflow 0
		.amdhsa_workgroup_processor_mode 1
		.amdhsa_memory_ordered 1
		.amdhsa_forward_progress 0
		.amdhsa_shared_vgpr_count 0
		.amdhsa_exception_fp_ieee_invalid_op 0
		.amdhsa_exception_fp_denorm_src 0
		.amdhsa_exception_fp_ieee_div_zero 0
		.amdhsa_exception_fp_ieee_overflow 0
		.amdhsa_exception_fp_ieee_underflow 0
		.amdhsa_exception_fp_ieee_inexact 0
		.amdhsa_exception_int_div_zero 0
	.end_amdhsa_kernel
	.section	.text._Z39paged_attention_ll4mi_QKV_mfma16_kernelI14__hip_bfloat16hLN4vllm18Fp8KVCacheDataTypeE1EhLi32ELi128ELi256ELb0ELi8EL8MFMAType1EEvPKT_PKT0_S9_ifPKiSB_SB_iPKfiiiPfSE_PS4_PT2_iSD_SD_,"axG",@progbits,_Z39paged_attention_ll4mi_QKV_mfma16_kernelI14__hip_bfloat16hLN4vllm18Fp8KVCacheDataTypeE1EhLi32ELi128ELi256ELb0ELi8EL8MFMAType1EEvPKT_PKT0_S9_ifPKiSB_SB_iPKfiiiPfSE_PS4_PT2_iSD_SD_,comdat
.Lfunc_end1613:
	.size	_Z39paged_attention_ll4mi_QKV_mfma16_kernelI14__hip_bfloat16hLN4vllm18Fp8KVCacheDataTypeE1EhLi32ELi128ELi256ELb0ELi8EL8MFMAType1EEvPKT_PKT0_S9_ifPKiSB_SB_iPKfiiiPfSE_PS4_PT2_iSD_SD_, .Lfunc_end1613-_Z39paged_attention_ll4mi_QKV_mfma16_kernelI14__hip_bfloat16hLN4vllm18Fp8KVCacheDataTypeE1EhLi32ELi128ELi256ELb0ELi8EL8MFMAType1EEvPKT_PKT0_S9_ifPKiSB_SB_iPKfiiiPfSE_PS4_PT2_iSD_SD_
                                        ; -- End function
	.section	.AMDGPU.csdata,"",@progbits
; Kernel info:
; codeLenInByte = 8860
; NumSgprs: 38
; NumVgprs: 140
; ScratchSize: 0
; MemoryBound: 0
; FloatMode: 240
; IeeeMode: 1
; LDSByteSize: 17472 bytes/workgroup (compile time only)
; SGPRBlocks: 4
; VGPRBlocks: 17
; NumSGPRsForWavesPerEU: 38
; NumVGPRsForWavesPerEU: 140
; Occupancy: 10
; WaveLimiterHint : 1
; COMPUTE_PGM_RSRC2:SCRATCH_EN: 0
; COMPUTE_PGM_RSRC2:USER_SGPR: 13
; COMPUTE_PGM_RSRC2:TRAP_HANDLER: 0
; COMPUTE_PGM_RSRC2:TGID_X_EN: 1
; COMPUTE_PGM_RSRC2:TGID_Y_EN: 1
; COMPUTE_PGM_RSRC2:TGID_Z_EN: 1
; COMPUTE_PGM_RSRC2:TIDIG_COMP_CNT: 0
	.section	.text._Z39paged_attention_ll4mi_QKV_mfma16_kernelI14__hip_bfloat16hLN4vllm18Fp8KVCacheDataTypeE1EhLi32ELi128ELi256ELb0ELi9EL8MFMAType1EEvPKT_PKT0_S9_ifPKiSB_SB_iPKfiiiPfSE_PS4_PT2_iSD_SD_,"axG",@progbits,_Z39paged_attention_ll4mi_QKV_mfma16_kernelI14__hip_bfloat16hLN4vllm18Fp8KVCacheDataTypeE1EhLi32ELi128ELi256ELb0ELi9EL8MFMAType1EEvPKT_PKT0_S9_ifPKiSB_SB_iPKfiiiPfSE_PS4_PT2_iSD_SD_,comdat
	.protected	_Z39paged_attention_ll4mi_QKV_mfma16_kernelI14__hip_bfloat16hLN4vllm18Fp8KVCacheDataTypeE1EhLi32ELi128ELi256ELb0ELi9EL8MFMAType1EEvPKT_PKT0_S9_ifPKiSB_SB_iPKfiiiPfSE_PS4_PT2_iSD_SD_ ; -- Begin function _Z39paged_attention_ll4mi_QKV_mfma16_kernelI14__hip_bfloat16hLN4vllm18Fp8KVCacheDataTypeE1EhLi32ELi128ELi256ELb0ELi9EL8MFMAType1EEvPKT_PKT0_S9_ifPKiSB_SB_iPKfiiiPfSE_PS4_PT2_iSD_SD_
	.globl	_Z39paged_attention_ll4mi_QKV_mfma16_kernelI14__hip_bfloat16hLN4vllm18Fp8KVCacheDataTypeE1EhLi32ELi128ELi256ELb0ELi9EL8MFMAType1EEvPKT_PKT0_S9_ifPKiSB_SB_iPKfiiiPfSE_PS4_PT2_iSD_SD_
	.p2align	8
	.type	_Z39paged_attention_ll4mi_QKV_mfma16_kernelI14__hip_bfloat16hLN4vllm18Fp8KVCacheDataTypeE1EhLi32ELi128ELi256ELb0ELi9EL8MFMAType1EEvPKT_PKT0_S9_ifPKiSB_SB_iPKfiiiPfSE_PS4_PT2_iSD_SD_,@function
_Z39paged_attention_ll4mi_QKV_mfma16_kernelI14__hip_bfloat16hLN4vllm18Fp8KVCacheDataTypeE1EhLi32ELi128ELi256ELb0ELi9EL8MFMAType1EEvPKT_PKT0_S9_ifPKiSB_SB_iPKfiiiPfSE_PS4_PT2_iSD_SD_: ; @_Z39paged_attention_ll4mi_QKV_mfma16_kernelI14__hip_bfloat16hLN4vllm18Fp8KVCacheDataTypeE1EhLi32ELi128ELi256ELb0ELi9EL8MFMAType1EEvPKT_PKT0_S9_ifPKiSB_SB_iPKfiiiPfSE_PS4_PT2_iSD_SD_
; %bb.0:
	s_load_b64 s[4:5], s[0:1], 0x30
	s_mov_b32 s30, s13
	s_waitcnt lgkmcnt(0)
	s_cmp_lg_u64 s[4:5], 0
	s_cselect_b32 s13, -1, 0
	s_ashr_i32 s31, s30, 31
	s_cmp_eq_u64 s[4:5], 0
	s_cbranch_scc1 .LBB1614_3
; %bb.1:
	s_lshl_b64 s[2:3], s[30:31], 2
	s_delay_alu instid0(SALU_CYCLE_1) | instskip(SKIP_4) | instid1(SALU_CYCLE_1)
	s_add_u32 s2, s4, s2
	s_addc_u32 s3, s5, s3
	s_load_b64 s[2:3], s[2:3], 0x0
	s_waitcnt lgkmcnt(0)
	s_sub_i32 s2, s3, s2
	s_cmp_eq_u32 s2, 1
	s_cselect_b32 s2, -1, 0
	s_delay_alu instid0(SALU_CYCLE_1)
	s_and_not1_b32 vcc_lo, exec_lo, s2
	s_cbranch_vccz .LBB1614_4
.LBB1614_2:
	s_nop 0
	s_sendmsg sendmsg(MSG_DEALLOC_VGPRS)
	s_endpgm
.LBB1614_3:
.LBB1614_4:
	s_load_b64 s[2:3], s[0:1], 0x28
	s_lshl_b64 s[6:7], s[30:31], 2
	s_waitcnt lgkmcnt(0)
	s_add_u32 s2, s2, s6
	s_addc_u32 s3, s3, s7
	s_lshl_b32 s12, s14, 8
	s_load_b32 s17, s[2:3], 0x0
	s_waitcnt lgkmcnt(0)
	s_cmp_ge_i32 s12, s17
	s_cbranch_scc1 .LBB1614_2
; %bb.5:
	s_clause 0x1
	s_load_b128 s[8:11], s[0:1], 0x8
	s_load_b64 s[2:3], s[0:1], 0x20
	s_and_not1_b32 vcc_lo, exec_lo, s13
	s_cbranch_vccnz .LBB1614_7
; %bb.6:
	s_add_u32 s4, s4, s6
	s_addc_u32 s5, s5, s7
	s_load_b32 s13, s[4:5], 0x0
	s_branch .LBB1614_8
.LBB1614_7:
	s_mov_b32 s13, s30
.LBB1614_8:
	s_load_b128 s[4:7], s[0:1], 0x48
	v_and_b32_e32 v65, 15, v0
	v_lshrrev_b32_e32 v66, 5, v0
	v_bfe_u32 v74, v0, 4, 1
	v_and_b32_e32 v67, 31, v0
	v_and_b32_e32 v75, 1, v0
	v_lshlrev_b32_e32 v2, 3, v65
	s_mul_i32 s31, s15, 9
	v_lshl_or_b32 v1, v66, 1, v74
	s_waitcnt lgkmcnt(0)
	s_mov_b32 s7, exec_lo
	v_lshlrev_b32_e32 v73, 1, v2
	s_delay_alu instid0(VALU_DEP_2)
	v_cmpx_gt_u32_e32 9, v1
	s_cbranch_execz .LBB1614_10
; %bb.9:
	s_load_b64 s[18:19], s[0:1], 0x0
	v_add_lshl_u32 v2, v1, s31, 7
	s_mul_hi_i32 s21, s13, s4
	s_mul_i32 s20, s13, s4
	v_lshlrev_b32_e32 v6, 10, v65
	s_lshl_b64 s[20:21], s[20:21], 1
	v_ashrrev_i32_e32 v3, 31, v2
	v_lshlrev_b32_e32 v1, 6, v1
	v_lshlrev_b32_e32 v7, 10, v75
	v_and_b32_e32 v6, 0x3800, v6
	s_delay_alu instid0(VALU_DEP_4) | instskip(NEXT) | instid1(VALU_DEP_2)
	v_lshlrev_b64 v[2:3], 1, v[2:3]
	v_or3_b32 v1, v6, v7, v1
	s_waitcnt lgkmcnt(0)
	s_add_u32 s4, s18, s20
	s_addc_u32 s13, s19, s21
	s_delay_alu instid0(VALU_DEP_2) | instskip(SKIP_1) | instid1(VALU_DEP_2)
	v_add_co_u32 v2, vcc_lo, s4, v2
	v_add_co_ci_u32_e32 v3, vcc_lo, s13, v3, vcc_lo
	v_add_co_u32 v2, vcc_lo, v2, v73
	s_delay_alu instid0(VALU_DEP_2)
	v_add_co_ci_u32_e32 v3, vcc_lo, 0, v3, vcc_lo
	global_load_b128 v[2:5], v[2:3], off
	s_waitcnt vmcnt(0)
	ds_store_b128 v1, v[2:5]
.LBB1614_10:
	s_or_b32 exec_lo, exec_lo, s7
	v_and_b32_e32 v1, 0xef, v0
	s_add_i32 s4, s17, 31
	s_clause 0x1
	s_load_b32 s7, s[0:1], 0x38
	s_load_b32 s18, s[0:1], 0x1c
	s_ashr_i32 s13, s4, 31
	v_add_nc_u32_e32 v1, s12, v1
	s_lshr_b32 s13, s13, 27
	s_waitcnt lgkmcnt(0)
	s_add_i32 s4, s4, s13
	s_barrier
	v_ashrrev_i32_e32 v2, 31, v1
	v_or_b32_e32 v3, 16, v1
	s_ashr_i32 s4, s4, 5
	v_cmp_gt_i32_e32 vcc_lo, s17, v1
	s_add_i32 s4, s4, -1
	v_lshrrev_b32_e32 v2, 27, v2
	buffer_gl0_inv
	s_mul_i32 s15, s15, s6
	v_add_nc_u32_e32 v4, v1, v2
	s_mul_i32 s20, s30, s7
	s_delay_alu instid0(SALU_CYCLE_1) | instskip(NEXT) | instid1(VALU_DEP_1)
	s_ashr_i32 s21, s20, 31
	v_ashrrev_i32_e32 v4, 5, v4
	v_add_nc_u32_e32 v2, v3, v2
	s_lshl_b64 s[20:21], s[20:21], 2
	s_delay_alu instid0(SALU_CYCLE_1) | instskip(NEXT) | instid1(VALU_DEP_2)
	s_add_u32 s13, s2, s20
	v_cndmask_b32_e32 v1, s4, v4, vcc_lo
	s_delay_alu instid0(VALU_DEP_2)
	v_ashrrev_i32_e32 v2, 5, v2
	v_cmp_gt_i32_e32 vcc_lo, s17, v3
	s_addc_u32 s16, s3, s21
	s_ashr_i32 s19, s15, 31
	s_add_u32 s2, s8, s15
	s_addc_u32 s3, s9, s19
	v_cndmask_b32_e32 v3, s4, v2, vcc_lo
	v_ashrrev_i32_e32 v2, 31, v1
	s_lshl_b32 s6, s14, 3
	s_delay_alu instid0(SALU_CYCLE_1) | instskip(NEXT) | instid1(VALU_DEP_2)
	s_ashr_i32 s7, s6, 31
	v_ashrrev_i32_e32 v4, 31, v3
	s_delay_alu instid0(VALU_DEP_2) | instskip(SKIP_1) | instid1(SALU_CYCLE_1)
	v_lshlrev_b64 v[1:2], 2, v[1:2]
	s_lshl_b64 s[6:7], s[6:7], 2
	s_add_u32 s6, s13, s6
	s_delay_alu instid0(VALU_DEP_2) | instskip(SKIP_1) | instid1(VALU_DEP_2)
	v_lshlrev_b64 v[3:4], 2, v[3:4]
	s_addc_u32 s7, s16, s7
	v_add_co_u32 v1, vcc_lo, s13, v1
	v_add_co_ci_u32_e32 v2, vcc_lo, s16, v2, vcc_lo
	s_delay_alu instid0(VALU_DEP_3) | instskip(NEXT) | instid1(VALU_DEP_4)
	v_add_co_u32 v3, vcc_lo, s13, v3
	v_add_co_ci_u32_e32 v4, vcc_lo, s16, v4, vcc_lo
	s_clause 0x1
	global_load_b32 v5, v[1:2], off
	global_load_b32 v6, v[3:4], off
	s_or_b32 s8, s12, 32
	s_delay_alu instid0(SALU_CYCLE_1) | instskip(SKIP_2) | instid1(SALU_CYCLE_1)
	s_ashr_i32 s9, s8, 5
	s_cmp_lt_i32 s8, s17
	s_cselect_b32 s8, s9, s4
	s_ashr_i32 s9, s8, 31
	s_delay_alu instid0(SALU_CYCLE_1) | instskip(NEXT) | instid1(SALU_CYCLE_1)
	s_lshl_b64 s[8:9], s[8:9], 2
	s_add_u32 s8, s13, s8
	s_addc_u32 s9, s16, s9
	s_or_b32 s20, s12, 64
	s_delay_alu instid0(SALU_CYCLE_1) | instskip(SKIP_2) | instid1(SALU_CYCLE_1)
	s_ashr_i32 s21, s20, 5
	s_cmp_lt_i32 s20, s17
	s_cselect_b32 s20, s21, s4
	s_ashr_i32 s21, s20, 31
	s_delay_alu instid0(SALU_CYCLE_1) | instskip(NEXT) | instid1(SALU_CYCLE_1)
	s_lshl_b64 s[20:21], s[20:21], 2
	s_add_u32 s20, s13, s20
	s_addc_u32 s21, s16, s21
	;; [unrolled: 10-line block ×5, first 2 shown]
	s_clause 0x5
	s_load_b32 s28, s[6:7], 0x0
	s_load_b32 s8, s[8:9], 0x0
	s_load_b32 s9, s[20:21], 0x0
	s_load_b32 s29, s[22:23], 0x0
	s_load_b32 s33, s[24:25], 0x0
	s_load_b32 s34, s[26:27], 0x0
	s_mov_b32 s20, 0
	s_delay_alu instid0(SALU_CYCLE_1)
	s_mov_b32 s21, s20
	s_mov_b32 s22, s20
	;; [unrolled: 1-line block ×7, first 2 shown]
	s_delay_alu instid0(SALU_CYCLE_1)
	v_dual_mov_b32 v107, s27 :: v_dual_mov_b32 v106, s26
	v_dual_mov_b32 v104, s24 :: v_dual_mov_b32 v103, s23
	;; [unrolled: 1-line block ×3, first 2 shown]
	v_mov_b32_e32 v100, s20
	s_waitcnt vmcnt(1)
	v_mad_i64_i32 v[1:2], null, v5, s5, s[2:3]
	v_lshlrev_b32_e32 v5, 4, v65
	s_waitcnt vmcnt(0)
	v_mad_i64_i32 v[3:4], null, v6, s5, s[2:3]
	s_or_b32 s2, s12, 0xc0
	s_delay_alu instid0(SALU_CYCLE_1) | instskip(NEXT) | instid1(VALU_DEP_3)
	s_ashr_i32 s3, s2, 5
	v_add_co_u32 v33, vcc_lo, v1, v5
	s_delay_alu instid0(VALU_DEP_4) | instskip(NEXT) | instid1(VALU_DEP_3)
	v_add_co_ci_u32_e32 v34, vcc_lo, 0, v2, vcc_lo
	v_add_co_u32 v35, vcc_lo, v3, v5
	s_delay_alu instid0(VALU_DEP_4)
	v_add_co_ci_u32_e32 v36, vcc_lo, 0, v4, vcc_lo
	s_clause 0xf
	global_load_b128 v[1:4], v[33:34], off
	global_load_b128 v[5:8], v[33:34], off offset:512
	global_load_b128 v[9:12], v[35:36], off offset:256
	;; [unrolled: 1-line block ×15, first 2 shown]
	s_cmp_lt_i32 s2, s17
	v_add_nc_u32_e32 v33, -9, v65
	s_cselect_b32 s2, s3, s4
	v_cmp_gt_u32_e32 vcc_lo, 9, v65
	s_ashr_i32 s3, s2, 31
	v_lshlrev_b32_e32 v34, 5, v65
	s_lshl_b64 s[2:3], s[2:3], 2
	s_delay_alu instid0(SALU_CYCLE_1)
	s_add_u32 s2, s13, s2
	s_addc_u32 s3, s16, s3
	s_or_b32 s6, s12, 0xe0
	v_cndmask_b32_e32 v33, v33, v65, vcc_lo
	s_ashr_i32 s7, s6, 5
	s_cmp_lt_i32 s6, s17
	v_mov_b32_e32 v105, s25
	s_cselect_b32 s6, s7, s4
	v_lshlrev_b32_e32 v72, 6, v33
	s_ashr_i32 s7, s6, 31
	v_lshl_or_b32 v41, v66, 9, v34
	s_lshl_b64 s[6:7], s[6:7], 2
	ds_load_b128 v[33:36], v72
	ds_load_b128 v[37:40], v72 offset:1024
	ds_load_b128 v[108:111], v72 offset:2048
	;; [unrolled: 1-line block ×3, first 2 shown]
	s_load_b32 s4, s[2:3], 0x0
	s_add_u32 s2, s13, s6
	s_addc_u32 s3, s16, s7
	ds_load_b128 v[116:119], v72 offset:4096
	ds_load_b128 v[120:123], v72 offset:5120
	s_load_b32 s2, s[2:3], 0x0
	s_add_u32 s6, s10, s15
	s_addc_u32 s7, s11, s19
	v_add_co_u32 v68, s6, s6, v41
	s_delay_alu instid0(VALU_DEP_1) | instskip(SKIP_1) | instid1(VALU_DEP_1)
	v_add_co_ci_u32_e64 v69, null, s7, 0, s6
	s_waitcnt lgkmcnt(0)
	v_mad_i64_i32 v[41:42], null, s28, s5, v[68:69]
	v_mad_i64_i32 v[70:71], null, s9, s5, v[68:69]
	;; [unrolled: 1-line block ×7, first 2 shown]
	s_clause 0x3
	global_load_b128 v[49:52], v[41:42], off
	global_load_b128 v[53:56], v[41:42], off offset:16
	global_load_b128 v[41:44], v[45:46], off
	global_load_b128 v[45:48], v[45:46], off offset:16
	s_waitcnt vmcnt(18)
	v_wmma_f32_16x16x16_bf16 v[124:131], v[1:8], v[33:40], v[100:107]
	s_waitcnt vmcnt(16)
	v_wmma_f32_16x16x16_bf16 v[100:107], v[9:16], v[33:40], v[100:107]
	s_clause 0x1
	global_load_b128 v[33:36], v[70:71], off
	global_load_b128 v[37:40], v[70:71], off offset:16
	v_mad_i64_i32 v[70:71], null, s2, s5, v[68:69]
	s_waitcnt vmcnt(16)
	v_wmma_f32_16x16x16_bf16 v[124:131], v[17:24], v[108:115], v[124:131]
	s_waitcnt vmcnt(14)
	v_wmma_f32_16x16x16_bf16 v[100:107], v[25:32], v[108:115], v[100:107]
	s_clause 0x7
	global_load_b128 v[25:28], v[132:133], off
	global_load_b128 v[29:32], v[132:133], off offset:16
	global_load_b128 v[1:4], v[134:135], off
	global_load_b128 v[5:8], v[134:135], off offset:16
	;; [unrolled: 2-line block ×4, first 2 shown]
	s_waitcnt vmcnt(20)
	v_wmma_f32_16x16x16_bf16 v[124:131], v[57:64], v[116:123], v[124:131]
	s_clause 0x1
	global_load_b128 v[57:60], v[70:71], off
	global_load_b128 v[61:64], v[70:71], off offset:16
	s_waitcnt vmcnt(20)
	v_wmma_f32_16x16x16_bf16 v[100:107], v[76:83], v[116:123], v[100:107]
	ds_load_b128 v[76:79], v72 offset:6144
	ds_load_b128 v[80:83], v72 offset:7168
	v_and_b32_e32 v68, 0xe0, v0
	v_mbcnt_lo_u32_b32 v69, -1, 0
	s_waitcnt vmcnt(0) lgkmcnt(0)
	s_barrier
	buffer_gl0_inv
	v_add_nc_u32_e32 v68, s12, v68
	v_xor_b32_e32 v70, 16, v69
	s_delay_alu instid0(VALU_DEP_2) | instskip(NEXT) | instid1(VALU_DEP_2)
	v_or_b32_e32 v68, v68, v74
	v_cmp_gt_i32_e32 vcc_lo, 32, v70
	s_delay_alu instid0(VALU_DEP_2)
	v_or_b32_e32 v71, 4, v68
	v_or_b32_e32 v72, 6, v68
	v_cmp_gt_i32_e64 s2, s17, v68
	v_or_b32_e32 v108, 8, v68
	v_wmma_f32_16x16x16_bf16 v[124:131], v[84:91], v[76:83], v[124:131]
	v_cndmask_b32_e32 v69, v69, v70, vcc_lo
	v_or_b32_e32 v70, 2, v68
	v_wmma_f32_16x16x16_bf16 v[100:107], v[92:99], v[76:83], v[100:107]
	v_or_b32_e32 v109, 10, v68
	v_dual_mul_f32 v80, s18, v129 :: v_dual_mul_f32 v81, s18, v128
	v_dual_mul_f32 v92, s18, v125 :: v_dual_mul_f32 v93, s18, v124
	s_delay_alu instid0(VALU_DEP_4)
	v_mul_f32_e32 v96, s18, v105
	v_cmp_gt_i32_e32 vcc_lo, s17, v70
	v_or_b32_e32 v89, 22, v68
	v_dual_mul_f32 v79, s18, v130 :: v_dual_mul_f32 v82, s18, v127
	v_dual_mul_f32 v83, s18, v126 :: v_dual_mul_f32 v94, s18, v107
	v_cndmask_b32_e64 v93, 0xff7fffff, v93, s2
	v_cndmask_b32_e32 v92, 0xff7fffff, v92, vcc_lo
	v_cmp_gt_i32_e64 s3, s17, v71
	v_cmp_gt_i32_e64 s4, s17, v72
	v_or_b32_e32 v84, 12, v68
	v_or_b32_e32 v85, 14, v68
	v_cmp_gt_i32_e64 s5, s17, v108
	v_cndmask_b32_e64 v71, 0xff7fffff, v83, s3
	v_cndmask_b32_e64 v72, 0xff7fffff, v82, s4
	v_cmp_gt_i32_e64 s6, s17, v109
	v_cmp_gt_i32_e64 s12, s17, v89
	v_lshlrev_b32_e32 v89, 2, v69
	v_max3_f32 v82, v93, 0xff7fffff, v92
	v_or_b32_e32 v86, 16, v68
	v_or_b32_e32 v87, 18, v68
	v_mul_f32_e32 v78, s18, v131
	v_cndmask_b32_e64 v81, 0xff7fffff, v81, s5
	v_cndmask_b32_e64 v80, 0xff7fffff, v80, s6
	v_max3_f32 v71, v82, v71, v72
	v_cmp_gt_i32_e64 s7, s17, v84
	v_cmp_gt_i32_e64 s8, s17, v85
	v_or_b32_e32 v88, 20, v68
	v_or_b32_e32 v90, 24, v68
	;; [unrolled: 1-line block ×5, first 2 shown]
	v_dual_mul_f32 v97, s18, v104 :: v_dual_mul_f32 v70, s18, v101
	v_dual_mul_f32 v99, s18, v102 :: v_dual_mul_f32 v68, s18, v100
	v_cndmask_b32_e64 v72, 0xff7fffff, v79, s7
	v_cndmask_b32_e64 v78, 0xff7fffff, v78, s8
	v_max3_f32 v71, v71, v81, v80
	v_cmp_gt_i32_e64 s9, s17, v86
	v_cmp_gt_i32_e64 s10, s17, v87
	v_dual_mul_f32 v95, s18, v106 :: v_dual_mul_f32 v98, s18, v103
	s_delay_alu instid0(VALU_DEP_4) | instskip(NEXT) | instid1(VALU_DEP_4)
	v_max3_f32 v71, v71, v72, v78
	v_cndmask_b32_e64 v68, 0xff7fffff, v68, s9
	s_delay_alu instid0(VALU_DEP_4)
	v_cndmask_b32_e64 v70, 0xff7fffff, v70, s10
	v_cmp_gt_i32_e64 s11, s17, v88
	v_cndmask_b32_e64 v78, 0xff7fffff, v98, s12
	v_cmp_gt_i32_e64 s13, s17, v90
	v_cmp_gt_i32_e64 s15, s17, v91
	v_max3_f32 v68, v71, v68, v70
	v_cndmask_b32_e64 v72, 0xff7fffff, v99, s11
	v_cmp_gt_i32_e64 s16, s17, v76
	v_cndmask_b32_e64 v70, 0xff7fffff, v97, s13
	v_cndmask_b32_e64 v71, 0xff7fffff, v96, s15
	v_cmp_gt_i32_e64 s17, s17, v77
	v_max3_f32 v68, v68, v72, v78
	v_cndmask_b32_e64 v72, 0xff7fffff, v95, s16
	s_delay_alu instid0(VALU_DEP_3) | instskip(NEXT) | instid1(VALU_DEP_3)
	v_cndmask_b32_e64 v76, 0xff7fffff, v94, s17
	v_max3_f32 v68, v68, v70, v71
	s_delay_alu instid0(VALU_DEP_1) | instskip(SKIP_3) | instid1(VALU_DEP_1)
	v_max3_f32 v68, v68, v72, v76
	ds_bpermute_b32 v69, v89, v68
	s_waitcnt lgkmcnt(0)
	v_max_f32_e32 v69, v69, v69
	v_max_f32_e32 v68, v68, v69
	s_delay_alu instid0(VALU_DEP_1) | instskip(NEXT) | instid1(VALU_DEP_1)
	v_fma_f32 v71, s18, v126, -v68
	v_mul_f32_e32 v71, 0x3fb8aa3b, v71
	v_fma_f32 v70, s18, v125, -v68
	v_fma_f32 v69, s18, v124, -v68
	v_fma_f32 v76, s18, v128, -v68
	v_fma_f32 v72, s18, v127, -v68
	v_fma_f32 v78, s18, v130, -v68
	s_delay_alu instid0(VALU_DEP_4) | instskip(SKIP_1) | instid1(VALU_DEP_3)
	v_dual_mul_f32 v70, 0x3fb8aa3b, v70 :: v_dual_mul_f32 v69, 0x3fb8aa3b, v69
	v_exp_f32_e32 v71, v71
	v_mul_f32_e32 v72, 0x3fb8aa3b, v72
	v_fma_f32 v81, s18, v105, -v68
	s_delay_alu instid0(VALU_DEP_3)
	v_exp_f32_e32 v70, v70
	v_mul_f32_e32 v77, 0x3fb8aa3b, v76
	v_exp_f32_e32 v69, v69
	v_exp_f32_e32 v72, v72
	v_mul_f32_e32 v81, 0x3fb8aa3b, v81
	v_cndmask_b32_e64 v83, 0, v71, s3
	v_fma_f32 v71, s18, v131, -v68
	s_delay_alu instid0(VALU_DEP_3) | instskip(SKIP_4) | instid1(TRANS32_DEP_3)
	v_exp_f32_e32 v81, v81
	v_cndmask_b32_e32 v76, 0, v70, vcc_lo
	v_exp_f32_e32 v77, v77
	v_cndmask_b32_e64 v80, 0, v69, s2
	v_fma_f32 v69, s18, v129, -v68
	v_cndmask_b32_e64 v85, 0, v72, s4
	v_mul_f32_e32 v71, 0x3fb8aa3b, v71
	v_fma_f32 v72, s18, v100, -v68
	s_delay_alu instid0(VALU_DEP_4) | instskip(SKIP_1) | instid1(VALU_DEP_4)
	v_dual_add_f32 v70, 0, v80 :: v_dual_mul_f32 v69, 0x3fb8aa3b, v69
	v_cmp_gt_u32_e64 s2, 16, v67
	v_exp_f32_e32 v71, v71
	s_delay_alu instid0(TRANS32_DEP_2) | instskip(SKIP_4) | instid1(VALU_DEP_3)
	v_cndmask_b32_e64 v86, 0, v77, s5
	v_fma_f32 v77, s18, v101, -v68
	v_mul_f32_e32 v78, 0x3fb8aa3b, v78
	v_add_f32_e32 v70, v70, v76
	v_exp_f32_e32 v69, v69
	v_mul_f32_e32 v77, 0x3fb8aa3b, v77
	s_delay_alu instid0(VALU_DEP_3) | instskip(NEXT) | instid1(TRANS32_DEP_3)
	v_exp_f32_e32 v78, v78
	v_cndmask_b32_e64 v88, 0, v71, s8
	v_fma_f32 v71, s18, v104, -v68
	s_delay_alu instid0(VALU_DEP_3) | instskip(NEXT) | instid1(TRANS32_DEP_3)
	v_exp_f32_e32 v77, v77
	v_cndmask_b32_e64 v87, 0, v69, s6
	s_delay_alu instid0(VALU_DEP_2)
	v_mul_f32_e32 v71, 0x3fb8aa3b, v71
	s_waitcnt_depctr 0xfff
	v_cndmask_b32_e64 v84, 0, v78, s7
	v_add_f32_e32 v70, v70, v83
	v_fma_f32 v78, s18, v103, -v68
	v_exp_f32_e32 v82, v71
	s_delay_alu instid0(VALU_DEP_2) | instskip(SKIP_1) | instid1(VALU_DEP_3)
	v_add_f32_e32 v70, v70, v85
	v_mul_f32_e32 v72, 0x3fb8aa3b, v72
	v_mul_f32_e32 v78, 0x3fb8aa3b, v78
	s_delay_alu instid0(VALU_DEP_3) | instskip(SKIP_1) | instid1(VALU_DEP_4)
	v_add_f32_e32 v69, v70, v86
	v_fma_f32 v70, s18, v102, -v68
	v_exp_f32_e32 v72, v72
	s_delay_alu instid0(VALU_DEP_3) | instskip(NEXT) | instid1(VALU_DEP_1)
	v_exp_f32_e32 v78, v78
	v_dual_add_f32 v69, v69, v87 :: v_dual_mul_f32 v70, 0x3fb8aa3b, v70
	s_delay_alu instid0(VALU_DEP_1) | instskip(NEXT) | instid1(VALU_DEP_2)
	v_add_f32_e32 v69, v69, v84
	v_exp_f32_e32 v79, v70
	s_delay_alu instid0(TRANS32_DEP_3) | instskip(NEXT) | instid1(VALU_DEP_2)
	v_cndmask_b32_e64 v70, 0, v72, s9
	v_add_f32_e32 v72, v69, v88
	v_cndmask_b32_e64 v69, 0, v77, s10
	v_fma_f32 v77, s18, v106, -v68
	s_waitcnt_depctr 0xfff
	v_cndmask_b32_e64 v71, 0, v79, s11
	v_dual_mul_f32 v77, 0x3fb8aa3b, v77 :: v_dual_add_f32 v72, v72, v70
	s_delay_alu instid0(VALU_DEP_1) | instskip(NEXT) | instid1(VALU_DEP_1)
	v_exp_f32_e32 v90, v77
	v_add_f32_e32 v79, v72, v69
	v_cndmask_b32_e64 v72, 0, v78, s12
	v_cndmask_b32_e64 v77, 0, v82, s13
	s_delay_alu instid0(VALU_DEP_3) | instskip(SKIP_1) | instid1(VALU_DEP_1)
	v_add_f32_e32 v78, v79, v71
	v_fma_f32 v79, s18, v107, -v68
	v_dual_add_f32 v82, v78, v72 :: v_dual_mul_f32 v79, 0x3fb8aa3b, v79
	v_cndmask_b32_e64 v78, 0, v81, s15
	s_delay_alu instid0(VALU_DEP_2) | instskip(NEXT) | instid1(VALU_DEP_3)
	v_add_f32_e32 v81, v82, v77
	v_exp_f32_e32 v82, v79
	v_cndmask_b32_e64 v79, 0, v90, s16
	s_delay_alu instid0(VALU_DEP_2) | instskip(NEXT) | instid1(VALU_DEP_1)
	v_add_f32_e32 v81, v81, v78
	v_add_f32_e32 v90, v81, v79
	s_waitcnt_depctr 0xfff
	v_cndmask_b32_e64 v81, 0, v82, s17
	s_delay_alu instid0(VALU_DEP_1)
	v_add_f32_e32 v82, v90, v81
	ds_bpermute_b32 v89, v89, v82
	s_and_saveexec_b32 s3, s2
	s_cbranch_execz .LBB1614_12
; %bb.11:
	v_mul_u32_u24_e32 v67, 0x44, v66
	s_delay_alu instid0(VALU_DEP_1) | instskip(SKIP_1) | instid1(VALU_DEP_1)
	v_lshl_add_u32 v67, v65, 2, v67
	s_waitcnt lgkmcnt(0)
	v_dual_add_f32 v82, v82, v89 :: v_dual_add_nc_u32 v67, 0x4000, v67
	ds_store_2addr_b32 v67, v68, v82 offset1:136
.LBB1614_12:
	s_or_b32 exec_lo, exec_lo, s3
	v_lshlrev_b32_e32 v67, 2, v65
	s_waitcnt lgkmcnt(0)
	s_barrier
	buffer_gl0_inv
	v_cmp_eq_u32_e32 vcc_lo, 1, v66
	v_add_nc_u32_e32 v82, 0x4000, v67
	v_cmp_eq_u32_e64 s3, 2, v66
	v_cmp_eq_u32_e64 s5, 7, v66
	ds_load_2addr_b32 v[89:90], v82 offset1:17
	ds_load_2addr_b32 v[91:92], v82 offset0:34 offset1:51
	ds_load_2addr_b32 v[93:94], v82 offset0:68 offset1:85
	;; [unrolled: 1-line block ×4, first 2 shown]
	s_waitcnt lgkmcnt(4)
	v_max3_f32 v67, v89, 0xff7fffff, v90
	s_waitcnt lgkmcnt(3)
	s_delay_alu instid0(VALU_DEP_1) | instskip(SKIP_1) | instid1(VALU_DEP_1)
	v_max3_f32 v67, v67, v91, v92
	s_waitcnt lgkmcnt(2)
	v_max3_f32 v67, v67, v93, v94
	s_waitcnt lgkmcnt(1)
	s_delay_alu instid0(VALU_DEP_1) | instskip(NEXT) | instid1(VALU_DEP_1)
	v_max3_f32 v67, v67, v95, v96
	v_sub_f32_e32 v93, v93, v67
	s_delay_alu instid0(VALU_DEP_1) | instskip(NEXT) | instid1(VALU_DEP_1)
	v_dual_sub_f32 v68, v89, v67 :: v_dual_mul_f32 v103, 0x3fb8aa3b, v93
	v_mul_f32_e32 v68, 0x3fb8aa3b, v68
	s_delay_alu instid0(VALU_DEP_1)
	v_exp_f32_e32 v100, v68
	v_sub_f32_e32 v68, v92, v67
	v_sub_f32_e32 v99, v90, v67
	ds_load_2addr_b32 v[89:90], v82 offset0:170 offset1:187
	v_dual_mul_f32 v102, 0x3fb8aa3b, v68 :: v_dual_mul_f32 v99, 0x3fb8aa3b, v99
	s_waitcnt lgkmcnt(1)
	v_fma_f32 v68, v100, v97, 0
	s_delay_alu instid0(VALU_DEP_2) | instskip(NEXT) | instid1(VALU_DEP_2)
	v_exp_f32_e32 v102, v102
	v_exp_f32_e32 v99, v99
	s_waitcnt_depctr 0xfff
	v_fmac_f32_e32 v68, v99, v98
	v_sub_f32_e32 v91, v91, v67
	s_delay_alu instid0(VALU_DEP_1)
	v_mul_f32_e32 v101, 0x3fb8aa3b, v91
	ds_load_2addr_b32 v[91:92], v82 offset0:204 offset1:221
	v_sub_f32_e32 v97, v94, v67
	ds_load_2addr_b32 v[93:94], v82 offset0:238 offset1:255
	s_waitcnt lgkmcnt(0)
	v_exp_f32_e32 v101, v101
	s_barrier
	buffer_gl0_inv
	v_dual_fmac_f32 v68, v101, v89 :: v_dual_sub_f32 v89, v96, v67
	v_dual_sub_f32 v82, v95, v67 :: v_dual_mul_f32 v95, 0x3fb8aa3b, v97
	v_exp_f32_e32 v97, v103
	s_delay_alu instid0(VALU_DEP_2) | instskip(NEXT) | instid1(VALU_DEP_2)
	v_dual_fmac_f32 v68, v102, v90 :: v_dual_mul_f32 v89, 0x3fb8aa3b, v89
	v_mul_f32_e32 v82, 0x3fb8aa3b, v82
	s_delay_alu instid0(VALU_DEP_3) | instskip(NEXT) | instid1(VALU_DEP_2)
	v_exp_f32_e32 v95, v95
	v_exp_f32_e32 v89, v89
	s_delay_alu instid0(VALU_DEP_1)
	v_exp_f32_e32 v82, v82
	v_fmac_f32_e32 v68, v97, v91
	s_delay_alu instid0(TRANS32_DEP_3) | instid1(VALU_DEP_1)
	v_fmac_f32_e32 v68, v95, v92
	s_waitcnt_depctr 0xfff
	v_fmac_f32_e32 v68, v82, v93
	s_delay_alu instid0(VALU_DEP_1) | instskip(NEXT) | instid1(VALU_DEP_1)
	v_fmac_f32_e32 v68, v89, v94
	v_add_f32_e32 v90, 0x358637bd, v68
	s_delay_alu instid0(VALU_DEP_1) | instskip(NEXT) | instid1(VALU_DEP_1)
	v_div_scale_f32 v91, null, v90, v90, 1.0
	v_rcp_f32_e32 v92, v91
	s_waitcnt_depctr 0xfff
	v_fma_f32 v93, -v91, v92, 1.0
	s_delay_alu instid0(VALU_DEP_1) | instskip(SKIP_1) | instid1(VALU_DEP_2)
	v_dual_fmac_f32 v92, v93, v92 :: v_dual_cndmask_b32 v93, v100, v99
	v_cmp_eq_u32_e32 vcc_lo, 3, v66
	v_cndmask_b32_e64 v93, v93, v101, s3
	v_cmp_eq_u32_e64 s3, 4, v66
	s_delay_alu instid0(VALU_DEP_2) | instskip(SKIP_1) | instid1(VALU_DEP_2)
	v_cndmask_b32_e32 v93, v93, v102, vcc_lo
	v_cmp_eq_u32_e32 vcc_lo, 5, v66
	v_cndmask_b32_e64 v93, v93, v97, s3
	v_cmp_eq_u32_e64 s3, 6, v66
	s_delay_alu instid0(VALU_DEP_2) | instskip(SKIP_1) | instid1(VALU_DEP_1)
	v_cndmask_b32_e32 v93, v93, v95, vcc_lo
	v_div_scale_f32 v94, s4, 1.0, v90, 1.0
	s_mov_b32 vcc_lo, s4
	s_delay_alu instid0(VALU_DEP_2) | instskip(NEXT) | instid1(VALU_DEP_2)
	v_cndmask_b32_e64 v82, v93, v82, s3
	v_mul_f32_e32 v96, v94, v92
	s_mov_b32 s3, exec_lo
	s_delay_alu instid0(VALU_DEP_2) | instskip(NEXT) | instid1(VALU_DEP_2)
	v_cndmask_b32_e64 v82, v82, v89, s5
	v_fma_f32 v98, -v91, v96, v94
	s_delay_alu instid0(VALU_DEP_1) | instskip(NEXT) | instid1(VALU_DEP_1)
	v_fmac_f32_e32 v96, v98, v92
	v_fma_f32 v91, -v91, v96, v94
	s_delay_alu instid0(VALU_DEP_1) | instskip(NEXT) | instid1(VALU_DEP_1)
	v_div_fmas_f32 v91, v91, v92, v96
	v_div_fixup_f32 v90, v91, v90, 1.0
	s_delay_alu instid0(VALU_DEP_1) | instskip(NEXT) | instid1(VALU_DEP_1)
	v_mul_f32_e32 v82, v82, v90
	v_mul_f32_e32 v87, v82, v87
	v_mul_f32_e32 v90, v82, v80
	v_mul_f32_e32 v80, v82, v88
	v_mul_f32_e32 v84, v82, v84
	v_mul_f32_e32 v88, v82, v86
	v_mul_f32_e32 v89, v82, v85
	v_dual_mul_f32 v86, v82, v83 :: v_dual_and_b32 v91, 0x7f800000, v90
	v_mul_f32_e32 v85, v82, v76
                                        ; implicit-def: $vgpr76
	s_delay_alu instid0(VALU_DEP_2)
	v_cmpx_ne_u32_e32 0x7f800000, v91
	s_xor_b32 s3, exec_lo, s3
; %bb.13:
	v_bfe_u32 v76, v90, 16, 1
	s_delay_alu instid0(VALU_DEP_1)
	v_add3_u32 v76, v90, v76, 0x7fff
                                        ; implicit-def: $vgpr90
; %bb.14:
	s_and_not1_saveexec_b32 s3, s3
; %bb.15:
	v_and_b32_e32 v76, 0xffff, v90
	v_or_b32_e32 v83, 0x10000, v90
	s_delay_alu instid0(VALU_DEP_2) | instskip(NEXT) | instid1(VALU_DEP_2)
	v_cmp_eq_u32_e32 vcc_lo, 0, v76
	v_cndmask_b32_e32 v76, v83, v90, vcc_lo
; %bb.16:
	s_or_b32 exec_lo, exec_lo, s3
	v_and_b32_e32 v83, 0x7f800000, v85
	s_delay_alu instid0(VALU_DEP_1) | instskip(SKIP_1) | instid1(SALU_CYCLE_1)
	v_cmp_ne_u32_e32 vcc_lo, 0x7f800000, v83
                                        ; implicit-def: $vgpr83
	s_and_saveexec_b32 s3, vcc_lo
	s_xor_b32 s3, exec_lo, s3
; %bb.17:
	v_bfe_u32 v83, v85, 16, 1
	s_delay_alu instid0(VALU_DEP_1)
	v_add3_u32 v83, v85, v83, 0x7fff
                                        ; implicit-def: $vgpr85
; %bb.18:
	s_and_not1_saveexec_b32 s3, s3
; %bb.19:
	v_and_b32_e32 v83, 0xffff, v85
	v_or_b32_e32 v90, 0x10000, v85
	s_delay_alu instid0(VALU_DEP_2) | instskip(NEXT) | instid1(VALU_DEP_2)
	v_cmp_eq_u32_e32 vcc_lo, 0, v83
	v_cndmask_b32_e32 v83, v90, v85, vcc_lo
; %bb.20:
	s_or_b32 exec_lo, exec_lo, s3
	v_and_b32_e32 v85, 0x7f800000, v86
	s_delay_alu instid0(VALU_DEP_1) | instskip(SKIP_1) | instid1(SALU_CYCLE_1)
	v_cmp_ne_u32_e32 vcc_lo, 0x7f800000, v85
                                        ; implicit-def: $vgpr85
	s_and_saveexec_b32 s3, vcc_lo
	s_xor_b32 s3, exec_lo, s3
; %bb.21:
	v_bfe_u32 v85, v86, 16, 1
	s_delay_alu instid0(VALU_DEP_1)
	v_add3_u32 v85, v86, v85, 0x7fff
                                        ; implicit-def: $vgpr86
; %bb.22:
	s_and_not1_saveexec_b32 s3, s3
; %bb.23:
	v_and_b32_e32 v85, 0xffff, v86
	v_or_b32_e32 v90, 0x10000, v86
	s_delay_alu instid0(VALU_DEP_2) | instskip(NEXT) | instid1(VALU_DEP_2)
	v_cmp_eq_u32_e32 vcc_lo, 0, v85
	v_cndmask_b32_e32 v85, v90, v86, vcc_lo
; %bb.24:
	s_or_b32 exec_lo, exec_lo, s3
	v_and_b32_e32 v86, 0x7f800000, v89
	s_delay_alu instid0(VALU_DEP_1) | instskip(SKIP_1) | instid1(SALU_CYCLE_1)
	v_cmp_ne_u32_e32 vcc_lo, 0x7f800000, v86
                                        ; implicit-def: $vgpr86
	s_and_saveexec_b32 s3, vcc_lo
	s_xor_b32 s3, exec_lo, s3
; %bb.25:
	v_bfe_u32 v86, v89, 16, 1
	s_delay_alu instid0(VALU_DEP_1)
	v_add3_u32 v86, v89, v86, 0x7fff
                                        ; implicit-def: $vgpr89
; %bb.26:
	s_and_not1_saveexec_b32 s3, s3
; %bb.27:
	v_and_b32_e32 v86, 0xffff, v89
	v_or_b32_e32 v90, 0x10000, v89
	s_delay_alu instid0(VALU_DEP_2) | instskip(NEXT) | instid1(VALU_DEP_2)
	v_cmp_eq_u32_e32 vcc_lo, 0, v86
	v_cndmask_b32_e32 v86, v90, v89, vcc_lo
; %bb.28:
	s_or_b32 exec_lo, exec_lo, s3
	v_and_b32_e32 v89, 0x7f800000, v88
	s_delay_alu instid0(VALU_DEP_1) | instskip(SKIP_1) | instid1(SALU_CYCLE_1)
	v_cmp_ne_u32_e32 vcc_lo, 0x7f800000, v89
                                        ; implicit-def: $vgpr89
	s_and_saveexec_b32 s3, vcc_lo
	s_xor_b32 s3, exec_lo, s3
; %bb.29:
	v_bfe_u32 v89, v88, 16, 1
	s_delay_alu instid0(VALU_DEP_1)
	v_add3_u32 v89, v88, v89, 0x7fff
                                        ; implicit-def: $vgpr88
; %bb.30:
	s_and_not1_saveexec_b32 s3, s3
; %bb.31:
	v_and_b32_e32 v89, 0xffff, v88
	v_or_b32_e32 v90, 0x10000, v88
	s_delay_alu instid0(VALU_DEP_2) | instskip(NEXT) | instid1(VALU_DEP_2)
	v_cmp_eq_u32_e32 vcc_lo, 0, v89
	v_cndmask_b32_e32 v89, v90, v88, vcc_lo
; %bb.32:
	s_or_b32 exec_lo, exec_lo, s3
	v_and_b32_e32 v88, 0x7f800000, v87
	s_delay_alu instid0(VALU_DEP_1) | instskip(SKIP_1) | instid1(SALU_CYCLE_1)
	v_cmp_ne_u32_e32 vcc_lo, 0x7f800000, v88
                                        ; implicit-def: $vgpr88
	s_and_saveexec_b32 s3, vcc_lo
	s_xor_b32 s3, exec_lo, s3
; %bb.33:
	v_bfe_u32 v88, v87, 16, 1
	s_delay_alu instid0(VALU_DEP_1)
	v_add3_u32 v88, v87, v88, 0x7fff
                                        ; implicit-def: $vgpr87
; %bb.34:
	s_and_not1_saveexec_b32 s3, s3
; %bb.35:
	v_and_b32_e32 v88, 0xffff, v87
	v_or_b32_e32 v90, 0x10000, v87
	s_delay_alu instid0(VALU_DEP_2) | instskip(NEXT) | instid1(VALU_DEP_2)
	v_cmp_eq_u32_e32 vcc_lo, 0, v88
	v_cndmask_b32_e32 v88, v90, v87, vcc_lo
; %bb.36:
	s_or_b32 exec_lo, exec_lo, s3
	v_and_b32_e32 v87, 0x7f800000, v84
	s_delay_alu instid0(VALU_DEP_1) | instskip(SKIP_1) | instid1(SALU_CYCLE_1)
	v_cmp_ne_u32_e32 vcc_lo, 0x7f800000, v87
                                        ; implicit-def: $vgpr87
	s_and_saveexec_b32 s3, vcc_lo
	s_xor_b32 s3, exec_lo, s3
; %bb.37:
	v_bfe_u32 v87, v84, 16, 1
	s_delay_alu instid0(VALU_DEP_1)
	v_add3_u32 v87, v84, v87, 0x7fff
                                        ; implicit-def: $vgpr84
; %bb.38:
	s_and_not1_saveexec_b32 s3, s3
; %bb.39:
	v_and_b32_e32 v87, 0xffff, v84
	v_or_b32_e32 v90, 0x10000, v84
	s_delay_alu instid0(VALU_DEP_2) | instskip(NEXT) | instid1(VALU_DEP_2)
	v_cmp_eq_u32_e32 vcc_lo, 0, v87
	v_cndmask_b32_e32 v87, v90, v84, vcc_lo
; %bb.40:
	s_or_b32 exec_lo, exec_lo, s3
	v_and_b32_e32 v84, 0x7f800000, v80
	s_delay_alu instid0(VALU_DEP_1) | instskip(SKIP_1) | instid1(SALU_CYCLE_1)
	v_cmp_ne_u32_e32 vcc_lo, 0x7f800000, v84
                                        ; implicit-def: $vgpr84
	s_and_saveexec_b32 s3, vcc_lo
	s_xor_b32 s3, exec_lo, s3
; %bb.41:
	v_bfe_u32 v84, v80, 16, 1
	s_delay_alu instid0(VALU_DEP_1)
	v_add3_u32 v84, v80, v84, 0x7fff
                                        ; implicit-def: $vgpr80
; %bb.42:
	s_and_not1_saveexec_b32 s3, s3
; %bb.43:
	v_and_b32_e32 v84, 0xffff, v80
	v_or_b32_e32 v90, 0x10000, v80
	s_delay_alu instid0(VALU_DEP_2) | instskip(NEXT) | instid1(VALU_DEP_2)
	v_cmp_eq_u32_e32 vcc_lo, 0, v84
	v_cndmask_b32_e32 v84, v90, v80, vcc_lo
; %bb.44:
	s_or_b32 exec_lo, exec_lo, s3
	s_load_b64 s[34:35], s[0:1], 0x94
	v_lshlrev_b32_e32 v91, 4, v74
	s_delay_alu instid0(VALU_DEP_2)
	v_perm_b32 v90, v84, v87, 0x7060302
	v_dual_mul_f32 v79, v82, v79 :: v_dual_lshlrev_b32 v80, 6, v65
	v_dual_mul_f32 v77, v82, v77 :: v_dual_lshlrev_b32 v92, 11, v66
	v_mul_f32_e32 v84, v82, v70
	v_perm_b32 v89, v88, v89, 0x7060302
	v_perm_b32 v88, v86, v85, 0x7060302
	;; [unrolled: 1-line block ×3, first 2 shown]
	v_mul_f32_e32 v70, v82, v81
	v_or3_b32 v76, v91, v92, v80
	v_dual_mul_f32 v78, v82, v78 :: v_dual_and_b32 v85, 0x7f800000, v84
	v_mul_f32_e32 v83, v82, v72
	v_mul_f32_e32 v81, v82, v71
	;; [unrolled: 1-line block ×3, first 2 shown]
	s_mov_b32 s3, exec_lo
	ds_store_b128 v76, v[87:90]
                                        ; implicit-def: $vgpr69
	v_cmpx_ne_u32_e32 0x7f800000, v85
	s_xor_b32 s3, exec_lo, s3
; %bb.45:
	v_bfe_u32 v69, v84, 16, 1
	s_delay_alu instid0(VALU_DEP_1)
	v_add3_u32 v69, v84, v69, 0x7fff
                                        ; implicit-def: $vgpr84
; %bb.46:
	s_and_not1_saveexec_b32 s3, s3
; %bb.47:
	v_and_b32_e32 v69, 0xffff, v84
	v_or_b32_e32 v71, 0x10000, v84
	s_delay_alu instid0(VALU_DEP_2) | instskip(NEXT) | instid1(VALU_DEP_2)
	v_cmp_eq_u32_e32 vcc_lo, 0, v69
	v_cndmask_b32_e32 v69, v71, v84, vcc_lo
; %bb.48:
	s_or_b32 exec_lo, exec_lo, s3
	v_and_b32_e32 v71, 0x7f800000, v72
	s_delay_alu instid0(VALU_DEP_1) | instskip(SKIP_1) | instid1(SALU_CYCLE_1)
	v_cmp_ne_u32_e32 vcc_lo, 0x7f800000, v71
                                        ; implicit-def: $vgpr71
	s_and_saveexec_b32 s3, vcc_lo
	s_xor_b32 s3, exec_lo, s3
; %bb.49:
	v_bfe_u32 v71, v72, 16, 1
	s_delay_alu instid0(VALU_DEP_1)
	v_add3_u32 v71, v72, v71, 0x7fff
                                        ; implicit-def: $vgpr72
; %bb.50:
	s_and_not1_saveexec_b32 s3, s3
; %bb.51:
	v_and_b32_e32 v71, 0xffff, v72
	v_or_b32_e32 v82, 0x10000, v72
	s_delay_alu instid0(VALU_DEP_2) | instskip(NEXT) | instid1(VALU_DEP_2)
	v_cmp_eq_u32_e32 vcc_lo, 0, v71
	v_cndmask_b32_e32 v71, v82, v72, vcc_lo
; %bb.52:
	s_or_b32 exec_lo, exec_lo, s3
	v_and_b32_e32 v72, 0x7f800000, v81
	s_delay_alu instid0(VALU_DEP_1) | instskip(SKIP_1) | instid1(SALU_CYCLE_1)
	v_cmp_ne_u32_e32 vcc_lo, 0x7f800000, v72
                                        ; implicit-def: $vgpr72
	s_and_saveexec_b32 s3, vcc_lo
	s_xor_b32 s3, exec_lo, s3
; %bb.53:
	v_bfe_u32 v72, v81, 16, 1
	s_delay_alu instid0(VALU_DEP_1)
	v_add3_u32 v72, v81, v72, 0x7fff
                                        ; implicit-def: $vgpr81
; %bb.54:
	s_and_not1_saveexec_b32 s3, s3
; %bb.55:
	v_and_b32_e32 v72, 0xffff, v81
	v_or_b32_e32 v82, 0x10000, v81
	s_delay_alu instid0(VALU_DEP_2) | instskip(NEXT) | instid1(VALU_DEP_2)
	v_cmp_eq_u32_e32 vcc_lo, 0, v72
	v_cndmask_b32_e32 v72, v82, v81, vcc_lo
; %bb.56:
	s_or_b32 exec_lo, exec_lo, s3
	v_and_b32_e32 v81, 0x7f800000, v83
	s_delay_alu instid0(VALU_DEP_1) | instskip(SKIP_1) | instid1(SALU_CYCLE_1)
	v_cmp_ne_u32_e32 vcc_lo, 0x7f800000, v81
                                        ; implicit-def: $vgpr81
	s_and_saveexec_b32 s3, vcc_lo
	s_xor_b32 s3, exec_lo, s3
; %bb.57:
	v_bfe_u32 v81, v83, 16, 1
	s_delay_alu instid0(VALU_DEP_1)
	v_add3_u32 v81, v83, v81, 0x7fff
                                        ; implicit-def: $vgpr83
; %bb.58:
	s_and_not1_saveexec_b32 s3, s3
; %bb.59:
	v_and_b32_e32 v81, 0xffff, v83
	v_or_b32_e32 v82, 0x10000, v83
	s_delay_alu instid0(VALU_DEP_2) | instskip(NEXT) | instid1(VALU_DEP_2)
	v_cmp_eq_u32_e32 vcc_lo, 0, v81
	v_cndmask_b32_e32 v81, v82, v83, vcc_lo
; %bb.60:
	s_or_b32 exec_lo, exec_lo, s3
	v_and_b32_e32 v82, 0x7f800000, v77
	s_delay_alu instid0(VALU_DEP_1) | instskip(SKIP_1) | instid1(SALU_CYCLE_1)
	v_cmp_ne_u32_e32 vcc_lo, 0x7f800000, v82
                                        ; implicit-def: $vgpr82
	s_and_saveexec_b32 s3, vcc_lo
	s_xor_b32 s3, exec_lo, s3
; %bb.61:
	v_bfe_u32 v82, v77, 16, 1
	s_delay_alu instid0(VALU_DEP_1)
	v_add3_u32 v82, v77, v82, 0x7fff
                                        ; implicit-def: $vgpr77
; %bb.62:
	s_and_not1_saveexec_b32 s3, s3
; %bb.63:
	v_and_b32_e32 v82, 0xffff, v77
	v_or_b32_e32 v83, 0x10000, v77
	s_delay_alu instid0(VALU_DEP_2) | instskip(NEXT) | instid1(VALU_DEP_2)
	v_cmp_eq_u32_e32 vcc_lo, 0, v82
	v_cndmask_b32_e32 v82, v83, v77, vcc_lo
; %bb.64:
	s_or_b32 exec_lo, exec_lo, s3
	v_and_b32_e32 v77, 0x7f800000, v78
	s_delay_alu instid0(VALU_DEP_1) | instskip(SKIP_1) | instid1(SALU_CYCLE_1)
	v_cmp_ne_u32_e32 vcc_lo, 0x7f800000, v77
                                        ; implicit-def: $vgpr77
	s_and_saveexec_b32 s3, vcc_lo
	s_xor_b32 s3, exec_lo, s3
; %bb.65:
	v_bfe_u32 v77, v78, 16, 1
	s_delay_alu instid0(VALU_DEP_1)
	v_add3_u32 v77, v78, v77, 0x7fff
                                        ; implicit-def: $vgpr78
; %bb.66:
	s_and_not1_saveexec_b32 s3, s3
; %bb.67:
	v_and_b32_e32 v77, 0xffff, v78
	v_or_b32_e32 v83, 0x10000, v78
	s_delay_alu instid0(VALU_DEP_2) | instskip(NEXT) | instid1(VALU_DEP_2)
	v_cmp_eq_u32_e32 vcc_lo, 0, v77
	v_cndmask_b32_e32 v77, v83, v78, vcc_lo
; %bb.68:
	s_or_b32 exec_lo, exec_lo, s3
	v_and_b32_e32 v78, 0x7f800000, v79
	s_delay_alu instid0(VALU_DEP_1) | instskip(SKIP_1) | instid1(SALU_CYCLE_1)
	v_cmp_ne_u32_e32 vcc_lo, 0x7f800000, v78
                                        ; implicit-def: $vgpr78
	s_and_saveexec_b32 s3, vcc_lo
	s_xor_b32 s3, exec_lo, s3
; %bb.69:
	v_bfe_u32 v78, v79, 16, 1
	s_delay_alu instid0(VALU_DEP_1)
	v_add3_u32 v78, v79, v78, 0x7fff
                                        ; implicit-def: $vgpr79
; %bb.70:
	s_and_not1_saveexec_b32 s3, s3
; %bb.71:
	v_and_b32_e32 v78, 0xffff, v79
	v_or_b32_e32 v83, 0x10000, v79
	s_delay_alu instid0(VALU_DEP_2) | instskip(NEXT) | instid1(VALU_DEP_2)
	v_cmp_eq_u32_e32 vcc_lo, 0, v78
	v_cndmask_b32_e32 v78, v83, v79, vcc_lo
; %bb.72:
	s_or_b32 exec_lo, exec_lo, s3
	v_and_b32_e32 v79, 0x7f800000, v70
	s_delay_alu instid0(VALU_DEP_1) | instskip(SKIP_1) | instid1(SALU_CYCLE_1)
	v_cmp_ne_u32_e32 vcc_lo, 0x7f800000, v79
                                        ; implicit-def: $vgpr79
	s_and_saveexec_b32 s3, vcc_lo
	s_xor_b32 s3, exec_lo, s3
; %bb.73:
	v_bfe_u32 v79, v70, 16, 1
	s_delay_alu instid0(VALU_DEP_1)
	v_add3_u32 v79, v70, v79, 0x7fff
                                        ; implicit-def: $vgpr70
; %bb.74:
	s_and_not1_saveexec_b32 s3, s3
; %bb.75:
	v_and_b32_e32 v79, 0xffff, v70
	v_or_b32_e32 v83, 0x10000, v70
	s_delay_alu instid0(VALU_DEP_2) | instskip(NEXT) | instid1(VALU_DEP_2)
	v_cmp_eq_u32_e32 vcc_lo, 0, v79
	v_cndmask_b32_e32 v79, v83, v70, vcc_lo
; %bb.76:
	s_or_b32 exec_lo, exec_lo, s3
	s_delay_alu instid0(VALU_DEP_1)
	v_perm_b32 v86, v79, v78, 0x7060302
	v_perm_b32 v85, v77, v82, 0x7060302
	v_perm_b32 v84, v81, v72, 0x7060302
	v_perm_b32 v83, v71, v69, 0x7060302
	v_lshl_or_b32 v82, v66, 11, v80
	ds_store_b128 v76, v[83:86] offset:1024
	s_waitcnt lgkmcnt(0)
	s_barrier
	buffer_gl0_inv
	ds_load_b128 v[69:72], v82
	ds_load_b128 v[83:86], v82 offset:16
	s_waitcnt lgkmcnt(1)
	v_lshrrev_b32_e32 v66, 16, v69
	s_waitcnt lgkmcnt(0)
	v_lshrrev_b32_e32 v91, 16, v83
	v_lshlrev_b32_e32 v78, 2, v74
	v_lshrrev_b32_e32 v95, 16, v70
	v_lshrrev_b32_e32 v98, 16, v84
	v_lshrrev_b32_e32 v96, 16, v71
	v_lshrrev_b32_e32 v99, 16, v85
	v_cmp_eq_u32_e32 vcc_lo, 1, v78
	v_lshrrev_b32_e32 v97, 16, v72
	v_lshrrev_b32_e32 v100, 16, v86
	v_cndmask_b32_e32 v87, v83, v91, vcc_lo
	v_or_b32_e32 v79, 1, v78
	v_cndmask_b32_e32 v81, v69, v66, vcc_lo
	v_cmp_eq_u32_e64 s4, 2, v78
	v_cmp_eq_u32_e64 s7, 3, v78
	;; [unrolled: 1-line block ×5, first 2 shown]
	v_cndmask_b32_e64 v81, v81, v70, s4
	v_cndmask_b32_e64 v87, v87, v84, s4
	v_cmp_eq_u32_e64 s8, 3, v79
	v_cndmask_b32_e64 v88, v69, v66, s3
	v_or_b32_e32 v77, 2, v78
	v_cndmask_b32_e64 v81, v81, v95, s7
	v_cndmask_b32_e64 v87, v87, v98, s7
	;; [unrolled: 1-line block ×4, first 2 shown]
	v_cmp_eq_u32_e64 s10, 5, v78
	v_cndmask_b32_e64 v81, v81, v71, s9
	v_cndmask_b32_e64 v87, v87, v85, s9
	v_cmp_eq_u32_e64 s11, 4, v79
	v_cndmask_b32_e64 v88, v88, v95, s8
	v_cmp_eq_u32_e64 s5, 1, v77
	v_cndmask_b32_e64 v89, v89, v84, s6
	v_cndmask_b32_e64 v81, v81, v96, s10
	v_cmp_eq_u32_e64 s12, 6, v78
	v_cndmask_b32_e64 v88, v88, v71, s11
	;; [unrolled: 3-line block ×3, first 2 shown]
	v_cndmask_b32_e64 v89, v89, v98, s8
	v_cndmask_b32_e64 v81, v81, v72, s12
	v_cmp_eq_u32_e64 s15, 7, v78
	v_cndmask_b32_e64 v88, v88, v96, s13
	v_cndmask_b32_e64 v87, v87, v86, s12
	v_cmp_eq_u32_e64 s16, 6, v79
	v_cmp_eq_u32_e64 s17, 2, v77
	v_cndmask_b32_e64 v89, v89, v85, s11
	v_cndmask_b32_e64 v101, v81, v97, s15
	;; [unrolled: 1-line block ×6, first 2 shown]
	v_cmp_eq_u32_e64 s18, 7, v79
	v_cmp_eq_u32_e64 s19, 3, v77
	;; [unrolled: 1-line block ×4, first 2 shown]
	v_cndmask_b32_e64 v87, v87, v84, s17
	v_cndmask_b32_e64 v103, v88, v97, s18
	v_cndmask_b32_e64 v88, v89, v99, s13
	v_cndmask_b32_e64 v89, v81, v95, s19
	v_or_b32_e32 v81, 3, v78
	v_cndmask_b32_e64 v93, v87, v98, s19
	v_cmp_eq_u32_e64 s24, 6, v77
	v_cndmask_b32_e64 v104, v88, v86, s16
	v_cndmask_b32_e64 v92, v89, v71, s20
	v_cmp_eq_u32_e64 s21, 1, v81
	ds_load_b128 v[87:90], v82 offset:1024
	v_cmp_eq_u32_e64 s23, 2, v81
	v_cmp_eq_u32_e64 s25, 3, v81
	v_cndmask_b32_e64 v105, v92, v96, s22
	v_cndmask_b32_e64 v66, v69, v66, s21
	;; [unrolled: 1-line block ×4, first 2 shown]
	ds_load_b128 v[91:94], v82 offset:1040
	v_cmp_eq_u32_e64 s26, 4, v81
	v_cndmask_b32_e64 v66, v66, v70, s23
	v_cmp_eq_u32_e64 s27, 7, v77
	v_cndmask_b32_e64 v70, v83, v84, s23
	v_cndmask_b32_e64 v84, v105, v72, s24
	v_cmp_eq_u32_e64 s28, 5, v81
	v_cndmask_b32_e64 v66, v66, v95, s25
	v_cmp_eq_u32_e64 s29, 6, v81
	v_cndmask_b32_e64 v70, v70, v98, s25
	v_cndmask_b32_e64 v69, v69, v99, s22
	;; [unrolled: 1-line block ×4, first 2 shown]
	s_waitcnt lgkmcnt(1)
	v_lshrrev_b32_e32 v95, 16, v87
	v_cndmask_b32_e64 v70, v70, v85, s26
	v_cndmask_b32_e64 v71, v84, v97, s27
	;; [unrolled: 1-line block ×4, first 2 shown]
	v_cndmask_b32_e32 v84, v87, v95, vcc_lo
	v_cndmask_b32_e64 v70, v70, v99, s28
	s_waitcnt lgkmcnt(0)
	v_lshrrev_b32_e32 v85, 16, v91
	v_lshrrev_b32_e32 v96, 16, v88
	v_cndmask_b32_e64 v98, v87, v95, s3
	v_cndmask_b32_e64 v84, v84, v88, s4
	;; [unrolled: 1-line block ×3, first 2 shown]
	v_cndmask_b32_e32 v99, v91, v85, vcc_lo
	v_cmp_eq_u32_e32 vcc_lo, 7, v81
	v_cndmask_b32_e64 v66, v66, v72, s29
	v_cndmask_b32_e64 v72, v84, v96, s7
	;; [unrolled: 1-line block ×3, first 2 shown]
	v_lshrrev_b32_e32 v98, 16, v92
	v_cndmask_b32_e32 v70, v70, v100, vcc_lo
	v_cndmask_b32_e64 v86, v99, v92, s4
	v_cndmask_b32_e64 v69, v69, v100, s27
	v_lshrrev_b32_e32 v100, 16, v93
	v_cndmask_b32_e64 v72, v72, v89, s9
	v_lshrrev_b32_e32 v99, 16, v89
	v_cndmask_b32_e64 v86, v86, v98, s7
	v_perm_b32 v71, v69, v71, 0x5040100
	v_cndmask_b32_e64 v84, v84, v96, s8
	s_delay_alu instid0(VALU_DEP_3) | instskip(NEXT) | instid1(VALU_DEP_2)
	v_cndmask_b32_e64 v86, v86, v93, s9
	v_cndmask_b32_e64 v84, v84, v89, s11
	s_delay_alu instid0(VALU_DEP_2) | instskip(NEXT) | instid1(VALU_DEP_1)
	v_cndmask_b32_e64 v86, v86, v100, s10
	v_cndmask_b32_e64 v69, v86, v94, s12
	;; [unrolled: 1-line block ×5, first 2 shown]
	s_delay_alu instid0(VALU_DEP_3) | instskip(NEXT) | instid1(VALU_DEP_3)
	v_cndmask_b32_e64 v86, v86, v88, s17
	v_cndmask_b32_e64 v87, v87, v88, s23
	s_delay_alu instid0(VALU_DEP_3) | instskip(NEXT) | instid1(VALU_DEP_3)
	v_cndmask_b32_e64 v88, v95, v92, s23
	v_cndmask_b32_e64 v86, v86, v96, s19
	;; [unrolled: 3-line block ×7, first 2 shown]
	s_delay_alu instid0(VALU_DEP_3) | instskip(SKIP_2) | instid1(VALU_DEP_2)
	v_cndmask_b32_e64 v88, v88, v94, s29
	v_cndmask_b32_e32 v66, v66, v97, vcc_lo
	v_cndmask_b32_e64 v97, v72, v99, s10
	v_perm_b32 v72, v70, v66, 0x5040100
	v_perm_b32 v70, v83, v103, 0x5040100
	v_cndmask_b32_e64 v103, v91, v85, s5
	v_cndmask_b32_e64 v85, v91, v85, s3
	;; [unrolled: 1-line block ×4, first 2 shown]
	v_lshrrev_b32_e32 v97, 16, v90
	v_cndmask_b32_e64 v91, v103, v92, s17
	v_cndmask_b32_e64 v85, v85, v92, s6
	;; [unrolled: 1-line block ×3, first 2 shown]
	s_mov_b32 s3, exec_lo
	v_cndmask_b32_e64 v83, v84, v97, s15
	v_cndmask_b32_e64 v91, v91, v98, s19
	;; [unrolled: 1-line block ×3, first 2 shown]
	v_lshrrev_b32_e32 v84, 16, v94
	v_cndmask_b32_e64 v66, v66, v97, s18
	v_cndmask_b32_e64 v90, v86, v97, s27
	;; [unrolled: 1-line block ×4, first 2 shown]
	v_dual_cndmask_b32 v86, v87, v97 :: v_dual_cndmask_b32 v87, v88, v84
	v_cndmask_b32_e64 v91, v69, v84, s15
	s_delay_alu instid0(VALU_DEP_4) | instskip(NEXT) | instid1(VALU_DEP_4)
	v_cndmask_b32_e64 v89, v89, v100, s22
	v_cndmask_b32_e64 v85, v85, v100, s13
	v_perm_b32 v69, v102, v101, 0x5040100
	v_perm_b32 v86, v87, v86, 0x5040100
	;; [unrolled: 1-line block ×3, first 2 shown]
	v_cndmask_b32_e64 v89, v89, v94, s24
	v_cndmask_b32_e64 v85, v85, v94, s16
	s_mul_i32 s8, s35, 9
	s_delay_alu instid0(VALU_DEP_2) | instskip(NEXT) | instid1(VALU_DEP_2)
	v_cndmask_b32_e64 v88, v89, v84, s27
	v_cndmask_b32_e64 v89, v85, v84, s18
	s_delay_alu instid0(VALU_DEP_2) | instskip(NEXT) | instid1(VALU_DEP_2)
	v_perm_b32 v85, v88, v90, 0x5040100
	v_perm_b32 v84, v89, v66, 0x5040100
	ds_store_b128 v76, v[69:72]
	ds_store_b128 v76, v[83:86] offset:1024
	v_cmpx_gt_u32_e32 9, v0
	s_cbranch_execz .LBB1614_78
; %bb.77:
	s_mul_i32 s4, s8, s30
	s_delay_alu instid0(SALU_CYCLE_1) | instskip(SKIP_1) | instid1(VALU_DEP_1)
	v_add3_u32 v69, s4, s31, v65
	s_load_b128 s[4:7], s[0:1], 0x58
	v_mad_u64_u32 v[65:66], null, v69, s34, s[14:15]
	s_delay_alu instid0(VALU_DEP_1) | instskip(NEXT) | instid1(VALU_DEP_1)
	v_ashrrev_i32_e32 v66, 31, v65
	v_lshlrev_b64 v[65:66], 2, v[65:66]
	s_waitcnt lgkmcnt(0)
	s_delay_alu instid0(VALU_DEP_1) | instskip(NEXT) | instid1(VALU_DEP_2)
	v_add_co_u32 v69, vcc_lo, s6, v65
	v_add_co_ci_u32_e32 v70, vcc_lo, s7, v66, vcc_lo
	v_add_co_u32 v65, vcc_lo, s4, v65
	v_add_co_ci_u32_e32 v66, vcc_lo, s5, v66, vcc_lo
	global_store_b32 v[69:70], v67, off
	global_store_b32 v[65:66], v68, off
.LBB1614_78:
	s_or_b32 exec_lo, exec_lo, s3
	s_waitcnt lgkmcnt(0)
	s_waitcnt_vscnt null, 0x0
	s_barrier
	buffer_gl0_inv
	ds_load_b128 v[83:86], v80
	ds_load_b128 v[87:90], v80 offset:16
	ds_load_b128 v[95:98], v80 offset:2064
	;; [unrolled: 1-line block ×3, first 2 shown]
	v_mov_b32_e32 v65, 0
	ds_load_b128 v[103:106], v80 offset:4112
	ds_load_b128 v[99:102], v80 offset:4096
	;; [unrolled: 1-line block ×4, first 2 shown]
	v_mov_b32_e32 v66, v65
	v_mov_b32_e32 v67, v65
	;; [unrolled: 1-line block ×7, first 2 shown]
	s_waitcnt lgkmcnt(6)
	s_delay_alu instid0(VALU_DEP_1)
	v_wmma_f32_16x16x16_bf16 v[65:72], v[49:56], v[83:90], v[65:72]
	ds_load_b128 v[53:56], v80 offset:8208
	ds_load_b128 v[49:52], v80 offset:8192
	s_waitcnt lgkmcnt(6)
	v_wmma_f32_16x16x16_bf16 v[65:72], v[41:48], v[91:98], v[65:72]
	ds_load_b128 v[45:48], v80 offset:10256
	ds_load_b128 v[41:44], v80 offset:10240
	s_waitcnt lgkmcnt(6)
	;; [unrolled: 4-line block ×4, first 2 shown]
	v_wmma_f32_16x16x16_bf16 v[65:72], v[1:8], v[49:56], v[65:72]
	s_waitcnt lgkmcnt(4)
	s_delay_alu instid0(VALU_DEP_1) | instskip(SKIP_1) | instid1(VALU_DEP_1)
	v_wmma_f32_16x16x16_bf16 v[65:72], v[9:16], v[41:48], v[65:72]
	s_waitcnt lgkmcnt(2)
	v_wmma_f32_16x16x16_bf16 v[65:72], v[17:24], v[33:40], v[65:72]
	s_waitcnt lgkmcnt(0)
	s_delay_alu instid0(VALU_DEP_1) | instskip(NEXT) | instid1(VALU_DEP_1)
	v_wmma_f32_16x16x16_bf16 v[65:72], v[57:64], v[25:32], v[65:72]
	v_and_b32_e32 v1, 0x7f800000, v65
	s_delay_alu instid0(VALU_DEP_1) | instskip(SKIP_1) | instid1(SALU_CYCLE_1)
	v_cmp_ne_u32_e32 vcc_lo, 0x7f800000, v1
                                        ; implicit-def: $vgpr1
	s_and_saveexec_b32 s3, vcc_lo
	s_xor_b32 s3, exec_lo, s3
; %bb.79:
	v_bfe_u32 v1, v65, 16, 1
	s_delay_alu instid0(VALU_DEP_1)
	v_add3_u32 v1, v65, v1, 0x7fff
; %bb.80:
	s_and_not1_saveexec_b32 s3, s3
; %bb.81:
	v_and_b32_e32 v1, 0xffff, v65
	v_or_b32_e32 v2, 0x10000, v65
	s_delay_alu instid0(VALU_DEP_2) | instskip(NEXT) | instid1(VALU_DEP_2)
	v_cmp_eq_u32_e32 vcc_lo, 0, v1
	v_cndmask_b32_e32 v1, v2, v65, vcc_lo
; %bb.82:
	s_or_b32 exec_lo, exec_lo, s3
	v_and_b32_e32 v2, 0x7f800000, v66
	s_delay_alu instid0(VALU_DEP_1) | instskip(SKIP_1) | instid1(SALU_CYCLE_1)
	v_cmp_ne_u32_e32 vcc_lo, 0x7f800000, v2
                                        ; implicit-def: $vgpr2
	s_and_saveexec_b32 s3, vcc_lo
	s_xor_b32 s3, exec_lo, s3
; %bb.83:
	v_bfe_u32 v2, v66, 16, 1
	s_delay_alu instid0(VALU_DEP_1)
	v_add3_u32 v2, v66, v2, 0x7fff
; %bb.84:
	s_and_not1_saveexec_b32 s3, s3
; %bb.85:
	v_and_b32_e32 v2, 0xffff, v66
	v_or_b32_e32 v3, 0x10000, v66
	s_delay_alu instid0(VALU_DEP_2) | instskip(NEXT) | instid1(VALU_DEP_2)
	v_cmp_eq_u32_e32 vcc_lo, 0, v2
	v_cndmask_b32_e32 v2, v3, v66, vcc_lo
; %bb.86:
	s_or_b32 exec_lo, exec_lo, s3
	v_and_b32_e32 v3, 0x7f800000, v67
	s_delay_alu instid0(VALU_DEP_1) | instskip(SKIP_1) | instid1(SALU_CYCLE_1)
	v_cmp_ne_u32_e32 vcc_lo, 0x7f800000, v3
                                        ; implicit-def: $vgpr3
	s_and_saveexec_b32 s3, vcc_lo
	s_xor_b32 s3, exec_lo, s3
; %bb.87:
	v_bfe_u32 v3, v67, 16, 1
	s_delay_alu instid0(VALU_DEP_1)
	v_add3_u32 v3, v67, v3, 0x7fff
; %bb.88:
	s_and_not1_saveexec_b32 s3, s3
; %bb.89:
	v_and_b32_e32 v3, 0xffff, v67
	v_or_b32_e32 v4, 0x10000, v67
	s_delay_alu instid0(VALU_DEP_2) | instskip(NEXT) | instid1(VALU_DEP_2)
	v_cmp_eq_u32_e32 vcc_lo, 0, v3
	v_cndmask_b32_e32 v3, v4, v67, vcc_lo
; %bb.90:
	s_or_b32 exec_lo, exec_lo, s3
	v_and_b32_e32 v4, 0x7f800000, v68
	s_delay_alu instid0(VALU_DEP_1) | instskip(SKIP_1) | instid1(SALU_CYCLE_1)
	v_cmp_ne_u32_e32 vcc_lo, 0x7f800000, v4
                                        ; implicit-def: $vgpr4
	s_and_saveexec_b32 s3, vcc_lo
	s_xor_b32 s3, exec_lo, s3
; %bb.91:
	v_bfe_u32 v4, v68, 16, 1
	s_delay_alu instid0(VALU_DEP_1)
	v_add3_u32 v4, v68, v4, 0x7fff
; %bb.92:
	s_and_not1_saveexec_b32 s3, s3
; %bb.93:
	v_and_b32_e32 v4, 0xffff, v68
	v_or_b32_e32 v5, 0x10000, v68
	s_delay_alu instid0(VALU_DEP_2) | instskip(NEXT) | instid1(VALU_DEP_2)
	v_cmp_eq_u32_e32 vcc_lo, 0, v4
	v_cndmask_b32_e32 v4, v5, v68, vcc_lo
; %bb.94:
	s_or_b32 exec_lo, exec_lo, s3
	v_and_b32_e32 v5, 0x7f800000, v69
	s_delay_alu instid0(VALU_DEP_1) | instskip(SKIP_1) | instid1(SALU_CYCLE_1)
	v_cmp_ne_u32_e32 vcc_lo, 0x7f800000, v5
                                        ; implicit-def: $vgpr5
	s_and_saveexec_b32 s3, vcc_lo
	s_xor_b32 s3, exec_lo, s3
; %bb.95:
	v_bfe_u32 v5, v69, 16, 1
	s_delay_alu instid0(VALU_DEP_1)
	v_add3_u32 v5, v69, v5, 0x7fff
; %bb.96:
	s_and_not1_saveexec_b32 s3, s3
; %bb.97:
	v_and_b32_e32 v5, 0xffff, v69
	v_or_b32_e32 v6, 0x10000, v69
	s_delay_alu instid0(VALU_DEP_2) | instskip(NEXT) | instid1(VALU_DEP_2)
	v_cmp_eq_u32_e32 vcc_lo, 0, v5
	v_cndmask_b32_e32 v5, v6, v69, vcc_lo
; %bb.98:
	s_or_b32 exec_lo, exec_lo, s3
	v_and_b32_e32 v6, 0x7f800000, v70
	s_delay_alu instid0(VALU_DEP_1) | instskip(SKIP_1) | instid1(SALU_CYCLE_1)
	v_cmp_ne_u32_e32 vcc_lo, 0x7f800000, v6
                                        ; implicit-def: $vgpr6
	s_and_saveexec_b32 s3, vcc_lo
	s_xor_b32 s3, exec_lo, s3
; %bb.99:
	v_bfe_u32 v6, v70, 16, 1
	s_delay_alu instid0(VALU_DEP_1)
	v_add3_u32 v6, v70, v6, 0x7fff
; %bb.100:
	s_and_not1_saveexec_b32 s3, s3
; %bb.101:
	v_and_b32_e32 v6, 0xffff, v70
	v_or_b32_e32 v7, 0x10000, v70
	s_delay_alu instid0(VALU_DEP_2) | instskip(NEXT) | instid1(VALU_DEP_2)
	v_cmp_eq_u32_e32 vcc_lo, 0, v6
	v_cndmask_b32_e32 v6, v7, v70, vcc_lo
; %bb.102:
	s_or_b32 exec_lo, exec_lo, s3
	v_and_b32_e32 v7, 0x7f800000, v71
	s_delay_alu instid0(VALU_DEP_1) | instskip(SKIP_1) | instid1(SALU_CYCLE_1)
	v_cmp_ne_u32_e32 vcc_lo, 0x7f800000, v7
                                        ; implicit-def: $vgpr7
	s_and_saveexec_b32 s3, vcc_lo
	s_xor_b32 s3, exec_lo, s3
; %bb.103:
	v_bfe_u32 v7, v71, 16, 1
	s_delay_alu instid0(VALU_DEP_1)
	v_add3_u32 v7, v71, v7, 0x7fff
; %bb.104:
	s_and_not1_saveexec_b32 s3, s3
; %bb.105:
	v_and_b32_e32 v7, 0xffff, v71
	v_or_b32_e32 v8, 0x10000, v71
	s_delay_alu instid0(VALU_DEP_2) | instskip(NEXT) | instid1(VALU_DEP_2)
	v_cmp_eq_u32_e32 vcc_lo, 0, v7
	v_cndmask_b32_e32 v7, v8, v71, vcc_lo
; %bb.106:
	s_or_b32 exec_lo, exec_lo, s3
	v_and_b32_e32 v8, 0x7f800000, v72
	s_delay_alu instid0(VALU_DEP_1) | instskip(SKIP_1) | instid1(SALU_CYCLE_1)
	v_cmp_ne_u32_e32 vcc_lo, 0x7f800000, v8
                                        ; implicit-def: $vgpr8
	s_and_saveexec_b32 s3, vcc_lo
	s_xor_b32 s3, exec_lo, s3
; %bb.107:
	v_bfe_u32 v8, v72, 16, 1
	s_delay_alu instid0(VALU_DEP_1)
	v_add3_u32 v8, v72, v8, 0x7fff
                                        ; implicit-def: $vgpr65_vgpr66_vgpr67_vgpr68_vgpr69_vgpr70_vgpr71_vgpr72
; %bb.108:
	s_and_not1_saveexec_b32 s3, s3
; %bb.109:
	v_and_b32_e32 v8, 0xffff, v72
	v_or_b32_e32 v9, 0x10000, v72
	s_delay_alu instid0(VALU_DEP_2) | instskip(NEXT) | instid1(VALU_DEP_2)
	v_cmp_eq_u32_e32 vcc_lo, 0, v8
	v_cndmask_b32_e32 v8, v9, v72, vcc_lo
; %bb.110:
	s_or_b32 exec_lo, exec_lo, s3
	s_delay_alu instid0(VALU_DEP_1)
	v_perm_b32 v7, v8, v7, 0x7060302
	v_perm_b32 v6, v6, v5, 0x7060302
	;; [unrolled: 1-line block ×4, first 2 shown]
	s_barrier
	buffer_gl0_inv
	v_cmp_eq_u32_e32 vcc_lo, 1, v78
	ds_store_b128 v76, v[4:7]
	s_waitcnt lgkmcnt(0)
	s_barrier
	buffer_gl0_inv
	ds_load_b128 v[1:4], v82
	ds_load_b128 v[5:8], v82 offset:16
	v_cmp_eq_u32_e64 s3, 1, v79
	v_cmp_eq_u32_e64 s4, 2, v78
	;; [unrolled: 1-line block ×5, first 2 shown]
	s_waitcnt lgkmcnt(1)
	v_lshrrev_b32_e32 v9, 16, v1
	s_waitcnt lgkmcnt(0)
	v_lshrrev_b32_e32 v13, 16, v5
	v_lshrrev_b32_e32 v10, 16, v2
	;; [unrolled: 1-line block ×4, first 2 shown]
	v_cndmask_b32_e64 v19, v1, v9, s3
	v_cndmask_b32_e32 v18, v5, v13, vcc_lo
	v_cndmask_b32_e64 v20, v5, v13, s3
	v_cndmask_b32_e32 v17, v1, v9, vcc_lo
	v_cmp_eq_u32_e32 vcc_lo, 2, v79
	v_lshrrev_b32_e32 v15, 16, v7
	v_cmp_eq_u32_e64 s3, 1, v77
	v_lshrrev_b32_e32 v12, 16, v4
	v_lshrrev_b32_e32 v16, 16, v8
	v_cndmask_b32_e32 v20, v20, v6, vcc_lo
	v_cndmask_b32_e64 v17, v17, v2, s4
	v_cndmask_b32_e32 v19, v19, v2, vcc_lo
	v_cndmask_b32_e64 v18, v18, v6, s4
	v_cmp_eq_u32_e32 vcc_lo, 4, v78
	v_cmp_eq_u32_e64 s4, 3, v79
	v_cndmask_b32_e64 v17, v17, v10, s5
	v_cndmask_b32_e64 v21, v1, v9, s3
	;; [unrolled: 1-line block ×5, first 2 shown]
	v_cndmask_b32_e32 v17, v17, v3, vcc_lo
	v_cndmask_b32_e64 v20, v20, v14, s4
	v_cndmask_b32_e32 v18, v18, v7, vcc_lo
	v_cmp_eq_u32_e32 vcc_lo, 4, v79
	v_cmp_eq_u32_e64 s4, 5, v79
	v_cmp_eq_u32_e64 s3, 2, v81
	v_cndmask_b32_e64 v21, v21, v2, s7
	v_cmp_eq_u32_e64 s5, 5, v78
	v_cndmask_b32_e32 v19, v19, v3, vcc_lo
	v_cndmask_b32_e32 v20, v20, v7, vcc_lo
	v_cmp_eq_u32_e32 vcc_lo, 6, v79
	s_delay_alu instid0(VALU_DEP_4) | instskip(NEXT) | instid1(VALU_DEP_4)
	v_cndmask_b32_e64 v17, v17, v11, s5
	v_cndmask_b32_e64 v19, v19, v11, s4
	s_delay_alu instid0(VALU_DEP_4) | instskip(SKIP_1) | instid1(VALU_DEP_3)
	v_cndmask_b32_e64 v20, v20, v15, s4
	v_cmp_eq_u32_e64 s4, 1, v81
	v_cndmask_b32_e32 v19, v19, v4, vcc_lo
	v_cndmask_b32_e64 v18, v18, v15, s5
	s_delay_alu instid0(VALU_DEP_3)
	v_cndmask_b32_e64 v1, v1, v9, s4
	v_cndmask_b32_e64 v5, v5, v13, s4
	v_cmp_eq_u32_e64 s4, 3, v77
	v_cndmask_b32_e64 v13, v22, v6, s7
	v_cmp_eq_u32_e64 s7, 3, v81
	v_cndmask_b32_e64 v1, v1, v2, s3
	v_cndmask_b32_e64 v2, v5, v6, s3
	;; [unrolled: 1-line block ×3, first 2 shown]
	v_cmp_eq_u32_e64 s3, 4, v77
	v_cndmask_b32_e64 v6, v13, v14, s4
	v_cndmask_b32_e64 v1, v1, v10, s7
	v_cmp_eq_u32_e64 s4, 4, v81
	v_cndmask_b32_e64 v2, v2, v14, s7
	v_cndmask_b32_e64 v5, v9, v3, s3
	;; [unrolled: 3-line block ×3, first 2 shown]
	v_cndmask_b32_e64 v2, v2, v7, s4
	v_cmp_eq_u32_e64 s3, 5, v81
	v_cmp_eq_u32_e64 s5, 6, v78
	v_cndmask_b32_e64 v5, v5, v11, s7
	v_cmp_eq_u32_e64 s4, 6, v77
	v_cndmask_b32_e64 v3, v6, v15, s7
	v_cndmask_b32_e64 v1, v1, v11, s3
	v_cmp_eq_u32_e64 s7, 6, v81
	v_cndmask_b32_e64 v2, v2, v15, s3
	v_cndmask_b32_e64 v17, v17, v4, s5
	v_cndmask_b32_e64 v18, v18, v8, s5
	v_cmp_eq_u32_e64 s5, 7, v78
	v_cndmask_b32_e64 v5, v5, v4, s4
	;; [unrolled: 4-line block ×3, first 2 shown]
	v_cmp_eq_u32_e64 s4, 7, v77
	v_cndmask_b32_e32 v4, v20, v8, vcc_lo
	v_cndmask_b32_e64 v17, v17, v12, s5
	v_cndmask_b32_e64 v19, v19, v12, s6
	;; [unrolled: 1-line block ×8, first 2 shown]
	s_mov_b32 s3, exec_lo
	v_perm_b32 v4, v2, v1, 0x5040100
	v_perm_b32 v3, v3, v5, 0x5040100
	;; [unrolled: 1-line block ×4, first 2 shown]
	ds_store_b128 v76, v[1:4]
	s_waitcnt lgkmcnt(0)
	s_barrier
	buffer_gl0_inv
	v_cmpx_gt_u32_e32 32, v0
	s_cbranch_execz .LBB1614_2
; %bb.111:
	s_load_b64 s[4:5], s[0:1], 0x68
	v_lshlrev_b32_e32 v0, 10, v0
	v_lshlrev_b32_e32 v1, 4, v75
	s_lshl_b32 s0, s34, 7
	v_add_nc_u32_e32 v2, s31, v74
	s_mul_i32 s1, s0, s30
	s_delay_alu instid0(SALU_CYCLE_1) | instskip(SKIP_1) | instid1(VALU_DEP_2)
	s_mul_i32 s6, s1, s8
	v_and_or_b32 v0, 0x3800, v0, v1
	v_mul_lo_u32 v1, v2, s0
	s_ashr_i32 s7, s6, 31
	v_add_nc_u32_e32 v3, 2, v2
	s_lshl_b64 s[6:7], s[6:7], 1
	v_add_nc_u32_e32 v4, 4, v2
	v_add_nc_u32_e32 v5, 6, v2
	v_lshl_or_b32 v15, v74, 6, v0
	v_mul_lo_u32 v3, v3, s0
	v_ashrrev_i32_e32 v2, 31, v1
	v_mul_lo_u32 v19, v4, s0
	v_mul_lo_u32 v21, v5, s0
	s_waitcnt lgkmcnt(0)
	s_add_u32 s1, s4, s6
	s_addc_u32 s3, s5, s7
	s_lshl_b32 s4, s14, 7
	v_lshlrev_b64 v[5:6], 1, v[1:2]
	s_ashr_i32 s5, s4, 31
	v_ashrrev_i32_e32 v4, 31, v3
	s_lshl_b64 s[4:5], s[4:5], 1
	v_ashrrev_i32_e32 v20, 31, v19
	s_add_u32 s1, s1, s4
	s_addc_u32 s3, s3, s5
	v_add_co_u32 v1, s1, s1, v73
	s_delay_alu instid0(VALU_DEP_1) | instskip(SKIP_1) | instid1(VALU_DEP_3)
	v_add_co_ci_u32_e64 v2, null, s3, 0, s1
	v_lshlrev_b64 v[25:26], 1, v[3:4]
	v_add_co_u32 v23, vcc_lo, v1, v5
	s_delay_alu instid0(VALU_DEP_3)
	v_add_co_ci_u32_e32 v24, vcc_lo, v2, v6, vcc_lo
	ds_load_b128 v[3:6], v15
	ds_load_b128 v[7:10], v15 offset:128
	ds_load_b128 v[11:14], v15 offset:256
	;; [unrolled: 1-line block ×3, first 2 shown]
	v_ashrrev_i32_e32 v22, 31, v21
	v_lshlrev_b64 v[19:20], 1, v[19:20]
	v_add_co_u32 v25, vcc_lo, v1, v25
	v_add_co_ci_u32_e32 v26, vcc_lo, v2, v26, vcc_lo
	s_delay_alu instid0(VALU_DEP_4) | instskip(NEXT) | instid1(VALU_DEP_4)
	v_lshlrev_b64 v[21:22], 1, v[21:22]
	v_add_co_u32 v19, vcc_lo, v1, v19
	v_add_co_ci_u32_e32 v20, vcc_lo, v2, v20, vcc_lo
	s_delay_alu instid0(VALU_DEP_3) | instskip(NEXT) | instid1(VALU_DEP_4)
	v_add_co_u32 v21, vcc_lo, v1, v21
	v_add_co_ci_u32_e32 v22, vcc_lo, v2, v22, vcc_lo
	s_waitcnt lgkmcnt(3)
	global_store_b128 v[23:24], v[3:6], off
	s_waitcnt lgkmcnt(2)
	global_store_b128 v[25:26], v[7:10], off
	;; [unrolled: 2-line block ×4, first 2 shown]
	s_and_b32 exec_lo, exec_lo, s2
	s_cbranch_execz .LBB1614_2
; %bb.112:
	ds_load_b128 v[3:6], v0 offset:512
	s_add_i32 s1, s31, 8
	s_delay_alu instid0(SALU_CYCLE_1) | instskip(NEXT) | instid1(SALU_CYCLE_1)
	s_mul_i32 s0, s1, s0
	s_ashr_i32 s1, s0, 31
	s_delay_alu instid0(SALU_CYCLE_1) | instskip(NEXT) | instid1(SALU_CYCLE_1)
	s_lshl_b64 s[0:1], s[0:1], 1
	v_add_co_u32 v0, vcc_lo, v1, s0
	v_add_co_ci_u32_e32 v1, vcc_lo, s1, v2, vcc_lo
	s_waitcnt lgkmcnt(0)
	global_store_b128 v[0:1], v[3:6], off
	s_nop 0
	s_sendmsg sendmsg(MSG_DEALLOC_VGPRS)
	s_endpgm
	.section	.rodata,"a",@progbits
	.p2align	6, 0x0
	.amdhsa_kernel _Z39paged_attention_ll4mi_QKV_mfma16_kernelI14__hip_bfloat16hLN4vllm18Fp8KVCacheDataTypeE1EhLi32ELi128ELi256ELb0ELi9EL8MFMAType1EEvPKT_PKT0_S9_ifPKiSB_SB_iPKfiiiPfSE_PS4_PT2_iSD_SD_
		.amdhsa_group_segment_fixed_size 17472
		.amdhsa_private_segment_fixed_size 0
		.amdhsa_kernarg_size 400
		.amdhsa_user_sgpr_count 13
		.amdhsa_user_sgpr_dispatch_ptr 0
		.amdhsa_user_sgpr_queue_ptr 0
		.amdhsa_user_sgpr_kernarg_segment_ptr 1
		.amdhsa_user_sgpr_dispatch_id 0
		.amdhsa_user_sgpr_private_segment_size 0
		.amdhsa_wavefront_size32 1
		.amdhsa_uses_dynamic_stack 0
		.amdhsa_enable_private_segment 0
		.amdhsa_system_sgpr_workgroup_id_x 1
		.amdhsa_system_sgpr_workgroup_id_y 1
		.amdhsa_system_sgpr_workgroup_id_z 1
		.amdhsa_system_sgpr_workgroup_info 0
		.amdhsa_system_vgpr_workitem_id 0
		.amdhsa_next_free_vgpr 140
		.amdhsa_next_free_sgpr 36
		.amdhsa_reserve_vcc 1
		.amdhsa_float_round_mode_32 0
		.amdhsa_float_round_mode_16_64 0
		.amdhsa_float_denorm_mode_32 3
		.amdhsa_float_denorm_mode_16_64 3
		.amdhsa_dx10_clamp 1
		.amdhsa_ieee_mode 1
		.amdhsa_fp16_overflow 0
		.amdhsa_workgroup_processor_mode 1
		.amdhsa_memory_ordered 1
		.amdhsa_forward_progress 0
		.amdhsa_shared_vgpr_count 0
		.amdhsa_exception_fp_ieee_invalid_op 0
		.amdhsa_exception_fp_denorm_src 0
		.amdhsa_exception_fp_ieee_div_zero 0
		.amdhsa_exception_fp_ieee_overflow 0
		.amdhsa_exception_fp_ieee_underflow 0
		.amdhsa_exception_fp_ieee_inexact 0
		.amdhsa_exception_int_div_zero 0
	.end_amdhsa_kernel
	.section	.text._Z39paged_attention_ll4mi_QKV_mfma16_kernelI14__hip_bfloat16hLN4vllm18Fp8KVCacheDataTypeE1EhLi32ELi128ELi256ELb0ELi9EL8MFMAType1EEvPKT_PKT0_S9_ifPKiSB_SB_iPKfiiiPfSE_PS4_PT2_iSD_SD_,"axG",@progbits,_Z39paged_attention_ll4mi_QKV_mfma16_kernelI14__hip_bfloat16hLN4vllm18Fp8KVCacheDataTypeE1EhLi32ELi128ELi256ELb0ELi9EL8MFMAType1EEvPKT_PKT0_S9_ifPKiSB_SB_iPKfiiiPfSE_PS4_PT2_iSD_SD_,comdat
.Lfunc_end1614:
	.size	_Z39paged_attention_ll4mi_QKV_mfma16_kernelI14__hip_bfloat16hLN4vllm18Fp8KVCacheDataTypeE1EhLi32ELi128ELi256ELb0ELi9EL8MFMAType1EEvPKT_PKT0_S9_ifPKiSB_SB_iPKfiiiPfSE_PS4_PT2_iSD_SD_, .Lfunc_end1614-_Z39paged_attention_ll4mi_QKV_mfma16_kernelI14__hip_bfloat16hLN4vllm18Fp8KVCacheDataTypeE1EhLi32ELi128ELi256ELb0ELi9EL8MFMAType1EEvPKT_PKT0_S9_ifPKiSB_SB_iPKfiiiPfSE_PS4_PT2_iSD_SD_
                                        ; -- End function
	.section	.AMDGPU.csdata,"",@progbits
; Kernel info:
; codeLenInByte = 8984
; NumSgprs: 38
; NumVgprs: 140
; ScratchSize: 0
; MemoryBound: 0
; FloatMode: 240
; IeeeMode: 1
; LDSByteSize: 17472 bytes/workgroup (compile time only)
; SGPRBlocks: 4
; VGPRBlocks: 17
; NumSGPRsForWavesPerEU: 38
; NumVGPRsForWavesPerEU: 140
; Occupancy: 10
; WaveLimiterHint : 1
; COMPUTE_PGM_RSRC2:SCRATCH_EN: 0
; COMPUTE_PGM_RSRC2:USER_SGPR: 13
; COMPUTE_PGM_RSRC2:TRAP_HANDLER: 0
; COMPUTE_PGM_RSRC2:TGID_X_EN: 1
; COMPUTE_PGM_RSRC2:TGID_Y_EN: 1
; COMPUTE_PGM_RSRC2:TGID_Z_EN: 1
; COMPUTE_PGM_RSRC2:TIDIG_COMP_CNT: 0
	.section	.text._Z39paged_attention_ll4mi_QKV_mfma16_kernelI14__hip_bfloat16hLN4vllm18Fp8KVCacheDataTypeE1EhLi32ELi128ELi256ELb0ELi10EL8MFMAType1EEvPKT_PKT0_S9_ifPKiSB_SB_iPKfiiiPfSE_PS4_PT2_iSD_SD_,"axG",@progbits,_Z39paged_attention_ll4mi_QKV_mfma16_kernelI14__hip_bfloat16hLN4vllm18Fp8KVCacheDataTypeE1EhLi32ELi128ELi256ELb0ELi10EL8MFMAType1EEvPKT_PKT0_S9_ifPKiSB_SB_iPKfiiiPfSE_PS4_PT2_iSD_SD_,comdat
	.protected	_Z39paged_attention_ll4mi_QKV_mfma16_kernelI14__hip_bfloat16hLN4vllm18Fp8KVCacheDataTypeE1EhLi32ELi128ELi256ELb0ELi10EL8MFMAType1EEvPKT_PKT0_S9_ifPKiSB_SB_iPKfiiiPfSE_PS4_PT2_iSD_SD_ ; -- Begin function _Z39paged_attention_ll4mi_QKV_mfma16_kernelI14__hip_bfloat16hLN4vllm18Fp8KVCacheDataTypeE1EhLi32ELi128ELi256ELb0ELi10EL8MFMAType1EEvPKT_PKT0_S9_ifPKiSB_SB_iPKfiiiPfSE_PS4_PT2_iSD_SD_
	.globl	_Z39paged_attention_ll4mi_QKV_mfma16_kernelI14__hip_bfloat16hLN4vllm18Fp8KVCacheDataTypeE1EhLi32ELi128ELi256ELb0ELi10EL8MFMAType1EEvPKT_PKT0_S9_ifPKiSB_SB_iPKfiiiPfSE_PS4_PT2_iSD_SD_
	.p2align	8
	.type	_Z39paged_attention_ll4mi_QKV_mfma16_kernelI14__hip_bfloat16hLN4vllm18Fp8KVCacheDataTypeE1EhLi32ELi128ELi256ELb0ELi10EL8MFMAType1EEvPKT_PKT0_S9_ifPKiSB_SB_iPKfiiiPfSE_PS4_PT2_iSD_SD_,@function
_Z39paged_attention_ll4mi_QKV_mfma16_kernelI14__hip_bfloat16hLN4vllm18Fp8KVCacheDataTypeE1EhLi32ELi128ELi256ELb0ELi10EL8MFMAType1EEvPKT_PKT0_S9_ifPKiSB_SB_iPKfiiiPfSE_PS4_PT2_iSD_SD_: ; @_Z39paged_attention_ll4mi_QKV_mfma16_kernelI14__hip_bfloat16hLN4vllm18Fp8KVCacheDataTypeE1EhLi32ELi128ELi256ELb0ELi10EL8MFMAType1EEvPKT_PKT0_S9_ifPKiSB_SB_iPKfiiiPfSE_PS4_PT2_iSD_SD_
; %bb.0:
	s_load_b64 s[4:5], s[0:1], 0x30
	s_mov_b32 s30, s13
	s_waitcnt lgkmcnt(0)
	s_cmp_lg_u64 s[4:5], 0
	s_cselect_b32 s13, -1, 0
	s_ashr_i32 s31, s30, 31
	s_cmp_eq_u64 s[4:5], 0
	s_cbranch_scc1 .LBB1615_3
; %bb.1:
	s_lshl_b64 s[2:3], s[30:31], 2
	s_delay_alu instid0(SALU_CYCLE_1) | instskip(SKIP_4) | instid1(SALU_CYCLE_1)
	s_add_u32 s2, s4, s2
	s_addc_u32 s3, s5, s3
	s_load_b64 s[2:3], s[2:3], 0x0
	s_waitcnt lgkmcnt(0)
	s_sub_i32 s2, s3, s2
	s_cmp_eq_u32 s2, 1
	s_cselect_b32 s2, -1, 0
	s_delay_alu instid0(SALU_CYCLE_1)
	s_and_not1_b32 vcc_lo, exec_lo, s2
	s_cbranch_vccz .LBB1615_4
.LBB1615_2:
	s_endpgm
.LBB1615_3:
.LBB1615_4:
	s_load_b64 s[2:3], s[0:1], 0x28
	s_lshl_b64 s[6:7], s[30:31], 2
	s_waitcnt lgkmcnt(0)
	s_add_u32 s2, s2, s6
	s_addc_u32 s3, s3, s7
	s_lshl_b32 s12, s14, 8
	s_load_b32 s17, s[2:3], 0x0
	s_waitcnt lgkmcnt(0)
	s_cmp_ge_i32 s12, s17
	s_cbranch_scc1 .LBB1615_2
; %bb.5:
	s_clause 0x1
	s_load_b128 s[8:11], s[0:1], 0x8
	s_load_b64 s[2:3], s[0:1], 0x20
	s_and_not1_b32 vcc_lo, exec_lo, s13
	s_cbranch_vccnz .LBB1615_7
; %bb.6:
	s_add_u32 s4, s4, s6
	s_addc_u32 s5, s5, s7
	s_load_b32 s13, s[4:5], 0x0
	s_branch .LBB1615_8
.LBB1615_7:
	s_mov_b32 s13, s30
.LBB1615_8:
	s_load_b128 s[4:7], s[0:1], 0x48
	v_and_b32_e32 v65, 15, v0
	v_lshrrev_b32_e32 v66, 5, v0
	v_and_b32_e32 v67, 31, v0
	v_and_b32_e32 v75, 1, v0
	v_bfe_u32 v74, v0, 4, 1
	v_lshlrev_b32_e32 v1, 3, v65
	s_mul_i32 s29, s15, 10
	s_waitcnt lgkmcnt(0)
	s_mov_b32 s7, exec_lo
	s_delay_alu instid0(VALU_DEP_1)
	v_lshlrev_b32_e32 v73, 1, v1
	v_cmpx_gt_u32_e32 0xa0, v0
	s_cbranch_execz .LBB1615_10
; %bb.9:
	s_load_b64 s[18:19], s[0:1], 0x0
	v_lshl_or_b32 v5, v66, 1, v74
	s_mul_hi_i32 s21, s13, s4
	s_mul_i32 s20, s13, s4
	v_lshlrev_b32_e32 v6, 10, v65
	s_lshl_b64 s[20:21], s[20:21], 1
	v_add_lshl_u32 v1, v5, s29, 7
	v_lshlrev_b32_e32 v5, 6, v5
	v_lshlrev_b32_e32 v7, 10, v75
	v_and_b32_e32 v6, 0x3800, v6
	s_delay_alu instid0(VALU_DEP_4) | instskip(NEXT) | instid1(VALU_DEP_2)
	v_ashrrev_i32_e32 v2, 31, v1
	v_or3_b32 v5, v6, v7, v5
	s_delay_alu instid0(VALU_DEP_2) | instskip(SKIP_3) | instid1(VALU_DEP_1)
	v_lshlrev_b64 v[1:2], 1, v[1:2]
	s_waitcnt lgkmcnt(0)
	s_add_u32 s4, s18, s20
	s_addc_u32 s13, s19, s21
	v_add_co_u32 v1, vcc_lo, s4, v1
	s_delay_alu instid0(VALU_DEP_2) | instskip(NEXT) | instid1(VALU_DEP_2)
	v_add_co_ci_u32_e32 v2, vcc_lo, s13, v2, vcc_lo
	v_add_co_u32 v1, vcc_lo, v1, v73
	s_delay_alu instid0(VALU_DEP_2)
	v_add_co_ci_u32_e32 v2, vcc_lo, 0, v2, vcc_lo
	global_load_b128 v[1:4], v[1:2], off
	s_waitcnt vmcnt(0)
	ds_store_b128 v5, v[1:4]
.LBB1615_10:
	s_or_b32 exec_lo, exec_lo, s7
	v_and_b32_e32 v1, 0xef, v0
	s_add_i32 s4, s17, 31
	s_clause 0x1
	s_load_b32 s7, s[0:1], 0x38
	s_load_b32 s18, s[0:1], 0x1c
	s_ashr_i32 s13, s4, 31
	v_add_nc_u32_e32 v1, s12, v1
	s_lshr_b32 s13, s13, 27
	s_waitcnt lgkmcnt(0)
	s_add_i32 s4, s4, s13
	s_barrier
	v_ashrrev_i32_e32 v2, 31, v1
	v_or_b32_e32 v3, 16, v1
	s_ashr_i32 s4, s4, 5
	v_cmp_gt_i32_e32 vcc_lo, s17, v1
	s_add_i32 s4, s4, -1
	v_lshrrev_b32_e32 v2, 27, v2
	buffer_gl0_inv
	s_mul_i32 s15, s15, s6
	v_add_nc_u32_e32 v4, v1, v2
	s_mul_i32 s20, s30, s7
	s_delay_alu instid0(SALU_CYCLE_1) | instskip(NEXT) | instid1(VALU_DEP_1)
	s_ashr_i32 s21, s20, 31
	v_ashrrev_i32_e32 v4, 5, v4
	v_add_nc_u32_e32 v2, v3, v2
	s_lshl_b64 s[20:21], s[20:21], 2
	s_delay_alu instid0(SALU_CYCLE_1) | instskip(NEXT) | instid1(VALU_DEP_2)
	s_add_u32 s13, s2, s20
	v_cndmask_b32_e32 v1, s4, v4, vcc_lo
	s_delay_alu instid0(VALU_DEP_2)
	v_ashrrev_i32_e32 v2, 5, v2
	v_cmp_gt_i32_e32 vcc_lo, s17, v3
	s_addc_u32 s16, s3, s21
	s_ashr_i32 s19, s15, 31
	s_add_u32 s2, s8, s15
	s_addc_u32 s3, s9, s19
	v_cndmask_b32_e32 v3, s4, v2, vcc_lo
	v_ashrrev_i32_e32 v2, 31, v1
	s_lshl_b32 s6, s14, 3
	s_delay_alu instid0(SALU_CYCLE_1) | instskip(NEXT) | instid1(VALU_DEP_2)
	s_ashr_i32 s7, s6, 31
	v_ashrrev_i32_e32 v4, 31, v3
	s_delay_alu instid0(VALU_DEP_2) | instskip(SKIP_1) | instid1(SALU_CYCLE_1)
	v_lshlrev_b64 v[1:2], 2, v[1:2]
	s_lshl_b64 s[6:7], s[6:7], 2
	s_add_u32 s6, s13, s6
	s_delay_alu instid0(VALU_DEP_2) | instskip(SKIP_1) | instid1(VALU_DEP_2)
	v_lshlrev_b64 v[3:4], 2, v[3:4]
	s_addc_u32 s7, s16, s7
	v_add_co_u32 v1, vcc_lo, s13, v1
	v_add_co_ci_u32_e32 v2, vcc_lo, s16, v2, vcc_lo
	s_delay_alu instid0(VALU_DEP_3) | instskip(NEXT) | instid1(VALU_DEP_4)
	v_add_co_u32 v3, vcc_lo, s13, v3
	v_add_co_ci_u32_e32 v4, vcc_lo, s16, v4, vcc_lo
	s_clause 0x1
	global_load_b32 v5, v[1:2], off
	global_load_b32 v6, v[3:4], off
	s_or_b32 s8, s12, 32
	s_delay_alu instid0(SALU_CYCLE_1) | instskip(SKIP_2) | instid1(SALU_CYCLE_1)
	s_ashr_i32 s9, s8, 5
	s_cmp_lt_i32 s8, s17
	s_cselect_b32 s8, s9, s4
	s_ashr_i32 s9, s8, 31
	s_delay_alu instid0(SALU_CYCLE_1) | instskip(NEXT) | instid1(SALU_CYCLE_1)
	s_lshl_b64 s[8:9], s[8:9], 2
	s_add_u32 s8, s13, s8
	s_addc_u32 s9, s16, s9
	s_or_b32 s20, s12, 64
	s_delay_alu instid0(SALU_CYCLE_1) | instskip(SKIP_2) | instid1(SALU_CYCLE_1)
	s_ashr_i32 s21, s20, 5
	s_cmp_lt_i32 s20, s17
	s_cselect_b32 s20, s21, s4
	s_ashr_i32 s21, s20, 31
	s_delay_alu instid0(SALU_CYCLE_1) | instskip(NEXT) | instid1(SALU_CYCLE_1)
	s_lshl_b64 s[20:21], s[20:21], 2
	s_add_u32 s20, s13, s20
	s_addc_u32 s21, s16, s21
	;; [unrolled: 10-line block ×5, first 2 shown]
	s_clause 0x5
	s_load_b32 s28, s[6:7], 0x0
	s_load_b32 s8, s[8:9], 0x0
	;; [unrolled: 1-line block ×6, first 2 shown]
	s_mov_b32 s20, 0
	s_delay_alu instid0(SALU_CYCLE_1)
	s_mov_b32 s21, s20
	s_mov_b32 s22, s20
	;; [unrolled: 1-line block ×7, first 2 shown]
	s_delay_alu instid0(SALU_CYCLE_1)
	v_dual_mov_b32 v107, s27 :: v_dual_mov_b32 v106, s26
	v_dual_mov_b32 v104, s24 :: v_dual_mov_b32 v103, s23
	;; [unrolled: 1-line block ×3, first 2 shown]
	v_mov_b32_e32 v100, s20
	s_waitcnt vmcnt(1)
	v_mad_i64_i32 v[1:2], null, v5, s5, s[2:3]
	v_lshlrev_b32_e32 v5, 4, v65
	s_waitcnt vmcnt(0)
	v_mad_i64_i32 v[3:4], null, v6, s5, s[2:3]
	s_or_b32 s2, s12, 0xc0
	s_delay_alu instid0(SALU_CYCLE_1) | instskip(NEXT) | instid1(VALU_DEP_3)
	s_ashr_i32 s3, s2, 5
	v_add_co_u32 v33, vcc_lo, v1, v5
	s_delay_alu instid0(VALU_DEP_4) | instskip(NEXT) | instid1(VALU_DEP_3)
	v_add_co_ci_u32_e32 v34, vcc_lo, 0, v2, vcc_lo
	v_add_co_u32 v35, vcc_lo, v3, v5
	s_delay_alu instid0(VALU_DEP_4)
	v_add_co_ci_u32_e32 v36, vcc_lo, 0, v4, vcc_lo
	s_clause 0xf
	global_load_b128 v[1:4], v[33:34], off
	global_load_b128 v[5:8], v[33:34], off offset:512
	global_load_b128 v[9:12], v[35:36], off offset:256
	global_load_b128 v[13:16], v[35:36], off offset:768
	global_load_b128 v[17:20], v[33:34], off offset:1024
	global_load_b128 v[21:24], v[33:34], off offset:1536
	global_load_b128 v[25:28], v[35:36], off offset:1280
	global_load_b128 v[29:32], v[35:36], off offset:1792
	global_load_b128 v[57:60], v[33:34], off offset:2048
	global_load_b128 v[61:64], v[33:34], off offset:2560
	global_load_b128 v[76:79], v[35:36], off offset:2304
	global_load_b128 v[80:83], v[35:36], off offset:2816
	global_load_b128 v[84:87], v[33:34], off offset:3072
	global_load_b128 v[88:91], v[33:34], off offset:3584
	global_load_b128 v[92:95], v[35:36], off offset:3328
	global_load_b128 v[96:99], v[35:36], off offset:3840
	s_cmp_lt_i32 s2, s17
	v_add_nc_u32_e32 v33, -10, v65
	s_cselect_b32 s2, s3, s4
	v_cmp_gt_u32_e32 vcc_lo, 10, v65
	s_ashr_i32 s3, s2, 31
	v_lshlrev_b32_e32 v34, 5, v65
	s_lshl_b64 s[2:3], s[2:3], 2
	s_delay_alu instid0(SALU_CYCLE_1)
	s_add_u32 s2, s13, s2
	s_addc_u32 s3, s16, s3
	s_or_b32 s6, s12, 0xe0
	v_cndmask_b32_e32 v33, v33, v65, vcc_lo
	s_ashr_i32 s7, s6, 5
	s_cmp_lt_i32 s6, s17
	v_mov_b32_e32 v105, s25
	s_cselect_b32 s6, s7, s4
	v_lshlrev_b32_e32 v72, 6, v33
	s_ashr_i32 s7, s6, 31
	v_lshl_or_b32 v41, v66, 9, v34
	s_lshl_b64 s[6:7], s[6:7], 2
	ds_load_b128 v[33:36], v72
	ds_load_b128 v[37:40], v72 offset:1024
	ds_load_b128 v[108:111], v72 offset:2048
	;; [unrolled: 1-line block ×3, first 2 shown]
	s_load_b32 s4, s[2:3], 0x0
	s_add_u32 s2, s13, s6
	s_addc_u32 s3, s16, s7
	ds_load_b128 v[116:119], v72 offset:4096
	ds_load_b128 v[120:123], v72 offset:5120
	s_load_b32 s2, s[2:3], 0x0
	s_add_u32 s6, s10, s15
	s_addc_u32 s7, s11, s19
	v_add_co_u32 v68, s6, s6, v41
	s_delay_alu instid0(VALU_DEP_1) | instskip(SKIP_1) | instid1(VALU_DEP_1)
	v_add_co_ci_u32_e64 v69, null, s7, 0, s6
	s_waitcnt lgkmcnt(0)
	v_mad_i64_i32 v[41:42], null, s28, s5, v[68:69]
	v_mad_i64_i32 v[70:71], null, s9, s5, v[68:69]
	;; [unrolled: 1-line block ×7, first 2 shown]
	s_clause 0x3
	global_load_b128 v[49:52], v[41:42], off
	global_load_b128 v[53:56], v[41:42], off offset:16
	global_load_b128 v[41:44], v[45:46], off
	global_load_b128 v[45:48], v[45:46], off offset:16
	s_waitcnt vmcnt(18)
	v_wmma_f32_16x16x16_bf16 v[124:131], v[1:8], v[33:40], v[100:107]
	s_waitcnt vmcnt(16)
	v_wmma_f32_16x16x16_bf16 v[100:107], v[9:16], v[33:40], v[100:107]
	s_clause 0x1
	global_load_b128 v[33:36], v[70:71], off
	global_load_b128 v[37:40], v[70:71], off offset:16
	v_mad_i64_i32 v[70:71], null, s2, s5, v[68:69]
	s_waitcnt vmcnt(16)
	v_wmma_f32_16x16x16_bf16 v[124:131], v[17:24], v[108:115], v[124:131]
	s_waitcnt vmcnt(14)
	v_wmma_f32_16x16x16_bf16 v[100:107], v[25:32], v[108:115], v[100:107]
	s_clause 0x7
	global_load_b128 v[25:28], v[132:133], off
	global_load_b128 v[29:32], v[132:133], off offset:16
	global_load_b128 v[1:4], v[134:135], off
	global_load_b128 v[5:8], v[134:135], off offset:16
	;; [unrolled: 2-line block ×4, first 2 shown]
	s_waitcnt vmcnt(20)
	v_wmma_f32_16x16x16_bf16 v[124:131], v[57:64], v[116:123], v[124:131]
	s_clause 0x1
	global_load_b128 v[57:60], v[70:71], off
	global_load_b128 v[61:64], v[70:71], off offset:16
	s_waitcnt vmcnt(20)
	v_wmma_f32_16x16x16_bf16 v[100:107], v[76:83], v[116:123], v[100:107]
	ds_load_b128 v[76:79], v72 offset:6144
	ds_load_b128 v[80:83], v72 offset:7168
	v_and_b32_e32 v68, 0xe0, v0
	v_mbcnt_lo_u32_b32 v69, -1, 0
	s_waitcnt vmcnt(0) lgkmcnt(0)
	s_barrier
	buffer_gl0_inv
	v_add_nc_u32_e32 v68, s12, v68
	v_xor_b32_e32 v70, 16, v69
	s_delay_alu instid0(VALU_DEP_2) | instskip(NEXT) | instid1(VALU_DEP_2)
	v_or_b32_e32 v68, v68, v74
	v_cmp_gt_i32_e32 vcc_lo, 32, v70
	s_delay_alu instid0(VALU_DEP_2)
	v_or_b32_e32 v71, 4, v68
	v_or_b32_e32 v72, 6, v68
	v_cmp_gt_i32_e64 s2, s17, v68
	v_or_b32_e32 v108, 8, v68
	v_wmma_f32_16x16x16_bf16 v[124:131], v[84:91], v[76:83], v[124:131]
	v_cndmask_b32_e32 v69, v69, v70, vcc_lo
	v_or_b32_e32 v70, 2, v68
	v_wmma_f32_16x16x16_bf16 v[100:107], v[92:99], v[76:83], v[100:107]
	v_or_b32_e32 v109, 10, v68
	v_dual_mul_f32 v80, s18, v129 :: v_dual_mul_f32 v81, s18, v128
	v_dual_mul_f32 v92, s18, v125 :: v_dual_mul_f32 v93, s18, v124
	s_delay_alu instid0(VALU_DEP_4)
	v_mul_f32_e32 v96, s18, v105
	v_cmp_gt_i32_e32 vcc_lo, s17, v70
	v_or_b32_e32 v89, 22, v68
	v_dual_mul_f32 v79, s18, v130 :: v_dual_mul_f32 v82, s18, v127
	v_dual_mul_f32 v83, s18, v126 :: v_dual_mul_f32 v94, s18, v107
	v_cndmask_b32_e64 v93, 0xff7fffff, v93, s2
	v_cndmask_b32_e32 v92, 0xff7fffff, v92, vcc_lo
	v_cmp_gt_i32_e64 s3, s17, v71
	v_cmp_gt_i32_e64 s4, s17, v72
	v_or_b32_e32 v84, 12, v68
	v_or_b32_e32 v85, 14, v68
	v_cmp_gt_i32_e64 s5, s17, v108
	v_cndmask_b32_e64 v71, 0xff7fffff, v83, s3
	v_cndmask_b32_e64 v72, 0xff7fffff, v82, s4
	v_cmp_gt_i32_e64 s6, s17, v109
	v_cmp_gt_i32_e64 s12, s17, v89
	v_lshlrev_b32_e32 v89, 2, v69
	v_max3_f32 v82, v93, 0xff7fffff, v92
	v_or_b32_e32 v86, 16, v68
	v_or_b32_e32 v87, 18, v68
	v_mul_f32_e32 v78, s18, v131
	v_cndmask_b32_e64 v81, 0xff7fffff, v81, s5
	v_cndmask_b32_e64 v80, 0xff7fffff, v80, s6
	v_max3_f32 v71, v82, v71, v72
	v_cmp_gt_i32_e64 s7, s17, v84
	v_cmp_gt_i32_e64 s8, s17, v85
	v_or_b32_e32 v88, 20, v68
	v_or_b32_e32 v90, 24, v68
	;; [unrolled: 1-line block ×5, first 2 shown]
	v_dual_mul_f32 v97, s18, v104 :: v_dual_mul_f32 v70, s18, v101
	v_dual_mul_f32 v99, s18, v102 :: v_dual_mul_f32 v68, s18, v100
	v_cndmask_b32_e64 v72, 0xff7fffff, v79, s7
	v_cndmask_b32_e64 v78, 0xff7fffff, v78, s8
	v_max3_f32 v71, v71, v81, v80
	v_cmp_gt_i32_e64 s9, s17, v86
	v_cmp_gt_i32_e64 s10, s17, v87
	v_dual_mul_f32 v95, s18, v106 :: v_dual_mul_f32 v98, s18, v103
	s_delay_alu instid0(VALU_DEP_4) | instskip(NEXT) | instid1(VALU_DEP_4)
	v_max3_f32 v71, v71, v72, v78
	v_cndmask_b32_e64 v68, 0xff7fffff, v68, s9
	s_delay_alu instid0(VALU_DEP_4)
	v_cndmask_b32_e64 v70, 0xff7fffff, v70, s10
	v_cmp_gt_i32_e64 s11, s17, v88
	v_cndmask_b32_e64 v78, 0xff7fffff, v98, s12
	v_cmp_gt_i32_e64 s13, s17, v90
	v_cmp_gt_i32_e64 s15, s17, v91
	v_max3_f32 v68, v71, v68, v70
	v_cndmask_b32_e64 v72, 0xff7fffff, v99, s11
	v_cmp_gt_i32_e64 s16, s17, v76
	v_cndmask_b32_e64 v70, 0xff7fffff, v97, s13
	v_cndmask_b32_e64 v71, 0xff7fffff, v96, s15
	v_cmp_gt_i32_e64 s17, s17, v77
	v_max3_f32 v68, v68, v72, v78
	v_cndmask_b32_e64 v72, 0xff7fffff, v95, s16
	s_delay_alu instid0(VALU_DEP_3) | instskip(NEXT) | instid1(VALU_DEP_3)
	v_cndmask_b32_e64 v76, 0xff7fffff, v94, s17
	v_max3_f32 v68, v68, v70, v71
	s_delay_alu instid0(VALU_DEP_1) | instskip(SKIP_3) | instid1(VALU_DEP_1)
	v_max3_f32 v68, v68, v72, v76
	ds_bpermute_b32 v69, v89, v68
	s_waitcnt lgkmcnt(0)
	v_max_f32_e32 v69, v69, v69
	v_max_f32_e32 v68, v68, v69
	s_delay_alu instid0(VALU_DEP_1) | instskip(NEXT) | instid1(VALU_DEP_1)
	v_fma_f32 v71, s18, v126, -v68
	v_mul_f32_e32 v71, 0x3fb8aa3b, v71
	v_fma_f32 v70, s18, v125, -v68
	v_fma_f32 v69, s18, v124, -v68
	;; [unrolled: 1-line block ×5, first 2 shown]
	s_delay_alu instid0(VALU_DEP_4) | instskip(SKIP_1) | instid1(VALU_DEP_3)
	v_dual_mul_f32 v70, 0x3fb8aa3b, v70 :: v_dual_mul_f32 v69, 0x3fb8aa3b, v69
	v_exp_f32_e32 v71, v71
	v_mul_f32_e32 v72, 0x3fb8aa3b, v72
	v_fma_f32 v81, s18, v105, -v68
	s_delay_alu instid0(VALU_DEP_3)
	v_exp_f32_e32 v70, v70
	v_mul_f32_e32 v77, 0x3fb8aa3b, v76
	v_exp_f32_e32 v69, v69
	v_exp_f32_e32 v72, v72
	v_mul_f32_e32 v81, 0x3fb8aa3b, v81
	v_cndmask_b32_e64 v83, 0, v71, s3
	v_fma_f32 v71, s18, v131, -v68
	s_delay_alu instid0(VALU_DEP_3) | instskip(SKIP_4) | instid1(TRANS32_DEP_3)
	v_exp_f32_e32 v81, v81
	v_cndmask_b32_e32 v76, 0, v70, vcc_lo
	v_exp_f32_e32 v77, v77
	v_cndmask_b32_e64 v80, 0, v69, s2
	v_fma_f32 v69, s18, v129, -v68
	v_cndmask_b32_e64 v85, 0, v72, s4
	v_mul_f32_e32 v71, 0x3fb8aa3b, v71
	v_fma_f32 v72, s18, v100, -v68
	s_delay_alu instid0(VALU_DEP_4) | instskip(SKIP_1) | instid1(VALU_DEP_3)
	v_dual_add_f32 v70, 0, v80 :: v_dual_mul_f32 v69, 0x3fb8aa3b, v69
	s_mov_b32 s2, exec_lo
	v_exp_f32_e32 v71, v71
	s_delay_alu instid0(TRANS32_DEP_2) | instskip(SKIP_4) | instid1(VALU_DEP_3)
	v_cndmask_b32_e64 v86, 0, v77, s5
	v_fma_f32 v77, s18, v101, -v68
	v_mul_f32_e32 v78, 0x3fb8aa3b, v78
	v_add_f32_e32 v70, v70, v76
	v_exp_f32_e32 v69, v69
	v_mul_f32_e32 v77, 0x3fb8aa3b, v77
	s_delay_alu instid0(VALU_DEP_3) | instskip(NEXT) | instid1(TRANS32_DEP_3)
	v_exp_f32_e32 v78, v78
	v_cndmask_b32_e64 v88, 0, v71, s8
	v_fma_f32 v71, s18, v104, -v68
	s_delay_alu instid0(VALU_DEP_3) | instskip(NEXT) | instid1(TRANS32_DEP_3)
	v_exp_f32_e32 v77, v77
	v_cndmask_b32_e64 v87, 0, v69, s6
	s_delay_alu instid0(VALU_DEP_2)
	v_mul_f32_e32 v71, 0x3fb8aa3b, v71
	s_waitcnt_depctr 0xfff
	v_cndmask_b32_e64 v84, 0, v78, s7
	v_add_f32_e32 v70, v70, v83
	v_fma_f32 v78, s18, v103, -v68
	v_exp_f32_e32 v82, v71
	s_delay_alu instid0(VALU_DEP_2) | instskip(SKIP_1) | instid1(VALU_DEP_3)
	v_add_f32_e32 v70, v70, v85
	v_mul_f32_e32 v72, 0x3fb8aa3b, v72
	v_mul_f32_e32 v78, 0x3fb8aa3b, v78
	s_delay_alu instid0(VALU_DEP_3) | instskip(SKIP_1) | instid1(VALU_DEP_4)
	v_add_f32_e32 v69, v70, v86
	v_fma_f32 v70, s18, v102, -v68
	v_exp_f32_e32 v72, v72
	s_delay_alu instid0(VALU_DEP_3) | instskip(NEXT) | instid1(VALU_DEP_1)
	v_exp_f32_e32 v78, v78
	v_dual_add_f32 v69, v69, v87 :: v_dual_mul_f32 v70, 0x3fb8aa3b, v70
	s_delay_alu instid0(VALU_DEP_1) | instskip(NEXT) | instid1(VALU_DEP_2)
	v_add_f32_e32 v69, v69, v84
	v_exp_f32_e32 v79, v70
	s_delay_alu instid0(TRANS32_DEP_3) | instskip(NEXT) | instid1(VALU_DEP_2)
	v_cndmask_b32_e64 v70, 0, v72, s9
	v_add_f32_e32 v72, v69, v88
	v_cndmask_b32_e64 v69, 0, v77, s10
	v_fma_f32 v77, s18, v106, -v68
	s_waitcnt_depctr 0xfff
	v_cndmask_b32_e64 v71, 0, v79, s11
	v_dual_mul_f32 v77, 0x3fb8aa3b, v77 :: v_dual_add_f32 v72, v72, v70
	s_delay_alu instid0(VALU_DEP_1) | instskip(NEXT) | instid1(VALU_DEP_1)
	v_exp_f32_e32 v90, v77
	v_add_f32_e32 v79, v72, v69
	v_cndmask_b32_e64 v72, 0, v78, s12
	v_cndmask_b32_e64 v77, 0, v82, s13
	s_delay_alu instid0(VALU_DEP_3) | instskip(SKIP_1) | instid1(VALU_DEP_1)
	v_add_f32_e32 v78, v79, v71
	v_fma_f32 v79, s18, v107, -v68
	v_dual_add_f32 v82, v78, v72 :: v_dual_mul_f32 v79, 0x3fb8aa3b, v79
	v_cndmask_b32_e64 v78, 0, v81, s15
	s_delay_alu instid0(VALU_DEP_2) | instskip(NEXT) | instid1(VALU_DEP_3)
	v_add_f32_e32 v81, v82, v77
	v_exp_f32_e32 v82, v79
	v_cndmask_b32_e64 v79, 0, v90, s16
	s_delay_alu instid0(VALU_DEP_2) | instskip(NEXT) | instid1(VALU_DEP_1)
	v_add_f32_e32 v81, v81, v78
	v_add_f32_e32 v90, v81, v79
	s_waitcnt_depctr 0xfff
	v_cndmask_b32_e64 v81, 0, v82, s17
	s_delay_alu instid0(VALU_DEP_1)
	v_add_f32_e32 v82, v90, v81
	ds_bpermute_b32 v89, v89, v82
	v_cmpx_gt_u32_e32 16, v67
	s_cbranch_execz .LBB1615_12
; %bb.11:
	v_mul_u32_u24_e32 v67, 0x44, v66
	s_delay_alu instid0(VALU_DEP_1) | instskip(SKIP_1) | instid1(VALU_DEP_1)
	v_lshl_add_u32 v67, v65, 2, v67
	s_waitcnt lgkmcnt(0)
	v_dual_add_f32 v82, v82, v89 :: v_dual_add_nc_u32 v67, 0x4000, v67
	ds_store_2addr_b32 v67, v68, v82 offset1:136
.LBB1615_12:
	s_or_b32 exec_lo, exec_lo, s2
	v_lshlrev_b32_e32 v67, 2, v65
	s_waitcnt lgkmcnt(0)
	s_barrier
	buffer_gl0_inv
	v_cmp_eq_u32_e32 vcc_lo, 1, v66
	v_add_nc_u32_e32 v82, 0x4000, v67
	v_cmp_eq_u32_e64 s2, 2, v66
	v_cmp_eq_u32_e64 s4, 7, v66
	ds_load_2addr_b32 v[89:90], v82 offset1:17
	ds_load_2addr_b32 v[91:92], v82 offset0:34 offset1:51
	ds_load_2addr_b32 v[93:94], v82 offset0:68 offset1:85
	;; [unrolled: 1-line block ×4, first 2 shown]
	s_waitcnt lgkmcnt(4)
	v_max3_f32 v67, v89, 0xff7fffff, v90
	s_waitcnt lgkmcnt(3)
	s_delay_alu instid0(VALU_DEP_1) | instskip(SKIP_1) | instid1(VALU_DEP_1)
	v_max3_f32 v67, v67, v91, v92
	s_waitcnt lgkmcnt(2)
	v_max3_f32 v67, v67, v93, v94
	s_waitcnt lgkmcnt(1)
	s_delay_alu instid0(VALU_DEP_1) | instskip(NEXT) | instid1(VALU_DEP_1)
	v_max3_f32 v67, v67, v95, v96
	v_sub_f32_e32 v93, v93, v67
	s_delay_alu instid0(VALU_DEP_1) | instskip(NEXT) | instid1(VALU_DEP_1)
	v_dual_sub_f32 v68, v89, v67 :: v_dual_mul_f32 v103, 0x3fb8aa3b, v93
	v_mul_f32_e32 v68, 0x3fb8aa3b, v68
	s_delay_alu instid0(VALU_DEP_1)
	v_exp_f32_e32 v100, v68
	v_sub_f32_e32 v68, v92, v67
	v_sub_f32_e32 v99, v90, v67
	ds_load_2addr_b32 v[89:90], v82 offset0:170 offset1:187
	v_dual_mul_f32 v102, 0x3fb8aa3b, v68 :: v_dual_mul_f32 v99, 0x3fb8aa3b, v99
	s_waitcnt lgkmcnt(1)
	v_fma_f32 v68, v100, v97, 0
	s_delay_alu instid0(VALU_DEP_2) | instskip(NEXT) | instid1(VALU_DEP_2)
	v_exp_f32_e32 v102, v102
	v_exp_f32_e32 v99, v99
	s_waitcnt_depctr 0xfff
	v_fmac_f32_e32 v68, v99, v98
	v_sub_f32_e32 v91, v91, v67
	s_delay_alu instid0(VALU_DEP_1)
	v_mul_f32_e32 v101, 0x3fb8aa3b, v91
	ds_load_2addr_b32 v[91:92], v82 offset0:204 offset1:221
	v_sub_f32_e32 v97, v94, v67
	ds_load_2addr_b32 v[93:94], v82 offset0:238 offset1:255
	s_waitcnt lgkmcnt(0)
	v_exp_f32_e32 v101, v101
	s_barrier
	buffer_gl0_inv
	v_dual_fmac_f32 v68, v101, v89 :: v_dual_sub_f32 v89, v96, v67
	v_dual_sub_f32 v82, v95, v67 :: v_dual_mul_f32 v95, 0x3fb8aa3b, v97
	v_exp_f32_e32 v97, v103
	s_delay_alu instid0(VALU_DEP_2) | instskip(NEXT) | instid1(VALU_DEP_2)
	v_dual_fmac_f32 v68, v102, v90 :: v_dual_mul_f32 v89, 0x3fb8aa3b, v89
	v_mul_f32_e32 v82, 0x3fb8aa3b, v82
	s_delay_alu instid0(VALU_DEP_3) | instskip(NEXT) | instid1(VALU_DEP_2)
	v_exp_f32_e32 v95, v95
	v_exp_f32_e32 v89, v89
	s_delay_alu instid0(VALU_DEP_1)
	v_exp_f32_e32 v82, v82
	v_fmac_f32_e32 v68, v97, v91
	s_delay_alu instid0(TRANS32_DEP_3) | instid1(VALU_DEP_1)
	v_fmac_f32_e32 v68, v95, v92
	s_waitcnt_depctr 0xfff
	v_fmac_f32_e32 v68, v82, v93
	s_delay_alu instid0(VALU_DEP_1) | instskip(NEXT) | instid1(VALU_DEP_1)
	v_fmac_f32_e32 v68, v89, v94
	v_add_f32_e32 v90, 0x358637bd, v68
	s_delay_alu instid0(VALU_DEP_1) | instskip(NEXT) | instid1(VALU_DEP_1)
	v_div_scale_f32 v91, null, v90, v90, 1.0
	v_rcp_f32_e32 v92, v91
	s_waitcnt_depctr 0xfff
	v_fma_f32 v93, -v91, v92, 1.0
	s_delay_alu instid0(VALU_DEP_1) | instskip(SKIP_1) | instid1(VALU_DEP_2)
	v_dual_fmac_f32 v92, v93, v92 :: v_dual_cndmask_b32 v93, v100, v99
	v_cmp_eq_u32_e32 vcc_lo, 3, v66
	v_cndmask_b32_e64 v93, v93, v101, s2
	v_cmp_eq_u32_e64 s2, 4, v66
	s_delay_alu instid0(VALU_DEP_2) | instskip(SKIP_1) | instid1(VALU_DEP_2)
	v_cndmask_b32_e32 v93, v93, v102, vcc_lo
	v_cmp_eq_u32_e32 vcc_lo, 5, v66
	v_cndmask_b32_e64 v93, v93, v97, s2
	v_cmp_eq_u32_e64 s2, 6, v66
	s_delay_alu instid0(VALU_DEP_2) | instskip(SKIP_1) | instid1(VALU_DEP_1)
	v_cndmask_b32_e32 v93, v93, v95, vcc_lo
	v_div_scale_f32 v94, s3, 1.0, v90, 1.0
	s_mov_b32 vcc_lo, s3
	s_delay_alu instid0(VALU_DEP_2) | instskip(NEXT) | instid1(VALU_DEP_2)
	v_cndmask_b32_e64 v82, v93, v82, s2
	v_mul_f32_e32 v96, v94, v92
	s_mov_b32 s2, exec_lo
	s_delay_alu instid0(VALU_DEP_2) | instskip(NEXT) | instid1(VALU_DEP_2)
	v_cndmask_b32_e64 v82, v82, v89, s4
	v_fma_f32 v98, -v91, v96, v94
	s_delay_alu instid0(VALU_DEP_1) | instskip(NEXT) | instid1(VALU_DEP_1)
	v_fmac_f32_e32 v96, v98, v92
	v_fma_f32 v91, -v91, v96, v94
	s_delay_alu instid0(VALU_DEP_1) | instskip(NEXT) | instid1(VALU_DEP_1)
	v_div_fmas_f32 v91, v91, v92, v96
	v_div_fixup_f32 v90, v91, v90, 1.0
	s_delay_alu instid0(VALU_DEP_1) | instskip(NEXT) | instid1(VALU_DEP_1)
	v_mul_f32_e32 v82, v82, v90
	v_mul_f32_e32 v87, v82, v87
	v_mul_f32_e32 v90, v82, v80
	v_mul_f32_e32 v80, v82, v88
	v_mul_f32_e32 v84, v82, v84
	v_mul_f32_e32 v88, v82, v86
	v_mul_f32_e32 v89, v82, v85
	v_dual_mul_f32 v86, v82, v83 :: v_dual_and_b32 v91, 0x7f800000, v90
	v_mul_f32_e32 v85, v82, v76
                                        ; implicit-def: $vgpr76
	s_delay_alu instid0(VALU_DEP_2)
	v_cmpx_ne_u32_e32 0x7f800000, v91
	s_xor_b32 s2, exec_lo, s2
; %bb.13:
	v_bfe_u32 v76, v90, 16, 1
	s_delay_alu instid0(VALU_DEP_1)
	v_add3_u32 v76, v90, v76, 0x7fff
                                        ; implicit-def: $vgpr90
; %bb.14:
	s_and_not1_saveexec_b32 s2, s2
; %bb.15:
	v_and_b32_e32 v76, 0xffff, v90
	v_or_b32_e32 v83, 0x10000, v90
	s_delay_alu instid0(VALU_DEP_2) | instskip(NEXT) | instid1(VALU_DEP_2)
	v_cmp_eq_u32_e32 vcc_lo, 0, v76
	v_cndmask_b32_e32 v76, v83, v90, vcc_lo
; %bb.16:
	s_or_b32 exec_lo, exec_lo, s2
	v_and_b32_e32 v83, 0x7f800000, v85
	s_delay_alu instid0(VALU_DEP_1) | instskip(SKIP_1) | instid1(SALU_CYCLE_1)
	v_cmp_ne_u32_e32 vcc_lo, 0x7f800000, v83
                                        ; implicit-def: $vgpr83
	s_and_saveexec_b32 s2, vcc_lo
	s_xor_b32 s2, exec_lo, s2
; %bb.17:
	v_bfe_u32 v83, v85, 16, 1
	s_delay_alu instid0(VALU_DEP_1)
	v_add3_u32 v83, v85, v83, 0x7fff
                                        ; implicit-def: $vgpr85
; %bb.18:
	s_and_not1_saveexec_b32 s2, s2
; %bb.19:
	v_and_b32_e32 v83, 0xffff, v85
	v_or_b32_e32 v90, 0x10000, v85
	s_delay_alu instid0(VALU_DEP_2) | instskip(NEXT) | instid1(VALU_DEP_2)
	v_cmp_eq_u32_e32 vcc_lo, 0, v83
	v_cndmask_b32_e32 v83, v90, v85, vcc_lo
; %bb.20:
	s_or_b32 exec_lo, exec_lo, s2
	v_and_b32_e32 v85, 0x7f800000, v86
	s_delay_alu instid0(VALU_DEP_1) | instskip(SKIP_1) | instid1(SALU_CYCLE_1)
	v_cmp_ne_u32_e32 vcc_lo, 0x7f800000, v85
                                        ; implicit-def: $vgpr85
	s_and_saveexec_b32 s2, vcc_lo
	s_xor_b32 s2, exec_lo, s2
; %bb.21:
	v_bfe_u32 v85, v86, 16, 1
	s_delay_alu instid0(VALU_DEP_1)
	v_add3_u32 v85, v86, v85, 0x7fff
                                        ; implicit-def: $vgpr86
; %bb.22:
	s_and_not1_saveexec_b32 s2, s2
; %bb.23:
	v_and_b32_e32 v85, 0xffff, v86
	v_or_b32_e32 v90, 0x10000, v86
	s_delay_alu instid0(VALU_DEP_2) | instskip(NEXT) | instid1(VALU_DEP_2)
	v_cmp_eq_u32_e32 vcc_lo, 0, v85
	v_cndmask_b32_e32 v85, v90, v86, vcc_lo
; %bb.24:
	s_or_b32 exec_lo, exec_lo, s2
	v_and_b32_e32 v86, 0x7f800000, v89
	s_delay_alu instid0(VALU_DEP_1) | instskip(SKIP_1) | instid1(SALU_CYCLE_1)
	v_cmp_ne_u32_e32 vcc_lo, 0x7f800000, v86
                                        ; implicit-def: $vgpr86
	s_and_saveexec_b32 s2, vcc_lo
	s_xor_b32 s2, exec_lo, s2
; %bb.25:
	v_bfe_u32 v86, v89, 16, 1
	s_delay_alu instid0(VALU_DEP_1)
	v_add3_u32 v86, v89, v86, 0x7fff
                                        ; implicit-def: $vgpr89
; %bb.26:
	s_and_not1_saveexec_b32 s2, s2
; %bb.27:
	v_and_b32_e32 v86, 0xffff, v89
	v_or_b32_e32 v90, 0x10000, v89
	s_delay_alu instid0(VALU_DEP_2) | instskip(NEXT) | instid1(VALU_DEP_2)
	v_cmp_eq_u32_e32 vcc_lo, 0, v86
	v_cndmask_b32_e32 v86, v90, v89, vcc_lo
; %bb.28:
	s_or_b32 exec_lo, exec_lo, s2
	v_and_b32_e32 v89, 0x7f800000, v88
	s_delay_alu instid0(VALU_DEP_1) | instskip(SKIP_1) | instid1(SALU_CYCLE_1)
	v_cmp_ne_u32_e32 vcc_lo, 0x7f800000, v89
                                        ; implicit-def: $vgpr89
	s_and_saveexec_b32 s2, vcc_lo
	s_xor_b32 s2, exec_lo, s2
; %bb.29:
	v_bfe_u32 v89, v88, 16, 1
	s_delay_alu instid0(VALU_DEP_1)
	v_add3_u32 v89, v88, v89, 0x7fff
                                        ; implicit-def: $vgpr88
; %bb.30:
	s_and_not1_saveexec_b32 s2, s2
; %bb.31:
	v_and_b32_e32 v89, 0xffff, v88
	v_or_b32_e32 v90, 0x10000, v88
	s_delay_alu instid0(VALU_DEP_2) | instskip(NEXT) | instid1(VALU_DEP_2)
	v_cmp_eq_u32_e32 vcc_lo, 0, v89
	v_cndmask_b32_e32 v89, v90, v88, vcc_lo
; %bb.32:
	s_or_b32 exec_lo, exec_lo, s2
	v_and_b32_e32 v88, 0x7f800000, v87
	s_delay_alu instid0(VALU_DEP_1) | instskip(SKIP_1) | instid1(SALU_CYCLE_1)
	v_cmp_ne_u32_e32 vcc_lo, 0x7f800000, v88
                                        ; implicit-def: $vgpr88
	s_and_saveexec_b32 s2, vcc_lo
	s_xor_b32 s2, exec_lo, s2
; %bb.33:
	v_bfe_u32 v88, v87, 16, 1
	s_delay_alu instid0(VALU_DEP_1)
	v_add3_u32 v88, v87, v88, 0x7fff
                                        ; implicit-def: $vgpr87
; %bb.34:
	s_and_not1_saveexec_b32 s2, s2
; %bb.35:
	v_and_b32_e32 v88, 0xffff, v87
	v_or_b32_e32 v90, 0x10000, v87
	s_delay_alu instid0(VALU_DEP_2) | instskip(NEXT) | instid1(VALU_DEP_2)
	v_cmp_eq_u32_e32 vcc_lo, 0, v88
	v_cndmask_b32_e32 v88, v90, v87, vcc_lo
; %bb.36:
	s_or_b32 exec_lo, exec_lo, s2
	v_and_b32_e32 v87, 0x7f800000, v84
	s_delay_alu instid0(VALU_DEP_1) | instskip(SKIP_1) | instid1(SALU_CYCLE_1)
	v_cmp_ne_u32_e32 vcc_lo, 0x7f800000, v87
                                        ; implicit-def: $vgpr87
	s_and_saveexec_b32 s2, vcc_lo
	s_xor_b32 s2, exec_lo, s2
; %bb.37:
	v_bfe_u32 v87, v84, 16, 1
	s_delay_alu instid0(VALU_DEP_1)
	v_add3_u32 v87, v84, v87, 0x7fff
                                        ; implicit-def: $vgpr84
; %bb.38:
	s_and_not1_saveexec_b32 s2, s2
; %bb.39:
	v_and_b32_e32 v87, 0xffff, v84
	v_or_b32_e32 v90, 0x10000, v84
	s_delay_alu instid0(VALU_DEP_2) | instskip(NEXT) | instid1(VALU_DEP_2)
	v_cmp_eq_u32_e32 vcc_lo, 0, v87
	v_cndmask_b32_e32 v87, v90, v84, vcc_lo
; %bb.40:
	s_or_b32 exec_lo, exec_lo, s2
	v_and_b32_e32 v84, 0x7f800000, v80
	s_delay_alu instid0(VALU_DEP_1) | instskip(SKIP_1) | instid1(SALU_CYCLE_1)
	v_cmp_ne_u32_e32 vcc_lo, 0x7f800000, v84
                                        ; implicit-def: $vgpr84
	s_and_saveexec_b32 s2, vcc_lo
	s_xor_b32 s2, exec_lo, s2
; %bb.41:
	v_bfe_u32 v84, v80, 16, 1
	s_delay_alu instid0(VALU_DEP_1)
	v_add3_u32 v84, v80, v84, 0x7fff
                                        ; implicit-def: $vgpr80
; %bb.42:
	s_and_not1_saveexec_b32 s2, s2
; %bb.43:
	v_and_b32_e32 v84, 0xffff, v80
	v_or_b32_e32 v90, 0x10000, v80
	s_delay_alu instid0(VALU_DEP_2) | instskip(NEXT) | instid1(VALU_DEP_2)
	v_cmp_eq_u32_e32 vcc_lo, 0, v84
	v_cndmask_b32_e32 v84, v90, v80, vcc_lo
; %bb.44:
	s_or_b32 exec_lo, exec_lo, s2
	s_load_b64 s[34:35], s[0:1], 0x94
	v_lshlrev_b32_e32 v91, 4, v74
	s_delay_alu instid0(VALU_DEP_2)
	v_perm_b32 v90, v84, v87, 0x7060302
	v_dual_mul_f32 v79, v82, v79 :: v_dual_lshlrev_b32 v80, 6, v65
	v_dual_mul_f32 v77, v82, v77 :: v_dual_lshlrev_b32 v92, 11, v66
	v_mul_f32_e32 v84, v82, v70
	v_perm_b32 v89, v88, v89, 0x7060302
	v_perm_b32 v88, v86, v85, 0x7060302
	;; [unrolled: 1-line block ×3, first 2 shown]
	v_mul_f32_e32 v70, v82, v81
	v_or3_b32 v76, v91, v92, v80
	v_dual_mul_f32 v78, v82, v78 :: v_dual_and_b32 v85, 0x7f800000, v84
	v_mul_f32_e32 v83, v82, v72
	v_mul_f32_e32 v81, v82, v71
	;; [unrolled: 1-line block ×3, first 2 shown]
	s_mov_b32 s2, exec_lo
	ds_store_b128 v76, v[87:90]
                                        ; implicit-def: $vgpr69
	v_cmpx_ne_u32_e32 0x7f800000, v85
	s_xor_b32 s2, exec_lo, s2
; %bb.45:
	v_bfe_u32 v69, v84, 16, 1
	s_delay_alu instid0(VALU_DEP_1)
	v_add3_u32 v69, v84, v69, 0x7fff
                                        ; implicit-def: $vgpr84
; %bb.46:
	s_and_not1_saveexec_b32 s2, s2
; %bb.47:
	v_and_b32_e32 v69, 0xffff, v84
	v_or_b32_e32 v71, 0x10000, v84
	s_delay_alu instid0(VALU_DEP_2) | instskip(NEXT) | instid1(VALU_DEP_2)
	v_cmp_eq_u32_e32 vcc_lo, 0, v69
	v_cndmask_b32_e32 v69, v71, v84, vcc_lo
; %bb.48:
	s_or_b32 exec_lo, exec_lo, s2
	v_and_b32_e32 v71, 0x7f800000, v72
	s_delay_alu instid0(VALU_DEP_1) | instskip(SKIP_1) | instid1(SALU_CYCLE_1)
	v_cmp_ne_u32_e32 vcc_lo, 0x7f800000, v71
                                        ; implicit-def: $vgpr71
	s_and_saveexec_b32 s2, vcc_lo
	s_xor_b32 s2, exec_lo, s2
; %bb.49:
	v_bfe_u32 v71, v72, 16, 1
	s_delay_alu instid0(VALU_DEP_1)
	v_add3_u32 v71, v72, v71, 0x7fff
                                        ; implicit-def: $vgpr72
; %bb.50:
	s_and_not1_saveexec_b32 s2, s2
; %bb.51:
	v_and_b32_e32 v71, 0xffff, v72
	v_or_b32_e32 v82, 0x10000, v72
	s_delay_alu instid0(VALU_DEP_2) | instskip(NEXT) | instid1(VALU_DEP_2)
	v_cmp_eq_u32_e32 vcc_lo, 0, v71
	v_cndmask_b32_e32 v71, v82, v72, vcc_lo
; %bb.52:
	s_or_b32 exec_lo, exec_lo, s2
	v_and_b32_e32 v72, 0x7f800000, v81
	s_delay_alu instid0(VALU_DEP_1) | instskip(SKIP_1) | instid1(SALU_CYCLE_1)
	v_cmp_ne_u32_e32 vcc_lo, 0x7f800000, v72
                                        ; implicit-def: $vgpr72
	s_and_saveexec_b32 s2, vcc_lo
	s_xor_b32 s2, exec_lo, s2
; %bb.53:
	v_bfe_u32 v72, v81, 16, 1
	s_delay_alu instid0(VALU_DEP_1)
	v_add3_u32 v72, v81, v72, 0x7fff
                                        ; implicit-def: $vgpr81
; %bb.54:
	s_and_not1_saveexec_b32 s2, s2
; %bb.55:
	v_and_b32_e32 v72, 0xffff, v81
	v_or_b32_e32 v82, 0x10000, v81
	s_delay_alu instid0(VALU_DEP_2) | instskip(NEXT) | instid1(VALU_DEP_2)
	v_cmp_eq_u32_e32 vcc_lo, 0, v72
	v_cndmask_b32_e32 v72, v82, v81, vcc_lo
; %bb.56:
	s_or_b32 exec_lo, exec_lo, s2
	v_and_b32_e32 v81, 0x7f800000, v83
	s_delay_alu instid0(VALU_DEP_1) | instskip(SKIP_1) | instid1(SALU_CYCLE_1)
	v_cmp_ne_u32_e32 vcc_lo, 0x7f800000, v81
                                        ; implicit-def: $vgpr81
	s_and_saveexec_b32 s2, vcc_lo
	s_xor_b32 s2, exec_lo, s2
; %bb.57:
	v_bfe_u32 v81, v83, 16, 1
	s_delay_alu instid0(VALU_DEP_1)
	v_add3_u32 v81, v83, v81, 0x7fff
                                        ; implicit-def: $vgpr83
; %bb.58:
	s_and_not1_saveexec_b32 s2, s2
; %bb.59:
	v_and_b32_e32 v81, 0xffff, v83
	v_or_b32_e32 v82, 0x10000, v83
	s_delay_alu instid0(VALU_DEP_2) | instskip(NEXT) | instid1(VALU_DEP_2)
	v_cmp_eq_u32_e32 vcc_lo, 0, v81
	v_cndmask_b32_e32 v81, v82, v83, vcc_lo
; %bb.60:
	s_or_b32 exec_lo, exec_lo, s2
	v_and_b32_e32 v82, 0x7f800000, v77
	s_delay_alu instid0(VALU_DEP_1) | instskip(SKIP_1) | instid1(SALU_CYCLE_1)
	v_cmp_ne_u32_e32 vcc_lo, 0x7f800000, v82
                                        ; implicit-def: $vgpr82
	s_and_saveexec_b32 s2, vcc_lo
	s_xor_b32 s2, exec_lo, s2
; %bb.61:
	v_bfe_u32 v82, v77, 16, 1
	s_delay_alu instid0(VALU_DEP_1)
	v_add3_u32 v82, v77, v82, 0x7fff
                                        ; implicit-def: $vgpr77
; %bb.62:
	s_and_not1_saveexec_b32 s2, s2
; %bb.63:
	v_and_b32_e32 v82, 0xffff, v77
	v_or_b32_e32 v83, 0x10000, v77
	s_delay_alu instid0(VALU_DEP_2) | instskip(NEXT) | instid1(VALU_DEP_2)
	v_cmp_eq_u32_e32 vcc_lo, 0, v82
	v_cndmask_b32_e32 v82, v83, v77, vcc_lo
; %bb.64:
	s_or_b32 exec_lo, exec_lo, s2
	v_and_b32_e32 v77, 0x7f800000, v78
	s_delay_alu instid0(VALU_DEP_1) | instskip(SKIP_1) | instid1(SALU_CYCLE_1)
	v_cmp_ne_u32_e32 vcc_lo, 0x7f800000, v77
                                        ; implicit-def: $vgpr77
	s_and_saveexec_b32 s2, vcc_lo
	s_xor_b32 s2, exec_lo, s2
; %bb.65:
	v_bfe_u32 v77, v78, 16, 1
	s_delay_alu instid0(VALU_DEP_1)
	v_add3_u32 v77, v78, v77, 0x7fff
                                        ; implicit-def: $vgpr78
; %bb.66:
	s_and_not1_saveexec_b32 s2, s2
; %bb.67:
	v_and_b32_e32 v77, 0xffff, v78
	v_or_b32_e32 v83, 0x10000, v78
	s_delay_alu instid0(VALU_DEP_2) | instskip(NEXT) | instid1(VALU_DEP_2)
	v_cmp_eq_u32_e32 vcc_lo, 0, v77
	v_cndmask_b32_e32 v77, v83, v78, vcc_lo
; %bb.68:
	s_or_b32 exec_lo, exec_lo, s2
	v_and_b32_e32 v78, 0x7f800000, v79
	s_delay_alu instid0(VALU_DEP_1) | instskip(SKIP_1) | instid1(SALU_CYCLE_1)
	v_cmp_ne_u32_e32 vcc_lo, 0x7f800000, v78
                                        ; implicit-def: $vgpr78
	s_and_saveexec_b32 s2, vcc_lo
	s_xor_b32 s2, exec_lo, s2
; %bb.69:
	v_bfe_u32 v78, v79, 16, 1
	s_delay_alu instid0(VALU_DEP_1)
	v_add3_u32 v78, v79, v78, 0x7fff
                                        ; implicit-def: $vgpr79
; %bb.70:
	s_and_not1_saveexec_b32 s2, s2
; %bb.71:
	v_and_b32_e32 v78, 0xffff, v79
	v_or_b32_e32 v83, 0x10000, v79
	s_delay_alu instid0(VALU_DEP_2) | instskip(NEXT) | instid1(VALU_DEP_2)
	v_cmp_eq_u32_e32 vcc_lo, 0, v78
	v_cndmask_b32_e32 v78, v83, v79, vcc_lo
; %bb.72:
	s_or_b32 exec_lo, exec_lo, s2
	v_and_b32_e32 v79, 0x7f800000, v70
	s_delay_alu instid0(VALU_DEP_1) | instskip(SKIP_1) | instid1(SALU_CYCLE_1)
	v_cmp_ne_u32_e32 vcc_lo, 0x7f800000, v79
                                        ; implicit-def: $vgpr79
	s_and_saveexec_b32 s2, vcc_lo
	s_xor_b32 s2, exec_lo, s2
; %bb.73:
	v_bfe_u32 v79, v70, 16, 1
	s_delay_alu instid0(VALU_DEP_1)
	v_add3_u32 v79, v70, v79, 0x7fff
                                        ; implicit-def: $vgpr70
; %bb.74:
	s_and_not1_saveexec_b32 s2, s2
; %bb.75:
	v_and_b32_e32 v79, 0xffff, v70
	v_or_b32_e32 v83, 0x10000, v70
	s_delay_alu instid0(VALU_DEP_2) | instskip(NEXT) | instid1(VALU_DEP_2)
	v_cmp_eq_u32_e32 vcc_lo, 0, v79
	v_cndmask_b32_e32 v79, v83, v70, vcc_lo
; %bb.76:
	s_or_b32 exec_lo, exec_lo, s2
	s_delay_alu instid0(VALU_DEP_1)
	v_perm_b32 v86, v79, v78, 0x7060302
	v_perm_b32 v85, v77, v82, 0x7060302
	v_perm_b32 v84, v81, v72, 0x7060302
	v_perm_b32 v83, v71, v69, 0x7060302
	v_lshl_or_b32 v82, v66, 11, v80
	ds_store_b128 v76, v[83:86] offset:1024
	s_waitcnt lgkmcnt(0)
	s_barrier
	buffer_gl0_inv
	ds_load_b128 v[69:72], v82
	ds_load_b128 v[83:86], v82 offset:16
	s_waitcnt lgkmcnt(1)
	v_lshrrev_b32_e32 v66, 16, v69
	s_waitcnt lgkmcnt(0)
	v_lshrrev_b32_e32 v91, 16, v83
	v_lshlrev_b32_e32 v78, 2, v74
	v_lshrrev_b32_e32 v95, 16, v70
	v_lshrrev_b32_e32 v98, 16, v84
	;; [unrolled: 1-line block ×4, first 2 shown]
	v_cmp_eq_u32_e32 vcc_lo, 1, v78
	v_lshrrev_b32_e32 v97, 16, v72
	v_lshrrev_b32_e32 v100, 16, v86
	v_cndmask_b32_e32 v87, v83, v91, vcc_lo
	v_or_b32_e32 v79, 1, v78
	v_cndmask_b32_e32 v81, v69, v66, vcc_lo
	v_cmp_eq_u32_e64 s3, 2, v78
	v_cmp_eq_u32_e64 s6, 3, v78
	;; [unrolled: 1-line block ×5, first 2 shown]
	v_cndmask_b32_e64 v81, v81, v70, s3
	v_cndmask_b32_e64 v87, v87, v84, s3
	v_cmp_eq_u32_e64 s7, 3, v79
	v_cndmask_b32_e64 v88, v69, v66, s2
	v_or_b32_e32 v77, 2, v78
	v_cndmask_b32_e64 v81, v81, v95, s6
	v_cndmask_b32_e64 v87, v87, v98, s6
	;; [unrolled: 1-line block ×4, first 2 shown]
	v_cmp_eq_u32_e64 s9, 5, v78
	v_cndmask_b32_e64 v81, v81, v71, s8
	v_cndmask_b32_e64 v87, v87, v85, s8
	v_cmp_eq_u32_e64 s10, 4, v79
	v_cndmask_b32_e64 v88, v88, v95, s7
	v_cmp_eq_u32_e64 s4, 1, v77
	v_cndmask_b32_e64 v89, v89, v84, s5
	v_cndmask_b32_e64 v81, v81, v96, s9
	v_cmp_eq_u32_e64 s11, 6, v78
	v_cndmask_b32_e64 v88, v88, v71, s10
	;; [unrolled: 3-line block ×3, first 2 shown]
	v_cndmask_b32_e64 v89, v89, v98, s7
	v_cndmask_b32_e64 v81, v81, v72, s11
	v_cmp_eq_u32_e64 s13, 7, v78
	v_cndmask_b32_e64 v88, v88, v96, s12
	v_cndmask_b32_e64 v87, v87, v86, s11
	v_cmp_eq_u32_e64 s15, 6, v79
	v_cmp_eq_u32_e64 s16, 2, v77
	v_cndmask_b32_e64 v89, v89, v85, s10
	v_cndmask_b32_e64 v101, v81, v97, s13
	;; [unrolled: 1-line block ×6, first 2 shown]
	v_cmp_eq_u32_e64 s17, 7, v79
	v_cmp_eq_u32_e64 s18, 3, v77
	;; [unrolled: 1-line block ×4, first 2 shown]
	v_cndmask_b32_e64 v87, v87, v84, s16
	v_cndmask_b32_e64 v103, v88, v97, s17
	;; [unrolled: 1-line block ×4, first 2 shown]
	v_or_b32_e32 v81, 3, v78
	v_cndmask_b32_e64 v93, v87, v98, s18
	v_cmp_eq_u32_e64 s23, 6, v77
	v_cndmask_b32_e64 v104, v88, v86, s15
	v_cndmask_b32_e64 v92, v89, v71, s19
	v_cmp_eq_u32_e64 s20, 1, v81
	ds_load_b128 v[87:90], v82 offset:1024
	v_cmp_eq_u32_e64 s22, 2, v81
	v_cmp_eq_u32_e64 s24, 3, v81
	v_cndmask_b32_e64 v105, v92, v96, s21
	v_cndmask_b32_e64 v66, v69, v66, s20
	;; [unrolled: 1-line block ×4, first 2 shown]
	ds_load_b128 v[91:94], v82 offset:1040
	v_cmp_eq_u32_e64 s25, 4, v81
	v_cndmask_b32_e64 v66, v66, v70, s22
	v_cmp_eq_u32_e64 s26, 7, v77
	v_cndmask_b32_e64 v70, v83, v84, s22
	v_cndmask_b32_e64 v84, v105, v72, s23
	v_cmp_eq_u32_e64 s27, 5, v81
	v_cndmask_b32_e64 v66, v66, v95, s24
	v_cmp_eq_u32_e64 s28, 6, v81
	v_cndmask_b32_e64 v70, v70, v98, s24
	v_cndmask_b32_e64 v69, v69, v99, s21
	;; [unrolled: 1-line block ×4, first 2 shown]
	s_waitcnt lgkmcnt(1)
	v_lshrrev_b32_e32 v95, 16, v87
	v_cndmask_b32_e64 v70, v70, v85, s25
	v_cndmask_b32_e64 v71, v84, v97, s26
	;; [unrolled: 1-line block ×4, first 2 shown]
	v_cndmask_b32_e32 v84, v87, v95, vcc_lo
	v_cndmask_b32_e64 v70, v70, v99, s27
	s_waitcnt lgkmcnt(0)
	v_lshrrev_b32_e32 v85, 16, v91
	v_lshrrev_b32_e32 v96, 16, v88
	v_cndmask_b32_e64 v98, v87, v95, s2
	v_cndmask_b32_e64 v84, v84, v88, s3
	v_cndmask_b32_e64 v70, v70, v86, s28
	v_cndmask_b32_e32 v99, v91, v85, vcc_lo
	v_cmp_eq_u32_e32 vcc_lo, 7, v81
	v_cndmask_b32_e64 v66, v66, v72, s28
	v_cndmask_b32_e64 v72, v84, v96, s6
	;; [unrolled: 1-line block ×3, first 2 shown]
	v_lshrrev_b32_e32 v98, 16, v92
	v_cndmask_b32_e32 v70, v70, v100, vcc_lo
	v_cndmask_b32_e64 v86, v99, v92, s3
	v_cndmask_b32_e64 v69, v69, v100, s26
	v_lshrrev_b32_e32 v100, 16, v93
	v_cndmask_b32_e64 v72, v72, v89, s8
	v_lshrrev_b32_e32 v99, 16, v89
	v_cndmask_b32_e64 v86, v86, v98, s6
	v_perm_b32 v71, v69, v71, 0x5040100
	v_cndmask_b32_e64 v84, v84, v96, s7
	s_delay_alu instid0(VALU_DEP_3) | instskip(NEXT) | instid1(VALU_DEP_2)
	v_cndmask_b32_e64 v86, v86, v93, s8
	v_cndmask_b32_e64 v84, v84, v89, s10
	s_delay_alu instid0(VALU_DEP_2) | instskip(NEXT) | instid1(VALU_DEP_1)
	v_cndmask_b32_e64 v86, v86, v100, s9
	v_cndmask_b32_e64 v69, v86, v94, s11
	;; [unrolled: 1-line block ×5, first 2 shown]
	s_delay_alu instid0(VALU_DEP_3) | instskip(NEXT) | instid1(VALU_DEP_3)
	v_cndmask_b32_e64 v86, v86, v88, s16
	v_cndmask_b32_e64 v87, v87, v88, s22
	s_delay_alu instid0(VALU_DEP_3) | instskip(NEXT) | instid1(VALU_DEP_3)
	v_cndmask_b32_e64 v88, v95, v92, s22
	v_cndmask_b32_e64 v86, v86, v96, s18
	;; [unrolled: 3-line block ×7, first 2 shown]
	s_delay_alu instid0(VALU_DEP_3) | instskip(SKIP_2) | instid1(VALU_DEP_2)
	v_cndmask_b32_e64 v88, v88, v94, s28
	v_cndmask_b32_e32 v66, v66, v97, vcc_lo
	v_cndmask_b32_e64 v97, v72, v99, s9
	v_perm_b32 v72, v70, v66, 0x5040100
	v_perm_b32 v70, v83, v103, 0x5040100
	v_cndmask_b32_e64 v103, v91, v85, s4
	v_cndmask_b32_e64 v85, v91, v85, s2
	;; [unrolled: 1-line block ×4, first 2 shown]
	v_lshrrev_b32_e32 v97, 16, v90
	v_cndmask_b32_e64 v91, v103, v92, s16
	v_cndmask_b32_e64 v85, v85, v92, s5
	;; [unrolled: 1-line block ×3, first 2 shown]
	s_mov_b32 s2, exec_lo
	v_cndmask_b32_e64 v83, v84, v97, s13
	v_cndmask_b32_e64 v91, v91, v98, s18
	;; [unrolled: 1-line block ×3, first 2 shown]
	v_lshrrev_b32_e32 v84, 16, v94
	v_cndmask_b32_e64 v66, v66, v97, s17
	v_cndmask_b32_e64 v90, v86, v97, s26
	;; [unrolled: 1-line block ×4, first 2 shown]
	v_dual_cndmask_b32 v86, v87, v97 :: v_dual_cndmask_b32 v87, v88, v84
	v_cndmask_b32_e64 v91, v69, v84, s13
	s_delay_alu instid0(VALU_DEP_4) | instskip(NEXT) | instid1(VALU_DEP_4)
	v_cndmask_b32_e64 v89, v89, v100, s21
	v_cndmask_b32_e64 v85, v85, v100, s12
	v_perm_b32 v69, v102, v101, 0x5040100
	v_perm_b32 v86, v87, v86, 0x5040100
	;; [unrolled: 1-line block ×3, first 2 shown]
	v_cndmask_b32_e64 v89, v89, v94, s23
	v_cndmask_b32_e64 v85, v85, v94, s15
	s_mul_i32 s7, s35, 10
	s_delay_alu instid0(VALU_DEP_2) | instskip(NEXT) | instid1(VALU_DEP_2)
	v_cndmask_b32_e64 v88, v89, v84, s26
	v_cndmask_b32_e64 v89, v85, v84, s17
	s_delay_alu instid0(VALU_DEP_2) | instskip(NEXT) | instid1(VALU_DEP_2)
	v_perm_b32 v85, v88, v90, 0x5040100
	v_perm_b32 v84, v89, v66, 0x5040100
	ds_store_b128 v76, v[69:72]
	ds_store_b128 v76, v[83:86] offset:1024
	v_cmpx_gt_u32_e32 10, v0
	s_cbranch_execz .LBB1615_78
; %bb.77:
	s_mul_i32 s3, s7, s30
	s_load_b128 s[8:11], s[0:1], 0x58
	v_add3_u32 v69, s3, s29, v65
	s_delay_alu instid0(VALU_DEP_1) | instskip(NEXT) | instid1(VALU_DEP_1)
	v_mad_u64_u32 v[65:66], null, v69, s34, s[14:15]
	v_ashrrev_i32_e32 v66, 31, v65
	s_delay_alu instid0(VALU_DEP_1) | instskip(SKIP_1) | instid1(VALU_DEP_1)
	v_lshlrev_b64 v[65:66], 2, v[65:66]
	s_waitcnt lgkmcnt(0)
	v_add_co_u32 v69, vcc_lo, s10, v65
	s_delay_alu instid0(VALU_DEP_2)
	v_add_co_ci_u32_e32 v70, vcc_lo, s11, v66, vcc_lo
	v_add_co_u32 v65, vcc_lo, s8, v65
	v_add_co_ci_u32_e32 v66, vcc_lo, s9, v66, vcc_lo
	global_store_b32 v[69:70], v67, off
	global_store_b32 v[65:66], v68, off
.LBB1615_78:
	s_or_b32 exec_lo, exec_lo, s2
	s_waitcnt lgkmcnt(0)
	s_waitcnt_vscnt null, 0x0
	s_barrier
	buffer_gl0_inv
	ds_load_b128 v[83:86], v80
	ds_load_b128 v[87:90], v80 offset:16
	ds_load_b128 v[95:98], v80 offset:2064
	;; [unrolled: 1-line block ×3, first 2 shown]
	v_mov_b32_e32 v65, 0
	ds_load_b128 v[103:106], v80 offset:4112
	ds_load_b128 v[99:102], v80 offset:4096
	;; [unrolled: 1-line block ×4, first 2 shown]
	v_mov_b32_e32 v66, v65
	v_mov_b32_e32 v67, v65
	v_mov_b32_e32 v68, v65
	v_mov_b32_e32 v69, v65
	v_mov_b32_e32 v70, v65
	v_mov_b32_e32 v71, v65
	v_mov_b32_e32 v72, v65
	s_waitcnt lgkmcnt(6)
	s_delay_alu instid0(VALU_DEP_1)
	v_wmma_f32_16x16x16_bf16 v[65:72], v[49:56], v[83:90], v[65:72]
	ds_load_b128 v[53:56], v80 offset:8208
	ds_load_b128 v[49:52], v80 offset:8192
	s_waitcnt lgkmcnt(6)
	v_wmma_f32_16x16x16_bf16 v[65:72], v[41:48], v[91:98], v[65:72]
	ds_load_b128 v[45:48], v80 offset:10256
	ds_load_b128 v[41:44], v80 offset:10240
	s_waitcnt lgkmcnt(6)
	;; [unrolled: 4-line block ×4, first 2 shown]
	v_wmma_f32_16x16x16_bf16 v[65:72], v[1:8], v[49:56], v[65:72]
	s_waitcnt lgkmcnt(4)
	s_delay_alu instid0(VALU_DEP_1) | instskip(SKIP_1) | instid1(VALU_DEP_1)
	v_wmma_f32_16x16x16_bf16 v[65:72], v[9:16], v[41:48], v[65:72]
	s_waitcnt lgkmcnt(2)
	v_wmma_f32_16x16x16_bf16 v[65:72], v[17:24], v[33:40], v[65:72]
	s_waitcnt lgkmcnt(0)
	s_delay_alu instid0(VALU_DEP_1) | instskip(NEXT) | instid1(VALU_DEP_1)
	v_wmma_f32_16x16x16_bf16 v[65:72], v[57:64], v[25:32], v[65:72]
	v_and_b32_e32 v1, 0x7f800000, v65
	s_delay_alu instid0(VALU_DEP_1) | instskip(SKIP_1) | instid1(SALU_CYCLE_1)
	v_cmp_ne_u32_e32 vcc_lo, 0x7f800000, v1
                                        ; implicit-def: $vgpr1
	s_and_saveexec_b32 s2, vcc_lo
	s_xor_b32 s2, exec_lo, s2
; %bb.79:
	v_bfe_u32 v1, v65, 16, 1
	s_delay_alu instid0(VALU_DEP_1)
	v_add3_u32 v1, v65, v1, 0x7fff
; %bb.80:
	s_and_not1_saveexec_b32 s2, s2
; %bb.81:
	v_and_b32_e32 v1, 0xffff, v65
	v_or_b32_e32 v2, 0x10000, v65
	s_delay_alu instid0(VALU_DEP_2) | instskip(NEXT) | instid1(VALU_DEP_2)
	v_cmp_eq_u32_e32 vcc_lo, 0, v1
	v_cndmask_b32_e32 v1, v2, v65, vcc_lo
; %bb.82:
	s_or_b32 exec_lo, exec_lo, s2
	v_and_b32_e32 v2, 0x7f800000, v66
	s_delay_alu instid0(VALU_DEP_1) | instskip(SKIP_1) | instid1(SALU_CYCLE_1)
	v_cmp_ne_u32_e32 vcc_lo, 0x7f800000, v2
                                        ; implicit-def: $vgpr2
	s_and_saveexec_b32 s2, vcc_lo
	s_xor_b32 s2, exec_lo, s2
; %bb.83:
	v_bfe_u32 v2, v66, 16, 1
	s_delay_alu instid0(VALU_DEP_1)
	v_add3_u32 v2, v66, v2, 0x7fff
; %bb.84:
	s_and_not1_saveexec_b32 s2, s2
; %bb.85:
	v_and_b32_e32 v2, 0xffff, v66
	v_or_b32_e32 v3, 0x10000, v66
	s_delay_alu instid0(VALU_DEP_2) | instskip(NEXT) | instid1(VALU_DEP_2)
	v_cmp_eq_u32_e32 vcc_lo, 0, v2
	v_cndmask_b32_e32 v2, v3, v66, vcc_lo
; %bb.86:
	s_or_b32 exec_lo, exec_lo, s2
	v_and_b32_e32 v3, 0x7f800000, v67
	s_delay_alu instid0(VALU_DEP_1) | instskip(SKIP_1) | instid1(SALU_CYCLE_1)
	v_cmp_ne_u32_e32 vcc_lo, 0x7f800000, v3
                                        ; implicit-def: $vgpr3
	s_and_saveexec_b32 s2, vcc_lo
	s_xor_b32 s2, exec_lo, s2
; %bb.87:
	v_bfe_u32 v3, v67, 16, 1
	s_delay_alu instid0(VALU_DEP_1)
	v_add3_u32 v3, v67, v3, 0x7fff
; %bb.88:
	s_and_not1_saveexec_b32 s2, s2
; %bb.89:
	v_and_b32_e32 v3, 0xffff, v67
	v_or_b32_e32 v4, 0x10000, v67
	s_delay_alu instid0(VALU_DEP_2) | instskip(NEXT) | instid1(VALU_DEP_2)
	v_cmp_eq_u32_e32 vcc_lo, 0, v3
	v_cndmask_b32_e32 v3, v4, v67, vcc_lo
; %bb.90:
	s_or_b32 exec_lo, exec_lo, s2
	v_and_b32_e32 v4, 0x7f800000, v68
	s_delay_alu instid0(VALU_DEP_1) | instskip(SKIP_1) | instid1(SALU_CYCLE_1)
	v_cmp_ne_u32_e32 vcc_lo, 0x7f800000, v4
                                        ; implicit-def: $vgpr4
	s_and_saveexec_b32 s2, vcc_lo
	s_xor_b32 s2, exec_lo, s2
; %bb.91:
	v_bfe_u32 v4, v68, 16, 1
	s_delay_alu instid0(VALU_DEP_1)
	v_add3_u32 v4, v68, v4, 0x7fff
; %bb.92:
	s_and_not1_saveexec_b32 s2, s2
; %bb.93:
	v_and_b32_e32 v4, 0xffff, v68
	v_or_b32_e32 v5, 0x10000, v68
	s_delay_alu instid0(VALU_DEP_2) | instskip(NEXT) | instid1(VALU_DEP_2)
	v_cmp_eq_u32_e32 vcc_lo, 0, v4
	v_cndmask_b32_e32 v4, v5, v68, vcc_lo
; %bb.94:
	s_or_b32 exec_lo, exec_lo, s2
	v_and_b32_e32 v5, 0x7f800000, v69
	s_delay_alu instid0(VALU_DEP_1) | instskip(SKIP_1) | instid1(SALU_CYCLE_1)
	v_cmp_ne_u32_e32 vcc_lo, 0x7f800000, v5
                                        ; implicit-def: $vgpr5
	s_and_saveexec_b32 s2, vcc_lo
	s_xor_b32 s2, exec_lo, s2
; %bb.95:
	v_bfe_u32 v5, v69, 16, 1
	s_delay_alu instid0(VALU_DEP_1)
	v_add3_u32 v5, v69, v5, 0x7fff
; %bb.96:
	s_and_not1_saveexec_b32 s2, s2
; %bb.97:
	v_and_b32_e32 v5, 0xffff, v69
	v_or_b32_e32 v6, 0x10000, v69
	s_delay_alu instid0(VALU_DEP_2) | instskip(NEXT) | instid1(VALU_DEP_2)
	v_cmp_eq_u32_e32 vcc_lo, 0, v5
	v_cndmask_b32_e32 v5, v6, v69, vcc_lo
; %bb.98:
	s_or_b32 exec_lo, exec_lo, s2
	v_and_b32_e32 v6, 0x7f800000, v70
	s_delay_alu instid0(VALU_DEP_1) | instskip(SKIP_1) | instid1(SALU_CYCLE_1)
	v_cmp_ne_u32_e32 vcc_lo, 0x7f800000, v6
                                        ; implicit-def: $vgpr6
	s_and_saveexec_b32 s2, vcc_lo
	s_xor_b32 s2, exec_lo, s2
; %bb.99:
	v_bfe_u32 v6, v70, 16, 1
	s_delay_alu instid0(VALU_DEP_1)
	v_add3_u32 v6, v70, v6, 0x7fff
; %bb.100:
	s_and_not1_saveexec_b32 s2, s2
; %bb.101:
	v_and_b32_e32 v6, 0xffff, v70
	v_or_b32_e32 v7, 0x10000, v70
	s_delay_alu instid0(VALU_DEP_2) | instskip(NEXT) | instid1(VALU_DEP_2)
	v_cmp_eq_u32_e32 vcc_lo, 0, v6
	v_cndmask_b32_e32 v6, v7, v70, vcc_lo
; %bb.102:
	s_or_b32 exec_lo, exec_lo, s2
	v_and_b32_e32 v7, 0x7f800000, v71
	s_delay_alu instid0(VALU_DEP_1) | instskip(SKIP_1) | instid1(SALU_CYCLE_1)
	v_cmp_ne_u32_e32 vcc_lo, 0x7f800000, v7
                                        ; implicit-def: $vgpr7
	s_and_saveexec_b32 s2, vcc_lo
	s_xor_b32 s2, exec_lo, s2
; %bb.103:
	v_bfe_u32 v7, v71, 16, 1
	s_delay_alu instid0(VALU_DEP_1)
	v_add3_u32 v7, v71, v7, 0x7fff
; %bb.104:
	s_and_not1_saveexec_b32 s2, s2
; %bb.105:
	v_and_b32_e32 v7, 0xffff, v71
	v_or_b32_e32 v8, 0x10000, v71
	s_delay_alu instid0(VALU_DEP_2) | instskip(NEXT) | instid1(VALU_DEP_2)
	v_cmp_eq_u32_e32 vcc_lo, 0, v7
	v_cndmask_b32_e32 v7, v8, v71, vcc_lo
; %bb.106:
	s_or_b32 exec_lo, exec_lo, s2
	v_and_b32_e32 v8, 0x7f800000, v72
	s_delay_alu instid0(VALU_DEP_1) | instskip(SKIP_1) | instid1(SALU_CYCLE_1)
	v_cmp_ne_u32_e32 vcc_lo, 0x7f800000, v8
                                        ; implicit-def: $vgpr8
	s_and_saveexec_b32 s2, vcc_lo
	s_xor_b32 s2, exec_lo, s2
; %bb.107:
	v_bfe_u32 v8, v72, 16, 1
	s_delay_alu instid0(VALU_DEP_1)
	v_add3_u32 v8, v72, v8, 0x7fff
                                        ; implicit-def: $vgpr65_vgpr66_vgpr67_vgpr68_vgpr69_vgpr70_vgpr71_vgpr72
; %bb.108:
	s_and_not1_saveexec_b32 s2, s2
; %bb.109:
	v_and_b32_e32 v8, 0xffff, v72
	v_or_b32_e32 v9, 0x10000, v72
	s_delay_alu instid0(VALU_DEP_2) | instskip(NEXT) | instid1(VALU_DEP_2)
	v_cmp_eq_u32_e32 vcc_lo, 0, v8
	v_cndmask_b32_e32 v8, v9, v72, vcc_lo
; %bb.110:
	s_or_b32 exec_lo, exec_lo, s2
	s_delay_alu instid0(VALU_DEP_1)
	v_perm_b32 v7, v8, v7, 0x7060302
	v_perm_b32 v6, v6, v5, 0x7060302
	;; [unrolled: 1-line block ×4, first 2 shown]
	s_barrier
	buffer_gl0_inv
	v_cmp_eq_u32_e32 vcc_lo, 1, v78
	ds_store_b128 v76, v[4:7]
	s_waitcnt lgkmcnt(0)
	s_barrier
	buffer_gl0_inv
	ds_load_b128 v[1:4], v82
	ds_load_b128 v[5:8], v82 offset:16
	v_cmp_eq_u32_e64 s2, 1, v79
	v_cmp_eq_u32_e64 s3, 2, v78
	;; [unrolled: 1-line block ×5, first 2 shown]
	s_waitcnt lgkmcnt(1)
	v_lshrrev_b32_e32 v9, 16, v1
	s_waitcnt lgkmcnt(0)
	v_lshrrev_b32_e32 v13, 16, v5
	v_lshrrev_b32_e32 v10, 16, v2
	;; [unrolled: 1-line block ×4, first 2 shown]
	v_cndmask_b32_e64 v19, v1, v9, s2
	v_cndmask_b32_e32 v18, v5, v13, vcc_lo
	v_cndmask_b32_e64 v20, v5, v13, s2
	v_cndmask_b32_e32 v17, v1, v9, vcc_lo
	v_cmp_eq_u32_e32 vcc_lo, 2, v79
	v_lshrrev_b32_e32 v15, 16, v7
	v_cmp_eq_u32_e64 s2, 1, v77
	v_lshrrev_b32_e32 v12, 16, v4
	v_lshrrev_b32_e32 v16, 16, v8
	v_cndmask_b32_e32 v20, v20, v6, vcc_lo
	v_cndmask_b32_e64 v17, v17, v2, s3
	v_cndmask_b32_e32 v19, v19, v2, vcc_lo
	v_cndmask_b32_e64 v18, v18, v6, s3
	v_cmp_eq_u32_e32 vcc_lo, 4, v78
	v_cmp_eq_u32_e64 s3, 3, v79
	v_cndmask_b32_e64 v17, v17, v10, s4
	v_cndmask_b32_e64 v21, v1, v9, s2
	;; [unrolled: 1-line block ×5, first 2 shown]
	v_cndmask_b32_e32 v17, v17, v3, vcc_lo
	v_cndmask_b32_e64 v20, v20, v14, s3
	v_cndmask_b32_e32 v18, v18, v7, vcc_lo
	v_cmp_eq_u32_e32 vcc_lo, 4, v79
	v_cmp_eq_u32_e64 s3, 5, v79
	v_cmp_eq_u32_e64 s2, 2, v81
	v_cndmask_b32_e64 v21, v21, v2, s6
	v_cmp_eq_u32_e64 s4, 5, v78
	v_cndmask_b32_e32 v19, v19, v3, vcc_lo
	v_cndmask_b32_e32 v20, v20, v7, vcc_lo
	v_cmp_eq_u32_e32 vcc_lo, 6, v79
	s_delay_alu instid0(VALU_DEP_4) | instskip(NEXT) | instid1(VALU_DEP_4)
	v_cndmask_b32_e64 v17, v17, v11, s4
	v_cndmask_b32_e64 v19, v19, v11, s3
	s_delay_alu instid0(VALU_DEP_4) | instskip(SKIP_1) | instid1(VALU_DEP_3)
	v_cndmask_b32_e64 v20, v20, v15, s3
	v_cmp_eq_u32_e64 s3, 1, v81
	v_cndmask_b32_e32 v19, v19, v4, vcc_lo
	v_cndmask_b32_e64 v18, v18, v15, s4
	s_delay_alu instid0(VALU_DEP_3)
	v_cndmask_b32_e64 v1, v1, v9, s3
	v_cndmask_b32_e64 v5, v5, v13, s3
	v_cmp_eq_u32_e64 s3, 3, v77
	v_cndmask_b32_e64 v13, v22, v6, s6
	v_cmp_eq_u32_e64 s6, 3, v81
	v_cndmask_b32_e64 v1, v1, v2, s2
	v_cndmask_b32_e64 v2, v5, v6, s2
	;; [unrolled: 1-line block ×3, first 2 shown]
	v_cmp_eq_u32_e64 s2, 4, v77
	v_cndmask_b32_e64 v6, v13, v14, s3
	v_cndmask_b32_e64 v1, v1, v10, s6
	v_cmp_eq_u32_e64 s3, 4, v81
	v_cndmask_b32_e64 v2, v2, v14, s6
	v_cndmask_b32_e64 v5, v9, v3, s2
	;; [unrolled: 3-line block ×3, first 2 shown]
	v_cndmask_b32_e64 v2, v2, v7, s3
	v_cmp_eq_u32_e64 s2, 5, v81
	v_cmp_eq_u32_e64 s4, 6, v78
	v_cndmask_b32_e64 v5, v5, v11, s6
	v_cmp_eq_u32_e64 s3, 6, v77
	v_cndmask_b32_e64 v3, v6, v15, s6
	v_cndmask_b32_e64 v1, v1, v11, s2
	v_cmp_eq_u32_e64 s6, 6, v81
	v_cndmask_b32_e64 v2, v2, v15, s2
	v_cndmask_b32_e64 v17, v17, v4, s4
	v_cndmask_b32_e64 v18, v18, v8, s4
	v_cmp_eq_u32_e64 s4, 7, v78
	v_cndmask_b32_e64 v5, v5, v4, s3
	;; [unrolled: 4-line block ×3, first 2 shown]
	v_cmp_eq_u32_e64 s3, 7, v77
	v_cndmask_b32_e32 v4, v20, v8, vcc_lo
	v_cndmask_b32_e64 v17, v17, v12, s4
	v_cndmask_b32_e64 v19, v19, v12, s5
	;; [unrolled: 1-line block ×8, first 2 shown]
	s_mov_b32 s2, exec_lo
	v_perm_b32 v4, v2, v1, 0x5040100
	v_perm_b32 v3, v3, v5, 0x5040100
	;; [unrolled: 1-line block ×4, first 2 shown]
	ds_store_b128 v76, v[1:4]
	s_waitcnt lgkmcnt(0)
	s_barrier
	buffer_gl0_inv
	v_cmpx_gt_u32_e32 32, v0
	s_cbranch_execz .LBB1615_2
; %bb.111:
	s_load_b64 s[0:1], s[0:1], 0x68
	s_lshl_b32 s4, s34, 7
	v_or_b32_e32 v2, s29, v74
	s_mul_i32 s2, s4, s30
	v_lshlrev_b32_e32 v0, 10, v0
	s_mul_i32 s2, s2, s7
	v_lshlrev_b32_e32 v1, 4, v75
	s_ashr_i32 s3, s2, 31
	v_mul_lo_u32 v20, v2, s4
	s_lshl_b64 s[2:3], s[2:3], 1
	v_lshlrev_b32_e32 v3, 6, v74
	v_and_b32_e32 v0, 0x3800, v0
	s_delay_alu instid0(VALU_DEP_1) | instskip(NEXT) | instid1(VALU_DEP_4)
	v_or3_b32 v16, v0, v1, v3
	v_ashrrev_i32_e32 v21, 31, v20
	ds_load_b128 v[0:3], v16
	ds_load_b128 v[4:7], v16 offset:128
	s_waitcnt lgkmcnt(0)
	s_add_u32 s2, s0, s2
	s_addc_u32 s3, s1, s3
	s_lshl_b32 s0, s14, 7
	ds_load_b128 v[8:11], v16 offset:256
	ds_load_b128 v[12:15], v16 offset:384
	;; [unrolled: 1-line block ×3, first 2 shown]
	s_ashr_i32 s1, s0, 31
	s_delay_alu instid0(SALU_CYCLE_1) | instskip(NEXT) | instid1(SALU_CYCLE_1)
	s_lshl_b64 s[0:1], s[0:1], 1
	s_add_u32 s0, s2, s0
	s_addc_u32 s1, s3, s1
	s_lshl_b32 s2, s34, 8
	v_add_co_u32 v30, s0, s0, v73
	v_add_nc_u32_e32 v22, s2, v20
	v_lshlrev_b64 v[20:21], 1, v[20:21]
	v_add_co_ci_u32_e64 v31, null, s1, 0, s0
	s_delay_alu instid0(VALU_DEP_3) | instskip(SKIP_1) | instid1(VALU_DEP_4)
	v_add_nc_u32_e32 v24, s2, v22
	v_ashrrev_i32_e32 v23, 31, v22
	v_add_co_u32 v20, vcc_lo, v30, v20
	s_delay_alu instid0(VALU_DEP_4) | instskip(NEXT) | instid1(VALU_DEP_4)
	v_add_co_ci_u32_e32 v21, vcc_lo, v31, v21, vcc_lo
	v_add_nc_u32_e32 v26, s2, v24
	v_ashrrev_i32_e32 v25, 31, v24
	v_lshlrev_b64 v[22:23], 1, v[22:23]
	s_delay_alu instid0(VALU_DEP_3) | instskip(SKIP_1) | instid1(VALU_DEP_4)
	v_add_nc_u32_e32 v28, s2, v26
	v_ashrrev_i32_e32 v27, 31, v26
	v_lshlrev_b64 v[24:25], 1, v[24:25]
	s_delay_alu instid0(VALU_DEP_4) | instskip(NEXT) | instid1(VALU_DEP_4)
	v_add_co_u32 v22, vcc_lo, v30, v22
	v_ashrrev_i32_e32 v29, 31, v28
	s_delay_alu instid0(VALU_DEP_4) | instskip(SKIP_2) | instid1(VALU_DEP_4)
	v_lshlrev_b64 v[26:27], 1, v[26:27]
	v_add_co_ci_u32_e32 v23, vcc_lo, v31, v23, vcc_lo
	v_add_co_u32 v24, vcc_lo, v30, v24
	v_lshlrev_b64 v[28:29], 1, v[28:29]
	v_add_co_ci_u32_e32 v25, vcc_lo, v31, v25, vcc_lo
	v_add_co_u32 v26, vcc_lo, v30, v26
	v_add_co_ci_u32_e32 v27, vcc_lo, v31, v27, vcc_lo
	s_delay_alu instid0(VALU_DEP_4)
	v_add_co_u32 v28, vcc_lo, v30, v28
	v_add_co_ci_u32_e32 v29, vcc_lo, v31, v29, vcc_lo
	s_clause 0x1
	global_store_b128 v[20:21], v[0:3], off
	global_store_b128 v[22:23], v[4:7], off
	s_waitcnt lgkmcnt(2)
	global_store_b128 v[24:25], v[8:11], off
	s_waitcnt lgkmcnt(1)
	;; [unrolled: 2-line block ×3, first 2 shown]
	global_store_b128 v[28:29], v[16:19], off
	s_nop 0
	s_sendmsg sendmsg(MSG_DEALLOC_VGPRS)
	s_endpgm
	.section	.rodata,"a",@progbits
	.p2align	6, 0x0
	.amdhsa_kernel _Z39paged_attention_ll4mi_QKV_mfma16_kernelI14__hip_bfloat16hLN4vllm18Fp8KVCacheDataTypeE1EhLi32ELi128ELi256ELb0ELi10EL8MFMAType1EEvPKT_PKT0_S9_ifPKiSB_SB_iPKfiiiPfSE_PS4_PT2_iSD_SD_
		.amdhsa_group_segment_fixed_size 17472
		.amdhsa_private_segment_fixed_size 0
		.amdhsa_kernarg_size 400
		.amdhsa_user_sgpr_count 13
		.amdhsa_user_sgpr_dispatch_ptr 0
		.amdhsa_user_sgpr_queue_ptr 0
		.amdhsa_user_sgpr_kernarg_segment_ptr 1
		.amdhsa_user_sgpr_dispatch_id 0
		.amdhsa_user_sgpr_private_segment_size 0
		.amdhsa_wavefront_size32 1
		.amdhsa_uses_dynamic_stack 0
		.amdhsa_enable_private_segment 0
		.amdhsa_system_sgpr_workgroup_id_x 1
		.amdhsa_system_sgpr_workgroup_id_y 1
		.amdhsa_system_sgpr_workgroup_id_z 1
		.amdhsa_system_sgpr_workgroup_info 0
		.amdhsa_system_vgpr_workitem_id 0
		.amdhsa_next_free_vgpr 140
		.amdhsa_next_free_sgpr 36
		.amdhsa_reserve_vcc 1
		.amdhsa_float_round_mode_32 0
		.amdhsa_float_round_mode_16_64 0
		.amdhsa_float_denorm_mode_32 3
		.amdhsa_float_denorm_mode_16_64 3
		.amdhsa_dx10_clamp 1
		.amdhsa_ieee_mode 1
		.amdhsa_fp16_overflow 0
		.amdhsa_workgroup_processor_mode 1
		.amdhsa_memory_ordered 1
		.amdhsa_forward_progress 0
		.amdhsa_shared_vgpr_count 0
		.amdhsa_exception_fp_ieee_invalid_op 0
		.amdhsa_exception_fp_denorm_src 0
		.amdhsa_exception_fp_ieee_div_zero 0
		.amdhsa_exception_fp_ieee_overflow 0
		.amdhsa_exception_fp_ieee_underflow 0
		.amdhsa_exception_fp_ieee_inexact 0
		.amdhsa_exception_int_div_zero 0
	.end_amdhsa_kernel
	.section	.text._Z39paged_attention_ll4mi_QKV_mfma16_kernelI14__hip_bfloat16hLN4vllm18Fp8KVCacheDataTypeE1EhLi32ELi128ELi256ELb0ELi10EL8MFMAType1EEvPKT_PKT0_S9_ifPKiSB_SB_iPKfiiiPfSE_PS4_PT2_iSD_SD_,"axG",@progbits,_Z39paged_attention_ll4mi_QKV_mfma16_kernelI14__hip_bfloat16hLN4vllm18Fp8KVCacheDataTypeE1EhLi32ELi128ELi256ELb0ELi10EL8MFMAType1EEvPKT_PKT0_S9_ifPKiSB_SB_iPKfiiiPfSE_PS4_PT2_iSD_SD_,comdat
.Lfunc_end1615:
	.size	_Z39paged_attention_ll4mi_QKV_mfma16_kernelI14__hip_bfloat16hLN4vllm18Fp8KVCacheDataTypeE1EhLi32ELi128ELi256ELb0ELi10EL8MFMAType1EEvPKT_PKT0_S9_ifPKiSB_SB_iPKfiiiPfSE_PS4_PT2_iSD_SD_, .Lfunc_end1615-_Z39paged_attention_ll4mi_QKV_mfma16_kernelI14__hip_bfloat16hLN4vllm18Fp8KVCacheDataTypeE1EhLi32ELi128ELi256ELb0ELi10EL8MFMAType1EEvPKT_PKT0_S9_ifPKiSB_SB_iPKfiiiPfSE_PS4_PT2_iSD_SD_
                                        ; -- End function
	.section	.AMDGPU.csdata,"",@progbits
; Kernel info:
; codeLenInByte = 8952
; NumSgprs: 38
; NumVgprs: 140
; ScratchSize: 0
; MemoryBound: 0
; FloatMode: 240
; IeeeMode: 1
; LDSByteSize: 17472 bytes/workgroup (compile time only)
; SGPRBlocks: 4
; VGPRBlocks: 17
; NumSGPRsForWavesPerEU: 38
; NumVGPRsForWavesPerEU: 140
; Occupancy: 10
; WaveLimiterHint : 1
; COMPUTE_PGM_RSRC2:SCRATCH_EN: 0
; COMPUTE_PGM_RSRC2:USER_SGPR: 13
; COMPUTE_PGM_RSRC2:TRAP_HANDLER: 0
; COMPUTE_PGM_RSRC2:TGID_X_EN: 1
; COMPUTE_PGM_RSRC2:TGID_Y_EN: 1
; COMPUTE_PGM_RSRC2:TGID_Z_EN: 1
; COMPUTE_PGM_RSRC2:TIDIG_COMP_CNT: 0
	.section	.text._Z39paged_attention_ll4mi_QKV_mfma16_kernelI14__hip_bfloat16hLN4vllm18Fp8KVCacheDataTypeE1EhLi32ELi128ELi256ELb0ELi11EL8MFMAType1EEvPKT_PKT0_S9_ifPKiSB_SB_iPKfiiiPfSE_PS4_PT2_iSD_SD_,"axG",@progbits,_Z39paged_attention_ll4mi_QKV_mfma16_kernelI14__hip_bfloat16hLN4vllm18Fp8KVCacheDataTypeE1EhLi32ELi128ELi256ELb0ELi11EL8MFMAType1EEvPKT_PKT0_S9_ifPKiSB_SB_iPKfiiiPfSE_PS4_PT2_iSD_SD_,comdat
	.protected	_Z39paged_attention_ll4mi_QKV_mfma16_kernelI14__hip_bfloat16hLN4vllm18Fp8KVCacheDataTypeE1EhLi32ELi128ELi256ELb0ELi11EL8MFMAType1EEvPKT_PKT0_S9_ifPKiSB_SB_iPKfiiiPfSE_PS4_PT2_iSD_SD_ ; -- Begin function _Z39paged_attention_ll4mi_QKV_mfma16_kernelI14__hip_bfloat16hLN4vllm18Fp8KVCacheDataTypeE1EhLi32ELi128ELi256ELb0ELi11EL8MFMAType1EEvPKT_PKT0_S9_ifPKiSB_SB_iPKfiiiPfSE_PS4_PT2_iSD_SD_
	.globl	_Z39paged_attention_ll4mi_QKV_mfma16_kernelI14__hip_bfloat16hLN4vllm18Fp8KVCacheDataTypeE1EhLi32ELi128ELi256ELb0ELi11EL8MFMAType1EEvPKT_PKT0_S9_ifPKiSB_SB_iPKfiiiPfSE_PS4_PT2_iSD_SD_
	.p2align	8
	.type	_Z39paged_attention_ll4mi_QKV_mfma16_kernelI14__hip_bfloat16hLN4vllm18Fp8KVCacheDataTypeE1EhLi32ELi128ELi256ELb0ELi11EL8MFMAType1EEvPKT_PKT0_S9_ifPKiSB_SB_iPKfiiiPfSE_PS4_PT2_iSD_SD_,@function
_Z39paged_attention_ll4mi_QKV_mfma16_kernelI14__hip_bfloat16hLN4vllm18Fp8KVCacheDataTypeE1EhLi32ELi128ELi256ELb0ELi11EL8MFMAType1EEvPKT_PKT0_S9_ifPKiSB_SB_iPKfiiiPfSE_PS4_PT2_iSD_SD_: ; @_Z39paged_attention_ll4mi_QKV_mfma16_kernelI14__hip_bfloat16hLN4vllm18Fp8KVCacheDataTypeE1EhLi32ELi128ELi256ELb0ELi11EL8MFMAType1EEvPKT_PKT0_S9_ifPKiSB_SB_iPKfiiiPfSE_PS4_PT2_iSD_SD_
; %bb.0:
	s_load_b64 s[4:5], s[0:1], 0x30
	s_mov_b32 s30, s13
	s_waitcnt lgkmcnt(0)
	s_cmp_lg_u64 s[4:5], 0
	s_cselect_b32 s13, -1, 0
	s_ashr_i32 s31, s30, 31
	s_cmp_eq_u64 s[4:5], 0
	s_cbranch_scc1 .LBB1616_3
; %bb.1:
	s_lshl_b64 s[2:3], s[30:31], 2
	s_delay_alu instid0(SALU_CYCLE_1) | instskip(SKIP_4) | instid1(SALU_CYCLE_1)
	s_add_u32 s2, s4, s2
	s_addc_u32 s3, s5, s3
	s_load_b64 s[2:3], s[2:3], 0x0
	s_waitcnt lgkmcnt(0)
	s_sub_i32 s2, s3, s2
	s_cmp_eq_u32 s2, 1
	s_cselect_b32 s2, -1, 0
	s_delay_alu instid0(SALU_CYCLE_1)
	s_and_not1_b32 vcc_lo, exec_lo, s2
	s_cbranch_vccz .LBB1616_4
.LBB1616_2:
	s_nop 0
	s_sendmsg sendmsg(MSG_DEALLOC_VGPRS)
	s_endpgm
.LBB1616_3:
.LBB1616_4:
	s_load_b64 s[2:3], s[0:1], 0x28
	s_lshl_b64 s[6:7], s[30:31], 2
	s_waitcnt lgkmcnt(0)
	s_add_u32 s2, s2, s6
	s_addc_u32 s3, s3, s7
	s_lshl_b32 s12, s14, 8
	s_load_b32 s17, s[2:3], 0x0
	s_waitcnt lgkmcnt(0)
	s_cmp_ge_i32 s12, s17
	s_cbranch_scc1 .LBB1616_2
; %bb.5:
	s_clause 0x1
	s_load_b128 s[8:11], s[0:1], 0x8
	s_load_b64 s[2:3], s[0:1], 0x20
	s_and_not1_b32 vcc_lo, exec_lo, s13
	s_cbranch_vccnz .LBB1616_7
; %bb.6:
	s_add_u32 s4, s4, s6
	s_addc_u32 s5, s5, s7
	s_load_b32 s13, s[4:5], 0x0
	s_branch .LBB1616_8
.LBB1616_7:
	s_mov_b32 s13, s30
.LBB1616_8:
	s_load_b128 s[4:7], s[0:1], 0x48
	v_and_b32_e32 v65, 15, v0
	v_lshrrev_b32_e32 v66, 5, v0
	v_bfe_u32 v74, v0, 4, 1
	v_and_b32_e32 v67, 31, v0
	v_and_b32_e32 v75, 1, v0
	v_lshlrev_b32_e32 v2, 3, v65
	s_mul_i32 s31, s15, 11
	v_lshl_or_b32 v1, v66, 1, v74
	s_waitcnt lgkmcnt(0)
	s_mov_b32 s7, exec_lo
	v_lshlrev_b32_e32 v73, 1, v2
	s_delay_alu instid0(VALU_DEP_2)
	v_cmpx_gt_u32_e32 11, v1
	s_cbranch_execz .LBB1616_10
; %bb.9:
	s_load_b64 s[18:19], s[0:1], 0x0
	v_add_lshl_u32 v2, v1, s31, 7
	s_mul_hi_i32 s21, s13, s4
	s_mul_i32 s20, s13, s4
	v_lshlrev_b32_e32 v6, 10, v65
	s_lshl_b64 s[20:21], s[20:21], 1
	v_ashrrev_i32_e32 v3, 31, v2
	v_lshlrev_b32_e32 v1, 6, v1
	v_lshlrev_b32_e32 v7, 10, v75
	v_and_b32_e32 v6, 0x3800, v6
	s_delay_alu instid0(VALU_DEP_4) | instskip(NEXT) | instid1(VALU_DEP_2)
	v_lshlrev_b64 v[2:3], 1, v[2:3]
	v_or3_b32 v1, v6, v7, v1
	s_waitcnt lgkmcnt(0)
	s_add_u32 s4, s18, s20
	s_addc_u32 s13, s19, s21
	s_delay_alu instid0(VALU_DEP_2) | instskip(SKIP_1) | instid1(VALU_DEP_2)
	v_add_co_u32 v2, vcc_lo, s4, v2
	v_add_co_ci_u32_e32 v3, vcc_lo, s13, v3, vcc_lo
	v_add_co_u32 v2, vcc_lo, v2, v73
	s_delay_alu instid0(VALU_DEP_2)
	v_add_co_ci_u32_e32 v3, vcc_lo, 0, v3, vcc_lo
	global_load_b128 v[2:5], v[2:3], off
	s_waitcnt vmcnt(0)
	ds_store_b128 v1, v[2:5]
.LBB1616_10:
	s_or_b32 exec_lo, exec_lo, s7
	v_and_b32_e32 v1, 0xef, v0
	s_add_i32 s4, s17, 31
	s_clause 0x1
	s_load_b32 s7, s[0:1], 0x38
	s_load_b32 s18, s[0:1], 0x1c
	s_ashr_i32 s13, s4, 31
	v_add_nc_u32_e32 v1, s12, v1
	s_lshr_b32 s13, s13, 27
	s_waitcnt lgkmcnt(0)
	s_add_i32 s4, s4, s13
	s_barrier
	v_ashrrev_i32_e32 v2, 31, v1
	v_or_b32_e32 v3, 16, v1
	s_ashr_i32 s4, s4, 5
	v_cmp_gt_i32_e32 vcc_lo, s17, v1
	s_add_i32 s4, s4, -1
	v_lshrrev_b32_e32 v2, 27, v2
	buffer_gl0_inv
	s_mul_i32 s15, s15, s6
	v_add_nc_u32_e32 v4, v1, v2
	s_mul_i32 s20, s30, s7
	s_delay_alu instid0(SALU_CYCLE_1) | instskip(NEXT) | instid1(VALU_DEP_1)
	s_ashr_i32 s21, s20, 31
	v_ashrrev_i32_e32 v4, 5, v4
	v_add_nc_u32_e32 v2, v3, v2
	s_lshl_b64 s[20:21], s[20:21], 2
	s_delay_alu instid0(SALU_CYCLE_1) | instskip(NEXT) | instid1(VALU_DEP_2)
	s_add_u32 s13, s2, s20
	v_cndmask_b32_e32 v1, s4, v4, vcc_lo
	s_delay_alu instid0(VALU_DEP_2)
	v_ashrrev_i32_e32 v2, 5, v2
	v_cmp_gt_i32_e32 vcc_lo, s17, v3
	s_addc_u32 s16, s3, s21
	s_ashr_i32 s19, s15, 31
	s_add_u32 s2, s8, s15
	s_addc_u32 s3, s9, s19
	v_cndmask_b32_e32 v3, s4, v2, vcc_lo
	v_ashrrev_i32_e32 v2, 31, v1
	s_lshl_b32 s6, s14, 3
	s_delay_alu instid0(SALU_CYCLE_1) | instskip(NEXT) | instid1(VALU_DEP_2)
	s_ashr_i32 s7, s6, 31
	v_ashrrev_i32_e32 v4, 31, v3
	s_delay_alu instid0(VALU_DEP_2) | instskip(SKIP_1) | instid1(SALU_CYCLE_1)
	v_lshlrev_b64 v[1:2], 2, v[1:2]
	s_lshl_b64 s[6:7], s[6:7], 2
	s_add_u32 s6, s13, s6
	s_delay_alu instid0(VALU_DEP_2) | instskip(SKIP_1) | instid1(VALU_DEP_2)
	v_lshlrev_b64 v[3:4], 2, v[3:4]
	s_addc_u32 s7, s16, s7
	v_add_co_u32 v1, vcc_lo, s13, v1
	v_add_co_ci_u32_e32 v2, vcc_lo, s16, v2, vcc_lo
	s_delay_alu instid0(VALU_DEP_3) | instskip(NEXT) | instid1(VALU_DEP_4)
	v_add_co_u32 v3, vcc_lo, s13, v3
	v_add_co_ci_u32_e32 v4, vcc_lo, s16, v4, vcc_lo
	s_clause 0x1
	global_load_b32 v5, v[1:2], off
	global_load_b32 v6, v[3:4], off
	s_or_b32 s8, s12, 32
	s_delay_alu instid0(SALU_CYCLE_1) | instskip(SKIP_2) | instid1(SALU_CYCLE_1)
	s_ashr_i32 s9, s8, 5
	s_cmp_lt_i32 s8, s17
	s_cselect_b32 s8, s9, s4
	s_ashr_i32 s9, s8, 31
	s_delay_alu instid0(SALU_CYCLE_1) | instskip(NEXT) | instid1(SALU_CYCLE_1)
	s_lshl_b64 s[8:9], s[8:9], 2
	s_add_u32 s8, s13, s8
	s_addc_u32 s9, s16, s9
	s_or_b32 s20, s12, 64
	s_delay_alu instid0(SALU_CYCLE_1) | instskip(SKIP_2) | instid1(SALU_CYCLE_1)
	s_ashr_i32 s21, s20, 5
	s_cmp_lt_i32 s20, s17
	s_cselect_b32 s20, s21, s4
	s_ashr_i32 s21, s20, 31
	s_delay_alu instid0(SALU_CYCLE_1) | instskip(NEXT) | instid1(SALU_CYCLE_1)
	s_lshl_b64 s[20:21], s[20:21], 2
	s_add_u32 s20, s13, s20
	s_addc_u32 s21, s16, s21
	;; [unrolled: 10-line block ×5, first 2 shown]
	s_clause 0x5
	s_load_b32 s28, s[6:7], 0x0
	s_load_b32 s8, s[8:9], 0x0
	;; [unrolled: 1-line block ×6, first 2 shown]
	s_mov_b32 s20, 0
	s_delay_alu instid0(SALU_CYCLE_1)
	s_mov_b32 s21, s20
	s_mov_b32 s22, s20
	;; [unrolled: 1-line block ×7, first 2 shown]
	s_delay_alu instid0(SALU_CYCLE_1)
	v_dual_mov_b32 v107, s27 :: v_dual_mov_b32 v106, s26
	v_dual_mov_b32 v104, s24 :: v_dual_mov_b32 v103, s23
	;; [unrolled: 1-line block ×3, first 2 shown]
	v_mov_b32_e32 v100, s20
	s_waitcnt vmcnt(1)
	v_mad_i64_i32 v[1:2], null, v5, s5, s[2:3]
	v_lshlrev_b32_e32 v5, 4, v65
	s_waitcnt vmcnt(0)
	v_mad_i64_i32 v[3:4], null, v6, s5, s[2:3]
	s_or_b32 s2, s12, 0xc0
	s_delay_alu instid0(SALU_CYCLE_1) | instskip(NEXT) | instid1(VALU_DEP_3)
	s_ashr_i32 s3, s2, 5
	v_add_co_u32 v33, vcc_lo, v1, v5
	s_delay_alu instid0(VALU_DEP_4) | instskip(NEXT) | instid1(VALU_DEP_3)
	v_add_co_ci_u32_e32 v34, vcc_lo, 0, v2, vcc_lo
	v_add_co_u32 v35, vcc_lo, v3, v5
	s_delay_alu instid0(VALU_DEP_4)
	v_add_co_ci_u32_e32 v36, vcc_lo, 0, v4, vcc_lo
	s_clause 0xf
	global_load_b128 v[1:4], v[33:34], off
	global_load_b128 v[5:8], v[33:34], off offset:512
	global_load_b128 v[9:12], v[35:36], off offset:256
	;; [unrolled: 1-line block ×15, first 2 shown]
	s_cmp_lt_i32 s2, s17
	v_add_nc_u32_e32 v33, -11, v65
	s_cselect_b32 s2, s3, s4
	v_cmp_gt_u32_e32 vcc_lo, 11, v65
	s_ashr_i32 s3, s2, 31
	v_lshlrev_b32_e32 v34, 5, v65
	s_lshl_b64 s[2:3], s[2:3], 2
	s_delay_alu instid0(SALU_CYCLE_1)
	s_add_u32 s2, s13, s2
	s_addc_u32 s3, s16, s3
	s_or_b32 s6, s12, 0xe0
	v_cndmask_b32_e32 v33, v33, v65, vcc_lo
	s_ashr_i32 s7, s6, 5
	s_cmp_lt_i32 s6, s17
	v_mov_b32_e32 v105, s25
	s_cselect_b32 s6, s7, s4
	v_lshlrev_b32_e32 v72, 6, v33
	s_ashr_i32 s7, s6, 31
	v_lshl_or_b32 v41, v66, 9, v34
	s_lshl_b64 s[6:7], s[6:7], 2
	ds_load_b128 v[33:36], v72
	ds_load_b128 v[37:40], v72 offset:1024
	ds_load_b128 v[108:111], v72 offset:2048
	;; [unrolled: 1-line block ×3, first 2 shown]
	s_load_b32 s4, s[2:3], 0x0
	s_add_u32 s2, s13, s6
	s_addc_u32 s3, s16, s7
	ds_load_b128 v[116:119], v72 offset:4096
	ds_load_b128 v[120:123], v72 offset:5120
	s_load_b32 s2, s[2:3], 0x0
	s_add_u32 s6, s10, s15
	s_addc_u32 s7, s11, s19
	v_add_co_u32 v68, s6, s6, v41
	s_delay_alu instid0(VALU_DEP_1) | instskip(SKIP_1) | instid1(VALU_DEP_1)
	v_add_co_ci_u32_e64 v69, null, s7, 0, s6
	s_waitcnt lgkmcnt(0)
	v_mad_i64_i32 v[41:42], null, s28, s5, v[68:69]
	v_mad_i64_i32 v[70:71], null, s9, s5, v[68:69]
	;; [unrolled: 1-line block ×7, first 2 shown]
	s_clause 0x3
	global_load_b128 v[49:52], v[41:42], off
	global_load_b128 v[53:56], v[41:42], off offset:16
	global_load_b128 v[41:44], v[45:46], off
	global_load_b128 v[45:48], v[45:46], off offset:16
	s_waitcnt vmcnt(18)
	v_wmma_f32_16x16x16_bf16 v[124:131], v[1:8], v[33:40], v[100:107]
	s_waitcnt vmcnt(16)
	v_wmma_f32_16x16x16_bf16 v[100:107], v[9:16], v[33:40], v[100:107]
	s_clause 0x1
	global_load_b128 v[33:36], v[70:71], off
	global_load_b128 v[37:40], v[70:71], off offset:16
	v_mad_i64_i32 v[70:71], null, s2, s5, v[68:69]
	s_waitcnt vmcnt(16)
	v_wmma_f32_16x16x16_bf16 v[124:131], v[17:24], v[108:115], v[124:131]
	s_waitcnt vmcnt(14)
	v_wmma_f32_16x16x16_bf16 v[100:107], v[25:32], v[108:115], v[100:107]
	s_clause 0x7
	global_load_b128 v[25:28], v[132:133], off
	global_load_b128 v[29:32], v[132:133], off offset:16
	global_load_b128 v[1:4], v[134:135], off
	global_load_b128 v[5:8], v[134:135], off offset:16
	;; [unrolled: 2-line block ×4, first 2 shown]
	s_waitcnt vmcnt(20)
	v_wmma_f32_16x16x16_bf16 v[124:131], v[57:64], v[116:123], v[124:131]
	s_clause 0x1
	global_load_b128 v[57:60], v[70:71], off
	global_load_b128 v[61:64], v[70:71], off offset:16
	s_waitcnt vmcnt(20)
	v_wmma_f32_16x16x16_bf16 v[100:107], v[76:83], v[116:123], v[100:107]
	ds_load_b128 v[76:79], v72 offset:6144
	ds_load_b128 v[80:83], v72 offset:7168
	v_and_b32_e32 v68, 0xe0, v0
	v_mbcnt_lo_u32_b32 v69, -1, 0
	s_waitcnt vmcnt(0) lgkmcnt(0)
	s_barrier
	buffer_gl0_inv
	v_add_nc_u32_e32 v68, s12, v68
	v_xor_b32_e32 v70, 16, v69
	s_delay_alu instid0(VALU_DEP_2) | instskip(NEXT) | instid1(VALU_DEP_2)
	v_or_b32_e32 v68, v68, v74
	v_cmp_gt_i32_e32 vcc_lo, 32, v70
	s_delay_alu instid0(VALU_DEP_2)
	v_or_b32_e32 v71, 4, v68
	v_or_b32_e32 v72, 6, v68
	v_cmp_gt_i32_e64 s2, s17, v68
	v_or_b32_e32 v108, 8, v68
	v_wmma_f32_16x16x16_bf16 v[124:131], v[84:91], v[76:83], v[124:131]
	v_cndmask_b32_e32 v69, v69, v70, vcc_lo
	v_or_b32_e32 v70, 2, v68
	v_wmma_f32_16x16x16_bf16 v[100:107], v[92:99], v[76:83], v[100:107]
	v_or_b32_e32 v109, 10, v68
	v_dual_mul_f32 v80, s18, v129 :: v_dual_mul_f32 v81, s18, v128
	v_dual_mul_f32 v92, s18, v125 :: v_dual_mul_f32 v93, s18, v124
	s_delay_alu instid0(VALU_DEP_4)
	v_mul_f32_e32 v96, s18, v105
	v_cmp_gt_i32_e32 vcc_lo, s17, v70
	v_or_b32_e32 v89, 22, v68
	v_dual_mul_f32 v79, s18, v130 :: v_dual_mul_f32 v82, s18, v127
	v_dual_mul_f32 v83, s18, v126 :: v_dual_mul_f32 v94, s18, v107
	v_cndmask_b32_e64 v93, 0xff7fffff, v93, s2
	v_cndmask_b32_e32 v92, 0xff7fffff, v92, vcc_lo
	v_cmp_gt_i32_e64 s3, s17, v71
	v_cmp_gt_i32_e64 s4, s17, v72
	v_or_b32_e32 v84, 12, v68
	v_or_b32_e32 v85, 14, v68
	v_cmp_gt_i32_e64 s5, s17, v108
	v_cndmask_b32_e64 v71, 0xff7fffff, v83, s3
	v_cndmask_b32_e64 v72, 0xff7fffff, v82, s4
	v_cmp_gt_i32_e64 s6, s17, v109
	v_cmp_gt_i32_e64 s12, s17, v89
	v_lshlrev_b32_e32 v89, 2, v69
	v_max3_f32 v82, v93, 0xff7fffff, v92
	v_or_b32_e32 v86, 16, v68
	v_or_b32_e32 v87, 18, v68
	v_mul_f32_e32 v78, s18, v131
	v_cndmask_b32_e64 v81, 0xff7fffff, v81, s5
	v_cndmask_b32_e64 v80, 0xff7fffff, v80, s6
	v_max3_f32 v71, v82, v71, v72
	v_cmp_gt_i32_e64 s7, s17, v84
	v_cmp_gt_i32_e64 s8, s17, v85
	v_or_b32_e32 v88, 20, v68
	v_or_b32_e32 v90, 24, v68
	;; [unrolled: 1-line block ×5, first 2 shown]
	v_dual_mul_f32 v97, s18, v104 :: v_dual_mul_f32 v70, s18, v101
	v_dual_mul_f32 v99, s18, v102 :: v_dual_mul_f32 v68, s18, v100
	v_cndmask_b32_e64 v72, 0xff7fffff, v79, s7
	v_cndmask_b32_e64 v78, 0xff7fffff, v78, s8
	v_max3_f32 v71, v71, v81, v80
	v_cmp_gt_i32_e64 s9, s17, v86
	v_cmp_gt_i32_e64 s10, s17, v87
	v_dual_mul_f32 v95, s18, v106 :: v_dual_mul_f32 v98, s18, v103
	s_delay_alu instid0(VALU_DEP_4) | instskip(NEXT) | instid1(VALU_DEP_4)
	v_max3_f32 v71, v71, v72, v78
	v_cndmask_b32_e64 v68, 0xff7fffff, v68, s9
	s_delay_alu instid0(VALU_DEP_4)
	v_cndmask_b32_e64 v70, 0xff7fffff, v70, s10
	v_cmp_gt_i32_e64 s11, s17, v88
	v_cndmask_b32_e64 v78, 0xff7fffff, v98, s12
	v_cmp_gt_i32_e64 s13, s17, v90
	v_cmp_gt_i32_e64 s15, s17, v91
	v_max3_f32 v68, v71, v68, v70
	v_cndmask_b32_e64 v72, 0xff7fffff, v99, s11
	v_cmp_gt_i32_e64 s16, s17, v76
	v_cndmask_b32_e64 v70, 0xff7fffff, v97, s13
	v_cndmask_b32_e64 v71, 0xff7fffff, v96, s15
	v_cmp_gt_i32_e64 s17, s17, v77
	v_max3_f32 v68, v68, v72, v78
	v_cndmask_b32_e64 v72, 0xff7fffff, v95, s16
	s_delay_alu instid0(VALU_DEP_3) | instskip(NEXT) | instid1(VALU_DEP_3)
	v_cndmask_b32_e64 v76, 0xff7fffff, v94, s17
	v_max3_f32 v68, v68, v70, v71
	s_delay_alu instid0(VALU_DEP_1) | instskip(SKIP_3) | instid1(VALU_DEP_1)
	v_max3_f32 v68, v68, v72, v76
	ds_bpermute_b32 v69, v89, v68
	s_waitcnt lgkmcnt(0)
	v_max_f32_e32 v69, v69, v69
	v_max_f32_e32 v68, v68, v69
	s_delay_alu instid0(VALU_DEP_1) | instskip(NEXT) | instid1(VALU_DEP_1)
	v_fma_f32 v71, s18, v126, -v68
	v_mul_f32_e32 v71, 0x3fb8aa3b, v71
	v_fma_f32 v70, s18, v125, -v68
	v_fma_f32 v69, s18, v124, -v68
	;; [unrolled: 1-line block ×5, first 2 shown]
	s_delay_alu instid0(VALU_DEP_4) | instskip(SKIP_1) | instid1(VALU_DEP_3)
	v_dual_mul_f32 v70, 0x3fb8aa3b, v70 :: v_dual_mul_f32 v69, 0x3fb8aa3b, v69
	v_exp_f32_e32 v71, v71
	v_mul_f32_e32 v72, 0x3fb8aa3b, v72
	v_fma_f32 v81, s18, v105, -v68
	s_delay_alu instid0(VALU_DEP_3)
	v_exp_f32_e32 v70, v70
	v_mul_f32_e32 v77, 0x3fb8aa3b, v76
	v_exp_f32_e32 v69, v69
	v_exp_f32_e32 v72, v72
	v_mul_f32_e32 v81, 0x3fb8aa3b, v81
	v_cndmask_b32_e64 v83, 0, v71, s3
	v_fma_f32 v71, s18, v131, -v68
	s_delay_alu instid0(VALU_DEP_3) | instskip(SKIP_4) | instid1(TRANS32_DEP_3)
	v_exp_f32_e32 v81, v81
	v_cndmask_b32_e32 v76, 0, v70, vcc_lo
	v_exp_f32_e32 v77, v77
	v_cndmask_b32_e64 v80, 0, v69, s2
	v_fma_f32 v69, s18, v129, -v68
	v_cndmask_b32_e64 v85, 0, v72, s4
	v_mul_f32_e32 v71, 0x3fb8aa3b, v71
	v_fma_f32 v72, s18, v100, -v68
	s_delay_alu instid0(VALU_DEP_4) | instskip(SKIP_1) | instid1(VALU_DEP_4)
	v_dual_add_f32 v70, 0, v80 :: v_dual_mul_f32 v69, 0x3fb8aa3b, v69
	v_cmp_gt_u32_e64 s2, 16, v67
	v_exp_f32_e32 v71, v71
	s_delay_alu instid0(TRANS32_DEP_2) | instskip(SKIP_4) | instid1(VALU_DEP_3)
	v_cndmask_b32_e64 v86, 0, v77, s5
	v_fma_f32 v77, s18, v101, -v68
	v_mul_f32_e32 v78, 0x3fb8aa3b, v78
	v_add_f32_e32 v70, v70, v76
	v_exp_f32_e32 v69, v69
	v_mul_f32_e32 v77, 0x3fb8aa3b, v77
	s_delay_alu instid0(VALU_DEP_3) | instskip(NEXT) | instid1(TRANS32_DEP_3)
	v_exp_f32_e32 v78, v78
	v_cndmask_b32_e64 v88, 0, v71, s8
	v_fma_f32 v71, s18, v104, -v68
	s_delay_alu instid0(VALU_DEP_3) | instskip(NEXT) | instid1(TRANS32_DEP_3)
	v_exp_f32_e32 v77, v77
	v_cndmask_b32_e64 v87, 0, v69, s6
	s_delay_alu instid0(VALU_DEP_2)
	v_mul_f32_e32 v71, 0x3fb8aa3b, v71
	s_waitcnt_depctr 0xfff
	v_cndmask_b32_e64 v84, 0, v78, s7
	v_add_f32_e32 v70, v70, v83
	v_fma_f32 v78, s18, v103, -v68
	v_exp_f32_e32 v82, v71
	s_delay_alu instid0(VALU_DEP_2) | instskip(SKIP_1) | instid1(VALU_DEP_3)
	v_add_f32_e32 v70, v70, v85
	v_mul_f32_e32 v72, 0x3fb8aa3b, v72
	v_mul_f32_e32 v78, 0x3fb8aa3b, v78
	s_delay_alu instid0(VALU_DEP_3) | instskip(SKIP_1) | instid1(VALU_DEP_4)
	v_add_f32_e32 v69, v70, v86
	v_fma_f32 v70, s18, v102, -v68
	v_exp_f32_e32 v72, v72
	s_delay_alu instid0(VALU_DEP_3) | instskip(NEXT) | instid1(VALU_DEP_1)
	v_exp_f32_e32 v78, v78
	v_dual_add_f32 v69, v69, v87 :: v_dual_mul_f32 v70, 0x3fb8aa3b, v70
	s_delay_alu instid0(VALU_DEP_1) | instskip(NEXT) | instid1(VALU_DEP_2)
	v_add_f32_e32 v69, v69, v84
	v_exp_f32_e32 v79, v70
	s_delay_alu instid0(TRANS32_DEP_3) | instskip(NEXT) | instid1(VALU_DEP_2)
	v_cndmask_b32_e64 v70, 0, v72, s9
	v_add_f32_e32 v72, v69, v88
	v_cndmask_b32_e64 v69, 0, v77, s10
	v_fma_f32 v77, s18, v106, -v68
	s_waitcnt_depctr 0xfff
	v_cndmask_b32_e64 v71, 0, v79, s11
	v_dual_mul_f32 v77, 0x3fb8aa3b, v77 :: v_dual_add_f32 v72, v72, v70
	s_delay_alu instid0(VALU_DEP_1) | instskip(NEXT) | instid1(VALU_DEP_1)
	v_exp_f32_e32 v90, v77
	v_add_f32_e32 v79, v72, v69
	v_cndmask_b32_e64 v72, 0, v78, s12
	v_cndmask_b32_e64 v77, 0, v82, s13
	s_delay_alu instid0(VALU_DEP_3) | instskip(SKIP_1) | instid1(VALU_DEP_1)
	v_add_f32_e32 v78, v79, v71
	v_fma_f32 v79, s18, v107, -v68
	v_dual_add_f32 v82, v78, v72 :: v_dual_mul_f32 v79, 0x3fb8aa3b, v79
	v_cndmask_b32_e64 v78, 0, v81, s15
	s_delay_alu instid0(VALU_DEP_2) | instskip(NEXT) | instid1(VALU_DEP_3)
	v_add_f32_e32 v81, v82, v77
	v_exp_f32_e32 v82, v79
	v_cndmask_b32_e64 v79, 0, v90, s16
	s_delay_alu instid0(VALU_DEP_2) | instskip(NEXT) | instid1(VALU_DEP_1)
	v_add_f32_e32 v81, v81, v78
	v_add_f32_e32 v90, v81, v79
	s_waitcnt_depctr 0xfff
	v_cndmask_b32_e64 v81, 0, v82, s17
	s_delay_alu instid0(VALU_DEP_1)
	v_add_f32_e32 v82, v90, v81
	ds_bpermute_b32 v89, v89, v82
	s_and_saveexec_b32 s3, s2
	s_cbranch_execz .LBB1616_12
; %bb.11:
	v_mul_u32_u24_e32 v67, 0x44, v66
	s_delay_alu instid0(VALU_DEP_1) | instskip(SKIP_1) | instid1(VALU_DEP_1)
	v_lshl_add_u32 v67, v65, 2, v67
	s_waitcnt lgkmcnt(0)
	v_dual_add_f32 v82, v82, v89 :: v_dual_add_nc_u32 v67, 0x4000, v67
	ds_store_2addr_b32 v67, v68, v82 offset1:136
.LBB1616_12:
	s_or_b32 exec_lo, exec_lo, s3
	v_lshlrev_b32_e32 v67, 2, v65
	s_waitcnt lgkmcnt(0)
	s_barrier
	buffer_gl0_inv
	v_cmp_eq_u32_e32 vcc_lo, 1, v66
	v_add_nc_u32_e32 v82, 0x4000, v67
	v_cmp_eq_u32_e64 s3, 2, v66
	v_cmp_eq_u32_e64 s5, 7, v66
	ds_load_2addr_b32 v[89:90], v82 offset1:17
	ds_load_2addr_b32 v[91:92], v82 offset0:34 offset1:51
	ds_load_2addr_b32 v[93:94], v82 offset0:68 offset1:85
	;; [unrolled: 1-line block ×4, first 2 shown]
	s_waitcnt lgkmcnt(4)
	v_max3_f32 v67, v89, 0xff7fffff, v90
	s_waitcnt lgkmcnt(3)
	s_delay_alu instid0(VALU_DEP_1) | instskip(SKIP_1) | instid1(VALU_DEP_1)
	v_max3_f32 v67, v67, v91, v92
	s_waitcnt lgkmcnt(2)
	v_max3_f32 v67, v67, v93, v94
	s_waitcnt lgkmcnt(1)
	s_delay_alu instid0(VALU_DEP_1) | instskip(NEXT) | instid1(VALU_DEP_1)
	v_max3_f32 v67, v67, v95, v96
	v_sub_f32_e32 v93, v93, v67
	s_delay_alu instid0(VALU_DEP_1) | instskip(NEXT) | instid1(VALU_DEP_1)
	v_dual_sub_f32 v68, v89, v67 :: v_dual_mul_f32 v103, 0x3fb8aa3b, v93
	v_mul_f32_e32 v68, 0x3fb8aa3b, v68
	s_delay_alu instid0(VALU_DEP_1)
	v_exp_f32_e32 v100, v68
	v_sub_f32_e32 v68, v92, v67
	v_sub_f32_e32 v99, v90, v67
	ds_load_2addr_b32 v[89:90], v82 offset0:170 offset1:187
	v_dual_mul_f32 v102, 0x3fb8aa3b, v68 :: v_dual_mul_f32 v99, 0x3fb8aa3b, v99
	s_waitcnt lgkmcnt(1)
	v_fma_f32 v68, v100, v97, 0
	s_delay_alu instid0(VALU_DEP_2) | instskip(NEXT) | instid1(VALU_DEP_2)
	v_exp_f32_e32 v102, v102
	v_exp_f32_e32 v99, v99
	s_waitcnt_depctr 0xfff
	v_fmac_f32_e32 v68, v99, v98
	v_sub_f32_e32 v91, v91, v67
	s_delay_alu instid0(VALU_DEP_1)
	v_mul_f32_e32 v101, 0x3fb8aa3b, v91
	ds_load_2addr_b32 v[91:92], v82 offset0:204 offset1:221
	v_sub_f32_e32 v97, v94, v67
	ds_load_2addr_b32 v[93:94], v82 offset0:238 offset1:255
	s_waitcnt lgkmcnt(0)
	v_exp_f32_e32 v101, v101
	s_barrier
	buffer_gl0_inv
	v_dual_fmac_f32 v68, v101, v89 :: v_dual_sub_f32 v89, v96, v67
	v_dual_sub_f32 v82, v95, v67 :: v_dual_mul_f32 v95, 0x3fb8aa3b, v97
	v_exp_f32_e32 v97, v103
	s_delay_alu instid0(VALU_DEP_2) | instskip(NEXT) | instid1(VALU_DEP_2)
	v_dual_fmac_f32 v68, v102, v90 :: v_dual_mul_f32 v89, 0x3fb8aa3b, v89
	v_mul_f32_e32 v82, 0x3fb8aa3b, v82
	s_delay_alu instid0(VALU_DEP_3) | instskip(NEXT) | instid1(VALU_DEP_2)
	v_exp_f32_e32 v95, v95
	v_exp_f32_e32 v89, v89
	s_delay_alu instid0(VALU_DEP_1)
	v_exp_f32_e32 v82, v82
	v_fmac_f32_e32 v68, v97, v91
	s_delay_alu instid0(TRANS32_DEP_3) | instid1(VALU_DEP_1)
	v_fmac_f32_e32 v68, v95, v92
	s_waitcnt_depctr 0xfff
	v_fmac_f32_e32 v68, v82, v93
	s_delay_alu instid0(VALU_DEP_1) | instskip(NEXT) | instid1(VALU_DEP_1)
	v_fmac_f32_e32 v68, v89, v94
	v_add_f32_e32 v90, 0x358637bd, v68
	s_delay_alu instid0(VALU_DEP_1) | instskip(NEXT) | instid1(VALU_DEP_1)
	v_div_scale_f32 v91, null, v90, v90, 1.0
	v_rcp_f32_e32 v92, v91
	s_waitcnt_depctr 0xfff
	v_fma_f32 v93, -v91, v92, 1.0
	s_delay_alu instid0(VALU_DEP_1) | instskip(SKIP_1) | instid1(VALU_DEP_2)
	v_dual_fmac_f32 v92, v93, v92 :: v_dual_cndmask_b32 v93, v100, v99
	v_cmp_eq_u32_e32 vcc_lo, 3, v66
	v_cndmask_b32_e64 v93, v93, v101, s3
	v_cmp_eq_u32_e64 s3, 4, v66
	s_delay_alu instid0(VALU_DEP_2) | instskip(SKIP_1) | instid1(VALU_DEP_2)
	v_cndmask_b32_e32 v93, v93, v102, vcc_lo
	v_cmp_eq_u32_e32 vcc_lo, 5, v66
	v_cndmask_b32_e64 v93, v93, v97, s3
	v_cmp_eq_u32_e64 s3, 6, v66
	s_delay_alu instid0(VALU_DEP_2) | instskip(SKIP_1) | instid1(VALU_DEP_1)
	v_cndmask_b32_e32 v93, v93, v95, vcc_lo
	v_div_scale_f32 v94, s4, 1.0, v90, 1.0
	s_mov_b32 vcc_lo, s4
	s_delay_alu instid0(VALU_DEP_2) | instskip(NEXT) | instid1(VALU_DEP_2)
	v_cndmask_b32_e64 v82, v93, v82, s3
	v_mul_f32_e32 v96, v94, v92
	s_mov_b32 s3, exec_lo
	s_delay_alu instid0(VALU_DEP_2) | instskip(NEXT) | instid1(VALU_DEP_2)
	v_cndmask_b32_e64 v82, v82, v89, s5
	v_fma_f32 v98, -v91, v96, v94
	s_delay_alu instid0(VALU_DEP_1) | instskip(NEXT) | instid1(VALU_DEP_1)
	v_fmac_f32_e32 v96, v98, v92
	v_fma_f32 v91, -v91, v96, v94
	s_delay_alu instid0(VALU_DEP_1) | instskip(NEXT) | instid1(VALU_DEP_1)
	v_div_fmas_f32 v91, v91, v92, v96
	v_div_fixup_f32 v90, v91, v90, 1.0
	s_delay_alu instid0(VALU_DEP_1) | instskip(NEXT) | instid1(VALU_DEP_1)
	v_mul_f32_e32 v82, v82, v90
	v_mul_f32_e32 v87, v82, v87
	;; [unrolled: 1-line block ×7, first 2 shown]
	v_dual_mul_f32 v86, v82, v83 :: v_dual_and_b32 v91, 0x7f800000, v90
	v_mul_f32_e32 v85, v82, v76
                                        ; implicit-def: $vgpr76
	s_delay_alu instid0(VALU_DEP_2)
	v_cmpx_ne_u32_e32 0x7f800000, v91
	s_xor_b32 s3, exec_lo, s3
; %bb.13:
	v_bfe_u32 v76, v90, 16, 1
	s_delay_alu instid0(VALU_DEP_1)
	v_add3_u32 v76, v90, v76, 0x7fff
                                        ; implicit-def: $vgpr90
; %bb.14:
	s_and_not1_saveexec_b32 s3, s3
; %bb.15:
	v_and_b32_e32 v76, 0xffff, v90
	v_or_b32_e32 v83, 0x10000, v90
	s_delay_alu instid0(VALU_DEP_2) | instskip(NEXT) | instid1(VALU_DEP_2)
	v_cmp_eq_u32_e32 vcc_lo, 0, v76
	v_cndmask_b32_e32 v76, v83, v90, vcc_lo
; %bb.16:
	s_or_b32 exec_lo, exec_lo, s3
	v_and_b32_e32 v83, 0x7f800000, v85
	s_delay_alu instid0(VALU_DEP_1) | instskip(SKIP_1) | instid1(SALU_CYCLE_1)
	v_cmp_ne_u32_e32 vcc_lo, 0x7f800000, v83
                                        ; implicit-def: $vgpr83
	s_and_saveexec_b32 s3, vcc_lo
	s_xor_b32 s3, exec_lo, s3
; %bb.17:
	v_bfe_u32 v83, v85, 16, 1
	s_delay_alu instid0(VALU_DEP_1)
	v_add3_u32 v83, v85, v83, 0x7fff
                                        ; implicit-def: $vgpr85
; %bb.18:
	s_and_not1_saveexec_b32 s3, s3
; %bb.19:
	v_and_b32_e32 v83, 0xffff, v85
	v_or_b32_e32 v90, 0x10000, v85
	s_delay_alu instid0(VALU_DEP_2) | instskip(NEXT) | instid1(VALU_DEP_2)
	v_cmp_eq_u32_e32 vcc_lo, 0, v83
	v_cndmask_b32_e32 v83, v90, v85, vcc_lo
; %bb.20:
	s_or_b32 exec_lo, exec_lo, s3
	v_and_b32_e32 v85, 0x7f800000, v86
	s_delay_alu instid0(VALU_DEP_1) | instskip(SKIP_1) | instid1(SALU_CYCLE_1)
	v_cmp_ne_u32_e32 vcc_lo, 0x7f800000, v85
                                        ; implicit-def: $vgpr85
	s_and_saveexec_b32 s3, vcc_lo
	s_xor_b32 s3, exec_lo, s3
; %bb.21:
	v_bfe_u32 v85, v86, 16, 1
	s_delay_alu instid0(VALU_DEP_1)
	v_add3_u32 v85, v86, v85, 0x7fff
                                        ; implicit-def: $vgpr86
; %bb.22:
	s_and_not1_saveexec_b32 s3, s3
; %bb.23:
	v_and_b32_e32 v85, 0xffff, v86
	v_or_b32_e32 v90, 0x10000, v86
	s_delay_alu instid0(VALU_DEP_2) | instskip(NEXT) | instid1(VALU_DEP_2)
	v_cmp_eq_u32_e32 vcc_lo, 0, v85
	v_cndmask_b32_e32 v85, v90, v86, vcc_lo
; %bb.24:
	s_or_b32 exec_lo, exec_lo, s3
	v_and_b32_e32 v86, 0x7f800000, v89
	s_delay_alu instid0(VALU_DEP_1) | instskip(SKIP_1) | instid1(SALU_CYCLE_1)
	v_cmp_ne_u32_e32 vcc_lo, 0x7f800000, v86
                                        ; implicit-def: $vgpr86
	s_and_saveexec_b32 s3, vcc_lo
	s_xor_b32 s3, exec_lo, s3
; %bb.25:
	v_bfe_u32 v86, v89, 16, 1
	s_delay_alu instid0(VALU_DEP_1)
	v_add3_u32 v86, v89, v86, 0x7fff
                                        ; implicit-def: $vgpr89
; %bb.26:
	s_and_not1_saveexec_b32 s3, s3
; %bb.27:
	v_and_b32_e32 v86, 0xffff, v89
	v_or_b32_e32 v90, 0x10000, v89
	s_delay_alu instid0(VALU_DEP_2) | instskip(NEXT) | instid1(VALU_DEP_2)
	v_cmp_eq_u32_e32 vcc_lo, 0, v86
	v_cndmask_b32_e32 v86, v90, v89, vcc_lo
; %bb.28:
	s_or_b32 exec_lo, exec_lo, s3
	v_and_b32_e32 v89, 0x7f800000, v88
	s_delay_alu instid0(VALU_DEP_1) | instskip(SKIP_1) | instid1(SALU_CYCLE_1)
	v_cmp_ne_u32_e32 vcc_lo, 0x7f800000, v89
                                        ; implicit-def: $vgpr89
	s_and_saveexec_b32 s3, vcc_lo
	s_xor_b32 s3, exec_lo, s3
; %bb.29:
	v_bfe_u32 v89, v88, 16, 1
	s_delay_alu instid0(VALU_DEP_1)
	v_add3_u32 v89, v88, v89, 0x7fff
                                        ; implicit-def: $vgpr88
; %bb.30:
	s_and_not1_saveexec_b32 s3, s3
; %bb.31:
	v_and_b32_e32 v89, 0xffff, v88
	v_or_b32_e32 v90, 0x10000, v88
	s_delay_alu instid0(VALU_DEP_2) | instskip(NEXT) | instid1(VALU_DEP_2)
	v_cmp_eq_u32_e32 vcc_lo, 0, v89
	v_cndmask_b32_e32 v89, v90, v88, vcc_lo
; %bb.32:
	s_or_b32 exec_lo, exec_lo, s3
	v_and_b32_e32 v88, 0x7f800000, v87
	s_delay_alu instid0(VALU_DEP_1) | instskip(SKIP_1) | instid1(SALU_CYCLE_1)
	v_cmp_ne_u32_e32 vcc_lo, 0x7f800000, v88
                                        ; implicit-def: $vgpr88
	s_and_saveexec_b32 s3, vcc_lo
	s_xor_b32 s3, exec_lo, s3
; %bb.33:
	v_bfe_u32 v88, v87, 16, 1
	s_delay_alu instid0(VALU_DEP_1)
	v_add3_u32 v88, v87, v88, 0x7fff
                                        ; implicit-def: $vgpr87
; %bb.34:
	s_and_not1_saveexec_b32 s3, s3
; %bb.35:
	v_and_b32_e32 v88, 0xffff, v87
	v_or_b32_e32 v90, 0x10000, v87
	s_delay_alu instid0(VALU_DEP_2) | instskip(NEXT) | instid1(VALU_DEP_2)
	v_cmp_eq_u32_e32 vcc_lo, 0, v88
	v_cndmask_b32_e32 v88, v90, v87, vcc_lo
; %bb.36:
	s_or_b32 exec_lo, exec_lo, s3
	v_and_b32_e32 v87, 0x7f800000, v84
	s_delay_alu instid0(VALU_DEP_1) | instskip(SKIP_1) | instid1(SALU_CYCLE_1)
	v_cmp_ne_u32_e32 vcc_lo, 0x7f800000, v87
                                        ; implicit-def: $vgpr87
	s_and_saveexec_b32 s3, vcc_lo
	s_xor_b32 s3, exec_lo, s3
; %bb.37:
	v_bfe_u32 v87, v84, 16, 1
	s_delay_alu instid0(VALU_DEP_1)
	v_add3_u32 v87, v84, v87, 0x7fff
                                        ; implicit-def: $vgpr84
; %bb.38:
	s_and_not1_saveexec_b32 s3, s3
; %bb.39:
	v_and_b32_e32 v87, 0xffff, v84
	v_or_b32_e32 v90, 0x10000, v84
	s_delay_alu instid0(VALU_DEP_2) | instskip(NEXT) | instid1(VALU_DEP_2)
	v_cmp_eq_u32_e32 vcc_lo, 0, v87
	v_cndmask_b32_e32 v87, v90, v84, vcc_lo
; %bb.40:
	s_or_b32 exec_lo, exec_lo, s3
	v_and_b32_e32 v84, 0x7f800000, v80
	s_delay_alu instid0(VALU_DEP_1) | instskip(SKIP_1) | instid1(SALU_CYCLE_1)
	v_cmp_ne_u32_e32 vcc_lo, 0x7f800000, v84
                                        ; implicit-def: $vgpr84
	s_and_saveexec_b32 s3, vcc_lo
	s_xor_b32 s3, exec_lo, s3
; %bb.41:
	v_bfe_u32 v84, v80, 16, 1
	s_delay_alu instid0(VALU_DEP_1)
	v_add3_u32 v84, v80, v84, 0x7fff
                                        ; implicit-def: $vgpr80
; %bb.42:
	s_and_not1_saveexec_b32 s3, s3
; %bb.43:
	v_and_b32_e32 v84, 0xffff, v80
	v_or_b32_e32 v90, 0x10000, v80
	s_delay_alu instid0(VALU_DEP_2) | instskip(NEXT) | instid1(VALU_DEP_2)
	v_cmp_eq_u32_e32 vcc_lo, 0, v84
	v_cndmask_b32_e32 v84, v90, v80, vcc_lo
; %bb.44:
	s_or_b32 exec_lo, exec_lo, s3
	s_load_b64 s[34:35], s[0:1], 0x94
	v_lshlrev_b32_e32 v91, 4, v74
	s_delay_alu instid0(VALU_DEP_2)
	v_perm_b32 v90, v84, v87, 0x7060302
	v_dual_mul_f32 v79, v82, v79 :: v_dual_lshlrev_b32 v80, 6, v65
	v_dual_mul_f32 v77, v82, v77 :: v_dual_lshlrev_b32 v92, 11, v66
	v_mul_f32_e32 v84, v82, v70
	v_perm_b32 v89, v88, v89, 0x7060302
	v_perm_b32 v88, v86, v85, 0x7060302
	;; [unrolled: 1-line block ×3, first 2 shown]
	v_mul_f32_e32 v70, v82, v81
	v_or3_b32 v76, v91, v92, v80
	v_dual_mul_f32 v78, v82, v78 :: v_dual_and_b32 v85, 0x7f800000, v84
	v_mul_f32_e32 v83, v82, v72
	v_mul_f32_e32 v81, v82, v71
	;; [unrolled: 1-line block ×3, first 2 shown]
	s_mov_b32 s3, exec_lo
	ds_store_b128 v76, v[87:90]
                                        ; implicit-def: $vgpr69
	v_cmpx_ne_u32_e32 0x7f800000, v85
	s_xor_b32 s3, exec_lo, s3
; %bb.45:
	v_bfe_u32 v69, v84, 16, 1
	s_delay_alu instid0(VALU_DEP_1)
	v_add3_u32 v69, v84, v69, 0x7fff
                                        ; implicit-def: $vgpr84
; %bb.46:
	s_and_not1_saveexec_b32 s3, s3
; %bb.47:
	v_and_b32_e32 v69, 0xffff, v84
	v_or_b32_e32 v71, 0x10000, v84
	s_delay_alu instid0(VALU_DEP_2) | instskip(NEXT) | instid1(VALU_DEP_2)
	v_cmp_eq_u32_e32 vcc_lo, 0, v69
	v_cndmask_b32_e32 v69, v71, v84, vcc_lo
; %bb.48:
	s_or_b32 exec_lo, exec_lo, s3
	v_and_b32_e32 v71, 0x7f800000, v72
	s_delay_alu instid0(VALU_DEP_1) | instskip(SKIP_1) | instid1(SALU_CYCLE_1)
	v_cmp_ne_u32_e32 vcc_lo, 0x7f800000, v71
                                        ; implicit-def: $vgpr71
	s_and_saveexec_b32 s3, vcc_lo
	s_xor_b32 s3, exec_lo, s3
; %bb.49:
	v_bfe_u32 v71, v72, 16, 1
	s_delay_alu instid0(VALU_DEP_1)
	v_add3_u32 v71, v72, v71, 0x7fff
                                        ; implicit-def: $vgpr72
; %bb.50:
	s_and_not1_saveexec_b32 s3, s3
; %bb.51:
	v_and_b32_e32 v71, 0xffff, v72
	v_or_b32_e32 v82, 0x10000, v72
	s_delay_alu instid0(VALU_DEP_2) | instskip(NEXT) | instid1(VALU_DEP_2)
	v_cmp_eq_u32_e32 vcc_lo, 0, v71
	v_cndmask_b32_e32 v71, v82, v72, vcc_lo
; %bb.52:
	s_or_b32 exec_lo, exec_lo, s3
	v_and_b32_e32 v72, 0x7f800000, v81
	s_delay_alu instid0(VALU_DEP_1) | instskip(SKIP_1) | instid1(SALU_CYCLE_1)
	v_cmp_ne_u32_e32 vcc_lo, 0x7f800000, v72
                                        ; implicit-def: $vgpr72
	s_and_saveexec_b32 s3, vcc_lo
	s_xor_b32 s3, exec_lo, s3
; %bb.53:
	v_bfe_u32 v72, v81, 16, 1
	s_delay_alu instid0(VALU_DEP_1)
	v_add3_u32 v72, v81, v72, 0x7fff
                                        ; implicit-def: $vgpr81
; %bb.54:
	s_and_not1_saveexec_b32 s3, s3
; %bb.55:
	v_and_b32_e32 v72, 0xffff, v81
	v_or_b32_e32 v82, 0x10000, v81
	s_delay_alu instid0(VALU_DEP_2) | instskip(NEXT) | instid1(VALU_DEP_2)
	v_cmp_eq_u32_e32 vcc_lo, 0, v72
	v_cndmask_b32_e32 v72, v82, v81, vcc_lo
; %bb.56:
	s_or_b32 exec_lo, exec_lo, s3
	v_and_b32_e32 v81, 0x7f800000, v83
	s_delay_alu instid0(VALU_DEP_1) | instskip(SKIP_1) | instid1(SALU_CYCLE_1)
	v_cmp_ne_u32_e32 vcc_lo, 0x7f800000, v81
                                        ; implicit-def: $vgpr81
	s_and_saveexec_b32 s3, vcc_lo
	s_xor_b32 s3, exec_lo, s3
; %bb.57:
	v_bfe_u32 v81, v83, 16, 1
	s_delay_alu instid0(VALU_DEP_1)
	v_add3_u32 v81, v83, v81, 0x7fff
                                        ; implicit-def: $vgpr83
; %bb.58:
	s_and_not1_saveexec_b32 s3, s3
; %bb.59:
	v_and_b32_e32 v81, 0xffff, v83
	v_or_b32_e32 v82, 0x10000, v83
	s_delay_alu instid0(VALU_DEP_2) | instskip(NEXT) | instid1(VALU_DEP_2)
	v_cmp_eq_u32_e32 vcc_lo, 0, v81
	v_cndmask_b32_e32 v81, v82, v83, vcc_lo
; %bb.60:
	s_or_b32 exec_lo, exec_lo, s3
	v_and_b32_e32 v82, 0x7f800000, v77
	s_delay_alu instid0(VALU_DEP_1) | instskip(SKIP_1) | instid1(SALU_CYCLE_1)
	v_cmp_ne_u32_e32 vcc_lo, 0x7f800000, v82
                                        ; implicit-def: $vgpr82
	s_and_saveexec_b32 s3, vcc_lo
	s_xor_b32 s3, exec_lo, s3
; %bb.61:
	v_bfe_u32 v82, v77, 16, 1
	s_delay_alu instid0(VALU_DEP_1)
	v_add3_u32 v82, v77, v82, 0x7fff
                                        ; implicit-def: $vgpr77
; %bb.62:
	s_and_not1_saveexec_b32 s3, s3
; %bb.63:
	v_and_b32_e32 v82, 0xffff, v77
	v_or_b32_e32 v83, 0x10000, v77
	s_delay_alu instid0(VALU_DEP_2) | instskip(NEXT) | instid1(VALU_DEP_2)
	v_cmp_eq_u32_e32 vcc_lo, 0, v82
	v_cndmask_b32_e32 v82, v83, v77, vcc_lo
; %bb.64:
	s_or_b32 exec_lo, exec_lo, s3
	v_and_b32_e32 v77, 0x7f800000, v78
	s_delay_alu instid0(VALU_DEP_1) | instskip(SKIP_1) | instid1(SALU_CYCLE_1)
	v_cmp_ne_u32_e32 vcc_lo, 0x7f800000, v77
                                        ; implicit-def: $vgpr77
	s_and_saveexec_b32 s3, vcc_lo
	s_xor_b32 s3, exec_lo, s3
; %bb.65:
	v_bfe_u32 v77, v78, 16, 1
	s_delay_alu instid0(VALU_DEP_1)
	v_add3_u32 v77, v78, v77, 0x7fff
                                        ; implicit-def: $vgpr78
; %bb.66:
	s_and_not1_saveexec_b32 s3, s3
; %bb.67:
	v_and_b32_e32 v77, 0xffff, v78
	v_or_b32_e32 v83, 0x10000, v78
	s_delay_alu instid0(VALU_DEP_2) | instskip(NEXT) | instid1(VALU_DEP_2)
	v_cmp_eq_u32_e32 vcc_lo, 0, v77
	v_cndmask_b32_e32 v77, v83, v78, vcc_lo
; %bb.68:
	s_or_b32 exec_lo, exec_lo, s3
	v_and_b32_e32 v78, 0x7f800000, v79
	s_delay_alu instid0(VALU_DEP_1) | instskip(SKIP_1) | instid1(SALU_CYCLE_1)
	v_cmp_ne_u32_e32 vcc_lo, 0x7f800000, v78
                                        ; implicit-def: $vgpr78
	s_and_saveexec_b32 s3, vcc_lo
	s_xor_b32 s3, exec_lo, s3
; %bb.69:
	v_bfe_u32 v78, v79, 16, 1
	s_delay_alu instid0(VALU_DEP_1)
	v_add3_u32 v78, v79, v78, 0x7fff
                                        ; implicit-def: $vgpr79
; %bb.70:
	s_and_not1_saveexec_b32 s3, s3
; %bb.71:
	v_and_b32_e32 v78, 0xffff, v79
	v_or_b32_e32 v83, 0x10000, v79
	s_delay_alu instid0(VALU_DEP_2) | instskip(NEXT) | instid1(VALU_DEP_2)
	v_cmp_eq_u32_e32 vcc_lo, 0, v78
	v_cndmask_b32_e32 v78, v83, v79, vcc_lo
; %bb.72:
	s_or_b32 exec_lo, exec_lo, s3
	v_and_b32_e32 v79, 0x7f800000, v70
	s_delay_alu instid0(VALU_DEP_1) | instskip(SKIP_1) | instid1(SALU_CYCLE_1)
	v_cmp_ne_u32_e32 vcc_lo, 0x7f800000, v79
                                        ; implicit-def: $vgpr79
	s_and_saveexec_b32 s3, vcc_lo
	s_xor_b32 s3, exec_lo, s3
; %bb.73:
	v_bfe_u32 v79, v70, 16, 1
	s_delay_alu instid0(VALU_DEP_1)
	v_add3_u32 v79, v70, v79, 0x7fff
                                        ; implicit-def: $vgpr70
; %bb.74:
	s_and_not1_saveexec_b32 s3, s3
; %bb.75:
	v_and_b32_e32 v79, 0xffff, v70
	v_or_b32_e32 v83, 0x10000, v70
	s_delay_alu instid0(VALU_DEP_2) | instskip(NEXT) | instid1(VALU_DEP_2)
	v_cmp_eq_u32_e32 vcc_lo, 0, v79
	v_cndmask_b32_e32 v79, v83, v70, vcc_lo
; %bb.76:
	s_or_b32 exec_lo, exec_lo, s3
	s_delay_alu instid0(VALU_DEP_1)
	v_perm_b32 v86, v79, v78, 0x7060302
	v_perm_b32 v85, v77, v82, 0x7060302
	;; [unrolled: 1-line block ×4, first 2 shown]
	v_lshl_or_b32 v82, v66, 11, v80
	ds_store_b128 v76, v[83:86] offset:1024
	s_waitcnt lgkmcnt(0)
	s_barrier
	buffer_gl0_inv
	ds_load_b128 v[69:72], v82
	ds_load_b128 v[83:86], v82 offset:16
	s_waitcnt lgkmcnt(1)
	v_lshrrev_b32_e32 v66, 16, v69
	s_waitcnt lgkmcnt(0)
	v_lshrrev_b32_e32 v91, 16, v83
	v_lshlrev_b32_e32 v78, 2, v74
	v_lshrrev_b32_e32 v95, 16, v70
	v_lshrrev_b32_e32 v98, 16, v84
	;; [unrolled: 1-line block ×4, first 2 shown]
	v_cmp_eq_u32_e32 vcc_lo, 1, v78
	v_lshrrev_b32_e32 v97, 16, v72
	v_lshrrev_b32_e32 v100, 16, v86
	v_cndmask_b32_e32 v87, v83, v91, vcc_lo
	v_or_b32_e32 v79, 1, v78
	v_cndmask_b32_e32 v81, v69, v66, vcc_lo
	v_cmp_eq_u32_e64 s4, 2, v78
	v_cmp_eq_u32_e64 s7, 3, v78
	;; [unrolled: 1-line block ×5, first 2 shown]
	v_cndmask_b32_e64 v81, v81, v70, s4
	v_cndmask_b32_e64 v87, v87, v84, s4
	v_cmp_eq_u32_e64 s8, 3, v79
	v_cndmask_b32_e64 v88, v69, v66, s3
	v_or_b32_e32 v77, 2, v78
	v_cndmask_b32_e64 v81, v81, v95, s7
	v_cndmask_b32_e64 v87, v87, v98, s7
	;; [unrolled: 1-line block ×4, first 2 shown]
	v_cmp_eq_u32_e64 s10, 5, v78
	v_cndmask_b32_e64 v81, v81, v71, s9
	v_cndmask_b32_e64 v87, v87, v85, s9
	v_cmp_eq_u32_e64 s11, 4, v79
	v_cndmask_b32_e64 v88, v88, v95, s8
	v_cmp_eq_u32_e64 s5, 1, v77
	v_cndmask_b32_e64 v89, v89, v84, s6
	v_cndmask_b32_e64 v81, v81, v96, s10
	v_cmp_eq_u32_e64 s12, 6, v78
	v_cndmask_b32_e64 v88, v88, v71, s11
	;; [unrolled: 3-line block ×3, first 2 shown]
	v_cndmask_b32_e64 v89, v89, v98, s8
	v_cndmask_b32_e64 v81, v81, v72, s12
	v_cmp_eq_u32_e64 s15, 7, v78
	v_cndmask_b32_e64 v88, v88, v96, s13
	v_cndmask_b32_e64 v87, v87, v86, s12
	v_cmp_eq_u32_e64 s16, 6, v79
	v_cmp_eq_u32_e64 s17, 2, v77
	v_cndmask_b32_e64 v89, v89, v85, s11
	v_cndmask_b32_e64 v101, v81, v97, s15
	;; [unrolled: 1-line block ×6, first 2 shown]
	v_cmp_eq_u32_e64 s18, 7, v79
	v_cmp_eq_u32_e64 s19, 3, v77
	;; [unrolled: 1-line block ×4, first 2 shown]
	v_cndmask_b32_e64 v87, v87, v84, s17
	v_cndmask_b32_e64 v103, v88, v97, s18
	v_cndmask_b32_e64 v88, v89, v99, s13
	v_cndmask_b32_e64 v89, v81, v95, s19
	v_or_b32_e32 v81, 3, v78
	v_cndmask_b32_e64 v93, v87, v98, s19
	v_cmp_eq_u32_e64 s24, 6, v77
	v_cndmask_b32_e64 v104, v88, v86, s16
	v_cndmask_b32_e64 v92, v89, v71, s20
	v_cmp_eq_u32_e64 s21, 1, v81
	ds_load_b128 v[87:90], v82 offset:1024
	v_cmp_eq_u32_e64 s23, 2, v81
	v_cmp_eq_u32_e64 s25, 3, v81
	v_cndmask_b32_e64 v105, v92, v96, s22
	v_cndmask_b32_e64 v66, v69, v66, s21
	;; [unrolled: 1-line block ×4, first 2 shown]
	ds_load_b128 v[91:94], v82 offset:1040
	v_cmp_eq_u32_e64 s26, 4, v81
	v_cndmask_b32_e64 v66, v66, v70, s23
	v_cmp_eq_u32_e64 s27, 7, v77
	v_cndmask_b32_e64 v70, v83, v84, s23
	v_cndmask_b32_e64 v84, v105, v72, s24
	v_cmp_eq_u32_e64 s28, 5, v81
	v_cndmask_b32_e64 v66, v66, v95, s25
	v_cmp_eq_u32_e64 s29, 6, v81
	v_cndmask_b32_e64 v70, v70, v98, s25
	v_cndmask_b32_e64 v69, v69, v99, s22
	;; [unrolled: 1-line block ×4, first 2 shown]
	s_waitcnt lgkmcnt(1)
	v_lshrrev_b32_e32 v95, 16, v87
	v_cndmask_b32_e64 v70, v70, v85, s26
	v_cndmask_b32_e64 v71, v84, v97, s27
	;; [unrolled: 1-line block ×4, first 2 shown]
	v_cndmask_b32_e32 v84, v87, v95, vcc_lo
	v_cndmask_b32_e64 v70, v70, v99, s28
	s_waitcnt lgkmcnt(0)
	v_lshrrev_b32_e32 v85, 16, v91
	v_lshrrev_b32_e32 v96, 16, v88
	v_cndmask_b32_e64 v98, v87, v95, s3
	v_cndmask_b32_e64 v84, v84, v88, s4
	;; [unrolled: 1-line block ×3, first 2 shown]
	v_cndmask_b32_e32 v99, v91, v85, vcc_lo
	v_cmp_eq_u32_e32 vcc_lo, 7, v81
	v_cndmask_b32_e64 v66, v66, v72, s29
	v_cndmask_b32_e64 v72, v84, v96, s7
	;; [unrolled: 1-line block ×3, first 2 shown]
	v_lshrrev_b32_e32 v98, 16, v92
	v_cndmask_b32_e32 v70, v70, v100, vcc_lo
	v_cndmask_b32_e64 v86, v99, v92, s4
	v_cndmask_b32_e64 v69, v69, v100, s27
	v_lshrrev_b32_e32 v100, 16, v93
	v_cndmask_b32_e64 v72, v72, v89, s9
	v_lshrrev_b32_e32 v99, 16, v89
	v_cndmask_b32_e64 v86, v86, v98, s7
	v_perm_b32 v71, v69, v71, 0x5040100
	v_cndmask_b32_e64 v84, v84, v96, s8
	s_delay_alu instid0(VALU_DEP_3) | instskip(NEXT) | instid1(VALU_DEP_2)
	v_cndmask_b32_e64 v86, v86, v93, s9
	v_cndmask_b32_e64 v84, v84, v89, s11
	s_delay_alu instid0(VALU_DEP_2) | instskip(NEXT) | instid1(VALU_DEP_1)
	v_cndmask_b32_e64 v86, v86, v100, s10
	v_cndmask_b32_e64 v69, v86, v94, s12
	;; [unrolled: 1-line block ×5, first 2 shown]
	s_delay_alu instid0(VALU_DEP_3) | instskip(NEXT) | instid1(VALU_DEP_3)
	v_cndmask_b32_e64 v86, v86, v88, s17
	v_cndmask_b32_e64 v87, v87, v88, s23
	s_delay_alu instid0(VALU_DEP_3) | instskip(NEXT) | instid1(VALU_DEP_3)
	v_cndmask_b32_e64 v88, v95, v92, s23
	v_cndmask_b32_e64 v86, v86, v96, s19
	;; [unrolled: 3-line block ×7, first 2 shown]
	s_delay_alu instid0(VALU_DEP_3) | instskip(SKIP_2) | instid1(VALU_DEP_2)
	v_cndmask_b32_e64 v88, v88, v94, s29
	v_cndmask_b32_e32 v66, v66, v97, vcc_lo
	v_cndmask_b32_e64 v97, v72, v99, s10
	v_perm_b32 v72, v70, v66, 0x5040100
	v_perm_b32 v70, v83, v103, 0x5040100
	v_cndmask_b32_e64 v103, v91, v85, s5
	v_cndmask_b32_e64 v85, v91, v85, s3
	;; [unrolled: 1-line block ×4, first 2 shown]
	v_lshrrev_b32_e32 v97, 16, v90
	v_cndmask_b32_e64 v91, v103, v92, s17
	v_cndmask_b32_e64 v85, v85, v92, s6
	;; [unrolled: 1-line block ×3, first 2 shown]
	s_mov_b32 s3, exec_lo
	v_cndmask_b32_e64 v83, v84, v97, s15
	v_cndmask_b32_e64 v91, v91, v98, s19
	;; [unrolled: 1-line block ×3, first 2 shown]
	v_lshrrev_b32_e32 v84, 16, v94
	v_cndmask_b32_e64 v66, v66, v97, s18
	v_cndmask_b32_e64 v90, v86, v97, s27
	;; [unrolled: 1-line block ×4, first 2 shown]
	v_dual_cndmask_b32 v86, v87, v97 :: v_dual_cndmask_b32 v87, v88, v84
	v_cndmask_b32_e64 v91, v69, v84, s15
	s_delay_alu instid0(VALU_DEP_4) | instskip(NEXT) | instid1(VALU_DEP_4)
	v_cndmask_b32_e64 v89, v89, v100, s22
	v_cndmask_b32_e64 v85, v85, v100, s13
	v_perm_b32 v69, v102, v101, 0x5040100
	v_perm_b32 v86, v87, v86, 0x5040100
	;; [unrolled: 1-line block ×3, first 2 shown]
	v_cndmask_b32_e64 v89, v89, v94, s24
	v_cndmask_b32_e64 v85, v85, v94, s16
	s_mul_i32 s8, s35, 11
	s_delay_alu instid0(VALU_DEP_2) | instskip(NEXT) | instid1(VALU_DEP_2)
	v_cndmask_b32_e64 v88, v89, v84, s27
	v_cndmask_b32_e64 v89, v85, v84, s18
	s_delay_alu instid0(VALU_DEP_2) | instskip(NEXT) | instid1(VALU_DEP_2)
	v_perm_b32 v85, v88, v90, 0x5040100
	v_perm_b32 v84, v89, v66, 0x5040100
	ds_store_b128 v76, v[69:72]
	ds_store_b128 v76, v[83:86] offset:1024
	v_cmpx_gt_u32_e32 11, v0
	s_cbranch_execz .LBB1616_78
; %bb.77:
	s_mul_i32 s4, s8, s30
	s_delay_alu instid0(SALU_CYCLE_1) | instskip(SKIP_1) | instid1(VALU_DEP_1)
	v_add3_u32 v69, s4, s31, v65
	s_load_b128 s[4:7], s[0:1], 0x58
	v_mad_u64_u32 v[65:66], null, v69, s34, s[14:15]
	s_delay_alu instid0(VALU_DEP_1) | instskip(NEXT) | instid1(VALU_DEP_1)
	v_ashrrev_i32_e32 v66, 31, v65
	v_lshlrev_b64 v[65:66], 2, v[65:66]
	s_waitcnt lgkmcnt(0)
	s_delay_alu instid0(VALU_DEP_1) | instskip(NEXT) | instid1(VALU_DEP_2)
	v_add_co_u32 v69, vcc_lo, s6, v65
	v_add_co_ci_u32_e32 v70, vcc_lo, s7, v66, vcc_lo
	v_add_co_u32 v65, vcc_lo, s4, v65
	v_add_co_ci_u32_e32 v66, vcc_lo, s5, v66, vcc_lo
	global_store_b32 v[69:70], v67, off
	global_store_b32 v[65:66], v68, off
.LBB1616_78:
	s_or_b32 exec_lo, exec_lo, s3
	s_waitcnt lgkmcnt(0)
	s_waitcnt_vscnt null, 0x0
	s_barrier
	buffer_gl0_inv
	ds_load_b128 v[83:86], v80
	ds_load_b128 v[87:90], v80 offset:16
	ds_load_b128 v[95:98], v80 offset:2064
	;; [unrolled: 1-line block ×3, first 2 shown]
	v_mov_b32_e32 v65, 0
	ds_load_b128 v[103:106], v80 offset:4112
	ds_load_b128 v[99:102], v80 offset:4096
	;; [unrolled: 1-line block ×4, first 2 shown]
	v_mov_b32_e32 v66, v65
	v_mov_b32_e32 v67, v65
	;; [unrolled: 1-line block ×7, first 2 shown]
	s_waitcnt lgkmcnt(6)
	s_delay_alu instid0(VALU_DEP_1)
	v_wmma_f32_16x16x16_bf16 v[65:72], v[49:56], v[83:90], v[65:72]
	ds_load_b128 v[53:56], v80 offset:8208
	ds_load_b128 v[49:52], v80 offset:8192
	s_waitcnt lgkmcnt(6)
	v_wmma_f32_16x16x16_bf16 v[65:72], v[41:48], v[91:98], v[65:72]
	ds_load_b128 v[45:48], v80 offset:10256
	ds_load_b128 v[41:44], v80 offset:10240
	s_waitcnt lgkmcnt(6)
	;; [unrolled: 4-line block ×4, first 2 shown]
	v_wmma_f32_16x16x16_bf16 v[65:72], v[1:8], v[49:56], v[65:72]
	s_waitcnt lgkmcnt(4)
	s_delay_alu instid0(VALU_DEP_1) | instskip(SKIP_1) | instid1(VALU_DEP_1)
	v_wmma_f32_16x16x16_bf16 v[65:72], v[9:16], v[41:48], v[65:72]
	s_waitcnt lgkmcnt(2)
	v_wmma_f32_16x16x16_bf16 v[65:72], v[17:24], v[33:40], v[65:72]
	s_waitcnt lgkmcnt(0)
	s_delay_alu instid0(VALU_DEP_1) | instskip(NEXT) | instid1(VALU_DEP_1)
	v_wmma_f32_16x16x16_bf16 v[65:72], v[57:64], v[25:32], v[65:72]
	v_and_b32_e32 v1, 0x7f800000, v65
	s_delay_alu instid0(VALU_DEP_1) | instskip(SKIP_1) | instid1(SALU_CYCLE_1)
	v_cmp_ne_u32_e32 vcc_lo, 0x7f800000, v1
                                        ; implicit-def: $vgpr1
	s_and_saveexec_b32 s3, vcc_lo
	s_xor_b32 s3, exec_lo, s3
; %bb.79:
	v_bfe_u32 v1, v65, 16, 1
	s_delay_alu instid0(VALU_DEP_1)
	v_add3_u32 v1, v65, v1, 0x7fff
; %bb.80:
	s_and_not1_saveexec_b32 s3, s3
; %bb.81:
	v_and_b32_e32 v1, 0xffff, v65
	v_or_b32_e32 v2, 0x10000, v65
	s_delay_alu instid0(VALU_DEP_2) | instskip(NEXT) | instid1(VALU_DEP_2)
	v_cmp_eq_u32_e32 vcc_lo, 0, v1
	v_cndmask_b32_e32 v1, v2, v65, vcc_lo
; %bb.82:
	s_or_b32 exec_lo, exec_lo, s3
	v_and_b32_e32 v2, 0x7f800000, v66
	s_delay_alu instid0(VALU_DEP_1) | instskip(SKIP_1) | instid1(SALU_CYCLE_1)
	v_cmp_ne_u32_e32 vcc_lo, 0x7f800000, v2
                                        ; implicit-def: $vgpr2
	s_and_saveexec_b32 s3, vcc_lo
	s_xor_b32 s3, exec_lo, s3
; %bb.83:
	v_bfe_u32 v2, v66, 16, 1
	s_delay_alu instid0(VALU_DEP_1)
	v_add3_u32 v2, v66, v2, 0x7fff
; %bb.84:
	s_and_not1_saveexec_b32 s3, s3
; %bb.85:
	v_and_b32_e32 v2, 0xffff, v66
	v_or_b32_e32 v3, 0x10000, v66
	s_delay_alu instid0(VALU_DEP_2) | instskip(NEXT) | instid1(VALU_DEP_2)
	v_cmp_eq_u32_e32 vcc_lo, 0, v2
	v_cndmask_b32_e32 v2, v3, v66, vcc_lo
; %bb.86:
	s_or_b32 exec_lo, exec_lo, s3
	v_and_b32_e32 v3, 0x7f800000, v67
	s_delay_alu instid0(VALU_DEP_1) | instskip(SKIP_1) | instid1(SALU_CYCLE_1)
	v_cmp_ne_u32_e32 vcc_lo, 0x7f800000, v3
                                        ; implicit-def: $vgpr3
	s_and_saveexec_b32 s3, vcc_lo
	s_xor_b32 s3, exec_lo, s3
; %bb.87:
	v_bfe_u32 v3, v67, 16, 1
	s_delay_alu instid0(VALU_DEP_1)
	v_add3_u32 v3, v67, v3, 0x7fff
; %bb.88:
	s_and_not1_saveexec_b32 s3, s3
; %bb.89:
	v_and_b32_e32 v3, 0xffff, v67
	v_or_b32_e32 v4, 0x10000, v67
	s_delay_alu instid0(VALU_DEP_2) | instskip(NEXT) | instid1(VALU_DEP_2)
	v_cmp_eq_u32_e32 vcc_lo, 0, v3
	v_cndmask_b32_e32 v3, v4, v67, vcc_lo
; %bb.90:
	s_or_b32 exec_lo, exec_lo, s3
	v_and_b32_e32 v4, 0x7f800000, v68
	s_delay_alu instid0(VALU_DEP_1) | instskip(SKIP_1) | instid1(SALU_CYCLE_1)
	v_cmp_ne_u32_e32 vcc_lo, 0x7f800000, v4
                                        ; implicit-def: $vgpr4
	s_and_saveexec_b32 s3, vcc_lo
	s_xor_b32 s3, exec_lo, s3
; %bb.91:
	v_bfe_u32 v4, v68, 16, 1
	s_delay_alu instid0(VALU_DEP_1)
	v_add3_u32 v4, v68, v4, 0x7fff
; %bb.92:
	s_and_not1_saveexec_b32 s3, s3
; %bb.93:
	v_and_b32_e32 v4, 0xffff, v68
	v_or_b32_e32 v5, 0x10000, v68
	s_delay_alu instid0(VALU_DEP_2) | instskip(NEXT) | instid1(VALU_DEP_2)
	v_cmp_eq_u32_e32 vcc_lo, 0, v4
	v_cndmask_b32_e32 v4, v5, v68, vcc_lo
; %bb.94:
	s_or_b32 exec_lo, exec_lo, s3
	v_and_b32_e32 v5, 0x7f800000, v69
	s_delay_alu instid0(VALU_DEP_1) | instskip(SKIP_1) | instid1(SALU_CYCLE_1)
	v_cmp_ne_u32_e32 vcc_lo, 0x7f800000, v5
                                        ; implicit-def: $vgpr5
	s_and_saveexec_b32 s3, vcc_lo
	s_xor_b32 s3, exec_lo, s3
; %bb.95:
	v_bfe_u32 v5, v69, 16, 1
	s_delay_alu instid0(VALU_DEP_1)
	v_add3_u32 v5, v69, v5, 0x7fff
; %bb.96:
	s_and_not1_saveexec_b32 s3, s3
; %bb.97:
	v_and_b32_e32 v5, 0xffff, v69
	v_or_b32_e32 v6, 0x10000, v69
	s_delay_alu instid0(VALU_DEP_2) | instskip(NEXT) | instid1(VALU_DEP_2)
	v_cmp_eq_u32_e32 vcc_lo, 0, v5
	v_cndmask_b32_e32 v5, v6, v69, vcc_lo
; %bb.98:
	s_or_b32 exec_lo, exec_lo, s3
	v_and_b32_e32 v6, 0x7f800000, v70
	s_delay_alu instid0(VALU_DEP_1) | instskip(SKIP_1) | instid1(SALU_CYCLE_1)
	v_cmp_ne_u32_e32 vcc_lo, 0x7f800000, v6
                                        ; implicit-def: $vgpr6
	s_and_saveexec_b32 s3, vcc_lo
	s_xor_b32 s3, exec_lo, s3
; %bb.99:
	v_bfe_u32 v6, v70, 16, 1
	s_delay_alu instid0(VALU_DEP_1)
	v_add3_u32 v6, v70, v6, 0x7fff
; %bb.100:
	s_and_not1_saveexec_b32 s3, s3
; %bb.101:
	v_and_b32_e32 v6, 0xffff, v70
	v_or_b32_e32 v7, 0x10000, v70
	s_delay_alu instid0(VALU_DEP_2) | instskip(NEXT) | instid1(VALU_DEP_2)
	v_cmp_eq_u32_e32 vcc_lo, 0, v6
	v_cndmask_b32_e32 v6, v7, v70, vcc_lo
; %bb.102:
	s_or_b32 exec_lo, exec_lo, s3
	v_and_b32_e32 v7, 0x7f800000, v71
	s_delay_alu instid0(VALU_DEP_1) | instskip(SKIP_1) | instid1(SALU_CYCLE_1)
	v_cmp_ne_u32_e32 vcc_lo, 0x7f800000, v7
                                        ; implicit-def: $vgpr7
	s_and_saveexec_b32 s3, vcc_lo
	s_xor_b32 s3, exec_lo, s3
; %bb.103:
	v_bfe_u32 v7, v71, 16, 1
	s_delay_alu instid0(VALU_DEP_1)
	v_add3_u32 v7, v71, v7, 0x7fff
; %bb.104:
	s_and_not1_saveexec_b32 s3, s3
; %bb.105:
	v_and_b32_e32 v7, 0xffff, v71
	v_or_b32_e32 v8, 0x10000, v71
	s_delay_alu instid0(VALU_DEP_2) | instskip(NEXT) | instid1(VALU_DEP_2)
	v_cmp_eq_u32_e32 vcc_lo, 0, v7
	v_cndmask_b32_e32 v7, v8, v71, vcc_lo
; %bb.106:
	s_or_b32 exec_lo, exec_lo, s3
	v_and_b32_e32 v8, 0x7f800000, v72
	s_delay_alu instid0(VALU_DEP_1) | instskip(SKIP_1) | instid1(SALU_CYCLE_1)
	v_cmp_ne_u32_e32 vcc_lo, 0x7f800000, v8
                                        ; implicit-def: $vgpr8
	s_and_saveexec_b32 s3, vcc_lo
	s_xor_b32 s3, exec_lo, s3
; %bb.107:
	v_bfe_u32 v8, v72, 16, 1
	s_delay_alu instid0(VALU_DEP_1)
	v_add3_u32 v8, v72, v8, 0x7fff
                                        ; implicit-def: $vgpr65_vgpr66_vgpr67_vgpr68_vgpr69_vgpr70_vgpr71_vgpr72
; %bb.108:
	s_and_not1_saveexec_b32 s3, s3
; %bb.109:
	v_and_b32_e32 v8, 0xffff, v72
	v_or_b32_e32 v9, 0x10000, v72
	s_delay_alu instid0(VALU_DEP_2) | instskip(NEXT) | instid1(VALU_DEP_2)
	v_cmp_eq_u32_e32 vcc_lo, 0, v8
	v_cndmask_b32_e32 v8, v9, v72, vcc_lo
; %bb.110:
	s_or_b32 exec_lo, exec_lo, s3
	s_delay_alu instid0(VALU_DEP_1)
	v_perm_b32 v7, v8, v7, 0x7060302
	v_perm_b32 v6, v6, v5, 0x7060302
	;; [unrolled: 1-line block ×4, first 2 shown]
	s_barrier
	buffer_gl0_inv
	v_cmp_eq_u32_e32 vcc_lo, 1, v78
	ds_store_b128 v76, v[4:7]
	s_waitcnt lgkmcnt(0)
	s_barrier
	buffer_gl0_inv
	ds_load_b128 v[1:4], v82
	ds_load_b128 v[5:8], v82 offset:16
	v_cmp_eq_u32_e64 s3, 1, v79
	v_cmp_eq_u32_e64 s4, 2, v78
	;; [unrolled: 1-line block ×5, first 2 shown]
	s_waitcnt lgkmcnt(1)
	v_lshrrev_b32_e32 v9, 16, v1
	s_waitcnt lgkmcnt(0)
	v_lshrrev_b32_e32 v13, 16, v5
	v_lshrrev_b32_e32 v10, 16, v2
	;; [unrolled: 1-line block ×4, first 2 shown]
	v_cndmask_b32_e64 v19, v1, v9, s3
	v_cndmask_b32_e32 v18, v5, v13, vcc_lo
	v_cndmask_b32_e64 v20, v5, v13, s3
	v_cndmask_b32_e32 v17, v1, v9, vcc_lo
	v_cmp_eq_u32_e32 vcc_lo, 2, v79
	v_lshrrev_b32_e32 v15, 16, v7
	v_cmp_eq_u32_e64 s3, 1, v77
	v_lshrrev_b32_e32 v12, 16, v4
	v_lshrrev_b32_e32 v16, 16, v8
	v_cndmask_b32_e32 v20, v20, v6, vcc_lo
	v_cndmask_b32_e64 v17, v17, v2, s4
	v_cndmask_b32_e32 v19, v19, v2, vcc_lo
	v_cndmask_b32_e64 v18, v18, v6, s4
	v_cmp_eq_u32_e32 vcc_lo, 4, v78
	v_cmp_eq_u32_e64 s4, 3, v79
	v_cndmask_b32_e64 v17, v17, v10, s5
	v_cndmask_b32_e64 v21, v1, v9, s3
	;; [unrolled: 1-line block ×5, first 2 shown]
	v_cndmask_b32_e32 v17, v17, v3, vcc_lo
	v_cndmask_b32_e64 v20, v20, v14, s4
	v_cndmask_b32_e32 v18, v18, v7, vcc_lo
	v_cmp_eq_u32_e32 vcc_lo, 4, v79
	v_cmp_eq_u32_e64 s4, 5, v79
	v_cmp_eq_u32_e64 s3, 2, v81
	v_cndmask_b32_e64 v21, v21, v2, s7
	v_cmp_eq_u32_e64 s5, 5, v78
	v_cndmask_b32_e32 v19, v19, v3, vcc_lo
	v_cndmask_b32_e32 v20, v20, v7, vcc_lo
	v_cmp_eq_u32_e32 vcc_lo, 6, v79
	s_delay_alu instid0(VALU_DEP_4) | instskip(NEXT) | instid1(VALU_DEP_4)
	v_cndmask_b32_e64 v17, v17, v11, s5
	v_cndmask_b32_e64 v19, v19, v11, s4
	s_delay_alu instid0(VALU_DEP_4) | instskip(SKIP_1) | instid1(VALU_DEP_3)
	v_cndmask_b32_e64 v20, v20, v15, s4
	v_cmp_eq_u32_e64 s4, 1, v81
	v_cndmask_b32_e32 v19, v19, v4, vcc_lo
	v_cndmask_b32_e64 v18, v18, v15, s5
	s_delay_alu instid0(VALU_DEP_3)
	v_cndmask_b32_e64 v1, v1, v9, s4
	v_cndmask_b32_e64 v5, v5, v13, s4
	v_cmp_eq_u32_e64 s4, 3, v77
	v_cndmask_b32_e64 v13, v22, v6, s7
	v_cmp_eq_u32_e64 s7, 3, v81
	v_cndmask_b32_e64 v1, v1, v2, s3
	v_cndmask_b32_e64 v2, v5, v6, s3
	;; [unrolled: 1-line block ×3, first 2 shown]
	v_cmp_eq_u32_e64 s3, 4, v77
	v_cndmask_b32_e64 v6, v13, v14, s4
	v_cndmask_b32_e64 v1, v1, v10, s7
	v_cmp_eq_u32_e64 s4, 4, v81
	v_cndmask_b32_e64 v2, v2, v14, s7
	v_cndmask_b32_e64 v5, v9, v3, s3
	;; [unrolled: 3-line block ×3, first 2 shown]
	v_cndmask_b32_e64 v2, v2, v7, s4
	v_cmp_eq_u32_e64 s3, 5, v81
	v_cmp_eq_u32_e64 s5, 6, v78
	v_cndmask_b32_e64 v5, v5, v11, s7
	v_cmp_eq_u32_e64 s4, 6, v77
	v_cndmask_b32_e64 v3, v6, v15, s7
	v_cndmask_b32_e64 v1, v1, v11, s3
	v_cmp_eq_u32_e64 s7, 6, v81
	v_cndmask_b32_e64 v2, v2, v15, s3
	v_cndmask_b32_e64 v17, v17, v4, s5
	v_cndmask_b32_e64 v18, v18, v8, s5
	v_cmp_eq_u32_e64 s5, 7, v78
	v_cndmask_b32_e64 v5, v5, v4, s4
	v_cndmask_b32_e64 v3, v3, v8, s4
	v_cndmask_b32_e64 v1, v1, v4, s7
	v_cmp_eq_u32_e64 s3, 7, v81
	v_cndmask_b32_e64 v2, v2, v8, s7
	v_cmp_eq_u32_e64 s4, 7, v77
	v_cndmask_b32_e32 v4, v20, v8, vcc_lo
	v_cndmask_b32_e64 v17, v17, v12, s5
	v_cndmask_b32_e64 v19, v19, v12, s6
	;; [unrolled: 1-line block ×8, first 2 shown]
	s_mov_b32 s3, exec_lo
	v_perm_b32 v4, v2, v1, 0x5040100
	v_perm_b32 v3, v3, v5, 0x5040100
	;; [unrolled: 1-line block ×4, first 2 shown]
	ds_store_b128 v76, v[1:4]
	s_waitcnt lgkmcnt(0)
	s_barrier
	buffer_gl0_inv
	v_cmpx_gt_u32_e32 32, v0
	s_cbranch_execz .LBB1616_2
; %bb.111:
	s_load_b64 s[4:5], s[0:1], 0x68
	v_lshlrev_b32_e32 v0, 10, v0
	v_lshlrev_b32_e32 v1, 4, v75
	s_lshl_b32 s0, s34, 7
	v_add_nc_u32_e32 v7, s31, v74
	s_mul_i32 s1, s0, s30
	s_delay_alu instid0(SALU_CYCLE_1) | instskip(SKIP_1) | instid1(VALU_DEP_2)
	s_mul_i32 s6, s1, s8
	v_and_or_b32 v0, 0x3800, v0, v1
	v_mul_lo_u32 v1, v7, s0
	v_add_nc_u32_e32 v2, 2, v7
	s_ashr_i32 s7, s6, 31
	v_add_nc_u32_e32 v4, 4, v7
	s_lshl_b64 s[6:7], s[6:7], 1
	v_add_nc_u32_e32 v8, 6, v7
	v_mul_lo_u32 v3, v2, s0
	v_lshl_or_b32 v19, v74, 6, v0
	v_ashrrev_i32_e32 v2, 31, v1
	v_mul_lo_u32 v11, v4, s0
	v_mul_lo_u32 v25, v8, s0
	s_waitcnt lgkmcnt(0)
	s_add_u32 s1, s4, s6
	s_addc_u32 s3, s5, s7
	s_lshl_b32 s4, s14, 7
	v_lshlrev_b64 v[5:6], 1, v[1:2]
	s_ashr_i32 s5, s4, 31
	v_ashrrev_i32_e32 v4, 31, v3
	s_lshl_b64 s[4:5], s[4:5], 1
	v_ashrrev_i32_e32 v12, 31, v11
	s_add_u32 s1, s1, s4
	s_addc_u32 s3, s3, s5
	v_add_co_u32 v1, s1, s1, v73
	s_delay_alu instid0(VALU_DEP_1) | instskip(SKIP_1) | instid1(VALU_DEP_3)
	v_add_co_ci_u32_e64 v2, null, s3, 0, s1
	v_lshlrev_b64 v[3:4], 1, v[3:4]
	v_add_co_u32 v23, vcc_lo, v1, v5
	v_add_nc_u32_e32 v5, 8, v7
	s_delay_alu instid0(VALU_DEP_4) | instskip(NEXT) | instid1(VALU_DEP_4)
	v_add_co_ci_u32_e32 v24, vcc_lo, v2, v6, vcc_lo
	v_add_co_u32 v27, vcc_lo, v1, v3
	s_delay_alu instid0(VALU_DEP_3)
	v_mul_lo_u32 v29, v5, s0
	v_add_co_ci_u32_e32 v28, vcc_lo, v2, v4, vcc_lo
	ds_load_b128 v[3:6], v19
	ds_load_b128 v[7:10], v19 offset:128
	v_lshlrev_b64 v[31:32], 1, v[11:12]
	ds_load_b128 v[11:14], v19 offset:256
	ds_load_b128 v[15:18], v19 offset:384
	ds_load_b128 v[19:22], v19 offset:512
	v_ashrrev_i32_e32 v26, 31, v25
	v_ashrrev_i32_e32 v30, 31, v29
	v_add_co_u32 v31, vcc_lo, v1, v31
	s_delay_alu instid0(VALU_DEP_3) | instskip(NEXT) | instid1(VALU_DEP_3)
	v_lshlrev_b64 v[25:26], 1, v[25:26]
	v_lshlrev_b64 v[29:30], 1, v[29:30]
	v_add_co_ci_u32_e32 v32, vcc_lo, v2, v32, vcc_lo
	s_delay_alu instid0(VALU_DEP_3) | instskip(NEXT) | instid1(VALU_DEP_4)
	v_add_co_u32 v25, vcc_lo, v1, v25
	v_add_co_ci_u32_e32 v26, vcc_lo, v2, v26, vcc_lo
	s_delay_alu instid0(VALU_DEP_4)
	v_add_co_u32 v29, vcc_lo, v1, v29
	v_add_co_ci_u32_e32 v30, vcc_lo, v2, v30, vcc_lo
	s_waitcnt lgkmcnt(4)
	global_store_b128 v[23:24], v[3:6], off
	s_waitcnt lgkmcnt(3)
	global_store_b128 v[27:28], v[7:10], off
	;; [unrolled: 2-line block ×5, first 2 shown]
	s_and_b32 exec_lo, exec_lo, s2
	s_cbranch_execz .LBB1616_2
; %bb.112:
	ds_load_b128 v[3:6], v0 offset:640
	s_add_i32 s1, s31, 10
	s_delay_alu instid0(SALU_CYCLE_1) | instskip(NEXT) | instid1(SALU_CYCLE_1)
	s_mul_i32 s0, s1, s0
	s_ashr_i32 s1, s0, 31
	s_delay_alu instid0(SALU_CYCLE_1) | instskip(NEXT) | instid1(SALU_CYCLE_1)
	s_lshl_b64 s[0:1], s[0:1], 1
	v_add_co_u32 v0, vcc_lo, v1, s0
	v_add_co_ci_u32_e32 v1, vcc_lo, s1, v2, vcc_lo
	s_waitcnt lgkmcnt(0)
	global_store_b128 v[0:1], v[3:6], off
	s_nop 0
	s_sendmsg sendmsg(MSG_DEALLOC_VGPRS)
	s_endpgm
	.section	.rodata,"a",@progbits
	.p2align	6, 0x0
	.amdhsa_kernel _Z39paged_attention_ll4mi_QKV_mfma16_kernelI14__hip_bfloat16hLN4vllm18Fp8KVCacheDataTypeE1EhLi32ELi128ELi256ELb0ELi11EL8MFMAType1EEvPKT_PKT0_S9_ifPKiSB_SB_iPKfiiiPfSE_PS4_PT2_iSD_SD_
		.amdhsa_group_segment_fixed_size 17472
		.amdhsa_private_segment_fixed_size 0
		.amdhsa_kernarg_size 400
		.amdhsa_user_sgpr_count 13
		.amdhsa_user_sgpr_dispatch_ptr 0
		.amdhsa_user_sgpr_queue_ptr 0
		.amdhsa_user_sgpr_kernarg_segment_ptr 1
		.amdhsa_user_sgpr_dispatch_id 0
		.amdhsa_user_sgpr_private_segment_size 0
		.amdhsa_wavefront_size32 1
		.amdhsa_uses_dynamic_stack 0
		.amdhsa_enable_private_segment 0
		.amdhsa_system_sgpr_workgroup_id_x 1
		.amdhsa_system_sgpr_workgroup_id_y 1
		.amdhsa_system_sgpr_workgroup_id_z 1
		.amdhsa_system_sgpr_workgroup_info 0
		.amdhsa_system_vgpr_workitem_id 0
		.amdhsa_next_free_vgpr 140
		.amdhsa_next_free_sgpr 36
		.amdhsa_reserve_vcc 1
		.amdhsa_float_round_mode_32 0
		.amdhsa_float_round_mode_16_64 0
		.amdhsa_float_denorm_mode_32 3
		.amdhsa_float_denorm_mode_16_64 3
		.amdhsa_dx10_clamp 1
		.amdhsa_ieee_mode 1
		.amdhsa_fp16_overflow 0
		.amdhsa_workgroup_processor_mode 1
		.amdhsa_memory_ordered 1
		.amdhsa_forward_progress 0
		.amdhsa_shared_vgpr_count 0
		.amdhsa_exception_fp_ieee_invalid_op 0
		.amdhsa_exception_fp_denorm_src 0
		.amdhsa_exception_fp_ieee_div_zero 0
		.amdhsa_exception_fp_ieee_overflow 0
		.amdhsa_exception_fp_ieee_underflow 0
		.amdhsa_exception_fp_ieee_inexact 0
		.amdhsa_exception_int_div_zero 0
	.end_amdhsa_kernel
	.section	.text._Z39paged_attention_ll4mi_QKV_mfma16_kernelI14__hip_bfloat16hLN4vllm18Fp8KVCacheDataTypeE1EhLi32ELi128ELi256ELb0ELi11EL8MFMAType1EEvPKT_PKT0_S9_ifPKiSB_SB_iPKfiiiPfSE_PS4_PT2_iSD_SD_,"axG",@progbits,_Z39paged_attention_ll4mi_QKV_mfma16_kernelI14__hip_bfloat16hLN4vllm18Fp8KVCacheDataTypeE1EhLi32ELi128ELi256ELb0ELi11EL8MFMAType1EEvPKT_PKT0_S9_ifPKiSB_SB_iPKfiiiPfSE_PS4_PT2_iSD_SD_,comdat
.Lfunc_end1616:
	.size	_Z39paged_attention_ll4mi_QKV_mfma16_kernelI14__hip_bfloat16hLN4vllm18Fp8KVCacheDataTypeE1EhLi32ELi128ELi256ELb0ELi11EL8MFMAType1EEvPKT_PKT0_S9_ifPKiSB_SB_iPKfiiiPfSE_PS4_PT2_iSD_SD_, .Lfunc_end1616-_Z39paged_attention_ll4mi_QKV_mfma16_kernelI14__hip_bfloat16hLN4vllm18Fp8KVCacheDataTypeE1EhLi32ELi128ELi256ELb0ELi11EL8MFMAType1EEvPKT_PKT0_S9_ifPKiSB_SB_iPKfiiiPfSE_PS4_PT2_iSD_SD_
                                        ; -- End function
	.section	.AMDGPU.csdata,"",@progbits
; Kernel info:
; codeLenInByte = 9048
; NumSgprs: 38
; NumVgprs: 140
; ScratchSize: 0
; MemoryBound: 0
; FloatMode: 240
; IeeeMode: 1
; LDSByteSize: 17472 bytes/workgroup (compile time only)
; SGPRBlocks: 4
; VGPRBlocks: 17
; NumSGPRsForWavesPerEU: 38
; NumVGPRsForWavesPerEU: 140
; Occupancy: 10
; WaveLimiterHint : 1
; COMPUTE_PGM_RSRC2:SCRATCH_EN: 0
; COMPUTE_PGM_RSRC2:USER_SGPR: 13
; COMPUTE_PGM_RSRC2:TRAP_HANDLER: 0
; COMPUTE_PGM_RSRC2:TGID_X_EN: 1
; COMPUTE_PGM_RSRC2:TGID_Y_EN: 1
; COMPUTE_PGM_RSRC2:TGID_Z_EN: 1
; COMPUTE_PGM_RSRC2:TIDIG_COMP_CNT: 0
	.section	.text._Z39paged_attention_ll4mi_QKV_mfma16_kernelI14__hip_bfloat16hLN4vllm18Fp8KVCacheDataTypeE1EhLi32ELi128ELi256ELb0ELi12EL8MFMAType1EEvPKT_PKT0_S9_ifPKiSB_SB_iPKfiiiPfSE_PS4_PT2_iSD_SD_,"axG",@progbits,_Z39paged_attention_ll4mi_QKV_mfma16_kernelI14__hip_bfloat16hLN4vllm18Fp8KVCacheDataTypeE1EhLi32ELi128ELi256ELb0ELi12EL8MFMAType1EEvPKT_PKT0_S9_ifPKiSB_SB_iPKfiiiPfSE_PS4_PT2_iSD_SD_,comdat
	.protected	_Z39paged_attention_ll4mi_QKV_mfma16_kernelI14__hip_bfloat16hLN4vllm18Fp8KVCacheDataTypeE1EhLi32ELi128ELi256ELb0ELi12EL8MFMAType1EEvPKT_PKT0_S9_ifPKiSB_SB_iPKfiiiPfSE_PS4_PT2_iSD_SD_ ; -- Begin function _Z39paged_attention_ll4mi_QKV_mfma16_kernelI14__hip_bfloat16hLN4vllm18Fp8KVCacheDataTypeE1EhLi32ELi128ELi256ELb0ELi12EL8MFMAType1EEvPKT_PKT0_S9_ifPKiSB_SB_iPKfiiiPfSE_PS4_PT2_iSD_SD_
	.globl	_Z39paged_attention_ll4mi_QKV_mfma16_kernelI14__hip_bfloat16hLN4vllm18Fp8KVCacheDataTypeE1EhLi32ELi128ELi256ELb0ELi12EL8MFMAType1EEvPKT_PKT0_S9_ifPKiSB_SB_iPKfiiiPfSE_PS4_PT2_iSD_SD_
	.p2align	8
	.type	_Z39paged_attention_ll4mi_QKV_mfma16_kernelI14__hip_bfloat16hLN4vllm18Fp8KVCacheDataTypeE1EhLi32ELi128ELi256ELb0ELi12EL8MFMAType1EEvPKT_PKT0_S9_ifPKiSB_SB_iPKfiiiPfSE_PS4_PT2_iSD_SD_,@function
_Z39paged_attention_ll4mi_QKV_mfma16_kernelI14__hip_bfloat16hLN4vllm18Fp8KVCacheDataTypeE1EhLi32ELi128ELi256ELb0ELi12EL8MFMAType1EEvPKT_PKT0_S9_ifPKiSB_SB_iPKfiiiPfSE_PS4_PT2_iSD_SD_: ; @_Z39paged_attention_ll4mi_QKV_mfma16_kernelI14__hip_bfloat16hLN4vllm18Fp8KVCacheDataTypeE1EhLi32ELi128ELi256ELb0ELi12EL8MFMAType1EEvPKT_PKT0_S9_ifPKiSB_SB_iPKfiiiPfSE_PS4_PT2_iSD_SD_
; %bb.0:
	s_load_b64 s[4:5], s[0:1], 0x30
	s_mov_b32 s30, s13
	s_waitcnt lgkmcnt(0)
	s_cmp_lg_u64 s[4:5], 0
	s_cselect_b32 s13, -1, 0
	s_ashr_i32 s31, s30, 31
	s_cmp_eq_u64 s[4:5], 0
	s_cbranch_scc1 .LBB1617_3
; %bb.1:
	s_lshl_b64 s[2:3], s[30:31], 2
	s_delay_alu instid0(SALU_CYCLE_1) | instskip(SKIP_4) | instid1(SALU_CYCLE_1)
	s_add_u32 s2, s4, s2
	s_addc_u32 s3, s5, s3
	s_load_b64 s[2:3], s[2:3], 0x0
	s_waitcnt lgkmcnt(0)
	s_sub_i32 s2, s3, s2
	s_cmp_eq_u32 s2, 1
	s_cselect_b32 s2, -1, 0
	s_delay_alu instid0(SALU_CYCLE_1)
	s_and_not1_b32 vcc_lo, exec_lo, s2
	s_cbranch_vccz .LBB1617_4
.LBB1617_2:
	s_endpgm
.LBB1617_3:
.LBB1617_4:
	s_load_b64 s[2:3], s[0:1], 0x28
	s_lshl_b64 s[6:7], s[30:31], 2
	s_waitcnt lgkmcnt(0)
	s_add_u32 s2, s2, s6
	s_addc_u32 s3, s3, s7
	s_lshl_b32 s12, s14, 8
	s_load_b32 s17, s[2:3], 0x0
	s_waitcnt lgkmcnt(0)
	s_cmp_ge_i32 s12, s17
	s_cbranch_scc1 .LBB1617_2
; %bb.5:
	s_clause 0x1
	s_load_b128 s[8:11], s[0:1], 0x8
	s_load_b64 s[2:3], s[0:1], 0x20
	s_and_not1_b32 vcc_lo, exec_lo, s13
	s_cbranch_vccnz .LBB1617_7
; %bb.6:
	s_add_u32 s4, s4, s6
	s_addc_u32 s5, s5, s7
	s_load_b32 s13, s[4:5], 0x0
	s_branch .LBB1617_8
.LBB1617_7:
	s_mov_b32 s13, s30
.LBB1617_8:
	s_load_b128 s[4:7], s[0:1], 0x48
	v_and_b32_e32 v65, 15, v0
	v_lshrrev_b32_e32 v66, 5, v0
	v_and_b32_e32 v67, 31, v0
	v_and_b32_e32 v75, 1, v0
	v_bfe_u32 v74, v0, 4, 1
	v_lshlrev_b32_e32 v1, 3, v65
	s_mul_i32 s29, s15, 12
	s_waitcnt lgkmcnt(0)
	s_mov_b32 s7, exec_lo
	s_delay_alu instid0(VALU_DEP_1)
	v_lshlrev_b32_e32 v73, 1, v1
	v_cmpx_gt_u32_e32 0xc0, v0
	s_cbranch_execz .LBB1617_10
; %bb.9:
	s_load_b64 s[18:19], s[0:1], 0x0
	v_lshl_or_b32 v5, v66, 1, v74
	s_mul_hi_i32 s21, s13, s4
	s_mul_i32 s20, s13, s4
	v_lshlrev_b32_e32 v6, 10, v65
	s_lshl_b64 s[20:21], s[20:21], 1
	v_add_lshl_u32 v1, v5, s29, 7
	v_lshlrev_b32_e32 v5, 6, v5
	v_lshlrev_b32_e32 v7, 10, v75
	v_and_b32_e32 v6, 0x3800, v6
	s_delay_alu instid0(VALU_DEP_4) | instskip(NEXT) | instid1(VALU_DEP_2)
	v_ashrrev_i32_e32 v2, 31, v1
	v_or3_b32 v5, v6, v7, v5
	s_delay_alu instid0(VALU_DEP_2) | instskip(SKIP_3) | instid1(VALU_DEP_1)
	v_lshlrev_b64 v[1:2], 1, v[1:2]
	s_waitcnt lgkmcnt(0)
	s_add_u32 s4, s18, s20
	s_addc_u32 s13, s19, s21
	v_add_co_u32 v1, vcc_lo, s4, v1
	s_delay_alu instid0(VALU_DEP_2) | instskip(NEXT) | instid1(VALU_DEP_2)
	v_add_co_ci_u32_e32 v2, vcc_lo, s13, v2, vcc_lo
	v_add_co_u32 v1, vcc_lo, v1, v73
	s_delay_alu instid0(VALU_DEP_2)
	v_add_co_ci_u32_e32 v2, vcc_lo, 0, v2, vcc_lo
	global_load_b128 v[1:4], v[1:2], off
	s_waitcnt vmcnt(0)
	ds_store_b128 v5, v[1:4]
.LBB1617_10:
	s_or_b32 exec_lo, exec_lo, s7
	v_and_b32_e32 v1, 0xef, v0
	s_add_i32 s4, s17, 31
	s_clause 0x1
	s_load_b32 s7, s[0:1], 0x38
	s_load_b32 s18, s[0:1], 0x1c
	s_ashr_i32 s13, s4, 31
	v_add_nc_u32_e32 v1, s12, v1
	s_lshr_b32 s13, s13, 27
	s_waitcnt lgkmcnt(0)
	s_add_i32 s4, s4, s13
	s_barrier
	v_ashrrev_i32_e32 v2, 31, v1
	v_or_b32_e32 v3, 16, v1
	s_ashr_i32 s4, s4, 5
	v_cmp_gt_i32_e32 vcc_lo, s17, v1
	s_add_i32 s4, s4, -1
	v_lshrrev_b32_e32 v2, 27, v2
	buffer_gl0_inv
	s_mul_i32 s15, s15, s6
	v_add_nc_u32_e32 v4, v1, v2
	s_mul_i32 s20, s30, s7
	s_delay_alu instid0(SALU_CYCLE_1) | instskip(NEXT) | instid1(VALU_DEP_1)
	s_ashr_i32 s21, s20, 31
	v_ashrrev_i32_e32 v4, 5, v4
	v_add_nc_u32_e32 v2, v3, v2
	s_lshl_b64 s[20:21], s[20:21], 2
	s_delay_alu instid0(SALU_CYCLE_1) | instskip(NEXT) | instid1(VALU_DEP_2)
	s_add_u32 s13, s2, s20
	v_cndmask_b32_e32 v1, s4, v4, vcc_lo
	s_delay_alu instid0(VALU_DEP_2)
	v_ashrrev_i32_e32 v2, 5, v2
	v_cmp_gt_i32_e32 vcc_lo, s17, v3
	s_addc_u32 s16, s3, s21
	s_ashr_i32 s19, s15, 31
	s_add_u32 s2, s8, s15
	s_addc_u32 s3, s9, s19
	v_cndmask_b32_e32 v3, s4, v2, vcc_lo
	v_ashrrev_i32_e32 v2, 31, v1
	s_lshl_b32 s6, s14, 3
	s_delay_alu instid0(SALU_CYCLE_1) | instskip(NEXT) | instid1(VALU_DEP_2)
	s_ashr_i32 s7, s6, 31
	v_ashrrev_i32_e32 v4, 31, v3
	s_delay_alu instid0(VALU_DEP_2) | instskip(SKIP_1) | instid1(SALU_CYCLE_1)
	v_lshlrev_b64 v[1:2], 2, v[1:2]
	s_lshl_b64 s[6:7], s[6:7], 2
	s_add_u32 s6, s13, s6
	s_delay_alu instid0(VALU_DEP_2) | instskip(SKIP_1) | instid1(VALU_DEP_2)
	v_lshlrev_b64 v[3:4], 2, v[3:4]
	s_addc_u32 s7, s16, s7
	v_add_co_u32 v1, vcc_lo, s13, v1
	v_add_co_ci_u32_e32 v2, vcc_lo, s16, v2, vcc_lo
	s_delay_alu instid0(VALU_DEP_3) | instskip(NEXT) | instid1(VALU_DEP_4)
	v_add_co_u32 v3, vcc_lo, s13, v3
	v_add_co_ci_u32_e32 v4, vcc_lo, s16, v4, vcc_lo
	s_clause 0x1
	global_load_b32 v5, v[1:2], off
	global_load_b32 v6, v[3:4], off
	s_or_b32 s8, s12, 32
	s_delay_alu instid0(SALU_CYCLE_1) | instskip(SKIP_2) | instid1(SALU_CYCLE_1)
	s_ashr_i32 s9, s8, 5
	s_cmp_lt_i32 s8, s17
	s_cselect_b32 s8, s9, s4
	s_ashr_i32 s9, s8, 31
	s_delay_alu instid0(SALU_CYCLE_1) | instskip(NEXT) | instid1(SALU_CYCLE_1)
	s_lshl_b64 s[8:9], s[8:9], 2
	s_add_u32 s8, s13, s8
	s_addc_u32 s9, s16, s9
	s_or_b32 s20, s12, 64
	s_delay_alu instid0(SALU_CYCLE_1) | instskip(SKIP_2) | instid1(SALU_CYCLE_1)
	s_ashr_i32 s21, s20, 5
	s_cmp_lt_i32 s20, s17
	s_cselect_b32 s20, s21, s4
	s_ashr_i32 s21, s20, 31
	s_delay_alu instid0(SALU_CYCLE_1) | instskip(NEXT) | instid1(SALU_CYCLE_1)
	s_lshl_b64 s[20:21], s[20:21], 2
	s_add_u32 s20, s13, s20
	s_addc_u32 s21, s16, s21
	;; [unrolled: 10-line block ×5, first 2 shown]
	s_clause 0x5
	s_load_b32 s28, s[6:7], 0x0
	s_load_b32 s8, s[8:9], 0x0
	;; [unrolled: 1-line block ×6, first 2 shown]
	s_mov_b32 s20, 0
	s_delay_alu instid0(SALU_CYCLE_1)
	s_mov_b32 s21, s20
	s_mov_b32 s22, s20
	;; [unrolled: 1-line block ×7, first 2 shown]
	s_delay_alu instid0(SALU_CYCLE_1)
	v_dual_mov_b32 v107, s27 :: v_dual_mov_b32 v106, s26
	v_dual_mov_b32 v104, s24 :: v_dual_mov_b32 v103, s23
	;; [unrolled: 1-line block ×3, first 2 shown]
	v_mov_b32_e32 v100, s20
	s_waitcnt vmcnt(1)
	v_mad_i64_i32 v[1:2], null, v5, s5, s[2:3]
	v_lshlrev_b32_e32 v5, 4, v65
	s_waitcnt vmcnt(0)
	v_mad_i64_i32 v[3:4], null, v6, s5, s[2:3]
	s_or_b32 s2, s12, 0xc0
	s_delay_alu instid0(SALU_CYCLE_1) | instskip(NEXT) | instid1(VALU_DEP_3)
	s_ashr_i32 s3, s2, 5
	v_add_co_u32 v33, vcc_lo, v1, v5
	s_delay_alu instid0(VALU_DEP_4) | instskip(NEXT) | instid1(VALU_DEP_3)
	v_add_co_ci_u32_e32 v34, vcc_lo, 0, v2, vcc_lo
	v_add_co_u32 v35, vcc_lo, v3, v5
	s_delay_alu instid0(VALU_DEP_4)
	v_add_co_ci_u32_e32 v36, vcc_lo, 0, v4, vcc_lo
	s_clause 0xf
	global_load_b128 v[1:4], v[33:34], off
	global_load_b128 v[5:8], v[33:34], off offset:512
	global_load_b128 v[9:12], v[35:36], off offset:256
	;; [unrolled: 1-line block ×15, first 2 shown]
	s_cmp_lt_i32 s2, s17
	v_add_nc_u32_e32 v33, -12, v65
	s_cselect_b32 s2, s3, s4
	v_cmp_gt_u32_e32 vcc_lo, 12, v65
	s_ashr_i32 s3, s2, 31
	v_lshlrev_b32_e32 v34, 5, v65
	s_lshl_b64 s[2:3], s[2:3], 2
	s_delay_alu instid0(SALU_CYCLE_1)
	s_add_u32 s2, s13, s2
	s_addc_u32 s3, s16, s3
	s_or_b32 s6, s12, 0xe0
	v_cndmask_b32_e32 v33, v33, v65, vcc_lo
	s_ashr_i32 s7, s6, 5
	s_cmp_lt_i32 s6, s17
	v_mov_b32_e32 v105, s25
	s_cselect_b32 s6, s7, s4
	v_lshlrev_b32_e32 v72, 6, v33
	s_ashr_i32 s7, s6, 31
	v_lshl_or_b32 v41, v66, 9, v34
	s_lshl_b64 s[6:7], s[6:7], 2
	ds_load_b128 v[33:36], v72
	ds_load_b128 v[37:40], v72 offset:1024
	ds_load_b128 v[108:111], v72 offset:2048
	;; [unrolled: 1-line block ×3, first 2 shown]
	s_load_b32 s4, s[2:3], 0x0
	s_add_u32 s2, s13, s6
	s_addc_u32 s3, s16, s7
	ds_load_b128 v[116:119], v72 offset:4096
	ds_load_b128 v[120:123], v72 offset:5120
	s_load_b32 s2, s[2:3], 0x0
	s_add_u32 s6, s10, s15
	s_addc_u32 s7, s11, s19
	v_add_co_u32 v68, s6, s6, v41
	s_delay_alu instid0(VALU_DEP_1) | instskip(SKIP_1) | instid1(VALU_DEP_1)
	v_add_co_ci_u32_e64 v69, null, s7, 0, s6
	s_waitcnt lgkmcnt(0)
	v_mad_i64_i32 v[41:42], null, s28, s5, v[68:69]
	v_mad_i64_i32 v[70:71], null, s9, s5, v[68:69]
	;; [unrolled: 1-line block ×7, first 2 shown]
	s_clause 0x3
	global_load_b128 v[49:52], v[41:42], off
	global_load_b128 v[53:56], v[41:42], off offset:16
	global_load_b128 v[41:44], v[45:46], off
	global_load_b128 v[45:48], v[45:46], off offset:16
	s_waitcnt vmcnt(18)
	v_wmma_f32_16x16x16_bf16 v[124:131], v[1:8], v[33:40], v[100:107]
	s_waitcnt vmcnt(16)
	v_wmma_f32_16x16x16_bf16 v[100:107], v[9:16], v[33:40], v[100:107]
	s_clause 0x1
	global_load_b128 v[33:36], v[70:71], off
	global_load_b128 v[37:40], v[70:71], off offset:16
	v_mad_i64_i32 v[70:71], null, s2, s5, v[68:69]
	s_waitcnt vmcnt(16)
	v_wmma_f32_16x16x16_bf16 v[124:131], v[17:24], v[108:115], v[124:131]
	s_waitcnt vmcnt(14)
	v_wmma_f32_16x16x16_bf16 v[100:107], v[25:32], v[108:115], v[100:107]
	s_clause 0x7
	global_load_b128 v[25:28], v[132:133], off
	global_load_b128 v[29:32], v[132:133], off offset:16
	global_load_b128 v[1:4], v[134:135], off
	global_load_b128 v[5:8], v[134:135], off offset:16
	;; [unrolled: 2-line block ×4, first 2 shown]
	s_waitcnt vmcnt(20)
	v_wmma_f32_16x16x16_bf16 v[124:131], v[57:64], v[116:123], v[124:131]
	s_clause 0x1
	global_load_b128 v[57:60], v[70:71], off
	global_load_b128 v[61:64], v[70:71], off offset:16
	s_waitcnt vmcnt(20)
	v_wmma_f32_16x16x16_bf16 v[100:107], v[76:83], v[116:123], v[100:107]
	ds_load_b128 v[76:79], v72 offset:6144
	ds_load_b128 v[80:83], v72 offset:7168
	v_and_b32_e32 v68, 0xe0, v0
	v_mbcnt_lo_u32_b32 v69, -1, 0
	s_waitcnt vmcnt(0) lgkmcnt(0)
	s_barrier
	buffer_gl0_inv
	v_add_nc_u32_e32 v68, s12, v68
	v_xor_b32_e32 v70, 16, v69
	s_delay_alu instid0(VALU_DEP_2) | instskip(NEXT) | instid1(VALU_DEP_2)
	v_or_b32_e32 v68, v68, v74
	v_cmp_gt_i32_e32 vcc_lo, 32, v70
	s_delay_alu instid0(VALU_DEP_2)
	v_or_b32_e32 v71, 4, v68
	v_or_b32_e32 v72, 6, v68
	v_cmp_gt_i32_e64 s2, s17, v68
	v_or_b32_e32 v108, 8, v68
	v_wmma_f32_16x16x16_bf16 v[124:131], v[84:91], v[76:83], v[124:131]
	v_cndmask_b32_e32 v69, v69, v70, vcc_lo
	v_or_b32_e32 v70, 2, v68
	v_wmma_f32_16x16x16_bf16 v[100:107], v[92:99], v[76:83], v[100:107]
	v_or_b32_e32 v109, 10, v68
	v_dual_mul_f32 v80, s18, v129 :: v_dual_mul_f32 v81, s18, v128
	v_dual_mul_f32 v92, s18, v125 :: v_dual_mul_f32 v93, s18, v124
	s_delay_alu instid0(VALU_DEP_4)
	v_mul_f32_e32 v96, s18, v105
	v_cmp_gt_i32_e32 vcc_lo, s17, v70
	v_or_b32_e32 v89, 22, v68
	v_dual_mul_f32 v79, s18, v130 :: v_dual_mul_f32 v82, s18, v127
	v_dual_mul_f32 v83, s18, v126 :: v_dual_mul_f32 v94, s18, v107
	v_cndmask_b32_e64 v93, 0xff7fffff, v93, s2
	v_cndmask_b32_e32 v92, 0xff7fffff, v92, vcc_lo
	v_cmp_gt_i32_e64 s3, s17, v71
	v_cmp_gt_i32_e64 s4, s17, v72
	v_or_b32_e32 v84, 12, v68
	v_or_b32_e32 v85, 14, v68
	v_cmp_gt_i32_e64 s5, s17, v108
	v_cndmask_b32_e64 v71, 0xff7fffff, v83, s3
	v_cndmask_b32_e64 v72, 0xff7fffff, v82, s4
	v_cmp_gt_i32_e64 s6, s17, v109
	v_cmp_gt_i32_e64 s12, s17, v89
	v_lshlrev_b32_e32 v89, 2, v69
	v_max3_f32 v82, v93, 0xff7fffff, v92
	v_or_b32_e32 v86, 16, v68
	v_or_b32_e32 v87, 18, v68
	v_mul_f32_e32 v78, s18, v131
	v_cndmask_b32_e64 v81, 0xff7fffff, v81, s5
	v_cndmask_b32_e64 v80, 0xff7fffff, v80, s6
	v_max3_f32 v71, v82, v71, v72
	v_cmp_gt_i32_e64 s7, s17, v84
	v_cmp_gt_i32_e64 s8, s17, v85
	v_or_b32_e32 v88, 20, v68
	v_or_b32_e32 v90, 24, v68
	;; [unrolled: 1-line block ×5, first 2 shown]
	v_dual_mul_f32 v97, s18, v104 :: v_dual_mul_f32 v70, s18, v101
	v_dual_mul_f32 v99, s18, v102 :: v_dual_mul_f32 v68, s18, v100
	v_cndmask_b32_e64 v72, 0xff7fffff, v79, s7
	v_cndmask_b32_e64 v78, 0xff7fffff, v78, s8
	v_max3_f32 v71, v71, v81, v80
	v_cmp_gt_i32_e64 s9, s17, v86
	v_cmp_gt_i32_e64 s10, s17, v87
	v_dual_mul_f32 v95, s18, v106 :: v_dual_mul_f32 v98, s18, v103
	s_delay_alu instid0(VALU_DEP_4) | instskip(NEXT) | instid1(VALU_DEP_4)
	v_max3_f32 v71, v71, v72, v78
	v_cndmask_b32_e64 v68, 0xff7fffff, v68, s9
	s_delay_alu instid0(VALU_DEP_4)
	v_cndmask_b32_e64 v70, 0xff7fffff, v70, s10
	v_cmp_gt_i32_e64 s11, s17, v88
	v_cndmask_b32_e64 v78, 0xff7fffff, v98, s12
	v_cmp_gt_i32_e64 s13, s17, v90
	v_cmp_gt_i32_e64 s15, s17, v91
	v_max3_f32 v68, v71, v68, v70
	v_cndmask_b32_e64 v72, 0xff7fffff, v99, s11
	v_cmp_gt_i32_e64 s16, s17, v76
	v_cndmask_b32_e64 v70, 0xff7fffff, v97, s13
	v_cndmask_b32_e64 v71, 0xff7fffff, v96, s15
	v_cmp_gt_i32_e64 s17, s17, v77
	v_max3_f32 v68, v68, v72, v78
	v_cndmask_b32_e64 v72, 0xff7fffff, v95, s16
	s_delay_alu instid0(VALU_DEP_3) | instskip(NEXT) | instid1(VALU_DEP_3)
	v_cndmask_b32_e64 v76, 0xff7fffff, v94, s17
	v_max3_f32 v68, v68, v70, v71
	s_delay_alu instid0(VALU_DEP_1) | instskip(SKIP_3) | instid1(VALU_DEP_1)
	v_max3_f32 v68, v68, v72, v76
	ds_bpermute_b32 v69, v89, v68
	s_waitcnt lgkmcnt(0)
	v_max_f32_e32 v69, v69, v69
	v_max_f32_e32 v68, v68, v69
	s_delay_alu instid0(VALU_DEP_1) | instskip(NEXT) | instid1(VALU_DEP_1)
	v_fma_f32 v71, s18, v126, -v68
	v_mul_f32_e32 v71, 0x3fb8aa3b, v71
	v_fma_f32 v70, s18, v125, -v68
	v_fma_f32 v69, s18, v124, -v68
	;; [unrolled: 1-line block ×5, first 2 shown]
	s_delay_alu instid0(VALU_DEP_4) | instskip(SKIP_1) | instid1(VALU_DEP_3)
	v_dual_mul_f32 v70, 0x3fb8aa3b, v70 :: v_dual_mul_f32 v69, 0x3fb8aa3b, v69
	v_exp_f32_e32 v71, v71
	v_mul_f32_e32 v72, 0x3fb8aa3b, v72
	v_fma_f32 v81, s18, v105, -v68
	s_delay_alu instid0(VALU_DEP_3)
	v_exp_f32_e32 v70, v70
	v_mul_f32_e32 v77, 0x3fb8aa3b, v76
	v_exp_f32_e32 v69, v69
	v_exp_f32_e32 v72, v72
	v_mul_f32_e32 v81, 0x3fb8aa3b, v81
	v_cndmask_b32_e64 v83, 0, v71, s3
	v_fma_f32 v71, s18, v131, -v68
	s_delay_alu instid0(VALU_DEP_3) | instskip(SKIP_4) | instid1(TRANS32_DEP_3)
	v_exp_f32_e32 v81, v81
	v_cndmask_b32_e32 v76, 0, v70, vcc_lo
	v_exp_f32_e32 v77, v77
	v_cndmask_b32_e64 v80, 0, v69, s2
	v_fma_f32 v69, s18, v129, -v68
	v_cndmask_b32_e64 v85, 0, v72, s4
	v_mul_f32_e32 v71, 0x3fb8aa3b, v71
	v_fma_f32 v72, s18, v100, -v68
	s_delay_alu instid0(VALU_DEP_4) | instskip(SKIP_1) | instid1(VALU_DEP_3)
	v_dual_add_f32 v70, 0, v80 :: v_dual_mul_f32 v69, 0x3fb8aa3b, v69
	s_mov_b32 s2, exec_lo
	v_exp_f32_e32 v71, v71
	s_delay_alu instid0(TRANS32_DEP_2) | instskip(SKIP_4) | instid1(VALU_DEP_3)
	v_cndmask_b32_e64 v86, 0, v77, s5
	v_fma_f32 v77, s18, v101, -v68
	v_mul_f32_e32 v78, 0x3fb8aa3b, v78
	v_add_f32_e32 v70, v70, v76
	v_exp_f32_e32 v69, v69
	v_mul_f32_e32 v77, 0x3fb8aa3b, v77
	s_delay_alu instid0(VALU_DEP_3) | instskip(NEXT) | instid1(TRANS32_DEP_3)
	v_exp_f32_e32 v78, v78
	v_cndmask_b32_e64 v88, 0, v71, s8
	v_fma_f32 v71, s18, v104, -v68
	s_delay_alu instid0(VALU_DEP_3) | instskip(NEXT) | instid1(TRANS32_DEP_3)
	v_exp_f32_e32 v77, v77
	v_cndmask_b32_e64 v87, 0, v69, s6
	s_delay_alu instid0(VALU_DEP_2)
	v_mul_f32_e32 v71, 0x3fb8aa3b, v71
	s_waitcnt_depctr 0xfff
	v_cndmask_b32_e64 v84, 0, v78, s7
	v_add_f32_e32 v70, v70, v83
	v_fma_f32 v78, s18, v103, -v68
	v_exp_f32_e32 v82, v71
	s_delay_alu instid0(VALU_DEP_2) | instskip(SKIP_1) | instid1(VALU_DEP_3)
	v_add_f32_e32 v70, v70, v85
	v_mul_f32_e32 v72, 0x3fb8aa3b, v72
	v_mul_f32_e32 v78, 0x3fb8aa3b, v78
	s_delay_alu instid0(VALU_DEP_3) | instskip(SKIP_1) | instid1(VALU_DEP_4)
	v_add_f32_e32 v69, v70, v86
	v_fma_f32 v70, s18, v102, -v68
	v_exp_f32_e32 v72, v72
	s_delay_alu instid0(VALU_DEP_3) | instskip(NEXT) | instid1(VALU_DEP_1)
	v_exp_f32_e32 v78, v78
	v_dual_add_f32 v69, v69, v87 :: v_dual_mul_f32 v70, 0x3fb8aa3b, v70
	s_delay_alu instid0(VALU_DEP_1) | instskip(NEXT) | instid1(VALU_DEP_2)
	v_add_f32_e32 v69, v69, v84
	v_exp_f32_e32 v79, v70
	s_delay_alu instid0(TRANS32_DEP_3) | instskip(NEXT) | instid1(VALU_DEP_2)
	v_cndmask_b32_e64 v70, 0, v72, s9
	v_add_f32_e32 v72, v69, v88
	v_cndmask_b32_e64 v69, 0, v77, s10
	v_fma_f32 v77, s18, v106, -v68
	s_waitcnt_depctr 0xfff
	v_cndmask_b32_e64 v71, 0, v79, s11
	v_dual_mul_f32 v77, 0x3fb8aa3b, v77 :: v_dual_add_f32 v72, v72, v70
	s_delay_alu instid0(VALU_DEP_1) | instskip(NEXT) | instid1(VALU_DEP_1)
	v_exp_f32_e32 v90, v77
	v_add_f32_e32 v79, v72, v69
	v_cndmask_b32_e64 v72, 0, v78, s12
	v_cndmask_b32_e64 v77, 0, v82, s13
	s_delay_alu instid0(VALU_DEP_3) | instskip(SKIP_1) | instid1(VALU_DEP_1)
	v_add_f32_e32 v78, v79, v71
	v_fma_f32 v79, s18, v107, -v68
	v_dual_add_f32 v82, v78, v72 :: v_dual_mul_f32 v79, 0x3fb8aa3b, v79
	v_cndmask_b32_e64 v78, 0, v81, s15
	s_delay_alu instid0(VALU_DEP_2) | instskip(NEXT) | instid1(VALU_DEP_3)
	v_add_f32_e32 v81, v82, v77
	v_exp_f32_e32 v82, v79
	v_cndmask_b32_e64 v79, 0, v90, s16
	s_delay_alu instid0(VALU_DEP_2) | instskip(NEXT) | instid1(VALU_DEP_1)
	v_add_f32_e32 v81, v81, v78
	v_add_f32_e32 v90, v81, v79
	s_waitcnt_depctr 0xfff
	v_cndmask_b32_e64 v81, 0, v82, s17
	s_delay_alu instid0(VALU_DEP_1)
	v_add_f32_e32 v82, v90, v81
	ds_bpermute_b32 v89, v89, v82
	v_cmpx_gt_u32_e32 16, v67
	s_cbranch_execz .LBB1617_12
; %bb.11:
	v_mul_u32_u24_e32 v67, 0x44, v66
	s_delay_alu instid0(VALU_DEP_1) | instskip(SKIP_1) | instid1(VALU_DEP_1)
	v_lshl_add_u32 v67, v65, 2, v67
	s_waitcnt lgkmcnt(0)
	v_dual_add_f32 v82, v82, v89 :: v_dual_add_nc_u32 v67, 0x4000, v67
	ds_store_2addr_b32 v67, v68, v82 offset1:136
.LBB1617_12:
	s_or_b32 exec_lo, exec_lo, s2
	v_lshlrev_b32_e32 v67, 2, v65
	s_waitcnt lgkmcnt(0)
	s_barrier
	buffer_gl0_inv
	v_cmp_eq_u32_e32 vcc_lo, 1, v66
	v_add_nc_u32_e32 v82, 0x4000, v67
	v_cmp_eq_u32_e64 s2, 2, v66
	v_cmp_eq_u32_e64 s4, 7, v66
	ds_load_2addr_b32 v[89:90], v82 offset1:17
	ds_load_2addr_b32 v[91:92], v82 offset0:34 offset1:51
	ds_load_2addr_b32 v[93:94], v82 offset0:68 offset1:85
	;; [unrolled: 1-line block ×4, first 2 shown]
	s_waitcnt lgkmcnt(4)
	v_max3_f32 v67, v89, 0xff7fffff, v90
	s_waitcnt lgkmcnt(3)
	s_delay_alu instid0(VALU_DEP_1) | instskip(SKIP_1) | instid1(VALU_DEP_1)
	v_max3_f32 v67, v67, v91, v92
	s_waitcnt lgkmcnt(2)
	v_max3_f32 v67, v67, v93, v94
	s_waitcnt lgkmcnt(1)
	s_delay_alu instid0(VALU_DEP_1) | instskip(NEXT) | instid1(VALU_DEP_1)
	v_max3_f32 v67, v67, v95, v96
	v_sub_f32_e32 v93, v93, v67
	s_delay_alu instid0(VALU_DEP_1) | instskip(NEXT) | instid1(VALU_DEP_1)
	v_dual_sub_f32 v68, v89, v67 :: v_dual_mul_f32 v103, 0x3fb8aa3b, v93
	v_mul_f32_e32 v68, 0x3fb8aa3b, v68
	s_delay_alu instid0(VALU_DEP_1)
	v_exp_f32_e32 v100, v68
	v_sub_f32_e32 v68, v92, v67
	v_sub_f32_e32 v99, v90, v67
	ds_load_2addr_b32 v[89:90], v82 offset0:170 offset1:187
	v_dual_mul_f32 v102, 0x3fb8aa3b, v68 :: v_dual_mul_f32 v99, 0x3fb8aa3b, v99
	s_waitcnt lgkmcnt(1)
	v_fma_f32 v68, v100, v97, 0
	s_delay_alu instid0(VALU_DEP_2) | instskip(NEXT) | instid1(VALU_DEP_2)
	v_exp_f32_e32 v102, v102
	v_exp_f32_e32 v99, v99
	s_waitcnt_depctr 0xfff
	v_fmac_f32_e32 v68, v99, v98
	v_sub_f32_e32 v91, v91, v67
	s_delay_alu instid0(VALU_DEP_1)
	v_mul_f32_e32 v101, 0x3fb8aa3b, v91
	ds_load_2addr_b32 v[91:92], v82 offset0:204 offset1:221
	v_sub_f32_e32 v97, v94, v67
	ds_load_2addr_b32 v[93:94], v82 offset0:238 offset1:255
	s_waitcnt lgkmcnt(0)
	v_exp_f32_e32 v101, v101
	s_barrier
	buffer_gl0_inv
	v_dual_fmac_f32 v68, v101, v89 :: v_dual_sub_f32 v89, v96, v67
	v_dual_sub_f32 v82, v95, v67 :: v_dual_mul_f32 v95, 0x3fb8aa3b, v97
	v_exp_f32_e32 v97, v103
	s_delay_alu instid0(VALU_DEP_2) | instskip(NEXT) | instid1(VALU_DEP_2)
	v_dual_fmac_f32 v68, v102, v90 :: v_dual_mul_f32 v89, 0x3fb8aa3b, v89
	v_mul_f32_e32 v82, 0x3fb8aa3b, v82
	s_delay_alu instid0(VALU_DEP_3) | instskip(NEXT) | instid1(VALU_DEP_2)
	v_exp_f32_e32 v95, v95
	v_exp_f32_e32 v89, v89
	s_delay_alu instid0(VALU_DEP_1)
	v_exp_f32_e32 v82, v82
	v_fmac_f32_e32 v68, v97, v91
	s_delay_alu instid0(TRANS32_DEP_3) | instid1(VALU_DEP_1)
	v_fmac_f32_e32 v68, v95, v92
	s_waitcnt_depctr 0xfff
	v_fmac_f32_e32 v68, v82, v93
	s_delay_alu instid0(VALU_DEP_1) | instskip(NEXT) | instid1(VALU_DEP_1)
	v_fmac_f32_e32 v68, v89, v94
	v_add_f32_e32 v90, 0x358637bd, v68
	s_delay_alu instid0(VALU_DEP_1) | instskip(NEXT) | instid1(VALU_DEP_1)
	v_div_scale_f32 v91, null, v90, v90, 1.0
	v_rcp_f32_e32 v92, v91
	s_waitcnt_depctr 0xfff
	v_fma_f32 v93, -v91, v92, 1.0
	s_delay_alu instid0(VALU_DEP_1) | instskip(SKIP_1) | instid1(VALU_DEP_2)
	v_dual_fmac_f32 v92, v93, v92 :: v_dual_cndmask_b32 v93, v100, v99
	v_cmp_eq_u32_e32 vcc_lo, 3, v66
	v_cndmask_b32_e64 v93, v93, v101, s2
	v_cmp_eq_u32_e64 s2, 4, v66
	s_delay_alu instid0(VALU_DEP_2) | instskip(SKIP_1) | instid1(VALU_DEP_2)
	v_cndmask_b32_e32 v93, v93, v102, vcc_lo
	v_cmp_eq_u32_e32 vcc_lo, 5, v66
	v_cndmask_b32_e64 v93, v93, v97, s2
	v_cmp_eq_u32_e64 s2, 6, v66
	s_delay_alu instid0(VALU_DEP_2) | instskip(SKIP_1) | instid1(VALU_DEP_1)
	v_cndmask_b32_e32 v93, v93, v95, vcc_lo
	v_div_scale_f32 v94, s3, 1.0, v90, 1.0
	s_mov_b32 vcc_lo, s3
	s_delay_alu instid0(VALU_DEP_2) | instskip(NEXT) | instid1(VALU_DEP_2)
	v_cndmask_b32_e64 v82, v93, v82, s2
	v_mul_f32_e32 v96, v94, v92
	s_mov_b32 s2, exec_lo
	s_delay_alu instid0(VALU_DEP_2) | instskip(NEXT) | instid1(VALU_DEP_2)
	v_cndmask_b32_e64 v82, v82, v89, s4
	v_fma_f32 v98, -v91, v96, v94
	s_delay_alu instid0(VALU_DEP_1) | instskip(NEXT) | instid1(VALU_DEP_1)
	v_fmac_f32_e32 v96, v98, v92
	v_fma_f32 v91, -v91, v96, v94
	s_delay_alu instid0(VALU_DEP_1) | instskip(NEXT) | instid1(VALU_DEP_1)
	v_div_fmas_f32 v91, v91, v92, v96
	v_div_fixup_f32 v90, v91, v90, 1.0
	s_delay_alu instid0(VALU_DEP_1) | instskip(NEXT) | instid1(VALU_DEP_1)
	v_mul_f32_e32 v82, v82, v90
	v_mul_f32_e32 v87, v82, v87
	;; [unrolled: 1-line block ×7, first 2 shown]
	v_dual_mul_f32 v86, v82, v83 :: v_dual_and_b32 v91, 0x7f800000, v90
	v_mul_f32_e32 v85, v82, v76
                                        ; implicit-def: $vgpr76
	s_delay_alu instid0(VALU_DEP_2)
	v_cmpx_ne_u32_e32 0x7f800000, v91
	s_xor_b32 s2, exec_lo, s2
; %bb.13:
	v_bfe_u32 v76, v90, 16, 1
	s_delay_alu instid0(VALU_DEP_1)
	v_add3_u32 v76, v90, v76, 0x7fff
                                        ; implicit-def: $vgpr90
; %bb.14:
	s_and_not1_saveexec_b32 s2, s2
; %bb.15:
	v_and_b32_e32 v76, 0xffff, v90
	v_or_b32_e32 v83, 0x10000, v90
	s_delay_alu instid0(VALU_DEP_2) | instskip(NEXT) | instid1(VALU_DEP_2)
	v_cmp_eq_u32_e32 vcc_lo, 0, v76
	v_cndmask_b32_e32 v76, v83, v90, vcc_lo
; %bb.16:
	s_or_b32 exec_lo, exec_lo, s2
	v_and_b32_e32 v83, 0x7f800000, v85
	s_delay_alu instid0(VALU_DEP_1) | instskip(SKIP_1) | instid1(SALU_CYCLE_1)
	v_cmp_ne_u32_e32 vcc_lo, 0x7f800000, v83
                                        ; implicit-def: $vgpr83
	s_and_saveexec_b32 s2, vcc_lo
	s_xor_b32 s2, exec_lo, s2
; %bb.17:
	v_bfe_u32 v83, v85, 16, 1
	s_delay_alu instid0(VALU_DEP_1)
	v_add3_u32 v83, v85, v83, 0x7fff
                                        ; implicit-def: $vgpr85
; %bb.18:
	s_and_not1_saveexec_b32 s2, s2
; %bb.19:
	v_and_b32_e32 v83, 0xffff, v85
	v_or_b32_e32 v90, 0x10000, v85
	s_delay_alu instid0(VALU_DEP_2) | instskip(NEXT) | instid1(VALU_DEP_2)
	v_cmp_eq_u32_e32 vcc_lo, 0, v83
	v_cndmask_b32_e32 v83, v90, v85, vcc_lo
; %bb.20:
	s_or_b32 exec_lo, exec_lo, s2
	v_and_b32_e32 v85, 0x7f800000, v86
	s_delay_alu instid0(VALU_DEP_1) | instskip(SKIP_1) | instid1(SALU_CYCLE_1)
	v_cmp_ne_u32_e32 vcc_lo, 0x7f800000, v85
                                        ; implicit-def: $vgpr85
	s_and_saveexec_b32 s2, vcc_lo
	s_xor_b32 s2, exec_lo, s2
; %bb.21:
	v_bfe_u32 v85, v86, 16, 1
	s_delay_alu instid0(VALU_DEP_1)
	v_add3_u32 v85, v86, v85, 0x7fff
                                        ; implicit-def: $vgpr86
; %bb.22:
	s_and_not1_saveexec_b32 s2, s2
; %bb.23:
	v_and_b32_e32 v85, 0xffff, v86
	v_or_b32_e32 v90, 0x10000, v86
	s_delay_alu instid0(VALU_DEP_2) | instskip(NEXT) | instid1(VALU_DEP_2)
	v_cmp_eq_u32_e32 vcc_lo, 0, v85
	v_cndmask_b32_e32 v85, v90, v86, vcc_lo
; %bb.24:
	s_or_b32 exec_lo, exec_lo, s2
	v_and_b32_e32 v86, 0x7f800000, v89
	s_delay_alu instid0(VALU_DEP_1) | instskip(SKIP_1) | instid1(SALU_CYCLE_1)
	v_cmp_ne_u32_e32 vcc_lo, 0x7f800000, v86
                                        ; implicit-def: $vgpr86
	s_and_saveexec_b32 s2, vcc_lo
	s_xor_b32 s2, exec_lo, s2
; %bb.25:
	v_bfe_u32 v86, v89, 16, 1
	s_delay_alu instid0(VALU_DEP_1)
	v_add3_u32 v86, v89, v86, 0x7fff
                                        ; implicit-def: $vgpr89
; %bb.26:
	s_and_not1_saveexec_b32 s2, s2
; %bb.27:
	v_and_b32_e32 v86, 0xffff, v89
	v_or_b32_e32 v90, 0x10000, v89
	s_delay_alu instid0(VALU_DEP_2) | instskip(NEXT) | instid1(VALU_DEP_2)
	v_cmp_eq_u32_e32 vcc_lo, 0, v86
	v_cndmask_b32_e32 v86, v90, v89, vcc_lo
; %bb.28:
	s_or_b32 exec_lo, exec_lo, s2
	v_and_b32_e32 v89, 0x7f800000, v88
	s_delay_alu instid0(VALU_DEP_1) | instskip(SKIP_1) | instid1(SALU_CYCLE_1)
	v_cmp_ne_u32_e32 vcc_lo, 0x7f800000, v89
                                        ; implicit-def: $vgpr89
	s_and_saveexec_b32 s2, vcc_lo
	s_xor_b32 s2, exec_lo, s2
; %bb.29:
	v_bfe_u32 v89, v88, 16, 1
	s_delay_alu instid0(VALU_DEP_1)
	v_add3_u32 v89, v88, v89, 0x7fff
                                        ; implicit-def: $vgpr88
; %bb.30:
	s_and_not1_saveexec_b32 s2, s2
; %bb.31:
	v_and_b32_e32 v89, 0xffff, v88
	v_or_b32_e32 v90, 0x10000, v88
	s_delay_alu instid0(VALU_DEP_2) | instskip(NEXT) | instid1(VALU_DEP_2)
	v_cmp_eq_u32_e32 vcc_lo, 0, v89
	v_cndmask_b32_e32 v89, v90, v88, vcc_lo
; %bb.32:
	s_or_b32 exec_lo, exec_lo, s2
	v_and_b32_e32 v88, 0x7f800000, v87
	s_delay_alu instid0(VALU_DEP_1) | instskip(SKIP_1) | instid1(SALU_CYCLE_1)
	v_cmp_ne_u32_e32 vcc_lo, 0x7f800000, v88
                                        ; implicit-def: $vgpr88
	s_and_saveexec_b32 s2, vcc_lo
	s_xor_b32 s2, exec_lo, s2
; %bb.33:
	v_bfe_u32 v88, v87, 16, 1
	s_delay_alu instid0(VALU_DEP_1)
	v_add3_u32 v88, v87, v88, 0x7fff
                                        ; implicit-def: $vgpr87
; %bb.34:
	s_and_not1_saveexec_b32 s2, s2
; %bb.35:
	v_and_b32_e32 v88, 0xffff, v87
	v_or_b32_e32 v90, 0x10000, v87
	s_delay_alu instid0(VALU_DEP_2) | instskip(NEXT) | instid1(VALU_DEP_2)
	v_cmp_eq_u32_e32 vcc_lo, 0, v88
	v_cndmask_b32_e32 v88, v90, v87, vcc_lo
; %bb.36:
	s_or_b32 exec_lo, exec_lo, s2
	v_and_b32_e32 v87, 0x7f800000, v84
	s_delay_alu instid0(VALU_DEP_1) | instskip(SKIP_1) | instid1(SALU_CYCLE_1)
	v_cmp_ne_u32_e32 vcc_lo, 0x7f800000, v87
                                        ; implicit-def: $vgpr87
	s_and_saveexec_b32 s2, vcc_lo
	s_xor_b32 s2, exec_lo, s2
; %bb.37:
	v_bfe_u32 v87, v84, 16, 1
	s_delay_alu instid0(VALU_DEP_1)
	v_add3_u32 v87, v84, v87, 0x7fff
                                        ; implicit-def: $vgpr84
; %bb.38:
	s_and_not1_saveexec_b32 s2, s2
; %bb.39:
	v_and_b32_e32 v87, 0xffff, v84
	v_or_b32_e32 v90, 0x10000, v84
	s_delay_alu instid0(VALU_DEP_2) | instskip(NEXT) | instid1(VALU_DEP_2)
	v_cmp_eq_u32_e32 vcc_lo, 0, v87
	v_cndmask_b32_e32 v87, v90, v84, vcc_lo
; %bb.40:
	s_or_b32 exec_lo, exec_lo, s2
	v_and_b32_e32 v84, 0x7f800000, v80
	s_delay_alu instid0(VALU_DEP_1) | instskip(SKIP_1) | instid1(SALU_CYCLE_1)
	v_cmp_ne_u32_e32 vcc_lo, 0x7f800000, v84
                                        ; implicit-def: $vgpr84
	s_and_saveexec_b32 s2, vcc_lo
	s_xor_b32 s2, exec_lo, s2
; %bb.41:
	v_bfe_u32 v84, v80, 16, 1
	s_delay_alu instid0(VALU_DEP_1)
	v_add3_u32 v84, v80, v84, 0x7fff
                                        ; implicit-def: $vgpr80
; %bb.42:
	s_and_not1_saveexec_b32 s2, s2
; %bb.43:
	v_and_b32_e32 v84, 0xffff, v80
	v_or_b32_e32 v90, 0x10000, v80
	s_delay_alu instid0(VALU_DEP_2) | instskip(NEXT) | instid1(VALU_DEP_2)
	v_cmp_eq_u32_e32 vcc_lo, 0, v84
	v_cndmask_b32_e32 v84, v90, v80, vcc_lo
; %bb.44:
	s_or_b32 exec_lo, exec_lo, s2
	s_load_b64 s[34:35], s[0:1], 0x94
	v_lshlrev_b32_e32 v91, 4, v74
	s_delay_alu instid0(VALU_DEP_2)
	v_perm_b32 v90, v84, v87, 0x7060302
	v_dual_mul_f32 v79, v82, v79 :: v_dual_lshlrev_b32 v80, 6, v65
	v_dual_mul_f32 v77, v82, v77 :: v_dual_lshlrev_b32 v92, 11, v66
	v_mul_f32_e32 v84, v82, v70
	v_perm_b32 v89, v88, v89, 0x7060302
	v_perm_b32 v88, v86, v85, 0x7060302
	;; [unrolled: 1-line block ×3, first 2 shown]
	v_mul_f32_e32 v70, v82, v81
	v_or3_b32 v76, v91, v92, v80
	v_dual_mul_f32 v78, v82, v78 :: v_dual_and_b32 v85, 0x7f800000, v84
	v_mul_f32_e32 v83, v82, v72
	v_mul_f32_e32 v81, v82, v71
	;; [unrolled: 1-line block ×3, first 2 shown]
	s_mov_b32 s2, exec_lo
	ds_store_b128 v76, v[87:90]
                                        ; implicit-def: $vgpr69
	v_cmpx_ne_u32_e32 0x7f800000, v85
	s_xor_b32 s2, exec_lo, s2
; %bb.45:
	v_bfe_u32 v69, v84, 16, 1
	s_delay_alu instid0(VALU_DEP_1)
	v_add3_u32 v69, v84, v69, 0x7fff
                                        ; implicit-def: $vgpr84
; %bb.46:
	s_and_not1_saveexec_b32 s2, s2
; %bb.47:
	v_and_b32_e32 v69, 0xffff, v84
	v_or_b32_e32 v71, 0x10000, v84
	s_delay_alu instid0(VALU_DEP_2) | instskip(NEXT) | instid1(VALU_DEP_2)
	v_cmp_eq_u32_e32 vcc_lo, 0, v69
	v_cndmask_b32_e32 v69, v71, v84, vcc_lo
; %bb.48:
	s_or_b32 exec_lo, exec_lo, s2
	v_and_b32_e32 v71, 0x7f800000, v72
	s_delay_alu instid0(VALU_DEP_1) | instskip(SKIP_1) | instid1(SALU_CYCLE_1)
	v_cmp_ne_u32_e32 vcc_lo, 0x7f800000, v71
                                        ; implicit-def: $vgpr71
	s_and_saveexec_b32 s2, vcc_lo
	s_xor_b32 s2, exec_lo, s2
; %bb.49:
	v_bfe_u32 v71, v72, 16, 1
	s_delay_alu instid0(VALU_DEP_1)
	v_add3_u32 v71, v72, v71, 0x7fff
                                        ; implicit-def: $vgpr72
; %bb.50:
	s_and_not1_saveexec_b32 s2, s2
; %bb.51:
	v_and_b32_e32 v71, 0xffff, v72
	v_or_b32_e32 v82, 0x10000, v72
	s_delay_alu instid0(VALU_DEP_2) | instskip(NEXT) | instid1(VALU_DEP_2)
	v_cmp_eq_u32_e32 vcc_lo, 0, v71
	v_cndmask_b32_e32 v71, v82, v72, vcc_lo
; %bb.52:
	s_or_b32 exec_lo, exec_lo, s2
	v_and_b32_e32 v72, 0x7f800000, v81
	s_delay_alu instid0(VALU_DEP_1) | instskip(SKIP_1) | instid1(SALU_CYCLE_1)
	v_cmp_ne_u32_e32 vcc_lo, 0x7f800000, v72
                                        ; implicit-def: $vgpr72
	s_and_saveexec_b32 s2, vcc_lo
	s_xor_b32 s2, exec_lo, s2
; %bb.53:
	v_bfe_u32 v72, v81, 16, 1
	s_delay_alu instid0(VALU_DEP_1)
	v_add3_u32 v72, v81, v72, 0x7fff
                                        ; implicit-def: $vgpr81
; %bb.54:
	s_and_not1_saveexec_b32 s2, s2
; %bb.55:
	v_and_b32_e32 v72, 0xffff, v81
	v_or_b32_e32 v82, 0x10000, v81
	s_delay_alu instid0(VALU_DEP_2) | instskip(NEXT) | instid1(VALU_DEP_2)
	v_cmp_eq_u32_e32 vcc_lo, 0, v72
	v_cndmask_b32_e32 v72, v82, v81, vcc_lo
; %bb.56:
	s_or_b32 exec_lo, exec_lo, s2
	v_and_b32_e32 v81, 0x7f800000, v83
	s_delay_alu instid0(VALU_DEP_1) | instskip(SKIP_1) | instid1(SALU_CYCLE_1)
	v_cmp_ne_u32_e32 vcc_lo, 0x7f800000, v81
                                        ; implicit-def: $vgpr81
	s_and_saveexec_b32 s2, vcc_lo
	s_xor_b32 s2, exec_lo, s2
; %bb.57:
	v_bfe_u32 v81, v83, 16, 1
	s_delay_alu instid0(VALU_DEP_1)
	v_add3_u32 v81, v83, v81, 0x7fff
                                        ; implicit-def: $vgpr83
; %bb.58:
	s_and_not1_saveexec_b32 s2, s2
; %bb.59:
	v_and_b32_e32 v81, 0xffff, v83
	v_or_b32_e32 v82, 0x10000, v83
	s_delay_alu instid0(VALU_DEP_2) | instskip(NEXT) | instid1(VALU_DEP_2)
	v_cmp_eq_u32_e32 vcc_lo, 0, v81
	v_cndmask_b32_e32 v81, v82, v83, vcc_lo
; %bb.60:
	s_or_b32 exec_lo, exec_lo, s2
	v_and_b32_e32 v82, 0x7f800000, v77
	s_delay_alu instid0(VALU_DEP_1) | instskip(SKIP_1) | instid1(SALU_CYCLE_1)
	v_cmp_ne_u32_e32 vcc_lo, 0x7f800000, v82
                                        ; implicit-def: $vgpr82
	s_and_saveexec_b32 s2, vcc_lo
	s_xor_b32 s2, exec_lo, s2
; %bb.61:
	v_bfe_u32 v82, v77, 16, 1
	s_delay_alu instid0(VALU_DEP_1)
	v_add3_u32 v82, v77, v82, 0x7fff
                                        ; implicit-def: $vgpr77
; %bb.62:
	s_and_not1_saveexec_b32 s2, s2
; %bb.63:
	v_and_b32_e32 v82, 0xffff, v77
	v_or_b32_e32 v83, 0x10000, v77
	s_delay_alu instid0(VALU_DEP_2) | instskip(NEXT) | instid1(VALU_DEP_2)
	v_cmp_eq_u32_e32 vcc_lo, 0, v82
	v_cndmask_b32_e32 v82, v83, v77, vcc_lo
; %bb.64:
	s_or_b32 exec_lo, exec_lo, s2
	v_and_b32_e32 v77, 0x7f800000, v78
	s_delay_alu instid0(VALU_DEP_1) | instskip(SKIP_1) | instid1(SALU_CYCLE_1)
	v_cmp_ne_u32_e32 vcc_lo, 0x7f800000, v77
                                        ; implicit-def: $vgpr77
	s_and_saveexec_b32 s2, vcc_lo
	s_xor_b32 s2, exec_lo, s2
; %bb.65:
	v_bfe_u32 v77, v78, 16, 1
	s_delay_alu instid0(VALU_DEP_1)
	v_add3_u32 v77, v78, v77, 0x7fff
                                        ; implicit-def: $vgpr78
; %bb.66:
	s_and_not1_saveexec_b32 s2, s2
; %bb.67:
	v_and_b32_e32 v77, 0xffff, v78
	v_or_b32_e32 v83, 0x10000, v78
	s_delay_alu instid0(VALU_DEP_2) | instskip(NEXT) | instid1(VALU_DEP_2)
	v_cmp_eq_u32_e32 vcc_lo, 0, v77
	v_cndmask_b32_e32 v77, v83, v78, vcc_lo
; %bb.68:
	s_or_b32 exec_lo, exec_lo, s2
	v_and_b32_e32 v78, 0x7f800000, v79
	s_delay_alu instid0(VALU_DEP_1) | instskip(SKIP_1) | instid1(SALU_CYCLE_1)
	v_cmp_ne_u32_e32 vcc_lo, 0x7f800000, v78
                                        ; implicit-def: $vgpr78
	s_and_saveexec_b32 s2, vcc_lo
	s_xor_b32 s2, exec_lo, s2
; %bb.69:
	v_bfe_u32 v78, v79, 16, 1
	s_delay_alu instid0(VALU_DEP_1)
	v_add3_u32 v78, v79, v78, 0x7fff
                                        ; implicit-def: $vgpr79
; %bb.70:
	s_and_not1_saveexec_b32 s2, s2
; %bb.71:
	v_and_b32_e32 v78, 0xffff, v79
	v_or_b32_e32 v83, 0x10000, v79
	s_delay_alu instid0(VALU_DEP_2) | instskip(NEXT) | instid1(VALU_DEP_2)
	v_cmp_eq_u32_e32 vcc_lo, 0, v78
	v_cndmask_b32_e32 v78, v83, v79, vcc_lo
; %bb.72:
	s_or_b32 exec_lo, exec_lo, s2
	v_and_b32_e32 v79, 0x7f800000, v70
	s_delay_alu instid0(VALU_DEP_1) | instskip(SKIP_1) | instid1(SALU_CYCLE_1)
	v_cmp_ne_u32_e32 vcc_lo, 0x7f800000, v79
                                        ; implicit-def: $vgpr79
	s_and_saveexec_b32 s2, vcc_lo
	s_xor_b32 s2, exec_lo, s2
; %bb.73:
	v_bfe_u32 v79, v70, 16, 1
	s_delay_alu instid0(VALU_DEP_1)
	v_add3_u32 v79, v70, v79, 0x7fff
                                        ; implicit-def: $vgpr70
; %bb.74:
	s_and_not1_saveexec_b32 s2, s2
; %bb.75:
	v_and_b32_e32 v79, 0xffff, v70
	v_or_b32_e32 v83, 0x10000, v70
	s_delay_alu instid0(VALU_DEP_2) | instskip(NEXT) | instid1(VALU_DEP_2)
	v_cmp_eq_u32_e32 vcc_lo, 0, v79
	v_cndmask_b32_e32 v79, v83, v70, vcc_lo
; %bb.76:
	s_or_b32 exec_lo, exec_lo, s2
	s_delay_alu instid0(VALU_DEP_1)
	v_perm_b32 v86, v79, v78, 0x7060302
	v_perm_b32 v85, v77, v82, 0x7060302
	;; [unrolled: 1-line block ×4, first 2 shown]
	v_lshl_or_b32 v82, v66, 11, v80
	ds_store_b128 v76, v[83:86] offset:1024
	s_waitcnt lgkmcnt(0)
	s_barrier
	buffer_gl0_inv
	ds_load_b128 v[69:72], v82
	ds_load_b128 v[83:86], v82 offset:16
	s_waitcnt lgkmcnt(1)
	v_lshrrev_b32_e32 v66, 16, v69
	s_waitcnt lgkmcnt(0)
	v_lshrrev_b32_e32 v91, 16, v83
	v_lshlrev_b32_e32 v78, 2, v74
	v_lshrrev_b32_e32 v95, 16, v70
	v_lshrrev_b32_e32 v98, 16, v84
	;; [unrolled: 1-line block ×4, first 2 shown]
	v_cmp_eq_u32_e32 vcc_lo, 1, v78
	v_lshrrev_b32_e32 v97, 16, v72
	v_lshrrev_b32_e32 v100, 16, v86
	v_cndmask_b32_e32 v87, v83, v91, vcc_lo
	v_or_b32_e32 v79, 1, v78
	v_cndmask_b32_e32 v81, v69, v66, vcc_lo
	v_cmp_eq_u32_e64 s3, 2, v78
	v_cmp_eq_u32_e64 s6, 3, v78
	;; [unrolled: 1-line block ×5, first 2 shown]
	v_cndmask_b32_e64 v81, v81, v70, s3
	v_cndmask_b32_e64 v87, v87, v84, s3
	v_cmp_eq_u32_e64 s7, 3, v79
	v_cndmask_b32_e64 v88, v69, v66, s2
	v_or_b32_e32 v77, 2, v78
	v_cndmask_b32_e64 v81, v81, v95, s6
	v_cndmask_b32_e64 v87, v87, v98, s6
	;; [unrolled: 1-line block ×4, first 2 shown]
	v_cmp_eq_u32_e64 s9, 5, v78
	v_cndmask_b32_e64 v81, v81, v71, s8
	v_cndmask_b32_e64 v87, v87, v85, s8
	v_cmp_eq_u32_e64 s10, 4, v79
	v_cndmask_b32_e64 v88, v88, v95, s7
	v_cmp_eq_u32_e64 s4, 1, v77
	v_cndmask_b32_e64 v89, v89, v84, s5
	v_cndmask_b32_e64 v81, v81, v96, s9
	v_cmp_eq_u32_e64 s11, 6, v78
	v_cndmask_b32_e64 v88, v88, v71, s10
	;; [unrolled: 3-line block ×3, first 2 shown]
	v_cndmask_b32_e64 v89, v89, v98, s7
	v_cndmask_b32_e64 v81, v81, v72, s11
	v_cmp_eq_u32_e64 s13, 7, v78
	v_cndmask_b32_e64 v88, v88, v96, s12
	v_cndmask_b32_e64 v87, v87, v86, s11
	v_cmp_eq_u32_e64 s15, 6, v79
	v_cmp_eq_u32_e64 s16, 2, v77
	v_cndmask_b32_e64 v89, v89, v85, s10
	v_cndmask_b32_e64 v101, v81, v97, s13
	v_cndmask_b32_e64 v102, v87, v100, s13
	v_cndmask_b32_e64 v88, v88, v72, s15
	v_cndmask_b32_e64 v81, v90, v70, s16
	v_cndmask_b32_e64 v87, v83, v91, s4
	v_cmp_eq_u32_e64 s17, 7, v79
	v_cmp_eq_u32_e64 s18, 3, v77
	;; [unrolled: 1-line block ×4, first 2 shown]
	v_cndmask_b32_e64 v87, v87, v84, s16
	v_cndmask_b32_e64 v103, v88, v97, s17
	v_cndmask_b32_e64 v88, v89, v99, s12
	v_cndmask_b32_e64 v89, v81, v95, s18
	v_or_b32_e32 v81, 3, v78
	v_cndmask_b32_e64 v93, v87, v98, s18
	v_cmp_eq_u32_e64 s23, 6, v77
	v_cndmask_b32_e64 v104, v88, v86, s15
	v_cndmask_b32_e64 v92, v89, v71, s19
	v_cmp_eq_u32_e64 s20, 1, v81
	ds_load_b128 v[87:90], v82 offset:1024
	v_cmp_eq_u32_e64 s22, 2, v81
	v_cmp_eq_u32_e64 s24, 3, v81
	v_cndmask_b32_e64 v105, v92, v96, s21
	v_cndmask_b32_e64 v66, v69, v66, s20
	;; [unrolled: 1-line block ×4, first 2 shown]
	ds_load_b128 v[91:94], v82 offset:1040
	v_cmp_eq_u32_e64 s25, 4, v81
	v_cndmask_b32_e64 v66, v66, v70, s22
	v_cmp_eq_u32_e64 s26, 7, v77
	v_cndmask_b32_e64 v70, v83, v84, s22
	v_cndmask_b32_e64 v84, v105, v72, s23
	v_cmp_eq_u32_e64 s27, 5, v81
	v_cndmask_b32_e64 v66, v66, v95, s24
	v_cmp_eq_u32_e64 s28, 6, v81
	v_cndmask_b32_e64 v70, v70, v98, s24
	v_cndmask_b32_e64 v69, v69, v99, s21
	;; [unrolled: 1-line block ×4, first 2 shown]
	s_waitcnt lgkmcnt(1)
	v_lshrrev_b32_e32 v95, 16, v87
	v_cndmask_b32_e64 v70, v70, v85, s25
	v_cndmask_b32_e64 v71, v84, v97, s26
	;; [unrolled: 1-line block ×4, first 2 shown]
	v_cndmask_b32_e32 v84, v87, v95, vcc_lo
	v_cndmask_b32_e64 v70, v70, v99, s27
	s_waitcnt lgkmcnt(0)
	v_lshrrev_b32_e32 v85, 16, v91
	v_lshrrev_b32_e32 v96, 16, v88
	v_cndmask_b32_e64 v98, v87, v95, s2
	v_cndmask_b32_e64 v84, v84, v88, s3
	;; [unrolled: 1-line block ×3, first 2 shown]
	v_cndmask_b32_e32 v99, v91, v85, vcc_lo
	v_cmp_eq_u32_e32 vcc_lo, 7, v81
	v_cndmask_b32_e64 v66, v66, v72, s28
	v_cndmask_b32_e64 v72, v84, v96, s6
	;; [unrolled: 1-line block ×3, first 2 shown]
	v_lshrrev_b32_e32 v98, 16, v92
	v_cndmask_b32_e32 v70, v70, v100, vcc_lo
	v_cndmask_b32_e64 v86, v99, v92, s3
	v_cndmask_b32_e64 v69, v69, v100, s26
	v_lshrrev_b32_e32 v100, 16, v93
	v_cndmask_b32_e64 v72, v72, v89, s8
	v_lshrrev_b32_e32 v99, 16, v89
	v_cndmask_b32_e64 v86, v86, v98, s6
	v_perm_b32 v71, v69, v71, 0x5040100
	v_cndmask_b32_e64 v84, v84, v96, s7
	s_delay_alu instid0(VALU_DEP_3) | instskip(NEXT) | instid1(VALU_DEP_2)
	v_cndmask_b32_e64 v86, v86, v93, s8
	v_cndmask_b32_e64 v84, v84, v89, s10
	s_delay_alu instid0(VALU_DEP_2) | instskip(NEXT) | instid1(VALU_DEP_1)
	v_cndmask_b32_e64 v86, v86, v100, s9
	v_cndmask_b32_e64 v69, v86, v94, s11
	;; [unrolled: 1-line block ×5, first 2 shown]
	s_delay_alu instid0(VALU_DEP_3) | instskip(NEXT) | instid1(VALU_DEP_3)
	v_cndmask_b32_e64 v86, v86, v88, s16
	v_cndmask_b32_e64 v87, v87, v88, s22
	s_delay_alu instid0(VALU_DEP_3) | instskip(NEXT) | instid1(VALU_DEP_3)
	v_cndmask_b32_e64 v88, v95, v92, s22
	v_cndmask_b32_e64 v86, v86, v96, s18
	;; [unrolled: 3-line block ×7, first 2 shown]
	s_delay_alu instid0(VALU_DEP_3) | instskip(SKIP_2) | instid1(VALU_DEP_2)
	v_cndmask_b32_e64 v88, v88, v94, s28
	v_cndmask_b32_e32 v66, v66, v97, vcc_lo
	v_cndmask_b32_e64 v97, v72, v99, s9
	v_perm_b32 v72, v70, v66, 0x5040100
	v_perm_b32 v70, v83, v103, 0x5040100
	v_cndmask_b32_e64 v103, v91, v85, s4
	v_cndmask_b32_e64 v85, v91, v85, s2
	;; [unrolled: 1-line block ×4, first 2 shown]
	v_lshrrev_b32_e32 v97, 16, v90
	v_cndmask_b32_e64 v91, v103, v92, s16
	v_cndmask_b32_e64 v85, v85, v92, s5
	v_cndmask_b32_e64 v66, v66, v90, s15
	s_mov_b32 s2, exec_lo
	v_cndmask_b32_e64 v83, v84, v97, s13
	v_cndmask_b32_e64 v91, v91, v98, s18
	;; [unrolled: 1-line block ×3, first 2 shown]
	v_lshrrev_b32_e32 v84, 16, v94
	v_cndmask_b32_e64 v66, v66, v97, s17
	v_cndmask_b32_e64 v90, v86, v97, s26
	;; [unrolled: 1-line block ×4, first 2 shown]
	v_dual_cndmask_b32 v86, v87, v97 :: v_dual_cndmask_b32 v87, v88, v84
	v_cndmask_b32_e64 v91, v69, v84, s13
	s_delay_alu instid0(VALU_DEP_4) | instskip(NEXT) | instid1(VALU_DEP_4)
	v_cndmask_b32_e64 v89, v89, v100, s21
	v_cndmask_b32_e64 v85, v85, v100, s12
	v_perm_b32 v69, v102, v101, 0x5040100
	v_perm_b32 v86, v87, v86, 0x5040100
	;; [unrolled: 1-line block ×3, first 2 shown]
	v_cndmask_b32_e64 v89, v89, v94, s23
	v_cndmask_b32_e64 v85, v85, v94, s15
	s_mul_i32 s7, s35, 12
	s_delay_alu instid0(VALU_DEP_2) | instskip(NEXT) | instid1(VALU_DEP_2)
	v_cndmask_b32_e64 v88, v89, v84, s26
	v_cndmask_b32_e64 v89, v85, v84, s17
	s_delay_alu instid0(VALU_DEP_2) | instskip(NEXT) | instid1(VALU_DEP_2)
	v_perm_b32 v85, v88, v90, 0x5040100
	v_perm_b32 v84, v89, v66, 0x5040100
	ds_store_b128 v76, v[69:72]
	ds_store_b128 v76, v[83:86] offset:1024
	v_cmpx_gt_u32_e32 12, v0
	s_cbranch_execz .LBB1617_78
; %bb.77:
	s_mul_i32 s3, s7, s30
	s_load_b128 s[8:11], s[0:1], 0x58
	v_add3_u32 v69, s3, s29, v65
	s_delay_alu instid0(VALU_DEP_1) | instskip(NEXT) | instid1(VALU_DEP_1)
	v_mad_u64_u32 v[65:66], null, v69, s34, s[14:15]
	v_ashrrev_i32_e32 v66, 31, v65
	s_delay_alu instid0(VALU_DEP_1) | instskip(SKIP_1) | instid1(VALU_DEP_1)
	v_lshlrev_b64 v[65:66], 2, v[65:66]
	s_waitcnt lgkmcnt(0)
	v_add_co_u32 v69, vcc_lo, s10, v65
	s_delay_alu instid0(VALU_DEP_2)
	v_add_co_ci_u32_e32 v70, vcc_lo, s11, v66, vcc_lo
	v_add_co_u32 v65, vcc_lo, s8, v65
	v_add_co_ci_u32_e32 v66, vcc_lo, s9, v66, vcc_lo
	global_store_b32 v[69:70], v67, off
	global_store_b32 v[65:66], v68, off
.LBB1617_78:
	s_or_b32 exec_lo, exec_lo, s2
	s_waitcnt lgkmcnt(0)
	s_waitcnt_vscnt null, 0x0
	s_barrier
	buffer_gl0_inv
	ds_load_b128 v[83:86], v80
	ds_load_b128 v[87:90], v80 offset:16
	ds_load_b128 v[95:98], v80 offset:2064
	;; [unrolled: 1-line block ×3, first 2 shown]
	v_mov_b32_e32 v65, 0
	ds_load_b128 v[103:106], v80 offset:4112
	ds_load_b128 v[99:102], v80 offset:4096
	;; [unrolled: 1-line block ×4, first 2 shown]
	v_mov_b32_e32 v66, v65
	v_mov_b32_e32 v67, v65
	;; [unrolled: 1-line block ×7, first 2 shown]
	s_waitcnt lgkmcnt(6)
	s_delay_alu instid0(VALU_DEP_1)
	v_wmma_f32_16x16x16_bf16 v[65:72], v[49:56], v[83:90], v[65:72]
	ds_load_b128 v[53:56], v80 offset:8208
	ds_load_b128 v[49:52], v80 offset:8192
	s_waitcnt lgkmcnt(6)
	v_wmma_f32_16x16x16_bf16 v[65:72], v[41:48], v[91:98], v[65:72]
	ds_load_b128 v[45:48], v80 offset:10256
	ds_load_b128 v[41:44], v80 offset:10240
	s_waitcnt lgkmcnt(6)
	;; [unrolled: 4-line block ×4, first 2 shown]
	v_wmma_f32_16x16x16_bf16 v[65:72], v[1:8], v[49:56], v[65:72]
	s_waitcnt lgkmcnt(4)
	s_delay_alu instid0(VALU_DEP_1) | instskip(SKIP_1) | instid1(VALU_DEP_1)
	v_wmma_f32_16x16x16_bf16 v[65:72], v[9:16], v[41:48], v[65:72]
	s_waitcnt lgkmcnt(2)
	v_wmma_f32_16x16x16_bf16 v[65:72], v[17:24], v[33:40], v[65:72]
	s_waitcnt lgkmcnt(0)
	s_delay_alu instid0(VALU_DEP_1) | instskip(NEXT) | instid1(VALU_DEP_1)
	v_wmma_f32_16x16x16_bf16 v[65:72], v[57:64], v[25:32], v[65:72]
	v_and_b32_e32 v1, 0x7f800000, v65
	s_delay_alu instid0(VALU_DEP_1) | instskip(SKIP_1) | instid1(SALU_CYCLE_1)
	v_cmp_ne_u32_e32 vcc_lo, 0x7f800000, v1
                                        ; implicit-def: $vgpr1
	s_and_saveexec_b32 s2, vcc_lo
	s_xor_b32 s2, exec_lo, s2
; %bb.79:
	v_bfe_u32 v1, v65, 16, 1
	s_delay_alu instid0(VALU_DEP_1)
	v_add3_u32 v1, v65, v1, 0x7fff
; %bb.80:
	s_and_not1_saveexec_b32 s2, s2
; %bb.81:
	v_and_b32_e32 v1, 0xffff, v65
	v_or_b32_e32 v2, 0x10000, v65
	s_delay_alu instid0(VALU_DEP_2) | instskip(NEXT) | instid1(VALU_DEP_2)
	v_cmp_eq_u32_e32 vcc_lo, 0, v1
	v_cndmask_b32_e32 v1, v2, v65, vcc_lo
; %bb.82:
	s_or_b32 exec_lo, exec_lo, s2
	v_and_b32_e32 v2, 0x7f800000, v66
	s_delay_alu instid0(VALU_DEP_1) | instskip(SKIP_1) | instid1(SALU_CYCLE_1)
	v_cmp_ne_u32_e32 vcc_lo, 0x7f800000, v2
                                        ; implicit-def: $vgpr2
	s_and_saveexec_b32 s2, vcc_lo
	s_xor_b32 s2, exec_lo, s2
; %bb.83:
	v_bfe_u32 v2, v66, 16, 1
	s_delay_alu instid0(VALU_DEP_1)
	v_add3_u32 v2, v66, v2, 0x7fff
; %bb.84:
	s_and_not1_saveexec_b32 s2, s2
; %bb.85:
	v_and_b32_e32 v2, 0xffff, v66
	v_or_b32_e32 v3, 0x10000, v66
	s_delay_alu instid0(VALU_DEP_2) | instskip(NEXT) | instid1(VALU_DEP_2)
	v_cmp_eq_u32_e32 vcc_lo, 0, v2
	v_cndmask_b32_e32 v2, v3, v66, vcc_lo
; %bb.86:
	s_or_b32 exec_lo, exec_lo, s2
	v_and_b32_e32 v3, 0x7f800000, v67
	s_delay_alu instid0(VALU_DEP_1) | instskip(SKIP_1) | instid1(SALU_CYCLE_1)
	v_cmp_ne_u32_e32 vcc_lo, 0x7f800000, v3
                                        ; implicit-def: $vgpr3
	s_and_saveexec_b32 s2, vcc_lo
	s_xor_b32 s2, exec_lo, s2
; %bb.87:
	v_bfe_u32 v3, v67, 16, 1
	s_delay_alu instid0(VALU_DEP_1)
	v_add3_u32 v3, v67, v3, 0x7fff
; %bb.88:
	s_and_not1_saveexec_b32 s2, s2
; %bb.89:
	v_and_b32_e32 v3, 0xffff, v67
	v_or_b32_e32 v4, 0x10000, v67
	s_delay_alu instid0(VALU_DEP_2) | instskip(NEXT) | instid1(VALU_DEP_2)
	v_cmp_eq_u32_e32 vcc_lo, 0, v3
	v_cndmask_b32_e32 v3, v4, v67, vcc_lo
; %bb.90:
	s_or_b32 exec_lo, exec_lo, s2
	v_and_b32_e32 v4, 0x7f800000, v68
	s_delay_alu instid0(VALU_DEP_1) | instskip(SKIP_1) | instid1(SALU_CYCLE_1)
	v_cmp_ne_u32_e32 vcc_lo, 0x7f800000, v4
                                        ; implicit-def: $vgpr4
	s_and_saveexec_b32 s2, vcc_lo
	s_xor_b32 s2, exec_lo, s2
; %bb.91:
	v_bfe_u32 v4, v68, 16, 1
	s_delay_alu instid0(VALU_DEP_1)
	v_add3_u32 v4, v68, v4, 0x7fff
; %bb.92:
	s_and_not1_saveexec_b32 s2, s2
; %bb.93:
	v_and_b32_e32 v4, 0xffff, v68
	v_or_b32_e32 v5, 0x10000, v68
	s_delay_alu instid0(VALU_DEP_2) | instskip(NEXT) | instid1(VALU_DEP_2)
	v_cmp_eq_u32_e32 vcc_lo, 0, v4
	v_cndmask_b32_e32 v4, v5, v68, vcc_lo
; %bb.94:
	s_or_b32 exec_lo, exec_lo, s2
	v_and_b32_e32 v5, 0x7f800000, v69
	s_delay_alu instid0(VALU_DEP_1) | instskip(SKIP_1) | instid1(SALU_CYCLE_1)
	v_cmp_ne_u32_e32 vcc_lo, 0x7f800000, v5
                                        ; implicit-def: $vgpr5
	s_and_saveexec_b32 s2, vcc_lo
	s_xor_b32 s2, exec_lo, s2
; %bb.95:
	v_bfe_u32 v5, v69, 16, 1
	s_delay_alu instid0(VALU_DEP_1)
	v_add3_u32 v5, v69, v5, 0x7fff
; %bb.96:
	s_and_not1_saveexec_b32 s2, s2
; %bb.97:
	v_and_b32_e32 v5, 0xffff, v69
	v_or_b32_e32 v6, 0x10000, v69
	s_delay_alu instid0(VALU_DEP_2) | instskip(NEXT) | instid1(VALU_DEP_2)
	v_cmp_eq_u32_e32 vcc_lo, 0, v5
	v_cndmask_b32_e32 v5, v6, v69, vcc_lo
; %bb.98:
	s_or_b32 exec_lo, exec_lo, s2
	v_and_b32_e32 v6, 0x7f800000, v70
	s_delay_alu instid0(VALU_DEP_1) | instskip(SKIP_1) | instid1(SALU_CYCLE_1)
	v_cmp_ne_u32_e32 vcc_lo, 0x7f800000, v6
                                        ; implicit-def: $vgpr6
	s_and_saveexec_b32 s2, vcc_lo
	s_xor_b32 s2, exec_lo, s2
; %bb.99:
	v_bfe_u32 v6, v70, 16, 1
	s_delay_alu instid0(VALU_DEP_1)
	v_add3_u32 v6, v70, v6, 0x7fff
; %bb.100:
	s_and_not1_saveexec_b32 s2, s2
; %bb.101:
	v_and_b32_e32 v6, 0xffff, v70
	v_or_b32_e32 v7, 0x10000, v70
	s_delay_alu instid0(VALU_DEP_2) | instskip(NEXT) | instid1(VALU_DEP_2)
	v_cmp_eq_u32_e32 vcc_lo, 0, v6
	v_cndmask_b32_e32 v6, v7, v70, vcc_lo
; %bb.102:
	s_or_b32 exec_lo, exec_lo, s2
	v_and_b32_e32 v7, 0x7f800000, v71
	s_delay_alu instid0(VALU_DEP_1) | instskip(SKIP_1) | instid1(SALU_CYCLE_1)
	v_cmp_ne_u32_e32 vcc_lo, 0x7f800000, v7
                                        ; implicit-def: $vgpr7
	s_and_saveexec_b32 s2, vcc_lo
	s_xor_b32 s2, exec_lo, s2
; %bb.103:
	v_bfe_u32 v7, v71, 16, 1
	s_delay_alu instid0(VALU_DEP_1)
	v_add3_u32 v7, v71, v7, 0x7fff
; %bb.104:
	s_and_not1_saveexec_b32 s2, s2
; %bb.105:
	v_and_b32_e32 v7, 0xffff, v71
	v_or_b32_e32 v8, 0x10000, v71
	s_delay_alu instid0(VALU_DEP_2) | instskip(NEXT) | instid1(VALU_DEP_2)
	v_cmp_eq_u32_e32 vcc_lo, 0, v7
	v_cndmask_b32_e32 v7, v8, v71, vcc_lo
; %bb.106:
	s_or_b32 exec_lo, exec_lo, s2
	v_and_b32_e32 v8, 0x7f800000, v72
	s_delay_alu instid0(VALU_DEP_1) | instskip(SKIP_1) | instid1(SALU_CYCLE_1)
	v_cmp_ne_u32_e32 vcc_lo, 0x7f800000, v8
                                        ; implicit-def: $vgpr8
	s_and_saveexec_b32 s2, vcc_lo
	s_xor_b32 s2, exec_lo, s2
; %bb.107:
	v_bfe_u32 v8, v72, 16, 1
	s_delay_alu instid0(VALU_DEP_1)
	v_add3_u32 v8, v72, v8, 0x7fff
                                        ; implicit-def: $vgpr65_vgpr66_vgpr67_vgpr68_vgpr69_vgpr70_vgpr71_vgpr72
; %bb.108:
	s_and_not1_saveexec_b32 s2, s2
; %bb.109:
	v_and_b32_e32 v8, 0xffff, v72
	v_or_b32_e32 v9, 0x10000, v72
	s_delay_alu instid0(VALU_DEP_2) | instskip(NEXT) | instid1(VALU_DEP_2)
	v_cmp_eq_u32_e32 vcc_lo, 0, v8
	v_cndmask_b32_e32 v8, v9, v72, vcc_lo
; %bb.110:
	s_or_b32 exec_lo, exec_lo, s2
	s_delay_alu instid0(VALU_DEP_1)
	v_perm_b32 v7, v8, v7, 0x7060302
	v_perm_b32 v6, v6, v5, 0x7060302
	;; [unrolled: 1-line block ×4, first 2 shown]
	s_barrier
	buffer_gl0_inv
	v_cmp_eq_u32_e32 vcc_lo, 1, v78
	ds_store_b128 v76, v[4:7]
	s_waitcnt lgkmcnt(0)
	s_barrier
	buffer_gl0_inv
	ds_load_b128 v[1:4], v82
	ds_load_b128 v[5:8], v82 offset:16
	v_cmp_eq_u32_e64 s2, 1, v79
	v_cmp_eq_u32_e64 s3, 2, v78
	;; [unrolled: 1-line block ×5, first 2 shown]
	s_waitcnt lgkmcnt(1)
	v_lshrrev_b32_e32 v9, 16, v1
	s_waitcnt lgkmcnt(0)
	v_lshrrev_b32_e32 v13, 16, v5
	v_lshrrev_b32_e32 v10, 16, v2
	;; [unrolled: 1-line block ×4, first 2 shown]
	v_cndmask_b32_e64 v19, v1, v9, s2
	v_cndmask_b32_e32 v18, v5, v13, vcc_lo
	v_cndmask_b32_e64 v20, v5, v13, s2
	v_cndmask_b32_e32 v17, v1, v9, vcc_lo
	v_cmp_eq_u32_e32 vcc_lo, 2, v79
	v_lshrrev_b32_e32 v15, 16, v7
	v_cmp_eq_u32_e64 s2, 1, v77
	v_lshrrev_b32_e32 v12, 16, v4
	v_lshrrev_b32_e32 v16, 16, v8
	v_cndmask_b32_e32 v20, v20, v6, vcc_lo
	v_cndmask_b32_e64 v17, v17, v2, s3
	v_cndmask_b32_e32 v19, v19, v2, vcc_lo
	v_cndmask_b32_e64 v18, v18, v6, s3
	v_cmp_eq_u32_e32 vcc_lo, 4, v78
	v_cmp_eq_u32_e64 s3, 3, v79
	v_cndmask_b32_e64 v17, v17, v10, s4
	v_cndmask_b32_e64 v21, v1, v9, s2
	;; [unrolled: 1-line block ×5, first 2 shown]
	v_cndmask_b32_e32 v17, v17, v3, vcc_lo
	v_cndmask_b32_e64 v20, v20, v14, s3
	v_cndmask_b32_e32 v18, v18, v7, vcc_lo
	v_cmp_eq_u32_e32 vcc_lo, 4, v79
	v_cmp_eq_u32_e64 s3, 5, v79
	v_cmp_eq_u32_e64 s2, 2, v81
	v_cndmask_b32_e64 v21, v21, v2, s6
	v_cmp_eq_u32_e64 s4, 5, v78
	v_cndmask_b32_e32 v19, v19, v3, vcc_lo
	v_cndmask_b32_e32 v20, v20, v7, vcc_lo
	v_cmp_eq_u32_e32 vcc_lo, 6, v79
	s_delay_alu instid0(VALU_DEP_4) | instskip(NEXT) | instid1(VALU_DEP_4)
	v_cndmask_b32_e64 v17, v17, v11, s4
	v_cndmask_b32_e64 v19, v19, v11, s3
	s_delay_alu instid0(VALU_DEP_4) | instskip(SKIP_1) | instid1(VALU_DEP_3)
	v_cndmask_b32_e64 v20, v20, v15, s3
	v_cmp_eq_u32_e64 s3, 1, v81
	v_cndmask_b32_e32 v19, v19, v4, vcc_lo
	v_cndmask_b32_e64 v18, v18, v15, s4
	s_delay_alu instid0(VALU_DEP_3)
	v_cndmask_b32_e64 v1, v1, v9, s3
	v_cndmask_b32_e64 v5, v5, v13, s3
	v_cmp_eq_u32_e64 s3, 3, v77
	v_cndmask_b32_e64 v13, v22, v6, s6
	v_cmp_eq_u32_e64 s6, 3, v81
	v_cndmask_b32_e64 v1, v1, v2, s2
	v_cndmask_b32_e64 v2, v5, v6, s2
	;; [unrolled: 1-line block ×3, first 2 shown]
	v_cmp_eq_u32_e64 s2, 4, v77
	v_cndmask_b32_e64 v6, v13, v14, s3
	v_cndmask_b32_e64 v1, v1, v10, s6
	v_cmp_eq_u32_e64 s3, 4, v81
	v_cndmask_b32_e64 v2, v2, v14, s6
	v_cndmask_b32_e64 v5, v9, v3, s2
	;; [unrolled: 3-line block ×3, first 2 shown]
	v_cndmask_b32_e64 v2, v2, v7, s3
	v_cmp_eq_u32_e64 s2, 5, v81
	v_cmp_eq_u32_e64 s4, 6, v78
	v_cndmask_b32_e64 v5, v5, v11, s6
	v_cmp_eq_u32_e64 s3, 6, v77
	v_cndmask_b32_e64 v3, v6, v15, s6
	v_cndmask_b32_e64 v1, v1, v11, s2
	v_cmp_eq_u32_e64 s6, 6, v81
	v_cndmask_b32_e64 v2, v2, v15, s2
	v_cndmask_b32_e64 v17, v17, v4, s4
	v_cndmask_b32_e64 v18, v18, v8, s4
	v_cmp_eq_u32_e64 s4, 7, v78
	v_cndmask_b32_e64 v5, v5, v4, s3
	;; [unrolled: 4-line block ×3, first 2 shown]
	v_cmp_eq_u32_e64 s3, 7, v77
	v_cndmask_b32_e32 v4, v20, v8, vcc_lo
	v_cndmask_b32_e64 v17, v17, v12, s4
	v_cndmask_b32_e64 v19, v19, v12, s5
	;; [unrolled: 1-line block ×8, first 2 shown]
	s_mov_b32 s2, exec_lo
	v_perm_b32 v4, v2, v1, 0x5040100
	v_perm_b32 v3, v3, v5, 0x5040100
	v_perm_b32 v2, v6, v19, 0x5040100
	v_perm_b32 v1, v7, v17, 0x5040100
	ds_store_b128 v76, v[1:4]
	s_waitcnt lgkmcnt(0)
	s_barrier
	buffer_gl0_inv
	v_cmpx_gt_u32_e32 32, v0
	s_cbranch_execz .LBB1617_2
; %bb.111:
	s_load_b64 s[0:1], s[0:1], 0x68
	v_lshlrev_b32_e32 v0, 10, v0
	s_lshl_b32 s4, s34, 7
	v_or_b32_e32 v3, s29, v74
	s_mul_i32 s2, s4, s30
	v_lshlrev_b32_e32 v1, 4, v75
	s_mul_i32 s2, s2, s7
	v_lshlrev_b32_e32 v2, 6, v74
	v_and_b32_e32 v0, 0x3800, v0
	s_ashr_i32 s3, s2, 31
	v_mul_lo_u32 v4, v3, s4
	s_lshl_b64 s[2:3], s[2:3], 1
	s_delay_alu instid0(VALU_DEP_2) | instskip(NEXT) | instid1(VALU_DEP_2)
	v_or3_b32 v16, v0, v1, v2
	v_ashrrev_i32_e32 v5, 31, v4
	ds_load_b128 v[0:3], v16
	s_waitcnt lgkmcnt(0)
	s_add_u32 s2, s0, s2
	s_addc_u32 s3, s1, s3
	s_lshl_b32 s0, s14, 7
	v_lshlrev_b64 v[5:6], 1, v[4:5]
	s_ashr_i32 s1, s0, 31
	s_delay_alu instid0(SALU_CYCLE_1) | instskip(NEXT) | instid1(SALU_CYCLE_1)
	s_lshl_b64 s[0:1], s[0:1], 1
	s_add_u32 s0, s2, s0
	s_addc_u32 s1, s3, s1
	s_lshl_b32 s2, s34, 8
	v_add_co_u32 v30, s0, s0, v73
	v_add_nc_u32_e32 v8, s2, v4
	v_add_co_ci_u32_e64 v31, null, s1, 0, s0
	s_delay_alu instid0(VALU_DEP_3) | instskip(NEXT) | instid1(VALU_DEP_3)
	v_add_co_u32 v12, vcc_lo, v30, v5
	v_add_nc_u32_e32 v10, s2, v8
	v_ashrrev_i32_e32 v9, 31, v8
	s_delay_alu instid0(VALU_DEP_4)
	v_add_co_ci_u32_e32 v13, vcc_lo, v31, v6, vcc_lo
	ds_load_b128 v[4:7], v16 offset:128
	v_ashrrev_i32_e32 v11, 31, v10
	v_lshlrev_b64 v[8:9], 1, v[8:9]
	v_add_nc_u32_e32 v14, s2, v10
	global_store_b128 v[12:13], v[0:3], off
	v_lshlrev_b64 v[0:1], 1, v[10:11]
	v_ashrrev_i32_e32 v15, 31, v14
	v_add_co_u32 v22, vcc_lo, v30, v8
	v_add_nc_u32_e32 v20, s2, v14
	v_add_co_ci_u32_e32 v23, vcc_lo, v31, v9, vcc_lo
	v_add_co_u32 v26, vcc_lo, v30, v0
	v_lshlrev_b64 v[24:25], 1, v[14:15]
	v_add_co_ci_u32_e32 v27, vcc_lo, v31, v1, vcc_lo
	ds_load_b128 v[0:3], v16 offset:256
	ds_load_b128 v[8:11], v16 offset:384
	;; [unrolled: 1-line block ×4, first 2 shown]
	v_add_nc_u32_e32 v28, s2, v20
	v_ashrrev_i32_e32 v21, 31, v20
	v_add_co_u32 v24, vcc_lo, v30, v24
	v_add_co_ci_u32_e32 v25, vcc_lo, v31, v25, vcc_lo
	s_delay_alu instid0(VALU_DEP_4) | instskip(NEXT) | instid1(VALU_DEP_4)
	v_ashrrev_i32_e32 v29, 31, v28
	v_lshlrev_b64 v[20:21], 1, v[20:21]
	s_delay_alu instid0(VALU_DEP_2) | instskip(NEXT) | instid1(VALU_DEP_2)
	v_lshlrev_b64 v[28:29], 1, v[28:29]
	v_add_co_u32 v20, vcc_lo, v30, v20
	s_delay_alu instid0(VALU_DEP_3) | instskip(NEXT) | instid1(VALU_DEP_3)
	v_add_co_ci_u32_e32 v21, vcc_lo, v31, v21, vcc_lo
	v_add_co_u32 v28, vcc_lo, v30, v28
	s_delay_alu instid0(VALU_DEP_4)
	v_add_co_ci_u32_e32 v29, vcc_lo, v31, v29, vcc_lo
	s_waitcnt lgkmcnt(4)
	global_store_b128 v[22:23], v[4:7], off
	s_waitcnt lgkmcnt(3)
	global_store_b128 v[26:27], v[0:3], off
	;; [unrolled: 2-line block ×5, first 2 shown]
	s_nop 0
	s_sendmsg sendmsg(MSG_DEALLOC_VGPRS)
	s_endpgm
	.section	.rodata,"a",@progbits
	.p2align	6, 0x0
	.amdhsa_kernel _Z39paged_attention_ll4mi_QKV_mfma16_kernelI14__hip_bfloat16hLN4vllm18Fp8KVCacheDataTypeE1EhLi32ELi128ELi256ELb0ELi12EL8MFMAType1EEvPKT_PKT0_S9_ifPKiSB_SB_iPKfiiiPfSE_PS4_PT2_iSD_SD_
		.amdhsa_group_segment_fixed_size 17472
		.amdhsa_private_segment_fixed_size 0
		.amdhsa_kernarg_size 400
		.amdhsa_user_sgpr_count 13
		.amdhsa_user_sgpr_dispatch_ptr 0
		.amdhsa_user_sgpr_queue_ptr 0
		.amdhsa_user_sgpr_kernarg_segment_ptr 1
		.amdhsa_user_sgpr_dispatch_id 0
		.amdhsa_user_sgpr_private_segment_size 0
		.amdhsa_wavefront_size32 1
		.amdhsa_uses_dynamic_stack 0
		.amdhsa_enable_private_segment 0
		.amdhsa_system_sgpr_workgroup_id_x 1
		.amdhsa_system_sgpr_workgroup_id_y 1
		.amdhsa_system_sgpr_workgroup_id_z 1
		.amdhsa_system_sgpr_workgroup_info 0
		.amdhsa_system_vgpr_workitem_id 0
		.amdhsa_next_free_vgpr 140
		.amdhsa_next_free_sgpr 36
		.amdhsa_reserve_vcc 1
		.amdhsa_float_round_mode_32 0
		.amdhsa_float_round_mode_16_64 0
		.amdhsa_float_denorm_mode_32 3
		.amdhsa_float_denorm_mode_16_64 3
		.amdhsa_dx10_clamp 1
		.amdhsa_ieee_mode 1
		.amdhsa_fp16_overflow 0
		.amdhsa_workgroup_processor_mode 1
		.amdhsa_memory_ordered 1
		.amdhsa_forward_progress 0
		.amdhsa_shared_vgpr_count 0
		.amdhsa_exception_fp_ieee_invalid_op 0
		.amdhsa_exception_fp_denorm_src 0
		.amdhsa_exception_fp_ieee_div_zero 0
		.amdhsa_exception_fp_ieee_overflow 0
		.amdhsa_exception_fp_ieee_underflow 0
		.amdhsa_exception_fp_ieee_inexact 0
		.amdhsa_exception_int_div_zero 0
	.end_amdhsa_kernel
	.section	.text._Z39paged_attention_ll4mi_QKV_mfma16_kernelI14__hip_bfloat16hLN4vllm18Fp8KVCacheDataTypeE1EhLi32ELi128ELi256ELb0ELi12EL8MFMAType1EEvPKT_PKT0_S9_ifPKiSB_SB_iPKfiiiPfSE_PS4_PT2_iSD_SD_,"axG",@progbits,_Z39paged_attention_ll4mi_QKV_mfma16_kernelI14__hip_bfloat16hLN4vllm18Fp8KVCacheDataTypeE1EhLi32ELi128ELi256ELb0ELi12EL8MFMAType1EEvPKT_PKT0_S9_ifPKiSB_SB_iPKfiiiPfSE_PS4_PT2_iSD_SD_,comdat
.Lfunc_end1617:
	.size	_Z39paged_attention_ll4mi_QKV_mfma16_kernelI14__hip_bfloat16hLN4vllm18Fp8KVCacheDataTypeE1EhLi32ELi128ELi256ELb0ELi12EL8MFMAType1EEvPKT_PKT0_S9_ifPKiSB_SB_iPKfiiiPfSE_PS4_PT2_iSD_SD_, .Lfunc_end1617-_Z39paged_attention_ll4mi_QKV_mfma16_kernelI14__hip_bfloat16hLN4vllm18Fp8KVCacheDataTypeE1EhLi32ELi128ELi256ELb0ELi12EL8MFMAType1EEvPKT_PKT0_S9_ifPKiSB_SB_iPKfiiiPfSE_PS4_PT2_iSD_SD_
                                        ; -- End function
	.section	.AMDGPU.csdata,"",@progbits
; Kernel info:
; codeLenInByte = 9000
; NumSgprs: 38
; NumVgprs: 140
; ScratchSize: 0
; MemoryBound: 0
; FloatMode: 240
; IeeeMode: 1
; LDSByteSize: 17472 bytes/workgroup (compile time only)
; SGPRBlocks: 4
; VGPRBlocks: 17
; NumSGPRsForWavesPerEU: 38
; NumVGPRsForWavesPerEU: 140
; Occupancy: 10
; WaveLimiterHint : 1
; COMPUTE_PGM_RSRC2:SCRATCH_EN: 0
; COMPUTE_PGM_RSRC2:USER_SGPR: 13
; COMPUTE_PGM_RSRC2:TRAP_HANDLER: 0
; COMPUTE_PGM_RSRC2:TGID_X_EN: 1
; COMPUTE_PGM_RSRC2:TGID_Y_EN: 1
; COMPUTE_PGM_RSRC2:TGID_Z_EN: 1
; COMPUTE_PGM_RSRC2:TIDIG_COMP_CNT: 0
	.section	.text._Z39paged_attention_ll4mi_QKV_mfma16_kernelI14__hip_bfloat16hLN4vllm18Fp8KVCacheDataTypeE1EhLi32ELi128ELi256ELb0ELi13EL8MFMAType1EEvPKT_PKT0_S9_ifPKiSB_SB_iPKfiiiPfSE_PS4_PT2_iSD_SD_,"axG",@progbits,_Z39paged_attention_ll4mi_QKV_mfma16_kernelI14__hip_bfloat16hLN4vllm18Fp8KVCacheDataTypeE1EhLi32ELi128ELi256ELb0ELi13EL8MFMAType1EEvPKT_PKT0_S9_ifPKiSB_SB_iPKfiiiPfSE_PS4_PT2_iSD_SD_,comdat
	.protected	_Z39paged_attention_ll4mi_QKV_mfma16_kernelI14__hip_bfloat16hLN4vllm18Fp8KVCacheDataTypeE1EhLi32ELi128ELi256ELb0ELi13EL8MFMAType1EEvPKT_PKT0_S9_ifPKiSB_SB_iPKfiiiPfSE_PS4_PT2_iSD_SD_ ; -- Begin function _Z39paged_attention_ll4mi_QKV_mfma16_kernelI14__hip_bfloat16hLN4vllm18Fp8KVCacheDataTypeE1EhLi32ELi128ELi256ELb0ELi13EL8MFMAType1EEvPKT_PKT0_S9_ifPKiSB_SB_iPKfiiiPfSE_PS4_PT2_iSD_SD_
	.globl	_Z39paged_attention_ll4mi_QKV_mfma16_kernelI14__hip_bfloat16hLN4vllm18Fp8KVCacheDataTypeE1EhLi32ELi128ELi256ELb0ELi13EL8MFMAType1EEvPKT_PKT0_S9_ifPKiSB_SB_iPKfiiiPfSE_PS4_PT2_iSD_SD_
	.p2align	8
	.type	_Z39paged_attention_ll4mi_QKV_mfma16_kernelI14__hip_bfloat16hLN4vllm18Fp8KVCacheDataTypeE1EhLi32ELi128ELi256ELb0ELi13EL8MFMAType1EEvPKT_PKT0_S9_ifPKiSB_SB_iPKfiiiPfSE_PS4_PT2_iSD_SD_,@function
_Z39paged_attention_ll4mi_QKV_mfma16_kernelI14__hip_bfloat16hLN4vllm18Fp8KVCacheDataTypeE1EhLi32ELi128ELi256ELb0ELi13EL8MFMAType1EEvPKT_PKT0_S9_ifPKiSB_SB_iPKfiiiPfSE_PS4_PT2_iSD_SD_: ; @_Z39paged_attention_ll4mi_QKV_mfma16_kernelI14__hip_bfloat16hLN4vllm18Fp8KVCacheDataTypeE1EhLi32ELi128ELi256ELb0ELi13EL8MFMAType1EEvPKT_PKT0_S9_ifPKiSB_SB_iPKfiiiPfSE_PS4_PT2_iSD_SD_
; %bb.0:
	s_load_b64 s[4:5], s[0:1], 0x30
	s_mov_b32 s30, s13
	s_waitcnt lgkmcnt(0)
	s_cmp_lg_u64 s[4:5], 0
	s_cselect_b32 s13, -1, 0
	s_ashr_i32 s31, s30, 31
	s_cmp_eq_u64 s[4:5], 0
	s_cbranch_scc1 .LBB1618_3
; %bb.1:
	s_lshl_b64 s[2:3], s[30:31], 2
	s_delay_alu instid0(SALU_CYCLE_1) | instskip(SKIP_4) | instid1(SALU_CYCLE_1)
	s_add_u32 s2, s4, s2
	s_addc_u32 s3, s5, s3
	s_load_b64 s[2:3], s[2:3], 0x0
	s_waitcnt lgkmcnt(0)
	s_sub_i32 s2, s3, s2
	s_cmp_eq_u32 s2, 1
	s_cselect_b32 s2, -1, 0
	s_delay_alu instid0(SALU_CYCLE_1)
	s_and_not1_b32 vcc_lo, exec_lo, s2
	s_cbranch_vccz .LBB1618_4
.LBB1618_2:
	s_nop 0
	s_sendmsg sendmsg(MSG_DEALLOC_VGPRS)
	s_endpgm
.LBB1618_3:
.LBB1618_4:
	s_load_b64 s[2:3], s[0:1], 0x28
	s_lshl_b64 s[6:7], s[30:31], 2
	s_waitcnt lgkmcnt(0)
	s_add_u32 s2, s2, s6
	s_addc_u32 s3, s3, s7
	s_lshl_b32 s12, s14, 8
	s_load_b32 s17, s[2:3], 0x0
	s_waitcnt lgkmcnt(0)
	s_cmp_ge_i32 s12, s17
	s_cbranch_scc1 .LBB1618_2
; %bb.5:
	s_clause 0x1
	s_load_b128 s[8:11], s[0:1], 0x8
	s_load_b64 s[2:3], s[0:1], 0x20
	s_and_not1_b32 vcc_lo, exec_lo, s13
	s_cbranch_vccnz .LBB1618_7
; %bb.6:
	s_add_u32 s4, s4, s6
	s_addc_u32 s5, s5, s7
	s_load_b32 s13, s[4:5], 0x0
	s_branch .LBB1618_8
.LBB1618_7:
	s_mov_b32 s13, s30
.LBB1618_8:
	s_load_b128 s[4:7], s[0:1], 0x48
	v_and_b32_e32 v65, 15, v0
	v_lshrrev_b32_e32 v66, 5, v0
	v_bfe_u32 v74, v0, 4, 1
	v_and_b32_e32 v67, 31, v0
	v_and_b32_e32 v75, 1, v0
	v_lshlrev_b32_e32 v2, 3, v65
	s_mul_i32 s31, s15, 13
	v_lshl_or_b32 v1, v66, 1, v74
	s_waitcnt lgkmcnt(0)
	s_mov_b32 s7, exec_lo
	v_lshlrev_b32_e32 v73, 1, v2
	s_delay_alu instid0(VALU_DEP_2)
	v_cmpx_gt_u32_e32 13, v1
	s_cbranch_execz .LBB1618_10
; %bb.9:
	s_load_b64 s[18:19], s[0:1], 0x0
	v_add_lshl_u32 v2, v1, s31, 7
	s_mul_hi_i32 s21, s13, s4
	s_mul_i32 s20, s13, s4
	v_lshlrev_b32_e32 v6, 10, v65
	s_lshl_b64 s[20:21], s[20:21], 1
	v_ashrrev_i32_e32 v3, 31, v2
	v_lshlrev_b32_e32 v1, 6, v1
	v_lshlrev_b32_e32 v7, 10, v75
	v_and_b32_e32 v6, 0x3800, v6
	s_delay_alu instid0(VALU_DEP_4) | instskip(NEXT) | instid1(VALU_DEP_2)
	v_lshlrev_b64 v[2:3], 1, v[2:3]
	v_or3_b32 v1, v6, v7, v1
	s_waitcnt lgkmcnt(0)
	s_add_u32 s4, s18, s20
	s_addc_u32 s13, s19, s21
	s_delay_alu instid0(VALU_DEP_2) | instskip(SKIP_1) | instid1(VALU_DEP_2)
	v_add_co_u32 v2, vcc_lo, s4, v2
	v_add_co_ci_u32_e32 v3, vcc_lo, s13, v3, vcc_lo
	v_add_co_u32 v2, vcc_lo, v2, v73
	s_delay_alu instid0(VALU_DEP_2)
	v_add_co_ci_u32_e32 v3, vcc_lo, 0, v3, vcc_lo
	global_load_b128 v[2:5], v[2:3], off
	s_waitcnt vmcnt(0)
	ds_store_b128 v1, v[2:5]
.LBB1618_10:
	s_or_b32 exec_lo, exec_lo, s7
	v_and_b32_e32 v1, 0xef, v0
	s_add_i32 s4, s17, 31
	s_clause 0x1
	s_load_b32 s7, s[0:1], 0x38
	s_load_b32 s18, s[0:1], 0x1c
	s_ashr_i32 s13, s4, 31
	v_add_nc_u32_e32 v1, s12, v1
	s_lshr_b32 s13, s13, 27
	s_waitcnt lgkmcnt(0)
	s_add_i32 s4, s4, s13
	s_barrier
	v_ashrrev_i32_e32 v2, 31, v1
	v_or_b32_e32 v3, 16, v1
	s_ashr_i32 s4, s4, 5
	v_cmp_gt_i32_e32 vcc_lo, s17, v1
	s_add_i32 s4, s4, -1
	v_lshrrev_b32_e32 v2, 27, v2
	buffer_gl0_inv
	s_mul_i32 s15, s15, s6
	v_add_nc_u32_e32 v4, v1, v2
	s_mul_i32 s20, s30, s7
	s_delay_alu instid0(SALU_CYCLE_1) | instskip(NEXT) | instid1(VALU_DEP_1)
	s_ashr_i32 s21, s20, 31
	v_ashrrev_i32_e32 v4, 5, v4
	v_add_nc_u32_e32 v2, v3, v2
	s_lshl_b64 s[20:21], s[20:21], 2
	s_delay_alu instid0(SALU_CYCLE_1) | instskip(NEXT) | instid1(VALU_DEP_2)
	s_add_u32 s13, s2, s20
	v_cndmask_b32_e32 v1, s4, v4, vcc_lo
	s_delay_alu instid0(VALU_DEP_2)
	v_ashrrev_i32_e32 v2, 5, v2
	v_cmp_gt_i32_e32 vcc_lo, s17, v3
	s_addc_u32 s16, s3, s21
	s_ashr_i32 s19, s15, 31
	s_add_u32 s2, s8, s15
	s_addc_u32 s3, s9, s19
	v_cndmask_b32_e32 v3, s4, v2, vcc_lo
	v_ashrrev_i32_e32 v2, 31, v1
	s_lshl_b32 s6, s14, 3
	s_delay_alu instid0(SALU_CYCLE_1) | instskip(NEXT) | instid1(VALU_DEP_2)
	s_ashr_i32 s7, s6, 31
	v_ashrrev_i32_e32 v4, 31, v3
	s_delay_alu instid0(VALU_DEP_2) | instskip(SKIP_1) | instid1(SALU_CYCLE_1)
	v_lshlrev_b64 v[1:2], 2, v[1:2]
	s_lshl_b64 s[6:7], s[6:7], 2
	s_add_u32 s6, s13, s6
	s_delay_alu instid0(VALU_DEP_2) | instskip(SKIP_1) | instid1(VALU_DEP_2)
	v_lshlrev_b64 v[3:4], 2, v[3:4]
	s_addc_u32 s7, s16, s7
	v_add_co_u32 v1, vcc_lo, s13, v1
	v_add_co_ci_u32_e32 v2, vcc_lo, s16, v2, vcc_lo
	s_delay_alu instid0(VALU_DEP_3) | instskip(NEXT) | instid1(VALU_DEP_4)
	v_add_co_u32 v3, vcc_lo, s13, v3
	v_add_co_ci_u32_e32 v4, vcc_lo, s16, v4, vcc_lo
	s_clause 0x1
	global_load_b32 v5, v[1:2], off
	global_load_b32 v6, v[3:4], off
	s_or_b32 s8, s12, 32
	s_delay_alu instid0(SALU_CYCLE_1) | instskip(SKIP_2) | instid1(SALU_CYCLE_1)
	s_ashr_i32 s9, s8, 5
	s_cmp_lt_i32 s8, s17
	s_cselect_b32 s8, s9, s4
	s_ashr_i32 s9, s8, 31
	s_delay_alu instid0(SALU_CYCLE_1) | instskip(NEXT) | instid1(SALU_CYCLE_1)
	s_lshl_b64 s[8:9], s[8:9], 2
	s_add_u32 s8, s13, s8
	s_addc_u32 s9, s16, s9
	s_or_b32 s20, s12, 64
	s_delay_alu instid0(SALU_CYCLE_1) | instskip(SKIP_2) | instid1(SALU_CYCLE_1)
	s_ashr_i32 s21, s20, 5
	s_cmp_lt_i32 s20, s17
	s_cselect_b32 s20, s21, s4
	s_ashr_i32 s21, s20, 31
	s_delay_alu instid0(SALU_CYCLE_1) | instskip(NEXT) | instid1(SALU_CYCLE_1)
	s_lshl_b64 s[20:21], s[20:21], 2
	s_add_u32 s20, s13, s20
	s_addc_u32 s21, s16, s21
	;; [unrolled: 10-line block ×5, first 2 shown]
	s_clause 0x5
	s_load_b32 s28, s[6:7], 0x0
	s_load_b32 s8, s[8:9], 0x0
	;; [unrolled: 1-line block ×6, first 2 shown]
	s_mov_b32 s20, 0
	s_delay_alu instid0(SALU_CYCLE_1)
	s_mov_b32 s21, s20
	s_mov_b32 s22, s20
	s_mov_b32 s23, s20
	s_mov_b32 s24, s20
	s_mov_b32 s25, s20
	s_mov_b32 s26, s20
	s_mov_b32 s27, s20
	s_delay_alu instid0(SALU_CYCLE_1)
	v_dual_mov_b32 v107, s27 :: v_dual_mov_b32 v106, s26
	v_dual_mov_b32 v104, s24 :: v_dual_mov_b32 v103, s23
	;; [unrolled: 1-line block ×3, first 2 shown]
	v_mov_b32_e32 v100, s20
	s_waitcnt vmcnt(1)
	v_mad_i64_i32 v[1:2], null, v5, s5, s[2:3]
	v_lshlrev_b32_e32 v5, 4, v65
	s_waitcnt vmcnt(0)
	v_mad_i64_i32 v[3:4], null, v6, s5, s[2:3]
	s_or_b32 s2, s12, 0xc0
	s_delay_alu instid0(SALU_CYCLE_1) | instskip(NEXT) | instid1(VALU_DEP_3)
	s_ashr_i32 s3, s2, 5
	v_add_co_u32 v33, vcc_lo, v1, v5
	s_delay_alu instid0(VALU_DEP_4) | instskip(NEXT) | instid1(VALU_DEP_3)
	v_add_co_ci_u32_e32 v34, vcc_lo, 0, v2, vcc_lo
	v_add_co_u32 v35, vcc_lo, v3, v5
	s_delay_alu instid0(VALU_DEP_4)
	v_add_co_ci_u32_e32 v36, vcc_lo, 0, v4, vcc_lo
	s_clause 0xf
	global_load_b128 v[1:4], v[33:34], off
	global_load_b128 v[5:8], v[33:34], off offset:512
	global_load_b128 v[9:12], v[35:36], off offset:256
	;; [unrolled: 1-line block ×15, first 2 shown]
	s_cmp_lt_i32 s2, s17
	v_add_nc_u32_e32 v33, -13, v65
	s_cselect_b32 s2, s3, s4
	v_cmp_gt_u32_e32 vcc_lo, 13, v65
	s_ashr_i32 s3, s2, 31
	v_lshlrev_b32_e32 v34, 5, v65
	s_lshl_b64 s[2:3], s[2:3], 2
	s_delay_alu instid0(SALU_CYCLE_1)
	s_add_u32 s2, s13, s2
	s_addc_u32 s3, s16, s3
	s_or_b32 s6, s12, 0xe0
	v_cndmask_b32_e32 v33, v33, v65, vcc_lo
	s_ashr_i32 s7, s6, 5
	s_cmp_lt_i32 s6, s17
	v_mov_b32_e32 v105, s25
	s_cselect_b32 s6, s7, s4
	v_lshlrev_b32_e32 v72, 6, v33
	s_ashr_i32 s7, s6, 31
	v_lshl_or_b32 v41, v66, 9, v34
	s_lshl_b64 s[6:7], s[6:7], 2
	ds_load_b128 v[33:36], v72
	ds_load_b128 v[37:40], v72 offset:1024
	ds_load_b128 v[108:111], v72 offset:2048
	;; [unrolled: 1-line block ×3, first 2 shown]
	s_load_b32 s4, s[2:3], 0x0
	s_add_u32 s2, s13, s6
	s_addc_u32 s3, s16, s7
	ds_load_b128 v[116:119], v72 offset:4096
	ds_load_b128 v[120:123], v72 offset:5120
	s_load_b32 s2, s[2:3], 0x0
	s_add_u32 s6, s10, s15
	s_addc_u32 s7, s11, s19
	v_add_co_u32 v68, s6, s6, v41
	s_delay_alu instid0(VALU_DEP_1) | instskip(SKIP_1) | instid1(VALU_DEP_1)
	v_add_co_ci_u32_e64 v69, null, s7, 0, s6
	s_waitcnt lgkmcnt(0)
	v_mad_i64_i32 v[41:42], null, s28, s5, v[68:69]
	v_mad_i64_i32 v[70:71], null, s9, s5, v[68:69]
	;; [unrolled: 1-line block ×7, first 2 shown]
	s_clause 0x3
	global_load_b128 v[49:52], v[41:42], off
	global_load_b128 v[53:56], v[41:42], off offset:16
	global_load_b128 v[41:44], v[45:46], off
	global_load_b128 v[45:48], v[45:46], off offset:16
	s_waitcnt vmcnt(18)
	v_wmma_f32_16x16x16_bf16 v[124:131], v[1:8], v[33:40], v[100:107]
	s_waitcnt vmcnt(16)
	v_wmma_f32_16x16x16_bf16 v[100:107], v[9:16], v[33:40], v[100:107]
	s_clause 0x1
	global_load_b128 v[33:36], v[70:71], off
	global_load_b128 v[37:40], v[70:71], off offset:16
	v_mad_i64_i32 v[70:71], null, s2, s5, v[68:69]
	s_waitcnt vmcnt(16)
	v_wmma_f32_16x16x16_bf16 v[124:131], v[17:24], v[108:115], v[124:131]
	s_waitcnt vmcnt(14)
	v_wmma_f32_16x16x16_bf16 v[100:107], v[25:32], v[108:115], v[100:107]
	s_clause 0x7
	global_load_b128 v[25:28], v[132:133], off
	global_load_b128 v[29:32], v[132:133], off offset:16
	global_load_b128 v[1:4], v[134:135], off
	global_load_b128 v[5:8], v[134:135], off offset:16
	;; [unrolled: 2-line block ×4, first 2 shown]
	s_waitcnt vmcnt(20)
	v_wmma_f32_16x16x16_bf16 v[124:131], v[57:64], v[116:123], v[124:131]
	s_clause 0x1
	global_load_b128 v[57:60], v[70:71], off
	global_load_b128 v[61:64], v[70:71], off offset:16
	s_waitcnt vmcnt(20)
	v_wmma_f32_16x16x16_bf16 v[100:107], v[76:83], v[116:123], v[100:107]
	ds_load_b128 v[76:79], v72 offset:6144
	ds_load_b128 v[80:83], v72 offset:7168
	v_and_b32_e32 v68, 0xe0, v0
	v_mbcnt_lo_u32_b32 v69, -1, 0
	s_waitcnt vmcnt(0) lgkmcnt(0)
	s_barrier
	buffer_gl0_inv
	v_add_nc_u32_e32 v68, s12, v68
	v_xor_b32_e32 v70, 16, v69
	s_delay_alu instid0(VALU_DEP_2) | instskip(NEXT) | instid1(VALU_DEP_2)
	v_or_b32_e32 v68, v68, v74
	v_cmp_gt_i32_e32 vcc_lo, 32, v70
	s_delay_alu instid0(VALU_DEP_2)
	v_or_b32_e32 v71, 4, v68
	v_or_b32_e32 v72, 6, v68
	v_cmp_gt_i32_e64 s2, s17, v68
	v_or_b32_e32 v108, 8, v68
	v_wmma_f32_16x16x16_bf16 v[124:131], v[84:91], v[76:83], v[124:131]
	v_cndmask_b32_e32 v69, v69, v70, vcc_lo
	v_or_b32_e32 v70, 2, v68
	v_wmma_f32_16x16x16_bf16 v[100:107], v[92:99], v[76:83], v[100:107]
	v_or_b32_e32 v109, 10, v68
	v_dual_mul_f32 v80, s18, v129 :: v_dual_mul_f32 v81, s18, v128
	v_dual_mul_f32 v92, s18, v125 :: v_dual_mul_f32 v93, s18, v124
	s_delay_alu instid0(VALU_DEP_4)
	v_mul_f32_e32 v96, s18, v105
	v_cmp_gt_i32_e32 vcc_lo, s17, v70
	v_or_b32_e32 v89, 22, v68
	v_dual_mul_f32 v79, s18, v130 :: v_dual_mul_f32 v82, s18, v127
	v_dual_mul_f32 v83, s18, v126 :: v_dual_mul_f32 v94, s18, v107
	v_cndmask_b32_e64 v93, 0xff7fffff, v93, s2
	v_cndmask_b32_e32 v92, 0xff7fffff, v92, vcc_lo
	v_cmp_gt_i32_e64 s3, s17, v71
	v_cmp_gt_i32_e64 s4, s17, v72
	v_or_b32_e32 v84, 12, v68
	v_or_b32_e32 v85, 14, v68
	v_cmp_gt_i32_e64 s5, s17, v108
	v_cndmask_b32_e64 v71, 0xff7fffff, v83, s3
	v_cndmask_b32_e64 v72, 0xff7fffff, v82, s4
	v_cmp_gt_i32_e64 s6, s17, v109
	v_cmp_gt_i32_e64 s12, s17, v89
	v_lshlrev_b32_e32 v89, 2, v69
	v_max3_f32 v82, v93, 0xff7fffff, v92
	v_or_b32_e32 v86, 16, v68
	v_or_b32_e32 v87, 18, v68
	v_mul_f32_e32 v78, s18, v131
	v_cndmask_b32_e64 v81, 0xff7fffff, v81, s5
	v_cndmask_b32_e64 v80, 0xff7fffff, v80, s6
	v_max3_f32 v71, v82, v71, v72
	v_cmp_gt_i32_e64 s7, s17, v84
	v_cmp_gt_i32_e64 s8, s17, v85
	v_or_b32_e32 v88, 20, v68
	v_or_b32_e32 v90, 24, v68
	;; [unrolled: 1-line block ×5, first 2 shown]
	v_dual_mul_f32 v97, s18, v104 :: v_dual_mul_f32 v70, s18, v101
	v_dual_mul_f32 v99, s18, v102 :: v_dual_mul_f32 v68, s18, v100
	v_cndmask_b32_e64 v72, 0xff7fffff, v79, s7
	v_cndmask_b32_e64 v78, 0xff7fffff, v78, s8
	v_max3_f32 v71, v71, v81, v80
	v_cmp_gt_i32_e64 s9, s17, v86
	v_cmp_gt_i32_e64 s10, s17, v87
	v_dual_mul_f32 v95, s18, v106 :: v_dual_mul_f32 v98, s18, v103
	s_delay_alu instid0(VALU_DEP_4) | instskip(NEXT) | instid1(VALU_DEP_4)
	v_max3_f32 v71, v71, v72, v78
	v_cndmask_b32_e64 v68, 0xff7fffff, v68, s9
	s_delay_alu instid0(VALU_DEP_4)
	v_cndmask_b32_e64 v70, 0xff7fffff, v70, s10
	v_cmp_gt_i32_e64 s11, s17, v88
	v_cndmask_b32_e64 v78, 0xff7fffff, v98, s12
	v_cmp_gt_i32_e64 s13, s17, v90
	v_cmp_gt_i32_e64 s15, s17, v91
	v_max3_f32 v68, v71, v68, v70
	v_cndmask_b32_e64 v72, 0xff7fffff, v99, s11
	v_cmp_gt_i32_e64 s16, s17, v76
	v_cndmask_b32_e64 v70, 0xff7fffff, v97, s13
	v_cndmask_b32_e64 v71, 0xff7fffff, v96, s15
	v_cmp_gt_i32_e64 s17, s17, v77
	v_max3_f32 v68, v68, v72, v78
	v_cndmask_b32_e64 v72, 0xff7fffff, v95, s16
	s_delay_alu instid0(VALU_DEP_3) | instskip(NEXT) | instid1(VALU_DEP_3)
	v_cndmask_b32_e64 v76, 0xff7fffff, v94, s17
	v_max3_f32 v68, v68, v70, v71
	s_delay_alu instid0(VALU_DEP_1) | instskip(SKIP_3) | instid1(VALU_DEP_1)
	v_max3_f32 v68, v68, v72, v76
	ds_bpermute_b32 v69, v89, v68
	s_waitcnt lgkmcnt(0)
	v_max_f32_e32 v69, v69, v69
	v_max_f32_e32 v68, v68, v69
	s_delay_alu instid0(VALU_DEP_1) | instskip(NEXT) | instid1(VALU_DEP_1)
	v_fma_f32 v71, s18, v126, -v68
	v_mul_f32_e32 v71, 0x3fb8aa3b, v71
	v_fma_f32 v70, s18, v125, -v68
	v_fma_f32 v69, s18, v124, -v68
	v_fma_f32 v76, s18, v128, -v68
	v_fma_f32 v72, s18, v127, -v68
	v_fma_f32 v78, s18, v130, -v68
	s_delay_alu instid0(VALU_DEP_4) | instskip(SKIP_1) | instid1(VALU_DEP_3)
	v_dual_mul_f32 v70, 0x3fb8aa3b, v70 :: v_dual_mul_f32 v69, 0x3fb8aa3b, v69
	v_exp_f32_e32 v71, v71
	v_mul_f32_e32 v72, 0x3fb8aa3b, v72
	v_fma_f32 v81, s18, v105, -v68
	s_delay_alu instid0(VALU_DEP_3)
	v_exp_f32_e32 v70, v70
	v_mul_f32_e32 v77, 0x3fb8aa3b, v76
	v_exp_f32_e32 v69, v69
	v_exp_f32_e32 v72, v72
	v_mul_f32_e32 v81, 0x3fb8aa3b, v81
	v_cndmask_b32_e64 v83, 0, v71, s3
	v_fma_f32 v71, s18, v131, -v68
	s_delay_alu instid0(VALU_DEP_3) | instskip(SKIP_4) | instid1(TRANS32_DEP_3)
	v_exp_f32_e32 v81, v81
	v_cndmask_b32_e32 v76, 0, v70, vcc_lo
	v_exp_f32_e32 v77, v77
	v_cndmask_b32_e64 v80, 0, v69, s2
	v_fma_f32 v69, s18, v129, -v68
	v_cndmask_b32_e64 v85, 0, v72, s4
	v_mul_f32_e32 v71, 0x3fb8aa3b, v71
	v_fma_f32 v72, s18, v100, -v68
	s_delay_alu instid0(VALU_DEP_4) | instskip(SKIP_1) | instid1(VALU_DEP_4)
	v_dual_add_f32 v70, 0, v80 :: v_dual_mul_f32 v69, 0x3fb8aa3b, v69
	v_cmp_gt_u32_e64 s2, 16, v67
	v_exp_f32_e32 v71, v71
	s_delay_alu instid0(TRANS32_DEP_2) | instskip(SKIP_4) | instid1(VALU_DEP_3)
	v_cndmask_b32_e64 v86, 0, v77, s5
	v_fma_f32 v77, s18, v101, -v68
	v_mul_f32_e32 v78, 0x3fb8aa3b, v78
	v_add_f32_e32 v70, v70, v76
	v_exp_f32_e32 v69, v69
	v_mul_f32_e32 v77, 0x3fb8aa3b, v77
	s_delay_alu instid0(VALU_DEP_3) | instskip(NEXT) | instid1(TRANS32_DEP_3)
	v_exp_f32_e32 v78, v78
	v_cndmask_b32_e64 v88, 0, v71, s8
	v_fma_f32 v71, s18, v104, -v68
	s_delay_alu instid0(VALU_DEP_3) | instskip(NEXT) | instid1(TRANS32_DEP_3)
	v_exp_f32_e32 v77, v77
	v_cndmask_b32_e64 v87, 0, v69, s6
	s_delay_alu instid0(VALU_DEP_2)
	v_mul_f32_e32 v71, 0x3fb8aa3b, v71
	s_waitcnt_depctr 0xfff
	v_cndmask_b32_e64 v84, 0, v78, s7
	v_add_f32_e32 v70, v70, v83
	v_fma_f32 v78, s18, v103, -v68
	v_exp_f32_e32 v82, v71
	s_delay_alu instid0(VALU_DEP_2) | instskip(SKIP_1) | instid1(VALU_DEP_3)
	v_add_f32_e32 v70, v70, v85
	v_mul_f32_e32 v72, 0x3fb8aa3b, v72
	v_mul_f32_e32 v78, 0x3fb8aa3b, v78
	s_delay_alu instid0(VALU_DEP_3) | instskip(SKIP_1) | instid1(VALU_DEP_4)
	v_add_f32_e32 v69, v70, v86
	v_fma_f32 v70, s18, v102, -v68
	v_exp_f32_e32 v72, v72
	s_delay_alu instid0(VALU_DEP_3) | instskip(NEXT) | instid1(VALU_DEP_1)
	v_exp_f32_e32 v78, v78
	v_dual_add_f32 v69, v69, v87 :: v_dual_mul_f32 v70, 0x3fb8aa3b, v70
	s_delay_alu instid0(VALU_DEP_1) | instskip(NEXT) | instid1(VALU_DEP_2)
	v_add_f32_e32 v69, v69, v84
	v_exp_f32_e32 v79, v70
	s_delay_alu instid0(TRANS32_DEP_3) | instskip(NEXT) | instid1(VALU_DEP_2)
	v_cndmask_b32_e64 v70, 0, v72, s9
	v_add_f32_e32 v72, v69, v88
	v_cndmask_b32_e64 v69, 0, v77, s10
	v_fma_f32 v77, s18, v106, -v68
	s_waitcnt_depctr 0xfff
	v_cndmask_b32_e64 v71, 0, v79, s11
	v_dual_mul_f32 v77, 0x3fb8aa3b, v77 :: v_dual_add_f32 v72, v72, v70
	s_delay_alu instid0(VALU_DEP_1) | instskip(NEXT) | instid1(VALU_DEP_1)
	v_exp_f32_e32 v90, v77
	v_add_f32_e32 v79, v72, v69
	v_cndmask_b32_e64 v72, 0, v78, s12
	v_cndmask_b32_e64 v77, 0, v82, s13
	s_delay_alu instid0(VALU_DEP_3) | instskip(SKIP_1) | instid1(VALU_DEP_1)
	v_add_f32_e32 v78, v79, v71
	v_fma_f32 v79, s18, v107, -v68
	v_dual_add_f32 v82, v78, v72 :: v_dual_mul_f32 v79, 0x3fb8aa3b, v79
	v_cndmask_b32_e64 v78, 0, v81, s15
	s_delay_alu instid0(VALU_DEP_2) | instskip(NEXT) | instid1(VALU_DEP_3)
	v_add_f32_e32 v81, v82, v77
	v_exp_f32_e32 v82, v79
	v_cndmask_b32_e64 v79, 0, v90, s16
	s_delay_alu instid0(VALU_DEP_2) | instskip(NEXT) | instid1(VALU_DEP_1)
	v_add_f32_e32 v81, v81, v78
	v_add_f32_e32 v90, v81, v79
	s_waitcnt_depctr 0xfff
	v_cndmask_b32_e64 v81, 0, v82, s17
	s_delay_alu instid0(VALU_DEP_1)
	v_add_f32_e32 v82, v90, v81
	ds_bpermute_b32 v89, v89, v82
	s_and_saveexec_b32 s3, s2
	s_cbranch_execz .LBB1618_12
; %bb.11:
	v_mul_u32_u24_e32 v67, 0x44, v66
	s_delay_alu instid0(VALU_DEP_1) | instskip(SKIP_1) | instid1(VALU_DEP_1)
	v_lshl_add_u32 v67, v65, 2, v67
	s_waitcnt lgkmcnt(0)
	v_dual_add_f32 v82, v82, v89 :: v_dual_add_nc_u32 v67, 0x4000, v67
	ds_store_2addr_b32 v67, v68, v82 offset1:136
.LBB1618_12:
	s_or_b32 exec_lo, exec_lo, s3
	v_lshlrev_b32_e32 v67, 2, v65
	s_waitcnt lgkmcnt(0)
	s_barrier
	buffer_gl0_inv
	v_cmp_eq_u32_e32 vcc_lo, 1, v66
	v_add_nc_u32_e32 v82, 0x4000, v67
	v_cmp_eq_u32_e64 s3, 2, v66
	v_cmp_eq_u32_e64 s5, 7, v66
	ds_load_2addr_b32 v[89:90], v82 offset1:17
	ds_load_2addr_b32 v[91:92], v82 offset0:34 offset1:51
	ds_load_2addr_b32 v[93:94], v82 offset0:68 offset1:85
	;; [unrolled: 1-line block ×4, first 2 shown]
	s_waitcnt lgkmcnt(4)
	v_max3_f32 v67, v89, 0xff7fffff, v90
	s_waitcnt lgkmcnt(3)
	s_delay_alu instid0(VALU_DEP_1) | instskip(SKIP_1) | instid1(VALU_DEP_1)
	v_max3_f32 v67, v67, v91, v92
	s_waitcnt lgkmcnt(2)
	v_max3_f32 v67, v67, v93, v94
	s_waitcnt lgkmcnt(1)
	s_delay_alu instid0(VALU_DEP_1) | instskip(NEXT) | instid1(VALU_DEP_1)
	v_max3_f32 v67, v67, v95, v96
	v_sub_f32_e32 v93, v93, v67
	s_delay_alu instid0(VALU_DEP_1) | instskip(NEXT) | instid1(VALU_DEP_1)
	v_dual_sub_f32 v68, v89, v67 :: v_dual_mul_f32 v103, 0x3fb8aa3b, v93
	v_mul_f32_e32 v68, 0x3fb8aa3b, v68
	s_delay_alu instid0(VALU_DEP_1)
	v_exp_f32_e32 v100, v68
	v_sub_f32_e32 v68, v92, v67
	v_sub_f32_e32 v99, v90, v67
	ds_load_2addr_b32 v[89:90], v82 offset0:170 offset1:187
	v_dual_mul_f32 v102, 0x3fb8aa3b, v68 :: v_dual_mul_f32 v99, 0x3fb8aa3b, v99
	s_waitcnt lgkmcnt(1)
	v_fma_f32 v68, v100, v97, 0
	s_delay_alu instid0(VALU_DEP_2) | instskip(NEXT) | instid1(VALU_DEP_2)
	v_exp_f32_e32 v102, v102
	v_exp_f32_e32 v99, v99
	s_waitcnt_depctr 0xfff
	v_fmac_f32_e32 v68, v99, v98
	v_sub_f32_e32 v91, v91, v67
	s_delay_alu instid0(VALU_DEP_1)
	v_mul_f32_e32 v101, 0x3fb8aa3b, v91
	ds_load_2addr_b32 v[91:92], v82 offset0:204 offset1:221
	v_sub_f32_e32 v97, v94, v67
	ds_load_2addr_b32 v[93:94], v82 offset0:238 offset1:255
	s_waitcnt lgkmcnt(0)
	v_exp_f32_e32 v101, v101
	s_barrier
	buffer_gl0_inv
	v_dual_fmac_f32 v68, v101, v89 :: v_dual_sub_f32 v89, v96, v67
	v_dual_sub_f32 v82, v95, v67 :: v_dual_mul_f32 v95, 0x3fb8aa3b, v97
	v_exp_f32_e32 v97, v103
	s_delay_alu instid0(VALU_DEP_2) | instskip(NEXT) | instid1(VALU_DEP_2)
	v_dual_fmac_f32 v68, v102, v90 :: v_dual_mul_f32 v89, 0x3fb8aa3b, v89
	v_mul_f32_e32 v82, 0x3fb8aa3b, v82
	s_delay_alu instid0(VALU_DEP_3) | instskip(NEXT) | instid1(VALU_DEP_2)
	v_exp_f32_e32 v95, v95
	v_exp_f32_e32 v89, v89
	s_delay_alu instid0(VALU_DEP_1)
	v_exp_f32_e32 v82, v82
	v_fmac_f32_e32 v68, v97, v91
	s_delay_alu instid0(TRANS32_DEP_3) | instid1(VALU_DEP_1)
	v_fmac_f32_e32 v68, v95, v92
	s_waitcnt_depctr 0xfff
	v_fmac_f32_e32 v68, v82, v93
	s_delay_alu instid0(VALU_DEP_1) | instskip(NEXT) | instid1(VALU_DEP_1)
	v_fmac_f32_e32 v68, v89, v94
	v_add_f32_e32 v90, 0x358637bd, v68
	s_delay_alu instid0(VALU_DEP_1) | instskip(NEXT) | instid1(VALU_DEP_1)
	v_div_scale_f32 v91, null, v90, v90, 1.0
	v_rcp_f32_e32 v92, v91
	s_waitcnt_depctr 0xfff
	v_fma_f32 v93, -v91, v92, 1.0
	s_delay_alu instid0(VALU_DEP_1) | instskip(SKIP_1) | instid1(VALU_DEP_2)
	v_dual_fmac_f32 v92, v93, v92 :: v_dual_cndmask_b32 v93, v100, v99
	v_cmp_eq_u32_e32 vcc_lo, 3, v66
	v_cndmask_b32_e64 v93, v93, v101, s3
	v_cmp_eq_u32_e64 s3, 4, v66
	s_delay_alu instid0(VALU_DEP_2) | instskip(SKIP_1) | instid1(VALU_DEP_2)
	v_cndmask_b32_e32 v93, v93, v102, vcc_lo
	v_cmp_eq_u32_e32 vcc_lo, 5, v66
	v_cndmask_b32_e64 v93, v93, v97, s3
	v_cmp_eq_u32_e64 s3, 6, v66
	s_delay_alu instid0(VALU_DEP_2) | instskip(SKIP_1) | instid1(VALU_DEP_1)
	v_cndmask_b32_e32 v93, v93, v95, vcc_lo
	v_div_scale_f32 v94, s4, 1.0, v90, 1.0
	s_mov_b32 vcc_lo, s4
	s_delay_alu instid0(VALU_DEP_2) | instskip(NEXT) | instid1(VALU_DEP_2)
	v_cndmask_b32_e64 v82, v93, v82, s3
	v_mul_f32_e32 v96, v94, v92
	s_mov_b32 s3, exec_lo
	s_delay_alu instid0(VALU_DEP_2) | instskip(NEXT) | instid1(VALU_DEP_2)
	v_cndmask_b32_e64 v82, v82, v89, s5
	v_fma_f32 v98, -v91, v96, v94
	s_delay_alu instid0(VALU_DEP_1) | instskip(NEXT) | instid1(VALU_DEP_1)
	v_fmac_f32_e32 v96, v98, v92
	v_fma_f32 v91, -v91, v96, v94
	s_delay_alu instid0(VALU_DEP_1) | instskip(NEXT) | instid1(VALU_DEP_1)
	v_div_fmas_f32 v91, v91, v92, v96
	v_div_fixup_f32 v90, v91, v90, 1.0
	s_delay_alu instid0(VALU_DEP_1) | instskip(NEXT) | instid1(VALU_DEP_1)
	v_mul_f32_e32 v82, v82, v90
	v_mul_f32_e32 v87, v82, v87
	;; [unrolled: 1-line block ×7, first 2 shown]
	v_dual_mul_f32 v86, v82, v83 :: v_dual_and_b32 v91, 0x7f800000, v90
	v_mul_f32_e32 v85, v82, v76
                                        ; implicit-def: $vgpr76
	s_delay_alu instid0(VALU_DEP_2)
	v_cmpx_ne_u32_e32 0x7f800000, v91
	s_xor_b32 s3, exec_lo, s3
; %bb.13:
	v_bfe_u32 v76, v90, 16, 1
	s_delay_alu instid0(VALU_DEP_1)
	v_add3_u32 v76, v90, v76, 0x7fff
                                        ; implicit-def: $vgpr90
; %bb.14:
	s_and_not1_saveexec_b32 s3, s3
; %bb.15:
	v_and_b32_e32 v76, 0xffff, v90
	v_or_b32_e32 v83, 0x10000, v90
	s_delay_alu instid0(VALU_DEP_2) | instskip(NEXT) | instid1(VALU_DEP_2)
	v_cmp_eq_u32_e32 vcc_lo, 0, v76
	v_cndmask_b32_e32 v76, v83, v90, vcc_lo
; %bb.16:
	s_or_b32 exec_lo, exec_lo, s3
	v_and_b32_e32 v83, 0x7f800000, v85
	s_delay_alu instid0(VALU_DEP_1) | instskip(SKIP_1) | instid1(SALU_CYCLE_1)
	v_cmp_ne_u32_e32 vcc_lo, 0x7f800000, v83
                                        ; implicit-def: $vgpr83
	s_and_saveexec_b32 s3, vcc_lo
	s_xor_b32 s3, exec_lo, s3
; %bb.17:
	v_bfe_u32 v83, v85, 16, 1
	s_delay_alu instid0(VALU_DEP_1)
	v_add3_u32 v83, v85, v83, 0x7fff
                                        ; implicit-def: $vgpr85
; %bb.18:
	s_and_not1_saveexec_b32 s3, s3
; %bb.19:
	v_and_b32_e32 v83, 0xffff, v85
	v_or_b32_e32 v90, 0x10000, v85
	s_delay_alu instid0(VALU_DEP_2) | instskip(NEXT) | instid1(VALU_DEP_2)
	v_cmp_eq_u32_e32 vcc_lo, 0, v83
	v_cndmask_b32_e32 v83, v90, v85, vcc_lo
; %bb.20:
	s_or_b32 exec_lo, exec_lo, s3
	v_and_b32_e32 v85, 0x7f800000, v86
	s_delay_alu instid0(VALU_DEP_1) | instskip(SKIP_1) | instid1(SALU_CYCLE_1)
	v_cmp_ne_u32_e32 vcc_lo, 0x7f800000, v85
                                        ; implicit-def: $vgpr85
	s_and_saveexec_b32 s3, vcc_lo
	s_xor_b32 s3, exec_lo, s3
; %bb.21:
	v_bfe_u32 v85, v86, 16, 1
	s_delay_alu instid0(VALU_DEP_1)
	v_add3_u32 v85, v86, v85, 0x7fff
                                        ; implicit-def: $vgpr86
; %bb.22:
	s_and_not1_saveexec_b32 s3, s3
; %bb.23:
	v_and_b32_e32 v85, 0xffff, v86
	v_or_b32_e32 v90, 0x10000, v86
	s_delay_alu instid0(VALU_DEP_2) | instskip(NEXT) | instid1(VALU_DEP_2)
	v_cmp_eq_u32_e32 vcc_lo, 0, v85
	v_cndmask_b32_e32 v85, v90, v86, vcc_lo
; %bb.24:
	s_or_b32 exec_lo, exec_lo, s3
	v_and_b32_e32 v86, 0x7f800000, v89
	s_delay_alu instid0(VALU_DEP_1) | instskip(SKIP_1) | instid1(SALU_CYCLE_1)
	v_cmp_ne_u32_e32 vcc_lo, 0x7f800000, v86
                                        ; implicit-def: $vgpr86
	s_and_saveexec_b32 s3, vcc_lo
	s_xor_b32 s3, exec_lo, s3
; %bb.25:
	v_bfe_u32 v86, v89, 16, 1
	s_delay_alu instid0(VALU_DEP_1)
	v_add3_u32 v86, v89, v86, 0x7fff
                                        ; implicit-def: $vgpr89
; %bb.26:
	s_and_not1_saveexec_b32 s3, s3
; %bb.27:
	v_and_b32_e32 v86, 0xffff, v89
	v_or_b32_e32 v90, 0x10000, v89
	s_delay_alu instid0(VALU_DEP_2) | instskip(NEXT) | instid1(VALU_DEP_2)
	v_cmp_eq_u32_e32 vcc_lo, 0, v86
	v_cndmask_b32_e32 v86, v90, v89, vcc_lo
; %bb.28:
	s_or_b32 exec_lo, exec_lo, s3
	v_and_b32_e32 v89, 0x7f800000, v88
	s_delay_alu instid0(VALU_DEP_1) | instskip(SKIP_1) | instid1(SALU_CYCLE_1)
	v_cmp_ne_u32_e32 vcc_lo, 0x7f800000, v89
                                        ; implicit-def: $vgpr89
	s_and_saveexec_b32 s3, vcc_lo
	s_xor_b32 s3, exec_lo, s3
; %bb.29:
	v_bfe_u32 v89, v88, 16, 1
	s_delay_alu instid0(VALU_DEP_1)
	v_add3_u32 v89, v88, v89, 0x7fff
                                        ; implicit-def: $vgpr88
; %bb.30:
	s_and_not1_saveexec_b32 s3, s3
; %bb.31:
	v_and_b32_e32 v89, 0xffff, v88
	v_or_b32_e32 v90, 0x10000, v88
	s_delay_alu instid0(VALU_DEP_2) | instskip(NEXT) | instid1(VALU_DEP_2)
	v_cmp_eq_u32_e32 vcc_lo, 0, v89
	v_cndmask_b32_e32 v89, v90, v88, vcc_lo
; %bb.32:
	s_or_b32 exec_lo, exec_lo, s3
	v_and_b32_e32 v88, 0x7f800000, v87
	s_delay_alu instid0(VALU_DEP_1) | instskip(SKIP_1) | instid1(SALU_CYCLE_1)
	v_cmp_ne_u32_e32 vcc_lo, 0x7f800000, v88
                                        ; implicit-def: $vgpr88
	s_and_saveexec_b32 s3, vcc_lo
	s_xor_b32 s3, exec_lo, s3
; %bb.33:
	v_bfe_u32 v88, v87, 16, 1
	s_delay_alu instid0(VALU_DEP_1)
	v_add3_u32 v88, v87, v88, 0x7fff
                                        ; implicit-def: $vgpr87
; %bb.34:
	s_and_not1_saveexec_b32 s3, s3
; %bb.35:
	v_and_b32_e32 v88, 0xffff, v87
	v_or_b32_e32 v90, 0x10000, v87
	s_delay_alu instid0(VALU_DEP_2) | instskip(NEXT) | instid1(VALU_DEP_2)
	v_cmp_eq_u32_e32 vcc_lo, 0, v88
	v_cndmask_b32_e32 v88, v90, v87, vcc_lo
; %bb.36:
	s_or_b32 exec_lo, exec_lo, s3
	v_and_b32_e32 v87, 0x7f800000, v84
	s_delay_alu instid0(VALU_DEP_1) | instskip(SKIP_1) | instid1(SALU_CYCLE_1)
	v_cmp_ne_u32_e32 vcc_lo, 0x7f800000, v87
                                        ; implicit-def: $vgpr87
	s_and_saveexec_b32 s3, vcc_lo
	s_xor_b32 s3, exec_lo, s3
; %bb.37:
	v_bfe_u32 v87, v84, 16, 1
	s_delay_alu instid0(VALU_DEP_1)
	v_add3_u32 v87, v84, v87, 0x7fff
                                        ; implicit-def: $vgpr84
; %bb.38:
	s_and_not1_saveexec_b32 s3, s3
; %bb.39:
	v_and_b32_e32 v87, 0xffff, v84
	v_or_b32_e32 v90, 0x10000, v84
	s_delay_alu instid0(VALU_DEP_2) | instskip(NEXT) | instid1(VALU_DEP_2)
	v_cmp_eq_u32_e32 vcc_lo, 0, v87
	v_cndmask_b32_e32 v87, v90, v84, vcc_lo
; %bb.40:
	s_or_b32 exec_lo, exec_lo, s3
	v_and_b32_e32 v84, 0x7f800000, v80
	s_delay_alu instid0(VALU_DEP_1) | instskip(SKIP_1) | instid1(SALU_CYCLE_1)
	v_cmp_ne_u32_e32 vcc_lo, 0x7f800000, v84
                                        ; implicit-def: $vgpr84
	s_and_saveexec_b32 s3, vcc_lo
	s_xor_b32 s3, exec_lo, s3
; %bb.41:
	v_bfe_u32 v84, v80, 16, 1
	s_delay_alu instid0(VALU_DEP_1)
	v_add3_u32 v84, v80, v84, 0x7fff
                                        ; implicit-def: $vgpr80
; %bb.42:
	s_and_not1_saveexec_b32 s3, s3
; %bb.43:
	v_and_b32_e32 v84, 0xffff, v80
	v_or_b32_e32 v90, 0x10000, v80
	s_delay_alu instid0(VALU_DEP_2) | instskip(NEXT) | instid1(VALU_DEP_2)
	v_cmp_eq_u32_e32 vcc_lo, 0, v84
	v_cndmask_b32_e32 v84, v90, v80, vcc_lo
; %bb.44:
	s_or_b32 exec_lo, exec_lo, s3
	s_load_b64 s[34:35], s[0:1], 0x94
	v_lshlrev_b32_e32 v91, 4, v74
	s_delay_alu instid0(VALU_DEP_2)
	v_perm_b32 v90, v84, v87, 0x7060302
	v_dual_mul_f32 v79, v82, v79 :: v_dual_lshlrev_b32 v80, 6, v65
	v_dual_mul_f32 v77, v82, v77 :: v_dual_lshlrev_b32 v92, 11, v66
	v_mul_f32_e32 v84, v82, v70
	v_perm_b32 v89, v88, v89, 0x7060302
	v_perm_b32 v88, v86, v85, 0x7060302
	;; [unrolled: 1-line block ×3, first 2 shown]
	v_mul_f32_e32 v70, v82, v81
	v_or3_b32 v76, v91, v92, v80
	v_dual_mul_f32 v78, v82, v78 :: v_dual_and_b32 v85, 0x7f800000, v84
	v_mul_f32_e32 v83, v82, v72
	v_mul_f32_e32 v81, v82, v71
	v_mul_f32_e32 v72, v82, v69
	s_mov_b32 s3, exec_lo
	ds_store_b128 v76, v[87:90]
                                        ; implicit-def: $vgpr69
	v_cmpx_ne_u32_e32 0x7f800000, v85
	s_xor_b32 s3, exec_lo, s3
; %bb.45:
	v_bfe_u32 v69, v84, 16, 1
	s_delay_alu instid0(VALU_DEP_1)
	v_add3_u32 v69, v84, v69, 0x7fff
                                        ; implicit-def: $vgpr84
; %bb.46:
	s_and_not1_saveexec_b32 s3, s3
; %bb.47:
	v_and_b32_e32 v69, 0xffff, v84
	v_or_b32_e32 v71, 0x10000, v84
	s_delay_alu instid0(VALU_DEP_2) | instskip(NEXT) | instid1(VALU_DEP_2)
	v_cmp_eq_u32_e32 vcc_lo, 0, v69
	v_cndmask_b32_e32 v69, v71, v84, vcc_lo
; %bb.48:
	s_or_b32 exec_lo, exec_lo, s3
	v_and_b32_e32 v71, 0x7f800000, v72
	s_delay_alu instid0(VALU_DEP_1) | instskip(SKIP_1) | instid1(SALU_CYCLE_1)
	v_cmp_ne_u32_e32 vcc_lo, 0x7f800000, v71
                                        ; implicit-def: $vgpr71
	s_and_saveexec_b32 s3, vcc_lo
	s_xor_b32 s3, exec_lo, s3
; %bb.49:
	v_bfe_u32 v71, v72, 16, 1
	s_delay_alu instid0(VALU_DEP_1)
	v_add3_u32 v71, v72, v71, 0x7fff
                                        ; implicit-def: $vgpr72
; %bb.50:
	s_and_not1_saveexec_b32 s3, s3
; %bb.51:
	v_and_b32_e32 v71, 0xffff, v72
	v_or_b32_e32 v82, 0x10000, v72
	s_delay_alu instid0(VALU_DEP_2) | instskip(NEXT) | instid1(VALU_DEP_2)
	v_cmp_eq_u32_e32 vcc_lo, 0, v71
	v_cndmask_b32_e32 v71, v82, v72, vcc_lo
; %bb.52:
	s_or_b32 exec_lo, exec_lo, s3
	v_and_b32_e32 v72, 0x7f800000, v81
	s_delay_alu instid0(VALU_DEP_1) | instskip(SKIP_1) | instid1(SALU_CYCLE_1)
	v_cmp_ne_u32_e32 vcc_lo, 0x7f800000, v72
                                        ; implicit-def: $vgpr72
	s_and_saveexec_b32 s3, vcc_lo
	s_xor_b32 s3, exec_lo, s3
; %bb.53:
	v_bfe_u32 v72, v81, 16, 1
	s_delay_alu instid0(VALU_DEP_1)
	v_add3_u32 v72, v81, v72, 0x7fff
                                        ; implicit-def: $vgpr81
; %bb.54:
	s_and_not1_saveexec_b32 s3, s3
; %bb.55:
	v_and_b32_e32 v72, 0xffff, v81
	v_or_b32_e32 v82, 0x10000, v81
	s_delay_alu instid0(VALU_DEP_2) | instskip(NEXT) | instid1(VALU_DEP_2)
	v_cmp_eq_u32_e32 vcc_lo, 0, v72
	v_cndmask_b32_e32 v72, v82, v81, vcc_lo
; %bb.56:
	s_or_b32 exec_lo, exec_lo, s3
	v_and_b32_e32 v81, 0x7f800000, v83
	s_delay_alu instid0(VALU_DEP_1) | instskip(SKIP_1) | instid1(SALU_CYCLE_1)
	v_cmp_ne_u32_e32 vcc_lo, 0x7f800000, v81
                                        ; implicit-def: $vgpr81
	s_and_saveexec_b32 s3, vcc_lo
	s_xor_b32 s3, exec_lo, s3
; %bb.57:
	v_bfe_u32 v81, v83, 16, 1
	s_delay_alu instid0(VALU_DEP_1)
	v_add3_u32 v81, v83, v81, 0x7fff
                                        ; implicit-def: $vgpr83
; %bb.58:
	s_and_not1_saveexec_b32 s3, s3
; %bb.59:
	v_and_b32_e32 v81, 0xffff, v83
	v_or_b32_e32 v82, 0x10000, v83
	s_delay_alu instid0(VALU_DEP_2) | instskip(NEXT) | instid1(VALU_DEP_2)
	v_cmp_eq_u32_e32 vcc_lo, 0, v81
	v_cndmask_b32_e32 v81, v82, v83, vcc_lo
; %bb.60:
	s_or_b32 exec_lo, exec_lo, s3
	v_and_b32_e32 v82, 0x7f800000, v77
	s_delay_alu instid0(VALU_DEP_1) | instskip(SKIP_1) | instid1(SALU_CYCLE_1)
	v_cmp_ne_u32_e32 vcc_lo, 0x7f800000, v82
                                        ; implicit-def: $vgpr82
	s_and_saveexec_b32 s3, vcc_lo
	s_xor_b32 s3, exec_lo, s3
; %bb.61:
	v_bfe_u32 v82, v77, 16, 1
	s_delay_alu instid0(VALU_DEP_1)
	v_add3_u32 v82, v77, v82, 0x7fff
                                        ; implicit-def: $vgpr77
; %bb.62:
	s_and_not1_saveexec_b32 s3, s3
; %bb.63:
	v_and_b32_e32 v82, 0xffff, v77
	v_or_b32_e32 v83, 0x10000, v77
	s_delay_alu instid0(VALU_DEP_2) | instskip(NEXT) | instid1(VALU_DEP_2)
	v_cmp_eq_u32_e32 vcc_lo, 0, v82
	v_cndmask_b32_e32 v82, v83, v77, vcc_lo
; %bb.64:
	s_or_b32 exec_lo, exec_lo, s3
	v_and_b32_e32 v77, 0x7f800000, v78
	s_delay_alu instid0(VALU_DEP_1) | instskip(SKIP_1) | instid1(SALU_CYCLE_1)
	v_cmp_ne_u32_e32 vcc_lo, 0x7f800000, v77
                                        ; implicit-def: $vgpr77
	s_and_saveexec_b32 s3, vcc_lo
	s_xor_b32 s3, exec_lo, s3
; %bb.65:
	v_bfe_u32 v77, v78, 16, 1
	s_delay_alu instid0(VALU_DEP_1)
	v_add3_u32 v77, v78, v77, 0x7fff
                                        ; implicit-def: $vgpr78
; %bb.66:
	s_and_not1_saveexec_b32 s3, s3
; %bb.67:
	v_and_b32_e32 v77, 0xffff, v78
	v_or_b32_e32 v83, 0x10000, v78
	s_delay_alu instid0(VALU_DEP_2) | instskip(NEXT) | instid1(VALU_DEP_2)
	v_cmp_eq_u32_e32 vcc_lo, 0, v77
	v_cndmask_b32_e32 v77, v83, v78, vcc_lo
; %bb.68:
	s_or_b32 exec_lo, exec_lo, s3
	v_and_b32_e32 v78, 0x7f800000, v79
	s_delay_alu instid0(VALU_DEP_1) | instskip(SKIP_1) | instid1(SALU_CYCLE_1)
	v_cmp_ne_u32_e32 vcc_lo, 0x7f800000, v78
                                        ; implicit-def: $vgpr78
	s_and_saveexec_b32 s3, vcc_lo
	s_xor_b32 s3, exec_lo, s3
; %bb.69:
	v_bfe_u32 v78, v79, 16, 1
	s_delay_alu instid0(VALU_DEP_1)
	v_add3_u32 v78, v79, v78, 0x7fff
                                        ; implicit-def: $vgpr79
; %bb.70:
	s_and_not1_saveexec_b32 s3, s3
; %bb.71:
	v_and_b32_e32 v78, 0xffff, v79
	v_or_b32_e32 v83, 0x10000, v79
	s_delay_alu instid0(VALU_DEP_2) | instskip(NEXT) | instid1(VALU_DEP_2)
	v_cmp_eq_u32_e32 vcc_lo, 0, v78
	v_cndmask_b32_e32 v78, v83, v79, vcc_lo
; %bb.72:
	s_or_b32 exec_lo, exec_lo, s3
	v_and_b32_e32 v79, 0x7f800000, v70
	s_delay_alu instid0(VALU_DEP_1) | instskip(SKIP_1) | instid1(SALU_CYCLE_1)
	v_cmp_ne_u32_e32 vcc_lo, 0x7f800000, v79
                                        ; implicit-def: $vgpr79
	s_and_saveexec_b32 s3, vcc_lo
	s_xor_b32 s3, exec_lo, s3
; %bb.73:
	v_bfe_u32 v79, v70, 16, 1
	s_delay_alu instid0(VALU_DEP_1)
	v_add3_u32 v79, v70, v79, 0x7fff
                                        ; implicit-def: $vgpr70
; %bb.74:
	s_and_not1_saveexec_b32 s3, s3
; %bb.75:
	v_and_b32_e32 v79, 0xffff, v70
	v_or_b32_e32 v83, 0x10000, v70
	s_delay_alu instid0(VALU_DEP_2) | instskip(NEXT) | instid1(VALU_DEP_2)
	v_cmp_eq_u32_e32 vcc_lo, 0, v79
	v_cndmask_b32_e32 v79, v83, v70, vcc_lo
; %bb.76:
	s_or_b32 exec_lo, exec_lo, s3
	s_delay_alu instid0(VALU_DEP_1)
	v_perm_b32 v86, v79, v78, 0x7060302
	v_perm_b32 v85, v77, v82, 0x7060302
	;; [unrolled: 1-line block ×4, first 2 shown]
	v_lshl_or_b32 v82, v66, 11, v80
	ds_store_b128 v76, v[83:86] offset:1024
	s_waitcnt lgkmcnt(0)
	s_barrier
	buffer_gl0_inv
	ds_load_b128 v[69:72], v82
	ds_load_b128 v[83:86], v82 offset:16
	s_waitcnt lgkmcnt(1)
	v_lshrrev_b32_e32 v66, 16, v69
	s_waitcnt lgkmcnt(0)
	v_lshrrev_b32_e32 v91, 16, v83
	v_lshlrev_b32_e32 v78, 2, v74
	v_lshrrev_b32_e32 v95, 16, v70
	v_lshrrev_b32_e32 v98, 16, v84
	;; [unrolled: 1-line block ×4, first 2 shown]
	v_cmp_eq_u32_e32 vcc_lo, 1, v78
	v_lshrrev_b32_e32 v97, 16, v72
	v_lshrrev_b32_e32 v100, 16, v86
	v_cndmask_b32_e32 v87, v83, v91, vcc_lo
	v_or_b32_e32 v79, 1, v78
	v_cndmask_b32_e32 v81, v69, v66, vcc_lo
	v_cmp_eq_u32_e64 s4, 2, v78
	v_cmp_eq_u32_e64 s7, 3, v78
	;; [unrolled: 1-line block ×5, first 2 shown]
	v_cndmask_b32_e64 v81, v81, v70, s4
	v_cndmask_b32_e64 v87, v87, v84, s4
	v_cmp_eq_u32_e64 s8, 3, v79
	v_cndmask_b32_e64 v88, v69, v66, s3
	v_or_b32_e32 v77, 2, v78
	v_cndmask_b32_e64 v81, v81, v95, s7
	v_cndmask_b32_e64 v87, v87, v98, s7
	;; [unrolled: 1-line block ×4, first 2 shown]
	v_cmp_eq_u32_e64 s10, 5, v78
	v_cndmask_b32_e64 v81, v81, v71, s9
	v_cndmask_b32_e64 v87, v87, v85, s9
	v_cmp_eq_u32_e64 s11, 4, v79
	v_cndmask_b32_e64 v88, v88, v95, s8
	v_cmp_eq_u32_e64 s5, 1, v77
	v_cndmask_b32_e64 v89, v89, v84, s6
	v_cndmask_b32_e64 v81, v81, v96, s10
	v_cmp_eq_u32_e64 s12, 6, v78
	v_cndmask_b32_e64 v88, v88, v71, s11
	;; [unrolled: 3-line block ×3, first 2 shown]
	v_cndmask_b32_e64 v89, v89, v98, s8
	v_cndmask_b32_e64 v81, v81, v72, s12
	v_cmp_eq_u32_e64 s15, 7, v78
	v_cndmask_b32_e64 v88, v88, v96, s13
	v_cndmask_b32_e64 v87, v87, v86, s12
	v_cmp_eq_u32_e64 s16, 6, v79
	v_cmp_eq_u32_e64 s17, 2, v77
	v_cndmask_b32_e64 v89, v89, v85, s11
	v_cndmask_b32_e64 v101, v81, v97, s15
	v_cndmask_b32_e64 v102, v87, v100, s15
	v_cndmask_b32_e64 v88, v88, v72, s16
	v_cndmask_b32_e64 v81, v90, v70, s17
	v_cndmask_b32_e64 v87, v83, v91, s5
	v_cmp_eq_u32_e64 s18, 7, v79
	v_cmp_eq_u32_e64 s19, 3, v77
	;; [unrolled: 1-line block ×4, first 2 shown]
	v_cndmask_b32_e64 v87, v87, v84, s17
	v_cndmask_b32_e64 v103, v88, v97, s18
	;; [unrolled: 1-line block ×4, first 2 shown]
	v_or_b32_e32 v81, 3, v78
	v_cndmask_b32_e64 v93, v87, v98, s19
	v_cmp_eq_u32_e64 s24, 6, v77
	v_cndmask_b32_e64 v104, v88, v86, s16
	v_cndmask_b32_e64 v92, v89, v71, s20
	v_cmp_eq_u32_e64 s21, 1, v81
	ds_load_b128 v[87:90], v82 offset:1024
	v_cmp_eq_u32_e64 s23, 2, v81
	v_cmp_eq_u32_e64 s25, 3, v81
	v_cndmask_b32_e64 v105, v92, v96, s22
	v_cndmask_b32_e64 v66, v69, v66, s21
	;; [unrolled: 1-line block ×4, first 2 shown]
	ds_load_b128 v[91:94], v82 offset:1040
	v_cmp_eq_u32_e64 s26, 4, v81
	v_cndmask_b32_e64 v66, v66, v70, s23
	v_cmp_eq_u32_e64 s27, 7, v77
	v_cndmask_b32_e64 v70, v83, v84, s23
	v_cndmask_b32_e64 v84, v105, v72, s24
	v_cmp_eq_u32_e64 s28, 5, v81
	v_cndmask_b32_e64 v66, v66, v95, s25
	v_cmp_eq_u32_e64 s29, 6, v81
	v_cndmask_b32_e64 v70, v70, v98, s25
	v_cndmask_b32_e64 v69, v69, v99, s22
	;; [unrolled: 1-line block ×4, first 2 shown]
	s_waitcnt lgkmcnt(1)
	v_lshrrev_b32_e32 v95, 16, v87
	v_cndmask_b32_e64 v70, v70, v85, s26
	v_cndmask_b32_e64 v71, v84, v97, s27
	;; [unrolled: 1-line block ×4, first 2 shown]
	v_cndmask_b32_e32 v84, v87, v95, vcc_lo
	v_cndmask_b32_e64 v70, v70, v99, s28
	s_waitcnt lgkmcnt(0)
	v_lshrrev_b32_e32 v85, 16, v91
	v_lshrrev_b32_e32 v96, 16, v88
	v_cndmask_b32_e64 v98, v87, v95, s3
	v_cndmask_b32_e64 v84, v84, v88, s4
	;; [unrolled: 1-line block ×3, first 2 shown]
	v_cndmask_b32_e32 v99, v91, v85, vcc_lo
	v_cmp_eq_u32_e32 vcc_lo, 7, v81
	v_cndmask_b32_e64 v66, v66, v72, s29
	v_cndmask_b32_e64 v72, v84, v96, s7
	;; [unrolled: 1-line block ×3, first 2 shown]
	v_lshrrev_b32_e32 v98, 16, v92
	v_cndmask_b32_e32 v70, v70, v100, vcc_lo
	v_cndmask_b32_e64 v86, v99, v92, s4
	v_cndmask_b32_e64 v69, v69, v100, s27
	v_lshrrev_b32_e32 v100, 16, v93
	v_cndmask_b32_e64 v72, v72, v89, s9
	v_lshrrev_b32_e32 v99, 16, v89
	v_cndmask_b32_e64 v86, v86, v98, s7
	v_perm_b32 v71, v69, v71, 0x5040100
	v_cndmask_b32_e64 v84, v84, v96, s8
	s_delay_alu instid0(VALU_DEP_3) | instskip(NEXT) | instid1(VALU_DEP_2)
	v_cndmask_b32_e64 v86, v86, v93, s9
	v_cndmask_b32_e64 v84, v84, v89, s11
	s_delay_alu instid0(VALU_DEP_2) | instskip(NEXT) | instid1(VALU_DEP_1)
	v_cndmask_b32_e64 v86, v86, v100, s10
	v_cndmask_b32_e64 v69, v86, v94, s12
	;; [unrolled: 1-line block ×5, first 2 shown]
	s_delay_alu instid0(VALU_DEP_3) | instskip(NEXT) | instid1(VALU_DEP_3)
	v_cndmask_b32_e64 v86, v86, v88, s17
	v_cndmask_b32_e64 v87, v87, v88, s23
	s_delay_alu instid0(VALU_DEP_3) | instskip(NEXT) | instid1(VALU_DEP_3)
	v_cndmask_b32_e64 v88, v95, v92, s23
	v_cndmask_b32_e64 v86, v86, v96, s19
	;; [unrolled: 3-line block ×7, first 2 shown]
	s_delay_alu instid0(VALU_DEP_3) | instskip(SKIP_2) | instid1(VALU_DEP_2)
	v_cndmask_b32_e64 v88, v88, v94, s29
	v_cndmask_b32_e32 v66, v66, v97, vcc_lo
	v_cndmask_b32_e64 v97, v72, v99, s10
	v_perm_b32 v72, v70, v66, 0x5040100
	v_perm_b32 v70, v83, v103, 0x5040100
	v_cndmask_b32_e64 v103, v91, v85, s5
	v_cndmask_b32_e64 v85, v91, v85, s3
	;; [unrolled: 1-line block ×4, first 2 shown]
	v_lshrrev_b32_e32 v97, 16, v90
	v_cndmask_b32_e64 v91, v103, v92, s17
	v_cndmask_b32_e64 v85, v85, v92, s6
	;; [unrolled: 1-line block ×3, first 2 shown]
	s_mov_b32 s3, exec_lo
	v_cndmask_b32_e64 v83, v84, v97, s15
	v_cndmask_b32_e64 v91, v91, v98, s19
	;; [unrolled: 1-line block ×3, first 2 shown]
	v_lshrrev_b32_e32 v84, 16, v94
	v_cndmask_b32_e64 v66, v66, v97, s18
	v_cndmask_b32_e64 v90, v86, v97, s27
	;; [unrolled: 1-line block ×4, first 2 shown]
	v_dual_cndmask_b32 v86, v87, v97 :: v_dual_cndmask_b32 v87, v88, v84
	v_cndmask_b32_e64 v91, v69, v84, s15
	s_delay_alu instid0(VALU_DEP_4) | instskip(NEXT) | instid1(VALU_DEP_4)
	v_cndmask_b32_e64 v89, v89, v100, s22
	v_cndmask_b32_e64 v85, v85, v100, s13
	v_perm_b32 v69, v102, v101, 0x5040100
	v_perm_b32 v86, v87, v86, 0x5040100
	;; [unrolled: 1-line block ×3, first 2 shown]
	v_cndmask_b32_e64 v89, v89, v94, s24
	v_cndmask_b32_e64 v85, v85, v94, s16
	s_mul_i32 s8, s35, 13
	s_delay_alu instid0(VALU_DEP_2) | instskip(NEXT) | instid1(VALU_DEP_2)
	v_cndmask_b32_e64 v88, v89, v84, s27
	v_cndmask_b32_e64 v89, v85, v84, s18
	s_delay_alu instid0(VALU_DEP_2) | instskip(NEXT) | instid1(VALU_DEP_2)
	v_perm_b32 v85, v88, v90, 0x5040100
	v_perm_b32 v84, v89, v66, 0x5040100
	ds_store_b128 v76, v[69:72]
	ds_store_b128 v76, v[83:86] offset:1024
	v_cmpx_gt_u32_e32 13, v0
	s_cbranch_execz .LBB1618_78
; %bb.77:
	s_mul_i32 s4, s8, s30
	s_delay_alu instid0(SALU_CYCLE_1) | instskip(SKIP_1) | instid1(VALU_DEP_1)
	v_add3_u32 v69, s4, s31, v65
	s_load_b128 s[4:7], s[0:1], 0x58
	v_mad_u64_u32 v[65:66], null, v69, s34, s[14:15]
	s_delay_alu instid0(VALU_DEP_1) | instskip(NEXT) | instid1(VALU_DEP_1)
	v_ashrrev_i32_e32 v66, 31, v65
	v_lshlrev_b64 v[65:66], 2, v[65:66]
	s_waitcnt lgkmcnt(0)
	s_delay_alu instid0(VALU_DEP_1) | instskip(NEXT) | instid1(VALU_DEP_2)
	v_add_co_u32 v69, vcc_lo, s6, v65
	v_add_co_ci_u32_e32 v70, vcc_lo, s7, v66, vcc_lo
	v_add_co_u32 v65, vcc_lo, s4, v65
	v_add_co_ci_u32_e32 v66, vcc_lo, s5, v66, vcc_lo
	global_store_b32 v[69:70], v67, off
	global_store_b32 v[65:66], v68, off
.LBB1618_78:
	s_or_b32 exec_lo, exec_lo, s3
	s_waitcnt lgkmcnt(0)
	s_waitcnt_vscnt null, 0x0
	s_barrier
	buffer_gl0_inv
	ds_load_b128 v[83:86], v80
	ds_load_b128 v[87:90], v80 offset:16
	ds_load_b128 v[95:98], v80 offset:2064
	;; [unrolled: 1-line block ×3, first 2 shown]
	v_mov_b32_e32 v65, 0
	ds_load_b128 v[103:106], v80 offset:4112
	ds_load_b128 v[99:102], v80 offset:4096
	;; [unrolled: 1-line block ×4, first 2 shown]
	v_mov_b32_e32 v66, v65
	v_mov_b32_e32 v67, v65
	;; [unrolled: 1-line block ×7, first 2 shown]
	s_waitcnt lgkmcnt(6)
	s_delay_alu instid0(VALU_DEP_1)
	v_wmma_f32_16x16x16_bf16 v[65:72], v[49:56], v[83:90], v[65:72]
	ds_load_b128 v[53:56], v80 offset:8208
	ds_load_b128 v[49:52], v80 offset:8192
	s_waitcnt lgkmcnt(6)
	v_wmma_f32_16x16x16_bf16 v[65:72], v[41:48], v[91:98], v[65:72]
	ds_load_b128 v[45:48], v80 offset:10256
	ds_load_b128 v[41:44], v80 offset:10240
	s_waitcnt lgkmcnt(6)
	;; [unrolled: 4-line block ×4, first 2 shown]
	v_wmma_f32_16x16x16_bf16 v[65:72], v[1:8], v[49:56], v[65:72]
	s_waitcnt lgkmcnt(4)
	s_delay_alu instid0(VALU_DEP_1) | instskip(SKIP_1) | instid1(VALU_DEP_1)
	v_wmma_f32_16x16x16_bf16 v[65:72], v[9:16], v[41:48], v[65:72]
	s_waitcnt lgkmcnt(2)
	v_wmma_f32_16x16x16_bf16 v[65:72], v[17:24], v[33:40], v[65:72]
	s_waitcnt lgkmcnt(0)
	s_delay_alu instid0(VALU_DEP_1) | instskip(NEXT) | instid1(VALU_DEP_1)
	v_wmma_f32_16x16x16_bf16 v[65:72], v[57:64], v[25:32], v[65:72]
	v_and_b32_e32 v1, 0x7f800000, v65
	s_delay_alu instid0(VALU_DEP_1) | instskip(SKIP_1) | instid1(SALU_CYCLE_1)
	v_cmp_ne_u32_e32 vcc_lo, 0x7f800000, v1
                                        ; implicit-def: $vgpr1
	s_and_saveexec_b32 s3, vcc_lo
	s_xor_b32 s3, exec_lo, s3
; %bb.79:
	v_bfe_u32 v1, v65, 16, 1
	s_delay_alu instid0(VALU_DEP_1)
	v_add3_u32 v1, v65, v1, 0x7fff
; %bb.80:
	s_and_not1_saveexec_b32 s3, s3
; %bb.81:
	v_and_b32_e32 v1, 0xffff, v65
	v_or_b32_e32 v2, 0x10000, v65
	s_delay_alu instid0(VALU_DEP_2) | instskip(NEXT) | instid1(VALU_DEP_2)
	v_cmp_eq_u32_e32 vcc_lo, 0, v1
	v_cndmask_b32_e32 v1, v2, v65, vcc_lo
; %bb.82:
	s_or_b32 exec_lo, exec_lo, s3
	v_and_b32_e32 v2, 0x7f800000, v66
	s_delay_alu instid0(VALU_DEP_1) | instskip(SKIP_1) | instid1(SALU_CYCLE_1)
	v_cmp_ne_u32_e32 vcc_lo, 0x7f800000, v2
                                        ; implicit-def: $vgpr2
	s_and_saveexec_b32 s3, vcc_lo
	s_xor_b32 s3, exec_lo, s3
; %bb.83:
	v_bfe_u32 v2, v66, 16, 1
	s_delay_alu instid0(VALU_DEP_1)
	v_add3_u32 v2, v66, v2, 0x7fff
; %bb.84:
	s_and_not1_saveexec_b32 s3, s3
; %bb.85:
	v_and_b32_e32 v2, 0xffff, v66
	v_or_b32_e32 v3, 0x10000, v66
	s_delay_alu instid0(VALU_DEP_2) | instskip(NEXT) | instid1(VALU_DEP_2)
	v_cmp_eq_u32_e32 vcc_lo, 0, v2
	v_cndmask_b32_e32 v2, v3, v66, vcc_lo
; %bb.86:
	s_or_b32 exec_lo, exec_lo, s3
	v_and_b32_e32 v3, 0x7f800000, v67
	s_delay_alu instid0(VALU_DEP_1) | instskip(SKIP_1) | instid1(SALU_CYCLE_1)
	v_cmp_ne_u32_e32 vcc_lo, 0x7f800000, v3
                                        ; implicit-def: $vgpr3
	s_and_saveexec_b32 s3, vcc_lo
	s_xor_b32 s3, exec_lo, s3
; %bb.87:
	v_bfe_u32 v3, v67, 16, 1
	s_delay_alu instid0(VALU_DEP_1)
	v_add3_u32 v3, v67, v3, 0x7fff
; %bb.88:
	s_and_not1_saveexec_b32 s3, s3
; %bb.89:
	v_and_b32_e32 v3, 0xffff, v67
	v_or_b32_e32 v4, 0x10000, v67
	s_delay_alu instid0(VALU_DEP_2) | instskip(NEXT) | instid1(VALU_DEP_2)
	v_cmp_eq_u32_e32 vcc_lo, 0, v3
	v_cndmask_b32_e32 v3, v4, v67, vcc_lo
; %bb.90:
	s_or_b32 exec_lo, exec_lo, s3
	v_and_b32_e32 v4, 0x7f800000, v68
	s_delay_alu instid0(VALU_DEP_1) | instskip(SKIP_1) | instid1(SALU_CYCLE_1)
	v_cmp_ne_u32_e32 vcc_lo, 0x7f800000, v4
                                        ; implicit-def: $vgpr4
	s_and_saveexec_b32 s3, vcc_lo
	s_xor_b32 s3, exec_lo, s3
; %bb.91:
	v_bfe_u32 v4, v68, 16, 1
	s_delay_alu instid0(VALU_DEP_1)
	v_add3_u32 v4, v68, v4, 0x7fff
; %bb.92:
	s_and_not1_saveexec_b32 s3, s3
; %bb.93:
	v_and_b32_e32 v4, 0xffff, v68
	v_or_b32_e32 v5, 0x10000, v68
	s_delay_alu instid0(VALU_DEP_2) | instskip(NEXT) | instid1(VALU_DEP_2)
	v_cmp_eq_u32_e32 vcc_lo, 0, v4
	v_cndmask_b32_e32 v4, v5, v68, vcc_lo
; %bb.94:
	s_or_b32 exec_lo, exec_lo, s3
	v_and_b32_e32 v5, 0x7f800000, v69
	s_delay_alu instid0(VALU_DEP_1) | instskip(SKIP_1) | instid1(SALU_CYCLE_1)
	v_cmp_ne_u32_e32 vcc_lo, 0x7f800000, v5
                                        ; implicit-def: $vgpr5
	s_and_saveexec_b32 s3, vcc_lo
	s_xor_b32 s3, exec_lo, s3
; %bb.95:
	v_bfe_u32 v5, v69, 16, 1
	s_delay_alu instid0(VALU_DEP_1)
	v_add3_u32 v5, v69, v5, 0x7fff
; %bb.96:
	s_and_not1_saveexec_b32 s3, s3
; %bb.97:
	v_and_b32_e32 v5, 0xffff, v69
	v_or_b32_e32 v6, 0x10000, v69
	s_delay_alu instid0(VALU_DEP_2) | instskip(NEXT) | instid1(VALU_DEP_2)
	v_cmp_eq_u32_e32 vcc_lo, 0, v5
	v_cndmask_b32_e32 v5, v6, v69, vcc_lo
; %bb.98:
	s_or_b32 exec_lo, exec_lo, s3
	v_and_b32_e32 v6, 0x7f800000, v70
	s_delay_alu instid0(VALU_DEP_1) | instskip(SKIP_1) | instid1(SALU_CYCLE_1)
	v_cmp_ne_u32_e32 vcc_lo, 0x7f800000, v6
                                        ; implicit-def: $vgpr6
	s_and_saveexec_b32 s3, vcc_lo
	s_xor_b32 s3, exec_lo, s3
; %bb.99:
	v_bfe_u32 v6, v70, 16, 1
	s_delay_alu instid0(VALU_DEP_1)
	v_add3_u32 v6, v70, v6, 0x7fff
; %bb.100:
	s_and_not1_saveexec_b32 s3, s3
; %bb.101:
	v_and_b32_e32 v6, 0xffff, v70
	v_or_b32_e32 v7, 0x10000, v70
	s_delay_alu instid0(VALU_DEP_2) | instskip(NEXT) | instid1(VALU_DEP_2)
	v_cmp_eq_u32_e32 vcc_lo, 0, v6
	v_cndmask_b32_e32 v6, v7, v70, vcc_lo
; %bb.102:
	s_or_b32 exec_lo, exec_lo, s3
	v_and_b32_e32 v7, 0x7f800000, v71
	s_delay_alu instid0(VALU_DEP_1) | instskip(SKIP_1) | instid1(SALU_CYCLE_1)
	v_cmp_ne_u32_e32 vcc_lo, 0x7f800000, v7
                                        ; implicit-def: $vgpr7
	s_and_saveexec_b32 s3, vcc_lo
	s_xor_b32 s3, exec_lo, s3
; %bb.103:
	v_bfe_u32 v7, v71, 16, 1
	s_delay_alu instid0(VALU_DEP_1)
	v_add3_u32 v7, v71, v7, 0x7fff
; %bb.104:
	s_and_not1_saveexec_b32 s3, s3
; %bb.105:
	v_and_b32_e32 v7, 0xffff, v71
	v_or_b32_e32 v8, 0x10000, v71
	s_delay_alu instid0(VALU_DEP_2) | instskip(NEXT) | instid1(VALU_DEP_2)
	v_cmp_eq_u32_e32 vcc_lo, 0, v7
	v_cndmask_b32_e32 v7, v8, v71, vcc_lo
; %bb.106:
	s_or_b32 exec_lo, exec_lo, s3
	v_and_b32_e32 v8, 0x7f800000, v72
	s_delay_alu instid0(VALU_DEP_1) | instskip(SKIP_1) | instid1(SALU_CYCLE_1)
	v_cmp_ne_u32_e32 vcc_lo, 0x7f800000, v8
                                        ; implicit-def: $vgpr8
	s_and_saveexec_b32 s3, vcc_lo
	s_xor_b32 s3, exec_lo, s3
; %bb.107:
	v_bfe_u32 v8, v72, 16, 1
	s_delay_alu instid0(VALU_DEP_1)
	v_add3_u32 v8, v72, v8, 0x7fff
                                        ; implicit-def: $vgpr65_vgpr66_vgpr67_vgpr68_vgpr69_vgpr70_vgpr71_vgpr72
; %bb.108:
	s_and_not1_saveexec_b32 s3, s3
; %bb.109:
	v_and_b32_e32 v8, 0xffff, v72
	v_or_b32_e32 v9, 0x10000, v72
	s_delay_alu instid0(VALU_DEP_2) | instskip(NEXT) | instid1(VALU_DEP_2)
	v_cmp_eq_u32_e32 vcc_lo, 0, v8
	v_cndmask_b32_e32 v8, v9, v72, vcc_lo
; %bb.110:
	s_or_b32 exec_lo, exec_lo, s3
	s_delay_alu instid0(VALU_DEP_1)
	v_perm_b32 v7, v8, v7, 0x7060302
	v_perm_b32 v6, v6, v5, 0x7060302
	;; [unrolled: 1-line block ×4, first 2 shown]
	s_barrier
	buffer_gl0_inv
	v_cmp_eq_u32_e32 vcc_lo, 1, v78
	ds_store_b128 v76, v[4:7]
	s_waitcnt lgkmcnt(0)
	s_barrier
	buffer_gl0_inv
	ds_load_b128 v[1:4], v82
	ds_load_b128 v[5:8], v82 offset:16
	v_cmp_eq_u32_e64 s3, 1, v79
	v_cmp_eq_u32_e64 s4, 2, v78
	;; [unrolled: 1-line block ×5, first 2 shown]
	s_waitcnt lgkmcnt(1)
	v_lshrrev_b32_e32 v9, 16, v1
	s_waitcnt lgkmcnt(0)
	v_lshrrev_b32_e32 v13, 16, v5
	v_lshrrev_b32_e32 v10, 16, v2
	;; [unrolled: 1-line block ×4, first 2 shown]
	v_cndmask_b32_e64 v19, v1, v9, s3
	v_cndmask_b32_e32 v18, v5, v13, vcc_lo
	v_cndmask_b32_e64 v20, v5, v13, s3
	v_cndmask_b32_e32 v17, v1, v9, vcc_lo
	v_cmp_eq_u32_e32 vcc_lo, 2, v79
	v_lshrrev_b32_e32 v15, 16, v7
	v_cmp_eq_u32_e64 s3, 1, v77
	v_lshrrev_b32_e32 v12, 16, v4
	v_lshrrev_b32_e32 v16, 16, v8
	v_cndmask_b32_e32 v20, v20, v6, vcc_lo
	v_cndmask_b32_e64 v17, v17, v2, s4
	v_cndmask_b32_e32 v19, v19, v2, vcc_lo
	v_cndmask_b32_e64 v18, v18, v6, s4
	v_cmp_eq_u32_e32 vcc_lo, 4, v78
	v_cmp_eq_u32_e64 s4, 3, v79
	v_cndmask_b32_e64 v17, v17, v10, s5
	v_cndmask_b32_e64 v21, v1, v9, s3
	;; [unrolled: 1-line block ×5, first 2 shown]
	v_cndmask_b32_e32 v17, v17, v3, vcc_lo
	v_cndmask_b32_e64 v20, v20, v14, s4
	v_cndmask_b32_e32 v18, v18, v7, vcc_lo
	v_cmp_eq_u32_e32 vcc_lo, 4, v79
	v_cmp_eq_u32_e64 s4, 5, v79
	v_cmp_eq_u32_e64 s3, 2, v81
	v_cndmask_b32_e64 v21, v21, v2, s7
	v_cmp_eq_u32_e64 s5, 5, v78
	v_cndmask_b32_e32 v19, v19, v3, vcc_lo
	v_cndmask_b32_e32 v20, v20, v7, vcc_lo
	v_cmp_eq_u32_e32 vcc_lo, 6, v79
	s_delay_alu instid0(VALU_DEP_4) | instskip(NEXT) | instid1(VALU_DEP_4)
	v_cndmask_b32_e64 v17, v17, v11, s5
	v_cndmask_b32_e64 v19, v19, v11, s4
	s_delay_alu instid0(VALU_DEP_4) | instskip(SKIP_1) | instid1(VALU_DEP_3)
	v_cndmask_b32_e64 v20, v20, v15, s4
	v_cmp_eq_u32_e64 s4, 1, v81
	v_cndmask_b32_e32 v19, v19, v4, vcc_lo
	v_cndmask_b32_e64 v18, v18, v15, s5
	s_delay_alu instid0(VALU_DEP_3)
	v_cndmask_b32_e64 v1, v1, v9, s4
	v_cndmask_b32_e64 v5, v5, v13, s4
	v_cmp_eq_u32_e64 s4, 3, v77
	v_cndmask_b32_e64 v13, v22, v6, s7
	v_cmp_eq_u32_e64 s7, 3, v81
	v_cndmask_b32_e64 v1, v1, v2, s3
	v_cndmask_b32_e64 v2, v5, v6, s3
	;; [unrolled: 1-line block ×3, first 2 shown]
	v_cmp_eq_u32_e64 s3, 4, v77
	v_cndmask_b32_e64 v6, v13, v14, s4
	v_cndmask_b32_e64 v1, v1, v10, s7
	v_cmp_eq_u32_e64 s4, 4, v81
	v_cndmask_b32_e64 v2, v2, v14, s7
	v_cndmask_b32_e64 v5, v9, v3, s3
	v_cmp_eq_u32_e64 s7, 5, v77
	v_cndmask_b32_e64 v6, v6, v7, s3
	v_cndmask_b32_e64 v1, v1, v3, s4
	v_cndmask_b32_e64 v2, v2, v7, s4
	v_cmp_eq_u32_e64 s3, 5, v81
	v_cmp_eq_u32_e64 s5, 6, v78
	v_cndmask_b32_e64 v5, v5, v11, s7
	v_cmp_eq_u32_e64 s4, 6, v77
	v_cndmask_b32_e64 v3, v6, v15, s7
	v_cndmask_b32_e64 v1, v1, v11, s3
	v_cmp_eq_u32_e64 s7, 6, v81
	v_cndmask_b32_e64 v2, v2, v15, s3
	v_cndmask_b32_e64 v17, v17, v4, s5
	v_cndmask_b32_e64 v18, v18, v8, s5
	v_cmp_eq_u32_e64 s5, 7, v78
	v_cndmask_b32_e64 v5, v5, v4, s4
	;; [unrolled: 4-line block ×3, first 2 shown]
	v_cmp_eq_u32_e64 s4, 7, v77
	v_cndmask_b32_e32 v4, v20, v8, vcc_lo
	v_cndmask_b32_e64 v17, v17, v12, s5
	v_cndmask_b32_e64 v19, v19, v12, s6
	;; [unrolled: 1-line block ×8, first 2 shown]
	s_mov_b32 s3, exec_lo
	v_perm_b32 v4, v2, v1, 0x5040100
	v_perm_b32 v3, v3, v5, 0x5040100
	;; [unrolled: 1-line block ×4, first 2 shown]
	ds_store_b128 v76, v[1:4]
	s_waitcnt lgkmcnt(0)
	s_barrier
	buffer_gl0_inv
	v_cmpx_gt_u32_e32 32, v0
	s_cbranch_execz .LBB1618_2
; %bb.111:
	s_load_b64 s[4:5], s[0:1], 0x68
	v_lshlrev_b32_e32 v0, 10, v0
	v_lshlrev_b32_e32 v1, 4, v75
	s_lshl_b32 s0, s34, 7
	v_add_nc_u32_e32 v18, s31, v74
	s_mul_i32 s1, s0, s30
	s_delay_alu instid0(VALU_DEP_2) | instskip(SKIP_1) | instid1(VALU_DEP_2)
	v_and_or_b32 v0, 0x3800, v0, v1
	s_mul_i32 s6, s1, s8
	v_mul_lo_u32 v1, v18, s0
	s_ashr_i32 s7, s6, 31
	v_add_nc_u32_e32 v2, 2, v18
	v_lshl_or_b32 v19, v74, 6, v0
	s_lshl_b64 s[6:7], s[6:7], 1
	v_add_nc_u32_e32 v8, 4, v18
	v_add_nc_u32_e32 v15, 6, v18
	v_mul_lo_u32 v7, v2, s0
	ds_load_b128 v[3:6], v19
	v_ashrrev_i32_e32 v2, 31, v1
	v_mul_lo_u32 v11, v8, s0
	s_waitcnt lgkmcnt(0)
	s_add_u32 s1, s4, s6
	s_addc_u32 s3, s5, s7
	s_lshl_b32 s4, s14, 7
	v_lshlrev_b64 v[9:10], 1, v[1:2]
	s_ashr_i32 s5, s4, 31
	v_ashrrev_i32_e32 v8, 31, v7
	s_lshl_b64 s[4:5], s[4:5], 1
	v_ashrrev_i32_e32 v12, 31, v11
	s_add_u32 s1, s1, s4
	s_addc_u32 s3, s3, s5
	v_add_co_u32 v1, s1, s1, v73
	s_delay_alu instid0(VALU_DEP_1) | instskip(SKIP_1) | instid1(VALU_DEP_3)
	v_add_co_ci_u32_e64 v2, null, s3, 0, s1
	v_mul_lo_u32 v15, v15, s0
	v_add_co_u32 v13, vcc_lo, v1, v9
	s_delay_alu instid0(VALU_DEP_3)
	v_add_co_ci_u32_e32 v14, vcc_lo, v2, v10, vcc_lo
	v_lshlrev_b64 v[16:17], 1, v[7:8]
	ds_load_b128 v[7:10], v19 offset:128
	global_store_b128 v[13:14], v[3:6], off
	v_add_nc_u32_e32 v5, 8, v18
	v_lshlrev_b64 v[3:4], 1, v[11:12]
	v_add_co_u32 v23, vcc_lo, v1, v16
	v_ashrrev_i32_e32 v16, 31, v15
	s_delay_alu instid0(VALU_DEP_4) | instskip(SKIP_3) | instid1(VALU_DEP_3)
	v_mul_lo_u32 v25, v5, s0
	v_add_nc_u32_e32 v5, 10, v18
	v_add_co_ci_u32_e32 v24, vcc_lo, v2, v17, vcc_lo
	v_add_co_u32 v27, vcc_lo, v1, v3
	v_mul_lo_u32 v29, v5, s0
	v_add_co_ci_u32_e32 v28, vcc_lo, v2, v4, vcc_lo
	v_lshlrev_b64 v[31:32], 1, v[15:16]
	ds_load_b128 v[3:6], v19 offset:256
	ds_load_b128 v[11:14], v19 offset:384
	;; [unrolled: 1-line block ×4, first 2 shown]
	v_ashrrev_i32_e32 v26, 31, v25
	v_ashrrev_i32_e32 v30, 31, v29
	v_add_co_u32 v31, vcc_lo, v1, v31
	s_delay_alu instid0(VALU_DEP_3) | instskip(SKIP_1) | instid1(VALU_DEP_4)
	v_lshlrev_b64 v[25:26], 1, v[25:26]
	v_add_co_ci_u32_e32 v32, vcc_lo, v2, v32, vcc_lo
	v_lshlrev_b64 v[29:30], 1, v[29:30]
	s_delay_alu instid0(VALU_DEP_3) | instskip(NEXT) | instid1(VALU_DEP_4)
	v_add_co_u32 v25, vcc_lo, v1, v25
	v_add_co_ci_u32_e32 v26, vcc_lo, v2, v26, vcc_lo
	s_delay_alu instid0(VALU_DEP_3) | instskip(NEXT) | instid1(VALU_DEP_4)
	v_add_co_u32 v29, vcc_lo, v1, v29
	v_add_co_ci_u32_e32 v30, vcc_lo, v2, v30, vcc_lo
	s_waitcnt lgkmcnt(4)
	global_store_b128 v[23:24], v[7:10], off
	s_waitcnt lgkmcnt(3)
	global_store_b128 v[27:28], v[3:6], off
	;; [unrolled: 2-line block ×5, first 2 shown]
	s_and_b32 exec_lo, exec_lo, s2
	s_cbranch_execz .LBB1618_2
; %bb.112:
	ds_load_b128 v[3:6], v0 offset:768
	s_add_i32 s1, s31, 12
	s_delay_alu instid0(SALU_CYCLE_1) | instskip(NEXT) | instid1(SALU_CYCLE_1)
	s_mul_i32 s0, s1, s0
	s_ashr_i32 s1, s0, 31
	s_delay_alu instid0(SALU_CYCLE_1) | instskip(NEXT) | instid1(SALU_CYCLE_1)
	s_lshl_b64 s[0:1], s[0:1], 1
	v_add_co_u32 v0, vcc_lo, v1, s0
	v_add_co_ci_u32_e32 v1, vcc_lo, s1, v2, vcc_lo
	s_waitcnt lgkmcnt(0)
	global_store_b128 v[0:1], v[3:6], off
	s_nop 0
	s_sendmsg sendmsg(MSG_DEALLOC_VGPRS)
	s_endpgm
	.section	.rodata,"a",@progbits
	.p2align	6, 0x0
	.amdhsa_kernel _Z39paged_attention_ll4mi_QKV_mfma16_kernelI14__hip_bfloat16hLN4vllm18Fp8KVCacheDataTypeE1EhLi32ELi128ELi256ELb0ELi13EL8MFMAType1EEvPKT_PKT0_S9_ifPKiSB_SB_iPKfiiiPfSE_PS4_PT2_iSD_SD_
		.amdhsa_group_segment_fixed_size 17472
		.amdhsa_private_segment_fixed_size 0
		.amdhsa_kernarg_size 400
		.amdhsa_user_sgpr_count 13
		.amdhsa_user_sgpr_dispatch_ptr 0
		.amdhsa_user_sgpr_queue_ptr 0
		.amdhsa_user_sgpr_kernarg_segment_ptr 1
		.amdhsa_user_sgpr_dispatch_id 0
		.amdhsa_user_sgpr_private_segment_size 0
		.amdhsa_wavefront_size32 1
		.amdhsa_uses_dynamic_stack 0
		.amdhsa_enable_private_segment 0
		.amdhsa_system_sgpr_workgroup_id_x 1
		.amdhsa_system_sgpr_workgroup_id_y 1
		.amdhsa_system_sgpr_workgroup_id_z 1
		.amdhsa_system_sgpr_workgroup_info 0
		.amdhsa_system_vgpr_workitem_id 0
		.amdhsa_next_free_vgpr 140
		.amdhsa_next_free_sgpr 36
		.amdhsa_reserve_vcc 1
		.amdhsa_float_round_mode_32 0
		.amdhsa_float_round_mode_16_64 0
		.amdhsa_float_denorm_mode_32 3
		.amdhsa_float_denorm_mode_16_64 3
		.amdhsa_dx10_clamp 1
		.amdhsa_ieee_mode 1
		.amdhsa_fp16_overflow 0
		.amdhsa_workgroup_processor_mode 1
		.amdhsa_memory_ordered 1
		.amdhsa_forward_progress 0
		.amdhsa_shared_vgpr_count 0
		.amdhsa_exception_fp_ieee_invalid_op 0
		.amdhsa_exception_fp_denorm_src 0
		.amdhsa_exception_fp_ieee_div_zero 0
		.amdhsa_exception_fp_ieee_overflow 0
		.amdhsa_exception_fp_ieee_underflow 0
		.amdhsa_exception_fp_ieee_inexact 0
		.amdhsa_exception_int_div_zero 0
	.end_amdhsa_kernel
	.section	.text._Z39paged_attention_ll4mi_QKV_mfma16_kernelI14__hip_bfloat16hLN4vllm18Fp8KVCacheDataTypeE1EhLi32ELi128ELi256ELb0ELi13EL8MFMAType1EEvPKT_PKT0_S9_ifPKiSB_SB_iPKfiiiPfSE_PS4_PT2_iSD_SD_,"axG",@progbits,_Z39paged_attention_ll4mi_QKV_mfma16_kernelI14__hip_bfloat16hLN4vllm18Fp8KVCacheDataTypeE1EhLi32ELi128ELi256ELb0ELi13EL8MFMAType1EEvPKT_PKT0_S9_ifPKiSB_SB_iPKfiiiPfSE_PS4_PT2_iSD_SD_,comdat
.Lfunc_end1618:
	.size	_Z39paged_attention_ll4mi_QKV_mfma16_kernelI14__hip_bfloat16hLN4vllm18Fp8KVCacheDataTypeE1EhLi32ELi128ELi256ELb0ELi13EL8MFMAType1EEvPKT_PKT0_S9_ifPKiSB_SB_iPKfiiiPfSE_PS4_PT2_iSD_SD_, .Lfunc_end1618-_Z39paged_attention_ll4mi_QKV_mfma16_kernelI14__hip_bfloat16hLN4vllm18Fp8KVCacheDataTypeE1EhLi32ELi128ELi256ELb0ELi13EL8MFMAType1EEvPKT_PKT0_S9_ifPKiSB_SB_iPKfiiiPfSE_PS4_PT2_iSD_SD_
                                        ; -- End function
	.section	.AMDGPU.csdata,"",@progbits
; Kernel info:
; codeLenInByte = 9100
; NumSgprs: 38
; NumVgprs: 140
; ScratchSize: 0
; MemoryBound: 0
; FloatMode: 240
; IeeeMode: 1
; LDSByteSize: 17472 bytes/workgroup (compile time only)
; SGPRBlocks: 4
; VGPRBlocks: 17
; NumSGPRsForWavesPerEU: 38
; NumVGPRsForWavesPerEU: 140
; Occupancy: 10
; WaveLimiterHint : 1
; COMPUTE_PGM_RSRC2:SCRATCH_EN: 0
; COMPUTE_PGM_RSRC2:USER_SGPR: 13
; COMPUTE_PGM_RSRC2:TRAP_HANDLER: 0
; COMPUTE_PGM_RSRC2:TGID_X_EN: 1
; COMPUTE_PGM_RSRC2:TGID_Y_EN: 1
; COMPUTE_PGM_RSRC2:TGID_Z_EN: 1
; COMPUTE_PGM_RSRC2:TIDIG_COMP_CNT: 0
	.section	.text._Z39paged_attention_ll4mi_QKV_mfma16_kernelI14__hip_bfloat16hLN4vllm18Fp8KVCacheDataTypeE1EhLi32ELi128ELi256ELb0ELi14EL8MFMAType1EEvPKT_PKT0_S9_ifPKiSB_SB_iPKfiiiPfSE_PS4_PT2_iSD_SD_,"axG",@progbits,_Z39paged_attention_ll4mi_QKV_mfma16_kernelI14__hip_bfloat16hLN4vllm18Fp8KVCacheDataTypeE1EhLi32ELi128ELi256ELb0ELi14EL8MFMAType1EEvPKT_PKT0_S9_ifPKiSB_SB_iPKfiiiPfSE_PS4_PT2_iSD_SD_,comdat
	.protected	_Z39paged_attention_ll4mi_QKV_mfma16_kernelI14__hip_bfloat16hLN4vllm18Fp8KVCacheDataTypeE1EhLi32ELi128ELi256ELb0ELi14EL8MFMAType1EEvPKT_PKT0_S9_ifPKiSB_SB_iPKfiiiPfSE_PS4_PT2_iSD_SD_ ; -- Begin function _Z39paged_attention_ll4mi_QKV_mfma16_kernelI14__hip_bfloat16hLN4vllm18Fp8KVCacheDataTypeE1EhLi32ELi128ELi256ELb0ELi14EL8MFMAType1EEvPKT_PKT0_S9_ifPKiSB_SB_iPKfiiiPfSE_PS4_PT2_iSD_SD_
	.globl	_Z39paged_attention_ll4mi_QKV_mfma16_kernelI14__hip_bfloat16hLN4vllm18Fp8KVCacheDataTypeE1EhLi32ELi128ELi256ELb0ELi14EL8MFMAType1EEvPKT_PKT0_S9_ifPKiSB_SB_iPKfiiiPfSE_PS4_PT2_iSD_SD_
	.p2align	8
	.type	_Z39paged_attention_ll4mi_QKV_mfma16_kernelI14__hip_bfloat16hLN4vllm18Fp8KVCacheDataTypeE1EhLi32ELi128ELi256ELb0ELi14EL8MFMAType1EEvPKT_PKT0_S9_ifPKiSB_SB_iPKfiiiPfSE_PS4_PT2_iSD_SD_,@function
_Z39paged_attention_ll4mi_QKV_mfma16_kernelI14__hip_bfloat16hLN4vllm18Fp8KVCacheDataTypeE1EhLi32ELi128ELi256ELb0ELi14EL8MFMAType1EEvPKT_PKT0_S9_ifPKiSB_SB_iPKfiiiPfSE_PS4_PT2_iSD_SD_: ; @_Z39paged_attention_ll4mi_QKV_mfma16_kernelI14__hip_bfloat16hLN4vllm18Fp8KVCacheDataTypeE1EhLi32ELi128ELi256ELb0ELi14EL8MFMAType1EEvPKT_PKT0_S9_ifPKiSB_SB_iPKfiiiPfSE_PS4_PT2_iSD_SD_
; %bb.0:
	s_load_b64 s[4:5], s[0:1], 0x30
	s_mov_b32 s30, s13
	s_waitcnt lgkmcnt(0)
	s_cmp_lg_u64 s[4:5], 0
	s_cselect_b32 s13, -1, 0
	s_ashr_i32 s31, s30, 31
	s_cmp_eq_u64 s[4:5], 0
	s_cbranch_scc1 .LBB1619_3
; %bb.1:
	s_lshl_b64 s[2:3], s[30:31], 2
	s_delay_alu instid0(SALU_CYCLE_1) | instskip(SKIP_4) | instid1(SALU_CYCLE_1)
	s_add_u32 s2, s4, s2
	s_addc_u32 s3, s5, s3
	s_load_b64 s[2:3], s[2:3], 0x0
	s_waitcnt lgkmcnt(0)
	s_sub_i32 s2, s3, s2
	s_cmp_eq_u32 s2, 1
	s_cselect_b32 s2, -1, 0
	s_delay_alu instid0(SALU_CYCLE_1)
	s_and_not1_b32 vcc_lo, exec_lo, s2
	s_cbranch_vccz .LBB1619_4
.LBB1619_2:
	s_endpgm
.LBB1619_3:
.LBB1619_4:
	s_load_b64 s[2:3], s[0:1], 0x28
	s_lshl_b64 s[6:7], s[30:31], 2
	s_waitcnt lgkmcnt(0)
	s_add_u32 s2, s2, s6
	s_addc_u32 s3, s3, s7
	s_lshl_b32 s12, s14, 8
	s_load_b32 s17, s[2:3], 0x0
	s_waitcnt lgkmcnt(0)
	s_cmp_ge_i32 s12, s17
	s_cbranch_scc1 .LBB1619_2
; %bb.5:
	s_clause 0x1
	s_load_b128 s[8:11], s[0:1], 0x8
	s_load_b64 s[2:3], s[0:1], 0x20
	s_and_not1_b32 vcc_lo, exec_lo, s13
	s_cbranch_vccnz .LBB1619_7
; %bb.6:
	s_add_u32 s4, s4, s6
	s_addc_u32 s5, s5, s7
	s_load_b32 s13, s[4:5], 0x0
	s_branch .LBB1619_8
.LBB1619_7:
	s_mov_b32 s13, s30
.LBB1619_8:
	s_load_b128 s[4:7], s[0:1], 0x48
	v_and_b32_e32 v65, 15, v0
	v_lshrrev_b32_e32 v66, 5, v0
	v_and_b32_e32 v67, 31, v0
	v_and_b32_e32 v75, 1, v0
	v_bfe_u32 v74, v0, 4, 1
	v_lshlrev_b32_e32 v1, 3, v65
	s_mul_i32 s29, s15, 14
	s_waitcnt lgkmcnt(0)
	s_mov_b32 s7, exec_lo
	s_delay_alu instid0(VALU_DEP_1)
	v_lshlrev_b32_e32 v73, 1, v1
	v_cmpx_gt_u32_e32 0xe0, v0
	s_cbranch_execz .LBB1619_10
; %bb.9:
	s_load_b64 s[18:19], s[0:1], 0x0
	v_lshl_or_b32 v5, v66, 1, v74
	s_mul_hi_i32 s21, s13, s4
	s_mul_i32 s20, s13, s4
	v_lshlrev_b32_e32 v6, 10, v65
	s_lshl_b64 s[20:21], s[20:21], 1
	v_add_lshl_u32 v1, v5, s29, 7
	v_lshlrev_b32_e32 v5, 6, v5
	v_lshlrev_b32_e32 v7, 10, v75
	v_and_b32_e32 v6, 0x3800, v6
	s_delay_alu instid0(VALU_DEP_4) | instskip(NEXT) | instid1(VALU_DEP_2)
	v_ashrrev_i32_e32 v2, 31, v1
	v_or3_b32 v5, v6, v7, v5
	s_delay_alu instid0(VALU_DEP_2) | instskip(SKIP_3) | instid1(VALU_DEP_1)
	v_lshlrev_b64 v[1:2], 1, v[1:2]
	s_waitcnt lgkmcnt(0)
	s_add_u32 s4, s18, s20
	s_addc_u32 s13, s19, s21
	v_add_co_u32 v1, vcc_lo, s4, v1
	s_delay_alu instid0(VALU_DEP_2) | instskip(NEXT) | instid1(VALU_DEP_2)
	v_add_co_ci_u32_e32 v2, vcc_lo, s13, v2, vcc_lo
	v_add_co_u32 v1, vcc_lo, v1, v73
	s_delay_alu instid0(VALU_DEP_2)
	v_add_co_ci_u32_e32 v2, vcc_lo, 0, v2, vcc_lo
	global_load_b128 v[1:4], v[1:2], off
	s_waitcnt vmcnt(0)
	ds_store_b128 v5, v[1:4]
.LBB1619_10:
	s_or_b32 exec_lo, exec_lo, s7
	v_and_b32_e32 v1, 0xef, v0
	s_add_i32 s4, s17, 31
	s_clause 0x1
	s_load_b32 s7, s[0:1], 0x38
	s_load_b32 s18, s[0:1], 0x1c
	s_ashr_i32 s13, s4, 31
	v_add_nc_u32_e32 v1, s12, v1
	s_lshr_b32 s13, s13, 27
	s_waitcnt lgkmcnt(0)
	s_add_i32 s4, s4, s13
	s_barrier
	v_ashrrev_i32_e32 v2, 31, v1
	v_or_b32_e32 v3, 16, v1
	s_ashr_i32 s4, s4, 5
	v_cmp_gt_i32_e32 vcc_lo, s17, v1
	s_add_i32 s4, s4, -1
	v_lshrrev_b32_e32 v2, 27, v2
	buffer_gl0_inv
	s_mul_i32 s15, s15, s6
	v_add_nc_u32_e32 v4, v1, v2
	s_mul_i32 s20, s30, s7
	s_delay_alu instid0(SALU_CYCLE_1) | instskip(NEXT) | instid1(VALU_DEP_1)
	s_ashr_i32 s21, s20, 31
	v_ashrrev_i32_e32 v4, 5, v4
	v_add_nc_u32_e32 v2, v3, v2
	s_lshl_b64 s[20:21], s[20:21], 2
	s_delay_alu instid0(SALU_CYCLE_1) | instskip(NEXT) | instid1(VALU_DEP_2)
	s_add_u32 s13, s2, s20
	v_cndmask_b32_e32 v1, s4, v4, vcc_lo
	s_delay_alu instid0(VALU_DEP_2)
	v_ashrrev_i32_e32 v2, 5, v2
	v_cmp_gt_i32_e32 vcc_lo, s17, v3
	s_addc_u32 s16, s3, s21
	s_ashr_i32 s19, s15, 31
	s_add_u32 s2, s8, s15
	s_addc_u32 s3, s9, s19
	v_cndmask_b32_e32 v3, s4, v2, vcc_lo
	v_ashrrev_i32_e32 v2, 31, v1
	s_lshl_b32 s6, s14, 3
	s_delay_alu instid0(SALU_CYCLE_1) | instskip(NEXT) | instid1(VALU_DEP_2)
	s_ashr_i32 s7, s6, 31
	v_ashrrev_i32_e32 v4, 31, v3
	s_delay_alu instid0(VALU_DEP_2) | instskip(SKIP_1) | instid1(SALU_CYCLE_1)
	v_lshlrev_b64 v[1:2], 2, v[1:2]
	s_lshl_b64 s[6:7], s[6:7], 2
	s_add_u32 s6, s13, s6
	s_delay_alu instid0(VALU_DEP_2) | instskip(SKIP_1) | instid1(VALU_DEP_2)
	v_lshlrev_b64 v[3:4], 2, v[3:4]
	s_addc_u32 s7, s16, s7
	v_add_co_u32 v1, vcc_lo, s13, v1
	v_add_co_ci_u32_e32 v2, vcc_lo, s16, v2, vcc_lo
	s_delay_alu instid0(VALU_DEP_3) | instskip(NEXT) | instid1(VALU_DEP_4)
	v_add_co_u32 v3, vcc_lo, s13, v3
	v_add_co_ci_u32_e32 v4, vcc_lo, s16, v4, vcc_lo
	s_clause 0x1
	global_load_b32 v5, v[1:2], off
	global_load_b32 v6, v[3:4], off
	s_or_b32 s8, s12, 32
	s_delay_alu instid0(SALU_CYCLE_1) | instskip(SKIP_2) | instid1(SALU_CYCLE_1)
	s_ashr_i32 s9, s8, 5
	s_cmp_lt_i32 s8, s17
	s_cselect_b32 s8, s9, s4
	s_ashr_i32 s9, s8, 31
	s_delay_alu instid0(SALU_CYCLE_1) | instskip(NEXT) | instid1(SALU_CYCLE_1)
	s_lshl_b64 s[8:9], s[8:9], 2
	s_add_u32 s8, s13, s8
	s_addc_u32 s9, s16, s9
	s_or_b32 s20, s12, 64
	s_delay_alu instid0(SALU_CYCLE_1) | instskip(SKIP_2) | instid1(SALU_CYCLE_1)
	s_ashr_i32 s21, s20, 5
	s_cmp_lt_i32 s20, s17
	s_cselect_b32 s20, s21, s4
	s_ashr_i32 s21, s20, 31
	s_delay_alu instid0(SALU_CYCLE_1) | instskip(NEXT) | instid1(SALU_CYCLE_1)
	s_lshl_b64 s[20:21], s[20:21], 2
	s_add_u32 s20, s13, s20
	s_addc_u32 s21, s16, s21
	;; [unrolled: 10-line block ×5, first 2 shown]
	s_clause 0x5
	s_load_b32 s28, s[6:7], 0x0
	s_load_b32 s8, s[8:9], 0x0
	;; [unrolled: 1-line block ×6, first 2 shown]
	s_mov_b32 s20, 0
	s_delay_alu instid0(SALU_CYCLE_1)
	s_mov_b32 s21, s20
	s_mov_b32 s22, s20
	;; [unrolled: 1-line block ×7, first 2 shown]
	s_delay_alu instid0(SALU_CYCLE_1)
	v_dual_mov_b32 v107, s27 :: v_dual_mov_b32 v106, s26
	v_dual_mov_b32 v104, s24 :: v_dual_mov_b32 v103, s23
	;; [unrolled: 1-line block ×3, first 2 shown]
	v_mov_b32_e32 v100, s20
	s_waitcnt vmcnt(1)
	v_mad_i64_i32 v[1:2], null, v5, s5, s[2:3]
	v_lshlrev_b32_e32 v5, 4, v65
	s_waitcnt vmcnt(0)
	v_mad_i64_i32 v[3:4], null, v6, s5, s[2:3]
	s_or_b32 s2, s12, 0xc0
	s_delay_alu instid0(SALU_CYCLE_1) | instskip(NEXT) | instid1(VALU_DEP_3)
	s_ashr_i32 s3, s2, 5
	v_add_co_u32 v33, vcc_lo, v1, v5
	s_delay_alu instid0(VALU_DEP_4) | instskip(NEXT) | instid1(VALU_DEP_3)
	v_add_co_ci_u32_e32 v34, vcc_lo, 0, v2, vcc_lo
	v_add_co_u32 v35, vcc_lo, v3, v5
	s_delay_alu instid0(VALU_DEP_4)
	v_add_co_ci_u32_e32 v36, vcc_lo, 0, v4, vcc_lo
	s_clause 0xf
	global_load_b128 v[1:4], v[33:34], off
	global_load_b128 v[5:8], v[33:34], off offset:512
	global_load_b128 v[9:12], v[35:36], off offset:256
	;; [unrolled: 1-line block ×15, first 2 shown]
	s_cmp_lt_i32 s2, s17
	v_add_nc_u32_e32 v33, -14, v65
	s_cselect_b32 s2, s3, s4
	v_cmp_gt_u32_e32 vcc_lo, 14, v65
	s_ashr_i32 s3, s2, 31
	v_lshlrev_b32_e32 v34, 5, v65
	s_lshl_b64 s[2:3], s[2:3], 2
	s_delay_alu instid0(SALU_CYCLE_1)
	s_add_u32 s2, s13, s2
	s_addc_u32 s3, s16, s3
	s_or_b32 s6, s12, 0xe0
	v_cndmask_b32_e32 v33, v33, v65, vcc_lo
	s_ashr_i32 s7, s6, 5
	s_cmp_lt_i32 s6, s17
	v_mov_b32_e32 v105, s25
	s_cselect_b32 s6, s7, s4
	v_lshlrev_b32_e32 v72, 6, v33
	s_ashr_i32 s7, s6, 31
	v_lshl_or_b32 v41, v66, 9, v34
	s_lshl_b64 s[6:7], s[6:7], 2
	ds_load_b128 v[33:36], v72
	ds_load_b128 v[37:40], v72 offset:1024
	ds_load_b128 v[108:111], v72 offset:2048
	;; [unrolled: 1-line block ×3, first 2 shown]
	s_load_b32 s4, s[2:3], 0x0
	s_add_u32 s2, s13, s6
	s_addc_u32 s3, s16, s7
	ds_load_b128 v[116:119], v72 offset:4096
	ds_load_b128 v[120:123], v72 offset:5120
	s_load_b32 s2, s[2:3], 0x0
	s_add_u32 s6, s10, s15
	s_addc_u32 s7, s11, s19
	v_add_co_u32 v68, s6, s6, v41
	s_delay_alu instid0(VALU_DEP_1) | instskip(SKIP_1) | instid1(VALU_DEP_1)
	v_add_co_ci_u32_e64 v69, null, s7, 0, s6
	s_waitcnt lgkmcnt(0)
	v_mad_i64_i32 v[41:42], null, s28, s5, v[68:69]
	v_mad_i64_i32 v[70:71], null, s9, s5, v[68:69]
	;; [unrolled: 1-line block ×7, first 2 shown]
	s_clause 0x3
	global_load_b128 v[49:52], v[41:42], off
	global_load_b128 v[53:56], v[41:42], off offset:16
	global_load_b128 v[41:44], v[45:46], off
	global_load_b128 v[45:48], v[45:46], off offset:16
	s_waitcnt vmcnt(18)
	v_wmma_f32_16x16x16_bf16 v[124:131], v[1:8], v[33:40], v[100:107]
	s_waitcnt vmcnt(16)
	v_wmma_f32_16x16x16_bf16 v[100:107], v[9:16], v[33:40], v[100:107]
	s_clause 0x1
	global_load_b128 v[33:36], v[70:71], off
	global_load_b128 v[37:40], v[70:71], off offset:16
	v_mad_i64_i32 v[70:71], null, s2, s5, v[68:69]
	s_waitcnt vmcnt(16)
	v_wmma_f32_16x16x16_bf16 v[124:131], v[17:24], v[108:115], v[124:131]
	s_waitcnt vmcnt(14)
	v_wmma_f32_16x16x16_bf16 v[100:107], v[25:32], v[108:115], v[100:107]
	s_clause 0x7
	global_load_b128 v[25:28], v[132:133], off
	global_load_b128 v[29:32], v[132:133], off offset:16
	global_load_b128 v[1:4], v[134:135], off
	global_load_b128 v[5:8], v[134:135], off offset:16
	;; [unrolled: 2-line block ×4, first 2 shown]
	s_waitcnt vmcnt(20)
	v_wmma_f32_16x16x16_bf16 v[124:131], v[57:64], v[116:123], v[124:131]
	s_clause 0x1
	global_load_b128 v[57:60], v[70:71], off
	global_load_b128 v[61:64], v[70:71], off offset:16
	s_waitcnt vmcnt(20)
	v_wmma_f32_16x16x16_bf16 v[100:107], v[76:83], v[116:123], v[100:107]
	ds_load_b128 v[76:79], v72 offset:6144
	ds_load_b128 v[80:83], v72 offset:7168
	v_and_b32_e32 v68, 0xe0, v0
	v_mbcnt_lo_u32_b32 v69, -1, 0
	s_waitcnt vmcnt(0) lgkmcnt(0)
	s_barrier
	buffer_gl0_inv
	v_add_nc_u32_e32 v68, s12, v68
	v_xor_b32_e32 v70, 16, v69
	s_delay_alu instid0(VALU_DEP_2) | instskip(NEXT) | instid1(VALU_DEP_2)
	v_or_b32_e32 v68, v68, v74
	v_cmp_gt_i32_e32 vcc_lo, 32, v70
	s_delay_alu instid0(VALU_DEP_2)
	v_or_b32_e32 v71, 4, v68
	v_or_b32_e32 v72, 6, v68
	v_cmp_gt_i32_e64 s2, s17, v68
	v_or_b32_e32 v108, 8, v68
	v_wmma_f32_16x16x16_bf16 v[124:131], v[84:91], v[76:83], v[124:131]
	v_cndmask_b32_e32 v69, v69, v70, vcc_lo
	v_or_b32_e32 v70, 2, v68
	v_wmma_f32_16x16x16_bf16 v[100:107], v[92:99], v[76:83], v[100:107]
	v_or_b32_e32 v109, 10, v68
	v_dual_mul_f32 v80, s18, v129 :: v_dual_mul_f32 v81, s18, v128
	v_dual_mul_f32 v92, s18, v125 :: v_dual_mul_f32 v93, s18, v124
	s_delay_alu instid0(VALU_DEP_4)
	v_mul_f32_e32 v96, s18, v105
	v_cmp_gt_i32_e32 vcc_lo, s17, v70
	v_or_b32_e32 v89, 22, v68
	v_dual_mul_f32 v79, s18, v130 :: v_dual_mul_f32 v82, s18, v127
	v_dual_mul_f32 v83, s18, v126 :: v_dual_mul_f32 v94, s18, v107
	v_cndmask_b32_e64 v93, 0xff7fffff, v93, s2
	v_cndmask_b32_e32 v92, 0xff7fffff, v92, vcc_lo
	v_cmp_gt_i32_e64 s3, s17, v71
	v_cmp_gt_i32_e64 s4, s17, v72
	v_or_b32_e32 v84, 12, v68
	v_or_b32_e32 v85, 14, v68
	v_cmp_gt_i32_e64 s5, s17, v108
	v_cndmask_b32_e64 v71, 0xff7fffff, v83, s3
	v_cndmask_b32_e64 v72, 0xff7fffff, v82, s4
	v_cmp_gt_i32_e64 s6, s17, v109
	v_cmp_gt_i32_e64 s12, s17, v89
	v_lshlrev_b32_e32 v89, 2, v69
	v_max3_f32 v82, v93, 0xff7fffff, v92
	v_or_b32_e32 v86, 16, v68
	v_or_b32_e32 v87, 18, v68
	v_mul_f32_e32 v78, s18, v131
	v_cndmask_b32_e64 v81, 0xff7fffff, v81, s5
	v_cndmask_b32_e64 v80, 0xff7fffff, v80, s6
	v_max3_f32 v71, v82, v71, v72
	v_cmp_gt_i32_e64 s7, s17, v84
	v_cmp_gt_i32_e64 s8, s17, v85
	v_or_b32_e32 v88, 20, v68
	v_or_b32_e32 v90, 24, v68
	;; [unrolled: 1-line block ×5, first 2 shown]
	v_dual_mul_f32 v97, s18, v104 :: v_dual_mul_f32 v70, s18, v101
	v_dual_mul_f32 v99, s18, v102 :: v_dual_mul_f32 v68, s18, v100
	v_cndmask_b32_e64 v72, 0xff7fffff, v79, s7
	v_cndmask_b32_e64 v78, 0xff7fffff, v78, s8
	v_max3_f32 v71, v71, v81, v80
	v_cmp_gt_i32_e64 s9, s17, v86
	v_cmp_gt_i32_e64 s10, s17, v87
	v_dual_mul_f32 v95, s18, v106 :: v_dual_mul_f32 v98, s18, v103
	s_delay_alu instid0(VALU_DEP_4) | instskip(NEXT) | instid1(VALU_DEP_4)
	v_max3_f32 v71, v71, v72, v78
	v_cndmask_b32_e64 v68, 0xff7fffff, v68, s9
	s_delay_alu instid0(VALU_DEP_4)
	v_cndmask_b32_e64 v70, 0xff7fffff, v70, s10
	v_cmp_gt_i32_e64 s11, s17, v88
	v_cndmask_b32_e64 v78, 0xff7fffff, v98, s12
	v_cmp_gt_i32_e64 s13, s17, v90
	v_cmp_gt_i32_e64 s15, s17, v91
	v_max3_f32 v68, v71, v68, v70
	v_cndmask_b32_e64 v72, 0xff7fffff, v99, s11
	v_cmp_gt_i32_e64 s16, s17, v76
	v_cndmask_b32_e64 v70, 0xff7fffff, v97, s13
	v_cndmask_b32_e64 v71, 0xff7fffff, v96, s15
	v_cmp_gt_i32_e64 s17, s17, v77
	v_max3_f32 v68, v68, v72, v78
	v_cndmask_b32_e64 v72, 0xff7fffff, v95, s16
	s_delay_alu instid0(VALU_DEP_3) | instskip(NEXT) | instid1(VALU_DEP_3)
	v_cndmask_b32_e64 v76, 0xff7fffff, v94, s17
	v_max3_f32 v68, v68, v70, v71
	s_delay_alu instid0(VALU_DEP_1) | instskip(SKIP_3) | instid1(VALU_DEP_1)
	v_max3_f32 v68, v68, v72, v76
	ds_bpermute_b32 v69, v89, v68
	s_waitcnt lgkmcnt(0)
	v_max_f32_e32 v69, v69, v69
	v_max_f32_e32 v68, v68, v69
	s_delay_alu instid0(VALU_DEP_1) | instskip(NEXT) | instid1(VALU_DEP_1)
	v_fma_f32 v71, s18, v126, -v68
	v_mul_f32_e32 v71, 0x3fb8aa3b, v71
	v_fma_f32 v70, s18, v125, -v68
	v_fma_f32 v69, s18, v124, -v68
	;; [unrolled: 1-line block ×5, first 2 shown]
	s_delay_alu instid0(VALU_DEP_4) | instskip(SKIP_1) | instid1(VALU_DEP_3)
	v_dual_mul_f32 v70, 0x3fb8aa3b, v70 :: v_dual_mul_f32 v69, 0x3fb8aa3b, v69
	v_exp_f32_e32 v71, v71
	v_mul_f32_e32 v72, 0x3fb8aa3b, v72
	v_fma_f32 v81, s18, v105, -v68
	s_delay_alu instid0(VALU_DEP_3)
	v_exp_f32_e32 v70, v70
	v_mul_f32_e32 v77, 0x3fb8aa3b, v76
	v_exp_f32_e32 v69, v69
	v_exp_f32_e32 v72, v72
	v_mul_f32_e32 v81, 0x3fb8aa3b, v81
	v_cndmask_b32_e64 v83, 0, v71, s3
	v_fma_f32 v71, s18, v131, -v68
	s_delay_alu instid0(VALU_DEP_3) | instskip(SKIP_4) | instid1(TRANS32_DEP_3)
	v_exp_f32_e32 v81, v81
	v_cndmask_b32_e32 v76, 0, v70, vcc_lo
	v_exp_f32_e32 v77, v77
	v_cndmask_b32_e64 v80, 0, v69, s2
	v_fma_f32 v69, s18, v129, -v68
	v_cndmask_b32_e64 v85, 0, v72, s4
	v_mul_f32_e32 v71, 0x3fb8aa3b, v71
	v_fma_f32 v72, s18, v100, -v68
	s_delay_alu instid0(VALU_DEP_4) | instskip(SKIP_1) | instid1(VALU_DEP_3)
	v_dual_add_f32 v70, 0, v80 :: v_dual_mul_f32 v69, 0x3fb8aa3b, v69
	s_mov_b32 s2, exec_lo
	v_exp_f32_e32 v71, v71
	s_delay_alu instid0(TRANS32_DEP_2) | instskip(SKIP_4) | instid1(VALU_DEP_3)
	v_cndmask_b32_e64 v86, 0, v77, s5
	v_fma_f32 v77, s18, v101, -v68
	v_mul_f32_e32 v78, 0x3fb8aa3b, v78
	v_add_f32_e32 v70, v70, v76
	v_exp_f32_e32 v69, v69
	v_mul_f32_e32 v77, 0x3fb8aa3b, v77
	s_delay_alu instid0(VALU_DEP_3) | instskip(NEXT) | instid1(TRANS32_DEP_3)
	v_exp_f32_e32 v78, v78
	v_cndmask_b32_e64 v88, 0, v71, s8
	v_fma_f32 v71, s18, v104, -v68
	s_delay_alu instid0(VALU_DEP_3) | instskip(NEXT) | instid1(TRANS32_DEP_3)
	v_exp_f32_e32 v77, v77
	v_cndmask_b32_e64 v87, 0, v69, s6
	s_delay_alu instid0(VALU_DEP_2)
	v_mul_f32_e32 v71, 0x3fb8aa3b, v71
	s_waitcnt_depctr 0xfff
	v_cndmask_b32_e64 v84, 0, v78, s7
	v_add_f32_e32 v70, v70, v83
	v_fma_f32 v78, s18, v103, -v68
	v_exp_f32_e32 v82, v71
	s_delay_alu instid0(VALU_DEP_2) | instskip(SKIP_1) | instid1(VALU_DEP_3)
	v_add_f32_e32 v70, v70, v85
	v_mul_f32_e32 v72, 0x3fb8aa3b, v72
	v_mul_f32_e32 v78, 0x3fb8aa3b, v78
	s_delay_alu instid0(VALU_DEP_3) | instskip(SKIP_1) | instid1(VALU_DEP_4)
	v_add_f32_e32 v69, v70, v86
	v_fma_f32 v70, s18, v102, -v68
	v_exp_f32_e32 v72, v72
	s_delay_alu instid0(VALU_DEP_3) | instskip(NEXT) | instid1(VALU_DEP_1)
	v_exp_f32_e32 v78, v78
	v_dual_add_f32 v69, v69, v87 :: v_dual_mul_f32 v70, 0x3fb8aa3b, v70
	s_delay_alu instid0(VALU_DEP_1) | instskip(NEXT) | instid1(VALU_DEP_2)
	v_add_f32_e32 v69, v69, v84
	v_exp_f32_e32 v79, v70
	s_delay_alu instid0(TRANS32_DEP_3) | instskip(NEXT) | instid1(VALU_DEP_2)
	v_cndmask_b32_e64 v70, 0, v72, s9
	v_add_f32_e32 v72, v69, v88
	v_cndmask_b32_e64 v69, 0, v77, s10
	v_fma_f32 v77, s18, v106, -v68
	s_waitcnt_depctr 0xfff
	v_cndmask_b32_e64 v71, 0, v79, s11
	v_dual_mul_f32 v77, 0x3fb8aa3b, v77 :: v_dual_add_f32 v72, v72, v70
	s_delay_alu instid0(VALU_DEP_1) | instskip(NEXT) | instid1(VALU_DEP_1)
	v_exp_f32_e32 v90, v77
	v_add_f32_e32 v79, v72, v69
	v_cndmask_b32_e64 v72, 0, v78, s12
	v_cndmask_b32_e64 v77, 0, v82, s13
	s_delay_alu instid0(VALU_DEP_3) | instskip(SKIP_1) | instid1(VALU_DEP_1)
	v_add_f32_e32 v78, v79, v71
	v_fma_f32 v79, s18, v107, -v68
	v_dual_add_f32 v82, v78, v72 :: v_dual_mul_f32 v79, 0x3fb8aa3b, v79
	v_cndmask_b32_e64 v78, 0, v81, s15
	s_delay_alu instid0(VALU_DEP_2) | instskip(NEXT) | instid1(VALU_DEP_3)
	v_add_f32_e32 v81, v82, v77
	v_exp_f32_e32 v82, v79
	v_cndmask_b32_e64 v79, 0, v90, s16
	s_delay_alu instid0(VALU_DEP_2) | instskip(NEXT) | instid1(VALU_DEP_1)
	v_add_f32_e32 v81, v81, v78
	v_add_f32_e32 v90, v81, v79
	s_waitcnt_depctr 0xfff
	v_cndmask_b32_e64 v81, 0, v82, s17
	s_delay_alu instid0(VALU_DEP_1)
	v_add_f32_e32 v82, v90, v81
	ds_bpermute_b32 v89, v89, v82
	v_cmpx_gt_u32_e32 16, v67
	s_cbranch_execz .LBB1619_12
; %bb.11:
	v_mul_u32_u24_e32 v67, 0x44, v66
	s_delay_alu instid0(VALU_DEP_1) | instskip(SKIP_1) | instid1(VALU_DEP_1)
	v_lshl_add_u32 v67, v65, 2, v67
	s_waitcnt lgkmcnt(0)
	v_dual_add_f32 v82, v82, v89 :: v_dual_add_nc_u32 v67, 0x4000, v67
	ds_store_2addr_b32 v67, v68, v82 offset1:136
.LBB1619_12:
	s_or_b32 exec_lo, exec_lo, s2
	v_lshlrev_b32_e32 v67, 2, v65
	s_waitcnt lgkmcnt(0)
	s_barrier
	buffer_gl0_inv
	v_cmp_eq_u32_e32 vcc_lo, 1, v66
	v_add_nc_u32_e32 v82, 0x4000, v67
	v_cmp_eq_u32_e64 s2, 2, v66
	v_cmp_eq_u32_e64 s4, 7, v66
	ds_load_2addr_b32 v[89:90], v82 offset1:17
	ds_load_2addr_b32 v[91:92], v82 offset0:34 offset1:51
	ds_load_2addr_b32 v[93:94], v82 offset0:68 offset1:85
	ds_load_2addr_b32 v[95:96], v82 offset0:102 offset1:119
	ds_load_2addr_b32 v[97:98], v82 offset0:136 offset1:153
	s_waitcnt lgkmcnt(4)
	v_max3_f32 v67, v89, 0xff7fffff, v90
	s_waitcnt lgkmcnt(3)
	s_delay_alu instid0(VALU_DEP_1) | instskip(SKIP_1) | instid1(VALU_DEP_1)
	v_max3_f32 v67, v67, v91, v92
	s_waitcnt lgkmcnt(2)
	v_max3_f32 v67, v67, v93, v94
	s_waitcnt lgkmcnt(1)
	s_delay_alu instid0(VALU_DEP_1) | instskip(NEXT) | instid1(VALU_DEP_1)
	v_max3_f32 v67, v67, v95, v96
	v_sub_f32_e32 v93, v93, v67
	s_delay_alu instid0(VALU_DEP_1) | instskip(NEXT) | instid1(VALU_DEP_1)
	v_dual_sub_f32 v68, v89, v67 :: v_dual_mul_f32 v103, 0x3fb8aa3b, v93
	v_mul_f32_e32 v68, 0x3fb8aa3b, v68
	s_delay_alu instid0(VALU_DEP_1)
	v_exp_f32_e32 v100, v68
	v_sub_f32_e32 v68, v92, v67
	v_sub_f32_e32 v99, v90, v67
	ds_load_2addr_b32 v[89:90], v82 offset0:170 offset1:187
	v_dual_mul_f32 v102, 0x3fb8aa3b, v68 :: v_dual_mul_f32 v99, 0x3fb8aa3b, v99
	s_waitcnt lgkmcnt(1)
	v_fma_f32 v68, v100, v97, 0
	s_delay_alu instid0(VALU_DEP_2) | instskip(NEXT) | instid1(VALU_DEP_2)
	v_exp_f32_e32 v102, v102
	v_exp_f32_e32 v99, v99
	s_waitcnt_depctr 0xfff
	v_fmac_f32_e32 v68, v99, v98
	v_sub_f32_e32 v91, v91, v67
	s_delay_alu instid0(VALU_DEP_1)
	v_mul_f32_e32 v101, 0x3fb8aa3b, v91
	ds_load_2addr_b32 v[91:92], v82 offset0:204 offset1:221
	v_sub_f32_e32 v97, v94, v67
	ds_load_2addr_b32 v[93:94], v82 offset0:238 offset1:255
	s_waitcnt lgkmcnt(0)
	v_exp_f32_e32 v101, v101
	s_barrier
	buffer_gl0_inv
	v_dual_fmac_f32 v68, v101, v89 :: v_dual_sub_f32 v89, v96, v67
	v_dual_sub_f32 v82, v95, v67 :: v_dual_mul_f32 v95, 0x3fb8aa3b, v97
	v_exp_f32_e32 v97, v103
	s_delay_alu instid0(VALU_DEP_2) | instskip(NEXT) | instid1(VALU_DEP_2)
	v_dual_fmac_f32 v68, v102, v90 :: v_dual_mul_f32 v89, 0x3fb8aa3b, v89
	v_mul_f32_e32 v82, 0x3fb8aa3b, v82
	s_delay_alu instid0(VALU_DEP_3) | instskip(NEXT) | instid1(VALU_DEP_2)
	v_exp_f32_e32 v95, v95
	v_exp_f32_e32 v89, v89
	s_delay_alu instid0(VALU_DEP_1)
	v_exp_f32_e32 v82, v82
	v_fmac_f32_e32 v68, v97, v91
	s_delay_alu instid0(TRANS32_DEP_3) | instid1(VALU_DEP_1)
	v_fmac_f32_e32 v68, v95, v92
	s_waitcnt_depctr 0xfff
	v_fmac_f32_e32 v68, v82, v93
	s_delay_alu instid0(VALU_DEP_1) | instskip(NEXT) | instid1(VALU_DEP_1)
	v_fmac_f32_e32 v68, v89, v94
	v_add_f32_e32 v90, 0x358637bd, v68
	s_delay_alu instid0(VALU_DEP_1) | instskip(NEXT) | instid1(VALU_DEP_1)
	v_div_scale_f32 v91, null, v90, v90, 1.0
	v_rcp_f32_e32 v92, v91
	s_waitcnt_depctr 0xfff
	v_fma_f32 v93, -v91, v92, 1.0
	s_delay_alu instid0(VALU_DEP_1) | instskip(SKIP_1) | instid1(VALU_DEP_2)
	v_dual_fmac_f32 v92, v93, v92 :: v_dual_cndmask_b32 v93, v100, v99
	v_cmp_eq_u32_e32 vcc_lo, 3, v66
	v_cndmask_b32_e64 v93, v93, v101, s2
	v_cmp_eq_u32_e64 s2, 4, v66
	s_delay_alu instid0(VALU_DEP_2) | instskip(SKIP_1) | instid1(VALU_DEP_2)
	v_cndmask_b32_e32 v93, v93, v102, vcc_lo
	v_cmp_eq_u32_e32 vcc_lo, 5, v66
	v_cndmask_b32_e64 v93, v93, v97, s2
	v_cmp_eq_u32_e64 s2, 6, v66
	s_delay_alu instid0(VALU_DEP_2) | instskip(SKIP_1) | instid1(VALU_DEP_1)
	v_cndmask_b32_e32 v93, v93, v95, vcc_lo
	v_div_scale_f32 v94, s3, 1.0, v90, 1.0
	s_mov_b32 vcc_lo, s3
	s_delay_alu instid0(VALU_DEP_2) | instskip(NEXT) | instid1(VALU_DEP_2)
	v_cndmask_b32_e64 v82, v93, v82, s2
	v_mul_f32_e32 v96, v94, v92
	s_mov_b32 s2, exec_lo
	s_delay_alu instid0(VALU_DEP_2) | instskip(NEXT) | instid1(VALU_DEP_2)
	v_cndmask_b32_e64 v82, v82, v89, s4
	v_fma_f32 v98, -v91, v96, v94
	s_delay_alu instid0(VALU_DEP_1) | instskip(NEXT) | instid1(VALU_DEP_1)
	v_fmac_f32_e32 v96, v98, v92
	v_fma_f32 v91, -v91, v96, v94
	s_delay_alu instid0(VALU_DEP_1) | instskip(NEXT) | instid1(VALU_DEP_1)
	v_div_fmas_f32 v91, v91, v92, v96
	v_div_fixup_f32 v90, v91, v90, 1.0
	s_delay_alu instid0(VALU_DEP_1) | instskip(NEXT) | instid1(VALU_DEP_1)
	v_mul_f32_e32 v82, v82, v90
	v_mul_f32_e32 v87, v82, v87
	;; [unrolled: 1-line block ×7, first 2 shown]
	v_dual_mul_f32 v86, v82, v83 :: v_dual_and_b32 v91, 0x7f800000, v90
	v_mul_f32_e32 v85, v82, v76
                                        ; implicit-def: $vgpr76
	s_delay_alu instid0(VALU_DEP_2)
	v_cmpx_ne_u32_e32 0x7f800000, v91
	s_xor_b32 s2, exec_lo, s2
; %bb.13:
	v_bfe_u32 v76, v90, 16, 1
	s_delay_alu instid0(VALU_DEP_1)
	v_add3_u32 v76, v90, v76, 0x7fff
                                        ; implicit-def: $vgpr90
; %bb.14:
	s_and_not1_saveexec_b32 s2, s2
; %bb.15:
	v_and_b32_e32 v76, 0xffff, v90
	v_or_b32_e32 v83, 0x10000, v90
	s_delay_alu instid0(VALU_DEP_2) | instskip(NEXT) | instid1(VALU_DEP_2)
	v_cmp_eq_u32_e32 vcc_lo, 0, v76
	v_cndmask_b32_e32 v76, v83, v90, vcc_lo
; %bb.16:
	s_or_b32 exec_lo, exec_lo, s2
	v_and_b32_e32 v83, 0x7f800000, v85
	s_delay_alu instid0(VALU_DEP_1) | instskip(SKIP_1) | instid1(SALU_CYCLE_1)
	v_cmp_ne_u32_e32 vcc_lo, 0x7f800000, v83
                                        ; implicit-def: $vgpr83
	s_and_saveexec_b32 s2, vcc_lo
	s_xor_b32 s2, exec_lo, s2
; %bb.17:
	v_bfe_u32 v83, v85, 16, 1
	s_delay_alu instid0(VALU_DEP_1)
	v_add3_u32 v83, v85, v83, 0x7fff
                                        ; implicit-def: $vgpr85
; %bb.18:
	s_and_not1_saveexec_b32 s2, s2
; %bb.19:
	v_and_b32_e32 v83, 0xffff, v85
	v_or_b32_e32 v90, 0x10000, v85
	s_delay_alu instid0(VALU_DEP_2) | instskip(NEXT) | instid1(VALU_DEP_2)
	v_cmp_eq_u32_e32 vcc_lo, 0, v83
	v_cndmask_b32_e32 v83, v90, v85, vcc_lo
; %bb.20:
	s_or_b32 exec_lo, exec_lo, s2
	v_and_b32_e32 v85, 0x7f800000, v86
	s_delay_alu instid0(VALU_DEP_1) | instskip(SKIP_1) | instid1(SALU_CYCLE_1)
	v_cmp_ne_u32_e32 vcc_lo, 0x7f800000, v85
                                        ; implicit-def: $vgpr85
	s_and_saveexec_b32 s2, vcc_lo
	s_xor_b32 s2, exec_lo, s2
; %bb.21:
	v_bfe_u32 v85, v86, 16, 1
	s_delay_alu instid0(VALU_DEP_1)
	v_add3_u32 v85, v86, v85, 0x7fff
                                        ; implicit-def: $vgpr86
; %bb.22:
	s_and_not1_saveexec_b32 s2, s2
; %bb.23:
	v_and_b32_e32 v85, 0xffff, v86
	v_or_b32_e32 v90, 0x10000, v86
	s_delay_alu instid0(VALU_DEP_2) | instskip(NEXT) | instid1(VALU_DEP_2)
	v_cmp_eq_u32_e32 vcc_lo, 0, v85
	v_cndmask_b32_e32 v85, v90, v86, vcc_lo
; %bb.24:
	s_or_b32 exec_lo, exec_lo, s2
	v_and_b32_e32 v86, 0x7f800000, v89
	s_delay_alu instid0(VALU_DEP_1) | instskip(SKIP_1) | instid1(SALU_CYCLE_1)
	v_cmp_ne_u32_e32 vcc_lo, 0x7f800000, v86
                                        ; implicit-def: $vgpr86
	s_and_saveexec_b32 s2, vcc_lo
	s_xor_b32 s2, exec_lo, s2
; %bb.25:
	v_bfe_u32 v86, v89, 16, 1
	s_delay_alu instid0(VALU_DEP_1)
	v_add3_u32 v86, v89, v86, 0x7fff
                                        ; implicit-def: $vgpr89
; %bb.26:
	s_and_not1_saveexec_b32 s2, s2
; %bb.27:
	v_and_b32_e32 v86, 0xffff, v89
	v_or_b32_e32 v90, 0x10000, v89
	s_delay_alu instid0(VALU_DEP_2) | instskip(NEXT) | instid1(VALU_DEP_2)
	v_cmp_eq_u32_e32 vcc_lo, 0, v86
	v_cndmask_b32_e32 v86, v90, v89, vcc_lo
; %bb.28:
	s_or_b32 exec_lo, exec_lo, s2
	v_and_b32_e32 v89, 0x7f800000, v88
	s_delay_alu instid0(VALU_DEP_1) | instskip(SKIP_1) | instid1(SALU_CYCLE_1)
	v_cmp_ne_u32_e32 vcc_lo, 0x7f800000, v89
                                        ; implicit-def: $vgpr89
	s_and_saveexec_b32 s2, vcc_lo
	s_xor_b32 s2, exec_lo, s2
; %bb.29:
	v_bfe_u32 v89, v88, 16, 1
	s_delay_alu instid0(VALU_DEP_1)
	v_add3_u32 v89, v88, v89, 0x7fff
                                        ; implicit-def: $vgpr88
; %bb.30:
	s_and_not1_saveexec_b32 s2, s2
; %bb.31:
	v_and_b32_e32 v89, 0xffff, v88
	v_or_b32_e32 v90, 0x10000, v88
	s_delay_alu instid0(VALU_DEP_2) | instskip(NEXT) | instid1(VALU_DEP_2)
	v_cmp_eq_u32_e32 vcc_lo, 0, v89
	v_cndmask_b32_e32 v89, v90, v88, vcc_lo
; %bb.32:
	s_or_b32 exec_lo, exec_lo, s2
	v_and_b32_e32 v88, 0x7f800000, v87
	s_delay_alu instid0(VALU_DEP_1) | instskip(SKIP_1) | instid1(SALU_CYCLE_1)
	v_cmp_ne_u32_e32 vcc_lo, 0x7f800000, v88
                                        ; implicit-def: $vgpr88
	s_and_saveexec_b32 s2, vcc_lo
	s_xor_b32 s2, exec_lo, s2
; %bb.33:
	v_bfe_u32 v88, v87, 16, 1
	s_delay_alu instid0(VALU_DEP_1)
	v_add3_u32 v88, v87, v88, 0x7fff
                                        ; implicit-def: $vgpr87
; %bb.34:
	s_and_not1_saveexec_b32 s2, s2
; %bb.35:
	v_and_b32_e32 v88, 0xffff, v87
	v_or_b32_e32 v90, 0x10000, v87
	s_delay_alu instid0(VALU_DEP_2) | instskip(NEXT) | instid1(VALU_DEP_2)
	v_cmp_eq_u32_e32 vcc_lo, 0, v88
	v_cndmask_b32_e32 v88, v90, v87, vcc_lo
; %bb.36:
	s_or_b32 exec_lo, exec_lo, s2
	v_and_b32_e32 v87, 0x7f800000, v84
	s_delay_alu instid0(VALU_DEP_1) | instskip(SKIP_1) | instid1(SALU_CYCLE_1)
	v_cmp_ne_u32_e32 vcc_lo, 0x7f800000, v87
                                        ; implicit-def: $vgpr87
	s_and_saveexec_b32 s2, vcc_lo
	s_xor_b32 s2, exec_lo, s2
; %bb.37:
	v_bfe_u32 v87, v84, 16, 1
	s_delay_alu instid0(VALU_DEP_1)
	v_add3_u32 v87, v84, v87, 0x7fff
                                        ; implicit-def: $vgpr84
; %bb.38:
	s_and_not1_saveexec_b32 s2, s2
; %bb.39:
	v_and_b32_e32 v87, 0xffff, v84
	v_or_b32_e32 v90, 0x10000, v84
	s_delay_alu instid0(VALU_DEP_2) | instskip(NEXT) | instid1(VALU_DEP_2)
	v_cmp_eq_u32_e32 vcc_lo, 0, v87
	v_cndmask_b32_e32 v87, v90, v84, vcc_lo
; %bb.40:
	s_or_b32 exec_lo, exec_lo, s2
	v_and_b32_e32 v84, 0x7f800000, v80
	s_delay_alu instid0(VALU_DEP_1) | instskip(SKIP_1) | instid1(SALU_CYCLE_1)
	v_cmp_ne_u32_e32 vcc_lo, 0x7f800000, v84
                                        ; implicit-def: $vgpr84
	s_and_saveexec_b32 s2, vcc_lo
	s_xor_b32 s2, exec_lo, s2
; %bb.41:
	v_bfe_u32 v84, v80, 16, 1
	s_delay_alu instid0(VALU_DEP_1)
	v_add3_u32 v84, v80, v84, 0x7fff
                                        ; implicit-def: $vgpr80
; %bb.42:
	s_and_not1_saveexec_b32 s2, s2
; %bb.43:
	v_and_b32_e32 v84, 0xffff, v80
	v_or_b32_e32 v90, 0x10000, v80
	s_delay_alu instid0(VALU_DEP_2) | instskip(NEXT) | instid1(VALU_DEP_2)
	v_cmp_eq_u32_e32 vcc_lo, 0, v84
	v_cndmask_b32_e32 v84, v90, v80, vcc_lo
; %bb.44:
	s_or_b32 exec_lo, exec_lo, s2
	s_load_b64 s[34:35], s[0:1], 0x94
	v_lshlrev_b32_e32 v91, 4, v74
	s_delay_alu instid0(VALU_DEP_2)
	v_perm_b32 v90, v84, v87, 0x7060302
	v_dual_mul_f32 v79, v82, v79 :: v_dual_lshlrev_b32 v80, 6, v65
	v_dual_mul_f32 v77, v82, v77 :: v_dual_lshlrev_b32 v92, 11, v66
	v_mul_f32_e32 v84, v82, v70
	v_perm_b32 v89, v88, v89, 0x7060302
	v_perm_b32 v88, v86, v85, 0x7060302
	;; [unrolled: 1-line block ×3, first 2 shown]
	v_mul_f32_e32 v70, v82, v81
	v_or3_b32 v76, v91, v92, v80
	v_dual_mul_f32 v78, v82, v78 :: v_dual_and_b32 v85, 0x7f800000, v84
	v_mul_f32_e32 v83, v82, v72
	v_mul_f32_e32 v81, v82, v71
	;; [unrolled: 1-line block ×3, first 2 shown]
	s_mov_b32 s2, exec_lo
	ds_store_b128 v76, v[87:90]
                                        ; implicit-def: $vgpr69
	v_cmpx_ne_u32_e32 0x7f800000, v85
	s_xor_b32 s2, exec_lo, s2
; %bb.45:
	v_bfe_u32 v69, v84, 16, 1
	s_delay_alu instid0(VALU_DEP_1)
	v_add3_u32 v69, v84, v69, 0x7fff
                                        ; implicit-def: $vgpr84
; %bb.46:
	s_and_not1_saveexec_b32 s2, s2
; %bb.47:
	v_and_b32_e32 v69, 0xffff, v84
	v_or_b32_e32 v71, 0x10000, v84
	s_delay_alu instid0(VALU_DEP_2) | instskip(NEXT) | instid1(VALU_DEP_2)
	v_cmp_eq_u32_e32 vcc_lo, 0, v69
	v_cndmask_b32_e32 v69, v71, v84, vcc_lo
; %bb.48:
	s_or_b32 exec_lo, exec_lo, s2
	v_and_b32_e32 v71, 0x7f800000, v72
	s_delay_alu instid0(VALU_DEP_1) | instskip(SKIP_1) | instid1(SALU_CYCLE_1)
	v_cmp_ne_u32_e32 vcc_lo, 0x7f800000, v71
                                        ; implicit-def: $vgpr71
	s_and_saveexec_b32 s2, vcc_lo
	s_xor_b32 s2, exec_lo, s2
; %bb.49:
	v_bfe_u32 v71, v72, 16, 1
	s_delay_alu instid0(VALU_DEP_1)
	v_add3_u32 v71, v72, v71, 0x7fff
                                        ; implicit-def: $vgpr72
; %bb.50:
	s_and_not1_saveexec_b32 s2, s2
; %bb.51:
	v_and_b32_e32 v71, 0xffff, v72
	v_or_b32_e32 v82, 0x10000, v72
	s_delay_alu instid0(VALU_DEP_2) | instskip(NEXT) | instid1(VALU_DEP_2)
	v_cmp_eq_u32_e32 vcc_lo, 0, v71
	v_cndmask_b32_e32 v71, v82, v72, vcc_lo
; %bb.52:
	s_or_b32 exec_lo, exec_lo, s2
	v_and_b32_e32 v72, 0x7f800000, v81
	s_delay_alu instid0(VALU_DEP_1) | instskip(SKIP_1) | instid1(SALU_CYCLE_1)
	v_cmp_ne_u32_e32 vcc_lo, 0x7f800000, v72
                                        ; implicit-def: $vgpr72
	s_and_saveexec_b32 s2, vcc_lo
	s_xor_b32 s2, exec_lo, s2
; %bb.53:
	v_bfe_u32 v72, v81, 16, 1
	s_delay_alu instid0(VALU_DEP_1)
	v_add3_u32 v72, v81, v72, 0x7fff
                                        ; implicit-def: $vgpr81
; %bb.54:
	s_and_not1_saveexec_b32 s2, s2
; %bb.55:
	v_and_b32_e32 v72, 0xffff, v81
	v_or_b32_e32 v82, 0x10000, v81
	s_delay_alu instid0(VALU_DEP_2) | instskip(NEXT) | instid1(VALU_DEP_2)
	v_cmp_eq_u32_e32 vcc_lo, 0, v72
	v_cndmask_b32_e32 v72, v82, v81, vcc_lo
; %bb.56:
	s_or_b32 exec_lo, exec_lo, s2
	v_and_b32_e32 v81, 0x7f800000, v83
	s_delay_alu instid0(VALU_DEP_1) | instskip(SKIP_1) | instid1(SALU_CYCLE_1)
	v_cmp_ne_u32_e32 vcc_lo, 0x7f800000, v81
                                        ; implicit-def: $vgpr81
	s_and_saveexec_b32 s2, vcc_lo
	s_xor_b32 s2, exec_lo, s2
; %bb.57:
	v_bfe_u32 v81, v83, 16, 1
	s_delay_alu instid0(VALU_DEP_1)
	v_add3_u32 v81, v83, v81, 0x7fff
                                        ; implicit-def: $vgpr83
; %bb.58:
	s_and_not1_saveexec_b32 s2, s2
; %bb.59:
	v_and_b32_e32 v81, 0xffff, v83
	v_or_b32_e32 v82, 0x10000, v83
	s_delay_alu instid0(VALU_DEP_2) | instskip(NEXT) | instid1(VALU_DEP_2)
	v_cmp_eq_u32_e32 vcc_lo, 0, v81
	v_cndmask_b32_e32 v81, v82, v83, vcc_lo
; %bb.60:
	s_or_b32 exec_lo, exec_lo, s2
	v_and_b32_e32 v82, 0x7f800000, v77
	s_delay_alu instid0(VALU_DEP_1) | instskip(SKIP_1) | instid1(SALU_CYCLE_1)
	v_cmp_ne_u32_e32 vcc_lo, 0x7f800000, v82
                                        ; implicit-def: $vgpr82
	s_and_saveexec_b32 s2, vcc_lo
	s_xor_b32 s2, exec_lo, s2
; %bb.61:
	v_bfe_u32 v82, v77, 16, 1
	s_delay_alu instid0(VALU_DEP_1)
	v_add3_u32 v82, v77, v82, 0x7fff
                                        ; implicit-def: $vgpr77
; %bb.62:
	s_and_not1_saveexec_b32 s2, s2
; %bb.63:
	v_and_b32_e32 v82, 0xffff, v77
	v_or_b32_e32 v83, 0x10000, v77
	s_delay_alu instid0(VALU_DEP_2) | instskip(NEXT) | instid1(VALU_DEP_2)
	v_cmp_eq_u32_e32 vcc_lo, 0, v82
	v_cndmask_b32_e32 v82, v83, v77, vcc_lo
; %bb.64:
	s_or_b32 exec_lo, exec_lo, s2
	v_and_b32_e32 v77, 0x7f800000, v78
	s_delay_alu instid0(VALU_DEP_1) | instskip(SKIP_1) | instid1(SALU_CYCLE_1)
	v_cmp_ne_u32_e32 vcc_lo, 0x7f800000, v77
                                        ; implicit-def: $vgpr77
	s_and_saveexec_b32 s2, vcc_lo
	s_xor_b32 s2, exec_lo, s2
; %bb.65:
	v_bfe_u32 v77, v78, 16, 1
	s_delay_alu instid0(VALU_DEP_1)
	v_add3_u32 v77, v78, v77, 0x7fff
                                        ; implicit-def: $vgpr78
; %bb.66:
	s_and_not1_saveexec_b32 s2, s2
; %bb.67:
	v_and_b32_e32 v77, 0xffff, v78
	v_or_b32_e32 v83, 0x10000, v78
	s_delay_alu instid0(VALU_DEP_2) | instskip(NEXT) | instid1(VALU_DEP_2)
	v_cmp_eq_u32_e32 vcc_lo, 0, v77
	v_cndmask_b32_e32 v77, v83, v78, vcc_lo
; %bb.68:
	s_or_b32 exec_lo, exec_lo, s2
	v_and_b32_e32 v78, 0x7f800000, v79
	s_delay_alu instid0(VALU_DEP_1) | instskip(SKIP_1) | instid1(SALU_CYCLE_1)
	v_cmp_ne_u32_e32 vcc_lo, 0x7f800000, v78
                                        ; implicit-def: $vgpr78
	s_and_saveexec_b32 s2, vcc_lo
	s_xor_b32 s2, exec_lo, s2
; %bb.69:
	v_bfe_u32 v78, v79, 16, 1
	s_delay_alu instid0(VALU_DEP_1)
	v_add3_u32 v78, v79, v78, 0x7fff
                                        ; implicit-def: $vgpr79
; %bb.70:
	s_and_not1_saveexec_b32 s2, s2
; %bb.71:
	v_and_b32_e32 v78, 0xffff, v79
	v_or_b32_e32 v83, 0x10000, v79
	s_delay_alu instid0(VALU_DEP_2) | instskip(NEXT) | instid1(VALU_DEP_2)
	v_cmp_eq_u32_e32 vcc_lo, 0, v78
	v_cndmask_b32_e32 v78, v83, v79, vcc_lo
; %bb.72:
	s_or_b32 exec_lo, exec_lo, s2
	v_and_b32_e32 v79, 0x7f800000, v70
	s_delay_alu instid0(VALU_DEP_1) | instskip(SKIP_1) | instid1(SALU_CYCLE_1)
	v_cmp_ne_u32_e32 vcc_lo, 0x7f800000, v79
                                        ; implicit-def: $vgpr79
	s_and_saveexec_b32 s2, vcc_lo
	s_xor_b32 s2, exec_lo, s2
; %bb.73:
	v_bfe_u32 v79, v70, 16, 1
	s_delay_alu instid0(VALU_DEP_1)
	v_add3_u32 v79, v70, v79, 0x7fff
                                        ; implicit-def: $vgpr70
; %bb.74:
	s_and_not1_saveexec_b32 s2, s2
; %bb.75:
	v_and_b32_e32 v79, 0xffff, v70
	v_or_b32_e32 v83, 0x10000, v70
	s_delay_alu instid0(VALU_DEP_2) | instskip(NEXT) | instid1(VALU_DEP_2)
	v_cmp_eq_u32_e32 vcc_lo, 0, v79
	v_cndmask_b32_e32 v79, v83, v70, vcc_lo
; %bb.76:
	s_or_b32 exec_lo, exec_lo, s2
	s_delay_alu instid0(VALU_DEP_1)
	v_perm_b32 v86, v79, v78, 0x7060302
	v_perm_b32 v85, v77, v82, 0x7060302
	v_perm_b32 v84, v81, v72, 0x7060302
	v_perm_b32 v83, v71, v69, 0x7060302
	v_lshl_or_b32 v82, v66, 11, v80
	ds_store_b128 v76, v[83:86] offset:1024
	s_waitcnt lgkmcnt(0)
	s_barrier
	buffer_gl0_inv
	ds_load_b128 v[69:72], v82
	ds_load_b128 v[83:86], v82 offset:16
	s_waitcnt lgkmcnt(1)
	v_lshrrev_b32_e32 v66, 16, v69
	s_waitcnt lgkmcnt(0)
	v_lshrrev_b32_e32 v91, 16, v83
	v_lshlrev_b32_e32 v78, 2, v74
	v_lshrrev_b32_e32 v95, 16, v70
	v_lshrrev_b32_e32 v98, 16, v84
	v_lshrrev_b32_e32 v96, 16, v71
	v_lshrrev_b32_e32 v99, 16, v85
	v_cmp_eq_u32_e32 vcc_lo, 1, v78
	v_lshrrev_b32_e32 v97, 16, v72
	v_lshrrev_b32_e32 v100, 16, v86
	v_cndmask_b32_e32 v87, v83, v91, vcc_lo
	v_or_b32_e32 v79, 1, v78
	v_cndmask_b32_e32 v81, v69, v66, vcc_lo
	v_cmp_eq_u32_e64 s3, 2, v78
	v_cmp_eq_u32_e64 s6, 3, v78
	;; [unrolled: 1-line block ×5, first 2 shown]
	v_cndmask_b32_e64 v81, v81, v70, s3
	v_cndmask_b32_e64 v87, v87, v84, s3
	v_cmp_eq_u32_e64 s7, 3, v79
	v_cndmask_b32_e64 v88, v69, v66, s2
	v_or_b32_e32 v77, 2, v78
	v_cndmask_b32_e64 v81, v81, v95, s6
	v_cndmask_b32_e64 v87, v87, v98, s6
	;; [unrolled: 1-line block ×4, first 2 shown]
	v_cmp_eq_u32_e64 s9, 5, v78
	v_cndmask_b32_e64 v81, v81, v71, s8
	v_cndmask_b32_e64 v87, v87, v85, s8
	v_cmp_eq_u32_e64 s10, 4, v79
	v_cndmask_b32_e64 v88, v88, v95, s7
	v_cmp_eq_u32_e64 s4, 1, v77
	v_cndmask_b32_e64 v89, v89, v84, s5
	v_cndmask_b32_e64 v81, v81, v96, s9
	v_cmp_eq_u32_e64 s11, 6, v78
	v_cndmask_b32_e64 v88, v88, v71, s10
	;; [unrolled: 3-line block ×3, first 2 shown]
	v_cndmask_b32_e64 v89, v89, v98, s7
	v_cndmask_b32_e64 v81, v81, v72, s11
	v_cmp_eq_u32_e64 s13, 7, v78
	v_cndmask_b32_e64 v88, v88, v96, s12
	v_cndmask_b32_e64 v87, v87, v86, s11
	v_cmp_eq_u32_e64 s15, 6, v79
	v_cmp_eq_u32_e64 s16, 2, v77
	v_cndmask_b32_e64 v89, v89, v85, s10
	v_cndmask_b32_e64 v101, v81, v97, s13
	;; [unrolled: 1-line block ×6, first 2 shown]
	v_cmp_eq_u32_e64 s17, 7, v79
	v_cmp_eq_u32_e64 s18, 3, v77
	;; [unrolled: 1-line block ×4, first 2 shown]
	v_cndmask_b32_e64 v87, v87, v84, s16
	v_cndmask_b32_e64 v103, v88, v97, s17
	v_cndmask_b32_e64 v88, v89, v99, s12
	v_cndmask_b32_e64 v89, v81, v95, s18
	v_or_b32_e32 v81, 3, v78
	v_cndmask_b32_e64 v93, v87, v98, s18
	v_cmp_eq_u32_e64 s23, 6, v77
	v_cndmask_b32_e64 v104, v88, v86, s15
	v_cndmask_b32_e64 v92, v89, v71, s19
	v_cmp_eq_u32_e64 s20, 1, v81
	ds_load_b128 v[87:90], v82 offset:1024
	v_cmp_eq_u32_e64 s22, 2, v81
	v_cmp_eq_u32_e64 s24, 3, v81
	v_cndmask_b32_e64 v105, v92, v96, s21
	v_cndmask_b32_e64 v66, v69, v66, s20
	;; [unrolled: 1-line block ×4, first 2 shown]
	ds_load_b128 v[91:94], v82 offset:1040
	v_cmp_eq_u32_e64 s25, 4, v81
	v_cndmask_b32_e64 v66, v66, v70, s22
	v_cmp_eq_u32_e64 s26, 7, v77
	v_cndmask_b32_e64 v70, v83, v84, s22
	v_cndmask_b32_e64 v84, v105, v72, s23
	v_cmp_eq_u32_e64 s27, 5, v81
	v_cndmask_b32_e64 v66, v66, v95, s24
	v_cmp_eq_u32_e64 s28, 6, v81
	v_cndmask_b32_e64 v70, v70, v98, s24
	v_cndmask_b32_e64 v69, v69, v99, s21
	;; [unrolled: 1-line block ×4, first 2 shown]
	s_waitcnt lgkmcnt(1)
	v_lshrrev_b32_e32 v95, 16, v87
	v_cndmask_b32_e64 v70, v70, v85, s25
	v_cndmask_b32_e64 v71, v84, v97, s26
	;; [unrolled: 1-line block ×4, first 2 shown]
	v_cndmask_b32_e32 v84, v87, v95, vcc_lo
	v_cndmask_b32_e64 v70, v70, v99, s27
	s_waitcnt lgkmcnt(0)
	v_lshrrev_b32_e32 v85, 16, v91
	v_lshrrev_b32_e32 v96, 16, v88
	v_cndmask_b32_e64 v98, v87, v95, s2
	v_cndmask_b32_e64 v84, v84, v88, s3
	;; [unrolled: 1-line block ×3, first 2 shown]
	v_cndmask_b32_e32 v99, v91, v85, vcc_lo
	v_cmp_eq_u32_e32 vcc_lo, 7, v81
	v_cndmask_b32_e64 v66, v66, v72, s28
	v_cndmask_b32_e64 v72, v84, v96, s6
	;; [unrolled: 1-line block ×3, first 2 shown]
	v_lshrrev_b32_e32 v98, 16, v92
	v_cndmask_b32_e32 v70, v70, v100, vcc_lo
	v_cndmask_b32_e64 v86, v99, v92, s3
	v_cndmask_b32_e64 v69, v69, v100, s26
	v_lshrrev_b32_e32 v100, 16, v93
	v_cndmask_b32_e64 v72, v72, v89, s8
	v_lshrrev_b32_e32 v99, 16, v89
	v_cndmask_b32_e64 v86, v86, v98, s6
	v_perm_b32 v71, v69, v71, 0x5040100
	v_cndmask_b32_e64 v84, v84, v96, s7
	s_delay_alu instid0(VALU_DEP_3) | instskip(NEXT) | instid1(VALU_DEP_2)
	v_cndmask_b32_e64 v86, v86, v93, s8
	v_cndmask_b32_e64 v84, v84, v89, s10
	s_delay_alu instid0(VALU_DEP_2) | instskip(NEXT) | instid1(VALU_DEP_1)
	v_cndmask_b32_e64 v86, v86, v100, s9
	v_cndmask_b32_e64 v69, v86, v94, s11
	v_cndmask_b32_e64 v86, v87, v95, s4
	v_cndmask_b32_e64 v87, v87, v95, s20
	v_cndmask_b32_e64 v95, v91, v85, s20
	s_delay_alu instid0(VALU_DEP_3) | instskip(NEXT) | instid1(VALU_DEP_3)
	v_cndmask_b32_e64 v86, v86, v88, s16
	v_cndmask_b32_e64 v87, v87, v88, s22
	s_delay_alu instid0(VALU_DEP_3) | instskip(NEXT) | instid1(VALU_DEP_3)
	v_cndmask_b32_e64 v88, v95, v92, s22
	v_cndmask_b32_e64 v86, v86, v96, s18
	;; [unrolled: 3-line block ×7, first 2 shown]
	s_delay_alu instid0(VALU_DEP_3) | instskip(SKIP_2) | instid1(VALU_DEP_2)
	v_cndmask_b32_e64 v88, v88, v94, s28
	v_cndmask_b32_e32 v66, v66, v97, vcc_lo
	v_cndmask_b32_e64 v97, v72, v99, s9
	v_perm_b32 v72, v70, v66, 0x5040100
	v_perm_b32 v70, v83, v103, 0x5040100
	v_cndmask_b32_e64 v103, v91, v85, s4
	v_cndmask_b32_e64 v85, v91, v85, s2
	;; [unrolled: 1-line block ×4, first 2 shown]
	v_lshrrev_b32_e32 v97, 16, v90
	v_cndmask_b32_e64 v91, v103, v92, s16
	v_cndmask_b32_e64 v85, v85, v92, s5
	;; [unrolled: 1-line block ×3, first 2 shown]
	s_mov_b32 s2, exec_lo
	v_cndmask_b32_e64 v83, v84, v97, s13
	v_cndmask_b32_e64 v91, v91, v98, s18
	;; [unrolled: 1-line block ×3, first 2 shown]
	v_lshrrev_b32_e32 v84, 16, v94
	v_cndmask_b32_e64 v66, v66, v97, s17
	v_cndmask_b32_e64 v90, v86, v97, s26
	;; [unrolled: 1-line block ×4, first 2 shown]
	v_dual_cndmask_b32 v86, v87, v97 :: v_dual_cndmask_b32 v87, v88, v84
	v_cndmask_b32_e64 v91, v69, v84, s13
	s_delay_alu instid0(VALU_DEP_4) | instskip(NEXT) | instid1(VALU_DEP_4)
	v_cndmask_b32_e64 v89, v89, v100, s21
	v_cndmask_b32_e64 v85, v85, v100, s12
	v_perm_b32 v69, v102, v101, 0x5040100
	v_perm_b32 v86, v87, v86, 0x5040100
	;; [unrolled: 1-line block ×3, first 2 shown]
	v_cndmask_b32_e64 v89, v89, v94, s23
	v_cndmask_b32_e64 v85, v85, v94, s15
	s_mul_i32 s7, s35, 14
	s_delay_alu instid0(VALU_DEP_2) | instskip(NEXT) | instid1(VALU_DEP_2)
	v_cndmask_b32_e64 v88, v89, v84, s26
	v_cndmask_b32_e64 v89, v85, v84, s17
	s_delay_alu instid0(VALU_DEP_2) | instskip(NEXT) | instid1(VALU_DEP_2)
	v_perm_b32 v85, v88, v90, 0x5040100
	v_perm_b32 v84, v89, v66, 0x5040100
	ds_store_b128 v76, v[69:72]
	ds_store_b128 v76, v[83:86] offset:1024
	v_cmpx_gt_u32_e32 14, v0
	s_cbranch_execz .LBB1619_78
; %bb.77:
	s_mul_i32 s3, s7, s30
	s_load_b128 s[8:11], s[0:1], 0x58
	v_add3_u32 v69, s3, s29, v65
	s_delay_alu instid0(VALU_DEP_1) | instskip(NEXT) | instid1(VALU_DEP_1)
	v_mad_u64_u32 v[65:66], null, v69, s34, s[14:15]
	v_ashrrev_i32_e32 v66, 31, v65
	s_delay_alu instid0(VALU_DEP_1) | instskip(SKIP_1) | instid1(VALU_DEP_1)
	v_lshlrev_b64 v[65:66], 2, v[65:66]
	s_waitcnt lgkmcnt(0)
	v_add_co_u32 v69, vcc_lo, s10, v65
	s_delay_alu instid0(VALU_DEP_2)
	v_add_co_ci_u32_e32 v70, vcc_lo, s11, v66, vcc_lo
	v_add_co_u32 v65, vcc_lo, s8, v65
	v_add_co_ci_u32_e32 v66, vcc_lo, s9, v66, vcc_lo
	global_store_b32 v[69:70], v67, off
	global_store_b32 v[65:66], v68, off
.LBB1619_78:
	s_or_b32 exec_lo, exec_lo, s2
	s_waitcnt lgkmcnt(0)
	s_waitcnt_vscnt null, 0x0
	s_barrier
	buffer_gl0_inv
	ds_load_b128 v[83:86], v80
	ds_load_b128 v[87:90], v80 offset:16
	ds_load_b128 v[95:98], v80 offset:2064
	;; [unrolled: 1-line block ×3, first 2 shown]
	v_mov_b32_e32 v65, 0
	ds_load_b128 v[103:106], v80 offset:4112
	ds_load_b128 v[99:102], v80 offset:4096
	ds_load_b128 v[111:114], v80 offset:6160
	ds_load_b128 v[107:110], v80 offset:6144
	v_mov_b32_e32 v66, v65
	v_mov_b32_e32 v67, v65
	;; [unrolled: 1-line block ×7, first 2 shown]
	s_waitcnt lgkmcnt(6)
	s_delay_alu instid0(VALU_DEP_1)
	v_wmma_f32_16x16x16_bf16 v[65:72], v[49:56], v[83:90], v[65:72]
	ds_load_b128 v[53:56], v80 offset:8208
	ds_load_b128 v[49:52], v80 offset:8192
	s_waitcnt lgkmcnt(6)
	v_wmma_f32_16x16x16_bf16 v[65:72], v[41:48], v[91:98], v[65:72]
	ds_load_b128 v[45:48], v80 offset:10256
	ds_load_b128 v[41:44], v80 offset:10240
	s_waitcnt lgkmcnt(6)
	;; [unrolled: 4-line block ×4, first 2 shown]
	v_wmma_f32_16x16x16_bf16 v[65:72], v[1:8], v[49:56], v[65:72]
	s_waitcnt lgkmcnt(4)
	s_delay_alu instid0(VALU_DEP_1) | instskip(SKIP_1) | instid1(VALU_DEP_1)
	v_wmma_f32_16x16x16_bf16 v[65:72], v[9:16], v[41:48], v[65:72]
	s_waitcnt lgkmcnt(2)
	v_wmma_f32_16x16x16_bf16 v[65:72], v[17:24], v[33:40], v[65:72]
	s_waitcnt lgkmcnt(0)
	s_delay_alu instid0(VALU_DEP_1) | instskip(NEXT) | instid1(VALU_DEP_1)
	v_wmma_f32_16x16x16_bf16 v[65:72], v[57:64], v[25:32], v[65:72]
	v_and_b32_e32 v1, 0x7f800000, v65
	s_delay_alu instid0(VALU_DEP_1) | instskip(SKIP_1) | instid1(SALU_CYCLE_1)
	v_cmp_ne_u32_e32 vcc_lo, 0x7f800000, v1
                                        ; implicit-def: $vgpr1
	s_and_saveexec_b32 s2, vcc_lo
	s_xor_b32 s2, exec_lo, s2
; %bb.79:
	v_bfe_u32 v1, v65, 16, 1
	s_delay_alu instid0(VALU_DEP_1)
	v_add3_u32 v1, v65, v1, 0x7fff
; %bb.80:
	s_and_not1_saveexec_b32 s2, s2
; %bb.81:
	v_and_b32_e32 v1, 0xffff, v65
	v_or_b32_e32 v2, 0x10000, v65
	s_delay_alu instid0(VALU_DEP_2) | instskip(NEXT) | instid1(VALU_DEP_2)
	v_cmp_eq_u32_e32 vcc_lo, 0, v1
	v_cndmask_b32_e32 v1, v2, v65, vcc_lo
; %bb.82:
	s_or_b32 exec_lo, exec_lo, s2
	v_and_b32_e32 v2, 0x7f800000, v66
	s_delay_alu instid0(VALU_DEP_1) | instskip(SKIP_1) | instid1(SALU_CYCLE_1)
	v_cmp_ne_u32_e32 vcc_lo, 0x7f800000, v2
                                        ; implicit-def: $vgpr2
	s_and_saveexec_b32 s2, vcc_lo
	s_xor_b32 s2, exec_lo, s2
; %bb.83:
	v_bfe_u32 v2, v66, 16, 1
	s_delay_alu instid0(VALU_DEP_1)
	v_add3_u32 v2, v66, v2, 0x7fff
; %bb.84:
	s_and_not1_saveexec_b32 s2, s2
; %bb.85:
	v_and_b32_e32 v2, 0xffff, v66
	v_or_b32_e32 v3, 0x10000, v66
	s_delay_alu instid0(VALU_DEP_2) | instskip(NEXT) | instid1(VALU_DEP_2)
	v_cmp_eq_u32_e32 vcc_lo, 0, v2
	v_cndmask_b32_e32 v2, v3, v66, vcc_lo
; %bb.86:
	s_or_b32 exec_lo, exec_lo, s2
	v_and_b32_e32 v3, 0x7f800000, v67
	s_delay_alu instid0(VALU_DEP_1) | instskip(SKIP_1) | instid1(SALU_CYCLE_1)
	v_cmp_ne_u32_e32 vcc_lo, 0x7f800000, v3
                                        ; implicit-def: $vgpr3
	s_and_saveexec_b32 s2, vcc_lo
	s_xor_b32 s2, exec_lo, s2
; %bb.87:
	v_bfe_u32 v3, v67, 16, 1
	s_delay_alu instid0(VALU_DEP_1)
	v_add3_u32 v3, v67, v3, 0x7fff
; %bb.88:
	s_and_not1_saveexec_b32 s2, s2
; %bb.89:
	v_and_b32_e32 v3, 0xffff, v67
	v_or_b32_e32 v4, 0x10000, v67
	s_delay_alu instid0(VALU_DEP_2) | instskip(NEXT) | instid1(VALU_DEP_2)
	v_cmp_eq_u32_e32 vcc_lo, 0, v3
	v_cndmask_b32_e32 v3, v4, v67, vcc_lo
; %bb.90:
	s_or_b32 exec_lo, exec_lo, s2
	v_and_b32_e32 v4, 0x7f800000, v68
	s_delay_alu instid0(VALU_DEP_1) | instskip(SKIP_1) | instid1(SALU_CYCLE_1)
	v_cmp_ne_u32_e32 vcc_lo, 0x7f800000, v4
                                        ; implicit-def: $vgpr4
	s_and_saveexec_b32 s2, vcc_lo
	s_xor_b32 s2, exec_lo, s2
; %bb.91:
	v_bfe_u32 v4, v68, 16, 1
	s_delay_alu instid0(VALU_DEP_1)
	v_add3_u32 v4, v68, v4, 0x7fff
; %bb.92:
	s_and_not1_saveexec_b32 s2, s2
; %bb.93:
	v_and_b32_e32 v4, 0xffff, v68
	v_or_b32_e32 v5, 0x10000, v68
	s_delay_alu instid0(VALU_DEP_2) | instskip(NEXT) | instid1(VALU_DEP_2)
	v_cmp_eq_u32_e32 vcc_lo, 0, v4
	v_cndmask_b32_e32 v4, v5, v68, vcc_lo
; %bb.94:
	s_or_b32 exec_lo, exec_lo, s2
	v_and_b32_e32 v5, 0x7f800000, v69
	s_delay_alu instid0(VALU_DEP_1) | instskip(SKIP_1) | instid1(SALU_CYCLE_1)
	v_cmp_ne_u32_e32 vcc_lo, 0x7f800000, v5
                                        ; implicit-def: $vgpr5
	s_and_saveexec_b32 s2, vcc_lo
	s_xor_b32 s2, exec_lo, s2
; %bb.95:
	v_bfe_u32 v5, v69, 16, 1
	s_delay_alu instid0(VALU_DEP_1)
	v_add3_u32 v5, v69, v5, 0x7fff
; %bb.96:
	s_and_not1_saveexec_b32 s2, s2
; %bb.97:
	v_and_b32_e32 v5, 0xffff, v69
	v_or_b32_e32 v6, 0x10000, v69
	s_delay_alu instid0(VALU_DEP_2) | instskip(NEXT) | instid1(VALU_DEP_2)
	v_cmp_eq_u32_e32 vcc_lo, 0, v5
	v_cndmask_b32_e32 v5, v6, v69, vcc_lo
; %bb.98:
	s_or_b32 exec_lo, exec_lo, s2
	v_and_b32_e32 v6, 0x7f800000, v70
	s_delay_alu instid0(VALU_DEP_1) | instskip(SKIP_1) | instid1(SALU_CYCLE_1)
	v_cmp_ne_u32_e32 vcc_lo, 0x7f800000, v6
                                        ; implicit-def: $vgpr6
	s_and_saveexec_b32 s2, vcc_lo
	s_xor_b32 s2, exec_lo, s2
; %bb.99:
	v_bfe_u32 v6, v70, 16, 1
	s_delay_alu instid0(VALU_DEP_1)
	v_add3_u32 v6, v70, v6, 0x7fff
; %bb.100:
	s_and_not1_saveexec_b32 s2, s2
; %bb.101:
	v_and_b32_e32 v6, 0xffff, v70
	v_or_b32_e32 v7, 0x10000, v70
	s_delay_alu instid0(VALU_DEP_2) | instskip(NEXT) | instid1(VALU_DEP_2)
	v_cmp_eq_u32_e32 vcc_lo, 0, v6
	v_cndmask_b32_e32 v6, v7, v70, vcc_lo
; %bb.102:
	s_or_b32 exec_lo, exec_lo, s2
	v_and_b32_e32 v7, 0x7f800000, v71
	s_delay_alu instid0(VALU_DEP_1) | instskip(SKIP_1) | instid1(SALU_CYCLE_1)
	v_cmp_ne_u32_e32 vcc_lo, 0x7f800000, v7
                                        ; implicit-def: $vgpr7
	s_and_saveexec_b32 s2, vcc_lo
	s_xor_b32 s2, exec_lo, s2
; %bb.103:
	v_bfe_u32 v7, v71, 16, 1
	s_delay_alu instid0(VALU_DEP_1)
	v_add3_u32 v7, v71, v7, 0x7fff
; %bb.104:
	s_and_not1_saveexec_b32 s2, s2
; %bb.105:
	v_and_b32_e32 v7, 0xffff, v71
	v_or_b32_e32 v8, 0x10000, v71
	s_delay_alu instid0(VALU_DEP_2) | instskip(NEXT) | instid1(VALU_DEP_2)
	v_cmp_eq_u32_e32 vcc_lo, 0, v7
	v_cndmask_b32_e32 v7, v8, v71, vcc_lo
; %bb.106:
	s_or_b32 exec_lo, exec_lo, s2
	v_and_b32_e32 v8, 0x7f800000, v72
	s_delay_alu instid0(VALU_DEP_1) | instskip(SKIP_1) | instid1(SALU_CYCLE_1)
	v_cmp_ne_u32_e32 vcc_lo, 0x7f800000, v8
                                        ; implicit-def: $vgpr8
	s_and_saveexec_b32 s2, vcc_lo
	s_xor_b32 s2, exec_lo, s2
; %bb.107:
	v_bfe_u32 v8, v72, 16, 1
	s_delay_alu instid0(VALU_DEP_1)
	v_add3_u32 v8, v72, v8, 0x7fff
                                        ; implicit-def: $vgpr65_vgpr66_vgpr67_vgpr68_vgpr69_vgpr70_vgpr71_vgpr72
; %bb.108:
	s_and_not1_saveexec_b32 s2, s2
; %bb.109:
	v_and_b32_e32 v8, 0xffff, v72
	v_or_b32_e32 v9, 0x10000, v72
	s_delay_alu instid0(VALU_DEP_2) | instskip(NEXT) | instid1(VALU_DEP_2)
	v_cmp_eq_u32_e32 vcc_lo, 0, v8
	v_cndmask_b32_e32 v8, v9, v72, vcc_lo
; %bb.110:
	s_or_b32 exec_lo, exec_lo, s2
	s_delay_alu instid0(VALU_DEP_1)
	v_perm_b32 v7, v8, v7, 0x7060302
	v_perm_b32 v6, v6, v5, 0x7060302
	;; [unrolled: 1-line block ×4, first 2 shown]
	s_barrier
	buffer_gl0_inv
	v_cmp_eq_u32_e32 vcc_lo, 1, v78
	ds_store_b128 v76, v[4:7]
	s_waitcnt lgkmcnt(0)
	s_barrier
	buffer_gl0_inv
	ds_load_b128 v[1:4], v82
	ds_load_b128 v[5:8], v82 offset:16
	v_cmp_eq_u32_e64 s2, 1, v79
	v_cmp_eq_u32_e64 s3, 2, v78
	;; [unrolled: 1-line block ×5, first 2 shown]
	s_waitcnt lgkmcnt(1)
	v_lshrrev_b32_e32 v9, 16, v1
	s_waitcnt lgkmcnt(0)
	v_lshrrev_b32_e32 v13, 16, v5
	v_lshrrev_b32_e32 v10, 16, v2
	;; [unrolled: 1-line block ×4, first 2 shown]
	v_cndmask_b32_e64 v19, v1, v9, s2
	v_cndmask_b32_e32 v18, v5, v13, vcc_lo
	v_cndmask_b32_e64 v20, v5, v13, s2
	v_cndmask_b32_e32 v17, v1, v9, vcc_lo
	v_cmp_eq_u32_e32 vcc_lo, 2, v79
	v_lshrrev_b32_e32 v15, 16, v7
	v_cmp_eq_u32_e64 s2, 1, v77
	v_lshrrev_b32_e32 v12, 16, v4
	v_lshrrev_b32_e32 v16, 16, v8
	v_cndmask_b32_e32 v20, v20, v6, vcc_lo
	v_cndmask_b32_e64 v17, v17, v2, s3
	v_cndmask_b32_e32 v19, v19, v2, vcc_lo
	v_cndmask_b32_e64 v18, v18, v6, s3
	v_cmp_eq_u32_e32 vcc_lo, 4, v78
	v_cmp_eq_u32_e64 s3, 3, v79
	v_cndmask_b32_e64 v17, v17, v10, s4
	v_cndmask_b32_e64 v21, v1, v9, s2
	;; [unrolled: 1-line block ×5, first 2 shown]
	v_cndmask_b32_e32 v17, v17, v3, vcc_lo
	v_cndmask_b32_e64 v20, v20, v14, s3
	v_cndmask_b32_e32 v18, v18, v7, vcc_lo
	v_cmp_eq_u32_e32 vcc_lo, 4, v79
	v_cmp_eq_u32_e64 s3, 5, v79
	v_cmp_eq_u32_e64 s2, 2, v81
	v_cndmask_b32_e64 v21, v21, v2, s6
	v_cmp_eq_u32_e64 s4, 5, v78
	v_cndmask_b32_e32 v19, v19, v3, vcc_lo
	v_cndmask_b32_e32 v20, v20, v7, vcc_lo
	v_cmp_eq_u32_e32 vcc_lo, 6, v79
	s_delay_alu instid0(VALU_DEP_4) | instskip(NEXT) | instid1(VALU_DEP_4)
	v_cndmask_b32_e64 v17, v17, v11, s4
	v_cndmask_b32_e64 v19, v19, v11, s3
	s_delay_alu instid0(VALU_DEP_4) | instskip(SKIP_1) | instid1(VALU_DEP_3)
	v_cndmask_b32_e64 v20, v20, v15, s3
	v_cmp_eq_u32_e64 s3, 1, v81
	v_cndmask_b32_e32 v19, v19, v4, vcc_lo
	v_cndmask_b32_e64 v18, v18, v15, s4
	s_delay_alu instid0(VALU_DEP_3)
	v_cndmask_b32_e64 v1, v1, v9, s3
	v_cndmask_b32_e64 v5, v5, v13, s3
	v_cmp_eq_u32_e64 s3, 3, v77
	v_cndmask_b32_e64 v13, v22, v6, s6
	v_cmp_eq_u32_e64 s6, 3, v81
	v_cndmask_b32_e64 v1, v1, v2, s2
	v_cndmask_b32_e64 v2, v5, v6, s2
	;; [unrolled: 1-line block ×3, first 2 shown]
	v_cmp_eq_u32_e64 s2, 4, v77
	v_cndmask_b32_e64 v6, v13, v14, s3
	v_cndmask_b32_e64 v1, v1, v10, s6
	v_cmp_eq_u32_e64 s3, 4, v81
	v_cndmask_b32_e64 v2, v2, v14, s6
	v_cndmask_b32_e64 v5, v9, v3, s2
	;; [unrolled: 3-line block ×3, first 2 shown]
	v_cndmask_b32_e64 v2, v2, v7, s3
	v_cmp_eq_u32_e64 s2, 5, v81
	v_cmp_eq_u32_e64 s4, 6, v78
	v_cndmask_b32_e64 v5, v5, v11, s6
	v_cmp_eq_u32_e64 s3, 6, v77
	v_cndmask_b32_e64 v3, v6, v15, s6
	v_cndmask_b32_e64 v1, v1, v11, s2
	v_cmp_eq_u32_e64 s6, 6, v81
	v_cndmask_b32_e64 v2, v2, v15, s2
	v_cndmask_b32_e64 v17, v17, v4, s4
	v_cndmask_b32_e64 v18, v18, v8, s4
	v_cmp_eq_u32_e64 s4, 7, v78
	v_cndmask_b32_e64 v5, v5, v4, s3
	;; [unrolled: 4-line block ×3, first 2 shown]
	v_cmp_eq_u32_e64 s3, 7, v77
	v_cndmask_b32_e32 v4, v20, v8, vcc_lo
	v_cndmask_b32_e64 v17, v17, v12, s4
	v_cndmask_b32_e64 v19, v19, v12, s5
	v_cndmask_b32_e64 v1, v1, v12, s2
	v_cndmask_b32_e64 v5, v5, v12, s3
	v_cndmask_b32_e64 v2, v2, v16, s2
	v_cndmask_b32_e64 v3, v3, v16, s3
	v_cndmask_b32_e64 v6, v4, v16, s5
	v_cndmask_b32_e64 v7, v18, v16, s4
	s_mov_b32 s2, exec_lo
	v_perm_b32 v4, v2, v1, 0x5040100
	v_perm_b32 v3, v3, v5, 0x5040100
	;; [unrolled: 1-line block ×4, first 2 shown]
	ds_store_b128 v76, v[1:4]
	s_waitcnt lgkmcnt(0)
	s_barrier
	buffer_gl0_inv
	v_cmpx_gt_u32_e32 32, v0
	s_cbranch_execz .LBB1619_2
; %bb.111:
	s_load_b64 s[0:1], s[0:1], 0x68
	v_lshlrev_b32_e32 v0, 10, v0
	s_lshl_b32 s4, s34, 7
	v_or_b32_e32 v3, s29, v74
	s_mul_i32 s2, s4, s30
	v_lshlrev_b32_e32 v1, 4, v75
	v_lshlrev_b32_e32 v2, 6, v74
	v_and_b32_e32 v0, 0x3800, v0
	s_mul_i32 s2, s2, s7
	v_mul_lo_u32 v8, v3, s4
	s_ashr_i32 s3, s2, 31
	s_delay_alu instid0(SALU_CYCLE_1)
	s_lshl_b64 s[2:3], s[2:3], 1
	v_or3_b32 v16, v0, v1, v2
	ds_load_b128 v[0:3], v16
	ds_load_b128 v[4:7], v16 offset:128
	v_ashrrev_i32_e32 v9, 31, v8
	s_waitcnt lgkmcnt(0)
	s_add_u32 s2, s0, s2
	s_addc_u32 s3, s1, s3
	s_lshl_b32 s0, s14, 7
	s_delay_alu instid0(SALU_CYCLE_1) | instskip(SKIP_2) | instid1(SALU_CYCLE_1)
	s_ashr_i32 s1, s0, 31
	v_lshlrev_b64 v[9:10], 1, v[8:9]
	s_lshl_b64 s[0:1], s[0:1], 1
	s_add_u32 s0, s2, s0
	s_addc_u32 s1, s3, s1
	s_lshl_b32 s2, s34, 8
	v_add_co_u32 v30, s0, s0, v73
	v_add_nc_u32_e32 v11, s2, v8
	v_add_co_ci_u32_e64 v31, null, s1, 0, s0
	s_delay_alu instid0(VALU_DEP_3) | instskip(NEXT) | instid1(VALU_DEP_3)
	v_add_co_u32 v9, vcc_lo, v30, v9
	v_add_nc_u32_e32 v8, s2, v11
	s_delay_alu instid0(VALU_DEP_3) | instskip(SKIP_1) | instid1(VALU_DEP_3)
	v_add_co_ci_u32_e32 v10, vcc_lo, v31, v10, vcc_lo
	v_ashrrev_i32_e32 v12, 31, v11
	v_add_nc_u32_e32 v13, s2, v8
	global_store_b128 v[9:10], v[0:3], off
	v_ashrrev_i32_e32 v9, 31, v8
	v_lshlrev_b64 v[11:12], 1, v[11:12]
	v_ashrrev_i32_e32 v14, 31, v13
	v_add_nc_u32_e32 v10, s2, v13
	s_delay_alu instid0(VALU_DEP_4) | instskip(NEXT) | instid1(VALU_DEP_4)
	v_lshlrev_b64 v[2:3], 1, v[8:9]
	v_add_co_u32 v0, vcc_lo, v30, v11
	s_delay_alu instid0(VALU_DEP_4)
	v_lshlrev_b64 v[8:9], 1, v[13:14]
	v_add_co_ci_u32_e32 v1, vcc_lo, v31, v12, vcc_lo
	v_ashrrev_i32_e32 v11, 31, v10
	v_add_co_u32 v22, vcc_lo, v30, v2
	v_add_nc_u32_e32 v20, s2, v10
	v_add_co_ci_u32_e32 v23, vcc_lo, v31, v3, vcc_lo
	v_add_co_u32 v24, vcc_lo, v30, v8
	global_store_b128 v[0:1], v[4:7], off
	v_add_co_ci_u32_e32 v25, vcc_lo, v31, v9, vcc_lo
	ds_load_b128 v[0:3], v16 offset:256
	ds_load_b128 v[4:7], v16 offset:384
	v_lshlrev_b64 v[26:27], 1, v[10:11]
	ds_load_b128 v[8:11], v16 offset:512
	ds_load_b128 v[12:15], v16 offset:640
	;; [unrolled: 1-line block ×3, first 2 shown]
	v_add_nc_u32_e32 v28, s2, v20
	v_ashrrev_i32_e32 v21, 31, v20
	v_add_co_u32 v26, vcc_lo, v30, v26
	s_delay_alu instid0(VALU_DEP_3) | instskip(NEXT) | instid1(VALU_DEP_3)
	v_ashrrev_i32_e32 v29, 31, v28
	v_lshlrev_b64 v[20:21], 1, v[20:21]
	v_add_co_ci_u32_e32 v27, vcc_lo, v31, v27, vcc_lo
	s_delay_alu instid0(VALU_DEP_3) | instskip(NEXT) | instid1(VALU_DEP_3)
	v_lshlrev_b64 v[28:29], 1, v[28:29]
	v_add_co_u32 v20, vcc_lo, v30, v20
	s_delay_alu instid0(VALU_DEP_4) | instskip(NEXT) | instid1(VALU_DEP_3)
	v_add_co_ci_u32_e32 v21, vcc_lo, v31, v21, vcc_lo
	v_add_co_u32 v28, vcc_lo, v30, v28
	s_delay_alu instid0(VALU_DEP_4)
	v_add_co_ci_u32_e32 v29, vcc_lo, v31, v29, vcc_lo
	s_waitcnt lgkmcnt(4)
	global_store_b128 v[22:23], v[0:3], off
	s_waitcnt lgkmcnt(3)
	global_store_b128 v[24:25], v[4:7], off
	;; [unrolled: 2-line block ×5, first 2 shown]
	s_nop 0
	s_sendmsg sendmsg(MSG_DEALLOC_VGPRS)
	s_endpgm
	.section	.rodata,"a",@progbits
	.p2align	6, 0x0
	.amdhsa_kernel _Z39paged_attention_ll4mi_QKV_mfma16_kernelI14__hip_bfloat16hLN4vllm18Fp8KVCacheDataTypeE1EhLi32ELi128ELi256ELb0ELi14EL8MFMAType1EEvPKT_PKT0_S9_ifPKiSB_SB_iPKfiiiPfSE_PS4_PT2_iSD_SD_
		.amdhsa_group_segment_fixed_size 17472
		.amdhsa_private_segment_fixed_size 0
		.amdhsa_kernarg_size 400
		.amdhsa_user_sgpr_count 13
		.amdhsa_user_sgpr_dispatch_ptr 0
		.amdhsa_user_sgpr_queue_ptr 0
		.amdhsa_user_sgpr_kernarg_segment_ptr 1
		.amdhsa_user_sgpr_dispatch_id 0
		.amdhsa_user_sgpr_private_segment_size 0
		.amdhsa_wavefront_size32 1
		.amdhsa_uses_dynamic_stack 0
		.amdhsa_enable_private_segment 0
		.amdhsa_system_sgpr_workgroup_id_x 1
		.amdhsa_system_sgpr_workgroup_id_y 1
		.amdhsa_system_sgpr_workgroup_id_z 1
		.amdhsa_system_sgpr_workgroup_info 0
		.amdhsa_system_vgpr_workitem_id 0
		.amdhsa_next_free_vgpr 140
		.amdhsa_next_free_sgpr 36
		.amdhsa_reserve_vcc 1
		.amdhsa_float_round_mode_32 0
		.amdhsa_float_round_mode_16_64 0
		.amdhsa_float_denorm_mode_32 3
		.amdhsa_float_denorm_mode_16_64 3
		.amdhsa_dx10_clamp 1
		.amdhsa_ieee_mode 1
		.amdhsa_fp16_overflow 0
		.amdhsa_workgroup_processor_mode 1
		.amdhsa_memory_ordered 1
		.amdhsa_forward_progress 0
		.amdhsa_shared_vgpr_count 0
		.amdhsa_exception_fp_ieee_invalid_op 0
		.amdhsa_exception_fp_denorm_src 0
		.amdhsa_exception_fp_ieee_div_zero 0
		.amdhsa_exception_fp_ieee_overflow 0
		.amdhsa_exception_fp_ieee_underflow 0
		.amdhsa_exception_fp_ieee_inexact 0
		.amdhsa_exception_int_div_zero 0
	.end_amdhsa_kernel
	.section	.text._Z39paged_attention_ll4mi_QKV_mfma16_kernelI14__hip_bfloat16hLN4vllm18Fp8KVCacheDataTypeE1EhLi32ELi128ELi256ELb0ELi14EL8MFMAType1EEvPKT_PKT0_S9_ifPKiSB_SB_iPKfiiiPfSE_PS4_PT2_iSD_SD_,"axG",@progbits,_Z39paged_attention_ll4mi_QKV_mfma16_kernelI14__hip_bfloat16hLN4vllm18Fp8KVCacheDataTypeE1EhLi32ELi128ELi256ELb0ELi14EL8MFMAType1EEvPKT_PKT0_S9_ifPKiSB_SB_iPKfiiiPfSE_PS4_PT2_iSD_SD_,comdat
.Lfunc_end1619:
	.size	_Z39paged_attention_ll4mi_QKV_mfma16_kernelI14__hip_bfloat16hLN4vllm18Fp8KVCacheDataTypeE1EhLi32ELi128ELi256ELb0ELi14EL8MFMAType1EEvPKT_PKT0_S9_ifPKiSB_SB_iPKfiiiPfSE_PS4_PT2_iSD_SD_, .Lfunc_end1619-_Z39paged_attention_ll4mi_QKV_mfma16_kernelI14__hip_bfloat16hLN4vllm18Fp8KVCacheDataTypeE1EhLi32ELi128ELi256ELb0ELi14EL8MFMAType1EEvPKT_PKT0_S9_ifPKiSB_SB_iPKfiiiPfSE_PS4_PT2_iSD_SD_
                                        ; -- End function
	.section	.AMDGPU.csdata,"",@progbits
; Kernel info:
; codeLenInByte = 9052
; NumSgprs: 38
; NumVgprs: 140
; ScratchSize: 0
; MemoryBound: 0
; FloatMode: 240
; IeeeMode: 1
; LDSByteSize: 17472 bytes/workgroup (compile time only)
; SGPRBlocks: 4
; VGPRBlocks: 17
; NumSGPRsForWavesPerEU: 38
; NumVGPRsForWavesPerEU: 140
; Occupancy: 10
; WaveLimiterHint : 1
; COMPUTE_PGM_RSRC2:SCRATCH_EN: 0
; COMPUTE_PGM_RSRC2:USER_SGPR: 13
; COMPUTE_PGM_RSRC2:TRAP_HANDLER: 0
; COMPUTE_PGM_RSRC2:TGID_X_EN: 1
; COMPUTE_PGM_RSRC2:TGID_Y_EN: 1
; COMPUTE_PGM_RSRC2:TGID_Z_EN: 1
; COMPUTE_PGM_RSRC2:TIDIG_COMP_CNT: 0
	.section	.text._Z39paged_attention_ll4mi_QKV_mfma16_kernelI14__hip_bfloat16hLN4vllm18Fp8KVCacheDataTypeE1EhLi32ELi128ELi256ELb0ELi15EL8MFMAType1EEvPKT_PKT0_S9_ifPKiSB_SB_iPKfiiiPfSE_PS4_PT2_iSD_SD_,"axG",@progbits,_Z39paged_attention_ll4mi_QKV_mfma16_kernelI14__hip_bfloat16hLN4vllm18Fp8KVCacheDataTypeE1EhLi32ELi128ELi256ELb0ELi15EL8MFMAType1EEvPKT_PKT0_S9_ifPKiSB_SB_iPKfiiiPfSE_PS4_PT2_iSD_SD_,comdat
	.protected	_Z39paged_attention_ll4mi_QKV_mfma16_kernelI14__hip_bfloat16hLN4vllm18Fp8KVCacheDataTypeE1EhLi32ELi128ELi256ELb0ELi15EL8MFMAType1EEvPKT_PKT0_S9_ifPKiSB_SB_iPKfiiiPfSE_PS4_PT2_iSD_SD_ ; -- Begin function _Z39paged_attention_ll4mi_QKV_mfma16_kernelI14__hip_bfloat16hLN4vllm18Fp8KVCacheDataTypeE1EhLi32ELi128ELi256ELb0ELi15EL8MFMAType1EEvPKT_PKT0_S9_ifPKiSB_SB_iPKfiiiPfSE_PS4_PT2_iSD_SD_
	.globl	_Z39paged_attention_ll4mi_QKV_mfma16_kernelI14__hip_bfloat16hLN4vllm18Fp8KVCacheDataTypeE1EhLi32ELi128ELi256ELb0ELi15EL8MFMAType1EEvPKT_PKT0_S9_ifPKiSB_SB_iPKfiiiPfSE_PS4_PT2_iSD_SD_
	.p2align	8
	.type	_Z39paged_attention_ll4mi_QKV_mfma16_kernelI14__hip_bfloat16hLN4vllm18Fp8KVCacheDataTypeE1EhLi32ELi128ELi256ELb0ELi15EL8MFMAType1EEvPKT_PKT0_S9_ifPKiSB_SB_iPKfiiiPfSE_PS4_PT2_iSD_SD_,@function
_Z39paged_attention_ll4mi_QKV_mfma16_kernelI14__hip_bfloat16hLN4vllm18Fp8KVCacheDataTypeE1EhLi32ELi128ELi256ELb0ELi15EL8MFMAType1EEvPKT_PKT0_S9_ifPKiSB_SB_iPKfiiiPfSE_PS4_PT2_iSD_SD_: ; @_Z39paged_attention_ll4mi_QKV_mfma16_kernelI14__hip_bfloat16hLN4vllm18Fp8KVCacheDataTypeE1EhLi32ELi128ELi256ELb0ELi15EL8MFMAType1EEvPKT_PKT0_S9_ifPKiSB_SB_iPKfiiiPfSE_PS4_PT2_iSD_SD_
; %bb.0:
	s_load_b64 s[4:5], s[0:1], 0x30
	s_mov_b32 s30, s13
	s_waitcnt lgkmcnt(0)
	s_cmp_lg_u64 s[4:5], 0
	s_cselect_b32 s13, -1, 0
	s_ashr_i32 s31, s30, 31
	s_cmp_eq_u64 s[4:5], 0
	s_cbranch_scc1 .LBB1620_3
; %bb.1:
	s_lshl_b64 s[2:3], s[30:31], 2
	s_delay_alu instid0(SALU_CYCLE_1) | instskip(SKIP_4) | instid1(SALU_CYCLE_1)
	s_add_u32 s2, s4, s2
	s_addc_u32 s3, s5, s3
	s_load_b64 s[2:3], s[2:3], 0x0
	s_waitcnt lgkmcnt(0)
	s_sub_i32 s2, s3, s2
	s_cmp_eq_u32 s2, 1
	s_cselect_b32 s2, -1, 0
	s_delay_alu instid0(SALU_CYCLE_1)
	s_and_not1_b32 vcc_lo, exec_lo, s2
	s_cbranch_vccz .LBB1620_4
.LBB1620_2:
	s_nop 0
	s_sendmsg sendmsg(MSG_DEALLOC_VGPRS)
	s_endpgm
.LBB1620_3:
.LBB1620_4:
	s_load_b64 s[2:3], s[0:1], 0x28
	s_lshl_b64 s[6:7], s[30:31], 2
	s_waitcnt lgkmcnt(0)
	s_add_u32 s2, s2, s6
	s_addc_u32 s3, s3, s7
	s_lshl_b32 s12, s14, 8
	s_load_b32 s17, s[2:3], 0x0
	s_waitcnt lgkmcnt(0)
	s_cmp_ge_i32 s12, s17
	s_cbranch_scc1 .LBB1620_2
; %bb.5:
	s_clause 0x1
	s_load_b128 s[8:11], s[0:1], 0x8
	s_load_b64 s[2:3], s[0:1], 0x20
	s_and_not1_b32 vcc_lo, exec_lo, s13
	s_cbranch_vccnz .LBB1620_7
; %bb.6:
	s_add_u32 s4, s4, s6
	s_addc_u32 s5, s5, s7
	s_load_b32 s13, s[4:5], 0x0
	s_branch .LBB1620_8
.LBB1620_7:
	s_mov_b32 s13, s30
.LBB1620_8:
	s_load_b128 s[4:7], s[0:1], 0x48
	v_and_b32_e32 v65, 15, v0
	v_lshrrev_b32_e32 v66, 5, v0
	v_bfe_u32 v74, v0, 4, 1
	v_and_b32_e32 v67, 31, v0
	v_and_b32_e32 v75, 1, v0
	v_lshlrev_b32_e32 v2, 3, v65
	s_mul_i32 s31, s15, 15
	v_lshl_or_b32 v1, v66, 1, v74
	s_waitcnt lgkmcnt(0)
	s_mov_b32 s7, exec_lo
	v_lshlrev_b32_e32 v73, 1, v2
	s_delay_alu instid0(VALU_DEP_2)
	v_cmpx_gt_u32_e32 15, v1
	s_cbranch_execz .LBB1620_10
; %bb.9:
	s_load_b64 s[18:19], s[0:1], 0x0
	v_add_lshl_u32 v2, v1, s31, 7
	s_mul_hi_i32 s21, s13, s4
	s_mul_i32 s20, s13, s4
	v_lshlrev_b32_e32 v6, 10, v65
	s_lshl_b64 s[20:21], s[20:21], 1
	v_ashrrev_i32_e32 v3, 31, v2
	v_lshlrev_b32_e32 v1, 6, v1
	v_lshlrev_b32_e32 v7, 10, v75
	v_and_b32_e32 v6, 0x3800, v6
	s_delay_alu instid0(VALU_DEP_4) | instskip(NEXT) | instid1(VALU_DEP_2)
	v_lshlrev_b64 v[2:3], 1, v[2:3]
	v_or3_b32 v1, v6, v7, v1
	s_waitcnt lgkmcnt(0)
	s_add_u32 s4, s18, s20
	s_addc_u32 s13, s19, s21
	s_delay_alu instid0(VALU_DEP_2) | instskip(SKIP_1) | instid1(VALU_DEP_2)
	v_add_co_u32 v2, vcc_lo, s4, v2
	v_add_co_ci_u32_e32 v3, vcc_lo, s13, v3, vcc_lo
	v_add_co_u32 v2, vcc_lo, v2, v73
	s_delay_alu instid0(VALU_DEP_2)
	v_add_co_ci_u32_e32 v3, vcc_lo, 0, v3, vcc_lo
	global_load_b128 v[2:5], v[2:3], off
	s_waitcnt vmcnt(0)
	ds_store_b128 v1, v[2:5]
.LBB1620_10:
	s_or_b32 exec_lo, exec_lo, s7
	v_and_b32_e32 v1, 0xef, v0
	s_add_i32 s4, s17, 31
	s_clause 0x1
	s_load_b32 s7, s[0:1], 0x38
	s_load_b32 s18, s[0:1], 0x1c
	s_ashr_i32 s13, s4, 31
	v_add_nc_u32_e32 v1, s12, v1
	s_lshr_b32 s13, s13, 27
	s_waitcnt lgkmcnt(0)
	s_add_i32 s4, s4, s13
	s_barrier
	v_ashrrev_i32_e32 v2, 31, v1
	v_or_b32_e32 v3, 16, v1
	s_ashr_i32 s4, s4, 5
	v_cmp_gt_i32_e32 vcc_lo, s17, v1
	s_add_i32 s4, s4, -1
	v_lshrrev_b32_e32 v2, 27, v2
	buffer_gl0_inv
	s_mul_i32 s15, s15, s6
	v_add_nc_u32_e32 v4, v1, v2
	s_mul_i32 s20, s30, s7
	s_delay_alu instid0(SALU_CYCLE_1) | instskip(NEXT) | instid1(VALU_DEP_1)
	s_ashr_i32 s21, s20, 31
	v_ashrrev_i32_e32 v4, 5, v4
	v_add_nc_u32_e32 v2, v3, v2
	s_lshl_b64 s[20:21], s[20:21], 2
	s_delay_alu instid0(SALU_CYCLE_1) | instskip(NEXT) | instid1(VALU_DEP_2)
	s_add_u32 s13, s2, s20
	v_cndmask_b32_e32 v1, s4, v4, vcc_lo
	s_delay_alu instid0(VALU_DEP_2)
	v_ashrrev_i32_e32 v2, 5, v2
	v_cmp_gt_i32_e32 vcc_lo, s17, v3
	s_addc_u32 s16, s3, s21
	s_ashr_i32 s19, s15, 31
	s_add_u32 s2, s8, s15
	s_addc_u32 s3, s9, s19
	v_cndmask_b32_e32 v3, s4, v2, vcc_lo
	v_ashrrev_i32_e32 v2, 31, v1
	s_lshl_b32 s6, s14, 3
	s_delay_alu instid0(SALU_CYCLE_1) | instskip(NEXT) | instid1(VALU_DEP_2)
	s_ashr_i32 s7, s6, 31
	v_ashrrev_i32_e32 v4, 31, v3
	s_delay_alu instid0(VALU_DEP_2) | instskip(SKIP_1) | instid1(SALU_CYCLE_1)
	v_lshlrev_b64 v[1:2], 2, v[1:2]
	s_lshl_b64 s[6:7], s[6:7], 2
	s_add_u32 s6, s13, s6
	s_delay_alu instid0(VALU_DEP_2) | instskip(SKIP_1) | instid1(VALU_DEP_2)
	v_lshlrev_b64 v[3:4], 2, v[3:4]
	s_addc_u32 s7, s16, s7
	v_add_co_u32 v1, vcc_lo, s13, v1
	v_add_co_ci_u32_e32 v2, vcc_lo, s16, v2, vcc_lo
	s_delay_alu instid0(VALU_DEP_3) | instskip(NEXT) | instid1(VALU_DEP_4)
	v_add_co_u32 v3, vcc_lo, s13, v3
	v_add_co_ci_u32_e32 v4, vcc_lo, s16, v4, vcc_lo
	s_clause 0x1
	global_load_b32 v5, v[1:2], off
	global_load_b32 v6, v[3:4], off
	s_or_b32 s8, s12, 32
	s_delay_alu instid0(SALU_CYCLE_1) | instskip(SKIP_2) | instid1(SALU_CYCLE_1)
	s_ashr_i32 s9, s8, 5
	s_cmp_lt_i32 s8, s17
	s_cselect_b32 s8, s9, s4
	s_ashr_i32 s9, s8, 31
	s_delay_alu instid0(SALU_CYCLE_1) | instskip(NEXT) | instid1(SALU_CYCLE_1)
	s_lshl_b64 s[8:9], s[8:9], 2
	s_add_u32 s8, s13, s8
	s_addc_u32 s9, s16, s9
	s_or_b32 s20, s12, 64
	s_delay_alu instid0(SALU_CYCLE_1) | instskip(SKIP_2) | instid1(SALU_CYCLE_1)
	s_ashr_i32 s21, s20, 5
	s_cmp_lt_i32 s20, s17
	s_cselect_b32 s20, s21, s4
	s_ashr_i32 s21, s20, 31
	s_delay_alu instid0(SALU_CYCLE_1) | instskip(NEXT) | instid1(SALU_CYCLE_1)
	s_lshl_b64 s[20:21], s[20:21], 2
	s_add_u32 s20, s13, s20
	s_addc_u32 s21, s16, s21
	;; [unrolled: 10-line block ×5, first 2 shown]
	s_clause 0x5
	s_load_b32 s28, s[6:7], 0x0
	s_load_b32 s8, s[8:9], 0x0
	s_load_b32 s9, s[20:21], 0x0
	s_load_b32 s29, s[22:23], 0x0
	s_load_b32 s33, s[24:25], 0x0
	s_load_b32 s34, s[26:27], 0x0
	s_mov_b32 s20, 0
	s_delay_alu instid0(SALU_CYCLE_1)
	s_mov_b32 s21, s20
	s_mov_b32 s22, s20
	;; [unrolled: 1-line block ×7, first 2 shown]
	s_delay_alu instid0(SALU_CYCLE_1)
	v_dual_mov_b32 v107, s27 :: v_dual_mov_b32 v100, s20
	v_mov_b32_e32 v106, s26
	v_dual_mov_b32 v104, s24 :: v_dual_mov_b32 v103, s23
	v_dual_mov_b32 v101, s21 :: v_dual_mov_b32 v102, s22
	s_waitcnt vmcnt(1)
	v_mad_i64_i32 v[1:2], null, v5, s5, s[2:3]
	v_lshlrev_b32_e32 v5, 4, v65
	s_waitcnt vmcnt(0)
	v_mad_i64_i32 v[3:4], null, v6, s5, s[2:3]
	s_or_b32 s2, s12, 0xc0
	s_delay_alu instid0(SALU_CYCLE_1) | instskip(NEXT) | instid1(VALU_DEP_3)
	s_ashr_i32 s3, s2, 5
	v_add_co_u32 v33, vcc_lo, v1, v5
	s_delay_alu instid0(VALU_DEP_4) | instskip(NEXT) | instid1(VALU_DEP_3)
	v_add_co_ci_u32_e32 v34, vcc_lo, 0, v2, vcc_lo
	v_add_co_u32 v35, vcc_lo, v3, v5
	s_delay_alu instid0(VALU_DEP_4)
	v_add_co_ci_u32_e32 v36, vcc_lo, 0, v4, vcc_lo
	s_clause 0xf
	global_load_b128 v[1:4], v[33:34], off
	global_load_b128 v[5:8], v[33:34], off offset:512
	global_load_b128 v[9:12], v[35:36], off offset:256
	;; [unrolled: 1-line block ×15, first 2 shown]
	s_cmp_lt_i32 s2, s17
	v_cmp_ne_u32_e32 vcc_lo, 15, v65
	s_cselect_b32 s2, s3, s4
	v_lshlrev_b32_e32 v34, 5, v65
	s_ashr_i32 s3, s2, 31
	s_delay_alu instid0(SALU_CYCLE_1) | instskip(SKIP_4) | instid1(VALU_DEP_1)
	s_lshl_b64 s[2:3], s[2:3], 2
	v_cndmask_b32_e32 v33, 0, v65, vcc_lo
	s_add_u32 s2, s13, s2
	s_addc_u32 s3, s16, s3
	s_or_b32 s6, s12, 0xe0
	v_dual_mov_b32 v105, s25 :: v_dual_lshlrev_b32 v72, 6, v33
	s_ashr_i32 s7, s6, 5
	s_cmp_lt_i32 s6, s17
	v_lshl_or_b32 v41, v66, 9, v34
	s_cselect_b32 s6, s7, s4
	ds_load_b128 v[33:36], v72
	ds_load_b128 v[37:40], v72 offset:1024
	s_ashr_i32 s7, s6, 31
	ds_load_b128 v[108:111], v72 offset:2048
	ds_load_b128 v[112:115], v72 offset:3072
	s_lshl_b64 s[6:7], s[6:7], 2
	s_load_b32 s4, s[2:3], 0x0
	s_add_u32 s2, s13, s6
	s_addc_u32 s3, s16, s7
	ds_load_b128 v[116:119], v72 offset:4096
	ds_load_b128 v[120:123], v72 offset:5120
	s_load_b32 s2, s[2:3], 0x0
	s_add_u32 s6, s10, s15
	s_addc_u32 s7, s11, s19
	v_add_co_u32 v68, s6, s6, v41
	s_delay_alu instid0(VALU_DEP_1) | instskip(SKIP_1) | instid1(VALU_DEP_1)
	v_add_co_ci_u32_e64 v69, null, s7, 0, s6
	s_waitcnt lgkmcnt(0)
	v_mad_i64_i32 v[41:42], null, s28, s5, v[68:69]
	v_mad_i64_i32 v[70:71], null, s9, s5, v[68:69]
	;; [unrolled: 1-line block ×7, first 2 shown]
	s_clause 0x3
	global_load_b128 v[49:52], v[41:42], off
	global_load_b128 v[53:56], v[41:42], off offset:16
	global_load_b128 v[41:44], v[45:46], off
	global_load_b128 v[45:48], v[45:46], off offset:16
	s_waitcnt vmcnt(18)
	v_wmma_f32_16x16x16_bf16 v[124:131], v[1:8], v[33:40], v[100:107]
	s_waitcnt vmcnt(16)
	v_wmma_f32_16x16x16_bf16 v[100:107], v[9:16], v[33:40], v[100:107]
	s_clause 0x1
	global_load_b128 v[33:36], v[70:71], off
	global_load_b128 v[37:40], v[70:71], off offset:16
	v_mad_i64_i32 v[70:71], null, s2, s5, v[68:69]
	s_waitcnt vmcnt(16)
	v_wmma_f32_16x16x16_bf16 v[124:131], v[17:24], v[108:115], v[124:131]
	s_waitcnt vmcnt(14)
	v_wmma_f32_16x16x16_bf16 v[100:107], v[25:32], v[108:115], v[100:107]
	s_clause 0x7
	global_load_b128 v[25:28], v[132:133], off
	global_load_b128 v[29:32], v[132:133], off offset:16
	global_load_b128 v[1:4], v[134:135], off
	global_load_b128 v[5:8], v[134:135], off offset:16
	;; [unrolled: 2-line block ×4, first 2 shown]
	s_waitcnt vmcnt(20)
	v_wmma_f32_16x16x16_bf16 v[124:131], v[57:64], v[116:123], v[124:131]
	s_clause 0x1
	global_load_b128 v[57:60], v[70:71], off
	global_load_b128 v[61:64], v[70:71], off offset:16
	s_waitcnt vmcnt(20)
	v_wmma_f32_16x16x16_bf16 v[100:107], v[76:83], v[116:123], v[100:107]
	ds_load_b128 v[76:79], v72 offset:6144
	ds_load_b128 v[80:83], v72 offset:7168
	v_and_b32_e32 v68, 0xe0, v0
	v_mbcnt_lo_u32_b32 v69, -1, 0
	s_waitcnt vmcnt(0) lgkmcnt(0)
	s_barrier
	buffer_gl0_inv
	v_add_nc_u32_e32 v68, s12, v68
	v_xor_b32_e32 v70, 16, v69
	s_delay_alu instid0(VALU_DEP_2) | instskip(NEXT) | instid1(VALU_DEP_2)
	v_or_b32_e32 v68, v68, v74
	v_cmp_gt_i32_e32 vcc_lo, 32, v70
	s_delay_alu instid0(VALU_DEP_2)
	v_or_b32_e32 v71, 4, v68
	v_or_b32_e32 v72, 6, v68
	v_cmp_gt_i32_e64 s2, s17, v68
	v_or_b32_e32 v108, 8, v68
	v_wmma_f32_16x16x16_bf16 v[124:131], v[84:91], v[76:83], v[124:131]
	v_cndmask_b32_e32 v69, v69, v70, vcc_lo
	v_or_b32_e32 v70, 2, v68
	v_wmma_f32_16x16x16_bf16 v[100:107], v[92:99], v[76:83], v[100:107]
	v_or_b32_e32 v109, 10, v68
	v_dual_mul_f32 v78, s18, v131 :: v_dual_mul_f32 v83, s18, v126
	v_dual_mul_f32 v92, s18, v125 :: v_dual_mul_f32 v93, s18, v124
	s_delay_alu instid0(VALU_DEP_4) | instskip(SKIP_2) | instid1(VALU_DEP_4)
	v_mul_f32_e32 v94, s18, v107
	v_cmp_gt_i32_e32 vcc_lo, s17, v70
	v_dual_mul_f32 v81, s18, v128 :: v_dual_mul_f32 v82, s18, v127
	v_cndmask_b32_e64 v93, 0xff7fffff, v93, s2
	v_cmp_gt_i32_e64 s3, s17, v71
	v_cndmask_b32_e32 v92, 0xff7fffff, v92, vcc_lo
	v_cmp_gt_i32_e64 s4, s17, v72
	v_or_b32_e32 v84, 12, v68
	v_or_b32_e32 v85, 14, v68
	v_dual_mul_f32 v79, s18, v130 :: v_dual_mul_f32 v80, s18, v129
	v_cndmask_b32_e64 v71, 0xff7fffff, v83, s3
	v_cndmask_b32_e64 v72, 0xff7fffff, v82, s4
	v_max3_f32 v82, v93, 0xff7fffff, v92
	v_cmp_gt_i32_e64 s5, s17, v108
	v_cmp_gt_i32_e64 s6, s17, v109
	v_or_b32_e32 v86, 16, v68
	v_or_b32_e32 v87, 18, v68
	v_max3_f32 v71, v82, v71, v72
	v_cndmask_b32_e64 v81, 0xff7fffff, v81, s5
	v_cndmask_b32_e64 v80, 0xff7fffff, v80, s6
	v_cmp_gt_i32_e64 s7, s17, v84
	v_cmp_gt_i32_e64 s8, s17, v85
	v_or_b32_e32 v88, 20, v68
	v_or_b32_e32 v89, 22, v68
	;; [unrolled: 1-line block ×6, first 2 shown]
	v_dual_mul_f32 v99, s18, v102 :: v_dual_mul_f32 v70, s18, v101
	v_mul_f32_e32 v68, s18, v100
	v_cndmask_b32_e64 v72, 0xff7fffff, v79, s7
	v_cndmask_b32_e64 v78, 0xff7fffff, v78, s8
	v_max3_f32 v71, v71, v81, v80
	v_cmp_gt_i32_e64 s9, s17, v86
	v_cmp_gt_i32_e64 s10, s17, v87
	v_dual_mul_f32 v97, s18, v104 :: v_dual_mul_f32 v98, s18, v103
	s_delay_alu instid0(VALU_DEP_4) | instskip(SKIP_1) | instid1(VALU_DEP_4)
	v_max3_f32 v71, v71, v72, v78
	v_cmp_gt_i32_e64 s11, s17, v88
	v_cndmask_b32_e64 v70, 0xff7fffff, v70, s10
	v_cmp_gt_i32_e64 s12, s17, v89
	v_lshlrev_b32_e32 v89, 2, v69
	v_cndmask_b32_e64 v68, 0xff7fffff, v68, s9
	v_dual_mul_f32 v95, s18, v106 :: v_dual_mul_f32 v96, s18, v105
	v_cndmask_b32_e64 v72, 0xff7fffff, v99, s11
	v_cndmask_b32_e64 v78, 0xff7fffff, v98, s12
	s_delay_alu instid0(VALU_DEP_4)
	v_max3_f32 v68, v71, v68, v70
	v_cmp_gt_i32_e64 s13, s17, v90
	v_cmp_gt_i32_e64 s15, s17, v91
	;; [unrolled: 1-line block ×4, first 2 shown]
	v_max3_f32 v68, v68, v72, v78
	v_cndmask_b32_e64 v70, 0xff7fffff, v97, s13
	v_cndmask_b32_e64 v71, 0xff7fffff, v96, s15
	;; [unrolled: 1-line block ×4, first 2 shown]
	s_delay_alu instid0(VALU_DEP_3) | instskip(NEXT) | instid1(VALU_DEP_1)
	v_max3_f32 v68, v68, v70, v71
	v_max3_f32 v68, v68, v72, v76
	ds_bpermute_b32 v69, v89, v68
	s_waitcnt lgkmcnt(0)
	v_max_f32_e32 v69, v69, v69
	s_delay_alu instid0(VALU_DEP_1) | instskip(NEXT) | instid1(VALU_DEP_1)
	v_max_f32_e32 v68, v68, v69
	v_fma_f32 v71, s18, v126, -v68
	s_delay_alu instid0(VALU_DEP_1)
	v_mul_f32_e32 v71, 0x3fb8aa3b, v71
	v_fma_f32 v69, s18, v124, -v68
	v_fma_f32 v70, s18, v125, -v68
	;; [unrolled: 1-line block ×4, first 2 shown]
	v_exp_f32_e32 v71, v71
	s_delay_alu instid0(VALU_DEP_3) | instskip(SKIP_2) | instid1(VALU_DEP_3)
	v_dual_mul_f32 v69, 0x3fb8aa3b, v69 :: v_dual_mul_f32 v70, 0x3fb8aa3b, v70
	v_fma_f32 v78, s18, v130, -v68
	v_fma_f32 v81, s18, v105, -v68
	v_exp_f32_e32 v69, v69
	s_delay_alu instid0(VALU_DEP_3) | instskip(SKIP_1) | instid1(VALU_DEP_2)
	v_exp_f32_e32 v70, v70
	v_mul_f32_e32 v77, 0x3fb8aa3b, v76
	v_mul_f32_e32 v81, 0x3fb8aa3b, v81
	s_delay_alu instid0(TRANS32_DEP_3) | instskip(SKIP_1) | instid1(VALU_DEP_3)
	v_cndmask_b32_e64 v83, 0, v71, s3
	v_fma_f32 v71, s18, v131, -v68
	v_exp_f32_e32 v81, v81
	s_delay_alu instid0(TRANS32_DEP_3) | instskip(NEXT) | instid1(TRANS32_DEP_2)
	v_cndmask_b32_e64 v80, 0, v69, s2
	v_cndmask_b32_e32 v76, 0, v70, vcc_lo
	v_fma_f32 v69, s18, v129, -v68
	v_mul_f32_e32 v72, 0x3fb8aa3b, v72
	v_exp_f32_e32 v77, v77
	v_dual_add_f32 v70, 0, v80 :: v_dual_mul_f32 v71, 0x3fb8aa3b, v71
	s_delay_alu instid0(VALU_DEP_3) | instskip(NEXT) | instid1(VALU_DEP_3)
	v_mul_f32_e32 v69, 0x3fb8aa3b, v69
	v_exp_f32_e32 v72, v72
	v_cmp_gt_u32_e64 s2, 16, v67
	s_delay_alu instid0(VALU_DEP_3) | instskip(NEXT) | instid1(VALU_DEP_2)
	v_exp_f32_e32 v71, v71
	v_exp_f32_e32 v69, v69
	v_cndmask_b32_e64 v86, 0, v77, s5
	v_fma_f32 v77, s18, v101, -v68
	v_add_f32_e32 v70, v70, v76
	s_delay_alu instid0(TRANS32_DEP_3) | instskip(SKIP_1) | instid1(VALU_DEP_3)
	v_cndmask_b32_e64 v85, 0, v72, s4
	v_fma_f32 v72, s18, v100, -v68
	v_dual_mul_f32 v77, 0x3fb8aa3b, v77 :: v_dual_add_f32 v70, v70, v83
	s_delay_alu instid0(TRANS32_DEP_2) | instskip(SKIP_1) | instid1(TRANS32_DEP_1)
	v_cndmask_b32_e64 v88, 0, v71, s8
	v_fma_f32 v71, s18, v104, -v68
	v_cndmask_b32_e64 v87, 0, v69, s6
	s_delay_alu instid0(VALU_DEP_4) | instskip(NEXT) | instid1(VALU_DEP_2)
	v_exp_f32_e32 v77, v77
	v_dual_add_f32 v70, v70, v85 :: v_dual_mul_f32 v71, 0x3fb8aa3b, v71
	s_delay_alu instid0(VALU_DEP_1) | instskip(SKIP_2) | instid1(VALU_DEP_3)
	v_dual_mul_f32 v72, 0x3fb8aa3b, v72 :: v_dual_add_f32 v69, v70, v86
	v_mul_f32_e32 v78, 0x3fb8aa3b, v78
	v_fma_f32 v70, s18, v102, -v68
	v_exp_f32_e32 v72, v72
	v_exp_f32_e32 v82, v71
	v_add_f32_e32 v69, v69, v87
	v_exp_f32_e32 v78, v78
	v_mul_f32_e32 v70, 0x3fb8aa3b, v70
	s_delay_alu instid0(VALU_DEP_1) | instskip(SKIP_4) | instid1(VALU_DEP_2)
	v_exp_f32_e32 v79, v70
	v_cndmask_b32_e64 v70, 0, v72, s9
	s_waitcnt_depctr 0xfff
	v_cndmask_b32_e64 v84, 0, v78, s7
	v_fma_f32 v78, s18, v103, -v68
	v_add_f32_e32 v69, v69, v84
	v_cndmask_b32_e64 v71, 0, v79, s11
	s_delay_alu instid0(VALU_DEP_2) | instskip(SKIP_2) | instid1(VALU_DEP_1)
	v_add_f32_e32 v72, v69, v88
	v_cndmask_b32_e64 v69, 0, v77, s10
	v_fma_f32 v77, s18, v106, -v68
	v_dual_mul_f32 v77, 0x3fb8aa3b, v77 :: v_dual_add_f32 v72, v72, v70
	v_mul_f32_e32 v78, 0x3fb8aa3b, v78
	s_delay_alu instid0(VALU_DEP_2) | instskip(NEXT) | instid1(VALU_DEP_2)
	v_exp_f32_e32 v90, v77
	v_add_f32_e32 v79, v72, v69
	s_delay_alu instid0(VALU_DEP_2)
	v_exp_f32_e32 v78, v78
	v_cndmask_b32_e64 v77, 0, v82, s13
	s_waitcnt_depctr 0xfff
	v_cndmask_b32_e64 v72, 0, v78, s12
	v_add_f32_e32 v78, v79, v71
	v_fma_f32 v79, s18, v107, -v68
	s_delay_alu instid0(VALU_DEP_1) | instskip(SKIP_1) | instid1(VALU_DEP_2)
	v_dual_add_f32 v82, v78, v72 :: v_dual_mul_f32 v79, 0x3fb8aa3b, v79
	v_cndmask_b32_e64 v78, 0, v81, s15
	v_add_f32_e32 v81, v82, v77
	s_delay_alu instid0(VALU_DEP_3) | instskip(SKIP_1) | instid1(VALU_DEP_2)
	v_exp_f32_e32 v82, v79
	v_cndmask_b32_e64 v79, 0, v90, s16
	v_add_f32_e32 v81, v81, v78
	s_delay_alu instid0(VALU_DEP_1) | instskip(SKIP_2) | instid1(VALU_DEP_1)
	v_add_f32_e32 v90, v81, v79
	s_waitcnt_depctr 0xfff
	v_cndmask_b32_e64 v81, 0, v82, s17
	v_add_f32_e32 v82, v90, v81
	ds_bpermute_b32 v89, v89, v82
	s_and_saveexec_b32 s3, s2
	s_cbranch_execz .LBB1620_12
; %bb.11:
	v_mul_u32_u24_e32 v67, 0x44, v66
	s_delay_alu instid0(VALU_DEP_1) | instskip(SKIP_1) | instid1(VALU_DEP_1)
	v_lshl_add_u32 v67, v65, 2, v67
	s_waitcnt lgkmcnt(0)
	v_dual_add_f32 v82, v82, v89 :: v_dual_add_nc_u32 v67, 0x4000, v67
	ds_store_2addr_b32 v67, v68, v82 offset1:136
.LBB1620_12:
	s_or_b32 exec_lo, exec_lo, s3
	v_lshlrev_b32_e32 v67, 2, v65
	s_waitcnt lgkmcnt(0)
	s_barrier
	buffer_gl0_inv
	v_cmp_eq_u32_e32 vcc_lo, 1, v66
	v_add_nc_u32_e32 v82, 0x4000, v67
	v_cmp_eq_u32_e64 s3, 2, v66
	v_cmp_eq_u32_e64 s5, 7, v66
	ds_load_2addr_b32 v[89:90], v82 offset1:17
	ds_load_2addr_b32 v[91:92], v82 offset0:34 offset1:51
	ds_load_2addr_b32 v[93:94], v82 offset0:68 offset1:85
	;; [unrolled: 1-line block ×4, first 2 shown]
	s_waitcnt lgkmcnt(4)
	v_max3_f32 v67, v89, 0xff7fffff, v90
	s_waitcnt lgkmcnt(3)
	s_delay_alu instid0(VALU_DEP_1) | instskip(SKIP_1) | instid1(VALU_DEP_1)
	v_max3_f32 v67, v67, v91, v92
	s_waitcnt lgkmcnt(2)
	v_max3_f32 v67, v67, v93, v94
	s_waitcnt lgkmcnt(1)
	s_delay_alu instid0(VALU_DEP_1) | instskip(NEXT) | instid1(VALU_DEP_1)
	v_max3_f32 v67, v67, v95, v96
	v_sub_f32_e32 v93, v93, v67
	s_delay_alu instid0(VALU_DEP_1) | instskip(NEXT) | instid1(VALU_DEP_1)
	v_dual_sub_f32 v68, v89, v67 :: v_dual_mul_f32 v103, 0x3fb8aa3b, v93
	v_mul_f32_e32 v68, 0x3fb8aa3b, v68
	s_delay_alu instid0(VALU_DEP_1)
	v_exp_f32_e32 v100, v68
	v_sub_f32_e32 v68, v92, v67
	v_sub_f32_e32 v99, v90, v67
	ds_load_2addr_b32 v[89:90], v82 offset0:170 offset1:187
	v_dual_mul_f32 v102, 0x3fb8aa3b, v68 :: v_dual_mul_f32 v99, 0x3fb8aa3b, v99
	s_waitcnt lgkmcnt(1)
	v_fma_f32 v68, v100, v97, 0
	s_delay_alu instid0(VALU_DEP_2) | instskip(NEXT) | instid1(VALU_DEP_2)
	v_exp_f32_e32 v102, v102
	v_exp_f32_e32 v99, v99
	s_waitcnt_depctr 0xfff
	v_fmac_f32_e32 v68, v99, v98
	v_sub_f32_e32 v91, v91, v67
	s_delay_alu instid0(VALU_DEP_1)
	v_mul_f32_e32 v101, 0x3fb8aa3b, v91
	ds_load_2addr_b32 v[91:92], v82 offset0:204 offset1:221
	v_sub_f32_e32 v97, v94, v67
	ds_load_2addr_b32 v[93:94], v82 offset0:238 offset1:255
	s_waitcnt lgkmcnt(0)
	v_exp_f32_e32 v101, v101
	s_barrier
	buffer_gl0_inv
	v_dual_fmac_f32 v68, v101, v89 :: v_dual_sub_f32 v89, v96, v67
	v_dual_sub_f32 v82, v95, v67 :: v_dual_mul_f32 v95, 0x3fb8aa3b, v97
	v_exp_f32_e32 v97, v103
	s_delay_alu instid0(VALU_DEP_2) | instskip(NEXT) | instid1(VALU_DEP_2)
	v_dual_fmac_f32 v68, v102, v90 :: v_dual_mul_f32 v89, 0x3fb8aa3b, v89
	v_mul_f32_e32 v82, 0x3fb8aa3b, v82
	s_delay_alu instid0(VALU_DEP_3) | instskip(NEXT) | instid1(VALU_DEP_2)
	v_exp_f32_e32 v95, v95
	v_exp_f32_e32 v89, v89
	s_delay_alu instid0(VALU_DEP_1)
	v_exp_f32_e32 v82, v82
	v_fmac_f32_e32 v68, v97, v91
	s_delay_alu instid0(TRANS32_DEP_3) | instid1(VALU_DEP_1)
	v_fmac_f32_e32 v68, v95, v92
	s_waitcnt_depctr 0xfff
	v_fmac_f32_e32 v68, v82, v93
	s_delay_alu instid0(VALU_DEP_1) | instskip(NEXT) | instid1(VALU_DEP_1)
	v_fmac_f32_e32 v68, v89, v94
	v_add_f32_e32 v90, 0x358637bd, v68
	s_delay_alu instid0(VALU_DEP_1) | instskip(NEXT) | instid1(VALU_DEP_1)
	v_div_scale_f32 v91, null, v90, v90, 1.0
	v_rcp_f32_e32 v92, v91
	s_waitcnt_depctr 0xfff
	v_fma_f32 v93, -v91, v92, 1.0
	s_delay_alu instid0(VALU_DEP_1) | instskip(SKIP_1) | instid1(VALU_DEP_2)
	v_dual_fmac_f32 v92, v93, v92 :: v_dual_cndmask_b32 v93, v100, v99
	v_cmp_eq_u32_e32 vcc_lo, 3, v66
	v_cndmask_b32_e64 v93, v93, v101, s3
	v_cmp_eq_u32_e64 s3, 4, v66
	s_delay_alu instid0(VALU_DEP_2) | instskip(SKIP_1) | instid1(VALU_DEP_2)
	v_cndmask_b32_e32 v93, v93, v102, vcc_lo
	v_cmp_eq_u32_e32 vcc_lo, 5, v66
	v_cndmask_b32_e64 v93, v93, v97, s3
	v_cmp_eq_u32_e64 s3, 6, v66
	s_delay_alu instid0(VALU_DEP_2) | instskip(SKIP_1) | instid1(VALU_DEP_1)
	v_cndmask_b32_e32 v93, v93, v95, vcc_lo
	v_div_scale_f32 v94, s4, 1.0, v90, 1.0
	s_mov_b32 vcc_lo, s4
	s_delay_alu instid0(VALU_DEP_2) | instskip(NEXT) | instid1(VALU_DEP_2)
	v_cndmask_b32_e64 v82, v93, v82, s3
	v_mul_f32_e32 v96, v94, v92
	s_mov_b32 s3, exec_lo
	s_delay_alu instid0(VALU_DEP_2) | instskip(NEXT) | instid1(VALU_DEP_2)
	v_cndmask_b32_e64 v82, v82, v89, s5
	v_fma_f32 v98, -v91, v96, v94
	s_delay_alu instid0(VALU_DEP_1) | instskip(NEXT) | instid1(VALU_DEP_1)
	v_fmac_f32_e32 v96, v98, v92
	v_fma_f32 v91, -v91, v96, v94
	s_delay_alu instid0(VALU_DEP_1) | instskip(NEXT) | instid1(VALU_DEP_1)
	v_div_fmas_f32 v91, v91, v92, v96
	v_div_fixup_f32 v90, v91, v90, 1.0
	s_delay_alu instid0(VALU_DEP_1) | instskip(NEXT) | instid1(VALU_DEP_1)
	v_mul_f32_e32 v82, v82, v90
	v_mul_f32_e32 v87, v82, v87
	v_mul_f32_e32 v90, v82, v80
	v_mul_f32_e32 v80, v82, v88
	v_mul_f32_e32 v84, v82, v84
	v_mul_f32_e32 v88, v82, v86
	v_mul_f32_e32 v89, v82, v85
	v_dual_mul_f32 v86, v82, v83 :: v_dual_and_b32 v91, 0x7f800000, v90
	v_mul_f32_e32 v85, v82, v76
                                        ; implicit-def: $vgpr76
	s_delay_alu instid0(VALU_DEP_2)
	v_cmpx_ne_u32_e32 0x7f800000, v91
	s_xor_b32 s3, exec_lo, s3
; %bb.13:
	v_bfe_u32 v76, v90, 16, 1
	s_delay_alu instid0(VALU_DEP_1)
	v_add3_u32 v76, v90, v76, 0x7fff
                                        ; implicit-def: $vgpr90
; %bb.14:
	s_and_not1_saveexec_b32 s3, s3
; %bb.15:
	v_and_b32_e32 v76, 0xffff, v90
	v_or_b32_e32 v83, 0x10000, v90
	s_delay_alu instid0(VALU_DEP_2) | instskip(NEXT) | instid1(VALU_DEP_2)
	v_cmp_eq_u32_e32 vcc_lo, 0, v76
	v_cndmask_b32_e32 v76, v83, v90, vcc_lo
; %bb.16:
	s_or_b32 exec_lo, exec_lo, s3
	v_and_b32_e32 v83, 0x7f800000, v85
	s_delay_alu instid0(VALU_DEP_1) | instskip(SKIP_1) | instid1(SALU_CYCLE_1)
	v_cmp_ne_u32_e32 vcc_lo, 0x7f800000, v83
                                        ; implicit-def: $vgpr83
	s_and_saveexec_b32 s3, vcc_lo
	s_xor_b32 s3, exec_lo, s3
; %bb.17:
	v_bfe_u32 v83, v85, 16, 1
	s_delay_alu instid0(VALU_DEP_1)
	v_add3_u32 v83, v85, v83, 0x7fff
                                        ; implicit-def: $vgpr85
; %bb.18:
	s_and_not1_saveexec_b32 s3, s3
; %bb.19:
	v_and_b32_e32 v83, 0xffff, v85
	v_or_b32_e32 v90, 0x10000, v85
	s_delay_alu instid0(VALU_DEP_2) | instskip(NEXT) | instid1(VALU_DEP_2)
	v_cmp_eq_u32_e32 vcc_lo, 0, v83
	v_cndmask_b32_e32 v83, v90, v85, vcc_lo
; %bb.20:
	s_or_b32 exec_lo, exec_lo, s3
	v_and_b32_e32 v85, 0x7f800000, v86
	s_delay_alu instid0(VALU_DEP_1) | instskip(SKIP_1) | instid1(SALU_CYCLE_1)
	v_cmp_ne_u32_e32 vcc_lo, 0x7f800000, v85
                                        ; implicit-def: $vgpr85
	s_and_saveexec_b32 s3, vcc_lo
	s_xor_b32 s3, exec_lo, s3
; %bb.21:
	v_bfe_u32 v85, v86, 16, 1
	s_delay_alu instid0(VALU_DEP_1)
	v_add3_u32 v85, v86, v85, 0x7fff
                                        ; implicit-def: $vgpr86
; %bb.22:
	s_and_not1_saveexec_b32 s3, s3
; %bb.23:
	v_and_b32_e32 v85, 0xffff, v86
	v_or_b32_e32 v90, 0x10000, v86
	s_delay_alu instid0(VALU_DEP_2) | instskip(NEXT) | instid1(VALU_DEP_2)
	v_cmp_eq_u32_e32 vcc_lo, 0, v85
	v_cndmask_b32_e32 v85, v90, v86, vcc_lo
; %bb.24:
	s_or_b32 exec_lo, exec_lo, s3
	v_and_b32_e32 v86, 0x7f800000, v89
	s_delay_alu instid0(VALU_DEP_1) | instskip(SKIP_1) | instid1(SALU_CYCLE_1)
	v_cmp_ne_u32_e32 vcc_lo, 0x7f800000, v86
                                        ; implicit-def: $vgpr86
	s_and_saveexec_b32 s3, vcc_lo
	s_xor_b32 s3, exec_lo, s3
; %bb.25:
	v_bfe_u32 v86, v89, 16, 1
	s_delay_alu instid0(VALU_DEP_1)
	v_add3_u32 v86, v89, v86, 0x7fff
                                        ; implicit-def: $vgpr89
; %bb.26:
	s_and_not1_saveexec_b32 s3, s3
; %bb.27:
	v_and_b32_e32 v86, 0xffff, v89
	v_or_b32_e32 v90, 0x10000, v89
	s_delay_alu instid0(VALU_DEP_2) | instskip(NEXT) | instid1(VALU_DEP_2)
	v_cmp_eq_u32_e32 vcc_lo, 0, v86
	v_cndmask_b32_e32 v86, v90, v89, vcc_lo
; %bb.28:
	s_or_b32 exec_lo, exec_lo, s3
	v_and_b32_e32 v89, 0x7f800000, v88
	s_delay_alu instid0(VALU_DEP_1) | instskip(SKIP_1) | instid1(SALU_CYCLE_1)
	v_cmp_ne_u32_e32 vcc_lo, 0x7f800000, v89
                                        ; implicit-def: $vgpr89
	s_and_saveexec_b32 s3, vcc_lo
	s_xor_b32 s3, exec_lo, s3
; %bb.29:
	v_bfe_u32 v89, v88, 16, 1
	s_delay_alu instid0(VALU_DEP_1)
	v_add3_u32 v89, v88, v89, 0x7fff
                                        ; implicit-def: $vgpr88
; %bb.30:
	s_and_not1_saveexec_b32 s3, s3
; %bb.31:
	v_and_b32_e32 v89, 0xffff, v88
	v_or_b32_e32 v90, 0x10000, v88
	s_delay_alu instid0(VALU_DEP_2) | instskip(NEXT) | instid1(VALU_DEP_2)
	v_cmp_eq_u32_e32 vcc_lo, 0, v89
	v_cndmask_b32_e32 v89, v90, v88, vcc_lo
; %bb.32:
	s_or_b32 exec_lo, exec_lo, s3
	v_and_b32_e32 v88, 0x7f800000, v87
	s_delay_alu instid0(VALU_DEP_1) | instskip(SKIP_1) | instid1(SALU_CYCLE_1)
	v_cmp_ne_u32_e32 vcc_lo, 0x7f800000, v88
                                        ; implicit-def: $vgpr88
	s_and_saveexec_b32 s3, vcc_lo
	s_xor_b32 s3, exec_lo, s3
; %bb.33:
	v_bfe_u32 v88, v87, 16, 1
	s_delay_alu instid0(VALU_DEP_1)
	v_add3_u32 v88, v87, v88, 0x7fff
                                        ; implicit-def: $vgpr87
; %bb.34:
	s_and_not1_saveexec_b32 s3, s3
; %bb.35:
	v_and_b32_e32 v88, 0xffff, v87
	v_or_b32_e32 v90, 0x10000, v87
	s_delay_alu instid0(VALU_DEP_2) | instskip(NEXT) | instid1(VALU_DEP_2)
	v_cmp_eq_u32_e32 vcc_lo, 0, v88
	v_cndmask_b32_e32 v88, v90, v87, vcc_lo
; %bb.36:
	s_or_b32 exec_lo, exec_lo, s3
	v_and_b32_e32 v87, 0x7f800000, v84
	s_delay_alu instid0(VALU_DEP_1) | instskip(SKIP_1) | instid1(SALU_CYCLE_1)
	v_cmp_ne_u32_e32 vcc_lo, 0x7f800000, v87
                                        ; implicit-def: $vgpr87
	s_and_saveexec_b32 s3, vcc_lo
	s_xor_b32 s3, exec_lo, s3
; %bb.37:
	v_bfe_u32 v87, v84, 16, 1
	s_delay_alu instid0(VALU_DEP_1)
	v_add3_u32 v87, v84, v87, 0x7fff
                                        ; implicit-def: $vgpr84
; %bb.38:
	s_and_not1_saveexec_b32 s3, s3
; %bb.39:
	v_and_b32_e32 v87, 0xffff, v84
	v_or_b32_e32 v90, 0x10000, v84
	s_delay_alu instid0(VALU_DEP_2) | instskip(NEXT) | instid1(VALU_DEP_2)
	v_cmp_eq_u32_e32 vcc_lo, 0, v87
	v_cndmask_b32_e32 v87, v90, v84, vcc_lo
; %bb.40:
	s_or_b32 exec_lo, exec_lo, s3
	v_and_b32_e32 v84, 0x7f800000, v80
	s_delay_alu instid0(VALU_DEP_1) | instskip(SKIP_1) | instid1(SALU_CYCLE_1)
	v_cmp_ne_u32_e32 vcc_lo, 0x7f800000, v84
                                        ; implicit-def: $vgpr84
	s_and_saveexec_b32 s3, vcc_lo
	s_xor_b32 s3, exec_lo, s3
; %bb.41:
	v_bfe_u32 v84, v80, 16, 1
	s_delay_alu instid0(VALU_DEP_1)
	v_add3_u32 v84, v80, v84, 0x7fff
                                        ; implicit-def: $vgpr80
; %bb.42:
	s_and_not1_saveexec_b32 s3, s3
; %bb.43:
	v_and_b32_e32 v84, 0xffff, v80
	v_or_b32_e32 v90, 0x10000, v80
	s_delay_alu instid0(VALU_DEP_2) | instskip(NEXT) | instid1(VALU_DEP_2)
	v_cmp_eq_u32_e32 vcc_lo, 0, v84
	v_cndmask_b32_e32 v84, v90, v80, vcc_lo
; %bb.44:
	s_or_b32 exec_lo, exec_lo, s3
	s_load_b64 s[34:35], s[0:1], 0x94
	v_lshlrev_b32_e32 v91, 4, v74
	s_delay_alu instid0(VALU_DEP_2)
	v_perm_b32 v90, v84, v87, 0x7060302
	v_dual_mul_f32 v79, v82, v79 :: v_dual_lshlrev_b32 v80, 6, v65
	v_dual_mul_f32 v77, v82, v77 :: v_dual_lshlrev_b32 v92, 11, v66
	v_mul_f32_e32 v84, v82, v70
	v_perm_b32 v89, v88, v89, 0x7060302
	v_perm_b32 v88, v86, v85, 0x7060302
	;; [unrolled: 1-line block ×3, first 2 shown]
	v_mul_f32_e32 v70, v82, v81
	v_or3_b32 v76, v91, v92, v80
	v_dual_mul_f32 v78, v82, v78 :: v_dual_and_b32 v85, 0x7f800000, v84
	v_mul_f32_e32 v83, v82, v72
	v_mul_f32_e32 v81, v82, v71
	;; [unrolled: 1-line block ×3, first 2 shown]
	s_mov_b32 s3, exec_lo
	ds_store_b128 v76, v[87:90]
                                        ; implicit-def: $vgpr69
	v_cmpx_ne_u32_e32 0x7f800000, v85
	s_xor_b32 s3, exec_lo, s3
; %bb.45:
	v_bfe_u32 v69, v84, 16, 1
	s_delay_alu instid0(VALU_DEP_1)
	v_add3_u32 v69, v84, v69, 0x7fff
                                        ; implicit-def: $vgpr84
; %bb.46:
	s_and_not1_saveexec_b32 s3, s3
; %bb.47:
	v_and_b32_e32 v69, 0xffff, v84
	v_or_b32_e32 v71, 0x10000, v84
	s_delay_alu instid0(VALU_DEP_2) | instskip(NEXT) | instid1(VALU_DEP_2)
	v_cmp_eq_u32_e32 vcc_lo, 0, v69
	v_cndmask_b32_e32 v69, v71, v84, vcc_lo
; %bb.48:
	s_or_b32 exec_lo, exec_lo, s3
	v_and_b32_e32 v71, 0x7f800000, v72
	s_delay_alu instid0(VALU_DEP_1) | instskip(SKIP_1) | instid1(SALU_CYCLE_1)
	v_cmp_ne_u32_e32 vcc_lo, 0x7f800000, v71
                                        ; implicit-def: $vgpr71
	s_and_saveexec_b32 s3, vcc_lo
	s_xor_b32 s3, exec_lo, s3
; %bb.49:
	v_bfe_u32 v71, v72, 16, 1
	s_delay_alu instid0(VALU_DEP_1)
	v_add3_u32 v71, v72, v71, 0x7fff
                                        ; implicit-def: $vgpr72
; %bb.50:
	s_and_not1_saveexec_b32 s3, s3
; %bb.51:
	v_and_b32_e32 v71, 0xffff, v72
	v_or_b32_e32 v82, 0x10000, v72
	s_delay_alu instid0(VALU_DEP_2) | instskip(NEXT) | instid1(VALU_DEP_2)
	v_cmp_eq_u32_e32 vcc_lo, 0, v71
	v_cndmask_b32_e32 v71, v82, v72, vcc_lo
; %bb.52:
	s_or_b32 exec_lo, exec_lo, s3
	v_and_b32_e32 v72, 0x7f800000, v81
	s_delay_alu instid0(VALU_DEP_1) | instskip(SKIP_1) | instid1(SALU_CYCLE_1)
	v_cmp_ne_u32_e32 vcc_lo, 0x7f800000, v72
                                        ; implicit-def: $vgpr72
	s_and_saveexec_b32 s3, vcc_lo
	s_xor_b32 s3, exec_lo, s3
; %bb.53:
	v_bfe_u32 v72, v81, 16, 1
	s_delay_alu instid0(VALU_DEP_1)
	v_add3_u32 v72, v81, v72, 0x7fff
                                        ; implicit-def: $vgpr81
; %bb.54:
	s_and_not1_saveexec_b32 s3, s3
; %bb.55:
	v_and_b32_e32 v72, 0xffff, v81
	v_or_b32_e32 v82, 0x10000, v81
	s_delay_alu instid0(VALU_DEP_2) | instskip(NEXT) | instid1(VALU_DEP_2)
	v_cmp_eq_u32_e32 vcc_lo, 0, v72
	v_cndmask_b32_e32 v72, v82, v81, vcc_lo
; %bb.56:
	s_or_b32 exec_lo, exec_lo, s3
	v_and_b32_e32 v81, 0x7f800000, v83
	s_delay_alu instid0(VALU_DEP_1) | instskip(SKIP_1) | instid1(SALU_CYCLE_1)
	v_cmp_ne_u32_e32 vcc_lo, 0x7f800000, v81
                                        ; implicit-def: $vgpr81
	s_and_saveexec_b32 s3, vcc_lo
	s_xor_b32 s3, exec_lo, s3
; %bb.57:
	v_bfe_u32 v81, v83, 16, 1
	s_delay_alu instid0(VALU_DEP_1)
	v_add3_u32 v81, v83, v81, 0x7fff
                                        ; implicit-def: $vgpr83
; %bb.58:
	s_and_not1_saveexec_b32 s3, s3
; %bb.59:
	v_and_b32_e32 v81, 0xffff, v83
	v_or_b32_e32 v82, 0x10000, v83
	s_delay_alu instid0(VALU_DEP_2) | instskip(NEXT) | instid1(VALU_DEP_2)
	v_cmp_eq_u32_e32 vcc_lo, 0, v81
	v_cndmask_b32_e32 v81, v82, v83, vcc_lo
; %bb.60:
	s_or_b32 exec_lo, exec_lo, s3
	v_and_b32_e32 v82, 0x7f800000, v77
	s_delay_alu instid0(VALU_DEP_1) | instskip(SKIP_1) | instid1(SALU_CYCLE_1)
	v_cmp_ne_u32_e32 vcc_lo, 0x7f800000, v82
                                        ; implicit-def: $vgpr82
	s_and_saveexec_b32 s3, vcc_lo
	s_xor_b32 s3, exec_lo, s3
; %bb.61:
	v_bfe_u32 v82, v77, 16, 1
	s_delay_alu instid0(VALU_DEP_1)
	v_add3_u32 v82, v77, v82, 0x7fff
                                        ; implicit-def: $vgpr77
; %bb.62:
	s_and_not1_saveexec_b32 s3, s3
; %bb.63:
	v_and_b32_e32 v82, 0xffff, v77
	v_or_b32_e32 v83, 0x10000, v77
	s_delay_alu instid0(VALU_DEP_2) | instskip(NEXT) | instid1(VALU_DEP_2)
	v_cmp_eq_u32_e32 vcc_lo, 0, v82
	v_cndmask_b32_e32 v82, v83, v77, vcc_lo
; %bb.64:
	s_or_b32 exec_lo, exec_lo, s3
	v_and_b32_e32 v77, 0x7f800000, v78
	s_delay_alu instid0(VALU_DEP_1) | instskip(SKIP_1) | instid1(SALU_CYCLE_1)
	v_cmp_ne_u32_e32 vcc_lo, 0x7f800000, v77
                                        ; implicit-def: $vgpr77
	s_and_saveexec_b32 s3, vcc_lo
	s_xor_b32 s3, exec_lo, s3
; %bb.65:
	v_bfe_u32 v77, v78, 16, 1
	s_delay_alu instid0(VALU_DEP_1)
	v_add3_u32 v77, v78, v77, 0x7fff
                                        ; implicit-def: $vgpr78
; %bb.66:
	s_and_not1_saveexec_b32 s3, s3
; %bb.67:
	v_and_b32_e32 v77, 0xffff, v78
	v_or_b32_e32 v83, 0x10000, v78
	s_delay_alu instid0(VALU_DEP_2) | instskip(NEXT) | instid1(VALU_DEP_2)
	v_cmp_eq_u32_e32 vcc_lo, 0, v77
	v_cndmask_b32_e32 v77, v83, v78, vcc_lo
; %bb.68:
	s_or_b32 exec_lo, exec_lo, s3
	v_and_b32_e32 v78, 0x7f800000, v79
	s_delay_alu instid0(VALU_DEP_1) | instskip(SKIP_1) | instid1(SALU_CYCLE_1)
	v_cmp_ne_u32_e32 vcc_lo, 0x7f800000, v78
                                        ; implicit-def: $vgpr78
	s_and_saveexec_b32 s3, vcc_lo
	s_xor_b32 s3, exec_lo, s3
; %bb.69:
	v_bfe_u32 v78, v79, 16, 1
	s_delay_alu instid0(VALU_DEP_1)
	v_add3_u32 v78, v79, v78, 0x7fff
                                        ; implicit-def: $vgpr79
; %bb.70:
	s_and_not1_saveexec_b32 s3, s3
; %bb.71:
	v_and_b32_e32 v78, 0xffff, v79
	v_or_b32_e32 v83, 0x10000, v79
	s_delay_alu instid0(VALU_DEP_2) | instskip(NEXT) | instid1(VALU_DEP_2)
	v_cmp_eq_u32_e32 vcc_lo, 0, v78
	v_cndmask_b32_e32 v78, v83, v79, vcc_lo
; %bb.72:
	s_or_b32 exec_lo, exec_lo, s3
	v_and_b32_e32 v79, 0x7f800000, v70
	s_delay_alu instid0(VALU_DEP_1) | instskip(SKIP_1) | instid1(SALU_CYCLE_1)
	v_cmp_ne_u32_e32 vcc_lo, 0x7f800000, v79
                                        ; implicit-def: $vgpr79
	s_and_saveexec_b32 s3, vcc_lo
	s_xor_b32 s3, exec_lo, s3
; %bb.73:
	v_bfe_u32 v79, v70, 16, 1
	s_delay_alu instid0(VALU_DEP_1)
	v_add3_u32 v79, v70, v79, 0x7fff
                                        ; implicit-def: $vgpr70
; %bb.74:
	s_and_not1_saveexec_b32 s3, s3
; %bb.75:
	v_and_b32_e32 v79, 0xffff, v70
	v_or_b32_e32 v83, 0x10000, v70
	s_delay_alu instid0(VALU_DEP_2) | instskip(NEXT) | instid1(VALU_DEP_2)
	v_cmp_eq_u32_e32 vcc_lo, 0, v79
	v_cndmask_b32_e32 v79, v83, v70, vcc_lo
; %bb.76:
	s_or_b32 exec_lo, exec_lo, s3
	s_delay_alu instid0(VALU_DEP_1)
	v_perm_b32 v86, v79, v78, 0x7060302
	v_perm_b32 v85, v77, v82, 0x7060302
	;; [unrolled: 1-line block ×4, first 2 shown]
	v_lshl_or_b32 v82, v66, 11, v80
	ds_store_b128 v76, v[83:86] offset:1024
	s_waitcnt lgkmcnt(0)
	s_barrier
	buffer_gl0_inv
	ds_load_b128 v[69:72], v82
	ds_load_b128 v[83:86], v82 offset:16
	s_waitcnt lgkmcnt(1)
	v_lshrrev_b32_e32 v66, 16, v69
	s_waitcnt lgkmcnt(0)
	v_lshrrev_b32_e32 v91, 16, v83
	v_lshlrev_b32_e32 v78, 2, v74
	v_lshrrev_b32_e32 v95, 16, v70
	v_lshrrev_b32_e32 v98, 16, v84
	;; [unrolled: 1-line block ×4, first 2 shown]
	v_cmp_eq_u32_e32 vcc_lo, 1, v78
	v_lshrrev_b32_e32 v97, 16, v72
	v_lshrrev_b32_e32 v100, 16, v86
	v_cndmask_b32_e32 v87, v83, v91, vcc_lo
	v_or_b32_e32 v79, 1, v78
	v_cndmask_b32_e32 v81, v69, v66, vcc_lo
	v_cmp_eq_u32_e64 s4, 2, v78
	v_cmp_eq_u32_e64 s7, 3, v78
	;; [unrolled: 1-line block ×5, first 2 shown]
	v_cndmask_b32_e64 v81, v81, v70, s4
	v_cndmask_b32_e64 v87, v87, v84, s4
	v_cmp_eq_u32_e64 s8, 3, v79
	v_cndmask_b32_e64 v88, v69, v66, s3
	v_or_b32_e32 v77, 2, v78
	v_cndmask_b32_e64 v81, v81, v95, s7
	v_cndmask_b32_e64 v87, v87, v98, s7
	v_cndmask_b32_e64 v89, v83, v91, s3
	v_cndmask_b32_e64 v88, v88, v70, s6
	v_cmp_eq_u32_e64 s10, 5, v78
	v_cndmask_b32_e64 v81, v81, v71, s9
	v_cndmask_b32_e64 v87, v87, v85, s9
	v_cmp_eq_u32_e64 s11, 4, v79
	v_cndmask_b32_e64 v88, v88, v95, s8
	v_cmp_eq_u32_e64 s5, 1, v77
	v_cndmask_b32_e64 v89, v89, v84, s6
	v_cndmask_b32_e64 v81, v81, v96, s10
	v_cmp_eq_u32_e64 s12, 6, v78
	v_cndmask_b32_e64 v88, v88, v71, s11
	;; [unrolled: 3-line block ×3, first 2 shown]
	v_cndmask_b32_e64 v89, v89, v98, s8
	v_cndmask_b32_e64 v81, v81, v72, s12
	v_cmp_eq_u32_e64 s15, 7, v78
	v_cndmask_b32_e64 v88, v88, v96, s13
	v_cndmask_b32_e64 v87, v87, v86, s12
	v_cmp_eq_u32_e64 s16, 6, v79
	v_cmp_eq_u32_e64 s17, 2, v77
	v_cndmask_b32_e64 v89, v89, v85, s11
	v_cndmask_b32_e64 v101, v81, v97, s15
	;; [unrolled: 1-line block ×6, first 2 shown]
	v_cmp_eq_u32_e64 s18, 7, v79
	v_cmp_eq_u32_e64 s19, 3, v77
	;; [unrolled: 1-line block ×4, first 2 shown]
	v_cndmask_b32_e64 v87, v87, v84, s17
	v_cndmask_b32_e64 v103, v88, v97, s18
	;; [unrolled: 1-line block ×4, first 2 shown]
	v_or_b32_e32 v81, 3, v78
	v_cndmask_b32_e64 v93, v87, v98, s19
	v_cmp_eq_u32_e64 s24, 6, v77
	v_cndmask_b32_e64 v104, v88, v86, s16
	v_cndmask_b32_e64 v92, v89, v71, s20
	v_cmp_eq_u32_e64 s21, 1, v81
	ds_load_b128 v[87:90], v82 offset:1024
	v_cmp_eq_u32_e64 s23, 2, v81
	v_cmp_eq_u32_e64 s25, 3, v81
	v_cndmask_b32_e64 v105, v92, v96, s22
	v_cndmask_b32_e64 v66, v69, v66, s21
	;; [unrolled: 1-line block ×4, first 2 shown]
	ds_load_b128 v[91:94], v82 offset:1040
	v_cmp_eq_u32_e64 s26, 4, v81
	v_cndmask_b32_e64 v66, v66, v70, s23
	v_cmp_eq_u32_e64 s27, 7, v77
	v_cndmask_b32_e64 v70, v83, v84, s23
	v_cndmask_b32_e64 v84, v105, v72, s24
	v_cmp_eq_u32_e64 s28, 5, v81
	v_cndmask_b32_e64 v66, v66, v95, s25
	v_cmp_eq_u32_e64 s29, 6, v81
	v_cndmask_b32_e64 v70, v70, v98, s25
	v_cndmask_b32_e64 v69, v69, v99, s22
	;; [unrolled: 1-line block ×4, first 2 shown]
	s_waitcnt lgkmcnt(1)
	v_lshrrev_b32_e32 v95, 16, v87
	v_cndmask_b32_e64 v70, v70, v85, s26
	v_cndmask_b32_e64 v71, v84, v97, s27
	;; [unrolled: 1-line block ×4, first 2 shown]
	v_cndmask_b32_e32 v84, v87, v95, vcc_lo
	v_cndmask_b32_e64 v70, v70, v99, s28
	s_waitcnt lgkmcnt(0)
	v_lshrrev_b32_e32 v85, 16, v91
	v_lshrrev_b32_e32 v96, 16, v88
	v_cndmask_b32_e64 v98, v87, v95, s3
	v_cndmask_b32_e64 v84, v84, v88, s4
	;; [unrolled: 1-line block ×3, first 2 shown]
	v_cndmask_b32_e32 v99, v91, v85, vcc_lo
	v_cmp_eq_u32_e32 vcc_lo, 7, v81
	v_cndmask_b32_e64 v66, v66, v72, s29
	v_cndmask_b32_e64 v72, v84, v96, s7
	;; [unrolled: 1-line block ×3, first 2 shown]
	v_lshrrev_b32_e32 v98, 16, v92
	v_cndmask_b32_e32 v70, v70, v100, vcc_lo
	v_cndmask_b32_e64 v86, v99, v92, s4
	v_cndmask_b32_e64 v69, v69, v100, s27
	v_lshrrev_b32_e32 v100, 16, v93
	v_cndmask_b32_e64 v72, v72, v89, s9
	v_lshrrev_b32_e32 v99, 16, v89
	v_cndmask_b32_e64 v86, v86, v98, s7
	v_perm_b32 v71, v69, v71, 0x5040100
	v_cndmask_b32_e64 v84, v84, v96, s8
	s_delay_alu instid0(VALU_DEP_3) | instskip(NEXT) | instid1(VALU_DEP_2)
	v_cndmask_b32_e64 v86, v86, v93, s9
	v_cndmask_b32_e64 v84, v84, v89, s11
	s_delay_alu instid0(VALU_DEP_2) | instskip(NEXT) | instid1(VALU_DEP_1)
	v_cndmask_b32_e64 v86, v86, v100, s10
	v_cndmask_b32_e64 v69, v86, v94, s12
	;; [unrolled: 1-line block ×5, first 2 shown]
	s_delay_alu instid0(VALU_DEP_3) | instskip(NEXT) | instid1(VALU_DEP_3)
	v_cndmask_b32_e64 v86, v86, v88, s17
	v_cndmask_b32_e64 v87, v87, v88, s23
	s_delay_alu instid0(VALU_DEP_3) | instskip(NEXT) | instid1(VALU_DEP_3)
	v_cndmask_b32_e64 v88, v95, v92, s23
	v_cndmask_b32_e64 v86, v86, v96, s19
	;; [unrolled: 3-line block ×7, first 2 shown]
	s_delay_alu instid0(VALU_DEP_3) | instskip(SKIP_2) | instid1(VALU_DEP_2)
	v_cndmask_b32_e64 v88, v88, v94, s29
	v_cndmask_b32_e32 v66, v66, v97, vcc_lo
	v_cndmask_b32_e64 v97, v72, v99, s10
	v_perm_b32 v72, v70, v66, 0x5040100
	v_perm_b32 v70, v83, v103, 0x5040100
	v_cndmask_b32_e64 v103, v91, v85, s5
	v_cndmask_b32_e64 v85, v91, v85, s3
	v_cndmask_b32_e64 v66, v84, v99, s13
	v_cndmask_b32_e64 v84, v97, v90, s12
	v_lshrrev_b32_e32 v97, 16, v90
	v_cndmask_b32_e64 v91, v103, v92, s17
	v_cndmask_b32_e64 v85, v85, v92, s6
	;; [unrolled: 1-line block ×3, first 2 shown]
	s_mov_b32 s3, exec_lo
	v_cndmask_b32_e64 v83, v84, v97, s15
	v_cndmask_b32_e64 v91, v91, v98, s19
	;; [unrolled: 1-line block ×3, first 2 shown]
	v_lshrrev_b32_e32 v84, 16, v94
	v_cndmask_b32_e64 v66, v66, v97, s18
	v_cndmask_b32_e64 v90, v86, v97, s27
	;; [unrolled: 1-line block ×4, first 2 shown]
	v_dual_cndmask_b32 v86, v87, v97 :: v_dual_cndmask_b32 v87, v88, v84
	v_cndmask_b32_e64 v91, v69, v84, s15
	s_delay_alu instid0(VALU_DEP_4) | instskip(NEXT) | instid1(VALU_DEP_4)
	v_cndmask_b32_e64 v89, v89, v100, s22
	v_cndmask_b32_e64 v85, v85, v100, s13
	v_perm_b32 v69, v102, v101, 0x5040100
	v_perm_b32 v86, v87, v86, 0x5040100
	;; [unrolled: 1-line block ×3, first 2 shown]
	v_cndmask_b32_e64 v89, v89, v94, s24
	v_cndmask_b32_e64 v85, v85, v94, s16
	s_mul_i32 s8, s35, 15
	s_delay_alu instid0(VALU_DEP_2) | instskip(NEXT) | instid1(VALU_DEP_2)
	v_cndmask_b32_e64 v88, v89, v84, s27
	v_cndmask_b32_e64 v89, v85, v84, s18
	s_delay_alu instid0(VALU_DEP_2) | instskip(NEXT) | instid1(VALU_DEP_2)
	v_perm_b32 v85, v88, v90, 0x5040100
	v_perm_b32 v84, v89, v66, 0x5040100
	ds_store_b128 v76, v[69:72]
	ds_store_b128 v76, v[83:86] offset:1024
	v_cmpx_gt_u32_e32 15, v0
	s_cbranch_execz .LBB1620_78
; %bb.77:
	s_mul_i32 s4, s8, s30
	s_delay_alu instid0(SALU_CYCLE_1) | instskip(SKIP_1) | instid1(VALU_DEP_1)
	v_add3_u32 v69, s4, s31, v65
	s_load_b128 s[4:7], s[0:1], 0x58
	v_mad_u64_u32 v[65:66], null, v69, s34, s[14:15]
	s_delay_alu instid0(VALU_DEP_1) | instskip(NEXT) | instid1(VALU_DEP_1)
	v_ashrrev_i32_e32 v66, 31, v65
	v_lshlrev_b64 v[65:66], 2, v[65:66]
	s_waitcnt lgkmcnt(0)
	s_delay_alu instid0(VALU_DEP_1) | instskip(NEXT) | instid1(VALU_DEP_2)
	v_add_co_u32 v69, vcc_lo, s6, v65
	v_add_co_ci_u32_e32 v70, vcc_lo, s7, v66, vcc_lo
	v_add_co_u32 v65, vcc_lo, s4, v65
	v_add_co_ci_u32_e32 v66, vcc_lo, s5, v66, vcc_lo
	global_store_b32 v[69:70], v67, off
	global_store_b32 v[65:66], v68, off
.LBB1620_78:
	s_or_b32 exec_lo, exec_lo, s3
	s_waitcnt lgkmcnt(0)
	s_waitcnt_vscnt null, 0x0
	s_barrier
	buffer_gl0_inv
	ds_load_b128 v[83:86], v80
	ds_load_b128 v[87:90], v80 offset:16
	ds_load_b128 v[95:98], v80 offset:2064
	ds_load_b128 v[91:94], v80 offset:2048
	v_mov_b32_e32 v65, 0
	ds_load_b128 v[103:106], v80 offset:4112
	ds_load_b128 v[99:102], v80 offset:4096
	;; [unrolled: 1-line block ×4, first 2 shown]
	v_mov_b32_e32 v66, v65
	v_mov_b32_e32 v67, v65
	v_mov_b32_e32 v68, v65
	v_mov_b32_e32 v69, v65
	v_mov_b32_e32 v70, v65
	v_mov_b32_e32 v71, v65
	v_mov_b32_e32 v72, v65
	s_waitcnt lgkmcnt(6)
	s_delay_alu instid0(VALU_DEP_1)
	v_wmma_f32_16x16x16_bf16 v[65:72], v[49:56], v[83:90], v[65:72]
	ds_load_b128 v[53:56], v80 offset:8208
	ds_load_b128 v[49:52], v80 offset:8192
	s_waitcnt lgkmcnt(6)
	v_wmma_f32_16x16x16_bf16 v[65:72], v[41:48], v[91:98], v[65:72]
	ds_load_b128 v[45:48], v80 offset:10256
	ds_load_b128 v[41:44], v80 offset:10240
	s_waitcnt lgkmcnt(6)
	;; [unrolled: 4-line block ×4, first 2 shown]
	v_wmma_f32_16x16x16_bf16 v[65:72], v[1:8], v[49:56], v[65:72]
	s_waitcnt lgkmcnt(4)
	s_delay_alu instid0(VALU_DEP_1) | instskip(SKIP_1) | instid1(VALU_DEP_1)
	v_wmma_f32_16x16x16_bf16 v[65:72], v[9:16], v[41:48], v[65:72]
	s_waitcnt lgkmcnt(2)
	v_wmma_f32_16x16x16_bf16 v[65:72], v[17:24], v[33:40], v[65:72]
	s_waitcnt lgkmcnt(0)
	s_delay_alu instid0(VALU_DEP_1) | instskip(NEXT) | instid1(VALU_DEP_1)
	v_wmma_f32_16x16x16_bf16 v[65:72], v[57:64], v[25:32], v[65:72]
	v_and_b32_e32 v1, 0x7f800000, v65
	s_delay_alu instid0(VALU_DEP_1) | instskip(SKIP_1) | instid1(SALU_CYCLE_1)
	v_cmp_ne_u32_e32 vcc_lo, 0x7f800000, v1
                                        ; implicit-def: $vgpr1
	s_and_saveexec_b32 s3, vcc_lo
	s_xor_b32 s3, exec_lo, s3
; %bb.79:
	v_bfe_u32 v1, v65, 16, 1
	s_delay_alu instid0(VALU_DEP_1)
	v_add3_u32 v1, v65, v1, 0x7fff
; %bb.80:
	s_and_not1_saveexec_b32 s3, s3
; %bb.81:
	v_and_b32_e32 v1, 0xffff, v65
	v_or_b32_e32 v2, 0x10000, v65
	s_delay_alu instid0(VALU_DEP_2) | instskip(NEXT) | instid1(VALU_DEP_2)
	v_cmp_eq_u32_e32 vcc_lo, 0, v1
	v_cndmask_b32_e32 v1, v2, v65, vcc_lo
; %bb.82:
	s_or_b32 exec_lo, exec_lo, s3
	v_and_b32_e32 v2, 0x7f800000, v66
	s_delay_alu instid0(VALU_DEP_1) | instskip(SKIP_1) | instid1(SALU_CYCLE_1)
	v_cmp_ne_u32_e32 vcc_lo, 0x7f800000, v2
                                        ; implicit-def: $vgpr2
	s_and_saveexec_b32 s3, vcc_lo
	s_xor_b32 s3, exec_lo, s3
; %bb.83:
	v_bfe_u32 v2, v66, 16, 1
	s_delay_alu instid0(VALU_DEP_1)
	v_add3_u32 v2, v66, v2, 0x7fff
; %bb.84:
	s_and_not1_saveexec_b32 s3, s3
; %bb.85:
	v_and_b32_e32 v2, 0xffff, v66
	v_or_b32_e32 v3, 0x10000, v66
	s_delay_alu instid0(VALU_DEP_2) | instskip(NEXT) | instid1(VALU_DEP_2)
	v_cmp_eq_u32_e32 vcc_lo, 0, v2
	v_cndmask_b32_e32 v2, v3, v66, vcc_lo
; %bb.86:
	s_or_b32 exec_lo, exec_lo, s3
	v_and_b32_e32 v3, 0x7f800000, v67
	s_delay_alu instid0(VALU_DEP_1) | instskip(SKIP_1) | instid1(SALU_CYCLE_1)
	v_cmp_ne_u32_e32 vcc_lo, 0x7f800000, v3
                                        ; implicit-def: $vgpr3
	s_and_saveexec_b32 s3, vcc_lo
	s_xor_b32 s3, exec_lo, s3
; %bb.87:
	v_bfe_u32 v3, v67, 16, 1
	s_delay_alu instid0(VALU_DEP_1)
	v_add3_u32 v3, v67, v3, 0x7fff
; %bb.88:
	s_and_not1_saveexec_b32 s3, s3
; %bb.89:
	v_and_b32_e32 v3, 0xffff, v67
	v_or_b32_e32 v4, 0x10000, v67
	s_delay_alu instid0(VALU_DEP_2) | instskip(NEXT) | instid1(VALU_DEP_2)
	v_cmp_eq_u32_e32 vcc_lo, 0, v3
	v_cndmask_b32_e32 v3, v4, v67, vcc_lo
; %bb.90:
	s_or_b32 exec_lo, exec_lo, s3
	v_and_b32_e32 v4, 0x7f800000, v68
	s_delay_alu instid0(VALU_DEP_1) | instskip(SKIP_1) | instid1(SALU_CYCLE_1)
	v_cmp_ne_u32_e32 vcc_lo, 0x7f800000, v4
                                        ; implicit-def: $vgpr4
	s_and_saveexec_b32 s3, vcc_lo
	s_xor_b32 s3, exec_lo, s3
; %bb.91:
	v_bfe_u32 v4, v68, 16, 1
	s_delay_alu instid0(VALU_DEP_1)
	v_add3_u32 v4, v68, v4, 0x7fff
; %bb.92:
	s_and_not1_saveexec_b32 s3, s3
; %bb.93:
	v_and_b32_e32 v4, 0xffff, v68
	v_or_b32_e32 v5, 0x10000, v68
	s_delay_alu instid0(VALU_DEP_2) | instskip(NEXT) | instid1(VALU_DEP_2)
	v_cmp_eq_u32_e32 vcc_lo, 0, v4
	v_cndmask_b32_e32 v4, v5, v68, vcc_lo
; %bb.94:
	s_or_b32 exec_lo, exec_lo, s3
	v_and_b32_e32 v5, 0x7f800000, v69
	s_delay_alu instid0(VALU_DEP_1) | instskip(SKIP_1) | instid1(SALU_CYCLE_1)
	v_cmp_ne_u32_e32 vcc_lo, 0x7f800000, v5
                                        ; implicit-def: $vgpr5
	s_and_saveexec_b32 s3, vcc_lo
	s_xor_b32 s3, exec_lo, s3
; %bb.95:
	v_bfe_u32 v5, v69, 16, 1
	s_delay_alu instid0(VALU_DEP_1)
	v_add3_u32 v5, v69, v5, 0x7fff
; %bb.96:
	s_and_not1_saveexec_b32 s3, s3
; %bb.97:
	v_and_b32_e32 v5, 0xffff, v69
	v_or_b32_e32 v6, 0x10000, v69
	s_delay_alu instid0(VALU_DEP_2) | instskip(NEXT) | instid1(VALU_DEP_2)
	v_cmp_eq_u32_e32 vcc_lo, 0, v5
	v_cndmask_b32_e32 v5, v6, v69, vcc_lo
; %bb.98:
	s_or_b32 exec_lo, exec_lo, s3
	v_and_b32_e32 v6, 0x7f800000, v70
	s_delay_alu instid0(VALU_DEP_1) | instskip(SKIP_1) | instid1(SALU_CYCLE_1)
	v_cmp_ne_u32_e32 vcc_lo, 0x7f800000, v6
                                        ; implicit-def: $vgpr6
	s_and_saveexec_b32 s3, vcc_lo
	s_xor_b32 s3, exec_lo, s3
; %bb.99:
	v_bfe_u32 v6, v70, 16, 1
	s_delay_alu instid0(VALU_DEP_1)
	v_add3_u32 v6, v70, v6, 0x7fff
; %bb.100:
	s_and_not1_saveexec_b32 s3, s3
; %bb.101:
	v_and_b32_e32 v6, 0xffff, v70
	v_or_b32_e32 v7, 0x10000, v70
	s_delay_alu instid0(VALU_DEP_2) | instskip(NEXT) | instid1(VALU_DEP_2)
	v_cmp_eq_u32_e32 vcc_lo, 0, v6
	v_cndmask_b32_e32 v6, v7, v70, vcc_lo
; %bb.102:
	s_or_b32 exec_lo, exec_lo, s3
	v_and_b32_e32 v7, 0x7f800000, v71
	s_delay_alu instid0(VALU_DEP_1) | instskip(SKIP_1) | instid1(SALU_CYCLE_1)
	v_cmp_ne_u32_e32 vcc_lo, 0x7f800000, v7
                                        ; implicit-def: $vgpr7
	s_and_saveexec_b32 s3, vcc_lo
	s_xor_b32 s3, exec_lo, s3
; %bb.103:
	v_bfe_u32 v7, v71, 16, 1
	s_delay_alu instid0(VALU_DEP_1)
	v_add3_u32 v7, v71, v7, 0x7fff
; %bb.104:
	s_and_not1_saveexec_b32 s3, s3
; %bb.105:
	v_and_b32_e32 v7, 0xffff, v71
	v_or_b32_e32 v8, 0x10000, v71
	s_delay_alu instid0(VALU_DEP_2) | instskip(NEXT) | instid1(VALU_DEP_2)
	v_cmp_eq_u32_e32 vcc_lo, 0, v7
	v_cndmask_b32_e32 v7, v8, v71, vcc_lo
; %bb.106:
	s_or_b32 exec_lo, exec_lo, s3
	v_and_b32_e32 v8, 0x7f800000, v72
	s_delay_alu instid0(VALU_DEP_1) | instskip(SKIP_1) | instid1(SALU_CYCLE_1)
	v_cmp_ne_u32_e32 vcc_lo, 0x7f800000, v8
                                        ; implicit-def: $vgpr8
	s_and_saveexec_b32 s3, vcc_lo
	s_xor_b32 s3, exec_lo, s3
; %bb.107:
	v_bfe_u32 v8, v72, 16, 1
	s_delay_alu instid0(VALU_DEP_1)
	v_add3_u32 v8, v72, v8, 0x7fff
                                        ; implicit-def: $vgpr65_vgpr66_vgpr67_vgpr68_vgpr69_vgpr70_vgpr71_vgpr72
; %bb.108:
	s_and_not1_saveexec_b32 s3, s3
; %bb.109:
	v_and_b32_e32 v8, 0xffff, v72
	v_or_b32_e32 v9, 0x10000, v72
	s_delay_alu instid0(VALU_DEP_2) | instskip(NEXT) | instid1(VALU_DEP_2)
	v_cmp_eq_u32_e32 vcc_lo, 0, v8
	v_cndmask_b32_e32 v8, v9, v72, vcc_lo
; %bb.110:
	s_or_b32 exec_lo, exec_lo, s3
	s_delay_alu instid0(VALU_DEP_1)
	v_perm_b32 v7, v8, v7, 0x7060302
	v_perm_b32 v6, v6, v5, 0x7060302
	;; [unrolled: 1-line block ×4, first 2 shown]
	s_barrier
	buffer_gl0_inv
	v_cmp_eq_u32_e32 vcc_lo, 1, v78
	ds_store_b128 v76, v[4:7]
	s_waitcnt lgkmcnt(0)
	s_barrier
	buffer_gl0_inv
	ds_load_b128 v[1:4], v82
	ds_load_b128 v[5:8], v82 offset:16
	v_cmp_eq_u32_e64 s3, 1, v79
	v_cmp_eq_u32_e64 s4, 2, v78
	;; [unrolled: 1-line block ×5, first 2 shown]
	s_waitcnt lgkmcnt(1)
	v_lshrrev_b32_e32 v9, 16, v1
	s_waitcnt lgkmcnt(0)
	v_lshrrev_b32_e32 v13, 16, v5
	v_lshrrev_b32_e32 v10, 16, v2
	;; [unrolled: 1-line block ×4, first 2 shown]
	v_cndmask_b32_e64 v19, v1, v9, s3
	v_cndmask_b32_e32 v18, v5, v13, vcc_lo
	v_cndmask_b32_e64 v20, v5, v13, s3
	v_cndmask_b32_e32 v17, v1, v9, vcc_lo
	v_cmp_eq_u32_e32 vcc_lo, 2, v79
	v_lshrrev_b32_e32 v15, 16, v7
	v_cmp_eq_u32_e64 s3, 1, v77
	v_lshrrev_b32_e32 v12, 16, v4
	v_lshrrev_b32_e32 v16, 16, v8
	v_cndmask_b32_e32 v20, v20, v6, vcc_lo
	v_cndmask_b32_e64 v17, v17, v2, s4
	v_cndmask_b32_e32 v19, v19, v2, vcc_lo
	v_cndmask_b32_e64 v18, v18, v6, s4
	v_cmp_eq_u32_e32 vcc_lo, 4, v78
	v_cmp_eq_u32_e64 s4, 3, v79
	v_cndmask_b32_e64 v17, v17, v10, s5
	v_cndmask_b32_e64 v21, v1, v9, s3
	;; [unrolled: 1-line block ×5, first 2 shown]
	v_cndmask_b32_e32 v17, v17, v3, vcc_lo
	v_cndmask_b32_e64 v20, v20, v14, s4
	v_cndmask_b32_e32 v18, v18, v7, vcc_lo
	v_cmp_eq_u32_e32 vcc_lo, 4, v79
	v_cmp_eq_u32_e64 s4, 5, v79
	v_cmp_eq_u32_e64 s3, 2, v81
	v_cndmask_b32_e64 v21, v21, v2, s7
	v_cmp_eq_u32_e64 s5, 5, v78
	v_cndmask_b32_e32 v19, v19, v3, vcc_lo
	v_cndmask_b32_e32 v20, v20, v7, vcc_lo
	v_cmp_eq_u32_e32 vcc_lo, 6, v79
	s_delay_alu instid0(VALU_DEP_4) | instskip(NEXT) | instid1(VALU_DEP_4)
	v_cndmask_b32_e64 v17, v17, v11, s5
	v_cndmask_b32_e64 v19, v19, v11, s4
	s_delay_alu instid0(VALU_DEP_4) | instskip(SKIP_1) | instid1(VALU_DEP_3)
	v_cndmask_b32_e64 v20, v20, v15, s4
	v_cmp_eq_u32_e64 s4, 1, v81
	v_cndmask_b32_e32 v19, v19, v4, vcc_lo
	v_cndmask_b32_e64 v18, v18, v15, s5
	s_delay_alu instid0(VALU_DEP_3)
	v_cndmask_b32_e64 v1, v1, v9, s4
	v_cndmask_b32_e64 v5, v5, v13, s4
	v_cmp_eq_u32_e64 s4, 3, v77
	v_cndmask_b32_e64 v13, v22, v6, s7
	v_cmp_eq_u32_e64 s7, 3, v81
	v_cndmask_b32_e64 v1, v1, v2, s3
	v_cndmask_b32_e64 v2, v5, v6, s3
	;; [unrolled: 1-line block ×3, first 2 shown]
	v_cmp_eq_u32_e64 s3, 4, v77
	v_cndmask_b32_e64 v6, v13, v14, s4
	v_cndmask_b32_e64 v1, v1, v10, s7
	v_cmp_eq_u32_e64 s4, 4, v81
	v_cndmask_b32_e64 v2, v2, v14, s7
	v_cndmask_b32_e64 v5, v9, v3, s3
	;; [unrolled: 3-line block ×3, first 2 shown]
	v_cndmask_b32_e64 v2, v2, v7, s4
	v_cmp_eq_u32_e64 s3, 5, v81
	v_cmp_eq_u32_e64 s5, 6, v78
	v_cndmask_b32_e64 v5, v5, v11, s7
	v_cmp_eq_u32_e64 s4, 6, v77
	v_cndmask_b32_e64 v3, v6, v15, s7
	v_cndmask_b32_e64 v1, v1, v11, s3
	v_cmp_eq_u32_e64 s7, 6, v81
	v_cndmask_b32_e64 v2, v2, v15, s3
	v_cndmask_b32_e64 v17, v17, v4, s5
	v_cndmask_b32_e64 v18, v18, v8, s5
	v_cmp_eq_u32_e64 s5, 7, v78
	v_cndmask_b32_e64 v5, v5, v4, s4
	;; [unrolled: 4-line block ×3, first 2 shown]
	v_cmp_eq_u32_e64 s4, 7, v77
	v_cndmask_b32_e32 v4, v20, v8, vcc_lo
	v_cndmask_b32_e64 v17, v17, v12, s5
	v_cndmask_b32_e64 v19, v19, v12, s6
	;; [unrolled: 1-line block ×8, first 2 shown]
	s_mov_b32 s3, exec_lo
	v_perm_b32 v4, v2, v1, 0x5040100
	v_perm_b32 v3, v3, v5, 0x5040100
	;; [unrolled: 1-line block ×4, first 2 shown]
	ds_store_b128 v76, v[1:4]
	s_waitcnt lgkmcnt(0)
	s_barrier
	buffer_gl0_inv
	v_cmpx_gt_u32_e32 32, v0
	s_cbranch_execz .LBB1620_2
; %bb.111:
	s_load_b64 s[4:5], s[0:1], 0x68
	v_add_nc_u32_e32 v20, s31, v74
	v_lshlrev_b32_e32 v0, 10, v0
	v_lshlrev_b32_e32 v1, 4, v75
	s_lshl_b32 s0, s34, 7
	s_delay_alu instid0(SALU_CYCLE_1)
	s_mul_i32 s1, s0, s30
	v_add_nc_u32_e32 v2, 2, v20
	s_mul_i32 s6, s1, s8
	v_and_or_b32 v0, 0x3800, v0, v1
	v_mul_lo_u32 v1, v20, s0
	s_ashr_i32 s7, s6, 31
	v_mul_lo_u32 v11, v2, s0
	s_lshl_b64 s[6:7], s[6:7], 1
	v_add_nc_u32_e32 v3, 4, v20
	v_lshl_or_b32 v21, v74, 6, v0
	v_add_nc_u32_e32 v16, 6, v20
	v_ashrrev_i32_e32 v2, 31, v1
	s_delay_alu instid0(VALU_DEP_4)
	v_mul_lo_u32 v13, v3, s0
	s_waitcnt lgkmcnt(0)
	s_add_u32 s1, s4, s6
	s_addc_u32 s3, s5, s7
	s_lshl_b32 s4, s14, 7
	ds_load_b128 v[3:6], v21
	ds_load_b128 v[7:10], v21 offset:128
	s_ashr_i32 s5, s4, 31
	v_ashrrev_i32_e32 v12, 31, v11
	s_lshl_b64 s[4:5], s[4:5], 1
	v_lshlrev_b64 v[14:15], 1, v[1:2]
	s_add_u32 s1, s1, s4
	s_addc_u32 s3, s3, s5
	v_add_co_u32 v1, s1, s1, v73
	s_delay_alu instid0(VALU_DEP_1) | instskip(SKIP_1) | instid1(VALU_DEP_3)
	v_add_co_ci_u32_e64 v2, null, s3, 0, s1
	v_lshlrev_b64 v[11:12], 1, v[11:12]
	v_add_co_u32 v18, vcc_lo, v1, v14
	v_mul_lo_u32 v16, v16, s0
	s_delay_alu instid0(VALU_DEP_4) | instskip(NEXT) | instid1(VALU_DEP_4)
	v_add_co_ci_u32_e32 v19, vcc_lo, v2, v15, vcc_lo
	v_add_co_u32 v11, vcc_lo, v1, v11
	v_ashrrev_i32_e32 v14, 31, v13
	v_add_co_ci_u32_e32 v12, vcc_lo, v2, v12, vcc_lo
	v_add_nc_u32_e32 v15, 8, v20
	v_ashrrev_i32_e32 v17, 31, v16
	s_waitcnt lgkmcnt(1)
	global_store_b128 v[18:19], v[3:6], off
	v_lshlrev_b64 v[3:4], 1, v[13:14]
	s_waitcnt lgkmcnt(0)
	global_store_b128 v[11:12], v[7:10], off
	v_mul_lo_u32 v11, v15, s0
	v_add_nc_u32_e32 v7, 10, v20
	v_lshlrev_b64 v[5:6], 1, v[16:17]
	v_add_co_u32 v23, vcc_lo, v1, v3
	v_add_nc_u32_e32 v3, 12, v20
	s_delay_alu instid0(VALU_DEP_4)
	v_mul_lo_u32 v25, v7, s0
	v_ashrrev_i32_e32 v12, 31, v11
	v_add_co_ci_u32_e32 v24, vcc_lo, v2, v4, vcc_lo
	v_add_co_u32 v27, vcc_lo, v1, v5
	v_mul_lo_u32 v29, v3, s0
	v_add_co_ci_u32_e32 v28, vcc_lo, v2, v6, vcc_lo
	ds_load_b128 v[3:6], v21 offset:256
	ds_load_b128 v[7:10], v21 offset:384
	v_lshlrev_b64 v[31:32], 1, v[11:12]
	ds_load_b128 v[11:14], v21 offset:512
	ds_load_b128 v[15:18], v21 offset:640
	;; [unrolled: 1-line block ×3, first 2 shown]
	v_ashrrev_i32_e32 v26, 31, v25
	v_ashrrev_i32_e32 v30, 31, v29
	v_add_co_u32 v31, vcc_lo, v1, v31
	s_delay_alu instid0(VALU_DEP_3) | instskip(NEXT) | instid1(VALU_DEP_3)
	v_lshlrev_b64 v[25:26], 1, v[25:26]
	v_lshlrev_b64 v[29:30], 1, v[29:30]
	v_add_co_ci_u32_e32 v32, vcc_lo, v2, v32, vcc_lo
	s_delay_alu instid0(VALU_DEP_3) | instskip(NEXT) | instid1(VALU_DEP_4)
	v_add_co_u32 v25, vcc_lo, v1, v25
	v_add_co_ci_u32_e32 v26, vcc_lo, v2, v26, vcc_lo
	s_delay_alu instid0(VALU_DEP_4)
	v_add_co_u32 v29, vcc_lo, v1, v29
	v_add_co_ci_u32_e32 v30, vcc_lo, v2, v30, vcc_lo
	s_waitcnt lgkmcnt(4)
	global_store_b128 v[23:24], v[3:6], off
	s_waitcnt lgkmcnt(3)
	global_store_b128 v[27:28], v[7:10], off
	;; [unrolled: 2-line block ×5, first 2 shown]
	s_and_b32 exec_lo, exec_lo, s2
	s_cbranch_execz .LBB1620_2
; %bb.112:
	ds_load_b128 v[3:6], v0 offset:896
	s_add_i32 s1, s31, 14
	s_delay_alu instid0(SALU_CYCLE_1) | instskip(NEXT) | instid1(SALU_CYCLE_1)
	s_mul_i32 s0, s1, s0
	s_ashr_i32 s1, s0, 31
	s_delay_alu instid0(SALU_CYCLE_1) | instskip(NEXT) | instid1(SALU_CYCLE_1)
	s_lshl_b64 s[0:1], s[0:1], 1
	v_add_co_u32 v0, vcc_lo, v1, s0
	v_add_co_ci_u32_e32 v1, vcc_lo, s1, v2, vcc_lo
	s_waitcnt lgkmcnt(0)
	global_store_b128 v[0:1], v[3:6], off
	s_nop 0
	s_sendmsg sendmsg(MSG_DEALLOC_VGPRS)
	s_endpgm
	.section	.rodata,"a",@progbits
	.p2align	6, 0x0
	.amdhsa_kernel _Z39paged_attention_ll4mi_QKV_mfma16_kernelI14__hip_bfloat16hLN4vllm18Fp8KVCacheDataTypeE1EhLi32ELi128ELi256ELb0ELi15EL8MFMAType1EEvPKT_PKT0_S9_ifPKiSB_SB_iPKfiiiPfSE_PS4_PT2_iSD_SD_
		.amdhsa_group_segment_fixed_size 17472
		.amdhsa_private_segment_fixed_size 0
		.amdhsa_kernarg_size 400
		.amdhsa_user_sgpr_count 13
		.amdhsa_user_sgpr_dispatch_ptr 0
		.amdhsa_user_sgpr_queue_ptr 0
		.amdhsa_user_sgpr_kernarg_segment_ptr 1
		.amdhsa_user_sgpr_dispatch_id 0
		.amdhsa_user_sgpr_private_segment_size 0
		.amdhsa_wavefront_size32 1
		.amdhsa_uses_dynamic_stack 0
		.amdhsa_enable_private_segment 0
		.amdhsa_system_sgpr_workgroup_id_x 1
		.amdhsa_system_sgpr_workgroup_id_y 1
		.amdhsa_system_sgpr_workgroup_id_z 1
		.amdhsa_system_sgpr_workgroup_info 0
		.amdhsa_system_vgpr_workitem_id 0
		.amdhsa_next_free_vgpr 140
		.amdhsa_next_free_sgpr 36
		.amdhsa_reserve_vcc 1
		.amdhsa_float_round_mode_32 0
		.amdhsa_float_round_mode_16_64 0
		.amdhsa_float_denorm_mode_32 3
		.amdhsa_float_denorm_mode_16_64 3
		.amdhsa_dx10_clamp 1
		.amdhsa_ieee_mode 1
		.amdhsa_fp16_overflow 0
		.amdhsa_workgroup_processor_mode 1
		.amdhsa_memory_ordered 1
		.amdhsa_forward_progress 0
		.amdhsa_shared_vgpr_count 0
		.amdhsa_exception_fp_ieee_invalid_op 0
		.amdhsa_exception_fp_denorm_src 0
		.amdhsa_exception_fp_ieee_div_zero 0
		.amdhsa_exception_fp_ieee_overflow 0
		.amdhsa_exception_fp_ieee_underflow 0
		.amdhsa_exception_fp_ieee_inexact 0
		.amdhsa_exception_int_div_zero 0
	.end_amdhsa_kernel
	.section	.text._Z39paged_attention_ll4mi_QKV_mfma16_kernelI14__hip_bfloat16hLN4vllm18Fp8KVCacheDataTypeE1EhLi32ELi128ELi256ELb0ELi15EL8MFMAType1EEvPKT_PKT0_S9_ifPKiSB_SB_iPKfiiiPfSE_PS4_PT2_iSD_SD_,"axG",@progbits,_Z39paged_attention_ll4mi_QKV_mfma16_kernelI14__hip_bfloat16hLN4vllm18Fp8KVCacheDataTypeE1EhLi32ELi128ELi256ELb0ELi15EL8MFMAType1EEvPKT_PKT0_S9_ifPKiSB_SB_iPKfiiiPfSE_PS4_PT2_iSD_SD_,comdat
.Lfunc_end1620:
	.size	_Z39paged_attention_ll4mi_QKV_mfma16_kernelI14__hip_bfloat16hLN4vllm18Fp8KVCacheDataTypeE1EhLi32ELi128ELi256ELb0ELi15EL8MFMAType1EEvPKT_PKT0_S9_ifPKiSB_SB_iPKfiiiPfSE_PS4_PT2_iSD_SD_, .Lfunc_end1620-_Z39paged_attention_ll4mi_QKV_mfma16_kernelI14__hip_bfloat16hLN4vllm18Fp8KVCacheDataTypeE1EhLi32ELi128ELi256ELb0ELi15EL8MFMAType1EEvPKT_PKT0_S9_ifPKiSB_SB_iPKfiiiPfSE_PS4_PT2_iSD_SD_
                                        ; -- End function
	.section	.AMDGPU.csdata,"",@progbits
; Kernel info:
; codeLenInByte = 9156
; NumSgprs: 38
; NumVgprs: 140
; ScratchSize: 0
; MemoryBound: 0
; FloatMode: 240
; IeeeMode: 1
; LDSByteSize: 17472 bytes/workgroup (compile time only)
; SGPRBlocks: 4
; VGPRBlocks: 17
; NumSGPRsForWavesPerEU: 38
; NumVGPRsForWavesPerEU: 140
; Occupancy: 10
; WaveLimiterHint : 1
; COMPUTE_PGM_RSRC2:SCRATCH_EN: 0
; COMPUTE_PGM_RSRC2:USER_SGPR: 13
; COMPUTE_PGM_RSRC2:TRAP_HANDLER: 0
; COMPUTE_PGM_RSRC2:TGID_X_EN: 1
; COMPUTE_PGM_RSRC2:TGID_Y_EN: 1
; COMPUTE_PGM_RSRC2:TGID_Z_EN: 1
; COMPUTE_PGM_RSRC2:TIDIG_COMP_CNT: 0
	.section	.text._Z39paged_attention_ll4mi_QKV_mfma16_kernelI14__hip_bfloat16hLN4vllm18Fp8KVCacheDataTypeE1EhLi32ELi128ELi256ELb0ELi16EL8MFMAType1EEvPKT_PKT0_S9_ifPKiSB_SB_iPKfiiiPfSE_PS4_PT2_iSD_SD_,"axG",@progbits,_Z39paged_attention_ll4mi_QKV_mfma16_kernelI14__hip_bfloat16hLN4vllm18Fp8KVCacheDataTypeE1EhLi32ELi128ELi256ELb0ELi16EL8MFMAType1EEvPKT_PKT0_S9_ifPKiSB_SB_iPKfiiiPfSE_PS4_PT2_iSD_SD_,comdat
	.protected	_Z39paged_attention_ll4mi_QKV_mfma16_kernelI14__hip_bfloat16hLN4vllm18Fp8KVCacheDataTypeE1EhLi32ELi128ELi256ELb0ELi16EL8MFMAType1EEvPKT_PKT0_S9_ifPKiSB_SB_iPKfiiiPfSE_PS4_PT2_iSD_SD_ ; -- Begin function _Z39paged_attention_ll4mi_QKV_mfma16_kernelI14__hip_bfloat16hLN4vllm18Fp8KVCacheDataTypeE1EhLi32ELi128ELi256ELb0ELi16EL8MFMAType1EEvPKT_PKT0_S9_ifPKiSB_SB_iPKfiiiPfSE_PS4_PT2_iSD_SD_
	.globl	_Z39paged_attention_ll4mi_QKV_mfma16_kernelI14__hip_bfloat16hLN4vllm18Fp8KVCacheDataTypeE1EhLi32ELi128ELi256ELb0ELi16EL8MFMAType1EEvPKT_PKT0_S9_ifPKiSB_SB_iPKfiiiPfSE_PS4_PT2_iSD_SD_
	.p2align	8
	.type	_Z39paged_attention_ll4mi_QKV_mfma16_kernelI14__hip_bfloat16hLN4vllm18Fp8KVCacheDataTypeE1EhLi32ELi128ELi256ELb0ELi16EL8MFMAType1EEvPKT_PKT0_S9_ifPKiSB_SB_iPKfiiiPfSE_PS4_PT2_iSD_SD_,@function
_Z39paged_attention_ll4mi_QKV_mfma16_kernelI14__hip_bfloat16hLN4vllm18Fp8KVCacheDataTypeE1EhLi32ELi128ELi256ELb0ELi16EL8MFMAType1EEvPKT_PKT0_S9_ifPKiSB_SB_iPKfiiiPfSE_PS4_PT2_iSD_SD_: ; @_Z39paged_attention_ll4mi_QKV_mfma16_kernelI14__hip_bfloat16hLN4vllm18Fp8KVCacheDataTypeE1EhLi32ELi128ELi256ELb0ELi16EL8MFMAType1EEvPKT_PKT0_S9_ifPKiSB_SB_iPKfiiiPfSE_PS4_PT2_iSD_SD_
; %bb.0:
	s_load_b64 s[4:5], s[0:1], 0x30
	s_mov_b32 s30, s13
	s_waitcnt lgkmcnt(0)
	s_cmp_lg_u64 s[4:5], 0
	s_cselect_b32 s8, -1, 0
	s_ashr_i32 s31, s13, 31
	s_cmp_eq_u64 s[4:5], 0
	s_cbranch_scc1 .LBB1621_3
; %bb.1:
	s_lshl_b64 s[2:3], s[30:31], 2
	s_delay_alu instid0(SALU_CYCLE_1) | instskip(SKIP_4) | instid1(SALU_CYCLE_1)
	s_add_u32 s2, s4, s2
	s_addc_u32 s3, s5, s3
	s_load_b64 s[2:3], s[2:3], 0x0
	s_waitcnt lgkmcnt(0)
	s_sub_i32 s2, s3, s2
	s_cmp_eq_u32 s2, 1
	s_cselect_b32 s2, -1, 0
	s_delay_alu instid0(SALU_CYCLE_1)
	s_and_not1_b32 vcc_lo, exec_lo, s2
	s_cbranch_vccz .LBB1621_4
.LBB1621_2:
	s_endpgm
.LBB1621_3:
.LBB1621_4:
	s_load_b64 s[2:3], s[0:1], 0x28
	s_lshl_b64 s[6:7], s[30:31], 2
	s_waitcnt lgkmcnt(0)
	s_add_u32 s2, s2, s6
	s_addc_u32 s3, s3, s7
	s_lshl_b32 s12, s14, 8
	s_load_b32 s24, s[2:3], 0x0
	s_waitcnt lgkmcnt(0)
	s_cmp_ge_i32 s12, s24
	s_cbranch_scc1 .LBB1621_2
; %bb.5:
	s_clause 0x1
	s_load_b128 s[20:23], s[0:1], 0x8
	s_load_b64 s[2:3], s[0:1], 0x20
	s_and_not1_b32 vcc_lo, exec_lo, s8
	s_cbranch_vccnz .LBB1621_7
; %bb.6:
	s_add_u32 s4, s4, s6
	s_addc_u32 s5, s5, s7
	s_load_b32 s5, s[4:5], 0x0
	s_branch .LBB1621_8
.LBB1621_7:
	s_mov_b32 s5, s30
.LBB1621_8:
	s_load_b128 s[16:19], s[0:1], 0x48
	v_and_b32_e32 v66, 15, v0
	v_lshrrev_b32_e32 v65, 5, v0
	v_and_b32_e32 v67, 31, v0
	v_and_b32_e32 v75, 1, v0
	v_bfe_u32 v74, v0, 4, 1
	v_lshlrev_b32_e32 v1, 3, v66
	s_lshl_b32 s29, s15, 4
	s_mov_b32 s4, exec_lo
	s_delay_alu instid0(VALU_DEP_1)
	v_lshlrev_b32_e32 v73, 1, v1
	v_cmpx_gt_u32_e32 0x100, v0
	s_cbranch_execz .LBB1621_10
; %bb.9:
	v_lshl_or_b32 v5, v65, 1, v74
	s_load_b64 s[6:7], s[0:1], 0x0
	s_waitcnt lgkmcnt(0)
	s_mul_hi_i32 s9, s5, s16
	s_mul_i32 s8, s5, s16
	v_lshlrev_b32_e32 v6, 10, v66
	v_or_b32_e32 v1, s29, v5
	s_lshl_b64 s[8:9], s[8:9], 1
	v_lshlrev_b32_e32 v5, 6, v5
	v_lshlrev_b32_e32 v7, 10, v75
	v_and_b32_e32 v6, 0x3800, v6
	v_lshlrev_b32_e32 v1, 7, v1
	s_delay_alu instid0(VALU_DEP_2) | instskip(NEXT) | instid1(VALU_DEP_2)
	v_or3_b32 v5, v6, v7, v5
	v_ashrrev_i32_e32 v2, 31, v1
	s_delay_alu instid0(VALU_DEP_1) | instskip(SKIP_2) | instid1(VALU_DEP_1)
	v_lshlrev_b64 v[1:2], 1, v[1:2]
	s_add_u32 s5, s6, s8
	s_addc_u32 s6, s7, s9
	v_add_co_u32 v1, vcc_lo, s5, v1
	s_delay_alu instid0(VALU_DEP_2) | instskip(NEXT) | instid1(VALU_DEP_2)
	v_add_co_ci_u32_e32 v2, vcc_lo, s6, v2, vcc_lo
	v_add_co_u32 v1, vcc_lo, v1, v73
	s_delay_alu instid0(VALU_DEP_2)
	v_add_co_ci_u32_e32 v2, vcc_lo, 0, v2, vcc_lo
	global_load_b128 v[1:4], v[1:2], off
	s_waitcnt vmcnt(0)
	ds_store_b128 v5, v[1:4]
.LBB1621_10:
	s_or_b32 exec_lo, exec_lo, s4
	v_and_b32_e32 v1, 0xef, v0
	s_waitcnt lgkmcnt(0)
	s_add_i32 s5, s24, 31
	s_clause 0x1
	s_load_b32 s4, s[0:1], 0x38
	s_load_b32 s19, s[0:1], 0x1c
	s_ashr_i32 s6, s5, 31
	v_add_nc_u32_e32 v1, s12, v1
	s_lshr_b32 s6, s6, 27
	s_waitcnt lgkmcnt(0)
	s_add_i32 s5, s5, s6
	s_barrier
	v_ashrrev_i32_e32 v2, 31, v1
	v_or_b32_e32 v3, 16, v1
	s_ashr_i32 s13, s5, 5
	v_cmp_gt_i32_e32 vcc_lo, s24, v1
	s_add_i32 s13, s13, -1
	v_lshrrev_b32_e32 v2, 27, v2
	buffer_gl0_inv
	s_mul_i32 s31, s15, s18
	v_add_nc_u32_e32 v4, v1, v2
	s_mul_i32 s4, s30, s4
	s_delay_alu instid0(SALU_CYCLE_1) | instskip(NEXT) | instid1(VALU_DEP_1)
	s_ashr_i32 s5, s4, 31
	v_ashrrev_i32_e32 v4, 5, v4
	v_add_nc_u32_e32 v2, v3, v2
	s_lshl_b64 s[4:5], s[4:5], 2
	s_delay_alu instid0(SALU_CYCLE_1) | instskip(NEXT) | instid1(VALU_DEP_2)
	s_add_u32 s25, s2, s4
	v_cndmask_b32_e32 v1, s13, v4, vcc_lo
	s_delay_alu instid0(VALU_DEP_2)
	v_ashrrev_i32_e32 v2, 5, v2
	v_cmp_gt_i32_e32 vcc_lo, s24, v3
	s_addc_u32 s28, s3, s5
	s_ashr_i32 s33, s31, 31
	s_add_u32 s4, s20, s31
	s_addc_u32 s5, s21, s33
	v_cndmask_b32_e32 v3, s13, v2, vcc_lo
	v_ashrrev_i32_e32 v2, 31, v1
	s_lshl_b32 s2, s14, 3
	s_delay_alu instid0(SALU_CYCLE_1) | instskip(NEXT) | instid1(VALU_DEP_2)
	s_ashr_i32 s3, s2, 31
	v_ashrrev_i32_e32 v4, 31, v3
	s_delay_alu instid0(VALU_DEP_2) | instskip(SKIP_1) | instid1(SALU_CYCLE_1)
	v_lshlrev_b64 v[1:2], 2, v[1:2]
	s_lshl_b64 s[2:3], s[2:3], 2
	s_add_u32 s2, s25, s2
	s_delay_alu instid0(VALU_DEP_2) | instskip(SKIP_1) | instid1(VALU_DEP_2)
	v_lshlrev_b64 v[3:4], 2, v[3:4]
	s_addc_u32 s3, s28, s3
	v_add_co_u32 v1, vcc_lo, s25, v1
	v_add_co_ci_u32_e32 v2, vcc_lo, s28, v2, vcc_lo
	s_delay_alu instid0(VALU_DEP_3) | instskip(NEXT) | instid1(VALU_DEP_4)
	v_add_co_u32 v3, vcc_lo, s25, v3
	v_add_co_ci_u32_e32 v4, vcc_lo, s28, v4, vcc_lo
	s_clause 0x1
	global_load_b32 v5, v[1:2], off
	global_load_b32 v6, v[3:4], off
	s_or_b32 s6, s12, 32
	s_delay_alu instid0(SALU_CYCLE_1) | instskip(SKIP_2) | instid1(SALU_CYCLE_1)
	s_ashr_i32 s7, s6, 5
	s_cmp_lt_i32 s6, s24
	s_cselect_b32 s6, s7, s13
	s_ashr_i32 s7, s6, 31
	s_delay_alu instid0(SALU_CYCLE_1) | instskip(NEXT) | instid1(SALU_CYCLE_1)
	s_lshl_b64 s[6:7], s[6:7], 2
	s_add_u32 s6, s25, s6
	s_addc_u32 s7, s28, s7
	s_or_b32 s8, s12, 64
	s_delay_alu instid0(SALU_CYCLE_1) | instskip(SKIP_2) | instid1(SALU_CYCLE_1)
	s_ashr_i32 s9, s8, 5
	s_cmp_lt_i32 s8, s24
	s_cselect_b32 s8, s9, s13
	s_ashr_i32 s9, s8, 31
	s_delay_alu instid0(SALU_CYCLE_1) | instskip(NEXT) | instid1(SALU_CYCLE_1)
	s_lshl_b64 s[8:9], s[8:9], 2
	s_add_u32 s8, s25, s8
	s_addc_u32 s9, s28, s9
	;; [unrolled: 10-line block ×5, first 2 shown]
	s_clause 0x5
	s_load_b32 s20, s[2:3], 0x0
	s_load_b32 s2, s[6:7], 0x0
	;; [unrolled: 1-line block ×6, first 2 shown]
	s_or_b32 s8, s12, 0xc0
	s_delay_alu instid0(SALU_CYCLE_1) | instskip(SKIP_2) | instid1(SALU_CYCLE_1)
	s_ashr_i32 s9, s8, 5
	s_cmp_lt_i32 s8, s24
	s_cselect_b32 s26, s9, s13
	s_ashr_i32 s27, s26, 31
	s_delay_alu instid0(SALU_CYCLE_1) | instskip(NEXT) | instid1(SALU_CYCLE_1)
	s_lshl_b64 s[26:27], s[26:27], 2
	s_add_u32 s26, s25, s26
	s_addc_u32 s27, s28, s27
	s_or_b32 s21, s12, 0xe0
	s_waitcnt vmcnt(1)
	v_mad_i64_i32 v[1:2], null, v5, s17, s[4:5]
	s_waitcnt vmcnt(0)
	v_mad_i64_i32 v[3:4], null, v6, s17, s[4:5]
	s_mov_b32 s4, 0
	s_delay_alu instid0(SALU_CYCLE_1)
	s_mov_b32 s5, s4
	s_mov_b32 s6, s4
	;; [unrolled: 1-line block ×7, first 2 shown]
	s_delay_alu instid0(SALU_CYCLE_1) | instskip(SKIP_2) | instid1(VALU_DEP_3)
	v_dual_mov_b32 v108, s11 :: v_dual_lshlrev_b32 v5, 4, v66
	v_mov_b32_e32 v104, s7
	v_dual_mov_b32 v105, s8 :: v_dual_lshlrev_b32 v76, 6, v66
	v_add_co_u32 v33, vcc_lo, v1, v5
	v_add_co_ci_u32_e32 v34, vcc_lo, 0, v2, vcc_lo
	v_add_co_u32 v35, vcc_lo, v3, v5
	v_add_co_ci_u32_e32 v36, vcc_lo, 0, v4, vcc_lo
	s_clause 0xf
	global_load_b128 v[1:4], v[33:34], off
	global_load_b128 v[5:8], v[33:34], off offset:512
	global_load_b128 v[9:12], v[35:36], off offset:256
	;; [unrolled: 1-line block ×15, first 2 shown]
	v_dual_mov_b32 v102, s5 :: v_dual_lshlrev_b32 v41, 5, v66
	v_dual_mov_b32 v107, s10 :: v_dual_mov_b32 v106, s9
	v_mov_b32_e32 v103, s6
	v_mov_b32_e32 v101, s4
	s_ashr_i32 s4, s21, 5
	s_cmp_lt_i32 s21, s24
	ds_load_b128 v[33:36], v76
	ds_load_b128 v[37:40], v76 offset:1024
	s_cselect_b32 s4, s4, s13
	ds_load_b128 v[109:112], v76 offset:2048
	ds_load_b128 v[113:116], v76 offset:3072
	s_ashr_i32 s5, s4, 31
	v_lshl_or_b32 v41, v65, 9, v41
	s_lshl_b64 s[4:5], s[4:5], 2
	s_load_b32 s6, s[26:27], 0x0
	s_add_u32 s4, s25, s4
	s_addc_u32 s5, s28, s5
	ds_load_b128 v[117:120], v76 offset:4096
	ds_load_b128 v[121:124], v76 offset:5120
	s_load_b32 s4, s[4:5], 0x0
	s_add_u32 s7, s22, s31
	s_addc_u32 s8, s23, s33
	v_add_co_u32 v68, s7, s7, v41
	s_delay_alu instid0(VALU_DEP_1) | instskip(SKIP_1) | instid1(VALU_DEP_1)
	v_add_co_ci_u32_e64 v69, null, s8, 0, s7
	s_waitcnt lgkmcnt(0)
	v_mad_i64_i32 v[41:42], null, s20, s17, v[68:69]
	v_mad_i64_i32 v[70:71], null, s3, s17, v[68:69]
	;; [unrolled: 1-line block ×7, first 2 shown]
	s_clause 0x3
	global_load_b128 v[49:52], v[41:42], off
	global_load_b128 v[53:56], v[41:42], off offset:16
	global_load_b128 v[41:44], v[45:46], off
	global_load_b128 v[45:48], v[45:46], off offset:16
	s_waitcnt vmcnt(18)
	v_wmma_f32_16x16x16_bf16 v[125:132], v[1:8], v[33:40], v[101:108]
	s_waitcnt vmcnt(16)
	v_wmma_f32_16x16x16_bf16 v[101:108], v[9:16], v[33:40], v[101:108]
	s_clause 0x1
	global_load_b128 v[33:36], v[70:71], off
	global_load_b128 v[37:40], v[70:71], off offset:16
	v_mad_i64_i32 v[70:71], null, s4, s17, v[68:69]
	s_waitcnt vmcnt(16)
	v_wmma_f32_16x16x16_bf16 v[125:132], v[17:24], v[109:116], v[125:132]
	s_waitcnt vmcnt(14)
	v_wmma_f32_16x16x16_bf16 v[101:108], v[25:32], v[109:116], v[101:108]
	s_clause 0x7
	global_load_b128 v[25:28], v[133:134], off
	global_load_b128 v[29:32], v[133:134], off offset:16
	global_load_b128 v[1:4], v[135:136], off
	global_load_b128 v[5:8], v[135:136], off offset:16
	;; [unrolled: 2-line block ×4, first 2 shown]
	s_waitcnt vmcnt(20)
	v_wmma_f32_16x16x16_bf16 v[125:132], v[57:64], v[117:124], v[125:132]
	s_clause 0x1
	global_load_b128 v[57:60], v[70:71], off
	global_load_b128 v[61:64], v[70:71], off offset:16
	s_waitcnt vmcnt(20)
	v_wmma_f32_16x16x16_bf16 v[101:108], v[77:84], v[117:124], v[101:108]
	ds_load_b128 v[77:80], v76 offset:6144
	ds_load_b128 v[81:84], v76 offset:7168
	v_and_b32_e32 v68, 0xe0, v0
	v_mbcnt_lo_u32_b32 v69, -1, 0
	s_waitcnt vmcnt(0) lgkmcnt(0)
	s_barrier
	buffer_gl0_inv
	v_add_nc_u32_e32 v68, s12, v68
	v_xor_b32_e32 v70, 16, v69
	s_delay_alu instid0(VALU_DEP_2) | instskip(NEXT) | instid1(VALU_DEP_2)
	v_or_b32_e32 v68, v68, v74
	v_cmp_gt_i32_e32 vcc_lo, 32, v70
	s_delay_alu instid0(VALU_DEP_2)
	v_or_b32_e32 v71, 4, v68
	v_or_b32_e32 v72, 6, v68
	v_cmp_gt_i32_e64 s2, s24, v68
	v_or_b32_e32 v109, 8, v68
	v_wmma_f32_16x16x16_bf16 v[125:132], v[85:92], v[77:84], v[125:132]
	v_cndmask_b32_e32 v69, v69, v70, vcc_lo
	v_or_b32_e32 v70, 2, v68
	v_wmma_f32_16x16x16_bf16 v[101:108], v[93:100], v[77:84], v[101:108]
	v_or_b32_e32 v85, 10, v68
	v_dual_mul_f32 v80, s19, v132 :: v_dual_mul_f32 v93, s19, v127
	v_dual_mul_f32 v94, s19, v126 :: v_dual_mul_f32 v95, s19, v125
	s_delay_alu instid0(VALU_DEP_4) | instskip(SKIP_2) | instid1(VALU_DEP_4)
	v_mul_f32_e32 v96, s19, v108
	v_cmp_gt_i32_e32 vcc_lo, s24, v70
	v_dual_mul_f32 v83, s19, v129 :: v_dual_mul_f32 v84, s19, v128
	v_cndmask_b32_e64 v95, 0xff7fffff, v95, s2
	v_cmp_gt_i32_e64 s3, s24, v71
	v_cndmask_b32_e32 v94, 0xff7fffff, v94, vcc_lo
	v_cmp_gt_i32_e64 s4, s24, v72
	v_or_b32_e32 v86, 12, v68
	v_or_b32_e32 v87, 14, v68
	v_dual_mul_f32 v81, s19, v131 :: v_dual_mul_f32 v82, s19, v130
	v_cndmask_b32_e64 v93, 0xff7fffff, v93, s3
	v_cndmask_b32_e64 v72, 0xff7fffff, v84, s4
	v_max3_f32 v84, v95, 0xff7fffff, v94
	v_cmp_gt_i32_e64 s5, s24, v109
	v_cmp_gt_i32_e64 s6, s24, v85
	v_or_b32_e32 v88, 16, v68
	v_or_b32_e32 v89, 18, v68
	v_max3_f32 v72, v84, v93, v72
	v_cndmask_b32_e64 v83, 0xff7fffff, v83, s5
	v_cndmask_b32_e64 v82, 0xff7fffff, v82, s6
	v_cmp_gt_i32_e64 s7, s24, v86
	v_cmp_gt_i32_e64 s8, s24, v87
	v_or_b32_e32 v90, 20, v68
	v_or_b32_e32 v91, 22, v68
	;; [unrolled: 1-line block ×6, first 2 shown]
	v_dual_mul_f32 v70, s19, v103 :: v_dual_mul_f32 v71, s19, v101
	v_mul_f32_e32 v68, s19, v102
	v_cndmask_b32_e64 v81, 0xff7fffff, v81, s7
	v_cndmask_b32_e64 v80, 0xff7fffff, v80, s8
	v_max3_f32 v72, v72, v83, v82
	v_cmp_gt_i32_e64 s9, s24, v88
	v_cmp_gt_i32_e64 s10, s24, v89
	v_dual_mul_f32 v99, s19, v105 :: v_dual_mul_f32 v100, s19, v104
	s_delay_alu instid0(VALU_DEP_4) | instskip(NEXT) | instid1(VALU_DEP_4)
	v_max3_f32 v72, v72, v81, v80
	v_cndmask_b32_e64 v71, 0xff7fffff, v71, s9
	s_delay_alu instid0(VALU_DEP_4) | instskip(SKIP_3) | instid1(VALU_DEP_4)
	v_cndmask_b32_e64 v68, 0xff7fffff, v68, s10
	v_cmp_gt_i32_e64 s11, s24, v90
	v_cmp_gt_i32_e64 s12, s24, v91
	v_dual_mul_f32 v97, s19, v107 :: v_dual_mul_f32 v98, s19, v106
	v_max3_f32 v68, v72, v71, v68
	s_delay_alu instid0(VALU_DEP_4) | instskip(NEXT) | instid1(VALU_DEP_4)
	v_cndmask_b32_e64 v70, 0xff7fffff, v70, s11
	v_cndmask_b32_e64 v80, 0xff7fffff, v100, s12
	v_cmp_gt_i32_e64 s13, s24, v92
	v_cmp_gt_i32_e64 s15, s24, v77
	;; [unrolled: 1-line block ×4, first 2 shown]
	v_max3_f32 v68, v68, v70, v80
	v_cndmask_b32_e64 v71, 0xff7fffff, v99, s13
	v_cndmask_b32_e64 v72, 0xff7fffff, v98, s15
	;; [unrolled: 1-line block ×4, first 2 shown]
	v_lshlrev_b32_e32 v90, 2, v69
	s_delay_alu instid0(VALU_DEP_4) | instskip(NEXT) | instid1(VALU_DEP_1)
	v_max3_f32 v68, v68, v71, v72
	v_max3_f32 v68, v68, v70, v77
	ds_bpermute_b32 v69, v90, v68
	s_waitcnt lgkmcnt(0)
	v_max_f32_e32 v69, v69, v69
	s_delay_alu instid0(VALU_DEP_1) | instskip(NEXT) | instid1(VALU_DEP_1)
	v_max_f32_e32 v81, v68, v69
	v_fma_f32 v68, s19, v125, -v81
	v_fma_f32 v69, s19, v126, -v81
	v_fma_f32 v70, s19, v127, -v81
	v_fma_f32 v71, s19, v128, -v81
	v_fma_f32 v72, s19, v129, -v81
	s_delay_alu instid0(VALU_DEP_4) | instskip(NEXT) | instid1(VALU_DEP_3)
	v_dual_mul_f32 v68, 0x3fb8aa3b, v68 :: v_dual_mul_f32 v69, 0x3fb8aa3b, v69
	v_dual_mul_f32 v70, 0x3fb8aa3b, v70 :: v_dual_mul_f32 v71, 0x3fb8aa3b, v71
	v_fma_f32 v78, s19, v131, -v81
	s_delay_alu instid0(VALU_DEP_3) | instskip(NEXT) | instid1(VALU_DEP_3)
	v_exp_f32_e32 v68, v68
	v_exp_f32_e32 v69, v69
	s_delay_alu instid0(VALU_DEP_2)
	v_exp_f32_e32 v70, v70
	v_mul_f32_e32 v72, 0x3fb8aa3b, v72
	v_exp_f32_e32 v71, v71
	v_mul_f32_e32 v78, 0x3fb8aa3b, v78
	v_fma_f32 v80, s19, v106, -v81
	v_cndmask_b32_e64 v82, 0, v68, s2
	s_delay_alu instid0(TRANS32_DEP_3) | instskip(SKIP_2) | instid1(TRANS32_DEP_3)
	v_cndmask_b32_e32 v77, 0, v69, vcc_lo
	v_fma_f32 v68, s19, v130, -v81
	v_exp_f32_e32 v72, v72
	v_cndmask_b32_e64 v83, 0, v70, s3
	v_add_f32_e32 v69, 0, v82
	v_fma_f32 v70, s19, v132, -v81
	v_mul_f32_e32 v68, 0x3fb8aa3b, v68
	v_cndmask_b32_e64 v85, 0, v71, s4
	v_fma_f32 v71, s19, v101, -v81
	s_delay_alu instid0(VALU_DEP_4) | instskip(NEXT) | instid1(VALU_DEP_4)
	v_dual_add_f32 v69, v69, v77 :: v_dual_mul_f32 v70, 0x3fb8aa3b, v70
	v_exp_f32_e32 v68, v68
	s_delay_alu instid0(TRANS32_DEP_2) | instskip(SKIP_1) | instid1(VALU_DEP_3)
	v_cndmask_b32_e64 v86, 0, v72, s5
	v_fma_f32 v72, s19, v102, -v81
	v_add_f32_e32 v69, v69, v83
	v_exp_f32_e32 v78, v78
	v_exp_f32_e32 v70, v70
	s_mov_b32 s2, exec_lo
	s_delay_alu instid0(VALU_DEP_1) | instskip(SKIP_1) | instid1(TRANS32_DEP_3)
	v_dual_mul_f32 v72, 0x3fb8aa3b, v72 :: v_dual_add_f32 v69, v69, v85
	v_mul_f32_e32 v71, 0x3fb8aa3b, v71
	v_cndmask_b32_e64 v87, 0, v68, s6
	s_delay_alu instid0(VALU_DEP_3) | instskip(NEXT) | instid1(VALU_DEP_3)
	v_exp_f32_e32 v72, v72
	v_add_f32_e32 v68, v69, v86
	v_fma_f32 v69, s19, v103, -v81
	v_exp_f32_e32 v71, v71
	v_cndmask_b32_e64 v84, 0, v78, s7
	v_fma_f32 v78, s19, v104, -v81
	s_delay_alu instid0(VALU_DEP_3) | instskip(SKIP_2) | instid1(VALU_DEP_3)
	v_dual_add_f32 v68, v68, v87 :: v_dual_mul_f32 v69, 0x3fb8aa3b, v69
	v_cndmask_b32_e64 v88, 0, v70, s8
	v_fma_f32 v70, s19, v105, -v81
	v_exp_f32_e32 v79, v69
	s_delay_alu instid0(TRANS32_DEP_2) | instskip(SKIP_1) | instid1(VALU_DEP_1)
	v_cndmask_b32_e64 v69, 0, v71, s9
	v_add_f32_e32 v68, v68, v84
	v_dual_mul_f32 v78, 0x3fb8aa3b, v78 :: v_dual_add_f32 v71, v68, v88
	s_delay_alu instid0(VALU_DEP_1) | instskip(SKIP_2) | instid1(VALU_DEP_3)
	v_exp_f32_e32 v78, v78
	v_cndmask_b32_e64 v68, 0, v72, s10
	v_fma_f32 v72, s19, v107, -v81
	v_dual_add_f32 v71, v71, v69 :: v_dual_mul_f32 v70, 0x3fb8aa3b, v70
	s_delay_alu instid0(VALU_DEP_1) | instskip(NEXT) | instid1(TRANS32_DEP_3)
	v_exp_f32_e32 v89, v70
	v_cndmask_b32_e64 v70, 0, v79, s11
	s_delay_alu instid0(VALU_DEP_2) | instskip(NEXT) | instid1(TRANS32_DEP_2)
	v_add_f32_e32 v79, v71, v68
	v_cndmask_b32_e64 v71, 0, v78, s12
	s_delay_alu instid0(VALU_DEP_2) | instskip(SKIP_2) | instid1(VALU_DEP_1)
	v_add_f32_e32 v78, v79, v70
	v_mul_f32_e32 v80, 0x3fb8aa3b, v80
	v_fma_f32 v79, s19, v108, -v81
	v_dual_mul_f32 v72, 0x3fb8aa3b, v72 :: v_dual_mul_f32 v79, 0x3fb8aa3b, v79
	s_delay_alu instid0(VALU_DEP_1) | instskip(NEXT) | instid1(TRANS32_DEP_2)
	v_exp_f32_e32 v91, v72
	v_cndmask_b32_e64 v72, 0, v89, s13
	v_add_f32_e32 v89, v78, v71
	v_exp_f32_e32 v80, v80
	s_waitcnt_depctr 0xfff
	v_cndmask_b32_e64 v78, 0, v80, s15
	v_add_f32_e32 v80, v89, v72
	v_exp_f32_e32 v89, v79
	v_cndmask_b32_e64 v79, 0, v91, s16
	s_delay_alu instid0(VALU_DEP_2) | instskip(NEXT) | instid1(VALU_DEP_1)
	v_add_f32_e32 v80, v80, v78
	v_add_f32_e32 v91, v80, v79
	s_waitcnt_depctr 0xfff
	v_cndmask_b32_e64 v80, 0, v89, s17
	s_delay_alu instid0(VALU_DEP_1)
	v_add_f32_e32 v89, v91, v80
	ds_bpermute_b32 v90, v90, v89
	v_cmpx_gt_u32_e32 16, v67
	s_cbranch_execz .LBB1621_12
; %bb.11:
	v_mul_u32_u24_e32 v67, 0x44, v65
	s_waitcnt lgkmcnt(0)
	v_add_f32_e32 v89, v89, v90
	s_delay_alu instid0(VALU_DEP_2) | instskip(NEXT) | instid1(VALU_DEP_1)
	v_lshl_add_u32 v67, v66, 2, v67
	v_add_nc_u32_e32 v67, 0x4000, v67
	ds_store_2addr_b32 v67, v81, v89 offset1:136
.LBB1621_12:
	s_or_b32 exec_lo, exec_lo, s2
	v_lshlrev_b32_e32 v66, 2, v66
	s_waitcnt lgkmcnt(0)
	s_barrier
	buffer_gl0_inv
	v_cmp_eq_u32_e32 vcc_lo, 1, v65
	v_add_nc_u32_e32 v81, 0x4000, v66
	v_cmp_eq_u32_e64 s2, 2, v65
	v_cmp_eq_u32_e64 s4, 7, v65
	ds_load_2addr_b32 v[89:90], v81 offset1:17
	ds_load_2addr_b32 v[91:92], v81 offset0:34 offset1:51
	ds_load_2addr_b32 v[93:94], v81 offset0:68 offset1:85
	ds_load_2addr_b32 v[95:96], v81 offset0:102 offset1:119
	ds_load_2addr_b32 v[97:98], v81 offset0:136 offset1:153
	s_waitcnt lgkmcnt(4)
	v_max3_f32 v66, v89, 0xff7fffff, v90
	s_waitcnt lgkmcnt(3)
	s_delay_alu instid0(VALU_DEP_1) | instskip(SKIP_1) | instid1(VALU_DEP_1)
	v_max3_f32 v66, v66, v91, v92
	s_waitcnt lgkmcnt(2)
	v_max3_f32 v66, v66, v93, v94
	s_waitcnt lgkmcnt(1)
	s_delay_alu instid0(VALU_DEP_1) | instskip(NEXT) | instid1(VALU_DEP_1)
	v_max3_f32 v66, v66, v95, v96
	v_sub_f32_e32 v67, v89, v66
	v_sub_f32_e32 v91, v91, v66
	;; [unrolled: 1-line block ×3, first 2 shown]
	s_delay_alu instid0(VALU_DEP_3) | instskip(NEXT) | instid1(VALU_DEP_3)
	v_mul_f32_e32 v67, 0x3fb8aa3b, v67
	v_mul_f32_e32 v101, 0x3fb8aa3b, v91
	s_delay_alu instid0(VALU_DEP_3) | instskip(NEXT) | instid1(VALU_DEP_3)
	v_mul_f32_e32 v103, 0x3fb8aa3b, v93
	v_exp_f32_e32 v100, v67
	v_sub_f32_e32 v67, v92, v66
	v_sub_f32_e32 v99, v90, v66
	ds_load_2addr_b32 v[89:90], v81 offset0:170 offset1:187
	ds_load_2addr_b32 v[91:92], v81 offset0:204 offset1:221
	v_exp_f32_e32 v101, v101
	v_mul_f32_e32 v102, 0x3fb8aa3b, v67
	v_mul_f32_e32 v99, 0x3fb8aa3b, v99
	s_waitcnt lgkmcnt(2)
	v_fma_f32 v67, v100, v97, 0
	v_sub_f32_e32 v97, v94, v66
	s_delay_alu instid0(VALU_DEP_3)
	v_exp_f32_e32 v99, v99
	v_exp_f32_e32 v102, v102
	ds_load_2addr_b32 v[93:94], v81 offset0:238 offset1:255
	v_sub_f32_e32 v81, v95, v66
	v_mul_f32_e32 v95, 0x3fb8aa3b, v97
	v_exp_f32_e32 v97, v103
	s_waitcnt lgkmcnt(0)
	s_barrier
	v_mul_f32_e32 v81, 0x3fb8aa3b, v81
	v_exp_f32_e32 v95, v95
	v_fmac_f32_e32 v67, v99, v98
	buffer_gl0_inv
	v_exp_f32_e32 v81, v81
	v_fmac_f32_e32 v67, v101, v89
	v_sub_f32_e32 v89, v96, v66
	s_delay_alu instid0(VALU_DEP_2) | instskip(NEXT) | instid1(VALU_DEP_2)
	v_fmac_f32_e32 v67, v102, v90
	v_mul_f32_e32 v89, 0x3fb8aa3b, v89
	s_delay_alu instid0(VALU_DEP_2) | instskip(NEXT) | instid1(VALU_DEP_2)
	v_fmac_f32_e32 v67, v97, v91
	v_exp_f32_e32 v89, v89
	s_delay_alu instid0(VALU_DEP_1)
	v_fmac_f32_e32 v67, v95, v92
	s_delay_alu instid0(TRANS32_DEP_2) | instid1(VALU_DEP_1)
	v_fmac_f32_e32 v67, v81, v93
	s_waitcnt_depctr 0xfff
	v_fmac_f32_e32 v67, v89, v94
	s_delay_alu instid0(VALU_DEP_1) | instskip(NEXT) | instid1(VALU_DEP_1)
	v_add_f32_e32 v90, 0x358637bd, v67
	v_div_scale_f32 v91, null, v90, v90, 1.0
	v_div_scale_f32 v94, s3, 1.0, v90, 1.0
	s_delay_alu instid0(VALU_DEP_2) | instskip(SKIP_2) | instid1(VALU_DEP_1)
	v_rcp_f32_e32 v92, v91
	s_waitcnt_depctr 0xfff
	v_fma_f32 v93, -v91, v92, 1.0
	v_dual_fmac_f32 v92, v93, v92 :: v_dual_cndmask_b32 v93, v100, v99
	v_cmp_eq_u32_e32 vcc_lo, 3, v65
	s_delay_alu instid0(VALU_DEP_2) | instskip(NEXT) | instid1(VALU_DEP_3)
	v_mul_f32_e32 v96, v94, v92
	v_cndmask_b32_e64 v93, v93, v101, s2
	v_cmp_eq_u32_e64 s2, 4, v65
	s_delay_alu instid0(VALU_DEP_3) | instskip(NEXT) | instid1(VALU_DEP_3)
	v_fma_f32 v98, -v91, v96, v94
	v_cndmask_b32_e32 v93, v93, v102, vcc_lo
	v_cmp_eq_u32_e32 vcc_lo, 5, v65
	s_delay_alu instid0(VALU_DEP_3) | instskip(NEXT) | instid1(VALU_DEP_3)
	v_fmac_f32_e32 v96, v98, v92
	v_cndmask_b32_e64 v93, v93, v97, s2
	v_cmp_eq_u32_e64 s2, 6, v65
	s_delay_alu instid0(VALU_DEP_3) | instskip(NEXT) | instid1(VALU_DEP_3)
	v_fma_f32 v91, -v91, v96, v94
	v_cndmask_b32_e32 v93, v93, v95, vcc_lo
	s_mov_b32 vcc_lo, s3
	s_delay_alu instid0(VALU_DEP_2) | instskip(NEXT) | instid1(VALU_DEP_2)
	v_div_fmas_f32 v91, v91, v92, v96
	v_cndmask_b32_e64 v81, v93, v81, s2
	s_mov_b32 s2, exec_lo
	s_delay_alu instid0(VALU_DEP_2) | instskip(NEXT) | instid1(VALU_DEP_2)
	v_div_fixup_f32 v90, v91, v90, 1.0
	v_cndmask_b32_e64 v81, v81, v89, s4
	s_delay_alu instid0(VALU_DEP_1) | instskip(NEXT) | instid1(VALU_DEP_1)
	v_mul_f32_e32 v81, v81, v90
	v_mul_f32_e32 v90, v81, v82
	;; [unrolled: 1-line block ×6, first 2 shown]
	v_dual_mul_f32 v86, v81, v83 :: v_dual_and_b32 v91, 0x7f800000, v90
	v_mul_f32_e32 v89, v81, v85
	v_mul_f32_e32 v85, v81, v77
                                        ; implicit-def: $vgpr77
	s_delay_alu instid0(VALU_DEP_3)
	v_cmpx_ne_u32_e32 0x7f800000, v91
	s_xor_b32 s2, exec_lo, s2
; %bb.13:
	v_bfe_u32 v77, v90, 16, 1
	s_delay_alu instid0(VALU_DEP_1)
	v_add3_u32 v77, v90, v77, 0x7fff
                                        ; implicit-def: $vgpr90
; %bb.14:
	s_and_not1_saveexec_b32 s2, s2
; %bb.15:
	v_and_b32_e32 v77, 0xffff, v90
	v_or_b32_e32 v83, 0x10000, v90
	s_delay_alu instid0(VALU_DEP_2) | instskip(NEXT) | instid1(VALU_DEP_2)
	v_cmp_eq_u32_e32 vcc_lo, 0, v77
	v_cndmask_b32_e32 v77, v83, v90, vcc_lo
; %bb.16:
	s_or_b32 exec_lo, exec_lo, s2
	v_and_b32_e32 v83, 0x7f800000, v85
	s_delay_alu instid0(VALU_DEP_1) | instskip(SKIP_1) | instid1(SALU_CYCLE_1)
	v_cmp_ne_u32_e32 vcc_lo, 0x7f800000, v83
                                        ; implicit-def: $vgpr83
	s_and_saveexec_b32 s2, vcc_lo
	s_xor_b32 s2, exec_lo, s2
; %bb.17:
	v_bfe_u32 v83, v85, 16, 1
	s_delay_alu instid0(VALU_DEP_1)
	v_add3_u32 v83, v85, v83, 0x7fff
                                        ; implicit-def: $vgpr85
; %bb.18:
	s_and_not1_saveexec_b32 s2, s2
; %bb.19:
	v_and_b32_e32 v83, 0xffff, v85
	v_or_b32_e32 v90, 0x10000, v85
	s_delay_alu instid0(VALU_DEP_2) | instskip(NEXT) | instid1(VALU_DEP_2)
	v_cmp_eq_u32_e32 vcc_lo, 0, v83
	v_cndmask_b32_e32 v83, v90, v85, vcc_lo
; %bb.20:
	s_or_b32 exec_lo, exec_lo, s2
	v_and_b32_e32 v85, 0x7f800000, v86
	s_delay_alu instid0(VALU_DEP_1) | instskip(SKIP_1) | instid1(SALU_CYCLE_1)
	v_cmp_ne_u32_e32 vcc_lo, 0x7f800000, v85
                                        ; implicit-def: $vgpr85
	s_and_saveexec_b32 s2, vcc_lo
	s_xor_b32 s2, exec_lo, s2
; %bb.21:
	v_bfe_u32 v85, v86, 16, 1
	s_delay_alu instid0(VALU_DEP_1)
	v_add3_u32 v85, v86, v85, 0x7fff
                                        ; implicit-def: $vgpr86
; %bb.22:
	s_and_not1_saveexec_b32 s2, s2
; %bb.23:
	v_and_b32_e32 v85, 0xffff, v86
	v_or_b32_e32 v90, 0x10000, v86
	s_delay_alu instid0(VALU_DEP_2) | instskip(NEXT) | instid1(VALU_DEP_2)
	v_cmp_eq_u32_e32 vcc_lo, 0, v85
	v_cndmask_b32_e32 v85, v90, v86, vcc_lo
; %bb.24:
	s_or_b32 exec_lo, exec_lo, s2
	v_and_b32_e32 v86, 0x7f800000, v89
	s_delay_alu instid0(VALU_DEP_1) | instskip(SKIP_1) | instid1(SALU_CYCLE_1)
	v_cmp_ne_u32_e32 vcc_lo, 0x7f800000, v86
                                        ; implicit-def: $vgpr86
	s_and_saveexec_b32 s2, vcc_lo
	s_xor_b32 s2, exec_lo, s2
; %bb.25:
	v_bfe_u32 v86, v89, 16, 1
	s_delay_alu instid0(VALU_DEP_1)
	v_add3_u32 v86, v89, v86, 0x7fff
                                        ; implicit-def: $vgpr89
; %bb.26:
	s_and_not1_saveexec_b32 s2, s2
; %bb.27:
	v_and_b32_e32 v86, 0xffff, v89
	v_or_b32_e32 v90, 0x10000, v89
	s_delay_alu instid0(VALU_DEP_2) | instskip(NEXT) | instid1(VALU_DEP_2)
	v_cmp_eq_u32_e32 vcc_lo, 0, v86
	v_cndmask_b32_e32 v86, v90, v89, vcc_lo
; %bb.28:
	s_or_b32 exec_lo, exec_lo, s2
	v_and_b32_e32 v89, 0x7f800000, v88
	s_delay_alu instid0(VALU_DEP_1) | instskip(SKIP_1) | instid1(SALU_CYCLE_1)
	v_cmp_ne_u32_e32 vcc_lo, 0x7f800000, v89
                                        ; implicit-def: $vgpr89
	s_and_saveexec_b32 s2, vcc_lo
	s_xor_b32 s2, exec_lo, s2
; %bb.29:
	v_bfe_u32 v89, v88, 16, 1
	s_delay_alu instid0(VALU_DEP_1)
	v_add3_u32 v89, v88, v89, 0x7fff
                                        ; implicit-def: $vgpr88
; %bb.30:
	s_and_not1_saveexec_b32 s2, s2
; %bb.31:
	v_and_b32_e32 v89, 0xffff, v88
	v_or_b32_e32 v90, 0x10000, v88
	s_delay_alu instid0(VALU_DEP_2) | instskip(NEXT) | instid1(VALU_DEP_2)
	v_cmp_eq_u32_e32 vcc_lo, 0, v89
	v_cndmask_b32_e32 v89, v90, v88, vcc_lo
; %bb.32:
	s_or_b32 exec_lo, exec_lo, s2
	v_and_b32_e32 v88, 0x7f800000, v87
	s_delay_alu instid0(VALU_DEP_1) | instskip(SKIP_1) | instid1(SALU_CYCLE_1)
	v_cmp_ne_u32_e32 vcc_lo, 0x7f800000, v88
                                        ; implicit-def: $vgpr88
	s_and_saveexec_b32 s2, vcc_lo
	s_xor_b32 s2, exec_lo, s2
; %bb.33:
	v_bfe_u32 v88, v87, 16, 1
	s_delay_alu instid0(VALU_DEP_1)
	v_add3_u32 v88, v87, v88, 0x7fff
                                        ; implicit-def: $vgpr87
; %bb.34:
	s_and_not1_saveexec_b32 s2, s2
; %bb.35:
	v_and_b32_e32 v88, 0xffff, v87
	v_or_b32_e32 v90, 0x10000, v87
	s_delay_alu instid0(VALU_DEP_2) | instskip(NEXT) | instid1(VALU_DEP_2)
	v_cmp_eq_u32_e32 vcc_lo, 0, v88
	v_cndmask_b32_e32 v88, v90, v87, vcc_lo
; %bb.36:
	s_or_b32 exec_lo, exec_lo, s2
	v_and_b32_e32 v87, 0x7f800000, v84
	s_delay_alu instid0(VALU_DEP_1) | instskip(SKIP_1) | instid1(SALU_CYCLE_1)
	v_cmp_ne_u32_e32 vcc_lo, 0x7f800000, v87
                                        ; implicit-def: $vgpr87
	s_and_saveexec_b32 s2, vcc_lo
	s_xor_b32 s2, exec_lo, s2
; %bb.37:
	v_bfe_u32 v87, v84, 16, 1
	s_delay_alu instid0(VALU_DEP_1)
	v_add3_u32 v87, v84, v87, 0x7fff
                                        ; implicit-def: $vgpr84
; %bb.38:
	s_and_not1_saveexec_b32 s2, s2
; %bb.39:
	v_and_b32_e32 v87, 0xffff, v84
	v_or_b32_e32 v90, 0x10000, v84
	s_delay_alu instid0(VALU_DEP_2) | instskip(NEXT) | instid1(VALU_DEP_2)
	v_cmp_eq_u32_e32 vcc_lo, 0, v87
	v_cndmask_b32_e32 v87, v90, v84, vcc_lo
; %bb.40:
	s_or_b32 exec_lo, exec_lo, s2
	v_and_b32_e32 v84, 0x7f800000, v82
	s_delay_alu instid0(VALU_DEP_1) | instskip(SKIP_1) | instid1(SALU_CYCLE_1)
	v_cmp_ne_u32_e32 vcc_lo, 0x7f800000, v84
                                        ; implicit-def: $vgpr84
	s_and_saveexec_b32 s2, vcc_lo
	s_xor_b32 s2, exec_lo, s2
; %bb.41:
	v_bfe_u32 v84, v82, 16, 1
	s_delay_alu instid0(VALU_DEP_1)
	v_add3_u32 v84, v82, v84, 0x7fff
                                        ; implicit-def: $vgpr82
; %bb.42:
	s_and_not1_saveexec_b32 s2, s2
; %bb.43:
	v_and_b32_e32 v84, 0xffff, v82
	v_or_b32_e32 v90, 0x10000, v82
	s_delay_alu instid0(VALU_DEP_2) | instskip(NEXT) | instid1(VALU_DEP_2)
	v_cmp_eq_u32_e32 vcc_lo, 0, v84
	v_cndmask_b32_e32 v84, v90, v82, vcc_lo
; %bb.44:
	s_or_b32 exec_lo, exec_lo, s2
	s_load_b64 s[34:35], s[0:1], 0x94
	v_lshlrev_b32_e32 v82, 4, v74
	s_delay_alu instid0(VALU_DEP_2)
	v_perm_b32 v90, v84, v87, 0x7060302
	v_lshlrev_b32_e32 v84, 11, v65
	v_perm_b32 v87, v83, v77, 0x7060302
	v_mul_f32_e32 v83, v81, v69
	v_mul_f32_e32 v69, v81, v80
	v_perm_b32 v89, v88, v89, 0x7060302
	v_perm_b32 v88, v86, v85, 0x7060302
	v_or3_b32 v77, v82, v84, v76
	v_mul_f32_e32 v79, v81, v79
	v_mul_f32_e32 v78, v81, v78
	v_and_b32_e32 v84, 0x7f800000, v83
	v_mul_f32_e32 v72, v81, v72
	v_mul_f32_e32 v82, v81, v71
	;; [unrolled: 1-line block ×4, first 2 shown]
	s_mov_b32 s2, exec_lo
	ds_store_b128 v77, v[87:90]
                                        ; implicit-def: $vgpr68
	v_cmpx_ne_u32_e32 0x7f800000, v84
	s_xor_b32 s2, exec_lo, s2
; %bb.45:
	v_bfe_u32 v68, v83, 16, 1
	s_delay_alu instid0(VALU_DEP_1)
	v_add3_u32 v68, v83, v68, 0x7fff
                                        ; implicit-def: $vgpr83
; %bb.46:
	s_and_not1_saveexec_b32 s2, s2
; %bb.47:
	v_and_b32_e32 v68, 0xffff, v83
	v_or_b32_e32 v70, 0x10000, v83
	s_delay_alu instid0(VALU_DEP_2) | instskip(NEXT) | instid1(VALU_DEP_2)
	v_cmp_eq_u32_e32 vcc_lo, 0, v68
	v_cndmask_b32_e32 v68, v70, v83, vcc_lo
; %bb.48:
	s_or_b32 exec_lo, exec_lo, s2
	v_and_b32_e32 v70, 0x7f800000, v71
	s_delay_alu instid0(VALU_DEP_1) | instskip(SKIP_1) | instid1(SALU_CYCLE_1)
	v_cmp_ne_u32_e32 vcc_lo, 0x7f800000, v70
                                        ; implicit-def: $vgpr70
	s_and_saveexec_b32 s2, vcc_lo
	s_xor_b32 s2, exec_lo, s2
; %bb.49:
	v_bfe_u32 v70, v71, 16, 1
	s_delay_alu instid0(VALU_DEP_1)
	v_add3_u32 v70, v71, v70, 0x7fff
                                        ; implicit-def: $vgpr71
; %bb.50:
	s_and_not1_saveexec_b32 s2, s2
; %bb.51:
	v_and_b32_e32 v70, 0xffff, v71
	v_or_b32_e32 v81, 0x10000, v71
	s_delay_alu instid0(VALU_DEP_2) | instskip(NEXT) | instid1(VALU_DEP_2)
	v_cmp_eq_u32_e32 vcc_lo, 0, v70
	v_cndmask_b32_e32 v70, v81, v71, vcc_lo
; %bb.52:
	s_or_b32 exec_lo, exec_lo, s2
	v_and_b32_e32 v71, 0x7f800000, v80
	s_delay_alu instid0(VALU_DEP_1) | instskip(SKIP_1) | instid1(SALU_CYCLE_1)
	v_cmp_ne_u32_e32 vcc_lo, 0x7f800000, v71
                                        ; implicit-def: $vgpr71
	s_and_saveexec_b32 s2, vcc_lo
	s_xor_b32 s2, exec_lo, s2
; %bb.53:
	v_bfe_u32 v71, v80, 16, 1
	s_delay_alu instid0(VALU_DEP_1)
	v_add3_u32 v71, v80, v71, 0x7fff
                                        ; implicit-def: $vgpr80
; %bb.54:
	s_and_not1_saveexec_b32 s2, s2
; %bb.55:
	v_and_b32_e32 v71, 0xffff, v80
	v_or_b32_e32 v81, 0x10000, v80
	s_delay_alu instid0(VALU_DEP_2) | instskip(NEXT) | instid1(VALU_DEP_2)
	v_cmp_eq_u32_e32 vcc_lo, 0, v71
	v_cndmask_b32_e32 v71, v81, v80, vcc_lo
; %bb.56:
	s_or_b32 exec_lo, exec_lo, s2
	v_and_b32_e32 v80, 0x7f800000, v82
	s_delay_alu instid0(VALU_DEP_1) | instskip(SKIP_1) | instid1(SALU_CYCLE_1)
	v_cmp_ne_u32_e32 vcc_lo, 0x7f800000, v80
                                        ; implicit-def: $vgpr80
	s_and_saveexec_b32 s2, vcc_lo
	s_xor_b32 s2, exec_lo, s2
; %bb.57:
	v_bfe_u32 v80, v82, 16, 1
	s_delay_alu instid0(VALU_DEP_1)
	v_add3_u32 v80, v82, v80, 0x7fff
                                        ; implicit-def: $vgpr82
; %bb.58:
	s_and_not1_saveexec_b32 s2, s2
; %bb.59:
	v_and_b32_e32 v80, 0xffff, v82
	v_or_b32_e32 v81, 0x10000, v82
	s_delay_alu instid0(VALU_DEP_2) | instskip(NEXT) | instid1(VALU_DEP_2)
	v_cmp_eq_u32_e32 vcc_lo, 0, v80
	v_cndmask_b32_e32 v80, v81, v82, vcc_lo
; %bb.60:
	s_or_b32 exec_lo, exec_lo, s2
	v_and_b32_e32 v81, 0x7f800000, v72
	s_delay_alu instid0(VALU_DEP_1) | instskip(SKIP_1) | instid1(SALU_CYCLE_1)
	v_cmp_ne_u32_e32 vcc_lo, 0x7f800000, v81
                                        ; implicit-def: $vgpr81
	s_and_saveexec_b32 s2, vcc_lo
	s_xor_b32 s2, exec_lo, s2
; %bb.61:
	v_bfe_u32 v81, v72, 16, 1
	s_delay_alu instid0(VALU_DEP_1)
	v_add3_u32 v81, v72, v81, 0x7fff
                                        ; implicit-def: $vgpr72
; %bb.62:
	s_and_not1_saveexec_b32 s2, s2
; %bb.63:
	v_and_b32_e32 v81, 0xffff, v72
	v_or_b32_e32 v82, 0x10000, v72
	s_delay_alu instid0(VALU_DEP_2) | instskip(NEXT) | instid1(VALU_DEP_2)
	v_cmp_eq_u32_e32 vcc_lo, 0, v81
	v_cndmask_b32_e32 v81, v82, v72, vcc_lo
; %bb.64:
	s_or_b32 exec_lo, exec_lo, s2
	v_and_b32_e32 v72, 0x7f800000, v78
	s_delay_alu instid0(VALU_DEP_1) | instskip(SKIP_1) | instid1(SALU_CYCLE_1)
	v_cmp_ne_u32_e32 vcc_lo, 0x7f800000, v72
                                        ; implicit-def: $vgpr72
	s_and_saveexec_b32 s2, vcc_lo
	s_xor_b32 s2, exec_lo, s2
; %bb.65:
	v_bfe_u32 v72, v78, 16, 1
	s_delay_alu instid0(VALU_DEP_1)
	v_add3_u32 v72, v78, v72, 0x7fff
                                        ; implicit-def: $vgpr78
; %bb.66:
	s_and_not1_saveexec_b32 s2, s2
; %bb.67:
	v_and_b32_e32 v72, 0xffff, v78
	v_or_b32_e32 v82, 0x10000, v78
	s_delay_alu instid0(VALU_DEP_2) | instskip(NEXT) | instid1(VALU_DEP_2)
	v_cmp_eq_u32_e32 vcc_lo, 0, v72
	v_cndmask_b32_e32 v72, v82, v78, vcc_lo
; %bb.68:
	s_or_b32 exec_lo, exec_lo, s2
	v_and_b32_e32 v78, 0x7f800000, v79
	s_delay_alu instid0(VALU_DEP_1) | instskip(SKIP_1) | instid1(SALU_CYCLE_1)
	v_cmp_ne_u32_e32 vcc_lo, 0x7f800000, v78
                                        ; implicit-def: $vgpr78
	s_and_saveexec_b32 s2, vcc_lo
	s_xor_b32 s2, exec_lo, s2
; %bb.69:
	v_bfe_u32 v78, v79, 16, 1
	s_delay_alu instid0(VALU_DEP_1)
	v_add3_u32 v78, v79, v78, 0x7fff
                                        ; implicit-def: $vgpr79
; %bb.70:
	s_and_not1_saveexec_b32 s2, s2
; %bb.71:
	v_and_b32_e32 v78, 0xffff, v79
	v_or_b32_e32 v82, 0x10000, v79
	s_delay_alu instid0(VALU_DEP_2) | instskip(NEXT) | instid1(VALU_DEP_2)
	v_cmp_eq_u32_e32 vcc_lo, 0, v78
	v_cndmask_b32_e32 v78, v82, v79, vcc_lo
; %bb.72:
	s_or_b32 exec_lo, exec_lo, s2
	v_and_b32_e32 v79, 0x7f800000, v69
	s_delay_alu instid0(VALU_DEP_1) | instskip(SKIP_1) | instid1(SALU_CYCLE_1)
	v_cmp_ne_u32_e32 vcc_lo, 0x7f800000, v79
                                        ; implicit-def: $vgpr79
	s_and_saveexec_b32 s2, vcc_lo
	s_xor_b32 s2, exec_lo, s2
; %bb.73:
	v_bfe_u32 v79, v69, 16, 1
	s_delay_alu instid0(VALU_DEP_1)
	v_add3_u32 v79, v69, v79, 0x7fff
                                        ; implicit-def: $vgpr69
; %bb.74:
	s_and_not1_saveexec_b32 s2, s2
; %bb.75:
	v_and_b32_e32 v79, 0xffff, v69
	v_or_b32_e32 v82, 0x10000, v69
	s_delay_alu instid0(VALU_DEP_2) | instskip(NEXT) | instid1(VALU_DEP_2)
	v_cmp_eq_u32_e32 vcc_lo, 0, v79
	v_cndmask_b32_e32 v79, v82, v69, vcc_lo
; %bb.76:
	s_or_b32 exec_lo, exec_lo, s2
	s_delay_alu instid0(VALU_DEP_1)
	v_perm_b32 v86, v79, v78, 0x7060302
	v_perm_b32 v85, v72, v81, 0x7060302
	;; [unrolled: 1-line block ×4, first 2 shown]
	v_lshl_or_b32 v82, v65, 11, v76
	v_lshlrev_b32_e32 v79, 2, v74
	ds_store_b128 v77, v[83:86] offset:1024
	s_waitcnt lgkmcnt(0)
	s_barrier
	buffer_gl0_inv
	ds_load_b128 v[68:71], v82
	ds_load_b128 v[83:86], v82 offset:16
	v_or_b32_e32 v80, 1, v79
	v_cmp_eq_u32_e32 vcc_lo, 1, v79
	v_cmp_eq_u32_e64 s3, 2, v79
	v_cmp_eq_u32_e64 s6, 3, v79
	;; [unrolled: 1-line block ×6, first 2 shown]
	v_or_b32_e32 v78, 2, v79
	v_cmp_eq_u32_e64 s9, 5, v79
	v_cmp_eq_u32_e64 s10, 4, v80
	;; [unrolled: 1-line block ×9, first 2 shown]
	s_waitcnt lgkmcnt(1)
	v_lshrrev_b32_e32 v65, 16, v68
	s_waitcnt lgkmcnt(0)
	v_lshrrev_b32_e32 v91, 16, v83
	v_lshrrev_b32_e32 v72, 16, v69
	;; [unrolled: 1-line block ×4, first 2 shown]
	v_cndmask_b32_e32 v81, v68, v65, vcc_lo
	v_cndmask_b32_e32 v87, v83, v91, vcc_lo
	v_cndmask_b32_e64 v88, v68, v65, s2
	v_lshrrev_b32_e32 v98, 16, v85
	v_cndmask_b32_e64 v89, v83, v91, s2
	v_cndmask_b32_e64 v81, v81, v69, s3
	v_cndmask_b32_e64 v87, v87, v84, s3
	v_cndmask_b32_e64 v88, v88, v69, s5
	v_lshrrev_b32_e32 v96, 16, v71
	v_cndmask_b32_e64 v89, v89, v84, s5
	v_cndmask_b32_e64 v81, v81, v72, s6
	v_cndmask_b32_e64 v87, v87, v97, s6
	;; [unrolled: 5-line block ×3, first 2 shown]
	v_cndmask_b32_e64 v88, v88, v70, s10
	v_cndmask_b32_e64 v89, v89, v97, s7
	v_cmp_eq_u32_e64 s18, 3, v78
	v_cndmask_b32_e64 v81, v81, v95, s9
	v_cndmask_b32_e64 v87, v87, v98, s9
	v_cndmask_b32_e64 v88, v88, v95, s12
	v_cndmask_b32_e64 v89, v89, v85, s10
	v_cmp_eq_u32_e64 s19, 4, v78
	v_cndmask_b32_e64 v81, v81, v71, s11
	v_cndmask_b32_e64 v87, v87, v86, s11
	;; [unrolled: 1-line block ×3, first 2 shown]
	v_cmp_eq_u32_e64 s21, 5, v78
	v_cmp_eq_u32_e64 s23, 6, v78
	v_cndmask_b32_e64 v100, v81, v96, s13
	v_cndmask_b32_e64 v101, v87, v99, s13
	;; [unrolled: 1-line block ×6, first 2 shown]
	v_cmp_eq_u32_e64 s26, 7, v78
	v_cndmask_b32_e64 v89, v81, v72, s18
	v_cndmask_b32_e64 v87, v87, v84, s16
	v_or_b32_e32 v81, 3, v79
	v_cndmask_b32_e64 v103, v88, v86, s15
	s_delay_alu instid0(VALU_DEP_4) | instskip(NEXT) | instid1(VALU_DEP_4)
	v_cndmask_b32_e64 v92, v89, v70, s19
	v_cndmask_b32_e64 v93, v87, v97, s18
	s_delay_alu instid0(VALU_DEP_4)
	v_cmp_eq_u32_e64 s20, 1, v81
	ds_load_b128 v[87:90], v82 offset:1024
	v_cmp_eq_u32_e64 s22, 2, v81
	v_cndmask_b32_e64 v104, v92, v95, s21
	v_cmp_eq_u32_e64 s24, 3, v81
	v_cndmask_b32_e64 v65, v68, v65, s20
	v_cndmask_b32_e64 v68, v93, v85, s19
	;; [unrolled: 1-line block ×3, first 2 shown]
	ds_load_b128 v[91:94], v82 offset:1040
	v_cmp_eq_u32_e64 s25, 4, v81
	v_cndmask_b32_e64 v65, v65, v69, s22
	v_cmp_eq_u32_e64 s27, 5, v81
	v_cndmask_b32_e64 v69, v83, v84, s22
	;; [unrolled: 2-line block ×3, first 2 shown]
	v_cndmask_b32_e64 v65, v65, v72, s24
	v_cndmask_b32_e64 v72, v104, v71, s23
	;; [unrolled: 1-line block ×6, first 2 shown]
	s_waitcnt lgkmcnt(1)
	v_lshrrev_b32_e32 v84, 16, v87
	v_cndmask_b32_e64 v69, v69, v85, s25
	v_cndmask_b32_e64 v70, v72, v96, s26
	;; [unrolled: 1-line block ×4, first 2 shown]
	v_cndmask_b32_e32 v72, v87, v84, vcc_lo
	v_cndmask_b32_e64 v69, v69, v98, s27
	s_waitcnt lgkmcnt(0)
	v_lshrrev_b32_e32 v85, 16, v91
	v_lshrrev_b32_e32 v95, 16, v88
	v_cndmask_b32_e64 v97, v87, v84, s2
	v_cndmask_b32_e64 v72, v72, v88, s3
	;; [unrolled: 1-line block ×3, first 2 shown]
	v_cndmask_b32_e32 v98, v91, v85, vcc_lo
	v_cmp_eq_u32_e32 vcc_lo, 7, v81
	v_cndmask_b32_e64 v69, v69, v86, s28
	v_cndmask_b32_e64 v71, v72, v95, s6
	;; [unrolled: 1-line block ×3, first 2 shown]
	v_lshrrev_b32_e32 v97, 16, v92
	v_cndmask_b32_e32 v65, v65, v96, vcc_lo
	v_cndmask_b32_e64 v86, v98, v92, s3
	v_cndmask_b32_e32 v69, v69, v99, vcc_lo
	v_lshrrev_b32_e32 v99, 16, v93
	v_cndmask_b32_e64 v71, v71, v89, s8
	v_lshrrev_b32_e32 v98, 16, v89
	v_cndmask_b32_e64 v86, v86, v97, s6
	v_perm_b32 v70, v68, v70, 0x5040100
	v_cndmask_b32_e64 v72, v72, v95, s7
	s_delay_alu instid0(VALU_DEP_4) | instskip(NEXT) | instid1(VALU_DEP_4)
	v_cndmask_b32_e64 v96, v71, v98, s9
	v_cndmask_b32_e64 v86, v86, v93, s8
	v_perm_b32 v71, v69, v65, 0x5040100
	v_perm_b32 v69, v83, v102, 0x5040100
	v_cndmask_b32_e64 v102, v91, v85, s4
	v_cndmask_b32_e64 v72, v72, v89, s10
	;; [unrolled: 1-line block ×3, first 2 shown]
	v_lshrrev_b32_e32 v83, 16, v94
	s_delay_alu instid0(VALU_DEP_3) | instskip(NEXT) | instid1(VALU_DEP_3)
	v_cndmask_b32_e64 v65, v72, v98, s12
	v_cndmask_b32_e64 v68, v86, v94, s11
	;; [unrolled: 1-line block ×27, first 2 shown]
	v_lshrrev_b32_e32 v96, 16, v90
	v_cndmask_b32_e64 v65, v65, v90, s15
	v_cndmask_b32_e64 v86, v86, v90, s23
	;; [unrolled: 1-line block ×9, first 2 shown]
	v_cndmask_b32_e32 v84, v84, v96, vcc_lo
	v_cndmask_b32_e32 v86, v87, v83, vcc_lo
	v_cndmask_b32_e64 v87, v88, v83, s26
	v_cndmask_b32_e64 v88, v85, v83, s17
	;; [unrolled: 1-line block ×3, first 2 shown]
	v_perm_b32 v68, v101, v100, 0x5040100
	v_perm_b32 v86, v86, v84, 0x5040100
	v_perm_b32 v85, v87, v89, 0x5040100
	v_perm_b32 v84, v88, v65, 0x5040100
	v_perm_b32 v83, v83, v72, 0x5040100
	s_lshl_b32 s7, s35, 4
	s_mov_b32 s2, exec_lo
	ds_store_b128 v77, v[68:71]
	ds_store_b128 v77, v[83:86] offset:1024
	v_cmpx_gt_u32_e32 16, v0
	s_cbranch_execz .LBB1621_78
; %bb.77:
	v_or_b32_e32 v65, s29, v0
	s_load_b128 s[8:11], s[0:1], 0x58
	s_delay_alu instid0(VALU_DEP_1) | instskip(NEXT) | instid1(VALU_DEP_1)
	v_mad_u64_u32 v[68:69], null, s7, s30, v[65:66]
	v_mad_u64_u32 v[69:70], null, v68, s34, s[14:15]
	s_delay_alu instid0(VALU_DEP_1) | instskip(NEXT) | instid1(VALU_DEP_1)
	v_ashrrev_i32_e32 v70, 31, v69
	v_lshlrev_b64 v[68:69], 2, v[69:70]
	s_waitcnt lgkmcnt(0)
	s_delay_alu instid0(VALU_DEP_1) | instskip(NEXT) | instid1(VALU_DEP_2)
	v_add_co_u32 v70, vcc_lo, s10, v68
	v_add_co_ci_u32_e32 v71, vcc_lo, s11, v69, vcc_lo
	v_add_co_u32 v68, vcc_lo, s8, v68
	v_add_co_ci_u32_e32 v69, vcc_lo, s9, v69, vcc_lo
	global_store_b32 v[70:71], v66, off
	global_store_b32 v[68:69], v67, off
.LBB1621_78:
	s_or_b32 exec_lo, exec_lo, s2
	s_waitcnt lgkmcnt(0)
	s_waitcnt_vscnt null, 0x0
	s_barrier
	buffer_gl0_inv
	ds_load_b128 v[83:86], v76
	ds_load_b128 v[87:90], v76 offset:16
	ds_load_b128 v[95:98], v76 offset:2064
	;; [unrolled: 1-line block ×3, first 2 shown]
	v_mov_b32_e32 v65, 0
	ds_load_b128 v[103:106], v76 offset:4112
	ds_load_b128 v[99:102], v76 offset:4096
	ds_load_b128 v[111:114], v76 offset:6160
	ds_load_b128 v[107:110], v76 offset:6144
	v_mov_b32_e32 v66, v65
	v_mov_b32_e32 v67, v65
	;; [unrolled: 1-line block ×7, first 2 shown]
	s_waitcnt lgkmcnt(6)
	s_delay_alu instid0(VALU_DEP_1)
	v_wmma_f32_16x16x16_bf16 v[65:72], v[49:56], v[83:90], v[65:72]
	ds_load_b128 v[53:56], v76 offset:8208
	ds_load_b128 v[49:52], v76 offset:8192
	s_waitcnt lgkmcnt(6)
	v_wmma_f32_16x16x16_bf16 v[65:72], v[41:48], v[91:98], v[65:72]
	ds_load_b128 v[45:48], v76 offset:10256
	ds_load_b128 v[41:44], v76 offset:10240
	s_waitcnt lgkmcnt(6)
	;; [unrolled: 4-line block ×4, first 2 shown]
	v_wmma_f32_16x16x16_bf16 v[65:72], v[1:8], v[49:56], v[65:72]
	s_waitcnt lgkmcnt(4)
	s_delay_alu instid0(VALU_DEP_1) | instskip(SKIP_1) | instid1(VALU_DEP_1)
	v_wmma_f32_16x16x16_bf16 v[65:72], v[9:16], v[41:48], v[65:72]
	s_waitcnt lgkmcnt(2)
	v_wmma_f32_16x16x16_bf16 v[65:72], v[17:24], v[33:40], v[65:72]
	s_waitcnt lgkmcnt(0)
	s_delay_alu instid0(VALU_DEP_1) | instskip(NEXT) | instid1(VALU_DEP_1)
	v_wmma_f32_16x16x16_bf16 v[65:72], v[57:64], v[25:32], v[65:72]
	v_and_b32_e32 v1, 0x7f800000, v65
	s_delay_alu instid0(VALU_DEP_1) | instskip(SKIP_1) | instid1(SALU_CYCLE_1)
	v_cmp_ne_u32_e32 vcc_lo, 0x7f800000, v1
                                        ; implicit-def: $vgpr1
	s_and_saveexec_b32 s2, vcc_lo
	s_xor_b32 s2, exec_lo, s2
; %bb.79:
	v_bfe_u32 v1, v65, 16, 1
	s_delay_alu instid0(VALU_DEP_1)
	v_add3_u32 v1, v65, v1, 0x7fff
; %bb.80:
	s_and_not1_saveexec_b32 s2, s2
; %bb.81:
	v_and_b32_e32 v1, 0xffff, v65
	v_or_b32_e32 v2, 0x10000, v65
	s_delay_alu instid0(VALU_DEP_2) | instskip(NEXT) | instid1(VALU_DEP_2)
	v_cmp_eq_u32_e32 vcc_lo, 0, v1
	v_cndmask_b32_e32 v1, v2, v65, vcc_lo
; %bb.82:
	s_or_b32 exec_lo, exec_lo, s2
	v_and_b32_e32 v2, 0x7f800000, v66
	s_delay_alu instid0(VALU_DEP_1) | instskip(SKIP_1) | instid1(SALU_CYCLE_1)
	v_cmp_ne_u32_e32 vcc_lo, 0x7f800000, v2
                                        ; implicit-def: $vgpr2
	s_and_saveexec_b32 s2, vcc_lo
	s_xor_b32 s2, exec_lo, s2
; %bb.83:
	v_bfe_u32 v2, v66, 16, 1
	s_delay_alu instid0(VALU_DEP_1)
	v_add3_u32 v2, v66, v2, 0x7fff
; %bb.84:
	s_and_not1_saveexec_b32 s2, s2
; %bb.85:
	v_and_b32_e32 v2, 0xffff, v66
	v_or_b32_e32 v3, 0x10000, v66
	s_delay_alu instid0(VALU_DEP_2) | instskip(NEXT) | instid1(VALU_DEP_2)
	v_cmp_eq_u32_e32 vcc_lo, 0, v2
	v_cndmask_b32_e32 v2, v3, v66, vcc_lo
; %bb.86:
	s_or_b32 exec_lo, exec_lo, s2
	v_and_b32_e32 v3, 0x7f800000, v67
	s_delay_alu instid0(VALU_DEP_1) | instskip(SKIP_1) | instid1(SALU_CYCLE_1)
	v_cmp_ne_u32_e32 vcc_lo, 0x7f800000, v3
                                        ; implicit-def: $vgpr3
	s_and_saveexec_b32 s2, vcc_lo
	s_xor_b32 s2, exec_lo, s2
; %bb.87:
	v_bfe_u32 v3, v67, 16, 1
	s_delay_alu instid0(VALU_DEP_1)
	v_add3_u32 v3, v67, v3, 0x7fff
; %bb.88:
	s_and_not1_saveexec_b32 s2, s2
; %bb.89:
	v_and_b32_e32 v3, 0xffff, v67
	v_or_b32_e32 v4, 0x10000, v67
	s_delay_alu instid0(VALU_DEP_2) | instskip(NEXT) | instid1(VALU_DEP_2)
	v_cmp_eq_u32_e32 vcc_lo, 0, v3
	v_cndmask_b32_e32 v3, v4, v67, vcc_lo
; %bb.90:
	s_or_b32 exec_lo, exec_lo, s2
	v_and_b32_e32 v4, 0x7f800000, v68
	s_delay_alu instid0(VALU_DEP_1) | instskip(SKIP_1) | instid1(SALU_CYCLE_1)
	v_cmp_ne_u32_e32 vcc_lo, 0x7f800000, v4
                                        ; implicit-def: $vgpr4
	s_and_saveexec_b32 s2, vcc_lo
	s_xor_b32 s2, exec_lo, s2
; %bb.91:
	v_bfe_u32 v4, v68, 16, 1
	s_delay_alu instid0(VALU_DEP_1)
	v_add3_u32 v4, v68, v4, 0x7fff
; %bb.92:
	s_and_not1_saveexec_b32 s2, s2
; %bb.93:
	v_and_b32_e32 v4, 0xffff, v68
	v_or_b32_e32 v5, 0x10000, v68
	s_delay_alu instid0(VALU_DEP_2) | instskip(NEXT) | instid1(VALU_DEP_2)
	v_cmp_eq_u32_e32 vcc_lo, 0, v4
	v_cndmask_b32_e32 v4, v5, v68, vcc_lo
; %bb.94:
	s_or_b32 exec_lo, exec_lo, s2
	v_and_b32_e32 v5, 0x7f800000, v69
	s_delay_alu instid0(VALU_DEP_1) | instskip(SKIP_1) | instid1(SALU_CYCLE_1)
	v_cmp_ne_u32_e32 vcc_lo, 0x7f800000, v5
                                        ; implicit-def: $vgpr5
	s_and_saveexec_b32 s2, vcc_lo
	s_xor_b32 s2, exec_lo, s2
; %bb.95:
	v_bfe_u32 v5, v69, 16, 1
	s_delay_alu instid0(VALU_DEP_1)
	v_add3_u32 v5, v69, v5, 0x7fff
; %bb.96:
	s_and_not1_saveexec_b32 s2, s2
; %bb.97:
	v_and_b32_e32 v5, 0xffff, v69
	v_or_b32_e32 v6, 0x10000, v69
	s_delay_alu instid0(VALU_DEP_2) | instskip(NEXT) | instid1(VALU_DEP_2)
	v_cmp_eq_u32_e32 vcc_lo, 0, v5
	v_cndmask_b32_e32 v5, v6, v69, vcc_lo
; %bb.98:
	s_or_b32 exec_lo, exec_lo, s2
	v_and_b32_e32 v6, 0x7f800000, v70
	s_delay_alu instid0(VALU_DEP_1) | instskip(SKIP_1) | instid1(SALU_CYCLE_1)
	v_cmp_ne_u32_e32 vcc_lo, 0x7f800000, v6
                                        ; implicit-def: $vgpr6
	s_and_saveexec_b32 s2, vcc_lo
	s_xor_b32 s2, exec_lo, s2
; %bb.99:
	v_bfe_u32 v6, v70, 16, 1
	s_delay_alu instid0(VALU_DEP_1)
	v_add3_u32 v6, v70, v6, 0x7fff
; %bb.100:
	s_and_not1_saveexec_b32 s2, s2
; %bb.101:
	v_and_b32_e32 v6, 0xffff, v70
	v_or_b32_e32 v7, 0x10000, v70
	s_delay_alu instid0(VALU_DEP_2) | instskip(NEXT) | instid1(VALU_DEP_2)
	v_cmp_eq_u32_e32 vcc_lo, 0, v6
	v_cndmask_b32_e32 v6, v7, v70, vcc_lo
; %bb.102:
	s_or_b32 exec_lo, exec_lo, s2
	v_and_b32_e32 v7, 0x7f800000, v71
	s_delay_alu instid0(VALU_DEP_1) | instskip(SKIP_1) | instid1(SALU_CYCLE_1)
	v_cmp_ne_u32_e32 vcc_lo, 0x7f800000, v7
                                        ; implicit-def: $vgpr7
	s_and_saveexec_b32 s2, vcc_lo
	s_xor_b32 s2, exec_lo, s2
; %bb.103:
	v_bfe_u32 v7, v71, 16, 1
	s_delay_alu instid0(VALU_DEP_1)
	v_add3_u32 v7, v71, v7, 0x7fff
; %bb.104:
	s_and_not1_saveexec_b32 s2, s2
; %bb.105:
	v_and_b32_e32 v7, 0xffff, v71
	v_or_b32_e32 v8, 0x10000, v71
	s_delay_alu instid0(VALU_DEP_2) | instskip(NEXT) | instid1(VALU_DEP_2)
	v_cmp_eq_u32_e32 vcc_lo, 0, v7
	v_cndmask_b32_e32 v7, v8, v71, vcc_lo
; %bb.106:
	s_or_b32 exec_lo, exec_lo, s2
	v_and_b32_e32 v8, 0x7f800000, v72
	s_delay_alu instid0(VALU_DEP_1) | instskip(SKIP_1) | instid1(SALU_CYCLE_1)
	v_cmp_ne_u32_e32 vcc_lo, 0x7f800000, v8
                                        ; implicit-def: $vgpr8
	s_and_saveexec_b32 s2, vcc_lo
	s_xor_b32 s2, exec_lo, s2
; %bb.107:
	v_bfe_u32 v8, v72, 16, 1
	s_delay_alu instid0(VALU_DEP_1)
	v_add3_u32 v8, v72, v8, 0x7fff
                                        ; implicit-def: $vgpr65_vgpr66_vgpr67_vgpr68_vgpr69_vgpr70_vgpr71_vgpr72
; %bb.108:
	s_and_not1_saveexec_b32 s2, s2
; %bb.109:
	v_and_b32_e32 v8, 0xffff, v72
	v_or_b32_e32 v9, 0x10000, v72
	s_delay_alu instid0(VALU_DEP_2) | instskip(NEXT) | instid1(VALU_DEP_2)
	v_cmp_eq_u32_e32 vcc_lo, 0, v8
	v_cndmask_b32_e32 v8, v9, v72, vcc_lo
; %bb.110:
	s_or_b32 exec_lo, exec_lo, s2
	s_delay_alu instid0(VALU_DEP_1)
	v_perm_b32 v7, v8, v7, 0x7060302
	v_perm_b32 v6, v6, v5, 0x7060302
	;; [unrolled: 1-line block ×4, first 2 shown]
	s_barrier
	buffer_gl0_inv
	v_cmp_eq_u32_e32 vcc_lo, 1, v79
	ds_store_b128 v77, v[4:7]
	s_waitcnt lgkmcnt(0)
	s_barrier
	buffer_gl0_inv
	ds_load_b128 v[1:4], v82
	ds_load_b128 v[5:8], v82 offset:16
	v_cmp_eq_u32_e64 s2, 1, v80
	v_cmp_eq_u32_e64 s3, 2, v79
	;; [unrolled: 1-line block ×5, first 2 shown]
	s_waitcnt lgkmcnt(1)
	v_lshrrev_b32_e32 v9, 16, v1
	s_waitcnt lgkmcnt(0)
	v_lshrrev_b32_e32 v13, 16, v5
	v_lshrrev_b32_e32 v10, 16, v2
	v_lshrrev_b32_e32 v14, 16, v6
	v_lshrrev_b32_e32 v11, 16, v3
	v_cndmask_b32_e64 v19, v1, v9, s2
	v_cndmask_b32_e32 v18, v5, v13, vcc_lo
	v_cndmask_b32_e64 v20, v5, v13, s2
	v_cndmask_b32_e32 v17, v1, v9, vcc_lo
	v_cmp_eq_u32_e32 vcc_lo, 2, v80
	v_lshrrev_b32_e32 v15, 16, v7
	v_cmp_eq_u32_e64 s2, 1, v78
	v_lshrrev_b32_e32 v12, 16, v4
	v_lshrrev_b32_e32 v16, 16, v8
	v_cndmask_b32_e32 v20, v20, v6, vcc_lo
	v_cndmask_b32_e64 v17, v17, v2, s3
	v_cndmask_b32_e32 v19, v19, v2, vcc_lo
	v_cndmask_b32_e64 v18, v18, v6, s3
	v_cmp_eq_u32_e32 vcc_lo, 4, v79
	v_cmp_eq_u32_e64 s3, 3, v80
	v_cndmask_b32_e64 v17, v17, v10, s4
	v_cndmask_b32_e64 v21, v1, v9, s2
	;; [unrolled: 1-line block ×5, first 2 shown]
	v_cndmask_b32_e32 v17, v17, v3, vcc_lo
	v_cndmask_b32_e64 v20, v20, v14, s3
	v_cndmask_b32_e32 v18, v18, v7, vcc_lo
	v_cmp_eq_u32_e32 vcc_lo, 4, v80
	v_cmp_eq_u32_e64 s3, 5, v80
	v_cmp_eq_u32_e64 s2, 2, v81
	v_cndmask_b32_e64 v21, v21, v2, s6
	v_cmp_eq_u32_e64 s4, 5, v79
	v_cndmask_b32_e32 v19, v19, v3, vcc_lo
	v_cndmask_b32_e32 v20, v20, v7, vcc_lo
	v_cmp_eq_u32_e32 vcc_lo, 6, v80
	s_delay_alu instid0(VALU_DEP_4) | instskip(NEXT) | instid1(VALU_DEP_4)
	v_cndmask_b32_e64 v17, v17, v11, s4
	v_cndmask_b32_e64 v19, v19, v11, s3
	s_delay_alu instid0(VALU_DEP_4) | instskip(SKIP_1) | instid1(VALU_DEP_3)
	v_cndmask_b32_e64 v20, v20, v15, s3
	v_cmp_eq_u32_e64 s3, 1, v81
	v_cndmask_b32_e32 v19, v19, v4, vcc_lo
	v_cndmask_b32_e64 v18, v18, v15, s4
	s_delay_alu instid0(VALU_DEP_3)
	v_cndmask_b32_e64 v1, v1, v9, s3
	v_cndmask_b32_e64 v5, v5, v13, s3
	v_cmp_eq_u32_e64 s3, 3, v78
	v_cndmask_b32_e64 v13, v22, v6, s6
	v_cmp_eq_u32_e64 s6, 3, v81
	v_cndmask_b32_e64 v1, v1, v2, s2
	v_cndmask_b32_e64 v2, v5, v6, s2
	;; [unrolled: 1-line block ×3, first 2 shown]
	v_cmp_eq_u32_e64 s2, 4, v78
	v_cndmask_b32_e64 v6, v13, v14, s3
	v_cndmask_b32_e64 v1, v1, v10, s6
	v_cmp_eq_u32_e64 s3, 4, v81
	v_cndmask_b32_e64 v2, v2, v14, s6
	v_cndmask_b32_e64 v5, v9, v3, s2
	;; [unrolled: 3-line block ×3, first 2 shown]
	v_cndmask_b32_e64 v2, v2, v7, s3
	v_cmp_eq_u32_e64 s2, 5, v81
	v_cmp_eq_u32_e64 s4, 6, v79
	v_cndmask_b32_e64 v5, v5, v11, s6
	v_cmp_eq_u32_e64 s3, 6, v78
	v_cndmask_b32_e64 v3, v6, v15, s6
	v_cndmask_b32_e64 v1, v1, v11, s2
	v_cmp_eq_u32_e64 s6, 6, v81
	v_cndmask_b32_e64 v2, v2, v15, s2
	v_cndmask_b32_e64 v17, v17, v4, s4
	v_cndmask_b32_e64 v18, v18, v8, s4
	v_cmp_eq_u32_e64 s4, 7, v79
	v_cndmask_b32_e64 v5, v5, v4, s3
	;; [unrolled: 4-line block ×3, first 2 shown]
	v_cmp_eq_u32_e64 s3, 7, v78
	v_cndmask_b32_e32 v4, v20, v8, vcc_lo
	v_cndmask_b32_e64 v17, v17, v12, s4
	v_cndmask_b32_e64 v19, v19, v12, s5
	;; [unrolled: 1-line block ×8, first 2 shown]
	s_mov_b32 s2, exec_lo
	v_perm_b32 v4, v2, v1, 0x5040100
	v_perm_b32 v3, v3, v5, 0x5040100
	;; [unrolled: 1-line block ×4, first 2 shown]
	ds_store_b128 v77, v[1:4]
	s_waitcnt lgkmcnt(0)
	s_barrier
	buffer_gl0_inv
	v_cmpx_gt_u32_e32 32, v0
	s_cbranch_execz .LBB1621_2
; %bb.111:
	s_load_b64 s[0:1], s[0:1], 0x68
	v_lshlrev_b32_e32 v0, 10, v0
	s_lshl_b32 s4, s34, 7
	v_or_b32_e32 v23, s29, v74
	s_mul_i32 s2, s4, s30
	v_lshlrev_b32_e32 v1, 4, v75
	v_lshlrev_b32_e32 v2, 6, v74
	s_mul_i32 s2, s2, s7
	v_and_b32_e32 v0, 0x3800, v0
	v_mul_lo_u32 v8, v23, s4
	s_ashr_i32 s3, s2, 31
	v_or_b32_e32 v3, 2, v23
	s_lshl_b64 s[2:3], s[2:3], 1
	v_or3_b32 v27, v0, v1, v2
	v_or_b32_e32 v11, 4, v23
	v_or_b32_e32 v18, 6, v23
	v_mul_lo_u32 v10, v3, s4
	v_ashrrev_i32_e32 v9, 31, v8
	ds_load_b128 v[0:3], v27
	ds_load_b128 v[4:7], v27 offset:128
	v_mul_lo_u32 v12, v11, s4
	s_waitcnt lgkmcnt(0)
	s_add_u32 s2, s0, s2
	s_addc_u32 s3, s1, s3
	s_lshl_b32 s0, s14, 7
	v_lshlrev_b64 v[8:9], 1, v[8:9]
	s_ashr_i32 s1, s0, 31
	v_ashrrev_i32_e32 v11, 31, v10
	s_lshl_b64 s[0:1], s[0:1], 1
	v_ashrrev_i32_e32 v13, 31, v12
	s_add_u32 s0, s2, s0
	s_addc_u32 s1, s3, s1
	v_add_co_u32 v30, s0, s0, v73
	s_delay_alu instid0(VALU_DEP_1) | instskip(SKIP_1) | instid1(VALU_DEP_3)
	v_add_co_ci_u32_e64 v31, null, s1, 0, s0
	v_lshlrev_b64 v[16:17], 1, v[10:11]
	v_add_co_u32 v14, vcc_lo, v30, v8
	s_delay_alu instid0(VALU_DEP_3)
	v_add_co_ci_u32_e32 v15, vcc_lo, v31, v9, vcc_lo
	ds_load_b128 v[8:11], v27 offset:256
	v_mul_lo_u32 v18, v18, s4
	v_or_b32_e32 v19, 8, v23
	v_add_co_u32 v16, vcc_lo, v30, v16
	global_store_b128 v[14:15], v[0:3], off
	v_lshlrev_b64 v[0:1], 1, v[12:13]
	v_add_co_ci_u32_e32 v17, vcc_lo, v31, v17, vcc_lo
	v_mul_lo_u32 v12, v19, s4
	v_ashrrev_i32_e32 v19, 31, v18
	v_or_b32_e32 v14, 10, v23
	global_store_b128 v[16:17], v[4:7], off
	v_add_co_u32 v4, vcc_lo, v30, v0
	v_add_co_ci_u32_e32 v5, vcc_lo, v31, v1, vcc_lo
	ds_load_b128 v[0:3], v27 offset:384
	v_ashrrev_i32_e32 v13, 31, v12
	v_lshlrev_b64 v[6:7], 1, v[18:19]
	v_mul_lo_u32 v14, v14, s4
	s_waitcnt lgkmcnt(1)
	global_store_b128 v[4:5], v[8:11], off
	v_or_b32_e32 v8, 12, v23
	v_lshlrev_b64 v[4:5], 1, v[12:13]
	v_add_co_u32 v20, vcc_lo, v30, v6
	v_or_b32_e32 v6, 14, v23
	v_ashrrev_i32_e32 v15, 31, v14
	v_mul_lo_u32 v22, v8, s4
	v_add_co_ci_u32_e32 v21, vcc_lo, v31, v7, vcc_lo
	v_add_co_u32 v24, vcc_lo, v30, v4
	v_mul_lo_u32 v26, v6, s4
	v_add_co_ci_u32_e32 v25, vcc_lo, v31, v5, vcc_lo
	v_lshlrev_b64 v[28:29], 1, v[14:15]
	ds_load_b128 v[4:7], v27 offset:512
	ds_load_b128 v[8:11], v27 offset:640
	;; [unrolled: 1-line block ×4, first 2 shown]
	v_ashrrev_i32_e32 v23, 31, v22
	v_ashrrev_i32_e32 v27, 31, v26
	v_add_co_u32 v28, vcc_lo, v30, v28
	s_delay_alu instid0(VALU_DEP_3) | instskip(SKIP_1) | instid1(VALU_DEP_4)
	v_lshlrev_b64 v[22:23], 1, v[22:23]
	v_add_co_ci_u32_e32 v29, vcc_lo, v31, v29, vcc_lo
	v_lshlrev_b64 v[26:27], 1, v[26:27]
	s_delay_alu instid0(VALU_DEP_3) | instskip(NEXT) | instid1(VALU_DEP_4)
	v_add_co_u32 v22, vcc_lo, v30, v22
	v_add_co_ci_u32_e32 v23, vcc_lo, v31, v23, vcc_lo
	s_delay_alu instid0(VALU_DEP_3) | instskip(NEXT) | instid1(VALU_DEP_4)
	v_add_co_u32 v26, vcc_lo, v30, v26
	v_add_co_ci_u32_e32 v27, vcc_lo, v31, v27, vcc_lo
	s_waitcnt lgkmcnt(4)
	global_store_b128 v[20:21], v[0:3], off
	s_waitcnt lgkmcnt(3)
	global_store_b128 v[24:25], v[4:7], off
	;; [unrolled: 2-line block ×5, first 2 shown]
	s_nop 0
	s_sendmsg sendmsg(MSG_DEALLOC_VGPRS)
	s_endpgm
	.section	.rodata,"a",@progbits
	.p2align	6, 0x0
	.amdhsa_kernel _Z39paged_attention_ll4mi_QKV_mfma16_kernelI14__hip_bfloat16hLN4vllm18Fp8KVCacheDataTypeE1EhLi32ELi128ELi256ELb0ELi16EL8MFMAType1EEvPKT_PKT0_S9_ifPKiSB_SB_iPKfiiiPfSE_PS4_PT2_iSD_SD_
		.amdhsa_group_segment_fixed_size 17472
		.amdhsa_private_segment_fixed_size 0
		.amdhsa_kernarg_size 400
		.amdhsa_user_sgpr_count 13
		.amdhsa_user_sgpr_dispatch_ptr 0
		.amdhsa_user_sgpr_queue_ptr 0
		.amdhsa_user_sgpr_kernarg_segment_ptr 1
		.amdhsa_user_sgpr_dispatch_id 0
		.amdhsa_user_sgpr_private_segment_size 0
		.amdhsa_wavefront_size32 1
		.amdhsa_uses_dynamic_stack 0
		.amdhsa_enable_private_segment 0
		.amdhsa_system_sgpr_workgroup_id_x 1
		.amdhsa_system_sgpr_workgroup_id_y 1
		.amdhsa_system_sgpr_workgroup_id_z 1
		.amdhsa_system_sgpr_workgroup_info 0
		.amdhsa_system_vgpr_workitem_id 0
		.amdhsa_next_free_vgpr 141
		.amdhsa_next_free_sgpr 36
		.amdhsa_reserve_vcc 1
		.amdhsa_float_round_mode_32 0
		.amdhsa_float_round_mode_16_64 0
		.amdhsa_float_denorm_mode_32 3
		.amdhsa_float_denorm_mode_16_64 3
		.amdhsa_dx10_clamp 1
		.amdhsa_ieee_mode 1
		.amdhsa_fp16_overflow 0
		.amdhsa_workgroup_processor_mode 1
		.amdhsa_memory_ordered 1
		.amdhsa_forward_progress 0
		.amdhsa_shared_vgpr_count 0
		.amdhsa_exception_fp_ieee_invalid_op 0
		.amdhsa_exception_fp_denorm_src 0
		.amdhsa_exception_fp_ieee_div_zero 0
		.amdhsa_exception_fp_ieee_overflow 0
		.amdhsa_exception_fp_ieee_underflow 0
		.amdhsa_exception_fp_ieee_inexact 0
		.amdhsa_exception_int_div_zero 0
	.end_amdhsa_kernel
	.section	.text._Z39paged_attention_ll4mi_QKV_mfma16_kernelI14__hip_bfloat16hLN4vllm18Fp8KVCacheDataTypeE1EhLi32ELi128ELi256ELb0ELi16EL8MFMAType1EEvPKT_PKT0_S9_ifPKiSB_SB_iPKfiiiPfSE_PS4_PT2_iSD_SD_,"axG",@progbits,_Z39paged_attention_ll4mi_QKV_mfma16_kernelI14__hip_bfloat16hLN4vllm18Fp8KVCacheDataTypeE1EhLi32ELi128ELi256ELb0ELi16EL8MFMAType1EEvPKT_PKT0_S9_ifPKiSB_SB_iPKfiiiPfSE_PS4_PT2_iSD_SD_,comdat
.Lfunc_end1621:
	.size	_Z39paged_attention_ll4mi_QKV_mfma16_kernelI14__hip_bfloat16hLN4vllm18Fp8KVCacheDataTypeE1EhLi32ELi128ELi256ELb0ELi16EL8MFMAType1EEvPKT_PKT0_S9_ifPKiSB_SB_iPKfiiiPfSE_PS4_PT2_iSD_SD_, .Lfunc_end1621-_Z39paged_attention_ll4mi_QKV_mfma16_kernelI14__hip_bfloat16hLN4vllm18Fp8KVCacheDataTypeE1EhLi32ELi128ELi256ELb0ELi16EL8MFMAType1EEvPKT_PKT0_S9_ifPKiSB_SB_iPKfiiiPfSE_PS4_PT2_iSD_SD_
                                        ; -- End function
	.section	.AMDGPU.csdata,"",@progbits
; Kernel info:
; codeLenInByte = 9048
; NumSgprs: 38
; NumVgprs: 141
; ScratchSize: 0
; MemoryBound: 0
; FloatMode: 240
; IeeeMode: 1
; LDSByteSize: 17472 bytes/workgroup (compile time only)
; SGPRBlocks: 4
; VGPRBlocks: 17
; NumSGPRsForWavesPerEU: 38
; NumVGPRsForWavesPerEU: 141
; Occupancy: 10
; WaveLimiterHint : 1
; COMPUTE_PGM_RSRC2:SCRATCH_EN: 0
; COMPUTE_PGM_RSRC2:USER_SGPR: 13
; COMPUTE_PGM_RSRC2:TRAP_HANDLER: 0
; COMPUTE_PGM_RSRC2:TGID_X_EN: 1
; COMPUTE_PGM_RSRC2:TGID_Y_EN: 1
; COMPUTE_PGM_RSRC2:TGID_Z_EN: 1
; COMPUTE_PGM_RSRC2:TIDIG_COMP_CNT: 0
	.section	.text._Z39paged_attention_ll4mi_QKV_mfma16_kernelI14__hip_bfloat16hLN4vllm18Fp8KVCacheDataTypeE1EhLi32ELi128ELi256ELb0ELi1EL8MFMAType1EEvPKT_PKT0_S9_ifPKiSB_SB_iPKfiiiPfSE_PS4_PT2_iSD_SD_,"axG",@progbits,_Z39paged_attention_ll4mi_QKV_mfma16_kernelI14__hip_bfloat16hLN4vllm18Fp8KVCacheDataTypeE1EhLi32ELi128ELi256ELb0ELi1EL8MFMAType1EEvPKT_PKT0_S9_ifPKiSB_SB_iPKfiiiPfSE_PS4_PT2_iSD_SD_,comdat
	.protected	_Z39paged_attention_ll4mi_QKV_mfma16_kernelI14__hip_bfloat16hLN4vllm18Fp8KVCacheDataTypeE1EhLi32ELi128ELi256ELb0ELi1EL8MFMAType1EEvPKT_PKT0_S9_ifPKiSB_SB_iPKfiiiPfSE_PS4_PT2_iSD_SD_ ; -- Begin function _Z39paged_attention_ll4mi_QKV_mfma16_kernelI14__hip_bfloat16hLN4vllm18Fp8KVCacheDataTypeE1EhLi32ELi128ELi256ELb0ELi1EL8MFMAType1EEvPKT_PKT0_S9_ifPKiSB_SB_iPKfiiiPfSE_PS4_PT2_iSD_SD_
	.globl	_Z39paged_attention_ll4mi_QKV_mfma16_kernelI14__hip_bfloat16hLN4vllm18Fp8KVCacheDataTypeE1EhLi32ELi128ELi256ELb0ELi1EL8MFMAType1EEvPKT_PKT0_S9_ifPKiSB_SB_iPKfiiiPfSE_PS4_PT2_iSD_SD_
	.p2align	8
	.type	_Z39paged_attention_ll4mi_QKV_mfma16_kernelI14__hip_bfloat16hLN4vllm18Fp8KVCacheDataTypeE1EhLi32ELi128ELi256ELb0ELi1EL8MFMAType1EEvPKT_PKT0_S9_ifPKiSB_SB_iPKfiiiPfSE_PS4_PT2_iSD_SD_,@function
_Z39paged_attention_ll4mi_QKV_mfma16_kernelI14__hip_bfloat16hLN4vllm18Fp8KVCacheDataTypeE1EhLi32ELi128ELi256ELb0ELi1EL8MFMAType1EEvPKT_PKT0_S9_ifPKiSB_SB_iPKfiiiPfSE_PS4_PT2_iSD_SD_: ; @_Z39paged_attention_ll4mi_QKV_mfma16_kernelI14__hip_bfloat16hLN4vllm18Fp8KVCacheDataTypeE1EhLi32ELi128ELi256ELb0ELi1EL8MFMAType1EEvPKT_PKT0_S9_ifPKiSB_SB_iPKfiiiPfSE_PS4_PT2_iSD_SD_
; %bb.0:
	s_load_b64 s[4:5], s[0:1], 0x30
	s_mov_b32 s34, s13
	s_waitcnt lgkmcnt(0)
	s_cmp_lg_u64 s[4:5], 0
	s_cselect_b32 s6, -1, 0
	s_ashr_i32 s35, s13, 31
	s_cmp_eq_u64 s[4:5], 0
	s_cbranch_scc1 .LBB1622_3
; %bb.1:
	s_lshl_b64 s[2:3], s[34:35], 2
	s_delay_alu instid0(SALU_CYCLE_1) | instskip(SKIP_4) | instid1(SALU_CYCLE_1)
	s_add_u32 s2, s4, s2
	s_addc_u32 s3, s5, s3
	s_load_b64 s[2:3], s[2:3], 0x0
	s_waitcnt lgkmcnt(0)
	s_sub_i32 s2, s3, s2
	s_cmp_eq_u32 s2, 1
	s_cselect_b32 s2, -1, 0
	s_delay_alu instid0(SALU_CYCLE_1)
	s_and_not1_b32 vcc_lo, exec_lo, s2
	s_cbranch_vccz .LBB1622_4
.LBB1622_2:
	s_endpgm
.LBB1622_3:
.LBB1622_4:
	s_load_b64 s[2:3], s[0:1], 0x28
	s_lshl_b64 s[8:9], s[34:35], 2
	s_waitcnt lgkmcnt(0)
	s_add_u32 s2, s2, s8
	s_addc_u32 s3, s3, s9
	s_lshl_b32 s12, s14, 8
	s_load_b32 s33, s[2:3], 0x0
	s_waitcnt lgkmcnt(0)
	s_cmp_ge_i32 s12, s33
	s_cbranch_scc1 .LBB1622_2
; %bb.5:
	s_clause 0x1
	s_load_b128 s[56:59], s[0:1], 0x8
	s_load_b64 s[2:3], s[0:1], 0x20
	s_and_not1_b32 vcc_lo, exec_lo, s6
	s_mov_b64 s[6:7], s[34:35]
	s_cbranch_vccnz .LBB1622_7
; %bb.6:
	s_add_u32 s4, s4, s8
	s_addc_u32 s5, s5, s9
	s_load_b32 s6, s[4:5], 0x0
.LBB1622_7:
	s_load_b128 s[52:55], s[0:1], 0x48
	v_and_b32_e32 v65, 15, v0
	s_mov_b32 s13, exec_lo
                                        ; implicit-def: $sgpr36
                                        ; implicit-def: $sgpr24
                                        ; implicit-def: $sgpr16
                                        ; implicit-def: $sgpr4
	s_delay_alu instid0(VALU_DEP_1)
	v_cmpx_eq_u32_e32 0, v65
	s_cbranch_execz .LBB1622_9
; %bb.8:
	s_load_b64 s[4:5], s[0:1], 0x0
	s_waitcnt lgkmcnt(0)
	s_mul_hi_i32 s7, s6, s52
	s_mul_i32 s6, s6, s52
	s_delay_alu instid0(SALU_CYCLE_1) | instskip(NEXT) | instid1(SALU_CYCLE_1)
	s_lshl_b64 s[6:7], s[6:7], 1
	s_add_u32 s6, s4, s6
	s_addc_u32 s7, s5, s7
	s_lshl_b32 s4, s15, 7
	s_delay_alu instid0(SALU_CYCLE_1) | instskip(NEXT) | instid1(SALU_CYCLE_1)
	s_ashr_i32 s5, s4, 31
	s_lshl_b64 s[4:5], s[4:5], 1
	s_delay_alu instid0(SALU_CYCLE_1)
	s_add_u32 s4, s6, s4
	s_addc_u32 s5, s7, s5
	s_clause 0x3
	s_load_b256 s[36:43], s[4:5], 0x0
	s_load_b256 s[24:31], s[4:5], 0x40
	;; [unrolled: 1-line block ×4, first 2 shown]
.LBB1622_9:
	s_or_b32 exec_lo, exec_lo, s13
	v_and_b32_e32 v1, 0xef, v0
	s_add_i32 s13, s33, 31
	s_load_b32 s44, s[0:1], 0x38
	s_ashr_i32 s35, s13, 31
	s_waitcnt lgkmcnt(0)
	s_mul_i32 s62, s15, s54
	v_add_nc_u32_e32 v1, s12, v1
	s_lshr_b32 s35, s35, 27
	v_lshlrev_b32_e32 v73, 4, v65
	s_add_i32 s13, s13, s35
	s_load_b32 s35, s[0:1], 0x1c
	v_ashrrev_i32_e32 v2, 31, v1
	v_or_b32_e32 v3, 16, v1
	s_ashr_i32 s13, s13, 5
	v_cmp_gt_i32_e32 vcc_lo, s33, v1
	s_add_i32 s13, s13, -1
	v_lshrrev_b32_e32 v2, 27, v2
	v_dual_mov_b32 v113, s31 :: v_dual_mov_b32 v108, s26
	v_dual_mov_b32 v111, s29 :: v_dual_mov_b32 v106, s24
	s_delay_alu instid0(VALU_DEP_3) | instskip(SKIP_3) | instid1(VALU_DEP_2)
	v_dual_mov_b32 v109, s27 :: v_dual_add_nc_u32 v4, v1, v2
	s_mul_i32 s44, s34, s44
	v_mov_b32_e32 v107, s25
	s_ashr_i32 s45, s44, 31
	v_ashrrev_i32_e32 v4, 5, v4
	v_add_nc_u32_e32 v2, v3, v2
	s_lshl_b64 s[44:45], s[44:45], 2
	v_dual_mov_b32 v121, s23 :: v_dual_mov_b32 v114, s16
	s_delay_alu instid0(VALU_DEP_3) | instskip(NEXT) | instid1(VALU_DEP_3)
	v_cndmask_b32_e32 v1, s13, v4, vcc_lo
	v_ashrrev_i32_e32 v2, 5, v2
	v_cmp_gt_i32_e32 vcc_lo, s33, v3
	s_add_u32 s61, s2, s44
	s_addc_u32 s60, s3, s45
	s_ashr_i32 s63, s62, 31
	s_add_u32 s44, s56, s62
	v_cndmask_b32_e32 v3, s13, v2, vcc_lo
	v_ashrrev_i32_e32 v2, 31, v1
	s_addc_u32 s45, s57, s63
	s_lshl_b32 s2, s14, 3
	v_dual_mov_b32 v116, s18 :: v_dual_lshlrev_b32 v33, 5, v65
	v_ashrrev_i32_e32 v4, 31, v3
	v_lshlrev_b64 v[1:2], 2, v[1:2]
	s_ashr_i32 s3, s2, 31
	v_mov_b32_e32 v120, s22
	s_lshl_b64 s[2:3], s[2:3], 2
	v_lshlrev_b64 v[3:4], 2, v[3:4]
	s_add_u32 s2, s61, s2
	v_add_co_u32 v1, vcc_lo, s61, v1
	v_add_co_ci_u32_e32 v2, vcc_lo, s60, v2, vcc_lo
	s_delay_alu instid0(VALU_DEP_3) | instskip(NEXT) | instid1(VALU_DEP_4)
	v_add_co_u32 v3, vcc_lo, s61, v3
	v_add_co_ci_u32_e32 v4, vcc_lo, s60, v4, vcc_lo
	s_clause 0x1
	global_load_b32 v5, v[1:2], off
	global_load_b32 v6, v[3:4], off
	s_addc_u32 s3, s60, s3
	s_or_b32 s46, s12, 32
	v_mov_b32_e32 v118, s20
	s_ashr_i32 s47, s46, 5
	s_cmp_lt_i32 s46, s33
	v_lshrrev_b32_e32 v66, 5, v0
	s_cselect_b32 s46, s47, s13
	v_mov_b32_e32 v112, s30
	s_ashr_i32 s47, s46, 31
	v_mov_b32_e32 v110, s28
	s_lshl_b64 s[46:47], s[46:47], 2
	v_lshl_or_b32 v33, v66, 9, v33
	s_add_u32 s46, s61, s46
	s_addc_u32 s47, s60, s47
	s_or_b32 s48, s12, 64
	s_delay_alu instid0(SALU_CYCLE_1) | instskip(SKIP_2) | instid1(SALU_CYCLE_1)
	s_ashr_i32 s49, s48, 5
	s_cmp_lt_i32 s48, s33
	s_cselect_b32 s48, s49, s13
	s_ashr_i32 s49, s48, 31
	s_delay_alu instid0(SALU_CYCLE_1) | instskip(NEXT) | instid1(SALU_CYCLE_1)
	s_lshl_b64 s[48:49], s[48:49], 2
	s_add_u32 s48, s61, s48
	s_addc_u32 s49, s60, s49
	s_or_b32 s50, s12, 0x60
	s_delay_alu instid0(SALU_CYCLE_1) | instskip(SKIP_2) | instid1(SALU_CYCLE_1)
	s_ashr_i32 s51, s50, 5
	s_cmp_lt_i32 s50, s33
	s_cselect_b32 s50, s51, s13
	s_ashr_i32 s51, s50, 31
	s_delay_alu instid0(SALU_CYCLE_1) | instskip(NEXT) | instid1(SALU_CYCLE_1)
	s_lshl_b64 s[50:51], s[50:51], 2
	;; [unrolled: 10-line block ×4, first 2 shown]
	s_add_u32 s66, s61, s54
	s_addc_u32 s67, s60, s55
	s_clause 0x5
	s_load_b32 s56, s[2:3], 0x0
	s_load_b32 s3, s[46:47], 0x0
	;; [unrolled: 1-line block ×6, first 2 shown]
	s_or_b32 s24, s12, 0xc0
	s_delay_alu instid0(SALU_CYCLE_1)
	s_ashr_i32 s25, s24, 5
	s_cmp_lt_i32 s24, s33
	s_waitcnt vmcnt(1)
	v_mad_i64_i32 v[1:2], null, v5, s53, s[44:45]
	s_waitcnt vmcnt(0)
	v_mad_i64_i32 v[3:4], null, v6, s53, s[44:45]
	s_mov_b32 s44, 0
	s_delay_alu instid0(SALU_CYCLE_1) | instskip(SKIP_1) | instid1(VALU_DEP_2)
	s_mov_b32 s45, s44
	s_mov_b32 s46, s44
	v_add_co_u32 v25, vcc_lo, v1, v73
	s_delay_alu instid0(VALU_DEP_3) | instskip(NEXT) | instid1(VALU_DEP_3)
	v_add_co_ci_u32_e32 v26, vcc_lo, 0, v2, vcc_lo
	v_add_co_u32 v27, vcc_lo, v3, v73
	s_delay_alu instid0(VALU_DEP_4)
	v_add_co_ci_u32_e32 v28, vcc_lo, 0, v4, vcc_lo
	s_clause 0xf
	global_load_b128 v[1:4], v[25:26], off
	global_load_b128 v[5:8], v[25:26], off offset:512
	global_load_b128 v[9:12], v[27:28], off offset:256
	;; [unrolled: 1-line block ×15, first 2 shown]
	v_mov_b32_e32 v25, s36
	v_mov_b32_e32 v29, s40
	;; [unrolled: 1-line block ×3, first 2 shown]
	s_mov_b32 s47, s44
	s_mov_b32 s48, s44
	s_mov_b32 s49, s44
	s_mov_b32 s50, s44
	s_mov_b32 s51, s44
	v_mov_b32_e32 v119, s21
	v_mov_b32_e32 v117, s19
	v_mov_b32_e32 v115, s17
	s_cselect_b32 s16, s25, s13
	v_dual_mov_b32 v129, s51 :: v_dual_mov_b32 v122, s44
	s_ashr_i32 s17, s16, 31
	v_mov_b32_e32 v26, s37
	s_lshl_b64 s[16:17], s[16:17], 2
	v_dual_mov_b32 v27, s38 :: v_dual_mov_b32 v32, s43
	s_add_u32 s16, s61, s16
	s_addc_u32 s17, s60, s17
	s_or_b32 s18, s12, 0xe0
	v_mov_b32_e32 v28, s39
	s_ashr_i32 s19, s18, 5
	s_cmp_lt_i32 s18, s33
	v_mov_b32_e32 v30, s41
	s_cselect_b32 s18, s19, s13
	v_mov_b32_e32 v128, s50
	s_ashr_i32 s19, s18, 31
	v_mov_b32_e32 v127, s49
	s_lshl_b64 s[18:19], s[18:19], 2
	v_mov_b32_e32 v126, s48
	s_add_u32 s18, s61, s18
	s_addc_u32 s19, s60, s19
	s_add_u32 s13, s58, s62
	s_addc_u32 s20, s59, s63
	v_add_co_u32 v67, s13, s13, v33
	s_delay_alu instid0(VALU_DEP_1)
	v_add_co_ci_u32_e64 v68, null, s20, 0, s13
	s_clause 0x1
	s_load_b32 s13, s[16:17], 0x0
	s_load_b32 s16, s[18:19], 0x0
	v_dual_mov_b32 v125, s47 :: v_dual_mov_b32 v124, s46
	v_mov_b32_e32 v123, s45
	s_waitcnt lgkmcnt(0)
	v_mad_i64_i32 v[33:34], null, s56, s53, v[67:68]
	v_mad_i64_i32 v[69:70], null, s54, s53, v[67:68]
	;; [unrolled: 1-line block ×5, first 2 shown]
	s_clause 0x5
	global_load_b128 v[49:52], v[33:34], off
	global_load_b128 v[53:56], v[33:34], off offset:16
	global_load_b128 v[41:44], v[35:36], off
	global_load_b128 v[45:48], v[35:36], off offset:16
	;; [unrolled: 2-line block ×3, first 2 shown]
	s_waitcnt vmcnt(20)
	v_wmma_f32_16x16x16_bf16 v[130:137], v[1:8], v[25:32], v[122:129]
	s_waitcnt vmcnt(18)
	v_wmma_f32_16x16x16_bf16 v[122:129], v[9:16], v[25:32], v[122:129]
	v_mad_i64_i32 v[13:14], null, s2, s53, v[67:68]
	s_waitcnt vmcnt(16)
	v_wmma_f32_16x16x16_bf16 v[130:137], v[17:24], v[106:113], v[130:137]
	v_mad_i64_i32 v[21:22], null, s13, s53, v[67:68]
	s_clause 0x1
	global_load_b128 v[25:28], v[69:70], off
	global_load_b128 v[29:32], v[69:70], off offset:16
	v_mad_i64_i32 v[69:70], null, s16, s53, v[67:68]
	s_waitcnt vmcnt(16)
	v_wmma_f32_16x16x16_bf16 v[122:129], v[57:64], v[106:113], v[122:129]
	s_clause 0x7
	global_load_b128 v[1:4], v[71:72], off
	global_load_b128 v[5:8], v[71:72], off offset:16
	global_load_b128 v[9:12], v[13:14], off
	global_load_b128 v[13:16], v[13:14], off offset:16
	;; [unrolled: 2-line block ×4, first 2 shown]
	v_mbcnt_lo_u32_b32 v68, -1, 0
	v_and_b32_e32 v67, 0xe0, v0
	s_waitcnt vmcnt(22)
	v_wmma_f32_16x16x16_bf16 v[130:137], v[74:81], v[114:121], v[130:137]
	s_waitcnt vmcnt(20)
	v_wmma_f32_16x16x16_bf16 v[122:129], v[82:89], v[114:121], v[122:129]
	v_mov_b32_e32 v82, s11
	v_mov_b32_e32 v76, s5
	v_xor_b32_e32 v69, 16, v68
	v_bfe_u32 v74, v0, 4, 1
	v_dual_mov_b32 v81, s10 :: v_dual_mov_b32 v80, s9
	v_mov_b32_e32 v79, s8
	s_delay_alu instid0(VALU_DEP_4) | instskip(SKIP_3) | instid1(VALU_DEP_3)
	v_cmp_gt_i32_e32 vcc_lo, 32, v69
	v_dual_mov_b32 v78, s7 :: v_dual_add_nc_u32 v67, s12, v67
	v_mov_b32_e32 v77, s6
	v_dual_mov_b32 v75, s4 :: v_dual_cndmask_b32 v68, v68, v69
	v_or_b32_e32 v67, v67, v74
	s_waitcnt vmcnt(0)
	s_barrier
	s_delay_alu instid0(VALU_DEP_2)
	v_wmma_f32_16x16x16_bf16 v[130:137], v[90:97], v[75:82], v[130:137]
	buffer_gl0_inv
	v_or_b32_e32 v69, 2, v67
	v_or_b32_e32 v70, 4, v67
	;; [unrolled: 1-line block ×3, first 2 shown]
	v_mul_f32_e32 v92, s35, v131
	v_wmma_f32_16x16x16_bf16 v[122:129], v[98:105], v[75:82], v[122:129]
	v_mul_f32_e32 v93, s35, v130
	v_cmp_gt_i32_e32 vcc_lo, s33, v69
	v_cmp_gt_i32_e64 s2, s33, v67
	v_or_b32_e32 v72, 8, v67
	v_mul_f32_e32 v98, s35, v125
	v_or_b32_e32 v83, 10, v67
	v_dual_mul_f32 v81, s35, v133 :: v_dual_mul_f32 v82, s35, v132
	v_cndmask_b32_e64 v93, 0xff7fffff, v93, s2
	v_cndmask_b32_e32 v92, 0xff7fffff, v92, vcc_lo
	v_cmp_gt_i32_e64 s3, s33, v70
	v_cmp_gt_i32_e64 s4, s33, v71
	v_or_b32_e32 v84, 12, v67
	v_or_b32_e32 v85, 14, v67
	v_dual_mul_f32 v79, s35, v135 :: v_dual_mul_f32 v94, s35, v129
	v_mul_f32_e32 v80, s35, v134
	v_cndmask_b32_e64 v70, 0xff7fffff, v82, s3
	v_cndmask_b32_e64 v71, 0xff7fffff, v81, s4
	v_max3_f32 v81, v93, 0xff7fffff, v92
	v_cmp_gt_i32_e64 s5, s33, v72
	v_cmp_gt_i32_e64 s6, s33, v83
	v_or_b32_e32 v86, 16, v67
	v_or_b32_e32 v87, 18, v67
	v_dual_mul_f32 v77, s35, v137 :: v_dual_mul_f32 v96, s35, v127
	v_mul_f32_e32 v78, s35, v136
	v_cndmask_b32_e64 v72, 0xff7fffff, v80, s5
	v_cndmask_b32_e64 v79, 0xff7fffff, v79, s6
	v_max3_f32 v70, v81, v70, v71
	v_cmp_gt_i32_e64 s7, s33, v84
	v_cmp_gt_i32_e64 s8, s33, v85
	v_or_b32_e32 v88, 20, v67
	v_or_b32_e32 v89, 22, v67
	;; [unrolled: 1-line block ×6, first 2 shown]
	v_mul_f32_e32 v69, s35, v123
	v_mul_f32_e32 v67, s35, v122
	v_cndmask_b32_e64 v71, 0xff7fffff, v78, s7
	v_cndmask_b32_e64 v77, 0xff7fffff, v77, s8
	v_max3_f32 v70, v70, v72, v79
	v_cmp_gt_i32_e64 s9, s33, v86
	v_cmp_gt_i32_e64 s10, s33, v87
	v_mul_f32_e32 v99, s35, v124
	v_cmp_gt_i32_e64 s11, s33, v88
	v_max3_f32 v70, v70, v71, v77
	v_cndmask_b32_e64 v67, 0xff7fffff, v67, s9
	v_cndmask_b32_e64 v69, 0xff7fffff, v69, s10
	v_cmp_gt_i32_e64 s12, s33, v89
	v_mul_f32_e32 v97, s35, v126
	v_cndmask_b32_e64 v71, 0xff7fffff, v99, s11
	v_cmp_gt_i32_e64 s13, s33, v90
	v_max3_f32 v67, v70, v67, v69
	v_cndmask_b32_e64 v72, 0xff7fffff, v98, s12
	v_cmp_gt_i32_e64 s16, s33, v91
	v_mul_f32_e32 v95, s35, v128
	v_cndmask_b32_e64 v69, 0xff7fffff, v97, s13
	v_cmp_gt_i32_e64 s17, s33, v75
	v_max3_f32 v67, v67, v71, v72
	v_cndmask_b32_e64 v70, 0xff7fffff, v96, s16
	v_cmp_gt_i32_e64 s18, s33, v76
	v_lshlrev_b32_e32 v81, 2, v68
	v_cndmask_b32_e64 v71, 0xff7fffff, v95, s17
	s_delay_alu instid0(VALU_DEP_4) | instskip(NEXT) | instid1(VALU_DEP_4)
	v_max3_f32 v67, v67, v69, v70
	v_cndmask_b32_e64 v72, 0xff7fffff, v94, s18
	s_delay_alu instid0(VALU_DEP_1) | instskip(SKIP_3) | instid1(VALU_DEP_1)
	v_max3_f32 v67, v67, v71, v72
	ds_bpermute_b32 v68, v81, v67
	s_waitcnt lgkmcnt(0)
	v_max_f32_e32 v68, v68, v68
	v_max_f32_e32 v67, v67, v68
	s_delay_alu instid0(VALU_DEP_1) | instskip(SKIP_4) | instid1(VALU_DEP_4)
	v_fma_f32 v68, s35, v130, -v67
	v_fma_f32 v69, s35, v131, -v67
	;; [unrolled: 1-line block ×5, first 2 shown]
	v_dual_mul_f32 v68, 0x3fb8aa3b, v68 :: v_dual_mul_f32 v69, 0x3fb8aa3b, v69
	s_delay_alu instid0(VALU_DEP_3) | instskip(NEXT) | instid1(VALU_DEP_3)
	v_dual_mul_f32 v70, 0x3fb8aa3b, v70 :: v_dual_mul_f32 v71, 0x3fb8aa3b, v71
	v_mul_f32_e32 v72, 0x3fb8aa3b, v72
	s_delay_alu instid0(VALU_DEP_3) | instskip(NEXT) | instid1(VALU_DEP_3)
	v_exp_f32_e32 v68, v68
	v_exp_f32_e32 v69, v69
	s_delay_alu instid0(VALU_DEP_2)
	v_exp_f32_e32 v70, v70
	v_exp_f32_e32 v71, v71
	;; [unrolled: 1-line block ×3, first 2 shown]
	v_cndmask_b32_e64 v79, 0, v68, s2
	v_fma_f32 v68, s35, v135, -v67
	v_cndmask_b32_e32 v75, 0, v69, vcc_lo
	s_delay_alu instid0(TRANS32_DEP_3)
	v_cndmask_b32_e64 v82, 0, v70, s3
	s_waitcnt_depctr 0xfff
	v_cndmask_b32_e64 v84, 0, v71, s4
	v_dual_add_f32 v69, 0, v79 :: v_dual_mul_f32 v68, 0x3fb8aa3b, v68
	v_cndmask_b32_e64 v85, 0, v72, s5
	s_mov_b32 s3, exec_lo
	s_delay_alu instid0(VALU_DEP_2) | instskip(NEXT) | instid1(VALU_DEP_3)
	v_add_f32_e32 v69, v69, v75
	v_exp_f32_e32 v68, v68
	s_delay_alu instid0(VALU_DEP_1) | instskip(NEXT) | instid1(VALU_DEP_1)
	v_add_f32_e32 v69, v69, v82
	v_add_f32_e32 v69, v69, v84
	s_waitcnt_depctr 0xfff
	v_cndmask_b32_e64 v86, 0, v68, s6
	v_add_f32_e32 v68, v69, v85
	s_delay_alu instid0(VALU_DEP_1)
	v_add_f32_e32 v68, v68, v86
	v_fma_f32 v72, s35, v123, -v67
	v_fma_f32 v76, s35, v136, -v67
	;; [unrolled: 1-line block ×5, first 2 shown]
	v_mul_f32_e32 v72, 0x3fb8aa3b, v72
	v_mul_f32_e32 v76, 0x3fb8aa3b, v76
	s_delay_alu instid0(VALU_DEP_4) | instskip(SKIP_1) | instid1(VALU_DEP_4)
	v_dual_mul_f32 v70, 0x3fb8aa3b, v70 :: v_dual_mul_f32 v69, 0x3fb8aa3b, v69
	v_fma_f32 v77, s35, v126, -v67
	v_exp_f32_e32 v72, v72
	s_delay_alu instid0(VALU_DEP_3) | instskip(NEXT) | instid1(VALU_DEP_2)
	v_exp_f32_e32 v76, v76
	v_exp_f32_e32 v70, v70
	;; [unrolled: 1-line block ×3, first 2 shown]
	v_fma_f32 v88, s35, v129, -v67
	s_delay_alu instid0(VALU_DEP_1) | instskip(SKIP_2) | instid1(TRANS32_DEP_3)
	v_mul_f32_e32 v88, 0x3fb8aa3b, v88
	v_cndmask_b32_e64 v69, 0, v72, s10
	v_mul_f32_e32 v71, 0x3fb8aa3b, v71
	v_cndmask_b32_e64 v83, 0, v76, s7
	s_delay_alu instid0(TRANS32_DEP_2) | instskip(SKIP_4) | instid1(VALU_DEP_3)
	v_cndmask_b32_e64 v87, 0, v70, s8
	v_fma_f32 v76, s35, v125, -v67
	v_fma_f32 v72, s35, v128, -v67
	v_exp_f32_e32 v71, v71
	v_add_f32_e32 v68, v68, v83
	v_mul_f32_e32 v76, 0x3fb8aa3b, v76
	s_delay_alu instid0(VALU_DEP_2) | instskip(NEXT) | instid1(VALU_DEP_2)
	v_add_f32_e32 v68, v68, v87
	v_exp_f32_e32 v76, v76
	s_waitcnt_depctr 0xfff
	v_cndmask_b32_e64 v70, 0, v71, s9
	v_fma_f32 v71, s35, v127, -v67
	s_delay_alu instid0(VALU_DEP_2) | instskip(NEXT) | instid1(VALU_DEP_2)
	v_add_f32_e32 v68, v68, v70
	v_mul_f32_e32 v80, 0x3fb8aa3b, v71
	v_cndmask_b32_e64 v71, 0, v78, s11
	v_mul_f32_e32 v78, 0x3fb8aa3b, v72
	v_cndmask_b32_e64 v72, 0, v76, s12
	v_add_f32_e32 v68, v68, v69
	v_mul_f32_e32 v77, 0x3fb8aa3b, v77
	v_exp_f32_e32 v80, v80
	v_exp_f32_e32 v78, v78
	s_delay_alu instid0(VALU_DEP_2) | instskip(NEXT) | instid1(VALU_DEP_2)
	v_add_f32_e32 v68, v68, v71
	v_exp_f32_e32 v77, v77
	s_delay_alu instid0(VALU_DEP_1)
	v_add_f32_e32 v68, v68, v72
	s_waitcnt_depctr 0xfff
	v_cndmask_b32_e64 v78, 0, v78, s17
	v_cndmask_b32_e64 v76, 0, v77, s13
	;; [unrolled: 1-line block ×3, first 2 shown]
	v_exp_f32_e32 v80, v88
	v_and_b32_e32 v88, 31, v0
	s_delay_alu instid0(VALU_DEP_3) | instskip(NEXT) | instid1(VALU_DEP_2)
	v_add_f32_e32 v68, v68, v76
	v_cmp_lt_u32_e64 s2, 15, v88
	s_delay_alu instid0(VALU_DEP_2) | instskip(SKIP_3) | instid1(VALU_DEP_1)
	v_add_f32_e32 v68, v68, v77
	s_waitcnt_depctr 0xfff
	v_cndmask_b32_e64 v80, 0, v80, s18
	v_add_f32_e32 v68, v68, v78
	v_add_f32_e32 v68, v68, v80
	ds_bpermute_b32 v81, v81, v68
	v_cmpx_gt_u32_e32 16, v88
	s_cbranch_execz .LBB1622_11
; %bb.10:
	v_mul_u32_u24_e32 v88, 0x44, v66
	s_delay_alu instid0(VALU_DEP_1) | instskip(SKIP_1) | instid1(VALU_DEP_1)
	v_lshl_add_u32 v88, v65, 2, v88
	s_waitcnt lgkmcnt(0)
	v_dual_add_f32 v68, v68, v81 :: v_dual_add_nc_u32 v81, 0x4000, v88
	ds_store_2addr_b32 v81, v67, v68 offset1:136
.LBB1622_11:
	s_or_b32 exec_lo, exec_lo, s3
	v_lshlrev_b32_e32 v67, 2, v65
	s_waitcnt lgkmcnt(0)
	s_barrier
	buffer_gl0_inv
	v_cmp_eq_u32_e32 vcc_lo, 1, v66
	v_add_nc_u32_e32 v81, 0x4000, v67
	v_cmp_eq_u32_e64 s3, 2, v66
	v_cmp_eq_u32_e64 s5, 7, v66
	ds_load_2addr_b32 v[88:89], v81 offset1:17
	ds_load_2addr_b32 v[90:91], v81 offset0:34 offset1:51
	ds_load_2addr_b32 v[92:93], v81 offset0:68 offset1:85
	;; [unrolled: 1-line block ×4, first 2 shown]
	s_waitcnt lgkmcnt(4)
	v_max3_f32 v67, v88, 0xff7fffff, v89
	s_waitcnt lgkmcnt(3)
	s_delay_alu instid0(VALU_DEP_1) | instskip(SKIP_1) | instid1(VALU_DEP_1)
	v_max3_f32 v67, v67, v90, v91
	s_waitcnt lgkmcnt(2)
	v_max3_f32 v67, v67, v92, v93
	s_waitcnt lgkmcnt(1)
	s_delay_alu instid0(VALU_DEP_1) | instskip(NEXT) | instid1(VALU_DEP_1)
	v_max3_f32 v67, v67, v94, v95
	v_sub_f32_e32 v68, v88, v67
	v_sub_f32_e32 v90, v90, v67
	;; [unrolled: 1-line block ×3, first 2 shown]
	s_delay_alu instid0(VALU_DEP_3) | instskip(NEXT) | instid1(VALU_DEP_3)
	v_mul_f32_e32 v68, 0x3fb8aa3b, v68
	v_mul_f32_e32 v100, 0x3fb8aa3b, v90
	s_delay_alu instid0(VALU_DEP_3) | instskip(NEXT) | instid1(VALU_DEP_3)
	v_mul_f32_e32 v102, 0x3fb8aa3b, v92
	v_exp_f32_e32 v99, v68
	v_sub_f32_e32 v68, v91, v67
	v_sub_f32_e32 v98, v89, v67
	v_exp_f32_e32 v100, v100
	s_delay_alu instid0(VALU_DEP_1)
	v_dual_mul_f32 v101, 0x3fb8aa3b, v68 :: v_dual_mul_f32 v98, 0x3fb8aa3b, v98
	s_waitcnt lgkmcnt(0)
	s_waitcnt_depctr 0xfff
	v_fma_f32 v68, v99, v96, 0
	v_sub_f32_e32 v96, v93, v67
	v_exp_f32_e32 v98, v98
	v_exp_f32_e32 v101, v101
	s_waitcnt_depctr 0xfff
	v_fmac_f32_e32 v68, v98, v97
	ds_load_2addr_b32 v[88:89], v81 offset0:170 offset1:187
	ds_load_2addr_b32 v[90:91], v81 offset0:204 offset1:221
	;; [unrolled: 1-line block ×3, first 2 shown]
	v_dual_sub_f32 v81, v94, v67 :: v_dual_mul_f32 v94, 0x3fb8aa3b, v96
	v_exp_f32_e32 v96, v102
	s_waitcnt lgkmcnt(0)
	s_barrier
	s_delay_alu instid0(VALU_DEP_1)
	v_mul_f32_e32 v81, 0x3fb8aa3b, v81
	v_exp_f32_e32 v94, v94
	buffer_gl0_inv
	v_exp_f32_e32 v81, v81
	v_fmac_f32_e32 v68, v100, v88
	v_sub_f32_e32 v88, v95, v67
	s_delay_alu instid0(VALU_DEP_2) | instskip(NEXT) | instid1(VALU_DEP_2)
	v_fmac_f32_e32 v68, v101, v89
	v_mul_f32_e32 v88, 0x3fb8aa3b, v88
	s_delay_alu instid0(VALU_DEP_2) | instskip(NEXT) | instid1(VALU_DEP_2)
	v_fmac_f32_e32 v68, v96, v90
	v_exp_f32_e32 v88, v88
	s_delay_alu instid0(VALU_DEP_1)
	v_fmac_f32_e32 v68, v94, v91
	s_delay_alu instid0(TRANS32_DEP_2) | instid1(VALU_DEP_1)
	v_fmac_f32_e32 v68, v81, v92
	s_waitcnt_depctr 0xfff
	v_fmac_f32_e32 v68, v88, v93
	s_delay_alu instid0(VALU_DEP_1) | instskip(NEXT) | instid1(VALU_DEP_1)
	v_add_f32_e32 v89, 0x358637bd, v68
	v_div_scale_f32 v90, null, v89, v89, 1.0
	v_div_scale_f32 v93, s4, 1.0, v89, 1.0
	s_delay_alu instid0(VALU_DEP_2) | instskip(SKIP_2) | instid1(VALU_DEP_1)
	v_rcp_f32_e32 v91, v90
	s_waitcnt_depctr 0xfff
	v_fma_f32 v92, -v90, v91, 1.0
	v_dual_fmac_f32 v91, v92, v91 :: v_dual_cndmask_b32 v92, v99, v98
	v_cmp_eq_u32_e32 vcc_lo, 3, v66
	s_delay_alu instid0(VALU_DEP_2) | instskip(NEXT) | instid1(VALU_DEP_3)
	v_mul_f32_e32 v95, v93, v91
	v_cndmask_b32_e64 v92, v92, v100, s3
	v_cmp_eq_u32_e64 s3, 4, v66
	s_delay_alu instid0(VALU_DEP_3) | instskip(NEXT) | instid1(VALU_DEP_3)
	v_fma_f32 v97, -v90, v95, v93
	v_cndmask_b32_e32 v92, v92, v101, vcc_lo
	v_cmp_eq_u32_e32 vcc_lo, 5, v66
	s_delay_alu instid0(VALU_DEP_3) | instskip(NEXT) | instid1(VALU_DEP_3)
	v_fmac_f32_e32 v95, v97, v91
	v_cndmask_b32_e64 v92, v92, v96, s3
	v_cmp_eq_u32_e64 s3, 6, v66
	s_delay_alu instid0(VALU_DEP_3) | instskip(NEXT) | instid1(VALU_DEP_3)
	v_fma_f32 v90, -v90, v95, v93
	v_cndmask_b32_e32 v92, v92, v94, vcc_lo
	s_mov_b32 vcc_lo, s4
	s_delay_alu instid0(VALU_DEP_2) | instskip(NEXT) | instid1(VALU_DEP_2)
	v_div_fmas_f32 v90, v90, v91, v95
	v_cndmask_b32_e64 v81, v92, v81, s3
	s_mov_b32 s3, exec_lo
	s_delay_alu instid0(VALU_DEP_2) | instskip(NEXT) | instid1(VALU_DEP_2)
	v_div_fixup_f32 v89, v90, v89, 1.0
	v_cndmask_b32_e64 v81, v81, v88, s5
	s_delay_alu instid0(VALU_DEP_1) | instskip(NEXT) | instid1(VALU_DEP_1)
	v_mul_f32_e32 v81, v81, v89
	v_mul_f32_e32 v83, v81, v83
	;; [unrolled: 1-line block ×7, first 2 shown]
	v_dual_mul_f32 v85, v81, v82 :: v_dual_and_b32 v90, 0x7f800000, v89
	v_mul_f32_e32 v84, v81, v75
                                        ; implicit-def: $vgpr75
	s_delay_alu instid0(VALU_DEP_2)
	v_cmpx_ne_u32_e32 0x7f800000, v90
	s_xor_b32 s3, exec_lo, s3
; %bb.12:
	v_bfe_u32 v75, v89, 16, 1
	s_delay_alu instid0(VALU_DEP_1)
	v_add3_u32 v75, v89, v75, 0x7fff
                                        ; implicit-def: $vgpr89
; %bb.13:
	s_and_not1_saveexec_b32 s3, s3
; %bb.14:
	v_and_b32_e32 v75, 0xffff, v89
	v_or_b32_e32 v82, 0x10000, v89
	s_delay_alu instid0(VALU_DEP_2) | instskip(NEXT) | instid1(VALU_DEP_2)
	v_cmp_eq_u32_e32 vcc_lo, 0, v75
	v_cndmask_b32_e32 v75, v82, v89, vcc_lo
; %bb.15:
	s_or_b32 exec_lo, exec_lo, s3
	v_and_b32_e32 v82, 0x7f800000, v84
	s_delay_alu instid0(VALU_DEP_1) | instskip(SKIP_1) | instid1(SALU_CYCLE_1)
	v_cmp_ne_u32_e32 vcc_lo, 0x7f800000, v82
                                        ; implicit-def: $vgpr82
	s_and_saveexec_b32 s3, vcc_lo
	s_xor_b32 s3, exec_lo, s3
; %bb.16:
	v_bfe_u32 v82, v84, 16, 1
	s_delay_alu instid0(VALU_DEP_1)
	v_add3_u32 v82, v84, v82, 0x7fff
                                        ; implicit-def: $vgpr84
; %bb.17:
	s_and_not1_saveexec_b32 s3, s3
; %bb.18:
	v_and_b32_e32 v82, 0xffff, v84
	v_or_b32_e32 v89, 0x10000, v84
	s_delay_alu instid0(VALU_DEP_2) | instskip(NEXT) | instid1(VALU_DEP_2)
	v_cmp_eq_u32_e32 vcc_lo, 0, v82
	v_cndmask_b32_e32 v82, v89, v84, vcc_lo
; %bb.19:
	s_or_b32 exec_lo, exec_lo, s3
	v_and_b32_e32 v84, 0x7f800000, v85
	s_delay_alu instid0(VALU_DEP_1) | instskip(SKIP_1) | instid1(SALU_CYCLE_1)
	v_cmp_ne_u32_e32 vcc_lo, 0x7f800000, v84
                                        ; implicit-def: $vgpr84
	s_and_saveexec_b32 s3, vcc_lo
	s_xor_b32 s3, exec_lo, s3
; %bb.20:
	v_bfe_u32 v84, v85, 16, 1
	s_delay_alu instid0(VALU_DEP_1)
	v_add3_u32 v84, v85, v84, 0x7fff
                                        ; implicit-def: $vgpr85
; %bb.21:
	s_and_not1_saveexec_b32 s3, s3
; %bb.22:
	v_and_b32_e32 v84, 0xffff, v85
	v_or_b32_e32 v89, 0x10000, v85
	s_delay_alu instid0(VALU_DEP_2) | instskip(NEXT) | instid1(VALU_DEP_2)
	v_cmp_eq_u32_e32 vcc_lo, 0, v84
	v_cndmask_b32_e32 v84, v89, v85, vcc_lo
; %bb.23:
	s_or_b32 exec_lo, exec_lo, s3
	v_and_b32_e32 v85, 0x7f800000, v88
	s_delay_alu instid0(VALU_DEP_1) | instskip(SKIP_1) | instid1(SALU_CYCLE_1)
	v_cmp_ne_u32_e32 vcc_lo, 0x7f800000, v85
                                        ; implicit-def: $vgpr85
	s_and_saveexec_b32 s3, vcc_lo
	s_xor_b32 s3, exec_lo, s3
; %bb.24:
	v_bfe_u32 v85, v88, 16, 1
	s_delay_alu instid0(VALU_DEP_1)
	v_add3_u32 v85, v88, v85, 0x7fff
                                        ; implicit-def: $vgpr88
; %bb.25:
	s_and_not1_saveexec_b32 s3, s3
; %bb.26:
	v_and_b32_e32 v85, 0xffff, v88
	v_or_b32_e32 v89, 0x10000, v88
	s_delay_alu instid0(VALU_DEP_2) | instskip(NEXT) | instid1(VALU_DEP_2)
	v_cmp_eq_u32_e32 vcc_lo, 0, v85
	v_cndmask_b32_e32 v85, v89, v88, vcc_lo
; %bb.27:
	s_or_b32 exec_lo, exec_lo, s3
	v_and_b32_e32 v88, 0x7f800000, v87
	s_delay_alu instid0(VALU_DEP_1) | instskip(SKIP_1) | instid1(SALU_CYCLE_1)
	v_cmp_ne_u32_e32 vcc_lo, 0x7f800000, v88
                                        ; implicit-def: $vgpr88
	s_and_saveexec_b32 s3, vcc_lo
	s_xor_b32 s3, exec_lo, s3
; %bb.28:
	v_bfe_u32 v88, v87, 16, 1
	s_delay_alu instid0(VALU_DEP_1)
	v_add3_u32 v88, v87, v88, 0x7fff
                                        ; implicit-def: $vgpr87
; %bb.29:
	s_and_not1_saveexec_b32 s3, s3
; %bb.30:
	v_and_b32_e32 v88, 0xffff, v87
	v_or_b32_e32 v89, 0x10000, v87
	s_delay_alu instid0(VALU_DEP_2) | instskip(NEXT) | instid1(VALU_DEP_2)
	v_cmp_eq_u32_e32 vcc_lo, 0, v88
	v_cndmask_b32_e32 v88, v89, v87, vcc_lo
; %bb.31:
	s_or_b32 exec_lo, exec_lo, s3
	v_and_b32_e32 v87, 0x7f800000, v86
	s_delay_alu instid0(VALU_DEP_1) | instskip(SKIP_1) | instid1(SALU_CYCLE_1)
	v_cmp_ne_u32_e32 vcc_lo, 0x7f800000, v87
                                        ; implicit-def: $vgpr87
	s_and_saveexec_b32 s3, vcc_lo
	s_xor_b32 s3, exec_lo, s3
; %bb.32:
	v_bfe_u32 v87, v86, 16, 1
	s_delay_alu instid0(VALU_DEP_1)
	v_add3_u32 v87, v86, v87, 0x7fff
                                        ; implicit-def: $vgpr86
; %bb.33:
	s_and_not1_saveexec_b32 s3, s3
; %bb.34:
	v_and_b32_e32 v87, 0xffff, v86
	v_or_b32_e32 v89, 0x10000, v86
	s_delay_alu instid0(VALU_DEP_2) | instskip(NEXT) | instid1(VALU_DEP_2)
	v_cmp_eq_u32_e32 vcc_lo, 0, v87
	v_cndmask_b32_e32 v87, v89, v86, vcc_lo
; %bb.35:
	s_or_b32 exec_lo, exec_lo, s3
	v_and_b32_e32 v86, 0x7f800000, v83
	s_delay_alu instid0(VALU_DEP_1) | instskip(SKIP_1) | instid1(SALU_CYCLE_1)
	v_cmp_ne_u32_e32 vcc_lo, 0x7f800000, v86
                                        ; implicit-def: $vgpr86
	s_and_saveexec_b32 s3, vcc_lo
	s_xor_b32 s3, exec_lo, s3
; %bb.36:
	v_bfe_u32 v86, v83, 16, 1
	s_delay_alu instid0(VALU_DEP_1)
	v_add3_u32 v86, v83, v86, 0x7fff
                                        ; implicit-def: $vgpr83
; %bb.37:
	s_and_not1_saveexec_b32 s3, s3
; %bb.38:
	v_and_b32_e32 v86, 0xffff, v83
	v_or_b32_e32 v89, 0x10000, v83
	s_delay_alu instid0(VALU_DEP_2) | instskip(NEXT) | instid1(VALU_DEP_2)
	v_cmp_eq_u32_e32 vcc_lo, 0, v86
	v_cndmask_b32_e32 v86, v89, v83, vcc_lo
; %bb.39:
	s_or_b32 exec_lo, exec_lo, s3
	v_and_b32_e32 v83, 0x7f800000, v79
	s_delay_alu instid0(VALU_DEP_1) | instskip(SKIP_1) | instid1(SALU_CYCLE_1)
	v_cmp_ne_u32_e32 vcc_lo, 0x7f800000, v83
                                        ; implicit-def: $vgpr83
	s_and_saveexec_b32 s3, vcc_lo
	s_xor_b32 s3, exec_lo, s3
; %bb.40:
	v_bfe_u32 v83, v79, 16, 1
	s_delay_alu instid0(VALU_DEP_1)
	v_add3_u32 v83, v79, v83, 0x7fff
                                        ; implicit-def: $vgpr79
; %bb.41:
	s_and_not1_saveexec_b32 s3, s3
; %bb.42:
	v_and_b32_e32 v83, 0xffff, v79
	v_or_b32_e32 v89, 0x10000, v79
	s_delay_alu instid0(VALU_DEP_2) | instskip(NEXT) | instid1(VALU_DEP_2)
	v_cmp_eq_u32_e32 vcc_lo, 0, v83
	v_cndmask_b32_e32 v83, v89, v79, vcc_lo
; %bb.43:
	s_or_b32 exec_lo, exec_lo, s3
	s_load_b64 s[36:37], s[0:1], 0x94
	v_lshlrev_b32_e32 v90, 4, v74
	s_delay_alu instid0(VALU_DEP_2)
	v_perm_b32 v89, v83, v86, 0x7060302
	v_lshlrev_b32_e32 v79, 6, v65
	v_dual_mul_f32 v76, v81, v76 :: v_dual_lshlrev_b32 v65, 11, v66
	v_perm_b32 v86, v82, v75, 0x7060302
	v_mul_f32_e32 v82, v81, v70
	v_perm_b32 v88, v87, v88, 0x7060302
	v_perm_b32 v87, v85, v84, 0x7060302
	v_or3_b32 v75, v90, v65, v79
	v_mul_f32_e32 v65, v81, v80
	v_mul_f32_e32 v70, v81, v78
	;; [unrolled: 1-line block ×3, first 2 shown]
	v_dual_mul_f32 v80, v81, v72 :: v_dual_and_b32 v83, 0x7f800000, v82
	v_mul_f32_e32 v78, v81, v71
	v_mul_f32_e32 v72, v81, v69
	s_mov_b32 s3, exec_lo
	ds_store_b128 v75, v[86:89]
                                        ; implicit-def: $vgpr69
	v_cmpx_ne_u32_e32 0x7f800000, v83
	s_xor_b32 s3, exec_lo, s3
; %bb.44:
	v_bfe_u32 v69, v82, 16, 1
	s_delay_alu instid0(VALU_DEP_1)
	v_add3_u32 v69, v82, v69, 0x7fff
                                        ; implicit-def: $vgpr82
; %bb.45:
	s_and_not1_saveexec_b32 s3, s3
; %bb.46:
	v_and_b32_e32 v69, 0xffff, v82
	v_or_b32_e32 v71, 0x10000, v82
	s_delay_alu instid0(VALU_DEP_2) | instskip(NEXT) | instid1(VALU_DEP_2)
	v_cmp_eq_u32_e32 vcc_lo, 0, v69
	v_cndmask_b32_e32 v69, v71, v82, vcc_lo
; %bb.47:
	s_or_b32 exec_lo, exec_lo, s3
	v_and_b32_e32 v71, 0x7f800000, v72
	s_delay_alu instid0(VALU_DEP_1) | instskip(SKIP_1) | instid1(SALU_CYCLE_1)
	v_cmp_ne_u32_e32 vcc_lo, 0x7f800000, v71
                                        ; implicit-def: $vgpr71
	s_and_saveexec_b32 s3, vcc_lo
	s_xor_b32 s3, exec_lo, s3
; %bb.48:
	v_bfe_u32 v71, v72, 16, 1
	s_delay_alu instid0(VALU_DEP_1)
	v_add3_u32 v71, v72, v71, 0x7fff
                                        ; implicit-def: $vgpr72
; %bb.49:
	s_and_not1_saveexec_b32 s3, s3
; %bb.50:
	v_and_b32_e32 v71, 0xffff, v72
	v_or_b32_e32 v81, 0x10000, v72
	s_delay_alu instid0(VALU_DEP_2) | instskip(NEXT) | instid1(VALU_DEP_2)
	v_cmp_eq_u32_e32 vcc_lo, 0, v71
	v_cndmask_b32_e32 v71, v81, v72, vcc_lo
; %bb.51:
	s_or_b32 exec_lo, exec_lo, s3
	v_and_b32_e32 v72, 0x7f800000, v78
	s_delay_alu instid0(VALU_DEP_1) | instskip(SKIP_1) | instid1(SALU_CYCLE_1)
	v_cmp_ne_u32_e32 vcc_lo, 0x7f800000, v72
                                        ; implicit-def: $vgpr72
	s_and_saveexec_b32 s3, vcc_lo
	s_xor_b32 s3, exec_lo, s3
; %bb.52:
	v_bfe_u32 v72, v78, 16, 1
	s_delay_alu instid0(VALU_DEP_1)
	v_add3_u32 v72, v78, v72, 0x7fff
                                        ; implicit-def: $vgpr78
; %bb.53:
	s_and_not1_saveexec_b32 s3, s3
; %bb.54:
	v_and_b32_e32 v72, 0xffff, v78
	v_or_b32_e32 v81, 0x10000, v78
	s_delay_alu instid0(VALU_DEP_2) | instskip(NEXT) | instid1(VALU_DEP_2)
	v_cmp_eq_u32_e32 vcc_lo, 0, v72
	v_cndmask_b32_e32 v72, v81, v78, vcc_lo
; %bb.55:
	s_or_b32 exec_lo, exec_lo, s3
	v_and_b32_e32 v78, 0x7f800000, v80
	s_delay_alu instid0(VALU_DEP_1) | instskip(SKIP_1) | instid1(SALU_CYCLE_1)
	v_cmp_ne_u32_e32 vcc_lo, 0x7f800000, v78
                                        ; implicit-def: $vgpr78
	s_and_saveexec_b32 s3, vcc_lo
	s_xor_b32 s3, exec_lo, s3
; %bb.56:
	v_bfe_u32 v78, v80, 16, 1
	s_delay_alu instid0(VALU_DEP_1)
	v_add3_u32 v78, v80, v78, 0x7fff
                                        ; implicit-def: $vgpr80
; %bb.57:
	s_and_not1_saveexec_b32 s3, s3
; %bb.58:
	v_and_b32_e32 v78, 0xffff, v80
	v_or_b32_e32 v81, 0x10000, v80
	s_delay_alu instid0(VALU_DEP_2) | instskip(NEXT) | instid1(VALU_DEP_2)
	v_cmp_eq_u32_e32 vcc_lo, 0, v78
	v_cndmask_b32_e32 v78, v81, v80, vcc_lo
; %bb.59:
	s_or_b32 exec_lo, exec_lo, s3
	v_and_b32_e32 v80, 0x7f800000, v76
	s_delay_alu instid0(VALU_DEP_1) | instskip(SKIP_1) | instid1(SALU_CYCLE_1)
	v_cmp_ne_u32_e32 vcc_lo, 0x7f800000, v80
                                        ; implicit-def: $vgpr80
	s_and_saveexec_b32 s3, vcc_lo
	s_xor_b32 s3, exec_lo, s3
; %bb.60:
	v_bfe_u32 v80, v76, 16, 1
	s_delay_alu instid0(VALU_DEP_1)
	v_add3_u32 v80, v76, v80, 0x7fff
                                        ; implicit-def: $vgpr76
; %bb.61:
	s_and_not1_saveexec_b32 s3, s3
; %bb.62:
	v_and_b32_e32 v80, 0xffff, v76
	v_or_b32_e32 v81, 0x10000, v76
	s_delay_alu instid0(VALU_DEP_2) | instskip(NEXT) | instid1(VALU_DEP_2)
	v_cmp_eq_u32_e32 vcc_lo, 0, v80
	v_cndmask_b32_e32 v80, v81, v76, vcc_lo
; %bb.63:
	s_or_b32 exec_lo, exec_lo, s3
	v_and_b32_e32 v76, 0x7f800000, v77
	s_delay_alu instid0(VALU_DEP_1) | instskip(SKIP_1) | instid1(SALU_CYCLE_1)
	v_cmp_ne_u32_e32 vcc_lo, 0x7f800000, v76
                                        ; implicit-def: $vgpr76
	s_and_saveexec_b32 s3, vcc_lo
	s_xor_b32 s3, exec_lo, s3
; %bb.64:
	v_bfe_u32 v76, v77, 16, 1
	s_delay_alu instid0(VALU_DEP_1)
	v_add3_u32 v76, v77, v76, 0x7fff
                                        ; implicit-def: $vgpr77
; %bb.65:
	s_and_not1_saveexec_b32 s3, s3
; %bb.66:
	v_and_b32_e32 v76, 0xffff, v77
	v_or_b32_e32 v81, 0x10000, v77
	s_delay_alu instid0(VALU_DEP_2) | instskip(NEXT) | instid1(VALU_DEP_2)
	v_cmp_eq_u32_e32 vcc_lo, 0, v76
	v_cndmask_b32_e32 v76, v81, v77, vcc_lo
; %bb.67:
	s_or_b32 exec_lo, exec_lo, s3
	v_and_b32_e32 v77, 0x7f800000, v70
	s_delay_alu instid0(VALU_DEP_1) | instskip(SKIP_1) | instid1(SALU_CYCLE_1)
	v_cmp_ne_u32_e32 vcc_lo, 0x7f800000, v77
                                        ; implicit-def: $vgpr77
	s_and_saveexec_b32 s3, vcc_lo
	s_xor_b32 s3, exec_lo, s3
; %bb.68:
	v_bfe_u32 v77, v70, 16, 1
	s_delay_alu instid0(VALU_DEP_1)
	v_add3_u32 v77, v70, v77, 0x7fff
                                        ; implicit-def: $vgpr70
; %bb.69:
	s_and_not1_saveexec_b32 s3, s3
; %bb.70:
	v_and_b32_e32 v77, 0xffff, v70
	v_or_b32_e32 v81, 0x10000, v70
	s_delay_alu instid0(VALU_DEP_2) | instskip(NEXT) | instid1(VALU_DEP_2)
	v_cmp_eq_u32_e32 vcc_lo, 0, v77
	v_cndmask_b32_e32 v77, v81, v70, vcc_lo
; %bb.71:
	s_or_b32 exec_lo, exec_lo, s3
	v_and_b32_e32 v70, 0x7f800000, v65
	s_delay_alu instid0(VALU_DEP_1) | instskip(SKIP_1) | instid1(SALU_CYCLE_1)
	v_cmp_ne_u32_e32 vcc_lo, 0x7f800000, v70
                                        ; implicit-def: $vgpr70
	s_and_saveexec_b32 s3, vcc_lo
	s_xor_b32 s3, exec_lo, s3
; %bb.72:
	v_bfe_u32 v70, v65, 16, 1
	s_delay_alu instid0(VALU_DEP_1)
	v_add3_u32 v70, v65, v70, 0x7fff
                                        ; implicit-def: $vgpr65
; %bb.73:
	s_and_not1_saveexec_b32 s3, s3
; %bb.74:
	v_and_b32_e32 v70, 0xffff, v65
	v_or_b32_e32 v81, 0x10000, v65
	s_delay_alu instid0(VALU_DEP_2) | instskip(NEXT) | instid1(VALU_DEP_2)
	v_cmp_eq_u32_e32 vcc_lo, 0, v70
	v_cndmask_b32_e32 v70, v81, v65, vcc_lo
; %bb.75:
	s_or_b32 exec_lo, exec_lo, s3
	s_delay_alu instid0(VALU_DEP_1)
	v_perm_b32 v85, v70, v77, 0x7060302
	v_perm_b32 v84, v76, v80, 0x7060302
	;; [unrolled: 1-line block ×4, first 2 shown]
	v_lshl_or_b32 v81, v66, 11, v79
	ds_store_b128 v75, v[82:85] offset:1024
	s_waitcnt lgkmcnt(0)
	s_barrier
	buffer_gl0_inv
	ds_load_b128 v[69:72], v81
	ds_load_b128 v[82:85], v81 offset:16
	s_waitcnt lgkmcnt(1)
	v_lshrrev_b32_e32 v65, 16, v69
	v_lshlrev_b32_e32 v77, 2, v74
	v_lshrrev_b32_e32 v66, 16, v70
	s_waitcnt lgkmcnt(0)
	v_lshrrev_b32_e32 v90, 16, v82
	v_lshrrev_b32_e32 v94, 16, v71
	;; [unrolled: 1-line block ×3, first 2 shown]
	v_cmp_eq_u32_e32 vcc_lo, 1, v77
	v_lshrrev_b32_e32 v95, 16, v72
	v_lshrrev_b32_e32 v97, 16, v84
	;; [unrolled: 1-line block ×3, first 2 shown]
	v_cndmask_b32_e32 v80, v69, v65, vcc_lo
	v_or_b32_e32 v78, 1, v77
	v_cmp_eq_u32_e64 s4, 2, v77
	v_cmp_eq_u32_e64 s7, 3, v77
	;; [unrolled: 1-line block ×3, first 2 shown]
	v_or_b32_e32 v76, 2, v77
	v_cmp_eq_u32_e64 s3, 1, v78
	v_cndmask_b32_e64 v80, v80, v70, s4
	v_cmp_eq_u32_e64 s6, 2, v78
	v_cmp_eq_u32_e64 s8, 3, v78
	;; [unrolled: 1-line block ×3, first 2 shown]
	v_cndmask_b32_e64 v87, v69, v65, s3
	v_cndmask_b32_e64 v80, v80, v66, s7
	;; [unrolled: 1-line block ×3, first 2 shown]
	v_cmp_eq_u32_e64 s11, 4, v78
	v_cmp_eq_u32_e64 s5, 1, v76
	v_cndmask_b32_e64 v87, v87, v70, s6
	v_cndmask_b32_e64 v80, v80, v71, s9
	;; [unrolled: 1-line block ×3, first 2 shown]
	v_cmp_eq_u32_e64 s12, 6, v77
	v_cmp_eq_u32_e64 s13, 5, v78
	v_cndmask_b32_e64 v87, v87, v66, s8
	v_cndmask_b32_e64 v80, v80, v94, s10
	v_cndmask_b32_e64 v89, v69, v65, s5
	v_cndmask_b32_e64 v88, v88, v96, s8
	v_cmp_eq_u32_e64 s16, 7, v77
	v_cndmask_b32_e64 v87, v87, v71, s11
	v_cndmask_b32_e64 v80, v80, v72, s12
	v_cmp_eq_u32_e64 s17, 6, v78
	v_cmp_eq_u32_e64 s18, 2, v76
	v_cndmask_b32_e64 v88, v88, v84, s11
	v_cndmask_b32_e64 v87, v87, v94, s13
	v_cndmask_b32_e64 v99, v80, v95, s16
	v_cmp_eq_u32_e64 s19, 7, v78
	v_cndmask_b32_e64 v80, v89, v70, s18
	v_cmp_eq_u32_e64 s20, 3, v76
	v_cndmask_b32_e64 v87, v87, v72, s17
	v_cmp_eq_u32_e64 s21, 4, v76
	v_cmp_eq_u32_e64 s23, 5, v76
	;; [unrolled: 1-line block ×4, first 2 shown]
	v_cndmask_b32_e64 v101, v87, v95, s19
	v_cndmask_b32_e64 v87, v88, v97, s13
	;; [unrolled: 1-line block ×3, first 2 shown]
	v_or_b32_e32 v80, 3, v77
	s_delay_alu instid0(VALU_DEP_3) | instskip(NEXT) | instid1(VALU_DEP_3)
	v_cndmask_b32_e64 v102, v87, v85, s17
	v_cndmask_b32_e64 v91, v88, v71, s21
	s_delay_alu instid0(VALU_DEP_3)
	v_cmp_eq_u32_e64 s22, 1, v80
	v_cmp_eq_u32_e64 s24, 2, v80
	;; [unrolled: 1-line block ×5, first 2 shown]
	v_cndmask_b32_e64 v65, v69, v65, s22
	v_cmp_eq_u32_e64 s30, 6, v80
	v_cndmask_b32_e64 v103, v91, v94, s23
	s_delay_alu instid0(VALU_DEP_3) | instskip(NEXT) | instid1(VALU_DEP_1)
	v_cndmask_b32_e64 v65, v65, v70, s24
	v_cndmask_b32_e64 v65, v65, v66, s26
	s_delay_alu instid0(VALU_DEP_3) | instskip(NEXT) | instid1(VALU_DEP_2)
	v_cndmask_b32_e64 v66, v103, v72, s25
	v_cndmask_b32_e64 v65, v65, v71, s27
	s_delay_alu instid0(VALU_DEP_2) | instskip(NEXT) | instid1(VALU_DEP_2)
	v_cndmask_b32_e64 v66, v66, v95, s28
	v_cndmask_b32_e64 v65, v65, v94, s29
	s_delay_alu instid0(VALU_DEP_1) | instskip(SKIP_1) | instid1(VALU_DEP_1)
	v_cndmask_b32_e64 v65, v65, v72, s30
	v_cndmask_b32_e32 v86, v82, v90, vcc_lo
	v_cndmask_b32_e64 v86, v86, v83, s4
	s_delay_alu instid0(VALU_DEP_1) | instskip(NEXT) | instid1(VALU_DEP_1)
	v_cndmask_b32_e64 v86, v86, v96, s7
	v_cndmask_b32_e64 v86, v86, v84, s9
	s_delay_alu instid0(VALU_DEP_1) | instskip(NEXT) | instid1(VALU_DEP_1)
	v_cndmask_b32_e64 v86, v86, v97, s10
	v_cndmask_b32_e64 v86, v86, v85, s12
	s_delay_alu instid0(VALU_DEP_1) | instskip(SKIP_2) | instid1(VALU_DEP_2)
	v_cndmask_b32_e64 v100, v86, v98, s16
	v_cndmask_b32_e64 v86, v82, v90, s5
	;; [unrolled: 1-line block ×4, first 2 shown]
	s_delay_alu instid0(VALU_DEP_2) | instskip(SKIP_1) | instid1(VALU_DEP_3)
	v_cndmask_b32_e64 v70, v82, v83, s24
	v_cndmask_b32_e64 v82, v102, v98, s19
	;; [unrolled: 1-line block ×3, first 2 shown]
	ds_load_b128 v[86:89], v81 offset:1024
	v_cndmask_b32_e64 v70, v70, v96, s26
	v_cndmask_b32_e64 v69, v92, v84, s21
	ds_load_b128 v[90:93], v81 offset:1040
	v_cndmask_b32_e64 v70, v70, v84, s27
	v_cndmask_b32_e64 v69, v69, v97, s23
	s_delay_alu instid0(VALU_DEP_2) | instskip(NEXT) | instid1(VALU_DEP_2)
	v_cndmask_b32_e64 v70, v70, v97, s29
	v_cndmask_b32_e64 v69, v69, v85, s25
	s_delay_alu instid0(VALU_DEP_2) | instskip(NEXT) | instid1(VALU_DEP_2)
	v_cndmask_b32_e64 v70, v70, v85, s30
	v_cndmask_b32_e64 v69, v69, v98, s28
	s_waitcnt lgkmcnt(1)
	v_lshrrev_b32_e32 v83, 16, v86
	v_lshrrev_b32_e32 v94, 16, v87
	v_lshrrev_b32_e32 v102, 16, v89
	s_delay_alu instid0(VALU_DEP_3) | instskip(SKIP_3) | instid1(VALU_DEP_3)
	v_cndmask_b32_e32 v71, v86, v83, vcc_lo
	s_waitcnt lgkmcnt(0)
	v_lshrrev_b32_e32 v84, 16, v90
	v_cndmask_b32_e64 v96, v86, v83, s3
	v_cndmask_b32_e64 v71, v71, v87, s4
	s_delay_alu instid0(VALU_DEP_3) | instskip(NEXT) | instid1(VALU_DEP_3)
	v_cndmask_b32_e32 v97, v90, v84, vcc_lo
	v_cndmask_b32_e64 v72, v96, v87, s6
	v_lshrrev_b32_e32 v96, 16, v91
	v_cmp_eq_u32_e32 vcc_lo, 7, v80
	v_cndmask_b32_e64 v71, v71, v94, s7
	v_cndmask_b32_e64 v85, v97, v91, s4
	;; [unrolled: 1-line block ×3, first 2 shown]
	v_lshrrev_b32_e32 v97, 16, v88
	v_cndmask_b32_e32 v65, v65, v95, vcc_lo
	v_cndmask_b32_e64 v71, v71, v88, s9
	v_cndmask_b32_e64 v85, v85, v96, s7
	v_cndmask_b32_e32 v70, v70, v98, vcc_lo
	v_cndmask_b32_e64 v95, v72, v88, s11
	v_lshrrev_b32_e32 v98, 16, v92
	v_cndmask_b32_e64 v71, v71, v97, s10
	v_cndmask_b32_e64 v85, v85, v92, s9
	v_perm_b32 v72, v70, v65, 0x5040100
	v_cndmask_b32_e64 v65, v95, v97, s13
	v_perm_b32 v70, v82, v101, 0x5040100
	v_cndmask_b32_e64 v95, v71, v89, s12
	v_cndmask_b32_e64 v85, v85, v98, s10
	v_perm_b32 v71, v69, v66, 0x5040100
	v_cndmask_b32_e64 v65, v65, v89, s17
	v_lshrrev_b32_e32 v82, 16, v93
	v_cndmask_b32_e64 v66, v95, v102, s16
	v_cndmask_b32_e64 v69, v85, v93, s12
	;; [unrolled: 1-line block ×34, first 2 shown]
	v_cndmask_b32_e32 v83, v83, v102, vcc_lo
	v_cndmask_b32_e32 v85, v86, v82, vcc_lo
	v_cndmask_b32_e64 v86, v87, v82, s28
	v_cndmask_b32_e64 v87, v84, v82, s19
	v_cndmask_b32_e64 v82, v69, v82, s16
	v_perm_b32 v69, v100, v99, 0x5040100
	v_perm_b32 v85, v85, v83, 0x5040100
	;; [unrolled: 1-line block ×5, first 2 shown]
	s_mov_b32 s3, exec_lo
	ds_store_b128 v75, v[69:72]
	ds_store_b128 v75, v[82:85] offset:1024
	v_cmpx_eq_u32_e32 0, v0
	s_cbranch_execz .LBB1622_77
; %bb.76:
	s_load_b128 s[4:7], s[0:1], 0x58
	s_mul_i32 s8, s37, s34
	v_mov_b32_e32 v65, 0
	s_add_i32 s8, s8, s15
	s_delay_alu instid0(SALU_CYCLE_1) | instskip(NEXT) | instid1(SALU_CYCLE_1)
	s_mul_i32 s8, s8, s36
	s_add_i32 s8, s8, s14
	s_delay_alu instid0(SALU_CYCLE_1) | instskip(NEXT) | instid1(SALU_CYCLE_1)
	s_ashr_i32 s9, s8, 31
	s_lshl_b64 s[8:9], s[8:9], 2
	s_waitcnt lgkmcnt(0)
	s_add_u32 s6, s6, s8
	s_addc_u32 s7, s7, s9
	s_add_u32 s4, s4, s8
	s_addc_u32 s5, s5, s9
	s_clause 0x1
	global_store_b32 v65, v67, s[6:7]
	global_store_b32 v65, v68, s[4:5]
.LBB1622_77:
	s_or_b32 exec_lo, exec_lo, s3
	s_waitcnt lgkmcnt(0)
	s_waitcnt_vscnt null, 0x0
	s_barrier
	buffer_gl0_inv
	ds_load_b128 v[82:85], v79
	ds_load_b128 v[86:89], v79 offset:16
	ds_load_b128 v[94:97], v79 offset:2064
	;; [unrolled: 1-line block ×3, first 2 shown]
	v_mov_b32_e32 v65, 0
	ds_load_b128 v[102:105], v79 offset:4112
	ds_load_b128 v[98:101], v79 offset:4096
	;; [unrolled: 1-line block ×4, first 2 shown]
	v_mov_b32_e32 v66, v65
	v_mov_b32_e32 v67, v65
	;; [unrolled: 1-line block ×7, first 2 shown]
	s_waitcnt lgkmcnt(6)
	s_delay_alu instid0(VALU_DEP_1)
	v_wmma_f32_16x16x16_bf16 v[65:72], v[49:56], v[82:89], v[65:72]
	ds_load_b128 v[53:56], v79 offset:8208
	ds_load_b128 v[49:52], v79 offset:8192
	s_waitcnt lgkmcnt(6)
	v_wmma_f32_16x16x16_bf16 v[65:72], v[41:48], v[90:97], v[65:72]
	ds_load_b128 v[45:48], v79 offset:10256
	ds_load_b128 v[41:44], v79 offset:10240
	s_waitcnt lgkmcnt(6)
	;; [unrolled: 4-line block ×4, first 2 shown]
	v_wmma_f32_16x16x16_bf16 v[65:72], v[1:8], v[49:56], v[65:72]
	s_waitcnt lgkmcnt(4)
	s_delay_alu instid0(VALU_DEP_1) | instskip(SKIP_1) | instid1(VALU_DEP_1)
	v_wmma_f32_16x16x16_bf16 v[65:72], v[9:16], v[41:48], v[65:72]
	s_waitcnt lgkmcnt(2)
	v_wmma_f32_16x16x16_bf16 v[65:72], v[17:24], v[33:40], v[65:72]
	s_waitcnt lgkmcnt(0)
	s_delay_alu instid0(VALU_DEP_1) | instskip(NEXT) | instid1(VALU_DEP_1)
	v_wmma_f32_16x16x16_bf16 v[65:72], v[57:64], v[25:32], v[65:72]
	v_and_b32_e32 v1, 0x7f800000, v65
	s_delay_alu instid0(VALU_DEP_1) | instskip(SKIP_1) | instid1(SALU_CYCLE_1)
	v_cmp_ne_u32_e32 vcc_lo, 0x7f800000, v1
                                        ; implicit-def: $vgpr1
	s_and_saveexec_b32 s3, vcc_lo
	s_xor_b32 s3, exec_lo, s3
; %bb.78:
	v_bfe_u32 v1, v65, 16, 1
	s_delay_alu instid0(VALU_DEP_1)
	v_add3_u32 v1, v65, v1, 0x7fff
; %bb.79:
	s_and_not1_saveexec_b32 s3, s3
; %bb.80:
	v_and_b32_e32 v1, 0xffff, v65
	v_or_b32_e32 v2, 0x10000, v65
	s_delay_alu instid0(VALU_DEP_2) | instskip(NEXT) | instid1(VALU_DEP_2)
	v_cmp_eq_u32_e32 vcc_lo, 0, v1
	v_cndmask_b32_e32 v1, v2, v65, vcc_lo
; %bb.81:
	s_or_b32 exec_lo, exec_lo, s3
	v_and_b32_e32 v2, 0x7f800000, v66
	s_delay_alu instid0(VALU_DEP_1) | instskip(SKIP_1) | instid1(SALU_CYCLE_1)
	v_cmp_ne_u32_e32 vcc_lo, 0x7f800000, v2
                                        ; implicit-def: $vgpr2
	s_and_saveexec_b32 s3, vcc_lo
	s_xor_b32 s3, exec_lo, s3
; %bb.82:
	v_bfe_u32 v2, v66, 16, 1
	s_delay_alu instid0(VALU_DEP_1)
	v_add3_u32 v2, v66, v2, 0x7fff
; %bb.83:
	s_and_not1_saveexec_b32 s3, s3
; %bb.84:
	v_and_b32_e32 v2, 0xffff, v66
	v_or_b32_e32 v3, 0x10000, v66
	s_delay_alu instid0(VALU_DEP_2) | instskip(NEXT) | instid1(VALU_DEP_2)
	v_cmp_eq_u32_e32 vcc_lo, 0, v2
	v_cndmask_b32_e32 v2, v3, v66, vcc_lo
; %bb.85:
	s_or_b32 exec_lo, exec_lo, s3
	v_and_b32_e32 v3, 0x7f800000, v67
	s_delay_alu instid0(VALU_DEP_1) | instskip(SKIP_1) | instid1(SALU_CYCLE_1)
	v_cmp_ne_u32_e32 vcc_lo, 0x7f800000, v3
                                        ; implicit-def: $vgpr3
	s_and_saveexec_b32 s3, vcc_lo
	s_xor_b32 s3, exec_lo, s3
; %bb.86:
	v_bfe_u32 v3, v67, 16, 1
	s_delay_alu instid0(VALU_DEP_1)
	v_add3_u32 v3, v67, v3, 0x7fff
; %bb.87:
	s_and_not1_saveexec_b32 s3, s3
; %bb.88:
	v_and_b32_e32 v3, 0xffff, v67
	v_or_b32_e32 v4, 0x10000, v67
	s_delay_alu instid0(VALU_DEP_2) | instskip(NEXT) | instid1(VALU_DEP_2)
	v_cmp_eq_u32_e32 vcc_lo, 0, v3
	v_cndmask_b32_e32 v3, v4, v67, vcc_lo
; %bb.89:
	s_or_b32 exec_lo, exec_lo, s3
	v_and_b32_e32 v4, 0x7f800000, v68
	s_delay_alu instid0(VALU_DEP_1) | instskip(SKIP_1) | instid1(SALU_CYCLE_1)
	v_cmp_ne_u32_e32 vcc_lo, 0x7f800000, v4
                                        ; implicit-def: $vgpr4
	s_and_saveexec_b32 s3, vcc_lo
	s_xor_b32 s3, exec_lo, s3
; %bb.90:
	v_bfe_u32 v4, v68, 16, 1
	s_delay_alu instid0(VALU_DEP_1)
	v_add3_u32 v4, v68, v4, 0x7fff
; %bb.91:
	s_and_not1_saveexec_b32 s3, s3
; %bb.92:
	v_and_b32_e32 v4, 0xffff, v68
	v_or_b32_e32 v5, 0x10000, v68
	s_delay_alu instid0(VALU_DEP_2) | instskip(NEXT) | instid1(VALU_DEP_2)
	v_cmp_eq_u32_e32 vcc_lo, 0, v4
	v_cndmask_b32_e32 v4, v5, v68, vcc_lo
; %bb.93:
	s_or_b32 exec_lo, exec_lo, s3
	v_and_b32_e32 v5, 0x7f800000, v69
	s_delay_alu instid0(VALU_DEP_1) | instskip(SKIP_1) | instid1(SALU_CYCLE_1)
	v_cmp_ne_u32_e32 vcc_lo, 0x7f800000, v5
                                        ; implicit-def: $vgpr5
	s_and_saveexec_b32 s3, vcc_lo
	s_xor_b32 s3, exec_lo, s3
; %bb.94:
	v_bfe_u32 v5, v69, 16, 1
	s_delay_alu instid0(VALU_DEP_1)
	v_add3_u32 v5, v69, v5, 0x7fff
; %bb.95:
	s_and_not1_saveexec_b32 s3, s3
; %bb.96:
	v_and_b32_e32 v5, 0xffff, v69
	v_or_b32_e32 v6, 0x10000, v69
	s_delay_alu instid0(VALU_DEP_2) | instskip(NEXT) | instid1(VALU_DEP_2)
	v_cmp_eq_u32_e32 vcc_lo, 0, v5
	v_cndmask_b32_e32 v5, v6, v69, vcc_lo
; %bb.97:
	s_or_b32 exec_lo, exec_lo, s3
	v_and_b32_e32 v6, 0x7f800000, v70
	s_delay_alu instid0(VALU_DEP_1) | instskip(SKIP_1) | instid1(SALU_CYCLE_1)
	v_cmp_ne_u32_e32 vcc_lo, 0x7f800000, v6
                                        ; implicit-def: $vgpr6
	s_and_saveexec_b32 s3, vcc_lo
	s_xor_b32 s3, exec_lo, s3
; %bb.98:
	v_bfe_u32 v6, v70, 16, 1
	s_delay_alu instid0(VALU_DEP_1)
	v_add3_u32 v6, v70, v6, 0x7fff
; %bb.99:
	s_and_not1_saveexec_b32 s3, s3
; %bb.100:
	v_and_b32_e32 v6, 0xffff, v70
	v_or_b32_e32 v7, 0x10000, v70
	s_delay_alu instid0(VALU_DEP_2) | instskip(NEXT) | instid1(VALU_DEP_2)
	v_cmp_eq_u32_e32 vcc_lo, 0, v6
	v_cndmask_b32_e32 v6, v7, v70, vcc_lo
; %bb.101:
	s_or_b32 exec_lo, exec_lo, s3
	v_and_b32_e32 v7, 0x7f800000, v71
	s_delay_alu instid0(VALU_DEP_1) | instskip(SKIP_1) | instid1(SALU_CYCLE_1)
	v_cmp_ne_u32_e32 vcc_lo, 0x7f800000, v7
                                        ; implicit-def: $vgpr7
	s_and_saveexec_b32 s3, vcc_lo
	s_xor_b32 s3, exec_lo, s3
; %bb.102:
	v_bfe_u32 v7, v71, 16, 1
	s_delay_alu instid0(VALU_DEP_1)
	v_add3_u32 v7, v71, v7, 0x7fff
; %bb.103:
	s_and_not1_saveexec_b32 s3, s3
; %bb.104:
	v_and_b32_e32 v7, 0xffff, v71
	v_or_b32_e32 v8, 0x10000, v71
	s_delay_alu instid0(VALU_DEP_2) | instskip(NEXT) | instid1(VALU_DEP_2)
	v_cmp_eq_u32_e32 vcc_lo, 0, v7
	v_cndmask_b32_e32 v7, v8, v71, vcc_lo
; %bb.105:
	s_or_b32 exec_lo, exec_lo, s3
	v_and_b32_e32 v8, 0x7f800000, v72
	s_delay_alu instid0(VALU_DEP_1) | instskip(SKIP_1) | instid1(SALU_CYCLE_1)
	v_cmp_ne_u32_e32 vcc_lo, 0x7f800000, v8
                                        ; implicit-def: $vgpr8
	s_and_saveexec_b32 s3, vcc_lo
	s_xor_b32 s3, exec_lo, s3
; %bb.106:
	v_bfe_u32 v8, v72, 16, 1
	s_delay_alu instid0(VALU_DEP_1)
	v_add3_u32 v8, v72, v8, 0x7fff
                                        ; implicit-def: $vgpr65_vgpr66_vgpr67_vgpr68_vgpr69_vgpr70_vgpr71_vgpr72
; %bb.107:
	s_and_not1_saveexec_b32 s3, s3
; %bb.108:
	v_and_b32_e32 v8, 0xffff, v72
	v_or_b32_e32 v9, 0x10000, v72
	s_delay_alu instid0(VALU_DEP_2) | instskip(NEXT) | instid1(VALU_DEP_2)
	v_cmp_eq_u32_e32 vcc_lo, 0, v8
	v_cndmask_b32_e32 v8, v9, v72, vcc_lo
; %bb.109:
	s_or_b32 exec_lo, exec_lo, s3
	s_delay_alu instid0(VALU_DEP_1)
	v_perm_b32 v7, v8, v7, 0x7060302
	v_perm_b32 v6, v6, v5, 0x7060302
	;; [unrolled: 1-line block ×4, first 2 shown]
	s_barrier
	buffer_gl0_inv
	v_cmp_eq_u32_e32 vcc_lo, 1, v77
	ds_store_b128 v75, v[4:7]
	s_waitcnt lgkmcnt(0)
	s_barrier
	buffer_gl0_inv
	ds_load_b128 v[1:4], v81
	ds_load_b128 v[5:8], v81 offset:16
	v_cmp_eq_u32_e64 s3, 1, v78
	v_cmp_eq_u32_e64 s4, 2, v77
	;; [unrolled: 1-line block ×5, first 2 shown]
	s_xor_b32 s2, s2, -1
	s_waitcnt lgkmcnt(1)
	v_lshrrev_b32_e32 v9, 16, v1
	s_waitcnt lgkmcnt(0)
	v_lshrrev_b32_e32 v13, 16, v5
	v_lshrrev_b32_e32 v10, 16, v2
	;; [unrolled: 1-line block ×4, first 2 shown]
	v_cndmask_b32_e64 v19, v1, v9, s3
	v_cndmask_b32_e32 v18, v5, v13, vcc_lo
	v_cndmask_b32_e64 v20, v5, v13, s3
	v_cndmask_b32_e32 v17, v1, v9, vcc_lo
	v_cmp_eq_u32_e32 vcc_lo, 2, v78
	v_lshrrev_b32_e32 v15, 16, v7
	v_cmp_eq_u32_e64 s3, 1, v76
	v_lshrrev_b32_e32 v12, 16, v4
	v_lshrrev_b32_e32 v16, 16, v8
	v_cndmask_b32_e32 v20, v20, v6, vcc_lo
	v_cndmask_b32_e64 v17, v17, v2, s4
	v_cndmask_b32_e32 v19, v19, v2, vcc_lo
	v_cndmask_b32_e64 v18, v18, v6, s4
	v_cmp_eq_u32_e32 vcc_lo, 4, v77
	v_cmp_eq_u32_e64 s4, 3, v78
	v_cndmask_b32_e64 v17, v17, v10, s5
	v_cndmask_b32_e64 v21, v1, v9, s3
	;; [unrolled: 1-line block ×5, first 2 shown]
	v_cndmask_b32_e32 v17, v17, v3, vcc_lo
	v_cndmask_b32_e64 v20, v20, v14, s4
	v_cndmask_b32_e32 v18, v18, v7, vcc_lo
	v_cmp_eq_u32_e32 vcc_lo, 4, v78
	v_cmp_eq_u32_e64 s4, 5, v78
	v_cmp_eq_u32_e64 s3, 2, v80
	v_cndmask_b32_e64 v21, v21, v2, s7
	v_cmp_eq_u32_e64 s5, 5, v77
	v_cndmask_b32_e32 v19, v19, v3, vcc_lo
	v_cndmask_b32_e32 v20, v20, v7, vcc_lo
	v_cmp_eq_u32_e32 vcc_lo, 6, v78
	s_delay_alu instid0(VALU_DEP_4) | instskip(NEXT) | instid1(VALU_DEP_4)
	v_cndmask_b32_e64 v17, v17, v11, s5
	v_cndmask_b32_e64 v19, v19, v11, s4
	s_delay_alu instid0(VALU_DEP_4) | instskip(SKIP_1) | instid1(VALU_DEP_3)
	v_cndmask_b32_e64 v20, v20, v15, s4
	v_cmp_eq_u32_e64 s4, 1, v80
	v_cndmask_b32_e32 v19, v19, v4, vcc_lo
	v_cndmask_b32_e64 v18, v18, v15, s5
	s_delay_alu instid0(VALU_DEP_3)
	v_cndmask_b32_e64 v1, v1, v9, s4
	v_cndmask_b32_e64 v5, v5, v13, s4
	v_cmp_eq_u32_e64 s4, 3, v76
	v_cndmask_b32_e64 v13, v22, v6, s7
	v_cmp_eq_u32_e64 s7, 3, v80
	v_cndmask_b32_e64 v1, v1, v2, s3
	v_cndmask_b32_e64 v2, v5, v6, s3
	;; [unrolled: 1-line block ×3, first 2 shown]
	v_cmp_eq_u32_e64 s3, 4, v76
	v_cndmask_b32_e64 v6, v13, v14, s4
	v_cndmask_b32_e64 v1, v1, v10, s7
	v_cmp_eq_u32_e64 s4, 4, v80
	v_cndmask_b32_e64 v2, v2, v14, s7
	v_cndmask_b32_e64 v5, v9, v3, s3
	;; [unrolled: 3-line block ×3, first 2 shown]
	v_cndmask_b32_e64 v2, v2, v7, s4
	v_cmp_eq_u32_e64 s3, 5, v80
	v_cmp_eq_u32_e64 s5, 6, v77
	v_cndmask_b32_e64 v5, v5, v11, s7
	v_cmp_eq_u32_e64 s4, 6, v76
	v_cndmask_b32_e64 v3, v6, v15, s7
	v_cndmask_b32_e64 v1, v1, v11, s3
	v_cmp_eq_u32_e64 s7, 6, v80
	v_cndmask_b32_e64 v2, v2, v15, s3
	v_cndmask_b32_e64 v17, v17, v4, s5
	v_cndmask_b32_e64 v18, v18, v8, s5
	v_cmp_eq_u32_e64 s5, 7, v77
	v_cndmask_b32_e64 v5, v5, v4, s4
	;; [unrolled: 4-line block ×3, first 2 shown]
	v_cmp_eq_u32_e64 s4, 7, v76
	v_cndmask_b32_e32 v4, v20, v8, vcc_lo
	v_cndmask_b32_e64 v17, v17, v12, s5
	v_cndmask_b32_e64 v19, v19, v12, s6
	;; [unrolled: 1-line block ×8, first 2 shown]
	v_cmp_gt_u32_e32 vcc_lo, 32, v0
	v_perm_b32 v4, v2, v1, 0x5040100
	v_perm_b32 v3, v3, v5, 0x5040100
	;; [unrolled: 1-line block ×4, first 2 shown]
	s_and_b32 s2, vcc_lo, s2
	ds_store_b128 v75, v[1:4]
	s_waitcnt lgkmcnt(0)
	s_barrier
	buffer_gl0_inv
	s_and_saveexec_b32 s3, s2
	s_cbranch_execz .LBB1622_2
; %bb.110:
	s_load_b64 s[0:1], s[0:1], 0x68
	v_lshlrev_b32_e32 v1, 10, v0
	v_and_b32_e32 v0, 1, v0
	v_lshlrev_b32_e32 v2, 6, v74
	s_lshl_b32 s4, s36, 7
	s_delay_alu instid0(VALU_DEP_3) | instskip(NEXT) | instid1(VALU_DEP_3)
	v_and_b32_e32 v1, 0x3800, v1
	v_lshlrev_b32_e32 v0, 4, v0
	s_mul_i32 s2, s4, s34
	s_delay_alu instid0(SALU_CYCLE_1) | instskip(NEXT) | instid1(VALU_DEP_1)
	s_mul_i32 s2, s2, s37
	v_or3_b32 v0, v1, v2, v0
	s_ashr_i32 s3, s2, 31
	s_delay_alu instid0(SALU_CYCLE_1)
	s_lshl_b64 s[2:3], s[2:3], 1
	ds_load_b128 v[0:3], v0
	s_waitcnt lgkmcnt(0)
	s_add_u32 s5, s0, s2
	s_addc_u32 s3, s1, s3
	s_lshl_b32 s0, s14, 7
	s_mul_i32 s2, s4, s15
	s_ashr_i32 s1, s0, 31
	s_delay_alu instid0(SALU_CYCLE_1) | instskip(NEXT) | instid1(SALU_CYCLE_1)
	s_lshl_b64 s[0:1], s[0:1], 1
	s_add_u32 s4, s5, s0
	s_addc_u32 s5, s3, s1
	s_ashr_i32 s3, s2, 31
	s_delay_alu instid0(SALU_CYCLE_1) | instskip(NEXT) | instid1(SALU_CYCLE_1)
	s_lshl_b64 s[0:1], s[2:3], 1
	s_add_u32 s0, s4, s0
	s_addc_u32 s1, s5, s1
	global_store_b128 v73, v[0:3], s[0:1]
	s_nop 0
	s_sendmsg sendmsg(MSG_DEALLOC_VGPRS)
	s_endpgm
	.section	.rodata,"a",@progbits
	.p2align	6, 0x0
	.amdhsa_kernel _Z39paged_attention_ll4mi_QKV_mfma16_kernelI14__hip_bfloat16hLN4vllm18Fp8KVCacheDataTypeE1EhLi32ELi128ELi256ELb0ELi1EL8MFMAType1EEvPKT_PKT0_S9_ifPKiSB_SB_iPKfiiiPfSE_PS4_PT2_iSD_SD_
		.amdhsa_group_segment_fixed_size 17472
		.amdhsa_private_segment_fixed_size 0
		.amdhsa_kernarg_size 400
		.amdhsa_user_sgpr_count 13
		.amdhsa_user_sgpr_dispatch_ptr 0
		.amdhsa_user_sgpr_queue_ptr 0
		.amdhsa_user_sgpr_kernarg_segment_ptr 1
		.amdhsa_user_sgpr_dispatch_id 0
		.amdhsa_user_sgpr_private_segment_size 0
		.amdhsa_wavefront_size32 1
		.amdhsa_uses_dynamic_stack 0
		.amdhsa_enable_private_segment 0
		.amdhsa_system_sgpr_workgroup_id_x 1
		.amdhsa_system_sgpr_workgroup_id_y 1
		.amdhsa_system_sgpr_workgroup_id_z 1
		.amdhsa_system_sgpr_workgroup_info 0
		.amdhsa_system_vgpr_workitem_id 0
		.amdhsa_next_free_vgpr 138
		.amdhsa_next_free_sgpr 68
		.amdhsa_reserve_vcc 1
		.amdhsa_float_round_mode_32 0
		.amdhsa_float_round_mode_16_64 0
		.amdhsa_float_denorm_mode_32 3
		.amdhsa_float_denorm_mode_16_64 3
		.amdhsa_dx10_clamp 1
		.amdhsa_ieee_mode 1
		.amdhsa_fp16_overflow 0
		.amdhsa_workgroup_processor_mode 1
		.amdhsa_memory_ordered 1
		.amdhsa_forward_progress 0
		.amdhsa_shared_vgpr_count 0
		.amdhsa_exception_fp_ieee_invalid_op 0
		.amdhsa_exception_fp_denorm_src 0
		.amdhsa_exception_fp_ieee_div_zero 0
		.amdhsa_exception_fp_ieee_overflow 0
		.amdhsa_exception_fp_ieee_underflow 0
		.amdhsa_exception_fp_ieee_inexact 0
		.amdhsa_exception_int_div_zero 0
	.end_amdhsa_kernel
	.section	.text._Z39paged_attention_ll4mi_QKV_mfma16_kernelI14__hip_bfloat16hLN4vllm18Fp8KVCacheDataTypeE1EhLi32ELi128ELi256ELb0ELi1EL8MFMAType1EEvPKT_PKT0_S9_ifPKiSB_SB_iPKfiiiPfSE_PS4_PT2_iSD_SD_,"axG",@progbits,_Z39paged_attention_ll4mi_QKV_mfma16_kernelI14__hip_bfloat16hLN4vllm18Fp8KVCacheDataTypeE1EhLi32ELi128ELi256ELb0ELi1EL8MFMAType1EEvPKT_PKT0_S9_ifPKiSB_SB_iPKfiiiPfSE_PS4_PT2_iSD_SD_,comdat
.Lfunc_end1622:
	.size	_Z39paged_attention_ll4mi_QKV_mfma16_kernelI14__hip_bfloat16hLN4vllm18Fp8KVCacheDataTypeE1EhLi32ELi128ELi256ELb0ELi1EL8MFMAType1EEvPKT_PKT0_S9_ifPKiSB_SB_iPKfiiiPfSE_PS4_PT2_iSD_SD_, .Lfunc_end1622-_Z39paged_attention_ll4mi_QKV_mfma16_kernelI14__hip_bfloat16hLN4vllm18Fp8KVCacheDataTypeE1EhLi32ELi128ELi256ELb0ELi1EL8MFMAType1EEvPKT_PKT0_S9_ifPKiSB_SB_iPKfiiiPfSE_PS4_PT2_iSD_SD_
                                        ; -- End function
	.section	.AMDGPU.csdata,"",@progbits
; Kernel info:
; codeLenInByte = 8628
; NumSgprs: 70
; NumVgprs: 138
; ScratchSize: 0
; MemoryBound: 1
; FloatMode: 240
; IeeeMode: 1
; LDSByteSize: 17472 bytes/workgroup (compile time only)
; SGPRBlocks: 8
; VGPRBlocks: 17
; NumSGPRsForWavesPerEU: 70
; NumVGPRsForWavesPerEU: 138
; Occupancy: 10
; WaveLimiterHint : 1
; COMPUTE_PGM_RSRC2:SCRATCH_EN: 0
; COMPUTE_PGM_RSRC2:USER_SGPR: 13
; COMPUTE_PGM_RSRC2:TRAP_HANDLER: 0
; COMPUTE_PGM_RSRC2:TGID_X_EN: 1
; COMPUTE_PGM_RSRC2:TGID_Y_EN: 1
; COMPUTE_PGM_RSRC2:TGID_Z_EN: 1
; COMPUTE_PGM_RSRC2:TIDIG_COMP_CNT: 0
	.section	.text._Z39paged_attention_ll4mi_QKV_mfma16_kernelI14__hip_bfloat16hLN4vllm18Fp8KVCacheDataTypeE1EhLi32ELi128ELi256ELb0ELi2EL8MFMAType1EEvPKT_PKT0_S9_ifPKiSB_SB_iPKfiiiPfSE_PS4_PT2_iSD_SD_,"axG",@progbits,_Z39paged_attention_ll4mi_QKV_mfma16_kernelI14__hip_bfloat16hLN4vllm18Fp8KVCacheDataTypeE1EhLi32ELi128ELi256ELb0ELi2EL8MFMAType1EEvPKT_PKT0_S9_ifPKiSB_SB_iPKfiiiPfSE_PS4_PT2_iSD_SD_,comdat
	.protected	_Z39paged_attention_ll4mi_QKV_mfma16_kernelI14__hip_bfloat16hLN4vllm18Fp8KVCacheDataTypeE1EhLi32ELi128ELi256ELb0ELi2EL8MFMAType1EEvPKT_PKT0_S9_ifPKiSB_SB_iPKfiiiPfSE_PS4_PT2_iSD_SD_ ; -- Begin function _Z39paged_attention_ll4mi_QKV_mfma16_kernelI14__hip_bfloat16hLN4vllm18Fp8KVCacheDataTypeE1EhLi32ELi128ELi256ELb0ELi2EL8MFMAType1EEvPKT_PKT0_S9_ifPKiSB_SB_iPKfiiiPfSE_PS4_PT2_iSD_SD_
	.globl	_Z39paged_attention_ll4mi_QKV_mfma16_kernelI14__hip_bfloat16hLN4vllm18Fp8KVCacheDataTypeE1EhLi32ELi128ELi256ELb0ELi2EL8MFMAType1EEvPKT_PKT0_S9_ifPKiSB_SB_iPKfiiiPfSE_PS4_PT2_iSD_SD_
	.p2align	8
	.type	_Z39paged_attention_ll4mi_QKV_mfma16_kernelI14__hip_bfloat16hLN4vllm18Fp8KVCacheDataTypeE1EhLi32ELi128ELi256ELb0ELi2EL8MFMAType1EEvPKT_PKT0_S9_ifPKiSB_SB_iPKfiiiPfSE_PS4_PT2_iSD_SD_,@function
_Z39paged_attention_ll4mi_QKV_mfma16_kernelI14__hip_bfloat16hLN4vllm18Fp8KVCacheDataTypeE1EhLi32ELi128ELi256ELb0ELi2EL8MFMAType1EEvPKT_PKT0_S9_ifPKiSB_SB_iPKfiiiPfSE_PS4_PT2_iSD_SD_: ; @_Z39paged_attention_ll4mi_QKV_mfma16_kernelI14__hip_bfloat16hLN4vllm18Fp8KVCacheDataTypeE1EhLi32ELi128ELi256ELb0ELi2EL8MFMAType1EEvPKT_PKT0_S9_ifPKiSB_SB_iPKfiiiPfSE_PS4_PT2_iSD_SD_
; %bb.0:
	s_load_b64 s[2:3], s[0:1], 0x30
	s_mov_b32 s30, s13
	s_waitcnt lgkmcnt(0)
	s_cmp_lg_u64 s[2:3], 0
	s_cselect_b32 s6, -1, 0
	s_ashr_i32 s31, s13, 31
	s_cmp_eq_u64 s[2:3], 0
	s_cbranch_scc1 .LBB1623_3
; %bb.1:
	s_lshl_b64 s[4:5], s[30:31], 2
	s_delay_alu instid0(SALU_CYCLE_1) | instskip(SKIP_4) | instid1(SALU_CYCLE_1)
	s_add_u32 s4, s2, s4
	s_addc_u32 s5, s3, s5
	s_load_b64 s[4:5], s[4:5], 0x0
	s_waitcnt lgkmcnt(0)
	s_sub_i32 s4, s5, s4
	s_cmp_eq_u32 s4, 1
	s_cselect_b32 s4, -1, 0
	s_delay_alu instid0(SALU_CYCLE_1)
	s_and_not1_b32 vcc_lo, exec_lo, s4
	s_cbranch_vccz .LBB1623_4
.LBB1623_2:
	s_endpgm
.LBB1623_3:
.LBB1623_4:
	s_load_b64 s[8:9], s[0:1], 0x28
	s_lshl_b64 s[4:5], s[30:31], 2
	s_waitcnt lgkmcnt(0)
	s_add_u32 s8, s8, s4
	s_addc_u32 s9, s9, s5
	s_lshl_b32 s16, s14, 8
	s_load_b32 s18, s[8:9], 0x0
	s_waitcnt lgkmcnt(0)
	s_cmp_ge_i32 s16, s18
	s_cbranch_scc1 .LBB1623_2
; %bb.5:
	s_clause 0x1
	s_load_b128 s[8:11], s[0:1], 0x8
	s_load_b64 s[12:13], s[0:1], 0x20
	s_and_not1_b32 vcc_lo, exec_lo, s6
	s_cbranch_vccnz .LBB1623_7
; %bb.6:
	s_add_u32 s2, s2, s4
	s_addc_u32 s3, s3, s5
	s_load_b32 s3, s[2:3], 0x0
	s_branch .LBB1623_8
.LBB1623_7:
	s_mov_b32 s3, s30
.LBB1623_8:
	s_load_b128 s[4:7], s[0:1], 0x48
	v_and_b32_e32 v66, 15, v0
	v_bfe_u32 v65, v0, 4, 1
	s_lshl_b32 s31, s15, 1
	v_and_b32_e32 v67, 31, v0
	v_and_b32_e32 v76, 1, v0
	v_lshlrev_b32_e32 v1, 3, v66
	v_cmp_gt_u32_e64 s2, 32, v0
	v_or_b32_e32 v75, s31, v65
	v_lshlrev_b32_e32 v74, 6, v65
	s_delay_alu instid0(VALU_DEP_4)
	v_lshlrev_b32_e32 v73, 1, v1
	s_waitcnt lgkmcnt(0)
	s_and_saveexec_b32 s7, s2
	s_cbranch_execz .LBB1623_10
; %bb.9:
	s_load_b64 s[20:21], s[0:1], 0x0
	v_lshlrev_b32_e32 v1, 7, v75
	s_mul_hi_i32 s23, s3, s4
	s_mul_i32 s22, s3, s4
	v_lshlrev_b32_e32 v5, 10, v66
	s_lshl_b64 s[22:23], s[22:23], 1
	v_ashrrev_i32_e32 v2, 31, v1
	v_lshlrev_b32_e32 v6, 10, v76
	s_delay_alu instid0(VALU_DEP_3) | instskip(NEXT) | instid1(VALU_DEP_3)
	v_and_b32_e32 v5, 0x3800, v5
	v_lshlrev_b64 v[1:2], 1, v[1:2]
	s_delay_alu instid0(VALU_DEP_2) | instskip(SKIP_3) | instid1(VALU_DEP_2)
	v_or3_b32 v5, v5, v6, v74
	s_waitcnt lgkmcnt(0)
	s_add_u32 s3, s20, s22
	s_addc_u32 s4, s21, s23
	v_add_co_u32 v1, vcc_lo, s3, v1
	v_add_co_ci_u32_e32 v2, vcc_lo, s4, v2, vcc_lo
	s_delay_alu instid0(VALU_DEP_2) | instskip(NEXT) | instid1(VALU_DEP_2)
	v_add_co_u32 v1, vcc_lo, v1, v73
	v_add_co_ci_u32_e32 v2, vcc_lo, 0, v2, vcc_lo
	global_load_b128 v[1:4], v[1:2], off
	s_waitcnt vmcnt(0)
	ds_store_b128 v5, v[1:4]
.LBB1623_10:
	s_or_b32 exec_lo, exec_lo, s7
	v_and_b32_e32 v1, 0xef, v0
	s_add_i32 s3, s18, 31
	s_clause 0x1
	s_load_b32 s4, s[0:1], 0x38
	s_load_b32 s19, s[0:1], 0x1c
	s_ashr_i32 s7, s3, 31
	v_add_nc_u32_e32 v1, s16, v1
	s_lshr_b32 s7, s7, 27
	s_waitcnt lgkmcnt(0)
	s_add_i32 s3, s3, s7
	s_barrier
	v_ashrrev_i32_e32 v2, 31, v1
	v_or_b32_e32 v3, 16, v1
	s_ashr_i32 s3, s3, 5
	v_cmp_gt_i32_e32 vcc_lo, s18, v1
	s_add_i32 s3, s3, -1
	v_lshrrev_b32_e32 v2, 27, v2
	buffer_gl0_inv
	s_mul_i32 s15, s15, s6
	v_lshrrev_b32_e32 v68, 5, v0
	v_lshlrev_b32_e32 v33, 5, v66
	v_add_nc_u32_e32 v4, v1, v2
	s_mul_i32 s20, s30, s4
	s_delay_alu instid0(SALU_CYCLE_1) | instskip(NEXT) | instid1(VALU_DEP_1)
	s_ashr_i32 s21, s20, 31
	v_ashrrev_i32_e32 v4, 5, v4
	v_add_nc_u32_e32 v2, v3, v2
	s_lshl_b64 s[20:21], s[20:21], 2
	v_lshl_or_b32 v33, v68, 9, v33
	s_add_u32 s4, s12, s20
	v_cndmask_b32_e32 v1, s3, v4, vcc_lo
	v_ashrrev_i32_e32 v2, 5, v2
	v_cmp_gt_i32_e32 vcc_lo, s18, v3
	s_addc_u32 s12, s13, s21
	s_ashr_i32 s13, s15, 31
	s_add_u32 s6, s8, s15
	s_addc_u32 s7, s9, s13
	v_cndmask_b32_e32 v3, s3, v2, vcc_lo
	v_ashrrev_i32_e32 v2, 31, v1
	s_lshl_b32 s8, s14, 3
	s_delay_alu instid0(SALU_CYCLE_1) | instskip(NEXT) | instid1(VALU_DEP_2)
	s_ashr_i32 s9, s8, 31
	v_ashrrev_i32_e32 v4, 31, v3
	s_delay_alu instid0(VALU_DEP_2) | instskip(SKIP_1) | instid1(SALU_CYCLE_1)
	v_lshlrev_b64 v[1:2], 2, v[1:2]
	s_lshl_b64 s[8:9], s[8:9], 2
	s_add_u32 s8, s4, s8
	s_delay_alu instid0(VALU_DEP_2) | instskip(SKIP_1) | instid1(VALU_DEP_2)
	v_lshlrev_b64 v[3:4], 2, v[3:4]
	s_addc_u32 s9, s12, s9
	v_add_co_u32 v1, vcc_lo, s4, v1
	v_add_co_ci_u32_e32 v2, vcc_lo, s12, v2, vcc_lo
	s_delay_alu instid0(VALU_DEP_3) | instskip(NEXT) | instid1(VALU_DEP_4)
	v_add_co_u32 v3, vcc_lo, s4, v3
	v_add_co_ci_u32_e32 v4, vcc_lo, s12, v4, vcc_lo
	s_clause 0x1
	global_load_b32 v5, v[1:2], off
	global_load_b32 v6, v[3:4], off
	s_or_b32 s17, s16, 32
	s_delay_alu instid0(SALU_CYCLE_1) | instskip(SKIP_2) | instid1(SALU_CYCLE_1)
	s_ashr_i32 s20, s17, 5
	s_cmp_lt_i32 s17, s18
	s_cselect_b32 s20, s20, s3
	s_ashr_i32 s21, s20, 31
	s_delay_alu instid0(SALU_CYCLE_1) | instskip(NEXT) | instid1(SALU_CYCLE_1)
	s_lshl_b64 s[20:21], s[20:21], 2
	s_add_u32 s20, s4, s20
	s_addc_u32 s21, s12, s21
	s_or_b32 s17, s16, 64
	s_delay_alu instid0(SALU_CYCLE_1) | instskip(SKIP_2) | instid1(SALU_CYCLE_1)
	s_ashr_i32 s22, s17, 5
	s_cmp_lt_i32 s17, s18
	s_cselect_b32 s22, s22, s3
	s_ashr_i32 s23, s22, 31
	s_delay_alu instid0(SALU_CYCLE_1) | instskip(NEXT) | instid1(SALU_CYCLE_1)
	s_lshl_b64 s[22:23], s[22:23], 2
	s_add_u32 s22, s4, s22
	s_addc_u32 s23, s12, s23
	;; [unrolled: 10-line block ×5, first 2 shown]
	s_clause 0x5
	s_load_b32 s17, s[8:9], 0x0
	s_load_b32 s33, s[20:21], 0x0
	;; [unrolled: 1-line block ×6, first 2 shown]
	s_mov_b32 s20, 0
	s_delay_alu instid0(SALU_CYCLE_1)
	s_mov_b32 s21, s20
	s_mov_b32 s22, s20
	;; [unrolled: 1-line block ×7, first 2 shown]
	s_delay_alu instid0(SALU_CYCLE_1)
	v_dual_mov_b32 v108, s27 :: v_dual_lshlrev_b32 v137, 6, v76
	v_dual_mov_b32 v102, s21 :: v_dual_mov_b32 v107, s26
	v_dual_mov_b32 v106, s25 :: v_dual_mov_b32 v105, s24
	v_mov_b32_e32 v103, s22
	v_dual_mov_b32 v101, s20 :: v_dual_mov_b32 v104, s23
	s_waitcnt vmcnt(1)
	v_mad_i64_i32 v[1:2], null, v5, s5, s[6:7]
	v_lshlrev_b32_e32 v5, 4, v66
	s_waitcnt vmcnt(0)
	v_mad_i64_i32 v[3:4], null, v6, s5, s[6:7]
	s_or_b32 s6, s16, 0xc0
	s_delay_alu instid0(SALU_CYCLE_1) | instskip(NEXT) | instid1(VALU_DEP_3)
	s_ashr_i32 s7, s6, 5
	v_add_co_u32 v25, vcc_lo, v1, v5
	s_delay_alu instid0(VALU_DEP_4) | instskip(NEXT) | instid1(VALU_DEP_3)
	v_add_co_ci_u32_e32 v26, vcc_lo, 0, v2, vcc_lo
	v_add_co_u32 v27, vcc_lo, v3, v5
	s_delay_alu instid0(VALU_DEP_4)
	v_add_co_ci_u32_e32 v28, vcc_lo, 0, v4, vcc_lo
	s_clause 0xf
	global_load_b128 v[1:4], v[25:26], off
	global_load_b128 v[5:8], v[25:26], off offset:512
	global_load_b128 v[9:12], v[27:28], off offset:256
	;; [unrolled: 1-line block ×15, first 2 shown]
	s_cmp_lt_i32 s6, s18
	ds_load_b128 v[25:28], v137
	ds_load_b128 v[29:32], v137 offset:1024
	s_cselect_b32 s6, s7, s3
	ds_load_b128 v[109:112], v137 offset:2048
	ds_load_b128 v[113:116], v137 offset:3072
	s_ashr_i32 s7, s6, 31
	ds_load_b128 v[117:120], v137 offset:4096
	ds_load_b128 v[121:124], v137 offset:5120
	s_lshl_b64 s[6:7], s[6:7], 2
	s_delay_alu instid0(SALU_CYCLE_1) | instskip(SKIP_2) | instid1(SALU_CYCLE_1)
	s_add_u32 s6, s4, s6
	s_addc_u32 s7, s12, s7
	s_or_b32 s8, s16, 0xe0
	s_ashr_i32 s9, s8, 5
	s_cmp_lt_i32 s8, s18
	s_cselect_b32 s8, s9, s3
	s_delay_alu instid0(SALU_CYCLE_1) | instskip(NEXT) | instid1(SALU_CYCLE_1)
	s_ashr_i32 s9, s8, 31
	s_lshl_b64 s[8:9], s[8:9], 2
	s_delay_alu instid0(SALU_CYCLE_1) | instskip(SKIP_4) | instid1(VALU_DEP_1)
	s_add_u32 s8, s4, s8
	s_addc_u32 s9, s12, s9
	s_add_u32 s3, s10, s15
	s_addc_u32 s4, s11, s13
	v_add_co_u32 v69, s3, s3, v33
	v_add_co_ci_u32_e64 v70, null, s4, 0, s3
	s_clause 0x1
	s_load_b32 s3, s[6:7], 0x0
	s_load_b32 s4, s[8:9], 0x0
	s_waitcnt lgkmcnt(0)
	v_mad_i64_i32 v[33:34], null, s17, s5, v[69:70]
	v_mad_i64_i32 v[71:72], null, s34, s5, v[69:70]
	;; [unrolled: 1-line block ×5, first 2 shown]
	s_clause 0x3
	global_load_b128 v[41:44], v[33:34], off
	global_load_b128 v[45:48], v[33:34], off offset:16
	global_load_b128 v[33:36], v[37:38], off
	global_load_b128 v[37:40], v[37:38], off offset:16
	s_waitcnt vmcnt(18)
	v_wmma_f32_16x16x16_bf16 v[125:132], v[1:8], v[25:32], v[101:108]
	s_waitcnt vmcnt(16)
	v_wmma_f32_16x16x16_bf16 v[101:108], v[9:16], v[25:32], v[101:108]
	v_mad_i64_i32 v[13:14], null, s28, s5, v[69:70]
	s_waitcnt vmcnt(14)
	v_wmma_f32_16x16x16_bf16 v[125:132], v[17:24], v[109:116], v[125:132]
	s_clause 0x1
	global_load_b128 v[25:28], v[71:72], off
	global_load_b128 v[29:32], v[71:72], off offset:16
	s_waitcnt vmcnt(14)
	v_wmma_f32_16x16x16_bf16 v[101:108], v[49:56], v[109:116], v[101:108]
	v_mad_i64_i32 v[49:50], null, s3, s5, v[69:70]
	v_mad_i64_i32 v[53:54], null, s4, s5, v[69:70]
	s_clause 0x5
	global_load_b128 v[17:20], v[133:134], off
	global_load_b128 v[21:24], v[133:134], off offset:16
	global_load_b128 v[1:4], v[135:136], off
	global_load_b128 v[5:8], v[135:136], off offset:16
	;; [unrolled: 2-line block ×3, first 2 shown]
	s_waitcnt vmcnt(18)
	v_wmma_f32_16x16x16_bf16 v[125:132], v[57:64], v[117:124], v[125:132]
	s_clause 0x3
	global_load_b128 v[57:60], v[49:50], off
	global_load_b128 v[61:64], v[49:50], off offset:16
	global_load_b128 v[49:52], v[53:54], off
	global_load_b128 v[53:56], v[53:54], off offset:16
	s_waitcnt vmcnt(20)
	v_wmma_f32_16x16x16_bf16 v[101:108], v[77:84], v[117:124], v[101:108]
	ds_load_b128 v[77:80], v137 offset:6144
	ds_load_b128 v[81:84], v137 offset:7168
	v_mbcnt_lo_u32_b32 v70, -1, 0
	s_waitcnt vmcnt(0) lgkmcnt(0)
	s_barrier
	buffer_gl0_inv
	v_xor_b32_e32 v71, 16, v70
	s_delay_alu instid0(VALU_DEP_1) | instskip(SKIP_4) | instid1(VALU_DEP_2)
	v_cmp_gt_i32_e32 vcc_lo, 32, v71
	v_cndmask_b32_e32 v70, v70, v71, vcc_lo
	v_wmma_f32_16x16x16_bf16 v[125:132], v[85:92], v[77:84], v[125:132]
	v_and_b32_e32 v69, 0xe0, v0
	v_wmma_f32_16x16x16_bf16 v[101:108], v[93:100], v[77:84], v[101:108]
	v_dual_mul_f32 v94, s19, v131 :: v_dual_add_nc_u32 v69, s16, v69
	s_delay_alu instid0(VALU_DEP_2) | instskip(SKIP_1) | instid1(VALU_DEP_4)
	v_mul_f32_e32 v98, s19, v103
	v_dual_mul_f32 v80, s19, v126 :: v_dual_mul_f32 v81, s19, v128
	v_mul_f32_e32 v96, s19, v101
	s_delay_alu instid0(VALU_DEP_4) | instskip(SKIP_3) | instid1(VALU_DEP_4)
	v_or_b32_e32 v69, v69, v65
	v_dual_mul_f32 v82, s19, v127 :: v_dual_mul_f32 v83, s19, v130
	v_mul_f32_e32 v100, s19, v105
	v_mul_f32_e32 v84, s19, v129
	v_or_b32_e32 v71, 2, v69
	v_or_b32_e32 v72, 4, v69
	;; [unrolled: 1-line block ×3, first 2 shown]
	v_cmp_gt_i32_e64 s3, s18, v69
	v_or_b32_e32 v110, 8, v69
	v_cmp_gt_i32_e32 vcc_lo, s18, v71
	v_mul_f32_e32 v71, s19, v125
	v_or_b32_e32 v85, 10, v69
	v_or_b32_e32 v91, 22, v69
	v_cmp_gt_i32_e64 s4, s18, v72
	v_mul_f32_e32 v72, s19, v107
	v_cndmask_b32_e64 v71, 0xff7fffff, v71, s3
	v_cndmask_b32_e32 v80, 0xff7fffff, v80, vcc_lo
	v_cmp_gt_i32_e64 s5, s18, v109
	v_or_b32_e32 v86, 12, v69
	v_or_b32_e32 v87, 14, v69
	v_cndmask_b32_e64 v82, 0xff7fffff, v82, s4
	v_cmp_gt_i32_e64 s6, s18, v110
	v_cndmask_b32_e64 v81, 0xff7fffff, v81, s5
	v_cmp_gt_i32_e64 s7, s18, v85
	v_cmp_gt_i32_e64 s13, s18, v91
	v_lshlrev_b32_e32 v91, 2, v70
	v_max3_f32 v71, v71, 0xff7fffff, v80
	v_or_b32_e32 v88, 16, v69
	v_or_b32_e32 v89, 18, v69
	v_mul_f32_e32 v93, s19, v132
	v_cndmask_b32_e64 v80, 0xff7fffff, v84, s6
	v_cndmask_b32_e64 v83, 0xff7fffff, v83, s7
	v_max3_f32 v71, v71, v82, v81
	v_cmp_gt_i32_e64 s8, s18, v86
	v_cmp_gt_i32_e64 s9, s18, v87
	v_or_b32_e32 v90, 20, v69
	v_mul_f32_e32 v95, s19, v102
	v_max3_f32 v71, v71, v80, v83
	v_cndmask_b32_e64 v81, 0xff7fffff, v94, s8
	v_cndmask_b32_e64 v82, 0xff7fffff, v93, s9
	v_cmp_gt_i32_e64 s10, s18, v88
	v_cmp_gt_i32_e64 s11, s18, v89
	v_or_b32_e32 v92, 24, v69
	v_or_b32_e32 v77, 26, v69
	v_mul_f32_e32 v97, s19, v104
	v_cndmask_b32_e64 v80, 0xff7fffff, v96, s10
	v_cndmask_b32_e64 v83, 0xff7fffff, v95, s11
	v_max3_f32 v71, v71, v81, v82
	v_cmp_gt_i32_e64 s12, s18, v90
	v_or_b32_e32 v78, 28, v69
	v_or_b32_e32 v79, 30, v69
	v_mul_f32_e32 v99, s19, v106
	v_cndmask_b32_e64 v82, 0xff7fffff, v97, s13
	v_cndmask_b32_e64 v81, 0xff7fffff, v98, s12
	v_max3_f32 v71, v71, v80, v83
	v_cmp_gt_i32_e64 s15, s18, v92
	v_cmp_gt_i32_e64 s16, s18, v77
	v_mul_f32_e32 v69, s19, v108
	v_cmp_gt_i32_e64 s17, s18, v78
	v_max3_f32 v71, v71, v81, v82
	v_cndmask_b32_e64 v80, 0xff7fffff, v100, s15
	v_cndmask_b32_e64 v77, 0xff7fffff, v99, s16
	v_cmp_gt_i32_e64 s18, s18, v79
	v_cndmask_b32_e64 v72, 0xff7fffff, v72, s17
	s_delay_alu instid0(VALU_DEP_3) | instskip(NEXT) | instid1(VALU_DEP_3)
	v_max3_f32 v71, v71, v80, v77
	v_cndmask_b32_e64 v69, 0xff7fffff, v69, s18
	s_delay_alu instid0(VALU_DEP_1) | instskip(SKIP_3) | instid1(VALU_DEP_1)
	v_max3_f32 v69, v71, v72, v69
	ds_bpermute_b32 v70, v91, v69
	s_waitcnt lgkmcnt(0)
	v_max_f32_e32 v70, v70, v70
	v_max_f32_e32 v69, v69, v70
	s_delay_alu instid0(VALU_DEP_1) | instskip(NEXT) | instid1(VALU_DEP_1)
	v_fma_f32 v72, s19, v127, -v69
	v_mul_f32_e32 v72, 0x3fb8aa3b, v72
	s_delay_alu instid0(VALU_DEP_1) | instskip(SKIP_3) | instid1(VALU_DEP_1)
	v_exp_f32_e32 v72, v72
	s_waitcnt_depctr 0xfff
	v_cndmask_b32_e64 v85, 0, v72, s4
	v_fma_f32 v72, s19, v132, -v69
	v_mul_f32_e32 v72, 0x3fb8aa3b, v72
	v_fma_f32 v70, s19, v125, -v69
	v_fma_f32 v78, s19, v129, -v69
	;; [unrolled: 1-line block ×5, first 2 shown]
	v_mul_f32_e32 v70, 0x3fb8aa3b, v70
	v_mul_f32_e32 v78, 0x3fb8aa3b, v78
	v_exp_f32_e32 v72, v72
	v_mul_f32_e32 v80, 0x3fb8aa3b, v80
	v_fma_f32 v83, s19, v106, -v69
	v_exp_f32_e32 v70, v70
	v_exp_f32_e32 v78, v78
	s_delay_alu instid0(VALU_DEP_2) | instskip(SKIP_2) | instid1(TRANS32_DEP_3)
	v_exp_f32_e32 v80, v80
	v_cndmask_b32_e64 v90, 0, v72, s9
	v_fma_f32 v72, s19, v105, -v69
	v_cndmask_b32_e64 v81, 0, v70, s3
	v_fma_f32 v70, s19, v130, -v69
	v_mul_f32_e32 v71, 0x3fb8aa3b, v71
	s_delay_alu instid0(TRANS32_DEP_2) | instskip(SKIP_1) | instid1(VALU_DEP_4)
	v_cndmask_b32_e64 v88, 0, v78, s6
	v_fma_f32 v78, s19, v102, -v69
	v_dual_mul_f32 v77, 0x3fb8aa3b, v77 :: v_dual_mul_f32 v70, 0x3fb8aa3b, v70
	s_delay_alu instid0(VALU_DEP_4) | instskip(SKIP_1) | instid1(VALU_DEP_3)
	v_exp_f32_e32 v71, v71
	v_cndmask_b32_e64 v86, 0, v80, s8
	v_mul_f32_e32 v78, 0x3fb8aa3b, v78
	s_delay_alu instid0(VALU_DEP_3)
	v_exp_f32_e32 v79, v77
	v_exp_f32_e32 v70, v70
	v_fma_f32 v80, s19, v104, -v69
	v_mul_f32_e32 v72, 0x3fb8aa3b, v72
	v_exp_f32_e32 v78, v78
	s_mov_b32 s3, exec_lo
	s_delay_alu instid0(VALU_DEP_2) | instskip(NEXT) | instid1(VALU_DEP_2)
	v_mul_f32_e32 v80, 0x3fb8aa3b, v80
	v_exp_f32_e32 v84, v72
	v_cndmask_b32_e64 v87, 0, v79, s5
	s_delay_alu instid0(TRANS32_DEP_3) | instskip(SKIP_4) | instid1(VALU_DEP_2)
	v_cndmask_b32_e64 v89, 0, v70, s7
	v_cndmask_b32_e32 v77, 0, v71, vcc_lo
	v_add_f32_e32 v71, 0, v81
	v_fma_f32 v79, s19, v101, -v69
	v_exp_f32_e32 v80, v80
	v_add_f32_e32 v71, v71, v77
	s_delay_alu instid0(VALU_DEP_1) | instskip(NEXT) | instid1(VALU_DEP_1)
	v_add_f32_e32 v71, v71, v85
	v_add_f32_e32 v71, v71, v87
	s_delay_alu instid0(VALU_DEP_1) | instskip(SKIP_1) | instid1(VALU_DEP_1)
	v_add_f32_e32 v70, v71, v88
	v_fma_f32 v71, s19, v103, -v69
	v_dual_add_f32 v70, v70, v89 :: v_dual_mul_f32 v71, 0x3fb8aa3b, v71
	s_delay_alu instid0(VALU_DEP_1) | instskip(NEXT) | instid1(VALU_DEP_2)
	v_add_f32_e32 v70, v70, v86
	v_exp_f32_e32 v82, v71
	s_waitcnt_depctr 0xfff
	v_cndmask_b32_e64 v72, 0, v82, s12
	v_mul_f32_e32 v79, 0x3fb8aa3b, v79
	s_delay_alu instid0(VALU_DEP_1) | instskip(SKIP_4) | instid1(VALU_DEP_2)
	v_exp_f32_e32 v79, v79
	s_waitcnt_depctr 0xfff
	v_cndmask_b32_e64 v71, 0, v79, s10
	v_add_f32_e32 v79, v70, v90
	v_cndmask_b32_e64 v70, 0, v78, s11
	v_add_f32_e32 v78, v79, v71
	v_fma_f32 v79, s19, v107, -v69
	s_delay_alu instid0(VALU_DEP_2) | instskip(SKIP_1) | instid1(VALU_DEP_2)
	v_add_f32_e32 v82, v78, v70
	v_cndmask_b32_e64 v78, 0, v80, s13
	v_dual_mul_f32 v79, 0x3fb8aa3b, v79 :: v_dual_add_f32 v80, v82, v72
	v_fma_f32 v82, s19, v108, -v69
	v_mul_f32_e32 v83, 0x3fb8aa3b, v83
	s_delay_alu instid0(VALU_DEP_3)
	v_exp_f32_e32 v92, v79
	v_cndmask_b32_e64 v79, 0, v84, s15
	v_add_f32_e32 v84, v80, v78
	v_mul_f32_e32 v82, 0x3fb8aa3b, v82
	v_exp_f32_e32 v83, v83
	s_waitcnt_depctr 0xfff
	v_cndmask_b32_e64 v80, 0, v83, s16
	v_add_f32_e32 v83, v84, v79
	v_exp_f32_e32 v84, v82
	v_cndmask_b32_e64 v82, 0, v92, s17
	s_delay_alu instid0(VALU_DEP_2) | instskip(NEXT) | instid1(VALU_DEP_1)
	v_add_f32_e32 v83, v83, v80
	v_add_f32_e32 v92, v83, v82
	s_waitcnt_depctr 0xfff
	v_cndmask_b32_e64 v83, 0, v84, s18
	s_delay_alu instid0(VALU_DEP_1)
	v_add_f32_e32 v84, v92, v83
	ds_bpermute_b32 v91, v91, v84
	v_cmpx_gt_u32_e32 16, v67
	s_cbranch_execz .LBB1623_12
; %bb.11:
	v_mul_u32_u24_e32 v67, 0x44, v68
	s_waitcnt lgkmcnt(0)
	v_add_f32_e32 v84, v84, v91
	s_delay_alu instid0(VALU_DEP_2) | instskip(NEXT) | instid1(VALU_DEP_1)
	v_lshl_add_u32 v67, v66, 2, v67
	v_add_nc_u32_e32 v67, 0x4000, v67
	ds_store_2addr_b32 v67, v69, v84 offset1:136
.LBB1623_12:
	s_or_b32 exec_lo, exec_lo, s3
	v_lshlrev_b32_e32 v67, 2, v66
	s_waitcnt lgkmcnt(0)
	s_barrier
	buffer_gl0_inv
	v_cmp_eq_u32_e32 vcc_lo, 1, v68
	v_add_nc_u32_e32 v84, 0x4000, v67
	v_cmp_eq_u32_e64 s3, 2, v68
	v_cmp_eq_u32_e64 s5, 7, v68
	ds_load_2addr_b32 v[91:92], v84 offset1:17
	ds_load_2addr_b32 v[93:94], v84 offset0:34 offset1:51
	ds_load_2addr_b32 v[95:96], v84 offset0:68 offset1:85
	;; [unrolled: 1-line block ×4, first 2 shown]
	s_waitcnt lgkmcnt(4)
	v_max3_f32 v67, v91, 0xff7fffff, v92
	s_waitcnt lgkmcnt(3)
	s_delay_alu instid0(VALU_DEP_1) | instskip(SKIP_1) | instid1(VALU_DEP_1)
	v_max3_f32 v67, v67, v93, v94
	s_waitcnt lgkmcnt(2)
	v_max3_f32 v67, v67, v95, v96
	s_waitcnt lgkmcnt(1)
	s_delay_alu instid0(VALU_DEP_1) | instskip(NEXT) | instid1(VALU_DEP_1)
	v_max3_f32 v67, v67, v97, v98
	v_sub_f32_e32 v69, v91, v67
	v_sub_f32_e32 v101, v92, v67
	v_sub_f32_e32 v93, v93, v67
	v_sub_f32_e32 v95, v95, v67
	s_delay_alu instid0(VALU_DEP_4) | instskip(NEXT) | instid1(VALU_DEP_4)
	v_mul_f32_e32 v69, 0x3fb8aa3b, v69
	v_mul_f32_e32 v101, 0x3fb8aa3b, v101
	s_delay_alu instid0(VALU_DEP_4) | instskip(NEXT) | instid1(VALU_DEP_4)
	v_mul_f32_e32 v103, 0x3fb8aa3b, v93
	v_mul_f32_e32 v105, 0x3fb8aa3b, v95
	s_delay_alu instid0(VALU_DEP_4) | instskip(SKIP_3) | instid1(VALU_DEP_1)
	v_exp_f32_e32 v102, v69
	v_sub_f32_e32 v69, v94, v67
	v_exp_f32_e32 v101, v101
	v_exp_f32_e32 v103, v103
	v_mul_f32_e32 v104, 0x3fb8aa3b, v69
	s_waitcnt lgkmcnt(0)
	s_delay_alu instid0(TRANS32_DEP_3) | instskip(SKIP_1) | instid1(VALU_DEP_3)
	v_fma_f32 v69, v102, v99, 0
	v_sub_f32_e32 v99, v96, v67
	v_exp_f32_e32 v104, v104
	s_delay_alu instid0(TRANS32_DEP_3) | instid1(VALU_DEP_2)
	v_fmac_f32_e32 v69, v101, v100
	ds_load_2addr_b32 v[91:92], v84 offset0:170 offset1:187
	ds_load_2addr_b32 v[93:94], v84 offset0:204 offset1:221
	;; [unrolled: 1-line block ×3, first 2 shown]
	v_sub_f32_e32 v84, v97, v67
	v_mul_f32_e32 v97, 0x3fb8aa3b, v99
	v_exp_f32_e32 v99, v105
	s_waitcnt lgkmcnt(0)
	s_barrier
	v_mul_f32_e32 v84, 0x3fb8aa3b, v84
	v_exp_f32_e32 v97, v97
	buffer_gl0_inv
	v_exp_f32_e32 v84, v84
	v_fmac_f32_e32 v69, v103, v91
	v_sub_f32_e32 v91, v98, v67
	s_delay_alu instid0(VALU_DEP_2) | instskip(NEXT) | instid1(VALU_DEP_2)
	v_fmac_f32_e32 v69, v104, v92
	v_mul_f32_e32 v91, 0x3fb8aa3b, v91
	s_delay_alu instid0(VALU_DEP_2) | instskip(NEXT) | instid1(VALU_DEP_2)
	v_fmac_f32_e32 v69, v99, v93
	v_exp_f32_e32 v91, v91
	s_delay_alu instid0(VALU_DEP_1)
	v_fmac_f32_e32 v69, v97, v94
	s_delay_alu instid0(TRANS32_DEP_2) | instid1(VALU_DEP_1)
	v_fmac_f32_e32 v69, v84, v95
	s_waitcnt_depctr 0xfff
	v_fmac_f32_e32 v69, v91, v96
	s_delay_alu instid0(VALU_DEP_1) | instskip(NEXT) | instid1(VALU_DEP_1)
	v_add_f32_e32 v92, 0x358637bd, v69
	v_div_scale_f32 v93, null, v92, v92, 1.0
	v_div_scale_f32 v96, s4, 1.0, v92, 1.0
	s_delay_alu instid0(VALU_DEP_2) | instskip(SKIP_2) | instid1(VALU_DEP_1)
	v_rcp_f32_e32 v94, v93
	s_waitcnt_depctr 0xfff
	v_fma_f32 v95, -v93, v94, 1.0
	v_dual_fmac_f32 v94, v95, v94 :: v_dual_cndmask_b32 v95, v102, v101
	v_cmp_eq_u32_e32 vcc_lo, 3, v68
	s_delay_alu instid0(VALU_DEP_2) | instskip(NEXT) | instid1(VALU_DEP_3)
	v_mul_f32_e32 v98, v96, v94
	v_cndmask_b32_e64 v95, v95, v103, s3
	v_cmp_eq_u32_e64 s3, 4, v68
	s_delay_alu instid0(VALU_DEP_3) | instskip(NEXT) | instid1(VALU_DEP_3)
	v_fma_f32 v100, -v93, v98, v96
	v_cndmask_b32_e32 v95, v95, v104, vcc_lo
	v_cmp_eq_u32_e32 vcc_lo, 5, v68
	s_delay_alu instid0(VALU_DEP_3) | instskip(NEXT) | instid1(VALU_DEP_3)
	v_fmac_f32_e32 v98, v100, v94
	v_cndmask_b32_e64 v95, v95, v99, s3
	v_cmp_eq_u32_e64 s3, 6, v68
	s_delay_alu instid0(VALU_DEP_3) | instskip(NEXT) | instid1(VALU_DEP_3)
	v_fma_f32 v93, -v93, v98, v96
	v_cndmask_b32_e32 v95, v95, v97, vcc_lo
	s_mov_b32 vcc_lo, s4
	s_delay_alu instid0(VALU_DEP_2) | instskip(NEXT) | instid1(VALU_DEP_2)
	v_div_fmas_f32 v93, v93, v94, v98
	v_cndmask_b32_e64 v84, v95, v84, s3
	s_mov_b32 s3, exec_lo
	s_delay_alu instid0(VALU_DEP_2) | instskip(NEXT) | instid1(VALU_DEP_2)
	v_div_fixup_f32 v92, v93, v92, 1.0
	v_cndmask_b32_e64 v84, v84, v91, s5
	s_delay_alu instid0(VALU_DEP_1) | instskip(NEXT) | instid1(VALU_DEP_1)
	v_mul_f32_e32 v84, v84, v92
	v_mul_f32_e32 v92, v84, v81
	;; [unrolled: 1-line block ×6, first 2 shown]
	v_dual_mul_f32 v88, v84, v85 :: v_dual_and_b32 v93, 0x7f800000, v92
	v_mul_f32_e32 v91, v84, v87
	v_mul_f32_e32 v87, v84, v77
                                        ; implicit-def: $vgpr77
	s_delay_alu instid0(VALU_DEP_3)
	v_cmpx_ne_u32_e32 0x7f800000, v93
	s_xor_b32 s3, exec_lo, s3
; %bb.13:
	v_bfe_u32 v77, v92, 16, 1
	s_delay_alu instid0(VALU_DEP_1)
	v_add3_u32 v77, v92, v77, 0x7fff
                                        ; implicit-def: $vgpr92
; %bb.14:
	s_and_not1_saveexec_b32 s3, s3
; %bb.15:
	v_and_b32_e32 v77, 0xffff, v92
	v_or_b32_e32 v85, 0x10000, v92
	s_delay_alu instid0(VALU_DEP_2) | instskip(NEXT) | instid1(VALU_DEP_2)
	v_cmp_eq_u32_e32 vcc_lo, 0, v77
	v_cndmask_b32_e32 v77, v85, v92, vcc_lo
; %bb.16:
	s_or_b32 exec_lo, exec_lo, s3
	v_and_b32_e32 v85, 0x7f800000, v87
	s_delay_alu instid0(VALU_DEP_1) | instskip(SKIP_1) | instid1(SALU_CYCLE_1)
	v_cmp_ne_u32_e32 vcc_lo, 0x7f800000, v85
                                        ; implicit-def: $vgpr85
	s_and_saveexec_b32 s3, vcc_lo
	s_xor_b32 s3, exec_lo, s3
; %bb.17:
	v_bfe_u32 v85, v87, 16, 1
	s_delay_alu instid0(VALU_DEP_1)
	v_add3_u32 v85, v87, v85, 0x7fff
                                        ; implicit-def: $vgpr87
; %bb.18:
	s_and_not1_saveexec_b32 s3, s3
; %bb.19:
	v_and_b32_e32 v85, 0xffff, v87
	v_or_b32_e32 v92, 0x10000, v87
	s_delay_alu instid0(VALU_DEP_2) | instskip(NEXT) | instid1(VALU_DEP_2)
	v_cmp_eq_u32_e32 vcc_lo, 0, v85
	v_cndmask_b32_e32 v85, v92, v87, vcc_lo
; %bb.20:
	s_or_b32 exec_lo, exec_lo, s3
	v_and_b32_e32 v87, 0x7f800000, v88
	s_delay_alu instid0(VALU_DEP_1) | instskip(SKIP_1) | instid1(SALU_CYCLE_1)
	v_cmp_ne_u32_e32 vcc_lo, 0x7f800000, v87
                                        ; implicit-def: $vgpr87
	s_and_saveexec_b32 s3, vcc_lo
	s_xor_b32 s3, exec_lo, s3
; %bb.21:
	v_bfe_u32 v87, v88, 16, 1
	s_delay_alu instid0(VALU_DEP_1)
	v_add3_u32 v87, v88, v87, 0x7fff
                                        ; implicit-def: $vgpr88
; %bb.22:
	s_and_not1_saveexec_b32 s3, s3
; %bb.23:
	v_and_b32_e32 v87, 0xffff, v88
	v_or_b32_e32 v92, 0x10000, v88
	s_delay_alu instid0(VALU_DEP_2) | instskip(NEXT) | instid1(VALU_DEP_2)
	v_cmp_eq_u32_e32 vcc_lo, 0, v87
	v_cndmask_b32_e32 v87, v92, v88, vcc_lo
; %bb.24:
	s_or_b32 exec_lo, exec_lo, s3
	v_and_b32_e32 v88, 0x7f800000, v91
	s_delay_alu instid0(VALU_DEP_1) | instskip(SKIP_1) | instid1(SALU_CYCLE_1)
	v_cmp_ne_u32_e32 vcc_lo, 0x7f800000, v88
                                        ; implicit-def: $vgpr88
	s_and_saveexec_b32 s3, vcc_lo
	s_xor_b32 s3, exec_lo, s3
; %bb.25:
	v_bfe_u32 v88, v91, 16, 1
	s_delay_alu instid0(VALU_DEP_1)
	v_add3_u32 v88, v91, v88, 0x7fff
                                        ; implicit-def: $vgpr91
; %bb.26:
	s_and_not1_saveexec_b32 s3, s3
; %bb.27:
	v_and_b32_e32 v88, 0xffff, v91
	v_or_b32_e32 v92, 0x10000, v91
	s_delay_alu instid0(VALU_DEP_2) | instskip(NEXT) | instid1(VALU_DEP_2)
	v_cmp_eq_u32_e32 vcc_lo, 0, v88
	v_cndmask_b32_e32 v88, v92, v91, vcc_lo
; %bb.28:
	s_or_b32 exec_lo, exec_lo, s3
	v_and_b32_e32 v91, 0x7f800000, v90
	s_delay_alu instid0(VALU_DEP_1) | instskip(SKIP_1) | instid1(SALU_CYCLE_1)
	v_cmp_ne_u32_e32 vcc_lo, 0x7f800000, v91
                                        ; implicit-def: $vgpr91
	s_and_saveexec_b32 s3, vcc_lo
	s_xor_b32 s3, exec_lo, s3
; %bb.29:
	v_bfe_u32 v91, v90, 16, 1
	s_delay_alu instid0(VALU_DEP_1)
	v_add3_u32 v91, v90, v91, 0x7fff
                                        ; implicit-def: $vgpr90
; %bb.30:
	s_and_not1_saveexec_b32 s3, s3
; %bb.31:
	v_and_b32_e32 v91, 0xffff, v90
	v_or_b32_e32 v92, 0x10000, v90
	s_delay_alu instid0(VALU_DEP_2) | instskip(NEXT) | instid1(VALU_DEP_2)
	v_cmp_eq_u32_e32 vcc_lo, 0, v91
	v_cndmask_b32_e32 v91, v92, v90, vcc_lo
; %bb.32:
	s_or_b32 exec_lo, exec_lo, s3
	v_and_b32_e32 v90, 0x7f800000, v89
	s_delay_alu instid0(VALU_DEP_1) | instskip(SKIP_1) | instid1(SALU_CYCLE_1)
	v_cmp_ne_u32_e32 vcc_lo, 0x7f800000, v90
                                        ; implicit-def: $vgpr90
	s_and_saveexec_b32 s3, vcc_lo
	s_xor_b32 s3, exec_lo, s3
; %bb.33:
	v_bfe_u32 v90, v89, 16, 1
	s_delay_alu instid0(VALU_DEP_1)
	v_add3_u32 v90, v89, v90, 0x7fff
                                        ; implicit-def: $vgpr89
; %bb.34:
	s_and_not1_saveexec_b32 s3, s3
; %bb.35:
	v_and_b32_e32 v90, 0xffff, v89
	v_or_b32_e32 v92, 0x10000, v89
	s_delay_alu instid0(VALU_DEP_2) | instskip(NEXT) | instid1(VALU_DEP_2)
	v_cmp_eq_u32_e32 vcc_lo, 0, v90
	v_cndmask_b32_e32 v90, v92, v89, vcc_lo
; %bb.36:
	s_or_b32 exec_lo, exec_lo, s3
	v_and_b32_e32 v89, 0x7f800000, v86
	s_delay_alu instid0(VALU_DEP_1) | instskip(SKIP_1) | instid1(SALU_CYCLE_1)
	v_cmp_ne_u32_e32 vcc_lo, 0x7f800000, v89
                                        ; implicit-def: $vgpr89
	s_and_saveexec_b32 s3, vcc_lo
	s_xor_b32 s3, exec_lo, s3
; %bb.37:
	v_bfe_u32 v89, v86, 16, 1
	s_delay_alu instid0(VALU_DEP_1)
	v_add3_u32 v89, v86, v89, 0x7fff
                                        ; implicit-def: $vgpr86
; %bb.38:
	s_and_not1_saveexec_b32 s3, s3
; %bb.39:
	v_and_b32_e32 v89, 0xffff, v86
	v_or_b32_e32 v92, 0x10000, v86
	s_delay_alu instid0(VALU_DEP_2) | instskip(NEXT) | instid1(VALU_DEP_2)
	v_cmp_eq_u32_e32 vcc_lo, 0, v89
	v_cndmask_b32_e32 v89, v92, v86, vcc_lo
; %bb.40:
	s_or_b32 exec_lo, exec_lo, s3
	v_and_b32_e32 v86, 0x7f800000, v81
	s_delay_alu instid0(VALU_DEP_1) | instskip(SKIP_1) | instid1(SALU_CYCLE_1)
	v_cmp_ne_u32_e32 vcc_lo, 0x7f800000, v86
                                        ; implicit-def: $vgpr86
	s_and_saveexec_b32 s3, vcc_lo
	s_xor_b32 s3, exec_lo, s3
; %bb.41:
	v_bfe_u32 v86, v81, 16, 1
	s_delay_alu instid0(VALU_DEP_1)
	v_add3_u32 v86, v81, v86, 0x7fff
                                        ; implicit-def: $vgpr81
; %bb.42:
	s_and_not1_saveexec_b32 s3, s3
; %bb.43:
	v_and_b32_e32 v86, 0xffff, v81
	v_or_b32_e32 v92, 0x10000, v81
	s_delay_alu instid0(VALU_DEP_2) | instskip(NEXT) | instid1(VALU_DEP_2)
	v_cmp_eq_u32_e32 vcc_lo, 0, v86
	v_cndmask_b32_e32 v86, v92, v81, vcc_lo
; %bb.44:
	s_or_b32 exec_lo, exec_lo, s3
	s_load_b64 s[34:35], s[0:1], 0x94
	v_lshlrev_b32_e32 v93, 4, v65
	s_delay_alu instid0(VALU_DEP_2)
	v_perm_b32 v92, v86, v89, 0x7060302
	v_dual_mul_f32 v80, v84, v80 :: v_dual_lshlrev_b32 v81, 6, v66
	v_lshlrev_b32_e32 v66, 11, v68
	v_perm_b32 v89, v85, v77, 0x7060302
	v_mul_f32_e32 v85, v84, v71
	v_perm_b32 v91, v90, v91, 0x7060302
	v_perm_b32 v90, v88, v87, 0x7060302
	v_or3_b32 v77, v93, v66, v81
	v_mul_f32_e32 v66, v84, v83
	v_dual_mul_f32 v71, v84, v82 :: v_dual_and_b32 v86, 0x7f800000, v85
	v_mul_f32_e32 v79, v84, v79
	v_mul_f32_e32 v83, v84, v78
	;; [unrolled: 1-line block ×4, first 2 shown]
	s_mov_b32 s3, exec_lo
	ds_store_b128 v77, v[89:92]
                                        ; implicit-def: $vgpr70
	v_cmpx_ne_u32_e32 0x7f800000, v86
	s_xor_b32 s3, exec_lo, s3
; %bb.45:
	v_bfe_u32 v70, v85, 16, 1
	s_delay_alu instid0(VALU_DEP_1)
	v_add3_u32 v70, v85, v70, 0x7fff
                                        ; implicit-def: $vgpr85
; %bb.46:
	s_and_not1_saveexec_b32 s3, s3
; %bb.47:
	v_and_b32_e32 v70, 0xffff, v85
	v_or_b32_e32 v72, 0x10000, v85
	s_delay_alu instid0(VALU_DEP_2) | instskip(NEXT) | instid1(VALU_DEP_2)
	v_cmp_eq_u32_e32 vcc_lo, 0, v70
	v_cndmask_b32_e32 v70, v72, v85, vcc_lo
; %bb.48:
	s_or_b32 exec_lo, exec_lo, s3
	v_and_b32_e32 v72, 0x7f800000, v78
	s_delay_alu instid0(VALU_DEP_1) | instskip(SKIP_1) | instid1(SALU_CYCLE_1)
	v_cmp_ne_u32_e32 vcc_lo, 0x7f800000, v72
                                        ; implicit-def: $vgpr72
	s_and_saveexec_b32 s3, vcc_lo
	s_xor_b32 s3, exec_lo, s3
; %bb.49:
	v_bfe_u32 v72, v78, 16, 1
	s_delay_alu instid0(VALU_DEP_1)
	v_add3_u32 v72, v78, v72, 0x7fff
                                        ; implicit-def: $vgpr78
; %bb.50:
	s_and_not1_saveexec_b32 s3, s3
; %bb.51:
	v_and_b32_e32 v72, 0xffff, v78
	v_or_b32_e32 v84, 0x10000, v78
	s_delay_alu instid0(VALU_DEP_2) | instskip(NEXT) | instid1(VALU_DEP_2)
	v_cmp_eq_u32_e32 vcc_lo, 0, v72
	v_cndmask_b32_e32 v72, v84, v78, vcc_lo
; %bb.52:
	s_or_b32 exec_lo, exec_lo, s3
	v_and_b32_e32 v78, 0x7f800000, v82
	s_delay_alu instid0(VALU_DEP_1) | instskip(SKIP_1) | instid1(SALU_CYCLE_1)
	v_cmp_ne_u32_e32 vcc_lo, 0x7f800000, v78
                                        ; implicit-def: $vgpr78
	s_and_saveexec_b32 s3, vcc_lo
	s_xor_b32 s3, exec_lo, s3
; %bb.53:
	v_bfe_u32 v78, v82, 16, 1
	s_delay_alu instid0(VALU_DEP_1)
	v_add3_u32 v78, v82, v78, 0x7fff
                                        ; implicit-def: $vgpr82
; %bb.54:
	s_and_not1_saveexec_b32 s3, s3
; %bb.55:
	v_and_b32_e32 v78, 0xffff, v82
	v_or_b32_e32 v84, 0x10000, v82
	s_delay_alu instid0(VALU_DEP_2) | instskip(NEXT) | instid1(VALU_DEP_2)
	v_cmp_eq_u32_e32 vcc_lo, 0, v78
	v_cndmask_b32_e32 v78, v84, v82, vcc_lo
; %bb.56:
	s_or_b32 exec_lo, exec_lo, s3
	v_and_b32_e32 v82, 0x7f800000, v83
	s_delay_alu instid0(VALU_DEP_1) | instskip(SKIP_1) | instid1(SALU_CYCLE_1)
	v_cmp_ne_u32_e32 vcc_lo, 0x7f800000, v82
                                        ; implicit-def: $vgpr82
	s_and_saveexec_b32 s3, vcc_lo
	s_xor_b32 s3, exec_lo, s3
; %bb.57:
	v_bfe_u32 v82, v83, 16, 1
	s_delay_alu instid0(VALU_DEP_1)
	v_add3_u32 v82, v83, v82, 0x7fff
                                        ; implicit-def: $vgpr83
; %bb.58:
	s_and_not1_saveexec_b32 s3, s3
; %bb.59:
	v_and_b32_e32 v82, 0xffff, v83
	v_or_b32_e32 v84, 0x10000, v83
	s_delay_alu instid0(VALU_DEP_2) | instskip(NEXT) | instid1(VALU_DEP_2)
	v_cmp_eq_u32_e32 vcc_lo, 0, v82
	v_cndmask_b32_e32 v82, v84, v83, vcc_lo
; %bb.60:
	s_or_b32 exec_lo, exec_lo, s3
	v_and_b32_e32 v83, 0x7f800000, v79
	s_delay_alu instid0(VALU_DEP_1) | instskip(SKIP_1) | instid1(SALU_CYCLE_1)
	v_cmp_ne_u32_e32 vcc_lo, 0x7f800000, v83
                                        ; implicit-def: $vgpr83
	s_and_saveexec_b32 s3, vcc_lo
	s_xor_b32 s3, exec_lo, s3
; %bb.61:
	v_bfe_u32 v83, v79, 16, 1
	s_delay_alu instid0(VALU_DEP_1)
	v_add3_u32 v83, v79, v83, 0x7fff
                                        ; implicit-def: $vgpr79
; %bb.62:
	s_and_not1_saveexec_b32 s3, s3
; %bb.63:
	v_and_b32_e32 v83, 0xffff, v79
	v_or_b32_e32 v84, 0x10000, v79
	s_delay_alu instid0(VALU_DEP_2) | instskip(NEXT) | instid1(VALU_DEP_2)
	v_cmp_eq_u32_e32 vcc_lo, 0, v83
	v_cndmask_b32_e32 v83, v84, v79, vcc_lo
; %bb.64:
	s_or_b32 exec_lo, exec_lo, s3
	v_and_b32_e32 v79, 0x7f800000, v80
	s_delay_alu instid0(VALU_DEP_1) | instskip(SKIP_1) | instid1(SALU_CYCLE_1)
	v_cmp_ne_u32_e32 vcc_lo, 0x7f800000, v79
                                        ; implicit-def: $vgpr79
	s_and_saveexec_b32 s3, vcc_lo
	s_xor_b32 s3, exec_lo, s3
; %bb.65:
	v_bfe_u32 v79, v80, 16, 1
	s_delay_alu instid0(VALU_DEP_1)
	v_add3_u32 v79, v80, v79, 0x7fff
                                        ; implicit-def: $vgpr80
; %bb.66:
	s_and_not1_saveexec_b32 s3, s3
; %bb.67:
	v_and_b32_e32 v79, 0xffff, v80
	v_or_b32_e32 v84, 0x10000, v80
	s_delay_alu instid0(VALU_DEP_2) | instskip(NEXT) | instid1(VALU_DEP_2)
	v_cmp_eq_u32_e32 vcc_lo, 0, v79
	v_cndmask_b32_e32 v79, v84, v80, vcc_lo
; %bb.68:
	s_or_b32 exec_lo, exec_lo, s3
	v_and_b32_e32 v80, 0x7f800000, v71
	s_delay_alu instid0(VALU_DEP_1) | instskip(SKIP_1) | instid1(SALU_CYCLE_1)
	v_cmp_ne_u32_e32 vcc_lo, 0x7f800000, v80
                                        ; implicit-def: $vgpr80
	s_and_saveexec_b32 s3, vcc_lo
	s_xor_b32 s3, exec_lo, s3
; %bb.69:
	v_bfe_u32 v80, v71, 16, 1
	s_delay_alu instid0(VALU_DEP_1)
	v_add3_u32 v80, v71, v80, 0x7fff
                                        ; implicit-def: $vgpr71
; %bb.70:
	s_and_not1_saveexec_b32 s3, s3
; %bb.71:
	v_and_b32_e32 v80, 0xffff, v71
	v_or_b32_e32 v84, 0x10000, v71
	s_delay_alu instid0(VALU_DEP_2) | instskip(NEXT) | instid1(VALU_DEP_2)
	v_cmp_eq_u32_e32 vcc_lo, 0, v80
	v_cndmask_b32_e32 v80, v84, v71, vcc_lo
; %bb.72:
	s_or_b32 exec_lo, exec_lo, s3
	v_and_b32_e32 v71, 0x7f800000, v66
	s_delay_alu instid0(VALU_DEP_1) | instskip(SKIP_1) | instid1(SALU_CYCLE_1)
	v_cmp_ne_u32_e32 vcc_lo, 0x7f800000, v71
                                        ; implicit-def: $vgpr71
	s_and_saveexec_b32 s3, vcc_lo
	s_xor_b32 s3, exec_lo, s3
; %bb.73:
	v_bfe_u32 v71, v66, 16, 1
	s_delay_alu instid0(VALU_DEP_1)
	v_add3_u32 v71, v66, v71, 0x7fff
                                        ; implicit-def: $vgpr66
; %bb.74:
	s_and_not1_saveexec_b32 s3, s3
; %bb.75:
	v_and_b32_e32 v71, 0xffff, v66
	v_or_b32_e32 v84, 0x10000, v66
	s_delay_alu instid0(VALU_DEP_2) | instskip(NEXT) | instid1(VALU_DEP_2)
	v_cmp_eq_u32_e32 vcc_lo, 0, v71
	v_cndmask_b32_e32 v71, v84, v66, vcc_lo
; %bb.76:
	s_or_b32 exec_lo, exec_lo, s3
	s_delay_alu instid0(VALU_DEP_1)
	v_perm_b32 v87, v71, v80, 0x7060302
	v_perm_b32 v86, v79, v83, 0x7060302
	;; [unrolled: 1-line block ×4, first 2 shown]
	v_lshl_or_b32 v83, v68, 11, v81
	ds_store_b128 v77, v[84:87] offset:1024
	s_waitcnt lgkmcnt(0)
	s_barrier
	buffer_gl0_inv
	ds_load_b128 v[84:87], v83
	ds_load_b128 v[88:91], v83 offset:16
	s_waitcnt lgkmcnt(1)
	v_lshrrev_b32_e32 v70, 16, v87
	s_waitcnt lgkmcnt(0)
	v_lshrrev_b32_e32 v71, 16, v88
	v_lshlrev_b32_e32 v79, 2, v65
	v_lshrrev_b32_e32 v65, 16, v84
	v_lshrrev_b32_e32 v66, 16, v85
	;; [unrolled: 1-line block ×4, first 2 shown]
	v_cmp_eq_u32_e32 vcc_lo, 1, v79
	v_lshrrev_b32_e32 v100, 16, v90
	v_lshrrev_b32_e32 v101, 16, v91
	v_cndmask_b32_e32 v92, v88, v71, vcc_lo
	v_or_b32_e32 v80, 1, v79
	v_cndmask_b32_e32 v82, v84, v65, vcc_lo
	v_cmp_eq_u32_e64 s4, 2, v79
	v_cmp_eq_u32_e64 s7, 3, v79
	;; [unrolled: 1-line block ×5, first 2 shown]
	v_cndmask_b32_e64 v82, v82, v85, s4
	v_cndmask_b32_e64 v92, v92, v89, s4
	v_cmp_eq_u32_e64 s8, 3, v80
	v_cndmask_b32_e64 v93, v84, v65, s3
	v_or_b32_e32 v78, 2, v79
	v_cndmask_b32_e64 v82, v82, v66, s7
	v_cndmask_b32_e64 v92, v92, v72, s7
	;; [unrolled: 1-line block ×4, first 2 shown]
	v_cmp_eq_u32_e64 s10, 5, v79
	v_cndmask_b32_e64 v82, v82, v86, s9
	v_cndmask_b32_e64 v92, v92, v90, s9
	v_cmp_eq_u32_e64 s11, 4, v80
	v_cndmask_b32_e64 v93, v93, v66, s8
	v_cmp_eq_u32_e64 s5, 1, v78
	v_cndmask_b32_e64 v94, v94, v89, s6
	v_cndmask_b32_e64 v82, v82, v68, s10
	v_cmp_eq_u32_e64 s12, 6, v79
	v_cndmask_b32_e64 v93, v93, v86, s11
	;; [unrolled: 3-line block ×3, first 2 shown]
	v_cndmask_b32_e64 v94, v94, v72, s8
	v_cndmask_b32_e64 v82, v82, v87, s12
	v_cmp_eq_u32_e64 s15, 7, v79
	v_cndmask_b32_e64 v93, v93, v68, s13
	v_cndmask_b32_e64 v92, v92, v91, s12
	v_cmp_eq_u32_e64 s16, 6, v80
	v_cmp_eq_u32_e64 s17, 2, v78
	v_cndmask_b32_e64 v94, v94, v90, s11
	v_cndmask_b32_e64 v102, v82, v70, s15
	;; [unrolled: 1-line block ×6, first 2 shown]
	v_cmp_eq_u32_e64 s18, 7, v80
	v_cmp_eq_u32_e64 s19, 3, v78
	;; [unrolled: 1-line block ×4, first 2 shown]
	v_cndmask_b32_e64 v92, v92, v89, s17
	v_cndmask_b32_e64 v104, v93, v70, s18
	;; [unrolled: 1-line block ×4, first 2 shown]
	v_or_b32_e32 v82, 3, v79
	v_cndmask_b32_e64 v97, v92, v72, s19
	v_cmp_eq_u32_e64 s24, 6, v78
	v_cndmask_b32_e64 v105, v93, v91, s16
	v_cndmask_b32_e64 v96, v94, v86, s20
	v_cmp_eq_u32_e64 s21, 1, v82
	ds_load_b128 v[92:95], v83 offset:1024
	v_cmp_eq_u32_e64 s23, 2, v82
	v_cmp_eq_u32_e64 s25, 3, v82
	v_cndmask_b32_e64 v106, v96, v68, s22
	v_cndmask_b32_e64 v65, v84, v65, s21
	;; [unrolled: 1-line block ×3, first 2 shown]
	ds_load_b128 v[96:99], v83 offset:1040
	v_cndmask_b32_e64 v71, v88, v71, s21
	v_cmp_eq_u32_e64 s26, 4, v82
	v_cndmask_b32_e64 v65, v65, v85, s23
	v_cmp_eq_u32_e64 s28, 5, v82
	v_cmp_eq_u32_e64 s29, 6, v82
	v_cndmask_b32_e64 v71, v71, v89, s23
	v_cndmask_b32_e64 v84, v84, v100, s22
	;; [unrolled: 1-line block ×4, first 2 shown]
	v_cmp_eq_u32_e64 s27, 7, v78
	v_cndmask_b32_e64 v71, v71, v72, s25
	v_cndmask_b32_e64 v84, v84, v91, s24
	;; [unrolled: 1-line block ×3, first 2 shown]
	s_waitcnt lgkmcnt(1)
	v_lshrrev_b32_e32 v72, 16, v92
	v_lshrrev_b32_e32 v88, 16, v93
	v_cndmask_b32_e64 v71, v71, v90, s26
	v_cndmask_b32_e64 v66, v66, v70, s27
	;; [unrolled: 1-line block ×3, first 2 shown]
	v_cndmask_b32_e32 v86, v92, v72, vcc_lo
	v_cndmask_b32_e64 v89, v92, v72, s3
	v_cndmask_b32_e64 v68, v71, v100, s28
	s_waitcnt lgkmcnt(0)
	v_lshrrev_b32_e32 v71, 16, v96
	v_cndmask_b32_e64 v65, v65, v87, s29
	v_cndmask_b32_e64 v86, v86, v93, s4
	;; [unrolled: 1-line block ×4, first 2 shown]
	v_cndmask_b32_e32 v90, v96, v71, vcc_lo
	v_cmp_eq_u32_e32 vcc_lo, 7, v82
	v_cndmask_b32_e64 v86, v86, v88, s7
	v_cndmask_b32_e64 v87, v87, v88, s8
	v_lshrrev_b32_e32 v91, 16, v94
	v_cndmask_b32_e64 v89, v90, v97, s4
	v_lshrrev_b32_e32 v90, 16, v97
	v_cndmask_b32_e64 v86, v86, v94, s9
	v_dual_cndmask_b32 v65, v65, v70 :: v_dual_cndmask_b32 v68, v68, v101
	v_cndmask_b32_e64 v70, v87, v94, s11
	s_delay_alu instid0(VALU_DEP_4) | instskip(NEXT) | instid1(VALU_DEP_4)
	v_cndmask_b32_e64 v89, v89, v90, s7
	v_cndmask_b32_e64 v86, v86, v91, s10
	v_lshrrev_b32_e32 v100, 16, v98
	v_cndmask_b32_e64 v84, v84, v101, s27
	v_perm_b32 v87, v68, v65, 0x5040100
	v_cndmask_b32_e64 v89, v89, v98, s9
	v_cndmask_b32_e64 v65, v70, v91, s13
	;; [unrolled: 1-line block ×3, first 2 shown]
	v_lshrrev_b32_e32 v70, 16, v95
	v_cndmask_b32_e64 v85, v105, v101, s18
	v_cndmask_b32_e64 v89, v89, v100, s10
	v_perm_b32 v86, v84, v66, 0x5040100
	v_cndmask_b32_e64 v101, v96, v71, s5
	v_cndmask_b32_e64 v66, v68, v70, s15
	;; [unrolled: 1-line block ×8, first 2 shown]
	v_lshrrev_b32_e32 v84, 16, v99
	v_cndmask_b32_e64 v89, v89, v93, s17
	v_cndmask_b32_e64 v72, v72, v93, s23
	;; [unrolled: 1-line block ×27, first 2 shown]
	v_cndmask_b32_e32 v70, v72, v70, vcc_lo
	v_cndmask_b32_e32 v72, v88, v84, vcc_lo
	v_cndmask_b32_e64 v88, v90, v84, s27
	v_cndmask_b32_e64 v71, v71, v84, s18
	;; [unrolled: 1-line block ×3, first 2 shown]
	v_perm_b32 v85, v85, v104, 0x5040100
	v_perm_b32 v84, v103, v102, 0x5040100
	;; [unrolled: 1-line block ×6, first 2 shown]
	s_lshl_b32 s8, s35, 1
	s_mov_b32 s3, exec_lo
	ds_store_b128 v77, v[84:87]
	ds_store_b128 v77, v[88:91] offset:1024
	v_cmpx_gt_u32_e32 2, v0
	s_cbranch_execz .LBB1623_78
; %bb.77:
	v_or_b32_e32 v65, s31, v0
	s_load_b128 s[4:7], s[0:1], 0x58
	s_delay_alu instid0(VALU_DEP_1) | instskip(NEXT) | instid1(VALU_DEP_1)
	v_mad_u64_u32 v[70:71], null, s8, s30, v[65:66]
	v_mad_u64_u32 v[65:66], null, v70, s34, s[14:15]
	s_delay_alu instid0(VALU_DEP_1) | instskip(NEXT) | instid1(VALU_DEP_1)
	v_ashrrev_i32_e32 v66, 31, v65
	v_lshlrev_b64 v[65:66], 2, v[65:66]
	s_waitcnt lgkmcnt(0)
	s_delay_alu instid0(VALU_DEP_1) | instskip(NEXT) | instid1(VALU_DEP_2)
	v_add_co_u32 v70, vcc_lo, s6, v65
	v_add_co_ci_u32_e32 v71, vcc_lo, s7, v66, vcc_lo
	v_add_co_u32 v65, vcc_lo, s4, v65
	v_add_co_ci_u32_e32 v66, vcc_lo, s5, v66, vcc_lo
	global_store_b32 v[70:71], v67, off
	global_store_b32 v[65:66], v69, off
.LBB1623_78:
	s_or_b32 exec_lo, exec_lo, s3
	s_waitcnt lgkmcnt(0)
	s_waitcnt_vscnt null, 0x0
	s_barrier
	buffer_gl0_inv
	ds_load_b128 v[84:87], v81
	ds_load_b128 v[88:91], v81 offset:16
	ds_load_b128 v[96:99], v81 offset:2064
	;; [unrolled: 1-line block ×3, first 2 shown]
	v_mov_b32_e32 v65, 0
	ds_load_b128 v[104:107], v81 offset:4112
	ds_load_b128 v[100:103], v81 offset:4096
	;; [unrolled: 1-line block ×4, first 2 shown]
	v_mov_b32_e32 v66, v65
	v_mov_b32_e32 v67, v65
	;; [unrolled: 1-line block ×7, first 2 shown]
	s_waitcnt lgkmcnt(6)
	s_delay_alu instid0(VALU_DEP_1)
	v_wmma_f32_16x16x16_bf16 v[65:72], v[41:48], v[84:91], v[65:72]
	ds_load_b128 v[45:48], v81 offset:8208
	ds_load_b128 v[41:44], v81 offset:8192
	s_waitcnt lgkmcnt(6)
	v_wmma_f32_16x16x16_bf16 v[65:72], v[33:40], v[92:99], v[65:72]
	ds_load_b128 v[37:40], v81 offset:10256
	ds_load_b128 v[33:36], v81 offset:10240
	s_waitcnt lgkmcnt(6)
	;; [unrolled: 4-line block ×4, first 2 shown]
	v_wmma_f32_16x16x16_bf16 v[65:72], v[1:8], v[41:48], v[65:72]
	s_waitcnt lgkmcnt(4)
	s_delay_alu instid0(VALU_DEP_1) | instskip(SKIP_1) | instid1(VALU_DEP_1)
	v_wmma_f32_16x16x16_bf16 v[65:72], v[9:16], v[33:40], v[65:72]
	s_waitcnt lgkmcnt(2)
	v_wmma_f32_16x16x16_bf16 v[65:72], v[57:64], v[25:32], v[65:72]
	s_waitcnt lgkmcnt(0)
	s_delay_alu instid0(VALU_DEP_1) | instskip(NEXT) | instid1(VALU_DEP_1)
	v_wmma_f32_16x16x16_bf16 v[65:72], v[49:56], v[17:24], v[65:72]
	v_and_b32_e32 v1, 0x7f800000, v65
	s_delay_alu instid0(VALU_DEP_1) | instskip(SKIP_1) | instid1(SALU_CYCLE_1)
	v_cmp_ne_u32_e32 vcc_lo, 0x7f800000, v1
                                        ; implicit-def: $vgpr1
	s_and_saveexec_b32 s3, vcc_lo
	s_xor_b32 s3, exec_lo, s3
; %bb.79:
	v_bfe_u32 v1, v65, 16, 1
	s_delay_alu instid0(VALU_DEP_1)
	v_add3_u32 v1, v65, v1, 0x7fff
; %bb.80:
	s_and_not1_saveexec_b32 s3, s3
; %bb.81:
	v_and_b32_e32 v1, 0xffff, v65
	v_or_b32_e32 v2, 0x10000, v65
	s_delay_alu instid0(VALU_DEP_2) | instskip(NEXT) | instid1(VALU_DEP_2)
	v_cmp_eq_u32_e32 vcc_lo, 0, v1
	v_cndmask_b32_e32 v1, v2, v65, vcc_lo
; %bb.82:
	s_or_b32 exec_lo, exec_lo, s3
	v_and_b32_e32 v2, 0x7f800000, v66
	s_delay_alu instid0(VALU_DEP_1) | instskip(SKIP_1) | instid1(SALU_CYCLE_1)
	v_cmp_ne_u32_e32 vcc_lo, 0x7f800000, v2
                                        ; implicit-def: $vgpr2
	s_and_saveexec_b32 s3, vcc_lo
	s_xor_b32 s3, exec_lo, s3
; %bb.83:
	v_bfe_u32 v2, v66, 16, 1
	s_delay_alu instid0(VALU_DEP_1)
	v_add3_u32 v2, v66, v2, 0x7fff
; %bb.84:
	s_and_not1_saveexec_b32 s3, s3
; %bb.85:
	v_and_b32_e32 v2, 0xffff, v66
	v_or_b32_e32 v3, 0x10000, v66
	s_delay_alu instid0(VALU_DEP_2) | instskip(NEXT) | instid1(VALU_DEP_2)
	v_cmp_eq_u32_e32 vcc_lo, 0, v2
	v_cndmask_b32_e32 v2, v3, v66, vcc_lo
; %bb.86:
	s_or_b32 exec_lo, exec_lo, s3
	v_and_b32_e32 v3, 0x7f800000, v67
	s_delay_alu instid0(VALU_DEP_1) | instskip(SKIP_1) | instid1(SALU_CYCLE_1)
	v_cmp_ne_u32_e32 vcc_lo, 0x7f800000, v3
                                        ; implicit-def: $vgpr3
	s_and_saveexec_b32 s3, vcc_lo
	s_xor_b32 s3, exec_lo, s3
; %bb.87:
	v_bfe_u32 v3, v67, 16, 1
	s_delay_alu instid0(VALU_DEP_1)
	v_add3_u32 v3, v67, v3, 0x7fff
; %bb.88:
	s_and_not1_saveexec_b32 s3, s3
; %bb.89:
	v_and_b32_e32 v3, 0xffff, v67
	v_or_b32_e32 v4, 0x10000, v67
	s_delay_alu instid0(VALU_DEP_2) | instskip(NEXT) | instid1(VALU_DEP_2)
	v_cmp_eq_u32_e32 vcc_lo, 0, v3
	v_cndmask_b32_e32 v3, v4, v67, vcc_lo
; %bb.90:
	s_or_b32 exec_lo, exec_lo, s3
	v_and_b32_e32 v4, 0x7f800000, v68
	s_delay_alu instid0(VALU_DEP_1) | instskip(SKIP_1) | instid1(SALU_CYCLE_1)
	v_cmp_ne_u32_e32 vcc_lo, 0x7f800000, v4
                                        ; implicit-def: $vgpr4
	s_and_saveexec_b32 s3, vcc_lo
	s_xor_b32 s3, exec_lo, s3
; %bb.91:
	v_bfe_u32 v4, v68, 16, 1
	s_delay_alu instid0(VALU_DEP_1)
	v_add3_u32 v4, v68, v4, 0x7fff
; %bb.92:
	s_and_not1_saveexec_b32 s3, s3
; %bb.93:
	v_and_b32_e32 v4, 0xffff, v68
	v_or_b32_e32 v5, 0x10000, v68
	s_delay_alu instid0(VALU_DEP_2) | instskip(NEXT) | instid1(VALU_DEP_2)
	v_cmp_eq_u32_e32 vcc_lo, 0, v4
	v_cndmask_b32_e32 v4, v5, v68, vcc_lo
; %bb.94:
	s_or_b32 exec_lo, exec_lo, s3
	v_and_b32_e32 v5, 0x7f800000, v69
	s_delay_alu instid0(VALU_DEP_1) | instskip(SKIP_1) | instid1(SALU_CYCLE_1)
	v_cmp_ne_u32_e32 vcc_lo, 0x7f800000, v5
                                        ; implicit-def: $vgpr5
	s_and_saveexec_b32 s3, vcc_lo
	s_xor_b32 s3, exec_lo, s3
; %bb.95:
	v_bfe_u32 v5, v69, 16, 1
	s_delay_alu instid0(VALU_DEP_1)
	v_add3_u32 v5, v69, v5, 0x7fff
; %bb.96:
	s_and_not1_saveexec_b32 s3, s3
; %bb.97:
	v_and_b32_e32 v5, 0xffff, v69
	v_or_b32_e32 v6, 0x10000, v69
	s_delay_alu instid0(VALU_DEP_2) | instskip(NEXT) | instid1(VALU_DEP_2)
	v_cmp_eq_u32_e32 vcc_lo, 0, v5
	v_cndmask_b32_e32 v5, v6, v69, vcc_lo
; %bb.98:
	s_or_b32 exec_lo, exec_lo, s3
	v_and_b32_e32 v6, 0x7f800000, v70
	s_delay_alu instid0(VALU_DEP_1) | instskip(SKIP_1) | instid1(SALU_CYCLE_1)
	v_cmp_ne_u32_e32 vcc_lo, 0x7f800000, v6
                                        ; implicit-def: $vgpr6
	s_and_saveexec_b32 s3, vcc_lo
	s_xor_b32 s3, exec_lo, s3
; %bb.99:
	v_bfe_u32 v6, v70, 16, 1
	s_delay_alu instid0(VALU_DEP_1)
	v_add3_u32 v6, v70, v6, 0x7fff
; %bb.100:
	s_and_not1_saveexec_b32 s3, s3
; %bb.101:
	v_and_b32_e32 v6, 0xffff, v70
	v_or_b32_e32 v7, 0x10000, v70
	s_delay_alu instid0(VALU_DEP_2) | instskip(NEXT) | instid1(VALU_DEP_2)
	v_cmp_eq_u32_e32 vcc_lo, 0, v6
	v_cndmask_b32_e32 v6, v7, v70, vcc_lo
; %bb.102:
	s_or_b32 exec_lo, exec_lo, s3
	v_and_b32_e32 v7, 0x7f800000, v71
	s_delay_alu instid0(VALU_DEP_1) | instskip(SKIP_1) | instid1(SALU_CYCLE_1)
	v_cmp_ne_u32_e32 vcc_lo, 0x7f800000, v7
                                        ; implicit-def: $vgpr7
	s_and_saveexec_b32 s3, vcc_lo
	s_xor_b32 s3, exec_lo, s3
; %bb.103:
	v_bfe_u32 v7, v71, 16, 1
	s_delay_alu instid0(VALU_DEP_1)
	v_add3_u32 v7, v71, v7, 0x7fff
; %bb.104:
	s_and_not1_saveexec_b32 s3, s3
; %bb.105:
	v_and_b32_e32 v7, 0xffff, v71
	v_or_b32_e32 v8, 0x10000, v71
	s_delay_alu instid0(VALU_DEP_2) | instskip(NEXT) | instid1(VALU_DEP_2)
	v_cmp_eq_u32_e32 vcc_lo, 0, v7
	v_cndmask_b32_e32 v7, v8, v71, vcc_lo
; %bb.106:
	s_or_b32 exec_lo, exec_lo, s3
	v_and_b32_e32 v8, 0x7f800000, v72
	s_delay_alu instid0(VALU_DEP_1) | instskip(SKIP_1) | instid1(SALU_CYCLE_1)
	v_cmp_ne_u32_e32 vcc_lo, 0x7f800000, v8
                                        ; implicit-def: $vgpr8
	s_and_saveexec_b32 s3, vcc_lo
	s_xor_b32 s3, exec_lo, s3
; %bb.107:
	v_bfe_u32 v8, v72, 16, 1
	s_delay_alu instid0(VALU_DEP_1)
	v_add3_u32 v8, v72, v8, 0x7fff
                                        ; implicit-def: $vgpr65_vgpr66_vgpr67_vgpr68_vgpr69_vgpr70_vgpr71_vgpr72
; %bb.108:
	s_and_not1_saveexec_b32 s3, s3
; %bb.109:
	v_and_b32_e32 v8, 0xffff, v72
	v_or_b32_e32 v9, 0x10000, v72
	s_delay_alu instid0(VALU_DEP_2) | instskip(NEXT) | instid1(VALU_DEP_2)
	v_cmp_eq_u32_e32 vcc_lo, 0, v8
	v_cndmask_b32_e32 v8, v9, v72, vcc_lo
; %bb.110:
	s_or_b32 exec_lo, exec_lo, s3
	s_delay_alu instid0(VALU_DEP_1)
	v_perm_b32 v7, v8, v7, 0x7060302
	v_perm_b32 v6, v6, v5, 0x7060302
	v_perm_b32 v5, v4, v3, 0x7060302
	v_perm_b32 v4, v2, v1, 0x7060302
	s_barrier
	buffer_gl0_inv
	v_cmp_eq_u32_e32 vcc_lo, 1, v79
	ds_store_b128 v77, v[4:7]
	s_waitcnt lgkmcnt(0)
	s_barrier
	buffer_gl0_inv
	ds_load_b128 v[1:4], v83
	ds_load_b128 v[5:8], v83 offset:16
	v_cmp_eq_u32_e64 s3, 1, v80
	v_cmp_eq_u32_e64 s4, 2, v79
	;; [unrolled: 1-line block ×5, first 2 shown]
	s_waitcnt lgkmcnt(1)
	v_lshrrev_b32_e32 v9, 16, v1
	s_waitcnt lgkmcnt(0)
	v_lshrrev_b32_e32 v13, 16, v5
	v_lshrrev_b32_e32 v10, 16, v2
	;; [unrolled: 1-line block ×4, first 2 shown]
	v_cndmask_b32_e64 v19, v1, v9, s3
	v_cndmask_b32_e32 v18, v5, v13, vcc_lo
	v_cndmask_b32_e64 v20, v5, v13, s3
	v_cndmask_b32_e32 v17, v1, v9, vcc_lo
	v_cmp_eq_u32_e32 vcc_lo, 2, v80
	v_lshrrev_b32_e32 v15, 16, v7
	v_cmp_eq_u32_e64 s3, 1, v78
	v_lshrrev_b32_e32 v12, 16, v4
	v_lshrrev_b32_e32 v16, 16, v8
	v_cndmask_b32_e32 v20, v20, v6, vcc_lo
	v_cndmask_b32_e64 v17, v17, v2, s4
	v_cndmask_b32_e32 v19, v19, v2, vcc_lo
	v_cndmask_b32_e64 v18, v18, v6, s4
	v_cmp_eq_u32_e32 vcc_lo, 4, v79
	v_cmp_eq_u32_e64 s4, 3, v80
	v_cndmask_b32_e64 v17, v17, v10, s5
	v_cndmask_b32_e64 v21, v1, v9, s3
	;; [unrolled: 1-line block ×5, first 2 shown]
	v_cndmask_b32_e32 v17, v17, v3, vcc_lo
	v_cndmask_b32_e64 v20, v20, v14, s4
	v_cndmask_b32_e32 v18, v18, v7, vcc_lo
	v_cmp_eq_u32_e32 vcc_lo, 4, v80
	v_cmp_eq_u32_e64 s4, 5, v80
	v_cmp_eq_u32_e64 s3, 2, v82
	v_cndmask_b32_e64 v21, v21, v2, s7
	v_cmp_eq_u32_e64 s5, 5, v79
	v_cndmask_b32_e32 v19, v19, v3, vcc_lo
	v_cndmask_b32_e32 v20, v20, v7, vcc_lo
	v_cmp_eq_u32_e32 vcc_lo, 6, v80
	s_delay_alu instid0(VALU_DEP_4) | instskip(NEXT) | instid1(VALU_DEP_4)
	v_cndmask_b32_e64 v17, v17, v11, s5
	v_cndmask_b32_e64 v19, v19, v11, s4
	s_delay_alu instid0(VALU_DEP_4) | instskip(SKIP_1) | instid1(VALU_DEP_3)
	v_cndmask_b32_e64 v20, v20, v15, s4
	v_cmp_eq_u32_e64 s4, 1, v82
	v_cndmask_b32_e32 v19, v19, v4, vcc_lo
	v_cndmask_b32_e64 v18, v18, v15, s5
	s_delay_alu instid0(VALU_DEP_3)
	v_cndmask_b32_e64 v1, v1, v9, s4
	v_cndmask_b32_e64 v5, v5, v13, s4
	v_cmp_eq_u32_e64 s4, 3, v78
	v_cndmask_b32_e64 v13, v22, v6, s7
	v_cmp_eq_u32_e64 s7, 3, v82
	v_cndmask_b32_e64 v1, v1, v2, s3
	v_cndmask_b32_e64 v2, v5, v6, s3
	;; [unrolled: 1-line block ×3, first 2 shown]
	v_cmp_eq_u32_e64 s3, 4, v78
	v_cndmask_b32_e64 v6, v13, v14, s4
	v_cndmask_b32_e64 v1, v1, v10, s7
	v_cmp_eq_u32_e64 s4, 4, v82
	v_cndmask_b32_e64 v2, v2, v14, s7
	v_cndmask_b32_e64 v5, v9, v3, s3
	;; [unrolled: 3-line block ×3, first 2 shown]
	v_cndmask_b32_e64 v2, v2, v7, s4
	v_cmp_eq_u32_e64 s3, 5, v82
	v_cmp_eq_u32_e64 s5, 6, v79
	v_cndmask_b32_e64 v5, v5, v11, s7
	v_cmp_eq_u32_e64 s4, 6, v78
	v_cndmask_b32_e64 v3, v6, v15, s7
	v_cndmask_b32_e64 v1, v1, v11, s3
	v_cmp_eq_u32_e64 s7, 6, v82
	v_cndmask_b32_e64 v2, v2, v15, s3
	v_cndmask_b32_e64 v17, v17, v4, s5
	v_cndmask_b32_e64 v18, v18, v8, s5
	v_cmp_eq_u32_e64 s5, 7, v79
	v_cndmask_b32_e64 v5, v5, v4, s4
	;; [unrolled: 4-line block ×3, first 2 shown]
	v_cmp_eq_u32_e64 s4, 7, v78
	v_cndmask_b32_e32 v4, v20, v8, vcc_lo
	v_cndmask_b32_e64 v17, v17, v12, s5
	v_cndmask_b32_e64 v19, v19, v12, s6
	;; [unrolled: 1-line block ×8, first 2 shown]
	s_delay_alu instid0(VALU_DEP_4) | instskip(NEXT) | instid1(VALU_DEP_4)
	v_perm_b32 v4, v2, v1, 0x5040100
	v_perm_b32 v3, v3, v5, 0x5040100
	s_delay_alu instid0(VALU_DEP_4) | instskip(NEXT) | instid1(VALU_DEP_4)
	v_perm_b32 v2, v6, v19, 0x5040100
	v_perm_b32 v1, v7, v17, 0x5040100
	ds_store_b128 v77, v[1:4]
	s_waitcnt lgkmcnt(0)
	s_barrier
	buffer_gl0_inv
	s_and_saveexec_b32 s3, s2
	s_cbranch_execz .LBB1623_2
; %bb.111:
	s_load_b64 s[0:1], s[0:1], 0x68
	v_lshlrev_b32_e32 v0, 10, v0
	s_lshl_b32 s2, s34, 7
	v_lshlrev_b32_e32 v1, 4, v76
	v_mul_lo_u32 v4, s2, v75
	s_mul_i32 s3, s2, s30
	v_and_b32_e32 v0, 0x3800, v0
	s_mul_i32 s2, s3, s8
	s_delay_alu instid0(SALU_CYCLE_1) | instskip(NEXT) | instid1(VALU_DEP_1)
	s_ashr_i32 s3, s2, 31
	v_or3_b32 v0, v0, v74, v1
	s_lshl_b64 s[2:3], s[2:3], 1
	s_delay_alu instid0(VALU_DEP_3)
	v_ashrrev_i32_e32 v5, 31, v4
	ds_load_b128 v[0:3], v0
	v_lshlrev_b64 v[4:5], 1, v[4:5]
	s_waitcnt lgkmcnt(0)
	s_add_u32 s2, s0, s2
	s_addc_u32 s3, s1, s3
	s_lshl_b32 s0, s14, 7
	s_delay_alu instid0(SALU_CYCLE_1) | instskip(NEXT) | instid1(SALU_CYCLE_1)
	s_ashr_i32 s1, s0, 31
	s_lshl_b64 s[0:1], s[0:1], 1
	s_delay_alu instid0(SALU_CYCLE_1) | instskip(SKIP_3) | instid1(VALU_DEP_2)
	s_add_u32 s0, s2, s0
	s_addc_u32 s1, s3, s1
	v_add_co_u32 v4, vcc_lo, s0, v4
	v_add_co_ci_u32_e32 v5, vcc_lo, s1, v5, vcc_lo
	v_add_co_u32 v4, vcc_lo, v4, v73
	s_delay_alu instid0(VALU_DEP_2)
	v_add_co_ci_u32_e32 v5, vcc_lo, 0, v5, vcc_lo
	global_store_b128 v[4:5], v[0:3], off
	s_nop 0
	s_sendmsg sendmsg(MSG_DEALLOC_VGPRS)
	s_endpgm
	.section	.rodata,"a",@progbits
	.p2align	6, 0x0
	.amdhsa_kernel _Z39paged_attention_ll4mi_QKV_mfma16_kernelI14__hip_bfloat16hLN4vllm18Fp8KVCacheDataTypeE1EhLi32ELi128ELi256ELb0ELi2EL8MFMAType1EEvPKT_PKT0_S9_ifPKiSB_SB_iPKfiiiPfSE_PS4_PT2_iSD_SD_
		.amdhsa_group_segment_fixed_size 17472
		.amdhsa_private_segment_fixed_size 0
		.amdhsa_kernarg_size 400
		.amdhsa_user_sgpr_count 13
		.amdhsa_user_sgpr_dispatch_ptr 0
		.amdhsa_user_sgpr_queue_ptr 0
		.amdhsa_user_sgpr_kernarg_segment_ptr 1
		.amdhsa_user_sgpr_dispatch_id 0
		.amdhsa_user_sgpr_private_segment_size 0
		.amdhsa_wavefront_size32 1
		.amdhsa_uses_dynamic_stack 0
		.amdhsa_enable_private_segment 0
		.amdhsa_system_sgpr_workgroup_id_x 1
		.amdhsa_system_sgpr_workgroup_id_y 1
		.amdhsa_system_sgpr_workgroup_id_z 1
		.amdhsa_system_sgpr_workgroup_info 0
		.amdhsa_system_vgpr_workitem_id 0
		.amdhsa_next_free_vgpr 138
		.amdhsa_next_free_sgpr 37
		.amdhsa_reserve_vcc 1
		.amdhsa_float_round_mode_32 0
		.amdhsa_float_round_mode_16_64 0
		.amdhsa_float_denorm_mode_32 3
		.amdhsa_float_denorm_mode_16_64 3
		.amdhsa_dx10_clamp 1
		.amdhsa_ieee_mode 1
		.amdhsa_fp16_overflow 0
		.amdhsa_workgroup_processor_mode 1
		.amdhsa_memory_ordered 1
		.amdhsa_forward_progress 0
		.amdhsa_shared_vgpr_count 0
		.amdhsa_exception_fp_ieee_invalid_op 0
		.amdhsa_exception_fp_denorm_src 0
		.amdhsa_exception_fp_ieee_div_zero 0
		.amdhsa_exception_fp_ieee_overflow 0
		.amdhsa_exception_fp_ieee_underflow 0
		.amdhsa_exception_fp_ieee_inexact 0
		.amdhsa_exception_int_div_zero 0
	.end_amdhsa_kernel
	.section	.text._Z39paged_attention_ll4mi_QKV_mfma16_kernelI14__hip_bfloat16hLN4vllm18Fp8KVCacheDataTypeE1EhLi32ELi128ELi256ELb0ELi2EL8MFMAType1EEvPKT_PKT0_S9_ifPKiSB_SB_iPKfiiiPfSE_PS4_PT2_iSD_SD_,"axG",@progbits,_Z39paged_attention_ll4mi_QKV_mfma16_kernelI14__hip_bfloat16hLN4vllm18Fp8KVCacheDataTypeE1EhLi32ELi128ELi256ELb0ELi2EL8MFMAType1EEvPKT_PKT0_S9_ifPKiSB_SB_iPKfiiiPfSE_PS4_PT2_iSD_SD_,comdat
.Lfunc_end1623:
	.size	_Z39paged_attention_ll4mi_QKV_mfma16_kernelI14__hip_bfloat16hLN4vllm18Fp8KVCacheDataTypeE1EhLi32ELi128ELi256ELb0ELi2EL8MFMAType1EEvPKT_PKT0_S9_ifPKiSB_SB_iPKfiiiPfSE_PS4_PT2_iSD_SD_, .Lfunc_end1623-_Z39paged_attention_ll4mi_QKV_mfma16_kernelI14__hip_bfloat16hLN4vllm18Fp8KVCacheDataTypeE1EhLi32ELi128ELi256ELb0ELi2EL8MFMAType1EEvPKT_PKT0_S9_ifPKiSB_SB_iPKfiiiPfSE_PS4_PT2_iSD_SD_
                                        ; -- End function
	.section	.AMDGPU.csdata,"",@progbits
; Kernel info:
; codeLenInByte = 8652
; NumSgprs: 39
; NumVgprs: 138
; ScratchSize: 0
; MemoryBound: 0
; FloatMode: 240
; IeeeMode: 1
; LDSByteSize: 17472 bytes/workgroup (compile time only)
; SGPRBlocks: 4
; VGPRBlocks: 17
; NumSGPRsForWavesPerEU: 39
; NumVGPRsForWavesPerEU: 138
; Occupancy: 10
; WaveLimiterHint : 1
; COMPUTE_PGM_RSRC2:SCRATCH_EN: 0
; COMPUTE_PGM_RSRC2:USER_SGPR: 13
; COMPUTE_PGM_RSRC2:TRAP_HANDLER: 0
; COMPUTE_PGM_RSRC2:TGID_X_EN: 1
; COMPUTE_PGM_RSRC2:TGID_Y_EN: 1
; COMPUTE_PGM_RSRC2:TGID_Z_EN: 1
; COMPUTE_PGM_RSRC2:TIDIG_COMP_CNT: 0
	.section	.text._Z39paged_attention_ll4mi_QKV_mfma16_kernelI14__hip_bfloat16hLN4vllm18Fp8KVCacheDataTypeE1EhLi32ELi128ELi256ELb0ELi3EL8MFMAType1EEvPKT_PKT0_S9_ifPKiSB_SB_iPKfiiiPfSE_PS4_PT2_iSD_SD_,"axG",@progbits,_Z39paged_attention_ll4mi_QKV_mfma16_kernelI14__hip_bfloat16hLN4vllm18Fp8KVCacheDataTypeE1EhLi32ELi128ELi256ELb0ELi3EL8MFMAType1EEvPKT_PKT0_S9_ifPKiSB_SB_iPKfiiiPfSE_PS4_PT2_iSD_SD_,comdat
	.protected	_Z39paged_attention_ll4mi_QKV_mfma16_kernelI14__hip_bfloat16hLN4vllm18Fp8KVCacheDataTypeE1EhLi32ELi128ELi256ELb0ELi3EL8MFMAType1EEvPKT_PKT0_S9_ifPKiSB_SB_iPKfiiiPfSE_PS4_PT2_iSD_SD_ ; -- Begin function _Z39paged_attention_ll4mi_QKV_mfma16_kernelI14__hip_bfloat16hLN4vllm18Fp8KVCacheDataTypeE1EhLi32ELi128ELi256ELb0ELi3EL8MFMAType1EEvPKT_PKT0_S9_ifPKiSB_SB_iPKfiiiPfSE_PS4_PT2_iSD_SD_
	.globl	_Z39paged_attention_ll4mi_QKV_mfma16_kernelI14__hip_bfloat16hLN4vllm18Fp8KVCacheDataTypeE1EhLi32ELi128ELi256ELb0ELi3EL8MFMAType1EEvPKT_PKT0_S9_ifPKiSB_SB_iPKfiiiPfSE_PS4_PT2_iSD_SD_
	.p2align	8
	.type	_Z39paged_attention_ll4mi_QKV_mfma16_kernelI14__hip_bfloat16hLN4vllm18Fp8KVCacheDataTypeE1EhLi32ELi128ELi256ELb0ELi3EL8MFMAType1EEvPKT_PKT0_S9_ifPKiSB_SB_iPKfiiiPfSE_PS4_PT2_iSD_SD_,@function
_Z39paged_attention_ll4mi_QKV_mfma16_kernelI14__hip_bfloat16hLN4vllm18Fp8KVCacheDataTypeE1EhLi32ELi128ELi256ELb0ELi3EL8MFMAType1EEvPKT_PKT0_S9_ifPKiSB_SB_iPKfiiiPfSE_PS4_PT2_iSD_SD_: ; @_Z39paged_attention_ll4mi_QKV_mfma16_kernelI14__hip_bfloat16hLN4vllm18Fp8KVCacheDataTypeE1EhLi32ELi128ELi256ELb0ELi3EL8MFMAType1EEvPKT_PKT0_S9_ifPKiSB_SB_iPKfiiiPfSE_PS4_PT2_iSD_SD_
; %bb.0:
	s_load_b64 s[4:5], s[0:1], 0x30
	s_mov_b32 s30, s13
	s_waitcnt lgkmcnt(0)
	s_cmp_lg_u64 s[4:5], 0
	s_cselect_b32 s13, -1, 0
	s_ashr_i32 s31, s30, 31
	s_cmp_eq_u64 s[4:5], 0
	s_cbranch_scc1 .LBB1624_3
; %bb.1:
	s_lshl_b64 s[2:3], s[30:31], 2
	s_delay_alu instid0(SALU_CYCLE_1) | instskip(SKIP_4) | instid1(SALU_CYCLE_1)
	s_add_u32 s2, s4, s2
	s_addc_u32 s3, s5, s3
	s_load_b64 s[2:3], s[2:3], 0x0
	s_waitcnt lgkmcnt(0)
	s_sub_i32 s2, s3, s2
	s_cmp_eq_u32 s2, 1
	s_cselect_b32 s2, -1, 0
	s_delay_alu instid0(SALU_CYCLE_1)
	s_and_not1_b32 vcc_lo, exec_lo, s2
	s_cbranch_vccz .LBB1624_4
.LBB1624_2:
	s_nop 0
	s_sendmsg sendmsg(MSG_DEALLOC_VGPRS)
	s_endpgm
.LBB1624_3:
.LBB1624_4:
	s_load_b64 s[2:3], s[0:1], 0x28
	s_lshl_b64 s[6:7], s[30:31], 2
	s_waitcnt lgkmcnt(0)
	s_add_u32 s2, s2, s6
	s_addc_u32 s3, s3, s7
	s_lshl_b32 s12, s14, 8
	s_load_b32 s17, s[2:3], 0x0
	s_waitcnt lgkmcnt(0)
	s_cmp_ge_i32 s12, s17
	s_cbranch_scc1 .LBB1624_2
; %bb.5:
	s_clause 0x1
	s_load_b128 s[8:11], s[0:1], 0x8
	s_load_b64 s[2:3], s[0:1], 0x20
	s_and_not1_b32 vcc_lo, exec_lo, s13
	s_cbranch_vccnz .LBB1624_7
; %bb.6:
	s_add_u32 s4, s4, s6
	s_addc_u32 s5, s5, s7
	s_load_b32 s13, s[4:5], 0x0
	s_branch .LBB1624_8
.LBB1624_7:
	s_mov_b32 s13, s30
.LBB1624_8:
	s_load_b128 s[4:7], s[0:1], 0x48
	v_and_b32_e32 v65, 15, v0
	v_lshrrev_b32_e32 v66, 5, v0
	v_bfe_u32 v74, v0, 4, 1
	v_and_b32_e32 v67, 31, v0
	v_and_b32_e32 v75, 1, v0
	v_lshlrev_b32_e32 v2, 3, v65
	s_mul_i32 s31, s15, 3
	v_lshl_or_b32 v1, v66, 1, v74
	s_waitcnt lgkmcnt(0)
	s_mov_b32 s7, exec_lo
	v_lshlrev_b32_e32 v73, 1, v2
	s_delay_alu instid0(VALU_DEP_2)
	v_cmpx_gt_u32_e32 3, v1
	s_cbranch_execz .LBB1624_10
; %bb.9:
	s_load_b64 s[18:19], s[0:1], 0x0
	v_add_lshl_u32 v2, v1, s31, 7
	s_mul_hi_i32 s21, s13, s4
	s_mul_i32 s20, s13, s4
	v_lshlrev_b32_e32 v6, 10, v65
	s_lshl_b64 s[20:21], s[20:21], 1
	v_ashrrev_i32_e32 v3, 31, v2
	v_lshlrev_b32_e32 v1, 6, v1
	v_lshlrev_b32_e32 v7, 10, v75
	v_and_b32_e32 v6, 0x3800, v6
	s_delay_alu instid0(VALU_DEP_4) | instskip(NEXT) | instid1(VALU_DEP_2)
	v_lshlrev_b64 v[2:3], 1, v[2:3]
	v_or3_b32 v1, v6, v7, v1
	s_waitcnt lgkmcnt(0)
	s_add_u32 s4, s18, s20
	s_addc_u32 s13, s19, s21
	s_delay_alu instid0(VALU_DEP_2) | instskip(SKIP_1) | instid1(VALU_DEP_2)
	v_add_co_u32 v2, vcc_lo, s4, v2
	v_add_co_ci_u32_e32 v3, vcc_lo, s13, v3, vcc_lo
	v_add_co_u32 v2, vcc_lo, v2, v73
	s_delay_alu instid0(VALU_DEP_2)
	v_add_co_ci_u32_e32 v3, vcc_lo, 0, v3, vcc_lo
	global_load_b128 v[2:5], v[2:3], off
	s_waitcnt vmcnt(0)
	ds_store_b128 v1, v[2:5]
.LBB1624_10:
	s_or_b32 exec_lo, exec_lo, s7
	v_and_b32_e32 v1, 0xef, v0
	s_add_i32 s4, s17, 31
	s_clause 0x1
	s_load_b32 s7, s[0:1], 0x38
	s_load_b32 s18, s[0:1], 0x1c
	s_ashr_i32 s13, s4, 31
	v_add_nc_u32_e32 v2, s12, v1
	s_lshr_b32 s13, s13, 27
	s_waitcnt lgkmcnt(0)
	s_add_i32 s4, s4, s13
	s_barrier
	v_ashrrev_i32_e32 v1, 31, v2
	s_ashr_i32 s4, s4, 5
	v_cmp_gt_i32_e32 vcc_lo, s17, v2
	s_add_i32 s4, s4, -1
	buffer_gl0_inv
	v_lshrrev_b32_e32 v3, 27, v1
	v_or_b32_e32 v1, 16, v2
	s_mul_i32 s15, s15, s6
	s_delay_alu instid0(VALU_DEP_2) | instskip(SKIP_1) | instid1(SALU_CYCLE_1)
	v_add_nc_u32_e32 v4, v2, v3
	s_mul_i32 s20, s30, s7
	s_ashr_i32 s21, s20, 31
	s_delay_alu instid0(VALU_DEP_1) | instskip(SKIP_2) | instid1(SALU_CYCLE_1)
	v_ashrrev_i32_e32 v4, 5, v4
	v_add_nc_u32_e32 v3, v1, v3
	s_lshl_b64 s[20:21], s[20:21], 2
	s_add_u32 s7, s2, s20
	s_delay_alu instid0(VALU_DEP_2) | instskip(NEXT) | instid1(VALU_DEP_2)
	v_cndmask_b32_e32 v2, s4, v4, vcc_lo
	v_ashrrev_i32_e32 v3, 5, v3
	v_cmp_gt_i32_e32 vcc_lo, s17, v1
	s_addc_u32 s13, s3, s21
	s_ashr_i32 s6, s15, 31
	s_add_u32 s2, s8, s15
	s_addc_u32 s3, s9, s6
	v_cndmask_b32_e32 v4, s4, v3, vcc_lo
	v_ashrrev_i32_e32 v3, 31, v2
	s_lshl_b32 s8, s14, 3
	s_delay_alu instid0(SALU_CYCLE_1) | instskip(NEXT) | instid1(VALU_DEP_2)
	s_ashr_i32 s9, s8, 31
	v_ashrrev_i32_e32 v5, 31, v4
	s_delay_alu instid0(VALU_DEP_2) | instskip(SKIP_1) | instid1(SALU_CYCLE_1)
	v_lshlrev_b64 v[1:2], 2, v[2:3]
	s_lshl_b64 s[8:9], s[8:9], 2
	s_add_u32 s8, s7, s8
	s_delay_alu instid0(VALU_DEP_2) | instskip(SKIP_1) | instid1(VALU_DEP_2)
	v_lshlrev_b64 v[3:4], 2, v[4:5]
	s_addc_u32 s9, s13, s9
	v_add_co_u32 v1, vcc_lo, s7, v1
	v_add_co_ci_u32_e32 v2, vcc_lo, s13, v2, vcc_lo
	s_delay_alu instid0(VALU_DEP_3) | instskip(NEXT) | instid1(VALU_DEP_4)
	v_add_co_u32 v3, vcc_lo, s7, v3
	v_add_co_ci_u32_e32 v4, vcc_lo, s13, v4, vcc_lo
	s_clause 0x1
	global_load_b32 v5, v[1:2], off
	global_load_b32 v6, v[3:4], off
	s_or_b32 s16, s12, 32
	s_delay_alu instid0(SALU_CYCLE_1) | instskip(SKIP_2) | instid1(SALU_CYCLE_1)
	s_ashr_i32 s19, s16, 5
	s_cmp_lt_i32 s16, s17
	s_cselect_b32 s20, s19, s4
	s_ashr_i32 s21, s20, 31
	s_delay_alu instid0(SALU_CYCLE_1) | instskip(NEXT) | instid1(SALU_CYCLE_1)
	s_lshl_b64 s[20:21], s[20:21], 2
	s_add_u32 s20, s7, s20
	s_addc_u32 s21, s13, s21
	s_or_b32 s16, s12, 64
	s_delay_alu instid0(SALU_CYCLE_1) | instskip(SKIP_2) | instid1(SALU_CYCLE_1)
	s_ashr_i32 s19, s16, 5
	s_cmp_lt_i32 s16, s17
	s_cselect_b32 s22, s19, s4
	s_ashr_i32 s23, s22, 31
	s_delay_alu instid0(SALU_CYCLE_1) | instskip(NEXT) | instid1(SALU_CYCLE_1)
	s_lshl_b64 s[22:23], s[22:23], 2
	s_add_u32 s22, s7, s22
	s_addc_u32 s23, s13, s23
	;; [unrolled: 10-line block ×5, first 2 shown]
	s_clause 0x5
	s_load_b32 s16, s[8:9], 0x0
	s_load_b32 s19, s[20:21], 0x0
	;; [unrolled: 1-line block ×6, first 2 shown]
	s_mov_b32 s20, 0
	s_delay_alu instid0(SALU_CYCLE_1)
	s_mov_b32 s21, s20
	s_mov_b32 s22, s20
	;; [unrolled: 1-line block ×7, first 2 shown]
	s_delay_alu instid0(SALU_CYCLE_1)
	v_dual_mov_b32 v107, s27 :: v_dual_mov_b32 v106, s26
	v_dual_mov_b32 v105, s25 :: v_dual_mov_b32 v102, s22
	;; [unrolled: 1-line block ×4, first 2 shown]
	s_waitcnt vmcnt(1)
	v_mad_i64_i32 v[1:2], null, v5, s5, s[2:3]
	v_lshlrev_b32_e32 v5, 4, v65
	s_waitcnt vmcnt(0)
	v_mad_i64_i32 v[3:4], null, v6, s5, s[2:3]
	s_or_b32 s2, s12, 0xc0
	s_delay_alu instid0(SALU_CYCLE_1) | instskip(NEXT) | instid1(VALU_DEP_3)
	s_ashr_i32 s3, s2, 5
	v_add_co_u32 v25, vcc_lo, v1, v5
	s_delay_alu instid0(VALU_DEP_4) | instskip(NEXT) | instid1(VALU_DEP_3)
	v_add_co_ci_u32_e32 v26, vcc_lo, 0, v2, vcc_lo
	v_add_co_u32 v27, vcc_lo, v3, v5
	s_delay_alu instid0(VALU_DEP_4)
	v_add_co_ci_u32_e32 v28, vcc_lo, 0, v4, vcc_lo
	s_clause 0xf
	global_load_b128 v[1:4], v[25:26], off
	global_load_b128 v[5:8], v[25:26], off offset:512
	global_load_b128 v[9:12], v[27:28], off offset:256
	;; [unrolled: 1-line block ×15, first 2 shown]
	v_mul_lo_u16 v25, 0x56, v65
	s_cmp_lt_i32 s2, s17
	v_lshlrev_b32_e32 v26, 5, v65
	s_cselect_b32 s2, s3, s4
	s_delay_alu instid0(VALU_DEP_2) | instskip(SKIP_1) | instid1(VALU_DEP_2)
	v_lshrrev_b16 v25, 8, v25
	s_ashr_i32 s3, s2, 31
	v_lshl_or_b32 v33, v66, 9, v26
	s_lshl_b64 s[2:3], s[2:3], 2
	s_delay_alu instid0(VALU_DEP_2) | instskip(SKIP_3) | instid1(VALU_DEP_1)
	v_mul_lo_u16 v25, v25, 3
	s_add_u32 s2, s7, s2
	s_addc_u32 s3, s13, s3
	s_or_b32 s8, s12, 0xe0
	v_sub_nc_u16 v25, v65, v25
	s_ashr_i32 s9, s8, 5
	s_cmp_lt_i32 s8, s17
	s_cselect_b32 s8, s9, s4
	s_delay_alu instid0(VALU_DEP_1) | instskip(SKIP_1) | instid1(SALU_CYCLE_1)
	v_and_b32_e32 v25, 0xff, v25
	s_ashr_i32 s9, s8, 31
	s_lshl_b64 s[8:9], s[8:9], 2
	s_delay_alu instid0(VALU_DEP_1)
	v_lshlrev_b32_e32 v72, 6, v25
	ds_load_b128 v[25:28], v72
	ds_load_b128 v[29:32], v72 offset:1024
	ds_load_b128 v[108:111], v72 offset:2048
	;; [unrolled: 1-line block ×3, first 2 shown]
	s_load_b32 s4, s[2:3], 0x0
	s_add_u32 s2, s7, s8
	s_addc_u32 s3, s13, s9
	ds_load_b128 v[116:119], v72 offset:4096
	ds_load_b128 v[120:123], v72 offset:5120
	s_load_b32 s2, s[2:3], 0x0
	s_add_u32 s7, s10, s15
	s_addc_u32 s6, s11, s6
	v_add_co_u32 v68, s7, s7, v33
	s_delay_alu instid0(VALU_DEP_1) | instskip(SKIP_1) | instid1(VALU_DEP_1)
	v_add_co_ci_u32_e64 v69, null, s6, 0, s7
	s_waitcnt lgkmcnt(0)
	v_mad_i64_i32 v[33:34], null, s16, s5, v[68:69]
	v_mad_i64_i32 v[70:71], null, s33, s5, v[68:69]
	;; [unrolled: 1-line block ×7, first 2 shown]
	s_clause 0x3
	global_load_b128 v[41:44], v[33:34], off
	global_load_b128 v[45:48], v[33:34], off offset:16
	global_load_b128 v[33:36], v[37:38], off
	global_load_b128 v[37:40], v[37:38], off offset:16
	s_waitcnt vmcnt(18)
	v_wmma_f32_16x16x16_bf16 v[124:131], v[1:8], v[25:32], v[100:107]
	s_waitcnt vmcnt(16)
	v_wmma_f32_16x16x16_bf16 v[100:107], v[9:16], v[25:32], v[100:107]
	s_clause 0x1
	global_load_b128 v[25:28], v[70:71], off
	global_load_b128 v[29:32], v[70:71], off offset:16
	s_waitcnt vmcnt(16)
	v_wmma_f32_16x16x16_bf16 v[124:131], v[17:24], v[108:115], v[124:131]
	s_clause 0x1
	global_load_b128 v[17:20], v[132:133], off
	global_load_b128 v[21:24], v[132:133], off offset:16
	s_waitcnt vmcnt(16)
	v_wmma_f32_16x16x16_bf16 v[100:107], v[49:56], v[108:115], v[100:107]
	v_mad_i64_i32 v[53:54], null, s2, s5, v[68:69]
	s_clause 0x3
	global_load_b128 v[1:4], v[134:135], off
	global_load_b128 v[5:8], v[134:135], off offset:16
	global_load_b128 v[9:12], v[136:137], off
	global_load_b128 v[13:16], v[136:137], off offset:16
	s_waitcnt vmcnt(18)
	v_wmma_f32_16x16x16_bf16 v[124:131], v[57:64], v[116:123], v[124:131]
	s_clause 0x3
	global_load_b128 v[57:60], v[138:139], off
	global_load_b128 v[61:64], v[138:139], off offset:16
	global_load_b128 v[49:52], v[53:54], off
	global_load_b128 v[53:56], v[53:54], off offset:16
	s_waitcnt vmcnt(20)
	v_wmma_f32_16x16x16_bf16 v[100:107], v[76:83], v[116:123], v[100:107]
	ds_load_b128 v[76:79], v72 offset:6144
	ds_load_b128 v[80:83], v72 offset:7168
	v_mbcnt_lo_u32_b32 v69, -1, 0
	s_waitcnt vmcnt(0) lgkmcnt(0)
	s_barrier
	buffer_gl0_inv
	v_xor_b32_e32 v70, 16, v69
	s_delay_alu instid0(VALU_DEP_1) | instskip(SKIP_4) | instid1(VALU_DEP_2)
	v_cmp_gt_i32_e32 vcc_lo, 32, v70
	v_cndmask_b32_e32 v69, v69, v70, vcc_lo
	v_wmma_f32_16x16x16_bf16 v[124:131], v[84:91], v[76:83], v[124:131]
	v_and_b32_e32 v68, 0xe0, v0
	v_wmma_f32_16x16x16_bf16 v[100:107], v[92:99], v[76:83], v[100:107]
	v_dual_mul_f32 v81, s18, v129 :: v_dual_add_nc_u32 v68, s12, v68
	s_delay_alu instid0(VALU_DEP_4) | instskip(NEXT) | instid1(VALU_DEP_3)
	v_dual_mul_f32 v83, s18, v131 :: v_dual_mul_f32 v78, s18, v125
	v_mul_f32_e32 v95, s18, v103
	v_mul_f32_e32 v79, s18, v127
	s_delay_alu instid0(VALU_DEP_4) | instskip(SKIP_3) | instid1(VALU_DEP_4)
	v_or_b32_e32 v68, v68, v74
	v_dual_mul_f32 v80, s18, v126 :: v_dual_mul_f32 v97, s18, v105
	v_dual_mul_f32 v93, s18, v101 :: v_dual_mul_f32 v82, s18, v128
	v_mul_f32_e32 v99, s18, v107
	v_or_b32_e32 v70, 2, v68
	v_or_b32_e32 v71, 4, v68
	;; [unrolled: 1-line block ×3, first 2 shown]
	v_cmp_gt_i32_e64 s2, s17, v68
	v_or_b32_e32 v108, 8, v68
	v_cmp_gt_i32_e32 vcc_lo, s17, v70
	v_mul_f32_e32 v70, s18, v124
	v_or_b32_e32 v109, 10, v68
	v_cmp_gt_i32_e64 s3, s17, v71
	v_cmp_gt_i32_e64 s4, s17, v72
	v_cndmask_b32_e32 v78, 0xff7fffff, v78, vcc_lo
	v_cndmask_b32_e64 v70, 0xff7fffff, v70, s2
	v_or_b32_e32 v84, 12, v68
	v_or_b32_e32 v85, 14, v68
	v_cndmask_b32_e64 v71, 0xff7fffff, v80, s3
	v_cndmask_b32_e64 v72, 0xff7fffff, v79, s4
	v_max3_f32 v70, v70, 0xff7fffff, v78
	v_cmp_gt_i32_e64 s5, s17, v108
	v_cmp_gt_i32_e64 s6, s17, v109
	v_or_b32_e32 v86, 16, v68
	v_or_b32_e32 v87, 18, v68
	;; [unrolled: 1-line block ×3, first 2 shown]
	v_mul_f32_e32 v92, s18, v130
	v_cndmask_b32_e64 v78, 0xff7fffff, v82, s5
	v_cndmask_b32_e64 v79, 0xff7fffff, v81, s6
	v_max3_f32 v70, v70, v71, v72
	v_cmp_gt_i32_e64 s7, s17, v84
	v_cmp_gt_i32_e64 s8, s17, v85
	v_or_b32_e32 v88, 20, v68
	v_mul_f32_e32 v94, s18, v100
	v_max3_f32 v70, v70, v78, v79
	v_cmp_gt_i32_e64 s9, s17, v86
	v_cndmask_b32_e64 v72, 0xff7fffff, v83, s8
	v_cmp_gt_i32_e64 s10, s17, v87
	v_cmp_gt_i32_e64 s12, s17, v89
	v_lshlrev_b32_e32 v89, 2, v69
	v_cndmask_b32_e64 v71, 0xff7fffff, v92, s7
	v_or_b32_e32 v90, 24, v68
	v_or_b32_e32 v91, 26, v68
	v_mul_f32_e32 v96, s18, v102
	v_cndmask_b32_e64 v78, 0xff7fffff, v94, s9
	v_cndmask_b32_e64 v79, 0xff7fffff, v93, s10
	v_max3_f32 v70, v70, v71, v72
	v_cmp_gt_i32_e64 s11, s17, v88
	v_or_b32_e32 v76, 28, v68
	v_or_b32_e32 v77, 30, v68
	v_mul_f32_e32 v98, s18, v104
	v_cndmask_b32_e64 v72, 0xff7fffff, v95, s12
	v_cndmask_b32_e64 v71, 0xff7fffff, v96, s11
	v_max3_f32 v70, v70, v78, v79
	v_cmp_gt_i32_e64 s13, s17, v90
	v_cmp_gt_i32_e64 s15, s17, v91
	v_mul_f32_e32 v68, s18, v106
	v_cmp_gt_i32_e64 s16, s17, v76
	v_max3_f32 v70, v70, v71, v72
	v_cndmask_b32_e64 v78, 0xff7fffff, v98, s13
	v_cndmask_b32_e64 v79, 0xff7fffff, v97, s15
	v_cmp_gt_i32_e64 s17, s17, v77
	v_cndmask_b32_e64 v68, 0xff7fffff, v68, s16
	s_delay_alu instid0(VALU_DEP_3) | instskip(NEXT) | instid1(VALU_DEP_3)
	v_max3_f32 v70, v70, v78, v79
	v_cndmask_b32_e64 v71, 0xff7fffff, v99, s17
	s_delay_alu instid0(VALU_DEP_1) | instskip(SKIP_3) | instid1(VALU_DEP_1)
	v_max3_f32 v68, v70, v68, v71
	ds_bpermute_b32 v69, v89, v68
	s_waitcnt lgkmcnt(0)
	v_max_f32_e32 v69, v69, v69
	v_max_f32_e32 v68, v68, v69
	s_delay_alu instid0(VALU_DEP_1) | instskip(NEXT) | instid1(VALU_DEP_1)
	v_fma_f32 v71, s18, v126, -v68
	v_mul_f32_e32 v71, 0x3fb8aa3b, v71
	s_delay_alu instid0(VALU_DEP_1) | instskip(SKIP_3) | instid1(VALU_DEP_1)
	v_exp_f32_e32 v71, v71
	s_waitcnt_depctr 0xfff
	v_cndmask_b32_e64 v83, 0, v71, s3
	v_fma_f32 v71, s18, v131, -v68
	v_mul_f32_e32 v71, 0x3fb8aa3b, v71
	v_fma_f32 v69, s18, v124, -v68
	v_fma_f32 v76, s18, v128, -v68
	;; [unrolled: 1-line block ×4, first 2 shown]
	v_exp_f32_e32 v71, v71
	v_mul_f32_e32 v69, 0x3fb8aa3b, v69
	v_mul_f32_e32 v77, 0x3fb8aa3b, v76
	v_fma_f32 v81, s18, v105, -v68
	v_fma_f32 v78, s18, v130, -v68
	s_delay_alu instid0(VALU_DEP_4) | instskip(NEXT) | instid1(VALU_DEP_3)
	v_exp_f32_e32 v69, v69
	v_exp_f32_e32 v77, v77
	s_delay_alu instid0(VALU_DEP_2) | instskip(NEXT) | instid1(TRANS32_DEP_3)
	v_mul_f32_e32 v81, 0x3fb8aa3b, v81
	v_cndmask_b32_e64 v88, 0, v71, s8
	v_fma_f32 v71, s18, v104, -v68
	s_delay_alu instid0(VALU_DEP_3) | instskip(NEXT) | instid1(TRANS32_DEP_3)
	v_exp_f32_e32 v81, v81
	v_cndmask_b32_e64 v80, 0, v69, s2
	v_fma_f32 v69, s18, v129, -v68
	v_mul_f32_e32 v70, 0x3fb8aa3b, v70
	s_delay_alu instid0(TRANS32_DEP_2)
	v_cndmask_b32_e64 v86, 0, v77, s5
	v_mul_f32_e32 v72, 0x3fb8aa3b, v72
	v_fma_f32 v77, s18, v101, -v68
	v_mul_f32_e32 v69, 0x3fb8aa3b, v69
	v_exp_f32_e32 v70, v70
	v_mul_f32_e32 v71, 0x3fb8aa3b, v71
	v_exp_f32_e32 v72, v72
	;; [unrolled: 2-line block ×3, first 2 shown]
	v_cmp_gt_u32_e64 s2, 16, v67
	v_exp_f32_e32 v82, v71
	s_delay_alu instid0(VALU_DEP_2) | instskip(SKIP_4) | instid1(TRANS32_DEP_3)
	v_exp_f32_e32 v77, v77
	v_cndmask_b32_e32 v76, 0, v70, vcc_lo
	v_add_f32_e32 v70, 0, v80
	v_cndmask_b32_e64 v85, 0, v72, s4
	v_fma_f32 v72, s18, v100, -v68
	v_cndmask_b32_e64 v87, 0, v69, s6
	s_delay_alu instid0(VALU_DEP_4) | instskip(NEXT) | instid1(VALU_DEP_3)
	v_add_f32_e32 v70, v70, v76
	v_mul_f32_e32 v72, 0x3fb8aa3b, v72
	s_delay_alu instid0(VALU_DEP_2) | instskip(NEXT) | instid1(VALU_DEP_2)
	v_add_f32_e32 v70, v70, v83
	v_exp_f32_e32 v72, v72
	s_delay_alu instid0(VALU_DEP_1) | instskip(NEXT) | instid1(VALU_DEP_1)
	v_add_f32_e32 v70, v70, v85
	v_add_f32_e32 v69, v70, v86
	v_fma_f32 v70, s18, v102, -v68
	s_delay_alu instid0(VALU_DEP_2) | instskip(NEXT) | instid1(VALU_DEP_2)
	v_dual_add_f32 v69, v69, v87 :: v_dual_mul_f32 v78, 0x3fb8aa3b, v78
	v_mul_f32_e32 v70, 0x3fb8aa3b, v70
	s_delay_alu instid0(VALU_DEP_2) | instskip(NEXT) | instid1(VALU_DEP_1)
	v_exp_f32_e32 v78, v78
	v_exp_f32_e32 v79, v70
	s_delay_alu instid0(TRANS32_DEP_3) | instskip(SKIP_4) | instid1(VALU_DEP_2)
	v_cndmask_b32_e64 v70, 0, v72, s9
	s_waitcnt_depctr 0xfff
	v_cndmask_b32_e64 v84, 0, v78, s7
	v_fma_f32 v78, s18, v103, -v68
	v_cndmask_b32_e64 v71, 0, v79, s11
	v_dual_add_f32 v69, v69, v84 :: v_dual_mul_f32 v78, 0x3fb8aa3b, v78
	s_delay_alu instid0(VALU_DEP_1) | instskip(NEXT) | instid1(VALU_DEP_2)
	v_add_f32_e32 v72, v69, v88
	v_exp_f32_e32 v78, v78
	v_cndmask_b32_e64 v69, 0, v77, s10
	v_fma_f32 v77, s18, v106, -v68
	s_delay_alu instid0(VALU_DEP_1) | instskip(NEXT) | instid1(VALU_DEP_1)
	v_dual_add_f32 v72, v72, v70 :: v_dual_mul_f32 v77, 0x3fb8aa3b, v77
	v_add_f32_e32 v79, v72, v69
	s_waitcnt_depctr 0xfff
	v_cndmask_b32_e64 v72, 0, v78, s12
	v_exp_f32_e32 v90, v77
	v_cndmask_b32_e64 v77, 0, v82, s13
	v_add_f32_e32 v78, v79, v71
	v_fma_f32 v79, s18, v107, -v68
	s_delay_alu instid0(VALU_DEP_1) | instskip(SKIP_1) | instid1(VALU_DEP_2)
	v_dual_add_f32 v82, v78, v72 :: v_dual_mul_f32 v79, 0x3fb8aa3b, v79
	v_cndmask_b32_e64 v78, 0, v81, s15
	v_add_f32_e32 v81, v82, v77
	s_delay_alu instid0(VALU_DEP_3) | instskip(NEXT) | instid1(TRANS32_DEP_2)
	v_exp_f32_e32 v82, v79
	v_cndmask_b32_e64 v79, 0, v90, s16
	s_delay_alu instid0(VALU_DEP_2) | instskip(NEXT) | instid1(VALU_DEP_1)
	v_add_f32_e32 v81, v81, v78
	v_add_f32_e32 v90, v81, v79
	s_waitcnt_depctr 0xfff
	v_cndmask_b32_e64 v81, 0, v82, s17
	s_delay_alu instid0(VALU_DEP_1)
	v_add_f32_e32 v82, v90, v81
	ds_bpermute_b32 v89, v89, v82
	s_and_saveexec_b32 s3, s2
	s_cbranch_execz .LBB1624_12
; %bb.11:
	v_mul_u32_u24_e32 v67, 0x44, v66
	s_delay_alu instid0(VALU_DEP_1) | instskip(SKIP_1) | instid1(VALU_DEP_1)
	v_lshl_add_u32 v67, v65, 2, v67
	s_waitcnt lgkmcnt(0)
	v_dual_add_f32 v82, v82, v89 :: v_dual_add_nc_u32 v67, 0x4000, v67
	ds_store_2addr_b32 v67, v68, v82 offset1:136
.LBB1624_12:
	s_or_b32 exec_lo, exec_lo, s3
	v_lshlrev_b32_e32 v67, 2, v65
	s_waitcnt lgkmcnt(0)
	s_barrier
	buffer_gl0_inv
	v_cmp_eq_u32_e32 vcc_lo, 1, v66
	v_add_nc_u32_e32 v82, 0x4000, v67
	v_cmp_eq_u32_e64 s3, 2, v66
	v_cmp_eq_u32_e64 s5, 7, v66
	ds_load_2addr_b32 v[89:90], v82 offset1:17
	ds_load_2addr_b32 v[91:92], v82 offset0:34 offset1:51
	ds_load_2addr_b32 v[93:94], v82 offset0:68 offset1:85
	;; [unrolled: 1-line block ×4, first 2 shown]
	s_waitcnt lgkmcnt(4)
	v_max3_f32 v67, v89, 0xff7fffff, v90
	s_waitcnt lgkmcnt(3)
	s_delay_alu instid0(VALU_DEP_1) | instskip(SKIP_1) | instid1(VALU_DEP_1)
	v_max3_f32 v67, v67, v91, v92
	s_waitcnt lgkmcnt(2)
	v_max3_f32 v67, v67, v93, v94
	s_waitcnt lgkmcnt(1)
	s_delay_alu instid0(VALU_DEP_1) | instskip(NEXT) | instid1(VALU_DEP_1)
	v_max3_f32 v67, v67, v95, v96
	v_sub_f32_e32 v93, v93, v67
	s_delay_alu instid0(VALU_DEP_1) | instskip(NEXT) | instid1(VALU_DEP_1)
	v_dual_sub_f32 v68, v89, v67 :: v_dual_mul_f32 v103, 0x3fb8aa3b, v93
	v_mul_f32_e32 v68, 0x3fb8aa3b, v68
	s_delay_alu instid0(VALU_DEP_1)
	v_exp_f32_e32 v100, v68
	v_sub_f32_e32 v68, v92, v67
	v_sub_f32_e32 v99, v90, v67
	ds_load_2addr_b32 v[89:90], v82 offset0:170 offset1:187
	v_dual_mul_f32 v102, 0x3fb8aa3b, v68 :: v_dual_mul_f32 v99, 0x3fb8aa3b, v99
	s_waitcnt lgkmcnt(1)
	v_fma_f32 v68, v100, v97, 0
	s_delay_alu instid0(VALU_DEP_2) | instskip(NEXT) | instid1(VALU_DEP_2)
	v_exp_f32_e32 v102, v102
	v_exp_f32_e32 v99, v99
	s_waitcnt_depctr 0xfff
	v_fmac_f32_e32 v68, v99, v98
	v_sub_f32_e32 v91, v91, v67
	s_delay_alu instid0(VALU_DEP_1)
	v_mul_f32_e32 v101, 0x3fb8aa3b, v91
	ds_load_2addr_b32 v[91:92], v82 offset0:204 offset1:221
	v_sub_f32_e32 v97, v94, v67
	ds_load_2addr_b32 v[93:94], v82 offset0:238 offset1:255
	s_waitcnt lgkmcnt(0)
	v_exp_f32_e32 v101, v101
	s_barrier
	buffer_gl0_inv
	v_dual_fmac_f32 v68, v101, v89 :: v_dual_sub_f32 v89, v96, v67
	v_dual_sub_f32 v82, v95, v67 :: v_dual_mul_f32 v95, 0x3fb8aa3b, v97
	v_exp_f32_e32 v97, v103
	s_delay_alu instid0(VALU_DEP_2) | instskip(NEXT) | instid1(VALU_DEP_2)
	v_dual_fmac_f32 v68, v102, v90 :: v_dual_mul_f32 v89, 0x3fb8aa3b, v89
	v_mul_f32_e32 v82, 0x3fb8aa3b, v82
	s_delay_alu instid0(VALU_DEP_3) | instskip(NEXT) | instid1(VALU_DEP_2)
	v_exp_f32_e32 v95, v95
	v_exp_f32_e32 v89, v89
	s_delay_alu instid0(VALU_DEP_1)
	v_exp_f32_e32 v82, v82
	v_fmac_f32_e32 v68, v97, v91
	s_delay_alu instid0(TRANS32_DEP_3) | instid1(VALU_DEP_1)
	v_fmac_f32_e32 v68, v95, v92
	s_waitcnt_depctr 0xfff
	v_fmac_f32_e32 v68, v82, v93
	s_delay_alu instid0(VALU_DEP_1) | instskip(NEXT) | instid1(VALU_DEP_1)
	v_fmac_f32_e32 v68, v89, v94
	v_add_f32_e32 v90, 0x358637bd, v68
	s_delay_alu instid0(VALU_DEP_1) | instskip(NEXT) | instid1(VALU_DEP_1)
	v_div_scale_f32 v91, null, v90, v90, 1.0
	v_rcp_f32_e32 v92, v91
	s_waitcnt_depctr 0xfff
	v_fma_f32 v93, -v91, v92, 1.0
	s_delay_alu instid0(VALU_DEP_1) | instskip(SKIP_1) | instid1(VALU_DEP_2)
	v_dual_fmac_f32 v92, v93, v92 :: v_dual_cndmask_b32 v93, v100, v99
	v_cmp_eq_u32_e32 vcc_lo, 3, v66
	v_cndmask_b32_e64 v93, v93, v101, s3
	v_cmp_eq_u32_e64 s3, 4, v66
	s_delay_alu instid0(VALU_DEP_2) | instskip(SKIP_1) | instid1(VALU_DEP_2)
	v_cndmask_b32_e32 v93, v93, v102, vcc_lo
	v_cmp_eq_u32_e32 vcc_lo, 5, v66
	v_cndmask_b32_e64 v93, v93, v97, s3
	v_cmp_eq_u32_e64 s3, 6, v66
	s_delay_alu instid0(VALU_DEP_2) | instskip(SKIP_1) | instid1(VALU_DEP_1)
	v_cndmask_b32_e32 v93, v93, v95, vcc_lo
	v_div_scale_f32 v94, s4, 1.0, v90, 1.0
	s_mov_b32 vcc_lo, s4
	s_delay_alu instid0(VALU_DEP_2) | instskip(NEXT) | instid1(VALU_DEP_2)
	v_cndmask_b32_e64 v82, v93, v82, s3
	v_mul_f32_e32 v96, v94, v92
	s_mov_b32 s3, exec_lo
	s_delay_alu instid0(VALU_DEP_2) | instskip(NEXT) | instid1(VALU_DEP_2)
	v_cndmask_b32_e64 v82, v82, v89, s5
	v_fma_f32 v98, -v91, v96, v94
	s_delay_alu instid0(VALU_DEP_1) | instskip(NEXT) | instid1(VALU_DEP_1)
	v_fmac_f32_e32 v96, v98, v92
	v_fma_f32 v91, -v91, v96, v94
	s_delay_alu instid0(VALU_DEP_1) | instskip(NEXT) | instid1(VALU_DEP_1)
	v_div_fmas_f32 v91, v91, v92, v96
	v_div_fixup_f32 v90, v91, v90, 1.0
	s_delay_alu instid0(VALU_DEP_1) | instskip(NEXT) | instid1(VALU_DEP_1)
	v_mul_f32_e32 v82, v82, v90
	v_mul_f32_e32 v87, v82, v87
	;; [unrolled: 1-line block ×7, first 2 shown]
	v_dual_mul_f32 v86, v82, v83 :: v_dual_and_b32 v91, 0x7f800000, v90
	v_mul_f32_e32 v85, v82, v76
                                        ; implicit-def: $vgpr76
	s_delay_alu instid0(VALU_DEP_2)
	v_cmpx_ne_u32_e32 0x7f800000, v91
	s_xor_b32 s3, exec_lo, s3
; %bb.13:
	v_bfe_u32 v76, v90, 16, 1
	s_delay_alu instid0(VALU_DEP_1)
	v_add3_u32 v76, v90, v76, 0x7fff
                                        ; implicit-def: $vgpr90
; %bb.14:
	s_and_not1_saveexec_b32 s3, s3
; %bb.15:
	v_and_b32_e32 v76, 0xffff, v90
	v_or_b32_e32 v83, 0x10000, v90
	s_delay_alu instid0(VALU_DEP_2) | instskip(NEXT) | instid1(VALU_DEP_2)
	v_cmp_eq_u32_e32 vcc_lo, 0, v76
	v_cndmask_b32_e32 v76, v83, v90, vcc_lo
; %bb.16:
	s_or_b32 exec_lo, exec_lo, s3
	v_and_b32_e32 v83, 0x7f800000, v85
	s_delay_alu instid0(VALU_DEP_1) | instskip(SKIP_1) | instid1(SALU_CYCLE_1)
	v_cmp_ne_u32_e32 vcc_lo, 0x7f800000, v83
                                        ; implicit-def: $vgpr83
	s_and_saveexec_b32 s3, vcc_lo
	s_xor_b32 s3, exec_lo, s3
; %bb.17:
	v_bfe_u32 v83, v85, 16, 1
	s_delay_alu instid0(VALU_DEP_1)
	v_add3_u32 v83, v85, v83, 0x7fff
                                        ; implicit-def: $vgpr85
; %bb.18:
	s_and_not1_saveexec_b32 s3, s3
; %bb.19:
	v_and_b32_e32 v83, 0xffff, v85
	v_or_b32_e32 v90, 0x10000, v85
	s_delay_alu instid0(VALU_DEP_2) | instskip(NEXT) | instid1(VALU_DEP_2)
	v_cmp_eq_u32_e32 vcc_lo, 0, v83
	v_cndmask_b32_e32 v83, v90, v85, vcc_lo
; %bb.20:
	s_or_b32 exec_lo, exec_lo, s3
	v_and_b32_e32 v85, 0x7f800000, v86
	s_delay_alu instid0(VALU_DEP_1) | instskip(SKIP_1) | instid1(SALU_CYCLE_1)
	v_cmp_ne_u32_e32 vcc_lo, 0x7f800000, v85
                                        ; implicit-def: $vgpr85
	s_and_saveexec_b32 s3, vcc_lo
	s_xor_b32 s3, exec_lo, s3
; %bb.21:
	v_bfe_u32 v85, v86, 16, 1
	s_delay_alu instid0(VALU_DEP_1)
	v_add3_u32 v85, v86, v85, 0x7fff
                                        ; implicit-def: $vgpr86
; %bb.22:
	s_and_not1_saveexec_b32 s3, s3
; %bb.23:
	v_and_b32_e32 v85, 0xffff, v86
	v_or_b32_e32 v90, 0x10000, v86
	s_delay_alu instid0(VALU_DEP_2) | instskip(NEXT) | instid1(VALU_DEP_2)
	v_cmp_eq_u32_e32 vcc_lo, 0, v85
	v_cndmask_b32_e32 v85, v90, v86, vcc_lo
; %bb.24:
	s_or_b32 exec_lo, exec_lo, s3
	v_and_b32_e32 v86, 0x7f800000, v89
	s_delay_alu instid0(VALU_DEP_1) | instskip(SKIP_1) | instid1(SALU_CYCLE_1)
	v_cmp_ne_u32_e32 vcc_lo, 0x7f800000, v86
                                        ; implicit-def: $vgpr86
	s_and_saveexec_b32 s3, vcc_lo
	s_xor_b32 s3, exec_lo, s3
; %bb.25:
	v_bfe_u32 v86, v89, 16, 1
	s_delay_alu instid0(VALU_DEP_1)
	v_add3_u32 v86, v89, v86, 0x7fff
                                        ; implicit-def: $vgpr89
; %bb.26:
	s_and_not1_saveexec_b32 s3, s3
; %bb.27:
	v_and_b32_e32 v86, 0xffff, v89
	v_or_b32_e32 v90, 0x10000, v89
	s_delay_alu instid0(VALU_DEP_2) | instskip(NEXT) | instid1(VALU_DEP_2)
	v_cmp_eq_u32_e32 vcc_lo, 0, v86
	v_cndmask_b32_e32 v86, v90, v89, vcc_lo
; %bb.28:
	s_or_b32 exec_lo, exec_lo, s3
	v_and_b32_e32 v89, 0x7f800000, v88
	s_delay_alu instid0(VALU_DEP_1) | instskip(SKIP_1) | instid1(SALU_CYCLE_1)
	v_cmp_ne_u32_e32 vcc_lo, 0x7f800000, v89
                                        ; implicit-def: $vgpr89
	s_and_saveexec_b32 s3, vcc_lo
	s_xor_b32 s3, exec_lo, s3
; %bb.29:
	v_bfe_u32 v89, v88, 16, 1
	s_delay_alu instid0(VALU_DEP_1)
	v_add3_u32 v89, v88, v89, 0x7fff
                                        ; implicit-def: $vgpr88
; %bb.30:
	s_and_not1_saveexec_b32 s3, s3
; %bb.31:
	v_and_b32_e32 v89, 0xffff, v88
	v_or_b32_e32 v90, 0x10000, v88
	s_delay_alu instid0(VALU_DEP_2) | instskip(NEXT) | instid1(VALU_DEP_2)
	v_cmp_eq_u32_e32 vcc_lo, 0, v89
	v_cndmask_b32_e32 v89, v90, v88, vcc_lo
; %bb.32:
	s_or_b32 exec_lo, exec_lo, s3
	v_and_b32_e32 v88, 0x7f800000, v87
	s_delay_alu instid0(VALU_DEP_1) | instskip(SKIP_1) | instid1(SALU_CYCLE_1)
	v_cmp_ne_u32_e32 vcc_lo, 0x7f800000, v88
                                        ; implicit-def: $vgpr88
	s_and_saveexec_b32 s3, vcc_lo
	s_xor_b32 s3, exec_lo, s3
; %bb.33:
	v_bfe_u32 v88, v87, 16, 1
	s_delay_alu instid0(VALU_DEP_1)
	v_add3_u32 v88, v87, v88, 0x7fff
                                        ; implicit-def: $vgpr87
; %bb.34:
	s_and_not1_saveexec_b32 s3, s3
; %bb.35:
	v_and_b32_e32 v88, 0xffff, v87
	v_or_b32_e32 v90, 0x10000, v87
	s_delay_alu instid0(VALU_DEP_2) | instskip(NEXT) | instid1(VALU_DEP_2)
	v_cmp_eq_u32_e32 vcc_lo, 0, v88
	v_cndmask_b32_e32 v88, v90, v87, vcc_lo
; %bb.36:
	s_or_b32 exec_lo, exec_lo, s3
	v_and_b32_e32 v87, 0x7f800000, v84
	s_delay_alu instid0(VALU_DEP_1) | instskip(SKIP_1) | instid1(SALU_CYCLE_1)
	v_cmp_ne_u32_e32 vcc_lo, 0x7f800000, v87
                                        ; implicit-def: $vgpr87
	s_and_saveexec_b32 s3, vcc_lo
	s_xor_b32 s3, exec_lo, s3
; %bb.37:
	v_bfe_u32 v87, v84, 16, 1
	s_delay_alu instid0(VALU_DEP_1)
	v_add3_u32 v87, v84, v87, 0x7fff
                                        ; implicit-def: $vgpr84
; %bb.38:
	s_and_not1_saveexec_b32 s3, s3
; %bb.39:
	v_and_b32_e32 v87, 0xffff, v84
	v_or_b32_e32 v90, 0x10000, v84
	s_delay_alu instid0(VALU_DEP_2) | instskip(NEXT) | instid1(VALU_DEP_2)
	v_cmp_eq_u32_e32 vcc_lo, 0, v87
	v_cndmask_b32_e32 v87, v90, v84, vcc_lo
; %bb.40:
	s_or_b32 exec_lo, exec_lo, s3
	v_and_b32_e32 v84, 0x7f800000, v80
	s_delay_alu instid0(VALU_DEP_1) | instskip(SKIP_1) | instid1(SALU_CYCLE_1)
	v_cmp_ne_u32_e32 vcc_lo, 0x7f800000, v84
                                        ; implicit-def: $vgpr84
	s_and_saveexec_b32 s3, vcc_lo
	s_xor_b32 s3, exec_lo, s3
; %bb.41:
	v_bfe_u32 v84, v80, 16, 1
	s_delay_alu instid0(VALU_DEP_1)
	v_add3_u32 v84, v80, v84, 0x7fff
                                        ; implicit-def: $vgpr80
; %bb.42:
	s_and_not1_saveexec_b32 s3, s3
; %bb.43:
	v_and_b32_e32 v84, 0xffff, v80
	v_or_b32_e32 v90, 0x10000, v80
	s_delay_alu instid0(VALU_DEP_2) | instskip(NEXT) | instid1(VALU_DEP_2)
	v_cmp_eq_u32_e32 vcc_lo, 0, v84
	v_cndmask_b32_e32 v84, v90, v80, vcc_lo
; %bb.44:
	s_or_b32 exec_lo, exec_lo, s3
	s_load_b64 s[34:35], s[0:1], 0x94
	v_lshlrev_b32_e32 v91, 4, v74
	s_delay_alu instid0(VALU_DEP_2)
	v_perm_b32 v90, v84, v87, 0x7060302
	v_dual_mul_f32 v79, v82, v79 :: v_dual_lshlrev_b32 v80, 6, v65
	v_dual_mul_f32 v77, v82, v77 :: v_dual_lshlrev_b32 v92, 11, v66
	v_mul_f32_e32 v84, v82, v70
	v_perm_b32 v89, v88, v89, 0x7060302
	v_perm_b32 v88, v86, v85, 0x7060302
	;; [unrolled: 1-line block ×3, first 2 shown]
	v_mul_f32_e32 v70, v82, v81
	v_or3_b32 v76, v91, v92, v80
	v_dual_mul_f32 v78, v82, v78 :: v_dual_and_b32 v85, 0x7f800000, v84
	v_mul_f32_e32 v83, v82, v72
	v_mul_f32_e32 v81, v82, v71
	;; [unrolled: 1-line block ×3, first 2 shown]
	s_mov_b32 s3, exec_lo
	ds_store_b128 v76, v[87:90]
                                        ; implicit-def: $vgpr69
	v_cmpx_ne_u32_e32 0x7f800000, v85
	s_xor_b32 s3, exec_lo, s3
; %bb.45:
	v_bfe_u32 v69, v84, 16, 1
	s_delay_alu instid0(VALU_DEP_1)
	v_add3_u32 v69, v84, v69, 0x7fff
                                        ; implicit-def: $vgpr84
; %bb.46:
	s_and_not1_saveexec_b32 s3, s3
; %bb.47:
	v_and_b32_e32 v69, 0xffff, v84
	v_or_b32_e32 v71, 0x10000, v84
	s_delay_alu instid0(VALU_DEP_2) | instskip(NEXT) | instid1(VALU_DEP_2)
	v_cmp_eq_u32_e32 vcc_lo, 0, v69
	v_cndmask_b32_e32 v69, v71, v84, vcc_lo
; %bb.48:
	s_or_b32 exec_lo, exec_lo, s3
	v_and_b32_e32 v71, 0x7f800000, v72
	s_delay_alu instid0(VALU_DEP_1) | instskip(SKIP_1) | instid1(SALU_CYCLE_1)
	v_cmp_ne_u32_e32 vcc_lo, 0x7f800000, v71
                                        ; implicit-def: $vgpr71
	s_and_saveexec_b32 s3, vcc_lo
	s_xor_b32 s3, exec_lo, s3
; %bb.49:
	v_bfe_u32 v71, v72, 16, 1
	s_delay_alu instid0(VALU_DEP_1)
	v_add3_u32 v71, v72, v71, 0x7fff
                                        ; implicit-def: $vgpr72
; %bb.50:
	s_and_not1_saveexec_b32 s3, s3
; %bb.51:
	v_and_b32_e32 v71, 0xffff, v72
	v_or_b32_e32 v82, 0x10000, v72
	s_delay_alu instid0(VALU_DEP_2) | instskip(NEXT) | instid1(VALU_DEP_2)
	v_cmp_eq_u32_e32 vcc_lo, 0, v71
	v_cndmask_b32_e32 v71, v82, v72, vcc_lo
; %bb.52:
	s_or_b32 exec_lo, exec_lo, s3
	v_and_b32_e32 v72, 0x7f800000, v81
	s_delay_alu instid0(VALU_DEP_1) | instskip(SKIP_1) | instid1(SALU_CYCLE_1)
	v_cmp_ne_u32_e32 vcc_lo, 0x7f800000, v72
                                        ; implicit-def: $vgpr72
	s_and_saveexec_b32 s3, vcc_lo
	s_xor_b32 s3, exec_lo, s3
; %bb.53:
	v_bfe_u32 v72, v81, 16, 1
	s_delay_alu instid0(VALU_DEP_1)
	v_add3_u32 v72, v81, v72, 0x7fff
                                        ; implicit-def: $vgpr81
; %bb.54:
	s_and_not1_saveexec_b32 s3, s3
; %bb.55:
	v_and_b32_e32 v72, 0xffff, v81
	v_or_b32_e32 v82, 0x10000, v81
	s_delay_alu instid0(VALU_DEP_2) | instskip(NEXT) | instid1(VALU_DEP_2)
	v_cmp_eq_u32_e32 vcc_lo, 0, v72
	v_cndmask_b32_e32 v72, v82, v81, vcc_lo
; %bb.56:
	s_or_b32 exec_lo, exec_lo, s3
	v_and_b32_e32 v81, 0x7f800000, v83
	s_delay_alu instid0(VALU_DEP_1) | instskip(SKIP_1) | instid1(SALU_CYCLE_1)
	v_cmp_ne_u32_e32 vcc_lo, 0x7f800000, v81
                                        ; implicit-def: $vgpr81
	s_and_saveexec_b32 s3, vcc_lo
	s_xor_b32 s3, exec_lo, s3
; %bb.57:
	v_bfe_u32 v81, v83, 16, 1
	s_delay_alu instid0(VALU_DEP_1)
	v_add3_u32 v81, v83, v81, 0x7fff
                                        ; implicit-def: $vgpr83
; %bb.58:
	s_and_not1_saveexec_b32 s3, s3
; %bb.59:
	v_and_b32_e32 v81, 0xffff, v83
	v_or_b32_e32 v82, 0x10000, v83
	s_delay_alu instid0(VALU_DEP_2) | instskip(NEXT) | instid1(VALU_DEP_2)
	v_cmp_eq_u32_e32 vcc_lo, 0, v81
	v_cndmask_b32_e32 v81, v82, v83, vcc_lo
; %bb.60:
	s_or_b32 exec_lo, exec_lo, s3
	v_and_b32_e32 v82, 0x7f800000, v77
	s_delay_alu instid0(VALU_DEP_1) | instskip(SKIP_1) | instid1(SALU_CYCLE_1)
	v_cmp_ne_u32_e32 vcc_lo, 0x7f800000, v82
                                        ; implicit-def: $vgpr82
	s_and_saveexec_b32 s3, vcc_lo
	s_xor_b32 s3, exec_lo, s3
; %bb.61:
	v_bfe_u32 v82, v77, 16, 1
	s_delay_alu instid0(VALU_DEP_1)
	v_add3_u32 v82, v77, v82, 0x7fff
                                        ; implicit-def: $vgpr77
; %bb.62:
	s_and_not1_saveexec_b32 s3, s3
; %bb.63:
	v_and_b32_e32 v82, 0xffff, v77
	v_or_b32_e32 v83, 0x10000, v77
	s_delay_alu instid0(VALU_DEP_2) | instskip(NEXT) | instid1(VALU_DEP_2)
	v_cmp_eq_u32_e32 vcc_lo, 0, v82
	v_cndmask_b32_e32 v82, v83, v77, vcc_lo
; %bb.64:
	s_or_b32 exec_lo, exec_lo, s3
	v_and_b32_e32 v77, 0x7f800000, v78
	s_delay_alu instid0(VALU_DEP_1) | instskip(SKIP_1) | instid1(SALU_CYCLE_1)
	v_cmp_ne_u32_e32 vcc_lo, 0x7f800000, v77
                                        ; implicit-def: $vgpr77
	s_and_saveexec_b32 s3, vcc_lo
	s_xor_b32 s3, exec_lo, s3
; %bb.65:
	v_bfe_u32 v77, v78, 16, 1
	s_delay_alu instid0(VALU_DEP_1)
	v_add3_u32 v77, v78, v77, 0x7fff
                                        ; implicit-def: $vgpr78
; %bb.66:
	s_and_not1_saveexec_b32 s3, s3
; %bb.67:
	v_and_b32_e32 v77, 0xffff, v78
	v_or_b32_e32 v83, 0x10000, v78
	s_delay_alu instid0(VALU_DEP_2) | instskip(NEXT) | instid1(VALU_DEP_2)
	v_cmp_eq_u32_e32 vcc_lo, 0, v77
	v_cndmask_b32_e32 v77, v83, v78, vcc_lo
; %bb.68:
	s_or_b32 exec_lo, exec_lo, s3
	v_and_b32_e32 v78, 0x7f800000, v79
	s_delay_alu instid0(VALU_DEP_1) | instskip(SKIP_1) | instid1(SALU_CYCLE_1)
	v_cmp_ne_u32_e32 vcc_lo, 0x7f800000, v78
                                        ; implicit-def: $vgpr78
	s_and_saveexec_b32 s3, vcc_lo
	s_xor_b32 s3, exec_lo, s3
; %bb.69:
	v_bfe_u32 v78, v79, 16, 1
	s_delay_alu instid0(VALU_DEP_1)
	v_add3_u32 v78, v79, v78, 0x7fff
                                        ; implicit-def: $vgpr79
; %bb.70:
	s_and_not1_saveexec_b32 s3, s3
; %bb.71:
	v_and_b32_e32 v78, 0xffff, v79
	v_or_b32_e32 v83, 0x10000, v79
	s_delay_alu instid0(VALU_DEP_2) | instskip(NEXT) | instid1(VALU_DEP_2)
	v_cmp_eq_u32_e32 vcc_lo, 0, v78
	v_cndmask_b32_e32 v78, v83, v79, vcc_lo
; %bb.72:
	s_or_b32 exec_lo, exec_lo, s3
	v_and_b32_e32 v79, 0x7f800000, v70
	s_delay_alu instid0(VALU_DEP_1) | instskip(SKIP_1) | instid1(SALU_CYCLE_1)
	v_cmp_ne_u32_e32 vcc_lo, 0x7f800000, v79
                                        ; implicit-def: $vgpr79
	s_and_saveexec_b32 s3, vcc_lo
	s_xor_b32 s3, exec_lo, s3
; %bb.73:
	v_bfe_u32 v79, v70, 16, 1
	s_delay_alu instid0(VALU_DEP_1)
	v_add3_u32 v79, v70, v79, 0x7fff
                                        ; implicit-def: $vgpr70
; %bb.74:
	s_and_not1_saveexec_b32 s3, s3
; %bb.75:
	v_and_b32_e32 v79, 0xffff, v70
	v_or_b32_e32 v83, 0x10000, v70
	s_delay_alu instid0(VALU_DEP_2) | instskip(NEXT) | instid1(VALU_DEP_2)
	v_cmp_eq_u32_e32 vcc_lo, 0, v79
	v_cndmask_b32_e32 v79, v83, v70, vcc_lo
; %bb.76:
	s_or_b32 exec_lo, exec_lo, s3
	s_delay_alu instid0(VALU_DEP_1)
	v_perm_b32 v86, v79, v78, 0x7060302
	v_perm_b32 v85, v77, v82, 0x7060302
	;; [unrolled: 1-line block ×4, first 2 shown]
	v_lshl_or_b32 v82, v66, 11, v80
	ds_store_b128 v76, v[83:86] offset:1024
	s_waitcnt lgkmcnt(0)
	s_barrier
	buffer_gl0_inv
	ds_load_b128 v[69:72], v82
	ds_load_b128 v[83:86], v82 offset:16
	s_waitcnt lgkmcnt(1)
	v_lshrrev_b32_e32 v66, 16, v69
	s_waitcnt lgkmcnt(0)
	v_lshrrev_b32_e32 v91, 16, v83
	v_lshlrev_b32_e32 v78, 2, v74
	v_lshrrev_b32_e32 v95, 16, v70
	v_lshrrev_b32_e32 v98, 16, v84
	;; [unrolled: 1-line block ×4, first 2 shown]
	v_cmp_eq_u32_e32 vcc_lo, 1, v78
	v_lshrrev_b32_e32 v97, 16, v72
	v_lshrrev_b32_e32 v100, 16, v86
	v_cndmask_b32_e32 v87, v83, v91, vcc_lo
	v_or_b32_e32 v79, 1, v78
	v_cndmask_b32_e32 v81, v69, v66, vcc_lo
	v_cmp_eq_u32_e64 s4, 2, v78
	v_cmp_eq_u32_e64 s7, 3, v78
	v_cmp_eq_u32_e64 s9, 4, v78
	v_cmp_eq_u32_e64 s3, 1, v79
	v_cmp_eq_u32_e64 s6, 2, v79
	v_cndmask_b32_e64 v81, v81, v70, s4
	v_cndmask_b32_e64 v87, v87, v84, s4
	v_cmp_eq_u32_e64 s8, 3, v79
	v_cndmask_b32_e64 v88, v69, v66, s3
	v_or_b32_e32 v77, 2, v78
	v_cndmask_b32_e64 v81, v81, v95, s7
	v_cndmask_b32_e64 v87, v87, v98, s7
	;; [unrolled: 1-line block ×4, first 2 shown]
	v_cmp_eq_u32_e64 s10, 5, v78
	v_cndmask_b32_e64 v81, v81, v71, s9
	v_cndmask_b32_e64 v87, v87, v85, s9
	v_cmp_eq_u32_e64 s11, 4, v79
	v_cndmask_b32_e64 v88, v88, v95, s8
	v_cmp_eq_u32_e64 s5, 1, v77
	v_cndmask_b32_e64 v89, v89, v84, s6
	v_cndmask_b32_e64 v81, v81, v96, s10
	v_cmp_eq_u32_e64 s12, 6, v78
	v_cndmask_b32_e64 v88, v88, v71, s11
	;; [unrolled: 3-line block ×3, first 2 shown]
	v_cndmask_b32_e64 v89, v89, v98, s8
	v_cndmask_b32_e64 v81, v81, v72, s12
	v_cmp_eq_u32_e64 s15, 7, v78
	v_cndmask_b32_e64 v88, v88, v96, s13
	v_cndmask_b32_e64 v87, v87, v86, s12
	v_cmp_eq_u32_e64 s16, 6, v79
	v_cmp_eq_u32_e64 s17, 2, v77
	v_cndmask_b32_e64 v89, v89, v85, s11
	v_cndmask_b32_e64 v101, v81, v97, s15
	;; [unrolled: 1-line block ×6, first 2 shown]
	v_cmp_eq_u32_e64 s18, 7, v79
	v_cmp_eq_u32_e64 s19, 3, v77
	;; [unrolled: 1-line block ×4, first 2 shown]
	v_cndmask_b32_e64 v87, v87, v84, s17
	v_cndmask_b32_e64 v103, v88, v97, s18
	;; [unrolled: 1-line block ×4, first 2 shown]
	v_or_b32_e32 v81, 3, v78
	v_cndmask_b32_e64 v93, v87, v98, s19
	v_cmp_eq_u32_e64 s24, 6, v77
	v_cndmask_b32_e64 v104, v88, v86, s16
	v_cndmask_b32_e64 v92, v89, v71, s20
	v_cmp_eq_u32_e64 s21, 1, v81
	ds_load_b128 v[87:90], v82 offset:1024
	v_cmp_eq_u32_e64 s23, 2, v81
	v_cmp_eq_u32_e64 s25, 3, v81
	v_cndmask_b32_e64 v105, v92, v96, s22
	v_cndmask_b32_e64 v66, v69, v66, s21
	;; [unrolled: 1-line block ×4, first 2 shown]
	ds_load_b128 v[91:94], v82 offset:1040
	v_cmp_eq_u32_e64 s26, 4, v81
	v_cndmask_b32_e64 v66, v66, v70, s23
	v_cmp_eq_u32_e64 s27, 7, v77
	v_cndmask_b32_e64 v70, v83, v84, s23
	v_cndmask_b32_e64 v84, v105, v72, s24
	v_cmp_eq_u32_e64 s28, 5, v81
	v_cndmask_b32_e64 v66, v66, v95, s25
	v_cmp_eq_u32_e64 s29, 6, v81
	v_cndmask_b32_e64 v70, v70, v98, s25
	v_cndmask_b32_e64 v69, v69, v99, s22
	;; [unrolled: 1-line block ×4, first 2 shown]
	s_waitcnt lgkmcnt(1)
	v_lshrrev_b32_e32 v95, 16, v87
	v_cndmask_b32_e64 v70, v70, v85, s26
	v_cndmask_b32_e64 v71, v84, v97, s27
	;; [unrolled: 1-line block ×4, first 2 shown]
	v_cndmask_b32_e32 v84, v87, v95, vcc_lo
	v_cndmask_b32_e64 v70, v70, v99, s28
	s_waitcnt lgkmcnt(0)
	v_lshrrev_b32_e32 v85, 16, v91
	v_lshrrev_b32_e32 v96, 16, v88
	v_cndmask_b32_e64 v98, v87, v95, s3
	v_cndmask_b32_e64 v84, v84, v88, s4
	;; [unrolled: 1-line block ×3, first 2 shown]
	v_cndmask_b32_e32 v99, v91, v85, vcc_lo
	v_cmp_eq_u32_e32 vcc_lo, 7, v81
	v_cndmask_b32_e64 v66, v66, v72, s29
	v_cndmask_b32_e64 v72, v84, v96, s7
	;; [unrolled: 1-line block ×3, first 2 shown]
	v_lshrrev_b32_e32 v98, 16, v92
	v_cndmask_b32_e32 v70, v70, v100, vcc_lo
	v_cndmask_b32_e64 v86, v99, v92, s4
	v_cndmask_b32_e64 v69, v69, v100, s27
	v_lshrrev_b32_e32 v100, 16, v93
	v_cndmask_b32_e64 v72, v72, v89, s9
	v_lshrrev_b32_e32 v99, 16, v89
	v_cndmask_b32_e64 v86, v86, v98, s7
	v_perm_b32 v71, v69, v71, 0x5040100
	v_cndmask_b32_e64 v84, v84, v96, s8
	s_delay_alu instid0(VALU_DEP_3) | instskip(NEXT) | instid1(VALU_DEP_2)
	v_cndmask_b32_e64 v86, v86, v93, s9
	v_cndmask_b32_e64 v84, v84, v89, s11
	s_delay_alu instid0(VALU_DEP_2) | instskip(NEXT) | instid1(VALU_DEP_1)
	v_cndmask_b32_e64 v86, v86, v100, s10
	v_cndmask_b32_e64 v69, v86, v94, s12
	;; [unrolled: 1-line block ×5, first 2 shown]
	s_delay_alu instid0(VALU_DEP_3) | instskip(NEXT) | instid1(VALU_DEP_3)
	v_cndmask_b32_e64 v86, v86, v88, s17
	v_cndmask_b32_e64 v87, v87, v88, s23
	s_delay_alu instid0(VALU_DEP_3) | instskip(NEXT) | instid1(VALU_DEP_3)
	v_cndmask_b32_e64 v88, v95, v92, s23
	v_cndmask_b32_e64 v86, v86, v96, s19
	;; [unrolled: 3-line block ×7, first 2 shown]
	s_delay_alu instid0(VALU_DEP_3) | instskip(SKIP_2) | instid1(VALU_DEP_2)
	v_cndmask_b32_e64 v88, v88, v94, s29
	v_cndmask_b32_e32 v66, v66, v97, vcc_lo
	v_cndmask_b32_e64 v97, v72, v99, s10
	v_perm_b32 v72, v70, v66, 0x5040100
	v_perm_b32 v70, v83, v103, 0x5040100
	v_cndmask_b32_e64 v103, v91, v85, s5
	v_cndmask_b32_e64 v85, v91, v85, s3
	v_cndmask_b32_e64 v66, v84, v99, s13
	v_cndmask_b32_e64 v84, v97, v90, s12
	v_lshrrev_b32_e32 v97, 16, v90
	v_cndmask_b32_e64 v91, v103, v92, s17
	v_cndmask_b32_e64 v85, v85, v92, s6
	;; [unrolled: 1-line block ×3, first 2 shown]
	s_mov_b32 s3, exec_lo
	v_cndmask_b32_e64 v83, v84, v97, s15
	v_cndmask_b32_e64 v91, v91, v98, s19
	;; [unrolled: 1-line block ×3, first 2 shown]
	v_lshrrev_b32_e32 v84, 16, v94
	v_cndmask_b32_e64 v66, v66, v97, s18
	v_cndmask_b32_e64 v90, v86, v97, s27
	;; [unrolled: 1-line block ×4, first 2 shown]
	v_dual_cndmask_b32 v86, v87, v97 :: v_dual_cndmask_b32 v87, v88, v84
	v_cndmask_b32_e64 v91, v69, v84, s15
	s_delay_alu instid0(VALU_DEP_4) | instskip(NEXT) | instid1(VALU_DEP_4)
	v_cndmask_b32_e64 v89, v89, v100, s22
	v_cndmask_b32_e64 v85, v85, v100, s13
	v_perm_b32 v69, v102, v101, 0x5040100
	v_perm_b32 v86, v87, v86, 0x5040100
	;; [unrolled: 1-line block ×3, first 2 shown]
	v_cndmask_b32_e64 v89, v89, v94, s24
	v_cndmask_b32_e64 v85, v85, v94, s16
	s_mul_i32 s8, s35, 3
	s_delay_alu instid0(VALU_DEP_2) | instskip(NEXT) | instid1(VALU_DEP_2)
	v_cndmask_b32_e64 v88, v89, v84, s27
	v_cndmask_b32_e64 v89, v85, v84, s18
	s_delay_alu instid0(VALU_DEP_2) | instskip(NEXT) | instid1(VALU_DEP_2)
	v_perm_b32 v85, v88, v90, 0x5040100
	v_perm_b32 v84, v89, v66, 0x5040100
	ds_store_b128 v76, v[69:72]
	ds_store_b128 v76, v[83:86] offset:1024
	v_cmpx_gt_u32_e32 3, v0
	s_cbranch_execz .LBB1624_78
; %bb.77:
	s_mul_i32 s4, s8, s30
	s_delay_alu instid0(SALU_CYCLE_1) | instskip(SKIP_1) | instid1(VALU_DEP_1)
	v_add3_u32 v69, s4, s31, v65
	s_load_b128 s[4:7], s[0:1], 0x58
	v_mad_u64_u32 v[65:66], null, v69, s34, s[14:15]
	s_delay_alu instid0(VALU_DEP_1) | instskip(NEXT) | instid1(VALU_DEP_1)
	v_ashrrev_i32_e32 v66, 31, v65
	v_lshlrev_b64 v[65:66], 2, v[65:66]
	s_waitcnt lgkmcnt(0)
	s_delay_alu instid0(VALU_DEP_1) | instskip(NEXT) | instid1(VALU_DEP_2)
	v_add_co_u32 v69, vcc_lo, s6, v65
	v_add_co_ci_u32_e32 v70, vcc_lo, s7, v66, vcc_lo
	v_add_co_u32 v65, vcc_lo, s4, v65
	v_add_co_ci_u32_e32 v66, vcc_lo, s5, v66, vcc_lo
	global_store_b32 v[69:70], v67, off
	global_store_b32 v[65:66], v68, off
.LBB1624_78:
	s_or_b32 exec_lo, exec_lo, s3
	s_waitcnt lgkmcnt(0)
	s_waitcnt_vscnt null, 0x0
	s_barrier
	buffer_gl0_inv
	ds_load_b128 v[83:86], v80
	ds_load_b128 v[87:90], v80 offset:16
	ds_load_b128 v[95:98], v80 offset:2064
	;; [unrolled: 1-line block ×3, first 2 shown]
	v_mov_b32_e32 v65, 0
	ds_load_b128 v[103:106], v80 offset:4112
	ds_load_b128 v[99:102], v80 offset:4096
	ds_load_b128 v[111:114], v80 offset:6160
	ds_load_b128 v[107:110], v80 offset:6144
	v_mov_b32_e32 v66, v65
	v_mov_b32_e32 v67, v65
	;; [unrolled: 1-line block ×7, first 2 shown]
	s_waitcnt lgkmcnt(6)
	s_delay_alu instid0(VALU_DEP_1)
	v_wmma_f32_16x16x16_bf16 v[65:72], v[41:48], v[83:90], v[65:72]
	ds_load_b128 v[45:48], v80 offset:8208
	ds_load_b128 v[41:44], v80 offset:8192
	s_waitcnt lgkmcnt(6)
	v_wmma_f32_16x16x16_bf16 v[65:72], v[33:40], v[91:98], v[65:72]
	ds_load_b128 v[37:40], v80 offset:10256
	ds_load_b128 v[33:36], v80 offset:10240
	s_waitcnt lgkmcnt(6)
	;; [unrolled: 4-line block ×4, first 2 shown]
	v_wmma_f32_16x16x16_bf16 v[65:72], v[1:8], v[41:48], v[65:72]
	s_waitcnt lgkmcnt(4)
	s_delay_alu instid0(VALU_DEP_1) | instskip(SKIP_1) | instid1(VALU_DEP_1)
	v_wmma_f32_16x16x16_bf16 v[65:72], v[9:16], v[33:40], v[65:72]
	s_waitcnt lgkmcnt(2)
	v_wmma_f32_16x16x16_bf16 v[65:72], v[57:64], v[25:32], v[65:72]
	s_waitcnt lgkmcnt(0)
	s_delay_alu instid0(VALU_DEP_1) | instskip(NEXT) | instid1(VALU_DEP_1)
	v_wmma_f32_16x16x16_bf16 v[65:72], v[49:56], v[17:24], v[65:72]
	v_and_b32_e32 v1, 0x7f800000, v65
	s_delay_alu instid0(VALU_DEP_1) | instskip(SKIP_1) | instid1(SALU_CYCLE_1)
	v_cmp_ne_u32_e32 vcc_lo, 0x7f800000, v1
                                        ; implicit-def: $vgpr1
	s_and_saveexec_b32 s3, vcc_lo
	s_xor_b32 s3, exec_lo, s3
; %bb.79:
	v_bfe_u32 v1, v65, 16, 1
	s_delay_alu instid0(VALU_DEP_1)
	v_add3_u32 v1, v65, v1, 0x7fff
; %bb.80:
	s_and_not1_saveexec_b32 s3, s3
; %bb.81:
	v_and_b32_e32 v1, 0xffff, v65
	v_or_b32_e32 v2, 0x10000, v65
	s_delay_alu instid0(VALU_DEP_2) | instskip(NEXT) | instid1(VALU_DEP_2)
	v_cmp_eq_u32_e32 vcc_lo, 0, v1
	v_cndmask_b32_e32 v1, v2, v65, vcc_lo
; %bb.82:
	s_or_b32 exec_lo, exec_lo, s3
	v_and_b32_e32 v2, 0x7f800000, v66
	s_delay_alu instid0(VALU_DEP_1) | instskip(SKIP_1) | instid1(SALU_CYCLE_1)
	v_cmp_ne_u32_e32 vcc_lo, 0x7f800000, v2
                                        ; implicit-def: $vgpr2
	s_and_saveexec_b32 s3, vcc_lo
	s_xor_b32 s3, exec_lo, s3
; %bb.83:
	v_bfe_u32 v2, v66, 16, 1
	s_delay_alu instid0(VALU_DEP_1)
	v_add3_u32 v2, v66, v2, 0x7fff
; %bb.84:
	s_and_not1_saveexec_b32 s3, s3
; %bb.85:
	v_and_b32_e32 v2, 0xffff, v66
	v_or_b32_e32 v3, 0x10000, v66
	s_delay_alu instid0(VALU_DEP_2) | instskip(NEXT) | instid1(VALU_DEP_2)
	v_cmp_eq_u32_e32 vcc_lo, 0, v2
	v_cndmask_b32_e32 v2, v3, v66, vcc_lo
; %bb.86:
	s_or_b32 exec_lo, exec_lo, s3
	v_and_b32_e32 v3, 0x7f800000, v67
	s_delay_alu instid0(VALU_DEP_1) | instskip(SKIP_1) | instid1(SALU_CYCLE_1)
	v_cmp_ne_u32_e32 vcc_lo, 0x7f800000, v3
                                        ; implicit-def: $vgpr3
	s_and_saveexec_b32 s3, vcc_lo
	s_xor_b32 s3, exec_lo, s3
; %bb.87:
	v_bfe_u32 v3, v67, 16, 1
	s_delay_alu instid0(VALU_DEP_1)
	v_add3_u32 v3, v67, v3, 0x7fff
; %bb.88:
	s_and_not1_saveexec_b32 s3, s3
; %bb.89:
	v_and_b32_e32 v3, 0xffff, v67
	v_or_b32_e32 v4, 0x10000, v67
	s_delay_alu instid0(VALU_DEP_2) | instskip(NEXT) | instid1(VALU_DEP_2)
	v_cmp_eq_u32_e32 vcc_lo, 0, v3
	v_cndmask_b32_e32 v3, v4, v67, vcc_lo
; %bb.90:
	s_or_b32 exec_lo, exec_lo, s3
	v_and_b32_e32 v4, 0x7f800000, v68
	s_delay_alu instid0(VALU_DEP_1) | instskip(SKIP_1) | instid1(SALU_CYCLE_1)
	v_cmp_ne_u32_e32 vcc_lo, 0x7f800000, v4
                                        ; implicit-def: $vgpr4
	s_and_saveexec_b32 s3, vcc_lo
	s_xor_b32 s3, exec_lo, s3
; %bb.91:
	v_bfe_u32 v4, v68, 16, 1
	s_delay_alu instid0(VALU_DEP_1)
	v_add3_u32 v4, v68, v4, 0x7fff
; %bb.92:
	s_and_not1_saveexec_b32 s3, s3
; %bb.93:
	v_and_b32_e32 v4, 0xffff, v68
	v_or_b32_e32 v5, 0x10000, v68
	s_delay_alu instid0(VALU_DEP_2) | instskip(NEXT) | instid1(VALU_DEP_2)
	v_cmp_eq_u32_e32 vcc_lo, 0, v4
	v_cndmask_b32_e32 v4, v5, v68, vcc_lo
; %bb.94:
	s_or_b32 exec_lo, exec_lo, s3
	v_and_b32_e32 v5, 0x7f800000, v69
	s_delay_alu instid0(VALU_DEP_1) | instskip(SKIP_1) | instid1(SALU_CYCLE_1)
	v_cmp_ne_u32_e32 vcc_lo, 0x7f800000, v5
                                        ; implicit-def: $vgpr5
	s_and_saveexec_b32 s3, vcc_lo
	s_xor_b32 s3, exec_lo, s3
; %bb.95:
	v_bfe_u32 v5, v69, 16, 1
	s_delay_alu instid0(VALU_DEP_1)
	v_add3_u32 v5, v69, v5, 0x7fff
; %bb.96:
	s_and_not1_saveexec_b32 s3, s3
; %bb.97:
	v_and_b32_e32 v5, 0xffff, v69
	v_or_b32_e32 v6, 0x10000, v69
	s_delay_alu instid0(VALU_DEP_2) | instskip(NEXT) | instid1(VALU_DEP_2)
	v_cmp_eq_u32_e32 vcc_lo, 0, v5
	v_cndmask_b32_e32 v5, v6, v69, vcc_lo
; %bb.98:
	s_or_b32 exec_lo, exec_lo, s3
	v_and_b32_e32 v6, 0x7f800000, v70
	s_delay_alu instid0(VALU_DEP_1) | instskip(SKIP_1) | instid1(SALU_CYCLE_1)
	v_cmp_ne_u32_e32 vcc_lo, 0x7f800000, v6
                                        ; implicit-def: $vgpr6
	s_and_saveexec_b32 s3, vcc_lo
	s_xor_b32 s3, exec_lo, s3
; %bb.99:
	v_bfe_u32 v6, v70, 16, 1
	s_delay_alu instid0(VALU_DEP_1)
	v_add3_u32 v6, v70, v6, 0x7fff
; %bb.100:
	s_and_not1_saveexec_b32 s3, s3
; %bb.101:
	v_and_b32_e32 v6, 0xffff, v70
	v_or_b32_e32 v7, 0x10000, v70
	s_delay_alu instid0(VALU_DEP_2) | instskip(NEXT) | instid1(VALU_DEP_2)
	v_cmp_eq_u32_e32 vcc_lo, 0, v6
	v_cndmask_b32_e32 v6, v7, v70, vcc_lo
; %bb.102:
	s_or_b32 exec_lo, exec_lo, s3
	v_and_b32_e32 v7, 0x7f800000, v71
	s_delay_alu instid0(VALU_DEP_1) | instskip(SKIP_1) | instid1(SALU_CYCLE_1)
	v_cmp_ne_u32_e32 vcc_lo, 0x7f800000, v7
                                        ; implicit-def: $vgpr7
	s_and_saveexec_b32 s3, vcc_lo
	s_xor_b32 s3, exec_lo, s3
; %bb.103:
	v_bfe_u32 v7, v71, 16, 1
	s_delay_alu instid0(VALU_DEP_1)
	v_add3_u32 v7, v71, v7, 0x7fff
; %bb.104:
	s_and_not1_saveexec_b32 s3, s3
; %bb.105:
	v_and_b32_e32 v7, 0xffff, v71
	v_or_b32_e32 v8, 0x10000, v71
	s_delay_alu instid0(VALU_DEP_2) | instskip(NEXT) | instid1(VALU_DEP_2)
	v_cmp_eq_u32_e32 vcc_lo, 0, v7
	v_cndmask_b32_e32 v7, v8, v71, vcc_lo
; %bb.106:
	s_or_b32 exec_lo, exec_lo, s3
	v_and_b32_e32 v8, 0x7f800000, v72
	s_delay_alu instid0(VALU_DEP_1) | instskip(SKIP_1) | instid1(SALU_CYCLE_1)
	v_cmp_ne_u32_e32 vcc_lo, 0x7f800000, v8
                                        ; implicit-def: $vgpr8
	s_and_saveexec_b32 s3, vcc_lo
	s_xor_b32 s3, exec_lo, s3
; %bb.107:
	v_bfe_u32 v8, v72, 16, 1
	s_delay_alu instid0(VALU_DEP_1)
	v_add3_u32 v8, v72, v8, 0x7fff
                                        ; implicit-def: $vgpr65_vgpr66_vgpr67_vgpr68_vgpr69_vgpr70_vgpr71_vgpr72
; %bb.108:
	s_and_not1_saveexec_b32 s3, s3
; %bb.109:
	v_and_b32_e32 v8, 0xffff, v72
	v_or_b32_e32 v9, 0x10000, v72
	s_delay_alu instid0(VALU_DEP_2) | instskip(NEXT) | instid1(VALU_DEP_2)
	v_cmp_eq_u32_e32 vcc_lo, 0, v8
	v_cndmask_b32_e32 v8, v9, v72, vcc_lo
; %bb.110:
	s_or_b32 exec_lo, exec_lo, s3
	s_delay_alu instid0(VALU_DEP_1)
	v_perm_b32 v7, v8, v7, 0x7060302
	v_perm_b32 v6, v6, v5, 0x7060302
	;; [unrolled: 1-line block ×4, first 2 shown]
	s_barrier
	buffer_gl0_inv
	v_cmp_eq_u32_e32 vcc_lo, 1, v78
	ds_store_b128 v76, v[4:7]
	s_waitcnt lgkmcnt(0)
	s_barrier
	buffer_gl0_inv
	ds_load_b128 v[1:4], v82
	ds_load_b128 v[5:8], v82 offset:16
	v_cmp_eq_u32_e64 s3, 1, v79
	v_cmp_eq_u32_e64 s4, 2, v78
	;; [unrolled: 1-line block ×5, first 2 shown]
	s_waitcnt lgkmcnt(1)
	v_lshrrev_b32_e32 v9, 16, v1
	s_waitcnt lgkmcnt(0)
	v_lshrrev_b32_e32 v13, 16, v5
	v_lshrrev_b32_e32 v10, 16, v2
	;; [unrolled: 1-line block ×4, first 2 shown]
	v_cndmask_b32_e64 v19, v1, v9, s3
	v_cndmask_b32_e32 v18, v5, v13, vcc_lo
	v_cndmask_b32_e64 v20, v5, v13, s3
	v_cndmask_b32_e32 v17, v1, v9, vcc_lo
	v_cmp_eq_u32_e32 vcc_lo, 2, v79
	v_lshrrev_b32_e32 v15, 16, v7
	v_cmp_eq_u32_e64 s3, 1, v77
	v_lshrrev_b32_e32 v12, 16, v4
	v_lshrrev_b32_e32 v16, 16, v8
	v_cndmask_b32_e32 v20, v20, v6, vcc_lo
	v_cndmask_b32_e64 v17, v17, v2, s4
	v_cndmask_b32_e32 v19, v19, v2, vcc_lo
	v_cndmask_b32_e64 v18, v18, v6, s4
	v_cmp_eq_u32_e32 vcc_lo, 4, v78
	v_cmp_eq_u32_e64 s4, 3, v79
	v_cndmask_b32_e64 v17, v17, v10, s5
	v_cndmask_b32_e64 v21, v1, v9, s3
	;; [unrolled: 1-line block ×5, first 2 shown]
	v_cndmask_b32_e32 v17, v17, v3, vcc_lo
	v_cndmask_b32_e64 v20, v20, v14, s4
	v_cndmask_b32_e32 v18, v18, v7, vcc_lo
	v_cmp_eq_u32_e32 vcc_lo, 4, v79
	v_cmp_eq_u32_e64 s4, 5, v79
	v_cmp_eq_u32_e64 s3, 2, v81
	v_cndmask_b32_e64 v21, v21, v2, s7
	v_cmp_eq_u32_e64 s5, 5, v78
	v_cndmask_b32_e32 v19, v19, v3, vcc_lo
	v_cndmask_b32_e32 v20, v20, v7, vcc_lo
	v_cmp_eq_u32_e32 vcc_lo, 6, v79
	s_delay_alu instid0(VALU_DEP_4) | instskip(NEXT) | instid1(VALU_DEP_4)
	v_cndmask_b32_e64 v17, v17, v11, s5
	v_cndmask_b32_e64 v19, v19, v11, s4
	s_delay_alu instid0(VALU_DEP_4) | instskip(SKIP_1) | instid1(VALU_DEP_3)
	v_cndmask_b32_e64 v20, v20, v15, s4
	v_cmp_eq_u32_e64 s4, 1, v81
	v_cndmask_b32_e32 v19, v19, v4, vcc_lo
	v_cndmask_b32_e64 v18, v18, v15, s5
	s_delay_alu instid0(VALU_DEP_3)
	v_cndmask_b32_e64 v1, v1, v9, s4
	v_cndmask_b32_e64 v5, v5, v13, s4
	v_cmp_eq_u32_e64 s4, 3, v77
	v_cndmask_b32_e64 v13, v22, v6, s7
	v_cmp_eq_u32_e64 s7, 3, v81
	v_cndmask_b32_e64 v1, v1, v2, s3
	v_cndmask_b32_e64 v2, v5, v6, s3
	;; [unrolled: 1-line block ×3, first 2 shown]
	v_cmp_eq_u32_e64 s3, 4, v77
	v_cndmask_b32_e64 v6, v13, v14, s4
	v_cndmask_b32_e64 v1, v1, v10, s7
	v_cmp_eq_u32_e64 s4, 4, v81
	v_cndmask_b32_e64 v2, v2, v14, s7
	v_cndmask_b32_e64 v5, v9, v3, s3
	;; [unrolled: 3-line block ×3, first 2 shown]
	v_cndmask_b32_e64 v2, v2, v7, s4
	v_cmp_eq_u32_e64 s3, 5, v81
	v_cmp_eq_u32_e64 s5, 6, v78
	v_cndmask_b32_e64 v5, v5, v11, s7
	v_cmp_eq_u32_e64 s4, 6, v77
	v_cndmask_b32_e64 v3, v6, v15, s7
	v_cndmask_b32_e64 v1, v1, v11, s3
	v_cmp_eq_u32_e64 s7, 6, v81
	v_cndmask_b32_e64 v2, v2, v15, s3
	v_cndmask_b32_e64 v17, v17, v4, s5
	v_cndmask_b32_e64 v18, v18, v8, s5
	v_cmp_eq_u32_e64 s5, 7, v78
	v_cndmask_b32_e64 v5, v5, v4, s4
	;; [unrolled: 4-line block ×3, first 2 shown]
	v_cmp_eq_u32_e64 s4, 7, v77
	v_cndmask_b32_e32 v4, v20, v8, vcc_lo
	v_cndmask_b32_e64 v17, v17, v12, s5
	v_cndmask_b32_e64 v19, v19, v12, s6
	;; [unrolled: 1-line block ×8, first 2 shown]
	s_mov_b32 s3, exec_lo
	v_perm_b32 v4, v2, v1, 0x5040100
	v_perm_b32 v3, v3, v5, 0x5040100
	;; [unrolled: 1-line block ×4, first 2 shown]
	ds_store_b128 v76, v[1:4]
	s_waitcnt lgkmcnt(0)
	s_barrier
	buffer_gl0_inv
	v_cmpx_gt_u32_e32 32, v0
	s_cbranch_execz .LBB1624_2
; %bb.111:
	s_load_b64 s[4:5], s[0:1], 0x68
	v_lshlrev_b32_e32 v0, 10, v0
	v_lshlrev_b32_e32 v2, 4, v75
	v_add_nc_u32_e32 v1, s31, v74
	s_lshl_b32 s0, s34, 7
	s_delay_alu instid0(SALU_CYCLE_1) | instskip(NEXT) | instid1(VALU_DEP_2)
	s_mul_i32 s1, s0, s30
	v_and_or_b32 v0, 0x3800, v0, v2
	s_mul_i32 s6, s1, s8
	v_mul_lo_u32 v1, v1, s0
	s_ashr_i32 s7, s6, 31
	s_delay_alu instid0(VALU_DEP_2) | instskip(SKIP_1) | instid1(VALU_DEP_2)
	v_lshl_or_b32 v3, v74, 6, v0
	s_lshl_b64 s[6:7], s[6:7], 1
	v_ashrrev_i32_e32 v2, 31, v1
	ds_load_b128 v[3:6], v3
	s_waitcnt lgkmcnt(0)
	s_add_u32 s1, s4, s6
	s_addc_u32 s3, s5, s7
	s_lshl_b32 s4, s14, 7
	v_lshlrev_b64 v[7:8], 1, v[1:2]
	s_ashr_i32 s5, s4, 31
	s_delay_alu instid0(SALU_CYCLE_1) | instskip(NEXT) | instid1(SALU_CYCLE_1)
	s_lshl_b64 s[4:5], s[4:5], 1
	s_add_u32 s1, s1, s4
	s_addc_u32 s3, s3, s5
	v_add_co_u32 v1, s1, s1, v73
	s_delay_alu instid0(VALU_DEP_1) | instskip(NEXT) | instid1(VALU_DEP_2)
	v_add_co_ci_u32_e64 v2, null, s3, 0, s1
	v_add_co_u32 v7, vcc_lo, v1, v7
	s_delay_alu instid0(VALU_DEP_2)
	v_add_co_ci_u32_e32 v8, vcc_lo, v2, v8, vcc_lo
	global_store_b128 v[7:8], v[3:6], off
	s_and_b32 exec_lo, exec_lo, s2
	s_cbranch_execz .LBB1624_2
; %bb.112:
	ds_load_b128 v[3:6], v0 offset:128
	s_add_i32 s1, s31, 2
	s_delay_alu instid0(SALU_CYCLE_1) | instskip(NEXT) | instid1(SALU_CYCLE_1)
	s_mul_i32 s0, s1, s0
	s_ashr_i32 s1, s0, 31
	s_delay_alu instid0(SALU_CYCLE_1) | instskip(NEXT) | instid1(SALU_CYCLE_1)
	s_lshl_b64 s[0:1], s[0:1], 1
	v_add_co_u32 v0, vcc_lo, v1, s0
	v_add_co_ci_u32_e32 v1, vcc_lo, s1, v2, vcc_lo
	s_waitcnt lgkmcnt(0)
	global_store_b128 v[0:1], v[3:6], off
	s_nop 0
	s_sendmsg sendmsg(MSG_DEALLOC_VGPRS)
	s_endpgm
	.section	.rodata,"a",@progbits
	.p2align	6, 0x0
	.amdhsa_kernel _Z39paged_attention_ll4mi_QKV_mfma16_kernelI14__hip_bfloat16hLN4vllm18Fp8KVCacheDataTypeE1EhLi32ELi128ELi256ELb0ELi3EL8MFMAType1EEvPKT_PKT0_S9_ifPKiSB_SB_iPKfiiiPfSE_PS4_PT2_iSD_SD_
		.amdhsa_group_segment_fixed_size 17472
		.amdhsa_private_segment_fixed_size 0
		.amdhsa_kernarg_size 400
		.amdhsa_user_sgpr_count 13
		.amdhsa_user_sgpr_dispatch_ptr 0
		.amdhsa_user_sgpr_queue_ptr 0
		.amdhsa_user_sgpr_kernarg_segment_ptr 1
		.amdhsa_user_sgpr_dispatch_id 0
		.amdhsa_user_sgpr_private_segment_size 0
		.amdhsa_wavefront_size32 1
		.amdhsa_uses_dynamic_stack 0
		.amdhsa_enable_private_segment 0
		.amdhsa_system_sgpr_workgroup_id_x 1
		.amdhsa_system_sgpr_workgroup_id_y 1
		.amdhsa_system_sgpr_workgroup_id_z 1
		.amdhsa_system_sgpr_workgroup_info 0
		.amdhsa_system_vgpr_workitem_id 0
		.amdhsa_next_free_vgpr 140
		.amdhsa_next_free_sgpr 36
		.amdhsa_reserve_vcc 1
		.amdhsa_float_round_mode_32 0
		.amdhsa_float_round_mode_16_64 0
		.amdhsa_float_denorm_mode_32 3
		.amdhsa_float_denorm_mode_16_64 3
		.amdhsa_dx10_clamp 1
		.amdhsa_ieee_mode 1
		.amdhsa_fp16_overflow 0
		.amdhsa_workgroup_processor_mode 1
		.amdhsa_memory_ordered 1
		.amdhsa_forward_progress 0
		.amdhsa_shared_vgpr_count 0
		.amdhsa_exception_fp_ieee_invalid_op 0
		.amdhsa_exception_fp_denorm_src 0
		.amdhsa_exception_fp_ieee_div_zero 0
		.amdhsa_exception_fp_ieee_overflow 0
		.amdhsa_exception_fp_ieee_underflow 0
		.amdhsa_exception_fp_ieee_inexact 0
		.amdhsa_exception_int_div_zero 0
	.end_amdhsa_kernel
	.section	.text._Z39paged_attention_ll4mi_QKV_mfma16_kernelI14__hip_bfloat16hLN4vllm18Fp8KVCacheDataTypeE1EhLi32ELi128ELi256ELb0ELi3EL8MFMAType1EEvPKT_PKT0_S9_ifPKiSB_SB_iPKfiiiPfSE_PS4_PT2_iSD_SD_,"axG",@progbits,_Z39paged_attention_ll4mi_QKV_mfma16_kernelI14__hip_bfloat16hLN4vllm18Fp8KVCacheDataTypeE1EhLi32ELi128ELi256ELb0ELi3EL8MFMAType1EEvPKT_PKT0_S9_ifPKiSB_SB_iPKfiiiPfSE_PS4_PT2_iSD_SD_,comdat
.Lfunc_end1624:
	.size	_Z39paged_attention_ll4mi_QKV_mfma16_kernelI14__hip_bfloat16hLN4vllm18Fp8KVCacheDataTypeE1EhLi32ELi128ELi256ELb0ELi3EL8MFMAType1EEvPKT_PKT0_S9_ifPKiSB_SB_iPKfiiiPfSE_PS4_PT2_iSD_SD_, .Lfunc_end1624-_Z39paged_attention_ll4mi_QKV_mfma16_kernelI14__hip_bfloat16hLN4vllm18Fp8KVCacheDataTypeE1EhLi32ELi128ELi256ELb0ELi3EL8MFMAType1EEvPKT_PKT0_S9_ifPKiSB_SB_iPKfiiiPfSE_PS4_PT2_iSD_SD_
                                        ; -- End function
	.section	.AMDGPU.csdata,"",@progbits
; Kernel info:
; codeLenInByte = 8860
; NumSgprs: 38
; NumVgprs: 140
; ScratchSize: 0
; MemoryBound: 0
; FloatMode: 240
; IeeeMode: 1
; LDSByteSize: 17472 bytes/workgroup (compile time only)
; SGPRBlocks: 4
; VGPRBlocks: 17
; NumSGPRsForWavesPerEU: 38
; NumVGPRsForWavesPerEU: 140
; Occupancy: 10
; WaveLimiterHint : 1
; COMPUTE_PGM_RSRC2:SCRATCH_EN: 0
; COMPUTE_PGM_RSRC2:USER_SGPR: 13
; COMPUTE_PGM_RSRC2:TRAP_HANDLER: 0
; COMPUTE_PGM_RSRC2:TGID_X_EN: 1
; COMPUTE_PGM_RSRC2:TGID_Y_EN: 1
; COMPUTE_PGM_RSRC2:TGID_Z_EN: 1
; COMPUTE_PGM_RSRC2:TIDIG_COMP_CNT: 0
	.section	.text._Z39paged_attention_ll4mi_QKV_mfma16_kernelI14__hip_bfloat16hLN4vllm18Fp8KVCacheDataTypeE1EhLi32ELi128ELi256ELb0ELi4EL8MFMAType1EEvPKT_PKT0_S9_ifPKiSB_SB_iPKfiiiPfSE_PS4_PT2_iSD_SD_,"axG",@progbits,_Z39paged_attention_ll4mi_QKV_mfma16_kernelI14__hip_bfloat16hLN4vllm18Fp8KVCacheDataTypeE1EhLi32ELi128ELi256ELb0ELi4EL8MFMAType1EEvPKT_PKT0_S9_ifPKiSB_SB_iPKfiiiPfSE_PS4_PT2_iSD_SD_,comdat
	.protected	_Z39paged_attention_ll4mi_QKV_mfma16_kernelI14__hip_bfloat16hLN4vllm18Fp8KVCacheDataTypeE1EhLi32ELi128ELi256ELb0ELi4EL8MFMAType1EEvPKT_PKT0_S9_ifPKiSB_SB_iPKfiiiPfSE_PS4_PT2_iSD_SD_ ; -- Begin function _Z39paged_attention_ll4mi_QKV_mfma16_kernelI14__hip_bfloat16hLN4vllm18Fp8KVCacheDataTypeE1EhLi32ELi128ELi256ELb0ELi4EL8MFMAType1EEvPKT_PKT0_S9_ifPKiSB_SB_iPKfiiiPfSE_PS4_PT2_iSD_SD_
	.globl	_Z39paged_attention_ll4mi_QKV_mfma16_kernelI14__hip_bfloat16hLN4vllm18Fp8KVCacheDataTypeE1EhLi32ELi128ELi256ELb0ELi4EL8MFMAType1EEvPKT_PKT0_S9_ifPKiSB_SB_iPKfiiiPfSE_PS4_PT2_iSD_SD_
	.p2align	8
	.type	_Z39paged_attention_ll4mi_QKV_mfma16_kernelI14__hip_bfloat16hLN4vllm18Fp8KVCacheDataTypeE1EhLi32ELi128ELi256ELb0ELi4EL8MFMAType1EEvPKT_PKT0_S9_ifPKiSB_SB_iPKfiiiPfSE_PS4_PT2_iSD_SD_,@function
_Z39paged_attention_ll4mi_QKV_mfma16_kernelI14__hip_bfloat16hLN4vllm18Fp8KVCacheDataTypeE1EhLi32ELi128ELi256ELb0ELi4EL8MFMAType1EEvPKT_PKT0_S9_ifPKiSB_SB_iPKfiiiPfSE_PS4_PT2_iSD_SD_: ; @_Z39paged_attention_ll4mi_QKV_mfma16_kernelI14__hip_bfloat16hLN4vllm18Fp8KVCacheDataTypeE1EhLi32ELi128ELi256ELb0ELi4EL8MFMAType1EEvPKT_PKT0_S9_ifPKiSB_SB_iPKfiiiPfSE_PS4_PT2_iSD_SD_
; %bb.0:
	s_load_b64 s[4:5], s[0:1], 0x30
	s_mov_b32 s30, s13
	s_waitcnt lgkmcnt(0)
	s_cmp_lg_u64 s[4:5], 0
	s_cselect_b32 s13, -1, 0
	s_ashr_i32 s31, s30, 31
	s_cmp_eq_u64 s[4:5], 0
	s_cbranch_scc1 .LBB1625_3
; %bb.1:
	s_lshl_b64 s[2:3], s[30:31], 2
	s_delay_alu instid0(SALU_CYCLE_1) | instskip(SKIP_4) | instid1(SALU_CYCLE_1)
	s_add_u32 s2, s4, s2
	s_addc_u32 s3, s5, s3
	s_load_b64 s[2:3], s[2:3], 0x0
	s_waitcnt lgkmcnt(0)
	s_sub_i32 s2, s3, s2
	s_cmp_eq_u32 s2, 1
	s_cselect_b32 s2, -1, 0
	s_delay_alu instid0(SALU_CYCLE_1)
	s_and_not1_b32 vcc_lo, exec_lo, s2
	s_cbranch_vccz .LBB1625_4
.LBB1625_2:
	s_endpgm
.LBB1625_3:
.LBB1625_4:
	s_load_b64 s[2:3], s[0:1], 0x28
	s_lshl_b64 s[6:7], s[30:31], 2
	s_waitcnt lgkmcnt(0)
	s_add_u32 s2, s2, s6
	s_addc_u32 s3, s3, s7
	s_lshl_b32 s12, s14, 8
	s_load_b32 s17, s[2:3], 0x0
	s_waitcnt lgkmcnt(0)
	s_cmp_ge_i32 s12, s17
	s_cbranch_scc1 .LBB1625_2
; %bb.5:
	s_clause 0x1
	s_load_b128 s[8:11], s[0:1], 0x8
	s_load_b64 s[2:3], s[0:1], 0x20
	s_and_not1_b32 vcc_lo, exec_lo, s13
	s_cbranch_vccnz .LBB1625_7
; %bb.6:
	s_add_u32 s4, s4, s6
	s_addc_u32 s5, s5, s7
	s_load_b32 s13, s[4:5], 0x0
	s_branch .LBB1625_8
.LBB1625_7:
	s_mov_b32 s13, s30
.LBB1625_8:
	s_load_b128 s[4:7], s[0:1], 0x48
	v_and_b32_e32 v66, 15, v0
	v_lshrrev_b32_e32 v65, 5, v0
	v_and_b32_e32 v67, 31, v0
	v_and_b32_e32 v75, 1, v0
	v_bfe_u32 v74, v0, 4, 1
	v_lshlrev_b32_e32 v1, 3, v66
	s_lshl_b32 s29, s15, 2
	s_waitcnt lgkmcnt(0)
	s_mov_b32 s7, exec_lo
	s_delay_alu instid0(VALU_DEP_1)
	v_lshlrev_b32_e32 v73, 1, v1
	v_cmpx_gt_u32_e32 64, v0
	s_cbranch_execz .LBB1625_10
; %bb.9:
	v_lshl_or_b32 v5, v65, 1, v74
	s_load_b64 s[18:19], s[0:1], 0x0
	s_mul_hi_i32 s21, s13, s4
	s_mul_i32 s20, s13, s4
	v_lshlrev_b32_e32 v6, 10, v66
	v_or_b32_e32 v1, s29, v5
	s_lshl_b64 s[20:21], s[20:21], 1
	v_lshlrev_b32_e32 v5, 6, v5
	v_lshlrev_b32_e32 v7, 10, v75
	v_and_b32_e32 v6, 0x3800, v6
	v_lshlrev_b32_e32 v1, 7, v1
	s_delay_alu instid0(VALU_DEP_2) | instskip(NEXT) | instid1(VALU_DEP_2)
	v_or3_b32 v5, v6, v7, v5
	v_ashrrev_i32_e32 v2, 31, v1
	s_delay_alu instid0(VALU_DEP_1) | instskip(SKIP_3) | instid1(VALU_DEP_1)
	v_lshlrev_b64 v[1:2], 1, v[1:2]
	s_waitcnt lgkmcnt(0)
	s_add_u32 s4, s18, s20
	s_addc_u32 s13, s19, s21
	v_add_co_u32 v1, vcc_lo, s4, v1
	s_delay_alu instid0(VALU_DEP_2) | instskip(NEXT) | instid1(VALU_DEP_2)
	v_add_co_ci_u32_e32 v2, vcc_lo, s13, v2, vcc_lo
	v_add_co_u32 v1, vcc_lo, v1, v73
	s_delay_alu instid0(VALU_DEP_2)
	v_add_co_ci_u32_e32 v2, vcc_lo, 0, v2, vcc_lo
	global_load_b128 v[1:4], v[1:2], off
	s_waitcnt vmcnt(0)
	ds_store_b128 v5, v[1:4]
.LBB1625_10:
	s_or_b32 exec_lo, exec_lo, s7
	v_and_b32_e32 v1, 0xef, v0
	s_add_i32 s4, s17, 31
	s_clause 0x1
	s_load_b32 s7, s[0:1], 0x38
	s_load_b32 s18, s[0:1], 0x1c
	s_ashr_i32 s13, s4, 31
	v_add_nc_u32_e32 v1, s12, v1
	s_lshr_b32 s13, s13, 27
	s_waitcnt lgkmcnt(0)
	s_add_i32 s4, s4, s13
	s_barrier
	v_ashrrev_i32_e32 v2, 31, v1
	v_or_b32_e32 v3, 16, v1
	s_ashr_i32 s4, s4, 5
	v_cmp_gt_i32_e32 vcc_lo, s17, v1
	s_add_i32 s4, s4, -1
	v_lshrrev_b32_e32 v2, 27, v2
	buffer_gl0_inv
	s_mul_i32 s15, s15, s6
	v_add_nc_u32_e32 v4, v1, v2
	s_mul_i32 s20, s30, s7
	s_delay_alu instid0(SALU_CYCLE_1) | instskip(NEXT) | instid1(VALU_DEP_1)
	s_ashr_i32 s21, s20, 31
	v_ashrrev_i32_e32 v4, 5, v4
	v_add_nc_u32_e32 v2, v3, v2
	s_lshl_b64 s[20:21], s[20:21], 2
	s_delay_alu instid0(SALU_CYCLE_1) | instskip(NEXT) | instid1(VALU_DEP_2)
	s_add_u32 s13, s2, s20
	v_cndmask_b32_e32 v1, s4, v4, vcc_lo
	s_delay_alu instid0(VALU_DEP_2)
	v_ashrrev_i32_e32 v2, 5, v2
	v_cmp_gt_i32_e32 vcc_lo, s17, v3
	s_addc_u32 s16, s3, s21
	s_ashr_i32 s19, s15, 31
	s_add_u32 s2, s8, s15
	s_addc_u32 s3, s9, s19
	v_cndmask_b32_e32 v3, s4, v2, vcc_lo
	v_ashrrev_i32_e32 v2, 31, v1
	s_lshl_b32 s6, s14, 3
	s_delay_alu instid0(SALU_CYCLE_1) | instskip(NEXT) | instid1(VALU_DEP_2)
	s_ashr_i32 s7, s6, 31
	v_ashrrev_i32_e32 v4, 31, v3
	s_delay_alu instid0(VALU_DEP_2) | instskip(SKIP_1) | instid1(SALU_CYCLE_1)
	v_lshlrev_b64 v[1:2], 2, v[1:2]
	s_lshl_b64 s[6:7], s[6:7], 2
	s_add_u32 s6, s13, s6
	s_delay_alu instid0(VALU_DEP_2) | instskip(SKIP_1) | instid1(VALU_DEP_2)
	v_lshlrev_b64 v[3:4], 2, v[3:4]
	s_addc_u32 s7, s16, s7
	v_add_co_u32 v1, vcc_lo, s13, v1
	v_add_co_ci_u32_e32 v2, vcc_lo, s16, v2, vcc_lo
	s_delay_alu instid0(VALU_DEP_3) | instskip(NEXT) | instid1(VALU_DEP_4)
	v_add_co_u32 v3, vcc_lo, s13, v3
	v_add_co_ci_u32_e32 v4, vcc_lo, s16, v4, vcc_lo
	s_clause 0x1
	global_load_b32 v5, v[1:2], off
	global_load_b32 v6, v[3:4], off
	s_or_b32 s8, s12, 32
	s_delay_alu instid0(SALU_CYCLE_1) | instskip(SKIP_2) | instid1(SALU_CYCLE_1)
	s_ashr_i32 s9, s8, 5
	s_cmp_lt_i32 s8, s17
	s_cselect_b32 s8, s9, s4
	s_ashr_i32 s9, s8, 31
	s_delay_alu instid0(SALU_CYCLE_1) | instskip(NEXT) | instid1(SALU_CYCLE_1)
	s_lshl_b64 s[8:9], s[8:9], 2
	s_add_u32 s8, s13, s8
	s_addc_u32 s9, s16, s9
	s_or_b32 s20, s12, 64
	s_delay_alu instid0(SALU_CYCLE_1) | instskip(SKIP_2) | instid1(SALU_CYCLE_1)
	s_ashr_i32 s21, s20, 5
	s_cmp_lt_i32 s20, s17
	s_cselect_b32 s20, s21, s4
	s_ashr_i32 s21, s20, 31
	s_delay_alu instid0(SALU_CYCLE_1) | instskip(NEXT) | instid1(SALU_CYCLE_1)
	s_lshl_b64 s[20:21], s[20:21], 2
	s_add_u32 s20, s13, s20
	s_addc_u32 s21, s16, s21
	;; [unrolled: 10-line block ×5, first 2 shown]
	s_clause 0x5
	s_load_b32 s28, s[6:7], 0x0
	s_load_b32 s8, s[8:9], 0x0
	;; [unrolled: 1-line block ×6, first 2 shown]
	s_mov_b32 s20, 0
	s_delay_alu instid0(SALU_CYCLE_1)
	s_mov_b32 s21, s20
	s_mov_b32 s22, s20
	;; [unrolled: 1-line block ×7, first 2 shown]
	s_delay_alu instid0(SALU_CYCLE_1)
	v_dual_mov_b32 v107, s27 :: v_dual_mov_b32 v106, s26
	v_dual_mov_b32 v104, s24 :: v_dual_mov_b32 v103, s23
	;; [unrolled: 1-line block ×4, first 2 shown]
	s_waitcnt vmcnt(1)
	v_mad_i64_i32 v[1:2], null, v5, s5, s[2:3]
	v_lshlrev_b32_e32 v5, 4, v66
	s_waitcnt vmcnt(0)
	v_mad_i64_i32 v[3:4], null, v6, s5, s[2:3]
	s_or_b32 s2, s12, 0xc0
	s_delay_alu instid0(SALU_CYCLE_1) | instskip(NEXT) | instid1(VALU_DEP_3)
	s_ashr_i32 s3, s2, 5
	v_add_co_u32 v33, vcc_lo, v1, v5
	s_delay_alu instid0(VALU_DEP_4) | instskip(NEXT) | instid1(VALU_DEP_3)
	v_add_co_ci_u32_e32 v34, vcc_lo, 0, v2, vcc_lo
	v_add_co_u32 v35, vcc_lo, v3, v5
	s_delay_alu instid0(VALU_DEP_4)
	v_add_co_ci_u32_e32 v36, vcc_lo, 0, v4, vcc_lo
	s_clause 0xf
	global_load_b128 v[1:4], v[33:34], off
	global_load_b128 v[5:8], v[33:34], off offset:512
	global_load_b128 v[9:12], v[35:36], off offset:256
	;; [unrolled: 1-line block ×15, first 2 shown]
	s_cmp_lt_i32 s2, s17
	v_and_b32_e32 v33, 3, v0
	s_cselect_b32 s2, s3, s4
	v_lshlrev_b32_e32 v34, 5, v66
	s_ashr_i32 s3, s2, 31
	s_delay_alu instid0(SALU_CYCLE_1)
	s_lshl_b64 s[2:3], s[2:3], 2
	v_lshlrev_b32_e32 v72, 6, v33
	s_add_u32 s2, s13, s2
	s_addc_u32 s3, s16, s3
	s_or_b32 s6, s12, 0xe0
	v_lshl_or_b32 v41, v65, 9, v34
	s_ashr_i32 s7, s6, 5
	s_cmp_lt_i32 s6, s17
	ds_load_b128 v[33:36], v72
	ds_load_b128 v[37:40], v72 offset:1024
	s_cselect_b32 s6, s7, s4
	ds_load_b128 v[108:111], v72 offset:2048
	ds_load_b128 v[112:115], v72 offset:3072
	s_ashr_i32 s7, s6, 31
	s_load_b32 s4, s[2:3], 0x0
	s_lshl_b64 s[6:7], s[6:7], 2
	ds_load_b128 v[116:119], v72 offset:4096
	ds_load_b128 v[120:123], v72 offset:5120
	s_add_u32 s2, s13, s6
	s_addc_u32 s3, s16, s7
	s_add_u32 s6, s10, s15
	s_load_b32 s2, s[2:3], 0x0
	s_addc_u32 s7, s11, s19
	v_add_co_u32 v68, s6, s6, v41
	s_delay_alu instid0(VALU_DEP_1) | instskip(SKIP_1) | instid1(VALU_DEP_1)
	v_add_co_ci_u32_e64 v69, null, s7, 0, s6
	s_waitcnt lgkmcnt(0)
	v_mad_i64_i32 v[41:42], null, s28, s5, v[68:69]
	v_mad_i64_i32 v[70:71], null, s9, s5, v[68:69]
	;; [unrolled: 1-line block ×7, first 2 shown]
	s_clause 0x3
	global_load_b128 v[49:52], v[41:42], off
	global_load_b128 v[53:56], v[41:42], off offset:16
	global_load_b128 v[41:44], v[45:46], off
	global_load_b128 v[45:48], v[45:46], off offset:16
	s_waitcnt vmcnt(18)
	v_wmma_f32_16x16x16_bf16 v[124:131], v[1:8], v[33:40], v[100:107]
	s_waitcnt vmcnt(16)
	v_wmma_f32_16x16x16_bf16 v[100:107], v[9:16], v[33:40], v[100:107]
	s_clause 0x1
	global_load_b128 v[33:36], v[70:71], off
	global_load_b128 v[37:40], v[70:71], off offset:16
	v_mad_i64_i32 v[70:71], null, s2, s5, v[68:69]
	s_waitcnt vmcnt(16)
	v_wmma_f32_16x16x16_bf16 v[124:131], v[17:24], v[108:115], v[124:131]
	s_waitcnt vmcnt(14)
	v_wmma_f32_16x16x16_bf16 v[100:107], v[25:32], v[108:115], v[100:107]
	s_clause 0x7
	global_load_b128 v[25:28], v[132:133], off
	global_load_b128 v[29:32], v[132:133], off offset:16
	global_load_b128 v[1:4], v[134:135], off
	global_load_b128 v[5:8], v[134:135], off offset:16
	;; [unrolled: 2-line block ×4, first 2 shown]
	s_waitcnt vmcnt(20)
	v_wmma_f32_16x16x16_bf16 v[124:131], v[57:64], v[116:123], v[124:131]
	s_clause 0x1
	global_load_b128 v[57:60], v[70:71], off
	global_load_b128 v[61:64], v[70:71], off offset:16
	s_waitcnt vmcnt(20)
	v_wmma_f32_16x16x16_bf16 v[100:107], v[76:83], v[116:123], v[100:107]
	ds_load_b128 v[76:79], v72 offset:6144
	ds_load_b128 v[80:83], v72 offset:7168
	v_and_b32_e32 v68, 0xe0, v0
	v_mbcnt_lo_u32_b32 v69, -1, 0
	s_waitcnt vmcnt(0) lgkmcnt(0)
	s_barrier
	buffer_gl0_inv
	v_add_nc_u32_e32 v68, s12, v68
	v_xor_b32_e32 v70, 16, v69
	s_delay_alu instid0(VALU_DEP_2) | instskip(NEXT) | instid1(VALU_DEP_2)
	v_or_b32_e32 v68, v68, v74
	v_cmp_gt_i32_e32 vcc_lo, 32, v70
	s_delay_alu instid0(VALU_DEP_2)
	v_or_b32_e32 v71, 4, v68
	v_or_b32_e32 v72, 6, v68
	v_cmp_gt_i32_e64 s2, s17, v68
	v_or_b32_e32 v108, 8, v68
	v_wmma_f32_16x16x16_bf16 v[124:131], v[84:91], v[76:83], v[124:131]
	v_cndmask_b32_e32 v69, v69, v70, vcc_lo
	v_or_b32_e32 v70, 2, v68
	v_wmma_f32_16x16x16_bf16 v[100:107], v[92:99], v[76:83], v[100:107]
	v_or_b32_e32 v109, 10, v68
	v_dual_mul_f32 v78, s18, v131 :: v_dual_mul_f32 v83, s18, v126
	v_dual_mul_f32 v92, s18, v125 :: v_dual_mul_f32 v93, s18, v124
	s_delay_alu instid0(VALU_DEP_4) | instskip(SKIP_2) | instid1(VALU_DEP_4)
	v_mul_f32_e32 v94, s18, v107
	v_cmp_gt_i32_e32 vcc_lo, s17, v70
	v_dual_mul_f32 v81, s18, v128 :: v_dual_mul_f32 v82, s18, v127
	v_cndmask_b32_e64 v93, 0xff7fffff, v93, s2
	v_cmp_gt_i32_e64 s3, s17, v71
	v_cndmask_b32_e32 v92, 0xff7fffff, v92, vcc_lo
	v_cmp_gt_i32_e64 s4, s17, v72
	v_or_b32_e32 v84, 12, v68
	v_or_b32_e32 v85, 14, v68
	v_dual_mul_f32 v79, s18, v130 :: v_dual_mul_f32 v80, s18, v129
	v_cndmask_b32_e64 v71, 0xff7fffff, v83, s3
	v_cndmask_b32_e64 v72, 0xff7fffff, v82, s4
	v_max3_f32 v82, v93, 0xff7fffff, v92
	v_cmp_gt_i32_e64 s5, s17, v108
	v_cmp_gt_i32_e64 s6, s17, v109
	v_or_b32_e32 v86, 16, v68
	v_or_b32_e32 v87, 18, v68
	v_max3_f32 v71, v82, v71, v72
	v_cndmask_b32_e64 v81, 0xff7fffff, v81, s5
	v_cndmask_b32_e64 v80, 0xff7fffff, v80, s6
	v_cmp_gt_i32_e64 s7, s17, v84
	v_cmp_gt_i32_e64 s8, s17, v85
	v_or_b32_e32 v88, 20, v68
	v_or_b32_e32 v89, 22, v68
	;; [unrolled: 1-line block ×6, first 2 shown]
	v_dual_mul_f32 v99, s18, v102 :: v_dual_mul_f32 v70, s18, v101
	v_mul_f32_e32 v68, s18, v100
	v_cndmask_b32_e64 v72, 0xff7fffff, v79, s7
	v_cndmask_b32_e64 v78, 0xff7fffff, v78, s8
	v_max3_f32 v71, v71, v81, v80
	v_cmp_gt_i32_e64 s9, s17, v86
	v_cmp_gt_i32_e64 s10, s17, v87
	v_dual_mul_f32 v97, s18, v104 :: v_dual_mul_f32 v98, s18, v103
	s_delay_alu instid0(VALU_DEP_4) | instskip(SKIP_1) | instid1(VALU_DEP_4)
	v_max3_f32 v71, v71, v72, v78
	v_cmp_gt_i32_e64 s11, s17, v88
	v_cndmask_b32_e64 v70, 0xff7fffff, v70, s10
	v_cmp_gt_i32_e64 s12, s17, v89
	v_lshlrev_b32_e32 v89, 2, v69
	v_cndmask_b32_e64 v68, 0xff7fffff, v68, s9
	v_dual_mul_f32 v95, s18, v106 :: v_dual_mul_f32 v96, s18, v105
	v_cndmask_b32_e64 v72, 0xff7fffff, v99, s11
	v_cndmask_b32_e64 v78, 0xff7fffff, v98, s12
	s_delay_alu instid0(VALU_DEP_4)
	v_max3_f32 v68, v71, v68, v70
	v_cmp_gt_i32_e64 s13, s17, v90
	v_cmp_gt_i32_e64 s15, s17, v91
	v_cmp_gt_i32_e64 s16, s17, v76
	v_cmp_gt_i32_e64 s17, s17, v77
	v_max3_f32 v68, v68, v72, v78
	v_cndmask_b32_e64 v70, 0xff7fffff, v97, s13
	v_cndmask_b32_e64 v71, 0xff7fffff, v96, s15
	;; [unrolled: 1-line block ×4, first 2 shown]
	s_delay_alu instid0(VALU_DEP_3) | instskip(NEXT) | instid1(VALU_DEP_1)
	v_max3_f32 v68, v68, v70, v71
	v_max3_f32 v68, v68, v72, v76
	ds_bpermute_b32 v69, v89, v68
	s_waitcnt lgkmcnt(0)
	v_max_f32_e32 v69, v69, v69
	s_delay_alu instid0(VALU_DEP_1) | instskip(NEXT) | instid1(VALU_DEP_1)
	v_max_f32_e32 v68, v68, v69
	v_fma_f32 v71, s18, v126, -v68
	s_delay_alu instid0(VALU_DEP_1)
	v_mul_f32_e32 v71, 0x3fb8aa3b, v71
	v_fma_f32 v69, s18, v124, -v68
	v_fma_f32 v70, s18, v125, -v68
	;; [unrolled: 1-line block ×4, first 2 shown]
	v_exp_f32_e32 v71, v71
	s_delay_alu instid0(VALU_DEP_3) | instskip(SKIP_2) | instid1(VALU_DEP_3)
	v_dual_mul_f32 v69, 0x3fb8aa3b, v69 :: v_dual_mul_f32 v70, 0x3fb8aa3b, v70
	v_fma_f32 v78, s18, v130, -v68
	v_fma_f32 v81, s18, v105, -v68
	v_exp_f32_e32 v69, v69
	s_delay_alu instid0(VALU_DEP_3) | instskip(SKIP_1) | instid1(VALU_DEP_2)
	v_exp_f32_e32 v70, v70
	v_mul_f32_e32 v77, 0x3fb8aa3b, v76
	v_mul_f32_e32 v81, 0x3fb8aa3b, v81
	s_delay_alu instid0(TRANS32_DEP_3) | instskip(SKIP_1) | instid1(VALU_DEP_3)
	v_cndmask_b32_e64 v83, 0, v71, s3
	v_fma_f32 v71, s18, v131, -v68
	v_exp_f32_e32 v81, v81
	s_delay_alu instid0(TRANS32_DEP_3) | instskip(NEXT) | instid1(TRANS32_DEP_2)
	v_cndmask_b32_e64 v80, 0, v69, s2
	v_cndmask_b32_e32 v76, 0, v70, vcc_lo
	v_fma_f32 v69, s18, v129, -v68
	v_mul_f32_e32 v72, 0x3fb8aa3b, v72
	v_exp_f32_e32 v77, v77
	v_dual_add_f32 v70, 0, v80 :: v_dual_mul_f32 v71, 0x3fb8aa3b, v71
	s_delay_alu instid0(VALU_DEP_3) | instskip(NEXT) | instid1(VALU_DEP_3)
	v_mul_f32_e32 v69, 0x3fb8aa3b, v69
	v_exp_f32_e32 v72, v72
	s_mov_b32 s2, exec_lo
	s_delay_alu instid0(VALU_DEP_2) | instskip(NEXT) | instid1(VALU_DEP_1)
	v_exp_f32_e32 v71, v71
	v_exp_f32_e32 v69, v69
	v_cndmask_b32_e64 v86, 0, v77, s5
	v_fma_f32 v77, s18, v101, -v68
	v_add_f32_e32 v70, v70, v76
	s_delay_alu instid0(TRANS32_DEP_3) | instskip(SKIP_1) | instid1(VALU_DEP_3)
	v_cndmask_b32_e64 v85, 0, v72, s4
	v_fma_f32 v72, s18, v100, -v68
	v_dual_mul_f32 v77, 0x3fb8aa3b, v77 :: v_dual_add_f32 v70, v70, v83
	s_delay_alu instid0(TRANS32_DEP_2) | instskip(SKIP_1) | instid1(TRANS32_DEP_1)
	v_cndmask_b32_e64 v88, 0, v71, s8
	v_fma_f32 v71, s18, v104, -v68
	v_cndmask_b32_e64 v87, 0, v69, s6
	s_delay_alu instid0(VALU_DEP_4) | instskip(NEXT) | instid1(VALU_DEP_2)
	v_exp_f32_e32 v77, v77
	v_dual_add_f32 v70, v70, v85 :: v_dual_mul_f32 v71, 0x3fb8aa3b, v71
	s_delay_alu instid0(VALU_DEP_1) | instskip(SKIP_2) | instid1(VALU_DEP_3)
	v_dual_mul_f32 v72, 0x3fb8aa3b, v72 :: v_dual_add_f32 v69, v70, v86
	v_mul_f32_e32 v78, 0x3fb8aa3b, v78
	v_fma_f32 v70, s18, v102, -v68
	v_exp_f32_e32 v72, v72
	v_exp_f32_e32 v82, v71
	v_add_f32_e32 v69, v69, v87
	v_exp_f32_e32 v78, v78
	v_mul_f32_e32 v70, 0x3fb8aa3b, v70
	s_delay_alu instid0(VALU_DEP_1) | instskip(SKIP_4) | instid1(VALU_DEP_2)
	v_exp_f32_e32 v79, v70
	v_cndmask_b32_e64 v70, 0, v72, s9
	s_waitcnt_depctr 0xfff
	v_cndmask_b32_e64 v84, 0, v78, s7
	v_fma_f32 v78, s18, v103, -v68
	v_add_f32_e32 v69, v69, v84
	v_cndmask_b32_e64 v71, 0, v79, s11
	s_delay_alu instid0(VALU_DEP_2) | instskip(SKIP_2) | instid1(VALU_DEP_1)
	v_add_f32_e32 v72, v69, v88
	v_cndmask_b32_e64 v69, 0, v77, s10
	v_fma_f32 v77, s18, v106, -v68
	v_dual_mul_f32 v77, 0x3fb8aa3b, v77 :: v_dual_add_f32 v72, v72, v70
	v_mul_f32_e32 v78, 0x3fb8aa3b, v78
	s_delay_alu instid0(VALU_DEP_2) | instskip(NEXT) | instid1(VALU_DEP_2)
	v_exp_f32_e32 v90, v77
	v_add_f32_e32 v79, v72, v69
	s_delay_alu instid0(VALU_DEP_2)
	v_exp_f32_e32 v78, v78
	v_cndmask_b32_e64 v77, 0, v82, s13
	s_waitcnt_depctr 0xfff
	v_cndmask_b32_e64 v72, 0, v78, s12
	v_add_f32_e32 v78, v79, v71
	v_fma_f32 v79, s18, v107, -v68
	s_delay_alu instid0(VALU_DEP_1) | instskip(SKIP_1) | instid1(VALU_DEP_2)
	v_dual_add_f32 v82, v78, v72 :: v_dual_mul_f32 v79, 0x3fb8aa3b, v79
	v_cndmask_b32_e64 v78, 0, v81, s15
	v_add_f32_e32 v81, v82, v77
	s_delay_alu instid0(VALU_DEP_3) | instskip(SKIP_1) | instid1(VALU_DEP_2)
	v_exp_f32_e32 v82, v79
	v_cndmask_b32_e64 v79, 0, v90, s16
	v_add_f32_e32 v81, v81, v78
	s_delay_alu instid0(VALU_DEP_1) | instskip(SKIP_2) | instid1(VALU_DEP_1)
	v_add_f32_e32 v90, v81, v79
	s_waitcnt_depctr 0xfff
	v_cndmask_b32_e64 v81, 0, v82, s17
	v_add_f32_e32 v82, v90, v81
	ds_bpermute_b32 v89, v89, v82
	v_cmpx_gt_u32_e32 16, v67
	s_cbranch_execz .LBB1625_12
; %bb.11:
	v_mul_u32_u24_e32 v67, 0x44, v65
	s_delay_alu instid0(VALU_DEP_1) | instskip(SKIP_1) | instid1(VALU_DEP_1)
	v_lshl_add_u32 v67, v66, 2, v67
	s_waitcnt lgkmcnt(0)
	v_dual_add_f32 v82, v82, v89 :: v_dual_add_nc_u32 v67, 0x4000, v67
	ds_store_2addr_b32 v67, v68, v82 offset1:136
.LBB1625_12:
	s_or_b32 exec_lo, exec_lo, s2
	v_lshlrev_b32_e32 v67, 2, v66
	s_waitcnt lgkmcnt(0)
	s_barrier
	buffer_gl0_inv
	v_cmp_eq_u32_e32 vcc_lo, 1, v65
	v_add_nc_u32_e32 v82, 0x4000, v67
	v_cmp_eq_u32_e64 s2, 2, v65
	v_cmp_eq_u32_e64 s4, 7, v65
	ds_load_2addr_b32 v[89:90], v82 offset1:17
	ds_load_2addr_b32 v[91:92], v82 offset0:34 offset1:51
	ds_load_2addr_b32 v[93:94], v82 offset0:68 offset1:85
	;; [unrolled: 1-line block ×4, first 2 shown]
	s_waitcnt lgkmcnt(4)
	v_max3_f32 v67, v89, 0xff7fffff, v90
	s_waitcnt lgkmcnt(3)
	s_delay_alu instid0(VALU_DEP_1) | instskip(SKIP_1) | instid1(VALU_DEP_1)
	v_max3_f32 v67, v67, v91, v92
	s_waitcnt lgkmcnt(2)
	v_max3_f32 v67, v67, v93, v94
	s_waitcnt lgkmcnt(1)
	s_delay_alu instid0(VALU_DEP_1) | instskip(NEXT) | instid1(VALU_DEP_1)
	v_max3_f32 v67, v67, v95, v96
	v_sub_f32_e32 v93, v93, v67
	s_delay_alu instid0(VALU_DEP_1) | instskip(NEXT) | instid1(VALU_DEP_1)
	v_dual_sub_f32 v68, v89, v67 :: v_dual_mul_f32 v103, 0x3fb8aa3b, v93
	v_mul_f32_e32 v68, 0x3fb8aa3b, v68
	s_delay_alu instid0(VALU_DEP_1)
	v_exp_f32_e32 v100, v68
	v_sub_f32_e32 v68, v92, v67
	v_sub_f32_e32 v99, v90, v67
	ds_load_2addr_b32 v[89:90], v82 offset0:170 offset1:187
	v_dual_mul_f32 v102, 0x3fb8aa3b, v68 :: v_dual_mul_f32 v99, 0x3fb8aa3b, v99
	s_waitcnt lgkmcnt(1)
	v_fma_f32 v68, v100, v97, 0
	s_delay_alu instid0(VALU_DEP_2) | instskip(NEXT) | instid1(VALU_DEP_2)
	v_exp_f32_e32 v102, v102
	v_exp_f32_e32 v99, v99
	s_waitcnt_depctr 0xfff
	v_fmac_f32_e32 v68, v99, v98
	v_sub_f32_e32 v91, v91, v67
	s_delay_alu instid0(VALU_DEP_1)
	v_mul_f32_e32 v101, 0x3fb8aa3b, v91
	ds_load_2addr_b32 v[91:92], v82 offset0:204 offset1:221
	v_sub_f32_e32 v97, v94, v67
	ds_load_2addr_b32 v[93:94], v82 offset0:238 offset1:255
	s_waitcnt lgkmcnt(0)
	v_exp_f32_e32 v101, v101
	s_barrier
	buffer_gl0_inv
	v_dual_fmac_f32 v68, v101, v89 :: v_dual_sub_f32 v89, v96, v67
	v_dual_sub_f32 v82, v95, v67 :: v_dual_mul_f32 v95, 0x3fb8aa3b, v97
	v_exp_f32_e32 v97, v103
	s_delay_alu instid0(VALU_DEP_2) | instskip(NEXT) | instid1(VALU_DEP_2)
	v_dual_fmac_f32 v68, v102, v90 :: v_dual_mul_f32 v89, 0x3fb8aa3b, v89
	v_mul_f32_e32 v82, 0x3fb8aa3b, v82
	s_delay_alu instid0(VALU_DEP_3) | instskip(NEXT) | instid1(VALU_DEP_2)
	v_exp_f32_e32 v95, v95
	v_exp_f32_e32 v89, v89
	s_delay_alu instid0(VALU_DEP_1)
	v_exp_f32_e32 v82, v82
	v_fmac_f32_e32 v68, v97, v91
	s_delay_alu instid0(TRANS32_DEP_3) | instid1(VALU_DEP_1)
	v_fmac_f32_e32 v68, v95, v92
	s_waitcnt_depctr 0xfff
	v_fmac_f32_e32 v68, v82, v93
	s_delay_alu instid0(VALU_DEP_1) | instskip(NEXT) | instid1(VALU_DEP_1)
	v_fmac_f32_e32 v68, v89, v94
	v_add_f32_e32 v90, 0x358637bd, v68
	s_delay_alu instid0(VALU_DEP_1) | instskip(NEXT) | instid1(VALU_DEP_1)
	v_div_scale_f32 v91, null, v90, v90, 1.0
	v_rcp_f32_e32 v92, v91
	s_waitcnt_depctr 0xfff
	v_fma_f32 v93, -v91, v92, 1.0
	s_delay_alu instid0(VALU_DEP_1) | instskip(SKIP_1) | instid1(VALU_DEP_2)
	v_dual_fmac_f32 v92, v93, v92 :: v_dual_cndmask_b32 v93, v100, v99
	v_cmp_eq_u32_e32 vcc_lo, 3, v65
	v_cndmask_b32_e64 v93, v93, v101, s2
	v_cmp_eq_u32_e64 s2, 4, v65
	s_delay_alu instid0(VALU_DEP_2) | instskip(SKIP_1) | instid1(VALU_DEP_2)
	v_cndmask_b32_e32 v93, v93, v102, vcc_lo
	v_cmp_eq_u32_e32 vcc_lo, 5, v65
	v_cndmask_b32_e64 v93, v93, v97, s2
	v_cmp_eq_u32_e64 s2, 6, v65
	s_delay_alu instid0(VALU_DEP_2) | instskip(SKIP_1) | instid1(VALU_DEP_1)
	v_cndmask_b32_e32 v93, v93, v95, vcc_lo
	v_div_scale_f32 v94, s3, 1.0, v90, 1.0
	s_mov_b32 vcc_lo, s3
	s_delay_alu instid0(VALU_DEP_2) | instskip(NEXT) | instid1(VALU_DEP_2)
	v_cndmask_b32_e64 v82, v93, v82, s2
	v_mul_f32_e32 v96, v94, v92
	s_mov_b32 s2, exec_lo
	s_delay_alu instid0(VALU_DEP_2) | instskip(NEXT) | instid1(VALU_DEP_2)
	v_cndmask_b32_e64 v82, v82, v89, s4
	v_fma_f32 v98, -v91, v96, v94
	s_delay_alu instid0(VALU_DEP_1) | instskip(NEXT) | instid1(VALU_DEP_1)
	v_fmac_f32_e32 v96, v98, v92
	v_fma_f32 v91, -v91, v96, v94
	s_delay_alu instid0(VALU_DEP_1) | instskip(NEXT) | instid1(VALU_DEP_1)
	v_div_fmas_f32 v91, v91, v92, v96
	v_div_fixup_f32 v90, v91, v90, 1.0
	s_delay_alu instid0(VALU_DEP_1) | instskip(NEXT) | instid1(VALU_DEP_1)
	v_mul_f32_e32 v82, v82, v90
	v_mul_f32_e32 v87, v82, v87
	;; [unrolled: 1-line block ×7, first 2 shown]
	v_dual_mul_f32 v86, v82, v83 :: v_dual_and_b32 v91, 0x7f800000, v90
	v_mul_f32_e32 v85, v82, v76
                                        ; implicit-def: $vgpr76
	s_delay_alu instid0(VALU_DEP_2)
	v_cmpx_ne_u32_e32 0x7f800000, v91
	s_xor_b32 s2, exec_lo, s2
; %bb.13:
	v_bfe_u32 v76, v90, 16, 1
	s_delay_alu instid0(VALU_DEP_1)
	v_add3_u32 v76, v90, v76, 0x7fff
                                        ; implicit-def: $vgpr90
; %bb.14:
	s_and_not1_saveexec_b32 s2, s2
; %bb.15:
	v_and_b32_e32 v76, 0xffff, v90
	v_or_b32_e32 v83, 0x10000, v90
	s_delay_alu instid0(VALU_DEP_2) | instskip(NEXT) | instid1(VALU_DEP_2)
	v_cmp_eq_u32_e32 vcc_lo, 0, v76
	v_cndmask_b32_e32 v76, v83, v90, vcc_lo
; %bb.16:
	s_or_b32 exec_lo, exec_lo, s2
	v_and_b32_e32 v83, 0x7f800000, v85
	s_delay_alu instid0(VALU_DEP_1) | instskip(SKIP_1) | instid1(SALU_CYCLE_1)
	v_cmp_ne_u32_e32 vcc_lo, 0x7f800000, v83
                                        ; implicit-def: $vgpr83
	s_and_saveexec_b32 s2, vcc_lo
	s_xor_b32 s2, exec_lo, s2
; %bb.17:
	v_bfe_u32 v83, v85, 16, 1
	s_delay_alu instid0(VALU_DEP_1)
	v_add3_u32 v83, v85, v83, 0x7fff
                                        ; implicit-def: $vgpr85
; %bb.18:
	s_and_not1_saveexec_b32 s2, s2
; %bb.19:
	v_and_b32_e32 v83, 0xffff, v85
	v_or_b32_e32 v90, 0x10000, v85
	s_delay_alu instid0(VALU_DEP_2) | instskip(NEXT) | instid1(VALU_DEP_2)
	v_cmp_eq_u32_e32 vcc_lo, 0, v83
	v_cndmask_b32_e32 v83, v90, v85, vcc_lo
; %bb.20:
	s_or_b32 exec_lo, exec_lo, s2
	v_and_b32_e32 v85, 0x7f800000, v86
	s_delay_alu instid0(VALU_DEP_1) | instskip(SKIP_1) | instid1(SALU_CYCLE_1)
	v_cmp_ne_u32_e32 vcc_lo, 0x7f800000, v85
                                        ; implicit-def: $vgpr85
	s_and_saveexec_b32 s2, vcc_lo
	s_xor_b32 s2, exec_lo, s2
; %bb.21:
	v_bfe_u32 v85, v86, 16, 1
	s_delay_alu instid0(VALU_DEP_1)
	v_add3_u32 v85, v86, v85, 0x7fff
                                        ; implicit-def: $vgpr86
; %bb.22:
	s_and_not1_saveexec_b32 s2, s2
; %bb.23:
	v_and_b32_e32 v85, 0xffff, v86
	v_or_b32_e32 v90, 0x10000, v86
	s_delay_alu instid0(VALU_DEP_2) | instskip(NEXT) | instid1(VALU_DEP_2)
	v_cmp_eq_u32_e32 vcc_lo, 0, v85
	v_cndmask_b32_e32 v85, v90, v86, vcc_lo
; %bb.24:
	s_or_b32 exec_lo, exec_lo, s2
	v_and_b32_e32 v86, 0x7f800000, v89
	s_delay_alu instid0(VALU_DEP_1) | instskip(SKIP_1) | instid1(SALU_CYCLE_1)
	v_cmp_ne_u32_e32 vcc_lo, 0x7f800000, v86
                                        ; implicit-def: $vgpr86
	s_and_saveexec_b32 s2, vcc_lo
	s_xor_b32 s2, exec_lo, s2
; %bb.25:
	v_bfe_u32 v86, v89, 16, 1
	s_delay_alu instid0(VALU_DEP_1)
	v_add3_u32 v86, v89, v86, 0x7fff
                                        ; implicit-def: $vgpr89
; %bb.26:
	s_and_not1_saveexec_b32 s2, s2
; %bb.27:
	v_and_b32_e32 v86, 0xffff, v89
	v_or_b32_e32 v90, 0x10000, v89
	s_delay_alu instid0(VALU_DEP_2) | instskip(NEXT) | instid1(VALU_DEP_2)
	v_cmp_eq_u32_e32 vcc_lo, 0, v86
	v_cndmask_b32_e32 v86, v90, v89, vcc_lo
; %bb.28:
	s_or_b32 exec_lo, exec_lo, s2
	v_and_b32_e32 v89, 0x7f800000, v88
	s_delay_alu instid0(VALU_DEP_1) | instskip(SKIP_1) | instid1(SALU_CYCLE_1)
	v_cmp_ne_u32_e32 vcc_lo, 0x7f800000, v89
                                        ; implicit-def: $vgpr89
	s_and_saveexec_b32 s2, vcc_lo
	s_xor_b32 s2, exec_lo, s2
; %bb.29:
	v_bfe_u32 v89, v88, 16, 1
	s_delay_alu instid0(VALU_DEP_1)
	v_add3_u32 v89, v88, v89, 0x7fff
                                        ; implicit-def: $vgpr88
; %bb.30:
	s_and_not1_saveexec_b32 s2, s2
; %bb.31:
	v_and_b32_e32 v89, 0xffff, v88
	v_or_b32_e32 v90, 0x10000, v88
	s_delay_alu instid0(VALU_DEP_2) | instskip(NEXT) | instid1(VALU_DEP_2)
	v_cmp_eq_u32_e32 vcc_lo, 0, v89
	v_cndmask_b32_e32 v89, v90, v88, vcc_lo
; %bb.32:
	s_or_b32 exec_lo, exec_lo, s2
	v_and_b32_e32 v88, 0x7f800000, v87
	s_delay_alu instid0(VALU_DEP_1) | instskip(SKIP_1) | instid1(SALU_CYCLE_1)
	v_cmp_ne_u32_e32 vcc_lo, 0x7f800000, v88
                                        ; implicit-def: $vgpr88
	s_and_saveexec_b32 s2, vcc_lo
	s_xor_b32 s2, exec_lo, s2
; %bb.33:
	v_bfe_u32 v88, v87, 16, 1
	s_delay_alu instid0(VALU_DEP_1)
	v_add3_u32 v88, v87, v88, 0x7fff
                                        ; implicit-def: $vgpr87
; %bb.34:
	s_and_not1_saveexec_b32 s2, s2
; %bb.35:
	v_and_b32_e32 v88, 0xffff, v87
	v_or_b32_e32 v90, 0x10000, v87
	s_delay_alu instid0(VALU_DEP_2) | instskip(NEXT) | instid1(VALU_DEP_2)
	v_cmp_eq_u32_e32 vcc_lo, 0, v88
	v_cndmask_b32_e32 v88, v90, v87, vcc_lo
; %bb.36:
	s_or_b32 exec_lo, exec_lo, s2
	v_and_b32_e32 v87, 0x7f800000, v84
	s_delay_alu instid0(VALU_DEP_1) | instskip(SKIP_1) | instid1(SALU_CYCLE_1)
	v_cmp_ne_u32_e32 vcc_lo, 0x7f800000, v87
                                        ; implicit-def: $vgpr87
	s_and_saveexec_b32 s2, vcc_lo
	s_xor_b32 s2, exec_lo, s2
; %bb.37:
	v_bfe_u32 v87, v84, 16, 1
	s_delay_alu instid0(VALU_DEP_1)
	v_add3_u32 v87, v84, v87, 0x7fff
                                        ; implicit-def: $vgpr84
; %bb.38:
	s_and_not1_saveexec_b32 s2, s2
; %bb.39:
	v_and_b32_e32 v87, 0xffff, v84
	v_or_b32_e32 v90, 0x10000, v84
	s_delay_alu instid0(VALU_DEP_2) | instskip(NEXT) | instid1(VALU_DEP_2)
	v_cmp_eq_u32_e32 vcc_lo, 0, v87
	v_cndmask_b32_e32 v87, v90, v84, vcc_lo
; %bb.40:
	s_or_b32 exec_lo, exec_lo, s2
	v_and_b32_e32 v84, 0x7f800000, v80
	s_delay_alu instid0(VALU_DEP_1) | instskip(SKIP_1) | instid1(SALU_CYCLE_1)
	v_cmp_ne_u32_e32 vcc_lo, 0x7f800000, v84
                                        ; implicit-def: $vgpr84
	s_and_saveexec_b32 s2, vcc_lo
	s_xor_b32 s2, exec_lo, s2
; %bb.41:
	v_bfe_u32 v84, v80, 16, 1
	s_delay_alu instid0(VALU_DEP_1)
	v_add3_u32 v84, v80, v84, 0x7fff
                                        ; implicit-def: $vgpr80
; %bb.42:
	s_and_not1_saveexec_b32 s2, s2
; %bb.43:
	v_and_b32_e32 v84, 0xffff, v80
	v_or_b32_e32 v90, 0x10000, v80
	s_delay_alu instid0(VALU_DEP_2) | instskip(NEXT) | instid1(VALU_DEP_2)
	v_cmp_eq_u32_e32 vcc_lo, 0, v84
	v_cndmask_b32_e32 v84, v90, v80, vcc_lo
; %bb.44:
	s_or_b32 exec_lo, exec_lo, s2
	s_load_b64 s[34:35], s[0:1], 0x94
	v_lshlrev_b32_e32 v91, 4, v74
	s_delay_alu instid0(VALU_DEP_2)
	v_perm_b32 v90, v84, v87, 0x7060302
	v_dual_mul_f32 v77, v82, v77 :: v_dual_lshlrev_b32 v80, 6, v66
	v_lshlrev_b32_e32 v66, 11, v65
	v_perm_b32 v87, v83, v76, 0x7060302
	v_mul_f32_e32 v83, v82, v70
	v_perm_b32 v89, v88, v89, 0x7060302
	v_perm_b32 v88, v86, v85, 0x7060302
	v_or3_b32 v76, v91, v66, v80
	v_mul_f32_e32 v66, v82, v81
	v_mul_f32_e32 v70, v82, v79
	;; [unrolled: 1-line block ×3, first 2 shown]
	v_dual_mul_f32 v81, v82, v72 :: v_dual_and_b32 v84, 0x7f800000, v83
	v_mul_f32_e32 v79, v82, v71
	v_mul_f32_e32 v72, v82, v69
	s_mov_b32 s2, exec_lo
	ds_store_b128 v76, v[87:90]
                                        ; implicit-def: $vgpr69
	v_cmpx_ne_u32_e32 0x7f800000, v84
	s_xor_b32 s2, exec_lo, s2
; %bb.45:
	v_bfe_u32 v69, v83, 16, 1
	s_delay_alu instid0(VALU_DEP_1)
	v_add3_u32 v69, v83, v69, 0x7fff
                                        ; implicit-def: $vgpr83
; %bb.46:
	s_and_not1_saveexec_b32 s2, s2
; %bb.47:
	v_and_b32_e32 v69, 0xffff, v83
	v_or_b32_e32 v71, 0x10000, v83
	s_delay_alu instid0(VALU_DEP_2) | instskip(NEXT) | instid1(VALU_DEP_2)
	v_cmp_eq_u32_e32 vcc_lo, 0, v69
	v_cndmask_b32_e32 v69, v71, v83, vcc_lo
; %bb.48:
	s_or_b32 exec_lo, exec_lo, s2
	v_and_b32_e32 v71, 0x7f800000, v72
	s_delay_alu instid0(VALU_DEP_1) | instskip(SKIP_1) | instid1(SALU_CYCLE_1)
	v_cmp_ne_u32_e32 vcc_lo, 0x7f800000, v71
                                        ; implicit-def: $vgpr71
	s_and_saveexec_b32 s2, vcc_lo
	s_xor_b32 s2, exec_lo, s2
; %bb.49:
	v_bfe_u32 v71, v72, 16, 1
	s_delay_alu instid0(VALU_DEP_1)
	v_add3_u32 v71, v72, v71, 0x7fff
                                        ; implicit-def: $vgpr72
; %bb.50:
	s_and_not1_saveexec_b32 s2, s2
; %bb.51:
	v_and_b32_e32 v71, 0xffff, v72
	v_or_b32_e32 v82, 0x10000, v72
	s_delay_alu instid0(VALU_DEP_2) | instskip(NEXT) | instid1(VALU_DEP_2)
	v_cmp_eq_u32_e32 vcc_lo, 0, v71
	v_cndmask_b32_e32 v71, v82, v72, vcc_lo
; %bb.52:
	s_or_b32 exec_lo, exec_lo, s2
	v_and_b32_e32 v72, 0x7f800000, v79
	s_delay_alu instid0(VALU_DEP_1) | instskip(SKIP_1) | instid1(SALU_CYCLE_1)
	v_cmp_ne_u32_e32 vcc_lo, 0x7f800000, v72
                                        ; implicit-def: $vgpr72
	s_and_saveexec_b32 s2, vcc_lo
	s_xor_b32 s2, exec_lo, s2
; %bb.53:
	v_bfe_u32 v72, v79, 16, 1
	s_delay_alu instid0(VALU_DEP_1)
	v_add3_u32 v72, v79, v72, 0x7fff
                                        ; implicit-def: $vgpr79
; %bb.54:
	s_and_not1_saveexec_b32 s2, s2
; %bb.55:
	v_and_b32_e32 v72, 0xffff, v79
	v_or_b32_e32 v82, 0x10000, v79
	s_delay_alu instid0(VALU_DEP_2) | instskip(NEXT) | instid1(VALU_DEP_2)
	v_cmp_eq_u32_e32 vcc_lo, 0, v72
	v_cndmask_b32_e32 v72, v82, v79, vcc_lo
; %bb.56:
	s_or_b32 exec_lo, exec_lo, s2
	v_and_b32_e32 v79, 0x7f800000, v81
	s_delay_alu instid0(VALU_DEP_1) | instskip(SKIP_1) | instid1(SALU_CYCLE_1)
	v_cmp_ne_u32_e32 vcc_lo, 0x7f800000, v79
                                        ; implicit-def: $vgpr79
	s_and_saveexec_b32 s2, vcc_lo
	s_xor_b32 s2, exec_lo, s2
; %bb.57:
	v_bfe_u32 v79, v81, 16, 1
	s_delay_alu instid0(VALU_DEP_1)
	v_add3_u32 v79, v81, v79, 0x7fff
                                        ; implicit-def: $vgpr81
; %bb.58:
	s_and_not1_saveexec_b32 s2, s2
; %bb.59:
	v_and_b32_e32 v79, 0xffff, v81
	v_or_b32_e32 v82, 0x10000, v81
	s_delay_alu instid0(VALU_DEP_2) | instskip(NEXT) | instid1(VALU_DEP_2)
	v_cmp_eq_u32_e32 vcc_lo, 0, v79
	v_cndmask_b32_e32 v79, v82, v81, vcc_lo
; %bb.60:
	s_or_b32 exec_lo, exec_lo, s2
	v_and_b32_e32 v81, 0x7f800000, v77
	s_delay_alu instid0(VALU_DEP_1) | instskip(SKIP_1) | instid1(SALU_CYCLE_1)
	v_cmp_ne_u32_e32 vcc_lo, 0x7f800000, v81
                                        ; implicit-def: $vgpr81
	s_and_saveexec_b32 s2, vcc_lo
	s_xor_b32 s2, exec_lo, s2
; %bb.61:
	v_bfe_u32 v81, v77, 16, 1
	s_delay_alu instid0(VALU_DEP_1)
	v_add3_u32 v81, v77, v81, 0x7fff
                                        ; implicit-def: $vgpr77
; %bb.62:
	s_and_not1_saveexec_b32 s2, s2
; %bb.63:
	v_and_b32_e32 v81, 0xffff, v77
	v_or_b32_e32 v82, 0x10000, v77
	s_delay_alu instid0(VALU_DEP_2) | instskip(NEXT) | instid1(VALU_DEP_2)
	v_cmp_eq_u32_e32 vcc_lo, 0, v81
	v_cndmask_b32_e32 v81, v82, v77, vcc_lo
; %bb.64:
	s_or_b32 exec_lo, exec_lo, s2
	v_and_b32_e32 v77, 0x7f800000, v78
	s_delay_alu instid0(VALU_DEP_1) | instskip(SKIP_1) | instid1(SALU_CYCLE_1)
	v_cmp_ne_u32_e32 vcc_lo, 0x7f800000, v77
                                        ; implicit-def: $vgpr77
	s_and_saveexec_b32 s2, vcc_lo
	s_xor_b32 s2, exec_lo, s2
; %bb.65:
	v_bfe_u32 v77, v78, 16, 1
	s_delay_alu instid0(VALU_DEP_1)
	v_add3_u32 v77, v78, v77, 0x7fff
                                        ; implicit-def: $vgpr78
; %bb.66:
	s_and_not1_saveexec_b32 s2, s2
; %bb.67:
	v_and_b32_e32 v77, 0xffff, v78
	v_or_b32_e32 v82, 0x10000, v78
	s_delay_alu instid0(VALU_DEP_2) | instskip(NEXT) | instid1(VALU_DEP_2)
	v_cmp_eq_u32_e32 vcc_lo, 0, v77
	v_cndmask_b32_e32 v77, v82, v78, vcc_lo
; %bb.68:
	s_or_b32 exec_lo, exec_lo, s2
	v_and_b32_e32 v78, 0x7f800000, v70
	s_delay_alu instid0(VALU_DEP_1) | instskip(SKIP_1) | instid1(SALU_CYCLE_1)
	v_cmp_ne_u32_e32 vcc_lo, 0x7f800000, v78
                                        ; implicit-def: $vgpr78
	s_and_saveexec_b32 s2, vcc_lo
	s_xor_b32 s2, exec_lo, s2
; %bb.69:
	v_bfe_u32 v78, v70, 16, 1
	s_delay_alu instid0(VALU_DEP_1)
	v_add3_u32 v78, v70, v78, 0x7fff
                                        ; implicit-def: $vgpr70
; %bb.70:
	s_and_not1_saveexec_b32 s2, s2
; %bb.71:
	v_and_b32_e32 v78, 0xffff, v70
	v_or_b32_e32 v82, 0x10000, v70
	s_delay_alu instid0(VALU_DEP_2) | instskip(NEXT) | instid1(VALU_DEP_2)
	v_cmp_eq_u32_e32 vcc_lo, 0, v78
	v_cndmask_b32_e32 v78, v82, v70, vcc_lo
; %bb.72:
	s_or_b32 exec_lo, exec_lo, s2
	v_and_b32_e32 v70, 0x7f800000, v66
	s_delay_alu instid0(VALU_DEP_1) | instskip(SKIP_1) | instid1(SALU_CYCLE_1)
	v_cmp_ne_u32_e32 vcc_lo, 0x7f800000, v70
                                        ; implicit-def: $vgpr70
	s_and_saveexec_b32 s2, vcc_lo
	s_xor_b32 s2, exec_lo, s2
; %bb.73:
	v_bfe_u32 v70, v66, 16, 1
	s_delay_alu instid0(VALU_DEP_1)
	v_add3_u32 v70, v66, v70, 0x7fff
                                        ; implicit-def: $vgpr66
; %bb.74:
	s_and_not1_saveexec_b32 s2, s2
; %bb.75:
	v_and_b32_e32 v70, 0xffff, v66
	v_or_b32_e32 v82, 0x10000, v66
	s_delay_alu instid0(VALU_DEP_2) | instskip(NEXT) | instid1(VALU_DEP_2)
	v_cmp_eq_u32_e32 vcc_lo, 0, v70
	v_cndmask_b32_e32 v70, v82, v66, vcc_lo
; %bb.76:
	s_or_b32 exec_lo, exec_lo, s2
	s_delay_alu instid0(VALU_DEP_1)
	v_perm_b32 v86, v70, v78, 0x7060302
	v_perm_b32 v85, v77, v81, 0x7060302
	;; [unrolled: 1-line block ×4, first 2 shown]
	v_lshl_or_b32 v82, v65, 11, v80
	ds_store_b128 v76, v[83:86] offset:1024
	s_waitcnt lgkmcnt(0)
	s_barrier
	buffer_gl0_inv
	ds_load_b128 v[69:72], v82
	ds_load_b128 v[83:86], v82 offset:16
	s_waitcnt lgkmcnt(1)
	v_lshrrev_b32_e32 v65, 16, v69
	v_lshlrev_b32_e32 v78, 2, v74
	s_waitcnt lgkmcnt(0)
	v_lshrrev_b32_e32 v91, 16, v83
	v_lshrrev_b32_e32 v66, 16, v70
	;; [unrolled: 1-line block ×4, first 2 shown]
	v_cmp_eq_u32_e32 vcc_lo, 1, v78
	v_lshrrev_b32_e32 v98, 16, v85
	v_lshrrev_b32_e32 v96, 16, v72
	;; [unrolled: 1-line block ×3, first 2 shown]
	v_cndmask_b32_e32 v81, v69, v65, vcc_lo
	v_or_b32_e32 v79, 1, v78
	v_cmp_eq_u32_e64 s3, 2, v78
	v_cndmask_b32_e32 v87, v83, v91, vcc_lo
	v_cmp_eq_u32_e64 s6, 3, v78
	v_cmp_eq_u32_e64 s8, 4, v78
	;; [unrolled: 1-line block ×3, first 2 shown]
	v_cndmask_b32_e64 v81, v81, v70, s3
	v_cmp_eq_u32_e64 s5, 2, v79
	v_cndmask_b32_e64 v87, v87, v84, s3
	v_cmp_eq_u32_e64 s7, 3, v79
	v_cndmask_b32_e64 v88, v69, v65, s2
	v_cndmask_b32_e64 v81, v81, v66, s6
	v_or_b32_e32 v77, 2, v78
	v_cndmask_b32_e64 v87, v87, v97, s6
	v_cndmask_b32_e64 v89, v83, v91, s2
	;; [unrolled: 1-line block ×4, first 2 shown]
	v_cmp_eq_u32_e64 s9, 5, v78
	v_cndmask_b32_e64 v87, v87, v85, s8
	v_cmp_eq_u32_e64 s10, 4, v79
	v_cndmask_b32_e64 v88, v88, v66, s7
	;; [unrolled: 2-line block ×3, first 2 shown]
	v_cndmask_b32_e64 v81, v81, v95, s9
	v_cmp_eq_u32_e64 s11, 6, v78
	v_cndmask_b32_e64 v88, v88, v71, s10
	v_cndmask_b32_e64 v87, v87, v98, s9
	v_cmp_eq_u32_e64 s12, 5, v79
	v_cndmask_b32_e64 v90, v69, v65, s4
	v_cndmask_b32_e64 v89, v89, v97, s7
	v_cndmask_b32_e64 v81, v81, v72, s11
	v_cmp_eq_u32_e64 s13, 7, v78
	v_cndmask_b32_e64 v88, v88, v95, s12
	v_cndmask_b32_e64 v87, v87, v86, s11
	v_cmp_eq_u32_e64 s15, 6, v79
	v_cmp_eq_u32_e64 s16, 2, v77
	v_cndmask_b32_e64 v89, v89, v85, s10
	v_cndmask_b32_e64 v100, v81, v96, s13
	v_cndmask_b32_e64 v101, v87, v99, s13
	v_cndmask_b32_e64 v88, v88, v72, s15
	v_cndmask_b32_e64 v81, v90, v70, s16
	v_cndmask_b32_e64 v87, v83, v91, s4
	v_cmp_eq_u32_e64 s17, 7, v79
	v_cmp_eq_u32_e64 s18, 3, v77
	;; [unrolled: 1-line block ×4, first 2 shown]
	v_cndmask_b32_e64 v87, v87, v84, s16
	v_cndmask_b32_e64 v102, v88, v96, s17
	;; [unrolled: 1-line block ×4, first 2 shown]
	v_or_b32_e32 v81, 3, v78
	v_cndmask_b32_e64 v93, v87, v97, s18
	v_cmp_eq_u32_e64 s23, 6, v77
	v_cndmask_b32_e64 v103, v88, v86, s15
	v_cndmask_b32_e64 v92, v89, v71, s19
	v_cmp_eq_u32_e64 s20, 1, v81
	ds_load_b128 v[87:90], v82 offset:1024
	v_cmp_eq_u32_e64 s22, 2, v81
	v_cmp_eq_u32_e64 s24, 3, v81
	v_cndmask_b32_e64 v104, v92, v95, s21
	v_cndmask_b32_e64 v65, v69, v65, s20
	;; [unrolled: 1-line block ×4, first 2 shown]
	ds_load_b128 v[91:94], v82 offset:1040
	v_cmp_eq_u32_e64 s25, 4, v81
	v_cndmask_b32_e64 v65, v65, v70, s22
	v_cmp_eq_u32_e64 s27, 5, v81
	v_cndmask_b32_e64 v70, v83, v84, s22
	;; [unrolled: 2-line block ×3, first 2 shown]
	v_cndmask_b32_e64 v65, v65, v66, s24
	v_cndmask_b32_e64 v66, v104, v72, s23
	;; [unrolled: 1-line block ×3, first 2 shown]
	v_cmp_eq_u32_e64 s26, 7, v77
	v_cndmask_b32_e64 v69, v69, v86, s23
	v_cndmask_b32_e64 v65, v65, v71, s25
	s_waitcnt lgkmcnt(1)
	v_lshrrev_b32_e32 v84, 16, v87
	v_cndmask_b32_e64 v70, v70, v85, s25
	v_cndmask_b32_e64 v83, v103, v99, s17
	;; [unrolled: 1-line block ×4, first 2 shown]
	v_lshrrev_b32_e32 v95, 16, v88
	v_cndmask_b32_e64 v70, v70, v98, s27
	s_waitcnt lgkmcnt(0)
	v_lshrrev_b32_e32 v85, 16, v91
	v_cndmask_b32_e64 v97, v87, v84, s2
	v_cndmask_b32_e64 v65, v65, v72, s28
	;; [unrolled: 1-line block ×4, first 2 shown]
	v_cndmask_b32_e32 v71, v87, v84, vcc_lo
	v_cndmask_b32_e32 v98, v91, v85, vcc_lo
	v_cmp_eq_u32_e32 vcc_lo, 7, v81
	v_cndmask_b32_e64 v72, v97, v88, s5
	v_lshrrev_b32_e32 v97, 16, v92
	v_lshrrev_b32_e32 v103, 16, v90
	v_dual_cndmask_b32 v65, v65, v96 :: v_dual_cndmask_b32 v70, v70, v99
	v_cndmask_b32_e64 v71, v71, v88, s3
	v_cndmask_b32_e64 v86, v98, v92, s3
	v_cndmask_b32_e64 v72, v72, v95, s7
	v_lshrrev_b32_e32 v98, 16, v89
	v_lshrrev_b32_e32 v99, 16, v93
	v_cndmask_b32_e64 v71, v71, v95, s6
	v_cndmask_b32_e64 v86, v86, v97, s6
	;; [unrolled: 1-line block ×3, first 2 shown]
	v_perm_b32 v72, v70, v65, 0x5040100
	v_perm_b32 v70, v83, v102, 0x5040100
	v_cndmask_b32_e64 v71, v71, v89, s8
	v_cndmask_b32_e64 v86, v86, v93, s8
	;; [unrolled: 1-line block ×3, first 2 shown]
	v_lshrrev_b32_e32 v83, 16, v94
	s_delay_alu instid0(VALU_DEP_4) | instskip(NEXT) | instid1(VALU_DEP_4)
	v_cndmask_b32_e64 v71, v71, v98, s9
	v_cndmask_b32_e64 v86, v86, v99, s9
	s_delay_alu instid0(VALU_DEP_4) | instskip(NEXT) | instid1(VALU_DEP_3)
	v_cndmask_b32_e64 v65, v65, v90, s15
	v_cndmask_b32_e64 v96, v71, v90, s11
	v_perm_b32 v71, v69, v66, 0x5040100
	s_delay_alu instid0(VALU_DEP_4)
	v_cndmask_b32_e64 v69, v86, v94, s11
	v_cndmask_b32_e64 v86, v87, v84, s4
	;; [unrolled: 1-line block ×34, first 2 shown]
	v_cndmask_b32_e32 v84, v84, v103, vcc_lo
	v_cndmask_b32_e32 v86, v87, v83, vcc_lo
	v_cndmask_b32_e64 v87, v88, v83, s26
	v_cndmask_b32_e64 v88, v85, v83, s17
	;; [unrolled: 1-line block ×3, first 2 shown]
	v_perm_b32 v69, v101, v100, 0x5040100
	v_perm_b32 v86, v86, v84, 0x5040100
	v_perm_b32 v85, v87, v89, 0x5040100
	v_perm_b32 v84, v88, v65, 0x5040100
	v_perm_b32 v83, v83, v66, 0x5040100
	s_lshl_b32 s7, s35, 2
	s_mov_b32 s2, exec_lo
	ds_store_b128 v76, v[69:72]
	ds_store_b128 v76, v[83:86] offset:1024
	v_cmpx_gt_u32_e32 4, v0
	s_cbranch_execz .LBB1625_78
; %bb.77:
	v_or_b32_e32 v65, s29, v0
	s_load_b128 s[8:11], s[0:1], 0x58
	s_delay_alu instid0(VALU_DEP_1) | instskip(NEXT) | instid1(VALU_DEP_1)
	v_mad_u64_u32 v[69:70], null, s7, s30, v[65:66]
	v_mad_u64_u32 v[65:66], null, v69, s34, s[14:15]
	s_delay_alu instid0(VALU_DEP_1) | instskip(NEXT) | instid1(VALU_DEP_1)
	v_ashrrev_i32_e32 v66, 31, v65
	v_lshlrev_b64 v[65:66], 2, v[65:66]
	s_waitcnt lgkmcnt(0)
	s_delay_alu instid0(VALU_DEP_1) | instskip(NEXT) | instid1(VALU_DEP_2)
	v_add_co_u32 v69, vcc_lo, s10, v65
	v_add_co_ci_u32_e32 v70, vcc_lo, s11, v66, vcc_lo
	v_add_co_u32 v65, vcc_lo, s8, v65
	v_add_co_ci_u32_e32 v66, vcc_lo, s9, v66, vcc_lo
	global_store_b32 v[69:70], v67, off
	global_store_b32 v[65:66], v68, off
.LBB1625_78:
	s_or_b32 exec_lo, exec_lo, s2
	s_waitcnt lgkmcnt(0)
	s_waitcnt_vscnt null, 0x0
	s_barrier
	buffer_gl0_inv
	ds_load_b128 v[83:86], v80
	ds_load_b128 v[87:90], v80 offset:16
	ds_load_b128 v[95:98], v80 offset:2064
	;; [unrolled: 1-line block ×3, first 2 shown]
	v_mov_b32_e32 v65, 0
	ds_load_b128 v[103:106], v80 offset:4112
	ds_load_b128 v[99:102], v80 offset:4096
	;; [unrolled: 1-line block ×4, first 2 shown]
	v_mov_b32_e32 v66, v65
	v_mov_b32_e32 v67, v65
	;; [unrolled: 1-line block ×7, first 2 shown]
	s_waitcnt lgkmcnt(6)
	s_delay_alu instid0(VALU_DEP_1)
	v_wmma_f32_16x16x16_bf16 v[65:72], v[49:56], v[83:90], v[65:72]
	ds_load_b128 v[53:56], v80 offset:8208
	ds_load_b128 v[49:52], v80 offset:8192
	s_waitcnt lgkmcnt(6)
	v_wmma_f32_16x16x16_bf16 v[65:72], v[41:48], v[91:98], v[65:72]
	ds_load_b128 v[45:48], v80 offset:10256
	ds_load_b128 v[41:44], v80 offset:10240
	s_waitcnt lgkmcnt(6)
	;; [unrolled: 4-line block ×4, first 2 shown]
	v_wmma_f32_16x16x16_bf16 v[65:72], v[1:8], v[49:56], v[65:72]
	s_waitcnt lgkmcnt(4)
	s_delay_alu instid0(VALU_DEP_1) | instskip(SKIP_1) | instid1(VALU_DEP_1)
	v_wmma_f32_16x16x16_bf16 v[65:72], v[9:16], v[41:48], v[65:72]
	s_waitcnt lgkmcnt(2)
	v_wmma_f32_16x16x16_bf16 v[65:72], v[17:24], v[33:40], v[65:72]
	s_waitcnt lgkmcnt(0)
	s_delay_alu instid0(VALU_DEP_1) | instskip(NEXT) | instid1(VALU_DEP_1)
	v_wmma_f32_16x16x16_bf16 v[65:72], v[57:64], v[25:32], v[65:72]
	v_and_b32_e32 v1, 0x7f800000, v65
	s_delay_alu instid0(VALU_DEP_1) | instskip(SKIP_1) | instid1(SALU_CYCLE_1)
	v_cmp_ne_u32_e32 vcc_lo, 0x7f800000, v1
                                        ; implicit-def: $vgpr1
	s_and_saveexec_b32 s2, vcc_lo
	s_xor_b32 s2, exec_lo, s2
; %bb.79:
	v_bfe_u32 v1, v65, 16, 1
	s_delay_alu instid0(VALU_DEP_1)
	v_add3_u32 v1, v65, v1, 0x7fff
; %bb.80:
	s_and_not1_saveexec_b32 s2, s2
; %bb.81:
	v_and_b32_e32 v1, 0xffff, v65
	v_or_b32_e32 v2, 0x10000, v65
	s_delay_alu instid0(VALU_DEP_2) | instskip(NEXT) | instid1(VALU_DEP_2)
	v_cmp_eq_u32_e32 vcc_lo, 0, v1
	v_cndmask_b32_e32 v1, v2, v65, vcc_lo
; %bb.82:
	s_or_b32 exec_lo, exec_lo, s2
	v_and_b32_e32 v2, 0x7f800000, v66
	s_delay_alu instid0(VALU_DEP_1) | instskip(SKIP_1) | instid1(SALU_CYCLE_1)
	v_cmp_ne_u32_e32 vcc_lo, 0x7f800000, v2
                                        ; implicit-def: $vgpr2
	s_and_saveexec_b32 s2, vcc_lo
	s_xor_b32 s2, exec_lo, s2
; %bb.83:
	v_bfe_u32 v2, v66, 16, 1
	s_delay_alu instid0(VALU_DEP_1)
	v_add3_u32 v2, v66, v2, 0x7fff
; %bb.84:
	s_and_not1_saveexec_b32 s2, s2
; %bb.85:
	v_and_b32_e32 v2, 0xffff, v66
	v_or_b32_e32 v3, 0x10000, v66
	s_delay_alu instid0(VALU_DEP_2) | instskip(NEXT) | instid1(VALU_DEP_2)
	v_cmp_eq_u32_e32 vcc_lo, 0, v2
	v_cndmask_b32_e32 v2, v3, v66, vcc_lo
; %bb.86:
	s_or_b32 exec_lo, exec_lo, s2
	v_and_b32_e32 v3, 0x7f800000, v67
	s_delay_alu instid0(VALU_DEP_1) | instskip(SKIP_1) | instid1(SALU_CYCLE_1)
	v_cmp_ne_u32_e32 vcc_lo, 0x7f800000, v3
                                        ; implicit-def: $vgpr3
	s_and_saveexec_b32 s2, vcc_lo
	s_xor_b32 s2, exec_lo, s2
; %bb.87:
	v_bfe_u32 v3, v67, 16, 1
	s_delay_alu instid0(VALU_DEP_1)
	v_add3_u32 v3, v67, v3, 0x7fff
; %bb.88:
	s_and_not1_saveexec_b32 s2, s2
; %bb.89:
	v_and_b32_e32 v3, 0xffff, v67
	v_or_b32_e32 v4, 0x10000, v67
	s_delay_alu instid0(VALU_DEP_2) | instskip(NEXT) | instid1(VALU_DEP_2)
	v_cmp_eq_u32_e32 vcc_lo, 0, v3
	v_cndmask_b32_e32 v3, v4, v67, vcc_lo
; %bb.90:
	s_or_b32 exec_lo, exec_lo, s2
	v_and_b32_e32 v4, 0x7f800000, v68
	s_delay_alu instid0(VALU_DEP_1) | instskip(SKIP_1) | instid1(SALU_CYCLE_1)
	v_cmp_ne_u32_e32 vcc_lo, 0x7f800000, v4
                                        ; implicit-def: $vgpr4
	s_and_saveexec_b32 s2, vcc_lo
	s_xor_b32 s2, exec_lo, s2
; %bb.91:
	v_bfe_u32 v4, v68, 16, 1
	s_delay_alu instid0(VALU_DEP_1)
	v_add3_u32 v4, v68, v4, 0x7fff
; %bb.92:
	s_and_not1_saveexec_b32 s2, s2
; %bb.93:
	v_and_b32_e32 v4, 0xffff, v68
	v_or_b32_e32 v5, 0x10000, v68
	s_delay_alu instid0(VALU_DEP_2) | instskip(NEXT) | instid1(VALU_DEP_2)
	v_cmp_eq_u32_e32 vcc_lo, 0, v4
	v_cndmask_b32_e32 v4, v5, v68, vcc_lo
; %bb.94:
	s_or_b32 exec_lo, exec_lo, s2
	v_and_b32_e32 v5, 0x7f800000, v69
	s_delay_alu instid0(VALU_DEP_1) | instskip(SKIP_1) | instid1(SALU_CYCLE_1)
	v_cmp_ne_u32_e32 vcc_lo, 0x7f800000, v5
                                        ; implicit-def: $vgpr5
	s_and_saveexec_b32 s2, vcc_lo
	s_xor_b32 s2, exec_lo, s2
; %bb.95:
	v_bfe_u32 v5, v69, 16, 1
	s_delay_alu instid0(VALU_DEP_1)
	v_add3_u32 v5, v69, v5, 0x7fff
; %bb.96:
	s_and_not1_saveexec_b32 s2, s2
; %bb.97:
	v_and_b32_e32 v5, 0xffff, v69
	v_or_b32_e32 v6, 0x10000, v69
	s_delay_alu instid0(VALU_DEP_2) | instskip(NEXT) | instid1(VALU_DEP_2)
	v_cmp_eq_u32_e32 vcc_lo, 0, v5
	v_cndmask_b32_e32 v5, v6, v69, vcc_lo
; %bb.98:
	s_or_b32 exec_lo, exec_lo, s2
	v_and_b32_e32 v6, 0x7f800000, v70
	s_delay_alu instid0(VALU_DEP_1) | instskip(SKIP_1) | instid1(SALU_CYCLE_1)
	v_cmp_ne_u32_e32 vcc_lo, 0x7f800000, v6
                                        ; implicit-def: $vgpr6
	s_and_saveexec_b32 s2, vcc_lo
	s_xor_b32 s2, exec_lo, s2
; %bb.99:
	v_bfe_u32 v6, v70, 16, 1
	s_delay_alu instid0(VALU_DEP_1)
	v_add3_u32 v6, v70, v6, 0x7fff
; %bb.100:
	s_and_not1_saveexec_b32 s2, s2
; %bb.101:
	v_and_b32_e32 v6, 0xffff, v70
	v_or_b32_e32 v7, 0x10000, v70
	s_delay_alu instid0(VALU_DEP_2) | instskip(NEXT) | instid1(VALU_DEP_2)
	v_cmp_eq_u32_e32 vcc_lo, 0, v6
	v_cndmask_b32_e32 v6, v7, v70, vcc_lo
; %bb.102:
	s_or_b32 exec_lo, exec_lo, s2
	v_and_b32_e32 v7, 0x7f800000, v71
	s_delay_alu instid0(VALU_DEP_1) | instskip(SKIP_1) | instid1(SALU_CYCLE_1)
	v_cmp_ne_u32_e32 vcc_lo, 0x7f800000, v7
                                        ; implicit-def: $vgpr7
	s_and_saveexec_b32 s2, vcc_lo
	s_xor_b32 s2, exec_lo, s2
; %bb.103:
	v_bfe_u32 v7, v71, 16, 1
	s_delay_alu instid0(VALU_DEP_1)
	v_add3_u32 v7, v71, v7, 0x7fff
; %bb.104:
	s_and_not1_saveexec_b32 s2, s2
; %bb.105:
	v_and_b32_e32 v7, 0xffff, v71
	v_or_b32_e32 v8, 0x10000, v71
	s_delay_alu instid0(VALU_DEP_2) | instskip(NEXT) | instid1(VALU_DEP_2)
	v_cmp_eq_u32_e32 vcc_lo, 0, v7
	v_cndmask_b32_e32 v7, v8, v71, vcc_lo
; %bb.106:
	s_or_b32 exec_lo, exec_lo, s2
	v_and_b32_e32 v8, 0x7f800000, v72
	s_delay_alu instid0(VALU_DEP_1) | instskip(SKIP_1) | instid1(SALU_CYCLE_1)
	v_cmp_ne_u32_e32 vcc_lo, 0x7f800000, v8
                                        ; implicit-def: $vgpr8
	s_and_saveexec_b32 s2, vcc_lo
	s_xor_b32 s2, exec_lo, s2
; %bb.107:
	v_bfe_u32 v8, v72, 16, 1
	s_delay_alu instid0(VALU_DEP_1)
	v_add3_u32 v8, v72, v8, 0x7fff
                                        ; implicit-def: $vgpr65_vgpr66_vgpr67_vgpr68_vgpr69_vgpr70_vgpr71_vgpr72
; %bb.108:
	s_and_not1_saveexec_b32 s2, s2
; %bb.109:
	v_and_b32_e32 v8, 0xffff, v72
	v_or_b32_e32 v9, 0x10000, v72
	s_delay_alu instid0(VALU_DEP_2) | instskip(NEXT) | instid1(VALU_DEP_2)
	v_cmp_eq_u32_e32 vcc_lo, 0, v8
	v_cndmask_b32_e32 v8, v9, v72, vcc_lo
; %bb.110:
	s_or_b32 exec_lo, exec_lo, s2
	s_delay_alu instid0(VALU_DEP_1)
	v_perm_b32 v7, v8, v7, 0x7060302
	v_perm_b32 v6, v6, v5, 0x7060302
	;; [unrolled: 1-line block ×4, first 2 shown]
	s_barrier
	buffer_gl0_inv
	v_cmp_eq_u32_e32 vcc_lo, 1, v78
	ds_store_b128 v76, v[4:7]
	s_waitcnt lgkmcnt(0)
	s_barrier
	buffer_gl0_inv
	ds_load_b128 v[1:4], v82
	ds_load_b128 v[5:8], v82 offset:16
	v_cmp_eq_u32_e64 s2, 1, v79
	v_cmp_eq_u32_e64 s3, 2, v78
	;; [unrolled: 1-line block ×5, first 2 shown]
	s_waitcnt lgkmcnt(1)
	v_lshrrev_b32_e32 v9, 16, v1
	s_waitcnt lgkmcnt(0)
	v_lshrrev_b32_e32 v13, 16, v5
	v_lshrrev_b32_e32 v10, 16, v2
	;; [unrolled: 1-line block ×4, first 2 shown]
	v_cndmask_b32_e64 v19, v1, v9, s2
	v_cndmask_b32_e32 v18, v5, v13, vcc_lo
	v_cndmask_b32_e64 v20, v5, v13, s2
	v_cndmask_b32_e32 v17, v1, v9, vcc_lo
	v_cmp_eq_u32_e32 vcc_lo, 2, v79
	v_lshrrev_b32_e32 v15, 16, v7
	v_cmp_eq_u32_e64 s2, 1, v77
	v_lshrrev_b32_e32 v12, 16, v4
	v_lshrrev_b32_e32 v16, 16, v8
	v_cndmask_b32_e32 v20, v20, v6, vcc_lo
	v_cndmask_b32_e64 v17, v17, v2, s3
	v_cndmask_b32_e32 v19, v19, v2, vcc_lo
	v_cndmask_b32_e64 v18, v18, v6, s3
	v_cmp_eq_u32_e32 vcc_lo, 4, v78
	v_cmp_eq_u32_e64 s3, 3, v79
	v_cndmask_b32_e64 v17, v17, v10, s4
	v_cndmask_b32_e64 v21, v1, v9, s2
	;; [unrolled: 1-line block ×5, first 2 shown]
	v_cndmask_b32_e32 v17, v17, v3, vcc_lo
	v_cndmask_b32_e64 v20, v20, v14, s3
	v_cndmask_b32_e32 v18, v18, v7, vcc_lo
	v_cmp_eq_u32_e32 vcc_lo, 4, v79
	v_cmp_eq_u32_e64 s3, 5, v79
	v_cmp_eq_u32_e64 s2, 2, v81
	v_cndmask_b32_e64 v21, v21, v2, s6
	v_cmp_eq_u32_e64 s4, 5, v78
	v_cndmask_b32_e32 v19, v19, v3, vcc_lo
	v_cndmask_b32_e32 v20, v20, v7, vcc_lo
	v_cmp_eq_u32_e32 vcc_lo, 6, v79
	s_delay_alu instid0(VALU_DEP_4) | instskip(NEXT) | instid1(VALU_DEP_4)
	v_cndmask_b32_e64 v17, v17, v11, s4
	v_cndmask_b32_e64 v19, v19, v11, s3
	s_delay_alu instid0(VALU_DEP_4) | instskip(SKIP_1) | instid1(VALU_DEP_3)
	v_cndmask_b32_e64 v20, v20, v15, s3
	v_cmp_eq_u32_e64 s3, 1, v81
	v_cndmask_b32_e32 v19, v19, v4, vcc_lo
	v_cndmask_b32_e64 v18, v18, v15, s4
	s_delay_alu instid0(VALU_DEP_3)
	v_cndmask_b32_e64 v1, v1, v9, s3
	v_cndmask_b32_e64 v5, v5, v13, s3
	v_cmp_eq_u32_e64 s3, 3, v77
	v_cndmask_b32_e64 v13, v22, v6, s6
	v_cmp_eq_u32_e64 s6, 3, v81
	v_cndmask_b32_e64 v1, v1, v2, s2
	v_cndmask_b32_e64 v2, v5, v6, s2
	;; [unrolled: 1-line block ×3, first 2 shown]
	v_cmp_eq_u32_e64 s2, 4, v77
	v_cndmask_b32_e64 v6, v13, v14, s3
	v_cndmask_b32_e64 v1, v1, v10, s6
	v_cmp_eq_u32_e64 s3, 4, v81
	v_cndmask_b32_e64 v2, v2, v14, s6
	v_cndmask_b32_e64 v5, v9, v3, s2
	;; [unrolled: 3-line block ×3, first 2 shown]
	v_cndmask_b32_e64 v2, v2, v7, s3
	v_cmp_eq_u32_e64 s2, 5, v81
	v_cmp_eq_u32_e64 s4, 6, v78
	v_cndmask_b32_e64 v5, v5, v11, s6
	v_cmp_eq_u32_e64 s3, 6, v77
	v_cndmask_b32_e64 v3, v6, v15, s6
	v_cndmask_b32_e64 v1, v1, v11, s2
	v_cmp_eq_u32_e64 s6, 6, v81
	v_cndmask_b32_e64 v2, v2, v15, s2
	v_cndmask_b32_e64 v17, v17, v4, s4
	v_cndmask_b32_e64 v18, v18, v8, s4
	v_cmp_eq_u32_e64 s4, 7, v78
	v_cndmask_b32_e64 v5, v5, v4, s3
	;; [unrolled: 4-line block ×3, first 2 shown]
	v_cmp_eq_u32_e64 s3, 7, v77
	v_cndmask_b32_e32 v4, v20, v8, vcc_lo
	v_cndmask_b32_e64 v17, v17, v12, s4
	v_cndmask_b32_e64 v19, v19, v12, s5
	v_cndmask_b32_e64 v1, v1, v12, s2
	v_cndmask_b32_e64 v5, v5, v12, s3
	v_cndmask_b32_e64 v2, v2, v16, s2
	v_cndmask_b32_e64 v3, v3, v16, s3
	v_cndmask_b32_e64 v6, v4, v16, s5
	v_cndmask_b32_e64 v7, v18, v16, s4
	s_mov_b32 s2, exec_lo
	v_perm_b32 v4, v2, v1, 0x5040100
	v_perm_b32 v3, v3, v5, 0x5040100
	;; [unrolled: 1-line block ×4, first 2 shown]
	ds_store_b128 v76, v[1:4]
	s_waitcnt lgkmcnt(0)
	s_barrier
	buffer_gl0_inv
	v_cmpx_gt_u32_e32 32, v0
	s_cbranch_execz .LBB1625_2
; %bb.111:
	s_load_b64 s[0:1], s[0:1], 0x68
	v_lshlrev_b32_e32 v0, 10, v0
	v_or_b32_e32 v1, s29, v74
	s_lshl_b32 s4, s34, 7
	v_lshlrev_b32_e32 v2, 4, v75
	s_mul_i32 s2, s4, s30
	v_lshlrev_b32_e32 v3, 6, v74
	v_mul_lo_u32 v8, v1, s4
	v_and_b32_e32 v0, 0x3800, v0
	v_or_b32_e32 v1, 2, v1
	s_mul_i32 s2, s2, s7
	s_delay_alu instid0(SALU_CYCLE_1) | instskip(NEXT) | instid1(VALU_DEP_2)
	s_ashr_i32 s3, s2, 31
	v_or3_b32 v4, v0, v2, v3
	s_lshl_b64 s[2:3], s[2:3], 1
	v_mul_lo_u32 v10, v1, s4
	v_ashrrev_i32_e32 v9, 31, v8
	ds_load_b128 v[0:3], v4
	ds_load_b128 v[4:7], v4 offset:128
	s_waitcnt lgkmcnt(0)
	s_add_u32 s2, s0, s2
	s_addc_u32 s3, s1, s3
	s_lshl_b32 s0, s14, 7
	v_ashrrev_i32_e32 v11, 31, v10
	s_ashr_i32 s1, s0, 31
	v_lshlrev_b64 v[8:9], 1, v[8:9]
	s_lshl_b64 s[0:1], s[0:1], 1
	s_delay_alu instid0(SALU_CYCLE_1) | instskip(SKIP_2) | instid1(VALU_DEP_1)
	s_add_u32 s0, s2, s0
	s_addc_u32 s1, s3, s1
	v_add_co_u32 v12, s0, s0, v73
	v_add_co_ci_u32_e64 v13, null, s1, 0, s0
	v_lshlrev_b64 v[10:11], 1, v[10:11]
	s_delay_alu instid0(VALU_DEP_3) | instskip(NEXT) | instid1(VALU_DEP_3)
	v_add_co_u32 v8, vcc_lo, v12, v8
	v_add_co_ci_u32_e32 v9, vcc_lo, v13, v9, vcc_lo
	s_delay_alu instid0(VALU_DEP_3) | instskip(NEXT) | instid1(VALU_DEP_4)
	v_add_co_u32 v10, vcc_lo, v12, v10
	v_add_co_ci_u32_e32 v11, vcc_lo, v13, v11, vcc_lo
	s_clause 0x1
	global_store_b128 v[8:9], v[0:3], off
	global_store_b128 v[10:11], v[4:7], off
	s_nop 0
	s_sendmsg sendmsg(MSG_DEALLOC_VGPRS)
	s_endpgm
	.section	.rodata,"a",@progbits
	.p2align	6, 0x0
	.amdhsa_kernel _Z39paged_attention_ll4mi_QKV_mfma16_kernelI14__hip_bfloat16hLN4vllm18Fp8KVCacheDataTypeE1EhLi32ELi128ELi256ELb0ELi4EL8MFMAType1EEvPKT_PKT0_S9_ifPKiSB_SB_iPKfiiiPfSE_PS4_PT2_iSD_SD_
		.amdhsa_group_segment_fixed_size 17472
		.amdhsa_private_segment_fixed_size 0
		.amdhsa_kernarg_size 400
		.amdhsa_user_sgpr_count 13
		.amdhsa_user_sgpr_dispatch_ptr 0
		.amdhsa_user_sgpr_queue_ptr 0
		.amdhsa_user_sgpr_kernarg_segment_ptr 1
		.amdhsa_user_sgpr_dispatch_id 0
		.amdhsa_user_sgpr_private_segment_size 0
		.amdhsa_wavefront_size32 1
		.amdhsa_uses_dynamic_stack 0
		.amdhsa_enable_private_segment 0
		.amdhsa_system_sgpr_workgroup_id_x 1
		.amdhsa_system_sgpr_workgroup_id_y 1
		.amdhsa_system_sgpr_workgroup_id_z 1
		.amdhsa_system_sgpr_workgroup_info 0
		.amdhsa_system_vgpr_workitem_id 0
		.amdhsa_next_free_vgpr 140
		.amdhsa_next_free_sgpr 36
		.amdhsa_reserve_vcc 1
		.amdhsa_float_round_mode_32 0
		.amdhsa_float_round_mode_16_64 0
		.amdhsa_float_denorm_mode_32 3
		.amdhsa_float_denorm_mode_16_64 3
		.amdhsa_dx10_clamp 1
		.amdhsa_ieee_mode 1
		.amdhsa_fp16_overflow 0
		.amdhsa_workgroup_processor_mode 1
		.amdhsa_memory_ordered 1
		.amdhsa_forward_progress 0
		.amdhsa_shared_vgpr_count 0
		.amdhsa_exception_fp_ieee_invalid_op 0
		.amdhsa_exception_fp_denorm_src 0
		.amdhsa_exception_fp_ieee_div_zero 0
		.amdhsa_exception_fp_ieee_overflow 0
		.amdhsa_exception_fp_ieee_underflow 0
		.amdhsa_exception_fp_ieee_inexact 0
		.amdhsa_exception_int_div_zero 0
	.end_amdhsa_kernel
	.section	.text._Z39paged_attention_ll4mi_QKV_mfma16_kernelI14__hip_bfloat16hLN4vllm18Fp8KVCacheDataTypeE1EhLi32ELi128ELi256ELb0ELi4EL8MFMAType1EEvPKT_PKT0_S9_ifPKiSB_SB_iPKfiiiPfSE_PS4_PT2_iSD_SD_,"axG",@progbits,_Z39paged_attention_ll4mi_QKV_mfma16_kernelI14__hip_bfloat16hLN4vllm18Fp8KVCacheDataTypeE1EhLi32ELi128ELi256ELb0ELi4EL8MFMAType1EEvPKT_PKT0_S9_ifPKiSB_SB_iPKfiiiPfSE_PS4_PT2_iSD_SD_,comdat
.Lfunc_end1625:
	.size	_Z39paged_attention_ll4mi_QKV_mfma16_kernelI14__hip_bfloat16hLN4vllm18Fp8KVCacheDataTypeE1EhLi32ELi128ELi256ELb0ELi4EL8MFMAType1EEvPKT_PKT0_S9_ifPKiSB_SB_iPKfiiiPfSE_PS4_PT2_iSD_SD_, .Lfunc_end1625-_Z39paged_attention_ll4mi_QKV_mfma16_kernelI14__hip_bfloat16hLN4vllm18Fp8KVCacheDataTypeE1EhLi32ELi128ELi256ELb0ELi4EL8MFMAType1EEvPKT_PKT0_S9_ifPKiSB_SB_iPKfiiiPfSE_PS4_PT2_iSD_SD_
                                        ; -- End function
	.section	.AMDGPU.csdata,"",@progbits
; Kernel info:
; codeLenInByte = 8740
; NumSgprs: 38
; NumVgprs: 140
; ScratchSize: 0
; MemoryBound: 0
; FloatMode: 240
; IeeeMode: 1
; LDSByteSize: 17472 bytes/workgroup (compile time only)
; SGPRBlocks: 4
; VGPRBlocks: 17
; NumSGPRsForWavesPerEU: 38
; NumVGPRsForWavesPerEU: 140
; Occupancy: 10
; WaveLimiterHint : 1
; COMPUTE_PGM_RSRC2:SCRATCH_EN: 0
; COMPUTE_PGM_RSRC2:USER_SGPR: 13
; COMPUTE_PGM_RSRC2:TRAP_HANDLER: 0
; COMPUTE_PGM_RSRC2:TGID_X_EN: 1
; COMPUTE_PGM_RSRC2:TGID_Y_EN: 1
; COMPUTE_PGM_RSRC2:TGID_Z_EN: 1
; COMPUTE_PGM_RSRC2:TIDIG_COMP_CNT: 0
	.section	.text._Z38paged_attention_ll4mi_QKV_mfma4_kernelI14__hip_bfloat16hLN4vllm18Fp8KVCacheDataTypeE1ES0_Li32ELi128ELi256ELb1ELi1EEvPKT_PKT0_S8_ifPKiSA_SA_iPKfiiiPfSD_PS3_PT2_iSC_SC_,"axG",@progbits,_Z38paged_attention_ll4mi_QKV_mfma4_kernelI14__hip_bfloat16hLN4vllm18Fp8KVCacheDataTypeE1ES0_Li32ELi128ELi256ELb1ELi1EEvPKT_PKT0_S8_ifPKiSA_SA_iPKfiiiPfSD_PS3_PT2_iSC_SC_,comdat
	.protected	_Z38paged_attention_ll4mi_QKV_mfma4_kernelI14__hip_bfloat16hLN4vllm18Fp8KVCacheDataTypeE1ES0_Li32ELi128ELi256ELb1ELi1EEvPKT_PKT0_S8_ifPKiSA_SA_iPKfiiiPfSD_PS3_PT2_iSC_SC_ ; -- Begin function _Z38paged_attention_ll4mi_QKV_mfma4_kernelI14__hip_bfloat16hLN4vllm18Fp8KVCacheDataTypeE1ES0_Li32ELi128ELi256ELb1ELi1EEvPKT_PKT0_S8_ifPKiSA_SA_iPKfiiiPfSD_PS3_PT2_iSC_SC_
	.globl	_Z38paged_attention_ll4mi_QKV_mfma4_kernelI14__hip_bfloat16hLN4vllm18Fp8KVCacheDataTypeE1ES0_Li32ELi128ELi256ELb1ELi1EEvPKT_PKT0_S8_ifPKiSA_SA_iPKfiiiPfSD_PS3_PT2_iSC_SC_
	.p2align	8
	.type	_Z38paged_attention_ll4mi_QKV_mfma4_kernelI14__hip_bfloat16hLN4vllm18Fp8KVCacheDataTypeE1ES0_Li32ELi128ELi256ELb1ELi1EEvPKT_PKT0_S8_ifPKiSA_SA_iPKfiiiPfSD_PS3_PT2_iSC_SC_,@function
_Z38paged_attention_ll4mi_QKV_mfma4_kernelI14__hip_bfloat16hLN4vllm18Fp8KVCacheDataTypeE1ES0_Li32ELi128ELi256ELb1ELi1EEvPKT_PKT0_S8_ifPKiSA_SA_iPKfiiiPfSD_PS3_PT2_iSC_SC_: ; @_Z38paged_attention_ll4mi_QKV_mfma4_kernelI14__hip_bfloat16hLN4vllm18Fp8KVCacheDataTypeE1ES0_Li32ELi128ELi256ELb1ELi1EEvPKT_PKT0_S8_ifPKiSA_SA_iPKfiiiPfSD_PS3_PT2_iSC_SC_
; %bb.0:
	s_add_u32 s8, s0, 0x90
	s_addc_u32 s9, s1, 0
	s_getpc_b64 s[0:1]
	s_add_u32 s0, s0, __PRETTY_FUNCTION__._Z38paged_attention_ll4mi_QKV_mfma4_kernelI14__hip_bfloat16hLN4vllm18Fp8KVCacheDataTypeE1ES0_Li32ELi128ELi256ELb1ELi1EEvPKT_PKT0_S8_ifPKiSA_SA_iPKfiiiPfSD_PS3_PT2_iSC_SC_@rel32@lo+4
	s_addc_u32 s1, s1, __PRETTY_FUNCTION__._Z38paged_attention_ll4mi_QKV_mfma4_kernelI14__hip_bfloat16hLN4vllm18Fp8KVCacheDataTypeE1ES0_Li32ELi128ELi256ELb1ELi1EEvPKT_PKT0_S8_ifPKiSA_SA_iPKfiiiPfSD_PS3_PT2_iSC_SC_@rel32@hi+12
	s_delay_alu instid0(SALU_CYCLE_1) | instskip(SKIP_4) | instid1(SALU_CYCLE_1)
	v_dual_mov_b32 v0, s0 :: v_dual_mov_b32 v1, s1
	s_mov_b32 s32, 0
	s_getpc_b64 s[2:3]
	s_add_u32 s2, s2, __assert_fail@rel32@lo+4
	s_addc_u32 s3, s3, __assert_fail@rel32@hi+12
	s_swappc_b64 s[30:31], s[2:3]
	.section	.rodata,"a",@progbits
	.p2align	6, 0x0
	.amdhsa_kernel _Z38paged_attention_ll4mi_QKV_mfma4_kernelI14__hip_bfloat16hLN4vllm18Fp8KVCacheDataTypeE1ES0_Li32ELi128ELi256ELb1ELi1EEvPKT_PKT0_S8_ifPKiSA_SA_iPKfiiiPfSD_PS3_PT2_iSC_SC_
		.amdhsa_group_segment_fixed_size 0
		.amdhsa_private_segment_fixed_size 64
		.amdhsa_kernarg_size 400
		.amdhsa_user_sgpr_count 15
		.amdhsa_user_sgpr_dispatch_ptr 0
		.amdhsa_user_sgpr_queue_ptr 0
		.amdhsa_user_sgpr_kernarg_segment_ptr 1
		.amdhsa_user_sgpr_dispatch_id 0
		.amdhsa_user_sgpr_private_segment_size 0
		.amdhsa_wavefront_size32 1
		.amdhsa_uses_dynamic_stack 0
		.amdhsa_enable_private_segment 1
		.amdhsa_system_sgpr_workgroup_id_x 1
		.amdhsa_system_sgpr_workgroup_id_y 0
		.amdhsa_system_sgpr_workgroup_id_z 0
		.amdhsa_system_sgpr_workgroup_info 0
		.amdhsa_system_vgpr_workitem_id 0
		.amdhsa_next_free_vgpr 41
		.amdhsa_next_free_sgpr 34
		.amdhsa_reserve_vcc 1
		.amdhsa_float_round_mode_32 0
		.amdhsa_float_round_mode_16_64 0
		.amdhsa_float_denorm_mode_32 3
		.amdhsa_float_denorm_mode_16_64 3
		.amdhsa_dx10_clamp 1
		.amdhsa_ieee_mode 1
		.amdhsa_fp16_overflow 0
		.amdhsa_workgroup_processor_mode 1
		.amdhsa_memory_ordered 1
		.amdhsa_forward_progress 0
		.amdhsa_shared_vgpr_count 0
		.amdhsa_exception_fp_ieee_invalid_op 0
		.amdhsa_exception_fp_denorm_src 0
		.amdhsa_exception_fp_ieee_div_zero 0
		.amdhsa_exception_fp_ieee_overflow 0
		.amdhsa_exception_fp_ieee_underflow 0
		.amdhsa_exception_fp_ieee_inexact 0
		.amdhsa_exception_int_div_zero 0
	.end_amdhsa_kernel
	.section	.text._Z38paged_attention_ll4mi_QKV_mfma4_kernelI14__hip_bfloat16hLN4vllm18Fp8KVCacheDataTypeE1ES0_Li32ELi128ELi256ELb1ELi1EEvPKT_PKT0_S8_ifPKiSA_SA_iPKfiiiPfSD_PS3_PT2_iSC_SC_,"axG",@progbits,_Z38paged_attention_ll4mi_QKV_mfma4_kernelI14__hip_bfloat16hLN4vllm18Fp8KVCacheDataTypeE1ES0_Li32ELi128ELi256ELb1ELi1EEvPKT_PKT0_S8_ifPKiSA_SA_iPKfiiiPfSD_PS3_PT2_iSC_SC_,comdat
.Lfunc_end1626:
	.size	_Z38paged_attention_ll4mi_QKV_mfma4_kernelI14__hip_bfloat16hLN4vllm18Fp8KVCacheDataTypeE1ES0_Li32ELi128ELi256ELb1ELi1EEvPKT_PKT0_S8_ifPKiSA_SA_iPKfiiiPfSD_PS3_PT2_iSC_SC_, .Lfunc_end1626-_Z38paged_attention_ll4mi_QKV_mfma4_kernelI14__hip_bfloat16hLN4vllm18Fp8KVCacheDataTypeE1ES0_Li32ELi128ELi256ELb1ELi1EEvPKT_PKT0_S8_ifPKiSA_SA_iPKfiiiPfSD_PS3_PT2_iSC_SC_
                                        ; -- End function
	.section	.AMDGPU.csdata,"",@progbits
; Kernel info:
; codeLenInByte = 72
; NumSgprs: 36
; NumVgprs: 41
; ScratchSize: 64
; MemoryBound: 0
; FloatMode: 240
; IeeeMode: 1
; LDSByteSize: 0 bytes/workgroup (compile time only)
; SGPRBlocks: 4
; VGPRBlocks: 5
; NumSGPRsForWavesPerEU: 36
; NumVGPRsForWavesPerEU: 41
; Occupancy: 16
; WaveLimiterHint : 1
; COMPUTE_PGM_RSRC2:SCRATCH_EN: 1
; COMPUTE_PGM_RSRC2:USER_SGPR: 15
; COMPUTE_PGM_RSRC2:TRAP_HANDLER: 0
; COMPUTE_PGM_RSRC2:TGID_X_EN: 1
; COMPUTE_PGM_RSRC2:TGID_Y_EN: 0
; COMPUTE_PGM_RSRC2:TGID_Z_EN: 0
; COMPUTE_PGM_RSRC2:TIDIG_COMP_CNT: 0
	.section	.text._Z38paged_attention_ll4mi_QKV_mfma4_kernelI14__hip_bfloat16hLN4vllm18Fp8KVCacheDataTypeE1ES0_Li32ELi128ELi256ELb1ELi2EEvPKT_PKT0_S8_ifPKiSA_SA_iPKfiiiPfSD_PS3_PT2_iSC_SC_,"axG",@progbits,_Z38paged_attention_ll4mi_QKV_mfma4_kernelI14__hip_bfloat16hLN4vllm18Fp8KVCacheDataTypeE1ES0_Li32ELi128ELi256ELb1ELi2EEvPKT_PKT0_S8_ifPKiSA_SA_iPKfiiiPfSD_PS3_PT2_iSC_SC_,comdat
	.protected	_Z38paged_attention_ll4mi_QKV_mfma4_kernelI14__hip_bfloat16hLN4vllm18Fp8KVCacheDataTypeE1ES0_Li32ELi128ELi256ELb1ELi2EEvPKT_PKT0_S8_ifPKiSA_SA_iPKfiiiPfSD_PS3_PT2_iSC_SC_ ; -- Begin function _Z38paged_attention_ll4mi_QKV_mfma4_kernelI14__hip_bfloat16hLN4vllm18Fp8KVCacheDataTypeE1ES0_Li32ELi128ELi256ELb1ELi2EEvPKT_PKT0_S8_ifPKiSA_SA_iPKfiiiPfSD_PS3_PT2_iSC_SC_
	.globl	_Z38paged_attention_ll4mi_QKV_mfma4_kernelI14__hip_bfloat16hLN4vllm18Fp8KVCacheDataTypeE1ES0_Li32ELi128ELi256ELb1ELi2EEvPKT_PKT0_S8_ifPKiSA_SA_iPKfiiiPfSD_PS3_PT2_iSC_SC_
	.p2align	8
	.type	_Z38paged_attention_ll4mi_QKV_mfma4_kernelI14__hip_bfloat16hLN4vllm18Fp8KVCacheDataTypeE1ES0_Li32ELi128ELi256ELb1ELi2EEvPKT_PKT0_S8_ifPKiSA_SA_iPKfiiiPfSD_PS3_PT2_iSC_SC_,@function
_Z38paged_attention_ll4mi_QKV_mfma4_kernelI14__hip_bfloat16hLN4vllm18Fp8KVCacheDataTypeE1ES0_Li32ELi128ELi256ELb1ELi2EEvPKT_PKT0_S8_ifPKiSA_SA_iPKfiiiPfSD_PS3_PT2_iSC_SC_: ; @_Z38paged_attention_ll4mi_QKV_mfma4_kernelI14__hip_bfloat16hLN4vllm18Fp8KVCacheDataTypeE1ES0_Li32ELi128ELi256ELb1ELi2EEvPKT_PKT0_S8_ifPKiSA_SA_iPKfiiiPfSD_PS3_PT2_iSC_SC_
; %bb.0:
	s_add_u32 s8, s0, 0x90
	s_addc_u32 s9, s1, 0
	s_getpc_b64 s[0:1]
	s_add_u32 s0, s0, __PRETTY_FUNCTION__._Z38paged_attention_ll4mi_QKV_mfma4_kernelI14__hip_bfloat16hLN4vllm18Fp8KVCacheDataTypeE1ES0_Li32ELi128ELi256ELb1ELi2EEvPKT_PKT0_S8_ifPKiSA_SA_iPKfiiiPfSD_PS3_PT2_iSC_SC_@rel32@lo+4
	s_addc_u32 s1, s1, __PRETTY_FUNCTION__._Z38paged_attention_ll4mi_QKV_mfma4_kernelI14__hip_bfloat16hLN4vllm18Fp8KVCacheDataTypeE1ES0_Li32ELi128ELi256ELb1ELi2EEvPKT_PKT0_S8_ifPKiSA_SA_iPKfiiiPfSD_PS3_PT2_iSC_SC_@rel32@hi+12
	s_delay_alu instid0(SALU_CYCLE_1) | instskip(SKIP_4) | instid1(SALU_CYCLE_1)
	v_dual_mov_b32 v0, s0 :: v_dual_mov_b32 v1, s1
	s_mov_b32 s32, 0
	s_getpc_b64 s[2:3]
	s_add_u32 s2, s2, __assert_fail@rel32@lo+4
	s_addc_u32 s3, s3, __assert_fail@rel32@hi+12
	s_swappc_b64 s[30:31], s[2:3]
	.section	.rodata,"a",@progbits
	.p2align	6, 0x0
	.amdhsa_kernel _Z38paged_attention_ll4mi_QKV_mfma4_kernelI14__hip_bfloat16hLN4vllm18Fp8KVCacheDataTypeE1ES0_Li32ELi128ELi256ELb1ELi2EEvPKT_PKT0_S8_ifPKiSA_SA_iPKfiiiPfSD_PS3_PT2_iSC_SC_
		.amdhsa_group_segment_fixed_size 0
		.amdhsa_private_segment_fixed_size 64
		.amdhsa_kernarg_size 400
		.amdhsa_user_sgpr_count 15
		.amdhsa_user_sgpr_dispatch_ptr 0
		.amdhsa_user_sgpr_queue_ptr 0
		.amdhsa_user_sgpr_kernarg_segment_ptr 1
		.amdhsa_user_sgpr_dispatch_id 0
		.amdhsa_user_sgpr_private_segment_size 0
		.amdhsa_wavefront_size32 1
		.amdhsa_uses_dynamic_stack 0
		.amdhsa_enable_private_segment 1
		.amdhsa_system_sgpr_workgroup_id_x 1
		.amdhsa_system_sgpr_workgroup_id_y 0
		.amdhsa_system_sgpr_workgroup_id_z 0
		.amdhsa_system_sgpr_workgroup_info 0
		.amdhsa_system_vgpr_workitem_id 0
		.amdhsa_next_free_vgpr 41
		.amdhsa_next_free_sgpr 34
		.amdhsa_reserve_vcc 1
		.amdhsa_float_round_mode_32 0
		.amdhsa_float_round_mode_16_64 0
		.amdhsa_float_denorm_mode_32 3
		.amdhsa_float_denorm_mode_16_64 3
		.amdhsa_dx10_clamp 1
		.amdhsa_ieee_mode 1
		.amdhsa_fp16_overflow 0
		.amdhsa_workgroup_processor_mode 1
		.amdhsa_memory_ordered 1
		.amdhsa_forward_progress 0
		.amdhsa_shared_vgpr_count 0
		.amdhsa_exception_fp_ieee_invalid_op 0
		.amdhsa_exception_fp_denorm_src 0
		.amdhsa_exception_fp_ieee_div_zero 0
		.amdhsa_exception_fp_ieee_overflow 0
		.amdhsa_exception_fp_ieee_underflow 0
		.amdhsa_exception_fp_ieee_inexact 0
		.amdhsa_exception_int_div_zero 0
	.end_amdhsa_kernel
	.section	.text._Z38paged_attention_ll4mi_QKV_mfma4_kernelI14__hip_bfloat16hLN4vllm18Fp8KVCacheDataTypeE1ES0_Li32ELi128ELi256ELb1ELi2EEvPKT_PKT0_S8_ifPKiSA_SA_iPKfiiiPfSD_PS3_PT2_iSC_SC_,"axG",@progbits,_Z38paged_attention_ll4mi_QKV_mfma4_kernelI14__hip_bfloat16hLN4vllm18Fp8KVCacheDataTypeE1ES0_Li32ELi128ELi256ELb1ELi2EEvPKT_PKT0_S8_ifPKiSA_SA_iPKfiiiPfSD_PS3_PT2_iSC_SC_,comdat
.Lfunc_end1627:
	.size	_Z38paged_attention_ll4mi_QKV_mfma4_kernelI14__hip_bfloat16hLN4vllm18Fp8KVCacheDataTypeE1ES0_Li32ELi128ELi256ELb1ELi2EEvPKT_PKT0_S8_ifPKiSA_SA_iPKfiiiPfSD_PS3_PT2_iSC_SC_, .Lfunc_end1627-_Z38paged_attention_ll4mi_QKV_mfma4_kernelI14__hip_bfloat16hLN4vllm18Fp8KVCacheDataTypeE1ES0_Li32ELi128ELi256ELb1ELi2EEvPKT_PKT0_S8_ifPKiSA_SA_iPKfiiiPfSD_PS3_PT2_iSC_SC_
                                        ; -- End function
	.section	.AMDGPU.csdata,"",@progbits
; Kernel info:
; codeLenInByte = 72
; NumSgprs: 36
; NumVgprs: 41
; ScratchSize: 64
; MemoryBound: 0
; FloatMode: 240
; IeeeMode: 1
; LDSByteSize: 0 bytes/workgroup (compile time only)
; SGPRBlocks: 4
; VGPRBlocks: 5
; NumSGPRsForWavesPerEU: 36
; NumVGPRsForWavesPerEU: 41
; Occupancy: 16
; WaveLimiterHint : 1
; COMPUTE_PGM_RSRC2:SCRATCH_EN: 1
; COMPUTE_PGM_RSRC2:USER_SGPR: 15
; COMPUTE_PGM_RSRC2:TRAP_HANDLER: 0
; COMPUTE_PGM_RSRC2:TGID_X_EN: 1
; COMPUTE_PGM_RSRC2:TGID_Y_EN: 0
; COMPUTE_PGM_RSRC2:TGID_Z_EN: 0
; COMPUTE_PGM_RSRC2:TIDIG_COMP_CNT: 0
	.section	.text._Z38paged_attention_ll4mi_QKV_mfma4_kernelI14__hip_bfloat16hLN4vllm18Fp8KVCacheDataTypeE1ES0_Li32ELi128ELi256ELb1ELi3EEvPKT_PKT0_S8_ifPKiSA_SA_iPKfiiiPfSD_PS3_PT2_iSC_SC_,"axG",@progbits,_Z38paged_attention_ll4mi_QKV_mfma4_kernelI14__hip_bfloat16hLN4vllm18Fp8KVCacheDataTypeE1ES0_Li32ELi128ELi256ELb1ELi3EEvPKT_PKT0_S8_ifPKiSA_SA_iPKfiiiPfSD_PS3_PT2_iSC_SC_,comdat
	.protected	_Z38paged_attention_ll4mi_QKV_mfma4_kernelI14__hip_bfloat16hLN4vllm18Fp8KVCacheDataTypeE1ES0_Li32ELi128ELi256ELb1ELi3EEvPKT_PKT0_S8_ifPKiSA_SA_iPKfiiiPfSD_PS3_PT2_iSC_SC_ ; -- Begin function _Z38paged_attention_ll4mi_QKV_mfma4_kernelI14__hip_bfloat16hLN4vllm18Fp8KVCacheDataTypeE1ES0_Li32ELi128ELi256ELb1ELi3EEvPKT_PKT0_S8_ifPKiSA_SA_iPKfiiiPfSD_PS3_PT2_iSC_SC_
	.globl	_Z38paged_attention_ll4mi_QKV_mfma4_kernelI14__hip_bfloat16hLN4vllm18Fp8KVCacheDataTypeE1ES0_Li32ELi128ELi256ELb1ELi3EEvPKT_PKT0_S8_ifPKiSA_SA_iPKfiiiPfSD_PS3_PT2_iSC_SC_
	.p2align	8
	.type	_Z38paged_attention_ll4mi_QKV_mfma4_kernelI14__hip_bfloat16hLN4vllm18Fp8KVCacheDataTypeE1ES0_Li32ELi128ELi256ELb1ELi3EEvPKT_PKT0_S8_ifPKiSA_SA_iPKfiiiPfSD_PS3_PT2_iSC_SC_,@function
_Z38paged_attention_ll4mi_QKV_mfma4_kernelI14__hip_bfloat16hLN4vllm18Fp8KVCacheDataTypeE1ES0_Li32ELi128ELi256ELb1ELi3EEvPKT_PKT0_S8_ifPKiSA_SA_iPKfiiiPfSD_PS3_PT2_iSC_SC_: ; @_Z38paged_attention_ll4mi_QKV_mfma4_kernelI14__hip_bfloat16hLN4vllm18Fp8KVCacheDataTypeE1ES0_Li32ELi128ELi256ELb1ELi3EEvPKT_PKT0_S8_ifPKiSA_SA_iPKfiiiPfSD_PS3_PT2_iSC_SC_
; %bb.0:
	s_add_u32 s8, s0, 0x90
	s_addc_u32 s9, s1, 0
	s_getpc_b64 s[0:1]
	s_add_u32 s0, s0, __PRETTY_FUNCTION__._Z38paged_attention_ll4mi_QKV_mfma4_kernelI14__hip_bfloat16hLN4vllm18Fp8KVCacheDataTypeE1ES0_Li32ELi128ELi256ELb1ELi3EEvPKT_PKT0_S8_ifPKiSA_SA_iPKfiiiPfSD_PS3_PT2_iSC_SC_@rel32@lo+4
	s_addc_u32 s1, s1, __PRETTY_FUNCTION__._Z38paged_attention_ll4mi_QKV_mfma4_kernelI14__hip_bfloat16hLN4vllm18Fp8KVCacheDataTypeE1ES0_Li32ELi128ELi256ELb1ELi3EEvPKT_PKT0_S8_ifPKiSA_SA_iPKfiiiPfSD_PS3_PT2_iSC_SC_@rel32@hi+12
	s_delay_alu instid0(SALU_CYCLE_1) | instskip(SKIP_4) | instid1(SALU_CYCLE_1)
	v_dual_mov_b32 v0, s0 :: v_dual_mov_b32 v1, s1
	s_mov_b32 s32, 0
	s_getpc_b64 s[2:3]
	s_add_u32 s2, s2, __assert_fail@rel32@lo+4
	s_addc_u32 s3, s3, __assert_fail@rel32@hi+12
	s_swappc_b64 s[30:31], s[2:3]
	.section	.rodata,"a",@progbits
	.p2align	6, 0x0
	.amdhsa_kernel _Z38paged_attention_ll4mi_QKV_mfma4_kernelI14__hip_bfloat16hLN4vllm18Fp8KVCacheDataTypeE1ES0_Li32ELi128ELi256ELb1ELi3EEvPKT_PKT0_S8_ifPKiSA_SA_iPKfiiiPfSD_PS3_PT2_iSC_SC_
		.amdhsa_group_segment_fixed_size 0
		.amdhsa_private_segment_fixed_size 64
		.amdhsa_kernarg_size 400
		.amdhsa_user_sgpr_count 15
		.amdhsa_user_sgpr_dispatch_ptr 0
		.amdhsa_user_sgpr_queue_ptr 0
		.amdhsa_user_sgpr_kernarg_segment_ptr 1
		.amdhsa_user_sgpr_dispatch_id 0
		.amdhsa_user_sgpr_private_segment_size 0
		.amdhsa_wavefront_size32 1
		.amdhsa_uses_dynamic_stack 0
		.amdhsa_enable_private_segment 1
		.amdhsa_system_sgpr_workgroup_id_x 1
		.amdhsa_system_sgpr_workgroup_id_y 0
		.amdhsa_system_sgpr_workgroup_id_z 0
		.amdhsa_system_sgpr_workgroup_info 0
		.amdhsa_system_vgpr_workitem_id 0
		.amdhsa_next_free_vgpr 41
		.amdhsa_next_free_sgpr 34
		.amdhsa_reserve_vcc 1
		.amdhsa_float_round_mode_32 0
		.amdhsa_float_round_mode_16_64 0
		.amdhsa_float_denorm_mode_32 3
		.amdhsa_float_denorm_mode_16_64 3
		.amdhsa_dx10_clamp 1
		.amdhsa_ieee_mode 1
		.amdhsa_fp16_overflow 0
		.amdhsa_workgroup_processor_mode 1
		.amdhsa_memory_ordered 1
		.amdhsa_forward_progress 0
		.amdhsa_shared_vgpr_count 0
		.amdhsa_exception_fp_ieee_invalid_op 0
		.amdhsa_exception_fp_denorm_src 0
		.amdhsa_exception_fp_ieee_div_zero 0
		.amdhsa_exception_fp_ieee_overflow 0
		.amdhsa_exception_fp_ieee_underflow 0
		.amdhsa_exception_fp_ieee_inexact 0
		.amdhsa_exception_int_div_zero 0
	.end_amdhsa_kernel
	.section	.text._Z38paged_attention_ll4mi_QKV_mfma4_kernelI14__hip_bfloat16hLN4vllm18Fp8KVCacheDataTypeE1ES0_Li32ELi128ELi256ELb1ELi3EEvPKT_PKT0_S8_ifPKiSA_SA_iPKfiiiPfSD_PS3_PT2_iSC_SC_,"axG",@progbits,_Z38paged_attention_ll4mi_QKV_mfma4_kernelI14__hip_bfloat16hLN4vllm18Fp8KVCacheDataTypeE1ES0_Li32ELi128ELi256ELb1ELi3EEvPKT_PKT0_S8_ifPKiSA_SA_iPKfiiiPfSD_PS3_PT2_iSC_SC_,comdat
.Lfunc_end1628:
	.size	_Z38paged_attention_ll4mi_QKV_mfma4_kernelI14__hip_bfloat16hLN4vllm18Fp8KVCacheDataTypeE1ES0_Li32ELi128ELi256ELb1ELi3EEvPKT_PKT0_S8_ifPKiSA_SA_iPKfiiiPfSD_PS3_PT2_iSC_SC_, .Lfunc_end1628-_Z38paged_attention_ll4mi_QKV_mfma4_kernelI14__hip_bfloat16hLN4vllm18Fp8KVCacheDataTypeE1ES0_Li32ELi128ELi256ELb1ELi3EEvPKT_PKT0_S8_ifPKiSA_SA_iPKfiiiPfSD_PS3_PT2_iSC_SC_
                                        ; -- End function
	.section	.AMDGPU.csdata,"",@progbits
; Kernel info:
; codeLenInByte = 72
; NumSgprs: 36
; NumVgprs: 41
; ScratchSize: 64
; MemoryBound: 0
; FloatMode: 240
; IeeeMode: 1
; LDSByteSize: 0 bytes/workgroup (compile time only)
; SGPRBlocks: 4
; VGPRBlocks: 5
; NumSGPRsForWavesPerEU: 36
; NumVGPRsForWavesPerEU: 41
; Occupancy: 16
; WaveLimiterHint : 1
; COMPUTE_PGM_RSRC2:SCRATCH_EN: 1
; COMPUTE_PGM_RSRC2:USER_SGPR: 15
; COMPUTE_PGM_RSRC2:TRAP_HANDLER: 0
; COMPUTE_PGM_RSRC2:TGID_X_EN: 1
; COMPUTE_PGM_RSRC2:TGID_Y_EN: 0
; COMPUTE_PGM_RSRC2:TGID_Z_EN: 0
; COMPUTE_PGM_RSRC2:TIDIG_COMP_CNT: 0
	.section	.text._Z38paged_attention_ll4mi_QKV_mfma4_kernelI14__hip_bfloat16hLN4vllm18Fp8KVCacheDataTypeE1ES0_Li32ELi128ELi256ELb1ELi4EEvPKT_PKT0_S8_ifPKiSA_SA_iPKfiiiPfSD_PS3_PT2_iSC_SC_,"axG",@progbits,_Z38paged_attention_ll4mi_QKV_mfma4_kernelI14__hip_bfloat16hLN4vllm18Fp8KVCacheDataTypeE1ES0_Li32ELi128ELi256ELb1ELi4EEvPKT_PKT0_S8_ifPKiSA_SA_iPKfiiiPfSD_PS3_PT2_iSC_SC_,comdat
	.protected	_Z38paged_attention_ll4mi_QKV_mfma4_kernelI14__hip_bfloat16hLN4vllm18Fp8KVCacheDataTypeE1ES0_Li32ELi128ELi256ELb1ELi4EEvPKT_PKT0_S8_ifPKiSA_SA_iPKfiiiPfSD_PS3_PT2_iSC_SC_ ; -- Begin function _Z38paged_attention_ll4mi_QKV_mfma4_kernelI14__hip_bfloat16hLN4vllm18Fp8KVCacheDataTypeE1ES0_Li32ELi128ELi256ELb1ELi4EEvPKT_PKT0_S8_ifPKiSA_SA_iPKfiiiPfSD_PS3_PT2_iSC_SC_
	.globl	_Z38paged_attention_ll4mi_QKV_mfma4_kernelI14__hip_bfloat16hLN4vllm18Fp8KVCacheDataTypeE1ES0_Li32ELi128ELi256ELb1ELi4EEvPKT_PKT0_S8_ifPKiSA_SA_iPKfiiiPfSD_PS3_PT2_iSC_SC_
	.p2align	8
	.type	_Z38paged_attention_ll4mi_QKV_mfma4_kernelI14__hip_bfloat16hLN4vllm18Fp8KVCacheDataTypeE1ES0_Li32ELi128ELi256ELb1ELi4EEvPKT_PKT0_S8_ifPKiSA_SA_iPKfiiiPfSD_PS3_PT2_iSC_SC_,@function
_Z38paged_attention_ll4mi_QKV_mfma4_kernelI14__hip_bfloat16hLN4vllm18Fp8KVCacheDataTypeE1ES0_Li32ELi128ELi256ELb1ELi4EEvPKT_PKT0_S8_ifPKiSA_SA_iPKfiiiPfSD_PS3_PT2_iSC_SC_: ; @_Z38paged_attention_ll4mi_QKV_mfma4_kernelI14__hip_bfloat16hLN4vllm18Fp8KVCacheDataTypeE1ES0_Li32ELi128ELi256ELb1ELi4EEvPKT_PKT0_S8_ifPKiSA_SA_iPKfiiiPfSD_PS3_PT2_iSC_SC_
; %bb.0:
	s_add_u32 s8, s0, 0x90
	s_addc_u32 s9, s1, 0
	s_getpc_b64 s[0:1]
	s_add_u32 s0, s0, __PRETTY_FUNCTION__._Z38paged_attention_ll4mi_QKV_mfma4_kernelI14__hip_bfloat16hLN4vllm18Fp8KVCacheDataTypeE1ES0_Li32ELi128ELi256ELb1ELi4EEvPKT_PKT0_S8_ifPKiSA_SA_iPKfiiiPfSD_PS3_PT2_iSC_SC_@rel32@lo+4
	s_addc_u32 s1, s1, __PRETTY_FUNCTION__._Z38paged_attention_ll4mi_QKV_mfma4_kernelI14__hip_bfloat16hLN4vllm18Fp8KVCacheDataTypeE1ES0_Li32ELi128ELi256ELb1ELi4EEvPKT_PKT0_S8_ifPKiSA_SA_iPKfiiiPfSD_PS3_PT2_iSC_SC_@rel32@hi+12
	s_delay_alu instid0(SALU_CYCLE_1) | instskip(SKIP_4) | instid1(SALU_CYCLE_1)
	v_dual_mov_b32 v0, s0 :: v_dual_mov_b32 v1, s1
	s_mov_b32 s32, 0
	s_getpc_b64 s[2:3]
	s_add_u32 s2, s2, __assert_fail@rel32@lo+4
	s_addc_u32 s3, s3, __assert_fail@rel32@hi+12
	s_swappc_b64 s[30:31], s[2:3]
	.section	.rodata,"a",@progbits
	.p2align	6, 0x0
	.amdhsa_kernel _Z38paged_attention_ll4mi_QKV_mfma4_kernelI14__hip_bfloat16hLN4vllm18Fp8KVCacheDataTypeE1ES0_Li32ELi128ELi256ELb1ELi4EEvPKT_PKT0_S8_ifPKiSA_SA_iPKfiiiPfSD_PS3_PT2_iSC_SC_
		.amdhsa_group_segment_fixed_size 0
		.amdhsa_private_segment_fixed_size 64
		.amdhsa_kernarg_size 400
		.amdhsa_user_sgpr_count 15
		.amdhsa_user_sgpr_dispatch_ptr 0
		.amdhsa_user_sgpr_queue_ptr 0
		.amdhsa_user_sgpr_kernarg_segment_ptr 1
		.amdhsa_user_sgpr_dispatch_id 0
		.amdhsa_user_sgpr_private_segment_size 0
		.amdhsa_wavefront_size32 1
		.amdhsa_uses_dynamic_stack 0
		.amdhsa_enable_private_segment 1
		.amdhsa_system_sgpr_workgroup_id_x 1
		.amdhsa_system_sgpr_workgroup_id_y 0
		.amdhsa_system_sgpr_workgroup_id_z 0
		.amdhsa_system_sgpr_workgroup_info 0
		.amdhsa_system_vgpr_workitem_id 0
		.amdhsa_next_free_vgpr 41
		.amdhsa_next_free_sgpr 34
		.amdhsa_reserve_vcc 1
		.amdhsa_float_round_mode_32 0
		.amdhsa_float_round_mode_16_64 0
		.amdhsa_float_denorm_mode_32 3
		.amdhsa_float_denorm_mode_16_64 3
		.amdhsa_dx10_clamp 1
		.amdhsa_ieee_mode 1
		.amdhsa_fp16_overflow 0
		.amdhsa_workgroup_processor_mode 1
		.amdhsa_memory_ordered 1
		.amdhsa_forward_progress 0
		.amdhsa_shared_vgpr_count 0
		.amdhsa_exception_fp_ieee_invalid_op 0
		.amdhsa_exception_fp_denorm_src 0
		.amdhsa_exception_fp_ieee_div_zero 0
		.amdhsa_exception_fp_ieee_overflow 0
		.amdhsa_exception_fp_ieee_underflow 0
		.amdhsa_exception_fp_ieee_inexact 0
		.amdhsa_exception_int_div_zero 0
	.end_amdhsa_kernel
	.section	.text._Z38paged_attention_ll4mi_QKV_mfma4_kernelI14__hip_bfloat16hLN4vllm18Fp8KVCacheDataTypeE1ES0_Li32ELi128ELi256ELb1ELi4EEvPKT_PKT0_S8_ifPKiSA_SA_iPKfiiiPfSD_PS3_PT2_iSC_SC_,"axG",@progbits,_Z38paged_attention_ll4mi_QKV_mfma4_kernelI14__hip_bfloat16hLN4vllm18Fp8KVCacheDataTypeE1ES0_Li32ELi128ELi256ELb1ELi4EEvPKT_PKT0_S8_ifPKiSA_SA_iPKfiiiPfSD_PS3_PT2_iSC_SC_,comdat
.Lfunc_end1629:
	.size	_Z38paged_attention_ll4mi_QKV_mfma4_kernelI14__hip_bfloat16hLN4vllm18Fp8KVCacheDataTypeE1ES0_Li32ELi128ELi256ELb1ELi4EEvPKT_PKT0_S8_ifPKiSA_SA_iPKfiiiPfSD_PS3_PT2_iSC_SC_, .Lfunc_end1629-_Z38paged_attention_ll4mi_QKV_mfma4_kernelI14__hip_bfloat16hLN4vllm18Fp8KVCacheDataTypeE1ES0_Li32ELi128ELi256ELb1ELi4EEvPKT_PKT0_S8_ifPKiSA_SA_iPKfiiiPfSD_PS3_PT2_iSC_SC_
                                        ; -- End function
	.section	.AMDGPU.csdata,"",@progbits
; Kernel info:
; codeLenInByte = 72
; NumSgprs: 36
; NumVgprs: 41
; ScratchSize: 64
; MemoryBound: 0
; FloatMode: 240
; IeeeMode: 1
; LDSByteSize: 0 bytes/workgroup (compile time only)
; SGPRBlocks: 4
; VGPRBlocks: 5
; NumSGPRsForWavesPerEU: 36
; NumVGPRsForWavesPerEU: 41
; Occupancy: 16
; WaveLimiterHint : 1
; COMPUTE_PGM_RSRC2:SCRATCH_EN: 1
; COMPUTE_PGM_RSRC2:USER_SGPR: 15
; COMPUTE_PGM_RSRC2:TRAP_HANDLER: 0
; COMPUTE_PGM_RSRC2:TGID_X_EN: 1
; COMPUTE_PGM_RSRC2:TGID_Y_EN: 0
; COMPUTE_PGM_RSRC2:TGID_Z_EN: 0
; COMPUTE_PGM_RSRC2:TIDIG_COMP_CNT: 0
	.section	.text._Z39paged_attention_ll4mi_QKV_mfma16_kernelI14__hip_bfloat16hLN4vllm18Fp8KVCacheDataTypeE1ES0_Li32ELi128ELi256ELb1ELi5EL8MFMAType1EEvPKT_PKT0_S9_ifPKiSB_SB_iPKfiiiPfSE_PS4_PT2_iSD_SD_,"axG",@progbits,_Z39paged_attention_ll4mi_QKV_mfma16_kernelI14__hip_bfloat16hLN4vllm18Fp8KVCacheDataTypeE1ES0_Li32ELi128ELi256ELb1ELi5EL8MFMAType1EEvPKT_PKT0_S9_ifPKiSB_SB_iPKfiiiPfSE_PS4_PT2_iSD_SD_,comdat
	.protected	_Z39paged_attention_ll4mi_QKV_mfma16_kernelI14__hip_bfloat16hLN4vllm18Fp8KVCacheDataTypeE1ES0_Li32ELi128ELi256ELb1ELi5EL8MFMAType1EEvPKT_PKT0_S9_ifPKiSB_SB_iPKfiiiPfSE_PS4_PT2_iSD_SD_ ; -- Begin function _Z39paged_attention_ll4mi_QKV_mfma16_kernelI14__hip_bfloat16hLN4vllm18Fp8KVCacheDataTypeE1ES0_Li32ELi128ELi256ELb1ELi5EL8MFMAType1EEvPKT_PKT0_S9_ifPKiSB_SB_iPKfiiiPfSE_PS4_PT2_iSD_SD_
	.globl	_Z39paged_attention_ll4mi_QKV_mfma16_kernelI14__hip_bfloat16hLN4vllm18Fp8KVCacheDataTypeE1ES0_Li32ELi128ELi256ELb1ELi5EL8MFMAType1EEvPKT_PKT0_S9_ifPKiSB_SB_iPKfiiiPfSE_PS4_PT2_iSD_SD_
	.p2align	8
	.type	_Z39paged_attention_ll4mi_QKV_mfma16_kernelI14__hip_bfloat16hLN4vllm18Fp8KVCacheDataTypeE1ES0_Li32ELi128ELi256ELb1ELi5EL8MFMAType1EEvPKT_PKT0_S9_ifPKiSB_SB_iPKfiiiPfSE_PS4_PT2_iSD_SD_,@function
_Z39paged_attention_ll4mi_QKV_mfma16_kernelI14__hip_bfloat16hLN4vllm18Fp8KVCacheDataTypeE1ES0_Li32ELi128ELi256ELb1ELi5EL8MFMAType1EEvPKT_PKT0_S9_ifPKiSB_SB_iPKfiiiPfSE_PS4_PT2_iSD_SD_: ; @_Z39paged_attention_ll4mi_QKV_mfma16_kernelI14__hip_bfloat16hLN4vllm18Fp8KVCacheDataTypeE1ES0_Li32ELi128ELi256ELb1ELi5EL8MFMAType1EEvPKT_PKT0_S9_ifPKiSB_SB_iPKfiiiPfSE_PS4_PT2_iSD_SD_
; %bb.0:
	s_load_b64 s[4:5], s[0:1], 0x30
	s_mov_b32 s30, s13
	s_waitcnt lgkmcnt(0)
	s_cmp_lg_u64 s[4:5], 0
	s_cselect_b32 s13, -1, 0
	s_ashr_i32 s31, s30, 31
	s_cmp_eq_u64 s[4:5], 0
	s_cbranch_scc1 .LBB1630_3
; %bb.1:
	s_lshl_b64 s[2:3], s[30:31], 2
	s_delay_alu instid0(SALU_CYCLE_1) | instskip(SKIP_4) | instid1(SALU_CYCLE_1)
	s_add_u32 s2, s4, s2
	s_addc_u32 s3, s5, s3
	s_load_b64 s[2:3], s[2:3], 0x0
	s_waitcnt lgkmcnt(0)
	s_sub_i32 s2, s3, s2
	s_cmp_eq_u32 s2, 1
	s_cselect_b32 s2, -1, 0
	s_delay_alu instid0(SALU_CYCLE_1)
	s_and_not1_b32 vcc_lo, exec_lo, s2
	s_cbranch_vccz .LBB1630_4
.LBB1630_2:
	s_nop 0
	s_sendmsg sendmsg(MSG_DEALLOC_VGPRS)
	s_endpgm
.LBB1630_3:
.LBB1630_4:
	s_load_b64 s[2:3], s[0:1], 0x28
	s_lshl_b64 s[6:7], s[30:31], 2
	s_waitcnt lgkmcnt(0)
	s_add_u32 s2, s2, s6
	s_addc_u32 s3, s3, s7
	s_lshl_b32 s12, s14, 8
	s_load_b32 s17, s[2:3], 0x0
	s_waitcnt lgkmcnt(0)
	s_cmp_ge_i32 s12, s17
	s_cbranch_scc1 .LBB1630_2
; %bb.5:
	s_clause 0x1
	s_load_b128 s[8:11], s[0:1], 0x8
	s_load_b64 s[2:3], s[0:1], 0x20
	s_and_not1_b32 vcc_lo, exec_lo, s13
	s_cbranch_vccnz .LBB1630_7
; %bb.6:
	s_add_u32 s4, s4, s6
	s_addc_u32 s5, s5, s7
	s_load_b32 s13, s[4:5], 0x0
	s_branch .LBB1630_8
.LBB1630_7:
	s_mov_b32 s13, s30
.LBB1630_8:
	s_load_b128 s[4:7], s[0:1], 0x48
	v_and_b32_e32 v65, 15, v0
	v_lshrrev_b32_e32 v66, 5, v0
	v_bfe_u32 v74, v0, 4, 1
	v_and_b32_e32 v67, 31, v0
	v_and_b32_e32 v75, 1, v0
	v_lshlrev_b32_e32 v2, 3, v65
	s_mul_i32 s31, s15, 5
	v_lshl_or_b32 v1, v66, 1, v74
	s_waitcnt lgkmcnt(0)
	s_mov_b32 s7, exec_lo
	v_lshlrev_b32_e32 v73, 1, v2
	s_delay_alu instid0(VALU_DEP_2)
	v_cmpx_gt_u32_e32 5, v1
	s_cbranch_execz .LBB1630_10
; %bb.9:
	s_load_b64 s[18:19], s[0:1], 0x0
	v_add_lshl_u32 v2, v1, s31, 7
	s_mul_hi_i32 s21, s13, s4
	s_mul_i32 s20, s13, s4
	v_lshlrev_b32_e32 v6, 10, v65
	s_lshl_b64 s[20:21], s[20:21], 1
	v_ashrrev_i32_e32 v3, 31, v2
	v_lshlrev_b32_e32 v1, 6, v1
	v_lshlrev_b32_e32 v7, 10, v75
	v_and_b32_e32 v6, 0x3800, v6
	s_delay_alu instid0(VALU_DEP_4) | instskip(NEXT) | instid1(VALU_DEP_2)
	v_lshlrev_b64 v[2:3], 1, v[2:3]
	v_or3_b32 v1, v6, v7, v1
	s_waitcnt lgkmcnt(0)
	s_add_u32 s4, s18, s20
	s_addc_u32 s13, s19, s21
	s_delay_alu instid0(VALU_DEP_2) | instskip(SKIP_1) | instid1(VALU_DEP_2)
	v_add_co_u32 v2, vcc_lo, s4, v2
	v_add_co_ci_u32_e32 v3, vcc_lo, s13, v3, vcc_lo
	v_add_co_u32 v2, vcc_lo, v2, v73
	s_delay_alu instid0(VALU_DEP_2)
	v_add_co_ci_u32_e32 v3, vcc_lo, 0, v3, vcc_lo
	global_load_b128 v[2:5], v[2:3], off
	s_waitcnt vmcnt(0)
	ds_store_b128 v1, v[2:5]
.LBB1630_10:
	s_or_b32 exec_lo, exec_lo, s7
	v_and_b32_e32 v1, 0xef, v0
	s_add_i32 s4, s17, 31
	s_clause 0x1
	s_load_b32 s7, s[0:1], 0x38
	s_load_b32 s18, s[0:1], 0x1c
	s_ashr_i32 s13, s4, 31
	v_add_nc_u32_e32 v2, s12, v1
	s_lshr_b32 s13, s13, 27
	s_waitcnt lgkmcnt(0)
	s_add_i32 s4, s4, s13
	s_barrier
	v_ashrrev_i32_e32 v1, 31, v2
	s_ashr_i32 s4, s4, 5
	v_cmp_gt_i32_e32 vcc_lo, s17, v2
	s_add_i32 s4, s4, -1
	buffer_gl0_inv
	v_lshrrev_b32_e32 v3, 27, v1
	v_or_b32_e32 v1, 16, v2
	s_mul_i32 s15, s15, s6
	s_delay_alu instid0(VALU_DEP_2) | instskip(SKIP_1) | instid1(SALU_CYCLE_1)
	v_add_nc_u32_e32 v4, v2, v3
	s_mul_i32 s20, s30, s7
	s_ashr_i32 s21, s20, 31
	s_delay_alu instid0(VALU_DEP_1) | instskip(SKIP_2) | instid1(SALU_CYCLE_1)
	v_ashrrev_i32_e32 v4, 5, v4
	v_add_nc_u32_e32 v3, v1, v3
	s_lshl_b64 s[20:21], s[20:21], 2
	s_add_u32 s7, s2, s20
	s_delay_alu instid0(VALU_DEP_2) | instskip(NEXT) | instid1(VALU_DEP_2)
	v_cndmask_b32_e32 v2, s4, v4, vcc_lo
	v_ashrrev_i32_e32 v3, 5, v3
	v_cmp_gt_i32_e32 vcc_lo, s17, v1
	s_addc_u32 s13, s3, s21
	s_ashr_i32 s6, s15, 31
	s_add_u32 s2, s8, s15
	s_addc_u32 s3, s9, s6
	v_cndmask_b32_e32 v4, s4, v3, vcc_lo
	v_ashrrev_i32_e32 v3, 31, v2
	s_lshl_b32 s8, s14, 3
	s_delay_alu instid0(SALU_CYCLE_1) | instskip(NEXT) | instid1(VALU_DEP_2)
	s_ashr_i32 s9, s8, 31
	v_ashrrev_i32_e32 v5, 31, v4
	s_delay_alu instid0(VALU_DEP_2) | instskip(SKIP_1) | instid1(SALU_CYCLE_1)
	v_lshlrev_b64 v[1:2], 2, v[2:3]
	s_lshl_b64 s[8:9], s[8:9], 2
	s_add_u32 s8, s7, s8
	s_delay_alu instid0(VALU_DEP_2) | instskip(SKIP_1) | instid1(VALU_DEP_2)
	v_lshlrev_b64 v[3:4], 2, v[4:5]
	s_addc_u32 s9, s13, s9
	v_add_co_u32 v1, vcc_lo, s7, v1
	v_add_co_ci_u32_e32 v2, vcc_lo, s13, v2, vcc_lo
	s_delay_alu instid0(VALU_DEP_3) | instskip(NEXT) | instid1(VALU_DEP_4)
	v_add_co_u32 v3, vcc_lo, s7, v3
	v_add_co_ci_u32_e32 v4, vcc_lo, s13, v4, vcc_lo
	s_clause 0x1
	global_load_b32 v5, v[1:2], off
	global_load_b32 v6, v[3:4], off
	s_or_b32 s16, s12, 32
	s_delay_alu instid0(SALU_CYCLE_1) | instskip(SKIP_2) | instid1(SALU_CYCLE_1)
	s_ashr_i32 s19, s16, 5
	s_cmp_lt_i32 s16, s17
	s_cselect_b32 s20, s19, s4
	s_ashr_i32 s21, s20, 31
	s_delay_alu instid0(SALU_CYCLE_1) | instskip(NEXT) | instid1(SALU_CYCLE_1)
	s_lshl_b64 s[20:21], s[20:21], 2
	s_add_u32 s20, s7, s20
	s_addc_u32 s21, s13, s21
	s_or_b32 s16, s12, 64
	s_delay_alu instid0(SALU_CYCLE_1) | instskip(SKIP_2) | instid1(SALU_CYCLE_1)
	s_ashr_i32 s19, s16, 5
	s_cmp_lt_i32 s16, s17
	s_cselect_b32 s22, s19, s4
	s_ashr_i32 s23, s22, 31
	s_delay_alu instid0(SALU_CYCLE_1) | instskip(NEXT) | instid1(SALU_CYCLE_1)
	s_lshl_b64 s[22:23], s[22:23], 2
	s_add_u32 s22, s7, s22
	s_addc_u32 s23, s13, s23
	;; [unrolled: 10-line block ×5, first 2 shown]
	s_clause 0x5
	s_load_b32 s16, s[8:9], 0x0
	s_load_b32 s19, s[20:21], 0x0
	;; [unrolled: 1-line block ×6, first 2 shown]
	s_mov_b32 s20, 0
	s_delay_alu instid0(SALU_CYCLE_1)
	s_mov_b32 s21, s20
	s_mov_b32 s22, s20
	;; [unrolled: 1-line block ×7, first 2 shown]
	s_delay_alu instid0(SALU_CYCLE_1)
	v_dual_mov_b32 v107, s27 :: v_dual_mov_b32 v106, s26
	v_dual_mov_b32 v105, s25 :: v_dual_mov_b32 v102, s22
	;; [unrolled: 1-line block ×4, first 2 shown]
	s_waitcnt vmcnt(1)
	v_mad_i64_i32 v[1:2], null, v5, s5, s[2:3]
	v_lshlrev_b32_e32 v5, 4, v65
	s_waitcnt vmcnt(0)
	v_mad_i64_i32 v[3:4], null, v6, s5, s[2:3]
	s_or_b32 s2, s12, 0xc0
	s_delay_alu instid0(SALU_CYCLE_1) | instskip(NEXT) | instid1(VALU_DEP_3)
	s_ashr_i32 s3, s2, 5
	v_add_co_u32 v25, vcc_lo, v1, v5
	s_delay_alu instid0(VALU_DEP_4) | instskip(NEXT) | instid1(VALU_DEP_3)
	v_add_co_ci_u32_e32 v26, vcc_lo, 0, v2, vcc_lo
	v_add_co_u32 v27, vcc_lo, v3, v5
	s_delay_alu instid0(VALU_DEP_4)
	v_add_co_ci_u32_e32 v28, vcc_lo, 0, v4, vcc_lo
	s_clause 0xf
	global_load_b128 v[1:4], v[25:26], off
	global_load_b128 v[5:8], v[25:26], off offset:512
	global_load_b128 v[9:12], v[27:28], off offset:256
	;; [unrolled: 1-line block ×15, first 2 shown]
	v_mul_lo_u16 v25, v65, 52
	s_cmp_lt_i32 s2, s17
	v_lshlrev_b32_e32 v26, 5, v65
	s_cselect_b32 s2, s3, s4
	s_delay_alu instid0(VALU_DEP_2) | instskip(SKIP_1) | instid1(VALU_DEP_2)
	v_lshrrev_b16 v25, 8, v25
	s_ashr_i32 s3, s2, 31
	v_lshl_or_b32 v33, v66, 9, v26
	s_lshl_b64 s[2:3], s[2:3], 2
	s_delay_alu instid0(VALU_DEP_2) | instskip(SKIP_3) | instid1(VALU_DEP_1)
	v_mul_lo_u16 v25, v25, 5
	s_add_u32 s2, s7, s2
	s_addc_u32 s3, s13, s3
	s_or_b32 s8, s12, 0xe0
	v_sub_nc_u16 v25, v65, v25
	s_ashr_i32 s9, s8, 5
	s_cmp_lt_i32 s8, s17
	s_cselect_b32 s8, s9, s4
	s_delay_alu instid0(VALU_DEP_1) | instskip(SKIP_1) | instid1(SALU_CYCLE_1)
	v_and_b32_e32 v25, 0xff, v25
	s_ashr_i32 s9, s8, 31
	s_lshl_b64 s[8:9], s[8:9], 2
	s_delay_alu instid0(VALU_DEP_1)
	v_lshlrev_b32_e32 v72, 6, v25
	ds_load_b128 v[25:28], v72
	ds_load_b128 v[29:32], v72 offset:1024
	ds_load_b128 v[108:111], v72 offset:2048
	ds_load_b128 v[112:115], v72 offset:3072
	s_load_b32 s4, s[2:3], 0x0
	s_add_u32 s2, s7, s8
	s_addc_u32 s3, s13, s9
	ds_load_b128 v[116:119], v72 offset:4096
	ds_load_b128 v[120:123], v72 offset:5120
	s_load_b32 s2, s[2:3], 0x0
	s_add_u32 s7, s10, s15
	s_addc_u32 s6, s11, s6
	v_add_co_u32 v68, s7, s7, v33
	s_delay_alu instid0(VALU_DEP_1) | instskip(SKIP_1) | instid1(VALU_DEP_1)
	v_add_co_ci_u32_e64 v69, null, s6, 0, s7
	s_waitcnt lgkmcnt(0)
	v_mad_i64_i32 v[33:34], null, s16, s5, v[68:69]
	v_mad_i64_i32 v[70:71], null, s33, s5, v[68:69]
	;; [unrolled: 1-line block ×7, first 2 shown]
	s_clause 0x3
	global_load_b128 v[41:44], v[33:34], off
	global_load_b128 v[45:48], v[33:34], off offset:16
	global_load_b128 v[33:36], v[37:38], off
	global_load_b128 v[37:40], v[37:38], off offset:16
	s_waitcnt vmcnt(18)
	v_wmma_f32_16x16x16_bf16 v[124:131], v[1:8], v[25:32], v[100:107]
	s_waitcnt vmcnt(16)
	v_wmma_f32_16x16x16_bf16 v[100:107], v[9:16], v[25:32], v[100:107]
	s_clause 0x1
	global_load_b128 v[25:28], v[70:71], off
	global_load_b128 v[29:32], v[70:71], off offset:16
	s_waitcnt vmcnt(16)
	v_wmma_f32_16x16x16_bf16 v[124:131], v[17:24], v[108:115], v[124:131]
	s_clause 0x1
	global_load_b128 v[17:20], v[132:133], off
	global_load_b128 v[21:24], v[132:133], off offset:16
	s_waitcnt vmcnt(16)
	v_wmma_f32_16x16x16_bf16 v[100:107], v[49:56], v[108:115], v[100:107]
	v_mad_i64_i32 v[53:54], null, s2, s5, v[68:69]
	s_clause 0x3
	global_load_b128 v[1:4], v[134:135], off
	global_load_b128 v[5:8], v[134:135], off offset:16
	global_load_b128 v[9:12], v[136:137], off
	global_load_b128 v[13:16], v[136:137], off offset:16
	s_waitcnt vmcnt(18)
	v_wmma_f32_16x16x16_bf16 v[124:131], v[57:64], v[116:123], v[124:131]
	s_clause 0x3
	global_load_b128 v[57:60], v[138:139], off
	global_load_b128 v[61:64], v[138:139], off offset:16
	global_load_b128 v[49:52], v[53:54], off
	global_load_b128 v[53:56], v[53:54], off offset:16
	s_waitcnt vmcnt(20)
	v_wmma_f32_16x16x16_bf16 v[100:107], v[76:83], v[116:123], v[100:107]
	ds_load_b128 v[76:79], v72 offset:6144
	ds_load_b128 v[80:83], v72 offset:7168
	v_mbcnt_lo_u32_b32 v69, -1, 0
	s_waitcnt vmcnt(0) lgkmcnt(0)
	s_barrier
	buffer_gl0_inv
	v_xor_b32_e32 v70, 16, v69
	s_delay_alu instid0(VALU_DEP_1) | instskip(SKIP_4) | instid1(VALU_DEP_2)
	v_cmp_gt_i32_e32 vcc_lo, 32, v70
	v_cndmask_b32_e32 v69, v69, v70, vcc_lo
	v_wmma_f32_16x16x16_bf16 v[124:131], v[84:91], v[76:83], v[124:131]
	v_and_b32_e32 v68, 0xe0, v0
	v_wmma_f32_16x16x16_bf16 v[100:107], v[92:99], v[76:83], v[100:107]
	v_dual_mul_f32 v81, s18, v129 :: v_dual_add_nc_u32 v68, s12, v68
	s_delay_alu instid0(VALU_DEP_4) | instskip(NEXT) | instid1(VALU_DEP_3)
	v_dual_mul_f32 v83, s18, v131 :: v_dual_mul_f32 v78, s18, v125
	v_mul_f32_e32 v95, s18, v103
	v_mul_f32_e32 v79, s18, v127
	s_delay_alu instid0(VALU_DEP_4) | instskip(SKIP_3) | instid1(VALU_DEP_4)
	v_or_b32_e32 v68, v68, v74
	v_dual_mul_f32 v80, s18, v126 :: v_dual_mul_f32 v97, s18, v105
	v_dual_mul_f32 v93, s18, v101 :: v_dual_mul_f32 v82, s18, v128
	v_mul_f32_e32 v99, s18, v107
	v_or_b32_e32 v70, 2, v68
	v_or_b32_e32 v71, 4, v68
	;; [unrolled: 1-line block ×3, first 2 shown]
	v_cmp_gt_i32_e64 s2, s17, v68
	v_or_b32_e32 v108, 8, v68
	v_cmp_gt_i32_e32 vcc_lo, s17, v70
	v_mul_f32_e32 v70, s18, v124
	v_or_b32_e32 v109, 10, v68
	v_cmp_gt_i32_e64 s3, s17, v71
	v_cmp_gt_i32_e64 s4, s17, v72
	v_cndmask_b32_e32 v78, 0xff7fffff, v78, vcc_lo
	v_cndmask_b32_e64 v70, 0xff7fffff, v70, s2
	v_or_b32_e32 v84, 12, v68
	v_or_b32_e32 v85, 14, v68
	v_cndmask_b32_e64 v71, 0xff7fffff, v80, s3
	v_cndmask_b32_e64 v72, 0xff7fffff, v79, s4
	v_max3_f32 v70, v70, 0xff7fffff, v78
	v_cmp_gt_i32_e64 s5, s17, v108
	v_cmp_gt_i32_e64 s6, s17, v109
	v_or_b32_e32 v86, 16, v68
	v_or_b32_e32 v87, 18, v68
	;; [unrolled: 1-line block ×3, first 2 shown]
	v_mul_f32_e32 v92, s18, v130
	v_cndmask_b32_e64 v78, 0xff7fffff, v82, s5
	v_cndmask_b32_e64 v79, 0xff7fffff, v81, s6
	v_max3_f32 v70, v70, v71, v72
	v_cmp_gt_i32_e64 s7, s17, v84
	v_cmp_gt_i32_e64 s8, s17, v85
	v_or_b32_e32 v88, 20, v68
	v_mul_f32_e32 v94, s18, v100
	v_max3_f32 v70, v70, v78, v79
	v_cmp_gt_i32_e64 s9, s17, v86
	v_cndmask_b32_e64 v72, 0xff7fffff, v83, s8
	v_cmp_gt_i32_e64 s10, s17, v87
	v_cmp_gt_i32_e64 s12, s17, v89
	v_lshlrev_b32_e32 v89, 2, v69
	v_cndmask_b32_e64 v71, 0xff7fffff, v92, s7
	v_or_b32_e32 v90, 24, v68
	v_or_b32_e32 v91, 26, v68
	v_mul_f32_e32 v96, s18, v102
	v_cndmask_b32_e64 v78, 0xff7fffff, v94, s9
	v_cndmask_b32_e64 v79, 0xff7fffff, v93, s10
	v_max3_f32 v70, v70, v71, v72
	v_cmp_gt_i32_e64 s11, s17, v88
	v_or_b32_e32 v76, 28, v68
	v_or_b32_e32 v77, 30, v68
	v_mul_f32_e32 v98, s18, v104
	v_cndmask_b32_e64 v72, 0xff7fffff, v95, s12
	v_cndmask_b32_e64 v71, 0xff7fffff, v96, s11
	v_max3_f32 v70, v70, v78, v79
	v_cmp_gt_i32_e64 s13, s17, v90
	v_cmp_gt_i32_e64 s15, s17, v91
	v_mul_f32_e32 v68, s18, v106
	v_cmp_gt_i32_e64 s16, s17, v76
	v_max3_f32 v70, v70, v71, v72
	v_cndmask_b32_e64 v78, 0xff7fffff, v98, s13
	v_cndmask_b32_e64 v79, 0xff7fffff, v97, s15
	v_cmp_gt_i32_e64 s17, s17, v77
	v_cndmask_b32_e64 v68, 0xff7fffff, v68, s16
	s_delay_alu instid0(VALU_DEP_3) | instskip(NEXT) | instid1(VALU_DEP_3)
	v_max3_f32 v70, v70, v78, v79
	v_cndmask_b32_e64 v71, 0xff7fffff, v99, s17
	s_delay_alu instid0(VALU_DEP_1) | instskip(SKIP_3) | instid1(VALU_DEP_1)
	v_max3_f32 v68, v70, v68, v71
	ds_bpermute_b32 v69, v89, v68
	s_waitcnt lgkmcnt(0)
	v_max_f32_e32 v69, v69, v69
	v_max_f32_e32 v68, v68, v69
	s_delay_alu instid0(VALU_DEP_1) | instskip(NEXT) | instid1(VALU_DEP_1)
	v_fma_f32 v71, s18, v126, -v68
	v_mul_f32_e32 v71, 0x3fb8aa3b, v71
	s_delay_alu instid0(VALU_DEP_1) | instskip(SKIP_3) | instid1(VALU_DEP_1)
	v_exp_f32_e32 v71, v71
	s_waitcnt_depctr 0xfff
	v_cndmask_b32_e64 v83, 0, v71, s3
	v_fma_f32 v71, s18, v131, -v68
	v_mul_f32_e32 v71, 0x3fb8aa3b, v71
	v_fma_f32 v69, s18, v124, -v68
	v_fma_f32 v76, s18, v128, -v68
	;; [unrolled: 1-line block ×4, first 2 shown]
	v_exp_f32_e32 v71, v71
	v_mul_f32_e32 v69, 0x3fb8aa3b, v69
	v_mul_f32_e32 v77, 0x3fb8aa3b, v76
	v_fma_f32 v81, s18, v105, -v68
	v_fma_f32 v78, s18, v130, -v68
	s_delay_alu instid0(VALU_DEP_4) | instskip(NEXT) | instid1(VALU_DEP_3)
	v_exp_f32_e32 v69, v69
	v_exp_f32_e32 v77, v77
	s_delay_alu instid0(VALU_DEP_2) | instskip(NEXT) | instid1(TRANS32_DEP_3)
	v_mul_f32_e32 v81, 0x3fb8aa3b, v81
	v_cndmask_b32_e64 v88, 0, v71, s8
	v_fma_f32 v71, s18, v104, -v68
	s_delay_alu instid0(VALU_DEP_3) | instskip(NEXT) | instid1(TRANS32_DEP_3)
	v_exp_f32_e32 v81, v81
	v_cndmask_b32_e64 v80, 0, v69, s2
	v_fma_f32 v69, s18, v129, -v68
	v_mul_f32_e32 v70, 0x3fb8aa3b, v70
	s_delay_alu instid0(TRANS32_DEP_2)
	v_cndmask_b32_e64 v86, 0, v77, s5
	v_mul_f32_e32 v72, 0x3fb8aa3b, v72
	v_fma_f32 v77, s18, v101, -v68
	v_mul_f32_e32 v69, 0x3fb8aa3b, v69
	v_exp_f32_e32 v70, v70
	v_mul_f32_e32 v71, 0x3fb8aa3b, v71
	v_exp_f32_e32 v72, v72
	;; [unrolled: 2-line block ×3, first 2 shown]
	v_cmp_gt_u32_e64 s2, 16, v67
	v_exp_f32_e32 v82, v71
	s_delay_alu instid0(VALU_DEP_2) | instskip(SKIP_4) | instid1(TRANS32_DEP_3)
	v_exp_f32_e32 v77, v77
	v_cndmask_b32_e32 v76, 0, v70, vcc_lo
	v_add_f32_e32 v70, 0, v80
	v_cndmask_b32_e64 v85, 0, v72, s4
	v_fma_f32 v72, s18, v100, -v68
	v_cndmask_b32_e64 v87, 0, v69, s6
	s_delay_alu instid0(VALU_DEP_4) | instskip(NEXT) | instid1(VALU_DEP_3)
	v_add_f32_e32 v70, v70, v76
	v_mul_f32_e32 v72, 0x3fb8aa3b, v72
	s_delay_alu instid0(VALU_DEP_2) | instskip(NEXT) | instid1(VALU_DEP_2)
	v_add_f32_e32 v70, v70, v83
	v_exp_f32_e32 v72, v72
	s_delay_alu instid0(VALU_DEP_1) | instskip(NEXT) | instid1(VALU_DEP_1)
	v_add_f32_e32 v70, v70, v85
	v_add_f32_e32 v69, v70, v86
	v_fma_f32 v70, s18, v102, -v68
	s_delay_alu instid0(VALU_DEP_2) | instskip(NEXT) | instid1(VALU_DEP_2)
	v_dual_add_f32 v69, v69, v87 :: v_dual_mul_f32 v78, 0x3fb8aa3b, v78
	v_mul_f32_e32 v70, 0x3fb8aa3b, v70
	s_delay_alu instid0(VALU_DEP_2) | instskip(NEXT) | instid1(VALU_DEP_1)
	v_exp_f32_e32 v78, v78
	v_exp_f32_e32 v79, v70
	s_delay_alu instid0(TRANS32_DEP_3) | instskip(SKIP_4) | instid1(VALU_DEP_2)
	v_cndmask_b32_e64 v70, 0, v72, s9
	s_waitcnt_depctr 0xfff
	v_cndmask_b32_e64 v84, 0, v78, s7
	v_fma_f32 v78, s18, v103, -v68
	v_cndmask_b32_e64 v71, 0, v79, s11
	v_dual_add_f32 v69, v69, v84 :: v_dual_mul_f32 v78, 0x3fb8aa3b, v78
	s_delay_alu instid0(VALU_DEP_1) | instskip(NEXT) | instid1(VALU_DEP_2)
	v_add_f32_e32 v72, v69, v88
	v_exp_f32_e32 v78, v78
	v_cndmask_b32_e64 v69, 0, v77, s10
	v_fma_f32 v77, s18, v106, -v68
	s_delay_alu instid0(VALU_DEP_1) | instskip(NEXT) | instid1(VALU_DEP_1)
	v_dual_add_f32 v72, v72, v70 :: v_dual_mul_f32 v77, 0x3fb8aa3b, v77
	v_add_f32_e32 v79, v72, v69
	s_waitcnt_depctr 0xfff
	v_cndmask_b32_e64 v72, 0, v78, s12
	v_exp_f32_e32 v90, v77
	v_cndmask_b32_e64 v77, 0, v82, s13
	v_add_f32_e32 v78, v79, v71
	v_fma_f32 v79, s18, v107, -v68
	s_delay_alu instid0(VALU_DEP_1) | instskip(SKIP_1) | instid1(VALU_DEP_2)
	v_dual_add_f32 v82, v78, v72 :: v_dual_mul_f32 v79, 0x3fb8aa3b, v79
	v_cndmask_b32_e64 v78, 0, v81, s15
	v_add_f32_e32 v81, v82, v77
	s_delay_alu instid0(VALU_DEP_3) | instskip(NEXT) | instid1(TRANS32_DEP_2)
	v_exp_f32_e32 v82, v79
	v_cndmask_b32_e64 v79, 0, v90, s16
	s_delay_alu instid0(VALU_DEP_2) | instskip(NEXT) | instid1(VALU_DEP_1)
	v_add_f32_e32 v81, v81, v78
	v_add_f32_e32 v90, v81, v79
	s_waitcnt_depctr 0xfff
	v_cndmask_b32_e64 v81, 0, v82, s17
	s_delay_alu instid0(VALU_DEP_1)
	v_add_f32_e32 v82, v90, v81
	ds_bpermute_b32 v89, v89, v82
	s_and_saveexec_b32 s3, s2
	s_cbranch_execz .LBB1630_12
; %bb.11:
	v_mul_u32_u24_e32 v67, 0x44, v66
	s_delay_alu instid0(VALU_DEP_1) | instskip(SKIP_1) | instid1(VALU_DEP_1)
	v_lshl_add_u32 v67, v65, 2, v67
	s_waitcnt lgkmcnt(0)
	v_dual_add_f32 v82, v82, v89 :: v_dual_add_nc_u32 v67, 0x4000, v67
	ds_store_2addr_b32 v67, v68, v82 offset1:136
.LBB1630_12:
	s_or_b32 exec_lo, exec_lo, s3
	v_lshlrev_b32_e32 v67, 2, v65
	s_waitcnt lgkmcnt(0)
	s_barrier
	buffer_gl0_inv
	v_cmp_eq_u32_e32 vcc_lo, 1, v66
	v_add_nc_u32_e32 v82, 0x4000, v67
	v_cmp_eq_u32_e64 s3, 2, v66
	v_cmp_eq_u32_e64 s5, 7, v66
	ds_load_2addr_b32 v[89:90], v82 offset1:17
	ds_load_2addr_b32 v[91:92], v82 offset0:34 offset1:51
	ds_load_2addr_b32 v[93:94], v82 offset0:68 offset1:85
	ds_load_2addr_b32 v[95:96], v82 offset0:102 offset1:119
	ds_load_2addr_b32 v[97:98], v82 offset0:136 offset1:153
	s_waitcnt lgkmcnt(4)
	v_max3_f32 v67, v89, 0xff7fffff, v90
	s_waitcnt lgkmcnt(3)
	s_delay_alu instid0(VALU_DEP_1) | instskip(SKIP_1) | instid1(VALU_DEP_1)
	v_max3_f32 v67, v67, v91, v92
	s_waitcnt lgkmcnt(2)
	v_max3_f32 v67, v67, v93, v94
	s_waitcnt lgkmcnt(1)
	s_delay_alu instid0(VALU_DEP_1) | instskip(NEXT) | instid1(VALU_DEP_1)
	v_max3_f32 v67, v67, v95, v96
	v_sub_f32_e32 v93, v93, v67
	s_delay_alu instid0(VALU_DEP_1) | instskip(NEXT) | instid1(VALU_DEP_1)
	v_dual_sub_f32 v68, v89, v67 :: v_dual_mul_f32 v103, 0x3fb8aa3b, v93
	v_mul_f32_e32 v68, 0x3fb8aa3b, v68
	s_delay_alu instid0(VALU_DEP_1)
	v_exp_f32_e32 v100, v68
	v_sub_f32_e32 v68, v92, v67
	v_sub_f32_e32 v99, v90, v67
	ds_load_2addr_b32 v[89:90], v82 offset0:170 offset1:187
	v_dual_mul_f32 v102, 0x3fb8aa3b, v68 :: v_dual_mul_f32 v99, 0x3fb8aa3b, v99
	s_waitcnt lgkmcnt(1)
	v_fma_f32 v68, v100, v97, 0
	s_delay_alu instid0(VALU_DEP_2) | instskip(NEXT) | instid1(VALU_DEP_2)
	v_exp_f32_e32 v102, v102
	v_exp_f32_e32 v99, v99
	s_waitcnt_depctr 0xfff
	v_fmac_f32_e32 v68, v99, v98
	v_sub_f32_e32 v91, v91, v67
	s_delay_alu instid0(VALU_DEP_1)
	v_mul_f32_e32 v101, 0x3fb8aa3b, v91
	ds_load_2addr_b32 v[91:92], v82 offset0:204 offset1:221
	v_sub_f32_e32 v97, v94, v67
	ds_load_2addr_b32 v[93:94], v82 offset0:238 offset1:255
	s_waitcnt lgkmcnt(0)
	v_exp_f32_e32 v101, v101
	s_barrier
	buffer_gl0_inv
	v_dual_fmac_f32 v68, v101, v89 :: v_dual_sub_f32 v89, v96, v67
	v_dual_sub_f32 v82, v95, v67 :: v_dual_mul_f32 v95, 0x3fb8aa3b, v97
	v_exp_f32_e32 v97, v103
	s_delay_alu instid0(VALU_DEP_2) | instskip(NEXT) | instid1(VALU_DEP_2)
	v_dual_fmac_f32 v68, v102, v90 :: v_dual_mul_f32 v89, 0x3fb8aa3b, v89
	v_mul_f32_e32 v82, 0x3fb8aa3b, v82
	s_delay_alu instid0(VALU_DEP_3) | instskip(NEXT) | instid1(VALU_DEP_2)
	v_exp_f32_e32 v95, v95
	v_exp_f32_e32 v89, v89
	s_delay_alu instid0(VALU_DEP_1)
	v_exp_f32_e32 v82, v82
	v_fmac_f32_e32 v68, v97, v91
	s_delay_alu instid0(TRANS32_DEP_3) | instid1(VALU_DEP_1)
	v_fmac_f32_e32 v68, v95, v92
	s_waitcnt_depctr 0xfff
	v_fmac_f32_e32 v68, v82, v93
	s_delay_alu instid0(VALU_DEP_1) | instskip(NEXT) | instid1(VALU_DEP_1)
	v_fmac_f32_e32 v68, v89, v94
	v_add_f32_e32 v90, 0x358637bd, v68
	s_delay_alu instid0(VALU_DEP_1) | instskip(NEXT) | instid1(VALU_DEP_1)
	v_div_scale_f32 v91, null, v90, v90, 1.0
	v_rcp_f32_e32 v92, v91
	s_waitcnt_depctr 0xfff
	v_fma_f32 v93, -v91, v92, 1.0
	s_delay_alu instid0(VALU_DEP_1) | instskip(SKIP_1) | instid1(VALU_DEP_2)
	v_dual_fmac_f32 v92, v93, v92 :: v_dual_cndmask_b32 v93, v100, v99
	v_cmp_eq_u32_e32 vcc_lo, 3, v66
	v_cndmask_b32_e64 v93, v93, v101, s3
	v_cmp_eq_u32_e64 s3, 4, v66
	s_delay_alu instid0(VALU_DEP_2) | instskip(SKIP_1) | instid1(VALU_DEP_2)
	v_cndmask_b32_e32 v93, v93, v102, vcc_lo
	v_cmp_eq_u32_e32 vcc_lo, 5, v66
	v_cndmask_b32_e64 v93, v93, v97, s3
	v_cmp_eq_u32_e64 s3, 6, v66
	s_delay_alu instid0(VALU_DEP_2) | instskip(SKIP_1) | instid1(VALU_DEP_1)
	v_cndmask_b32_e32 v93, v93, v95, vcc_lo
	v_div_scale_f32 v94, s4, 1.0, v90, 1.0
	s_mov_b32 vcc_lo, s4
	s_delay_alu instid0(VALU_DEP_2) | instskip(NEXT) | instid1(VALU_DEP_2)
	v_cndmask_b32_e64 v82, v93, v82, s3
	v_mul_f32_e32 v96, v94, v92
	s_mov_b32 s3, exec_lo
	s_delay_alu instid0(VALU_DEP_2) | instskip(NEXT) | instid1(VALU_DEP_2)
	v_cndmask_b32_e64 v82, v82, v89, s5
	v_fma_f32 v98, -v91, v96, v94
	s_delay_alu instid0(VALU_DEP_1) | instskip(NEXT) | instid1(VALU_DEP_1)
	v_fmac_f32_e32 v96, v98, v92
	v_fma_f32 v91, -v91, v96, v94
	s_delay_alu instid0(VALU_DEP_1) | instskip(NEXT) | instid1(VALU_DEP_1)
	v_div_fmas_f32 v91, v91, v92, v96
	v_div_fixup_f32 v90, v91, v90, 1.0
	s_delay_alu instid0(VALU_DEP_1) | instskip(NEXT) | instid1(VALU_DEP_1)
	v_mul_f32_e32 v82, v82, v90
	v_mul_f32_e32 v87, v82, v87
	;; [unrolled: 1-line block ×7, first 2 shown]
	v_dual_mul_f32 v86, v82, v83 :: v_dual_and_b32 v91, 0x7f800000, v90
	v_mul_f32_e32 v85, v82, v76
                                        ; implicit-def: $vgpr76
	s_delay_alu instid0(VALU_DEP_2)
	v_cmpx_ne_u32_e32 0x7f800000, v91
	s_xor_b32 s3, exec_lo, s3
; %bb.13:
	v_bfe_u32 v76, v90, 16, 1
	s_delay_alu instid0(VALU_DEP_1)
	v_add3_u32 v76, v90, v76, 0x7fff
                                        ; implicit-def: $vgpr90
; %bb.14:
	s_and_not1_saveexec_b32 s3, s3
; %bb.15:
	v_and_b32_e32 v76, 0xffff, v90
	v_or_b32_e32 v83, 0x10000, v90
	s_delay_alu instid0(VALU_DEP_2) | instskip(NEXT) | instid1(VALU_DEP_2)
	v_cmp_eq_u32_e32 vcc_lo, 0, v76
	v_cndmask_b32_e32 v76, v83, v90, vcc_lo
; %bb.16:
	s_or_b32 exec_lo, exec_lo, s3
	v_and_b32_e32 v83, 0x7f800000, v85
	s_delay_alu instid0(VALU_DEP_1) | instskip(SKIP_1) | instid1(SALU_CYCLE_1)
	v_cmp_ne_u32_e32 vcc_lo, 0x7f800000, v83
                                        ; implicit-def: $vgpr83
	s_and_saveexec_b32 s3, vcc_lo
	s_xor_b32 s3, exec_lo, s3
; %bb.17:
	v_bfe_u32 v83, v85, 16, 1
	s_delay_alu instid0(VALU_DEP_1)
	v_add3_u32 v83, v85, v83, 0x7fff
                                        ; implicit-def: $vgpr85
; %bb.18:
	s_and_not1_saveexec_b32 s3, s3
; %bb.19:
	v_and_b32_e32 v83, 0xffff, v85
	v_or_b32_e32 v90, 0x10000, v85
	s_delay_alu instid0(VALU_DEP_2) | instskip(NEXT) | instid1(VALU_DEP_2)
	v_cmp_eq_u32_e32 vcc_lo, 0, v83
	v_cndmask_b32_e32 v83, v90, v85, vcc_lo
; %bb.20:
	s_or_b32 exec_lo, exec_lo, s3
	v_and_b32_e32 v85, 0x7f800000, v86
	s_delay_alu instid0(VALU_DEP_1) | instskip(SKIP_1) | instid1(SALU_CYCLE_1)
	v_cmp_ne_u32_e32 vcc_lo, 0x7f800000, v85
                                        ; implicit-def: $vgpr85
	s_and_saveexec_b32 s3, vcc_lo
	s_xor_b32 s3, exec_lo, s3
; %bb.21:
	v_bfe_u32 v85, v86, 16, 1
	s_delay_alu instid0(VALU_DEP_1)
	v_add3_u32 v85, v86, v85, 0x7fff
                                        ; implicit-def: $vgpr86
; %bb.22:
	s_and_not1_saveexec_b32 s3, s3
; %bb.23:
	v_and_b32_e32 v85, 0xffff, v86
	v_or_b32_e32 v90, 0x10000, v86
	s_delay_alu instid0(VALU_DEP_2) | instskip(NEXT) | instid1(VALU_DEP_2)
	v_cmp_eq_u32_e32 vcc_lo, 0, v85
	v_cndmask_b32_e32 v85, v90, v86, vcc_lo
; %bb.24:
	s_or_b32 exec_lo, exec_lo, s3
	v_and_b32_e32 v86, 0x7f800000, v89
	s_delay_alu instid0(VALU_DEP_1) | instskip(SKIP_1) | instid1(SALU_CYCLE_1)
	v_cmp_ne_u32_e32 vcc_lo, 0x7f800000, v86
                                        ; implicit-def: $vgpr86
	s_and_saveexec_b32 s3, vcc_lo
	s_xor_b32 s3, exec_lo, s3
; %bb.25:
	v_bfe_u32 v86, v89, 16, 1
	s_delay_alu instid0(VALU_DEP_1)
	v_add3_u32 v86, v89, v86, 0x7fff
                                        ; implicit-def: $vgpr89
; %bb.26:
	s_and_not1_saveexec_b32 s3, s3
; %bb.27:
	v_and_b32_e32 v86, 0xffff, v89
	v_or_b32_e32 v90, 0x10000, v89
	s_delay_alu instid0(VALU_DEP_2) | instskip(NEXT) | instid1(VALU_DEP_2)
	v_cmp_eq_u32_e32 vcc_lo, 0, v86
	v_cndmask_b32_e32 v86, v90, v89, vcc_lo
; %bb.28:
	s_or_b32 exec_lo, exec_lo, s3
	v_and_b32_e32 v89, 0x7f800000, v88
	s_delay_alu instid0(VALU_DEP_1) | instskip(SKIP_1) | instid1(SALU_CYCLE_1)
	v_cmp_ne_u32_e32 vcc_lo, 0x7f800000, v89
                                        ; implicit-def: $vgpr89
	s_and_saveexec_b32 s3, vcc_lo
	s_xor_b32 s3, exec_lo, s3
; %bb.29:
	v_bfe_u32 v89, v88, 16, 1
	s_delay_alu instid0(VALU_DEP_1)
	v_add3_u32 v89, v88, v89, 0x7fff
                                        ; implicit-def: $vgpr88
; %bb.30:
	s_and_not1_saveexec_b32 s3, s3
; %bb.31:
	v_and_b32_e32 v89, 0xffff, v88
	v_or_b32_e32 v90, 0x10000, v88
	s_delay_alu instid0(VALU_DEP_2) | instskip(NEXT) | instid1(VALU_DEP_2)
	v_cmp_eq_u32_e32 vcc_lo, 0, v89
	v_cndmask_b32_e32 v89, v90, v88, vcc_lo
; %bb.32:
	s_or_b32 exec_lo, exec_lo, s3
	v_and_b32_e32 v88, 0x7f800000, v87
	s_delay_alu instid0(VALU_DEP_1) | instskip(SKIP_1) | instid1(SALU_CYCLE_1)
	v_cmp_ne_u32_e32 vcc_lo, 0x7f800000, v88
                                        ; implicit-def: $vgpr88
	s_and_saveexec_b32 s3, vcc_lo
	s_xor_b32 s3, exec_lo, s3
; %bb.33:
	v_bfe_u32 v88, v87, 16, 1
	s_delay_alu instid0(VALU_DEP_1)
	v_add3_u32 v88, v87, v88, 0x7fff
                                        ; implicit-def: $vgpr87
; %bb.34:
	s_and_not1_saveexec_b32 s3, s3
; %bb.35:
	v_and_b32_e32 v88, 0xffff, v87
	v_or_b32_e32 v90, 0x10000, v87
	s_delay_alu instid0(VALU_DEP_2) | instskip(NEXT) | instid1(VALU_DEP_2)
	v_cmp_eq_u32_e32 vcc_lo, 0, v88
	v_cndmask_b32_e32 v88, v90, v87, vcc_lo
; %bb.36:
	s_or_b32 exec_lo, exec_lo, s3
	v_and_b32_e32 v87, 0x7f800000, v84
	s_delay_alu instid0(VALU_DEP_1) | instskip(SKIP_1) | instid1(SALU_CYCLE_1)
	v_cmp_ne_u32_e32 vcc_lo, 0x7f800000, v87
                                        ; implicit-def: $vgpr87
	s_and_saveexec_b32 s3, vcc_lo
	s_xor_b32 s3, exec_lo, s3
; %bb.37:
	v_bfe_u32 v87, v84, 16, 1
	s_delay_alu instid0(VALU_DEP_1)
	v_add3_u32 v87, v84, v87, 0x7fff
                                        ; implicit-def: $vgpr84
; %bb.38:
	s_and_not1_saveexec_b32 s3, s3
; %bb.39:
	v_and_b32_e32 v87, 0xffff, v84
	v_or_b32_e32 v90, 0x10000, v84
	s_delay_alu instid0(VALU_DEP_2) | instskip(NEXT) | instid1(VALU_DEP_2)
	v_cmp_eq_u32_e32 vcc_lo, 0, v87
	v_cndmask_b32_e32 v87, v90, v84, vcc_lo
; %bb.40:
	s_or_b32 exec_lo, exec_lo, s3
	v_and_b32_e32 v84, 0x7f800000, v80
	s_delay_alu instid0(VALU_DEP_1) | instskip(SKIP_1) | instid1(SALU_CYCLE_1)
	v_cmp_ne_u32_e32 vcc_lo, 0x7f800000, v84
                                        ; implicit-def: $vgpr84
	s_and_saveexec_b32 s3, vcc_lo
	s_xor_b32 s3, exec_lo, s3
; %bb.41:
	v_bfe_u32 v84, v80, 16, 1
	s_delay_alu instid0(VALU_DEP_1)
	v_add3_u32 v84, v80, v84, 0x7fff
                                        ; implicit-def: $vgpr80
; %bb.42:
	s_and_not1_saveexec_b32 s3, s3
; %bb.43:
	v_and_b32_e32 v84, 0xffff, v80
	v_or_b32_e32 v90, 0x10000, v80
	s_delay_alu instid0(VALU_DEP_2) | instskip(NEXT) | instid1(VALU_DEP_2)
	v_cmp_eq_u32_e32 vcc_lo, 0, v84
	v_cndmask_b32_e32 v84, v90, v80, vcc_lo
; %bb.44:
	s_or_b32 exec_lo, exec_lo, s3
	s_load_b64 s[34:35], s[0:1], 0x94
	v_lshlrev_b32_e32 v91, 4, v74
	s_delay_alu instid0(VALU_DEP_2)
	v_perm_b32 v90, v84, v87, 0x7060302
	v_dual_mul_f32 v79, v82, v79 :: v_dual_lshlrev_b32 v80, 6, v65
	v_dual_mul_f32 v77, v82, v77 :: v_dual_lshlrev_b32 v92, 11, v66
	v_mul_f32_e32 v84, v82, v70
	v_perm_b32 v89, v88, v89, 0x7060302
	v_perm_b32 v88, v86, v85, 0x7060302
	;; [unrolled: 1-line block ×3, first 2 shown]
	v_mul_f32_e32 v70, v82, v81
	v_or3_b32 v76, v91, v92, v80
	v_dual_mul_f32 v78, v82, v78 :: v_dual_and_b32 v85, 0x7f800000, v84
	v_mul_f32_e32 v83, v82, v72
	v_mul_f32_e32 v81, v82, v71
	;; [unrolled: 1-line block ×3, first 2 shown]
	s_mov_b32 s3, exec_lo
	ds_store_b128 v76, v[87:90]
                                        ; implicit-def: $vgpr69
	v_cmpx_ne_u32_e32 0x7f800000, v85
	s_xor_b32 s3, exec_lo, s3
; %bb.45:
	v_bfe_u32 v69, v84, 16, 1
	s_delay_alu instid0(VALU_DEP_1)
	v_add3_u32 v69, v84, v69, 0x7fff
                                        ; implicit-def: $vgpr84
; %bb.46:
	s_and_not1_saveexec_b32 s3, s3
; %bb.47:
	v_and_b32_e32 v69, 0xffff, v84
	v_or_b32_e32 v71, 0x10000, v84
	s_delay_alu instid0(VALU_DEP_2) | instskip(NEXT) | instid1(VALU_DEP_2)
	v_cmp_eq_u32_e32 vcc_lo, 0, v69
	v_cndmask_b32_e32 v69, v71, v84, vcc_lo
; %bb.48:
	s_or_b32 exec_lo, exec_lo, s3
	v_and_b32_e32 v71, 0x7f800000, v72
	s_delay_alu instid0(VALU_DEP_1) | instskip(SKIP_1) | instid1(SALU_CYCLE_1)
	v_cmp_ne_u32_e32 vcc_lo, 0x7f800000, v71
                                        ; implicit-def: $vgpr71
	s_and_saveexec_b32 s3, vcc_lo
	s_xor_b32 s3, exec_lo, s3
; %bb.49:
	v_bfe_u32 v71, v72, 16, 1
	s_delay_alu instid0(VALU_DEP_1)
	v_add3_u32 v71, v72, v71, 0x7fff
                                        ; implicit-def: $vgpr72
; %bb.50:
	s_and_not1_saveexec_b32 s3, s3
; %bb.51:
	v_and_b32_e32 v71, 0xffff, v72
	v_or_b32_e32 v82, 0x10000, v72
	s_delay_alu instid0(VALU_DEP_2) | instskip(NEXT) | instid1(VALU_DEP_2)
	v_cmp_eq_u32_e32 vcc_lo, 0, v71
	v_cndmask_b32_e32 v71, v82, v72, vcc_lo
; %bb.52:
	s_or_b32 exec_lo, exec_lo, s3
	v_and_b32_e32 v72, 0x7f800000, v81
	s_delay_alu instid0(VALU_DEP_1) | instskip(SKIP_1) | instid1(SALU_CYCLE_1)
	v_cmp_ne_u32_e32 vcc_lo, 0x7f800000, v72
                                        ; implicit-def: $vgpr72
	s_and_saveexec_b32 s3, vcc_lo
	s_xor_b32 s3, exec_lo, s3
; %bb.53:
	v_bfe_u32 v72, v81, 16, 1
	s_delay_alu instid0(VALU_DEP_1)
	v_add3_u32 v72, v81, v72, 0x7fff
                                        ; implicit-def: $vgpr81
; %bb.54:
	s_and_not1_saveexec_b32 s3, s3
; %bb.55:
	v_and_b32_e32 v72, 0xffff, v81
	v_or_b32_e32 v82, 0x10000, v81
	s_delay_alu instid0(VALU_DEP_2) | instskip(NEXT) | instid1(VALU_DEP_2)
	v_cmp_eq_u32_e32 vcc_lo, 0, v72
	v_cndmask_b32_e32 v72, v82, v81, vcc_lo
; %bb.56:
	s_or_b32 exec_lo, exec_lo, s3
	v_and_b32_e32 v81, 0x7f800000, v83
	s_delay_alu instid0(VALU_DEP_1) | instskip(SKIP_1) | instid1(SALU_CYCLE_1)
	v_cmp_ne_u32_e32 vcc_lo, 0x7f800000, v81
                                        ; implicit-def: $vgpr81
	s_and_saveexec_b32 s3, vcc_lo
	s_xor_b32 s3, exec_lo, s3
; %bb.57:
	v_bfe_u32 v81, v83, 16, 1
	s_delay_alu instid0(VALU_DEP_1)
	v_add3_u32 v81, v83, v81, 0x7fff
                                        ; implicit-def: $vgpr83
; %bb.58:
	s_and_not1_saveexec_b32 s3, s3
; %bb.59:
	v_and_b32_e32 v81, 0xffff, v83
	v_or_b32_e32 v82, 0x10000, v83
	s_delay_alu instid0(VALU_DEP_2) | instskip(NEXT) | instid1(VALU_DEP_2)
	v_cmp_eq_u32_e32 vcc_lo, 0, v81
	v_cndmask_b32_e32 v81, v82, v83, vcc_lo
; %bb.60:
	s_or_b32 exec_lo, exec_lo, s3
	v_and_b32_e32 v82, 0x7f800000, v77
	s_delay_alu instid0(VALU_DEP_1) | instskip(SKIP_1) | instid1(SALU_CYCLE_1)
	v_cmp_ne_u32_e32 vcc_lo, 0x7f800000, v82
                                        ; implicit-def: $vgpr82
	s_and_saveexec_b32 s3, vcc_lo
	s_xor_b32 s3, exec_lo, s3
; %bb.61:
	v_bfe_u32 v82, v77, 16, 1
	s_delay_alu instid0(VALU_DEP_1)
	v_add3_u32 v82, v77, v82, 0x7fff
                                        ; implicit-def: $vgpr77
; %bb.62:
	s_and_not1_saveexec_b32 s3, s3
; %bb.63:
	v_and_b32_e32 v82, 0xffff, v77
	v_or_b32_e32 v83, 0x10000, v77
	s_delay_alu instid0(VALU_DEP_2) | instskip(NEXT) | instid1(VALU_DEP_2)
	v_cmp_eq_u32_e32 vcc_lo, 0, v82
	v_cndmask_b32_e32 v82, v83, v77, vcc_lo
; %bb.64:
	s_or_b32 exec_lo, exec_lo, s3
	v_and_b32_e32 v77, 0x7f800000, v78
	s_delay_alu instid0(VALU_DEP_1) | instskip(SKIP_1) | instid1(SALU_CYCLE_1)
	v_cmp_ne_u32_e32 vcc_lo, 0x7f800000, v77
                                        ; implicit-def: $vgpr77
	s_and_saveexec_b32 s3, vcc_lo
	s_xor_b32 s3, exec_lo, s3
; %bb.65:
	v_bfe_u32 v77, v78, 16, 1
	s_delay_alu instid0(VALU_DEP_1)
	v_add3_u32 v77, v78, v77, 0x7fff
                                        ; implicit-def: $vgpr78
; %bb.66:
	s_and_not1_saveexec_b32 s3, s3
; %bb.67:
	v_and_b32_e32 v77, 0xffff, v78
	v_or_b32_e32 v83, 0x10000, v78
	s_delay_alu instid0(VALU_DEP_2) | instskip(NEXT) | instid1(VALU_DEP_2)
	v_cmp_eq_u32_e32 vcc_lo, 0, v77
	v_cndmask_b32_e32 v77, v83, v78, vcc_lo
; %bb.68:
	s_or_b32 exec_lo, exec_lo, s3
	v_and_b32_e32 v78, 0x7f800000, v79
	s_delay_alu instid0(VALU_DEP_1) | instskip(SKIP_1) | instid1(SALU_CYCLE_1)
	v_cmp_ne_u32_e32 vcc_lo, 0x7f800000, v78
                                        ; implicit-def: $vgpr78
	s_and_saveexec_b32 s3, vcc_lo
	s_xor_b32 s3, exec_lo, s3
; %bb.69:
	v_bfe_u32 v78, v79, 16, 1
	s_delay_alu instid0(VALU_DEP_1)
	v_add3_u32 v78, v79, v78, 0x7fff
                                        ; implicit-def: $vgpr79
; %bb.70:
	s_and_not1_saveexec_b32 s3, s3
; %bb.71:
	v_and_b32_e32 v78, 0xffff, v79
	v_or_b32_e32 v83, 0x10000, v79
	s_delay_alu instid0(VALU_DEP_2) | instskip(NEXT) | instid1(VALU_DEP_2)
	v_cmp_eq_u32_e32 vcc_lo, 0, v78
	v_cndmask_b32_e32 v78, v83, v79, vcc_lo
; %bb.72:
	s_or_b32 exec_lo, exec_lo, s3
	v_and_b32_e32 v79, 0x7f800000, v70
	s_delay_alu instid0(VALU_DEP_1) | instskip(SKIP_1) | instid1(SALU_CYCLE_1)
	v_cmp_ne_u32_e32 vcc_lo, 0x7f800000, v79
                                        ; implicit-def: $vgpr79
	s_and_saveexec_b32 s3, vcc_lo
	s_xor_b32 s3, exec_lo, s3
; %bb.73:
	v_bfe_u32 v79, v70, 16, 1
	s_delay_alu instid0(VALU_DEP_1)
	v_add3_u32 v79, v70, v79, 0x7fff
                                        ; implicit-def: $vgpr70
; %bb.74:
	s_and_not1_saveexec_b32 s3, s3
; %bb.75:
	v_and_b32_e32 v79, 0xffff, v70
	v_or_b32_e32 v83, 0x10000, v70
	s_delay_alu instid0(VALU_DEP_2) | instskip(NEXT) | instid1(VALU_DEP_2)
	v_cmp_eq_u32_e32 vcc_lo, 0, v79
	v_cndmask_b32_e32 v79, v83, v70, vcc_lo
; %bb.76:
	s_or_b32 exec_lo, exec_lo, s3
	s_delay_alu instid0(VALU_DEP_1)
	v_perm_b32 v86, v79, v78, 0x7060302
	v_perm_b32 v85, v77, v82, 0x7060302
	;; [unrolled: 1-line block ×4, first 2 shown]
	v_lshl_or_b32 v82, v66, 11, v80
	ds_store_b128 v76, v[83:86] offset:1024
	s_waitcnt lgkmcnt(0)
	s_barrier
	buffer_gl0_inv
	ds_load_b128 v[69:72], v82
	ds_load_b128 v[83:86], v82 offset:16
	s_waitcnt lgkmcnt(1)
	v_lshrrev_b32_e32 v66, 16, v69
	s_waitcnt lgkmcnt(0)
	v_lshrrev_b32_e32 v91, 16, v83
	v_lshlrev_b32_e32 v78, 2, v74
	v_lshrrev_b32_e32 v95, 16, v70
	v_lshrrev_b32_e32 v98, 16, v84
	;; [unrolled: 1-line block ×4, first 2 shown]
	v_cmp_eq_u32_e32 vcc_lo, 1, v78
	v_lshrrev_b32_e32 v97, 16, v72
	v_lshrrev_b32_e32 v100, 16, v86
	v_cndmask_b32_e32 v87, v83, v91, vcc_lo
	v_or_b32_e32 v79, 1, v78
	v_cndmask_b32_e32 v81, v69, v66, vcc_lo
	v_cmp_eq_u32_e64 s4, 2, v78
	v_cmp_eq_u32_e64 s7, 3, v78
	;; [unrolled: 1-line block ×5, first 2 shown]
	v_cndmask_b32_e64 v81, v81, v70, s4
	v_cndmask_b32_e64 v87, v87, v84, s4
	v_cmp_eq_u32_e64 s8, 3, v79
	v_cndmask_b32_e64 v88, v69, v66, s3
	v_or_b32_e32 v77, 2, v78
	v_cndmask_b32_e64 v81, v81, v95, s7
	v_cndmask_b32_e64 v87, v87, v98, s7
	;; [unrolled: 1-line block ×4, first 2 shown]
	v_cmp_eq_u32_e64 s10, 5, v78
	v_cndmask_b32_e64 v81, v81, v71, s9
	v_cndmask_b32_e64 v87, v87, v85, s9
	v_cmp_eq_u32_e64 s11, 4, v79
	v_cndmask_b32_e64 v88, v88, v95, s8
	v_cmp_eq_u32_e64 s5, 1, v77
	v_cndmask_b32_e64 v89, v89, v84, s6
	v_cndmask_b32_e64 v81, v81, v96, s10
	v_cmp_eq_u32_e64 s12, 6, v78
	v_cndmask_b32_e64 v88, v88, v71, s11
	;; [unrolled: 3-line block ×3, first 2 shown]
	v_cndmask_b32_e64 v89, v89, v98, s8
	v_cndmask_b32_e64 v81, v81, v72, s12
	v_cmp_eq_u32_e64 s15, 7, v78
	v_cndmask_b32_e64 v88, v88, v96, s13
	v_cndmask_b32_e64 v87, v87, v86, s12
	v_cmp_eq_u32_e64 s16, 6, v79
	v_cmp_eq_u32_e64 s17, 2, v77
	v_cndmask_b32_e64 v89, v89, v85, s11
	v_cndmask_b32_e64 v101, v81, v97, s15
	;; [unrolled: 1-line block ×6, first 2 shown]
	v_cmp_eq_u32_e64 s18, 7, v79
	v_cmp_eq_u32_e64 s19, 3, v77
	;; [unrolled: 1-line block ×4, first 2 shown]
	v_cndmask_b32_e64 v87, v87, v84, s17
	v_cndmask_b32_e64 v103, v88, v97, s18
	;; [unrolled: 1-line block ×4, first 2 shown]
	v_or_b32_e32 v81, 3, v78
	v_cndmask_b32_e64 v93, v87, v98, s19
	v_cmp_eq_u32_e64 s24, 6, v77
	v_cndmask_b32_e64 v104, v88, v86, s16
	v_cndmask_b32_e64 v92, v89, v71, s20
	v_cmp_eq_u32_e64 s21, 1, v81
	ds_load_b128 v[87:90], v82 offset:1024
	v_cmp_eq_u32_e64 s23, 2, v81
	v_cmp_eq_u32_e64 s25, 3, v81
	v_cndmask_b32_e64 v105, v92, v96, s22
	v_cndmask_b32_e64 v66, v69, v66, s21
	;; [unrolled: 1-line block ×4, first 2 shown]
	ds_load_b128 v[91:94], v82 offset:1040
	v_cmp_eq_u32_e64 s26, 4, v81
	v_cndmask_b32_e64 v66, v66, v70, s23
	v_cmp_eq_u32_e64 s27, 7, v77
	v_cndmask_b32_e64 v70, v83, v84, s23
	v_cndmask_b32_e64 v84, v105, v72, s24
	v_cmp_eq_u32_e64 s28, 5, v81
	v_cndmask_b32_e64 v66, v66, v95, s25
	v_cmp_eq_u32_e64 s29, 6, v81
	v_cndmask_b32_e64 v70, v70, v98, s25
	v_cndmask_b32_e64 v69, v69, v99, s22
	;; [unrolled: 1-line block ×4, first 2 shown]
	s_waitcnt lgkmcnt(1)
	v_lshrrev_b32_e32 v95, 16, v87
	v_cndmask_b32_e64 v70, v70, v85, s26
	v_cndmask_b32_e64 v71, v84, v97, s27
	;; [unrolled: 1-line block ×4, first 2 shown]
	v_cndmask_b32_e32 v84, v87, v95, vcc_lo
	v_cndmask_b32_e64 v70, v70, v99, s28
	s_waitcnt lgkmcnt(0)
	v_lshrrev_b32_e32 v85, 16, v91
	v_lshrrev_b32_e32 v96, 16, v88
	v_cndmask_b32_e64 v98, v87, v95, s3
	v_cndmask_b32_e64 v84, v84, v88, s4
	;; [unrolled: 1-line block ×3, first 2 shown]
	v_cndmask_b32_e32 v99, v91, v85, vcc_lo
	v_cmp_eq_u32_e32 vcc_lo, 7, v81
	v_cndmask_b32_e64 v66, v66, v72, s29
	v_cndmask_b32_e64 v72, v84, v96, s7
	;; [unrolled: 1-line block ×3, first 2 shown]
	v_lshrrev_b32_e32 v98, 16, v92
	v_cndmask_b32_e32 v70, v70, v100, vcc_lo
	v_cndmask_b32_e64 v86, v99, v92, s4
	v_cndmask_b32_e64 v69, v69, v100, s27
	v_lshrrev_b32_e32 v100, 16, v93
	v_cndmask_b32_e64 v72, v72, v89, s9
	v_lshrrev_b32_e32 v99, 16, v89
	v_cndmask_b32_e64 v86, v86, v98, s7
	v_perm_b32 v71, v69, v71, 0x5040100
	v_cndmask_b32_e64 v84, v84, v96, s8
	s_delay_alu instid0(VALU_DEP_3) | instskip(NEXT) | instid1(VALU_DEP_2)
	v_cndmask_b32_e64 v86, v86, v93, s9
	v_cndmask_b32_e64 v84, v84, v89, s11
	s_delay_alu instid0(VALU_DEP_2) | instskip(NEXT) | instid1(VALU_DEP_1)
	v_cndmask_b32_e64 v86, v86, v100, s10
	v_cndmask_b32_e64 v69, v86, v94, s12
	;; [unrolled: 1-line block ×5, first 2 shown]
	s_delay_alu instid0(VALU_DEP_3) | instskip(NEXT) | instid1(VALU_DEP_3)
	v_cndmask_b32_e64 v86, v86, v88, s17
	v_cndmask_b32_e64 v87, v87, v88, s23
	s_delay_alu instid0(VALU_DEP_3) | instskip(NEXT) | instid1(VALU_DEP_3)
	v_cndmask_b32_e64 v88, v95, v92, s23
	v_cndmask_b32_e64 v86, v86, v96, s19
	;; [unrolled: 3-line block ×7, first 2 shown]
	s_delay_alu instid0(VALU_DEP_3) | instskip(SKIP_2) | instid1(VALU_DEP_2)
	v_cndmask_b32_e64 v88, v88, v94, s29
	v_cndmask_b32_e32 v66, v66, v97, vcc_lo
	v_cndmask_b32_e64 v97, v72, v99, s10
	v_perm_b32 v72, v70, v66, 0x5040100
	v_perm_b32 v70, v83, v103, 0x5040100
	v_cndmask_b32_e64 v103, v91, v85, s5
	v_cndmask_b32_e64 v85, v91, v85, s3
	;; [unrolled: 1-line block ×4, first 2 shown]
	v_lshrrev_b32_e32 v97, 16, v90
	v_cndmask_b32_e64 v91, v103, v92, s17
	v_cndmask_b32_e64 v85, v85, v92, s6
	;; [unrolled: 1-line block ×3, first 2 shown]
	s_mov_b32 s3, exec_lo
	v_cndmask_b32_e64 v83, v84, v97, s15
	v_cndmask_b32_e64 v91, v91, v98, s19
	;; [unrolled: 1-line block ×3, first 2 shown]
	v_lshrrev_b32_e32 v84, 16, v94
	v_cndmask_b32_e64 v66, v66, v97, s18
	v_cndmask_b32_e64 v90, v86, v97, s27
	;; [unrolled: 1-line block ×4, first 2 shown]
	v_dual_cndmask_b32 v86, v87, v97 :: v_dual_cndmask_b32 v87, v88, v84
	v_cndmask_b32_e64 v91, v69, v84, s15
	s_delay_alu instid0(VALU_DEP_4) | instskip(NEXT) | instid1(VALU_DEP_4)
	v_cndmask_b32_e64 v89, v89, v100, s22
	v_cndmask_b32_e64 v85, v85, v100, s13
	v_perm_b32 v69, v102, v101, 0x5040100
	v_perm_b32 v86, v87, v86, 0x5040100
	;; [unrolled: 1-line block ×3, first 2 shown]
	v_cndmask_b32_e64 v89, v89, v94, s24
	v_cndmask_b32_e64 v85, v85, v94, s16
	s_mul_i32 s8, s35, 5
	s_delay_alu instid0(VALU_DEP_2) | instskip(NEXT) | instid1(VALU_DEP_2)
	v_cndmask_b32_e64 v88, v89, v84, s27
	v_cndmask_b32_e64 v89, v85, v84, s18
	s_delay_alu instid0(VALU_DEP_2) | instskip(NEXT) | instid1(VALU_DEP_2)
	v_perm_b32 v85, v88, v90, 0x5040100
	v_perm_b32 v84, v89, v66, 0x5040100
	ds_store_b128 v76, v[69:72]
	ds_store_b128 v76, v[83:86] offset:1024
	v_cmpx_gt_u32_e32 5, v0
	s_cbranch_execz .LBB1630_78
; %bb.77:
	s_mul_i32 s4, s8, s30
	s_delay_alu instid0(SALU_CYCLE_1) | instskip(SKIP_1) | instid1(VALU_DEP_1)
	v_add3_u32 v69, s4, s31, v65
	s_load_b128 s[4:7], s[0:1], 0x58
	v_mad_u64_u32 v[65:66], null, v69, s34, s[14:15]
	s_delay_alu instid0(VALU_DEP_1) | instskip(NEXT) | instid1(VALU_DEP_1)
	v_ashrrev_i32_e32 v66, 31, v65
	v_lshlrev_b64 v[65:66], 2, v[65:66]
	s_waitcnt lgkmcnt(0)
	s_delay_alu instid0(VALU_DEP_1) | instskip(NEXT) | instid1(VALU_DEP_2)
	v_add_co_u32 v69, vcc_lo, s6, v65
	v_add_co_ci_u32_e32 v70, vcc_lo, s7, v66, vcc_lo
	v_add_co_u32 v65, vcc_lo, s4, v65
	v_add_co_ci_u32_e32 v66, vcc_lo, s5, v66, vcc_lo
	global_store_b32 v[69:70], v67, off
	global_store_b32 v[65:66], v68, off
.LBB1630_78:
	s_or_b32 exec_lo, exec_lo, s3
	s_waitcnt lgkmcnt(0)
	s_waitcnt_vscnt null, 0x0
	s_barrier
	buffer_gl0_inv
	ds_load_b128 v[83:86], v80
	ds_load_b128 v[87:90], v80 offset:16
	ds_load_b128 v[95:98], v80 offset:2064
	;; [unrolled: 1-line block ×3, first 2 shown]
	v_mov_b32_e32 v65, 0
	ds_load_b128 v[103:106], v80 offset:4112
	ds_load_b128 v[99:102], v80 offset:4096
	ds_load_b128 v[111:114], v80 offset:6160
	ds_load_b128 v[107:110], v80 offset:6144
	v_mov_b32_e32 v66, v65
	v_mov_b32_e32 v67, v65
	;; [unrolled: 1-line block ×7, first 2 shown]
	s_waitcnt lgkmcnt(6)
	s_delay_alu instid0(VALU_DEP_1)
	v_wmma_f32_16x16x16_bf16 v[65:72], v[41:48], v[83:90], v[65:72]
	ds_load_b128 v[45:48], v80 offset:8208
	ds_load_b128 v[41:44], v80 offset:8192
	s_waitcnt lgkmcnt(6)
	v_wmma_f32_16x16x16_bf16 v[65:72], v[33:40], v[91:98], v[65:72]
	ds_load_b128 v[37:40], v80 offset:10256
	ds_load_b128 v[33:36], v80 offset:10240
	s_waitcnt lgkmcnt(6)
	;; [unrolled: 4-line block ×4, first 2 shown]
	v_wmma_f32_16x16x16_bf16 v[65:72], v[1:8], v[41:48], v[65:72]
	s_waitcnt lgkmcnt(4)
	s_delay_alu instid0(VALU_DEP_1) | instskip(SKIP_1) | instid1(VALU_DEP_1)
	v_wmma_f32_16x16x16_bf16 v[65:72], v[9:16], v[33:40], v[65:72]
	s_waitcnt lgkmcnt(2)
	v_wmma_f32_16x16x16_bf16 v[65:72], v[57:64], v[25:32], v[65:72]
	s_waitcnt lgkmcnt(0)
	s_delay_alu instid0(VALU_DEP_1) | instskip(NEXT) | instid1(VALU_DEP_1)
	v_wmma_f32_16x16x16_bf16 v[65:72], v[49:56], v[17:24], v[65:72]
	v_and_b32_e32 v1, 0x7f800000, v65
	s_delay_alu instid0(VALU_DEP_1) | instskip(SKIP_1) | instid1(SALU_CYCLE_1)
	v_cmp_ne_u32_e32 vcc_lo, 0x7f800000, v1
                                        ; implicit-def: $vgpr1
	s_and_saveexec_b32 s3, vcc_lo
	s_xor_b32 s3, exec_lo, s3
; %bb.79:
	v_bfe_u32 v1, v65, 16, 1
	s_delay_alu instid0(VALU_DEP_1)
	v_add3_u32 v1, v65, v1, 0x7fff
; %bb.80:
	s_and_not1_saveexec_b32 s3, s3
; %bb.81:
	v_and_b32_e32 v1, 0xffff, v65
	v_or_b32_e32 v2, 0x10000, v65
	s_delay_alu instid0(VALU_DEP_2) | instskip(NEXT) | instid1(VALU_DEP_2)
	v_cmp_eq_u32_e32 vcc_lo, 0, v1
	v_cndmask_b32_e32 v1, v2, v65, vcc_lo
; %bb.82:
	s_or_b32 exec_lo, exec_lo, s3
	v_and_b32_e32 v2, 0x7f800000, v66
	s_delay_alu instid0(VALU_DEP_1) | instskip(SKIP_1) | instid1(SALU_CYCLE_1)
	v_cmp_ne_u32_e32 vcc_lo, 0x7f800000, v2
                                        ; implicit-def: $vgpr2
	s_and_saveexec_b32 s3, vcc_lo
	s_xor_b32 s3, exec_lo, s3
; %bb.83:
	v_bfe_u32 v2, v66, 16, 1
	s_delay_alu instid0(VALU_DEP_1)
	v_add3_u32 v2, v66, v2, 0x7fff
; %bb.84:
	s_and_not1_saveexec_b32 s3, s3
; %bb.85:
	v_and_b32_e32 v2, 0xffff, v66
	v_or_b32_e32 v3, 0x10000, v66
	s_delay_alu instid0(VALU_DEP_2) | instskip(NEXT) | instid1(VALU_DEP_2)
	v_cmp_eq_u32_e32 vcc_lo, 0, v2
	v_cndmask_b32_e32 v2, v3, v66, vcc_lo
; %bb.86:
	s_or_b32 exec_lo, exec_lo, s3
	v_and_b32_e32 v3, 0x7f800000, v67
	s_delay_alu instid0(VALU_DEP_1) | instskip(SKIP_1) | instid1(SALU_CYCLE_1)
	v_cmp_ne_u32_e32 vcc_lo, 0x7f800000, v3
                                        ; implicit-def: $vgpr3
	s_and_saveexec_b32 s3, vcc_lo
	s_xor_b32 s3, exec_lo, s3
; %bb.87:
	v_bfe_u32 v3, v67, 16, 1
	s_delay_alu instid0(VALU_DEP_1)
	v_add3_u32 v3, v67, v3, 0x7fff
; %bb.88:
	s_and_not1_saveexec_b32 s3, s3
; %bb.89:
	v_and_b32_e32 v3, 0xffff, v67
	v_or_b32_e32 v4, 0x10000, v67
	s_delay_alu instid0(VALU_DEP_2) | instskip(NEXT) | instid1(VALU_DEP_2)
	v_cmp_eq_u32_e32 vcc_lo, 0, v3
	v_cndmask_b32_e32 v3, v4, v67, vcc_lo
; %bb.90:
	s_or_b32 exec_lo, exec_lo, s3
	v_and_b32_e32 v4, 0x7f800000, v68
	s_delay_alu instid0(VALU_DEP_1) | instskip(SKIP_1) | instid1(SALU_CYCLE_1)
	v_cmp_ne_u32_e32 vcc_lo, 0x7f800000, v4
                                        ; implicit-def: $vgpr4
	s_and_saveexec_b32 s3, vcc_lo
	s_xor_b32 s3, exec_lo, s3
; %bb.91:
	v_bfe_u32 v4, v68, 16, 1
	s_delay_alu instid0(VALU_DEP_1)
	v_add3_u32 v4, v68, v4, 0x7fff
; %bb.92:
	s_and_not1_saveexec_b32 s3, s3
; %bb.93:
	v_and_b32_e32 v4, 0xffff, v68
	v_or_b32_e32 v5, 0x10000, v68
	s_delay_alu instid0(VALU_DEP_2) | instskip(NEXT) | instid1(VALU_DEP_2)
	v_cmp_eq_u32_e32 vcc_lo, 0, v4
	v_cndmask_b32_e32 v4, v5, v68, vcc_lo
; %bb.94:
	s_or_b32 exec_lo, exec_lo, s3
	v_and_b32_e32 v5, 0x7f800000, v69
	s_delay_alu instid0(VALU_DEP_1) | instskip(SKIP_1) | instid1(SALU_CYCLE_1)
	v_cmp_ne_u32_e32 vcc_lo, 0x7f800000, v5
                                        ; implicit-def: $vgpr5
	s_and_saveexec_b32 s3, vcc_lo
	s_xor_b32 s3, exec_lo, s3
; %bb.95:
	v_bfe_u32 v5, v69, 16, 1
	s_delay_alu instid0(VALU_DEP_1)
	v_add3_u32 v5, v69, v5, 0x7fff
; %bb.96:
	s_and_not1_saveexec_b32 s3, s3
; %bb.97:
	v_and_b32_e32 v5, 0xffff, v69
	v_or_b32_e32 v6, 0x10000, v69
	s_delay_alu instid0(VALU_DEP_2) | instskip(NEXT) | instid1(VALU_DEP_2)
	v_cmp_eq_u32_e32 vcc_lo, 0, v5
	v_cndmask_b32_e32 v5, v6, v69, vcc_lo
; %bb.98:
	s_or_b32 exec_lo, exec_lo, s3
	v_and_b32_e32 v6, 0x7f800000, v70
	s_delay_alu instid0(VALU_DEP_1) | instskip(SKIP_1) | instid1(SALU_CYCLE_1)
	v_cmp_ne_u32_e32 vcc_lo, 0x7f800000, v6
                                        ; implicit-def: $vgpr6
	s_and_saveexec_b32 s3, vcc_lo
	s_xor_b32 s3, exec_lo, s3
; %bb.99:
	v_bfe_u32 v6, v70, 16, 1
	s_delay_alu instid0(VALU_DEP_1)
	v_add3_u32 v6, v70, v6, 0x7fff
; %bb.100:
	s_and_not1_saveexec_b32 s3, s3
; %bb.101:
	v_and_b32_e32 v6, 0xffff, v70
	v_or_b32_e32 v7, 0x10000, v70
	s_delay_alu instid0(VALU_DEP_2) | instskip(NEXT) | instid1(VALU_DEP_2)
	v_cmp_eq_u32_e32 vcc_lo, 0, v6
	v_cndmask_b32_e32 v6, v7, v70, vcc_lo
; %bb.102:
	s_or_b32 exec_lo, exec_lo, s3
	v_and_b32_e32 v7, 0x7f800000, v71
	s_delay_alu instid0(VALU_DEP_1) | instskip(SKIP_1) | instid1(SALU_CYCLE_1)
	v_cmp_ne_u32_e32 vcc_lo, 0x7f800000, v7
                                        ; implicit-def: $vgpr7
	s_and_saveexec_b32 s3, vcc_lo
	s_xor_b32 s3, exec_lo, s3
; %bb.103:
	v_bfe_u32 v7, v71, 16, 1
	s_delay_alu instid0(VALU_DEP_1)
	v_add3_u32 v7, v71, v7, 0x7fff
; %bb.104:
	s_and_not1_saveexec_b32 s3, s3
; %bb.105:
	v_and_b32_e32 v7, 0xffff, v71
	v_or_b32_e32 v8, 0x10000, v71
	s_delay_alu instid0(VALU_DEP_2) | instskip(NEXT) | instid1(VALU_DEP_2)
	v_cmp_eq_u32_e32 vcc_lo, 0, v7
	v_cndmask_b32_e32 v7, v8, v71, vcc_lo
; %bb.106:
	s_or_b32 exec_lo, exec_lo, s3
	v_and_b32_e32 v8, 0x7f800000, v72
	s_delay_alu instid0(VALU_DEP_1) | instskip(SKIP_1) | instid1(SALU_CYCLE_1)
	v_cmp_ne_u32_e32 vcc_lo, 0x7f800000, v8
                                        ; implicit-def: $vgpr8
	s_and_saveexec_b32 s3, vcc_lo
	s_xor_b32 s3, exec_lo, s3
; %bb.107:
	v_bfe_u32 v8, v72, 16, 1
	s_delay_alu instid0(VALU_DEP_1)
	v_add3_u32 v8, v72, v8, 0x7fff
                                        ; implicit-def: $vgpr65_vgpr66_vgpr67_vgpr68_vgpr69_vgpr70_vgpr71_vgpr72
; %bb.108:
	s_and_not1_saveexec_b32 s3, s3
; %bb.109:
	v_and_b32_e32 v8, 0xffff, v72
	v_or_b32_e32 v9, 0x10000, v72
	s_delay_alu instid0(VALU_DEP_2) | instskip(NEXT) | instid1(VALU_DEP_2)
	v_cmp_eq_u32_e32 vcc_lo, 0, v8
	v_cndmask_b32_e32 v8, v9, v72, vcc_lo
; %bb.110:
	s_or_b32 exec_lo, exec_lo, s3
	s_delay_alu instid0(VALU_DEP_1)
	v_perm_b32 v7, v8, v7, 0x7060302
	v_perm_b32 v6, v6, v5, 0x7060302
	;; [unrolled: 1-line block ×4, first 2 shown]
	s_barrier
	buffer_gl0_inv
	v_cmp_eq_u32_e32 vcc_lo, 1, v78
	ds_store_b128 v76, v[4:7]
	s_waitcnt lgkmcnt(0)
	s_barrier
	buffer_gl0_inv
	ds_load_b128 v[1:4], v82
	ds_load_b128 v[5:8], v82 offset:16
	v_cmp_eq_u32_e64 s3, 1, v79
	v_cmp_eq_u32_e64 s4, 2, v78
	;; [unrolled: 1-line block ×5, first 2 shown]
	s_waitcnt lgkmcnt(1)
	v_lshrrev_b32_e32 v9, 16, v1
	s_waitcnt lgkmcnt(0)
	v_lshrrev_b32_e32 v13, 16, v5
	v_lshrrev_b32_e32 v10, 16, v2
	;; [unrolled: 1-line block ×4, first 2 shown]
	v_cndmask_b32_e64 v19, v1, v9, s3
	v_cndmask_b32_e32 v18, v5, v13, vcc_lo
	v_cndmask_b32_e64 v20, v5, v13, s3
	v_cndmask_b32_e32 v17, v1, v9, vcc_lo
	v_cmp_eq_u32_e32 vcc_lo, 2, v79
	v_lshrrev_b32_e32 v15, 16, v7
	v_cmp_eq_u32_e64 s3, 1, v77
	v_lshrrev_b32_e32 v12, 16, v4
	v_lshrrev_b32_e32 v16, 16, v8
	v_cndmask_b32_e32 v20, v20, v6, vcc_lo
	v_cndmask_b32_e64 v17, v17, v2, s4
	v_cndmask_b32_e32 v19, v19, v2, vcc_lo
	v_cndmask_b32_e64 v18, v18, v6, s4
	v_cmp_eq_u32_e32 vcc_lo, 4, v78
	v_cmp_eq_u32_e64 s4, 3, v79
	v_cndmask_b32_e64 v17, v17, v10, s5
	v_cndmask_b32_e64 v21, v1, v9, s3
	;; [unrolled: 1-line block ×5, first 2 shown]
	v_cndmask_b32_e32 v17, v17, v3, vcc_lo
	v_cndmask_b32_e64 v20, v20, v14, s4
	v_cndmask_b32_e32 v18, v18, v7, vcc_lo
	v_cmp_eq_u32_e32 vcc_lo, 4, v79
	v_cmp_eq_u32_e64 s4, 5, v79
	v_cmp_eq_u32_e64 s3, 2, v81
	v_cndmask_b32_e64 v21, v21, v2, s7
	v_cmp_eq_u32_e64 s5, 5, v78
	v_cndmask_b32_e32 v19, v19, v3, vcc_lo
	v_cndmask_b32_e32 v20, v20, v7, vcc_lo
	v_cmp_eq_u32_e32 vcc_lo, 6, v79
	s_delay_alu instid0(VALU_DEP_4) | instskip(NEXT) | instid1(VALU_DEP_4)
	v_cndmask_b32_e64 v17, v17, v11, s5
	v_cndmask_b32_e64 v19, v19, v11, s4
	s_delay_alu instid0(VALU_DEP_4) | instskip(SKIP_1) | instid1(VALU_DEP_3)
	v_cndmask_b32_e64 v20, v20, v15, s4
	v_cmp_eq_u32_e64 s4, 1, v81
	v_cndmask_b32_e32 v19, v19, v4, vcc_lo
	v_cndmask_b32_e64 v18, v18, v15, s5
	s_delay_alu instid0(VALU_DEP_3)
	v_cndmask_b32_e64 v1, v1, v9, s4
	v_cndmask_b32_e64 v5, v5, v13, s4
	v_cmp_eq_u32_e64 s4, 3, v77
	v_cndmask_b32_e64 v13, v22, v6, s7
	v_cmp_eq_u32_e64 s7, 3, v81
	v_cndmask_b32_e64 v1, v1, v2, s3
	v_cndmask_b32_e64 v2, v5, v6, s3
	v_cndmask_b32_e64 v9, v21, v10, s4
	v_cmp_eq_u32_e64 s3, 4, v77
	v_cndmask_b32_e64 v6, v13, v14, s4
	v_cndmask_b32_e64 v1, v1, v10, s7
	v_cmp_eq_u32_e64 s4, 4, v81
	v_cndmask_b32_e64 v2, v2, v14, s7
	v_cndmask_b32_e64 v5, v9, v3, s3
	;; [unrolled: 3-line block ×3, first 2 shown]
	v_cndmask_b32_e64 v2, v2, v7, s4
	v_cmp_eq_u32_e64 s3, 5, v81
	v_cmp_eq_u32_e64 s5, 6, v78
	v_cndmask_b32_e64 v5, v5, v11, s7
	v_cmp_eq_u32_e64 s4, 6, v77
	v_cndmask_b32_e64 v3, v6, v15, s7
	v_cndmask_b32_e64 v1, v1, v11, s3
	v_cmp_eq_u32_e64 s7, 6, v81
	v_cndmask_b32_e64 v2, v2, v15, s3
	v_cndmask_b32_e64 v17, v17, v4, s5
	v_cndmask_b32_e64 v18, v18, v8, s5
	v_cmp_eq_u32_e64 s5, 7, v78
	v_cndmask_b32_e64 v5, v5, v4, s4
	;; [unrolled: 4-line block ×3, first 2 shown]
	v_cmp_eq_u32_e64 s4, 7, v77
	v_cndmask_b32_e32 v4, v20, v8, vcc_lo
	v_cndmask_b32_e64 v17, v17, v12, s5
	v_cndmask_b32_e64 v19, v19, v12, s6
	;; [unrolled: 1-line block ×8, first 2 shown]
	s_mov_b32 s3, exec_lo
	v_perm_b32 v4, v2, v1, 0x5040100
	v_perm_b32 v3, v3, v5, 0x5040100
	;; [unrolled: 1-line block ×4, first 2 shown]
	ds_store_b128 v76, v[1:4]
	s_waitcnt lgkmcnt(0)
	s_barrier
	buffer_gl0_inv
	v_cmpx_gt_u32_e32 32, v0
	s_cbranch_execz .LBB1630_2
; %bb.111:
	s_load_b64 s[4:5], s[0:1], 0x68
	v_lshlrev_b32_e32 v0, 10, v0
	v_add_nc_u32_e32 v2, s31, v74
	v_lshlrev_b32_e32 v3, 4, v75
	s_lshl_b32 s0, s34, 7
	s_delay_alu instid0(SALU_CYCLE_1) | instskip(NEXT) | instid1(VALU_DEP_2)
	s_mul_i32 s1, s0, s30
	v_mul_lo_u32 v1, v2, s0
	s_delay_alu instid0(VALU_DEP_2) | instskip(SKIP_2) | instid1(SALU_CYCLE_1)
	v_and_or_b32 v0, 0x3800, v0, v3
	v_add_nc_u32_e32 v2, 2, v2
	s_mul_i32 s6, s1, s8
	s_ashr_i32 s7, s6, 31
	s_delay_alu instid0(VALU_DEP_2)
	v_lshl_or_b32 v7, v74, 6, v0
	s_lshl_b64 s[6:7], s[6:7], 1
	v_mul_lo_u32 v11, v2, s0
	v_ashrrev_i32_e32 v2, 31, v1
	ds_load_b128 v[3:6], v7
	ds_load_b128 v[7:10], v7 offset:128
	s_waitcnt lgkmcnt(0)
	s_add_u32 s1, s4, s6
	s_addc_u32 s3, s5, s7
	s_lshl_b32 s4, s14, 7
	v_ashrrev_i32_e32 v12, 31, v11
	s_ashr_i32 s5, s4, 31
	v_lshlrev_b64 v[13:14], 1, v[1:2]
	s_lshl_b64 s[4:5], s[4:5], 1
	s_delay_alu instid0(SALU_CYCLE_1) | instskip(SKIP_2) | instid1(VALU_DEP_1)
	s_add_u32 s1, s1, s4
	s_addc_u32 s3, s3, s5
	v_add_co_u32 v1, s1, s1, v73
	v_add_co_ci_u32_e64 v2, null, s3, 0, s1
	v_lshlrev_b64 v[11:12], 1, v[11:12]
	s_delay_alu instid0(VALU_DEP_3) | instskip(NEXT) | instid1(VALU_DEP_3)
	v_add_co_u32 v13, vcc_lo, v1, v13
	v_add_co_ci_u32_e32 v14, vcc_lo, v2, v14, vcc_lo
	s_delay_alu instid0(VALU_DEP_3) | instskip(NEXT) | instid1(VALU_DEP_4)
	v_add_co_u32 v11, vcc_lo, v1, v11
	v_add_co_ci_u32_e32 v12, vcc_lo, v2, v12, vcc_lo
	s_clause 0x1
	global_store_b128 v[13:14], v[3:6], off
	global_store_b128 v[11:12], v[7:10], off
	s_and_b32 exec_lo, exec_lo, s2
	s_cbranch_execz .LBB1630_2
; %bb.112:
	ds_load_b128 v[3:6], v0 offset:256
	s_add_i32 s1, s31, 4
	s_delay_alu instid0(SALU_CYCLE_1) | instskip(NEXT) | instid1(SALU_CYCLE_1)
	s_mul_i32 s0, s1, s0
	s_ashr_i32 s1, s0, 31
	s_delay_alu instid0(SALU_CYCLE_1) | instskip(NEXT) | instid1(SALU_CYCLE_1)
	s_lshl_b64 s[0:1], s[0:1], 1
	v_add_co_u32 v0, vcc_lo, v1, s0
	v_add_co_ci_u32_e32 v1, vcc_lo, s1, v2, vcc_lo
	s_waitcnt lgkmcnt(0)
	global_store_b128 v[0:1], v[3:6], off
	s_nop 0
	s_sendmsg sendmsg(MSG_DEALLOC_VGPRS)
	s_endpgm
	.section	.rodata,"a",@progbits
	.p2align	6, 0x0
	.amdhsa_kernel _Z39paged_attention_ll4mi_QKV_mfma16_kernelI14__hip_bfloat16hLN4vllm18Fp8KVCacheDataTypeE1ES0_Li32ELi128ELi256ELb1ELi5EL8MFMAType1EEvPKT_PKT0_S9_ifPKiSB_SB_iPKfiiiPfSE_PS4_PT2_iSD_SD_
		.amdhsa_group_segment_fixed_size 17472
		.amdhsa_private_segment_fixed_size 0
		.amdhsa_kernarg_size 400
		.amdhsa_user_sgpr_count 13
		.amdhsa_user_sgpr_dispatch_ptr 0
		.amdhsa_user_sgpr_queue_ptr 0
		.amdhsa_user_sgpr_kernarg_segment_ptr 1
		.amdhsa_user_sgpr_dispatch_id 0
		.amdhsa_user_sgpr_private_segment_size 0
		.amdhsa_wavefront_size32 1
		.amdhsa_uses_dynamic_stack 0
		.amdhsa_enable_private_segment 0
		.amdhsa_system_sgpr_workgroup_id_x 1
		.amdhsa_system_sgpr_workgroup_id_y 1
		.amdhsa_system_sgpr_workgroup_id_z 1
		.amdhsa_system_sgpr_workgroup_info 0
		.amdhsa_system_vgpr_workitem_id 0
		.amdhsa_next_free_vgpr 140
		.amdhsa_next_free_sgpr 36
		.amdhsa_reserve_vcc 1
		.amdhsa_float_round_mode_32 0
		.amdhsa_float_round_mode_16_64 0
		.amdhsa_float_denorm_mode_32 3
		.amdhsa_float_denorm_mode_16_64 3
		.amdhsa_dx10_clamp 1
		.amdhsa_ieee_mode 1
		.amdhsa_fp16_overflow 0
		.amdhsa_workgroup_processor_mode 1
		.amdhsa_memory_ordered 1
		.amdhsa_forward_progress 0
		.amdhsa_shared_vgpr_count 0
		.amdhsa_exception_fp_ieee_invalid_op 0
		.amdhsa_exception_fp_denorm_src 0
		.amdhsa_exception_fp_ieee_div_zero 0
		.amdhsa_exception_fp_ieee_overflow 0
		.amdhsa_exception_fp_ieee_underflow 0
		.amdhsa_exception_fp_ieee_inexact 0
		.amdhsa_exception_int_div_zero 0
	.end_amdhsa_kernel
	.section	.text._Z39paged_attention_ll4mi_QKV_mfma16_kernelI14__hip_bfloat16hLN4vllm18Fp8KVCacheDataTypeE1ES0_Li32ELi128ELi256ELb1ELi5EL8MFMAType1EEvPKT_PKT0_S9_ifPKiSB_SB_iPKfiiiPfSE_PS4_PT2_iSD_SD_,"axG",@progbits,_Z39paged_attention_ll4mi_QKV_mfma16_kernelI14__hip_bfloat16hLN4vllm18Fp8KVCacheDataTypeE1ES0_Li32ELi128ELi256ELb1ELi5EL8MFMAType1EEvPKT_PKT0_S9_ifPKiSB_SB_iPKfiiiPfSE_PS4_PT2_iSD_SD_,comdat
.Lfunc_end1630:
	.size	_Z39paged_attention_ll4mi_QKV_mfma16_kernelI14__hip_bfloat16hLN4vllm18Fp8KVCacheDataTypeE1ES0_Li32ELi128ELi256ELb1ELi5EL8MFMAType1EEvPKT_PKT0_S9_ifPKiSB_SB_iPKfiiiPfSE_PS4_PT2_iSD_SD_, .Lfunc_end1630-_Z39paged_attention_ll4mi_QKV_mfma16_kernelI14__hip_bfloat16hLN4vllm18Fp8KVCacheDataTypeE1ES0_Li32ELi128ELi256ELb1ELi5EL8MFMAType1EEvPKT_PKT0_S9_ifPKiSB_SB_iPKfiiiPfSE_PS4_PT2_iSD_SD_
                                        ; -- End function
	.section	.AMDGPU.csdata,"",@progbits
; Kernel info:
; codeLenInByte = 8916
; NumSgprs: 38
; NumVgprs: 140
; ScratchSize: 0
; MemoryBound: 0
; FloatMode: 240
; IeeeMode: 1
; LDSByteSize: 17472 bytes/workgroup (compile time only)
; SGPRBlocks: 4
; VGPRBlocks: 17
; NumSGPRsForWavesPerEU: 38
; NumVGPRsForWavesPerEU: 140
; Occupancy: 10
; WaveLimiterHint : 1
; COMPUTE_PGM_RSRC2:SCRATCH_EN: 0
; COMPUTE_PGM_RSRC2:USER_SGPR: 13
; COMPUTE_PGM_RSRC2:TRAP_HANDLER: 0
; COMPUTE_PGM_RSRC2:TGID_X_EN: 1
; COMPUTE_PGM_RSRC2:TGID_Y_EN: 1
; COMPUTE_PGM_RSRC2:TGID_Z_EN: 1
; COMPUTE_PGM_RSRC2:TIDIG_COMP_CNT: 0
	.section	.text._Z39paged_attention_ll4mi_QKV_mfma16_kernelI14__hip_bfloat16hLN4vllm18Fp8KVCacheDataTypeE1ES0_Li32ELi128ELi256ELb1ELi6EL8MFMAType1EEvPKT_PKT0_S9_ifPKiSB_SB_iPKfiiiPfSE_PS4_PT2_iSD_SD_,"axG",@progbits,_Z39paged_attention_ll4mi_QKV_mfma16_kernelI14__hip_bfloat16hLN4vllm18Fp8KVCacheDataTypeE1ES0_Li32ELi128ELi256ELb1ELi6EL8MFMAType1EEvPKT_PKT0_S9_ifPKiSB_SB_iPKfiiiPfSE_PS4_PT2_iSD_SD_,comdat
	.protected	_Z39paged_attention_ll4mi_QKV_mfma16_kernelI14__hip_bfloat16hLN4vllm18Fp8KVCacheDataTypeE1ES0_Li32ELi128ELi256ELb1ELi6EL8MFMAType1EEvPKT_PKT0_S9_ifPKiSB_SB_iPKfiiiPfSE_PS4_PT2_iSD_SD_ ; -- Begin function _Z39paged_attention_ll4mi_QKV_mfma16_kernelI14__hip_bfloat16hLN4vllm18Fp8KVCacheDataTypeE1ES0_Li32ELi128ELi256ELb1ELi6EL8MFMAType1EEvPKT_PKT0_S9_ifPKiSB_SB_iPKfiiiPfSE_PS4_PT2_iSD_SD_
	.globl	_Z39paged_attention_ll4mi_QKV_mfma16_kernelI14__hip_bfloat16hLN4vllm18Fp8KVCacheDataTypeE1ES0_Li32ELi128ELi256ELb1ELi6EL8MFMAType1EEvPKT_PKT0_S9_ifPKiSB_SB_iPKfiiiPfSE_PS4_PT2_iSD_SD_
	.p2align	8
	.type	_Z39paged_attention_ll4mi_QKV_mfma16_kernelI14__hip_bfloat16hLN4vllm18Fp8KVCacheDataTypeE1ES0_Li32ELi128ELi256ELb1ELi6EL8MFMAType1EEvPKT_PKT0_S9_ifPKiSB_SB_iPKfiiiPfSE_PS4_PT2_iSD_SD_,@function
_Z39paged_attention_ll4mi_QKV_mfma16_kernelI14__hip_bfloat16hLN4vllm18Fp8KVCacheDataTypeE1ES0_Li32ELi128ELi256ELb1ELi6EL8MFMAType1EEvPKT_PKT0_S9_ifPKiSB_SB_iPKfiiiPfSE_PS4_PT2_iSD_SD_: ; @_Z39paged_attention_ll4mi_QKV_mfma16_kernelI14__hip_bfloat16hLN4vllm18Fp8KVCacheDataTypeE1ES0_Li32ELi128ELi256ELb1ELi6EL8MFMAType1EEvPKT_PKT0_S9_ifPKiSB_SB_iPKfiiiPfSE_PS4_PT2_iSD_SD_
; %bb.0:
	s_load_b64 s[4:5], s[0:1], 0x30
	s_mov_b32 s30, s13
	s_waitcnt lgkmcnt(0)
	s_cmp_lg_u64 s[4:5], 0
	s_cselect_b32 s13, -1, 0
	s_ashr_i32 s31, s30, 31
	s_cmp_eq_u64 s[4:5], 0
	s_cbranch_scc1 .LBB1631_3
; %bb.1:
	s_lshl_b64 s[2:3], s[30:31], 2
	s_delay_alu instid0(SALU_CYCLE_1) | instskip(SKIP_4) | instid1(SALU_CYCLE_1)
	s_add_u32 s2, s4, s2
	s_addc_u32 s3, s5, s3
	s_load_b64 s[2:3], s[2:3], 0x0
	s_waitcnt lgkmcnt(0)
	s_sub_i32 s2, s3, s2
	s_cmp_eq_u32 s2, 1
	s_cselect_b32 s2, -1, 0
	s_delay_alu instid0(SALU_CYCLE_1)
	s_and_not1_b32 vcc_lo, exec_lo, s2
	s_cbranch_vccz .LBB1631_4
.LBB1631_2:
	s_endpgm
.LBB1631_3:
.LBB1631_4:
	s_load_b64 s[2:3], s[0:1], 0x28
	s_lshl_b64 s[6:7], s[30:31], 2
	s_waitcnt lgkmcnt(0)
	s_add_u32 s2, s2, s6
	s_addc_u32 s3, s3, s7
	s_lshl_b32 s12, s14, 8
	s_load_b32 s17, s[2:3], 0x0
	s_waitcnt lgkmcnt(0)
	s_cmp_ge_i32 s12, s17
	s_cbranch_scc1 .LBB1631_2
; %bb.5:
	s_clause 0x1
	s_load_b128 s[8:11], s[0:1], 0x8
	s_load_b64 s[2:3], s[0:1], 0x20
	s_and_not1_b32 vcc_lo, exec_lo, s13
	s_cbranch_vccnz .LBB1631_7
; %bb.6:
	s_add_u32 s4, s4, s6
	s_addc_u32 s5, s5, s7
	s_load_b32 s13, s[4:5], 0x0
	s_branch .LBB1631_8
.LBB1631_7:
	s_mov_b32 s13, s30
.LBB1631_8:
	s_load_b128 s[4:7], s[0:1], 0x48
	v_and_b32_e32 v65, 15, v0
	v_lshrrev_b32_e32 v66, 5, v0
	v_and_b32_e32 v67, 31, v0
	v_and_b32_e32 v75, 1, v0
	v_bfe_u32 v74, v0, 4, 1
	v_lshlrev_b32_e32 v1, 3, v65
	s_mul_i32 s29, s15, 6
	s_waitcnt lgkmcnt(0)
	s_mov_b32 s7, exec_lo
	s_delay_alu instid0(VALU_DEP_1)
	v_lshlrev_b32_e32 v73, 1, v1
	v_cmpx_gt_u32_e32 0x60, v0
	s_cbranch_execz .LBB1631_10
; %bb.9:
	s_load_b64 s[18:19], s[0:1], 0x0
	v_lshl_or_b32 v5, v66, 1, v74
	s_mul_hi_i32 s21, s13, s4
	s_mul_i32 s20, s13, s4
	v_lshlrev_b32_e32 v6, 10, v65
	s_lshl_b64 s[20:21], s[20:21], 1
	v_add_lshl_u32 v1, v5, s29, 7
	v_lshlrev_b32_e32 v5, 6, v5
	v_lshlrev_b32_e32 v7, 10, v75
	v_and_b32_e32 v6, 0x3800, v6
	s_delay_alu instid0(VALU_DEP_4) | instskip(NEXT) | instid1(VALU_DEP_2)
	v_ashrrev_i32_e32 v2, 31, v1
	v_or3_b32 v5, v6, v7, v5
	s_delay_alu instid0(VALU_DEP_2) | instskip(SKIP_3) | instid1(VALU_DEP_1)
	v_lshlrev_b64 v[1:2], 1, v[1:2]
	s_waitcnt lgkmcnt(0)
	s_add_u32 s4, s18, s20
	s_addc_u32 s13, s19, s21
	v_add_co_u32 v1, vcc_lo, s4, v1
	s_delay_alu instid0(VALU_DEP_2) | instskip(NEXT) | instid1(VALU_DEP_2)
	v_add_co_ci_u32_e32 v2, vcc_lo, s13, v2, vcc_lo
	v_add_co_u32 v1, vcc_lo, v1, v73
	s_delay_alu instid0(VALU_DEP_2)
	v_add_co_ci_u32_e32 v2, vcc_lo, 0, v2, vcc_lo
	global_load_b128 v[1:4], v[1:2], off
	s_waitcnt vmcnt(0)
	ds_store_b128 v5, v[1:4]
.LBB1631_10:
	s_or_b32 exec_lo, exec_lo, s7
	v_and_b32_e32 v1, 0xef, v0
	s_add_i32 s4, s17, 31
	s_clause 0x1
	s_load_b32 s7, s[0:1], 0x38
	s_load_b32 s18, s[0:1], 0x1c
	s_ashr_i32 s13, s4, 31
	v_add_nc_u32_e32 v2, s12, v1
	s_lshr_b32 s13, s13, 27
	s_waitcnt lgkmcnt(0)
	s_add_i32 s4, s4, s13
	s_barrier
	v_ashrrev_i32_e32 v1, 31, v2
	s_ashr_i32 s4, s4, 5
	v_cmp_gt_i32_e32 vcc_lo, s17, v2
	s_add_i32 s4, s4, -1
	buffer_gl0_inv
	v_lshrrev_b32_e32 v3, 27, v1
	v_or_b32_e32 v1, 16, v2
	s_mul_i32 s15, s15, s6
	s_delay_alu instid0(VALU_DEP_2) | instskip(SKIP_1) | instid1(SALU_CYCLE_1)
	v_add_nc_u32_e32 v4, v2, v3
	s_mul_i32 s20, s30, s7
	s_ashr_i32 s21, s20, 31
	s_delay_alu instid0(VALU_DEP_1) | instskip(SKIP_2) | instid1(SALU_CYCLE_1)
	v_ashrrev_i32_e32 v4, 5, v4
	v_add_nc_u32_e32 v3, v1, v3
	s_lshl_b64 s[20:21], s[20:21], 2
	s_add_u32 s7, s2, s20
	s_delay_alu instid0(VALU_DEP_2) | instskip(NEXT) | instid1(VALU_DEP_2)
	v_cndmask_b32_e32 v2, s4, v4, vcc_lo
	v_ashrrev_i32_e32 v3, 5, v3
	v_cmp_gt_i32_e32 vcc_lo, s17, v1
	s_addc_u32 s13, s3, s21
	s_ashr_i32 s6, s15, 31
	s_add_u32 s2, s8, s15
	s_addc_u32 s3, s9, s6
	v_cndmask_b32_e32 v4, s4, v3, vcc_lo
	v_ashrrev_i32_e32 v3, 31, v2
	s_lshl_b32 s8, s14, 3
	s_delay_alu instid0(SALU_CYCLE_1) | instskip(NEXT) | instid1(VALU_DEP_2)
	s_ashr_i32 s9, s8, 31
	v_ashrrev_i32_e32 v5, 31, v4
	s_delay_alu instid0(VALU_DEP_2) | instskip(SKIP_1) | instid1(SALU_CYCLE_1)
	v_lshlrev_b64 v[1:2], 2, v[2:3]
	s_lshl_b64 s[8:9], s[8:9], 2
	s_add_u32 s8, s7, s8
	s_delay_alu instid0(VALU_DEP_2) | instskip(SKIP_1) | instid1(VALU_DEP_2)
	v_lshlrev_b64 v[3:4], 2, v[4:5]
	s_addc_u32 s9, s13, s9
	v_add_co_u32 v1, vcc_lo, s7, v1
	v_add_co_ci_u32_e32 v2, vcc_lo, s13, v2, vcc_lo
	s_delay_alu instid0(VALU_DEP_3) | instskip(NEXT) | instid1(VALU_DEP_4)
	v_add_co_u32 v3, vcc_lo, s7, v3
	v_add_co_ci_u32_e32 v4, vcc_lo, s13, v4, vcc_lo
	s_clause 0x1
	global_load_b32 v5, v[1:2], off
	global_load_b32 v6, v[3:4], off
	s_or_b32 s16, s12, 32
	s_delay_alu instid0(SALU_CYCLE_1) | instskip(SKIP_2) | instid1(SALU_CYCLE_1)
	s_ashr_i32 s19, s16, 5
	s_cmp_lt_i32 s16, s17
	s_cselect_b32 s20, s19, s4
	s_ashr_i32 s21, s20, 31
	s_delay_alu instid0(SALU_CYCLE_1) | instskip(NEXT) | instid1(SALU_CYCLE_1)
	s_lshl_b64 s[20:21], s[20:21], 2
	s_add_u32 s20, s7, s20
	s_addc_u32 s21, s13, s21
	s_or_b32 s16, s12, 64
	s_delay_alu instid0(SALU_CYCLE_1) | instskip(SKIP_2) | instid1(SALU_CYCLE_1)
	s_ashr_i32 s19, s16, 5
	s_cmp_lt_i32 s16, s17
	s_cselect_b32 s22, s19, s4
	s_ashr_i32 s23, s22, 31
	s_delay_alu instid0(SALU_CYCLE_1) | instskip(NEXT) | instid1(SALU_CYCLE_1)
	s_lshl_b64 s[22:23], s[22:23], 2
	s_add_u32 s22, s7, s22
	s_addc_u32 s23, s13, s23
	;; [unrolled: 10-line block ×5, first 2 shown]
	s_clause 0x5
	s_load_b32 s16, s[8:9], 0x0
	s_load_b32 s19, s[20:21], 0x0
	;; [unrolled: 1-line block ×6, first 2 shown]
	s_mov_b32 s20, 0
	s_delay_alu instid0(SALU_CYCLE_1)
	s_mov_b32 s21, s20
	s_mov_b32 s22, s20
	;; [unrolled: 1-line block ×7, first 2 shown]
	s_delay_alu instid0(SALU_CYCLE_1)
	v_dual_mov_b32 v107, s27 :: v_dual_mov_b32 v106, s26
	v_dual_mov_b32 v105, s25 :: v_dual_mov_b32 v102, s22
	;; [unrolled: 1-line block ×4, first 2 shown]
	s_waitcnt vmcnt(1)
	v_mad_i64_i32 v[1:2], null, v5, s5, s[2:3]
	v_lshlrev_b32_e32 v5, 4, v65
	s_waitcnt vmcnt(0)
	v_mad_i64_i32 v[3:4], null, v6, s5, s[2:3]
	s_or_b32 s2, s12, 0xc0
	s_delay_alu instid0(SALU_CYCLE_1) | instskip(NEXT) | instid1(VALU_DEP_3)
	s_ashr_i32 s3, s2, 5
	v_add_co_u32 v25, vcc_lo, v1, v5
	s_delay_alu instid0(VALU_DEP_4) | instskip(NEXT) | instid1(VALU_DEP_3)
	v_add_co_ci_u32_e32 v26, vcc_lo, 0, v2, vcc_lo
	v_add_co_u32 v27, vcc_lo, v3, v5
	s_delay_alu instid0(VALU_DEP_4)
	v_add_co_ci_u32_e32 v28, vcc_lo, 0, v4, vcc_lo
	s_clause 0xf
	global_load_b128 v[1:4], v[25:26], off
	global_load_b128 v[5:8], v[25:26], off offset:512
	global_load_b128 v[9:12], v[27:28], off offset:256
	global_load_b128 v[13:16], v[27:28], off offset:768
	global_load_b128 v[17:20], v[25:26], off offset:1024
	global_load_b128 v[21:24], v[25:26], off offset:1536
	global_load_b128 v[49:52], v[27:28], off offset:1280
	global_load_b128 v[53:56], v[27:28], off offset:1792
	global_load_b128 v[57:60], v[25:26], off offset:2048
	global_load_b128 v[61:64], v[25:26], off offset:2560
	global_load_b128 v[76:79], v[27:28], off offset:2304
	global_load_b128 v[80:83], v[27:28], off offset:2816
	global_load_b128 v[84:87], v[25:26], off offset:3072
	global_load_b128 v[88:91], v[25:26], off offset:3584
	global_load_b128 v[92:95], v[27:28], off offset:3328
	global_load_b128 v[96:99], v[27:28], off offset:3840
	v_mul_lo_u16 v25, v65, 43
	s_cmp_lt_i32 s2, s17
	v_lshlrev_b32_e32 v26, 5, v65
	s_cselect_b32 s2, s3, s4
	s_delay_alu instid0(VALU_DEP_2) | instskip(SKIP_1) | instid1(VALU_DEP_2)
	v_lshrrev_b16 v25, 8, v25
	s_ashr_i32 s3, s2, 31
	v_lshl_or_b32 v33, v66, 9, v26
	s_lshl_b64 s[2:3], s[2:3], 2
	s_delay_alu instid0(VALU_DEP_2) | instskip(SKIP_3) | instid1(VALU_DEP_1)
	v_mul_lo_u16 v25, v25, 6
	s_add_u32 s2, s7, s2
	s_addc_u32 s3, s13, s3
	s_or_b32 s8, s12, 0xe0
	v_sub_nc_u16 v25, v65, v25
	s_ashr_i32 s9, s8, 5
	s_cmp_lt_i32 s8, s17
	s_cselect_b32 s8, s9, s4
	s_delay_alu instid0(VALU_DEP_1) | instskip(SKIP_1) | instid1(SALU_CYCLE_1)
	v_and_b32_e32 v25, 0xff, v25
	s_ashr_i32 s9, s8, 31
	s_lshl_b64 s[8:9], s[8:9], 2
	s_delay_alu instid0(VALU_DEP_1)
	v_lshlrev_b32_e32 v72, 6, v25
	ds_load_b128 v[25:28], v72
	ds_load_b128 v[29:32], v72 offset:1024
	ds_load_b128 v[108:111], v72 offset:2048
	;; [unrolled: 1-line block ×3, first 2 shown]
	s_load_b32 s4, s[2:3], 0x0
	s_add_u32 s2, s7, s8
	s_addc_u32 s3, s13, s9
	ds_load_b128 v[116:119], v72 offset:4096
	ds_load_b128 v[120:123], v72 offset:5120
	s_load_b32 s2, s[2:3], 0x0
	s_add_u32 s7, s10, s15
	s_addc_u32 s6, s11, s6
	v_add_co_u32 v68, s7, s7, v33
	s_delay_alu instid0(VALU_DEP_1) | instskip(SKIP_1) | instid1(VALU_DEP_1)
	v_add_co_ci_u32_e64 v69, null, s6, 0, s7
	s_waitcnt lgkmcnt(0)
	v_mad_i64_i32 v[33:34], null, s16, s5, v[68:69]
	v_mad_i64_i32 v[70:71], null, s28, s5, v[68:69]
	;; [unrolled: 1-line block ×7, first 2 shown]
	s_clause 0x3
	global_load_b128 v[41:44], v[33:34], off
	global_load_b128 v[45:48], v[33:34], off offset:16
	global_load_b128 v[33:36], v[37:38], off
	global_load_b128 v[37:40], v[37:38], off offset:16
	s_waitcnt vmcnt(18)
	v_wmma_f32_16x16x16_bf16 v[124:131], v[1:8], v[25:32], v[100:107]
	s_waitcnt vmcnt(16)
	v_wmma_f32_16x16x16_bf16 v[100:107], v[9:16], v[25:32], v[100:107]
	s_clause 0x1
	global_load_b128 v[25:28], v[70:71], off
	global_load_b128 v[29:32], v[70:71], off offset:16
	s_waitcnt vmcnt(16)
	v_wmma_f32_16x16x16_bf16 v[124:131], v[17:24], v[108:115], v[124:131]
	s_clause 0x1
	global_load_b128 v[17:20], v[132:133], off
	global_load_b128 v[21:24], v[132:133], off offset:16
	s_waitcnt vmcnt(16)
	v_wmma_f32_16x16x16_bf16 v[100:107], v[49:56], v[108:115], v[100:107]
	v_mad_i64_i32 v[53:54], null, s2, s5, v[68:69]
	s_clause 0x3
	global_load_b128 v[1:4], v[134:135], off
	global_load_b128 v[5:8], v[134:135], off offset:16
	global_load_b128 v[9:12], v[136:137], off
	global_load_b128 v[13:16], v[136:137], off offset:16
	s_waitcnt vmcnt(18)
	v_wmma_f32_16x16x16_bf16 v[124:131], v[57:64], v[116:123], v[124:131]
	s_clause 0x3
	global_load_b128 v[57:60], v[138:139], off
	global_load_b128 v[61:64], v[138:139], off offset:16
	global_load_b128 v[49:52], v[53:54], off
	global_load_b128 v[53:56], v[53:54], off offset:16
	s_waitcnt vmcnt(20)
	v_wmma_f32_16x16x16_bf16 v[100:107], v[76:83], v[116:123], v[100:107]
	ds_load_b128 v[76:79], v72 offset:6144
	ds_load_b128 v[80:83], v72 offset:7168
	v_mbcnt_lo_u32_b32 v69, -1, 0
	s_waitcnt vmcnt(0) lgkmcnt(0)
	s_barrier
	buffer_gl0_inv
	v_xor_b32_e32 v70, 16, v69
	s_delay_alu instid0(VALU_DEP_1) | instskip(SKIP_4) | instid1(VALU_DEP_2)
	v_cmp_gt_i32_e32 vcc_lo, 32, v70
	v_cndmask_b32_e32 v69, v69, v70, vcc_lo
	v_wmma_f32_16x16x16_bf16 v[124:131], v[84:91], v[76:83], v[124:131]
	v_and_b32_e32 v68, 0xe0, v0
	v_wmma_f32_16x16x16_bf16 v[100:107], v[92:99], v[76:83], v[100:107]
	v_dual_mul_f32 v81, s18, v129 :: v_dual_add_nc_u32 v68, s12, v68
	s_delay_alu instid0(VALU_DEP_4) | instskip(NEXT) | instid1(VALU_DEP_3)
	v_dual_mul_f32 v83, s18, v131 :: v_dual_mul_f32 v78, s18, v125
	v_mul_f32_e32 v95, s18, v103
	v_mul_f32_e32 v79, s18, v127
	s_delay_alu instid0(VALU_DEP_4) | instskip(SKIP_3) | instid1(VALU_DEP_4)
	v_or_b32_e32 v68, v68, v74
	v_dual_mul_f32 v80, s18, v126 :: v_dual_mul_f32 v97, s18, v105
	v_dual_mul_f32 v93, s18, v101 :: v_dual_mul_f32 v82, s18, v128
	v_mul_f32_e32 v99, s18, v107
	v_or_b32_e32 v70, 2, v68
	v_or_b32_e32 v71, 4, v68
	;; [unrolled: 1-line block ×3, first 2 shown]
	v_cmp_gt_i32_e64 s2, s17, v68
	v_or_b32_e32 v108, 8, v68
	v_cmp_gt_i32_e32 vcc_lo, s17, v70
	v_mul_f32_e32 v70, s18, v124
	v_or_b32_e32 v109, 10, v68
	v_cmp_gt_i32_e64 s3, s17, v71
	v_cmp_gt_i32_e64 s4, s17, v72
	v_cndmask_b32_e32 v78, 0xff7fffff, v78, vcc_lo
	v_cndmask_b32_e64 v70, 0xff7fffff, v70, s2
	v_or_b32_e32 v84, 12, v68
	v_or_b32_e32 v85, 14, v68
	v_cndmask_b32_e64 v71, 0xff7fffff, v80, s3
	v_cndmask_b32_e64 v72, 0xff7fffff, v79, s4
	v_max3_f32 v70, v70, 0xff7fffff, v78
	v_cmp_gt_i32_e64 s5, s17, v108
	v_cmp_gt_i32_e64 s6, s17, v109
	v_or_b32_e32 v86, 16, v68
	v_or_b32_e32 v87, 18, v68
	;; [unrolled: 1-line block ×3, first 2 shown]
	v_mul_f32_e32 v92, s18, v130
	v_cndmask_b32_e64 v78, 0xff7fffff, v82, s5
	v_cndmask_b32_e64 v79, 0xff7fffff, v81, s6
	v_max3_f32 v70, v70, v71, v72
	v_cmp_gt_i32_e64 s7, s17, v84
	v_cmp_gt_i32_e64 s8, s17, v85
	v_or_b32_e32 v88, 20, v68
	v_mul_f32_e32 v94, s18, v100
	v_max3_f32 v70, v70, v78, v79
	v_cmp_gt_i32_e64 s9, s17, v86
	v_cndmask_b32_e64 v72, 0xff7fffff, v83, s8
	v_cmp_gt_i32_e64 s10, s17, v87
	v_cmp_gt_i32_e64 s12, s17, v89
	v_lshlrev_b32_e32 v89, 2, v69
	v_cndmask_b32_e64 v71, 0xff7fffff, v92, s7
	v_or_b32_e32 v90, 24, v68
	v_or_b32_e32 v91, 26, v68
	v_mul_f32_e32 v96, s18, v102
	v_cndmask_b32_e64 v78, 0xff7fffff, v94, s9
	v_cndmask_b32_e64 v79, 0xff7fffff, v93, s10
	v_max3_f32 v70, v70, v71, v72
	v_cmp_gt_i32_e64 s11, s17, v88
	v_or_b32_e32 v76, 28, v68
	v_or_b32_e32 v77, 30, v68
	v_mul_f32_e32 v98, s18, v104
	v_cndmask_b32_e64 v72, 0xff7fffff, v95, s12
	v_cndmask_b32_e64 v71, 0xff7fffff, v96, s11
	v_max3_f32 v70, v70, v78, v79
	v_cmp_gt_i32_e64 s13, s17, v90
	v_cmp_gt_i32_e64 s15, s17, v91
	v_mul_f32_e32 v68, s18, v106
	v_cmp_gt_i32_e64 s16, s17, v76
	v_max3_f32 v70, v70, v71, v72
	v_cndmask_b32_e64 v78, 0xff7fffff, v98, s13
	v_cndmask_b32_e64 v79, 0xff7fffff, v97, s15
	v_cmp_gt_i32_e64 s17, s17, v77
	v_cndmask_b32_e64 v68, 0xff7fffff, v68, s16
	s_delay_alu instid0(VALU_DEP_3) | instskip(NEXT) | instid1(VALU_DEP_3)
	v_max3_f32 v70, v70, v78, v79
	v_cndmask_b32_e64 v71, 0xff7fffff, v99, s17
	s_delay_alu instid0(VALU_DEP_1) | instskip(SKIP_3) | instid1(VALU_DEP_1)
	v_max3_f32 v68, v70, v68, v71
	ds_bpermute_b32 v69, v89, v68
	s_waitcnt lgkmcnt(0)
	v_max_f32_e32 v69, v69, v69
	v_max_f32_e32 v68, v68, v69
	s_delay_alu instid0(VALU_DEP_1) | instskip(NEXT) | instid1(VALU_DEP_1)
	v_fma_f32 v71, s18, v126, -v68
	v_mul_f32_e32 v71, 0x3fb8aa3b, v71
	s_delay_alu instid0(VALU_DEP_1) | instskip(SKIP_3) | instid1(VALU_DEP_1)
	v_exp_f32_e32 v71, v71
	s_waitcnt_depctr 0xfff
	v_cndmask_b32_e64 v83, 0, v71, s3
	v_fma_f32 v71, s18, v131, -v68
	v_mul_f32_e32 v71, 0x3fb8aa3b, v71
	v_fma_f32 v69, s18, v124, -v68
	v_fma_f32 v76, s18, v128, -v68
	;; [unrolled: 1-line block ×4, first 2 shown]
	v_exp_f32_e32 v71, v71
	v_mul_f32_e32 v69, 0x3fb8aa3b, v69
	v_mul_f32_e32 v77, 0x3fb8aa3b, v76
	v_fma_f32 v81, s18, v105, -v68
	v_fma_f32 v78, s18, v130, -v68
	s_delay_alu instid0(VALU_DEP_4) | instskip(NEXT) | instid1(VALU_DEP_3)
	v_exp_f32_e32 v69, v69
	v_exp_f32_e32 v77, v77
	s_delay_alu instid0(VALU_DEP_2) | instskip(NEXT) | instid1(TRANS32_DEP_3)
	v_mul_f32_e32 v81, 0x3fb8aa3b, v81
	v_cndmask_b32_e64 v88, 0, v71, s8
	v_fma_f32 v71, s18, v104, -v68
	s_delay_alu instid0(VALU_DEP_3) | instskip(NEXT) | instid1(TRANS32_DEP_3)
	v_exp_f32_e32 v81, v81
	v_cndmask_b32_e64 v80, 0, v69, s2
	v_fma_f32 v69, s18, v129, -v68
	v_mul_f32_e32 v70, 0x3fb8aa3b, v70
	s_delay_alu instid0(TRANS32_DEP_2)
	v_cndmask_b32_e64 v86, 0, v77, s5
	v_mul_f32_e32 v72, 0x3fb8aa3b, v72
	v_fma_f32 v77, s18, v101, -v68
	v_mul_f32_e32 v69, 0x3fb8aa3b, v69
	v_exp_f32_e32 v70, v70
	v_mul_f32_e32 v71, 0x3fb8aa3b, v71
	v_exp_f32_e32 v72, v72
	;; [unrolled: 2-line block ×3, first 2 shown]
	s_mov_b32 s2, exec_lo
	v_exp_f32_e32 v82, v71
	s_delay_alu instid0(VALU_DEP_1) | instskip(SKIP_4) | instid1(TRANS32_DEP_3)
	v_exp_f32_e32 v77, v77
	v_cndmask_b32_e32 v76, 0, v70, vcc_lo
	v_add_f32_e32 v70, 0, v80
	v_cndmask_b32_e64 v85, 0, v72, s4
	v_fma_f32 v72, s18, v100, -v68
	v_cndmask_b32_e64 v87, 0, v69, s6
	s_delay_alu instid0(VALU_DEP_4) | instskip(NEXT) | instid1(VALU_DEP_3)
	v_add_f32_e32 v70, v70, v76
	v_mul_f32_e32 v72, 0x3fb8aa3b, v72
	s_delay_alu instid0(VALU_DEP_2) | instskip(NEXT) | instid1(VALU_DEP_2)
	v_add_f32_e32 v70, v70, v83
	v_exp_f32_e32 v72, v72
	s_delay_alu instid0(VALU_DEP_1) | instskip(NEXT) | instid1(VALU_DEP_1)
	v_add_f32_e32 v70, v70, v85
	v_add_f32_e32 v69, v70, v86
	v_fma_f32 v70, s18, v102, -v68
	s_delay_alu instid0(VALU_DEP_2) | instskip(NEXT) | instid1(VALU_DEP_2)
	v_dual_add_f32 v69, v69, v87 :: v_dual_mul_f32 v78, 0x3fb8aa3b, v78
	v_mul_f32_e32 v70, 0x3fb8aa3b, v70
	s_delay_alu instid0(VALU_DEP_2) | instskip(NEXT) | instid1(VALU_DEP_1)
	v_exp_f32_e32 v78, v78
	v_exp_f32_e32 v79, v70
	s_delay_alu instid0(TRANS32_DEP_3) | instskip(SKIP_4) | instid1(VALU_DEP_2)
	v_cndmask_b32_e64 v70, 0, v72, s9
	s_waitcnt_depctr 0xfff
	v_cndmask_b32_e64 v84, 0, v78, s7
	v_fma_f32 v78, s18, v103, -v68
	v_cndmask_b32_e64 v71, 0, v79, s11
	v_dual_add_f32 v69, v69, v84 :: v_dual_mul_f32 v78, 0x3fb8aa3b, v78
	s_delay_alu instid0(VALU_DEP_1) | instskip(NEXT) | instid1(VALU_DEP_2)
	v_add_f32_e32 v72, v69, v88
	v_exp_f32_e32 v78, v78
	v_cndmask_b32_e64 v69, 0, v77, s10
	v_fma_f32 v77, s18, v106, -v68
	s_delay_alu instid0(VALU_DEP_1) | instskip(NEXT) | instid1(VALU_DEP_1)
	v_dual_add_f32 v72, v72, v70 :: v_dual_mul_f32 v77, 0x3fb8aa3b, v77
	v_add_f32_e32 v79, v72, v69
	s_waitcnt_depctr 0xfff
	v_cndmask_b32_e64 v72, 0, v78, s12
	v_exp_f32_e32 v90, v77
	v_cndmask_b32_e64 v77, 0, v82, s13
	v_add_f32_e32 v78, v79, v71
	v_fma_f32 v79, s18, v107, -v68
	s_delay_alu instid0(VALU_DEP_1) | instskip(SKIP_1) | instid1(VALU_DEP_2)
	v_dual_add_f32 v82, v78, v72 :: v_dual_mul_f32 v79, 0x3fb8aa3b, v79
	v_cndmask_b32_e64 v78, 0, v81, s15
	v_add_f32_e32 v81, v82, v77
	s_delay_alu instid0(VALU_DEP_3) | instskip(NEXT) | instid1(TRANS32_DEP_2)
	v_exp_f32_e32 v82, v79
	v_cndmask_b32_e64 v79, 0, v90, s16
	s_delay_alu instid0(VALU_DEP_2) | instskip(NEXT) | instid1(VALU_DEP_1)
	v_add_f32_e32 v81, v81, v78
	v_add_f32_e32 v90, v81, v79
	s_waitcnt_depctr 0xfff
	v_cndmask_b32_e64 v81, 0, v82, s17
	s_delay_alu instid0(VALU_DEP_1)
	v_add_f32_e32 v82, v90, v81
	ds_bpermute_b32 v89, v89, v82
	v_cmpx_gt_u32_e32 16, v67
	s_cbranch_execz .LBB1631_12
; %bb.11:
	v_mul_u32_u24_e32 v67, 0x44, v66
	s_delay_alu instid0(VALU_DEP_1) | instskip(SKIP_1) | instid1(VALU_DEP_1)
	v_lshl_add_u32 v67, v65, 2, v67
	s_waitcnt lgkmcnt(0)
	v_dual_add_f32 v82, v82, v89 :: v_dual_add_nc_u32 v67, 0x4000, v67
	ds_store_2addr_b32 v67, v68, v82 offset1:136
.LBB1631_12:
	s_or_b32 exec_lo, exec_lo, s2
	v_lshlrev_b32_e32 v67, 2, v65
	s_waitcnt lgkmcnt(0)
	s_barrier
	buffer_gl0_inv
	v_cmp_eq_u32_e32 vcc_lo, 1, v66
	v_add_nc_u32_e32 v82, 0x4000, v67
	v_cmp_eq_u32_e64 s2, 2, v66
	v_cmp_eq_u32_e64 s4, 7, v66
	ds_load_2addr_b32 v[89:90], v82 offset1:17
	ds_load_2addr_b32 v[91:92], v82 offset0:34 offset1:51
	ds_load_2addr_b32 v[93:94], v82 offset0:68 offset1:85
	;; [unrolled: 1-line block ×4, first 2 shown]
	s_waitcnt lgkmcnt(4)
	v_max3_f32 v67, v89, 0xff7fffff, v90
	s_waitcnt lgkmcnt(3)
	s_delay_alu instid0(VALU_DEP_1) | instskip(SKIP_1) | instid1(VALU_DEP_1)
	v_max3_f32 v67, v67, v91, v92
	s_waitcnt lgkmcnt(2)
	v_max3_f32 v67, v67, v93, v94
	s_waitcnt lgkmcnt(1)
	s_delay_alu instid0(VALU_DEP_1) | instskip(NEXT) | instid1(VALU_DEP_1)
	v_max3_f32 v67, v67, v95, v96
	v_sub_f32_e32 v93, v93, v67
	s_delay_alu instid0(VALU_DEP_1) | instskip(NEXT) | instid1(VALU_DEP_1)
	v_dual_sub_f32 v68, v89, v67 :: v_dual_mul_f32 v103, 0x3fb8aa3b, v93
	v_mul_f32_e32 v68, 0x3fb8aa3b, v68
	s_delay_alu instid0(VALU_DEP_1)
	v_exp_f32_e32 v100, v68
	v_sub_f32_e32 v68, v92, v67
	v_sub_f32_e32 v99, v90, v67
	ds_load_2addr_b32 v[89:90], v82 offset0:170 offset1:187
	v_dual_mul_f32 v102, 0x3fb8aa3b, v68 :: v_dual_mul_f32 v99, 0x3fb8aa3b, v99
	s_waitcnt lgkmcnt(1)
	v_fma_f32 v68, v100, v97, 0
	s_delay_alu instid0(VALU_DEP_2) | instskip(NEXT) | instid1(VALU_DEP_2)
	v_exp_f32_e32 v102, v102
	v_exp_f32_e32 v99, v99
	s_waitcnt_depctr 0xfff
	v_fmac_f32_e32 v68, v99, v98
	v_sub_f32_e32 v91, v91, v67
	s_delay_alu instid0(VALU_DEP_1)
	v_mul_f32_e32 v101, 0x3fb8aa3b, v91
	ds_load_2addr_b32 v[91:92], v82 offset0:204 offset1:221
	v_sub_f32_e32 v97, v94, v67
	ds_load_2addr_b32 v[93:94], v82 offset0:238 offset1:255
	s_waitcnt lgkmcnt(0)
	v_exp_f32_e32 v101, v101
	s_barrier
	buffer_gl0_inv
	v_dual_fmac_f32 v68, v101, v89 :: v_dual_sub_f32 v89, v96, v67
	v_dual_sub_f32 v82, v95, v67 :: v_dual_mul_f32 v95, 0x3fb8aa3b, v97
	v_exp_f32_e32 v97, v103
	s_delay_alu instid0(VALU_DEP_2) | instskip(NEXT) | instid1(VALU_DEP_2)
	v_dual_fmac_f32 v68, v102, v90 :: v_dual_mul_f32 v89, 0x3fb8aa3b, v89
	v_mul_f32_e32 v82, 0x3fb8aa3b, v82
	s_delay_alu instid0(VALU_DEP_3) | instskip(NEXT) | instid1(VALU_DEP_2)
	v_exp_f32_e32 v95, v95
	v_exp_f32_e32 v89, v89
	s_delay_alu instid0(VALU_DEP_1)
	v_exp_f32_e32 v82, v82
	v_fmac_f32_e32 v68, v97, v91
	s_delay_alu instid0(TRANS32_DEP_3) | instid1(VALU_DEP_1)
	v_fmac_f32_e32 v68, v95, v92
	s_waitcnt_depctr 0xfff
	v_fmac_f32_e32 v68, v82, v93
	s_delay_alu instid0(VALU_DEP_1) | instskip(NEXT) | instid1(VALU_DEP_1)
	v_fmac_f32_e32 v68, v89, v94
	v_add_f32_e32 v90, 0x358637bd, v68
	s_delay_alu instid0(VALU_DEP_1) | instskip(NEXT) | instid1(VALU_DEP_1)
	v_div_scale_f32 v91, null, v90, v90, 1.0
	v_rcp_f32_e32 v92, v91
	s_waitcnt_depctr 0xfff
	v_fma_f32 v93, -v91, v92, 1.0
	s_delay_alu instid0(VALU_DEP_1) | instskip(SKIP_1) | instid1(VALU_DEP_2)
	v_dual_fmac_f32 v92, v93, v92 :: v_dual_cndmask_b32 v93, v100, v99
	v_cmp_eq_u32_e32 vcc_lo, 3, v66
	v_cndmask_b32_e64 v93, v93, v101, s2
	v_cmp_eq_u32_e64 s2, 4, v66
	s_delay_alu instid0(VALU_DEP_2) | instskip(SKIP_1) | instid1(VALU_DEP_2)
	v_cndmask_b32_e32 v93, v93, v102, vcc_lo
	v_cmp_eq_u32_e32 vcc_lo, 5, v66
	v_cndmask_b32_e64 v93, v93, v97, s2
	v_cmp_eq_u32_e64 s2, 6, v66
	s_delay_alu instid0(VALU_DEP_2) | instskip(SKIP_1) | instid1(VALU_DEP_1)
	v_cndmask_b32_e32 v93, v93, v95, vcc_lo
	v_div_scale_f32 v94, s3, 1.0, v90, 1.0
	s_mov_b32 vcc_lo, s3
	s_delay_alu instid0(VALU_DEP_2) | instskip(NEXT) | instid1(VALU_DEP_2)
	v_cndmask_b32_e64 v82, v93, v82, s2
	v_mul_f32_e32 v96, v94, v92
	s_mov_b32 s2, exec_lo
	s_delay_alu instid0(VALU_DEP_2) | instskip(NEXT) | instid1(VALU_DEP_2)
	v_cndmask_b32_e64 v82, v82, v89, s4
	v_fma_f32 v98, -v91, v96, v94
	s_delay_alu instid0(VALU_DEP_1) | instskip(NEXT) | instid1(VALU_DEP_1)
	v_fmac_f32_e32 v96, v98, v92
	v_fma_f32 v91, -v91, v96, v94
	s_delay_alu instid0(VALU_DEP_1) | instskip(NEXT) | instid1(VALU_DEP_1)
	v_div_fmas_f32 v91, v91, v92, v96
	v_div_fixup_f32 v90, v91, v90, 1.0
	s_delay_alu instid0(VALU_DEP_1) | instskip(NEXT) | instid1(VALU_DEP_1)
	v_mul_f32_e32 v82, v82, v90
	v_mul_f32_e32 v87, v82, v87
	;; [unrolled: 1-line block ×7, first 2 shown]
	v_dual_mul_f32 v86, v82, v83 :: v_dual_and_b32 v91, 0x7f800000, v90
	v_mul_f32_e32 v85, v82, v76
                                        ; implicit-def: $vgpr76
	s_delay_alu instid0(VALU_DEP_2)
	v_cmpx_ne_u32_e32 0x7f800000, v91
	s_xor_b32 s2, exec_lo, s2
; %bb.13:
	v_bfe_u32 v76, v90, 16, 1
	s_delay_alu instid0(VALU_DEP_1)
	v_add3_u32 v76, v90, v76, 0x7fff
                                        ; implicit-def: $vgpr90
; %bb.14:
	s_and_not1_saveexec_b32 s2, s2
; %bb.15:
	v_and_b32_e32 v76, 0xffff, v90
	v_or_b32_e32 v83, 0x10000, v90
	s_delay_alu instid0(VALU_DEP_2) | instskip(NEXT) | instid1(VALU_DEP_2)
	v_cmp_eq_u32_e32 vcc_lo, 0, v76
	v_cndmask_b32_e32 v76, v83, v90, vcc_lo
; %bb.16:
	s_or_b32 exec_lo, exec_lo, s2
	v_and_b32_e32 v83, 0x7f800000, v85
	s_delay_alu instid0(VALU_DEP_1) | instskip(SKIP_1) | instid1(SALU_CYCLE_1)
	v_cmp_ne_u32_e32 vcc_lo, 0x7f800000, v83
                                        ; implicit-def: $vgpr83
	s_and_saveexec_b32 s2, vcc_lo
	s_xor_b32 s2, exec_lo, s2
; %bb.17:
	v_bfe_u32 v83, v85, 16, 1
	s_delay_alu instid0(VALU_DEP_1)
	v_add3_u32 v83, v85, v83, 0x7fff
                                        ; implicit-def: $vgpr85
; %bb.18:
	s_and_not1_saveexec_b32 s2, s2
; %bb.19:
	v_and_b32_e32 v83, 0xffff, v85
	v_or_b32_e32 v90, 0x10000, v85
	s_delay_alu instid0(VALU_DEP_2) | instskip(NEXT) | instid1(VALU_DEP_2)
	v_cmp_eq_u32_e32 vcc_lo, 0, v83
	v_cndmask_b32_e32 v83, v90, v85, vcc_lo
; %bb.20:
	s_or_b32 exec_lo, exec_lo, s2
	v_and_b32_e32 v85, 0x7f800000, v86
	s_delay_alu instid0(VALU_DEP_1) | instskip(SKIP_1) | instid1(SALU_CYCLE_1)
	v_cmp_ne_u32_e32 vcc_lo, 0x7f800000, v85
                                        ; implicit-def: $vgpr85
	s_and_saveexec_b32 s2, vcc_lo
	s_xor_b32 s2, exec_lo, s2
; %bb.21:
	v_bfe_u32 v85, v86, 16, 1
	s_delay_alu instid0(VALU_DEP_1)
	v_add3_u32 v85, v86, v85, 0x7fff
                                        ; implicit-def: $vgpr86
; %bb.22:
	s_and_not1_saveexec_b32 s2, s2
; %bb.23:
	v_and_b32_e32 v85, 0xffff, v86
	v_or_b32_e32 v90, 0x10000, v86
	s_delay_alu instid0(VALU_DEP_2) | instskip(NEXT) | instid1(VALU_DEP_2)
	v_cmp_eq_u32_e32 vcc_lo, 0, v85
	v_cndmask_b32_e32 v85, v90, v86, vcc_lo
; %bb.24:
	s_or_b32 exec_lo, exec_lo, s2
	v_and_b32_e32 v86, 0x7f800000, v89
	s_delay_alu instid0(VALU_DEP_1) | instskip(SKIP_1) | instid1(SALU_CYCLE_1)
	v_cmp_ne_u32_e32 vcc_lo, 0x7f800000, v86
                                        ; implicit-def: $vgpr86
	s_and_saveexec_b32 s2, vcc_lo
	s_xor_b32 s2, exec_lo, s2
; %bb.25:
	v_bfe_u32 v86, v89, 16, 1
	s_delay_alu instid0(VALU_DEP_1)
	v_add3_u32 v86, v89, v86, 0x7fff
                                        ; implicit-def: $vgpr89
; %bb.26:
	s_and_not1_saveexec_b32 s2, s2
; %bb.27:
	v_and_b32_e32 v86, 0xffff, v89
	v_or_b32_e32 v90, 0x10000, v89
	s_delay_alu instid0(VALU_DEP_2) | instskip(NEXT) | instid1(VALU_DEP_2)
	v_cmp_eq_u32_e32 vcc_lo, 0, v86
	v_cndmask_b32_e32 v86, v90, v89, vcc_lo
; %bb.28:
	s_or_b32 exec_lo, exec_lo, s2
	v_and_b32_e32 v89, 0x7f800000, v88
	s_delay_alu instid0(VALU_DEP_1) | instskip(SKIP_1) | instid1(SALU_CYCLE_1)
	v_cmp_ne_u32_e32 vcc_lo, 0x7f800000, v89
                                        ; implicit-def: $vgpr89
	s_and_saveexec_b32 s2, vcc_lo
	s_xor_b32 s2, exec_lo, s2
; %bb.29:
	v_bfe_u32 v89, v88, 16, 1
	s_delay_alu instid0(VALU_DEP_1)
	v_add3_u32 v89, v88, v89, 0x7fff
                                        ; implicit-def: $vgpr88
; %bb.30:
	s_and_not1_saveexec_b32 s2, s2
; %bb.31:
	v_and_b32_e32 v89, 0xffff, v88
	v_or_b32_e32 v90, 0x10000, v88
	s_delay_alu instid0(VALU_DEP_2) | instskip(NEXT) | instid1(VALU_DEP_2)
	v_cmp_eq_u32_e32 vcc_lo, 0, v89
	v_cndmask_b32_e32 v89, v90, v88, vcc_lo
; %bb.32:
	s_or_b32 exec_lo, exec_lo, s2
	v_and_b32_e32 v88, 0x7f800000, v87
	s_delay_alu instid0(VALU_DEP_1) | instskip(SKIP_1) | instid1(SALU_CYCLE_1)
	v_cmp_ne_u32_e32 vcc_lo, 0x7f800000, v88
                                        ; implicit-def: $vgpr88
	s_and_saveexec_b32 s2, vcc_lo
	s_xor_b32 s2, exec_lo, s2
; %bb.33:
	v_bfe_u32 v88, v87, 16, 1
	s_delay_alu instid0(VALU_DEP_1)
	v_add3_u32 v88, v87, v88, 0x7fff
                                        ; implicit-def: $vgpr87
; %bb.34:
	s_and_not1_saveexec_b32 s2, s2
; %bb.35:
	v_and_b32_e32 v88, 0xffff, v87
	v_or_b32_e32 v90, 0x10000, v87
	s_delay_alu instid0(VALU_DEP_2) | instskip(NEXT) | instid1(VALU_DEP_2)
	v_cmp_eq_u32_e32 vcc_lo, 0, v88
	v_cndmask_b32_e32 v88, v90, v87, vcc_lo
; %bb.36:
	s_or_b32 exec_lo, exec_lo, s2
	v_and_b32_e32 v87, 0x7f800000, v84
	s_delay_alu instid0(VALU_DEP_1) | instskip(SKIP_1) | instid1(SALU_CYCLE_1)
	v_cmp_ne_u32_e32 vcc_lo, 0x7f800000, v87
                                        ; implicit-def: $vgpr87
	s_and_saveexec_b32 s2, vcc_lo
	s_xor_b32 s2, exec_lo, s2
; %bb.37:
	v_bfe_u32 v87, v84, 16, 1
	s_delay_alu instid0(VALU_DEP_1)
	v_add3_u32 v87, v84, v87, 0x7fff
                                        ; implicit-def: $vgpr84
; %bb.38:
	s_and_not1_saveexec_b32 s2, s2
; %bb.39:
	v_and_b32_e32 v87, 0xffff, v84
	v_or_b32_e32 v90, 0x10000, v84
	s_delay_alu instid0(VALU_DEP_2) | instskip(NEXT) | instid1(VALU_DEP_2)
	v_cmp_eq_u32_e32 vcc_lo, 0, v87
	v_cndmask_b32_e32 v87, v90, v84, vcc_lo
; %bb.40:
	s_or_b32 exec_lo, exec_lo, s2
	v_and_b32_e32 v84, 0x7f800000, v80
	s_delay_alu instid0(VALU_DEP_1) | instskip(SKIP_1) | instid1(SALU_CYCLE_1)
	v_cmp_ne_u32_e32 vcc_lo, 0x7f800000, v84
                                        ; implicit-def: $vgpr84
	s_and_saveexec_b32 s2, vcc_lo
	s_xor_b32 s2, exec_lo, s2
; %bb.41:
	v_bfe_u32 v84, v80, 16, 1
	s_delay_alu instid0(VALU_DEP_1)
	v_add3_u32 v84, v80, v84, 0x7fff
                                        ; implicit-def: $vgpr80
; %bb.42:
	s_and_not1_saveexec_b32 s2, s2
; %bb.43:
	v_and_b32_e32 v84, 0xffff, v80
	v_or_b32_e32 v90, 0x10000, v80
	s_delay_alu instid0(VALU_DEP_2) | instskip(NEXT) | instid1(VALU_DEP_2)
	v_cmp_eq_u32_e32 vcc_lo, 0, v84
	v_cndmask_b32_e32 v84, v90, v80, vcc_lo
; %bb.44:
	s_or_b32 exec_lo, exec_lo, s2
	s_load_b64 s[34:35], s[0:1], 0x94
	v_lshlrev_b32_e32 v91, 4, v74
	s_delay_alu instid0(VALU_DEP_2)
	v_perm_b32 v90, v84, v87, 0x7060302
	v_dual_mul_f32 v79, v82, v79 :: v_dual_lshlrev_b32 v80, 6, v65
	v_dual_mul_f32 v77, v82, v77 :: v_dual_lshlrev_b32 v92, 11, v66
	v_mul_f32_e32 v84, v82, v70
	v_perm_b32 v89, v88, v89, 0x7060302
	v_perm_b32 v88, v86, v85, 0x7060302
	;; [unrolled: 1-line block ×3, first 2 shown]
	v_mul_f32_e32 v70, v82, v81
	v_or3_b32 v76, v91, v92, v80
	v_dual_mul_f32 v78, v82, v78 :: v_dual_and_b32 v85, 0x7f800000, v84
	v_mul_f32_e32 v83, v82, v72
	v_mul_f32_e32 v81, v82, v71
	;; [unrolled: 1-line block ×3, first 2 shown]
	s_mov_b32 s2, exec_lo
	ds_store_b128 v76, v[87:90]
                                        ; implicit-def: $vgpr69
	v_cmpx_ne_u32_e32 0x7f800000, v85
	s_xor_b32 s2, exec_lo, s2
; %bb.45:
	v_bfe_u32 v69, v84, 16, 1
	s_delay_alu instid0(VALU_DEP_1)
	v_add3_u32 v69, v84, v69, 0x7fff
                                        ; implicit-def: $vgpr84
; %bb.46:
	s_and_not1_saveexec_b32 s2, s2
; %bb.47:
	v_and_b32_e32 v69, 0xffff, v84
	v_or_b32_e32 v71, 0x10000, v84
	s_delay_alu instid0(VALU_DEP_2) | instskip(NEXT) | instid1(VALU_DEP_2)
	v_cmp_eq_u32_e32 vcc_lo, 0, v69
	v_cndmask_b32_e32 v69, v71, v84, vcc_lo
; %bb.48:
	s_or_b32 exec_lo, exec_lo, s2
	v_and_b32_e32 v71, 0x7f800000, v72
	s_delay_alu instid0(VALU_DEP_1) | instskip(SKIP_1) | instid1(SALU_CYCLE_1)
	v_cmp_ne_u32_e32 vcc_lo, 0x7f800000, v71
                                        ; implicit-def: $vgpr71
	s_and_saveexec_b32 s2, vcc_lo
	s_xor_b32 s2, exec_lo, s2
; %bb.49:
	v_bfe_u32 v71, v72, 16, 1
	s_delay_alu instid0(VALU_DEP_1)
	v_add3_u32 v71, v72, v71, 0x7fff
                                        ; implicit-def: $vgpr72
; %bb.50:
	s_and_not1_saveexec_b32 s2, s2
; %bb.51:
	v_and_b32_e32 v71, 0xffff, v72
	v_or_b32_e32 v82, 0x10000, v72
	s_delay_alu instid0(VALU_DEP_2) | instskip(NEXT) | instid1(VALU_DEP_2)
	v_cmp_eq_u32_e32 vcc_lo, 0, v71
	v_cndmask_b32_e32 v71, v82, v72, vcc_lo
; %bb.52:
	s_or_b32 exec_lo, exec_lo, s2
	v_and_b32_e32 v72, 0x7f800000, v81
	s_delay_alu instid0(VALU_DEP_1) | instskip(SKIP_1) | instid1(SALU_CYCLE_1)
	v_cmp_ne_u32_e32 vcc_lo, 0x7f800000, v72
                                        ; implicit-def: $vgpr72
	s_and_saveexec_b32 s2, vcc_lo
	s_xor_b32 s2, exec_lo, s2
; %bb.53:
	v_bfe_u32 v72, v81, 16, 1
	s_delay_alu instid0(VALU_DEP_1)
	v_add3_u32 v72, v81, v72, 0x7fff
                                        ; implicit-def: $vgpr81
; %bb.54:
	s_and_not1_saveexec_b32 s2, s2
; %bb.55:
	v_and_b32_e32 v72, 0xffff, v81
	v_or_b32_e32 v82, 0x10000, v81
	s_delay_alu instid0(VALU_DEP_2) | instskip(NEXT) | instid1(VALU_DEP_2)
	v_cmp_eq_u32_e32 vcc_lo, 0, v72
	v_cndmask_b32_e32 v72, v82, v81, vcc_lo
; %bb.56:
	s_or_b32 exec_lo, exec_lo, s2
	v_and_b32_e32 v81, 0x7f800000, v83
	s_delay_alu instid0(VALU_DEP_1) | instskip(SKIP_1) | instid1(SALU_CYCLE_1)
	v_cmp_ne_u32_e32 vcc_lo, 0x7f800000, v81
                                        ; implicit-def: $vgpr81
	s_and_saveexec_b32 s2, vcc_lo
	s_xor_b32 s2, exec_lo, s2
; %bb.57:
	v_bfe_u32 v81, v83, 16, 1
	s_delay_alu instid0(VALU_DEP_1)
	v_add3_u32 v81, v83, v81, 0x7fff
                                        ; implicit-def: $vgpr83
; %bb.58:
	s_and_not1_saveexec_b32 s2, s2
; %bb.59:
	v_and_b32_e32 v81, 0xffff, v83
	v_or_b32_e32 v82, 0x10000, v83
	s_delay_alu instid0(VALU_DEP_2) | instskip(NEXT) | instid1(VALU_DEP_2)
	v_cmp_eq_u32_e32 vcc_lo, 0, v81
	v_cndmask_b32_e32 v81, v82, v83, vcc_lo
; %bb.60:
	s_or_b32 exec_lo, exec_lo, s2
	v_and_b32_e32 v82, 0x7f800000, v77
	s_delay_alu instid0(VALU_DEP_1) | instskip(SKIP_1) | instid1(SALU_CYCLE_1)
	v_cmp_ne_u32_e32 vcc_lo, 0x7f800000, v82
                                        ; implicit-def: $vgpr82
	s_and_saveexec_b32 s2, vcc_lo
	s_xor_b32 s2, exec_lo, s2
; %bb.61:
	v_bfe_u32 v82, v77, 16, 1
	s_delay_alu instid0(VALU_DEP_1)
	v_add3_u32 v82, v77, v82, 0x7fff
                                        ; implicit-def: $vgpr77
; %bb.62:
	s_and_not1_saveexec_b32 s2, s2
; %bb.63:
	v_and_b32_e32 v82, 0xffff, v77
	v_or_b32_e32 v83, 0x10000, v77
	s_delay_alu instid0(VALU_DEP_2) | instskip(NEXT) | instid1(VALU_DEP_2)
	v_cmp_eq_u32_e32 vcc_lo, 0, v82
	v_cndmask_b32_e32 v82, v83, v77, vcc_lo
; %bb.64:
	s_or_b32 exec_lo, exec_lo, s2
	v_and_b32_e32 v77, 0x7f800000, v78
	s_delay_alu instid0(VALU_DEP_1) | instskip(SKIP_1) | instid1(SALU_CYCLE_1)
	v_cmp_ne_u32_e32 vcc_lo, 0x7f800000, v77
                                        ; implicit-def: $vgpr77
	s_and_saveexec_b32 s2, vcc_lo
	s_xor_b32 s2, exec_lo, s2
; %bb.65:
	v_bfe_u32 v77, v78, 16, 1
	s_delay_alu instid0(VALU_DEP_1)
	v_add3_u32 v77, v78, v77, 0x7fff
                                        ; implicit-def: $vgpr78
; %bb.66:
	s_and_not1_saveexec_b32 s2, s2
; %bb.67:
	v_and_b32_e32 v77, 0xffff, v78
	v_or_b32_e32 v83, 0x10000, v78
	s_delay_alu instid0(VALU_DEP_2) | instskip(NEXT) | instid1(VALU_DEP_2)
	v_cmp_eq_u32_e32 vcc_lo, 0, v77
	v_cndmask_b32_e32 v77, v83, v78, vcc_lo
; %bb.68:
	s_or_b32 exec_lo, exec_lo, s2
	v_and_b32_e32 v78, 0x7f800000, v79
	s_delay_alu instid0(VALU_DEP_1) | instskip(SKIP_1) | instid1(SALU_CYCLE_1)
	v_cmp_ne_u32_e32 vcc_lo, 0x7f800000, v78
                                        ; implicit-def: $vgpr78
	s_and_saveexec_b32 s2, vcc_lo
	s_xor_b32 s2, exec_lo, s2
; %bb.69:
	v_bfe_u32 v78, v79, 16, 1
	s_delay_alu instid0(VALU_DEP_1)
	v_add3_u32 v78, v79, v78, 0x7fff
                                        ; implicit-def: $vgpr79
; %bb.70:
	s_and_not1_saveexec_b32 s2, s2
; %bb.71:
	v_and_b32_e32 v78, 0xffff, v79
	v_or_b32_e32 v83, 0x10000, v79
	s_delay_alu instid0(VALU_DEP_2) | instskip(NEXT) | instid1(VALU_DEP_2)
	v_cmp_eq_u32_e32 vcc_lo, 0, v78
	v_cndmask_b32_e32 v78, v83, v79, vcc_lo
; %bb.72:
	s_or_b32 exec_lo, exec_lo, s2
	v_and_b32_e32 v79, 0x7f800000, v70
	s_delay_alu instid0(VALU_DEP_1) | instskip(SKIP_1) | instid1(SALU_CYCLE_1)
	v_cmp_ne_u32_e32 vcc_lo, 0x7f800000, v79
                                        ; implicit-def: $vgpr79
	s_and_saveexec_b32 s2, vcc_lo
	s_xor_b32 s2, exec_lo, s2
; %bb.73:
	v_bfe_u32 v79, v70, 16, 1
	s_delay_alu instid0(VALU_DEP_1)
	v_add3_u32 v79, v70, v79, 0x7fff
                                        ; implicit-def: $vgpr70
; %bb.74:
	s_and_not1_saveexec_b32 s2, s2
; %bb.75:
	v_and_b32_e32 v79, 0xffff, v70
	v_or_b32_e32 v83, 0x10000, v70
	s_delay_alu instid0(VALU_DEP_2) | instskip(NEXT) | instid1(VALU_DEP_2)
	v_cmp_eq_u32_e32 vcc_lo, 0, v79
	v_cndmask_b32_e32 v79, v83, v70, vcc_lo
; %bb.76:
	s_or_b32 exec_lo, exec_lo, s2
	s_delay_alu instid0(VALU_DEP_1)
	v_perm_b32 v86, v79, v78, 0x7060302
	v_perm_b32 v85, v77, v82, 0x7060302
	;; [unrolled: 1-line block ×4, first 2 shown]
	v_lshl_or_b32 v82, v66, 11, v80
	ds_store_b128 v76, v[83:86] offset:1024
	s_waitcnt lgkmcnt(0)
	s_barrier
	buffer_gl0_inv
	ds_load_b128 v[69:72], v82
	ds_load_b128 v[83:86], v82 offset:16
	s_waitcnt lgkmcnt(1)
	v_lshrrev_b32_e32 v66, 16, v69
	s_waitcnt lgkmcnt(0)
	v_lshrrev_b32_e32 v91, 16, v83
	v_lshlrev_b32_e32 v78, 2, v74
	v_lshrrev_b32_e32 v95, 16, v70
	v_lshrrev_b32_e32 v98, 16, v84
	v_lshrrev_b32_e32 v96, 16, v71
	v_lshrrev_b32_e32 v99, 16, v85
	v_cmp_eq_u32_e32 vcc_lo, 1, v78
	v_lshrrev_b32_e32 v97, 16, v72
	v_lshrrev_b32_e32 v100, 16, v86
	v_cndmask_b32_e32 v87, v83, v91, vcc_lo
	v_or_b32_e32 v79, 1, v78
	v_cndmask_b32_e32 v81, v69, v66, vcc_lo
	v_cmp_eq_u32_e64 s3, 2, v78
	v_cmp_eq_u32_e64 s6, 3, v78
	;; [unrolled: 1-line block ×5, first 2 shown]
	v_cndmask_b32_e64 v81, v81, v70, s3
	v_cndmask_b32_e64 v87, v87, v84, s3
	v_cmp_eq_u32_e64 s7, 3, v79
	v_cndmask_b32_e64 v88, v69, v66, s2
	v_or_b32_e32 v77, 2, v78
	v_cndmask_b32_e64 v81, v81, v95, s6
	v_cndmask_b32_e64 v87, v87, v98, s6
	;; [unrolled: 1-line block ×4, first 2 shown]
	v_cmp_eq_u32_e64 s9, 5, v78
	v_cndmask_b32_e64 v81, v81, v71, s8
	v_cndmask_b32_e64 v87, v87, v85, s8
	v_cmp_eq_u32_e64 s10, 4, v79
	v_cndmask_b32_e64 v88, v88, v95, s7
	v_cmp_eq_u32_e64 s4, 1, v77
	v_cndmask_b32_e64 v89, v89, v84, s5
	v_cndmask_b32_e64 v81, v81, v96, s9
	v_cmp_eq_u32_e64 s11, 6, v78
	v_cndmask_b32_e64 v88, v88, v71, s10
	;; [unrolled: 3-line block ×3, first 2 shown]
	v_cndmask_b32_e64 v89, v89, v98, s7
	v_cndmask_b32_e64 v81, v81, v72, s11
	v_cmp_eq_u32_e64 s13, 7, v78
	v_cndmask_b32_e64 v88, v88, v96, s12
	v_cndmask_b32_e64 v87, v87, v86, s11
	v_cmp_eq_u32_e64 s15, 6, v79
	v_cmp_eq_u32_e64 s16, 2, v77
	v_cndmask_b32_e64 v89, v89, v85, s10
	v_cndmask_b32_e64 v101, v81, v97, s13
	;; [unrolled: 1-line block ×6, first 2 shown]
	v_cmp_eq_u32_e64 s17, 7, v79
	v_cmp_eq_u32_e64 s18, 3, v77
	;; [unrolled: 1-line block ×4, first 2 shown]
	v_cndmask_b32_e64 v87, v87, v84, s16
	v_cndmask_b32_e64 v103, v88, v97, s17
	v_cndmask_b32_e64 v88, v89, v99, s12
	v_cndmask_b32_e64 v89, v81, v95, s18
	v_or_b32_e32 v81, 3, v78
	v_cndmask_b32_e64 v93, v87, v98, s18
	v_cmp_eq_u32_e64 s23, 6, v77
	v_cndmask_b32_e64 v104, v88, v86, s15
	v_cndmask_b32_e64 v92, v89, v71, s19
	v_cmp_eq_u32_e64 s20, 1, v81
	ds_load_b128 v[87:90], v82 offset:1024
	v_cmp_eq_u32_e64 s22, 2, v81
	v_cmp_eq_u32_e64 s24, 3, v81
	v_cndmask_b32_e64 v105, v92, v96, s21
	v_cndmask_b32_e64 v66, v69, v66, s20
	;; [unrolled: 1-line block ×4, first 2 shown]
	ds_load_b128 v[91:94], v82 offset:1040
	v_cmp_eq_u32_e64 s25, 4, v81
	v_cndmask_b32_e64 v66, v66, v70, s22
	v_cmp_eq_u32_e64 s26, 7, v77
	v_cndmask_b32_e64 v70, v83, v84, s22
	v_cndmask_b32_e64 v84, v105, v72, s23
	v_cmp_eq_u32_e64 s27, 5, v81
	v_cndmask_b32_e64 v66, v66, v95, s24
	v_cmp_eq_u32_e64 s28, 6, v81
	v_cndmask_b32_e64 v70, v70, v98, s24
	v_cndmask_b32_e64 v69, v69, v99, s21
	;; [unrolled: 1-line block ×4, first 2 shown]
	s_waitcnt lgkmcnt(1)
	v_lshrrev_b32_e32 v95, 16, v87
	v_cndmask_b32_e64 v70, v70, v85, s25
	v_cndmask_b32_e64 v71, v84, v97, s26
	;; [unrolled: 1-line block ×4, first 2 shown]
	v_cndmask_b32_e32 v84, v87, v95, vcc_lo
	v_cndmask_b32_e64 v70, v70, v99, s27
	s_waitcnt lgkmcnt(0)
	v_lshrrev_b32_e32 v85, 16, v91
	v_lshrrev_b32_e32 v96, 16, v88
	v_cndmask_b32_e64 v98, v87, v95, s2
	v_cndmask_b32_e64 v84, v84, v88, s3
	;; [unrolled: 1-line block ×3, first 2 shown]
	v_cndmask_b32_e32 v99, v91, v85, vcc_lo
	v_cmp_eq_u32_e32 vcc_lo, 7, v81
	v_cndmask_b32_e64 v66, v66, v72, s28
	v_cndmask_b32_e64 v72, v84, v96, s6
	;; [unrolled: 1-line block ×3, first 2 shown]
	v_lshrrev_b32_e32 v98, 16, v92
	v_cndmask_b32_e32 v70, v70, v100, vcc_lo
	v_cndmask_b32_e64 v86, v99, v92, s3
	v_cndmask_b32_e64 v69, v69, v100, s26
	v_lshrrev_b32_e32 v100, 16, v93
	v_cndmask_b32_e64 v72, v72, v89, s8
	v_lshrrev_b32_e32 v99, 16, v89
	v_cndmask_b32_e64 v86, v86, v98, s6
	v_perm_b32 v71, v69, v71, 0x5040100
	v_cndmask_b32_e64 v84, v84, v96, s7
	s_delay_alu instid0(VALU_DEP_3) | instskip(NEXT) | instid1(VALU_DEP_2)
	v_cndmask_b32_e64 v86, v86, v93, s8
	v_cndmask_b32_e64 v84, v84, v89, s10
	s_delay_alu instid0(VALU_DEP_2) | instskip(NEXT) | instid1(VALU_DEP_1)
	v_cndmask_b32_e64 v86, v86, v100, s9
	v_cndmask_b32_e64 v69, v86, v94, s11
	;; [unrolled: 1-line block ×5, first 2 shown]
	s_delay_alu instid0(VALU_DEP_3) | instskip(NEXT) | instid1(VALU_DEP_3)
	v_cndmask_b32_e64 v86, v86, v88, s16
	v_cndmask_b32_e64 v87, v87, v88, s22
	s_delay_alu instid0(VALU_DEP_3) | instskip(NEXT) | instid1(VALU_DEP_3)
	v_cndmask_b32_e64 v88, v95, v92, s22
	v_cndmask_b32_e64 v86, v86, v96, s18
	;; [unrolled: 3-line block ×7, first 2 shown]
	s_delay_alu instid0(VALU_DEP_3) | instskip(SKIP_2) | instid1(VALU_DEP_2)
	v_cndmask_b32_e64 v88, v88, v94, s28
	v_cndmask_b32_e32 v66, v66, v97, vcc_lo
	v_cndmask_b32_e64 v97, v72, v99, s9
	v_perm_b32 v72, v70, v66, 0x5040100
	v_perm_b32 v70, v83, v103, 0x5040100
	v_cndmask_b32_e64 v103, v91, v85, s4
	v_cndmask_b32_e64 v85, v91, v85, s2
	;; [unrolled: 1-line block ×4, first 2 shown]
	v_lshrrev_b32_e32 v97, 16, v90
	v_cndmask_b32_e64 v91, v103, v92, s16
	v_cndmask_b32_e64 v85, v85, v92, s5
	;; [unrolled: 1-line block ×3, first 2 shown]
	s_mov_b32 s2, exec_lo
	v_cndmask_b32_e64 v83, v84, v97, s13
	v_cndmask_b32_e64 v91, v91, v98, s18
	;; [unrolled: 1-line block ×3, first 2 shown]
	v_lshrrev_b32_e32 v84, 16, v94
	v_cndmask_b32_e64 v66, v66, v97, s17
	v_cndmask_b32_e64 v90, v86, v97, s26
	;; [unrolled: 1-line block ×4, first 2 shown]
	v_dual_cndmask_b32 v86, v87, v97 :: v_dual_cndmask_b32 v87, v88, v84
	v_cndmask_b32_e64 v91, v69, v84, s13
	s_delay_alu instid0(VALU_DEP_4) | instskip(NEXT) | instid1(VALU_DEP_4)
	v_cndmask_b32_e64 v89, v89, v100, s21
	v_cndmask_b32_e64 v85, v85, v100, s12
	v_perm_b32 v69, v102, v101, 0x5040100
	v_perm_b32 v86, v87, v86, 0x5040100
	;; [unrolled: 1-line block ×3, first 2 shown]
	v_cndmask_b32_e64 v89, v89, v94, s23
	v_cndmask_b32_e64 v85, v85, v94, s15
	s_mul_i32 s7, s35, 6
	s_delay_alu instid0(VALU_DEP_2) | instskip(NEXT) | instid1(VALU_DEP_2)
	v_cndmask_b32_e64 v88, v89, v84, s26
	v_cndmask_b32_e64 v89, v85, v84, s17
	s_delay_alu instid0(VALU_DEP_2) | instskip(NEXT) | instid1(VALU_DEP_2)
	v_perm_b32 v85, v88, v90, 0x5040100
	v_perm_b32 v84, v89, v66, 0x5040100
	ds_store_b128 v76, v[69:72]
	ds_store_b128 v76, v[83:86] offset:1024
	v_cmpx_gt_u32_e32 6, v0
	s_cbranch_execz .LBB1631_78
; %bb.77:
	s_mul_i32 s3, s7, s30
	s_load_b128 s[8:11], s[0:1], 0x58
	v_add3_u32 v69, s3, s29, v65
	s_delay_alu instid0(VALU_DEP_1) | instskip(NEXT) | instid1(VALU_DEP_1)
	v_mad_u64_u32 v[65:66], null, v69, s34, s[14:15]
	v_ashrrev_i32_e32 v66, 31, v65
	s_delay_alu instid0(VALU_DEP_1) | instskip(SKIP_1) | instid1(VALU_DEP_1)
	v_lshlrev_b64 v[65:66], 2, v[65:66]
	s_waitcnt lgkmcnt(0)
	v_add_co_u32 v69, vcc_lo, s10, v65
	s_delay_alu instid0(VALU_DEP_2)
	v_add_co_ci_u32_e32 v70, vcc_lo, s11, v66, vcc_lo
	v_add_co_u32 v65, vcc_lo, s8, v65
	v_add_co_ci_u32_e32 v66, vcc_lo, s9, v66, vcc_lo
	global_store_b32 v[69:70], v67, off
	global_store_b32 v[65:66], v68, off
.LBB1631_78:
	s_or_b32 exec_lo, exec_lo, s2
	s_waitcnt lgkmcnt(0)
	s_waitcnt_vscnt null, 0x0
	s_barrier
	buffer_gl0_inv
	ds_load_b128 v[83:86], v80
	ds_load_b128 v[87:90], v80 offset:16
	ds_load_b128 v[95:98], v80 offset:2064
	;; [unrolled: 1-line block ×3, first 2 shown]
	v_mov_b32_e32 v65, 0
	ds_load_b128 v[103:106], v80 offset:4112
	ds_load_b128 v[99:102], v80 offset:4096
	ds_load_b128 v[111:114], v80 offset:6160
	ds_load_b128 v[107:110], v80 offset:6144
	v_mov_b32_e32 v66, v65
	v_mov_b32_e32 v67, v65
	;; [unrolled: 1-line block ×7, first 2 shown]
	s_waitcnt lgkmcnt(6)
	s_delay_alu instid0(VALU_DEP_1)
	v_wmma_f32_16x16x16_bf16 v[65:72], v[41:48], v[83:90], v[65:72]
	ds_load_b128 v[45:48], v80 offset:8208
	ds_load_b128 v[41:44], v80 offset:8192
	s_waitcnt lgkmcnt(6)
	v_wmma_f32_16x16x16_bf16 v[65:72], v[33:40], v[91:98], v[65:72]
	ds_load_b128 v[37:40], v80 offset:10256
	ds_load_b128 v[33:36], v80 offset:10240
	s_waitcnt lgkmcnt(6)
	;; [unrolled: 4-line block ×4, first 2 shown]
	v_wmma_f32_16x16x16_bf16 v[65:72], v[1:8], v[41:48], v[65:72]
	s_waitcnt lgkmcnt(4)
	s_delay_alu instid0(VALU_DEP_1) | instskip(SKIP_1) | instid1(VALU_DEP_1)
	v_wmma_f32_16x16x16_bf16 v[65:72], v[9:16], v[33:40], v[65:72]
	s_waitcnt lgkmcnt(2)
	v_wmma_f32_16x16x16_bf16 v[65:72], v[57:64], v[25:32], v[65:72]
	s_waitcnt lgkmcnt(0)
	s_delay_alu instid0(VALU_DEP_1) | instskip(NEXT) | instid1(VALU_DEP_1)
	v_wmma_f32_16x16x16_bf16 v[65:72], v[49:56], v[17:24], v[65:72]
	v_and_b32_e32 v1, 0x7f800000, v65
	s_delay_alu instid0(VALU_DEP_1) | instskip(SKIP_1) | instid1(SALU_CYCLE_1)
	v_cmp_ne_u32_e32 vcc_lo, 0x7f800000, v1
                                        ; implicit-def: $vgpr1
	s_and_saveexec_b32 s2, vcc_lo
	s_xor_b32 s2, exec_lo, s2
; %bb.79:
	v_bfe_u32 v1, v65, 16, 1
	s_delay_alu instid0(VALU_DEP_1)
	v_add3_u32 v1, v65, v1, 0x7fff
; %bb.80:
	s_and_not1_saveexec_b32 s2, s2
; %bb.81:
	v_and_b32_e32 v1, 0xffff, v65
	v_or_b32_e32 v2, 0x10000, v65
	s_delay_alu instid0(VALU_DEP_2) | instskip(NEXT) | instid1(VALU_DEP_2)
	v_cmp_eq_u32_e32 vcc_lo, 0, v1
	v_cndmask_b32_e32 v1, v2, v65, vcc_lo
; %bb.82:
	s_or_b32 exec_lo, exec_lo, s2
	v_and_b32_e32 v2, 0x7f800000, v66
	s_delay_alu instid0(VALU_DEP_1) | instskip(SKIP_1) | instid1(SALU_CYCLE_1)
	v_cmp_ne_u32_e32 vcc_lo, 0x7f800000, v2
                                        ; implicit-def: $vgpr2
	s_and_saveexec_b32 s2, vcc_lo
	s_xor_b32 s2, exec_lo, s2
; %bb.83:
	v_bfe_u32 v2, v66, 16, 1
	s_delay_alu instid0(VALU_DEP_1)
	v_add3_u32 v2, v66, v2, 0x7fff
; %bb.84:
	s_and_not1_saveexec_b32 s2, s2
; %bb.85:
	v_and_b32_e32 v2, 0xffff, v66
	v_or_b32_e32 v3, 0x10000, v66
	s_delay_alu instid0(VALU_DEP_2) | instskip(NEXT) | instid1(VALU_DEP_2)
	v_cmp_eq_u32_e32 vcc_lo, 0, v2
	v_cndmask_b32_e32 v2, v3, v66, vcc_lo
; %bb.86:
	s_or_b32 exec_lo, exec_lo, s2
	v_and_b32_e32 v3, 0x7f800000, v67
	s_delay_alu instid0(VALU_DEP_1) | instskip(SKIP_1) | instid1(SALU_CYCLE_1)
	v_cmp_ne_u32_e32 vcc_lo, 0x7f800000, v3
                                        ; implicit-def: $vgpr3
	s_and_saveexec_b32 s2, vcc_lo
	s_xor_b32 s2, exec_lo, s2
; %bb.87:
	v_bfe_u32 v3, v67, 16, 1
	s_delay_alu instid0(VALU_DEP_1)
	v_add3_u32 v3, v67, v3, 0x7fff
; %bb.88:
	s_and_not1_saveexec_b32 s2, s2
; %bb.89:
	v_and_b32_e32 v3, 0xffff, v67
	v_or_b32_e32 v4, 0x10000, v67
	s_delay_alu instid0(VALU_DEP_2) | instskip(NEXT) | instid1(VALU_DEP_2)
	v_cmp_eq_u32_e32 vcc_lo, 0, v3
	v_cndmask_b32_e32 v3, v4, v67, vcc_lo
; %bb.90:
	s_or_b32 exec_lo, exec_lo, s2
	v_and_b32_e32 v4, 0x7f800000, v68
	s_delay_alu instid0(VALU_DEP_1) | instskip(SKIP_1) | instid1(SALU_CYCLE_1)
	v_cmp_ne_u32_e32 vcc_lo, 0x7f800000, v4
                                        ; implicit-def: $vgpr4
	s_and_saveexec_b32 s2, vcc_lo
	s_xor_b32 s2, exec_lo, s2
; %bb.91:
	v_bfe_u32 v4, v68, 16, 1
	s_delay_alu instid0(VALU_DEP_1)
	v_add3_u32 v4, v68, v4, 0x7fff
; %bb.92:
	s_and_not1_saveexec_b32 s2, s2
; %bb.93:
	v_and_b32_e32 v4, 0xffff, v68
	v_or_b32_e32 v5, 0x10000, v68
	s_delay_alu instid0(VALU_DEP_2) | instskip(NEXT) | instid1(VALU_DEP_2)
	v_cmp_eq_u32_e32 vcc_lo, 0, v4
	v_cndmask_b32_e32 v4, v5, v68, vcc_lo
; %bb.94:
	s_or_b32 exec_lo, exec_lo, s2
	v_and_b32_e32 v5, 0x7f800000, v69
	s_delay_alu instid0(VALU_DEP_1) | instskip(SKIP_1) | instid1(SALU_CYCLE_1)
	v_cmp_ne_u32_e32 vcc_lo, 0x7f800000, v5
                                        ; implicit-def: $vgpr5
	s_and_saveexec_b32 s2, vcc_lo
	s_xor_b32 s2, exec_lo, s2
; %bb.95:
	v_bfe_u32 v5, v69, 16, 1
	s_delay_alu instid0(VALU_DEP_1)
	v_add3_u32 v5, v69, v5, 0x7fff
; %bb.96:
	s_and_not1_saveexec_b32 s2, s2
; %bb.97:
	v_and_b32_e32 v5, 0xffff, v69
	v_or_b32_e32 v6, 0x10000, v69
	s_delay_alu instid0(VALU_DEP_2) | instskip(NEXT) | instid1(VALU_DEP_2)
	v_cmp_eq_u32_e32 vcc_lo, 0, v5
	v_cndmask_b32_e32 v5, v6, v69, vcc_lo
; %bb.98:
	s_or_b32 exec_lo, exec_lo, s2
	v_and_b32_e32 v6, 0x7f800000, v70
	s_delay_alu instid0(VALU_DEP_1) | instskip(SKIP_1) | instid1(SALU_CYCLE_1)
	v_cmp_ne_u32_e32 vcc_lo, 0x7f800000, v6
                                        ; implicit-def: $vgpr6
	s_and_saveexec_b32 s2, vcc_lo
	s_xor_b32 s2, exec_lo, s2
; %bb.99:
	v_bfe_u32 v6, v70, 16, 1
	s_delay_alu instid0(VALU_DEP_1)
	v_add3_u32 v6, v70, v6, 0x7fff
; %bb.100:
	s_and_not1_saveexec_b32 s2, s2
; %bb.101:
	v_and_b32_e32 v6, 0xffff, v70
	v_or_b32_e32 v7, 0x10000, v70
	s_delay_alu instid0(VALU_DEP_2) | instskip(NEXT) | instid1(VALU_DEP_2)
	v_cmp_eq_u32_e32 vcc_lo, 0, v6
	v_cndmask_b32_e32 v6, v7, v70, vcc_lo
; %bb.102:
	s_or_b32 exec_lo, exec_lo, s2
	v_and_b32_e32 v7, 0x7f800000, v71
	s_delay_alu instid0(VALU_DEP_1) | instskip(SKIP_1) | instid1(SALU_CYCLE_1)
	v_cmp_ne_u32_e32 vcc_lo, 0x7f800000, v7
                                        ; implicit-def: $vgpr7
	s_and_saveexec_b32 s2, vcc_lo
	s_xor_b32 s2, exec_lo, s2
; %bb.103:
	v_bfe_u32 v7, v71, 16, 1
	s_delay_alu instid0(VALU_DEP_1)
	v_add3_u32 v7, v71, v7, 0x7fff
; %bb.104:
	s_and_not1_saveexec_b32 s2, s2
; %bb.105:
	v_and_b32_e32 v7, 0xffff, v71
	v_or_b32_e32 v8, 0x10000, v71
	s_delay_alu instid0(VALU_DEP_2) | instskip(NEXT) | instid1(VALU_DEP_2)
	v_cmp_eq_u32_e32 vcc_lo, 0, v7
	v_cndmask_b32_e32 v7, v8, v71, vcc_lo
; %bb.106:
	s_or_b32 exec_lo, exec_lo, s2
	v_and_b32_e32 v8, 0x7f800000, v72
	s_delay_alu instid0(VALU_DEP_1) | instskip(SKIP_1) | instid1(SALU_CYCLE_1)
	v_cmp_ne_u32_e32 vcc_lo, 0x7f800000, v8
                                        ; implicit-def: $vgpr8
	s_and_saveexec_b32 s2, vcc_lo
	s_xor_b32 s2, exec_lo, s2
; %bb.107:
	v_bfe_u32 v8, v72, 16, 1
	s_delay_alu instid0(VALU_DEP_1)
	v_add3_u32 v8, v72, v8, 0x7fff
                                        ; implicit-def: $vgpr65_vgpr66_vgpr67_vgpr68_vgpr69_vgpr70_vgpr71_vgpr72
; %bb.108:
	s_and_not1_saveexec_b32 s2, s2
; %bb.109:
	v_and_b32_e32 v8, 0xffff, v72
	v_or_b32_e32 v9, 0x10000, v72
	s_delay_alu instid0(VALU_DEP_2) | instskip(NEXT) | instid1(VALU_DEP_2)
	v_cmp_eq_u32_e32 vcc_lo, 0, v8
	v_cndmask_b32_e32 v8, v9, v72, vcc_lo
; %bb.110:
	s_or_b32 exec_lo, exec_lo, s2
	s_delay_alu instid0(VALU_DEP_1)
	v_perm_b32 v7, v8, v7, 0x7060302
	v_perm_b32 v6, v6, v5, 0x7060302
	;; [unrolled: 1-line block ×4, first 2 shown]
	s_barrier
	buffer_gl0_inv
	v_cmp_eq_u32_e32 vcc_lo, 1, v78
	ds_store_b128 v76, v[4:7]
	s_waitcnt lgkmcnt(0)
	s_barrier
	buffer_gl0_inv
	ds_load_b128 v[1:4], v82
	ds_load_b128 v[5:8], v82 offset:16
	v_cmp_eq_u32_e64 s2, 1, v79
	v_cmp_eq_u32_e64 s3, 2, v78
	;; [unrolled: 1-line block ×5, first 2 shown]
	s_waitcnt lgkmcnt(1)
	v_lshrrev_b32_e32 v9, 16, v1
	s_waitcnt lgkmcnt(0)
	v_lshrrev_b32_e32 v13, 16, v5
	v_lshrrev_b32_e32 v10, 16, v2
	;; [unrolled: 1-line block ×4, first 2 shown]
	v_cndmask_b32_e64 v19, v1, v9, s2
	v_cndmask_b32_e32 v18, v5, v13, vcc_lo
	v_cndmask_b32_e64 v20, v5, v13, s2
	v_cndmask_b32_e32 v17, v1, v9, vcc_lo
	v_cmp_eq_u32_e32 vcc_lo, 2, v79
	v_lshrrev_b32_e32 v15, 16, v7
	v_cmp_eq_u32_e64 s2, 1, v77
	v_lshrrev_b32_e32 v12, 16, v4
	v_lshrrev_b32_e32 v16, 16, v8
	v_cndmask_b32_e32 v20, v20, v6, vcc_lo
	v_cndmask_b32_e64 v17, v17, v2, s3
	v_cndmask_b32_e32 v19, v19, v2, vcc_lo
	v_cndmask_b32_e64 v18, v18, v6, s3
	v_cmp_eq_u32_e32 vcc_lo, 4, v78
	v_cmp_eq_u32_e64 s3, 3, v79
	v_cndmask_b32_e64 v17, v17, v10, s4
	v_cndmask_b32_e64 v21, v1, v9, s2
	;; [unrolled: 1-line block ×5, first 2 shown]
	v_cndmask_b32_e32 v17, v17, v3, vcc_lo
	v_cndmask_b32_e64 v20, v20, v14, s3
	v_cndmask_b32_e32 v18, v18, v7, vcc_lo
	v_cmp_eq_u32_e32 vcc_lo, 4, v79
	v_cmp_eq_u32_e64 s3, 5, v79
	v_cmp_eq_u32_e64 s2, 2, v81
	v_cndmask_b32_e64 v21, v21, v2, s6
	v_cmp_eq_u32_e64 s4, 5, v78
	v_cndmask_b32_e32 v19, v19, v3, vcc_lo
	v_cndmask_b32_e32 v20, v20, v7, vcc_lo
	v_cmp_eq_u32_e32 vcc_lo, 6, v79
	s_delay_alu instid0(VALU_DEP_4) | instskip(NEXT) | instid1(VALU_DEP_4)
	v_cndmask_b32_e64 v17, v17, v11, s4
	v_cndmask_b32_e64 v19, v19, v11, s3
	s_delay_alu instid0(VALU_DEP_4) | instskip(SKIP_1) | instid1(VALU_DEP_3)
	v_cndmask_b32_e64 v20, v20, v15, s3
	v_cmp_eq_u32_e64 s3, 1, v81
	v_cndmask_b32_e32 v19, v19, v4, vcc_lo
	v_cndmask_b32_e64 v18, v18, v15, s4
	s_delay_alu instid0(VALU_DEP_3)
	v_cndmask_b32_e64 v1, v1, v9, s3
	v_cndmask_b32_e64 v5, v5, v13, s3
	v_cmp_eq_u32_e64 s3, 3, v77
	v_cndmask_b32_e64 v13, v22, v6, s6
	v_cmp_eq_u32_e64 s6, 3, v81
	v_cndmask_b32_e64 v1, v1, v2, s2
	v_cndmask_b32_e64 v2, v5, v6, s2
	;; [unrolled: 1-line block ×3, first 2 shown]
	v_cmp_eq_u32_e64 s2, 4, v77
	v_cndmask_b32_e64 v6, v13, v14, s3
	v_cndmask_b32_e64 v1, v1, v10, s6
	v_cmp_eq_u32_e64 s3, 4, v81
	v_cndmask_b32_e64 v2, v2, v14, s6
	v_cndmask_b32_e64 v5, v9, v3, s2
	v_cmp_eq_u32_e64 s6, 5, v77
	v_cndmask_b32_e64 v6, v6, v7, s2
	v_cndmask_b32_e64 v1, v1, v3, s3
	v_cndmask_b32_e64 v2, v2, v7, s3
	v_cmp_eq_u32_e64 s2, 5, v81
	v_cmp_eq_u32_e64 s4, 6, v78
	v_cndmask_b32_e64 v5, v5, v11, s6
	v_cmp_eq_u32_e64 s3, 6, v77
	v_cndmask_b32_e64 v3, v6, v15, s6
	v_cndmask_b32_e64 v1, v1, v11, s2
	v_cmp_eq_u32_e64 s6, 6, v81
	v_cndmask_b32_e64 v2, v2, v15, s2
	v_cndmask_b32_e64 v17, v17, v4, s4
	v_cndmask_b32_e64 v18, v18, v8, s4
	v_cmp_eq_u32_e64 s4, 7, v78
	v_cndmask_b32_e64 v5, v5, v4, s3
	;; [unrolled: 4-line block ×3, first 2 shown]
	v_cmp_eq_u32_e64 s3, 7, v77
	v_cndmask_b32_e32 v4, v20, v8, vcc_lo
	v_cndmask_b32_e64 v17, v17, v12, s4
	v_cndmask_b32_e64 v19, v19, v12, s5
	v_cndmask_b32_e64 v1, v1, v12, s2
	v_cndmask_b32_e64 v5, v5, v12, s3
	v_cndmask_b32_e64 v2, v2, v16, s2
	v_cndmask_b32_e64 v3, v3, v16, s3
	v_cndmask_b32_e64 v6, v4, v16, s5
	v_cndmask_b32_e64 v7, v18, v16, s4
	s_mov_b32 s2, exec_lo
	v_perm_b32 v4, v2, v1, 0x5040100
	v_perm_b32 v3, v3, v5, 0x5040100
	;; [unrolled: 1-line block ×4, first 2 shown]
	ds_store_b128 v76, v[1:4]
	s_waitcnt lgkmcnt(0)
	s_barrier
	buffer_gl0_inv
	v_cmpx_gt_u32_e32 32, v0
	s_cbranch_execz .LBB1631_2
; %bb.111:
	s_load_b64 s[0:1], s[0:1], 0x68
	s_lshl_b32 s4, s34, 7
	v_or_b32_e32 v3, s29, v74
	s_mul_i32 s2, s4, s30
	v_lshlrev_b32_e32 v0, 10, v0
	s_mul_i32 s2, s2, s7
	v_lshlrev_b32_e32 v1, 4, v75
	s_ashr_i32 s3, s2, 31
	v_mul_lo_u32 v12, v3, s4
	s_lshl_b64 s[2:3], s[2:3], 1
	v_lshlrev_b32_e32 v2, 6, v74
	v_and_b32_e32 v0, 0x3800, v0
	s_delay_alu instid0(VALU_DEP_1) | instskip(NEXT) | instid1(VALU_DEP_4)
	v_or3_b32 v8, v0, v1, v2
	v_ashrrev_i32_e32 v13, 31, v12
	ds_load_b128 v[0:3], v8
	ds_load_b128 v[4:7], v8 offset:128
	ds_load_b128 v[8:11], v8 offset:256
	s_waitcnt lgkmcnt(0)
	s_add_u32 s2, s0, s2
	s_addc_u32 s3, s1, s3
	s_lshl_b32 s0, s14, 7
	s_delay_alu instid0(SALU_CYCLE_1) | instskip(NEXT) | instid1(SALU_CYCLE_1)
	s_ashr_i32 s1, s0, 31
	s_lshl_b64 s[0:1], s[0:1], 1
	s_delay_alu instid0(SALU_CYCLE_1)
	s_add_u32 s0, s2, s0
	s_addc_u32 s1, s3, s1
	s_lshl_b32 s2, s34, 8
	v_add_co_u32 v18, s0, s0, v73
	v_add_nc_u32_e32 v14, s2, v12
	v_lshlrev_b64 v[12:13], 1, v[12:13]
	v_add_co_ci_u32_e64 v19, null, s1, 0, s0
	s_delay_alu instid0(VALU_DEP_3) | instskip(SKIP_1) | instid1(VALU_DEP_4)
	v_add_nc_u32_e32 v16, s2, v14
	v_ashrrev_i32_e32 v15, 31, v14
	v_add_co_u32 v12, vcc_lo, v18, v12
	s_delay_alu instid0(VALU_DEP_4) | instskip(NEXT) | instid1(VALU_DEP_4)
	v_add_co_ci_u32_e32 v13, vcc_lo, v19, v13, vcc_lo
	v_ashrrev_i32_e32 v17, 31, v16
	s_delay_alu instid0(VALU_DEP_4) | instskip(NEXT) | instid1(VALU_DEP_2)
	v_lshlrev_b64 v[14:15], 1, v[14:15]
	v_lshlrev_b64 v[16:17], 1, v[16:17]
	s_delay_alu instid0(VALU_DEP_2) | instskip(NEXT) | instid1(VALU_DEP_3)
	v_add_co_u32 v14, vcc_lo, v18, v14
	v_add_co_ci_u32_e32 v15, vcc_lo, v19, v15, vcc_lo
	s_delay_alu instid0(VALU_DEP_3) | instskip(NEXT) | instid1(VALU_DEP_4)
	v_add_co_u32 v16, vcc_lo, v18, v16
	v_add_co_ci_u32_e32 v17, vcc_lo, v19, v17, vcc_lo
	s_clause 0x2
	global_store_b128 v[12:13], v[0:3], off
	global_store_b128 v[14:15], v[4:7], off
	;; [unrolled: 1-line block ×3, first 2 shown]
	s_nop 0
	s_sendmsg sendmsg(MSG_DEALLOC_VGPRS)
	s_endpgm
	.section	.rodata,"a",@progbits
	.p2align	6, 0x0
	.amdhsa_kernel _Z39paged_attention_ll4mi_QKV_mfma16_kernelI14__hip_bfloat16hLN4vllm18Fp8KVCacheDataTypeE1ES0_Li32ELi128ELi256ELb1ELi6EL8MFMAType1EEvPKT_PKT0_S9_ifPKiSB_SB_iPKfiiiPfSE_PS4_PT2_iSD_SD_
		.amdhsa_group_segment_fixed_size 17472
		.amdhsa_private_segment_fixed_size 0
		.amdhsa_kernarg_size 400
		.amdhsa_user_sgpr_count 13
		.amdhsa_user_sgpr_dispatch_ptr 0
		.amdhsa_user_sgpr_queue_ptr 0
		.amdhsa_user_sgpr_kernarg_segment_ptr 1
		.amdhsa_user_sgpr_dispatch_id 0
		.amdhsa_user_sgpr_private_segment_size 0
		.amdhsa_wavefront_size32 1
		.amdhsa_uses_dynamic_stack 0
		.amdhsa_enable_private_segment 0
		.amdhsa_system_sgpr_workgroup_id_x 1
		.amdhsa_system_sgpr_workgroup_id_y 1
		.amdhsa_system_sgpr_workgroup_id_z 1
		.amdhsa_system_sgpr_workgroup_info 0
		.amdhsa_system_vgpr_workitem_id 0
		.amdhsa_next_free_vgpr 140
		.amdhsa_next_free_sgpr 36
		.amdhsa_reserve_vcc 1
		.amdhsa_float_round_mode_32 0
		.amdhsa_float_round_mode_16_64 0
		.amdhsa_float_denorm_mode_32 3
		.amdhsa_float_denorm_mode_16_64 3
		.amdhsa_dx10_clamp 1
		.amdhsa_ieee_mode 1
		.amdhsa_fp16_overflow 0
		.amdhsa_workgroup_processor_mode 1
		.amdhsa_memory_ordered 1
		.amdhsa_forward_progress 0
		.amdhsa_shared_vgpr_count 0
		.amdhsa_exception_fp_ieee_invalid_op 0
		.amdhsa_exception_fp_denorm_src 0
		.amdhsa_exception_fp_ieee_div_zero 0
		.amdhsa_exception_fp_ieee_overflow 0
		.amdhsa_exception_fp_ieee_underflow 0
		.amdhsa_exception_fp_ieee_inexact 0
		.amdhsa_exception_int_div_zero 0
	.end_amdhsa_kernel
	.section	.text._Z39paged_attention_ll4mi_QKV_mfma16_kernelI14__hip_bfloat16hLN4vllm18Fp8KVCacheDataTypeE1ES0_Li32ELi128ELi256ELb1ELi6EL8MFMAType1EEvPKT_PKT0_S9_ifPKiSB_SB_iPKfiiiPfSE_PS4_PT2_iSD_SD_,"axG",@progbits,_Z39paged_attention_ll4mi_QKV_mfma16_kernelI14__hip_bfloat16hLN4vllm18Fp8KVCacheDataTypeE1ES0_Li32ELi128ELi256ELb1ELi6EL8MFMAType1EEvPKT_PKT0_S9_ifPKiSB_SB_iPKfiiiPfSE_PS4_PT2_iSD_SD_,comdat
.Lfunc_end1631:
	.size	_Z39paged_attention_ll4mi_QKV_mfma16_kernelI14__hip_bfloat16hLN4vllm18Fp8KVCacheDataTypeE1ES0_Li32ELi128ELi256ELb1ELi6EL8MFMAType1EEvPKT_PKT0_S9_ifPKiSB_SB_iPKfiiiPfSE_PS4_PT2_iSD_SD_, .Lfunc_end1631-_Z39paged_attention_ll4mi_QKV_mfma16_kernelI14__hip_bfloat16hLN4vllm18Fp8KVCacheDataTypeE1ES0_Li32ELi128ELi256ELb1ELi6EL8MFMAType1EEvPKT_PKT0_S9_ifPKiSB_SB_iPKfiiiPfSE_PS4_PT2_iSD_SD_
                                        ; -- End function
	.section	.AMDGPU.csdata,"",@progbits
; Kernel info:
; codeLenInByte = 8896
; NumSgprs: 38
; NumVgprs: 140
; ScratchSize: 0
; MemoryBound: 0
; FloatMode: 240
; IeeeMode: 1
; LDSByteSize: 17472 bytes/workgroup (compile time only)
; SGPRBlocks: 4
; VGPRBlocks: 17
; NumSGPRsForWavesPerEU: 38
; NumVGPRsForWavesPerEU: 140
; Occupancy: 10
; WaveLimiterHint : 1
; COMPUTE_PGM_RSRC2:SCRATCH_EN: 0
; COMPUTE_PGM_RSRC2:USER_SGPR: 13
; COMPUTE_PGM_RSRC2:TRAP_HANDLER: 0
; COMPUTE_PGM_RSRC2:TGID_X_EN: 1
; COMPUTE_PGM_RSRC2:TGID_Y_EN: 1
; COMPUTE_PGM_RSRC2:TGID_Z_EN: 1
; COMPUTE_PGM_RSRC2:TIDIG_COMP_CNT: 0
	.section	.text._Z39paged_attention_ll4mi_QKV_mfma16_kernelI14__hip_bfloat16hLN4vllm18Fp8KVCacheDataTypeE1ES0_Li32ELi128ELi256ELb1ELi7EL8MFMAType1EEvPKT_PKT0_S9_ifPKiSB_SB_iPKfiiiPfSE_PS4_PT2_iSD_SD_,"axG",@progbits,_Z39paged_attention_ll4mi_QKV_mfma16_kernelI14__hip_bfloat16hLN4vllm18Fp8KVCacheDataTypeE1ES0_Li32ELi128ELi256ELb1ELi7EL8MFMAType1EEvPKT_PKT0_S9_ifPKiSB_SB_iPKfiiiPfSE_PS4_PT2_iSD_SD_,comdat
	.protected	_Z39paged_attention_ll4mi_QKV_mfma16_kernelI14__hip_bfloat16hLN4vllm18Fp8KVCacheDataTypeE1ES0_Li32ELi128ELi256ELb1ELi7EL8MFMAType1EEvPKT_PKT0_S9_ifPKiSB_SB_iPKfiiiPfSE_PS4_PT2_iSD_SD_ ; -- Begin function _Z39paged_attention_ll4mi_QKV_mfma16_kernelI14__hip_bfloat16hLN4vllm18Fp8KVCacheDataTypeE1ES0_Li32ELi128ELi256ELb1ELi7EL8MFMAType1EEvPKT_PKT0_S9_ifPKiSB_SB_iPKfiiiPfSE_PS4_PT2_iSD_SD_
	.globl	_Z39paged_attention_ll4mi_QKV_mfma16_kernelI14__hip_bfloat16hLN4vllm18Fp8KVCacheDataTypeE1ES0_Li32ELi128ELi256ELb1ELi7EL8MFMAType1EEvPKT_PKT0_S9_ifPKiSB_SB_iPKfiiiPfSE_PS4_PT2_iSD_SD_
	.p2align	8
	.type	_Z39paged_attention_ll4mi_QKV_mfma16_kernelI14__hip_bfloat16hLN4vllm18Fp8KVCacheDataTypeE1ES0_Li32ELi128ELi256ELb1ELi7EL8MFMAType1EEvPKT_PKT0_S9_ifPKiSB_SB_iPKfiiiPfSE_PS4_PT2_iSD_SD_,@function
_Z39paged_attention_ll4mi_QKV_mfma16_kernelI14__hip_bfloat16hLN4vllm18Fp8KVCacheDataTypeE1ES0_Li32ELi128ELi256ELb1ELi7EL8MFMAType1EEvPKT_PKT0_S9_ifPKiSB_SB_iPKfiiiPfSE_PS4_PT2_iSD_SD_: ; @_Z39paged_attention_ll4mi_QKV_mfma16_kernelI14__hip_bfloat16hLN4vllm18Fp8KVCacheDataTypeE1ES0_Li32ELi128ELi256ELb1ELi7EL8MFMAType1EEvPKT_PKT0_S9_ifPKiSB_SB_iPKfiiiPfSE_PS4_PT2_iSD_SD_
; %bb.0:
	s_load_b64 s[4:5], s[0:1], 0x30
	s_mov_b32 s30, s13
	s_waitcnt lgkmcnt(0)
	s_cmp_lg_u64 s[4:5], 0
	s_cselect_b32 s13, -1, 0
	s_ashr_i32 s31, s30, 31
	s_cmp_eq_u64 s[4:5], 0
	s_cbranch_scc1 .LBB1632_3
; %bb.1:
	s_lshl_b64 s[2:3], s[30:31], 2
	s_delay_alu instid0(SALU_CYCLE_1) | instskip(SKIP_4) | instid1(SALU_CYCLE_1)
	s_add_u32 s2, s4, s2
	s_addc_u32 s3, s5, s3
	s_load_b64 s[2:3], s[2:3], 0x0
	s_waitcnt lgkmcnt(0)
	s_sub_i32 s2, s3, s2
	s_cmp_eq_u32 s2, 1
	s_cselect_b32 s2, -1, 0
	s_delay_alu instid0(SALU_CYCLE_1)
	s_and_not1_b32 vcc_lo, exec_lo, s2
	s_cbranch_vccz .LBB1632_4
.LBB1632_2:
	s_nop 0
	s_sendmsg sendmsg(MSG_DEALLOC_VGPRS)
	s_endpgm
.LBB1632_3:
.LBB1632_4:
	s_load_b64 s[2:3], s[0:1], 0x28
	s_lshl_b64 s[6:7], s[30:31], 2
	s_waitcnt lgkmcnt(0)
	s_add_u32 s2, s2, s6
	s_addc_u32 s3, s3, s7
	s_lshl_b32 s12, s14, 8
	s_load_b32 s17, s[2:3], 0x0
	s_waitcnt lgkmcnt(0)
	s_cmp_ge_i32 s12, s17
	s_cbranch_scc1 .LBB1632_2
; %bb.5:
	s_clause 0x1
	s_load_b128 s[8:11], s[0:1], 0x8
	s_load_b64 s[2:3], s[0:1], 0x20
	s_and_not1_b32 vcc_lo, exec_lo, s13
	s_cbranch_vccnz .LBB1632_7
; %bb.6:
	s_add_u32 s4, s4, s6
	s_addc_u32 s5, s5, s7
	s_load_b32 s13, s[4:5], 0x0
	s_branch .LBB1632_8
.LBB1632_7:
	s_mov_b32 s13, s30
.LBB1632_8:
	s_load_b128 s[4:7], s[0:1], 0x48
	v_and_b32_e32 v65, 15, v0
	v_lshrrev_b32_e32 v66, 5, v0
	v_bfe_u32 v74, v0, 4, 1
	v_and_b32_e32 v67, 31, v0
	v_and_b32_e32 v75, 1, v0
	v_lshlrev_b32_e32 v2, 3, v65
	s_mul_i32 s31, s15, 7
	v_lshl_or_b32 v1, v66, 1, v74
	s_waitcnt lgkmcnt(0)
	s_mov_b32 s7, exec_lo
	v_lshlrev_b32_e32 v73, 1, v2
	s_delay_alu instid0(VALU_DEP_2)
	v_cmpx_gt_u32_e32 7, v1
	s_cbranch_execz .LBB1632_10
; %bb.9:
	s_load_b64 s[18:19], s[0:1], 0x0
	v_add_lshl_u32 v2, v1, s31, 7
	s_mul_hi_i32 s21, s13, s4
	s_mul_i32 s20, s13, s4
	v_lshlrev_b32_e32 v6, 10, v65
	s_lshl_b64 s[20:21], s[20:21], 1
	v_ashrrev_i32_e32 v3, 31, v2
	v_lshlrev_b32_e32 v1, 6, v1
	v_lshlrev_b32_e32 v7, 10, v75
	v_and_b32_e32 v6, 0x3800, v6
	s_delay_alu instid0(VALU_DEP_4) | instskip(NEXT) | instid1(VALU_DEP_2)
	v_lshlrev_b64 v[2:3], 1, v[2:3]
	v_or3_b32 v1, v6, v7, v1
	s_waitcnt lgkmcnt(0)
	s_add_u32 s4, s18, s20
	s_addc_u32 s13, s19, s21
	s_delay_alu instid0(VALU_DEP_2) | instskip(SKIP_1) | instid1(VALU_DEP_2)
	v_add_co_u32 v2, vcc_lo, s4, v2
	v_add_co_ci_u32_e32 v3, vcc_lo, s13, v3, vcc_lo
	v_add_co_u32 v2, vcc_lo, v2, v73
	s_delay_alu instid0(VALU_DEP_2)
	v_add_co_ci_u32_e32 v3, vcc_lo, 0, v3, vcc_lo
	global_load_b128 v[2:5], v[2:3], off
	s_waitcnt vmcnt(0)
	ds_store_b128 v1, v[2:5]
.LBB1632_10:
	s_or_b32 exec_lo, exec_lo, s7
	v_and_b32_e32 v1, 0xef, v0
	s_add_i32 s4, s17, 31
	s_clause 0x1
	s_load_b32 s7, s[0:1], 0x38
	s_load_b32 s18, s[0:1], 0x1c
	s_ashr_i32 s13, s4, 31
	v_add_nc_u32_e32 v2, s12, v1
	s_lshr_b32 s13, s13, 27
	s_waitcnt lgkmcnt(0)
	s_add_i32 s4, s4, s13
	s_barrier
	v_ashrrev_i32_e32 v1, 31, v2
	s_ashr_i32 s4, s4, 5
	v_cmp_gt_i32_e32 vcc_lo, s17, v2
	s_add_i32 s4, s4, -1
	buffer_gl0_inv
	v_lshrrev_b32_e32 v3, 27, v1
	v_or_b32_e32 v1, 16, v2
	s_mul_i32 s15, s15, s6
	s_delay_alu instid0(VALU_DEP_2) | instskip(SKIP_1) | instid1(SALU_CYCLE_1)
	v_add_nc_u32_e32 v4, v2, v3
	s_mul_i32 s20, s30, s7
	s_ashr_i32 s21, s20, 31
	s_delay_alu instid0(VALU_DEP_1) | instskip(SKIP_2) | instid1(SALU_CYCLE_1)
	v_ashrrev_i32_e32 v4, 5, v4
	v_add_nc_u32_e32 v3, v1, v3
	s_lshl_b64 s[20:21], s[20:21], 2
	s_add_u32 s7, s2, s20
	s_delay_alu instid0(VALU_DEP_2) | instskip(NEXT) | instid1(VALU_DEP_2)
	v_cndmask_b32_e32 v2, s4, v4, vcc_lo
	v_ashrrev_i32_e32 v3, 5, v3
	v_cmp_gt_i32_e32 vcc_lo, s17, v1
	s_addc_u32 s13, s3, s21
	s_ashr_i32 s6, s15, 31
	s_add_u32 s2, s8, s15
	s_addc_u32 s3, s9, s6
	v_cndmask_b32_e32 v4, s4, v3, vcc_lo
	v_ashrrev_i32_e32 v3, 31, v2
	s_lshl_b32 s8, s14, 3
	s_delay_alu instid0(SALU_CYCLE_1) | instskip(NEXT) | instid1(VALU_DEP_2)
	s_ashr_i32 s9, s8, 31
	v_ashrrev_i32_e32 v5, 31, v4
	s_delay_alu instid0(VALU_DEP_2) | instskip(SKIP_1) | instid1(SALU_CYCLE_1)
	v_lshlrev_b64 v[1:2], 2, v[2:3]
	s_lshl_b64 s[8:9], s[8:9], 2
	s_add_u32 s8, s7, s8
	s_delay_alu instid0(VALU_DEP_2) | instskip(SKIP_1) | instid1(VALU_DEP_2)
	v_lshlrev_b64 v[3:4], 2, v[4:5]
	s_addc_u32 s9, s13, s9
	v_add_co_u32 v1, vcc_lo, s7, v1
	v_add_co_ci_u32_e32 v2, vcc_lo, s13, v2, vcc_lo
	s_delay_alu instid0(VALU_DEP_3) | instskip(NEXT) | instid1(VALU_DEP_4)
	v_add_co_u32 v3, vcc_lo, s7, v3
	v_add_co_ci_u32_e32 v4, vcc_lo, s13, v4, vcc_lo
	s_clause 0x1
	global_load_b32 v5, v[1:2], off
	global_load_b32 v6, v[3:4], off
	s_or_b32 s16, s12, 32
	s_delay_alu instid0(SALU_CYCLE_1) | instskip(SKIP_2) | instid1(SALU_CYCLE_1)
	s_ashr_i32 s19, s16, 5
	s_cmp_lt_i32 s16, s17
	s_cselect_b32 s20, s19, s4
	s_ashr_i32 s21, s20, 31
	s_delay_alu instid0(SALU_CYCLE_1) | instskip(NEXT) | instid1(SALU_CYCLE_1)
	s_lshl_b64 s[20:21], s[20:21], 2
	s_add_u32 s20, s7, s20
	s_addc_u32 s21, s13, s21
	s_or_b32 s16, s12, 64
	s_delay_alu instid0(SALU_CYCLE_1) | instskip(SKIP_2) | instid1(SALU_CYCLE_1)
	s_ashr_i32 s19, s16, 5
	s_cmp_lt_i32 s16, s17
	s_cselect_b32 s22, s19, s4
	s_ashr_i32 s23, s22, 31
	s_delay_alu instid0(SALU_CYCLE_1) | instskip(NEXT) | instid1(SALU_CYCLE_1)
	s_lshl_b64 s[22:23], s[22:23], 2
	s_add_u32 s22, s7, s22
	s_addc_u32 s23, s13, s23
	;; [unrolled: 10-line block ×5, first 2 shown]
	s_clause 0x5
	s_load_b32 s16, s[8:9], 0x0
	s_load_b32 s19, s[20:21], 0x0
	s_load_b32 s33, s[22:23], 0x0
	s_load_b32 s34, s[24:25], 0x0
	s_load_b32 s35, s[26:27], 0x0
	s_load_b32 s28, s[28:29], 0x0
	s_mov_b32 s20, 0
	s_delay_alu instid0(SALU_CYCLE_1)
	s_mov_b32 s21, s20
	s_mov_b32 s22, s20
	;; [unrolled: 1-line block ×7, first 2 shown]
	s_delay_alu instid0(SALU_CYCLE_1)
	v_dual_mov_b32 v107, s27 :: v_dual_mov_b32 v106, s26
	v_dual_mov_b32 v105, s25 :: v_dual_mov_b32 v102, s22
	;; [unrolled: 1-line block ×4, first 2 shown]
	s_waitcnt vmcnt(1)
	v_mad_i64_i32 v[1:2], null, v5, s5, s[2:3]
	v_lshlrev_b32_e32 v5, 4, v65
	s_waitcnt vmcnt(0)
	v_mad_i64_i32 v[3:4], null, v6, s5, s[2:3]
	s_or_b32 s2, s12, 0xc0
	s_delay_alu instid0(SALU_CYCLE_1) | instskip(NEXT) | instid1(VALU_DEP_3)
	s_ashr_i32 s3, s2, 5
	v_add_co_u32 v25, vcc_lo, v1, v5
	s_delay_alu instid0(VALU_DEP_4) | instskip(NEXT) | instid1(VALU_DEP_3)
	v_add_co_ci_u32_e32 v26, vcc_lo, 0, v2, vcc_lo
	v_add_co_u32 v27, vcc_lo, v3, v5
	s_delay_alu instid0(VALU_DEP_4)
	v_add_co_ci_u32_e32 v28, vcc_lo, 0, v4, vcc_lo
	s_clause 0xf
	global_load_b128 v[1:4], v[25:26], off
	global_load_b128 v[5:8], v[25:26], off offset:512
	global_load_b128 v[9:12], v[27:28], off offset:256
	;; [unrolled: 1-line block ×15, first 2 shown]
	v_mul_lo_u16 v25, v65, 37
	s_cmp_lt_i32 s2, s17
	v_lshlrev_b32_e32 v26, 5, v65
	s_cselect_b32 s2, s3, s4
	s_delay_alu instid0(VALU_DEP_2) | instskip(SKIP_1) | instid1(VALU_DEP_2)
	v_lshrrev_b16 v25, 8, v25
	s_ashr_i32 s3, s2, 31
	v_lshl_or_b32 v33, v66, 9, v26
	s_lshl_b64 s[2:3], s[2:3], 2
	s_delay_alu instid0(VALU_DEP_2) | instskip(SKIP_3) | instid1(VALU_DEP_1)
	v_mul_lo_u16 v25, v25, 7
	s_add_u32 s2, s7, s2
	s_addc_u32 s3, s13, s3
	s_or_b32 s8, s12, 0xe0
	v_sub_nc_u16 v25, v65, v25
	s_ashr_i32 s9, s8, 5
	s_cmp_lt_i32 s8, s17
	s_cselect_b32 s8, s9, s4
	s_delay_alu instid0(VALU_DEP_1) | instskip(SKIP_1) | instid1(SALU_CYCLE_1)
	v_and_b32_e32 v25, 0xff, v25
	s_ashr_i32 s9, s8, 31
	s_lshl_b64 s[8:9], s[8:9], 2
	s_delay_alu instid0(VALU_DEP_1)
	v_lshlrev_b32_e32 v72, 6, v25
	ds_load_b128 v[25:28], v72
	ds_load_b128 v[29:32], v72 offset:1024
	ds_load_b128 v[108:111], v72 offset:2048
	;; [unrolled: 1-line block ×3, first 2 shown]
	s_load_b32 s4, s[2:3], 0x0
	s_add_u32 s2, s7, s8
	s_addc_u32 s3, s13, s9
	ds_load_b128 v[116:119], v72 offset:4096
	ds_load_b128 v[120:123], v72 offset:5120
	s_load_b32 s2, s[2:3], 0x0
	s_add_u32 s7, s10, s15
	s_addc_u32 s6, s11, s6
	v_add_co_u32 v68, s7, s7, v33
	s_delay_alu instid0(VALU_DEP_1) | instskip(SKIP_1) | instid1(VALU_DEP_1)
	v_add_co_ci_u32_e64 v69, null, s6, 0, s7
	s_waitcnt lgkmcnt(0)
	v_mad_i64_i32 v[33:34], null, s16, s5, v[68:69]
	v_mad_i64_i32 v[70:71], null, s33, s5, v[68:69]
	;; [unrolled: 1-line block ×7, first 2 shown]
	s_clause 0x3
	global_load_b128 v[41:44], v[33:34], off
	global_load_b128 v[45:48], v[33:34], off offset:16
	global_load_b128 v[33:36], v[37:38], off
	global_load_b128 v[37:40], v[37:38], off offset:16
	s_waitcnt vmcnt(18)
	v_wmma_f32_16x16x16_bf16 v[124:131], v[1:8], v[25:32], v[100:107]
	s_waitcnt vmcnt(16)
	v_wmma_f32_16x16x16_bf16 v[100:107], v[9:16], v[25:32], v[100:107]
	s_clause 0x1
	global_load_b128 v[25:28], v[70:71], off
	global_load_b128 v[29:32], v[70:71], off offset:16
	s_waitcnt vmcnt(16)
	v_wmma_f32_16x16x16_bf16 v[124:131], v[17:24], v[108:115], v[124:131]
	s_clause 0x1
	global_load_b128 v[17:20], v[132:133], off
	global_load_b128 v[21:24], v[132:133], off offset:16
	s_waitcnt vmcnt(16)
	v_wmma_f32_16x16x16_bf16 v[100:107], v[49:56], v[108:115], v[100:107]
	v_mad_i64_i32 v[53:54], null, s2, s5, v[68:69]
	s_clause 0x3
	global_load_b128 v[1:4], v[134:135], off
	global_load_b128 v[5:8], v[134:135], off offset:16
	global_load_b128 v[9:12], v[136:137], off
	global_load_b128 v[13:16], v[136:137], off offset:16
	s_waitcnt vmcnt(18)
	v_wmma_f32_16x16x16_bf16 v[124:131], v[57:64], v[116:123], v[124:131]
	s_clause 0x3
	global_load_b128 v[57:60], v[138:139], off
	global_load_b128 v[61:64], v[138:139], off offset:16
	global_load_b128 v[49:52], v[53:54], off
	global_load_b128 v[53:56], v[53:54], off offset:16
	s_waitcnt vmcnt(20)
	v_wmma_f32_16x16x16_bf16 v[100:107], v[76:83], v[116:123], v[100:107]
	ds_load_b128 v[76:79], v72 offset:6144
	ds_load_b128 v[80:83], v72 offset:7168
	v_mbcnt_lo_u32_b32 v69, -1, 0
	s_waitcnt vmcnt(0) lgkmcnt(0)
	s_barrier
	buffer_gl0_inv
	v_xor_b32_e32 v70, 16, v69
	s_delay_alu instid0(VALU_DEP_1) | instskip(SKIP_4) | instid1(VALU_DEP_2)
	v_cmp_gt_i32_e32 vcc_lo, 32, v70
	v_cndmask_b32_e32 v69, v69, v70, vcc_lo
	v_wmma_f32_16x16x16_bf16 v[124:131], v[84:91], v[76:83], v[124:131]
	v_and_b32_e32 v68, 0xe0, v0
	v_wmma_f32_16x16x16_bf16 v[100:107], v[92:99], v[76:83], v[100:107]
	v_dual_mul_f32 v81, s18, v129 :: v_dual_add_nc_u32 v68, s12, v68
	s_delay_alu instid0(VALU_DEP_4) | instskip(NEXT) | instid1(VALU_DEP_3)
	v_dual_mul_f32 v83, s18, v131 :: v_dual_mul_f32 v78, s18, v125
	v_mul_f32_e32 v95, s18, v103
	v_mul_f32_e32 v79, s18, v127
	s_delay_alu instid0(VALU_DEP_4) | instskip(SKIP_3) | instid1(VALU_DEP_4)
	v_or_b32_e32 v68, v68, v74
	v_dual_mul_f32 v80, s18, v126 :: v_dual_mul_f32 v97, s18, v105
	v_dual_mul_f32 v93, s18, v101 :: v_dual_mul_f32 v82, s18, v128
	v_mul_f32_e32 v99, s18, v107
	v_or_b32_e32 v70, 2, v68
	v_or_b32_e32 v71, 4, v68
	;; [unrolled: 1-line block ×3, first 2 shown]
	v_cmp_gt_i32_e64 s2, s17, v68
	v_or_b32_e32 v108, 8, v68
	v_cmp_gt_i32_e32 vcc_lo, s17, v70
	v_mul_f32_e32 v70, s18, v124
	v_or_b32_e32 v109, 10, v68
	v_cmp_gt_i32_e64 s3, s17, v71
	v_cmp_gt_i32_e64 s4, s17, v72
	v_cndmask_b32_e32 v78, 0xff7fffff, v78, vcc_lo
	v_cndmask_b32_e64 v70, 0xff7fffff, v70, s2
	v_or_b32_e32 v84, 12, v68
	v_or_b32_e32 v85, 14, v68
	v_cndmask_b32_e64 v71, 0xff7fffff, v80, s3
	v_cndmask_b32_e64 v72, 0xff7fffff, v79, s4
	v_max3_f32 v70, v70, 0xff7fffff, v78
	v_cmp_gt_i32_e64 s5, s17, v108
	v_cmp_gt_i32_e64 s6, s17, v109
	v_or_b32_e32 v86, 16, v68
	v_or_b32_e32 v87, 18, v68
	;; [unrolled: 1-line block ×3, first 2 shown]
	v_mul_f32_e32 v92, s18, v130
	v_cndmask_b32_e64 v78, 0xff7fffff, v82, s5
	v_cndmask_b32_e64 v79, 0xff7fffff, v81, s6
	v_max3_f32 v70, v70, v71, v72
	v_cmp_gt_i32_e64 s7, s17, v84
	v_cmp_gt_i32_e64 s8, s17, v85
	v_or_b32_e32 v88, 20, v68
	v_mul_f32_e32 v94, s18, v100
	v_max3_f32 v70, v70, v78, v79
	v_cmp_gt_i32_e64 s9, s17, v86
	v_cndmask_b32_e64 v72, 0xff7fffff, v83, s8
	v_cmp_gt_i32_e64 s10, s17, v87
	v_cmp_gt_i32_e64 s12, s17, v89
	v_lshlrev_b32_e32 v89, 2, v69
	v_cndmask_b32_e64 v71, 0xff7fffff, v92, s7
	v_or_b32_e32 v90, 24, v68
	v_or_b32_e32 v91, 26, v68
	v_mul_f32_e32 v96, s18, v102
	v_cndmask_b32_e64 v78, 0xff7fffff, v94, s9
	v_cndmask_b32_e64 v79, 0xff7fffff, v93, s10
	v_max3_f32 v70, v70, v71, v72
	v_cmp_gt_i32_e64 s11, s17, v88
	v_or_b32_e32 v76, 28, v68
	v_or_b32_e32 v77, 30, v68
	v_mul_f32_e32 v98, s18, v104
	v_cndmask_b32_e64 v72, 0xff7fffff, v95, s12
	v_cndmask_b32_e64 v71, 0xff7fffff, v96, s11
	v_max3_f32 v70, v70, v78, v79
	v_cmp_gt_i32_e64 s13, s17, v90
	v_cmp_gt_i32_e64 s15, s17, v91
	v_mul_f32_e32 v68, s18, v106
	v_cmp_gt_i32_e64 s16, s17, v76
	v_max3_f32 v70, v70, v71, v72
	v_cndmask_b32_e64 v78, 0xff7fffff, v98, s13
	v_cndmask_b32_e64 v79, 0xff7fffff, v97, s15
	v_cmp_gt_i32_e64 s17, s17, v77
	v_cndmask_b32_e64 v68, 0xff7fffff, v68, s16
	s_delay_alu instid0(VALU_DEP_3) | instskip(NEXT) | instid1(VALU_DEP_3)
	v_max3_f32 v70, v70, v78, v79
	v_cndmask_b32_e64 v71, 0xff7fffff, v99, s17
	s_delay_alu instid0(VALU_DEP_1) | instskip(SKIP_3) | instid1(VALU_DEP_1)
	v_max3_f32 v68, v70, v68, v71
	ds_bpermute_b32 v69, v89, v68
	s_waitcnt lgkmcnt(0)
	v_max_f32_e32 v69, v69, v69
	v_max_f32_e32 v68, v68, v69
	s_delay_alu instid0(VALU_DEP_1) | instskip(NEXT) | instid1(VALU_DEP_1)
	v_fma_f32 v71, s18, v126, -v68
	v_mul_f32_e32 v71, 0x3fb8aa3b, v71
	s_delay_alu instid0(VALU_DEP_1) | instskip(SKIP_3) | instid1(VALU_DEP_1)
	v_exp_f32_e32 v71, v71
	s_waitcnt_depctr 0xfff
	v_cndmask_b32_e64 v83, 0, v71, s3
	v_fma_f32 v71, s18, v131, -v68
	v_mul_f32_e32 v71, 0x3fb8aa3b, v71
	v_fma_f32 v69, s18, v124, -v68
	v_fma_f32 v76, s18, v128, -v68
	;; [unrolled: 1-line block ×4, first 2 shown]
	v_exp_f32_e32 v71, v71
	v_mul_f32_e32 v69, 0x3fb8aa3b, v69
	v_mul_f32_e32 v77, 0x3fb8aa3b, v76
	v_fma_f32 v81, s18, v105, -v68
	v_fma_f32 v78, s18, v130, -v68
	s_delay_alu instid0(VALU_DEP_4) | instskip(NEXT) | instid1(VALU_DEP_3)
	v_exp_f32_e32 v69, v69
	v_exp_f32_e32 v77, v77
	s_delay_alu instid0(VALU_DEP_2) | instskip(NEXT) | instid1(TRANS32_DEP_3)
	v_mul_f32_e32 v81, 0x3fb8aa3b, v81
	v_cndmask_b32_e64 v88, 0, v71, s8
	v_fma_f32 v71, s18, v104, -v68
	s_delay_alu instid0(VALU_DEP_3) | instskip(NEXT) | instid1(TRANS32_DEP_3)
	v_exp_f32_e32 v81, v81
	v_cndmask_b32_e64 v80, 0, v69, s2
	v_fma_f32 v69, s18, v129, -v68
	v_mul_f32_e32 v70, 0x3fb8aa3b, v70
	s_delay_alu instid0(TRANS32_DEP_2)
	v_cndmask_b32_e64 v86, 0, v77, s5
	v_mul_f32_e32 v72, 0x3fb8aa3b, v72
	v_fma_f32 v77, s18, v101, -v68
	v_mul_f32_e32 v69, 0x3fb8aa3b, v69
	v_exp_f32_e32 v70, v70
	v_mul_f32_e32 v71, 0x3fb8aa3b, v71
	v_exp_f32_e32 v72, v72
	;; [unrolled: 2-line block ×3, first 2 shown]
	v_cmp_gt_u32_e64 s2, 16, v67
	v_exp_f32_e32 v82, v71
	s_delay_alu instid0(VALU_DEP_2) | instskip(SKIP_4) | instid1(TRANS32_DEP_3)
	v_exp_f32_e32 v77, v77
	v_cndmask_b32_e32 v76, 0, v70, vcc_lo
	v_add_f32_e32 v70, 0, v80
	v_cndmask_b32_e64 v85, 0, v72, s4
	v_fma_f32 v72, s18, v100, -v68
	v_cndmask_b32_e64 v87, 0, v69, s6
	s_delay_alu instid0(VALU_DEP_4) | instskip(NEXT) | instid1(VALU_DEP_3)
	v_add_f32_e32 v70, v70, v76
	v_mul_f32_e32 v72, 0x3fb8aa3b, v72
	s_delay_alu instid0(VALU_DEP_2) | instskip(NEXT) | instid1(VALU_DEP_2)
	v_add_f32_e32 v70, v70, v83
	v_exp_f32_e32 v72, v72
	s_delay_alu instid0(VALU_DEP_1) | instskip(NEXT) | instid1(VALU_DEP_1)
	v_add_f32_e32 v70, v70, v85
	v_add_f32_e32 v69, v70, v86
	v_fma_f32 v70, s18, v102, -v68
	s_delay_alu instid0(VALU_DEP_2) | instskip(NEXT) | instid1(VALU_DEP_2)
	v_dual_add_f32 v69, v69, v87 :: v_dual_mul_f32 v78, 0x3fb8aa3b, v78
	v_mul_f32_e32 v70, 0x3fb8aa3b, v70
	s_delay_alu instid0(VALU_DEP_2) | instskip(NEXT) | instid1(VALU_DEP_1)
	v_exp_f32_e32 v78, v78
	v_exp_f32_e32 v79, v70
	s_delay_alu instid0(TRANS32_DEP_3) | instskip(SKIP_4) | instid1(VALU_DEP_2)
	v_cndmask_b32_e64 v70, 0, v72, s9
	s_waitcnt_depctr 0xfff
	v_cndmask_b32_e64 v84, 0, v78, s7
	v_fma_f32 v78, s18, v103, -v68
	v_cndmask_b32_e64 v71, 0, v79, s11
	v_dual_add_f32 v69, v69, v84 :: v_dual_mul_f32 v78, 0x3fb8aa3b, v78
	s_delay_alu instid0(VALU_DEP_1) | instskip(NEXT) | instid1(VALU_DEP_2)
	v_add_f32_e32 v72, v69, v88
	v_exp_f32_e32 v78, v78
	v_cndmask_b32_e64 v69, 0, v77, s10
	v_fma_f32 v77, s18, v106, -v68
	s_delay_alu instid0(VALU_DEP_1) | instskip(NEXT) | instid1(VALU_DEP_1)
	v_dual_add_f32 v72, v72, v70 :: v_dual_mul_f32 v77, 0x3fb8aa3b, v77
	v_add_f32_e32 v79, v72, v69
	s_waitcnt_depctr 0xfff
	v_cndmask_b32_e64 v72, 0, v78, s12
	v_exp_f32_e32 v90, v77
	v_cndmask_b32_e64 v77, 0, v82, s13
	v_add_f32_e32 v78, v79, v71
	v_fma_f32 v79, s18, v107, -v68
	s_delay_alu instid0(VALU_DEP_1) | instskip(SKIP_1) | instid1(VALU_DEP_2)
	v_dual_add_f32 v82, v78, v72 :: v_dual_mul_f32 v79, 0x3fb8aa3b, v79
	v_cndmask_b32_e64 v78, 0, v81, s15
	v_add_f32_e32 v81, v82, v77
	s_delay_alu instid0(VALU_DEP_3) | instskip(NEXT) | instid1(TRANS32_DEP_2)
	v_exp_f32_e32 v82, v79
	v_cndmask_b32_e64 v79, 0, v90, s16
	s_delay_alu instid0(VALU_DEP_2) | instskip(NEXT) | instid1(VALU_DEP_1)
	v_add_f32_e32 v81, v81, v78
	v_add_f32_e32 v90, v81, v79
	s_waitcnt_depctr 0xfff
	v_cndmask_b32_e64 v81, 0, v82, s17
	s_delay_alu instid0(VALU_DEP_1)
	v_add_f32_e32 v82, v90, v81
	ds_bpermute_b32 v89, v89, v82
	s_and_saveexec_b32 s3, s2
	s_cbranch_execz .LBB1632_12
; %bb.11:
	v_mul_u32_u24_e32 v67, 0x44, v66
	s_delay_alu instid0(VALU_DEP_1) | instskip(SKIP_1) | instid1(VALU_DEP_1)
	v_lshl_add_u32 v67, v65, 2, v67
	s_waitcnt lgkmcnt(0)
	v_dual_add_f32 v82, v82, v89 :: v_dual_add_nc_u32 v67, 0x4000, v67
	ds_store_2addr_b32 v67, v68, v82 offset1:136
.LBB1632_12:
	s_or_b32 exec_lo, exec_lo, s3
	v_lshlrev_b32_e32 v67, 2, v65
	s_waitcnt lgkmcnt(0)
	s_barrier
	buffer_gl0_inv
	v_cmp_eq_u32_e32 vcc_lo, 1, v66
	v_add_nc_u32_e32 v82, 0x4000, v67
	v_cmp_eq_u32_e64 s3, 2, v66
	v_cmp_eq_u32_e64 s5, 7, v66
	ds_load_2addr_b32 v[89:90], v82 offset1:17
	ds_load_2addr_b32 v[91:92], v82 offset0:34 offset1:51
	ds_load_2addr_b32 v[93:94], v82 offset0:68 offset1:85
	;; [unrolled: 1-line block ×4, first 2 shown]
	s_waitcnt lgkmcnt(4)
	v_max3_f32 v67, v89, 0xff7fffff, v90
	s_waitcnt lgkmcnt(3)
	s_delay_alu instid0(VALU_DEP_1) | instskip(SKIP_1) | instid1(VALU_DEP_1)
	v_max3_f32 v67, v67, v91, v92
	s_waitcnt lgkmcnt(2)
	v_max3_f32 v67, v67, v93, v94
	s_waitcnt lgkmcnt(1)
	s_delay_alu instid0(VALU_DEP_1) | instskip(NEXT) | instid1(VALU_DEP_1)
	v_max3_f32 v67, v67, v95, v96
	v_sub_f32_e32 v93, v93, v67
	s_delay_alu instid0(VALU_DEP_1) | instskip(NEXT) | instid1(VALU_DEP_1)
	v_dual_sub_f32 v68, v89, v67 :: v_dual_mul_f32 v103, 0x3fb8aa3b, v93
	v_mul_f32_e32 v68, 0x3fb8aa3b, v68
	s_delay_alu instid0(VALU_DEP_1)
	v_exp_f32_e32 v100, v68
	v_sub_f32_e32 v68, v92, v67
	v_sub_f32_e32 v99, v90, v67
	ds_load_2addr_b32 v[89:90], v82 offset0:170 offset1:187
	v_dual_mul_f32 v102, 0x3fb8aa3b, v68 :: v_dual_mul_f32 v99, 0x3fb8aa3b, v99
	s_waitcnt lgkmcnt(1)
	v_fma_f32 v68, v100, v97, 0
	s_delay_alu instid0(VALU_DEP_2) | instskip(NEXT) | instid1(VALU_DEP_2)
	v_exp_f32_e32 v102, v102
	v_exp_f32_e32 v99, v99
	s_waitcnt_depctr 0xfff
	v_fmac_f32_e32 v68, v99, v98
	v_sub_f32_e32 v91, v91, v67
	s_delay_alu instid0(VALU_DEP_1)
	v_mul_f32_e32 v101, 0x3fb8aa3b, v91
	ds_load_2addr_b32 v[91:92], v82 offset0:204 offset1:221
	v_sub_f32_e32 v97, v94, v67
	ds_load_2addr_b32 v[93:94], v82 offset0:238 offset1:255
	s_waitcnt lgkmcnt(0)
	v_exp_f32_e32 v101, v101
	s_barrier
	buffer_gl0_inv
	v_dual_fmac_f32 v68, v101, v89 :: v_dual_sub_f32 v89, v96, v67
	v_dual_sub_f32 v82, v95, v67 :: v_dual_mul_f32 v95, 0x3fb8aa3b, v97
	v_exp_f32_e32 v97, v103
	s_delay_alu instid0(VALU_DEP_2) | instskip(NEXT) | instid1(VALU_DEP_2)
	v_dual_fmac_f32 v68, v102, v90 :: v_dual_mul_f32 v89, 0x3fb8aa3b, v89
	v_mul_f32_e32 v82, 0x3fb8aa3b, v82
	s_delay_alu instid0(VALU_DEP_3) | instskip(NEXT) | instid1(VALU_DEP_2)
	v_exp_f32_e32 v95, v95
	v_exp_f32_e32 v89, v89
	s_delay_alu instid0(VALU_DEP_1)
	v_exp_f32_e32 v82, v82
	v_fmac_f32_e32 v68, v97, v91
	s_delay_alu instid0(TRANS32_DEP_3) | instid1(VALU_DEP_1)
	v_fmac_f32_e32 v68, v95, v92
	s_waitcnt_depctr 0xfff
	v_fmac_f32_e32 v68, v82, v93
	s_delay_alu instid0(VALU_DEP_1) | instskip(NEXT) | instid1(VALU_DEP_1)
	v_fmac_f32_e32 v68, v89, v94
	v_add_f32_e32 v90, 0x358637bd, v68
	s_delay_alu instid0(VALU_DEP_1) | instskip(NEXT) | instid1(VALU_DEP_1)
	v_div_scale_f32 v91, null, v90, v90, 1.0
	v_rcp_f32_e32 v92, v91
	s_waitcnt_depctr 0xfff
	v_fma_f32 v93, -v91, v92, 1.0
	s_delay_alu instid0(VALU_DEP_1) | instskip(SKIP_1) | instid1(VALU_DEP_2)
	v_dual_fmac_f32 v92, v93, v92 :: v_dual_cndmask_b32 v93, v100, v99
	v_cmp_eq_u32_e32 vcc_lo, 3, v66
	v_cndmask_b32_e64 v93, v93, v101, s3
	v_cmp_eq_u32_e64 s3, 4, v66
	s_delay_alu instid0(VALU_DEP_2) | instskip(SKIP_1) | instid1(VALU_DEP_2)
	v_cndmask_b32_e32 v93, v93, v102, vcc_lo
	v_cmp_eq_u32_e32 vcc_lo, 5, v66
	v_cndmask_b32_e64 v93, v93, v97, s3
	v_cmp_eq_u32_e64 s3, 6, v66
	s_delay_alu instid0(VALU_DEP_2) | instskip(SKIP_1) | instid1(VALU_DEP_1)
	v_cndmask_b32_e32 v93, v93, v95, vcc_lo
	v_div_scale_f32 v94, s4, 1.0, v90, 1.0
	s_mov_b32 vcc_lo, s4
	s_delay_alu instid0(VALU_DEP_2) | instskip(NEXT) | instid1(VALU_DEP_2)
	v_cndmask_b32_e64 v82, v93, v82, s3
	v_mul_f32_e32 v96, v94, v92
	s_mov_b32 s3, exec_lo
	s_delay_alu instid0(VALU_DEP_2) | instskip(NEXT) | instid1(VALU_DEP_2)
	v_cndmask_b32_e64 v82, v82, v89, s5
	v_fma_f32 v98, -v91, v96, v94
	s_delay_alu instid0(VALU_DEP_1) | instskip(NEXT) | instid1(VALU_DEP_1)
	v_fmac_f32_e32 v96, v98, v92
	v_fma_f32 v91, -v91, v96, v94
	s_delay_alu instid0(VALU_DEP_1) | instskip(NEXT) | instid1(VALU_DEP_1)
	v_div_fmas_f32 v91, v91, v92, v96
	v_div_fixup_f32 v90, v91, v90, 1.0
	s_delay_alu instid0(VALU_DEP_1) | instskip(NEXT) | instid1(VALU_DEP_1)
	v_mul_f32_e32 v82, v82, v90
	v_mul_f32_e32 v87, v82, v87
	;; [unrolled: 1-line block ×7, first 2 shown]
	v_dual_mul_f32 v86, v82, v83 :: v_dual_and_b32 v91, 0x7f800000, v90
	v_mul_f32_e32 v85, v82, v76
                                        ; implicit-def: $vgpr76
	s_delay_alu instid0(VALU_DEP_2)
	v_cmpx_ne_u32_e32 0x7f800000, v91
	s_xor_b32 s3, exec_lo, s3
; %bb.13:
	v_bfe_u32 v76, v90, 16, 1
	s_delay_alu instid0(VALU_DEP_1)
	v_add3_u32 v76, v90, v76, 0x7fff
                                        ; implicit-def: $vgpr90
; %bb.14:
	s_and_not1_saveexec_b32 s3, s3
; %bb.15:
	v_and_b32_e32 v76, 0xffff, v90
	v_or_b32_e32 v83, 0x10000, v90
	s_delay_alu instid0(VALU_DEP_2) | instskip(NEXT) | instid1(VALU_DEP_2)
	v_cmp_eq_u32_e32 vcc_lo, 0, v76
	v_cndmask_b32_e32 v76, v83, v90, vcc_lo
; %bb.16:
	s_or_b32 exec_lo, exec_lo, s3
	v_and_b32_e32 v83, 0x7f800000, v85
	s_delay_alu instid0(VALU_DEP_1) | instskip(SKIP_1) | instid1(SALU_CYCLE_1)
	v_cmp_ne_u32_e32 vcc_lo, 0x7f800000, v83
                                        ; implicit-def: $vgpr83
	s_and_saveexec_b32 s3, vcc_lo
	s_xor_b32 s3, exec_lo, s3
; %bb.17:
	v_bfe_u32 v83, v85, 16, 1
	s_delay_alu instid0(VALU_DEP_1)
	v_add3_u32 v83, v85, v83, 0x7fff
                                        ; implicit-def: $vgpr85
; %bb.18:
	s_and_not1_saveexec_b32 s3, s3
; %bb.19:
	v_and_b32_e32 v83, 0xffff, v85
	v_or_b32_e32 v90, 0x10000, v85
	s_delay_alu instid0(VALU_DEP_2) | instskip(NEXT) | instid1(VALU_DEP_2)
	v_cmp_eq_u32_e32 vcc_lo, 0, v83
	v_cndmask_b32_e32 v83, v90, v85, vcc_lo
; %bb.20:
	s_or_b32 exec_lo, exec_lo, s3
	v_and_b32_e32 v85, 0x7f800000, v86
	s_delay_alu instid0(VALU_DEP_1) | instskip(SKIP_1) | instid1(SALU_CYCLE_1)
	v_cmp_ne_u32_e32 vcc_lo, 0x7f800000, v85
                                        ; implicit-def: $vgpr85
	s_and_saveexec_b32 s3, vcc_lo
	s_xor_b32 s3, exec_lo, s3
; %bb.21:
	v_bfe_u32 v85, v86, 16, 1
	s_delay_alu instid0(VALU_DEP_1)
	v_add3_u32 v85, v86, v85, 0x7fff
                                        ; implicit-def: $vgpr86
; %bb.22:
	s_and_not1_saveexec_b32 s3, s3
; %bb.23:
	v_and_b32_e32 v85, 0xffff, v86
	v_or_b32_e32 v90, 0x10000, v86
	s_delay_alu instid0(VALU_DEP_2) | instskip(NEXT) | instid1(VALU_DEP_2)
	v_cmp_eq_u32_e32 vcc_lo, 0, v85
	v_cndmask_b32_e32 v85, v90, v86, vcc_lo
; %bb.24:
	s_or_b32 exec_lo, exec_lo, s3
	v_and_b32_e32 v86, 0x7f800000, v89
	s_delay_alu instid0(VALU_DEP_1) | instskip(SKIP_1) | instid1(SALU_CYCLE_1)
	v_cmp_ne_u32_e32 vcc_lo, 0x7f800000, v86
                                        ; implicit-def: $vgpr86
	s_and_saveexec_b32 s3, vcc_lo
	s_xor_b32 s3, exec_lo, s3
; %bb.25:
	v_bfe_u32 v86, v89, 16, 1
	s_delay_alu instid0(VALU_DEP_1)
	v_add3_u32 v86, v89, v86, 0x7fff
                                        ; implicit-def: $vgpr89
; %bb.26:
	s_and_not1_saveexec_b32 s3, s3
; %bb.27:
	v_and_b32_e32 v86, 0xffff, v89
	v_or_b32_e32 v90, 0x10000, v89
	s_delay_alu instid0(VALU_DEP_2) | instskip(NEXT) | instid1(VALU_DEP_2)
	v_cmp_eq_u32_e32 vcc_lo, 0, v86
	v_cndmask_b32_e32 v86, v90, v89, vcc_lo
; %bb.28:
	s_or_b32 exec_lo, exec_lo, s3
	v_and_b32_e32 v89, 0x7f800000, v88
	s_delay_alu instid0(VALU_DEP_1) | instskip(SKIP_1) | instid1(SALU_CYCLE_1)
	v_cmp_ne_u32_e32 vcc_lo, 0x7f800000, v89
                                        ; implicit-def: $vgpr89
	s_and_saveexec_b32 s3, vcc_lo
	s_xor_b32 s3, exec_lo, s3
; %bb.29:
	v_bfe_u32 v89, v88, 16, 1
	s_delay_alu instid0(VALU_DEP_1)
	v_add3_u32 v89, v88, v89, 0x7fff
                                        ; implicit-def: $vgpr88
; %bb.30:
	s_and_not1_saveexec_b32 s3, s3
; %bb.31:
	v_and_b32_e32 v89, 0xffff, v88
	v_or_b32_e32 v90, 0x10000, v88
	s_delay_alu instid0(VALU_DEP_2) | instskip(NEXT) | instid1(VALU_DEP_2)
	v_cmp_eq_u32_e32 vcc_lo, 0, v89
	v_cndmask_b32_e32 v89, v90, v88, vcc_lo
; %bb.32:
	s_or_b32 exec_lo, exec_lo, s3
	v_and_b32_e32 v88, 0x7f800000, v87
	s_delay_alu instid0(VALU_DEP_1) | instskip(SKIP_1) | instid1(SALU_CYCLE_1)
	v_cmp_ne_u32_e32 vcc_lo, 0x7f800000, v88
                                        ; implicit-def: $vgpr88
	s_and_saveexec_b32 s3, vcc_lo
	s_xor_b32 s3, exec_lo, s3
; %bb.33:
	v_bfe_u32 v88, v87, 16, 1
	s_delay_alu instid0(VALU_DEP_1)
	v_add3_u32 v88, v87, v88, 0x7fff
                                        ; implicit-def: $vgpr87
; %bb.34:
	s_and_not1_saveexec_b32 s3, s3
; %bb.35:
	v_and_b32_e32 v88, 0xffff, v87
	v_or_b32_e32 v90, 0x10000, v87
	s_delay_alu instid0(VALU_DEP_2) | instskip(NEXT) | instid1(VALU_DEP_2)
	v_cmp_eq_u32_e32 vcc_lo, 0, v88
	v_cndmask_b32_e32 v88, v90, v87, vcc_lo
; %bb.36:
	s_or_b32 exec_lo, exec_lo, s3
	v_and_b32_e32 v87, 0x7f800000, v84
	s_delay_alu instid0(VALU_DEP_1) | instskip(SKIP_1) | instid1(SALU_CYCLE_1)
	v_cmp_ne_u32_e32 vcc_lo, 0x7f800000, v87
                                        ; implicit-def: $vgpr87
	s_and_saveexec_b32 s3, vcc_lo
	s_xor_b32 s3, exec_lo, s3
; %bb.37:
	v_bfe_u32 v87, v84, 16, 1
	s_delay_alu instid0(VALU_DEP_1)
	v_add3_u32 v87, v84, v87, 0x7fff
                                        ; implicit-def: $vgpr84
; %bb.38:
	s_and_not1_saveexec_b32 s3, s3
; %bb.39:
	v_and_b32_e32 v87, 0xffff, v84
	v_or_b32_e32 v90, 0x10000, v84
	s_delay_alu instid0(VALU_DEP_2) | instskip(NEXT) | instid1(VALU_DEP_2)
	v_cmp_eq_u32_e32 vcc_lo, 0, v87
	v_cndmask_b32_e32 v87, v90, v84, vcc_lo
; %bb.40:
	s_or_b32 exec_lo, exec_lo, s3
	v_and_b32_e32 v84, 0x7f800000, v80
	s_delay_alu instid0(VALU_DEP_1) | instskip(SKIP_1) | instid1(SALU_CYCLE_1)
	v_cmp_ne_u32_e32 vcc_lo, 0x7f800000, v84
                                        ; implicit-def: $vgpr84
	s_and_saveexec_b32 s3, vcc_lo
	s_xor_b32 s3, exec_lo, s3
; %bb.41:
	v_bfe_u32 v84, v80, 16, 1
	s_delay_alu instid0(VALU_DEP_1)
	v_add3_u32 v84, v80, v84, 0x7fff
                                        ; implicit-def: $vgpr80
; %bb.42:
	s_and_not1_saveexec_b32 s3, s3
; %bb.43:
	v_and_b32_e32 v84, 0xffff, v80
	v_or_b32_e32 v90, 0x10000, v80
	s_delay_alu instid0(VALU_DEP_2) | instskip(NEXT) | instid1(VALU_DEP_2)
	v_cmp_eq_u32_e32 vcc_lo, 0, v84
	v_cndmask_b32_e32 v84, v90, v80, vcc_lo
; %bb.44:
	s_or_b32 exec_lo, exec_lo, s3
	s_load_b64 s[34:35], s[0:1], 0x94
	v_lshlrev_b32_e32 v91, 4, v74
	s_delay_alu instid0(VALU_DEP_2)
	v_perm_b32 v90, v84, v87, 0x7060302
	v_dual_mul_f32 v79, v82, v79 :: v_dual_lshlrev_b32 v80, 6, v65
	v_dual_mul_f32 v77, v82, v77 :: v_dual_lshlrev_b32 v92, 11, v66
	v_mul_f32_e32 v84, v82, v70
	v_perm_b32 v89, v88, v89, 0x7060302
	v_perm_b32 v88, v86, v85, 0x7060302
	;; [unrolled: 1-line block ×3, first 2 shown]
	v_mul_f32_e32 v70, v82, v81
	v_or3_b32 v76, v91, v92, v80
	v_dual_mul_f32 v78, v82, v78 :: v_dual_and_b32 v85, 0x7f800000, v84
	v_mul_f32_e32 v83, v82, v72
	v_mul_f32_e32 v81, v82, v71
	;; [unrolled: 1-line block ×3, first 2 shown]
	s_mov_b32 s3, exec_lo
	ds_store_b128 v76, v[87:90]
                                        ; implicit-def: $vgpr69
	v_cmpx_ne_u32_e32 0x7f800000, v85
	s_xor_b32 s3, exec_lo, s3
; %bb.45:
	v_bfe_u32 v69, v84, 16, 1
	s_delay_alu instid0(VALU_DEP_1)
	v_add3_u32 v69, v84, v69, 0x7fff
                                        ; implicit-def: $vgpr84
; %bb.46:
	s_and_not1_saveexec_b32 s3, s3
; %bb.47:
	v_and_b32_e32 v69, 0xffff, v84
	v_or_b32_e32 v71, 0x10000, v84
	s_delay_alu instid0(VALU_DEP_2) | instskip(NEXT) | instid1(VALU_DEP_2)
	v_cmp_eq_u32_e32 vcc_lo, 0, v69
	v_cndmask_b32_e32 v69, v71, v84, vcc_lo
; %bb.48:
	s_or_b32 exec_lo, exec_lo, s3
	v_and_b32_e32 v71, 0x7f800000, v72
	s_delay_alu instid0(VALU_DEP_1) | instskip(SKIP_1) | instid1(SALU_CYCLE_1)
	v_cmp_ne_u32_e32 vcc_lo, 0x7f800000, v71
                                        ; implicit-def: $vgpr71
	s_and_saveexec_b32 s3, vcc_lo
	s_xor_b32 s3, exec_lo, s3
; %bb.49:
	v_bfe_u32 v71, v72, 16, 1
	s_delay_alu instid0(VALU_DEP_1)
	v_add3_u32 v71, v72, v71, 0x7fff
                                        ; implicit-def: $vgpr72
; %bb.50:
	s_and_not1_saveexec_b32 s3, s3
; %bb.51:
	v_and_b32_e32 v71, 0xffff, v72
	v_or_b32_e32 v82, 0x10000, v72
	s_delay_alu instid0(VALU_DEP_2) | instskip(NEXT) | instid1(VALU_DEP_2)
	v_cmp_eq_u32_e32 vcc_lo, 0, v71
	v_cndmask_b32_e32 v71, v82, v72, vcc_lo
; %bb.52:
	s_or_b32 exec_lo, exec_lo, s3
	v_and_b32_e32 v72, 0x7f800000, v81
	s_delay_alu instid0(VALU_DEP_1) | instskip(SKIP_1) | instid1(SALU_CYCLE_1)
	v_cmp_ne_u32_e32 vcc_lo, 0x7f800000, v72
                                        ; implicit-def: $vgpr72
	s_and_saveexec_b32 s3, vcc_lo
	s_xor_b32 s3, exec_lo, s3
; %bb.53:
	v_bfe_u32 v72, v81, 16, 1
	s_delay_alu instid0(VALU_DEP_1)
	v_add3_u32 v72, v81, v72, 0x7fff
                                        ; implicit-def: $vgpr81
; %bb.54:
	s_and_not1_saveexec_b32 s3, s3
; %bb.55:
	v_and_b32_e32 v72, 0xffff, v81
	v_or_b32_e32 v82, 0x10000, v81
	s_delay_alu instid0(VALU_DEP_2) | instskip(NEXT) | instid1(VALU_DEP_2)
	v_cmp_eq_u32_e32 vcc_lo, 0, v72
	v_cndmask_b32_e32 v72, v82, v81, vcc_lo
; %bb.56:
	s_or_b32 exec_lo, exec_lo, s3
	v_and_b32_e32 v81, 0x7f800000, v83
	s_delay_alu instid0(VALU_DEP_1) | instskip(SKIP_1) | instid1(SALU_CYCLE_1)
	v_cmp_ne_u32_e32 vcc_lo, 0x7f800000, v81
                                        ; implicit-def: $vgpr81
	s_and_saveexec_b32 s3, vcc_lo
	s_xor_b32 s3, exec_lo, s3
; %bb.57:
	v_bfe_u32 v81, v83, 16, 1
	s_delay_alu instid0(VALU_DEP_1)
	v_add3_u32 v81, v83, v81, 0x7fff
                                        ; implicit-def: $vgpr83
; %bb.58:
	s_and_not1_saveexec_b32 s3, s3
; %bb.59:
	v_and_b32_e32 v81, 0xffff, v83
	v_or_b32_e32 v82, 0x10000, v83
	s_delay_alu instid0(VALU_DEP_2) | instskip(NEXT) | instid1(VALU_DEP_2)
	v_cmp_eq_u32_e32 vcc_lo, 0, v81
	v_cndmask_b32_e32 v81, v82, v83, vcc_lo
; %bb.60:
	s_or_b32 exec_lo, exec_lo, s3
	v_and_b32_e32 v82, 0x7f800000, v77
	s_delay_alu instid0(VALU_DEP_1) | instskip(SKIP_1) | instid1(SALU_CYCLE_1)
	v_cmp_ne_u32_e32 vcc_lo, 0x7f800000, v82
                                        ; implicit-def: $vgpr82
	s_and_saveexec_b32 s3, vcc_lo
	s_xor_b32 s3, exec_lo, s3
; %bb.61:
	v_bfe_u32 v82, v77, 16, 1
	s_delay_alu instid0(VALU_DEP_1)
	v_add3_u32 v82, v77, v82, 0x7fff
                                        ; implicit-def: $vgpr77
; %bb.62:
	s_and_not1_saveexec_b32 s3, s3
; %bb.63:
	v_and_b32_e32 v82, 0xffff, v77
	v_or_b32_e32 v83, 0x10000, v77
	s_delay_alu instid0(VALU_DEP_2) | instskip(NEXT) | instid1(VALU_DEP_2)
	v_cmp_eq_u32_e32 vcc_lo, 0, v82
	v_cndmask_b32_e32 v82, v83, v77, vcc_lo
; %bb.64:
	s_or_b32 exec_lo, exec_lo, s3
	v_and_b32_e32 v77, 0x7f800000, v78
	s_delay_alu instid0(VALU_DEP_1) | instskip(SKIP_1) | instid1(SALU_CYCLE_1)
	v_cmp_ne_u32_e32 vcc_lo, 0x7f800000, v77
                                        ; implicit-def: $vgpr77
	s_and_saveexec_b32 s3, vcc_lo
	s_xor_b32 s3, exec_lo, s3
; %bb.65:
	v_bfe_u32 v77, v78, 16, 1
	s_delay_alu instid0(VALU_DEP_1)
	v_add3_u32 v77, v78, v77, 0x7fff
                                        ; implicit-def: $vgpr78
; %bb.66:
	s_and_not1_saveexec_b32 s3, s3
; %bb.67:
	v_and_b32_e32 v77, 0xffff, v78
	v_or_b32_e32 v83, 0x10000, v78
	s_delay_alu instid0(VALU_DEP_2) | instskip(NEXT) | instid1(VALU_DEP_2)
	v_cmp_eq_u32_e32 vcc_lo, 0, v77
	v_cndmask_b32_e32 v77, v83, v78, vcc_lo
; %bb.68:
	s_or_b32 exec_lo, exec_lo, s3
	v_and_b32_e32 v78, 0x7f800000, v79
	s_delay_alu instid0(VALU_DEP_1) | instskip(SKIP_1) | instid1(SALU_CYCLE_1)
	v_cmp_ne_u32_e32 vcc_lo, 0x7f800000, v78
                                        ; implicit-def: $vgpr78
	s_and_saveexec_b32 s3, vcc_lo
	s_xor_b32 s3, exec_lo, s3
; %bb.69:
	v_bfe_u32 v78, v79, 16, 1
	s_delay_alu instid0(VALU_DEP_1)
	v_add3_u32 v78, v79, v78, 0x7fff
                                        ; implicit-def: $vgpr79
; %bb.70:
	s_and_not1_saveexec_b32 s3, s3
; %bb.71:
	v_and_b32_e32 v78, 0xffff, v79
	v_or_b32_e32 v83, 0x10000, v79
	s_delay_alu instid0(VALU_DEP_2) | instskip(NEXT) | instid1(VALU_DEP_2)
	v_cmp_eq_u32_e32 vcc_lo, 0, v78
	v_cndmask_b32_e32 v78, v83, v79, vcc_lo
; %bb.72:
	s_or_b32 exec_lo, exec_lo, s3
	v_and_b32_e32 v79, 0x7f800000, v70
	s_delay_alu instid0(VALU_DEP_1) | instskip(SKIP_1) | instid1(SALU_CYCLE_1)
	v_cmp_ne_u32_e32 vcc_lo, 0x7f800000, v79
                                        ; implicit-def: $vgpr79
	s_and_saveexec_b32 s3, vcc_lo
	s_xor_b32 s3, exec_lo, s3
; %bb.73:
	v_bfe_u32 v79, v70, 16, 1
	s_delay_alu instid0(VALU_DEP_1)
	v_add3_u32 v79, v70, v79, 0x7fff
                                        ; implicit-def: $vgpr70
; %bb.74:
	s_and_not1_saveexec_b32 s3, s3
; %bb.75:
	v_and_b32_e32 v79, 0xffff, v70
	v_or_b32_e32 v83, 0x10000, v70
	s_delay_alu instid0(VALU_DEP_2) | instskip(NEXT) | instid1(VALU_DEP_2)
	v_cmp_eq_u32_e32 vcc_lo, 0, v79
	v_cndmask_b32_e32 v79, v83, v70, vcc_lo
; %bb.76:
	s_or_b32 exec_lo, exec_lo, s3
	s_delay_alu instid0(VALU_DEP_1)
	v_perm_b32 v86, v79, v78, 0x7060302
	v_perm_b32 v85, v77, v82, 0x7060302
	;; [unrolled: 1-line block ×4, first 2 shown]
	v_lshl_or_b32 v82, v66, 11, v80
	ds_store_b128 v76, v[83:86] offset:1024
	s_waitcnt lgkmcnt(0)
	s_barrier
	buffer_gl0_inv
	ds_load_b128 v[69:72], v82
	ds_load_b128 v[83:86], v82 offset:16
	s_waitcnt lgkmcnt(1)
	v_lshrrev_b32_e32 v66, 16, v69
	s_waitcnt lgkmcnt(0)
	v_lshrrev_b32_e32 v91, 16, v83
	v_lshlrev_b32_e32 v78, 2, v74
	v_lshrrev_b32_e32 v95, 16, v70
	v_lshrrev_b32_e32 v98, 16, v84
	;; [unrolled: 1-line block ×4, first 2 shown]
	v_cmp_eq_u32_e32 vcc_lo, 1, v78
	v_lshrrev_b32_e32 v97, 16, v72
	v_lshrrev_b32_e32 v100, 16, v86
	v_cndmask_b32_e32 v87, v83, v91, vcc_lo
	v_or_b32_e32 v79, 1, v78
	v_cndmask_b32_e32 v81, v69, v66, vcc_lo
	v_cmp_eq_u32_e64 s4, 2, v78
	v_cmp_eq_u32_e64 s7, 3, v78
	;; [unrolled: 1-line block ×5, first 2 shown]
	v_cndmask_b32_e64 v81, v81, v70, s4
	v_cndmask_b32_e64 v87, v87, v84, s4
	v_cmp_eq_u32_e64 s8, 3, v79
	v_cndmask_b32_e64 v88, v69, v66, s3
	v_or_b32_e32 v77, 2, v78
	v_cndmask_b32_e64 v81, v81, v95, s7
	v_cndmask_b32_e64 v87, v87, v98, s7
	;; [unrolled: 1-line block ×4, first 2 shown]
	v_cmp_eq_u32_e64 s10, 5, v78
	v_cndmask_b32_e64 v81, v81, v71, s9
	v_cndmask_b32_e64 v87, v87, v85, s9
	v_cmp_eq_u32_e64 s11, 4, v79
	v_cndmask_b32_e64 v88, v88, v95, s8
	v_cmp_eq_u32_e64 s5, 1, v77
	v_cndmask_b32_e64 v89, v89, v84, s6
	v_cndmask_b32_e64 v81, v81, v96, s10
	v_cmp_eq_u32_e64 s12, 6, v78
	v_cndmask_b32_e64 v88, v88, v71, s11
	;; [unrolled: 3-line block ×3, first 2 shown]
	v_cndmask_b32_e64 v89, v89, v98, s8
	v_cndmask_b32_e64 v81, v81, v72, s12
	v_cmp_eq_u32_e64 s15, 7, v78
	v_cndmask_b32_e64 v88, v88, v96, s13
	v_cndmask_b32_e64 v87, v87, v86, s12
	v_cmp_eq_u32_e64 s16, 6, v79
	v_cmp_eq_u32_e64 s17, 2, v77
	v_cndmask_b32_e64 v89, v89, v85, s11
	v_cndmask_b32_e64 v101, v81, v97, s15
	;; [unrolled: 1-line block ×6, first 2 shown]
	v_cmp_eq_u32_e64 s18, 7, v79
	v_cmp_eq_u32_e64 s19, 3, v77
	;; [unrolled: 1-line block ×4, first 2 shown]
	v_cndmask_b32_e64 v87, v87, v84, s17
	v_cndmask_b32_e64 v103, v88, v97, s18
	;; [unrolled: 1-line block ×4, first 2 shown]
	v_or_b32_e32 v81, 3, v78
	v_cndmask_b32_e64 v93, v87, v98, s19
	v_cmp_eq_u32_e64 s24, 6, v77
	v_cndmask_b32_e64 v104, v88, v86, s16
	v_cndmask_b32_e64 v92, v89, v71, s20
	v_cmp_eq_u32_e64 s21, 1, v81
	ds_load_b128 v[87:90], v82 offset:1024
	v_cmp_eq_u32_e64 s23, 2, v81
	v_cmp_eq_u32_e64 s25, 3, v81
	v_cndmask_b32_e64 v105, v92, v96, s22
	v_cndmask_b32_e64 v66, v69, v66, s21
	;; [unrolled: 1-line block ×4, first 2 shown]
	ds_load_b128 v[91:94], v82 offset:1040
	v_cmp_eq_u32_e64 s26, 4, v81
	v_cndmask_b32_e64 v66, v66, v70, s23
	v_cmp_eq_u32_e64 s27, 7, v77
	v_cndmask_b32_e64 v70, v83, v84, s23
	v_cndmask_b32_e64 v84, v105, v72, s24
	v_cmp_eq_u32_e64 s28, 5, v81
	v_cndmask_b32_e64 v66, v66, v95, s25
	v_cmp_eq_u32_e64 s29, 6, v81
	v_cndmask_b32_e64 v70, v70, v98, s25
	v_cndmask_b32_e64 v69, v69, v99, s22
	;; [unrolled: 1-line block ×4, first 2 shown]
	s_waitcnt lgkmcnt(1)
	v_lshrrev_b32_e32 v95, 16, v87
	v_cndmask_b32_e64 v70, v70, v85, s26
	v_cndmask_b32_e64 v71, v84, v97, s27
	;; [unrolled: 1-line block ×4, first 2 shown]
	v_cndmask_b32_e32 v84, v87, v95, vcc_lo
	v_cndmask_b32_e64 v70, v70, v99, s28
	s_waitcnt lgkmcnt(0)
	v_lshrrev_b32_e32 v85, 16, v91
	v_lshrrev_b32_e32 v96, 16, v88
	v_cndmask_b32_e64 v98, v87, v95, s3
	v_cndmask_b32_e64 v84, v84, v88, s4
	;; [unrolled: 1-line block ×3, first 2 shown]
	v_cndmask_b32_e32 v99, v91, v85, vcc_lo
	v_cmp_eq_u32_e32 vcc_lo, 7, v81
	v_cndmask_b32_e64 v66, v66, v72, s29
	v_cndmask_b32_e64 v72, v84, v96, s7
	;; [unrolled: 1-line block ×3, first 2 shown]
	v_lshrrev_b32_e32 v98, 16, v92
	v_cndmask_b32_e32 v70, v70, v100, vcc_lo
	v_cndmask_b32_e64 v86, v99, v92, s4
	v_cndmask_b32_e64 v69, v69, v100, s27
	v_lshrrev_b32_e32 v100, 16, v93
	v_cndmask_b32_e64 v72, v72, v89, s9
	v_lshrrev_b32_e32 v99, 16, v89
	v_cndmask_b32_e64 v86, v86, v98, s7
	v_perm_b32 v71, v69, v71, 0x5040100
	v_cndmask_b32_e64 v84, v84, v96, s8
	s_delay_alu instid0(VALU_DEP_3) | instskip(NEXT) | instid1(VALU_DEP_2)
	v_cndmask_b32_e64 v86, v86, v93, s9
	v_cndmask_b32_e64 v84, v84, v89, s11
	s_delay_alu instid0(VALU_DEP_2) | instskip(NEXT) | instid1(VALU_DEP_1)
	v_cndmask_b32_e64 v86, v86, v100, s10
	v_cndmask_b32_e64 v69, v86, v94, s12
	v_cndmask_b32_e64 v86, v87, v95, s5
	v_cndmask_b32_e64 v87, v87, v95, s21
	v_cndmask_b32_e64 v95, v91, v85, s21
	s_delay_alu instid0(VALU_DEP_3) | instskip(NEXT) | instid1(VALU_DEP_3)
	v_cndmask_b32_e64 v86, v86, v88, s17
	v_cndmask_b32_e64 v87, v87, v88, s23
	s_delay_alu instid0(VALU_DEP_3) | instskip(NEXT) | instid1(VALU_DEP_3)
	v_cndmask_b32_e64 v88, v95, v92, s23
	v_cndmask_b32_e64 v86, v86, v96, s19
	s_delay_alu instid0(VALU_DEP_3) | instskip(NEXT) | instid1(VALU_DEP_3)
	v_cndmask_b32_e64 v87, v87, v96, s25
	v_cndmask_b32_e64 v88, v88, v98, s25
	s_delay_alu instid0(VALU_DEP_3) | instskip(NEXT) | instid1(VALU_DEP_3)
	v_cndmask_b32_e64 v86, v86, v89, s20
	v_cndmask_b32_e64 v87, v87, v89, s26
	s_delay_alu instid0(VALU_DEP_3) | instskip(NEXT) | instid1(VALU_DEP_3)
	v_cndmask_b32_e64 v88, v88, v93, s26
	v_cndmask_b32_e64 v86, v86, v99, s22
	s_delay_alu instid0(VALU_DEP_3) | instskip(NEXT) | instid1(VALU_DEP_3)
	v_cndmask_b32_e64 v87, v87, v99, s28
	v_cndmask_b32_e64 v88, v88, v100, s28
	s_delay_alu instid0(VALU_DEP_3) | instskip(NEXT) | instid1(VALU_DEP_3)
	v_cndmask_b32_e64 v86, v86, v90, s24
	v_cndmask_b32_e64 v87, v87, v90, s29
	s_delay_alu instid0(VALU_DEP_3) | instskip(SKIP_2) | instid1(VALU_DEP_2)
	v_cndmask_b32_e64 v88, v88, v94, s29
	v_cndmask_b32_e32 v66, v66, v97, vcc_lo
	v_cndmask_b32_e64 v97, v72, v99, s10
	v_perm_b32 v72, v70, v66, 0x5040100
	v_perm_b32 v70, v83, v103, 0x5040100
	v_cndmask_b32_e64 v103, v91, v85, s5
	v_cndmask_b32_e64 v85, v91, v85, s3
	;; [unrolled: 1-line block ×4, first 2 shown]
	v_lshrrev_b32_e32 v97, 16, v90
	v_cndmask_b32_e64 v91, v103, v92, s17
	v_cndmask_b32_e64 v85, v85, v92, s6
	;; [unrolled: 1-line block ×3, first 2 shown]
	s_mov_b32 s3, exec_lo
	v_cndmask_b32_e64 v83, v84, v97, s15
	v_cndmask_b32_e64 v91, v91, v98, s19
	;; [unrolled: 1-line block ×3, first 2 shown]
	v_lshrrev_b32_e32 v84, 16, v94
	v_cndmask_b32_e64 v66, v66, v97, s18
	v_cndmask_b32_e64 v90, v86, v97, s27
	;; [unrolled: 1-line block ×4, first 2 shown]
	v_dual_cndmask_b32 v86, v87, v97 :: v_dual_cndmask_b32 v87, v88, v84
	v_cndmask_b32_e64 v91, v69, v84, s15
	s_delay_alu instid0(VALU_DEP_4) | instskip(NEXT) | instid1(VALU_DEP_4)
	v_cndmask_b32_e64 v89, v89, v100, s22
	v_cndmask_b32_e64 v85, v85, v100, s13
	v_perm_b32 v69, v102, v101, 0x5040100
	v_perm_b32 v86, v87, v86, 0x5040100
	;; [unrolled: 1-line block ×3, first 2 shown]
	v_cndmask_b32_e64 v89, v89, v94, s24
	v_cndmask_b32_e64 v85, v85, v94, s16
	s_mul_i32 s8, s35, 7
	s_delay_alu instid0(VALU_DEP_2) | instskip(NEXT) | instid1(VALU_DEP_2)
	v_cndmask_b32_e64 v88, v89, v84, s27
	v_cndmask_b32_e64 v89, v85, v84, s18
	s_delay_alu instid0(VALU_DEP_2) | instskip(NEXT) | instid1(VALU_DEP_2)
	v_perm_b32 v85, v88, v90, 0x5040100
	v_perm_b32 v84, v89, v66, 0x5040100
	ds_store_b128 v76, v[69:72]
	ds_store_b128 v76, v[83:86] offset:1024
	v_cmpx_gt_u32_e32 7, v0
	s_cbranch_execz .LBB1632_78
; %bb.77:
	s_mul_i32 s4, s8, s30
	s_delay_alu instid0(SALU_CYCLE_1) | instskip(SKIP_1) | instid1(VALU_DEP_1)
	v_add3_u32 v69, s4, s31, v65
	s_load_b128 s[4:7], s[0:1], 0x58
	v_mad_u64_u32 v[65:66], null, v69, s34, s[14:15]
	s_delay_alu instid0(VALU_DEP_1) | instskip(NEXT) | instid1(VALU_DEP_1)
	v_ashrrev_i32_e32 v66, 31, v65
	v_lshlrev_b64 v[65:66], 2, v[65:66]
	s_waitcnt lgkmcnt(0)
	s_delay_alu instid0(VALU_DEP_1) | instskip(NEXT) | instid1(VALU_DEP_2)
	v_add_co_u32 v69, vcc_lo, s6, v65
	v_add_co_ci_u32_e32 v70, vcc_lo, s7, v66, vcc_lo
	v_add_co_u32 v65, vcc_lo, s4, v65
	v_add_co_ci_u32_e32 v66, vcc_lo, s5, v66, vcc_lo
	global_store_b32 v[69:70], v67, off
	global_store_b32 v[65:66], v68, off
.LBB1632_78:
	s_or_b32 exec_lo, exec_lo, s3
	s_waitcnt lgkmcnt(0)
	s_waitcnt_vscnt null, 0x0
	s_barrier
	buffer_gl0_inv
	ds_load_b128 v[83:86], v80
	ds_load_b128 v[87:90], v80 offset:16
	ds_load_b128 v[95:98], v80 offset:2064
	;; [unrolled: 1-line block ×3, first 2 shown]
	v_mov_b32_e32 v65, 0
	ds_load_b128 v[103:106], v80 offset:4112
	ds_load_b128 v[99:102], v80 offset:4096
	;; [unrolled: 1-line block ×4, first 2 shown]
	v_mov_b32_e32 v66, v65
	v_mov_b32_e32 v67, v65
	;; [unrolled: 1-line block ×7, first 2 shown]
	s_waitcnt lgkmcnt(6)
	s_delay_alu instid0(VALU_DEP_1)
	v_wmma_f32_16x16x16_bf16 v[65:72], v[41:48], v[83:90], v[65:72]
	ds_load_b128 v[45:48], v80 offset:8208
	ds_load_b128 v[41:44], v80 offset:8192
	s_waitcnt lgkmcnt(6)
	v_wmma_f32_16x16x16_bf16 v[65:72], v[33:40], v[91:98], v[65:72]
	ds_load_b128 v[37:40], v80 offset:10256
	ds_load_b128 v[33:36], v80 offset:10240
	s_waitcnt lgkmcnt(6)
	;; [unrolled: 4-line block ×4, first 2 shown]
	v_wmma_f32_16x16x16_bf16 v[65:72], v[1:8], v[41:48], v[65:72]
	s_waitcnt lgkmcnt(4)
	s_delay_alu instid0(VALU_DEP_1) | instskip(SKIP_1) | instid1(VALU_DEP_1)
	v_wmma_f32_16x16x16_bf16 v[65:72], v[9:16], v[33:40], v[65:72]
	s_waitcnt lgkmcnt(2)
	v_wmma_f32_16x16x16_bf16 v[65:72], v[57:64], v[25:32], v[65:72]
	s_waitcnt lgkmcnt(0)
	s_delay_alu instid0(VALU_DEP_1) | instskip(NEXT) | instid1(VALU_DEP_1)
	v_wmma_f32_16x16x16_bf16 v[65:72], v[49:56], v[17:24], v[65:72]
	v_and_b32_e32 v1, 0x7f800000, v65
	s_delay_alu instid0(VALU_DEP_1) | instskip(SKIP_1) | instid1(SALU_CYCLE_1)
	v_cmp_ne_u32_e32 vcc_lo, 0x7f800000, v1
                                        ; implicit-def: $vgpr1
	s_and_saveexec_b32 s3, vcc_lo
	s_xor_b32 s3, exec_lo, s3
; %bb.79:
	v_bfe_u32 v1, v65, 16, 1
	s_delay_alu instid0(VALU_DEP_1)
	v_add3_u32 v1, v65, v1, 0x7fff
; %bb.80:
	s_and_not1_saveexec_b32 s3, s3
; %bb.81:
	v_and_b32_e32 v1, 0xffff, v65
	v_or_b32_e32 v2, 0x10000, v65
	s_delay_alu instid0(VALU_DEP_2) | instskip(NEXT) | instid1(VALU_DEP_2)
	v_cmp_eq_u32_e32 vcc_lo, 0, v1
	v_cndmask_b32_e32 v1, v2, v65, vcc_lo
; %bb.82:
	s_or_b32 exec_lo, exec_lo, s3
	v_and_b32_e32 v2, 0x7f800000, v66
	s_delay_alu instid0(VALU_DEP_1) | instskip(SKIP_1) | instid1(SALU_CYCLE_1)
	v_cmp_ne_u32_e32 vcc_lo, 0x7f800000, v2
                                        ; implicit-def: $vgpr2
	s_and_saveexec_b32 s3, vcc_lo
	s_xor_b32 s3, exec_lo, s3
; %bb.83:
	v_bfe_u32 v2, v66, 16, 1
	s_delay_alu instid0(VALU_DEP_1)
	v_add3_u32 v2, v66, v2, 0x7fff
; %bb.84:
	s_and_not1_saveexec_b32 s3, s3
; %bb.85:
	v_and_b32_e32 v2, 0xffff, v66
	v_or_b32_e32 v3, 0x10000, v66
	s_delay_alu instid0(VALU_DEP_2) | instskip(NEXT) | instid1(VALU_DEP_2)
	v_cmp_eq_u32_e32 vcc_lo, 0, v2
	v_cndmask_b32_e32 v2, v3, v66, vcc_lo
; %bb.86:
	s_or_b32 exec_lo, exec_lo, s3
	v_and_b32_e32 v3, 0x7f800000, v67
	s_delay_alu instid0(VALU_DEP_1) | instskip(SKIP_1) | instid1(SALU_CYCLE_1)
	v_cmp_ne_u32_e32 vcc_lo, 0x7f800000, v3
                                        ; implicit-def: $vgpr3
	s_and_saveexec_b32 s3, vcc_lo
	s_xor_b32 s3, exec_lo, s3
; %bb.87:
	v_bfe_u32 v3, v67, 16, 1
	s_delay_alu instid0(VALU_DEP_1)
	v_add3_u32 v3, v67, v3, 0x7fff
; %bb.88:
	s_and_not1_saveexec_b32 s3, s3
; %bb.89:
	v_and_b32_e32 v3, 0xffff, v67
	v_or_b32_e32 v4, 0x10000, v67
	s_delay_alu instid0(VALU_DEP_2) | instskip(NEXT) | instid1(VALU_DEP_2)
	v_cmp_eq_u32_e32 vcc_lo, 0, v3
	v_cndmask_b32_e32 v3, v4, v67, vcc_lo
; %bb.90:
	s_or_b32 exec_lo, exec_lo, s3
	v_and_b32_e32 v4, 0x7f800000, v68
	s_delay_alu instid0(VALU_DEP_1) | instskip(SKIP_1) | instid1(SALU_CYCLE_1)
	v_cmp_ne_u32_e32 vcc_lo, 0x7f800000, v4
                                        ; implicit-def: $vgpr4
	s_and_saveexec_b32 s3, vcc_lo
	s_xor_b32 s3, exec_lo, s3
; %bb.91:
	v_bfe_u32 v4, v68, 16, 1
	s_delay_alu instid0(VALU_DEP_1)
	v_add3_u32 v4, v68, v4, 0x7fff
; %bb.92:
	s_and_not1_saveexec_b32 s3, s3
; %bb.93:
	v_and_b32_e32 v4, 0xffff, v68
	v_or_b32_e32 v5, 0x10000, v68
	s_delay_alu instid0(VALU_DEP_2) | instskip(NEXT) | instid1(VALU_DEP_2)
	v_cmp_eq_u32_e32 vcc_lo, 0, v4
	v_cndmask_b32_e32 v4, v5, v68, vcc_lo
; %bb.94:
	s_or_b32 exec_lo, exec_lo, s3
	v_and_b32_e32 v5, 0x7f800000, v69
	s_delay_alu instid0(VALU_DEP_1) | instskip(SKIP_1) | instid1(SALU_CYCLE_1)
	v_cmp_ne_u32_e32 vcc_lo, 0x7f800000, v5
                                        ; implicit-def: $vgpr5
	s_and_saveexec_b32 s3, vcc_lo
	s_xor_b32 s3, exec_lo, s3
; %bb.95:
	v_bfe_u32 v5, v69, 16, 1
	s_delay_alu instid0(VALU_DEP_1)
	v_add3_u32 v5, v69, v5, 0x7fff
; %bb.96:
	s_and_not1_saveexec_b32 s3, s3
; %bb.97:
	v_and_b32_e32 v5, 0xffff, v69
	v_or_b32_e32 v6, 0x10000, v69
	s_delay_alu instid0(VALU_DEP_2) | instskip(NEXT) | instid1(VALU_DEP_2)
	v_cmp_eq_u32_e32 vcc_lo, 0, v5
	v_cndmask_b32_e32 v5, v6, v69, vcc_lo
; %bb.98:
	s_or_b32 exec_lo, exec_lo, s3
	v_and_b32_e32 v6, 0x7f800000, v70
	s_delay_alu instid0(VALU_DEP_1) | instskip(SKIP_1) | instid1(SALU_CYCLE_1)
	v_cmp_ne_u32_e32 vcc_lo, 0x7f800000, v6
                                        ; implicit-def: $vgpr6
	s_and_saveexec_b32 s3, vcc_lo
	s_xor_b32 s3, exec_lo, s3
; %bb.99:
	v_bfe_u32 v6, v70, 16, 1
	s_delay_alu instid0(VALU_DEP_1)
	v_add3_u32 v6, v70, v6, 0x7fff
; %bb.100:
	s_and_not1_saveexec_b32 s3, s3
; %bb.101:
	v_and_b32_e32 v6, 0xffff, v70
	v_or_b32_e32 v7, 0x10000, v70
	s_delay_alu instid0(VALU_DEP_2) | instskip(NEXT) | instid1(VALU_DEP_2)
	v_cmp_eq_u32_e32 vcc_lo, 0, v6
	v_cndmask_b32_e32 v6, v7, v70, vcc_lo
; %bb.102:
	s_or_b32 exec_lo, exec_lo, s3
	v_and_b32_e32 v7, 0x7f800000, v71
	s_delay_alu instid0(VALU_DEP_1) | instskip(SKIP_1) | instid1(SALU_CYCLE_1)
	v_cmp_ne_u32_e32 vcc_lo, 0x7f800000, v7
                                        ; implicit-def: $vgpr7
	s_and_saveexec_b32 s3, vcc_lo
	s_xor_b32 s3, exec_lo, s3
; %bb.103:
	v_bfe_u32 v7, v71, 16, 1
	s_delay_alu instid0(VALU_DEP_1)
	v_add3_u32 v7, v71, v7, 0x7fff
; %bb.104:
	s_and_not1_saveexec_b32 s3, s3
; %bb.105:
	v_and_b32_e32 v7, 0xffff, v71
	v_or_b32_e32 v8, 0x10000, v71
	s_delay_alu instid0(VALU_DEP_2) | instskip(NEXT) | instid1(VALU_DEP_2)
	v_cmp_eq_u32_e32 vcc_lo, 0, v7
	v_cndmask_b32_e32 v7, v8, v71, vcc_lo
; %bb.106:
	s_or_b32 exec_lo, exec_lo, s3
	v_and_b32_e32 v8, 0x7f800000, v72
	s_delay_alu instid0(VALU_DEP_1) | instskip(SKIP_1) | instid1(SALU_CYCLE_1)
	v_cmp_ne_u32_e32 vcc_lo, 0x7f800000, v8
                                        ; implicit-def: $vgpr8
	s_and_saveexec_b32 s3, vcc_lo
	s_xor_b32 s3, exec_lo, s3
; %bb.107:
	v_bfe_u32 v8, v72, 16, 1
	s_delay_alu instid0(VALU_DEP_1)
	v_add3_u32 v8, v72, v8, 0x7fff
                                        ; implicit-def: $vgpr65_vgpr66_vgpr67_vgpr68_vgpr69_vgpr70_vgpr71_vgpr72
; %bb.108:
	s_and_not1_saveexec_b32 s3, s3
; %bb.109:
	v_and_b32_e32 v8, 0xffff, v72
	v_or_b32_e32 v9, 0x10000, v72
	s_delay_alu instid0(VALU_DEP_2) | instskip(NEXT) | instid1(VALU_DEP_2)
	v_cmp_eq_u32_e32 vcc_lo, 0, v8
	v_cndmask_b32_e32 v8, v9, v72, vcc_lo
; %bb.110:
	s_or_b32 exec_lo, exec_lo, s3
	s_delay_alu instid0(VALU_DEP_1)
	v_perm_b32 v7, v8, v7, 0x7060302
	v_perm_b32 v6, v6, v5, 0x7060302
	;; [unrolled: 1-line block ×4, first 2 shown]
	s_barrier
	buffer_gl0_inv
	v_cmp_eq_u32_e32 vcc_lo, 1, v78
	ds_store_b128 v76, v[4:7]
	s_waitcnt lgkmcnt(0)
	s_barrier
	buffer_gl0_inv
	ds_load_b128 v[1:4], v82
	ds_load_b128 v[5:8], v82 offset:16
	v_cmp_eq_u32_e64 s3, 1, v79
	v_cmp_eq_u32_e64 s4, 2, v78
	;; [unrolled: 1-line block ×5, first 2 shown]
	s_waitcnt lgkmcnt(1)
	v_lshrrev_b32_e32 v9, 16, v1
	s_waitcnt lgkmcnt(0)
	v_lshrrev_b32_e32 v13, 16, v5
	v_lshrrev_b32_e32 v10, 16, v2
	;; [unrolled: 1-line block ×4, first 2 shown]
	v_cndmask_b32_e64 v19, v1, v9, s3
	v_cndmask_b32_e32 v18, v5, v13, vcc_lo
	v_cndmask_b32_e64 v20, v5, v13, s3
	v_cndmask_b32_e32 v17, v1, v9, vcc_lo
	v_cmp_eq_u32_e32 vcc_lo, 2, v79
	v_lshrrev_b32_e32 v15, 16, v7
	v_cmp_eq_u32_e64 s3, 1, v77
	v_lshrrev_b32_e32 v12, 16, v4
	v_lshrrev_b32_e32 v16, 16, v8
	v_cndmask_b32_e32 v20, v20, v6, vcc_lo
	v_cndmask_b32_e64 v17, v17, v2, s4
	v_cndmask_b32_e32 v19, v19, v2, vcc_lo
	v_cndmask_b32_e64 v18, v18, v6, s4
	v_cmp_eq_u32_e32 vcc_lo, 4, v78
	v_cmp_eq_u32_e64 s4, 3, v79
	v_cndmask_b32_e64 v17, v17, v10, s5
	v_cndmask_b32_e64 v21, v1, v9, s3
	;; [unrolled: 1-line block ×5, first 2 shown]
	v_cndmask_b32_e32 v17, v17, v3, vcc_lo
	v_cndmask_b32_e64 v20, v20, v14, s4
	v_cndmask_b32_e32 v18, v18, v7, vcc_lo
	v_cmp_eq_u32_e32 vcc_lo, 4, v79
	v_cmp_eq_u32_e64 s4, 5, v79
	v_cmp_eq_u32_e64 s3, 2, v81
	v_cndmask_b32_e64 v21, v21, v2, s7
	v_cmp_eq_u32_e64 s5, 5, v78
	v_cndmask_b32_e32 v19, v19, v3, vcc_lo
	v_cndmask_b32_e32 v20, v20, v7, vcc_lo
	v_cmp_eq_u32_e32 vcc_lo, 6, v79
	s_delay_alu instid0(VALU_DEP_4) | instskip(NEXT) | instid1(VALU_DEP_4)
	v_cndmask_b32_e64 v17, v17, v11, s5
	v_cndmask_b32_e64 v19, v19, v11, s4
	s_delay_alu instid0(VALU_DEP_4) | instskip(SKIP_1) | instid1(VALU_DEP_3)
	v_cndmask_b32_e64 v20, v20, v15, s4
	v_cmp_eq_u32_e64 s4, 1, v81
	v_cndmask_b32_e32 v19, v19, v4, vcc_lo
	v_cndmask_b32_e64 v18, v18, v15, s5
	s_delay_alu instid0(VALU_DEP_3)
	v_cndmask_b32_e64 v1, v1, v9, s4
	v_cndmask_b32_e64 v5, v5, v13, s4
	v_cmp_eq_u32_e64 s4, 3, v77
	v_cndmask_b32_e64 v13, v22, v6, s7
	v_cmp_eq_u32_e64 s7, 3, v81
	v_cndmask_b32_e64 v1, v1, v2, s3
	v_cndmask_b32_e64 v2, v5, v6, s3
	;; [unrolled: 1-line block ×3, first 2 shown]
	v_cmp_eq_u32_e64 s3, 4, v77
	v_cndmask_b32_e64 v6, v13, v14, s4
	v_cndmask_b32_e64 v1, v1, v10, s7
	v_cmp_eq_u32_e64 s4, 4, v81
	v_cndmask_b32_e64 v2, v2, v14, s7
	v_cndmask_b32_e64 v5, v9, v3, s3
	;; [unrolled: 3-line block ×3, first 2 shown]
	v_cndmask_b32_e64 v2, v2, v7, s4
	v_cmp_eq_u32_e64 s3, 5, v81
	v_cmp_eq_u32_e64 s5, 6, v78
	v_cndmask_b32_e64 v5, v5, v11, s7
	v_cmp_eq_u32_e64 s4, 6, v77
	v_cndmask_b32_e64 v3, v6, v15, s7
	v_cndmask_b32_e64 v1, v1, v11, s3
	v_cmp_eq_u32_e64 s7, 6, v81
	v_cndmask_b32_e64 v2, v2, v15, s3
	v_cndmask_b32_e64 v17, v17, v4, s5
	v_cndmask_b32_e64 v18, v18, v8, s5
	v_cmp_eq_u32_e64 s5, 7, v78
	v_cndmask_b32_e64 v5, v5, v4, s4
	;; [unrolled: 4-line block ×3, first 2 shown]
	v_cmp_eq_u32_e64 s4, 7, v77
	v_cndmask_b32_e32 v4, v20, v8, vcc_lo
	v_cndmask_b32_e64 v17, v17, v12, s5
	v_cndmask_b32_e64 v19, v19, v12, s6
	;; [unrolled: 1-line block ×8, first 2 shown]
	s_mov_b32 s3, exec_lo
	v_perm_b32 v4, v2, v1, 0x5040100
	v_perm_b32 v3, v3, v5, 0x5040100
	;; [unrolled: 1-line block ×4, first 2 shown]
	ds_store_b128 v76, v[1:4]
	s_waitcnt lgkmcnt(0)
	s_barrier
	buffer_gl0_inv
	v_cmpx_gt_u32_e32 32, v0
	s_cbranch_execz .LBB1632_2
; %bb.111:
	s_load_b64 s[4:5], s[0:1], 0x68
	v_lshlrev_b32_e32 v0, 10, v0
	v_add_nc_u32_e32 v2, s31, v74
	v_lshlrev_b32_e32 v3, 4, v75
	s_lshl_b32 s0, s34, 7
	s_delay_alu instid0(SALU_CYCLE_1) | instskip(NEXT) | instid1(VALU_DEP_2)
	s_mul_i32 s1, s0, s30
	v_mul_lo_u32 v1, v2, s0
	s_delay_alu instid0(VALU_DEP_2)
	v_and_or_b32 v0, 0x3800, v0, v3
	v_add_nc_u32_e32 v3, 2, v2
	s_mul_i32 s6, s1, s8
	v_add_nc_u32_e32 v4, 4, v2
	s_ashr_i32 s7, s6, 31
	v_lshl_or_b32 v11, v74, 6, v0
	s_lshl_b64 s[6:7], s[6:7], 1
	v_mul_lo_u32 v15, v3, s0
	v_mul_lo_u32 v17, v4, s0
	v_ashrrev_i32_e32 v2, 31, v1
	ds_load_b128 v[3:6], v11
	ds_load_b128 v[7:10], v11 offset:128
	ds_load_b128 v[11:14], v11 offset:256
	s_waitcnt lgkmcnt(0)
	s_add_u32 s1, s4, s6
	s_addc_u32 s3, s5, s7
	s_lshl_b32 s4, s14, 7
	v_ashrrev_i32_e32 v16, 31, v15
	s_ashr_i32 s5, s4, 31
	v_lshlrev_b64 v[19:20], 1, v[1:2]
	s_lshl_b64 s[4:5], s[4:5], 1
	v_ashrrev_i32_e32 v18, 31, v17
	s_add_u32 s1, s1, s4
	s_addc_u32 s3, s3, s5
	v_add_co_u32 v1, s1, s1, v73
	s_delay_alu instid0(VALU_DEP_1) | instskip(SKIP_1) | instid1(VALU_DEP_3)
	v_add_co_ci_u32_e64 v2, null, s3, 0, s1
	v_lshlrev_b64 v[15:16], 1, v[15:16]
	v_add_co_u32 v19, vcc_lo, v1, v19
	v_lshlrev_b64 v[17:18], 1, v[17:18]
	s_delay_alu instid0(VALU_DEP_4) | instskip(NEXT) | instid1(VALU_DEP_4)
	v_add_co_ci_u32_e32 v20, vcc_lo, v2, v20, vcc_lo
	v_add_co_u32 v15, vcc_lo, v1, v15
	v_add_co_ci_u32_e32 v16, vcc_lo, v2, v16, vcc_lo
	s_delay_alu instid0(VALU_DEP_4)
	v_add_co_u32 v17, vcc_lo, v1, v17
	v_add_co_ci_u32_e32 v18, vcc_lo, v2, v18, vcc_lo
	s_clause 0x2
	global_store_b128 v[19:20], v[3:6], off
	global_store_b128 v[15:16], v[7:10], off
	;; [unrolled: 1-line block ×3, first 2 shown]
	s_and_b32 exec_lo, exec_lo, s2
	s_cbranch_execz .LBB1632_2
; %bb.112:
	ds_load_b128 v[3:6], v0 offset:384
	s_add_i32 s1, s31, 6
	s_delay_alu instid0(SALU_CYCLE_1) | instskip(NEXT) | instid1(SALU_CYCLE_1)
	s_mul_i32 s0, s1, s0
	s_ashr_i32 s1, s0, 31
	s_delay_alu instid0(SALU_CYCLE_1) | instskip(NEXT) | instid1(SALU_CYCLE_1)
	s_lshl_b64 s[0:1], s[0:1], 1
	v_add_co_u32 v0, vcc_lo, v1, s0
	v_add_co_ci_u32_e32 v1, vcc_lo, s1, v2, vcc_lo
	s_waitcnt lgkmcnt(0)
	global_store_b128 v[0:1], v[3:6], off
	s_nop 0
	s_sendmsg sendmsg(MSG_DEALLOC_VGPRS)
	s_endpgm
	.section	.rodata,"a",@progbits
	.p2align	6, 0x0
	.amdhsa_kernel _Z39paged_attention_ll4mi_QKV_mfma16_kernelI14__hip_bfloat16hLN4vllm18Fp8KVCacheDataTypeE1ES0_Li32ELi128ELi256ELb1ELi7EL8MFMAType1EEvPKT_PKT0_S9_ifPKiSB_SB_iPKfiiiPfSE_PS4_PT2_iSD_SD_
		.amdhsa_group_segment_fixed_size 17472
		.amdhsa_private_segment_fixed_size 0
		.amdhsa_kernarg_size 400
		.amdhsa_user_sgpr_count 13
		.amdhsa_user_sgpr_dispatch_ptr 0
		.amdhsa_user_sgpr_queue_ptr 0
		.amdhsa_user_sgpr_kernarg_segment_ptr 1
		.amdhsa_user_sgpr_dispatch_id 0
		.amdhsa_user_sgpr_private_segment_size 0
		.amdhsa_wavefront_size32 1
		.amdhsa_uses_dynamic_stack 0
		.amdhsa_enable_private_segment 0
		.amdhsa_system_sgpr_workgroup_id_x 1
		.amdhsa_system_sgpr_workgroup_id_y 1
		.amdhsa_system_sgpr_workgroup_id_z 1
		.amdhsa_system_sgpr_workgroup_info 0
		.amdhsa_system_vgpr_workitem_id 0
		.amdhsa_next_free_vgpr 140
		.amdhsa_next_free_sgpr 36
		.amdhsa_reserve_vcc 1
		.amdhsa_float_round_mode_32 0
		.amdhsa_float_round_mode_16_64 0
		.amdhsa_float_denorm_mode_32 3
		.amdhsa_float_denorm_mode_16_64 3
		.amdhsa_dx10_clamp 1
		.amdhsa_ieee_mode 1
		.amdhsa_fp16_overflow 0
		.amdhsa_workgroup_processor_mode 1
		.amdhsa_memory_ordered 1
		.amdhsa_forward_progress 0
		.amdhsa_shared_vgpr_count 0
		.amdhsa_exception_fp_ieee_invalid_op 0
		.amdhsa_exception_fp_denorm_src 0
		.amdhsa_exception_fp_ieee_div_zero 0
		.amdhsa_exception_fp_ieee_overflow 0
		.amdhsa_exception_fp_ieee_underflow 0
		.amdhsa_exception_fp_ieee_inexact 0
		.amdhsa_exception_int_div_zero 0
	.end_amdhsa_kernel
	.section	.text._Z39paged_attention_ll4mi_QKV_mfma16_kernelI14__hip_bfloat16hLN4vllm18Fp8KVCacheDataTypeE1ES0_Li32ELi128ELi256ELb1ELi7EL8MFMAType1EEvPKT_PKT0_S9_ifPKiSB_SB_iPKfiiiPfSE_PS4_PT2_iSD_SD_,"axG",@progbits,_Z39paged_attention_ll4mi_QKV_mfma16_kernelI14__hip_bfloat16hLN4vllm18Fp8KVCacheDataTypeE1ES0_Li32ELi128ELi256ELb1ELi7EL8MFMAType1EEvPKT_PKT0_S9_ifPKiSB_SB_iPKfiiiPfSE_PS4_PT2_iSD_SD_,comdat
.Lfunc_end1632:
	.size	_Z39paged_attention_ll4mi_QKV_mfma16_kernelI14__hip_bfloat16hLN4vllm18Fp8KVCacheDataTypeE1ES0_Li32ELi128ELi256ELb1ELi7EL8MFMAType1EEvPKT_PKT0_S9_ifPKiSB_SB_iPKfiiiPfSE_PS4_PT2_iSD_SD_, .Lfunc_end1632-_Z39paged_attention_ll4mi_QKV_mfma16_kernelI14__hip_bfloat16hLN4vllm18Fp8KVCacheDataTypeE1ES0_Li32ELi128ELi256ELb1ELi7EL8MFMAType1EEvPKT_PKT0_S9_ifPKiSB_SB_iPKfiiiPfSE_PS4_PT2_iSD_SD_
                                        ; -- End function
	.section	.AMDGPU.csdata,"",@progbits
; Kernel info:
; codeLenInByte = 8964
; NumSgprs: 38
; NumVgprs: 140
; ScratchSize: 0
; MemoryBound: 0
; FloatMode: 240
; IeeeMode: 1
; LDSByteSize: 17472 bytes/workgroup (compile time only)
; SGPRBlocks: 4
; VGPRBlocks: 17
; NumSGPRsForWavesPerEU: 38
; NumVGPRsForWavesPerEU: 140
; Occupancy: 10
; WaveLimiterHint : 1
; COMPUTE_PGM_RSRC2:SCRATCH_EN: 0
; COMPUTE_PGM_RSRC2:USER_SGPR: 13
; COMPUTE_PGM_RSRC2:TRAP_HANDLER: 0
; COMPUTE_PGM_RSRC2:TGID_X_EN: 1
; COMPUTE_PGM_RSRC2:TGID_Y_EN: 1
; COMPUTE_PGM_RSRC2:TGID_Z_EN: 1
; COMPUTE_PGM_RSRC2:TIDIG_COMP_CNT: 0
	.section	.text._Z39paged_attention_ll4mi_QKV_mfma16_kernelI14__hip_bfloat16hLN4vllm18Fp8KVCacheDataTypeE1ES0_Li32ELi128ELi256ELb1ELi8EL8MFMAType1EEvPKT_PKT0_S9_ifPKiSB_SB_iPKfiiiPfSE_PS4_PT2_iSD_SD_,"axG",@progbits,_Z39paged_attention_ll4mi_QKV_mfma16_kernelI14__hip_bfloat16hLN4vllm18Fp8KVCacheDataTypeE1ES0_Li32ELi128ELi256ELb1ELi8EL8MFMAType1EEvPKT_PKT0_S9_ifPKiSB_SB_iPKfiiiPfSE_PS4_PT2_iSD_SD_,comdat
	.protected	_Z39paged_attention_ll4mi_QKV_mfma16_kernelI14__hip_bfloat16hLN4vllm18Fp8KVCacheDataTypeE1ES0_Li32ELi128ELi256ELb1ELi8EL8MFMAType1EEvPKT_PKT0_S9_ifPKiSB_SB_iPKfiiiPfSE_PS4_PT2_iSD_SD_ ; -- Begin function _Z39paged_attention_ll4mi_QKV_mfma16_kernelI14__hip_bfloat16hLN4vllm18Fp8KVCacheDataTypeE1ES0_Li32ELi128ELi256ELb1ELi8EL8MFMAType1EEvPKT_PKT0_S9_ifPKiSB_SB_iPKfiiiPfSE_PS4_PT2_iSD_SD_
	.globl	_Z39paged_attention_ll4mi_QKV_mfma16_kernelI14__hip_bfloat16hLN4vllm18Fp8KVCacheDataTypeE1ES0_Li32ELi128ELi256ELb1ELi8EL8MFMAType1EEvPKT_PKT0_S9_ifPKiSB_SB_iPKfiiiPfSE_PS4_PT2_iSD_SD_
	.p2align	8
	.type	_Z39paged_attention_ll4mi_QKV_mfma16_kernelI14__hip_bfloat16hLN4vllm18Fp8KVCacheDataTypeE1ES0_Li32ELi128ELi256ELb1ELi8EL8MFMAType1EEvPKT_PKT0_S9_ifPKiSB_SB_iPKfiiiPfSE_PS4_PT2_iSD_SD_,@function
_Z39paged_attention_ll4mi_QKV_mfma16_kernelI14__hip_bfloat16hLN4vllm18Fp8KVCacheDataTypeE1ES0_Li32ELi128ELi256ELb1ELi8EL8MFMAType1EEvPKT_PKT0_S9_ifPKiSB_SB_iPKfiiiPfSE_PS4_PT2_iSD_SD_: ; @_Z39paged_attention_ll4mi_QKV_mfma16_kernelI14__hip_bfloat16hLN4vllm18Fp8KVCacheDataTypeE1ES0_Li32ELi128ELi256ELb1ELi8EL8MFMAType1EEvPKT_PKT0_S9_ifPKiSB_SB_iPKfiiiPfSE_PS4_PT2_iSD_SD_
; %bb.0:
	s_load_b64 s[4:5], s[0:1], 0x30
	s_mov_b32 s30, s13
	s_waitcnt lgkmcnt(0)
	s_cmp_lg_u64 s[4:5], 0
	s_cselect_b32 s13, -1, 0
	s_ashr_i32 s31, s30, 31
	s_cmp_eq_u64 s[4:5], 0
	s_cbranch_scc1 .LBB1633_3
; %bb.1:
	s_lshl_b64 s[2:3], s[30:31], 2
	s_delay_alu instid0(SALU_CYCLE_1) | instskip(SKIP_4) | instid1(SALU_CYCLE_1)
	s_add_u32 s2, s4, s2
	s_addc_u32 s3, s5, s3
	s_load_b64 s[2:3], s[2:3], 0x0
	s_waitcnt lgkmcnt(0)
	s_sub_i32 s2, s3, s2
	s_cmp_eq_u32 s2, 1
	s_cselect_b32 s2, -1, 0
	s_delay_alu instid0(SALU_CYCLE_1)
	s_and_not1_b32 vcc_lo, exec_lo, s2
	s_cbranch_vccz .LBB1633_4
.LBB1633_2:
	s_endpgm
.LBB1633_3:
.LBB1633_4:
	s_load_b64 s[2:3], s[0:1], 0x28
	s_lshl_b64 s[6:7], s[30:31], 2
	s_waitcnt lgkmcnt(0)
	s_add_u32 s2, s2, s6
	s_addc_u32 s3, s3, s7
	s_lshl_b32 s12, s14, 8
	s_load_b32 s17, s[2:3], 0x0
	s_waitcnt lgkmcnt(0)
	s_cmp_ge_i32 s12, s17
	s_cbranch_scc1 .LBB1633_2
; %bb.5:
	s_clause 0x1
	s_load_b128 s[8:11], s[0:1], 0x8
	s_load_b64 s[2:3], s[0:1], 0x20
	s_and_not1_b32 vcc_lo, exec_lo, s13
	s_cbranch_vccnz .LBB1633_7
; %bb.6:
	s_add_u32 s4, s4, s6
	s_addc_u32 s5, s5, s7
	s_load_b32 s13, s[4:5], 0x0
	s_branch .LBB1633_8
.LBB1633_7:
	s_mov_b32 s13, s30
.LBB1633_8:
	s_load_b128 s[4:7], s[0:1], 0x48
	v_and_b32_e32 v66, 15, v0
	v_lshrrev_b32_e32 v65, 5, v0
	v_and_b32_e32 v67, 31, v0
	v_and_b32_e32 v75, 1, v0
	v_bfe_u32 v74, v0, 4, 1
	v_lshlrev_b32_e32 v1, 3, v66
	s_lshl_b32 s29, s15, 3
	s_waitcnt lgkmcnt(0)
	s_mov_b32 s7, exec_lo
	s_delay_alu instid0(VALU_DEP_1)
	v_lshlrev_b32_e32 v73, 1, v1
	v_cmpx_gt_u32_e32 0x80, v0
	s_cbranch_execz .LBB1633_10
; %bb.9:
	v_lshl_or_b32 v5, v65, 1, v74
	s_load_b64 s[18:19], s[0:1], 0x0
	s_mul_hi_i32 s21, s13, s4
	s_mul_i32 s20, s13, s4
	v_lshlrev_b32_e32 v6, 10, v66
	v_or_b32_e32 v1, s29, v5
	s_lshl_b64 s[20:21], s[20:21], 1
	v_lshlrev_b32_e32 v5, 6, v5
	v_lshlrev_b32_e32 v7, 10, v75
	v_and_b32_e32 v6, 0x3800, v6
	v_lshlrev_b32_e32 v1, 7, v1
	s_delay_alu instid0(VALU_DEP_2) | instskip(NEXT) | instid1(VALU_DEP_2)
	v_or3_b32 v5, v6, v7, v5
	v_ashrrev_i32_e32 v2, 31, v1
	s_delay_alu instid0(VALU_DEP_1) | instskip(SKIP_3) | instid1(VALU_DEP_1)
	v_lshlrev_b64 v[1:2], 1, v[1:2]
	s_waitcnt lgkmcnt(0)
	s_add_u32 s4, s18, s20
	s_addc_u32 s13, s19, s21
	v_add_co_u32 v1, vcc_lo, s4, v1
	s_delay_alu instid0(VALU_DEP_2) | instskip(NEXT) | instid1(VALU_DEP_2)
	v_add_co_ci_u32_e32 v2, vcc_lo, s13, v2, vcc_lo
	v_add_co_u32 v1, vcc_lo, v1, v73
	s_delay_alu instid0(VALU_DEP_2)
	v_add_co_ci_u32_e32 v2, vcc_lo, 0, v2, vcc_lo
	global_load_b128 v[1:4], v[1:2], off
	s_waitcnt vmcnt(0)
	ds_store_b128 v5, v[1:4]
.LBB1633_10:
	s_or_b32 exec_lo, exec_lo, s7
	v_and_b32_e32 v1, 0xef, v0
	s_add_i32 s4, s17, 31
	s_clause 0x1
	s_load_b32 s7, s[0:1], 0x38
	s_load_b32 s18, s[0:1], 0x1c
	s_ashr_i32 s13, s4, 31
	v_add_nc_u32_e32 v1, s12, v1
	s_lshr_b32 s13, s13, 27
	s_waitcnt lgkmcnt(0)
	s_add_i32 s4, s4, s13
	s_barrier
	v_ashrrev_i32_e32 v2, 31, v1
	v_or_b32_e32 v3, 16, v1
	s_ashr_i32 s4, s4, 5
	v_cmp_gt_i32_e32 vcc_lo, s17, v1
	s_add_i32 s4, s4, -1
	v_lshrrev_b32_e32 v2, 27, v2
	buffer_gl0_inv
	s_mul_i32 s15, s15, s6
	v_add_nc_u32_e32 v4, v1, v2
	s_mul_i32 s20, s30, s7
	s_delay_alu instid0(SALU_CYCLE_1) | instskip(NEXT) | instid1(VALU_DEP_1)
	s_ashr_i32 s21, s20, 31
	v_ashrrev_i32_e32 v4, 5, v4
	v_add_nc_u32_e32 v2, v3, v2
	s_lshl_b64 s[20:21], s[20:21], 2
	s_delay_alu instid0(SALU_CYCLE_1) | instskip(NEXT) | instid1(VALU_DEP_2)
	s_add_u32 s13, s2, s20
	v_cndmask_b32_e32 v1, s4, v4, vcc_lo
	s_delay_alu instid0(VALU_DEP_2)
	v_ashrrev_i32_e32 v2, 5, v2
	v_cmp_gt_i32_e32 vcc_lo, s17, v3
	s_addc_u32 s16, s3, s21
	s_ashr_i32 s19, s15, 31
	s_add_u32 s2, s8, s15
	s_addc_u32 s3, s9, s19
	v_cndmask_b32_e32 v3, s4, v2, vcc_lo
	v_ashrrev_i32_e32 v2, 31, v1
	s_lshl_b32 s6, s14, 3
	s_delay_alu instid0(SALU_CYCLE_1) | instskip(NEXT) | instid1(VALU_DEP_2)
	s_ashr_i32 s7, s6, 31
	v_ashrrev_i32_e32 v4, 31, v3
	s_delay_alu instid0(VALU_DEP_2) | instskip(SKIP_1) | instid1(SALU_CYCLE_1)
	v_lshlrev_b64 v[1:2], 2, v[1:2]
	s_lshl_b64 s[6:7], s[6:7], 2
	s_add_u32 s6, s13, s6
	s_delay_alu instid0(VALU_DEP_2) | instskip(SKIP_1) | instid1(VALU_DEP_2)
	v_lshlrev_b64 v[3:4], 2, v[3:4]
	s_addc_u32 s7, s16, s7
	v_add_co_u32 v1, vcc_lo, s13, v1
	v_add_co_ci_u32_e32 v2, vcc_lo, s16, v2, vcc_lo
	s_delay_alu instid0(VALU_DEP_3) | instskip(NEXT) | instid1(VALU_DEP_4)
	v_add_co_u32 v3, vcc_lo, s13, v3
	v_add_co_ci_u32_e32 v4, vcc_lo, s16, v4, vcc_lo
	s_clause 0x1
	global_load_b32 v5, v[1:2], off
	global_load_b32 v6, v[3:4], off
	s_or_b32 s8, s12, 32
	s_delay_alu instid0(SALU_CYCLE_1) | instskip(SKIP_2) | instid1(SALU_CYCLE_1)
	s_ashr_i32 s9, s8, 5
	s_cmp_lt_i32 s8, s17
	s_cselect_b32 s8, s9, s4
	s_ashr_i32 s9, s8, 31
	s_delay_alu instid0(SALU_CYCLE_1) | instskip(NEXT) | instid1(SALU_CYCLE_1)
	s_lshl_b64 s[8:9], s[8:9], 2
	s_add_u32 s8, s13, s8
	s_addc_u32 s9, s16, s9
	s_or_b32 s20, s12, 64
	s_delay_alu instid0(SALU_CYCLE_1) | instskip(SKIP_2) | instid1(SALU_CYCLE_1)
	s_ashr_i32 s21, s20, 5
	s_cmp_lt_i32 s20, s17
	s_cselect_b32 s20, s21, s4
	s_ashr_i32 s21, s20, 31
	s_delay_alu instid0(SALU_CYCLE_1) | instskip(NEXT) | instid1(SALU_CYCLE_1)
	s_lshl_b64 s[20:21], s[20:21], 2
	s_add_u32 s20, s13, s20
	s_addc_u32 s21, s16, s21
	;; [unrolled: 10-line block ×5, first 2 shown]
	s_clause 0x5
	s_load_b32 s28, s[6:7], 0x0
	s_load_b32 s8, s[8:9], 0x0
	;; [unrolled: 1-line block ×6, first 2 shown]
	s_mov_b32 s20, 0
	s_delay_alu instid0(SALU_CYCLE_1)
	s_mov_b32 s21, s20
	s_mov_b32 s22, s20
	;; [unrolled: 1-line block ×7, first 2 shown]
	s_delay_alu instid0(SALU_CYCLE_1)
	v_dual_mov_b32 v107, s27 :: v_dual_mov_b32 v106, s26
	v_dual_mov_b32 v104, s24 :: v_dual_mov_b32 v103, s23
	;; [unrolled: 1-line block ×4, first 2 shown]
	s_waitcnt vmcnt(1)
	v_mad_i64_i32 v[1:2], null, v5, s5, s[2:3]
	v_lshlrev_b32_e32 v5, 4, v66
	s_waitcnt vmcnt(0)
	v_mad_i64_i32 v[3:4], null, v6, s5, s[2:3]
	s_or_b32 s2, s12, 0xc0
	s_delay_alu instid0(SALU_CYCLE_1) | instskip(NEXT) | instid1(VALU_DEP_3)
	s_ashr_i32 s3, s2, 5
	v_add_co_u32 v33, vcc_lo, v1, v5
	s_delay_alu instid0(VALU_DEP_4) | instskip(NEXT) | instid1(VALU_DEP_3)
	v_add_co_ci_u32_e32 v34, vcc_lo, 0, v2, vcc_lo
	v_add_co_u32 v35, vcc_lo, v3, v5
	s_delay_alu instid0(VALU_DEP_4)
	v_add_co_ci_u32_e32 v36, vcc_lo, 0, v4, vcc_lo
	s_clause 0xf
	global_load_b128 v[1:4], v[33:34], off
	global_load_b128 v[5:8], v[33:34], off offset:512
	global_load_b128 v[9:12], v[35:36], off offset:256
	;; [unrolled: 1-line block ×15, first 2 shown]
	s_cmp_lt_i32 s2, s17
	v_and_b32_e32 v33, 7, v0
	s_cselect_b32 s2, s3, s4
	v_lshlrev_b32_e32 v34, 5, v66
	s_ashr_i32 s3, s2, 31
	s_delay_alu instid0(SALU_CYCLE_1)
	s_lshl_b64 s[2:3], s[2:3], 2
	v_lshlrev_b32_e32 v72, 6, v33
	s_add_u32 s2, s13, s2
	s_addc_u32 s3, s16, s3
	s_or_b32 s6, s12, 0xe0
	v_lshl_or_b32 v41, v65, 9, v34
	s_ashr_i32 s7, s6, 5
	s_cmp_lt_i32 s6, s17
	ds_load_b128 v[33:36], v72
	ds_load_b128 v[37:40], v72 offset:1024
	s_cselect_b32 s6, s7, s4
	ds_load_b128 v[108:111], v72 offset:2048
	ds_load_b128 v[112:115], v72 offset:3072
	s_ashr_i32 s7, s6, 31
	s_load_b32 s4, s[2:3], 0x0
	s_lshl_b64 s[6:7], s[6:7], 2
	ds_load_b128 v[116:119], v72 offset:4096
	ds_load_b128 v[120:123], v72 offset:5120
	s_add_u32 s2, s13, s6
	s_addc_u32 s3, s16, s7
	s_add_u32 s6, s10, s15
	s_load_b32 s2, s[2:3], 0x0
	s_addc_u32 s7, s11, s19
	v_add_co_u32 v68, s6, s6, v41
	s_delay_alu instid0(VALU_DEP_1) | instskip(SKIP_1) | instid1(VALU_DEP_1)
	v_add_co_ci_u32_e64 v69, null, s7, 0, s6
	s_waitcnt lgkmcnt(0)
	v_mad_i64_i32 v[41:42], null, s28, s5, v[68:69]
	v_mad_i64_i32 v[70:71], null, s9, s5, v[68:69]
	v_mad_i64_i32 v[45:46], null, s8, s5, v[68:69]
	v_mad_i64_i32 v[132:133], null, s31, s5, v[68:69]
	v_mad_i64_i32 v[134:135], null, s33, s5, v[68:69]
	v_mad_i64_i32 v[136:137], null, s34, s5, v[68:69]
	v_mad_i64_i32 v[138:139], null, s4, s5, v[68:69]
	s_clause 0x3
	global_load_b128 v[49:52], v[41:42], off
	global_load_b128 v[53:56], v[41:42], off offset:16
	global_load_b128 v[41:44], v[45:46], off
	global_load_b128 v[45:48], v[45:46], off offset:16
	s_waitcnt vmcnt(18)
	v_wmma_f32_16x16x16_bf16 v[124:131], v[1:8], v[33:40], v[100:107]
	s_waitcnt vmcnt(16)
	v_wmma_f32_16x16x16_bf16 v[100:107], v[9:16], v[33:40], v[100:107]
	s_clause 0x1
	global_load_b128 v[33:36], v[70:71], off
	global_load_b128 v[37:40], v[70:71], off offset:16
	v_mad_i64_i32 v[70:71], null, s2, s5, v[68:69]
	s_waitcnt vmcnt(16)
	v_wmma_f32_16x16x16_bf16 v[124:131], v[17:24], v[108:115], v[124:131]
	s_waitcnt vmcnt(14)
	v_wmma_f32_16x16x16_bf16 v[100:107], v[25:32], v[108:115], v[100:107]
	s_clause 0x7
	global_load_b128 v[25:28], v[132:133], off
	global_load_b128 v[29:32], v[132:133], off offset:16
	global_load_b128 v[1:4], v[134:135], off
	global_load_b128 v[5:8], v[134:135], off offset:16
	;; [unrolled: 2-line block ×4, first 2 shown]
	s_waitcnt vmcnt(20)
	v_wmma_f32_16x16x16_bf16 v[124:131], v[57:64], v[116:123], v[124:131]
	s_clause 0x1
	global_load_b128 v[57:60], v[70:71], off
	global_load_b128 v[61:64], v[70:71], off offset:16
	s_waitcnt vmcnt(20)
	v_wmma_f32_16x16x16_bf16 v[100:107], v[76:83], v[116:123], v[100:107]
	ds_load_b128 v[76:79], v72 offset:6144
	ds_load_b128 v[80:83], v72 offset:7168
	v_and_b32_e32 v68, 0xe0, v0
	v_mbcnt_lo_u32_b32 v69, -1, 0
	s_waitcnt vmcnt(0) lgkmcnt(0)
	s_barrier
	buffer_gl0_inv
	v_add_nc_u32_e32 v68, s12, v68
	v_xor_b32_e32 v70, 16, v69
	s_delay_alu instid0(VALU_DEP_2) | instskip(NEXT) | instid1(VALU_DEP_2)
	v_or_b32_e32 v68, v68, v74
	v_cmp_gt_i32_e32 vcc_lo, 32, v70
	s_delay_alu instid0(VALU_DEP_2)
	v_or_b32_e32 v71, 4, v68
	v_or_b32_e32 v72, 6, v68
	v_cmp_gt_i32_e64 s2, s17, v68
	v_or_b32_e32 v108, 8, v68
	v_wmma_f32_16x16x16_bf16 v[124:131], v[84:91], v[76:83], v[124:131]
	v_cndmask_b32_e32 v69, v69, v70, vcc_lo
	v_or_b32_e32 v70, 2, v68
	v_wmma_f32_16x16x16_bf16 v[100:107], v[92:99], v[76:83], v[100:107]
	v_or_b32_e32 v109, 10, v68
	v_dual_mul_f32 v78, s18, v131 :: v_dual_mul_f32 v83, s18, v126
	v_dual_mul_f32 v92, s18, v125 :: v_dual_mul_f32 v93, s18, v124
	s_delay_alu instid0(VALU_DEP_4) | instskip(SKIP_2) | instid1(VALU_DEP_4)
	v_mul_f32_e32 v94, s18, v107
	v_cmp_gt_i32_e32 vcc_lo, s17, v70
	v_dual_mul_f32 v81, s18, v128 :: v_dual_mul_f32 v82, s18, v127
	v_cndmask_b32_e64 v93, 0xff7fffff, v93, s2
	v_cmp_gt_i32_e64 s3, s17, v71
	v_cndmask_b32_e32 v92, 0xff7fffff, v92, vcc_lo
	v_cmp_gt_i32_e64 s4, s17, v72
	v_or_b32_e32 v84, 12, v68
	v_or_b32_e32 v85, 14, v68
	v_dual_mul_f32 v79, s18, v130 :: v_dual_mul_f32 v80, s18, v129
	v_cndmask_b32_e64 v71, 0xff7fffff, v83, s3
	v_cndmask_b32_e64 v72, 0xff7fffff, v82, s4
	v_max3_f32 v82, v93, 0xff7fffff, v92
	v_cmp_gt_i32_e64 s5, s17, v108
	v_cmp_gt_i32_e64 s6, s17, v109
	v_or_b32_e32 v86, 16, v68
	v_or_b32_e32 v87, 18, v68
	v_max3_f32 v71, v82, v71, v72
	v_cndmask_b32_e64 v81, 0xff7fffff, v81, s5
	v_cndmask_b32_e64 v80, 0xff7fffff, v80, s6
	v_cmp_gt_i32_e64 s7, s17, v84
	v_cmp_gt_i32_e64 s8, s17, v85
	v_or_b32_e32 v88, 20, v68
	v_or_b32_e32 v89, 22, v68
	;; [unrolled: 1-line block ×6, first 2 shown]
	v_dual_mul_f32 v99, s18, v102 :: v_dual_mul_f32 v70, s18, v101
	v_mul_f32_e32 v68, s18, v100
	v_cndmask_b32_e64 v72, 0xff7fffff, v79, s7
	v_cndmask_b32_e64 v78, 0xff7fffff, v78, s8
	v_max3_f32 v71, v71, v81, v80
	v_cmp_gt_i32_e64 s9, s17, v86
	v_cmp_gt_i32_e64 s10, s17, v87
	v_dual_mul_f32 v97, s18, v104 :: v_dual_mul_f32 v98, s18, v103
	s_delay_alu instid0(VALU_DEP_4) | instskip(SKIP_1) | instid1(VALU_DEP_4)
	v_max3_f32 v71, v71, v72, v78
	v_cmp_gt_i32_e64 s11, s17, v88
	v_cndmask_b32_e64 v70, 0xff7fffff, v70, s10
	v_cmp_gt_i32_e64 s12, s17, v89
	v_lshlrev_b32_e32 v89, 2, v69
	v_cndmask_b32_e64 v68, 0xff7fffff, v68, s9
	v_dual_mul_f32 v95, s18, v106 :: v_dual_mul_f32 v96, s18, v105
	v_cndmask_b32_e64 v72, 0xff7fffff, v99, s11
	v_cndmask_b32_e64 v78, 0xff7fffff, v98, s12
	s_delay_alu instid0(VALU_DEP_4)
	v_max3_f32 v68, v71, v68, v70
	v_cmp_gt_i32_e64 s13, s17, v90
	v_cmp_gt_i32_e64 s15, s17, v91
	;; [unrolled: 1-line block ×4, first 2 shown]
	v_max3_f32 v68, v68, v72, v78
	v_cndmask_b32_e64 v70, 0xff7fffff, v97, s13
	v_cndmask_b32_e64 v71, 0xff7fffff, v96, s15
	;; [unrolled: 1-line block ×4, first 2 shown]
	s_delay_alu instid0(VALU_DEP_3) | instskip(NEXT) | instid1(VALU_DEP_1)
	v_max3_f32 v68, v68, v70, v71
	v_max3_f32 v68, v68, v72, v76
	ds_bpermute_b32 v69, v89, v68
	s_waitcnt lgkmcnt(0)
	v_max_f32_e32 v69, v69, v69
	s_delay_alu instid0(VALU_DEP_1) | instskip(NEXT) | instid1(VALU_DEP_1)
	v_max_f32_e32 v68, v68, v69
	v_fma_f32 v71, s18, v126, -v68
	s_delay_alu instid0(VALU_DEP_1)
	v_mul_f32_e32 v71, 0x3fb8aa3b, v71
	v_fma_f32 v69, s18, v124, -v68
	v_fma_f32 v70, s18, v125, -v68
	;; [unrolled: 1-line block ×4, first 2 shown]
	v_exp_f32_e32 v71, v71
	s_delay_alu instid0(VALU_DEP_3) | instskip(SKIP_2) | instid1(VALU_DEP_3)
	v_dual_mul_f32 v69, 0x3fb8aa3b, v69 :: v_dual_mul_f32 v70, 0x3fb8aa3b, v70
	v_fma_f32 v78, s18, v130, -v68
	v_fma_f32 v81, s18, v105, -v68
	v_exp_f32_e32 v69, v69
	s_delay_alu instid0(VALU_DEP_3) | instskip(SKIP_1) | instid1(VALU_DEP_2)
	v_exp_f32_e32 v70, v70
	v_mul_f32_e32 v77, 0x3fb8aa3b, v76
	v_mul_f32_e32 v81, 0x3fb8aa3b, v81
	s_delay_alu instid0(TRANS32_DEP_3) | instskip(SKIP_1) | instid1(VALU_DEP_3)
	v_cndmask_b32_e64 v83, 0, v71, s3
	v_fma_f32 v71, s18, v131, -v68
	v_exp_f32_e32 v81, v81
	s_delay_alu instid0(TRANS32_DEP_3) | instskip(NEXT) | instid1(TRANS32_DEP_2)
	v_cndmask_b32_e64 v80, 0, v69, s2
	v_cndmask_b32_e32 v76, 0, v70, vcc_lo
	v_fma_f32 v69, s18, v129, -v68
	v_mul_f32_e32 v72, 0x3fb8aa3b, v72
	v_exp_f32_e32 v77, v77
	v_dual_add_f32 v70, 0, v80 :: v_dual_mul_f32 v71, 0x3fb8aa3b, v71
	s_delay_alu instid0(VALU_DEP_3) | instskip(NEXT) | instid1(VALU_DEP_3)
	v_mul_f32_e32 v69, 0x3fb8aa3b, v69
	v_exp_f32_e32 v72, v72
	s_mov_b32 s2, exec_lo
	s_delay_alu instid0(VALU_DEP_2) | instskip(NEXT) | instid1(VALU_DEP_1)
	v_exp_f32_e32 v71, v71
	v_exp_f32_e32 v69, v69
	v_cndmask_b32_e64 v86, 0, v77, s5
	v_fma_f32 v77, s18, v101, -v68
	v_add_f32_e32 v70, v70, v76
	s_delay_alu instid0(TRANS32_DEP_3) | instskip(SKIP_1) | instid1(VALU_DEP_3)
	v_cndmask_b32_e64 v85, 0, v72, s4
	v_fma_f32 v72, s18, v100, -v68
	v_dual_mul_f32 v77, 0x3fb8aa3b, v77 :: v_dual_add_f32 v70, v70, v83
	s_delay_alu instid0(TRANS32_DEP_2) | instskip(SKIP_1) | instid1(TRANS32_DEP_1)
	v_cndmask_b32_e64 v88, 0, v71, s8
	v_fma_f32 v71, s18, v104, -v68
	v_cndmask_b32_e64 v87, 0, v69, s6
	s_delay_alu instid0(VALU_DEP_4) | instskip(NEXT) | instid1(VALU_DEP_2)
	v_exp_f32_e32 v77, v77
	v_dual_add_f32 v70, v70, v85 :: v_dual_mul_f32 v71, 0x3fb8aa3b, v71
	s_delay_alu instid0(VALU_DEP_1) | instskip(SKIP_2) | instid1(VALU_DEP_3)
	v_dual_mul_f32 v72, 0x3fb8aa3b, v72 :: v_dual_add_f32 v69, v70, v86
	v_mul_f32_e32 v78, 0x3fb8aa3b, v78
	v_fma_f32 v70, s18, v102, -v68
	v_exp_f32_e32 v72, v72
	v_exp_f32_e32 v82, v71
	v_add_f32_e32 v69, v69, v87
	v_exp_f32_e32 v78, v78
	v_mul_f32_e32 v70, 0x3fb8aa3b, v70
	s_delay_alu instid0(VALU_DEP_1) | instskip(SKIP_4) | instid1(VALU_DEP_2)
	v_exp_f32_e32 v79, v70
	v_cndmask_b32_e64 v70, 0, v72, s9
	s_waitcnt_depctr 0xfff
	v_cndmask_b32_e64 v84, 0, v78, s7
	v_fma_f32 v78, s18, v103, -v68
	v_add_f32_e32 v69, v69, v84
	v_cndmask_b32_e64 v71, 0, v79, s11
	s_delay_alu instid0(VALU_DEP_2) | instskip(SKIP_2) | instid1(VALU_DEP_1)
	v_add_f32_e32 v72, v69, v88
	v_cndmask_b32_e64 v69, 0, v77, s10
	v_fma_f32 v77, s18, v106, -v68
	v_dual_mul_f32 v77, 0x3fb8aa3b, v77 :: v_dual_add_f32 v72, v72, v70
	v_mul_f32_e32 v78, 0x3fb8aa3b, v78
	s_delay_alu instid0(VALU_DEP_2) | instskip(NEXT) | instid1(VALU_DEP_2)
	v_exp_f32_e32 v90, v77
	v_add_f32_e32 v79, v72, v69
	s_delay_alu instid0(VALU_DEP_2)
	v_exp_f32_e32 v78, v78
	v_cndmask_b32_e64 v77, 0, v82, s13
	s_waitcnt_depctr 0xfff
	v_cndmask_b32_e64 v72, 0, v78, s12
	v_add_f32_e32 v78, v79, v71
	v_fma_f32 v79, s18, v107, -v68
	s_delay_alu instid0(VALU_DEP_1) | instskip(SKIP_1) | instid1(VALU_DEP_2)
	v_dual_add_f32 v82, v78, v72 :: v_dual_mul_f32 v79, 0x3fb8aa3b, v79
	v_cndmask_b32_e64 v78, 0, v81, s15
	v_add_f32_e32 v81, v82, v77
	s_delay_alu instid0(VALU_DEP_3) | instskip(SKIP_1) | instid1(VALU_DEP_2)
	v_exp_f32_e32 v82, v79
	v_cndmask_b32_e64 v79, 0, v90, s16
	v_add_f32_e32 v81, v81, v78
	s_delay_alu instid0(VALU_DEP_1) | instskip(SKIP_2) | instid1(VALU_DEP_1)
	v_add_f32_e32 v90, v81, v79
	s_waitcnt_depctr 0xfff
	v_cndmask_b32_e64 v81, 0, v82, s17
	v_add_f32_e32 v82, v90, v81
	ds_bpermute_b32 v89, v89, v82
	v_cmpx_gt_u32_e32 16, v67
	s_cbranch_execz .LBB1633_12
; %bb.11:
	v_mul_u32_u24_e32 v67, 0x44, v65
	s_delay_alu instid0(VALU_DEP_1) | instskip(SKIP_1) | instid1(VALU_DEP_1)
	v_lshl_add_u32 v67, v66, 2, v67
	s_waitcnt lgkmcnt(0)
	v_dual_add_f32 v82, v82, v89 :: v_dual_add_nc_u32 v67, 0x4000, v67
	ds_store_2addr_b32 v67, v68, v82 offset1:136
.LBB1633_12:
	s_or_b32 exec_lo, exec_lo, s2
	v_lshlrev_b32_e32 v67, 2, v66
	s_waitcnt lgkmcnt(0)
	s_barrier
	buffer_gl0_inv
	v_cmp_eq_u32_e32 vcc_lo, 1, v65
	v_add_nc_u32_e32 v82, 0x4000, v67
	v_cmp_eq_u32_e64 s2, 2, v65
	v_cmp_eq_u32_e64 s4, 7, v65
	ds_load_2addr_b32 v[89:90], v82 offset1:17
	ds_load_2addr_b32 v[91:92], v82 offset0:34 offset1:51
	ds_load_2addr_b32 v[93:94], v82 offset0:68 offset1:85
	;; [unrolled: 1-line block ×4, first 2 shown]
	s_waitcnt lgkmcnt(4)
	v_max3_f32 v67, v89, 0xff7fffff, v90
	s_waitcnt lgkmcnt(3)
	s_delay_alu instid0(VALU_DEP_1) | instskip(SKIP_1) | instid1(VALU_DEP_1)
	v_max3_f32 v67, v67, v91, v92
	s_waitcnt lgkmcnt(2)
	v_max3_f32 v67, v67, v93, v94
	s_waitcnt lgkmcnt(1)
	s_delay_alu instid0(VALU_DEP_1) | instskip(NEXT) | instid1(VALU_DEP_1)
	v_max3_f32 v67, v67, v95, v96
	v_sub_f32_e32 v93, v93, v67
	s_delay_alu instid0(VALU_DEP_1) | instskip(NEXT) | instid1(VALU_DEP_1)
	v_dual_sub_f32 v68, v89, v67 :: v_dual_mul_f32 v103, 0x3fb8aa3b, v93
	v_mul_f32_e32 v68, 0x3fb8aa3b, v68
	s_delay_alu instid0(VALU_DEP_1)
	v_exp_f32_e32 v100, v68
	v_sub_f32_e32 v68, v92, v67
	v_sub_f32_e32 v99, v90, v67
	ds_load_2addr_b32 v[89:90], v82 offset0:170 offset1:187
	v_dual_mul_f32 v102, 0x3fb8aa3b, v68 :: v_dual_mul_f32 v99, 0x3fb8aa3b, v99
	s_waitcnt lgkmcnt(1)
	v_fma_f32 v68, v100, v97, 0
	s_delay_alu instid0(VALU_DEP_2) | instskip(NEXT) | instid1(VALU_DEP_2)
	v_exp_f32_e32 v102, v102
	v_exp_f32_e32 v99, v99
	s_waitcnt_depctr 0xfff
	v_fmac_f32_e32 v68, v99, v98
	v_sub_f32_e32 v91, v91, v67
	s_delay_alu instid0(VALU_DEP_1)
	v_mul_f32_e32 v101, 0x3fb8aa3b, v91
	ds_load_2addr_b32 v[91:92], v82 offset0:204 offset1:221
	v_sub_f32_e32 v97, v94, v67
	ds_load_2addr_b32 v[93:94], v82 offset0:238 offset1:255
	s_waitcnt lgkmcnt(0)
	v_exp_f32_e32 v101, v101
	s_barrier
	buffer_gl0_inv
	v_dual_fmac_f32 v68, v101, v89 :: v_dual_sub_f32 v89, v96, v67
	v_dual_sub_f32 v82, v95, v67 :: v_dual_mul_f32 v95, 0x3fb8aa3b, v97
	v_exp_f32_e32 v97, v103
	s_delay_alu instid0(VALU_DEP_2) | instskip(NEXT) | instid1(VALU_DEP_2)
	v_dual_fmac_f32 v68, v102, v90 :: v_dual_mul_f32 v89, 0x3fb8aa3b, v89
	v_mul_f32_e32 v82, 0x3fb8aa3b, v82
	s_delay_alu instid0(VALU_DEP_3) | instskip(NEXT) | instid1(VALU_DEP_2)
	v_exp_f32_e32 v95, v95
	v_exp_f32_e32 v89, v89
	s_delay_alu instid0(VALU_DEP_1)
	v_exp_f32_e32 v82, v82
	v_fmac_f32_e32 v68, v97, v91
	s_delay_alu instid0(TRANS32_DEP_3) | instid1(VALU_DEP_1)
	v_fmac_f32_e32 v68, v95, v92
	s_waitcnt_depctr 0xfff
	v_fmac_f32_e32 v68, v82, v93
	s_delay_alu instid0(VALU_DEP_1) | instskip(NEXT) | instid1(VALU_DEP_1)
	v_fmac_f32_e32 v68, v89, v94
	v_add_f32_e32 v90, 0x358637bd, v68
	s_delay_alu instid0(VALU_DEP_1) | instskip(NEXT) | instid1(VALU_DEP_1)
	v_div_scale_f32 v91, null, v90, v90, 1.0
	v_rcp_f32_e32 v92, v91
	s_waitcnt_depctr 0xfff
	v_fma_f32 v93, -v91, v92, 1.0
	s_delay_alu instid0(VALU_DEP_1) | instskip(SKIP_1) | instid1(VALU_DEP_2)
	v_dual_fmac_f32 v92, v93, v92 :: v_dual_cndmask_b32 v93, v100, v99
	v_cmp_eq_u32_e32 vcc_lo, 3, v65
	v_cndmask_b32_e64 v93, v93, v101, s2
	v_cmp_eq_u32_e64 s2, 4, v65
	s_delay_alu instid0(VALU_DEP_2) | instskip(SKIP_1) | instid1(VALU_DEP_2)
	v_cndmask_b32_e32 v93, v93, v102, vcc_lo
	v_cmp_eq_u32_e32 vcc_lo, 5, v65
	v_cndmask_b32_e64 v93, v93, v97, s2
	v_cmp_eq_u32_e64 s2, 6, v65
	s_delay_alu instid0(VALU_DEP_2) | instskip(SKIP_1) | instid1(VALU_DEP_1)
	v_cndmask_b32_e32 v93, v93, v95, vcc_lo
	v_div_scale_f32 v94, s3, 1.0, v90, 1.0
	s_mov_b32 vcc_lo, s3
	s_delay_alu instid0(VALU_DEP_2) | instskip(NEXT) | instid1(VALU_DEP_2)
	v_cndmask_b32_e64 v82, v93, v82, s2
	v_mul_f32_e32 v96, v94, v92
	s_mov_b32 s2, exec_lo
	s_delay_alu instid0(VALU_DEP_2) | instskip(NEXT) | instid1(VALU_DEP_2)
	v_cndmask_b32_e64 v82, v82, v89, s4
	v_fma_f32 v98, -v91, v96, v94
	s_delay_alu instid0(VALU_DEP_1) | instskip(NEXT) | instid1(VALU_DEP_1)
	v_fmac_f32_e32 v96, v98, v92
	v_fma_f32 v91, -v91, v96, v94
	s_delay_alu instid0(VALU_DEP_1) | instskip(NEXT) | instid1(VALU_DEP_1)
	v_div_fmas_f32 v91, v91, v92, v96
	v_div_fixup_f32 v90, v91, v90, 1.0
	s_delay_alu instid0(VALU_DEP_1) | instskip(NEXT) | instid1(VALU_DEP_1)
	v_mul_f32_e32 v82, v82, v90
	v_mul_f32_e32 v87, v82, v87
	;; [unrolled: 1-line block ×7, first 2 shown]
	v_dual_mul_f32 v86, v82, v83 :: v_dual_and_b32 v91, 0x7f800000, v90
	v_mul_f32_e32 v85, v82, v76
                                        ; implicit-def: $vgpr76
	s_delay_alu instid0(VALU_DEP_2)
	v_cmpx_ne_u32_e32 0x7f800000, v91
	s_xor_b32 s2, exec_lo, s2
; %bb.13:
	v_bfe_u32 v76, v90, 16, 1
	s_delay_alu instid0(VALU_DEP_1)
	v_add3_u32 v76, v90, v76, 0x7fff
                                        ; implicit-def: $vgpr90
; %bb.14:
	s_and_not1_saveexec_b32 s2, s2
; %bb.15:
	v_and_b32_e32 v76, 0xffff, v90
	v_or_b32_e32 v83, 0x10000, v90
	s_delay_alu instid0(VALU_DEP_2) | instskip(NEXT) | instid1(VALU_DEP_2)
	v_cmp_eq_u32_e32 vcc_lo, 0, v76
	v_cndmask_b32_e32 v76, v83, v90, vcc_lo
; %bb.16:
	s_or_b32 exec_lo, exec_lo, s2
	v_and_b32_e32 v83, 0x7f800000, v85
	s_delay_alu instid0(VALU_DEP_1) | instskip(SKIP_1) | instid1(SALU_CYCLE_1)
	v_cmp_ne_u32_e32 vcc_lo, 0x7f800000, v83
                                        ; implicit-def: $vgpr83
	s_and_saveexec_b32 s2, vcc_lo
	s_xor_b32 s2, exec_lo, s2
; %bb.17:
	v_bfe_u32 v83, v85, 16, 1
	s_delay_alu instid0(VALU_DEP_1)
	v_add3_u32 v83, v85, v83, 0x7fff
                                        ; implicit-def: $vgpr85
; %bb.18:
	s_and_not1_saveexec_b32 s2, s2
; %bb.19:
	v_and_b32_e32 v83, 0xffff, v85
	v_or_b32_e32 v90, 0x10000, v85
	s_delay_alu instid0(VALU_DEP_2) | instskip(NEXT) | instid1(VALU_DEP_2)
	v_cmp_eq_u32_e32 vcc_lo, 0, v83
	v_cndmask_b32_e32 v83, v90, v85, vcc_lo
; %bb.20:
	s_or_b32 exec_lo, exec_lo, s2
	v_and_b32_e32 v85, 0x7f800000, v86
	s_delay_alu instid0(VALU_DEP_1) | instskip(SKIP_1) | instid1(SALU_CYCLE_1)
	v_cmp_ne_u32_e32 vcc_lo, 0x7f800000, v85
                                        ; implicit-def: $vgpr85
	s_and_saveexec_b32 s2, vcc_lo
	s_xor_b32 s2, exec_lo, s2
; %bb.21:
	v_bfe_u32 v85, v86, 16, 1
	s_delay_alu instid0(VALU_DEP_1)
	v_add3_u32 v85, v86, v85, 0x7fff
                                        ; implicit-def: $vgpr86
; %bb.22:
	s_and_not1_saveexec_b32 s2, s2
; %bb.23:
	v_and_b32_e32 v85, 0xffff, v86
	v_or_b32_e32 v90, 0x10000, v86
	s_delay_alu instid0(VALU_DEP_2) | instskip(NEXT) | instid1(VALU_DEP_2)
	v_cmp_eq_u32_e32 vcc_lo, 0, v85
	v_cndmask_b32_e32 v85, v90, v86, vcc_lo
; %bb.24:
	s_or_b32 exec_lo, exec_lo, s2
	v_and_b32_e32 v86, 0x7f800000, v89
	s_delay_alu instid0(VALU_DEP_1) | instskip(SKIP_1) | instid1(SALU_CYCLE_1)
	v_cmp_ne_u32_e32 vcc_lo, 0x7f800000, v86
                                        ; implicit-def: $vgpr86
	s_and_saveexec_b32 s2, vcc_lo
	s_xor_b32 s2, exec_lo, s2
; %bb.25:
	v_bfe_u32 v86, v89, 16, 1
	s_delay_alu instid0(VALU_DEP_1)
	v_add3_u32 v86, v89, v86, 0x7fff
                                        ; implicit-def: $vgpr89
; %bb.26:
	s_and_not1_saveexec_b32 s2, s2
; %bb.27:
	v_and_b32_e32 v86, 0xffff, v89
	v_or_b32_e32 v90, 0x10000, v89
	s_delay_alu instid0(VALU_DEP_2) | instskip(NEXT) | instid1(VALU_DEP_2)
	v_cmp_eq_u32_e32 vcc_lo, 0, v86
	v_cndmask_b32_e32 v86, v90, v89, vcc_lo
; %bb.28:
	s_or_b32 exec_lo, exec_lo, s2
	v_and_b32_e32 v89, 0x7f800000, v88
	s_delay_alu instid0(VALU_DEP_1) | instskip(SKIP_1) | instid1(SALU_CYCLE_1)
	v_cmp_ne_u32_e32 vcc_lo, 0x7f800000, v89
                                        ; implicit-def: $vgpr89
	s_and_saveexec_b32 s2, vcc_lo
	s_xor_b32 s2, exec_lo, s2
; %bb.29:
	v_bfe_u32 v89, v88, 16, 1
	s_delay_alu instid0(VALU_DEP_1)
	v_add3_u32 v89, v88, v89, 0x7fff
                                        ; implicit-def: $vgpr88
; %bb.30:
	s_and_not1_saveexec_b32 s2, s2
; %bb.31:
	v_and_b32_e32 v89, 0xffff, v88
	v_or_b32_e32 v90, 0x10000, v88
	s_delay_alu instid0(VALU_DEP_2) | instskip(NEXT) | instid1(VALU_DEP_2)
	v_cmp_eq_u32_e32 vcc_lo, 0, v89
	v_cndmask_b32_e32 v89, v90, v88, vcc_lo
; %bb.32:
	s_or_b32 exec_lo, exec_lo, s2
	v_and_b32_e32 v88, 0x7f800000, v87
	s_delay_alu instid0(VALU_DEP_1) | instskip(SKIP_1) | instid1(SALU_CYCLE_1)
	v_cmp_ne_u32_e32 vcc_lo, 0x7f800000, v88
                                        ; implicit-def: $vgpr88
	s_and_saveexec_b32 s2, vcc_lo
	s_xor_b32 s2, exec_lo, s2
; %bb.33:
	v_bfe_u32 v88, v87, 16, 1
	s_delay_alu instid0(VALU_DEP_1)
	v_add3_u32 v88, v87, v88, 0x7fff
                                        ; implicit-def: $vgpr87
; %bb.34:
	s_and_not1_saveexec_b32 s2, s2
; %bb.35:
	v_and_b32_e32 v88, 0xffff, v87
	v_or_b32_e32 v90, 0x10000, v87
	s_delay_alu instid0(VALU_DEP_2) | instskip(NEXT) | instid1(VALU_DEP_2)
	v_cmp_eq_u32_e32 vcc_lo, 0, v88
	v_cndmask_b32_e32 v88, v90, v87, vcc_lo
; %bb.36:
	s_or_b32 exec_lo, exec_lo, s2
	v_and_b32_e32 v87, 0x7f800000, v84
	s_delay_alu instid0(VALU_DEP_1) | instskip(SKIP_1) | instid1(SALU_CYCLE_1)
	v_cmp_ne_u32_e32 vcc_lo, 0x7f800000, v87
                                        ; implicit-def: $vgpr87
	s_and_saveexec_b32 s2, vcc_lo
	s_xor_b32 s2, exec_lo, s2
; %bb.37:
	v_bfe_u32 v87, v84, 16, 1
	s_delay_alu instid0(VALU_DEP_1)
	v_add3_u32 v87, v84, v87, 0x7fff
                                        ; implicit-def: $vgpr84
; %bb.38:
	s_and_not1_saveexec_b32 s2, s2
; %bb.39:
	v_and_b32_e32 v87, 0xffff, v84
	v_or_b32_e32 v90, 0x10000, v84
	s_delay_alu instid0(VALU_DEP_2) | instskip(NEXT) | instid1(VALU_DEP_2)
	v_cmp_eq_u32_e32 vcc_lo, 0, v87
	v_cndmask_b32_e32 v87, v90, v84, vcc_lo
; %bb.40:
	s_or_b32 exec_lo, exec_lo, s2
	v_and_b32_e32 v84, 0x7f800000, v80
	s_delay_alu instid0(VALU_DEP_1) | instskip(SKIP_1) | instid1(SALU_CYCLE_1)
	v_cmp_ne_u32_e32 vcc_lo, 0x7f800000, v84
                                        ; implicit-def: $vgpr84
	s_and_saveexec_b32 s2, vcc_lo
	s_xor_b32 s2, exec_lo, s2
; %bb.41:
	v_bfe_u32 v84, v80, 16, 1
	s_delay_alu instid0(VALU_DEP_1)
	v_add3_u32 v84, v80, v84, 0x7fff
                                        ; implicit-def: $vgpr80
; %bb.42:
	s_and_not1_saveexec_b32 s2, s2
; %bb.43:
	v_and_b32_e32 v84, 0xffff, v80
	v_or_b32_e32 v90, 0x10000, v80
	s_delay_alu instid0(VALU_DEP_2) | instskip(NEXT) | instid1(VALU_DEP_2)
	v_cmp_eq_u32_e32 vcc_lo, 0, v84
	v_cndmask_b32_e32 v84, v90, v80, vcc_lo
; %bb.44:
	s_or_b32 exec_lo, exec_lo, s2
	s_load_b64 s[34:35], s[0:1], 0x94
	v_lshlrev_b32_e32 v91, 4, v74
	s_delay_alu instid0(VALU_DEP_2)
	v_perm_b32 v90, v84, v87, 0x7060302
	v_dual_mul_f32 v77, v82, v77 :: v_dual_lshlrev_b32 v80, 6, v66
	v_lshlrev_b32_e32 v66, 11, v65
	v_perm_b32 v87, v83, v76, 0x7060302
	v_mul_f32_e32 v83, v82, v70
	v_perm_b32 v89, v88, v89, 0x7060302
	v_perm_b32 v88, v86, v85, 0x7060302
	v_or3_b32 v76, v91, v66, v80
	v_mul_f32_e32 v66, v82, v81
	v_mul_f32_e32 v70, v82, v79
	;; [unrolled: 1-line block ×3, first 2 shown]
	v_dual_mul_f32 v81, v82, v72 :: v_dual_and_b32 v84, 0x7f800000, v83
	v_mul_f32_e32 v79, v82, v71
	v_mul_f32_e32 v72, v82, v69
	s_mov_b32 s2, exec_lo
	ds_store_b128 v76, v[87:90]
                                        ; implicit-def: $vgpr69
	v_cmpx_ne_u32_e32 0x7f800000, v84
	s_xor_b32 s2, exec_lo, s2
; %bb.45:
	v_bfe_u32 v69, v83, 16, 1
	s_delay_alu instid0(VALU_DEP_1)
	v_add3_u32 v69, v83, v69, 0x7fff
                                        ; implicit-def: $vgpr83
; %bb.46:
	s_and_not1_saveexec_b32 s2, s2
; %bb.47:
	v_and_b32_e32 v69, 0xffff, v83
	v_or_b32_e32 v71, 0x10000, v83
	s_delay_alu instid0(VALU_DEP_2) | instskip(NEXT) | instid1(VALU_DEP_2)
	v_cmp_eq_u32_e32 vcc_lo, 0, v69
	v_cndmask_b32_e32 v69, v71, v83, vcc_lo
; %bb.48:
	s_or_b32 exec_lo, exec_lo, s2
	v_and_b32_e32 v71, 0x7f800000, v72
	s_delay_alu instid0(VALU_DEP_1) | instskip(SKIP_1) | instid1(SALU_CYCLE_1)
	v_cmp_ne_u32_e32 vcc_lo, 0x7f800000, v71
                                        ; implicit-def: $vgpr71
	s_and_saveexec_b32 s2, vcc_lo
	s_xor_b32 s2, exec_lo, s2
; %bb.49:
	v_bfe_u32 v71, v72, 16, 1
	s_delay_alu instid0(VALU_DEP_1)
	v_add3_u32 v71, v72, v71, 0x7fff
                                        ; implicit-def: $vgpr72
; %bb.50:
	s_and_not1_saveexec_b32 s2, s2
; %bb.51:
	v_and_b32_e32 v71, 0xffff, v72
	v_or_b32_e32 v82, 0x10000, v72
	s_delay_alu instid0(VALU_DEP_2) | instskip(NEXT) | instid1(VALU_DEP_2)
	v_cmp_eq_u32_e32 vcc_lo, 0, v71
	v_cndmask_b32_e32 v71, v82, v72, vcc_lo
; %bb.52:
	s_or_b32 exec_lo, exec_lo, s2
	v_and_b32_e32 v72, 0x7f800000, v79
	s_delay_alu instid0(VALU_DEP_1) | instskip(SKIP_1) | instid1(SALU_CYCLE_1)
	v_cmp_ne_u32_e32 vcc_lo, 0x7f800000, v72
                                        ; implicit-def: $vgpr72
	s_and_saveexec_b32 s2, vcc_lo
	s_xor_b32 s2, exec_lo, s2
; %bb.53:
	v_bfe_u32 v72, v79, 16, 1
	s_delay_alu instid0(VALU_DEP_1)
	v_add3_u32 v72, v79, v72, 0x7fff
                                        ; implicit-def: $vgpr79
; %bb.54:
	s_and_not1_saveexec_b32 s2, s2
; %bb.55:
	v_and_b32_e32 v72, 0xffff, v79
	v_or_b32_e32 v82, 0x10000, v79
	s_delay_alu instid0(VALU_DEP_2) | instskip(NEXT) | instid1(VALU_DEP_2)
	v_cmp_eq_u32_e32 vcc_lo, 0, v72
	v_cndmask_b32_e32 v72, v82, v79, vcc_lo
; %bb.56:
	s_or_b32 exec_lo, exec_lo, s2
	v_and_b32_e32 v79, 0x7f800000, v81
	s_delay_alu instid0(VALU_DEP_1) | instskip(SKIP_1) | instid1(SALU_CYCLE_1)
	v_cmp_ne_u32_e32 vcc_lo, 0x7f800000, v79
                                        ; implicit-def: $vgpr79
	s_and_saveexec_b32 s2, vcc_lo
	s_xor_b32 s2, exec_lo, s2
; %bb.57:
	v_bfe_u32 v79, v81, 16, 1
	s_delay_alu instid0(VALU_DEP_1)
	v_add3_u32 v79, v81, v79, 0x7fff
                                        ; implicit-def: $vgpr81
; %bb.58:
	s_and_not1_saveexec_b32 s2, s2
; %bb.59:
	v_and_b32_e32 v79, 0xffff, v81
	v_or_b32_e32 v82, 0x10000, v81
	s_delay_alu instid0(VALU_DEP_2) | instskip(NEXT) | instid1(VALU_DEP_2)
	v_cmp_eq_u32_e32 vcc_lo, 0, v79
	v_cndmask_b32_e32 v79, v82, v81, vcc_lo
; %bb.60:
	s_or_b32 exec_lo, exec_lo, s2
	v_and_b32_e32 v81, 0x7f800000, v77
	s_delay_alu instid0(VALU_DEP_1) | instskip(SKIP_1) | instid1(SALU_CYCLE_1)
	v_cmp_ne_u32_e32 vcc_lo, 0x7f800000, v81
                                        ; implicit-def: $vgpr81
	s_and_saveexec_b32 s2, vcc_lo
	s_xor_b32 s2, exec_lo, s2
; %bb.61:
	v_bfe_u32 v81, v77, 16, 1
	s_delay_alu instid0(VALU_DEP_1)
	v_add3_u32 v81, v77, v81, 0x7fff
                                        ; implicit-def: $vgpr77
; %bb.62:
	s_and_not1_saveexec_b32 s2, s2
; %bb.63:
	v_and_b32_e32 v81, 0xffff, v77
	v_or_b32_e32 v82, 0x10000, v77
	s_delay_alu instid0(VALU_DEP_2) | instskip(NEXT) | instid1(VALU_DEP_2)
	v_cmp_eq_u32_e32 vcc_lo, 0, v81
	v_cndmask_b32_e32 v81, v82, v77, vcc_lo
; %bb.64:
	s_or_b32 exec_lo, exec_lo, s2
	v_and_b32_e32 v77, 0x7f800000, v78
	s_delay_alu instid0(VALU_DEP_1) | instskip(SKIP_1) | instid1(SALU_CYCLE_1)
	v_cmp_ne_u32_e32 vcc_lo, 0x7f800000, v77
                                        ; implicit-def: $vgpr77
	s_and_saveexec_b32 s2, vcc_lo
	s_xor_b32 s2, exec_lo, s2
; %bb.65:
	v_bfe_u32 v77, v78, 16, 1
	s_delay_alu instid0(VALU_DEP_1)
	v_add3_u32 v77, v78, v77, 0x7fff
                                        ; implicit-def: $vgpr78
; %bb.66:
	s_and_not1_saveexec_b32 s2, s2
; %bb.67:
	v_and_b32_e32 v77, 0xffff, v78
	v_or_b32_e32 v82, 0x10000, v78
	s_delay_alu instid0(VALU_DEP_2) | instskip(NEXT) | instid1(VALU_DEP_2)
	v_cmp_eq_u32_e32 vcc_lo, 0, v77
	v_cndmask_b32_e32 v77, v82, v78, vcc_lo
; %bb.68:
	s_or_b32 exec_lo, exec_lo, s2
	v_and_b32_e32 v78, 0x7f800000, v70
	s_delay_alu instid0(VALU_DEP_1) | instskip(SKIP_1) | instid1(SALU_CYCLE_1)
	v_cmp_ne_u32_e32 vcc_lo, 0x7f800000, v78
                                        ; implicit-def: $vgpr78
	s_and_saveexec_b32 s2, vcc_lo
	s_xor_b32 s2, exec_lo, s2
; %bb.69:
	v_bfe_u32 v78, v70, 16, 1
	s_delay_alu instid0(VALU_DEP_1)
	v_add3_u32 v78, v70, v78, 0x7fff
                                        ; implicit-def: $vgpr70
; %bb.70:
	s_and_not1_saveexec_b32 s2, s2
; %bb.71:
	v_and_b32_e32 v78, 0xffff, v70
	v_or_b32_e32 v82, 0x10000, v70
	s_delay_alu instid0(VALU_DEP_2) | instskip(NEXT) | instid1(VALU_DEP_2)
	v_cmp_eq_u32_e32 vcc_lo, 0, v78
	v_cndmask_b32_e32 v78, v82, v70, vcc_lo
; %bb.72:
	s_or_b32 exec_lo, exec_lo, s2
	v_and_b32_e32 v70, 0x7f800000, v66
	s_delay_alu instid0(VALU_DEP_1) | instskip(SKIP_1) | instid1(SALU_CYCLE_1)
	v_cmp_ne_u32_e32 vcc_lo, 0x7f800000, v70
                                        ; implicit-def: $vgpr70
	s_and_saveexec_b32 s2, vcc_lo
	s_xor_b32 s2, exec_lo, s2
; %bb.73:
	v_bfe_u32 v70, v66, 16, 1
	s_delay_alu instid0(VALU_DEP_1)
	v_add3_u32 v70, v66, v70, 0x7fff
                                        ; implicit-def: $vgpr66
; %bb.74:
	s_and_not1_saveexec_b32 s2, s2
; %bb.75:
	v_and_b32_e32 v70, 0xffff, v66
	v_or_b32_e32 v82, 0x10000, v66
	s_delay_alu instid0(VALU_DEP_2) | instskip(NEXT) | instid1(VALU_DEP_2)
	v_cmp_eq_u32_e32 vcc_lo, 0, v70
	v_cndmask_b32_e32 v70, v82, v66, vcc_lo
; %bb.76:
	s_or_b32 exec_lo, exec_lo, s2
	s_delay_alu instid0(VALU_DEP_1)
	v_perm_b32 v86, v70, v78, 0x7060302
	v_perm_b32 v85, v77, v81, 0x7060302
	;; [unrolled: 1-line block ×4, first 2 shown]
	v_lshl_or_b32 v82, v65, 11, v80
	ds_store_b128 v76, v[83:86] offset:1024
	s_waitcnt lgkmcnt(0)
	s_barrier
	buffer_gl0_inv
	ds_load_b128 v[69:72], v82
	ds_load_b128 v[83:86], v82 offset:16
	s_waitcnt lgkmcnt(1)
	v_lshrrev_b32_e32 v65, 16, v69
	v_lshlrev_b32_e32 v78, 2, v74
	s_waitcnt lgkmcnt(0)
	v_lshrrev_b32_e32 v91, 16, v83
	v_lshrrev_b32_e32 v66, 16, v70
	;; [unrolled: 1-line block ×4, first 2 shown]
	v_cmp_eq_u32_e32 vcc_lo, 1, v78
	v_lshrrev_b32_e32 v98, 16, v85
	v_lshrrev_b32_e32 v96, 16, v72
	;; [unrolled: 1-line block ×3, first 2 shown]
	v_cndmask_b32_e32 v81, v69, v65, vcc_lo
	v_or_b32_e32 v79, 1, v78
	v_cmp_eq_u32_e64 s3, 2, v78
	v_cndmask_b32_e32 v87, v83, v91, vcc_lo
	v_cmp_eq_u32_e64 s6, 3, v78
	v_cmp_eq_u32_e64 s8, 4, v78
	;; [unrolled: 1-line block ×3, first 2 shown]
	v_cndmask_b32_e64 v81, v81, v70, s3
	v_cmp_eq_u32_e64 s5, 2, v79
	v_cndmask_b32_e64 v87, v87, v84, s3
	v_cmp_eq_u32_e64 s7, 3, v79
	v_cndmask_b32_e64 v88, v69, v65, s2
	v_cndmask_b32_e64 v81, v81, v66, s6
	v_or_b32_e32 v77, 2, v78
	v_cndmask_b32_e64 v87, v87, v97, s6
	v_cndmask_b32_e64 v89, v83, v91, s2
	;; [unrolled: 1-line block ×4, first 2 shown]
	v_cmp_eq_u32_e64 s9, 5, v78
	v_cndmask_b32_e64 v87, v87, v85, s8
	v_cmp_eq_u32_e64 s10, 4, v79
	v_cndmask_b32_e64 v88, v88, v66, s7
	;; [unrolled: 2-line block ×3, first 2 shown]
	v_cndmask_b32_e64 v81, v81, v95, s9
	v_cmp_eq_u32_e64 s11, 6, v78
	v_cndmask_b32_e64 v88, v88, v71, s10
	v_cndmask_b32_e64 v87, v87, v98, s9
	v_cmp_eq_u32_e64 s12, 5, v79
	v_cndmask_b32_e64 v90, v69, v65, s4
	v_cndmask_b32_e64 v89, v89, v97, s7
	;; [unrolled: 1-line block ×3, first 2 shown]
	v_cmp_eq_u32_e64 s13, 7, v78
	v_cndmask_b32_e64 v88, v88, v95, s12
	v_cndmask_b32_e64 v87, v87, v86, s11
	v_cmp_eq_u32_e64 s15, 6, v79
	v_cmp_eq_u32_e64 s16, 2, v77
	v_cndmask_b32_e64 v89, v89, v85, s10
	v_cndmask_b32_e64 v100, v81, v96, s13
	;; [unrolled: 1-line block ×6, first 2 shown]
	v_cmp_eq_u32_e64 s17, 7, v79
	v_cmp_eq_u32_e64 s18, 3, v77
	;; [unrolled: 1-line block ×4, first 2 shown]
	v_cndmask_b32_e64 v87, v87, v84, s16
	v_cndmask_b32_e64 v102, v88, v96, s17
	;; [unrolled: 1-line block ×4, first 2 shown]
	v_or_b32_e32 v81, 3, v78
	v_cndmask_b32_e64 v93, v87, v97, s18
	v_cmp_eq_u32_e64 s23, 6, v77
	v_cndmask_b32_e64 v103, v88, v86, s15
	v_cndmask_b32_e64 v92, v89, v71, s19
	v_cmp_eq_u32_e64 s20, 1, v81
	ds_load_b128 v[87:90], v82 offset:1024
	v_cmp_eq_u32_e64 s22, 2, v81
	v_cmp_eq_u32_e64 s24, 3, v81
	v_cndmask_b32_e64 v104, v92, v95, s21
	v_cndmask_b32_e64 v65, v69, v65, s20
	;; [unrolled: 1-line block ×4, first 2 shown]
	ds_load_b128 v[91:94], v82 offset:1040
	v_cmp_eq_u32_e64 s25, 4, v81
	v_cndmask_b32_e64 v65, v65, v70, s22
	v_cmp_eq_u32_e64 s27, 5, v81
	v_cndmask_b32_e64 v70, v83, v84, s22
	;; [unrolled: 2-line block ×3, first 2 shown]
	v_cndmask_b32_e64 v65, v65, v66, s24
	v_cndmask_b32_e64 v66, v104, v72, s23
	;; [unrolled: 1-line block ×3, first 2 shown]
	v_cmp_eq_u32_e64 s26, 7, v77
	v_cndmask_b32_e64 v69, v69, v86, s23
	v_cndmask_b32_e64 v65, v65, v71, s25
	s_waitcnt lgkmcnt(1)
	v_lshrrev_b32_e32 v84, 16, v87
	v_cndmask_b32_e64 v70, v70, v85, s25
	v_cndmask_b32_e64 v83, v103, v99, s17
	;; [unrolled: 1-line block ×4, first 2 shown]
	v_lshrrev_b32_e32 v95, 16, v88
	v_cndmask_b32_e64 v70, v70, v98, s27
	s_waitcnt lgkmcnt(0)
	v_lshrrev_b32_e32 v85, 16, v91
	v_cndmask_b32_e64 v97, v87, v84, s2
	v_cndmask_b32_e64 v65, v65, v72, s28
	;; [unrolled: 1-line block ×4, first 2 shown]
	v_cndmask_b32_e32 v71, v87, v84, vcc_lo
	v_cndmask_b32_e32 v98, v91, v85, vcc_lo
	v_cmp_eq_u32_e32 vcc_lo, 7, v81
	v_cndmask_b32_e64 v72, v97, v88, s5
	v_lshrrev_b32_e32 v97, 16, v92
	v_lshrrev_b32_e32 v103, 16, v90
	v_dual_cndmask_b32 v65, v65, v96 :: v_dual_cndmask_b32 v70, v70, v99
	v_cndmask_b32_e64 v71, v71, v88, s3
	v_cndmask_b32_e64 v86, v98, v92, s3
	;; [unrolled: 1-line block ×3, first 2 shown]
	v_lshrrev_b32_e32 v98, 16, v89
	v_lshrrev_b32_e32 v99, 16, v93
	v_cndmask_b32_e64 v71, v71, v95, s6
	v_cndmask_b32_e64 v86, v86, v97, s6
	v_cndmask_b32_e64 v96, v72, v89, s10
	v_perm_b32 v72, v70, v65, 0x5040100
	v_perm_b32 v70, v83, v102, 0x5040100
	v_cndmask_b32_e64 v71, v71, v89, s8
	v_cndmask_b32_e64 v86, v86, v93, s8
	;; [unrolled: 1-line block ×3, first 2 shown]
	v_lshrrev_b32_e32 v83, 16, v94
	s_delay_alu instid0(VALU_DEP_4) | instskip(NEXT) | instid1(VALU_DEP_4)
	v_cndmask_b32_e64 v71, v71, v98, s9
	v_cndmask_b32_e64 v86, v86, v99, s9
	s_delay_alu instid0(VALU_DEP_4) | instskip(NEXT) | instid1(VALU_DEP_3)
	v_cndmask_b32_e64 v65, v65, v90, s15
	v_cndmask_b32_e64 v96, v71, v90, s11
	v_perm_b32 v71, v69, v66, 0x5040100
	s_delay_alu instid0(VALU_DEP_4)
	v_cndmask_b32_e64 v69, v86, v94, s11
	v_cndmask_b32_e64 v86, v87, v84, s4
	v_cndmask_b32_e64 v84, v87, v84, s20
	v_cndmask_b32_e64 v66, v96, v103, s13
	v_cndmask_b32_e64 v87, v91, v85, s20
	v_cndmask_b32_e64 v96, v91, v85, s4
	v_cndmask_b32_e64 v85, v91, v85, s2
	v_cndmask_b32_e64 v86, v86, v88, s16
	v_cndmask_b32_e64 v84, v84, v88, s22
	v_cndmask_b32_e64 v87, v87, v92, s22
	v_cndmask_b32_e64 v88, v96, v92, s16
	v_cndmask_b32_e64 v85, v85, v92, s5
	v_cndmask_b32_e64 v86, v86, v95, s18
	v_cndmask_b32_e64 v84, v84, v95, s24
	v_cndmask_b32_e64 v87, v87, v97, s24
	v_cndmask_b32_e64 v88, v88, v97, s18
	v_cndmask_b32_e64 v85, v85, v97, s7
	v_cndmask_b32_e64 v86, v86, v89, s19
	v_cndmask_b32_e64 v84, v84, v89, s25
	v_cndmask_b32_e64 v87, v87, v93, s25
	v_cndmask_b32_e64 v88, v88, v93, s19
	v_cndmask_b32_e64 v85, v85, v93, s10
	v_cndmask_b32_e64 v86, v86, v98, s21
	v_cndmask_b32_e64 v84, v84, v98, s27
	v_cndmask_b32_e64 v87, v87, v99, s27
	v_cndmask_b32_e64 v88, v88, v99, s21
	v_cndmask_b32_e64 v85, v85, v99, s12
	v_cndmask_b32_e64 v86, v86, v90, s23
	v_cndmask_b32_e64 v84, v84, v90, s28
	v_cndmask_b32_e64 v87, v87, v94, s28
	v_cndmask_b32_e64 v88, v88, v94, s23
	v_cndmask_b32_e64 v85, v85, v94, s15
	v_cndmask_b32_e64 v65, v65, v103, s17
	v_cndmask_b32_e64 v89, v86, v103, s26
	v_cndmask_b32_e32 v84, v84, v103, vcc_lo
	v_cndmask_b32_e32 v86, v87, v83, vcc_lo
	v_cndmask_b32_e64 v87, v88, v83, s26
	v_cndmask_b32_e64 v88, v85, v83, s17
	;; [unrolled: 1-line block ×3, first 2 shown]
	v_perm_b32 v69, v101, v100, 0x5040100
	v_perm_b32 v86, v86, v84, 0x5040100
	;; [unrolled: 1-line block ×5, first 2 shown]
	s_lshl_b32 s7, s35, 3
	s_mov_b32 s2, exec_lo
	ds_store_b128 v76, v[69:72]
	ds_store_b128 v76, v[83:86] offset:1024
	v_cmpx_gt_u32_e32 8, v0
	s_cbranch_execz .LBB1633_78
; %bb.77:
	v_or_b32_e32 v65, s29, v0
	s_load_b128 s[8:11], s[0:1], 0x58
	s_delay_alu instid0(VALU_DEP_1) | instskip(NEXT) | instid1(VALU_DEP_1)
	v_mad_u64_u32 v[69:70], null, s7, s30, v[65:66]
	v_mad_u64_u32 v[65:66], null, v69, s34, s[14:15]
	s_delay_alu instid0(VALU_DEP_1) | instskip(NEXT) | instid1(VALU_DEP_1)
	v_ashrrev_i32_e32 v66, 31, v65
	v_lshlrev_b64 v[65:66], 2, v[65:66]
	s_waitcnt lgkmcnt(0)
	s_delay_alu instid0(VALU_DEP_1) | instskip(NEXT) | instid1(VALU_DEP_2)
	v_add_co_u32 v69, vcc_lo, s10, v65
	v_add_co_ci_u32_e32 v70, vcc_lo, s11, v66, vcc_lo
	v_add_co_u32 v65, vcc_lo, s8, v65
	v_add_co_ci_u32_e32 v66, vcc_lo, s9, v66, vcc_lo
	global_store_b32 v[69:70], v67, off
	global_store_b32 v[65:66], v68, off
.LBB1633_78:
	s_or_b32 exec_lo, exec_lo, s2
	s_waitcnt lgkmcnt(0)
	s_waitcnt_vscnt null, 0x0
	s_barrier
	buffer_gl0_inv
	ds_load_b128 v[83:86], v80
	ds_load_b128 v[87:90], v80 offset:16
	ds_load_b128 v[95:98], v80 offset:2064
	ds_load_b128 v[91:94], v80 offset:2048
	v_mov_b32_e32 v65, 0
	ds_load_b128 v[103:106], v80 offset:4112
	ds_load_b128 v[99:102], v80 offset:4096
	;; [unrolled: 1-line block ×4, first 2 shown]
	v_mov_b32_e32 v66, v65
	v_mov_b32_e32 v67, v65
	;; [unrolled: 1-line block ×7, first 2 shown]
	s_waitcnt lgkmcnt(6)
	s_delay_alu instid0(VALU_DEP_1)
	v_wmma_f32_16x16x16_bf16 v[65:72], v[49:56], v[83:90], v[65:72]
	ds_load_b128 v[53:56], v80 offset:8208
	ds_load_b128 v[49:52], v80 offset:8192
	s_waitcnt lgkmcnt(6)
	v_wmma_f32_16x16x16_bf16 v[65:72], v[41:48], v[91:98], v[65:72]
	ds_load_b128 v[45:48], v80 offset:10256
	ds_load_b128 v[41:44], v80 offset:10240
	s_waitcnt lgkmcnt(6)
	v_wmma_f32_16x16x16_bf16 v[65:72], v[33:40], v[99:106], v[65:72]
	ds_load_b128 v[37:40], v80 offset:12304
	ds_load_b128 v[33:36], v80 offset:12288
	s_waitcnt lgkmcnt(6)
	v_wmma_f32_16x16x16_bf16 v[65:72], v[25:32], v[107:114], v[65:72]
	ds_load_b128 v[29:32], v80 offset:14352
	ds_load_b128 v[25:28], v80 offset:14336
	s_waitcnt lgkmcnt(6)
	v_wmma_f32_16x16x16_bf16 v[65:72], v[1:8], v[49:56], v[65:72]
	s_waitcnt lgkmcnt(4)
	s_delay_alu instid0(VALU_DEP_1) | instskip(SKIP_1) | instid1(VALU_DEP_1)
	v_wmma_f32_16x16x16_bf16 v[65:72], v[9:16], v[41:48], v[65:72]
	s_waitcnt lgkmcnt(2)
	v_wmma_f32_16x16x16_bf16 v[65:72], v[17:24], v[33:40], v[65:72]
	s_waitcnt lgkmcnt(0)
	s_delay_alu instid0(VALU_DEP_1) | instskip(NEXT) | instid1(VALU_DEP_1)
	v_wmma_f32_16x16x16_bf16 v[65:72], v[57:64], v[25:32], v[65:72]
	v_and_b32_e32 v1, 0x7f800000, v65
	s_delay_alu instid0(VALU_DEP_1) | instskip(SKIP_1) | instid1(SALU_CYCLE_1)
	v_cmp_ne_u32_e32 vcc_lo, 0x7f800000, v1
                                        ; implicit-def: $vgpr1
	s_and_saveexec_b32 s2, vcc_lo
	s_xor_b32 s2, exec_lo, s2
; %bb.79:
	v_bfe_u32 v1, v65, 16, 1
	s_delay_alu instid0(VALU_DEP_1)
	v_add3_u32 v1, v65, v1, 0x7fff
; %bb.80:
	s_and_not1_saveexec_b32 s2, s2
; %bb.81:
	v_and_b32_e32 v1, 0xffff, v65
	v_or_b32_e32 v2, 0x10000, v65
	s_delay_alu instid0(VALU_DEP_2) | instskip(NEXT) | instid1(VALU_DEP_2)
	v_cmp_eq_u32_e32 vcc_lo, 0, v1
	v_cndmask_b32_e32 v1, v2, v65, vcc_lo
; %bb.82:
	s_or_b32 exec_lo, exec_lo, s2
	v_and_b32_e32 v2, 0x7f800000, v66
	s_delay_alu instid0(VALU_DEP_1) | instskip(SKIP_1) | instid1(SALU_CYCLE_1)
	v_cmp_ne_u32_e32 vcc_lo, 0x7f800000, v2
                                        ; implicit-def: $vgpr2
	s_and_saveexec_b32 s2, vcc_lo
	s_xor_b32 s2, exec_lo, s2
; %bb.83:
	v_bfe_u32 v2, v66, 16, 1
	s_delay_alu instid0(VALU_DEP_1)
	v_add3_u32 v2, v66, v2, 0x7fff
; %bb.84:
	s_and_not1_saveexec_b32 s2, s2
; %bb.85:
	v_and_b32_e32 v2, 0xffff, v66
	v_or_b32_e32 v3, 0x10000, v66
	s_delay_alu instid0(VALU_DEP_2) | instskip(NEXT) | instid1(VALU_DEP_2)
	v_cmp_eq_u32_e32 vcc_lo, 0, v2
	v_cndmask_b32_e32 v2, v3, v66, vcc_lo
; %bb.86:
	s_or_b32 exec_lo, exec_lo, s2
	v_and_b32_e32 v3, 0x7f800000, v67
	s_delay_alu instid0(VALU_DEP_1) | instskip(SKIP_1) | instid1(SALU_CYCLE_1)
	v_cmp_ne_u32_e32 vcc_lo, 0x7f800000, v3
                                        ; implicit-def: $vgpr3
	s_and_saveexec_b32 s2, vcc_lo
	s_xor_b32 s2, exec_lo, s2
; %bb.87:
	v_bfe_u32 v3, v67, 16, 1
	s_delay_alu instid0(VALU_DEP_1)
	v_add3_u32 v3, v67, v3, 0x7fff
; %bb.88:
	s_and_not1_saveexec_b32 s2, s2
; %bb.89:
	v_and_b32_e32 v3, 0xffff, v67
	v_or_b32_e32 v4, 0x10000, v67
	s_delay_alu instid0(VALU_DEP_2) | instskip(NEXT) | instid1(VALU_DEP_2)
	v_cmp_eq_u32_e32 vcc_lo, 0, v3
	v_cndmask_b32_e32 v3, v4, v67, vcc_lo
; %bb.90:
	s_or_b32 exec_lo, exec_lo, s2
	v_and_b32_e32 v4, 0x7f800000, v68
	s_delay_alu instid0(VALU_DEP_1) | instskip(SKIP_1) | instid1(SALU_CYCLE_1)
	v_cmp_ne_u32_e32 vcc_lo, 0x7f800000, v4
                                        ; implicit-def: $vgpr4
	s_and_saveexec_b32 s2, vcc_lo
	s_xor_b32 s2, exec_lo, s2
; %bb.91:
	v_bfe_u32 v4, v68, 16, 1
	s_delay_alu instid0(VALU_DEP_1)
	v_add3_u32 v4, v68, v4, 0x7fff
; %bb.92:
	s_and_not1_saveexec_b32 s2, s2
; %bb.93:
	v_and_b32_e32 v4, 0xffff, v68
	v_or_b32_e32 v5, 0x10000, v68
	s_delay_alu instid0(VALU_DEP_2) | instskip(NEXT) | instid1(VALU_DEP_2)
	v_cmp_eq_u32_e32 vcc_lo, 0, v4
	v_cndmask_b32_e32 v4, v5, v68, vcc_lo
; %bb.94:
	s_or_b32 exec_lo, exec_lo, s2
	v_and_b32_e32 v5, 0x7f800000, v69
	s_delay_alu instid0(VALU_DEP_1) | instskip(SKIP_1) | instid1(SALU_CYCLE_1)
	v_cmp_ne_u32_e32 vcc_lo, 0x7f800000, v5
                                        ; implicit-def: $vgpr5
	s_and_saveexec_b32 s2, vcc_lo
	s_xor_b32 s2, exec_lo, s2
; %bb.95:
	v_bfe_u32 v5, v69, 16, 1
	s_delay_alu instid0(VALU_DEP_1)
	v_add3_u32 v5, v69, v5, 0x7fff
; %bb.96:
	s_and_not1_saveexec_b32 s2, s2
; %bb.97:
	v_and_b32_e32 v5, 0xffff, v69
	v_or_b32_e32 v6, 0x10000, v69
	s_delay_alu instid0(VALU_DEP_2) | instskip(NEXT) | instid1(VALU_DEP_2)
	v_cmp_eq_u32_e32 vcc_lo, 0, v5
	v_cndmask_b32_e32 v5, v6, v69, vcc_lo
; %bb.98:
	s_or_b32 exec_lo, exec_lo, s2
	v_and_b32_e32 v6, 0x7f800000, v70
	s_delay_alu instid0(VALU_DEP_1) | instskip(SKIP_1) | instid1(SALU_CYCLE_1)
	v_cmp_ne_u32_e32 vcc_lo, 0x7f800000, v6
                                        ; implicit-def: $vgpr6
	s_and_saveexec_b32 s2, vcc_lo
	s_xor_b32 s2, exec_lo, s2
; %bb.99:
	v_bfe_u32 v6, v70, 16, 1
	s_delay_alu instid0(VALU_DEP_1)
	v_add3_u32 v6, v70, v6, 0x7fff
; %bb.100:
	s_and_not1_saveexec_b32 s2, s2
; %bb.101:
	v_and_b32_e32 v6, 0xffff, v70
	v_or_b32_e32 v7, 0x10000, v70
	s_delay_alu instid0(VALU_DEP_2) | instskip(NEXT) | instid1(VALU_DEP_2)
	v_cmp_eq_u32_e32 vcc_lo, 0, v6
	v_cndmask_b32_e32 v6, v7, v70, vcc_lo
; %bb.102:
	s_or_b32 exec_lo, exec_lo, s2
	v_and_b32_e32 v7, 0x7f800000, v71
	s_delay_alu instid0(VALU_DEP_1) | instskip(SKIP_1) | instid1(SALU_CYCLE_1)
	v_cmp_ne_u32_e32 vcc_lo, 0x7f800000, v7
                                        ; implicit-def: $vgpr7
	s_and_saveexec_b32 s2, vcc_lo
	s_xor_b32 s2, exec_lo, s2
; %bb.103:
	v_bfe_u32 v7, v71, 16, 1
	s_delay_alu instid0(VALU_DEP_1)
	v_add3_u32 v7, v71, v7, 0x7fff
; %bb.104:
	s_and_not1_saveexec_b32 s2, s2
; %bb.105:
	v_and_b32_e32 v7, 0xffff, v71
	v_or_b32_e32 v8, 0x10000, v71
	s_delay_alu instid0(VALU_DEP_2) | instskip(NEXT) | instid1(VALU_DEP_2)
	v_cmp_eq_u32_e32 vcc_lo, 0, v7
	v_cndmask_b32_e32 v7, v8, v71, vcc_lo
; %bb.106:
	s_or_b32 exec_lo, exec_lo, s2
	v_and_b32_e32 v8, 0x7f800000, v72
	s_delay_alu instid0(VALU_DEP_1) | instskip(SKIP_1) | instid1(SALU_CYCLE_1)
	v_cmp_ne_u32_e32 vcc_lo, 0x7f800000, v8
                                        ; implicit-def: $vgpr8
	s_and_saveexec_b32 s2, vcc_lo
	s_xor_b32 s2, exec_lo, s2
; %bb.107:
	v_bfe_u32 v8, v72, 16, 1
	s_delay_alu instid0(VALU_DEP_1)
	v_add3_u32 v8, v72, v8, 0x7fff
                                        ; implicit-def: $vgpr65_vgpr66_vgpr67_vgpr68_vgpr69_vgpr70_vgpr71_vgpr72
; %bb.108:
	s_and_not1_saveexec_b32 s2, s2
; %bb.109:
	v_and_b32_e32 v8, 0xffff, v72
	v_or_b32_e32 v9, 0x10000, v72
	s_delay_alu instid0(VALU_DEP_2) | instskip(NEXT) | instid1(VALU_DEP_2)
	v_cmp_eq_u32_e32 vcc_lo, 0, v8
	v_cndmask_b32_e32 v8, v9, v72, vcc_lo
; %bb.110:
	s_or_b32 exec_lo, exec_lo, s2
	s_delay_alu instid0(VALU_DEP_1)
	v_perm_b32 v7, v8, v7, 0x7060302
	v_perm_b32 v6, v6, v5, 0x7060302
	;; [unrolled: 1-line block ×4, first 2 shown]
	s_barrier
	buffer_gl0_inv
	v_cmp_eq_u32_e32 vcc_lo, 1, v78
	ds_store_b128 v76, v[4:7]
	s_waitcnt lgkmcnt(0)
	s_barrier
	buffer_gl0_inv
	ds_load_b128 v[1:4], v82
	ds_load_b128 v[5:8], v82 offset:16
	v_cmp_eq_u32_e64 s2, 1, v79
	v_cmp_eq_u32_e64 s3, 2, v78
	;; [unrolled: 1-line block ×5, first 2 shown]
	s_waitcnt lgkmcnt(1)
	v_lshrrev_b32_e32 v9, 16, v1
	s_waitcnt lgkmcnt(0)
	v_lshrrev_b32_e32 v13, 16, v5
	v_lshrrev_b32_e32 v10, 16, v2
	;; [unrolled: 1-line block ×4, first 2 shown]
	v_cndmask_b32_e64 v19, v1, v9, s2
	v_cndmask_b32_e32 v18, v5, v13, vcc_lo
	v_cndmask_b32_e64 v20, v5, v13, s2
	v_cndmask_b32_e32 v17, v1, v9, vcc_lo
	v_cmp_eq_u32_e32 vcc_lo, 2, v79
	v_lshrrev_b32_e32 v15, 16, v7
	v_cmp_eq_u32_e64 s2, 1, v77
	v_lshrrev_b32_e32 v12, 16, v4
	v_lshrrev_b32_e32 v16, 16, v8
	v_cndmask_b32_e32 v20, v20, v6, vcc_lo
	v_cndmask_b32_e64 v17, v17, v2, s3
	v_cndmask_b32_e32 v19, v19, v2, vcc_lo
	v_cndmask_b32_e64 v18, v18, v6, s3
	v_cmp_eq_u32_e32 vcc_lo, 4, v78
	v_cmp_eq_u32_e64 s3, 3, v79
	v_cndmask_b32_e64 v17, v17, v10, s4
	v_cndmask_b32_e64 v21, v1, v9, s2
	;; [unrolled: 1-line block ×5, first 2 shown]
	v_cndmask_b32_e32 v17, v17, v3, vcc_lo
	v_cndmask_b32_e64 v20, v20, v14, s3
	v_cndmask_b32_e32 v18, v18, v7, vcc_lo
	v_cmp_eq_u32_e32 vcc_lo, 4, v79
	v_cmp_eq_u32_e64 s3, 5, v79
	v_cmp_eq_u32_e64 s2, 2, v81
	v_cndmask_b32_e64 v21, v21, v2, s6
	v_cmp_eq_u32_e64 s4, 5, v78
	v_cndmask_b32_e32 v19, v19, v3, vcc_lo
	v_cndmask_b32_e32 v20, v20, v7, vcc_lo
	v_cmp_eq_u32_e32 vcc_lo, 6, v79
	s_delay_alu instid0(VALU_DEP_4) | instskip(NEXT) | instid1(VALU_DEP_4)
	v_cndmask_b32_e64 v17, v17, v11, s4
	v_cndmask_b32_e64 v19, v19, v11, s3
	s_delay_alu instid0(VALU_DEP_4) | instskip(SKIP_1) | instid1(VALU_DEP_3)
	v_cndmask_b32_e64 v20, v20, v15, s3
	v_cmp_eq_u32_e64 s3, 1, v81
	v_cndmask_b32_e32 v19, v19, v4, vcc_lo
	v_cndmask_b32_e64 v18, v18, v15, s4
	s_delay_alu instid0(VALU_DEP_3)
	v_cndmask_b32_e64 v1, v1, v9, s3
	v_cndmask_b32_e64 v5, v5, v13, s3
	v_cmp_eq_u32_e64 s3, 3, v77
	v_cndmask_b32_e64 v13, v22, v6, s6
	v_cmp_eq_u32_e64 s6, 3, v81
	v_cndmask_b32_e64 v1, v1, v2, s2
	v_cndmask_b32_e64 v2, v5, v6, s2
	;; [unrolled: 1-line block ×3, first 2 shown]
	v_cmp_eq_u32_e64 s2, 4, v77
	v_cndmask_b32_e64 v6, v13, v14, s3
	v_cndmask_b32_e64 v1, v1, v10, s6
	v_cmp_eq_u32_e64 s3, 4, v81
	v_cndmask_b32_e64 v2, v2, v14, s6
	v_cndmask_b32_e64 v5, v9, v3, s2
	;; [unrolled: 3-line block ×3, first 2 shown]
	v_cndmask_b32_e64 v2, v2, v7, s3
	v_cmp_eq_u32_e64 s2, 5, v81
	v_cmp_eq_u32_e64 s4, 6, v78
	v_cndmask_b32_e64 v5, v5, v11, s6
	v_cmp_eq_u32_e64 s3, 6, v77
	v_cndmask_b32_e64 v3, v6, v15, s6
	v_cndmask_b32_e64 v1, v1, v11, s2
	v_cmp_eq_u32_e64 s6, 6, v81
	v_cndmask_b32_e64 v2, v2, v15, s2
	v_cndmask_b32_e64 v17, v17, v4, s4
	v_cndmask_b32_e64 v18, v18, v8, s4
	v_cmp_eq_u32_e64 s4, 7, v78
	v_cndmask_b32_e64 v5, v5, v4, s3
	v_cndmask_b32_e64 v3, v3, v8, s3
	v_cndmask_b32_e64 v1, v1, v4, s6
	v_cmp_eq_u32_e64 s2, 7, v81
	v_cndmask_b32_e64 v2, v2, v8, s6
	v_cmp_eq_u32_e64 s3, 7, v77
	v_cndmask_b32_e32 v4, v20, v8, vcc_lo
	v_cndmask_b32_e64 v17, v17, v12, s4
	v_cndmask_b32_e64 v19, v19, v12, s5
	;; [unrolled: 1-line block ×8, first 2 shown]
	s_mov_b32 s2, exec_lo
	v_perm_b32 v4, v2, v1, 0x5040100
	v_perm_b32 v3, v3, v5, 0x5040100
	;; [unrolled: 1-line block ×4, first 2 shown]
	ds_store_b128 v76, v[1:4]
	s_waitcnt lgkmcnt(0)
	s_barrier
	buffer_gl0_inv
	v_cmpx_gt_u32_e32 32, v0
	s_cbranch_execz .LBB1633_2
; %bb.111:
	s_load_b64 s[0:1], s[0:1], 0x68
	s_lshl_b32 s4, s34, 7
	v_or_b32_e32 v2, s29, v74
	s_mul_i32 s2, s4, s30
	v_lshlrev_b32_e32 v1, 10, v0
	s_mul_i32 s2, s2, s7
	v_lshlrev_b32_e32 v3, 4, v75
	v_mul_lo_u32 v0, v2, s4
	s_ashr_i32 s3, s2, 31
	v_lshlrev_b32_e32 v4, 6, v74
	v_and_b32_e32 v1, 0x3800, v1
	v_or_b32_e32 v5, 2, v2
	s_lshl_b64 s[2:3], s[2:3], 1
	v_or_b32_e32 v6, 4, v2
	v_or_b32_e32 v7, 6, v2
	v_or3_b32 v12, v1, v3, v4
	v_ashrrev_i32_e32 v1, 31, v0
	v_mul_lo_u32 v2, v5, s4
	v_mul_lo_u32 v16, v6, s4
	;; [unrolled: 1-line block ×3, first 2 shown]
	s_waitcnt lgkmcnt(0)
	s_add_u32 s2, s0, s2
	s_addc_u32 s3, s1, s3
	s_lshl_b32 s0, s14, 7
	v_lshlrev_b64 v[0:1], 1, v[0:1]
	s_ashr_i32 s1, s0, 31
	v_ashrrev_i32_e32 v3, 31, v2
	s_lshl_b64 s[0:1], s[0:1], 1
	v_ashrrev_i32_e32 v17, 31, v16
	s_add_u32 s0, s2, s0
	s_addc_u32 s1, s3, s1
	v_add_co_u32 v24, s0, s0, v73
	s_delay_alu instid0(VALU_DEP_1) | instskip(SKIP_1) | instid1(VALU_DEP_3)
	v_add_co_ci_u32_e64 v25, null, s1, 0, s0
	v_lshlrev_b64 v[22:23], 1, v[2:3]
	v_add_co_u32 v18, vcc_lo, v24, v0
	s_delay_alu instid0(VALU_DEP_3)
	v_add_co_ci_u32_e32 v19, vcc_lo, v25, v1, vcc_lo
	ds_load_b128 v[0:3], v12
	ds_load_b128 v[4:7], v12 offset:128
	ds_load_b128 v[8:11], v12 offset:256
	;; [unrolled: 1-line block ×3, first 2 shown]
	v_ashrrev_i32_e32 v21, 31, v20
	v_lshlrev_b64 v[16:17], 1, v[16:17]
	v_add_co_u32 v22, vcc_lo, v24, v22
	v_add_co_ci_u32_e32 v23, vcc_lo, v25, v23, vcc_lo
	s_delay_alu instid0(VALU_DEP_4) | instskip(NEXT) | instid1(VALU_DEP_4)
	v_lshlrev_b64 v[20:21], 1, v[20:21]
	v_add_co_u32 v16, vcc_lo, v24, v16
	v_add_co_ci_u32_e32 v17, vcc_lo, v25, v17, vcc_lo
	s_delay_alu instid0(VALU_DEP_3) | instskip(NEXT) | instid1(VALU_DEP_4)
	v_add_co_u32 v20, vcc_lo, v24, v20
	v_add_co_ci_u32_e32 v21, vcc_lo, v25, v21, vcc_lo
	s_waitcnt lgkmcnt(3)
	global_store_b128 v[18:19], v[0:3], off
	s_waitcnt lgkmcnt(2)
	global_store_b128 v[22:23], v[4:7], off
	;; [unrolled: 2-line block ×4, first 2 shown]
	s_nop 0
	s_sendmsg sendmsg(MSG_DEALLOC_VGPRS)
	s_endpgm
	.section	.rodata,"a",@progbits
	.p2align	6, 0x0
	.amdhsa_kernel _Z39paged_attention_ll4mi_QKV_mfma16_kernelI14__hip_bfloat16hLN4vllm18Fp8KVCacheDataTypeE1ES0_Li32ELi128ELi256ELb1ELi8EL8MFMAType1EEvPKT_PKT0_S9_ifPKiSB_SB_iPKfiiiPfSE_PS4_PT2_iSD_SD_
		.amdhsa_group_segment_fixed_size 17472
		.amdhsa_private_segment_fixed_size 0
		.amdhsa_kernarg_size 400
		.amdhsa_user_sgpr_count 13
		.amdhsa_user_sgpr_dispatch_ptr 0
		.amdhsa_user_sgpr_queue_ptr 0
		.amdhsa_user_sgpr_kernarg_segment_ptr 1
		.amdhsa_user_sgpr_dispatch_id 0
		.amdhsa_user_sgpr_private_segment_size 0
		.amdhsa_wavefront_size32 1
		.amdhsa_uses_dynamic_stack 0
		.amdhsa_enable_private_segment 0
		.amdhsa_system_sgpr_workgroup_id_x 1
		.amdhsa_system_sgpr_workgroup_id_y 1
		.amdhsa_system_sgpr_workgroup_id_z 1
		.amdhsa_system_sgpr_workgroup_info 0
		.amdhsa_system_vgpr_workitem_id 0
		.amdhsa_next_free_vgpr 140
		.amdhsa_next_free_sgpr 36
		.amdhsa_reserve_vcc 1
		.amdhsa_float_round_mode_32 0
		.amdhsa_float_round_mode_16_64 0
		.amdhsa_float_denorm_mode_32 3
		.amdhsa_float_denorm_mode_16_64 3
		.amdhsa_dx10_clamp 1
		.amdhsa_ieee_mode 1
		.amdhsa_fp16_overflow 0
		.amdhsa_workgroup_processor_mode 1
		.amdhsa_memory_ordered 1
		.amdhsa_forward_progress 0
		.amdhsa_shared_vgpr_count 0
		.amdhsa_exception_fp_ieee_invalid_op 0
		.amdhsa_exception_fp_denorm_src 0
		.amdhsa_exception_fp_ieee_div_zero 0
		.amdhsa_exception_fp_ieee_overflow 0
		.amdhsa_exception_fp_ieee_underflow 0
		.amdhsa_exception_fp_ieee_inexact 0
		.amdhsa_exception_int_div_zero 0
	.end_amdhsa_kernel
	.section	.text._Z39paged_attention_ll4mi_QKV_mfma16_kernelI14__hip_bfloat16hLN4vllm18Fp8KVCacheDataTypeE1ES0_Li32ELi128ELi256ELb1ELi8EL8MFMAType1EEvPKT_PKT0_S9_ifPKiSB_SB_iPKfiiiPfSE_PS4_PT2_iSD_SD_,"axG",@progbits,_Z39paged_attention_ll4mi_QKV_mfma16_kernelI14__hip_bfloat16hLN4vllm18Fp8KVCacheDataTypeE1ES0_Li32ELi128ELi256ELb1ELi8EL8MFMAType1EEvPKT_PKT0_S9_ifPKiSB_SB_iPKfiiiPfSE_PS4_PT2_iSD_SD_,comdat
.Lfunc_end1633:
	.size	_Z39paged_attention_ll4mi_QKV_mfma16_kernelI14__hip_bfloat16hLN4vllm18Fp8KVCacheDataTypeE1ES0_Li32ELi128ELi256ELb1ELi8EL8MFMAType1EEvPKT_PKT0_S9_ifPKiSB_SB_iPKfiiiPfSE_PS4_PT2_iSD_SD_, .Lfunc_end1633-_Z39paged_attention_ll4mi_QKV_mfma16_kernelI14__hip_bfloat16hLN4vllm18Fp8KVCacheDataTypeE1ES0_Li32ELi128ELi256ELb1ELi8EL8MFMAType1EEvPKT_PKT0_S9_ifPKiSB_SB_iPKfiiiPfSE_PS4_PT2_iSD_SD_
                                        ; -- End function
	.section	.AMDGPU.csdata,"",@progbits
; Kernel info:
; codeLenInByte = 8860
; NumSgprs: 38
; NumVgprs: 140
; ScratchSize: 0
; MemoryBound: 0
; FloatMode: 240
; IeeeMode: 1
; LDSByteSize: 17472 bytes/workgroup (compile time only)
; SGPRBlocks: 4
; VGPRBlocks: 17
; NumSGPRsForWavesPerEU: 38
; NumVGPRsForWavesPerEU: 140
; Occupancy: 10
; WaveLimiterHint : 1
; COMPUTE_PGM_RSRC2:SCRATCH_EN: 0
; COMPUTE_PGM_RSRC2:USER_SGPR: 13
; COMPUTE_PGM_RSRC2:TRAP_HANDLER: 0
; COMPUTE_PGM_RSRC2:TGID_X_EN: 1
; COMPUTE_PGM_RSRC2:TGID_Y_EN: 1
; COMPUTE_PGM_RSRC2:TGID_Z_EN: 1
; COMPUTE_PGM_RSRC2:TIDIG_COMP_CNT: 0
	.section	.text._Z39paged_attention_ll4mi_QKV_mfma16_kernelI14__hip_bfloat16hLN4vllm18Fp8KVCacheDataTypeE1ES0_Li32ELi128ELi256ELb1ELi9EL8MFMAType1EEvPKT_PKT0_S9_ifPKiSB_SB_iPKfiiiPfSE_PS4_PT2_iSD_SD_,"axG",@progbits,_Z39paged_attention_ll4mi_QKV_mfma16_kernelI14__hip_bfloat16hLN4vllm18Fp8KVCacheDataTypeE1ES0_Li32ELi128ELi256ELb1ELi9EL8MFMAType1EEvPKT_PKT0_S9_ifPKiSB_SB_iPKfiiiPfSE_PS4_PT2_iSD_SD_,comdat
	.protected	_Z39paged_attention_ll4mi_QKV_mfma16_kernelI14__hip_bfloat16hLN4vllm18Fp8KVCacheDataTypeE1ES0_Li32ELi128ELi256ELb1ELi9EL8MFMAType1EEvPKT_PKT0_S9_ifPKiSB_SB_iPKfiiiPfSE_PS4_PT2_iSD_SD_ ; -- Begin function _Z39paged_attention_ll4mi_QKV_mfma16_kernelI14__hip_bfloat16hLN4vllm18Fp8KVCacheDataTypeE1ES0_Li32ELi128ELi256ELb1ELi9EL8MFMAType1EEvPKT_PKT0_S9_ifPKiSB_SB_iPKfiiiPfSE_PS4_PT2_iSD_SD_
	.globl	_Z39paged_attention_ll4mi_QKV_mfma16_kernelI14__hip_bfloat16hLN4vllm18Fp8KVCacheDataTypeE1ES0_Li32ELi128ELi256ELb1ELi9EL8MFMAType1EEvPKT_PKT0_S9_ifPKiSB_SB_iPKfiiiPfSE_PS4_PT2_iSD_SD_
	.p2align	8
	.type	_Z39paged_attention_ll4mi_QKV_mfma16_kernelI14__hip_bfloat16hLN4vllm18Fp8KVCacheDataTypeE1ES0_Li32ELi128ELi256ELb1ELi9EL8MFMAType1EEvPKT_PKT0_S9_ifPKiSB_SB_iPKfiiiPfSE_PS4_PT2_iSD_SD_,@function
_Z39paged_attention_ll4mi_QKV_mfma16_kernelI14__hip_bfloat16hLN4vllm18Fp8KVCacheDataTypeE1ES0_Li32ELi128ELi256ELb1ELi9EL8MFMAType1EEvPKT_PKT0_S9_ifPKiSB_SB_iPKfiiiPfSE_PS4_PT2_iSD_SD_: ; @_Z39paged_attention_ll4mi_QKV_mfma16_kernelI14__hip_bfloat16hLN4vllm18Fp8KVCacheDataTypeE1ES0_Li32ELi128ELi256ELb1ELi9EL8MFMAType1EEvPKT_PKT0_S9_ifPKiSB_SB_iPKfiiiPfSE_PS4_PT2_iSD_SD_
; %bb.0:
	s_load_b64 s[4:5], s[0:1], 0x30
	s_mov_b32 s30, s13
	s_waitcnt lgkmcnt(0)
	s_cmp_lg_u64 s[4:5], 0
	s_cselect_b32 s13, -1, 0
	s_ashr_i32 s31, s30, 31
	s_cmp_eq_u64 s[4:5], 0
	s_cbranch_scc1 .LBB1634_3
; %bb.1:
	s_lshl_b64 s[2:3], s[30:31], 2
	s_delay_alu instid0(SALU_CYCLE_1) | instskip(SKIP_4) | instid1(SALU_CYCLE_1)
	s_add_u32 s2, s4, s2
	s_addc_u32 s3, s5, s3
	s_load_b64 s[2:3], s[2:3], 0x0
	s_waitcnt lgkmcnt(0)
	s_sub_i32 s2, s3, s2
	s_cmp_eq_u32 s2, 1
	s_cselect_b32 s2, -1, 0
	s_delay_alu instid0(SALU_CYCLE_1)
	s_and_not1_b32 vcc_lo, exec_lo, s2
	s_cbranch_vccz .LBB1634_4
.LBB1634_2:
	s_nop 0
	s_sendmsg sendmsg(MSG_DEALLOC_VGPRS)
	s_endpgm
.LBB1634_3:
.LBB1634_4:
	s_load_b64 s[2:3], s[0:1], 0x28
	s_lshl_b64 s[6:7], s[30:31], 2
	s_waitcnt lgkmcnt(0)
	s_add_u32 s2, s2, s6
	s_addc_u32 s3, s3, s7
	s_lshl_b32 s12, s14, 8
	s_load_b32 s17, s[2:3], 0x0
	s_waitcnt lgkmcnt(0)
	s_cmp_ge_i32 s12, s17
	s_cbranch_scc1 .LBB1634_2
; %bb.5:
	s_clause 0x1
	s_load_b128 s[8:11], s[0:1], 0x8
	s_load_b64 s[2:3], s[0:1], 0x20
	s_and_not1_b32 vcc_lo, exec_lo, s13
	s_cbranch_vccnz .LBB1634_7
; %bb.6:
	s_add_u32 s4, s4, s6
	s_addc_u32 s5, s5, s7
	s_load_b32 s13, s[4:5], 0x0
	s_branch .LBB1634_8
.LBB1634_7:
	s_mov_b32 s13, s30
.LBB1634_8:
	s_load_b128 s[4:7], s[0:1], 0x48
	v_and_b32_e32 v65, 15, v0
	v_lshrrev_b32_e32 v66, 5, v0
	v_bfe_u32 v74, v0, 4, 1
	v_and_b32_e32 v67, 31, v0
	v_and_b32_e32 v75, 1, v0
	v_lshlrev_b32_e32 v2, 3, v65
	s_mul_i32 s31, s15, 9
	v_lshl_or_b32 v1, v66, 1, v74
	s_waitcnt lgkmcnt(0)
	s_mov_b32 s7, exec_lo
	v_lshlrev_b32_e32 v73, 1, v2
	s_delay_alu instid0(VALU_DEP_2)
	v_cmpx_gt_u32_e32 9, v1
	s_cbranch_execz .LBB1634_10
; %bb.9:
	s_load_b64 s[18:19], s[0:1], 0x0
	v_add_lshl_u32 v2, v1, s31, 7
	s_mul_hi_i32 s21, s13, s4
	s_mul_i32 s20, s13, s4
	v_lshlrev_b32_e32 v6, 10, v65
	s_lshl_b64 s[20:21], s[20:21], 1
	v_ashrrev_i32_e32 v3, 31, v2
	v_lshlrev_b32_e32 v1, 6, v1
	v_lshlrev_b32_e32 v7, 10, v75
	v_and_b32_e32 v6, 0x3800, v6
	s_delay_alu instid0(VALU_DEP_4) | instskip(NEXT) | instid1(VALU_DEP_2)
	v_lshlrev_b64 v[2:3], 1, v[2:3]
	v_or3_b32 v1, v6, v7, v1
	s_waitcnt lgkmcnt(0)
	s_add_u32 s4, s18, s20
	s_addc_u32 s13, s19, s21
	s_delay_alu instid0(VALU_DEP_2) | instskip(SKIP_1) | instid1(VALU_DEP_2)
	v_add_co_u32 v2, vcc_lo, s4, v2
	v_add_co_ci_u32_e32 v3, vcc_lo, s13, v3, vcc_lo
	v_add_co_u32 v2, vcc_lo, v2, v73
	s_delay_alu instid0(VALU_DEP_2)
	v_add_co_ci_u32_e32 v3, vcc_lo, 0, v3, vcc_lo
	global_load_b128 v[2:5], v[2:3], off
	s_waitcnt vmcnt(0)
	ds_store_b128 v1, v[2:5]
.LBB1634_10:
	s_or_b32 exec_lo, exec_lo, s7
	v_and_b32_e32 v1, 0xef, v0
	s_add_i32 s4, s17, 31
	s_clause 0x1
	s_load_b32 s7, s[0:1], 0x38
	s_load_b32 s18, s[0:1], 0x1c
	s_ashr_i32 s13, s4, 31
	v_add_nc_u32_e32 v1, s12, v1
	s_lshr_b32 s13, s13, 27
	s_waitcnt lgkmcnt(0)
	s_add_i32 s4, s4, s13
	s_barrier
	v_ashrrev_i32_e32 v2, 31, v1
	v_or_b32_e32 v3, 16, v1
	s_ashr_i32 s4, s4, 5
	v_cmp_gt_i32_e32 vcc_lo, s17, v1
	s_add_i32 s4, s4, -1
	v_lshrrev_b32_e32 v2, 27, v2
	buffer_gl0_inv
	s_mul_i32 s15, s15, s6
	v_add_nc_u32_e32 v4, v1, v2
	s_mul_i32 s20, s30, s7
	s_delay_alu instid0(SALU_CYCLE_1) | instskip(NEXT) | instid1(VALU_DEP_1)
	s_ashr_i32 s21, s20, 31
	v_ashrrev_i32_e32 v4, 5, v4
	v_add_nc_u32_e32 v2, v3, v2
	s_lshl_b64 s[20:21], s[20:21], 2
	s_delay_alu instid0(SALU_CYCLE_1) | instskip(NEXT) | instid1(VALU_DEP_2)
	s_add_u32 s13, s2, s20
	v_cndmask_b32_e32 v1, s4, v4, vcc_lo
	s_delay_alu instid0(VALU_DEP_2)
	v_ashrrev_i32_e32 v2, 5, v2
	v_cmp_gt_i32_e32 vcc_lo, s17, v3
	s_addc_u32 s16, s3, s21
	s_ashr_i32 s19, s15, 31
	s_add_u32 s2, s8, s15
	s_addc_u32 s3, s9, s19
	v_cndmask_b32_e32 v3, s4, v2, vcc_lo
	v_ashrrev_i32_e32 v2, 31, v1
	s_lshl_b32 s6, s14, 3
	s_delay_alu instid0(SALU_CYCLE_1) | instskip(NEXT) | instid1(VALU_DEP_2)
	s_ashr_i32 s7, s6, 31
	v_ashrrev_i32_e32 v4, 31, v3
	s_delay_alu instid0(VALU_DEP_2) | instskip(SKIP_1) | instid1(SALU_CYCLE_1)
	v_lshlrev_b64 v[1:2], 2, v[1:2]
	s_lshl_b64 s[6:7], s[6:7], 2
	s_add_u32 s6, s13, s6
	s_delay_alu instid0(VALU_DEP_2) | instskip(SKIP_1) | instid1(VALU_DEP_2)
	v_lshlrev_b64 v[3:4], 2, v[3:4]
	s_addc_u32 s7, s16, s7
	v_add_co_u32 v1, vcc_lo, s13, v1
	v_add_co_ci_u32_e32 v2, vcc_lo, s16, v2, vcc_lo
	s_delay_alu instid0(VALU_DEP_3) | instskip(NEXT) | instid1(VALU_DEP_4)
	v_add_co_u32 v3, vcc_lo, s13, v3
	v_add_co_ci_u32_e32 v4, vcc_lo, s16, v4, vcc_lo
	s_clause 0x1
	global_load_b32 v5, v[1:2], off
	global_load_b32 v6, v[3:4], off
	s_or_b32 s8, s12, 32
	s_delay_alu instid0(SALU_CYCLE_1) | instskip(SKIP_2) | instid1(SALU_CYCLE_1)
	s_ashr_i32 s9, s8, 5
	s_cmp_lt_i32 s8, s17
	s_cselect_b32 s8, s9, s4
	s_ashr_i32 s9, s8, 31
	s_delay_alu instid0(SALU_CYCLE_1) | instskip(NEXT) | instid1(SALU_CYCLE_1)
	s_lshl_b64 s[8:9], s[8:9], 2
	s_add_u32 s8, s13, s8
	s_addc_u32 s9, s16, s9
	s_or_b32 s20, s12, 64
	s_delay_alu instid0(SALU_CYCLE_1) | instskip(SKIP_2) | instid1(SALU_CYCLE_1)
	s_ashr_i32 s21, s20, 5
	s_cmp_lt_i32 s20, s17
	s_cselect_b32 s20, s21, s4
	s_ashr_i32 s21, s20, 31
	s_delay_alu instid0(SALU_CYCLE_1) | instskip(NEXT) | instid1(SALU_CYCLE_1)
	s_lshl_b64 s[20:21], s[20:21], 2
	s_add_u32 s20, s13, s20
	s_addc_u32 s21, s16, s21
	;; [unrolled: 10-line block ×5, first 2 shown]
	s_clause 0x5
	s_load_b32 s28, s[6:7], 0x0
	s_load_b32 s8, s[8:9], 0x0
	;; [unrolled: 1-line block ×6, first 2 shown]
	s_mov_b32 s20, 0
	s_delay_alu instid0(SALU_CYCLE_1)
	s_mov_b32 s21, s20
	s_mov_b32 s22, s20
	;; [unrolled: 1-line block ×7, first 2 shown]
	s_delay_alu instid0(SALU_CYCLE_1)
	v_dual_mov_b32 v107, s27 :: v_dual_mov_b32 v106, s26
	v_dual_mov_b32 v104, s24 :: v_dual_mov_b32 v103, s23
	;; [unrolled: 1-line block ×3, first 2 shown]
	v_mov_b32_e32 v100, s20
	s_waitcnt vmcnt(1)
	v_mad_i64_i32 v[1:2], null, v5, s5, s[2:3]
	v_lshlrev_b32_e32 v5, 4, v65
	s_waitcnt vmcnt(0)
	v_mad_i64_i32 v[3:4], null, v6, s5, s[2:3]
	s_or_b32 s2, s12, 0xc0
	s_delay_alu instid0(SALU_CYCLE_1) | instskip(NEXT) | instid1(VALU_DEP_3)
	s_ashr_i32 s3, s2, 5
	v_add_co_u32 v33, vcc_lo, v1, v5
	s_delay_alu instid0(VALU_DEP_4) | instskip(NEXT) | instid1(VALU_DEP_3)
	v_add_co_ci_u32_e32 v34, vcc_lo, 0, v2, vcc_lo
	v_add_co_u32 v35, vcc_lo, v3, v5
	s_delay_alu instid0(VALU_DEP_4)
	v_add_co_ci_u32_e32 v36, vcc_lo, 0, v4, vcc_lo
	s_clause 0xf
	global_load_b128 v[1:4], v[33:34], off
	global_load_b128 v[5:8], v[33:34], off offset:512
	global_load_b128 v[9:12], v[35:36], off offset:256
	;; [unrolled: 1-line block ×15, first 2 shown]
	s_cmp_lt_i32 s2, s17
	v_add_nc_u32_e32 v33, -9, v65
	s_cselect_b32 s2, s3, s4
	v_cmp_gt_u32_e32 vcc_lo, 9, v65
	s_ashr_i32 s3, s2, 31
	v_lshlrev_b32_e32 v34, 5, v65
	s_lshl_b64 s[2:3], s[2:3], 2
	s_delay_alu instid0(SALU_CYCLE_1)
	s_add_u32 s2, s13, s2
	s_addc_u32 s3, s16, s3
	s_or_b32 s6, s12, 0xe0
	v_cndmask_b32_e32 v33, v33, v65, vcc_lo
	s_ashr_i32 s7, s6, 5
	s_cmp_lt_i32 s6, s17
	v_mov_b32_e32 v105, s25
	s_cselect_b32 s6, s7, s4
	v_lshlrev_b32_e32 v72, 6, v33
	s_ashr_i32 s7, s6, 31
	v_lshl_or_b32 v41, v66, 9, v34
	s_lshl_b64 s[6:7], s[6:7], 2
	ds_load_b128 v[33:36], v72
	ds_load_b128 v[37:40], v72 offset:1024
	ds_load_b128 v[108:111], v72 offset:2048
	;; [unrolled: 1-line block ×3, first 2 shown]
	s_load_b32 s4, s[2:3], 0x0
	s_add_u32 s2, s13, s6
	s_addc_u32 s3, s16, s7
	ds_load_b128 v[116:119], v72 offset:4096
	ds_load_b128 v[120:123], v72 offset:5120
	s_load_b32 s2, s[2:3], 0x0
	s_add_u32 s6, s10, s15
	s_addc_u32 s7, s11, s19
	v_add_co_u32 v68, s6, s6, v41
	s_delay_alu instid0(VALU_DEP_1) | instskip(SKIP_1) | instid1(VALU_DEP_1)
	v_add_co_ci_u32_e64 v69, null, s7, 0, s6
	s_waitcnt lgkmcnt(0)
	v_mad_i64_i32 v[41:42], null, s28, s5, v[68:69]
	v_mad_i64_i32 v[70:71], null, s9, s5, v[68:69]
	;; [unrolled: 1-line block ×7, first 2 shown]
	s_clause 0x3
	global_load_b128 v[49:52], v[41:42], off
	global_load_b128 v[53:56], v[41:42], off offset:16
	global_load_b128 v[41:44], v[45:46], off
	global_load_b128 v[45:48], v[45:46], off offset:16
	s_waitcnt vmcnt(18)
	v_wmma_f32_16x16x16_bf16 v[124:131], v[1:8], v[33:40], v[100:107]
	s_waitcnt vmcnt(16)
	v_wmma_f32_16x16x16_bf16 v[100:107], v[9:16], v[33:40], v[100:107]
	s_clause 0x1
	global_load_b128 v[33:36], v[70:71], off
	global_load_b128 v[37:40], v[70:71], off offset:16
	v_mad_i64_i32 v[70:71], null, s2, s5, v[68:69]
	s_waitcnt vmcnt(16)
	v_wmma_f32_16x16x16_bf16 v[124:131], v[17:24], v[108:115], v[124:131]
	s_waitcnt vmcnt(14)
	v_wmma_f32_16x16x16_bf16 v[100:107], v[25:32], v[108:115], v[100:107]
	s_clause 0x7
	global_load_b128 v[25:28], v[132:133], off
	global_load_b128 v[29:32], v[132:133], off offset:16
	global_load_b128 v[1:4], v[134:135], off
	global_load_b128 v[5:8], v[134:135], off offset:16
	;; [unrolled: 2-line block ×4, first 2 shown]
	s_waitcnt vmcnt(20)
	v_wmma_f32_16x16x16_bf16 v[124:131], v[57:64], v[116:123], v[124:131]
	s_clause 0x1
	global_load_b128 v[57:60], v[70:71], off
	global_load_b128 v[61:64], v[70:71], off offset:16
	s_waitcnt vmcnt(20)
	v_wmma_f32_16x16x16_bf16 v[100:107], v[76:83], v[116:123], v[100:107]
	ds_load_b128 v[76:79], v72 offset:6144
	ds_load_b128 v[80:83], v72 offset:7168
	v_and_b32_e32 v68, 0xe0, v0
	v_mbcnt_lo_u32_b32 v69, -1, 0
	s_waitcnt vmcnt(0) lgkmcnt(0)
	s_barrier
	buffer_gl0_inv
	v_add_nc_u32_e32 v68, s12, v68
	v_xor_b32_e32 v70, 16, v69
	s_delay_alu instid0(VALU_DEP_2) | instskip(NEXT) | instid1(VALU_DEP_2)
	v_or_b32_e32 v68, v68, v74
	v_cmp_gt_i32_e32 vcc_lo, 32, v70
	s_delay_alu instid0(VALU_DEP_2)
	v_or_b32_e32 v71, 4, v68
	v_or_b32_e32 v72, 6, v68
	v_cmp_gt_i32_e64 s2, s17, v68
	v_or_b32_e32 v108, 8, v68
	v_wmma_f32_16x16x16_bf16 v[124:131], v[84:91], v[76:83], v[124:131]
	v_cndmask_b32_e32 v69, v69, v70, vcc_lo
	v_or_b32_e32 v70, 2, v68
	v_wmma_f32_16x16x16_bf16 v[100:107], v[92:99], v[76:83], v[100:107]
	v_or_b32_e32 v109, 10, v68
	v_dual_mul_f32 v80, s18, v129 :: v_dual_mul_f32 v81, s18, v128
	v_dual_mul_f32 v92, s18, v125 :: v_dual_mul_f32 v93, s18, v124
	s_delay_alu instid0(VALU_DEP_4)
	v_mul_f32_e32 v96, s18, v105
	v_cmp_gt_i32_e32 vcc_lo, s17, v70
	v_or_b32_e32 v89, 22, v68
	v_dual_mul_f32 v79, s18, v130 :: v_dual_mul_f32 v82, s18, v127
	v_dual_mul_f32 v83, s18, v126 :: v_dual_mul_f32 v94, s18, v107
	v_cndmask_b32_e64 v93, 0xff7fffff, v93, s2
	v_cndmask_b32_e32 v92, 0xff7fffff, v92, vcc_lo
	v_cmp_gt_i32_e64 s3, s17, v71
	v_cmp_gt_i32_e64 s4, s17, v72
	v_or_b32_e32 v84, 12, v68
	v_or_b32_e32 v85, 14, v68
	v_cmp_gt_i32_e64 s5, s17, v108
	v_cndmask_b32_e64 v71, 0xff7fffff, v83, s3
	v_cndmask_b32_e64 v72, 0xff7fffff, v82, s4
	v_cmp_gt_i32_e64 s6, s17, v109
	v_cmp_gt_i32_e64 s12, s17, v89
	v_lshlrev_b32_e32 v89, 2, v69
	v_max3_f32 v82, v93, 0xff7fffff, v92
	v_or_b32_e32 v86, 16, v68
	v_or_b32_e32 v87, 18, v68
	v_mul_f32_e32 v78, s18, v131
	v_cndmask_b32_e64 v81, 0xff7fffff, v81, s5
	v_cndmask_b32_e64 v80, 0xff7fffff, v80, s6
	v_max3_f32 v71, v82, v71, v72
	v_cmp_gt_i32_e64 s7, s17, v84
	v_cmp_gt_i32_e64 s8, s17, v85
	v_or_b32_e32 v88, 20, v68
	v_or_b32_e32 v90, 24, v68
	;; [unrolled: 1-line block ×5, first 2 shown]
	v_dual_mul_f32 v97, s18, v104 :: v_dual_mul_f32 v70, s18, v101
	v_dual_mul_f32 v99, s18, v102 :: v_dual_mul_f32 v68, s18, v100
	v_cndmask_b32_e64 v72, 0xff7fffff, v79, s7
	v_cndmask_b32_e64 v78, 0xff7fffff, v78, s8
	v_max3_f32 v71, v71, v81, v80
	v_cmp_gt_i32_e64 s9, s17, v86
	v_cmp_gt_i32_e64 s10, s17, v87
	v_dual_mul_f32 v95, s18, v106 :: v_dual_mul_f32 v98, s18, v103
	s_delay_alu instid0(VALU_DEP_4) | instskip(NEXT) | instid1(VALU_DEP_4)
	v_max3_f32 v71, v71, v72, v78
	v_cndmask_b32_e64 v68, 0xff7fffff, v68, s9
	s_delay_alu instid0(VALU_DEP_4)
	v_cndmask_b32_e64 v70, 0xff7fffff, v70, s10
	v_cmp_gt_i32_e64 s11, s17, v88
	v_cndmask_b32_e64 v78, 0xff7fffff, v98, s12
	v_cmp_gt_i32_e64 s13, s17, v90
	v_cmp_gt_i32_e64 s15, s17, v91
	v_max3_f32 v68, v71, v68, v70
	v_cndmask_b32_e64 v72, 0xff7fffff, v99, s11
	v_cmp_gt_i32_e64 s16, s17, v76
	v_cndmask_b32_e64 v70, 0xff7fffff, v97, s13
	v_cndmask_b32_e64 v71, 0xff7fffff, v96, s15
	v_cmp_gt_i32_e64 s17, s17, v77
	v_max3_f32 v68, v68, v72, v78
	v_cndmask_b32_e64 v72, 0xff7fffff, v95, s16
	s_delay_alu instid0(VALU_DEP_3) | instskip(NEXT) | instid1(VALU_DEP_3)
	v_cndmask_b32_e64 v76, 0xff7fffff, v94, s17
	v_max3_f32 v68, v68, v70, v71
	s_delay_alu instid0(VALU_DEP_1) | instskip(SKIP_3) | instid1(VALU_DEP_1)
	v_max3_f32 v68, v68, v72, v76
	ds_bpermute_b32 v69, v89, v68
	s_waitcnt lgkmcnt(0)
	v_max_f32_e32 v69, v69, v69
	v_max_f32_e32 v68, v68, v69
	s_delay_alu instid0(VALU_DEP_1) | instskip(NEXT) | instid1(VALU_DEP_1)
	v_fma_f32 v71, s18, v126, -v68
	v_mul_f32_e32 v71, 0x3fb8aa3b, v71
	v_fma_f32 v70, s18, v125, -v68
	v_fma_f32 v69, s18, v124, -v68
	;; [unrolled: 1-line block ×5, first 2 shown]
	s_delay_alu instid0(VALU_DEP_4) | instskip(SKIP_1) | instid1(VALU_DEP_3)
	v_dual_mul_f32 v70, 0x3fb8aa3b, v70 :: v_dual_mul_f32 v69, 0x3fb8aa3b, v69
	v_exp_f32_e32 v71, v71
	v_mul_f32_e32 v72, 0x3fb8aa3b, v72
	v_fma_f32 v81, s18, v105, -v68
	s_delay_alu instid0(VALU_DEP_3)
	v_exp_f32_e32 v70, v70
	v_mul_f32_e32 v77, 0x3fb8aa3b, v76
	v_exp_f32_e32 v69, v69
	v_exp_f32_e32 v72, v72
	v_mul_f32_e32 v81, 0x3fb8aa3b, v81
	v_cndmask_b32_e64 v83, 0, v71, s3
	v_fma_f32 v71, s18, v131, -v68
	s_delay_alu instid0(VALU_DEP_3) | instskip(SKIP_4) | instid1(TRANS32_DEP_3)
	v_exp_f32_e32 v81, v81
	v_cndmask_b32_e32 v76, 0, v70, vcc_lo
	v_exp_f32_e32 v77, v77
	v_cndmask_b32_e64 v80, 0, v69, s2
	v_fma_f32 v69, s18, v129, -v68
	v_cndmask_b32_e64 v85, 0, v72, s4
	v_mul_f32_e32 v71, 0x3fb8aa3b, v71
	v_fma_f32 v72, s18, v100, -v68
	s_delay_alu instid0(VALU_DEP_4) | instskip(SKIP_1) | instid1(VALU_DEP_4)
	v_dual_add_f32 v70, 0, v80 :: v_dual_mul_f32 v69, 0x3fb8aa3b, v69
	v_cmp_gt_u32_e64 s2, 16, v67
	v_exp_f32_e32 v71, v71
	s_delay_alu instid0(TRANS32_DEP_2) | instskip(SKIP_4) | instid1(VALU_DEP_3)
	v_cndmask_b32_e64 v86, 0, v77, s5
	v_fma_f32 v77, s18, v101, -v68
	v_mul_f32_e32 v78, 0x3fb8aa3b, v78
	v_add_f32_e32 v70, v70, v76
	v_exp_f32_e32 v69, v69
	v_mul_f32_e32 v77, 0x3fb8aa3b, v77
	s_delay_alu instid0(VALU_DEP_3) | instskip(NEXT) | instid1(TRANS32_DEP_3)
	v_exp_f32_e32 v78, v78
	v_cndmask_b32_e64 v88, 0, v71, s8
	v_fma_f32 v71, s18, v104, -v68
	s_delay_alu instid0(VALU_DEP_3) | instskip(NEXT) | instid1(TRANS32_DEP_3)
	v_exp_f32_e32 v77, v77
	v_cndmask_b32_e64 v87, 0, v69, s6
	s_delay_alu instid0(VALU_DEP_2)
	v_mul_f32_e32 v71, 0x3fb8aa3b, v71
	s_waitcnt_depctr 0xfff
	v_cndmask_b32_e64 v84, 0, v78, s7
	v_add_f32_e32 v70, v70, v83
	v_fma_f32 v78, s18, v103, -v68
	v_exp_f32_e32 v82, v71
	s_delay_alu instid0(VALU_DEP_2) | instskip(SKIP_1) | instid1(VALU_DEP_3)
	v_add_f32_e32 v70, v70, v85
	v_mul_f32_e32 v72, 0x3fb8aa3b, v72
	v_mul_f32_e32 v78, 0x3fb8aa3b, v78
	s_delay_alu instid0(VALU_DEP_3) | instskip(SKIP_1) | instid1(VALU_DEP_4)
	v_add_f32_e32 v69, v70, v86
	v_fma_f32 v70, s18, v102, -v68
	v_exp_f32_e32 v72, v72
	s_delay_alu instid0(VALU_DEP_3) | instskip(NEXT) | instid1(VALU_DEP_1)
	v_exp_f32_e32 v78, v78
	v_dual_add_f32 v69, v69, v87 :: v_dual_mul_f32 v70, 0x3fb8aa3b, v70
	s_delay_alu instid0(VALU_DEP_1) | instskip(NEXT) | instid1(VALU_DEP_2)
	v_add_f32_e32 v69, v69, v84
	v_exp_f32_e32 v79, v70
	s_delay_alu instid0(TRANS32_DEP_3) | instskip(NEXT) | instid1(VALU_DEP_2)
	v_cndmask_b32_e64 v70, 0, v72, s9
	v_add_f32_e32 v72, v69, v88
	v_cndmask_b32_e64 v69, 0, v77, s10
	v_fma_f32 v77, s18, v106, -v68
	s_waitcnt_depctr 0xfff
	v_cndmask_b32_e64 v71, 0, v79, s11
	v_dual_mul_f32 v77, 0x3fb8aa3b, v77 :: v_dual_add_f32 v72, v72, v70
	s_delay_alu instid0(VALU_DEP_1) | instskip(NEXT) | instid1(VALU_DEP_1)
	v_exp_f32_e32 v90, v77
	v_add_f32_e32 v79, v72, v69
	v_cndmask_b32_e64 v72, 0, v78, s12
	v_cndmask_b32_e64 v77, 0, v82, s13
	s_delay_alu instid0(VALU_DEP_3) | instskip(SKIP_1) | instid1(VALU_DEP_1)
	v_add_f32_e32 v78, v79, v71
	v_fma_f32 v79, s18, v107, -v68
	v_dual_add_f32 v82, v78, v72 :: v_dual_mul_f32 v79, 0x3fb8aa3b, v79
	v_cndmask_b32_e64 v78, 0, v81, s15
	s_delay_alu instid0(VALU_DEP_2) | instskip(NEXT) | instid1(VALU_DEP_3)
	v_add_f32_e32 v81, v82, v77
	v_exp_f32_e32 v82, v79
	v_cndmask_b32_e64 v79, 0, v90, s16
	s_delay_alu instid0(VALU_DEP_2) | instskip(NEXT) | instid1(VALU_DEP_1)
	v_add_f32_e32 v81, v81, v78
	v_add_f32_e32 v90, v81, v79
	s_waitcnt_depctr 0xfff
	v_cndmask_b32_e64 v81, 0, v82, s17
	s_delay_alu instid0(VALU_DEP_1)
	v_add_f32_e32 v82, v90, v81
	ds_bpermute_b32 v89, v89, v82
	s_and_saveexec_b32 s3, s2
	s_cbranch_execz .LBB1634_12
; %bb.11:
	v_mul_u32_u24_e32 v67, 0x44, v66
	s_delay_alu instid0(VALU_DEP_1) | instskip(SKIP_1) | instid1(VALU_DEP_1)
	v_lshl_add_u32 v67, v65, 2, v67
	s_waitcnt lgkmcnt(0)
	v_dual_add_f32 v82, v82, v89 :: v_dual_add_nc_u32 v67, 0x4000, v67
	ds_store_2addr_b32 v67, v68, v82 offset1:136
.LBB1634_12:
	s_or_b32 exec_lo, exec_lo, s3
	v_lshlrev_b32_e32 v67, 2, v65
	s_waitcnt lgkmcnt(0)
	s_barrier
	buffer_gl0_inv
	v_cmp_eq_u32_e32 vcc_lo, 1, v66
	v_add_nc_u32_e32 v82, 0x4000, v67
	v_cmp_eq_u32_e64 s3, 2, v66
	v_cmp_eq_u32_e64 s5, 7, v66
	ds_load_2addr_b32 v[89:90], v82 offset1:17
	ds_load_2addr_b32 v[91:92], v82 offset0:34 offset1:51
	ds_load_2addr_b32 v[93:94], v82 offset0:68 offset1:85
	;; [unrolled: 1-line block ×4, first 2 shown]
	s_waitcnt lgkmcnt(4)
	v_max3_f32 v67, v89, 0xff7fffff, v90
	s_waitcnt lgkmcnt(3)
	s_delay_alu instid0(VALU_DEP_1) | instskip(SKIP_1) | instid1(VALU_DEP_1)
	v_max3_f32 v67, v67, v91, v92
	s_waitcnt lgkmcnt(2)
	v_max3_f32 v67, v67, v93, v94
	s_waitcnt lgkmcnt(1)
	s_delay_alu instid0(VALU_DEP_1) | instskip(NEXT) | instid1(VALU_DEP_1)
	v_max3_f32 v67, v67, v95, v96
	v_sub_f32_e32 v93, v93, v67
	s_delay_alu instid0(VALU_DEP_1) | instskip(NEXT) | instid1(VALU_DEP_1)
	v_dual_sub_f32 v68, v89, v67 :: v_dual_mul_f32 v103, 0x3fb8aa3b, v93
	v_mul_f32_e32 v68, 0x3fb8aa3b, v68
	s_delay_alu instid0(VALU_DEP_1)
	v_exp_f32_e32 v100, v68
	v_sub_f32_e32 v68, v92, v67
	v_sub_f32_e32 v99, v90, v67
	ds_load_2addr_b32 v[89:90], v82 offset0:170 offset1:187
	v_dual_mul_f32 v102, 0x3fb8aa3b, v68 :: v_dual_mul_f32 v99, 0x3fb8aa3b, v99
	s_waitcnt lgkmcnt(1)
	v_fma_f32 v68, v100, v97, 0
	s_delay_alu instid0(VALU_DEP_2) | instskip(NEXT) | instid1(VALU_DEP_2)
	v_exp_f32_e32 v102, v102
	v_exp_f32_e32 v99, v99
	s_waitcnt_depctr 0xfff
	v_fmac_f32_e32 v68, v99, v98
	v_sub_f32_e32 v91, v91, v67
	s_delay_alu instid0(VALU_DEP_1)
	v_mul_f32_e32 v101, 0x3fb8aa3b, v91
	ds_load_2addr_b32 v[91:92], v82 offset0:204 offset1:221
	v_sub_f32_e32 v97, v94, v67
	ds_load_2addr_b32 v[93:94], v82 offset0:238 offset1:255
	s_waitcnt lgkmcnt(0)
	v_exp_f32_e32 v101, v101
	s_barrier
	buffer_gl0_inv
	v_dual_fmac_f32 v68, v101, v89 :: v_dual_sub_f32 v89, v96, v67
	v_dual_sub_f32 v82, v95, v67 :: v_dual_mul_f32 v95, 0x3fb8aa3b, v97
	v_exp_f32_e32 v97, v103
	s_delay_alu instid0(VALU_DEP_2) | instskip(NEXT) | instid1(VALU_DEP_2)
	v_dual_fmac_f32 v68, v102, v90 :: v_dual_mul_f32 v89, 0x3fb8aa3b, v89
	v_mul_f32_e32 v82, 0x3fb8aa3b, v82
	s_delay_alu instid0(VALU_DEP_3) | instskip(NEXT) | instid1(VALU_DEP_2)
	v_exp_f32_e32 v95, v95
	v_exp_f32_e32 v89, v89
	s_delay_alu instid0(VALU_DEP_1)
	v_exp_f32_e32 v82, v82
	v_fmac_f32_e32 v68, v97, v91
	s_delay_alu instid0(TRANS32_DEP_3) | instid1(VALU_DEP_1)
	v_fmac_f32_e32 v68, v95, v92
	s_waitcnt_depctr 0xfff
	v_fmac_f32_e32 v68, v82, v93
	s_delay_alu instid0(VALU_DEP_1) | instskip(NEXT) | instid1(VALU_DEP_1)
	v_fmac_f32_e32 v68, v89, v94
	v_add_f32_e32 v90, 0x358637bd, v68
	s_delay_alu instid0(VALU_DEP_1) | instskip(NEXT) | instid1(VALU_DEP_1)
	v_div_scale_f32 v91, null, v90, v90, 1.0
	v_rcp_f32_e32 v92, v91
	s_waitcnt_depctr 0xfff
	v_fma_f32 v93, -v91, v92, 1.0
	s_delay_alu instid0(VALU_DEP_1) | instskip(SKIP_1) | instid1(VALU_DEP_2)
	v_dual_fmac_f32 v92, v93, v92 :: v_dual_cndmask_b32 v93, v100, v99
	v_cmp_eq_u32_e32 vcc_lo, 3, v66
	v_cndmask_b32_e64 v93, v93, v101, s3
	v_cmp_eq_u32_e64 s3, 4, v66
	s_delay_alu instid0(VALU_DEP_2) | instskip(SKIP_1) | instid1(VALU_DEP_2)
	v_cndmask_b32_e32 v93, v93, v102, vcc_lo
	v_cmp_eq_u32_e32 vcc_lo, 5, v66
	v_cndmask_b32_e64 v93, v93, v97, s3
	v_cmp_eq_u32_e64 s3, 6, v66
	s_delay_alu instid0(VALU_DEP_2) | instskip(SKIP_1) | instid1(VALU_DEP_1)
	v_cndmask_b32_e32 v93, v93, v95, vcc_lo
	v_div_scale_f32 v94, s4, 1.0, v90, 1.0
	s_mov_b32 vcc_lo, s4
	s_delay_alu instid0(VALU_DEP_2) | instskip(NEXT) | instid1(VALU_DEP_2)
	v_cndmask_b32_e64 v82, v93, v82, s3
	v_mul_f32_e32 v96, v94, v92
	s_mov_b32 s3, exec_lo
	s_delay_alu instid0(VALU_DEP_2) | instskip(NEXT) | instid1(VALU_DEP_2)
	v_cndmask_b32_e64 v82, v82, v89, s5
	v_fma_f32 v98, -v91, v96, v94
	s_delay_alu instid0(VALU_DEP_1) | instskip(NEXT) | instid1(VALU_DEP_1)
	v_fmac_f32_e32 v96, v98, v92
	v_fma_f32 v91, -v91, v96, v94
	s_delay_alu instid0(VALU_DEP_1) | instskip(NEXT) | instid1(VALU_DEP_1)
	v_div_fmas_f32 v91, v91, v92, v96
	v_div_fixup_f32 v90, v91, v90, 1.0
	s_delay_alu instid0(VALU_DEP_1) | instskip(NEXT) | instid1(VALU_DEP_1)
	v_mul_f32_e32 v82, v82, v90
	v_mul_f32_e32 v87, v82, v87
	v_mul_f32_e32 v90, v82, v80
	v_mul_f32_e32 v80, v82, v88
	v_mul_f32_e32 v84, v82, v84
	v_mul_f32_e32 v88, v82, v86
	v_mul_f32_e32 v89, v82, v85
	v_dual_mul_f32 v86, v82, v83 :: v_dual_and_b32 v91, 0x7f800000, v90
	v_mul_f32_e32 v85, v82, v76
                                        ; implicit-def: $vgpr76
	s_delay_alu instid0(VALU_DEP_2)
	v_cmpx_ne_u32_e32 0x7f800000, v91
	s_xor_b32 s3, exec_lo, s3
; %bb.13:
	v_bfe_u32 v76, v90, 16, 1
	s_delay_alu instid0(VALU_DEP_1)
	v_add3_u32 v76, v90, v76, 0x7fff
                                        ; implicit-def: $vgpr90
; %bb.14:
	s_and_not1_saveexec_b32 s3, s3
; %bb.15:
	v_and_b32_e32 v76, 0xffff, v90
	v_or_b32_e32 v83, 0x10000, v90
	s_delay_alu instid0(VALU_DEP_2) | instskip(NEXT) | instid1(VALU_DEP_2)
	v_cmp_eq_u32_e32 vcc_lo, 0, v76
	v_cndmask_b32_e32 v76, v83, v90, vcc_lo
; %bb.16:
	s_or_b32 exec_lo, exec_lo, s3
	v_and_b32_e32 v83, 0x7f800000, v85
	s_delay_alu instid0(VALU_DEP_1) | instskip(SKIP_1) | instid1(SALU_CYCLE_1)
	v_cmp_ne_u32_e32 vcc_lo, 0x7f800000, v83
                                        ; implicit-def: $vgpr83
	s_and_saveexec_b32 s3, vcc_lo
	s_xor_b32 s3, exec_lo, s3
; %bb.17:
	v_bfe_u32 v83, v85, 16, 1
	s_delay_alu instid0(VALU_DEP_1)
	v_add3_u32 v83, v85, v83, 0x7fff
                                        ; implicit-def: $vgpr85
; %bb.18:
	s_and_not1_saveexec_b32 s3, s3
; %bb.19:
	v_and_b32_e32 v83, 0xffff, v85
	v_or_b32_e32 v90, 0x10000, v85
	s_delay_alu instid0(VALU_DEP_2) | instskip(NEXT) | instid1(VALU_DEP_2)
	v_cmp_eq_u32_e32 vcc_lo, 0, v83
	v_cndmask_b32_e32 v83, v90, v85, vcc_lo
; %bb.20:
	s_or_b32 exec_lo, exec_lo, s3
	v_and_b32_e32 v85, 0x7f800000, v86
	s_delay_alu instid0(VALU_DEP_1) | instskip(SKIP_1) | instid1(SALU_CYCLE_1)
	v_cmp_ne_u32_e32 vcc_lo, 0x7f800000, v85
                                        ; implicit-def: $vgpr85
	s_and_saveexec_b32 s3, vcc_lo
	s_xor_b32 s3, exec_lo, s3
; %bb.21:
	v_bfe_u32 v85, v86, 16, 1
	s_delay_alu instid0(VALU_DEP_1)
	v_add3_u32 v85, v86, v85, 0x7fff
                                        ; implicit-def: $vgpr86
; %bb.22:
	s_and_not1_saveexec_b32 s3, s3
; %bb.23:
	v_and_b32_e32 v85, 0xffff, v86
	v_or_b32_e32 v90, 0x10000, v86
	s_delay_alu instid0(VALU_DEP_2) | instskip(NEXT) | instid1(VALU_DEP_2)
	v_cmp_eq_u32_e32 vcc_lo, 0, v85
	v_cndmask_b32_e32 v85, v90, v86, vcc_lo
; %bb.24:
	s_or_b32 exec_lo, exec_lo, s3
	v_and_b32_e32 v86, 0x7f800000, v89
	s_delay_alu instid0(VALU_DEP_1) | instskip(SKIP_1) | instid1(SALU_CYCLE_1)
	v_cmp_ne_u32_e32 vcc_lo, 0x7f800000, v86
                                        ; implicit-def: $vgpr86
	s_and_saveexec_b32 s3, vcc_lo
	s_xor_b32 s3, exec_lo, s3
; %bb.25:
	v_bfe_u32 v86, v89, 16, 1
	s_delay_alu instid0(VALU_DEP_1)
	v_add3_u32 v86, v89, v86, 0x7fff
                                        ; implicit-def: $vgpr89
; %bb.26:
	s_and_not1_saveexec_b32 s3, s3
; %bb.27:
	v_and_b32_e32 v86, 0xffff, v89
	v_or_b32_e32 v90, 0x10000, v89
	s_delay_alu instid0(VALU_DEP_2) | instskip(NEXT) | instid1(VALU_DEP_2)
	v_cmp_eq_u32_e32 vcc_lo, 0, v86
	v_cndmask_b32_e32 v86, v90, v89, vcc_lo
; %bb.28:
	s_or_b32 exec_lo, exec_lo, s3
	v_and_b32_e32 v89, 0x7f800000, v88
	s_delay_alu instid0(VALU_DEP_1) | instskip(SKIP_1) | instid1(SALU_CYCLE_1)
	v_cmp_ne_u32_e32 vcc_lo, 0x7f800000, v89
                                        ; implicit-def: $vgpr89
	s_and_saveexec_b32 s3, vcc_lo
	s_xor_b32 s3, exec_lo, s3
; %bb.29:
	v_bfe_u32 v89, v88, 16, 1
	s_delay_alu instid0(VALU_DEP_1)
	v_add3_u32 v89, v88, v89, 0x7fff
                                        ; implicit-def: $vgpr88
; %bb.30:
	s_and_not1_saveexec_b32 s3, s3
; %bb.31:
	v_and_b32_e32 v89, 0xffff, v88
	v_or_b32_e32 v90, 0x10000, v88
	s_delay_alu instid0(VALU_DEP_2) | instskip(NEXT) | instid1(VALU_DEP_2)
	v_cmp_eq_u32_e32 vcc_lo, 0, v89
	v_cndmask_b32_e32 v89, v90, v88, vcc_lo
; %bb.32:
	s_or_b32 exec_lo, exec_lo, s3
	v_and_b32_e32 v88, 0x7f800000, v87
	s_delay_alu instid0(VALU_DEP_1) | instskip(SKIP_1) | instid1(SALU_CYCLE_1)
	v_cmp_ne_u32_e32 vcc_lo, 0x7f800000, v88
                                        ; implicit-def: $vgpr88
	s_and_saveexec_b32 s3, vcc_lo
	s_xor_b32 s3, exec_lo, s3
; %bb.33:
	v_bfe_u32 v88, v87, 16, 1
	s_delay_alu instid0(VALU_DEP_1)
	v_add3_u32 v88, v87, v88, 0x7fff
                                        ; implicit-def: $vgpr87
; %bb.34:
	s_and_not1_saveexec_b32 s3, s3
; %bb.35:
	v_and_b32_e32 v88, 0xffff, v87
	v_or_b32_e32 v90, 0x10000, v87
	s_delay_alu instid0(VALU_DEP_2) | instskip(NEXT) | instid1(VALU_DEP_2)
	v_cmp_eq_u32_e32 vcc_lo, 0, v88
	v_cndmask_b32_e32 v88, v90, v87, vcc_lo
; %bb.36:
	s_or_b32 exec_lo, exec_lo, s3
	v_and_b32_e32 v87, 0x7f800000, v84
	s_delay_alu instid0(VALU_DEP_1) | instskip(SKIP_1) | instid1(SALU_CYCLE_1)
	v_cmp_ne_u32_e32 vcc_lo, 0x7f800000, v87
                                        ; implicit-def: $vgpr87
	s_and_saveexec_b32 s3, vcc_lo
	s_xor_b32 s3, exec_lo, s3
; %bb.37:
	v_bfe_u32 v87, v84, 16, 1
	s_delay_alu instid0(VALU_DEP_1)
	v_add3_u32 v87, v84, v87, 0x7fff
                                        ; implicit-def: $vgpr84
; %bb.38:
	s_and_not1_saveexec_b32 s3, s3
; %bb.39:
	v_and_b32_e32 v87, 0xffff, v84
	v_or_b32_e32 v90, 0x10000, v84
	s_delay_alu instid0(VALU_DEP_2) | instskip(NEXT) | instid1(VALU_DEP_2)
	v_cmp_eq_u32_e32 vcc_lo, 0, v87
	v_cndmask_b32_e32 v87, v90, v84, vcc_lo
; %bb.40:
	s_or_b32 exec_lo, exec_lo, s3
	v_and_b32_e32 v84, 0x7f800000, v80
	s_delay_alu instid0(VALU_DEP_1) | instskip(SKIP_1) | instid1(SALU_CYCLE_1)
	v_cmp_ne_u32_e32 vcc_lo, 0x7f800000, v84
                                        ; implicit-def: $vgpr84
	s_and_saveexec_b32 s3, vcc_lo
	s_xor_b32 s3, exec_lo, s3
; %bb.41:
	v_bfe_u32 v84, v80, 16, 1
	s_delay_alu instid0(VALU_DEP_1)
	v_add3_u32 v84, v80, v84, 0x7fff
                                        ; implicit-def: $vgpr80
; %bb.42:
	s_and_not1_saveexec_b32 s3, s3
; %bb.43:
	v_and_b32_e32 v84, 0xffff, v80
	v_or_b32_e32 v90, 0x10000, v80
	s_delay_alu instid0(VALU_DEP_2) | instskip(NEXT) | instid1(VALU_DEP_2)
	v_cmp_eq_u32_e32 vcc_lo, 0, v84
	v_cndmask_b32_e32 v84, v90, v80, vcc_lo
; %bb.44:
	s_or_b32 exec_lo, exec_lo, s3
	s_load_b64 s[34:35], s[0:1], 0x94
	v_lshlrev_b32_e32 v91, 4, v74
	s_delay_alu instid0(VALU_DEP_2)
	v_perm_b32 v90, v84, v87, 0x7060302
	v_dual_mul_f32 v79, v82, v79 :: v_dual_lshlrev_b32 v80, 6, v65
	v_dual_mul_f32 v77, v82, v77 :: v_dual_lshlrev_b32 v92, 11, v66
	v_mul_f32_e32 v84, v82, v70
	v_perm_b32 v89, v88, v89, 0x7060302
	v_perm_b32 v88, v86, v85, 0x7060302
	;; [unrolled: 1-line block ×3, first 2 shown]
	v_mul_f32_e32 v70, v82, v81
	v_or3_b32 v76, v91, v92, v80
	v_dual_mul_f32 v78, v82, v78 :: v_dual_and_b32 v85, 0x7f800000, v84
	v_mul_f32_e32 v83, v82, v72
	v_mul_f32_e32 v81, v82, v71
	;; [unrolled: 1-line block ×3, first 2 shown]
	s_mov_b32 s3, exec_lo
	ds_store_b128 v76, v[87:90]
                                        ; implicit-def: $vgpr69
	v_cmpx_ne_u32_e32 0x7f800000, v85
	s_xor_b32 s3, exec_lo, s3
; %bb.45:
	v_bfe_u32 v69, v84, 16, 1
	s_delay_alu instid0(VALU_DEP_1)
	v_add3_u32 v69, v84, v69, 0x7fff
                                        ; implicit-def: $vgpr84
; %bb.46:
	s_and_not1_saveexec_b32 s3, s3
; %bb.47:
	v_and_b32_e32 v69, 0xffff, v84
	v_or_b32_e32 v71, 0x10000, v84
	s_delay_alu instid0(VALU_DEP_2) | instskip(NEXT) | instid1(VALU_DEP_2)
	v_cmp_eq_u32_e32 vcc_lo, 0, v69
	v_cndmask_b32_e32 v69, v71, v84, vcc_lo
; %bb.48:
	s_or_b32 exec_lo, exec_lo, s3
	v_and_b32_e32 v71, 0x7f800000, v72
	s_delay_alu instid0(VALU_DEP_1) | instskip(SKIP_1) | instid1(SALU_CYCLE_1)
	v_cmp_ne_u32_e32 vcc_lo, 0x7f800000, v71
                                        ; implicit-def: $vgpr71
	s_and_saveexec_b32 s3, vcc_lo
	s_xor_b32 s3, exec_lo, s3
; %bb.49:
	v_bfe_u32 v71, v72, 16, 1
	s_delay_alu instid0(VALU_DEP_1)
	v_add3_u32 v71, v72, v71, 0x7fff
                                        ; implicit-def: $vgpr72
; %bb.50:
	s_and_not1_saveexec_b32 s3, s3
; %bb.51:
	v_and_b32_e32 v71, 0xffff, v72
	v_or_b32_e32 v82, 0x10000, v72
	s_delay_alu instid0(VALU_DEP_2) | instskip(NEXT) | instid1(VALU_DEP_2)
	v_cmp_eq_u32_e32 vcc_lo, 0, v71
	v_cndmask_b32_e32 v71, v82, v72, vcc_lo
; %bb.52:
	s_or_b32 exec_lo, exec_lo, s3
	v_and_b32_e32 v72, 0x7f800000, v81
	s_delay_alu instid0(VALU_DEP_1) | instskip(SKIP_1) | instid1(SALU_CYCLE_1)
	v_cmp_ne_u32_e32 vcc_lo, 0x7f800000, v72
                                        ; implicit-def: $vgpr72
	s_and_saveexec_b32 s3, vcc_lo
	s_xor_b32 s3, exec_lo, s3
; %bb.53:
	v_bfe_u32 v72, v81, 16, 1
	s_delay_alu instid0(VALU_DEP_1)
	v_add3_u32 v72, v81, v72, 0x7fff
                                        ; implicit-def: $vgpr81
; %bb.54:
	s_and_not1_saveexec_b32 s3, s3
; %bb.55:
	v_and_b32_e32 v72, 0xffff, v81
	v_or_b32_e32 v82, 0x10000, v81
	s_delay_alu instid0(VALU_DEP_2) | instskip(NEXT) | instid1(VALU_DEP_2)
	v_cmp_eq_u32_e32 vcc_lo, 0, v72
	v_cndmask_b32_e32 v72, v82, v81, vcc_lo
; %bb.56:
	s_or_b32 exec_lo, exec_lo, s3
	v_and_b32_e32 v81, 0x7f800000, v83
	s_delay_alu instid0(VALU_DEP_1) | instskip(SKIP_1) | instid1(SALU_CYCLE_1)
	v_cmp_ne_u32_e32 vcc_lo, 0x7f800000, v81
                                        ; implicit-def: $vgpr81
	s_and_saveexec_b32 s3, vcc_lo
	s_xor_b32 s3, exec_lo, s3
; %bb.57:
	v_bfe_u32 v81, v83, 16, 1
	s_delay_alu instid0(VALU_DEP_1)
	v_add3_u32 v81, v83, v81, 0x7fff
                                        ; implicit-def: $vgpr83
; %bb.58:
	s_and_not1_saveexec_b32 s3, s3
; %bb.59:
	v_and_b32_e32 v81, 0xffff, v83
	v_or_b32_e32 v82, 0x10000, v83
	s_delay_alu instid0(VALU_DEP_2) | instskip(NEXT) | instid1(VALU_DEP_2)
	v_cmp_eq_u32_e32 vcc_lo, 0, v81
	v_cndmask_b32_e32 v81, v82, v83, vcc_lo
; %bb.60:
	s_or_b32 exec_lo, exec_lo, s3
	v_and_b32_e32 v82, 0x7f800000, v77
	s_delay_alu instid0(VALU_DEP_1) | instskip(SKIP_1) | instid1(SALU_CYCLE_1)
	v_cmp_ne_u32_e32 vcc_lo, 0x7f800000, v82
                                        ; implicit-def: $vgpr82
	s_and_saveexec_b32 s3, vcc_lo
	s_xor_b32 s3, exec_lo, s3
; %bb.61:
	v_bfe_u32 v82, v77, 16, 1
	s_delay_alu instid0(VALU_DEP_1)
	v_add3_u32 v82, v77, v82, 0x7fff
                                        ; implicit-def: $vgpr77
; %bb.62:
	s_and_not1_saveexec_b32 s3, s3
; %bb.63:
	v_and_b32_e32 v82, 0xffff, v77
	v_or_b32_e32 v83, 0x10000, v77
	s_delay_alu instid0(VALU_DEP_2) | instskip(NEXT) | instid1(VALU_DEP_2)
	v_cmp_eq_u32_e32 vcc_lo, 0, v82
	v_cndmask_b32_e32 v82, v83, v77, vcc_lo
; %bb.64:
	s_or_b32 exec_lo, exec_lo, s3
	v_and_b32_e32 v77, 0x7f800000, v78
	s_delay_alu instid0(VALU_DEP_1) | instskip(SKIP_1) | instid1(SALU_CYCLE_1)
	v_cmp_ne_u32_e32 vcc_lo, 0x7f800000, v77
                                        ; implicit-def: $vgpr77
	s_and_saveexec_b32 s3, vcc_lo
	s_xor_b32 s3, exec_lo, s3
; %bb.65:
	v_bfe_u32 v77, v78, 16, 1
	s_delay_alu instid0(VALU_DEP_1)
	v_add3_u32 v77, v78, v77, 0x7fff
                                        ; implicit-def: $vgpr78
; %bb.66:
	s_and_not1_saveexec_b32 s3, s3
; %bb.67:
	v_and_b32_e32 v77, 0xffff, v78
	v_or_b32_e32 v83, 0x10000, v78
	s_delay_alu instid0(VALU_DEP_2) | instskip(NEXT) | instid1(VALU_DEP_2)
	v_cmp_eq_u32_e32 vcc_lo, 0, v77
	v_cndmask_b32_e32 v77, v83, v78, vcc_lo
; %bb.68:
	s_or_b32 exec_lo, exec_lo, s3
	v_and_b32_e32 v78, 0x7f800000, v79
	s_delay_alu instid0(VALU_DEP_1) | instskip(SKIP_1) | instid1(SALU_CYCLE_1)
	v_cmp_ne_u32_e32 vcc_lo, 0x7f800000, v78
                                        ; implicit-def: $vgpr78
	s_and_saveexec_b32 s3, vcc_lo
	s_xor_b32 s3, exec_lo, s3
; %bb.69:
	v_bfe_u32 v78, v79, 16, 1
	s_delay_alu instid0(VALU_DEP_1)
	v_add3_u32 v78, v79, v78, 0x7fff
                                        ; implicit-def: $vgpr79
; %bb.70:
	s_and_not1_saveexec_b32 s3, s3
; %bb.71:
	v_and_b32_e32 v78, 0xffff, v79
	v_or_b32_e32 v83, 0x10000, v79
	s_delay_alu instid0(VALU_DEP_2) | instskip(NEXT) | instid1(VALU_DEP_2)
	v_cmp_eq_u32_e32 vcc_lo, 0, v78
	v_cndmask_b32_e32 v78, v83, v79, vcc_lo
; %bb.72:
	s_or_b32 exec_lo, exec_lo, s3
	v_and_b32_e32 v79, 0x7f800000, v70
	s_delay_alu instid0(VALU_DEP_1) | instskip(SKIP_1) | instid1(SALU_CYCLE_1)
	v_cmp_ne_u32_e32 vcc_lo, 0x7f800000, v79
                                        ; implicit-def: $vgpr79
	s_and_saveexec_b32 s3, vcc_lo
	s_xor_b32 s3, exec_lo, s3
; %bb.73:
	v_bfe_u32 v79, v70, 16, 1
	s_delay_alu instid0(VALU_DEP_1)
	v_add3_u32 v79, v70, v79, 0x7fff
                                        ; implicit-def: $vgpr70
; %bb.74:
	s_and_not1_saveexec_b32 s3, s3
; %bb.75:
	v_and_b32_e32 v79, 0xffff, v70
	v_or_b32_e32 v83, 0x10000, v70
	s_delay_alu instid0(VALU_DEP_2) | instskip(NEXT) | instid1(VALU_DEP_2)
	v_cmp_eq_u32_e32 vcc_lo, 0, v79
	v_cndmask_b32_e32 v79, v83, v70, vcc_lo
; %bb.76:
	s_or_b32 exec_lo, exec_lo, s3
	s_delay_alu instid0(VALU_DEP_1)
	v_perm_b32 v86, v79, v78, 0x7060302
	v_perm_b32 v85, v77, v82, 0x7060302
	;; [unrolled: 1-line block ×4, first 2 shown]
	v_lshl_or_b32 v82, v66, 11, v80
	ds_store_b128 v76, v[83:86] offset:1024
	s_waitcnt lgkmcnt(0)
	s_barrier
	buffer_gl0_inv
	ds_load_b128 v[69:72], v82
	ds_load_b128 v[83:86], v82 offset:16
	s_waitcnt lgkmcnt(1)
	v_lshrrev_b32_e32 v66, 16, v69
	s_waitcnt lgkmcnt(0)
	v_lshrrev_b32_e32 v91, 16, v83
	v_lshlrev_b32_e32 v78, 2, v74
	v_lshrrev_b32_e32 v95, 16, v70
	v_lshrrev_b32_e32 v98, 16, v84
	v_lshrrev_b32_e32 v96, 16, v71
	v_lshrrev_b32_e32 v99, 16, v85
	v_cmp_eq_u32_e32 vcc_lo, 1, v78
	v_lshrrev_b32_e32 v97, 16, v72
	v_lshrrev_b32_e32 v100, 16, v86
	v_cndmask_b32_e32 v87, v83, v91, vcc_lo
	v_or_b32_e32 v79, 1, v78
	v_cndmask_b32_e32 v81, v69, v66, vcc_lo
	v_cmp_eq_u32_e64 s4, 2, v78
	v_cmp_eq_u32_e64 s7, 3, v78
	;; [unrolled: 1-line block ×5, first 2 shown]
	v_cndmask_b32_e64 v81, v81, v70, s4
	v_cndmask_b32_e64 v87, v87, v84, s4
	v_cmp_eq_u32_e64 s8, 3, v79
	v_cndmask_b32_e64 v88, v69, v66, s3
	v_or_b32_e32 v77, 2, v78
	v_cndmask_b32_e64 v81, v81, v95, s7
	v_cndmask_b32_e64 v87, v87, v98, s7
	;; [unrolled: 1-line block ×4, first 2 shown]
	v_cmp_eq_u32_e64 s10, 5, v78
	v_cndmask_b32_e64 v81, v81, v71, s9
	v_cndmask_b32_e64 v87, v87, v85, s9
	v_cmp_eq_u32_e64 s11, 4, v79
	v_cndmask_b32_e64 v88, v88, v95, s8
	v_cmp_eq_u32_e64 s5, 1, v77
	v_cndmask_b32_e64 v89, v89, v84, s6
	v_cndmask_b32_e64 v81, v81, v96, s10
	v_cmp_eq_u32_e64 s12, 6, v78
	v_cndmask_b32_e64 v88, v88, v71, s11
	;; [unrolled: 3-line block ×3, first 2 shown]
	v_cndmask_b32_e64 v89, v89, v98, s8
	v_cndmask_b32_e64 v81, v81, v72, s12
	v_cmp_eq_u32_e64 s15, 7, v78
	v_cndmask_b32_e64 v88, v88, v96, s13
	v_cndmask_b32_e64 v87, v87, v86, s12
	v_cmp_eq_u32_e64 s16, 6, v79
	v_cmp_eq_u32_e64 s17, 2, v77
	v_cndmask_b32_e64 v89, v89, v85, s11
	v_cndmask_b32_e64 v101, v81, v97, s15
	;; [unrolled: 1-line block ×6, first 2 shown]
	v_cmp_eq_u32_e64 s18, 7, v79
	v_cmp_eq_u32_e64 s19, 3, v77
	;; [unrolled: 1-line block ×4, first 2 shown]
	v_cndmask_b32_e64 v87, v87, v84, s17
	v_cndmask_b32_e64 v103, v88, v97, s18
	;; [unrolled: 1-line block ×4, first 2 shown]
	v_or_b32_e32 v81, 3, v78
	v_cndmask_b32_e64 v93, v87, v98, s19
	v_cmp_eq_u32_e64 s24, 6, v77
	v_cndmask_b32_e64 v104, v88, v86, s16
	v_cndmask_b32_e64 v92, v89, v71, s20
	v_cmp_eq_u32_e64 s21, 1, v81
	ds_load_b128 v[87:90], v82 offset:1024
	v_cmp_eq_u32_e64 s23, 2, v81
	v_cmp_eq_u32_e64 s25, 3, v81
	v_cndmask_b32_e64 v105, v92, v96, s22
	v_cndmask_b32_e64 v66, v69, v66, s21
	;; [unrolled: 1-line block ×4, first 2 shown]
	ds_load_b128 v[91:94], v82 offset:1040
	v_cmp_eq_u32_e64 s26, 4, v81
	v_cndmask_b32_e64 v66, v66, v70, s23
	v_cmp_eq_u32_e64 s27, 7, v77
	v_cndmask_b32_e64 v70, v83, v84, s23
	v_cndmask_b32_e64 v84, v105, v72, s24
	v_cmp_eq_u32_e64 s28, 5, v81
	v_cndmask_b32_e64 v66, v66, v95, s25
	v_cmp_eq_u32_e64 s29, 6, v81
	v_cndmask_b32_e64 v70, v70, v98, s25
	v_cndmask_b32_e64 v69, v69, v99, s22
	;; [unrolled: 1-line block ×4, first 2 shown]
	s_waitcnt lgkmcnt(1)
	v_lshrrev_b32_e32 v95, 16, v87
	v_cndmask_b32_e64 v70, v70, v85, s26
	v_cndmask_b32_e64 v71, v84, v97, s27
	;; [unrolled: 1-line block ×4, first 2 shown]
	v_cndmask_b32_e32 v84, v87, v95, vcc_lo
	v_cndmask_b32_e64 v70, v70, v99, s28
	s_waitcnt lgkmcnt(0)
	v_lshrrev_b32_e32 v85, 16, v91
	v_lshrrev_b32_e32 v96, 16, v88
	v_cndmask_b32_e64 v98, v87, v95, s3
	v_cndmask_b32_e64 v84, v84, v88, s4
	;; [unrolled: 1-line block ×3, first 2 shown]
	v_cndmask_b32_e32 v99, v91, v85, vcc_lo
	v_cmp_eq_u32_e32 vcc_lo, 7, v81
	v_cndmask_b32_e64 v66, v66, v72, s29
	v_cndmask_b32_e64 v72, v84, v96, s7
	v_cndmask_b32_e64 v84, v98, v88, s6
	v_lshrrev_b32_e32 v98, 16, v92
	v_cndmask_b32_e32 v70, v70, v100, vcc_lo
	v_cndmask_b32_e64 v86, v99, v92, s4
	v_cndmask_b32_e64 v69, v69, v100, s27
	v_lshrrev_b32_e32 v100, 16, v93
	v_cndmask_b32_e64 v72, v72, v89, s9
	v_lshrrev_b32_e32 v99, 16, v89
	v_cndmask_b32_e64 v86, v86, v98, s7
	v_perm_b32 v71, v69, v71, 0x5040100
	v_cndmask_b32_e64 v84, v84, v96, s8
	s_delay_alu instid0(VALU_DEP_3) | instskip(NEXT) | instid1(VALU_DEP_2)
	v_cndmask_b32_e64 v86, v86, v93, s9
	v_cndmask_b32_e64 v84, v84, v89, s11
	s_delay_alu instid0(VALU_DEP_2) | instskip(NEXT) | instid1(VALU_DEP_1)
	v_cndmask_b32_e64 v86, v86, v100, s10
	v_cndmask_b32_e64 v69, v86, v94, s12
	;; [unrolled: 1-line block ×5, first 2 shown]
	s_delay_alu instid0(VALU_DEP_3) | instskip(NEXT) | instid1(VALU_DEP_3)
	v_cndmask_b32_e64 v86, v86, v88, s17
	v_cndmask_b32_e64 v87, v87, v88, s23
	s_delay_alu instid0(VALU_DEP_3) | instskip(NEXT) | instid1(VALU_DEP_3)
	v_cndmask_b32_e64 v88, v95, v92, s23
	v_cndmask_b32_e64 v86, v86, v96, s19
	;; [unrolled: 3-line block ×7, first 2 shown]
	s_delay_alu instid0(VALU_DEP_3) | instskip(SKIP_2) | instid1(VALU_DEP_2)
	v_cndmask_b32_e64 v88, v88, v94, s29
	v_cndmask_b32_e32 v66, v66, v97, vcc_lo
	v_cndmask_b32_e64 v97, v72, v99, s10
	v_perm_b32 v72, v70, v66, 0x5040100
	v_perm_b32 v70, v83, v103, 0x5040100
	v_cndmask_b32_e64 v103, v91, v85, s5
	v_cndmask_b32_e64 v85, v91, v85, s3
	;; [unrolled: 1-line block ×4, first 2 shown]
	v_lshrrev_b32_e32 v97, 16, v90
	v_cndmask_b32_e64 v91, v103, v92, s17
	v_cndmask_b32_e64 v85, v85, v92, s6
	;; [unrolled: 1-line block ×3, first 2 shown]
	s_mov_b32 s3, exec_lo
	v_cndmask_b32_e64 v83, v84, v97, s15
	v_cndmask_b32_e64 v91, v91, v98, s19
	v_cndmask_b32_e64 v85, v85, v98, s8
	v_lshrrev_b32_e32 v84, 16, v94
	v_cndmask_b32_e64 v66, v66, v97, s18
	v_cndmask_b32_e64 v90, v86, v97, s27
	;; [unrolled: 1-line block ×4, first 2 shown]
	v_dual_cndmask_b32 v86, v87, v97 :: v_dual_cndmask_b32 v87, v88, v84
	v_cndmask_b32_e64 v91, v69, v84, s15
	s_delay_alu instid0(VALU_DEP_4) | instskip(NEXT) | instid1(VALU_DEP_4)
	v_cndmask_b32_e64 v89, v89, v100, s22
	v_cndmask_b32_e64 v85, v85, v100, s13
	v_perm_b32 v69, v102, v101, 0x5040100
	v_perm_b32 v86, v87, v86, 0x5040100
	;; [unrolled: 1-line block ×3, first 2 shown]
	v_cndmask_b32_e64 v89, v89, v94, s24
	v_cndmask_b32_e64 v85, v85, v94, s16
	s_mul_i32 s8, s35, 9
	s_delay_alu instid0(VALU_DEP_2) | instskip(NEXT) | instid1(VALU_DEP_2)
	v_cndmask_b32_e64 v88, v89, v84, s27
	v_cndmask_b32_e64 v89, v85, v84, s18
	s_delay_alu instid0(VALU_DEP_2) | instskip(NEXT) | instid1(VALU_DEP_2)
	v_perm_b32 v85, v88, v90, 0x5040100
	v_perm_b32 v84, v89, v66, 0x5040100
	ds_store_b128 v76, v[69:72]
	ds_store_b128 v76, v[83:86] offset:1024
	v_cmpx_gt_u32_e32 9, v0
	s_cbranch_execz .LBB1634_78
; %bb.77:
	s_mul_i32 s4, s8, s30
	s_delay_alu instid0(SALU_CYCLE_1) | instskip(SKIP_1) | instid1(VALU_DEP_1)
	v_add3_u32 v69, s4, s31, v65
	s_load_b128 s[4:7], s[0:1], 0x58
	v_mad_u64_u32 v[65:66], null, v69, s34, s[14:15]
	s_delay_alu instid0(VALU_DEP_1) | instskip(NEXT) | instid1(VALU_DEP_1)
	v_ashrrev_i32_e32 v66, 31, v65
	v_lshlrev_b64 v[65:66], 2, v[65:66]
	s_waitcnt lgkmcnt(0)
	s_delay_alu instid0(VALU_DEP_1) | instskip(NEXT) | instid1(VALU_DEP_2)
	v_add_co_u32 v69, vcc_lo, s6, v65
	v_add_co_ci_u32_e32 v70, vcc_lo, s7, v66, vcc_lo
	v_add_co_u32 v65, vcc_lo, s4, v65
	v_add_co_ci_u32_e32 v66, vcc_lo, s5, v66, vcc_lo
	global_store_b32 v[69:70], v67, off
	global_store_b32 v[65:66], v68, off
.LBB1634_78:
	s_or_b32 exec_lo, exec_lo, s3
	s_waitcnt lgkmcnt(0)
	s_waitcnt_vscnt null, 0x0
	s_barrier
	buffer_gl0_inv
	ds_load_b128 v[83:86], v80
	ds_load_b128 v[87:90], v80 offset:16
	ds_load_b128 v[95:98], v80 offset:2064
	;; [unrolled: 1-line block ×3, first 2 shown]
	v_mov_b32_e32 v65, 0
	ds_load_b128 v[103:106], v80 offset:4112
	ds_load_b128 v[99:102], v80 offset:4096
	;; [unrolled: 1-line block ×4, first 2 shown]
	v_mov_b32_e32 v66, v65
	v_mov_b32_e32 v67, v65
	;; [unrolled: 1-line block ×7, first 2 shown]
	s_waitcnt lgkmcnt(6)
	s_delay_alu instid0(VALU_DEP_1)
	v_wmma_f32_16x16x16_bf16 v[65:72], v[49:56], v[83:90], v[65:72]
	ds_load_b128 v[53:56], v80 offset:8208
	ds_load_b128 v[49:52], v80 offset:8192
	s_waitcnt lgkmcnt(6)
	v_wmma_f32_16x16x16_bf16 v[65:72], v[41:48], v[91:98], v[65:72]
	ds_load_b128 v[45:48], v80 offset:10256
	ds_load_b128 v[41:44], v80 offset:10240
	s_waitcnt lgkmcnt(6)
	v_wmma_f32_16x16x16_bf16 v[65:72], v[33:40], v[99:106], v[65:72]
	ds_load_b128 v[37:40], v80 offset:12304
	ds_load_b128 v[33:36], v80 offset:12288
	s_waitcnt lgkmcnt(6)
	v_wmma_f32_16x16x16_bf16 v[65:72], v[25:32], v[107:114], v[65:72]
	ds_load_b128 v[29:32], v80 offset:14352
	ds_load_b128 v[25:28], v80 offset:14336
	s_waitcnt lgkmcnt(6)
	v_wmma_f32_16x16x16_bf16 v[65:72], v[1:8], v[49:56], v[65:72]
	s_waitcnt lgkmcnt(4)
	s_delay_alu instid0(VALU_DEP_1) | instskip(SKIP_1) | instid1(VALU_DEP_1)
	v_wmma_f32_16x16x16_bf16 v[65:72], v[9:16], v[41:48], v[65:72]
	s_waitcnt lgkmcnt(2)
	v_wmma_f32_16x16x16_bf16 v[65:72], v[17:24], v[33:40], v[65:72]
	s_waitcnt lgkmcnt(0)
	s_delay_alu instid0(VALU_DEP_1) | instskip(NEXT) | instid1(VALU_DEP_1)
	v_wmma_f32_16x16x16_bf16 v[65:72], v[57:64], v[25:32], v[65:72]
	v_and_b32_e32 v1, 0x7f800000, v65
	s_delay_alu instid0(VALU_DEP_1) | instskip(SKIP_1) | instid1(SALU_CYCLE_1)
	v_cmp_ne_u32_e32 vcc_lo, 0x7f800000, v1
                                        ; implicit-def: $vgpr1
	s_and_saveexec_b32 s3, vcc_lo
	s_xor_b32 s3, exec_lo, s3
; %bb.79:
	v_bfe_u32 v1, v65, 16, 1
	s_delay_alu instid0(VALU_DEP_1)
	v_add3_u32 v1, v65, v1, 0x7fff
; %bb.80:
	s_and_not1_saveexec_b32 s3, s3
; %bb.81:
	v_and_b32_e32 v1, 0xffff, v65
	v_or_b32_e32 v2, 0x10000, v65
	s_delay_alu instid0(VALU_DEP_2) | instskip(NEXT) | instid1(VALU_DEP_2)
	v_cmp_eq_u32_e32 vcc_lo, 0, v1
	v_cndmask_b32_e32 v1, v2, v65, vcc_lo
; %bb.82:
	s_or_b32 exec_lo, exec_lo, s3
	v_and_b32_e32 v2, 0x7f800000, v66
	s_delay_alu instid0(VALU_DEP_1) | instskip(SKIP_1) | instid1(SALU_CYCLE_1)
	v_cmp_ne_u32_e32 vcc_lo, 0x7f800000, v2
                                        ; implicit-def: $vgpr2
	s_and_saveexec_b32 s3, vcc_lo
	s_xor_b32 s3, exec_lo, s3
; %bb.83:
	v_bfe_u32 v2, v66, 16, 1
	s_delay_alu instid0(VALU_DEP_1)
	v_add3_u32 v2, v66, v2, 0x7fff
; %bb.84:
	s_and_not1_saveexec_b32 s3, s3
; %bb.85:
	v_and_b32_e32 v2, 0xffff, v66
	v_or_b32_e32 v3, 0x10000, v66
	s_delay_alu instid0(VALU_DEP_2) | instskip(NEXT) | instid1(VALU_DEP_2)
	v_cmp_eq_u32_e32 vcc_lo, 0, v2
	v_cndmask_b32_e32 v2, v3, v66, vcc_lo
; %bb.86:
	s_or_b32 exec_lo, exec_lo, s3
	v_and_b32_e32 v3, 0x7f800000, v67
	s_delay_alu instid0(VALU_DEP_1) | instskip(SKIP_1) | instid1(SALU_CYCLE_1)
	v_cmp_ne_u32_e32 vcc_lo, 0x7f800000, v3
                                        ; implicit-def: $vgpr3
	s_and_saveexec_b32 s3, vcc_lo
	s_xor_b32 s3, exec_lo, s3
; %bb.87:
	v_bfe_u32 v3, v67, 16, 1
	s_delay_alu instid0(VALU_DEP_1)
	v_add3_u32 v3, v67, v3, 0x7fff
; %bb.88:
	s_and_not1_saveexec_b32 s3, s3
; %bb.89:
	v_and_b32_e32 v3, 0xffff, v67
	v_or_b32_e32 v4, 0x10000, v67
	s_delay_alu instid0(VALU_DEP_2) | instskip(NEXT) | instid1(VALU_DEP_2)
	v_cmp_eq_u32_e32 vcc_lo, 0, v3
	v_cndmask_b32_e32 v3, v4, v67, vcc_lo
; %bb.90:
	s_or_b32 exec_lo, exec_lo, s3
	v_and_b32_e32 v4, 0x7f800000, v68
	s_delay_alu instid0(VALU_DEP_1) | instskip(SKIP_1) | instid1(SALU_CYCLE_1)
	v_cmp_ne_u32_e32 vcc_lo, 0x7f800000, v4
                                        ; implicit-def: $vgpr4
	s_and_saveexec_b32 s3, vcc_lo
	s_xor_b32 s3, exec_lo, s3
; %bb.91:
	v_bfe_u32 v4, v68, 16, 1
	s_delay_alu instid0(VALU_DEP_1)
	v_add3_u32 v4, v68, v4, 0x7fff
; %bb.92:
	s_and_not1_saveexec_b32 s3, s3
; %bb.93:
	v_and_b32_e32 v4, 0xffff, v68
	v_or_b32_e32 v5, 0x10000, v68
	s_delay_alu instid0(VALU_DEP_2) | instskip(NEXT) | instid1(VALU_DEP_2)
	v_cmp_eq_u32_e32 vcc_lo, 0, v4
	v_cndmask_b32_e32 v4, v5, v68, vcc_lo
; %bb.94:
	s_or_b32 exec_lo, exec_lo, s3
	v_and_b32_e32 v5, 0x7f800000, v69
	s_delay_alu instid0(VALU_DEP_1) | instskip(SKIP_1) | instid1(SALU_CYCLE_1)
	v_cmp_ne_u32_e32 vcc_lo, 0x7f800000, v5
                                        ; implicit-def: $vgpr5
	s_and_saveexec_b32 s3, vcc_lo
	s_xor_b32 s3, exec_lo, s3
; %bb.95:
	v_bfe_u32 v5, v69, 16, 1
	s_delay_alu instid0(VALU_DEP_1)
	v_add3_u32 v5, v69, v5, 0x7fff
; %bb.96:
	s_and_not1_saveexec_b32 s3, s3
; %bb.97:
	v_and_b32_e32 v5, 0xffff, v69
	v_or_b32_e32 v6, 0x10000, v69
	s_delay_alu instid0(VALU_DEP_2) | instskip(NEXT) | instid1(VALU_DEP_2)
	v_cmp_eq_u32_e32 vcc_lo, 0, v5
	v_cndmask_b32_e32 v5, v6, v69, vcc_lo
; %bb.98:
	s_or_b32 exec_lo, exec_lo, s3
	v_and_b32_e32 v6, 0x7f800000, v70
	s_delay_alu instid0(VALU_DEP_1) | instskip(SKIP_1) | instid1(SALU_CYCLE_1)
	v_cmp_ne_u32_e32 vcc_lo, 0x7f800000, v6
                                        ; implicit-def: $vgpr6
	s_and_saveexec_b32 s3, vcc_lo
	s_xor_b32 s3, exec_lo, s3
; %bb.99:
	v_bfe_u32 v6, v70, 16, 1
	s_delay_alu instid0(VALU_DEP_1)
	v_add3_u32 v6, v70, v6, 0x7fff
; %bb.100:
	s_and_not1_saveexec_b32 s3, s3
; %bb.101:
	v_and_b32_e32 v6, 0xffff, v70
	v_or_b32_e32 v7, 0x10000, v70
	s_delay_alu instid0(VALU_DEP_2) | instskip(NEXT) | instid1(VALU_DEP_2)
	v_cmp_eq_u32_e32 vcc_lo, 0, v6
	v_cndmask_b32_e32 v6, v7, v70, vcc_lo
; %bb.102:
	s_or_b32 exec_lo, exec_lo, s3
	v_and_b32_e32 v7, 0x7f800000, v71
	s_delay_alu instid0(VALU_DEP_1) | instskip(SKIP_1) | instid1(SALU_CYCLE_1)
	v_cmp_ne_u32_e32 vcc_lo, 0x7f800000, v7
                                        ; implicit-def: $vgpr7
	s_and_saveexec_b32 s3, vcc_lo
	s_xor_b32 s3, exec_lo, s3
; %bb.103:
	v_bfe_u32 v7, v71, 16, 1
	s_delay_alu instid0(VALU_DEP_1)
	v_add3_u32 v7, v71, v7, 0x7fff
; %bb.104:
	s_and_not1_saveexec_b32 s3, s3
; %bb.105:
	v_and_b32_e32 v7, 0xffff, v71
	v_or_b32_e32 v8, 0x10000, v71
	s_delay_alu instid0(VALU_DEP_2) | instskip(NEXT) | instid1(VALU_DEP_2)
	v_cmp_eq_u32_e32 vcc_lo, 0, v7
	v_cndmask_b32_e32 v7, v8, v71, vcc_lo
; %bb.106:
	s_or_b32 exec_lo, exec_lo, s3
	v_and_b32_e32 v8, 0x7f800000, v72
	s_delay_alu instid0(VALU_DEP_1) | instskip(SKIP_1) | instid1(SALU_CYCLE_1)
	v_cmp_ne_u32_e32 vcc_lo, 0x7f800000, v8
                                        ; implicit-def: $vgpr8
	s_and_saveexec_b32 s3, vcc_lo
	s_xor_b32 s3, exec_lo, s3
; %bb.107:
	v_bfe_u32 v8, v72, 16, 1
	s_delay_alu instid0(VALU_DEP_1)
	v_add3_u32 v8, v72, v8, 0x7fff
                                        ; implicit-def: $vgpr65_vgpr66_vgpr67_vgpr68_vgpr69_vgpr70_vgpr71_vgpr72
; %bb.108:
	s_and_not1_saveexec_b32 s3, s3
; %bb.109:
	v_and_b32_e32 v8, 0xffff, v72
	v_or_b32_e32 v9, 0x10000, v72
	s_delay_alu instid0(VALU_DEP_2) | instskip(NEXT) | instid1(VALU_DEP_2)
	v_cmp_eq_u32_e32 vcc_lo, 0, v8
	v_cndmask_b32_e32 v8, v9, v72, vcc_lo
; %bb.110:
	s_or_b32 exec_lo, exec_lo, s3
	s_delay_alu instid0(VALU_DEP_1)
	v_perm_b32 v7, v8, v7, 0x7060302
	v_perm_b32 v6, v6, v5, 0x7060302
	;; [unrolled: 1-line block ×4, first 2 shown]
	s_barrier
	buffer_gl0_inv
	v_cmp_eq_u32_e32 vcc_lo, 1, v78
	ds_store_b128 v76, v[4:7]
	s_waitcnt lgkmcnt(0)
	s_barrier
	buffer_gl0_inv
	ds_load_b128 v[1:4], v82
	ds_load_b128 v[5:8], v82 offset:16
	v_cmp_eq_u32_e64 s3, 1, v79
	v_cmp_eq_u32_e64 s4, 2, v78
	;; [unrolled: 1-line block ×5, first 2 shown]
	s_waitcnt lgkmcnt(1)
	v_lshrrev_b32_e32 v9, 16, v1
	s_waitcnt lgkmcnt(0)
	v_lshrrev_b32_e32 v13, 16, v5
	v_lshrrev_b32_e32 v10, 16, v2
	;; [unrolled: 1-line block ×4, first 2 shown]
	v_cndmask_b32_e64 v19, v1, v9, s3
	v_cndmask_b32_e32 v18, v5, v13, vcc_lo
	v_cndmask_b32_e64 v20, v5, v13, s3
	v_cndmask_b32_e32 v17, v1, v9, vcc_lo
	v_cmp_eq_u32_e32 vcc_lo, 2, v79
	v_lshrrev_b32_e32 v15, 16, v7
	v_cmp_eq_u32_e64 s3, 1, v77
	v_lshrrev_b32_e32 v12, 16, v4
	v_lshrrev_b32_e32 v16, 16, v8
	v_cndmask_b32_e32 v20, v20, v6, vcc_lo
	v_cndmask_b32_e64 v17, v17, v2, s4
	v_cndmask_b32_e32 v19, v19, v2, vcc_lo
	v_cndmask_b32_e64 v18, v18, v6, s4
	v_cmp_eq_u32_e32 vcc_lo, 4, v78
	v_cmp_eq_u32_e64 s4, 3, v79
	v_cndmask_b32_e64 v17, v17, v10, s5
	v_cndmask_b32_e64 v21, v1, v9, s3
	;; [unrolled: 1-line block ×5, first 2 shown]
	v_cndmask_b32_e32 v17, v17, v3, vcc_lo
	v_cndmask_b32_e64 v20, v20, v14, s4
	v_cndmask_b32_e32 v18, v18, v7, vcc_lo
	v_cmp_eq_u32_e32 vcc_lo, 4, v79
	v_cmp_eq_u32_e64 s4, 5, v79
	v_cmp_eq_u32_e64 s3, 2, v81
	v_cndmask_b32_e64 v21, v21, v2, s7
	v_cmp_eq_u32_e64 s5, 5, v78
	v_cndmask_b32_e32 v19, v19, v3, vcc_lo
	v_cndmask_b32_e32 v20, v20, v7, vcc_lo
	v_cmp_eq_u32_e32 vcc_lo, 6, v79
	s_delay_alu instid0(VALU_DEP_4) | instskip(NEXT) | instid1(VALU_DEP_4)
	v_cndmask_b32_e64 v17, v17, v11, s5
	v_cndmask_b32_e64 v19, v19, v11, s4
	s_delay_alu instid0(VALU_DEP_4) | instskip(SKIP_1) | instid1(VALU_DEP_3)
	v_cndmask_b32_e64 v20, v20, v15, s4
	v_cmp_eq_u32_e64 s4, 1, v81
	v_cndmask_b32_e32 v19, v19, v4, vcc_lo
	v_cndmask_b32_e64 v18, v18, v15, s5
	s_delay_alu instid0(VALU_DEP_3)
	v_cndmask_b32_e64 v1, v1, v9, s4
	v_cndmask_b32_e64 v5, v5, v13, s4
	v_cmp_eq_u32_e64 s4, 3, v77
	v_cndmask_b32_e64 v13, v22, v6, s7
	v_cmp_eq_u32_e64 s7, 3, v81
	v_cndmask_b32_e64 v1, v1, v2, s3
	v_cndmask_b32_e64 v2, v5, v6, s3
	;; [unrolled: 1-line block ×3, first 2 shown]
	v_cmp_eq_u32_e64 s3, 4, v77
	v_cndmask_b32_e64 v6, v13, v14, s4
	v_cndmask_b32_e64 v1, v1, v10, s7
	v_cmp_eq_u32_e64 s4, 4, v81
	v_cndmask_b32_e64 v2, v2, v14, s7
	v_cndmask_b32_e64 v5, v9, v3, s3
	;; [unrolled: 3-line block ×3, first 2 shown]
	v_cndmask_b32_e64 v2, v2, v7, s4
	v_cmp_eq_u32_e64 s3, 5, v81
	v_cmp_eq_u32_e64 s5, 6, v78
	v_cndmask_b32_e64 v5, v5, v11, s7
	v_cmp_eq_u32_e64 s4, 6, v77
	v_cndmask_b32_e64 v3, v6, v15, s7
	v_cndmask_b32_e64 v1, v1, v11, s3
	v_cmp_eq_u32_e64 s7, 6, v81
	v_cndmask_b32_e64 v2, v2, v15, s3
	v_cndmask_b32_e64 v17, v17, v4, s5
	v_cndmask_b32_e64 v18, v18, v8, s5
	v_cmp_eq_u32_e64 s5, 7, v78
	v_cndmask_b32_e64 v5, v5, v4, s4
	;; [unrolled: 4-line block ×3, first 2 shown]
	v_cmp_eq_u32_e64 s4, 7, v77
	v_cndmask_b32_e32 v4, v20, v8, vcc_lo
	v_cndmask_b32_e64 v17, v17, v12, s5
	v_cndmask_b32_e64 v19, v19, v12, s6
	;; [unrolled: 1-line block ×8, first 2 shown]
	s_mov_b32 s3, exec_lo
	v_perm_b32 v4, v2, v1, 0x5040100
	v_perm_b32 v3, v3, v5, 0x5040100
	v_perm_b32 v2, v6, v19, 0x5040100
	v_perm_b32 v1, v7, v17, 0x5040100
	ds_store_b128 v76, v[1:4]
	s_waitcnt lgkmcnt(0)
	s_barrier
	buffer_gl0_inv
	v_cmpx_gt_u32_e32 32, v0
	s_cbranch_execz .LBB1634_2
; %bb.111:
	s_load_b64 s[4:5], s[0:1], 0x68
	v_lshlrev_b32_e32 v0, 10, v0
	v_lshlrev_b32_e32 v1, 4, v75
	s_lshl_b32 s0, s34, 7
	v_add_nc_u32_e32 v2, s31, v74
	s_mul_i32 s1, s0, s30
	s_delay_alu instid0(SALU_CYCLE_1) | instskip(SKIP_1) | instid1(VALU_DEP_2)
	s_mul_i32 s6, s1, s8
	v_and_or_b32 v0, 0x3800, v0, v1
	v_mul_lo_u32 v1, v2, s0
	s_ashr_i32 s7, s6, 31
	v_add_nc_u32_e32 v3, 2, v2
	s_lshl_b64 s[6:7], s[6:7], 1
	v_add_nc_u32_e32 v4, 4, v2
	v_add_nc_u32_e32 v5, 6, v2
	v_lshl_or_b32 v15, v74, 6, v0
	v_mul_lo_u32 v3, v3, s0
	v_ashrrev_i32_e32 v2, 31, v1
	v_mul_lo_u32 v19, v4, s0
	v_mul_lo_u32 v21, v5, s0
	s_waitcnt lgkmcnt(0)
	s_add_u32 s1, s4, s6
	s_addc_u32 s3, s5, s7
	s_lshl_b32 s4, s14, 7
	v_lshlrev_b64 v[5:6], 1, v[1:2]
	s_ashr_i32 s5, s4, 31
	v_ashrrev_i32_e32 v4, 31, v3
	s_lshl_b64 s[4:5], s[4:5], 1
	v_ashrrev_i32_e32 v20, 31, v19
	s_add_u32 s1, s1, s4
	s_addc_u32 s3, s3, s5
	v_add_co_u32 v1, s1, s1, v73
	s_delay_alu instid0(VALU_DEP_1) | instskip(SKIP_1) | instid1(VALU_DEP_3)
	v_add_co_ci_u32_e64 v2, null, s3, 0, s1
	v_lshlrev_b64 v[25:26], 1, v[3:4]
	v_add_co_u32 v23, vcc_lo, v1, v5
	s_delay_alu instid0(VALU_DEP_3)
	v_add_co_ci_u32_e32 v24, vcc_lo, v2, v6, vcc_lo
	ds_load_b128 v[3:6], v15
	ds_load_b128 v[7:10], v15 offset:128
	ds_load_b128 v[11:14], v15 offset:256
	;; [unrolled: 1-line block ×3, first 2 shown]
	v_ashrrev_i32_e32 v22, 31, v21
	v_lshlrev_b64 v[19:20], 1, v[19:20]
	v_add_co_u32 v25, vcc_lo, v1, v25
	v_add_co_ci_u32_e32 v26, vcc_lo, v2, v26, vcc_lo
	s_delay_alu instid0(VALU_DEP_4) | instskip(NEXT) | instid1(VALU_DEP_4)
	v_lshlrev_b64 v[21:22], 1, v[21:22]
	v_add_co_u32 v19, vcc_lo, v1, v19
	v_add_co_ci_u32_e32 v20, vcc_lo, v2, v20, vcc_lo
	s_delay_alu instid0(VALU_DEP_3) | instskip(NEXT) | instid1(VALU_DEP_4)
	v_add_co_u32 v21, vcc_lo, v1, v21
	v_add_co_ci_u32_e32 v22, vcc_lo, v2, v22, vcc_lo
	s_waitcnt lgkmcnt(3)
	global_store_b128 v[23:24], v[3:6], off
	s_waitcnt lgkmcnt(2)
	global_store_b128 v[25:26], v[7:10], off
	;; [unrolled: 2-line block ×4, first 2 shown]
	s_and_b32 exec_lo, exec_lo, s2
	s_cbranch_execz .LBB1634_2
; %bb.112:
	ds_load_b128 v[3:6], v0 offset:512
	s_add_i32 s1, s31, 8
	s_delay_alu instid0(SALU_CYCLE_1) | instskip(NEXT) | instid1(SALU_CYCLE_1)
	s_mul_i32 s0, s1, s0
	s_ashr_i32 s1, s0, 31
	s_delay_alu instid0(SALU_CYCLE_1) | instskip(NEXT) | instid1(SALU_CYCLE_1)
	s_lshl_b64 s[0:1], s[0:1], 1
	v_add_co_u32 v0, vcc_lo, v1, s0
	v_add_co_ci_u32_e32 v1, vcc_lo, s1, v2, vcc_lo
	s_waitcnt lgkmcnt(0)
	global_store_b128 v[0:1], v[3:6], off
	s_nop 0
	s_sendmsg sendmsg(MSG_DEALLOC_VGPRS)
	s_endpgm
	.section	.rodata,"a",@progbits
	.p2align	6, 0x0
	.amdhsa_kernel _Z39paged_attention_ll4mi_QKV_mfma16_kernelI14__hip_bfloat16hLN4vllm18Fp8KVCacheDataTypeE1ES0_Li32ELi128ELi256ELb1ELi9EL8MFMAType1EEvPKT_PKT0_S9_ifPKiSB_SB_iPKfiiiPfSE_PS4_PT2_iSD_SD_
		.amdhsa_group_segment_fixed_size 17472
		.amdhsa_private_segment_fixed_size 0
		.amdhsa_kernarg_size 400
		.amdhsa_user_sgpr_count 13
		.amdhsa_user_sgpr_dispatch_ptr 0
		.amdhsa_user_sgpr_queue_ptr 0
		.amdhsa_user_sgpr_kernarg_segment_ptr 1
		.amdhsa_user_sgpr_dispatch_id 0
		.amdhsa_user_sgpr_private_segment_size 0
		.amdhsa_wavefront_size32 1
		.amdhsa_uses_dynamic_stack 0
		.amdhsa_enable_private_segment 0
		.amdhsa_system_sgpr_workgroup_id_x 1
		.amdhsa_system_sgpr_workgroup_id_y 1
		.amdhsa_system_sgpr_workgroup_id_z 1
		.amdhsa_system_sgpr_workgroup_info 0
		.amdhsa_system_vgpr_workitem_id 0
		.amdhsa_next_free_vgpr 140
		.amdhsa_next_free_sgpr 36
		.amdhsa_reserve_vcc 1
		.amdhsa_float_round_mode_32 0
		.amdhsa_float_round_mode_16_64 0
		.amdhsa_float_denorm_mode_32 3
		.amdhsa_float_denorm_mode_16_64 3
		.amdhsa_dx10_clamp 1
		.amdhsa_ieee_mode 1
		.amdhsa_fp16_overflow 0
		.amdhsa_workgroup_processor_mode 1
		.amdhsa_memory_ordered 1
		.amdhsa_forward_progress 0
		.amdhsa_shared_vgpr_count 0
		.amdhsa_exception_fp_ieee_invalid_op 0
		.amdhsa_exception_fp_denorm_src 0
		.amdhsa_exception_fp_ieee_div_zero 0
		.amdhsa_exception_fp_ieee_overflow 0
		.amdhsa_exception_fp_ieee_underflow 0
		.amdhsa_exception_fp_ieee_inexact 0
		.amdhsa_exception_int_div_zero 0
	.end_amdhsa_kernel
	.section	.text._Z39paged_attention_ll4mi_QKV_mfma16_kernelI14__hip_bfloat16hLN4vllm18Fp8KVCacheDataTypeE1ES0_Li32ELi128ELi256ELb1ELi9EL8MFMAType1EEvPKT_PKT0_S9_ifPKiSB_SB_iPKfiiiPfSE_PS4_PT2_iSD_SD_,"axG",@progbits,_Z39paged_attention_ll4mi_QKV_mfma16_kernelI14__hip_bfloat16hLN4vllm18Fp8KVCacheDataTypeE1ES0_Li32ELi128ELi256ELb1ELi9EL8MFMAType1EEvPKT_PKT0_S9_ifPKiSB_SB_iPKfiiiPfSE_PS4_PT2_iSD_SD_,comdat
.Lfunc_end1634:
	.size	_Z39paged_attention_ll4mi_QKV_mfma16_kernelI14__hip_bfloat16hLN4vllm18Fp8KVCacheDataTypeE1ES0_Li32ELi128ELi256ELb1ELi9EL8MFMAType1EEvPKT_PKT0_S9_ifPKiSB_SB_iPKfiiiPfSE_PS4_PT2_iSD_SD_, .Lfunc_end1634-_Z39paged_attention_ll4mi_QKV_mfma16_kernelI14__hip_bfloat16hLN4vllm18Fp8KVCacheDataTypeE1ES0_Li32ELi128ELi256ELb1ELi9EL8MFMAType1EEvPKT_PKT0_S9_ifPKiSB_SB_iPKfiiiPfSE_PS4_PT2_iSD_SD_
                                        ; -- End function
	.section	.AMDGPU.csdata,"",@progbits
; Kernel info:
; codeLenInByte = 8984
; NumSgprs: 38
; NumVgprs: 140
; ScratchSize: 0
; MemoryBound: 0
; FloatMode: 240
; IeeeMode: 1
; LDSByteSize: 17472 bytes/workgroup (compile time only)
; SGPRBlocks: 4
; VGPRBlocks: 17
; NumSGPRsForWavesPerEU: 38
; NumVGPRsForWavesPerEU: 140
; Occupancy: 10
; WaveLimiterHint : 1
; COMPUTE_PGM_RSRC2:SCRATCH_EN: 0
; COMPUTE_PGM_RSRC2:USER_SGPR: 13
; COMPUTE_PGM_RSRC2:TRAP_HANDLER: 0
; COMPUTE_PGM_RSRC2:TGID_X_EN: 1
; COMPUTE_PGM_RSRC2:TGID_Y_EN: 1
; COMPUTE_PGM_RSRC2:TGID_Z_EN: 1
; COMPUTE_PGM_RSRC2:TIDIG_COMP_CNT: 0
	.section	.text._Z39paged_attention_ll4mi_QKV_mfma16_kernelI14__hip_bfloat16hLN4vllm18Fp8KVCacheDataTypeE1ES0_Li32ELi128ELi256ELb1ELi10EL8MFMAType1EEvPKT_PKT0_S9_ifPKiSB_SB_iPKfiiiPfSE_PS4_PT2_iSD_SD_,"axG",@progbits,_Z39paged_attention_ll4mi_QKV_mfma16_kernelI14__hip_bfloat16hLN4vllm18Fp8KVCacheDataTypeE1ES0_Li32ELi128ELi256ELb1ELi10EL8MFMAType1EEvPKT_PKT0_S9_ifPKiSB_SB_iPKfiiiPfSE_PS4_PT2_iSD_SD_,comdat
	.protected	_Z39paged_attention_ll4mi_QKV_mfma16_kernelI14__hip_bfloat16hLN4vllm18Fp8KVCacheDataTypeE1ES0_Li32ELi128ELi256ELb1ELi10EL8MFMAType1EEvPKT_PKT0_S9_ifPKiSB_SB_iPKfiiiPfSE_PS4_PT2_iSD_SD_ ; -- Begin function _Z39paged_attention_ll4mi_QKV_mfma16_kernelI14__hip_bfloat16hLN4vllm18Fp8KVCacheDataTypeE1ES0_Li32ELi128ELi256ELb1ELi10EL8MFMAType1EEvPKT_PKT0_S9_ifPKiSB_SB_iPKfiiiPfSE_PS4_PT2_iSD_SD_
	.globl	_Z39paged_attention_ll4mi_QKV_mfma16_kernelI14__hip_bfloat16hLN4vllm18Fp8KVCacheDataTypeE1ES0_Li32ELi128ELi256ELb1ELi10EL8MFMAType1EEvPKT_PKT0_S9_ifPKiSB_SB_iPKfiiiPfSE_PS4_PT2_iSD_SD_
	.p2align	8
	.type	_Z39paged_attention_ll4mi_QKV_mfma16_kernelI14__hip_bfloat16hLN4vllm18Fp8KVCacheDataTypeE1ES0_Li32ELi128ELi256ELb1ELi10EL8MFMAType1EEvPKT_PKT0_S9_ifPKiSB_SB_iPKfiiiPfSE_PS4_PT2_iSD_SD_,@function
_Z39paged_attention_ll4mi_QKV_mfma16_kernelI14__hip_bfloat16hLN4vllm18Fp8KVCacheDataTypeE1ES0_Li32ELi128ELi256ELb1ELi10EL8MFMAType1EEvPKT_PKT0_S9_ifPKiSB_SB_iPKfiiiPfSE_PS4_PT2_iSD_SD_: ; @_Z39paged_attention_ll4mi_QKV_mfma16_kernelI14__hip_bfloat16hLN4vllm18Fp8KVCacheDataTypeE1ES0_Li32ELi128ELi256ELb1ELi10EL8MFMAType1EEvPKT_PKT0_S9_ifPKiSB_SB_iPKfiiiPfSE_PS4_PT2_iSD_SD_
; %bb.0:
	s_load_b64 s[4:5], s[0:1], 0x30
	s_mov_b32 s30, s13
	s_waitcnt lgkmcnt(0)
	s_cmp_lg_u64 s[4:5], 0
	s_cselect_b32 s13, -1, 0
	s_ashr_i32 s31, s30, 31
	s_cmp_eq_u64 s[4:5], 0
	s_cbranch_scc1 .LBB1635_3
; %bb.1:
	s_lshl_b64 s[2:3], s[30:31], 2
	s_delay_alu instid0(SALU_CYCLE_1) | instskip(SKIP_4) | instid1(SALU_CYCLE_1)
	s_add_u32 s2, s4, s2
	s_addc_u32 s3, s5, s3
	s_load_b64 s[2:3], s[2:3], 0x0
	s_waitcnt lgkmcnt(0)
	s_sub_i32 s2, s3, s2
	s_cmp_eq_u32 s2, 1
	s_cselect_b32 s2, -1, 0
	s_delay_alu instid0(SALU_CYCLE_1)
	s_and_not1_b32 vcc_lo, exec_lo, s2
	s_cbranch_vccz .LBB1635_4
.LBB1635_2:
	s_endpgm
.LBB1635_3:
.LBB1635_4:
	s_load_b64 s[2:3], s[0:1], 0x28
	s_lshl_b64 s[6:7], s[30:31], 2
	s_waitcnt lgkmcnt(0)
	s_add_u32 s2, s2, s6
	s_addc_u32 s3, s3, s7
	s_lshl_b32 s12, s14, 8
	s_load_b32 s17, s[2:3], 0x0
	s_waitcnt lgkmcnt(0)
	s_cmp_ge_i32 s12, s17
	s_cbranch_scc1 .LBB1635_2
; %bb.5:
	s_clause 0x1
	s_load_b128 s[8:11], s[0:1], 0x8
	s_load_b64 s[2:3], s[0:1], 0x20
	s_and_not1_b32 vcc_lo, exec_lo, s13
	s_cbranch_vccnz .LBB1635_7
; %bb.6:
	s_add_u32 s4, s4, s6
	s_addc_u32 s5, s5, s7
	s_load_b32 s13, s[4:5], 0x0
	s_branch .LBB1635_8
.LBB1635_7:
	s_mov_b32 s13, s30
.LBB1635_8:
	s_load_b128 s[4:7], s[0:1], 0x48
	v_and_b32_e32 v65, 15, v0
	v_lshrrev_b32_e32 v66, 5, v0
	v_and_b32_e32 v67, 31, v0
	v_and_b32_e32 v75, 1, v0
	v_bfe_u32 v74, v0, 4, 1
	v_lshlrev_b32_e32 v1, 3, v65
	s_mul_i32 s29, s15, 10
	s_waitcnt lgkmcnt(0)
	s_mov_b32 s7, exec_lo
	s_delay_alu instid0(VALU_DEP_1)
	v_lshlrev_b32_e32 v73, 1, v1
	v_cmpx_gt_u32_e32 0xa0, v0
	s_cbranch_execz .LBB1635_10
; %bb.9:
	s_load_b64 s[18:19], s[0:1], 0x0
	v_lshl_or_b32 v5, v66, 1, v74
	s_mul_hi_i32 s21, s13, s4
	s_mul_i32 s20, s13, s4
	v_lshlrev_b32_e32 v6, 10, v65
	s_lshl_b64 s[20:21], s[20:21], 1
	v_add_lshl_u32 v1, v5, s29, 7
	v_lshlrev_b32_e32 v5, 6, v5
	v_lshlrev_b32_e32 v7, 10, v75
	v_and_b32_e32 v6, 0x3800, v6
	s_delay_alu instid0(VALU_DEP_4) | instskip(NEXT) | instid1(VALU_DEP_2)
	v_ashrrev_i32_e32 v2, 31, v1
	v_or3_b32 v5, v6, v7, v5
	s_delay_alu instid0(VALU_DEP_2) | instskip(SKIP_3) | instid1(VALU_DEP_1)
	v_lshlrev_b64 v[1:2], 1, v[1:2]
	s_waitcnt lgkmcnt(0)
	s_add_u32 s4, s18, s20
	s_addc_u32 s13, s19, s21
	v_add_co_u32 v1, vcc_lo, s4, v1
	s_delay_alu instid0(VALU_DEP_2) | instskip(NEXT) | instid1(VALU_DEP_2)
	v_add_co_ci_u32_e32 v2, vcc_lo, s13, v2, vcc_lo
	v_add_co_u32 v1, vcc_lo, v1, v73
	s_delay_alu instid0(VALU_DEP_2)
	v_add_co_ci_u32_e32 v2, vcc_lo, 0, v2, vcc_lo
	global_load_b128 v[1:4], v[1:2], off
	s_waitcnt vmcnt(0)
	ds_store_b128 v5, v[1:4]
.LBB1635_10:
	s_or_b32 exec_lo, exec_lo, s7
	v_and_b32_e32 v1, 0xef, v0
	s_add_i32 s4, s17, 31
	s_clause 0x1
	s_load_b32 s7, s[0:1], 0x38
	s_load_b32 s18, s[0:1], 0x1c
	s_ashr_i32 s13, s4, 31
	v_add_nc_u32_e32 v1, s12, v1
	s_lshr_b32 s13, s13, 27
	s_waitcnt lgkmcnt(0)
	s_add_i32 s4, s4, s13
	s_barrier
	v_ashrrev_i32_e32 v2, 31, v1
	v_or_b32_e32 v3, 16, v1
	s_ashr_i32 s4, s4, 5
	v_cmp_gt_i32_e32 vcc_lo, s17, v1
	s_add_i32 s4, s4, -1
	v_lshrrev_b32_e32 v2, 27, v2
	buffer_gl0_inv
	s_mul_i32 s15, s15, s6
	v_add_nc_u32_e32 v4, v1, v2
	s_mul_i32 s20, s30, s7
	s_delay_alu instid0(SALU_CYCLE_1) | instskip(NEXT) | instid1(VALU_DEP_1)
	s_ashr_i32 s21, s20, 31
	v_ashrrev_i32_e32 v4, 5, v4
	v_add_nc_u32_e32 v2, v3, v2
	s_lshl_b64 s[20:21], s[20:21], 2
	s_delay_alu instid0(SALU_CYCLE_1) | instskip(NEXT) | instid1(VALU_DEP_2)
	s_add_u32 s13, s2, s20
	v_cndmask_b32_e32 v1, s4, v4, vcc_lo
	s_delay_alu instid0(VALU_DEP_2)
	v_ashrrev_i32_e32 v2, 5, v2
	v_cmp_gt_i32_e32 vcc_lo, s17, v3
	s_addc_u32 s16, s3, s21
	s_ashr_i32 s19, s15, 31
	s_add_u32 s2, s8, s15
	s_addc_u32 s3, s9, s19
	v_cndmask_b32_e32 v3, s4, v2, vcc_lo
	v_ashrrev_i32_e32 v2, 31, v1
	s_lshl_b32 s6, s14, 3
	s_delay_alu instid0(SALU_CYCLE_1) | instskip(NEXT) | instid1(VALU_DEP_2)
	s_ashr_i32 s7, s6, 31
	v_ashrrev_i32_e32 v4, 31, v3
	s_delay_alu instid0(VALU_DEP_2) | instskip(SKIP_1) | instid1(SALU_CYCLE_1)
	v_lshlrev_b64 v[1:2], 2, v[1:2]
	s_lshl_b64 s[6:7], s[6:7], 2
	s_add_u32 s6, s13, s6
	s_delay_alu instid0(VALU_DEP_2) | instskip(SKIP_1) | instid1(VALU_DEP_2)
	v_lshlrev_b64 v[3:4], 2, v[3:4]
	s_addc_u32 s7, s16, s7
	v_add_co_u32 v1, vcc_lo, s13, v1
	v_add_co_ci_u32_e32 v2, vcc_lo, s16, v2, vcc_lo
	s_delay_alu instid0(VALU_DEP_3) | instskip(NEXT) | instid1(VALU_DEP_4)
	v_add_co_u32 v3, vcc_lo, s13, v3
	v_add_co_ci_u32_e32 v4, vcc_lo, s16, v4, vcc_lo
	s_clause 0x1
	global_load_b32 v5, v[1:2], off
	global_load_b32 v6, v[3:4], off
	s_or_b32 s8, s12, 32
	s_delay_alu instid0(SALU_CYCLE_1) | instskip(SKIP_2) | instid1(SALU_CYCLE_1)
	s_ashr_i32 s9, s8, 5
	s_cmp_lt_i32 s8, s17
	s_cselect_b32 s8, s9, s4
	s_ashr_i32 s9, s8, 31
	s_delay_alu instid0(SALU_CYCLE_1) | instskip(NEXT) | instid1(SALU_CYCLE_1)
	s_lshl_b64 s[8:9], s[8:9], 2
	s_add_u32 s8, s13, s8
	s_addc_u32 s9, s16, s9
	s_or_b32 s20, s12, 64
	s_delay_alu instid0(SALU_CYCLE_1) | instskip(SKIP_2) | instid1(SALU_CYCLE_1)
	s_ashr_i32 s21, s20, 5
	s_cmp_lt_i32 s20, s17
	s_cselect_b32 s20, s21, s4
	s_ashr_i32 s21, s20, 31
	s_delay_alu instid0(SALU_CYCLE_1) | instskip(NEXT) | instid1(SALU_CYCLE_1)
	s_lshl_b64 s[20:21], s[20:21], 2
	s_add_u32 s20, s13, s20
	s_addc_u32 s21, s16, s21
	;; [unrolled: 10-line block ×5, first 2 shown]
	s_clause 0x5
	s_load_b32 s28, s[6:7], 0x0
	s_load_b32 s8, s[8:9], 0x0
	;; [unrolled: 1-line block ×6, first 2 shown]
	s_mov_b32 s20, 0
	s_delay_alu instid0(SALU_CYCLE_1)
	s_mov_b32 s21, s20
	s_mov_b32 s22, s20
	;; [unrolled: 1-line block ×7, first 2 shown]
	s_delay_alu instid0(SALU_CYCLE_1)
	v_dual_mov_b32 v107, s27 :: v_dual_mov_b32 v106, s26
	v_dual_mov_b32 v104, s24 :: v_dual_mov_b32 v103, s23
	;; [unrolled: 1-line block ×3, first 2 shown]
	v_mov_b32_e32 v100, s20
	s_waitcnt vmcnt(1)
	v_mad_i64_i32 v[1:2], null, v5, s5, s[2:3]
	v_lshlrev_b32_e32 v5, 4, v65
	s_waitcnt vmcnt(0)
	v_mad_i64_i32 v[3:4], null, v6, s5, s[2:3]
	s_or_b32 s2, s12, 0xc0
	s_delay_alu instid0(SALU_CYCLE_1) | instskip(NEXT) | instid1(VALU_DEP_3)
	s_ashr_i32 s3, s2, 5
	v_add_co_u32 v33, vcc_lo, v1, v5
	s_delay_alu instid0(VALU_DEP_4) | instskip(NEXT) | instid1(VALU_DEP_3)
	v_add_co_ci_u32_e32 v34, vcc_lo, 0, v2, vcc_lo
	v_add_co_u32 v35, vcc_lo, v3, v5
	s_delay_alu instid0(VALU_DEP_4)
	v_add_co_ci_u32_e32 v36, vcc_lo, 0, v4, vcc_lo
	s_clause 0xf
	global_load_b128 v[1:4], v[33:34], off
	global_load_b128 v[5:8], v[33:34], off offset:512
	global_load_b128 v[9:12], v[35:36], off offset:256
	global_load_b128 v[13:16], v[35:36], off offset:768
	global_load_b128 v[17:20], v[33:34], off offset:1024
	global_load_b128 v[21:24], v[33:34], off offset:1536
	global_load_b128 v[25:28], v[35:36], off offset:1280
	global_load_b128 v[29:32], v[35:36], off offset:1792
	global_load_b128 v[57:60], v[33:34], off offset:2048
	global_load_b128 v[61:64], v[33:34], off offset:2560
	global_load_b128 v[76:79], v[35:36], off offset:2304
	global_load_b128 v[80:83], v[35:36], off offset:2816
	global_load_b128 v[84:87], v[33:34], off offset:3072
	global_load_b128 v[88:91], v[33:34], off offset:3584
	global_load_b128 v[92:95], v[35:36], off offset:3328
	global_load_b128 v[96:99], v[35:36], off offset:3840
	s_cmp_lt_i32 s2, s17
	v_add_nc_u32_e32 v33, -10, v65
	s_cselect_b32 s2, s3, s4
	v_cmp_gt_u32_e32 vcc_lo, 10, v65
	s_ashr_i32 s3, s2, 31
	v_lshlrev_b32_e32 v34, 5, v65
	s_lshl_b64 s[2:3], s[2:3], 2
	s_delay_alu instid0(SALU_CYCLE_1)
	s_add_u32 s2, s13, s2
	s_addc_u32 s3, s16, s3
	s_or_b32 s6, s12, 0xe0
	v_cndmask_b32_e32 v33, v33, v65, vcc_lo
	s_ashr_i32 s7, s6, 5
	s_cmp_lt_i32 s6, s17
	v_mov_b32_e32 v105, s25
	s_cselect_b32 s6, s7, s4
	v_lshlrev_b32_e32 v72, 6, v33
	s_ashr_i32 s7, s6, 31
	v_lshl_or_b32 v41, v66, 9, v34
	s_lshl_b64 s[6:7], s[6:7], 2
	ds_load_b128 v[33:36], v72
	ds_load_b128 v[37:40], v72 offset:1024
	ds_load_b128 v[108:111], v72 offset:2048
	;; [unrolled: 1-line block ×3, first 2 shown]
	s_load_b32 s4, s[2:3], 0x0
	s_add_u32 s2, s13, s6
	s_addc_u32 s3, s16, s7
	ds_load_b128 v[116:119], v72 offset:4096
	ds_load_b128 v[120:123], v72 offset:5120
	s_load_b32 s2, s[2:3], 0x0
	s_add_u32 s6, s10, s15
	s_addc_u32 s7, s11, s19
	v_add_co_u32 v68, s6, s6, v41
	s_delay_alu instid0(VALU_DEP_1) | instskip(SKIP_1) | instid1(VALU_DEP_1)
	v_add_co_ci_u32_e64 v69, null, s7, 0, s6
	s_waitcnt lgkmcnt(0)
	v_mad_i64_i32 v[41:42], null, s28, s5, v[68:69]
	v_mad_i64_i32 v[70:71], null, s9, s5, v[68:69]
	;; [unrolled: 1-line block ×7, first 2 shown]
	s_clause 0x3
	global_load_b128 v[49:52], v[41:42], off
	global_load_b128 v[53:56], v[41:42], off offset:16
	global_load_b128 v[41:44], v[45:46], off
	global_load_b128 v[45:48], v[45:46], off offset:16
	s_waitcnt vmcnt(18)
	v_wmma_f32_16x16x16_bf16 v[124:131], v[1:8], v[33:40], v[100:107]
	s_waitcnt vmcnt(16)
	v_wmma_f32_16x16x16_bf16 v[100:107], v[9:16], v[33:40], v[100:107]
	s_clause 0x1
	global_load_b128 v[33:36], v[70:71], off
	global_load_b128 v[37:40], v[70:71], off offset:16
	v_mad_i64_i32 v[70:71], null, s2, s5, v[68:69]
	s_waitcnt vmcnt(16)
	v_wmma_f32_16x16x16_bf16 v[124:131], v[17:24], v[108:115], v[124:131]
	s_waitcnt vmcnt(14)
	v_wmma_f32_16x16x16_bf16 v[100:107], v[25:32], v[108:115], v[100:107]
	s_clause 0x7
	global_load_b128 v[25:28], v[132:133], off
	global_load_b128 v[29:32], v[132:133], off offset:16
	global_load_b128 v[1:4], v[134:135], off
	global_load_b128 v[5:8], v[134:135], off offset:16
	;; [unrolled: 2-line block ×4, first 2 shown]
	s_waitcnt vmcnt(20)
	v_wmma_f32_16x16x16_bf16 v[124:131], v[57:64], v[116:123], v[124:131]
	s_clause 0x1
	global_load_b128 v[57:60], v[70:71], off
	global_load_b128 v[61:64], v[70:71], off offset:16
	s_waitcnt vmcnt(20)
	v_wmma_f32_16x16x16_bf16 v[100:107], v[76:83], v[116:123], v[100:107]
	ds_load_b128 v[76:79], v72 offset:6144
	ds_load_b128 v[80:83], v72 offset:7168
	v_and_b32_e32 v68, 0xe0, v0
	v_mbcnt_lo_u32_b32 v69, -1, 0
	s_waitcnt vmcnt(0) lgkmcnt(0)
	s_barrier
	buffer_gl0_inv
	v_add_nc_u32_e32 v68, s12, v68
	v_xor_b32_e32 v70, 16, v69
	s_delay_alu instid0(VALU_DEP_2) | instskip(NEXT) | instid1(VALU_DEP_2)
	v_or_b32_e32 v68, v68, v74
	v_cmp_gt_i32_e32 vcc_lo, 32, v70
	s_delay_alu instid0(VALU_DEP_2)
	v_or_b32_e32 v71, 4, v68
	v_or_b32_e32 v72, 6, v68
	v_cmp_gt_i32_e64 s2, s17, v68
	v_or_b32_e32 v108, 8, v68
	v_wmma_f32_16x16x16_bf16 v[124:131], v[84:91], v[76:83], v[124:131]
	v_cndmask_b32_e32 v69, v69, v70, vcc_lo
	v_or_b32_e32 v70, 2, v68
	v_wmma_f32_16x16x16_bf16 v[100:107], v[92:99], v[76:83], v[100:107]
	v_or_b32_e32 v109, 10, v68
	v_dual_mul_f32 v80, s18, v129 :: v_dual_mul_f32 v81, s18, v128
	v_dual_mul_f32 v92, s18, v125 :: v_dual_mul_f32 v93, s18, v124
	s_delay_alu instid0(VALU_DEP_4)
	v_mul_f32_e32 v96, s18, v105
	v_cmp_gt_i32_e32 vcc_lo, s17, v70
	v_or_b32_e32 v89, 22, v68
	v_dual_mul_f32 v79, s18, v130 :: v_dual_mul_f32 v82, s18, v127
	v_dual_mul_f32 v83, s18, v126 :: v_dual_mul_f32 v94, s18, v107
	v_cndmask_b32_e64 v93, 0xff7fffff, v93, s2
	v_cndmask_b32_e32 v92, 0xff7fffff, v92, vcc_lo
	v_cmp_gt_i32_e64 s3, s17, v71
	v_cmp_gt_i32_e64 s4, s17, v72
	v_or_b32_e32 v84, 12, v68
	v_or_b32_e32 v85, 14, v68
	v_cmp_gt_i32_e64 s5, s17, v108
	v_cndmask_b32_e64 v71, 0xff7fffff, v83, s3
	v_cndmask_b32_e64 v72, 0xff7fffff, v82, s4
	v_cmp_gt_i32_e64 s6, s17, v109
	v_cmp_gt_i32_e64 s12, s17, v89
	v_lshlrev_b32_e32 v89, 2, v69
	v_max3_f32 v82, v93, 0xff7fffff, v92
	v_or_b32_e32 v86, 16, v68
	v_or_b32_e32 v87, 18, v68
	v_mul_f32_e32 v78, s18, v131
	v_cndmask_b32_e64 v81, 0xff7fffff, v81, s5
	v_cndmask_b32_e64 v80, 0xff7fffff, v80, s6
	v_max3_f32 v71, v82, v71, v72
	v_cmp_gt_i32_e64 s7, s17, v84
	v_cmp_gt_i32_e64 s8, s17, v85
	v_or_b32_e32 v88, 20, v68
	v_or_b32_e32 v90, 24, v68
	;; [unrolled: 1-line block ×5, first 2 shown]
	v_dual_mul_f32 v97, s18, v104 :: v_dual_mul_f32 v70, s18, v101
	v_dual_mul_f32 v99, s18, v102 :: v_dual_mul_f32 v68, s18, v100
	v_cndmask_b32_e64 v72, 0xff7fffff, v79, s7
	v_cndmask_b32_e64 v78, 0xff7fffff, v78, s8
	v_max3_f32 v71, v71, v81, v80
	v_cmp_gt_i32_e64 s9, s17, v86
	v_cmp_gt_i32_e64 s10, s17, v87
	v_dual_mul_f32 v95, s18, v106 :: v_dual_mul_f32 v98, s18, v103
	s_delay_alu instid0(VALU_DEP_4) | instskip(NEXT) | instid1(VALU_DEP_4)
	v_max3_f32 v71, v71, v72, v78
	v_cndmask_b32_e64 v68, 0xff7fffff, v68, s9
	s_delay_alu instid0(VALU_DEP_4)
	v_cndmask_b32_e64 v70, 0xff7fffff, v70, s10
	v_cmp_gt_i32_e64 s11, s17, v88
	v_cndmask_b32_e64 v78, 0xff7fffff, v98, s12
	v_cmp_gt_i32_e64 s13, s17, v90
	v_cmp_gt_i32_e64 s15, s17, v91
	v_max3_f32 v68, v71, v68, v70
	v_cndmask_b32_e64 v72, 0xff7fffff, v99, s11
	v_cmp_gt_i32_e64 s16, s17, v76
	v_cndmask_b32_e64 v70, 0xff7fffff, v97, s13
	v_cndmask_b32_e64 v71, 0xff7fffff, v96, s15
	v_cmp_gt_i32_e64 s17, s17, v77
	v_max3_f32 v68, v68, v72, v78
	v_cndmask_b32_e64 v72, 0xff7fffff, v95, s16
	s_delay_alu instid0(VALU_DEP_3) | instskip(NEXT) | instid1(VALU_DEP_3)
	v_cndmask_b32_e64 v76, 0xff7fffff, v94, s17
	v_max3_f32 v68, v68, v70, v71
	s_delay_alu instid0(VALU_DEP_1) | instskip(SKIP_3) | instid1(VALU_DEP_1)
	v_max3_f32 v68, v68, v72, v76
	ds_bpermute_b32 v69, v89, v68
	s_waitcnt lgkmcnt(0)
	v_max_f32_e32 v69, v69, v69
	v_max_f32_e32 v68, v68, v69
	s_delay_alu instid0(VALU_DEP_1) | instskip(NEXT) | instid1(VALU_DEP_1)
	v_fma_f32 v71, s18, v126, -v68
	v_mul_f32_e32 v71, 0x3fb8aa3b, v71
	v_fma_f32 v70, s18, v125, -v68
	v_fma_f32 v69, s18, v124, -v68
	;; [unrolled: 1-line block ×5, first 2 shown]
	s_delay_alu instid0(VALU_DEP_4) | instskip(SKIP_1) | instid1(VALU_DEP_3)
	v_dual_mul_f32 v70, 0x3fb8aa3b, v70 :: v_dual_mul_f32 v69, 0x3fb8aa3b, v69
	v_exp_f32_e32 v71, v71
	v_mul_f32_e32 v72, 0x3fb8aa3b, v72
	v_fma_f32 v81, s18, v105, -v68
	s_delay_alu instid0(VALU_DEP_3)
	v_exp_f32_e32 v70, v70
	v_mul_f32_e32 v77, 0x3fb8aa3b, v76
	v_exp_f32_e32 v69, v69
	v_exp_f32_e32 v72, v72
	v_mul_f32_e32 v81, 0x3fb8aa3b, v81
	v_cndmask_b32_e64 v83, 0, v71, s3
	v_fma_f32 v71, s18, v131, -v68
	s_delay_alu instid0(VALU_DEP_3) | instskip(SKIP_4) | instid1(TRANS32_DEP_3)
	v_exp_f32_e32 v81, v81
	v_cndmask_b32_e32 v76, 0, v70, vcc_lo
	v_exp_f32_e32 v77, v77
	v_cndmask_b32_e64 v80, 0, v69, s2
	v_fma_f32 v69, s18, v129, -v68
	v_cndmask_b32_e64 v85, 0, v72, s4
	v_mul_f32_e32 v71, 0x3fb8aa3b, v71
	v_fma_f32 v72, s18, v100, -v68
	s_delay_alu instid0(VALU_DEP_4) | instskip(SKIP_1) | instid1(VALU_DEP_3)
	v_dual_add_f32 v70, 0, v80 :: v_dual_mul_f32 v69, 0x3fb8aa3b, v69
	s_mov_b32 s2, exec_lo
	v_exp_f32_e32 v71, v71
	s_delay_alu instid0(TRANS32_DEP_2) | instskip(SKIP_4) | instid1(VALU_DEP_3)
	v_cndmask_b32_e64 v86, 0, v77, s5
	v_fma_f32 v77, s18, v101, -v68
	v_mul_f32_e32 v78, 0x3fb8aa3b, v78
	v_add_f32_e32 v70, v70, v76
	v_exp_f32_e32 v69, v69
	v_mul_f32_e32 v77, 0x3fb8aa3b, v77
	s_delay_alu instid0(VALU_DEP_3) | instskip(NEXT) | instid1(TRANS32_DEP_3)
	v_exp_f32_e32 v78, v78
	v_cndmask_b32_e64 v88, 0, v71, s8
	v_fma_f32 v71, s18, v104, -v68
	s_delay_alu instid0(VALU_DEP_3) | instskip(NEXT) | instid1(TRANS32_DEP_3)
	v_exp_f32_e32 v77, v77
	v_cndmask_b32_e64 v87, 0, v69, s6
	s_delay_alu instid0(VALU_DEP_2)
	v_mul_f32_e32 v71, 0x3fb8aa3b, v71
	s_waitcnt_depctr 0xfff
	v_cndmask_b32_e64 v84, 0, v78, s7
	v_add_f32_e32 v70, v70, v83
	v_fma_f32 v78, s18, v103, -v68
	v_exp_f32_e32 v82, v71
	s_delay_alu instid0(VALU_DEP_2) | instskip(SKIP_1) | instid1(VALU_DEP_3)
	v_add_f32_e32 v70, v70, v85
	v_mul_f32_e32 v72, 0x3fb8aa3b, v72
	v_mul_f32_e32 v78, 0x3fb8aa3b, v78
	s_delay_alu instid0(VALU_DEP_3) | instskip(SKIP_1) | instid1(VALU_DEP_4)
	v_add_f32_e32 v69, v70, v86
	v_fma_f32 v70, s18, v102, -v68
	v_exp_f32_e32 v72, v72
	s_delay_alu instid0(VALU_DEP_3) | instskip(NEXT) | instid1(VALU_DEP_1)
	v_exp_f32_e32 v78, v78
	v_dual_add_f32 v69, v69, v87 :: v_dual_mul_f32 v70, 0x3fb8aa3b, v70
	s_delay_alu instid0(VALU_DEP_1) | instskip(NEXT) | instid1(VALU_DEP_2)
	v_add_f32_e32 v69, v69, v84
	v_exp_f32_e32 v79, v70
	s_delay_alu instid0(TRANS32_DEP_3) | instskip(NEXT) | instid1(VALU_DEP_2)
	v_cndmask_b32_e64 v70, 0, v72, s9
	v_add_f32_e32 v72, v69, v88
	v_cndmask_b32_e64 v69, 0, v77, s10
	v_fma_f32 v77, s18, v106, -v68
	s_waitcnt_depctr 0xfff
	v_cndmask_b32_e64 v71, 0, v79, s11
	v_dual_mul_f32 v77, 0x3fb8aa3b, v77 :: v_dual_add_f32 v72, v72, v70
	s_delay_alu instid0(VALU_DEP_1) | instskip(NEXT) | instid1(VALU_DEP_1)
	v_exp_f32_e32 v90, v77
	v_add_f32_e32 v79, v72, v69
	v_cndmask_b32_e64 v72, 0, v78, s12
	v_cndmask_b32_e64 v77, 0, v82, s13
	s_delay_alu instid0(VALU_DEP_3) | instskip(SKIP_1) | instid1(VALU_DEP_1)
	v_add_f32_e32 v78, v79, v71
	v_fma_f32 v79, s18, v107, -v68
	v_dual_add_f32 v82, v78, v72 :: v_dual_mul_f32 v79, 0x3fb8aa3b, v79
	v_cndmask_b32_e64 v78, 0, v81, s15
	s_delay_alu instid0(VALU_DEP_2) | instskip(NEXT) | instid1(VALU_DEP_3)
	v_add_f32_e32 v81, v82, v77
	v_exp_f32_e32 v82, v79
	v_cndmask_b32_e64 v79, 0, v90, s16
	s_delay_alu instid0(VALU_DEP_2) | instskip(NEXT) | instid1(VALU_DEP_1)
	v_add_f32_e32 v81, v81, v78
	v_add_f32_e32 v90, v81, v79
	s_waitcnt_depctr 0xfff
	v_cndmask_b32_e64 v81, 0, v82, s17
	s_delay_alu instid0(VALU_DEP_1)
	v_add_f32_e32 v82, v90, v81
	ds_bpermute_b32 v89, v89, v82
	v_cmpx_gt_u32_e32 16, v67
	s_cbranch_execz .LBB1635_12
; %bb.11:
	v_mul_u32_u24_e32 v67, 0x44, v66
	s_delay_alu instid0(VALU_DEP_1) | instskip(SKIP_1) | instid1(VALU_DEP_1)
	v_lshl_add_u32 v67, v65, 2, v67
	s_waitcnt lgkmcnt(0)
	v_dual_add_f32 v82, v82, v89 :: v_dual_add_nc_u32 v67, 0x4000, v67
	ds_store_2addr_b32 v67, v68, v82 offset1:136
.LBB1635_12:
	s_or_b32 exec_lo, exec_lo, s2
	v_lshlrev_b32_e32 v67, 2, v65
	s_waitcnt lgkmcnt(0)
	s_barrier
	buffer_gl0_inv
	v_cmp_eq_u32_e32 vcc_lo, 1, v66
	v_add_nc_u32_e32 v82, 0x4000, v67
	v_cmp_eq_u32_e64 s2, 2, v66
	v_cmp_eq_u32_e64 s4, 7, v66
	ds_load_2addr_b32 v[89:90], v82 offset1:17
	ds_load_2addr_b32 v[91:92], v82 offset0:34 offset1:51
	ds_load_2addr_b32 v[93:94], v82 offset0:68 offset1:85
	;; [unrolled: 1-line block ×4, first 2 shown]
	s_waitcnt lgkmcnt(4)
	v_max3_f32 v67, v89, 0xff7fffff, v90
	s_waitcnt lgkmcnt(3)
	s_delay_alu instid0(VALU_DEP_1) | instskip(SKIP_1) | instid1(VALU_DEP_1)
	v_max3_f32 v67, v67, v91, v92
	s_waitcnt lgkmcnt(2)
	v_max3_f32 v67, v67, v93, v94
	s_waitcnt lgkmcnt(1)
	s_delay_alu instid0(VALU_DEP_1) | instskip(NEXT) | instid1(VALU_DEP_1)
	v_max3_f32 v67, v67, v95, v96
	v_sub_f32_e32 v93, v93, v67
	s_delay_alu instid0(VALU_DEP_1) | instskip(NEXT) | instid1(VALU_DEP_1)
	v_dual_sub_f32 v68, v89, v67 :: v_dual_mul_f32 v103, 0x3fb8aa3b, v93
	v_mul_f32_e32 v68, 0x3fb8aa3b, v68
	s_delay_alu instid0(VALU_DEP_1)
	v_exp_f32_e32 v100, v68
	v_sub_f32_e32 v68, v92, v67
	v_sub_f32_e32 v99, v90, v67
	ds_load_2addr_b32 v[89:90], v82 offset0:170 offset1:187
	v_dual_mul_f32 v102, 0x3fb8aa3b, v68 :: v_dual_mul_f32 v99, 0x3fb8aa3b, v99
	s_waitcnt lgkmcnt(1)
	v_fma_f32 v68, v100, v97, 0
	s_delay_alu instid0(VALU_DEP_2) | instskip(NEXT) | instid1(VALU_DEP_2)
	v_exp_f32_e32 v102, v102
	v_exp_f32_e32 v99, v99
	s_waitcnt_depctr 0xfff
	v_fmac_f32_e32 v68, v99, v98
	v_sub_f32_e32 v91, v91, v67
	s_delay_alu instid0(VALU_DEP_1)
	v_mul_f32_e32 v101, 0x3fb8aa3b, v91
	ds_load_2addr_b32 v[91:92], v82 offset0:204 offset1:221
	v_sub_f32_e32 v97, v94, v67
	ds_load_2addr_b32 v[93:94], v82 offset0:238 offset1:255
	s_waitcnt lgkmcnt(0)
	v_exp_f32_e32 v101, v101
	s_barrier
	buffer_gl0_inv
	v_dual_fmac_f32 v68, v101, v89 :: v_dual_sub_f32 v89, v96, v67
	v_dual_sub_f32 v82, v95, v67 :: v_dual_mul_f32 v95, 0x3fb8aa3b, v97
	v_exp_f32_e32 v97, v103
	s_delay_alu instid0(VALU_DEP_2) | instskip(NEXT) | instid1(VALU_DEP_2)
	v_dual_fmac_f32 v68, v102, v90 :: v_dual_mul_f32 v89, 0x3fb8aa3b, v89
	v_mul_f32_e32 v82, 0x3fb8aa3b, v82
	s_delay_alu instid0(VALU_DEP_3) | instskip(NEXT) | instid1(VALU_DEP_2)
	v_exp_f32_e32 v95, v95
	v_exp_f32_e32 v89, v89
	s_delay_alu instid0(VALU_DEP_1)
	v_exp_f32_e32 v82, v82
	v_fmac_f32_e32 v68, v97, v91
	s_delay_alu instid0(TRANS32_DEP_3) | instid1(VALU_DEP_1)
	v_fmac_f32_e32 v68, v95, v92
	s_waitcnt_depctr 0xfff
	v_fmac_f32_e32 v68, v82, v93
	s_delay_alu instid0(VALU_DEP_1) | instskip(NEXT) | instid1(VALU_DEP_1)
	v_fmac_f32_e32 v68, v89, v94
	v_add_f32_e32 v90, 0x358637bd, v68
	s_delay_alu instid0(VALU_DEP_1) | instskip(NEXT) | instid1(VALU_DEP_1)
	v_div_scale_f32 v91, null, v90, v90, 1.0
	v_rcp_f32_e32 v92, v91
	s_waitcnt_depctr 0xfff
	v_fma_f32 v93, -v91, v92, 1.0
	s_delay_alu instid0(VALU_DEP_1) | instskip(SKIP_1) | instid1(VALU_DEP_2)
	v_dual_fmac_f32 v92, v93, v92 :: v_dual_cndmask_b32 v93, v100, v99
	v_cmp_eq_u32_e32 vcc_lo, 3, v66
	v_cndmask_b32_e64 v93, v93, v101, s2
	v_cmp_eq_u32_e64 s2, 4, v66
	s_delay_alu instid0(VALU_DEP_2) | instskip(SKIP_1) | instid1(VALU_DEP_2)
	v_cndmask_b32_e32 v93, v93, v102, vcc_lo
	v_cmp_eq_u32_e32 vcc_lo, 5, v66
	v_cndmask_b32_e64 v93, v93, v97, s2
	v_cmp_eq_u32_e64 s2, 6, v66
	s_delay_alu instid0(VALU_DEP_2) | instskip(SKIP_1) | instid1(VALU_DEP_1)
	v_cndmask_b32_e32 v93, v93, v95, vcc_lo
	v_div_scale_f32 v94, s3, 1.0, v90, 1.0
	s_mov_b32 vcc_lo, s3
	s_delay_alu instid0(VALU_DEP_2) | instskip(NEXT) | instid1(VALU_DEP_2)
	v_cndmask_b32_e64 v82, v93, v82, s2
	v_mul_f32_e32 v96, v94, v92
	s_mov_b32 s2, exec_lo
	s_delay_alu instid0(VALU_DEP_2) | instskip(NEXT) | instid1(VALU_DEP_2)
	v_cndmask_b32_e64 v82, v82, v89, s4
	v_fma_f32 v98, -v91, v96, v94
	s_delay_alu instid0(VALU_DEP_1) | instskip(NEXT) | instid1(VALU_DEP_1)
	v_fmac_f32_e32 v96, v98, v92
	v_fma_f32 v91, -v91, v96, v94
	s_delay_alu instid0(VALU_DEP_1) | instskip(NEXT) | instid1(VALU_DEP_1)
	v_div_fmas_f32 v91, v91, v92, v96
	v_div_fixup_f32 v90, v91, v90, 1.0
	s_delay_alu instid0(VALU_DEP_1) | instskip(NEXT) | instid1(VALU_DEP_1)
	v_mul_f32_e32 v82, v82, v90
	v_mul_f32_e32 v87, v82, v87
	;; [unrolled: 1-line block ×7, first 2 shown]
	v_dual_mul_f32 v86, v82, v83 :: v_dual_and_b32 v91, 0x7f800000, v90
	v_mul_f32_e32 v85, v82, v76
                                        ; implicit-def: $vgpr76
	s_delay_alu instid0(VALU_DEP_2)
	v_cmpx_ne_u32_e32 0x7f800000, v91
	s_xor_b32 s2, exec_lo, s2
; %bb.13:
	v_bfe_u32 v76, v90, 16, 1
	s_delay_alu instid0(VALU_DEP_1)
	v_add3_u32 v76, v90, v76, 0x7fff
                                        ; implicit-def: $vgpr90
; %bb.14:
	s_and_not1_saveexec_b32 s2, s2
; %bb.15:
	v_and_b32_e32 v76, 0xffff, v90
	v_or_b32_e32 v83, 0x10000, v90
	s_delay_alu instid0(VALU_DEP_2) | instskip(NEXT) | instid1(VALU_DEP_2)
	v_cmp_eq_u32_e32 vcc_lo, 0, v76
	v_cndmask_b32_e32 v76, v83, v90, vcc_lo
; %bb.16:
	s_or_b32 exec_lo, exec_lo, s2
	v_and_b32_e32 v83, 0x7f800000, v85
	s_delay_alu instid0(VALU_DEP_1) | instskip(SKIP_1) | instid1(SALU_CYCLE_1)
	v_cmp_ne_u32_e32 vcc_lo, 0x7f800000, v83
                                        ; implicit-def: $vgpr83
	s_and_saveexec_b32 s2, vcc_lo
	s_xor_b32 s2, exec_lo, s2
; %bb.17:
	v_bfe_u32 v83, v85, 16, 1
	s_delay_alu instid0(VALU_DEP_1)
	v_add3_u32 v83, v85, v83, 0x7fff
                                        ; implicit-def: $vgpr85
; %bb.18:
	s_and_not1_saveexec_b32 s2, s2
; %bb.19:
	v_and_b32_e32 v83, 0xffff, v85
	v_or_b32_e32 v90, 0x10000, v85
	s_delay_alu instid0(VALU_DEP_2) | instskip(NEXT) | instid1(VALU_DEP_2)
	v_cmp_eq_u32_e32 vcc_lo, 0, v83
	v_cndmask_b32_e32 v83, v90, v85, vcc_lo
; %bb.20:
	s_or_b32 exec_lo, exec_lo, s2
	v_and_b32_e32 v85, 0x7f800000, v86
	s_delay_alu instid0(VALU_DEP_1) | instskip(SKIP_1) | instid1(SALU_CYCLE_1)
	v_cmp_ne_u32_e32 vcc_lo, 0x7f800000, v85
                                        ; implicit-def: $vgpr85
	s_and_saveexec_b32 s2, vcc_lo
	s_xor_b32 s2, exec_lo, s2
; %bb.21:
	v_bfe_u32 v85, v86, 16, 1
	s_delay_alu instid0(VALU_DEP_1)
	v_add3_u32 v85, v86, v85, 0x7fff
                                        ; implicit-def: $vgpr86
; %bb.22:
	s_and_not1_saveexec_b32 s2, s2
; %bb.23:
	v_and_b32_e32 v85, 0xffff, v86
	v_or_b32_e32 v90, 0x10000, v86
	s_delay_alu instid0(VALU_DEP_2) | instskip(NEXT) | instid1(VALU_DEP_2)
	v_cmp_eq_u32_e32 vcc_lo, 0, v85
	v_cndmask_b32_e32 v85, v90, v86, vcc_lo
; %bb.24:
	s_or_b32 exec_lo, exec_lo, s2
	v_and_b32_e32 v86, 0x7f800000, v89
	s_delay_alu instid0(VALU_DEP_1) | instskip(SKIP_1) | instid1(SALU_CYCLE_1)
	v_cmp_ne_u32_e32 vcc_lo, 0x7f800000, v86
                                        ; implicit-def: $vgpr86
	s_and_saveexec_b32 s2, vcc_lo
	s_xor_b32 s2, exec_lo, s2
; %bb.25:
	v_bfe_u32 v86, v89, 16, 1
	s_delay_alu instid0(VALU_DEP_1)
	v_add3_u32 v86, v89, v86, 0x7fff
                                        ; implicit-def: $vgpr89
; %bb.26:
	s_and_not1_saveexec_b32 s2, s2
; %bb.27:
	v_and_b32_e32 v86, 0xffff, v89
	v_or_b32_e32 v90, 0x10000, v89
	s_delay_alu instid0(VALU_DEP_2) | instskip(NEXT) | instid1(VALU_DEP_2)
	v_cmp_eq_u32_e32 vcc_lo, 0, v86
	v_cndmask_b32_e32 v86, v90, v89, vcc_lo
; %bb.28:
	s_or_b32 exec_lo, exec_lo, s2
	v_and_b32_e32 v89, 0x7f800000, v88
	s_delay_alu instid0(VALU_DEP_1) | instskip(SKIP_1) | instid1(SALU_CYCLE_1)
	v_cmp_ne_u32_e32 vcc_lo, 0x7f800000, v89
                                        ; implicit-def: $vgpr89
	s_and_saveexec_b32 s2, vcc_lo
	s_xor_b32 s2, exec_lo, s2
; %bb.29:
	v_bfe_u32 v89, v88, 16, 1
	s_delay_alu instid0(VALU_DEP_1)
	v_add3_u32 v89, v88, v89, 0x7fff
                                        ; implicit-def: $vgpr88
; %bb.30:
	s_and_not1_saveexec_b32 s2, s2
; %bb.31:
	v_and_b32_e32 v89, 0xffff, v88
	v_or_b32_e32 v90, 0x10000, v88
	s_delay_alu instid0(VALU_DEP_2) | instskip(NEXT) | instid1(VALU_DEP_2)
	v_cmp_eq_u32_e32 vcc_lo, 0, v89
	v_cndmask_b32_e32 v89, v90, v88, vcc_lo
; %bb.32:
	s_or_b32 exec_lo, exec_lo, s2
	v_and_b32_e32 v88, 0x7f800000, v87
	s_delay_alu instid0(VALU_DEP_1) | instskip(SKIP_1) | instid1(SALU_CYCLE_1)
	v_cmp_ne_u32_e32 vcc_lo, 0x7f800000, v88
                                        ; implicit-def: $vgpr88
	s_and_saveexec_b32 s2, vcc_lo
	s_xor_b32 s2, exec_lo, s2
; %bb.33:
	v_bfe_u32 v88, v87, 16, 1
	s_delay_alu instid0(VALU_DEP_1)
	v_add3_u32 v88, v87, v88, 0x7fff
                                        ; implicit-def: $vgpr87
; %bb.34:
	s_and_not1_saveexec_b32 s2, s2
; %bb.35:
	v_and_b32_e32 v88, 0xffff, v87
	v_or_b32_e32 v90, 0x10000, v87
	s_delay_alu instid0(VALU_DEP_2) | instskip(NEXT) | instid1(VALU_DEP_2)
	v_cmp_eq_u32_e32 vcc_lo, 0, v88
	v_cndmask_b32_e32 v88, v90, v87, vcc_lo
; %bb.36:
	s_or_b32 exec_lo, exec_lo, s2
	v_and_b32_e32 v87, 0x7f800000, v84
	s_delay_alu instid0(VALU_DEP_1) | instskip(SKIP_1) | instid1(SALU_CYCLE_1)
	v_cmp_ne_u32_e32 vcc_lo, 0x7f800000, v87
                                        ; implicit-def: $vgpr87
	s_and_saveexec_b32 s2, vcc_lo
	s_xor_b32 s2, exec_lo, s2
; %bb.37:
	v_bfe_u32 v87, v84, 16, 1
	s_delay_alu instid0(VALU_DEP_1)
	v_add3_u32 v87, v84, v87, 0x7fff
                                        ; implicit-def: $vgpr84
; %bb.38:
	s_and_not1_saveexec_b32 s2, s2
; %bb.39:
	v_and_b32_e32 v87, 0xffff, v84
	v_or_b32_e32 v90, 0x10000, v84
	s_delay_alu instid0(VALU_DEP_2) | instskip(NEXT) | instid1(VALU_DEP_2)
	v_cmp_eq_u32_e32 vcc_lo, 0, v87
	v_cndmask_b32_e32 v87, v90, v84, vcc_lo
; %bb.40:
	s_or_b32 exec_lo, exec_lo, s2
	v_and_b32_e32 v84, 0x7f800000, v80
	s_delay_alu instid0(VALU_DEP_1) | instskip(SKIP_1) | instid1(SALU_CYCLE_1)
	v_cmp_ne_u32_e32 vcc_lo, 0x7f800000, v84
                                        ; implicit-def: $vgpr84
	s_and_saveexec_b32 s2, vcc_lo
	s_xor_b32 s2, exec_lo, s2
; %bb.41:
	v_bfe_u32 v84, v80, 16, 1
	s_delay_alu instid0(VALU_DEP_1)
	v_add3_u32 v84, v80, v84, 0x7fff
                                        ; implicit-def: $vgpr80
; %bb.42:
	s_and_not1_saveexec_b32 s2, s2
; %bb.43:
	v_and_b32_e32 v84, 0xffff, v80
	v_or_b32_e32 v90, 0x10000, v80
	s_delay_alu instid0(VALU_DEP_2) | instskip(NEXT) | instid1(VALU_DEP_2)
	v_cmp_eq_u32_e32 vcc_lo, 0, v84
	v_cndmask_b32_e32 v84, v90, v80, vcc_lo
; %bb.44:
	s_or_b32 exec_lo, exec_lo, s2
	s_load_b64 s[34:35], s[0:1], 0x94
	v_lshlrev_b32_e32 v91, 4, v74
	s_delay_alu instid0(VALU_DEP_2)
	v_perm_b32 v90, v84, v87, 0x7060302
	v_dual_mul_f32 v79, v82, v79 :: v_dual_lshlrev_b32 v80, 6, v65
	v_dual_mul_f32 v77, v82, v77 :: v_dual_lshlrev_b32 v92, 11, v66
	v_mul_f32_e32 v84, v82, v70
	v_perm_b32 v89, v88, v89, 0x7060302
	v_perm_b32 v88, v86, v85, 0x7060302
	v_perm_b32 v87, v83, v76, 0x7060302
	v_mul_f32_e32 v70, v82, v81
	v_or3_b32 v76, v91, v92, v80
	v_dual_mul_f32 v78, v82, v78 :: v_dual_and_b32 v85, 0x7f800000, v84
	v_mul_f32_e32 v83, v82, v72
	v_mul_f32_e32 v81, v82, v71
	v_mul_f32_e32 v72, v82, v69
	s_mov_b32 s2, exec_lo
	ds_store_b128 v76, v[87:90]
                                        ; implicit-def: $vgpr69
	v_cmpx_ne_u32_e32 0x7f800000, v85
	s_xor_b32 s2, exec_lo, s2
; %bb.45:
	v_bfe_u32 v69, v84, 16, 1
	s_delay_alu instid0(VALU_DEP_1)
	v_add3_u32 v69, v84, v69, 0x7fff
                                        ; implicit-def: $vgpr84
; %bb.46:
	s_and_not1_saveexec_b32 s2, s2
; %bb.47:
	v_and_b32_e32 v69, 0xffff, v84
	v_or_b32_e32 v71, 0x10000, v84
	s_delay_alu instid0(VALU_DEP_2) | instskip(NEXT) | instid1(VALU_DEP_2)
	v_cmp_eq_u32_e32 vcc_lo, 0, v69
	v_cndmask_b32_e32 v69, v71, v84, vcc_lo
; %bb.48:
	s_or_b32 exec_lo, exec_lo, s2
	v_and_b32_e32 v71, 0x7f800000, v72
	s_delay_alu instid0(VALU_DEP_1) | instskip(SKIP_1) | instid1(SALU_CYCLE_1)
	v_cmp_ne_u32_e32 vcc_lo, 0x7f800000, v71
                                        ; implicit-def: $vgpr71
	s_and_saveexec_b32 s2, vcc_lo
	s_xor_b32 s2, exec_lo, s2
; %bb.49:
	v_bfe_u32 v71, v72, 16, 1
	s_delay_alu instid0(VALU_DEP_1)
	v_add3_u32 v71, v72, v71, 0x7fff
                                        ; implicit-def: $vgpr72
; %bb.50:
	s_and_not1_saveexec_b32 s2, s2
; %bb.51:
	v_and_b32_e32 v71, 0xffff, v72
	v_or_b32_e32 v82, 0x10000, v72
	s_delay_alu instid0(VALU_DEP_2) | instskip(NEXT) | instid1(VALU_DEP_2)
	v_cmp_eq_u32_e32 vcc_lo, 0, v71
	v_cndmask_b32_e32 v71, v82, v72, vcc_lo
; %bb.52:
	s_or_b32 exec_lo, exec_lo, s2
	v_and_b32_e32 v72, 0x7f800000, v81
	s_delay_alu instid0(VALU_DEP_1) | instskip(SKIP_1) | instid1(SALU_CYCLE_1)
	v_cmp_ne_u32_e32 vcc_lo, 0x7f800000, v72
                                        ; implicit-def: $vgpr72
	s_and_saveexec_b32 s2, vcc_lo
	s_xor_b32 s2, exec_lo, s2
; %bb.53:
	v_bfe_u32 v72, v81, 16, 1
	s_delay_alu instid0(VALU_DEP_1)
	v_add3_u32 v72, v81, v72, 0x7fff
                                        ; implicit-def: $vgpr81
; %bb.54:
	s_and_not1_saveexec_b32 s2, s2
; %bb.55:
	v_and_b32_e32 v72, 0xffff, v81
	v_or_b32_e32 v82, 0x10000, v81
	s_delay_alu instid0(VALU_DEP_2) | instskip(NEXT) | instid1(VALU_DEP_2)
	v_cmp_eq_u32_e32 vcc_lo, 0, v72
	v_cndmask_b32_e32 v72, v82, v81, vcc_lo
; %bb.56:
	s_or_b32 exec_lo, exec_lo, s2
	v_and_b32_e32 v81, 0x7f800000, v83
	s_delay_alu instid0(VALU_DEP_1) | instskip(SKIP_1) | instid1(SALU_CYCLE_1)
	v_cmp_ne_u32_e32 vcc_lo, 0x7f800000, v81
                                        ; implicit-def: $vgpr81
	s_and_saveexec_b32 s2, vcc_lo
	s_xor_b32 s2, exec_lo, s2
; %bb.57:
	v_bfe_u32 v81, v83, 16, 1
	s_delay_alu instid0(VALU_DEP_1)
	v_add3_u32 v81, v83, v81, 0x7fff
                                        ; implicit-def: $vgpr83
; %bb.58:
	s_and_not1_saveexec_b32 s2, s2
; %bb.59:
	v_and_b32_e32 v81, 0xffff, v83
	v_or_b32_e32 v82, 0x10000, v83
	s_delay_alu instid0(VALU_DEP_2) | instskip(NEXT) | instid1(VALU_DEP_2)
	v_cmp_eq_u32_e32 vcc_lo, 0, v81
	v_cndmask_b32_e32 v81, v82, v83, vcc_lo
; %bb.60:
	s_or_b32 exec_lo, exec_lo, s2
	v_and_b32_e32 v82, 0x7f800000, v77
	s_delay_alu instid0(VALU_DEP_1) | instskip(SKIP_1) | instid1(SALU_CYCLE_1)
	v_cmp_ne_u32_e32 vcc_lo, 0x7f800000, v82
                                        ; implicit-def: $vgpr82
	s_and_saveexec_b32 s2, vcc_lo
	s_xor_b32 s2, exec_lo, s2
; %bb.61:
	v_bfe_u32 v82, v77, 16, 1
	s_delay_alu instid0(VALU_DEP_1)
	v_add3_u32 v82, v77, v82, 0x7fff
                                        ; implicit-def: $vgpr77
; %bb.62:
	s_and_not1_saveexec_b32 s2, s2
; %bb.63:
	v_and_b32_e32 v82, 0xffff, v77
	v_or_b32_e32 v83, 0x10000, v77
	s_delay_alu instid0(VALU_DEP_2) | instskip(NEXT) | instid1(VALU_DEP_2)
	v_cmp_eq_u32_e32 vcc_lo, 0, v82
	v_cndmask_b32_e32 v82, v83, v77, vcc_lo
; %bb.64:
	s_or_b32 exec_lo, exec_lo, s2
	v_and_b32_e32 v77, 0x7f800000, v78
	s_delay_alu instid0(VALU_DEP_1) | instskip(SKIP_1) | instid1(SALU_CYCLE_1)
	v_cmp_ne_u32_e32 vcc_lo, 0x7f800000, v77
                                        ; implicit-def: $vgpr77
	s_and_saveexec_b32 s2, vcc_lo
	s_xor_b32 s2, exec_lo, s2
; %bb.65:
	v_bfe_u32 v77, v78, 16, 1
	s_delay_alu instid0(VALU_DEP_1)
	v_add3_u32 v77, v78, v77, 0x7fff
                                        ; implicit-def: $vgpr78
; %bb.66:
	s_and_not1_saveexec_b32 s2, s2
; %bb.67:
	v_and_b32_e32 v77, 0xffff, v78
	v_or_b32_e32 v83, 0x10000, v78
	s_delay_alu instid0(VALU_DEP_2) | instskip(NEXT) | instid1(VALU_DEP_2)
	v_cmp_eq_u32_e32 vcc_lo, 0, v77
	v_cndmask_b32_e32 v77, v83, v78, vcc_lo
; %bb.68:
	s_or_b32 exec_lo, exec_lo, s2
	v_and_b32_e32 v78, 0x7f800000, v79
	s_delay_alu instid0(VALU_DEP_1) | instskip(SKIP_1) | instid1(SALU_CYCLE_1)
	v_cmp_ne_u32_e32 vcc_lo, 0x7f800000, v78
                                        ; implicit-def: $vgpr78
	s_and_saveexec_b32 s2, vcc_lo
	s_xor_b32 s2, exec_lo, s2
; %bb.69:
	v_bfe_u32 v78, v79, 16, 1
	s_delay_alu instid0(VALU_DEP_1)
	v_add3_u32 v78, v79, v78, 0x7fff
                                        ; implicit-def: $vgpr79
; %bb.70:
	s_and_not1_saveexec_b32 s2, s2
; %bb.71:
	v_and_b32_e32 v78, 0xffff, v79
	v_or_b32_e32 v83, 0x10000, v79
	s_delay_alu instid0(VALU_DEP_2) | instskip(NEXT) | instid1(VALU_DEP_2)
	v_cmp_eq_u32_e32 vcc_lo, 0, v78
	v_cndmask_b32_e32 v78, v83, v79, vcc_lo
; %bb.72:
	s_or_b32 exec_lo, exec_lo, s2
	v_and_b32_e32 v79, 0x7f800000, v70
	s_delay_alu instid0(VALU_DEP_1) | instskip(SKIP_1) | instid1(SALU_CYCLE_1)
	v_cmp_ne_u32_e32 vcc_lo, 0x7f800000, v79
                                        ; implicit-def: $vgpr79
	s_and_saveexec_b32 s2, vcc_lo
	s_xor_b32 s2, exec_lo, s2
; %bb.73:
	v_bfe_u32 v79, v70, 16, 1
	s_delay_alu instid0(VALU_DEP_1)
	v_add3_u32 v79, v70, v79, 0x7fff
                                        ; implicit-def: $vgpr70
; %bb.74:
	s_and_not1_saveexec_b32 s2, s2
; %bb.75:
	v_and_b32_e32 v79, 0xffff, v70
	v_or_b32_e32 v83, 0x10000, v70
	s_delay_alu instid0(VALU_DEP_2) | instskip(NEXT) | instid1(VALU_DEP_2)
	v_cmp_eq_u32_e32 vcc_lo, 0, v79
	v_cndmask_b32_e32 v79, v83, v70, vcc_lo
; %bb.76:
	s_or_b32 exec_lo, exec_lo, s2
	s_delay_alu instid0(VALU_DEP_1)
	v_perm_b32 v86, v79, v78, 0x7060302
	v_perm_b32 v85, v77, v82, 0x7060302
	;; [unrolled: 1-line block ×4, first 2 shown]
	v_lshl_or_b32 v82, v66, 11, v80
	ds_store_b128 v76, v[83:86] offset:1024
	s_waitcnt lgkmcnt(0)
	s_barrier
	buffer_gl0_inv
	ds_load_b128 v[69:72], v82
	ds_load_b128 v[83:86], v82 offset:16
	s_waitcnt lgkmcnt(1)
	v_lshrrev_b32_e32 v66, 16, v69
	s_waitcnt lgkmcnt(0)
	v_lshrrev_b32_e32 v91, 16, v83
	v_lshlrev_b32_e32 v78, 2, v74
	v_lshrrev_b32_e32 v95, 16, v70
	v_lshrrev_b32_e32 v98, 16, v84
	;; [unrolled: 1-line block ×4, first 2 shown]
	v_cmp_eq_u32_e32 vcc_lo, 1, v78
	v_lshrrev_b32_e32 v97, 16, v72
	v_lshrrev_b32_e32 v100, 16, v86
	v_cndmask_b32_e32 v87, v83, v91, vcc_lo
	v_or_b32_e32 v79, 1, v78
	v_cndmask_b32_e32 v81, v69, v66, vcc_lo
	v_cmp_eq_u32_e64 s3, 2, v78
	v_cmp_eq_u32_e64 s6, 3, v78
	;; [unrolled: 1-line block ×5, first 2 shown]
	v_cndmask_b32_e64 v81, v81, v70, s3
	v_cndmask_b32_e64 v87, v87, v84, s3
	v_cmp_eq_u32_e64 s7, 3, v79
	v_cndmask_b32_e64 v88, v69, v66, s2
	v_or_b32_e32 v77, 2, v78
	v_cndmask_b32_e64 v81, v81, v95, s6
	v_cndmask_b32_e64 v87, v87, v98, s6
	;; [unrolled: 1-line block ×4, first 2 shown]
	v_cmp_eq_u32_e64 s9, 5, v78
	v_cndmask_b32_e64 v81, v81, v71, s8
	v_cndmask_b32_e64 v87, v87, v85, s8
	v_cmp_eq_u32_e64 s10, 4, v79
	v_cndmask_b32_e64 v88, v88, v95, s7
	v_cmp_eq_u32_e64 s4, 1, v77
	v_cndmask_b32_e64 v89, v89, v84, s5
	v_cndmask_b32_e64 v81, v81, v96, s9
	v_cmp_eq_u32_e64 s11, 6, v78
	v_cndmask_b32_e64 v88, v88, v71, s10
	;; [unrolled: 3-line block ×3, first 2 shown]
	v_cndmask_b32_e64 v89, v89, v98, s7
	v_cndmask_b32_e64 v81, v81, v72, s11
	v_cmp_eq_u32_e64 s13, 7, v78
	v_cndmask_b32_e64 v88, v88, v96, s12
	v_cndmask_b32_e64 v87, v87, v86, s11
	v_cmp_eq_u32_e64 s15, 6, v79
	v_cmp_eq_u32_e64 s16, 2, v77
	v_cndmask_b32_e64 v89, v89, v85, s10
	v_cndmask_b32_e64 v101, v81, v97, s13
	;; [unrolled: 1-line block ×6, first 2 shown]
	v_cmp_eq_u32_e64 s17, 7, v79
	v_cmp_eq_u32_e64 s18, 3, v77
	;; [unrolled: 1-line block ×4, first 2 shown]
	v_cndmask_b32_e64 v87, v87, v84, s16
	v_cndmask_b32_e64 v103, v88, v97, s17
	v_cndmask_b32_e64 v88, v89, v99, s12
	v_cndmask_b32_e64 v89, v81, v95, s18
	v_or_b32_e32 v81, 3, v78
	v_cndmask_b32_e64 v93, v87, v98, s18
	v_cmp_eq_u32_e64 s23, 6, v77
	v_cndmask_b32_e64 v104, v88, v86, s15
	v_cndmask_b32_e64 v92, v89, v71, s19
	v_cmp_eq_u32_e64 s20, 1, v81
	ds_load_b128 v[87:90], v82 offset:1024
	v_cmp_eq_u32_e64 s22, 2, v81
	v_cmp_eq_u32_e64 s24, 3, v81
	v_cndmask_b32_e64 v105, v92, v96, s21
	v_cndmask_b32_e64 v66, v69, v66, s20
	v_cndmask_b32_e64 v69, v93, v85, s19
	v_cndmask_b32_e64 v83, v83, v91, s20
	ds_load_b128 v[91:94], v82 offset:1040
	v_cmp_eq_u32_e64 s25, 4, v81
	v_cndmask_b32_e64 v66, v66, v70, s22
	v_cmp_eq_u32_e64 s26, 7, v77
	v_cndmask_b32_e64 v70, v83, v84, s22
	v_cndmask_b32_e64 v84, v105, v72, s23
	v_cmp_eq_u32_e64 s27, 5, v81
	v_cndmask_b32_e64 v66, v66, v95, s24
	v_cmp_eq_u32_e64 s28, 6, v81
	v_cndmask_b32_e64 v70, v70, v98, s24
	v_cndmask_b32_e64 v69, v69, v99, s21
	v_cndmask_b32_e64 v83, v104, v100, s17
	v_cndmask_b32_e64 v66, v66, v71, s25
	s_waitcnt lgkmcnt(1)
	v_lshrrev_b32_e32 v95, 16, v87
	v_cndmask_b32_e64 v70, v70, v85, s25
	v_cndmask_b32_e64 v71, v84, v97, s26
	v_cndmask_b32_e64 v69, v69, v86, s23
	v_cndmask_b32_e64 v66, v66, v96, s27
	v_cndmask_b32_e32 v84, v87, v95, vcc_lo
	v_cndmask_b32_e64 v70, v70, v99, s27
	s_waitcnt lgkmcnt(0)
	v_lshrrev_b32_e32 v85, 16, v91
	v_lshrrev_b32_e32 v96, 16, v88
	v_cndmask_b32_e64 v98, v87, v95, s2
	v_cndmask_b32_e64 v84, v84, v88, s3
	;; [unrolled: 1-line block ×3, first 2 shown]
	v_cndmask_b32_e32 v99, v91, v85, vcc_lo
	v_cmp_eq_u32_e32 vcc_lo, 7, v81
	v_cndmask_b32_e64 v66, v66, v72, s28
	v_cndmask_b32_e64 v72, v84, v96, s6
	;; [unrolled: 1-line block ×3, first 2 shown]
	v_lshrrev_b32_e32 v98, 16, v92
	v_cndmask_b32_e32 v70, v70, v100, vcc_lo
	v_cndmask_b32_e64 v86, v99, v92, s3
	v_cndmask_b32_e64 v69, v69, v100, s26
	v_lshrrev_b32_e32 v100, 16, v93
	v_cndmask_b32_e64 v72, v72, v89, s8
	v_lshrrev_b32_e32 v99, 16, v89
	v_cndmask_b32_e64 v86, v86, v98, s6
	v_perm_b32 v71, v69, v71, 0x5040100
	v_cndmask_b32_e64 v84, v84, v96, s7
	s_delay_alu instid0(VALU_DEP_3) | instskip(NEXT) | instid1(VALU_DEP_2)
	v_cndmask_b32_e64 v86, v86, v93, s8
	v_cndmask_b32_e64 v84, v84, v89, s10
	s_delay_alu instid0(VALU_DEP_2) | instskip(NEXT) | instid1(VALU_DEP_1)
	v_cndmask_b32_e64 v86, v86, v100, s9
	v_cndmask_b32_e64 v69, v86, v94, s11
	;; [unrolled: 1-line block ×5, first 2 shown]
	s_delay_alu instid0(VALU_DEP_3) | instskip(NEXT) | instid1(VALU_DEP_3)
	v_cndmask_b32_e64 v86, v86, v88, s16
	v_cndmask_b32_e64 v87, v87, v88, s22
	s_delay_alu instid0(VALU_DEP_3) | instskip(NEXT) | instid1(VALU_DEP_3)
	v_cndmask_b32_e64 v88, v95, v92, s22
	v_cndmask_b32_e64 v86, v86, v96, s18
	;; [unrolled: 3-line block ×7, first 2 shown]
	s_delay_alu instid0(VALU_DEP_3) | instskip(SKIP_2) | instid1(VALU_DEP_2)
	v_cndmask_b32_e64 v88, v88, v94, s28
	v_cndmask_b32_e32 v66, v66, v97, vcc_lo
	v_cndmask_b32_e64 v97, v72, v99, s9
	v_perm_b32 v72, v70, v66, 0x5040100
	v_perm_b32 v70, v83, v103, 0x5040100
	v_cndmask_b32_e64 v103, v91, v85, s4
	v_cndmask_b32_e64 v85, v91, v85, s2
	;; [unrolled: 1-line block ×4, first 2 shown]
	v_lshrrev_b32_e32 v97, 16, v90
	v_cndmask_b32_e64 v91, v103, v92, s16
	v_cndmask_b32_e64 v85, v85, v92, s5
	;; [unrolled: 1-line block ×3, first 2 shown]
	s_mov_b32 s2, exec_lo
	v_cndmask_b32_e64 v83, v84, v97, s13
	v_cndmask_b32_e64 v91, v91, v98, s18
	;; [unrolled: 1-line block ×3, first 2 shown]
	v_lshrrev_b32_e32 v84, 16, v94
	v_cndmask_b32_e64 v66, v66, v97, s17
	v_cndmask_b32_e64 v90, v86, v97, s26
	;; [unrolled: 1-line block ×4, first 2 shown]
	v_dual_cndmask_b32 v86, v87, v97 :: v_dual_cndmask_b32 v87, v88, v84
	v_cndmask_b32_e64 v91, v69, v84, s13
	s_delay_alu instid0(VALU_DEP_4) | instskip(NEXT) | instid1(VALU_DEP_4)
	v_cndmask_b32_e64 v89, v89, v100, s21
	v_cndmask_b32_e64 v85, v85, v100, s12
	v_perm_b32 v69, v102, v101, 0x5040100
	v_perm_b32 v86, v87, v86, 0x5040100
	;; [unrolled: 1-line block ×3, first 2 shown]
	v_cndmask_b32_e64 v89, v89, v94, s23
	v_cndmask_b32_e64 v85, v85, v94, s15
	s_mul_i32 s7, s35, 10
	s_delay_alu instid0(VALU_DEP_2) | instskip(NEXT) | instid1(VALU_DEP_2)
	v_cndmask_b32_e64 v88, v89, v84, s26
	v_cndmask_b32_e64 v89, v85, v84, s17
	s_delay_alu instid0(VALU_DEP_2) | instskip(NEXT) | instid1(VALU_DEP_2)
	v_perm_b32 v85, v88, v90, 0x5040100
	v_perm_b32 v84, v89, v66, 0x5040100
	ds_store_b128 v76, v[69:72]
	ds_store_b128 v76, v[83:86] offset:1024
	v_cmpx_gt_u32_e32 10, v0
	s_cbranch_execz .LBB1635_78
; %bb.77:
	s_mul_i32 s3, s7, s30
	s_load_b128 s[8:11], s[0:1], 0x58
	v_add3_u32 v69, s3, s29, v65
	s_delay_alu instid0(VALU_DEP_1) | instskip(NEXT) | instid1(VALU_DEP_1)
	v_mad_u64_u32 v[65:66], null, v69, s34, s[14:15]
	v_ashrrev_i32_e32 v66, 31, v65
	s_delay_alu instid0(VALU_DEP_1) | instskip(SKIP_1) | instid1(VALU_DEP_1)
	v_lshlrev_b64 v[65:66], 2, v[65:66]
	s_waitcnt lgkmcnt(0)
	v_add_co_u32 v69, vcc_lo, s10, v65
	s_delay_alu instid0(VALU_DEP_2)
	v_add_co_ci_u32_e32 v70, vcc_lo, s11, v66, vcc_lo
	v_add_co_u32 v65, vcc_lo, s8, v65
	v_add_co_ci_u32_e32 v66, vcc_lo, s9, v66, vcc_lo
	global_store_b32 v[69:70], v67, off
	global_store_b32 v[65:66], v68, off
.LBB1635_78:
	s_or_b32 exec_lo, exec_lo, s2
	s_waitcnt lgkmcnt(0)
	s_waitcnt_vscnt null, 0x0
	s_barrier
	buffer_gl0_inv
	ds_load_b128 v[83:86], v80
	ds_load_b128 v[87:90], v80 offset:16
	ds_load_b128 v[95:98], v80 offset:2064
	;; [unrolled: 1-line block ×3, first 2 shown]
	v_mov_b32_e32 v65, 0
	ds_load_b128 v[103:106], v80 offset:4112
	ds_load_b128 v[99:102], v80 offset:4096
	;; [unrolled: 1-line block ×4, first 2 shown]
	v_mov_b32_e32 v66, v65
	v_mov_b32_e32 v67, v65
	;; [unrolled: 1-line block ×7, first 2 shown]
	s_waitcnt lgkmcnt(6)
	s_delay_alu instid0(VALU_DEP_1)
	v_wmma_f32_16x16x16_bf16 v[65:72], v[49:56], v[83:90], v[65:72]
	ds_load_b128 v[53:56], v80 offset:8208
	ds_load_b128 v[49:52], v80 offset:8192
	s_waitcnt lgkmcnt(6)
	v_wmma_f32_16x16x16_bf16 v[65:72], v[41:48], v[91:98], v[65:72]
	ds_load_b128 v[45:48], v80 offset:10256
	ds_load_b128 v[41:44], v80 offset:10240
	s_waitcnt lgkmcnt(6)
	;; [unrolled: 4-line block ×4, first 2 shown]
	v_wmma_f32_16x16x16_bf16 v[65:72], v[1:8], v[49:56], v[65:72]
	s_waitcnt lgkmcnt(4)
	s_delay_alu instid0(VALU_DEP_1) | instskip(SKIP_1) | instid1(VALU_DEP_1)
	v_wmma_f32_16x16x16_bf16 v[65:72], v[9:16], v[41:48], v[65:72]
	s_waitcnt lgkmcnt(2)
	v_wmma_f32_16x16x16_bf16 v[65:72], v[17:24], v[33:40], v[65:72]
	s_waitcnt lgkmcnt(0)
	s_delay_alu instid0(VALU_DEP_1) | instskip(NEXT) | instid1(VALU_DEP_1)
	v_wmma_f32_16x16x16_bf16 v[65:72], v[57:64], v[25:32], v[65:72]
	v_and_b32_e32 v1, 0x7f800000, v65
	s_delay_alu instid0(VALU_DEP_1) | instskip(SKIP_1) | instid1(SALU_CYCLE_1)
	v_cmp_ne_u32_e32 vcc_lo, 0x7f800000, v1
                                        ; implicit-def: $vgpr1
	s_and_saveexec_b32 s2, vcc_lo
	s_xor_b32 s2, exec_lo, s2
; %bb.79:
	v_bfe_u32 v1, v65, 16, 1
	s_delay_alu instid0(VALU_DEP_1)
	v_add3_u32 v1, v65, v1, 0x7fff
; %bb.80:
	s_and_not1_saveexec_b32 s2, s2
; %bb.81:
	v_and_b32_e32 v1, 0xffff, v65
	v_or_b32_e32 v2, 0x10000, v65
	s_delay_alu instid0(VALU_DEP_2) | instskip(NEXT) | instid1(VALU_DEP_2)
	v_cmp_eq_u32_e32 vcc_lo, 0, v1
	v_cndmask_b32_e32 v1, v2, v65, vcc_lo
; %bb.82:
	s_or_b32 exec_lo, exec_lo, s2
	v_and_b32_e32 v2, 0x7f800000, v66
	s_delay_alu instid0(VALU_DEP_1) | instskip(SKIP_1) | instid1(SALU_CYCLE_1)
	v_cmp_ne_u32_e32 vcc_lo, 0x7f800000, v2
                                        ; implicit-def: $vgpr2
	s_and_saveexec_b32 s2, vcc_lo
	s_xor_b32 s2, exec_lo, s2
; %bb.83:
	v_bfe_u32 v2, v66, 16, 1
	s_delay_alu instid0(VALU_DEP_1)
	v_add3_u32 v2, v66, v2, 0x7fff
; %bb.84:
	s_and_not1_saveexec_b32 s2, s2
; %bb.85:
	v_and_b32_e32 v2, 0xffff, v66
	v_or_b32_e32 v3, 0x10000, v66
	s_delay_alu instid0(VALU_DEP_2) | instskip(NEXT) | instid1(VALU_DEP_2)
	v_cmp_eq_u32_e32 vcc_lo, 0, v2
	v_cndmask_b32_e32 v2, v3, v66, vcc_lo
; %bb.86:
	s_or_b32 exec_lo, exec_lo, s2
	v_and_b32_e32 v3, 0x7f800000, v67
	s_delay_alu instid0(VALU_DEP_1) | instskip(SKIP_1) | instid1(SALU_CYCLE_1)
	v_cmp_ne_u32_e32 vcc_lo, 0x7f800000, v3
                                        ; implicit-def: $vgpr3
	s_and_saveexec_b32 s2, vcc_lo
	s_xor_b32 s2, exec_lo, s2
; %bb.87:
	v_bfe_u32 v3, v67, 16, 1
	s_delay_alu instid0(VALU_DEP_1)
	v_add3_u32 v3, v67, v3, 0x7fff
; %bb.88:
	s_and_not1_saveexec_b32 s2, s2
; %bb.89:
	v_and_b32_e32 v3, 0xffff, v67
	v_or_b32_e32 v4, 0x10000, v67
	s_delay_alu instid0(VALU_DEP_2) | instskip(NEXT) | instid1(VALU_DEP_2)
	v_cmp_eq_u32_e32 vcc_lo, 0, v3
	v_cndmask_b32_e32 v3, v4, v67, vcc_lo
; %bb.90:
	s_or_b32 exec_lo, exec_lo, s2
	v_and_b32_e32 v4, 0x7f800000, v68
	s_delay_alu instid0(VALU_DEP_1) | instskip(SKIP_1) | instid1(SALU_CYCLE_1)
	v_cmp_ne_u32_e32 vcc_lo, 0x7f800000, v4
                                        ; implicit-def: $vgpr4
	s_and_saveexec_b32 s2, vcc_lo
	s_xor_b32 s2, exec_lo, s2
; %bb.91:
	v_bfe_u32 v4, v68, 16, 1
	s_delay_alu instid0(VALU_DEP_1)
	v_add3_u32 v4, v68, v4, 0x7fff
; %bb.92:
	s_and_not1_saveexec_b32 s2, s2
; %bb.93:
	v_and_b32_e32 v4, 0xffff, v68
	v_or_b32_e32 v5, 0x10000, v68
	s_delay_alu instid0(VALU_DEP_2) | instskip(NEXT) | instid1(VALU_DEP_2)
	v_cmp_eq_u32_e32 vcc_lo, 0, v4
	v_cndmask_b32_e32 v4, v5, v68, vcc_lo
; %bb.94:
	s_or_b32 exec_lo, exec_lo, s2
	v_and_b32_e32 v5, 0x7f800000, v69
	s_delay_alu instid0(VALU_DEP_1) | instskip(SKIP_1) | instid1(SALU_CYCLE_1)
	v_cmp_ne_u32_e32 vcc_lo, 0x7f800000, v5
                                        ; implicit-def: $vgpr5
	s_and_saveexec_b32 s2, vcc_lo
	s_xor_b32 s2, exec_lo, s2
; %bb.95:
	v_bfe_u32 v5, v69, 16, 1
	s_delay_alu instid0(VALU_DEP_1)
	v_add3_u32 v5, v69, v5, 0x7fff
; %bb.96:
	s_and_not1_saveexec_b32 s2, s2
; %bb.97:
	v_and_b32_e32 v5, 0xffff, v69
	v_or_b32_e32 v6, 0x10000, v69
	s_delay_alu instid0(VALU_DEP_2) | instskip(NEXT) | instid1(VALU_DEP_2)
	v_cmp_eq_u32_e32 vcc_lo, 0, v5
	v_cndmask_b32_e32 v5, v6, v69, vcc_lo
; %bb.98:
	s_or_b32 exec_lo, exec_lo, s2
	v_and_b32_e32 v6, 0x7f800000, v70
	s_delay_alu instid0(VALU_DEP_1) | instskip(SKIP_1) | instid1(SALU_CYCLE_1)
	v_cmp_ne_u32_e32 vcc_lo, 0x7f800000, v6
                                        ; implicit-def: $vgpr6
	s_and_saveexec_b32 s2, vcc_lo
	s_xor_b32 s2, exec_lo, s2
; %bb.99:
	v_bfe_u32 v6, v70, 16, 1
	s_delay_alu instid0(VALU_DEP_1)
	v_add3_u32 v6, v70, v6, 0x7fff
; %bb.100:
	s_and_not1_saveexec_b32 s2, s2
; %bb.101:
	v_and_b32_e32 v6, 0xffff, v70
	v_or_b32_e32 v7, 0x10000, v70
	s_delay_alu instid0(VALU_DEP_2) | instskip(NEXT) | instid1(VALU_DEP_2)
	v_cmp_eq_u32_e32 vcc_lo, 0, v6
	v_cndmask_b32_e32 v6, v7, v70, vcc_lo
; %bb.102:
	s_or_b32 exec_lo, exec_lo, s2
	v_and_b32_e32 v7, 0x7f800000, v71
	s_delay_alu instid0(VALU_DEP_1) | instskip(SKIP_1) | instid1(SALU_CYCLE_1)
	v_cmp_ne_u32_e32 vcc_lo, 0x7f800000, v7
                                        ; implicit-def: $vgpr7
	s_and_saveexec_b32 s2, vcc_lo
	s_xor_b32 s2, exec_lo, s2
; %bb.103:
	v_bfe_u32 v7, v71, 16, 1
	s_delay_alu instid0(VALU_DEP_1)
	v_add3_u32 v7, v71, v7, 0x7fff
; %bb.104:
	s_and_not1_saveexec_b32 s2, s2
; %bb.105:
	v_and_b32_e32 v7, 0xffff, v71
	v_or_b32_e32 v8, 0x10000, v71
	s_delay_alu instid0(VALU_DEP_2) | instskip(NEXT) | instid1(VALU_DEP_2)
	v_cmp_eq_u32_e32 vcc_lo, 0, v7
	v_cndmask_b32_e32 v7, v8, v71, vcc_lo
; %bb.106:
	s_or_b32 exec_lo, exec_lo, s2
	v_and_b32_e32 v8, 0x7f800000, v72
	s_delay_alu instid0(VALU_DEP_1) | instskip(SKIP_1) | instid1(SALU_CYCLE_1)
	v_cmp_ne_u32_e32 vcc_lo, 0x7f800000, v8
                                        ; implicit-def: $vgpr8
	s_and_saveexec_b32 s2, vcc_lo
	s_xor_b32 s2, exec_lo, s2
; %bb.107:
	v_bfe_u32 v8, v72, 16, 1
	s_delay_alu instid0(VALU_DEP_1)
	v_add3_u32 v8, v72, v8, 0x7fff
                                        ; implicit-def: $vgpr65_vgpr66_vgpr67_vgpr68_vgpr69_vgpr70_vgpr71_vgpr72
; %bb.108:
	s_and_not1_saveexec_b32 s2, s2
; %bb.109:
	v_and_b32_e32 v8, 0xffff, v72
	v_or_b32_e32 v9, 0x10000, v72
	s_delay_alu instid0(VALU_DEP_2) | instskip(NEXT) | instid1(VALU_DEP_2)
	v_cmp_eq_u32_e32 vcc_lo, 0, v8
	v_cndmask_b32_e32 v8, v9, v72, vcc_lo
; %bb.110:
	s_or_b32 exec_lo, exec_lo, s2
	s_delay_alu instid0(VALU_DEP_1)
	v_perm_b32 v7, v8, v7, 0x7060302
	v_perm_b32 v6, v6, v5, 0x7060302
	;; [unrolled: 1-line block ×4, first 2 shown]
	s_barrier
	buffer_gl0_inv
	v_cmp_eq_u32_e32 vcc_lo, 1, v78
	ds_store_b128 v76, v[4:7]
	s_waitcnt lgkmcnt(0)
	s_barrier
	buffer_gl0_inv
	ds_load_b128 v[1:4], v82
	ds_load_b128 v[5:8], v82 offset:16
	v_cmp_eq_u32_e64 s2, 1, v79
	v_cmp_eq_u32_e64 s3, 2, v78
	;; [unrolled: 1-line block ×5, first 2 shown]
	s_waitcnt lgkmcnt(1)
	v_lshrrev_b32_e32 v9, 16, v1
	s_waitcnt lgkmcnt(0)
	v_lshrrev_b32_e32 v13, 16, v5
	v_lshrrev_b32_e32 v10, 16, v2
	v_lshrrev_b32_e32 v14, 16, v6
	v_lshrrev_b32_e32 v11, 16, v3
	v_cndmask_b32_e64 v19, v1, v9, s2
	v_cndmask_b32_e32 v18, v5, v13, vcc_lo
	v_cndmask_b32_e64 v20, v5, v13, s2
	v_cndmask_b32_e32 v17, v1, v9, vcc_lo
	v_cmp_eq_u32_e32 vcc_lo, 2, v79
	v_lshrrev_b32_e32 v15, 16, v7
	v_cmp_eq_u32_e64 s2, 1, v77
	v_lshrrev_b32_e32 v12, 16, v4
	v_lshrrev_b32_e32 v16, 16, v8
	v_cndmask_b32_e32 v20, v20, v6, vcc_lo
	v_cndmask_b32_e64 v17, v17, v2, s3
	v_cndmask_b32_e32 v19, v19, v2, vcc_lo
	v_cndmask_b32_e64 v18, v18, v6, s3
	v_cmp_eq_u32_e32 vcc_lo, 4, v78
	v_cmp_eq_u32_e64 s3, 3, v79
	v_cndmask_b32_e64 v17, v17, v10, s4
	v_cndmask_b32_e64 v21, v1, v9, s2
	;; [unrolled: 1-line block ×5, first 2 shown]
	v_cndmask_b32_e32 v17, v17, v3, vcc_lo
	v_cndmask_b32_e64 v20, v20, v14, s3
	v_cndmask_b32_e32 v18, v18, v7, vcc_lo
	v_cmp_eq_u32_e32 vcc_lo, 4, v79
	v_cmp_eq_u32_e64 s3, 5, v79
	v_cmp_eq_u32_e64 s2, 2, v81
	v_cndmask_b32_e64 v21, v21, v2, s6
	v_cmp_eq_u32_e64 s4, 5, v78
	v_cndmask_b32_e32 v19, v19, v3, vcc_lo
	v_cndmask_b32_e32 v20, v20, v7, vcc_lo
	v_cmp_eq_u32_e32 vcc_lo, 6, v79
	s_delay_alu instid0(VALU_DEP_4) | instskip(NEXT) | instid1(VALU_DEP_4)
	v_cndmask_b32_e64 v17, v17, v11, s4
	v_cndmask_b32_e64 v19, v19, v11, s3
	s_delay_alu instid0(VALU_DEP_4) | instskip(SKIP_1) | instid1(VALU_DEP_3)
	v_cndmask_b32_e64 v20, v20, v15, s3
	v_cmp_eq_u32_e64 s3, 1, v81
	v_cndmask_b32_e32 v19, v19, v4, vcc_lo
	v_cndmask_b32_e64 v18, v18, v15, s4
	s_delay_alu instid0(VALU_DEP_3)
	v_cndmask_b32_e64 v1, v1, v9, s3
	v_cndmask_b32_e64 v5, v5, v13, s3
	v_cmp_eq_u32_e64 s3, 3, v77
	v_cndmask_b32_e64 v13, v22, v6, s6
	v_cmp_eq_u32_e64 s6, 3, v81
	v_cndmask_b32_e64 v1, v1, v2, s2
	v_cndmask_b32_e64 v2, v5, v6, s2
	v_cndmask_b32_e64 v9, v21, v10, s3
	v_cmp_eq_u32_e64 s2, 4, v77
	v_cndmask_b32_e64 v6, v13, v14, s3
	v_cndmask_b32_e64 v1, v1, v10, s6
	v_cmp_eq_u32_e64 s3, 4, v81
	v_cndmask_b32_e64 v2, v2, v14, s6
	v_cndmask_b32_e64 v5, v9, v3, s2
	v_cmp_eq_u32_e64 s6, 5, v77
	v_cndmask_b32_e64 v6, v6, v7, s2
	v_cndmask_b32_e64 v1, v1, v3, s3
	v_cndmask_b32_e64 v2, v2, v7, s3
	v_cmp_eq_u32_e64 s2, 5, v81
	v_cmp_eq_u32_e64 s4, 6, v78
	v_cndmask_b32_e64 v5, v5, v11, s6
	v_cmp_eq_u32_e64 s3, 6, v77
	v_cndmask_b32_e64 v3, v6, v15, s6
	v_cndmask_b32_e64 v1, v1, v11, s2
	v_cmp_eq_u32_e64 s6, 6, v81
	v_cndmask_b32_e64 v2, v2, v15, s2
	v_cndmask_b32_e64 v17, v17, v4, s4
	v_cndmask_b32_e64 v18, v18, v8, s4
	v_cmp_eq_u32_e64 s4, 7, v78
	v_cndmask_b32_e64 v5, v5, v4, s3
	;; [unrolled: 4-line block ×3, first 2 shown]
	v_cmp_eq_u32_e64 s3, 7, v77
	v_cndmask_b32_e32 v4, v20, v8, vcc_lo
	v_cndmask_b32_e64 v17, v17, v12, s4
	v_cndmask_b32_e64 v19, v19, v12, s5
	;; [unrolled: 1-line block ×8, first 2 shown]
	s_mov_b32 s2, exec_lo
	v_perm_b32 v4, v2, v1, 0x5040100
	v_perm_b32 v3, v3, v5, 0x5040100
	;; [unrolled: 1-line block ×4, first 2 shown]
	ds_store_b128 v76, v[1:4]
	s_waitcnt lgkmcnt(0)
	s_barrier
	buffer_gl0_inv
	v_cmpx_gt_u32_e32 32, v0
	s_cbranch_execz .LBB1635_2
; %bb.111:
	s_load_b64 s[0:1], s[0:1], 0x68
	s_lshl_b32 s4, s34, 7
	v_or_b32_e32 v2, s29, v74
	s_mul_i32 s2, s4, s30
	v_lshlrev_b32_e32 v0, 10, v0
	s_mul_i32 s2, s2, s7
	v_lshlrev_b32_e32 v1, 4, v75
	s_ashr_i32 s3, s2, 31
	v_mul_lo_u32 v20, v2, s4
	s_lshl_b64 s[2:3], s[2:3], 1
	v_lshlrev_b32_e32 v3, 6, v74
	v_and_b32_e32 v0, 0x3800, v0
	s_delay_alu instid0(VALU_DEP_1) | instskip(NEXT) | instid1(VALU_DEP_4)
	v_or3_b32 v16, v0, v1, v3
	v_ashrrev_i32_e32 v21, 31, v20
	ds_load_b128 v[0:3], v16
	ds_load_b128 v[4:7], v16 offset:128
	s_waitcnt lgkmcnt(0)
	s_add_u32 s2, s0, s2
	s_addc_u32 s3, s1, s3
	s_lshl_b32 s0, s14, 7
	ds_load_b128 v[8:11], v16 offset:256
	ds_load_b128 v[12:15], v16 offset:384
	;; [unrolled: 1-line block ×3, first 2 shown]
	s_ashr_i32 s1, s0, 31
	s_delay_alu instid0(SALU_CYCLE_1) | instskip(NEXT) | instid1(SALU_CYCLE_1)
	s_lshl_b64 s[0:1], s[0:1], 1
	s_add_u32 s0, s2, s0
	s_addc_u32 s1, s3, s1
	s_lshl_b32 s2, s34, 8
	v_add_co_u32 v30, s0, s0, v73
	v_add_nc_u32_e32 v22, s2, v20
	v_lshlrev_b64 v[20:21], 1, v[20:21]
	v_add_co_ci_u32_e64 v31, null, s1, 0, s0
	s_delay_alu instid0(VALU_DEP_3) | instskip(SKIP_1) | instid1(VALU_DEP_4)
	v_add_nc_u32_e32 v24, s2, v22
	v_ashrrev_i32_e32 v23, 31, v22
	v_add_co_u32 v20, vcc_lo, v30, v20
	s_delay_alu instid0(VALU_DEP_4) | instskip(NEXT) | instid1(VALU_DEP_4)
	v_add_co_ci_u32_e32 v21, vcc_lo, v31, v21, vcc_lo
	v_add_nc_u32_e32 v26, s2, v24
	v_ashrrev_i32_e32 v25, 31, v24
	v_lshlrev_b64 v[22:23], 1, v[22:23]
	s_delay_alu instid0(VALU_DEP_3) | instskip(SKIP_1) | instid1(VALU_DEP_4)
	v_add_nc_u32_e32 v28, s2, v26
	v_ashrrev_i32_e32 v27, 31, v26
	v_lshlrev_b64 v[24:25], 1, v[24:25]
	s_delay_alu instid0(VALU_DEP_4) | instskip(NEXT) | instid1(VALU_DEP_4)
	v_add_co_u32 v22, vcc_lo, v30, v22
	v_ashrrev_i32_e32 v29, 31, v28
	s_delay_alu instid0(VALU_DEP_4) | instskip(SKIP_2) | instid1(VALU_DEP_4)
	v_lshlrev_b64 v[26:27], 1, v[26:27]
	v_add_co_ci_u32_e32 v23, vcc_lo, v31, v23, vcc_lo
	v_add_co_u32 v24, vcc_lo, v30, v24
	v_lshlrev_b64 v[28:29], 1, v[28:29]
	v_add_co_ci_u32_e32 v25, vcc_lo, v31, v25, vcc_lo
	v_add_co_u32 v26, vcc_lo, v30, v26
	v_add_co_ci_u32_e32 v27, vcc_lo, v31, v27, vcc_lo
	s_delay_alu instid0(VALU_DEP_4)
	v_add_co_u32 v28, vcc_lo, v30, v28
	v_add_co_ci_u32_e32 v29, vcc_lo, v31, v29, vcc_lo
	s_clause 0x1
	global_store_b128 v[20:21], v[0:3], off
	global_store_b128 v[22:23], v[4:7], off
	s_waitcnt lgkmcnt(2)
	global_store_b128 v[24:25], v[8:11], off
	s_waitcnt lgkmcnt(1)
	;; [unrolled: 2-line block ×3, first 2 shown]
	global_store_b128 v[28:29], v[16:19], off
	s_nop 0
	s_sendmsg sendmsg(MSG_DEALLOC_VGPRS)
	s_endpgm
	.section	.rodata,"a",@progbits
	.p2align	6, 0x0
	.amdhsa_kernel _Z39paged_attention_ll4mi_QKV_mfma16_kernelI14__hip_bfloat16hLN4vllm18Fp8KVCacheDataTypeE1ES0_Li32ELi128ELi256ELb1ELi10EL8MFMAType1EEvPKT_PKT0_S9_ifPKiSB_SB_iPKfiiiPfSE_PS4_PT2_iSD_SD_
		.amdhsa_group_segment_fixed_size 17472
		.amdhsa_private_segment_fixed_size 0
		.amdhsa_kernarg_size 400
		.amdhsa_user_sgpr_count 13
		.amdhsa_user_sgpr_dispatch_ptr 0
		.amdhsa_user_sgpr_queue_ptr 0
		.amdhsa_user_sgpr_kernarg_segment_ptr 1
		.amdhsa_user_sgpr_dispatch_id 0
		.amdhsa_user_sgpr_private_segment_size 0
		.amdhsa_wavefront_size32 1
		.amdhsa_uses_dynamic_stack 0
		.amdhsa_enable_private_segment 0
		.amdhsa_system_sgpr_workgroup_id_x 1
		.amdhsa_system_sgpr_workgroup_id_y 1
		.amdhsa_system_sgpr_workgroup_id_z 1
		.amdhsa_system_sgpr_workgroup_info 0
		.amdhsa_system_vgpr_workitem_id 0
		.amdhsa_next_free_vgpr 140
		.amdhsa_next_free_sgpr 36
		.amdhsa_reserve_vcc 1
		.amdhsa_float_round_mode_32 0
		.amdhsa_float_round_mode_16_64 0
		.amdhsa_float_denorm_mode_32 3
		.amdhsa_float_denorm_mode_16_64 3
		.amdhsa_dx10_clamp 1
		.amdhsa_ieee_mode 1
		.amdhsa_fp16_overflow 0
		.amdhsa_workgroup_processor_mode 1
		.amdhsa_memory_ordered 1
		.amdhsa_forward_progress 0
		.amdhsa_shared_vgpr_count 0
		.amdhsa_exception_fp_ieee_invalid_op 0
		.amdhsa_exception_fp_denorm_src 0
		.amdhsa_exception_fp_ieee_div_zero 0
		.amdhsa_exception_fp_ieee_overflow 0
		.amdhsa_exception_fp_ieee_underflow 0
		.amdhsa_exception_fp_ieee_inexact 0
		.amdhsa_exception_int_div_zero 0
	.end_amdhsa_kernel
	.section	.text._Z39paged_attention_ll4mi_QKV_mfma16_kernelI14__hip_bfloat16hLN4vllm18Fp8KVCacheDataTypeE1ES0_Li32ELi128ELi256ELb1ELi10EL8MFMAType1EEvPKT_PKT0_S9_ifPKiSB_SB_iPKfiiiPfSE_PS4_PT2_iSD_SD_,"axG",@progbits,_Z39paged_attention_ll4mi_QKV_mfma16_kernelI14__hip_bfloat16hLN4vllm18Fp8KVCacheDataTypeE1ES0_Li32ELi128ELi256ELb1ELi10EL8MFMAType1EEvPKT_PKT0_S9_ifPKiSB_SB_iPKfiiiPfSE_PS4_PT2_iSD_SD_,comdat
.Lfunc_end1635:
	.size	_Z39paged_attention_ll4mi_QKV_mfma16_kernelI14__hip_bfloat16hLN4vllm18Fp8KVCacheDataTypeE1ES0_Li32ELi128ELi256ELb1ELi10EL8MFMAType1EEvPKT_PKT0_S9_ifPKiSB_SB_iPKfiiiPfSE_PS4_PT2_iSD_SD_, .Lfunc_end1635-_Z39paged_attention_ll4mi_QKV_mfma16_kernelI14__hip_bfloat16hLN4vllm18Fp8KVCacheDataTypeE1ES0_Li32ELi128ELi256ELb1ELi10EL8MFMAType1EEvPKT_PKT0_S9_ifPKiSB_SB_iPKfiiiPfSE_PS4_PT2_iSD_SD_
                                        ; -- End function
	.section	.AMDGPU.csdata,"",@progbits
; Kernel info:
; codeLenInByte = 8952
; NumSgprs: 38
; NumVgprs: 140
; ScratchSize: 0
; MemoryBound: 0
; FloatMode: 240
; IeeeMode: 1
; LDSByteSize: 17472 bytes/workgroup (compile time only)
; SGPRBlocks: 4
; VGPRBlocks: 17
; NumSGPRsForWavesPerEU: 38
; NumVGPRsForWavesPerEU: 140
; Occupancy: 10
; WaveLimiterHint : 1
; COMPUTE_PGM_RSRC2:SCRATCH_EN: 0
; COMPUTE_PGM_RSRC2:USER_SGPR: 13
; COMPUTE_PGM_RSRC2:TRAP_HANDLER: 0
; COMPUTE_PGM_RSRC2:TGID_X_EN: 1
; COMPUTE_PGM_RSRC2:TGID_Y_EN: 1
; COMPUTE_PGM_RSRC2:TGID_Z_EN: 1
; COMPUTE_PGM_RSRC2:TIDIG_COMP_CNT: 0
	.section	.text._Z39paged_attention_ll4mi_QKV_mfma16_kernelI14__hip_bfloat16hLN4vllm18Fp8KVCacheDataTypeE1ES0_Li32ELi128ELi256ELb1ELi11EL8MFMAType1EEvPKT_PKT0_S9_ifPKiSB_SB_iPKfiiiPfSE_PS4_PT2_iSD_SD_,"axG",@progbits,_Z39paged_attention_ll4mi_QKV_mfma16_kernelI14__hip_bfloat16hLN4vllm18Fp8KVCacheDataTypeE1ES0_Li32ELi128ELi256ELb1ELi11EL8MFMAType1EEvPKT_PKT0_S9_ifPKiSB_SB_iPKfiiiPfSE_PS4_PT2_iSD_SD_,comdat
	.protected	_Z39paged_attention_ll4mi_QKV_mfma16_kernelI14__hip_bfloat16hLN4vllm18Fp8KVCacheDataTypeE1ES0_Li32ELi128ELi256ELb1ELi11EL8MFMAType1EEvPKT_PKT0_S9_ifPKiSB_SB_iPKfiiiPfSE_PS4_PT2_iSD_SD_ ; -- Begin function _Z39paged_attention_ll4mi_QKV_mfma16_kernelI14__hip_bfloat16hLN4vllm18Fp8KVCacheDataTypeE1ES0_Li32ELi128ELi256ELb1ELi11EL8MFMAType1EEvPKT_PKT0_S9_ifPKiSB_SB_iPKfiiiPfSE_PS4_PT2_iSD_SD_
	.globl	_Z39paged_attention_ll4mi_QKV_mfma16_kernelI14__hip_bfloat16hLN4vllm18Fp8KVCacheDataTypeE1ES0_Li32ELi128ELi256ELb1ELi11EL8MFMAType1EEvPKT_PKT0_S9_ifPKiSB_SB_iPKfiiiPfSE_PS4_PT2_iSD_SD_
	.p2align	8
	.type	_Z39paged_attention_ll4mi_QKV_mfma16_kernelI14__hip_bfloat16hLN4vllm18Fp8KVCacheDataTypeE1ES0_Li32ELi128ELi256ELb1ELi11EL8MFMAType1EEvPKT_PKT0_S9_ifPKiSB_SB_iPKfiiiPfSE_PS4_PT2_iSD_SD_,@function
_Z39paged_attention_ll4mi_QKV_mfma16_kernelI14__hip_bfloat16hLN4vllm18Fp8KVCacheDataTypeE1ES0_Li32ELi128ELi256ELb1ELi11EL8MFMAType1EEvPKT_PKT0_S9_ifPKiSB_SB_iPKfiiiPfSE_PS4_PT2_iSD_SD_: ; @_Z39paged_attention_ll4mi_QKV_mfma16_kernelI14__hip_bfloat16hLN4vllm18Fp8KVCacheDataTypeE1ES0_Li32ELi128ELi256ELb1ELi11EL8MFMAType1EEvPKT_PKT0_S9_ifPKiSB_SB_iPKfiiiPfSE_PS4_PT2_iSD_SD_
; %bb.0:
	s_load_b64 s[4:5], s[0:1], 0x30
	s_mov_b32 s30, s13
	s_waitcnt lgkmcnt(0)
	s_cmp_lg_u64 s[4:5], 0
	s_cselect_b32 s13, -1, 0
	s_ashr_i32 s31, s30, 31
	s_cmp_eq_u64 s[4:5], 0
	s_cbranch_scc1 .LBB1636_3
; %bb.1:
	s_lshl_b64 s[2:3], s[30:31], 2
	s_delay_alu instid0(SALU_CYCLE_1) | instskip(SKIP_4) | instid1(SALU_CYCLE_1)
	s_add_u32 s2, s4, s2
	s_addc_u32 s3, s5, s3
	s_load_b64 s[2:3], s[2:3], 0x0
	s_waitcnt lgkmcnt(0)
	s_sub_i32 s2, s3, s2
	s_cmp_eq_u32 s2, 1
	s_cselect_b32 s2, -1, 0
	s_delay_alu instid0(SALU_CYCLE_1)
	s_and_not1_b32 vcc_lo, exec_lo, s2
	s_cbranch_vccz .LBB1636_4
.LBB1636_2:
	s_nop 0
	s_sendmsg sendmsg(MSG_DEALLOC_VGPRS)
	s_endpgm
.LBB1636_3:
.LBB1636_4:
	s_load_b64 s[2:3], s[0:1], 0x28
	s_lshl_b64 s[6:7], s[30:31], 2
	s_waitcnt lgkmcnt(0)
	s_add_u32 s2, s2, s6
	s_addc_u32 s3, s3, s7
	s_lshl_b32 s12, s14, 8
	s_load_b32 s17, s[2:3], 0x0
	s_waitcnt lgkmcnt(0)
	s_cmp_ge_i32 s12, s17
	s_cbranch_scc1 .LBB1636_2
; %bb.5:
	s_clause 0x1
	s_load_b128 s[8:11], s[0:1], 0x8
	s_load_b64 s[2:3], s[0:1], 0x20
	s_and_not1_b32 vcc_lo, exec_lo, s13
	s_cbranch_vccnz .LBB1636_7
; %bb.6:
	s_add_u32 s4, s4, s6
	s_addc_u32 s5, s5, s7
	s_load_b32 s13, s[4:5], 0x0
	s_branch .LBB1636_8
.LBB1636_7:
	s_mov_b32 s13, s30
.LBB1636_8:
	s_load_b128 s[4:7], s[0:1], 0x48
	v_and_b32_e32 v65, 15, v0
	v_lshrrev_b32_e32 v66, 5, v0
	v_bfe_u32 v74, v0, 4, 1
	v_and_b32_e32 v67, 31, v0
	v_and_b32_e32 v75, 1, v0
	v_lshlrev_b32_e32 v2, 3, v65
	s_mul_i32 s31, s15, 11
	v_lshl_or_b32 v1, v66, 1, v74
	s_waitcnt lgkmcnt(0)
	s_mov_b32 s7, exec_lo
	v_lshlrev_b32_e32 v73, 1, v2
	s_delay_alu instid0(VALU_DEP_2)
	v_cmpx_gt_u32_e32 11, v1
	s_cbranch_execz .LBB1636_10
; %bb.9:
	s_load_b64 s[18:19], s[0:1], 0x0
	v_add_lshl_u32 v2, v1, s31, 7
	s_mul_hi_i32 s21, s13, s4
	s_mul_i32 s20, s13, s4
	v_lshlrev_b32_e32 v6, 10, v65
	s_lshl_b64 s[20:21], s[20:21], 1
	v_ashrrev_i32_e32 v3, 31, v2
	v_lshlrev_b32_e32 v1, 6, v1
	v_lshlrev_b32_e32 v7, 10, v75
	v_and_b32_e32 v6, 0x3800, v6
	s_delay_alu instid0(VALU_DEP_4) | instskip(NEXT) | instid1(VALU_DEP_2)
	v_lshlrev_b64 v[2:3], 1, v[2:3]
	v_or3_b32 v1, v6, v7, v1
	s_waitcnt lgkmcnt(0)
	s_add_u32 s4, s18, s20
	s_addc_u32 s13, s19, s21
	s_delay_alu instid0(VALU_DEP_2) | instskip(SKIP_1) | instid1(VALU_DEP_2)
	v_add_co_u32 v2, vcc_lo, s4, v2
	v_add_co_ci_u32_e32 v3, vcc_lo, s13, v3, vcc_lo
	v_add_co_u32 v2, vcc_lo, v2, v73
	s_delay_alu instid0(VALU_DEP_2)
	v_add_co_ci_u32_e32 v3, vcc_lo, 0, v3, vcc_lo
	global_load_b128 v[2:5], v[2:3], off
	s_waitcnt vmcnt(0)
	ds_store_b128 v1, v[2:5]
.LBB1636_10:
	s_or_b32 exec_lo, exec_lo, s7
	v_and_b32_e32 v1, 0xef, v0
	s_add_i32 s4, s17, 31
	s_clause 0x1
	s_load_b32 s7, s[0:1], 0x38
	s_load_b32 s18, s[0:1], 0x1c
	s_ashr_i32 s13, s4, 31
	v_add_nc_u32_e32 v1, s12, v1
	s_lshr_b32 s13, s13, 27
	s_waitcnt lgkmcnt(0)
	s_add_i32 s4, s4, s13
	s_barrier
	v_ashrrev_i32_e32 v2, 31, v1
	v_or_b32_e32 v3, 16, v1
	s_ashr_i32 s4, s4, 5
	v_cmp_gt_i32_e32 vcc_lo, s17, v1
	s_add_i32 s4, s4, -1
	v_lshrrev_b32_e32 v2, 27, v2
	buffer_gl0_inv
	s_mul_i32 s15, s15, s6
	v_add_nc_u32_e32 v4, v1, v2
	s_mul_i32 s20, s30, s7
	s_delay_alu instid0(SALU_CYCLE_1) | instskip(NEXT) | instid1(VALU_DEP_1)
	s_ashr_i32 s21, s20, 31
	v_ashrrev_i32_e32 v4, 5, v4
	v_add_nc_u32_e32 v2, v3, v2
	s_lshl_b64 s[20:21], s[20:21], 2
	s_delay_alu instid0(SALU_CYCLE_1) | instskip(NEXT) | instid1(VALU_DEP_2)
	s_add_u32 s13, s2, s20
	v_cndmask_b32_e32 v1, s4, v4, vcc_lo
	s_delay_alu instid0(VALU_DEP_2)
	v_ashrrev_i32_e32 v2, 5, v2
	v_cmp_gt_i32_e32 vcc_lo, s17, v3
	s_addc_u32 s16, s3, s21
	s_ashr_i32 s19, s15, 31
	s_add_u32 s2, s8, s15
	s_addc_u32 s3, s9, s19
	v_cndmask_b32_e32 v3, s4, v2, vcc_lo
	v_ashrrev_i32_e32 v2, 31, v1
	s_lshl_b32 s6, s14, 3
	s_delay_alu instid0(SALU_CYCLE_1) | instskip(NEXT) | instid1(VALU_DEP_2)
	s_ashr_i32 s7, s6, 31
	v_ashrrev_i32_e32 v4, 31, v3
	s_delay_alu instid0(VALU_DEP_2) | instskip(SKIP_1) | instid1(SALU_CYCLE_1)
	v_lshlrev_b64 v[1:2], 2, v[1:2]
	s_lshl_b64 s[6:7], s[6:7], 2
	s_add_u32 s6, s13, s6
	s_delay_alu instid0(VALU_DEP_2) | instskip(SKIP_1) | instid1(VALU_DEP_2)
	v_lshlrev_b64 v[3:4], 2, v[3:4]
	s_addc_u32 s7, s16, s7
	v_add_co_u32 v1, vcc_lo, s13, v1
	v_add_co_ci_u32_e32 v2, vcc_lo, s16, v2, vcc_lo
	s_delay_alu instid0(VALU_DEP_3) | instskip(NEXT) | instid1(VALU_DEP_4)
	v_add_co_u32 v3, vcc_lo, s13, v3
	v_add_co_ci_u32_e32 v4, vcc_lo, s16, v4, vcc_lo
	s_clause 0x1
	global_load_b32 v5, v[1:2], off
	global_load_b32 v6, v[3:4], off
	s_or_b32 s8, s12, 32
	s_delay_alu instid0(SALU_CYCLE_1) | instskip(SKIP_2) | instid1(SALU_CYCLE_1)
	s_ashr_i32 s9, s8, 5
	s_cmp_lt_i32 s8, s17
	s_cselect_b32 s8, s9, s4
	s_ashr_i32 s9, s8, 31
	s_delay_alu instid0(SALU_CYCLE_1) | instskip(NEXT) | instid1(SALU_CYCLE_1)
	s_lshl_b64 s[8:9], s[8:9], 2
	s_add_u32 s8, s13, s8
	s_addc_u32 s9, s16, s9
	s_or_b32 s20, s12, 64
	s_delay_alu instid0(SALU_CYCLE_1) | instskip(SKIP_2) | instid1(SALU_CYCLE_1)
	s_ashr_i32 s21, s20, 5
	s_cmp_lt_i32 s20, s17
	s_cselect_b32 s20, s21, s4
	s_ashr_i32 s21, s20, 31
	s_delay_alu instid0(SALU_CYCLE_1) | instskip(NEXT) | instid1(SALU_CYCLE_1)
	s_lshl_b64 s[20:21], s[20:21], 2
	s_add_u32 s20, s13, s20
	s_addc_u32 s21, s16, s21
	;; [unrolled: 10-line block ×5, first 2 shown]
	s_clause 0x5
	s_load_b32 s28, s[6:7], 0x0
	s_load_b32 s8, s[8:9], 0x0
	;; [unrolled: 1-line block ×6, first 2 shown]
	s_mov_b32 s20, 0
	s_delay_alu instid0(SALU_CYCLE_1)
	s_mov_b32 s21, s20
	s_mov_b32 s22, s20
	;; [unrolled: 1-line block ×7, first 2 shown]
	s_delay_alu instid0(SALU_CYCLE_1)
	v_dual_mov_b32 v107, s27 :: v_dual_mov_b32 v106, s26
	v_dual_mov_b32 v104, s24 :: v_dual_mov_b32 v103, s23
	v_dual_mov_b32 v101, s21 :: v_dual_mov_b32 v102, s22
	v_mov_b32_e32 v100, s20
	s_waitcnt vmcnt(1)
	v_mad_i64_i32 v[1:2], null, v5, s5, s[2:3]
	v_lshlrev_b32_e32 v5, 4, v65
	s_waitcnt vmcnt(0)
	v_mad_i64_i32 v[3:4], null, v6, s5, s[2:3]
	s_or_b32 s2, s12, 0xc0
	s_delay_alu instid0(SALU_CYCLE_1) | instskip(NEXT) | instid1(VALU_DEP_3)
	s_ashr_i32 s3, s2, 5
	v_add_co_u32 v33, vcc_lo, v1, v5
	s_delay_alu instid0(VALU_DEP_4) | instskip(NEXT) | instid1(VALU_DEP_3)
	v_add_co_ci_u32_e32 v34, vcc_lo, 0, v2, vcc_lo
	v_add_co_u32 v35, vcc_lo, v3, v5
	s_delay_alu instid0(VALU_DEP_4)
	v_add_co_ci_u32_e32 v36, vcc_lo, 0, v4, vcc_lo
	s_clause 0xf
	global_load_b128 v[1:4], v[33:34], off
	global_load_b128 v[5:8], v[33:34], off offset:512
	global_load_b128 v[9:12], v[35:36], off offset:256
	global_load_b128 v[13:16], v[35:36], off offset:768
	global_load_b128 v[17:20], v[33:34], off offset:1024
	global_load_b128 v[21:24], v[33:34], off offset:1536
	global_load_b128 v[25:28], v[35:36], off offset:1280
	global_load_b128 v[29:32], v[35:36], off offset:1792
	global_load_b128 v[57:60], v[33:34], off offset:2048
	global_load_b128 v[61:64], v[33:34], off offset:2560
	global_load_b128 v[76:79], v[35:36], off offset:2304
	global_load_b128 v[80:83], v[35:36], off offset:2816
	global_load_b128 v[84:87], v[33:34], off offset:3072
	global_load_b128 v[88:91], v[33:34], off offset:3584
	global_load_b128 v[92:95], v[35:36], off offset:3328
	global_load_b128 v[96:99], v[35:36], off offset:3840
	s_cmp_lt_i32 s2, s17
	v_add_nc_u32_e32 v33, -11, v65
	s_cselect_b32 s2, s3, s4
	v_cmp_gt_u32_e32 vcc_lo, 11, v65
	s_ashr_i32 s3, s2, 31
	v_lshlrev_b32_e32 v34, 5, v65
	s_lshl_b64 s[2:3], s[2:3], 2
	s_delay_alu instid0(SALU_CYCLE_1)
	s_add_u32 s2, s13, s2
	s_addc_u32 s3, s16, s3
	s_or_b32 s6, s12, 0xe0
	v_cndmask_b32_e32 v33, v33, v65, vcc_lo
	s_ashr_i32 s7, s6, 5
	s_cmp_lt_i32 s6, s17
	v_mov_b32_e32 v105, s25
	s_cselect_b32 s6, s7, s4
	v_lshlrev_b32_e32 v72, 6, v33
	s_ashr_i32 s7, s6, 31
	v_lshl_or_b32 v41, v66, 9, v34
	s_lshl_b64 s[6:7], s[6:7], 2
	ds_load_b128 v[33:36], v72
	ds_load_b128 v[37:40], v72 offset:1024
	ds_load_b128 v[108:111], v72 offset:2048
	;; [unrolled: 1-line block ×3, first 2 shown]
	s_load_b32 s4, s[2:3], 0x0
	s_add_u32 s2, s13, s6
	s_addc_u32 s3, s16, s7
	ds_load_b128 v[116:119], v72 offset:4096
	ds_load_b128 v[120:123], v72 offset:5120
	s_load_b32 s2, s[2:3], 0x0
	s_add_u32 s6, s10, s15
	s_addc_u32 s7, s11, s19
	v_add_co_u32 v68, s6, s6, v41
	s_delay_alu instid0(VALU_DEP_1) | instskip(SKIP_1) | instid1(VALU_DEP_1)
	v_add_co_ci_u32_e64 v69, null, s7, 0, s6
	s_waitcnt lgkmcnt(0)
	v_mad_i64_i32 v[41:42], null, s28, s5, v[68:69]
	v_mad_i64_i32 v[70:71], null, s9, s5, v[68:69]
	;; [unrolled: 1-line block ×7, first 2 shown]
	s_clause 0x3
	global_load_b128 v[49:52], v[41:42], off
	global_load_b128 v[53:56], v[41:42], off offset:16
	global_load_b128 v[41:44], v[45:46], off
	global_load_b128 v[45:48], v[45:46], off offset:16
	s_waitcnt vmcnt(18)
	v_wmma_f32_16x16x16_bf16 v[124:131], v[1:8], v[33:40], v[100:107]
	s_waitcnt vmcnt(16)
	v_wmma_f32_16x16x16_bf16 v[100:107], v[9:16], v[33:40], v[100:107]
	s_clause 0x1
	global_load_b128 v[33:36], v[70:71], off
	global_load_b128 v[37:40], v[70:71], off offset:16
	v_mad_i64_i32 v[70:71], null, s2, s5, v[68:69]
	s_waitcnt vmcnt(16)
	v_wmma_f32_16x16x16_bf16 v[124:131], v[17:24], v[108:115], v[124:131]
	s_waitcnt vmcnt(14)
	v_wmma_f32_16x16x16_bf16 v[100:107], v[25:32], v[108:115], v[100:107]
	s_clause 0x7
	global_load_b128 v[25:28], v[132:133], off
	global_load_b128 v[29:32], v[132:133], off offset:16
	global_load_b128 v[1:4], v[134:135], off
	global_load_b128 v[5:8], v[134:135], off offset:16
	;; [unrolled: 2-line block ×4, first 2 shown]
	s_waitcnt vmcnt(20)
	v_wmma_f32_16x16x16_bf16 v[124:131], v[57:64], v[116:123], v[124:131]
	s_clause 0x1
	global_load_b128 v[57:60], v[70:71], off
	global_load_b128 v[61:64], v[70:71], off offset:16
	s_waitcnt vmcnt(20)
	v_wmma_f32_16x16x16_bf16 v[100:107], v[76:83], v[116:123], v[100:107]
	ds_load_b128 v[76:79], v72 offset:6144
	ds_load_b128 v[80:83], v72 offset:7168
	v_and_b32_e32 v68, 0xe0, v0
	v_mbcnt_lo_u32_b32 v69, -1, 0
	s_waitcnt vmcnt(0) lgkmcnt(0)
	s_barrier
	buffer_gl0_inv
	v_add_nc_u32_e32 v68, s12, v68
	v_xor_b32_e32 v70, 16, v69
	s_delay_alu instid0(VALU_DEP_2) | instskip(NEXT) | instid1(VALU_DEP_2)
	v_or_b32_e32 v68, v68, v74
	v_cmp_gt_i32_e32 vcc_lo, 32, v70
	s_delay_alu instid0(VALU_DEP_2)
	v_or_b32_e32 v71, 4, v68
	v_or_b32_e32 v72, 6, v68
	v_cmp_gt_i32_e64 s2, s17, v68
	v_or_b32_e32 v108, 8, v68
	v_wmma_f32_16x16x16_bf16 v[124:131], v[84:91], v[76:83], v[124:131]
	v_cndmask_b32_e32 v69, v69, v70, vcc_lo
	v_or_b32_e32 v70, 2, v68
	v_wmma_f32_16x16x16_bf16 v[100:107], v[92:99], v[76:83], v[100:107]
	v_or_b32_e32 v109, 10, v68
	v_dual_mul_f32 v80, s18, v129 :: v_dual_mul_f32 v81, s18, v128
	v_dual_mul_f32 v92, s18, v125 :: v_dual_mul_f32 v93, s18, v124
	s_delay_alu instid0(VALU_DEP_4)
	v_mul_f32_e32 v96, s18, v105
	v_cmp_gt_i32_e32 vcc_lo, s17, v70
	v_or_b32_e32 v89, 22, v68
	v_dual_mul_f32 v79, s18, v130 :: v_dual_mul_f32 v82, s18, v127
	v_dual_mul_f32 v83, s18, v126 :: v_dual_mul_f32 v94, s18, v107
	v_cndmask_b32_e64 v93, 0xff7fffff, v93, s2
	v_cndmask_b32_e32 v92, 0xff7fffff, v92, vcc_lo
	v_cmp_gt_i32_e64 s3, s17, v71
	v_cmp_gt_i32_e64 s4, s17, v72
	v_or_b32_e32 v84, 12, v68
	v_or_b32_e32 v85, 14, v68
	v_cmp_gt_i32_e64 s5, s17, v108
	v_cndmask_b32_e64 v71, 0xff7fffff, v83, s3
	v_cndmask_b32_e64 v72, 0xff7fffff, v82, s4
	v_cmp_gt_i32_e64 s6, s17, v109
	v_cmp_gt_i32_e64 s12, s17, v89
	v_lshlrev_b32_e32 v89, 2, v69
	v_max3_f32 v82, v93, 0xff7fffff, v92
	v_or_b32_e32 v86, 16, v68
	v_or_b32_e32 v87, 18, v68
	v_mul_f32_e32 v78, s18, v131
	v_cndmask_b32_e64 v81, 0xff7fffff, v81, s5
	v_cndmask_b32_e64 v80, 0xff7fffff, v80, s6
	v_max3_f32 v71, v82, v71, v72
	v_cmp_gt_i32_e64 s7, s17, v84
	v_cmp_gt_i32_e64 s8, s17, v85
	v_or_b32_e32 v88, 20, v68
	v_or_b32_e32 v90, 24, v68
	;; [unrolled: 1-line block ×5, first 2 shown]
	v_dual_mul_f32 v97, s18, v104 :: v_dual_mul_f32 v70, s18, v101
	v_dual_mul_f32 v99, s18, v102 :: v_dual_mul_f32 v68, s18, v100
	v_cndmask_b32_e64 v72, 0xff7fffff, v79, s7
	v_cndmask_b32_e64 v78, 0xff7fffff, v78, s8
	v_max3_f32 v71, v71, v81, v80
	v_cmp_gt_i32_e64 s9, s17, v86
	v_cmp_gt_i32_e64 s10, s17, v87
	v_dual_mul_f32 v95, s18, v106 :: v_dual_mul_f32 v98, s18, v103
	s_delay_alu instid0(VALU_DEP_4) | instskip(NEXT) | instid1(VALU_DEP_4)
	v_max3_f32 v71, v71, v72, v78
	v_cndmask_b32_e64 v68, 0xff7fffff, v68, s9
	s_delay_alu instid0(VALU_DEP_4)
	v_cndmask_b32_e64 v70, 0xff7fffff, v70, s10
	v_cmp_gt_i32_e64 s11, s17, v88
	v_cndmask_b32_e64 v78, 0xff7fffff, v98, s12
	v_cmp_gt_i32_e64 s13, s17, v90
	v_cmp_gt_i32_e64 s15, s17, v91
	v_max3_f32 v68, v71, v68, v70
	v_cndmask_b32_e64 v72, 0xff7fffff, v99, s11
	v_cmp_gt_i32_e64 s16, s17, v76
	v_cndmask_b32_e64 v70, 0xff7fffff, v97, s13
	v_cndmask_b32_e64 v71, 0xff7fffff, v96, s15
	v_cmp_gt_i32_e64 s17, s17, v77
	v_max3_f32 v68, v68, v72, v78
	v_cndmask_b32_e64 v72, 0xff7fffff, v95, s16
	s_delay_alu instid0(VALU_DEP_3) | instskip(NEXT) | instid1(VALU_DEP_3)
	v_cndmask_b32_e64 v76, 0xff7fffff, v94, s17
	v_max3_f32 v68, v68, v70, v71
	s_delay_alu instid0(VALU_DEP_1) | instskip(SKIP_3) | instid1(VALU_DEP_1)
	v_max3_f32 v68, v68, v72, v76
	ds_bpermute_b32 v69, v89, v68
	s_waitcnt lgkmcnt(0)
	v_max_f32_e32 v69, v69, v69
	v_max_f32_e32 v68, v68, v69
	s_delay_alu instid0(VALU_DEP_1) | instskip(NEXT) | instid1(VALU_DEP_1)
	v_fma_f32 v71, s18, v126, -v68
	v_mul_f32_e32 v71, 0x3fb8aa3b, v71
	v_fma_f32 v70, s18, v125, -v68
	v_fma_f32 v69, s18, v124, -v68
	;; [unrolled: 1-line block ×5, first 2 shown]
	s_delay_alu instid0(VALU_DEP_4) | instskip(SKIP_1) | instid1(VALU_DEP_3)
	v_dual_mul_f32 v70, 0x3fb8aa3b, v70 :: v_dual_mul_f32 v69, 0x3fb8aa3b, v69
	v_exp_f32_e32 v71, v71
	v_mul_f32_e32 v72, 0x3fb8aa3b, v72
	v_fma_f32 v81, s18, v105, -v68
	s_delay_alu instid0(VALU_DEP_3)
	v_exp_f32_e32 v70, v70
	v_mul_f32_e32 v77, 0x3fb8aa3b, v76
	v_exp_f32_e32 v69, v69
	v_exp_f32_e32 v72, v72
	v_mul_f32_e32 v81, 0x3fb8aa3b, v81
	v_cndmask_b32_e64 v83, 0, v71, s3
	v_fma_f32 v71, s18, v131, -v68
	s_delay_alu instid0(VALU_DEP_3) | instskip(SKIP_4) | instid1(TRANS32_DEP_3)
	v_exp_f32_e32 v81, v81
	v_cndmask_b32_e32 v76, 0, v70, vcc_lo
	v_exp_f32_e32 v77, v77
	v_cndmask_b32_e64 v80, 0, v69, s2
	v_fma_f32 v69, s18, v129, -v68
	v_cndmask_b32_e64 v85, 0, v72, s4
	v_mul_f32_e32 v71, 0x3fb8aa3b, v71
	v_fma_f32 v72, s18, v100, -v68
	s_delay_alu instid0(VALU_DEP_4) | instskip(SKIP_1) | instid1(VALU_DEP_4)
	v_dual_add_f32 v70, 0, v80 :: v_dual_mul_f32 v69, 0x3fb8aa3b, v69
	v_cmp_gt_u32_e64 s2, 16, v67
	v_exp_f32_e32 v71, v71
	s_delay_alu instid0(TRANS32_DEP_2) | instskip(SKIP_4) | instid1(VALU_DEP_3)
	v_cndmask_b32_e64 v86, 0, v77, s5
	v_fma_f32 v77, s18, v101, -v68
	v_mul_f32_e32 v78, 0x3fb8aa3b, v78
	v_add_f32_e32 v70, v70, v76
	v_exp_f32_e32 v69, v69
	v_mul_f32_e32 v77, 0x3fb8aa3b, v77
	s_delay_alu instid0(VALU_DEP_3) | instskip(NEXT) | instid1(TRANS32_DEP_3)
	v_exp_f32_e32 v78, v78
	v_cndmask_b32_e64 v88, 0, v71, s8
	v_fma_f32 v71, s18, v104, -v68
	s_delay_alu instid0(VALU_DEP_3) | instskip(NEXT) | instid1(TRANS32_DEP_3)
	v_exp_f32_e32 v77, v77
	v_cndmask_b32_e64 v87, 0, v69, s6
	s_delay_alu instid0(VALU_DEP_2)
	v_mul_f32_e32 v71, 0x3fb8aa3b, v71
	s_waitcnt_depctr 0xfff
	v_cndmask_b32_e64 v84, 0, v78, s7
	v_add_f32_e32 v70, v70, v83
	v_fma_f32 v78, s18, v103, -v68
	v_exp_f32_e32 v82, v71
	s_delay_alu instid0(VALU_DEP_2) | instskip(SKIP_1) | instid1(VALU_DEP_3)
	v_add_f32_e32 v70, v70, v85
	v_mul_f32_e32 v72, 0x3fb8aa3b, v72
	v_mul_f32_e32 v78, 0x3fb8aa3b, v78
	s_delay_alu instid0(VALU_DEP_3) | instskip(SKIP_1) | instid1(VALU_DEP_4)
	v_add_f32_e32 v69, v70, v86
	v_fma_f32 v70, s18, v102, -v68
	v_exp_f32_e32 v72, v72
	s_delay_alu instid0(VALU_DEP_3) | instskip(NEXT) | instid1(VALU_DEP_1)
	v_exp_f32_e32 v78, v78
	v_dual_add_f32 v69, v69, v87 :: v_dual_mul_f32 v70, 0x3fb8aa3b, v70
	s_delay_alu instid0(VALU_DEP_1) | instskip(NEXT) | instid1(VALU_DEP_2)
	v_add_f32_e32 v69, v69, v84
	v_exp_f32_e32 v79, v70
	s_delay_alu instid0(TRANS32_DEP_3) | instskip(NEXT) | instid1(VALU_DEP_2)
	v_cndmask_b32_e64 v70, 0, v72, s9
	v_add_f32_e32 v72, v69, v88
	v_cndmask_b32_e64 v69, 0, v77, s10
	v_fma_f32 v77, s18, v106, -v68
	s_waitcnt_depctr 0xfff
	v_cndmask_b32_e64 v71, 0, v79, s11
	v_dual_mul_f32 v77, 0x3fb8aa3b, v77 :: v_dual_add_f32 v72, v72, v70
	s_delay_alu instid0(VALU_DEP_1) | instskip(NEXT) | instid1(VALU_DEP_1)
	v_exp_f32_e32 v90, v77
	v_add_f32_e32 v79, v72, v69
	v_cndmask_b32_e64 v72, 0, v78, s12
	v_cndmask_b32_e64 v77, 0, v82, s13
	s_delay_alu instid0(VALU_DEP_3) | instskip(SKIP_1) | instid1(VALU_DEP_1)
	v_add_f32_e32 v78, v79, v71
	v_fma_f32 v79, s18, v107, -v68
	v_dual_add_f32 v82, v78, v72 :: v_dual_mul_f32 v79, 0x3fb8aa3b, v79
	v_cndmask_b32_e64 v78, 0, v81, s15
	s_delay_alu instid0(VALU_DEP_2) | instskip(NEXT) | instid1(VALU_DEP_3)
	v_add_f32_e32 v81, v82, v77
	v_exp_f32_e32 v82, v79
	v_cndmask_b32_e64 v79, 0, v90, s16
	s_delay_alu instid0(VALU_DEP_2) | instskip(NEXT) | instid1(VALU_DEP_1)
	v_add_f32_e32 v81, v81, v78
	v_add_f32_e32 v90, v81, v79
	s_waitcnt_depctr 0xfff
	v_cndmask_b32_e64 v81, 0, v82, s17
	s_delay_alu instid0(VALU_DEP_1)
	v_add_f32_e32 v82, v90, v81
	ds_bpermute_b32 v89, v89, v82
	s_and_saveexec_b32 s3, s2
	s_cbranch_execz .LBB1636_12
; %bb.11:
	v_mul_u32_u24_e32 v67, 0x44, v66
	s_delay_alu instid0(VALU_DEP_1) | instskip(SKIP_1) | instid1(VALU_DEP_1)
	v_lshl_add_u32 v67, v65, 2, v67
	s_waitcnt lgkmcnt(0)
	v_dual_add_f32 v82, v82, v89 :: v_dual_add_nc_u32 v67, 0x4000, v67
	ds_store_2addr_b32 v67, v68, v82 offset1:136
.LBB1636_12:
	s_or_b32 exec_lo, exec_lo, s3
	v_lshlrev_b32_e32 v67, 2, v65
	s_waitcnt lgkmcnt(0)
	s_barrier
	buffer_gl0_inv
	v_cmp_eq_u32_e32 vcc_lo, 1, v66
	v_add_nc_u32_e32 v82, 0x4000, v67
	v_cmp_eq_u32_e64 s3, 2, v66
	v_cmp_eq_u32_e64 s5, 7, v66
	ds_load_2addr_b32 v[89:90], v82 offset1:17
	ds_load_2addr_b32 v[91:92], v82 offset0:34 offset1:51
	ds_load_2addr_b32 v[93:94], v82 offset0:68 offset1:85
	;; [unrolled: 1-line block ×4, first 2 shown]
	s_waitcnt lgkmcnt(4)
	v_max3_f32 v67, v89, 0xff7fffff, v90
	s_waitcnt lgkmcnt(3)
	s_delay_alu instid0(VALU_DEP_1) | instskip(SKIP_1) | instid1(VALU_DEP_1)
	v_max3_f32 v67, v67, v91, v92
	s_waitcnt lgkmcnt(2)
	v_max3_f32 v67, v67, v93, v94
	s_waitcnt lgkmcnt(1)
	s_delay_alu instid0(VALU_DEP_1) | instskip(NEXT) | instid1(VALU_DEP_1)
	v_max3_f32 v67, v67, v95, v96
	v_sub_f32_e32 v93, v93, v67
	s_delay_alu instid0(VALU_DEP_1) | instskip(NEXT) | instid1(VALU_DEP_1)
	v_dual_sub_f32 v68, v89, v67 :: v_dual_mul_f32 v103, 0x3fb8aa3b, v93
	v_mul_f32_e32 v68, 0x3fb8aa3b, v68
	s_delay_alu instid0(VALU_DEP_1)
	v_exp_f32_e32 v100, v68
	v_sub_f32_e32 v68, v92, v67
	v_sub_f32_e32 v99, v90, v67
	ds_load_2addr_b32 v[89:90], v82 offset0:170 offset1:187
	v_dual_mul_f32 v102, 0x3fb8aa3b, v68 :: v_dual_mul_f32 v99, 0x3fb8aa3b, v99
	s_waitcnt lgkmcnt(1)
	v_fma_f32 v68, v100, v97, 0
	s_delay_alu instid0(VALU_DEP_2) | instskip(NEXT) | instid1(VALU_DEP_2)
	v_exp_f32_e32 v102, v102
	v_exp_f32_e32 v99, v99
	s_waitcnt_depctr 0xfff
	v_fmac_f32_e32 v68, v99, v98
	v_sub_f32_e32 v91, v91, v67
	s_delay_alu instid0(VALU_DEP_1)
	v_mul_f32_e32 v101, 0x3fb8aa3b, v91
	ds_load_2addr_b32 v[91:92], v82 offset0:204 offset1:221
	v_sub_f32_e32 v97, v94, v67
	ds_load_2addr_b32 v[93:94], v82 offset0:238 offset1:255
	s_waitcnt lgkmcnt(0)
	v_exp_f32_e32 v101, v101
	s_barrier
	buffer_gl0_inv
	v_dual_fmac_f32 v68, v101, v89 :: v_dual_sub_f32 v89, v96, v67
	v_dual_sub_f32 v82, v95, v67 :: v_dual_mul_f32 v95, 0x3fb8aa3b, v97
	v_exp_f32_e32 v97, v103
	s_delay_alu instid0(VALU_DEP_2) | instskip(NEXT) | instid1(VALU_DEP_2)
	v_dual_fmac_f32 v68, v102, v90 :: v_dual_mul_f32 v89, 0x3fb8aa3b, v89
	v_mul_f32_e32 v82, 0x3fb8aa3b, v82
	s_delay_alu instid0(VALU_DEP_3) | instskip(NEXT) | instid1(VALU_DEP_2)
	v_exp_f32_e32 v95, v95
	v_exp_f32_e32 v89, v89
	s_delay_alu instid0(VALU_DEP_1)
	v_exp_f32_e32 v82, v82
	v_fmac_f32_e32 v68, v97, v91
	s_delay_alu instid0(TRANS32_DEP_3) | instid1(VALU_DEP_1)
	v_fmac_f32_e32 v68, v95, v92
	s_waitcnt_depctr 0xfff
	v_fmac_f32_e32 v68, v82, v93
	s_delay_alu instid0(VALU_DEP_1) | instskip(NEXT) | instid1(VALU_DEP_1)
	v_fmac_f32_e32 v68, v89, v94
	v_add_f32_e32 v90, 0x358637bd, v68
	s_delay_alu instid0(VALU_DEP_1) | instskip(NEXT) | instid1(VALU_DEP_1)
	v_div_scale_f32 v91, null, v90, v90, 1.0
	v_rcp_f32_e32 v92, v91
	s_waitcnt_depctr 0xfff
	v_fma_f32 v93, -v91, v92, 1.0
	s_delay_alu instid0(VALU_DEP_1) | instskip(SKIP_1) | instid1(VALU_DEP_2)
	v_dual_fmac_f32 v92, v93, v92 :: v_dual_cndmask_b32 v93, v100, v99
	v_cmp_eq_u32_e32 vcc_lo, 3, v66
	v_cndmask_b32_e64 v93, v93, v101, s3
	v_cmp_eq_u32_e64 s3, 4, v66
	s_delay_alu instid0(VALU_DEP_2) | instskip(SKIP_1) | instid1(VALU_DEP_2)
	v_cndmask_b32_e32 v93, v93, v102, vcc_lo
	v_cmp_eq_u32_e32 vcc_lo, 5, v66
	v_cndmask_b32_e64 v93, v93, v97, s3
	v_cmp_eq_u32_e64 s3, 6, v66
	s_delay_alu instid0(VALU_DEP_2) | instskip(SKIP_1) | instid1(VALU_DEP_1)
	v_cndmask_b32_e32 v93, v93, v95, vcc_lo
	v_div_scale_f32 v94, s4, 1.0, v90, 1.0
	s_mov_b32 vcc_lo, s4
	s_delay_alu instid0(VALU_DEP_2) | instskip(NEXT) | instid1(VALU_DEP_2)
	v_cndmask_b32_e64 v82, v93, v82, s3
	v_mul_f32_e32 v96, v94, v92
	s_mov_b32 s3, exec_lo
	s_delay_alu instid0(VALU_DEP_2) | instskip(NEXT) | instid1(VALU_DEP_2)
	v_cndmask_b32_e64 v82, v82, v89, s5
	v_fma_f32 v98, -v91, v96, v94
	s_delay_alu instid0(VALU_DEP_1) | instskip(NEXT) | instid1(VALU_DEP_1)
	v_fmac_f32_e32 v96, v98, v92
	v_fma_f32 v91, -v91, v96, v94
	s_delay_alu instid0(VALU_DEP_1) | instskip(NEXT) | instid1(VALU_DEP_1)
	v_div_fmas_f32 v91, v91, v92, v96
	v_div_fixup_f32 v90, v91, v90, 1.0
	s_delay_alu instid0(VALU_DEP_1) | instskip(NEXT) | instid1(VALU_DEP_1)
	v_mul_f32_e32 v82, v82, v90
	v_mul_f32_e32 v87, v82, v87
	;; [unrolled: 1-line block ×7, first 2 shown]
	v_dual_mul_f32 v86, v82, v83 :: v_dual_and_b32 v91, 0x7f800000, v90
	v_mul_f32_e32 v85, v82, v76
                                        ; implicit-def: $vgpr76
	s_delay_alu instid0(VALU_DEP_2)
	v_cmpx_ne_u32_e32 0x7f800000, v91
	s_xor_b32 s3, exec_lo, s3
; %bb.13:
	v_bfe_u32 v76, v90, 16, 1
	s_delay_alu instid0(VALU_DEP_1)
	v_add3_u32 v76, v90, v76, 0x7fff
                                        ; implicit-def: $vgpr90
; %bb.14:
	s_and_not1_saveexec_b32 s3, s3
; %bb.15:
	v_and_b32_e32 v76, 0xffff, v90
	v_or_b32_e32 v83, 0x10000, v90
	s_delay_alu instid0(VALU_DEP_2) | instskip(NEXT) | instid1(VALU_DEP_2)
	v_cmp_eq_u32_e32 vcc_lo, 0, v76
	v_cndmask_b32_e32 v76, v83, v90, vcc_lo
; %bb.16:
	s_or_b32 exec_lo, exec_lo, s3
	v_and_b32_e32 v83, 0x7f800000, v85
	s_delay_alu instid0(VALU_DEP_1) | instskip(SKIP_1) | instid1(SALU_CYCLE_1)
	v_cmp_ne_u32_e32 vcc_lo, 0x7f800000, v83
                                        ; implicit-def: $vgpr83
	s_and_saveexec_b32 s3, vcc_lo
	s_xor_b32 s3, exec_lo, s3
; %bb.17:
	v_bfe_u32 v83, v85, 16, 1
	s_delay_alu instid0(VALU_DEP_1)
	v_add3_u32 v83, v85, v83, 0x7fff
                                        ; implicit-def: $vgpr85
; %bb.18:
	s_and_not1_saveexec_b32 s3, s3
; %bb.19:
	v_and_b32_e32 v83, 0xffff, v85
	v_or_b32_e32 v90, 0x10000, v85
	s_delay_alu instid0(VALU_DEP_2) | instskip(NEXT) | instid1(VALU_DEP_2)
	v_cmp_eq_u32_e32 vcc_lo, 0, v83
	v_cndmask_b32_e32 v83, v90, v85, vcc_lo
; %bb.20:
	s_or_b32 exec_lo, exec_lo, s3
	v_and_b32_e32 v85, 0x7f800000, v86
	s_delay_alu instid0(VALU_DEP_1) | instskip(SKIP_1) | instid1(SALU_CYCLE_1)
	v_cmp_ne_u32_e32 vcc_lo, 0x7f800000, v85
                                        ; implicit-def: $vgpr85
	s_and_saveexec_b32 s3, vcc_lo
	s_xor_b32 s3, exec_lo, s3
; %bb.21:
	v_bfe_u32 v85, v86, 16, 1
	s_delay_alu instid0(VALU_DEP_1)
	v_add3_u32 v85, v86, v85, 0x7fff
                                        ; implicit-def: $vgpr86
; %bb.22:
	s_and_not1_saveexec_b32 s3, s3
; %bb.23:
	v_and_b32_e32 v85, 0xffff, v86
	v_or_b32_e32 v90, 0x10000, v86
	s_delay_alu instid0(VALU_DEP_2) | instskip(NEXT) | instid1(VALU_DEP_2)
	v_cmp_eq_u32_e32 vcc_lo, 0, v85
	v_cndmask_b32_e32 v85, v90, v86, vcc_lo
; %bb.24:
	s_or_b32 exec_lo, exec_lo, s3
	v_and_b32_e32 v86, 0x7f800000, v89
	s_delay_alu instid0(VALU_DEP_1) | instskip(SKIP_1) | instid1(SALU_CYCLE_1)
	v_cmp_ne_u32_e32 vcc_lo, 0x7f800000, v86
                                        ; implicit-def: $vgpr86
	s_and_saveexec_b32 s3, vcc_lo
	s_xor_b32 s3, exec_lo, s3
; %bb.25:
	v_bfe_u32 v86, v89, 16, 1
	s_delay_alu instid0(VALU_DEP_1)
	v_add3_u32 v86, v89, v86, 0x7fff
                                        ; implicit-def: $vgpr89
; %bb.26:
	s_and_not1_saveexec_b32 s3, s3
; %bb.27:
	v_and_b32_e32 v86, 0xffff, v89
	v_or_b32_e32 v90, 0x10000, v89
	s_delay_alu instid0(VALU_DEP_2) | instskip(NEXT) | instid1(VALU_DEP_2)
	v_cmp_eq_u32_e32 vcc_lo, 0, v86
	v_cndmask_b32_e32 v86, v90, v89, vcc_lo
; %bb.28:
	s_or_b32 exec_lo, exec_lo, s3
	v_and_b32_e32 v89, 0x7f800000, v88
	s_delay_alu instid0(VALU_DEP_1) | instskip(SKIP_1) | instid1(SALU_CYCLE_1)
	v_cmp_ne_u32_e32 vcc_lo, 0x7f800000, v89
                                        ; implicit-def: $vgpr89
	s_and_saveexec_b32 s3, vcc_lo
	s_xor_b32 s3, exec_lo, s3
; %bb.29:
	v_bfe_u32 v89, v88, 16, 1
	s_delay_alu instid0(VALU_DEP_1)
	v_add3_u32 v89, v88, v89, 0x7fff
                                        ; implicit-def: $vgpr88
; %bb.30:
	s_and_not1_saveexec_b32 s3, s3
; %bb.31:
	v_and_b32_e32 v89, 0xffff, v88
	v_or_b32_e32 v90, 0x10000, v88
	s_delay_alu instid0(VALU_DEP_2) | instskip(NEXT) | instid1(VALU_DEP_2)
	v_cmp_eq_u32_e32 vcc_lo, 0, v89
	v_cndmask_b32_e32 v89, v90, v88, vcc_lo
; %bb.32:
	s_or_b32 exec_lo, exec_lo, s3
	v_and_b32_e32 v88, 0x7f800000, v87
	s_delay_alu instid0(VALU_DEP_1) | instskip(SKIP_1) | instid1(SALU_CYCLE_1)
	v_cmp_ne_u32_e32 vcc_lo, 0x7f800000, v88
                                        ; implicit-def: $vgpr88
	s_and_saveexec_b32 s3, vcc_lo
	s_xor_b32 s3, exec_lo, s3
; %bb.33:
	v_bfe_u32 v88, v87, 16, 1
	s_delay_alu instid0(VALU_DEP_1)
	v_add3_u32 v88, v87, v88, 0x7fff
                                        ; implicit-def: $vgpr87
; %bb.34:
	s_and_not1_saveexec_b32 s3, s3
; %bb.35:
	v_and_b32_e32 v88, 0xffff, v87
	v_or_b32_e32 v90, 0x10000, v87
	s_delay_alu instid0(VALU_DEP_2) | instskip(NEXT) | instid1(VALU_DEP_2)
	v_cmp_eq_u32_e32 vcc_lo, 0, v88
	v_cndmask_b32_e32 v88, v90, v87, vcc_lo
; %bb.36:
	s_or_b32 exec_lo, exec_lo, s3
	v_and_b32_e32 v87, 0x7f800000, v84
	s_delay_alu instid0(VALU_DEP_1) | instskip(SKIP_1) | instid1(SALU_CYCLE_1)
	v_cmp_ne_u32_e32 vcc_lo, 0x7f800000, v87
                                        ; implicit-def: $vgpr87
	s_and_saveexec_b32 s3, vcc_lo
	s_xor_b32 s3, exec_lo, s3
; %bb.37:
	v_bfe_u32 v87, v84, 16, 1
	s_delay_alu instid0(VALU_DEP_1)
	v_add3_u32 v87, v84, v87, 0x7fff
                                        ; implicit-def: $vgpr84
; %bb.38:
	s_and_not1_saveexec_b32 s3, s3
; %bb.39:
	v_and_b32_e32 v87, 0xffff, v84
	v_or_b32_e32 v90, 0x10000, v84
	s_delay_alu instid0(VALU_DEP_2) | instskip(NEXT) | instid1(VALU_DEP_2)
	v_cmp_eq_u32_e32 vcc_lo, 0, v87
	v_cndmask_b32_e32 v87, v90, v84, vcc_lo
; %bb.40:
	s_or_b32 exec_lo, exec_lo, s3
	v_and_b32_e32 v84, 0x7f800000, v80
	s_delay_alu instid0(VALU_DEP_1) | instskip(SKIP_1) | instid1(SALU_CYCLE_1)
	v_cmp_ne_u32_e32 vcc_lo, 0x7f800000, v84
                                        ; implicit-def: $vgpr84
	s_and_saveexec_b32 s3, vcc_lo
	s_xor_b32 s3, exec_lo, s3
; %bb.41:
	v_bfe_u32 v84, v80, 16, 1
	s_delay_alu instid0(VALU_DEP_1)
	v_add3_u32 v84, v80, v84, 0x7fff
                                        ; implicit-def: $vgpr80
; %bb.42:
	s_and_not1_saveexec_b32 s3, s3
; %bb.43:
	v_and_b32_e32 v84, 0xffff, v80
	v_or_b32_e32 v90, 0x10000, v80
	s_delay_alu instid0(VALU_DEP_2) | instskip(NEXT) | instid1(VALU_DEP_2)
	v_cmp_eq_u32_e32 vcc_lo, 0, v84
	v_cndmask_b32_e32 v84, v90, v80, vcc_lo
; %bb.44:
	s_or_b32 exec_lo, exec_lo, s3
	s_load_b64 s[34:35], s[0:1], 0x94
	v_lshlrev_b32_e32 v91, 4, v74
	s_delay_alu instid0(VALU_DEP_2)
	v_perm_b32 v90, v84, v87, 0x7060302
	v_dual_mul_f32 v79, v82, v79 :: v_dual_lshlrev_b32 v80, 6, v65
	v_dual_mul_f32 v77, v82, v77 :: v_dual_lshlrev_b32 v92, 11, v66
	v_mul_f32_e32 v84, v82, v70
	v_perm_b32 v89, v88, v89, 0x7060302
	v_perm_b32 v88, v86, v85, 0x7060302
	;; [unrolled: 1-line block ×3, first 2 shown]
	v_mul_f32_e32 v70, v82, v81
	v_or3_b32 v76, v91, v92, v80
	v_dual_mul_f32 v78, v82, v78 :: v_dual_and_b32 v85, 0x7f800000, v84
	v_mul_f32_e32 v83, v82, v72
	v_mul_f32_e32 v81, v82, v71
	;; [unrolled: 1-line block ×3, first 2 shown]
	s_mov_b32 s3, exec_lo
	ds_store_b128 v76, v[87:90]
                                        ; implicit-def: $vgpr69
	v_cmpx_ne_u32_e32 0x7f800000, v85
	s_xor_b32 s3, exec_lo, s3
; %bb.45:
	v_bfe_u32 v69, v84, 16, 1
	s_delay_alu instid0(VALU_DEP_1)
	v_add3_u32 v69, v84, v69, 0x7fff
                                        ; implicit-def: $vgpr84
; %bb.46:
	s_and_not1_saveexec_b32 s3, s3
; %bb.47:
	v_and_b32_e32 v69, 0xffff, v84
	v_or_b32_e32 v71, 0x10000, v84
	s_delay_alu instid0(VALU_DEP_2) | instskip(NEXT) | instid1(VALU_DEP_2)
	v_cmp_eq_u32_e32 vcc_lo, 0, v69
	v_cndmask_b32_e32 v69, v71, v84, vcc_lo
; %bb.48:
	s_or_b32 exec_lo, exec_lo, s3
	v_and_b32_e32 v71, 0x7f800000, v72
	s_delay_alu instid0(VALU_DEP_1) | instskip(SKIP_1) | instid1(SALU_CYCLE_1)
	v_cmp_ne_u32_e32 vcc_lo, 0x7f800000, v71
                                        ; implicit-def: $vgpr71
	s_and_saveexec_b32 s3, vcc_lo
	s_xor_b32 s3, exec_lo, s3
; %bb.49:
	v_bfe_u32 v71, v72, 16, 1
	s_delay_alu instid0(VALU_DEP_1)
	v_add3_u32 v71, v72, v71, 0x7fff
                                        ; implicit-def: $vgpr72
; %bb.50:
	s_and_not1_saveexec_b32 s3, s3
; %bb.51:
	v_and_b32_e32 v71, 0xffff, v72
	v_or_b32_e32 v82, 0x10000, v72
	s_delay_alu instid0(VALU_DEP_2) | instskip(NEXT) | instid1(VALU_DEP_2)
	v_cmp_eq_u32_e32 vcc_lo, 0, v71
	v_cndmask_b32_e32 v71, v82, v72, vcc_lo
; %bb.52:
	s_or_b32 exec_lo, exec_lo, s3
	v_and_b32_e32 v72, 0x7f800000, v81
	s_delay_alu instid0(VALU_DEP_1) | instskip(SKIP_1) | instid1(SALU_CYCLE_1)
	v_cmp_ne_u32_e32 vcc_lo, 0x7f800000, v72
                                        ; implicit-def: $vgpr72
	s_and_saveexec_b32 s3, vcc_lo
	s_xor_b32 s3, exec_lo, s3
; %bb.53:
	v_bfe_u32 v72, v81, 16, 1
	s_delay_alu instid0(VALU_DEP_1)
	v_add3_u32 v72, v81, v72, 0x7fff
                                        ; implicit-def: $vgpr81
; %bb.54:
	s_and_not1_saveexec_b32 s3, s3
; %bb.55:
	v_and_b32_e32 v72, 0xffff, v81
	v_or_b32_e32 v82, 0x10000, v81
	s_delay_alu instid0(VALU_DEP_2) | instskip(NEXT) | instid1(VALU_DEP_2)
	v_cmp_eq_u32_e32 vcc_lo, 0, v72
	v_cndmask_b32_e32 v72, v82, v81, vcc_lo
; %bb.56:
	s_or_b32 exec_lo, exec_lo, s3
	v_and_b32_e32 v81, 0x7f800000, v83
	s_delay_alu instid0(VALU_DEP_1) | instskip(SKIP_1) | instid1(SALU_CYCLE_1)
	v_cmp_ne_u32_e32 vcc_lo, 0x7f800000, v81
                                        ; implicit-def: $vgpr81
	s_and_saveexec_b32 s3, vcc_lo
	s_xor_b32 s3, exec_lo, s3
; %bb.57:
	v_bfe_u32 v81, v83, 16, 1
	s_delay_alu instid0(VALU_DEP_1)
	v_add3_u32 v81, v83, v81, 0x7fff
                                        ; implicit-def: $vgpr83
; %bb.58:
	s_and_not1_saveexec_b32 s3, s3
; %bb.59:
	v_and_b32_e32 v81, 0xffff, v83
	v_or_b32_e32 v82, 0x10000, v83
	s_delay_alu instid0(VALU_DEP_2) | instskip(NEXT) | instid1(VALU_DEP_2)
	v_cmp_eq_u32_e32 vcc_lo, 0, v81
	v_cndmask_b32_e32 v81, v82, v83, vcc_lo
; %bb.60:
	s_or_b32 exec_lo, exec_lo, s3
	v_and_b32_e32 v82, 0x7f800000, v77
	s_delay_alu instid0(VALU_DEP_1) | instskip(SKIP_1) | instid1(SALU_CYCLE_1)
	v_cmp_ne_u32_e32 vcc_lo, 0x7f800000, v82
                                        ; implicit-def: $vgpr82
	s_and_saveexec_b32 s3, vcc_lo
	s_xor_b32 s3, exec_lo, s3
; %bb.61:
	v_bfe_u32 v82, v77, 16, 1
	s_delay_alu instid0(VALU_DEP_1)
	v_add3_u32 v82, v77, v82, 0x7fff
                                        ; implicit-def: $vgpr77
; %bb.62:
	s_and_not1_saveexec_b32 s3, s3
; %bb.63:
	v_and_b32_e32 v82, 0xffff, v77
	v_or_b32_e32 v83, 0x10000, v77
	s_delay_alu instid0(VALU_DEP_2) | instskip(NEXT) | instid1(VALU_DEP_2)
	v_cmp_eq_u32_e32 vcc_lo, 0, v82
	v_cndmask_b32_e32 v82, v83, v77, vcc_lo
; %bb.64:
	s_or_b32 exec_lo, exec_lo, s3
	v_and_b32_e32 v77, 0x7f800000, v78
	s_delay_alu instid0(VALU_DEP_1) | instskip(SKIP_1) | instid1(SALU_CYCLE_1)
	v_cmp_ne_u32_e32 vcc_lo, 0x7f800000, v77
                                        ; implicit-def: $vgpr77
	s_and_saveexec_b32 s3, vcc_lo
	s_xor_b32 s3, exec_lo, s3
; %bb.65:
	v_bfe_u32 v77, v78, 16, 1
	s_delay_alu instid0(VALU_DEP_1)
	v_add3_u32 v77, v78, v77, 0x7fff
                                        ; implicit-def: $vgpr78
; %bb.66:
	s_and_not1_saveexec_b32 s3, s3
; %bb.67:
	v_and_b32_e32 v77, 0xffff, v78
	v_or_b32_e32 v83, 0x10000, v78
	s_delay_alu instid0(VALU_DEP_2) | instskip(NEXT) | instid1(VALU_DEP_2)
	v_cmp_eq_u32_e32 vcc_lo, 0, v77
	v_cndmask_b32_e32 v77, v83, v78, vcc_lo
; %bb.68:
	s_or_b32 exec_lo, exec_lo, s3
	v_and_b32_e32 v78, 0x7f800000, v79
	s_delay_alu instid0(VALU_DEP_1) | instskip(SKIP_1) | instid1(SALU_CYCLE_1)
	v_cmp_ne_u32_e32 vcc_lo, 0x7f800000, v78
                                        ; implicit-def: $vgpr78
	s_and_saveexec_b32 s3, vcc_lo
	s_xor_b32 s3, exec_lo, s3
; %bb.69:
	v_bfe_u32 v78, v79, 16, 1
	s_delay_alu instid0(VALU_DEP_1)
	v_add3_u32 v78, v79, v78, 0x7fff
                                        ; implicit-def: $vgpr79
; %bb.70:
	s_and_not1_saveexec_b32 s3, s3
; %bb.71:
	v_and_b32_e32 v78, 0xffff, v79
	v_or_b32_e32 v83, 0x10000, v79
	s_delay_alu instid0(VALU_DEP_2) | instskip(NEXT) | instid1(VALU_DEP_2)
	v_cmp_eq_u32_e32 vcc_lo, 0, v78
	v_cndmask_b32_e32 v78, v83, v79, vcc_lo
; %bb.72:
	s_or_b32 exec_lo, exec_lo, s3
	v_and_b32_e32 v79, 0x7f800000, v70
	s_delay_alu instid0(VALU_DEP_1) | instskip(SKIP_1) | instid1(SALU_CYCLE_1)
	v_cmp_ne_u32_e32 vcc_lo, 0x7f800000, v79
                                        ; implicit-def: $vgpr79
	s_and_saveexec_b32 s3, vcc_lo
	s_xor_b32 s3, exec_lo, s3
; %bb.73:
	v_bfe_u32 v79, v70, 16, 1
	s_delay_alu instid0(VALU_DEP_1)
	v_add3_u32 v79, v70, v79, 0x7fff
                                        ; implicit-def: $vgpr70
; %bb.74:
	s_and_not1_saveexec_b32 s3, s3
; %bb.75:
	v_and_b32_e32 v79, 0xffff, v70
	v_or_b32_e32 v83, 0x10000, v70
	s_delay_alu instid0(VALU_DEP_2) | instskip(NEXT) | instid1(VALU_DEP_2)
	v_cmp_eq_u32_e32 vcc_lo, 0, v79
	v_cndmask_b32_e32 v79, v83, v70, vcc_lo
; %bb.76:
	s_or_b32 exec_lo, exec_lo, s3
	s_delay_alu instid0(VALU_DEP_1)
	v_perm_b32 v86, v79, v78, 0x7060302
	v_perm_b32 v85, v77, v82, 0x7060302
	;; [unrolled: 1-line block ×4, first 2 shown]
	v_lshl_or_b32 v82, v66, 11, v80
	ds_store_b128 v76, v[83:86] offset:1024
	s_waitcnt lgkmcnt(0)
	s_barrier
	buffer_gl0_inv
	ds_load_b128 v[69:72], v82
	ds_load_b128 v[83:86], v82 offset:16
	s_waitcnt lgkmcnt(1)
	v_lshrrev_b32_e32 v66, 16, v69
	s_waitcnt lgkmcnt(0)
	v_lshrrev_b32_e32 v91, 16, v83
	v_lshlrev_b32_e32 v78, 2, v74
	v_lshrrev_b32_e32 v95, 16, v70
	v_lshrrev_b32_e32 v98, 16, v84
	;; [unrolled: 1-line block ×4, first 2 shown]
	v_cmp_eq_u32_e32 vcc_lo, 1, v78
	v_lshrrev_b32_e32 v97, 16, v72
	v_lshrrev_b32_e32 v100, 16, v86
	v_cndmask_b32_e32 v87, v83, v91, vcc_lo
	v_or_b32_e32 v79, 1, v78
	v_cndmask_b32_e32 v81, v69, v66, vcc_lo
	v_cmp_eq_u32_e64 s4, 2, v78
	v_cmp_eq_u32_e64 s7, 3, v78
	;; [unrolled: 1-line block ×5, first 2 shown]
	v_cndmask_b32_e64 v81, v81, v70, s4
	v_cndmask_b32_e64 v87, v87, v84, s4
	v_cmp_eq_u32_e64 s8, 3, v79
	v_cndmask_b32_e64 v88, v69, v66, s3
	v_or_b32_e32 v77, 2, v78
	v_cndmask_b32_e64 v81, v81, v95, s7
	v_cndmask_b32_e64 v87, v87, v98, s7
	;; [unrolled: 1-line block ×4, first 2 shown]
	v_cmp_eq_u32_e64 s10, 5, v78
	v_cndmask_b32_e64 v81, v81, v71, s9
	v_cndmask_b32_e64 v87, v87, v85, s9
	v_cmp_eq_u32_e64 s11, 4, v79
	v_cndmask_b32_e64 v88, v88, v95, s8
	v_cmp_eq_u32_e64 s5, 1, v77
	v_cndmask_b32_e64 v89, v89, v84, s6
	v_cndmask_b32_e64 v81, v81, v96, s10
	v_cmp_eq_u32_e64 s12, 6, v78
	v_cndmask_b32_e64 v88, v88, v71, s11
	;; [unrolled: 3-line block ×3, first 2 shown]
	v_cndmask_b32_e64 v89, v89, v98, s8
	v_cndmask_b32_e64 v81, v81, v72, s12
	v_cmp_eq_u32_e64 s15, 7, v78
	v_cndmask_b32_e64 v88, v88, v96, s13
	v_cndmask_b32_e64 v87, v87, v86, s12
	v_cmp_eq_u32_e64 s16, 6, v79
	v_cmp_eq_u32_e64 s17, 2, v77
	v_cndmask_b32_e64 v89, v89, v85, s11
	v_cndmask_b32_e64 v101, v81, v97, s15
	;; [unrolled: 1-line block ×6, first 2 shown]
	v_cmp_eq_u32_e64 s18, 7, v79
	v_cmp_eq_u32_e64 s19, 3, v77
	;; [unrolled: 1-line block ×4, first 2 shown]
	v_cndmask_b32_e64 v87, v87, v84, s17
	v_cndmask_b32_e64 v103, v88, v97, s18
	;; [unrolled: 1-line block ×4, first 2 shown]
	v_or_b32_e32 v81, 3, v78
	v_cndmask_b32_e64 v93, v87, v98, s19
	v_cmp_eq_u32_e64 s24, 6, v77
	v_cndmask_b32_e64 v104, v88, v86, s16
	v_cndmask_b32_e64 v92, v89, v71, s20
	v_cmp_eq_u32_e64 s21, 1, v81
	ds_load_b128 v[87:90], v82 offset:1024
	v_cmp_eq_u32_e64 s23, 2, v81
	v_cmp_eq_u32_e64 s25, 3, v81
	v_cndmask_b32_e64 v105, v92, v96, s22
	v_cndmask_b32_e64 v66, v69, v66, s21
	;; [unrolled: 1-line block ×4, first 2 shown]
	ds_load_b128 v[91:94], v82 offset:1040
	v_cmp_eq_u32_e64 s26, 4, v81
	v_cndmask_b32_e64 v66, v66, v70, s23
	v_cmp_eq_u32_e64 s27, 7, v77
	v_cndmask_b32_e64 v70, v83, v84, s23
	v_cndmask_b32_e64 v84, v105, v72, s24
	v_cmp_eq_u32_e64 s28, 5, v81
	v_cndmask_b32_e64 v66, v66, v95, s25
	v_cmp_eq_u32_e64 s29, 6, v81
	v_cndmask_b32_e64 v70, v70, v98, s25
	v_cndmask_b32_e64 v69, v69, v99, s22
	;; [unrolled: 1-line block ×4, first 2 shown]
	s_waitcnt lgkmcnt(1)
	v_lshrrev_b32_e32 v95, 16, v87
	v_cndmask_b32_e64 v70, v70, v85, s26
	v_cndmask_b32_e64 v71, v84, v97, s27
	;; [unrolled: 1-line block ×4, first 2 shown]
	v_cndmask_b32_e32 v84, v87, v95, vcc_lo
	v_cndmask_b32_e64 v70, v70, v99, s28
	s_waitcnt lgkmcnt(0)
	v_lshrrev_b32_e32 v85, 16, v91
	v_lshrrev_b32_e32 v96, 16, v88
	v_cndmask_b32_e64 v98, v87, v95, s3
	v_cndmask_b32_e64 v84, v84, v88, s4
	;; [unrolled: 1-line block ×3, first 2 shown]
	v_cndmask_b32_e32 v99, v91, v85, vcc_lo
	v_cmp_eq_u32_e32 vcc_lo, 7, v81
	v_cndmask_b32_e64 v66, v66, v72, s29
	v_cndmask_b32_e64 v72, v84, v96, s7
	;; [unrolled: 1-line block ×3, first 2 shown]
	v_lshrrev_b32_e32 v98, 16, v92
	v_cndmask_b32_e32 v70, v70, v100, vcc_lo
	v_cndmask_b32_e64 v86, v99, v92, s4
	v_cndmask_b32_e64 v69, v69, v100, s27
	v_lshrrev_b32_e32 v100, 16, v93
	v_cndmask_b32_e64 v72, v72, v89, s9
	v_lshrrev_b32_e32 v99, 16, v89
	v_cndmask_b32_e64 v86, v86, v98, s7
	v_perm_b32 v71, v69, v71, 0x5040100
	v_cndmask_b32_e64 v84, v84, v96, s8
	s_delay_alu instid0(VALU_DEP_3) | instskip(NEXT) | instid1(VALU_DEP_2)
	v_cndmask_b32_e64 v86, v86, v93, s9
	v_cndmask_b32_e64 v84, v84, v89, s11
	s_delay_alu instid0(VALU_DEP_2) | instskip(NEXT) | instid1(VALU_DEP_1)
	v_cndmask_b32_e64 v86, v86, v100, s10
	v_cndmask_b32_e64 v69, v86, v94, s12
	;; [unrolled: 1-line block ×5, first 2 shown]
	s_delay_alu instid0(VALU_DEP_3) | instskip(NEXT) | instid1(VALU_DEP_3)
	v_cndmask_b32_e64 v86, v86, v88, s17
	v_cndmask_b32_e64 v87, v87, v88, s23
	s_delay_alu instid0(VALU_DEP_3) | instskip(NEXT) | instid1(VALU_DEP_3)
	v_cndmask_b32_e64 v88, v95, v92, s23
	v_cndmask_b32_e64 v86, v86, v96, s19
	;; [unrolled: 3-line block ×7, first 2 shown]
	s_delay_alu instid0(VALU_DEP_3) | instskip(SKIP_2) | instid1(VALU_DEP_2)
	v_cndmask_b32_e64 v88, v88, v94, s29
	v_cndmask_b32_e32 v66, v66, v97, vcc_lo
	v_cndmask_b32_e64 v97, v72, v99, s10
	v_perm_b32 v72, v70, v66, 0x5040100
	v_perm_b32 v70, v83, v103, 0x5040100
	v_cndmask_b32_e64 v103, v91, v85, s5
	v_cndmask_b32_e64 v85, v91, v85, s3
	;; [unrolled: 1-line block ×4, first 2 shown]
	v_lshrrev_b32_e32 v97, 16, v90
	v_cndmask_b32_e64 v91, v103, v92, s17
	v_cndmask_b32_e64 v85, v85, v92, s6
	;; [unrolled: 1-line block ×3, first 2 shown]
	s_mov_b32 s3, exec_lo
	v_cndmask_b32_e64 v83, v84, v97, s15
	v_cndmask_b32_e64 v91, v91, v98, s19
	;; [unrolled: 1-line block ×3, first 2 shown]
	v_lshrrev_b32_e32 v84, 16, v94
	v_cndmask_b32_e64 v66, v66, v97, s18
	v_cndmask_b32_e64 v90, v86, v97, s27
	;; [unrolled: 1-line block ×4, first 2 shown]
	v_dual_cndmask_b32 v86, v87, v97 :: v_dual_cndmask_b32 v87, v88, v84
	v_cndmask_b32_e64 v91, v69, v84, s15
	s_delay_alu instid0(VALU_DEP_4) | instskip(NEXT) | instid1(VALU_DEP_4)
	v_cndmask_b32_e64 v89, v89, v100, s22
	v_cndmask_b32_e64 v85, v85, v100, s13
	v_perm_b32 v69, v102, v101, 0x5040100
	v_perm_b32 v86, v87, v86, 0x5040100
	;; [unrolled: 1-line block ×3, first 2 shown]
	v_cndmask_b32_e64 v89, v89, v94, s24
	v_cndmask_b32_e64 v85, v85, v94, s16
	s_mul_i32 s8, s35, 11
	s_delay_alu instid0(VALU_DEP_2) | instskip(NEXT) | instid1(VALU_DEP_2)
	v_cndmask_b32_e64 v88, v89, v84, s27
	v_cndmask_b32_e64 v89, v85, v84, s18
	s_delay_alu instid0(VALU_DEP_2) | instskip(NEXT) | instid1(VALU_DEP_2)
	v_perm_b32 v85, v88, v90, 0x5040100
	v_perm_b32 v84, v89, v66, 0x5040100
	ds_store_b128 v76, v[69:72]
	ds_store_b128 v76, v[83:86] offset:1024
	v_cmpx_gt_u32_e32 11, v0
	s_cbranch_execz .LBB1636_78
; %bb.77:
	s_mul_i32 s4, s8, s30
	s_delay_alu instid0(SALU_CYCLE_1) | instskip(SKIP_1) | instid1(VALU_DEP_1)
	v_add3_u32 v69, s4, s31, v65
	s_load_b128 s[4:7], s[0:1], 0x58
	v_mad_u64_u32 v[65:66], null, v69, s34, s[14:15]
	s_delay_alu instid0(VALU_DEP_1) | instskip(NEXT) | instid1(VALU_DEP_1)
	v_ashrrev_i32_e32 v66, 31, v65
	v_lshlrev_b64 v[65:66], 2, v[65:66]
	s_waitcnt lgkmcnt(0)
	s_delay_alu instid0(VALU_DEP_1) | instskip(NEXT) | instid1(VALU_DEP_2)
	v_add_co_u32 v69, vcc_lo, s6, v65
	v_add_co_ci_u32_e32 v70, vcc_lo, s7, v66, vcc_lo
	v_add_co_u32 v65, vcc_lo, s4, v65
	v_add_co_ci_u32_e32 v66, vcc_lo, s5, v66, vcc_lo
	global_store_b32 v[69:70], v67, off
	global_store_b32 v[65:66], v68, off
.LBB1636_78:
	s_or_b32 exec_lo, exec_lo, s3
	s_waitcnt lgkmcnt(0)
	s_waitcnt_vscnt null, 0x0
	s_barrier
	buffer_gl0_inv
	ds_load_b128 v[83:86], v80
	ds_load_b128 v[87:90], v80 offset:16
	ds_load_b128 v[95:98], v80 offset:2064
	;; [unrolled: 1-line block ×3, first 2 shown]
	v_mov_b32_e32 v65, 0
	ds_load_b128 v[103:106], v80 offset:4112
	ds_load_b128 v[99:102], v80 offset:4096
	;; [unrolled: 1-line block ×4, first 2 shown]
	v_mov_b32_e32 v66, v65
	v_mov_b32_e32 v67, v65
	;; [unrolled: 1-line block ×7, first 2 shown]
	s_waitcnt lgkmcnt(6)
	s_delay_alu instid0(VALU_DEP_1)
	v_wmma_f32_16x16x16_bf16 v[65:72], v[49:56], v[83:90], v[65:72]
	ds_load_b128 v[53:56], v80 offset:8208
	ds_load_b128 v[49:52], v80 offset:8192
	s_waitcnt lgkmcnt(6)
	v_wmma_f32_16x16x16_bf16 v[65:72], v[41:48], v[91:98], v[65:72]
	ds_load_b128 v[45:48], v80 offset:10256
	ds_load_b128 v[41:44], v80 offset:10240
	s_waitcnt lgkmcnt(6)
	;; [unrolled: 4-line block ×4, first 2 shown]
	v_wmma_f32_16x16x16_bf16 v[65:72], v[1:8], v[49:56], v[65:72]
	s_waitcnt lgkmcnt(4)
	s_delay_alu instid0(VALU_DEP_1) | instskip(SKIP_1) | instid1(VALU_DEP_1)
	v_wmma_f32_16x16x16_bf16 v[65:72], v[9:16], v[41:48], v[65:72]
	s_waitcnt lgkmcnt(2)
	v_wmma_f32_16x16x16_bf16 v[65:72], v[17:24], v[33:40], v[65:72]
	s_waitcnt lgkmcnt(0)
	s_delay_alu instid0(VALU_DEP_1) | instskip(NEXT) | instid1(VALU_DEP_1)
	v_wmma_f32_16x16x16_bf16 v[65:72], v[57:64], v[25:32], v[65:72]
	v_and_b32_e32 v1, 0x7f800000, v65
	s_delay_alu instid0(VALU_DEP_1) | instskip(SKIP_1) | instid1(SALU_CYCLE_1)
	v_cmp_ne_u32_e32 vcc_lo, 0x7f800000, v1
                                        ; implicit-def: $vgpr1
	s_and_saveexec_b32 s3, vcc_lo
	s_xor_b32 s3, exec_lo, s3
; %bb.79:
	v_bfe_u32 v1, v65, 16, 1
	s_delay_alu instid0(VALU_DEP_1)
	v_add3_u32 v1, v65, v1, 0x7fff
; %bb.80:
	s_and_not1_saveexec_b32 s3, s3
; %bb.81:
	v_and_b32_e32 v1, 0xffff, v65
	v_or_b32_e32 v2, 0x10000, v65
	s_delay_alu instid0(VALU_DEP_2) | instskip(NEXT) | instid1(VALU_DEP_2)
	v_cmp_eq_u32_e32 vcc_lo, 0, v1
	v_cndmask_b32_e32 v1, v2, v65, vcc_lo
; %bb.82:
	s_or_b32 exec_lo, exec_lo, s3
	v_and_b32_e32 v2, 0x7f800000, v66
	s_delay_alu instid0(VALU_DEP_1) | instskip(SKIP_1) | instid1(SALU_CYCLE_1)
	v_cmp_ne_u32_e32 vcc_lo, 0x7f800000, v2
                                        ; implicit-def: $vgpr2
	s_and_saveexec_b32 s3, vcc_lo
	s_xor_b32 s3, exec_lo, s3
; %bb.83:
	v_bfe_u32 v2, v66, 16, 1
	s_delay_alu instid0(VALU_DEP_1)
	v_add3_u32 v2, v66, v2, 0x7fff
; %bb.84:
	s_and_not1_saveexec_b32 s3, s3
; %bb.85:
	v_and_b32_e32 v2, 0xffff, v66
	v_or_b32_e32 v3, 0x10000, v66
	s_delay_alu instid0(VALU_DEP_2) | instskip(NEXT) | instid1(VALU_DEP_2)
	v_cmp_eq_u32_e32 vcc_lo, 0, v2
	v_cndmask_b32_e32 v2, v3, v66, vcc_lo
; %bb.86:
	s_or_b32 exec_lo, exec_lo, s3
	v_and_b32_e32 v3, 0x7f800000, v67
	s_delay_alu instid0(VALU_DEP_1) | instskip(SKIP_1) | instid1(SALU_CYCLE_1)
	v_cmp_ne_u32_e32 vcc_lo, 0x7f800000, v3
                                        ; implicit-def: $vgpr3
	s_and_saveexec_b32 s3, vcc_lo
	s_xor_b32 s3, exec_lo, s3
; %bb.87:
	v_bfe_u32 v3, v67, 16, 1
	s_delay_alu instid0(VALU_DEP_1)
	v_add3_u32 v3, v67, v3, 0x7fff
; %bb.88:
	s_and_not1_saveexec_b32 s3, s3
; %bb.89:
	v_and_b32_e32 v3, 0xffff, v67
	v_or_b32_e32 v4, 0x10000, v67
	s_delay_alu instid0(VALU_DEP_2) | instskip(NEXT) | instid1(VALU_DEP_2)
	v_cmp_eq_u32_e32 vcc_lo, 0, v3
	v_cndmask_b32_e32 v3, v4, v67, vcc_lo
; %bb.90:
	s_or_b32 exec_lo, exec_lo, s3
	v_and_b32_e32 v4, 0x7f800000, v68
	s_delay_alu instid0(VALU_DEP_1) | instskip(SKIP_1) | instid1(SALU_CYCLE_1)
	v_cmp_ne_u32_e32 vcc_lo, 0x7f800000, v4
                                        ; implicit-def: $vgpr4
	s_and_saveexec_b32 s3, vcc_lo
	s_xor_b32 s3, exec_lo, s3
; %bb.91:
	v_bfe_u32 v4, v68, 16, 1
	s_delay_alu instid0(VALU_DEP_1)
	v_add3_u32 v4, v68, v4, 0x7fff
; %bb.92:
	s_and_not1_saveexec_b32 s3, s3
; %bb.93:
	v_and_b32_e32 v4, 0xffff, v68
	v_or_b32_e32 v5, 0x10000, v68
	s_delay_alu instid0(VALU_DEP_2) | instskip(NEXT) | instid1(VALU_DEP_2)
	v_cmp_eq_u32_e32 vcc_lo, 0, v4
	v_cndmask_b32_e32 v4, v5, v68, vcc_lo
; %bb.94:
	s_or_b32 exec_lo, exec_lo, s3
	v_and_b32_e32 v5, 0x7f800000, v69
	s_delay_alu instid0(VALU_DEP_1) | instskip(SKIP_1) | instid1(SALU_CYCLE_1)
	v_cmp_ne_u32_e32 vcc_lo, 0x7f800000, v5
                                        ; implicit-def: $vgpr5
	s_and_saveexec_b32 s3, vcc_lo
	s_xor_b32 s3, exec_lo, s3
; %bb.95:
	v_bfe_u32 v5, v69, 16, 1
	s_delay_alu instid0(VALU_DEP_1)
	v_add3_u32 v5, v69, v5, 0x7fff
; %bb.96:
	s_and_not1_saveexec_b32 s3, s3
; %bb.97:
	v_and_b32_e32 v5, 0xffff, v69
	v_or_b32_e32 v6, 0x10000, v69
	s_delay_alu instid0(VALU_DEP_2) | instskip(NEXT) | instid1(VALU_DEP_2)
	v_cmp_eq_u32_e32 vcc_lo, 0, v5
	v_cndmask_b32_e32 v5, v6, v69, vcc_lo
; %bb.98:
	s_or_b32 exec_lo, exec_lo, s3
	v_and_b32_e32 v6, 0x7f800000, v70
	s_delay_alu instid0(VALU_DEP_1) | instskip(SKIP_1) | instid1(SALU_CYCLE_1)
	v_cmp_ne_u32_e32 vcc_lo, 0x7f800000, v6
                                        ; implicit-def: $vgpr6
	s_and_saveexec_b32 s3, vcc_lo
	s_xor_b32 s3, exec_lo, s3
; %bb.99:
	v_bfe_u32 v6, v70, 16, 1
	s_delay_alu instid0(VALU_DEP_1)
	v_add3_u32 v6, v70, v6, 0x7fff
; %bb.100:
	s_and_not1_saveexec_b32 s3, s3
; %bb.101:
	v_and_b32_e32 v6, 0xffff, v70
	v_or_b32_e32 v7, 0x10000, v70
	s_delay_alu instid0(VALU_DEP_2) | instskip(NEXT) | instid1(VALU_DEP_2)
	v_cmp_eq_u32_e32 vcc_lo, 0, v6
	v_cndmask_b32_e32 v6, v7, v70, vcc_lo
; %bb.102:
	s_or_b32 exec_lo, exec_lo, s3
	v_and_b32_e32 v7, 0x7f800000, v71
	s_delay_alu instid0(VALU_DEP_1) | instskip(SKIP_1) | instid1(SALU_CYCLE_1)
	v_cmp_ne_u32_e32 vcc_lo, 0x7f800000, v7
                                        ; implicit-def: $vgpr7
	s_and_saveexec_b32 s3, vcc_lo
	s_xor_b32 s3, exec_lo, s3
; %bb.103:
	v_bfe_u32 v7, v71, 16, 1
	s_delay_alu instid0(VALU_DEP_1)
	v_add3_u32 v7, v71, v7, 0x7fff
; %bb.104:
	s_and_not1_saveexec_b32 s3, s3
; %bb.105:
	v_and_b32_e32 v7, 0xffff, v71
	v_or_b32_e32 v8, 0x10000, v71
	s_delay_alu instid0(VALU_DEP_2) | instskip(NEXT) | instid1(VALU_DEP_2)
	v_cmp_eq_u32_e32 vcc_lo, 0, v7
	v_cndmask_b32_e32 v7, v8, v71, vcc_lo
; %bb.106:
	s_or_b32 exec_lo, exec_lo, s3
	v_and_b32_e32 v8, 0x7f800000, v72
	s_delay_alu instid0(VALU_DEP_1) | instskip(SKIP_1) | instid1(SALU_CYCLE_1)
	v_cmp_ne_u32_e32 vcc_lo, 0x7f800000, v8
                                        ; implicit-def: $vgpr8
	s_and_saveexec_b32 s3, vcc_lo
	s_xor_b32 s3, exec_lo, s3
; %bb.107:
	v_bfe_u32 v8, v72, 16, 1
	s_delay_alu instid0(VALU_DEP_1)
	v_add3_u32 v8, v72, v8, 0x7fff
                                        ; implicit-def: $vgpr65_vgpr66_vgpr67_vgpr68_vgpr69_vgpr70_vgpr71_vgpr72
; %bb.108:
	s_and_not1_saveexec_b32 s3, s3
; %bb.109:
	v_and_b32_e32 v8, 0xffff, v72
	v_or_b32_e32 v9, 0x10000, v72
	s_delay_alu instid0(VALU_DEP_2) | instskip(NEXT) | instid1(VALU_DEP_2)
	v_cmp_eq_u32_e32 vcc_lo, 0, v8
	v_cndmask_b32_e32 v8, v9, v72, vcc_lo
; %bb.110:
	s_or_b32 exec_lo, exec_lo, s3
	s_delay_alu instid0(VALU_DEP_1)
	v_perm_b32 v7, v8, v7, 0x7060302
	v_perm_b32 v6, v6, v5, 0x7060302
	;; [unrolled: 1-line block ×4, first 2 shown]
	s_barrier
	buffer_gl0_inv
	v_cmp_eq_u32_e32 vcc_lo, 1, v78
	ds_store_b128 v76, v[4:7]
	s_waitcnt lgkmcnt(0)
	s_barrier
	buffer_gl0_inv
	ds_load_b128 v[1:4], v82
	ds_load_b128 v[5:8], v82 offset:16
	v_cmp_eq_u32_e64 s3, 1, v79
	v_cmp_eq_u32_e64 s4, 2, v78
	;; [unrolled: 1-line block ×5, first 2 shown]
	s_waitcnt lgkmcnt(1)
	v_lshrrev_b32_e32 v9, 16, v1
	s_waitcnt lgkmcnt(0)
	v_lshrrev_b32_e32 v13, 16, v5
	v_lshrrev_b32_e32 v10, 16, v2
	;; [unrolled: 1-line block ×4, first 2 shown]
	v_cndmask_b32_e64 v19, v1, v9, s3
	v_cndmask_b32_e32 v18, v5, v13, vcc_lo
	v_cndmask_b32_e64 v20, v5, v13, s3
	v_cndmask_b32_e32 v17, v1, v9, vcc_lo
	v_cmp_eq_u32_e32 vcc_lo, 2, v79
	v_lshrrev_b32_e32 v15, 16, v7
	v_cmp_eq_u32_e64 s3, 1, v77
	v_lshrrev_b32_e32 v12, 16, v4
	v_lshrrev_b32_e32 v16, 16, v8
	v_cndmask_b32_e32 v20, v20, v6, vcc_lo
	v_cndmask_b32_e64 v17, v17, v2, s4
	v_cndmask_b32_e32 v19, v19, v2, vcc_lo
	v_cndmask_b32_e64 v18, v18, v6, s4
	v_cmp_eq_u32_e32 vcc_lo, 4, v78
	v_cmp_eq_u32_e64 s4, 3, v79
	v_cndmask_b32_e64 v17, v17, v10, s5
	v_cndmask_b32_e64 v21, v1, v9, s3
	;; [unrolled: 1-line block ×5, first 2 shown]
	v_cndmask_b32_e32 v17, v17, v3, vcc_lo
	v_cndmask_b32_e64 v20, v20, v14, s4
	v_cndmask_b32_e32 v18, v18, v7, vcc_lo
	v_cmp_eq_u32_e32 vcc_lo, 4, v79
	v_cmp_eq_u32_e64 s4, 5, v79
	v_cmp_eq_u32_e64 s3, 2, v81
	v_cndmask_b32_e64 v21, v21, v2, s7
	v_cmp_eq_u32_e64 s5, 5, v78
	v_cndmask_b32_e32 v19, v19, v3, vcc_lo
	v_cndmask_b32_e32 v20, v20, v7, vcc_lo
	v_cmp_eq_u32_e32 vcc_lo, 6, v79
	s_delay_alu instid0(VALU_DEP_4) | instskip(NEXT) | instid1(VALU_DEP_4)
	v_cndmask_b32_e64 v17, v17, v11, s5
	v_cndmask_b32_e64 v19, v19, v11, s4
	s_delay_alu instid0(VALU_DEP_4) | instskip(SKIP_1) | instid1(VALU_DEP_3)
	v_cndmask_b32_e64 v20, v20, v15, s4
	v_cmp_eq_u32_e64 s4, 1, v81
	v_cndmask_b32_e32 v19, v19, v4, vcc_lo
	v_cndmask_b32_e64 v18, v18, v15, s5
	s_delay_alu instid0(VALU_DEP_3)
	v_cndmask_b32_e64 v1, v1, v9, s4
	v_cndmask_b32_e64 v5, v5, v13, s4
	v_cmp_eq_u32_e64 s4, 3, v77
	v_cndmask_b32_e64 v13, v22, v6, s7
	v_cmp_eq_u32_e64 s7, 3, v81
	v_cndmask_b32_e64 v1, v1, v2, s3
	v_cndmask_b32_e64 v2, v5, v6, s3
	;; [unrolled: 1-line block ×3, first 2 shown]
	v_cmp_eq_u32_e64 s3, 4, v77
	v_cndmask_b32_e64 v6, v13, v14, s4
	v_cndmask_b32_e64 v1, v1, v10, s7
	v_cmp_eq_u32_e64 s4, 4, v81
	v_cndmask_b32_e64 v2, v2, v14, s7
	v_cndmask_b32_e64 v5, v9, v3, s3
	;; [unrolled: 3-line block ×3, first 2 shown]
	v_cndmask_b32_e64 v2, v2, v7, s4
	v_cmp_eq_u32_e64 s3, 5, v81
	v_cmp_eq_u32_e64 s5, 6, v78
	v_cndmask_b32_e64 v5, v5, v11, s7
	v_cmp_eq_u32_e64 s4, 6, v77
	v_cndmask_b32_e64 v3, v6, v15, s7
	v_cndmask_b32_e64 v1, v1, v11, s3
	v_cmp_eq_u32_e64 s7, 6, v81
	v_cndmask_b32_e64 v2, v2, v15, s3
	v_cndmask_b32_e64 v17, v17, v4, s5
	v_cndmask_b32_e64 v18, v18, v8, s5
	v_cmp_eq_u32_e64 s5, 7, v78
	v_cndmask_b32_e64 v5, v5, v4, s4
	;; [unrolled: 4-line block ×3, first 2 shown]
	v_cmp_eq_u32_e64 s4, 7, v77
	v_cndmask_b32_e32 v4, v20, v8, vcc_lo
	v_cndmask_b32_e64 v17, v17, v12, s5
	v_cndmask_b32_e64 v19, v19, v12, s6
	;; [unrolled: 1-line block ×8, first 2 shown]
	s_mov_b32 s3, exec_lo
	v_perm_b32 v4, v2, v1, 0x5040100
	v_perm_b32 v3, v3, v5, 0x5040100
	;; [unrolled: 1-line block ×4, first 2 shown]
	ds_store_b128 v76, v[1:4]
	s_waitcnt lgkmcnt(0)
	s_barrier
	buffer_gl0_inv
	v_cmpx_gt_u32_e32 32, v0
	s_cbranch_execz .LBB1636_2
; %bb.111:
	s_load_b64 s[4:5], s[0:1], 0x68
	v_lshlrev_b32_e32 v0, 10, v0
	v_lshlrev_b32_e32 v1, 4, v75
	s_lshl_b32 s0, s34, 7
	v_add_nc_u32_e32 v7, s31, v74
	s_mul_i32 s1, s0, s30
	s_delay_alu instid0(SALU_CYCLE_1) | instskip(SKIP_1) | instid1(VALU_DEP_2)
	s_mul_i32 s6, s1, s8
	v_and_or_b32 v0, 0x3800, v0, v1
	v_mul_lo_u32 v1, v7, s0
	v_add_nc_u32_e32 v2, 2, v7
	s_ashr_i32 s7, s6, 31
	v_add_nc_u32_e32 v4, 4, v7
	s_lshl_b64 s[6:7], s[6:7], 1
	v_add_nc_u32_e32 v8, 6, v7
	v_mul_lo_u32 v3, v2, s0
	v_lshl_or_b32 v19, v74, 6, v0
	v_ashrrev_i32_e32 v2, 31, v1
	v_mul_lo_u32 v11, v4, s0
	v_mul_lo_u32 v25, v8, s0
	s_waitcnt lgkmcnt(0)
	s_add_u32 s1, s4, s6
	s_addc_u32 s3, s5, s7
	s_lshl_b32 s4, s14, 7
	v_lshlrev_b64 v[5:6], 1, v[1:2]
	s_ashr_i32 s5, s4, 31
	v_ashrrev_i32_e32 v4, 31, v3
	s_lshl_b64 s[4:5], s[4:5], 1
	v_ashrrev_i32_e32 v12, 31, v11
	s_add_u32 s1, s1, s4
	s_addc_u32 s3, s3, s5
	v_add_co_u32 v1, s1, s1, v73
	s_delay_alu instid0(VALU_DEP_1) | instskip(SKIP_1) | instid1(VALU_DEP_3)
	v_add_co_ci_u32_e64 v2, null, s3, 0, s1
	v_lshlrev_b64 v[3:4], 1, v[3:4]
	v_add_co_u32 v23, vcc_lo, v1, v5
	v_add_nc_u32_e32 v5, 8, v7
	s_delay_alu instid0(VALU_DEP_4) | instskip(NEXT) | instid1(VALU_DEP_4)
	v_add_co_ci_u32_e32 v24, vcc_lo, v2, v6, vcc_lo
	v_add_co_u32 v27, vcc_lo, v1, v3
	s_delay_alu instid0(VALU_DEP_3)
	v_mul_lo_u32 v29, v5, s0
	v_add_co_ci_u32_e32 v28, vcc_lo, v2, v4, vcc_lo
	ds_load_b128 v[3:6], v19
	ds_load_b128 v[7:10], v19 offset:128
	v_lshlrev_b64 v[31:32], 1, v[11:12]
	ds_load_b128 v[11:14], v19 offset:256
	ds_load_b128 v[15:18], v19 offset:384
	;; [unrolled: 1-line block ×3, first 2 shown]
	v_ashrrev_i32_e32 v26, 31, v25
	v_ashrrev_i32_e32 v30, 31, v29
	v_add_co_u32 v31, vcc_lo, v1, v31
	s_delay_alu instid0(VALU_DEP_3) | instskip(NEXT) | instid1(VALU_DEP_3)
	v_lshlrev_b64 v[25:26], 1, v[25:26]
	v_lshlrev_b64 v[29:30], 1, v[29:30]
	v_add_co_ci_u32_e32 v32, vcc_lo, v2, v32, vcc_lo
	s_delay_alu instid0(VALU_DEP_3) | instskip(NEXT) | instid1(VALU_DEP_4)
	v_add_co_u32 v25, vcc_lo, v1, v25
	v_add_co_ci_u32_e32 v26, vcc_lo, v2, v26, vcc_lo
	s_delay_alu instid0(VALU_DEP_4)
	v_add_co_u32 v29, vcc_lo, v1, v29
	v_add_co_ci_u32_e32 v30, vcc_lo, v2, v30, vcc_lo
	s_waitcnt lgkmcnt(4)
	global_store_b128 v[23:24], v[3:6], off
	s_waitcnt lgkmcnt(3)
	global_store_b128 v[27:28], v[7:10], off
	;; [unrolled: 2-line block ×5, first 2 shown]
	s_and_b32 exec_lo, exec_lo, s2
	s_cbranch_execz .LBB1636_2
; %bb.112:
	ds_load_b128 v[3:6], v0 offset:640
	s_add_i32 s1, s31, 10
	s_delay_alu instid0(SALU_CYCLE_1) | instskip(NEXT) | instid1(SALU_CYCLE_1)
	s_mul_i32 s0, s1, s0
	s_ashr_i32 s1, s0, 31
	s_delay_alu instid0(SALU_CYCLE_1) | instskip(NEXT) | instid1(SALU_CYCLE_1)
	s_lshl_b64 s[0:1], s[0:1], 1
	v_add_co_u32 v0, vcc_lo, v1, s0
	v_add_co_ci_u32_e32 v1, vcc_lo, s1, v2, vcc_lo
	s_waitcnt lgkmcnt(0)
	global_store_b128 v[0:1], v[3:6], off
	s_nop 0
	s_sendmsg sendmsg(MSG_DEALLOC_VGPRS)
	s_endpgm
	.section	.rodata,"a",@progbits
	.p2align	6, 0x0
	.amdhsa_kernel _Z39paged_attention_ll4mi_QKV_mfma16_kernelI14__hip_bfloat16hLN4vllm18Fp8KVCacheDataTypeE1ES0_Li32ELi128ELi256ELb1ELi11EL8MFMAType1EEvPKT_PKT0_S9_ifPKiSB_SB_iPKfiiiPfSE_PS4_PT2_iSD_SD_
		.amdhsa_group_segment_fixed_size 17472
		.amdhsa_private_segment_fixed_size 0
		.amdhsa_kernarg_size 400
		.amdhsa_user_sgpr_count 13
		.amdhsa_user_sgpr_dispatch_ptr 0
		.amdhsa_user_sgpr_queue_ptr 0
		.amdhsa_user_sgpr_kernarg_segment_ptr 1
		.amdhsa_user_sgpr_dispatch_id 0
		.amdhsa_user_sgpr_private_segment_size 0
		.amdhsa_wavefront_size32 1
		.amdhsa_uses_dynamic_stack 0
		.amdhsa_enable_private_segment 0
		.amdhsa_system_sgpr_workgroup_id_x 1
		.amdhsa_system_sgpr_workgroup_id_y 1
		.amdhsa_system_sgpr_workgroup_id_z 1
		.amdhsa_system_sgpr_workgroup_info 0
		.amdhsa_system_vgpr_workitem_id 0
		.amdhsa_next_free_vgpr 140
		.amdhsa_next_free_sgpr 36
		.amdhsa_reserve_vcc 1
		.amdhsa_float_round_mode_32 0
		.amdhsa_float_round_mode_16_64 0
		.amdhsa_float_denorm_mode_32 3
		.amdhsa_float_denorm_mode_16_64 3
		.amdhsa_dx10_clamp 1
		.amdhsa_ieee_mode 1
		.amdhsa_fp16_overflow 0
		.amdhsa_workgroup_processor_mode 1
		.amdhsa_memory_ordered 1
		.amdhsa_forward_progress 0
		.amdhsa_shared_vgpr_count 0
		.amdhsa_exception_fp_ieee_invalid_op 0
		.amdhsa_exception_fp_denorm_src 0
		.amdhsa_exception_fp_ieee_div_zero 0
		.amdhsa_exception_fp_ieee_overflow 0
		.amdhsa_exception_fp_ieee_underflow 0
		.amdhsa_exception_fp_ieee_inexact 0
		.amdhsa_exception_int_div_zero 0
	.end_amdhsa_kernel
	.section	.text._Z39paged_attention_ll4mi_QKV_mfma16_kernelI14__hip_bfloat16hLN4vllm18Fp8KVCacheDataTypeE1ES0_Li32ELi128ELi256ELb1ELi11EL8MFMAType1EEvPKT_PKT0_S9_ifPKiSB_SB_iPKfiiiPfSE_PS4_PT2_iSD_SD_,"axG",@progbits,_Z39paged_attention_ll4mi_QKV_mfma16_kernelI14__hip_bfloat16hLN4vllm18Fp8KVCacheDataTypeE1ES0_Li32ELi128ELi256ELb1ELi11EL8MFMAType1EEvPKT_PKT0_S9_ifPKiSB_SB_iPKfiiiPfSE_PS4_PT2_iSD_SD_,comdat
.Lfunc_end1636:
	.size	_Z39paged_attention_ll4mi_QKV_mfma16_kernelI14__hip_bfloat16hLN4vllm18Fp8KVCacheDataTypeE1ES0_Li32ELi128ELi256ELb1ELi11EL8MFMAType1EEvPKT_PKT0_S9_ifPKiSB_SB_iPKfiiiPfSE_PS4_PT2_iSD_SD_, .Lfunc_end1636-_Z39paged_attention_ll4mi_QKV_mfma16_kernelI14__hip_bfloat16hLN4vllm18Fp8KVCacheDataTypeE1ES0_Li32ELi128ELi256ELb1ELi11EL8MFMAType1EEvPKT_PKT0_S9_ifPKiSB_SB_iPKfiiiPfSE_PS4_PT2_iSD_SD_
                                        ; -- End function
	.section	.AMDGPU.csdata,"",@progbits
; Kernel info:
; codeLenInByte = 9048
; NumSgprs: 38
; NumVgprs: 140
; ScratchSize: 0
; MemoryBound: 0
; FloatMode: 240
; IeeeMode: 1
; LDSByteSize: 17472 bytes/workgroup (compile time only)
; SGPRBlocks: 4
; VGPRBlocks: 17
; NumSGPRsForWavesPerEU: 38
; NumVGPRsForWavesPerEU: 140
; Occupancy: 10
; WaveLimiterHint : 1
; COMPUTE_PGM_RSRC2:SCRATCH_EN: 0
; COMPUTE_PGM_RSRC2:USER_SGPR: 13
; COMPUTE_PGM_RSRC2:TRAP_HANDLER: 0
; COMPUTE_PGM_RSRC2:TGID_X_EN: 1
; COMPUTE_PGM_RSRC2:TGID_Y_EN: 1
; COMPUTE_PGM_RSRC2:TGID_Z_EN: 1
; COMPUTE_PGM_RSRC2:TIDIG_COMP_CNT: 0
	.section	.text._Z39paged_attention_ll4mi_QKV_mfma16_kernelI14__hip_bfloat16hLN4vllm18Fp8KVCacheDataTypeE1ES0_Li32ELi128ELi256ELb1ELi12EL8MFMAType1EEvPKT_PKT0_S9_ifPKiSB_SB_iPKfiiiPfSE_PS4_PT2_iSD_SD_,"axG",@progbits,_Z39paged_attention_ll4mi_QKV_mfma16_kernelI14__hip_bfloat16hLN4vllm18Fp8KVCacheDataTypeE1ES0_Li32ELi128ELi256ELb1ELi12EL8MFMAType1EEvPKT_PKT0_S9_ifPKiSB_SB_iPKfiiiPfSE_PS4_PT2_iSD_SD_,comdat
	.protected	_Z39paged_attention_ll4mi_QKV_mfma16_kernelI14__hip_bfloat16hLN4vllm18Fp8KVCacheDataTypeE1ES0_Li32ELi128ELi256ELb1ELi12EL8MFMAType1EEvPKT_PKT0_S9_ifPKiSB_SB_iPKfiiiPfSE_PS4_PT2_iSD_SD_ ; -- Begin function _Z39paged_attention_ll4mi_QKV_mfma16_kernelI14__hip_bfloat16hLN4vllm18Fp8KVCacheDataTypeE1ES0_Li32ELi128ELi256ELb1ELi12EL8MFMAType1EEvPKT_PKT0_S9_ifPKiSB_SB_iPKfiiiPfSE_PS4_PT2_iSD_SD_
	.globl	_Z39paged_attention_ll4mi_QKV_mfma16_kernelI14__hip_bfloat16hLN4vllm18Fp8KVCacheDataTypeE1ES0_Li32ELi128ELi256ELb1ELi12EL8MFMAType1EEvPKT_PKT0_S9_ifPKiSB_SB_iPKfiiiPfSE_PS4_PT2_iSD_SD_
	.p2align	8
	.type	_Z39paged_attention_ll4mi_QKV_mfma16_kernelI14__hip_bfloat16hLN4vllm18Fp8KVCacheDataTypeE1ES0_Li32ELi128ELi256ELb1ELi12EL8MFMAType1EEvPKT_PKT0_S9_ifPKiSB_SB_iPKfiiiPfSE_PS4_PT2_iSD_SD_,@function
_Z39paged_attention_ll4mi_QKV_mfma16_kernelI14__hip_bfloat16hLN4vllm18Fp8KVCacheDataTypeE1ES0_Li32ELi128ELi256ELb1ELi12EL8MFMAType1EEvPKT_PKT0_S9_ifPKiSB_SB_iPKfiiiPfSE_PS4_PT2_iSD_SD_: ; @_Z39paged_attention_ll4mi_QKV_mfma16_kernelI14__hip_bfloat16hLN4vllm18Fp8KVCacheDataTypeE1ES0_Li32ELi128ELi256ELb1ELi12EL8MFMAType1EEvPKT_PKT0_S9_ifPKiSB_SB_iPKfiiiPfSE_PS4_PT2_iSD_SD_
; %bb.0:
	s_load_b64 s[4:5], s[0:1], 0x30
	s_mov_b32 s30, s13
	s_waitcnt lgkmcnt(0)
	s_cmp_lg_u64 s[4:5], 0
	s_cselect_b32 s13, -1, 0
	s_ashr_i32 s31, s30, 31
	s_cmp_eq_u64 s[4:5], 0
	s_cbranch_scc1 .LBB1637_3
; %bb.1:
	s_lshl_b64 s[2:3], s[30:31], 2
	s_delay_alu instid0(SALU_CYCLE_1) | instskip(SKIP_4) | instid1(SALU_CYCLE_1)
	s_add_u32 s2, s4, s2
	s_addc_u32 s3, s5, s3
	s_load_b64 s[2:3], s[2:3], 0x0
	s_waitcnt lgkmcnt(0)
	s_sub_i32 s2, s3, s2
	s_cmp_eq_u32 s2, 1
	s_cselect_b32 s2, -1, 0
	s_delay_alu instid0(SALU_CYCLE_1)
	s_and_not1_b32 vcc_lo, exec_lo, s2
	s_cbranch_vccz .LBB1637_4
.LBB1637_2:
	s_endpgm
.LBB1637_3:
.LBB1637_4:
	s_load_b64 s[2:3], s[0:1], 0x28
	s_lshl_b64 s[6:7], s[30:31], 2
	s_waitcnt lgkmcnt(0)
	s_add_u32 s2, s2, s6
	s_addc_u32 s3, s3, s7
	s_lshl_b32 s12, s14, 8
	s_load_b32 s17, s[2:3], 0x0
	s_waitcnt lgkmcnt(0)
	s_cmp_ge_i32 s12, s17
	s_cbranch_scc1 .LBB1637_2
; %bb.5:
	s_clause 0x1
	s_load_b128 s[8:11], s[0:1], 0x8
	s_load_b64 s[2:3], s[0:1], 0x20
	s_and_not1_b32 vcc_lo, exec_lo, s13
	s_cbranch_vccnz .LBB1637_7
; %bb.6:
	s_add_u32 s4, s4, s6
	s_addc_u32 s5, s5, s7
	s_load_b32 s13, s[4:5], 0x0
	s_branch .LBB1637_8
.LBB1637_7:
	s_mov_b32 s13, s30
.LBB1637_8:
	s_load_b128 s[4:7], s[0:1], 0x48
	v_and_b32_e32 v65, 15, v0
	v_lshrrev_b32_e32 v66, 5, v0
	v_and_b32_e32 v67, 31, v0
	v_and_b32_e32 v75, 1, v0
	v_bfe_u32 v74, v0, 4, 1
	v_lshlrev_b32_e32 v1, 3, v65
	s_mul_i32 s29, s15, 12
	s_waitcnt lgkmcnt(0)
	s_mov_b32 s7, exec_lo
	s_delay_alu instid0(VALU_DEP_1)
	v_lshlrev_b32_e32 v73, 1, v1
	v_cmpx_gt_u32_e32 0xc0, v0
	s_cbranch_execz .LBB1637_10
; %bb.9:
	s_load_b64 s[18:19], s[0:1], 0x0
	v_lshl_or_b32 v5, v66, 1, v74
	s_mul_hi_i32 s21, s13, s4
	s_mul_i32 s20, s13, s4
	v_lshlrev_b32_e32 v6, 10, v65
	s_lshl_b64 s[20:21], s[20:21], 1
	v_add_lshl_u32 v1, v5, s29, 7
	v_lshlrev_b32_e32 v5, 6, v5
	v_lshlrev_b32_e32 v7, 10, v75
	v_and_b32_e32 v6, 0x3800, v6
	s_delay_alu instid0(VALU_DEP_4) | instskip(NEXT) | instid1(VALU_DEP_2)
	v_ashrrev_i32_e32 v2, 31, v1
	v_or3_b32 v5, v6, v7, v5
	s_delay_alu instid0(VALU_DEP_2) | instskip(SKIP_3) | instid1(VALU_DEP_1)
	v_lshlrev_b64 v[1:2], 1, v[1:2]
	s_waitcnt lgkmcnt(0)
	s_add_u32 s4, s18, s20
	s_addc_u32 s13, s19, s21
	v_add_co_u32 v1, vcc_lo, s4, v1
	s_delay_alu instid0(VALU_DEP_2) | instskip(NEXT) | instid1(VALU_DEP_2)
	v_add_co_ci_u32_e32 v2, vcc_lo, s13, v2, vcc_lo
	v_add_co_u32 v1, vcc_lo, v1, v73
	s_delay_alu instid0(VALU_DEP_2)
	v_add_co_ci_u32_e32 v2, vcc_lo, 0, v2, vcc_lo
	global_load_b128 v[1:4], v[1:2], off
	s_waitcnt vmcnt(0)
	ds_store_b128 v5, v[1:4]
.LBB1637_10:
	s_or_b32 exec_lo, exec_lo, s7
	v_and_b32_e32 v1, 0xef, v0
	s_add_i32 s4, s17, 31
	s_clause 0x1
	s_load_b32 s7, s[0:1], 0x38
	s_load_b32 s18, s[0:1], 0x1c
	s_ashr_i32 s13, s4, 31
	v_add_nc_u32_e32 v1, s12, v1
	s_lshr_b32 s13, s13, 27
	s_waitcnt lgkmcnt(0)
	s_add_i32 s4, s4, s13
	s_barrier
	v_ashrrev_i32_e32 v2, 31, v1
	v_or_b32_e32 v3, 16, v1
	s_ashr_i32 s4, s4, 5
	v_cmp_gt_i32_e32 vcc_lo, s17, v1
	s_add_i32 s4, s4, -1
	v_lshrrev_b32_e32 v2, 27, v2
	buffer_gl0_inv
	s_mul_i32 s15, s15, s6
	v_add_nc_u32_e32 v4, v1, v2
	s_mul_i32 s20, s30, s7
	s_delay_alu instid0(SALU_CYCLE_1) | instskip(NEXT) | instid1(VALU_DEP_1)
	s_ashr_i32 s21, s20, 31
	v_ashrrev_i32_e32 v4, 5, v4
	v_add_nc_u32_e32 v2, v3, v2
	s_lshl_b64 s[20:21], s[20:21], 2
	s_delay_alu instid0(SALU_CYCLE_1) | instskip(NEXT) | instid1(VALU_DEP_2)
	s_add_u32 s13, s2, s20
	v_cndmask_b32_e32 v1, s4, v4, vcc_lo
	s_delay_alu instid0(VALU_DEP_2)
	v_ashrrev_i32_e32 v2, 5, v2
	v_cmp_gt_i32_e32 vcc_lo, s17, v3
	s_addc_u32 s16, s3, s21
	s_ashr_i32 s19, s15, 31
	s_add_u32 s2, s8, s15
	s_addc_u32 s3, s9, s19
	v_cndmask_b32_e32 v3, s4, v2, vcc_lo
	v_ashrrev_i32_e32 v2, 31, v1
	s_lshl_b32 s6, s14, 3
	s_delay_alu instid0(SALU_CYCLE_1) | instskip(NEXT) | instid1(VALU_DEP_2)
	s_ashr_i32 s7, s6, 31
	v_ashrrev_i32_e32 v4, 31, v3
	s_delay_alu instid0(VALU_DEP_2) | instskip(SKIP_1) | instid1(SALU_CYCLE_1)
	v_lshlrev_b64 v[1:2], 2, v[1:2]
	s_lshl_b64 s[6:7], s[6:7], 2
	s_add_u32 s6, s13, s6
	s_delay_alu instid0(VALU_DEP_2) | instskip(SKIP_1) | instid1(VALU_DEP_2)
	v_lshlrev_b64 v[3:4], 2, v[3:4]
	s_addc_u32 s7, s16, s7
	v_add_co_u32 v1, vcc_lo, s13, v1
	v_add_co_ci_u32_e32 v2, vcc_lo, s16, v2, vcc_lo
	s_delay_alu instid0(VALU_DEP_3) | instskip(NEXT) | instid1(VALU_DEP_4)
	v_add_co_u32 v3, vcc_lo, s13, v3
	v_add_co_ci_u32_e32 v4, vcc_lo, s16, v4, vcc_lo
	s_clause 0x1
	global_load_b32 v5, v[1:2], off
	global_load_b32 v6, v[3:4], off
	s_or_b32 s8, s12, 32
	s_delay_alu instid0(SALU_CYCLE_1) | instskip(SKIP_2) | instid1(SALU_CYCLE_1)
	s_ashr_i32 s9, s8, 5
	s_cmp_lt_i32 s8, s17
	s_cselect_b32 s8, s9, s4
	s_ashr_i32 s9, s8, 31
	s_delay_alu instid0(SALU_CYCLE_1) | instskip(NEXT) | instid1(SALU_CYCLE_1)
	s_lshl_b64 s[8:9], s[8:9], 2
	s_add_u32 s8, s13, s8
	s_addc_u32 s9, s16, s9
	s_or_b32 s20, s12, 64
	s_delay_alu instid0(SALU_CYCLE_1) | instskip(SKIP_2) | instid1(SALU_CYCLE_1)
	s_ashr_i32 s21, s20, 5
	s_cmp_lt_i32 s20, s17
	s_cselect_b32 s20, s21, s4
	s_ashr_i32 s21, s20, 31
	s_delay_alu instid0(SALU_CYCLE_1) | instskip(NEXT) | instid1(SALU_CYCLE_1)
	s_lshl_b64 s[20:21], s[20:21], 2
	s_add_u32 s20, s13, s20
	s_addc_u32 s21, s16, s21
	;; [unrolled: 10-line block ×5, first 2 shown]
	s_clause 0x5
	s_load_b32 s28, s[6:7], 0x0
	s_load_b32 s8, s[8:9], 0x0
	;; [unrolled: 1-line block ×6, first 2 shown]
	s_mov_b32 s20, 0
	s_delay_alu instid0(SALU_CYCLE_1)
	s_mov_b32 s21, s20
	s_mov_b32 s22, s20
	;; [unrolled: 1-line block ×7, first 2 shown]
	s_delay_alu instid0(SALU_CYCLE_1)
	v_dual_mov_b32 v107, s27 :: v_dual_mov_b32 v106, s26
	v_dual_mov_b32 v104, s24 :: v_dual_mov_b32 v103, s23
	;; [unrolled: 1-line block ×3, first 2 shown]
	v_mov_b32_e32 v100, s20
	s_waitcnt vmcnt(1)
	v_mad_i64_i32 v[1:2], null, v5, s5, s[2:3]
	v_lshlrev_b32_e32 v5, 4, v65
	s_waitcnt vmcnt(0)
	v_mad_i64_i32 v[3:4], null, v6, s5, s[2:3]
	s_or_b32 s2, s12, 0xc0
	s_delay_alu instid0(SALU_CYCLE_1) | instskip(NEXT) | instid1(VALU_DEP_3)
	s_ashr_i32 s3, s2, 5
	v_add_co_u32 v33, vcc_lo, v1, v5
	s_delay_alu instid0(VALU_DEP_4) | instskip(NEXT) | instid1(VALU_DEP_3)
	v_add_co_ci_u32_e32 v34, vcc_lo, 0, v2, vcc_lo
	v_add_co_u32 v35, vcc_lo, v3, v5
	s_delay_alu instid0(VALU_DEP_4)
	v_add_co_ci_u32_e32 v36, vcc_lo, 0, v4, vcc_lo
	s_clause 0xf
	global_load_b128 v[1:4], v[33:34], off
	global_load_b128 v[5:8], v[33:34], off offset:512
	global_load_b128 v[9:12], v[35:36], off offset:256
	;; [unrolled: 1-line block ×15, first 2 shown]
	s_cmp_lt_i32 s2, s17
	v_add_nc_u32_e32 v33, -12, v65
	s_cselect_b32 s2, s3, s4
	v_cmp_gt_u32_e32 vcc_lo, 12, v65
	s_ashr_i32 s3, s2, 31
	v_lshlrev_b32_e32 v34, 5, v65
	s_lshl_b64 s[2:3], s[2:3], 2
	s_delay_alu instid0(SALU_CYCLE_1)
	s_add_u32 s2, s13, s2
	s_addc_u32 s3, s16, s3
	s_or_b32 s6, s12, 0xe0
	v_cndmask_b32_e32 v33, v33, v65, vcc_lo
	s_ashr_i32 s7, s6, 5
	s_cmp_lt_i32 s6, s17
	v_mov_b32_e32 v105, s25
	s_cselect_b32 s6, s7, s4
	v_lshlrev_b32_e32 v72, 6, v33
	s_ashr_i32 s7, s6, 31
	v_lshl_or_b32 v41, v66, 9, v34
	s_lshl_b64 s[6:7], s[6:7], 2
	ds_load_b128 v[33:36], v72
	ds_load_b128 v[37:40], v72 offset:1024
	ds_load_b128 v[108:111], v72 offset:2048
	ds_load_b128 v[112:115], v72 offset:3072
	s_load_b32 s4, s[2:3], 0x0
	s_add_u32 s2, s13, s6
	s_addc_u32 s3, s16, s7
	ds_load_b128 v[116:119], v72 offset:4096
	ds_load_b128 v[120:123], v72 offset:5120
	s_load_b32 s2, s[2:3], 0x0
	s_add_u32 s6, s10, s15
	s_addc_u32 s7, s11, s19
	v_add_co_u32 v68, s6, s6, v41
	s_delay_alu instid0(VALU_DEP_1) | instskip(SKIP_1) | instid1(VALU_DEP_1)
	v_add_co_ci_u32_e64 v69, null, s7, 0, s6
	s_waitcnt lgkmcnt(0)
	v_mad_i64_i32 v[41:42], null, s28, s5, v[68:69]
	v_mad_i64_i32 v[70:71], null, s9, s5, v[68:69]
	;; [unrolled: 1-line block ×7, first 2 shown]
	s_clause 0x3
	global_load_b128 v[49:52], v[41:42], off
	global_load_b128 v[53:56], v[41:42], off offset:16
	global_load_b128 v[41:44], v[45:46], off
	global_load_b128 v[45:48], v[45:46], off offset:16
	s_waitcnt vmcnt(18)
	v_wmma_f32_16x16x16_bf16 v[124:131], v[1:8], v[33:40], v[100:107]
	s_waitcnt vmcnt(16)
	v_wmma_f32_16x16x16_bf16 v[100:107], v[9:16], v[33:40], v[100:107]
	s_clause 0x1
	global_load_b128 v[33:36], v[70:71], off
	global_load_b128 v[37:40], v[70:71], off offset:16
	v_mad_i64_i32 v[70:71], null, s2, s5, v[68:69]
	s_waitcnt vmcnt(16)
	v_wmma_f32_16x16x16_bf16 v[124:131], v[17:24], v[108:115], v[124:131]
	s_waitcnt vmcnt(14)
	v_wmma_f32_16x16x16_bf16 v[100:107], v[25:32], v[108:115], v[100:107]
	s_clause 0x7
	global_load_b128 v[25:28], v[132:133], off
	global_load_b128 v[29:32], v[132:133], off offset:16
	global_load_b128 v[1:4], v[134:135], off
	global_load_b128 v[5:8], v[134:135], off offset:16
	;; [unrolled: 2-line block ×4, first 2 shown]
	s_waitcnt vmcnt(20)
	v_wmma_f32_16x16x16_bf16 v[124:131], v[57:64], v[116:123], v[124:131]
	s_clause 0x1
	global_load_b128 v[57:60], v[70:71], off
	global_load_b128 v[61:64], v[70:71], off offset:16
	s_waitcnt vmcnt(20)
	v_wmma_f32_16x16x16_bf16 v[100:107], v[76:83], v[116:123], v[100:107]
	ds_load_b128 v[76:79], v72 offset:6144
	ds_load_b128 v[80:83], v72 offset:7168
	v_and_b32_e32 v68, 0xe0, v0
	v_mbcnt_lo_u32_b32 v69, -1, 0
	s_waitcnt vmcnt(0) lgkmcnt(0)
	s_barrier
	buffer_gl0_inv
	v_add_nc_u32_e32 v68, s12, v68
	v_xor_b32_e32 v70, 16, v69
	s_delay_alu instid0(VALU_DEP_2) | instskip(NEXT) | instid1(VALU_DEP_2)
	v_or_b32_e32 v68, v68, v74
	v_cmp_gt_i32_e32 vcc_lo, 32, v70
	s_delay_alu instid0(VALU_DEP_2)
	v_or_b32_e32 v71, 4, v68
	v_or_b32_e32 v72, 6, v68
	v_cmp_gt_i32_e64 s2, s17, v68
	v_or_b32_e32 v108, 8, v68
	v_wmma_f32_16x16x16_bf16 v[124:131], v[84:91], v[76:83], v[124:131]
	v_cndmask_b32_e32 v69, v69, v70, vcc_lo
	v_or_b32_e32 v70, 2, v68
	v_wmma_f32_16x16x16_bf16 v[100:107], v[92:99], v[76:83], v[100:107]
	v_or_b32_e32 v109, 10, v68
	v_dual_mul_f32 v80, s18, v129 :: v_dual_mul_f32 v81, s18, v128
	v_dual_mul_f32 v92, s18, v125 :: v_dual_mul_f32 v93, s18, v124
	s_delay_alu instid0(VALU_DEP_4)
	v_mul_f32_e32 v96, s18, v105
	v_cmp_gt_i32_e32 vcc_lo, s17, v70
	v_or_b32_e32 v89, 22, v68
	v_dual_mul_f32 v79, s18, v130 :: v_dual_mul_f32 v82, s18, v127
	v_dual_mul_f32 v83, s18, v126 :: v_dual_mul_f32 v94, s18, v107
	v_cndmask_b32_e64 v93, 0xff7fffff, v93, s2
	v_cndmask_b32_e32 v92, 0xff7fffff, v92, vcc_lo
	v_cmp_gt_i32_e64 s3, s17, v71
	v_cmp_gt_i32_e64 s4, s17, v72
	v_or_b32_e32 v84, 12, v68
	v_or_b32_e32 v85, 14, v68
	v_cmp_gt_i32_e64 s5, s17, v108
	v_cndmask_b32_e64 v71, 0xff7fffff, v83, s3
	v_cndmask_b32_e64 v72, 0xff7fffff, v82, s4
	v_cmp_gt_i32_e64 s6, s17, v109
	v_cmp_gt_i32_e64 s12, s17, v89
	v_lshlrev_b32_e32 v89, 2, v69
	v_max3_f32 v82, v93, 0xff7fffff, v92
	v_or_b32_e32 v86, 16, v68
	v_or_b32_e32 v87, 18, v68
	v_mul_f32_e32 v78, s18, v131
	v_cndmask_b32_e64 v81, 0xff7fffff, v81, s5
	v_cndmask_b32_e64 v80, 0xff7fffff, v80, s6
	v_max3_f32 v71, v82, v71, v72
	v_cmp_gt_i32_e64 s7, s17, v84
	v_cmp_gt_i32_e64 s8, s17, v85
	v_or_b32_e32 v88, 20, v68
	v_or_b32_e32 v90, 24, v68
	;; [unrolled: 1-line block ×5, first 2 shown]
	v_dual_mul_f32 v97, s18, v104 :: v_dual_mul_f32 v70, s18, v101
	v_dual_mul_f32 v99, s18, v102 :: v_dual_mul_f32 v68, s18, v100
	v_cndmask_b32_e64 v72, 0xff7fffff, v79, s7
	v_cndmask_b32_e64 v78, 0xff7fffff, v78, s8
	v_max3_f32 v71, v71, v81, v80
	v_cmp_gt_i32_e64 s9, s17, v86
	v_cmp_gt_i32_e64 s10, s17, v87
	v_dual_mul_f32 v95, s18, v106 :: v_dual_mul_f32 v98, s18, v103
	s_delay_alu instid0(VALU_DEP_4) | instskip(NEXT) | instid1(VALU_DEP_4)
	v_max3_f32 v71, v71, v72, v78
	v_cndmask_b32_e64 v68, 0xff7fffff, v68, s9
	s_delay_alu instid0(VALU_DEP_4)
	v_cndmask_b32_e64 v70, 0xff7fffff, v70, s10
	v_cmp_gt_i32_e64 s11, s17, v88
	v_cndmask_b32_e64 v78, 0xff7fffff, v98, s12
	v_cmp_gt_i32_e64 s13, s17, v90
	v_cmp_gt_i32_e64 s15, s17, v91
	v_max3_f32 v68, v71, v68, v70
	v_cndmask_b32_e64 v72, 0xff7fffff, v99, s11
	v_cmp_gt_i32_e64 s16, s17, v76
	v_cndmask_b32_e64 v70, 0xff7fffff, v97, s13
	v_cndmask_b32_e64 v71, 0xff7fffff, v96, s15
	v_cmp_gt_i32_e64 s17, s17, v77
	v_max3_f32 v68, v68, v72, v78
	v_cndmask_b32_e64 v72, 0xff7fffff, v95, s16
	s_delay_alu instid0(VALU_DEP_3) | instskip(NEXT) | instid1(VALU_DEP_3)
	v_cndmask_b32_e64 v76, 0xff7fffff, v94, s17
	v_max3_f32 v68, v68, v70, v71
	s_delay_alu instid0(VALU_DEP_1) | instskip(SKIP_3) | instid1(VALU_DEP_1)
	v_max3_f32 v68, v68, v72, v76
	ds_bpermute_b32 v69, v89, v68
	s_waitcnt lgkmcnt(0)
	v_max_f32_e32 v69, v69, v69
	v_max_f32_e32 v68, v68, v69
	s_delay_alu instid0(VALU_DEP_1) | instskip(NEXT) | instid1(VALU_DEP_1)
	v_fma_f32 v71, s18, v126, -v68
	v_mul_f32_e32 v71, 0x3fb8aa3b, v71
	v_fma_f32 v70, s18, v125, -v68
	v_fma_f32 v69, s18, v124, -v68
	;; [unrolled: 1-line block ×5, first 2 shown]
	s_delay_alu instid0(VALU_DEP_4) | instskip(SKIP_1) | instid1(VALU_DEP_3)
	v_dual_mul_f32 v70, 0x3fb8aa3b, v70 :: v_dual_mul_f32 v69, 0x3fb8aa3b, v69
	v_exp_f32_e32 v71, v71
	v_mul_f32_e32 v72, 0x3fb8aa3b, v72
	v_fma_f32 v81, s18, v105, -v68
	s_delay_alu instid0(VALU_DEP_3)
	v_exp_f32_e32 v70, v70
	v_mul_f32_e32 v77, 0x3fb8aa3b, v76
	v_exp_f32_e32 v69, v69
	v_exp_f32_e32 v72, v72
	v_mul_f32_e32 v81, 0x3fb8aa3b, v81
	v_cndmask_b32_e64 v83, 0, v71, s3
	v_fma_f32 v71, s18, v131, -v68
	s_delay_alu instid0(VALU_DEP_3) | instskip(SKIP_4) | instid1(TRANS32_DEP_3)
	v_exp_f32_e32 v81, v81
	v_cndmask_b32_e32 v76, 0, v70, vcc_lo
	v_exp_f32_e32 v77, v77
	v_cndmask_b32_e64 v80, 0, v69, s2
	v_fma_f32 v69, s18, v129, -v68
	v_cndmask_b32_e64 v85, 0, v72, s4
	v_mul_f32_e32 v71, 0x3fb8aa3b, v71
	v_fma_f32 v72, s18, v100, -v68
	s_delay_alu instid0(VALU_DEP_4) | instskip(SKIP_1) | instid1(VALU_DEP_3)
	v_dual_add_f32 v70, 0, v80 :: v_dual_mul_f32 v69, 0x3fb8aa3b, v69
	s_mov_b32 s2, exec_lo
	v_exp_f32_e32 v71, v71
	s_delay_alu instid0(TRANS32_DEP_2) | instskip(SKIP_4) | instid1(VALU_DEP_3)
	v_cndmask_b32_e64 v86, 0, v77, s5
	v_fma_f32 v77, s18, v101, -v68
	v_mul_f32_e32 v78, 0x3fb8aa3b, v78
	v_add_f32_e32 v70, v70, v76
	v_exp_f32_e32 v69, v69
	v_mul_f32_e32 v77, 0x3fb8aa3b, v77
	s_delay_alu instid0(VALU_DEP_3) | instskip(NEXT) | instid1(TRANS32_DEP_3)
	v_exp_f32_e32 v78, v78
	v_cndmask_b32_e64 v88, 0, v71, s8
	v_fma_f32 v71, s18, v104, -v68
	s_delay_alu instid0(VALU_DEP_3) | instskip(NEXT) | instid1(TRANS32_DEP_3)
	v_exp_f32_e32 v77, v77
	v_cndmask_b32_e64 v87, 0, v69, s6
	s_delay_alu instid0(VALU_DEP_2)
	v_mul_f32_e32 v71, 0x3fb8aa3b, v71
	s_waitcnt_depctr 0xfff
	v_cndmask_b32_e64 v84, 0, v78, s7
	v_add_f32_e32 v70, v70, v83
	v_fma_f32 v78, s18, v103, -v68
	v_exp_f32_e32 v82, v71
	s_delay_alu instid0(VALU_DEP_2) | instskip(SKIP_1) | instid1(VALU_DEP_3)
	v_add_f32_e32 v70, v70, v85
	v_mul_f32_e32 v72, 0x3fb8aa3b, v72
	v_mul_f32_e32 v78, 0x3fb8aa3b, v78
	s_delay_alu instid0(VALU_DEP_3) | instskip(SKIP_1) | instid1(VALU_DEP_4)
	v_add_f32_e32 v69, v70, v86
	v_fma_f32 v70, s18, v102, -v68
	v_exp_f32_e32 v72, v72
	s_delay_alu instid0(VALU_DEP_3) | instskip(NEXT) | instid1(VALU_DEP_1)
	v_exp_f32_e32 v78, v78
	v_dual_add_f32 v69, v69, v87 :: v_dual_mul_f32 v70, 0x3fb8aa3b, v70
	s_delay_alu instid0(VALU_DEP_1) | instskip(NEXT) | instid1(VALU_DEP_2)
	v_add_f32_e32 v69, v69, v84
	v_exp_f32_e32 v79, v70
	s_delay_alu instid0(TRANS32_DEP_3) | instskip(NEXT) | instid1(VALU_DEP_2)
	v_cndmask_b32_e64 v70, 0, v72, s9
	v_add_f32_e32 v72, v69, v88
	v_cndmask_b32_e64 v69, 0, v77, s10
	v_fma_f32 v77, s18, v106, -v68
	s_waitcnt_depctr 0xfff
	v_cndmask_b32_e64 v71, 0, v79, s11
	v_dual_mul_f32 v77, 0x3fb8aa3b, v77 :: v_dual_add_f32 v72, v72, v70
	s_delay_alu instid0(VALU_DEP_1) | instskip(NEXT) | instid1(VALU_DEP_1)
	v_exp_f32_e32 v90, v77
	v_add_f32_e32 v79, v72, v69
	v_cndmask_b32_e64 v72, 0, v78, s12
	v_cndmask_b32_e64 v77, 0, v82, s13
	s_delay_alu instid0(VALU_DEP_3) | instskip(SKIP_1) | instid1(VALU_DEP_1)
	v_add_f32_e32 v78, v79, v71
	v_fma_f32 v79, s18, v107, -v68
	v_dual_add_f32 v82, v78, v72 :: v_dual_mul_f32 v79, 0x3fb8aa3b, v79
	v_cndmask_b32_e64 v78, 0, v81, s15
	s_delay_alu instid0(VALU_DEP_2) | instskip(NEXT) | instid1(VALU_DEP_3)
	v_add_f32_e32 v81, v82, v77
	v_exp_f32_e32 v82, v79
	v_cndmask_b32_e64 v79, 0, v90, s16
	s_delay_alu instid0(VALU_DEP_2) | instskip(NEXT) | instid1(VALU_DEP_1)
	v_add_f32_e32 v81, v81, v78
	v_add_f32_e32 v90, v81, v79
	s_waitcnt_depctr 0xfff
	v_cndmask_b32_e64 v81, 0, v82, s17
	s_delay_alu instid0(VALU_DEP_1)
	v_add_f32_e32 v82, v90, v81
	ds_bpermute_b32 v89, v89, v82
	v_cmpx_gt_u32_e32 16, v67
	s_cbranch_execz .LBB1637_12
; %bb.11:
	v_mul_u32_u24_e32 v67, 0x44, v66
	s_delay_alu instid0(VALU_DEP_1) | instskip(SKIP_1) | instid1(VALU_DEP_1)
	v_lshl_add_u32 v67, v65, 2, v67
	s_waitcnt lgkmcnt(0)
	v_dual_add_f32 v82, v82, v89 :: v_dual_add_nc_u32 v67, 0x4000, v67
	ds_store_2addr_b32 v67, v68, v82 offset1:136
.LBB1637_12:
	s_or_b32 exec_lo, exec_lo, s2
	v_lshlrev_b32_e32 v67, 2, v65
	s_waitcnt lgkmcnt(0)
	s_barrier
	buffer_gl0_inv
	v_cmp_eq_u32_e32 vcc_lo, 1, v66
	v_add_nc_u32_e32 v82, 0x4000, v67
	v_cmp_eq_u32_e64 s2, 2, v66
	v_cmp_eq_u32_e64 s4, 7, v66
	ds_load_2addr_b32 v[89:90], v82 offset1:17
	ds_load_2addr_b32 v[91:92], v82 offset0:34 offset1:51
	ds_load_2addr_b32 v[93:94], v82 offset0:68 offset1:85
	;; [unrolled: 1-line block ×4, first 2 shown]
	s_waitcnt lgkmcnt(4)
	v_max3_f32 v67, v89, 0xff7fffff, v90
	s_waitcnt lgkmcnt(3)
	s_delay_alu instid0(VALU_DEP_1) | instskip(SKIP_1) | instid1(VALU_DEP_1)
	v_max3_f32 v67, v67, v91, v92
	s_waitcnt lgkmcnt(2)
	v_max3_f32 v67, v67, v93, v94
	s_waitcnt lgkmcnt(1)
	s_delay_alu instid0(VALU_DEP_1) | instskip(NEXT) | instid1(VALU_DEP_1)
	v_max3_f32 v67, v67, v95, v96
	v_sub_f32_e32 v93, v93, v67
	s_delay_alu instid0(VALU_DEP_1) | instskip(NEXT) | instid1(VALU_DEP_1)
	v_dual_sub_f32 v68, v89, v67 :: v_dual_mul_f32 v103, 0x3fb8aa3b, v93
	v_mul_f32_e32 v68, 0x3fb8aa3b, v68
	s_delay_alu instid0(VALU_DEP_1)
	v_exp_f32_e32 v100, v68
	v_sub_f32_e32 v68, v92, v67
	v_sub_f32_e32 v99, v90, v67
	ds_load_2addr_b32 v[89:90], v82 offset0:170 offset1:187
	v_dual_mul_f32 v102, 0x3fb8aa3b, v68 :: v_dual_mul_f32 v99, 0x3fb8aa3b, v99
	s_waitcnt lgkmcnt(1)
	v_fma_f32 v68, v100, v97, 0
	s_delay_alu instid0(VALU_DEP_2) | instskip(NEXT) | instid1(VALU_DEP_2)
	v_exp_f32_e32 v102, v102
	v_exp_f32_e32 v99, v99
	s_waitcnt_depctr 0xfff
	v_fmac_f32_e32 v68, v99, v98
	v_sub_f32_e32 v91, v91, v67
	s_delay_alu instid0(VALU_DEP_1)
	v_mul_f32_e32 v101, 0x3fb8aa3b, v91
	ds_load_2addr_b32 v[91:92], v82 offset0:204 offset1:221
	v_sub_f32_e32 v97, v94, v67
	ds_load_2addr_b32 v[93:94], v82 offset0:238 offset1:255
	s_waitcnt lgkmcnt(0)
	v_exp_f32_e32 v101, v101
	s_barrier
	buffer_gl0_inv
	v_dual_fmac_f32 v68, v101, v89 :: v_dual_sub_f32 v89, v96, v67
	v_dual_sub_f32 v82, v95, v67 :: v_dual_mul_f32 v95, 0x3fb8aa3b, v97
	v_exp_f32_e32 v97, v103
	s_delay_alu instid0(VALU_DEP_2) | instskip(NEXT) | instid1(VALU_DEP_2)
	v_dual_fmac_f32 v68, v102, v90 :: v_dual_mul_f32 v89, 0x3fb8aa3b, v89
	v_mul_f32_e32 v82, 0x3fb8aa3b, v82
	s_delay_alu instid0(VALU_DEP_3) | instskip(NEXT) | instid1(VALU_DEP_2)
	v_exp_f32_e32 v95, v95
	v_exp_f32_e32 v89, v89
	s_delay_alu instid0(VALU_DEP_1)
	v_exp_f32_e32 v82, v82
	v_fmac_f32_e32 v68, v97, v91
	s_delay_alu instid0(TRANS32_DEP_3) | instid1(VALU_DEP_1)
	v_fmac_f32_e32 v68, v95, v92
	s_waitcnt_depctr 0xfff
	v_fmac_f32_e32 v68, v82, v93
	s_delay_alu instid0(VALU_DEP_1) | instskip(NEXT) | instid1(VALU_DEP_1)
	v_fmac_f32_e32 v68, v89, v94
	v_add_f32_e32 v90, 0x358637bd, v68
	s_delay_alu instid0(VALU_DEP_1) | instskip(NEXT) | instid1(VALU_DEP_1)
	v_div_scale_f32 v91, null, v90, v90, 1.0
	v_rcp_f32_e32 v92, v91
	s_waitcnt_depctr 0xfff
	v_fma_f32 v93, -v91, v92, 1.0
	s_delay_alu instid0(VALU_DEP_1) | instskip(SKIP_1) | instid1(VALU_DEP_2)
	v_dual_fmac_f32 v92, v93, v92 :: v_dual_cndmask_b32 v93, v100, v99
	v_cmp_eq_u32_e32 vcc_lo, 3, v66
	v_cndmask_b32_e64 v93, v93, v101, s2
	v_cmp_eq_u32_e64 s2, 4, v66
	s_delay_alu instid0(VALU_DEP_2) | instskip(SKIP_1) | instid1(VALU_DEP_2)
	v_cndmask_b32_e32 v93, v93, v102, vcc_lo
	v_cmp_eq_u32_e32 vcc_lo, 5, v66
	v_cndmask_b32_e64 v93, v93, v97, s2
	v_cmp_eq_u32_e64 s2, 6, v66
	s_delay_alu instid0(VALU_DEP_2) | instskip(SKIP_1) | instid1(VALU_DEP_1)
	v_cndmask_b32_e32 v93, v93, v95, vcc_lo
	v_div_scale_f32 v94, s3, 1.0, v90, 1.0
	s_mov_b32 vcc_lo, s3
	s_delay_alu instid0(VALU_DEP_2) | instskip(NEXT) | instid1(VALU_DEP_2)
	v_cndmask_b32_e64 v82, v93, v82, s2
	v_mul_f32_e32 v96, v94, v92
	s_mov_b32 s2, exec_lo
	s_delay_alu instid0(VALU_DEP_2) | instskip(NEXT) | instid1(VALU_DEP_2)
	v_cndmask_b32_e64 v82, v82, v89, s4
	v_fma_f32 v98, -v91, v96, v94
	s_delay_alu instid0(VALU_DEP_1) | instskip(NEXT) | instid1(VALU_DEP_1)
	v_fmac_f32_e32 v96, v98, v92
	v_fma_f32 v91, -v91, v96, v94
	s_delay_alu instid0(VALU_DEP_1) | instskip(NEXT) | instid1(VALU_DEP_1)
	v_div_fmas_f32 v91, v91, v92, v96
	v_div_fixup_f32 v90, v91, v90, 1.0
	s_delay_alu instid0(VALU_DEP_1) | instskip(NEXT) | instid1(VALU_DEP_1)
	v_mul_f32_e32 v82, v82, v90
	v_mul_f32_e32 v87, v82, v87
	;; [unrolled: 1-line block ×7, first 2 shown]
	v_dual_mul_f32 v86, v82, v83 :: v_dual_and_b32 v91, 0x7f800000, v90
	v_mul_f32_e32 v85, v82, v76
                                        ; implicit-def: $vgpr76
	s_delay_alu instid0(VALU_DEP_2)
	v_cmpx_ne_u32_e32 0x7f800000, v91
	s_xor_b32 s2, exec_lo, s2
; %bb.13:
	v_bfe_u32 v76, v90, 16, 1
	s_delay_alu instid0(VALU_DEP_1)
	v_add3_u32 v76, v90, v76, 0x7fff
                                        ; implicit-def: $vgpr90
; %bb.14:
	s_and_not1_saveexec_b32 s2, s2
; %bb.15:
	v_and_b32_e32 v76, 0xffff, v90
	v_or_b32_e32 v83, 0x10000, v90
	s_delay_alu instid0(VALU_DEP_2) | instskip(NEXT) | instid1(VALU_DEP_2)
	v_cmp_eq_u32_e32 vcc_lo, 0, v76
	v_cndmask_b32_e32 v76, v83, v90, vcc_lo
; %bb.16:
	s_or_b32 exec_lo, exec_lo, s2
	v_and_b32_e32 v83, 0x7f800000, v85
	s_delay_alu instid0(VALU_DEP_1) | instskip(SKIP_1) | instid1(SALU_CYCLE_1)
	v_cmp_ne_u32_e32 vcc_lo, 0x7f800000, v83
                                        ; implicit-def: $vgpr83
	s_and_saveexec_b32 s2, vcc_lo
	s_xor_b32 s2, exec_lo, s2
; %bb.17:
	v_bfe_u32 v83, v85, 16, 1
	s_delay_alu instid0(VALU_DEP_1)
	v_add3_u32 v83, v85, v83, 0x7fff
                                        ; implicit-def: $vgpr85
; %bb.18:
	s_and_not1_saveexec_b32 s2, s2
; %bb.19:
	v_and_b32_e32 v83, 0xffff, v85
	v_or_b32_e32 v90, 0x10000, v85
	s_delay_alu instid0(VALU_DEP_2) | instskip(NEXT) | instid1(VALU_DEP_2)
	v_cmp_eq_u32_e32 vcc_lo, 0, v83
	v_cndmask_b32_e32 v83, v90, v85, vcc_lo
; %bb.20:
	s_or_b32 exec_lo, exec_lo, s2
	v_and_b32_e32 v85, 0x7f800000, v86
	s_delay_alu instid0(VALU_DEP_1) | instskip(SKIP_1) | instid1(SALU_CYCLE_1)
	v_cmp_ne_u32_e32 vcc_lo, 0x7f800000, v85
                                        ; implicit-def: $vgpr85
	s_and_saveexec_b32 s2, vcc_lo
	s_xor_b32 s2, exec_lo, s2
; %bb.21:
	v_bfe_u32 v85, v86, 16, 1
	s_delay_alu instid0(VALU_DEP_1)
	v_add3_u32 v85, v86, v85, 0x7fff
                                        ; implicit-def: $vgpr86
; %bb.22:
	s_and_not1_saveexec_b32 s2, s2
; %bb.23:
	v_and_b32_e32 v85, 0xffff, v86
	v_or_b32_e32 v90, 0x10000, v86
	s_delay_alu instid0(VALU_DEP_2) | instskip(NEXT) | instid1(VALU_DEP_2)
	v_cmp_eq_u32_e32 vcc_lo, 0, v85
	v_cndmask_b32_e32 v85, v90, v86, vcc_lo
; %bb.24:
	s_or_b32 exec_lo, exec_lo, s2
	v_and_b32_e32 v86, 0x7f800000, v89
	s_delay_alu instid0(VALU_DEP_1) | instskip(SKIP_1) | instid1(SALU_CYCLE_1)
	v_cmp_ne_u32_e32 vcc_lo, 0x7f800000, v86
                                        ; implicit-def: $vgpr86
	s_and_saveexec_b32 s2, vcc_lo
	s_xor_b32 s2, exec_lo, s2
; %bb.25:
	v_bfe_u32 v86, v89, 16, 1
	s_delay_alu instid0(VALU_DEP_1)
	v_add3_u32 v86, v89, v86, 0x7fff
                                        ; implicit-def: $vgpr89
; %bb.26:
	s_and_not1_saveexec_b32 s2, s2
; %bb.27:
	v_and_b32_e32 v86, 0xffff, v89
	v_or_b32_e32 v90, 0x10000, v89
	s_delay_alu instid0(VALU_DEP_2) | instskip(NEXT) | instid1(VALU_DEP_2)
	v_cmp_eq_u32_e32 vcc_lo, 0, v86
	v_cndmask_b32_e32 v86, v90, v89, vcc_lo
; %bb.28:
	s_or_b32 exec_lo, exec_lo, s2
	v_and_b32_e32 v89, 0x7f800000, v88
	s_delay_alu instid0(VALU_DEP_1) | instskip(SKIP_1) | instid1(SALU_CYCLE_1)
	v_cmp_ne_u32_e32 vcc_lo, 0x7f800000, v89
                                        ; implicit-def: $vgpr89
	s_and_saveexec_b32 s2, vcc_lo
	s_xor_b32 s2, exec_lo, s2
; %bb.29:
	v_bfe_u32 v89, v88, 16, 1
	s_delay_alu instid0(VALU_DEP_1)
	v_add3_u32 v89, v88, v89, 0x7fff
                                        ; implicit-def: $vgpr88
; %bb.30:
	s_and_not1_saveexec_b32 s2, s2
; %bb.31:
	v_and_b32_e32 v89, 0xffff, v88
	v_or_b32_e32 v90, 0x10000, v88
	s_delay_alu instid0(VALU_DEP_2) | instskip(NEXT) | instid1(VALU_DEP_2)
	v_cmp_eq_u32_e32 vcc_lo, 0, v89
	v_cndmask_b32_e32 v89, v90, v88, vcc_lo
; %bb.32:
	s_or_b32 exec_lo, exec_lo, s2
	v_and_b32_e32 v88, 0x7f800000, v87
	s_delay_alu instid0(VALU_DEP_1) | instskip(SKIP_1) | instid1(SALU_CYCLE_1)
	v_cmp_ne_u32_e32 vcc_lo, 0x7f800000, v88
                                        ; implicit-def: $vgpr88
	s_and_saveexec_b32 s2, vcc_lo
	s_xor_b32 s2, exec_lo, s2
; %bb.33:
	v_bfe_u32 v88, v87, 16, 1
	s_delay_alu instid0(VALU_DEP_1)
	v_add3_u32 v88, v87, v88, 0x7fff
                                        ; implicit-def: $vgpr87
; %bb.34:
	s_and_not1_saveexec_b32 s2, s2
; %bb.35:
	v_and_b32_e32 v88, 0xffff, v87
	v_or_b32_e32 v90, 0x10000, v87
	s_delay_alu instid0(VALU_DEP_2) | instskip(NEXT) | instid1(VALU_DEP_2)
	v_cmp_eq_u32_e32 vcc_lo, 0, v88
	v_cndmask_b32_e32 v88, v90, v87, vcc_lo
; %bb.36:
	s_or_b32 exec_lo, exec_lo, s2
	v_and_b32_e32 v87, 0x7f800000, v84
	s_delay_alu instid0(VALU_DEP_1) | instskip(SKIP_1) | instid1(SALU_CYCLE_1)
	v_cmp_ne_u32_e32 vcc_lo, 0x7f800000, v87
                                        ; implicit-def: $vgpr87
	s_and_saveexec_b32 s2, vcc_lo
	s_xor_b32 s2, exec_lo, s2
; %bb.37:
	v_bfe_u32 v87, v84, 16, 1
	s_delay_alu instid0(VALU_DEP_1)
	v_add3_u32 v87, v84, v87, 0x7fff
                                        ; implicit-def: $vgpr84
; %bb.38:
	s_and_not1_saveexec_b32 s2, s2
; %bb.39:
	v_and_b32_e32 v87, 0xffff, v84
	v_or_b32_e32 v90, 0x10000, v84
	s_delay_alu instid0(VALU_DEP_2) | instskip(NEXT) | instid1(VALU_DEP_2)
	v_cmp_eq_u32_e32 vcc_lo, 0, v87
	v_cndmask_b32_e32 v87, v90, v84, vcc_lo
; %bb.40:
	s_or_b32 exec_lo, exec_lo, s2
	v_and_b32_e32 v84, 0x7f800000, v80
	s_delay_alu instid0(VALU_DEP_1) | instskip(SKIP_1) | instid1(SALU_CYCLE_1)
	v_cmp_ne_u32_e32 vcc_lo, 0x7f800000, v84
                                        ; implicit-def: $vgpr84
	s_and_saveexec_b32 s2, vcc_lo
	s_xor_b32 s2, exec_lo, s2
; %bb.41:
	v_bfe_u32 v84, v80, 16, 1
	s_delay_alu instid0(VALU_DEP_1)
	v_add3_u32 v84, v80, v84, 0x7fff
                                        ; implicit-def: $vgpr80
; %bb.42:
	s_and_not1_saveexec_b32 s2, s2
; %bb.43:
	v_and_b32_e32 v84, 0xffff, v80
	v_or_b32_e32 v90, 0x10000, v80
	s_delay_alu instid0(VALU_DEP_2) | instskip(NEXT) | instid1(VALU_DEP_2)
	v_cmp_eq_u32_e32 vcc_lo, 0, v84
	v_cndmask_b32_e32 v84, v90, v80, vcc_lo
; %bb.44:
	s_or_b32 exec_lo, exec_lo, s2
	s_load_b64 s[34:35], s[0:1], 0x94
	v_lshlrev_b32_e32 v91, 4, v74
	s_delay_alu instid0(VALU_DEP_2)
	v_perm_b32 v90, v84, v87, 0x7060302
	v_dual_mul_f32 v79, v82, v79 :: v_dual_lshlrev_b32 v80, 6, v65
	v_dual_mul_f32 v77, v82, v77 :: v_dual_lshlrev_b32 v92, 11, v66
	v_mul_f32_e32 v84, v82, v70
	v_perm_b32 v89, v88, v89, 0x7060302
	v_perm_b32 v88, v86, v85, 0x7060302
	;; [unrolled: 1-line block ×3, first 2 shown]
	v_mul_f32_e32 v70, v82, v81
	v_or3_b32 v76, v91, v92, v80
	v_dual_mul_f32 v78, v82, v78 :: v_dual_and_b32 v85, 0x7f800000, v84
	v_mul_f32_e32 v83, v82, v72
	v_mul_f32_e32 v81, v82, v71
	;; [unrolled: 1-line block ×3, first 2 shown]
	s_mov_b32 s2, exec_lo
	ds_store_b128 v76, v[87:90]
                                        ; implicit-def: $vgpr69
	v_cmpx_ne_u32_e32 0x7f800000, v85
	s_xor_b32 s2, exec_lo, s2
; %bb.45:
	v_bfe_u32 v69, v84, 16, 1
	s_delay_alu instid0(VALU_DEP_1)
	v_add3_u32 v69, v84, v69, 0x7fff
                                        ; implicit-def: $vgpr84
; %bb.46:
	s_and_not1_saveexec_b32 s2, s2
; %bb.47:
	v_and_b32_e32 v69, 0xffff, v84
	v_or_b32_e32 v71, 0x10000, v84
	s_delay_alu instid0(VALU_DEP_2) | instskip(NEXT) | instid1(VALU_DEP_2)
	v_cmp_eq_u32_e32 vcc_lo, 0, v69
	v_cndmask_b32_e32 v69, v71, v84, vcc_lo
; %bb.48:
	s_or_b32 exec_lo, exec_lo, s2
	v_and_b32_e32 v71, 0x7f800000, v72
	s_delay_alu instid0(VALU_DEP_1) | instskip(SKIP_1) | instid1(SALU_CYCLE_1)
	v_cmp_ne_u32_e32 vcc_lo, 0x7f800000, v71
                                        ; implicit-def: $vgpr71
	s_and_saveexec_b32 s2, vcc_lo
	s_xor_b32 s2, exec_lo, s2
; %bb.49:
	v_bfe_u32 v71, v72, 16, 1
	s_delay_alu instid0(VALU_DEP_1)
	v_add3_u32 v71, v72, v71, 0x7fff
                                        ; implicit-def: $vgpr72
; %bb.50:
	s_and_not1_saveexec_b32 s2, s2
; %bb.51:
	v_and_b32_e32 v71, 0xffff, v72
	v_or_b32_e32 v82, 0x10000, v72
	s_delay_alu instid0(VALU_DEP_2) | instskip(NEXT) | instid1(VALU_DEP_2)
	v_cmp_eq_u32_e32 vcc_lo, 0, v71
	v_cndmask_b32_e32 v71, v82, v72, vcc_lo
; %bb.52:
	s_or_b32 exec_lo, exec_lo, s2
	v_and_b32_e32 v72, 0x7f800000, v81
	s_delay_alu instid0(VALU_DEP_1) | instskip(SKIP_1) | instid1(SALU_CYCLE_1)
	v_cmp_ne_u32_e32 vcc_lo, 0x7f800000, v72
                                        ; implicit-def: $vgpr72
	s_and_saveexec_b32 s2, vcc_lo
	s_xor_b32 s2, exec_lo, s2
; %bb.53:
	v_bfe_u32 v72, v81, 16, 1
	s_delay_alu instid0(VALU_DEP_1)
	v_add3_u32 v72, v81, v72, 0x7fff
                                        ; implicit-def: $vgpr81
; %bb.54:
	s_and_not1_saveexec_b32 s2, s2
; %bb.55:
	v_and_b32_e32 v72, 0xffff, v81
	v_or_b32_e32 v82, 0x10000, v81
	s_delay_alu instid0(VALU_DEP_2) | instskip(NEXT) | instid1(VALU_DEP_2)
	v_cmp_eq_u32_e32 vcc_lo, 0, v72
	v_cndmask_b32_e32 v72, v82, v81, vcc_lo
; %bb.56:
	s_or_b32 exec_lo, exec_lo, s2
	v_and_b32_e32 v81, 0x7f800000, v83
	s_delay_alu instid0(VALU_DEP_1) | instskip(SKIP_1) | instid1(SALU_CYCLE_1)
	v_cmp_ne_u32_e32 vcc_lo, 0x7f800000, v81
                                        ; implicit-def: $vgpr81
	s_and_saveexec_b32 s2, vcc_lo
	s_xor_b32 s2, exec_lo, s2
; %bb.57:
	v_bfe_u32 v81, v83, 16, 1
	s_delay_alu instid0(VALU_DEP_1)
	v_add3_u32 v81, v83, v81, 0x7fff
                                        ; implicit-def: $vgpr83
; %bb.58:
	s_and_not1_saveexec_b32 s2, s2
; %bb.59:
	v_and_b32_e32 v81, 0xffff, v83
	v_or_b32_e32 v82, 0x10000, v83
	s_delay_alu instid0(VALU_DEP_2) | instskip(NEXT) | instid1(VALU_DEP_2)
	v_cmp_eq_u32_e32 vcc_lo, 0, v81
	v_cndmask_b32_e32 v81, v82, v83, vcc_lo
; %bb.60:
	s_or_b32 exec_lo, exec_lo, s2
	v_and_b32_e32 v82, 0x7f800000, v77
	s_delay_alu instid0(VALU_DEP_1) | instskip(SKIP_1) | instid1(SALU_CYCLE_1)
	v_cmp_ne_u32_e32 vcc_lo, 0x7f800000, v82
                                        ; implicit-def: $vgpr82
	s_and_saveexec_b32 s2, vcc_lo
	s_xor_b32 s2, exec_lo, s2
; %bb.61:
	v_bfe_u32 v82, v77, 16, 1
	s_delay_alu instid0(VALU_DEP_1)
	v_add3_u32 v82, v77, v82, 0x7fff
                                        ; implicit-def: $vgpr77
; %bb.62:
	s_and_not1_saveexec_b32 s2, s2
; %bb.63:
	v_and_b32_e32 v82, 0xffff, v77
	v_or_b32_e32 v83, 0x10000, v77
	s_delay_alu instid0(VALU_DEP_2) | instskip(NEXT) | instid1(VALU_DEP_2)
	v_cmp_eq_u32_e32 vcc_lo, 0, v82
	v_cndmask_b32_e32 v82, v83, v77, vcc_lo
; %bb.64:
	s_or_b32 exec_lo, exec_lo, s2
	v_and_b32_e32 v77, 0x7f800000, v78
	s_delay_alu instid0(VALU_DEP_1) | instskip(SKIP_1) | instid1(SALU_CYCLE_1)
	v_cmp_ne_u32_e32 vcc_lo, 0x7f800000, v77
                                        ; implicit-def: $vgpr77
	s_and_saveexec_b32 s2, vcc_lo
	s_xor_b32 s2, exec_lo, s2
; %bb.65:
	v_bfe_u32 v77, v78, 16, 1
	s_delay_alu instid0(VALU_DEP_1)
	v_add3_u32 v77, v78, v77, 0x7fff
                                        ; implicit-def: $vgpr78
; %bb.66:
	s_and_not1_saveexec_b32 s2, s2
; %bb.67:
	v_and_b32_e32 v77, 0xffff, v78
	v_or_b32_e32 v83, 0x10000, v78
	s_delay_alu instid0(VALU_DEP_2) | instskip(NEXT) | instid1(VALU_DEP_2)
	v_cmp_eq_u32_e32 vcc_lo, 0, v77
	v_cndmask_b32_e32 v77, v83, v78, vcc_lo
; %bb.68:
	s_or_b32 exec_lo, exec_lo, s2
	v_and_b32_e32 v78, 0x7f800000, v79
	s_delay_alu instid0(VALU_DEP_1) | instskip(SKIP_1) | instid1(SALU_CYCLE_1)
	v_cmp_ne_u32_e32 vcc_lo, 0x7f800000, v78
                                        ; implicit-def: $vgpr78
	s_and_saveexec_b32 s2, vcc_lo
	s_xor_b32 s2, exec_lo, s2
; %bb.69:
	v_bfe_u32 v78, v79, 16, 1
	s_delay_alu instid0(VALU_DEP_1)
	v_add3_u32 v78, v79, v78, 0x7fff
                                        ; implicit-def: $vgpr79
; %bb.70:
	s_and_not1_saveexec_b32 s2, s2
; %bb.71:
	v_and_b32_e32 v78, 0xffff, v79
	v_or_b32_e32 v83, 0x10000, v79
	s_delay_alu instid0(VALU_DEP_2) | instskip(NEXT) | instid1(VALU_DEP_2)
	v_cmp_eq_u32_e32 vcc_lo, 0, v78
	v_cndmask_b32_e32 v78, v83, v79, vcc_lo
; %bb.72:
	s_or_b32 exec_lo, exec_lo, s2
	v_and_b32_e32 v79, 0x7f800000, v70
	s_delay_alu instid0(VALU_DEP_1) | instskip(SKIP_1) | instid1(SALU_CYCLE_1)
	v_cmp_ne_u32_e32 vcc_lo, 0x7f800000, v79
                                        ; implicit-def: $vgpr79
	s_and_saveexec_b32 s2, vcc_lo
	s_xor_b32 s2, exec_lo, s2
; %bb.73:
	v_bfe_u32 v79, v70, 16, 1
	s_delay_alu instid0(VALU_DEP_1)
	v_add3_u32 v79, v70, v79, 0x7fff
                                        ; implicit-def: $vgpr70
; %bb.74:
	s_and_not1_saveexec_b32 s2, s2
; %bb.75:
	v_and_b32_e32 v79, 0xffff, v70
	v_or_b32_e32 v83, 0x10000, v70
	s_delay_alu instid0(VALU_DEP_2) | instskip(NEXT) | instid1(VALU_DEP_2)
	v_cmp_eq_u32_e32 vcc_lo, 0, v79
	v_cndmask_b32_e32 v79, v83, v70, vcc_lo
; %bb.76:
	s_or_b32 exec_lo, exec_lo, s2
	s_delay_alu instid0(VALU_DEP_1)
	v_perm_b32 v86, v79, v78, 0x7060302
	v_perm_b32 v85, v77, v82, 0x7060302
	;; [unrolled: 1-line block ×4, first 2 shown]
	v_lshl_or_b32 v82, v66, 11, v80
	ds_store_b128 v76, v[83:86] offset:1024
	s_waitcnt lgkmcnt(0)
	s_barrier
	buffer_gl0_inv
	ds_load_b128 v[69:72], v82
	ds_load_b128 v[83:86], v82 offset:16
	s_waitcnt lgkmcnt(1)
	v_lshrrev_b32_e32 v66, 16, v69
	s_waitcnt lgkmcnt(0)
	v_lshrrev_b32_e32 v91, 16, v83
	v_lshlrev_b32_e32 v78, 2, v74
	v_lshrrev_b32_e32 v95, 16, v70
	v_lshrrev_b32_e32 v98, 16, v84
	;; [unrolled: 1-line block ×4, first 2 shown]
	v_cmp_eq_u32_e32 vcc_lo, 1, v78
	v_lshrrev_b32_e32 v97, 16, v72
	v_lshrrev_b32_e32 v100, 16, v86
	v_cndmask_b32_e32 v87, v83, v91, vcc_lo
	v_or_b32_e32 v79, 1, v78
	v_cndmask_b32_e32 v81, v69, v66, vcc_lo
	v_cmp_eq_u32_e64 s3, 2, v78
	v_cmp_eq_u32_e64 s6, 3, v78
	v_cmp_eq_u32_e64 s8, 4, v78
	v_cmp_eq_u32_e64 s2, 1, v79
	v_cmp_eq_u32_e64 s5, 2, v79
	v_cndmask_b32_e64 v81, v81, v70, s3
	v_cndmask_b32_e64 v87, v87, v84, s3
	v_cmp_eq_u32_e64 s7, 3, v79
	v_cndmask_b32_e64 v88, v69, v66, s2
	v_or_b32_e32 v77, 2, v78
	v_cndmask_b32_e64 v81, v81, v95, s6
	v_cndmask_b32_e64 v87, v87, v98, s6
	;; [unrolled: 1-line block ×4, first 2 shown]
	v_cmp_eq_u32_e64 s9, 5, v78
	v_cndmask_b32_e64 v81, v81, v71, s8
	v_cndmask_b32_e64 v87, v87, v85, s8
	v_cmp_eq_u32_e64 s10, 4, v79
	v_cndmask_b32_e64 v88, v88, v95, s7
	v_cmp_eq_u32_e64 s4, 1, v77
	v_cndmask_b32_e64 v89, v89, v84, s5
	v_cndmask_b32_e64 v81, v81, v96, s9
	v_cmp_eq_u32_e64 s11, 6, v78
	v_cndmask_b32_e64 v88, v88, v71, s10
	;; [unrolled: 3-line block ×3, first 2 shown]
	v_cndmask_b32_e64 v89, v89, v98, s7
	v_cndmask_b32_e64 v81, v81, v72, s11
	v_cmp_eq_u32_e64 s13, 7, v78
	v_cndmask_b32_e64 v88, v88, v96, s12
	v_cndmask_b32_e64 v87, v87, v86, s11
	v_cmp_eq_u32_e64 s15, 6, v79
	v_cmp_eq_u32_e64 s16, 2, v77
	v_cndmask_b32_e64 v89, v89, v85, s10
	v_cndmask_b32_e64 v101, v81, v97, s13
	;; [unrolled: 1-line block ×6, first 2 shown]
	v_cmp_eq_u32_e64 s17, 7, v79
	v_cmp_eq_u32_e64 s18, 3, v77
	;; [unrolled: 1-line block ×4, first 2 shown]
	v_cndmask_b32_e64 v87, v87, v84, s16
	v_cndmask_b32_e64 v103, v88, v97, s17
	;; [unrolled: 1-line block ×4, first 2 shown]
	v_or_b32_e32 v81, 3, v78
	v_cndmask_b32_e64 v93, v87, v98, s18
	v_cmp_eq_u32_e64 s23, 6, v77
	v_cndmask_b32_e64 v104, v88, v86, s15
	v_cndmask_b32_e64 v92, v89, v71, s19
	v_cmp_eq_u32_e64 s20, 1, v81
	ds_load_b128 v[87:90], v82 offset:1024
	v_cmp_eq_u32_e64 s22, 2, v81
	v_cmp_eq_u32_e64 s24, 3, v81
	v_cndmask_b32_e64 v105, v92, v96, s21
	v_cndmask_b32_e64 v66, v69, v66, s20
	;; [unrolled: 1-line block ×4, first 2 shown]
	ds_load_b128 v[91:94], v82 offset:1040
	v_cmp_eq_u32_e64 s25, 4, v81
	v_cndmask_b32_e64 v66, v66, v70, s22
	v_cmp_eq_u32_e64 s26, 7, v77
	v_cndmask_b32_e64 v70, v83, v84, s22
	v_cndmask_b32_e64 v84, v105, v72, s23
	v_cmp_eq_u32_e64 s27, 5, v81
	v_cndmask_b32_e64 v66, v66, v95, s24
	v_cmp_eq_u32_e64 s28, 6, v81
	v_cndmask_b32_e64 v70, v70, v98, s24
	v_cndmask_b32_e64 v69, v69, v99, s21
	;; [unrolled: 1-line block ×4, first 2 shown]
	s_waitcnt lgkmcnt(1)
	v_lshrrev_b32_e32 v95, 16, v87
	v_cndmask_b32_e64 v70, v70, v85, s25
	v_cndmask_b32_e64 v71, v84, v97, s26
	;; [unrolled: 1-line block ×4, first 2 shown]
	v_cndmask_b32_e32 v84, v87, v95, vcc_lo
	v_cndmask_b32_e64 v70, v70, v99, s27
	s_waitcnt lgkmcnt(0)
	v_lshrrev_b32_e32 v85, 16, v91
	v_lshrrev_b32_e32 v96, 16, v88
	v_cndmask_b32_e64 v98, v87, v95, s2
	v_cndmask_b32_e64 v84, v84, v88, s3
	;; [unrolled: 1-line block ×3, first 2 shown]
	v_cndmask_b32_e32 v99, v91, v85, vcc_lo
	v_cmp_eq_u32_e32 vcc_lo, 7, v81
	v_cndmask_b32_e64 v66, v66, v72, s28
	v_cndmask_b32_e64 v72, v84, v96, s6
	;; [unrolled: 1-line block ×3, first 2 shown]
	v_lshrrev_b32_e32 v98, 16, v92
	v_cndmask_b32_e32 v70, v70, v100, vcc_lo
	v_cndmask_b32_e64 v86, v99, v92, s3
	v_cndmask_b32_e64 v69, v69, v100, s26
	v_lshrrev_b32_e32 v100, 16, v93
	v_cndmask_b32_e64 v72, v72, v89, s8
	v_lshrrev_b32_e32 v99, 16, v89
	v_cndmask_b32_e64 v86, v86, v98, s6
	v_perm_b32 v71, v69, v71, 0x5040100
	v_cndmask_b32_e64 v84, v84, v96, s7
	s_delay_alu instid0(VALU_DEP_3) | instskip(NEXT) | instid1(VALU_DEP_2)
	v_cndmask_b32_e64 v86, v86, v93, s8
	v_cndmask_b32_e64 v84, v84, v89, s10
	s_delay_alu instid0(VALU_DEP_2) | instskip(NEXT) | instid1(VALU_DEP_1)
	v_cndmask_b32_e64 v86, v86, v100, s9
	v_cndmask_b32_e64 v69, v86, v94, s11
	v_cndmask_b32_e64 v86, v87, v95, s4
	v_cndmask_b32_e64 v87, v87, v95, s20
	v_cndmask_b32_e64 v95, v91, v85, s20
	s_delay_alu instid0(VALU_DEP_3) | instskip(NEXT) | instid1(VALU_DEP_3)
	v_cndmask_b32_e64 v86, v86, v88, s16
	v_cndmask_b32_e64 v87, v87, v88, s22
	s_delay_alu instid0(VALU_DEP_3) | instskip(NEXT) | instid1(VALU_DEP_3)
	v_cndmask_b32_e64 v88, v95, v92, s22
	v_cndmask_b32_e64 v86, v86, v96, s18
	;; [unrolled: 3-line block ×7, first 2 shown]
	s_delay_alu instid0(VALU_DEP_3) | instskip(SKIP_2) | instid1(VALU_DEP_2)
	v_cndmask_b32_e64 v88, v88, v94, s28
	v_cndmask_b32_e32 v66, v66, v97, vcc_lo
	v_cndmask_b32_e64 v97, v72, v99, s9
	v_perm_b32 v72, v70, v66, 0x5040100
	v_perm_b32 v70, v83, v103, 0x5040100
	v_cndmask_b32_e64 v103, v91, v85, s4
	v_cndmask_b32_e64 v85, v91, v85, s2
	;; [unrolled: 1-line block ×4, first 2 shown]
	v_lshrrev_b32_e32 v97, 16, v90
	v_cndmask_b32_e64 v91, v103, v92, s16
	v_cndmask_b32_e64 v85, v85, v92, s5
	;; [unrolled: 1-line block ×3, first 2 shown]
	s_mov_b32 s2, exec_lo
	v_cndmask_b32_e64 v83, v84, v97, s13
	v_cndmask_b32_e64 v91, v91, v98, s18
	;; [unrolled: 1-line block ×3, first 2 shown]
	v_lshrrev_b32_e32 v84, 16, v94
	v_cndmask_b32_e64 v66, v66, v97, s17
	v_cndmask_b32_e64 v90, v86, v97, s26
	;; [unrolled: 1-line block ×4, first 2 shown]
	v_dual_cndmask_b32 v86, v87, v97 :: v_dual_cndmask_b32 v87, v88, v84
	v_cndmask_b32_e64 v91, v69, v84, s13
	s_delay_alu instid0(VALU_DEP_4) | instskip(NEXT) | instid1(VALU_DEP_4)
	v_cndmask_b32_e64 v89, v89, v100, s21
	v_cndmask_b32_e64 v85, v85, v100, s12
	v_perm_b32 v69, v102, v101, 0x5040100
	v_perm_b32 v86, v87, v86, 0x5040100
	;; [unrolled: 1-line block ×3, first 2 shown]
	v_cndmask_b32_e64 v89, v89, v94, s23
	v_cndmask_b32_e64 v85, v85, v94, s15
	s_mul_i32 s7, s35, 12
	s_delay_alu instid0(VALU_DEP_2) | instskip(NEXT) | instid1(VALU_DEP_2)
	v_cndmask_b32_e64 v88, v89, v84, s26
	v_cndmask_b32_e64 v89, v85, v84, s17
	s_delay_alu instid0(VALU_DEP_2) | instskip(NEXT) | instid1(VALU_DEP_2)
	v_perm_b32 v85, v88, v90, 0x5040100
	v_perm_b32 v84, v89, v66, 0x5040100
	ds_store_b128 v76, v[69:72]
	ds_store_b128 v76, v[83:86] offset:1024
	v_cmpx_gt_u32_e32 12, v0
	s_cbranch_execz .LBB1637_78
; %bb.77:
	s_mul_i32 s3, s7, s30
	s_load_b128 s[8:11], s[0:1], 0x58
	v_add3_u32 v69, s3, s29, v65
	s_delay_alu instid0(VALU_DEP_1) | instskip(NEXT) | instid1(VALU_DEP_1)
	v_mad_u64_u32 v[65:66], null, v69, s34, s[14:15]
	v_ashrrev_i32_e32 v66, 31, v65
	s_delay_alu instid0(VALU_DEP_1) | instskip(SKIP_1) | instid1(VALU_DEP_1)
	v_lshlrev_b64 v[65:66], 2, v[65:66]
	s_waitcnt lgkmcnt(0)
	v_add_co_u32 v69, vcc_lo, s10, v65
	s_delay_alu instid0(VALU_DEP_2)
	v_add_co_ci_u32_e32 v70, vcc_lo, s11, v66, vcc_lo
	v_add_co_u32 v65, vcc_lo, s8, v65
	v_add_co_ci_u32_e32 v66, vcc_lo, s9, v66, vcc_lo
	global_store_b32 v[69:70], v67, off
	global_store_b32 v[65:66], v68, off
.LBB1637_78:
	s_or_b32 exec_lo, exec_lo, s2
	s_waitcnt lgkmcnt(0)
	s_waitcnt_vscnt null, 0x0
	s_barrier
	buffer_gl0_inv
	ds_load_b128 v[83:86], v80
	ds_load_b128 v[87:90], v80 offset:16
	ds_load_b128 v[95:98], v80 offset:2064
	;; [unrolled: 1-line block ×3, first 2 shown]
	v_mov_b32_e32 v65, 0
	ds_load_b128 v[103:106], v80 offset:4112
	ds_load_b128 v[99:102], v80 offset:4096
	;; [unrolled: 1-line block ×4, first 2 shown]
	v_mov_b32_e32 v66, v65
	v_mov_b32_e32 v67, v65
	;; [unrolled: 1-line block ×7, first 2 shown]
	s_waitcnt lgkmcnt(6)
	s_delay_alu instid0(VALU_DEP_1)
	v_wmma_f32_16x16x16_bf16 v[65:72], v[49:56], v[83:90], v[65:72]
	ds_load_b128 v[53:56], v80 offset:8208
	ds_load_b128 v[49:52], v80 offset:8192
	s_waitcnt lgkmcnt(6)
	v_wmma_f32_16x16x16_bf16 v[65:72], v[41:48], v[91:98], v[65:72]
	ds_load_b128 v[45:48], v80 offset:10256
	ds_load_b128 v[41:44], v80 offset:10240
	s_waitcnt lgkmcnt(6)
	;; [unrolled: 4-line block ×4, first 2 shown]
	v_wmma_f32_16x16x16_bf16 v[65:72], v[1:8], v[49:56], v[65:72]
	s_waitcnt lgkmcnt(4)
	s_delay_alu instid0(VALU_DEP_1) | instskip(SKIP_1) | instid1(VALU_DEP_1)
	v_wmma_f32_16x16x16_bf16 v[65:72], v[9:16], v[41:48], v[65:72]
	s_waitcnt lgkmcnt(2)
	v_wmma_f32_16x16x16_bf16 v[65:72], v[17:24], v[33:40], v[65:72]
	s_waitcnt lgkmcnt(0)
	s_delay_alu instid0(VALU_DEP_1) | instskip(NEXT) | instid1(VALU_DEP_1)
	v_wmma_f32_16x16x16_bf16 v[65:72], v[57:64], v[25:32], v[65:72]
	v_and_b32_e32 v1, 0x7f800000, v65
	s_delay_alu instid0(VALU_DEP_1) | instskip(SKIP_1) | instid1(SALU_CYCLE_1)
	v_cmp_ne_u32_e32 vcc_lo, 0x7f800000, v1
                                        ; implicit-def: $vgpr1
	s_and_saveexec_b32 s2, vcc_lo
	s_xor_b32 s2, exec_lo, s2
; %bb.79:
	v_bfe_u32 v1, v65, 16, 1
	s_delay_alu instid0(VALU_DEP_1)
	v_add3_u32 v1, v65, v1, 0x7fff
; %bb.80:
	s_and_not1_saveexec_b32 s2, s2
; %bb.81:
	v_and_b32_e32 v1, 0xffff, v65
	v_or_b32_e32 v2, 0x10000, v65
	s_delay_alu instid0(VALU_DEP_2) | instskip(NEXT) | instid1(VALU_DEP_2)
	v_cmp_eq_u32_e32 vcc_lo, 0, v1
	v_cndmask_b32_e32 v1, v2, v65, vcc_lo
; %bb.82:
	s_or_b32 exec_lo, exec_lo, s2
	v_and_b32_e32 v2, 0x7f800000, v66
	s_delay_alu instid0(VALU_DEP_1) | instskip(SKIP_1) | instid1(SALU_CYCLE_1)
	v_cmp_ne_u32_e32 vcc_lo, 0x7f800000, v2
                                        ; implicit-def: $vgpr2
	s_and_saveexec_b32 s2, vcc_lo
	s_xor_b32 s2, exec_lo, s2
; %bb.83:
	v_bfe_u32 v2, v66, 16, 1
	s_delay_alu instid0(VALU_DEP_1)
	v_add3_u32 v2, v66, v2, 0x7fff
; %bb.84:
	s_and_not1_saveexec_b32 s2, s2
; %bb.85:
	v_and_b32_e32 v2, 0xffff, v66
	v_or_b32_e32 v3, 0x10000, v66
	s_delay_alu instid0(VALU_DEP_2) | instskip(NEXT) | instid1(VALU_DEP_2)
	v_cmp_eq_u32_e32 vcc_lo, 0, v2
	v_cndmask_b32_e32 v2, v3, v66, vcc_lo
; %bb.86:
	s_or_b32 exec_lo, exec_lo, s2
	v_and_b32_e32 v3, 0x7f800000, v67
	s_delay_alu instid0(VALU_DEP_1) | instskip(SKIP_1) | instid1(SALU_CYCLE_1)
	v_cmp_ne_u32_e32 vcc_lo, 0x7f800000, v3
                                        ; implicit-def: $vgpr3
	s_and_saveexec_b32 s2, vcc_lo
	s_xor_b32 s2, exec_lo, s2
; %bb.87:
	v_bfe_u32 v3, v67, 16, 1
	s_delay_alu instid0(VALU_DEP_1)
	v_add3_u32 v3, v67, v3, 0x7fff
; %bb.88:
	s_and_not1_saveexec_b32 s2, s2
; %bb.89:
	v_and_b32_e32 v3, 0xffff, v67
	v_or_b32_e32 v4, 0x10000, v67
	s_delay_alu instid0(VALU_DEP_2) | instskip(NEXT) | instid1(VALU_DEP_2)
	v_cmp_eq_u32_e32 vcc_lo, 0, v3
	v_cndmask_b32_e32 v3, v4, v67, vcc_lo
; %bb.90:
	s_or_b32 exec_lo, exec_lo, s2
	v_and_b32_e32 v4, 0x7f800000, v68
	s_delay_alu instid0(VALU_DEP_1) | instskip(SKIP_1) | instid1(SALU_CYCLE_1)
	v_cmp_ne_u32_e32 vcc_lo, 0x7f800000, v4
                                        ; implicit-def: $vgpr4
	s_and_saveexec_b32 s2, vcc_lo
	s_xor_b32 s2, exec_lo, s2
; %bb.91:
	v_bfe_u32 v4, v68, 16, 1
	s_delay_alu instid0(VALU_DEP_1)
	v_add3_u32 v4, v68, v4, 0x7fff
; %bb.92:
	s_and_not1_saveexec_b32 s2, s2
; %bb.93:
	v_and_b32_e32 v4, 0xffff, v68
	v_or_b32_e32 v5, 0x10000, v68
	s_delay_alu instid0(VALU_DEP_2) | instskip(NEXT) | instid1(VALU_DEP_2)
	v_cmp_eq_u32_e32 vcc_lo, 0, v4
	v_cndmask_b32_e32 v4, v5, v68, vcc_lo
; %bb.94:
	s_or_b32 exec_lo, exec_lo, s2
	v_and_b32_e32 v5, 0x7f800000, v69
	s_delay_alu instid0(VALU_DEP_1) | instskip(SKIP_1) | instid1(SALU_CYCLE_1)
	v_cmp_ne_u32_e32 vcc_lo, 0x7f800000, v5
                                        ; implicit-def: $vgpr5
	s_and_saveexec_b32 s2, vcc_lo
	s_xor_b32 s2, exec_lo, s2
; %bb.95:
	v_bfe_u32 v5, v69, 16, 1
	s_delay_alu instid0(VALU_DEP_1)
	v_add3_u32 v5, v69, v5, 0x7fff
; %bb.96:
	s_and_not1_saveexec_b32 s2, s2
; %bb.97:
	v_and_b32_e32 v5, 0xffff, v69
	v_or_b32_e32 v6, 0x10000, v69
	s_delay_alu instid0(VALU_DEP_2) | instskip(NEXT) | instid1(VALU_DEP_2)
	v_cmp_eq_u32_e32 vcc_lo, 0, v5
	v_cndmask_b32_e32 v5, v6, v69, vcc_lo
; %bb.98:
	s_or_b32 exec_lo, exec_lo, s2
	v_and_b32_e32 v6, 0x7f800000, v70
	s_delay_alu instid0(VALU_DEP_1) | instskip(SKIP_1) | instid1(SALU_CYCLE_1)
	v_cmp_ne_u32_e32 vcc_lo, 0x7f800000, v6
                                        ; implicit-def: $vgpr6
	s_and_saveexec_b32 s2, vcc_lo
	s_xor_b32 s2, exec_lo, s2
; %bb.99:
	v_bfe_u32 v6, v70, 16, 1
	s_delay_alu instid0(VALU_DEP_1)
	v_add3_u32 v6, v70, v6, 0x7fff
; %bb.100:
	s_and_not1_saveexec_b32 s2, s2
; %bb.101:
	v_and_b32_e32 v6, 0xffff, v70
	v_or_b32_e32 v7, 0x10000, v70
	s_delay_alu instid0(VALU_DEP_2) | instskip(NEXT) | instid1(VALU_DEP_2)
	v_cmp_eq_u32_e32 vcc_lo, 0, v6
	v_cndmask_b32_e32 v6, v7, v70, vcc_lo
; %bb.102:
	s_or_b32 exec_lo, exec_lo, s2
	v_and_b32_e32 v7, 0x7f800000, v71
	s_delay_alu instid0(VALU_DEP_1) | instskip(SKIP_1) | instid1(SALU_CYCLE_1)
	v_cmp_ne_u32_e32 vcc_lo, 0x7f800000, v7
                                        ; implicit-def: $vgpr7
	s_and_saveexec_b32 s2, vcc_lo
	s_xor_b32 s2, exec_lo, s2
; %bb.103:
	v_bfe_u32 v7, v71, 16, 1
	s_delay_alu instid0(VALU_DEP_1)
	v_add3_u32 v7, v71, v7, 0x7fff
; %bb.104:
	s_and_not1_saveexec_b32 s2, s2
; %bb.105:
	v_and_b32_e32 v7, 0xffff, v71
	v_or_b32_e32 v8, 0x10000, v71
	s_delay_alu instid0(VALU_DEP_2) | instskip(NEXT) | instid1(VALU_DEP_2)
	v_cmp_eq_u32_e32 vcc_lo, 0, v7
	v_cndmask_b32_e32 v7, v8, v71, vcc_lo
; %bb.106:
	s_or_b32 exec_lo, exec_lo, s2
	v_and_b32_e32 v8, 0x7f800000, v72
	s_delay_alu instid0(VALU_DEP_1) | instskip(SKIP_1) | instid1(SALU_CYCLE_1)
	v_cmp_ne_u32_e32 vcc_lo, 0x7f800000, v8
                                        ; implicit-def: $vgpr8
	s_and_saveexec_b32 s2, vcc_lo
	s_xor_b32 s2, exec_lo, s2
; %bb.107:
	v_bfe_u32 v8, v72, 16, 1
	s_delay_alu instid0(VALU_DEP_1)
	v_add3_u32 v8, v72, v8, 0x7fff
                                        ; implicit-def: $vgpr65_vgpr66_vgpr67_vgpr68_vgpr69_vgpr70_vgpr71_vgpr72
; %bb.108:
	s_and_not1_saveexec_b32 s2, s2
; %bb.109:
	v_and_b32_e32 v8, 0xffff, v72
	v_or_b32_e32 v9, 0x10000, v72
	s_delay_alu instid0(VALU_DEP_2) | instskip(NEXT) | instid1(VALU_DEP_2)
	v_cmp_eq_u32_e32 vcc_lo, 0, v8
	v_cndmask_b32_e32 v8, v9, v72, vcc_lo
; %bb.110:
	s_or_b32 exec_lo, exec_lo, s2
	s_delay_alu instid0(VALU_DEP_1)
	v_perm_b32 v7, v8, v7, 0x7060302
	v_perm_b32 v6, v6, v5, 0x7060302
	;; [unrolled: 1-line block ×4, first 2 shown]
	s_barrier
	buffer_gl0_inv
	v_cmp_eq_u32_e32 vcc_lo, 1, v78
	ds_store_b128 v76, v[4:7]
	s_waitcnt lgkmcnt(0)
	s_barrier
	buffer_gl0_inv
	ds_load_b128 v[1:4], v82
	ds_load_b128 v[5:8], v82 offset:16
	v_cmp_eq_u32_e64 s2, 1, v79
	v_cmp_eq_u32_e64 s3, 2, v78
	;; [unrolled: 1-line block ×5, first 2 shown]
	s_waitcnt lgkmcnt(1)
	v_lshrrev_b32_e32 v9, 16, v1
	s_waitcnt lgkmcnt(0)
	v_lshrrev_b32_e32 v13, 16, v5
	v_lshrrev_b32_e32 v10, 16, v2
	;; [unrolled: 1-line block ×4, first 2 shown]
	v_cndmask_b32_e64 v19, v1, v9, s2
	v_cndmask_b32_e32 v18, v5, v13, vcc_lo
	v_cndmask_b32_e64 v20, v5, v13, s2
	v_cndmask_b32_e32 v17, v1, v9, vcc_lo
	v_cmp_eq_u32_e32 vcc_lo, 2, v79
	v_lshrrev_b32_e32 v15, 16, v7
	v_cmp_eq_u32_e64 s2, 1, v77
	v_lshrrev_b32_e32 v12, 16, v4
	v_lshrrev_b32_e32 v16, 16, v8
	v_cndmask_b32_e32 v20, v20, v6, vcc_lo
	v_cndmask_b32_e64 v17, v17, v2, s3
	v_cndmask_b32_e32 v19, v19, v2, vcc_lo
	v_cndmask_b32_e64 v18, v18, v6, s3
	v_cmp_eq_u32_e32 vcc_lo, 4, v78
	v_cmp_eq_u32_e64 s3, 3, v79
	v_cndmask_b32_e64 v17, v17, v10, s4
	v_cndmask_b32_e64 v21, v1, v9, s2
	;; [unrolled: 1-line block ×5, first 2 shown]
	v_cndmask_b32_e32 v17, v17, v3, vcc_lo
	v_cndmask_b32_e64 v20, v20, v14, s3
	v_cndmask_b32_e32 v18, v18, v7, vcc_lo
	v_cmp_eq_u32_e32 vcc_lo, 4, v79
	v_cmp_eq_u32_e64 s3, 5, v79
	v_cmp_eq_u32_e64 s2, 2, v81
	v_cndmask_b32_e64 v21, v21, v2, s6
	v_cmp_eq_u32_e64 s4, 5, v78
	v_cndmask_b32_e32 v19, v19, v3, vcc_lo
	v_cndmask_b32_e32 v20, v20, v7, vcc_lo
	v_cmp_eq_u32_e32 vcc_lo, 6, v79
	s_delay_alu instid0(VALU_DEP_4) | instskip(NEXT) | instid1(VALU_DEP_4)
	v_cndmask_b32_e64 v17, v17, v11, s4
	v_cndmask_b32_e64 v19, v19, v11, s3
	s_delay_alu instid0(VALU_DEP_4) | instskip(SKIP_1) | instid1(VALU_DEP_3)
	v_cndmask_b32_e64 v20, v20, v15, s3
	v_cmp_eq_u32_e64 s3, 1, v81
	v_cndmask_b32_e32 v19, v19, v4, vcc_lo
	v_cndmask_b32_e64 v18, v18, v15, s4
	s_delay_alu instid0(VALU_DEP_3)
	v_cndmask_b32_e64 v1, v1, v9, s3
	v_cndmask_b32_e64 v5, v5, v13, s3
	v_cmp_eq_u32_e64 s3, 3, v77
	v_cndmask_b32_e64 v13, v22, v6, s6
	v_cmp_eq_u32_e64 s6, 3, v81
	v_cndmask_b32_e64 v1, v1, v2, s2
	v_cndmask_b32_e64 v2, v5, v6, s2
	;; [unrolled: 1-line block ×3, first 2 shown]
	v_cmp_eq_u32_e64 s2, 4, v77
	v_cndmask_b32_e64 v6, v13, v14, s3
	v_cndmask_b32_e64 v1, v1, v10, s6
	v_cmp_eq_u32_e64 s3, 4, v81
	v_cndmask_b32_e64 v2, v2, v14, s6
	v_cndmask_b32_e64 v5, v9, v3, s2
	;; [unrolled: 3-line block ×3, first 2 shown]
	v_cndmask_b32_e64 v2, v2, v7, s3
	v_cmp_eq_u32_e64 s2, 5, v81
	v_cmp_eq_u32_e64 s4, 6, v78
	v_cndmask_b32_e64 v5, v5, v11, s6
	v_cmp_eq_u32_e64 s3, 6, v77
	v_cndmask_b32_e64 v3, v6, v15, s6
	v_cndmask_b32_e64 v1, v1, v11, s2
	v_cmp_eq_u32_e64 s6, 6, v81
	v_cndmask_b32_e64 v2, v2, v15, s2
	v_cndmask_b32_e64 v17, v17, v4, s4
	v_cndmask_b32_e64 v18, v18, v8, s4
	v_cmp_eq_u32_e64 s4, 7, v78
	v_cndmask_b32_e64 v5, v5, v4, s3
	;; [unrolled: 4-line block ×3, first 2 shown]
	v_cmp_eq_u32_e64 s3, 7, v77
	v_cndmask_b32_e32 v4, v20, v8, vcc_lo
	v_cndmask_b32_e64 v17, v17, v12, s4
	v_cndmask_b32_e64 v19, v19, v12, s5
	;; [unrolled: 1-line block ×8, first 2 shown]
	s_mov_b32 s2, exec_lo
	v_perm_b32 v4, v2, v1, 0x5040100
	v_perm_b32 v3, v3, v5, 0x5040100
	;; [unrolled: 1-line block ×4, first 2 shown]
	ds_store_b128 v76, v[1:4]
	s_waitcnt lgkmcnt(0)
	s_barrier
	buffer_gl0_inv
	v_cmpx_gt_u32_e32 32, v0
	s_cbranch_execz .LBB1637_2
; %bb.111:
	s_load_b64 s[0:1], s[0:1], 0x68
	v_lshlrev_b32_e32 v0, 10, v0
	s_lshl_b32 s4, s34, 7
	v_or_b32_e32 v3, s29, v74
	s_mul_i32 s2, s4, s30
	v_lshlrev_b32_e32 v1, 4, v75
	s_mul_i32 s2, s2, s7
	v_lshlrev_b32_e32 v2, 6, v74
	v_and_b32_e32 v0, 0x3800, v0
	s_ashr_i32 s3, s2, 31
	v_mul_lo_u32 v4, v3, s4
	s_lshl_b64 s[2:3], s[2:3], 1
	s_delay_alu instid0(VALU_DEP_2) | instskip(NEXT) | instid1(VALU_DEP_2)
	v_or3_b32 v16, v0, v1, v2
	v_ashrrev_i32_e32 v5, 31, v4
	ds_load_b128 v[0:3], v16
	s_waitcnt lgkmcnt(0)
	s_add_u32 s2, s0, s2
	s_addc_u32 s3, s1, s3
	s_lshl_b32 s0, s14, 7
	v_lshlrev_b64 v[5:6], 1, v[4:5]
	s_ashr_i32 s1, s0, 31
	s_delay_alu instid0(SALU_CYCLE_1) | instskip(NEXT) | instid1(SALU_CYCLE_1)
	s_lshl_b64 s[0:1], s[0:1], 1
	s_add_u32 s0, s2, s0
	s_addc_u32 s1, s3, s1
	s_lshl_b32 s2, s34, 8
	v_add_co_u32 v30, s0, s0, v73
	v_add_nc_u32_e32 v8, s2, v4
	v_add_co_ci_u32_e64 v31, null, s1, 0, s0
	s_delay_alu instid0(VALU_DEP_3) | instskip(NEXT) | instid1(VALU_DEP_3)
	v_add_co_u32 v12, vcc_lo, v30, v5
	v_add_nc_u32_e32 v10, s2, v8
	v_ashrrev_i32_e32 v9, 31, v8
	s_delay_alu instid0(VALU_DEP_4)
	v_add_co_ci_u32_e32 v13, vcc_lo, v31, v6, vcc_lo
	ds_load_b128 v[4:7], v16 offset:128
	v_ashrrev_i32_e32 v11, 31, v10
	v_lshlrev_b64 v[8:9], 1, v[8:9]
	v_add_nc_u32_e32 v14, s2, v10
	global_store_b128 v[12:13], v[0:3], off
	v_lshlrev_b64 v[0:1], 1, v[10:11]
	v_ashrrev_i32_e32 v15, 31, v14
	v_add_co_u32 v22, vcc_lo, v30, v8
	v_add_nc_u32_e32 v20, s2, v14
	v_add_co_ci_u32_e32 v23, vcc_lo, v31, v9, vcc_lo
	v_add_co_u32 v26, vcc_lo, v30, v0
	v_lshlrev_b64 v[24:25], 1, v[14:15]
	v_add_co_ci_u32_e32 v27, vcc_lo, v31, v1, vcc_lo
	ds_load_b128 v[0:3], v16 offset:256
	ds_load_b128 v[8:11], v16 offset:384
	;; [unrolled: 1-line block ×4, first 2 shown]
	v_add_nc_u32_e32 v28, s2, v20
	v_ashrrev_i32_e32 v21, 31, v20
	v_add_co_u32 v24, vcc_lo, v30, v24
	v_add_co_ci_u32_e32 v25, vcc_lo, v31, v25, vcc_lo
	s_delay_alu instid0(VALU_DEP_4) | instskip(NEXT) | instid1(VALU_DEP_4)
	v_ashrrev_i32_e32 v29, 31, v28
	v_lshlrev_b64 v[20:21], 1, v[20:21]
	s_delay_alu instid0(VALU_DEP_2) | instskip(NEXT) | instid1(VALU_DEP_2)
	v_lshlrev_b64 v[28:29], 1, v[28:29]
	v_add_co_u32 v20, vcc_lo, v30, v20
	s_delay_alu instid0(VALU_DEP_3) | instskip(NEXT) | instid1(VALU_DEP_3)
	v_add_co_ci_u32_e32 v21, vcc_lo, v31, v21, vcc_lo
	v_add_co_u32 v28, vcc_lo, v30, v28
	s_delay_alu instid0(VALU_DEP_4)
	v_add_co_ci_u32_e32 v29, vcc_lo, v31, v29, vcc_lo
	s_waitcnt lgkmcnt(4)
	global_store_b128 v[22:23], v[4:7], off
	s_waitcnt lgkmcnt(3)
	global_store_b128 v[26:27], v[0:3], off
	;; [unrolled: 2-line block ×5, first 2 shown]
	s_nop 0
	s_sendmsg sendmsg(MSG_DEALLOC_VGPRS)
	s_endpgm
	.section	.rodata,"a",@progbits
	.p2align	6, 0x0
	.amdhsa_kernel _Z39paged_attention_ll4mi_QKV_mfma16_kernelI14__hip_bfloat16hLN4vllm18Fp8KVCacheDataTypeE1ES0_Li32ELi128ELi256ELb1ELi12EL8MFMAType1EEvPKT_PKT0_S9_ifPKiSB_SB_iPKfiiiPfSE_PS4_PT2_iSD_SD_
		.amdhsa_group_segment_fixed_size 17472
		.amdhsa_private_segment_fixed_size 0
		.amdhsa_kernarg_size 400
		.amdhsa_user_sgpr_count 13
		.amdhsa_user_sgpr_dispatch_ptr 0
		.amdhsa_user_sgpr_queue_ptr 0
		.amdhsa_user_sgpr_kernarg_segment_ptr 1
		.amdhsa_user_sgpr_dispatch_id 0
		.amdhsa_user_sgpr_private_segment_size 0
		.amdhsa_wavefront_size32 1
		.amdhsa_uses_dynamic_stack 0
		.amdhsa_enable_private_segment 0
		.amdhsa_system_sgpr_workgroup_id_x 1
		.amdhsa_system_sgpr_workgroup_id_y 1
		.amdhsa_system_sgpr_workgroup_id_z 1
		.amdhsa_system_sgpr_workgroup_info 0
		.amdhsa_system_vgpr_workitem_id 0
		.amdhsa_next_free_vgpr 140
		.amdhsa_next_free_sgpr 36
		.amdhsa_reserve_vcc 1
		.amdhsa_float_round_mode_32 0
		.amdhsa_float_round_mode_16_64 0
		.amdhsa_float_denorm_mode_32 3
		.amdhsa_float_denorm_mode_16_64 3
		.amdhsa_dx10_clamp 1
		.amdhsa_ieee_mode 1
		.amdhsa_fp16_overflow 0
		.amdhsa_workgroup_processor_mode 1
		.amdhsa_memory_ordered 1
		.amdhsa_forward_progress 0
		.amdhsa_shared_vgpr_count 0
		.amdhsa_exception_fp_ieee_invalid_op 0
		.amdhsa_exception_fp_denorm_src 0
		.amdhsa_exception_fp_ieee_div_zero 0
		.amdhsa_exception_fp_ieee_overflow 0
		.amdhsa_exception_fp_ieee_underflow 0
		.amdhsa_exception_fp_ieee_inexact 0
		.amdhsa_exception_int_div_zero 0
	.end_amdhsa_kernel
	.section	.text._Z39paged_attention_ll4mi_QKV_mfma16_kernelI14__hip_bfloat16hLN4vllm18Fp8KVCacheDataTypeE1ES0_Li32ELi128ELi256ELb1ELi12EL8MFMAType1EEvPKT_PKT0_S9_ifPKiSB_SB_iPKfiiiPfSE_PS4_PT2_iSD_SD_,"axG",@progbits,_Z39paged_attention_ll4mi_QKV_mfma16_kernelI14__hip_bfloat16hLN4vllm18Fp8KVCacheDataTypeE1ES0_Li32ELi128ELi256ELb1ELi12EL8MFMAType1EEvPKT_PKT0_S9_ifPKiSB_SB_iPKfiiiPfSE_PS4_PT2_iSD_SD_,comdat
.Lfunc_end1637:
	.size	_Z39paged_attention_ll4mi_QKV_mfma16_kernelI14__hip_bfloat16hLN4vllm18Fp8KVCacheDataTypeE1ES0_Li32ELi128ELi256ELb1ELi12EL8MFMAType1EEvPKT_PKT0_S9_ifPKiSB_SB_iPKfiiiPfSE_PS4_PT2_iSD_SD_, .Lfunc_end1637-_Z39paged_attention_ll4mi_QKV_mfma16_kernelI14__hip_bfloat16hLN4vllm18Fp8KVCacheDataTypeE1ES0_Li32ELi128ELi256ELb1ELi12EL8MFMAType1EEvPKT_PKT0_S9_ifPKiSB_SB_iPKfiiiPfSE_PS4_PT2_iSD_SD_
                                        ; -- End function
	.section	.AMDGPU.csdata,"",@progbits
; Kernel info:
; codeLenInByte = 9000
; NumSgprs: 38
; NumVgprs: 140
; ScratchSize: 0
; MemoryBound: 0
; FloatMode: 240
; IeeeMode: 1
; LDSByteSize: 17472 bytes/workgroup (compile time only)
; SGPRBlocks: 4
; VGPRBlocks: 17
; NumSGPRsForWavesPerEU: 38
; NumVGPRsForWavesPerEU: 140
; Occupancy: 10
; WaveLimiterHint : 1
; COMPUTE_PGM_RSRC2:SCRATCH_EN: 0
; COMPUTE_PGM_RSRC2:USER_SGPR: 13
; COMPUTE_PGM_RSRC2:TRAP_HANDLER: 0
; COMPUTE_PGM_RSRC2:TGID_X_EN: 1
; COMPUTE_PGM_RSRC2:TGID_Y_EN: 1
; COMPUTE_PGM_RSRC2:TGID_Z_EN: 1
; COMPUTE_PGM_RSRC2:TIDIG_COMP_CNT: 0
	.section	.text._Z39paged_attention_ll4mi_QKV_mfma16_kernelI14__hip_bfloat16hLN4vllm18Fp8KVCacheDataTypeE1ES0_Li32ELi128ELi256ELb1ELi13EL8MFMAType1EEvPKT_PKT0_S9_ifPKiSB_SB_iPKfiiiPfSE_PS4_PT2_iSD_SD_,"axG",@progbits,_Z39paged_attention_ll4mi_QKV_mfma16_kernelI14__hip_bfloat16hLN4vllm18Fp8KVCacheDataTypeE1ES0_Li32ELi128ELi256ELb1ELi13EL8MFMAType1EEvPKT_PKT0_S9_ifPKiSB_SB_iPKfiiiPfSE_PS4_PT2_iSD_SD_,comdat
	.protected	_Z39paged_attention_ll4mi_QKV_mfma16_kernelI14__hip_bfloat16hLN4vllm18Fp8KVCacheDataTypeE1ES0_Li32ELi128ELi256ELb1ELi13EL8MFMAType1EEvPKT_PKT0_S9_ifPKiSB_SB_iPKfiiiPfSE_PS4_PT2_iSD_SD_ ; -- Begin function _Z39paged_attention_ll4mi_QKV_mfma16_kernelI14__hip_bfloat16hLN4vllm18Fp8KVCacheDataTypeE1ES0_Li32ELi128ELi256ELb1ELi13EL8MFMAType1EEvPKT_PKT0_S9_ifPKiSB_SB_iPKfiiiPfSE_PS4_PT2_iSD_SD_
	.globl	_Z39paged_attention_ll4mi_QKV_mfma16_kernelI14__hip_bfloat16hLN4vllm18Fp8KVCacheDataTypeE1ES0_Li32ELi128ELi256ELb1ELi13EL8MFMAType1EEvPKT_PKT0_S9_ifPKiSB_SB_iPKfiiiPfSE_PS4_PT2_iSD_SD_
	.p2align	8
	.type	_Z39paged_attention_ll4mi_QKV_mfma16_kernelI14__hip_bfloat16hLN4vllm18Fp8KVCacheDataTypeE1ES0_Li32ELi128ELi256ELb1ELi13EL8MFMAType1EEvPKT_PKT0_S9_ifPKiSB_SB_iPKfiiiPfSE_PS4_PT2_iSD_SD_,@function
_Z39paged_attention_ll4mi_QKV_mfma16_kernelI14__hip_bfloat16hLN4vllm18Fp8KVCacheDataTypeE1ES0_Li32ELi128ELi256ELb1ELi13EL8MFMAType1EEvPKT_PKT0_S9_ifPKiSB_SB_iPKfiiiPfSE_PS4_PT2_iSD_SD_: ; @_Z39paged_attention_ll4mi_QKV_mfma16_kernelI14__hip_bfloat16hLN4vllm18Fp8KVCacheDataTypeE1ES0_Li32ELi128ELi256ELb1ELi13EL8MFMAType1EEvPKT_PKT0_S9_ifPKiSB_SB_iPKfiiiPfSE_PS4_PT2_iSD_SD_
; %bb.0:
	s_load_b64 s[4:5], s[0:1], 0x30
	s_mov_b32 s30, s13
	s_waitcnt lgkmcnt(0)
	s_cmp_lg_u64 s[4:5], 0
	s_cselect_b32 s13, -1, 0
	s_ashr_i32 s31, s30, 31
	s_cmp_eq_u64 s[4:5], 0
	s_cbranch_scc1 .LBB1638_3
; %bb.1:
	s_lshl_b64 s[2:3], s[30:31], 2
	s_delay_alu instid0(SALU_CYCLE_1) | instskip(SKIP_4) | instid1(SALU_CYCLE_1)
	s_add_u32 s2, s4, s2
	s_addc_u32 s3, s5, s3
	s_load_b64 s[2:3], s[2:3], 0x0
	s_waitcnt lgkmcnt(0)
	s_sub_i32 s2, s3, s2
	s_cmp_eq_u32 s2, 1
	s_cselect_b32 s2, -1, 0
	s_delay_alu instid0(SALU_CYCLE_1)
	s_and_not1_b32 vcc_lo, exec_lo, s2
	s_cbranch_vccz .LBB1638_4
.LBB1638_2:
	s_nop 0
	s_sendmsg sendmsg(MSG_DEALLOC_VGPRS)
	s_endpgm
.LBB1638_3:
.LBB1638_4:
	s_load_b64 s[2:3], s[0:1], 0x28
	s_lshl_b64 s[6:7], s[30:31], 2
	s_waitcnt lgkmcnt(0)
	s_add_u32 s2, s2, s6
	s_addc_u32 s3, s3, s7
	s_lshl_b32 s12, s14, 8
	s_load_b32 s17, s[2:3], 0x0
	s_waitcnt lgkmcnt(0)
	s_cmp_ge_i32 s12, s17
	s_cbranch_scc1 .LBB1638_2
; %bb.5:
	s_clause 0x1
	s_load_b128 s[8:11], s[0:1], 0x8
	s_load_b64 s[2:3], s[0:1], 0x20
	s_and_not1_b32 vcc_lo, exec_lo, s13
	s_cbranch_vccnz .LBB1638_7
; %bb.6:
	s_add_u32 s4, s4, s6
	s_addc_u32 s5, s5, s7
	s_load_b32 s13, s[4:5], 0x0
	s_branch .LBB1638_8
.LBB1638_7:
	s_mov_b32 s13, s30
.LBB1638_8:
	s_load_b128 s[4:7], s[0:1], 0x48
	v_and_b32_e32 v65, 15, v0
	v_lshrrev_b32_e32 v66, 5, v0
	v_bfe_u32 v74, v0, 4, 1
	v_and_b32_e32 v67, 31, v0
	v_and_b32_e32 v75, 1, v0
	v_lshlrev_b32_e32 v2, 3, v65
	s_mul_i32 s31, s15, 13
	v_lshl_or_b32 v1, v66, 1, v74
	s_waitcnt lgkmcnt(0)
	s_mov_b32 s7, exec_lo
	v_lshlrev_b32_e32 v73, 1, v2
	s_delay_alu instid0(VALU_DEP_2)
	v_cmpx_gt_u32_e32 13, v1
	s_cbranch_execz .LBB1638_10
; %bb.9:
	s_load_b64 s[18:19], s[0:1], 0x0
	v_add_lshl_u32 v2, v1, s31, 7
	s_mul_hi_i32 s21, s13, s4
	s_mul_i32 s20, s13, s4
	v_lshlrev_b32_e32 v6, 10, v65
	s_lshl_b64 s[20:21], s[20:21], 1
	v_ashrrev_i32_e32 v3, 31, v2
	v_lshlrev_b32_e32 v1, 6, v1
	v_lshlrev_b32_e32 v7, 10, v75
	v_and_b32_e32 v6, 0x3800, v6
	s_delay_alu instid0(VALU_DEP_4) | instskip(NEXT) | instid1(VALU_DEP_2)
	v_lshlrev_b64 v[2:3], 1, v[2:3]
	v_or3_b32 v1, v6, v7, v1
	s_waitcnt lgkmcnt(0)
	s_add_u32 s4, s18, s20
	s_addc_u32 s13, s19, s21
	s_delay_alu instid0(VALU_DEP_2) | instskip(SKIP_1) | instid1(VALU_DEP_2)
	v_add_co_u32 v2, vcc_lo, s4, v2
	v_add_co_ci_u32_e32 v3, vcc_lo, s13, v3, vcc_lo
	v_add_co_u32 v2, vcc_lo, v2, v73
	s_delay_alu instid0(VALU_DEP_2)
	v_add_co_ci_u32_e32 v3, vcc_lo, 0, v3, vcc_lo
	global_load_b128 v[2:5], v[2:3], off
	s_waitcnt vmcnt(0)
	ds_store_b128 v1, v[2:5]
.LBB1638_10:
	s_or_b32 exec_lo, exec_lo, s7
	v_and_b32_e32 v1, 0xef, v0
	s_add_i32 s4, s17, 31
	s_clause 0x1
	s_load_b32 s7, s[0:1], 0x38
	s_load_b32 s18, s[0:1], 0x1c
	s_ashr_i32 s13, s4, 31
	v_add_nc_u32_e32 v1, s12, v1
	s_lshr_b32 s13, s13, 27
	s_waitcnt lgkmcnt(0)
	s_add_i32 s4, s4, s13
	s_barrier
	v_ashrrev_i32_e32 v2, 31, v1
	v_or_b32_e32 v3, 16, v1
	s_ashr_i32 s4, s4, 5
	v_cmp_gt_i32_e32 vcc_lo, s17, v1
	s_add_i32 s4, s4, -1
	v_lshrrev_b32_e32 v2, 27, v2
	buffer_gl0_inv
	s_mul_i32 s15, s15, s6
	v_add_nc_u32_e32 v4, v1, v2
	s_mul_i32 s20, s30, s7
	s_delay_alu instid0(SALU_CYCLE_1) | instskip(NEXT) | instid1(VALU_DEP_1)
	s_ashr_i32 s21, s20, 31
	v_ashrrev_i32_e32 v4, 5, v4
	v_add_nc_u32_e32 v2, v3, v2
	s_lshl_b64 s[20:21], s[20:21], 2
	s_delay_alu instid0(SALU_CYCLE_1) | instskip(NEXT) | instid1(VALU_DEP_2)
	s_add_u32 s13, s2, s20
	v_cndmask_b32_e32 v1, s4, v4, vcc_lo
	s_delay_alu instid0(VALU_DEP_2)
	v_ashrrev_i32_e32 v2, 5, v2
	v_cmp_gt_i32_e32 vcc_lo, s17, v3
	s_addc_u32 s16, s3, s21
	s_ashr_i32 s19, s15, 31
	s_add_u32 s2, s8, s15
	s_addc_u32 s3, s9, s19
	v_cndmask_b32_e32 v3, s4, v2, vcc_lo
	v_ashrrev_i32_e32 v2, 31, v1
	s_lshl_b32 s6, s14, 3
	s_delay_alu instid0(SALU_CYCLE_1) | instskip(NEXT) | instid1(VALU_DEP_2)
	s_ashr_i32 s7, s6, 31
	v_ashrrev_i32_e32 v4, 31, v3
	s_delay_alu instid0(VALU_DEP_2) | instskip(SKIP_1) | instid1(SALU_CYCLE_1)
	v_lshlrev_b64 v[1:2], 2, v[1:2]
	s_lshl_b64 s[6:7], s[6:7], 2
	s_add_u32 s6, s13, s6
	s_delay_alu instid0(VALU_DEP_2) | instskip(SKIP_1) | instid1(VALU_DEP_2)
	v_lshlrev_b64 v[3:4], 2, v[3:4]
	s_addc_u32 s7, s16, s7
	v_add_co_u32 v1, vcc_lo, s13, v1
	v_add_co_ci_u32_e32 v2, vcc_lo, s16, v2, vcc_lo
	s_delay_alu instid0(VALU_DEP_3) | instskip(NEXT) | instid1(VALU_DEP_4)
	v_add_co_u32 v3, vcc_lo, s13, v3
	v_add_co_ci_u32_e32 v4, vcc_lo, s16, v4, vcc_lo
	s_clause 0x1
	global_load_b32 v5, v[1:2], off
	global_load_b32 v6, v[3:4], off
	s_or_b32 s8, s12, 32
	s_delay_alu instid0(SALU_CYCLE_1) | instskip(SKIP_2) | instid1(SALU_CYCLE_1)
	s_ashr_i32 s9, s8, 5
	s_cmp_lt_i32 s8, s17
	s_cselect_b32 s8, s9, s4
	s_ashr_i32 s9, s8, 31
	s_delay_alu instid0(SALU_CYCLE_1) | instskip(NEXT) | instid1(SALU_CYCLE_1)
	s_lshl_b64 s[8:9], s[8:9], 2
	s_add_u32 s8, s13, s8
	s_addc_u32 s9, s16, s9
	s_or_b32 s20, s12, 64
	s_delay_alu instid0(SALU_CYCLE_1) | instskip(SKIP_2) | instid1(SALU_CYCLE_1)
	s_ashr_i32 s21, s20, 5
	s_cmp_lt_i32 s20, s17
	s_cselect_b32 s20, s21, s4
	s_ashr_i32 s21, s20, 31
	s_delay_alu instid0(SALU_CYCLE_1) | instskip(NEXT) | instid1(SALU_CYCLE_1)
	s_lshl_b64 s[20:21], s[20:21], 2
	s_add_u32 s20, s13, s20
	s_addc_u32 s21, s16, s21
	;; [unrolled: 10-line block ×5, first 2 shown]
	s_clause 0x5
	s_load_b32 s28, s[6:7], 0x0
	s_load_b32 s8, s[8:9], 0x0
	;; [unrolled: 1-line block ×6, first 2 shown]
	s_mov_b32 s20, 0
	s_delay_alu instid0(SALU_CYCLE_1)
	s_mov_b32 s21, s20
	s_mov_b32 s22, s20
	;; [unrolled: 1-line block ×7, first 2 shown]
	s_delay_alu instid0(SALU_CYCLE_1)
	v_dual_mov_b32 v107, s27 :: v_dual_mov_b32 v106, s26
	v_dual_mov_b32 v104, s24 :: v_dual_mov_b32 v103, s23
	;; [unrolled: 1-line block ×3, first 2 shown]
	v_mov_b32_e32 v100, s20
	s_waitcnt vmcnt(1)
	v_mad_i64_i32 v[1:2], null, v5, s5, s[2:3]
	v_lshlrev_b32_e32 v5, 4, v65
	s_waitcnt vmcnt(0)
	v_mad_i64_i32 v[3:4], null, v6, s5, s[2:3]
	s_or_b32 s2, s12, 0xc0
	s_delay_alu instid0(SALU_CYCLE_1) | instskip(NEXT) | instid1(VALU_DEP_3)
	s_ashr_i32 s3, s2, 5
	v_add_co_u32 v33, vcc_lo, v1, v5
	s_delay_alu instid0(VALU_DEP_4) | instskip(NEXT) | instid1(VALU_DEP_3)
	v_add_co_ci_u32_e32 v34, vcc_lo, 0, v2, vcc_lo
	v_add_co_u32 v35, vcc_lo, v3, v5
	s_delay_alu instid0(VALU_DEP_4)
	v_add_co_ci_u32_e32 v36, vcc_lo, 0, v4, vcc_lo
	s_clause 0xf
	global_load_b128 v[1:4], v[33:34], off
	global_load_b128 v[5:8], v[33:34], off offset:512
	global_load_b128 v[9:12], v[35:36], off offset:256
	;; [unrolled: 1-line block ×15, first 2 shown]
	s_cmp_lt_i32 s2, s17
	v_add_nc_u32_e32 v33, -13, v65
	s_cselect_b32 s2, s3, s4
	v_cmp_gt_u32_e32 vcc_lo, 13, v65
	s_ashr_i32 s3, s2, 31
	v_lshlrev_b32_e32 v34, 5, v65
	s_lshl_b64 s[2:3], s[2:3], 2
	s_delay_alu instid0(SALU_CYCLE_1)
	s_add_u32 s2, s13, s2
	s_addc_u32 s3, s16, s3
	s_or_b32 s6, s12, 0xe0
	v_cndmask_b32_e32 v33, v33, v65, vcc_lo
	s_ashr_i32 s7, s6, 5
	s_cmp_lt_i32 s6, s17
	v_mov_b32_e32 v105, s25
	s_cselect_b32 s6, s7, s4
	v_lshlrev_b32_e32 v72, 6, v33
	s_ashr_i32 s7, s6, 31
	v_lshl_or_b32 v41, v66, 9, v34
	s_lshl_b64 s[6:7], s[6:7], 2
	ds_load_b128 v[33:36], v72
	ds_load_b128 v[37:40], v72 offset:1024
	ds_load_b128 v[108:111], v72 offset:2048
	;; [unrolled: 1-line block ×3, first 2 shown]
	s_load_b32 s4, s[2:3], 0x0
	s_add_u32 s2, s13, s6
	s_addc_u32 s3, s16, s7
	ds_load_b128 v[116:119], v72 offset:4096
	ds_load_b128 v[120:123], v72 offset:5120
	s_load_b32 s2, s[2:3], 0x0
	s_add_u32 s6, s10, s15
	s_addc_u32 s7, s11, s19
	v_add_co_u32 v68, s6, s6, v41
	s_delay_alu instid0(VALU_DEP_1) | instskip(SKIP_1) | instid1(VALU_DEP_1)
	v_add_co_ci_u32_e64 v69, null, s7, 0, s6
	s_waitcnt lgkmcnt(0)
	v_mad_i64_i32 v[41:42], null, s28, s5, v[68:69]
	v_mad_i64_i32 v[70:71], null, s9, s5, v[68:69]
	;; [unrolled: 1-line block ×7, first 2 shown]
	s_clause 0x3
	global_load_b128 v[49:52], v[41:42], off
	global_load_b128 v[53:56], v[41:42], off offset:16
	global_load_b128 v[41:44], v[45:46], off
	global_load_b128 v[45:48], v[45:46], off offset:16
	s_waitcnt vmcnt(18)
	v_wmma_f32_16x16x16_bf16 v[124:131], v[1:8], v[33:40], v[100:107]
	s_waitcnt vmcnt(16)
	v_wmma_f32_16x16x16_bf16 v[100:107], v[9:16], v[33:40], v[100:107]
	s_clause 0x1
	global_load_b128 v[33:36], v[70:71], off
	global_load_b128 v[37:40], v[70:71], off offset:16
	v_mad_i64_i32 v[70:71], null, s2, s5, v[68:69]
	s_waitcnt vmcnt(16)
	v_wmma_f32_16x16x16_bf16 v[124:131], v[17:24], v[108:115], v[124:131]
	s_waitcnt vmcnt(14)
	v_wmma_f32_16x16x16_bf16 v[100:107], v[25:32], v[108:115], v[100:107]
	s_clause 0x7
	global_load_b128 v[25:28], v[132:133], off
	global_load_b128 v[29:32], v[132:133], off offset:16
	global_load_b128 v[1:4], v[134:135], off
	global_load_b128 v[5:8], v[134:135], off offset:16
	;; [unrolled: 2-line block ×4, first 2 shown]
	s_waitcnt vmcnt(20)
	v_wmma_f32_16x16x16_bf16 v[124:131], v[57:64], v[116:123], v[124:131]
	s_clause 0x1
	global_load_b128 v[57:60], v[70:71], off
	global_load_b128 v[61:64], v[70:71], off offset:16
	s_waitcnt vmcnt(20)
	v_wmma_f32_16x16x16_bf16 v[100:107], v[76:83], v[116:123], v[100:107]
	ds_load_b128 v[76:79], v72 offset:6144
	ds_load_b128 v[80:83], v72 offset:7168
	v_and_b32_e32 v68, 0xe0, v0
	v_mbcnt_lo_u32_b32 v69, -1, 0
	s_waitcnt vmcnt(0) lgkmcnt(0)
	s_barrier
	buffer_gl0_inv
	v_add_nc_u32_e32 v68, s12, v68
	v_xor_b32_e32 v70, 16, v69
	s_delay_alu instid0(VALU_DEP_2) | instskip(NEXT) | instid1(VALU_DEP_2)
	v_or_b32_e32 v68, v68, v74
	v_cmp_gt_i32_e32 vcc_lo, 32, v70
	s_delay_alu instid0(VALU_DEP_2)
	v_or_b32_e32 v71, 4, v68
	v_or_b32_e32 v72, 6, v68
	v_cmp_gt_i32_e64 s2, s17, v68
	v_or_b32_e32 v108, 8, v68
	v_wmma_f32_16x16x16_bf16 v[124:131], v[84:91], v[76:83], v[124:131]
	v_cndmask_b32_e32 v69, v69, v70, vcc_lo
	v_or_b32_e32 v70, 2, v68
	v_wmma_f32_16x16x16_bf16 v[100:107], v[92:99], v[76:83], v[100:107]
	v_or_b32_e32 v109, 10, v68
	v_dual_mul_f32 v80, s18, v129 :: v_dual_mul_f32 v81, s18, v128
	v_dual_mul_f32 v92, s18, v125 :: v_dual_mul_f32 v93, s18, v124
	s_delay_alu instid0(VALU_DEP_4)
	v_mul_f32_e32 v96, s18, v105
	v_cmp_gt_i32_e32 vcc_lo, s17, v70
	v_or_b32_e32 v89, 22, v68
	v_dual_mul_f32 v79, s18, v130 :: v_dual_mul_f32 v82, s18, v127
	v_dual_mul_f32 v83, s18, v126 :: v_dual_mul_f32 v94, s18, v107
	v_cndmask_b32_e64 v93, 0xff7fffff, v93, s2
	v_cndmask_b32_e32 v92, 0xff7fffff, v92, vcc_lo
	v_cmp_gt_i32_e64 s3, s17, v71
	v_cmp_gt_i32_e64 s4, s17, v72
	v_or_b32_e32 v84, 12, v68
	v_or_b32_e32 v85, 14, v68
	v_cmp_gt_i32_e64 s5, s17, v108
	v_cndmask_b32_e64 v71, 0xff7fffff, v83, s3
	v_cndmask_b32_e64 v72, 0xff7fffff, v82, s4
	v_cmp_gt_i32_e64 s6, s17, v109
	v_cmp_gt_i32_e64 s12, s17, v89
	v_lshlrev_b32_e32 v89, 2, v69
	v_max3_f32 v82, v93, 0xff7fffff, v92
	v_or_b32_e32 v86, 16, v68
	v_or_b32_e32 v87, 18, v68
	v_mul_f32_e32 v78, s18, v131
	v_cndmask_b32_e64 v81, 0xff7fffff, v81, s5
	v_cndmask_b32_e64 v80, 0xff7fffff, v80, s6
	v_max3_f32 v71, v82, v71, v72
	v_cmp_gt_i32_e64 s7, s17, v84
	v_cmp_gt_i32_e64 s8, s17, v85
	v_or_b32_e32 v88, 20, v68
	v_or_b32_e32 v90, 24, v68
	;; [unrolled: 1-line block ×5, first 2 shown]
	v_dual_mul_f32 v97, s18, v104 :: v_dual_mul_f32 v70, s18, v101
	v_dual_mul_f32 v99, s18, v102 :: v_dual_mul_f32 v68, s18, v100
	v_cndmask_b32_e64 v72, 0xff7fffff, v79, s7
	v_cndmask_b32_e64 v78, 0xff7fffff, v78, s8
	v_max3_f32 v71, v71, v81, v80
	v_cmp_gt_i32_e64 s9, s17, v86
	v_cmp_gt_i32_e64 s10, s17, v87
	v_dual_mul_f32 v95, s18, v106 :: v_dual_mul_f32 v98, s18, v103
	s_delay_alu instid0(VALU_DEP_4) | instskip(NEXT) | instid1(VALU_DEP_4)
	v_max3_f32 v71, v71, v72, v78
	v_cndmask_b32_e64 v68, 0xff7fffff, v68, s9
	s_delay_alu instid0(VALU_DEP_4)
	v_cndmask_b32_e64 v70, 0xff7fffff, v70, s10
	v_cmp_gt_i32_e64 s11, s17, v88
	v_cndmask_b32_e64 v78, 0xff7fffff, v98, s12
	v_cmp_gt_i32_e64 s13, s17, v90
	v_cmp_gt_i32_e64 s15, s17, v91
	v_max3_f32 v68, v71, v68, v70
	v_cndmask_b32_e64 v72, 0xff7fffff, v99, s11
	v_cmp_gt_i32_e64 s16, s17, v76
	v_cndmask_b32_e64 v70, 0xff7fffff, v97, s13
	v_cndmask_b32_e64 v71, 0xff7fffff, v96, s15
	v_cmp_gt_i32_e64 s17, s17, v77
	v_max3_f32 v68, v68, v72, v78
	v_cndmask_b32_e64 v72, 0xff7fffff, v95, s16
	s_delay_alu instid0(VALU_DEP_3) | instskip(NEXT) | instid1(VALU_DEP_3)
	v_cndmask_b32_e64 v76, 0xff7fffff, v94, s17
	v_max3_f32 v68, v68, v70, v71
	s_delay_alu instid0(VALU_DEP_1) | instskip(SKIP_3) | instid1(VALU_DEP_1)
	v_max3_f32 v68, v68, v72, v76
	ds_bpermute_b32 v69, v89, v68
	s_waitcnt lgkmcnt(0)
	v_max_f32_e32 v69, v69, v69
	v_max_f32_e32 v68, v68, v69
	s_delay_alu instid0(VALU_DEP_1) | instskip(NEXT) | instid1(VALU_DEP_1)
	v_fma_f32 v71, s18, v126, -v68
	v_mul_f32_e32 v71, 0x3fb8aa3b, v71
	v_fma_f32 v70, s18, v125, -v68
	v_fma_f32 v69, s18, v124, -v68
	v_fma_f32 v76, s18, v128, -v68
	v_fma_f32 v72, s18, v127, -v68
	v_fma_f32 v78, s18, v130, -v68
	s_delay_alu instid0(VALU_DEP_4) | instskip(SKIP_1) | instid1(VALU_DEP_3)
	v_dual_mul_f32 v70, 0x3fb8aa3b, v70 :: v_dual_mul_f32 v69, 0x3fb8aa3b, v69
	v_exp_f32_e32 v71, v71
	v_mul_f32_e32 v72, 0x3fb8aa3b, v72
	v_fma_f32 v81, s18, v105, -v68
	s_delay_alu instid0(VALU_DEP_3)
	v_exp_f32_e32 v70, v70
	v_mul_f32_e32 v77, 0x3fb8aa3b, v76
	v_exp_f32_e32 v69, v69
	v_exp_f32_e32 v72, v72
	v_mul_f32_e32 v81, 0x3fb8aa3b, v81
	v_cndmask_b32_e64 v83, 0, v71, s3
	v_fma_f32 v71, s18, v131, -v68
	s_delay_alu instid0(VALU_DEP_3) | instskip(SKIP_4) | instid1(TRANS32_DEP_3)
	v_exp_f32_e32 v81, v81
	v_cndmask_b32_e32 v76, 0, v70, vcc_lo
	v_exp_f32_e32 v77, v77
	v_cndmask_b32_e64 v80, 0, v69, s2
	v_fma_f32 v69, s18, v129, -v68
	v_cndmask_b32_e64 v85, 0, v72, s4
	v_mul_f32_e32 v71, 0x3fb8aa3b, v71
	v_fma_f32 v72, s18, v100, -v68
	s_delay_alu instid0(VALU_DEP_4) | instskip(SKIP_1) | instid1(VALU_DEP_4)
	v_dual_add_f32 v70, 0, v80 :: v_dual_mul_f32 v69, 0x3fb8aa3b, v69
	v_cmp_gt_u32_e64 s2, 16, v67
	v_exp_f32_e32 v71, v71
	s_delay_alu instid0(TRANS32_DEP_2) | instskip(SKIP_4) | instid1(VALU_DEP_3)
	v_cndmask_b32_e64 v86, 0, v77, s5
	v_fma_f32 v77, s18, v101, -v68
	v_mul_f32_e32 v78, 0x3fb8aa3b, v78
	v_add_f32_e32 v70, v70, v76
	v_exp_f32_e32 v69, v69
	v_mul_f32_e32 v77, 0x3fb8aa3b, v77
	s_delay_alu instid0(VALU_DEP_3) | instskip(NEXT) | instid1(TRANS32_DEP_3)
	v_exp_f32_e32 v78, v78
	v_cndmask_b32_e64 v88, 0, v71, s8
	v_fma_f32 v71, s18, v104, -v68
	s_delay_alu instid0(VALU_DEP_3) | instskip(NEXT) | instid1(TRANS32_DEP_3)
	v_exp_f32_e32 v77, v77
	v_cndmask_b32_e64 v87, 0, v69, s6
	s_delay_alu instid0(VALU_DEP_2)
	v_mul_f32_e32 v71, 0x3fb8aa3b, v71
	s_waitcnt_depctr 0xfff
	v_cndmask_b32_e64 v84, 0, v78, s7
	v_add_f32_e32 v70, v70, v83
	v_fma_f32 v78, s18, v103, -v68
	v_exp_f32_e32 v82, v71
	s_delay_alu instid0(VALU_DEP_2) | instskip(SKIP_1) | instid1(VALU_DEP_3)
	v_add_f32_e32 v70, v70, v85
	v_mul_f32_e32 v72, 0x3fb8aa3b, v72
	v_mul_f32_e32 v78, 0x3fb8aa3b, v78
	s_delay_alu instid0(VALU_DEP_3) | instskip(SKIP_1) | instid1(VALU_DEP_4)
	v_add_f32_e32 v69, v70, v86
	v_fma_f32 v70, s18, v102, -v68
	v_exp_f32_e32 v72, v72
	s_delay_alu instid0(VALU_DEP_3) | instskip(NEXT) | instid1(VALU_DEP_1)
	v_exp_f32_e32 v78, v78
	v_dual_add_f32 v69, v69, v87 :: v_dual_mul_f32 v70, 0x3fb8aa3b, v70
	s_delay_alu instid0(VALU_DEP_1) | instskip(NEXT) | instid1(VALU_DEP_2)
	v_add_f32_e32 v69, v69, v84
	v_exp_f32_e32 v79, v70
	s_delay_alu instid0(TRANS32_DEP_3) | instskip(NEXT) | instid1(VALU_DEP_2)
	v_cndmask_b32_e64 v70, 0, v72, s9
	v_add_f32_e32 v72, v69, v88
	v_cndmask_b32_e64 v69, 0, v77, s10
	v_fma_f32 v77, s18, v106, -v68
	s_waitcnt_depctr 0xfff
	v_cndmask_b32_e64 v71, 0, v79, s11
	v_dual_mul_f32 v77, 0x3fb8aa3b, v77 :: v_dual_add_f32 v72, v72, v70
	s_delay_alu instid0(VALU_DEP_1) | instskip(NEXT) | instid1(VALU_DEP_1)
	v_exp_f32_e32 v90, v77
	v_add_f32_e32 v79, v72, v69
	v_cndmask_b32_e64 v72, 0, v78, s12
	v_cndmask_b32_e64 v77, 0, v82, s13
	s_delay_alu instid0(VALU_DEP_3) | instskip(SKIP_1) | instid1(VALU_DEP_1)
	v_add_f32_e32 v78, v79, v71
	v_fma_f32 v79, s18, v107, -v68
	v_dual_add_f32 v82, v78, v72 :: v_dual_mul_f32 v79, 0x3fb8aa3b, v79
	v_cndmask_b32_e64 v78, 0, v81, s15
	s_delay_alu instid0(VALU_DEP_2) | instskip(NEXT) | instid1(VALU_DEP_3)
	v_add_f32_e32 v81, v82, v77
	v_exp_f32_e32 v82, v79
	v_cndmask_b32_e64 v79, 0, v90, s16
	s_delay_alu instid0(VALU_DEP_2) | instskip(NEXT) | instid1(VALU_DEP_1)
	v_add_f32_e32 v81, v81, v78
	v_add_f32_e32 v90, v81, v79
	s_waitcnt_depctr 0xfff
	v_cndmask_b32_e64 v81, 0, v82, s17
	s_delay_alu instid0(VALU_DEP_1)
	v_add_f32_e32 v82, v90, v81
	ds_bpermute_b32 v89, v89, v82
	s_and_saveexec_b32 s3, s2
	s_cbranch_execz .LBB1638_12
; %bb.11:
	v_mul_u32_u24_e32 v67, 0x44, v66
	s_delay_alu instid0(VALU_DEP_1) | instskip(SKIP_1) | instid1(VALU_DEP_1)
	v_lshl_add_u32 v67, v65, 2, v67
	s_waitcnt lgkmcnt(0)
	v_dual_add_f32 v82, v82, v89 :: v_dual_add_nc_u32 v67, 0x4000, v67
	ds_store_2addr_b32 v67, v68, v82 offset1:136
.LBB1638_12:
	s_or_b32 exec_lo, exec_lo, s3
	v_lshlrev_b32_e32 v67, 2, v65
	s_waitcnt lgkmcnt(0)
	s_barrier
	buffer_gl0_inv
	v_cmp_eq_u32_e32 vcc_lo, 1, v66
	v_add_nc_u32_e32 v82, 0x4000, v67
	v_cmp_eq_u32_e64 s3, 2, v66
	v_cmp_eq_u32_e64 s5, 7, v66
	ds_load_2addr_b32 v[89:90], v82 offset1:17
	ds_load_2addr_b32 v[91:92], v82 offset0:34 offset1:51
	ds_load_2addr_b32 v[93:94], v82 offset0:68 offset1:85
	;; [unrolled: 1-line block ×4, first 2 shown]
	s_waitcnt lgkmcnt(4)
	v_max3_f32 v67, v89, 0xff7fffff, v90
	s_waitcnt lgkmcnt(3)
	s_delay_alu instid0(VALU_DEP_1) | instskip(SKIP_1) | instid1(VALU_DEP_1)
	v_max3_f32 v67, v67, v91, v92
	s_waitcnt lgkmcnt(2)
	v_max3_f32 v67, v67, v93, v94
	s_waitcnt lgkmcnt(1)
	s_delay_alu instid0(VALU_DEP_1) | instskip(NEXT) | instid1(VALU_DEP_1)
	v_max3_f32 v67, v67, v95, v96
	v_sub_f32_e32 v93, v93, v67
	s_delay_alu instid0(VALU_DEP_1) | instskip(NEXT) | instid1(VALU_DEP_1)
	v_dual_sub_f32 v68, v89, v67 :: v_dual_mul_f32 v103, 0x3fb8aa3b, v93
	v_mul_f32_e32 v68, 0x3fb8aa3b, v68
	s_delay_alu instid0(VALU_DEP_1)
	v_exp_f32_e32 v100, v68
	v_sub_f32_e32 v68, v92, v67
	v_sub_f32_e32 v99, v90, v67
	ds_load_2addr_b32 v[89:90], v82 offset0:170 offset1:187
	v_dual_mul_f32 v102, 0x3fb8aa3b, v68 :: v_dual_mul_f32 v99, 0x3fb8aa3b, v99
	s_waitcnt lgkmcnt(1)
	v_fma_f32 v68, v100, v97, 0
	s_delay_alu instid0(VALU_DEP_2) | instskip(NEXT) | instid1(VALU_DEP_2)
	v_exp_f32_e32 v102, v102
	v_exp_f32_e32 v99, v99
	s_waitcnt_depctr 0xfff
	v_fmac_f32_e32 v68, v99, v98
	v_sub_f32_e32 v91, v91, v67
	s_delay_alu instid0(VALU_DEP_1)
	v_mul_f32_e32 v101, 0x3fb8aa3b, v91
	ds_load_2addr_b32 v[91:92], v82 offset0:204 offset1:221
	v_sub_f32_e32 v97, v94, v67
	ds_load_2addr_b32 v[93:94], v82 offset0:238 offset1:255
	s_waitcnt lgkmcnt(0)
	v_exp_f32_e32 v101, v101
	s_barrier
	buffer_gl0_inv
	v_dual_fmac_f32 v68, v101, v89 :: v_dual_sub_f32 v89, v96, v67
	v_dual_sub_f32 v82, v95, v67 :: v_dual_mul_f32 v95, 0x3fb8aa3b, v97
	v_exp_f32_e32 v97, v103
	s_delay_alu instid0(VALU_DEP_2) | instskip(NEXT) | instid1(VALU_DEP_2)
	v_dual_fmac_f32 v68, v102, v90 :: v_dual_mul_f32 v89, 0x3fb8aa3b, v89
	v_mul_f32_e32 v82, 0x3fb8aa3b, v82
	s_delay_alu instid0(VALU_DEP_3) | instskip(NEXT) | instid1(VALU_DEP_2)
	v_exp_f32_e32 v95, v95
	v_exp_f32_e32 v89, v89
	s_delay_alu instid0(VALU_DEP_1)
	v_exp_f32_e32 v82, v82
	v_fmac_f32_e32 v68, v97, v91
	s_delay_alu instid0(TRANS32_DEP_3) | instid1(VALU_DEP_1)
	v_fmac_f32_e32 v68, v95, v92
	s_waitcnt_depctr 0xfff
	v_fmac_f32_e32 v68, v82, v93
	s_delay_alu instid0(VALU_DEP_1) | instskip(NEXT) | instid1(VALU_DEP_1)
	v_fmac_f32_e32 v68, v89, v94
	v_add_f32_e32 v90, 0x358637bd, v68
	s_delay_alu instid0(VALU_DEP_1) | instskip(NEXT) | instid1(VALU_DEP_1)
	v_div_scale_f32 v91, null, v90, v90, 1.0
	v_rcp_f32_e32 v92, v91
	s_waitcnt_depctr 0xfff
	v_fma_f32 v93, -v91, v92, 1.0
	s_delay_alu instid0(VALU_DEP_1) | instskip(SKIP_1) | instid1(VALU_DEP_2)
	v_dual_fmac_f32 v92, v93, v92 :: v_dual_cndmask_b32 v93, v100, v99
	v_cmp_eq_u32_e32 vcc_lo, 3, v66
	v_cndmask_b32_e64 v93, v93, v101, s3
	v_cmp_eq_u32_e64 s3, 4, v66
	s_delay_alu instid0(VALU_DEP_2) | instskip(SKIP_1) | instid1(VALU_DEP_2)
	v_cndmask_b32_e32 v93, v93, v102, vcc_lo
	v_cmp_eq_u32_e32 vcc_lo, 5, v66
	v_cndmask_b32_e64 v93, v93, v97, s3
	v_cmp_eq_u32_e64 s3, 6, v66
	s_delay_alu instid0(VALU_DEP_2) | instskip(SKIP_1) | instid1(VALU_DEP_1)
	v_cndmask_b32_e32 v93, v93, v95, vcc_lo
	v_div_scale_f32 v94, s4, 1.0, v90, 1.0
	s_mov_b32 vcc_lo, s4
	s_delay_alu instid0(VALU_DEP_2) | instskip(NEXT) | instid1(VALU_DEP_2)
	v_cndmask_b32_e64 v82, v93, v82, s3
	v_mul_f32_e32 v96, v94, v92
	s_mov_b32 s3, exec_lo
	s_delay_alu instid0(VALU_DEP_2) | instskip(NEXT) | instid1(VALU_DEP_2)
	v_cndmask_b32_e64 v82, v82, v89, s5
	v_fma_f32 v98, -v91, v96, v94
	s_delay_alu instid0(VALU_DEP_1) | instskip(NEXT) | instid1(VALU_DEP_1)
	v_fmac_f32_e32 v96, v98, v92
	v_fma_f32 v91, -v91, v96, v94
	s_delay_alu instid0(VALU_DEP_1) | instskip(NEXT) | instid1(VALU_DEP_1)
	v_div_fmas_f32 v91, v91, v92, v96
	v_div_fixup_f32 v90, v91, v90, 1.0
	s_delay_alu instid0(VALU_DEP_1) | instskip(NEXT) | instid1(VALU_DEP_1)
	v_mul_f32_e32 v82, v82, v90
	v_mul_f32_e32 v87, v82, v87
	;; [unrolled: 1-line block ×7, first 2 shown]
	v_dual_mul_f32 v86, v82, v83 :: v_dual_and_b32 v91, 0x7f800000, v90
	v_mul_f32_e32 v85, v82, v76
                                        ; implicit-def: $vgpr76
	s_delay_alu instid0(VALU_DEP_2)
	v_cmpx_ne_u32_e32 0x7f800000, v91
	s_xor_b32 s3, exec_lo, s3
; %bb.13:
	v_bfe_u32 v76, v90, 16, 1
	s_delay_alu instid0(VALU_DEP_1)
	v_add3_u32 v76, v90, v76, 0x7fff
                                        ; implicit-def: $vgpr90
; %bb.14:
	s_and_not1_saveexec_b32 s3, s3
; %bb.15:
	v_and_b32_e32 v76, 0xffff, v90
	v_or_b32_e32 v83, 0x10000, v90
	s_delay_alu instid0(VALU_DEP_2) | instskip(NEXT) | instid1(VALU_DEP_2)
	v_cmp_eq_u32_e32 vcc_lo, 0, v76
	v_cndmask_b32_e32 v76, v83, v90, vcc_lo
; %bb.16:
	s_or_b32 exec_lo, exec_lo, s3
	v_and_b32_e32 v83, 0x7f800000, v85
	s_delay_alu instid0(VALU_DEP_1) | instskip(SKIP_1) | instid1(SALU_CYCLE_1)
	v_cmp_ne_u32_e32 vcc_lo, 0x7f800000, v83
                                        ; implicit-def: $vgpr83
	s_and_saveexec_b32 s3, vcc_lo
	s_xor_b32 s3, exec_lo, s3
; %bb.17:
	v_bfe_u32 v83, v85, 16, 1
	s_delay_alu instid0(VALU_DEP_1)
	v_add3_u32 v83, v85, v83, 0x7fff
                                        ; implicit-def: $vgpr85
; %bb.18:
	s_and_not1_saveexec_b32 s3, s3
; %bb.19:
	v_and_b32_e32 v83, 0xffff, v85
	v_or_b32_e32 v90, 0x10000, v85
	s_delay_alu instid0(VALU_DEP_2) | instskip(NEXT) | instid1(VALU_DEP_2)
	v_cmp_eq_u32_e32 vcc_lo, 0, v83
	v_cndmask_b32_e32 v83, v90, v85, vcc_lo
; %bb.20:
	s_or_b32 exec_lo, exec_lo, s3
	v_and_b32_e32 v85, 0x7f800000, v86
	s_delay_alu instid0(VALU_DEP_1) | instskip(SKIP_1) | instid1(SALU_CYCLE_1)
	v_cmp_ne_u32_e32 vcc_lo, 0x7f800000, v85
                                        ; implicit-def: $vgpr85
	s_and_saveexec_b32 s3, vcc_lo
	s_xor_b32 s3, exec_lo, s3
; %bb.21:
	v_bfe_u32 v85, v86, 16, 1
	s_delay_alu instid0(VALU_DEP_1)
	v_add3_u32 v85, v86, v85, 0x7fff
                                        ; implicit-def: $vgpr86
; %bb.22:
	s_and_not1_saveexec_b32 s3, s3
; %bb.23:
	v_and_b32_e32 v85, 0xffff, v86
	v_or_b32_e32 v90, 0x10000, v86
	s_delay_alu instid0(VALU_DEP_2) | instskip(NEXT) | instid1(VALU_DEP_2)
	v_cmp_eq_u32_e32 vcc_lo, 0, v85
	v_cndmask_b32_e32 v85, v90, v86, vcc_lo
; %bb.24:
	s_or_b32 exec_lo, exec_lo, s3
	v_and_b32_e32 v86, 0x7f800000, v89
	s_delay_alu instid0(VALU_DEP_1) | instskip(SKIP_1) | instid1(SALU_CYCLE_1)
	v_cmp_ne_u32_e32 vcc_lo, 0x7f800000, v86
                                        ; implicit-def: $vgpr86
	s_and_saveexec_b32 s3, vcc_lo
	s_xor_b32 s3, exec_lo, s3
; %bb.25:
	v_bfe_u32 v86, v89, 16, 1
	s_delay_alu instid0(VALU_DEP_1)
	v_add3_u32 v86, v89, v86, 0x7fff
                                        ; implicit-def: $vgpr89
; %bb.26:
	s_and_not1_saveexec_b32 s3, s3
; %bb.27:
	v_and_b32_e32 v86, 0xffff, v89
	v_or_b32_e32 v90, 0x10000, v89
	s_delay_alu instid0(VALU_DEP_2) | instskip(NEXT) | instid1(VALU_DEP_2)
	v_cmp_eq_u32_e32 vcc_lo, 0, v86
	v_cndmask_b32_e32 v86, v90, v89, vcc_lo
; %bb.28:
	s_or_b32 exec_lo, exec_lo, s3
	v_and_b32_e32 v89, 0x7f800000, v88
	s_delay_alu instid0(VALU_DEP_1) | instskip(SKIP_1) | instid1(SALU_CYCLE_1)
	v_cmp_ne_u32_e32 vcc_lo, 0x7f800000, v89
                                        ; implicit-def: $vgpr89
	s_and_saveexec_b32 s3, vcc_lo
	s_xor_b32 s3, exec_lo, s3
; %bb.29:
	v_bfe_u32 v89, v88, 16, 1
	s_delay_alu instid0(VALU_DEP_1)
	v_add3_u32 v89, v88, v89, 0x7fff
                                        ; implicit-def: $vgpr88
; %bb.30:
	s_and_not1_saveexec_b32 s3, s3
; %bb.31:
	v_and_b32_e32 v89, 0xffff, v88
	v_or_b32_e32 v90, 0x10000, v88
	s_delay_alu instid0(VALU_DEP_2) | instskip(NEXT) | instid1(VALU_DEP_2)
	v_cmp_eq_u32_e32 vcc_lo, 0, v89
	v_cndmask_b32_e32 v89, v90, v88, vcc_lo
; %bb.32:
	s_or_b32 exec_lo, exec_lo, s3
	v_and_b32_e32 v88, 0x7f800000, v87
	s_delay_alu instid0(VALU_DEP_1) | instskip(SKIP_1) | instid1(SALU_CYCLE_1)
	v_cmp_ne_u32_e32 vcc_lo, 0x7f800000, v88
                                        ; implicit-def: $vgpr88
	s_and_saveexec_b32 s3, vcc_lo
	s_xor_b32 s3, exec_lo, s3
; %bb.33:
	v_bfe_u32 v88, v87, 16, 1
	s_delay_alu instid0(VALU_DEP_1)
	v_add3_u32 v88, v87, v88, 0x7fff
                                        ; implicit-def: $vgpr87
; %bb.34:
	s_and_not1_saveexec_b32 s3, s3
; %bb.35:
	v_and_b32_e32 v88, 0xffff, v87
	v_or_b32_e32 v90, 0x10000, v87
	s_delay_alu instid0(VALU_DEP_2) | instskip(NEXT) | instid1(VALU_DEP_2)
	v_cmp_eq_u32_e32 vcc_lo, 0, v88
	v_cndmask_b32_e32 v88, v90, v87, vcc_lo
; %bb.36:
	s_or_b32 exec_lo, exec_lo, s3
	v_and_b32_e32 v87, 0x7f800000, v84
	s_delay_alu instid0(VALU_DEP_1) | instskip(SKIP_1) | instid1(SALU_CYCLE_1)
	v_cmp_ne_u32_e32 vcc_lo, 0x7f800000, v87
                                        ; implicit-def: $vgpr87
	s_and_saveexec_b32 s3, vcc_lo
	s_xor_b32 s3, exec_lo, s3
; %bb.37:
	v_bfe_u32 v87, v84, 16, 1
	s_delay_alu instid0(VALU_DEP_1)
	v_add3_u32 v87, v84, v87, 0x7fff
                                        ; implicit-def: $vgpr84
; %bb.38:
	s_and_not1_saveexec_b32 s3, s3
; %bb.39:
	v_and_b32_e32 v87, 0xffff, v84
	v_or_b32_e32 v90, 0x10000, v84
	s_delay_alu instid0(VALU_DEP_2) | instskip(NEXT) | instid1(VALU_DEP_2)
	v_cmp_eq_u32_e32 vcc_lo, 0, v87
	v_cndmask_b32_e32 v87, v90, v84, vcc_lo
; %bb.40:
	s_or_b32 exec_lo, exec_lo, s3
	v_and_b32_e32 v84, 0x7f800000, v80
	s_delay_alu instid0(VALU_DEP_1) | instskip(SKIP_1) | instid1(SALU_CYCLE_1)
	v_cmp_ne_u32_e32 vcc_lo, 0x7f800000, v84
                                        ; implicit-def: $vgpr84
	s_and_saveexec_b32 s3, vcc_lo
	s_xor_b32 s3, exec_lo, s3
; %bb.41:
	v_bfe_u32 v84, v80, 16, 1
	s_delay_alu instid0(VALU_DEP_1)
	v_add3_u32 v84, v80, v84, 0x7fff
                                        ; implicit-def: $vgpr80
; %bb.42:
	s_and_not1_saveexec_b32 s3, s3
; %bb.43:
	v_and_b32_e32 v84, 0xffff, v80
	v_or_b32_e32 v90, 0x10000, v80
	s_delay_alu instid0(VALU_DEP_2) | instskip(NEXT) | instid1(VALU_DEP_2)
	v_cmp_eq_u32_e32 vcc_lo, 0, v84
	v_cndmask_b32_e32 v84, v90, v80, vcc_lo
; %bb.44:
	s_or_b32 exec_lo, exec_lo, s3
	s_load_b64 s[34:35], s[0:1], 0x94
	v_lshlrev_b32_e32 v91, 4, v74
	s_delay_alu instid0(VALU_DEP_2)
	v_perm_b32 v90, v84, v87, 0x7060302
	v_dual_mul_f32 v79, v82, v79 :: v_dual_lshlrev_b32 v80, 6, v65
	v_dual_mul_f32 v77, v82, v77 :: v_dual_lshlrev_b32 v92, 11, v66
	v_mul_f32_e32 v84, v82, v70
	v_perm_b32 v89, v88, v89, 0x7060302
	v_perm_b32 v88, v86, v85, 0x7060302
	;; [unrolled: 1-line block ×3, first 2 shown]
	v_mul_f32_e32 v70, v82, v81
	v_or3_b32 v76, v91, v92, v80
	v_dual_mul_f32 v78, v82, v78 :: v_dual_and_b32 v85, 0x7f800000, v84
	v_mul_f32_e32 v83, v82, v72
	v_mul_f32_e32 v81, v82, v71
	;; [unrolled: 1-line block ×3, first 2 shown]
	s_mov_b32 s3, exec_lo
	ds_store_b128 v76, v[87:90]
                                        ; implicit-def: $vgpr69
	v_cmpx_ne_u32_e32 0x7f800000, v85
	s_xor_b32 s3, exec_lo, s3
; %bb.45:
	v_bfe_u32 v69, v84, 16, 1
	s_delay_alu instid0(VALU_DEP_1)
	v_add3_u32 v69, v84, v69, 0x7fff
                                        ; implicit-def: $vgpr84
; %bb.46:
	s_and_not1_saveexec_b32 s3, s3
; %bb.47:
	v_and_b32_e32 v69, 0xffff, v84
	v_or_b32_e32 v71, 0x10000, v84
	s_delay_alu instid0(VALU_DEP_2) | instskip(NEXT) | instid1(VALU_DEP_2)
	v_cmp_eq_u32_e32 vcc_lo, 0, v69
	v_cndmask_b32_e32 v69, v71, v84, vcc_lo
; %bb.48:
	s_or_b32 exec_lo, exec_lo, s3
	v_and_b32_e32 v71, 0x7f800000, v72
	s_delay_alu instid0(VALU_DEP_1) | instskip(SKIP_1) | instid1(SALU_CYCLE_1)
	v_cmp_ne_u32_e32 vcc_lo, 0x7f800000, v71
                                        ; implicit-def: $vgpr71
	s_and_saveexec_b32 s3, vcc_lo
	s_xor_b32 s3, exec_lo, s3
; %bb.49:
	v_bfe_u32 v71, v72, 16, 1
	s_delay_alu instid0(VALU_DEP_1)
	v_add3_u32 v71, v72, v71, 0x7fff
                                        ; implicit-def: $vgpr72
; %bb.50:
	s_and_not1_saveexec_b32 s3, s3
; %bb.51:
	v_and_b32_e32 v71, 0xffff, v72
	v_or_b32_e32 v82, 0x10000, v72
	s_delay_alu instid0(VALU_DEP_2) | instskip(NEXT) | instid1(VALU_DEP_2)
	v_cmp_eq_u32_e32 vcc_lo, 0, v71
	v_cndmask_b32_e32 v71, v82, v72, vcc_lo
; %bb.52:
	s_or_b32 exec_lo, exec_lo, s3
	v_and_b32_e32 v72, 0x7f800000, v81
	s_delay_alu instid0(VALU_DEP_1) | instskip(SKIP_1) | instid1(SALU_CYCLE_1)
	v_cmp_ne_u32_e32 vcc_lo, 0x7f800000, v72
                                        ; implicit-def: $vgpr72
	s_and_saveexec_b32 s3, vcc_lo
	s_xor_b32 s3, exec_lo, s3
; %bb.53:
	v_bfe_u32 v72, v81, 16, 1
	s_delay_alu instid0(VALU_DEP_1)
	v_add3_u32 v72, v81, v72, 0x7fff
                                        ; implicit-def: $vgpr81
; %bb.54:
	s_and_not1_saveexec_b32 s3, s3
; %bb.55:
	v_and_b32_e32 v72, 0xffff, v81
	v_or_b32_e32 v82, 0x10000, v81
	s_delay_alu instid0(VALU_DEP_2) | instskip(NEXT) | instid1(VALU_DEP_2)
	v_cmp_eq_u32_e32 vcc_lo, 0, v72
	v_cndmask_b32_e32 v72, v82, v81, vcc_lo
; %bb.56:
	s_or_b32 exec_lo, exec_lo, s3
	v_and_b32_e32 v81, 0x7f800000, v83
	s_delay_alu instid0(VALU_DEP_1) | instskip(SKIP_1) | instid1(SALU_CYCLE_1)
	v_cmp_ne_u32_e32 vcc_lo, 0x7f800000, v81
                                        ; implicit-def: $vgpr81
	s_and_saveexec_b32 s3, vcc_lo
	s_xor_b32 s3, exec_lo, s3
; %bb.57:
	v_bfe_u32 v81, v83, 16, 1
	s_delay_alu instid0(VALU_DEP_1)
	v_add3_u32 v81, v83, v81, 0x7fff
                                        ; implicit-def: $vgpr83
; %bb.58:
	s_and_not1_saveexec_b32 s3, s3
; %bb.59:
	v_and_b32_e32 v81, 0xffff, v83
	v_or_b32_e32 v82, 0x10000, v83
	s_delay_alu instid0(VALU_DEP_2) | instskip(NEXT) | instid1(VALU_DEP_2)
	v_cmp_eq_u32_e32 vcc_lo, 0, v81
	v_cndmask_b32_e32 v81, v82, v83, vcc_lo
; %bb.60:
	s_or_b32 exec_lo, exec_lo, s3
	v_and_b32_e32 v82, 0x7f800000, v77
	s_delay_alu instid0(VALU_DEP_1) | instskip(SKIP_1) | instid1(SALU_CYCLE_1)
	v_cmp_ne_u32_e32 vcc_lo, 0x7f800000, v82
                                        ; implicit-def: $vgpr82
	s_and_saveexec_b32 s3, vcc_lo
	s_xor_b32 s3, exec_lo, s3
; %bb.61:
	v_bfe_u32 v82, v77, 16, 1
	s_delay_alu instid0(VALU_DEP_1)
	v_add3_u32 v82, v77, v82, 0x7fff
                                        ; implicit-def: $vgpr77
; %bb.62:
	s_and_not1_saveexec_b32 s3, s3
; %bb.63:
	v_and_b32_e32 v82, 0xffff, v77
	v_or_b32_e32 v83, 0x10000, v77
	s_delay_alu instid0(VALU_DEP_2) | instskip(NEXT) | instid1(VALU_DEP_2)
	v_cmp_eq_u32_e32 vcc_lo, 0, v82
	v_cndmask_b32_e32 v82, v83, v77, vcc_lo
; %bb.64:
	s_or_b32 exec_lo, exec_lo, s3
	v_and_b32_e32 v77, 0x7f800000, v78
	s_delay_alu instid0(VALU_DEP_1) | instskip(SKIP_1) | instid1(SALU_CYCLE_1)
	v_cmp_ne_u32_e32 vcc_lo, 0x7f800000, v77
                                        ; implicit-def: $vgpr77
	s_and_saveexec_b32 s3, vcc_lo
	s_xor_b32 s3, exec_lo, s3
; %bb.65:
	v_bfe_u32 v77, v78, 16, 1
	s_delay_alu instid0(VALU_DEP_1)
	v_add3_u32 v77, v78, v77, 0x7fff
                                        ; implicit-def: $vgpr78
; %bb.66:
	s_and_not1_saveexec_b32 s3, s3
; %bb.67:
	v_and_b32_e32 v77, 0xffff, v78
	v_or_b32_e32 v83, 0x10000, v78
	s_delay_alu instid0(VALU_DEP_2) | instskip(NEXT) | instid1(VALU_DEP_2)
	v_cmp_eq_u32_e32 vcc_lo, 0, v77
	v_cndmask_b32_e32 v77, v83, v78, vcc_lo
; %bb.68:
	s_or_b32 exec_lo, exec_lo, s3
	v_and_b32_e32 v78, 0x7f800000, v79
	s_delay_alu instid0(VALU_DEP_1) | instskip(SKIP_1) | instid1(SALU_CYCLE_1)
	v_cmp_ne_u32_e32 vcc_lo, 0x7f800000, v78
                                        ; implicit-def: $vgpr78
	s_and_saveexec_b32 s3, vcc_lo
	s_xor_b32 s3, exec_lo, s3
; %bb.69:
	v_bfe_u32 v78, v79, 16, 1
	s_delay_alu instid0(VALU_DEP_1)
	v_add3_u32 v78, v79, v78, 0x7fff
                                        ; implicit-def: $vgpr79
; %bb.70:
	s_and_not1_saveexec_b32 s3, s3
; %bb.71:
	v_and_b32_e32 v78, 0xffff, v79
	v_or_b32_e32 v83, 0x10000, v79
	s_delay_alu instid0(VALU_DEP_2) | instskip(NEXT) | instid1(VALU_DEP_2)
	v_cmp_eq_u32_e32 vcc_lo, 0, v78
	v_cndmask_b32_e32 v78, v83, v79, vcc_lo
; %bb.72:
	s_or_b32 exec_lo, exec_lo, s3
	v_and_b32_e32 v79, 0x7f800000, v70
	s_delay_alu instid0(VALU_DEP_1) | instskip(SKIP_1) | instid1(SALU_CYCLE_1)
	v_cmp_ne_u32_e32 vcc_lo, 0x7f800000, v79
                                        ; implicit-def: $vgpr79
	s_and_saveexec_b32 s3, vcc_lo
	s_xor_b32 s3, exec_lo, s3
; %bb.73:
	v_bfe_u32 v79, v70, 16, 1
	s_delay_alu instid0(VALU_DEP_1)
	v_add3_u32 v79, v70, v79, 0x7fff
                                        ; implicit-def: $vgpr70
; %bb.74:
	s_and_not1_saveexec_b32 s3, s3
; %bb.75:
	v_and_b32_e32 v79, 0xffff, v70
	v_or_b32_e32 v83, 0x10000, v70
	s_delay_alu instid0(VALU_DEP_2) | instskip(NEXT) | instid1(VALU_DEP_2)
	v_cmp_eq_u32_e32 vcc_lo, 0, v79
	v_cndmask_b32_e32 v79, v83, v70, vcc_lo
; %bb.76:
	s_or_b32 exec_lo, exec_lo, s3
	s_delay_alu instid0(VALU_DEP_1)
	v_perm_b32 v86, v79, v78, 0x7060302
	v_perm_b32 v85, v77, v82, 0x7060302
	v_perm_b32 v84, v81, v72, 0x7060302
	v_perm_b32 v83, v71, v69, 0x7060302
	v_lshl_or_b32 v82, v66, 11, v80
	ds_store_b128 v76, v[83:86] offset:1024
	s_waitcnt lgkmcnt(0)
	s_barrier
	buffer_gl0_inv
	ds_load_b128 v[69:72], v82
	ds_load_b128 v[83:86], v82 offset:16
	s_waitcnt lgkmcnt(1)
	v_lshrrev_b32_e32 v66, 16, v69
	s_waitcnt lgkmcnt(0)
	v_lshrrev_b32_e32 v91, 16, v83
	v_lshlrev_b32_e32 v78, 2, v74
	v_lshrrev_b32_e32 v95, 16, v70
	v_lshrrev_b32_e32 v98, 16, v84
	v_lshrrev_b32_e32 v96, 16, v71
	v_lshrrev_b32_e32 v99, 16, v85
	v_cmp_eq_u32_e32 vcc_lo, 1, v78
	v_lshrrev_b32_e32 v97, 16, v72
	v_lshrrev_b32_e32 v100, 16, v86
	v_cndmask_b32_e32 v87, v83, v91, vcc_lo
	v_or_b32_e32 v79, 1, v78
	v_cndmask_b32_e32 v81, v69, v66, vcc_lo
	v_cmp_eq_u32_e64 s4, 2, v78
	v_cmp_eq_u32_e64 s7, 3, v78
	;; [unrolled: 1-line block ×5, first 2 shown]
	v_cndmask_b32_e64 v81, v81, v70, s4
	v_cndmask_b32_e64 v87, v87, v84, s4
	v_cmp_eq_u32_e64 s8, 3, v79
	v_cndmask_b32_e64 v88, v69, v66, s3
	v_or_b32_e32 v77, 2, v78
	v_cndmask_b32_e64 v81, v81, v95, s7
	v_cndmask_b32_e64 v87, v87, v98, s7
	;; [unrolled: 1-line block ×4, first 2 shown]
	v_cmp_eq_u32_e64 s10, 5, v78
	v_cndmask_b32_e64 v81, v81, v71, s9
	v_cndmask_b32_e64 v87, v87, v85, s9
	v_cmp_eq_u32_e64 s11, 4, v79
	v_cndmask_b32_e64 v88, v88, v95, s8
	v_cmp_eq_u32_e64 s5, 1, v77
	v_cndmask_b32_e64 v89, v89, v84, s6
	v_cndmask_b32_e64 v81, v81, v96, s10
	v_cmp_eq_u32_e64 s12, 6, v78
	v_cndmask_b32_e64 v88, v88, v71, s11
	v_cndmask_b32_e64 v87, v87, v99, s10
	v_cmp_eq_u32_e64 s13, 5, v79
	v_cndmask_b32_e64 v90, v69, v66, s5
	v_cndmask_b32_e64 v89, v89, v98, s8
	v_cndmask_b32_e64 v81, v81, v72, s12
	v_cmp_eq_u32_e64 s15, 7, v78
	v_cndmask_b32_e64 v88, v88, v96, s13
	v_cndmask_b32_e64 v87, v87, v86, s12
	v_cmp_eq_u32_e64 s16, 6, v79
	v_cmp_eq_u32_e64 s17, 2, v77
	v_cndmask_b32_e64 v89, v89, v85, s11
	v_cndmask_b32_e64 v101, v81, v97, s15
	;; [unrolled: 1-line block ×6, first 2 shown]
	v_cmp_eq_u32_e64 s18, 7, v79
	v_cmp_eq_u32_e64 s19, 3, v77
	;; [unrolled: 1-line block ×4, first 2 shown]
	v_cndmask_b32_e64 v87, v87, v84, s17
	v_cndmask_b32_e64 v103, v88, v97, s18
	v_cndmask_b32_e64 v88, v89, v99, s13
	v_cndmask_b32_e64 v89, v81, v95, s19
	v_or_b32_e32 v81, 3, v78
	v_cndmask_b32_e64 v93, v87, v98, s19
	v_cmp_eq_u32_e64 s24, 6, v77
	v_cndmask_b32_e64 v104, v88, v86, s16
	v_cndmask_b32_e64 v92, v89, v71, s20
	v_cmp_eq_u32_e64 s21, 1, v81
	ds_load_b128 v[87:90], v82 offset:1024
	v_cmp_eq_u32_e64 s23, 2, v81
	v_cmp_eq_u32_e64 s25, 3, v81
	v_cndmask_b32_e64 v105, v92, v96, s22
	v_cndmask_b32_e64 v66, v69, v66, s21
	;; [unrolled: 1-line block ×4, first 2 shown]
	ds_load_b128 v[91:94], v82 offset:1040
	v_cmp_eq_u32_e64 s26, 4, v81
	v_cndmask_b32_e64 v66, v66, v70, s23
	v_cmp_eq_u32_e64 s27, 7, v77
	v_cndmask_b32_e64 v70, v83, v84, s23
	v_cndmask_b32_e64 v84, v105, v72, s24
	v_cmp_eq_u32_e64 s28, 5, v81
	v_cndmask_b32_e64 v66, v66, v95, s25
	v_cmp_eq_u32_e64 s29, 6, v81
	v_cndmask_b32_e64 v70, v70, v98, s25
	v_cndmask_b32_e64 v69, v69, v99, s22
	;; [unrolled: 1-line block ×4, first 2 shown]
	s_waitcnt lgkmcnt(1)
	v_lshrrev_b32_e32 v95, 16, v87
	v_cndmask_b32_e64 v70, v70, v85, s26
	v_cndmask_b32_e64 v71, v84, v97, s27
	;; [unrolled: 1-line block ×4, first 2 shown]
	v_cndmask_b32_e32 v84, v87, v95, vcc_lo
	v_cndmask_b32_e64 v70, v70, v99, s28
	s_waitcnt lgkmcnt(0)
	v_lshrrev_b32_e32 v85, 16, v91
	v_lshrrev_b32_e32 v96, 16, v88
	v_cndmask_b32_e64 v98, v87, v95, s3
	v_cndmask_b32_e64 v84, v84, v88, s4
	;; [unrolled: 1-line block ×3, first 2 shown]
	v_cndmask_b32_e32 v99, v91, v85, vcc_lo
	v_cmp_eq_u32_e32 vcc_lo, 7, v81
	v_cndmask_b32_e64 v66, v66, v72, s29
	v_cndmask_b32_e64 v72, v84, v96, s7
	;; [unrolled: 1-line block ×3, first 2 shown]
	v_lshrrev_b32_e32 v98, 16, v92
	v_cndmask_b32_e32 v70, v70, v100, vcc_lo
	v_cndmask_b32_e64 v86, v99, v92, s4
	v_cndmask_b32_e64 v69, v69, v100, s27
	v_lshrrev_b32_e32 v100, 16, v93
	v_cndmask_b32_e64 v72, v72, v89, s9
	v_lshrrev_b32_e32 v99, 16, v89
	v_cndmask_b32_e64 v86, v86, v98, s7
	v_perm_b32 v71, v69, v71, 0x5040100
	v_cndmask_b32_e64 v84, v84, v96, s8
	s_delay_alu instid0(VALU_DEP_3) | instskip(NEXT) | instid1(VALU_DEP_2)
	v_cndmask_b32_e64 v86, v86, v93, s9
	v_cndmask_b32_e64 v84, v84, v89, s11
	s_delay_alu instid0(VALU_DEP_2) | instskip(NEXT) | instid1(VALU_DEP_1)
	v_cndmask_b32_e64 v86, v86, v100, s10
	v_cndmask_b32_e64 v69, v86, v94, s12
	v_cndmask_b32_e64 v86, v87, v95, s5
	v_cndmask_b32_e64 v87, v87, v95, s21
	v_cndmask_b32_e64 v95, v91, v85, s21
	s_delay_alu instid0(VALU_DEP_3) | instskip(NEXT) | instid1(VALU_DEP_3)
	v_cndmask_b32_e64 v86, v86, v88, s17
	v_cndmask_b32_e64 v87, v87, v88, s23
	s_delay_alu instid0(VALU_DEP_3) | instskip(NEXT) | instid1(VALU_DEP_3)
	v_cndmask_b32_e64 v88, v95, v92, s23
	v_cndmask_b32_e64 v86, v86, v96, s19
	;; [unrolled: 3-line block ×7, first 2 shown]
	s_delay_alu instid0(VALU_DEP_3) | instskip(SKIP_2) | instid1(VALU_DEP_2)
	v_cndmask_b32_e64 v88, v88, v94, s29
	v_cndmask_b32_e32 v66, v66, v97, vcc_lo
	v_cndmask_b32_e64 v97, v72, v99, s10
	v_perm_b32 v72, v70, v66, 0x5040100
	v_perm_b32 v70, v83, v103, 0x5040100
	v_cndmask_b32_e64 v103, v91, v85, s5
	v_cndmask_b32_e64 v85, v91, v85, s3
	;; [unrolled: 1-line block ×4, first 2 shown]
	v_lshrrev_b32_e32 v97, 16, v90
	v_cndmask_b32_e64 v91, v103, v92, s17
	v_cndmask_b32_e64 v85, v85, v92, s6
	;; [unrolled: 1-line block ×3, first 2 shown]
	s_mov_b32 s3, exec_lo
	v_cndmask_b32_e64 v83, v84, v97, s15
	v_cndmask_b32_e64 v91, v91, v98, s19
	;; [unrolled: 1-line block ×3, first 2 shown]
	v_lshrrev_b32_e32 v84, 16, v94
	v_cndmask_b32_e64 v66, v66, v97, s18
	v_cndmask_b32_e64 v90, v86, v97, s27
	;; [unrolled: 1-line block ×4, first 2 shown]
	v_dual_cndmask_b32 v86, v87, v97 :: v_dual_cndmask_b32 v87, v88, v84
	v_cndmask_b32_e64 v91, v69, v84, s15
	s_delay_alu instid0(VALU_DEP_4) | instskip(NEXT) | instid1(VALU_DEP_4)
	v_cndmask_b32_e64 v89, v89, v100, s22
	v_cndmask_b32_e64 v85, v85, v100, s13
	v_perm_b32 v69, v102, v101, 0x5040100
	v_perm_b32 v86, v87, v86, 0x5040100
	;; [unrolled: 1-line block ×3, first 2 shown]
	v_cndmask_b32_e64 v89, v89, v94, s24
	v_cndmask_b32_e64 v85, v85, v94, s16
	s_mul_i32 s8, s35, 13
	s_delay_alu instid0(VALU_DEP_2) | instskip(NEXT) | instid1(VALU_DEP_2)
	v_cndmask_b32_e64 v88, v89, v84, s27
	v_cndmask_b32_e64 v89, v85, v84, s18
	s_delay_alu instid0(VALU_DEP_2) | instskip(NEXT) | instid1(VALU_DEP_2)
	v_perm_b32 v85, v88, v90, 0x5040100
	v_perm_b32 v84, v89, v66, 0x5040100
	ds_store_b128 v76, v[69:72]
	ds_store_b128 v76, v[83:86] offset:1024
	v_cmpx_gt_u32_e32 13, v0
	s_cbranch_execz .LBB1638_78
; %bb.77:
	s_mul_i32 s4, s8, s30
	s_delay_alu instid0(SALU_CYCLE_1) | instskip(SKIP_1) | instid1(VALU_DEP_1)
	v_add3_u32 v69, s4, s31, v65
	s_load_b128 s[4:7], s[0:1], 0x58
	v_mad_u64_u32 v[65:66], null, v69, s34, s[14:15]
	s_delay_alu instid0(VALU_DEP_1) | instskip(NEXT) | instid1(VALU_DEP_1)
	v_ashrrev_i32_e32 v66, 31, v65
	v_lshlrev_b64 v[65:66], 2, v[65:66]
	s_waitcnt lgkmcnt(0)
	s_delay_alu instid0(VALU_DEP_1) | instskip(NEXT) | instid1(VALU_DEP_2)
	v_add_co_u32 v69, vcc_lo, s6, v65
	v_add_co_ci_u32_e32 v70, vcc_lo, s7, v66, vcc_lo
	v_add_co_u32 v65, vcc_lo, s4, v65
	v_add_co_ci_u32_e32 v66, vcc_lo, s5, v66, vcc_lo
	global_store_b32 v[69:70], v67, off
	global_store_b32 v[65:66], v68, off
.LBB1638_78:
	s_or_b32 exec_lo, exec_lo, s3
	s_waitcnt lgkmcnt(0)
	s_waitcnt_vscnt null, 0x0
	s_barrier
	buffer_gl0_inv
	ds_load_b128 v[83:86], v80
	ds_load_b128 v[87:90], v80 offset:16
	ds_load_b128 v[95:98], v80 offset:2064
	;; [unrolled: 1-line block ×3, first 2 shown]
	v_mov_b32_e32 v65, 0
	ds_load_b128 v[103:106], v80 offset:4112
	ds_load_b128 v[99:102], v80 offset:4096
	;; [unrolled: 1-line block ×4, first 2 shown]
	v_mov_b32_e32 v66, v65
	v_mov_b32_e32 v67, v65
	;; [unrolled: 1-line block ×7, first 2 shown]
	s_waitcnt lgkmcnt(6)
	s_delay_alu instid0(VALU_DEP_1)
	v_wmma_f32_16x16x16_bf16 v[65:72], v[49:56], v[83:90], v[65:72]
	ds_load_b128 v[53:56], v80 offset:8208
	ds_load_b128 v[49:52], v80 offset:8192
	s_waitcnt lgkmcnt(6)
	v_wmma_f32_16x16x16_bf16 v[65:72], v[41:48], v[91:98], v[65:72]
	ds_load_b128 v[45:48], v80 offset:10256
	ds_load_b128 v[41:44], v80 offset:10240
	s_waitcnt lgkmcnt(6)
	;; [unrolled: 4-line block ×4, first 2 shown]
	v_wmma_f32_16x16x16_bf16 v[65:72], v[1:8], v[49:56], v[65:72]
	s_waitcnt lgkmcnt(4)
	s_delay_alu instid0(VALU_DEP_1) | instskip(SKIP_1) | instid1(VALU_DEP_1)
	v_wmma_f32_16x16x16_bf16 v[65:72], v[9:16], v[41:48], v[65:72]
	s_waitcnt lgkmcnt(2)
	v_wmma_f32_16x16x16_bf16 v[65:72], v[17:24], v[33:40], v[65:72]
	s_waitcnt lgkmcnt(0)
	s_delay_alu instid0(VALU_DEP_1) | instskip(NEXT) | instid1(VALU_DEP_1)
	v_wmma_f32_16x16x16_bf16 v[65:72], v[57:64], v[25:32], v[65:72]
	v_and_b32_e32 v1, 0x7f800000, v65
	s_delay_alu instid0(VALU_DEP_1) | instskip(SKIP_1) | instid1(SALU_CYCLE_1)
	v_cmp_ne_u32_e32 vcc_lo, 0x7f800000, v1
                                        ; implicit-def: $vgpr1
	s_and_saveexec_b32 s3, vcc_lo
	s_xor_b32 s3, exec_lo, s3
; %bb.79:
	v_bfe_u32 v1, v65, 16, 1
	s_delay_alu instid0(VALU_DEP_1)
	v_add3_u32 v1, v65, v1, 0x7fff
; %bb.80:
	s_and_not1_saveexec_b32 s3, s3
; %bb.81:
	v_and_b32_e32 v1, 0xffff, v65
	v_or_b32_e32 v2, 0x10000, v65
	s_delay_alu instid0(VALU_DEP_2) | instskip(NEXT) | instid1(VALU_DEP_2)
	v_cmp_eq_u32_e32 vcc_lo, 0, v1
	v_cndmask_b32_e32 v1, v2, v65, vcc_lo
; %bb.82:
	s_or_b32 exec_lo, exec_lo, s3
	v_and_b32_e32 v2, 0x7f800000, v66
	s_delay_alu instid0(VALU_DEP_1) | instskip(SKIP_1) | instid1(SALU_CYCLE_1)
	v_cmp_ne_u32_e32 vcc_lo, 0x7f800000, v2
                                        ; implicit-def: $vgpr2
	s_and_saveexec_b32 s3, vcc_lo
	s_xor_b32 s3, exec_lo, s3
; %bb.83:
	v_bfe_u32 v2, v66, 16, 1
	s_delay_alu instid0(VALU_DEP_1)
	v_add3_u32 v2, v66, v2, 0x7fff
; %bb.84:
	s_and_not1_saveexec_b32 s3, s3
; %bb.85:
	v_and_b32_e32 v2, 0xffff, v66
	v_or_b32_e32 v3, 0x10000, v66
	s_delay_alu instid0(VALU_DEP_2) | instskip(NEXT) | instid1(VALU_DEP_2)
	v_cmp_eq_u32_e32 vcc_lo, 0, v2
	v_cndmask_b32_e32 v2, v3, v66, vcc_lo
; %bb.86:
	s_or_b32 exec_lo, exec_lo, s3
	v_and_b32_e32 v3, 0x7f800000, v67
	s_delay_alu instid0(VALU_DEP_1) | instskip(SKIP_1) | instid1(SALU_CYCLE_1)
	v_cmp_ne_u32_e32 vcc_lo, 0x7f800000, v3
                                        ; implicit-def: $vgpr3
	s_and_saveexec_b32 s3, vcc_lo
	s_xor_b32 s3, exec_lo, s3
; %bb.87:
	v_bfe_u32 v3, v67, 16, 1
	s_delay_alu instid0(VALU_DEP_1)
	v_add3_u32 v3, v67, v3, 0x7fff
; %bb.88:
	s_and_not1_saveexec_b32 s3, s3
; %bb.89:
	v_and_b32_e32 v3, 0xffff, v67
	v_or_b32_e32 v4, 0x10000, v67
	s_delay_alu instid0(VALU_DEP_2) | instskip(NEXT) | instid1(VALU_DEP_2)
	v_cmp_eq_u32_e32 vcc_lo, 0, v3
	v_cndmask_b32_e32 v3, v4, v67, vcc_lo
; %bb.90:
	s_or_b32 exec_lo, exec_lo, s3
	v_and_b32_e32 v4, 0x7f800000, v68
	s_delay_alu instid0(VALU_DEP_1) | instskip(SKIP_1) | instid1(SALU_CYCLE_1)
	v_cmp_ne_u32_e32 vcc_lo, 0x7f800000, v4
                                        ; implicit-def: $vgpr4
	s_and_saveexec_b32 s3, vcc_lo
	s_xor_b32 s3, exec_lo, s3
; %bb.91:
	v_bfe_u32 v4, v68, 16, 1
	s_delay_alu instid0(VALU_DEP_1)
	v_add3_u32 v4, v68, v4, 0x7fff
; %bb.92:
	s_and_not1_saveexec_b32 s3, s3
; %bb.93:
	v_and_b32_e32 v4, 0xffff, v68
	v_or_b32_e32 v5, 0x10000, v68
	s_delay_alu instid0(VALU_DEP_2) | instskip(NEXT) | instid1(VALU_DEP_2)
	v_cmp_eq_u32_e32 vcc_lo, 0, v4
	v_cndmask_b32_e32 v4, v5, v68, vcc_lo
; %bb.94:
	s_or_b32 exec_lo, exec_lo, s3
	v_and_b32_e32 v5, 0x7f800000, v69
	s_delay_alu instid0(VALU_DEP_1) | instskip(SKIP_1) | instid1(SALU_CYCLE_1)
	v_cmp_ne_u32_e32 vcc_lo, 0x7f800000, v5
                                        ; implicit-def: $vgpr5
	s_and_saveexec_b32 s3, vcc_lo
	s_xor_b32 s3, exec_lo, s3
; %bb.95:
	v_bfe_u32 v5, v69, 16, 1
	s_delay_alu instid0(VALU_DEP_1)
	v_add3_u32 v5, v69, v5, 0x7fff
; %bb.96:
	s_and_not1_saveexec_b32 s3, s3
; %bb.97:
	v_and_b32_e32 v5, 0xffff, v69
	v_or_b32_e32 v6, 0x10000, v69
	s_delay_alu instid0(VALU_DEP_2) | instskip(NEXT) | instid1(VALU_DEP_2)
	v_cmp_eq_u32_e32 vcc_lo, 0, v5
	v_cndmask_b32_e32 v5, v6, v69, vcc_lo
; %bb.98:
	s_or_b32 exec_lo, exec_lo, s3
	v_and_b32_e32 v6, 0x7f800000, v70
	s_delay_alu instid0(VALU_DEP_1) | instskip(SKIP_1) | instid1(SALU_CYCLE_1)
	v_cmp_ne_u32_e32 vcc_lo, 0x7f800000, v6
                                        ; implicit-def: $vgpr6
	s_and_saveexec_b32 s3, vcc_lo
	s_xor_b32 s3, exec_lo, s3
; %bb.99:
	v_bfe_u32 v6, v70, 16, 1
	s_delay_alu instid0(VALU_DEP_1)
	v_add3_u32 v6, v70, v6, 0x7fff
; %bb.100:
	s_and_not1_saveexec_b32 s3, s3
; %bb.101:
	v_and_b32_e32 v6, 0xffff, v70
	v_or_b32_e32 v7, 0x10000, v70
	s_delay_alu instid0(VALU_DEP_2) | instskip(NEXT) | instid1(VALU_DEP_2)
	v_cmp_eq_u32_e32 vcc_lo, 0, v6
	v_cndmask_b32_e32 v6, v7, v70, vcc_lo
; %bb.102:
	s_or_b32 exec_lo, exec_lo, s3
	v_and_b32_e32 v7, 0x7f800000, v71
	s_delay_alu instid0(VALU_DEP_1) | instskip(SKIP_1) | instid1(SALU_CYCLE_1)
	v_cmp_ne_u32_e32 vcc_lo, 0x7f800000, v7
                                        ; implicit-def: $vgpr7
	s_and_saveexec_b32 s3, vcc_lo
	s_xor_b32 s3, exec_lo, s3
; %bb.103:
	v_bfe_u32 v7, v71, 16, 1
	s_delay_alu instid0(VALU_DEP_1)
	v_add3_u32 v7, v71, v7, 0x7fff
; %bb.104:
	s_and_not1_saveexec_b32 s3, s3
; %bb.105:
	v_and_b32_e32 v7, 0xffff, v71
	v_or_b32_e32 v8, 0x10000, v71
	s_delay_alu instid0(VALU_DEP_2) | instskip(NEXT) | instid1(VALU_DEP_2)
	v_cmp_eq_u32_e32 vcc_lo, 0, v7
	v_cndmask_b32_e32 v7, v8, v71, vcc_lo
; %bb.106:
	s_or_b32 exec_lo, exec_lo, s3
	v_and_b32_e32 v8, 0x7f800000, v72
	s_delay_alu instid0(VALU_DEP_1) | instskip(SKIP_1) | instid1(SALU_CYCLE_1)
	v_cmp_ne_u32_e32 vcc_lo, 0x7f800000, v8
                                        ; implicit-def: $vgpr8
	s_and_saveexec_b32 s3, vcc_lo
	s_xor_b32 s3, exec_lo, s3
; %bb.107:
	v_bfe_u32 v8, v72, 16, 1
	s_delay_alu instid0(VALU_DEP_1)
	v_add3_u32 v8, v72, v8, 0x7fff
                                        ; implicit-def: $vgpr65_vgpr66_vgpr67_vgpr68_vgpr69_vgpr70_vgpr71_vgpr72
; %bb.108:
	s_and_not1_saveexec_b32 s3, s3
; %bb.109:
	v_and_b32_e32 v8, 0xffff, v72
	v_or_b32_e32 v9, 0x10000, v72
	s_delay_alu instid0(VALU_DEP_2) | instskip(NEXT) | instid1(VALU_DEP_2)
	v_cmp_eq_u32_e32 vcc_lo, 0, v8
	v_cndmask_b32_e32 v8, v9, v72, vcc_lo
; %bb.110:
	s_or_b32 exec_lo, exec_lo, s3
	s_delay_alu instid0(VALU_DEP_1)
	v_perm_b32 v7, v8, v7, 0x7060302
	v_perm_b32 v6, v6, v5, 0x7060302
	;; [unrolled: 1-line block ×4, first 2 shown]
	s_barrier
	buffer_gl0_inv
	v_cmp_eq_u32_e32 vcc_lo, 1, v78
	ds_store_b128 v76, v[4:7]
	s_waitcnt lgkmcnt(0)
	s_barrier
	buffer_gl0_inv
	ds_load_b128 v[1:4], v82
	ds_load_b128 v[5:8], v82 offset:16
	v_cmp_eq_u32_e64 s3, 1, v79
	v_cmp_eq_u32_e64 s4, 2, v78
	v_cmp_eq_u32_e64 s5, 3, v78
	v_cmp_eq_u32_e64 s7, 2, v77
	v_cmp_eq_u32_e64 s6, 7, v79
	s_waitcnt lgkmcnt(1)
	v_lshrrev_b32_e32 v9, 16, v1
	s_waitcnt lgkmcnt(0)
	v_lshrrev_b32_e32 v13, 16, v5
	v_lshrrev_b32_e32 v10, 16, v2
	;; [unrolled: 1-line block ×4, first 2 shown]
	v_cndmask_b32_e64 v19, v1, v9, s3
	v_cndmask_b32_e32 v18, v5, v13, vcc_lo
	v_cndmask_b32_e64 v20, v5, v13, s3
	v_cndmask_b32_e32 v17, v1, v9, vcc_lo
	v_cmp_eq_u32_e32 vcc_lo, 2, v79
	v_lshrrev_b32_e32 v15, 16, v7
	v_cmp_eq_u32_e64 s3, 1, v77
	v_lshrrev_b32_e32 v12, 16, v4
	v_lshrrev_b32_e32 v16, 16, v8
	v_cndmask_b32_e32 v20, v20, v6, vcc_lo
	v_cndmask_b32_e64 v17, v17, v2, s4
	v_cndmask_b32_e32 v19, v19, v2, vcc_lo
	v_cndmask_b32_e64 v18, v18, v6, s4
	v_cmp_eq_u32_e32 vcc_lo, 4, v78
	v_cmp_eq_u32_e64 s4, 3, v79
	v_cndmask_b32_e64 v17, v17, v10, s5
	v_cndmask_b32_e64 v21, v1, v9, s3
	;; [unrolled: 1-line block ×5, first 2 shown]
	v_cndmask_b32_e32 v17, v17, v3, vcc_lo
	v_cndmask_b32_e64 v20, v20, v14, s4
	v_cndmask_b32_e32 v18, v18, v7, vcc_lo
	v_cmp_eq_u32_e32 vcc_lo, 4, v79
	v_cmp_eq_u32_e64 s4, 5, v79
	v_cmp_eq_u32_e64 s3, 2, v81
	v_cndmask_b32_e64 v21, v21, v2, s7
	v_cmp_eq_u32_e64 s5, 5, v78
	v_cndmask_b32_e32 v19, v19, v3, vcc_lo
	v_cndmask_b32_e32 v20, v20, v7, vcc_lo
	v_cmp_eq_u32_e32 vcc_lo, 6, v79
	s_delay_alu instid0(VALU_DEP_4) | instskip(NEXT) | instid1(VALU_DEP_4)
	v_cndmask_b32_e64 v17, v17, v11, s5
	v_cndmask_b32_e64 v19, v19, v11, s4
	s_delay_alu instid0(VALU_DEP_4) | instskip(SKIP_1) | instid1(VALU_DEP_3)
	v_cndmask_b32_e64 v20, v20, v15, s4
	v_cmp_eq_u32_e64 s4, 1, v81
	v_cndmask_b32_e32 v19, v19, v4, vcc_lo
	v_cndmask_b32_e64 v18, v18, v15, s5
	s_delay_alu instid0(VALU_DEP_3)
	v_cndmask_b32_e64 v1, v1, v9, s4
	v_cndmask_b32_e64 v5, v5, v13, s4
	v_cmp_eq_u32_e64 s4, 3, v77
	v_cndmask_b32_e64 v13, v22, v6, s7
	v_cmp_eq_u32_e64 s7, 3, v81
	v_cndmask_b32_e64 v1, v1, v2, s3
	v_cndmask_b32_e64 v2, v5, v6, s3
	v_cndmask_b32_e64 v9, v21, v10, s4
	v_cmp_eq_u32_e64 s3, 4, v77
	v_cndmask_b32_e64 v6, v13, v14, s4
	v_cndmask_b32_e64 v1, v1, v10, s7
	v_cmp_eq_u32_e64 s4, 4, v81
	v_cndmask_b32_e64 v2, v2, v14, s7
	v_cndmask_b32_e64 v5, v9, v3, s3
	;; [unrolled: 3-line block ×3, first 2 shown]
	v_cndmask_b32_e64 v2, v2, v7, s4
	v_cmp_eq_u32_e64 s3, 5, v81
	v_cmp_eq_u32_e64 s5, 6, v78
	v_cndmask_b32_e64 v5, v5, v11, s7
	v_cmp_eq_u32_e64 s4, 6, v77
	v_cndmask_b32_e64 v3, v6, v15, s7
	v_cndmask_b32_e64 v1, v1, v11, s3
	v_cmp_eq_u32_e64 s7, 6, v81
	v_cndmask_b32_e64 v2, v2, v15, s3
	v_cndmask_b32_e64 v17, v17, v4, s5
	v_cndmask_b32_e64 v18, v18, v8, s5
	v_cmp_eq_u32_e64 s5, 7, v78
	v_cndmask_b32_e64 v5, v5, v4, s4
	;; [unrolled: 4-line block ×3, first 2 shown]
	v_cmp_eq_u32_e64 s4, 7, v77
	v_cndmask_b32_e32 v4, v20, v8, vcc_lo
	v_cndmask_b32_e64 v17, v17, v12, s5
	v_cndmask_b32_e64 v19, v19, v12, s6
	;; [unrolled: 1-line block ×8, first 2 shown]
	s_mov_b32 s3, exec_lo
	v_perm_b32 v4, v2, v1, 0x5040100
	v_perm_b32 v3, v3, v5, 0x5040100
	v_perm_b32 v2, v6, v19, 0x5040100
	v_perm_b32 v1, v7, v17, 0x5040100
	ds_store_b128 v76, v[1:4]
	s_waitcnt lgkmcnt(0)
	s_barrier
	buffer_gl0_inv
	v_cmpx_gt_u32_e32 32, v0
	s_cbranch_execz .LBB1638_2
; %bb.111:
	s_load_b64 s[4:5], s[0:1], 0x68
	v_lshlrev_b32_e32 v0, 10, v0
	v_lshlrev_b32_e32 v1, 4, v75
	s_lshl_b32 s0, s34, 7
	v_add_nc_u32_e32 v18, s31, v74
	s_mul_i32 s1, s0, s30
	s_delay_alu instid0(VALU_DEP_2) | instskip(SKIP_1) | instid1(VALU_DEP_2)
	v_and_or_b32 v0, 0x3800, v0, v1
	s_mul_i32 s6, s1, s8
	v_mul_lo_u32 v1, v18, s0
	s_ashr_i32 s7, s6, 31
	v_add_nc_u32_e32 v2, 2, v18
	v_lshl_or_b32 v19, v74, 6, v0
	s_lshl_b64 s[6:7], s[6:7], 1
	v_add_nc_u32_e32 v8, 4, v18
	v_add_nc_u32_e32 v15, 6, v18
	v_mul_lo_u32 v7, v2, s0
	ds_load_b128 v[3:6], v19
	v_ashrrev_i32_e32 v2, 31, v1
	v_mul_lo_u32 v11, v8, s0
	s_waitcnt lgkmcnt(0)
	s_add_u32 s1, s4, s6
	s_addc_u32 s3, s5, s7
	s_lshl_b32 s4, s14, 7
	v_lshlrev_b64 v[9:10], 1, v[1:2]
	s_ashr_i32 s5, s4, 31
	v_ashrrev_i32_e32 v8, 31, v7
	s_lshl_b64 s[4:5], s[4:5], 1
	v_ashrrev_i32_e32 v12, 31, v11
	s_add_u32 s1, s1, s4
	s_addc_u32 s3, s3, s5
	v_add_co_u32 v1, s1, s1, v73
	s_delay_alu instid0(VALU_DEP_1) | instskip(SKIP_1) | instid1(VALU_DEP_3)
	v_add_co_ci_u32_e64 v2, null, s3, 0, s1
	v_mul_lo_u32 v15, v15, s0
	v_add_co_u32 v13, vcc_lo, v1, v9
	s_delay_alu instid0(VALU_DEP_3)
	v_add_co_ci_u32_e32 v14, vcc_lo, v2, v10, vcc_lo
	v_lshlrev_b64 v[16:17], 1, v[7:8]
	ds_load_b128 v[7:10], v19 offset:128
	global_store_b128 v[13:14], v[3:6], off
	v_add_nc_u32_e32 v5, 8, v18
	v_lshlrev_b64 v[3:4], 1, v[11:12]
	v_add_co_u32 v23, vcc_lo, v1, v16
	v_ashrrev_i32_e32 v16, 31, v15
	s_delay_alu instid0(VALU_DEP_4) | instskip(SKIP_3) | instid1(VALU_DEP_3)
	v_mul_lo_u32 v25, v5, s0
	v_add_nc_u32_e32 v5, 10, v18
	v_add_co_ci_u32_e32 v24, vcc_lo, v2, v17, vcc_lo
	v_add_co_u32 v27, vcc_lo, v1, v3
	v_mul_lo_u32 v29, v5, s0
	v_add_co_ci_u32_e32 v28, vcc_lo, v2, v4, vcc_lo
	v_lshlrev_b64 v[31:32], 1, v[15:16]
	ds_load_b128 v[3:6], v19 offset:256
	ds_load_b128 v[11:14], v19 offset:384
	ds_load_b128 v[15:18], v19 offset:512
	ds_load_b128 v[19:22], v19 offset:640
	v_ashrrev_i32_e32 v26, 31, v25
	v_ashrrev_i32_e32 v30, 31, v29
	v_add_co_u32 v31, vcc_lo, v1, v31
	s_delay_alu instid0(VALU_DEP_3) | instskip(SKIP_1) | instid1(VALU_DEP_4)
	v_lshlrev_b64 v[25:26], 1, v[25:26]
	v_add_co_ci_u32_e32 v32, vcc_lo, v2, v32, vcc_lo
	v_lshlrev_b64 v[29:30], 1, v[29:30]
	s_delay_alu instid0(VALU_DEP_3) | instskip(NEXT) | instid1(VALU_DEP_4)
	v_add_co_u32 v25, vcc_lo, v1, v25
	v_add_co_ci_u32_e32 v26, vcc_lo, v2, v26, vcc_lo
	s_delay_alu instid0(VALU_DEP_3) | instskip(NEXT) | instid1(VALU_DEP_4)
	v_add_co_u32 v29, vcc_lo, v1, v29
	v_add_co_ci_u32_e32 v30, vcc_lo, v2, v30, vcc_lo
	s_waitcnt lgkmcnt(4)
	global_store_b128 v[23:24], v[7:10], off
	s_waitcnt lgkmcnt(3)
	global_store_b128 v[27:28], v[3:6], off
	;; [unrolled: 2-line block ×5, first 2 shown]
	s_and_b32 exec_lo, exec_lo, s2
	s_cbranch_execz .LBB1638_2
; %bb.112:
	ds_load_b128 v[3:6], v0 offset:768
	s_add_i32 s1, s31, 12
	s_delay_alu instid0(SALU_CYCLE_1) | instskip(NEXT) | instid1(SALU_CYCLE_1)
	s_mul_i32 s0, s1, s0
	s_ashr_i32 s1, s0, 31
	s_delay_alu instid0(SALU_CYCLE_1) | instskip(NEXT) | instid1(SALU_CYCLE_1)
	s_lshl_b64 s[0:1], s[0:1], 1
	v_add_co_u32 v0, vcc_lo, v1, s0
	v_add_co_ci_u32_e32 v1, vcc_lo, s1, v2, vcc_lo
	s_waitcnt lgkmcnt(0)
	global_store_b128 v[0:1], v[3:6], off
	s_nop 0
	s_sendmsg sendmsg(MSG_DEALLOC_VGPRS)
	s_endpgm
	.section	.rodata,"a",@progbits
	.p2align	6, 0x0
	.amdhsa_kernel _Z39paged_attention_ll4mi_QKV_mfma16_kernelI14__hip_bfloat16hLN4vllm18Fp8KVCacheDataTypeE1ES0_Li32ELi128ELi256ELb1ELi13EL8MFMAType1EEvPKT_PKT0_S9_ifPKiSB_SB_iPKfiiiPfSE_PS4_PT2_iSD_SD_
		.amdhsa_group_segment_fixed_size 17472
		.amdhsa_private_segment_fixed_size 0
		.amdhsa_kernarg_size 400
		.amdhsa_user_sgpr_count 13
		.amdhsa_user_sgpr_dispatch_ptr 0
		.amdhsa_user_sgpr_queue_ptr 0
		.amdhsa_user_sgpr_kernarg_segment_ptr 1
		.amdhsa_user_sgpr_dispatch_id 0
		.amdhsa_user_sgpr_private_segment_size 0
		.amdhsa_wavefront_size32 1
		.amdhsa_uses_dynamic_stack 0
		.amdhsa_enable_private_segment 0
		.amdhsa_system_sgpr_workgroup_id_x 1
		.amdhsa_system_sgpr_workgroup_id_y 1
		.amdhsa_system_sgpr_workgroup_id_z 1
		.amdhsa_system_sgpr_workgroup_info 0
		.amdhsa_system_vgpr_workitem_id 0
		.amdhsa_next_free_vgpr 140
		.amdhsa_next_free_sgpr 36
		.amdhsa_reserve_vcc 1
		.amdhsa_float_round_mode_32 0
		.amdhsa_float_round_mode_16_64 0
		.amdhsa_float_denorm_mode_32 3
		.amdhsa_float_denorm_mode_16_64 3
		.amdhsa_dx10_clamp 1
		.amdhsa_ieee_mode 1
		.amdhsa_fp16_overflow 0
		.amdhsa_workgroup_processor_mode 1
		.amdhsa_memory_ordered 1
		.amdhsa_forward_progress 0
		.amdhsa_shared_vgpr_count 0
		.amdhsa_exception_fp_ieee_invalid_op 0
		.amdhsa_exception_fp_denorm_src 0
		.amdhsa_exception_fp_ieee_div_zero 0
		.amdhsa_exception_fp_ieee_overflow 0
		.amdhsa_exception_fp_ieee_underflow 0
		.amdhsa_exception_fp_ieee_inexact 0
		.amdhsa_exception_int_div_zero 0
	.end_amdhsa_kernel
	.section	.text._Z39paged_attention_ll4mi_QKV_mfma16_kernelI14__hip_bfloat16hLN4vllm18Fp8KVCacheDataTypeE1ES0_Li32ELi128ELi256ELb1ELi13EL8MFMAType1EEvPKT_PKT0_S9_ifPKiSB_SB_iPKfiiiPfSE_PS4_PT2_iSD_SD_,"axG",@progbits,_Z39paged_attention_ll4mi_QKV_mfma16_kernelI14__hip_bfloat16hLN4vllm18Fp8KVCacheDataTypeE1ES0_Li32ELi128ELi256ELb1ELi13EL8MFMAType1EEvPKT_PKT0_S9_ifPKiSB_SB_iPKfiiiPfSE_PS4_PT2_iSD_SD_,comdat
.Lfunc_end1638:
	.size	_Z39paged_attention_ll4mi_QKV_mfma16_kernelI14__hip_bfloat16hLN4vllm18Fp8KVCacheDataTypeE1ES0_Li32ELi128ELi256ELb1ELi13EL8MFMAType1EEvPKT_PKT0_S9_ifPKiSB_SB_iPKfiiiPfSE_PS4_PT2_iSD_SD_, .Lfunc_end1638-_Z39paged_attention_ll4mi_QKV_mfma16_kernelI14__hip_bfloat16hLN4vllm18Fp8KVCacheDataTypeE1ES0_Li32ELi128ELi256ELb1ELi13EL8MFMAType1EEvPKT_PKT0_S9_ifPKiSB_SB_iPKfiiiPfSE_PS4_PT2_iSD_SD_
                                        ; -- End function
	.section	.AMDGPU.csdata,"",@progbits
; Kernel info:
; codeLenInByte = 9100
; NumSgprs: 38
; NumVgprs: 140
; ScratchSize: 0
; MemoryBound: 0
; FloatMode: 240
; IeeeMode: 1
; LDSByteSize: 17472 bytes/workgroup (compile time only)
; SGPRBlocks: 4
; VGPRBlocks: 17
; NumSGPRsForWavesPerEU: 38
; NumVGPRsForWavesPerEU: 140
; Occupancy: 10
; WaveLimiterHint : 1
; COMPUTE_PGM_RSRC2:SCRATCH_EN: 0
; COMPUTE_PGM_RSRC2:USER_SGPR: 13
; COMPUTE_PGM_RSRC2:TRAP_HANDLER: 0
; COMPUTE_PGM_RSRC2:TGID_X_EN: 1
; COMPUTE_PGM_RSRC2:TGID_Y_EN: 1
; COMPUTE_PGM_RSRC2:TGID_Z_EN: 1
; COMPUTE_PGM_RSRC2:TIDIG_COMP_CNT: 0
	.section	.text._Z39paged_attention_ll4mi_QKV_mfma16_kernelI14__hip_bfloat16hLN4vllm18Fp8KVCacheDataTypeE1ES0_Li32ELi128ELi256ELb1ELi14EL8MFMAType1EEvPKT_PKT0_S9_ifPKiSB_SB_iPKfiiiPfSE_PS4_PT2_iSD_SD_,"axG",@progbits,_Z39paged_attention_ll4mi_QKV_mfma16_kernelI14__hip_bfloat16hLN4vllm18Fp8KVCacheDataTypeE1ES0_Li32ELi128ELi256ELb1ELi14EL8MFMAType1EEvPKT_PKT0_S9_ifPKiSB_SB_iPKfiiiPfSE_PS4_PT2_iSD_SD_,comdat
	.protected	_Z39paged_attention_ll4mi_QKV_mfma16_kernelI14__hip_bfloat16hLN4vllm18Fp8KVCacheDataTypeE1ES0_Li32ELi128ELi256ELb1ELi14EL8MFMAType1EEvPKT_PKT0_S9_ifPKiSB_SB_iPKfiiiPfSE_PS4_PT2_iSD_SD_ ; -- Begin function _Z39paged_attention_ll4mi_QKV_mfma16_kernelI14__hip_bfloat16hLN4vllm18Fp8KVCacheDataTypeE1ES0_Li32ELi128ELi256ELb1ELi14EL8MFMAType1EEvPKT_PKT0_S9_ifPKiSB_SB_iPKfiiiPfSE_PS4_PT2_iSD_SD_
	.globl	_Z39paged_attention_ll4mi_QKV_mfma16_kernelI14__hip_bfloat16hLN4vllm18Fp8KVCacheDataTypeE1ES0_Li32ELi128ELi256ELb1ELi14EL8MFMAType1EEvPKT_PKT0_S9_ifPKiSB_SB_iPKfiiiPfSE_PS4_PT2_iSD_SD_
	.p2align	8
	.type	_Z39paged_attention_ll4mi_QKV_mfma16_kernelI14__hip_bfloat16hLN4vllm18Fp8KVCacheDataTypeE1ES0_Li32ELi128ELi256ELb1ELi14EL8MFMAType1EEvPKT_PKT0_S9_ifPKiSB_SB_iPKfiiiPfSE_PS4_PT2_iSD_SD_,@function
_Z39paged_attention_ll4mi_QKV_mfma16_kernelI14__hip_bfloat16hLN4vllm18Fp8KVCacheDataTypeE1ES0_Li32ELi128ELi256ELb1ELi14EL8MFMAType1EEvPKT_PKT0_S9_ifPKiSB_SB_iPKfiiiPfSE_PS4_PT2_iSD_SD_: ; @_Z39paged_attention_ll4mi_QKV_mfma16_kernelI14__hip_bfloat16hLN4vllm18Fp8KVCacheDataTypeE1ES0_Li32ELi128ELi256ELb1ELi14EL8MFMAType1EEvPKT_PKT0_S9_ifPKiSB_SB_iPKfiiiPfSE_PS4_PT2_iSD_SD_
; %bb.0:
	s_load_b64 s[4:5], s[0:1], 0x30
	s_mov_b32 s30, s13
	s_waitcnt lgkmcnt(0)
	s_cmp_lg_u64 s[4:5], 0
	s_cselect_b32 s13, -1, 0
	s_ashr_i32 s31, s30, 31
	s_cmp_eq_u64 s[4:5], 0
	s_cbranch_scc1 .LBB1639_3
; %bb.1:
	s_lshl_b64 s[2:3], s[30:31], 2
	s_delay_alu instid0(SALU_CYCLE_1) | instskip(SKIP_4) | instid1(SALU_CYCLE_1)
	s_add_u32 s2, s4, s2
	s_addc_u32 s3, s5, s3
	s_load_b64 s[2:3], s[2:3], 0x0
	s_waitcnt lgkmcnt(0)
	s_sub_i32 s2, s3, s2
	s_cmp_eq_u32 s2, 1
	s_cselect_b32 s2, -1, 0
	s_delay_alu instid0(SALU_CYCLE_1)
	s_and_not1_b32 vcc_lo, exec_lo, s2
	s_cbranch_vccz .LBB1639_4
.LBB1639_2:
	s_endpgm
.LBB1639_3:
.LBB1639_4:
	s_load_b64 s[2:3], s[0:1], 0x28
	s_lshl_b64 s[6:7], s[30:31], 2
	s_waitcnt lgkmcnt(0)
	s_add_u32 s2, s2, s6
	s_addc_u32 s3, s3, s7
	s_lshl_b32 s12, s14, 8
	s_load_b32 s17, s[2:3], 0x0
	s_waitcnt lgkmcnt(0)
	s_cmp_ge_i32 s12, s17
	s_cbranch_scc1 .LBB1639_2
; %bb.5:
	s_clause 0x1
	s_load_b128 s[8:11], s[0:1], 0x8
	s_load_b64 s[2:3], s[0:1], 0x20
	s_and_not1_b32 vcc_lo, exec_lo, s13
	s_cbranch_vccnz .LBB1639_7
; %bb.6:
	s_add_u32 s4, s4, s6
	s_addc_u32 s5, s5, s7
	s_load_b32 s13, s[4:5], 0x0
	s_branch .LBB1639_8
.LBB1639_7:
	s_mov_b32 s13, s30
.LBB1639_8:
	s_load_b128 s[4:7], s[0:1], 0x48
	v_and_b32_e32 v65, 15, v0
	v_lshrrev_b32_e32 v66, 5, v0
	v_and_b32_e32 v67, 31, v0
	v_and_b32_e32 v75, 1, v0
	v_bfe_u32 v74, v0, 4, 1
	v_lshlrev_b32_e32 v1, 3, v65
	s_mul_i32 s29, s15, 14
	s_waitcnt lgkmcnt(0)
	s_mov_b32 s7, exec_lo
	s_delay_alu instid0(VALU_DEP_1)
	v_lshlrev_b32_e32 v73, 1, v1
	v_cmpx_gt_u32_e32 0xe0, v0
	s_cbranch_execz .LBB1639_10
; %bb.9:
	s_load_b64 s[18:19], s[0:1], 0x0
	v_lshl_or_b32 v5, v66, 1, v74
	s_mul_hi_i32 s21, s13, s4
	s_mul_i32 s20, s13, s4
	v_lshlrev_b32_e32 v6, 10, v65
	s_lshl_b64 s[20:21], s[20:21], 1
	v_add_lshl_u32 v1, v5, s29, 7
	v_lshlrev_b32_e32 v5, 6, v5
	v_lshlrev_b32_e32 v7, 10, v75
	v_and_b32_e32 v6, 0x3800, v6
	s_delay_alu instid0(VALU_DEP_4) | instskip(NEXT) | instid1(VALU_DEP_2)
	v_ashrrev_i32_e32 v2, 31, v1
	v_or3_b32 v5, v6, v7, v5
	s_delay_alu instid0(VALU_DEP_2) | instskip(SKIP_3) | instid1(VALU_DEP_1)
	v_lshlrev_b64 v[1:2], 1, v[1:2]
	s_waitcnt lgkmcnt(0)
	s_add_u32 s4, s18, s20
	s_addc_u32 s13, s19, s21
	v_add_co_u32 v1, vcc_lo, s4, v1
	s_delay_alu instid0(VALU_DEP_2) | instskip(NEXT) | instid1(VALU_DEP_2)
	v_add_co_ci_u32_e32 v2, vcc_lo, s13, v2, vcc_lo
	v_add_co_u32 v1, vcc_lo, v1, v73
	s_delay_alu instid0(VALU_DEP_2)
	v_add_co_ci_u32_e32 v2, vcc_lo, 0, v2, vcc_lo
	global_load_b128 v[1:4], v[1:2], off
	s_waitcnt vmcnt(0)
	ds_store_b128 v5, v[1:4]
.LBB1639_10:
	s_or_b32 exec_lo, exec_lo, s7
	v_and_b32_e32 v1, 0xef, v0
	s_add_i32 s4, s17, 31
	s_clause 0x1
	s_load_b32 s7, s[0:1], 0x38
	s_load_b32 s18, s[0:1], 0x1c
	s_ashr_i32 s13, s4, 31
	v_add_nc_u32_e32 v1, s12, v1
	s_lshr_b32 s13, s13, 27
	s_waitcnt lgkmcnt(0)
	s_add_i32 s4, s4, s13
	s_barrier
	v_ashrrev_i32_e32 v2, 31, v1
	v_or_b32_e32 v3, 16, v1
	s_ashr_i32 s4, s4, 5
	v_cmp_gt_i32_e32 vcc_lo, s17, v1
	s_add_i32 s4, s4, -1
	v_lshrrev_b32_e32 v2, 27, v2
	buffer_gl0_inv
	s_mul_i32 s15, s15, s6
	v_add_nc_u32_e32 v4, v1, v2
	s_mul_i32 s20, s30, s7
	s_delay_alu instid0(SALU_CYCLE_1) | instskip(NEXT) | instid1(VALU_DEP_1)
	s_ashr_i32 s21, s20, 31
	v_ashrrev_i32_e32 v4, 5, v4
	v_add_nc_u32_e32 v2, v3, v2
	s_lshl_b64 s[20:21], s[20:21], 2
	s_delay_alu instid0(SALU_CYCLE_1) | instskip(NEXT) | instid1(VALU_DEP_2)
	s_add_u32 s13, s2, s20
	v_cndmask_b32_e32 v1, s4, v4, vcc_lo
	s_delay_alu instid0(VALU_DEP_2)
	v_ashrrev_i32_e32 v2, 5, v2
	v_cmp_gt_i32_e32 vcc_lo, s17, v3
	s_addc_u32 s16, s3, s21
	s_ashr_i32 s19, s15, 31
	s_add_u32 s2, s8, s15
	s_addc_u32 s3, s9, s19
	v_cndmask_b32_e32 v3, s4, v2, vcc_lo
	v_ashrrev_i32_e32 v2, 31, v1
	s_lshl_b32 s6, s14, 3
	s_delay_alu instid0(SALU_CYCLE_1) | instskip(NEXT) | instid1(VALU_DEP_2)
	s_ashr_i32 s7, s6, 31
	v_ashrrev_i32_e32 v4, 31, v3
	s_delay_alu instid0(VALU_DEP_2) | instskip(SKIP_1) | instid1(SALU_CYCLE_1)
	v_lshlrev_b64 v[1:2], 2, v[1:2]
	s_lshl_b64 s[6:7], s[6:7], 2
	s_add_u32 s6, s13, s6
	s_delay_alu instid0(VALU_DEP_2) | instskip(SKIP_1) | instid1(VALU_DEP_2)
	v_lshlrev_b64 v[3:4], 2, v[3:4]
	s_addc_u32 s7, s16, s7
	v_add_co_u32 v1, vcc_lo, s13, v1
	v_add_co_ci_u32_e32 v2, vcc_lo, s16, v2, vcc_lo
	s_delay_alu instid0(VALU_DEP_3) | instskip(NEXT) | instid1(VALU_DEP_4)
	v_add_co_u32 v3, vcc_lo, s13, v3
	v_add_co_ci_u32_e32 v4, vcc_lo, s16, v4, vcc_lo
	s_clause 0x1
	global_load_b32 v5, v[1:2], off
	global_load_b32 v6, v[3:4], off
	s_or_b32 s8, s12, 32
	s_delay_alu instid0(SALU_CYCLE_1) | instskip(SKIP_2) | instid1(SALU_CYCLE_1)
	s_ashr_i32 s9, s8, 5
	s_cmp_lt_i32 s8, s17
	s_cselect_b32 s8, s9, s4
	s_ashr_i32 s9, s8, 31
	s_delay_alu instid0(SALU_CYCLE_1) | instskip(NEXT) | instid1(SALU_CYCLE_1)
	s_lshl_b64 s[8:9], s[8:9], 2
	s_add_u32 s8, s13, s8
	s_addc_u32 s9, s16, s9
	s_or_b32 s20, s12, 64
	s_delay_alu instid0(SALU_CYCLE_1) | instskip(SKIP_2) | instid1(SALU_CYCLE_1)
	s_ashr_i32 s21, s20, 5
	s_cmp_lt_i32 s20, s17
	s_cselect_b32 s20, s21, s4
	s_ashr_i32 s21, s20, 31
	s_delay_alu instid0(SALU_CYCLE_1) | instskip(NEXT) | instid1(SALU_CYCLE_1)
	s_lshl_b64 s[20:21], s[20:21], 2
	s_add_u32 s20, s13, s20
	s_addc_u32 s21, s16, s21
	;; [unrolled: 10-line block ×5, first 2 shown]
	s_clause 0x5
	s_load_b32 s28, s[6:7], 0x0
	s_load_b32 s8, s[8:9], 0x0
	;; [unrolled: 1-line block ×6, first 2 shown]
	s_mov_b32 s20, 0
	s_delay_alu instid0(SALU_CYCLE_1)
	s_mov_b32 s21, s20
	s_mov_b32 s22, s20
	;; [unrolled: 1-line block ×7, first 2 shown]
	s_delay_alu instid0(SALU_CYCLE_1)
	v_dual_mov_b32 v107, s27 :: v_dual_mov_b32 v106, s26
	v_dual_mov_b32 v104, s24 :: v_dual_mov_b32 v103, s23
	v_dual_mov_b32 v101, s21 :: v_dual_mov_b32 v102, s22
	v_mov_b32_e32 v100, s20
	s_waitcnt vmcnt(1)
	v_mad_i64_i32 v[1:2], null, v5, s5, s[2:3]
	v_lshlrev_b32_e32 v5, 4, v65
	s_waitcnt vmcnt(0)
	v_mad_i64_i32 v[3:4], null, v6, s5, s[2:3]
	s_or_b32 s2, s12, 0xc0
	s_delay_alu instid0(SALU_CYCLE_1) | instskip(NEXT) | instid1(VALU_DEP_3)
	s_ashr_i32 s3, s2, 5
	v_add_co_u32 v33, vcc_lo, v1, v5
	s_delay_alu instid0(VALU_DEP_4) | instskip(NEXT) | instid1(VALU_DEP_3)
	v_add_co_ci_u32_e32 v34, vcc_lo, 0, v2, vcc_lo
	v_add_co_u32 v35, vcc_lo, v3, v5
	s_delay_alu instid0(VALU_DEP_4)
	v_add_co_ci_u32_e32 v36, vcc_lo, 0, v4, vcc_lo
	s_clause 0xf
	global_load_b128 v[1:4], v[33:34], off
	global_load_b128 v[5:8], v[33:34], off offset:512
	global_load_b128 v[9:12], v[35:36], off offset:256
	;; [unrolled: 1-line block ×15, first 2 shown]
	s_cmp_lt_i32 s2, s17
	v_add_nc_u32_e32 v33, -14, v65
	s_cselect_b32 s2, s3, s4
	v_cmp_gt_u32_e32 vcc_lo, 14, v65
	s_ashr_i32 s3, s2, 31
	v_lshlrev_b32_e32 v34, 5, v65
	s_lshl_b64 s[2:3], s[2:3], 2
	s_delay_alu instid0(SALU_CYCLE_1)
	s_add_u32 s2, s13, s2
	s_addc_u32 s3, s16, s3
	s_or_b32 s6, s12, 0xe0
	v_cndmask_b32_e32 v33, v33, v65, vcc_lo
	s_ashr_i32 s7, s6, 5
	s_cmp_lt_i32 s6, s17
	v_mov_b32_e32 v105, s25
	s_cselect_b32 s6, s7, s4
	v_lshlrev_b32_e32 v72, 6, v33
	s_ashr_i32 s7, s6, 31
	v_lshl_or_b32 v41, v66, 9, v34
	s_lshl_b64 s[6:7], s[6:7], 2
	ds_load_b128 v[33:36], v72
	ds_load_b128 v[37:40], v72 offset:1024
	ds_load_b128 v[108:111], v72 offset:2048
	;; [unrolled: 1-line block ×3, first 2 shown]
	s_load_b32 s4, s[2:3], 0x0
	s_add_u32 s2, s13, s6
	s_addc_u32 s3, s16, s7
	ds_load_b128 v[116:119], v72 offset:4096
	ds_load_b128 v[120:123], v72 offset:5120
	s_load_b32 s2, s[2:3], 0x0
	s_add_u32 s6, s10, s15
	s_addc_u32 s7, s11, s19
	v_add_co_u32 v68, s6, s6, v41
	s_delay_alu instid0(VALU_DEP_1) | instskip(SKIP_1) | instid1(VALU_DEP_1)
	v_add_co_ci_u32_e64 v69, null, s7, 0, s6
	s_waitcnt lgkmcnt(0)
	v_mad_i64_i32 v[41:42], null, s28, s5, v[68:69]
	v_mad_i64_i32 v[70:71], null, s9, s5, v[68:69]
	;; [unrolled: 1-line block ×7, first 2 shown]
	s_clause 0x3
	global_load_b128 v[49:52], v[41:42], off
	global_load_b128 v[53:56], v[41:42], off offset:16
	global_load_b128 v[41:44], v[45:46], off
	global_load_b128 v[45:48], v[45:46], off offset:16
	s_waitcnt vmcnt(18)
	v_wmma_f32_16x16x16_bf16 v[124:131], v[1:8], v[33:40], v[100:107]
	s_waitcnt vmcnt(16)
	v_wmma_f32_16x16x16_bf16 v[100:107], v[9:16], v[33:40], v[100:107]
	s_clause 0x1
	global_load_b128 v[33:36], v[70:71], off
	global_load_b128 v[37:40], v[70:71], off offset:16
	v_mad_i64_i32 v[70:71], null, s2, s5, v[68:69]
	s_waitcnt vmcnt(16)
	v_wmma_f32_16x16x16_bf16 v[124:131], v[17:24], v[108:115], v[124:131]
	s_waitcnt vmcnt(14)
	v_wmma_f32_16x16x16_bf16 v[100:107], v[25:32], v[108:115], v[100:107]
	s_clause 0x7
	global_load_b128 v[25:28], v[132:133], off
	global_load_b128 v[29:32], v[132:133], off offset:16
	global_load_b128 v[1:4], v[134:135], off
	global_load_b128 v[5:8], v[134:135], off offset:16
	;; [unrolled: 2-line block ×4, first 2 shown]
	s_waitcnt vmcnt(20)
	v_wmma_f32_16x16x16_bf16 v[124:131], v[57:64], v[116:123], v[124:131]
	s_clause 0x1
	global_load_b128 v[57:60], v[70:71], off
	global_load_b128 v[61:64], v[70:71], off offset:16
	s_waitcnt vmcnt(20)
	v_wmma_f32_16x16x16_bf16 v[100:107], v[76:83], v[116:123], v[100:107]
	ds_load_b128 v[76:79], v72 offset:6144
	ds_load_b128 v[80:83], v72 offset:7168
	v_and_b32_e32 v68, 0xe0, v0
	v_mbcnt_lo_u32_b32 v69, -1, 0
	s_waitcnt vmcnt(0) lgkmcnt(0)
	s_barrier
	buffer_gl0_inv
	v_add_nc_u32_e32 v68, s12, v68
	v_xor_b32_e32 v70, 16, v69
	s_delay_alu instid0(VALU_DEP_2) | instskip(NEXT) | instid1(VALU_DEP_2)
	v_or_b32_e32 v68, v68, v74
	v_cmp_gt_i32_e32 vcc_lo, 32, v70
	s_delay_alu instid0(VALU_DEP_2)
	v_or_b32_e32 v71, 4, v68
	v_or_b32_e32 v72, 6, v68
	v_cmp_gt_i32_e64 s2, s17, v68
	v_or_b32_e32 v108, 8, v68
	v_wmma_f32_16x16x16_bf16 v[124:131], v[84:91], v[76:83], v[124:131]
	v_cndmask_b32_e32 v69, v69, v70, vcc_lo
	v_or_b32_e32 v70, 2, v68
	v_wmma_f32_16x16x16_bf16 v[100:107], v[92:99], v[76:83], v[100:107]
	v_or_b32_e32 v109, 10, v68
	v_dual_mul_f32 v80, s18, v129 :: v_dual_mul_f32 v81, s18, v128
	v_dual_mul_f32 v92, s18, v125 :: v_dual_mul_f32 v93, s18, v124
	s_delay_alu instid0(VALU_DEP_4)
	v_mul_f32_e32 v96, s18, v105
	v_cmp_gt_i32_e32 vcc_lo, s17, v70
	v_or_b32_e32 v89, 22, v68
	v_dual_mul_f32 v79, s18, v130 :: v_dual_mul_f32 v82, s18, v127
	v_dual_mul_f32 v83, s18, v126 :: v_dual_mul_f32 v94, s18, v107
	v_cndmask_b32_e64 v93, 0xff7fffff, v93, s2
	v_cndmask_b32_e32 v92, 0xff7fffff, v92, vcc_lo
	v_cmp_gt_i32_e64 s3, s17, v71
	v_cmp_gt_i32_e64 s4, s17, v72
	v_or_b32_e32 v84, 12, v68
	v_or_b32_e32 v85, 14, v68
	v_cmp_gt_i32_e64 s5, s17, v108
	v_cndmask_b32_e64 v71, 0xff7fffff, v83, s3
	v_cndmask_b32_e64 v72, 0xff7fffff, v82, s4
	v_cmp_gt_i32_e64 s6, s17, v109
	v_cmp_gt_i32_e64 s12, s17, v89
	v_lshlrev_b32_e32 v89, 2, v69
	v_max3_f32 v82, v93, 0xff7fffff, v92
	v_or_b32_e32 v86, 16, v68
	v_or_b32_e32 v87, 18, v68
	v_mul_f32_e32 v78, s18, v131
	v_cndmask_b32_e64 v81, 0xff7fffff, v81, s5
	v_cndmask_b32_e64 v80, 0xff7fffff, v80, s6
	v_max3_f32 v71, v82, v71, v72
	v_cmp_gt_i32_e64 s7, s17, v84
	v_cmp_gt_i32_e64 s8, s17, v85
	v_or_b32_e32 v88, 20, v68
	v_or_b32_e32 v90, 24, v68
	;; [unrolled: 1-line block ×5, first 2 shown]
	v_dual_mul_f32 v97, s18, v104 :: v_dual_mul_f32 v70, s18, v101
	v_dual_mul_f32 v99, s18, v102 :: v_dual_mul_f32 v68, s18, v100
	v_cndmask_b32_e64 v72, 0xff7fffff, v79, s7
	v_cndmask_b32_e64 v78, 0xff7fffff, v78, s8
	v_max3_f32 v71, v71, v81, v80
	v_cmp_gt_i32_e64 s9, s17, v86
	v_cmp_gt_i32_e64 s10, s17, v87
	v_dual_mul_f32 v95, s18, v106 :: v_dual_mul_f32 v98, s18, v103
	s_delay_alu instid0(VALU_DEP_4) | instskip(NEXT) | instid1(VALU_DEP_4)
	v_max3_f32 v71, v71, v72, v78
	v_cndmask_b32_e64 v68, 0xff7fffff, v68, s9
	s_delay_alu instid0(VALU_DEP_4)
	v_cndmask_b32_e64 v70, 0xff7fffff, v70, s10
	v_cmp_gt_i32_e64 s11, s17, v88
	v_cndmask_b32_e64 v78, 0xff7fffff, v98, s12
	v_cmp_gt_i32_e64 s13, s17, v90
	v_cmp_gt_i32_e64 s15, s17, v91
	v_max3_f32 v68, v71, v68, v70
	v_cndmask_b32_e64 v72, 0xff7fffff, v99, s11
	v_cmp_gt_i32_e64 s16, s17, v76
	v_cndmask_b32_e64 v70, 0xff7fffff, v97, s13
	v_cndmask_b32_e64 v71, 0xff7fffff, v96, s15
	v_cmp_gt_i32_e64 s17, s17, v77
	v_max3_f32 v68, v68, v72, v78
	v_cndmask_b32_e64 v72, 0xff7fffff, v95, s16
	s_delay_alu instid0(VALU_DEP_3) | instskip(NEXT) | instid1(VALU_DEP_3)
	v_cndmask_b32_e64 v76, 0xff7fffff, v94, s17
	v_max3_f32 v68, v68, v70, v71
	s_delay_alu instid0(VALU_DEP_1) | instskip(SKIP_3) | instid1(VALU_DEP_1)
	v_max3_f32 v68, v68, v72, v76
	ds_bpermute_b32 v69, v89, v68
	s_waitcnt lgkmcnt(0)
	v_max_f32_e32 v69, v69, v69
	v_max_f32_e32 v68, v68, v69
	s_delay_alu instid0(VALU_DEP_1) | instskip(NEXT) | instid1(VALU_DEP_1)
	v_fma_f32 v71, s18, v126, -v68
	v_mul_f32_e32 v71, 0x3fb8aa3b, v71
	v_fma_f32 v70, s18, v125, -v68
	v_fma_f32 v69, s18, v124, -v68
	;; [unrolled: 1-line block ×5, first 2 shown]
	s_delay_alu instid0(VALU_DEP_4) | instskip(SKIP_1) | instid1(VALU_DEP_3)
	v_dual_mul_f32 v70, 0x3fb8aa3b, v70 :: v_dual_mul_f32 v69, 0x3fb8aa3b, v69
	v_exp_f32_e32 v71, v71
	v_mul_f32_e32 v72, 0x3fb8aa3b, v72
	v_fma_f32 v81, s18, v105, -v68
	s_delay_alu instid0(VALU_DEP_3)
	v_exp_f32_e32 v70, v70
	v_mul_f32_e32 v77, 0x3fb8aa3b, v76
	v_exp_f32_e32 v69, v69
	v_exp_f32_e32 v72, v72
	v_mul_f32_e32 v81, 0x3fb8aa3b, v81
	v_cndmask_b32_e64 v83, 0, v71, s3
	v_fma_f32 v71, s18, v131, -v68
	s_delay_alu instid0(VALU_DEP_3) | instskip(SKIP_4) | instid1(TRANS32_DEP_3)
	v_exp_f32_e32 v81, v81
	v_cndmask_b32_e32 v76, 0, v70, vcc_lo
	v_exp_f32_e32 v77, v77
	v_cndmask_b32_e64 v80, 0, v69, s2
	v_fma_f32 v69, s18, v129, -v68
	v_cndmask_b32_e64 v85, 0, v72, s4
	v_mul_f32_e32 v71, 0x3fb8aa3b, v71
	v_fma_f32 v72, s18, v100, -v68
	s_delay_alu instid0(VALU_DEP_4) | instskip(SKIP_1) | instid1(VALU_DEP_3)
	v_dual_add_f32 v70, 0, v80 :: v_dual_mul_f32 v69, 0x3fb8aa3b, v69
	s_mov_b32 s2, exec_lo
	v_exp_f32_e32 v71, v71
	s_delay_alu instid0(TRANS32_DEP_2) | instskip(SKIP_4) | instid1(VALU_DEP_3)
	v_cndmask_b32_e64 v86, 0, v77, s5
	v_fma_f32 v77, s18, v101, -v68
	v_mul_f32_e32 v78, 0x3fb8aa3b, v78
	v_add_f32_e32 v70, v70, v76
	v_exp_f32_e32 v69, v69
	v_mul_f32_e32 v77, 0x3fb8aa3b, v77
	s_delay_alu instid0(VALU_DEP_3) | instskip(NEXT) | instid1(TRANS32_DEP_3)
	v_exp_f32_e32 v78, v78
	v_cndmask_b32_e64 v88, 0, v71, s8
	v_fma_f32 v71, s18, v104, -v68
	s_delay_alu instid0(VALU_DEP_3) | instskip(NEXT) | instid1(TRANS32_DEP_3)
	v_exp_f32_e32 v77, v77
	v_cndmask_b32_e64 v87, 0, v69, s6
	s_delay_alu instid0(VALU_DEP_2)
	v_mul_f32_e32 v71, 0x3fb8aa3b, v71
	s_waitcnt_depctr 0xfff
	v_cndmask_b32_e64 v84, 0, v78, s7
	v_add_f32_e32 v70, v70, v83
	v_fma_f32 v78, s18, v103, -v68
	v_exp_f32_e32 v82, v71
	s_delay_alu instid0(VALU_DEP_2) | instskip(SKIP_1) | instid1(VALU_DEP_3)
	v_add_f32_e32 v70, v70, v85
	v_mul_f32_e32 v72, 0x3fb8aa3b, v72
	v_mul_f32_e32 v78, 0x3fb8aa3b, v78
	s_delay_alu instid0(VALU_DEP_3) | instskip(SKIP_1) | instid1(VALU_DEP_4)
	v_add_f32_e32 v69, v70, v86
	v_fma_f32 v70, s18, v102, -v68
	v_exp_f32_e32 v72, v72
	s_delay_alu instid0(VALU_DEP_3) | instskip(NEXT) | instid1(VALU_DEP_1)
	v_exp_f32_e32 v78, v78
	v_dual_add_f32 v69, v69, v87 :: v_dual_mul_f32 v70, 0x3fb8aa3b, v70
	s_delay_alu instid0(VALU_DEP_1) | instskip(NEXT) | instid1(VALU_DEP_2)
	v_add_f32_e32 v69, v69, v84
	v_exp_f32_e32 v79, v70
	s_delay_alu instid0(TRANS32_DEP_3) | instskip(NEXT) | instid1(VALU_DEP_2)
	v_cndmask_b32_e64 v70, 0, v72, s9
	v_add_f32_e32 v72, v69, v88
	v_cndmask_b32_e64 v69, 0, v77, s10
	v_fma_f32 v77, s18, v106, -v68
	s_waitcnt_depctr 0xfff
	v_cndmask_b32_e64 v71, 0, v79, s11
	v_dual_mul_f32 v77, 0x3fb8aa3b, v77 :: v_dual_add_f32 v72, v72, v70
	s_delay_alu instid0(VALU_DEP_1) | instskip(NEXT) | instid1(VALU_DEP_1)
	v_exp_f32_e32 v90, v77
	v_add_f32_e32 v79, v72, v69
	v_cndmask_b32_e64 v72, 0, v78, s12
	v_cndmask_b32_e64 v77, 0, v82, s13
	s_delay_alu instid0(VALU_DEP_3) | instskip(SKIP_1) | instid1(VALU_DEP_1)
	v_add_f32_e32 v78, v79, v71
	v_fma_f32 v79, s18, v107, -v68
	v_dual_add_f32 v82, v78, v72 :: v_dual_mul_f32 v79, 0x3fb8aa3b, v79
	v_cndmask_b32_e64 v78, 0, v81, s15
	s_delay_alu instid0(VALU_DEP_2) | instskip(NEXT) | instid1(VALU_DEP_3)
	v_add_f32_e32 v81, v82, v77
	v_exp_f32_e32 v82, v79
	v_cndmask_b32_e64 v79, 0, v90, s16
	s_delay_alu instid0(VALU_DEP_2) | instskip(NEXT) | instid1(VALU_DEP_1)
	v_add_f32_e32 v81, v81, v78
	v_add_f32_e32 v90, v81, v79
	s_waitcnt_depctr 0xfff
	v_cndmask_b32_e64 v81, 0, v82, s17
	s_delay_alu instid0(VALU_DEP_1)
	v_add_f32_e32 v82, v90, v81
	ds_bpermute_b32 v89, v89, v82
	v_cmpx_gt_u32_e32 16, v67
	s_cbranch_execz .LBB1639_12
; %bb.11:
	v_mul_u32_u24_e32 v67, 0x44, v66
	s_delay_alu instid0(VALU_DEP_1) | instskip(SKIP_1) | instid1(VALU_DEP_1)
	v_lshl_add_u32 v67, v65, 2, v67
	s_waitcnt lgkmcnt(0)
	v_dual_add_f32 v82, v82, v89 :: v_dual_add_nc_u32 v67, 0x4000, v67
	ds_store_2addr_b32 v67, v68, v82 offset1:136
.LBB1639_12:
	s_or_b32 exec_lo, exec_lo, s2
	v_lshlrev_b32_e32 v67, 2, v65
	s_waitcnt lgkmcnt(0)
	s_barrier
	buffer_gl0_inv
	v_cmp_eq_u32_e32 vcc_lo, 1, v66
	v_add_nc_u32_e32 v82, 0x4000, v67
	v_cmp_eq_u32_e64 s2, 2, v66
	v_cmp_eq_u32_e64 s4, 7, v66
	ds_load_2addr_b32 v[89:90], v82 offset1:17
	ds_load_2addr_b32 v[91:92], v82 offset0:34 offset1:51
	ds_load_2addr_b32 v[93:94], v82 offset0:68 offset1:85
	ds_load_2addr_b32 v[95:96], v82 offset0:102 offset1:119
	ds_load_2addr_b32 v[97:98], v82 offset0:136 offset1:153
	s_waitcnt lgkmcnt(4)
	v_max3_f32 v67, v89, 0xff7fffff, v90
	s_waitcnt lgkmcnt(3)
	s_delay_alu instid0(VALU_DEP_1) | instskip(SKIP_1) | instid1(VALU_DEP_1)
	v_max3_f32 v67, v67, v91, v92
	s_waitcnt lgkmcnt(2)
	v_max3_f32 v67, v67, v93, v94
	s_waitcnt lgkmcnt(1)
	s_delay_alu instid0(VALU_DEP_1) | instskip(NEXT) | instid1(VALU_DEP_1)
	v_max3_f32 v67, v67, v95, v96
	v_sub_f32_e32 v93, v93, v67
	s_delay_alu instid0(VALU_DEP_1) | instskip(NEXT) | instid1(VALU_DEP_1)
	v_dual_sub_f32 v68, v89, v67 :: v_dual_mul_f32 v103, 0x3fb8aa3b, v93
	v_mul_f32_e32 v68, 0x3fb8aa3b, v68
	s_delay_alu instid0(VALU_DEP_1)
	v_exp_f32_e32 v100, v68
	v_sub_f32_e32 v68, v92, v67
	v_sub_f32_e32 v99, v90, v67
	ds_load_2addr_b32 v[89:90], v82 offset0:170 offset1:187
	v_dual_mul_f32 v102, 0x3fb8aa3b, v68 :: v_dual_mul_f32 v99, 0x3fb8aa3b, v99
	s_waitcnt lgkmcnt(1)
	v_fma_f32 v68, v100, v97, 0
	s_delay_alu instid0(VALU_DEP_2) | instskip(NEXT) | instid1(VALU_DEP_2)
	v_exp_f32_e32 v102, v102
	v_exp_f32_e32 v99, v99
	s_waitcnt_depctr 0xfff
	v_fmac_f32_e32 v68, v99, v98
	v_sub_f32_e32 v91, v91, v67
	s_delay_alu instid0(VALU_DEP_1)
	v_mul_f32_e32 v101, 0x3fb8aa3b, v91
	ds_load_2addr_b32 v[91:92], v82 offset0:204 offset1:221
	v_sub_f32_e32 v97, v94, v67
	ds_load_2addr_b32 v[93:94], v82 offset0:238 offset1:255
	s_waitcnt lgkmcnt(0)
	v_exp_f32_e32 v101, v101
	s_barrier
	buffer_gl0_inv
	v_dual_fmac_f32 v68, v101, v89 :: v_dual_sub_f32 v89, v96, v67
	v_dual_sub_f32 v82, v95, v67 :: v_dual_mul_f32 v95, 0x3fb8aa3b, v97
	v_exp_f32_e32 v97, v103
	s_delay_alu instid0(VALU_DEP_2) | instskip(NEXT) | instid1(VALU_DEP_2)
	v_dual_fmac_f32 v68, v102, v90 :: v_dual_mul_f32 v89, 0x3fb8aa3b, v89
	v_mul_f32_e32 v82, 0x3fb8aa3b, v82
	s_delay_alu instid0(VALU_DEP_3) | instskip(NEXT) | instid1(VALU_DEP_2)
	v_exp_f32_e32 v95, v95
	v_exp_f32_e32 v89, v89
	s_delay_alu instid0(VALU_DEP_1)
	v_exp_f32_e32 v82, v82
	v_fmac_f32_e32 v68, v97, v91
	s_delay_alu instid0(TRANS32_DEP_3) | instid1(VALU_DEP_1)
	v_fmac_f32_e32 v68, v95, v92
	s_waitcnt_depctr 0xfff
	v_fmac_f32_e32 v68, v82, v93
	s_delay_alu instid0(VALU_DEP_1) | instskip(NEXT) | instid1(VALU_DEP_1)
	v_fmac_f32_e32 v68, v89, v94
	v_add_f32_e32 v90, 0x358637bd, v68
	s_delay_alu instid0(VALU_DEP_1) | instskip(NEXT) | instid1(VALU_DEP_1)
	v_div_scale_f32 v91, null, v90, v90, 1.0
	v_rcp_f32_e32 v92, v91
	s_waitcnt_depctr 0xfff
	v_fma_f32 v93, -v91, v92, 1.0
	s_delay_alu instid0(VALU_DEP_1) | instskip(SKIP_1) | instid1(VALU_DEP_2)
	v_dual_fmac_f32 v92, v93, v92 :: v_dual_cndmask_b32 v93, v100, v99
	v_cmp_eq_u32_e32 vcc_lo, 3, v66
	v_cndmask_b32_e64 v93, v93, v101, s2
	v_cmp_eq_u32_e64 s2, 4, v66
	s_delay_alu instid0(VALU_DEP_2) | instskip(SKIP_1) | instid1(VALU_DEP_2)
	v_cndmask_b32_e32 v93, v93, v102, vcc_lo
	v_cmp_eq_u32_e32 vcc_lo, 5, v66
	v_cndmask_b32_e64 v93, v93, v97, s2
	v_cmp_eq_u32_e64 s2, 6, v66
	s_delay_alu instid0(VALU_DEP_2) | instskip(SKIP_1) | instid1(VALU_DEP_1)
	v_cndmask_b32_e32 v93, v93, v95, vcc_lo
	v_div_scale_f32 v94, s3, 1.0, v90, 1.0
	s_mov_b32 vcc_lo, s3
	s_delay_alu instid0(VALU_DEP_2) | instskip(NEXT) | instid1(VALU_DEP_2)
	v_cndmask_b32_e64 v82, v93, v82, s2
	v_mul_f32_e32 v96, v94, v92
	s_mov_b32 s2, exec_lo
	s_delay_alu instid0(VALU_DEP_2) | instskip(NEXT) | instid1(VALU_DEP_2)
	v_cndmask_b32_e64 v82, v82, v89, s4
	v_fma_f32 v98, -v91, v96, v94
	s_delay_alu instid0(VALU_DEP_1) | instskip(NEXT) | instid1(VALU_DEP_1)
	v_fmac_f32_e32 v96, v98, v92
	v_fma_f32 v91, -v91, v96, v94
	s_delay_alu instid0(VALU_DEP_1) | instskip(NEXT) | instid1(VALU_DEP_1)
	v_div_fmas_f32 v91, v91, v92, v96
	v_div_fixup_f32 v90, v91, v90, 1.0
	s_delay_alu instid0(VALU_DEP_1) | instskip(NEXT) | instid1(VALU_DEP_1)
	v_mul_f32_e32 v82, v82, v90
	v_mul_f32_e32 v87, v82, v87
	v_mul_f32_e32 v90, v82, v80
	v_mul_f32_e32 v80, v82, v88
	v_mul_f32_e32 v84, v82, v84
	v_mul_f32_e32 v88, v82, v86
	v_mul_f32_e32 v89, v82, v85
	v_dual_mul_f32 v86, v82, v83 :: v_dual_and_b32 v91, 0x7f800000, v90
	v_mul_f32_e32 v85, v82, v76
                                        ; implicit-def: $vgpr76
	s_delay_alu instid0(VALU_DEP_2)
	v_cmpx_ne_u32_e32 0x7f800000, v91
	s_xor_b32 s2, exec_lo, s2
; %bb.13:
	v_bfe_u32 v76, v90, 16, 1
	s_delay_alu instid0(VALU_DEP_1)
	v_add3_u32 v76, v90, v76, 0x7fff
                                        ; implicit-def: $vgpr90
; %bb.14:
	s_and_not1_saveexec_b32 s2, s2
; %bb.15:
	v_and_b32_e32 v76, 0xffff, v90
	v_or_b32_e32 v83, 0x10000, v90
	s_delay_alu instid0(VALU_DEP_2) | instskip(NEXT) | instid1(VALU_DEP_2)
	v_cmp_eq_u32_e32 vcc_lo, 0, v76
	v_cndmask_b32_e32 v76, v83, v90, vcc_lo
; %bb.16:
	s_or_b32 exec_lo, exec_lo, s2
	v_and_b32_e32 v83, 0x7f800000, v85
	s_delay_alu instid0(VALU_DEP_1) | instskip(SKIP_1) | instid1(SALU_CYCLE_1)
	v_cmp_ne_u32_e32 vcc_lo, 0x7f800000, v83
                                        ; implicit-def: $vgpr83
	s_and_saveexec_b32 s2, vcc_lo
	s_xor_b32 s2, exec_lo, s2
; %bb.17:
	v_bfe_u32 v83, v85, 16, 1
	s_delay_alu instid0(VALU_DEP_1)
	v_add3_u32 v83, v85, v83, 0x7fff
                                        ; implicit-def: $vgpr85
; %bb.18:
	s_and_not1_saveexec_b32 s2, s2
; %bb.19:
	v_and_b32_e32 v83, 0xffff, v85
	v_or_b32_e32 v90, 0x10000, v85
	s_delay_alu instid0(VALU_DEP_2) | instskip(NEXT) | instid1(VALU_DEP_2)
	v_cmp_eq_u32_e32 vcc_lo, 0, v83
	v_cndmask_b32_e32 v83, v90, v85, vcc_lo
; %bb.20:
	s_or_b32 exec_lo, exec_lo, s2
	v_and_b32_e32 v85, 0x7f800000, v86
	s_delay_alu instid0(VALU_DEP_1) | instskip(SKIP_1) | instid1(SALU_CYCLE_1)
	v_cmp_ne_u32_e32 vcc_lo, 0x7f800000, v85
                                        ; implicit-def: $vgpr85
	s_and_saveexec_b32 s2, vcc_lo
	s_xor_b32 s2, exec_lo, s2
; %bb.21:
	v_bfe_u32 v85, v86, 16, 1
	s_delay_alu instid0(VALU_DEP_1)
	v_add3_u32 v85, v86, v85, 0x7fff
                                        ; implicit-def: $vgpr86
; %bb.22:
	s_and_not1_saveexec_b32 s2, s2
; %bb.23:
	v_and_b32_e32 v85, 0xffff, v86
	v_or_b32_e32 v90, 0x10000, v86
	s_delay_alu instid0(VALU_DEP_2) | instskip(NEXT) | instid1(VALU_DEP_2)
	v_cmp_eq_u32_e32 vcc_lo, 0, v85
	v_cndmask_b32_e32 v85, v90, v86, vcc_lo
; %bb.24:
	s_or_b32 exec_lo, exec_lo, s2
	v_and_b32_e32 v86, 0x7f800000, v89
	s_delay_alu instid0(VALU_DEP_1) | instskip(SKIP_1) | instid1(SALU_CYCLE_1)
	v_cmp_ne_u32_e32 vcc_lo, 0x7f800000, v86
                                        ; implicit-def: $vgpr86
	s_and_saveexec_b32 s2, vcc_lo
	s_xor_b32 s2, exec_lo, s2
; %bb.25:
	v_bfe_u32 v86, v89, 16, 1
	s_delay_alu instid0(VALU_DEP_1)
	v_add3_u32 v86, v89, v86, 0x7fff
                                        ; implicit-def: $vgpr89
; %bb.26:
	s_and_not1_saveexec_b32 s2, s2
; %bb.27:
	v_and_b32_e32 v86, 0xffff, v89
	v_or_b32_e32 v90, 0x10000, v89
	s_delay_alu instid0(VALU_DEP_2) | instskip(NEXT) | instid1(VALU_DEP_2)
	v_cmp_eq_u32_e32 vcc_lo, 0, v86
	v_cndmask_b32_e32 v86, v90, v89, vcc_lo
; %bb.28:
	s_or_b32 exec_lo, exec_lo, s2
	v_and_b32_e32 v89, 0x7f800000, v88
	s_delay_alu instid0(VALU_DEP_1) | instskip(SKIP_1) | instid1(SALU_CYCLE_1)
	v_cmp_ne_u32_e32 vcc_lo, 0x7f800000, v89
                                        ; implicit-def: $vgpr89
	s_and_saveexec_b32 s2, vcc_lo
	s_xor_b32 s2, exec_lo, s2
; %bb.29:
	v_bfe_u32 v89, v88, 16, 1
	s_delay_alu instid0(VALU_DEP_1)
	v_add3_u32 v89, v88, v89, 0x7fff
                                        ; implicit-def: $vgpr88
; %bb.30:
	s_and_not1_saveexec_b32 s2, s2
; %bb.31:
	v_and_b32_e32 v89, 0xffff, v88
	v_or_b32_e32 v90, 0x10000, v88
	s_delay_alu instid0(VALU_DEP_2) | instskip(NEXT) | instid1(VALU_DEP_2)
	v_cmp_eq_u32_e32 vcc_lo, 0, v89
	v_cndmask_b32_e32 v89, v90, v88, vcc_lo
; %bb.32:
	s_or_b32 exec_lo, exec_lo, s2
	v_and_b32_e32 v88, 0x7f800000, v87
	s_delay_alu instid0(VALU_DEP_1) | instskip(SKIP_1) | instid1(SALU_CYCLE_1)
	v_cmp_ne_u32_e32 vcc_lo, 0x7f800000, v88
                                        ; implicit-def: $vgpr88
	s_and_saveexec_b32 s2, vcc_lo
	s_xor_b32 s2, exec_lo, s2
; %bb.33:
	v_bfe_u32 v88, v87, 16, 1
	s_delay_alu instid0(VALU_DEP_1)
	v_add3_u32 v88, v87, v88, 0x7fff
                                        ; implicit-def: $vgpr87
; %bb.34:
	s_and_not1_saveexec_b32 s2, s2
; %bb.35:
	v_and_b32_e32 v88, 0xffff, v87
	v_or_b32_e32 v90, 0x10000, v87
	s_delay_alu instid0(VALU_DEP_2) | instskip(NEXT) | instid1(VALU_DEP_2)
	v_cmp_eq_u32_e32 vcc_lo, 0, v88
	v_cndmask_b32_e32 v88, v90, v87, vcc_lo
; %bb.36:
	s_or_b32 exec_lo, exec_lo, s2
	v_and_b32_e32 v87, 0x7f800000, v84
	s_delay_alu instid0(VALU_DEP_1) | instskip(SKIP_1) | instid1(SALU_CYCLE_1)
	v_cmp_ne_u32_e32 vcc_lo, 0x7f800000, v87
                                        ; implicit-def: $vgpr87
	s_and_saveexec_b32 s2, vcc_lo
	s_xor_b32 s2, exec_lo, s2
; %bb.37:
	v_bfe_u32 v87, v84, 16, 1
	s_delay_alu instid0(VALU_DEP_1)
	v_add3_u32 v87, v84, v87, 0x7fff
                                        ; implicit-def: $vgpr84
; %bb.38:
	s_and_not1_saveexec_b32 s2, s2
; %bb.39:
	v_and_b32_e32 v87, 0xffff, v84
	v_or_b32_e32 v90, 0x10000, v84
	s_delay_alu instid0(VALU_DEP_2) | instskip(NEXT) | instid1(VALU_DEP_2)
	v_cmp_eq_u32_e32 vcc_lo, 0, v87
	v_cndmask_b32_e32 v87, v90, v84, vcc_lo
; %bb.40:
	s_or_b32 exec_lo, exec_lo, s2
	v_and_b32_e32 v84, 0x7f800000, v80
	s_delay_alu instid0(VALU_DEP_1) | instskip(SKIP_1) | instid1(SALU_CYCLE_1)
	v_cmp_ne_u32_e32 vcc_lo, 0x7f800000, v84
                                        ; implicit-def: $vgpr84
	s_and_saveexec_b32 s2, vcc_lo
	s_xor_b32 s2, exec_lo, s2
; %bb.41:
	v_bfe_u32 v84, v80, 16, 1
	s_delay_alu instid0(VALU_DEP_1)
	v_add3_u32 v84, v80, v84, 0x7fff
                                        ; implicit-def: $vgpr80
; %bb.42:
	s_and_not1_saveexec_b32 s2, s2
; %bb.43:
	v_and_b32_e32 v84, 0xffff, v80
	v_or_b32_e32 v90, 0x10000, v80
	s_delay_alu instid0(VALU_DEP_2) | instskip(NEXT) | instid1(VALU_DEP_2)
	v_cmp_eq_u32_e32 vcc_lo, 0, v84
	v_cndmask_b32_e32 v84, v90, v80, vcc_lo
; %bb.44:
	s_or_b32 exec_lo, exec_lo, s2
	s_load_b64 s[34:35], s[0:1], 0x94
	v_lshlrev_b32_e32 v91, 4, v74
	s_delay_alu instid0(VALU_DEP_2)
	v_perm_b32 v90, v84, v87, 0x7060302
	v_dual_mul_f32 v79, v82, v79 :: v_dual_lshlrev_b32 v80, 6, v65
	v_dual_mul_f32 v77, v82, v77 :: v_dual_lshlrev_b32 v92, 11, v66
	v_mul_f32_e32 v84, v82, v70
	v_perm_b32 v89, v88, v89, 0x7060302
	v_perm_b32 v88, v86, v85, 0x7060302
	;; [unrolled: 1-line block ×3, first 2 shown]
	v_mul_f32_e32 v70, v82, v81
	v_or3_b32 v76, v91, v92, v80
	v_dual_mul_f32 v78, v82, v78 :: v_dual_and_b32 v85, 0x7f800000, v84
	v_mul_f32_e32 v83, v82, v72
	v_mul_f32_e32 v81, v82, v71
	;; [unrolled: 1-line block ×3, first 2 shown]
	s_mov_b32 s2, exec_lo
	ds_store_b128 v76, v[87:90]
                                        ; implicit-def: $vgpr69
	v_cmpx_ne_u32_e32 0x7f800000, v85
	s_xor_b32 s2, exec_lo, s2
; %bb.45:
	v_bfe_u32 v69, v84, 16, 1
	s_delay_alu instid0(VALU_DEP_1)
	v_add3_u32 v69, v84, v69, 0x7fff
                                        ; implicit-def: $vgpr84
; %bb.46:
	s_and_not1_saveexec_b32 s2, s2
; %bb.47:
	v_and_b32_e32 v69, 0xffff, v84
	v_or_b32_e32 v71, 0x10000, v84
	s_delay_alu instid0(VALU_DEP_2) | instskip(NEXT) | instid1(VALU_DEP_2)
	v_cmp_eq_u32_e32 vcc_lo, 0, v69
	v_cndmask_b32_e32 v69, v71, v84, vcc_lo
; %bb.48:
	s_or_b32 exec_lo, exec_lo, s2
	v_and_b32_e32 v71, 0x7f800000, v72
	s_delay_alu instid0(VALU_DEP_1) | instskip(SKIP_1) | instid1(SALU_CYCLE_1)
	v_cmp_ne_u32_e32 vcc_lo, 0x7f800000, v71
                                        ; implicit-def: $vgpr71
	s_and_saveexec_b32 s2, vcc_lo
	s_xor_b32 s2, exec_lo, s2
; %bb.49:
	v_bfe_u32 v71, v72, 16, 1
	s_delay_alu instid0(VALU_DEP_1)
	v_add3_u32 v71, v72, v71, 0x7fff
                                        ; implicit-def: $vgpr72
; %bb.50:
	s_and_not1_saveexec_b32 s2, s2
; %bb.51:
	v_and_b32_e32 v71, 0xffff, v72
	v_or_b32_e32 v82, 0x10000, v72
	s_delay_alu instid0(VALU_DEP_2) | instskip(NEXT) | instid1(VALU_DEP_2)
	v_cmp_eq_u32_e32 vcc_lo, 0, v71
	v_cndmask_b32_e32 v71, v82, v72, vcc_lo
; %bb.52:
	s_or_b32 exec_lo, exec_lo, s2
	v_and_b32_e32 v72, 0x7f800000, v81
	s_delay_alu instid0(VALU_DEP_1) | instskip(SKIP_1) | instid1(SALU_CYCLE_1)
	v_cmp_ne_u32_e32 vcc_lo, 0x7f800000, v72
                                        ; implicit-def: $vgpr72
	s_and_saveexec_b32 s2, vcc_lo
	s_xor_b32 s2, exec_lo, s2
; %bb.53:
	v_bfe_u32 v72, v81, 16, 1
	s_delay_alu instid0(VALU_DEP_1)
	v_add3_u32 v72, v81, v72, 0x7fff
                                        ; implicit-def: $vgpr81
; %bb.54:
	s_and_not1_saveexec_b32 s2, s2
; %bb.55:
	v_and_b32_e32 v72, 0xffff, v81
	v_or_b32_e32 v82, 0x10000, v81
	s_delay_alu instid0(VALU_DEP_2) | instskip(NEXT) | instid1(VALU_DEP_2)
	v_cmp_eq_u32_e32 vcc_lo, 0, v72
	v_cndmask_b32_e32 v72, v82, v81, vcc_lo
; %bb.56:
	s_or_b32 exec_lo, exec_lo, s2
	v_and_b32_e32 v81, 0x7f800000, v83
	s_delay_alu instid0(VALU_DEP_1) | instskip(SKIP_1) | instid1(SALU_CYCLE_1)
	v_cmp_ne_u32_e32 vcc_lo, 0x7f800000, v81
                                        ; implicit-def: $vgpr81
	s_and_saveexec_b32 s2, vcc_lo
	s_xor_b32 s2, exec_lo, s2
; %bb.57:
	v_bfe_u32 v81, v83, 16, 1
	s_delay_alu instid0(VALU_DEP_1)
	v_add3_u32 v81, v83, v81, 0x7fff
                                        ; implicit-def: $vgpr83
; %bb.58:
	s_and_not1_saveexec_b32 s2, s2
; %bb.59:
	v_and_b32_e32 v81, 0xffff, v83
	v_or_b32_e32 v82, 0x10000, v83
	s_delay_alu instid0(VALU_DEP_2) | instskip(NEXT) | instid1(VALU_DEP_2)
	v_cmp_eq_u32_e32 vcc_lo, 0, v81
	v_cndmask_b32_e32 v81, v82, v83, vcc_lo
; %bb.60:
	s_or_b32 exec_lo, exec_lo, s2
	v_and_b32_e32 v82, 0x7f800000, v77
	s_delay_alu instid0(VALU_DEP_1) | instskip(SKIP_1) | instid1(SALU_CYCLE_1)
	v_cmp_ne_u32_e32 vcc_lo, 0x7f800000, v82
                                        ; implicit-def: $vgpr82
	s_and_saveexec_b32 s2, vcc_lo
	s_xor_b32 s2, exec_lo, s2
; %bb.61:
	v_bfe_u32 v82, v77, 16, 1
	s_delay_alu instid0(VALU_DEP_1)
	v_add3_u32 v82, v77, v82, 0x7fff
                                        ; implicit-def: $vgpr77
; %bb.62:
	s_and_not1_saveexec_b32 s2, s2
; %bb.63:
	v_and_b32_e32 v82, 0xffff, v77
	v_or_b32_e32 v83, 0x10000, v77
	s_delay_alu instid0(VALU_DEP_2) | instskip(NEXT) | instid1(VALU_DEP_2)
	v_cmp_eq_u32_e32 vcc_lo, 0, v82
	v_cndmask_b32_e32 v82, v83, v77, vcc_lo
; %bb.64:
	s_or_b32 exec_lo, exec_lo, s2
	v_and_b32_e32 v77, 0x7f800000, v78
	s_delay_alu instid0(VALU_DEP_1) | instskip(SKIP_1) | instid1(SALU_CYCLE_1)
	v_cmp_ne_u32_e32 vcc_lo, 0x7f800000, v77
                                        ; implicit-def: $vgpr77
	s_and_saveexec_b32 s2, vcc_lo
	s_xor_b32 s2, exec_lo, s2
; %bb.65:
	v_bfe_u32 v77, v78, 16, 1
	s_delay_alu instid0(VALU_DEP_1)
	v_add3_u32 v77, v78, v77, 0x7fff
                                        ; implicit-def: $vgpr78
; %bb.66:
	s_and_not1_saveexec_b32 s2, s2
; %bb.67:
	v_and_b32_e32 v77, 0xffff, v78
	v_or_b32_e32 v83, 0x10000, v78
	s_delay_alu instid0(VALU_DEP_2) | instskip(NEXT) | instid1(VALU_DEP_2)
	v_cmp_eq_u32_e32 vcc_lo, 0, v77
	v_cndmask_b32_e32 v77, v83, v78, vcc_lo
; %bb.68:
	s_or_b32 exec_lo, exec_lo, s2
	v_and_b32_e32 v78, 0x7f800000, v79
	s_delay_alu instid0(VALU_DEP_1) | instskip(SKIP_1) | instid1(SALU_CYCLE_1)
	v_cmp_ne_u32_e32 vcc_lo, 0x7f800000, v78
                                        ; implicit-def: $vgpr78
	s_and_saveexec_b32 s2, vcc_lo
	s_xor_b32 s2, exec_lo, s2
; %bb.69:
	v_bfe_u32 v78, v79, 16, 1
	s_delay_alu instid0(VALU_DEP_1)
	v_add3_u32 v78, v79, v78, 0x7fff
                                        ; implicit-def: $vgpr79
; %bb.70:
	s_and_not1_saveexec_b32 s2, s2
; %bb.71:
	v_and_b32_e32 v78, 0xffff, v79
	v_or_b32_e32 v83, 0x10000, v79
	s_delay_alu instid0(VALU_DEP_2) | instskip(NEXT) | instid1(VALU_DEP_2)
	v_cmp_eq_u32_e32 vcc_lo, 0, v78
	v_cndmask_b32_e32 v78, v83, v79, vcc_lo
; %bb.72:
	s_or_b32 exec_lo, exec_lo, s2
	v_and_b32_e32 v79, 0x7f800000, v70
	s_delay_alu instid0(VALU_DEP_1) | instskip(SKIP_1) | instid1(SALU_CYCLE_1)
	v_cmp_ne_u32_e32 vcc_lo, 0x7f800000, v79
                                        ; implicit-def: $vgpr79
	s_and_saveexec_b32 s2, vcc_lo
	s_xor_b32 s2, exec_lo, s2
; %bb.73:
	v_bfe_u32 v79, v70, 16, 1
	s_delay_alu instid0(VALU_DEP_1)
	v_add3_u32 v79, v70, v79, 0x7fff
                                        ; implicit-def: $vgpr70
; %bb.74:
	s_and_not1_saveexec_b32 s2, s2
; %bb.75:
	v_and_b32_e32 v79, 0xffff, v70
	v_or_b32_e32 v83, 0x10000, v70
	s_delay_alu instid0(VALU_DEP_2) | instskip(NEXT) | instid1(VALU_DEP_2)
	v_cmp_eq_u32_e32 vcc_lo, 0, v79
	v_cndmask_b32_e32 v79, v83, v70, vcc_lo
; %bb.76:
	s_or_b32 exec_lo, exec_lo, s2
	s_delay_alu instid0(VALU_DEP_1)
	v_perm_b32 v86, v79, v78, 0x7060302
	v_perm_b32 v85, v77, v82, 0x7060302
	;; [unrolled: 1-line block ×4, first 2 shown]
	v_lshl_or_b32 v82, v66, 11, v80
	ds_store_b128 v76, v[83:86] offset:1024
	s_waitcnt lgkmcnt(0)
	s_barrier
	buffer_gl0_inv
	ds_load_b128 v[69:72], v82
	ds_load_b128 v[83:86], v82 offset:16
	s_waitcnt lgkmcnt(1)
	v_lshrrev_b32_e32 v66, 16, v69
	s_waitcnt lgkmcnt(0)
	v_lshrrev_b32_e32 v91, 16, v83
	v_lshlrev_b32_e32 v78, 2, v74
	v_lshrrev_b32_e32 v95, 16, v70
	v_lshrrev_b32_e32 v98, 16, v84
	;; [unrolled: 1-line block ×4, first 2 shown]
	v_cmp_eq_u32_e32 vcc_lo, 1, v78
	v_lshrrev_b32_e32 v97, 16, v72
	v_lshrrev_b32_e32 v100, 16, v86
	v_cndmask_b32_e32 v87, v83, v91, vcc_lo
	v_or_b32_e32 v79, 1, v78
	v_cndmask_b32_e32 v81, v69, v66, vcc_lo
	v_cmp_eq_u32_e64 s3, 2, v78
	v_cmp_eq_u32_e64 s6, 3, v78
	;; [unrolled: 1-line block ×5, first 2 shown]
	v_cndmask_b32_e64 v81, v81, v70, s3
	v_cndmask_b32_e64 v87, v87, v84, s3
	v_cmp_eq_u32_e64 s7, 3, v79
	v_cndmask_b32_e64 v88, v69, v66, s2
	v_or_b32_e32 v77, 2, v78
	v_cndmask_b32_e64 v81, v81, v95, s6
	v_cndmask_b32_e64 v87, v87, v98, s6
	v_cndmask_b32_e64 v89, v83, v91, s2
	v_cndmask_b32_e64 v88, v88, v70, s5
	v_cmp_eq_u32_e64 s9, 5, v78
	v_cndmask_b32_e64 v81, v81, v71, s8
	v_cndmask_b32_e64 v87, v87, v85, s8
	v_cmp_eq_u32_e64 s10, 4, v79
	v_cndmask_b32_e64 v88, v88, v95, s7
	v_cmp_eq_u32_e64 s4, 1, v77
	v_cndmask_b32_e64 v89, v89, v84, s5
	v_cndmask_b32_e64 v81, v81, v96, s9
	v_cmp_eq_u32_e64 s11, 6, v78
	v_cndmask_b32_e64 v88, v88, v71, s10
	;; [unrolled: 3-line block ×3, first 2 shown]
	v_cndmask_b32_e64 v89, v89, v98, s7
	v_cndmask_b32_e64 v81, v81, v72, s11
	v_cmp_eq_u32_e64 s13, 7, v78
	v_cndmask_b32_e64 v88, v88, v96, s12
	v_cndmask_b32_e64 v87, v87, v86, s11
	v_cmp_eq_u32_e64 s15, 6, v79
	v_cmp_eq_u32_e64 s16, 2, v77
	v_cndmask_b32_e64 v89, v89, v85, s10
	v_cndmask_b32_e64 v101, v81, v97, s13
	;; [unrolled: 1-line block ×6, first 2 shown]
	v_cmp_eq_u32_e64 s17, 7, v79
	v_cmp_eq_u32_e64 s18, 3, v77
	;; [unrolled: 1-line block ×4, first 2 shown]
	v_cndmask_b32_e64 v87, v87, v84, s16
	v_cndmask_b32_e64 v103, v88, v97, s17
	;; [unrolled: 1-line block ×4, first 2 shown]
	v_or_b32_e32 v81, 3, v78
	v_cndmask_b32_e64 v93, v87, v98, s18
	v_cmp_eq_u32_e64 s23, 6, v77
	v_cndmask_b32_e64 v104, v88, v86, s15
	v_cndmask_b32_e64 v92, v89, v71, s19
	v_cmp_eq_u32_e64 s20, 1, v81
	ds_load_b128 v[87:90], v82 offset:1024
	v_cmp_eq_u32_e64 s22, 2, v81
	v_cmp_eq_u32_e64 s24, 3, v81
	v_cndmask_b32_e64 v105, v92, v96, s21
	v_cndmask_b32_e64 v66, v69, v66, s20
	;; [unrolled: 1-line block ×4, first 2 shown]
	ds_load_b128 v[91:94], v82 offset:1040
	v_cmp_eq_u32_e64 s25, 4, v81
	v_cndmask_b32_e64 v66, v66, v70, s22
	v_cmp_eq_u32_e64 s26, 7, v77
	v_cndmask_b32_e64 v70, v83, v84, s22
	v_cndmask_b32_e64 v84, v105, v72, s23
	v_cmp_eq_u32_e64 s27, 5, v81
	v_cndmask_b32_e64 v66, v66, v95, s24
	v_cmp_eq_u32_e64 s28, 6, v81
	v_cndmask_b32_e64 v70, v70, v98, s24
	v_cndmask_b32_e64 v69, v69, v99, s21
	;; [unrolled: 1-line block ×4, first 2 shown]
	s_waitcnt lgkmcnt(1)
	v_lshrrev_b32_e32 v95, 16, v87
	v_cndmask_b32_e64 v70, v70, v85, s25
	v_cndmask_b32_e64 v71, v84, v97, s26
	;; [unrolled: 1-line block ×4, first 2 shown]
	v_cndmask_b32_e32 v84, v87, v95, vcc_lo
	v_cndmask_b32_e64 v70, v70, v99, s27
	s_waitcnt lgkmcnt(0)
	v_lshrrev_b32_e32 v85, 16, v91
	v_lshrrev_b32_e32 v96, 16, v88
	v_cndmask_b32_e64 v98, v87, v95, s2
	v_cndmask_b32_e64 v84, v84, v88, s3
	;; [unrolled: 1-line block ×3, first 2 shown]
	v_cndmask_b32_e32 v99, v91, v85, vcc_lo
	v_cmp_eq_u32_e32 vcc_lo, 7, v81
	v_cndmask_b32_e64 v66, v66, v72, s28
	v_cndmask_b32_e64 v72, v84, v96, s6
	;; [unrolled: 1-line block ×3, first 2 shown]
	v_lshrrev_b32_e32 v98, 16, v92
	v_cndmask_b32_e32 v70, v70, v100, vcc_lo
	v_cndmask_b32_e64 v86, v99, v92, s3
	v_cndmask_b32_e64 v69, v69, v100, s26
	v_lshrrev_b32_e32 v100, 16, v93
	v_cndmask_b32_e64 v72, v72, v89, s8
	v_lshrrev_b32_e32 v99, 16, v89
	v_cndmask_b32_e64 v86, v86, v98, s6
	v_perm_b32 v71, v69, v71, 0x5040100
	v_cndmask_b32_e64 v84, v84, v96, s7
	s_delay_alu instid0(VALU_DEP_3) | instskip(NEXT) | instid1(VALU_DEP_2)
	v_cndmask_b32_e64 v86, v86, v93, s8
	v_cndmask_b32_e64 v84, v84, v89, s10
	s_delay_alu instid0(VALU_DEP_2) | instskip(NEXT) | instid1(VALU_DEP_1)
	v_cndmask_b32_e64 v86, v86, v100, s9
	v_cndmask_b32_e64 v69, v86, v94, s11
	;; [unrolled: 1-line block ×5, first 2 shown]
	s_delay_alu instid0(VALU_DEP_3) | instskip(NEXT) | instid1(VALU_DEP_3)
	v_cndmask_b32_e64 v86, v86, v88, s16
	v_cndmask_b32_e64 v87, v87, v88, s22
	s_delay_alu instid0(VALU_DEP_3) | instskip(NEXT) | instid1(VALU_DEP_3)
	v_cndmask_b32_e64 v88, v95, v92, s22
	v_cndmask_b32_e64 v86, v86, v96, s18
	;; [unrolled: 3-line block ×7, first 2 shown]
	s_delay_alu instid0(VALU_DEP_3) | instskip(SKIP_2) | instid1(VALU_DEP_2)
	v_cndmask_b32_e64 v88, v88, v94, s28
	v_cndmask_b32_e32 v66, v66, v97, vcc_lo
	v_cndmask_b32_e64 v97, v72, v99, s9
	v_perm_b32 v72, v70, v66, 0x5040100
	v_perm_b32 v70, v83, v103, 0x5040100
	v_cndmask_b32_e64 v103, v91, v85, s4
	v_cndmask_b32_e64 v85, v91, v85, s2
	;; [unrolled: 1-line block ×4, first 2 shown]
	v_lshrrev_b32_e32 v97, 16, v90
	v_cndmask_b32_e64 v91, v103, v92, s16
	v_cndmask_b32_e64 v85, v85, v92, s5
	;; [unrolled: 1-line block ×3, first 2 shown]
	s_mov_b32 s2, exec_lo
	v_cndmask_b32_e64 v83, v84, v97, s13
	v_cndmask_b32_e64 v91, v91, v98, s18
	;; [unrolled: 1-line block ×3, first 2 shown]
	v_lshrrev_b32_e32 v84, 16, v94
	v_cndmask_b32_e64 v66, v66, v97, s17
	v_cndmask_b32_e64 v90, v86, v97, s26
	;; [unrolled: 1-line block ×4, first 2 shown]
	v_dual_cndmask_b32 v86, v87, v97 :: v_dual_cndmask_b32 v87, v88, v84
	v_cndmask_b32_e64 v91, v69, v84, s13
	s_delay_alu instid0(VALU_DEP_4) | instskip(NEXT) | instid1(VALU_DEP_4)
	v_cndmask_b32_e64 v89, v89, v100, s21
	v_cndmask_b32_e64 v85, v85, v100, s12
	v_perm_b32 v69, v102, v101, 0x5040100
	v_perm_b32 v86, v87, v86, 0x5040100
	;; [unrolled: 1-line block ×3, first 2 shown]
	v_cndmask_b32_e64 v89, v89, v94, s23
	v_cndmask_b32_e64 v85, v85, v94, s15
	s_mul_i32 s7, s35, 14
	s_delay_alu instid0(VALU_DEP_2) | instskip(NEXT) | instid1(VALU_DEP_2)
	v_cndmask_b32_e64 v88, v89, v84, s26
	v_cndmask_b32_e64 v89, v85, v84, s17
	s_delay_alu instid0(VALU_DEP_2) | instskip(NEXT) | instid1(VALU_DEP_2)
	v_perm_b32 v85, v88, v90, 0x5040100
	v_perm_b32 v84, v89, v66, 0x5040100
	ds_store_b128 v76, v[69:72]
	ds_store_b128 v76, v[83:86] offset:1024
	v_cmpx_gt_u32_e32 14, v0
	s_cbranch_execz .LBB1639_78
; %bb.77:
	s_mul_i32 s3, s7, s30
	s_load_b128 s[8:11], s[0:1], 0x58
	v_add3_u32 v69, s3, s29, v65
	s_delay_alu instid0(VALU_DEP_1) | instskip(NEXT) | instid1(VALU_DEP_1)
	v_mad_u64_u32 v[65:66], null, v69, s34, s[14:15]
	v_ashrrev_i32_e32 v66, 31, v65
	s_delay_alu instid0(VALU_DEP_1) | instskip(SKIP_1) | instid1(VALU_DEP_1)
	v_lshlrev_b64 v[65:66], 2, v[65:66]
	s_waitcnt lgkmcnt(0)
	v_add_co_u32 v69, vcc_lo, s10, v65
	s_delay_alu instid0(VALU_DEP_2)
	v_add_co_ci_u32_e32 v70, vcc_lo, s11, v66, vcc_lo
	v_add_co_u32 v65, vcc_lo, s8, v65
	v_add_co_ci_u32_e32 v66, vcc_lo, s9, v66, vcc_lo
	global_store_b32 v[69:70], v67, off
	global_store_b32 v[65:66], v68, off
.LBB1639_78:
	s_or_b32 exec_lo, exec_lo, s2
	s_waitcnt lgkmcnt(0)
	s_waitcnt_vscnt null, 0x0
	s_barrier
	buffer_gl0_inv
	ds_load_b128 v[83:86], v80
	ds_load_b128 v[87:90], v80 offset:16
	ds_load_b128 v[95:98], v80 offset:2064
	;; [unrolled: 1-line block ×3, first 2 shown]
	v_mov_b32_e32 v65, 0
	ds_load_b128 v[103:106], v80 offset:4112
	ds_load_b128 v[99:102], v80 offset:4096
	;; [unrolled: 1-line block ×4, first 2 shown]
	v_mov_b32_e32 v66, v65
	v_mov_b32_e32 v67, v65
	;; [unrolled: 1-line block ×7, first 2 shown]
	s_waitcnt lgkmcnt(6)
	s_delay_alu instid0(VALU_DEP_1)
	v_wmma_f32_16x16x16_bf16 v[65:72], v[49:56], v[83:90], v[65:72]
	ds_load_b128 v[53:56], v80 offset:8208
	ds_load_b128 v[49:52], v80 offset:8192
	s_waitcnt lgkmcnt(6)
	v_wmma_f32_16x16x16_bf16 v[65:72], v[41:48], v[91:98], v[65:72]
	ds_load_b128 v[45:48], v80 offset:10256
	ds_load_b128 v[41:44], v80 offset:10240
	s_waitcnt lgkmcnt(6)
	;; [unrolled: 4-line block ×4, first 2 shown]
	v_wmma_f32_16x16x16_bf16 v[65:72], v[1:8], v[49:56], v[65:72]
	s_waitcnt lgkmcnt(4)
	s_delay_alu instid0(VALU_DEP_1) | instskip(SKIP_1) | instid1(VALU_DEP_1)
	v_wmma_f32_16x16x16_bf16 v[65:72], v[9:16], v[41:48], v[65:72]
	s_waitcnt lgkmcnt(2)
	v_wmma_f32_16x16x16_bf16 v[65:72], v[17:24], v[33:40], v[65:72]
	s_waitcnt lgkmcnt(0)
	s_delay_alu instid0(VALU_DEP_1) | instskip(NEXT) | instid1(VALU_DEP_1)
	v_wmma_f32_16x16x16_bf16 v[65:72], v[57:64], v[25:32], v[65:72]
	v_and_b32_e32 v1, 0x7f800000, v65
	s_delay_alu instid0(VALU_DEP_1) | instskip(SKIP_1) | instid1(SALU_CYCLE_1)
	v_cmp_ne_u32_e32 vcc_lo, 0x7f800000, v1
                                        ; implicit-def: $vgpr1
	s_and_saveexec_b32 s2, vcc_lo
	s_xor_b32 s2, exec_lo, s2
; %bb.79:
	v_bfe_u32 v1, v65, 16, 1
	s_delay_alu instid0(VALU_DEP_1)
	v_add3_u32 v1, v65, v1, 0x7fff
; %bb.80:
	s_and_not1_saveexec_b32 s2, s2
; %bb.81:
	v_and_b32_e32 v1, 0xffff, v65
	v_or_b32_e32 v2, 0x10000, v65
	s_delay_alu instid0(VALU_DEP_2) | instskip(NEXT) | instid1(VALU_DEP_2)
	v_cmp_eq_u32_e32 vcc_lo, 0, v1
	v_cndmask_b32_e32 v1, v2, v65, vcc_lo
; %bb.82:
	s_or_b32 exec_lo, exec_lo, s2
	v_and_b32_e32 v2, 0x7f800000, v66
	s_delay_alu instid0(VALU_DEP_1) | instskip(SKIP_1) | instid1(SALU_CYCLE_1)
	v_cmp_ne_u32_e32 vcc_lo, 0x7f800000, v2
                                        ; implicit-def: $vgpr2
	s_and_saveexec_b32 s2, vcc_lo
	s_xor_b32 s2, exec_lo, s2
; %bb.83:
	v_bfe_u32 v2, v66, 16, 1
	s_delay_alu instid0(VALU_DEP_1)
	v_add3_u32 v2, v66, v2, 0x7fff
; %bb.84:
	s_and_not1_saveexec_b32 s2, s2
; %bb.85:
	v_and_b32_e32 v2, 0xffff, v66
	v_or_b32_e32 v3, 0x10000, v66
	s_delay_alu instid0(VALU_DEP_2) | instskip(NEXT) | instid1(VALU_DEP_2)
	v_cmp_eq_u32_e32 vcc_lo, 0, v2
	v_cndmask_b32_e32 v2, v3, v66, vcc_lo
; %bb.86:
	s_or_b32 exec_lo, exec_lo, s2
	v_and_b32_e32 v3, 0x7f800000, v67
	s_delay_alu instid0(VALU_DEP_1) | instskip(SKIP_1) | instid1(SALU_CYCLE_1)
	v_cmp_ne_u32_e32 vcc_lo, 0x7f800000, v3
                                        ; implicit-def: $vgpr3
	s_and_saveexec_b32 s2, vcc_lo
	s_xor_b32 s2, exec_lo, s2
; %bb.87:
	v_bfe_u32 v3, v67, 16, 1
	s_delay_alu instid0(VALU_DEP_1)
	v_add3_u32 v3, v67, v3, 0x7fff
; %bb.88:
	s_and_not1_saveexec_b32 s2, s2
; %bb.89:
	v_and_b32_e32 v3, 0xffff, v67
	v_or_b32_e32 v4, 0x10000, v67
	s_delay_alu instid0(VALU_DEP_2) | instskip(NEXT) | instid1(VALU_DEP_2)
	v_cmp_eq_u32_e32 vcc_lo, 0, v3
	v_cndmask_b32_e32 v3, v4, v67, vcc_lo
; %bb.90:
	s_or_b32 exec_lo, exec_lo, s2
	v_and_b32_e32 v4, 0x7f800000, v68
	s_delay_alu instid0(VALU_DEP_1) | instskip(SKIP_1) | instid1(SALU_CYCLE_1)
	v_cmp_ne_u32_e32 vcc_lo, 0x7f800000, v4
                                        ; implicit-def: $vgpr4
	s_and_saveexec_b32 s2, vcc_lo
	s_xor_b32 s2, exec_lo, s2
; %bb.91:
	v_bfe_u32 v4, v68, 16, 1
	s_delay_alu instid0(VALU_DEP_1)
	v_add3_u32 v4, v68, v4, 0x7fff
; %bb.92:
	s_and_not1_saveexec_b32 s2, s2
; %bb.93:
	v_and_b32_e32 v4, 0xffff, v68
	v_or_b32_e32 v5, 0x10000, v68
	s_delay_alu instid0(VALU_DEP_2) | instskip(NEXT) | instid1(VALU_DEP_2)
	v_cmp_eq_u32_e32 vcc_lo, 0, v4
	v_cndmask_b32_e32 v4, v5, v68, vcc_lo
; %bb.94:
	s_or_b32 exec_lo, exec_lo, s2
	v_and_b32_e32 v5, 0x7f800000, v69
	s_delay_alu instid0(VALU_DEP_1) | instskip(SKIP_1) | instid1(SALU_CYCLE_1)
	v_cmp_ne_u32_e32 vcc_lo, 0x7f800000, v5
                                        ; implicit-def: $vgpr5
	s_and_saveexec_b32 s2, vcc_lo
	s_xor_b32 s2, exec_lo, s2
; %bb.95:
	v_bfe_u32 v5, v69, 16, 1
	s_delay_alu instid0(VALU_DEP_1)
	v_add3_u32 v5, v69, v5, 0x7fff
; %bb.96:
	s_and_not1_saveexec_b32 s2, s2
; %bb.97:
	v_and_b32_e32 v5, 0xffff, v69
	v_or_b32_e32 v6, 0x10000, v69
	s_delay_alu instid0(VALU_DEP_2) | instskip(NEXT) | instid1(VALU_DEP_2)
	v_cmp_eq_u32_e32 vcc_lo, 0, v5
	v_cndmask_b32_e32 v5, v6, v69, vcc_lo
; %bb.98:
	s_or_b32 exec_lo, exec_lo, s2
	v_and_b32_e32 v6, 0x7f800000, v70
	s_delay_alu instid0(VALU_DEP_1) | instskip(SKIP_1) | instid1(SALU_CYCLE_1)
	v_cmp_ne_u32_e32 vcc_lo, 0x7f800000, v6
                                        ; implicit-def: $vgpr6
	s_and_saveexec_b32 s2, vcc_lo
	s_xor_b32 s2, exec_lo, s2
; %bb.99:
	v_bfe_u32 v6, v70, 16, 1
	s_delay_alu instid0(VALU_DEP_1)
	v_add3_u32 v6, v70, v6, 0x7fff
; %bb.100:
	s_and_not1_saveexec_b32 s2, s2
; %bb.101:
	v_and_b32_e32 v6, 0xffff, v70
	v_or_b32_e32 v7, 0x10000, v70
	s_delay_alu instid0(VALU_DEP_2) | instskip(NEXT) | instid1(VALU_DEP_2)
	v_cmp_eq_u32_e32 vcc_lo, 0, v6
	v_cndmask_b32_e32 v6, v7, v70, vcc_lo
; %bb.102:
	s_or_b32 exec_lo, exec_lo, s2
	v_and_b32_e32 v7, 0x7f800000, v71
	s_delay_alu instid0(VALU_DEP_1) | instskip(SKIP_1) | instid1(SALU_CYCLE_1)
	v_cmp_ne_u32_e32 vcc_lo, 0x7f800000, v7
                                        ; implicit-def: $vgpr7
	s_and_saveexec_b32 s2, vcc_lo
	s_xor_b32 s2, exec_lo, s2
; %bb.103:
	v_bfe_u32 v7, v71, 16, 1
	s_delay_alu instid0(VALU_DEP_1)
	v_add3_u32 v7, v71, v7, 0x7fff
; %bb.104:
	s_and_not1_saveexec_b32 s2, s2
; %bb.105:
	v_and_b32_e32 v7, 0xffff, v71
	v_or_b32_e32 v8, 0x10000, v71
	s_delay_alu instid0(VALU_DEP_2) | instskip(NEXT) | instid1(VALU_DEP_2)
	v_cmp_eq_u32_e32 vcc_lo, 0, v7
	v_cndmask_b32_e32 v7, v8, v71, vcc_lo
; %bb.106:
	s_or_b32 exec_lo, exec_lo, s2
	v_and_b32_e32 v8, 0x7f800000, v72
	s_delay_alu instid0(VALU_DEP_1) | instskip(SKIP_1) | instid1(SALU_CYCLE_1)
	v_cmp_ne_u32_e32 vcc_lo, 0x7f800000, v8
                                        ; implicit-def: $vgpr8
	s_and_saveexec_b32 s2, vcc_lo
	s_xor_b32 s2, exec_lo, s2
; %bb.107:
	v_bfe_u32 v8, v72, 16, 1
	s_delay_alu instid0(VALU_DEP_1)
	v_add3_u32 v8, v72, v8, 0x7fff
                                        ; implicit-def: $vgpr65_vgpr66_vgpr67_vgpr68_vgpr69_vgpr70_vgpr71_vgpr72
; %bb.108:
	s_and_not1_saveexec_b32 s2, s2
; %bb.109:
	v_and_b32_e32 v8, 0xffff, v72
	v_or_b32_e32 v9, 0x10000, v72
	s_delay_alu instid0(VALU_DEP_2) | instskip(NEXT) | instid1(VALU_DEP_2)
	v_cmp_eq_u32_e32 vcc_lo, 0, v8
	v_cndmask_b32_e32 v8, v9, v72, vcc_lo
; %bb.110:
	s_or_b32 exec_lo, exec_lo, s2
	s_delay_alu instid0(VALU_DEP_1)
	v_perm_b32 v7, v8, v7, 0x7060302
	v_perm_b32 v6, v6, v5, 0x7060302
	v_perm_b32 v5, v4, v3, 0x7060302
	v_perm_b32 v4, v2, v1, 0x7060302
	s_barrier
	buffer_gl0_inv
	v_cmp_eq_u32_e32 vcc_lo, 1, v78
	ds_store_b128 v76, v[4:7]
	s_waitcnt lgkmcnt(0)
	s_barrier
	buffer_gl0_inv
	ds_load_b128 v[1:4], v82
	ds_load_b128 v[5:8], v82 offset:16
	v_cmp_eq_u32_e64 s2, 1, v79
	v_cmp_eq_u32_e64 s3, 2, v78
	;; [unrolled: 1-line block ×5, first 2 shown]
	s_waitcnt lgkmcnt(1)
	v_lshrrev_b32_e32 v9, 16, v1
	s_waitcnt lgkmcnt(0)
	v_lshrrev_b32_e32 v13, 16, v5
	v_lshrrev_b32_e32 v10, 16, v2
	;; [unrolled: 1-line block ×4, first 2 shown]
	v_cndmask_b32_e64 v19, v1, v9, s2
	v_cndmask_b32_e32 v18, v5, v13, vcc_lo
	v_cndmask_b32_e64 v20, v5, v13, s2
	v_cndmask_b32_e32 v17, v1, v9, vcc_lo
	v_cmp_eq_u32_e32 vcc_lo, 2, v79
	v_lshrrev_b32_e32 v15, 16, v7
	v_cmp_eq_u32_e64 s2, 1, v77
	v_lshrrev_b32_e32 v12, 16, v4
	v_lshrrev_b32_e32 v16, 16, v8
	v_cndmask_b32_e32 v20, v20, v6, vcc_lo
	v_cndmask_b32_e64 v17, v17, v2, s3
	v_cndmask_b32_e32 v19, v19, v2, vcc_lo
	v_cndmask_b32_e64 v18, v18, v6, s3
	v_cmp_eq_u32_e32 vcc_lo, 4, v78
	v_cmp_eq_u32_e64 s3, 3, v79
	v_cndmask_b32_e64 v17, v17, v10, s4
	v_cndmask_b32_e64 v21, v1, v9, s2
	;; [unrolled: 1-line block ×5, first 2 shown]
	v_cndmask_b32_e32 v17, v17, v3, vcc_lo
	v_cndmask_b32_e64 v20, v20, v14, s3
	v_cndmask_b32_e32 v18, v18, v7, vcc_lo
	v_cmp_eq_u32_e32 vcc_lo, 4, v79
	v_cmp_eq_u32_e64 s3, 5, v79
	v_cmp_eq_u32_e64 s2, 2, v81
	v_cndmask_b32_e64 v21, v21, v2, s6
	v_cmp_eq_u32_e64 s4, 5, v78
	v_cndmask_b32_e32 v19, v19, v3, vcc_lo
	v_cndmask_b32_e32 v20, v20, v7, vcc_lo
	v_cmp_eq_u32_e32 vcc_lo, 6, v79
	s_delay_alu instid0(VALU_DEP_4) | instskip(NEXT) | instid1(VALU_DEP_4)
	v_cndmask_b32_e64 v17, v17, v11, s4
	v_cndmask_b32_e64 v19, v19, v11, s3
	s_delay_alu instid0(VALU_DEP_4) | instskip(SKIP_1) | instid1(VALU_DEP_3)
	v_cndmask_b32_e64 v20, v20, v15, s3
	v_cmp_eq_u32_e64 s3, 1, v81
	v_cndmask_b32_e32 v19, v19, v4, vcc_lo
	v_cndmask_b32_e64 v18, v18, v15, s4
	s_delay_alu instid0(VALU_DEP_3)
	v_cndmask_b32_e64 v1, v1, v9, s3
	v_cndmask_b32_e64 v5, v5, v13, s3
	v_cmp_eq_u32_e64 s3, 3, v77
	v_cndmask_b32_e64 v13, v22, v6, s6
	v_cmp_eq_u32_e64 s6, 3, v81
	v_cndmask_b32_e64 v1, v1, v2, s2
	v_cndmask_b32_e64 v2, v5, v6, s2
	;; [unrolled: 1-line block ×3, first 2 shown]
	v_cmp_eq_u32_e64 s2, 4, v77
	v_cndmask_b32_e64 v6, v13, v14, s3
	v_cndmask_b32_e64 v1, v1, v10, s6
	v_cmp_eq_u32_e64 s3, 4, v81
	v_cndmask_b32_e64 v2, v2, v14, s6
	v_cndmask_b32_e64 v5, v9, v3, s2
	;; [unrolled: 3-line block ×3, first 2 shown]
	v_cndmask_b32_e64 v2, v2, v7, s3
	v_cmp_eq_u32_e64 s2, 5, v81
	v_cmp_eq_u32_e64 s4, 6, v78
	v_cndmask_b32_e64 v5, v5, v11, s6
	v_cmp_eq_u32_e64 s3, 6, v77
	v_cndmask_b32_e64 v3, v6, v15, s6
	v_cndmask_b32_e64 v1, v1, v11, s2
	v_cmp_eq_u32_e64 s6, 6, v81
	v_cndmask_b32_e64 v2, v2, v15, s2
	v_cndmask_b32_e64 v17, v17, v4, s4
	v_cndmask_b32_e64 v18, v18, v8, s4
	v_cmp_eq_u32_e64 s4, 7, v78
	v_cndmask_b32_e64 v5, v5, v4, s3
	;; [unrolled: 4-line block ×3, first 2 shown]
	v_cmp_eq_u32_e64 s3, 7, v77
	v_cndmask_b32_e32 v4, v20, v8, vcc_lo
	v_cndmask_b32_e64 v17, v17, v12, s4
	v_cndmask_b32_e64 v19, v19, v12, s5
	;; [unrolled: 1-line block ×8, first 2 shown]
	s_mov_b32 s2, exec_lo
	v_perm_b32 v4, v2, v1, 0x5040100
	v_perm_b32 v3, v3, v5, 0x5040100
	;; [unrolled: 1-line block ×4, first 2 shown]
	ds_store_b128 v76, v[1:4]
	s_waitcnt lgkmcnt(0)
	s_barrier
	buffer_gl0_inv
	v_cmpx_gt_u32_e32 32, v0
	s_cbranch_execz .LBB1639_2
; %bb.111:
	s_load_b64 s[0:1], s[0:1], 0x68
	v_lshlrev_b32_e32 v0, 10, v0
	s_lshl_b32 s4, s34, 7
	v_or_b32_e32 v3, s29, v74
	s_mul_i32 s2, s4, s30
	v_lshlrev_b32_e32 v1, 4, v75
	v_lshlrev_b32_e32 v2, 6, v74
	v_and_b32_e32 v0, 0x3800, v0
	s_mul_i32 s2, s2, s7
	v_mul_lo_u32 v8, v3, s4
	s_ashr_i32 s3, s2, 31
	s_delay_alu instid0(SALU_CYCLE_1)
	s_lshl_b64 s[2:3], s[2:3], 1
	v_or3_b32 v16, v0, v1, v2
	ds_load_b128 v[0:3], v16
	ds_load_b128 v[4:7], v16 offset:128
	v_ashrrev_i32_e32 v9, 31, v8
	s_waitcnt lgkmcnt(0)
	s_add_u32 s2, s0, s2
	s_addc_u32 s3, s1, s3
	s_lshl_b32 s0, s14, 7
	s_delay_alu instid0(SALU_CYCLE_1) | instskip(SKIP_2) | instid1(SALU_CYCLE_1)
	s_ashr_i32 s1, s0, 31
	v_lshlrev_b64 v[9:10], 1, v[8:9]
	s_lshl_b64 s[0:1], s[0:1], 1
	s_add_u32 s0, s2, s0
	s_addc_u32 s1, s3, s1
	s_lshl_b32 s2, s34, 8
	v_add_co_u32 v30, s0, s0, v73
	v_add_nc_u32_e32 v11, s2, v8
	v_add_co_ci_u32_e64 v31, null, s1, 0, s0
	s_delay_alu instid0(VALU_DEP_3) | instskip(NEXT) | instid1(VALU_DEP_3)
	v_add_co_u32 v9, vcc_lo, v30, v9
	v_add_nc_u32_e32 v8, s2, v11
	s_delay_alu instid0(VALU_DEP_3) | instskip(SKIP_1) | instid1(VALU_DEP_3)
	v_add_co_ci_u32_e32 v10, vcc_lo, v31, v10, vcc_lo
	v_ashrrev_i32_e32 v12, 31, v11
	v_add_nc_u32_e32 v13, s2, v8
	global_store_b128 v[9:10], v[0:3], off
	v_ashrrev_i32_e32 v9, 31, v8
	v_lshlrev_b64 v[11:12], 1, v[11:12]
	v_ashrrev_i32_e32 v14, 31, v13
	v_add_nc_u32_e32 v10, s2, v13
	s_delay_alu instid0(VALU_DEP_4) | instskip(NEXT) | instid1(VALU_DEP_4)
	v_lshlrev_b64 v[2:3], 1, v[8:9]
	v_add_co_u32 v0, vcc_lo, v30, v11
	s_delay_alu instid0(VALU_DEP_4)
	v_lshlrev_b64 v[8:9], 1, v[13:14]
	v_add_co_ci_u32_e32 v1, vcc_lo, v31, v12, vcc_lo
	v_ashrrev_i32_e32 v11, 31, v10
	v_add_co_u32 v22, vcc_lo, v30, v2
	v_add_nc_u32_e32 v20, s2, v10
	v_add_co_ci_u32_e32 v23, vcc_lo, v31, v3, vcc_lo
	v_add_co_u32 v24, vcc_lo, v30, v8
	global_store_b128 v[0:1], v[4:7], off
	v_add_co_ci_u32_e32 v25, vcc_lo, v31, v9, vcc_lo
	ds_load_b128 v[0:3], v16 offset:256
	ds_load_b128 v[4:7], v16 offset:384
	v_lshlrev_b64 v[26:27], 1, v[10:11]
	ds_load_b128 v[8:11], v16 offset:512
	ds_load_b128 v[12:15], v16 offset:640
	;; [unrolled: 1-line block ×3, first 2 shown]
	v_add_nc_u32_e32 v28, s2, v20
	v_ashrrev_i32_e32 v21, 31, v20
	v_add_co_u32 v26, vcc_lo, v30, v26
	s_delay_alu instid0(VALU_DEP_3) | instskip(NEXT) | instid1(VALU_DEP_3)
	v_ashrrev_i32_e32 v29, 31, v28
	v_lshlrev_b64 v[20:21], 1, v[20:21]
	v_add_co_ci_u32_e32 v27, vcc_lo, v31, v27, vcc_lo
	s_delay_alu instid0(VALU_DEP_3) | instskip(NEXT) | instid1(VALU_DEP_3)
	v_lshlrev_b64 v[28:29], 1, v[28:29]
	v_add_co_u32 v20, vcc_lo, v30, v20
	s_delay_alu instid0(VALU_DEP_4) | instskip(NEXT) | instid1(VALU_DEP_3)
	v_add_co_ci_u32_e32 v21, vcc_lo, v31, v21, vcc_lo
	v_add_co_u32 v28, vcc_lo, v30, v28
	s_delay_alu instid0(VALU_DEP_4)
	v_add_co_ci_u32_e32 v29, vcc_lo, v31, v29, vcc_lo
	s_waitcnt lgkmcnt(4)
	global_store_b128 v[22:23], v[0:3], off
	s_waitcnt lgkmcnt(3)
	global_store_b128 v[24:25], v[4:7], off
	;; [unrolled: 2-line block ×5, first 2 shown]
	s_nop 0
	s_sendmsg sendmsg(MSG_DEALLOC_VGPRS)
	s_endpgm
	.section	.rodata,"a",@progbits
	.p2align	6, 0x0
	.amdhsa_kernel _Z39paged_attention_ll4mi_QKV_mfma16_kernelI14__hip_bfloat16hLN4vllm18Fp8KVCacheDataTypeE1ES0_Li32ELi128ELi256ELb1ELi14EL8MFMAType1EEvPKT_PKT0_S9_ifPKiSB_SB_iPKfiiiPfSE_PS4_PT2_iSD_SD_
		.amdhsa_group_segment_fixed_size 17472
		.amdhsa_private_segment_fixed_size 0
		.amdhsa_kernarg_size 400
		.amdhsa_user_sgpr_count 13
		.amdhsa_user_sgpr_dispatch_ptr 0
		.amdhsa_user_sgpr_queue_ptr 0
		.amdhsa_user_sgpr_kernarg_segment_ptr 1
		.amdhsa_user_sgpr_dispatch_id 0
		.amdhsa_user_sgpr_private_segment_size 0
		.amdhsa_wavefront_size32 1
		.amdhsa_uses_dynamic_stack 0
		.amdhsa_enable_private_segment 0
		.amdhsa_system_sgpr_workgroup_id_x 1
		.amdhsa_system_sgpr_workgroup_id_y 1
		.amdhsa_system_sgpr_workgroup_id_z 1
		.amdhsa_system_sgpr_workgroup_info 0
		.amdhsa_system_vgpr_workitem_id 0
		.amdhsa_next_free_vgpr 140
		.amdhsa_next_free_sgpr 36
		.amdhsa_reserve_vcc 1
		.amdhsa_float_round_mode_32 0
		.amdhsa_float_round_mode_16_64 0
		.amdhsa_float_denorm_mode_32 3
		.amdhsa_float_denorm_mode_16_64 3
		.amdhsa_dx10_clamp 1
		.amdhsa_ieee_mode 1
		.amdhsa_fp16_overflow 0
		.amdhsa_workgroup_processor_mode 1
		.amdhsa_memory_ordered 1
		.amdhsa_forward_progress 0
		.amdhsa_shared_vgpr_count 0
		.amdhsa_exception_fp_ieee_invalid_op 0
		.amdhsa_exception_fp_denorm_src 0
		.amdhsa_exception_fp_ieee_div_zero 0
		.amdhsa_exception_fp_ieee_overflow 0
		.amdhsa_exception_fp_ieee_underflow 0
		.amdhsa_exception_fp_ieee_inexact 0
		.amdhsa_exception_int_div_zero 0
	.end_amdhsa_kernel
	.section	.text._Z39paged_attention_ll4mi_QKV_mfma16_kernelI14__hip_bfloat16hLN4vllm18Fp8KVCacheDataTypeE1ES0_Li32ELi128ELi256ELb1ELi14EL8MFMAType1EEvPKT_PKT0_S9_ifPKiSB_SB_iPKfiiiPfSE_PS4_PT2_iSD_SD_,"axG",@progbits,_Z39paged_attention_ll4mi_QKV_mfma16_kernelI14__hip_bfloat16hLN4vllm18Fp8KVCacheDataTypeE1ES0_Li32ELi128ELi256ELb1ELi14EL8MFMAType1EEvPKT_PKT0_S9_ifPKiSB_SB_iPKfiiiPfSE_PS4_PT2_iSD_SD_,comdat
.Lfunc_end1639:
	.size	_Z39paged_attention_ll4mi_QKV_mfma16_kernelI14__hip_bfloat16hLN4vllm18Fp8KVCacheDataTypeE1ES0_Li32ELi128ELi256ELb1ELi14EL8MFMAType1EEvPKT_PKT0_S9_ifPKiSB_SB_iPKfiiiPfSE_PS4_PT2_iSD_SD_, .Lfunc_end1639-_Z39paged_attention_ll4mi_QKV_mfma16_kernelI14__hip_bfloat16hLN4vllm18Fp8KVCacheDataTypeE1ES0_Li32ELi128ELi256ELb1ELi14EL8MFMAType1EEvPKT_PKT0_S9_ifPKiSB_SB_iPKfiiiPfSE_PS4_PT2_iSD_SD_
                                        ; -- End function
	.section	.AMDGPU.csdata,"",@progbits
; Kernel info:
; codeLenInByte = 9052
; NumSgprs: 38
; NumVgprs: 140
; ScratchSize: 0
; MemoryBound: 0
; FloatMode: 240
; IeeeMode: 1
; LDSByteSize: 17472 bytes/workgroup (compile time only)
; SGPRBlocks: 4
; VGPRBlocks: 17
; NumSGPRsForWavesPerEU: 38
; NumVGPRsForWavesPerEU: 140
; Occupancy: 10
; WaveLimiterHint : 1
; COMPUTE_PGM_RSRC2:SCRATCH_EN: 0
; COMPUTE_PGM_RSRC2:USER_SGPR: 13
; COMPUTE_PGM_RSRC2:TRAP_HANDLER: 0
; COMPUTE_PGM_RSRC2:TGID_X_EN: 1
; COMPUTE_PGM_RSRC2:TGID_Y_EN: 1
; COMPUTE_PGM_RSRC2:TGID_Z_EN: 1
; COMPUTE_PGM_RSRC2:TIDIG_COMP_CNT: 0
	.section	.text._Z39paged_attention_ll4mi_QKV_mfma16_kernelI14__hip_bfloat16hLN4vllm18Fp8KVCacheDataTypeE1ES0_Li32ELi128ELi256ELb1ELi15EL8MFMAType1EEvPKT_PKT0_S9_ifPKiSB_SB_iPKfiiiPfSE_PS4_PT2_iSD_SD_,"axG",@progbits,_Z39paged_attention_ll4mi_QKV_mfma16_kernelI14__hip_bfloat16hLN4vllm18Fp8KVCacheDataTypeE1ES0_Li32ELi128ELi256ELb1ELi15EL8MFMAType1EEvPKT_PKT0_S9_ifPKiSB_SB_iPKfiiiPfSE_PS4_PT2_iSD_SD_,comdat
	.protected	_Z39paged_attention_ll4mi_QKV_mfma16_kernelI14__hip_bfloat16hLN4vllm18Fp8KVCacheDataTypeE1ES0_Li32ELi128ELi256ELb1ELi15EL8MFMAType1EEvPKT_PKT0_S9_ifPKiSB_SB_iPKfiiiPfSE_PS4_PT2_iSD_SD_ ; -- Begin function _Z39paged_attention_ll4mi_QKV_mfma16_kernelI14__hip_bfloat16hLN4vllm18Fp8KVCacheDataTypeE1ES0_Li32ELi128ELi256ELb1ELi15EL8MFMAType1EEvPKT_PKT0_S9_ifPKiSB_SB_iPKfiiiPfSE_PS4_PT2_iSD_SD_
	.globl	_Z39paged_attention_ll4mi_QKV_mfma16_kernelI14__hip_bfloat16hLN4vllm18Fp8KVCacheDataTypeE1ES0_Li32ELi128ELi256ELb1ELi15EL8MFMAType1EEvPKT_PKT0_S9_ifPKiSB_SB_iPKfiiiPfSE_PS4_PT2_iSD_SD_
	.p2align	8
	.type	_Z39paged_attention_ll4mi_QKV_mfma16_kernelI14__hip_bfloat16hLN4vllm18Fp8KVCacheDataTypeE1ES0_Li32ELi128ELi256ELb1ELi15EL8MFMAType1EEvPKT_PKT0_S9_ifPKiSB_SB_iPKfiiiPfSE_PS4_PT2_iSD_SD_,@function
_Z39paged_attention_ll4mi_QKV_mfma16_kernelI14__hip_bfloat16hLN4vllm18Fp8KVCacheDataTypeE1ES0_Li32ELi128ELi256ELb1ELi15EL8MFMAType1EEvPKT_PKT0_S9_ifPKiSB_SB_iPKfiiiPfSE_PS4_PT2_iSD_SD_: ; @_Z39paged_attention_ll4mi_QKV_mfma16_kernelI14__hip_bfloat16hLN4vllm18Fp8KVCacheDataTypeE1ES0_Li32ELi128ELi256ELb1ELi15EL8MFMAType1EEvPKT_PKT0_S9_ifPKiSB_SB_iPKfiiiPfSE_PS4_PT2_iSD_SD_
; %bb.0:
	s_load_b64 s[4:5], s[0:1], 0x30
	s_mov_b32 s30, s13
	s_waitcnt lgkmcnt(0)
	s_cmp_lg_u64 s[4:5], 0
	s_cselect_b32 s13, -1, 0
	s_ashr_i32 s31, s30, 31
	s_cmp_eq_u64 s[4:5], 0
	s_cbranch_scc1 .LBB1640_3
; %bb.1:
	s_lshl_b64 s[2:3], s[30:31], 2
	s_delay_alu instid0(SALU_CYCLE_1) | instskip(SKIP_4) | instid1(SALU_CYCLE_1)
	s_add_u32 s2, s4, s2
	s_addc_u32 s3, s5, s3
	s_load_b64 s[2:3], s[2:3], 0x0
	s_waitcnt lgkmcnt(0)
	s_sub_i32 s2, s3, s2
	s_cmp_eq_u32 s2, 1
	s_cselect_b32 s2, -1, 0
	s_delay_alu instid0(SALU_CYCLE_1)
	s_and_not1_b32 vcc_lo, exec_lo, s2
	s_cbranch_vccz .LBB1640_4
.LBB1640_2:
	s_nop 0
	s_sendmsg sendmsg(MSG_DEALLOC_VGPRS)
	s_endpgm
.LBB1640_3:
.LBB1640_4:
	s_load_b64 s[2:3], s[0:1], 0x28
	s_lshl_b64 s[6:7], s[30:31], 2
	s_waitcnt lgkmcnt(0)
	s_add_u32 s2, s2, s6
	s_addc_u32 s3, s3, s7
	s_lshl_b32 s12, s14, 8
	s_load_b32 s17, s[2:3], 0x0
	s_waitcnt lgkmcnt(0)
	s_cmp_ge_i32 s12, s17
	s_cbranch_scc1 .LBB1640_2
; %bb.5:
	s_clause 0x1
	s_load_b128 s[8:11], s[0:1], 0x8
	s_load_b64 s[2:3], s[0:1], 0x20
	s_and_not1_b32 vcc_lo, exec_lo, s13
	s_cbranch_vccnz .LBB1640_7
; %bb.6:
	s_add_u32 s4, s4, s6
	s_addc_u32 s5, s5, s7
	s_load_b32 s13, s[4:5], 0x0
	s_branch .LBB1640_8
.LBB1640_7:
	s_mov_b32 s13, s30
.LBB1640_8:
	s_load_b128 s[4:7], s[0:1], 0x48
	v_and_b32_e32 v65, 15, v0
	v_lshrrev_b32_e32 v66, 5, v0
	v_bfe_u32 v74, v0, 4, 1
	v_and_b32_e32 v67, 31, v0
	v_and_b32_e32 v75, 1, v0
	v_lshlrev_b32_e32 v2, 3, v65
	s_mul_i32 s31, s15, 15
	v_lshl_or_b32 v1, v66, 1, v74
	s_waitcnt lgkmcnt(0)
	s_mov_b32 s7, exec_lo
	v_lshlrev_b32_e32 v73, 1, v2
	s_delay_alu instid0(VALU_DEP_2)
	v_cmpx_gt_u32_e32 15, v1
	s_cbranch_execz .LBB1640_10
; %bb.9:
	s_load_b64 s[18:19], s[0:1], 0x0
	v_add_lshl_u32 v2, v1, s31, 7
	s_mul_hi_i32 s21, s13, s4
	s_mul_i32 s20, s13, s4
	v_lshlrev_b32_e32 v6, 10, v65
	s_lshl_b64 s[20:21], s[20:21], 1
	v_ashrrev_i32_e32 v3, 31, v2
	v_lshlrev_b32_e32 v1, 6, v1
	v_lshlrev_b32_e32 v7, 10, v75
	v_and_b32_e32 v6, 0x3800, v6
	s_delay_alu instid0(VALU_DEP_4) | instskip(NEXT) | instid1(VALU_DEP_2)
	v_lshlrev_b64 v[2:3], 1, v[2:3]
	v_or3_b32 v1, v6, v7, v1
	s_waitcnt lgkmcnt(0)
	s_add_u32 s4, s18, s20
	s_addc_u32 s13, s19, s21
	s_delay_alu instid0(VALU_DEP_2) | instskip(SKIP_1) | instid1(VALU_DEP_2)
	v_add_co_u32 v2, vcc_lo, s4, v2
	v_add_co_ci_u32_e32 v3, vcc_lo, s13, v3, vcc_lo
	v_add_co_u32 v2, vcc_lo, v2, v73
	s_delay_alu instid0(VALU_DEP_2)
	v_add_co_ci_u32_e32 v3, vcc_lo, 0, v3, vcc_lo
	global_load_b128 v[2:5], v[2:3], off
	s_waitcnt vmcnt(0)
	ds_store_b128 v1, v[2:5]
.LBB1640_10:
	s_or_b32 exec_lo, exec_lo, s7
	v_and_b32_e32 v1, 0xef, v0
	s_add_i32 s4, s17, 31
	s_clause 0x1
	s_load_b32 s7, s[0:1], 0x38
	s_load_b32 s18, s[0:1], 0x1c
	s_ashr_i32 s13, s4, 31
	v_add_nc_u32_e32 v1, s12, v1
	s_lshr_b32 s13, s13, 27
	s_waitcnt lgkmcnt(0)
	s_add_i32 s4, s4, s13
	s_barrier
	v_ashrrev_i32_e32 v2, 31, v1
	v_or_b32_e32 v3, 16, v1
	s_ashr_i32 s4, s4, 5
	v_cmp_gt_i32_e32 vcc_lo, s17, v1
	s_add_i32 s4, s4, -1
	v_lshrrev_b32_e32 v2, 27, v2
	buffer_gl0_inv
	s_mul_i32 s15, s15, s6
	v_add_nc_u32_e32 v4, v1, v2
	s_mul_i32 s20, s30, s7
	s_delay_alu instid0(SALU_CYCLE_1) | instskip(NEXT) | instid1(VALU_DEP_1)
	s_ashr_i32 s21, s20, 31
	v_ashrrev_i32_e32 v4, 5, v4
	v_add_nc_u32_e32 v2, v3, v2
	s_lshl_b64 s[20:21], s[20:21], 2
	s_delay_alu instid0(SALU_CYCLE_1) | instskip(NEXT) | instid1(VALU_DEP_2)
	s_add_u32 s13, s2, s20
	v_cndmask_b32_e32 v1, s4, v4, vcc_lo
	s_delay_alu instid0(VALU_DEP_2)
	v_ashrrev_i32_e32 v2, 5, v2
	v_cmp_gt_i32_e32 vcc_lo, s17, v3
	s_addc_u32 s16, s3, s21
	s_ashr_i32 s19, s15, 31
	s_add_u32 s2, s8, s15
	s_addc_u32 s3, s9, s19
	v_cndmask_b32_e32 v3, s4, v2, vcc_lo
	v_ashrrev_i32_e32 v2, 31, v1
	s_lshl_b32 s6, s14, 3
	s_delay_alu instid0(SALU_CYCLE_1) | instskip(NEXT) | instid1(VALU_DEP_2)
	s_ashr_i32 s7, s6, 31
	v_ashrrev_i32_e32 v4, 31, v3
	s_delay_alu instid0(VALU_DEP_2) | instskip(SKIP_1) | instid1(SALU_CYCLE_1)
	v_lshlrev_b64 v[1:2], 2, v[1:2]
	s_lshl_b64 s[6:7], s[6:7], 2
	s_add_u32 s6, s13, s6
	s_delay_alu instid0(VALU_DEP_2) | instskip(SKIP_1) | instid1(VALU_DEP_2)
	v_lshlrev_b64 v[3:4], 2, v[3:4]
	s_addc_u32 s7, s16, s7
	v_add_co_u32 v1, vcc_lo, s13, v1
	v_add_co_ci_u32_e32 v2, vcc_lo, s16, v2, vcc_lo
	s_delay_alu instid0(VALU_DEP_3) | instskip(NEXT) | instid1(VALU_DEP_4)
	v_add_co_u32 v3, vcc_lo, s13, v3
	v_add_co_ci_u32_e32 v4, vcc_lo, s16, v4, vcc_lo
	s_clause 0x1
	global_load_b32 v5, v[1:2], off
	global_load_b32 v6, v[3:4], off
	s_or_b32 s8, s12, 32
	s_delay_alu instid0(SALU_CYCLE_1) | instskip(SKIP_2) | instid1(SALU_CYCLE_1)
	s_ashr_i32 s9, s8, 5
	s_cmp_lt_i32 s8, s17
	s_cselect_b32 s8, s9, s4
	s_ashr_i32 s9, s8, 31
	s_delay_alu instid0(SALU_CYCLE_1) | instskip(NEXT) | instid1(SALU_CYCLE_1)
	s_lshl_b64 s[8:9], s[8:9], 2
	s_add_u32 s8, s13, s8
	s_addc_u32 s9, s16, s9
	s_or_b32 s20, s12, 64
	s_delay_alu instid0(SALU_CYCLE_1) | instskip(SKIP_2) | instid1(SALU_CYCLE_1)
	s_ashr_i32 s21, s20, 5
	s_cmp_lt_i32 s20, s17
	s_cselect_b32 s20, s21, s4
	s_ashr_i32 s21, s20, 31
	s_delay_alu instid0(SALU_CYCLE_1) | instskip(NEXT) | instid1(SALU_CYCLE_1)
	s_lshl_b64 s[20:21], s[20:21], 2
	s_add_u32 s20, s13, s20
	s_addc_u32 s21, s16, s21
	;; [unrolled: 10-line block ×5, first 2 shown]
	s_clause 0x5
	s_load_b32 s28, s[6:7], 0x0
	s_load_b32 s8, s[8:9], 0x0
	;; [unrolled: 1-line block ×6, first 2 shown]
	s_mov_b32 s20, 0
	s_delay_alu instid0(SALU_CYCLE_1)
	s_mov_b32 s21, s20
	s_mov_b32 s22, s20
	;; [unrolled: 1-line block ×7, first 2 shown]
	s_delay_alu instid0(SALU_CYCLE_1)
	v_dual_mov_b32 v107, s27 :: v_dual_mov_b32 v100, s20
	v_mov_b32_e32 v106, s26
	v_dual_mov_b32 v104, s24 :: v_dual_mov_b32 v103, s23
	v_dual_mov_b32 v101, s21 :: v_dual_mov_b32 v102, s22
	s_waitcnt vmcnt(1)
	v_mad_i64_i32 v[1:2], null, v5, s5, s[2:3]
	v_lshlrev_b32_e32 v5, 4, v65
	s_waitcnt vmcnt(0)
	v_mad_i64_i32 v[3:4], null, v6, s5, s[2:3]
	s_or_b32 s2, s12, 0xc0
	s_delay_alu instid0(SALU_CYCLE_1) | instskip(NEXT) | instid1(VALU_DEP_3)
	s_ashr_i32 s3, s2, 5
	v_add_co_u32 v33, vcc_lo, v1, v5
	s_delay_alu instid0(VALU_DEP_4) | instskip(NEXT) | instid1(VALU_DEP_3)
	v_add_co_ci_u32_e32 v34, vcc_lo, 0, v2, vcc_lo
	v_add_co_u32 v35, vcc_lo, v3, v5
	s_delay_alu instid0(VALU_DEP_4)
	v_add_co_ci_u32_e32 v36, vcc_lo, 0, v4, vcc_lo
	s_clause 0xf
	global_load_b128 v[1:4], v[33:34], off
	global_load_b128 v[5:8], v[33:34], off offset:512
	global_load_b128 v[9:12], v[35:36], off offset:256
	;; [unrolled: 1-line block ×15, first 2 shown]
	s_cmp_lt_i32 s2, s17
	v_cmp_ne_u32_e32 vcc_lo, 15, v65
	s_cselect_b32 s2, s3, s4
	v_lshlrev_b32_e32 v34, 5, v65
	s_ashr_i32 s3, s2, 31
	s_delay_alu instid0(SALU_CYCLE_1) | instskip(SKIP_4) | instid1(VALU_DEP_1)
	s_lshl_b64 s[2:3], s[2:3], 2
	v_cndmask_b32_e32 v33, 0, v65, vcc_lo
	s_add_u32 s2, s13, s2
	s_addc_u32 s3, s16, s3
	s_or_b32 s6, s12, 0xe0
	v_dual_mov_b32 v105, s25 :: v_dual_lshlrev_b32 v72, 6, v33
	s_ashr_i32 s7, s6, 5
	s_cmp_lt_i32 s6, s17
	v_lshl_or_b32 v41, v66, 9, v34
	s_cselect_b32 s6, s7, s4
	ds_load_b128 v[33:36], v72
	ds_load_b128 v[37:40], v72 offset:1024
	s_ashr_i32 s7, s6, 31
	ds_load_b128 v[108:111], v72 offset:2048
	ds_load_b128 v[112:115], v72 offset:3072
	s_lshl_b64 s[6:7], s[6:7], 2
	s_load_b32 s4, s[2:3], 0x0
	s_add_u32 s2, s13, s6
	s_addc_u32 s3, s16, s7
	ds_load_b128 v[116:119], v72 offset:4096
	ds_load_b128 v[120:123], v72 offset:5120
	s_load_b32 s2, s[2:3], 0x0
	s_add_u32 s6, s10, s15
	s_addc_u32 s7, s11, s19
	v_add_co_u32 v68, s6, s6, v41
	s_delay_alu instid0(VALU_DEP_1) | instskip(SKIP_1) | instid1(VALU_DEP_1)
	v_add_co_ci_u32_e64 v69, null, s7, 0, s6
	s_waitcnt lgkmcnt(0)
	v_mad_i64_i32 v[41:42], null, s28, s5, v[68:69]
	v_mad_i64_i32 v[70:71], null, s9, s5, v[68:69]
	;; [unrolled: 1-line block ×7, first 2 shown]
	s_clause 0x3
	global_load_b128 v[49:52], v[41:42], off
	global_load_b128 v[53:56], v[41:42], off offset:16
	global_load_b128 v[41:44], v[45:46], off
	global_load_b128 v[45:48], v[45:46], off offset:16
	s_waitcnt vmcnt(18)
	v_wmma_f32_16x16x16_bf16 v[124:131], v[1:8], v[33:40], v[100:107]
	s_waitcnt vmcnt(16)
	v_wmma_f32_16x16x16_bf16 v[100:107], v[9:16], v[33:40], v[100:107]
	s_clause 0x1
	global_load_b128 v[33:36], v[70:71], off
	global_load_b128 v[37:40], v[70:71], off offset:16
	v_mad_i64_i32 v[70:71], null, s2, s5, v[68:69]
	s_waitcnt vmcnt(16)
	v_wmma_f32_16x16x16_bf16 v[124:131], v[17:24], v[108:115], v[124:131]
	s_waitcnt vmcnt(14)
	v_wmma_f32_16x16x16_bf16 v[100:107], v[25:32], v[108:115], v[100:107]
	s_clause 0x7
	global_load_b128 v[25:28], v[132:133], off
	global_load_b128 v[29:32], v[132:133], off offset:16
	global_load_b128 v[1:4], v[134:135], off
	global_load_b128 v[5:8], v[134:135], off offset:16
	;; [unrolled: 2-line block ×4, first 2 shown]
	s_waitcnt vmcnt(20)
	v_wmma_f32_16x16x16_bf16 v[124:131], v[57:64], v[116:123], v[124:131]
	s_clause 0x1
	global_load_b128 v[57:60], v[70:71], off
	global_load_b128 v[61:64], v[70:71], off offset:16
	s_waitcnt vmcnt(20)
	v_wmma_f32_16x16x16_bf16 v[100:107], v[76:83], v[116:123], v[100:107]
	ds_load_b128 v[76:79], v72 offset:6144
	ds_load_b128 v[80:83], v72 offset:7168
	v_and_b32_e32 v68, 0xe0, v0
	v_mbcnt_lo_u32_b32 v69, -1, 0
	s_waitcnt vmcnt(0) lgkmcnt(0)
	s_barrier
	buffer_gl0_inv
	v_add_nc_u32_e32 v68, s12, v68
	v_xor_b32_e32 v70, 16, v69
	s_delay_alu instid0(VALU_DEP_2) | instskip(NEXT) | instid1(VALU_DEP_2)
	v_or_b32_e32 v68, v68, v74
	v_cmp_gt_i32_e32 vcc_lo, 32, v70
	s_delay_alu instid0(VALU_DEP_2)
	v_or_b32_e32 v71, 4, v68
	v_or_b32_e32 v72, 6, v68
	v_cmp_gt_i32_e64 s2, s17, v68
	v_or_b32_e32 v108, 8, v68
	v_wmma_f32_16x16x16_bf16 v[124:131], v[84:91], v[76:83], v[124:131]
	v_cndmask_b32_e32 v69, v69, v70, vcc_lo
	v_or_b32_e32 v70, 2, v68
	v_wmma_f32_16x16x16_bf16 v[100:107], v[92:99], v[76:83], v[100:107]
	v_or_b32_e32 v109, 10, v68
	v_dual_mul_f32 v78, s18, v131 :: v_dual_mul_f32 v83, s18, v126
	v_dual_mul_f32 v92, s18, v125 :: v_dual_mul_f32 v93, s18, v124
	s_delay_alu instid0(VALU_DEP_4) | instskip(SKIP_2) | instid1(VALU_DEP_4)
	v_mul_f32_e32 v94, s18, v107
	v_cmp_gt_i32_e32 vcc_lo, s17, v70
	v_dual_mul_f32 v81, s18, v128 :: v_dual_mul_f32 v82, s18, v127
	v_cndmask_b32_e64 v93, 0xff7fffff, v93, s2
	v_cmp_gt_i32_e64 s3, s17, v71
	v_cndmask_b32_e32 v92, 0xff7fffff, v92, vcc_lo
	v_cmp_gt_i32_e64 s4, s17, v72
	v_or_b32_e32 v84, 12, v68
	v_or_b32_e32 v85, 14, v68
	v_dual_mul_f32 v79, s18, v130 :: v_dual_mul_f32 v80, s18, v129
	v_cndmask_b32_e64 v71, 0xff7fffff, v83, s3
	v_cndmask_b32_e64 v72, 0xff7fffff, v82, s4
	v_max3_f32 v82, v93, 0xff7fffff, v92
	v_cmp_gt_i32_e64 s5, s17, v108
	v_cmp_gt_i32_e64 s6, s17, v109
	v_or_b32_e32 v86, 16, v68
	v_or_b32_e32 v87, 18, v68
	v_max3_f32 v71, v82, v71, v72
	v_cndmask_b32_e64 v81, 0xff7fffff, v81, s5
	v_cndmask_b32_e64 v80, 0xff7fffff, v80, s6
	v_cmp_gt_i32_e64 s7, s17, v84
	v_cmp_gt_i32_e64 s8, s17, v85
	v_or_b32_e32 v88, 20, v68
	v_or_b32_e32 v89, 22, v68
	;; [unrolled: 1-line block ×6, first 2 shown]
	v_dual_mul_f32 v99, s18, v102 :: v_dual_mul_f32 v70, s18, v101
	v_mul_f32_e32 v68, s18, v100
	v_cndmask_b32_e64 v72, 0xff7fffff, v79, s7
	v_cndmask_b32_e64 v78, 0xff7fffff, v78, s8
	v_max3_f32 v71, v71, v81, v80
	v_cmp_gt_i32_e64 s9, s17, v86
	v_cmp_gt_i32_e64 s10, s17, v87
	v_dual_mul_f32 v97, s18, v104 :: v_dual_mul_f32 v98, s18, v103
	s_delay_alu instid0(VALU_DEP_4) | instskip(SKIP_1) | instid1(VALU_DEP_4)
	v_max3_f32 v71, v71, v72, v78
	v_cmp_gt_i32_e64 s11, s17, v88
	v_cndmask_b32_e64 v70, 0xff7fffff, v70, s10
	v_cmp_gt_i32_e64 s12, s17, v89
	v_lshlrev_b32_e32 v89, 2, v69
	v_cndmask_b32_e64 v68, 0xff7fffff, v68, s9
	v_dual_mul_f32 v95, s18, v106 :: v_dual_mul_f32 v96, s18, v105
	v_cndmask_b32_e64 v72, 0xff7fffff, v99, s11
	v_cndmask_b32_e64 v78, 0xff7fffff, v98, s12
	s_delay_alu instid0(VALU_DEP_4)
	v_max3_f32 v68, v71, v68, v70
	v_cmp_gt_i32_e64 s13, s17, v90
	v_cmp_gt_i32_e64 s15, s17, v91
	v_cmp_gt_i32_e64 s16, s17, v76
	v_cmp_gt_i32_e64 s17, s17, v77
	v_max3_f32 v68, v68, v72, v78
	v_cndmask_b32_e64 v70, 0xff7fffff, v97, s13
	v_cndmask_b32_e64 v71, 0xff7fffff, v96, s15
	v_cndmask_b32_e64 v72, 0xff7fffff, v95, s16
	v_cndmask_b32_e64 v76, 0xff7fffff, v94, s17
	s_delay_alu instid0(VALU_DEP_3) | instskip(NEXT) | instid1(VALU_DEP_1)
	v_max3_f32 v68, v68, v70, v71
	v_max3_f32 v68, v68, v72, v76
	ds_bpermute_b32 v69, v89, v68
	s_waitcnt lgkmcnt(0)
	v_max_f32_e32 v69, v69, v69
	s_delay_alu instid0(VALU_DEP_1) | instskip(NEXT) | instid1(VALU_DEP_1)
	v_max_f32_e32 v68, v68, v69
	v_fma_f32 v71, s18, v126, -v68
	s_delay_alu instid0(VALU_DEP_1)
	v_mul_f32_e32 v71, 0x3fb8aa3b, v71
	v_fma_f32 v69, s18, v124, -v68
	v_fma_f32 v70, s18, v125, -v68
	;; [unrolled: 1-line block ×4, first 2 shown]
	v_exp_f32_e32 v71, v71
	s_delay_alu instid0(VALU_DEP_3) | instskip(SKIP_2) | instid1(VALU_DEP_3)
	v_dual_mul_f32 v69, 0x3fb8aa3b, v69 :: v_dual_mul_f32 v70, 0x3fb8aa3b, v70
	v_fma_f32 v78, s18, v130, -v68
	v_fma_f32 v81, s18, v105, -v68
	v_exp_f32_e32 v69, v69
	s_delay_alu instid0(VALU_DEP_3) | instskip(SKIP_1) | instid1(VALU_DEP_2)
	v_exp_f32_e32 v70, v70
	v_mul_f32_e32 v77, 0x3fb8aa3b, v76
	v_mul_f32_e32 v81, 0x3fb8aa3b, v81
	s_delay_alu instid0(TRANS32_DEP_3) | instskip(SKIP_1) | instid1(VALU_DEP_3)
	v_cndmask_b32_e64 v83, 0, v71, s3
	v_fma_f32 v71, s18, v131, -v68
	v_exp_f32_e32 v81, v81
	s_delay_alu instid0(TRANS32_DEP_3) | instskip(NEXT) | instid1(TRANS32_DEP_2)
	v_cndmask_b32_e64 v80, 0, v69, s2
	v_cndmask_b32_e32 v76, 0, v70, vcc_lo
	v_fma_f32 v69, s18, v129, -v68
	v_mul_f32_e32 v72, 0x3fb8aa3b, v72
	v_exp_f32_e32 v77, v77
	v_dual_add_f32 v70, 0, v80 :: v_dual_mul_f32 v71, 0x3fb8aa3b, v71
	s_delay_alu instid0(VALU_DEP_3) | instskip(NEXT) | instid1(VALU_DEP_3)
	v_mul_f32_e32 v69, 0x3fb8aa3b, v69
	v_exp_f32_e32 v72, v72
	v_cmp_gt_u32_e64 s2, 16, v67
	s_delay_alu instid0(VALU_DEP_3) | instskip(NEXT) | instid1(VALU_DEP_2)
	v_exp_f32_e32 v71, v71
	v_exp_f32_e32 v69, v69
	v_cndmask_b32_e64 v86, 0, v77, s5
	v_fma_f32 v77, s18, v101, -v68
	v_add_f32_e32 v70, v70, v76
	s_delay_alu instid0(TRANS32_DEP_3) | instskip(SKIP_1) | instid1(VALU_DEP_3)
	v_cndmask_b32_e64 v85, 0, v72, s4
	v_fma_f32 v72, s18, v100, -v68
	v_dual_mul_f32 v77, 0x3fb8aa3b, v77 :: v_dual_add_f32 v70, v70, v83
	s_delay_alu instid0(TRANS32_DEP_2) | instskip(SKIP_1) | instid1(TRANS32_DEP_1)
	v_cndmask_b32_e64 v88, 0, v71, s8
	v_fma_f32 v71, s18, v104, -v68
	v_cndmask_b32_e64 v87, 0, v69, s6
	s_delay_alu instid0(VALU_DEP_4) | instskip(NEXT) | instid1(VALU_DEP_2)
	v_exp_f32_e32 v77, v77
	v_dual_add_f32 v70, v70, v85 :: v_dual_mul_f32 v71, 0x3fb8aa3b, v71
	s_delay_alu instid0(VALU_DEP_1) | instskip(SKIP_2) | instid1(VALU_DEP_3)
	v_dual_mul_f32 v72, 0x3fb8aa3b, v72 :: v_dual_add_f32 v69, v70, v86
	v_mul_f32_e32 v78, 0x3fb8aa3b, v78
	v_fma_f32 v70, s18, v102, -v68
	v_exp_f32_e32 v72, v72
	v_exp_f32_e32 v82, v71
	v_add_f32_e32 v69, v69, v87
	v_exp_f32_e32 v78, v78
	v_mul_f32_e32 v70, 0x3fb8aa3b, v70
	s_delay_alu instid0(VALU_DEP_1) | instskip(SKIP_4) | instid1(VALU_DEP_2)
	v_exp_f32_e32 v79, v70
	v_cndmask_b32_e64 v70, 0, v72, s9
	s_waitcnt_depctr 0xfff
	v_cndmask_b32_e64 v84, 0, v78, s7
	v_fma_f32 v78, s18, v103, -v68
	v_add_f32_e32 v69, v69, v84
	v_cndmask_b32_e64 v71, 0, v79, s11
	s_delay_alu instid0(VALU_DEP_2) | instskip(SKIP_2) | instid1(VALU_DEP_1)
	v_add_f32_e32 v72, v69, v88
	v_cndmask_b32_e64 v69, 0, v77, s10
	v_fma_f32 v77, s18, v106, -v68
	v_dual_mul_f32 v77, 0x3fb8aa3b, v77 :: v_dual_add_f32 v72, v72, v70
	v_mul_f32_e32 v78, 0x3fb8aa3b, v78
	s_delay_alu instid0(VALU_DEP_2) | instskip(NEXT) | instid1(VALU_DEP_2)
	v_exp_f32_e32 v90, v77
	v_add_f32_e32 v79, v72, v69
	s_delay_alu instid0(VALU_DEP_2)
	v_exp_f32_e32 v78, v78
	v_cndmask_b32_e64 v77, 0, v82, s13
	s_waitcnt_depctr 0xfff
	v_cndmask_b32_e64 v72, 0, v78, s12
	v_add_f32_e32 v78, v79, v71
	v_fma_f32 v79, s18, v107, -v68
	s_delay_alu instid0(VALU_DEP_1) | instskip(SKIP_1) | instid1(VALU_DEP_2)
	v_dual_add_f32 v82, v78, v72 :: v_dual_mul_f32 v79, 0x3fb8aa3b, v79
	v_cndmask_b32_e64 v78, 0, v81, s15
	v_add_f32_e32 v81, v82, v77
	s_delay_alu instid0(VALU_DEP_3) | instskip(SKIP_1) | instid1(VALU_DEP_2)
	v_exp_f32_e32 v82, v79
	v_cndmask_b32_e64 v79, 0, v90, s16
	v_add_f32_e32 v81, v81, v78
	s_delay_alu instid0(VALU_DEP_1) | instskip(SKIP_2) | instid1(VALU_DEP_1)
	v_add_f32_e32 v90, v81, v79
	s_waitcnt_depctr 0xfff
	v_cndmask_b32_e64 v81, 0, v82, s17
	v_add_f32_e32 v82, v90, v81
	ds_bpermute_b32 v89, v89, v82
	s_and_saveexec_b32 s3, s2
	s_cbranch_execz .LBB1640_12
; %bb.11:
	v_mul_u32_u24_e32 v67, 0x44, v66
	s_delay_alu instid0(VALU_DEP_1) | instskip(SKIP_1) | instid1(VALU_DEP_1)
	v_lshl_add_u32 v67, v65, 2, v67
	s_waitcnt lgkmcnt(0)
	v_dual_add_f32 v82, v82, v89 :: v_dual_add_nc_u32 v67, 0x4000, v67
	ds_store_2addr_b32 v67, v68, v82 offset1:136
.LBB1640_12:
	s_or_b32 exec_lo, exec_lo, s3
	v_lshlrev_b32_e32 v67, 2, v65
	s_waitcnt lgkmcnt(0)
	s_barrier
	buffer_gl0_inv
	v_cmp_eq_u32_e32 vcc_lo, 1, v66
	v_add_nc_u32_e32 v82, 0x4000, v67
	v_cmp_eq_u32_e64 s3, 2, v66
	v_cmp_eq_u32_e64 s5, 7, v66
	ds_load_2addr_b32 v[89:90], v82 offset1:17
	ds_load_2addr_b32 v[91:92], v82 offset0:34 offset1:51
	ds_load_2addr_b32 v[93:94], v82 offset0:68 offset1:85
	;; [unrolled: 1-line block ×4, first 2 shown]
	s_waitcnt lgkmcnt(4)
	v_max3_f32 v67, v89, 0xff7fffff, v90
	s_waitcnt lgkmcnt(3)
	s_delay_alu instid0(VALU_DEP_1) | instskip(SKIP_1) | instid1(VALU_DEP_1)
	v_max3_f32 v67, v67, v91, v92
	s_waitcnt lgkmcnt(2)
	v_max3_f32 v67, v67, v93, v94
	s_waitcnt lgkmcnt(1)
	s_delay_alu instid0(VALU_DEP_1) | instskip(NEXT) | instid1(VALU_DEP_1)
	v_max3_f32 v67, v67, v95, v96
	v_sub_f32_e32 v93, v93, v67
	s_delay_alu instid0(VALU_DEP_1) | instskip(NEXT) | instid1(VALU_DEP_1)
	v_dual_sub_f32 v68, v89, v67 :: v_dual_mul_f32 v103, 0x3fb8aa3b, v93
	v_mul_f32_e32 v68, 0x3fb8aa3b, v68
	s_delay_alu instid0(VALU_DEP_1)
	v_exp_f32_e32 v100, v68
	v_sub_f32_e32 v68, v92, v67
	v_sub_f32_e32 v99, v90, v67
	ds_load_2addr_b32 v[89:90], v82 offset0:170 offset1:187
	v_dual_mul_f32 v102, 0x3fb8aa3b, v68 :: v_dual_mul_f32 v99, 0x3fb8aa3b, v99
	s_waitcnt lgkmcnt(1)
	v_fma_f32 v68, v100, v97, 0
	s_delay_alu instid0(VALU_DEP_2) | instskip(NEXT) | instid1(VALU_DEP_2)
	v_exp_f32_e32 v102, v102
	v_exp_f32_e32 v99, v99
	s_waitcnt_depctr 0xfff
	v_fmac_f32_e32 v68, v99, v98
	v_sub_f32_e32 v91, v91, v67
	s_delay_alu instid0(VALU_DEP_1)
	v_mul_f32_e32 v101, 0x3fb8aa3b, v91
	ds_load_2addr_b32 v[91:92], v82 offset0:204 offset1:221
	v_sub_f32_e32 v97, v94, v67
	ds_load_2addr_b32 v[93:94], v82 offset0:238 offset1:255
	s_waitcnt lgkmcnt(0)
	v_exp_f32_e32 v101, v101
	s_barrier
	buffer_gl0_inv
	v_dual_fmac_f32 v68, v101, v89 :: v_dual_sub_f32 v89, v96, v67
	v_dual_sub_f32 v82, v95, v67 :: v_dual_mul_f32 v95, 0x3fb8aa3b, v97
	v_exp_f32_e32 v97, v103
	s_delay_alu instid0(VALU_DEP_2) | instskip(NEXT) | instid1(VALU_DEP_2)
	v_dual_fmac_f32 v68, v102, v90 :: v_dual_mul_f32 v89, 0x3fb8aa3b, v89
	v_mul_f32_e32 v82, 0x3fb8aa3b, v82
	s_delay_alu instid0(VALU_DEP_3) | instskip(NEXT) | instid1(VALU_DEP_2)
	v_exp_f32_e32 v95, v95
	v_exp_f32_e32 v89, v89
	s_delay_alu instid0(VALU_DEP_1)
	v_exp_f32_e32 v82, v82
	v_fmac_f32_e32 v68, v97, v91
	s_delay_alu instid0(TRANS32_DEP_3) | instid1(VALU_DEP_1)
	v_fmac_f32_e32 v68, v95, v92
	s_waitcnt_depctr 0xfff
	v_fmac_f32_e32 v68, v82, v93
	s_delay_alu instid0(VALU_DEP_1) | instskip(NEXT) | instid1(VALU_DEP_1)
	v_fmac_f32_e32 v68, v89, v94
	v_add_f32_e32 v90, 0x358637bd, v68
	s_delay_alu instid0(VALU_DEP_1) | instskip(NEXT) | instid1(VALU_DEP_1)
	v_div_scale_f32 v91, null, v90, v90, 1.0
	v_rcp_f32_e32 v92, v91
	s_waitcnt_depctr 0xfff
	v_fma_f32 v93, -v91, v92, 1.0
	s_delay_alu instid0(VALU_DEP_1) | instskip(SKIP_1) | instid1(VALU_DEP_2)
	v_dual_fmac_f32 v92, v93, v92 :: v_dual_cndmask_b32 v93, v100, v99
	v_cmp_eq_u32_e32 vcc_lo, 3, v66
	v_cndmask_b32_e64 v93, v93, v101, s3
	v_cmp_eq_u32_e64 s3, 4, v66
	s_delay_alu instid0(VALU_DEP_2) | instskip(SKIP_1) | instid1(VALU_DEP_2)
	v_cndmask_b32_e32 v93, v93, v102, vcc_lo
	v_cmp_eq_u32_e32 vcc_lo, 5, v66
	v_cndmask_b32_e64 v93, v93, v97, s3
	v_cmp_eq_u32_e64 s3, 6, v66
	s_delay_alu instid0(VALU_DEP_2) | instskip(SKIP_1) | instid1(VALU_DEP_1)
	v_cndmask_b32_e32 v93, v93, v95, vcc_lo
	v_div_scale_f32 v94, s4, 1.0, v90, 1.0
	s_mov_b32 vcc_lo, s4
	s_delay_alu instid0(VALU_DEP_2) | instskip(NEXT) | instid1(VALU_DEP_2)
	v_cndmask_b32_e64 v82, v93, v82, s3
	v_mul_f32_e32 v96, v94, v92
	s_mov_b32 s3, exec_lo
	s_delay_alu instid0(VALU_DEP_2) | instskip(NEXT) | instid1(VALU_DEP_2)
	v_cndmask_b32_e64 v82, v82, v89, s5
	v_fma_f32 v98, -v91, v96, v94
	s_delay_alu instid0(VALU_DEP_1) | instskip(NEXT) | instid1(VALU_DEP_1)
	v_fmac_f32_e32 v96, v98, v92
	v_fma_f32 v91, -v91, v96, v94
	s_delay_alu instid0(VALU_DEP_1) | instskip(NEXT) | instid1(VALU_DEP_1)
	v_div_fmas_f32 v91, v91, v92, v96
	v_div_fixup_f32 v90, v91, v90, 1.0
	s_delay_alu instid0(VALU_DEP_1) | instskip(NEXT) | instid1(VALU_DEP_1)
	v_mul_f32_e32 v82, v82, v90
	v_mul_f32_e32 v87, v82, v87
	;; [unrolled: 1-line block ×7, first 2 shown]
	v_dual_mul_f32 v86, v82, v83 :: v_dual_and_b32 v91, 0x7f800000, v90
	v_mul_f32_e32 v85, v82, v76
                                        ; implicit-def: $vgpr76
	s_delay_alu instid0(VALU_DEP_2)
	v_cmpx_ne_u32_e32 0x7f800000, v91
	s_xor_b32 s3, exec_lo, s3
; %bb.13:
	v_bfe_u32 v76, v90, 16, 1
	s_delay_alu instid0(VALU_DEP_1)
	v_add3_u32 v76, v90, v76, 0x7fff
                                        ; implicit-def: $vgpr90
; %bb.14:
	s_and_not1_saveexec_b32 s3, s3
; %bb.15:
	v_and_b32_e32 v76, 0xffff, v90
	v_or_b32_e32 v83, 0x10000, v90
	s_delay_alu instid0(VALU_DEP_2) | instskip(NEXT) | instid1(VALU_DEP_2)
	v_cmp_eq_u32_e32 vcc_lo, 0, v76
	v_cndmask_b32_e32 v76, v83, v90, vcc_lo
; %bb.16:
	s_or_b32 exec_lo, exec_lo, s3
	v_and_b32_e32 v83, 0x7f800000, v85
	s_delay_alu instid0(VALU_DEP_1) | instskip(SKIP_1) | instid1(SALU_CYCLE_1)
	v_cmp_ne_u32_e32 vcc_lo, 0x7f800000, v83
                                        ; implicit-def: $vgpr83
	s_and_saveexec_b32 s3, vcc_lo
	s_xor_b32 s3, exec_lo, s3
; %bb.17:
	v_bfe_u32 v83, v85, 16, 1
	s_delay_alu instid0(VALU_DEP_1)
	v_add3_u32 v83, v85, v83, 0x7fff
                                        ; implicit-def: $vgpr85
; %bb.18:
	s_and_not1_saveexec_b32 s3, s3
; %bb.19:
	v_and_b32_e32 v83, 0xffff, v85
	v_or_b32_e32 v90, 0x10000, v85
	s_delay_alu instid0(VALU_DEP_2) | instskip(NEXT) | instid1(VALU_DEP_2)
	v_cmp_eq_u32_e32 vcc_lo, 0, v83
	v_cndmask_b32_e32 v83, v90, v85, vcc_lo
; %bb.20:
	s_or_b32 exec_lo, exec_lo, s3
	v_and_b32_e32 v85, 0x7f800000, v86
	s_delay_alu instid0(VALU_DEP_1) | instskip(SKIP_1) | instid1(SALU_CYCLE_1)
	v_cmp_ne_u32_e32 vcc_lo, 0x7f800000, v85
                                        ; implicit-def: $vgpr85
	s_and_saveexec_b32 s3, vcc_lo
	s_xor_b32 s3, exec_lo, s3
; %bb.21:
	v_bfe_u32 v85, v86, 16, 1
	s_delay_alu instid0(VALU_DEP_1)
	v_add3_u32 v85, v86, v85, 0x7fff
                                        ; implicit-def: $vgpr86
; %bb.22:
	s_and_not1_saveexec_b32 s3, s3
; %bb.23:
	v_and_b32_e32 v85, 0xffff, v86
	v_or_b32_e32 v90, 0x10000, v86
	s_delay_alu instid0(VALU_DEP_2) | instskip(NEXT) | instid1(VALU_DEP_2)
	v_cmp_eq_u32_e32 vcc_lo, 0, v85
	v_cndmask_b32_e32 v85, v90, v86, vcc_lo
; %bb.24:
	s_or_b32 exec_lo, exec_lo, s3
	v_and_b32_e32 v86, 0x7f800000, v89
	s_delay_alu instid0(VALU_DEP_1) | instskip(SKIP_1) | instid1(SALU_CYCLE_1)
	v_cmp_ne_u32_e32 vcc_lo, 0x7f800000, v86
                                        ; implicit-def: $vgpr86
	s_and_saveexec_b32 s3, vcc_lo
	s_xor_b32 s3, exec_lo, s3
; %bb.25:
	v_bfe_u32 v86, v89, 16, 1
	s_delay_alu instid0(VALU_DEP_1)
	v_add3_u32 v86, v89, v86, 0x7fff
                                        ; implicit-def: $vgpr89
; %bb.26:
	s_and_not1_saveexec_b32 s3, s3
; %bb.27:
	v_and_b32_e32 v86, 0xffff, v89
	v_or_b32_e32 v90, 0x10000, v89
	s_delay_alu instid0(VALU_DEP_2) | instskip(NEXT) | instid1(VALU_DEP_2)
	v_cmp_eq_u32_e32 vcc_lo, 0, v86
	v_cndmask_b32_e32 v86, v90, v89, vcc_lo
; %bb.28:
	s_or_b32 exec_lo, exec_lo, s3
	v_and_b32_e32 v89, 0x7f800000, v88
	s_delay_alu instid0(VALU_DEP_1) | instskip(SKIP_1) | instid1(SALU_CYCLE_1)
	v_cmp_ne_u32_e32 vcc_lo, 0x7f800000, v89
                                        ; implicit-def: $vgpr89
	s_and_saveexec_b32 s3, vcc_lo
	s_xor_b32 s3, exec_lo, s3
; %bb.29:
	v_bfe_u32 v89, v88, 16, 1
	s_delay_alu instid0(VALU_DEP_1)
	v_add3_u32 v89, v88, v89, 0x7fff
                                        ; implicit-def: $vgpr88
; %bb.30:
	s_and_not1_saveexec_b32 s3, s3
; %bb.31:
	v_and_b32_e32 v89, 0xffff, v88
	v_or_b32_e32 v90, 0x10000, v88
	s_delay_alu instid0(VALU_DEP_2) | instskip(NEXT) | instid1(VALU_DEP_2)
	v_cmp_eq_u32_e32 vcc_lo, 0, v89
	v_cndmask_b32_e32 v89, v90, v88, vcc_lo
; %bb.32:
	s_or_b32 exec_lo, exec_lo, s3
	v_and_b32_e32 v88, 0x7f800000, v87
	s_delay_alu instid0(VALU_DEP_1) | instskip(SKIP_1) | instid1(SALU_CYCLE_1)
	v_cmp_ne_u32_e32 vcc_lo, 0x7f800000, v88
                                        ; implicit-def: $vgpr88
	s_and_saveexec_b32 s3, vcc_lo
	s_xor_b32 s3, exec_lo, s3
; %bb.33:
	v_bfe_u32 v88, v87, 16, 1
	s_delay_alu instid0(VALU_DEP_1)
	v_add3_u32 v88, v87, v88, 0x7fff
                                        ; implicit-def: $vgpr87
; %bb.34:
	s_and_not1_saveexec_b32 s3, s3
; %bb.35:
	v_and_b32_e32 v88, 0xffff, v87
	v_or_b32_e32 v90, 0x10000, v87
	s_delay_alu instid0(VALU_DEP_2) | instskip(NEXT) | instid1(VALU_DEP_2)
	v_cmp_eq_u32_e32 vcc_lo, 0, v88
	v_cndmask_b32_e32 v88, v90, v87, vcc_lo
; %bb.36:
	s_or_b32 exec_lo, exec_lo, s3
	v_and_b32_e32 v87, 0x7f800000, v84
	s_delay_alu instid0(VALU_DEP_1) | instskip(SKIP_1) | instid1(SALU_CYCLE_1)
	v_cmp_ne_u32_e32 vcc_lo, 0x7f800000, v87
                                        ; implicit-def: $vgpr87
	s_and_saveexec_b32 s3, vcc_lo
	s_xor_b32 s3, exec_lo, s3
; %bb.37:
	v_bfe_u32 v87, v84, 16, 1
	s_delay_alu instid0(VALU_DEP_1)
	v_add3_u32 v87, v84, v87, 0x7fff
                                        ; implicit-def: $vgpr84
; %bb.38:
	s_and_not1_saveexec_b32 s3, s3
; %bb.39:
	v_and_b32_e32 v87, 0xffff, v84
	v_or_b32_e32 v90, 0x10000, v84
	s_delay_alu instid0(VALU_DEP_2) | instskip(NEXT) | instid1(VALU_DEP_2)
	v_cmp_eq_u32_e32 vcc_lo, 0, v87
	v_cndmask_b32_e32 v87, v90, v84, vcc_lo
; %bb.40:
	s_or_b32 exec_lo, exec_lo, s3
	v_and_b32_e32 v84, 0x7f800000, v80
	s_delay_alu instid0(VALU_DEP_1) | instskip(SKIP_1) | instid1(SALU_CYCLE_1)
	v_cmp_ne_u32_e32 vcc_lo, 0x7f800000, v84
                                        ; implicit-def: $vgpr84
	s_and_saveexec_b32 s3, vcc_lo
	s_xor_b32 s3, exec_lo, s3
; %bb.41:
	v_bfe_u32 v84, v80, 16, 1
	s_delay_alu instid0(VALU_DEP_1)
	v_add3_u32 v84, v80, v84, 0x7fff
                                        ; implicit-def: $vgpr80
; %bb.42:
	s_and_not1_saveexec_b32 s3, s3
; %bb.43:
	v_and_b32_e32 v84, 0xffff, v80
	v_or_b32_e32 v90, 0x10000, v80
	s_delay_alu instid0(VALU_DEP_2) | instskip(NEXT) | instid1(VALU_DEP_2)
	v_cmp_eq_u32_e32 vcc_lo, 0, v84
	v_cndmask_b32_e32 v84, v90, v80, vcc_lo
; %bb.44:
	s_or_b32 exec_lo, exec_lo, s3
	s_load_b64 s[34:35], s[0:1], 0x94
	v_lshlrev_b32_e32 v91, 4, v74
	s_delay_alu instid0(VALU_DEP_2)
	v_perm_b32 v90, v84, v87, 0x7060302
	v_dual_mul_f32 v79, v82, v79 :: v_dual_lshlrev_b32 v80, 6, v65
	v_dual_mul_f32 v77, v82, v77 :: v_dual_lshlrev_b32 v92, 11, v66
	v_mul_f32_e32 v84, v82, v70
	v_perm_b32 v89, v88, v89, 0x7060302
	v_perm_b32 v88, v86, v85, 0x7060302
	;; [unrolled: 1-line block ×3, first 2 shown]
	v_mul_f32_e32 v70, v82, v81
	v_or3_b32 v76, v91, v92, v80
	v_dual_mul_f32 v78, v82, v78 :: v_dual_and_b32 v85, 0x7f800000, v84
	v_mul_f32_e32 v83, v82, v72
	v_mul_f32_e32 v81, v82, v71
	;; [unrolled: 1-line block ×3, first 2 shown]
	s_mov_b32 s3, exec_lo
	ds_store_b128 v76, v[87:90]
                                        ; implicit-def: $vgpr69
	v_cmpx_ne_u32_e32 0x7f800000, v85
	s_xor_b32 s3, exec_lo, s3
; %bb.45:
	v_bfe_u32 v69, v84, 16, 1
	s_delay_alu instid0(VALU_DEP_1)
	v_add3_u32 v69, v84, v69, 0x7fff
                                        ; implicit-def: $vgpr84
; %bb.46:
	s_and_not1_saveexec_b32 s3, s3
; %bb.47:
	v_and_b32_e32 v69, 0xffff, v84
	v_or_b32_e32 v71, 0x10000, v84
	s_delay_alu instid0(VALU_DEP_2) | instskip(NEXT) | instid1(VALU_DEP_2)
	v_cmp_eq_u32_e32 vcc_lo, 0, v69
	v_cndmask_b32_e32 v69, v71, v84, vcc_lo
; %bb.48:
	s_or_b32 exec_lo, exec_lo, s3
	v_and_b32_e32 v71, 0x7f800000, v72
	s_delay_alu instid0(VALU_DEP_1) | instskip(SKIP_1) | instid1(SALU_CYCLE_1)
	v_cmp_ne_u32_e32 vcc_lo, 0x7f800000, v71
                                        ; implicit-def: $vgpr71
	s_and_saveexec_b32 s3, vcc_lo
	s_xor_b32 s3, exec_lo, s3
; %bb.49:
	v_bfe_u32 v71, v72, 16, 1
	s_delay_alu instid0(VALU_DEP_1)
	v_add3_u32 v71, v72, v71, 0x7fff
                                        ; implicit-def: $vgpr72
; %bb.50:
	s_and_not1_saveexec_b32 s3, s3
; %bb.51:
	v_and_b32_e32 v71, 0xffff, v72
	v_or_b32_e32 v82, 0x10000, v72
	s_delay_alu instid0(VALU_DEP_2) | instskip(NEXT) | instid1(VALU_DEP_2)
	v_cmp_eq_u32_e32 vcc_lo, 0, v71
	v_cndmask_b32_e32 v71, v82, v72, vcc_lo
; %bb.52:
	s_or_b32 exec_lo, exec_lo, s3
	v_and_b32_e32 v72, 0x7f800000, v81
	s_delay_alu instid0(VALU_DEP_1) | instskip(SKIP_1) | instid1(SALU_CYCLE_1)
	v_cmp_ne_u32_e32 vcc_lo, 0x7f800000, v72
                                        ; implicit-def: $vgpr72
	s_and_saveexec_b32 s3, vcc_lo
	s_xor_b32 s3, exec_lo, s3
; %bb.53:
	v_bfe_u32 v72, v81, 16, 1
	s_delay_alu instid0(VALU_DEP_1)
	v_add3_u32 v72, v81, v72, 0x7fff
                                        ; implicit-def: $vgpr81
; %bb.54:
	s_and_not1_saveexec_b32 s3, s3
; %bb.55:
	v_and_b32_e32 v72, 0xffff, v81
	v_or_b32_e32 v82, 0x10000, v81
	s_delay_alu instid0(VALU_DEP_2) | instskip(NEXT) | instid1(VALU_DEP_2)
	v_cmp_eq_u32_e32 vcc_lo, 0, v72
	v_cndmask_b32_e32 v72, v82, v81, vcc_lo
; %bb.56:
	s_or_b32 exec_lo, exec_lo, s3
	v_and_b32_e32 v81, 0x7f800000, v83
	s_delay_alu instid0(VALU_DEP_1) | instskip(SKIP_1) | instid1(SALU_CYCLE_1)
	v_cmp_ne_u32_e32 vcc_lo, 0x7f800000, v81
                                        ; implicit-def: $vgpr81
	s_and_saveexec_b32 s3, vcc_lo
	s_xor_b32 s3, exec_lo, s3
; %bb.57:
	v_bfe_u32 v81, v83, 16, 1
	s_delay_alu instid0(VALU_DEP_1)
	v_add3_u32 v81, v83, v81, 0x7fff
                                        ; implicit-def: $vgpr83
; %bb.58:
	s_and_not1_saveexec_b32 s3, s3
; %bb.59:
	v_and_b32_e32 v81, 0xffff, v83
	v_or_b32_e32 v82, 0x10000, v83
	s_delay_alu instid0(VALU_DEP_2) | instskip(NEXT) | instid1(VALU_DEP_2)
	v_cmp_eq_u32_e32 vcc_lo, 0, v81
	v_cndmask_b32_e32 v81, v82, v83, vcc_lo
; %bb.60:
	s_or_b32 exec_lo, exec_lo, s3
	v_and_b32_e32 v82, 0x7f800000, v77
	s_delay_alu instid0(VALU_DEP_1) | instskip(SKIP_1) | instid1(SALU_CYCLE_1)
	v_cmp_ne_u32_e32 vcc_lo, 0x7f800000, v82
                                        ; implicit-def: $vgpr82
	s_and_saveexec_b32 s3, vcc_lo
	s_xor_b32 s3, exec_lo, s3
; %bb.61:
	v_bfe_u32 v82, v77, 16, 1
	s_delay_alu instid0(VALU_DEP_1)
	v_add3_u32 v82, v77, v82, 0x7fff
                                        ; implicit-def: $vgpr77
; %bb.62:
	s_and_not1_saveexec_b32 s3, s3
; %bb.63:
	v_and_b32_e32 v82, 0xffff, v77
	v_or_b32_e32 v83, 0x10000, v77
	s_delay_alu instid0(VALU_DEP_2) | instskip(NEXT) | instid1(VALU_DEP_2)
	v_cmp_eq_u32_e32 vcc_lo, 0, v82
	v_cndmask_b32_e32 v82, v83, v77, vcc_lo
; %bb.64:
	s_or_b32 exec_lo, exec_lo, s3
	v_and_b32_e32 v77, 0x7f800000, v78
	s_delay_alu instid0(VALU_DEP_1) | instskip(SKIP_1) | instid1(SALU_CYCLE_1)
	v_cmp_ne_u32_e32 vcc_lo, 0x7f800000, v77
                                        ; implicit-def: $vgpr77
	s_and_saveexec_b32 s3, vcc_lo
	s_xor_b32 s3, exec_lo, s3
; %bb.65:
	v_bfe_u32 v77, v78, 16, 1
	s_delay_alu instid0(VALU_DEP_1)
	v_add3_u32 v77, v78, v77, 0x7fff
                                        ; implicit-def: $vgpr78
; %bb.66:
	s_and_not1_saveexec_b32 s3, s3
; %bb.67:
	v_and_b32_e32 v77, 0xffff, v78
	v_or_b32_e32 v83, 0x10000, v78
	s_delay_alu instid0(VALU_DEP_2) | instskip(NEXT) | instid1(VALU_DEP_2)
	v_cmp_eq_u32_e32 vcc_lo, 0, v77
	v_cndmask_b32_e32 v77, v83, v78, vcc_lo
; %bb.68:
	s_or_b32 exec_lo, exec_lo, s3
	v_and_b32_e32 v78, 0x7f800000, v79
	s_delay_alu instid0(VALU_DEP_1) | instskip(SKIP_1) | instid1(SALU_CYCLE_1)
	v_cmp_ne_u32_e32 vcc_lo, 0x7f800000, v78
                                        ; implicit-def: $vgpr78
	s_and_saveexec_b32 s3, vcc_lo
	s_xor_b32 s3, exec_lo, s3
; %bb.69:
	v_bfe_u32 v78, v79, 16, 1
	s_delay_alu instid0(VALU_DEP_1)
	v_add3_u32 v78, v79, v78, 0x7fff
                                        ; implicit-def: $vgpr79
; %bb.70:
	s_and_not1_saveexec_b32 s3, s3
; %bb.71:
	v_and_b32_e32 v78, 0xffff, v79
	v_or_b32_e32 v83, 0x10000, v79
	s_delay_alu instid0(VALU_DEP_2) | instskip(NEXT) | instid1(VALU_DEP_2)
	v_cmp_eq_u32_e32 vcc_lo, 0, v78
	v_cndmask_b32_e32 v78, v83, v79, vcc_lo
; %bb.72:
	s_or_b32 exec_lo, exec_lo, s3
	v_and_b32_e32 v79, 0x7f800000, v70
	s_delay_alu instid0(VALU_DEP_1) | instskip(SKIP_1) | instid1(SALU_CYCLE_1)
	v_cmp_ne_u32_e32 vcc_lo, 0x7f800000, v79
                                        ; implicit-def: $vgpr79
	s_and_saveexec_b32 s3, vcc_lo
	s_xor_b32 s3, exec_lo, s3
; %bb.73:
	v_bfe_u32 v79, v70, 16, 1
	s_delay_alu instid0(VALU_DEP_1)
	v_add3_u32 v79, v70, v79, 0x7fff
                                        ; implicit-def: $vgpr70
; %bb.74:
	s_and_not1_saveexec_b32 s3, s3
; %bb.75:
	v_and_b32_e32 v79, 0xffff, v70
	v_or_b32_e32 v83, 0x10000, v70
	s_delay_alu instid0(VALU_DEP_2) | instskip(NEXT) | instid1(VALU_DEP_2)
	v_cmp_eq_u32_e32 vcc_lo, 0, v79
	v_cndmask_b32_e32 v79, v83, v70, vcc_lo
; %bb.76:
	s_or_b32 exec_lo, exec_lo, s3
	s_delay_alu instid0(VALU_DEP_1)
	v_perm_b32 v86, v79, v78, 0x7060302
	v_perm_b32 v85, v77, v82, 0x7060302
	;; [unrolled: 1-line block ×4, first 2 shown]
	v_lshl_or_b32 v82, v66, 11, v80
	ds_store_b128 v76, v[83:86] offset:1024
	s_waitcnt lgkmcnt(0)
	s_barrier
	buffer_gl0_inv
	ds_load_b128 v[69:72], v82
	ds_load_b128 v[83:86], v82 offset:16
	s_waitcnt lgkmcnt(1)
	v_lshrrev_b32_e32 v66, 16, v69
	s_waitcnt lgkmcnt(0)
	v_lshrrev_b32_e32 v91, 16, v83
	v_lshlrev_b32_e32 v78, 2, v74
	v_lshrrev_b32_e32 v95, 16, v70
	v_lshrrev_b32_e32 v98, 16, v84
	;; [unrolled: 1-line block ×4, first 2 shown]
	v_cmp_eq_u32_e32 vcc_lo, 1, v78
	v_lshrrev_b32_e32 v97, 16, v72
	v_lshrrev_b32_e32 v100, 16, v86
	v_cndmask_b32_e32 v87, v83, v91, vcc_lo
	v_or_b32_e32 v79, 1, v78
	v_cndmask_b32_e32 v81, v69, v66, vcc_lo
	v_cmp_eq_u32_e64 s4, 2, v78
	v_cmp_eq_u32_e64 s7, 3, v78
	;; [unrolled: 1-line block ×5, first 2 shown]
	v_cndmask_b32_e64 v81, v81, v70, s4
	v_cndmask_b32_e64 v87, v87, v84, s4
	v_cmp_eq_u32_e64 s8, 3, v79
	v_cndmask_b32_e64 v88, v69, v66, s3
	v_or_b32_e32 v77, 2, v78
	v_cndmask_b32_e64 v81, v81, v95, s7
	v_cndmask_b32_e64 v87, v87, v98, s7
	;; [unrolled: 1-line block ×4, first 2 shown]
	v_cmp_eq_u32_e64 s10, 5, v78
	v_cndmask_b32_e64 v81, v81, v71, s9
	v_cndmask_b32_e64 v87, v87, v85, s9
	v_cmp_eq_u32_e64 s11, 4, v79
	v_cndmask_b32_e64 v88, v88, v95, s8
	v_cmp_eq_u32_e64 s5, 1, v77
	v_cndmask_b32_e64 v89, v89, v84, s6
	v_cndmask_b32_e64 v81, v81, v96, s10
	v_cmp_eq_u32_e64 s12, 6, v78
	v_cndmask_b32_e64 v88, v88, v71, s11
	;; [unrolled: 3-line block ×3, first 2 shown]
	v_cndmask_b32_e64 v89, v89, v98, s8
	v_cndmask_b32_e64 v81, v81, v72, s12
	v_cmp_eq_u32_e64 s15, 7, v78
	v_cndmask_b32_e64 v88, v88, v96, s13
	v_cndmask_b32_e64 v87, v87, v86, s12
	v_cmp_eq_u32_e64 s16, 6, v79
	v_cmp_eq_u32_e64 s17, 2, v77
	v_cndmask_b32_e64 v89, v89, v85, s11
	v_cndmask_b32_e64 v101, v81, v97, s15
	;; [unrolled: 1-line block ×6, first 2 shown]
	v_cmp_eq_u32_e64 s18, 7, v79
	v_cmp_eq_u32_e64 s19, 3, v77
	;; [unrolled: 1-line block ×4, first 2 shown]
	v_cndmask_b32_e64 v87, v87, v84, s17
	v_cndmask_b32_e64 v103, v88, v97, s18
	;; [unrolled: 1-line block ×4, first 2 shown]
	v_or_b32_e32 v81, 3, v78
	v_cndmask_b32_e64 v93, v87, v98, s19
	v_cmp_eq_u32_e64 s24, 6, v77
	v_cndmask_b32_e64 v104, v88, v86, s16
	v_cndmask_b32_e64 v92, v89, v71, s20
	v_cmp_eq_u32_e64 s21, 1, v81
	ds_load_b128 v[87:90], v82 offset:1024
	v_cmp_eq_u32_e64 s23, 2, v81
	v_cmp_eq_u32_e64 s25, 3, v81
	v_cndmask_b32_e64 v105, v92, v96, s22
	v_cndmask_b32_e64 v66, v69, v66, s21
	;; [unrolled: 1-line block ×4, first 2 shown]
	ds_load_b128 v[91:94], v82 offset:1040
	v_cmp_eq_u32_e64 s26, 4, v81
	v_cndmask_b32_e64 v66, v66, v70, s23
	v_cmp_eq_u32_e64 s27, 7, v77
	v_cndmask_b32_e64 v70, v83, v84, s23
	v_cndmask_b32_e64 v84, v105, v72, s24
	v_cmp_eq_u32_e64 s28, 5, v81
	v_cndmask_b32_e64 v66, v66, v95, s25
	v_cmp_eq_u32_e64 s29, 6, v81
	v_cndmask_b32_e64 v70, v70, v98, s25
	v_cndmask_b32_e64 v69, v69, v99, s22
	;; [unrolled: 1-line block ×4, first 2 shown]
	s_waitcnt lgkmcnt(1)
	v_lshrrev_b32_e32 v95, 16, v87
	v_cndmask_b32_e64 v70, v70, v85, s26
	v_cndmask_b32_e64 v71, v84, v97, s27
	;; [unrolled: 1-line block ×4, first 2 shown]
	v_cndmask_b32_e32 v84, v87, v95, vcc_lo
	v_cndmask_b32_e64 v70, v70, v99, s28
	s_waitcnt lgkmcnt(0)
	v_lshrrev_b32_e32 v85, 16, v91
	v_lshrrev_b32_e32 v96, 16, v88
	v_cndmask_b32_e64 v98, v87, v95, s3
	v_cndmask_b32_e64 v84, v84, v88, s4
	;; [unrolled: 1-line block ×3, first 2 shown]
	v_cndmask_b32_e32 v99, v91, v85, vcc_lo
	v_cmp_eq_u32_e32 vcc_lo, 7, v81
	v_cndmask_b32_e64 v66, v66, v72, s29
	v_cndmask_b32_e64 v72, v84, v96, s7
	;; [unrolled: 1-line block ×3, first 2 shown]
	v_lshrrev_b32_e32 v98, 16, v92
	v_cndmask_b32_e32 v70, v70, v100, vcc_lo
	v_cndmask_b32_e64 v86, v99, v92, s4
	v_cndmask_b32_e64 v69, v69, v100, s27
	v_lshrrev_b32_e32 v100, 16, v93
	v_cndmask_b32_e64 v72, v72, v89, s9
	v_lshrrev_b32_e32 v99, 16, v89
	v_cndmask_b32_e64 v86, v86, v98, s7
	v_perm_b32 v71, v69, v71, 0x5040100
	v_cndmask_b32_e64 v84, v84, v96, s8
	s_delay_alu instid0(VALU_DEP_3) | instskip(NEXT) | instid1(VALU_DEP_2)
	v_cndmask_b32_e64 v86, v86, v93, s9
	v_cndmask_b32_e64 v84, v84, v89, s11
	s_delay_alu instid0(VALU_DEP_2) | instskip(NEXT) | instid1(VALU_DEP_1)
	v_cndmask_b32_e64 v86, v86, v100, s10
	v_cndmask_b32_e64 v69, v86, v94, s12
	v_cndmask_b32_e64 v86, v87, v95, s5
	v_cndmask_b32_e64 v87, v87, v95, s21
	v_cndmask_b32_e64 v95, v91, v85, s21
	s_delay_alu instid0(VALU_DEP_3) | instskip(NEXT) | instid1(VALU_DEP_3)
	v_cndmask_b32_e64 v86, v86, v88, s17
	v_cndmask_b32_e64 v87, v87, v88, s23
	s_delay_alu instid0(VALU_DEP_3) | instskip(NEXT) | instid1(VALU_DEP_3)
	v_cndmask_b32_e64 v88, v95, v92, s23
	v_cndmask_b32_e64 v86, v86, v96, s19
	;; [unrolled: 3-line block ×7, first 2 shown]
	s_delay_alu instid0(VALU_DEP_3) | instskip(SKIP_2) | instid1(VALU_DEP_2)
	v_cndmask_b32_e64 v88, v88, v94, s29
	v_cndmask_b32_e32 v66, v66, v97, vcc_lo
	v_cndmask_b32_e64 v97, v72, v99, s10
	v_perm_b32 v72, v70, v66, 0x5040100
	v_perm_b32 v70, v83, v103, 0x5040100
	v_cndmask_b32_e64 v103, v91, v85, s5
	v_cndmask_b32_e64 v85, v91, v85, s3
	;; [unrolled: 1-line block ×4, first 2 shown]
	v_lshrrev_b32_e32 v97, 16, v90
	v_cndmask_b32_e64 v91, v103, v92, s17
	v_cndmask_b32_e64 v85, v85, v92, s6
	;; [unrolled: 1-line block ×3, first 2 shown]
	s_mov_b32 s3, exec_lo
	v_cndmask_b32_e64 v83, v84, v97, s15
	v_cndmask_b32_e64 v91, v91, v98, s19
	;; [unrolled: 1-line block ×3, first 2 shown]
	v_lshrrev_b32_e32 v84, 16, v94
	v_cndmask_b32_e64 v66, v66, v97, s18
	v_cndmask_b32_e64 v90, v86, v97, s27
	;; [unrolled: 1-line block ×4, first 2 shown]
	v_dual_cndmask_b32 v86, v87, v97 :: v_dual_cndmask_b32 v87, v88, v84
	v_cndmask_b32_e64 v91, v69, v84, s15
	s_delay_alu instid0(VALU_DEP_4) | instskip(NEXT) | instid1(VALU_DEP_4)
	v_cndmask_b32_e64 v89, v89, v100, s22
	v_cndmask_b32_e64 v85, v85, v100, s13
	v_perm_b32 v69, v102, v101, 0x5040100
	v_perm_b32 v86, v87, v86, 0x5040100
	;; [unrolled: 1-line block ×3, first 2 shown]
	v_cndmask_b32_e64 v89, v89, v94, s24
	v_cndmask_b32_e64 v85, v85, v94, s16
	s_mul_i32 s8, s35, 15
	s_delay_alu instid0(VALU_DEP_2) | instskip(NEXT) | instid1(VALU_DEP_2)
	v_cndmask_b32_e64 v88, v89, v84, s27
	v_cndmask_b32_e64 v89, v85, v84, s18
	s_delay_alu instid0(VALU_DEP_2) | instskip(NEXT) | instid1(VALU_DEP_2)
	v_perm_b32 v85, v88, v90, 0x5040100
	v_perm_b32 v84, v89, v66, 0x5040100
	ds_store_b128 v76, v[69:72]
	ds_store_b128 v76, v[83:86] offset:1024
	v_cmpx_gt_u32_e32 15, v0
	s_cbranch_execz .LBB1640_78
; %bb.77:
	s_mul_i32 s4, s8, s30
	s_delay_alu instid0(SALU_CYCLE_1) | instskip(SKIP_1) | instid1(VALU_DEP_1)
	v_add3_u32 v69, s4, s31, v65
	s_load_b128 s[4:7], s[0:1], 0x58
	v_mad_u64_u32 v[65:66], null, v69, s34, s[14:15]
	s_delay_alu instid0(VALU_DEP_1) | instskip(NEXT) | instid1(VALU_DEP_1)
	v_ashrrev_i32_e32 v66, 31, v65
	v_lshlrev_b64 v[65:66], 2, v[65:66]
	s_waitcnt lgkmcnt(0)
	s_delay_alu instid0(VALU_DEP_1) | instskip(NEXT) | instid1(VALU_DEP_2)
	v_add_co_u32 v69, vcc_lo, s6, v65
	v_add_co_ci_u32_e32 v70, vcc_lo, s7, v66, vcc_lo
	v_add_co_u32 v65, vcc_lo, s4, v65
	v_add_co_ci_u32_e32 v66, vcc_lo, s5, v66, vcc_lo
	global_store_b32 v[69:70], v67, off
	global_store_b32 v[65:66], v68, off
.LBB1640_78:
	s_or_b32 exec_lo, exec_lo, s3
	s_waitcnt lgkmcnt(0)
	s_waitcnt_vscnt null, 0x0
	s_barrier
	buffer_gl0_inv
	ds_load_b128 v[83:86], v80
	ds_load_b128 v[87:90], v80 offset:16
	ds_load_b128 v[95:98], v80 offset:2064
	;; [unrolled: 1-line block ×3, first 2 shown]
	v_mov_b32_e32 v65, 0
	ds_load_b128 v[103:106], v80 offset:4112
	ds_load_b128 v[99:102], v80 offset:4096
	;; [unrolled: 1-line block ×4, first 2 shown]
	v_mov_b32_e32 v66, v65
	v_mov_b32_e32 v67, v65
	;; [unrolled: 1-line block ×7, first 2 shown]
	s_waitcnt lgkmcnt(6)
	s_delay_alu instid0(VALU_DEP_1)
	v_wmma_f32_16x16x16_bf16 v[65:72], v[49:56], v[83:90], v[65:72]
	ds_load_b128 v[53:56], v80 offset:8208
	ds_load_b128 v[49:52], v80 offset:8192
	s_waitcnt lgkmcnt(6)
	v_wmma_f32_16x16x16_bf16 v[65:72], v[41:48], v[91:98], v[65:72]
	ds_load_b128 v[45:48], v80 offset:10256
	ds_load_b128 v[41:44], v80 offset:10240
	s_waitcnt lgkmcnt(6)
	;; [unrolled: 4-line block ×4, first 2 shown]
	v_wmma_f32_16x16x16_bf16 v[65:72], v[1:8], v[49:56], v[65:72]
	s_waitcnt lgkmcnt(4)
	s_delay_alu instid0(VALU_DEP_1) | instskip(SKIP_1) | instid1(VALU_DEP_1)
	v_wmma_f32_16x16x16_bf16 v[65:72], v[9:16], v[41:48], v[65:72]
	s_waitcnt lgkmcnt(2)
	v_wmma_f32_16x16x16_bf16 v[65:72], v[17:24], v[33:40], v[65:72]
	s_waitcnt lgkmcnt(0)
	s_delay_alu instid0(VALU_DEP_1) | instskip(NEXT) | instid1(VALU_DEP_1)
	v_wmma_f32_16x16x16_bf16 v[65:72], v[57:64], v[25:32], v[65:72]
	v_and_b32_e32 v1, 0x7f800000, v65
	s_delay_alu instid0(VALU_DEP_1) | instskip(SKIP_1) | instid1(SALU_CYCLE_1)
	v_cmp_ne_u32_e32 vcc_lo, 0x7f800000, v1
                                        ; implicit-def: $vgpr1
	s_and_saveexec_b32 s3, vcc_lo
	s_xor_b32 s3, exec_lo, s3
; %bb.79:
	v_bfe_u32 v1, v65, 16, 1
	s_delay_alu instid0(VALU_DEP_1)
	v_add3_u32 v1, v65, v1, 0x7fff
; %bb.80:
	s_and_not1_saveexec_b32 s3, s3
; %bb.81:
	v_and_b32_e32 v1, 0xffff, v65
	v_or_b32_e32 v2, 0x10000, v65
	s_delay_alu instid0(VALU_DEP_2) | instskip(NEXT) | instid1(VALU_DEP_2)
	v_cmp_eq_u32_e32 vcc_lo, 0, v1
	v_cndmask_b32_e32 v1, v2, v65, vcc_lo
; %bb.82:
	s_or_b32 exec_lo, exec_lo, s3
	v_and_b32_e32 v2, 0x7f800000, v66
	s_delay_alu instid0(VALU_DEP_1) | instskip(SKIP_1) | instid1(SALU_CYCLE_1)
	v_cmp_ne_u32_e32 vcc_lo, 0x7f800000, v2
                                        ; implicit-def: $vgpr2
	s_and_saveexec_b32 s3, vcc_lo
	s_xor_b32 s3, exec_lo, s3
; %bb.83:
	v_bfe_u32 v2, v66, 16, 1
	s_delay_alu instid0(VALU_DEP_1)
	v_add3_u32 v2, v66, v2, 0x7fff
; %bb.84:
	s_and_not1_saveexec_b32 s3, s3
; %bb.85:
	v_and_b32_e32 v2, 0xffff, v66
	v_or_b32_e32 v3, 0x10000, v66
	s_delay_alu instid0(VALU_DEP_2) | instskip(NEXT) | instid1(VALU_DEP_2)
	v_cmp_eq_u32_e32 vcc_lo, 0, v2
	v_cndmask_b32_e32 v2, v3, v66, vcc_lo
; %bb.86:
	s_or_b32 exec_lo, exec_lo, s3
	v_and_b32_e32 v3, 0x7f800000, v67
	s_delay_alu instid0(VALU_DEP_1) | instskip(SKIP_1) | instid1(SALU_CYCLE_1)
	v_cmp_ne_u32_e32 vcc_lo, 0x7f800000, v3
                                        ; implicit-def: $vgpr3
	s_and_saveexec_b32 s3, vcc_lo
	s_xor_b32 s3, exec_lo, s3
; %bb.87:
	v_bfe_u32 v3, v67, 16, 1
	s_delay_alu instid0(VALU_DEP_1)
	v_add3_u32 v3, v67, v3, 0x7fff
; %bb.88:
	s_and_not1_saveexec_b32 s3, s3
; %bb.89:
	v_and_b32_e32 v3, 0xffff, v67
	v_or_b32_e32 v4, 0x10000, v67
	s_delay_alu instid0(VALU_DEP_2) | instskip(NEXT) | instid1(VALU_DEP_2)
	v_cmp_eq_u32_e32 vcc_lo, 0, v3
	v_cndmask_b32_e32 v3, v4, v67, vcc_lo
; %bb.90:
	s_or_b32 exec_lo, exec_lo, s3
	v_and_b32_e32 v4, 0x7f800000, v68
	s_delay_alu instid0(VALU_DEP_1) | instskip(SKIP_1) | instid1(SALU_CYCLE_1)
	v_cmp_ne_u32_e32 vcc_lo, 0x7f800000, v4
                                        ; implicit-def: $vgpr4
	s_and_saveexec_b32 s3, vcc_lo
	s_xor_b32 s3, exec_lo, s3
; %bb.91:
	v_bfe_u32 v4, v68, 16, 1
	s_delay_alu instid0(VALU_DEP_1)
	v_add3_u32 v4, v68, v4, 0x7fff
; %bb.92:
	s_and_not1_saveexec_b32 s3, s3
; %bb.93:
	v_and_b32_e32 v4, 0xffff, v68
	v_or_b32_e32 v5, 0x10000, v68
	s_delay_alu instid0(VALU_DEP_2) | instskip(NEXT) | instid1(VALU_DEP_2)
	v_cmp_eq_u32_e32 vcc_lo, 0, v4
	v_cndmask_b32_e32 v4, v5, v68, vcc_lo
; %bb.94:
	s_or_b32 exec_lo, exec_lo, s3
	v_and_b32_e32 v5, 0x7f800000, v69
	s_delay_alu instid0(VALU_DEP_1) | instskip(SKIP_1) | instid1(SALU_CYCLE_1)
	v_cmp_ne_u32_e32 vcc_lo, 0x7f800000, v5
                                        ; implicit-def: $vgpr5
	s_and_saveexec_b32 s3, vcc_lo
	s_xor_b32 s3, exec_lo, s3
; %bb.95:
	v_bfe_u32 v5, v69, 16, 1
	s_delay_alu instid0(VALU_DEP_1)
	v_add3_u32 v5, v69, v5, 0x7fff
; %bb.96:
	s_and_not1_saveexec_b32 s3, s3
; %bb.97:
	v_and_b32_e32 v5, 0xffff, v69
	v_or_b32_e32 v6, 0x10000, v69
	s_delay_alu instid0(VALU_DEP_2) | instskip(NEXT) | instid1(VALU_DEP_2)
	v_cmp_eq_u32_e32 vcc_lo, 0, v5
	v_cndmask_b32_e32 v5, v6, v69, vcc_lo
; %bb.98:
	s_or_b32 exec_lo, exec_lo, s3
	v_and_b32_e32 v6, 0x7f800000, v70
	s_delay_alu instid0(VALU_DEP_1) | instskip(SKIP_1) | instid1(SALU_CYCLE_1)
	v_cmp_ne_u32_e32 vcc_lo, 0x7f800000, v6
                                        ; implicit-def: $vgpr6
	s_and_saveexec_b32 s3, vcc_lo
	s_xor_b32 s3, exec_lo, s3
; %bb.99:
	v_bfe_u32 v6, v70, 16, 1
	s_delay_alu instid0(VALU_DEP_1)
	v_add3_u32 v6, v70, v6, 0x7fff
; %bb.100:
	s_and_not1_saveexec_b32 s3, s3
; %bb.101:
	v_and_b32_e32 v6, 0xffff, v70
	v_or_b32_e32 v7, 0x10000, v70
	s_delay_alu instid0(VALU_DEP_2) | instskip(NEXT) | instid1(VALU_DEP_2)
	v_cmp_eq_u32_e32 vcc_lo, 0, v6
	v_cndmask_b32_e32 v6, v7, v70, vcc_lo
; %bb.102:
	s_or_b32 exec_lo, exec_lo, s3
	v_and_b32_e32 v7, 0x7f800000, v71
	s_delay_alu instid0(VALU_DEP_1) | instskip(SKIP_1) | instid1(SALU_CYCLE_1)
	v_cmp_ne_u32_e32 vcc_lo, 0x7f800000, v7
                                        ; implicit-def: $vgpr7
	s_and_saveexec_b32 s3, vcc_lo
	s_xor_b32 s3, exec_lo, s3
; %bb.103:
	v_bfe_u32 v7, v71, 16, 1
	s_delay_alu instid0(VALU_DEP_1)
	v_add3_u32 v7, v71, v7, 0x7fff
; %bb.104:
	s_and_not1_saveexec_b32 s3, s3
; %bb.105:
	v_and_b32_e32 v7, 0xffff, v71
	v_or_b32_e32 v8, 0x10000, v71
	s_delay_alu instid0(VALU_DEP_2) | instskip(NEXT) | instid1(VALU_DEP_2)
	v_cmp_eq_u32_e32 vcc_lo, 0, v7
	v_cndmask_b32_e32 v7, v8, v71, vcc_lo
; %bb.106:
	s_or_b32 exec_lo, exec_lo, s3
	v_and_b32_e32 v8, 0x7f800000, v72
	s_delay_alu instid0(VALU_DEP_1) | instskip(SKIP_1) | instid1(SALU_CYCLE_1)
	v_cmp_ne_u32_e32 vcc_lo, 0x7f800000, v8
                                        ; implicit-def: $vgpr8
	s_and_saveexec_b32 s3, vcc_lo
	s_xor_b32 s3, exec_lo, s3
; %bb.107:
	v_bfe_u32 v8, v72, 16, 1
	s_delay_alu instid0(VALU_DEP_1)
	v_add3_u32 v8, v72, v8, 0x7fff
                                        ; implicit-def: $vgpr65_vgpr66_vgpr67_vgpr68_vgpr69_vgpr70_vgpr71_vgpr72
; %bb.108:
	s_and_not1_saveexec_b32 s3, s3
; %bb.109:
	v_and_b32_e32 v8, 0xffff, v72
	v_or_b32_e32 v9, 0x10000, v72
	s_delay_alu instid0(VALU_DEP_2) | instskip(NEXT) | instid1(VALU_DEP_2)
	v_cmp_eq_u32_e32 vcc_lo, 0, v8
	v_cndmask_b32_e32 v8, v9, v72, vcc_lo
; %bb.110:
	s_or_b32 exec_lo, exec_lo, s3
	s_delay_alu instid0(VALU_DEP_1)
	v_perm_b32 v7, v8, v7, 0x7060302
	v_perm_b32 v6, v6, v5, 0x7060302
	;; [unrolled: 1-line block ×4, first 2 shown]
	s_barrier
	buffer_gl0_inv
	v_cmp_eq_u32_e32 vcc_lo, 1, v78
	ds_store_b128 v76, v[4:7]
	s_waitcnt lgkmcnt(0)
	s_barrier
	buffer_gl0_inv
	ds_load_b128 v[1:4], v82
	ds_load_b128 v[5:8], v82 offset:16
	v_cmp_eq_u32_e64 s3, 1, v79
	v_cmp_eq_u32_e64 s4, 2, v78
	;; [unrolled: 1-line block ×5, first 2 shown]
	s_waitcnt lgkmcnt(1)
	v_lshrrev_b32_e32 v9, 16, v1
	s_waitcnt lgkmcnt(0)
	v_lshrrev_b32_e32 v13, 16, v5
	v_lshrrev_b32_e32 v10, 16, v2
	;; [unrolled: 1-line block ×4, first 2 shown]
	v_cndmask_b32_e64 v19, v1, v9, s3
	v_cndmask_b32_e32 v18, v5, v13, vcc_lo
	v_cndmask_b32_e64 v20, v5, v13, s3
	v_cndmask_b32_e32 v17, v1, v9, vcc_lo
	v_cmp_eq_u32_e32 vcc_lo, 2, v79
	v_lshrrev_b32_e32 v15, 16, v7
	v_cmp_eq_u32_e64 s3, 1, v77
	v_lshrrev_b32_e32 v12, 16, v4
	v_lshrrev_b32_e32 v16, 16, v8
	v_cndmask_b32_e32 v20, v20, v6, vcc_lo
	v_cndmask_b32_e64 v17, v17, v2, s4
	v_cndmask_b32_e32 v19, v19, v2, vcc_lo
	v_cndmask_b32_e64 v18, v18, v6, s4
	v_cmp_eq_u32_e32 vcc_lo, 4, v78
	v_cmp_eq_u32_e64 s4, 3, v79
	v_cndmask_b32_e64 v17, v17, v10, s5
	v_cndmask_b32_e64 v21, v1, v9, s3
	;; [unrolled: 1-line block ×5, first 2 shown]
	v_cndmask_b32_e32 v17, v17, v3, vcc_lo
	v_cndmask_b32_e64 v20, v20, v14, s4
	v_cndmask_b32_e32 v18, v18, v7, vcc_lo
	v_cmp_eq_u32_e32 vcc_lo, 4, v79
	v_cmp_eq_u32_e64 s4, 5, v79
	v_cmp_eq_u32_e64 s3, 2, v81
	v_cndmask_b32_e64 v21, v21, v2, s7
	v_cmp_eq_u32_e64 s5, 5, v78
	v_cndmask_b32_e32 v19, v19, v3, vcc_lo
	v_cndmask_b32_e32 v20, v20, v7, vcc_lo
	v_cmp_eq_u32_e32 vcc_lo, 6, v79
	s_delay_alu instid0(VALU_DEP_4) | instskip(NEXT) | instid1(VALU_DEP_4)
	v_cndmask_b32_e64 v17, v17, v11, s5
	v_cndmask_b32_e64 v19, v19, v11, s4
	s_delay_alu instid0(VALU_DEP_4) | instskip(SKIP_1) | instid1(VALU_DEP_3)
	v_cndmask_b32_e64 v20, v20, v15, s4
	v_cmp_eq_u32_e64 s4, 1, v81
	v_cndmask_b32_e32 v19, v19, v4, vcc_lo
	v_cndmask_b32_e64 v18, v18, v15, s5
	s_delay_alu instid0(VALU_DEP_3)
	v_cndmask_b32_e64 v1, v1, v9, s4
	v_cndmask_b32_e64 v5, v5, v13, s4
	v_cmp_eq_u32_e64 s4, 3, v77
	v_cndmask_b32_e64 v13, v22, v6, s7
	v_cmp_eq_u32_e64 s7, 3, v81
	v_cndmask_b32_e64 v1, v1, v2, s3
	v_cndmask_b32_e64 v2, v5, v6, s3
	;; [unrolled: 1-line block ×3, first 2 shown]
	v_cmp_eq_u32_e64 s3, 4, v77
	v_cndmask_b32_e64 v6, v13, v14, s4
	v_cndmask_b32_e64 v1, v1, v10, s7
	v_cmp_eq_u32_e64 s4, 4, v81
	v_cndmask_b32_e64 v2, v2, v14, s7
	v_cndmask_b32_e64 v5, v9, v3, s3
	;; [unrolled: 3-line block ×3, first 2 shown]
	v_cndmask_b32_e64 v2, v2, v7, s4
	v_cmp_eq_u32_e64 s3, 5, v81
	v_cmp_eq_u32_e64 s5, 6, v78
	v_cndmask_b32_e64 v5, v5, v11, s7
	v_cmp_eq_u32_e64 s4, 6, v77
	v_cndmask_b32_e64 v3, v6, v15, s7
	v_cndmask_b32_e64 v1, v1, v11, s3
	v_cmp_eq_u32_e64 s7, 6, v81
	v_cndmask_b32_e64 v2, v2, v15, s3
	v_cndmask_b32_e64 v17, v17, v4, s5
	v_cndmask_b32_e64 v18, v18, v8, s5
	v_cmp_eq_u32_e64 s5, 7, v78
	v_cndmask_b32_e64 v5, v5, v4, s4
	;; [unrolled: 4-line block ×3, first 2 shown]
	v_cmp_eq_u32_e64 s4, 7, v77
	v_cndmask_b32_e32 v4, v20, v8, vcc_lo
	v_cndmask_b32_e64 v17, v17, v12, s5
	v_cndmask_b32_e64 v19, v19, v12, s6
	;; [unrolled: 1-line block ×8, first 2 shown]
	s_mov_b32 s3, exec_lo
	v_perm_b32 v4, v2, v1, 0x5040100
	v_perm_b32 v3, v3, v5, 0x5040100
	;; [unrolled: 1-line block ×4, first 2 shown]
	ds_store_b128 v76, v[1:4]
	s_waitcnt lgkmcnt(0)
	s_barrier
	buffer_gl0_inv
	v_cmpx_gt_u32_e32 32, v0
	s_cbranch_execz .LBB1640_2
; %bb.111:
	s_load_b64 s[4:5], s[0:1], 0x68
	v_add_nc_u32_e32 v20, s31, v74
	v_lshlrev_b32_e32 v0, 10, v0
	v_lshlrev_b32_e32 v1, 4, v75
	s_lshl_b32 s0, s34, 7
	s_delay_alu instid0(SALU_CYCLE_1)
	s_mul_i32 s1, s0, s30
	v_add_nc_u32_e32 v2, 2, v20
	s_mul_i32 s6, s1, s8
	v_and_or_b32 v0, 0x3800, v0, v1
	v_mul_lo_u32 v1, v20, s0
	s_ashr_i32 s7, s6, 31
	v_mul_lo_u32 v11, v2, s0
	s_lshl_b64 s[6:7], s[6:7], 1
	v_add_nc_u32_e32 v3, 4, v20
	v_lshl_or_b32 v21, v74, 6, v0
	v_add_nc_u32_e32 v16, 6, v20
	v_ashrrev_i32_e32 v2, 31, v1
	s_delay_alu instid0(VALU_DEP_4)
	v_mul_lo_u32 v13, v3, s0
	s_waitcnt lgkmcnt(0)
	s_add_u32 s1, s4, s6
	s_addc_u32 s3, s5, s7
	s_lshl_b32 s4, s14, 7
	ds_load_b128 v[3:6], v21
	ds_load_b128 v[7:10], v21 offset:128
	s_ashr_i32 s5, s4, 31
	v_ashrrev_i32_e32 v12, 31, v11
	s_lshl_b64 s[4:5], s[4:5], 1
	v_lshlrev_b64 v[14:15], 1, v[1:2]
	s_add_u32 s1, s1, s4
	s_addc_u32 s3, s3, s5
	v_add_co_u32 v1, s1, s1, v73
	s_delay_alu instid0(VALU_DEP_1) | instskip(SKIP_1) | instid1(VALU_DEP_3)
	v_add_co_ci_u32_e64 v2, null, s3, 0, s1
	v_lshlrev_b64 v[11:12], 1, v[11:12]
	v_add_co_u32 v18, vcc_lo, v1, v14
	v_mul_lo_u32 v16, v16, s0
	s_delay_alu instid0(VALU_DEP_4) | instskip(NEXT) | instid1(VALU_DEP_4)
	v_add_co_ci_u32_e32 v19, vcc_lo, v2, v15, vcc_lo
	v_add_co_u32 v11, vcc_lo, v1, v11
	v_ashrrev_i32_e32 v14, 31, v13
	v_add_co_ci_u32_e32 v12, vcc_lo, v2, v12, vcc_lo
	v_add_nc_u32_e32 v15, 8, v20
	v_ashrrev_i32_e32 v17, 31, v16
	s_waitcnt lgkmcnt(1)
	global_store_b128 v[18:19], v[3:6], off
	v_lshlrev_b64 v[3:4], 1, v[13:14]
	s_waitcnt lgkmcnt(0)
	global_store_b128 v[11:12], v[7:10], off
	v_mul_lo_u32 v11, v15, s0
	v_add_nc_u32_e32 v7, 10, v20
	v_lshlrev_b64 v[5:6], 1, v[16:17]
	v_add_co_u32 v23, vcc_lo, v1, v3
	v_add_nc_u32_e32 v3, 12, v20
	s_delay_alu instid0(VALU_DEP_4)
	v_mul_lo_u32 v25, v7, s0
	v_ashrrev_i32_e32 v12, 31, v11
	v_add_co_ci_u32_e32 v24, vcc_lo, v2, v4, vcc_lo
	v_add_co_u32 v27, vcc_lo, v1, v5
	v_mul_lo_u32 v29, v3, s0
	v_add_co_ci_u32_e32 v28, vcc_lo, v2, v6, vcc_lo
	ds_load_b128 v[3:6], v21 offset:256
	ds_load_b128 v[7:10], v21 offset:384
	v_lshlrev_b64 v[31:32], 1, v[11:12]
	ds_load_b128 v[11:14], v21 offset:512
	ds_load_b128 v[15:18], v21 offset:640
	;; [unrolled: 1-line block ×3, first 2 shown]
	v_ashrrev_i32_e32 v26, 31, v25
	v_ashrrev_i32_e32 v30, 31, v29
	v_add_co_u32 v31, vcc_lo, v1, v31
	s_delay_alu instid0(VALU_DEP_3) | instskip(NEXT) | instid1(VALU_DEP_3)
	v_lshlrev_b64 v[25:26], 1, v[25:26]
	v_lshlrev_b64 v[29:30], 1, v[29:30]
	v_add_co_ci_u32_e32 v32, vcc_lo, v2, v32, vcc_lo
	s_delay_alu instid0(VALU_DEP_3) | instskip(NEXT) | instid1(VALU_DEP_4)
	v_add_co_u32 v25, vcc_lo, v1, v25
	v_add_co_ci_u32_e32 v26, vcc_lo, v2, v26, vcc_lo
	s_delay_alu instid0(VALU_DEP_4)
	v_add_co_u32 v29, vcc_lo, v1, v29
	v_add_co_ci_u32_e32 v30, vcc_lo, v2, v30, vcc_lo
	s_waitcnt lgkmcnt(4)
	global_store_b128 v[23:24], v[3:6], off
	s_waitcnt lgkmcnt(3)
	global_store_b128 v[27:28], v[7:10], off
	;; [unrolled: 2-line block ×5, first 2 shown]
	s_and_b32 exec_lo, exec_lo, s2
	s_cbranch_execz .LBB1640_2
; %bb.112:
	ds_load_b128 v[3:6], v0 offset:896
	s_add_i32 s1, s31, 14
	s_delay_alu instid0(SALU_CYCLE_1) | instskip(NEXT) | instid1(SALU_CYCLE_1)
	s_mul_i32 s0, s1, s0
	s_ashr_i32 s1, s0, 31
	s_delay_alu instid0(SALU_CYCLE_1) | instskip(NEXT) | instid1(SALU_CYCLE_1)
	s_lshl_b64 s[0:1], s[0:1], 1
	v_add_co_u32 v0, vcc_lo, v1, s0
	v_add_co_ci_u32_e32 v1, vcc_lo, s1, v2, vcc_lo
	s_waitcnt lgkmcnt(0)
	global_store_b128 v[0:1], v[3:6], off
	s_nop 0
	s_sendmsg sendmsg(MSG_DEALLOC_VGPRS)
	s_endpgm
	.section	.rodata,"a",@progbits
	.p2align	6, 0x0
	.amdhsa_kernel _Z39paged_attention_ll4mi_QKV_mfma16_kernelI14__hip_bfloat16hLN4vllm18Fp8KVCacheDataTypeE1ES0_Li32ELi128ELi256ELb1ELi15EL8MFMAType1EEvPKT_PKT0_S9_ifPKiSB_SB_iPKfiiiPfSE_PS4_PT2_iSD_SD_
		.amdhsa_group_segment_fixed_size 17472
		.amdhsa_private_segment_fixed_size 0
		.amdhsa_kernarg_size 400
		.amdhsa_user_sgpr_count 13
		.amdhsa_user_sgpr_dispatch_ptr 0
		.amdhsa_user_sgpr_queue_ptr 0
		.amdhsa_user_sgpr_kernarg_segment_ptr 1
		.amdhsa_user_sgpr_dispatch_id 0
		.amdhsa_user_sgpr_private_segment_size 0
		.amdhsa_wavefront_size32 1
		.amdhsa_uses_dynamic_stack 0
		.amdhsa_enable_private_segment 0
		.amdhsa_system_sgpr_workgroup_id_x 1
		.amdhsa_system_sgpr_workgroup_id_y 1
		.amdhsa_system_sgpr_workgroup_id_z 1
		.amdhsa_system_sgpr_workgroup_info 0
		.amdhsa_system_vgpr_workitem_id 0
		.amdhsa_next_free_vgpr 140
		.amdhsa_next_free_sgpr 36
		.amdhsa_reserve_vcc 1
		.amdhsa_float_round_mode_32 0
		.amdhsa_float_round_mode_16_64 0
		.amdhsa_float_denorm_mode_32 3
		.amdhsa_float_denorm_mode_16_64 3
		.amdhsa_dx10_clamp 1
		.amdhsa_ieee_mode 1
		.amdhsa_fp16_overflow 0
		.amdhsa_workgroup_processor_mode 1
		.amdhsa_memory_ordered 1
		.amdhsa_forward_progress 0
		.amdhsa_shared_vgpr_count 0
		.amdhsa_exception_fp_ieee_invalid_op 0
		.amdhsa_exception_fp_denorm_src 0
		.amdhsa_exception_fp_ieee_div_zero 0
		.amdhsa_exception_fp_ieee_overflow 0
		.amdhsa_exception_fp_ieee_underflow 0
		.amdhsa_exception_fp_ieee_inexact 0
		.amdhsa_exception_int_div_zero 0
	.end_amdhsa_kernel
	.section	.text._Z39paged_attention_ll4mi_QKV_mfma16_kernelI14__hip_bfloat16hLN4vllm18Fp8KVCacheDataTypeE1ES0_Li32ELi128ELi256ELb1ELi15EL8MFMAType1EEvPKT_PKT0_S9_ifPKiSB_SB_iPKfiiiPfSE_PS4_PT2_iSD_SD_,"axG",@progbits,_Z39paged_attention_ll4mi_QKV_mfma16_kernelI14__hip_bfloat16hLN4vllm18Fp8KVCacheDataTypeE1ES0_Li32ELi128ELi256ELb1ELi15EL8MFMAType1EEvPKT_PKT0_S9_ifPKiSB_SB_iPKfiiiPfSE_PS4_PT2_iSD_SD_,comdat
.Lfunc_end1640:
	.size	_Z39paged_attention_ll4mi_QKV_mfma16_kernelI14__hip_bfloat16hLN4vllm18Fp8KVCacheDataTypeE1ES0_Li32ELi128ELi256ELb1ELi15EL8MFMAType1EEvPKT_PKT0_S9_ifPKiSB_SB_iPKfiiiPfSE_PS4_PT2_iSD_SD_, .Lfunc_end1640-_Z39paged_attention_ll4mi_QKV_mfma16_kernelI14__hip_bfloat16hLN4vllm18Fp8KVCacheDataTypeE1ES0_Li32ELi128ELi256ELb1ELi15EL8MFMAType1EEvPKT_PKT0_S9_ifPKiSB_SB_iPKfiiiPfSE_PS4_PT2_iSD_SD_
                                        ; -- End function
	.section	.AMDGPU.csdata,"",@progbits
; Kernel info:
; codeLenInByte = 9156
; NumSgprs: 38
; NumVgprs: 140
; ScratchSize: 0
; MemoryBound: 0
; FloatMode: 240
; IeeeMode: 1
; LDSByteSize: 17472 bytes/workgroup (compile time only)
; SGPRBlocks: 4
; VGPRBlocks: 17
; NumSGPRsForWavesPerEU: 38
; NumVGPRsForWavesPerEU: 140
; Occupancy: 10
; WaveLimiterHint : 1
; COMPUTE_PGM_RSRC2:SCRATCH_EN: 0
; COMPUTE_PGM_RSRC2:USER_SGPR: 13
; COMPUTE_PGM_RSRC2:TRAP_HANDLER: 0
; COMPUTE_PGM_RSRC2:TGID_X_EN: 1
; COMPUTE_PGM_RSRC2:TGID_Y_EN: 1
; COMPUTE_PGM_RSRC2:TGID_Z_EN: 1
; COMPUTE_PGM_RSRC2:TIDIG_COMP_CNT: 0
	.section	.text._Z39paged_attention_ll4mi_QKV_mfma16_kernelI14__hip_bfloat16hLN4vllm18Fp8KVCacheDataTypeE1ES0_Li32ELi128ELi256ELb1ELi16EL8MFMAType1EEvPKT_PKT0_S9_ifPKiSB_SB_iPKfiiiPfSE_PS4_PT2_iSD_SD_,"axG",@progbits,_Z39paged_attention_ll4mi_QKV_mfma16_kernelI14__hip_bfloat16hLN4vllm18Fp8KVCacheDataTypeE1ES0_Li32ELi128ELi256ELb1ELi16EL8MFMAType1EEvPKT_PKT0_S9_ifPKiSB_SB_iPKfiiiPfSE_PS4_PT2_iSD_SD_,comdat
	.protected	_Z39paged_attention_ll4mi_QKV_mfma16_kernelI14__hip_bfloat16hLN4vllm18Fp8KVCacheDataTypeE1ES0_Li32ELi128ELi256ELb1ELi16EL8MFMAType1EEvPKT_PKT0_S9_ifPKiSB_SB_iPKfiiiPfSE_PS4_PT2_iSD_SD_ ; -- Begin function _Z39paged_attention_ll4mi_QKV_mfma16_kernelI14__hip_bfloat16hLN4vllm18Fp8KVCacheDataTypeE1ES0_Li32ELi128ELi256ELb1ELi16EL8MFMAType1EEvPKT_PKT0_S9_ifPKiSB_SB_iPKfiiiPfSE_PS4_PT2_iSD_SD_
	.globl	_Z39paged_attention_ll4mi_QKV_mfma16_kernelI14__hip_bfloat16hLN4vllm18Fp8KVCacheDataTypeE1ES0_Li32ELi128ELi256ELb1ELi16EL8MFMAType1EEvPKT_PKT0_S9_ifPKiSB_SB_iPKfiiiPfSE_PS4_PT2_iSD_SD_
	.p2align	8
	.type	_Z39paged_attention_ll4mi_QKV_mfma16_kernelI14__hip_bfloat16hLN4vllm18Fp8KVCacheDataTypeE1ES0_Li32ELi128ELi256ELb1ELi16EL8MFMAType1EEvPKT_PKT0_S9_ifPKiSB_SB_iPKfiiiPfSE_PS4_PT2_iSD_SD_,@function
_Z39paged_attention_ll4mi_QKV_mfma16_kernelI14__hip_bfloat16hLN4vllm18Fp8KVCacheDataTypeE1ES0_Li32ELi128ELi256ELb1ELi16EL8MFMAType1EEvPKT_PKT0_S9_ifPKiSB_SB_iPKfiiiPfSE_PS4_PT2_iSD_SD_: ; @_Z39paged_attention_ll4mi_QKV_mfma16_kernelI14__hip_bfloat16hLN4vllm18Fp8KVCacheDataTypeE1ES0_Li32ELi128ELi256ELb1ELi16EL8MFMAType1EEvPKT_PKT0_S9_ifPKiSB_SB_iPKfiiiPfSE_PS4_PT2_iSD_SD_
; %bb.0:
	s_load_b64 s[4:5], s[0:1], 0x30
	s_mov_b32 s30, s13
	s_waitcnt lgkmcnt(0)
	s_cmp_lg_u64 s[4:5], 0
	s_cselect_b32 s8, -1, 0
	s_ashr_i32 s31, s13, 31
	s_cmp_eq_u64 s[4:5], 0
	s_cbranch_scc1 .LBB1641_3
; %bb.1:
	s_lshl_b64 s[2:3], s[30:31], 2
	s_delay_alu instid0(SALU_CYCLE_1) | instskip(SKIP_4) | instid1(SALU_CYCLE_1)
	s_add_u32 s2, s4, s2
	s_addc_u32 s3, s5, s3
	s_load_b64 s[2:3], s[2:3], 0x0
	s_waitcnt lgkmcnt(0)
	s_sub_i32 s2, s3, s2
	s_cmp_eq_u32 s2, 1
	s_cselect_b32 s2, -1, 0
	s_delay_alu instid0(SALU_CYCLE_1)
	s_and_not1_b32 vcc_lo, exec_lo, s2
	s_cbranch_vccz .LBB1641_4
.LBB1641_2:
	s_endpgm
.LBB1641_3:
.LBB1641_4:
	s_load_b64 s[2:3], s[0:1], 0x28
	s_lshl_b64 s[6:7], s[30:31], 2
	s_waitcnt lgkmcnt(0)
	s_add_u32 s2, s2, s6
	s_addc_u32 s3, s3, s7
	s_lshl_b32 s12, s14, 8
	s_load_b32 s24, s[2:3], 0x0
	s_waitcnt lgkmcnt(0)
	s_cmp_ge_i32 s12, s24
	s_cbranch_scc1 .LBB1641_2
; %bb.5:
	s_clause 0x1
	s_load_b128 s[20:23], s[0:1], 0x8
	s_load_b64 s[2:3], s[0:1], 0x20
	s_and_not1_b32 vcc_lo, exec_lo, s8
	s_cbranch_vccnz .LBB1641_7
; %bb.6:
	s_add_u32 s4, s4, s6
	s_addc_u32 s5, s5, s7
	s_load_b32 s5, s[4:5], 0x0
	s_branch .LBB1641_8
.LBB1641_7:
	s_mov_b32 s5, s30
.LBB1641_8:
	s_load_b128 s[16:19], s[0:1], 0x48
	v_and_b32_e32 v66, 15, v0
	v_lshrrev_b32_e32 v65, 5, v0
	v_and_b32_e32 v67, 31, v0
	v_and_b32_e32 v75, 1, v0
	v_bfe_u32 v74, v0, 4, 1
	v_lshlrev_b32_e32 v1, 3, v66
	s_lshl_b32 s29, s15, 4
	s_mov_b32 s4, exec_lo
	s_delay_alu instid0(VALU_DEP_1)
	v_lshlrev_b32_e32 v73, 1, v1
	v_cmpx_gt_u32_e32 0x100, v0
	s_cbranch_execz .LBB1641_10
; %bb.9:
	v_lshl_or_b32 v5, v65, 1, v74
	s_load_b64 s[6:7], s[0:1], 0x0
	s_waitcnt lgkmcnt(0)
	s_mul_hi_i32 s9, s5, s16
	s_mul_i32 s8, s5, s16
	v_lshlrev_b32_e32 v6, 10, v66
	v_or_b32_e32 v1, s29, v5
	s_lshl_b64 s[8:9], s[8:9], 1
	v_lshlrev_b32_e32 v5, 6, v5
	v_lshlrev_b32_e32 v7, 10, v75
	v_and_b32_e32 v6, 0x3800, v6
	v_lshlrev_b32_e32 v1, 7, v1
	s_delay_alu instid0(VALU_DEP_2) | instskip(NEXT) | instid1(VALU_DEP_2)
	v_or3_b32 v5, v6, v7, v5
	v_ashrrev_i32_e32 v2, 31, v1
	s_delay_alu instid0(VALU_DEP_1) | instskip(SKIP_2) | instid1(VALU_DEP_1)
	v_lshlrev_b64 v[1:2], 1, v[1:2]
	s_add_u32 s5, s6, s8
	s_addc_u32 s6, s7, s9
	v_add_co_u32 v1, vcc_lo, s5, v1
	s_delay_alu instid0(VALU_DEP_2) | instskip(NEXT) | instid1(VALU_DEP_2)
	v_add_co_ci_u32_e32 v2, vcc_lo, s6, v2, vcc_lo
	v_add_co_u32 v1, vcc_lo, v1, v73
	s_delay_alu instid0(VALU_DEP_2)
	v_add_co_ci_u32_e32 v2, vcc_lo, 0, v2, vcc_lo
	global_load_b128 v[1:4], v[1:2], off
	s_waitcnt vmcnt(0)
	ds_store_b128 v5, v[1:4]
.LBB1641_10:
	s_or_b32 exec_lo, exec_lo, s4
	v_and_b32_e32 v1, 0xef, v0
	s_waitcnt lgkmcnt(0)
	s_add_i32 s5, s24, 31
	s_clause 0x1
	s_load_b32 s4, s[0:1], 0x38
	s_load_b32 s19, s[0:1], 0x1c
	s_ashr_i32 s6, s5, 31
	v_add_nc_u32_e32 v1, s12, v1
	s_lshr_b32 s6, s6, 27
	s_waitcnt lgkmcnt(0)
	s_add_i32 s5, s5, s6
	s_barrier
	v_ashrrev_i32_e32 v2, 31, v1
	v_or_b32_e32 v3, 16, v1
	s_ashr_i32 s13, s5, 5
	v_cmp_gt_i32_e32 vcc_lo, s24, v1
	s_add_i32 s13, s13, -1
	v_lshrrev_b32_e32 v2, 27, v2
	buffer_gl0_inv
	s_mul_i32 s31, s15, s18
	v_add_nc_u32_e32 v4, v1, v2
	s_mul_i32 s4, s30, s4
	s_delay_alu instid0(SALU_CYCLE_1) | instskip(NEXT) | instid1(VALU_DEP_1)
	s_ashr_i32 s5, s4, 31
	v_ashrrev_i32_e32 v4, 5, v4
	v_add_nc_u32_e32 v2, v3, v2
	s_lshl_b64 s[4:5], s[4:5], 2
	s_delay_alu instid0(SALU_CYCLE_1) | instskip(NEXT) | instid1(VALU_DEP_2)
	s_add_u32 s25, s2, s4
	v_cndmask_b32_e32 v1, s13, v4, vcc_lo
	s_delay_alu instid0(VALU_DEP_2)
	v_ashrrev_i32_e32 v2, 5, v2
	v_cmp_gt_i32_e32 vcc_lo, s24, v3
	s_addc_u32 s28, s3, s5
	s_ashr_i32 s33, s31, 31
	s_add_u32 s4, s20, s31
	s_addc_u32 s5, s21, s33
	v_cndmask_b32_e32 v3, s13, v2, vcc_lo
	v_ashrrev_i32_e32 v2, 31, v1
	s_lshl_b32 s2, s14, 3
	s_delay_alu instid0(SALU_CYCLE_1) | instskip(NEXT) | instid1(VALU_DEP_2)
	s_ashr_i32 s3, s2, 31
	v_ashrrev_i32_e32 v4, 31, v3
	s_delay_alu instid0(VALU_DEP_2) | instskip(SKIP_1) | instid1(SALU_CYCLE_1)
	v_lshlrev_b64 v[1:2], 2, v[1:2]
	s_lshl_b64 s[2:3], s[2:3], 2
	s_add_u32 s2, s25, s2
	s_delay_alu instid0(VALU_DEP_2) | instskip(SKIP_1) | instid1(VALU_DEP_2)
	v_lshlrev_b64 v[3:4], 2, v[3:4]
	s_addc_u32 s3, s28, s3
	v_add_co_u32 v1, vcc_lo, s25, v1
	v_add_co_ci_u32_e32 v2, vcc_lo, s28, v2, vcc_lo
	s_delay_alu instid0(VALU_DEP_3) | instskip(NEXT) | instid1(VALU_DEP_4)
	v_add_co_u32 v3, vcc_lo, s25, v3
	v_add_co_ci_u32_e32 v4, vcc_lo, s28, v4, vcc_lo
	s_clause 0x1
	global_load_b32 v5, v[1:2], off
	global_load_b32 v6, v[3:4], off
	s_or_b32 s6, s12, 32
	s_delay_alu instid0(SALU_CYCLE_1) | instskip(SKIP_2) | instid1(SALU_CYCLE_1)
	s_ashr_i32 s7, s6, 5
	s_cmp_lt_i32 s6, s24
	s_cselect_b32 s6, s7, s13
	s_ashr_i32 s7, s6, 31
	s_delay_alu instid0(SALU_CYCLE_1) | instskip(NEXT) | instid1(SALU_CYCLE_1)
	s_lshl_b64 s[6:7], s[6:7], 2
	s_add_u32 s6, s25, s6
	s_addc_u32 s7, s28, s7
	s_or_b32 s8, s12, 64
	s_delay_alu instid0(SALU_CYCLE_1) | instskip(SKIP_2) | instid1(SALU_CYCLE_1)
	s_ashr_i32 s9, s8, 5
	s_cmp_lt_i32 s8, s24
	s_cselect_b32 s8, s9, s13
	s_ashr_i32 s9, s8, 31
	s_delay_alu instid0(SALU_CYCLE_1) | instskip(NEXT) | instid1(SALU_CYCLE_1)
	s_lshl_b64 s[8:9], s[8:9], 2
	s_add_u32 s8, s25, s8
	s_addc_u32 s9, s28, s9
	s_or_b32 s10, s12, 0x60
	s_delay_alu instid0(SALU_CYCLE_1) | instskip(SKIP_2) | instid1(SALU_CYCLE_1)
	s_ashr_i32 s11, s10, 5
	s_cmp_lt_i32 s10, s24
	s_cselect_b32 s10, s11, s13
	s_ashr_i32 s11, s10, 31
	s_delay_alu instid0(SALU_CYCLE_1) | instskip(NEXT) | instid1(SALU_CYCLE_1)
	s_lshl_b64 s[10:11], s[10:11], 2
	s_add_u32 s10, s25, s10
	s_addc_u32 s11, s28, s11
	s_or_b32 s15, s12, 0x80
	s_delay_alu instid0(SALU_CYCLE_1) | instskip(SKIP_2) | instid1(SALU_CYCLE_1)
	s_ashr_i32 s16, s15, 5
	s_cmp_lt_i32 s15, s24
	s_cselect_b32 s20, s16, s13
	s_ashr_i32 s21, s20, 31
	s_delay_alu instid0(SALU_CYCLE_1) | instskip(NEXT) | instid1(SALU_CYCLE_1)
	s_lshl_b64 s[20:21], s[20:21], 2
	s_add_u32 s26, s25, s20
	s_addc_u32 s27, s28, s21
	s_or_b32 s15, s12, 0xa0
	s_delay_alu instid0(SALU_CYCLE_1) | instskip(SKIP_2) | instid1(SALU_CYCLE_1)
	s_ashr_i32 s16, s15, 5
	s_cmp_lt_i32 s15, s24
	s_cselect_b32 s20, s16, s13
	s_ashr_i32 s21, s20, 31
	s_delay_alu instid0(SALU_CYCLE_1) | instskip(NEXT) | instid1(SALU_CYCLE_1)
	s_lshl_b64 s[20:21], s[20:21], 2
	s_add_u32 s34, s25, s20
	s_addc_u32 s35, s28, s21
	s_clause 0x5
	s_load_b32 s20, s[2:3], 0x0
	s_load_b32 s2, s[6:7], 0x0
	;; [unrolled: 1-line block ×6, first 2 shown]
	s_or_b32 s8, s12, 0xc0
	s_delay_alu instid0(SALU_CYCLE_1) | instskip(SKIP_2) | instid1(SALU_CYCLE_1)
	s_ashr_i32 s9, s8, 5
	s_cmp_lt_i32 s8, s24
	s_cselect_b32 s26, s9, s13
	s_ashr_i32 s27, s26, 31
	s_delay_alu instid0(SALU_CYCLE_1) | instskip(NEXT) | instid1(SALU_CYCLE_1)
	s_lshl_b64 s[26:27], s[26:27], 2
	s_add_u32 s26, s25, s26
	s_addc_u32 s27, s28, s27
	s_or_b32 s21, s12, 0xe0
	s_waitcnt vmcnt(1)
	v_mad_i64_i32 v[1:2], null, v5, s17, s[4:5]
	s_waitcnt vmcnt(0)
	v_mad_i64_i32 v[3:4], null, v6, s17, s[4:5]
	s_mov_b32 s4, 0
	s_delay_alu instid0(SALU_CYCLE_1)
	s_mov_b32 s5, s4
	s_mov_b32 s6, s4
	;; [unrolled: 1-line block ×7, first 2 shown]
	s_delay_alu instid0(SALU_CYCLE_1) | instskip(SKIP_2) | instid1(VALU_DEP_3)
	v_dual_mov_b32 v108, s11 :: v_dual_lshlrev_b32 v5, 4, v66
	v_mov_b32_e32 v104, s7
	v_dual_mov_b32 v105, s8 :: v_dual_lshlrev_b32 v76, 6, v66
	v_add_co_u32 v33, vcc_lo, v1, v5
	v_add_co_ci_u32_e32 v34, vcc_lo, 0, v2, vcc_lo
	v_add_co_u32 v35, vcc_lo, v3, v5
	v_add_co_ci_u32_e32 v36, vcc_lo, 0, v4, vcc_lo
	s_clause 0xf
	global_load_b128 v[1:4], v[33:34], off
	global_load_b128 v[5:8], v[33:34], off offset:512
	global_load_b128 v[9:12], v[35:36], off offset:256
	;; [unrolled: 1-line block ×15, first 2 shown]
	v_dual_mov_b32 v102, s5 :: v_dual_lshlrev_b32 v41, 5, v66
	v_dual_mov_b32 v107, s10 :: v_dual_mov_b32 v106, s9
	v_mov_b32_e32 v103, s6
	v_mov_b32_e32 v101, s4
	s_ashr_i32 s4, s21, 5
	s_cmp_lt_i32 s21, s24
	ds_load_b128 v[33:36], v76
	ds_load_b128 v[37:40], v76 offset:1024
	s_cselect_b32 s4, s4, s13
	ds_load_b128 v[109:112], v76 offset:2048
	ds_load_b128 v[113:116], v76 offset:3072
	s_ashr_i32 s5, s4, 31
	v_lshl_or_b32 v41, v65, 9, v41
	s_lshl_b64 s[4:5], s[4:5], 2
	s_load_b32 s6, s[26:27], 0x0
	s_add_u32 s4, s25, s4
	s_addc_u32 s5, s28, s5
	ds_load_b128 v[117:120], v76 offset:4096
	ds_load_b128 v[121:124], v76 offset:5120
	s_load_b32 s4, s[4:5], 0x0
	s_add_u32 s7, s22, s31
	s_addc_u32 s8, s23, s33
	v_add_co_u32 v68, s7, s7, v41
	s_delay_alu instid0(VALU_DEP_1) | instskip(SKIP_1) | instid1(VALU_DEP_1)
	v_add_co_ci_u32_e64 v69, null, s8, 0, s7
	s_waitcnt lgkmcnt(0)
	v_mad_i64_i32 v[41:42], null, s20, s17, v[68:69]
	v_mad_i64_i32 v[70:71], null, s3, s17, v[68:69]
	;; [unrolled: 1-line block ×7, first 2 shown]
	s_clause 0x3
	global_load_b128 v[49:52], v[41:42], off
	global_load_b128 v[53:56], v[41:42], off offset:16
	global_load_b128 v[41:44], v[45:46], off
	global_load_b128 v[45:48], v[45:46], off offset:16
	s_waitcnt vmcnt(18)
	v_wmma_f32_16x16x16_bf16 v[125:132], v[1:8], v[33:40], v[101:108]
	s_waitcnt vmcnt(16)
	v_wmma_f32_16x16x16_bf16 v[101:108], v[9:16], v[33:40], v[101:108]
	s_clause 0x1
	global_load_b128 v[33:36], v[70:71], off
	global_load_b128 v[37:40], v[70:71], off offset:16
	v_mad_i64_i32 v[70:71], null, s4, s17, v[68:69]
	s_waitcnt vmcnt(16)
	v_wmma_f32_16x16x16_bf16 v[125:132], v[17:24], v[109:116], v[125:132]
	s_waitcnt vmcnt(14)
	v_wmma_f32_16x16x16_bf16 v[101:108], v[25:32], v[109:116], v[101:108]
	s_clause 0x7
	global_load_b128 v[25:28], v[133:134], off
	global_load_b128 v[29:32], v[133:134], off offset:16
	global_load_b128 v[1:4], v[135:136], off
	global_load_b128 v[5:8], v[135:136], off offset:16
	global_load_b128 v[9:12], v[137:138], off
	global_load_b128 v[13:16], v[137:138], off offset:16
	global_load_b128 v[17:20], v[139:140], off
	global_load_b128 v[21:24], v[139:140], off offset:16
	s_waitcnt vmcnt(20)
	v_wmma_f32_16x16x16_bf16 v[125:132], v[57:64], v[117:124], v[125:132]
	s_clause 0x1
	global_load_b128 v[57:60], v[70:71], off
	global_load_b128 v[61:64], v[70:71], off offset:16
	s_waitcnt vmcnt(20)
	v_wmma_f32_16x16x16_bf16 v[101:108], v[77:84], v[117:124], v[101:108]
	ds_load_b128 v[77:80], v76 offset:6144
	ds_load_b128 v[81:84], v76 offset:7168
	v_and_b32_e32 v68, 0xe0, v0
	v_mbcnt_lo_u32_b32 v69, -1, 0
	s_waitcnt vmcnt(0) lgkmcnt(0)
	s_barrier
	buffer_gl0_inv
	v_add_nc_u32_e32 v68, s12, v68
	v_xor_b32_e32 v70, 16, v69
	s_delay_alu instid0(VALU_DEP_2) | instskip(NEXT) | instid1(VALU_DEP_2)
	v_or_b32_e32 v68, v68, v74
	v_cmp_gt_i32_e32 vcc_lo, 32, v70
	s_delay_alu instid0(VALU_DEP_2)
	v_or_b32_e32 v71, 4, v68
	v_or_b32_e32 v72, 6, v68
	v_cmp_gt_i32_e64 s2, s24, v68
	v_or_b32_e32 v109, 8, v68
	v_wmma_f32_16x16x16_bf16 v[125:132], v[85:92], v[77:84], v[125:132]
	v_cndmask_b32_e32 v69, v69, v70, vcc_lo
	v_or_b32_e32 v70, 2, v68
	v_wmma_f32_16x16x16_bf16 v[101:108], v[93:100], v[77:84], v[101:108]
	v_or_b32_e32 v85, 10, v68
	v_dual_mul_f32 v80, s19, v132 :: v_dual_mul_f32 v93, s19, v127
	v_dual_mul_f32 v94, s19, v126 :: v_dual_mul_f32 v95, s19, v125
	s_delay_alu instid0(VALU_DEP_4) | instskip(SKIP_2) | instid1(VALU_DEP_4)
	v_mul_f32_e32 v96, s19, v108
	v_cmp_gt_i32_e32 vcc_lo, s24, v70
	v_dual_mul_f32 v83, s19, v129 :: v_dual_mul_f32 v84, s19, v128
	v_cndmask_b32_e64 v95, 0xff7fffff, v95, s2
	v_cmp_gt_i32_e64 s3, s24, v71
	v_cndmask_b32_e32 v94, 0xff7fffff, v94, vcc_lo
	v_cmp_gt_i32_e64 s4, s24, v72
	v_or_b32_e32 v86, 12, v68
	v_or_b32_e32 v87, 14, v68
	v_dual_mul_f32 v81, s19, v131 :: v_dual_mul_f32 v82, s19, v130
	v_cndmask_b32_e64 v93, 0xff7fffff, v93, s3
	v_cndmask_b32_e64 v72, 0xff7fffff, v84, s4
	v_max3_f32 v84, v95, 0xff7fffff, v94
	v_cmp_gt_i32_e64 s5, s24, v109
	v_cmp_gt_i32_e64 s6, s24, v85
	v_or_b32_e32 v88, 16, v68
	v_or_b32_e32 v89, 18, v68
	v_max3_f32 v72, v84, v93, v72
	v_cndmask_b32_e64 v83, 0xff7fffff, v83, s5
	v_cndmask_b32_e64 v82, 0xff7fffff, v82, s6
	v_cmp_gt_i32_e64 s7, s24, v86
	v_cmp_gt_i32_e64 s8, s24, v87
	v_or_b32_e32 v90, 20, v68
	v_or_b32_e32 v91, 22, v68
	;; [unrolled: 1-line block ×6, first 2 shown]
	v_dual_mul_f32 v70, s19, v103 :: v_dual_mul_f32 v71, s19, v101
	v_mul_f32_e32 v68, s19, v102
	v_cndmask_b32_e64 v81, 0xff7fffff, v81, s7
	v_cndmask_b32_e64 v80, 0xff7fffff, v80, s8
	v_max3_f32 v72, v72, v83, v82
	v_cmp_gt_i32_e64 s9, s24, v88
	v_cmp_gt_i32_e64 s10, s24, v89
	v_dual_mul_f32 v99, s19, v105 :: v_dual_mul_f32 v100, s19, v104
	s_delay_alu instid0(VALU_DEP_4) | instskip(NEXT) | instid1(VALU_DEP_4)
	v_max3_f32 v72, v72, v81, v80
	v_cndmask_b32_e64 v71, 0xff7fffff, v71, s9
	s_delay_alu instid0(VALU_DEP_4) | instskip(SKIP_3) | instid1(VALU_DEP_4)
	v_cndmask_b32_e64 v68, 0xff7fffff, v68, s10
	v_cmp_gt_i32_e64 s11, s24, v90
	v_cmp_gt_i32_e64 s12, s24, v91
	v_dual_mul_f32 v97, s19, v107 :: v_dual_mul_f32 v98, s19, v106
	v_max3_f32 v68, v72, v71, v68
	s_delay_alu instid0(VALU_DEP_4) | instskip(NEXT) | instid1(VALU_DEP_4)
	v_cndmask_b32_e64 v70, 0xff7fffff, v70, s11
	v_cndmask_b32_e64 v80, 0xff7fffff, v100, s12
	v_cmp_gt_i32_e64 s13, s24, v92
	v_cmp_gt_i32_e64 s15, s24, v77
	;; [unrolled: 1-line block ×4, first 2 shown]
	v_max3_f32 v68, v68, v70, v80
	v_cndmask_b32_e64 v71, 0xff7fffff, v99, s13
	v_cndmask_b32_e64 v72, 0xff7fffff, v98, s15
	;; [unrolled: 1-line block ×4, first 2 shown]
	v_lshlrev_b32_e32 v90, 2, v69
	s_delay_alu instid0(VALU_DEP_4) | instskip(NEXT) | instid1(VALU_DEP_1)
	v_max3_f32 v68, v68, v71, v72
	v_max3_f32 v68, v68, v70, v77
	ds_bpermute_b32 v69, v90, v68
	s_waitcnt lgkmcnt(0)
	v_max_f32_e32 v69, v69, v69
	s_delay_alu instid0(VALU_DEP_1) | instskip(NEXT) | instid1(VALU_DEP_1)
	v_max_f32_e32 v81, v68, v69
	v_fma_f32 v68, s19, v125, -v81
	v_fma_f32 v69, s19, v126, -v81
	v_fma_f32 v70, s19, v127, -v81
	v_fma_f32 v71, s19, v128, -v81
	v_fma_f32 v72, s19, v129, -v81
	s_delay_alu instid0(VALU_DEP_4) | instskip(NEXT) | instid1(VALU_DEP_3)
	v_dual_mul_f32 v68, 0x3fb8aa3b, v68 :: v_dual_mul_f32 v69, 0x3fb8aa3b, v69
	v_dual_mul_f32 v70, 0x3fb8aa3b, v70 :: v_dual_mul_f32 v71, 0x3fb8aa3b, v71
	v_fma_f32 v78, s19, v131, -v81
	s_delay_alu instid0(VALU_DEP_3) | instskip(NEXT) | instid1(VALU_DEP_3)
	v_exp_f32_e32 v68, v68
	v_exp_f32_e32 v69, v69
	s_delay_alu instid0(VALU_DEP_2)
	v_exp_f32_e32 v70, v70
	v_mul_f32_e32 v72, 0x3fb8aa3b, v72
	v_exp_f32_e32 v71, v71
	v_mul_f32_e32 v78, 0x3fb8aa3b, v78
	v_fma_f32 v80, s19, v106, -v81
	v_cndmask_b32_e64 v82, 0, v68, s2
	s_delay_alu instid0(TRANS32_DEP_3) | instskip(SKIP_2) | instid1(TRANS32_DEP_3)
	v_cndmask_b32_e32 v77, 0, v69, vcc_lo
	v_fma_f32 v68, s19, v130, -v81
	v_exp_f32_e32 v72, v72
	v_cndmask_b32_e64 v83, 0, v70, s3
	v_add_f32_e32 v69, 0, v82
	v_fma_f32 v70, s19, v132, -v81
	v_mul_f32_e32 v68, 0x3fb8aa3b, v68
	v_cndmask_b32_e64 v85, 0, v71, s4
	v_fma_f32 v71, s19, v101, -v81
	s_delay_alu instid0(VALU_DEP_4) | instskip(NEXT) | instid1(VALU_DEP_4)
	v_dual_add_f32 v69, v69, v77 :: v_dual_mul_f32 v70, 0x3fb8aa3b, v70
	v_exp_f32_e32 v68, v68
	s_delay_alu instid0(TRANS32_DEP_2) | instskip(SKIP_1) | instid1(VALU_DEP_3)
	v_cndmask_b32_e64 v86, 0, v72, s5
	v_fma_f32 v72, s19, v102, -v81
	v_add_f32_e32 v69, v69, v83
	v_exp_f32_e32 v78, v78
	v_exp_f32_e32 v70, v70
	s_mov_b32 s2, exec_lo
	s_delay_alu instid0(VALU_DEP_1) | instskip(SKIP_1) | instid1(TRANS32_DEP_3)
	v_dual_mul_f32 v72, 0x3fb8aa3b, v72 :: v_dual_add_f32 v69, v69, v85
	v_mul_f32_e32 v71, 0x3fb8aa3b, v71
	v_cndmask_b32_e64 v87, 0, v68, s6
	s_delay_alu instid0(VALU_DEP_3) | instskip(NEXT) | instid1(VALU_DEP_3)
	v_exp_f32_e32 v72, v72
	v_add_f32_e32 v68, v69, v86
	v_fma_f32 v69, s19, v103, -v81
	v_exp_f32_e32 v71, v71
	v_cndmask_b32_e64 v84, 0, v78, s7
	v_fma_f32 v78, s19, v104, -v81
	s_delay_alu instid0(VALU_DEP_3) | instskip(SKIP_2) | instid1(VALU_DEP_3)
	v_dual_add_f32 v68, v68, v87 :: v_dual_mul_f32 v69, 0x3fb8aa3b, v69
	v_cndmask_b32_e64 v88, 0, v70, s8
	v_fma_f32 v70, s19, v105, -v81
	v_exp_f32_e32 v79, v69
	s_delay_alu instid0(TRANS32_DEP_2) | instskip(SKIP_1) | instid1(VALU_DEP_1)
	v_cndmask_b32_e64 v69, 0, v71, s9
	v_add_f32_e32 v68, v68, v84
	v_dual_mul_f32 v78, 0x3fb8aa3b, v78 :: v_dual_add_f32 v71, v68, v88
	s_delay_alu instid0(VALU_DEP_1) | instskip(SKIP_2) | instid1(VALU_DEP_3)
	v_exp_f32_e32 v78, v78
	v_cndmask_b32_e64 v68, 0, v72, s10
	v_fma_f32 v72, s19, v107, -v81
	v_dual_add_f32 v71, v71, v69 :: v_dual_mul_f32 v70, 0x3fb8aa3b, v70
	s_delay_alu instid0(VALU_DEP_1) | instskip(NEXT) | instid1(TRANS32_DEP_3)
	v_exp_f32_e32 v89, v70
	v_cndmask_b32_e64 v70, 0, v79, s11
	s_delay_alu instid0(VALU_DEP_2) | instskip(NEXT) | instid1(TRANS32_DEP_2)
	v_add_f32_e32 v79, v71, v68
	v_cndmask_b32_e64 v71, 0, v78, s12
	s_delay_alu instid0(VALU_DEP_2) | instskip(SKIP_2) | instid1(VALU_DEP_1)
	v_add_f32_e32 v78, v79, v70
	v_mul_f32_e32 v80, 0x3fb8aa3b, v80
	v_fma_f32 v79, s19, v108, -v81
	v_dual_mul_f32 v72, 0x3fb8aa3b, v72 :: v_dual_mul_f32 v79, 0x3fb8aa3b, v79
	s_delay_alu instid0(VALU_DEP_1) | instskip(NEXT) | instid1(TRANS32_DEP_2)
	v_exp_f32_e32 v91, v72
	v_cndmask_b32_e64 v72, 0, v89, s13
	v_add_f32_e32 v89, v78, v71
	v_exp_f32_e32 v80, v80
	s_waitcnt_depctr 0xfff
	v_cndmask_b32_e64 v78, 0, v80, s15
	v_add_f32_e32 v80, v89, v72
	v_exp_f32_e32 v89, v79
	v_cndmask_b32_e64 v79, 0, v91, s16
	s_delay_alu instid0(VALU_DEP_2) | instskip(NEXT) | instid1(VALU_DEP_1)
	v_add_f32_e32 v80, v80, v78
	v_add_f32_e32 v91, v80, v79
	s_waitcnt_depctr 0xfff
	v_cndmask_b32_e64 v80, 0, v89, s17
	s_delay_alu instid0(VALU_DEP_1)
	v_add_f32_e32 v89, v91, v80
	ds_bpermute_b32 v90, v90, v89
	v_cmpx_gt_u32_e32 16, v67
	s_cbranch_execz .LBB1641_12
; %bb.11:
	v_mul_u32_u24_e32 v67, 0x44, v65
	s_waitcnt lgkmcnt(0)
	v_add_f32_e32 v89, v89, v90
	s_delay_alu instid0(VALU_DEP_2) | instskip(NEXT) | instid1(VALU_DEP_1)
	v_lshl_add_u32 v67, v66, 2, v67
	v_add_nc_u32_e32 v67, 0x4000, v67
	ds_store_2addr_b32 v67, v81, v89 offset1:136
.LBB1641_12:
	s_or_b32 exec_lo, exec_lo, s2
	v_lshlrev_b32_e32 v66, 2, v66
	s_waitcnt lgkmcnt(0)
	s_barrier
	buffer_gl0_inv
	v_cmp_eq_u32_e32 vcc_lo, 1, v65
	v_add_nc_u32_e32 v81, 0x4000, v66
	v_cmp_eq_u32_e64 s2, 2, v65
	v_cmp_eq_u32_e64 s4, 7, v65
	ds_load_2addr_b32 v[89:90], v81 offset1:17
	ds_load_2addr_b32 v[91:92], v81 offset0:34 offset1:51
	ds_load_2addr_b32 v[93:94], v81 offset0:68 offset1:85
	;; [unrolled: 1-line block ×4, first 2 shown]
	s_waitcnt lgkmcnt(4)
	v_max3_f32 v66, v89, 0xff7fffff, v90
	s_waitcnt lgkmcnt(3)
	s_delay_alu instid0(VALU_DEP_1) | instskip(SKIP_1) | instid1(VALU_DEP_1)
	v_max3_f32 v66, v66, v91, v92
	s_waitcnt lgkmcnt(2)
	v_max3_f32 v66, v66, v93, v94
	s_waitcnt lgkmcnt(1)
	s_delay_alu instid0(VALU_DEP_1) | instskip(NEXT) | instid1(VALU_DEP_1)
	v_max3_f32 v66, v66, v95, v96
	v_sub_f32_e32 v67, v89, v66
	v_sub_f32_e32 v91, v91, v66
	;; [unrolled: 1-line block ×3, first 2 shown]
	s_delay_alu instid0(VALU_DEP_3) | instskip(NEXT) | instid1(VALU_DEP_3)
	v_mul_f32_e32 v67, 0x3fb8aa3b, v67
	v_mul_f32_e32 v101, 0x3fb8aa3b, v91
	s_delay_alu instid0(VALU_DEP_3) | instskip(NEXT) | instid1(VALU_DEP_3)
	v_mul_f32_e32 v103, 0x3fb8aa3b, v93
	v_exp_f32_e32 v100, v67
	v_sub_f32_e32 v67, v92, v66
	v_sub_f32_e32 v99, v90, v66
	ds_load_2addr_b32 v[89:90], v81 offset0:170 offset1:187
	ds_load_2addr_b32 v[91:92], v81 offset0:204 offset1:221
	v_exp_f32_e32 v101, v101
	v_mul_f32_e32 v102, 0x3fb8aa3b, v67
	v_mul_f32_e32 v99, 0x3fb8aa3b, v99
	s_waitcnt lgkmcnt(2)
	v_fma_f32 v67, v100, v97, 0
	v_sub_f32_e32 v97, v94, v66
	s_delay_alu instid0(VALU_DEP_3)
	v_exp_f32_e32 v99, v99
	v_exp_f32_e32 v102, v102
	ds_load_2addr_b32 v[93:94], v81 offset0:238 offset1:255
	v_sub_f32_e32 v81, v95, v66
	v_mul_f32_e32 v95, 0x3fb8aa3b, v97
	v_exp_f32_e32 v97, v103
	s_waitcnt lgkmcnt(0)
	s_barrier
	v_mul_f32_e32 v81, 0x3fb8aa3b, v81
	v_exp_f32_e32 v95, v95
	v_fmac_f32_e32 v67, v99, v98
	buffer_gl0_inv
	v_exp_f32_e32 v81, v81
	v_fmac_f32_e32 v67, v101, v89
	v_sub_f32_e32 v89, v96, v66
	s_delay_alu instid0(VALU_DEP_2) | instskip(NEXT) | instid1(VALU_DEP_2)
	v_fmac_f32_e32 v67, v102, v90
	v_mul_f32_e32 v89, 0x3fb8aa3b, v89
	s_delay_alu instid0(VALU_DEP_2) | instskip(NEXT) | instid1(VALU_DEP_2)
	v_fmac_f32_e32 v67, v97, v91
	v_exp_f32_e32 v89, v89
	s_delay_alu instid0(VALU_DEP_1)
	v_fmac_f32_e32 v67, v95, v92
	s_delay_alu instid0(TRANS32_DEP_2) | instid1(VALU_DEP_1)
	v_fmac_f32_e32 v67, v81, v93
	s_waitcnt_depctr 0xfff
	v_fmac_f32_e32 v67, v89, v94
	s_delay_alu instid0(VALU_DEP_1) | instskip(NEXT) | instid1(VALU_DEP_1)
	v_add_f32_e32 v90, 0x358637bd, v67
	v_div_scale_f32 v91, null, v90, v90, 1.0
	v_div_scale_f32 v94, s3, 1.0, v90, 1.0
	s_delay_alu instid0(VALU_DEP_2) | instskip(SKIP_2) | instid1(VALU_DEP_1)
	v_rcp_f32_e32 v92, v91
	s_waitcnt_depctr 0xfff
	v_fma_f32 v93, -v91, v92, 1.0
	v_dual_fmac_f32 v92, v93, v92 :: v_dual_cndmask_b32 v93, v100, v99
	v_cmp_eq_u32_e32 vcc_lo, 3, v65
	s_delay_alu instid0(VALU_DEP_2) | instskip(NEXT) | instid1(VALU_DEP_3)
	v_mul_f32_e32 v96, v94, v92
	v_cndmask_b32_e64 v93, v93, v101, s2
	v_cmp_eq_u32_e64 s2, 4, v65
	s_delay_alu instid0(VALU_DEP_3) | instskip(NEXT) | instid1(VALU_DEP_3)
	v_fma_f32 v98, -v91, v96, v94
	v_cndmask_b32_e32 v93, v93, v102, vcc_lo
	v_cmp_eq_u32_e32 vcc_lo, 5, v65
	s_delay_alu instid0(VALU_DEP_3) | instskip(NEXT) | instid1(VALU_DEP_3)
	v_fmac_f32_e32 v96, v98, v92
	v_cndmask_b32_e64 v93, v93, v97, s2
	v_cmp_eq_u32_e64 s2, 6, v65
	s_delay_alu instid0(VALU_DEP_3) | instskip(NEXT) | instid1(VALU_DEP_3)
	v_fma_f32 v91, -v91, v96, v94
	v_cndmask_b32_e32 v93, v93, v95, vcc_lo
	s_mov_b32 vcc_lo, s3
	s_delay_alu instid0(VALU_DEP_2) | instskip(NEXT) | instid1(VALU_DEP_2)
	v_div_fmas_f32 v91, v91, v92, v96
	v_cndmask_b32_e64 v81, v93, v81, s2
	s_mov_b32 s2, exec_lo
	s_delay_alu instid0(VALU_DEP_2) | instskip(NEXT) | instid1(VALU_DEP_2)
	v_div_fixup_f32 v90, v91, v90, 1.0
	v_cndmask_b32_e64 v81, v81, v89, s4
	s_delay_alu instid0(VALU_DEP_1) | instskip(NEXT) | instid1(VALU_DEP_1)
	v_mul_f32_e32 v81, v81, v90
	v_mul_f32_e32 v90, v81, v82
	;; [unrolled: 1-line block ×6, first 2 shown]
	v_dual_mul_f32 v86, v81, v83 :: v_dual_and_b32 v91, 0x7f800000, v90
	v_mul_f32_e32 v89, v81, v85
	v_mul_f32_e32 v85, v81, v77
                                        ; implicit-def: $vgpr77
	s_delay_alu instid0(VALU_DEP_3)
	v_cmpx_ne_u32_e32 0x7f800000, v91
	s_xor_b32 s2, exec_lo, s2
; %bb.13:
	v_bfe_u32 v77, v90, 16, 1
	s_delay_alu instid0(VALU_DEP_1)
	v_add3_u32 v77, v90, v77, 0x7fff
                                        ; implicit-def: $vgpr90
; %bb.14:
	s_and_not1_saveexec_b32 s2, s2
; %bb.15:
	v_and_b32_e32 v77, 0xffff, v90
	v_or_b32_e32 v83, 0x10000, v90
	s_delay_alu instid0(VALU_DEP_2) | instskip(NEXT) | instid1(VALU_DEP_2)
	v_cmp_eq_u32_e32 vcc_lo, 0, v77
	v_cndmask_b32_e32 v77, v83, v90, vcc_lo
; %bb.16:
	s_or_b32 exec_lo, exec_lo, s2
	v_and_b32_e32 v83, 0x7f800000, v85
	s_delay_alu instid0(VALU_DEP_1) | instskip(SKIP_1) | instid1(SALU_CYCLE_1)
	v_cmp_ne_u32_e32 vcc_lo, 0x7f800000, v83
                                        ; implicit-def: $vgpr83
	s_and_saveexec_b32 s2, vcc_lo
	s_xor_b32 s2, exec_lo, s2
; %bb.17:
	v_bfe_u32 v83, v85, 16, 1
	s_delay_alu instid0(VALU_DEP_1)
	v_add3_u32 v83, v85, v83, 0x7fff
                                        ; implicit-def: $vgpr85
; %bb.18:
	s_and_not1_saveexec_b32 s2, s2
; %bb.19:
	v_and_b32_e32 v83, 0xffff, v85
	v_or_b32_e32 v90, 0x10000, v85
	s_delay_alu instid0(VALU_DEP_2) | instskip(NEXT) | instid1(VALU_DEP_2)
	v_cmp_eq_u32_e32 vcc_lo, 0, v83
	v_cndmask_b32_e32 v83, v90, v85, vcc_lo
; %bb.20:
	s_or_b32 exec_lo, exec_lo, s2
	v_and_b32_e32 v85, 0x7f800000, v86
	s_delay_alu instid0(VALU_DEP_1) | instskip(SKIP_1) | instid1(SALU_CYCLE_1)
	v_cmp_ne_u32_e32 vcc_lo, 0x7f800000, v85
                                        ; implicit-def: $vgpr85
	s_and_saveexec_b32 s2, vcc_lo
	s_xor_b32 s2, exec_lo, s2
; %bb.21:
	v_bfe_u32 v85, v86, 16, 1
	s_delay_alu instid0(VALU_DEP_1)
	v_add3_u32 v85, v86, v85, 0x7fff
                                        ; implicit-def: $vgpr86
; %bb.22:
	s_and_not1_saveexec_b32 s2, s2
; %bb.23:
	v_and_b32_e32 v85, 0xffff, v86
	v_or_b32_e32 v90, 0x10000, v86
	s_delay_alu instid0(VALU_DEP_2) | instskip(NEXT) | instid1(VALU_DEP_2)
	v_cmp_eq_u32_e32 vcc_lo, 0, v85
	v_cndmask_b32_e32 v85, v90, v86, vcc_lo
; %bb.24:
	s_or_b32 exec_lo, exec_lo, s2
	v_and_b32_e32 v86, 0x7f800000, v89
	s_delay_alu instid0(VALU_DEP_1) | instskip(SKIP_1) | instid1(SALU_CYCLE_1)
	v_cmp_ne_u32_e32 vcc_lo, 0x7f800000, v86
                                        ; implicit-def: $vgpr86
	s_and_saveexec_b32 s2, vcc_lo
	s_xor_b32 s2, exec_lo, s2
; %bb.25:
	v_bfe_u32 v86, v89, 16, 1
	s_delay_alu instid0(VALU_DEP_1)
	v_add3_u32 v86, v89, v86, 0x7fff
                                        ; implicit-def: $vgpr89
; %bb.26:
	s_and_not1_saveexec_b32 s2, s2
; %bb.27:
	v_and_b32_e32 v86, 0xffff, v89
	v_or_b32_e32 v90, 0x10000, v89
	s_delay_alu instid0(VALU_DEP_2) | instskip(NEXT) | instid1(VALU_DEP_2)
	v_cmp_eq_u32_e32 vcc_lo, 0, v86
	v_cndmask_b32_e32 v86, v90, v89, vcc_lo
; %bb.28:
	s_or_b32 exec_lo, exec_lo, s2
	v_and_b32_e32 v89, 0x7f800000, v88
	s_delay_alu instid0(VALU_DEP_1) | instskip(SKIP_1) | instid1(SALU_CYCLE_1)
	v_cmp_ne_u32_e32 vcc_lo, 0x7f800000, v89
                                        ; implicit-def: $vgpr89
	s_and_saveexec_b32 s2, vcc_lo
	s_xor_b32 s2, exec_lo, s2
; %bb.29:
	v_bfe_u32 v89, v88, 16, 1
	s_delay_alu instid0(VALU_DEP_1)
	v_add3_u32 v89, v88, v89, 0x7fff
                                        ; implicit-def: $vgpr88
; %bb.30:
	s_and_not1_saveexec_b32 s2, s2
; %bb.31:
	v_and_b32_e32 v89, 0xffff, v88
	v_or_b32_e32 v90, 0x10000, v88
	s_delay_alu instid0(VALU_DEP_2) | instskip(NEXT) | instid1(VALU_DEP_2)
	v_cmp_eq_u32_e32 vcc_lo, 0, v89
	v_cndmask_b32_e32 v89, v90, v88, vcc_lo
; %bb.32:
	s_or_b32 exec_lo, exec_lo, s2
	v_and_b32_e32 v88, 0x7f800000, v87
	s_delay_alu instid0(VALU_DEP_1) | instskip(SKIP_1) | instid1(SALU_CYCLE_1)
	v_cmp_ne_u32_e32 vcc_lo, 0x7f800000, v88
                                        ; implicit-def: $vgpr88
	s_and_saveexec_b32 s2, vcc_lo
	s_xor_b32 s2, exec_lo, s2
; %bb.33:
	v_bfe_u32 v88, v87, 16, 1
	s_delay_alu instid0(VALU_DEP_1)
	v_add3_u32 v88, v87, v88, 0x7fff
                                        ; implicit-def: $vgpr87
; %bb.34:
	s_and_not1_saveexec_b32 s2, s2
; %bb.35:
	v_and_b32_e32 v88, 0xffff, v87
	v_or_b32_e32 v90, 0x10000, v87
	s_delay_alu instid0(VALU_DEP_2) | instskip(NEXT) | instid1(VALU_DEP_2)
	v_cmp_eq_u32_e32 vcc_lo, 0, v88
	v_cndmask_b32_e32 v88, v90, v87, vcc_lo
; %bb.36:
	s_or_b32 exec_lo, exec_lo, s2
	v_and_b32_e32 v87, 0x7f800000, v84
	s_delay_alu instid0(VALU_DEP_1) | instskip(SKIP_1) | instid1(SALU_CYCLE_1)
	v_cmp_ne_u32_e32 vcc_lo, 0x7f800000, v87
                                        ; implicit-def: $vgpr87
	s_and_saveexec_b32 s2, vcc_lo
	s_xor_b32 s2, exec_lo, s2
; %bb.37:
	v_bfe_u32 v87, v84, 16, 1
	s_delay_alu instid0(VALU_DEP_1)
	v_add3_u32 v87, v84, v87, 0x7fff
                                        ; implicit-def: $vgpr84
; %bb.38:
	s_and_not1_saveexec_b32 s2, s2
; %bb.39:
	v_and_b32_e32 v87, 0xffff, v84
	v_or_b32_e32 v90, 0x10000, v84
	s_delay_alu instid0(VALU_DEP_2) | instskip(NEXT) | instid1(VALU_DEP_2)
	v_cmp_eq_u32_e32 vcc_lo, 0, v87
	v_cndmask_b32_e32 v87, v90, v84, vcc_lo
; %bb.40:
	s_or_b32 exec_lo, exec_lo, s2
	v_and_b32_e32 v84, 0x7f800000, v82
	s_delay_alu instid0(VALU_DEP_1) | instskip(SKIP_1) | instid1(SALU_CYCLE_1)
	v_cmp_ne_u32_e32 vcc_lo, 0x7f800000, v84
                                        ; implicit-def: $vgpr84
	s_and_saveexec_b32 s2, vcc_lo
	s_xor_b32 s2, exec_lo, s2
; %bb.41:
	v_bfe_u32 v84, v82, 16, 1
	s_delay_alu instid0(VALU_DEP_1)
	v_add3_u32 v84, v82, v84, 0x7fff
                                        ; implicit-def: $vgpr82
; %bb.42:
	s_and_not1_saveexec_b32 s2, s2
; %bb.43:
	v_and_b32_e32 v84, 0xffff, v82
	v_or_b32_e32 v90, 0x10000, v82
	s_delay_alu instid0(VALU_DEP_2) | instskip(NEXT) | instid1(VALU_DEP_2)
	v_cmp_eq_u32_e32 vcc_lo, 0, v84
	v_cndmask_b32_e32 v84, v90, v82, vcc_lo
; %bb.44:
	s_or_b32 exec_lo, exec_lo, s2
	s_load_b64 s[34:35], s[0:1], 0x94
	v_lshlrev_b32_e32 v82, 4, v74
	s_delay_alu instid0(VALU_DEP_2)
	v_perm_b32 v90, v84, v87, 0x7060302
	v_lshlrev_b32_e32 v84, 11, v65
	v_perm_b32 v87, v83, v77, 0x7060302
	v_mul_f32_e32 v83, v81, v69
	v_mul_f32_e32 v69, v81, v80
	v_perm_b32 v89, v88, v89, 0x7060302
	v_perm_b32 v88, v86, v85, 0x7060302
	v_or3_b32 v77, v82, v84, v76
	v_mul_f32_e32 v79, v81, v79
	v_mul_f32_e32 v78, v81, v78
	v_and_b32_e32 v84, 0x7f800000, v83
	v_mul_f32_e32 v72, v81, v72
	v_mul_f32_e32 v82, v81, v71
	;; [unrolled: 1-line block ×4, first 2 shown]
	s_mov_b32 s2, exec_lo
	ds_store_b128 v77, v[87:90]
                                        ; implicit-def: $vgpr68
	v_cmpx_ne_u32_e32 0x7f800000, v84
	s_xor_b32 s2, exec_lo, s2
; %bb.45:
	v_bfe_u32 v68, v83, 16, 1
	s_delay_alu instid0(VALU_DEP_1)
	v_add3_u32 v68, v83, v68, 0x7fff
                                        ; implicit-def: $vgpr83
; %bb.46:
	s_and_not1_saveexec_b32 s2, s2
; %bb.47:
	v_and_b32_e32 v68, 0xffff, v83
	v_or_b32_e32 v70, 0x10000, v83
	s_delay_alu instid0(VALU_DEP_2) | instskip(NEXT) | instid1(VALU_DEP_2)
	v_cmp_eq_u32_e32 vcc_lo, 0, v68
	v_cndmask_b32_e32 v68, v70, v83, vcc_lo
; %bb.48:
	s_or_b32 exec_lo, exec_lo, s2
	v_and_b32_e32 v70, 0x7f800000, v71
	s_delay_alu instid0(VALU_DEP_1) | instskip(SKIP_1) | instid1(SALU_CYCLE_1)
	v_cmp_ne_u32_e32 vcc_lo, 0x7f800000, v70
                                        ; implicit-def: $vgpr70
	s_and_saveexec_b32 s2, vcc_lo
	s_xor_b32 s2, exec_lo, s2
; %bb.49:
	v_bfe_u32 v70, v71, 16, 1
	s_delay_alu instid0(VALU_DEP_1)
	v_add3_u32 v70, v71, v70, 0x7fff
                                        ; implicit-def: $vgpr71
; %bb.50:
	s_and_not1_saveexec_b32 s2, s2
; %bb.51:
	v_and_b32_e32 v70, 0xffff, v71
	v_or_b32_e32 v81, 0x10000, v71
	s_delay_alu instid0(VALU_DEP_2) | instskip(NEXT) | instid1(VALU_DEP_2)
	v_cmp_eq_u32_e32 vcc_lo, 0, v70
	v_cndmask_b32_e32 v70, v81, v71, vcc_lo
; %bb.52:
	s_or_b32 exec_lo, exec_lo, s2
	v_and_b32_e32 v71, 0x7f800000, v80
	s_delay_alu instid0(VALU_DEP_1) | instskip(SKIP_1) | instid1(SALU_CYCLE_1)
	v_cmp_ne_u32_e32 vcc_lo, 0x7f800000, v71
                                        ; implicit-def: $vgpr71
	s_and_saveexec_b32 s2, vcc_lo
	s_xor_b32 s2, exec_lo, s2
; %bb.53:
	v_bfe_u32 v71, v80, 16, 1
	s_delay_alu instid0(VALU_DEP_1)
	v_add3_u32 v71, v80, v71, 0x7fff
                                        ; implicit-def: $vgpr80
; %bb.54:
	s_and_not1_saveexec_b32 s2, s2
; %bb.55:
	v_and_b32_e32 v71, 0xffff, v80
	v_or_b32_e32 v81, 0x10000, v80
	s_delay_alu instid0(VALU_DEP_2) | instskip(NEXT) | instid1(VALU_DEP_2)
	v_cmp_eq_u32_e32 vcc_lo, 0, v71
	v_cndmask_b32_e32 v71, v81, v80, vcc_lo
; %bb.56:
	s_or_b32 exec_lo, exec_lo, s2
	v_and_b32_e32 v80, 0x7f800000, v82
	s_delay_alu instid0(VALU_DEP_1) | instskip(SKIP_1) | instid1(SALU_CYCLE_1)
	v_cmp_ne_u32_e32 vcc_lo, 0x7f800000, v80
                                        ; implicit-def: $vgpr80
	s_and_saveexec_b32 s2, vcc_lo
	s_xor_b32 s2, exec_lo, s2
; %bb.57:
	v_bfe_u32 v80, v82, 16, 1
	s_delay_alu instid0(VALU_DEP_1)
	v_add3_u32 v80, v82, v80, 0x7fff
                                        ; implicit-def: $vgpr82
; %bb.58:
	s_and_not1_saveexec_b32 s2, s2
; %bb.59:
	v_and_b32_e32 v80, 0xffff, v82
	v_or_b32_e32 v81, 0x10000, v82
	s_delay_alu instid0(VALU_DEP_2) | instskip(NEXT) | instid1(VALU_DEP_2)
	v_cmp_eq_u32_e32 vcc_lo, 0, v80
	v_cndmask_b32_e32 v80, v81, v82, vcc_lo
; %bb.60:
	s_or_b32 exec_lo, exec_lo, s2
	v_and_b32_e32 v81, 0x7f800000, v72
	s_delay_alu instid0(VALU_DEP_1) | instskip(SKIP_1) | instid1(SALU_CYCLE_1)
	v_cmp_ne_u32_e32 vcc_lo, 0x7f800000, v81
                                        ; implicit-def: $vgpr81
	s_and_saveexec_b32 s2, vcc_lo
	s_xor_b32 s2, exec_lo, s2
; %bb.61:
	v_bfe_u32 v81, v72, 16, 1
	s_delay_alu instid0(VALU_DEP_1)
	v_add3_u32 v81, v72, v81, 0x7fff
                                        ; implicit-def: $vgpr72
; %bb.62:
	s_and_not1_saveexec_b32 s2, s2
; %bb.63:
	v_and_b32_e32 v81, 0xffff, v72
	v_or_b32_e32 v82, 0x10000, v72
	s_delay_alu instid0(VALU_DEP_2) | instskip(NEXT) | instid1(VALU_DEP_2)
	v_cmp_eq_u32_e32 vcc_lo, 0, v81
	v_cndmask_b32_e32 v81, v82, v72, vcc_lo
; %bb.64:
	s_or_b32 exec_lo, exec_lo, s2
	v_and_b32_e32 v72, 0x7f800000, v78
	s_delay_alu instid0(VALU_DEP_1) | instskip(SKIP_1) | instid1(SALU_CYCLE_1)
	v_cmp_ne_u32_e32 vcc_lo, 0x7f800000, v72
                                        ; implicit-def: $vgpr72
	s_and_saveexec_b32 s2, vcc_lo
	s_xor_b32 s2, exec_lo, s2
; %bb.65:
	v_bfe_u32 v72, v78, 16, 1
	s_delay_alu instid0(VALU_DEP_1)
	v_add3_u32 v72, v78, v72, 0x7fff
                                        ; implicit-def: $vgpr78
; %bb.66:
	s_and_not1_saveexec_b32 s2, s2
; %bb.67:
	v_and_b32_e32 v72, 0xffff, v78
	v_or_b32_e32 v82, 0x10000, v78
	s_delay_alu instid0(VALU_DEP_2) | instskip(NEXT) | instid1(VALU_DEP_2)
	v_cmp_eq_u32_e32 vcc_lo, 0, v72
	v_cndmask_b32_e32 v72, v82, v78, vcc_lo
; %bb.68:
	s_or_b32 exec_lo, exec_lo, s2
	v_and_b32_e32 v78, 0x7f800000, v79
	s_delay_alu instid0(VALU_DEP_1) | instskip(SKIP_1) | instid1(SALU_CYCLE_1)
	v_cmp_ne_u32_e32 vcc_lo, 0x7f800000, v78
                                        ; implicit-def: $vgpr78
	s_and_saveexec_b32 s2, vcc_lo
	s_xor_b32 s2, exec_lo, s2
; %bb.69:
	v_bfe_u32 v78, v79, 16, 1
	s_delay_alu instid0(VALU_DEP_1)
	v_add3_u32 v78, v79, v78, 0x7fff
                                        ; implicit-def: $vgpr79
; %bb.70:
	s_and_not1_saveexec_b32 s2, s2
; %bb.71:
	v_and_b32_e32 v78, 0xffff, v79
	v_or_b32_e32 v82, 0x10000, v79
	s_delay_alu instid0(VALU_DEP_2) | instskip(NEXT) | instid1(VALU_DEP_2)
	v_cmp_eq_u32_e32 vcc_lo, 0, v78
	v_cndmask_b32_e32 v78, v82, v79, vcc_lo
; %bb.72:
	s_or_b32 exec_lo, exec_lo, s2
	v_and_b32_e32 v79, 0x7f800000, v69
	s_delay_alu instid0(VALU_DEP_1) | instskip(SKIP_1) | instid1(SALU_CYCLE_1)
	v_cmp_ne_u32_e32 vcc_lo, 0x7f800000, v79
                                        ; implicit-def: $vgpr79
	s_and_saveexec_b32 s2, vcc_lo
	s_xor_b32 s2, exec_lo, s2
; %bb.73:
	v_bfe_u32 v79, v69, 16, 1
	s_delay_alu instid0(VALU_DEP_1)
	v_add3_u32 v79, v69, v79, 0x7fff
                                        ; implicit-def: $vgpr69
; %bb.74:
	s_and_not1_saveexec_b32 s2, s2
; %bb.75:
	v_and_b32_e32 v79, 0xffff, v69
	v_or_b32_e32 v82, 0x10000, v69
	s_delay_alu instid0(VALU_DEP_2) | instskip(NEXT) | instid1(VALU_DEP_2)
	v_cmp_eq_u32_e32 vcc_lo, 0, v79
	v_cndmask_b32_e32 v79, v82, v69, vcc_lo
; %bb.76:
	s_or_b32 exec_lo, exec_lo, s2
	s_delay_alu instid0(VALU_DEP_1)
	v_perm_b32 v86, v79, v78, 0x7060302
	v_perm_b32 v85, v72, v81, 0x7060302
	;; [unrolled: 1-line block ×4, first 2 shown]
	v_lshl_or_b32 v82, v65, 11, v76
	v_lshlrev_b32_e32 v79, 2, v74
	ds_store_b128 v77, v[83:86] offset:1024
	s_waitcnt lgkmcnt(0)
	s_barrier
	buffer_gl0_inv
	ds_load_b128 v[68:71], v82
	ds_load_b128 v[83:86], v82 offset:16
	v_or_b32_e32 v80, 1, v79
	v_cmp_eq_u32_e32 vcc_lo, 1, v79
	v_cmp_eq_u32_e64 s3, 2, v79
	v_cmp_eq_u32_e64 s6, 3, v79
	v_cmp_eq_u32_e64 s8, 4, v79
	v_cmp_eq_u32_e64 s2, 1, v80
	v_cmp_eq_u32_e64 s5, 2, v80
	v_cmp_eq_u32_e64 s7, 3, v80
	v_or_b32_e32 v78, 2, v79
	v_cmp_eq_u32_e64 s9, 5, v79
	v_cmp_eq_u32_e64 s10, 4, v80
	;; [unrolled: 1-line block ×9, first 2 shown]
	s_waitcnt lgkmcnt(1)
	v_lshrrev_b32_e32 v65, 16, v68
	s_waitcnt lgkmcnt(0)
	v_lshrrev_b32_e32 v91, 16, v83
	v_lshrrev_b32_e32 v72, 16, v69
	;; [unrolled: 1-line block ×4, first 2 shown]
	v_cndmask_b32_e32 v81, v68, v65, vcc_lo
	v_cndmask_b32_e32 v87, v83, v91, vcc_lo
	v_cndmask_b32_e64 v88, v68, v65, s2
	v_lshrrev_b32_e32 v98, 16, v85
	v_cndmask_b32_e64 v89, v83, v91, s2
	v_cndmask_b32_e64 v81, v81, v69, s3
	v_cndmask_b32_e64 v87, v87, v84, s3
	v_cndmask_b32_e64 v88, v88, v69, s5
	v_lshrrev_b32_e32 v96, 16, v71
	v_cndmask_b32_e64 v89, v89, v84, s5
	v_cndmask_b32_e64 v81, v81, v72, s6
	v_cndmask_b32_e64 v87, v87, v97, s6
	;; [unrolled: 5-line block ×3, first 2 shown]
	v_cndmask_b32_e64 v88, v88, v70, s10
	v_cndmask_b32_e64 v89, v89, v97, s7
	v_cmp_eq_u32_e64 s18, 3, v78
	v_cndmask_b32_e64 v81, v81, v95, s9
	v_cndmask_b32_e64 v87, v87, v98, s9
	;; [unrolled: 1-line block ×4, first 2 shown]
	v_cmp_eq_u32_e64 s19, 4, v78
	v_cndmask_b32_e64 v81, v81, v71, s11
	v_cndmask_b32_e64 v87, v87, v86, s11
	;; [unrolled: 1-line block ×3, first 2 shown]
	v_cmp_eq_u32_e64 s21, 5, v78
	v_cmp_eq_u32_e64 s23, 6, v78
	v_cndmask_b32_e64 v100, v81, v96, s13
	v_cndmask_b32_e64 v101, v87, v99, s13
	;; [unrolled: 1-line block ×6, first 2 shown]
	v_cmp_eq_u32_e64 s26, 7, v78
	v_cndmask_b32_e64 v89, v81, v72, s18
	v_cndmask_b32_e64 v87, v87, v84, s16
	v_or_b32_e32 v81, 3, v79
	v_cndmask_b32_e64 v103, v88, v86, s15
	s_delay_alu instid0(VALU_DEP_4) | instskip(NEXT) | instid1(VALU_DEP_4)
	v_cndmask_b32_e64 v92, v89, v70, s19
	v_cndmask_b32_e64 v93, v87, v97, s18
	s_delay_alu instid0(VALU_DEP_4)
	v_cmp_eq_u32_e64 s20, 1, v81
	ds_load_b128 v[87:90], v82 offset:1024
	v_cmp_eq_u32_e64 s22, 2, v81
	v_cndmask_b32_e64 v104, v92, v95, s21
	v_cmp_eq_u32_e64 s24, 3, v81
	v_cndmask_b32_e64 v65, v68, v65, s20
	v_cndmask_b32_e64 v68, v93, v85, s19
	;; [unrolled: 1-line block ×3, first 2 shown]
	ds_load_b128 v[91:94], v82 offset:1040
	v_cmp_eq_u32_e64 s25, 4, v81
	v_cndmask_b32_e64 v65, v65, v69, s22
	v_cmp_eq_u32_e64 s27, 5, v81
	v_cndmask_b32_e64 v69, v83, v84, s22
	;; [unrolled: 2-line block ×3, first 2 shown]
	v_cndmask_b32_e64 v65, v65, v72, s24
	v_cndmask_b32_e64 v72, v104, v71, s23
	;; [unrolled: 1-line block ×6, first 2 shown]
	s_waitcnt lgkmcnt(1)
	v_lshrrev_b32_e32 v84, 16, v87
	v_cndmask_b32_e64 v69, v69, v85, s25
	v_cndmask_b32_e64 v70, v72, v96, s26
	;; [unrolled: 1-line block ×4, first 2 shown]
	v_cndmask_b32_e32 v72, v87, v84, vcc_lo
	v_cndmask_b32_e64 v69, v69, v98, s27
	s_waitcnt lgkmcnt(0)
	v_lshrrev_b32_e32 v85, 16, v91
	v_lshrrev_b32_e32 v95, 16, v88
	v_cndmask_b32_e64 v97, v87, v84, s2
	v_cndmask_b32_e64 v72, v72, v88, s3
	v_cndmask_b32_e64 v65, v65, v71, s28
	v_cndmask_b32_e32 v98, v91, v85, vcc_lo
	v_cmp_eq_u32_e32 vcc_lo, 7, v81
	v_cndmask_b32_e64 v69, v69, v86, s28
	v_cndmask_b32_e64 v71, v72, v95, s6
	;; [unrolled: 1-line block ×3, first 2 shown]
	v_lshrrev_b32_e32 v97, 16, v92
	v_cndmask_b32_e32 v65, v65, v96, vcc_lo
	v_cndmask_b32_e64 v86, v98, v92, s3
	v_cndmask_b32_e32 v69, v69, v99, vcc_lo
	v_lshrrev_b32_e32 v99, 16, v93
	v_cndmask_b32_e64 v71, v71, v89, s8
	v_lshrrev_b32_e32 v98, 16, v89
	v_cndmask_b32_e64 v86, v86, v97, s6
	v_perm_b32 v70, v68, v70, 0x5040100
	v_cndmask_b32_e64 v72, v72, v95, s7
	s_delay_alu instid0(VALU_DEP_4) | instskip(NEXT) | instid1(VALU_DEP_4)
	v_cndmask_b32_e64 v96, v71, v98, s9
	v_cndmask_b32_e64 v86, v86, v93, s8
	v_perm_b32 v71, v69, v65, 0x5040100
	v_perm_b32 v69, v83, v102, 0x5040100
	v_cndmask_b32_e64 v102, v91, v85, s4
	v_cndmask_b32_e64 v72, v72, v89, s10
	;; [unrolled: 1-line block ×3, first 2 shown]
	v_lshrrev_b32_e32 v83, 16, v94
	s_delay_alu instid0(VALU_DEP_3) | instskip(NEXT) | instid1(VALU_DEP_3)
	v_cndmask_b32_e64 v65, v72, v98, s12
	v_cndmask_b32_e64 v68, v86, v94, s11
	;; [unrolled: 1-line block ×27, first 2 shown]
	v_lshrrev_b32_e32 v96, 16, v90
	v_cndmask_b32_e64 v65, v65, v90, s15
	v_cndmask_b32_e64 v86, v86, v90, s23
	v_cndmask_b32_e64 v84, v84, v90, s28
	v_cndmask_b32_e64 v87, v87, v94, s28
	v_cndmask_b32_e64 v88, v88, v94, s23
	v_cndmask_b32_e64 v85, v85, v94, s15
	v_cndmask_b32_e64 v72, v72, v96, s13
	v_cndmask_b32_e64 v65, v65, v96, s17
	v_cndmask_b32_e64 v89, v86, v96, s26
	v_cndmask_b32_e32 v84, v84, v96, vcc_lo
	v_cndmask_b32_e32 v86, v87, v83, vcc_lo
	v_cndmask_b32_e64 v87, v88, v83, s26
	v_cndmask_b32_e64 v88, v85, v83, s17
	;; [unrolled: 1-line block ×3, first 2 shown]
	v_perm_b32 v68, v101, v100, 0x5040100
	v_perm_b32 v86, v86, v84, 0x5040100
	;; [unrolled: 1-line block ×5, first 2 shown]
	s_lshl_b32 s7, s35, 4
	s_mov_b32 s2, exec_lo
	ds_store_b128 v77, v[68:71]
	ds_store_b128 v77, v[83:86] offset:1024
	v_cmpx_gt_u32_e32 16, v0
	s_cbranch_execz .LBB1641_78
; %bb.77:
	v_or_b32_e32 v65, s29, v0
	s_load_b128 s[8:11], s[0:1], 0x58
	s_delay_alu instid0(VALU_DEP_1) | instskip(NEXT) | instid1(VALU_DEP_1)
	v_mad_u64_u32 v[68:69], null, s7, s30, v[65:66]
	v_mad_u64_u32 v[69:70], null, v68, s34, s[14:15]
	s_delay_alu instid0(VALU_DEP_1) | instskip(NEXT) | instid1(VALU_DEP_1)
	v_ashrrev_i32_e32 v70, 31, v69
	v_lshlrev_b64 v[68:69], 2, v[69:70]
	s_waitcnt lgkmcnt(0)
	s_delay_alu instid0(VALU_DEP_1) | instskip(NEXT) | instid1(VALU_DEP_2)
	v_add_co_u32 v70, vcc_lo, s10, v68
	v_add_co_ci_u32_e32 v71, vcc_lo, s11, v69, vcc_lo
	v_add_co_u32 v68, vcc_lo, s8, v68
	v_add_co_ci_u32_e32 v69, vcc_lo, s9, v69, vcc_lo
	global_store_b32 v[70:71], v66, off
	global_store_b32 v[68:69], v67, off
.LBB1641_78:
	s_or_b32 exec_lo, exec_lo, s2
	s_waitcnt lgkmcnt(0)
	s_waitcnt_vscnt null, 0x0
	s_barrier
	buffer_gl0_inv
	ds_load_b128 v[83:86], v76
	ds_load_b128 v[87:90], v76 offset:16
	ds_load_b128 v[95:98], v76 offset:2064
	;; [unrolled: 1-line block ×3, first 2 shown]
	v_mov_b32_e32 v65, 0
	ds_load_b128 v[103:106], v76 offset:4112
	ds_load_b128 v[99:102], v76 offset:4096
	;; [unrolled: 1-line block ×4, first 2 shown]
	v_mov_b32_e32 v66, v65
	v_mov_b32_e32 v67, v65
	;; [unrolled: 1-line block ×7, first 2 shown]
	s_waitcnt lgkmcnt(6)
	s_delay_alu instid0(VALU_DEP_1)
	v_wmma_f32_16x16x16_bf16 v[65:72], v[49:56], v[83:90], v[65:72]
	ds_load_b128 v[53:56], v76 offset:8208
	ds_load_b128 v[49:52], v76 offset:8192
	s_waitcnt lgkmcnt(6)
	v_wmma_f32_16x16x16_bf16 v[65:72], v[41:48], v[91:98], v[65:72]
	ds_load_b128 v[45:48], v76 offset:10256
	ds_load_b128 v[41:44], v76 offset:10240
	s_waitcnt lgkmcnt(6)
	;; [unrolled: 4-line block ×4, first 2 shown]
	v_wmma_f32_16x16x16_bf16 v[65:72], v[1:8], v[49:56], v[65:72]
	s_waitcnt lgkmcnt(4)
	s_delay_alu instid0(VALU_DEP_1) | instskip(SKIP_1) | instid1(VALU_DEP_1)
	v_wmma_f32_16x16x16_bf16 v[65:72], v[9:16], v[41:48], v[65:72]
	s_waitcnt lgkmcnt(2)
	v_wmma_f32_16x16x16_bf16 v[65:72], v[17:24], v[33:40], v[65:72]
	s_waitcnt lgkmcnt(0)
	s_delay_alu instid0(VALU_DEP_1) | instskip(NEXT) | instid1(VALU_DEP_1)
	v_wmma_f32_16x16x16_bf16 v[65:72], v[57:64], v[25:32], v[65:72]
	v_and_b32_e32 v1, 0x7f800000, v65
	s_delay_alu instid0(VALU_DEP_1) | instskip(SKIP_1) | instid1(SALU_CYCLE_1)
	v_cmp_ne_u32_e32 vcc_lo, 0x7f800000, v1
                                        ; implicit-def: $vgpr1
	s_and_saveexec_b32 s2, vcc_lo
	s_xor_b32 s2, exec_lo, s2
; %bb.79:
	v_bfe_u32 v1, v65, 16, 1
	s_delay_alu instid0(VALU_DEP_1)
	v_add3_u32 v1, v65, v1, 0x7fff
; %bb.80:
	s_and_not1_saveexec_b32 s2, s2
; %bb.81:
	v_and_b32_e32 v1, 0xffff, v65
	v_or_b32_e32 v2, 0x10000, v65
	s_delay_alu instid0(VALU_DEP_2) | instskip(NEXT) | instid1(VALU_DEP_2)
	v_cmp_eq_u32_e32 vcc_lo, 0, v1
	v_cndmask_b32_e32 v1, v2, v65, vcc_lo
; %bb.82:
	s_or_b32 exec_lo, exec_lo, s2
	v_and_b32_e32 v2, 0x7f800000, v66
	s_delay_alu instid0(VALU_DEP_1) | instskip(SKIP_1) | instid1(SALU_CYCLE_1)
	v_cmp_ne_u32_e32 vcc_lo, 0x7f800000, v2
                                        ; implicit-def: $vgpr2
	s_and_saveexec_b32 s2, vcc_lo
	s_xor_b32 s2, exec_lo, s2
; %bb.83:
	v_bfe_u32 v2, v66, 16, 1
	s_delay_alu instid0(VALU_DEP_1)
	v_add3_u32 v2, v66, v2, 0x7fff
; %bb.84:
	s_and_not1_saveexec_b32 s2, s2
; %bb.85:
	v_and_b32_e32 v2, 0xffff, v66
	v_or_b32_e32 v3, 0x10000, v66
	s_delay_alu instid0(VALU_DEP_2) | instskip(NEXT) | instid1(VALU_DEP_2)
	v_cmp_eq_u32_e32 vcc_lo, 0, v2
	v_cndmask_b32_e32 v2, v3, v66, vcc_lo
; %bb.86:
	s_or_b32 exec_lo, exec_lo, s2
	v_and_b32_e32 v3, 0x7f800000, v67
	s_delay_alu instid0(VALU_DEP_1) | instskip(SKIP_1) | instid1(SALU_CYCLE_1)
	v_cmp_ne_u32_e32 vcc_lo, 0x7f800000, v3
                                        ; implicit-def: $vgpr3
	s_and_saveexec_b32 s2, vcc_lo
	s_xor_b32 s2, exec_lo, s2
; %bb.87:
	v_bfe_u32 v3, v67, 16, 1
	s_delay_alu instid0(VALU_DEP_1)
	v_add3_u32 v3, v67, v3, 0x7fff
; %bb.88:
	s_and_not1_saveexec_b32 s2, s2
; %bb.89:
	v_and_b32_e32 v3, 0xffff, v67
	v_or_b32_e32 v4, 0x10000, v67
	s_delay_alu instid0(VALU_DEP_2) | instskip(NEXT) | instid1(VALU_DEP_2)
	v_cmp_eq_u32_e32 vcc_lo, 0, v3
	v_cndmask_b32_e32 v3, v4, v67, vcc_lo
; %bb.90:
	s_or_b32 exec_lo, exec_lo, s2
	v_and_b32_e32 v4, 0x7f800000, v68
	s_delay_alu instid0(VALU_DEP_1) | instskip(SKIP_1) | instid1(SALU_CYCLE_1)
	v_cmp_ne_u32_e32 vcc_lo, 0x7f800000, v4
                                        ; implicit-def: $vgpr4
	s_and_saveexec_b32 s2, vcc_lo
	s_xor_b32 s2, exec_lo, s2
; %bb.91:
	v_bfe_u32 v4, v68, 16, 1
	s_delay_alu instid0(VALU_DEP_1)
	v_add3_u32 v4, v68, v4, 0x7fff
; %bb.92:
	s_and_not1_saveexec_b32 s2, s2
; %bb.93:
	v_and_b32_e32 v4, 0xffff, v68
	v_or_b32_e32 v5, 0x10000, v68
	s_delay_alu instid0(VALU_DEP_2) | instskip(NEXT) | instid1(VALU_DEP_2)
	v_cmp_eq_u32_e32 vcc_lo, 0, v4
	v_cndmask_b32_e32 v4, v5, v68, vcc_lo
; %bb.94:
	s_or_b32 exec_lo, exec_lo, s2
	v_and_b32_e32 v5, 0x7f800000, v69
	s_delay_alu instid0(VALU_DEP_1) | instskip(SKIP_1) | instid1(SALU_CYCLE_1)
	v_cmp_ne_u32_e32 vcc_lo, 0x7f800000, v5
                                        ; implicit-def: $vgpr5
	s_and_saveexec_b32 s2, vcc_lo
	s_xor_b32 s2, exec_lo, s2
; %bb.95:
	v_bfe_u32 v5, v69, 16, 1
	s_delay_alu instid0(VALU_DEP_1)
	v_add3_u32 v5, v69, v5, 0x7fff
; %bb.96:
	s_and_not1_saveexec_b32 s2, s2
; %bb.97:
	v_and_b32_e32 v5, 0xffff, v69
	v_or_b32_e32 v6, 0x10000, v69
	s_delay_alu instid0(VALU_DEP_2) | instskip(NEXT) | instid1(VALU_DEP_2)
	v_cmp_eq_u32_e32 vcc_lo, 0, v5
	v_cndmask_b32_e32 v5, v6, v69, vcc_lo
; %bb.98:
	s_or_b32 exec_lo, exec_lo, s2
	v_and_b32_e32 v6, 0x7f800000, v70
	s_delay_alu instid0(VALU_DEP_1) | instskip(SKIP_1) | instid1(SALU_CYCLE_1)
	v_cmp_ne_u32_e32 vcc_lo, 0x7f800000, v6
                                        ; implicit-def: $vgpr6
	s_and_saveexec_b32 s2, vcc_lo
	s_xor_b32 s2, exec_lo, s2
; %bb.99:
	v_bfe_u32 v6, v70, 16, 1
	s_delay_alu instid0(VALU_DEP_1)
	v_add3_u32 v6, v70, v6, 0x7fff
; %bb.100:
	s_and_not1_saveexec_b32 s2, s2
; %bb.101:
	v_and_b32_e32 v6, 0xffff, v70
	v_or_b32_e32 v7, 0x10000, v70
	s_delay_alu instid0(VALU_DEP_2) | instskip(NEXT) | instid1(VALU_DEP_2)
	v_cmp_eq_u32_e32 vcc_lo, 0, v6
	v_cndmask_b32_e32 v6, v7, v70, vcc_lo
; %bb.102:
	s_or_b32 exec_lo, exec_lo, s2
	v_and_b32_e32 v7, 0x7f800000, v71
	s_delay_alu instid0(VALU_DEP_1) | instskip(SKIP_1) | instid1(SALU_CYCLE_1)
	v_cmp_ne_u32_e32 vcc_lo, 0x7f800000, v7
                                        ; implicit-def: $vgpr7
	s_and_saveexec_b32 s2, vcc_lo
	s_xor_b32 s2, exec_lo, s2
; %bb.103:
	v_bfe_u32 v7, v71, 16, 1
	s_delay_alu instid0(VALU_DEP_1)
	v_add3_u32 v7, v71, v7, 0x7fff
; %bb.104:
	s_and_not1_saveexec_b32 s2, s2
; %bb.105:
	v_and_b32_e32 v7, 0xffff, v71
	v_or_b32_e32 v8, 0x10000, v71
	s_delay_alu instid0(VALU_DEP_2) | instskip(NEXT) | instid1(VALU_DEP_2)
	v_cmp_eq_u32_e32 vcc_lo, 0, v7
	v_cndmask_b32_e32 v7, v8, v71, vcc_lo
; %bb.106:
	s_or_b32 exec_lo, exec_lo, s2
	v_and_b32_e32 v8, 0x7f800000, v72
	s_delay_alu instid0(VALU_DEP_1) | instskip(SKIP_1) | instid1(SALU_CYCLE_1)
	v_cmp_ne_u32_e32 vcc_lo, 0x7f800000, v8
                                        ; implicit-def: $vgpr8
	s_and_saveexec_b32 s2, vcc_lo
	s_xor_b32 s2, exec_lo, s2
; %bb.107:
	v_bfe_u32 v8, v72, 16, 1
	s_delay_alu instid0(VALU_DEP_1)
	v_add3_u32 v8, v72, v8, 0x7fff
                                        ; implicit-def: $vgpr65_vgpr66_vgpr67_vgpr68_vgpr69_vgpr70_vgpr71_vgpr72
; %bb.108:
	s_and_not1_saveexec_b32 s2, s2
; %bb.109:
	v_and_b32_e32 v8, 0xffff, v72
	v_or_b32_e32 v9, 0x10000, v72
	s_delay_alu instid0(VALU_DEP_2) | instskip(NEXT) | instid1(VALU_DEP_2)
	v_cmp_eq_u32_e32 vcc_lo, 0, v8
	v_cndmask_b32_e32 v8, v9, v72, vcc_lo
; %bb.110:
	s_or_b32 exec_lo, exec_lo, s2
	s_delay_alu instid0(VALU_DEP_1)
	v_perm_b32 v7, v8, v7, 0x7060302
	v_perm_b32 v6, v6, v5, 0x7060302
	;; [unrolled: 1-line block ×4, first 2 shown]
	s_barrier
	buffer_gl0_inv
	v_cmp_eq_u32_e32 vcc_lo, 1, v79
	ds_store_b128 v77, v[4:7]
	s_waitcnt lgkmcnt(0)
	s_barrier
	buffer_gl0_inv
	ds_load_b128 v[1:4], v82
	ds_load_b128 v[5:8], v82 offset:16
	v_cmp_eq_u32_e64 s2, 1, v80
	v_cmp_eq_u32_e64 s3, 2, v79
	;; [unrolled: 1-line block ×5, first 2 shown]
	s_waitcnt lgkmcnt(1)
	v_lshrrev_b32_e32 v9, 16, v1
	s_waitcnt lgkmcnt(0)
	v_lshrrev_b32_e32 v13, 16, v5
	v_lshrrev_b32_e32 v10, 16, v2
	;; [unrolled: 1-line block ×4, first 2 shown]
	v_cndmask_b32_e64 v19, v1, v9, s2
	v_cndmask_b32_e32 v18, v5, v13, vcc_lo
	v_cndmask_b32_e64 v20, v5, v13, s2
	v_cndmask_b32_e32 v17, v1, v9, vcc_lo
	v_cmp_eq_u32_e32 vcc_lo, 2, v80
	v_lshrrev_b32_e32 v15, 16, v7
	v_cmp_eq_u32_e64 s2, 1, v78
	v_lshrrev_b32_e32 v12, 16, v4
	v_lshrrev_b32_e32 v16, 16, v8
	v_cndmask_b32_e32 v20, v20, v6, vcc_lo
	v_cndmask_b32_e64 v17, v17, v2, s3
	v_cndmask_b32_e32 v19, v19, v2, vcc_lo
	v_cndmask_b32_e64 v18, v18, v6, s3
	v_cmp_eq_u32_e32 vcc_lo, 4, v79
	v_cmp_eq_u32_e64 s3, 3, v80
	v_cndmask_b32_e64 v17, v17, v10, s4
	v_cndmask_b32_e64 v21, v1, v9, s2
	;; [unrolled: 1-line block ×5, first 2 shown]
	v_cndmask_b32_e32 v17, v17, v3, vcc_lo
	v_cndmask_b32_e64 v20, v20, v14, s3
	v_cndmask_b32_e32 v18, v18, v7, vcc_lo
	v_cmp_eq_u32_e32 vcc_lo, 4, v80
	v_cmp_eq_u32_e64 s3, 5, v80
	v_cmp_eq_u32_e64 s2, 2, v81
	v_cndmask_b32_e64 v21, v21, v2, s6
	v_cmp_eq_u32_e64 s4, 5, v79
	v_cndmask_b32_e32 v19, v19, v3, vcc_lo
	v_cndmask_b32_e32 v20, v20, v7, vcc_lo
	v_cmp_eq_u32_e32 vcc_lo, 6, v80
	s_delay_alu instid0(VALU_DEP_4) | instskip(NEXT) | instid1(VALU_DEP_4)
	v_cndmask_b32_e64 v17, v17, v11, s4
	v_cndmask_b32_e64 v19, v19, v11, s3
	s_delay_alu instid0(VALU_DEP_4) | instskip(SKIP_1) | instid1(VALU_DEP_3)
	v_cndmask_b32_e64 v20, v20, v15, s3
	v_cmp_eq_u32_e64 s3, 1, v81
	v_cndmask_b32_e32 v19, v19, v4, vcc_lo
	v_cndmask_b32_e64 v18, v18, v15, s4
	s_delay_alu instid0(VALU_DEP_3)
	v_cndmask_b32_e64 v1, v1, v9, s3
	v_cndmask_b32_e64 v5, v5, v13, s3
	v_cmp_eq_u32_e64 s3, 3, v78
	v_cndmask_b32_e64 v13, v22, v6, s6
	v_cmp_eq_u32_e64 s6, 3, v81
	v_cndmask_b32_e64 v1, v1, v2, s2
	v_cndmask_b32_e64 v2, v5, v6, s2
	;; [unrolled: 1-line block ×3, first 2 shown]
	v_cmp_eq_u32_e64 s2, 4, v78
	v_cndmask_b32_e64 v6, v13, v14, s3
	v_cndmask_b32_e64 v1, v1, v10, s6
	v_cmp_eq_u32_e64 s3, 4, v81
	v_cndmask_b32_e64 v2, v2, v14, s6
	v_cndmask_b32_e64 v5, v9, v3, s2
	v_cmp_eq_u32_e64 s6, 5, v78
	v_cndmask_b32_e64 v6, v6, v7, s2
	v_cndmask_b32_e64 v1, v1, v3, s3
	v_cndmask_b32_e64 v2, v2, v7, s3
	v_cmp_eq_u32_e64 s2, 5, v81
	v_cmp_eq_u32_e64 s4, 6, v79
	v_cndmask_b32_e64 v5, v5, v11, s6
	v_cmp_eq_u32_e64 s3, 6, v78
	v_cndmask_b32_e64 v3, v6, v15, s6
	v_cndmask_b32_e64 v1, v1, v11, s2
	v_cmp_eq_u32_e64 s6, 6, v81
	v_cndmask_b32_e64 v2, v2, v15, s2
	v_cndmask_b32_e64 v17, v17, v4, s4
	v_cndmask_b32_e64 v18, v18, v8, s4
	v_cmp_eq_u32_e64 s4, 7, v79
	v_cndmask_b32_e64 v5, v5, v4, s3
	;; [unrolled: 4-line block ×3, first 2 shown]
	v_cmp_eq_u32_e64 s3, 7, v78
	v_cndmask_b32_e32 v4, v20, v8, vcc_lo
	v_cndmask_b32_e64 v17, v17, v12, s4
	v_cndmask_b32_e64 v19, v19, v12, s5
	;; [unrolled: 1-line block ×8, first 2 shown]
	s_mov_b32 s2, exec_lo
	v_perm_b32 v4, v2, v1, 0x5040100
	v_perm_b32 v3, v3, v5, 0x5040100
	v_perm_b32 v2, v6, v19, 0x5040100
	v_perm_b32 v1, v7, v17, 0x5040100
	ds_store_b128 v77, v[1:4]
	s_waitcnt lgkmcnt(0)
	s_barrier
	buffer_gl0_inv
	v_cmpx_gt_u32_e32 32, v0
	s_cbranch_execz .LBB1641_2
; %bb.111:
	s_load_b64 s[0:1], s[0:1], 0x68
	v_lshlrev_b32_e32 v0, 10, v0
	s_lshl_b32 s4, s34, 7
	v_or_b32_e32 v23, s29, v74
	s_mul_i32 s2, s4, s30
	v_lshlrev_b32_e32 v1, 4, v75
	v_lshlrev_b32_e32 v2, 6, v74
	s_mul_i32 s2, s2, s7
	v_and_b32_e32 v0, 0x3800, v0
	v_mul_lo_u32 v8, v23, s4
	s_ashr_i32 s3, s2, 31
	v_or_b32_e32 v3, 2, v23
	s_lshl_b64 s[2:3], s[2:3], 1
	v_or3_b32 v27, v0, v1, v2
	v_or_b32_e32 v11, 4, v23
	v_or_b32_e32 v18, 6, v23
	v_mul_lo_u32 v10, v3, s4
	v_ashrrev_i32_e32 v9, 31, v8
	ds_load_b128 v[0:3], v27
	ds_load_b128 v[4:7], v27 offset:128
	v_mul_lo_u32 v12, v11, s4
	s_waitcnt lgkmcnt(0)
	s_add_u32 s2, s0, s2
	s_addc_u32 s3, s1, s3
	s_lshl_b32 s0, s14, 7
	v_lshlrev_b64 v[8:9], 1, v[8:9]
	s_ashr_i32 s1, s0, 31
	v_ashrrev_i32_e32 v11, 31, v10
	s_lshl_b64 s[0:1], s[0:1], 1
	v_ashrrev_i32_e32 v13, 31, v12
	s_add_u32 s0, s2, s0
	s_addc_u32 s1, s3, s1
	v_add_co_u32 v30, s0, s0, v73
	s_delay_alu instid0(VALU_DEP_1) | instskip(SKIP_1) | instid1(VALU_DEP_3)
	v_add_co_ci_u32_e64 v31, null, s1, 0, s0
	v_lshlrev_b64 v[16:17], 1, v[10:11]
	v_add_co_u32 v14, vcc_lo, v30, v8
	s_delay_alu instid0(VALU_DEP_3)
	v_add_co_ci_u32_e32 v15, vcc_lo, v31, v9, vcc_lo
	ds_load_b128 v[8:11], v27 offset:256
	v_mul_lo_u32 v18, v18, s4
	v_or_b32_e32 v19, 8, v23
	v_add_co_u32 v16, vcc_lo, v30, v16
	global_store_b128 v[14:15], v[0:3], off
	v_lshlrev_b64 v[0:1], 1, v[12:13]
	v_add_co_ci_u32_e32 v17, vcc_lo, v31, v17, vcc_lo
	v_mul_lo_u32 v12, v19, s4
	v_ashrrev_i32_e32 v19, 31, v18
	v_or_b32_e32 v14, 10, v23
	global_store_b128 v[16:17], v[4:7], off
	v_add_co_u32 v4, vcc_lo, v30, v0
	v_add_co_ci_u32_e32 v5, vcc_lo, v31, v1, vcc_lo
	ds_load_b128 v[0:3], v27 offset:384
	v_ashrrev_i32_e32 v13, 31, v12
	v_lshlrev_b64 v[6:7], 1, v[18:19]
	v_mul_lo_u32 v14, v14, s4
	s_waitcnt lgkmcnt(1)
	global_store_b128 v[4:5], v[8:11], off
	v_or_b32_e32 v8, 12, v23
	v_lshlrev_b64 v[4:5], 1, v[12:13]
	v_add_co_u32 v20, vcc_lo, v30, v6
	v_or_b32_e32 v6, 14, v23
	v_ashrrev_i32_e32 v15, 31, v14
	v_mul_lo_u32 v22, v8, s4
	v_add_co_ci_u32_e32 v21, vcc_lo, v31, v7, vcc_lo
	v_add_co_u32 v24, vcc_lo, v30, v4
	v_mul_lo_u32 v26, v6, s4
	v_add_co_ci_u32_e32 v25, vcc_lo, v31, v5, vcc_lo
	v_lshlrev_b64 v[28:29], 1, v[14:15]
	ds_load_b128 v[4:7], v27 offset:512
	ds_load_b128 v[8:11], v27 offset:640
	;; [unrolled: 1-line block ×4, first 2 shown]
	v_ashrrev_i32_e32 v23, 31, v22
	v_ashrrev_i32_e32 v27, 31, v26
	v_add_co_u32 v28, vcc_lo, v30, v28
	s_delay_alu instid0(VALU_DEP_3) | instskip(SKIP_1) | instid1(VALU_DEP_4)
	v_lshlrev_b64 v[22:23], 1, v[22:23]
	v_add_co_ci_u32_e32 v29, vcc_lo, v31, v29, vcc_lo
	v_lshlrev_b64 v[26:27], 1, v[26:27]
	s_delay_alu instid0(VALU_DEP_3) | instskip(NEXT) | instid1(VALU_DEP_4)
	v_add_co_u32 v22, vcc_lo, v30, v22
	v_add_co_ci_u32_e32 v23, vcc_lo, v31, v23, vcc_lo
	s_delay_alu instid0(VALU_DEP_3) | instskip(NEXT) | instid1(VALU_DEP_4)
	v_add_co_u32 v26, vcc_lo, v30, v26
	v_add_co_ci_u32_e32 v27, vcc_lo, v31, v27, vcc_lo
	s_waitcnt lgkmcnt(4)
	global_store_b128 v[20:21], v[0:3], off
	s_waitcnt lgkmcnt(3)
	global_store_b128 v[24:25], v[4:7], off
	;; [unrolled: 2-line block ×5, first 2 shown]
	s_nop 0
	s_sendmsg sendmsg(MSG_DEALLOC_VGPRS)
	s_endpgm
	.section	.rodata,"a",@progbits
	.p2align	6, 0x0
	.amdhsa_kernel _Z39paged_attention_ll4mi_QKV_mfma16_kernelI14__hip_bfloat16hLN4vllm18Fp8KVCacheDataTypeE1ES0_Li32ELi128ELi256ELb1ELi16EL8MFMAType1EEvPKT_PKT0_S9_ifPKiSB_SB_iPKfiiiPfSE_PS4_PT2_iSD_SD_
		.amdhsa_group_segment_fixed_size 17472
		.amdhsa_private_segment_fixed_size 0
		.amdhsa_kernarg_size 400
		.amdhsa_user_sgpr_count 13
		.amdhsa_user_sgpr_dispatch_ptr 0
		.amdhsa_user_sgpr_queue_ptr 0
		.amdhsa_user_sgpr_kernarg_segment_ptr 1
		.amdhsa_user_sgpr_dispatch_id 0
		.amdhsa_user_sgpr_private_segment_size 0
		.amdhsa_wavefront_size32 1
		.amdhsa_uses_dynamic_stack 0
		.amdhsa_enable_private_segment 0
		.amdhsa_system_sgpr_workgroup_id_x 1
		.amdhsa_system_sgpr_workgroup_id_y 1
		.amdhsa_system_sgpr_workgroup_id_z 1
		.amdhsa_system_sgpr_workgroup_info 0
		.amdhsa_system_vgpr_workitem_id 0
		.amdhsa_next_free_vgpr 141
		.amdhsa_next_free_sgpr 36
		.amdhsa_reserve_vcc 1
		.amdhsa_float_round_mode_32 0
		.amdhsa_float_round_mode_16_64 0
		.amdhsa_float_denorm_mode_32 3
		.amdhsa_float_denorm_mode_16_64 3
		.amdhsa_dx10_clamp 1
		.amdhsa_ieee_mode 1
		.amdhsa_fp16_overflow 0
		.amdhsa_workgroup_processor_mode 1
		.amdhsa_memory_ordered 1
		.amdhsa_forward_progress 0
		.amdhsa_shared_vgpr_count 0
		.amdhsa_exception_fp_ieee_invalid_op 0
		.amdhsa_exception_fp_denorm_src 0
		.amdhsa_exception_fp_ieee_div_zero 0
		.amdhsa_exception_fp_ieee_overflow 0
		.amdhsa_exception_fp_ieee_underflow 0
		.amdhsa_exception_fp_ieee_inexact 0
		.amdhsa_exception_int_div_zero 0
	.end_amdhsa_kernel
	.section	.text._Z39paged_attention_ll4mi_QKV_mfma16_kernelI14__hip_bfloat16hLN4vllm18Fp8KVCacheDataTypeE1ES0_Li32ELi128ELi256ELb1ELi16EL8MFMAType1EEvPKT_PKT0_S9_ifPKiSB_SB_iPKfiiiPfSE_PS4_PT2_iSD_SD_,"axG",@progbits,_Z39paged_attention_ll4mi_QKV_mfma16_kernelI14__hip_bfloat16hLN4vllm18Fp8KVCacheDataTypeE1ES0_Li32ELi128ELi256ELb1ELi16EL8MFMAType1EEvPKT_PKT0_S9_ifPKiSB_SB_iPKfiiiPfSE_PS4_PT2_iSD_SD_,comdat
.Lfunc_end1641:
	.size	_Z39paged_attention_ll4mi_QKV_mfma16_kernelI14__hip_bfloat16hLN4vllm18Fp8KVCacheDataTypeE1ES0_Li32ELi128ELi256ELb1ELi16EL8MFMAType1EEvPKT_PKT0_S9_ifPKiSB_SB_iPKfiiiPfSE_PS4_PT2_iSD_SD_, .Lfunc_end1641-_Z39paged_attention_ll4mi_QKV_mfma16_kernelI14__hip_bfloat16hLN4vllm18Fp8KVCacheDataTypeE1ES0_Li32ELi128ELi256ELb1ELi16EL8MFMAType1EEvPKT_PKT0_S9_ifPKiSB_SB_iPKfiiiPfSE_PS4_PT2_iSD_SD_
                                        ; -- End function
	.section	.AMDGPU.csdata,"",@progbits
; Kernel info:
; codeLenInByte = 9048
; NumSgprs: 38
; NumVgprs: 141
; ScratchSize: 0
; MemoryBound: 0
; FloatMode: 240
; IeeeMode: 1
; LDSByteSize: 17472 bytes/workgroup (compile time only)
; SGPRBlocks: 4
; VGPRBlocks: 17
; NumSGPRsForWavesPerEU: 38
; NumVGPRsForWavesPerEU: 141
; Occupancy: 10
; WaveLimiterHint : 1
; COMPUTE_PGM_RSRC2:SCRATCH_EN: 0
; COMPUTE_PGM_RSRC2:USER_SGPR: 13
; COMPUTE_PGM_RSRC2:TRAP_HANDLER: 0
; COMPUTE_PGM_RSRC2:TGID_X_EN: 1
; COMPUTE_PGM_RSRC2:TGID_Y_EN: 1
; COMPUTE_PGM_RSRC2:TGID_Z_EN: 1
; COMPUTE_PGM_RSRC2:TIDIG_COMP_CNT: 0
	.section	.text._Z39paged_attention_ll4mi_QKV_mfma16_kernelI14__hip_bfloat16hLN4vllm18Fp8KVCacheDataTypeE1ES0_Li32ELi128ELi256ELb1ELi1EL8MFMAType1EEvPKT_PKT0_S9_ifPKiSB_SB_iPKfiiiPfSE_PS4_PT2_iSD_SD_,"axG",@progbits,_Z39paged_attention_ll4mi_QKV_mfma16_kernelI14__hip_bfloat16hLN4vllm18Fp8KVCacheDataTypeE1ES0_Li32ELi128ELi256ELb1ELi1EL8MFMAType1EEvPKT_PKT0_S9_ifPKiSB_SB_iPKfiiiPfSE_PS4_PT2_iSD_SD_,comdat
	.protected	_Z39paged_attention_ll4mi_QKV_mfma16_kernelI14__hip_bfloat16hLN4vllm18Fp8KVCacheDataTypeE1ES0_Li32ELi128ELi256ELb1ELi1EL8MFMAType1EEvPKT_PKT0_S9_ifPKiSB_SB_iPKfiiiPfSE_PS4_PT2_iSD_SD_ ; -- Begin function _Z39paged_attention_ll4mi_QKV_mfma16_kernelI14__hip_bfloat16hLN4vllm18Fp8KVCacheDataTypeE1ES0_Li32ELi128ELi256ELb1ELi1EL8MFMAType1EEvPKT_PKT0_S9_ifPKiSB_SB_iPKfiiiPfSE_PS4_PT2_iSD_SD_
	.globl	_Z39paged_attention_ll4mi_QKV_mfma16_kernelI14__hip_bfloat16hLN4vllm18Fp8KVCacheDataTypeE1ES0_Li32ELi128ELi256ELb1ELi1EL8MFMAType1EEvPKT_PKT0_S9_ifPKiSB_SB_iPKfiiiPfSE_PS4_PT2_iSD_SD_
	.p2align	8
	.type	_Z39paged_attention_ll4mi_QKV_mfma16_kernelI14__hip_bfloat16hLN4vllm18Fp8KVCacheDataTypeE1ES0_Li32ELi128ELi256ELb1ELi1EL8MFMAType1EEvPKT_PKT0_S9_ifPKiSB_SB_iPKfiiiPfSE_PS4_PT2_iSD_SD_,@function
_Z39paged_attention_ll4mi_QKV_mfma16_kernelI14__hip_bfloat16hLN4vllm18Fp8KVCacheDataTypeE1ES0_Li32ELi128ELi256ELb1ELi1EL8MFMAType1EEvPKT_PKT0_S9_ifPKiSB_SB_iPKfiiiPfSE_PS4_PT2_iSD_SD_: ; @_Z39paged_attention_ll4mi_QKV_mfma16_kernelI14__hip_bfloat16hLN4vllm18Fp8KVCacheDataTypeE1ES0_Li32ELi128ELi256ELb1ELi1EL8MFMAType1EEvPKT_PKT0_S9_ifPKiSB_SB_iPKfiiiPfSE_PS4_PT2_iSD_SD_
; %bb.0:
	s_load_b64 s[4:5], s[0:1], 0x30
	s_mov_b32 s34, s13
	s_waitcnt lgkmcnt(0)
	s_cmp_lg_u64 s[4:5], 0
	s_cselect_b32 s6, -1, 0
	s_ashr_i32 s35, s13, 31
	s_cmp_eq_u64 s[4:5], 0
	s_cbranch_scc1 .LBB1642_3
; %bb.1:
	s_lshl_b64 s[2:3], s[34:35], 2
	s_delay_alu instid0(SALU_CYCLE_1) | instskip(SKIP_4) | instid1(SALU_CYCLE_1)
	s_add_u32 s2, s4, s2
	s_addc_u32 s3, s5, s3
	s_load_b64 s[2:3], s[2:3], 0x0
	s_waitcnt lgkmcnt(0)
	s_sub_i32 s2, s3, s2
	s_cmp_eq_u32 s2, 1
	s_cselect_b32 s2, -1, 0
	s_delay_alu instid0(SALU_CYCLE_1)
	s_and_not1_b32 vcc_lo, exec_lo, s2
	s_cbranch_vccz .LBB1642_4
.LBB1642_2:
	s_endpgm
.LBB1642_3:
.LBB1642_4:
	s_load_b64 s[2:3], s[0:1], 0x28
	s_lshl_b64 s[8:9], s[34:35], 2
	s_waitcnt lgkmcnt(0)
	s_add_u32 s2, s2, s8
	s_addc_u32 s3, s3, s9
	s_lshl_b32 s12, s14, 8
	s_load_b32 s33, s[2:3], 0x0
	s_waitcnt lgkmcnt(0)
	s_cmp_ge_i32 s12, s33
	s_cbranch_scc1 .LBB1642_2
; %bb.5:
	s_clause 0x1
	s_load_b128 s[56:59], s[0:1], 0x8
	s_load_b64 s[2:3], s[0:1], 0x20
	s_and_not1_b32 vcc_lo, exec_lo, s6
	s_mov_b64 s[6:7], s[34:35]
	s_cbranch_vccnz .LBB1642_7
; %bb.6:
	s_add_u32 s4, s4, s8
	s_addc_u32 s5, s5, s9
	s_load_b32 s6, s[4:5], 0x0
.LBB1642_7:
	s_load_b128 s[52:55], s[0:1], 0x48
	v_and_b32_e32 v65, 15, v0
	s_mov_b32 s13, exec_lo
                                        ; implicit-def: $sgpr36
                                        ; implicit-def: $sgpr24
                                        ; implicit-def: $sgpr16
                                        ; implicit-def: $sgpr4
	s_delay_alu instid0(VALU_DEP_1)
	v_cmpx_eq_u32_e32 0, v65
	s_cbranch_execz .LBB1642_9
; %bb.8:
	s_load_b64 s[4:5], s[0:1], 0x0
	s_waitcnt lgkmcnt(0)
	s_mul_hi_i32 s7, s6, s52
	s_mul_i32 s6, s6, s52
	s_delay_alu instid0(SALU_CYCLE_1) | instskip(NEXT) | instid1(SALU_CYCLE_1)
	s_lshl_b64 s[6:7], s[6:7], 1
	s_add_u32 s6, s4, s6
	s_addc_u32 s7, s5, s7
	s_lshl_b32 s4, s15, 7
	s_delay_alu instid0(SALU_CYCLE_1) | instskip(NEXT) | instid1(SALU_CYCLE_1)
	s_ashr_i32 s5, s4, 31
	s_lshl_b64 s[4:5], s[4:5], 1
	s_delay_alu instid0(SALU_CYCLE_1)
	s_add_u32 s4, s6, s4
	s_addc_u32 s5, s7, s5
	s_clause 0x3
	s_load_b256 s[36:43], s[4:5], 0x0
	s_load_b256 s[24:31], s[4:5], 0x40
	;; [unrolled: 1-line block ×4, first 2 shown]
.LBB1642_9:
	s_or_b32 exec_lo, exec_lo, s13
	v_and_b32_e32 v1, 0xef, v0
	s_add_i32 s13, s33, 31
	s_load_b32 s44, s[0:1], 0x38
	s_ashr_i32 s35, s13, 31
	s_waitcnt lgkmcnt(0)
	s_mul_i32 s62, s15, s54
	v_add_nc_u32_e32 v1, s12, v1
	s_lshr_b32 s35, s35, 27
	v_lshlrev_b32_e32 v73, 4, v65
	s_add_i32 s13, s13, s35
	s_load_b32 s35, s[0:1], 0x1c
	v_ashrrev_i32_e32 v2, 31, v1
	v_or_b32_e32 v3, 16, v1
	s_ashr_i32 s13, s13, 5
	v_cmp_gt_i32_e32 vcc_lo, s33, v1
	s_add_i32 s13, s13, -1
	v_lshrrev_b32_e32 v2, 27, v2
	v_dual_mov_b32 v113, s31 :: v_dual_mov_b32 v108, s26
	v_dual_mov_b32 v111, s29 :: v_dual_mov_b32 v106, s24
	s_delay_alu instid0(VALU_DEP_3) | instskip(SKIP_3) | instid1(VALU_DEP_2)
	v_dual_mov_b32 v109, s27 :: v_dual_add_nc_u32 v4, v1, v2
	s_mul_i32 s44, s34, s44
	v_mov_b32_e32 v107, s25
	s_ashr_i32 s45, s44, 31
	v_ashrrev_i32_e32 v4, 5, v4
	v_add_nc_u32_e32 v2, v3, v2
	s_lshl_b64 s[44:45], s[44:45], 2
	v_dual_mov_b32 v121, s23 :: v_dual_mov_b32 v114, s16
	s_delay_alu instid0(VALU_DEP_3) | instskip(NEXT) | instid1(VALU_DEP_3)
	v_cndmask_b32_e32 v1, s13, v4, vcc_lo
	v_ashrrev_i32_e32 v2, 5, v2
	v_cmp_gt_i32_e32 vcc_lo, s33, v3
	s_add_u32 s61, s2, s44
	s_addc_u32 s60, s3, s45
	s_ashr_i32 s63, s62, 31
	s_add_u32 s44, s56, s62
	v_cndmask_b32_e32 v3, s13, v2, vcc_lo
	v_ashrrev_i32_e32 v2, 31, v1
	s_addc_u32 s45, s57, s63
	s_lshl_b32 s2, s14, 3
	v_dual_mov_b32 v116, s18 :: v_dual_lshlrev_b32 v33, 5, v65
	v_ashrrev_i32_e32 v4, 31, v3
	v_lshlrev_b64 v[1:2], 2, v[1:2]
	s_ashr_i32 s3, s2, 31
	v_mov_b32_e32 v120, s22
	s_lshl_b64 s[2:3], s[2:3], 2
	v_lshlrev_b64 v[3:4], 2, v[3:4]
	s_add_u32 s2, s61, s2
	v_add_co_u32 v1, vcc_lo, s61, v1
	v_add_co_ci_u32_e32 v2, vcc_lo, s60, v2, vcc_lo
	s_delay_alu instid0(VALU_DEP_3) | instskip(NEXT) | instid1(VALU_DEP_4)
	v_add_co_u32 v3, vcc_lo, s61, v3
	v_add_co_ci_u32_e32 v4, vcc_lo, s60, v4, vcc_lo
	s_clause 0x1
	global_load_b32 v5, v[1:2], off
	global_load_b32 v6, v[3:4], off
	s_addc_u32 s3, s60, s3
	s_or_b32 s46, s12, 32
	v_mov_b32_e32 v118, s20
	s_ashr_i32 s47, s46, 5
	s_cmp_lt_i32 s46, s33
	v_lshrrev_b32_e32 v66, 5, v0
	s_cselect_b32 s46, s47, s13
	v_mov_b32_e32 v112, s30
	s_ashr_i32 s47, s46, 31
	v_mov_b32_e32 v110, s28
	s_lshl_b64 s[46:47], s[46:47], 2
	v_lshl_or_b32 v33, v66, 9, v33
	s_add_u32 s46, s61, s46
	s_addc_u32 s47, s60, s47
	s_or_b32 s48, s12, 64
	s_delay_alu instid0(SALU_CYCLE_1) | instskip(SKIP_2) | instid1(SALU_CYCLE_1)
	s_ashr_i32 s49, s48, 5
	s_cmp_lt_i32 s48, s33
	s_cselect_b32 s48, s49, s13
	s_ashr_i32 s49, s48, 31
	s_delay_alu instid0(SALU_CYCLE_1) | instskip(NEXT) | instid1(SALU_CYCLE_1)
	s_lshl_b64 s[48:49], s[48:49], 2
	s_add_u32 s48, s61, s48
	s_addc_u32 s49, s60, s49
	s_or_b32 s50, s12, 0x60
	s_delay_alu instid0(SALU_CYCLE_1) | instskip(SKIP_2) | instid1(SALU_CYCLE_1)
	s_ashr_i32 s51, s50, 5
	s_cmp_lt_i32 s50, s33
	s_cselect_b32 s50, s51, s13
	s_ashr_i32 s51, s50, 31
	s_delay_alu instid0(SALU_CYCLE_1) | instskip(NEXT) | instid1(SALU_CYCLE_1)
	s_lshl_b64 s[50:51], s[50:51], 2
	s_add_u32 s50, s61, s50
	s_addc_u32 s51, s60, s51
	s_or_b32 s52, s12, 0x80
	s_delay_alu instid0(SALU_CYCLE_1) | instskip(SKIP_2) | instid1(SALU_CYCLE_1)
	s_ashr_i32 s54, s52, 5
	s_cmp_lt_i32 s52, s33
	s_cselect_b32 s54, s54, s13
	s_ashr_i32 s55, s54, 31
	s_delay_alu instid0(SALU_CYCLE_1) | instskip(NEXT) | instid1(SALU_CYCLE_1)
	s_lshl_b64 s[54:55], s[54:55], 2
	s_add_u32 s64, s61, s54
	s_addc_u32 s65, s60, s55
	s_or_b32 s52, s12, 0xa0
	s_delay_alu instid0(SALU_CYCLE_1) | instskip(SKIP_2) | instid1(SALU_CYCLE_1)
	s_ashr_i32 s54, s52, 5
	s_cmp_lt_i32 s52, s33
	s_cselect_b32 s54, s54, s13
	s_ashr_i32 s55, s54, 31
	s_delay_alu instid0(SALU_CYCLE_1) | instskip(NEXT) | instid1(SALU_CYCLE_1)
	s_lshl_b64 s[54:55], s[54:55], 2
	s_add_u32 s66, s61, s54
	s_addc_u32 s67, s60, s55
	s_clause 0x5
	s_load_b32 s56, s[2:3], 0x0
	s_load_b32 s3, s[46:47], 0x0
	;; [unrolled: 1-line block ×6, first 2 shown]
	s_or_b32 s24, s12, 0xc0
	s_delay_alu instid0(SALU_CYCLE_1)
	s_ashr_i32 s25, s24, 5
	s_cmp_lt_i32 s24, s33
	s_waitcnt vmcnt(1)
	v_mad_i64_i32 v[1:2], null, v5, s53, s[44:45]
	s_waitcnt vmcnt(0)
	v_mad_i64_i32 v[3:4], null, v6, s53, s[44:45]
	s_mov_b32 s44, 0
	s_delay_alu instid0(SALU_CYCLE_1) | instskip(SKIP_1) | instid1(VALU_DEP_2)
	s_mov_b32 s45, s44
	s_mov_b32 s46, s44
	v_add_co_u32 v25, vcc_lo, v1, v73
	s_delay_alu instid0(VALU_DEP_3) | instskip(NEXT) | instid1(VALU_DEP_3)
	v_add_co_ci_u32_e32 v26, vcc_lo, 0, v2, vcc_lo
	v_add_co_u32 v27, vcc_lo, v3, v73
	s_delay_alu instid0(VALU_DEP_4)
	v_add_co_ci_u32_e32 v28, vcc_lo, 0, v4, vcc_lo
	s_clause 0xf
	global_load_b128 v[1:4], v[25:26], off
	global_load_b128 v[5:8], v[25:26], off offset:512
	global_load_b128 v[9:12], v[27:28], off offset:256
	;; [unrolled: 1-line block ×15, first 2 shown]
	v_mov_b32_e32 v25, s36
	v_mov_b32_e32 v29, s40
	;; [unrolled: 1-line block ×3, first 2 shown]
	s_mov_b32 s47, s44
	s_mov_b32 s48, s44
	;; [unrolled: 1-line block ×5, first 2 shown]
	v_mov_b32_e32 v119, s21
	v_mov_b32_e32 v117, s19
	;; [unrolled: 1-line block ×3, first 2 shown]
	s_cselect_b32 s16, s25, s13
	v_dual_mov_b32 v129, s51 :: v_dual_mov_b32 v122, s44
	s_ashr_i32 s17, s16, 31
	v_mov_b32_e32 v26, s37
	s_lshl_b64 s[16:17], s[16:17], 2
	v_dual_mov_b32 v27, s38 :: v_dual_mov_b32 v32, s43
	s_add_u32 s16, s61, s16
	s_addc_u32 s17, s60, s17
	s_or_b32 s18, s12, 0xe0
	v_mov_b32_e32 v28, s39
	s_ashr_i32 s19, s18, 5
	s_cmp_lt_i32 s18, s33
	v_mov_b32_e32 v30, s41
	s_cselect_b32 s18, s19, s13
	v_mov_b32_e32 v128, s50
	s_ashr_i32 s19, s18, 31
	v_mov_b32_e32 v127, s49
	s_lshl_b64 s[18:19], s[18:19], 2
	v_mov_b32_e32 v126, s48
	s_add_u32 s18, s61, s18
	s_addc_u32 s19, s60, s19
	s_add_u32 s13, s58, s62
	s_addc_u32 s20, s59, s63
	v_add_co_u32 v67, s13, s13, v33
	s_delay_alu instid0(VALU_DEP_1)
	v_add_co_ci_u32_e64 v68, null, s20, 0, s13
	s_clause 0x1
	s_load_b32 s13, s[16:17], 0x0
	s_load_b32 s16, s[18:19], 0x0
	v_dual_mov_b32 v125, s47 :: v_dual_mov_b32 v124, s46
	v_mov_b32_e32 v123, s45
	s_waitcnt lgkmcnt(0)
	v_mad_i64_i32 v[33:34], null, s56, s53, v[67:68]
	v_mad_i64_i32 v[69:70], null, s54, s53, v[67:68]
	;; [unrolled: 1-line block ×5, first 2 shown]
	s_clause 0x5
	global_load_b128 v[49:52], v[33:34], off
	global_load_b128 v[53:56], v[33:34], off offset:16
	global_load_b128 v[41:44], v[35:36], off
	global_load_b128 v[45:48], v[35:36], off offset:16
	;; [unrolled: 2-line block ×3, first 2 shown]
	s_waitcnt vmcnt(20)
	v_wmma_f32_16x16x16_bf16 v[130:137], v[1:8], v[25:32], v[122:129]
	s_waitcnt vmcnt(18)
	v_wmma_f32_16x16x16_bf16 v[122:129], v[9:16], v[25:32], v[122:129]
	v_mad_i64_i32 v[13:14], null, s2, s53, v[67:68]
	s_waitcnt vmcnt(16)
	v_wmma_f32_16x16x16_bf16 v[130:137], v[17:24], v[106:113], v[130:137]
	v_mad_i64_i32 v[21:22], null, s13, s53, v[67:68]
	s_clause 0x1
	global_load_b128 v[25:28], v[69:70], off
	global_load_b128 v[29:32], v[69:70], off offset:16
	v_mad_i64_i32 v[69:70], null, s16, s53, v[67:68]
	s_waitcnt vmcnt(16)
	v_wmma_f32_16x16x16_bf16 v[122:129], v[57:64], v[106:113], v[122:129]
	s_clause 0x7
	global_load_b128 v[1:4], v[71:72], off
	global_load_b128 v[5:8], v[71:72], off offset:16
	global_load_b128 v[9:12], v[13:14], off
	global_load_b128 v[13:16], v[13:14], off offset:16
	;; [unrolled: 2-line block ×4, first 2 shown]
	v_mbcnt_lo_u32_b32 v68, -1, 0
	v_and_b32_e32 v67, 0xe0, v0
	s_waitcnt vmcnt(22)
	v_wmma_f32_16x16x16_bf16 v[130:137], v[74:81], v[114:121], v[130:137]
	s_waitcnt vmcnt(20)
	v_wmma_f32_16x16x16_bf16 v[122:129], v[82:89], v[114:121], v[122:129]
	v_mov_b32_e32 v82, s11
	v_mov_b32_e32 v76, s5
	v_xor_b32_e32 v69, 16, v68
	v_bfe_u32 v74, v0, 4, 1
	v_dual_mov_b32 v81, s10 :: v_dual_mov_b32 v80, s9
	v_mov_b32_e32 v79, s8
	s_delay_alu instid0(VALU_DEP_4) | instskip(SKIP_3) | instid1(VALU_DEP_3)
	v_cmp_gt_i32_e32 vcc_lo, 32, v69
	v_dual_mov_b32 v78, s7 :: v_dual_add_nc_u32 v67, s12, v67
	v_mov_b32_e32 v77, s6
	v_dual_mov_b32 v75, s4 :: v_dual_cndmask_b32 v68, v68, v69
	v_or_b32_e32 v67, v67, v74
	s_waitcnt vmcnt(0)
	s_barrier
	s_delay_alu instid0(VALU_DEP_2)
	v_wmma_f32_16x16x16_bf16 v[130:137], v[90:97], v[75:82], v[130:137]
	buffer_gl0_inv
	v_or_b32_e32 v69, 2, v67
	v_or_b32_e32 v70, 4, v67
	;; [unrolled: 1-line block ×3, first 2 shown]
	v_mul_f32_e32 v92, s35, v131
	v_wmma_f32_16x16x16_bf16 v[122:129], v[98:105], v[75:82], v[122:129]
	v_mul_f32_e32 v93, s35, v130
	v_cmp_gt_i32_e32 vcc_lo, s33, v69
	v_cmp_gt_i32_e64 s2, s33, v67
	v_or_b32_e32 v72, 8, v67
	v_mul_f32_e32 v98, s35, v125
	v_or_b32_e32 v83, 10, v67
	v_dual_mul_f32 v81, s35, v133 :: v_dual_mul_f32 v82, s35, v132
	v_cndmask_b32_e64 v93, 0xff7fffff, v93, s2
	v_cndmask_b32_e32 v92, 0xff7fffff, v92, vcc_lo
	v_cmp_gt_i32_e64 s3, s33, v70
	v_cmp_gt_i32_e64 s4, s33, v71
	v_or_b32_e32 v84, 12, v67
	v_or_b32_e32 v85, 14, v67
	v_dual_mul_f32 v79, s35, v135 :: v_dual_mul_f32 v94, s35, v129
	v_mul_f32_e32 v80, s35, v134
	v_cndmask_b32_e64 v70, 0xff7fffff, v82, s3
	v_cndmask_b32_e64 v71, 0xff7fffff, v81, s4
	v_max3_f32 v81, v93, 0xff7fffff, v92
	v_cmp_gt_i32_e64 s5, s33, v72
	v_cmp_gt_i32_e64 s6, s33, v83
	v_or_b32_e32 v86, 16, v67
	v_or_b32_e32 v87, 18, v67
	v_dual_mul_f32 v77, s35, v137 :: v_dual_mul_f32 v96, s35, v127
	v_mul_f32_e32 v78, s35, v136
	v_cndmask_b32_e64 v72, 0xff7fffff, v80, s5
	v_cndmask_b32_e64 v79, 0xff7fffff, v79, s6
	v_max3_f32 v70, v81, v70, v71
	v_cmp_gt_i32_e64 s7, s33, v84
	v_cmp_gt_i32_e64 s8, s33, v85
	v_or_b32_e32 v88, 20, v67
	v_or_b32_e32 v89, 22, v67
	;; [unrolled: 1-line block ×6, first 2 shown]
	v_mul_f32_e32 v69, s35, v123
	v_mul_f32_e32 v67, s35, v122
	v_cndmask_b32_e64 v71, 0xff7fffff, v78, s7
	v_cndmask_b32_e64 v77, 0xff7fffff, v77, s8
	v_max3_f32 v70, v70, v72, v79
	v_cmp_gt_i32_e64 s9, s33, v86
	v_cmp_gt_i32_e64 s10, s33, v87
	v_mul_f32_e32 v99, s35, v124
	v_cmp_gt_i32_e64 s11, s33, v88
	v_max3_f32 v70, v70, v71, v77
	v_cndmask_b32_e64 v67, 0xff7fffff, v67, s9
	v_cndmask_b32_e64 v69, 0xff7fffff, v69, s10
	v_cmp_gt_i32_e64 s12, s33, v89
	v_mul_f32_e32 v97, s35, v126
	v_cndmask_b32_e64 v71, 0xff7fffff, v99, s11
	v_cmp_gt_i32_e64 s13, s33, v90
	v_max3_f32 v67, v70, v67, v69
	v_cndmask_b32_e64 v72, 0xff7fffff, v98, s12
	v_cmp_gt_i32_e64 s16, s33, v91
	v_mul_f32_e32 v95, s35, v128
	v_cndmask_b32_e64 v69, 0xff7fffff, v97, s13
	v_cmp_gt_i32_e64 s17, s33, v75
	v_max3_f32 v67, v67, v71, v72
	v_cndmask_b32_e64 v70, 0xff7fffff, v96, s16
	v_cmp_gt_i32_e64 s18, s33, v76
	v_lshlrev_b32_e32 v81, 2, v68
	v_cndmask_b32_e64 v71, 0xff7fffff, v95, s17
	s_delay_alu instid0(VALU_DEP_4) | instskip(NEXT) | instid1(VALU_DEP_4)
	v_max3_f32 v67, v67, v69, v70
	v_cndmask_b32_e64 v72, 0xff7fffff, v94, s18
	s_delay_alu instid0(VALU_DEP_1) | instskip(SKIP_3) | instid1(VALU_DEP_1)
	v_max3_f32 v67, v67, v71, v72
	ds_bpermute_b32 v68, v81, v67
	s_waitcnt lgkmcnt(0)
	v_max_f32_e32 v68, v68, v68
	v_max_f32_e32 v67, v67, v68
	s_delay_alu instid0(VALU_DEP_1) | instskip(SKIP_4) | instid1(VALU_DEP_4)
	v_fma_f32 v68, s35, v130, -v67
	v_fma_f32 v69, s35, v131, -v67
	;; [unrolled: 1-line block ×5, first 2 shown]
	v_dual_mul_f32 v68, 0x3fb8aa3b, v68 :: v_dual_mul_f32 v69, 0x3fb8aa3b, v69
	s_delay_alu instid0(VALU_DEP_3) | instskip(NEXT) | instid1(VALU_DEP_3)
	v_dual_mul_f32 v70, 0x3fb8aa3b, v70 :: v_dual_mul_f32 v71, 0x3fb8aa3b, v71
	v_mul_f32_e32 v72, 0x3fb8aa3b, v72
	s_delay_alu instid0(VALU_DEP_3) | instskip(NEXT) | instid1(VALU_DEP_3)
	v_exp_f32_e32 v68, v68
	v_exp_f32_e32 v69, v69
	s_delay_alu instid0(VALU_DEP_2)
	v_exp_f32_e32 v70, v70
	v_exp_f32_e32 v71, v71
	;; [unrolled: 1-line block ×3, first 2 shown]
	v_cndmask_b32_e64 v79, 0, v68, s2
	v_fma_f32 v68, s35, v135, -v67
	v_cndmask_b32_e32 v75, 0, v69, vcc_lo
	s_delay_alu instid0(TRANS32_DEP_3)
	v_cndmask_b32_e64 v82, 0, v70, s3
	s_waitcnt_depctr 0xfff
	v_cndmask_b32_e64 v84, 0, v71, s4
	v_dual_add_f32 v69, 0, v79 :: v_dual_mul_f32 v68, 0x3fb8aa3b, v68
	v_cndmask_b32_e64 v85, 0, v72, s5
	s_mov_b32 s3, exec_lo
	s_delay_alu instid0(VALU_DEP_2) | instskip(NEXT) | instid1(VALU_DEP_3)
	v_add_f32_e32 v69, v69, v75
	v_exp_f32_e32 v68, v68
	s_delay_alu instid0(VALU_DEP_1) | instskip(NEXT) | instid1(VALU_DEP_1)
	v_add_f32_e32 v69, v69, v82
	v_add_f32_e32 v69, v69, v84
	s_waitcnt_depctr 0xfff
	v_cndmask_b32_e64 v86, 0, v68, s6
	v_add_f32_e32 v68, v69, v85
	s_delay_alu instid0(VALU_DEP_1)
	v_add_f32_e32 v68, v68, v86
	v_fma_f32 v72, s35, v123, -v67
	v_fma_f32 v76, s35, v136, -v67
	;; [unrolled: 1-line block ×5, first 2 shown]
	v_mul_f32_e32 v72, 0x3fb8aa3b, v72
	v_mul_f32_e32 v76, 0x3fb8aa3b, v76
	s_delay_alu instid0(VALU_DEP_4) | instskip(SKIP_1) | instid1(VALU_DEP_4)
	v_dual_mul_f32 v70, 0x3fb8aa3b, v70 :: v_dual_mul_f32 v69, 0x3fb8aa3b, v69
	v_fma_f32 v77, s35, v126, -v67
	v_exp_f32_e32 v72, v72
	s_delay_alu instid0(VALU_DEP_3) | instskip(NEXT) | instid1(VALU_DEP_2)
	v_exp_f32_e32 v76, v76
	v_exp_f32_e32 v70, v70
	;; [unrolled: 1-line block ×3, first 2 shown]
	v_fma_f32 v88, s35, v129, -v67
	s_delay_alu instid0(VALU_DEP_1) | instskip(SKIP_2) | instid1(TRANS32_DEP_3)
	v_mul_f32_e32 v88, 0x3fb8aa3b, v88
	v_cndmask_b32_e64 v69, 0, v72, s10
	v_mul_f32_e32 v71, 0x3fb8aa3b, v71
	v_cndmask_b32_e64 v83, 0, v76, s7
	s_delay_alu instid0(TRANS32_DEP_2) | instskip(SKIP_4) | instid1(VALU_DEP_3)
	v_cndmask_b32_e64 v87, 0, v70, s8
	v_fma_f32 v76, s35, v125, -v67
	v_fma_f32 v72, s35, v128, -v67
	v_exp_f32_e32 v71, v71
	v_add_f32_e32 v68, v68, v83
	v_mul_f32_e32 v76, 0x3fb8aa3b, v76
	s_delay_alu instid0(VALU_DEP_2) | instskip(NEXT) | instid1(VALU_DEP_2)
	v_add_f32_e32 v68, v68, v87
	v_exp_f32_e32 v76, v76
	s_waitcnt_depctr 0xfff
	v_cndmask_b32_e64 v70, 0, v71, s9
	v_fma_f32 v71, s35, v127, -v67
	s_delay_alu instid0(VALU_DEP_2) | instskip(NEXT) | instid1(VALU_DEP_2)
	v_add_f32_e32 v68, v68, v70
	v_mul_f32_e32 v80, 0x3fb8aa3b, v71
	v_cndmask_b32_e64 v71, 0, v78, s11
	v_mul_f32_e32 v78, 0x3fb8aa3b, v72
	v_cndmask_b32_e64 v72, 0, v76, s12
	v_add_f32_e32 v68, v68, v69
	v_mul_f32_e32 v77, 0x3fb8aa3b, v77
	v_exp_f32_e32 v80, v80
	v_exp_f32_e32 v78, v78
	s_delay_alu instid0(VALU_DEP_2) | instskip(NEXT) | instid1(VALU_DEP_2)
	v_add_f32_e32 v68, v68, v71
	v_exp_f32_e32 v77, v77
	s_delay_alu instid0(VALU_DEP_1)
	v_add_f32_e32 v68, v68, v72
	s_waitcnt_depctr 0xfff
	v_cndmask_b32_e64 v78, 0, v78, s17
	v_cndmask_b32_e64 v76, 0, v77, s13
	;; [unrolled: 1-line block ×3, first 2 shown]
	v_exp_f32_e32 v80, v88
	v_and_b32_e32 v88, 31, v0
	s_delay_alu instid0(VALU_DEP_3) | instskip(NEXT) | instid1(VALU_DEP_2)
	v_add_f32_e32 v68, v68, v76
	v_cmp_lt_u32_e64 s2, 15, v88
	s_delay_alu instid0(VALU_DEP_2) | instskip(SKIP_3) | instid1(VALU_DEP_1)
	v_add_f32_e32 v68, v68, v77
	s_waitcnt_depctr 0xfff
	v_cndmask_b32_e64 v80, 0, v80, s18
	v_add_f32_e32 v68, v68, v78
	v_add_f32_e32 v68, v68, v80
	ds_bpermute_b32 v81, v81, v68
	v_cmpx_gt_u32_e32 16, v88
	s_cbranch_execz .LBB1642_11
; %bb.10:
	v_mul_u32_u24_e32 v88, 0x44, v66
	s_delay_alu instid0(VALU_DEP_1) | instskip(SKIP_1) | instid1(VALU_DEP_1)
	v_lshl_add_u32 v88, v65, 2, v88
	s_waitcnt lgkmcnt(0)
	v_dual_add_f32 v68, v68, v81 :: v_dual_add_nc_u32 v81, 0x4000, v88
	ds_store_2addr_b32 v81, v67, v68 offset1:136
.LBB1642_11:
	s_or_b32 exec_lo, exec_lo, s3
	v_lshlrev_b32_e32 v67, 2, v65
	s_waitcnt lgkmcnt(0)
	s_barrier
	buffer_gl0_inv
	v_cmp_eq_u32_e32 vcc_lo, 1, v66
	v_add_nc_u32_e32 v81, 0x4000, v67
	v_cmp_eq_u32_e64 s3, 2, v66
	v_cmp_eq_u32_e64 s5, 7, v66
	ds_load_2addr_b32 v[88:89], v81 offset1:17
	ds_load_2addr_b32 v[90:91], v81 offset0:34 offset1:51
	ds_load_2addr_b32 v[92:93], v81 offset0:68 offset1:85
	;; [unrolled: 1-line block ×4, first 2 shown]
	s_waitcnt lgkmcnt(4)
	v_max3_f32 v67, v88, 0xff7fffff, v89
	s_waitcnt lgkmcnt(3)
	s_delay_alu instid0(VALU_DEP_1) | instskip(SKIP_1) | instid1(VALU_DEP_1)
	v_max3_f32 v67, v67, v90, v91
	s_waitcnt lgkmcnt(2)
	v_max3_f32 v67, v67, v92, v93
	s_waitcnt lgkmcnt(1)
	s_delay_alu instid0(VALU_DEP_1) | instskip(NEXT) | instid1(VALU_DEP_1)
	v_max3_f32 v67, v67, v94, v95
	v_sub_f32_e32 v68, v88, v67
	v_sub_f32_e32 v90, v90, v67
	v_sub_f32_e32 v92, v92, v67
	s_delay_alu instid0(VALU_DEP_3) | instskip(NEXT) | instid1(VALU_DEP_3)
	v_mul_f32_e32 v68, 0x3fb8aa3b, v68
	v_mul_f32_e32 v100, 0x3fb8aa3b, v90
	s_delay_alu instid0(VALU_DEP_3) | instskip(NEXT) | instid1(VALU_DEP_3)
	v_mul_f32_e32 v102, 0x3fb8aa3b, v92
	v_exp_f32_e32 v99, v68
	v_sub_f32_e32 v68, v91, v67
	v_sub_f32_e32 v98, v89, v67
	v_exp_f32_e32 v100, v100
	s_delay_alu instid0(VALU_DEP_1)
	v_dual_mul_f32 v101, 0x3fb8aa3b, v68 :: v_dual_mul_f32 v98, 0x3fb8aa3b, v98
	s_waitcnt lgkmcnt(0)
	s_waitcnt_depctr 0xfff
	v_fma_f32 v68, v99, v96, 0
	v_sub_f32_e32 v96, v93, v67
	v_exp_f32_e32 v98, v98
	v_exp_f32_e32 v101, v101
	s_waitcnt_depctr 0xfff
	v_fmac_f32_e32 v68, v98, v97
	ds_load_2addr_b32 v[88:89], v81 offset0:170 offset1:187
	ds_load_2addr_b32 v[90:91], v81 offset0:204 offset1:221
	;; [unrolled: 1-line block ×3, first 2 shown]
	v_dual_sub_f32 v81, v94, v67 :: v_dual_mul_f32 v94, 0x3fb8aa3b, v96
	v_exp_f32_e32 v96, v102
	s_waitcnt lgkmcnt(0)
	s_barrier
	s_delay_alu instid0(VALU_DEP_1)
	v_mul_f32_e32 v81, 0x3fb8aa3b, v81
	v_exp_f32_e32 v94, v94
	buffer_gl0_inv
	v_exp_f32_e32 v81, v81
	v_fmac_f32_e32 v68, v100, v88
	v_sub_f32_e32 v88, v95, v67
	s_delay_alu instid0(VALU_DEP_2) | instskip(NEXT) | instid1(VALU_DEP_2)
	v_fmac_f32_e32 v68, v101, v89
	v_mul_f32_e32 v88, 0x3fb8aa3b, v88
	s_delay_alu instid0(VALU_DEP_2) | instskip(NEXT) | instid1(VALU_DEP_2)
	v_fmac_f32_e32 v68, v96, v90
	v_exp_f32_e32 v88, v88
	s_delay_alu instid0(VALU_DEP_1)
	v_fmac_f32_e32 v68, v94, v91
	s_delay_alu instid0(TRANS32_DEP_2) | instid1(VALU_DEP_1)
	v_fmac_f32_e32 v68, v81, v92
	s_waitcnt_depctr 0xfff
	v_fmac_f32_e32 v68, v88, v93
	s_delay_alu instid0(VALU_DEP_1) | instskip(NEXT) | instid1(VALU_DEP_1)
	v_add_f32_e32 v89, 0x358637bd, v68
	v_div_scale_f32 v90, null, v89, v89, 1.0
	v_div_scale_f32 v93, s4, 1.0, v89, 1.0
	s_delay_alu instid0(VALU_DEP_2) | instskip(SKIP_2) | instid1(VALU_DEP_1)
	v_rcp_f32_e32 v91, v90
	s_waitcnt_depctr 0xfff
	v_fma_f32 v92, -v90, v91, 1.0
	v_dual_fmac_f32 v91, v92, v91 :: v_dual_cndmask_b32 v92, v99, v98
	v_cmp_eq_u32_e32 vcc_lo, 3, v66
	s_delay_alu instid0(VALU_DEP_2) | instskip(NEXT) | instid1(VALU_DEP_3)
	v_mul_f32_e32 v95, v93, v91
	v_cndmask_b32_e64 v92, v92, v100, s3
	v_cmp_eq_u32_e64 s3, 4, v66
	s_delay_alu instid0(VALU_DEP_3) | instskip(NEXT) | instid1(VALU_DEP_3)
	v_fma_f32 v97, -v90, v95, v93
	v_cndmask_b32_e32 v92, v92, v101, vcc_lo
	v_cmp_eq_u32_e32 vcc_lo, 5, v66
	s_delay_alu instid0(VALU_DEP_3) | instskip(NEXT) | instid1(VALU_DEP_3)
	v_fmac_f32_e32 v95, v97, v91
	v_cndmask_b32_e64 v92, v92, v96, s3
	v_cmp_eq_u32_e64 s3, 6, v66
	s_delay_alu instid0(VALU_DEP_3) | instskip(NEXT) | instid1(VALU_DEP_3)
	v_fma_f32 v90, -v90, v95, v93
	v_cndmask_b32_e32 v92, v92, v94, vcc_lo
	s_mov_b32 vcc_lo, s4
	s_delay_alu instid0(VALU_DEP_2) | instskip(NEXT) | instid1(VALU_DEP_2)
	v_div_fmas_f32 v90, v90, v91, v95
	v_cndmask_b32_e64 v81, v92, v81, s3
	s_mov_b32 s3, exec_lo
	s_delay_alu instid0(VALU_DEP_2) | instskip(NEXT) | instid1(VALU_DEP_2)
	v_div_fixup_f32 v89, v90, v89, 1.0
	v_cndmask_b32_e64 v81, v81, v88, s5
	s_delay_alu instid0(VALU_DEP_1) | instskip(NEXT) | instid1(VALU_DEP_1)
	v_mul_f32_e32 v81, v81, v89
	v_mul_f32_e32 v83, v81, v83
	v_mul_f32_e32 v89, v81, v79
	v_mul_f32_e32 v79, v81, v87
	v_mul_f32_e32 v86, v81, v86
	v_mul_f32_e32 v87, v81, v85
	v_mul_f32_e32 v88, v81, v84
	v_dual_mul_f32 v85, v81, v82 :: v_dual_and_b32 v90, 0x7f800000, v89
	v_mul_f32_e32 v84, v81, v75
                                        ; implicit-def: $vgpr75
	s_delay_alu instid0(VALU_DEP_2)
	v_cmpx_ne_u32_e32 0x7f800000, v90
	s_xor_b32 s3, exec_lo, s3
; %bb.12:
	v_bfe_u32 v75, v89, 16, 1
	s_delay_alu instid0(VALU_DEP_1)
	v_add3_u32 v75, v89, v75, 0x7fff
                                        ; implicit-def: $vgpr89
; %bb.13:
	s_and_not1_saveexec_b32 s3, s3
; %bb.14:
	v_and_b32_e32 v75, 0xffff, v89
	v_or_b32_e32 v82, 0x10000, v89
	s_delay_alu instid0(VALU_DEP_2) | instskip(NEXT) | instid1(VALU_DEP_2)
	v_cmp_eq_u32_e32 vcc_lo, 0, v75
	v_cndmask_b32_e32 v75, v82, v89, vcc_lo
; %bb.15:
	s_or_b32 exec_lo, exec_lo, s3
	v_and_b32_e32 v82, 0x7f800000, v84
	s_delay_alu instid0(VALU_DEP_1) | instskip(SKIP_1) | instid1(SALU_CYCLE_1)
	v_cmp_ne_u32_e32 vcc_lo, 0x7f800000, v82
                                        ; implicit-def: $vgpr82
	s_and_saveexec_b32 s3, vcc_lo
	s_xor_b32 s3, exec_lo, s3
; %bb.16:
	v_bfe_u32 v82, v84, 16, 1
	s_delay_alu instid0(VALU_DEP_1)
	v_add3_u32 v82, v84, v82, 0x7fff
                                        ; implicit-def: $vgpr84
; %bb.17:
	s_and_not1_saveexec_b32 s3, s3
; %bb.18:
	v_and_b32_e32 v82, 0xffff, v84
	v_or_b32_e32 v89, 0x10000, v84
	s_delay_alu instid0(VALU_DEP_2) | instskip(NEXT) | instid1(VALU_DEP_2)
	v_cmp_eq_u32_e32 vcc_lo, 0, v82
	v_cndmask_b32_e32 v82, v89, v84, vcc_lo
; %bb.19:
	s_or_b32 exec_lo, exec_lo, s3
	v_and_b32_e32 v84, 0x7f800000, v85
	s_delay_alu instid0(VALU_DEP_1) | instskip(SKIP_1) | instid1(SALU_CYCLE_1)
	v_cmp_ne_u32_e32 vcc_lo, 0x7f800000, v84
                                        ; implicit-def: $vgpr84
	s_and_saveexec_b32 s3, vcc_lo
	s_xor_b32 s3, exec_lo, s3
; %bb.20:
	v_bfe_u32 v84, v85, 16, 1
	s_delay_alu instid0(VALU_DEP_1)
	v_add3_u32 v84, v85, v84, 0x7fff
                                        ; implicit-def: $vgpr85
; %bb.21:
	s_and_not1_saveexec_b32 s3, s3
; %bb.22:
	v_and_b32_e32 v84, 0xffff, v85
	v_or_b32_e32 v89, 0x10000, v85
	s_delay_alu instid0(VALU_DEP_2) | instskip(NEXT) | instid1(VALU_DEP_2)
	v_cmp_eq_u32_e32 vcc_lo, 0, v84
	v_cndmask_b32_e32 v84, v89, v85, vcc_lo
; %bb.23:
	s_or_b32 exec_lo, exec_lo, s3
	v_and_b32_e32 v85, 0x7f800000, v88
	s_delay_alu instid0(VALU_DEP_1) | instskip(SKIP_1) | instid1(SALU_CYCLE_1)
	v_cmp_ne_u32_e32 vcc_lo, 0x7f800000, v85
                                        ; implicit-def: $vgpr85
	s_and_saveexec_b32 s3, vcc_lo
	s_xor_b32 s3, exec_lo, s3
; %bb.24:
	v_bfe_u32 v85, v88, 16, 1
	s_delay_alu instid0(VALU_DEP_1)
	v_add3_u32 v85, v88, v85, 0x7fff
                                        ; implicit-def: $vgpr88
; %bb.25:
	s_and_not1_saveexec_b32 s3, s3
; %bb.26:
	v_and_b32_e32 v85, 0xffff, v88
	v_or_b32_e32 v89, 0x10000, v88
	s_delay_alu instid0(VALU_DEP_2) | instskip(NEXT) | instid1(VALU_DEP_2)
	v_cmp_eq_u32_e32 vcc_lo, 0, v85
	v_cndmask_b32_e32 v85, v89, v88, vcc_lo
; %bb.27:
	s_or_b32 exec_lo, exec_lo, s3
	v_and_b32_e32 v88, 0x7f800000, v87
	s_delay_alu instid0(VALU_DEP_1) | instskip(SKIP_1) | instid1(SALU_CYCLE_1)
	v_cmp_ne_u32_e32 vcc_lo, 0x7f800000, v88
                                        ; implicit-def: $vgpr88
	s_and_saveexec_b32 s3, vcc_lo
	s_xor_b32 s3, exec_lo, s3
; %bb.28:
	v_bfe_u32 v88, v87, 16, 1
	s_delay_alu instid0(VALU_DEP_1)
	v_add3_u32 v88, v87, v88, 0x7fff
                                        ; implicit-def: $vgpr87
; %bb.29:
	s_and_not1_saveexec_b32 s3, s3
; %bb.30:
	v_and_b32_e32 v88, 0xffff, v87
	v_or_b32_e32 v89, 0x10000, v87
	s_delay_alu instid0(VALU_DEP_2) | instskip(NEXT) | instid1(VALU_DEP_2)
	v_cmp_eq_u32_e32 vcc_lo, 0, v88
	v_cndmask_b32_e32 v88, v89, v87, vcc_lo
; %bb.31:
	s_or_b32 exec_lo, exec_lo, s3
	v_and_b32_e32 v87, 0x7f800000, v86
	s_delay_alu instid0(VALU_DEP_1) | instskip(SKIP_1) | instid1(SALU_CYCLE_1)
	v_cmp_ne_u32_e32 vcc_lo, 0x7f800000, v87
                                        ; implicit-def: $vgpr87
	s_and_saveexec_b32 s3, vcc_lo
	s_xor_b32 s3, exec_lo, s3
; %bb.32:
	v_bfe_u32 v87, v86, 16, 1
	s_delay_alu instid0(VALU_DEP_1)
	v_add3_u32 v87, v86, v87, 0x7fff
                                        ; implicit-def: $vgpr86
; %bb.33:
	s_and_not1_saveexec_b32 s3, s3
; %bb.34:
	v_and_b32_e32 v87, 0xffff, v86
	v_or_b32_e32 v89, 0x10000, v86
	s_delay_alu instid0(VALU_DEP_2) | instskip(NEXT) | instid1(VALU_DEP_2)
	v_cmp_eq_u32_e32 vcc_lo, 0, v87
	v_cndmask_b32_e32 v87, v89, v86, vcc_lo
; %bb.35:
	s_or_b32 exec_lo, exec_lo, s3
	v_and_b32_e32 v86, 0x7f800000, v83
	s_delay_alu instid0(VALU_DEP_1) | instskip(SKIP_1) | instid1(SALU_CYCLE_1)
	v_cmp_ne_u32_e32 vcc_lo, 0x7f800000, v86
                                        ; implicit-def: $vgpr86
	s_and_saveexec_b32 s3, vcc_lo
	s_xor_b32 s3, exec_lo, s3
; %bb.36:
	v_bfe_u32 v86, v83, 16, 1
	s_delay_alu instid0(VALU_DEP_1)
	v_add3_u32 v86, v83, v86, 0x7fff
                                        ; implicit-def: $vgpr83
; %bb.37:
	s_and_not1_saveexec_b32 s3, s3
; %bb.38:
	v_and_b32_e32 v86, 0xffff, v83
	v_or_b32_e32 v89, 0x10000, v83
	s_delay_alu instid0(VALU_DEP_2) | instskip(NEXT) | instid1(VALU_DEP_2)
	v_cmp_eq_u32_e32 vcc_lo, 0, v86
	v_cndmask_b32_e32 v86, v89, v83, vcc_lo
; %bb.39:
	s_or_b32 exec_lo, exec_lo, s3
	v_and_b32_e32 v83, 0x7f800000, v79
	s_delay_alu instid0(VALU_DEP_1) | instskip(SKIP_1) | instid1(SALU_CYCLE_1)
	v_cmp_ne_u32_e32 vcc_lo, 0x7f800000, v83
                                        ; implicit-def: $vgpr83
	s_and_saveexec_b32 s3, vcc_lo
	s_xor_b32 s3, exec_lo, s3
; %bb.40:
	v_bfe_u32 v83, v79, 16, 1
	s_delay_alu instid0(VALU_DEP_1)
	v_add3_u32 v83, v79, v83, 0x7fff
                                        ; implicit-def: $vgpr79
; %bb.41:
	s_and_not1_saveexec_b32 s3, s3
; %bb.42:
	v_and_b32_e32 v83, 0xffff, v79
	v_or_b32_e32 v89, 0x10000, v79
	s_delay_alu instid0(VALU_DEP_2) | instskip(NEXT) | instid1(VALU_DEP_2)
	v_cmp_eq_u32_e32 vcc_lo, 0, v83
	v_cndmask_b32_e32 v83, v89, v79, vcc_lo
; %bb.43:
	s_or_b32 exec_lo, exec_lo, s3
	s_load_b64 s[36:37], s[0:1], 0x94
	v_lshlrev_b32_e32 v90, 4, v74
	s_delay_alu instid0(VALU_DEP_2)
	v_perm_b32 v89, v83, v86, 0x7060302
	v_lshlrev_b32_e32 v79, 6, v65
	v_dual_mul_f32 v76, v81, v76 :: v_dual_lshlrev_b32 v65, 11, v66
	v_perm_b32 v86, v82, v75, 0x7060302
	v_mul_f32_e32 v82, v81, v70
	v_perm_b32 v88, v87, v88, 0x7060302
	v_perm_b32 v87, v85, v84, 0x7060302
	v_or3_b32 v75, v90, v65, v79
	v_mul_f32_e32 v65, v81, v80
	v_mul_f32_e32 v70, v81, v78
	;; [unrolled: 1-line block ×3, first 2 shown]
	v_dual_mul_f32 v80, v81, v72 :: v_dual_and_b32 v83, 0x7f800000, v82
	v_mul_f32_e32 v78, v81, v71
	v_mul_f32_e32 v72, v81, v69
	s_mov_b32 s3, exec_lo
	ds_store_b128 v75, v[86:89]
                                        ; implicit-def: $vgpr69
	v_cmpx_ne_u32_e32 0x7f800000, v83
	s_xor_b32 s3, exec_lo, s3
; %bb.44:
	v_bfe_u32 v69, v82, 16, 1
	s_delay_alu instid0(VALU_DEP_1)
	v_add3_u32 v69, v82, v69, 0x7fff
                                        ; implicit-def: $vgpr82
; %bb.45:
	s_and_not1_saveexec_b32 s3, s3
; %bb.46:
	v_and_b32_e32 v69, 0xffff, v82
	v_or_b32_e32 v71, 0x10000, v82
	s_delay_alu instid0(VALU_DEP_2) | instskip(NEXT) | instid1(VALU_DEP_2)
	v_cmp_eq_u32_e32 vcc_lo, 0, v69
	v_cndmask_b32_e32 v69, v71, v82, vcc_lo
; %bb.47:
	s_or_b32 exec_lo, exec_lo, s3
	v_and_b32_e32 v71, 0x7f800000, v72
	s_delay_alu instid0(VALU_DEP_1) | instskip(SKIP_1) | instid1(SALU_CYCLE_1)
	v_cmp_ne_u32_e32 vcc_lo, 0x7f800000, v71
                                        ; implicit-def: $vgpr71
	s_and_saveexec_b32 s3, vcc_lo
	s_xor_b32 s3, exec_lo, s3
; %bb.48:
	v_bfe_u32 v71, v72, 16, 1
	s_delay_alu instid0(VALU_DEP_1)
	v_add3_u32 v71, v72, v71, 0x7fff
                                        ; implicit-def: $vgpr72
; %bb.49:
	s_and_not1_saveexec_b32 s3, s3
; %bb.50:
	v_and_b32_e32 v71, 0xffff, v72
	v_or_b32_e32 v81, 0x10000, v72
	s_delay_alu instid0(VALU_DEP_2) | instskip(NEXT) | instid1(VALU_DEP_2)
	v_cmp_eq_u32_e32 vcc_lo, 0, v71
	v_cndmask_b32_e32 v71, v81, v72, vcc_lo
; %bb.51:
	s_or_b32 exec_lo, exec_lo, s3
	v_and_b32_e32 v72, 0x7f800000, v78
	s_delay_alu instid0(VALU_DEP_1) | instskip(SKIP_1) | instid1(SALU_CYCLE_1)
	v_cmp_ne_u32_e32 vcc_lo, 0x7f800000, v72
                                        ; implicit-def: $vgpr72
	s_and_saveexec_b32 s3, vcc_lo
	s_xor_b32 s3, exec_lo, s3
; %bb.52:
	v_bfe_u32 v72, v78, 16, 1
	s_delay_alu instid0(VALU_DEP_1)
	v_add3_u32 v72, v78, v72, 0x7fff
                                        ; implicit-def: $vgpr78
; %bb.53:
	s_and_not1_saveexec_b32 s3, s3
; %bb.54:
	v_and_b32_e32 v72, 0xffff, v78
	v_or_b32_e32 v81, 0x10000, v78
	s_delay_alu instid0(VALU_DEP_2) | instskip(NEXT) | instid1(VALU_DEP_2)
	v_cmp_eq_u32_e32 vcc_lo, 0, v72
	v_cndmask_b32_e32 v72, v81, v78, vcc_lo
; %bb.55:
	s_or_b32 exec_lo, exec_lo, s3
	v_and_b32_e32 v78, 0x7f800000, v80
	s_delay_alu instid0(VALU_DEP_1) | instskip(SKIP_1) | instid1(SALU_CYCLE_1)
	v_cmp_ne_u32_e32 vcc_lo, 0x7f800000, v78
                                        ; implicit-def: $vgpr78
	s_and_saveexec_b32 s3, vcc_lo
	s_xor_b32 s3, exec_lo, s3
; %bb.56:
	v_bfe_u32 v78, v80, 16, 1
	s_delay_alu instid0(VALU_DEP_1)
	v_add3_u32 v78, v80, v78, 0x7fff
                                        ; implicit-def: $vgpr80
; %bb.57:
	s_and_not1_saveexec_b32 s3, s3
; %bb.58:
	v_and_b32_e32 v78, 0xffff, v80
	v_or_b32_e32 v81, 0x10000, v80
	s_delay_alu instid0(VALU_DEP_2) | instskip(NEXT) | instid1(VALU_DEP_2)
	v_cmp_eq_u32_e32 vcc_lo, 0, v78
	v_cndmask_b32_e32 v78, v81, v80, vcc_lo
; %bb.59:
	s_or_b32 exec_lo, exec_lo, s3
	v_and_b32_e32 v80, 0x7f800000, v76
	s_delay_alu instid0(VALU_DEP_1) | instskip(SKIP_1) | instid1(SALU_CYCLE_1)
	v_cmp_ne_u32_e32 vcc_lo, 0x7f800000, v80
                                        ; implicit-def: $vgpr80
	s_and_saveexec_b32 s3, vcc_lo
	s_xor_b32 s3, exec_lo, s3
; %bb.60:
	v_bfe_u32 v80, v76, 16, 1
	s_delay_alu instid0(VALU_DEP_1)
	v_add3_u32 v80, v76, v80, 0x7fff
                                        ; implicit-def: $vgpr76
; %bb.61:
	s_and_not1_saveexec_b32 s3, s3
; %bb.62:
	v_and_b32_e32 v80, 0xffff, v76
	v_or_b32_e32 v81, 0x10000, v76
	s_delay_alu instid0(VALU_DEP_2) | instskip(NEXT) | instid1(VALU_DEP_2)
	v_cmp_eq_u32_e32 vcc_lo, 0, v80
	v_cndmask_b32_e32 v80, v81, v76, vcc_lo
; %bb.63:
	s_or_b32 exec_lo, exec_lo, s3
	v_and_b32_e32 v76, 0x7f800000, v77
	s_delay_alu instid0(VALU_DEP_1) | instskip(SKIP_1) | instid1(SALU_CYCLE_1)
	v_cmp_ne_u32_e32 vcc_lo, 0x7f800000, v76
                                        ; implicit-def: $vgpr76
	s_and_saveexec_b32 s3, vcc_lo
	s_xor_b32 s3, exec_lo, s3
; %bb.64:
	v_bfe_u32 v76, v77, 16, 1
	s_delay_alu instid0(VALU_DEP_1)
	v_add3_u32 v76, v77, v76, 0x7fff
                                        ; implicit-def: $vgpr77
; %bb.65:
	s_and_not1_saveexec_b32 s3, s3
; %bb.66:
	v_and_b32_e32 v76, 0xffff, v77
	v_or_b32_e32 v81, 0x10000, v77
	s_delay_alu instid0(VALU_DEP_2) | instskip(NEXT) | instid1(VALU_DEP_2)
	v_cmp_eq_u32_e32 vcc_lo, 0, v76
	v_cndmask_b32_e32 v76, v81, v77, vcc_lo
; %bb.67:
	s_or_b32 exec_lo, exec_lo, s3
	v_and_b32_e32 v77, 0x7f800000, v70
	s_delay_alu instid0(VALU_DEP_1) | instskip(SKIP_1) | instid1(SALU_CYCLE_1)
	v_cmp_ne_u32_e32 vcc_lo, 0x7f800000, v77
                                        ; implicit-def: $vgpr77
	s_and_saveexec_b32 s3, vcc_lo
	s_xor_b32 s3, exec_lo, s3
; %bb.68:
	v_bfe_u32 v77, v70, 16, 1
	s_delay_alu instid0(VALU_DEP_1)
	v_add3_u32 v77, v70, v77, 0x7fff
                                        ; implicit-def: $vgpr70
; %bb.69:
	s_and_not1_saveexec_b32 s3, s3
; %bb.70:
	v_and_b32_e32 v77, 0xffff, v70
	v_or_b32_e32 v81, 0x10000, v70
	s_delay_alu instid0(VALU_DEP_2) | instskip(NEXT) | instid1(VALU_DEP_2)
	v_cmp_eq_u32_e32 vcc_lo, 0, v77
	v_cndmask_b32_e32 v77, v81, v70, vcc_lo
; %bb.71:
	s_or_b32 exec_lo, exec_lo, s3
	v_and_b32_e32 v70, 0x7f800000, v65
	s_delay_alu instid0(VALU_DEP_1) | instskip(SKIP_1) | instid1(SALU_CYCLE_1)
	v_cmp_ne_u32_e32 vcc_lo, 0x7f800000, v70
                                        ; implicit-def: $vgpr70
	s_and_saveexec_b32 s3, vcc_lo
	s_xor_b32 s3, exec_lo, s3
; %bb.72:
	v_bfe_u32 v70, v65, 16, 1
	s_delay_alu instid0(VALU_DEP_1)
	v_add3_u32 v70, v65, v70, 0x7fff
                                        ; implicit-def: $vgpr65
; %bb.73:
	s_and_not1_saveexec_b32 s3, s3
; %bb.74:
	v_and_b32_e32 v70, 0xffff, v65
	v_or_b32_e32 v81, 0x10000, v65
	s_delay_alu instid0(VALU_DEP_2) | instskip(NEXT) | instid1(VALU_DEP_2)
	v_cmp_eq_u32_e32 vcc_lo, 0, v70
	v_cndmask_b32_e32 v70, v81, v65, vcc_lo
; %bb.75:
	s_or_b32 exec_lo, exec_lo, s3
	s_delay_alu instid0(VALU_DEP_1)
	v_perm_b32 v85, v70, v77, 0x7060302
	v_perm_b32 v84, v76, v80, 0x7060302
	;; [unrolled: 1-line block ×4, first 2 shown]
	v_lshl_or_b32 v81, v66, 11, v79
	ds_store_b128 v75, v[82:85] offset:1024
	s_waitcnt lgkmcnt(0)
	s_barrier
	buffer_gl0_inv
	ds_load_b128 v[69:72], v81
	ds_load_b128 v[82:85], v81 offset:16
	s_waitcnt lgkmcnt(1)
	v_lshrrev_b32_e32 v65, 16, v69
	v_lshlrev_b32_e32 v77, 2, v74
	v_lshrrev_b32_e32 v66, 16, v70
	s_waitcnt lgkmcnt(0)
	v_lshrrev_b32_e32 v90, 16, v82
	v_lshrrev_b32_e32 v94, 16, v71
	;; [unrolled: 1-line block ×3, first 2 shown]
	v_cmp_eq_u32_e32 vcc_lo, 1, v77
	v_lshrrev_b32_e32 v95, 16, v72
	v_lshrrev_b32_e32 v97, 16, v84
	;; [unrolled: 1-line block ×3, first 2 shown]
	v_cndmask_b32_e32 v80, v69, v65, vcc_lo
	v_or_b32_e32 v78, 1, v77
	v_cmp_eq_u32_e64 s4, 2, v77
	v_cmp_eq_u32_e64 s7, 3, v77
	;; [unrolled: 1-line block ×3, first 2 shown]
	v_or_b32_e32 v76, 2, v77
	v_cmp_eq_u32_e64 s3, 1, v78
	v_cndmask_b32_e64 v80, v80, v70, s4
	v_cmp_eq_u32_e64 s6, 2, v78
	v_cmp_eq_u32_e64 s8, 3, v78
	v_cmp_eq_u32_e64 s10, 5, v77
	v_cndmask_b32_e64 v87, v69, v65, s3
	v_cndmask_b32_e64 v80, v80, v66, s7
	;; [unrolled: 1-line block ×3, first 2 shown]
	v_cmp_eq_u32_e64 s11, 4, v78
	v_cmp_eq_u32_e64 s5, 1, v76
	v_cndmask_b32_e64 v87, v87, v70, s6
	v_cndmask_b32_e64 v80, v80, v71, s9
	;; [unrolled: 1-line block ×3, first 2 shown]
	v_cmp_eq_u32_e64 s12, 6, v77
	v_cmp_eq_u32_e64 s13, 5, v78
	v_cndmask_b32_e64 v87, v87, v66, s8
	v_cndmask_b32_e64 v80, v80, v94, s10
	;; [unrolled: 1-line block ×4, first 2 shown]
	v_cmp_eq_u32_e64 s16, 7, v77
	v_cndmask_b32_e64 v87, v87, v71, s11
	v_cndmask_b32_e64 v80, v80, v72, s12
	v_cmp_eq_u32_e64 s17, 6, v78
	v_cmp_eq_u32_e64 s18, 2, v76
	v_cndmask_b32_e64 v88, v88, v84, s11
	v_cndmask_b32_e64 v87, v87, v94, s13
	;; [unrolled: 1-line block ×3, first 2 shown]
	v_cmp_eq_u32_e64 s19, 7, v78
	v_cndmask_b32_e64 v80, v89, v70, s18
	v_cmp_eq_u32_e64 s20, 3, v76
	v_cndmask_b32_e64 v87, v87, v72, s17
	v_cmp_eq_u32_e64 s21, 4, v76
	v_cmp_eq_u32_e64 s23, 5, v76
	;; [unrolled: 1-line block ×4, first 2 shown]
	v_cndmask_b32_e64 v101, v87, v95, s19
	v_cndmask_b32_e64 v87, v88, v97, s13
	;; [unrolled: 1-line block ×3, first 2 shown]
	v_or_b32_e32 v80, 3, v77
	s_delay_alu instid0(VALU_DEP_3) | instskip(NEXT) | instid1(VALU_DEP_3)
	v_cndmask_b32_e64 v102, v87, v85, s17
	v_cndmask_b32_e64 v91, v88, v71, s21
	s_delay_alu instid0(VALU_DEP_3)
	v_cmp_eq_u32_e64 s22, 1, v80
	v_cmp_eq_u32_e64 s24, 2, v80
	;; [unrolled: 1-line block ×5, first 2 shown]
	v_cndmask_b32_e64 v65, v69, v65, s22
	v_cmp_eq_u32_e64 s30, 6, v80
	v_cndmask_b32_e64 v103, v91, v94, s23
	s_delay_alu instid0(VALU_DEP_3) | instskip(NEXT) | instid1(VALU_DEP_1)
	v_cndmask_b32_e64 v65, v65, v70, s24
	v_cndmask_b32_e64 v65, v65, v66, s26
	s_delay_alu instid0(VALU_DEP_3) | instskip(NEXT) | instid1(VALU_DEP_2)
	v_cndmask_b32_e64 v66, v103, v72, s25
	v_cndmask_b32_e64 v65, v65, v71, s27
	s_delay_alu instid0(VALU_DEP_2) | instskip(NEXT) | instid1(VALU_DEP_2)
	v_cndmask_b32_e64 v66, v66, v95, s28
	v_cndmask_b32_e64 v65, v65, v94, s29
	s_delay_alu instid0(VALU_DEP_1) | instskip(SKIP_1) | instid1(VALU_DEP_1)
	v_cndmask_b32_e64 v65, v65, v72, s30
	v_cndmask_b32_e32 v86, v82, v90, vcc_lo
	v_cndmask_b32_e64 v86, v86, v83, s4
	s_delay_alu instid0(VALU_DEP_1) | instskip(NEXT) | instid1(VALU_DEP_1)
	v_cndmask_b32_e64 v86, v86, v96, s7
	v_cndmask_b32_e64 v86, v86, v84, s9
	s_delay_alu instid0(VALU_DEP_1) | instskip(NEXT) | instid1(VALU_DEP_1)
	v_cndmask_b32_e64 v86, v86, v97, s10
	v_cndmask_b32_e64 v86, v86, v85, s12
	s_delay_alu instid0(VALU_DEP_1) | instskip(SKIP_2) | instid1(VALU_DEP_2)
	v_cndmask_b32_e64 v100, v86, v98, s16
	v_cndmask_b32_e64 v86, v82, v90, s5
	;; [unrolled: 1-line block ×4, first 2 shown]
	s_delay_alu instid0(VALU_DEP_2) | instskip(SKIP_1) | instid1(VALU_DEP_3)
	v_cndmask_b32_e64 v70, v82, v83, s24
	v_cndmask_b32_e64 v82, v102, v98, s19
	;; [unrolled: 1-line block ×3, first 2 shown]
	ds_load_b128 v[86:89], v81 offset:1024
	v_cndmask_b32_e64 v70, v70, v96, s26
	v_cndmask_b32_e64 v69, v92, v84, s21
	ds_load_b128 v[90:93], v81 offset:1040
	v_cndmask_b32_e64 v70, v70, v84, s27
	v_cndmask_b32_e64 v69, v69, v97, s23
	s_delay_alu instid0(VALU_DEP_2) | instskip(NEXT) | instid1(VALU_DEP_2)
	v_cndmask_b32_e64 v70, v70, v97, s29
	v_cndmask_b32_e64 v69, v69, v85, s25
	s_delay_alu instid0(VALU_DEP_2) | instskip(NEXT) | instid1(VALU_DEP_2)
	v_cndmask_b32_e64 v70, v70, v85, s30
	v_cndmask_b32_e64 v69, v69, v98, s28
	s_waitcnt lgkmcnt(1)
	v_lshrrev_b32_e32 v83, 16, v86
	v_lshrrev_b32_e32 v94, 16, v87
	;; [unrolled: 1-line block ×3, first 2 shown]
	s_delay_alu instid0(VALU_DEP_3) | instskip(SKIP_3) | instid1(VALU_DEP_3)
	v_cndmask_b32_e32 v71, v86, v83, vcc_lo
	s_waitcnt lgkmcnt(0)
	v_lshrrev_b32_e32 v84, 16, v90
	v_cndmask_b32_e64 v96, v86, v83, s3
	v_cndmask_b32_e64 v71, v71, v87, s4
	s_delay_alu instid0(VALU_DEP_3) | instskip(NEXT) | instid1(VALU_DEP_3)
	v_cndmask_b32_e32 v97, v90, v84, vcc_lo
	v_cndmask_b32_e64 v72, v96, v87, s6
	v_lshrrev_b32_e32 v96, 16, v91
	v_cmp_eq_u32_e32 vcc_lo, 7, v80
	v_cndmask_b32_e64 v71, v71, v94, s7
	v_cndmask_b32_e64 v85, v97, v91, s4
	;; [unrolled: 1-line block ×3, first 2 shown]
	v_lshrrev_b32_e32 v97, 16, v88
	v_cndmask_b32_e32 v65, v65, v95, vcc_lo
	v_cndmask_b32_e64 v71, v71, v88, s9
	v_cndmask_b32_e64 v85, v85, v96, s7
	v_cndmask_b32_e32 v70, v70, v98, vcc_lo
	v_cndmask_b32_e64 v95, v72, v88, s11
	v_lshrrev_b32_e32 v98, 16, v92
	v_cndmask_b32_e64 v71, v71, v97, s10
	v_cndmask_b32_e64 v85, v85, v92, s9
	v_perm_b32 v72, v70, v65, 0x5040100
	v_cndmask_b32_e64 v65, v95, v97, s13
	v_perm_b32 v70, v82, v101, 0x5040100
	v_cndmask_b32_e64 v95, v71, v89, s12
	v_cndmask_b32_e64 v85, v85, v98, s10
	v_perm_b32 v71, v69, v66, 0x5040100
	v_cndmask_b32_e64 v65, v65, v89, s17
	v_lshrrev_b32_e32 v82, 16, v93
	v_cndmask_b32_e64 v66, v95, v102, s16
	v_cndmask_b32_e64 v69, v85, v93, s12
	v_cndmask_b32_e64 v85, v86, v83, s5
	v_cndmask_b32_e64 v83, v86, v83, s22
	v_cndmask_b32_e64 v86, v90, v84, s22
	v_cndmask_b32_e64 v95, v90, v84, s5
	v_cndmask_b32_e64 v84, v90, v84, s3
	v_cndmask_b32_e64 v85, v85, v87, s18
	v_cndmask_b32_e64 v83, v83, v87, s24
	v_cndmask_b32_e64 v86, v86, v91, s24
	v_cndmask_b32_e64 v87, v95, v91, s18
	v_cndmask_b32_e64 v84, v84, v91, s6
	v_cndmask_b32_e64 v85, v85, v94, s20
	v_cndmask_b32_e64 v83, v83, v94, s26
	v_cndmask_b32_e64 v86, v86, v96, s26
	v_cndmask_b32_e64 v87, v87, v96, s20
	v_cndmask_b32_e64 v84, v84, v96, s8
	v_cndmask_b32_e64 v85, v85, v88, s21
	v_cndmask_b32_e64 v83, v83, v88, s27
	v_cndmask_b32_e64 v86, v86, v92, s27
	v_cndmask_b32_e64 v87, v87, v92, s21
	v_cndmask_b32_e64 v84, v84, v92, s11
	v_cndmask_b32_e64 v85, v85, v97, s23
	v_cndmask_b32_e64 v83, v83, v97, s29
	v_cndmask_b32_e64 v86, v86, v98, s29
	v_cndmask_b32_e64 v87, v87, v98, s23
	v_cndmask_b32_e64 v84, v84, v98, s13
	v_cndmask_b32_e64 v85, v85, v89, s25
	v_cndmask_b32_e64 v83, v83, v89, s30
	v_cndmask_b32_e64 v86, v86, v93, s30
	v_cndmask_b32_e64 v87, v87, v93, s25
	v_cndmask_b32_e64 v84, v84, v93, s17
	v_cndmask_b32_e64 v65, v65, v102, s19
	v_cndmask_b32_e64 v88, v85, v102, s28
	v_cndmask_b32_e32 v83, v83, v102, vcc_lo
	v_cndmask_b32_e32 v85, v86, v82, vcc_lo
	v_cndmask_b32_e64 v86, v87, v82, s28
	v_cndmask_b32_e64 v87, v84, v82, s19
	;; [unrolled: 1-line block ×3, first 2 shown]
	v_perm_b32 v69, v100, v99, 0x5040100
	v_perm_b32 v85, v85, v83, 0x5040100
	;; [unrolled: 1-line block ×5, first 2 shown]
	s_mov_b32 s3, exec_lo
	ds_store_b128 v75, v[69:72]
	ds_store_b128 v75, v[82:85] offset:1024
	v_cmpx_eq_u32_e32 0, v0
	s_cbranch_execz .LBB1642_77
; %bb.76:
	s_load_b128 s[4:7], s[0:1], 0x58
	s_mul_i32 s8, s37, s34
	v_mov_b32_e32 v65, 0
	s_add_i32 s8, s8, s15
	s_delay_alu instid0(SALU_CYCLE_1) | instskip(NEXT) | instid1(SALU_CYCLE_1)
	s_mul_i32 s8, s8, s36
	s_add_i32 s8, s8, s14
	s_delay_alu instid0(SALU_CYCLE_1) | instskip(NEXT) | instid1(SALU_CYCLE_1)
	s_ashr_i32 s9, s8, 31
	s_lshl_b64 s[8:9], s[8:9], 2
	s_waitcnt lgkmcnt(0)
	s_add_u32 s6, s6, s8
	s_addc_u32 s7, s7, s9
	s_add_u32 s4, s4, s8
	s_addc_u32 s5, s5, s9
	s_clause 0x1
	global_store_b32 v65, v67, s[6:7]
	global_store_b32 v65, v68, s[4:5]
.LBB1642_77:
	s_or_b32 exec_lo, exec_lo, s3
	s_waitcnt lgkmcnt(0)
	s_waitcnt_vscnt null, 0x0
	s_barrier
	buffer_gl0_inv
	ds_load_b128 v[82:85], v79
	ds_load_b128 v[86:89], v79 offset:16
	ds_load_b128 v[94:97], v79 offset:2064
	;; [unrolled: 1-line block ×3, first 2 shown]
	v_mov_b32_e32 v65, 0
	ds_load_b128 v[102:105], v79 offset:4112
	ds_load_b128 v[98:101], v79 offset:4096
	;; [unrolled: 1-line block ×4, first 2 shown]
	v_mov_b32_e32 v66, v65
	v_mov_b32_e32 v67, v65
	;; [unrolled: 1-line block ×7, first 2 shown]
	s_waitcnt lgkmcnt(6)
	s_delay_alu instid0(VALU_DEP_1)
	v_wmma_f32_16x16x16_bf16 v[65:72], v[49:56], v[82:89], v[65:72]
	ds_load_b128 v[53:56], v79 offset:8208
	ds_load_b128 v[49:52], v79 offset:8192
	s_waitcnt lgkmcnt(6)
	v_wmma_f32_16x16x16_bf16 v[65:72], v[41:48], v[90:97], v[65:72]
	ds_load_b128 v[45:48], v79 offset:10256
	ds_load_b128 v[41:44], v79 offset:10240
	s_waitcnt lgkmcnt(6)
	v_wmma_f32_16x16x16_bf16 v[65:72], v[33:40], v[98:105], v[65:72]
	ds_load_b128 v[37:40], v79 offset:12304
	ds_load_b128 v[33:36], v79 offset:12288
	s_waitcnt lgkmcnt(6)
	v_wmma_f32_16x16x16_bf16 v[65:72], v[25:32], v[106:113], v[65:72]
	ds_load_b128 v[29:32], v79 offset:14352
	ds_load_b128 v[25:28], v79 offset:14336
	s_waitcnt lgkmcnt(6)
	v_wmma_f32_16x16x16_bf16 v[65:72], v[1:8], v[49:56], v[65:72]
	s_waitcnt lgkmcnt(4)
	s_delay_alu instid0(VALU_DEP_1) | instskip(SKIP_1) | instid1(VALU_DEP_1)
	v_wmma_f32_16x16x16_bf16 v[65:72], v[9:16], v[41:48], v[65:72]
	s_waitcnt lgkmcnt(2)
	v_wmma_f32_16x16x16_bf16 v[65:72], v[17:24], v[33:40], v[65:72]
	s_waitcnt lgkmcnt(0)
	s_delay_alu instid0(VALU_DEP_1) | instskip(NEXT) | instid1(VALU_DEP_1)
	v_wmma_f32_16x16x16_bf16 v[65:72], v[57:64], v[25:32], v[65:72]
	v_and_b32_e32 v1, 0x7f800000, v65
	s_delay_alu instid0(VALU_DEP_1) | instskip(SKIP_1) | instid1(SALU_CYCLE_1)
	v_cmp_ne_u32_e32 vcc_lo, 0x7f800000, v1
                                        ; implicit-def: $vgpr1
	s_and_saveexec_b32 s3, vcc_lo
	s_xor_b32 s3, exec_lo, s3
; %bb.78:
	v_bfe_u32 v1, v65, 16, 1
	s_delay_alu instid0(VALU_DEP_1)
	v_add3_u32 v1, v65, v1, 0x7fff
; %bb.79:
	s_and_not1_saveexec_b32 s3, s3
; %bb.80:
	v_and_b32_e32 v1, 0xffff, v65
	v_or_b32_e32 v2, 0x10000, v65
	s_delay_alu instid0(VALU_DEP_2) | instskip(NEXT) | instid1(VALU_DEP_2)
	v_cmp_eq_u32_e32 vcc_lo, 0, v1
	v_cndmask_b32_e32 v1, v2, v65, vcc_lo
; %bb.81:
	s_or_b32 exec_lo, exec_lo, s3
	v_and_b32_e32 v2, 0x7f800000, v66
	s_delay_alu instid0(VALU_DEP_1) | instskip(SKIP_1) | instid1(SALU_CYCLE_1)
	v_cmp_ne_u32_e32 vcc_lo, 0x7f800000, v2
                                        ; implicit-def: $vgpr2
	s_and_saveexec_b32 s3, vcc_lo
	s_xor_b32 s3, exec_lo, s3
; %bb.82:
	v_bfe_u32 v2, v66, 16, 1
	s_delay_alu instid0(VALU_DEP_1)
	v_add3_u32 v2, v66, v2, 0x7fff
; %bb.83:
	s_and_not1_saveexec_b32 s3, s3
; %bb.84:
	v_and_b32_e32 v2, 0xffff, v66
	v_or_b32_e32 v3, 0x10000, v66
	s_delay_alu instid0(VALU_DEP_2) | instskip(NEXT) | instid1(VALU_DEP_2)
	v_cmp_eq_u32_e32 vcc_lo, 0, v2
	v_cndmask_b32_e32 v2, v3, v66, vcc_lo
; %bb.85:
	s_or_b32 exec_lo, exec_lo, s3
	v_and_b32_e32 v3, 0x7f800000, v67
	s_delay_alu instid0(VALU_DEP_1) | instskip(SKIP_1) | instid1(SALU_CYCLE_1)
	v_cmp_ne_u32_e32 vcc_lo, 0x7f800000, v3
                                        ; implicit-def: $vgpr3
	s_and_saveexec_b32 s3, vcc_lo
	s_xor_b32 s3, exec_lo, s3
; %bb.86:
	v_bfe_u32 v3, v67, 16, 1
	s_delay_alu instid0(VALU_DEP_1)
	v_add3_u32 v3, v67, v3, 0x7fff
; %bb.87:
	s_and_not1_saveexec_b32 s3, s3
; %bb.88:
	v_and_b32_e32 v3, 0xffff, v67
	v_or_b32_e32 v4, 0x10000, v67
	s_delay_alu instid0(VALU_DEP_2) | instskip(NEXT) | instid1(VALU_DEP_2)
	v_cmp_eq_u32_e32 vcc_lo, 0, v3
	v_cndmask_b32_e32 v3, v4, v67, vcc_lo
; %bb.89:
	s_or_b32 exec_lo, exec_lo, s3
	v_and_b32_e32 v4, 0x7f800000, v68
	s_delay_alu instid0(VALU_DEP_1) | instskip(SKIP_1) | instid1(SALU_CYCLE_1)
	v_cmp_ne_u32_e32 vcc_lo, 0x7f800000, v4
                                        ; implicit-def: $vgpr4
	s_and_saveexec_b32 s3, vcc_lo
	s_xor_b32 s3, exec_lo, s3
; %bb.90:
	v_bfe_u32 v4, v68, 16, 1
	s_delay_alu instid0(VALU_DEP_1)
	v_add3_u32 v4, v68, v4, 0x7fff
; %bb.91:
	s_and_not1_saveexec_b32 s3, s3
; %bb.92:
	v_and_b32_e32 v4, 0xffff, v68
	v_or_b32_e32 v5, 0x10000, v68
	s_delay_alu instid0(VALU_DEP_2) | instskip(NEXT) | instid1(VALU_DEP_2)
	v_cmp_eq_u32_e32 vcc_lo, 0, v4
	v_cndmask_b32_e32 v4, v5, v68, vcc_lo
; %bb.93:
	s_or_b32 exec_lo, exec_lo, s3
	v_and_b32_e32 v5, 0x7f800000, v69
	s_delay_alu instid0(VALU_DEP_1) | instskip(SKIP_1) | instid1(SALU_CYCLE_1)
	v_cmp_ne_u32_e32 vcc_lo, 0x7f800000, v5
                                        ; implicit-def: $vgpr5
	s_and_saveexec_b32 s3, vcc_lo
	s_xor_b32 s3, exec_lo, s3
; %bb.94:
	v_bfe_u32 v5, v69, 16, 1
	s_delay_alu instid0(VALU_DEP_1)
	v_add3_u32 v5, v69, v5, 0x7fff
; %bb.95:
	s_and_not1_saveexec_b32 s3, s3
; %bb.96:
	v_and_b32_e32 v5, 0xffff, v69
	v_or_b32_e32 v6, 0x10000, v69
	s_delay_alu instid0(VALU_DEP_2) | instskip(NEXT) | instid1(VALU_DEP_2)
	v_cmp_eq_u32_e32 vcc_lo, 0, v5
	v_cndmask_b32_e32 v5, v6, v69, vcc_lo
; %bb.97:
	s_or_b32 exec_lo, exec_lo, s3
	v_and_b32_e32 v6, 0x7f800000, v70
	s_delay_alu instid0(VALU_DEP_1) | instskip(SKIP_1) | instid1(SALU_CYCLE_1)
	v_cmp_ne_u32_e32 vcc_lo, 0x7f800000, v6
                                        ; implicit-def: $vgpr6
	s_and_saveexec_b32 s3, vcc_lo
	s_xor_b32 s3, exec_lo, s3
; %bb.98:
	v_bfe_u32 v6, v70, 16, 1
	s_delay_alu instid0(VALU_DEP_1)
	v_add3_u32 v6, v70, v6, 0x7fff
; %bb.99:
	s_and_not1_saveexec_b32 s3, s3
; %bb.100:
	v_and_b32_e32 v6, 0xffff, v70
	v_or_b32_e32 v7, 0x10000, v70
	s_delay_alu instid0(VALU_DEP_2) | instskip(NEXT) | instid1(VALU_DEP_2)
	v_cmp_eq_u32_e32 vcc_lo, 0, v6
	v_cndmask_b32_e32 v6, v7, v70, vcc_lo
; %bb.101:
	s_or_b32 exec_lo, exec_lo, s3
	v_and_b32_e32 v7, 0x7f800000, v71
	s_delay_alu instid0(VALU_DEP_1) | instskip(SKIP_1) | instid1(SALU_CYCLE_1)
	v_cmp_ne_u32_e32 vcc_lo, 0x7f800000, v7
                                        ; implicit-def: $vgpr7
	s_and_saveexec_b32 s3, vcc_lo
	s_xor_b32 s3, exec_lo, s3
; %bb.102:
	v_bfe_u32 v7, v71, 16, 1
	s_delay_alu instid0(VALU_DEP_1)
	v_add3_u32 v7, v71, v7, 0x7fff
; %bb.103:
	s_and_not1_saveexec_b32 s3, s3
; %bb.104:
	v_and_b32_e32 v7, 0xffff, v71
	v_or_b32_e32 v8, 0x10000, v71
	s_delay_alu instid0(VALU_DEP_2) | instskip(NEXT) | instid1(VALU_DEP_2)
	v_cmp_eq_u32_e32 vcc_lo, 0, v7
	v_cndmask_b32_e32 v7, v8, v71, vcc_lo
; %bb.105:
	s_or_b32 exec_lo, exec_lo, s3
	v_and_b32_e32 v8, 0x7f800000, v72
	s_delay_alu instid0(VALU_DEP_1) | instskip(SKIP_1) | instid1(SALU_CYCLE_1)
	v_cmp_ne_u32_e32 vcc_lo, 0x7f800000, v8
                                        ; implicit-def: $vgpr8
	s_and_saveexec_b32 s3, vcc_lo
	s_xor_b32 s3, exec_lo, s3
; %bb.106:
	v_bfe_u32 v8, v72, 16, 1
	s_delay_alu instid0(VALU_DEP_1)
	v_add3_u32 v8, v72, v8, 0x7fff
                                        ; implicit-def: $vgpr65_vgpr66_vgpr67_vgpr68_vgpr69_vgpr70_vgpr71_vgpr72
; %bb.107:
	s_and_not1_saveexec_b32 s3, s3
; %bb.108:
	v_and_b32_e32 v8, 0xffff, v72
	v_or_b32_e32 v9, 0x10000, v72
	s_delay_alu instid0(VALU_DEP_2) | instskip(NEXT) | instid1(VALU_DEP_2)
	v_cmp_eq_u32_e32 vcc_lo, 0, v8
	v_cndmask_b32_e32 v8, v9, v72, vcc_lo
; %bb.109:
	s_or_b32 exec_lo, exec_lo, s3
	s_delay_alu instid0(VALU_DEP_1)
	v_perm_b32 v7, v8, v7, 0x7060302
	v_perm_b32 v6, v6, v5, 0x7060302
	;; [unrolled: 1-line block ×4, first 2 shown]
	s_barrier
	buffer_gl0_inv
	v_cmp_eq_u32_e32 vcc_lo, 1, v77
	ds_store_b128 v75, v[4:7]
	s_waitcnt lgkmcnt(0)
	s_barrier
	buffer_gl0_inv
	ds_load_b128 v[1:4], v81
	ds_load_b128 v[5:8], v81 offset:16
	v_cmp_eq_u32_e64 s3, 1, v78
	v_cmp_eq_u32_e64 s4, 2, v77
	;; [unrolled: 1-line block ×5, first 2 shown]
	s_xor_b32 s2, s2, -1
	s_waitcnt lgkmcnt(1)
	v_lshrrev_b32_e32 v9, 16, v1
	s_waitcnt lgkmcnt(0)
	v_lshrrev_b32_e32 v13, 16, v5
	v_lshrrev_b32_e32 v10, 16, v2
	;; [unrolled: 1-line block ×4, first 2 shown]
	v_cndmask_b32_e64 v19, v1, v9, s3
	v_cndmask_b32_e32 v18, v5, v13, vcc_lo
	v_cndmask_b32_e64 v20, v5, v13, s3
	v_cndmask_b32_e32 v17, v1, v9, vcc_lo
	v_cmp_eq_u32_e32 vcc_lo, 2, v78
	v_lshrrev_b32_e32 v15, 16, v7
	v_cmp_eq_u32_e64 s3, 1, v76
	v_lshrrev_b32_e32 v12, 16, v4
	v_lshrrev_b32_e32 v16, 16, v8
	v_cndmask_b32_e32 v20, v20, v6, vcc_lo
	v_cndmask_b32_e64 v17, v17, v2, s4
	v_cndmask_b32_e32 v19, v19, v2, vcc_lo
	v_cndmask_b32_e64 v18, v18, v6, s4
	v_cmp_eq_u32_e32 vcc_lo, 4, v77
	v_cmp_eq_u32_e64 s4, 3, v78
	v_cndmask_b32_e64 v17, v17, v10, s5
	v_cndmask_b32_e64 v21, v1, v9, s3
	;; [unrolled: 1-line block ×5, first 2 shown]
	v_cndmask_b32_e32 v17, v17, v3, vcc_lo
	v_cndmask_b32_e64 v20, v20, v14, s4
	v_cndmask_b32_e32 v18, v18, v7, vcc_lo
	v_cmp_eq_u32_e32 vcc_lo, 4, v78
	v_cmp_eq_u32_e64 s4, 5, v78
	v_cmp_eq_u32_e64 s3, 2, v80
	v_cndmask_b32_e64 v21, v21, v2, s7
	v_cmp_eq_u32_e64 s5, 5, v77
	v_cndmask_b32_e32 v19, v19, v3, vcc_lo
	v_cndmask_b32_e32 v20, v20, v7, vcc_lo
	v_cmp_eq_u32_e32 vcc_lo, 6, v78
	s_delay_alu instid0(VALU_DEP_4) | instskip(NEXT) | instid1(VALU_DEP_4)
	v_cndmask_b32_e64 v17, v17, v11, s5
	v_cndmask_b32_e64 v19, v19, v11, s4
	s_delay_alu instid0(VALU_DEP_4) | instskip(SKIP_1) | instid1(VALU_DEP_3)
	v_cndmask_b32_e64 v20, v20, v15, s4
	v_cmp_eq_u32_e64 s4, 1, v80
	v_cndmask_b32_e32 v19, v19, v4, vcc_lo
	v_cndmask_b32_e64 v18, v18, v15, s5
	s_delay_alu instid0(VALU_DEP_3)
	v_cndmask_b32_e64 v1, v1, v9, s4
	v_cndmask_b32_e64 v5, v5, v13, s4
	v_cmp_eq_u32_e64 s4, 3, v76
	v_cndmask_b32_e64 v13, v22, v6, s7
	v_cmp_eq_u32_e64 s7, 3, v80
	v_cndmask_b32_e64 v1, v1, v2, s3
	v_cndmask_b32_e64 v2, v5, v6, s3
	;; [unrolled: 1-line block ×3, first 2 shown]
	v_cmp_eq_u32_e64 s3, 4, v76
	v_cndmask_b32_e64 v6, v13, v14, s4
	v_cndmask_b32_e64 v1, v1, v10, s7
	v_cmp_eq_u32_e64 s4, 4, v80
	v_cndmask_b32_e64 v2, v2, v14, s7
	v_cndmask_b32_e64 v5, v9, v3, s3
	;; [unrolled: 3-line block ×3, first 2 shown]
	v_cndmask_b32_e64 v2, v2, v7, s4
	v_cmp_eq_u32_e64 s3, 5, v80
	v_cmp_eq_u32_e64 s5, 6, v77
	v_cndmask_b32_e64 v5, v5, v11, s7
	v_cmp_eq_u32_e64 s4, 6, v76
	v_cndmask_b32_e64 v3, v6, v15, s7
	v_cndmask_b32_e64 v1, v1, v11, s3
	v_cmp_eq_u32_e64 s7, 6, v80
	v_cndmask_b32_e64 v2, v2, v15, s3
	v_cndmask_b32_e64 v17, v17, v4, s5
	v_cndmask_b32_e64 v18, v18, v8, s5
	v_cmp_eq_u32_e64 s5, 7, v77
	v_cndmask_b32_e64 v5, v5, v4, s4
	;; [unrolled: 4-line block ×3, first 2 shown]
	v_cmp_eq_u32_e64 s4, 7, v76
	v_cndmask_b32_e32 v4, v20, v8, vcc_lo
	v_cndmask_b32_e64 v17, v17, v12, s5
	v_cndmask_b32_e64 v19, v19, v12, s6
	;; [unrolled: 1-line block ×8, first 2 shown]
	v_cmp_gt_u32_e32 vcc_lo, 32, v0
	v_perm_b32 v4, v2, v1, 0x5040100
	v_perm_b32 v3, v3, v5, 0x5040100
	;; [unrolled: 1-line block ×4, first 2 shown]
	s_and_b32 s2, vcc_lo, s2
	ds_store_b128 v75, v[1:4]
	s_waitcnt lgkmcnt(0)
	s_barrier
	buffer_gl0_inv
	s_and_saveexec_b32 s3, s2
	s_cbranch_execz .LBB1642_2
; %bb.110:
	s_load_b64 s[0:1], s[0:1], 0x68
	v_lshlrev_b32_e32 v1, 10, v0
	v_and_b32_e32 v0, 1, v0
	v_lshlrev_b32_e32 v2, 6, v74
	s_lshl_b32 s4, s36, 7
	s_delay_alu instid0(VALU_DEP_3) | instskip(NEXT) | instid1(VALU_DEP_3)
	v_and_b32_e32 v1, 0x3800, v1
	v_lshlrev_b32_e32 v0, 4, v0
	s_mul_i32 s2, s4, s34
	s_delay_alu instid0(SALU_CYCLE_1) | instskip(NEXT) | instid1(VALU_DEP_1)
	s_mul_i32 s2, s2, s37
	v_or3_b32 v0, v1, v2, v0
	s_ashr_i32 s3, s2, 31
	s_delay_alu instid0(SALU_CYCLE_1)
	s_lshl_b64 s[2:3], s[2:3], 1
	ds_load_b128 v[0:3], v0
	s_waitcnt lgkmcnt(0)
	s_add_u32 s5, s0, s2
	s_addc_u32 s3, s1, s3
	s_lshl_b32 s0, s14, 7
	s_mul_i32 s2, s4, s15
	s_ashr_i32 s1, s0, 31
	s_delay_alu instid0(SALU_CYCLE_1) | instskip(NEXT) | instid1(SALU_CYCLE_1)
	s_lshl_b64 s[0:1], s[0:1], 1
	s_add_u32 s4, s5, s0
	s_addc_u32 s5, s3, s1
	s_ashr_i32 s3, s2, 31
	s_delay_alu instid0(SALU_CYCLE_1) | instskip(NEXT) | instid1(SALU_CYCLE_1)
	s_lshl_b64 s[0:1], s[2:3], 1
	s_add_u32 s0, s4, s0
	s_addc_u32 s1, s5, s1
	global_store_b128 v73, v[0:3], s[0:1]
	s_nop 0
	s_sendmsg sendmsg(MSG_DEALLOC_VGPRS)
	s_endpgm
	.section	.rodata,"a",@progbits
	.p2align	6, 0x0
	.amdhsa_kernel _Z39paged_attention_ll4mi_QKV_mfma16_kernelI14__hip_bfloat16hLN4vllm18Fp8KVCacheDataTypeE1ES0_Li32ELi128ELi256ELb1ELi1EL8MFMAType1EEvPKT_PKT0_S9_ifPKiSB_SB_iPKfiiiPfSE_PS4_PT2_iSD_SD_
		.amdhsa_group_segment_fixed_size 17472
		.amdhsa_private_segment_fixed_size 0
		.amdhsa_kernarg_size 400
		.amdhsa_user_sgpr_count 13
		.amdhsa_user_sgpr_dispatch_ptr 0
		.amdhsa_user_sgpr_queue_ptr 0
		.amdhsa_user_sgpr_kernarg_segment_ptr 1
		.amdhsa_user_sgpr_dispatch_id 0
		.amdhsa_user_sgpr_private_segment_size 0
		.amdhsa_wavefront_size32 1
		.amdhsa_uses_dynamic_stack 0
		.amdhsa_enable_private_segment 0
		.amdhsa_system_sgpr_workgroup_id_x 1
		.amdhsa_system_sgpr_workgroup_id_y 1
		.amdhsa_system_sgpr_workgroup_id_z 1
		.amdhsa_system_sgpr_workgroup_info 0
		.amdhsa_system_vgpr_workitem_id 0
		.amdhsa_next_free_vgpr 138
		.amdhsa_next_free_sgpr 68
		.amdhsa_reserve_vcc 1
		.amdhsa_float_round_mode_32 0
		.amdhsa_float_round_mode_16_64 0
		.amdhsa_float_denorm_mode_32 3
		.amdhsa_float_denorm_mode_16_64 3
		.amdhsa_dx10_clamp 1
		.amdhsa_ieee_mode 1
		.amdhsa_fp16_overflow 0
		.amdhsa_workgroup_processor_mode 1
		.amdhsa_memory_ordered 1
		.amdhsa_forward_progress 0
		.amdhsa_shared_vgpr_count 0
		.amdhsa_exception_fp_ieee_invalid_op 0
		.amdhsa_exception_fp_denorm_src 0
		.amdhsa_exception_fp_ieee_div_zero 0
		.amdhsa_exception_fp_ieee_overflow 0
		.amdhsa_exception_fp_ieee_underflow 0
		.amdhsa_exception_fp_ieee_inexact 0
		.amdhsa_exception_int_div_zero 0
	.end_amdhsa_kernel
	.section	.text._Z39paged_attention_ll4mi_QKV_mfma16_kernelI14__hip_bfloat16hLN4vllm18Fp8KVCacheDataTypeE1ES0_Li32ELi128ELi256ELb1ELi1EL8MFMAType1EEvPKT_PKT0_S9_ifPKiSB_SB_iPKfiiiPfSE_PS4_PT2_iSD_SD_,"axG",@progbits,_Z39paged_attention_ll4mi_QKV_mfma16_kernelI14__hip_bfloat16hLN4vllm18Fp8KVCacheDataTypeE1ES0_Li32ELi128ELi256ELb1ELi1EL8MFMAType1EEvPKT_PKT0_S9_ifPKiSB_SB_iPKfiiiPfSE_PS4_PT2_iSD_SD_,comdat
.Lfunc_end1642:
	.size	_Z39paged_attention_ll4mi_QKV_mfma16_kernelI14__hip_bfloat16hLN4vllm18Fp8KVCacheDataTypeE1ES0_Li32ELi128ELi256ELb1ELi1EL8MFMAType1EEvPKT_PKT0_S9_ifPKiSB_SB_iPKfiiiPfSE_PS4_PT2_iSD_SD_, .Lfunc_end1642-_Z39paged_attention_ll4mi_QKV_mfma16_kernelI14__hip_bfloat16hLN4vllm18Fp8KVCacheDataTypeE1ES0_Li32ELi128ELi256ELb1ELi1EL8MFMAType1EEvPKT_PKT0_S9_ifPKiSB_SB_iPKfiiiPfSE_PS4_PT2_iSD_SD_
                                        ; -- End function
	.section	.AMDGPU.csdata,"",@progbits
; Kernel info:
; codeLenInByte = 8628
; NumSgprs: 70
; NumVgprs: 138
; ScratchSize: 0
; MemoryBound: 1
; FloatMode: 240
; IeeeMode: 1
; LDSByteSize: 17472 bytes/workgroup (compile time only)
; SGPRBlocks: 8
; VGPRBlocks: 17
; NumSGPRsForWavesPerEU: 70
; NumVGPRsForWavesPerEU: 138
; Occupancy: 10
; WaveLimiterHint : 1
; COMPUTE_PGM_RSRC2:SCRATCH_EN: 0
; COMPUTE_PGM_RSRC2:USER_SGPR: 13
; COMPUTE_PGM_RSRC2:TRAP_HANDLER: 0
; COMPUTE_PGM_RSRC2:TGID_X_EN: 1
; COMPUTE_PGM_RSRC2:TGID_Y_EN: 1
; COMPUTE_PGM_RSRC2:TGID_Z_EN: 1
; COMPUTE_PGM_RSRC2:TIDIG_COMP_CNT: 0
	.section	.text._Z39paged_attention_ll4mi_QKV_mfma16_kernelI14__hip_bfloat16hLN4vllm18Fp8KVCacheDataTypeE1ES0_Li32ELi128ELi256ELb1ELi2EL8MFMAType1EEvPKT_PKT0_S9_ifPKiSB_SB_iPKfiiiPfSE_PS4_PT2_iSD_SD_,"axG",@progbits,_Z39paged_attention_ll4mi_QKV_mfma16_kernelI14__hip_bfloat16hLN4vllm18Fp8KVCacheDataTypeE1ES0_Li32ELi128ELi256ELb1ELi2EL8MFMAType1EEvPKT_PKT0_S9_ifPKiSB_SB_iPKfiiiPfSE_PS4_PT2_iSD_SD_,comdat
	.protected	_Z39paged_attention_ll4mi_QKV_mfma16_kernelI14__hip_bfloat16hLN4vllm18Fp8KVCacheDataTypeE1ES0_Li32ELi128ELi256ELb1ELi2EL8MFMAType1EEvPKT_PKT0_S9_ifPKiSB_SB_iPKfiiiPfSE_PS4_PT2_iSD_SD_ ; -- Begin function _Z39paged_attention_ll4mi_QKV_mfma16_kernelI14__hip_bfloat16hLN4vllm18Fp8KVCacheDataTypeE1ES0_Li32ELi128ELi256ELb1ELi2EL8MFMAType1EEvPKT_PKT0_S9_ifPKiSB_SB_iPKfiiiPfSE_PS4_PT2_iSD_SD_
	.globl	_Z39paged_attention_ll4mi_QKV_mfma16_kernelI14__hip_bfloat16hLN4vllm18Fp8KVCacheDataTypeE1ES0_Li32ELi128ELi256ELb1ELi2EL8MFMAType1EEvPKT_PKT0_S9_ifPKiSB_SB_iPKfiiiPfSE_PS4_PT2_iSD_SD_
	.p2align	8
	.type	_Z39paged_attention_ll4mi_QKV_mfma16_kernelI14__hip_bfloat16hLN4vllm18Fp8KVCacheDataTypeE1ES0_Li32ELi128ELi256ELb1ELi2EL8MFMAType1EEvPKT_PKT0_S9_ifPKiSB_SB_iPKfiiiPfSE_PS4_PT2_iSD_SD_,@function
_Z39paged_attention_ll4mi_QKV_mfma16_kernelI14__hip_bfloat16hLN4vllm18Fp8KVCacheDataTypeE1ES0_Li32ELi128ELi256ELb1ELi2EL8MFMAType1EEvPKT_PKT0_S9_ifPKiSB_SB_iPKfiiiPfSE_PS4_PT2_iSD_SD_: ; @_Z39paged_attention_ll4mi_QKV_mfma16_kernelI14__hip_bfloat16hLN4vllm18Fp8KVCacheDataTypeE1ES0_Li32ELi128ELi256ELb1ELi2EL8MFMAType1EEvPKT_PKT0_S9_ifPKiSB_SB_iPKfiiiPfSE_PS4_PT2_iSD_SD_
; %bb.0:
	s_load_b64 s[2:3], s[0:1], 0x30
	s_mov_b32 s30, s13
	s_waitcnt lgkmcnt(0)
	s_cmp_lg_u64 s[2:3], 0
	s_cselect_b32 s6, -1, 0
	s_ashr_i32 s31, s13, 31
	s_cmp_eq_u64 s[2:3], 0
	s_cbranch_scc1 .LBB1643_3
; %bb.1:
	s_lshl_b64 s[4:5], s[30:31], 2
	s_delay_alu instid0(SALU_CYCLE_1) | instskip(SKIP_4) | instid1(SALU_CYCLE_1)
	s_add_u32 s4, s2, s4
	s_addc_u32 s5, s3, s5
	s_load_b64 s[4:5], s[4:5], 0x0
	s_waitcnt lgkmcnt(0)
	s_sub_i32 s4, s5, s4
	s_cmp_eq_u32 s4, 1
	s_cselect_b32 s4, -1, 0
	s_delay_alu instid0(SALU_CYCLE_1)
	s_and_not1_b32 vcc_lo, exec_lo, s4
	s_cbranch_vccz .LBB1643_4
.LBB1643_2:
	s_endpgm
.LBB1643_3:
.LBB1643_4:
	s_load_b64 s[8:9], s[0:1], 0x28
	s_lshl_b64 s[4:5], s[30:31], 2
	s_waitcnt lgkmcnt(0)
	s_add_u32 s8, s8, s4
	s_addc_u32 s9, s9, s5
	s_lshl_b32 s16, s14, 8
	s_load_b32 s18, s[8:9], 0x0
	s_waitcnt lgkmcnt(0)
	s_cmp_ge_i32 s16, s18
	s_cbranch_scc1 .LBB1643_2
; %bb.5:
	s_clause 0x1
	s_load_b128 s[8:11], s[0:1], 0x8
	s_load_b64 s[12:13], s[0:1], 0x20
	s_and_not1_b32 vcc_lo, exec_lo, s6
	s_cbranch_vccnz .LBB1643_7
; %bb.6:
	s_add_u32 s2, s2, s4
	s_addc_u32 s3, s3, s5
	s_load_b32 s3, s[2:3], 0x0
	s_branch .LBB1643_8
.LBB1643_7:
	s_mov_b32 s3, s30
.LBB1643_8:
	s_load_b128 s[4:7], s[0:1], 0x48
	v_and_b32_e32 v66, 15, v0
	v_bfe_u32 v65, v0, 4, 1
	s_lshl_b32 s31, s15, 1
	v_and_b32_e32 v67, 31, v0
	v_and_b32_e32 v76, 1, v0
	v_lshlrev_b32_e32 v1, 3, v66
	v_cmp_gt_u32_e64 s2, 32, v0
	v_or_b32_e32 v75, s31, v65
	v_lshlrev_b32_e32 v74, 6, v65
	s_delay_alu instid0(VALU_DEP_4)
	v_lshlrev_b32_e32 v73, 1, v1
	s_waitcnt lgkmcnt(0)
	s_and_saveexec_b32 s7, s2
	s_cbranch_execz .LBB1643_10
; %bb.9:
	s_load_b64 s[20:21], s[0:1], 0x0
	v_lshlrev_b32_e32 v1, 7, v75
	s_mul_hi_i32 s23, s3, s4
	s_mul_i32 s22, s3, s4
	v_lshlrev_b32_e32 v5, 10, v66
	s_lshl_b64 s[22:23], s[22:23], 1
	v_ashrrev_i32_e32 v2, 31, v1
	v_lshlrev_b32_e32 v6, 10, v76
	s_delay_alu instid0(VALU_DEP_3) | instskip(NEXT) | instid1(VALU_DEP_3)
	v_and_b32_e32 v5, 0x3800, v5
	v_lshlrev_b64 v[1:2], 1, v[1:2]
	s_delay_alu instid0(VALU_DEP_2) | instskip(SKIP_3) | instid1(VALU_DEP_2)
	v_or3_b32 v5, v5, v6, v74
	s_waitcnt lgkmcnt(0)
	s_add_u32 s3, s20, s22
	s_addc_u32 s4, s21, s23
	v_add_co_u32 v1, vcc_lo, s3, v1
	v_add_co_ci_u32_e32 v2, vcc_lo, s4, v2, vcc_lo
	s_delay_alu instid0(VALU_DEP_2) | instskip(NEXT) | instid1(VALU_DEP_2)
	v_add_co_u32 v1, vcc_lo, v1, v73
	v_add_co_ci_u32_e32 v2, vcc_lo, 0, v2, vcc_lo
	global_load_b128 v[1:4], v[1:2], off
	s_waitcnt vmcnt(0)
	ds_store_b128 v5, v[1:4]
.LBB1643_10:
	s_or_b32 exec_lo, exec_lo, s7
	v_and_b32_e32 v1, 0xef, v0
	s_add_i32 s3, s18, 31
	s_clause 0x1
	s_load_b32 s4, s[0:1], 0x38
	s_load_b32 s19, s[0:1], 0x1c
	s_ashr_i32 s7, s3, 31
	v_add_nc_u32_e32 v1, s16, v1
	s_lshr_b32 s7, s7, 27
	s_waitcnt lgkmcnt(0)
	s_add_i32 s3, s3, s7
	s_barrier
	v_ashrrev_i32_e32 v2, 31, v1
	v_or_b32_e32 v3, 16, v1
	s_ashr_i32 s3, s3, 5
	v_cmp_gt_i32_e32 vcc_lo, s18, v1
	s_add_i32 s3, s3, -1
	v_lshrrev_b32_e32 v2, 27, v2
	buffer_gl0_inv
	s_mul_i32 s15, s15, s6
	v_lshrrev_b32_e32 v68, 5, v0
	v_lshlrev_b32_e32 v33, 5, v66
	v_add_nc_u32_e32 v4, v1, v2
	s_mul_i32 s20, s30, s4
	s_delay_alu instid0(SALU_CYCLE_1) | instskip(NEXT) | instid1(VALU_DEP_1)
	s_ashr_i32 s21, s20, 31
	v_ashrrev_i32_e32 v4, 5, v4
	v_add_nc_u32_e32 v2, v3, v2
	s_lshl_b64 s[20:21], s[20:21], 2
	v_lshl_or_b32 v33, v68, 9, v33
	s_add_u32 s4, s12, s20
	v_cndmask_b32_e32 v1, s3, v4, vcc_lo
	v_ashrrev_i32_e32 v2, 5, v2
	v_cmp_gt_i32_e32 vcc_lo, s18, v3
	s_addc_u32 s12, s13, s21
	s_ashr_i32 s13, s15, 31
	s_add_u32 s6, s8, s15
	s_addc_u32 s7, s9, s13
	v_cndmask_b32_e32 v3, s3, v2, vcc_lo
	v_ashrrev_i32_e32 v2, 31, v1
	s_lshl_b32 s8, s14, 3
	s_delay_alu instid0(SALU_CYCLE_1) | instskip(NEXT) | instid1(VALU_DEP_2)
	s_ashr_i32 s9, s8, 31
	v_ashrrev_i32_e32 v4, 31, v3
	s_delay_alu instid0(VALU_DEP_2) | instskip(SKIP_1) | instid1(SALU_CYCLE_1)
	v_lshlrev_b64 v[1:2], 2, v[1:2]
	s_lshl_b64 s[8:9], s[8:9], 2
	s_add_u32 s8, s4, s8
	s_delay_alu instid0(VALU_DEP_2) | instskip(SKIP_1) | instid1(VALU_DEP_2)
	v_lshlrev_b64 v[3:4], 2, v[3:4]
	s_addc_u32 s9, s12, s9
	v_add_co_u32 v1, vcc_lo, s4, v1
	v_add_co_ci_u32_e32 v2, vcc_lo, s12, v2, vcc_lo
	s_delay_alu instid0(VALU_DEP_3) | instskip(NEXT) | instid1(VALU_DEP_4)
	v_add_co_u32 v3, vcc_lo, s4, v3
	v_add_co_ci_u32_e32 v4, vcc_lo, s12, v4, vcc_lo
	s_clause 0x1
	global_load_b32 v5, v[1:2], off
	global_load_b32 v6, v[3:4], off
	s_or_b32 s17, s16, 32
	s_delay_alu instid0(SALU_CYCLE_1) | instskip(SKIP_2) | instid1(SALU_CYCLE_1)
	s_ashr_i32 s20, s17, 5
	s_cmp_lt_i32 s17, s18
	s_cselect_b32 s20, s20, s3
	s_ashr_i32 s21, s20, 31
	s_delay_alu instid0(SALU_CYCLE_1) | instskip(NEXT) | instid1(SALU_CYCLE_1)
	s_lshl_b64 s[20:21], s[20:21], 2
	s_add_u32 s20, s4, s20
	s_addc_u32 s21, s12, s21
	s_or_b32 s17, s16, 64
	s_delay_alu instid0(SALU_CYCLE_1) | instskip(SKIP_2) | instid1(SALU_CYCLE_1)
	s_ashr_i32 s22, s17, 5
	s_cmp_lt_i32 s17, s18
	s_cselect_b32 s22, s22, s3
	s_ashr_i32 s23, s22, 31
	s_delay_alu instid0(SALU_CYCLE_1) | instskip(NEXT) | instid1(SALU_CYCLE_1)
	s_lshl_b64 s[22:23], s[22:23], 2
	s_add_u32 s22, s4, s22
	s_addc_u32 s23, s12, s23
	s_or_b32 s17, s16, 0x60
	s_delay_alu instid0(SALU_CYCLE_1) | instskip(SKIP_2) | instid1(SALU_CYCLE_1)
	s_ashr_i32 s24, s17, 5
	s_cmp_lt_i32 s17, s18
	s_cselect_b32 s24, s24, s3
	s_ashr_i32 s25, s24, 31
	s_delay_alu instid0(SALU_CYCLE_1) | instskip(NEXT) | instid1(SALU_CYCLE_1)
	s_lshl_b64 s[24:25], s[24:25], 2
	s_add_u32 s24, s4, s24
	s_addc_u32 s25, s12, s25
	s_or_b32 s17, s16, 0x80
	s_delay_alu instid0(SALU_CYCLE_1) | instskip(SKIP_2) | instid1(SALU_CYCLE_1)
	s_ashr_i32 s26, s17, 5
	s_cmp_lt_i32 s17, s18
	s_cselect_b32 s26, s26, s3
	s_ashr_i32 s27, s26, 31
	s_delay_alu instid0(SALU_CYCLE_1) | instskip(NEXT) | instid1(SALU_CYCLE_1)
	s_lshl_b64 s[26:27], s[26:27], 2
	s_add_u32 s26, s4, s26
	s_addc_u32 s27, s12, s27
	s_or_b32 s17, s16, 0xa0
	s_delay_alu instid0(SALU_CYCLE_1) | instskip(SKIP_2) | instid1(SALU_CYCLE_1)
	s_ashr_i32 s28, s17, 5
	s_cmp_lt_i32 s17, s18
	s_cselect_b32 s28, s28, s3
	s_ashr_i32 s29, s28, 31
	s_delay_alu instid0(SALU_CYCLE_1) | instskip(NEXT) | instid1(SALU_CYCLE_1)
	s_lshl_b64 s[28:29], s[28:29], 2
	s_add_u32 s28, s4, s28
	s_addc_u32 s29, s12, s29
	s_clause 0x5
	s_load_b32 s17, s[8:9], 0x0
	s_load_b32 s33, s[20:21], 0x0
	;; [unrolled: 1-line block ×6, first 2 shown]
	s_mov_b32 s20, 0
	s_delay_alu instid0(SALU_CYCLE_1)
	s_mov_b32 s21, s20
	s_mov_b32 s22, s20
	;; [unrolled: 1-line block ×7, first 2 shown]
	s_delay_alu instid0(SALU_CYCLE_1)
	v_dual_mov_b32 v108, s27 :: v_dual_lshlrev_b32 v137, 6, v76
	v_dual_mov_b32 v102, s21 :: v_dual_mov_b32 v107, s26
	v_dual_mov_b32 v106, s25 :: v_dual_mov_b32 v105, s24
	v_mov_b32_e32 v103, s22
	v_dual_mov_b32 v101, s20 :: v_dual_mov_b32 v104, s23
	s_waitcnt vmcnt(1)
	v_mad_i64_i32 v[1:2], null, v5, s5, s[6:7]
	v_lshlrev_b32_e32 v5, 4, v66
	s_waitcnt vmcnt(0)
	v_mad_i64_i32 v[3:4], null, v6, s5, s[6:7]
	s_or_b32 s6, s16, 0xc0
	s_delay_alu instid0(SALU_CYCLE_1) | instskip(NEXT) | instid1(VALU_DEP_3)
	s_ashr_i32 s7, s6, 5
	v_add_co_u32 v25, vcc_lo, v1, v5
	s_delay_alu instid0(VALU_DEP_4) | instskip(NEXT) | instid1(VALU_DEP_3)
	v_add_co_ci_u32_e32 v26, vcc_lo, 0, v2, vcc_lo
	v_add_co_u32 v27, vcc_lo, v3, v5
	s_delay_alu instid0(VALU_DEP_4)
	v_add_co_ci_u32_e32 v28, vcc_lo, 0, v4, vcc_lo
	s_clause 0xf
	global_load_b128 v[1:4], v[25:26], off
	global_load_b128 v[5:8], v[25:26], off offset:512
	global_load_b128 v[9:12], v[27:28], off offset:256
	;; [unrolled: 1-line block ×15, first 2 shown]
	s_cmp_lt_i32 s6, s18
	ds_load_b128 v[25:28], v137
	ds_load_b128 v[29:32], v137 offset:1024
	s_cselect_b32 s6, s7, s3
	ds_load_b128 v[109:112], v137 offset:2048
	ds_load_b128 v[113:116], v137 offset:3072
	s_ashr_i32 s7, s6, 31
	ds_load_b128 v[117:120], v137 offset:4096
	ds_load_b128 v[121:124], v137 offset:5120
	s_lshl_b64 s[6:7], s[6:7], 2
	s_delay_alu instid0(SALU_CYCLE_1) | instskip(SKIP_2) | instid1(SALU_CYCLE_1)
	s_add_u32 s6, s4, s6
	s_addc_u32 s7, s12, s7
	s_or_b32 s8, s16, 0xe0
	s_ashr_i32 s9, s8, 5
	s_cmp_lt_i32 s8, s18
	s_cselect_b32 s8, s9, s3
	s_delay_alu instid0(SALU_CYCLE_1) | instskip(NEXT) | instid1(SALU_CYCLE_1)
	s_ashr_i32 s9, s8, 31
	s_lshl_b64 s[8:9], s[8:9], 2
	s_delay_alu instid0(SALU_CYCLE_1) | instskip(SKIP_4) | instid1(VALU_DEP_1)
	s_add_u32 s8, s4, s8
	s_addc_u32 s9, s12, s9
	s_add_u32 s3, s10, s15
	s_addc_u32 s4, s11, s13
	v_add_co_u32 v69, s3, s3, v33
	v_add_co_ci_u32_e64 v70, null, s4, 0, s3
	s_clause 0x1
	s_load_b32 s3, s[6:7], 0x0
	s_load_b32 s4, s[8:9], 0x0
	s_waitcnt lgkmcnt(0)
	v_mad_i64_i32 v[33:34], null, s17, s5, v[69:70]
	v_mad_i64_i32 v[71:72], null, s34, s5, v[69:70]
	;; [unrolled: 1-line block ×5, first 2 shown]
	s_clause 0x3
	global_load_b128 v[41:44], v[33:34], off
	global_load_b128 v[45:48], v[33:34], off offset:16
	global_load_b128 v[33:36], v[37:38], off
	global_load_b128 v[37:40], v[37:38], off offset:16
	s_waitcnt vmcnt(18)
	v_wmma_f32_16x16x16_bf16 v[125:132], v[1:8], v[25:32], v[101:108]
	s_waitcnt vmcnt(16)
	v_wmma_f32_16x16x16_bf16 v[101:108], v[9:16], v[25:32], v[101:108]
	v_mad_i64_i32 v[13:14], null, s28, s5, v[69:70]
	s_waitcnt vmcnt(14)
	v_wmma_f32_16x16x16_bf16 v[125:132], v[17:24], v[109:116], v[125:132]
	s_clause 0x1
	global_load_b128 v[25:28], v[71:72], off
	global_load_b128 v[29:32], v[71:72], off offset:16
	s_waitcnt vmcnt(14)
	v_wmma_f32_16x16x16_bf16 v[101:108], v[49:56], v[109:116], v[101:108]
	v_mad_i64_i32 v[49:50], null, s3, s5, v[69:70]
	v_mad_i64_i32 v[53:54], null, s4, s5, v[69:70]
	s_clause 0x5
	global_load_b128 v[17:20], v[133:134], off
	global_load_b128 v[21:24], v[133:134], off offset:16
	global_load_b128 v[1:4], v[135:136], off
	global_load_b128 v[5:8], v[135:136], off offset:16
	;; [unrolled: 2-line block ×3, first 2 shown]
	s_waitcnt vmcnt(18)
	v_wmma_f32_16x16x16_bf16 v[125:132], v[57:64], v[117:124], v[125:132]
	s_clause 0x3
	global_load_b128 v[57:60], v[49:50], off
	global_load_b128 v[61:64], v[49:50], off offset:16
	global_load_b128 v[49:52], v[53:54], off
	global_load_b128 v[53:56], v[53:54], off offset:16
	s_waitcnt vmcnt(20)
	v_wmma_f32_16x16x16_bf16 v[101:108], v[77:84], v[117:124], v[101:108]
	ds_load_b128 v[77:80], v137 offset:6144
	ds_load_b128 v[81:84], v137 offset:7168
	v_mbcnt_lo_u32_b32 v70, -1, 0
	s_waitcnt vmcnt(0) lgkmcnt(0)
	s_barrier
	buffer_gl0_inv
	v_xor_b32_e32 v71, 16, v70
	s_delay_alu instid0(VALU_DEP_1) | instskip(SKIP_4) | instid1(VALU_DEP_2)
	v_cmp_gt_i32_e32 vcc_lo, 32, v71
	v_cndmask_b32_e32 v70, v70, v71, vcc_lo
	v_wmma_f32_16x16x16_bf16 v[125:132], v[85:92], v[77:84], v[125:132]
	v_and_b32_e32 v69, 0xe0, v0
	v_wmma_f32_16x16x16_bf16 v[101:108], v[93:100], v[77:84], v[101:108]
	v_dual_mul_f32 v94, s19, v131 :: v_dual_add_nc_u32 v69, s16, v69
	s_delay_alu instid0(VALU_DEP_2) | instskip(SKIP_1) | instid1(VALU_DEP_4)
	v_mul_f32_e32 v98, s19, v103
	v_dual_mul_f32 v80, s19, v126 :: v_dual_mul_f32 v81, s19, v128
	v_mul_f32_e32 v96, s19, v101
	s_delay_alu instid0(VALU_DEP_4) | instskip(SKIP_3) | instid1(VALU_DEP_4)
	v_or_b32_e32 v69, v69, v65
	v_dual_mul_f32 v82, s19, v127 :: v_dual_mul_f32 v83, s19, v130
	v_mul_f32_e32 v100, s19, v105
	v_mul_f32_e32 v84, s19, v129
	v_or_b32_e32 v71, 2, v69
	v_or_b32_e32 v72, 4, v69
	;; [unrolled: 1-line block ×3, first 2 shown]
	v_cmp_gt_i32_e64 s3, s18, v69
	v_or_b32_e32 v110, 8, v69
	v_cmp_gt_i32_e32 vcc_lo, s18, v71
	v_mul_f32_e32 v71, s19, v125
	v_or_b32_e32 v85, 10, v69
	v_or_b32_e32 v91, 22, v69
	v_cmp_gt_i32_e64 s4, s18, v72
	v_mul_f32_e32 v72, s19, v107
	v_cndmask_b32_e64 v71, 0xff7fffff, v71, s3
	v_cndmask_b32_e32 v80, 0xff7fffff, v80, vcc_lo
	v_cmp_gt_i32_e64 s5, s18, v109
	v_or_b32_e32 v86, 12, v69
	v_or_b32_e32 v87, 14, v69
	v_cndmask_b32_e64 v82, 0xff7fffff, v82, s4
	v_cmp_gt_i32_e64 s6, s18, v110
	v_cndmask_b32_e64 v81, 0xff7fffff, v81, s5
	v_cmp_gt_i32_e64 s7, s18, v85
	v_cmp_gt_i32_e64 s13, s18, v91
	v_lshlrev_b32_e32 v91, 2, v70
	v_max3_f32 v71, v71, 0xff7fffff, v80
	v_or_b32_e32 v88, 16, v69
	v_or_b32_e32 v89, 18, v69
	v_mul_f32_e32 v93, s19, v132
	v_cndmask_b32_e64 v80, 0xff7fffff, v84, s6
	v_cndmask_b32_e64 v83, 0xff7fffff, v83, s7
	v_max3_f32 v71, v71, v82, v81
	v_cmp_gt_i32_e64 s8, s18, v86
	v_cmp_gt_i32_e64 s9, s18, v87
	v_or_b32_e32 v90, 20, v69
	v_mul_f32_e32 v95, s19, v102
	v_max3_f32 v71, v71, v80, v83
	v_cndmask_b32_e64 v81, 0xff7fffff, v94, s8
	v_cndmask_b32_e64 v82, 0xff7fffff, v93, s9
	v_cmp_gt_i32_e64 s10, s18, v88
	v_cmp_gt_i32_e64 s11, s18, v89
	v_or_b32_e32 v92, 24, v69
	v_or_b32_e32 v77, 26, v69
	v_mul_f32_e32 v97, s19, v104
	v_cndmask_b32_e64 v80, 0xff7fffff, v96, s10
	v_cndmask_b32_e64 v83, 0xff7fffff, v95, s11
	v_max3_f32 v71, v71, v81, v82
	v_cmp_gt_i32_e64 s12, s18, v90
	v_or_b32_e32 v78, 28, v69
	v_or_b32_e32 v79, 30, v69
	v_mul_f32_e32 v99, s19, v106
	v_cndmask_b32_e64 v82, 0xff7fffff, v97, s13
	v_cndmask_b32_e64 v81, 0xff7fffff, v98, s12
	v_max3_f32 v71, v71, v80, v83
	v_cmp_gt_i32_e64 s15, s18, v92
	v_cmp_gt_i32_e64 s16, s18, v77
	v_mul_f32_e32 v69, s19, v108
	v_cmp_gt_i32_e64 s17, s18, v78
	v_max3_f32 v71, v71, v81, v82
	v_cndmask_b32_e64 v80, 0xff7fffff, v100, s15
	v_cndmask_b32_e64 v77, 0xff7fffff, v99, s16
	v_cmp_gt_i32_e64 s18, s18, v79
	v_cndmask_b32_e64 v72, 0xff7fffff, v72, s17
	s_delay_alu instid0(VALU_DEP_3) | instskip(NEXT) | instid1(VALU_DEP_3)
	v_max3_f32 v71, v71, v80, v77
	v_cndmask_b32_e64 v69, 0xff7fffff, v69, s18
	s_delay_alu instid0(VALU_DEP_1) | instskip(SKIP_3) | instid1(VALU_DEP_1)
	v_max3_f32 v69, v71, v72, v69
	ds_bpermute_b32 v70, v91, v69
	s_waitcnt lgkmcnt(0)
	v_max_f32_e32 v70, v70, v70
	v_max_f32_e32 v69, v69, v70
	s_delay_alu instid0(VALU_DEP_1) | instskip(NEXT) | instid1(VALU_DEP_1)
	v_fma_f32 v72, s19, v127, -v69
	v_mul_f32_e32 v72, 0x3fb8aa3b, v72
	s_delay_alu instid0(VALU_DEP_1) | instskip(SKIP_3) | instid1(VALU_DEP_1)
	v_exp_f32_e32 v72, v72
	s_waitcnt_depctr 0xfff
	v_cndmask_b32_e64 v85, 0, v72, s4
	v_fma_f32 v72, s19, v132, -v69
	v_mul_f32_e32 v72, 0x3fb8aa3b, v72
	v_fma_f32 v70, s19, v125, -v69
	v_fma_f32 v78, s19, v129, -v69
	;; [unrolled: 1-line block ×5, first 2 shown]
	v_mul_f32_e32 v70, 0x3fb8aa3b, v70
	v_mul_f32_e32 v78, 0x3fb8aa3b, v78
	v_exp_f32_e32 v72, v72
	v_mul_f32_e32 v80, 0x3fb8aa3b, v80
	v_fma_f32 v83, s19, v106, -v69
	v_exp_f32_e32 v70, v70
	v_exp_f32_e32 v78, v78
	s_delay_alu instid0(VALU_DEP_2) | instskip(SKIP_2) | instid1(TRANS32_DEP_3)
	v_exp_f32_e32 v80, v80
	v_cndmask_b32_e64 v90, 0, v72, s9
	v_fma_f32 v72, s19, v105, -v69
	v_cndmask_b32_e64 v81, 0, v70, s3
	v_fma_f32 v70, s19, v130, -v69
	v_mul_f32_e32 v71, 0x3fb8aa3b, v71
	s_delay_alu instid0(TRANS32_DEP_2) | instskip(SKIP_1) | instid1(VALU_DEP_4)
	v_cndmask_b32_e64 v88, 0, v78, s6
	v_fma_f32 v78, s19, v102, -v69
	v_dual_mul_f32 v77, 0x3fb8aa3b, v77 :: v_dual_mul_f32 v70, 0x3fb8aa3b, v70
	s_delay_alu instid0(VALU_DEP_4) | instskip(SKIP_1) | instid1(VALU_DEP_3)
	v_exp_f32_e32 v71, v71
	v_cndmask_b32_e64 v86, 0, v80, s8
	v_mul_f32_e32 v78, 0x3fb8aa3b, v78
	s_delay_alu instid0(VALU_DEP_3)
	v_exp_f32_e32 v79, v77
	v_exp_f32_e32 v70, v70
	v_fma_f32 v80, s19, v104, -v69
	v_mul_f32_e32 v72, 0x3fb8aa3b, v72
	v_exp_f32_e32 v78, v78
	s_mov_b32 s3, exec_lo
	s_delay_alu instid0(VALU_DEP_2) | instskip(NEXT) | instid1(VALU_DEP_2)
	v_mul_f32_e32 v80, 0x3fb8aa3b, v80
	v_exp_f32_e32 v84, v72
	v_cndmask_b32_e64 v87, 0, v79, s5
	s_delay_alu instid0(TRANS32_DEP_3) | instskip(SKIP_4) | instid1(VALU_DEP_2)
	v_cndmask_b32_e64 v89, 0, v70, s7
	v_cndmask_b32_e32 v77, 0, v71, vcc_lo
	v_add_f32_e32 v71, 0, v81
	v_fma_f32 v79, s19, v101, -v69
	v_exp_f32_e32 v80, v80
	v_add_f32_e32 v71, v71, v77
	s_delay_alu instid0(VALU_DEP_1) | instskip(NEXT) | instid1(VALU_DEP_1)
	v_add_f32_e32 v71, v71, v85
	v_add_f32_e32 v71, v71, v87
	s_delay_alu instid0(VALU_DEP_1) | instskip(SKIP_1) | instid1(VALU_DEP_1)
	v_add_f32_e32 v70, v71, v88
	v_fma_f32 v71, s19, v103, -v69
	v_dual_add_f32 v70, v70, v89 :: v_dual_mul_f32 v71, 0x3fb8aa3b, v71
	s_delay_alu instid0(VALU_DEP_1) | instskip(NEXT) | instid1(VALU_DEP_2)
	v_add_f32_e32 v70, v70, v86
	v_exp_f32_e32 v82, v71
	s_waitcnt_depctr 0xfff
	v_cndmask_b32_e64 v72, 0, v82, s12
	v_mul_f32_e32 v79, 0x3fb8aa3b, v79
	s_delay_alu instid0(VALU_DEP_1) | instskip(SKIP_4) | instid1(VALU_DEP_2)
	v_exp_f32_e32 v79, v79
	s_waitcnt_depctr 0xfff
	v_cndmask_b32_e64 v71, 0, v79, s10
	v_add_f32_e32 v79, v70, v90
	v_cndmask_b32_e64 v70, 0, v78, s11
	v_add_f32_e32 v78, v79, v71
	v_fma_f32 v79, s19, v107, -v69
	s_delay_alu instid0(VALU_DEP_2) | instskip(SKIP_1) | instid1(VALU_DEP_2)
	v_add_f32_e32 v82, v78, v70
	v_cndmask_b32_e64 v78, 0, v80, s13
	v_dual_mul_f32 v79, 0x3fb8aa3b, v79 :: v_dual_add_f32 v80, v82, v72
	v_fma_f32 v82, s19, v108, -v69
	v_mul_f32_e32 v83, 0x3fb8aa3b, v83
	s_delay_alu instid0(VALU_DEP_3)
	v_exp_f32_e32 v92, v79
	v_cndmask_b32_e64 v79, 0, v84, s15
	v_add_f32_e32 v84, v80, v78
	v_mul_f32_e32 v82, 0x3fb8aa3b, v82
	v_exp_f32_e32 v83, v83
	s_waitcnt_depctr 0xfff
	v_cndmask_b32_e64 v80, 0, v83, s16
	v_add_f32_e32 v83, v84, v79
	v_exp_f32_e32 v84, v82
	v_cndmask_b32_e64 v82, 0, v92, s17
	s_delay_alu instid0(VALU_DEP_2) | instskip(NEXT) | instid1(VALU_DEP_1)
	v_add_f32_e32 v83, v83, v80
	v_add_f32_e32 v92, v83, v82
	s_waitcnt_depctr 0xfff
	v_cndmask_b32_e64 v83, 0, v84, s18
	s_delay_alu instid0(VALU_DEP_1)
	v_add_f32_e32 v84, v92, v83
	ds_bpermute_b32 v91, v91, v84
	v_cmpx_gt_u32_e32 16, v67
	s_cbranch_execz .LBB1643_12
; %bb.11:
	v_mul_u32_u24_e32 v67, 0x44, v68
	s_waitcnt lgkmcnt(0)
	v_add_f32_e32 v84, v84, v91
	s_delay_alu instid0(VALU_DEP_2) | instskip(NEXT) | instid1(VALU_DEP_1)
	v_lshl_add_u32 v67, v66, 2, v67
	v_add_nc_u32_e32 v67, 0x4000, v67
	ds_store_2addr_b32 v67, v69, v84 offset1:136
.LBB1643_12:
	s_or_b32 exec_lo, exec_lo, s3
	v_lshlrev_b32_e32 v67, 2, v66
	s_waitcnt lgkmcnt(0)
	s_barrier
	buffer_gl0_inv
	v_cmp_eq_u32_e32 vcc_lo, 1, v68
	v_add_nc_u32_e32 v84, 0x4000, v67
	v_cmp_eq_u32_e64 s3, 2, v68
	v_cmp_eq_u32_e64 s5, 7, v68
	ds_load_2addr_b32 v[91:92], v84 offset1:17
	ds_load_2addr_b32 v[93:94], v84 offset0:34 offset1:51
	ds_load_2addr_b32 v[95:96], v84 offset0:68 offset1:85
	;; [unrolled: 1-line block ×4, first 2 shown]
	s_waitcnt lgkmcnt(4)
	v_max3_f32 v67, v91, 0xff7fffff, v92
	s_waitcnt lgkmcnt(3)
	s_delay_alu instid0(VALU_DEP_1) | instskip(SKIP_1) | instid1(VALU_DEP_1)
	v_max3_f32 v67, v67, v93, v94
	s_waitcnt lgkmcnt(2)
	v_max3_f32 v67, v67, v95, v96
	s_waitcnt lgkmcnt(1)
	s_delay_alu instid0(VALU_DEP_1) | instskip(NEXT) | instid1(VALU_DEP_1)
	v_max3_f32 v67, v67, v97, v98
	v_sub_f32_e32 v69, v91, v67
	v_sub_f32_e32 v101, v92, v67
	;; [unrolled: 1-line block ×4, first 2 shown]
	s_delay_alu instid0(VALU_DEP_4) | instskip(NEXT) | instid1(VALU_DEP_4)
	v_mul_f32_e32 v69, 0x3fb8aa3b, v69
	v_mul_f32_e32 v101, 0x3fb8aa3b, v101
	s_delay_alu instid0(VALU_DEP_4) | instskip(NEXT) | instid1(VALU_DEP_4)
	v_mul_f32_e32 v103, 0x3fb8aa3b, v93
	v_mul_f32_e32 v105, 0x3fb8aa3b, v95
	s_delay_alu instid0(VALU_DEP_4) | instskip(SKIP_3) | instid1(VALU_DEP_1)
	v_exp_f32_e32 v102, v69
	v_sub_f32_e32 v69, v94, v67
	v_exp_f32_e32 v101, v101
	v_exp_f32_e32 v103, v103
	v_mul_f32_e32 v104, 0x3fb8aa3b, v69
	s_waitcnt lgkmcnt(0)
	s_delay_alu instid0(TRANS32_DEP_3) | instskip(SKIP_1) | instid1(VALU_DEP_3)
	v_fma_f32 v69, v102, v99, 0
	v_sub_f32_e32 v99, v96, v67
	v_exp_f32_e32 v104, v104
	s_delay_alu instid0(TRANS32_DEP_3) | instid1(VALU_DEP_2)
	v_fmac_f32_e32 v69, v101, v100
	ds_load_2addr_b32 v[91:92], v84 offset0:170 offset1:187
	ds_load_2addr_b32 v[93:94], v84 offset0:204 offset1:221
	;; [unrolled: 1-line block ×3, first 2 shown]
	v_sub_f32_e32 v84, v97, v67
	v_mul_f32_e32 v97, 0x3fb8aa3b, v99
	v_exp_f32_e32 v99, v105
	s_waitcnt lgkmcnt(0)
	s_barrier
	v_mul_f32_e32 v84, 0x3fb8aa3b, v84
	v_exp_f32_e32 v97, v97
	buffer_gl0_inv
	v_exp_f32_e32 v84, v84
	v_fmac_f32_e32 v69, v103, v91
	v_sub_f32_e32 v91, v98, v67
	s_delay_alu instid0(VALU_DEP_2) | instskip(NEXT) | instid1(VALU_DEP_2)
	v_fmac_f32_e32 v69, v104, v92
	v_mul_f32_e32 v91, 0x3fb8aa3b, v91
	s_delay_alu instid0(VALU_DEP_2) | instskip(NEXT) | instid1(VALU_DEP_2)
	v_fmac_f32_e32 v69, v99, v93
	v_exp_f32_e32 v91, v91
	s_delay_alu instid0(VALU_DEP_1)
	v_fmac_f32_e32 v69, v97, v94
	s_delay_alu instid0(TRANS32_DEP_2) | instid1(VALU_DEP_1)
	v_fmac_f32_e32 v69, v84, v95
	s_waitcnt_depctr 0xfff
	v_fmac_f32_e32 v69, v91, v96
	s_delay_alu instid0(VALU_DEP_1) | instskip(NEXT) | instid1(VALU_DEP_1)
	v_add_f32_e32 v92, 0x358637bd, v69
	v_div_scale_f32 v93, null, v92, v92, 1.0
	v_div_scale_f32 v96, s4, 1.0, v92, 1.0
	s_delay_alu instid0(VALU_DEP_2) | instskip(SKIP_2) | instid1(VALU_DEP_1)
	v_rcp_f32_e32 v94, v93
	s_waitcnt_depctr 0xfff
	v_fma_f32 v95, -v93, v94, 1.0
	v_dual_fmac_f32 v94, v95, v94 :: v_dual_cndmask_b32 v95, v102, v101
	v_cmp_eq_u32_e32 vcc_lo, 3, v68
	s_delay_alu instid0(VALU_DEP_2) | instskip(NEXT) | instid1(VALU_DEP_3)
	v_mul_f32_e32 v98, v96, v94
	v_cndmask_b32_e64 v95, v95, v103, s3
	v_cmp_eq_u32_e64 s3, 4, v68
	s_delay_alu instid0(VALU_DEP_3) | instskip(NEXT) | instid1(VALU_DEP_3)
	v_fma_f32 v100, -v93, v98, v96
	v_cndmask_b32_e32 v95, v95, v104, vcc_lo
	v_cmp_eq_u32_e32 vcc_lo, 5, v68
	s_delay_alu instid0(VALU_DEP_3) | instskip(NEXT) | instid1(VALU_DEP_3)
	v_fmac_f32_e32 v98, v100, v94
	v_cndmask_b32_e64 v95, v95, v99, s3
	v_cmp_eq_u32_e64 s3, 6, v68
	s_delay_alu instid0(VALU_DEP_3) | instskip(NEXT) | instid1(VALU_DEP_3)
	v_fma_f32 v93, -v93, v98, v96
	v_cndmask_b32_e32 v95, v95, v97, vcc_lo
	s_mov_b32 vcc_lo, s4
	s_delay_alu instid0(VALU_DEP_2) | instskip(NEXT) | instid1(VALU_DEP_2)
	v_div_fmas_f32 v93, v93, v94, v98
	v_cndmask_b32_e64 v84, v95, v84, s3
	s_mov_b32 s3, exec_lo
	s_delay_alu instid0(VALU_DEP_2) | instskip(NEXT) | instid1(VALU_DEP_2)
	v_div_fixup_f32 v92, v93, v92, 1.0
	v_cndmask_b32_e64 v84, v84, v91, s5
	s_delay_alu instid0(VALU_DEP_1) | instskip(NEXT) | instid1(VALU_DEP_1)
	v_mul_f32_e32 v84, v84, v92
	v_mul_f32_e32 v92, v84, v81
	;; [unrolled: 1-line block ×6, first 2 shown]
	v_dual_mul_f32 v88, v84, v85 :: v_dual_and_b32 v93, 0x7f800000, v92
	v_mul_f32_e32 v91, v84, v87
	v_mul_f32_e32 v87, v84, v77
                                        ; implicit-def: $vgpr77
	s_delay_alu instid0(VALU_DEP_3)
	v_cmpx_ne_u32_e32 0x7f800000, v93
	s_xor_b32 s3, exec_lo, s3
; %bb.13:
	v_bfe_u32 v77, v92, 16, 1
	s_delay_alu instid0(VALU_DEP_1)
	v_add3_u32 v77, v92, v77, 0x7fff
                                        ; implicit-def: $vgpr92
; %bb.14:
	s_and_not1_saveexec_b32 s3, s3
; %bb.15:
	v_and_b32_e32 v77, 0xffff, v92
	v_or_b32_e32 v85, 0x10000, v92
	s_delay_alu instid0(VALU_DEP_2) | instskip(NEXT) | instid1(VALU_DEP_2)
	v_cmp_eq_u32_e32 vcc_lo, 0, v77
	v_cndmask_b32_e32 v77, v85, v92, vcc_lo
; %bb.16:
	s_or_b32 exec_lo, exec_lo, s3
	v_and_b32_e32 v85, 0x7f800000, v87
	s_delay_alu instid0(VALU_DEP_1) | instskip(SKIP_1) | instid1(SALU_CYCLE_1)
	v_cmp_ne_u32_e32 vcc_lo, 0x7f800000, v85
                                        ; implicit-def: $vgpr85
	s_and_saveexec_b32 s3, vcc_lo
	s_xor_b32 s3, exec_lo, s3
; %bb.17:
	v_bfe_u32 v85, v87, 16, 1
	s_delay_alu instid0(VALU_DEP_1)
	v_add3_u32 v85, v87, v85, 0x7fff
                                        ; implicit-def: $vgpr87
; %bb.18:
	s_and_not1_saveexec_b32 s3, s3
; %bb.19:
	v_and_b32_e32 v85, 0xffff, v87
	v_or_b32_e32 v92, 0x10000, v87
	s_delay_alu instid0(VALU_DEP_2) | instskip(NEXT) | instid1(VALU_DEP_2)
	v_cmp_eq_u32_e32 vcc_lo, 0, v85
	v_cndmask_b32_e32 v85, v92, v87, vcc_lo
; %bb.20:
	s_or_b32 exec_lo, exec_lo, s3
	v_and_b32_e32 v87, 0x7f800000, v88
	s_delay_alu instid0(VALU_DEP_1) | instskip(SKIP_1) | instid1(SALU_CYCLE_1)
	v_cmp_ne_u32_e32 vcc_lo, 0x7f800000, v87
                                        ; implicit-def: $vgpr87
	s_and_saveexec_b32 s3, vcc_lo
	s_xor_b32 s3, exec_lo, s3
; %bb.21:
	v_bfe_u32 v87, v88, 16, 1
	s_delay_alu instid0(VALU_DEP_1)
	v_add3_u32 v87, v88, v87, 0x7fff
                                        ; implicit-def: $vgpr88
; %bb.22:
	s_and_not1_saveexec_b32 s3, s3
; %bb.23:
	v_and_b32_e32 v87, 0xffff, v88
	v_or_b32_e32 v92, 0x10000, v88
	s_delay_alu instid0(VALU_DEP_2) | instskip(NEXT) | instid1(VALU_DEP_2)
	v_cmp_eq_u32_e32 vcc_lo, 0, v87
	v_cndmask_b32_e32 v87, v92, v88, vcc_lo
; %bb.24:
	s_or_b32 exec_lo, exec_lo, s3
	v_and_b32_e32 v88, 0x7f800000, v91
	s_delay_alu instid0(VALU_DEP_1) | instskip(SKIP_1) | instid1(SALU_CYCLE_1)
	v_cmp_ne_u32_e32 vcc_lo, 0x7f800000, v88
                                        ; implicit-def: $vgpr88
	s_and_saveexec_b32 s3, vcc_lo
	s_xor_b32 s3, exec_lo, s3
; %bb.25:
	v_bfe_u32 v88, v91, 16, 1
	s_delay_alu instid0(VALU_DEP_1)
	v_add3_u32 v88, v91, v88, 0x7fff
                                        ; implicit-def: $vgpr91
; %bb.26:
	s_and_not1_saveexec_b32 s3, s3
; %bb.27:
	v_and_b32_e32 v88, 0xffff, v91
	v_or_b32_e32 v92, 0x10000, v91
	s_delay_alu instid0(VALU_DEP_2) | instskip(NEXT) | instid1(VALU_DEP_2)
	v_cmp_eq_u32_e32 vcc_lo, 0, v88
	v_cndmask_b32_e32 v88, v92, v91, vcc_lo
; %bb.28:
	s_or_b32 exec_lo, exec_lo, s3
	v_and_b32_e32 v91, 0x7f800000, v90
	s_delay_alu instid0(VALU_DEP_1) | instskip(SKIP_1) | instid1(SALU_CYCLE_1)
	v_cmp_ne_u32_e32 vcc_lo, 0x7f800000, v91
                                        ; implicit-def: $vgpr91
	s_and_saveexec_b32 s3, vcc_lo
	s_xor_b32 s3, exec_lo, s3
; %bb.29:
	v_bfe_u32 v91, v90, 16, 1
	s_delay_alu instid0(VALU_DEP_1)
	v_add3_u32 v91, v90, v91, 0x7fff
                                        ; implicit-def: $vgpr90
; %bb.30:
	s_and_not1_saveexec_b32 s3, s3
; %bb.31:
	v_and_b32_e32 v91, 0xffff, v90
	v_or_b32_e32 v92, 0x10000, v90
	s_delay_alu instid0(VALU_DEP_2) | instskip(NEXT) | instid1(VALU_DEP_2)
	v_cmp_eq_u32_e32 vcc_lo, 0, v91
	v_cndmask_b32_e32 v91, v92, v90, vcc_lo
; %bb.32:
	s_or_b32 exec_lo, exec_lo, s3
	v_and_b32_e32 v90, 0x7f800000, v89
	s_delay_alu instid0(VALU_DEP_1) | instskip(SKIP_1) | instid1(SALU_CYCLE_1)
	v_cmp_ne_u32_e32 vcc_lo, 0x7f800000, v90
                                        ; implicit-def: $vgpr90
	s_and_saveexec_b32 s3, vcc_lo
	s_xor_b32 s3, exec_lo, s3
; %bb.33:
	v_bfe_u32 v90, v89, 16, 1
	s_delay_alu instid0(VALU_DEP_1)
	v_add3_u32 v90, v89, v90, 0x7fff
                                        ; implicit-def: $vgpr89
; %bb.34:
	s_and_not1_saveexec_b32 s3, s3
; %bb.35:
	v_and_b32_e32 v90, 0xffff, v89
	v_or_b32_e32 v92, 0x10000, v89
	s_delay_alu instid0(VALU_DEP_2) | instskip(NEXT) | instid1(VALU_DEP_2)
	v_cmp_eq_u32_e32 vcc_lo, 0, v90
	v_cndmask_b32_e32 v90, v92, v89, vcc_lo
; %bb.36:
	s_or_b32 exec_lo, exec_lo, s3
	v_and_b32_e32 v89, 0x7f800000, v86
	s_delay_alu instid0(VALU_DEP_1) | instskip(SKIP_1) | instid1(SALU_CYCLE_1)
	v_cmp_ne_u32_e32 vcc_lo, 0x7f800000, v89
                                        ; implicit-def: $vgpr89
	s_and_saveexec_b32 s3, vcc_lo
	s_xor_b32 s3, exec_lo, s3
; %bb.37:
	v_bfe_u32 v89, v86, 16, 1
	s_delay_alu instid0(VALU_DEP_1)
	v_add3_u32 v89, v86, v89, 0x7fff
                                        ; implicit-def: $vgpr86
; %bb.38:
	s_and_not1_saveexec_b32 s3, s3
; %bb.39:
	v_and_b32_e32 v89, 0xffff, v86
	v_or_b32_e32 v92, 0x10000, v86
	s_delay_alu instid0(VALU_DEP_2) | instskip(NEXT) | instid1(VALU_DEP_2)
	v_cmp_eq_u32_e32 vcc_lo, 0, v89
	v_cndmask_b32_e32 v89, v92, v86, vcc_lo
; %bb.40:
	s_or_b32 exec_lo, exec_lo, s3
	v_and_b32_e32 v86, 0x7f800000, v81
	s_delay_alu instid0(VALU_DEP_1) | instskip(SKIP_1) | instid1(SALU_CYCLE_1)
	v_cmp_ne_u32_e32 vcc_lo, 0x7f800000, v86
                                        ; implicit-def: $vgpr86
	s_and_saveexec_b32 s3, vcc_lo
	s_xor_b32 s3, exec_lo, s3
; %bb.41:
	v_bfe_u32 v86, v81, 16, 1
	s_delay_alu instid0(VALU_DEP_1)
	v_add3_u32 v86, v81, v86, 0x7fff
                                        ; implicit-def: $vgpr81
; %bb.42:
	s_and_not1_saveexec_b32 s3, s3
; %bb.43:
	v_and_b32_e32 v86, 0xffff, v81
	v_or_b32_e32 v92, 0x10000, v81
	s_delay_alu instid0(VALU_DEP_2) | instskip(NEXT) | instid1(VALU_DEP_2)
	v_cmp_eq_u32_e32 vcc_lo, 0, v86
	v_cndmask_b32_e32 v86, v92, v81, vcc_lo
; %bb.44:
	s_or_b32 exec_lo, exec_lo, s3
	s_load_b64 s[34:35], s[0:1], 0x94
	v_lshlrev_b32_e32 v93, 4, v65
	s_delay_alu instid0(VALU_DEP_2)
	v_perm_b32 v92, v86, v89, 0x7060302
	v_dual_mul_f32 v80, v84, v80 :: v_dual_lshlrev_b32 v81, 6, v66
	v_lshlrev_b32_e32 v66, 11, v68
	v_perm_b32 v89, v85, v77, 0x7060302
	v_mul_f32_e32 v85, v84, v71
	v_perm_b32 v91, v90, v91, 0x7060302
	v_perm_b32 v90, v88, v87, 0x7060302
	v_or3_b32 v77, v93, v66, v81
	v_mul_f32_e32 v66, v84, v83
	v_dual_mul_f32 v71, v84, v82 :: v_dual_and_b32 v86, 0x7f800000, v85
	v_mul_f32_e32 v79, v84, v79
	v_mul_f32_e32 v83, v84, v78
	;; [unrolled: 1-line block ×4, first 2 shown]
	s_mov_b32 s3, exec_lo
	ds_store_b128 v77, v[89:92]
                                        ; implicit-def: $vgpr70
	v_cmpx_ne_u32_e32 0x7f800000, v86
	s_xor_b32 s3, exec_lo, s3
; %bb.45:
	v_bfe_u32 v70, v85, 16, 1
	s_delay_alu instid0(VALU_DEP_1)
	v_add3_u32 v70, v85, v70, 0x7fff
                                        ; implicit-def: $vgpr85
; %bb.46:
	s_and_not1_saveexec_b32 s3, s3
; %bb.47:
	v_and_b32_e32 v70, 0xffff, v85
	v_or_b32_e32 v72, 0x10000, v85
	s_delay_alu instid0(VALU_DEP_2) | instskip(NEXT) | instid1(VALU_DEP_2)
	v_cmp_eq_u32_e32 vcc_lo, 0, v70
	v_cndmask_b32_e32 v70, v72, v85, vcc_lo
; %bb.48:
	s_or_b32 exec_lo, exec_lo, s3
	v_and_b32_e32 v72, 0x7f800000, v78
	s_delay_alu instid0(VALU_DEP_1) | instskip(SKIP_1) | instid1(SALU_CYCLE_1)
	v_cmp_ne_u32_e32 vcc_lo, 0x7f800000, v72
                                        ; implicit-def: $vgpr72
	s_and_saveexec_b32 s3, vcc_lo
	s_xor_b32 s3, exec_lo, s3
; %bb.49:
	v_bfe_u32 v72, v78, 16, 1
	s_delay_alu instid0(VALU_DEP_1)
	v_add3_u32 v72, v78, v72, 0x7fff
                                        ; implicit-def: $vgpr78
; %bb.50:
	s_and_not1_saveexec_b32 s3, s3
; %bb.51:
	v_and_b32_e32 v72, 0xffff, v78
	v_or_b32_e32 v84, 0x10000, v78
	s_delay_alu instid0(VALU_DEP_2) | instskip(NEXT) | instid1(VALU_DEP_2)
	v_cmp_eq_u32_e32 vcc_lo, 0, v72
	v_cndmask_b32_e32 v72, v84, v78, vcc_lo
; %bb.52:
	s_or_b32 exec_lo, exec_lo, s3
	v_and_b32_e32 v78, 0x7f800000, v82
	s_delay_alu instid0(VALU_DEP_1) | instskip(SKIP_1) | instid1(SALU_CYCLE_1)
	v_cmp_ne_u32_e32 vcc_lo, 0x7f800000, v78
                                        ; implicit-def: $vgpr78
	s_and_saveexec_b32 s3, vcc_lo
	s_xor_b32 s3, exec_lo, s3
; %bb.53:
	v_bfe_u32 v78, v82, 16, 1
	s_delay_alu instid0(VALU_DEP_1)
	v_add3_u32 v78, v82, v78, 0x7fff
                                        ; implicit-def: $vgpr82
; %bb.54:
	s_and_not1_saveexec_b32 s3, s3
; %bb.55:
	v_and_b32_e32 v78, 0xffff, v82
	v_or_b32_e32 v84, 0x10000, v82
	s_delay_alu instid0(VALU_DEP_2) | instskip(NEXT) | instid1(VALU_DEP_2)
	v_cmp_eq_u32_e32 vcc_lo, 0, v78
	v_cndmask_b32_e32 v78, v84, v82, vcc_lo
; %bb.56:
	s_or_b32 exec_lo, exec_lo, s3
	v_and_b32_e32 v82, 0x7f800000, v83
	s_delay_alu instid0(VALU_DEP_1) | instskip(SKIP_1) | instid1(SALU_CYCLE_1)
	v_cmp_ne_u32_e32 vcc_lo, 0x7f800000, v82
                                        ; implicit-def: $vgpr82
	s_and_saveexec_b32 s3, vcc_lo
	s_xor_b32 s3, exec_lo, s3
; %bb.57:
	v_bfe_u32 v82, v83, 16, 1
	s_delay_alu instid0(VALU_DEP_1)
	v_add3_u32 v82, v83, v82, 0x7fff
                                        ; implicit-def: $vgpr83
; %bb.58:
	s_and_not1_saveexec_b32 s3, s3
; %bb.59:
	v_and_b32_e32 v82, 0xffff, v83
	v_or_b32_e32 v84, 0x10000, v83
	s_delay_alu instid0(VALU_DEP_2) | instskip(NEXT) | instid1(VALU_DEP_2)
	v_cmp_eq_u32_e32 vcc_lo, 0, v82
	v_cndmask_b32_e32 v82, v84, v83, vcc_lo
; %bb.60:
	s_or_b32 exec_lo, exec_lo, s3
	v_and_b32_e32 v83, 0x7f800000, v79
	s_delay_alu instid0(VALU_DEP_1) | instskip(SKIP_1) | instid1(SALU_CYCLE_1)
	v_cmp_ne_u32_e32 vcc_lo, 0x7f800000, v83
                                        ; implicit-def: $vgpr83
	s_and_saveexec_b32 s3, vcc_lo
	s_xor_b32 s3, exec_lo, s3
; %bb.61:
	v_bfe_u32 v83, v79, 16, 1
	s_delay_alu instid0(VALU_DEP_1)
	v_add3_u32 v83, v79, v83, 0x7fff
                                        ; implicit-def: $vgpr79
; %bb.62:
	s_and_not1_saveexec_b32 s3, s3
; %bb.63:
	v_and_b32_e32 v83, 0xffff, v79
	v_or_b32_e32 v84, 0x10000, v79
	s_delay_alu instid0(VALU_DEP_2) | instskip(NEXT) | instid1(VALU_DEP_2)
	v_cmp_eq_u32_e32 vcc_lo, 0, v83
	v_cndmask_b32_e32 v83, v84, v79, vcc_lo
; %bb.64:
	s_or_b32 exec_lo, exec_lo, s3
	v_and_b32_e32 v79, 0x7f800000, v80
	s_delay_alu instid0(VALU_DEP_1) | instskip(SKIP_1) | instid1(SALU_CYCLE_1)
	v_cmp_ne_u32_e32 vcc_lo, 0x7f800000, v79
                                        ; implicit-def: $vgpr79
	s_and_saveexec_b32 s3, vcc_lo
	s_xor_b32 s3, exec_lo, s3
; %bb.65:
	v_bfe_u32 v79, v80, 16, 1
	s_delay_alu instid0(VALU_DEP_1)
	v_add3_u32 v79, v80, v79, 0x7fff
                                        ; implicit-def: $vgpr80
; %bb.66:
	s_and_not1_saveexec_b32 s3, s3
; %bb.67:
	v_and_b32_e32 v79, 0xffff, v80
	v_or_b32_e32 v84, 0x10000, v80
	s_delay_alu instid0(VALU_DEP_2) | instskip(NEXT) | instid1(VALU_DEP_2)
	v_cmp_eq_u32_e32 vcc_lo, 0, v79
	v_cndmask_b32_e32 v79, v84, v80, vcc_lo
; %bb.68:
	s_or_b32 exec_lo, exec_lo, s3
	v_and_b32_e32 v80, 0x7f800000, v71
	s_delay_alu instid0(VALU_DEP_1) | instskip(SKIP_1) | instid1(SALU_CYCLE_1)
	v_cmp_ne_u32_e32 vcc_lo, 0x7f800000, v80
                                        ; implicit-def: $vgpr80
	s_and_saveexec_b32 s3, vcc_lo
	s_xor_b32 s3, exec_lo, s3
; %bb.69:
	v_bfe_u32 v80, v71, 16, 1
	s_delay_alu instid0(VALU_DEP_1)
	v_add3_u32 v80, v71, v80, 0x7fff
                                        ; implicit-def: $vgpr71
; %bb.70:
	s_and_not1_saveexec_b32 s3, s3
; %bb.71:
	v_and_b32_e32 v80, 0xffff, v71
	v_or_b32_e32 v84, 0x10000, v71
	s_delay_alu instid0(VALU_DEP_2) | instskip(NEXT) | instid1(VALU_DEP_2)
	v_cmp_eq_u32_e32 vcc_lo, 0, v80
	v_cndmask_b32_e32 v80, v84, v71, vcc_lo
; %bb.72:
	s_or_b32 exec_lo, exec_lo, s3
	v_and_b32_e32 v71, 0x7f800000, v66
	s_delay_alu instid0(VALU_DEP_1) | instskip(SKIP_1) | instid1(SALU_CYCLE_1)
	v_cmp_ne_u32_e32 vcc_lo, 0x7f800000, v71
                                        ; implicit-def: $vgpr71
	s_and_saveexec_b32 s3, vcc_lo
	s_xor_b32 s3, exec_lo, s3
; %bb.73:
	v_bfe_u32 v71, v66, 16, 1
	s_delay_alu instid0(VALU_DEP_1)
	v_add3_u32 v71, v66, v71, 0x7fff
                                        ; implicit-def: $vgpr66
; %bb.74:
	s_and_not1_saveexec_b32 s3, s3
; %bb.75:
	v_and_b32_e32 v71, 0xffff, v66
	v_or_b32_e32 v84, 0x10000, v66
	s_delay_alu instid0(VALU_DEP_2) | instskip(NEXT) | instid1(VALU_DEP_2)
	v_cmp_eq_u32_e32 vcc_lo, 0, v71
	v_cndmask_b32_e32 v71, v84, v66, vcc_lo
; %bb.76:
	s_or_b32 exec_lo, exec_lo, s3
	s_delay_alu instid0(VALU_DEP_1)
	v_perm_b32 v87, v71, v80, 0x7060302
	v_perm_b32 v86, v79, v83, 0x7060302
	v_perm_b32 v85, v82, v78, 0x7060302
	v_perm_b32 v84, v72, v70, 0x7060302
	v_lshl_or_b32 v83, v68, 11, v81
	ds_store_b128 v77, v[84:87] offset:1024
	s_waitcnt lgkmcnt(0)
	s_barrier
	buffer_gl0_inv
	ds_load_b128 v[84:87], v83
	ds_load_b128 v[88:91], v83 offset:16
	s_waitcnt lgkmcnt(1)
	v_lshrrev_b32_e32 v70, 16, v87
	s_waitcnt lgkmcnt(0)
	v_lshrrev_b32_e32 v71, 16, v88
	v_lshlrev_b32_e32 v79, 2, v65
	v_lshrrev_b32_e32 v65, 16, v84
	v_lshrrev_b32_e32 v66, 16, v85
	;; [unrolled: 1-line block ×4, first 2 shown]
	v_cmp_eq_u32_e32 vcc_lo, 1, v79
	v_lshrrev_b32_e32 v100, 16, v90
	v_lshrrev_b32_e32 v101, 16, v91
	v_cndmask_b32_e32 v92, v88, v71, vcc_lo
	v_or_b32_e32 v80, 1, v79
	v_cndmask_b32_e32 v82, v84, v65, vcc_lo
	v_cmp_eq_u32_e64 s4, 2, v79
	v_cmp_eq_u32_e64 s7, 3, v79
	v_cmp_eq_u32_e64 s9, 4, v79
	v_cmp_eq_u32_e64 s3, 1, v80
	v_cmp_eq_u32_e64 s6, 2, v80
	v_cndmask_b32_e64 v82, v82, v85, s4
	v_cndmask_b32_e64 v92, v92, v89, s4
	v_cmp_eq_u32_e64 s8, 3, v80
	v_cndmask_b32_e64 v93, v84, v65, s3
	v_or_b32_e32 v78, 2, v79
	v_cndmask_b32_e64 v82, v82, v66, s7
	v_cndmask_b32_e64 v92, v92, v72, s7
	;; [unrolled: 1-line block ×4, first 2 shown]
	v_cmp_eq_u32_e64 s10, 5, v79
	v_cndmask_b32_e64 v82, v82, v86, s9
	v_cndmask_b32_e64 v92, v92, v90, s9
	v_cmp_eq_u32_e64 s11, 4, v80
	v_cndmask_b32_e64 v93, v93, v66, s8
	v_cmp_eq_u32_e64 s5, 1, v78
	v_cndmask_b32_e64 v94, v94, v89, s6
	v_cndmask_b32_e64 v82, v82, v68, s10
	v_cmp_eq_u32_e64 s12, 6, v79
	v_cndmask_b32_e64 v93, v93, v86, s11
	;; [unrolled: 3-line block ×3, first 2 shown]
	v_cndmask_b32_e64 v94, v94, v72, s8
	v_cndmask_b32_e64 v82, v82, v87, s12
	v_cmp_eq_u32_e64 s15, 7, v79
	v_cndmask_b32_e64 v93, v93, v68, s13
	v_cndmask_b32_e64 v92, v92, v91, s12
	v_cmp_eq_u32_e64 s16, 6, v80
	v_cmp_eq_u32_e64 s17, 2, v78
	v_cndmask_b32_e64 v94, v94, v90, s11
	v_cndmask_b32_e64 v102, v82, v70, s15
	;; [unrolled: 1-line block ×6, first 2 shown]
	v_cmp_eq_u32_e64 s18, 7, v80
	v_cmp_eq_u32_e64 s19, 3, v78
	;; [unrolled: 1-line block ×4, first 2 shown]
	v_cndmask_b32_e64 v92, v92, v89, s17
	v_cndmask_b32_e64 v104, v93, v70, s18
	;; [unrolled: 1-line block ×4, first 2 shown]
	v_or_b32_e32 v82, 3, v79
	v_cndmask_b32_e64 v97, v92, v72, s19
	v_cmp_eq_u32_e64 s24, 6, v78
	v_cndmask_b32_e64 v105, v93, v91, s16
	v_cndmask_b32_e64 v96, v94, v86, s20
	v_cmp_eq_u32_e64 s21, 1, v82
	ds_load_b128 v[92:95], v83 offset:1024
	v_cmp_eq_u32_e64 s23, 2, v82
	v_cmp_eq_u32_e64 s25, 3, v82
	v_cndmask_b32_e64 v106, v96, v68, s22
	v_cndmask_b32_e64 v65, v84, v65, s21
	;; [unrolled: 1-line block ×3, first 2 shown]
	ds_load_b128 v[96:99], v83 offset:1040
	v_cndmask_b32_e64 v71, v88, v71, s21
	v_cmp_eq_u32_e64 s26, 4, v82
	v_cndmask_b32_e64 v65, v65, v85, s23
	v_cmp_eq_u32_e64 s28, 5, v82
	v_cmp_eq_u32_e64 s29, 6, v82
	v_cndmask_b32_e64 v71, v71, v89, s23
	v_cndmask_b32_e64 v84, v84, v100, s22
	;; [unrolled: 1-line block ×4, first 2 shown]
	v_cmp_eq_u32_e64 s27, 7, v78
	v_cndmask_b32_e64 v71, v71, v72, s25
	v_cndmask_b32_e64 v84, v84, v91, s24
	;; [unrolled: 1-line block ×3, first 2 shown]
	s_waitcnt lgkmcnt(1)
	v_lshrrev_b32_e32 v72, 16, v92
	v_lshrrev_b32_e32 v88, 16, v93
	v_cndmask_b32_e64 v71, v71, v90, s26
	v_cndmask_b32_e64 v66, v66, v70, s27
	;; [unrolled: 1-line block ×3, first 2 shown]
	v_cndmask_b32_e32 v86, v92, v72, vcc_lo
	v_cndmask_b32_e64 v89, v92, v72, s3
	v_cndmask_b32_e64 v68, v71, v100, s28
	s_waitcnt lgkmcnt(0)
	v_lshrrev_b32_e32 v71, 16, v96
	v_cndmask_b32_e64 v65, v65, v87, s29
	v_cndmask_b32_e64 v86, v86, v93, s4
	;; [unrolled: 1-line block ×4, first 2 shown]
	v_cndmask_b32_e32 v90, v96, v71, vcc_lo
	v_cmp_eq_u32_e32 vcc_lo, 7, v82
	v_cndmask_b32_e64 v86, v86, v88, s7
	v_cndmask_b32_e64 v87, v87, v88, s8
	v_lshrrev_b32_e32 v91, 16, v94
	v_cndmask_b32_e64 v89, v90, v97, s4
	v_lshrrev_b32_e32 v90, 16, v97
	v_cndmask_b32_e64 v86, v86, v94, s9
	v_dual_cndmask_b32 v65, v65, v70 :: v_dual_cndmask_b32 v68, v68, v101
	v_cndmask_b32_e64 v70, v87, v94, s11
	s_delay_alu instid0(VALU_DEP_4) | instskip(NEXT) | instid1(VALU_DEP_4)
	v_cndmask_b32_e64 v89, v89, v90, s7
	v_cndmask_b32_e64 v86, v86, v91, s10
	v_lshrrev_b32_e32 v100, 16, v98
	v_cndmask_b32_e64 v84, v84, v101, s27
	v_perm_b32 v87, v68, v65, 0x5040100
	v_cndmask_b32_e64 v89, v89, v98, s9
	v_cndmask_b32_e64 v65, v70, v91, s13
	;; [unrolled: 1-line block ×3, first 2 shown]
	v_lshrrev_b32_e32 v70, 16, v95
	v_cndmask_b32_e64 v85, v105, v101, s18
	v_cndmask_b32_e64 v89, v89, v100, s10
	v_perm_b32 v86, v84, v66, 0x5040100
	v_cndmask_b32_e64 v101, v96, v71, s5
	v_cndmask_b32_e64 v66, v68, v70, s15
	;; [unrolled: 1-line block ×8, first 2 shown]
	v_lshrrev_b32_e32 v84, 16, v99
	v_cndmask_b32_e64 v89, v89, v93, s17
	v_cndmask_b32_e64 v72, v72, v93, s23
	;; [unrolled: 1-line block ×27, first 2 shown]
	v_cndmask_b32_e32 v70, v72, v70, vcc_lo
	v_cndmask_b32_e32 v72, v88, v84, vcc_lo
	v_cndmask_b32_e64 v88, v90, v84, s27
	v_cndmask_b32_e64 v71, v71, v84, s18
	;; [unrolled: 1-line block ×3, first 2 shown]
	v_perm_b32 v85, v85, v104, 0x5040100
	v_perm_b32 v84, v103, v102, 0x5040100
	;; [unrolled: 1-line block ×6, first 2 shown]
	s_lshl_b32 s8, s35, 1
	s_mov_b32 s3, exec_lo
	ds_store_b128 v77, v[84:87]
	ds_store_b128 v77, v[88:91] offset:1024
	v_cmpx_gt_u32_e32 2, v0
	s_cbranch_execz .LBB1643_78
; %bb.77:
	v_or_b32_e32 v65, s31, v0
	s_load_b128 s[4:7], s[0:1], 0x58
	s_delay_alu instid0(VALU_DEP_1) | instskip(NEXT) | instid1(VALU_DEP_1)
	v_mad_u64_u32 v[70:71], null, s8, s30, v[65:66]
	v_mad_u64_u32 v[65:66], null, v70, s34, s[14:15]
	s_delay_alu instid0(VALU_DEP_1) | instskip(NEXT) | instid1(VALU_DEP_1)
	v_ashrrev_i32_e32 v66, 31, v65
	v_lshlrev_b64 v[65:66], 2, v[65:66]
	s_waitcnt lgkmcnt(0)
	s_delay_alu instid0(VALU_DEP_1) | instskip(NEXT) | instid1(VALU_DEP_2)
	v_add_co_u32 v70, vcc_lo, s6, v65
	v_add_co_ci_u32_e32 v71, vcc_lo, s7, v66, vcc_lo
	v_add_co_u32 v65, vcc_lo, s4, v65
	v_add_co_ci_u32_e32 v66, vcc_lo, s5, v66, vcc_lo
	global_store_b32 v[70:71], v67, off
	global_store_b32 v[65:66], v69, off
.LBB1643_78:
	s_or_b32 exec_lo, exec_lo, s3
	s_waitcnt lgkmcnt(0)
	s_waitcnt_vscnt null, 0x0
	s_barrier
	buffer_gl0_inv
	ds_load_b128 v[84:87], v81
	ds_load_b128 v[88:91], v81 offset:16
	ds_load_b128 v[96:99], v81 offset:2064
	;; [unrolled: 1-line block ×3, first 2 shown]
	v_mov_b32_e32 v65, 0
	ds_load_b128 v[104:107], v81 offset:4112
	ds_load_b128 v[100:103], v81 offset:4096
	;; [unrolled: 1-line block ×4, first 2 shown]
	v_mov_b32_e32 v66, v65
	v_mov_b32_e32 v67, v65
	;; [unrolled: 1-line block ×7, first 2 shown]
	s_waitcnt lgkmcnt(6)
	s_delay_alu instid0(VALU_DEP_1)
	v_wmma_f32_16x16x16_bf16 v[65:72], v[41:48], v[84:91], v[65:72]
	ds_load_b128 v[45:48], v81 offset:8208
	ds_load_b128 v[41:44], v81 offset:8192
	s_waitcnt lgkmcnt(6)
	v_wmma_f32_16x16x16_bf16 v[65:72], v[33:40], v[92:99], v[65:72]
	ds_load_b128 v[37:40], v81 offset:10256
	ds_load_b128 v[33:36], v81 offset:10240
	s_waitcnt lgkmcnt(6)
	;; [unrolled: 4-line block ×4, first 2 shown]
	v_wmma_f32_16x16x16_bf16 v[65:72], v[1:8], v[41:48], v[65:72]
	s_waitcnt lgkmcnt(4)
	s_delay_alu instid0(VALU_DEP_1) | instskip(SKIP_1) | instid1(VALU_DEP_1)
	v_wmma_f32_16x16x16_bf16 v[65:72], v[9:16], v[33:40], v[65:72]
	s_waitcnt lgkmcnt(2)
	v_wmma_f32_16x16x16_bf16 v[65:72], v[57:64], v[25:32], v[65:72]
	s_waitcnt lgkmcnt(0)
	s_delay_alu instid0(VALU_DEP_1) | instskip(NEXT) | instid1(VALU_DEP_1)
	v_wmma_f32_16x16x16_bf16 v[65:72], v[49:56], v[17:24], v[65:72]
	v_and_b32_e32 v1, 0x7f800000, v65
	s_delay_alu instid0(VALU_DEP_1) | instskip(SKIP_1) | instid1(SALU_CYCLE_1)
	v_cmp_ne_u32_e32 vcc_lo, 0x7f800000, v1
                                        ; implicit-def: $vgpr1
	s_and_saveexec_b32 s3, vcc_lo
	s_xor_b32 s3, exec_lo, s3
; %bb.79:
	v_bfe_u32 v1, v65, 16, 1
	s_delay_alu instid0(VALU_DEP_1)
	v_add3_u32 v1, v65, v1, 0x7fff
; %bb.80:
	s_and_not1_saveexec_b32 s3, s3
; %bb.81:
	v_and_b32_e32 v1, 0xffff, v65
	v_or_b32_e32 v2, 0x10000, v65
	s_delay_alu instid0(VALU_DEP_2) | instskip(NEXT) | instid1(VALU_DEP_2)
	v_cmp_eq_u32_e32 vcc_lo, 0, v1
	v_cndmask_b32_e32 v1, v2, v65, vcc_lo
; %bb.82:
	s_or_b32 exec_lo, exec_lo, s3
	v_and_b32_e32 v2, 0x7f800000, v66
	s_delay_alu instid0(VALU_DEP_1) | instskip(SKIP_1) | instid1(SALU_CYCLE_1)
	v_cmp_ne_u32_e32 vcc_lo, 0x7f800000, v2
                                        ; implicit-def: $vgpr2
	s_and_saveexec_b32 s3, vcc_lo
	s_xor_b32 s3, exec_lo, s3
; %bb.83:
	v_bfe_u32 v2, v66, 16, 1
	s_delay_alu instid0(VALU_DEP_1)
	v_add3_u32 v2, v66, v2, 0x7fff
; %bb.84:
	s_and_not1_saveexec_b32 s3, s3
; %bb.85:
	v_and_b32_e32 v2, 0xffff, v66
	v_or_b32_e32 v3, 0x10000, v66
	s_delay_alu instid0(VALU_DEP_2) | instskip(NEXT) | instid1(VALU_DEP_2)
	v_cmp_eq_u32_e32 vcc_lo, 0, v2
	v_cndmask_b32_e32 v2, v3, v66, vcc_lo
; %bb.86:
	s_or_b32 exec_lo, exec_lo, s3
	v_and_b32_e32 v3, 0x7f800000, v67
	s_delay_alu instid0(VALU_DEP_1) | instskip(SKIP_1) | instid1(SALU_CYCLE_1)
	v_cmp_ne_u32_e32 vcc_lo, 0x7f800000, v3
                                        ; implicit-def: $vgpr3
	s_and_saveexec_b32 s3, vcc_lo
	s_xor_b32 s3, exec_lo, s3
; %bb.87:
	v_bfe_u32 v3, v67, 16, 1
	s_delay_alu instid0(VALU_DEP_1)
	v_add3_u32 v3, v67, v3, 0x7fff
; %bb.88:
	s_and_not1_saveexec_b32 s3, s3
; %bb.89:
	v_and_b32_e32 v3, 0xffff, v67
	v_or_b32_e32 v4, 0x10000, v67
	s_delay_alu instid0(VALU_DEP_2) | instskip(NEXT) | instid1(VALU_DEP_2)
	v_cmp_eq_u32_e32 vcc_lo, 0, v3
	v_cndmask_b32_e32 v3, v4, v67, vcc_lo
; %bb.90:
	s_or_b32 exec_lo, exec_lo, s3
	v_and_b32_e32 v4, 0x7f800000, v68
	s_delay_alu instid0(VALU_DEP_1) | instskip(SKIP_1) | instid1(SALU_CYCLE_1)
	v_cmp_ne_u32_e32 vcc_lo, 0x7f800000, v4
                                        ; implicit-def: $vgpr4
	s_and_saveexec_b32 s3, vcc_lo
	s_xor_b32 s3, exec_lo, s3
; %bb.91:
	v_bfe_u32 v4, v68, 16, 1
	s_delay_alu instid0(VALU_DEP_1)
	v_add3_u32 v4, v68, v4, 0x7fff
; %bb.92:
	s_and_not1_saveexec_b32 s3, s3
; %bb.93:
	v_and_b32_e32 v4, 0xffff, v68
	v_or_b32_e32 v5, 0x10000, v68
	s_delay_alu instid0(VALU_DEP_2) | instskip(NEXT) | instid1(VALU_DEP_2)
	v_cmp_eq_u32_e32 vcc_lo, 0, v4
	v_cndmask_b32_e32 v4, v5, v68, vcc_lo
; %bb.94:
	s_or_b32 exec_lo, exec_lo, s3
	v_and_b32_e32 v5, 0x7f800000, v69
	s_delay_alu instid0(VALU_DEP_1) | instskip(SKIP_1) | instid1(SALU_CYCLE_1)
	v_cmp_ne_u32_e32 vcc_lo, 0x7f800000, v5
                                        ; implicit-def: $vgpr5
	s_and_saveexec_b32 s3, vcc_lo
	s_xor_b32 s3, exec_lo, s3
; %bb.95:
	v_bfe_u32 v5, v69, 16, 1
	s_delay_alu instid0(VALU_DEP_1)
	v_add3_u32 v5, v69, v5, 0x7fff
; %bb.96:
	s_and_not1_saveexec_b32 s3, s3
; %bb.97:
	v_and_b32_e32 v5, 0xffff, v69
	v_or_b32_e32 v6, 0x10000, v69
	s_delay_alu instid0(VALU_DEP_2) | instskip(NEXT) | instid1(VALU_DEP_2)
	v_cmp_eq_u32_e32 vcc_lo, 0, v5
	v_cndmask_b32_e32 v5, v6, v69, vcc_lo
; %bb.98:
	s_or_b32 exec_lo, exec_lo, s3
	v_and_b32_e32 v6, 0x7f800000, v70
	s_delay_alu instid0(VALU_DEP_1) | instskip(SKIP_1) | instid1(SALU_CYCLE_1)
	v_cmp_ne_u32_e32 vcc_lo, 0x7f800000, v6
                                        ; implicit-def: $vgpr6
	s_and_saveexec_b32 s3, vcc_lo
	s_xor_b32 s3, exec_lo, s3
; %bb.99:
	v_bfe_u32 v6, v70, 16, 1
	s_delay_alu instid0(VALU_DEP_1)
	v_add3_u32 v6, v70, v6, 0x7fff
; %bb.100:
	s_and_not1_saveexec_b32 s3, s3
; %bb.101:
	v_and_b32_e32 v6, 0xffff, v70
	v_or_b32_e32 v7, 0x10000, v70
	s_delay_alu instid0(VALU_DEP_2) | instskip(NEXT) | instid1(VALU_DEP_2)
	v_cmp_eq_u32_e32 vcc_lo, 0, v6
	v_cndmask_b32_e32 v6, v7, v70, vcc_lo
; %bb.102:
	s_or_b32 exec_lo, exec_lo, s3
	v_and_b32_e32 v7, 0x7f800000, v71
	s_delay_alu instid0(VALU_DEP_1) | instskip(SKIP_1) | instid1(SALU_CYCLE_1)
	v_cmp_ne_u32_e32 vcc_lo, 0x7f800000, v7
                                        ; implicit-def: $vgpr7
	s_and_saveexec_b32 s3, vcc_lo
	s_xor_b32 s3, exec_lo, s3
; %bb.103:
	v_bfe_u32 v7, v71, 16, 1
	s_delay_alu instid0(VALU_DEP_1)
	v_add3_u32 v7, v71, v7, 0x7fff
; %bb.104:
	s_and_not1_saveexec_b32 s3, s3
; %bb.105:
	v_and_b32_e32 v7, 0xffff, v71
	v_or_b32_e32 v8, 0x10000, v71
	s_delay_alu instid0(VALU_DEP_2) | instskip(NEXT) | instid1(VALU_DEP_2)
	v_cmp_eq_u32_e32 vcc_lo, 0, v7
	v_cndmask_b32_e32 v7, v8, v71, vcc_lo
; %bb.106:
	s_or_b32 exec_lo, exec_lo, s3
	v_and_b32_e32 v8, 0x7f800000, v72
	s_delay_alu instid0(VALU_DEP_1) | instskip(SKIP_1) | instid1(SALU_CYCLE_1)
	v_cmp_ne_u32_e32 vcc_lo, 0x7f800000, v8
                                        ; implicit-def: $vgpr8
	s_and_saveexec_b32 s3, vcc_lo
	s_xor_b32 s3, exec_lo, s3
; %bb.107:
	v_bfe_u32 v8, v72, 16, 1
	s_delay_alu instid0(VALU_DEP_1)
	v_add3_u32 v8, v72, v8, 0x7fff
                                        ; implicit-def: $vgpr65_vgpr66_vgpr67_vgpr68_vgpr69_vgpr70_vgpr71_vgpr72
; %bb.108:
	s_and_not1_saveexec_b32 s3, s3
; %bb.109:
	v_and_b32_e32 v8, 0xffff, v72
	v_or_b32_e32 v9, 0x10000, v72
	s_delay_alu instid0(VALU_DEP_2) | instskip(NEXT) | instid1(VALU_DEP_2)
	v_cmp_eq_u32_e32 vcc_lo, 0, v8
	v_cndmask_b32_e32 v8, v9, v72, vcc_lo
; %bb.110:
	s_or_b32 exec_lo, exec_lo, s3
	s_delay_alu instid0(VALU_DEP_1)
	v_perm_b32 v7, v8, v7, 0x7060302
	v_perm_b32 v6, v6, v5, 0x7060302
	;; [unrolled: 1-line block ×4, first 2 shown]
	s_barrier
	buffer_gl0_inv
	v_cmp_eq_u32_e32 vcc_lo, 1, v79
	ds_store_b128 v77, v[4:7]
	s_waitcnt lgkmcnt(0)
	s_barrier
	buffer_gl0_inv
	ds_load_b128 v[1:4], v83
	ds_load_b128 v[5:8], v83 offset:16
	v_cmp_eq_u32_e64 s3, 1, v80
	v_cmp_eq_u32_e64 s4, 2, v79
	;; [unrolled: 1-line block ×5, first 2 shown]
	s_waitcnt lgkmcnt(1)
	v_lshrrev_b32_e32 v9, 16, v1
	s_waitcnt lgkmcnt(0)
	v_lshrrev_b32_e32 v13, 16, v5
	v_lshrrev_b32_e32 v10, 16, v2
	;; [unrolled: 1-line block ×4, first 2 shown]
	v_cndmask_b32_e64 v19, v1, v9, s3
	v_cndmask_b32_e32 v18, v5, v13, vcc_lo
	v_cndmask_b32_e64 v20, v5, v13, s3
	v_cndmask_b32_e32 v17, v1, v9, vcc_lo
	v_cmp_eq_u32_e32 vcc_lo, 2, v80
	v_lshrrev_b32_e32 v15, 16, v7
	v_cmp_eq_u32_e64 s3, 1, v78
	v_lshrrev_b32_e32 v12, 16, v4
	v_lshrrev_b32_e32 v16, 16, v8
	v_cndmask_b32_e32 v20, v20, v6, vcc_lo
	v_cndmask_b32_e64 v17, v17, v2, s4
	v_cndmask_b32_e32 v19, v19, v2, vcc_lo
	v_cndmask_b32_e64 v18, v18, v6, s4
	v_cmp_eq_u32_e32 vcc_lo, 4, v79
	v_cmp_eq_u32_e64 s4, 3, v80
	v_cndmask_b32_e64 v17, v17, v10, s5
	v_cndmask_b32_e64 v21, v1, v9, s3
	;; [unrolled: 1-line block ×5, first 2 shown]
	v_cndmask_b32_e32 v17, v17, v3, vcc_lo
	v_cndmask_b32_e64 v20, v20, v14, s4
	v_cndmask_b32_e32 v18, v18, v7, vcc_lo
	v_cmp_eq_u32_e32 vcc_lo, 4, v80
	v_cmp_eq_u32_e64 s4, 5, v80
	v_cmp_eq_u32_e64 s3, 2, v82
	v_cndmask_b32_e64 v21, v21, v2, s7
	v_cmp_eq_u32_e64 s5, 5, v79
	v_cndmask_b32_e32 v19, v19, v3, vcc_lo
	v_cndmask_b32_e32 v20, v20, v7, vcc_lo
	v_cmp_eq_u32_e32 vcc_lo, 6, v80
	s_delay_alu instid0(VALU_DEP_4) | instskip(NEXT) | instid1(VALU_DEP_4)
	v_cndmask_b32_e64 v17, v17, v11, s5
	v_cndmask_b32_e64 v19, v19, v11, s4
	s_delay_alu instid0(VALU_DEP_4) | instskip(SKIP_1) | instid1(VALU_DEP_3)
	v_cndmask_b32_e64 v20, v20, v15, s4
	v_cmp_eq_u32_e64 s4, 1, v82
	v_cndmask_b32_e32 v19, v19, v4, vcc_lo
	v_cndmask_b32_e64 v18, v18, v15, s5
	s_delay_alu instid0(VALU_DEP_3)
	v_cndmask_b32_e64 v1, v1, v9, s4
	v_cndmask_b32_e64 v5, v5, v13, s4
	v_cmp_eq_u32_e64 s4, 3, v78
	v_cndmask_b32_e64 v13, v22, v6, s7
	v_cmp_eq_u32_e64 s7, 3, v82
	v_cndmask_b32_e64 v1, v1, v2, s3
	v_cndmask_b32_e64 v2, v5, v6, s3
	;; [unrolled: 1-line block ×3, first 2 shown]
	v_cmp_eq_u32_e64 s3, 4, v78
	v_cndmask_b32_e64 v6, v13, v14, s4
	v_cndmask_b32_e64 v1, v1, v10, s7
	v_cmp_eq_u32_e64 s4, 4, v82
	v_cndmask_b32_e64 v2, v2, v14, s7
	v_cndmask_b32_e64 v5, v9, v3, s3
	;; [unrolled: 3-line block ×3, first 2 shown]
	v_cndmask_b32_e64 v2, v2, v7, s4
	v_cmp_eq_u32_e64 s3, 5, v82
	v_cmp_eq_u32_e64 s5, 6, v79
	v_cndmask_b32_e64 v5, v5, v11, s7
	v_cmp_eq_u32_e64 s4, 6, v78
	v_cndmask_b32_e64 v3, v6, v15, s7
	v_cndmask_b32_e64 v1, v1, v11, s3
	v_cmp_eq_u32_e64 s7, 6, v82
	v_cndmask_b32_e64 v2, v2, v15, s3
	v_cndmask_b32_e64 v17, v17, v4, s5
	v_cndmask_b32_e64 v18, v18, v8, s5
	v_cmp_eq_u32_e64 s5, 7, v79
	v_cndmask_b32_e64 v5, v5, v4, s4
	;; [unrolled: 4-line block ×3, first 2 shown]
	v_cmp_eq_u32_e64 s4, 7, v78
	v_cndmask_b32_e32 v4, v20, v8, vcc_lo
	v_cndmask_b32_e64 v17, v17, v12, s5
	v_cndmask_b32_e64 v19, v19, v12, s6
	v_cndmask_b32_e64 v1, v1, v12, s3
	v_cndmask_b32_e64 v5, v5, v12, s4
	v_cndmask_b32_e64 v2, v2, v16, s3
	v_cndmask_b32_e64 v3, v3, v16, s4
	v_cndmask_b32_e64 v6, v4, v16, s6
	v_cndmask_b32_e64 v7, v18, v16, s5
	s_delay_alu instid0(VALU_DEP_4) | instskip(NEXT) | instid1(VALU_DEP_4)
	v_perm_b32 v4, v2, v1, 0x5040100
	v_perm_b32 v3, v3, v5, 0x5040100
	s_delay_alu instid0(VALU_DEP_4) | instskip(NEXT) | instid1(VALU_DEP_4)
	v_perm_b32 v2, v6, v19, 0x5040100
	v_perm_b32 v1, v7, v17, 0x5040100
	ds_store_b128 v77, v[1:4]
	s_waitcnt lgkmcnt(0)
	s_barrier
	buffer_gl0_inv
	s_and_saveexec_b32 s3, s2
	s_cbranch_execz .LBB1643_2
; %bb.111:
	s_load_b64 s[0:1], s[0:1], 0x68
	v_lshlrev_b32_e32 v0, 10, v0
	s_lshl_b32 s2, s34, 7
	v_lshlrev_b32_e32 v1, 4, v76
	v_mul_lo_u32 v4, s2, v75
	s_mul_i32 s3, s2, s30
	v_and_b32_e32 v0, 0x3800, v0
	s_mul_i32 s2, s3, s8
	s_delay_alu instid0(SALU_CYCLE_1) | instskip(NEXT) | instid1(VALU_DEP_1)
	s_ashr_i32 s3, s2, 31
	v_or3_b32 v0, v0, v74, v1
	s_lshl_b64 s[2:3], s[2:3], 1
	s_delay_alu instid0(VALU_DEP_3)
	v_ashrrev_i32_e32 v5, 31, v4
	ds_load_b128 v[0:3], v0
	v_lshlrev_b64 v[4:5], 1, v[4:5]
	s_waitcnt lgkmcnt(0)
	s_add_u32 s2, s0, s2
	s_addc_u32 s3, s1, s3
	s_lshl_b32 s0, s14, 7
	s_delay_alu instid0(SALU_CYCLE_1) | instskip(NEXT) | instid1(SALU_CYCLE_1)
	s_ashr_i32 s1, s0, 31
	s_lshl_b64 s[0:1], s[0:1], 1
	s_delay_alu instid0(SALU_CYCLE_1) | instskip(SKIP_3) | instid1(VALU_DEP_2)
	s_add_u32 s0, s2, s0
	s_addc_u32 s1, s3, s1
	v_add_co_u32 v4, vcc_lo, s0, v4
	v_add_co_ci_u32_e32 v5, vcc_lo, s1, v5, vcc_lo
	v_add_co_u32 v4, vcc_lo, v4, v73
	s_delay_alu instid0(VALU_DEP_2)
	v_add_co_ci_u32_e32 v5, vcc_lo, 0, v5, vcc_lo
	global_store_b128 v[4:5], v[0:3], off
	s_nop 0
	s_sendmsg sendmsg(MSG_DEALLOC_VGPRS)
	s_endpgm
	.section	.rodata,"a",@progbits
	.p2align	6, 0x0
	.amdhsa_kernel _Z39paged_attention_ll4mi_QKV_mfma16_kernelI14__hip_bfloat16hLN4vllm18Fp8KVCacheDataTypeE1ES0_Li32ELi128ELi256ELb1ELi2EL8MFMAType1EEvPKT_PKT0_S9_ifPKiSB_SB_iPKfiiiPfSE_PS4_PT2_iSD_SD_
		.amdhsa_group_segment_fixed_size 17472
		.amdhsa_private_segment_fixed_size 0
		.amdhsa_kernarg_size 400
		.amdhsa_user_sgpr_count 13
		.amdhsa_user_sgpr_dispatch_ptr 0
		.amdhsa_user_sgpr_queue_ptr 0
		.amdhsa_user_sgpr_kernarg_segment_ptr 1
		.amdhsa_user_sgpr_dispatch_id 0
		.amdhsa_user_sgpr_private_segment_size 0
		.amdhsa_wavefront_size32 1
		.amdhsa_uses_dynamic_stack 0
		.amdhsa_enable_private_segment 0
		.amdhsa_system_sgpr_workgroup_id_x 1
		.amdhsa_system_sgpr_workgroup_id_y 1
		.amdhsa_system_sgpr_workgroup_id_z 1
		.amdhsa_system_sgpr_workgroup_info 0
		.amdhsa_system_vgpr_workitem_id 0
		.amdhsa_next_free_vgpr 138
		.amdhsa_next_free_sgpr 37
		.amdhsa_reserve_vcc 1
		.amdhsa_float_round_mode_32 0
		.amdhsa_float_round_mode_16_64 0
		.amdhsa_float_denorm_mode_32 3
		.amdhsa_float_denorm_mode_16_64 3
		.amdhsa_dx10_clamp 1
		.amdhsa_ieee_mode 1
		.amdhsa_fp16_overflow 0
		.amdhsa_workgroup_processor_mode 1
		.amdhsa_memory_ordered 1
		.amdhsa_forward_progress 0
		.amdhsa_shared_vgpr_count 0
		.amdhsa_exception_fp_ieee_invalid_op 0
		.amdhsa_exception_fp_denorm_src 0
		.amdhsa_exception_fp_ieee_div_zero 0
		.amdhsa_exception_fp_ieee_overflow 0
		.amdhsa_exception_fp_ieee_underflow 0
		.amdhsa_exception_fp_ieee_inexact 0
		.amdhsa_exception_int_div_zero 0
	.end_amdhsa_kernel
	.section	.text._Z39paged_attention_ll4mi_QKV_mfma16_kernelI14__hip_bfloat16hLN4vllm18Fp8KVCacheDataTypeE1ES0_Li32ELi128ELi256ELb1ELi2EL8MFMAType1EEvPKT_PKT0_S9_ifPKiSB_SB_iPKfiiiPfSE_PS4_PT2_iSD_SD_,"axG",@progbits,_Z39paged_attention_ll4mi_QKV_mfma16_kernelI14__hip_bfloat16hLN4vllm18Fp8KVCacheDataTypeE1ES0_Li32ELi128ELi256ELb1ELi2EL8MFMAType1EEvPKT_PKT0_S9_ifPKiSB_SB_iPKfiiiPfSE_PS4_PT2_iSD_SD_,comdat
.Lfunc_end1643:
	.size	_Z39paged_attention_ll4mi_QKV_mfma16_kernelI14__hip_bfloat16hLN4vllm18Fp8KVCacheDataTypeE1ES0_Li32ELi128ELi256ELb1ELi2EL8MFMAType1EEvPKT_PKT0_S9_ifPKiSB_SB_iPKfiiiPfSE_PS4_PT2_iSD_SD_, .Lfunc_end1643-_Z39paged_attention_ll4mi_QKV_mfma16_kernelI14__hip_bfloat16hLN4vllm18Fp8KVCacheDataTypeE1ES0_Li32ELi128ELi256ELb1ELi2EL8MFMAType1EEvPKT_PKT0_S9_ifPKiSB_SB_iPKfiiiPfSE_PS4_PT2_iSD_SD_
                                        ; -- End function
	.section	.AMDGPU.csdata,"",@progbits
; Kernel info:
; codeLenInByte = 8652
; NumSgprs: 39
; NumVgprs: 138
; ScratchSize: 0
; MemoryBound: 0
; FloatMode: 240
; IeeeMode: 1
; LDSByteSize: 17472 bytes/workgroup (compile time only)
; SGPRBlocks: 4
; VGPRBlocks: 17
; NumSGPRsForWavesPerEU: 39
; NumVGPRsForWavesPerEU: 138
; Occupancy: 10
; WaveLimiterHint : 1
; COMPUTE_PGM_RSRC2:SCRATCH_EN: 0
; COMPUTE_PGM_RSRC2:USER_SGPR: 13
; COMPUTE_PGM_RSRC2:TRAP_HANDLER: 0
; COMPUTE_PGM_RSRC2:TGID_X_EN: 1
; COMPUTE_PGM_RSRC2:TGID_Y_EN: 1
; COMPUTE_PGM_RSRC2:TGID_Z_EN: 1
; COMPUTE_PGM_RSRC2:TIDIG_COMP_CNT: 0
	.section	.text._Z39paged_attention_ll4mi_QKV_mfma16_kernelI14__hip_bfloat16hLN4vllm18Fp8KVCacheDataTypeE1ES0_Li32ELi128ELi256ELb1ELi3EL8MFMAType1EEvPKT_PKT0_S9_ifPKiSB_SB_iPKfiiiPfSE_PS4_PT2_iSD_SD_,"axG",@progbits,_Z39paged_attention_ll4mi_QKV_mfma16_kernelI14__hip_bfloat16hLN4vllm18Fp8KVCacheDataTypeE1ES0_Li32ELi128ELi256ELb1ELi3EL8MFMAType1EEvPKT_PKT0_S9_ifPKiSB_SB_iPKfiiiPfSE_PS4_PT2_iSD_SD_,comdat
	.protected	_Z39paged_attention_ll4mi_QKV_mfma16_kernelI14__hip_bfloat16hLN4vllm18Fp8KVCacheDataTypeE1ES0_Li32ELi128ELi256ELb1ELi3EL8MFMAType1EEvPKT_PKT0_S9_ifPKiSB_SB_iPKfiiiPfSE_PS4_PT2_iSD_SD_ ; -- Begin function _Z39paged_attention_ll4mi_QKV_mfma16_kernelI14__hip_bfloat16hLN4vllm18Fp8KVCacheDataTypeE1ES0_Li32ELi128ELi256ELb1ELi3EL8MFMAType1EEvPKT_PKT0_S9_ifPKiSB_SB_iPKfiiiPfSE_PS4_PT2_iSD_SD_
	.globl	_Z39paged_attention_ll4mi_QKV_mfma16_kernelI14__hip_bfloat16hLN4vllm18Fp8KVCacheDataTypeE1ES0_Li32ELi128ELi256ELb1ELi3EL8MFMAType1EEvPKT_PKT0_S9_ifPKiSB_SB_iPKfiiiPfSE_PS4_PT2_iSD_SD_
	.p2align	8
	.type	_Z39paged_attention_ll4mi_QKV_mfma16_kernelI14__hip_bfloat16hLN4vllm18Fp8KVCacheDataTypeE1ES0_Li32ELi128ELi256ELb1ELi3EL8MFMAType1EEvPKT_PKT0_S9_ifPKiSB_SB_iPKfiiiPfSE_PS4_PT2_iSD_SD_,@function
_Z39paged_attention_ll4mi_QKV_mfma16_kernelI14__hip_bfloat16hLN4vllm18Fp8KVCacheDataTypeE1ES0_Li32ELi128ELi256ELb1ELi3EL8MFMAType1EEvPKT_PKT0_S9_ifPKiSB_SB_iPKfiiiPfSE_PS4_PT2_iSD_SD_: ; @_Z39paged_attention_ll4mi_QKV_mfma16_kernelI14__hip_bfloat16hLN4vllm18Fp8KVCacheDataTypeE1ES0_Li32ELi128ELi256ELb1ELi3EL8MFMAType1EEvPKT_PKT0_S9_ifPKiSB_SB_iPKfiiiPfSE_PS4_PT2_iSD_SD_
; %bb.0:
	s_load_b64 s[4:5], s[0:1], 0x30
	s_mov_b32 s30, s13
	s_waitcnt lgkmcnt(0)
	s_cmp_lg_u64 s[4:5], 0
	s_cselect_b32 s13, -1, 0
	s_ashr_i32 s31, s30, 31
	s_cmp_eq_u64 s[4:5], 0
	s_cbranch_scc1 .LBB1644_3
; %bb.1:
	s_lshl_b64 s[2:3], s[30:31], 2
	s_delay_alu instid0(SALU_CYCLE_1) | instskip(SKIP_4) | instid1(SALU_CYCLE_1)
	s_add_u32 s2, s4, s2
	s_addc_u32 s3, s5, s3
	s_load_b64 s[2:3], s[2:3], 0x0
	s_waitcnt lgkmcnt(0)
	s_sub_i32 s2, s3, s2
	s_cmp_eq_u32 s2, 1
	s_cselect_b32 s2, -1, 0
	s_delay_alu instid0(SALU_CYCLE_1)
	s_and_not1_b32 vcc_lo, exec_lo, s2
	s_cbranch_vccz .LBB1644_4
.LBB1644_2:
	s_nop 0
	s_sendmsg sendmsg(MSG_DEALLOC_VGPRS)
	s_endpgm
.LBB1644_3:
.LBB1644_4:
	s_load_b64 s[2:3], s[0:1], 0x28
	s_lshl_b64 s[6:7], s[30:31], 2
	s_waitcnt lgkmcnt(0)
	s_add_u32 s2, s2, s6
	s_addc_u32 s3, s3, s7
	s_lshl_b32 s12, s14, 8
	s_load_b32 s17, s[2:3], 0x0
	s_waitcnt lgkmcnt(0)
	s_cmp_ge_i32 s12, s17
	s_cbranch_scc1 .LBB1644_2
; %bb.5:
	s_clause 0x1
	s_load_b128 s[8:11], s[0:1], 0x8
	s_load_b64 s[2:3], s[0:1], 0x20
	s_and_not1_b32 vcc_lo, exec_lo, s13
	s_cbranch_vccnz .LBB1644_7
; %bb.6:
	s_add_u32 s4, s4, s6
	s_addc_u32 s5, s5, s7
	s_load_b32 s13, s[4:5], 0x0
	s_branch .LBB1644_8
.LBB1644_7:
	s_mov_b32 s13, s30
.LBB1644_8:
	s_load_b128 s[4:7], s[0:1], 0x48
	v_and_b32_e32 v65, 15, v0
	v_lshrrev_b32_e32 v66, 5, v0
	v_bfe_u32 v74, v0, 4, 1
	v_and_b32_e32 v67, 31, v0
	v_and_b32_e32 v75, 1, v0
	v_lshlrev_b32_e32 v2, 3, v65
	s_mul_i32 s31, s15, 3
	v_lshl_or_b32 v1, v66, 1, v74
	s_waitcnt lgkmcnt(0)
	s_mov_b32 s7, exec_lo
	v_lshlrev_b32_e32 v73, 1, v2
	s_delay_alu instid0(VALU_DEP_2)
	v_cmpx_gt_u32_e32 3, v1
	s_cbranch_execz .LBB1644_10
; %bb.9:
	s_load_b64 s[18:19], s[0:1], 0x0
	v_add_lshl_u32 v2, v1, s31, 7
	s_mul_hi_i32 s21, s13, s4
	s_mul_i32 s20, s13, s4
	v_lshlrev_b32_e32 v6, 10, v65
	s_lshl_b64 s[20:21], s[20:21], 1
	v_ashrrev_i32_e32 v3, 31, v2
	v_lshlrev_b32_e32 v1, 6, v1
	v_lshlrev_b32_e32 v7, 10, v75
	v_and_b32_e32 v6, 0x3800, v6
	s_delay_alu instid0(VALU_DEP_4) | instskip(NEXT) | instid1(VALU_DEP_2)
	v_lshlrev_b64 v[2:3], 1, v[2:3]
	v_or3_b32 v1, v6, v7, v1
	s_waitcnt lgkmcnt(0)
	s_add_u32 s4, s18, s20
	s_addc_u32 s13, s19, s21
	s_delay_alu instid0(VALU_DEP_2) | instskip(SKIP_1) | instid1(VALU_DEP_2)
	v_add_co_u32 v2, vcc_lo, s4, v2
	v_add_co_ci_u32_e32 v3, vcc_lo, s13, v3, vcc_lo
	v_add_co_u32 v2, vcc_lo, v2, v73
	s_delay_alu instid0(VALU_DEP_2)
	v_add_co_ci_u32_e32 v3, vcc_lo, 0, v3, vcc_lo
	global_load_b128 v[2:5], v[2:3], off
	s_waitcnt vmcnt(0)
	ds_store_b128 v1, v[2:5]
.LBB1644_10:
	s_or_b32 exec_lo, exec_lo, s7
	v_and_b32_e32 v1, 0xef, v0
	s_add_i32 s4, s17, 31
	s_clause 0x1
	s_load_b32 s7, s[0:1], 0x38
	s_load_b32 s18, s[0:1], 0x1c
	s_ashr_i32 s13, s4, 31
	v_add_nc_u32_e32 v2, s12, v1
	s_lshr_b32 s13, s13, 27
	s_waitcnt lgkmcnt(0)
	s_add_i32 s4, s4, s13
	s_barrier
	v_ashrrev_i32_e32 v1, 31, v2
	s_ashr_i32 s4, s4, 5
	v_cmp_gt_i32_e32 vcc_lo, s17, v2
	s_add_i32 s4, s4, -1
	buffer_gl0_inv
	v_lshrrev_b32_e32 v3, 27, v1
	v_or_b32_e32 v1, 16, v2
	s_mul_i32 s15, s15, s6
	s_delay_alu instid0(VALU_DEP_2) | instskip(SKIP_1) | instid1(SALU_CYCLE_1)
	v_add_nc_u32_e32 v4, v2, v3
	s_mul_i32 s20, s30, s7
	s_ashr_i32 s21, s20, 31
	s_delay_alu instid0(VALU_DEP_1) | instskip(SKIP_2) | instid1(SALU_CYCLE_1)
	v_ashrrev_i32_e32 v4, 5, v4
	v_add_nc_u32_e32 v3, v1, v3
	s_lshl_b64 s[20:21], s[20:21], 2
	s_add_u32 s7, s2, s20
	s_delay_alu instid0(VALU_DEP_2) | instskip(NEXT) | instid1(VALU_DEP_2)
	v_cndmask_b32_e32 v2, s4, v4, vcc_lo
	v_ashrrev_i32_e32 v3, 5, v3
	v_cmp_gt_i32_e32 vcc_lo, s17, v1
	s_addc_u32 s13, s3, s21
	s_ashr_i32 s6, s15, 31
	s_add_u32 s2, s8, s15
	s_addc_u32 s3, s9, s6
	v_cndmask_b32_e32 v4, s4, v3, vcc_lo
	v_ashrrev_i32_e32 v3, 31, v2
	s_lshl_b32 s8, s14, 3
	s_delay_alu instid0(SALU_CYCLE_1) | instskip(NEXT) | instid1(VALU_DEP_2)
	s_ashr_i32 s9, s8, 31
	v_ashrrev_i32_e32 v5, 31, v4
	s_delay_alu instid0(VALU_DEP_2) | instskip(SKIP_1) | instid1(SALU_CYCLE_1)
	v_lshlrev_b64 v[1:2], 2, v[2:3]
	s_lshl_b64 s[8:9], s[8:9], 2
	s_add_u32 s8, s7, s8
	s_delay_alu instid0(VALU_DEP_2) | instskip(SKIP_1) | instid1(VALU_DEP_2)
	v_lshlrev_b64 v[3:4], 2, v[4:5]
	s_addc_u32 s9, s13, s9
	v_add_co_u32 v1, vcc_lo, s7, v1
	v_add_co_ci_u32_e32 v2, vcc_lo, s13, v2, vcc_lo
	s_delay_alu instid0(VALU_DEP_3) | instskip(NEXT) | instid1(VALU_DEP_4)
	v_add_co_u32 v3, vcc_lo, s7, v3
	v_add_co_ci_u32_e32 v4, vcc_lo, s13, v4, vcc_lo
	s_clause 0x1
	global_load_b32 v5, v[1:2], off
	global_load_b32 v6, v[3:4], off
	s_or_b32 s16, s12, 32
	s_delay_alu instid0(SALU_CYCLE_1) | instskip(SKIP_2) | instid1(SALU_CYCLE_1)
	s_ashr_i32 s19, s16, 5
	s_cmp_lt_i32 s16, s17
	s_cselect_b32 s20, s19, s4
	s_ashr_i32 s21, s20, 31
	s_delay_alu instid0(SALU_CYCLE_1) | instskip(NEXT) | instid1(SALU_CYCLE_1)
	s_lshl_b64 s[20:21], s[20:21], 2
	s_add_u32 s20, s7, s20
	s_addc_u32 s21, s13, s21
	s_or_b32 s16, s12, 64
	s_delay_alu instid0(SALU_CYCLE_1) | instskip(SKIP_2) | instid1(SALU_CYCLE_1)
	s_ashr_i32 s19, s16, 5
	s_cmp_lt_i32 s16, s17
	s_cselect_b32 s22, s19, s4
	s_ashr_i32 s23, s22, 31
	s_delay_alu instid0(SALU_CYCLE_1) | instskip(NEXT) | instid1(SALU_CYCLE_1)
	s_lshl_b64 s[22:23], s[22:23], 2
	s_add_u32 s22, s7, s22
	s_addc_u32 s23, s13, s23
	;; [unrolled: 10-line block ×5, first 2 shown]
	s_clause 0x5
	s_load_b32 s16, s[8:9], 0x0
	s_load_b32 s19, s[20:21], 0x0
	;; [unrolled: 1-line block ×6, first 2 shown]
	s_mov_b32 s20, 0
	s_delay_alu instid0(SALU_CYCLE_1)
	s_mov_b32 s21, s20
	s_mov_b32 s22, s20
	;; [unrolled: 1-line block ×7, first 2 shown]
	s_delay_alu instid0(SALU_CYCLE_1)
	v_dual_mov_b32 v107, s27 :: v_dual_mov_b32 v106, s26
	v_dual_mov_b32 v105, s25 :: v_dual_mov_b32 v102, s22
	;; [unrolled: 1-line block ×4, first 2 shown]
	s_waitcnt vmcnt(1)
	v_mad_i64_i32 v[1:2], null, v5, s5, s[2:3]
	v_lshlrev_b32_e32 v5, 4, v65
	s_waitcnt vmcnt(0)
	v_mad_i64_i32 v[3:4], null, v6, s5, s[2:3]
	s_or_b32 s2, s12, 0xc0
	s_delay_alu instid0(SALU_CYCLE_1) | instskip(NEXT) | instid1(VALU_DEP_3)
	s_ashr_i32 s3, s2, 5
	v_add_co_u32 v25, vcc_lo, v1, v5
	s_delay_alu instid0(VALU_DEP_4) | instskip(NEXT) | instid1(VALU_DEP_3)
	v_add_co_ci_u32_e32 v26, vcc_lo, 0, v2, vcc_lo
	v_add_co_u32 v27, vcc_lo, v3, v5
	s_delay_alu instid0(VALU_DEP_4)
	v_add_co_ci_u32_e32 v28, vcc_lo, 0, v4, vcc_lo
	s_clause 0xf
	global_load_b128 v[1:4], v[25:26], off
	global_load_b128 v[5:8], v[25:26], off offset:512
	global_load_b128 v[9:12], v[27:28], off offset:256
	;; [unrolled: 1-line block ×15, first 2 shown]
	v_mul_lo_u16 v25, 0x56, v65
	s_cmp_lt_i32 s2, s17
	v_lshlrev_b32_e32 v26, 5, v65
	s_cselect_b32 s2, s3, s4
	s_delay_alu instid0(VALU_DEP_2) | instskip(SKIP_1) | instid1(VALU_DEP_2)
	v_lshrrev_b16 v25, 8, v25
	s_ashr_i32 s3, s2, 31
	v_lshl_or_b32 v33, v66, 9, v26
	s_lshl_b64 s[2:3], s[2:3], 2
	s_delay_alu instid0(VALU_DEP_2) | instskip(SKIP_3) | instid1(VALU_DEP_1)
	v_mul_lo_u16 v25, v25, 3
	s_add_u32 s2, s7, s2
	s_addc_u32 s3, s13, s3
	s_or_b32 s8, s12, 0xe0
	v_sub_nc_u16 v25, v65, v25
	s_ashr_i32 s9, s8, 5
	s_cmp_lt_i32 s8, s17
	s_cselect_b32 s8, s9, s4
	s_delay_alu instid0(VALU_DEP_1) | instskip(SKIP_1) | instid1(SALU_CYCLE_1)
	v_and_b32_e32 v25, 0xff, v25
	s_ashr_i32 s9, s8, 31
	s_lshl_b64 s[8:9], s[8:9], 2
	s_delay_alu instid0(VALU_DEP_1)
	v_lshlrev_b32_e32 v72, 6, v25
	ds_load_b128 v[25:28], v72
	ds_load_b128 v[29:32], v72 offset:1024
	ds_load_b128 v[108:111], v72 offset:2048
	;; [unrolled: 1-line block ×3, first 2 shown]
	s_load_b32 s4, s[2:3], 0x0
	s_add_u32 s2, s7, s8
	s_addc_u32 s3, s13, s9
	ds_load_b128 v[116:119], v72 offset:4096
	ds_load_b128 v[120:123], v72 offset:5120
	s_load_b32 s2, s[2:3], 0x0
	s_add_u32 s7, s10, s15
	s_addc_u32 s6, s11, s6
	v_add_co_u32 v68, s7, s7, v33
	s_delay_alu instid0(VALU_DEP_1) | instskip(SKIP_1) | instid1(VALU_DEP_1)
	v_add_co_ci_u32_e64 v69, null, s6, 0, s7
	s_waitcnt lgkmcnt(0)
	v_mad_i64_i32 v[33:34], null, s16, s5, v[68:69]
	v_mad_i64_i32 v[70:71], null, s33, s5, v[68:69]
	;; [unrolled: 1-line block ×7, first 2 shown]
	s_clause 0x3
	global_load_b128 v[41:44], v[33:34], off
	global_load_b128 v[45:48], v[33:34], off offset:16
	global_load_b128 v[33:36], v[37:38], off
	global_load_b128 v[37:40], v[37:38], off offset:16
	s_waitcnt vmcnt(18)
	v_wmma_f32_16x16x16_bf16 v[124:131], v[1:8], v[25:32], v[100:107]
	s_waitcnt vmcnt(16)
	v_wmma_f32_16x16x16_bf16 v[100:107], v[9:16], v[25:32], v[100:107]
	s_clause 0x1
	global_load_b128 v[25:28], v[70:71], off
	global_load_b128 v[29:32], v[70:71], off offset:16
	s_waitcnt vmcnt(16)
	v_wmma_f32_16x16x16_bf16 v[124:131], v[17:24], v[108:115], v[124:131]
	s_clause 0x1
	global_load_b128 v[17:20], v[132:133], off
	global_load_b128 v[21:24], v[132:133], off offset:16
	s_waitcnt vmcnt(16)
	v_wmma_f32_16x16x16_bf16 v[100:107], v[49:56], v[108:115], v[100:107]
	v_mad_i64_i32 v[53:54], null, s2, s5, v[68:69]
	s_clause 0x3
	global_load_b128 v[1:4], v[134:135], off
	global_load_b128 v[5:8], v[134:135], off offset:16
	global_load_b128 v[9:12], v[136:137], off
	global_load_b128 v[13:16], v[136:137], off offset:16
	s_waitcnt vmcnt(18)
	v_wmma_f32_16x16x16_bf16 v[124:131], v[57:64], v[116:123], v[124:131]
	s_clause 0x3
	global_load_b128 v[57:60], v[138:139], off
	global_load_b128 v[61:64], v[138:139], off offset:16
	global_load_b128 v[49:52], v[53:54], off
	global_load_b128 v[53:56], v[53:54], off offset:16
	s_waitcnt vmcnt(20)
	v_wmma_f32_16x16x16_bf16 v[100:107], v[76:83], v[116:123], v[100:107]
	ds_load_b128 v[76:79], v72 offset:6144
	ds_load_b128 v[80:83], v72 offset:7168
	v_mbcnt_lo_u32_b32 v69, -1, 0
	s_waitcnt vmcnt(0) lgkmcnt(0)
	s_barrier
	buffer_gl0_inv
	v_xor_b32_e32 v70, 16, v69
	s_delay_alu instid0(VALU_DEP_1) | instskip(SKIP_4) | instid1(VALU_DEP_2)
	v_cmp_gt_i32_e32 vcc_lo, 32, v70
	v_cndmask_b32_e32 v69, v69, v70, vcc_lo
	v_wmma_f32_16x16x16_bf16 v[124:131], v[84:91], v[76:83], v[124:131]
	v_and_b32_e32 v68, 0xe0, v0
	v_wmma_f32_16x16x16_bf16 v[100:107], v[92:99], v[76:83], v[100:107]
	v_dual_mul_f32 v81, s18, v129 :: v_dual_add_nc_u32 v68, s12, v68
	s_delay_alu instid0(VALU_DEP_4) | instskip(NEXT) | instid1(VALU_DEP_3)
	v_dual_mul_f32 v83, s18, v131 :: v_dual_mul_f32 v78, s18, v125
	v_mul_f32_e32 v95, s18, v103
	v_mul_f32_e32 v79, s18, v127
	s_delay_alu instid0(VALU_DEP_4) | instskip(SKIP_3) | instid1(VALU_DEP_4)
	v_or_b32_e32 v68, v68, v74
	v_dual_mul_f32 v80, s18, v126 :: v_dual_mul_f32 v97, s18, v105
	v_dual_mul_f32 v93, s18, v101 :: v_dual_mul_f32 v82, s18, v128
	v_mul_f32_e32 v99, s18, v107
	v_or_b32_e32 v70, 2, v68
	v_or_b32_e32 v71, 4, v68
	;; [unrolled: 1-line block ×3, first 2 shown]
	v_cmp_gt_i32_e64 s2, s17, v68
	v_or_b32_e32 v108, 8, v68
	v_cmp_gt_i32_e32 vcc_lo, s17, v70
	v_mul_f32_e32 v70, s18, v124
	v_or_b32_e32 v109, 10, v68
	v_cmp_gt_i32_e64 s3, s17, v71
	v_cmp_gt_i32_e64 s4, s17, v72
	v_cndmask_b32_e32 v78, 0xff7fffff, v78, vcc_lo
	v_cndmask_b32_e64 v70, 0xff7fffff, v70, s2
	v_or_b32_e32 v84, 12, v68
	v_or_b32_e32 v85, 14, v68
	v_cndmask_b32_e64 v71, 0xff7fffff, v80, s3
	v_cndmask_b32_e64 v72, 0xff7fffff, v79, s4
	v_max3_f32 v70, v70, 0xff7fffff, v78
	v_cmp_gt_i32_e64 s5, s17, v108
	v_cmp_gt_i32_e64 s6, s17, v109
	v_or_b32_e32 v86, 16, v68
	v_or_b32_e32 v87, 18, v68
	;; [unrolled: 1-line block ×3, first 2 shown]
	v_mul_f32_e32 v92, s18, v130
	v_cndmask_b32_e64 v78, 0xff7fffff, v82, s5
	v_cndmask_b32_e64 v79, 0xff7fffff, v81, s6
	v_max3_f32 v70, v70, v71, v72
	v_cmp_gt_i32_e64 s7, s17, v84
	v_cmp_gt_i32_e64 s8, s17, v85
	v_or_b32_e32 v88, 20, v68
	v_mul_f32_e32 v94, s18, v100
	v_max3_f32 v70, v70, v78, v79
	v_cmp_gt_i32_e64 s9, s17, v86
	v_cndmask_b32_e64 v72, 0xff7fffff, v83, s8
	v_cmp_gt_i32_e64 s10, s17, v87
	v_cmp_gt_i32_e64 s12, s17, v89
	v_lshlrev_b32_e32 v89, 2, v69
	v_cndmask_b32_e64 v71, 0xff7fffff, v92, s7
	v_or_b32_e32 v90, 24, v68
	v_or_b32_e32 v91, 26, v68
	v_mul_f32_e32 v96, s18, v102
	v_cndmask_b32_e64 v78, 0xff7fffff, v94, s9
	v_cndmask_b32_e64 v79, 0xff7fffff, v93, s10
	v_max3_f32 v70, v70, v71, v72
	v_cmp_gt_i32_e64 s11, s17, v88
	v_or_b32_e32 v76, 28, v68
	v_or_b32_e32 v77, 30, v68
	v_mul_f32_e32 v98, s18, v104
	v_cndmask_b32_e64 v72, 0xff7fffff, v95, s12
	v_cndmask_b32_e64 v71, 0xff7fffff, v96, s11
	v_max3_f32 v70, v70, v78, v79
	v_cmp_gt_i32_e64 s13, s17, v90
	v_cmp_gt_i32_e64 s15, s17, v91
	v_mul_f32_e32 v68, s18, v106
	v_cmp_gt_i32_e64 s16, s17, v76
	v_max3_f32 v70, v70, v71, v72
	v_cndmask_b32_e64 v78, 0xff7fffff, v98, s13
	v_cndmask_b32_e64 v79, 0xff7fffff, v97, s15
	v_cmp_gt_i32_e64 s17, s17, v77
	v_cndmask_b32_e64 v68, 0xff7fffff, v68, s16
	s_delay_alu instid0(VALU_DEP_3) | instskip(NEXT) | instid1(VALU_DEP_3)
	v_max3_f32 v70, v70, v78, v79
	v_cndmask_b32_e64 v71, 0xff7fffff, v99, s17
	s_delay_alu instid0(VALU_DEP_1) | instskip(SKIP_3) | instid1(VALU_DEP_1)
	v_max3_f32 v68, v70, v68, v71
	ds_bpermute_b32 v69, v89, v68
	s_waitcnt lgkmcnt(0)
	v_max_f32_e32 v69, v69, v69
	v_max_f32_e32 v68, v68, v69
	s_delay_alu instid0(VALU_DEP_1) | instskip(NEXT) | instid1(VALU_DEP_1)
	v_fma_f32 v71, s18, v126, -v68
	v_mul_f32_e32 v71, 0x3fb8aa3b, v71
	s_delay_alu instid0(VALU_DEP_1) | instskip(SKIP_3) | instid1(VALU_DEP_1)
	v_exp_f32_e32 v71, v71
	s_waitcnt_depctr 0xfff
	v_cndmask_b32_e64 v83, 0, v71, s3
	v_fma_f32 v71, s18, v131, -v68
	v_mul_f32_e32 v71, 0x3fb8aa3b, v71
	v_fma_f32 v69, s18, v124, -v68
	v_fma_f32 v76, s18, v128, -v68
	;; [unrolled: 1-line block ×4, first 2 shown]
	v_exp_f32_e32 v71, v71
	v_mul_f32_e32 v69, 0x3fb8aa3b, v69
	v_mul_f32_e32 v77, 0x3fb8aa3b, v76
	v_fma_f32 v81, s18, v105, -v68
	v_fma_f32 v78, s18, v130, -v68
	s_delay_alu instid0(VALU_DEP_4) | instskip(NEXT) | instid1(VALU_DEP_3)
	v_exp_f32_e32 v69, v69
	v_exp_f32_e32 v77, v77
	s_delay_alu instid0(VALU_DEP_2) | instskip(NEXT) | instid1(TRANS32_DEP_3)
	v_mul_f32_e32 v81, 0x3fb8aa3b, v81
	v_cndmask_b32_e64 v88, 0, v71, s8
	v_fma_f32 v71, s18, v104, -v68
	s_delay_alu instid0(VALU_DEP_3) | instskip(NEXT) | instid1(TRANS32_DEP_3)
	v_exp_f32_e32 v81, v81
	v_cndmask_b32_e64 v80, 0, v69, s2
	v_fma_f32 v69, s18, v129, -v68
	v_mul_f32_e32 v70, 0x3fb8aa3b, v70
	s_delay_alu instid0(TRANS32_DEP_2)
	v_cndmask_b32_e64 v86, 0, v77, s5
	v_mul_f32_e32 v72, 0x3fb8aa3b, v72
	v_fma_f32 v77, s18, v101, -v68
	v_mul_f32_e32 v69, 0x3fb8aa3b, v69
	v_exp_f32_e32 v70, v70
	v_mul_f32_e32 v71, 0x3fb8aa3b, v71
	v_exp_f32_e32 v72, v72
	v_mul_f32_e32 v77, 0x3fb8aa3b, v77
	v_exp_f32_e32 v69, v69
	v_cmp_gt_u32_e64 s2, 16, v67
	v_exp_f32_e32 v82, v71
	s_delay_alu instid0(VALU_DEP_2) | instskip(SKIP_4) | instid1(TRANS32_DEP_3)
	v_exp_f32_e32 v77, v77
	v_cndmask_b32_e32 v76, 0, v70, vcc_lo
	v_add_f32_e32 v70, 0, v80
	v_cndmask_b32_e64 v85, 0, v72, s4
	v_fma_f32 v72, s18, v100, -v68
	v_cndmask_b32_e64 v87, 0, v69, s6
	s_delay_alu instid0(VALU_DEP_4) | instskip(NEXT) | instid1(VALU_DEP_3)
	v_add_f32_e32 v70, v70, v76
	v_mul_f32_e32 v72, 0x3fb8aa3b, v72
	s_delay_alu instid0(VALU_DEP_2) | instskip(NEXT) | instid1(VALU_DEP_2)
	v_add_f32_e32 v70, v70, v83
	v_exp_f32_e32 v72, v72
	s_delay_alu instid0(VALU_DEP_1) | instskip(NEXT) | instid1(VALU_DEP_1)
	v_add_f32_e32 v70, v70, v85
	v_add_f32_e32 v69, v70, v86
	v_fma_f32 v70, s18, v102, -v68
	s_delay_alu instid0(VALU_DEP_2) | instskip(NEXT) | instid1(VALU_DEP_2)
	v_dual_add_f32 v69, v69, v87 :: v_dual_mul_f32 v78, 0x3fb8aa3b, v78
	v_mul_f32_e32 v70, 0x3fb8aa3b, v70
	s_delay_alu instid0(VALU_DEP_2) | instskip(NEXT) | instid1(VALU_DEP_1)
	v_exp_f32_e32 v78, v78
	v_exp_f32_e32 v79, v70
	s_delay_alu instid0(TRANS32_DEP_3) | instskip(SKIP_4) | instid1(VALU_DEP_2)
	v_cndmask_b32_e64 v70, 0, v72, s9
	s_waitcnt_depctr 0xfff
	v_cndmask_b32_e64 v84, 0, v78, s7
	v_fma_f32 v78, s18, v103, -v68
	v_cndmask_b32_e64 v71, 0, v79, s11
	v_dual_add_f32 v69, v69, v84 :: v_dual_mul_f32 v78, 0x3fb8aa3b, v78
	s_delay_alu instid0(VALU_DEP_1) | instskip(NEXT) | instid1(VALU_DEP_2)
	v_add_f32_e32 v72, v69, v88
	v_exp_f32_e32 v78, v78
	v_cndmask_b32_e64 v69, 0, v77, s10
	v_fma_f32 v77, s18, v106, -v68
	s_delay_alu instid0(VALU_DEP_1) | instskip(NEXT) | instid1(VALU_DEP_1)
	v_dual_add_f32 v72, v72, v70 :: v_dual_mul_f32 v77, 0x3fb8aa3b, v77
	v_add_f32_e32 v79, v72, v69
	s_waitcnt_depctr 0xfff
	v_cndmask_b32_e64 v72, 0, v78, s12
	v_exp_f32_e32 v90, v77
	v_cndmask_b32_e64 v77, 0, v82, s13
	v_add_f32_e32 v78, v79, v71
	v_fma_f32 v79, s18, v107, -v68
	s_delay_alu instid0(VALU_DEP_1) | instskip(SKIP_1) | instid1(VALU_DEP_2)
	v_dual_add_f32 v82, v78, v72 :: v_dual_mul_f32 v79, 0x3fb8aa3b, v79
	v_cndmask_b32_e64 v78, 0, v81, s15
	v_add_f32_e32 v81, v82, v77
	s_delay_alu instid0(VALU_DEP_3) | instskip(NEXT) | instid1(TRANS32_DEP_2)
	v_exp_f32_e32 v82, v79
	v_cndmask_b32_e64 v79, 0, v90, s16
	s_delay_alu instid0(VALU_DEP_2) | instskip(NEXT) | instid1(VALU_DEP_1)
	v_add_f32_e32 v81, v81, v78
	v_add_f32_e32 v90, v81, v79
	s_waitcnt_depctr 0xfff
	v_cndmask_b32_e64 v81, 0, v82, s17
	s_delay_alu instid0(VALU_DEP_1)
	v_add_f32_e32 v82, v90, v81
	ds_bpermute_b32 v89, v89, v82
	s_and_saveexec_b32 s3, s2
	s_cbranch_execz .LBB1644_12
; %bb.11:
	v_mul_u32_u24_e32 v67, 0x44, v66
	s_delay_alu instid0(VALU_DEP_1) | instskip(SKIP_1) | instid1(VALU_DEP_1)
	v_lshl_add_u32 v67, v65, 2, v67
	s_waitcnt lgkmcnt(0)
	v_dual_add_f32 v82, v82, v89 :: v_dual_add_nc_u32 v67, 0x4000, v67
	ds_store_2addr_b32 v67, v68, v82 offset1:136
.LBB1644_12:
	s_or_b32 exec_lo, exec_lo, s3
	v_lshlrev_b32_e32 v67, 2, v65
	s_waitcnt lgkmcnt(0)
	s_barrier
	buffer_gl0_inv
	v_cmp_eq_u32_e32 vcc_lo, 1, v66
	v_add_nc_u32_e32 v82, 0x4000, v67
	v_cmp_eq_u32_e64 s3, 2, v66
	v_cmp_eq_u32_e64 s5, 7, v66
	ds_load_2addr_b32 v[89:90], v82 offset1:17
	ds_load_2addr_b32 v[91:92], v82 offset0:34 offset1:51
	ds_load_2addr_b32 v[93:94], v82 offset0:68 offset1:85
	;; [unrolled: 1-line block ×4, first 2 shown]
	s_waitcnt lgkmcnt(4)
	v_max3_f32 v67, v89, 0xff7fffff, v90
	s_waitcnt lgkmcnt(3)
	s_delay_alu instid0(VALU_DEP_1) | instskip(SKIP_1) | instid1(VALU_DEP_1)
	v_max3_f32 v67, v67, v91, v92
	s_waitcnt lgkmcnt(2)
	v_max3_f32 v67, v67, v93, v94
	s_waitcnt lgkmcnt(1)
	s_delay_alu instid0(VALU_DEP_1) | instskip(NEXT) | instid1(VALU_DEP_1)
	v_max3_f32 v67, v67, v95, v96
	v_sub_f32_e32 v93, v93, v67
	s_delay_alu instid0(VALU_DEP_1) | instskip(NEXT) | instid1(VALU_DEP_1)
	v_dual_sub_f32 v68, v89, v67 :: v_dual_mul_f32 v103, 0x3fb8aa3b, v93
	v_mul_f32_e32 v68, 0x3fb8aa3b, v68
	s_delay_alu instid0(VALU_DEP_1)
	v_exp_f32_e32 v100, v68
	v_sub_f32_e32 v68, v92, v67
	v_sub_f32_e32 v99, v90, v67
	ds_load_2addr_b32 v[89:90], v82 offset0:170 offset1:187
	v_dual_mul_f32 v102, 0x3fb8aa3b, v68 :: v_dual_mul_f32 v99, 0x3fb8aa3b, v99
	s_waitcnt lgkmcnt(1)
	v_fma_f32 v68, v100, v97, 0
	s_delay_alu instid0(VALU_DEP_2) | instskip(NEXT) | instid1(VALU_DEP_2)
	v_exp_f32_e32 v102, v102
	v_exp_f32_e32 v99, v99
	s_waitcnt_depctr 0xfff
	v_fmac_f32_e32 v68, v99, v98
	v_sub_f32_e32 v91, v91, v67
	s_delay_alu instid0(VALU_DEP_1)
	v_mul_f32_e32 v101, 0x3fb8aa3b, v91
	ds_load_2addr_b32 v[91:92], v82 offset0:204 offset1:221
	v_sub_f32_e32 v97, v94, v67
	ds_load_2addr_b32 v[93:94], v82 offset0:238 offset1:255
	s_waitcnt lgkmcnt(0)
	v_exp_f32_e32 v101, v101
	s_barrier
	buffer_gl0_inv
	v_dual_fmac_f32 v68, v101, v89 :: v_dual_sub_f32 v89, v96, v67
	v_dual_sub_f32 v82, v95, v67 :: v_dual_mul_f32 v95, 0x3fb8aa3b, v97
	v_exp_f32_e32 v97, v103
	s_delay_alu instid0(VALU_DEP_2) | instskip(NEXT) | instid1(VALU_DEP_2)
	v_dual_fmac_f32 v68, v102, v90 :: v_dual_mul_f32 v89, 0x3fb8aa3b, v89
	v_mul_f32_e32 v82, 0x3fb8aa3b, v82
	s_delay_alu instid0(VALU_DEP_3) | instskip(NEXT) | instid1(VALU_DEP_2)
	v_exp_f32_e32 v95, v95
	v_exp_f32_e32 v89, v89
	s_delay_alu instid0(VALU_DEP_1)
	v_exp_f32_e32 v82, v82
	v_fmac_f32_e32 v68, v97, v91
	s_delay_alu instid0(TRANS32_DEP_3) | instid1(VALU_DEP_1)
	v_fmac_f32_e32 v68, v95, v92
	s_waitcnt_depctr 0xfff
	v_fmac_f32_e32 v68, v82, v93
	s_delay_alu instid0(VALU_DEP_1) | instskip(NEXT) | instid1(VALU_DEP_1)
	v_fmac_f32_e32 v68, v89, v94
	v_add_f32_e32 v90, 0x358637bd, v68
	s_delay_alu instid0(VALU_DEP_1) | instskip(NEXT) | instid1(VALU_DEP_1)
	v_div_scale_f32 v91, null, v90, v90, 1.0
	v_rcp_f32_e32 v92, v91
	s_waitcnt_depctr 0xfff
	v_fma_f32 v93, -v91, v92, 1.0
	s_delay_alu instid0(VALU_DEP_1) | instskip(SKIP_1) | instid1(VALU_DEP_2)
	v_dual_fmac_f32 v92, v93, v92 :: v_dual_cndmask_b32 v93, v100, v99
	v_cmp_eq_u32_e32 vcc_lo, 3, v66
	v_cndmask_b32_e64 v93, v93, v101, s3
	v_cmp_eq_u32_e64 s3, 4, v66
	s_delay_alu instid0(VALU_DEP_2) | instskip(SKIP_1) | instid1(VALU_DEP_2)
	v_cndmask_b32_e32 v93, v93, v102, vcc_lo
	v_cmp_eq_u32_e32 vcc_lo, 5, v66
	v_cndmask_b32_e64 v93, v93, v97, s3
	v_cmp_eq_u32_e64 s3, 6, v66
	s_delay_alu instid0(VALU_DEP_2) | instskip(SKIP_1) | instid1(VALU_DEP_1)
	v_cndmask_b32_e32 v93, v93, v95, vcc_lo
	v_div_scale_f32 v94, s4, 1.0, v90, 1.0
	s_mov_b32 vcc_lo, s4
	s_delay_alu instid0(VALU_DEP_2) | instskip(NEXT) | instid1(VALU_DEP_2)
	v_cndmask_b32_e64 v82, v93, v82, s3
	v_mul_f32_e32 v96, v94, v92
	s_mov_b32 s3, exec_lo
	s_delay_alu instid0(VALU_DEP_2) | instskip(NEXT) | instid1(VALU_DEP_2)
	v_cndmask_b32_e64 v82, v82, v89, s5
	v_fma_f32 v98, -v91, v96, v94
	s_delay_alu instid0(VALU_DEP_1) | instskip(NEXT) | instid1(VALU_DEP_1)
	v_fmac_f32_e32 v96, v98, v92
	v_fma_f32 v91, -v91, v96, v94
	s_delay_alu instid0(VALU_DEP_1) | instskip(NEXT) | instid1(VALU_DEP_1)
	v_div_fmas_f32 v91, v91, v92, v96
	v_div_fixup_f32 v90, v91, v90, 1.0
	s_delay_alu instid0(VALU_DEP_1) | instskip(NEXT) | instid1(VALU_DEP_1)
	v_mul_f32_e32 v82, v82, v90
	v_mul_f32_e32 v87, v82, v87
	;; [unrolled: 1-line block ×7, first 2 shown]
	v_dual_mul_f32 v86, v82, v83 :: v_dual_and_b32 v91, 0x7f800000, v90
	v_mul_f32_e32 v85, v82, v76
                                        ; implicit-def: $vgpr76
	s_delay_alu instid0(VALU_DEP_2)
	v_cmpx_ne_u32_e32 0x7f800000, v91
	s_xor_b32 s3, exec_lo, s3
; %bb.13:
	v_bfe_u32 v76, v90, 16, 1
	s_delay_alu instid0(VALU_DEP_1)
	v_add3_u32 v76, v90, v76, 0x7fff
                                        ; implicit-def: $vgpr90
; %bb.14:
	s_and_not1_saveexec_b32 s3, s3
; %bb.15:
	v_and_b32_e32 v76, 0xffff, v90
	v_or_b32_e32 v83, 0x10000, v90
	s_delay_alu instid0(VALU_DEP_2) | instskip(NEXT) | instid1(VALU_DEP_2)
	v_cmp_eq_u32_e32 vcc_lo, 0, v76
	v_cndmask_b32_e32 v76, v83, v90, vcc_lo
; %bb.16:
	s_or_b32 exec_lo, exec_lo, s3
	v_and_b32_e32 v83, 0x7f800000, v85
	s_delay_alu instid0(VALU_DEP_1) | instskip(SKIP_1) | instid1(SALU_CYCLE_1)
	v_cmp_ne_u32_e32 vcc_lo, 0x7f800000, v83
                                        ; implicit-def: $vgpr83
	s_and_saveexec_b32 s3, vcc_lo
	s_xor_b32 s3, exec_lo, s3
; %bb.17:
	v_bfe_u32 v83, v85, 16, 1
	s_delay_alu instid0(VALU_DEP_1)
	v_add3_u32 v83, v85, v83, 0x7fff
                                        ; implicit-def: $vgpr85
; %bb.18:
	s_and_not1_saveexec_b32 s3, s3
; %bb.19:
	v_and_b32_e32 v83, 0xffff, v85
	v_or_b32_e32 v90, 0x10000, v85
	s_delay_alu instid0(VALU_DEP_2) | instskip(NEXT) | instid1(VALU_DEP_2)
	v_cmp_eq_u32_e32 vcc_lo, 0, v83
	v_cndmask_b32_e32 v83, v90, v85, vcc_lo
; %bb.20:
	s_or_b32 exec_lo, exec_lo, s3
	v_and_b32_e32 v85, 0x7f800000, v86
	s_delay_alu instid0(VALU_DEP_1) | instskip(SKIP_1) | instid1(SALU_CYCLE_1)
	v_cmp_ne_u32_e32 vcc_lo, 0x7f800000, v85
                                        ; implicit-def: $vgpr85
	s_and_saveexec_b32 s3, vcc_lo
	s_xor_b32 s3, exec_lo, s3
; %bb.21:
	v_bfe_u32 v85, v86, 16, 1
	s_delay_alu instid0(VALU_DEP_1)
	v_add3_u32 v85, v86, v85, 0x7fff
                                        ; implicit-def: $vgpr86
; %bb.22:
	s_and_not1_saveexec_b32 s3, s3
; %bb.23:
	v_and_b32_e32 v85, 0xffff, v86
	v_or_b32_e32 v90, 0x10000, v86
	s_delay_alu instid0(VALU_DEP_2) | instskip(NEXT) | instid1(VALU_DEP_2)
	v_cmp_eq_u32_e32 vcc_lo, 0, v85
	v_cndmask_b32_e32 v85, v90, v86, vcc_lo
; %bb.24:
	s_or_b32 exec_lo, exec_lo, s3
	v_and_b32_e32 v86, 0x7f800000, v89
	s_delay_alu instid0(VALU_DEP_1) | instskip(SKIP_1) | instid1(SALU_CYCLE_1)
	v_cmp_ne_u32_e32 vcc_lo, 0x7f800000, v86
                                        ; implicit-def: $vgpr86
	s_and_saveexec_b32 s3, vcc_lo
	s_xor_b32 s3, exec_lo, s3
; %bb.25:
	v_bfe_u32 v86, v89, 16, 1
	s_delay_alu instid0(VALU_DEP_1)
	v_add3_u32 v86, v89, v86, 0x7fff
                                        ; implicit-def: $vgpr89
; %bb.26:
	s_and_not1_saveexec_b32 s3, s3
; %bb.27:
	v_and_b32_e32 v86, 0xffff, v89
	v_or_b32_e32 v90, 0x10000, v89
	s_delay_alu instid0(VALU_DEP_2) | instskip(NEXT) | instid1(VALU_DEP_2)
	v_cmp_eq_u32_e32 vcc_lo, 0, v86
	v_cndmask_b32_e32 v86, v90, v89, vcc_lo
; %bb.28:
	s_or_b32 exec_lo, exec_lo, s3
	v_and_b32_e32 v89, 0x7f800000, v88
	s_delay_alu instid0(VALU_DEP_1) | instskip(SKIP_1) | instid1(SALU_CYCLE_1)
	v_cmp_ne_u32_e32 vcc_lo, 0x7f800000, v89
                                        ; implicit-def: $vgpr89
	s_and_saveexec_b32 s3, vcc_lo
	s_xor_b32 s3, exec_lo, s3
; %bb.29:
	v_bfe_u32 v89, v88, 16, 1
	s_delay_alu instid0(VALU_DEP_1)
	v_add3_u32 v89, v88, v89, 0x7fff
                                        ; implicit-def: $vgpr88
; %bb.30:
	s_and_not1_saveexec_b32 s3, s3
; %bb.31:
	v_and_b32_e32 v89, 0xffff, v88
	v_or_b32_e32 v90, 0x10000, v88
	s_delay_alu instid0(VALU_DEP_2) | instskip(NEXT) | instid1(VALU_DEP_2)
	v_cmp_eq_u32_e32 vcc_lo, 0, v89
	v_cndmask_b32_e32 v89, v90, v88, vcc_lo
; %bb.32:
	s_or_b32 exec_lo, exec_lo, s3
	v_and_b32_e32 v88, 0x7f800000, v87
	s_delay_alu instid0(VALU_DEP_1) | instskip(SKIP_1) | instid1(SALU_CYCLE_1)
	v_cmp_ne_u32_e32 vcc_lo, 0x7f800000, v88
                                        ; implicit-def: $vgpr88
	s_and_saveexec_b32 s3, vcc_lo
	s_xor_b32 s3, exec_lo, s3
; %bb.33:
	v_bfe_u32 v88, v87, 16, 1
	s_delay_alu instid0(VALU_DEP_1)
	v_add3_u32 v88, v87, v88, 0x7fff
                                        ; implicit-def: $vgpr87
; %bb.34:
	s_and_not1_saveexec_b32 s3, s3
; %bb.35:
	v_and_b32_e32 v88, 0xffff, v87
	v_or_b32_e32 v90, 0x10000, v87
	s_delay_alu instid0(VALU_DEP_2) | instskip(NEXT) | instid1(VALU_DEP_2)
	v_cmp_eq_u32_e32 vcc_lo, 0, v88
	v_cndmask_b32_e32 v88, v90, v87, vcc_lo
; %bb.36:
	s_or_b32 exec_lo, exec_lo, s3
	v_and_b32_e32 v87, 0x7f800000, v84
	s_delay_alu instid0(VALU_DEP_1) | instskip(SKIP_1) | instid1(SALU_CYCLE_1)
	v_cmp_ne_u32_e32 vcc_lo, 0x7f800000, v87
                                        ; implicit-def: $vgpr87
	s_and_saveexec_b32 s3, vcc_lo
	s_xor_b32 s3, exec_lo, s3
; %bb.37:
	v_bfe_u32 v87, v84, 16, 1
	s_delay_alu instid0(VALU_DEP_1)
	v_add3_u32 v87, v84, v87, 0x7fff
                                        ; implicit-def: $vgpr84
; %bb.38:
	s_and_not1_saveexec_b32 s3, s3
; %bb.39:
	v_and_b32_e32 v87, 0xffff, v84
	v_or_b32_e32 v90, 0x10000, v84
	s_delay_alu instid0(VALU_DEP_2) | instskip(NEXT) | instid1(VALU_DEP_2)
	v_cmp_eq_u32_e32 vcc_lo, 0, v87
	v_cndmask_b32_e32 v87, v90, v84, vcc_lo
; %bb.40:
	s_or_b32 exec_lo, exec_lo, s3
	v_and_b32_e32 v84, 0x7f800000, v80
	s_delay_alu instid0(VALU_DEP_1) | instskip(SKIP_1) | instid1(SALU_CYCLE_1)
	v_cmp_ne_u32_e32 vcc_lo, 0x7f800000, v84
                                        ; implicit-def: $vgpr84
	s_and_saveexec_b32 s3, vcc_lo
	s_xor_b32 s3, exec_lo, s3
; %bb.41:
	v_bfe_u32 v84, v80, 16, 1
	s_delay_alu instid0(VALU_DEP_1)
	v_add3_u32 v84, v80, v84, 0x7fff
                                        ; implicit-def: $vgpr80
; %bb.42:
	s_and_not1_saveexec_b32 s3, s3
; %bb.43:
	v_and_b32_e32 v84, 0xffff, v80
	v_or_b32_e32 v90, 0x10000, v80
	s_delay_alu instid0(VALU_DEP_2) | instskip(NEXT) | instid1(VALU_DEP_2)
	v_cmp_eq_u32_e32 vcc_lo, 0, v84
	v_cndmask_b32_e32 v84, v90, v80, vcc_lo
; %bb.44:
	s_or_b32 exec_lo, exec_lo, s3
	s_load_b64 s[34:35], s[0:1], 0x94
	v_lshlrev_b32_e32 v91, 4, v74
	s_delay_alu instid0(VALU_DEP_2)
	v_perm_b32 v90, v84, v87, 0x7060302
	v_dual_mul_f32 v79, v82, v79 :: v_dual_lshlrev_b32 v80, 6, v65
	v_dual_mul_f32 v77, v82, v77 :: v_dual_lshlrev_b32 v92, 11, v66
	v_mul_f32_e32 v84, v82, v70
	v_perm_b32 v89, v88, v89, 0x7060302
	v_perm_b32 v88, v86, v85, 0x7060302
	;; [unrolled: 1-line block ×3, first 2 shown]
	v_mul_f32_e32 v70, v82, v81
	v_or3_b32 v76, v91, v92, v80
	v_dual_mul_f32 v78, v82, v78 :: v_dual_and_b32 v85, 0x7f800000, v84
	v_mul_f32_e32 v83, v82, v72
	v_mul_f32_e32 v81, v82, v71
	;; [unrolled: 1-line block ×3, first 2 shown]
	s_mov_b32 s3, exec_lo
	ds_store_b128 v76, v[87:90]
                                        ; implicit-def: $vgpr69
	v_cmpx_ne_u32_e32 0x7f800000, v85
	s_xor_b32 s3, exec_lo, s3
; %bb.45:
	v_bfe_u32 v69, v84, 16, 1
	s_delay_alu instid0(VALU_DEP_1)
	v_add3_u32 v69, v84, v69, 0x7fff
                                        ; implicit-def: $vgpr84
; %bb.46:
	s_and_not1_saveexec_b32 s3, s3
; %bb.47:
	v_and_b32_e32 v69, 0xffff, v84
	v_or_b32_e32 v71, 0x10000, v84
	s_delay_alu instid0(VALU_DEP_2) | instskip(NEXT) | instid1(VALU_DEP_2)
	v_cmp_eq_u32_e32 vcc_lo, 0, v69
	v_cndmask_b32_e32 v69, v71, v84, vcc_lo
; %bb.48:
	s_or_b32 exec_lo, exec_lo, s3
	v_and_b32_e32 v71, 0x7f800000, v72
	s_delay_alu instid0(VALU_DEP_1) | instskip(SKIP_1) | instid1(SALU_CYCLE_1)
	v_cmp_ne_u32_e32 vcc_lo, 0x7f800000, v71
                                        ; implicit-def: $vgpr71
	s_and_saveexec_b32 s3, vcc_lo
	s_xor_b32 s3, exec_lo, s3
; %bb.49:
	v_bfe_u32 v71, v72, 16, 1
	s_delay_alu instid0(VALU_DEP_1)
	v_add3_u32 v71, v72, v71, 0x7fff
                                        ; implicit-def: $vgpr72
; %bb.50:
	s_and_not1_saveexec_b32 s3, s3
; %bb.51:
	v_and_b32_e32 v71, 0xffff, v72
	v_or_b32_e32 v82, 0x10000, v72
	s_delay_alu instid0(VALU_DEP_2) | instskip(NEXT) | instid1(VALU_DEP_2)
	v_cmp_eq_u32_e32 vcc_lo, 0, v71
	v_cndmask_b32_e32 v71, v82, v72, vcc_lo
; %bb.52:
	s_or_b32 exec_lo, exec_lo, s3
	v_and_b32_e32 v72, 0x7f800000, v81
	s_delay_alu instid0(VALU_DEP_1) | instskip(SKIP_1) | instid1(SALU_CYCLE_1)
	v_cmp_ne_u32_e32 vcc_lo, 0x7f800000, v72
                                        ; implicit-def: $vgpr72
	s_and_saveexec_b32 s3, vcc_lo
	s_xor_b32 s3, exec_lo, s3
; %bb.53:
	v_bfe_u32 v72, v81, 16, 1
	s_delay_alu instid0(VALU_DEP_1)
	v_add3_u32 v72, v81, v72, 0x7fff
                                        ; implicit-def: $vgpr81
; %bb.54:
	s_and_not1_saveexec_b32 s3, s3
; %bb.55:
	v_and_b32_e32 v72, 0xffff, v81
	v_or_b32_e32 v82, 0x10000, v81
	s_delay_alu instid0(VALU_DEP_2) | instskip(NEXT) | instid1(VALU_DEP_2)
	v_cmp_eq_u32_e32 vcc_lo, 0, v72
	v_cndmask_b32_e32 v72, v82, v81, vcc_lo
; %bb.56:
	s_or_b32 exec_lo, exec_lo, s3
	v_and_b32_e32 v81, 0x7f800000, v83
	s_delay_alu instid0(VALU_DEP_1) | instskip(SKIP_1) | instid1(SALU_CYCLE_1)
	v_cmp_ne_u32_e32 vcc_lo, 0x7f800000, v81
                                        ; implicit-def: $vgpr81
	s_and_saveexec_b32 s3, vcc_lo
	s_xor_b32 s3, exec_lo, s3
; %bb.57:
	v_bfe_u32 v81, v83, 16, 1
	s_delay_alu instid0(VALU_DEP_1)
	v_add3_u32 v81, v83, v81, 0x7fff
                                        ; implicit-def: $vgpr83
; %bb.58:
	s_and_not1_saveexec_b32 s3, s3
; %bb.59:
	v_and_b32_e32 v81, 0xffff, v83
	v_or_b32_e32 v82, 0x10000, v83
	s_delay_alu instid0(VALU_DEP_2) | instskip(NEXT) | instid1(VALU_DEP_2)
	v_cmp_eq_u32_e32 vcc_lo, 0, v81
	v_cndmask_b32_e32 v81, v82, v83, vcc_lo
; %bb.60:
	s_or_b32 exec_lo, exec_lo, s3
	v_and_b32_e32 v82, 0x7f800000, v77
	s_delay_alu instid0(VALU_DEP_1) | instskip(SKIP_1) | instid1(SALU_CYCLE_1)
	v_cmp_ne_u32_e32 vcc_lo, 0x7f800000, v82
                                        ; implicit-def: $vgpr82
	s_and_saveexec_b32 s3, vcc_lo
	s_xor_b32 s3, exec_lo, s3
; %bb.61:
	v_bfe_u32 v82, v77, 16, 1
	s_delay_alu instid0(VALU_DEP_1)
	v_add3_u32 v82, v77, v82, 0x7fff
                                        ; implicit-def: $vgpr77
; %bb.62:
	s_and_not1_saveexec_b32 s3, s3
; %bb.63:
	v_and_b32_e32 v82, 0xffff, v77
	v_or_b32_e32 v83, 0x10000, v77
	s_delay_alu instid0(VALU_DEP_2) | instskip(NEXT) | instid1(VALU_DEP_2)
	v_cmp_eq_u32_e32 vcc_lo, 0, v82
	v_cndmask_b32_e32 v82, v83, v77, vcc_lo
; %bb.64:
	s_or_b32 exec_lo, exec_lo, s3
	v_and_b32_e32 v77, 0x7f800000, v78
	s_delay_alu instid0(VALU_DEP_1) | instskip(SKIP_1) | instid1(SALU_CYCLE_1)
	v_cmp_ne_u32_e32 vcc_lo, 0x7f800000, v77
                                        ; implicit-def: $vgpr77
	s_and_saveexec_b32 s3, vcc_lo
	s_xor_b32 s3, exec_lo, s3
; %bb.65:
	v_bfe_u32 v77, v78, 16, 1
	s_delay_alu instid0(VALU_DEP_1)
	v_add3_u32 v77, v78, v77, 0x7fff
                                        ; implicit-def: $vgpr78
; %bb.66:
	s_and_not1_saveexec_b32 s3, s3
; %bb.67:
	v_and_b32_e32 v77, 0xffff, v78
	v_or_b32_e32 v83, 0x10000, v78
	s_delay_alu instid0(VALU_DEP_2) | instskip(NEXT) | instid1(VALU_DEP_2)
	v_cmp_eq_u32_e32 vcc_lo, 0, v77
	v_cndmask_b32_e32 v77, v83, v78, vcc_lo
; %bb.68:
	s_or_b32 exec_lo, exec_lo, s3
	v_and_b32_e32 v78, 0x7f800000, v79
	s_delay_alu instid0(VALU_DEP_1) | instskip(SKIP_1) | instid1(SALU_CYCLE_1)
	v_cmp_ne_u32_e32 vcc_lo, 0x7f800000, v78
                                        ; implicit-def: $vgpr78
	s_and_saveexec_b32 s3, vcc_lo
	s_xor_b32 s3, exec_lo, s3
; %bb.69:
	v_bfe_u32 v78, v79, 16, 1
	s_delay_alu instid0(VALU_DEP_1)
	v_add3_u32 v78, v79, v78, 0x7fff
                                        ; implicit-def: $vgpr79
; %bb.70:
	s_and_not1_saveexec_b32 s3, s3
; %bb.71:
	v_and_b32_e32 v78, 0xffff, v79
	v_or_b32_e32 v83, 0x10000, v79
	s_delay_alu instid0(VALU_DEP_2) | instskip(NEXT) | instid1(VALU_DEP_2)
	v_cmp_eq_u32_e32 vcc_lo, 0, v78
	v_cndmask_b32_e32 v78, v83, v79, vcc_lo
; %bb.72:
	s_or_b32 exec_lo, exec_lo, s3
	v_and_b32_e32 v79, 0x7f800000, v70
	s_delay_alu instid0(VALU_DEP_1) | instskip(SKIP_1) | instid1(SALU_CYCLE_1)
	v_cmp_ne_u32_e32 vcc_lo, 0x7f800000, v79
                                        ; implicit-def: $vgpr79
	s_and_saveexec_b32 s3, vcc_lo
	s_xor_b32 s3, exec_lo, s3
; %bb.73:
	v_bfe_u32 v79, v70, 16, 1
	s_delay_alu instid0(VALU_DEP_1)
	v_add3_u32 v79, v70, v79, 0x7fff
                                        ; implicit-def: $vgpr70
; %bb.74:
	s_and_not1_saveexec_b32 s3, s3
; %bb.75:
	v_and_b32_e32 v79, 0xffff, v70
	v_or_b32_e32 v83, 0x10000, v70
	s_delay_alu instid0(VALU_DEP_2) | instskip(NEXT) | instid1(VALU_DEP_2)
	v_cmp_eq_u32_e32 vcc_lo, 0, v79
	v_cndmask_b32_e32 v79, v83, v70, vcc_lo
; %bb.76:
	s_or_b32 exec_lo, exec_lo, s3
	s_delay_alu instid0(VALU_DEP_1)
	v_perm_b32 v86, v79, v78, 0x7060302
	v_perm_b32 v85, v77, v82, 0x7060302
	;; [unrolled: 1-line block ×4, first 2 shown]
	v_lshl_or_b32 v82, v66, 11, v80
	ds_store_b128 v76, v[83:86] offset:1024
	s_waitcnt lgkmcnt(0)
	s_barrier
	buffer_gl0_inv
	ds_load_b128 v[69:72], v82
	ds_load_b128 v[83:86], v82 offset:16
	s_waitcnt lgkmcnt(1)
	v_lshrrev_b32_e32 v66, 16, v69
	s_waitcnt lgkmcnt(0)
	v_lshrrev_b32_e32 v91, 16, v83
	v_lshlrev_b32_e32 v78, 2, v74
	v_lshrrev_b32_e32 v95, 16, v70
	v_lshrrev_b32_e32 v98, 16, v84
	;; [unrolled: 1-line block ×4, first 2 shown]
	v_cmp_eq_u32_e32 vcc_lo, 1, v78
	v_lshrrev_b32_e32 v97, 16, v72
	v_lshrrev_b32_e32 v100, 16, v86
	v_cndmask_b32_e32 v87, v83, v91, vcc_lo
	v_or_b32_e32 v79, 1, v78
	v_cndmask_b32_e32 v81, v69, v66, vcc_lo
	v_cmp_eq_u32_e64 s4, 2, v78
	v_cmp_eq_u32_e64 s7, 3, v78
	;; [unrolled: 1-line block ×5, first 2 shown]
	v_cndmask_b32_e64 v81, v81, v70, s4
	v_cndmask_b32_e64 v87, v87, v84, s4
	v_cmp_eq_u32_e64 s8, 3, v79
	v_cndmask_b32_e64 v88, v69, v66, s3
	v_or_b32_e32 v77, 2, v78
	v_cndmask_b32_e64 v81, v81, v95, s7
	v_cndmask_b32_e64 v87, v87, v98, s7
	;; [unrolled: 1-line block ×4, first 2 shown]
	v_cmp_eq_u32_e64 s10, 5, v78
	v_cndmask_b32_e64 v81, v81, v71, s9
	v_cndmask_b32_e64 v87, v87, v85, s9
	v_cmp_eq_u32_e64 s11, 4, v79
	v_cndmask_b32_e64 v88, v88, v95, s8
	v_cmp_eq_u32_e64 s5, 1, v77
	v_cndmask_b32_e64 v89, v89, v84, s6
	v_cndmask_b32_e64 v81, v81, v96, s10
	v_cmp_eq_u32_e64 s12, 6, v78
	v_cndmask_b32_e64 v88, v88, v71, s11
	;; [unrolled: 3-line block ×3, first 2 shown]
	v_cndmask_b32_e64 v89, v89, v98, s8
	v_cndmask_b32_e64 v81, v81, v72, s12
	v_cmp_eq_u32_e64 s15, 7, v78
	v_cndmask_b32_e64 v88, v88, v96, s13
	v_cndmask_b32_e64 v87, v87, v86, s12
	v_cmp_eq_u32_e64 s16, 6, v79
	v_cmp_eq_u32_e64 s17, 2, v77
	v_cndmask_b32_e64 v89, v89, v85, s11
	v_cndmask_b32_e64 v101, v81, v97, s15
	;; [unrolled: 1-line block ×6, first 2 shown]
	v_cmp_eq_u32_e64 s18, 7, v79
	v_cmp_eq_u32_e64 s19, 3, v77
	;; [unrolled: 1-line block ×4, first 2 shown]
	v_cndmask_b32_e64 v87, v87, v84, s17
	v_cndmask_b32_e64 v103, v88, v97, s18
	;; [unrolled: 1-line block ×4, first 2 shown]
	v_or_b32_e32 v81, 3, v78
	v_cndmask_b32_e64 v93, v87, v98, s19
	v_cmp_eq_u32_e64 s24, 6, v77
	v_cndmask_b32_e64 v104, v88, v86, s16
	v_cndmask_b32_e64 v92, v89, v71, s20
	v_cmp_eq_u32_e64 s21, 1, v81
	ds_load_b128 v[87:90], v82 offset:1024
	v_cmp_eq_u32_e64 s23, 2, v81
	v_cmp_eq_u32_e64 s25, 3, v81
	v_cndmask_b32_e64 v105, v92, v96, s22
	v_cndmask_b32_e64 v66, v69, v66, s21
	;; [unrolled: 1-line block ×4, first 2 shown]
	ds_load_b128 v[91:94], v82 offset:1040
	v_cmp_eq_u32_e64 s26, 4, v81
	v_cndmask_b32_e64 v66, v66, v70, s23
	v_cmp_eq_u32_e64 s27, 7, v77
	v_cndmask_b32_e64 v70, v83, v84, s23
	v_cndmask_b32_e64 v84, v105, v72, s24
	v_cmp_eq_u32_e64 s28, 5, v81
	v_cndmask_b32_e64 v66, v66, v95, s25
	v_cmp_eq_u32_e64 s29, 6, v81
	v_cndmask_b32_e64 v70, v70, v98, s25
	v_cndmask_b32_e64 v69, v69, v99, s22
	;; [unrolled: 1-line block ×4, first 2 shown]
	s_waitcnt lgkmcnt(1)
	v_lshrrev_b32_e32 v95, 16, v87
	v_cndmask_b32_e64 v70, v70, v85, s26
	v_cndmask_b32_e64 v71, v84, v97, s27
	;; [unrolled: 1-line block ×4, first 2 shown]
	v_cndmask_b32_e32 v84, v87, v95, vcc_lo
	v_cndmask_b32_e64 v70, v70, v99, s28
	s_waitcnt lgkmcnt(0)
	v_lshrrev_b32_e32 v85, 16, v91
	v_lshrrev_b32_e32 v96, 16, v88
	v_cndmask_b32_e64 v98, v87, v95, s3
	v_cndmask_b32_e64 v84, v84, v88, s4
	;; [unrolled: 1-line block ×3, first 2 shown]
	v_cndmask_b32_e32 v99, v91, v85, vcc_lo
	v_cmp_eq_u32_e32 vcc_lo, 7, v81
	v_cndmask_b32_e64 v66, v66, v72, s29
	v_cndmask_b32_e64 v72, v84, v96, s7
	;; [unrolled: 1-line block ×3, first 2 shown]
	v_lshrrev_b32_e32 v98, 16, v92
	v_cndmask_b32_e32 v70, v70, v100, vcc_lo
	v_cndmask_b32_e64 v86, v99, v92, s4
	v_cndmask_b32_e64 v69, v69, v100, s27
	v_lshrrev_b32_e32 v100, 16, v93
	v_cndmask_b32_e64 v72, v72, v89, s9
	v_lshrrev_b32_e32 v99, 16, v89
	v_cndmask_b32_e64 v86, v86, v98, s7
	v_perm_b32 v71, v69, v71, 0x5040100
	v_cndmask_b32_e64 v84, v84, v96, s8
	s_delay_alu instid0(VALU_DEP_3) | instskip(NEXT) | instid1(VALU_DEP_2)
	v_cndmask_b32_e64 v86, v86, v93, s9
	v_cndmask_b32_e64 v84, v84, v89, s11
	s_delay_alu instid0(VALU_DEP_2) | instskip(NEXT) | instid1(VALU_DEP_1)
	v_cndmask_b32_e64 v86, v86, v100, s10
	v_cndmask_b32_e64 v69, v86, v94, s12
	;; [unrolled: 1-line block ×5, first 2 shown]
	s_delay_alu instid0(VALU_DEP_3) | instskip(NEXT) | instid1(VALU_DEP_3)
	v_cndmask_b32_e64 v86, v86, v88, s17
	v_cndmask_b32_e64 v87, v87, v88, s23
	s_delay_alu instid0(VALU_DEP_3) | instskip(NEXT) | instid1(VALU_DEP_3)
	v_cndmask_b32_e64 v88, v95, v92, s23
	v_cndmask_b32_e64 v86, v86, v96, s19
	;; [unrolled: 3-line block ×7, first 2 shown]
	s_delay_alu instid0(VALU_DEP_3) | instskip(SKIP_2) | instid1(VALU_DEP_2)
	v_cndmask_b32_e64 v88, v88, v94, s29
	v_cndmask_b32_e32 v66, v66, v97, vcc_lo
	v_cndmask_b32_e64 v97, v72, v99, s10
	v_perm_b32 v72, v70, v66, 0x5040100
	v_perm_b32 v70, v83, v103, 0x5040100
	v_cndmask_b32_e64 v103, v91, v85, s5
	v_cndmask_b32_e64 v85, v91, v85, s3
	;; [unrolled: 1-line block ×4, first 2 shown]
	v_lshrrev_b32_e32 v97, 16, v90
	v_cndmask_b32_e64 v91, v103, v92, s17
	v_cndmask_b32_e64 v85, v85, v92, s6
	;; [unrolled: 1-line block ×3, first 2 shown]
	s_mov_b32 s3, exec_lo
	v_cndmask_b32_e64 v83, v84, v97, s15
	v_cndmask_b32_e64 v91, v91, v98, s19
	v_cndmask_b32_e64 v85, v85, v98, s8
	v_lshrrev_b32_e32 v84, 16, v94
	v_cndmask_b32_e64 v66, v66, v97, s18
	v_cndmask_b32_e64 v90, v86, v97, s27
	;; [unrolled: 1-line block ×4, first 2 shown]
	v_dual_cndmask_b32 v86, v87, v97 :: v_dual_cndmask_b32 v87, v88, v84
	v_cndmask_b32_e64 v91, v69, v84, s15
	s_delay_alu instid0(VALU_DEP_4) | instskip(NEXT) | instid1(VALU_DEP_4)
	v_cndmask_b32_e64 v89, v89, v100, s22
	v_cndmask_b32_e64 v85, v85, v100, s13
	v_perm_b32 v69, v102, v101, 0x5040100
	v_perm_b32 v86, v87, v86, 0x5040100
	;; [unrolled: 1-line block ×3, first 2 shown]
	v_cndmask_b32_e64 v89, v89, v94, s24
	v_cndmask_b32_e64 v85, v85, v94, s16
	s_mul_i32 s8, s35, 3
	s_delay_alu instid0(VALU_DEP_2) | instskip(NEXT) | instid1(VALU_DEP_2)
	v_cndmask_b32_e64 v88, v89, v84, s27
	v_cndmask_b32_e64 v89, v85, v84, s18
	s_delay_alu instid0(VALU_DEP_2) | instskip(NEXT) | instid1(VALU_DEP_2)
	v_perm_b32 v85, v88, v90, 0x5040100
	v_perm_b32 v84, v89, v66, 0x5040100
	ds_store_b128 v76, v[69:72]
	ds_store_b128 v76, v[83:86] offset:1024
	v_cmpx_gt_u32_e32 3, v0
	s_cbranch_execz .LBB1644_78
; %bb.77:
	s_mul_i32 s4, s8, s30
	s_delay_alu instid0(SALU_CYCLE_1) | instskip(SKIP_1) | instid1(VALU_DEP_1)
	v_add3_u32 v69, s4, s31, v65
	s_load_b128 s[4:7], s[0:1], 0x58
	v_mad_u64_u32 v[65:66], null, v69, s34, s[14:15]
	s_delay_alu instid0(VALU_DEP_1) | instskip(NEXT) | instid1(VALU_DEP_1)
	v_ashrrev_i32_e32 v66, 31, v65
	v_lshlrev_b64 v[65:66], 2, v[65:66]
	s_waitcnt lgkmcnt(0)
	s_delay_alu instid0(VALU_DEP_1) | instskip(NEXT) | instid1(VALU_DEP_2)
	v_add_co_u32 v69, vcc_lo, s6, v65
	v_add_co_ci_u32_e32 v70, vcc_lo, s7, v66, vcc_lo
	v_add_co_u32 v65, vcc_lo, s4, v65
	v_add_co_ci_u32_e32 v66, vcc_lo, s5, v66, vcc_lo
	global_store_b32 v[69:70], v67, off
	global_store_b32 v[65:66], v68, off
.LBB1644_78:
	s_or_b32 exec_lo, exec_lo, s3
	s_waitcnt lgkmcnt(0)
	s_waitcnt_vscnt null, 0x0
	s_barrier
	buffer_gl0_inv
	ds_load_b128 v[83:86], v80
	ds_load_b128 v[87:90], v80 offset:16
	ds_load_b128 v[95:98], v80 offset:2064
	;; [unrolled: 1-line block ×3, first 2 shown]
	v_mov_b32_e32 v65, 0
	ds_load_b128 v[103:106], v80 offset:4112
	ds_load_b128 v[99:102], v80 offset:4096
	;; [unrolled: 1-line block ×4, first 2 shown]
	v_mov_b32_e32 v66, v65
	v_mov_b32_e32 v67, v65
	;; [unrolled: 1-line block ×7, first 2 shown]
	s_waitcnt lgkmcnt(6)
	s_delay_alu instid0(VALU_DEP_1)
	v_wmma_f32_16x16x16_bf16 v[65:72], v[41:48], v[83:90], v[65:72]
	ds_load_b128 v[45:48], v80 offset:8208
	ds_load_b128 v[41:44], v80 offset:8192
	s_waitcnt lgkmcnt(6)
	v_wmma_f32_16x16x16_bf16 v[65:72], v[33:40], v[91:98], v[65:72]
	ds_load_b128 v[37:40], v80 offset:10256
	ds_load_b128 v[33:36], v80 offset:10240
	s_waitcnt lgkmcnt(6)
	v_wmma_f32_16x16x16_bf16 v[65:72], v[25:32], v[99:106], v[65:72]
	ds_load_b128 v[29:32], v80 offset:12304
	ds_load_b128 v[25:28], v80 offset:12288
	s_waitcnt lgkmcnt(6)
	v_wmma_f32_16x16x16_bf16 v[65:72], v[17:24], v[107:114], v[65:72]
	ds_load_b128 v[21:24], v80 offset:14352
	ds_load_b128 v[17:20], v80 offset:14336
	s_waitcnt lgkmcnt(6)
	v_wmma_f32_16x16x16_bf16 v[65:72], v[1:8], v[41:48], v[65:72]
	s_waitcnt lgkmcnt(4)
	s_delay_alu instid0(VALU_DEP_1) | instskip(SKIP_1) | instid1(VALU_DEP_1)
	v_wmma_f32_16x16x16_bf16 v[65:72], v[9:16], v[33:40], v[65:72]
	s_waitcnt lgkmcnt(2)
	v_wmma_f32_16x16x16_bf16 v[65:72], v[57:64], v[25:32], v[65:72]
	s_waitcnt lgkmcnt(0)
	s_delay_alu instid0(VALU_DEP_1) | instskip(NEXT) | instid1(VALU_DEP_1)
	v_wmma_f32_16x16x16_bf16 v[65:72], v[49:56], v[17:24], v[65:72]
	v_and_b32_e32 v1, 0x7f800000, v65
	s_delay_alu instid0(VALU_DEP_1) | instskip(SKIP_1) | instid1(SALU_CYCLE_1)
	v_cmp_ne_u32_e32 vcc_lo, 0x7f800000, v1
                                        ; implicit-def: $vgpr1
	s_and_saveexec_b32 s3, vcc_lo
	s_xor_b32 s3, exec_lo, s3
; %bb.79:
	v_bfe_u32 v1, v65, 16, 1
	s_delay_alu instid0(VALU_DEP_1)
	v_add3_u32 v1, v65, v1, 0x7fff
; %bb.80:
	s_and_not1_saveexec_b32 s3, s3
; %bb.81:
	v_and_b32_e32 v1, 0xffff, v65
	v_or_b32_e32 v2, 0x10000, v65
	s_delay_alu instid0(VALU_DEP_2) | instskip(NEXT) | instid1(VALU_DEP_2)
	v_cmp_eq_u32_e32 vcc_lo, 0, v1
	v_cndmask_b32_e32 v1, v2, v65, vcc_lo
; %bb.82:
	s_or_b32 exec_lo, exec_lo, s3
	v_and_b32_e32 v2, 0x7f800000, v66
	s_delay_alu instid0(VALU_DEP_1) | instskip(SKIP_1) | instid1(SALU_CYCLE_1)
	v_cmp_ne_u32_e32 vcc_lo, 0x7f800000, v2
                                        ; implicit-def: $vgpr2
	s_and_saveexec_b32 s3, vcc_lo
	s_xor_b32 s3, exec_lo, s3
; %bb.83:
	v_bfe_u32 v2, v66, 16, 1
	s_delay_alu instid0(VALU_DEP_1)
	v_add3_u32 v2, v66, v2, 0x7fff
; %bb.84:
	s_and_not1_saveexec_b32 s3, s3
; %bb.85:
	v_and_b32_e32 v2, 0xffff, v66
	v_or_b32_e32 v3, 0x10000, v66
	s_delay_alu instid0(VALU_DEP_2) | instskip(NEXT) | instid1(VALU_DEP_2)
	v_cmp_eq_u32_e32 vcc_lo, 0, v2
	v_cndmask_b32_e32 v2, v3, v66, vcc_lo
; %bb.86:
	s_or_b32 exec_lo, exec_lo, s3
	v_and_b32_e32 v3, 0x7f800000, v67
	s_delay_alu instid0(VALU_DEP_1) | instskip(SKIP_1) | instid1(SALU_CYCLE_1)
	v_cmp_ne_u32_e32 vcc_lo, 0x7f800000, v3
                                        ; implicit-def: $vgpr3
	s_and_saveexec_b32 s3, vcc_lo
	s_xor_b32 s3, exec_lo, s3
; %bb.87:
	v_bfe_u32 v3, v67, 16, 1
	s_delay_alu instid0(VALU_DEP_1)
	v_add3_u32 v3, v67, v3, 0x7fff
; %bb.88:
	s_and_not1_saveexec_b32 s3, s3
; %bb.89:
	v_and_b32_e32 v3, 0xffff, v67
	v_or_b32_e32 v4, 0x10000, v67
	s_delay_alu instid0(VALU_DEP_2) | instskip(NEXT) | instid1(VALU_DEP_2)
	v_cmp_eq_u32_e32 vcc_lo, 0, v3
	v_cndmask_b32_e32 v3, v4, v67, vcc_lo
; %bb.90:
	s_or_b32 exec_lo, exec_lo, s3
	v_and_b32_e32 v4, 0x7f800000, v68
	s_delay_alu instid0(VALU_DEP_1) | instskip(SKIP_1) | instid1(SALU_CYCLE_1)
	v_cmp_ne_u32_e32 vcc_lo, 0x7f800000, v4
                                        ; implicit-def: $vgpr4
	s_and_saveexec_b32 s3, vcc_lo
	s_xor_b32 s3, exec_lo, s3
; %bb.91:
	v_bfe_u32 v4, v68, 16, 1
	s_delay_alu instid0(VALU_DEP_1)
	v_add3_u32 v4, v68, v4, 0x7fff
; %bb.92:
	s_and_not1_saveexec_b32 s3, s3
; %bb.93:
	v_and_b32_e32 v4, 0xffff, v68
	v_or_b32_e32 v5, 0x10000, v68
	s_delay_alu instid0(VALU_DEP_2) | instskip(NEXT) | instid1(VALU_DEP_2)
	v_cmp_eq_u32_e32 vcc_lo, 0, v4
	v_cndmask_b32_e32 v4, v5, v68, vcc_lo
; %bb.94:
	s_or_b32 exec_lo, exec_lo, s3
	v_and_b32_e32 v5, 0x7f800000, v69
	s_delay_alu instid0(VALU_DEP_1) | instskip(SKIP_1) | instid1(SALU_CYCLE_1)
	v_cmp_ne_u32_e32 vcc_lo, 0x7f800000, v5
                                        ; implicit-def: $vgpr5
	s_and_saveexec_b32 s3, vcc_lo
	s_xor_b32 s3, exec_lo, s3
; %bb.95:
	v_bfe_u32 v5, v69, 16, 1
	s_delay_alu instid0(VALU_DEP_1)
	v_add3_u32 v5, v69, v5, 0x7fff
; %bb.96:
	s_and_not1_saveexec_b32 s3, s3
; %bb.97:
	v_and_b32_e32 v5, 0xffff, v69
	v_or_b32_e32 v6, 0x10000, v69
	s_delay_alu instid0(VALU_DEP_2) | instskip(NEXT) | instid1(VALU_DEP_2)
	v_cmp_eq_u32_e32 vcc_lo, 0, v5
	v_cndmask_b32_e32 v5, v6, v69, vcc_lo
; %bb.98:
	s_or_b32 exec_lo, exec_lo, s3
	v_and_b32_e32 v6, 0x7f800000, v70
	s_delay_alu instid0(VALU_DEP_1) | instskip(SKIP_1) | instid1(SALU_CYCLE_1)
	v_cmp_ne_u32_e32 vcc_lo, 0x7f800000, v6
                                        ; implicit-def: $vgpr6
	s_and_saveexec_b32 s3, vcc_lo
	s_xor_b32 s3, exec_lo, s3
; %bb.99:
	v_bfe_u32 v6, v70, 16, 1
	s_delay_alu instid0(VALU_DEP_1)
	v_add3_u32 v6, v70, v6, 0x7fff
; %bb.100:
	s_and_not1_saveexec_b32 s3, s3
; %bb.101:
	v_and_b32_e32 v6, 0xffff, v70
	v_or_b32_e32 v7, 0x10000, v70
	s_delay_alu instid0(VALU_DEP_2) | instskip(NEXT) | instid1(VALU_DEP_2)
	v_cmp_eq_u32_e32 vcc_lo, 0, v6
	v_cndmask_b32_e32 v6, v7, v70, vcc_lo
; %bb.102:
	s_or_b32 exec_lo, exec_lo, s3
	v_and_b32_e32 v7, 0x7f800000, v71
	s_delay_alu instid0(VALU_DEP_1) | instskip(SKIP_1) | instid1(SALU_CYCLE_1)
	v_cmp_ne_u32_e32 vcc_lo, 0x7f800000, v7
                                        ; implicit-def: $vgpr7
	s_and_saveexec_b32 s3, vcc_lo
	s_xor_b32 s3, exec_lo, s3
; %bb.103:
	v_bfe_u32 v7, v71, 16, 1
	s_delay_alu instid0(VALU_DEP_1)
	v_add3_u32 v7, v71, v7, 0x7fff
; %bb.104:
	s_and_not1_saveexec_b32 s3, s3
; %bb.105:
	v_and_b32_e32 v7, 0xffff, v71
	v_or_b32_e32 v8, 0x10000, v71
	s_delay_alu instid0(VALU_DEP_2) | instskip(NEXT) | instid1(VALU_DEP_2)
	v_cmp_eq_u32_e32 vcc_lo, 0, v7
	v_cndmask_b32_e32 v7, v8, v71, vcc_lo
; %bb.106:
	s_or_b32 exec_lo, exec_lo, s3
	v_and_b32_e32 v8, 0x7f800000, v72
	s_delay_alu instid0(VALU_DEP_1) | instskip(SKIP_1) | instid1(SALU_CYCLE_1)
	v_cmp_ne_u32_e32 vcc_lo, 0x7f800000, v8
                                        ; implicit-def: $vgpr8
	s_and_saveexec_b32 s3, vcc_lo
	s_xor_b32 s3, exec_lo, s3
; %bb.107:
	v_bfe_u32 v8, v72, 16, 1
	s_delay_alu instid0(VALU_DEP_1)
	v_add3_u32 v8, v72, v8, 0x7fff
                                        ; implicit-def: $vgpr65_vgpr66_vgpr67_vgpr68_vgpr69_vgpr70_vgpr71_vgpr72
; %bb.108:
	s_and_not1_saveexec_b32 s3, s3
; %bb.109:
	v_and_b32_e32 v8, 0xffff, v72
	v_or_b32_e32 v9, 0x10000, v72
	s_delay_alu instid0(VALU_DEP_2) | instskip(NEXT) | instid1(VALU_DEP_2)
	v_cmp_eq_u32_e32 vcc_lo, 0, v8
	v_cndmask_b32_e32 v8, v9, v72, vcc_lo
; %bb.110:
	s_or_b32 exec_lo, exec_lo, s3
	s_delay_alu instid0(VALU_DEP_1)
	v_perm_b32 v7, v8, v7, 0x7060302
	v_perm_b32 v6, v6, v5, 0x7060302
	;; [unrolled: 1-line block ×4, first 2 shown]
	s_barrier
	buffer_gl0_inv
	v_cmp_eq_u32_e32 vcc_lo, 1, v78
	ds_store_b128 v76, v[4:7]
	s_waitcnt lgkmcnt(0)
	s_barrier
	buffer_gl0_inv
	ds_load_b128 v[1:4], v82
	ds_load_b128 v[5:8], v82 offset:16
	v_cmp_eq_u32_e64 s3, 1, v79
	v_cmp_eq_u32_e64 s4, 2, v78
	;; [unrolled: 1-line block ×5, first 2 shown]
	s_waitcnt lgkmcnt(1)
	v_lshrrev_b32_e32 v9, 16, v1
	s_waitcnt lgkmcnt(0)
	v_lshrrev_b32_e32 v13, 16, v5
	v_lshrrev_b32_e32 v10, 16, v2
	;; [unrolled: 1-line block ×4, first 2 shown]
	v_cndmask_b32_e64 v19, v1, v9, s3
	v_cndmask_b32_e32 v18, v5, v13, vcc_lo
	v_cndmask_b32_e64 v20, v5, v13, s3
	v_cndmask_b32_e32 v17, v1, v9, vcc_lo
	v_cmp_eq_u32_e32 vcc_lo, 2, v79
	v_lshrrev_b32_e32 v15, 16, v7
	v_cmp_eq_u32_e64 s3, 1, v77
	v_lshrrev_b32_e32 v12, 16, v4
	v_lshrrev_b32_e32 v16, 16, v8
	v_cndmask_b32_e32 v20, v20, v6, vcc_lo
	v_cndmask_b32_e64 v17, v17, v2, s4
	v_cndmask_b32_e32 v19, v19, v2, vcc_lo
	v_cndmask_b32_e64 v18, v18, v6, s4
	v_cmp_eq_u32_e32 vcc_lo, 4, v78
	v_cmp_eq_u32_e64 s4, 3, v79
	v_cndmask_b32_e64 v17, v17, v10, s5
	v_cndmask_b32_e64 v21, v1, v9, s3
	;; [unrolled: 1-line block ×5, first 2 shown]
	v_cndmask_b32_e32 v17, v17, v3, vcc_lo
	v_cndmask_b32_e64 v20, v20, v14, s4
	v_cndmask_b32_e32 v18, v18, v7, vcc_lo
	v_cmp_eq_u32_e32 vcc_lo, 4, v79
	v_cmp_eq_u32_e64 s4, 5, v79
	v_cmp_eq_u32_e64 s3, 2, v81
	v_cndmask_b32_e64 v21, v21, v2, s7
	v_cmp_eq_u32_e64 s5, 5, v78
	v_cndmask_b32_e32 v19, v19, v3, vcc_lo
	v_cndmask_b32_e32 v20, v20, v7, vcc_lo
	v_cmp_eq_u32_e32 vcc_lo, 6, v79
	s_delay_alu instid0(VALU_DEP_4) | instskip(NEXT) | instid1(VALU_DEP_4)
	v_cndmask_b32_e64 v17, v17, v11, s5
	v_cndmask_b32_e64 v19, v19, v11, s4
	s_delay_alu instid0(VALU_DEP_4) | instskip(SKIP_1) | instid1(VALU_DEP_3)
	v_cndmask_b32_e64 v20, v20, v15, s4
	v_cmp_eq_u32_e64 s4, 1, v81
	v_cndmask_b32_e32 v19, v19, v4, vcc_lo
	v_cndmask_b32_e64 v18, v18, v15, s5
	s_delay_alu instid0(VALU_DEP_3)
	v_cndmask_b32_e64 v1, v1, v9, s4
	v_cndmask_b32_e64 v5, v5, v13, s4
	v_cmp_eq_u32_e64 s4, 3, v77
	v_cndmask_b32_e64 v13, v22, v6, s7
	v_cmp_eq_u32_e64 s7, 3, v81
	v_cndmask_b32_e64 v1, v1, v2, s3
	v_cndmask_b32_e64 v2, v5, v6, s3
	;; [unrolled: 1-line block ×3, first 2 shown]
	v_cmp_eq_u32_e64 s3, 4, v77
	v_cndmask_b32_e64 v6, v13, v14, s4
	v_cndmask_b32_e64 v1, v1, v10, s7
	v_cmp_eq_u32_e64 s4, 4, v81
	v_cndmask_b32_e64 v2, v2, v14, s7
	v_cndmask_b32_e64 v5, v9, v3, s3
	;; [unrolled: 3-line block ×3, first 2 shown]
	v_cndmask_b32_e64 v2, v2, v7, s4
	v_cmp_eq_u32_e64 s3, 5, v81
	v_cmp_eq_u32_e64 s5, 6, v78
	v_cndmask_b32_e64 v5, v5, v11, s7
	v_cmp_eq_u32_e64 s4, 6, v77
	v_cndmask_b32_e64 v3, v6, v15, s7
	v_cndmask_b32_e64 v1, v1, v11, s3
	v_cmp_eq_u32_e64 s7, 6, v81
	v_cndmask_b32_e64 v2, v2, v15, s3
	v_cndmask_b32_e64 v17, v17, v4, s5
	v_cndmask_b32_e64 v18, v18, v8, s5
	v_cmp_eq_u32_e64 s5, 7, v78
	v_cndmask_b32_e64 v5, v5, v4, s4
	;; [unrolled: 4-line block ×3, first 2 shown]
	v_cmp_eq_u32_e64 s4, 7, v77
	v_cndmask_b32_e32 v4, v20, v8, vcc_lo
	v_cndmask_b32_e64 v17, v17, v12, s5
	v_cndmask_b32_e64 v19, v19, v12, s6
	;; [unrolled: 1-line block ×8, first 2 shown]
	s_mov_b32 s3, exec_lo
	v_perm_b32 v4, v2, v1, 0x5040100
	v_perm_b32 v3, v3, v5, 0x5040100
	;; [unrolled: 1-line block ×4, first 2 shown]
	ds_store_b128 v76, v[1:4]
	s_waitcnt lgkmcnt(0)
	s_barrier
	buffer_gl0_inv
	v_cmpx_gt_u32_e32 32, v0
	s_cbranch_execz .LBB1644_2
; %bb.111:
	s_load_b64 s[4:5], s[0:1], 0x68
	v_lshlrev_b32_e32 v0, 10, v0
	v_lshlrev_b32_e32 v2, 4, v75
	v_add_nc_u32_e32 v1, s31, v74
	s_lshl_b32 s0, s34, 7
	s_delay_alu instid0(SALU_CYCLE_1) | instskip(NEXT) | instid1(VALU_DEP_2)
	s_mul_i32 s1, s0, s30
	v_and_or_b32 v0, 0x3800, v0, v2
	s_mul_i32 s6, s1, s8
	v_mul_lo_u32 v1, v1, s0
	s_ashr_i32 s7, s6, 31
	s_delay_alu instid0(VALU_DEP_2) | instskip(SKIP_1) | instid1(VALU_DEP_2)
	v_lshl_or_b32 v3, v74, 6, v0
	s_lshl_b64 s[6:7], s[6:7], 1
	v_ashrrev_i32_e32 v2, 31, v1
	ds_load_b128 v[3:6], v3
	s_waitcnt lgkmcnt(0)
	s_add_u32 s1, s4, s6
	s_addc_u32 s3, s5, s7
	s_lshl_b32 s4, s14, 7
	v_lshlrev_b64 v[7:8], 1, v[1:2]
	s_ashr_i32 s5, s4, 31
	s_delay_alu instid0(SALU_CYCLE_1) | instskip(NEXT) | instid1(SALU_CYCLE_1)
	s_lshl_b64 s[4:5], s[4:5], 1
	s_add_u32 s1, s1, s4
	s_addc_u32 s3, s3, s5
	v_add_co_u32 v1, s1, s1, v73
	s_delay_alu instid0(VALU_DEP_1) | instskip(NEXT) | instid1(VALU_DEP_2)
	v_add_co_ci_u32_e64 v2, null, s3, 0, s1
	v_add_co_u32 v7, vcc_lo, v1, v7
	s_delay_alu instid0(VALU_DEP_2)
	v_add_co_ci_u32_e32 v8, vcc_lo, v2, v8, vcc_lo
	global_store_b128 v[7:8], v[3:6], off
	s_and_b32 exec_lo, exec_lo, s2
	s_cbranch_execz .LBB1644_2
; %bb.112:
	ds_load_b128 v[3:6], v0 offset:128
	s_add_i32 s1, s31, 2
	s_delay_alu instid0(SALU_CYCLE_1) | instskip(NEXT) | instid1(SALU_CYCLE_1)
	s_mul_i32 s0, s1, s0
	s_ashr_i32 s1, s0, 31
	s_delay_alu instid0(SALU_CYCLE_1) | instskip(NEXT) | instid1(SALU_CYCLE_1)
	s_lshl_b64 s[0:1], s[0:1], 1
	v_add_co_u32 v0, vcc_lo, v1, s0
	v_add_co_ci_u32_e32 v1, vcc_lo, s1, v2, vcc_lo
	s_waitcnt lgkmcnt(0)
	global_store_b128 v[0:1], v[3:6], off
	s_nop 0
	s_sendmsg sendmsg(MSG_DEALLOC_VGPRS)
	s_endpgm
	.section	.rodata,"a",@progbits
	.p2align	6, 0x0
	.amdhsa_kernel _Z39paged_attention_ll4mi_QKV_mfma16_kernelI14__hip_bfloat16hLN4vllm18Fp8KVCacheDataTypeE1ES0_Li32ELi128ELi256ELb1ELi3EL8MFMAType1EEvPKT_PKT0_S9_ifPKiSB_SB_iPKfiiiPfSE_PS4_PT2_iSD_SD_
		.amdhsa_group_segment_fixed_size 17472
		.amdhsa_private_segment_fixed_size 0
		.amdhsa_kernarg_size 400
		.amdhsa_user_sgpr_count 13
		.amdhsa_user_sgpr_dispatch_ptr 0
		.amdhsa_user_sgpr_queue_ptr 0
		.amdhsa_user_sgpr_kernarg_segment_ptr 1
		.amdhsa_user_sgpr_dispatch_id 0
		.amdhsa_user_sgpr_private_segment_size 0
		.amdhsa_wavefront_size32 1
		.amdhsa_uses_dynamic_stack 0
		.amdhsa_enable_private_segment 0
		.amdhsa_system_sgpr_workgroup_id_x 1
		.amdhsa_system_sgpr_workgroup_id_y 1
		.amdhsa_system_sgpr_workgroup_id_z 1
		.amdhsa_system_sgpr_workgroup_info 0
		.amdhsa_system_vgpr_workitem_id 0
		.amdhsa_next_free_vgpr 140
		.amdhsa_next_free_sgpr 36
		.amdhsa_reserve_vcc 1
		.amdhsa_float_round_mode_32 0
		.amdhsa_float_round_mode_16_64 0
		.amdhsa_float_denorm_mode_32 3
		.amdhsa_float_denorm_mode_16_64 3
		.amdhsa_dx10_clamp 1
		.amdhsa_ieee_mode 1
		.amdhsa_fp16_overflow 0
		.amdhsa_workgroup_processor_mode 1
		.amdhsa_memory_ordered 1
		.amdhsa_forward_progress 0
		.amdhsa_shared_vgpr_count 0
		.amdhsa_exception_fp_ieee_invalid_op 0
		.amdhsa_exception_fp_denorm_src 0
		.amdhsa_exception_fp_ieee_div_zero 0
		.amdhsa_exception_fp_ieee_overflow 0
		.amdhsa_exception_fp_ieee_underflow 0
		.amdhsa_exception_fp_ieee_inexact 0
		.amdhsa_exception_int_div_zero 0
	.end_amdhsa_kernel
	.section	.text._Z39paged_attention_ll4mi_QKV_mfma16_kernelI14__hip_bfloat16hLN4vllm18Fp8KVCacheDataTypeE1ES0_Li32ELi128ELi256ELb1ELi3EL8MFMAType1EEvPKT_PKT0_S9_ifPKiSB_SB_iPKfiiiPfSE_PS4_PT2_iSD_SD_,"axG",@progbits,_Z39paged_attention_ll4mi_QKV_mfma16_kernelI14__hip_bfloat16hLN4vllm18Fp8KVCacheDataTypeE1ES0_Li32ELi128ELi256ELb1ELi3EL8MFMAType1EEvPKT_PKT0_S9_ifPKiSB_SB_iPKfiiiPfSE_PS4_PT2_iSD_SD_,comdat
.Lfunc_end1644:
	.size	_Z39paged_attention_ll4mi_QKV_mfma16_kernelI14__hip_bfloat16hLN4vllm18Fp8KVCacheDataTypeE1ES0_Li32ELi128ELi256ELb1ELi3EL8MFMAType1EEvPKT_PKT0_S9_ifPKiSB_SB_iPKfiiiPfSE_PS4_PT2_iSD_SD_, .Lfunc_end1644-_Z39paged_attention_ll4mi_QKV_mfma16_kernelI14__hip_bfloat16hLN4vllm18Fp8KVCacheDataTypeE1ES0_Li32ELi128ELi256ELb1ELi3EL8MFMAType1EEvPKT_PKT0_S9_ifPKiSB_SB_iPKfiiiPfSE_PS4_PT2_iSD_SD_
                                        ; -- End function
	.section	.AMDGPU.csdata,"",@progbits
; Kernel info:
; codeLenInByte = 8860
; NumSgprs: 38
; NumVgprs: 140
; ScratchSize: 0
; MemoryBound: 0
; FloatMode: 240
; IeeeMode: 1
; LDSByteSize: 17472 bytes/workgroup (compile time only)
; SGPRBlocks: 4
; VGPRBlocks: 17
; NumSGPRsForWavesPerEU: 38
; NumVGPRsForWavesPerEU: 140
; Occupancy: 10
; WaveLimiterHint : 1
; COMPUTE_PGM_RSRC2:SCRATCH_EN: 0
; COMPUTE_PGM_RSRC2:USER_SGPR: 13
; COMPUTE_PGM_RSRC2:TRAP_HANDLER: 0
; COMPUTE_PGM_RSRC2:TGID_X_EN: 1
; COMPUTE_PGM_RSRC2:TGID_Y_EN: 1
; COMPUTE_PGM_RSRC2:TGID_Z_EN: 1
; COMPUTE_PGM_RSRC2:TIDIG_COMP_CNT: 0
	.section	.text._Z39paged_attention_ll4mi_QKV_mfma16_kernelI14__hip_bfloat16hLN4vllm18Fp8KVCacheDataTypeE1ES0_Li32ELi128ELi256ELb1ELi4EL8MFMAType1EEvPKT_PKT0_S9_ifPKiSB_SB_iPKfiiiPfSE_PS4_PT2_iSD_SD_,"axG",@progbits,_Z39paged_attention_ll4mi_QKV_mfma16_kernelI14__hip_bfloat16hLN4vllm18Fp8KVCacheDataTypeE1ES0_Li32ELi128ELi256ELb1ELi4EL8MFMAType1EEvPKT_PKT0_S9_ifPKiSB_SB_iPKfiiiPfSE_PS4_PT2_iSD_SD_,comdat
	.protected	_Z39paged_attention_ll4mi_QKV_mfma16_kernelI14__hip_bfloat16hLN4vllm18Fp8KVCacheDataTypeE1ES0_Li32ELi128ELi256ELb1ELi4EL8MFMAType1EEvPKT_PKT0_S9_ifPKiSB_SB_iPKfiiiPfSE_PS4_PT2_iSD_SD_ ; -- Begin function _Z39paged_attention_ll4mi_QKV_mfma16_kernelI14__hip_bfloat16hLN4vllm18Fp8KVCacheDataTypeE1ES0_Li32ELi128ELi256ELb1ELi4EL8MFMAType1EEvPKT_PKT0_S9_ifPKiSB_SB_iPKfiiiPfSE_PS4_PT2_iSD_SD_
	.globl	_Z39paged_attention_ll4mi_QKV_mfma16_kernelI14__hip_bfloat16hLN4vllm18Fp8KVCacheDataTypeE1ES0_Li32ELi128ELi256ELb1ELi4EL8MFMAType1EEvPKT_PKT0_S9_ifPKiSB_SB_iPKfiiiPfSE_PS4_PT2_iSD_SD_
	.p2align	8
	.type	_Z39paged_attention_ll4mi_QKV_mfma16_kernelI14__hip_bfloat16hLN4vllm18Fp8KVCacheDataTypeE1ES0_Li32ELi128ELi256ELb1ELi4EL8MFMAType1EEvPKT_PKT0_S9_ifPKiSB_SB_iPKfiiiPfSE_PS4_PT2_iSD_SD_,@function
_Z39paged_attention_ll4mi_QKV_mfma16_kernelI14__hip_bfloat16hLN4vllm18Fp8KVCacheDataTypeE1ES0_Li32ELi128ELi256ELb1ELi4EL8MFMAType1EEvPKT_PKT0_S9_ifPKiSB_SB_iPKfiiiPfSE_PS4_PT2_iSD_SD_: ; @_Z39paged_attention_ll4mi_QKV_mfma16_kernelI14__hip_bfloat16hLN4vllm18Fp8KVCacheDataTypeE1ES0_Li32ELi128ELi256ELb1ELi4EL8MFMAType1EEvPKT_PKT0_S9_ifPKiSB_SB_iPKfiiiPfSE_PS4_PT2_iSD_SD_
; %bb.0:
	s_load_b64 s[4:5], s[0:1], 0x30
	s_mov_b32 s30, s13
	s_waitcnt lgkmcnt(0)
	s_cmp_lg_u64 s[4:5], 0
	s_cselect_b32 s13, -1, 0
	s_ashr_i32 s31, s30, 31
	s_cmp_eq_u64 s[4:5], 0
	s_cbranch_scc1 .LBB1645_3
; %bb.1:
	s_lshl_b64 s[2:3], s[30:31], 2
	s_delay_alu instid0(SALU_CYCLE_1) | instskip(SKIP_4) | instid1(SALU_CYCLE_1)
	s_add_u32 s2, s4, s2
	s_addc_u32 s3, s5, s3
	s_load_b64 s[2:3], s[2:3], 0x0
	s_waitcnt lgkmcnt(0)
	s_sub_i32 s2, s3, s2
	s_cmp_eq_u32 s2, 1
	s_cselect_b32 s2, -1, 0
	s_delay_alu instid0(SALU_CYCLE_1)
	s_and_not1_b32 vcc_lo, exec_lo, s2
	s_cbranch_vccz .LBB1645_4
.LBB1645_2:
	s_endpgm
.LBB1645_3:
.LBB1645_4:
	s_load_b64 s[2:3], s[0:1], 0x28
	s_lshl_b64 s[6:7], s[30:31], 2
	s_waitcnt lgkmcnt(0)
	s_add_u32 s2, s2, s6
	s_addc_u32 s3, s3, s7
	s_lshl_b32 s12, s14, 8
	s_load_b32 s17, s[2:3], 0x0
	s_waitcnt lgkmcnt(0)
	s_cmp_ge_i32 s12, s17
	s_cbranch_scc1 .LBB1645_2
; %bb.5:
	s_clause 0x1
	s_load_b128 s[8:11], s[0:1], 0x8
	s_load_b64 s[2:3], s[0:1], 0x20
	s_and_not1_b32 vcc_lo, exec_lo, s13
	s_cbranch_vccnz .LBB1645_7
; %bb.6:
	s_add_u32 s4, s4, s6
	s_addc_u32 s5, s5, s7
	s_load_b32 s13, s[4:5], 0x0
	s_branch .LBB1645_8
.LBB1645_7:
	s_mov_b32 s13, s30
.LBB1645_8:
	s_load_b128 s[4:7], s[0:1], 0x48
	v_and_b32_e32 v66, 15, v0
	v_lshrrev_b32_e32 v65, 5, v0
	v_and_b32_e32 v67, 31, v0
	v_and_b32_e32 v75, 1, v0
	v_bfe_u32 v74, v0, 4, 1
	v_lshlrev_b32_e32 v1, 3, v66
	s_lshl_b32 s29, s15, 2
	s_waitcnt lgkmcnt(0)
	s_mov_b32 s7, exec_lo
	s_delay_alu instid0(VALU_DEP_1)
	v_lshlrev_b32_e32 v73, 1, v1
	v_cmpx_gt_u32_e32 64, v0
	s_cbranch_execz .LBB1645_10
; %bb.9:
	v_lshl_or_b32 v5, v65, 1, v74
	s_load_b64 s[18:19], s[0:1], 0x0
	s_mul_hi_i32 s21, s13, s4
	s_mul_i32 s20, s13, s4
	v_lshlrev_b32_e32 v6, 10, v66
	v_or_b32_e32 v1, s29, v5
	s_lshl_b64 s[20:21], s[20:21], 1
	v_lshlrev_b32_e32 v5, 6, v5
	v_lshlrev_b32_e32 v7, 10, v75
	v_and_b32_e32 v6, 0x3800, v6
	v_lshlrev_b32_e32 v1, 7, v1
	s_delay_alu instid0(VALU_DEP_2) | instskip(NEXT) | instid1(VALU_DEP_2)
	v_or3_b32 v5, v6, v7, v5
	v_ashrrev_i32_e32 v2, 31, v1
	s_delay_alu instid0(VALU_DEP_1) | instskip(SKIP_3) | instid1(VALU_DEP_1)
	v_lshlrev_b64 v[1:2], 1, v[1:2]
	s_waitcnt lgkmcnt(0)
	s_add_u32 s4, s18, s20
	s_addc_u32 s13, s19, s21
	v_add_co_u32 v1, vcc_lo, s4, v1
	s_delay_alu instid0(VALU_DEP_2) | instskip(NEXT) | instid1(VALU_DEP_2)
	v_add_co_ci_u32_e32 v2, vcc_lo, s13, v2, vcc_lo
	v_add_co_u32 v1, vcc_lo, v1, v73
	s_delay_alu instid0(VALU_DEP_2)
	v_add_co_ci_u32_e32 v2, vcc_lo, 0, v2, vcc_lo
	global_load_b128 v[1:4], v[1:2], off
	s_waitcnt vmcnt(0)
	ds_store_b128 v5, v[1:4]
.LBB1645_10:
	s_or_b32 exec_lo, exec_lo, s7
	v_and_b32_e32 v1, 0xef, v0
	s_add_i32 s4, s17, 31
	s_clause 0x1
	s_load_b32 s7, s[0:1], 0x38
	s_load_b32 s18, s[0:1], 0x1c
	s_ashr_i32 s13, s4, 31
	v_add_nc_u32_e32 v1, s12, v1
	s_lshr_b32 s13, s13, 27
	s_waitcnt lgkmcnt(0)
	s_add_i32 s4, s4, s13
	s_barrier
	v_ashrrev_i32_e32 v2, 31, v1
	v_or_b32_e32 v3, 16, v1
	s_ashr_i32 s4, s4, 5
	v_cmp_gt_i32_e32 vcc_lo, s17, v1
	s_add_i32 s4, s4, -1
	v_lshrrev_b32_e32 v2, 27, v2
	buffer_gl0_inv
	s_mul_i32 s15, s15, s6
	v_add_nc_u32_e32 v4, v1, v2
	s_mul_i32 s20, s30, s7
	s_delay_alu instid0(SALU_CYCLE_1) | instskip(NEXT) | instid1(VALU_DEP_1)
	s_ashr_i32 s21, s20, 31
	v_ashrrev_i32_e32 v4, 5, v4
	v_add_nc_u32_e32 v2, v3, v2
	s_lshl_b64 s[20:21], s[20:21], 2
	s_delay_alu instid0(SALU_CYCLE_1) | instskip(NEXT) | instid1(VALU_DEP_2)
	s_add_u32 s13, s2, s20
	v_cndmask_b32_e32 v1, s4, v4, vcc_lo
	s_delay_alu instid0(VALU_DEP_2)
	v_ashrrev_i32_e32 v2, 5, v2
	v_cmp_gt_i32_e32 vcc_lo, s17, v3
	s_addc_u32 s16, s3, s21
	s_ashr_i32 s19, s15, 31
	s_add_u32 s2, s8, s15
	s_addc_u32 s3, s9, s19
	v_cndmask_b32_e32 v3, s4, v2, vcc_lo
	v_ashrrev_i32_e32 v2, 31, v1
	s_lshl_b32 s6, s14, 3
	s_delay_alu instid0(SALU_CYCLE_1) | instskip(NEXT) | instid1(VALU_DEP_2)
	s_ashr_i32 s7, s6, 31
	v_ashrrev_i32_e32 v4, 31, v3
	s_delay_alu instid0(VALU_DEP_2) | instskip(SKIP_1) | instid1(SALU_CYCLE_1)
	v_lshlrev_b64 v[1:2], 2, v[1:2]
	s_lshl_b64 s[6:7], s[6:7], 2
	s_add_u32 s6, s13, s6
	s_delay_alu instid0(VALU_DEP_2) | instskip(SKIP_1) | instid1(VALU_DEP_2)
	v_lshlrev_b64 v[3:4], 2, v[3:4]
	s_addc_u32 s7, s16, s7
	v_add_co_u32 v1, vcc_lo, s13, v1
	v_add_co_ci_u32_e32 v2, vcc_lo, s16, v2, vcc_lo
	s_delay_alu instid0(VALU_DEP_3) | instskip(NEXT) | instid1(VALU_DEP_4)
	v_add_co_u32 v3, vcc_lo, s13, v3
	v_add_co_ci_u32_e32 v4, vcc_lo, s16, v4, vcc_lo
	s_clause 0x1
	global_load_b32 v5, v[1:2], off
	global_load_b32 v6, v[3:4], off
	s_or_b32 s8, s12, 32
	s_delay_alu instid0(SALU_CYCLE_1) | instskip(SKIP_2) | instid1(SALU_CYCLE_1)
	s_ashr_i32 s9, s8, 5
	s_cmp_lt_i32 s8, s17
	s_cselect_b32 s8, s9, s4
	s_ashr_i32 s9, s8, 31
	s_delay_alu instid0(SALU_CYCLE_1) | instskip(NEXT) | instid1(SALU_CYCLE_1)
	s_lshl_b64 s[8:9], s[8:9], 2
	s_add_u32 s8, s13, s8
	s_addc_u32 s9, s16, s9
	s_or_b32 s20, s12, 64
	s_delay_alu instid0(SALU_CYCLE_1) | instskip(SKIP_2) | instid1(SALU_CYCLE_1)
	s_ashr_i32 s21, s20, 5
	s_cmp_lt_i32 s20, s17
	s_cselect_b32 s20, s21, s4
	s_ashr_i32 s21, s20, 31
	s_delay_alu instid0(SALU_CYCLE_1) | instskip(NEXT) | instid1(SALU_CYCLE_1)
	s_lshl_b64 s[20:21], s[20:21], 2
	s_add_u32 s20, s13, s20
	s_addc_u32 s21, s16, s21
	;; [unrolled: 10-line block ×5, first 2 shown]
	s_clause 0x5
	s_load_b32 s28, s[6:7], 0x0
	s_load_b32 s8, s[8:9], 0x0
	;; [unrolled: 1-line block ×6, first 2 shown]
	s_mov_b32 s20, 0
	s_delay_alu instid0(SALU_CYCLE_1)
	s_mov_b32 s21, s20
	s_mov_b32 s22, s20
	s_mov_b32 s23, s20
	s_mov_b32 s24, s20
	s_mov_b32 s25, s20
	s_mov_b32 s26, s20
	s_mov_b32 s27, s20
	s_delay_alu instid0(SALU_CYCLE_1)
	v_dual_mov_b32 v107, s27 :: v_dual_mov_b32 v106, s26
	v_dual_mov_b32 v104, s24 :: v_dual_mov_b32 v103, s23
	v_dual_mov_b32 v101, s21 :: v_dual_mov_b32 v102, s22
	v_dual_mov_b32 v100, s20 :: v_dual_mov_b32 v105, s25
	s_waitcnt vmcnt(1)
	v_mad_i64_i32 v[1:2], null, v5, s5, s[2:3]
	v_lshlrev_b32_e32 v5, 4, v66
	s_waitcnt vmcnt(0)
	v_mad_i64_i32 v[3:4], null, v6, s5, s[2:3]
	s_or_b32 s2, s12, 0xc0
	s_delay_alu instid0(SALU_CYCLE_1) | instskip(NEXT) | instid1(VALU_DEP_3)
	s_ashr_i32 s3, s2, 5
	v_add_co_u32 v33, vcc_lo, v1, v5
	s_delay_alu instid0(VALU_DEP_4) | instskip(NEXT) | instid1(VALU_DEP_3)
	v_add_co_ci_u32_e32 v34, vcc_lo, 0, v2, vcc_lo
	v_add_co_u32 v35, vcc_lo, v3, v5
	s_delay_alu instid0(VALU_DEP_4)
	v_add_co_ci_u32_e32 v36, vcc_lo, 0, v4, vcc_lo
	s_clause 0xf
	global_load_b128 v[1:4], v[33:34], off
	global_load_b128 v[5:8], v[33:34], off offset:512
	global_load_b128 v[9:12], v[35:36], off offset:256
	;; [unrolled: 1-line block ×15, first 2 shown]
	s_cmp_lt_i32 s2, s17
	v_and_b32_e32 v33, 3, v0
	s_cselect_b32 s2, s3, s4
	v_lshlrev_b32_e32 v34, 5, v66
	s_ashr_i32 s3, s2, 31
	s_delay_alu instid0(SALU_CYCLE_1)
	s_lshl_b64 s[2:3], s[2:3], 2
	v_lshlrev_b32_e32 v72, 6, v33
	s_add_u32 s2, s13, s2
	s_addc_u32 s3, s16, s3
	s_or_b32 s6, s12, 0xe0
	v_lshl_or_b32 v41, v65, 9, v34
	s_ashr_i32 s7, s6, 5
	s_cmp_lt_i32 s6, s17
	ds_load_b128 v[33:36], v72
	ds_load_b128 v[37:40], v72 offset:1024
	s_cselect_b32 s6, s7, s4
	ds_load_b128 v[108:111], v72 offset:2048
	ds_load_b128 v[112:115], v72 offset:3072
	s_ashr_i32 s7, s6, 31
	s_load_b32 s4, s[2:3], 0x0
	s_lshl_b64 s[6:7], s[6:7], 2
	ds_load_b128 v[116:119], v72 offset:4096
	ds_load_b128 v[120:123], v72 offset:5120
	s_add_u32 s2, s13, s6
	s_addc_u32 s3, s16, s7
	s_add_u32 s6, s10, s15
	s_load_b32 s2, s[2:3], 0x0
	s_addc_u32 s7, s11, s19
	v_add_co_u32 v68, s6, s6, v41
	s_delay_alu instid0(VALU_DEP_1) | instskip(SKIP_1) | instid1(VALU_DEP_1)
	v_add_co_ci_u32_e64 v69, null, s7, 0, s6
	s_waitcnt lgkmcnt(0)
	v_mad_i64_i32 v[41:42], null, s28, s5, v[68:69]
	v_mad_i64_i32 v[70:71], null, s9, s5, v[68:69]
	v_mad_i64_i32 v[45:46], null, s8, s5, v[68:69]
	v_mad_i64_i32 v[132:133], null, s31, s5, v[68:69]
	v_mad_i64_i32 v[134:135], null, s33, s5, v[68:69]
	v_mad_i64_i32 v[136:137], null, s34, s5, v[68:69]
	v_mad_i64_i32 v[138:139], null, s4, s5, v[68:69]
	s_clause 0x3
	global_load_b128 v[49:52], v[41:42], off
	global_load_b128 v[53:56], v[41:42], off offset:16
	global_load_b128 v[41:44], v[45:46], off
	global_load_b128 v[45:48], v[45:46], off offset:16
	s_waitcnt vmcnt(18)
	v_wmma_f32_16x16x16_bf16 v[124:131], v[1:8], v[33:40], v[100:107]
	s_waitcnt vmcnt(16)
	v_wmma_f32_16x16x16_bf16 v[100:107], v[9:16], v[33:40], v[100:107]
	s_clause 0x1
	global_load_b128 v[33:36], v[70:71], off
	global_load_b128 v[37:40], v[70:71], off offset:16
	v_mad_i64_i32 v[70:71], null, s2, s5, v[68:69]
	s_waitcnt vmcnt(16)
	v_wmma_f32_16x16x16_bf16 v[124:131], v[17:24], v[108:115], v[124:131]
	s_waitcnt vmcnt(14)
	v_wmma_f32_16x16x16_bf16 v[100:107], v[25:32], v[108:115], v[100:107]
	s_clause 0x7
	global_load_b128 v[25:28], v[132:133], off
	global_load_b128 v[29:32], v[132:133], off offset:16
	global_load_b128 v[1:4], v[134:135], off
	global_load_b128 v[5:8], v[134:135], off offset:16
	;; [unrolled: 2-line block ×4, first 2 shown]
	s_waitcnt vmcnt(20)
	v_wmma_f32_16x16x16_bf16 v[124:131], v[57:64], v[116:123], v[124:131]
	s_clause 0x1
	global_load_b128 v[57:60], v[70:71], off
	global_load_b128 v[61:64], v[70:71], off offset:16
	s_waitcnt vmcnt(20)
	v_wmma_f32_16x16x16_bf16 v[100:107], v[76:83], v[116:123], v[100:107]
	ds_load_b128 v[76:79], v72 offset:6144
	ds_load_b128 v[80:83], v72 offset:7168
	v_and_b32_e32 v68, 0xe0, v0
	v_mbcnt_lo_u32_b32 v69, -1, 0
	s_waitcnt vmcnt(0) lgkmcnt(0)
	s_barrier
	buffer_gl0_inv
	v_add_nc_u32_e32 v68, s12, v68
	v_xor_b32_e32 v70, 16, v69
	s_delay_alu instid0(VALU_DEP_2) | instskip(NEXT) | instid1(VALU_DEP_2)
	v_or_b32_e32 v68, v68, v74
	v_cmp_gt_i32_e32 vcc_lo, 32, v70
	s_delay_alu instid0(VALU_DEP_2)
	v_or_b32_e32 v71, 4, v68
	v_or_b32_e32 v72, 6, v68
	v_cmp_gt_i32_e64 s2, s17, v68
	v_or_b32_e32 v108, 8, v68
	v_wmma_f32_16x16x16_bf16 v[124:131], v[84:91], v[76:83], v[124:131]
	v_cndmask_b32_e32 v69, v69, v70, vcc_lo
	v_or_b32_e32 v70, 2, v68
	v_wmma_f32_16x16x16_bf16 v[100:107], v[92:99], v[76:83], v[100:107]
	v_or_b32_e32 v109, 10, v68
	v_dual_mul_f32 v78, s18, v131 :: v_dual_mul_f32 v83, s18, v126
	v_dual_mul_f32 v92, s18, v125 :: v_dual_mul_f32 v93, s18, v124
	s_delay_alu instid0(VALU_DEP_4) | instskip(SKIP_2) | instid1(VALU_DEP_4)
	v_mul_f32_e32 v94, s18, v107
	v_cmp_gt_i32_e32 vcc_lo, s17, v70
	v_dual_mul_f32 v81, s18, v128 :: v_dual_mul_f32 v82, s18, v127
	v_cndmask_b32_e64 v93, 0xff7fffff, v93, s2
	v_cmp_gt_i32_e64 s3, s17, v71
	v_cndmask_b32_e32 v92, 0xff7fffff, v92, vcc_lo
	v_cmp_gt_i32_e64 s4, s17, v72
	v_or_b32_e32 v84, 12, v68
	v_or_b32_e32 v85, 14, v68
	v_dual_mul_f32 v79, s18, v130 :: v_dual_mul_f32 v80, s18, v129
	v_cndmask_b32_e64 v71, 0xff7fffff, v83, s3
	v_cndmask_b32_e64 v72, 0xff7fffff, v82, s4
	v_max3_f32 v82, v93, 0xff7fffff, v92
	v_cmp_gt_i32_e64 s5, s17, v108
	v_cmp_gt_i32_e64 s6, s17, v109
	v_or_b32_e32 v86, 16, v68
	v_or_b32_e32 v87, 18, v68
	v_max3_f32 v71, v82, v71, v72
	v_cndmask_b32_e64 v81, 0xff7fffff, v81, s5
	v_cndmask_b32_e64 v80, 0xff7fffff, v80, s6
	v_cmp_gt_i32_e64 s7, s17, v84
	v_cmp_gt_i32_e64 s8, s17, v85
	v_or_b32_e32 v88, 20, v68
	v_or_b32_e32 v89, 22, v68
	;; [unrolled: 1-line block ×6, first 2 shown]
	v_dual_mul_f32 v99, s18, v102 :: v_dual_mul_f32 v70, s18, v101
	v_mul_f32_e32 v68, s18, v100
	v_cndmask_b32_e64 v72, 0xff7fffff, v79, s7
	v_cndmask_b32_e64 v78, 0xff7fffff, v78, s8
	v_max3_f32 v71, v71, v81, v80
	v_cmp_gt_i32_e64 s9, s17, v86
	v_cmp_gt_i32_e64 s10, s17, v87
	v_dual_mul_f32 v97, s18, v104 :: v_dual_mul_f32 v98, s18, v103
	s_delay_alu instid0(VALU_DEP_4) | instskip(SKIP_1) | instid1(VALU_DEP_4)
	v_max3_f32 v71, v71, v72, v78
	v_cmp_gt_i32_e64 s11, s17, v88
	v_cndmask_b32_e64 v70, 0xff7fffff, v70, s10
	v_cmp_gt_i32_e64 s12, s17, v89
	v_lshlrev_b32_e32 v89, 2, v69
	v_cndmask_b32_e64 v68, 0xff7fffff, v68, s9
	v_dual_mul_f32 v95, s18, v106 :: v_dual_mul_f32 v96, s18, v105
	v_cndmask_b32_e64 v72, 0xff7fffff, v99, s11
	v_cndmask_b32_e64 v78, 0xff7fffff, v98, s12
	s_delay_alu instid0(VALU_DEP_4)
	v_max3_f32 v68, v71, v68, v70
	v_cmp_gt_i32_e64 s13, s17, v90
	v_cmp_gt_i32_e64 s15, s17, v91
	;; [unrolled: 1-line block ×4, first 2 shown]
	v_max3_f32 v68, v68, v72, v78
	v_cndmask_b32_e64 v70, 0xff7fffff, v97, s13
	v_cndmask_b32_e64 v71, 0xff7fffff, v96, s15
	;; [unrolled: 1-line block ×4, first 2 shown]
	s_delay_alu instid0(VALU_DEP_3) | instskip(NEXT) | instid1(VALU_DEP_1)
	v_max3_f32 v68, v68, v70, v71
	v_max3_f32 v68, v68, v72, v76
	ds_bpermute_b32 v69, v89, v68
	s_waitcnt lgkmcnt(0)
	v_max_f32_e32 v69, v69, v69
	s_delay_alu instid0(VALU_DEP_1) | instskip(NEXT) | instid1(VALU_DEP_1)
	v_max_f32_e32 v68, v68, v69
	v_fma_f32 v71, s18, v126, -v68
	s_delay_alu instid0(VALU_DEP_1)
	v_mul_f32_e32 v71, 0x3fb8aa3b, v71
	v_fma_f32 v69, s18, v124, -v68
	v_fma_f32 v70, s18, v125, -v68
	v_fma_f32 v76, s18, v128, -v68
	v_fma_f32 v72, s18, v127, -v68
	v_exp_f32_e32 v71, v71
	s_delay_alu instid0(VALU_DEP_3) | instskip(SKIP_2) | instid1(VALU_DEP_3)
	v_dual_mul_f32 v69, 0x3fb8aa3b, v69 :: v_dual_mul_f32 v70, 0x3fb8aa3b, v70
	v_fma_f32 v78, s18, v130, -v68
	v_fma_f32 v81, s18, v105, -v68
	v_exp_f32_e32 v69, v69
	s_delay_alu instid0(VALU_DEP_3) | instskip(SKIP_1) | instid1(VALU_DEP_2)
	v_exp_f32_e32 v70, v70
	v_mul_f32_e32 v77, 0x3fb8aa3b, v76
	v_mul_f32_e32 v81, 0x3fb8aa3b, v81
	s_delay_alu instid0(TRANS32_DEP_3) | instskip(SKIP_1) | instid1(VALU_DEP_3)
	v_cndmask_b32_e64 v83, 0, v71, s3
	v_fma_f32 v71, s18, v131, -v68
	v_exp_f32_e32 v81, v81
	s_delay_alu instid0(TRANS32_DEP_3) | instskip(NEXT) | instid1(TRANS32_DEP_2)
	v_cndmask_b32_e64 v80, 0, v69, s2
	v_cndmask_b32_e32 v76, 0, v70, vcc_lo
	v_fma_f32 v69, s18, v129, -v68
	v_mul_f32_e32 v72, 0x3fb8aa3b, v72
	v_exp_f32_e32 v77, v77
	v_dual_add_f32 v70, 0, v80 :: v_dual_mul_f32 v71, 0x3fb8aa3b, v71
	s_delay_alu instid0(VALU_DEP_3) | instskip(NEXT) | instid1(VALU_DEP_3)
	v_mul_f32_e32 v69, 0x3fb8aa3b, v69
	v_exp_f32_e32 v72, v72
	s_mov_b32 s2, exec_lo
	s_delay_alu instid0(VALU_DEP_2) | instskip(NEXT) | instid1(VALU_DEP_1)
	v_exp_f32_e32 v71, v71
	v_exp_f32_e32 v69, v69
	v_cndmask_b32_e64 v86, 0, v77, s5
	v_fma_f32 v77, s18, v101, -v68
	v_add_f32_e32 v70, v70, v76
	s_delay_alu instid0(TRANS32_DEP_3) | instskip(SKIP_1) | instid1(VALU_DEP_3)
	v_cndmask_b32_e64 v85, 0, v72, s4
	v_fma_f32 v72, s18, v100, -v68
	v_dual_mul_f32 v77, 0x3fb8aa3b, v77 :: v_dual_add_f32 v70, v70, v83
	s_delay_alu instid0(TRANS32_DEP_2) | instskip(SKIP_1) | instid1(TRANS32_DEP_1)
	v_cndmask_b32_e64 v88, 0, v71, s8
	v_fma_f32 v71, s18, v104, -v68
	v_cndmask_b32_e64 v87, 0, v69, s6
	s_delay_alu instid0(VALU_DEP_4) | instskip(NEXT) | instid1(VALU_DEP_2)
	v_exp_f32_e32 v77, v77
	v_dual_add_f32 v70, v70, v85 :: v_dual_mul_f32 v71, 0x3fb8aa3b, v71
	s_delay_alu instid0(VALU_DEP_1) | instskip(SKIP_2) | instid1(VALU_DEP_3)
	v_dual_mul_f32 v72, 0x3fb8aa3b, v72 :: v_dual_add_f32 v69, v70, v86
	v_mul_f32_e32 v78, 0x3fb8aa3b, v78
	v_fma_f32 v70, s18, v102, -v68
	v_exp_f32_e32 v72, v72
	v_exp_f32_e32 v82, v71
	v_add_f32_e32 v69, v69, v87
	v_exp_f32_e32 v78, v78
	v_mul_f32_e32 v70, 0x3fb8aa3b, v70
	s_delay_alu instid0(VALU_DEP_1) | instskip(SKIP_4) | instid1(VALU_DEP_2)
	v_exp_f32_e32 v79, v70
	v_cndmask_b32_e64 v70, 0, v72, s9
	s_waitcnt_depctr 0xfff
	v_cndmask_b32_e64 v84, 0, v78, s7
	v_fma_f32 v78, s18, v103, -v68
	v_add_f32_e32 v69, v69, v84
	v_cndmask_b32_e64 v71, 0, v79, s11
	s_delay_alu instid0(VALU_DEP_2) | instskip(SKIP_2) | instid1(VALU_DEP_1)
	v_add_f32_e32 v72, v69, v88
	v_cndmask_b32_e64 v69, 0, v77, s10
	v_fma_f32 v77, s18, v106, -v68
	v_dual_mul_f32 v77, 0x3fb8aa3b, v77 :: v_dual_add_f32 v72, v72, v70
	v_mul_f32_e32 v78, 0x3fb8aa3b, v78
	s_delay_alu instid0(VALU_DEP_2) | instskip(NEXT) | instid1(VALU_DEP_2)
	v_exp_f32_e32 v90, v77
	v_add_f32_e32 v79, v72, v69
	s_delay_alu instid0(VALU_DEP_2)
	v_exp_f32_e32 v78, v78
	v_cndmask_b32_e64 v77, 0, v82, s13
	s_waitcnt_depctr 0xfff
	v_cndmask_b32_e64 v72, 0, v78, s12
	v_add_f32_e32 v78, v79, v71
	v_fma_f32 v79, s18, v107, -v68
	s_delay_alu instid0(VALU_DEP_1) | instskip(SKIP_1) | instid1(VALU_DEP_2)
	v_dual_add_f32 v82, v78, v72 :: v_dual_mul_f32 v79, 0x3fb8aa3b, v79
	v_cndmask_b32_e64 v78, 0, v81, s15
	v_add_f32_e32 v81, v82, v77
	s_delay_alu instid0(VALU_DEP_3) | instskip(SKIP_1) | instid1(VALU_DEP_2)
	v_exp_f32_e32 v82, v79
	v_cndmask_b32_e64 v79, 0, v90, s16
	v_add_f32_e32 v81, v81, v78
	s_delay_alu instid0(VALU_DEP_1) | instskip(SKIP_2) | instid1(VALU_DEP_1)
	v_add_f32_e32 v90, v81, v79
	s_waitcnt_depctr 0xfff
	v_cndmask_b32_e64 v81, 0, v82, s17
	v_add_f32_e32 v82, v90, v81
	ds_bpermute_b32 v89, v89, v82
	v_cmpx_gt_u32_e32 16, v67
	s_cbranch_execz .LBB1645_12
; %bb.11:
	v_mul_u32_u24_e32 v67, 0x44, v65
	s_delay_alu instid0(VALU_DEP_1) | instskip(SKIP_1) | instid1(VALU_DEP_1)
	v_lshl_add_u32 v67, v66, 2, v67
	s_waitcnt lgkmcnt(0)
	v_dual_add_f32 v82, v82, v89 :: v_dual_add_nc_u32 v67, 0x4000, v67
	ds_store_2addr_b32 v67, v68, v82 offset1:136
.LBB1645_12:
	s_or_b32 exec_lo, exec_lo, s2
	v_lshlrev_b32_e32 v67, 2, v66
	s_waitcnt lgkmcnt(0)
	s_barrier
	buffer_gl0_inv
	v_cmp_eq_u32_e32 vcc_lo, 1, v65
	v_add_nc_u32_e32 v82, 0x4000, v67
	v_cmp_eq_u32_e64 s2, 2, v65
	v_cmp_eq_u32_e64 s4, 7, v65
	ds_load_2addr_b32 v[89:90], v82 offset1:17
	ds_load_2addr_b32 v[91:92], v82 offset0:34 offset1:51
	ds_load_2addr_b32 v[93:94], v82 offset0:68 offset1:85
	;; [unrolled: 1-line block ×4, first 2 shown]
	s_waitcnt lgkmcnt(4)
	v_max3_f32 v67, v89, 0xff7fffff, v90
	s_waitcnt lgkmcnt(3)
	s_delay_alu instid0(VALU_DEP_1) | instskip(SKIP_1) | instid1(VALU_DEP_1)
	v_max3_f32 v67, v67, v91, v92
	s_waitcnt lgkmcnt(2)
	v_max3_f32 v67, v67, v93, v94
	s_waitcnt lgkmcnt(1)
	s_delay_alu instid0(VALU_DEP_1) | instskip(NEXT) | instid1(VALU_DEP_1)
	v_max3_f32 v67, v67, v95, v96
	v_sub_f32_e32 v93, v93, v67
	s_delay_alu instid0(VALU_DEP_1) | instskip(NEXT) | instid1(VALU_DEP_1)
	v_dual_sub_f32 v68, v89, v67 :: v_dual_mul_f32 v103, 0x3fb8aa3b, v93
	v_mul_f32_e32 v68, 0x3fb8aa3b, v68
	s_delay_alu instid0(VALU_DEP_1)
	v_exp_f32_e32 v100, v68
	v_sub_f32_e32 v68, v92, v67
	v_sub_f32_e32 v99, v90, v67
	ds_load_2addr_b32 v[89:90], v82 offset0:170 offset1:187
	v_dual_mul_f32 v102, 0x3fb8aa3b, v68 :: v_dual_mul_f32 v99, 0x3fb8aa3b, v99
	s_waitcnt lgkmcnt(1)
	v_fma_f32 v68, v100, v97, 0
	s_delay_alu instid0(VALU_DEP_2) | instskip(NEXT) | instid1(VALU_DEP_2)
	v_exp_f32_e32 v102, v102
	v_exp_f32_e32 v99, v99
	s_waitcnt_depctr 0xfff
	v_fmac_f32_e32 v68, v99, v98
	v_sub_f32_e32 v91, v91, v67
	s_delay_alu instid0(VALU_DEP_1)
	v_mul_f32_e32 v101, 0x3fb8aa3b, v91
	ds_load_2addr_b32 v[91:92], v82 offset0:204 offset1:221
	v_sub_f32_e32 v97, v94, v67
	ds_load_2addr_b32 v[93:94], v82 offset0:238 offset1:255
	s_waitcnt lgkmcnt(0)
	v_exp_f32_e32 v101, v101
	s_barrier
	buffer_gl0_inv
	v_dual_fmac_f32 v68, v101, v89 :: v_dual_sub_f32 v89, v96, v67
	v_dual_sub_f32 v82, v95, v67 :: v_dual_mul_f32 v95, 0x3fb8aa3b, v97
	v_exp_f32_e32 v97, v103
	s_delay_alu instid0(VALU_DEP_2) | instskip(NEXT) | instid1(VALU_DEP_2)
	v_dual_fmac_f32 v68, v102, v90 :: v_dual_mul_f32 v89, 0x3fb8aa3b, v89
	v_mul_f32_e32 v82, 0x3fb8aa3b, v82
	s_delay_alu instid0(VALU_DEP_3) | instskip(NEXT) | instid1(VALU_DEP_2)
	v_exp_f32_e32 v95, v95
	v_exp_f32_e32 v89, v89
	s_delay_alu instid0(VALU_DEP_1)
	v_exp_f32_e32 v82, v82
	v_fmac_f32_e32 v68, v97, v91
	s_delay_alu instid0(TRANS32_DEP_3) | instid1(VALU_DEP_1)
	v_fmac_f32_e32 v68, v95, v92
	s_waitcnt_depctr 0xfff
	v_fmac_f32_e32 v68, v82, v93
	s_delay_alu instid0(VALU_DEP_1) | instskip(NEXT) | instid1(VALU_DEP_1)
	v_fmac_f32_e32 v68, v89, v94
	v_add_f32_e32 v90, 0x358637bd, v68
	s_delay_alu instid0(VALU_DEP_1) | instskip(NEXT) | instid1(VALU_DEP_1)
	v_div_scale_f32 v91, null, v90, v90, 1.0
	v_rcp_f32_e32 v92, v91
	s_waitcnt_depctr 0xfff
	v_fma_f32 v93, -v91, v92, 1.0
	s_delay_alu instid0(VALU_DEP_1) | instskip(SKIP_1) | instid1(VALU_DEP_2)
	v_dual_fmac_f32 v92, v93, v92 :: v_dual_cndmask_b32 v93, v100, v99
	v_cmp_eq_u32_e32 vcc_lo, 3, v65
	v_cndmask_b32_e64 v93, v93, v101, s2
	v_cmp_eq_u32_e64 s2, 4, v65
	s_delay_alu instid0(VALU_DEP_2) | instskip(SKIP_1) | instid1(VALU_DEP_2)
	v_cndmask_b32_e32 v93, v93, v102, vcc_lo
	v_cmp_eq_u32_e32 vcc_lo, 5, v65
	v_cndmask_b32_e64 v93, v93, v97, s2
	v_cmp_eq_u32_e64 s2, 6, v65
	s_delay_alu instid0(VALU_DEP_2) | instskip(SKIP_1) | instid1(VALU_DEP_1)
	v_cndmask_b32_e32 v93, v93, v95, vcc_lo
	v_div_scale_f32 v94, s3, 1.0, v90, 1.0
	s_mov_b32 vcc_lo, s3
	s_delay_alu instid0(VALU_DEP_2) | instskip(NEXT) | instid1(VALU_DEP_2)
	v_cndmask_b32_e64 v82, v93, v82, s2
	v_mul_f32_e32 v96, v94, v92
	s_mov_b32 s2, exec_lo
	s_delay_alu instid0(VALU_DEP_2) | instskip(NEXT) | instid1(VALU_DEP_2)
	v_cndmask_b32_e64 v82, v82, v89, s4
	v_fma_f32 v98, -v91, v96, v94
	s_delay_alu instid0(VALU_DEP_1) | instskip(NEXT) | instid1(VALU_DEP_1)
	v_fmac_f32_e32 v96, v98, v92
	v_fma_f32 v91, -v91, v96, v94
	s_delay_alu instid0(VALU_DEP_1) | instskip(NEXT) | instid1(VALU_DEP_1)
	v_div_fmas_f32 v91, v91, v92, v96
	v_div_fixup_f32 v90, v91, v90, 1.0
	s_delay_alu instid0(VALU_DEP_1) | instskip(NEXT) | instid1(VALU_DEP_1)
	v_mul_f32_e32 v82, v82, v90
	v_mul_f32_e32 v87, v82, v87
	;; [unrolled: 1-line block ×7, first 2 shown]
	v_dual_mul_f32 v86, v82, v83 :: v_dual_and_b32 v91, 0x7f800000, v90
	v_mul_f32_e32 v85, v82, v76
                                        ; implicit-def: $vgpr76
	s_delay_alu instid0(VALU_DEP_2)
	v_cmpx_ne_u32_e32 0x7f800000, v91
	s_xor_b32 s2, exec_lo, s2
; %bb.13:
	v_bfe_u32 v76, v90, 16, 1
	s_delay_alu instid0(VALU_DEP_1)
	v_add3_u32 v76, v90, v76, 0x7fff
                                        ; implicit-def: $vgpr90
; %bb.14:
	s_and_not1_saveexec_b32 s2, s2
; %bb.15:
	v_and_b32_e32 v76, 0xffff, v90
	v_or_b32_e32 v83, 0x10000, v90
	s_delay_alu instid0(VALU_DEP_2) | instskip(NEXT) | instid1(VALU_DEP_2)
	v_cmp_eq_u32_e32 vcc_lo, 0, v76
	v_cndmask_b32_e32 v76, v83, v90, vcc_lo
; %bb.16:
	s_or_b32 exec_lo, exec_lo, s2
	v_and_b32_e32 v83, 0x7f800000, v85
	s_delay_alu instid0(VALU_DEP_1) | instskip(SKIP_1) | instid1(SALU_CYCLE_1)
	v_cmp_ne_u32_e32 vcc_lo, 0x7f800000, v83
                                        ; implicit-def: $vgpr83
	s_and_saveexec_b32 s2, vcc_lo
	s_xor_b32 s2, exec_lo, s2
; %bb.17:
	v_bfe_u32 v83, v85, 16, 1
	s_delay_alu instid0(VALU_DEP_1)
	v_add3_u32 v83, v85, v83, 0x7fff
                                        ; implicit-def: $vgpr85
; %bb.18:
	s_and_not1_saveexec_b32 s2, s2
; %bb.19:
	v_and_b32_e32 v83, 0xffff, v85
	v_or_b32_e32 v90, 0x10000, v85
	s_delay_alu instid0(VALU_DEP_2) | instskip(NEXT) | instid1(VALU_DEP_2)
	v_cmp_eq_u32_e32 vcc_lo, 0, v83
	v_cndmask_b32_e32 v83, v90, v85, vcc_lo
; %bb.20:
	s_or_b32 exec_lo, exec_lo, s2
	v_and_b32_e32 v85, 0x7f800000, v86
	s_delay_alu instid0(VALU_DEP_1) | instskip(SKIP_1) | instid1(SALU_CYCLE_1)
	v_cmp_ne_u32_e32 vcc_lo, 0x7f800000, v85
                                        ; implicit-def: $vgpr85
	s_and_saveexec_b32 s2, vcc_lo
	s_xor_b32 s2, exec_lo, s2
; %bb.21:
	v_bfe_u32 v85, v86, 16, 1
	s_delay_alu instid0(VALU_DEP_1)
	v_add3_u32 v85, v86, v85, 0x7fff
                                        ; implicit-def: $vgpr86
; %bb.22:
	s_and_not1_saveexec_b32 s2, s2
; %bb.23:
	v_and_b32_e32 v85, 0xffff, v86
	v_or_b32_e32 v90, 0x10000, v86
	s_delay_alu instid0(VALU_DEP_2) | instskip(NEXT) | instid1(VALU_DEP_2)
	v_cmp_eq_u32_e32 vcc_lo, 0, v85
	v_cndmask_b32_e32 v85, v90, v86, vcc_lo
; %bb.24:
	s_or_b32 exec_lo, exec_lo, s2
	v_and_b32_e32 v86, 0x7f800000, v89
	s_delay_alu instid0(VALU_DEP_1) | instskip(SKIP_1) | instid1(SALU_CYCLE_1)
	v_cmp_ne_u32_e32 vcc_lo, 0x7f800000, v86
                                        ; implicit-def: $vgpr86
	s_and_saveexec_b32 s2, vcc_lo
	s_xor_b32 s2, exec_lo, s2
; %bb.25:
	v_bfe_u32 v86, v89, 16, 1
	s_delay_alu instid0(VALU_DEP_1)
	v_add3_u32 v86, v89, v86, 0x7fff
                                        ; implicit-def: $vgpr89
; %bb.26:
	s_and_not1_saveexec_b32 s2, s2
; %bb.27:
	v_and_b32_e32 v86, 0xffff, v89
	v_or_b32_e32 v90, 0x10000, v89
	s_delay_alu instid0(VALU_DEP_2) | instskip(NEXT) | instid1(VALU_DEP_2)
	v_cmp_eq_u32_e32 vcc_lo, 0, v86
	v_cndmask_b32_e32 v86, v90, v89, vcc_lo
; %bb.28:
	s_or_b32 exec_lo, exec_lo, s2
	v_and_b32_e32 v89, 0x7f800000, v88
	s_delay_alu instid0(VALU_DEP_1) | instskip(SKIP_1) | instid1(SALU_CYCLE_1)
	v_cmp_ne_u32_e32 vcc_lo, 0x7f800000, v89
                                        ; implicit-def: $vgpr89
	s_and_saveexec_b32 s2, vcc_lo
	s_xor_b32 s2, exec_lo, s2
; %bb.29:
	v_bfe_u32 v89, v88, 16, 1
	s_delay_alu instid0(VALU_DEP_1)
	v_add3_u32 v89, v88, v89, 0x7fff
                                        ; implicit-def: $vgpr88
; %bb.30:
	s_and_not1_saveexec_b32 s2, s2
; %bb.31:
	v_and_b32_e32 v89, 0xffff, v88
	v_or_b32_e32 v90, 0x10000, v88
	s_delay_alu instid0(VALU_DEP_2) | instskip(NEXT) | instid1(VALU_DEP_2)
	v_cmp_eq_u32_e32 vcc_lo, 0, v89
	v_cndmask_b32_e32 v89, v90, v88, vcc_lo
; %bb.32:
	s_or_b32 exec_lo, exec_lo, s2
	v_and_b32_e32 v88, 0x7f800000, v87
	s_delay_alu instid0(VALU_DEP_1) | instskip(SKIP_1) | instid1(SALU_CYCLE_1)
	v_cmp_ne_u32_e32 vcc_lo, 0x7f800000, v88
                                        ; implicit-def: $vgpr88
	s_and_saveexec_b32 s2, vcc_lo
	s_xor_b32 s2, exec_lo, s2
; %bb.33:
	v_bfe_u32 v88, v87, 16, 1
	s_delay_alu instid0(VALU_DEP_1)
	v_add3_u32 v88, v87, v88, 0x7fff
                                        ; implicit-def: $vgpr87
; %bb.34:
	s_and_not1_saveexec_b32 s2, s2
; %bb.35:
	v_and_b32_e32 v88, 0xffff, v87
	v_or_b32_e32 v90, 0x10000, v87
	s_delay_alu instid0(VALU_DEP_2) | instskip(NEXT) | instid1(VALU_DEP_2)
	v_cmp_eq_u32_e32 vcc_lo, 0, v88
	v_cndmask_b32_e32 v88, v90, v87, vcc_lo
; %bb.36:
	s_or_b32 exec_lo, exec_lo, s2
	v_and_b32_e32 v87, 0x7f800000, v84
	s_delay_alu instid0(VALU_DEP_1) | instskip(SKIP_1) | instid1(SALU_CYCLE_1)
	v_cmp_ne_u32_e32 vcc_lo, 0x7f800000, v87
                                        ; implicit-def: $vgpr87
	s_and_saveexec_b32 s2, vcc_lo
	s_xor_b32 s2, exec_lo, s2
; %bb.37:
	v_bfe_u32 v87, v84, 16, 1
	s_delay_alu instid0(VALU_DEP_1)
	v_add3_u32 v87, v84, v87, 0x7fff
                                        ; implicit-def: $vgpr84
; %bb.38:
	s_and_not1_saveexec_b32 s2, s2
; %bb.39:
	v_and_b32_e32 v87, 0xffff, v84
	v_or_b32_e32 v90, 0x10000, v84
	s_delay_alu instid0(VALU_DEP_2) | instskip(NEXT) | instid1(VALU_DEP_2)
	v_cmp_eq_u32_e32 vcc_lo, 0, v87
	v_cndmask_b32_e32 v87, v90, v84, vcc_lo
; %bb.40:
	s_or_b32 exec_lo, exec_lo, s2
	v_and_b32_e32 v84, 0x7f800000, v80
	s_delay_alu instid0(VALU_DEP_1) | instskip(SKIP_1) | instid1(SALU_CYCLE_1)
	v_cmp_ne_u32_e32 vcc_lo, 0x7f800000, v84
                                        ; implicit-def: $vgpr84
	s_and_saveexec_b32 s2, vcc_lo
	s_xor_b32 s2, exec_lo, s2
; %bb.41:
	v_bfe_u32 v84, v80, 16, 1
	s_delay_alu instid0(VALU_DEP_1)
	v_add3_u32 v84, v80, v84, 0x7fff
                                        ; implicit-def: $vgpr80
; %bb.42:
	s_and_not1_saveexec_b32 s2, s2
; %bb.43:
	v_and_b32_e32 v84, 0xffff, v80
	v_or_b32_e32 v90, 0x10000, v80
	s_delay_alu instid0(VALU_DEP_2) | instskip(NEXT) | instid1(VALU_DEP_2)
	v_cmp_eq_u32_e32 vcc_lo, 0, v84
	v_cndmask_b32_e32 v84, v90, v80, vcc_lo
; %bb.44:
	s_or_b32 exec_lo, exec_lo, s2
	s_load_b64 s[34:35], s[0:1], 0x94
	v_lshlrev_b32_e32 v91, 4, v74
	s_delay_alu instid0(VALU_DEP_2)
	v_perm_b32 v90, v84, v87, 0x7060302
	v_dual_mul_f32 v77, v82, v77 :: v_dual_lshlrev_b32 v80, 6, v66
	v_lshlrev_b32_e32 v66, 11, v65
	v_perm_b32 v87, v83, v76, 0x7060302
	v_mul_f32_e32 v83, v82, v70
	v_perm_b32 v89, v88, v89, 0x7060302
	v_perm_b32 v88, v86, v85, 0x7060302
	v_or3_b32 v76, v91, v66, v80
	v_mul_f32_e32 v66, v82, v81
	v_mul_f32_e32 v70, v82, v79
	;; [unrolled: 1-line block ×3, first 2 shown]
	v_dual_mul_f32 v81, v82, v72 :: v_dual_and_b32 v84, 0x7f800000, v83
	v_mul_f32_e32 v79, v82, v71
	v_mul_f32_e32 v72, v82, v69
	s_mov_b32 s2, exec_lo
	ds_store_b128 v76, v[87:90]
                                        ; implicit-def: $vgpr69
	v_cmpx_ne_u32_e32 0x7f800000, v84
	s_xor_b32 s2, exec_lo, s2
; %bb.45:
	v_bfe_u32 v69, v83, 16, 1
	s_delay_alu instid0(VALU_DEP_1)
	v_add3_u32 v69, v83, v69, 0x7fff
                                        ; implicit-def: $vgpr83
; %bb.46:
	s_and_not1_saveexec_b32 s2, s2
; %bb.47:
	v_and_b32_e32 v69, 0xffff, v83
	v_or_b32_e32 v71, 0x10000, v83
	s_delay_alu instid0(VALU_DEP_2) | instskip(NEXT) | instid1(VALU_DEP_2)
	v_cmp_eq_u32_e32 vcc_lo, 0, v69
	v_cndmask_b32_e32 v69, v71, v83, vcc_lo
; %bb.48:
	s_or_b32 exec_lo, exec_lo, s2
	v_and_b32_e32 v71, 0x7f800000, v72
	s_delay_alu instid0(VALU_DEP_1) | instskip(SKIP_1) | instid1(SALU_CYCLE_1)
	v_cmp_ne_u32_e32 vcc_lo, 0x7f800000, v71
                                        ; implicit-def: $vgpr71
	s_and_saveexec_b32 s2, vcc_lo
	s_xor_b32 s2, exec_lo, s2
; %bb.49:
	v_bfe_u32 v71, v72, 16, 1
	s_delay_alu instid0(VALU_DEP_1)
	v_add3_u32 v71, v72, v71, 0x7fff
                                        ; implicit-def: $vgpr72
; %bb.50:
	s_and_not1_saveexec_b32 s2, s2
; %bb.51:
	v_and_b32_e32 v71, 0xffff, v72
	v_or_b32_e32 v82, 0x10000, v72
	s_delay_alu instid0(VALU_DEP_2) | instskip(NEXT) | instid1(VALU_DEP_2)
	v_cmp_eq_u32_e32 vcc_lo, 0, v71
	v_cndmask_b32_e32 v71, v82, v72, vcc_lo
; %bb.52:
	s_or_b32 exec_lo, exec_lo, s2
	v_and_b32_e32 v72, 0x7f800000, v79
	s_delay_alu instid0(VALU_DEP_1) | instskip(SKIP_1) | instid1(SALU_CYCLE_1)
	v_cmp_ne_u32_e32 vcc_lo, 0x7f800000, v72
                                        ; implicit-def: $vgpr72
	s_and_saveexec_b32 s2, vcc_lo
	s_xor_b32 s2, exec_lo, s2
; %bb.53:
	v_bfe_u32 v72, v79, 16, 1
	s_delay_alu instid0(VALU_DEP_1)
	v_add3_u32 v72, v79, v72, 0x7fff
                                        ; implicit-def: $vgpr79
; %bb.54:
	s_and_not1_saveexec_b32 s2, s2
; %bb.55:
	v_and_b32_e32 v72, 0xffff, v79
	v_or_b32_e32 v82, 0x10000, v79
	s_delay_alu instid0(VALU_DEP_2) | instskip(NEXT) | instid1(VALU_DEP_2)
	v_cmp_eq_u32_e32 vcc_lo, 0, v72
	v_cndmask_b32_e32 v72, v82, v79, vcc_lo
; %bb.56:
	s_or_b32 exec_lo, exec_lo, s2
	v_and_b32_e32 v79, 0x7f800000, v81
	s_delay_alu instid0(VALU_DEP_1) | instskip(SKIP_1) | instid1(SALU_CYCLE_1)
	v_cmp_ne_u32_e32 vcc_lo, 0x7f800000, v79
                                        ; implicit-def: $vgpr79
	s_and_saveexec_b32 s2, vcc_lo
	s_xor_b32 s2, exec_lo, s2
; %bb.57:
	v_bfe_u32 v79, v81, 16, 1
	s_delay_alu instid0(VALU_DEP_1)
	v_add3_u32 v79, v81, v79, 0x7fff
                                        ; implicit-def: $vgpr81
; %bb.58:
	s_and_not1_saveexec_b32 s2, s2
; %bb.59:
	v_and_b32_e32 v79, 0xffff, v81
	v_or_b32_e32 v82, 0x10000, v81
	s_delay_alu instid0(VALU_DEP_2) | instskip(NEXT) | instid1(VALU_DEP_2)
	v_cmp_eq_u32_e32 vcc_lo, 0, v79
	v_cndmask_b32_e32 v79, v82, v81, vcc_lo
; %bb.60:
	s_or_b32 exec_lo, exec_lo, s2
	v_and_b32_e32 v81, 0x7f800000, v77
	s_delay_alu instid0(VALU_DEP_1) | instskip(SKIP_1) | instid1(SALU_CYCLE_1)
	v_cmp_ne_u32_e32 vcc_lo, 0x7f800000, v81
                                        ; implicit-def: $vgpr81
	s_and_saveexec_b32 s2, vcc_lo
	s_xor_b32 s2, exec_lo, s2
; %bb.61:
	v_bfe_u32 v81, v77, 16, 1
	s_delay_alu instid0(VALU_DEP_1)
	v_add3_u32 v81, v77, v81, 0x7fff
                                        ; implicit-def: $vgpr77
; %bb.62:
	s_and_not1_saveexec_b32 s2, s2
; %bb.63:
	v_and_b32_e32 v81, 0xffff, v77
	v_or_b32_e32 v82, 0x10000, v77
	s_delay_alu instid0(VALU_DEP_2) | instskip(NEXT) | instid1(VALU_DEP_2)
	v_cmp_eq_u32_e32 vcc_lo, 0, v81
	v_cndmask_b32_e32 v81, v82, v77, vcc_lo
; %bb.64:
	s_or_b32 exec_lo, exec_lo, s2
	v_and_b32_e32 v77, 0x7f800000, v78
	s_delay_alu instid0(VALU_DEP_1) | instskip(SKIP_1) | instid1(SALU_CYCLE_1)
	v_cmp_ne_u32_e32 vcc_lo, 0x7f800000, v77
                                        ; implicit-def: $vgpr77
	s_and_saveexec_b32 s2, vcc_lo
	s_xor_b32 s2, exec_lo, s2
; %bb.65:
	v_bfe_u32 v77, v78, 16, 1
	s_delay_alu instid0(VALU_DEP_1)
	v_add3_u32 v77, v78, v77, 0x7fff
                                        ; implicit-def: $vgpr78
; %bb.66:
	s_and_not1_saveexec_b32 s2, s2
; %bb.67:
	v_and_b32_e32 v77, 0xffff, v78
	v_or_b32_e32 v82, 0x10000, v78
	s_delay_alu instid0(VALU_DEP_2) | instskip(NEXT) | instid1(VALU_DEP_2)
	v_cmp_eq_u32_e32 vcc_lo, 0, v77
	v_cndmask_b32_e32 v77, v82, v78, vcc_lo
; %bb.68:
	s_or_b32 exec_lo, exec_lo, s2
	v_and_b32_e32 v78, 0x7f800000, v70
	s_delay_alu instid0(VALU_DEP_1) | instskip(SKIP_1) | instid1(SALU_CYCLE_1)
	v_cmp_ne_u32_e32 vcc_lo, 0x7f800000, v78
                                        ; implicit-def: $vgpr78
	s_and_saveexec_b32 s2, vcc_lo
	s_xor_b32 s2, exec_lo, s2
; %bb.69:
	v_bfe_u32 v78, v70, 16, 1
	s_delay_alu instid0(VALU_DEP_1)
	v_add3_u32 v78, v70, v78, 0x7fff
                                        ; implicit-def: $vgpr70
; %bb.70:
	s_and_not1_saveexec_b32 s2, s2
; %bb.71:
	v_and_b32_e32 v78, 0xffff, v70
	v_or_b32_e32 v82, 0x10000, v70
	s_delay_alu instid0(VALU_DEP_2) | instskip(NEXT) | instid1(VALU_DEP_2)
	v_cmp_eq_u32_e32 vcc_lo, 0, v78
	v_cndmask_b32_e32 v78, v82, v70, vcc_lo
; %bb.72:
	s_or_b32 exec_lo, exec_lo, s2
	v_and_b32_e32 v70, 0x7f800000, v66
	s_delay_alu instid0(VALU_DEP_1) | instskip(SKIP_1) | instid1(SALU_CYCLE_1)
	v_cmp_ne_u32_e32 vcc_lo, 0x7f800000, v70
                                        ; implicit-def: $vgpr70
	s_and_saveexec_b32 s2, vcc_lo
	s_xor_b32 s2, exec_lo, s2
; %bb.73:
	v_bfe_u32 v70, v66, 16, 1
	s_delay_alu instid0(VALU_DEP_1)
	v_add3_u32 v70, v66, v70, 0x7fff
                                        ; implicit-def: $vgpr66
; %bb.74:
	s_and_not1_saveexec_b32 s2, s2
; %bb.75:
	v_and_b32_e32 v70, 0xffff, v66
	v_or_b32_e32 v82, 0x10000, v66
	s_delay_alu instid0(VALU_DEP_2) | instskip(NEXT) | instid1(VALU_DEP_2)
	v_cmp_eq_u32_e32 vcc_lo, 0, v70
	v_cndmask_b32_e32 v70, v82, v66, vcc_lo
; %bb.76:
	s_or_b32 exec_lo, exec_lo, s2
	s_delay_alu instid0(VALU_DEP_1)
	v_perm_b32 v86, v70, v78, 0x7060302
	v_perm_b32 v85, v77, v81, 0x7060302
	;; [unrolled: 1-line block ×4, first 2 shown]
	v_lshl_or_b32 v82, v65, 11, v80
	ds_store_b128 v76, v[83:86] offset:1024
	s_waitcnt lgkmcnt(0)
	s_barrier
	buffer_gl0_inv
	ds_load_b128 v[69:72], v82
	ds_load_b128 v[83:86], v82 offset:16
	s_waitcnt lgkmcnt(1)
	v_lshrrev_b32_e32 v65, 16, v69
	v_lshlrev_b32_e32 v78, 2, v74
	s_waitcnt lgkmcnt(0)
	v_lshrrev_b32_e32 v91, 16, v83
	v_lshrrev_b32_e32 v66, 16, v70
	;; [unrolled: 1-line block ×4, first 2 shown]
	v_cmp_eq_u32_e32 vcc_lo, 1, v78
	v_lshrrev_b32_e32 v98, 16, v85
	v_lshrrev_b32_e32 v96, 16, v72
	;; [unrolled: 1-line block ×3, first 2 shown]
	v_cndmask_b32_e32 v81, v69, v65, vcc_lo
	v_or_b32_e32 v79, 1, v78
	v_cmp_eq_u32_e64 s3, 2, v78
	v_cndmask_b32_e32 v87, v83, v91, vcc_lo
	v_cmp_eq_u32_e64 s6, 3, v78
	v_cmp_eq_u32_e64 s8, 4, v78
	;; [unrolled: 1-line block ×3, first 2 shown]
	v_cndmask_b32_e64 v81, v81, v70, s3
	v_cmp_eq_u32_e64 s5, 2, v79
	v_cndmask_b32_e64 v87, v87, v84, s3
	v_cmp_eq_u32_e64 s7, 3, v79
	v_cndmask_b32_e64 v88, v69, v65, s2
	v_cndmask_b32_e64 v81, v81, v66, s6
	v_or_b32_e32 v77, 2, v78
	v_cndmask_b32_e64 v87, v87, v97, s6
	v_cndmask_b32_e64 v89, v83, v91, s2
	;; [unrolled: 1-line block ×4, first 2 shown]
	v_cmp_eq_u32_e64 s9, 5, v78
	v_cndmask_b32_e64 v87, v87, v85, s8
	v_cmp_eq_u32_e64 s10, 4, v79
	v_cndmask_b32_e64 v88, v88, v66, s7
	v_cmp_eq_u32_e64 s4, 1, v77
	v_cndmask_b32_e64 v89, v89, v84, s5
	v_cndmask_b32_e64 v81, v81, v95, s9
	v_cmp_eq_u32_e64 s11, 6, v78
	v_cndmask_b32_e64 v88, v88, v71, s10
	v_cndmask_b32_e64 v87, v87, v98, s9
	v_cmp_eq_u32_e64 s12, 5, v79
	v_cndmask_b32_e64 v90, v69, v65, s4
	v_cndmask_b32_e64 v89, v89, v97, s7
	;; [unrolled: 1-line block ×3, first 2 shown]
	v_cmp_eq_u32_e64 s13, 7, v78
	v_cndmask_b32_e64 v88, v88, v95, s12
	v_cndmask_b32_e64 v87, v87, v86, s11
	v_cmp_eq_u32_e64 s15, 6, v79
	v_cmp_eq_u32_e64 s16, 2, v77
	v_cndmask_b32_e64 v89, v89, v85, s10
	v_cndmask_b32_e64 v100, v81, v96, s13
	;; [unrolled: 1-line block ×6, first 2 shown]
	v_cmp_eq_u32_e64 s17, 7, v79
	v_cmp_eq_u32_e64 s18, 3, v77
	;; [unrolled: 1-line block ×4, first 2 shown]
	v_cndmask_b32_e64 v87, v87, v84, s16
	v_cndmask_b32_e64 v102, v88, v96, s17
	;; [unrolled: 1-line block ×4, first 2 shown]
	v_or_b32_e32 v81, 3, v78
	v_cndmask_b32_e64 v93, v87, v97, s18
	v_cmp_eq_u32_e64 s23, 6, v77
	v_cndmask_b32_e64 v103, v88, v86, s15
	v_cndmask_b32_e64 v92, v89, v71, s19
	v_cmp_eq_u32_e64 s20, 1, v81
	ds_load_b128 v[87:90], v82 offset:1024
	v_cmp_eq_u32_e64 s22, 2, v81
	v_cmp_eq_u32_e64 s24, 3, v81
	v_cndmask_b32_e64 v104, v92, v95, s21
	v_cndmask_b32_e64 v65, v69, v65, s20
	;; [unrolled: 1-line block ×4, first 2 shown]
	ds_load_b128 v[91:94], v82 offset:1040
	v_cmp_eq_u32_e64 s25, 4, v81
	v_cndmask_b32_e64 v65, v65, v70, s22
	v_cmp_eq_u32_e64 s27, 5, v81
	v_cndmask_b32_e64 v70, v83, v84, s22
	;; [unrolled: 2-line block ×3, first 2 shown]
	v_cndmask_b32_e64 v65, v65, v66, s24
	v_cndmask_b32_e64 v66, v104, v72, s23
	;; [unrolled: 1-line block ×3, first 2 shown]
	v_cmp_eq_u32_e64 s26, 7, v77
	v_cndmask_b32_e64 v69, v69, v86, s23
	v_cndmask_b32_e64 v65, v65, v71, s25
	s_waitcnt lgkmcnt(1)
	v_lshrrev_b32_e32 v84, 16, v87
	v_cndmask_b32_e64 v70, v70, v85, s25
	v_cndmask_b32_e64 v83, v103, v99, s17
	v_cndmask_b32_e64 v66, v66, v96, s26
	v_cndmask_b32_e64 v65, v65, v95, s27
	v_lshrrev_b32_e32 v95, 16, v88
	v_cndmask_b32_e64 v70, v70, v98, s27
	s_waitcnt lgkmcnt(0)
	v_lshrrev_b32_e32 v85, 16, v91
	v_cndmask_b32_e64 v97, v87, v84, s2
	v_cndmask_b32_e64 v65, v65, v72, s28
	;; [unrolled: 1-line block ×4, first 2 shown]
	v_cndmask_b32_e32 v71, v87, v84, vcc_lo
	v_cndmask_b32_e32 v98, v91, v85, vcc_lo
	v_cmp_eq_u32_e32 vcc_lo, 7, v81
	v_cndmask_b32_e64 v72, v97, v88, s5
	v_lshrrev_b32_e32 v97, 16, v92
	v_lshrrev_b32_e32 v103, 16, v90
	v_dual_cndmask_b32 v65, v65, v96 :: v_dual_cndmask_b32 v70, v70, v99
	v_cndmask_b32_e64 v71, v71, v88, s3
	v_cndmask_b32_e64 v86, v98, v92, s3
	;; [unrolled: 1-line block ×3, first 2 shown]
	v_lshrrev_b32_e32 v98, 16, v89
	v_lshrrev_b32_e32 v99, 16, v93
	v_cndmask_b32_e64 v71, v71, v95, s6
	v_cndmask_b32_e64 v86, v86, v97, s6
	v_cndmask_b32_e64 v96, v72, v89, s10
	v_perm_b32 v72, v70, v65, 0x5040100
	v_perm_b32 v70, v83, v102, 0x5040100
	v_cndmask_b32_e64 v71, v71, v89, s8
	v_cndmask_b32_e64 v86, v86, v93, s8
	v_cndmask_b32_e64 v65, v96, v98, s12
	v_lshrrev_b32_e32 v83, 16, v94
	s_delay_alu instid0(VALU_DEP_4) | instskip(NEXT) | instid1(VALU_DEP_4)
	v_cndmask_b32_e64 v71, v71, v98, s9
	v_cndmask_b32_e64 v86, v86, v99, s9
	s_delay_alu instid0(VALU_DEP_4) | instskip(NEXT) | instid1(VALU_DEP_3)
	v_cndmask_b32_e64 v65, v65, v90, s15
	v_cndmask_b32_e64 v96, v71, v90, s11
	v_perm_b32 v71, v69, v66, 0x5040100
	s_delay_alu instid0(VALU_DEP_4)
	v_cndmask_b32_e64 v69, v86, v94, s11
	v_cndmask_b32_e64 v86, v87, v84, s4
	;; [unrolled: 1-line block ×34, first 2 shown]
	v_cndmask_b32_e32 v84, v84, v103, vcc_lo
	v_cndmask_b32_e32 v86, v87, v83, vcc_lo
	v_cndmask_b32_e64 v87, v88, v83, s26
	v_cndmask_b32_e64 v88, v85, v83, s17
	;; [unrolled: 1-line block ×3, first 2 shown]
	v_perm_b32 v69, v101, v100, 0x5040100
	v_perm_b32 v86, v86, v84, 0x5040100
	;; [unrolled: 1-line block ×5, first 2 shown]
	s_lshl_b32 s7, s35, 2
	s_mov_b32 s2, exec_lo
	ds_store_b128 v76, v[69:72]
	ds_store_b128 v76, v[83:86] offset:1024
	v_cmpx_gt_u32_e32 4, v0
	s_cbranch_execz .LBB1645_78
; %bb.77:
	v_or_b32_e32 v65, s29, v0
	s_load_b128 s[8:11], s[0:1], 0x58
	s_delay_alu instid0(VALU_DEP_1) | instskip(NEXT) | instid1(VALU_DEP_1)
	v_mad_u64_u32 v[69:70], null, s7, s30, v[65:66]
	v_mad_u64_u32 v[65:66], null, v69, s34, s[14:15]
	s_delay_alu instid0(VALU_DEP_1) | instskip(NEXT) | instid1(VALU_DEP_1)
	v_ashrrev_i32_e32 v66, 31, v65
	v_lshlrev_b64 v[65:66], 2, v[65:66]
	s_waitcnt lgkmcnt(0)
	s_delay_alu instid0(VALU_DEP_1) | instskip(NEXT) | instid1(VALU_DEP_2)
	v_add_co_u32 v69, vcc_lo, s10, v65
	v_add_co_ci_u32_e32 v70, vcc_lo, s11, v66, vcc_lo
	v_add_co_u32 v65, vcc_lo, s8, v65
	v_add_co_ci_u32_e32 v66, vcc_lo, s9, v66, vcc_lo
	global_store_b32 v[69:70], v67, off
	global_store_b32 v[65:66], v68, off
.LBB1645_78:
	s_or_b32 exec_lo, exec_lo, s2
	s_waitcnt lgkmcnt(0)
	s_waitcnt_vscnt null, 0x0
	s_barrier
	buffer_gl0_inv
	ds_load_b128 v[83:86], v80
	ds_load_b128 v[87:90], v80 offset:16
	ds_load_b128 v[95:98], v80 offset:2064
	;; [unrolled: 1-line block ×3, first 2 shown]
	v_mov_b32_e32 v65, 0
	ds_load_b128 v[103:106], v80 offset:4112
	ds_load_b128 v[99:102], v80 offset:4096
	;; [unrolled: 1-line block ×4, first 2 shown]
	v_mov_b32_e32 v66, v65
	v_mov_b32_e32 v67, v65
	;; [unrolled: 1-line block ×7, first 2 shown]
	s_waitcnt lgkmcnt(6)
	s_delay_alu instid0(VALU_DEP_1)
	v_wmma_f32_16x16x16_bf16 v[65:72], v[49:56], v[83:90], v[65:72]
	ds_load_b128 v[53:56], v80 offset:8208
	ds_load_b128 v[49:52], v80 offset:8192
	s_waitcnt lgkmcnt(6)
	v_wmma_f32_16x16x16_bf16 v[65:72], v[41:48], v[91:98], v[65:72]
	ds_load_b128 v[45:48], v80 offset:10256
	ds_load_b128 v[41:44], v80 offset:10240
	s_waitcnt lgkmcnt(6)
	;; [unrolled: 4-line block ×4, first 2 shown]
	v_wmma_f32_16x16x16_bf16 v[65:72], v[1:8], v[49:56], v[65:72]
	s_waitcnt lgkmcnt(4)
	s_delay_alu instid0(VALU_DEP_1) | instskip(SKIP_1) | instid1(VALU_DEP_1)
	v_wmma_f32_16x16x16_bf16 v[65:72], v[9:16], v[41:48], v[65:72]
	s_waitcnt lgkmcnt(2)
	v_wmma_f32_16x16x16_bf16 v[65:72], v[17:24], v[33:40], v[65:72]
	s_waitcnt lgkmcnt(0)
	s_delay_alu instid0(VALU_DEP_1) | instskip(NEXT) | instid1(VALU_DEP_1)
	v_wmma_f32_16x16x16_bf16 v[65:72], v[57:64], v[25:32], v[65:72]
	v_and_b32_e32 v1, 0x7f800000, v65
	s_delay_alu instid0(VALU_DEP_1) | instskip(SKIP_1) | instid1(SALU_CYCLE_1)
	v_cmp_ne_u32_e32 vcc_lo, 0x7f800000, v1
                                        ; implicit-def: $vgpr1
	s_and_saveexec_b32 s2, vcc_lo
	s_xor_b32 s2, exec_lo, s2
; %bb.79:
	v_bfe_u32 v1, v65, 16, 1
	s_delay_alu instid0(VALU_DEP_1)
	v_add3_u32 v1, v65, v1, 0x7fff
; %bb.80:
	s_and_not1_saveexec_b32 s2, s2
; %bb.81:
	v_and_b32_e32 v1, 0xffff, v65
	v_or_b32_e32 v2, 0x10000, v65
	s_delay_alu instid0(VALU_DEP_2) | instskip(NEXT) | instid1(VALU_DEP_2)
	v_cmp_eq_u32_e32 vcc_lo, 0, v1
	v_cndmask_b32_e32 v1, v2, v65, vcc_lo
; %bb.82:
	s_or_b32 exec_lo, exec_lo, s2
	v_and_b32_e32 v2, 0x7f800000, v66
	s_delay_alu instid0(VALU_DEP_1) | instskip(SKIP_1) | instid1(SALU_CYCLE_1)
	v_cmp_ne_u32_e32 vcc_lo, 0x7f800000, v2
                                        ; implicit-def: $vgpr2
	s_and_saveexec_b32 s2, vcc_lo
	s_xor_b32 s2, exec_lo, s2
; %bb.83:
	v_bfe_u32 v2, v66, 16, 1
	s_delay_alu instid0(VALU_DEP_1)
	v_add3_u32 v2, v66, v2, 0x7fff
; %bb.84:
	s_and_not1_saveexec_b32 s2, s2
; %bb.85:
	v_and_b32_e32 v2, 0xffff, v66
	v_or_b32_e32 v3, 0x10000, v66
	s_delay_alu instid0(VALU_DEP_2) | instskip(NEXT) | instid1(VALU_DEP_2)
	v_cmp_eq_u32_e32 vcc_lo, 0, v2
	v_cndmask_b32_e32 v2, v3, v66, vcc_lo
; %bb.86:
	s_or_b32 exec_lo, exec_lo, s2
	v_and_b32_e32 v3, 0x7f800000, v67
	s_delay_alu instid0(VALU_DEP_1) | instskip(SKIP_1) | instid1(SALU_CYCLE_1)
	v_cmp_ne_u32_e32 vcc_lo, 0x7f800000, v3
                                        ; implicit-def: $vgpr3
	s_and_saveexec_b32 s2, vcc_lo
	s_xor_b32 s2, exec_lo, s2
; %bb.87:
	v_bfe_u32 v3, v67, 16, 1
	s_delay_alu instid0(VALU_DEP_1)
	v_add3_u32 v3, v67, v3, 0x7fff
; %bb.88:
	s_and_not1_saveexec_b32 s2, s2
; %bb.89:
	v_and_b32_e32 v3, 0xffff, v67
	v_or_b32_e32 v4, 0x10000, v67
	s_delay_alu instid0(VALU_DEP_2) | instskip(NEXT) | instid1(VALU_DEP_2)
	v_cmp_eq_u32_e32 vcc_lo, 0, v3
	v_cndmask_b32_e32 v3, v4, v67, vcc_lo
; %bb.90:
	s_or_b32 exec_lo, exec_lo, s2
	v_and_b32_e32 v4, 0x7f800000, v68
	s_delay_alu instid0(VALU_DEP_1) | instskip(SKIP_1) | instid1(SALU_CYCLE_1)
	v_cmp_ne_u32_e32 vcc_lo, 0x7f800000, v4
                                        ; implicit-def: $vgpr4
	s_and_saveexec_b32 s2, vcc_lo
	s_xor_b32 s2, exec_lo, s2
; %bb.91:
	v_bfe_u32 v4, v68, 16, 1
	s_delay_alu instid0(VALU_DEP_1)
	v_add3_u32 v4, v68, v4, 0x7fff
; %bb.92:
	s_and_not1_saveexec_b32 s2, s2
; %bb.93:
	v_and_b32_e32 v4, 0xffff, v68
	v_or_b32_e32 v5, 0x10000, v68
	s_delay_alu instid0(VALU_DEP_2) | instskip(NEXT) | instid1(VALU_DEP_2)
	v_cmp_eq_u32_e32 vcc_lo, 0, v4
	v_cndmask_b32_e32 v4, v5, v68, vcc_lo
; %bb.94:
	s_or_b32 exec_lo, exec_lo, s2
	v_and_b32_e32 v5, 0x7f800000, v69
	s_delay_alu instid0(VALU_DEP_1) | instskip(SKIP_1) | instid1(SALU_CYCLE_1)
	v_cmp_ne_u32_e32 vcc_lo, 0x7f800000, v5
                                        ; implicit-def: $vgpr5
	s_and_saveexec_b32 s2, vcc_lo
	s_xor_b32 s2, exec_lo, s2
; %bb.95:
	v_bfe_u32 v5, v69, 16, 1
	s_delay_alu instid0(VALU_DEP_1)
	v_add3_u32 v5, v69, v5, 0x7fff
; %bb.96:
	s_and_not1_saveexec_b32 s2, s2
; %bb.97:
	v_and_b32_e32 v5, 0xffff, v69
	v_or_b32_e32 v6, 0x10000, v69
	s_delay_alu instid0(VALU_DEP_2) | instskip(NEXT) | instid1(VALU_DEP_2)
	v_cmp_eq_u32_e32 vcc_lo, 0, v5
	v_cndmask_b32_e32 v5, v6, v69, vcc_lo
; %bb.98:
	s_or_b32 exec_lo, exec_lo, s2
	v_and_b32_e32 v6, 0x7f800000, v70
	s_delay_alu instid0(VALU_DEP_1) | instskip(SKIP_1) | instid1(SALU_CYCLE_1)
	v_cmp_ne_u32_e32 vcc_lo, 0x7f800000, v6
                                        ; implicit-def: $vgpr6
	s_and_saveexec_b32 s2, vcc_lo
	s_xor_b32 s2, exec_lo, s2
; %bb.99:
	v_bfe_u32 v6, v70, 16, 1
	s_delay_alu instid0(VALU_DEP_1)
	v_add3_u32 v6, v70, v6, 0x7fff
; %bb.100:
	s_and_not1_saveexec_b32 s2, s2
; %bb.101:
	v_and_b32_e32 v6, 0xffff, v70
	v_or_b32_e32 v7, 0x10000, v70
	s_delay_alu instid0(VALU_DEP_2) | instskip(NEXT) | instid1(VALU_DEP_2)
	v_cmp_eq_u32_e32 vcc_lo, 0, v6
	v_cndmask_b32_e32 v6, v7, v70, vcc_lo
; %bb.102:
	s_or_b32 exec_lo, exec_lo, s2
	v_and_b32_e32 v7, 0x7f800000, v71
	s_delay_alu instid0(VALU_DEP_1) | instskip(SKIP_1) | instid1(SALU_CYCLE_1)
	v_cmp_ne_u32_e32 vcc_lo, 0x7f800000, v7
                                        ; implicit-def: $vgpr7
	s_and_saveexec_b32 s2, vcc_lo
	s_xor_b32 s2, exec_lo, s2
; %bb.103:
	v_bfe_u32 v7, v71, 16, 1
	s_delay_alu instid0(VALU_DEP_1)
	v_add3_u32 v7, v71, v7, 0x7fff
; %bb.104:
	s_and_not1_saveexec_b32 s2, s2
; %bb.105:
	v_and_b32_e32 v7, 0xffff, v71
	v_or_b32_e32 v8, 0x10000, v71
	s_delay_alu instid0(VALU_DEP_2) | instskip(NEXT) | instid1(VALU_DEP_2)
	v_cmp_eq_u32_e32 vcc_lo, 0, v7
	v_cndmask_b32_e32 v7, v8, v71, vcc_lo
; %bb.106:
	s_or_b32 exec_lo, exec_lo, s2
	v_and_b32_e32 v8, 0x7f800000, v72
	s_delay_alu instid0(VALU_DEP_1) | instskip(SKIP_1) | instid1(SALU_CYCLE_1)
	v_cmp_ne_u32_e32 vcc_lo, 0x7f800000, v8
                                        ; implicit-def: $vgpr8
	s_and_saveexec_b32 s2, vcc_lo
	s_xor_b32 s2, exec_lo, s2
; %bb.107:
	v_bfe_u32 v8, v72, 16, 1
	s_delay_alu instid0(VALU_DEP_1)
	v_add3_u32 v8, v72, v8, 0x7fff
                                        ; implicit-def: $vgpr65_vgpr66_vgpr67_vgpr68_vgpr69_vgpr70_vgpr71_vgpr72
; %bb.108:
	s_and_not1_saveexec_b32 s2, s2
; %bb.109:
	v_and_b32_e32 v8, 0xffff, v72
	v_or_b32_e32 v9, 0x10000, v72
	s_delay_alu instid0(VALU_DEP_2) | instskip(NEXT) | instid1(VALU_DEP_2)
	v_cmp_eq_u32_e32 vcc_lo, 0, v8
	v_cndmask_b32_e32 v8, v9, v72, vcc_lo
; %bb.110:
	s_or_b32 exec_lo, exec_lo, s2
	s_delay_alu instid0(VALU_DEP_1)
	v_perm_b32 v7, v8, v7, 0x7060302
	v_perm_b32 v6, v6, v5, 0x7060302
	v_perm_b32 v5, v4, v3, 0x7060302
	v_perm_b32 v4, v2, v1, 0x7060302
	s_barrier
	buffer_gl0_inv
	v_cmp_eq_u32_e32 vcc_lo, 1, v78
	ds_store_b128 v76, v[4:7]
	s_waitcnt lgkmcnt(0)
	s_barrier
	buffer_gl0_inv
	ds_load_b128 v[1:4], v82
	ds_load_b128 v[5:8], v82 offset:16
	v_cmp_eq_u32_e64 s2, 1, v79
	v_cmp_eq_u32_e64 s3, 2, v78
	;; [unrolled: 1-line block ×5, first 2 shown]
	s_waitcnt lgkmcnt(1)
	v_lshrrev_b32_e32 v9, 16, v1
	s_waitcnt lgkmcnt(0)
	v_lshrrev_b32_e32 v13, 16, v5
	v_lshrrev_b32_e32 v10, 16, v2
	;; [unrolled: 1-line block ×4, first 2 shown]
	v_cndmask_b32_e64 v19, v1, v9, s2
	v_cndmask_b32_e32 v18, v5, v13, vcc_lo
	v_cndmask_b32_e64 v20, v5, v13, s2
	v_cndmask_b32_e32 v17, v1, v9, vcc_lo
	v_cmp_eq_u32_e32 vcc_lo, 2, v79
	v_lshrrev_b32_e32 v15, 16, v7
	v_cmp_eq_u32_e64 s2, 1, v77
	v_lshrrev_b32_e32 v12, 16, v4
	v_lshrrev_b32_e32 v16, 16, v8
	v_cndmask_b32_e32 v20, v20, v6, vcc_lo
	v_cndmask_b32_e64 v17, v17, v2, s3
	v_cndmask_b32_e32 v19, v19, v2, vcc_lo
	v_cndmask_b32_e64 v18, v18, v6, s3
	v_cmp_eq_u32_e32 vcc_lo, 4, v78
	v_cmp_eq_u32_e64 s3, 3, v79
	v_cndmask_b32_e64 v17, v17, v10, s4
	v_cndmask_b32_e64 v21, v1, v9, s2
	;; [unrolled: 1-line block ×5, first 2 shown]
	v_cndmask_b32_e32 v17, v17, v3, vcc_lo
	v_cndmask_b32_e64 v20, v20, v14, s3
	v_cndmask_b32_e32 v18, v18, v7, vcc_lo
	v_cmp_eq_u32_e32 vcc_lo, 4, v79
	v_cmp_eq_u32_e64 s3, 5, v79
	v_cmp_eq_u32_e64 s2, 2, v81
	v_cndmask_b32_e64 v21, v21, v2, s6
	v_cmp_eq_u32_e64 s4, 5, v78
	v_cndmask_b32_e32 v19, v19, v3, vcc_lo
	v_cndmask_b32_e32 v20, v20, v7, vcc_lo
	v_cmp_eq_u32_e32 vcc_lo, 6, v79
	s_delay_alu instid0(VALU_DEP_4) | instskip(NEXT) | instid1(VALU_DEP_4)
	v_cndmask_b32_e64 v17, v17, v11, s4
	v_cndmask_b32_e64 v19, v19, v11, s3
	s_delay_alu instid0(VALU_DEP_4) | instskip(SKIP_1) | instid1(VALU_DEP_3)
	v_cndmask_b32_e64 v20, v20, v15, s3
	v_cmp_eq_u32_e64 s3, 1, v81
	v_cndmask_b32_e32 v19, v19, v4, vcc_lo
	v_cndmask_b32_e64 v18, v18, v15, s4
	s_delay_alu instid0(VALU_DEP_3)
	v_cndmask_b32_e64 v1, v1, v9, s3
	v_cndmask_b32_e64 v5, v5, v13, s3
	v_cmp_eq_u32_e64 s3, 3, v77
	v_cndmask_b32_e64 v13, v22, v6, s6
	v_cmp_eq_u32_e64 s6, 3, v81
	v_cndmask_b32_e64 v1, v1, v2, s2
	v_cndmask_b32_e64 v2, v5, v6, s2
	;; [unrolled: 1-line block ×3, first 2 shown]
	v_cmp_eq_u32_e64 s2, 4, v77
	v_cndmask_b32_e64 v6, v13, v14, s3
	v_cndmask_b32_e64 v1, v1, v10, s6
	v_cmp_eq_u32_e64 s3, 4, v81
	v_cndmask_b32_e64 v2, v2, v14, s6
	v_cndmask_b32_e64 v5, v9, v3, s2
	;; [unrolled: 3-line block ×3, first 2 shown]
	v_cndmask_b32_e64 v2, v2, v7, s3
	v_cmp_eq_u32_e64 s2, 5, v81
	v_cmp_eq_u32_e64 s4, 6, v78
	v_cndmask_b32_e64 v5, v5, v11, s6
	v_cmp_eq_u32_e64 s3, 6, v77
	v_cndmask_b32_e64 v3, v6, v15, s6
	v_cndmask_b32_e64 v1, v1, v11, s2
	v_cmp_eq_u32_e64 s6, 6, v81
	v_cndmask_b32_e64 v2, v2, v15, s2
	v_cndmask_b32_e64 v17, v17, v4, s4
	v_cndmask_b32_e64 v18, v18, v8, s4
	v_cmp_eq_u32_e64 s4, 7, v78
	v_cndmask_b32_e64 v5, v5, v4, s3
	;; [unrolled: 4-line block ×3, first 2 shown]
	v_cmp_eq_u32_e64 s3, 7, v77
	v_cndmask_b32_e32 v4, v20, v8, vcc_lo
	v_cndmask_b32_e64 v17, v17, v12, s4
	v_cndmask_b32_e64 v19, v19, v12, s5
	;; [unrolled: 1-line block ×8, first 2 shown]
	s_mov_b32 s2, exec_lo
	v_perm_b32 v4, v2, v1, 0x5040100
	v_perm_b32 v3, v3, v5, 0x5040100
	;; [unrolled: 1-line block ×4, first 2 shown]
	ds_store_b128 v76, v[1:4]
	s_waitcnt lgkmcnt(0)
	s_barrier
	buffer_gl0_inv
	v_cmpx_gt_u32_e32 32, v0
	s_cbranch_execz .LBB1645_2
; %bb.111:
	s_load_b64 s[0:1], s[0:1], 0x68
	v_lshlrev_b32_e32 v0, 10, v0
	v_or_b32_e32 v1, s29, v74
	s_lshl_b32 s4, s34, 7
	v_lshlrev_b32_e32 v2, 4, v75
	s_mul_i32 s2, s4, s30
	v_lshlrev_b32_e32 v3, 6, v74
	v_mul_lo_u32 v8, v1, s4
	v_and_b32_e32 v0, 0x3800, v0
	v_or_b32_e32 v1, 2, v1
	s_mul_i32 s2, s2, s7
	s_delay_alu instid0(SALU_CYCLE_1) | instskip(NEXT) | instid1(VALU_DEP_2)
	s_ashr_i32 s3, s2, 31
	v_or3_b32 v4, v0, v2, v3
	s_lshl_b64 s[2:3], s[2:3], 1
	v_mul_lo_u32 v10, v1, s4
	v_ashrrev_i32_e32 v9, 31, v8
	ds_load_b128 v[0:3], v4
	ds_load_b128 v[4:7], v4 offset:128
	s_waitcnt lgkmcnt(0)
	s_add_u32 s2, s0, s2
	s_addc_u32 s3, s1, s3
	s_lshl_b32 s0, s14, 7
	v_ashrrev_i32_e32 v11, 31, v10
	s_ashr_i32 s1, s0, 31
	v_lshlrev_b64 v[8:9], 1, v[8:9]
	s_lshl_b64 s[0:1], s[0:1], 1
	s_delay_alu instid0(SALU_CYCLE_1) | instskip(SKIP_2) | instid1(VALU_DEP_1)
	s_add_u32 s0, s2, s0
	s_addc_u32 s1, s3, s1
	v_add_co_u32 v12, s0, s0, v73
	v_add_co_ci_u32_e64 v13, null, s1, 0, s0
	v_lshlrev_b64 v[10:11], 1, v[10:11]
	s_delay_alu instid0(VALU_DEP_3) | instskip(NEXT) | instid1(VALU_DEP_3)
	v_add_co_u32 v8, vcc_lo, v12, v8
	v_add_co_ci_u32_e32 v9, vcc_lo, v13, v9, vcc_lo
	s_delay_alu instid0(VALU_DEP_3) | instskip(NEXT) | instid1(VALU_DEP_4)
	v_add_co_u32 v10, vcc_lo, v12, v10
	v_add_co_ci_u32_e32 v11, vcc_lo, v13, v11, vcc_lo
	s_clause 0x1
	global_store_b128 v[8:9], v[0:3], off
	global_store_b128 v[10:11], v[4:7], off
	s_nop 0
	s_sendmsg sendmsg(MSG_DEALLOC_VGPRS)
	s_endpgm
	.section	.rodata,"a",@progbits
	.p2align	6, 0x0
	.amdhsa_kernel _Z39paged_attention_ll4mi_QKV_mfma16_kernelI14__hip_bfloat16hLN4vllm18Fp8KVCacheDataTypeE1ES0_Li32ELi128ELi256ELb1ELi4EL8MFMAType1EEvPKT_PKT0_S9_ifPKiSB_SB_iPKfiiiPfSE_PS4_PT2_iSD_SD_
		.amdhsa_group_segment_fixed_size 17472
		.amdhsa_private_segment_fixed_size 0
		.amdhsa_kernarg_size 400
		.amdhsa_user_sgpr_count 13
		.amdhsa_user_sgpr_dispatch_ptr 0
		.amdhsa_user_sgpr_queue_ptr 0
		.amdhsa_user_sgpr_kernarg_segment_ptr 1
		.amdhsa_user_sgpr_dispatch_id 0
		.amdhsa_user_sgpr_private_segment_size 0
		.amdhsa_wavefront_size32 1
		.amdhsa_uses_dynamic_stack 0
		.amdhsa_enable_private_segment 0
		.amdhsa_system_sgpr_workgroup_id_x 1
		.amdhsa_system_sgpr_workgroup_id_y 1
		.amdhsa_system_sgpr_workgroup_id_z 1
		.amdhsa_system_sgpr_workgroup_info 0
		.amdhsa_system_vgpr_workitem_id 0
		.amdhsa_next_free_vgpr 140
		.amdhsa_next_free_sgpr 36
		.amdhsa_reserve_vcc 1
		.amdhsa_float_round_mode_32 0
		.amdhsa_float_round_mode_16_64 0
		.amdhsa_float_denorm_mode_32 3
		.amdhsa_float_denorm_mode_16_64 3
		.amdhsa_dx10_clamp 1
		.amdhsa_ieee_mode 1
		.amdhsa_fp16_overflow 0
		.amdhsa_workgroup_processor_mode 1
		.amdhsa_memory_ordered 1
		.amdhsa_forward_progress 0
		.amdhsa_shared_vgpr_count 0
		.amdhsa_exception_fp_ieee_invalid_op 0
		.amdhsa_exception_fp_denorm_src 0
		.amdhsa_exception_fp_ieee_div_zero 0
		.amdhsa_exception_fp_ieee_overflow 0
		.amdhsa_exception_fp_ieee_underflow 0
		.amdhsa_exception_fp_ieee_inexact 0
		.amdhsa_exception_int_div_zero 0
	.end_amdhsa_kernel
	.section	.text._Z39paged_attention_ll4mi_QKV_mfma16_kernelI14__hip_bfloat16hLN4vllm18Fp8KVCacheDataTypeE1ES0_Li32ELi128ELi256ELb1ELi4EL8MFMAType1EEvPKT_PKT0_S9_ifPKiSB_SB_iPKfiiiPfSE_PS4_PT2_iSD_SD_,"axG",@progbits,_Z39paged_attention_ll4mi_QKV_mfma16_kernelI14__hip_bfloat16hLN4vllm18Fp8KVCacheDataTypeE1ES0_Li32ELi128ELi256ELb1ELi4EL8MFMAType1EEvPKT_PKT0_S9_ifPKiSB_SB_iPKfiiiPfSE_PS4_PT2_iSD_SD_,comdat
.Lfunc_end1645:
	.size	_Z39paged_attention_ll4mi_QKV_mfma16_kernelI14__hip_bfloat16hLN4vllm18Fp8KVCacheDataTypeE1ES0_Li32ELi128ELi256ELb1ELi4EL8MFMAType1EEvPKT_PKT0_S9_ifPKiSB_SB_iPKfiiiPfSE_PS4_PT2_iSD_SD_, .Lfunc_end1645-_Z39paged_attention_ll4mi_QKV_mfma16_kernelI14__hip_bfloat16hLN4vllm18Fp8KVCacheDataTypeE1ES0_Li32ELi128ELi256ELb1ELi4EL8MFMAType1EEvPKT_PKT0_S9_ifPKiSB_SB_iPKfiiiPfSE_PS4_PT2_iSD_SD_
                                        ; -- End function
	.section	.AMDGPU.csdata,"",@progbits
; Kernel info:
; codeLenInByte = 8740
; NumSgprs: 38
; NumVgprs: 140
; ScratchSize: 0
; MemoryBound: 0
; FloatMode: 240
; IeeeMode: 1
; LDSByteSize: 17472 bytes/workgroup (compile time only)
; SGPRBlocks: 4
; VGPRBlocks: 17
; NumSGPRsForWavesPerEU: 38
; NumVGPRsForWavesPerEU: 140
; Occupancy: 10
; WaveLimiterHint : 1
; COMPUTE_PGM_RSRC2:SCRATCH_EN: 0
; COMPUTE_PGM_RSRC2:USER_SGPR: 13
; COMPUTE_PGM_RSRC2:TRAP_HANDLER: 0
; COMPUTE_PGM_RSRC2:TGID_X_EN: 1
; COMPUTE_PGM_RSRC2:TGID_Y_EN: 1
; COMPUTE_PGM_RSRC2:TGID_Z_EN: 1
; COMPUTE_PGM_RSRC2:TIDIG_COMP_CNT: 0
	.section	.text._Z38paged_attention_ll4mi_QKV_mfma4_kernelI14__hip_bfloat16hLN4vllm18Fp8KVCacheDataTypeE1ES0_Li32ELi128ELi256ELb0ELi1EEvPKT_PKT0_S8_ifPKiSA_SA_iPKfiiiPfSD_PS3_PT2_iSC_SC_,"axG",@progbits,_Z38paged_attention_ll4mi_QKV_mfma4_kernelI14__hip_bfloat16hLN4vllm18Fp8KVCacheDataTypeE1ES0_Li32ELi128ELi256ELb0ELi1EEvPKT_PKT0_S8_ifPKiSA_SA_iPKfiiiPfSD_PS3_PT2_iSC_SC_,comdat
	.protected	_Z38paged_attention_ll4mi_QKV_mfma4_kernelI14__hip_bfloat16hLN4vllm18Fp8KVCacheDataTypeE1ES0_Li32ELi128ELi256ELb0ELi1EEvPKT_PKT0_S8_ifPKiSA_SA_iPKfiiiPfSD_PS3_PT2_iSC_SC_ ; -- Begin function _Z38paged_attention_ll4mi_QKV_mfma4_kernelI14__hip_bfloat16hLN4vllm18Fp8KVCacheDataTypeE1ES0_Li32ELi128ELi256ELb0ELi1EEvPKT_PKT0_S8_ifPKiSA_SA_iPKfiiiPfSD_PS3_PT2_iSC_SC_
	.globl	_Z38paged_attention_ll4mi_QKV_mfma4_kernelI14__hip_bfloat16hLN4vllm18Fp8KVCacheDataTypeE1ES0_Li32ELi128ELi256ELb0ELi1EEvPKT_PKT0_S8_ifPKiSA_SA_iPKfiiiPfSD_PS3_PT2_iSC_SC_
	.p2align	8
	.type	_Z38paged_attention_ll4mi_QKV_mfma4_kernelI14__hip_bfloat16hLN4vllm18Fp8KVCacheDataTypeE1ES0_Li32ELi128ELi256ELb0ELi1EEvPKT_PKT0_S8_ifPKiSA_SA_iPKfiiiPfSD_PS3_PT2_iSC_SC_,@function
_Z38paged_attention_ll4mi_QKV_mfma4_kernelI14__hip_bfloat16hLN4vllm18Fp8KVCacheDataTypeE1ES0_Li32ELi128ELi256ELb0ELi1EEvPKT_PKT0_S8_ifPKiSA_SA_iPKfiiiPfSD_PS3_PT2_iSC_SC_: ; @_Z38paged_attention_ll4mi_QKV_mfma4_kernelI14__hip_bfloat16hLN4vllm18Fp8KVCacheDataTypeE1ES0_Li32ELi128ELi256ELb0ELi1EEvPKT_PKT0_S8_ifPKiSA_SA_iPKfiiiPfSD_PS3_PT2_iSC_SC_
; %bb.0:
	s_add_u32 s8, s0, 0x90
	s_addc_u32 s9, s1, 0
	s_getpc_b64 s[0:1]
	s_add_u32 s0, s0, __PRETTY_FUNCTION__._Z38paged_attention_ll4mi_QKV_mfma4_kernelI14__hip_bfloat16hLN4vllm18Fp8KVCacheDataTypeE1ES0_Li32ELi128ELi256ELb0ELi1EEvPKT_PKT0_S8_ifPKiSA_SA_iPKfiiiPfSD_PS3_PT2_iSC_SC_@rel32@lo+4
	s_addc_u32 s1, s1, __PRETTY_FUNCTION__._Z38paged_attention_ll4mi_QKV_mfma4_kernelI14__hip_bfloat16hLN4vllm18Fp8KVCacheDataTypeE1ES0_Li32ELi128ELi256ELb0ELi1EEvPKT_PKT0_S8_ifPKiSA_SA_iPKfiiiPfSD_PS3_PT2_iSC_SC_@rel32@hi+12
	s_delay_alu instid0(SALU_CYCLE_1) | instskip(SKIP_4) | instid1(SALU_CYCLE_1)
	v_dual_mov_b32 v0, s0 :: v_dual_mov_b32 v1, s1
	s_mov_b32 s32, 0
	s_getpc_b64 s[2:3]
	s_add_u32 s2, s2, __assert_fail@rel32@lo+4
	s_addc_u32 s3, s3, __assert_fail@rel32@hi+12
	s_swappc_b64 s[30:31], s[2:3]
	.section	.rodata,"a",@progbits
	.p2align	6, 0x0
	.amdhsa_kernel _Z38paged_attention_ll4mi_QKV_mfma4_kernelI14__hip_bfloat16hLN4vllm18Fp8KVCacheDataTypeE1ES0_Li32ELi128ELi256ELb0ELi1EEvPKT_PKT0_S8_ifPKiSA_SA_iPKfiiiPfSD_PS3_PT2_iSC_SC_
		.amdhsa_group_segment_fixed_size 0
		.amdhsa_private_segment_fixed_size 64
		.amdhsa_kernarg_size 400
		.amdhsa_user_sgpr_count 15
		.amdhsa_user_sgpr_dispatch_ptr 0
		.amdhsa_user_sgpr_queue_ptr 0
		.amdhsa_user_sgpr_kernarg_segment_ptr 1
		.amdhsa_user_sgpr_dispatch_id 0
		.amdhsa_user_sgpr_private_segment_size 0
		.amdhsa_wavefront_size32 1
		.amdhsa_uses_dynamic_stack 0
		.amdhsa_enable_private_segment 1
		.amdhsa_system_sgpr_workgroup_id_x 1
		.amdhsa_system_sgpr_workgroup_id_y 0
		.amdhsa_system_sgpr_workgroup_id_z 0
		.amdhsa_system_sgpr_workgroup_info 0
		.amdhsa_system_vgpr_workitem_id 0
		.amdhsa_next_free_vgpr 41
		.amdhsa_next_free_sgpr 34
		.amdhsa_reserve_vcc 1
		.amdhsa_float_round_mode_32 0
		.amdhsa_float_round_mode_16_64 0
		.amdhsa_float_denorm_mode_32 3
		.amdhsa_float_denorm_mode_16_64 3
		.amdhsa_dx10_clamp 1
		.amdhsa_ieee_mode 1
		.amdhsa_fp16_overflow 0
		.amdhsa_workgroup_processor_mode 1
		.amdhsa_memory_ordered 1
		.amdhsa_forward_progress 0
		.amdhsa_shared_vgpr_count 0
		.amdhsa_exception_fp_ieee_invalid_op 0
		.amdhsa_exception_fp_denorm_src 0
		.amdhsa_exception_fp_ieee_div_zero 0
		.amdhsa_exception_fp_ieee_overflow 0
		.amdhsa_exception_fp_ieee_underflow 0
		.amdhsa_exception_fp_ieee_inexact 0
		.amdhsa_exception_int_div_zero 0
	.end_amdhsa_kernel
	.section	.text._Z38paged_attention_ll4mi_QKV_mfma4_kernelI14__hip_bfloat16hLN4vllm18Fp8KVCacheDataTypeE1ES0_Li32ELi128ELi256ELb0ELi1EEvPKT_PKT0_S8_ifPKiSA_SA_iPKfiiiPfSD_PS3_PT2_iSC_SC_,"axG",@progbits,_Z38paged_attention_ll4mi_QKV_mfma4_kernelI14__hip_bfloat16hLN4vllm18Fp8KVCacheDataTypeE1ES0_Li32ELi128ELi256ELb0ELi1EEvPKT_PKT0_S8_ifPKiSA_SA_iPKfiiiPfSD_PS3_PT2_iSC_SC_,comdat
.Lfunc_end1646:
	.size	_Z38paged_attention_ll4mi_QKV_mfma4_kernelI14__hip_bfloat16hLN4vllm18Fp8KVCacheDataTypeE1ES0_Li32ELi128ELi256ELb0ELi1EEvPKT_PKT0_S8_ifPKiSA_SA_iPKfiiiPfSD_PS3_PT2_iSC_SC_, .Lfunc_end1646-_Z38paged_attention_ll4mi_QKV_mfma4_kernelI14__hip_bfloat16hLN4vllm18Fp8KVCacheDataTypeE1ES0_Li32ELi128ELi256ELb0ELi1EEvPKT_PKT0_S8_ifPKiSA_SA_iPKfiiiPfSD_PS3_PT2_iSC_SC_
                                        ; -- End function
	.section	.AMDGPU.csdata,"",@progbits
; Kernel info:
; codeLenInByte = 72
; NumSgprs: 36
; NumVgprs: 41
; ScratchSize: 64
; MemoryBound: 0
; FloatMode: 240
; IeeeMode: 1
; LDSByteSize: 0 bytes/workgroup (compile time only)
; SGPRBlocks: 4
; VGPRBlocks: 5
; NumSGPRsForWavesPerEU: 36
; NumVGPRsForWavesPerEU: 41
; Occupancy: 16
; WaveLimiterHint : 1
; COMPUTE_PGM_RSRC2:SCRATCH_EN: 1
; COMPUTE_PGM_RSRC2:USER_SGPR: 15
; COMPUTE_PGM_RSRC2:TRAP_HANDLER: 0
; COMPUTE_PGM_RSRC2:TGID_X_EN: 1
; COMPUTE_PGM_RSRC2:TGID_Y_EN: 0
; COMPUTE_PGM_RSRC2:TGID_Z_EN: 0
; COMPUTE_PGM_RSRC2:TIDIG_COMP_CNT: 0
	.section	.text._Z38paged_attention_ll4mi_QKV_mfma4_kernelI14__hip_bfloat16hLN4vllm18Fp8KVCacheDataTypeE1ES0_Li32ELi128ELi256ELb0ELi2EEvPKT_PKT0_S8_ifPKiSA_SA_iPKfiiiPfSD_PS3_PT2_iSC_SC_,"axG",@progbits,_Z38paged_attention_ll4mi_QKV_mfma4_kernelI14__hip_bfloat16hLN4vllm18Fp8KVCacheDataTypeE1ES0_Li32ELi128ELi256ELb0ELi2EEvPKT_PKT0_S8_ifPKiSA_SA_iPKfiiiPfSD_PS3_PT2_iSC_SC_,comdat
	.protected	_Z38paged_attention_ll4mi_QKV_mfma4_kernelI14__hip_bfloat16hLN4vllm18Fp8KVCacheDataTypeE1ES0_Li32ELi128ELi256ELb0ELi2EEvPKT_PKT0_S8_ifPKiSA_SA_iPKfiiiPfSD_PS3_PT2_iSC_SC_ ; -- Begin function _Z38paged_attention_ll4mi_QKV_mfma4_kernelI14__hip_bfloat16hLN4vllm18Fp8KVCacheDataTypeE1ES0_Li32ELi128ELi256ELb0ELi2EEvPKT_PKT0_S8_ifPKiSA_SA_iPKfiiiPfSD_PS3_PT2_iSC_SC_
	.globl	_Z38paged_attention_ll4mi_QKV_mfma4_kernelI14__hip_bfloat16hLN4vllm18Fp8KVCacheDataTypeE1ES0_Li32ELi128ELi256ELb0ELi2EEvPKT_PKT0_S8_ifPKiSA_SA_iPKfiiiPfSD_PS3_PT2_iSC_SC_
	.p2align	8
	.type	_Z38paged_attention_ll4mi_QKV_mfma4_kernelI14__hip_bfloat16hLN4vllm18Fp8KVCacheDataTypeE1ES0_Li32ELi128ELi256ELb0ELi2EEvPKT_PKT0_S8_ifPKiSA_SA_iPKfiiiPfSD_PS3_PT2_iSC_SC_,@function
_Z38paged_attention_ll4mi_QKV_mfma4_kernelI14__hip_bfloat16hLN4vllm18Fp8KVCacheDataTypeE1ES0_Li32ELi128ELi256ELb0ELi2EEvPKT_PKT0_S8_ifPKiSA_SA_iPKfiiiPfSD_PS3_PT2_iSC_SC_: ; @_Z38paged_attention_ll4mi_QKV_mfma4_kernelI14__hip_bfloat16hLN4vllm18Fp8KVCacheDataTypeE1ES0_Li32ELi128ELi256ELb0ELi2EEvPKT_PKT0_S8_ifPKiSA_SA_iPKfiiiPfSD_PS3_PT2_iSC_SC_
; %bb.0:
	s_add_u32 s8, s0, 0x90
	s_addc_u32 s9, s1, 0
	s_getpc_b64 s[0:1]
	s_add_u32 s0, s0, __PRETTY_FUNCTION__._Z38paged_attention_ll4mi_QKV_mfma4_kernelI14__hip_bfloat16hLN4vllm18Fp8KVCacheDataTypeE1ES0_Li32ELi128ELi256ELb0ELi2EEvPKT_PKT0_S8_ifPKiSA_SA_iPKfiiiPfSD_PS3_PT2_iSC_SC_@rel32@lo+4
	s_addc_u32 s1, s1, __PRETTY_FUNCTION__._Z38paged_attention_ll4mi_QKV_mfma4_kernelI14__hip_bfloat16hLN4vllm18Fp8KVCacheDataTypeE1ES0_Li32ELi128ELi256ELb0ELi2EEvPKT_PKT0_S8_ifPKiSA_SA_iPKfiiiPfSD_PS3_PT2_iSC_SC_@rel32@hi+12
	s_delay_alu instid0(SALU_CYCLE_1) | instskip(SKIP_4) | instid1(SALU_CYCLE_1)
	v_dual_mov_b32 v0, s0 :: v_dual_mov_b32 v1, s1
	s_mov_b32 s32, 0
	s_getpc_b64 s[2:3]
	s_add_u32 s2, s2, __assert_fail@rel32@lo+4
	s_addc_u32 s3, s3, __assert_fail@rel32@hi+12
	s_swappc_b64 s[30:31], s[2:3]
	.section	.rodata,"a",@progbits
	.p2align	6, 0x0
	.amdhsa_kernel _Z38paged_attention_ll4mi_QKV_mfma4_kernelI14__hip_bfloat16hLN4vllm18Fp8KVCacheDataTypeE1ES0_Li32ELi128ELi256ELb0ELi2EEvPKT_PKT0_S8_ifPKiSA_SA_iPKfiiiPfSD_PS3_PT2_iSC_SC_
		.amdhsa_group_segment_fixed_size 0
		.amdhsa_private_segment_fixed_size 64
		.amdhsa_kernarg_size 400
		.amdhsa_user_sgpr_count 15
		.amdhsa_user_sgpr_dispatch_ptr 0
		.amdhsa_user_sgpr_queue_ptr 0
		.amdhsa_user_sgpr_kernarg_segment_ptr 1
		.amdhsa_user_sgpr_dispatch_id 0
		.amdhsa_user_sgpr_private_segment_size 0
		.amdhsa_wavefront_size32 1
		.amdhsa_uses_dynamic_stack 0
		.amdhsa_enable_private_segment 1
		.amdhsa_system_sgpr_workgroup_id_x 1
		.amdhsa_system_sgpr_workgroup_id_y 0
		.amdhsa_system_sgpr_workgroup_id_z 0
		.amdhsa_system_sgpr_workgroup_info 0
		.amdhsa_system_vgpr_workitem_id 0
		.amdhsa_next_free_vgpr 41
		.amdhsa_next_free_sgpr 34
		.amdhsa_reserve_vcc 1
		.amdhsa_float_round_mode_32 0
		.amdhsa_float_round_mode_16_64 0
		.amdhsa_float_denorm_mode_32 3
		.amdhsa_float_denorm_mode_16_64 3
		.amdhsa_dx10_clamp 1
		.amdhsa_ieee_mode 1
		.amdhsa_fp16_overflow 0
		.amdhsa_workgroup_processor_mode 1
		.amdhsa_memory_ordered 1
		.amdhsa_forward_progress 0
		.amdhsa_shared_vgpr_count 0
		.amdhsa_exception_fp_ieee_invalid_op 0
		.amdhsa_exception_fp_denorm_src 0
		.amdhsa_exception_fp_ieee_div_zero 0
		.amdhsa_exception_fp_ieee_overflow 0
		.amdhsa_exception_fp_ieee_underflow 0
		.amdhsa_exception_fp_ieee_inexact 0
		.amdhsa_exception_int_div_zero 0
	.end_amdhsa_kernel
	.section	.text._Z38paged_attention_ll4mi_QKV_mfma4_kernelI14__hip_bfloat16hLN4vllm18Fp8KVCacheDataTypeE1ES0_Li32ELi128ELi256ELb0ELi2EEvPKT_PKT0_S8_ifPKiSA_SA_iPKfiiiPfSD_PS3_PT2_iSC_SC_,"axG",@progbits,_Z38paged_attention_ll4mi_QKV_mfma4_kernelI14__hip_bfloat16hLN4vllm18Fp8KVCacheDataTypeE1ES0_Li32ELi128ELi256ELb0ELi2EEvPKT_PKT0_S8_ifPKiSA_SA_iPKfiiiPfSD_PS3_PT2_iSC_SC_,comdat
.Lfunc_end1647:
	.size	_Z38paged_attention_ll4mi_QKV_mfma4_kernelI14__hip_bfloat16hLN4vllm18Fp8KVCacheDataTypeE1ES0_Li32ELi128ELi256ELb0ELi2EEvPKT_PKT0_S8_ifPKiSA_SA_iPKfiiiPfSD_PS3_PT2_iSC_SC_, .Lfunc_end1647-_Z38paged_attention_ll4mi_QKV_mfma4_kernelI14__hip_bfloat16hLN4vllm18Fp8KVCacheDataTypeE1ES0_Li32ELi128ELi256ELb0ELi2EEvPKT_PKT0_S8_ifPKiSA_SA_iPKfiiiPfSD_PS3_PT2_iSC_SC_
                                        ; -- End function
	.section	.AMDGPU.csdata,"",@progbits
; Kernel info:
; codeLenInByte = 72
; NumSgprs: 36
; NumVgprs: 41
; ScratchSize: 64
; MemoryBound: 0
; FloatMode: 240
; IeeeMode: 1
; LDSByteSize: 0 bytes/workgroup (compile time only)
; SGPRBlocks: 4
; VGPRBlocks: 5
; NumSGPRsForWavesPerEU: 36
; NumVGPRsForWavesPerEU: 41
; Occupancy: 16
; WaveLimiterHint : 1
; COMPUTE_PGM_RSRC2:SCRATCH_EN: 1
; COMPUTE_PGM_RSRC2:USER_SGPR: 15
; COMPUTE_PGM_RSRC2:TRAP_HANDLER: 0
; COMPUTE_PGM_RSRC2:TGID_X_EN: 1
; COMPUTE_PGM_RSRC2:TGID_Y_EN: 0
; COMPUTE_PGM_RSRC2:TGID_Z_EN: 0
; COMPUTE_PGM_RSRC2:TIDIG_COMP_CNT: 0
	.section	.text._Z38paged_attention_ll4mi_QKV_mfma4_kernelI14__hip_bfloat16hLN4vllm18Fp8KVCacheDataTypeE1ES0_Li32ELi128ELi256ELb0ELi3EEvPKT_PKT0_S8_ifPKiSA_SA_iPKfiiiPfSD_PS3_PT2_iSC_SC_,"axG",@progbits,_Z38paged_attention_ll4mi_QKV_mfma4_kernelI14__hip_bfloat16hLN4vllm18Fp8KVCacheDataTypeE1ES0_Li32ELi128ELi256ELb0ELi3EEvPKT_PKT0_S8_ifPKiSA_SA_iPKfiiiPfSD_PS3_PT2_iSC_SC_,comdat
	.protected	_Z38paged_attention_ll4mi_QKV_mfma4_kernelI14__hip_bfloat16hLN4vllm18Fp8KVCacheDataTypeE1ES0_Li32ELi128ELi256ELb0ELi3EEvPKT_PKT0_S8_ifPKiSA_SA_iPKfiiiPfSD_PS3_PT2_iSC_SC_ ; -- Begin function _Z38paged_attention_ll4mi_QKV_mfma4_kernelI14__hip_bfloat16hLN4vllm18Fp8KVCacheDataTypeE1ES0_Li32ELi128ELi256ELb0ELi3EEvPKT_PKT0_S8_ifPKiSA_SA_iPKfiiiPfSD_PS3_PT2_iSC_SC_
	.globl	_Z38paged_attention_ll4mi_QKV_mfma4_kernelI14__hip_bfloat16hLN4vllm18Fp8KVCacheDataTypeE1ES0_Li32ELi128ELi256ELb0ELi3EEvPKT_PKT0_S8_ifPKiSA_SA_iPKfiiiPfSD_PS3_PT2_iSC_SC_
	.p2align	8
	.type	_Z38paged_attention_ll4mi_QKV_mfma4_kernelI14__hip_bfloat16hLN4vllm18Fp8KVCacheDataTypeE1ES0_Li32ELi128ELi256ELb0ELi3EEvPKT_PKT0_S8_ifPKiSA_SA_iPKfiiiPfSD_PS3_PT2_iSC_SC_,@function
_Z38paged_attention_ll4mi_QKV_mfma4_kernelI14__hip_bfloat16hLN4vllm18Fp8KVCacheDataTypeE1ES0_Li32ELi128ELi256ELb0ELi3EEvPKT_PKT0_S8_ifPKiSA_SA_iPKfiiiPfSD_PS3_PT2_iSC_SC_: ; @_Z38paged_attention_ll4mi_QKV_mfma4_kernelI14__hip_bfloat16hLN4vllm18Fp8KVCacheDataTypeE1ES0_Li32ELi128ELi256ELb0ELi3EEvPKT_PKT0_S8_ifPKiSA_SA_iPKfiiiPfSD_PS3_PT2_iSC_SC_
; %bb.0:
	s_add_u32 s8, s0, 0x90
	s_addc_u32 s9, s1, 0
	s_getpc_b64 s[0:1]
	s_add_u32 s0, s0, __PRETTY_FUNCTION__._Z38paged_attention_ll4mi_QKV_mfma4_kernelI14__hip_bfloat16hLN4vllm18Fp8KVCacheDataTypeE1ES0_Li32ELi128ELi256ELb0ELi3EEvPKT_PKT0_S8_ifPKiSA_SA_iPKfiiiPfSD_PS3_PT2_iSC_SC_@rel32@lo+4
	s_addc_u32 s1, s1, __PRETTY_FUNCTION__._Z38paged_attention_ll4mi_QKV_mfma4_kernelI14__hip_bfloat16hLN4vllm18Fp8KVCacheDataTypeE1ES0_Li32ELi128ELi256ELb0ELi3EEvPKT_PKT0_S8_ifPKiSA_SA_iPKfiiiPfSD_PS3_PT2_iSC_SC_@rel32@hi+12
	s_delay_alu instid0(SALU_CYCLE_1) | instskip(SKIP_4) | instid1(SALU_CYCLE_1)
	v_dual_mov_b32 v0, s0 :: v_dual_mov_b32 v1, s1
	s_mov_b32 s32, 0
	s_getpc_b64 s[2:3]
	s_add_u32 s2, s2, __assert_fail@rel32@lo+4
	s_addc_u32 s3, s3, __assert_fail@rel32@hi+12
	s_swappc_b64 s[30:31], s[2:3]
	.section	.rodata,"a",@progbits
	.p2align	6, 0x0
	.amdhsa_kernel _Z38paged_attention_ll4mi_QKV_mfma4_kernelI14__hip_bfloat16hLN4vllm18Fp8KVCacheDataTypeE1ES0_Li32ELi128ELi256ELb0ELi3EEvPKT_PKT0_S8_ifPKiSA_SA_iPKfiiiPfSD_PS3_PT2_iSC_SC_
		.amdhsa_group_segment_fixed_size 0
		.amdhsa_private_segment_fixed_size 64
		.amdhsa_kernarg_size 400
		.amdhsa_user_sgpr_count 15
		.amdhsa_user_sgpr_dispatch_ptr 0
		.amdhsa_user_sgpr_queue_ptr 0
		.amdhsa_user_sgpr_kernarg_segment_ptr 1
		.amdhsa_user_sgpr_dispatch_id 0
		.amdhsa_user_sgpr_private_segment_size 0
		.amdhsa_wavefront_size32 1
		.amdhsa_uses_dynamic_stack 0
		.amdhsa_enable_private_segment 1
		.amdhsa_system_sgpr_workgroup_id_x 1
		.amdhsa_system_sgpr_workgroup_id_y 0
		.amdhsa_system_sgpr_workgroup_id_z 0
		.amdhsa_system_sgpr_workgroup_info 0
		.amdhsa_system_vgpr_workitem_id 0
		.amdhsa_next_free_vgpr 41
		.amdhsa_next_free_sgpr 34
		.amdhsa_reserve_vcc 1
		.amdhsa_float_round_mode_32 0
		.amdhsa_float_round_mode_16_64 0
		.amdhsa_float_denorm_mode_32 3
		.amdhsa_float_denorm_mode_16_64 3
		.amdhsa_dx10_clamp 1
		.amdhsa_ieee_mode 1
		.amdhsa_fp16_overflow 0
		.amdhsa_workgroup_processor_mode 1
		.amdhsa_memory_ordered 1
		.amdhsa_forward_progress 0
		.amdhsa_shared_vgpr_count 0
		.amdhsa_exception_fp_ieee_invalid_op 0
		.amdhsa_exception_fp_denorm_src 0
		.amdhsa_exception_fp_ieee_div_zero 0
		.amdhsa_exception_fp_ieee_overflow 0
		.amdhsa_exception_fp_ieee_underflow 0
		.amdhsa_exception_fp_ieee_inexact 0
		.amdhsa_exception_int_div_zero 0
	.end_amdhsa_kernel
	.section	.text._Z38paged_attention_ll4mi_QKV_mfma4_kernelI14__hip_bfloat16hLN4vllm18Fp8KVCacheDataTypeE1ES0_Li32ELi128ELi256ELb0ELi3EEvPKT_PKT0_S8_ifPKiSA_SA_iPKfiiiPfSD_PS3_PT2_iSC_SC_,"axG",@progbits,_Z38paged_attention_ll4mi_QKV_mfma4_kernelI14__hip_bfloat16hLN4vllm18Fp8KVCacheDataTypeE1ES0_Li32ELi128ELi256ELb0ELi3EEvPKT_PKT0_S8_ifPKiSA_SA_iPKfiiiPfSD_PS3_PT2_iSC_SC_,comdat
.Lfunc_end1648:
	.size	_Z38paged_attention_ll4mi_QKV_mfma4_kernelI14__hip_bfloat16hLN4vllm18Fp8KVCacheDataTypeE1ES0_Li32ELi128ELi256ELb0ELi3EEvPKT_PKT0_S8_ifPKiSA_SA_iPKfiiiPfSD_PS3_PT2_iSC_SC_, .Lfunc_end1648-_Z38paged_attention_ll4mi_QKV_mfma4_kernelI14__hip_bfloat16hLN4vllm18Fp8KVCacheDataTypeE1ES0_Li32ELi128ELi256ELb0ELi3EEvPKT_PKT0_S8_ifPKiSA_SA_iPKfiiiPfSD_PS3_PT2_iSC_SC_
                                        ; -- End function
	.section	.AMDGPU.csdata,"",@progbits
; Kernel info:
; codeLenInByte = 72
; NumSgprs: 36
; NumVgprs: 41
; ScratchSize: 64
; MemoryBound: 0
; FloatMode: 240
; IeeeMode: 1
; LDSByteSize: 0 bytes/workgroup (compile time only)
; SGPRBlocks: 4
; VGPRBlocks: 5
; NumSGPRsForWavesPerEU: 36
; NumVGPRsForWavesPerEU: 41
; Occupancy: 16
; WaveLimiterHint : 1
; COMPUTE_PGM_RSRC2:SCRATCH_EN: 1
; COMPUTE_PGM_RSRC2:USER_SGPR: 15
; COMPUTE_PGM_RSRC2:TRAP_HANDLER: 0
; COMPUTE_PGM_RSRC2:TGID_X_EN: 1
; COMPUTE_PGM_RSRC2:TGID_Y_EN: 0
; COMPUTE_PGM_RSRC2:TGID_Z_EN: 0
; COMPUTE_PGM_RSRC2:TIDIG_COMP_CNT: 0
	.section	.text._Z38paged_attention_ll4mi_QKV_mfma4_kernelI14__hip_bfloat16hLN4vllm18Fp8KVCacheDataTypeE1ES0_Li32ELi128ELi256ELb0ELi4EEvPKT_PKT0_S8_ifPKiSA_SA_iPKfiiiPfSD_PS3_PT2_iSC_SC_,"axG",@progbits,_Z38paged_attention_ll4mi_QKV_mfma4_kernelI14__hip_bfloat16hLN4vllm18Fp8KVCacheDataTypeE1ES0_Li32ELi128ELi256ELb0ELi4EEvPKT_PKT0_S8_ifPKiSA_SA_iPKfiiiPfSD_PS3_PT2_iSC_SC_,comdat
	.protected	_Z38paged_attention_ll4mi_QKV_mfma4_kernelI14__hip_bfloat16hLN4vllm18Fp8KVCacheDataTypeE1ES0_Li32ELi128ELi256ELb0ELi4EEvPKT_PKT0_S8_ifPKiSA_SA_iPKfiiiPfSD_PS3_PT2_iSC_SC_ ; -- Begin function _Z38paged_attention_ll4mi_QKV_mfma4_kernelI14__hip_bfloat16hLN4vllm18Fp8KVCacheDataTypeE1ES0_Li32ELi128ELi256ELb0ELi4EEvPKT_PKT0_S8_ifPKiSA_SA_iPKfiiiPfSD_PS3_PT2_iSC_SC_
	.globl	_Z38paged_attention_ll4mi_QKV_mfma4_kernelI14__hip_bfloat16hLN4vllm18Fp8KVCacheDataTypeE1ES0_Li32ELi128ELi256ELb0ELi4EEvPKT_PKT0_S8_ifPKiSA_SA_iPKfiiiPfSD_PS3_PT2_iSC_SC_
	.p2align	8
	.type	_Z38paged_attention_ll4mi_QKV_mfma4_kernelI14__hip_bfloat16hLN4vllm18Fp8KVCacheDataTypeE1ES0_Li32ELi128ELi256ELb0ELi4EEvPKT_PKT0_S8_ifPKiSA_SA_iPKfiiiPfSD_PS3_PT2_iSC_SC_,@function
_Z38paged_attention_ll4mi_QKV_mfma4_kernelI14__hip_bfloat16hLN4vllm18Fp8KVCacheDataTypeE1ES0_Li32ELi128ELi256ELb0ELi4EEvPKT_PKT0_S8_ifPKiSA_SA_iPKfiiiPfSD_PS3_PT2_iSC_SC_: ; @_Z38paged_attention_ll4mi_QKV_mfma4_kernelI14__hip_bfloat16hLN4vllm18Fp8KVCacheDataTypeE1ES0_Li32ELi128ELi256ELb0ELi4EEvPKT_PKT0_S8_ifPKiSA_SA_iPKfiiiPfSD_PS3_PT2_iSC_SC_
; %bb.0:
	s_add_u32 s8, s0, 0x90
	s_addc_u32 s9, s1, 0
	s_getpc_b64 s[0:1]
	s_add_u32 s0, s0, __PRETTY_FUNCTION__._Z38paged_attention_ll4mi_QKV_mfma4_kernelI14__hip_bfloat16hLN4vllm18Fp8KVCacheDataTypeE1ES0_Li32ELi128ELi256ELb0ELi4EEvPKT_PKT0_S8_ifPKiSA_SA_iPKfiiiPfSD_PS3_PT2_iSC_SC_@rel32@lo+4
	s_addc_u32 s1, s1, __PRETTY_FUNCTION__._Z38paged_attention_ll4mi_QKV_mfma4_kernelI14__hip_bfloat16hLN4vllm18Fp8KVCacheDataTypeE1ES0_Li32ELi128ELi256ELb0ELi4EEvPKT_PKT0_S8_ifPKiSA_SA_iPKfiiiPfSD_PS3_PT2_iSC_SC_@rel32@hi+12
	s_delay_alu instid0(SALU_CYCLE_1) | instskip(SKIP_4) | instid1(SALU_CYCLE_1)
	v_dual_mov_b32 v0, s0 :: v_dual_mov_b32 v1, s1
	s_mov_b32 s32, 0
	s_getpc_b64 s[2:3]
	s_add_u32 s2, s2, __assert_fail@rel32@lo+4
	s_addc_u32 s3, s3, __assert_fail@rel32@hi+12
	s_swappc_b64 s[30:31], s[2:3]
	.section	.rodata,"a",@progbits
	.p2align	6, 0x0
	.amdhsa_kernel _Z38paged_attention_ll4mi_QKV_mfma4_kernelI14__hip_bfloat16hLN4vllm18Fp8KVCacheDataTypeE1ES0_Li32ELi128ELi256ELb0ELi4EEvPKT_PKT0_S8_ifPKiSA_SA_iPKfiiiPfSD_PS3_PT2_iSC_SC_
		.amdhsa_group_segment_fixed_size 0
		.amdhsa_private_segment_fixed_size 64
		.amdhsa_kernarg_size 400
		.amdhsa_user_sgpr_count 15
		.amdhsa_user_sgpr_dispatch_ptr 0
		.amdhsa_user_sgpr_queue_ptr 0
		.amdhsa_user_sgpr_kernarg_segment_ptr 1
		.amdhsa_user_sgpr_dispatch_id 0
		.amdhsa_user_sgpr_private_segment_size 0
		.amdhsa_wavefront_size32 1
		.amdhsa_uses_dynamic_stack 0
		.amdhsa_enable_private_segment 1
		.amdhsa_system_sgpr_workgroup_id_x 1
		.amdhsa_system_sgpr_workgroup_id_y 0
		.amdhsa_system_sgpr_workgroup_id_z 0
		.amdhsa_system_sgpr_workgroup_info 0
		.amdhsa_system_vgpr_workitem_id 0
		.amdhsa_next_free_vgpr 41
		.amdhsa_next_free_sgpr 34
		.amdhsa_reserve_vcc 1
		.amdhsa_float_round_mode_32 0
		.amdhsa_float_round_mode_16_64 0
		.amdhsa_float_denorm_mode_32 3
		.amdhsa_float_denorm_mode_16_64 3
		.amdhsa_dx10_clamp 1
		.amdhsa_ieee_mode 1
		.amdhsa_fp16_overflow 0
		.amdhsa_workgroup_processor_mode 1
		.amdhsa_memory_ordered 1
		.amdhsa_forward_progress 0
		.amdhsa_shared_vgpr_count 0
		.amdhsa_exception_fp_ieee_invalid_op 0
		.amdhsa_exception_fp_denorm_src 0
		.amdhsa_exception_fp_ieee_div_zero 0
		.amdhsa_exception_fp_ieee_overflow 0
		.amdhsa_exception_fp_ieee_underflow 0
		.amdhsa_exception_fp_ieee_inexact 0
		.amdhsa_exception_int_div_zero 0
	.end_amdhsa_kernel
	.section	.text._Z38paged_attention_ll4mi_QKV_mfma4_kernelI14__hip_bfloat16hLN4vllm18Fp8KVCacheDataTypeE1ES0_Li32ELi128ELi256ELb0ELi4EEvPKT_PKT0_S8_ifPKiSA_SA_iPKfiiiPfSD_PS3_PT2_iSC_SC_,"axG",@progbits,_Z38paged_attention_ll4mi_QKV_mfma4_kernelI14__hip_bfloat16hLN4vllm18Fp8KVCacheDataTypeE1ES0_Li32ELi128ELi256ELb0ELi4EEvPKT_PKT0_S8_ifPKiSA_SA_iPKfiiiPfSD_PS3_PT2_iSC_SC_,comdat
.Lfunc_end1649:
	.size	_Z38paged_attention_ll4mi_QKV_mfma4_kernelI14__hip_bfloat16hLN4vllm18Fp8KVCacheDataTypeE1ES0_Li32ELi128ELi256ELb0ELi4EEvPKT_PKT0_S8_ifPKiSA_SA_iPKfiiiPfSD_PS3_PT2_iSC_SC_, .Lfunc_end1649-_Z38paged_attention_ll4mi_QKV_mfma4_kernelI14__hip_bfloat16hLN4vllm18Fp8KVCacheDataTypeE1ES0_Li32ELi128ELi256ELb0ELi4EEvPKT_PKT0_S8_ifPKiSA_SA_iPKfiiiPfSD_PS3_PT2_iSC_SC_
                                        ; -- End function
	.section	.AMDGPU.csdata,"",@progbits
; Kernel info:
; codeLenInByte = 72
; NumSgprs: 36
; NumVgprs: 41
; ScratchSize: 64
; MemoryBound: 0
; FloatMode: 240
; IeeeMode: 1
; LDSByteSize: 0 bytes/workgroup (compile time only)
; SGPRBlocks: 4
; VGPRBlocks: 5
; NumSGPRsForWavesPerEU: 36
; NumVGPRsForWavesPerEU: 41
; Occupancy: 16
; WaveLimiterHint : 1
; COMPUTE_PGM_RSRC2:SCRATCH_EN: 1
; COMPUTE_PGM_RSRC2:USER_SGPR: 15
; COMPUTE_PGM_RSRC2:TRAP_HANDLER: 0
; COMPUTE_PGM_RSRC2:TGID_X_EN: 1
; COMPUTE_PGM_RSRC2:TGID_Y_EN: 0
; COMPUTE_PGM_RSRC2:TGID_Z_EN: 0
; COMPUTE_PGM_RSRC2:TIDIG_COMP_CNT: 0
	.section	.text._Z39paged_attention_ll4mi_QKV_mfma16_kernelI14__hip_bfloat16hLN4vllm18Fp8KVCacheDataTypeE1ES0_Li32ELi128ELi256ELb0ELi5EL8MFMAType1EEvPKT_PKT0_S9_ifPKiSB_SB_iPKfiiiPfSE_PS4_PT2_iSD_SD_,"axG",@progbits,_Z39paged_attention_ll4mi_QKV_mfma16_kernelI14__hip_bfloat16hLN4vllm18Fp8KVCacheDataTypeE1ES0_Li32ELi128ELi256ELb0ELi5EL8MFMAType1EEvPKT_PKT0_S9_ifPKiSB_SB_iPKfiiiPfSE_PS4_PT2_iSD_SD_,comdat
	.protected	_Z39paged_attention_ll4mi_QKV_mfma16_kernelI14__hip_bfloat16hLN4vllm18Fp8KVCacheDataTypeE1ES0_Li32ELi128ELi256ELb0ELi5EL8MFMAType1EEvPKT_PKT0_S9_ifPKiSB_SB_iPKfiiiPfSE_PS4_PT2_iSD_SD_ ; -- Begin function _Z39paged_attention_ll4mi_QKV_mfma16_kernelI14__hip_bfloat16hLN4vllm18Fp8KVCacheDataTypeE1ES0_Li32ELi128ELi256ELb0ELi5EL8MFMAType1EEvPKT_PKT0_S9_ifPKiSB_SB_iPKfiiiPfSE_PS4_PT2_iSD_SD_
	.globl	_Z39paged_attention_ll4mi_QKV_mfma16_kernelI14__hip_bfloat16hLN4vllm18Fp8KVCacheDataTypeE1ES0_Li32ELi128ELi256ELb0ELi5EL8MFMAType1EEvPKT_PKT0_S9_ifPKiSB_SB_iPKfiiiPfSE_PS4_PT2_iSD_SD_
	.p2align	8
	.type	_Z39paged_attention_ll4mi_QKV_mfma16_kernelI14__hip_bfloat16hLN4vllm18Fp8KVCacheDataTypeE1ES0_Li32ELi128ELi256ELb0ELi5EL8MFMAType1EEvPKT_PKT0_S9_ifPKiSB_SB_iPKfiiiPfSE_PS4_PT2_iSD_SD_,@function
_Z39paged_attention_ll4mi_QKV_mfma16_kernelI14__hip_bfloat16hLN4vllm18Fp8KVCacheDataTypeE1ES0_Li32ELi128ELi256ELb0ELi5EL8MFMAType1EEvPKT_PKT0_S9_ifPKiSB_SB_iPKfiiiPfSE_PS4_PT2_iSD_SD_: ; @_Z39paged_attention_ll4mi_QKV_mfma16_kernelI14__hip_bfloat16hLN4vllm18Fp8KVCacheDataTypeE1ES0_Li32ELi128ELi256ELb0ELi5EL8MFMAType1EEvPKT_PKT0_S9_ifPKiSB_SB_iPKfiiiPfSE_PS4_PT2_iSD_SD_
; %bb.0:
	s_load_b64 s[4:5], s[0:1], 0x30
	s_mov_b32 s30, s13
	s_waitcnt lgkmcnt(0)
	s_cmp_lg_u64 s[4:5], 0
	s_cselect_b32 s13, -1, 0
	s_ashr_i32 s31, s30, 31
	s_cmp_eq_u64 s[4:5], 0
	s_cbranch_scc1 .LBB1650_3
; %bb.1:
	s_lshl_b64 s[2:3], s[30:31], 2
	s_delay_alu instid0(SALU_CYCLE_1) | instskip(SKIP_4) | instid1(SALU_CYCLE_1)
	s_add_u32 s2, s4, s2
	s_addc_u32 s3, s5, s3
	s_load_b64 s[2:3], s[2:3], 0x0
	s_waitcnt lgkmcnt(0)
	s_sub_i32 s2, s3, s2
	s_cmp_eq_u32 s2, 1
	s_cselect_b32 s2, -1, 0
	s_delay_alu instid0(SALU_CYCLE_1)
	s_and_not1_b32 vcc_lo, exec_lo, s2
	s_cbranch_vccz .LBB1650_4
.LBB1650_2:
	s_nop 0
	s_sendmsg sendmsg(MSG_DEALLOC_VGPRS)
	s_endpgm
.LBB1650_3:
.LBB1650_4:
	s_load_b64 s[2:3], s[0:1], 0x28
	s_lshl_b64 s[6:7], s[30:31], 2
	s_waitcnt lgkmcnt(0)
	s_add_u32 s2, s2, s6
	s_addc_u32 s3, s3, s7
	s_lshl_b32 s12, s14, 8
	s_load_b32 s17, s[2:3], 0x0
	s_waitcnt lgkmcnt(0)
	s_cmp_ge_i32 s12, s17
	s_cbranch_scc1 .LBB1650_2
; %bb.5:
	s_clause 0x1
	s_load_b128 s[8:11], s[0:1], 0x8
	s_load_b64 s[2:3], s[0:1], 0x20
	s_and_not1_b32 vcc_lo, exec_lo, s13
	s_cbranch_vccnz .LBB1650_7
; %bb.6:
	s_add_u32 s4, s4, s6
	s_addc_u32 s5, s5, s7
	s_load_b32 s13, s[4:5], 0x0
	s_branch .LBB1650_8
.LBB1650_7:
	s_mov_b32 s13, s30
.LBB1650_8:
	s_load_b128 s[4:7], s[0:1], 0x48
	v_and_b32_e32 v65, 15, v0
	v_lshrrev_b32_e32 v66, 5, v0
	v_bfe_u32 v74, v0, 4, 1
	v_and_b32_e32 v67, 31, v0
	v_and_b32_e32 v75, 1, v0
	v_lshlrev_b32_e32 v2, 3, v65
	s_mul_i32 s31, s15, 5
	v_lshl_or_b32 v1, v66, 1, v74
	s_waitcnt lgkmcnt(0)
	s_mov_b32 s7, exec_lo
	v_lshlrev_b32_e32 v73, 1, v2
	s_delay_alu instid0(VALU_DEP_2)
	v_cmpx_gt_u32_e32 5, v1
	s_cbranch_execz .LBB1650_10
; %bb.9:
	s_load_b64 s[18:19], s[0:1], 0x0
	v_add_lshl_u32 v2, v1, s31, 7
	s_mul_hi_i32 s21, s13, s4
	s_mul_i32 s20, s13, s4
	v_lshlrev_b32_e32 v6, 10, v65
	s_lshl_b64 s[20:21], s[20:21], 1
	v_ashrrev_i32_e32 v3, 31, v2
	v_lshlrev_b32_e32 v1, 6, v1
	v_lshlrev_b32_e32 v7, 10, v75
	v_and_b32_e32 v6, 0x3800, v6
	s_delay_alu instid0(VALU_DEP_4) | instskip(NEXT) | instid1(VALU_DEP_2)
	v_lshlrev_b64 v[2:3], 1, v[2:3]
	v_or3_b32 v1, v6, v7, v1
	s_waitcnt lgkmcnt(0)
	s_add_u32 s4, s18, s20
	s_addc_u32 s13, s19, s21
	s_delay_alu instid0(VALU_DEP_2) | instskip(SKIP_1) | instid1(VALU_DEP_2)
	v_add_co_u32 v2, vcc_lo, s4, v2
	v_add_co_ci_u32_e32 v3, vcc_lo, s13, v3, vcc_lo
	v_add_co_u32 v2, vcc_lo, v2, v73
	s_delay_alu instid0(VALU_DEP_2)
	v_add_co_ci_u32_e32 v3, vcc_lo, 0, v3, vcc_lo
	global_load_b128 v[2:5], v[2:3], off
	s_waitcnt vmcnt(0)
	ds_store_b128 v1, v[2:5]
.LBB1650_10:
	s_or_b32 exec_lo, exec_lo, s7
	v_and_b32_e32 v1, 0xef, v0
	s_add_i32 s4, s17, 31
	s_clause 0x1
	s_load_b32 s7, s[0:1], 0x38
	s_load_b32 s18, s[0:1], 0x1c
	s_ashr_i32 s13, s4, 31
	v_add_nc_u32_e32 v2, s12, v1
	s_lshr_b32 s13, s13, 27
	s_waitcnt lgkmcnt(0)
	s_add_i32 s4, s4, s13
	s_barrier
	v_ashrrev_i32_e32 v1, 31, v2
	s_ashr_i32 s4, s4, 5
	v_cmp_gt_i32_e32 vcc_lo, s17, v2
	s_add_i32 s4, s4, -1
	buffer_gl0_inv
	v_lshrrev_b32_e32 v3, 27, v1
	v_or_b32_e32 v1, 16, v2
	s_mul_i32 s15, s15, s6
	s_delay_alu instid0(VALU_DEP_2) | instskip(SKIP_1) | instid1(SALU_CYCLE_1)
	v_add_nc_u32_e32 v4, v2, v3
	s_mul_i32 s20, s30, s7
	s_ashr_i32 s21, s20, 31
	s_delay_alu instid0(VALU_DEP_1) | instskip(SKIP_2) | instid1(SALU_CYCLE_1)
	v_ashrrev_i32_e32 v4, 5, v4
	v_add_nc_u32_e32 v3, v1, v3
	s_lshl_b64 s[20:21], s[20:21], 2
	s_add_u32 s7, s2, s20
	s_delay_alu instid0(VALU_DEP_2) | instskip(NEXT) | instid1(VALU_DEP_2)
	v_cndmask_b32_e32 v2, s4, v4, vcc_lo
	v_ashrrev_i32_e32 v3, 5, v3
	v_cmp_gt_i32_e32 vcc_lo, s17, v1
	s_addc_u32 s13, s3, s21
	s_ashr_i32 s6, s15, 31
	s_add_u32 s2, s8, s15
	s_addc_u32 s3, s9, s6
	v_cndmask_b32_e32 v4, s4, v3, vcc_lo
	v_ashrrev_i32_e32 v3, 31, v2
	s_lshl_b32 s8, s14, 3
	s_delay_alu instid0(SALU_CYCLE_1) | instskip(NEXT) | instid1(VALU_DEP_2)
	s_ashr_i32 s9, s8, 31
	v_ashrrev_i32_e32 v5, 31, v4
	s_delay_alu instid0(VALU_DEP_2) | instskip(SKIP_1) | instid1(SALU_CYCLE_1)
	v_lshlrev_b64 v[1:2], 2, v[2:3]
	s_lshl_b64 s[8:9], s[8:9], 2
	s_add_u32 s8, s7, s8
	s_delay_alu instid0(VALU_DEP_2) | instskip(SKIP_1) | instid1(VALU_DEP_2)
	v_lshlrev_b64 v[3:4], 2, v[4:5]
	s_addc_u32 s9, s13, s9
	v_add_co_u32 v1, vcc_lo, s7, v1
	v_add_co_ci_u32_e32 v2, vcc_lo, s13, v2, vcc_lo
	s_delay_alu instid0(VALU_DEP_3) | instskip(NEXT) | instid1(VALU_DEP_4)
	v_add_co_u32 v3, vcc_lo, s7, v3
	v_add_co_ci_u32_e32 v4, vcc_lo, s13, v4, vcc_lo
	s_clause 0x1
	global_load_b32 v5, v[1:2], off
	global_load_b32 v6, v[3:4], off
	s_or_b32 s16, s12, 32
	s_delay_alu instid0(SALU_CYCLE_1) | instskip(SKIP_2) | instid1(SALU_CYCLE_1)
	s_ashr_i32 s19, s16, 5
	s_cmp_lt_i32 s16, s17
	s_cselect_b32 s20, s19, s4
	s_ashr_i32 s21, s20, 31
	s_delay_alu instid0(SALU_CYCLE_1) | instskip(NEXT) | instid1(SALU_CYCLE_1)
	s_lshl_b64 s[20:21], s[20:21], 2
	s_add_u32 s20, s7, s20
	s_addc_u32 s21, s13, s21
	s_or_b32 s16, s12, 64
	s_delay_alu instid0(SALU_CYCLE_1) | instskip(SKIP_2) | instid1(SALU_CYCLE_1)
	s_ashr_i32 s19, s16, 5
	s_cmp_lt_i32 s16, s17
	s_cselect_b32 s22, s19, s4
	s_ashr_i32 s23, s22, 31
	s_delay_alu instid0(SALU_CYCLE_1) | instskip(NEXT) | instid1(SALU_CYCLE_1)
	s_lshl_b64 s[22:23], s[22:23], 2
	s_add_u32 s22, s7, s22
	s_addc_u32 s23, s13, s23
	;; [unrolled: 10-line block ×5, first 2 shown]
	s_clause 0x5
	s_load_b32 s16, s[8:9], 0x0
	s_load_b32 s19, s[20:21], 0x0
	s_load_b32 s33, s[22:23], 0x0
	s_load_b32 s34, s[24:25], 0x0
	s_load_b32 s35, s[26:27], 0x0
	s_load_b32 s28, s[28:29], 0x0
	s_mov_b32 s20, 0
	s_delay_alu instid0(SALU_CYCLE_1)
	s_mov_b32 s21, s20
	s_mov_b32 s22, s20
	;; [unrolled: 1-line block ×7, first 2 shown]
	s_delay_alu instid0(SALU_CYCLE_1)
	v_dual_mov_b32 v107, s27 :: v_dual_mov_b32 v106, s26
	v_dual_mov_b32 v105, s25 :: v_dual_mov_b32 v102, s22
	;; [unrolled: 1-line block ×4, first 2 shown]
	s_waitcnt vmcnt(1)
	v_mad_i64_i32 v[1:2], null, v5, s5, s[2:3]
	v_lshlrev_b32_e32 v5, 4, v65
	s_waitcnt vmcnt(0)
	v_mad_i64_i32 v[3:4], null, v6, s5, s[2:3]
	s_or_b32 s2, s12, 0xc0
	s_delay_alu instid0(SALU_CYCLE_1) | instskip(NEXT) | instid1(VALU_DEP_3)
	s_ashr_i32 s3, s2, 5
	v_add_co_u32 v25, vcc_lo, v1, v5
	s_delay_alu instid0(VALU_DEP_4) | instskip(NEXT) | instid1(VALU_DEP_3)
	v_add_co_ci_u32_e32 v26, vcc_lo, 0, v2, vcc_lo
	v_add_co_u32 v27, vcc_lo, v3, v5
	s_delay_alu instid0(VALU_DEP_4)
	v_add_co_ci_u32_e32 v28, vcc_lo, 0, v4, vcc_lo
	s_clause 0xf
	global_load_b128 v[1:4], v[25:26], off
	global_load_b128 v[5:8], v[25:26], off offset:512
	global_load_b128 v[9:12], v[27:28], off offset:256
	;; [unrolled: 1-line block ×15, first 2 shown]
	v_mul_lo_u16 v25, v65, 52
	s_cmp_lt_i32 s2, s17
	v_lshlrev_b32_e32 v26, 5, v65
	s_cselect_b32 s2, s3, s4
	s_delay_alu instid0(VALU_DEP_2) | instskip(SKIP_1) | instid1(VALU_DEP_2)
	v_lshrrev_b16 v25, 8, v25
	s_ashr_i32 s3, s2, 31
	v_lshl_or_b32 v33, v66, 9, v26
	s_lshl_b64 s[2:3], s[2:3], 2
	s_delay_alu instid0(VALU_DEP_2) | instskip(SKIP_3) | instid1(VALU_DEP_1)
	v_mul_lo_u16 v25, v25, 5
	s_add_u32 s2, s7, s2
	s_addc_u32 s3, s13, s3
	s_or_b32 s8, s12, 0xe0
	v_sub_nc_u16 v25, v65, v25
	s_ashr_i32 s9, s8, 5
	s_cmp_lt_i32 s8, s17
	s_cselect_b32 s8, s9, s4
	s_delay_alu instid0(VALU_DEP_1) | instskip(SKIP_1) | instid1(SALU_CYCLE_1)
	v_and_b32_e32 v25, 0xff, v25
	s_ashr_i32 s9, s8, 31
	s_lshl_b64 s[8:9], s[8:9], 2
	s_delay_alu instid0(VALU_DEP_1)
	v_lshlrev_b32_e32 v72, 6, v25
	ds_load_b128 v[25:28], v72
	ds_load_b128 v[29:32], v72 offset:1024
	ds_load_b128 v[108:111], v72 offset:2048
	;; [unrolled: 1-line block ×3, first 2 shown]
	s_load_b32 s4, s[2:3], 0x0
	s_add_u32 s2, s7, s8
	s_addc_u32 s3, s13, s9
	ds_load_b128 v[116:119], v72 offset:4096
	ds_load_b128 v[120:123], v72 offset:5120
	s_load_b32 s2, s[2:3], 0x0
	s_add_u32 s7, s10, s15
	s_addc_u32 s6, s11, s6
	v_add_co_u32 v68, s7, s7, v33
	s_delay_alu instid0(VALU_DEP_1) | instskip(SKIP_1) | instid1(VALU_DEP_1)
	v_add_co_ci_u32_e64 v69, null, s6, 0, s7
	s_waitcnt lgkmcnt(0)
	v_mad_i64_i32 v[33:34], null, s16, s5, v[68:69]
	v_mad_i64_i32 v[70:71], null, s33, s5, v[68:69]
	;; [unrolled: 1-line block ×7, first 2 shown]
	s_clause 0x3
	global_load_b128 v[41:44], v[33:34], off
	global_load_b128 v[45:48], v[33:34], off offset:16
	global_load_b128 v[33:36], v[37:38], off
	global_load_b128 v[37:40], v[37:38], off offset:16
	s_waitcnt vmcnt(18)
	v_wmma_f32_16x16x16_bf16 v[124:131], v[1:8], v[25:32], v[100:107]
	s_waitcnt vmcnt(16)
	v_wmma_f32_16x16x16_bf16 v[100:107], v[9:16], v[25:32], v[100:107]
	s_clause 0x1
	global_load_b128 v[25:28], v[70:71], off
	global_load_b128 v[29:32], v[70:71], off offset:16
	s_waitcnt vmcnt(16)
	v_wmma_f32_16x16x16_bf16 v[124:131], v[17:24], v[108:115], v[124:131]
	s_clause 0x1
	global_load_b128 v[17:20], v[132:133], off
	global_load_b128 v[21:24], v[132:133], off offset:16
	s_waitcnt vmcnt(16)
	v_wmma_f32_16x16x16_bf16 v[100:107], v[49:56], v[108:115], v[100:107]
	v_mad_i64_i32 v[53:54], null, s2, s5, v[68:69]
	s_clause 0x3
	global_load_b128 v[1:4], v[134:135], off
	global_load_b128 v[5:8], v[134:135], off offset:16
	global_load_b128 v[9:12], v[136:137], off
	global_load_b128 v[13:16], v[136:137], off offset:16
	s_waitcnt vmcnt(18)
	v_wmma_f32_16x16x16_bf16 v[124:131], v[57:64], v[116:123], v[124:131]
	s_clause 0x3
	global_load_b128 v[57:60], v[138:139], off
	global_load_b128 v[61:64], v[138:139], off offset:16
	global_load_b128 v[49:52], v[53:54], off
	global_load_b128 v[53:56], v[53:54], off offset:16
	s_waitcnt vmcnt(20)
	v_wmma_f32_16x16x16_bf16 v[100:107], v[76:83], v[116:123], v[100:107]
	ds_load_b128 v[76:79], v72 offset:6144
	ds_load_b128 v[80:83], v72 offset:7168
	v_mbcnt_lo_u32_b32 v69, -1, 0
	s_waitcnt vmcnt(0) lgkmcnt(0)
	s_barrier
	buffer_gl0_inv
	v_xor_b32_e32 v70, 16, v69
	s_delay_alu instid0(VALU_DEP_1) | instskip(SKIP_4) | instid1(VALU_DEP_2)
	v_cmp_gt_i32_e32 vcc_lo, 32, v70
	v_cndmask_b32_e32 v69, v69, v70, vcc_lo
	v_wmma_f32_16x16x16_bf16 v[124:131], v[84:91], v[76:83], v[124:131]
	v_and_b32_e32 v68, 0xe0, v0
	v_wmma_f32_16x16x16_bf16 v[100:107], v[92:99], v[76:83], v[100:107]
	v_dual_mul_f32 v81, s18, v129 :: v_dual_add_nc_u32 v68, s12, v68
	s_delay_alu instid0(VALU_DEP_4) | instskip(NEXT) | instid1(VALU_DEP_3)
	v_dual_mul_f32 v83, s18, v131 :: v_dual_mul_f32 v78, s18, v125
	v_mul_f32_e32 v95, s18, v103
	v_mul_f32_e32 v79, s18, v127
	s_delay_alu instid0(VALU_DEP_4) | instskip(SKIP_3) | instid1(VALU_DEP_4)
	v_or_b32_e32 v68, v68, v74
	v_dual_mul_f32 v80, s18, v126 :: v_dual_mul_f32 v97, s18, v105
	v_dual_mul_f32 v93, s18, v101 :: v_dual_mul_f32 v82, s18, v128
	v_mul_f32_e32 v99, s18, v107
	v_or_b32_e32 v70, 2, v68
	v_or_b32_e32 v71, 4, v68
	;; [unrolled: 1-line block ×3, first 2 shown]
	v_cmp_gt_i32_e64 s2, s17, v68
	v_or_b32_e32 v108, 8, v68
	v_cmp_gt_i32_e32 vcc_lo, s17, v70
	v_mul_f32_e32 v70, s18, v124
	v_or_b32_e32 v109, 10, v68
	v_cmp_gt_i32_e64 s3, s17, v71
	v_cmp_gt_i32_e64 s4, s17, v72
	v_cndmask_b32_e32 v78, 0xff7fffff, v78, vcc_lo
	v_cndmask_b32_e64 v70, 0xff7fffff, v70, s2
	v_or_b32_e32 v84, 12, v68
	v_or_b32_e32 v85, 14, v68
	v_cndmask_b32_e64 v71, 0xff7fffff, v80, s3
	v_cndmask_b32_e64 v72, 0xff7fffff, v79, s4
	v_max3_f32 v70, v70, 0xff7fffff, v78
	v_cmp_gt_i32_e64 s5, s17, v108
	v_cmp_gt_i32_e64 s6, s17, v109
	v_or_b32_e32 v86, 16, v68
	v_or_b32_e32 v87, 18, v68
	;; [unrolled: 1-line block ×3, first 2 shown]
	v_mul_f32_e32 v92, s18, v130
	v_cndmask_b32_e64 v78, 0xff7fffff, v82, s5
	v_cndmask_b32_e64 v79, 0xff7fffff, v81, s6
	v_max3_f32 v70, v70, v71, v72
	v_cmp_gt_i32_e64 s7, s17, v84
	v_cmp_gt_i32_e64 s8, s17, v85
	v_or_b32_e32 v88, 20, v68
	v_mul_f32_e32 v94, s18, v100
	v_max3_f32 v70, v70, v78, v79
	v_cmp_gt_i32_e64 s9, s17, v86
	v_cndmask_b32_e64 v72, 0xff7fffff, v83, s8
	v_cmp_gt_i32_e64 s10, s17, v87
	v_cmp_gt_i32_e64 s12, s17, v89
	v_lshlrev_b32_e32 v89, 2, v69
	v_cndmask_b32_e64 v71, 0xff7fffff, v92, s7
	v_or_b32_e32 v90, 24, v68
	v_or_b32_e32 v91, 26, v68
	v_mul_f32_e32 v96, s18, v102
	v_cndmask_b32_e64 v78, 0xff7fffff, v94, s9
	v_cndmask_b32_e64 v79, 0xff7fffff, v93, s10
	v_max3_f32 v70, v70, v71, v72
	v_cmp_gt_i32_e64 s11, s17, v88
	v_or_b32_e32 v76, 28, v68
	v_or_b32_e32 v77, 30, v68
	v_mul_f32_e32 v98, s18, v104
	v_cndmask_b32_e64 v72, 0xff7fffff, v95, s12
	v_cndmask_b32_e64 v71, 0xff7fffff, v96, s11
	v_max3_f32 v70, v70, v78, v79
	v_cmp_gt_i32_e64 s13, s17, v90
	v_cmp_gt_i32_e64 s15, s17, v91
	v_mul_f32_e32 v68, s18, v106
	v_cmp_gt_i32_e64 s16, s17, v76
	v_max3_f32 v70, v70, v71, v72
	v_cndmask_b32_e64 v78, 0xff7fffff, v98, s13
	v_cndmask_b32_e64 v79, 0xff7fffff, v97, s15
	v_cmp_gt_i32_e64 s17, s17, v77
	v_cndmask_b32_e64 v68, 0xff7fffff, v68, s16
	s_delay_alu instid0(VALU_DEP_3) | instskip(NEXT) | instid1(VALU_DEP_3)
	v_max3_f32 v70, v70, v78, v79
	v_cndmask_b32_e64 v71, 0xff7fffff, v99, s17
	s_delay_alu instid0(VALU_DEP_1) | instskip(SKIP_3) | instid1(VALU_DEP_1)
	v_max3_f32 v68, v70, v68, v71
	ds_bpermute_b32 v69, v89, v68
	s_waitcnt lgkmcnt(0)
	v_max_f32_e32 v69, v69, v69
	v_max_f32_e32 v68, v68, v69
	s_delay_alu instid0(VALU_DEP_1) | instskip(NEXT) | instid1(VALU_DEP_1)
	v_fma_f32 v71, s18, v126, -v68
	v_mul_f32_e32 v71, 0x3fb8aa3b, v71
	s_delay_alu instid0(VALU_DEP_1) | instskip(SKIP_3) | instid1(VALU_DEP_1)
	v_exp_f32_e32 v71, v71
	s_waitcnt_depctr 0xfff
	v_cndmask_b32_e64 v83, 0, v71, s3
	v_fma_f32 v71, s18, v131, -v68
	v_mul_f32_e32 v71, 0x3fb8aa3b, v71
	v_fma_f32 v69, s18, v124, -v68
	v_fma_f32 v76, s18, v128, -v68
	;; [unrolled: 1-line block ×4, first 2 shown]
	v_exp_f32_e32 v71, v71
	v_mul_f32_e32 v69, 0x3fb8aa3b, v69
	v_mul_f32_e32 v77, 0x3fb8aa3b, v76
	v_fma_f32 v81, s18, v105, -v68
	v_fma_f32 v78, s18, v130, -v68
	s_delay_alu instid0(VALU_DEP_4) | instskip(NEXT) | instid1(VALU_DEP_3)
	v_exp_f32_e32 v69, v69
	v_exp_f32_e32 v77, v77
	s_delay_alu instid0(VALU_DEP_2) | instskip(NEXT) | instid1(TRANS32_DEP_3)
	v_mul_f32_e32 v81, 0x3fb8aa3b, v81
	v_cndmask_b32_e64 v88, 0, v71, s8
	v_fma_f32 v71, s18, v104, -v68
	s_delay_alu instid0(VALU_DEP_3) | instskip(NEXT) | instid1(TRANS32_DEP_3)
	v_exp_f32_e32 v81, v81
	v_cndmask_b32_e64 v80, 0, v69, s2
	v_fma_f32 v69, s18, v129, -v68
	v_mul_f32_e32 v70, 0x3fb8aa3b, v70
	s_delay_alu instid0(TRANS32_DEP_2)
	v_cndmask_b32_e64 v86, 0, v77, s5
	v_mul_f32_e32 v72, 0x3fb8aa3b, v72
	v_fma_f32 v77, s18, v101, -v68
	v_mul_f32_e32 v69, 0x3fb8aa3b, v69
	v_exp_f32_e32 v70, v70
	v_mul_f32_e32 v71, 0x3fb8aa3b, v71
	v_exp_f32_e32 v72, v72
	;; [unrolled: 2-line block ×3, first 2 shown]
	v_cmp_gt_u32_e64 s2, 16, v67
	v_exp_f32_e32 v82, v71
	s_delay_alu instid0(VALU_DEP_2) | instskip(SKIP_4) | instid1(TRANS32_DEP_3)
	v_exp_f32_e32 v77, v77
	v_cndmask_b32_e32 v76, 0, v70, vcc_lo
	v_add_f32_e32 v70, 0, v80
	v_cndmask_b32_e64 v85, 0, v72, s4
	v_fma_f32 v72, s18, v100, -v68
	v_cndmask_b32_e64 v87, 0, v69, s6
	s_delay_alu instid0(VALU_DEP_4) | instskip(NEXT) | instid1(VALU_DEP_3)
	v_add_f32_e32 v70, v70, v76
	v_mul_f32_e32 v72, 0x3fb8aa3b, v72
	s_delay_alu instid0(VALU_DEP_2) | instskip(NEXT) | instid1(VALU_DEP_2)
	v_add_f32_e32 v70, v70, v83
	v_exp_f32_e32 v72, v72
	s_delay_alu instid0(VALU_DEP_1) | instskip(NEXT) | instid1(VALU_DEP_1)
	v_add_f32_e32 v70, v70, v85
	v_add_f32_e32 v69, v70, v86
	v_fma_f32 v70, s18, v102, -v68
	s_delay_alu instid0(VALU_DEP_2) | instskip(NEXT) | instid1(VALU_DEP_2)
	v_dual_add_f32 v69, v69, v87 :: v_dual_mul_f32 v78, 0x3fb8aa3b, v78
	v_mul_f32_e32 v70, 0x3fb8aa3b, v70
	s_delay_alu instid0(VALU_DEP_2) | instskip(NEXT) | instid1(VALU_DEP_1)
	v_exp_f32_e32 v78, v78
	v_exp_f32_e32 v79, v70
	s_delay_alu instid0(TRANS32_DEP_3) | instskip(SKIP_4) | instid1(VALU_DEP_2)
	v_cndmask_b32_e64 v70, 0, v72, s9
	s_waitcnt_depctr 0xfff
	v_cndmask_b32_e64 v84, 0, v78, s7
	v_fma_f32 v78, s18, v103, -v68
	v_cndmask_b32_e64 v71, 0, v79, s11
	v_dual_add_f32 v69, v69, v84 :: v_dual_mul_f32 v78, 0x3fb8aa3b, v78
	s_delay_alu instid0(VALU_DEP_1) | instskip(NEXT) | instid1(VALU_DEP_2)
	v_add_f32_e32 v72, v69, v88
	v_exp_f32_e32 v78, v78
	v_cndmask_b32_e64 v69, 0, v77, s10
	v_fma_f32 v77, s18, v106, -v68
	s_delay_alu instid0(VALU_DEP_1) | instskip(NEXT) | instid1(VALU_DEP_1)
	v_dual_add_f32 v72, v72, v70 :: v_dual_mul_f32 v77, 0x3fb8aa3b, v77
	v_add_f32_e32 v79, v72, v69
	s_waitcnt_depctr 0xfff
	v_cndmask_b32_e64 v72, 0, v78, s12
	v_exp_f32_e32 v90, v77
	v_cndmask_b32_e64 v77, 0, v82, s13
	v_add_f32_e32 v78, v79, v71
	v_fma_f32 v79, s18, v107, -v68
	s_delay_alu instid0(VALU_DEP_1) | instskip(SKIP_1) | instid1(VALU_DEP_2)
	v_dual_add_f32 v82, v78, v72 :: v_dual_mul_f32 v79, 0x3fb8aa3b, v79
	v_cndmask_b32_e64 v78, 0, v81, s15
	v_add_f32_e32 v81, v82, v77
	s_delay_alu instid0(VALU_DEP_3) | instskip(NEXT) | instid1(TRANS32_DEP_2)
	v_exp_f32_e32 v82, v79
	v_cndmask_b32_e64 v79, 0, v90, s16
	s_delay_alu instid0(VALU_DEP_2) | instskip(NEXT) | instid1(VALU_DEP_1)
	v_add_f32_e32 v81, v81, v78
	v_add_f32_e32 v90, v81, v79
	s_waitcnt_depctr 0xfff
	v_cndmask_b32_e64 v81, 0, v82, s17
	s_delay_alu instid0(VALU_DEP_1)
	v_add_f32_e32 v82, v90, v81
	ds_bpermute_b32 v89, v89, v82
	s_and_saveexec_b32 s3, s2
	s_cbranch_execz .LBB1650_12
; %bb.11:
	v_mul_u32_u24_e32 v67, 0x44, v66
	s_delay_alu instid0(VALU_DEP_1) | instskip(SKIP_1) | instid1(VALU_DEP_1)
	v_lshl_add_u32 v67, v65, 2, v67
	s_waitcnt lgkmcnt(0)
	v_dual_add_f32 v82, v82, v89 :: v_dual_add_nc_u32 v67, 0x4000, v67
	ds_store_2addr_b32 v67, v68, v82 offset1:136
.LBB1650_12:
	s_or_b32 exec_lo, exec_lo, s3
	v_lshlrev_b32_e32 v67, 2, v65
	s_waitcnt lgkmcnt(0)
	s_barrier
	buffer_gl0_inv
	v_cmp_eq_u32_e32 vcc_lo, 1, v66
	v_add_nc_u32_e32 v82, 0x4000, v67
	v_cmp_eq_u32_e64 s3, 2, v66
	v_cmp_eq_u32_e64 s5, 7, v66
	ds_load_2addr_b32 v[89:90], v82 offset1:17
	ds_load_2addr_b32 v[91:92], v82 offset0:34 offset1:51
	ds_load_2addr_b32 v[93:94], v82 offset0:68 offset1:85
	ds_load_2addr_b32 v[95:96], v82 offset0:102 offset1:119
	ds_load_2addr_b32 v[97:98], v82 offset0:136 offset1:153
	s_waitcnt lgkmcnt(4)
	v_max3_f32 v67, v89, 0xff7fffff, v90
	s_waitcnt lgkmcnt(3)
	s_delay_alu instid0(VALU_DEP_1) | instskip(SKIP_1) | instid1(VALU_DEP_1)
	v_max3_f32 v67, v67, v91, v92
	s_waitcnt lgkmcnt(2)
	v_max3_f32 v67, v67, v93, v94
	s_waitcnt lgkmcnt(1)
	s_delay_alu instid0(VALU_DEP_1) | instskip(NEXT) | instid1(VALU_DEP_1)
	v_max3_f32 v67, v67, v95, v96
	v_sub_f32_e32 v93, v93, v67
	s_delay_alu instid0(VALU_DEP_1) | instskip(NEXT) | instid1(VALU_DEP_1)
	v_dual_sub_f32 v68, v89, v67 :: v_dual_mul_f32 v103, 0x3fb8aa3b, v93
	v_mul_f32_e32 v68, 0x3fb8aa3b, v68
	s_delay_alu instid0(VALU_DEP_1)
	v_exp_f32_e32 v100, v68
	v_sub_f32_e32 v68, v92, v67
	v_sub_f32_e32 v99, v90, v67
	ds_load_2addr_b32 v[89:90], v82 offset0:170 offset1:187
	v_dual_mul_f32 v102, 0x3fb8aa3b, v68 :: v_dual_mul_f32 v99, 0x3fb8aa3b, v99
	s_waitcnt lgkmcnt(1)
	v_fma_f32 v68, v100, v97, 0
	s_delay_alu instid0(VALU_DEP_2) | instskip(NEXT) | instid1(VALU_DEP_2)
	v_exp_f32_e32 v102, v102
	v_exp_f32_e32 v99, v99
	s_waitcnt_depctr 0xfff
	v_fmac_f32_e32 v68, v99, v98
	v_sub_f32_e32 v91, v91, v67
	s_delay_alu instid0(VALU_DEP_1)
	v_mul_f32_e32 v101, 0x3fb8aa3b, v91
	ds_load_2addr_b32 v[91:92], v82 offset0:204 offset1:221
	v_sub_f32_e32 v97, v94, v67
	ds_load_2addr_b32 v[93:94], v82 offset0:238 offset1:255
	s_waitcnt lgkmcnt(0)
	v_exp_f32_e32 v101, v101
	s_barrier
	buffer_gl0_inv
	v_dual_fmac_f32 v68, v101, v89 :: v_dual_sub_f32 v89, v96, v67
	v_dual_sub_f32 v82, v95, v67 :: v_dual_mul_f32 v95, 0x3fb8aa3b, v97
	v_exp_f32_e32 v97, v103
	s_delay_alu instid0(VALU_DEP_2) | instskip(NEXT) | instid1(VALU_DEP_2)
	v_dual_fmac_f32 v68, v102, v90 :: v_dual_mul_f32 v89, 0x3fb8aa3b, v89
	v_mul_f32_e32 v82, 0x3fb8aa3b, v82
	s_delay_alu instid0(VALU_DEP_3) | instskip(NEXT) | instid1(VALU_DEP_2)
	v_exp_f32_e32 v95, v95
	v_exp_f32_e32 v89, v89
	s_delay_alu instid0(VALU_DEP_1)
	v_exp_f32_e32 v82, v82
	v_fmac_f32_e32 v68, v97, v91
	s_delay_alu instid0(TRANS32_DEP_3) | instid1(VALU_DEP_1)
	v_fmac_f32_e32 v68, v95, v92
	s_waitcnt_depctr 0xfff
	v_fmac_f32_e32 v68, v82, v93
	s_delay_alu instid0(VALU_DEP_1) | instskip(NEXT) | instid1(VALU_DEP_1)
	v_fmac_f32_e32 v68, v89, v94
	v_add_f32_e32 v90, 0x358637bd, v68
	s_delay_alu instid0(VALU_DEP_1) | instskip(NEXT) | instid1(VALU_DEP_1)
	v_div_scale_f32 v91, null, v90, v90, 1.0
	v_rcp_f32_e32 v92, v91
	s_waitcnt_depctr 0xfff
	v_fma_f32 v93, -v91, v92, 1.0
	s_delay_alu instid0(VALU_DEP_1) | instskip(SKIP_1) | instid1(VALU_DEP_2)
	v_dual_fmac_f32 v92, v93, v92 :: v_dual_cndmask_b32 v93, v100, v99
	v_cmp_eq_u32_e32 vcc_lo, 3, v66
	v_cndmask_b32_e64 v93, v93, v101, s3
	v_cmp_eq_u32_e64 s3, 4, v66
	s_delay_alu instid0(VALU_DEP_2) | instskip(SKIP_1) | instid1(VALU_DEP_2)
	v_cndmask_b32_e32 v93, v93, v102, vcc_lo
	v_cmp_eq_u32_e32 vcc_lo, 5, v66
	v_cndmask_b32_e64 v93, v93, v97, s3
	v_cmp_eq_u32_e64 s3, 6, v66
	s_delay_alu instid0(VALU_DEP_2) | instskip(SKIP_1) | instid1(VALU_DEP_1)
	v_cndmask_b32_e32 v93, v93, v95, vcc_lo
	v_div_scale_f32 v94, s4, 1.0, v90, 1.0
	s_mov_b32 vcc_lo, s4
	s_delay_alu instid0(VALU_DEP_2) | instskip(NEXT) | instid1(VALU_DEP_2)
	v_cndmask_b32_e64 v82, v93, v82, s3
	v_mul_f32_e32 v96, v94, v92
	s_mov_b32 s3, exec_lo
	s_delay_alu instid0(VALU_DEP_2) | instskip(NEXT) | instid1(VALU_DEP_2)
	v_cndmask_b32_e64 v82, v82, v89, s5
	v_fma_f32 v98, -v91, v96, v94
	s_delay_alu instid0(VALU_DEP_1) | instskip(NEXT) | instid1(VALU_DEP_1)
	v_fmac_f32_e32 v96, v98, v92
	v_fma_f32 v91, -v91, v96, v94
	s_delay_alu instid0(VALU_DEP_1) | instskip(NEXT) | instid1(VALU_DEP_1)
	v_div_fmas_f32 v91, v91, v92, v96
	v_div_fixup_f32 v90, v91, v90, 1.0
	s_delay_alu instid0(VALU_DEP_1) | instskip(NEXT) | instid1(VALU_DEP_1)
	v_mul_f32_e32 v82, v82, v90
	v_mul_f32_e32 v87, v82, v87
	;; [unrolled: 1-line block ×7, first 2 shown]
	v_dual_mul_f32 v86, v82, v83 :: v_dual_and_b32 v91, 0x7f800000, v90
	v_mul_f32_e32 v85, v82, v76
                                        ; implicit-def: $vgpr76
	s_delay_alu instid0(VALU_DEP_2)
	v_cmpx_ne_u32_e32 0x7f800000, v91
	s_xor_b32 s3, exec_lo, s3
; %bb.13:
	v_bfe_u32 v76, v90, 16, 1
	s_delay_alu instid0(VALU_DEP_1)
	v_add3_u32 v76, v90, v76, 0x7fff
                                        ; implicit-def: $vgpr90
; %bb.14:
	s_and_not1_saveexec_b32 s3, s3
; %bb.15:
	v_and_b32_e32 v76, 0xffff, v90
	v_or_b32_e32 v83, 0x10000, v90
	s_delay_alu instid0(VALU_DEP_2) | instskip(NEXT) | instid1(VALU_DEP_2)
	v_cmp_eq_u32_e32 vcc_lo, 0, v76
	v_cndmask_b32_e32 v76, v83, v90, vcc_lo
; %bb.16:
	s_or_b32 exec_lo, exec_lo, s3
	v_and_b32_e32 v83, 0x7f800000, v85
	s_delay_alu instid0(VALU_DEP_1) | instskip(SKIP_1) | instid1(SALU_CYCLE_1)
	v_cmp_ne_u32_e32 vcc_lo, 0x7f800000, v83
                                        ; implicit-def: $vgpr83
	s_and_saveexec_b32 s3, vcc_lo
	s_xor_b32 s3, exec_lo, s3
; %bb.17:
	v_bfe_u32 v83, v85, 16, 1
	s_delay_alu instid0(VALU_DEP_1)
	v_add3_u32 v83, v85, v83, 0x7fff
                                        ; implicit-def: $vgpr85
; %bb.18:
	s_and_not1_saveexec_b32 s3, s3
; %bb.19:
	v_and_b32_e32 v83, 0xffff, v85
	v_or_b32_e32 v90, 0x10000, v85
	s_delay_alu instid0(VALU_DEP_2) | instskip(NEXT) | instid1(VALU_DEP_2)
	v_cmp_eq_u32_e32 vcc_lo, 0, v83
	v_cndmask_b32_e32 v83, v90, v85, vcc_lo
; %bb.20:
	s_or_b32 exec_lo, exec_lo, s3
	v_and_b32_e32 v85, 0x7f800000, v86
	s_delay_alu instid0(VALU_DEP_1) | instskip(SKIP_1) | instid1(SALU_CYCLE_1)
	v_cmp_ne_u32_e32 vcc_lo, 0x7f800000, v85
                                        ; implicit-def: $vgpr85
	s_and_saveexec_b32 s3, vcc_lo
	s_xor_b32 s3, exec_lo, s3
; %bb.21:
	v_bfe_u32 v85, v86, 16, 1
	s_delay_alu instid0(VALU_DEP_1)
	v_add3_u32 v85, v86, v85, 0x7fff
                                        ; implicit-def: $vgpr86
; %bb.22:
	s_and_not1_saveexec_b32 s3, s3
; %bb.23:
	v_and_b32_e32 v85, 0xffff, v86
	v_or_b32_e32 v90, 0x10000, v86
	s_delay_alu instid0(VALU_DEP_2) | instskip(NEXT) | instid1(VALU_DEP_2)
	v_cmp_eq_u32_e32 vcc_lo, 0, v85
	v_cndmask_b32_e32 v85, v90, v86, vcc_lo
; %bb.24:
	s_or_b32 exec_lo, exec_lo, s3
	v_and_b32_e32 v86, 0x7f800000, v89
	s_delay_alu instid0(VALU_DEP_1) | instskip(SKIP_1) | instid1(SALU_CYCLE_1)
	v_cmp_ne_u32_e32 vcc_lo, 0x7f800000, v86
                                        ; implicit-def: $vgpr86
	s_and_saveexec_b32 s3, vcc_lo
	s_xor_b32 s3, exec_lo, s3
; %bb.25:
	v_bfe_u32 v86, v89, 16, 1
	s_delay_alu instid0(VALU_DEP_1)
	v_add3_u32 v86, v89, v86, 0x7fff
                                        ; implicit-def: $vgpr89
; %bb.26:
	s_and_not1_saveexec_b32 s3, s3
; %bb.27:
	v_and_b32_e32 v86, 0xffff, v89
	v_or_b32_e32 v90, 0x10000, v89
	s_delay_alu instid0(VALU_DEP_2) | instskip(NEXT) | instid1(VALU_DEP_2)
	v_cmp_eq_u32_e32 vcc_lo, 0, v86
	v_cndmask_b32_e32 v86, v90, v89, vcc_lo
; %bb.28:
	s_or_b32 exec_lo, exec_lo, s3
	v_and_b32_e32 v89, 0x7f800000, v88
	s_delay_alu instid0(VALU_DEP_1) | instskip(SKIP_1) | instid1(SALU_CYCLE_1)
	v_cmp_ne_u32_e32 vcc_lo, 0x7f800000, v89
                                        ; implicit-def: $vgpr89
	s_and_saveexec_b32 s3, vcc_lo
	s_xor_b32 s3, exec_lo, s3
; %bb.29:
	v_bfe_u32 v89, v88, 16, 1
	s_delay_alu instid0(VALU_DEP_1)
	v_add3_u32 v89, v88, v89, 0x7fff
                                        ; implicit-def: $vgpr88
; %bb.30:
	s_and_not1_saveexec_b32 s3, s3
; %bb.31:
	v_and_b32_e32 v89, 0xffff, v88
	v_or_b32_e32 v90, 0x10000, v88
	s_delay_alu instid0(VALU_DEP_2) | instskip(NEXT) | instid1(VALU_DEP_2)
	v_cmp_eq_u32_e32 vcc_lo, 0, v89
	v_cndmask_b32_e32 v89, v90, v88, vcc_lo
; %bb.32:
	s_or_b32 exec_lo, exec_lo, s3
	v_and_b32_e32 v88, 0x7f800000, v87
	s_delay_alu instid0(VALU_DEP_1) | instskip(SKIP_1) | instid1(SALU_CYCLE_1)
	v_cmp_ne_u32_e32 vcc_lo, 0x7f800000, v88
                                        ; implicit-def: $vgpr88
	s_and_saveexec_b32 s3, vcc_lo
	s_xor_b32 s3, exec_lo, s3
; %bb.33:
	v_bfe_u32 v88, v87, 16, 1
	s_delay_alu instid0(VALU_DEP_1)
	v_add3_u32 v88, v87, v88, 0x7fff
                                        ; implicit-def: $vgpr87
; %bb.34:
	s_and_not1_saveexec_b32 s3, s3
; %bb.35:
	v_and_b32_e32 v88, 0xffff, v87
	v_or_b32_e32 v90, 0x10000, v87
	s_delay_alu instid0(VALU_DEP_2) | instskip(NEXT) | instid1(VALU_DEP_2)
	v_cmp_eq_u32_e32 vcc_lo, 0, v88
	v_cndmask_b32_e32 v88, v90, v87, vcc_lo
; %bb.36:
	s_or_b32 exec_lo, exec_lo, s3
	v_and_b32_e32 v87, 0x7f800000, v84
	s_delay_alu instid0(VALU_DEP_1) | instskip(SKIP_1) | instid1(SALU_CYCLE_1)
	v_cmp_ne_u32_e32 vcc_lo, 0x7f800000, v87
                                        ; implicit-def: $vgpr87
	s_and_saveexec_b32 s3, vcc_lo
	s_xor_b32 s3, exec_lo, s3
; %bb.37:
	v_bfe_u32 v87, v84, 16, 1
	s_delay_alu instid0(VALU_DEP_1)
	v_add3_u32 v87, v84, v87, 0x7fff
                                        ; implicit-def: $vgpr84
; %bb.38:
	s_and_not1_saveexec_b32 s3, s3
; %bb.39:
	v_and_b32_e32 v87, 0xffff, v84
	v_or_b32_e32 v90, 0x10000, v84
	s_delay_alu instid0(VALU_DEP_2) | instskip(NEXT) | instid1(VALU_DEP_2)
	v_cmp_eq_u32_e32 vcc_lo, 0, v87
	v_cndmask_b32_e32 v87, v90, v84, vcc_lo
; %bb.40:
	s_or_b32 exec_lo, exec_lo, s3
	v_and_b32_e32 v84, 0x7f800000, v80
	s_delay_alu instid0(VALU_DEP_1) | instskip(SKIP_1) | instid1(SALU_CYCLE_1)
	v_cmp_ne_u32_e32 vcc_lo, 0x7f800000, v84
                                        ; implicit-def: $vgpr84
	s_and_saveexec_b32 s3, vcc_lo
	s_xor_b32 s3, exec_lo, s3
; %bb.41:
	v_bfe_u32 v84, v80, 16, 1
	s_delay_alu instid0(VALU_DEP_1)
	v_add3_u32 v84, v80, v84, 0x7fff
                                        ; implicit-def: $vgpr80
; %bb.42:
	s_and_not1_saveexec_b32 s3, s3
; %bb.43:
	v_and_b32_e32 v84, 0xffff, v80
	v_or_b32_e32 v90, 0x10000, v80
	s_delay_alu instid0(VALU_DEP_2) | instskip(NEXT) | instid1(VALU_DEP_2)
	v_cmp_eq_u32_e32 vcc_lo, 0, v84
	v_cndmask_b32_e32 v84, v90, v80, vcc_lo
; %bb.44:
	s_or_b32 exec_lo, exec_lo, s3
	s_load_b64 s[34:35], s[0:1], 0x94
	v_lshlrev_b32_e32 v91, 4, v74
	s_delay_alu instid0(VALU_DEP_2)
	v_perm_b32 v90, v84, v87, 0x7060302
	v_dual_mul_f32 v79, v82, v79 :: v_dual_lshlrev_b32 v80, 6, v65
	v_dual_mul_f32 v77, v82, v77 :: v_dual_lshlrev_b32 v92, 11, v66
	v_mul_f32_e32 v84, v82, v70
	v_perm_b32 v89, v88, v89, 0x7060302
	v_perm_b32 v88, v86, v85, 0x7060302
	;; [unrolled: 1-line block ×3, first 2 shown]
	v_mul_f32_e32 v70, v82, v81
	v_or3_b32 v76, v91, v92, v80
	v_dual_mul_f32 v78, v82, v78 :: v_dual_and_b32 v85, 0x7f800000, v84
	v_mul_f32_e32 v83, v82, v72
	v_mul_f32_e32 v81, v82, v71
	;; [unrolled: 1-line block ×3, first 2 shown]
	s_mov_b32 s3, exec_lo
	ds_store_b128 v76, v[87:90]
                                        ; implicit-def: $vgpr69
	v_cmpx_ne_u32_e32 0x7f800000, v85
	s_xor_b32 s3, exec_lo, s3
; %bb.45:
	v_bfe_u32 v69, v84, 16, 1
	s_delay_alu instid0(VALU_DEP_1)
	v_add3_u32 v69, v84, v69, 0x7fff
                                        ; implicit-def: $vgpr84
; %bb.46:
	s_and_not1_saveexec_b32 s3, s3
; %bb.47:
	v_and_b32_e32 v69, 0xffff, v84
	v_or_b32_e32 v71, 0x10000, v84
	s_delay_alu instid0(VALU_DEP_2) | instskip(NEXT) | instid1(VALU_DEP_2)
	v_cmp_eq_u32_e32 vcc_lo, 0, v69
	v_cndmask_b32_e32 v69, v71, v84, vcc_lo
; %bb.48:
	s_or_b32 exec_lo, exec_lo, s3
	v_and_b32_e32 v71, 0x7f800000, v72
	s_delay_alu instid0(VALU_DEP_1) | instskip(SKIP_1) | instid1(SALU_CYCLE_1)
	v_cmp_ne_u32_e32 vcc_lo, 0x7f800000, v71
                                        ; implicit-def: $vgpr71
	s_and_saveexec_b32 s3, vcc_lo
	s_xor_b32 s3, exec_lo, s3
; %bb.49:
	v_bfe_u32 v71, v72, 16, 1
	s_delay_alu instid0(VALU_DEP_1)
	v_add3_u32 v71, v72, v71, 0x7fff
                                        ; implicit-def: $vgpr72
; %bb.50:
	s_and_not1_saveexec_b32 s3, s3
; %bb.51:
	v_and_b32_e32 v71, 0xffff, v72
	v_or_b32_e32 v82, 0x10000, v72
	s_delay_alu instid0(VALU_DEP_2) | instskip(NEXT) | instid1(VALU_DEP_2)
	v_cmp_eq_u32_e32 vcc_lo, 0, v71
	v_cndmask_b32_e32 v71, v82, v72, vcc_lo
; %bb.52:
	s_or_b32 exec_lo, exec_lo, s3
	v_and_b32_e32 v72, 0x7f800000, v81
	s_delay_alu instid0(VALU_DEP_1) | instskip(SKIP_1) | instid1(SALU_CYCLE_1)
	v_cmp_ne_u32_e32 vcc_lo, 0x7f800000, v72
                                        ; implicit-def: $vgpr72
	s_and_saveexec_b32 s3, vcc_lo
	s_xor_b32 s3, exec_lo, s3
; %bb.53:
	v_bfe_u32 v72, v81, 16, 1
	s_delay_alu instid0(VALU_DEP_1)
	v_add3_u32 v72, v81, v72, 0x7fff
                                        ; implicit-def: $vgpr81
; %bb.54:
	s_and_not1_saveexec_b32 s3, s3
; %bb.55:
	v_and_b32_e32 v72, 0xffff, v81
	v_or_b32_e32 v82, 0x10000, v81
	s_delay_alu instid0(VALU_DEP_2) | instskip(NEXT) | instid1(VALU_DEP_2)
	v_cmp_eq_u32_e32 vcc_lo, 0, v72
	v_cndmask_b32_e32 v72, v82, v81, vcc_lo
; %bb.56:
	s_or_b32 exec_lo, exec_lo, s3
	v_and_b32_e32 v81, 0x7f800000, v83
	s_delay_alu instid0(VALU_DEP_1) | instskip(SKIP_1) | instid1(SALU_CYCLE_1)
	v_cmp_ne_u32_e32 vcc_lo, 0x7f800000, v81
                                        ; implicit-def: $vgpr81
	s_and_saveexec_b32 s3, vcc_lo
	s_xor_b32 s3, exec_lo, s3
; %bb.57:
	v_bfe_u32 v81, v83, 16, 1
	s_delay_alu instid0(VALU_DEP_1)
	v_add3_u32 v81, v83, v81, 0x7fff
                                        ; implicit-def: $vgpr83
; %bb.58:
	s_and_not1_saveexec_b32 s3, s3
; %bb.59:
	v_and_b32_e32 v81, 0xffff, v83
	v_or_b32_e32 v82, 0x10000, v83
	s_delay_alu instid0(VALU_DEP_2) | instskip(NEXT) | instid1(VALU_DEP_2)
	v_cmp_eq_u32_e32 vcc_lo, 0, v81
	v_cndmask_b32_e32 v81, v82, v83, vcc_lo
; %bb.60:
	s_or_b32 exec_lo, exec_lo, s3
	v_and_b32_e32 v82, 0x7f800000, v77
	s_delay_alu instid0(VALU_DEP_1) | instskip(SKIP_1) | instid1(SALU_CYCLE_1)
	v_cmp_ne_u32_e32 vcc_lo, 0x7f800000, v82
                                        ; implicit-def: $vgpr82
	s_and_saveexec_b32 s3, vcc_lo
	s_xor_b32 s3, exec_lo, s3
; %bb.61:
	v_bfe_u32 v82, v77, 16, 1
	s_delay_alu instid0(VALU_DEP_1)
	v_add3_u32 v82, v77, v82, 0x7fff
                                        ; implicit-def: $vgpr77
; %bb.62:
	s_and_not1_saveexec_b32 s3, s3
; %bb.63:
	v_and_b32_e32 v82, 0xffff, v77
	v_or_b32_e32 v83, 0x10000, v77
	s_delay_alu instid0(VALU_DEP_2) | instskip(NEXT) | instid1(VALU_DEP_2)
	v_cmp_eq_u32_e32 vcc_lo, 0, v82
	v_cndmask_b32_e32 v82, v83, v77, vcc_lo
; %bb.64:
	s_or_b32 exec_lo, exec_lo, s3
	v_and_b32_e32 v77, 0x7f800000, v78
	s_delay_alu instid0(VALU_DEP_1) | instskip(SKIP_1) | instid1(SALU_CYCLE_1)
	v_cmp_ne_u32_e32 vcc_lo, 0x7f800000, v77
                                        ; implicit-def: $vgpr77
	s_and_saveexec_b32 s3, vcc_lo
	s_xor_b32 s3, exec_lo, s3
; %bb.65:
	v_bfe_u32 v77, v78, 16, 1
	s_delay_alu instid0(VALU_DEP_1)
	v_add3_u32 v77, v78, v77, 0x7fff
                                        ; implicit-def: $vgpr78
; %bb.66:
	s_and_not1_saveexec_b32 s3, s3
; %bb.67:
	v_and_b32_e32 v77, 0xffff, v78
	v_or_b32_e32 v83, 0x10000, v78
	s_delay_alu instid0(VALU_DEP_2) | instskip(NEXT) | instid1(VALU_DEP_2)
	v_cmp_eq_u32_e32 vcc_lo, 0, v77
	v_cndmask_b32_e32 v77, v83, v78, vcc_lo
; %bb.68:
	s_or_b32 exec_lo, exec_lo, s3
	v_and_b32_e32 v78, 0x7f800000, v79
	s_delay_alu instid0(VALU_DEP_1) | instskip(SKIP_1) | instid1(SALU_CYCLE_1)
	v_cmp_ne_u32_e32 vcc_lo, 0x7f800000, v78
                                        ; implicit-def: $vgpr78
	s_and_saveexec_b32 s3, vcc_lo
	s_xor_b32 s3, exec_lo, s3
; %bb.69:
	v_bfe_u32 v78, v79, 16, 1
	s_delay_alu instid0(VALU_DEP_1)
	v_add3_u32 v78, v79, v78, 0x7fff
                                        ; implicit-def: $vgpr79
; %bb.70:
	s_and_not1_saveexec_b32 s3, s3
; %bb.71:
	v_and_b32_e32 v78, 0xffff, v79
	v_or_b32_e32 v83, 0x10000, v79
	s_delay_alu instid0(VALU_DEP_2) | instskip(NEXT) | instid1(VALU_DEP_2)
	v_cmp_eq_u32_e32 vcc_lo, 0, v78
	v_cndmask_b32_e32 v78, v83, v79, vcc_lo
; %bb.72:
	s_or_b32 exec_lo, exec_lo, s3
	v_and_b32_e32 v79, 0x7f800000, v70
	s_delay_alu instid0(VALU_DEP_1) | instskip(SKIP_1) | instid1(SALU_CYCLE_1)
	v_cmp_ne_u32_e32 vcc_lo, 0x7f800000, v79
                                        ; implicit-def: $vgpr79
	s_and_saveexec_b32 s3, vcc_lo
	s_xor_b32 s3, exec_lo, s3
; %bb.73:
	v_bfe_u32 v79, v70, 16, 1
	s_delay_alu instid0(VALU_DEP_1)
	v_add3_u32 v79, v70, v79, 0x7fff
                                        ; implicit-def: $vgpr70
; %bb.74:
	s_and_not1_saveexec_b32 s3, s3
; %bb.75:
	v_and_b32_e32 v79, 0xffff, v70
	v_or_b32_e32 v83, 0x10000, v70
	s_delay_alu instid0(VALU_DEP_2) | instskip(NEXT) | instid1(VALU_DEP_2)
	v_cmp_eq_u32_e32 vcc_lo, 0, v79
	v_cndmask_b32_e32 v79, v83, v70, vcc_lo
; %bb.76:
	s_or_b32 exec_lo, exec_lo, s3
	s_delay_alu instid0(VALU_DEP_1)
	v_perm_b32 v86, v79, v78, 0x7060302
	v_perm_b32 v85, v77, v82, 0x7060302
	;; [unrolled: 1-line block ×4, first 2 shown]
	v_lshl_or_b32 v82, v66, 11, v80
	ds_store_b128 v76, v[83:86] offset:1024
	s_waitcnt lgkmcnt(0)
	s_barrier
	buffer_gl0_inv
	ds_load_b128 v[69:72], v82
	ds_load_b128 v[83:86], v82 offset:16
	s_waitcnt lgkmcnt(1)
	v_lshrrev_b32_e32 v66, 16, v69
	s_waitcnt lgkmcnt(0)
	v_lshrrev_b32_e32 v91, 16, v83
	v_lshlrev_b32_e32 v78, 2, v74
	v_lshrrev_b32_e32 v95, 16, v70
	v_lshrrev_b32_e32 v98, 16, v84
	;; [unrolled: 1-line block ×4, first 2 shown]
	v_cmp_eq_u32_e32 vcc_lo, 1, v78
	v_lshrrev_b32_e32 v97, 16, v72
	v_lshrrev_b32_e32 v100, 16, v86
	v_cndmask_b32_e32 v87, v83, v91, vcc_lo
	v_or_b32_e32 v79, 1, v78
	v_cndmask_b32_e32 v81, v69, v66, vcc_lo
	v_cmp_eq_u32_e64 s4, 2, v78
	v_cmp_eq_u32_e64 s7, 3, v78
	;; [unrolled: 1-line block ×5, first 2 shown]
	v_cndmask_b32_e64 v81, v81, v70, s4
	v_cndmask_b32_e64 v87, v87, v84, s4
	v_cmp_eq_u32_e64 s8, 3, v79
	v_cndmask_b32_e64 v88, v69, v66, s3
	v_or_b32_e32 v77, 2, v78
	v_cndmask_b32_e64 v81, v81, v95, s7
	v_cndmask_b32_e64 v87, v87, v98, s7
	;; [unrolled: 1-line block ×4, first 2 shown]
	v_cmp_eq_u32_e64 s10, 5, v78
	v_cndmask_b32_e64 v81, v81, v71, s9
	v_cndmask_b32_e64 v87, v87, v85, s9
	v_cmp_eq_u32_e64 s11, 4, v79
	v_cndmask_b32_e64 v88, v88, v95, s8
	v_cmp_eq_u32_e64 s5, 1, v77
	v_cndmask_b32_e64 v89, v89, v84, s6
	v_cndmask_b32_e64 v81, v81, v96, s10
	v_cmp_eq_u32_e64 s12, 6, v78
	v_cndmask_b32_e64 v88, v88, v71, s11
	v_cndmask_b32_e64 v87, v87, v99, s10
	v_cmp_eq_u32_e64 s13, 5, v79
	v_cndmask_b32_e64 v90, v69, v66, s5
	v_cndmask_b32_e64 v89, v89, v98, s8
	v_cndmask_b32_e64 v81, v81, v72, s12
	v_cmp_eq_u32_e64 s15, 7, v78
	v_cndmask_b32_e64 v88, v88, v96, s13
	v_cndmask_b32_e64 v87, v87, v86, s12
	v_cmp_eq_u32_e64 s16, 6, v79
	v_cmp_eq_u32_e64 s17, 2, v77
	v_cndmask_b32_e64 v89, v89, v85, s11
	v_cndmask_b32_e64 v101, v81, v97, s15
	;; [unrolled: 1-line block ×6, first 2 shown]
	v_cmp_eq_u32_e64 s18, 7, v79
	v_cmp_eq_u32_e64 s19, 3, v77
	;; [unrolled: 1-line block ×4, first 2 shown]
	v_cndmask_b32_e64 v87, v87, v84, s17
	v_cndmask_b32_e64 v103, v88, v97, s18
	;; [unrolled: 1-line block ×4, first 2 shown]
	v_or_b32_e32 v81, 3, v78
	v_cndmask_b32_e64 v93, v87, v98, s19
	v_cmp_eq_u32_e64 s24, 6, v77
	v_cndmask_b32_e64 v104, v88, v86, s16
	v_cndmask_b32_e64 v92, v89, v71, s20
	v_cmp_eq_u32_e64 s21, 1, v81
	ds_load_b128 v[87:90], v82 offset:1024
	v_cmp_eq_u32_e64 s23, 2, v81
	v_cmp_eq_u32_e64 s25, 3, v81
	v_cndmask_b32_e64 v105, v92, v96, s22
	v_cndmask_b32_e64 v66, v69, v66, s21
	;; [unrolled: 1-line block ×4, first 2 shown]
	ds_load_b128 v[91:94], v82 offset:1040
	v_cmp_eq_u32_e64 s26, 4, v81
	v_cndmask_b32_e64 v66, v66, v70, s23
	v_cmp_eq_u32_e64 s27, 7, v77
	v_cndmask_b32_e64 v70, v83, v84, s23
	v_cndmask_b32_e64 v84, v105, v72, s24
	v_cmp_eq_u32_e64 s28, 5, v81
	v_cndmask_b32_e64 v66, v66, v95, s25
	v_cmp_eq_u32_e64 s29, 6, v81
	v_cndmask_b32_e64 v70, v70, v98, s25
	v_cndmask_b32_e64 v69, v69, v99, s22
	;; [unrolled: 1-line block ×4, first 2 shown]
	s_waitcnt lgkmcnt(1)
	v_lshrrev_b32_e32 v95, 16, v87
	v_cndmask_b32_e64 v70, v70, v85, s26
	v_cndmask_b32_e64 v71, v84, v97, s27
	;; [unrolled: 1-line block ×4, first 2 shown]
	v_cndmask_b32_e32 v84, v87, v95, vcc_lo
	v_cndmask_b32_e64 v70, v70, v99, s28
	s_waitcnt lgkmcnt(0)
	v_lshrrev_b32_e32 v85, 16, v91
	v_lshrrev_b32_e32 v96, 16, v88
	v_cndmask_b32_e64 v98, v87, v95, s3
	v_cndmask_b32_e64 v84, v84, v88, s4
	;; [unrolled: 1-line block ×3, first 2 shown]
	v_cndmask_b32_e32 v99, v91, v85, vcc_lo
	v_cmp_eq_u32_e32 vcc_lo, 7, v81
	v_cndmask_b32_e64 v66, v66, v72, s29
	v_cndmask_b32_e64 v72, v84, v96, s7
	;; [unrolled: 1-line block ×3, first 2 shown]
	v_lshrrev_b32_e32 v98, 16, v92
	v_cndmask_b32_e32 v70, v70, v100, vcc_lo
	v_cndmask_b32_e64 v86, v99, v92, s4
	v_cndmask_b32_e64 v69, v69, v100, s27
	v_lshrrev_b32_e32 v100, 16, v93
	v_cndmask_b32_e64 v72, v72, v89, s9
	v_lshrrev_b32_e32 v99, 16, v89
	v_cndmask_b32_e64 v86, v86, v98, s7
	v_perm_b32 v71, v69, v71, 0x5040100
	v_cndmask_b32_e64 v84, v84, v96, s8
	s_delay_alu instid0(VALU_DEP_3) | instskip(NEXT) | instid1(VALU_DEP_2)
	v_cndmask_b32_e64 v86, v86, v93, s9
	v_cndmask_b32_e64 v84, v84, v89, s11
	s_delay_alu instid0(VALU_DEP_2) | instskip(NEXT) | instid1(VALU_DEP_1)
	v_cndmask_b32_e64 v86, v86, v100, s10
	v_cndmask_b32_e64 v69, v86, v94, s12
	;; [unrolled: 1-line block ×5, first 2 shown]
	s_delay_alu instid0(VALU_DEP_3) | instskip(NEXT) | instid1(VALU_DEP_3)
	v_cndmask_b32_e64 v86, v86, v88, s17
	v_cndmask_b32_e64 v87, v87, v88, s23
	s_delay_alu instid0(VALU_DEP_3) | instskip(NEXT) | instid1(VALU_DEP_3)
	v_cndmask_b32_e64 v88, v95, v92, s23
	v_cndmask_b32_e64 v86, v86, v96, s19
	;; [unrolled: 3-line block ×7, first 2 shown]
	s_delay_alu instid0(VALU_DEP_3) | instskip(SKIP_2) | instid1(VALU_DEP_2)
	v_cndmask_b32_e64 v88, v88, v94, s29
	v_cndmask_b32_e32 v66, v66, v97, vcc_lo
	v_cndmask_b32_e64 v97, v72, v99, s10
	v_perm_b32 v72, v70, v66, 0x5040100
	v_perm_b32 v70, v83, v103, 0x5040100
	v_cndmask_b32_e64 v103, v91, v85, s5
	v_cndmask_b32_e64 v85, v91, v85, s3
	;; [unrolled: 1-line block ×4, first 2 shown]
	v_lshrrev_b32_e32 v97, 16, v90
	v_cndmask_b32_e64 v91, v103, v92, s17
	v_cndmask_b32_e64 v85, v85, v92, s6
	;; [unrolled: 1-line block ×3, first 2 shown]
	s_mov_b32 s3, exec_lo
	v_cndmask_b32_e64 v83, v84, v97, s15
	v_cndmask_b32_e64 v91, v91, v98, s19
	;; [unrolled: 1-line block ×3, first 2 shown]
	v_lshrrev_b32_e32 v84, 16, v94
	v_cndmask_b32_e64 v66, v66, v97, s18
	v_cndmask_b32_e64 v90, v86, v97, s27
	;; [unrolled: 1-line block ×4, first 2 shown]
	v_dual_cndmask_b32 v86, v87, v97 :: v_dual_cndmask_b32 v87, v88, v84
	v_cndmask_b32_e64 v91, v69, v84, s15
	s_delay_alu instid0(VALU_DEP_4) | instskip(NEXT) | instid1(VALU_DEP_4)
	v_cndmask_b32_e64 v89, v89, v100, s22
	v_cndmask_b32_e64 v85, v85, v100, s13
	v_perm_b32 v69, v102, v101, 0x5040100
	v_perm_b32 v86, v87, v86, 0x5040100
	;; [unrolled: 1-line block ×3, first 2 shown]
	v_cndmask_b32_e64 v89, v89, v94, s24
	v_cndmask_b32_e64 v85, v85, v94, s16
	s_mul_i32 s8, s35, 5
	s_delay_alu instid0(VALU_DEP_2) | instskip(NEXT) | instid1(VALU_DEP_2)
	v_cndmask_b32_e64 v88, v89, v84, s27
	v_cndmask_b32_e64 v89, v85, v84, s18
	s_delay_alu instid0(VALU_DEP_2) | instskip(NEXT) | instid1(VALU_DEP_2)
	v_perm_b32 v85, v88, v90, 0x5040100
	v_perm_b32 v84, v89, v66, 0x5040100
	ds_store_b128 v76, v[69:72]
	ds_store_b128 v76, v[83:86] offset:1024
	v_cmpx_gt_u32_e32 5, v0
	s_cbranch_execz .LBB1650_78
; %bb.77:
	s_mul_i32 s4, s8, s30
	s_delay_alu instid0(SALU_CYCLE_1) | instskip(SKIP_1) | instid1(VALU_DEP_1)
	v_add3_u32 v69, s4, s31, v65
	s_load_b128 s[4:7], s[0:1], 0x58
	v_mad_u64_u32 v[65:66], null, v69, s34, s[14:15]
	s_delay_alu instid0(VALU_DEP_1) | instskip(NEXT) | instid1(VALU_DEP_1)
	v_ashrrev_i32_e32 v66, 31, v65
	v_lshlrev_b64 v[65:66], 2, v[65:66]
	s_waitcnt lgkmcnt(0)
	s_delay_alu instid0(VALU_DEP_1) | instskip(NEXT) | instid1(VALU_DEP_2)
	v_add_co_u32 v69, vcc_lo, s6, v65
	v_add_co_ci_u32_e32 v70, vcc_lo, s7, v66, vcc_lo
	v_add_co_u32 v65, vcc_lo, s4, v65
	v_add_co_ci_u32_e32 v66, vcc_lo, s5, v66, vcc_lo
	global_store_b32 v[69:70], v67, off
	global_store_b32 v[65:66], v68, off
.LBB1650_78:
	s_or_b32 exec_lo, exec_lo, s3
	s_waitcnt lgkmcnt(0)
	s_waitcnt_vscnt null, 0x0
	s_barrier
	buffer_gl0_inv
	ds_load_b128 v[83:86], v80
	ds_load_b128 v[87:90], v80 offset:16
	ds_load_b128 v[95:98], v80 offset:2064
	;; [unrolled: 1-line block ×3, first 2 shown]
	v_mov_b32_e32 v65, 0
	ds_load_b128 v[103:106], v80 offset:4112
	ds_load_b128 v[99:102], v80 offset:4096
	;; [unrolled: 1-line block ×4, first 2 shown]
	v_mov_b32_e32 v66, v65
	v_mov_b32_e32 v67, v65
	;; [unrolled: 1-line block ×7, first 2 shown]
	s_waitcnt lgkmcnt(6)
	s_delay_alu instid0(VALU_DEP_1)
	v_wmma_f32_16x16x16_bf16 v[65:72], v[41:48], v[83:90], v[65:72]
	ds_load_b128 v[45:48], v80 offset:8208
	ds_load_b128 v[41:44], v80 offset:8192
	s_waitcnt lgkmcnt(6)
	v_wmma_f32_16x16x16_bf16 v[65:72], v[33:40], v[91:98], v[65:72]
	ds_load_b128 v[37:40], v80 offset:10256
	ds_load_b128 v[33:36], v80 offset:10240
	s_waitcnt lgkmcnt(6)
	;; [unrolled: 4-line block ×4, first 2 shown]
	v_wmma_f32_16x16x16_bf16 v[65:72], v[1:8], v[41:48], v[65:72]
	s_waitcnt lgkmcnt(4)
	s_delay_alu instid0(VALU_DEP_1) | instskip(SKIP_1) | instid1(VALU_DEP_1)
	v_wmma_f32_16x16x16_bf16 v[65:72], v[9:16], v[33:40], v[65:72]
	s_waitcnt lgkmcnt(2)
	v_wmma_f32_16x16x16_bf16 v[65:72], v[57:64], v[25:32], v[65:72]
	s_waitcnt lgkmcnt(0)
	s_delay_alu instid0(VALU_DEP_1) | instskip(NEXT) | instid1(VALU_DEP_1)
	v_wmma_f32_16x16x16_bf16 v[65:72], v[49:56], v[17:24], v[65:72]
	v_and_b32_e32 v1, 0x7f800000, v65
	s_delay_alu instid0(VALU_DEP_1) | instskip(SKIP_1) | instid1(SALU_CYCLE_1)
	v_cmp_ne_u32_e32 vcc_lo, 0x7f800000, v1
                                        ; implicit-def: $vgpr1
	s_and_saveexec_b32 s3, vcc_lo
	s_xor_b32 s3, exec_lo, s3
; %bb.79:
	v_bfe_u32 v1, v65, 16, 1
	s_delay_alu instid0(VALU_DEP_1)
	v_add3_u32 v1, v65, v1, 0x7fff
; %bb.80:
	s_and_not1_saveexec_b32 s3, s3
; %bb.81:
	v_and_b32_e32 v1, 0xffff, v65
	v_or_b32_e32 v2, 0x10000, v65
	s_delay_alu instid0(VALU_DEP_2) | instskip(NEXT) | instid1(VALU_DEP_2)
	v_cmp_eq_u32_e32 vcc_lo, 0, v1
	v_cndmask_b32_e32 v1, v2, v65, vcc_lo
; %bb.82:
	s_or_b32 exec_lo, exec_lo, s3
	v_and_b32_e32 v2, 0x7f800000, v66
	s_delay_alu instid0(VALU_DEP_1) | instskip(SKIP_1) | instid1(SALU_CYCLE_1)
	v_cmp_ne_u32_e32 vcc_lo, 0x7f800000, v2
                                        ; implicit-def: $vgpr2
	s_and_saveexec_b32 s3, vcc_lo
	s_xor_b32 s3, exec_lo, s3
; %bb.83:
	v_bfe_u32 v2, v66, 16, 1
	s_delay_alu instid0(VALU_DEP_1)
	v_add3_u32 v2, v66, v2, 0x7fff
; %bb.84:
	s_and_not1_saveexec_b32 s3, s3
; %bb.85:
	v_and_b32_e32 v2, 0xffff, v66
	v_or_b32_e32 v3, 0x10000, v66
	s_delay_alu instid0(VALU_DEP_2) | instskip(NEXT) | instid1(VALU_DEP_2)
	v_cmp_eq_u32_e32 vcc_lo, 0, v2
	v_cndmask_b32_e32 v2, v3, v66, vcc_lo
; %bb.86:
	s_or_b32 exec_lo, exec_lo, s3
	v_and_b32_e32 v3, 0x7f800000, v67
	s_delay_alu instid0(VALU_DEP_1) | instskip(SKIP_1) | instid1(SALU_CYCLE_1)
	v_cmp_ne_u32_e32 vcc_lo, 0x7f800000, v3
                                        ; implicit-def: $vgpr3
	s_and_saveexec_b32 s3, vcc_lo
	s_xor_b32 s3, exec_lo, s3
; %bb.87:
	v_bfe_u32 v3, v67, 16, 1
	s_delay_alu instid0(VALU_DEP_1)
	v_add3_u32 v3, v67, v3, 0x7fff
; %bb.88:
	s_and_not1_saveexec_b32 s3, s3
; %bb.89:
	v_and_b32_e32 v3, 0xffff, v67
	v_or_b32_e32 v4, 0x10000, v67
	s_delay_alu instid0(VALU_DEP_2) | instskip(NEXT) | instid1(VALU_DEP_2)
	v_cmp_eq_u32_e32 vcc_lo, 0, v3
	v_cndmask_b32_e32 v3, v4, v67, vcc_lo
; %bb.90:
	s_or_b32 exec_lo, exec_lo, s3
	v_and_b32_e32 v4, 0x7f800000, v68
	s_delay_alu instid0(VALU_DEP_1) | instskip(SKIP_1) | instid1(SALU_CYCLE_1)
	v_cmp_ne_u32_e32 vcc_lo, 0x7f800000, v4
                                        ; implicit-def: $vgpr4
	s_and_saveexec_b32 s3, vcc_lo
	s_xor_b32 s3, exec_lo, s3
; %bb.91:
	v_bfe_u32 v4, v68, 16, 1
	s_delay_alu instid0(VALU_DEP_1)
	v_add3_u32 v4, v68, v4, 0x7fff
; %bb.92:
	s_and_not1_saveexec_b32 s3, s3
; %bb.93:
	v_and_b32_e32 v4, 0xffff, v68
	v_or_b32_e32 v5, 0x10000, v68
	s_delay_alu instid0(VALU_DEP_2) | instskip(NEXT) | instid1(VALU_DEP_2)
	v_cmp_eq_u32_e32 vcc_lo, 0, v4
	v_cndmask_b32_e32 v4, v5, v68, vcc_lo
; %bb.94:
	s_or_b32 exec_lo, exec_lo, s3
	v_and_b32_e32 v5, 0x7f800000, v69
	s_delay_alu instid0(VALU_DEP_1) | instskip(SKIP_1) | instid1(SALU_CYCLE_1)
	v_cmp_ne_u32_e32 vcc_lo, 0x7f800000, v5
                                        ; implicit-def: $vgpr5
	s_and_saveexec_b32 s3, vcc_lo
	s_xor_b32 s3, exec_lo, s3
; %bb.95:
	v_bfe_u32 v5, v69, 16, 1
	s_delay_alu instid0(VALU_DEP_1)
	v_add3_u32 v5, v69, v5, 0x7fff
; %bb.96:
	s_and_not1_saveexec_b32 s3, s3
; %bb.97:
	v_and_b32_e32 v5, 0xffff, v69
	v_or_b32_e32 v6, 0x10000, v69
	s_delay_alu instid0(VALU_DEP_2) | instskip(NEXT) | instid1(VALU_DEP_2)
	v_cmp_eq_u32_e32 vcc_lo, 0, v5
	v_cndmask_b32_e32 v5, v6, v69, vcc_lo
; %bb.98:
	s_or_b32 exec_lo, exec_lo, s3
	v_and_b32_e32 v6, 0x7f800000, v70
	s_delay_alu instid0(VALU_DEP_1) | instskip(SKIP_1) | instid1(SALU_CYCLE_1)
	v_cmp_ne_u32_e32 vcc_lo, 0x7f800000, v6
                                        ; implicit-def: $vgpr6
	s_and_saveexec_b32 s3, vcc_lo
	s_xor_b32 s3, exec_lo, s3
; %bb.99:
	v_bfe_u32 v6, v70, 16, 1
	s_delay_alu instid0(VALU_DEP_1)
	v_add3_u32 v6, v70, v6, 0x7fff
; %bb.100:
	s_and_not1_saveexec_b32 s3, s3
; %bb.101:
	v_and_b32_e32 v6, 0xffff, v70
	v_or_b32_e32 v7, 0x10000, v70
	s_delay_alu instid0(VALU_DEP_2) | instskip(NEXT) | instid1(VALU_DEP_2)
	v_cmp_eq_u32_e32 vcc_lo, 0, v6
	v_cndmask_b32_e32 v6, v7, v70, vcc_lo
; %bb.102:
	s_or_b32 exec_lo, exec_lo, s3
	v_and_b32_e32 v7, 0x7f800000, v71
	s_delay_alu instid0(VALU_DEP_1) | instskip(SKIP_1) | instid1(SALU_CYCLE_1)
	v_cmp_ne_u32_e32 vcc_lo, 0x7f800000, v7
                                        ; implicit-def: $vgpr7
	s_and_saveexec_b32 s3, vcc_lo
	s_xor_b32 s3, exec_lo, s3
; %bb.103:
	v_bfe_u32 v7, v71, 16, 1
	s_delay_alu instid0(VALU_DEP_1)
	v_add3_u32 v7, v71, v7, 0x7fff
; %bb.104:
	s_and_not1_saveexec_b32 s3, s3
; %bb.105:
	v_and_b32_e32 v7, 0xffff, v71
	v_or_b32_e32 v8, 0x10000, v71
	s_delay_alu instid0(VALU_DEP_2) | instskip(NEXT) | instid1(VALU_DEP_2)
	v_cmp_eq_u32_e32 vcc_lo, 0, v7
	v_cndmask_b32_e32 v7, v8, v71, vcc_lo
; %bb.106:
	s_or_b32 exec_lo, exec_lo, s3
	v_and_b32_e32 v8, 0x7f800000, v72
	s_delay_alu instid0(VALU_DEP_1) | instskip(SKIP_1) | instid1(SALU_CYCLE_1)
	v_cmp_ne_u32_e32 vcc_lo, 0x7f800000, v8
                                        ; implicit-def: $vgpr8
	s_and_saveexec_b32 s3, vcc_lo
	s_xor_b32 s3, exec_lo, s3
; %bb.107:
	v_bfe_u32 v8, v72, 16, 1
	s_delay_alu instid0(VALU_DEP_1)
	v_add3_u32 v8, v72, v8, 0x7fff
                                        ; implicit-def: $vgpr65_vgpr66_vgpr67_vgpr68_vgpr69_vgpr70_vgpr71_vgpr72
; %bb.108:
	s_and_not1_saveexec_b32 s3, s3
; %bb.109:
	v_and_b32_e32 v8, 0xffff, v72
	v_or_b32_e32 v9, 0x10000, v72
	s_delay_alu instid0(VALU_DEP_2) | instskip(NEXT) | instid1(VALU_DEP_2)
	v_cmp_eq_u32_e32 vcc_lo, 0, v8
	v_cndmask_b32_e32 v8, v9, v72, vcc_lo
; %bb.110:
	s_or_b32 exec_lo, exec_lo, s3
	s_delay_alu instid0(VALU_DEP_1)
	v_perm_b32 v7, v8, v7, 0x7060302
	v_perm_b32 v6, v6, v5, 0x7060302
	;; [unrolled: 1-line block ×4, first 2 shown]
	s_barrier
	buffer_gl0_inv
	v_cmp_eq_u32_e32 vcc_lo, 1, v78
	ds_store_b128 v76, v[4:7]
	s_waitcnt lgkmcnt(0)
	s_barrier
	buffer_gl0_inv
	ds_load_b128 v[1:4], v82
	ds_load_b128 v[5:8], v82 offset:16
	v_cmp_eq_u32_e64 s3, 1, v79
	v_cmp_eq_u32_e64 s4, 2, v78
	;; [unrolled: 1-line block ×5, first 2 shown]
	s_waitcnt lgkmcnt(1)
	v_lshrrev_b32_e32 v9, 16, v1
	s_waitcnt lgkmcnt(0)
	v_lshrrev_b32_e32 v13, 16, v5
	v_lshrrev_b32_e32 v10, 16, v2
	v_lshrrev_b32_e32 v14, 16, v6
	v_lshrrev_b32_e32 v11, 16, v3
	v_cndmask_b32_e64 v19, v1, v9, s3
	v_cndmask_b32_e32 v18, v5, v13, vcc_lo
	v_cndmask_b32_e64 v20, v5, v13, s3
	v_cndmask_b32_e32 v17, v1, v9, vcc_lo
	v_cmp_eq_u32_e32 vcc_lo, 2, v79
	v_lshrrev_b32_e32 v15, 16, v7
	v_cmp_eq_u32_e64 s3, 1, v77
	v_lshrrev_b32_e32 v12, 16, v4
	v_lshrrev_b32_e32 v16, 16, v8
	v_cndmask_b32_e32 v20, v20, v6, vcc_lo
	v_cndmask_b32_e64 v17, v17, v2, s4
	v_cndmask_b32_e32 v19, v19, v2, vcc_lo
	v_cndmask_b32_e64 v18, v18, v6, s4
	v_cmp_eq_u32_e32 vcc_lo, 4, v78
	v_cmp_eq_u32_e64 s4, 3, v79
	v_cndmask_b32_e64 v17, v17, v10, s5
	v_cndmask_b32_e64 v21, v1, v9, s3
	v_cndmask_b32_e64 v18, v18, v14, s5
	v_cndmask_b32_e64 v22, v5, v13, s3
	v_cndmask_b32_e64 v19, v19, v10, s4
	v_cndmask_b32_e32 v17, v17, v3, vcc_lo
	v_cndmask_b32_e64 v20, v20, v14, s4
	v_cndmask_b32_e32 v18, v18, v7, vcc_lo
	v_cmp_eq_u32_e32 vcc_lo, 4, v79
	v_cmp_eq_u32_e64 s4, 5, v79
	v_cmp_eq_u32_e64 s3, 2, v81
	v_cndmask_b32_e64 v21, v21, v2, s7
	v_cmp_eq_u32_e64 s5, 5, v78
	v_cndmask_b32_e32 v19, v19, v3, vcc_lo
	v_cndmask_b32_e32 v20, v20, v7, vcc_lo
	v_cmp_eq_u32_e32 vcc_lo, 6, v79
	s_delay_alu instid0(VALU_DEP_4) | instskip(NEXT) | instid1(VALU_DEP_4)
	v_cndmask_b32_e64 v17, v17, v11, s5
	v_cndmask_b32_e64 v19, v19, v11, s4
	s_delay_alu instid0(VALU_DEP_4) | instskip(SKIP_1) | instid1(VALU_DEP_3)
	v_cndmask_b32_e64 v20, v20, v15, s4
	v_cmp_eq_u32_e64 s4, 1, v81
	v_cndmask_b32_e32 v19, v19, v4, vcc_lo
	v_cndmask_b32_e64 v18, v18, v15, s5
	s_delay_alu instid0(VALU_DEP_3)
	v_cndmask_b32_e64 v1, v1, v9, s4
	v_cndmask_b32_e64 v5, v5, v13, s4
	v_cmp_eq_u32_e64 s4, 3, v77
	v_cndmask_b32_e64 v13, v22, v6, s7
	v_cmp_eq_u32_e64 s7, 3, v81
	v_cndmask_b32_e64 v1, v1, v2, s3
	v_cndmask_b32_e64 v2, v5, v6, s3
	;; [unrolled: 1-line block ×3, first 2 shown]
	v_cmp_eq_u32_e64 s3, 4, v77
	v_cndmask_b32_e64 v6, v13, v14, s4
	v_cndmask_b32_e64 v1, v1, v10, s7
	v_cmp_eq_u32_e64 s4, 4, v81
	v_cndmask_b32_e64 v2, v2, v14, s7
	v_cndmask_b32_e64 v5, v9, v3, s3
	v_cmp_eq_u32_e64 s7, 5, v77
	v_cndmask_b32_e64 v6, v6, v7, s3
	v_cndmask_b32_e64 v1, v1, v3, s4
	v_cndmask_b32_e64 v2, v2, v7, s4
	v_cmp_eq_u32_e64 s3, 5, v81
	v_cmp_eq_u32_e64 s5, 6, v78
	v_cndmask_b32_e64 v5, v5, v11, s7
	v_cmp_eq_u32_e64 s4, 6, v77
	v_cndmask_b32_e64 v3, v6, v15, s7
	v_cndmask_b32_e64 v1, v1, v11, s3
	v_cmp_eq_u32_e64 s7, 6, v81
	v_cndmask_b32_e64 v2, v2, v15, s3
	v_cndmask_b32_e64 v17, v17, v4, s5
	v_cndmask_b32_e64 v18, v18, v8, s5
	v_cmp_eq_u32_e64 s5, 7, v78
	v_cndmask_b32_e64 v5, v5, v4, s4
	;; [unrolled: 4-line block ×3, first 2 shown]
	v_cmp_eq_u32_e64 s4, 7, v77
	v_cndmask_b32_e32 v4, v20, v8, vcc_lo
	v_cndmask_b32_e64 v17, v17, v12, s5
	v_cndmask_b32_e64 v19, v19, v12, s6
	;; [unrolled: 1-line block ×8, first 2 shown]
	s_mov_b32 s3, exec_lo
	v_perm_b32 v4, v2, v1, 0x5040100
	v_perm_b32 v3, v3, v5, 0x5040100
	;; [unrolled: 1-line block ×4, first 2 shown]
	ds_store_b128 v76, v[1:4]
	s_waitcnt lgkmcnt(0)
	s_barrier
	buffer_gl0_inv
	v_cmpx_gt_u32_e32 32, v0
	s_cbranch_execz .LBB1650_2
; %bb.111:
	s_load_b64 s[4:5], s[0:1], 0x68
	v_lshlrev_b32_e32 v0, 10, v0
	v_add_nc_u32_e32 v2, s31, v74
	v_lshlrev_b32_e32 v3, 4, v75
	s_lshl_b32 s0, s34, 7
	s_delay_alu instid0(SALU_CYCLE_1) | instskip(NEXT) | instid1(VALU_DEP_2)
	s_mul_i32 s1, s0, s30
	v_mul_lo_u32 v1, v2, s0
	s_delay_alu instid0(VALU_DEP_2) | instskip(SKIP_2) | instid1(SALU_CYCLE_1)
	v_and_or_b32 v0, 0x3800, v0, v3
	v_add_nc_u32_e32 v2, 2, v2
	s_mul_i32 s6, s1, s8
	s_ashr_i32 s7, s6, 31
	s_delay_alu instid0(VALU_DEP_2)
	v_lshl_or_b32 v7, v74, 6, v0
	s_lshl_b64 s[6:7], s[6:7], 1
	v_mul_lo_u32 v11, v2, s0
	v_ashrrev_i32_e32 v2, 31, v1
	ds_load_b128 v[3:6], v7
	ds_load_b128 v[7:10], v7 offset:128
	s_waitcnt lgkmcnt(0)
	s_add_u32 s1, s4, s6
	s_addc_u32 s3, s5, s7
	s_lshl_b32 s4, s14, 7
	v_ashrrev_i32_e32 v12, 31, v11
	s_ashr_i32 s5, s4, 31
	v_lshlrev_b64 v[13:14], 1, v[1:2]
	s_lshl_b64 s[4:5], s[4:5], 1
	s_delay_alu instid0(SALU_CYCLE_1) | instskip(SKIP_2) | instid1(VALU_DEP_1)
	s_add_u32 s1, s1, s4
	s_addc_u32 s3, s3, s5
	v_add_co_u32 v1, s1, s1, v73
	v_add_co_ci_u32_e64 v2, null, s3, 0, s1
	v_lshlrev_b64 v[11:12], 1, v[11:12]
	s_delay_alu instid0(VALU_DEP_3) | instskip(NEXT) | instid1(VALU_DEP_3)
	v_add_co_u32 v13, vcc_lo, v1, v13
	v_add_co_ci_u32_e32 v14, vcc_lo, v2, v14, vcc_lo
	s_delay_alu instid0(VALU_DEP_3) | instskip(NEXT) | instid1(VALU_DEP_4)
	v_add_co_u32 v11, vcc_lo, v1, v11
	v_add_co_ci_u32_e32 v12, vcc_lo, v2, v12, vcc_lo
	s_clause 0x1
	global_store_b128 v[13:14], v[3:6], off
	global_store_b128 v[11:12], v[7:10], off
	s_and_b32 exec_lo, exec_lo, s2
	s_cbranch_execz .LBB1650_2
; %bb.112:
	ds_load_b128 v[3:6], v0 offset:256
	s_add_i32 s1, s31, 4
	s_delay_alu instid0(SALU_CYCLE_1) | instskip(NEXT) | instid1(SALU_CYCLE_1)
	s_mul_i32 s0, s1, s0
	s_ashr_i32 s1, s0, 31
	s_delay_alu instid0(SALU_CYCLE_1) | instskip(NEXT) | instid1(SALU_CYCLE_1)
	s_lshl_b64 s[0:1], s[0:1], 1
	v_add_co_u32 v0, vcc_lo, v1, s0
	v_add_co_ci_u32_e32 v1, vcc_lo, s1, v2, vcc_lo
	s_waitcnt lgkmcnt(0)
	global_store_b128 v[0:1], v[3:6], off
	s_nop 0
	s_sendmsg sendmsg(MSG_DEALLOC_VGPRS)
	s_endpgm
	.section	.rodata,"a",@progbits
	.p2align	6, 0x0
	.amdhsa_kernel _Z39paged_attention_ll4mi_QKV_mfma16_kernelI14__hip_bfloat16hLN4vllm18Fp8KVCacheDataTypeE1ES0_Li32ELi128ELi256ELb0ELi5EL8MFMAType1EEvPKT_PKT0_S9_ifPKiSB_SB_iPKfiiiPfSE_PS4_PT2_iSD_SD_
		.amdhsa_group_segment_fixed_size 17472
		.amdhsa_private_segment_fixed_size 0
		.amdhsa_kernarg_size 400
		.amdhsa_user_sgpr_count 13
		.amdhsa_user_sgpr_dispatch_ptr 0
		.amdhsa_user_sgpr_queue_ptr 0
		.amdhsa_user_sgpr_kernarg_segment_ptr 1
		.amdhsa_user_sgpr_dispatch_id 0
		.amdhsa_user_sgpr_private_segment_size 0
		.amdhsa_wavefront_size32 1
		.amdhsa_uses_dynamic_stack 0
		.amdhsa_enable_private_segment 0
		.amdhsa_system_sgpr_workgroup_id_x 1
		.amdhsa_system_sgpr_workgroup_id_y 1
		.amdhsa_system_sgpr_workgroup_id_z 1
		.amdhsa_system_sgpr_workgroup_info 0
		.amdhsa_system_vgpr_workitem_id 0
		.amdhsa_next_free_vgpr 140
		.amdhsa_next_free_sgpr 36
		.amdhsa_reserve_vcc 1
		.amdhsa_float_round_mode_32 0
		.amdhsa_float_round_mode_16_64 0
		.amdhsa_float_denorm_mode_32 3
		.amdhsa_float_denorm_mode_16_64 3
		.amdhsa_dx10_clamp 1
		.amdhsa_ieee_mode 1
		.amdhsa_fp16_overflow 0
		.amdhsa_workgroup_processor_mode 1
		.amdhsa_memory_ordered 1
		.amdhsa_forward_progress 0
		.amdhsa_shared_vgpr_count 0
		.amdhsa_exception_fp_ieee_invalid_op 0
		.amdhsa_exception_fp_denorm_src 0
		.amdhsa_exception_fp_ieee_div_zero 0
		.amdhsa_exception_fp_ieee_overflow 0
		.amdhsa_exception_fp_ieee_underflow 0
		.amdhsa_exception_fp_ieee_inexact 0
		.amdhsa_exception_int_div_zero 0
	.end_amdhsa_kernel
	.section	.text._Z39paged_attention_ll4mi_QKV_mfma16_kernelI14__hip_bfloat16hLN4vllm18Fp8KVCacheDataTypeE1ES0_Li32ELi128ELi256ELb0ELi5EL8MFMAType1EEvPKT_PKT0_S9_ifPKiSB_SB_iPKfiiiPfSE_PS4_PT2_iSD_SD_,"axG",@progbits,_Z39paged_attention_ll4mi_QKV_mfma16_kernelI14__hip_bfloat16hLN4vllm18Fp8KVCacheDataTypeE1ES0_Li32ELi128ELi256ELb0ELi5EL8MFMAType1EEvPKT_PKT0_S9_ifPKiSB_SB_iPKfiiiPfSE_PS4_PT2_iSD_SD_,comdat
.Lfunc_end1650:
	.size	_Z39paged_attention_ll4mi_QKV_mfma16_kernelI14__hip_bfloat16hLN4vllm18Fp8KVCacheDataTypeE1ES0_Li32ELi128ELi256ELb0ELi5EL8MFMAType1EEvPKT_PKT0_S9_ifPKiSB_SB_iPKfiiiPfSE_PS4_PT2_iSD_SD_, .Lfunc_end1650-_Z39paged_attention_ll4mi_QKV_mfma16_kernelI14__hip_bfloat16hLN4vllm18Fp8KVCacheDataTypeE1ES0_Li32ELi128ELi256ELb0ELi5EL8MFMAType1EEvPKT_PKT0_S9_ifPKiSB_SB_iPKfiiiPfSE_PS4_PT2_iSD_SD_
                                        ; -- End function
	.section	.AMDGPU.csdata,"",@progbits
; Kernel info:
; codeLenInByte = 8916
; NumSgprs: 38
; NumVgprs: 140
; ScratchSize: 0
; MemoryBound: 0
; FloatMode: 240
; IeeeMode: 1
; LDSByteSize: 17472 bytes/workgroup (compile time only)
; SGPRBlocks: 4
; VGPRBlocks: 17
; NumSGPRsForWavesPerEU: 38
; NumVGPRsForWavesPerEU: 140
; Occupancy: 10
; WaveLimiterHint : 1
; COMPUTE_PGM_RSRC2:SCRATCH_EN: 0
; COMPUTE_PGM_RSRC2:USER_SGPR: 13
; COMPUTE_PGM_RSRC2:TRAP_HANDLER: 0
; COMPUTE_PGM_RSRC2:TGID_X_EN: 1
; COMPUTE_PGM_RSRC2:TGID_Y_EN: 1
; COMPUTE_PGM_RSRC2:TGID_Z_EN: 1
; COMPUTE_PGM_RSRC2:TIDIG_COMP_CNT: 0
	.section	.text._Z39paged_attention_ll4mi_QKV_mfma16_kernelI14__hip_bfloat16hLN4vllm18Fp8KVCacheDataTypeE1ES0_Li32ELi128ELi256ELb0ELi6EL8MFMAType1EEvPKT_PKT0_S9_ifPKiSB_SB_iPKfiiiPfSE_PS4_PT2_iSD_SD_,"axG",@progbits,_Z39paged_attention_ll4mi_QKV_mfma16_kernelI14__hip_bfloat16hLN4vllm18Fp8KVCacheDataTypeE1ES0_Li32ELi128ELi256ELb0ELi6EL8MFMAType1EEvPKT_PKT0_S9_ifPKiSB_SB_iPKfiiiPfSE_PS4_PT2_iSD_SD_,comdat
	.protected	_Z39paged_attention_ll4mi_QKV_mfma16_kernelI14__hip_bfloat16hLN4vllm18Fp8KVCacheDataTypeE1ES0_Li32ELi128ELi256ELb0ELi6EL8MFMAType1EEvPKT_PKT0_S9_ifPKiSB_SB_iPKfiiiPfSE_PS4_PT2_iSD_SD_ ; -- Begin function _Z39paged_attention_ll4mi_QKV_mfma16_kernelI14__hip_bfloat16hLN4vllm18Fp8KVCacheDataTypeE1ES0_Li32ELi128ELi256ELb0ELi6EL8MFMAType1EEvPKT_PKT0_S9_ifPKiSB_SB_iPKfiiiPfSE_PS4_PT2_iSD_SD_
	.globl	_Z39paged_attention_ll4mi_QKV_mfma16_kernelI14__hip_bfloat16hLN4vllm18Fp8KVCacheDataTypeE1ES0_Li32ELi128ELi256ELb0ELi6EL8MFMAType1EEvPKT_PKT0_S9_ifPKiSB_SB_iPKfiiiPfSE_PS4_PT2_iSD_SD_
	.p2align	8
	.type	_Z39paged_attention_ll4mi_QKV_mfma16_kernelI14__hip_bfloat16hLN4vllm18Fp8KVCacheDataTypeE1ES0_Li32ELi128ELi256ELb0ELi6EL8MFMAType1EEvPKT_PKT0_S9_ifPKiSB_SB_iPKfiiiPfSE_PS4_PT2_iSD_SD_,@function
_Z39paged_attention_ll4mi_QKV_mfma16_kernelI14__hip_bfloat16hLN4vllm18Fp8KVCacheDataTypeE1ES0_Li32ELi128ELi256ELb0ELi6EL8MFMAType1EEvPKT_PKT0_S9_ifPKiSB_SB_iPKfiiiPfSE_PS4_PT2_iSD_SD_: ; @_Z39paged_attention_ll4mi_QKV_mfma16_kernelI14__hip_bfloat16hLN4vllm18Fp8KVCacheDataTypeE1ES0_Li32ELi128ELi256ELb0ELi6EL8MFMAType1EEvPKT_PKT0_S9_ifPKiSB_SB_iPKfiiiPfSE_PS4_PT2_iSD_SD_
; %bb.0:
	s_load_b64 s[4:5], s[0:1], 0x30
	s_mov_b32 s30, s13
	s_waitcnt lgkmcnt(0)
	s_cmp_lg_u64 s[4:5], 0
	s_cselect_b32 s13, -1, 0
	s_ashr_i32 s31, s30, 31
	s_cmp_eq_u64 s[4:5], 0
	s_cbranch_scc1 .LBB1651_3
; %bb.1:
	s_lshl_b64 s[2:3], s[30:31], 2
	s_delay_alu instid0(SALU_CYCLE_1) | instskip(SKIP_4) | instid1(SALU_CYCLE_1)
	s_add_u32 s2, s4, s2
	s_addc_u32 s3, s5, s3
	s_load_b64 s[2:3], s[2:3], 0x0
	s_waitcnt lgkmcnt(0)
	s_sub_i32 s2, s3, s2
	s_cmp_eq_u32 s2, 1
	s_cselect_b32 s2, -1, 0
	s_delay_alu instid0(SALU_CYCLE_1)
	s_and_not1_b32 vcc_lo, exec_lo, s2
	s_cbranch_vccz .LBB1651_4
.LBB1651_2:
	s_endpgm
.LBB1651_3:
.LBB1651_4:
	s_load_b64 s[2:3], s[0:1], 0x28
	s_lshl_b64 s[6:7], s[30:31], 2
	s_waitcnt lgkmcnt(0)
	s_add_u32 s2, s2, s6
	s_addc_u32 s3, s3, s7
	s_lshl_b32 s12, s14, 8
	s_load_b32 s17, s[2:3], 0x0
	s_waitcnt lgkmcnt(0)
	s_cmp_ge_i32 s12, s17
	s_cbranch_scc1 .LBB1651_2
; %bb.5:
	s_clause 0x1
	s_load_b128 s[8:11], s[0:1], 0x8
	s_load_b64 s[2:3], s[0:1], 0x20
	s_and_not1_b32 vcc_lo, exec_lo, s13
	s_cbranch_vccnz .LBB1651_7
; %bb.6:
	s_add_u32 s4, s4, s6
	s_addc_u32 s5, s5, s7
	s_load_b32 s13, s[4:5], 0x0
	s_branch .LBB1651_8
.LBB1651_7:
	s_mov_b32 s13, s30
.LBB1651_8:
	s_load_b128 s[4:7], s[0:1], 0x48
	v_and_b32_e32 v65, 15, v0
	v_lshrrev_b32_e32 v66, 5, v0
	v_and_b32_e32 v67, 31, v0
	v_and_b32_e32 v75, 1, v0
	v_bfe_u32 v74, v0, 4, 1
	v_lshlrev_b32_e32 v1, 3, v65
	s_mul_i32 s29, s15, 6
	s_waitcnt lgkmcnt(0)
	s_mov_b32 s7, exec_lo
	s_delay_alu instid0(VALU_DEP_1)
	v_lshlrev_b32_e32 v73, 1, v1
	v_cmpx_gt_u32_e32 0x60, v0
	s_cbranch_execz .LBB1651_10
; %bb.9:
	s_load_b64 s[18:19], s[0:1], 0x0
	v_lshl_or_b32 v5, v66, 1, v74
	s_mul_hi_i32 s21, s13, s4
	s_mul_i32 s20, s13, s4
	v_lshlrev_b32_e32 v6, 10, v65
	s_lshl_b64 s[20:21], s[20:21], 1
	v_add_lshl_u32 v1, v5, s29, 7
	v_lshlrev_b32_e32 v5, 6, v5
	v_lshlrev_b32_e32 v7, 10, v75
	v_and_b32_e32 v6, 0x3800, v6
	s_delay_alu instid0(VALU_DEP_4) | instskip(NEXT) | instid1(VALU_DEP_2)
	v_ashrrev_i32_e32 v2, 31, v1
	v_or3_b32 v5, v6, v7, v5
	s_delay_alu instid0(VALU_DEP_2) | instskip(SKIP_3) | instid1(VALU_DEP_1)
	v_lshlrev_b64 v[1:2], 1, v[1:2]
	s_waitcnt lgkmcnt(0)
	s_add_u32 s4, s18, s20
	s_addc_u32 s13, s19, s21
	v_add_co_u32 v1, vcc_lo, s4, v1
	s_delay_alu instid0(VALU_DEP_2) | instskip(NEXT) | instid1(VALU_DEP_2)
	v_add_co_ci_u32_e32 v2, vcc_lo, s13, v2, vcc_lo
	v_add_co_u32 v1, vcc_lo, v1, v73
	s_delay_alu instid0(VALU_DEP_2)
	v_add_co_ci_u32_e32 v2, vcc_lo, 0, v2, vcc_lo
	global_load_b128 v[1:4], v[1:2], off
	s_waitcnt vmcnt(0)
	ds_store_b128 v5, v[1:4]
.LBB1651_10:
	s_or_b32 exec_lo, exec_lo, s7
	v_and_b32_e32 v1, 0xef, v0
	s_add_i32 s4, s17, 31
	s_clause 0x1
	s_load_b32 s7, s[0:1], 0x38
	s_load_b32 s18, s[0:1], 0x1c
	s_ashr_i32 s13, s4, 31
	v_add_nc_u32_e32 v2, s12, v1
	s_lshr_b32 s13, s13, 27
	s_waitcnt lgkmcnt(0)
	s_add_i32 s4, s4, s13
	s_barrier
	v_ashrrev_i32_e32 v1, 31, v2
	s_ashr_i32 s4, s4, 5
	v_cmp_gt_i32_e32 vcc_lo, s17, v2
	s_add_i32 s4, s4, -1
	buffer_gl0_inv
	v_lshrrev_b32_e32 v3, 27, v1
	v_or_b32_e32 v1, 16, v2
	s_mul_i32 s15, s15, s6
	s_delay_alu instid0(VALU_DEP_2) | instskip(SKIP_1) | instid1(SALU_CYCLE_1)
	v_add_nc_u32_e32 v4, v2, v3
	s_mul_i32 s20, s30, s7
	s_ashr_i32 s21, s20, 31
	s_delay_alu instid0(VALU_DEP_1) | instskip(SKIP_2) | instid1(SALU_CYCLE_1)
	v_ashrrev_i32_e32 v4, 5, v4
	v_add_nc_u32_e32 v3, v1, v3
	s_lshl_b64 s[20:21], s[20:21], 2
	s_add_u32 s7, s2, s20
	s_delay_alu instid0(VALU_DEP_2) | instskip(NEXT) | instid1(VALU_DEP_2)
	v_cndmask_b32_e32 v2, s4, v4, vcc_lo
	v_ashrrev_i32_e32 v3, 5, v3
	v_cmp_gt_i32_e32 vcc_lo, s17, v1
	s_addc_u32 s13, s3, s21
	s_ashr_i32 s6, s15, 31
	s_add_u32 s2, s8, s15
	s_addc_u32 s3, s9, s6
	v_cndmask_b32_e32 v4, s4, v3, vcc_lo
	v_ashrrev_i32_e32 v3, 31, v2
	s_lshl_b32 s8, s14, 3
	s_delay_alu instid0(SALU_CYCLE_1) | instskip(NEXT) | instid1(VALU_DEP_2)
	s_ashr_i32 s9, s8, 31
	v_ashrrev_i32_e32 v5, 31, v4
	s_delay_alu instid0(VALU_DEP_2) | instskip(SKIP_1) | instid1(SALU_CYCLE_1)
	v_lshlrev_b64 v[1:2], 2, v[2:3]
	s_lshl_b64 s[8:9], s[8:9], 2
	s_add_u32 s8, s7, s8
	s_delay_alu instid0(VALU_DEP_2) | instskip(SKIP_1) | instid1(VALU_DEP_2)
	v_lshlrev_b64 v[3:4], 2, v[4:5]
	s_addc_u32 s9, s13, s9
	v_add_co_u32 v1, vcc_lo, s7, v1
	v_add_co_ci_u32_e32 v2, vcc_lo, s13, v2, vcc_lo
	s_delay_alu instid0(VALU_DEP_3) | instskip(NEXT) | instid1(VALU_DEP_4)
	v_add_co_u32 v3, vcc_lo, s7, v3
	v_add_co_ci_u32_e32 v4, vcc_lo, s13, v4, vcc_lo
	s_clause 0x1
	global_load_b32 v5, v[1:2], off
	global_load_b32 v6, v[3:4], off
	s_or_b32 s16, s12, 32
	s_delay_alu instid0(SALU_CYCLE_1) | instskip(SKIP_2) | instid1(SALU_CYCLE_1)
	s_ashr_i32 s19, s16, 5
	s_cmp_lt_i32 s16, s17
	s_cselect_b32 s20, s19, s4
	s_ashr_i32 s21, s20, 31
	s_delay_alu instid0(SALU_CYCLE_1) | instskip(NEXT) | instid1(SALU_CYCLE_1)
	s_lshl_b64 s[20:21], s[20:21], 2
	s_add_u32 s20, s7, s20
	s_addc_u32 s21, s13, s21
	s_or_b32 s16, s12, 64
	s_delay_alu instid0(SALU_CYCLE_1) | instskip(SKIP_2) | instid1(SALU_CYCLE_1)
	s_ashr_i32 s19, s16, 5
	s_cmp_lt_i32 s16, s17
	s_cselect_b32 s22, s19, s4
	s_ashr_i32 s23, s22, 31
	s_delay_alu instid0(SALU_CYCLE_1) | instskip(NEXT) | instid1(SALU_CYCLE_1)
	s_lshl_b64 s[22:23], s[22:23], 2
	s_add_u32 s22, s7, s22
	s_addc_u32 s23, s13, s23
	;; [unrolled: 10-line block ×5, first 2 shown]
	s_clause 0x5
	s_load_b32 s16, s[8:9], 0x0
	s_load_b32 s19, s[20:21], 0x0
	;; [unrolled: 1-line block ×6, first 2 shown]
	s_mov_b32 s20, 0
	s_delay_alu instid0(SALU_CYCLE_1)
	s_mov_b32 s21, s20
	s_mov_b32 s22, s20
	;; [unrolled: 1-line block ×7, first 2 shown]
	s_delay_alu instid0(SALU_CYCLE_1)
	v_dual_mov_b32 v107, s27 :: v_dual_mov_b32 v106, s26
	v_dual_mov_b32 v105, s25 :: v_dual_mov_b32 v102, s22
	;; [unrolled: 1-line block ×4, first 2 shown]
	s_waitcnt vmcnt(1)
	v_mad_i64_i32 v[1:2], null, v5, s5, s[2:3]
	v_lshlrev_b32_e32 v5, 4, v65
	s_waitcnt vmcnt(0)
	v_mad_i64_i32 v[3:4], null, v6, s5, s[2:3]
	s_or_b32 s2, s12, 0xc0
	s_delay_alu instid0(SALU_CYCLE_1) | instskip(NEXT) | instid1(VALU_DEP_3)
	s_ashr_i32 s3, s2, 5
	v_add_co_u32 v25, vcc_lo, v1, v5
	s_delay_alu instid0(VALU_DEP_4) | instskip(NEXT) | instid1(VALU_DEP_3)
	v_add_co_ci_u32_e32 v26, vcc_lo, 0, v2, vcc_lo
	v_add_co_u32 v27, vcc_lo, v3, v5
	s_delay_alu instid0(VALU_DEP_4)
	v_add_co_ci_u32_e32 v28, vcc_lo, 0, v4, vcc_lo
	s_clause 0xf
	global_load_b128 v[1:4], v[25:26], off
	global_load_b128 v[5:8], v[25:26], off offset:512
	global_load_b128 v[9:12], v[27:28], off offset:256
	;; [unrolled: 1-line block ×15, first 2 shown]
	v_mul_lo_u16 v25, v65, 43
	s_cmp_lt_i32 s2, s17
	v_lshlrev_b32_e32 v26, 5, v65
	s_cselect_b32 s2, s3, s4
	s_delay_alu instid0(VALU_DEP_2) | instskip(SKIP_1) | instid1(VALU_DEP_2)
	v_lshrrev_b16 v25, 8, v25
	s_ashr_i32 s3, s2, 31
	v_lshl_or_b32 v33, v66, 9, v26
	s_lshl_b64 s[2:3], s[2:3], 2
	s_delay_alu instid0(VALU_DEP_2) | instskip(SKIP_3) | instid1(VALU_DEP_1)
	v_mul_lo_u16 v25, v25, 6
	s_add_u32 s2, s7, s2
	s_addc_u32 s3, s13, s3
	s_or_b32 s8, s12, 0xe0
	v_sub_nc_u16 v25, v65, v25
	s_ashr_i32 s9, s8, 5
	s_cmp_lt_i32 s8, s17
	s_cselect_b32 s8, s9, s4
	s_delay_alu instid0(VALU_DEP_1) | instskip(SKIP_1) | instid1(SALU_CYCLE_1)
	v_and_b32_e32 v25, 0xff, v25
	s_ashr_i32 s9, s8, 31
	s_lshl_b64 s[8:9], s[8:9], 2
	s_delay_alu instid0(VALU_DEP_1)
	v_lshlrev_b32_e32 v72, 6, v25
	ds_load_b128 v[25:28], v72
	ds_load_b128 v[29:32], v72 offset:1024
	ds_load_b128 v[108:111], v72 offset:2048
	;; [unrolled: 1-line block ×3, first 2 shown]
	s_load_b32 s4, s[2:3], 0x0
	s_add_u32 s2, s7, s8
	s_addc_u32 s3, s13, s9
	ds_load_b128 v[116:119], v72 offset:4096
	ds_load_b128 v[120:123], v72 offset:5120
	s_load_b32 s2, s[2:3], 0x0
	s_add_u32 s7, s10, s15
	s_addc_u32 s6, s11, s6
	v_add_co_u32 v68, s7, s7, v33
	s_delay_alu instid0(VALU_DEP_1) | instskip(SKIP_1) | instid1(VALU_DEP_1)
	v_add_co_ci_u32_e64 v69, null, s6, 0, s7
	s_waitcnt lgkmcnt(0)
	v_mad_i64_i32 v[33:34], null, s16, s5, v[68:69]
	v_mad_i64_i32 v[70:71], null, s28, s5, v[68:69]
	;; [unrolled: 1-line block ×7, first 2 shown]
	s_clause 0x3
	global_load_b128 v[41:44], v[33:34], off
	global_load_b128 v[45:48], v[33:34], off offset:16
	global_load_b128 v[33:36], v[37:38], off
	global_load_b128 v[37:40], v[37:38], off offset:16
	s_waitcnt vmcnt(18)
	v_wmma_f32_16x16x16_bf16 v[124:131], v[1:8], v[25:32], v[100:107]
	s_waitcnt vmcnt(16)
	v_wmma_f32_16x16x16_bf16 v[100:107], v[9:16], v[25:32], v[100:107]
	s_clause 0x1
	global_load_b128 v[25:28], v[70:71], off
	global_load_b128 v[29:32], v[70:71], off offset:16
	s_waitcnt vmcnt(16)
	v_wmma_f32_16x16x16_bf16 v[124:131], v[17:24], v[108:115], v[124:131]
	s_clause 0x1
	global_load_b128 v[17:20], v[132:133], off
	global_load_b128 v[21:24], v[132:133], off offset:16
	s_waitcnt vmcnt(16)
	v_wmma_f32_16x16x16_bf16 v[100:107], v[49:56], v[108:115], v[100:107]
	v_mad_i64_i32 v[53:54], null, s2, s5, v[68:69]
	s_clause 0x3
	global_load_b128 v[1:4], v[134:135], off
	global_load_b128 v[5:8], v[134:135], off offset:16
	global_load_b128 v[9:12], v[136:137], off
	global_load_b128 v[13:16], v[136:137], off offset:16
	s_waitcnt vmcnt(18)
	v_wmma_f32_16x16x16_bf16 v[124:131], v[57:64], v[116:123], v[124:131]
	s_clause 0x3
	global_load_b128 v[57:60], v[138:139], off
	global_load_b128 v[61:64], v[138:139], off offset:16
	global_load_b128 v[49:52], v[53:54], off
	global_load_b128 v[53:56], v[53:54], off offset:16
	s_waitcnt vmcnt(20)
	v_wmma_f32_16x16x16_bf16 v[100:107], v[76:83], v[116:123], v[100:107]
	ds_load_b128 v[76:79], v72 offset:6144
	ds_load_b128 v[80:83], v72 offset:7168
	v_mbcnt_lo_u32_b32 v69, -1, 0
	s_waitcnt vmcnt(0) lgkmcnt(0)
	s_barrier
	buffer_gl0_inv
	v_xor_b32_e32 v70, 16, v69
	s_delay_alu instid0(VALU_DEP_1) | instskip(SKIP_4) | instid1(VALU_DEP_2)
	v_cmp_gt_i32_e32 vcc_lo, 32, v70
	v_cndmask_b32_e32 v69, v69, v70, vcc_lo
	v_wmma_f32_16x16x16_bf16 v[124:131], v[84:91], v[76:83], v[124:131]
	v_and_b32_e32 v68, 0xe0, v0
	v_wmma_f32_16x16x16_bf16 v[100:107], v[92:99], v[76:83], v[100:107]
	v_dual_mul_f32 v81, s18, v129 :: v_dual_add_nc_u32 v68, s12, v68
	s_delay_alu instid0(VALU_DEP_4) | instskip(NEXT) | instid1(VALU_DEP_3)
	v_dual_mul_f32 v83, s18, v131 :: v_dual_mul_f32 v78, s18, v125
	v_mul_f32_e32 v95, s18, v103
	v_mul_f32_e32 v79, s18, v127
	s_delay_alu instid0(VALU_DEP_4) | instskip(SKIP_3) | instid1(VALU_DEP_4)
	v_or_b32_e32 v68, v68, v74
	v_dual_mul_f32 v80, s18, v126 :: v_dual_mul_f32 v97, s18, v105
	v_dual_mul_f32 v93, s18, v101 :: v_dual_mul_f32 v82, s18, v128
	v_mul_f32_e32 v99, s18, v107
	v_or_b32_e32 v70, 2, v68
	v_or_b32_e32 v71, 4, v68
	;; [unrolled: 1-line block ×3, first 2 shown]
	v_cmp_gt_i32_e64 s2, s17, v68
	v_or_b32_e32 v108, 8, v68
	v_cmp_gt_i32_e32 vcc_lo, s17, v70
	v_mul_f32_e32 v70, s18, v124
	v_or_b32_e32 v109, 10, v68
	v_cmp_gt_i32_e64 s3, s17, v71
	v_cmp_gt_i32_e64 s4, s17, v72
	v_cndmask_b32_e32 v78, 0xff7fffff, v78, vcc_lo
	v_cndmask_b32_e64 v70, 0xff7fffff, v70, s2
	v_or_b32_e32 v84, 12, v68
	v_or_b32_e32 v85, 14, v68
	v_cndmask_b32_e64 v71, 0xff7fffff, v80, s3
	v_cndmask_b32_e64 v72, 0xff7fffff, v79, s4
	v_max3_f32 v70, v70, 0xff7fffff, v78
	v_cmp_gt_i32_e64 s5, s17, v108
	v_cmp_gt_i32_e64 s6, s17, v109
	v_or_b32_e32 v86, 16, v68
	v_or_b32_e32 v87, 18, v68
	;; [unrolled: 1-line block ×3, first 2 shown]
	v_mul_f32_e32 v92, s18, v130
	v_cndmask_b32_e64 v78, 0xff7fffff, v82, s5
	v_cndmask_b32_e64 v79, 0xff7fffff, v81, s6
	v_max3_f32 v70, v70, v71, v72
	v_cmp_gt_i32_e64 s7, s17, v84
	v_cmp_gt_i32_e64 s8, s17, v85
	v_or_b32_e32 v88, 20, v68
	v_mul_f32_e32 v94, s18, v100
	v_max3_f32 v70, v70, v78, v79
	v_cmp_gt_i32_e64 s9, s17, v86
	v_cndmask_b32_e64 v72, 0xff7fffff, v83, s8
	v_cmp_gt_i32_e64 s10, s17, v87
	v_cmp_gt_i32_e64 s12, s17, v89
	v_lshlrev_b32_e32 v89, 2, v69
	v_cndmask_b32_e64 v71, 0xff7fffff, v92, s7
	v_or_b32_e32 v90, 24, v68
	v_or_b32_e32 v91, 26, v68
	v_mul_f32_e32 v96, s18, v102
	v_cndmask_b32_e64 v78, 0xff7fffff, v94, s9
	v_cndmask_b32_e64 v79, 0xff7fffff, v93, s10
	v_max3_f32 v70, v70, v71, v72
	v_cmp_gt_i32_e64 s11, s17, v88
	v_or_b32_e32 v76, 28, v68
	v_or_b32_e32 v77, 30, v68
	v_mul_f32_e32 v98, s18, v104
	v_cndmask_b32_e64 v72, 0xff7fffff, v95, s12
	v_cndmask_b32_e64 v71, 0xff7fffff, v96, s11
	v_max3_f32 v70, v70, v78, v79
	v_cmp_gt_i32_e64 s13, s17, v90
	v_cmp_gt_i32_e64 s15, s17, v91
	v_mul_f32_e32 v68, s18, v106
	v_cmp_gt_i32_e64 s16, s17, v76
	v_max3_f32 v70, v70, v71, v72
	v_cndmask_b32_e64 v78, 0xff7fffff, v98, s13
	v_cndmask_b32_e64 v79, 0xff7fffff, v97, s15
	v_cmp_gt_i32_e64 s17, s17, v77
	v_cndmask_b32_e64 v68, 0xff7fffff, v68, s16
	s_delay_alu instid0(VALU_DEP_3) | instskip(NEXT) | instid1(VALU_DEP_3)
	v_max3_f32 v70, v70, v78, v79
	v_cndmask_b32_e64 v71, 0xff7fffff, v99, s17
	s_delay_alu instid0(VALU_DEP_1) | instskip(SKIP_3) | instid1(VALU_DEP_1)
	v_max3_f32 v68, v70, v68, v71
	ds_bpermute_b32 v69, v89, v68
	s_waitcnt lgkmcnt(0)
	v_max_f32_e32 v69, v69, v69
	v_max_f32_e32 v68, v68, v69
	s_delay_alu instid0(VALU_DEP_1) | instskip(NEXT) | instid1(VALU_DEP_1)
	v_fma_f32 v71, s18, v126, -v68
	v_mul_f32_e32 v71, 0x3fb8aa3b, v71
	s_delay_alu instid0(VALU_DEP_1) | instskip(SKIP_3) | instid1(VALU_DEP_1)
	v_exp_f32_e32 v71, v71
	s_waitcnt_depctr 0xfff
	v_cndmask_b32_e64 v83, 0, v71, s3
	v_fma_f32 v71, s18, v131, -v68
	v_mul_f32_e32 v71, 0x3fb8aa3b, v71
	v_fma_f32 v69, s18, v124, -v68
	v_fma_f32 v76, s18, v128, -v68
	;; [unrolled: 1-line block ×4, first 2 shown]
	v_exp_f32_e32 v71, v71
	v_mul_f32_e32 v69, 0x3fb8aa3b, v69
	v_mul_f32_e32 v77, 0x3fb8aa3b, v76
	v_fma_f32 v81, s18, v105, -v68
	v_fma_f32 v78, s18, v130, -v68
	s_delay_alu instid0(VALU_DEP_4) | instskip(NEXT) | instid1(VALU_DEP_3)
	v_exp_f32_e32 v69, v69
	v_exp_f32_e32 v77, v77
	s_delay_alu instid0(VALU_DEP_2) | instskip(NEXT) | instid1(TRANS32_DEP_3)
	v_mul_f32_e32 v81, 0x3fb8aa3b, v81
	v_cndmask_b32_e64 v88, 0, v71, s8
	v_fma_f32 v71, s18, v104, -v68
	s_delay_alu instid0(VALU_DEP_3) | instskip(NEXT) | instid1(TRANS32_DEP_3)
	v_exp_f32_e32 v81, v81
	v_cndmask_b32_e64 v80, 0, v69, s2
	v_fma_f32 v69, s18, v129, -v68
	v_mul_f32_e32 v70, 0x3fb8aa3b, v70
	s_delay_alu instid0(TRANS32_DEP_2)
	v_cndmask_b32_e64 v86, 0, v77, s5
	v_mul_f32_e32 v72, 0x3fb8aa3b, v72
	v_fma_f32 v77, s18, v101, -v68
	v_mul_f32_e32 v69, 0x3fb8aa3b, v69
	v_exp_f32_e32 v70, v70
	v_mul_f32_e32 v71, 0x3fb8aa3b, v71
	v_exp_f32_e32 v72, v72
	v_mul_f32_e32 v77, 0x3fb8aa3b, v77
	v_exp_f32_e32 v69, v69
	s_mov_b32 s2, exec_lo
	v_exp_f32_e32 v82, v71
	s_delay_alu instid0(VALU_DEP_1) | instskip(SKIP_4) | instid1(TRANS32_DEP_3)
	v_exp_f32_e32 v77, v77
	v_cndmask_b32_e32 v76, 0, v70, vcc_lo
	v_add_f32_e32 v70, 0, v80
	v_cndmask_b32_e64 v85, 0, v72, s4
	v_fma_f32 v72, s18, v100, -v68
	v_cndmask_b32_e64 v87, 0, v69, s6
	s_delay_alu instid0(VALU_DEP_4) | instskip(NEXT) | instid1(VALU_DEP_3)
	v_add_f32_e32 v70, v70, v76
	v_mul_f32_e32 v72, 0x3fb8aa3b, v72
	s_delay_alu instid0(VALU_DEP_2) | instskip(NEXT) | instid1(VALU_DEP_2)
	v_add_f32_e32 v70, v70, v83
	v_exp_f32_e32 v72, v72
	s_delay_alu instid0(VALU_DEP_1) | instskip(NEXT) | instid1(VALU_DEP_1)
	v_add_f32_e32 v70, v70, v85
	v_add_f32_e32 v69, v70, v86
	v_fma_f32 v70, s18, v102, -v68
	s_delay_alu instid0(VALU_DEP_2) | instskip(NEXT) | instid1(VALU_DEP_2)
	v_dual_add_f32 v69, v69, v87 :: v_dual_mul_f32 v78, 0x3fb8aa3b, v78
	v_mul_f32_e32 v70, 0x3fb8aa3b, v70
	s_delay_alu instid0(VALU_DEP_2) | instskip(NEXT) | instid1(VALU_DEP_1)
	v_exp_f32_e32 v78, v78
	v_exp_f32_e32 v79, v70
	s_delay_alu instid0(TRANS32_DEP_3) | instskip(SKIP_4) | instid1(VALU_DEP_2)
	v_cndmask_b32_e64 v70, 0, v72, s9
	s_waitcnt_depctr 0xfff
	v_cndmask_b32_e64 v84, 0, v78, s7
	v_fma_f32 v78, s18, v103, -v68
	v_cndmask_b32_e64 v71, 0, v79, s11
	v_dual_add_f32 v69, v69, v84 :: v_dual_mul_f32 v78, 0x3fb8aa3b, v78
	s_delay_alu instid0(VALU_DEP_1) | instskip(NEXT) | instid1(VALU_DEP_2)
	v_add_f32_e32 v72, v69, v88
	v_exp_f32_e32 v78, v78
	v_cndmask_b32_e64 v69, 0, v77, s10
	v_fma_f32 v77, s18, v106, -v68
	s_delay_alu instid0(VALU_DEP_1) | instskip(NEXT) | instid1(VALU_DEP_1)
	v_dual_add_f32 v72, v72, v70 :: v_dual_mul_f32 v77, 0x3fb8aa3b, v77
	v_add_f32_e32 v79, v72, v69
	s_waitcnt_depctr 0xfff
	v_cndmask_b32_e64 v72, 0, v78, s12
	v_exp_f32_e32 v90, v77
	v_cndmask_b32_e64 v77, 0, v82, s13
	v_add_f32_e32 v78, v79, v71
	v_fma_f32 v79, s18, v107, -v68
	s_delay_alu instid0(VALU_DEP_1) | instskip(SKIP_1) | instid1(VALU_DEP_2)
	v_dual_add_f32 v82, v78, v72 :: v_dual_mul_f32 v79, 0x3fb8aa3b, v79
	v_cndmask_b32_e64 v78, 0, v81, s15
	v_add_f32_e32 v81, v82, v77
	s_delay_alu instid0(VALU_DEP_3) | instskip(NEXT) | instid1(TRANS32_DEP_2)
	v_exp_f32_e32 v82, v79
	v_cndmask_b32_e64 v79, 0, v90, s16
	s_delay_alu instid0(VALU_DEP_2) | instskip(NEXT) | instid1(VALU_DEP_1)
	v_add_f32_e32 v81, v81, v78
	v_add_f32_e32 v90, v81, v79
	s_waitcnt_depctr 0xfff
	v_cndmask_b32_e64 v81, 0, v82, s17
	s_delay_alu instid0(VALU_DEP_1)
	v_add_f32_e32 v82, v90, v81
	ds_bpermute_b32 v89, v89, v82
	v_cmpx_gt_u32_e32 16, v67
	s_cbranch_execz .LBB1651_12
; %bb.11:
	v_mul_u32_u24_e32 v67, 0x44, v66
	s_delay_alu instid0(VALU_DEP_1) | instskip(SKIP_1) | instid1(VALU_DEP_1)
	v_lshl_add_u32 v67, v65, 2, v67
	s_waitcnt lgkmcnt(0)
	v_dual_add_f32 v82, v82, v89 :: v_dual_add_nc_u32 v67, 0x4000, v67
	ds_store_2addr_b32 v67, v68, v82 offset1:136
.LBB1651_12:
	s_or_b32 exec_lo, exec_lo, s2
	v_lshlrev_b32_e32 v67, 2, v65
	s_waitcnt lgkmcnt(0)
	s_barrier
	buffer_gl0_inv
	v_cmp_eq_u32_e32 vcc_lo, 1, v66
	v_add_nc_u32_e32 v82, 0x4000, v67
	v_cmp_eq_u32_e64 s2, 2, v66
	v_cmp_eq_u32_e64 s4, 7, v66
	ds_load_2addr_b32 v[89:90], v82 offset1:17
	ds_load_2addr_b32 v[91:92], v82 offset0:34 offset1:51
	ds_load_2addr_b32 v[93:94], v82 offset0:68 offset1:85
	;; [unrolled: 1-line block ×4, first 2 shown]
	s_waitcnt lgkmcnt(4)
	v_max3_f32 v67, v89, 0xff7fffff, v90
	s_waitcnt lgkmcnt(3)
	s_delay_alu instid0(VALU_DEP_1) | instskip(SKIP_1) | instid1(VALU_DEP_1)
	v_max3_f32 v67, v67, v91, v92
	s_waitcnt lgkmcnt(2)
	v_max3_f32 v67, v67, v93, v94
	s_waitcnt lgkmcnt(1)
	s_delay_alu instid0(VALU_DEP_1) | instskip(NEXT) | instid1(VALU_DEP_1)
	v_max3_f32 v67, v67, v95, v96
	v_sub_f32_e32 v93, v93, v67
	s_delay_alu instid0(VALU_DEP_1) | instskip(NEXT) | instid1(VALU_DEP_1)
	v_dual_sub_f32 v68, v89, v67 :: v_dual_mul_f32 v103, 0x3fb8aa3b, v93
	v_mul_f32_e32 v68, 0x3fb8aa3b, v68
	s_delay_alu instid0(VALU_DEP_1)
	v_exp_f32_e32 v100, v68
	v_sub_f32_e32 v68, v92, v67
	v_sub_f32_e32 v99, v90, v67
	ds_load_2addr_b32 v[89:90], v82 offset0:170 offset1:187
	v_dual_mul_f32 v102, 0x3fb8aa3b, v68 :: v_dual_mul_f32 v99, 0x3fb8aa3b, v99
	s_waitcnt lgkmcnt(1)
	v_fma_f32 v68, v100, v97, 0
	s_delay_alu instid0(VALU_DEP_2) | instskip(NEXT) | instid1(VALU_DEP_2)
	v_exp_f32_e32 v102, v102
	v_exp_f32_e32 v99, v99
	s_waitcnt_depctr 0xfff
	v_fmac_f32_e32 v68, v99, v98
	v_sub_f32_e32 v91, v91, v67
	s_delay_alu instid0(VALU_DEP_1)
	v_mul_f32_e32 v101, 0x3fb8aa3b, v91
	ds_load_2addr_b32 v[91:92], v82 offset0:204 offset1:221
	v_sub_f32_e32 v97, v94, v67
	ds_load_2addr_b32 v[93:94], v82 offset0:238 offset1:255
	s_waitcnt lgkmcnt(0)
	v_exp_f32_e32 v101, v101
	s_barrier
	buffer_gl0_inv
	v_dual_fmac_f32 v68, v101, v89 :: v_dual_sub_f32 v89, v96, v67
	v_dual_sub_f32 v82, v95, v67 :: v_dual_mul_f32 v95, 0x3fb8aa3b, v97
	v_exp_f32_e32 v97, v103
	s_delay_alu instid0(VALU_DEP_2) | instskip(NEXT) | instid1(VALU_DEP_2)
	v_dual_fmac_f32 v68, v102, v90 :: v_dual_mul_f32 v89, 0x3fb8aa3b, v89
	v_mul_f32_e32 v82, 0x3fb8aa3b, v82
	s_delay_alu instid0(VALU_DEP_3) | instskip(NEXT) | instid1(VALU_DEP_2)
	v_exp_f32_e32 v95, v95
	v_exp_f32_e32 v89, v89
	s_delay_alu instid0(VALU_DEP_1)
	v_exp_f32_e32 v82, v82
	v_fmac_f32_e32 v68, v97, v91
	s_delay_alu instid0(TRANS32_DEP_3) | instid1(VALU_DEP_1)
	v_fmac_f32_e32 v68, v95, v92
	s_waitcnt_depctr 0xfff
	v_fmac_f32_e32 v68, v82, v93
	s_delay_alu instid0(VALU_DEP_1) | instskip(NEXT) | instid1(VALU_DEP_1)
	v_fmac_f32_e32 v68, v89, v94
	v_add_f32_e32 v90, 0x358637bd, v68
	s_delay_alu instid0(VALU_DEP_1) | instskip(NEXT) | instid1(VALU_DEP_1)
	v_div_scale_f32 v91, null, v90, v90, 1.0
	v_rcp_f32_e32 v92, v91
	s_waitcnt_depctr 0xfff
	v_fma_f32 v93, -v91, v92, 1.0
	s_delay_alu instid0(VALU_DEP_1) | instskip(SKIP_1) | instid1(VALU_DEP_2)
	v_dual_fmac_f32 v92, v93, v92 :: v_dual_cndmask_b32 v93, v100, v99
	v_cmp_eq_u32_e32 vcc_lo, 3, v66
	v_cndmask_b32_e64 v93, v93, v101, s2
	v_cmp_eq_u32_e64 s2, 4, v66
	s_delay_alu instid0(VALU_DEP_2) | instskip(SKIP_1) | instid1(VALU_DEP_2)
	v_cndmask_b32_e32 v93, v93, v102, vcc_lo
	v_cmp_eq_u32_e32 vcc_lo, 5, v66
	v_cndmask_b32_e64 v93, v93, v97, s2
	v_cmp_eq_u32_e64 s2, 6, v66
	s_delay_alu instid0(VALU_DEP_2) | instskip(SKIP_1) | instid1(VALU_DEP_1)
	v_cndmask_b32_e32 v93, v93, v95, vcc_lo
	v_div_scale_f32 v94, s3, 1.0, v90, 1.0
	s_mov_b32 vcc_lo, s3
	s_delay_alu instid0(VALU_DEP_2) | instskip(NEXT) | instid1(VALU_DEP_2)
	v_cndmask_b32_e64 v82, v93, v82, s2
	v_mul_f32_e32 v96, v94, v92
	s_mov_b32 s2, exec_lo
	s_delay_alu instid0(VALU_DEP_2) | instskip(NEXT) | instid1(VALU_DEP_2)
	v_cndmask_b32_e64 v82, v82, v89, s4
	v_fma_f32 v98, -v91, v96, v94
	s_delay_alu instid0(VALU_DEP_1) | instskip(NEXT) | instid1(VALU_DEP_1)
	v_fmac_f32_e32 v96, v98, v92
	v_fma_f32 v91, -v91, v96, v94
	s_delay_alu instid0(VALU_DEP_1) | instskip(NEXT) | instid1(VALU_DEP_1)
	v_div_fmas_f32 v91, v91, v92, v96
	v_div_fixup_f32 v90, v91, v90, 1.0
	s_delay_alu instid0(VALU_DEP_1) | instskip(NEXT) | instid1(VALU_DEP_1)
	v_mul_f32_e32 v82, v82, v90
	v_mul_f32_e32 v87, v82, v87
	;; [unrolled: 1-line block ×7, first 2 shown]
	v_dual_mul_f32 v86, v82, v83 :: v_dual_and_b32 v91, 0x7f800000, v90
	v_mul_f32_e32 v85, v82, v76
                                        ; implicit-def: $vgpr76
	s_delay_alu instid0(VALU_DEP_2)
	v_cmpx_ne_u32_e32 0x7f800000, v91
	s_xor_b32 s2, exec_lo, s2
; %bb.13:
	v_bfe_u32 v76, v90, 16, 1
	s_delay_alu instid0(VALU_DEP_1)
	v_add3_u32 v76, v90, v76, 0x7fff
                                        ; implicit-def: $vgpr90
; %bb.14:
	s_and_not1_saveexec_b32 s2, s2
; %bb.15:
	v_and_b32_e32 v76, 0xffff, v90
	v_or_b32_e32 v83, 0x10000, v90
	s_delay_alu instid0(VALU_DEP_2) | instskip(NEXT) | instid1(VALU_DEP_2)
	v_cmp_eq_u32_e32 vcc_lo, 0, v76
	v_cndmask_b32_e32 v76, v83, v90, vcc_lo
; %bb.16:
	s_or_b32 exec_lo, exec_lo, s2
	v_and_b32_e32 v83, 0x7f800000, v85
	s_delay_alu instid0(VALU_DEP_1) | instskip(SKIP_1) | instid1(SALU_CYCLE_1)
	v_cmp_ne_u32_e32 vcc_lo, 0x7f800000, v83
                                        ; implicit-def: $vgpr83
	s_and_saveexec_b32 s2, vcc_lo
	s_xor_b32 s2, exec_lo, s2
; %bb.17:
	v_bfe_u32 v83, v85, 16, 1
	s_delay_alu instid0(VALU_DEP_1)
	v_add3_u32 v83, v85, v83, 0x7fff
                                        ; implicit-def: $vgpr85
; %bb.18:
	s_and_not1_saveexec_b32 s2, s2
; %bb.19:
	v_and_b32_e32 v83, 0xffff, v85
	v_or_b32_e32 v90, 0x10000, v85
	s_delay_alu instid0(VALU_DEP_2) | instskip(NEXT) | instid1(VALU_DEP_2)
	v_cmp_eq_u32_e32 vcc_lo, 0, v83
	v_cndmask_b32_e32 v83, v90, v85, vcc_lo
; %bb.20:
	s_or_b32 exec_lo, exec_lo, s2
	v_and_b32_e32 v85, 0x7f800000, v86
	s_delay_alu instid0(VALU_DEP_1) | instskip(SKIP_1) | instid1(SALU_CYCLE_1)
	v_cmp_ne_u32_e32 vcc_lo, 0x7f800000, v85
                                        ; implicit-def: $vgpr85
	s_and_saveexec_b32 s2, vcc_lo
	s_xor_b32 s2, exec_lo, s2
; %bb.21:
	v_bfe_u32 v85, v86, 16, 1
	s_delay_alu instid0(VALU_DEP_1)
	v_add3_u32 v85, v86, v85, 0x7fff
                                        ; implicit-def: $vgpr86
; %bb.22:
	s_and_not1_saveexec_b32 s2, s2
; %bb.23:
	v_and_b32_e32 v85, 0xffff, v86
	v_or_b32_e32 v90, 0x10000, v86
	s_delay_alu instid0(VALU_DEP_2) | instskip(NEXT) | instid1(VALU_DEP_2)
	v_cmp_eq_u32_e32 vcc_lo, 0, v85
	v_cndmask_b32_e32 v85, v90, v86, vcc_lo
; %bb.24:
	s_or_b32 exec_lo, exec_lo, s2
	v_and_b32_e32 v86, 0x7f800000, v89
	s_delay_alu instid0(VALU_DEP_1) | instskip(SKIP_1) | instid1(SALU_CYCLE_1)
	v_cmp_ne_u32_e32 vcc_lo, 0x7f800000, v86
                                        ; implicit-def: $vgpr86
	s_and_saveexec_b32 s2, vcc_lo
	s_xor_b32 s2, exec_lo, s2
; %bb.25:
	v_bfe_u32 v86, v89, 16, 1
	s_delay_alu instid0(VALU_DEP_1)
	v_add3_u32 v86, v89, v86, 0x7fff
                                        ; implicit-def: $vgpr89
; %bb.26:
	s_and_not1_saveexec_b32 s2, s2
; %bb.27:
	v_and_b32_e32 v86, 0xffff, v89
	v_or_b32_e32 v90, 0x10000, v89
	s_delay_alu instid0(VALU_DEP_2) | instskip(NEXT) | instid1(VALU_DEP_2)
	v_cmp_eq_u32_e32 vcc_lo, 0, v86
	v_cndmask_b32_e32 v86, v90, v89, vcc_lo
; %bb.28:
	s_or_b32 exec_lo, exec_lo, s2
	v_and_b32_e32 v89, 0x7f800000, v88
	s_delay_alu instid0(VALU_DEP_1) | instskip(SKIP_1) | instid1(SALU_CYCLE_1)
	v_cmp_ne_u32_e32 vcc_lo, 0x7f800000, v89
                                        ; implicit-def: $vgpr89
	s_and_saveexec_b32 s2, vcc_lo
	s_xor_b32 s2, exec_lo, s2
; %bb.29:
	v_bfe_u32 v89, v88, 16, 1
	s_delay_alu instid0(VALU_DEP_1)
	v_add3_u32 v89, v88, v89, 0x7fff
                                        ; implicit-def: $vgpr88
; %bb.30:
	s_and_not1_saveexec_b32 s2, s2
; %bb.31:
	v_and_b32_e32 v89, 0xffff, v88
	v_or_b32_e32 v90, 0x10000, v88
	s_delay_alu instid0(VALU_DEP_2) | instskip(NEXT) | instid1(VALU_DEP_2)
	v_cmp_eq_u32_e32 vcc_lo, 0, v89
	v_cndmask_b32_e32 v89, v90, v88, vcc_lo
; %bb.32:
	s_or_b32 exec_lo, exec_lo, s2
	v_and_b32_e32 v88, 0x7f800000, v87
	s_delay_alu instid0(VALU_DEP_1) | instskip(SKIP_1) | instid1(SALU_CYCLE_1)
	v_cmp_ne_u32_e32 vcc_lo, 0x7f800000, v88
                                        ; implicit-def: $vgpr88
	s_and_saveexec_b32 s2, vcc_lo
	s_xor_b32 s2, exec_lo, s2
; %bb.33:
	v_bfe_u32 v88, v87, 16, 1
	s_delay_alu instid0(VALU_DEP_1)
	v_add3_u32 v88, v87, v88, 0x7fff
                                        ; implicit-def: $vgpr87
; %bb.34:
	s_and_not1_saveexec_b32 s2, s2
; %bb.35:
	v_and_b32_e32 v88, 0xffff, v87
	v_or_b32_e32 v90, 0x10000, v87
	s_delay_alu instid0(VALU_DEP_2) | instskip(NEXT) | instid1(VALU_DEP_2)
	v_cmp_eq_u32_e32 vcc_lo, 0, v88
	v_cndmask_b32_e32 v88, v90, v87, vcc_lo
; %bb.36:
	s_or_b32 exec_lo, exec_lo, s2
	v_and_b32_e32 v87, 0x7f800000, v84
	s_delay_alu instid0(VALU_DEP_1) | instskip(SKIP_1) | instid1(SALU_CYCLE_1)
	v_cmp_ne_u32_e32 vcc_lo, 0x7f800000, v87
                                        ; implicit-def: $vgpr87
	s_and_saveexec_b32 s2, vcc_lo
	s_xor_b32 s2, exec_lo, s2
; %bb.37:
	v_bfe_u32 v87, v84, 16, 1
	s_delay_alu instid0(VALU_DEP_1)
	v_add3_u32 v87, v84, v87, 0x7fff
                                        ; implicit-def: $vgpr84
; %bb.38:
	s_and_not1_saveexec_b32 s2, s2
; %bb.39:
	v_and_b32_e32 v87, 0xffff, v84
	v_or_b32_e32 v90, 0x10000, v84
	s_delay_alu instid0(VALU_DEP_2) | instskip(NEXT) | instid1(VALU_DEP_2)
	v_cmp_eq_u32_e32 vcc_lo, 0, v87
	v_cndmask_b32_e32 v87, v90, v84, vcc_lo
; %bb.40:
	s_or_b32 exec_lo, exec_lo, s2
	v_and_b32_e32 v84, 0x7f800000, v80
	s_delay_alu instid0(VALU_DEP_1) | instskip(SKIP_1) | instid1(SALU_CYCLE_1)
	v_cmp_ne_u32_e32 vcc_lo, 0x7f800000, v84
                                        ; implicit-def: $vgpr84
	s_and_saveexec_b32 s2, vcc_lo
	s_xor_b32 s2, exec_lo, s2
; %bb.41:
	v_bfe_u32 v84, v80, 16, 1
	s_delay_alu instid0(VALU_DEP_1)
	v_add3_u32 v84, v80, v84, 0x7fff
                                        ; implicit-def: $vgpr80
; %bb.42:
	s_and_not1_saveexec_b32 s2, s2
; %bb.43:
	v_and_b32_e32 v84, 0xffff, v80
	v_or_b32_e32 v90, 0x10000, v80
	s_delay_alu instid0(VALU_DEP_2) | instskip(NEXT) | instid1(VALU_DEP_2)
	v_cmp_eq_u32_e32 vcc_lo, 0, v84
	v_cndmask_b32_e32 v84, v90, v80, vcc_lo
; %bb.44:
	s_or_b32 exec_lo, exec_lo, s2
	s_load_b64 s[34:35], s[0:1], 0x94
	v_lshlrev_b32_e32 v91, 4, v74
	s_delay_alu instid0(VALU_DEP_2)
	v_perm_b32 v90, v84, v87, 0x7060302
	v_dual_mul_f32 v79, v82, v79 :: v_dual_lshlrev_b32 v80, 6, v65
	v_dual_mul_f32 v77, v82, v77 :: v_dual_lshlrev_b32 v92, 11, v66
	v_mul_f32_e32 v84, v82, v70
	v_perm_b32 v89, v88, v89, 0x7060302
	v_perm_b32 v88, v86, v85, 0x7060302
	;; [unrolled: 1-line block ×3, first 2 shown]
	v_mul_f32_e32 v70, v82, v81
	v_or3_b32 v76, v91, v92, v80
	v_dual_mul_f32 v78, v82, v78 :: v_dual_and_b32 v85, 0x7f800000, v84
	v_mul_f32_e32 v83, v82, v72
	v_mul_f32_e32 v81, v82, v71
	;; [unrolled: 1-line block ×3, first 2 shown]
	s_mov_b32 s2, exec_lo
	ds_store_b128 v76, v[87:90]
                                        ; implicit-def: $vgpr69
	v_cmpx_ne_u32_e32 0x7f800000, v85
	s_xor_b32 s2, exec_lo, s2
; %bb.45:
	v_bfe_u32 v69, v84, 16, 1
	s_delay_alu instid0(VALU_DEP_1)
	v_add3_u32 v69, v84, v69, 0x7fff
                                        ; implicit-def: $vgpr84
; %bb.46:
	s_and_not1_saveexec_b32 s2, s2
; %bb.47:
	v_and_b32_e32 v69, 0xffff, v84
	v_or_b32_e32 v71, 0x10000, v84
	s_delay_alu instid0(VALU_DEP_2) | instskip(NEXT) | instid1(VALU_DEP_2)
	v_cmp_eq_u32_e32 vcc_lo, 0, v69
	v_cndmask_b32_e32 v69, v71, v84, vcc_lo
; %bb.48:
	s_or_b32 exec_lo, exec_lo, s2
	v_and_b32_e32 v71, 0x7f800000, v72
	s_delay_alu instid0(VALU_DEP_1) | instskip(SKIP_1) | instid1(SALU_CYCLE_1)
	v_cmp_ne_u32_e32 vcc_lo, 0x7f800000, v71
                                        ; implicit-def: $vgpr71
	s_and_saveexec_b32 s2, vcc_lo
	s_xor_b32 s2, exec_lo, s2
; %bb.49:
	v_bfe_u32 v71, v72, 16, 1
	s_delay_alu instid0(VALU_DEP_1)
	v_add3_u32 v71, v72, v71, 0x7fff
                                        ; implicit-def: $vgpr72
; %bb.50:
	s_and_not1_saveexec_b32 s2, s2
; %bb.51:
	v_and_b32_e32 v71, 0xffff, v72
	v_or_b32_e32 v82, 0x10000, v72
	s_delay_alu instid0(VALU_DEP_2) | instskip(NEXT) | instid1(VALU_DEP_2)
	v_cmp_eq_u32_e32 vcc_lo, 0, v71
	v_cndmask_b32_e32 v71, v82, v72, vcc_lo
; %bb.52:
	s_or_b32 exec_lo, exec_lo, s2
	v_and_b32_e32 v72, 0x7f800000, v81
	s_delay_alu instid0(VALU_DEP_1) | instskip(SKIP_1) | instid1(SALU_CYCLE_1)
	v_cmp_ne_u32_e32 vcc_lo, 0x7f800000, v72
                                        ; implicit-def: $vgpr72
	s_and_saveexec_b32 s2, vcc_lo
	s_xor_b32 s2, exec_lo, s2
; %bb.53:
	v_bfe_u32 v72, v81, 16, 1
	s_delay_alu instid0(VALU_DEP_1)
	v_add3_u32 v72, v81, v72, 0x7fff
                                        ; implicit-def: $vgpr81
; %bb.54:
	s_and_not1_saveexec_b32 s2, s2
; %bb.55:
	v_and_b32_e32 v72, 0xffff, v81
	v_or_b32_e32 v82, 0x10000, v81
	s_delay_alu instid0(VALU_DEP_2) | instskip(NEXT) | instid1(VALU_DEP_2)
	v_cmp_eq_u32_e32 vcc_lo, 0, v72
	v_cndmask_b32_e32 v72, v82, v81, vcc_lo
; %bb.56:
	s_or_b32 exec_lo, exec_lo, s2
	v_and_b32_e32 v81, 0x7f800000, v83
	s_delay_alu instid0(VALU_DEP_1) | instskip(SKIP_1) | instid1(SALU_CYCLE_1)
	v_cmp_ne_u32_e32 vcc_lo, 0x7f800000, v81
                                        ; implicit-def: $vgpr81
	s_and_saveexec_b32 s2, vcc_lo
	s_xor_b32 s2, exec_lo, s2
; %bb.57:
	v_bfe_u32 v81, v83, 16, 1
	s_delay_alu instid0(VALU_DEP_1)
	v_add3_u32 v81, v83, v81, 0x7fff
                                        ; implicit-def: $vgpr83
; %bb.58:
	s_and_not1_saveexec_b32 s2, s2
; %bb.59:
	v_and_b32_e32 v81, 0xffff, v83
	v_or_b32_e32 v82, 0x10000, v83
	s_delay_alu instid0(VALU_DEP_2) | instskip(NEXT) | instid1(VALU_DEP_2)
	v_cmp_eq_u32_e32 vcc_lo, 0, v81
	v_cndmask_b32_e32 v81, v82, v83, vcc_lo
; %bb.60:
	s_or_b32 exec_lo, exec_lo, s2
	v_and_b32_e32 v82, 0x7f800000, v77
	s_delay_alu instid0(VALU_DEP_1) | instskip(SKIP_1) | instid1(SALU_CYCLE_1)
	v_cmp_ne_u32_e32 vcc_lo, 0x7f800000, v82
                                        ; implicit-def: $vgpr82
	s_and_saveexec_b32 s2, vcc_lo
	s_xor_b32 s2, exec_lo, s2
; %bb.61:
	v_bfe_u32 v82, v77, 16, 1
	s_delay_alu instid0(VALU_DEP_1)
	v_add3_u32 v82, v77, v82, 0x7fff
                                        ; implicit-def: $vgpr77
; %bb.62:
	s_and_not1_saveexec_b32 s2, s2
; %bb.63:
	v_and_b32_e32 v82, 0xffff, v77
	v_or_b32_e32 v83, 0x10000, v77
	s_delay_alu instid0(VALU_DEP_2) | instskip(NEXT) | instid1(VALU_DEP_2)
	v_cmp_eq_u32_e32 vcc_lo, 0, v82
	v_cndmask_b32_e32 v82, v83, v77, vcc_lo
; %bb.64:
	s_or_b32 exec_lo, exec_lo, s2
	v_and_b32_e32 v77, 0x7f800000, v78
	s_delay_alu instid0(VALU_DEP_1) | instskip(SKIP_1) | instid1(SALU_CYCLE_1)
	v_cmp_ne_u32_e32 vcc_lo, 0x7f800000, v77
                                        ; implicit-def: $vgpr77
	s_and_saveexec_b32 s2, vcc_lo
	s_xor_b32 s2, exec_lo, s2
; %bb.65:
	v_bfe_u32 v77, v78, 16, 1
	s_delay_alu instid0(VALU_DEP_1)
	v_add3_u32 v77, v78, v77, 0x7fff
                                        ; implicit-def: $vgpr78
; %bb.66:
	s_and_not1_saveexec_b32 s2, s2
; %bb.67:
	v_and_b32_e32 v77, 0xffff, v78
	v_or_b32_e32 v83, 0x10000, v78
	s_delay_alu instid0(VALU_DEP_2) | instskip(NEXT) | instid1(VALU_DEP_2)
	v_cmp_eq_u32_e32 vcc_lo, 0, v77
	v_cndmask_b32_e32 v77, v83, v78, vcc_lo
; %bb.68:
	s_or_b32 exec_lo, exec_lo, s2
	v_and_b32_e32 v78, 0x7f800000, v79
	s_delay_alu instid0(VALU_DEP_1) | instskip(SKIP_1) | instid1(SALU_CYCLE_1)
	v_cmp_ne_u32_e32 vcc_lo, 0x7f800000, v78
                                        ; implicit-def: $vgpr78
	s_and_saveexec_b32 s2, vcc_lo
	s_xor_b32 s2, exec_lo, s2
; %bb.69:
	v_bfe_u32 v78, v79, 16, 1
	s_delay_alu instid0(VALU_DEP_1)
	v_add3_u32 v78, v79, v78, 0x7fff
                                        ; implicit-def: $vgpr79
; %bb.70:
	s_and_not1_saveexec_b32 s2, s2
; %bb.71:
	v_and_b32_e32 v78, 0xffff, v79
	v_or_b32_e32 v83, 0x10000, v79
	s_delay_alu instid0(VALU_DEP_2) | instskip(NEXT) | instid1(VALU_DEP_2)
	v_cmp_eq_u32_e32 vcc_lo, 0, v78
	v_cndmask_b32_e32 v78, v83, v79, vcc_lo
; %bb.72:
	s_or_b32 exec_lo, exec_lo, s2
	v_and_b32_e32 v79, 0x7f800000, v70
	s_delay_alu instid0(VALU_DEP_1) | instskip(SKIP_1) | instid1(SALU_CYCLE_1)
	v_cmp_ne_u32_e32 vcc_lo, 0x7f800000, v79
                                        ; implicit-def: $vgpr79
	s_and_saveexec_b32 s2, vcc_lo
	s_xor_b32 s2, exec_lo, s2
; %bb.73:
	v_bfe_u32 v79, v70, 16, 1
	s_delay_alu instid0(VALU_DEP_1)
	v_add3_u32 v79, v70, v79, 0x7fff
                                        ; implicit-def: $vgpr70
; %bb.74:
	s_and_not1_saveexec_b32 s2, s2
; %bb.75:
	v_and_b32_e32 v79, 0xffff, v70
	v_or_b32_e32 v83, 0x10000, v70
	s_delay_alu instid0(VALU_DEP_2) | instskip(NEXT) | instid1(VALU_DEP_2)
	v_cmp_eq_u32_e32 vcc_lo, 0, v79
	v_cndmask_b32_e32 v79, v83, v70, vcc_lo
; %bb.76:
	s_or_b32 exec_lo, exec_lo, s2
	s_delay_alu instid0(VALU_DEP_1)
	v_perm_b32 v86, v79, v78, 0x7060302
	v_perm_b32 v85, v77, v82, 0x7060302
	;; [unrolled: 1-line block ×4, first 2 shown]
	v_lshl_or_b32 v82, v66, 11, v80
	ds_store_b128 v76, v[83:86] offset:1024
	s_waitcnt lgkmcnt(0)
	s_barrier
	buffer_gl0_inv
	ds_load_b128 v[69:72], v82
	ds_load_b128 v[83:86], v82 offset:16
	s_waitcnt lgkmcnt(1)
	v_lshrrev_b32_e32 v66, 16, v69
	s_waitcnt lgkmcnt(0)
	v_lshrrev_b32_e32 v91, 16, v83
	v_lshlrev_b32_e32 v78, 2, v74
	v_lshrrev_b32_e32 v95, 16, v70
	v_lshrrev_b32_e32 v98, 16, v84
	;; [unrolled: 1-line block ×4, first 2 shown]
	v_cmp_eq_u32_e32 vcc_lo, 1, v78
	v_lshrrev_b32_e32 v97, 16, v72
	v_lshrrev_b32_e32 v100, 16, v86
	v_cndmask_b32_e32 v87, v83, v91, vcc_lo
	v_or_b32_e32 v79, 1, v78
	v_cndmask_b32_e32 v81, v69, v66, vcc_lo
	v_cmp_eq_u32_e64 s3, 2, v78
	v_cmp_eq_u32_e64 s6, 3, v78
	;; [unrolled: 1-line block ×5, first 2 shown]
	v_cndmask_b32_e64 v81, v81, v70, s3
	v_cndmask_b32_e64 v87, v87, v84, s3
	v_cmp_eq_u32_e64 s7, 3, v79
	v_cndmask_b32_e64 v88, v69, v66, s2
	v_or_b32_e32 v77, 2, v78
	v_cndmask_b32_e64 v81, v81, v95, s6
	v_cndmask_b32_e64 v87, v87, v98, s6
	;; [unrolled: 1-line block ×4, first 2 shown]
	v_cmp_eq_u32_e64 s9, 5, v78
	v_cndmask_b32_e64 v81, v81, v71, s8
	v_cndmask_b32_e64 v87, v87, v85, s8
	v_cmp_eq_u32_e64 s10, 4, v79
	v_cndmask_b32_e64 v88, v88, v95, s7
	v_cmp_eq_u32_e64 s4, 1, v77
	v_cndmask_b32_e64 v89, v89, v84, s5
	v_cndmask_b32_e64 v81, v81, v96, s9
	v_cmp_eq_u32_e64 s11, 6, v78
	v_cndmask_b32_e64 v88, v88, v71, s10
	;; [unrolled: 3-line block ×3, first 2 shown]
	v_cndmask_b32_e64 v89, v89, v98, s7
	v_cndmask_b32_e64 v81, v81, v72, s11
	v_cmp_eq_u32_e64 s13, 7, v78
	v_cndmask_b32_e64 v88, v88, v96, s12
	v_cndmask_b32_e64 v87, v87, v86, s11
	v_cmp_eq_u32_e64 s15, 6, v79
	v_cmp_eq_u32_e64 s16, 2, v77
	v_cndmask_b32_e64 v89, v89, v85, s10
	v_cndmask_b32_e64 v101, v81, v97, s13
	;; [unrolled: 1-line block ×6, first 2 shown]
	v_cmp_eq_u32_e64 s17, 7, v79
	v_cmp_eq_u32_e64 s18, 3, v77
	;; [unrolled: 1-line block ×4, first 2 shown]
	v_cndmask_b32_e64 v87, v87, v84, s16
	v_cndmask_b32_e64 v103, v88, v97, s17
	;; [unrolled: 1-line block ×4, first 2 shown]
	v_or_b32_e32 v81, 3, v78
	v_cndmask_b32_e64 v93, v87, v98, s18
	v_cmp_eq_u32_e64 s23, 6, v77
	v_cndmask_b32_e64 v104, v88, v86, s15
	v_cndmask_b32_e64 v92, v89, v71, s19
	v_cmp_eq_u32_e64 s20, 1, v81
	ds_load_b128 v[87:90], v82 offset:1024
	v_cmp_eq_u32_e64 s22, 2, v81
	v_cmp_eq_u32_e64 s24, 3, v81
	v_cndmask_b32_e64 v105, v92, v96, s21
	v_cndmask_b32_e64 v66, v69, v66, s20
	;; [unrolled: 1-line block ×4, first 2 shown]
	ds_load_b128 v[91:94], v82 offset:1040
	v_cmp_eq_u32_e64 s25, 4, v81
	v_cndmask_b32_e64 v66, v66, v70, s22
	v_cmp_eq_u32_e64 s26, 7, v77
	v_cndmask_b32_e64 v70, v83, v84, s22
	v_cndmask_b32_e64 v84, v105, v72, s23
	v_cmp_eq_u32_e64 s27, 5, v81
	v_cndmask_b32_e64 v66, v66, v95, s24
	v_cmp_eq_u32_e64 s28, 6, v81
	v_cndmask_b32_e64 v70, v70, v98, s24
	v_cndmask_b32_e64 v69, v69, v99, s21
	v_cndmask_b32_e64 v83, v104, v100, s17
	v_cndmask_b32_e64 v66, v66, v71, s25
	s_waitcnt lgkmcnt(1)
	v_lshrrev_b32_e32 v95, 16, v87
	v_cndmask_b32_e64 v70, v70, v85, s25
	v_cndmask_b32_e64 v71, v84, v97, s26
	;; [unrolled: 1-line block ×4, first 2 shown]
	v_cndmask_b32_e32 v84, v87, v95, vcc_lo
	v_cndmask_b32_e64 v70, v70, v99, s27
	s_waitcnt lgkmcnt(0)
	v_lshrrev_b32_e32 v85, 16, v91
	v_lshrrev_b32_e32 v96, 16, v88
	v_cndmask_b32_e64 v98, v87, v95, s2
	v_cndmask_b32_e64 v84, v84, v88, s3
	;; [unrolled: 1-line block ×3, first 2 shown]
	v_cndmask_b32_e32 v99, v91, v85, vcc_lo
	v_cmp_eq_u32_e32 vcc_lo, 7, v81
	v_cndmask_b32_e64 v66, v66, v72, s28
	v_cndmask_b32_e64 v72, v84, v96, s6
	;; [unrolled: 1-line block ×3, first 2 shown]
	v_lshrrev_b32_e32 v98, 16, v92
	v_cndmask_b32_e32 v70, v70, v100, vcc_lo
	v_cndmask_b32_e64 v86, v99, v92, s3
	v_cndmask_b32_e64 v69, v69, v100, s26
	v_lshrrev_b32_e32 v100, 16, v93
	v_cndmask_b32_e64 v72, v72, v89, s8
	v_lshrrev_b32_e32 v99, 16, v89
	v_cndmask_b32_e64 v86, v86, v98, s6
	v_perm_b32 v71, v69, v71, 0x5040100
	v_cndmask_b32_e64 v84, v84, v96, s7
	s_delay_alu instid0(VALU_DEP_3) | instskip(NEXT) | instid1(VALU_DEP_2)
	v_cndmask_b32_e64 v86, v86, v93, s8
	v_cndmask_b32_e64 v84, v84, v89, s10
	s_delay_alu instid0(VALU_DEP_2) | instskip(NEXT) | instid1(VALU_DEP_1)
	v_cndmask_b32_e64 v86, v86, v100, s9
	v_cndmask_b32_e64 v69, v86, v94, s11
	;; [unrolled: 1-line block ×5, first 2 shown]
	s_delay_alu instid0(VALU_DEP_3) | instskip(NEXT) | instid1(VALU_DEP_3)
	v_cndmask_b32_e64 v86, v86, v88, s16
	v_cndmask_b32_e64 v87, v87, v88, s22
	s_delay_alu instid0(VALU_DEP_3) | instskip(NEXT) | instid1(VALU_DEP_3)
	v_cndmask_b32_e64 v88, v95, v92, s22
	v_cndmask_b32_e64 v86, v86, v96, s18
	;; [unrolled: 3-line block ×7, first 2 shown]
	s_delay_alu instid0(VALU_DEP_3) | instskip(SKIP_2) | instid1(VALU_DEP_2)
	v_cndmask_b32_e64 v88, v88, v94, s28
	v_cndmask_b32_e32 v66, v66, v97, vcc_lo
	v_cndmask_b32_e64 v97, v72, v99, s9
	v_perm_b32 v72, v70, v66, 0x5040100
	v_perm_b32 v70, v83, v103, 0x5040100
	v_cndmask_b32_e64 v103, v91, v85, s4
	v_cndmask_b32_e64 v85, v91, v85, s2
	;; [unrolled: 1-line block ×4, first 2 shown]
	v_lshrrev_b32_e32 v97, 16, v90
	v_cndmask_b32_e64 v91, v103, v92, s16
	v_cndmask_b32_e64 v85, v85, v92, s5
	;; [unrolled: 1-line block ×3, first 2 shown]
	s_mov_b32 s2, exec_lo
	v_cndmask_b32_e64 v83, v84, v97, s13
	v_cndmask_b32_e64 v91, v91, v98, s18
	;; [unrolled: 1-line block ×3, first 2 shown]
	v_lshrrev_b32_e32 v84, 16, v94
	v_cndmask_b32_e64 v66, v66, v97, s17
	v_cndmask_b32_e64 v90, v86, v97, s26
	;; [unrolled: 1-line block ×4, first 2 shown]
	v_dual_cndmask_b32 v86, v87, v97 :: v_dual_cndmask_b32 v87, v88, v84
	v_cndmask_b32_e64 v91, v69, v84, s13
	s_delay_alu instid0(VALU_DEP_4) | instskip(NEXT) | instid1(VALU_DEP_4)
	v_cndmask_b32_e64 v89, v89, v100, s21
	v_cndmask_b32_e64 v85, v85, v100, s12
	v_perm_b32 v69, v102, v101, 0x5040100
	v_perm_b32 v86, v87, v86, 0x5040100
	;; [unrolled: 1-line block ×3, first 2 shown]
	v_cndmask_b32_e64 v89, v89, v94, s23
	v_cndmask_b32_e64 v85, v85, v94, s15
	s_mul_i32 s7, s35, 6
	s_delay_alu instid0(VALU_DEP_2) | instskip(NEXT) | instid1(VALU_DEP_2)
	v_cndmask_b32_e64 v88, v89, v84, s26
	v_cndmask_b32_e64 v89, v85, v84, s17
	s_delay_alu instid0(VALU_DEP_2) | instskip(NEXT) | instid1(VALU_DEP_2)
	v_perm_b32 v85, v88, v90, 0x5040100
	v_perm_b32 v84, v89, v66, 0x5040100
	ds_store_b128 v76, v[69:72]
	ds_store_b128 v76, v[83:86] offset:1024
	v_cmpx_gt_u32_e32 6, v0
	s_cbranch_execz .LBB1651_78
; %bb.77:
	s_mul_i32 s3, s7, s30
	s_load_b128 s[8:11], s[0:1], 0x58
	v_add3_u32 v69, s3, s29, v65
	s_delay_alu instid0(VALU_DEP_1) | instskip(NEXT) | instid1(VALU_DEP_1)
	v_mad_u64_u32 v[65:66], null, v69, s34, s[14:15]
	v_ashrrev_i32_e32 v66, 31, v65
	s_delay_alu instid0(VALU_DEP_1) | instskip(SKIP_1) | instid1(VALU_DEP_1)
	v_lshlrev_b64 v[65:66], 2, v[65:66]
	s_waitcnt lgkmcnt(0)
	v_add_co_u32 v69, vcc_lo, s10, v65
	s_delay_alu instid0(VALU_DEP_2)
	v_add_co_ci_u32_e32 v70, vcc_lo, s11, v66, vcc_lo
	v_add_co_u32 v65, vcc_lo, s8, v65
	v_add_co_ci_u32_e32 v66, vcc_lo, s9, v66, vcc_lo
	global_store_b32 v[69:70], v67, off
	global_store_b32 v[65:66], v68, off
.LBB1651_78:
	s_or_b32 exec_lo, exec_lo, s2
	s_waitcnt lgkmcnt(0)
	s_waitcnt_vscnt null, 0x0
	s_barrier
	buffer_gl0_inv
	ds_load_b128 v[83:86], v80
	ds_load_b128 v[87:90], v80 offset:16
	ds_load_b128 v[95:98], v80 offset:2064
	;; [unrolled: 1-line block ×3, first 2 shown]
	v_mov_b32_e32 v65, 0
	ds_load_b128 v[103:106], v80 offset:4112
	ds_load_b128 v[99:102], v80 offset:4096
	;; [unrolled: 1-line block ×4, first 2 shown]
	v_mov_b32_e32 v66, v65
	v_mov_b32_e32 v67, v65
	v_mov_b32_e32 v68, v65
	v_mov_b32_e32 v69, v65
	v_mov_b32_e32 v70, v65
	v_mov_b32_e32 v71, v65
	v_mov_b32_e32 v72, v65
	s_waitcnt lgkmcnt(6)
	s_delay_alu instid0(VALU_DEP_1)
	v_wmma_f32_16x16x16_bf16 v[65:72], v[41:48], v[83:90], v[65:72]
	ds_load_b128 v[45:48], v80 offset:8208
	ds_load_b128 v[41:44], v80 offset:8192
	s_waitcnt lgkmcnt(6)
	v_wmma_f32_16x16x16_bf16 v[65:72], v[33:40], v[91:98], v[65:72]
	ds_load_b128 v[37:40], v80 offset:10256
	ds_load_b128 v[33:36], v80 offset:10240
	s_waitcnt lgkmcnt(6)
	;; [unrolled: 4-line block ×4, first 2 shown]
	v_wmma_f32_16x16x16_bf16 v[65:72], v[1:8], v[41:48], v[65:72]
	s_waitcnt lgkmcnt(4)
	s_delay_alu instid0(VALU_DEP_1) | instskip(SKIP_1) | instid1(VALU_DEP_1)
	v_wmma_f32_16x16x16_bf16 v[65:72], v[9:16], v[33:40], v[65:72]
	s_waitcnt lgkmcnt(2)
	v_wmma_f32_16x16x16_bf16 v[65:72], v[57:64], v[25:32], v[65:72]
	s_waitcnt lgkmcnt(0)
	s_delay_alu instid0(VALU_DEP_1) | instskip(NEXT) | instid1(VALU_DEP_1)
	v_wmma_f32_16x16x16_bf16 v[65:72], v[49:56], v[17:24], v[65:72]
	v_and_b32_e32 v1, 0x7f800000, v65
	s_delay_alu instid0(VALU_DEP_1) | instskip(SKIP_1) | instid1(SALU_CYCLE_1)
	v_cmp_ne_u32_e32 vcc_lo, 0x7f800000, v1
                                        ; implicit-def: $vgpr1
	s_and_saveexec_b32 s2, vcc_lo
	s_xor_b32 s2, exec_lo, s2
; %bb.79:
	v_bfe_u32 v1, v65, 16, 1
	s_delay_alu instid0(VALU_DEP_1)
	v_add3_u32 v1, v65, v1, 0x7fff
; %bb.80:
	s_and_not1_saveexec_b32 s2, s2
; %bb.81:
	v_and_b32_e32 v1, 0xffff, v65
	v_or_b32_e32 v2, 0x10000, v65
	s_delay_alu instid0(VALU_DEP_2) | instskip(NEXT) | instid1(VALU_DEP_2)
	v_cmp_eq_u32_e32 vcc_lo, 0, v1
	v_cndmask_b32_e32 v1, v2, v65, vcc_lo
; %bb.82:
	s_or_b32 exec_lo, exec_lo, s2
	v_and_b32_e32 v2, 0x7f800000, v66
	s_delay_alu instid0(VALU_DEP_1) | instskip(SKIP_1) | instid1(SALU_CYCLE_1)
	v_cmp_ne_u32_e32 vcc_lo, 0x7f800000, v2
                                        ; implicit-def: $vgpr2
	s_and_saveexec_b32 s2, vcc_lo
	s_xor_b32 s2, exec_lo, s2
; %bb.83:
	v_bfe_u32 v2, v66, 16, 1
	s_delay_alu instid0(VALU_DEP_1)
	v_add3_u32 v2, v66, v2, 0x7fff
; %bb.84:
	s_and_not1_saveexec_b32 s2, s2
; %bb.85:
	v_and_b32_e32 v2, 0xffff, v66
	v_or_b32_e32 v3, 0x10000, v66
	s_delay_alu instid0(VALU_DEP_2) | instskip(NEXT) | instid1(VALU_DEP_2)
	v_cmp_eq_u32_e32 vcc_lo, 0, v2
	v_cndmask_b32_e32 v2, v3, v66, vcc_lo
; %bb.86:
	s_or_b32 exec_lo, exec_lo, s2
	v_and_b32_e32 v3, 0x7f800000, v67
	s_delay_alu instid0(VALU_DEP_1) | instskip(SKIP_1) | instid1(SALU_CYCLE_1)
	v_cmp_ne_u32_e32 vcc_lo, 0x7f800000, v3
                                        ; implicit-def: $vgpr3
	s_and_saveexec_b32 s2, vcc_lo
	s_xor_b32 s2, exec_lo, s2
; %bb.87:
	v_bfe_u32 v3, v67, 16, 1
	s_delay_alu instid0(VALU_DEP_1)
	v_add3_u32 v3, v67, v3, 0x7fff
; %bb.88:
	s_and_not1_saveexec_b32 s2, s2
; %bb.89:
	v_and_b32_e32 v3, 0xffff, v67
	v_or_b32_e32 v4, 0x10000, v67
	s_delay_alu instid0(VALU_DEP_2) | instskip(NEXT) | instid1(VALU_DEP_2)
	v_cmp_eq_u32_e32 vcc_lo, 0, v3
	v_cndmask_b32_e32 v3, v4, v67, vcc_lo
; %bb.90:
	s_or_b32 exec_lo, exec_lo, s2
	v_and_b32_e32 v4, 0x7f800000, v68
	s_delay_alu instid0(VALU_DEP_1) | instskip(SKIP_1) | instid1(SALU_CYCLE_1)
	v_cmp_ne_u32_e32 vcc_lo, 0x7f800000, v4
                                        ; implicit-def: $vgpr4
	s_and_saveexec_b32 s2, vcc_lo
	s_xor_b32 s2, exec_lo, s2
; %bb.91:
	v_bfe_u32 v4, v68, 16, 1
	s_delay_alu instid0(VALU_DEP_1)
	v_add3_u32 v4, v68, v4, 0x7fff
; %bb.92:
	s_and_not1_saveexec_b32 s2, s2
; %bb.93:
	v_and_b32_e32 v4, 0xffff, v68
	v_or_b32_e32 v5, 0x10000, v68
	s_delay_alu instid0(VALU_DEP_2) | instskip(NEXT) | instid1(VALU_DEP_2)
	v_cmp_eq_u32_e32 vcc_lo, 0, v4
	v_cndmask_b32_e32 v4, v5, v68, vcc_lo
; %bb.94:
	s_or_b32 exec_lo, exec_lo, s2
	v_and_b32_e32 v5, 0x7f800000, v69
	s_delay_alu instid0(VALU_DEP_1) | instskip(SKIP_1) | instid1(SALU_CYCLE_1)
	v_cmp_ne_u32_e32 vcc_lo, 0x7f800000, v5
                                        ; implicit-def: $vgpr5
	s_and_saveexec_b32 s2, vcc_lo
	s_xor_b32 s2, exec_lo, s2
; %bb.95:
	v_bfe_u32 v5, v69, 16, 1
	s_delay_alu instid0(VALU_DEP_1)
	v_add3_u32 v5, v69, v5, 0x7fff
; %bb.96:
	s_and_not1_saveexec_b32 s2, s2
; %bb.97:
	v_and_b32_e32 v5, 0xffff, v69
	v_or_b32_e32 v6, 0x10000, v69
	s_delay_alu instid0(VALU_DEP_2) | instskip(NEXT) | instid1(VALU_DEP_2)
	v_cmp_eq_u32_e32 vcc_lo, 0, v5
	v_cndmask_b32_e32 v5, v6, v69, vcc_lo
; %bb.98:
	s_or_b32 exec_lo, exec_lo, s2
	v_and_b32_e32 v6, 0x7f800000, v70
	s_delay_alu instid0(VALU_DEP_1) | instskip(SKIP_1) | instid1(SALU_CYCLE_1)
	v_cmp_ne_u32_e32 vcc_lo, 0x7f800000, v6
                                        ; implicit-def: $vgpr6
	s_and_saveexec_b32 s2, vcc_lo
	s_xor_b32 s2, exec_lo, s2
; %bb.99:
	v_bfe_u32 v6, v70, 16, 1
	s_delay_alu instid0(VALU_DEP_1)
	v_add3_u32 v6, v70, v6, 0x7fff
; %bb.100:
	s_and_not1_saveexec_b32 s2, s2
; %bb.101:
	v_and_b32_e32 v6, 0xffff, v70
	v_or_b32_e32 v7, 0x10000, v70
	s_delay_alu instid0(VALU_DEP_2) | instskip(NEXT) | instid1(VALU_DEP_2)
	v_cmp_eq_u32_e32 vcc_lo, 0, v6
	v_cndmask_b32_e32 v6, v7, v70, vcc_lo
; %bb.102:
	s_or_b32 exec_lo, exec_lo, s2
	v_and_b32_e32 v7, 0x7f800000, v71
	s_delay_alu instid0(VALU_DEP_1) | instskip(SKIP_1) | instid1(SALU_CYCLE_1)
	v_cmp_ne_u32_e32 vcc_lo, 0x7f800000, v7
                                        ; implicit-def: $vgpr7
	s_and_saveexec_b32 s2, vcc_lo
	s_xor_b32 s2, exec_lo, s2
; %bb.103:
	v_bfe_u32 v7, v71, 16, 1
	s_delay_alu instid0(VALU_DEP_1)
	v_add3_u32 v7, v71, v7, 0x7fff
; %bb.104:
	s_and_not1_saveexec_b32 s2, s2
; %bb.105:
	v_and_b32_e32 v7, 0xffff, v71
	v_or_b32_e32 v8, 0x10000, v71
	s_delay_alu instid0(VALU_DEP_2) | instskip(NEXT) | instid1(VALU_DEP_2)
	v_cmp_eq_u32_e32 vcc_lo, 0, v7
	v_cndmask_b32_e32 v7, v8, v71, vcc_lo
; %bb.106:
	s_or_b32 exec_lo, exec_lo, s2
	v_and_b32_e32 v8, 0x7f800000, v72
	s_delay_alu instid0(VALU_DEP_1) | instskip(SKIP_1) | instid1(SALU_CYCLE_1)
	v_cmp_ne_u32_e32 vcc_lo, 0x7f800000, v8
                                        ; implicit-def: $vgpr8
	s_and_saveexec_b32 s2, vcc_lo
	s_xor_b32 s2, exec_lo, s2
; %bb.107:
	v_bfe_u32 v8, v72, 16, 1
	s_delay_alu instid0(VALU_DEP_1)
	v_add3_u32 v8, v72, v8, 0x7fff
                                        ; implicit-def: $vgpr65_vgpr66_vgpr67_vgpr68_vgpr69_vgpr70_vgpr71_vgpr72
; %bb.108:
	s_and_not1_saveexec_b32 s2, s2
; %bb.109:
	v_and_b32_e32 v8, 0xffff, v72
	v_or_b32_e32 v9, 0x10000, v72
	s_delay_alu instid0(VALU_DEP_2) | instskip(NEXT) | instid1(VALU_DEP_2)
	v_cmp_eq_u32_e32 vcc_lo, 0, v8
	v_cndmask_b32_e32 v8, v9, v72, vcc_lo
; %bb.110:
	s_or_b32 exec_lo, exec_lo, s2
	s_delay_alu instid0(VALU_DEP_1)
	v_perm_b32 v7, v8, v7, 0x7060302
	v_perm_b32 v6, v6, v5, 0x7060302
	;; [unrolled: 1-line block ×4, first 2 shown]
	s_barrier
	buffer_gl0_inv
	v_cmp_eq_u32_e32 vcc_lo, 1, v78
	ds_store_b128 v76, v[4:7]
	s_waitcnt lgkmcnt(0)
	s_barrier
	buffer_gl0_inv
	ds_load_b128 v[1:4], v82
	ds_load_b128 v[5:8], v82 offset:16
	v_cmp_eq_u32_e64 s2, 1, v79
	v_cmp_eq_u32_e64 s3, 2, v78
	;; [unrolled: 1-line block ×5, first 2 shown]
	s_waitcnt lgkmcnt(1)
	v_lshrrev_b32_e32 v9, 16, v1
	s_waitcnt lgkmcnt(0)
	v_lshrrev_b32_e32 v13, 16, v5
	v_lshrrev_b32_e32 v10, 16, v2
	;; [unrolled: 1-line block ×4, first 2 shown]
	v_cndmask_b32_e64 v19, v1, v9, s2
	v_cndmask_b32_e32 v18, v5, v13, vcc_lo
	v_cndmask_b32_e64 v20, v5, v13, s2
	v_cndmask_b32_e32 v17, v1, v9, vcc_lo
	v_cmp_eq_u32_e32 vcc_lo, 2, v79
	v_lshrrev_b32_e32 v15, 16, v7
	v_cmp_eq_u32_e64 s2, 1, v77
	v_lshrrev_b32_e32 v12, 16, v4
	v_lshrrev_b32_e32 v16, 16, v8
	v_cndmask_b32_e32 v20, v20, v6, vcc_lo
	v_cndmask_b32_e64 v17, v17, v2, s3
	v_cndmask_b32_e32 v19, v19, v2, vcc_lo
	v_cndmask_b32_e64 v18, v18, v6, s3
	v_cmp_eq_u32_e32 vcc_lo, 4, v78
	v_cmp_eq_u32_e64 s3, 3, v79
	v_cndmask_b32_e64 v17, v17, v10, s4
	v_cndmask_b32_e64 v21, v1, v9, s2
	;; [unrolled: 1-line block ×5, first 2 shown]
	v_cndmask_b32_e32 v17, v17, v3, vcc_lo
	v_cndmask_b32_e64 v20, v20, v14, s3
	v_cndmask_b32_e32 v18, v18, v7, vcc_lo
	v_cmp_eq_u32_e32 vcc_lo, 4, v79
	v_cmp_eq_u32_e64 s3, 5, v79
	v_cmp_eq_u32_e64 s2, 2, v81
	v_cndmask_b32_e64 v21, v21, v2, s6
	v_cmp_eq_u32_e64 s4, 5, v78
	v_cndmask_b32_e32 v19, v19, v3, vcc_lo
	v_cndmask_b32_e32 v20, v20, v7, vcc_lo
	v_cmp_eq_u32_e32 vcc_lo, 6, v79
	s_delay_alu instid0(VALU_DEP_4) | instskip(NEXT) | instid1(VALU_DEP_4)
	v_cndmask_b32_e64 v17, v17, v11, s4
	v_cndmask_b32_e64 v19, v19, v11, s3
	s_delay_alu instid0(VALU_DEP_4) | instskip(SKIP_1) | instid1(VALU_DEP_3)
	v_cndmask_b32_e64 v20, v20, v15, s3
	v_cmp_eq_u32_e64 s3, 1, v81
	v_cndmask_b32_e32 v19, v19, v4, vcc_lo
	v_cndmask_b32_e64 v18, v18, v15, s4
	s_delay_alu instid0(VALU_DEP_3)
	v_cndmask_b32_e64 v1, v1, v9, s3
	v_cndmask_b32_e64 v5, v5, v13, s3
	v_cmp_eq_u32_e64 s3, 3, v77
	v_cndmask_b32_e64 v13, v22, v6, s6
	v_cmp_eq_u32_e64 s6, 3, v81
	v_cndmask_b32_e64 v1, v1, v2, s2
	v_cndmask_b32_e64 v2, v5, v6, s2
	;; [unrolled: 1-line block ×3, first 2 shown]
	v_cmp_eq_u32_e64 s2, 4, v77
	v_cndmask_b32_e64 v6, v13, v14, s3
	v_cndmask_b32_e64 v1, v1, v10, s6
	v_cmp_eq_u32_e64 s3, 4, v81
	v_cndmask_b32_e64 v2, v2, v14, s6
	v_cndmask_b32_e64 v5, v9, v3, s2
	;; [unrolled: 3-line block ×3, first 2 shown]
	v_cndmask_b32_e64 v2, v2, v7, s3
	v_cmp_eq_u32_e64 s2, 5, v81
	v_cmp_eq_u32_e64 s4, 6, v78
	v_cndmask_b32_e64 v5, v5, v11, s6
	v_cmp_eq_u32_e64 s3, 6, v77
	v_cndmask_b32_e64 v3, v6, v15, s6
	v_cndmask_b32_e64 v1, v1, v11, s2
	v_cmp_eq_u32_e64 s6, 6, v81
	v_cndmask_b32_e64 v2, v2, v15, s2
	v_cndmask_b32_e64 v17, v17, v4, s4
	v_cndmask_b32_e64 v18, v18, v8, s4
	v_cmp_eq_u32_e64 s4, 7, v78
	v_cndmask_b32_e64 v5, v5, v4, s3
	;; [unrolled: 4-line block ×3, first 2 shown]
	v_cmp_eq_u32_e64 s3, 7, v77
	v_cndmask_b32_e32 v4, v20, v8, vcc_lo
	v_cndmask_b32_e64 v17, v17, v12, s4
	v_cndmask_b32_e64 v19, v19, v12, s5
	;; [unrolled: 1-line block ×8, first 2 shown]
	s_mov_b32 s2, exec_lo
	v_perm_b32 v4, v2, v1, 0x5040100
	v_perm_b32 v3, v3, v5, 0x5040100
	;; [unrolled: 1-line block ×4, first 2 shown]
	ds_store_b128 v76, v[1:4]
	s_waitcnt lgkmcnt(0)
	s_barrier
	buffer_gl0_inv
	v_cmpx_gt_u32_e32 32, v0
	s_cbranch_execz .LBB1651_2
; %bb.111:
	s_load_b64 s[0:1], s[0:1], 0x68
	s_lshl_b32 s4, s34, 7
	v_or_b32_e32 v3, s29, v74
	s_mul_i32 s2, s4, s30
	v_lshlrev_b32_e32 v0, 10, v0
	s_mul_i32 s2, s2, s7
	v_lshlrev_b32_e32 v1, 4, v75
	s_ashr_i32 s3, s2, 31
	v_mul_lo_u32 v12, v3, s4
	s_lshl_b64 s[2:3], s[2:3], 1
	v_lshlrev_b32_e32 v2, 6, v74
	v_and_b32_e32 v0, 0x3800, v0
	s_delay_alu instid0(VALU_DEP_1) | instskip(NEXT) | instid1(VALU_DEP_4)
	v_or3_b32 v8, v0, v1, v2
	v_ashrrev_i32_e32 v13, 31, v12
	ds_load_b128 v[0:3], v8
	ds_load_b128 v[4:7], v8 offset:128
	ds_load_b128 v[8:11], v8 offset:256
	s_waitcnt lgkmcnt(0)
	s_add_u32 s2, s0, s2
	s_addc_u32 s3, s1, s3
	s_lshl_b32 s0, s14, 7
	s_delay_alu instid0(SALU_CYCLE_1) | instskip(NEXT) | instid1(SALU_CYCLE_1)
	s_ashr_i32 s1, s0, 31
	s_lshl_b64 s[0:1], s[0:1], 1
	s_delay_alu instid0(SALU_CYCLE_1)
	s_add_u32 s0, s2, s0
	s_addc_u32 s1, s3, s1
	s_lshl_b32 s2, s34, 8
	v_add_co_u32 v18, s0, s0, v73
	v_add_nc_u32_e32 v14, s2, v12
	v_lshlrev_b64 v[12:13], 1, v[12:13]
	v_add_co_ci_u32_e64 v19, null, s1, 0, s0
	s_delay_alu instid0(VALU_DEP_3) | instskip(SKIP_1) | instid1(VALU_DEP_4)
	v_add_nc_u32_e32 v16, s2, v14
	v_ashrrev_i32_e32 v15, 31, v14
	v_add_co_u32 v12, vcc_lo, v18, v12
	s_delay_alu instid0(VALU_DEP_4) | instskip(NEXT) | instid1(VALU_DEP_4)
	v_add_co_ci_u32_e32 v13, vcc_lo, v19, v13, vcc_lo
	v_ashrrev_i32_e32 v17, 31, v16
	s_delay_alu instid0(VALU_DEP_4) | instskip(NEXT) | instid1(VALU_DEP_2)
	v_lshlrev_b64 v[14:15], 1, v[14:15]
	v_lshlrev_b64 v[16:17], 1, v[16:17]
	s_delay_alu instid0(VALU_DEP_2) | instskip(NEXT) | instid1(VALU_DEP_3)
	v_add_co_u32 v14, vcc_lo, v18, v14
	v_add_co_ci_u32_e32 v15, vcc_lo, v19, v15, vcc_lo
	s_delay_alu instid0(VALU_DEP_3) | instskip(NEXT) | instid1(VALU_DEP_4)
	v_add_co_u32 v16, vcc_lo, v18, v16
	v_add_co_ci_u32_e32 v17, vcc_lo, v19, v17, vcc_lo
	s_clause 0x2
	global_store_b128 v[12:13], v[0:3], off
	global_store_b128 v[14:15], v[4:7], off
	;; [unrolled: 1-line block ×3, first 2 shown]
	s_nop 0
	s_sendmsg sendmsg(MSG_DEALLOC_VGPRS)
	s_endpgm
	.section	.rodata,"a",@progbits
	.p2align	6, 0x0
	.amdhsa_kernel _Z39paged_attention_ll4mi_QKV_mfma16_kernelI14__hip_bfloat16hLN4vllm18Fp8KVCacheDataTypeE1ES0_Li32ELi128ELi256ELb0ELi6EL8MFMAType1EEvPKT_PKT0_S9_ifPKiSB_SB_iPKfiiiPfSE_PS4_PT2_iSD_SD_
		.amdhsa_group_segment_fixed_size 17472
		.amdhsa_private_segment_fixed_size 0
		.amdhsa_kernarg_size 400
		.amdhsa_user_sgpr_count 13
		.amdhsa_user_sgpr_dispatch_ptr 0
		.amdhsa_user_sgpr_queue_ptr 0
		.amdhsa_user_sgpr_kernarg_segment_ptr 1
		.amdhsa_user_sgpr_dispatch_id 0
		.amdhsa_user_sgpr_private_segment_size 0
		.amdhsa_wavefront_size32 1
		.amdhsa_uses_dynamic_stack 0
		.amdhsa_enable_private_segment 0
		.amdhsa_system_sgpr_workgroup_id_x 1
		.amdhsa_system_sgpr_workgroup_id_y 1
		.amdhsa_system_sgpr_workgroup_id_z 1
		.amdhsa_system_sgpr_workgroup_info 0
		.amdhsa_system_vgpr_workitem_id 0
		.amdhsa_next_free_vgpr 140
		.amdhsa_next_free_sgpr 36
		.amdhsa_reserve_vcc 1
		.amdhsa_float_round_mode_32 0
		.amdhsa_float_round_mode_16_64 0
		.amdhsa_float_denorm_mode_32 3
		.amdhsa_float_denorm_mode_16_64 3
		.amdhsa_dx10_clamp 1
		.amdhsa_ieee_mode 1
		.amdhsa_fp16_overflow 0
		.amdhsa_workgroup_processor_mode 1
		.amdhsa_memory_ordered 1
		.amdhsa_forward_progress 0
		.amdhsa_shared_vgpr_count 0
		.amdhsa_exception_fp_ieee_invalid_op 0
		.amdhsa_exception_fp_denorm_src 0
		.amdhsa_exception_fp_ieee_div_zero 0
		.amdhsa_exception_fp_ieee_overflow 0
		.amdhsa_exception_fp_ieee_underflow 0
		.amdhsa_exception_fp_ieee_inexact 0
		.amdhsa_exception_int_div_zero 0
	.end_amdhsa_kernel
	.section	.text._Z39paged_attention_ll4mi_QKV_mfma16_kernelI14__hip_bfloat16hLN4vllm18Fp8KVCacheDataTypeE1ES0_Li32ELi128ELi256ELb0ELi6EL8MFMAType1EEvPKT_PKT0_S9_ifPKiSB_SB_iPKfiiiPfSE_PS4_PT2_iSD_SD_,"axG",@progbits,_Z39paged_attention_ll4mi_QKV_mfma16_kernelI14__hip_bfloat16hLN4vllm18Fp8KVCacheDataTypeE1ES0_Li32ELi128ELi256ELb0ELi6EL8MFMAType1EEvPKT_PKT0_S9_ifPKiSB_SB_iPKfiiiPfSE_PS4_PT2_iSD_SD_,comdat
.Lfunc_end1651:
	.size	_Z39paged_attention_ll4mi_QKV_mfma16_kernelI14__hip_bfloat16hLN4vllm18Fp8KVCacheDataTypeE1ES0_Li32ELi128ELi256ELb0ELi6EL8MFMAType1EEvPKT_PKT0_S9_ifPKiSB_SB_iPKfiiiPfSE_PS4_PT2_iSD_SD_, .Lfunc_end1651-_Z39paged_attention_ll4mi_QKV_mfma16_kernelI14__hip_bfloat16hLN4vllm18Fp8KVCacheDataTypeE1ES0_Li32ELi128ELi256ELb0ELi6EL8MFMAType1EEvPKT_PKT0_S9_ifPKiSB_SB_iPKfiiiPfSE_PS4_PT2_iSD_SD_
                                        ; -- End function
	.section	.AMDGPU.csdata,"",@progbits
; Kernel info:
; codeLenInByte = 8896
; NumSgprs: 38
; NumVgprs: 140
; ScratchSize: 0
; MemoryBound: 0
; FloatMode: 240
; IeeeMode: 1
; LDSByteSize: 17472 bytes/workgroup (compile time only)
; SGPRBlocks: 4
; VGPRBlocks: 17
; NumSGPRsForWavesPerEU: 38
; NumVGPRsForWavesPerEU: 140
; Occupancy: 10
; WaveLimiterHint : 1
; COMPUTE_PGM_RSRC2:SCRATCH_EN: 0
; COMPUTE_PGM_RSRC2:USER_SGPR: 13
; COMPUTE_PGM_RSRC2:TRAP_HANDLER: 0
; COMPUTE_PGM_RSRC2:TGID_X_EN: 1
; COMPUTE_PGM_RSRC2:TGID_Y_EN: 1
; COMPUTE_PGM_RSRC2:TGID_Z_EN: 1
; COMPUTE_PGM_RSRC2:TIDIG_COMP_CNT: 0
	.section	.text._Z39paged_attention_ll4mi_QKV_mfma16_kernelI14__hip_bfloat16hLN4vllm18Fp8KVCacheDataTypeE1ES0_Li32ELi128ELi256ELb0ELi7EL8MFMAType1EEvPKT_PKT0_S9_ifPKiSB_SB_iPKfiiiPfSE_PS4_PT2_iSD_SD_,"axG",@progbits,_Z39paged_attention_ll4mi_QKV_mfma16_kernelI14__hip_bfloat16hLN4vllm18Fp8KVCacheDataTypeE1ES0_Li32ELi128ELi256ELb0ELi7EL8MFMAType1EEvPKT_PKT0_S9_ifPKiSB_SB_iPKfiiiPfSE_PS4_PT2_iSD_SD_,comdat
	.protected	_Z39paged_attention_ll4mi_QKV_mfma16_kernelI14__hip_bfloat16hLN4vllm18Fp8KVCacheDataTypeE1ES0_Li32ELi128ELi256ELb0ELi7EL8MFMAType1EEvPKT_PKT0_S9_ifPKiSB_SB_iPKfiiiPfSE_PS4_PT2_iSD_SD_ ; -- Begin function _Z39paged_attention_ll4mi_QKV_mfma16_kernelI14__hip_bfloat16hLN4vllm18Fp8KVCacheDataTypeE1ES0_Li32ELi128ELi256ELb0ELi7EL8MFMAType1EEvPKT_PKT0_S9_ifPKiSB_SB_iPKfiiiPfSE_PS4_PT2_iSD_SD_
	.globl	_Z39paged_attention_ll4mi_QKV_mfma16_kernelI14__hip_bfloat16hLN4vllm18Fp8KVCacheDataTypeE1ES0_Li32ELi128ELi256ELb0ELi7EL8MFMAType1EEvPKT_PKT0_S9_ifPKiSB_SB_iPKfiiiPfSE_PS4_PT2_iSD_SD_
	.p2align	8
	.type	_Z39paged_attention_ll4mi_QKV_mfma16_kernelI14__hip_bfloat16hLN4vllm18Fp8KVCacheDataTypeE1ES0_Li32ELi128ELi256ELb0ELi7EL8MFMAType1EEvPKT_PKT0_S9_ifPKiSB_SB_iPKfiiiPfSE_PS4_PT2_iSD_SD_,@function
_Z39paged_attention_ll4mi_QKV_mfma16_kernelI14__hip_bfloat16hLN4vllm18Fp8KVCacheDataTypeE1ES0_Li32ELi128ELi256ELb0ELi7EL8MFMAType1EEvPKT_PKT0_S9_ifPKiSB_SB_iPKfiiiPfSE_PS4_PT2_iSD_SD_: ; @_Z39paged_attention_ll4mi_QKV_mfma16_kernelI14__hip_bfloat16hLN4vllm18Fp8KVCacheDataTypeE1ES0_Li32ELi128ELi256ELb0ELi7EL8MFMAType1EEvPKT_PKT0_S9_ifPKiSB_SB_iPKfiiiPfSE_PS4_PT2_iSD_SD_
; %bb.0:
	s_load_b64 s[4:5], s[0:1], 0x30
	s_mov_b32 s30, s13
	s_waitcnt lgkmcnt(0)
	s_cmp_lg_u64 s[4:5], 0
	s_cselect_b32 s13, -1, 0
	s_ashr_i32 s31, s30, 31
	s_cmp_eq_u64 s[4:5], 0
	s_cbranch_scc1 .LBB1652_3
; %bb.1:
	s_lshl_b64 s[2:3], s[30:31], 2
	s_delay_alu instid0(SALU_CYCLE_1) | instskip(SKIP_4) | instid1(SALU_CYCLE_1)
	s_add_u32 s2, s4, s2
	s_addc_u32 s3, s5, s3
	s_load_b64 s[2:3], s[2:3], 0x0
	s_waitcnt lgkmcnt(0)
	s_sub_i32 s2, s3, s2
	s_cmp_eq_u32 s2, 1
	s_cselect_b32 s2, -1, 0
	s_delay_alu instid0(SALU_CYCLE_1)
	s_and_not1_b32 vcc_lo, exec_lo, s2
	s_cbranch_vccz .LBB1652_4
.LBB1652_2:
	s_nop 0
	s_sendmsg sendmsg(MSG_DEALLOC_VGPRS)
	s_endpgm
.LBB1652_3:
.LBB1652_4:
	s_load_b64 s[2:3], s[0:1], 0x28
	s_lshl_b64 s[6:7], s[30:31], 2
	s_waitcnt lgkmcnt(0)
	s_add_u32 s2, s2, s6
	s_addc_u32 s3, s3, s7
	s_lshl_b32 s12, s14, 8
	s_load_b32 s17, s[2:3], 0x0
	s_waitcnt lgkmcnt(0)
	s_cmp_ge_i32 s12, s17
	s_cbranch_scc1 .LBB1652_2
; %bb.5:
	s_clause 0x1
	s_load_b128 s[8:11], s[0:1], 0x8
	s_load_b64 s[2:3], s[0:1], 0x20
	s_and_not1_b32 vcc_lo, exec_lo, s13
	s_cbranch_vccnz .LBB1652_7
; %bb.6:
	s_add_u32 s4, s4, s6
	s_addc_u32 s5, s5, s7
	s_load_b32 s13, s[4:5], 0x0
	s_branch .LBB1652_8
.LBB1652_7:
	s_mov_b32 s13, s30
.LBB1652_8:
	s_load_b128 s[4:7], s[0:1], 0x48
	v_and_b32_e32 v65, 15, v0
	v_lshrrev_b32_e32 v66, 5, v0
	v_bfe_u32 v74, v0, 4, 1
	v_and_b32_e32 v67, 31, v0
	v_and_b32_e32 v75, 1, v0
	v_lshlrev_b32_e32 v2, 3, v65
	s_mul_i32 s31, s15, 7
	v_lshl_or_b32 v1, v66, 1, v74
	s_waitcnt lgkmcnt(0)
	s_mov_b32 s7, exec_lo
	v_lshlrev_b32_e32 v73, 1, v2
	s_delay_alu instid0(VALU_DEP_2)
	v_cmpx_gt_u32_e32 7, v1
	s_cbranch_execz .LBB1652_10
; %bb.9:
	s_load_b64 s[18:19], s[0:1], 0x0
	v_add_lshl_u32 v2, v1, s31, 7
	s_mul_hi_i32 s21, s13, s4
	s_mul_i32 s20, s13, s4
	v_lshlrev_b32_e32 v6, 10, v65
	s_lshl_b64 s[20:21], s[20:21], 1
	v_ashrrev_i32_e32 v3, 31, v2
	v_lshlrev_b32_e32 v1, 6, v1
	v_lshlrev_b32_e32 v7, 10, v75
	v_and_b32_e32 v6, 0x3800, v6
	s_delay_alu instid0(VALU_DEP_4) | instskip(NEXT) | instid1(VALU_DEP_2)
	v_lshlrev_b64 v[2:3], 1, v[2:3]
	v_or3_b32 v1, v6, v7, v1
	s_waitcnt lgkmcnt(0)
	s_add_u32 s4, s18, s20
	s_addc_u32 s13, s19, s21
	s_delay_alu instid0(VALU_DEP_2) | instskip(SKIP_1) | instid1(VALU_DEP_2)
	v_add_co_u32 v2, vcc_lo, s4, v2
	v_add_co_ci_u32_e32 v3, vcc_lo, s13, v3, vcc_lo
	v_add_co_u32 v2, vcc_lo, v2, v73
	s_delay_alu instid0(VALU_DEP_2)
	v_add_co_ci_u32_e32 v3, vcc_lo, 0, v3, vcc_lo
	global_load_b128 v[2:5], v[2:3], off
	s_waitcnt vmcnt(0)
	ds_store_b128 v1, v[2:5]
.LBB1652_10:
	s_or_b32 exec_lo, exec_lo, s7
	v_and_b32_e32 v1, 0xef, v0
	s_add_i32 s4, s17, 31
	s_clause 0x1
	s_load_b32 s7, s[0:1], 0x38
	s_load_b32 s18, s[0:1], 0x1c
	s_ashr_i32 s13, s4, 31
	v_add_nc_u32_e32 v2, s12, v1
	s_lshr_b32 s13, s13, 27
	s_waitcnt lgkmcnt(0)
	s_add_i32 s4, s4, s13
	s_barrier
	v_ashrrev_i32_e32 v1, 31, v2
	s_ashr_i32 s4, s4, 5
	v_cmp_gt_i32_e32 vcc_lo, s17, v2
	s_add_i32 s4, s4, -1
	buffer_gl0_inv
	v_lshrrev_b32_e32 v3, 27, v1
	v_or_b32_e32 v1, 16, v2
	s_mul_i32 s15, s15, s6
	s_delay_alu instid0(VALU_DEP_2) | instskip(SKIP_1) | instid1(SALU_CYCLE_1)
	v_add_nc_u32_e32 v4, v2, v3
	s_mul_i32 s20, s30, s7
	s_ashr_i32 s21, s20, 31
	s_delay_alu instid0(VALU_DEP_1) | instskip(SKIP_2) | instid1(SALU_CYCLE_1)
	v_ashrrev_i32_e32 v4, 5, v4
	v_add_nc_u32_e32 v3, v1, v3
	s_lshl_b64 s[20:21], s[20:21], 2
	s_add_u32 s7, s2, s20
	s_delay_alu instid0(VALU_DEP_2) | instskip(NEXT) | instid1(VALU_DEP_2)
	v_cndmask_b32_e32 v2, s4, v4, vcc_lo
	v_ashrrev_i32_e32 v3, 5, v3
	v_cmp_gt_i32_e32 vcc_lo, s17, v1
	s_addc_u32 s13, s3, s21
	s_ashr_i32 s6, s15, 31
	s_add_u32 s2, s8, s15
	s_addc_u32 s3, s9, s6
	v_cndmask_b32_e32 v4, s4, v3, vcc_lo
	v_ashrrev_i32_e32 v3, 31, v2
	s_lshl_b32 s8, s14, 3
	s_delay_alu instid0(SALU_CYCLE_1) | instskip(NEXT) | instid1(VALU_DEP_2)
	s_ashr_i32 s9, s8, 31
	v_ashrrev_i32_e32 v5, 31, v4
	s_delay_alu instid0(VALU_DEP_2) | instskip(SKIP_1) | instid1(SALU_CYCLE_1)
	v_lshlrev_b64 v[1:2], 2, v[2:3]
	s_lshl_b64 s[8:9], s[8:9], 2
	s_add_u32 s8, s7, s8
	s_delay_alu instid0(VALU_DEP_2) | instskip(SKIP_1) | instid1(VALU_DEP_2)
	v_lshlrev_b64 v[3:4], 2, v[4:5]
	s_addc_u32 s9, s13, s9
	v_add_co_u32 v1, vcc_lo, s7, v1
	v_add_co_ci_u32_e32 v2, vcc_lo, s13, v2, vcc_lo
	s_delay_alu instid0(VALU_DEP_3) | instskip(NEXT) | instid1(VALU_DEP_4)
	v_add_co_u32 v3, vcc_lo, s7, v3
	v_add_co_ci_u32_e32 v4, vcc_lo, s13, v4, vcc_lo
	s_clause 0x1
	global_load_b32 v5, v[1:2], off
	global_load_b32 v6, v[3:4], off
	s_or_b32 s16, s12, 32
	s_delay_alu instid0(SALU_CYCLE_1) | instskip(SKIP_2) | instid1(SALU_CYCLE_1)
	s_ashr_i32 s19, s16, 5
	s_cmp_lt_i32 s16, s17
	s_cselect_b32 s20, s19, s4
	s_ashr_i32 s21, s20, 31
	s_delay_alu instid0(SALU_CYCLE_1) | instskip(NEXT) | instid1(SALU_CYCLE_1)
	s_lshl_b64 s[20:21], s[20:21], 2
	s_add_u32 s20, s7, s20
	s_addc_u32 s21, s13, s21
	s_or_b32 s16, s12, 64
	s_delay_alu instid0(SALU_CYCLE_1) | instskip(SKIP_2) | instid1(SALU_CYCLE_1)
	s_ashr_i32 s19, s16, 5
	s_cmp_lt_i32 s16, s17
	s_cselect_b32 s22, s19, s4
	s_ashr_i32 s23, s22, 31
	s_delay_alu instid0(SALU_CYCLE_1) | instskip(NEXT) | instid1(SALU_CYCLE_1)
	s_lshl_b64 s[22:23], s[22:23], 2
	s_add_u32 s22, s7, s22
	s_addc_u32 s23, s13, s23
	;; [unrolled: 10-line block ×5, first 2 shown]
	s_clause 0x5
	s_load_b32 s16, s[8:9], 0x0
	s_load_b32 s19, s[20:21], 0x0
	;; [unrolled: 1-line block ×6, first 2 shown]
	s_mov_b32 s20, 0
	s_delay_alu instid0(SALU_CYCLE_1)
	s_mov_b32 s21, s20
	s_mov_b32 s22, s20
	;; [unrolled: 1-line block ×7, first 2 shown]
	s_delay_alu instid0(SALU_CYCLE_1)
	v_dual_mov_b32 v107, s27 :: v_dual_mov_b32 v106, s26
	v_dual_mov_b32 v105, s25 :: v_dual_mov_b32 v102, s22
	;; [unrolled: 1-line block ×4, first 2 shown]
	s_waitcnt vmcnt(1)
	v_mad_i64_i32 v[1:2], null, v5, s5, s[2:3]
	v_lshlrev_b32_e32 v5, 4, v65
	s_waitcnt vmcnt(0)
	v_mad_i64_i32 v[3:4], null, v6, s5, s[2:3]
	s_or_b32 s2, s12, 0xc0
	s_delay_alu instid0(SALU_CYCLE_1) | instskip(NEXT) | instid1(VALU_DEP_3)
	s_ashr_i32 s3, s2, 5
	v_add_co_u32 v25, vcc_lo, v1, v5
	s_delay_alu instid0(VALU_DEP_4) | instskip(NEXT) | instid1(VALU_DEP_3)
	v_add_co_ci_u32_e32 v26, vcc_lo, 0, v2, vcc_lo
	v_add_co_u32 v27, vcc_lo, v3, v5
	s_delay_alu instid0(VALU_DEP_4)
	v_add_co_ci_u32_e32 v28, vcc_lo, 0, v4, vcc_lo
	s_clause 0xf
	global_load_b128 v[1:4], v[25:26], off
	global_load_b128 v[5:8], v[25:26], off offset:512
	global_load_b128 v[9:12], v[27:28], off offset:256
	;; [unrolled: 1-line block ×15, first 2 shown]
	v_mul_lo_u16 v25, v65, 37
	s_cmp_lt_i32 s2, s17
	v_lshlrev_b32_e32 v26, 5, v65
	s_cselect_b32 s2, s3, s4
	s_delay_alu instid0(VALU_DEP_2) | instskip(SKIP_1) | instid1(VALU_DEP_2)
	v_lshrrev_b16 v25, 8, v25
	s_ashr_i32 s3, s2, 31
	v_lshl_or_b32 v33, v66, 9, v26
	s_lshl_b64 s[2:3], s[2:3], 2
	s_delay_alu instid0(VALU_DEP_2) | instskip(SKIP_3) | instid1(VALU_DEP_1)
	v_mul_lo_u16 v25, v25, 7
	s_add_u32 s2, s7, s2
	s_addc_u32 s3, s13, s3
	s_or_b32 s8, s12, 0xe0
	v_sub_nc_u16 v25, v65, v25
	s_ashr_i32 s9, s8, 5
	s_cmp_lt_i32 s8, s17
	s_cselect_b32 s8, s9, s4
	s_delay_alu instid0(VALU_DEP_1) | instskip(SKIP_1) | instid1(SALU_CYCLE_1)
	v_and_b32_e32 v25, 0xff, v25
	s_ashr_i32 s9, s8, 31
	s_lshl_b64 s[8:9], s[8:9], 2
	s_delay_alu instid0(VALU_DEP_1)
	v_lshlrev_b32_e32 v72, 6, v25
	ds_load_b128 v[25:28], v72
	ds_load_b128 v[29:32], v72 offset:1024
	ds_load_b128 v[108:111], v72 offset:2048
	ds_load_b128 v[112:115], v72 offset:3072
	s_load_b32 s4, s[2:3], 0x0
	s_add_u32 s2, s7, s8
	s_addc_u32 s3, s13, s9
	ds_load_b128 v[116:119], v72 offset:4096
	ds_load_b128 v[120:123], v72 offset:5120
	s_load_b32 s2, s[2:3], 0x0
	s_add_u32 s7, s10, s15
	s_addc_u32 s6, s11, s6
	v_add_co_u32 v68, s7, s7, v33
	s_delay_alu instid0(VALU_DEP_1) | instskip(SKIP_1) | instid1(VALU_DEP_1)
	v_add_co_ci_u32_e64 v69, null, s6, 0, s7
	s_waitcnt lgkmcnt(0)
	v_mad_i64_i32 v[33:34], null, s16, s5, v[68:69]
	v_mad_i64_i32 v[70:71], null, s33, s5, v[68:69]
	;; [unrolled: 1-line block ×7, first 2 shown]
	s_clause 0x3
	global_load_b128 v[41:44], v[33:34], off
	global_load_b128 v[45:48], v[33:34], off offset:16
	global_load_b128 v[33:36], v[37:38], off
	global_load_b128 v[37:40], v[37:38], off offset:16
	s_waitcnt vmcnt(18)
	v_wmma_f32_16x16x16_bf16 v[124:131], v[1:8], v[25:32], v[100:107]
	s_waitcnt vmcnt(16)
	v_wmma_f32_16x16x16_bf16 v[100:107], v[9:16], v[25:32], v[100:107]
	s_clause 0x1
	global_load_b128 v[25:28], v[70:71], off
	global_load_b128 v[29:32], v[70:71], off offset:16
	s_waitcnt vmcnt(16)
	v_wmma_f32_16x16x16_bf16 v[124:131], v[17:24], v[108:115], v[124:131]
	s_clause 0x1
	global_load_b128 v[17:20], v[132:133], off
	global_load_b128 v[21:24], v[132:133], off offset:16
	s_waitcnt vmcnt(16)
	v_wmma_f32_16x16x16_bf16 v[100:107], v[49:56], v[108:115], v[100:107]
	v_mad_i64_i32 v[53:54], null, s2, s5, v[68:69]
	s_clause 0x3
	global_load_b128 v[1:4], v[134:135], off
	global_load_b128 v[5:8], v[134:135], off offset:16
	global_load_b128 v[9:12], v[136:137], off
	global_load_b128 v[13:16], v[136:137], off offset:16
	s_waitcnt vmcnt(18)
	v_wmma_f32_16x16x16_bf16 v[124:131], v[57:64], v[116:123], v[124:131]
	s_clause 0x3
	global_load_b128 v[57:60], v[138:139], off
	global_load_b128 v[61:64], v[138:139], off offset:16
	global_load_b128 v[49:52], v[53:54], off
	global_load_b128 v[53:56], v[53:54], off offset:16
	s_waitcnt vmcnt(20)
	v_wmma_f32_16x16x16_bf16 v[100:107], v[76:83], v[116:123], v[100:107]
	ds_load_b128 v[76:79], v72 offset:6144
	ds_load_b128 v[80:83], v72 offset:7168
	v_mbcnt_lo_u32_b32 v69, -1, 0
	s_waitcnt vmcnt(0) lgkmcnt(0)
	s_barrier
	buffer_gl0_inv
	v_xor_b32_e32 v70, 16, v69
	s_delay_alu instid0(VALU_DEP_1) | instskip(SKIP_4) | instid1(VALU_DEP_2)
	v_cmp_gt_i32_e32 vcc_lo, 32, v70
	v_cndmask_b32_e32 v69, v69, v70, vcc_lo
	v_wmma_f32_16x16x16_bf16 v[124:131], v[84:91], v[76:83], v[124:131]
	v_and_b32_e32 v68, 0xe0, v0
	v_wmma_f32_16x16x16_bf16 v[100:107], v[92:99], v[76:83], v[100:107]
	v_dual_mul_f32 v81, s18, v129 :: v_dual_add_nc_u32 v68, s12, v68
	s_delay_alu instid0(VALU_DEP_4) | instskip(NEXT) | instid1(VALU_DEP_3)
	v_dual_mul_f32 v83, s18, v131 :: v_dual_mul_f32 v78, s18, v125
	v_mul_f32_e32 v95, s18, v103
	v_mul_f32_e32 v79, s18, v127
	s_delay_alu instid0(VALU_DEP_4) | instskip(SKIP_3) | instid1(VALU_DEP_4)
	v_or_b32_e32 v68, v68, v74
	v_dual_mul_f32 v80, s18, v126 :: v_dual_mul_f32 v97, s18, v105
	v_dual_mul_f32 v93, s18, v101 :: v_dual_mul_f32 v82, s18, v128
	v_mul_f32_e32 v99, s18, v107
	v_or_b32_e32 v70, 2, v68
	v_or_b32_e32 v71, 4, v68
	;; [unrolled: 1-line block ×3, first 2 shown]
	v_cmp_gt_i32_e64 s2, s17, v68
	v_or_b32_e32 v108, 8, v68
	v_cmp_gt_i32_e32 vcc_lo, s17, v70
	v_mul_f32_e32 v70, s18, v124
	v_or_b32_e32 v109, 10, v68
	v_cmp_gt_i32_e64 s3, s17, v71
	v_cmp_gt_i32_e64 s4, s17, v72
	v_cndmask_b32_e32 v78, 0xff7fffff, v78, vcc_lo
	v_cndmask_b32_e64 v70, 0xff7fffff, v70, s2
	v_or_b32_e32 v84, 12, v68
	v_or_b32_e32 v85, 14, v68
	v_cndmask_b32_e64 v71, 0xff7fffff, v80, s3
	v_cndmask_b32_e64 v72, 0xff7fffff, v79, s4
	v_max3_f32 v70, v70, 0xff7fffff, v78
	v_cmp_gt_i32_e64 s5, s17, v108
	v_cmp_gt_i32_e64 s6, s17, v109
	v_or_b32_e32 v86, 16, v68
	v_or_b32_e32 v87, 18, v68
	;; [unrolled: 1-line block ×3, first 2 shown]
	v_mul_f32_e32 v92, s18, v130
	v_cndmask_b32_e64 v78, 0xff7fffff, v82, s5
	v_cndmask_b32_e64 v79, 0xff7fffff, v81, s6
	v_max3_f32 v70, v70, v71, v72
	v_cmp_gt_i32_e64 s7, s17, v84
	v_cmp_gt_i32_e64 s8, s17, v85
	v_or_b32_e32 v88, 20, v68
	v_mul_f32_e32 v94, s18, v100
	v_max3_f32 v70, v70, v78, v79
	v_cmp_gt_i32_e64 s9, s17, v86
	v_cndmask_b32_e64 v72, 0xff7fffff, v83, s8
	v_cmp_gt_i32_e64 s10, s17, v87
	v_cmp_gt_i32_e64 s12, s17, v89
	v_lshlrev_b32_e32 v89, 2, v69
	v_cndmask_b32_e64 v71, 0xff7fffff, v92, s7
	v_or_b32_e32 v90, 24, v68
	v_or_b32_e32 v91, 26, v68
	v_mul_f32_e32 v96, s18, v102
	v_cndmask_b32_e64 v78, 0xff7fffff, v94, s9
	v_cndmask_b32_e64 v79, 0xff7fffff, v93, s10
	v_max3_f32 v70, v70, v71, v72
	v_cmp_gt_i32_e64 s11, s17, v88
	v_or_b32_e32 v76, 28, v68
	v_or_b32_e32 v77, 30, v68
	v_mul_f32_e32 v98, s18, v104
	v_cndmask_b32_e64 v72, 0xff7fffff, v95, s12
	v_cndmask_b32_e64 v71, 0xff7fffff, v96, s11
	v_max3_f32 v70, v70, v78, v79
	v_cmp_gt_i32_e64 s13, s17, v90
	v_cmp_gt_i32_e64 s15, s17, v91
	v_mul_f32_e32 v68, s18, v106
	v_cmp_gt_i32_e64 s16, s17, v76
	v_max3_f32 v70, v70, v71, v72
	v_cndmask_b32_e64 v78, 0xff7fffff, v98, s13
	v_cndmask_b32_e64 v79, 0xff7fffff, v97, s15
	v_cmp_gt_i32_e64 s17, s17, v77
	v_cndmask_b32_e64 v68, 0xff7fffff, v68, s16
	s_delay_alu instid0(VALU_DEP_3) | instskip(NEXT) | instid1(VALU_DEP_3)
	v_max3_f32 v70, v70, v78, v79
	v_cndmask_b32_e64 v71, 0xff7fffff, v99, s17
	s_delay_alu instid0(VALU_DEP_1) | instskip(SKIP_3) | instid1(VALU_DEP_1)
	v_max3_f32 v68, v70, v68, v71
	ds_bpermute_b32 v69, v89, v68
	s_waitcnt lgkmcnt(0)
	v_max_f32_e32 v69, v69, v69
	v_max_f32_e32 v68, v68, v69
	s_delay_alu instid0(VALU_DEP_1) | instskip(NEXT) | instid1(VALU_DEP_1)
	v_fma_f32 v71, s18, v126, -v68
	v_mul_f32_e32 v71, 0x3fb8aa3b, v71
	s_delay_alu instid0(VALU_DEP_1) | instskip(SKIP_3) | instid1(VALU_DEP_1)
	v_exp_f32_e32 v71, v71
	s_waitcnt_depctr 0xfff
	v_cndmask_b32_e64 v83, 0, v71, s3
	v_fma_f32 v71, s18, v131, -v68
	v_mul_f32_e32 v71, 0x3fb8aa3b, v71
	v_fma_f32 v69, s18, v124, -v68
	v_fma_f32 v76, s18, v128, -v68
	;; [unrolled: 1-line block ×4, first 2 shown]
	v_exp_f32_e32 v71, v71
	v_mul_f32_e32 v69, 0x3fb8aa3b, v69
	v_mul_f32_e32 v77, 0x3fb8aa3b, v76
	v_fma_f32 v81, s18, v105, -v68
	v_fma_f32 v78, s18, v130, -v68
	s_delay_alu instid0(VALU_DEP_4) | instskip(NEXT) | instid1(VALU_DEP_3)
	v_exp_f32_e32 v69, v69
	v_exp_f32_e32 v77, v77
	s_delay_alu instid0(VALU_DEP_2) | instskip(NEXT) | instid1(TRANS32_DEP_3)
	v_mul_f32_e32 v81, 0x3fb8aa3b, v81
	v_cndmask_b32_e64 v88, 0, v71, s8
	v_fma_f32 v71, s18, v104, -v68
	s_delay_alu instid0(VALU_DEP_3) | instskip(NEXT) | instid1(TRANS32_DEP_3)
	v_exp_f32_e32 v81, v81
	v_cndmask_b32_e64 v80, 0, v69, s2
	v_fma_f32 v69, s18, v129, -v68
	v_mul_f32_e32 v70, 0x3fb8aa3b, v70
	s_delay_alu instid0(TRANS32_DEP_2)
	v_cndmask_b32_e64 v86, 0, v77, s5
	v_mul_f32_e32 v72, 0x3fb8aa3b, v72
	v_fma_f32 v77, s18, v101, -v68
	v_mul_f32_e32 v69, 0x3fb8aa3b, v69
	v_exp_f32_e32 v70, v70
	v_mul_f32_e32 v71, 0x3fb8aa3b, v71
	v_exp_f32_e32 v72, v72
	;; [unrolled: 2-line block ×3, first 2 shown]
	v_cmp_gt_u32_e64 s2, 16, v67
	v_exp_f32_e32 v82, v71
	s_delay_alu instid0(VALU_DEP_2) | instskip(SKIP_4) | instid1(TRANS32_DEP_3)
	v_exp_f32_e32 v77, v77
	v_cndmask_b32_e32 v76, 0, v70, vcc_lo
	v_add_f32_e32 v70, 0, v80
	v_cndmask_b32_e64 v85, 0, v72, s4
	v_fma_f32 v72, s18, v100, -v68
	v_cndmask_b32_e64 v87, 0, v69, s6
	s_delay_alu instid0(VALU_DEP_4) | instskip(NEXT) | instid1(VALU_DEP_3)
	v_add_f32_e32 v70, v70, v76
	v_mul_f32_e32 v72, 0x3fb8aa3b, v72
	s_delay_alu instid0(VALU_DEP_2) | instskip(NEXT) | instid1(VALU_DEP_2)
	v_add_f32_e32 v70, v70, v83
	v_exp_f32_e32 v72, v72
	s_delay_alu instid0(VALU_DEP_1) | instskip(NEXT) | instid1(VALU_DEP_1)
	v_add_f32_e32 v70, v70, v85
	v_add_f32_e32 v69, v70, v86
	v_fma_f32 v70, s18, v102, -v68
	s_delay_alu instid0(VALU_DEP_2) | instskip(NEXT) | instid1(VALU_DEP_2)
	v_dual_add_f32 v69, v69, v87 :: v_dual_mul_f32 v78, 0x3fb8aa3b, v78
	v_mul_f32_e32 v70, 0x3fb8aa3b, v70
	s_delay_alu instid0(VALU_DEP_2) | instskip(NEXT) | instid1(VALU_DEP_1)
	v_exp_f32_e32 v78, v78
	v_exp_f32_e32 v79, v70
	s_delay_alu instid0(TRANS32_DEP_3) | instskip(SKIP_4) | instid1(VALU_DEP_2)
	v_cndmask_b32_e64 v70, 0, v72, s9
	s_waitcnt_depctr 0xfff
	v_cndmask_b32_e64 v84, 0, v78, s7
	v_fma_f32 v78, s18, v103, -v68
	v_cndmask_b32_e64 v71, 0, v79, s11
	v_dual_add_f32 v69, v69, v84 :: v_dual_mul_f32 v78, 0x3fb8aa3b, v78
	s_delay_alu instid0(VALU_DEP_1) | instskip(NEXT) | instid1(VALU_DEP_2)
	v_add_f32_e32 v72, v69, v88
	v_exp_f32_e32 v78, v78
	v_cndmask_b32_e64 v69, 0, v77, s10
	v_fma_f32 v77, s18, v106, -v68
	s_delay_alu instid0(VALU_DEP_1) | instskip(NEXT) | instid1(VALU_DEP_1)
	v_dual_add_f32 v72, v72, v70 :: v_dual_mul_f32 v77, 0x3fb8aa3b, v77
	v_add_f32_e32 v79, v72, v69
	s_waitcnt_depctr 0xfff
	v_cndmask_b32_e64 v72, 0, v78, s12
	v_exp_f32_e32 v90, v77
	v_cndmask_b32_e64 v77, 0, v82, s13
	v_add_f32_e32 v78, v79, v71
	v_fma_f32 v79, s18, v107, -v68
	s_delay_alu instid0(VALU_DEP_1) | instskip(SKIP_1) | instid1(VALU_DEP_2)
	v_dual_add_f32 v82, v78, v72 :: v_dual_mul_f32 v79, 0x3fb8aa3b, v79
	v_cndmask_b32_e64 v78, 0, v81, s15
	v_add_f32_e32 v81, v82, v77
	s_delay_alu instid0(VALU_DEP_3) | instskip(NEXT) | instid1(TRANS32_DEP_2)
	v_exp_f32_e32 v82, v79
	v_cndmask_b32_e64 v79, 0, v90, s16
	s_delay_alu instid0(VALU_DEP_2) | instskip(NEXT) | instid1(VALU_DEP_1)
	v_add_f32_e32 v81, v81, v78
	v_add_f32_e32 v90, v81, v79
	s_waitcnt_depctr 0xfff
	v_cndmask_b32_e64 v81, 0, v82, s17
	s_delay_alu instid0(VALU_DEP_1)
	v_add_f32_e32 v82, v90, v81
	ds_bpermute_b32 v89, v89, v82
	s_and_saveexec_b32 s3, s2
	s_cbranch_execz .LBB1652_12
; %bb.11:
	v_mul_u32_u24_e32 v67, 0x44, v66
	s_delay_alu instid0(VALU_DEP_1) | instskip(SKIP_1) | instid1(VALU_DEP_1)
	v_lshl_add_u32 v67, v65, 2, v67
	s_waitcnt lgkmcnt(0)
	v_dual_add_f32 v82, v82, v89 :: v_dual_add_nc_u32 v67, 0x4000, v67
	ds_store_2addr_b32 v67, v68, v82 offset1:136
.LBB1652_12:
	s_or_b32 exec_lo, exec_lo, s3
	v_lshlrev_b32_e32 v67, 2, v65
	s_waitcnt lgkmcnt(0)
	s_barrier
	buffer_gl0_inv
	v_cmp_eq_u32_e32 vcc_lo, 1, v66
	v_add_nc_u32_e32 v82, 0x4000, v67
	v_cmp_eq_u32_e64 s3, 2, v66
	v_cmp_eq_u32_e64 s5, 7, v66
	ds_load_2addr_b32 v[89:90], v82 offset1:17
	ds_load_2addr_b32 v[91:92], v82 offset0:34 offset1:51
	ds_load_2addr_b32 v[93:94], v82 offset0:68 offset1:85
	;; [unrolled: 1-line block ×4, first 2 shown]
	s_waitcnt lgkmcnt(4)
	v_max3_f32 v67, v89, 0xff7fffff, v90
	s_waitcnt lgkmcnt(3)
	s_delay_alu instid0(VALU_DEP_1) | instskip(SKIP_1) | instid1(VALU_DEP_1)
	v_max3_f32 v67, v67, v91, v92
	s_waitcnt lgkmcnt(2)
	v_max3_f32 v67, v67, v93, v94
	s_waitcnt lgkmcnt(1)
	s_delay_alu instid0(VALU_DEP_1) | instskip(NEXT) | instid1(VALU_DEP_1)
	v_max3_f32 v67, v67, v95, v96
	v_sub_f32_e32 v93, v93, v67
	s_delay_alu instid0(VALU_DEP_1) | instskip(NEXT) | instid1(VALU_DEP_1)
	v_dual_sub_f32 v68, v89, v67 :: v_dual_mul_f32 v103, 0x3fb8aa3b, v93
	v_mul_f32_e32 v68, 0x3fb8aa3b, v68
	s_delay_alu instid0(VALU_DEP_1)
	v_exp_f32_e32 v100, v68
	v_sub_f32_e32 v68, v92, v67
	v_sub_f32_e32 v99, v90, v67
	ds_load_2addr_b32 v[89:90], v82 offset0:170 offset1:187
	v_dual_mul_f32 v102, 0x3fb8aa3b, v68 :: v_dual_mul_f32 v99, 0x3fb8aa3b, v99
	s_waitcnt lgkmcnt(1)
	v_fma_f32 v68, v100, v97, 0
	s_delay_alu instid0(VALU_DEP_2) | instskip(NEXT) | instid1(VALU_DEP_2)
	v_exp_f32_e32 v102, v102
	v_exp_f32_e32 v99, v99
	s_waitcnt_depctr 0xfff
	v_fmac_f32_e32 v68, v99, v98
	v_sub_f32_e32 v91, v91, v67
	s_delay_alu instid0(VALU_DEP_1)
	v_mul_f32_e32 v101, 0x3fb8aa3b, v91
	ds_load_2addr_b32 v[91:92], v82 offset0:204 offset1:221
	v_sub_f32_e32 v97, v94, v67
	ds_load_2addr_b32 v[93:94], v82 offset0:238 offset1:255
	s_waitcnt lgkmcnt(0)
	v_exp_f32_e32 v101, v101
	s_barrier
	buffer_gl0_inv
	v_dual_fmac_f32 v68, v101, v89 :: v_dual_sub_f32 v89, v96, v67
	v_dual_sub_f32 v82, v95, v67 :: v_dual_mul_f32 v95, 0x3fb8aa3b, v97
	v_exp_f32_e32 v97, v103
	s_delay_alu instid0(VALU_DEP_2) | instskip(NEXT) | instid1(VALU_DEP_2)
	v_dual_fmac_f32 v68, v102, v90 :: v_dual_mul_f32 v89, 0x3fb8aa3b, v89
	v_mul_f32_e32 v82, 0x3fb8aa3b, v82
	s_delay_alu instid0(VALU_DEP_3) | instskip(NEXT) | instid1(VALU_DEP_2)
	v_exp_f32_e32 v95, v95
	v_exp_f32_e32 v89, v89
	s_delay_alu instid0(VALU_DEP_1)
	v_exp_f32_e32 v82, v82
	v_fmac_f32_e32 v68, v97, v91
	s_delay_alu instid0(TRANS32_DEP_3) | instid1(VALU_DEP_1)
	v_fmac_f32_e32 v68, v95, v92
	s_waitcnt_depctr 0xfff
	v_fmac_f32_e32 v68, v82, v93
	s_delay_alu instid0(VALU_DEP_1) | instskip(NEXT) | instid1(VALU_DEP_1)
	v_fmac_f32_e32 v68, v89, v94
	v_add_f32_e32 v90, 0x358637bd, v68
	s_delay_alu instid0(VALU_DEP_1) | instskip(NEXT) | instid1(VALU_DEP_1)
	v_div_scale_f32 v91, null, v90, v90, 1.0
	v_rcp_f32_e32 v92, v91
	s_waitcnt_depctr 0xfff
	v_fma_f32 v93, -v91, v92, 1.0
	s_delay_alu instid0(VALU_DEP_1) | instskip(SKIP_1) | instid1(VALU_DEP_2)
	v_dual_fmac_f32 v92, v93, v92 :: v_dual_cndmask_b32 v93, v100, v99
	v_cmp_eq_u32_e32 vcc_lo, 3, v66
	v_cndmask_b32_e64 v93, v93, v101, s3
	v_cmp_eq_u32_e64 s3, 4, v66
	s_delay_alu instid0(VALU_DEP_2) | instskip(SKIP_1) | instid1(VALU_DEP_2)
	v_cndmask_b32_e32 v93, v93, v102, vcc_lo
	v_cmp_eq_u32_e32 vcc_lo, 5, v66
	v_cndmask_b32_e64 v93, v93, v97, s3
	v_cmp_eq_u32_e64 s3, 6, v66
	s_delay_alu instid0(VALU_DEP_2) | instskip(SKIP_1) | instid1(VALU_DEP_1)
	v_cndmask_b32_e32 v93, v93, v95, vcc_lo
	v_div_scale_f32 v94, s4, 1.0, v90, 1.0
	s_mov_b32 vcc_lo, s4
	s_delay_alu instid0(VALU_DEP_2) | instskip(NEXT) | instid1(VALU_DEP_2)
	v_cndmask_b32_e64 v82, v93, v82, s3
	v_mul_f32_e32 v96, v94, v92
	s_mov_b32 s3, exec_lo
	s_delay_alu instid0(VALU_DEP_2) | instskip(NEXT) | instid1(VALU_DEP_2)
	v_cndmask_b32_e64 v82, v82, v89, s5
	v_fma_f32 v98, -v91, v96, v94
	s_delay_alu instid0(VALU_DEP_1) | instskip(NEXT) | instid1(VALU_DEP_1)
	v_fmac_f32_e32 v96, v98, v92
	v_fma_f32 v91, -v91, v96, v94
	s_delay_alu instid0(VALU_DEP_1) | instskip(NEXT) | instid1(VALU_DEP_1)
	v_div_fmas_f32 v91, v91, v92, v96
	v_div_fixup_f32 v90, v91, v90, 1.0
	s_delay_alu instid0(VALU_DEP_1) | instskip(NEXT) | instid1(VALU_DEP_1)
	v_mul_f32_e32 v82, v82, v90
	v_mul_f32_e32 v87, v82, v87
	;; [unrolled: 1-line block ×7, first 2 shown]
	v_dual_mul_f32 v86, v82, v83 :: v_dual_and_b32 v91, 0x7f800000, v90
	v_mul_f32_e32 v85, v82, v76
                                        ; implicit-def: $vgpr76
	s_delay_alu instid0(VALU_DEP_2)
	v_cmpx_ne_u32_e32 0x7f800000, v91
	s_xor_b32 s3, exec_lo, s3
; %bb.13:
	v_bfe_u32 v76, v90, 16, 1
	s_delay_alu instid0(VALU_DEP_1)
	v_add3_u32 v76, v90, v76, 0x7fff
                                        ; implicit-def: $vgpr90
; %bb.14:
	s_and_not1_saveexec_b32 s3, s3
; %bb.15:
	v_and_b32_e32 v76, 0xffff, v90
	v_or_b32_e32 v83, 0x10000, v90
	s_delay_alu instid0(VALU_DEP_2) | instskip(NEXT) | instid1(VALU_DEP_2)
	v_cmp_eq_u32_e32 vcc_lo, 0, v76
	v_cndmask_b32_e32 v76, v83, v90, vcc_lo
; %bb.16:
	s_or_b32 exec_lo, exec_lo, s3
	v_and_b32_e32 v83, 0x7f800000, v85
	s_delay_alu instid0(VALU_DEP_1) | instskip(SKIP_1) | instid1(SALU_CYCLE_1)
	v_cmp_ne_u32_e32 vcc_lo, 0x7f800000, v83
                                        ; implicit-def: $vgpr83
	s_and_saveexec_b32 s3, vcc_lo
	s_xor_b32 s3, exec_lo, s3
; %bb.17:
	v_bfe_u32 v83, v85, 16, 1
	s_delay_alu instid0(VALU_DEP_1)
	v_add3_u32 v83, v85, v83, 0x7fff
                                        ; implicit-def: $vgpr85
; %bb.18:
	s_and_not1_saveexec_b32 s3, s3
; %bb.19:
	v_and_b32_e32 v83, 0xffff, v85
	v_or_b32_e32 v90, 0x10000, v85
	s_delay_alu instid0(VALU_DEP_2) | instskip(NEXT) | instid1(VALU_DEP_2)
	v_cmp_eq_u32_e32 vcc_lo, 0, v83
	v_cndmask_b32_e32 v83, v90, v85, vcc_lo
; %bb.20:
	s_or_b32 exec_lo, exec_lo, s3
	v_and_b32_e32 v85, 0x7f800000, v86
	s_delay_alu instid0(VALU_DEP_1) | instskip(SKIP_1) | instid1(SALU_CYCLE_1)
	v_cmp_ne_u32_e32 vcc_lo, 0x7f800000, v85
                                        ; implicit-def: $vgpr85
	s_and_saveexec_b32 s3, vcc_lo
	s_xor_b32 s3, exec_lo, s3
; %bb.21:
	v_bfe_u32 v85, v86, 16, 1
	s_delay_alu instid0(VALU_DEP_1)
	v_add3_u32 v85, v86, v85, 0x7fff
                                        ; implicit-def: $vgpr86
; %bb.22:
	s_and_not1_saveexec_b32 s3, s3
; %bb.23:
	v_and_b32_e32 v85, 0xffff, v86
	v_or_b32_e32 v90, 0x10000, v86
	s_delay_alu instid0(VALU_DEP_2) | instskip(NEXT) | instid1(VALU_DEP_2)
	v_cmp_eq_u32_e32 vcc_lo, 0, v85
	v_cndmask_b32_e32 v85, v90, v86, vcc_lo
; %bb.24:
	s_or_b32 exec_lo, exec_lo, s3
	v_and_b32_e32 v86, 0x7f800000, v89
	s_delay_alu instid0(VALU_DEP_1) | instskip(SKIP_1) | instid1(SALU_CYCLE_1)
	v_cmp_ne_u32_e32 vcc_lo, 0x7f800000, v86
                                        ; implicit-def: $vgpr86
	s_and_saveexec_b32 s3, vcc_lo
	s_xor_b32 s3, exec_lo, s3
; %bb.25:
	v_bfe_u32 v86, v89, 16, 1
	s_delay_alu instid0(VALU_DEP_1)
	v_add3_u32 v86, v89, v86, 0x7fff
                                        ; implicit-def: $vgpr89
; %bb.26:
	s_and_not1_saveexec_b32 s3, s3
; %bb.27:
	v_and_b32_e32 v86, 0xffff, v89
	v_or_b32_e32 v90, 0x10000, v89
	s_delay_alu instid0(VALU_DEP_2) | instskip(NEXT) | instid1(VALU_DEP_2)
	v_cmp_eq_u32_e32 vcc_lo, 0, v86
	v_cndmask_b32_e32 v86, v90, v89, vcc_lo
; %bb.28:
	s_or_b32 exec_lo, exec_lo, s3
	v_and_b32_e32 v89, 0x7f800000, v88
	s_delay_alu instid0(VALU_DEP_1) | instskip(SKIP_1) | instid1(SALU_CYCLE_1)
	v_cmp_ne_u32_e32 vcc_lo, 0x7f800000, v89
                                        ; implicit-def: $vgpr89
	s_and_saveexec_b32 s3, vcc_lo
	s_xor_b32 s3, exec_lo, s3
; %bb.29:
	v_bfe_u32 v89, v88, 16, 1
	s_delay_alu instid0(VALU_DEP_1)
	v_add3_u32 v89, v88, v89, 0x7fff
                                        ; implicit-def: $vgpr88
; %bb.30:
	s_and_not1_saveexec_b32 s3, s3
; %bb.31:
	v_and_b32_e32 v89, 0xffff, v88
	v_or_b32_e32 v90, 0x10000, v88
	s_delay_alu instid0(VALU_DEP_2) | instskip(NEXT) | instid1(VALU_DEP_2)
	v_cmp_eq_u32_e32 vcc_lo, 0, v89
	v_cndmask_b32_e32 v89, v90, v88, vcc_lo
; %bb.32:
	s_or_b32 exec_lo, exec_lo, s3
	v_and_b32_e32 v88, 0x7f800000, v87
	s_delay_alu instid0(VALU_DEP_1) | instskip(SKIP_1) | instid1(SALU_CYCLE_1)
	v_cmp_ne_u32_e32 vcc_lo, 0x7f800000, v88
                                        ; implicit-def: $vgpr88
	s_and_saveexec_b32 s3, vcc_lo
	s_xor_b32 s3, exec_lo, s3
; %bb.33:
	v_bfe_u32 v88, v87, 16, 1
	s_delay_alu instid0(VALU_DEP_1)
	v_add3_u32 v88, v87, v88, 0x7fff
                                        ; implicit-def: $vgpr87
; %bb.34:
	s_and_not1_saveexec_b32 s3, s3
; %bb.35:
	v_and_b32_e32 v88, 0xffff, v87
	v_or_b32_e32 v90, 0x10000, v87
	s_delay_alu instid0(VALU_DEP_2) | instskip(NEXT) | instid1(VALU_DEP_2)
	v_cmp_eq_u32_e32 vcc_lo, 0, v88
	v_cndmask_b32_e32 v88, v90, v87, vcc_lo
; %bb.36:
	s_or_b32 exec_lo, exec_lo, s3
	v_and_b32_e32 v87, 0x7f800000, v84
	s_delay_alu instid0(VALU_DEP_1) | instskip(SKIP_1) | instid1(SALU_CYCLE_1)
	v_cmp_ne_u32_e32 vcc_lo, 0x7f800000, v87
                                        ; implicit-def: $vgpr87
	s_and_saveexec_b32 s3, vcc_lo
	s_xor_b32 s3, exec_lo, s3
; %bb.37:
	v_bfe_u32 v87, v84, 16, 1
	s_delay_alu instid0(VALU_DEP_1)
	v_add3_u32 v87, v84, v87, 0x7fff
                                        ; implicit-def: $vgpr84
; %bb.38:
	s_and_not1_saveexec_b32 s3, s3
; %bb.39:
	v_and_b32_e32 v87, 0xffff, v84
	v_or_b32_e32 v90, 0x10000, v84
	s_delay_alu instid0(VALU_DEP_2) | instskip(NEXT) | instid1(VALU_DEP_2)
	v_cmp_eq_u32_e32 vcc_lo, 0, v87
	v_cndmask_b32_e32 v87, v90, v84, vcc_lo
; %bb.40:
	s_or_b32 exec_lo, exec_lo, s3
	v_and_b32_e32 v84, 0x7f800000, v80
	s_delay_alu instid0(VALU_DEP_1) | instskip(SKIP_1) | instid1(SALU_CYCLE_1)
	v_cmp_ne_u32_e32 vcc_lo, 0x7f800000, v84
                                        ; implicit-def: $vgpr84
	s_and_saveexec_b32 s3, vcc_lo
	s_xor_b32 s3, exec_lo, s3
; %bb.41:
	v_bfe_u32 v84, v80, 16, 1
	s_delay_alu instid0(VALU_DEP_1)
	v_add3_u32 v84, v80, v84, 0x7fff
                                        ; implicit-def: $vgpr80
; %bb.42:
	s_and_not1_saveexec_b32 s3, s3
; %bb.43:
	v_and_b32_e32 v84, 0xffff, v80
	v_or_b32_e32 v90, 0x10000, v80
	s_delay_alu instid0(VALU_DEP_2) | instskip(NEXT) | instid1(VALU_DEP_2)
	v_cmp_eq_u32_e32 vcc_lo, 0, v84
	v_cndmask_b32_e32 v84, v90, v80, vcc_lo
; %bb.44:
	s_or_b32 exec_lo, exec_lo, s3
	s_load_b64 s[34:35], s[0:1], 0x94
	v_lshlrev_b32_e32 v91, 4, v74
	s_delay_alu instid0(VALU_DEP_2)
	v_perm_b32 v90, v84, v87, 0x7060302
	v_dual_mul_f32 v79, v82, v79 :: v_dual_lshlrev_b32 v80, 6, v65
	v_dual_mul_f32 v77, v82, v77 :: v_dual_lshlrev_b32 v92, 11, v66
	v_mul_f32_e32 v84, v82, v70
	v_perm_b32 v89, v88, v89, 0x7060302
	v_perm_b32 v88, v86, v85, 0x7060302
	;; [unrolled: 1-line block ×3, first 2 shown]
	v_mul_f32_e32 v70, v82, v81
	v_or3_b32 v76, v91, v92, v80
	v_dual_mul_f32 v78, v82, v78 :: v_dual_and_b32 v85, 0x7f800000, v84
	v_mul_f32_e32 v83, v82, v72
	v_mul_f32_e32 v81, v82, v71
	;; [unrolled: 1-line block ×3, first 2 shown]
	s_mov_b32 s3, exec_lo
	ds_store_b128 v76, v[87:90]
                                        ; implicit-def: $vgpr69
	v_cmpx_ne_u32_e32 0x7f800000, v85
	s_xor_b32 s3, exec_lo, s3
; %bb.45:
	v_bfe_u32 v69, v84, 16, 1
	s_delay_alu instid0(VALU_DEP_1)
	v_add3_u32 v69, v84, v69, 0x7fff
                                        ; implicit-def: $vgpr84
; %bb.46:
	s_and_not1_saveexec_b32 s3, s3
; %bb.47:
	v_and_b32_e32 v69, 0xffff, v84
	v_or_b32_e32 v71, 0x10000, v84
	s_delay_alu instid0(VALU_DEP_2) | instskip(NEXT) | instid1(VALU_DEP_2)
	v_cmp_eq_u32_e32 vcc_lo, 0, v69
	v_cndmask_b32_e32 v69, v71, v84, vcc_lo
; %bb.48:
	s_or_b32 exec_lo, exec_lo, s3
	v_and_b32_e32 v71, 0x7f800000, v72
	s_delay_alu instid0(VALU_DEP_1) | instskip(SKIP_1) | instid1(SALU_CYCLE_1)
	v_cmp_ne_u32_e32 vcc_lo, 0x7f800000, v71
                                        ; implicit-def: $vgpr71
	s_and_saveexec_b32 s3, vcc_lo
	s_xor_b32 s3, exec_lo, s3
; %bb.49:
	v_bfe_u32 v71, v72, 16, 1
	s_delay_alu instid0(VALU_DEP_1)
	v_add3_u32 v71, v72, v71, 0x7fff
                                        ; implicit-def: $vgpr72
; %bb.50:
	s_and_not1_saveexec_b32 s3, s3
; %bb.51:
	v_and_b32_e32 v71, 0xffff, v72
	v_or_b32_e32 v82, 0x10000, v72
	s_delay_alu instid0(VALU_DEP_2) | instskip(NEXT) | instid1(VALU_DEP_2)
	v_cmp_eq_u32_e32 vcc_lo, 0, v71
	v_cndmask_b32_e32 v71, v82, v72, vcc_lo
; %bb.52:
	s_or_b32 exec_lo, exec_lo, s3
	v_and_b32_e32 v72, 0x7f800000, v81
	s_delay_alu instid0(VALU_DEP_1) | instskip(SKIP_1) | instid1(SALU_CYCLE_1)
	v_cmp_ne_u32_e32 vcc_lo, 0x7f800000, v72
                                        ; implicit-def: $vgpr72
	s_and_saveexec_b32 s3, vcc_lo
	s_xor_b32 s3, exec_lo, s3
; %bb.53:
	v_bfe_u32 v72, v81, 16, 1
	s_delay_alu instid0(VALU_DEP_1)
	v_add3_u32 v72, v81, v72, 0x7fff
                                        ; implicit-def: $vgpr81
; %bb.54:
	s_and_not1_saveexec_b32 s3, s3
; %bb.55:
	v_and_b32_e32 v72, 0xffff, v81
	v_or_b32_e32 v82, 0x10000, v81
	s_delay_alu instid0(VALU_DEP_2) | instskip(NEXT) | instid1(VALU_DEP_2)
	v_cmp_eq_u32_e32 vcc_lo, 0, v72
	v_cndmask_b32_e32 v72, v82, v81, vcc_lo
; %bb.56:
	s_or_b32 exec_lo, exec_lo, s3
	v_and_b32_e32 v81, 0x7f800000, v83
	s_delay_alu instid0(VALU_DEP_1) | instskip(SKIP_1) | instid1(SALU_CYCLE_1)
	v_cmp_ne_u32_e32 vcc_lo, 0x7f800000, v81
                                        ; implicit-def: $vgpr81
	s_and_saveexec_b32 s3, vcc_lo
	s_xor_b32 s3, exec_lo, s3
; %bb.57:
	v_bfe_u32 v81, v83, 16, 1
	s_delay_alu instid0(VALU_DEP_1)
	v_add3_u32 v81, v83, v81, 0x7fff
                                        ; implicit-def: $vgpr83
; %bb.58:
	s_and_not1_saveexec_b32 s3, s3
; %bb.59:
	v_and_b32_e32 v81, 0xffff, v83
	v_or_b32_e32 v82, 0x10000, v83
	s_delay_alu instid0(VALU_DEP_2) | instskip(NEXT) | instid1(VALU_DEP_2)
	v_cmp_eq_u32_e32 vcc_lo, 0, v81
	v_cndmask_b32_e32 v81, v82, v83, vcc_lo
; %bb.60:
	s_or_b32 exec_lo, exec_lo, s3
	v_and_b32_e32 v82, 0x7f800000, v77
	s_delay_alu instid0(VALU_DEP_1) | instskip(SKIP_1) | instid1(SALU_CYCLE_1)
	v_cmp_ne_u32_e32 vcc_lo, 0x7f800000, v82
                                        ; implicit-def: $vgpr82
	s_and_saveexec_b32 s3, vcc_lo
	s_xor_b32 s3, exec_lo, s3
; %bb.61:
	v_bfe_u32 v82, v77, 16, 1
	s_delay_alu instid0(VALU_DEP_1)
	v_add3_u32 v82, v77, v82, 0x7fff
                                        ; implicit-def: $vgpr77
; %bb.62:
	s_and_not1_saveexec_b32 s3, s3
; %bb.63:
	v_and_b32_e32 v82, 0xffff, v77
	v_or_b32_e32 v83, 0x10000, v77
	s_delay_alu instid0(VALU_DEP_2) | instskip(NEXT) | instid1(VALU_DEP_2)
	v_cmp_eq_u32_e32 vcc_lo, 0, v82
	v_cndmask_b32_e32 v82, v83, v77, vcc_lo
; %bb.64:
	s_or_b32 exec_lo, exec_lo, s3
	v_and_b32_e32 v77, 0x7f800000, v78
	s_delay_alu instid0(VALU_DEP_1) | instskip(SKIP_1) | instid1(SALU_CYCLE_1)
	v_cmp_ne_u32_e32 vcc_lo, 0x7f800000, v77
                                        ; implicit-def: $vgpr77
	s_and_saveexec_b32 s3, vcc_lo
	s_xor_b32 s3, exec_lo, s3
; %bb.65:
	v_bfe_u32 v77, v78, 16, 1
	s_delay_alu instid0(VALU_DEP_1)
	v_add3_u32 v77, v78, v77, 0x7fff
                                        ; implicit-def: $vgpr78
; %bb.66:
	s_and_not1_saveexec_b32 s3, s3
; %bb.67:
	v_and_b32_e32 v77, 0xffff, v78
	v_or_b32_e32 v83, 0x10000, v78
	s_delay_alu instid0(VALU_DEP_2) | instskip(NEXT) | instid1(VALU_DEP_2)
	v_cmp_eq_u32_e32 vcc_lo, 0, v77
	v_cndmask_b32_e32 v77, v83, v78, vcc_lo
; %bb.68:
	s_or_b32 exec_lo, exec_lo, s3
	v_and_b32_e32 v78, 0x7f800000, v79
	s_delay_alu instid0(VALU_DEP_1) | instskip(SKIP_1) | instid1(SALU_CYCLE_1)
	v_cmp_ne_u32_e32 vcc_lo, 0x7f800000, v78
                                        ; implicit-def: $vgpr78
	s_and_saveexec_b32 s3, vcc_lo
	s_xor_b32 s3, exec_lo, s3
; %bb.69:
	v_bfe_u32 v78, v79, 16, 1
	s_delay_alu instid0(VALU_DEP_1)
	v_add3_u32 v78, v79, v78, 0x7fff
                                        ; implicit-def: $vgpr79
; %bb.70:
	s_and_not1_saveexec_b32 s3, s3
; %bb.71:
	v_and_b32_e32 v78, 0xffff, v79
	v_or_b32_e32 v83, 0x10000, v79
	s_delay_alu instid0(VALU_DEP_2) | instskip(NEXT) | instid1(VALU_DEP_2)
	v_cmp_eq_u32_e32 vcc_lo, 0, v78
	v_cndmask_b32_e32 v78, v83, v79, vcc_lo
; %bb.72:
	s_or_b32 exec_lo, exec_lo, s3
	v_and_b32_e32 v79, 0x7f800000, v70
	s_delay_alu instid0(VALU_DEP_1) | instskip(SKIP_1) | instid1(SALU_CYCLE_1)
	v_cmp_ne_u32_e32 vcc_lo, 0x7f800000, v79
                                        ; implicit-def: $vgpr79
	s_and_saveexec_b32 s3, vcc_lo
	s_xor_b32 s3, exec_lo, s3
; %bb.73:
	v_bfe_u32 v79, v70, 16, 1
	s_delay_alu instid0(VALU_DEP_1)
	v_add3_u32 v79, v70, v79, 0x7fff
                                        ; implicit-def: $vgpr70
; %bb.74:
	s_and_not1_saveexec_b32 s3, s3
; %bb.75:
	v_and_b32_e32 v79, 0xffff, v70
	v_or_b32_e32 v83, 0x10000, v70
	s_delay_alu instid0(VALU_DEP_2) | instskip(NEXT) | instid1(VALU_DEP_2)
	v_cmp_eq_u32_e32 vcc_lo, 0, v79
	v_cndmask_b32_e32 v79, v83, v70, vcc_lo
; %bb.76:
	s_or_b32 exec_lo, exec_lo, s3
	s_delay_alu instid0(VALU_DEP_1)
	v_perm_b32 v86, v79, v78, 0x7060302
	v_perm_b32 v85, v77, v82, 0x7060302
	;; [unrolled: 1-line block ×4, first 2 shown]
	v_lshl_or_b32 v82, v66, 11, v80
	ds_store_b128 v76, v[83:86] offset:1024
	s_waitcnt lgkmcnt(0)
	s_barrier
	buffer_gl0_inv
	ds_load_b128 v[69:72], v82
	ds_load_b128 v[83:86], v82 offset:16
	s_waitcnt lgkmcnt(1)
	v_lshrrev_b32_e32 v66, 16, v69
	s_waitcnt lgkmcnt(0)
	v_lshrrev_b32_e32 v91, 16, v83
	v_lshlrev_b32_e32 v78, 2, v74
	v_lshrrev_b32_e32 v95, 16, v70
	v_lshrrev_b32_e32 v98, 16, v84
	;; [unrolled: 1-line block ×4, first 2 shown]
	v_cmp_eq_u32_e32 vcc_lo, 1, v78
	v_lshrrev_b32_e32 v97, 16, v72
	v_lshrrev_b32_e32 v100, 16, v86
	v_cndmask_b32_e32 v87, v83, v91, vcc_lo
	v_or_b32_e32 v79, 1, v78
	v_cndmask_b32_e32 v81, v69, v66, vcc_lo
	v_cmp_eq_u32_e64 s4, 2, v78
	v_cmp_eq_u32_e64 s7, 3, v78
	;; [unrolled: 1-line block ×5, first 2 shown]
	v_cndmask_b32_e64 v81, v81, v70, s4
	v_cndmask_b32_e64 v87, v87, v84, s4
	v_cmp_eq_u32_e64 s8, 3, v79
	v_cndmask_b32_e64 v88, v69, v66, s3
	v_or_b32_e32 v77, 2, v78
	v_cndmask_b32_e64 v81, v81, v95, s7
	v_cndmask_b32_e64 v87, v87, v98, s7
	;; [unrolled: 1-line block ×4, first 2 shown]
	v_cmp_eq_u32_e64 s10, 5, v78
	v_cndmask_b32_e64 v81, v81, v71, s9
	v_cndmask_b32_e64 v87, v87, v85, s9
	v_cmp_eq_u32_e64 s11, 4, v79
	v_cndmask_b32_e64 v88, v88, v95, s8
	v_cmp_eq_u32_e64 s5, 1, v77
	v_cndmask_b32_e64 v89, v89, v84, s6
	v_cndmask_b32_e64 v81, v81, v96, s10
	v_cmp_eq_u32_e64 s12, 6, v78
	v_cndmask_b32_e64 v88, v88, v71, s11
	;; [unrolled: 3-line block ×3, first 2 shown]
	v_cndmask_b32_e64 v89, v89, v98, s8
	v_cndmask_b32_e64 v81, v81, v72, s12
	v_cmp_eq_u32_e64 s15, 7, v78
	v_cndmask_b32_e64 v88, v88, v96, s13
	v_cndmask_b32_e64 v87, v87, v86, s12
	v_cmp_eq_u32_e64 s16, 6, v79
	v_cmp_eq_u32_e64 s17, 2, v77
	v_cndmask_b32_e64 v89, v89, v85, s11
	v_cndmask_b32_e64 v101, v81, v97, s15
	;; [unrolled: 1-line block ×6, first 2 shown]
	v_cmp_eq_u32_e64 s18, 7, v79
	v_cmp_eq_u32_e64 s19, 3, v77
	;; [unrolled: 1-line block ×4, first 2 shown]
	v_cndmask_b32_e64 v87, v87, v84, s17
	v_cndmask_b32_e64 v103, v88, v97, s18
	;; [unrolled: 1-line block ×4, first 2 shown]
	v_or_b32_e32 v81, 3, v78
	v_cndmask_b32_e64 v93, v87, v98, s19
	v_cmp_eq_u32_e64 s24, 6, v77
	v_cndmask_b32_e64 v104, v88, v86, s16
	v_cndmask_b32_e64 v92, v89, v71, s20
	v_cmp_eq_u32_e64 s21, 1, v81
	ds_load_b128 v[87:90], v82 offset:1024
	v_cmp_eq_u32_e64 s23, 2, v81
	v_cmp_eq_u32_e64 s25, 3, v81
	v_cndmask_b32_e64 v105, v92, v96, s22
	v_cndmask_b32_e64 v66, v69, v66, s21
	v_cndmask_b32_e64 v69, v93, v85, s20
	v_cndmask_b32_e64 v83, v83, v91, s21
	ds_load_b128 v[91:94], v82 offset:1040
	v_cmp_eq_u32_e64 s26, 4, v81
	v_cndmask_b32_e64 v66, v66, v70, s23
	v_cmp_eq_u32_e64 s27, 7, v77
	v_cndmask_b32_e64 v70, v83, v84, s23
	v_cndmask_b32_e64 v84, v105, v72, s24
	v_cmp_eq_u32_e64 s28, 5, v81
	v_cndmask_b32_e64 v66, v66, v95, s25
	v_cmp_eq_u32_e64 s29, 6, v81
	v_cndmask_b32_e64 v70, v70, v98, s25
	v_cndmask_b32_e64 v69, v69, v99, s22
	;; [unrolled: 1-line block ×4, first 2 shown]
	s_waitcnt lgkmcnt(1)
	v_lshrrev_b32_e32 v95, 16, v87
	v_cndmask_b32_e64 v70, v70, v85, s26
	v_cndmask_b32_e64 v71, v84, v97, s27
	;; [unrolled: 1-line block ×4, first 2 shown]
	v_cndmask_b32_e32 v84, v87, v95, vcc_lo
	v_cndmask_b32_e64 v70, v70, v99, s28
	s_waitcnt lgkmcnt(0)
	v_lshrrev_b32_e32 v85, 16, v91
	v_lshrrev_b32_e32 v96, 16, v88
	v_cndmask_b32_e64 v98, v87, v95, s3
	v_cndmask_b32_e64 v84, v84, v88, s4
	;; [unrolled: 1-line block ×3, first 2 shown]
	v_cndmask_b32_e32 v99, v91, v85, vcc_lo
	v_cmp_eq_u32_e32 vcc_lo, 7, v81
	v_cndmask_b32_e64 v66, v66, v72, s29
	v_cndmask_b32_e64 v72, v84, v96, s7
	;; [unrolled: 1-line block ×3, first 2 shown]
	v_lshrrev_b32_e32 v98, 16, v92
	v_cndmask_b32_e32 v70, v70, v100, vcc_lo
	v_cndmask_b32_e64 v86, v99, v92, s4
	v_cndmask_b32_e64 v69, v69, v100, s27
	v_lshrrev_b32_e32 v100, 16, v93
	v_cndmask_b32_e64 v72, v72, v89, s9
	v_lshrrev_b32_e32 v99, 16, v89
	v_cndmask_b32_e64 v86, v86, v98, s7
	v_perm_b32 v71, v69, v71, 0x5040100
	v_cndmask_b32_e64 v84, v84, v96, s8
	s_delay_alu instid0(VALU_DEP_3) | instskip(NEXT) | instid1(VALU_DEP_2)
	v_cndmask_b32_e64 v86, v86, v93, s9
	v_cndmask_b32_e64 v84, v84, v89, s11
	s_delay_alu instid0(VALU_DEP_2) | instskip(NEXT) | instid1(VALU_DEP_1)
	v_cndmask_b32_e64 v86, v86, v100, s10
	v_cndmask_b32_e64 v69, v86, v94, s12
	;; [unrolled: 1-line block ×5, first 2 shown]
	s_delay_alu instid0(VALU_DEP_3) | instskip(NEXT) | instid1(VALU_DEP_3)
	v_cndmask_b32_e64 v86, v86, v88, s17
	v_cndmask_b32_e64 v87, v87, v88, s23
	s_delay_alu instid0(VALU_DEP_3) | instskip(NEXT) | instid1(VALU_DEP_3)
	v_cndmask_b32_e64 v88, v95, v92, s23
	v_cndmask_b32_e64 v86, v86, v96, s19
	;; [unrolled: 3-line block ×7, first 2 shown]
	s_delay_alu instid0(VALU_DEP_3) | instskip(SKIP_2) | instid1(VALU_DEP_2)
	v_cndmask_b32_e64 v88, v88, v94, s29
	v_cndmask_b32_e32 v66, v66, v97, vcc_lo
	v_cndmask_b32_e64 v97, v72, v99, s10
	v_perm_b32 v72, v70, v66, 0x5040100
	v_perm_b32 v70, v83, v103, 0x5040100
	v_cndmask_b32_e64 v103, v91, v85, s5
	v_cndmask_b32_e64 v85, v91, v85, s3
	;; [unrolled: 1-line block ×4, first 2 shown]
	v_lshrrev_b32_e32 v97, 16, v90
	v_cndmask_b32_e64 v91, v103, v92, s17
	v_cndmask_b32_e64 v85, v85, v92, s6
	;; [unrolled: 1-line block ×3, first 2 shown]
	s_mov_b32 s3, exec_lo
	v_cndmask_b32_e64 v83, v84, v97, s15
	v_cndmask_b32_e64 v91, v91, v98, s19
	v_cndmask_b32_e64 v85, v85, v98, s8
	v_lshrrev_b32_e32 v84, 16, v94
	v_cndmask_b32_e64 v66, v66, v97, s18
	v_cndmask_b32_e64 v90, v86, v97, s27
	;; [unrolled: 1-line block ×4, first 2 shown]
	v_dual_cndmask_b32 v86, v87, v97 :: v_dual_cndmask_b32 v87, v88, v84
	v_cndmask_b32_e64 v91, v69, v84, s15
	s_delay_alu instid0(VALU_DEP_4) | instskip(NEXT) | instid1(VALU_DEP_4)
	v_cndmask_b32_e64 v89, v89, v100, s22
	v_cndmask_b32_e64 v85, v85, v100, s13
	v_perm_b32 v69, v102, v101, 0x5040100
	v_perm_b32 v86, v87, v86, 0x5040100
	;; [unrolled: 1-line block ×3, first 2 shown]
	v_cndmask_b32_e64 v89, v89, v94, s24
	v_cndmask_b32_e64 v85, v85, v94, s16
	s_mul_i32 s8, s35, 7
	s_delay_alu instid0(VALU_DEP_2) | instskip(NEXT) | instid1(VALU_DEP_2)
	v_cndmask_b32_e64 v88, v89, v84, s27
	v_cndmask_b32_e64 v89, v85, v84, s18
	s_delay_alu instid0(VALU_DEP_2) | instskip(NEXT) | instid1(VALU_DEP_2)
	v_perm_b32 v85, v88, v90, 0x5040100
	v_perm_b32 v84, v89, v66, 0x5040100
	ds_store_b128 v76, v[69:72]
	ds_store_b128 v76, v[83:86] offset:1024
	v_cmpx_gt_u32_e32 7, v0
	s_cbranch_execz .LBB1652_78
; %bb.77:
	s_mul_i32 s4, s8, s30
	s_delay_alu instid0(SALU_CYCLE_1) | instskip(SKIP_1) | instid1(VALU_DEP_1)
	v_add3_u32 v69, s4, s31, v65
	s_load_b128 s[4:7], s[0:1], 0x58
	v_mad_u64_u32 v[65:66], null, v69, s34, s[14:15]
	s_delay_alu instid0(VALU_DEP_1) | instskip(NEXT) | instid1(VALU_DEP_1)
	v_ashrrev_i32_e32 v66, 31, v65
	v_lshlrev_b64 v[65:66], 2, v[65:66]
	s_waitcnt lgkmcnt(0)
	s_delay_alu instid0(VALU_DEP_1) | instskip(NEXT) | instid1(VALU_DEP_2)
	v_add_co_u32 v69, vcc_lo, s6, v65
	v_add_co_ci_u32_e32 v70, vcc_lo, s7, v66, vcc_lo
	v_add_co_u32 v65, vcc_lo, s4, v65
	v_add_co_ci_u32_e32 v66, vcc_lo, s5, v66, vcc_lo
	global_store_b32 v[69:70], v67, off
	global_store_b32 v[65:66], v68, off
.LBB1652_78:
	s_or_b32 exec_lo, exec_lo, s3
	s_waitcnt lgkmcnt(0)
	s_waitcnt_vscnt null, 0x0
	s_barrier
	buffer_gl0_inv
	ds_load_b128 v[83:86], v80
	ds_load_b128 v[87:90], v80 offset:16
	ds_load_b128 v[95:98], v80 offset:2064
	;; [unrolled: 1-line block ×3, first 2 shown]
	v_mov_b32_e32 v65, 0
	ds_load_b128 v[103:106], v80 offset:4112
	ds_load_b128 v[99:102], v80 offset:4096
	;; [unrolled: 1-line block ×4, first 2 shown]
	v_mov_b32_e32 v66, v65
	v_mov_b32_e32 v67, v65
	;; [unrolled: 1-line block ×7, first 2 shown]
	s_waitcnt lgkmcnt(6)
	s_delay_alu instid0(VALU_DEP_1)
	v_wmma_f32_16x16x16_bf16 v[65:72], v[41:48], v[83:90], v[65:72]
	ds_load_b128 v[45:48], v80 offset:8208
	ds_load_b128 v[41:44], v80 offset:8192
	s_waitcnt lgkmcnt(6)
	v_wmma_f32_16x16x16_bf16 v[65:72], v[33:40], v[91:98], v[65:72]
	ds_load_b128 v[37:40], v80 offset:10256
	ds_load_b128 v[33:36], v80 offset:10240
	s_waitcnt lgkmcnt(6)
	;; [unrolled: 4-line block ×4, first 2 shown]
	v_wmma_f32_16x16x16_bf16 v[65:72], v[1:8], v[41:48], v[65:72]
	s_waitcnt lgkmcnt(4)
	s_delay_alu instid0(VALU_DEP_1) | instskip(SKIP_1) | instid1(VALU_DEP_1)
	v_wmma_f32_16x16x16_bf16 v[65:72], v[9:16], v[33:40], v[65:72]
	s_waitcnt lgkmcnt(2)
	v_wmma_f32_16x16x16_bf16 v[65:72], v[57:64], v[25:32], v[65:72]
	s_waitcnt lgkmcnt(0)
	s_delay_alu instid0(VALU_DEP_1) | instskip(NEXT) | instid1(VALU_DEP_1)
	v_wmma_f32_16x16x16_bf16 v[65:72], v[49:56], v[17:24], v[65:72]
	v_and_b32_e32 v1, 0x7f800000, v65
	s_delay_alu instid0(VALU_DEP_1) | instskip(SKIP_1) | instid1(SALU_CYCLE_1)
	v_cmp_ne_u32_e32 vcc_lo, 0x7f800000, v1
                                        ; implicit-def: $vgpr1
	s_and_saveexec_b32 s3, vcc_lo
	s_xor_b32 s3, exec_lo, s3
; %bb.79:
	v_bfe_u32 v1, v65, 16, 1
	s_delay_alu instid0(VALU_DEP_1)
	v_add3_u32 v1, v65, v1, 0x7fff
; %bb.80:
	s_and_not1_saveexec_b32 s3, s3
; %bb.81:
	v_and_b32_e32 v1, 0xffff, v65
	v_or_b32_e32 v2, 0x10000, v65
	s_delay_alu instid0(VALU_DEP_2) | instskip(NEXT) | instid1(VALU_DEP_2)
	v_cmp_eq_u32_e32 vcc_lo, 0, v1
	v_cndmask_b32_e32 v1, v2, v65, vcc_lo
; %bb.82:
	s_or_b32 exec_lo, exec_lo, s3
	v_and_b32_e32 v2, 0x7f800000, v66
	s_delay_alu instid0(VALU_DEP_1) | instskip(SKIP_1) | instid1(SALU_CYCLE_1)
	v_cmp_ne_u32_e32 vcc_lo, 0x7f800000, v2
                                        ; implicit-def: $vgpr2
	s_and_saveexec_b32 s3, vcc_lo
	s_xor_b32 s3, exec_lo, s3
; %bb.83:
	v_bfe_u32 v2, v66, 16, 1
	s_delay_alu instid0(VALU_DEP_1)
	v_add3_u32 v2, v66, v2, 0x7fff
; %bb.84:
	s_and_not1_saveexec_b32 s3, s3
; %bb.85:
	v_and_b32_e32 v2, 0xffff, v66
	v_or_b32_e32 v3, 0x10000, v66
	s_delay_alu instid0(VALU_DEP_2) | instskip(NEXT) | instid1(VALU_DEP_2)
	v_cmp_eq_u32_e32 vcc_lo, 0, v2
	v_cndmask_b32_e32 v2, v3, v66, vcc_lo
; %bb.86:
	s_or_b32 exec_lo, exec_lo, s3
	v_and_b32_e32 v3, 0x7f800000, v67
	s_delay_alu instid0(VALU_DEP_1) | instskip(SKIP_1) | instid1(SALU_CYCLE_1)
	v_cmp_ne_u32_e32 vcc_lo, 0x7f800000, v3
                                        ; implicit-def: $vgpr3
	s_and_saveexec_b32 s3, vcc_lo
	s_xor_b32 s3, exec_lo, s3
; %bb.87:
	v_bfe_u32 v3, v67, 16, 1
	s_delay_alu instid0(VALU_DEP_1)
	v_add3_u32 v3, v67, v3, 0x7fff
; %bb.88:
	s_and_not1_saveexec_b32 s3, s3
; %bb.89:
	v_and_b32_e32 v3, 0xffff, v67
	v_or_b32_e32 v4, 0x10000, v67
	s_delay_alu instid0(VALU_DEP_2) | instskip(NEXT) | instid1(VALU_DEP_2)
	v_cmp_eq_u32_e32 vcc_lo, 0, v3
	v_cndmask_b32_e32 v3, v4, v67, vcc_lo
; %bb.90:
	s_or_b32 exec_lo, exec_lo, s3
	v_and_b32_e32 v4, 0x7f800000, v68
	s_delay_alu instid0(VALU_DEP_1) | instskip(SKIP_1) | instid1(SALU_CYCLE_1)
	v_cmp_ne_u32_e32 vcc_lo, 0x7f800000, v4
                                        ; implicit-def: $vgpr4
	s_and_saveexec_b32 s3, vcc_lo
	s_xor_b32 s3, exec_lo, s3
; %bb.91:
	v_bfe_u32 v4, v68, 16, 1
	s_delay_alu instid0(VALU_DEP_1)
	v_add3_u32 v4, v68, v4, 0x7fff
; %bb.92:
	s_and_not1_saveexec_b32 s3, s3
; %bb.93:
	v_and_b32_e32 v4, 0xffff, v68
	v_or_b32_e32 v5, 0x10000, v68
	s_delay_alu instid0(VALU_DEP_2) | instskip(NEXT) | instid1(VALU_DEP_2)
	v_cmp_eq_u32_e32 vcc_lo, 0, v4
	v_cndmask_b32_e32 v4, v5, v68, vcc_lo
; %bb.94:
	s_or_b32 exec_lo, exec_lo, s3
	v_and_b32_e32 v5, 0x7f800000, v69
	s_delay_alu instid0(VALU_DEP_1) | instskip(SKIP_1) | instid1(SALU_CYCLE_1)
	v_cmp_ne_u32_e32 vcc_lo, 0x7f800000, v5
                                        ; implicit-def: $vgpr5
	s_and_saveexec_b32 s3, vcc_lo
	s_xor_b32 s3, exec_lo, s3
; %bb.95:
	v_bfe_u32 v5, v69, 16, 1
	s_delay_alu instid0(VALU_DEP_1)
	v_add3_u32 v5, v69, v5, 0x7fff
; %bb.96:
	s_and_not1_saveexec_b32 s3, s3
; %bb.97:
	v_and_b32_e32 v5, 0xffff, v69
	v_or_b32_e32 v6, 0x10000, v69
	s_delay_alu instid0(VALU_DEP_2) | instskip(NEXT) | instid1(VALU_DEP_2)
	v_cmp_eq_u32_e32 vcc_lo, 0, v5
	v_cndmask_b32_e32 v5, v6, v69, vcc_lo
; %bb.98:
	s_or_b32 exec_lo, exec_lo, s3
	v_and_b32_e32 v6, 0x7f800000, v70
	s_delay_alu instid0(VALU_DEP_1) | instskip(SKIP_1) | instid1(SALU_CYCLE_1)
	v_cmp_ne_u32_e32 vcc_lo, 0x7f800000, v6
                                        ; implicit-def: $vgpr6
	s_and_saveexec_b32 s3, vcc_lo
	s_xor_b32 s3, exec_lo, s3
; %bb.99:
	v_bfe_u32 v6, v70, 16, 1
	s_delay_alu instid0(VALU_DEP_1)
	v_add3_u32 v6, v70, v6, 0x7fff
; %bb.100:
	s_and_not1_saveexec_b32 s3, s3
; %bb.101:
	v_and_b32_e32 v6, 0xffff, v70
	v_or_b32_e32 v7, 0x10000, v70
	s_delay_alu instid0(VALU_DEP_2) | instskip(NEXT) | instid1(VALU_DEP_2)
	v_cmp_eq_u32_e32 vcc_lo, 0, v6
	v_cndmask_b32_e32 v6, v7, v70, vcc_lo
; %bb.102:
	s_or_b32 exec_lo, exec_lo, s3
	v_and_b32_e32 v7, 0x7f800000, v71
	s_delay_alu instid0(VALU_DEP_1) | instskip(SKIP_1) | instid1(SALU_CYCLE_1)
	v_cmp_ne_u32_e32 vcc_lo, 0x7f800000, v7
                                        ; implicit-def: $vgpr7
	s_and_saveexec_b32 s3, vcc_lo
	s_xor_b32 s3, exec_lo, s3
; %bb.103:
	v_bfe_u32 v7, v71, 16, 1
	s_delay_alu instid0(VALU_DEP_1)
	v_add3_u32 v7, v71, v7, 0x7fff
; %bb.104:
	s_and_not1_saveexec_b32 s3, s3
; %bb.105:
	v_and_b32_e32 v7, 0xffff, v71
	v_or_b32_e32 v8, 0x10000, v71
	s_delay_alu instid0(VALU_DEP_2) | instskip(NEXT) | instid1(VALU_DEP_2)
	v_cmp_eq_u32_e32 vcc_lo, 0, v7
	v_cndmask_b32_e32 v7, v8, v71, vcc_lo
; %bb.106:
	s_or_b32 exec_lo, exec_lo, s3
	v_and_b32_e32 v8, 0x7f800000, v72
	s_delay_alu instid0(VALU_DEP_1) | instskip(SKIP_1) | instid1(SALU_CYCLE_1)
	v_cmp_ne_u32_e32 vcc_lo, 0x7f800000, v8
                                        ; implicit-def: $vgpr8
	s_and_saveexec_b32 s3, vcc_lo
	s_xor_b32 s3, exec_lo, s3
; %bb.107:
	v_bfe_u32 v8, v72, 16, 1
	s_delay_alu instid0(VALU_DEP_1)
	v_add3_u32 v8, v72, v8, 0x7fff
                                        ; implicit-def: $vgpr65_vgpr66_vgpr67_vgpr68_vgpr69_vgpr70_vgpr71_vgpr72
; %bb.108:
	s_and_not1_saveexec_b32 s3, s3
; %bb.109:
	v_and_b32_e32 v8, 0xffff, v72
	v_or_b32_e32 v9, 0x10000, v72
	s_delay_alu instid0(VALU_DEP_2) | instskip(NEXT) | instid1(VALU_DEP_2)
	v_cmp_eq_u32_e32 vcc_lo, 0, v8
	v_cndmask_b32_e32 v8, v9, v72, vcc_lo
; %bb.110:
	s_or_b32 exec_lo, exec_lo, s3
	s_delay_alu instid0(VALU_DEP_1)
	v_perm_b32 v7, v8, v7, 0x7060302
	v_perm_b32 v6, v6, v5, 0x7060302
	;; [unrolled: 1-line block ×4, first 2 shown]
	s_barrier
	buffer_gl0_inv
	v_cmp_eq_u32_e32 vcc_lo, 1, v78
	ds_store_b128 v76, v[4:7]
	s_waitcnt lgkmcnt(0)
	s_barrier
	buffer_gl0_inv
	ds_load_b128 v[1:4], v82
	ds_load_b128 v[5:8], v82 offset:16
	v_cmp_eq_u32_e64 s3, 1, v79
	v_cmp_eq_u32_e64 s4, 2, v78
	;; [unrolled: 1-line block ×5, first 2 shown]
	s_waitcnt lgkmcnt(1)
	v_lshrrev_b32_e32 v9, 16, v1
	s_waitcnt lgkmcnt(0)
	v_lshrrev_b32_e32 v13, 16, v5
	v_lshrrev_b32_e32 v10, 16, v2
	;; [unrolled: 1-line block ×4, first 2 shown]
	v_cndmask_b32_e64 v19, v1, v9, s3
	v_cndmask_b32_e32 v18, v5, v13, vcc_lo
	v_cndmask_b32_e64 v20, v5, v13, s3
	v_cndmask_b32_e32 v17, v1, v9, vcc_lo
	v_cmp_eq_u32_e32 vcc_lo, 2, v79
	v_lshrrev_b32_e32 v15, 16, v7
	v_cmp_eq_u32_e64 s3, 1, v77
	v_lshrrev_b32_e32 v12, 16, v4
	v_lshrrev_b32_e32 v16, 16, v8
	v_cndmask_b32_e32 v20, v20, v6, vcc_lo
	v_cndmask_b32_e64 v17, v17, v2, s4
	v_cndmask_b32_e32 v19, v19, v2, vcc_lo
	v_cndmask_b32_e64 v18, v18, v6, s4
	v_cmp_eq_u32_e32 vcc_lo, 4, v78
	v_cmp_eq_u32_e64 s4, 3, v79
	v_cndmask_b32_e64 v17, v17, v10, s5
	v_cndmask_b32_e64 v21, v1, v9, s3
	;; [unrolled: 1-line block ×5, first 2 shown]
	v_cndmask_b32_e32 v17, v17, v3, vcc_lo
	v_cndmask_b32_e64 v20, v20, v14, s4
	v_cndmask_b32_e32 v18, v18, v7, vcc_lo
	v_cmp_eq_u32_e32 vcc_lo, 4, v79
	v_cmp_eq_u32_e64 s4, 5, v79
	v_cmp_eq_u32_e64 s3, 2, v81
	v_cndmask_b32_e64 v21, v21, v2, s7
	v_cmp_eq_u32_e64 s5, 5, v78
	v_cndmask_b32_e32 v19, v19, v3, vcc_lo
	v_cndmask_b32_e32 v20, v20, v7, vcc_lo
	v_cmp_eq_u32_e32 vcc_lo, 6, v79
	s_delay_alu instid0(VALU_DEP_4) | instskip(NEXT) | instid1(VALU_DEP_4)
	v_cndmask_b32_e64 v17, v17, v11, s5
	v_cndmask_b32_e64 v19, v19, v11, s4
	s_delay_alu instid0(VALU_DEP_4) | instskip(SKIP_1) | instid1(VALU_DEP_3)
	v_cndmask_b32_e64 v20, v20, v15, s4
	v_cmp_eq_u32_e64 s4, 1, v81
	v_cndmask_b32_e32 v19, v19, v4, vcc_lo
	v_cndmask_b32_e64 v18, v18, v15, s5
	s_delay_alu instid0(VALU_DEP_3)
	v_cndmask_b32_e64 v1, v1, v9, s4
	v_cndmask_b32_e64 v5, v5, v13, s4
	v_cmp_eq_u32_e64 s4, 3, v77
	v_cndmask_b32_e64 v13, v22, v6, s7
	v_cmp_eq_u32_e64 s7, 3, v81
	v_cndmask_b32_e64 v1, v1, v2, s3
	v_cndmask_b32_e64 v2, v5, v6, s3
	;; [unrolled: 1-line block ×3, first 2 shown]
	v_cmp_eq_u32_e64 s3, 4, v77
	v_cndmask_b32_e64 v6, v13, v14, s4
	v_cndmask_b32_e64 v1, v1, v10, s7
	v_cmp_eq_u32_e64 s4, 4, v81
	v_cndmask_b32_e64 v2, v2, v14, s7
	v_cndmask_b32_e64 v5, v9, v3, s3
	;; [unrolled: 3-line block ×3, first 2 shown]
	v_cndmask_b32_e64 v2, v2, v7, s4
	v_cmp_eq_u32_e64 s3, 5, v81
	v_cmp_eq_u32_e64 s5, 6, v78
	v_cndmask_b32_e64 v5, v5, v11, s7
	v_cmp_eq_u32_e64 s4, 6, v77
	v_cndmask_b32_e64 v3, v6, v15, s7
	v_cndmask_b32_e64 v1, v1, v11, s3
	v_cmp_eq_u32_e64 s7, 6, v81
	v_cndmask_b32_e64 v2, v2, v15, s3
	v_cndmask_b32_e64 v17, v17, v4, s5
	v_cndmask_b32_e64 v18, v18, v8, s5
	v_cmp_eq_u32_e64 s5, 7, v78
	v_cndmask_b32_e64 v5, v5, v4, s4
	v_cndmask_b32_e64 v3, v3, v8, s4
	v_cndmask_b32_e64 v1, v1, v4, s7
	v_cmp_eq_u32_e64 s3, 7, v81
	v_cndmask_b32_e64 v2, v2, v8, s7
	v_cmp_eq_u32_e64 s4, 7, v77
	v_cndmask_b32_e32 v4, v20, v8, vcc_lo
	v_cndmask_b32_e64 v17, v17, v12, s5
	v_cndmask_b32_e64 v19, v19, v12, s6
	;; [unrolled: 1-line block ×8, first 2 shown]
	s_mov_b32 s3, exec_lo
	v_perm_b32 v4, v2, v1, 0x5040100
	v_perm_b32 v3, v3, v5, 0x5040100
	;; [unrolled: 1-line block ×4, first 2 shown]
	ds_store_b128 v76, v[1:4]
	s_waitcnt lgkmcnt(0)
	s_barrier
	buffer_gl0_inv
	v_cmpx_gt_u32_e32 32, v0
	s_cbranch_execz .LBB1652_2
; %bb.111:
	s_load_b64 s[4:5], s[0:1], 0x68
	v_lshlrev_b32_e32 v0, 10, v0
	v_add_nc_u32_e32 v2, s31, v74
	v_lshlrev_b32_e32 v3, 4, v75
	s_lshl_b32 s0, s34, 7
	s_delay_alu instid0(SALU_CYCLE_1) | instskip(NEXT) | instid1(VALU_DEP_2)
	s_mul_i32 s1, s0, s30
	v_mul_lo_u32 v1, v2, s0
	s_delay_alu instid0(VALU_DEP_2)
	v_and_or_b32 v0, 0x3800, v0, v3
	v_add_nc_u32_e32 v3, 2, v2
	s_mul_i32 s6, s1, s8
	v_add_nc_u32_e32 v4, 4, v2
	s_ashr_i32 s7, s6, 31
	v_lshl_or_b32 v11, v74, 6, v0
	s_lshl_b64 s[6:7], s[6:7], 1
	v_mul_lo_u32 v15, v3, s0
	v_mul_lo_u32 v17, v4, s0
	v_ashrrev_i32_e32 v2, 31, v1
	ds_load_b128 v[3:6], v11
	ds_load_b128 v[7:10], v11 offset:128
	ds_load_b128 v[11:14], v11 offset:256
	s_waitcnt lgkmcnt(0)
	s_add_u32 s1, s4, s6
	s_addc_u32 s3, s5, s7
	s_lshl_b32 s4, s14, 7
	v_ashrrev_i32_e32 v16, 31, v15
	s_ashr_i32 s5, s4, 31
	v_lshlrev_b64 v[19:20], 1, v[1:2]
	s_lshl_b64 s[4:5], s[4:5], 1
	v_ashrrev_i32_e32 v18, 31, v17
	s_add_u32 s1, s1, s4
	s_addc_u32 s3, s3, s5
	v_add_co_u32 v1, s1, s1, v73
	s_delay_alu instid0(VALU_DEP_1) | instskip(SKIP_1) | instid1(VALU_DEP_3)
	v_add_co_ci_u32_e64 v2, null, s3, 0, s1
	v_lshlrev_b64 v[15:16], 1, v[15:16]
	v_add_co_u32 v19, vcc_lo, v1, v19
	v_lshlrev_b64 v[17:18], 1, v[17:18]
	s_delay_alu instid0(VALU_DEP_4) | instskip(NEXT) | instid1(VALU_DEP_4)
	v_add_co_ci_u32_e32 v20, vcc_lo, v2, v20, vcc_lo
	v_add_co_u32 v15, vcc_lo, v1, v15
	v_add_co_ci_u32_e32 v16, vcc_lo, v2, v16, vcc_lo
	s_delay_alu instid0(VALU_DEP_4)
	v_add_co_u32 v17, vcc_lo, v1, v17
	v_add_co_ci_u32_e32 v18, vcc_lo, v2, v18, vcc_lo
	s_clause 0x2
	global_store_b128 v[19:20], v[3:6], off
	global_store_b128 v[15:16], v[7:10], off
	;; [unrolled: 1-line block ×3, first 2 shown]
	s_and_b32 exec_lo, exec_lo, s2
	s_cbranch_execz .LBB1652_2
; %bb.112:
	ds_load_b128 v[3:6], v0 offset:384
	s_add_i32 s1, s31, 6
	s_delay_alu instid0(SALU_CYCLE_1) | instskip(NEXT) | instid1(SALU_CYCLE_1)
	s_mul_i32 s0, s1, s0
	s_ashr_i32 s1, s0, 31
	s_delay_alu instid0(SALU_CYCLE_1) | instskip(NEXT) | instid1(SALU_CYCLE_1)
	s_lshl_b64 s[0:1], s[0:1], 1
	v_add_co_u32 v0, vcc_lo, v1, s0
	v_add_co_ci_u32_e32 v1, vcc_lo, s1, v2, vcc_lo
	s_waitcnt lgkmcnt(0)
	global_store_b128 v[0:1], v[3:6], off
	s_nop 0
	s_sendmsg sendmsg(MSG_DEALLOC_VGPRS)
	s_endpgm
	.section	.rodata,"a",@progbits
	.p2align	6, 0x0
	.amdhsa_kernel _Z39paged_attention_ll4mi_QKV_mfma16_kernelI14__hip_bfloat16hLN4vllm18Fp8KVCacheDataTypeE1ES0_Li32ELi128ELi256ELb0ELi7EL8MFMAType1EEvPKT_PKT0_S9_ifPKiSB_SB_iPKfiiiPfSE_PS4_PT2_iSD_SD_
		.amdhsa_group_segment_fixed_size 17472
		.amdhsa_private_segment_fixed_size 0
		.amdhsa_kernarg_size 400
		.amdhsa_user_sgpr_count 13
		.amdhsa_user_sgpr_dispatch_ptr 0
		.amdhsa_user_sgpr_queue_ptr 0
		.amdhsa_user_sgpr_kernarg_segment_ptr 1
		.amdhsa_user_sgpr_dispatch_id 0
		.amdhsa_user_sgpr_private_segment_size 0
		.amdhsa_wavefront_size32 1
		.amdhsa_uses_dynamic_stack 0
		.amdhsa_enable_private_segment 0
		.amdhsa_system_sgpr_workgroup_id_x 1
		.amdhsa_system_sgpr_workgroup_id_y 1
		.amdhsa_system_sgpr_workgroup_id_z 1
		.amdhsa_system_sgpr_workgroup_info 0
		.amdhsa_system_vgpr_workitem_id 0
		.amdhsa_next_free_vgpr 140
		.amdhsa_next_free_sgpr 36
		.amdhsa_reserve_vcc 1
		.amdhsa_float_round_mode_32 0
		.amdhsa_float_round_mode_16_64 0
		.amdhsa_float_denorm_mode_32 3
		.amdhsa_float_denorm_mode_16_64 3
		.amdhsa_dx10_clamp 1
		.amdhsa_ieee_mode 1
		.amdhsa_fp16_overflow 0
		.amdhsa_workgroup_processor_mode 1
		.amdhsa_memory_ordered 1
		.amdhsa_forward_progress 0
		.amdhsa_shared_vgpr_count 0
		.amdhsa_exception_fp_ieee_invalid_op 0
		.amdhsa_exception_fp_denorm_src 0
		.amdhsa_exception_fp_ieee_div_zero 0
		.amdhsa_exception_fp_ieee_overflow 0
		.amdhsa_exception_fp_ieee_underflow 0
		.amdhsa_exception_fp_ieee_inexact 0
		.amdhsa_exception_int_div_zero 0
	.end_amdhsa_kernel
	.section	.text._Z39paged_attention_ll4mi_QKV_mfma16_kernelI14__hip_bfloat16hLN4vllm18Fp8KVCacheDataTypeE1ES0_Li32ELi128ELi256ELb0ELi7EL8MFMAType1EEvPKT_PKT0_S9_ifPKiSB_SB_iPKfiiiPfSE_PS4_PT2_iSD_SD_,"axG",@progbits,_Z39paged_attention_ll4mi_QKV_mfma16_kernelI14__hip_bfloat16hLN4vllm18Fp8KVCacheDataTypeE1ES0_Li32ELi128ELi256ELb0ELi7EL8MFMAType1EEvPKT_PKT0_S9_ifPKiSB_SB_iPKfiiiPfSE_PS4_PT2_iSD_SD_,comdat
.Lfunc_end1652:
	.size	_Z39paged_attention_ll4mi_QKV_mfma16_kernelI14__hip_bfloat16hLN4vllm18Fp8KVCacheDataTypeE1ES0_Li32ELi128ELi256ELb0ELi7EL8MFMAType1EEvPKT_PKT0_S9_ifPKiSB_SB_iPKfiiiPfSE_PS4_PT2_iSD_SD_, .Lfunc_end1652-_Z39paged_attention_ll4mi_QKV_mfma16_kernelI14__hip_bfloat16hLN4vllm18Fp8KVCacheDataTypeE1ES0_Li32ELi128ELi256ELb0ELi7EL8MFMAType1EEvPKT_PKT0_S9_ifPKiSB_SB_iPKfiiiPfSE_PS4_PT2_iSD_SD_
                                        ; -- End function
	.section	.AMDGPU.csdata,"",@progbits
; Kernel info:
; codeLenInByte = 8964
; NumSgprs: 38
; NumVgprs: 140
; ScratchSize: 0
; MemoryBound: 0
; FloatMode: 240
; IeeeMode: 1
; LDSByteSize: 17472 bytes/workgroup (compile time only)
; SGPRBlocks: 4
; VGPRBlocks: 17
; NumSGPRsForWavesPerEU: 38
; NumVGPRsForWavesPerEU: 140
; Occupancy: 10
; WaveLimiterHint : 1
; COMPUTE_PGM_RSRC2:SCRATCH_EN: 0
; COMPUTE_PGM_RSRC2:USER_SGPR: 13
; COMPUTE_PGM_RSRC2:TRAP_HANDLER: 0
; COMPUTE_PGM_RSRC2:TGID_X_EN: 1
; COMPUTE_PGM_RSRC2:TGID_Y_EN: 1
; COMPUTE_PGM_RSRC2:TGID_Z_EN: 1
; COMPUTE_PGM_RSRC2:TIDIG_COMP_CNT: 0
	.section	.text._Z39paged_attention_ll4mi_QKV_mfma16_kernelI14__hip_bfloat16hLN4vllm18Fp8KVCacheDataTypeE1ES0_Li32ELi128ELi256ELb0ELi8EL8MFMAType1EEvPKT_PKT0_S9_ifPKiSB_SB_iPKfiiiPfSE_PS4_PT2_iSD_SD_,"axG",@progbits,_Z39paged_attention_ll4mi_QKV_mfma16_kernelI14__hip_bfloat16hLN4vllm18Fp8KVCacheDataTypeE1ES0_Li32ELi128ELi256ELb0ELi8EL8MFMAType1EEvPKT_PKT0_S9_ifPKiSB_SB_iPKfiiiPfSE_PS4_PT2_iSD_SD_,comdat
	.protected	_Z39paged_attention_ll4mi_QKV_mfma16_kernelI14__hip_bfloat16hLN4vllm18Fp8KVCacheDataTypeE1ES0_Li32ELi128ELi256ELb0ELi8EL8MFMAType1EEvPKT_PKT0_S9_ifPKiSB_SB_iPKfiiiPfSE_PS4_PT2_iSD_SD_ ; -- Begin function _Z39paged_attention_ll4mi_QKV_mfma16_kernelI14__hip_bfloat16hLN4vllm18Fp8KVCacheDataTypeE1ES0_Li32ELi128ELi256ELb0ELi8EL8MFMAType1EEvPKT_PKT0_S9_ifPKiSB_SB_iPKfiiiPfSE_PS4_PT2_iSD_SD_
	.globl	_Z39paged_attention_ll4mi_QKV_mfma16_kernelI14__hip_bfloat16hLN4vllm18Fp8KVCacheDataTypeE1ES0_Li32ELi128ELi256ELb0ELi8EL8MFMAType1EEvPKT_PKT0_S9_ifPKiSB_SB_iPKfiiiPfSE_PS4_PT2_iSD_SD_
	.p2align	8
	.type	_Z39paged_attention_ll4mi_QKV_mfma16_kernelI14__hip_bfloat16hLN4vllm18Fp8KVCacheDataTypeE1ES0_Li32ELi128ELi256ELb0ELi8EL8MFMAType1EEvPKT_PKT0_S9_ifPKiSB_SB_iPKfiiiPfSE_PS4_PT2_iSD_SD_,@function
_Z39paged_attention_ll4mi_QKV_mfma16_kernelI14__hip_bfloat16hLN4vllm18Fp8KVCacheDataTypeE1ES0_Li32ELi128ELi256ELb0ELi8EL8MFMAType1EEvPKT_PKT0_S9_ifPKiSB_SB_iPKfiiiPfSE_PS4_PT2_iSD_SD_: ; @_Z39paged_attention_ll4mi_QKV_mfma16_kernelI14__hip_bfloat16hLN4vllm18Fp8KVCacheDataTypeE1ES0_Li32ELi128ELi256ELb0ELi8EL8MFMAType1EEvPKT_PKT0_S9_ifPKiSB_SB_iPKfiiiPfSE_PS4_PT2_iSD_SD_
; %bb.0:
	s_load_b64 s[4:5], s[0:1], 0x30
	s_mov_b32 s30, s13
	s_waitcnt lgkmcnt(0)
	s_cmp_lg_u64 s[4:5], 0
	s_cselect_b32 s13, -1, 0
	s_ashr_i32 s31, s30, 31
	s_cmp_eq_u64 s[4:5], 0
	s_cbranch_scc1 .LBB1653_3
; %bb.1:
	s_lshl_b64 s[2:3], s[30:31], 2
	s_delay_alu instid0(SALU_CYCLE_1) | instskip(SKIP_4) | instid1(SALU_CYCLE_1)
	s_add_u32 s2, s4, s2
	s_addc_u32 s3, s5, s3
	s_load_b64 s[2:3], s[2:3], 0x0
	s_waitcnt lgkmcnt(0)
	s_sub_i32 s2, s3, s2
	s_cmp_eq_u32 s2, 1
	s_cselect_b32 s2, -1, 0
	s_delay_alu instid0(SALU_CYCLE_1)
	s_and_not1_b32 vcc_lo, exec_lo, s2
	s_cbranch_vccz .LBB1653_4
.LBB1653_2:
	s_endpgm
.LBB1653_3:
.LBB1653_4:
	s_load_b64 s[2:3], s[0:1], 0x28
	s_lshl_b64 s[6:7], s[30:31], 2
	s_waitcnt lgkmcnt(0)
	s_add_u32 s2, s2, s6
	s_addc_u32 s3, s3, s7
	s_lshl_b32 s12, s14, 8
	s_load_b32 s17, s[2:3], 0x0
	s_waitcnt lgkmcnt(0)
	s_cmp_ge_i32 s12, s17
	s_cbranch_scc1 .LBB1653_2
; %bb.5:
	s_clause 0x1
	s_load_b128 s[8:11], s[0:1], 0x8
	s_load_b64 s[2:3], s[0:1], 0x20
	s_and_not1_b32 vcc_lo, exec_lo, s13
	s_cbranch_vccnz .LBB1653_7
; %bb.6:
	s_add_u32 s4, s4, s6
	s_addc_u32 s5, s5, s7
	s_load_b32 s13, s[4:5], 0x0
	s_branch .LBB1653_8
.LBB1653_7:
	s_mov_b32 s13, s30
.LBB1653_8:
	s_load_b128 s[4:7], s[0:1], 0x48
	v_and_b32_e32 v66, 15, v0
	v_lshrrev_b32_e32 v65, 5, v0
	v_and_b32_e32 v67, 31, v0
	v_and_b32_e32 v75, 1, v0
	v_bfe_u32 v74, v0, 4, 1
	v_lshlrev_b32_e32 v1, 3, v66
	s_lshl_b32 s29, s15, 3
	s_waitcnt lgkmcnt(0)
	s_mov_b32 s7, exec_lo
	s_delay_alu instid0(VALU_DEP_1)
	v_lshlrev_b32_e32 v73, 1, v1
	v_cmpx_gt_u32_e32 0x80, v0
	s_cbranch_execz .LBB1653_10
; %bb.9:
	v_lshl_or_b32 v5, v65, 1, v74
	s_load_b64 s[18:19], s[0:1], 0x0
	s_mul_hi_i32 s21, s13, s4
	s_mul_i32 s20, s13, s4
	v_lshlrev_b32_e32 v6, 10, v66
	v_or_b32_e32 v1, s29, v5
	s_lshl_b64 s[20:21], s[20:21], 1
	v_lshlrev_b32_e32 v5, 6, v5
	v_lshlrev_b32_e32 v7, 10, v75
	v_and_b32_e32 v6, 0x3800, v6
	v_lshlrev_b32_e32 v1, 7, v1
	s_delay_alu instid0(VALU_DEP_2) | instskip(NEXT) | instid1(VALU_DEP_2)
	v_or3_b32 v5, v6, v7, v5
	v_ashrrev_i32_e32 v2, 31, v1
	s_delay_alu instid0(VALU_DEP_1) | instskip(SKIP_3) | instid1(VALU_DEP_1)
	v_lshlrev_b64 v[1:2], 1, v[1:2]
	s_waitcnt lgkmcnt(0)
	s_add_u32 s4, s18, s20
	s_addc_u32 s13, s19, s21
	v_add_co_u32 v1, vcc_lo, s4, v1
	s_delay_alu instid0(VALU_DEP_2) | instskip(NEXT) | instid1(VALU_DEP_2)
	v_add_co_ci_u32_e32 v2, vcc_lo, s13, v2, vcc_lo
	v_add_co_u32 v1, vcc_lo, v1, v73
	s_delay_alu instid0(VALU_DEP_2)
	v_add_co_ci_u32_e32 v2, vcc_lo, 0, v2, vcc_lo
	global_load_b128 v[1:4], v[1:2], off
	s_waitcnt vmcnt(0)
	ds_store_b128 v5, v[1:4]
.LBB1653_10:
	s_or_b32 exec_lo, exec_lo, s7
	v_and_b32_e32 v1, 0xef, v0
	s_add_i32 s4, s17, 31
	s_clause 0x1
	s_load_b32 s7, s[0:1], 0x38
	s_load_b32 s18, s[0:1], 0x1c
	s_ashr_i32 s13, s4, 31
	v_add_nc_u32_e32 v1, s12, v1
	s_lshr_b32 s13, s13, 27
	s_waitcnt lgkmcnt(0)
	s_add_i32 s4, s4, s13
	s_barrier
	v_ashrrev_i32_e32 v2, 31, v1
	v_or_b32_e32 v3, 16, v1
	s_ashr_i32 s4, s4, 5
	v_cmp_gt_i32_e32 vcc_lo, s17, v1
	s_add_i32 s4, s4, -1
	v_lshrrev_b32_e32 v2, 27, v2
	buffer_gl0_inv
	s_mul_i32 s15, s15, s6
	v_add_nc_u32_e32 v4, v1, v2
	s_mul_i32 s20, s30, s7
	s_delay_alu instid0(SALU_CYCLE_1) | instskip(NEXT) | instid1(VALU_DEP_1)
	s_ashr_i32 s21, s20, 31
	v_ashrrev_i32_e32 v4, 5, v4
	v_add_nc_u32_e32 v2, v3, v2
	s_lshl_b64 s[20:21], s[20:21], 2
	s_delay_alu instid0(SALU_CYCLE_1) | instskip(NEXT) | instid1(VALU_DEP_2)
	s_add_u32 s13, s2, s20
	v_cndmask_b32_e32 v1, s4, v4, vcc_lo
	s_delay_alu instid0(VALU_DEP_2)
	v_ashrrev_i32_e32 v2, 5, v2
	v_cmp_gt_i32_e32 vcc_lo, s17, v3
	s_addc_u32 s16, s3, s21
	s_ashr_i32 s19, s15, 31
	s_add_u32 s2, s8, s15
	s_addc_u32 s3, s9, s19
	v_cndmask_b32_e32 v3, s4, v2, vcc_lo
	v_ashrrev_i32_e32 v2, 31, v1
	s_lshl_b32 s6, s14, 3
	s_delay_alu instid0(SALU_CYCLE_1) | instskip(NEXT) | instid1(VALU_DEP_2)
	s_ashr_i32 s7, s6, 31
	v_ashrrev_i32_e32 v4, 31, v3
	s_delay_alu instid0(VALU_DEP_2) | instskip(SKIP_1) | instid1(SALU_CYCLE_1)
	v_lshlrev_b64 v[1:2], 2, v[1:2]
	s_lshl_b64 s[6:7], s[6:7], 2
	s_add_u32 s6, s13, s6
	s_delay_alu instid0(VALU_DEP_2) | instskip(SKIP_1) | instid1(VALU_DEP_2)
	v_lshlrev_b64 v[3:4], 2, v[3:4]
	s_addc_u32 s7, s16, s7
	v_add_co_u32 v1, vcc_lo, s13, v1
	v_add_co_ci_u32_e32 v2, vcc_lo, s16, v2, vcc_lo
	s_delay_alu instid0(VALU_DEP_3) | instskip(NEXT) | instid1(VALU_DEP_4)
	v_add_co_u32 v3, vcc_lo, s13, v3
	v_add_co_ci_u32_e32 v4, vcc_lo, s16, v4, vcc_lo
	s_clause 0x1
	global_load_b32 v5, v[1:2], off
	global_load_b32 v6, v[3:4], off
	s_or_b32 s8, s12, 32
	s_delay_alu instid0(SALU_CYCLE_1) | instskip(SKIP_2) | instid1(SALU_CYCLE_1)
	s_ashr_i32 s9, s8, 5
	s_cmp_lt_i32 s8, s17
	s_cselect_b32 s8, s9, s4
	s_ashr_i32 s9, s8, 31
	s_delay_alu instid0(SALU_CYCLE_1) | instskip(NEXT) | instid1(SALU_CYCLE_1)
	s_lshl_b64 s[8:9], s[8:9], 2
	s_add_u32 s8, s13, s8
	s_addc_u32 s9, s16, s9
	s_or_b32 s20, s12, 64
	s_delay_alu instid0(SALU_CYCLE_1) | instskip(SKIP_2) | instid1(SALU_CYCLE_1)
	s_ashr_i32 s21, s20, 5
	s_cmp_lt_i32 s20, s17
	s_cselect_b32 s20, s21, s4
	s_ashr_i32 s21, s20, 31
	s_delay_alu instid0(SALU_CYCLE_1) | instskip(NEXT) | instid1(SALU_CYCLE_1)
	s_lshl_b64 s[20:21], s[20:21], 2
	s_add_u32 s20, s13, s20
	s_addc_u32 s21, s16, s21
	;; [unrolled: 10-line block ×5, first 2 shown]
	s_clause 0x5
	s_load_b32 s28, s[6:7], 0x0
	s_load_b32 s8, s[8:9], 0x0
	;; [unrolled: 1-line block ×6, first 2 shown]
	s_mov_b32 s20, 0
	s_delay_alu instid0(SALU_CYCLE_1)
	s_mov_b32 s21, s20
	s_mov_b32 s22, s20
	;; [unrolled: 1-line block ×7, first 2 shown]
	s_delay_alu instid0(SALU_CYCLE_1)
	v_dual_mov_b32 v107, s27 :: v_dual_mov_b32 v106, s26
	v_dual_mov_b32 v104, s24 :: v_dual_mov_b32 v103, s23
	v_dual_mov_b32 v101, s21 :: v_dual_mov_b32 v102, s22
	v_dual_mov_b32 v100, s20 :: v_dual_mov_b32 v105, s25
	s_waitcnt vmcnt(1)
	v_mad_i64_i32 v[1:2], null, v5, s5, s[2:3]
	v_lshlrev_b32_e32 v5, 4, v66
	s_waitcnt vmcnt(0)
	v_mad_i64_i32 v[3:4], null, v6, s5, s[2:3]
	s_or_b32 s2, s12, 0xc0
	s_delay_alu instid0(SALU_CYCLE_1) | instskip(NEXT) | instid1(VALU_DEP_3)
	s_ashr_i32 s3, s2, 5
	v_add_co_u32 v33, vcc_lo, v1, v5
	s_delay_alu instid0(VALU_DEP_4) | instskip(NEXT) | instid1(VALU_DEP_3)
	v_add_co_ci_u32_e32 v34, vcc_lo, 0, v2, vcc_lo
	v_add_co_u32 v35, vcc_lo, v3, v5
	s_delay_alu instid0(VALU_DEP_4)
	v_add_co_ci_u32_e32 v36, vcc_lo, 0, v4, vcc_lo
	s_clause 0xf
	global_load_b128 v[1:4], v[33:34], off
	global_load_b128 v[5:8], v[33:34], off offset:512
	global_load_b128 v[9:12], v[35:36], off offset:256
	;; [unrolled: 1-line block ×15, first 2 shown]
	s_cmp_lt_i32 s2, s17
	v_and_b32_e32 v33, 7, v0
	s_cselect_b32 s2, s3, s4
	v_lshlrev_b32_e32 v34, 5, v66
	s_ashr_i32 s3, s2, 31
	s_delay_alu instid0(SALU_CYCLE_1)
	s_lshl_b64 s[2:3], s[2:3], 2
	v_lshlrev_b32_e32 v72, 6, v33
	s_add_u32 s2, s13, s2
	s_addc_u32 s3, s16, s3
	s_or_b32 s6, s12, 0xe0
	v_lshl_or_b32 v41, v65, 9, v34
	s_ashr_i32 s7, s6, 5
	s_cmp_lt_i32 s6, s17
	ds_load_b128 v[33:36], v72
	ds_load_b128 v[37:40], v72 offset:1024
	s_cselect_b32 s6, s7, s4
	ds_load_b128 v[108:111], v72 offset:2048
	ds_load_b128 v[112:115], v72 offset:3072
	s_ashr_i32 s7, s6, 31
	s_load_b32 s4, s[2:3], 0x0
	s_lshl_b64 s[6:7], s[6:7], 2
	ds_load_b128 v[116:119], v72 offset:4096
	ds_load_b128 v[120:123], v72 offset:5120
	s_add_u32 s2, s13, s6
	s_addc_u32 s3, s16, s7
	s_add_u32 s6, s10, s15
	s_load_b32 s2, s[2:3], 0x0
	s_addc_u32 s7, s11, s19
	v_add_co_u32 v68, s6, s6, v41
	s_delay_alu instid0(VALU_DEP_1) | instskip(SKIP_1) | instid1(VALU_DEP_1)
	v_add_co_ci_u32_e64 v69, null, s7, 0, s6
	s_waitcnt lgkmcnt(0)
	v_mad_i64_i32 v[41:42], null, s28, s5, v[68:69]
	v_mad_i64_i32 v[70:71], null, s9, s5, v[68:69]
	;; [unrolled: 1-line block ×7, first 2 shown]
	s_clause 0x3
	global_load_b128 v[49:52], v[41:42], off
	global_load_b128 v[53:56], v[41:42], off offset:16
	global_load_b128 v[41:44], v[45:46], off
	global_load_b128 v[45:48], v[45:46], off offset:16
	s_waitcnt vmcnt(18)
	v_wmma_f32_16x16x16_bf16 v[124:131], v[1:8], v[33:40], v[100:107]
	s_waitcnt vmcnt(16)
	v_wmma_f32_16x16x16_bf16 v[100:107], v[9:16], v[33:40], v[100:107]
	s_clause 0x1
	global_load_b128 v[33:36], v[70:71], off
	global_load_b128 v[37:40], v[70:71], off offset:16
	v_mad_i64_i32 v[70:71], null, s2, s5, v[68:69]
	s_waitcnt vmcnt(16)
	v_wmma_f32_16x16x16_bf16 v[124:131], v[17:24], v[108:115], v[124:131]
	s_waitcnt vmcnt(14)
	v_wmma_f32_16x16x16_bf16 v[100:107], v[25:32], v[108:115], v[100:107]
	s_clause 0x7
	global_load_b128 v[25:28], v[132:133], off
	global_load_b128 v[29:32], v[132:133], off offset:16
	global_load_b128 v[1:4], v[134:135], off
	global_load_b128 v[5:8], v[134:135], off offset:16
	;; [unrolled: 2-line block ×4, first 2 shown]
	s_waitcnt vmcnt(20)
	v_wmma_f32_16x16x16_bf16 v[124:131], v[57:64], v[116:123], v[124:131]
	s_clause 0x1
	global_load_b128 v[57:60], v[70:71], off
	global_load_b128 v[61:64], v[70:71], off offset:16
	s_waitcnt vmcnt(20)
	v_wmma_f32_16x16x16_bf16 v[100:107], v[76:83], v[116:123], v[100:107]
	ds_load_b128 v[76:79], v72 offset:6144
	ds_load_b128 v[80:83], v72 offset:7168
	v_and_b32_e32 v68, 0xe0, v0
	v_mbcnt_lo_u32_b32 v69, -1, 0
	s_waitcnt vmcnt(0) lgkmcnt(0)
	s_barrier
	buffer_gl0_inv
	v_add_nc_u32_e32 v68, s12, v68
	v_xor_b32_e32 v70, 16, v69
	s_delay_alu instid0(VALU_DEP_2) | instskip(NEXT) | instid1(VALU_DEP_2)
	v_or_b32_e32 v68, v68, v74
	v_cmp_gt_i32_e32 vcc_lo, 32, v70
	s_delay_alu instid0(VALU_DEP_2)
	v_or_b32_e32 v71, 4, v68
	v_or_b32_e32 v72, 6, v68
	v_cmp_gt_i32_e64 s2, s17, v68
	v_or_b32_e32 v108, 8, v68
	v_wmma_f32_16x16x16_bf16 v[124:131], v[84:91], v[76:83], v[124:131]
	v_cndmask_b32_e32 v69, v69, v70, vcc_lo
	v_or_b32_e32 v70, 2, v68
	v_wmma_f32_16x16x16_bf16 v[100:107], v[92:99], v[76:83], v[100:107]
	v_or_b32_e32 v109, 10, v68
	v_dual_mul_f32 v78, s18, v131 :: v_dual_mul_f32 v83, s18, v126
	v_dual_mul_f32 v92, s18, v125 :: v_dual_mul_f32 v93, s18, v124
	s_delay_alu instid0(VALU_DEP_4) | instskip(SKIP_2) | instid1(VALU_DEP_4)
	v_mul_f32_e32 v94, s18, v107
	v_cmp_gt_i32_e32 vcc_lo, s17, v70
	v_dual_mul_f32 v81, s18, v128 :: v_dual_mul_f32 v82, s18, v127
	v_cndmask_b32_e64 v93, 0xff7fffff, v93, s2
	v_cmp_gt_i32_e64 s3, s17, v71
	v_cndmask_b32_e32 v92, 0xff7fffff, v92, vcc_lo
	v_cmp_gt_i32_e64 s4, s17, v72
	v_or_b32_e32 v84, 12, v68
	v_or_b32_e32 v85, 14, v68
	v_dual_mul_f32 v79, s18, v130 :: v_dual_mul_f32 v80, s18, v129
	v_cndmask_b32_e64 v71, 0xff7fffff, v83, s3
	v_cndmask_b32_e64 v72, 0xff7fffff, v82, s4
	v_max3_f32 v82, v93, 0xff7fffff, v92
	v_cmp_gt_i32_e64 s5, s17, v108
	v_cmp_gt_i32_e64 s6, s17, v109
	v_or_b32_e32 v86, 16, v68
	v_or_b32_e32 v87, 18, v68
	v_max3_f32 v71, v82, v71, v72
	v_cndmask_b32_e64 v81, 0xff7fffff, v81, s5
	v_cndmask_b32_e64 v80, 0xff7fffff, v80, s6
	v_cmp_gt_i32_e64 s7, s17, v84
	v_cmp_gt_i32_e64 s8, s17, v85
	v_or_b32_e32 v88, 20, v68
	v_or_b32_e32 v89, 22, v68
	v_or_b32_e32 v90, 24, v68
	v_or_b32_e32 v91, 26, v68
	v_or_b32_e32 v76, 28, v68
	v_or_b32_e32 v77, 30, v68
	v_dual_mul_f32 v99, s18, v102 :: v_dual_mul_f32 v70, s18, v101
	v_mul_f32_e32 v68, s18, v100
	v_cndmask_b32_e64 v72, 0xff7fffff, v79, s7
	v_cndmask_b32_e64 v78, 0xff7fffff, v78, s8
	v_max3_f32 v71, v71, v81, v80
	v_cmp_gt_i32_e64 s9, s17, v86
	v_cmp_gt_i32_e64 s10, s17, v87
	v_dual_mul_f32 v97, s18, v104 :: v_dual_mul_f32 v98, s18, v103
	s_delay_alu instid0(VALU_DEP_4) | instskip(SKIP_1) | instid1(VALU_DEP_4)
	v_max3_f32 v71, v71, v72, v78
	v_cmp_gt_i32_e64 s11, s17, v88
	v_cndmask_b32_e64 v70, 0xff7fffff, v70, s10
	v_cmp_gt_i32_e64 s12, s17, v89
	v_lshlrev_b32_e32 v89, 2, v69
	v_cndmask_b32_e64 v68, 0xff7fffff, v68, s9
	v_dual_mul_f32 v95, s18, v106 :: v_dual_mul_f32 v96, s18, v105
	v_cndmask_b32_e64 v72, 0xff7fffff, v99, s11
	v_cndmask_b32_e64 v78, 0xff7fffff, v98, s12
	s_delay_alu instid0(VALU_DEP_4)
	v_max3_f32 v68, v71, v68, v70
	v_cmp_gt_i32_e64 s13, s17, v90
	v_cmp_gt_i32_e64 s15, s17, v91
	;; [unrolled: 1-line block ×4, first 2 shown]
	v_max3_f32 v68, v68, v72, v78
	v_cndmask_b32_e64 v70, 0xff7fffff, v97, s13
	v_cndmask_b32_e64 v71, 0xff7fffff, v96, s15
	;; [unrolled: 1-line block ×4, first 2 shown]
	s_delay_alu instid0(VALU_DEP_3) | instskip(NEXT) | instid1(VALU_DEP_1)
	v_max3_f32 v68, v68, v70, v71
	v_max3_f32 v68, v68, v72, v76
	ds_bpermute_b32 v69, v89, v68
	s_waitcnt lgkmcnt(0)
	v_max_f32_e32 v69, v69, v69
	s_delay_alu instid0(VALU_DEP_1) | instskip(NEXT) | instid1(VALU_DEP_1)
	v_max_f32_e32 v68, v68, v69
	v_fma_f32 v71, s18, v126, -v68
	s_delay_alu instid0(VALU_DEP_1)
	v_mul_f32_e32 v71, 0x3fb8aa3b, v71
	v_fma_f32 v69, s18, v124, -v68
	v_fma_f32 v70, s18, v125, -v68
	;; [unrolled: 1-line block ×4, first 2 shown]
	v_exp_f32_e32 v71, v71
	s_delay_alu instid0(VALU_DEP_3) | instskip(SKIP_2) | instid1(VALU_DEP_3)
	v_dual_mul_f32 v69, 0x3fb8aa3b, v69 :: v_dual_mul_f32 v70, 0x3fb8aa3b, v70
	v_fma_f32 v78, s18, v130, -v68
	v_fma_f32 v81, s18, v105, -v68
	v_exp_f32_e32 v69, v69
	s_delay_alu instid0(VALU_DEP_3) | instskip(SKIP_1) | instid1(VALU_DEP_2)
	v_exp_f32_e32 v70, v70
	v_mul_f32_e32 v77, 0x3fb8aa3b, v76
	v_mul_f32_e32 v81, 0x3fb8aa3b, v81
	s_delay_alu instid0(TRANS32_DEP_3) | instskip(SKIP_1) | instid1(VALU_DEP_3)
	v_cndmask_b32_e64 v83, 0, v71, s3
	v_fma_f32 v71, s18, v131, -v68
	v_exp_f32_e32 v81, v81
	s_delay_alu instid0(TRANS32_DEP_3) | instskip(NEXT) | instid1(TRANS32_DEP_2)
	v_cndmask_b32_e64 v80, 0, v69, s2
	v_cndmask_b32_e32 v76, 0, v70, vcc_lo
	v_fma_f32 v69, s18, v129, -v68
	v_mul_f32_e32 v72, 0x3fb8aa3b, v72
	v_exp_f32_e32 v77, v77
	v_dual_add_f32 v70, 0, v80 :: v_dual_mul_f32 v71, 0x3fb8aa3b, v71
	s_delay_alu instid0(VALU_DEP_3) | instskip(NEXT) | instid1(VALU_DEP_3)
	v_mul_f32_e32 v69, 0x3fb8aa3b, v69
	v_exp_f32_e32 v72, v72
	s_mov_b32 s2, exec_lo
	s_delay_alu instid0(VALU_DEP_2) | instskip(NEXT) | instid1(VALU_DEP_1)
	v_exp_f32_e32 v71, v71
	v_exp_f32_e32 v69, v69
	v_cndmask_b32_e64 v86, 0, v77, s5
	v_fma_f32 v77, s18, v101, -v68
	v_add_f32_e32 v70, v70, v76
	s_delay_alu instid0(TRANS32_DEP_3) | instskip(SKIP_1) | instid1(VALU_DEP_3)
	v_cndmask_b32_e64 v85, 0, v72, s4
	v_fma_f32 v72, s18, v100, -v68
	v_dual_mul_f32 v77, 0x3fb8aa3b, v77 :: v_dual_add_f32 v70, v70, v83
	s_delay_alu instid0(TRANS32_DEP_2) | instskip(SKIP_1) | instid1(TRANS32_DEP_1)
	v_cndmask_b32_e64 v88, 0, v71, s8
	v_fma_f32 v71, s18, v104, -v68
	v_cndmask_b32_e64 v87, 0, v69, s6
	s_delay_alu instid0(VALU_DEP_4) | instskip(NEXT) | instid1(VALU_DEP_2)
	v_exp_f32_e32 v77, v77
	v_dual_add_f32 v70, v70, v85 :: v_dual_mul_f32 v71, 0x3fb8aa3b, v71
	s_delay_alu instid0(VALU_DEP_1) | instskip(SKIP_2) | instid1(VALU_DEP_3)
	v_dual_mul_f32 v72, 0x3fb8aa3b, v72 :: v_dual_add_f32 v69, v70, v86
	v_mul_f32_e32 v78, 0x3fb8aa3b, v78
	v_fma_f32 v70, s18, v102, -v68
	v_exp_f32_e32 v72, v72
	v_exp_f32_e32 v82, v71
	v_add_f32_e32 v69, v69, v87
	v_exp_f32_e32 v78, v78
	v_mul_f32_e32 v70, 0x3fb8aa3b, v70
	s_delay_alu instid0(VALU_DEP_1) | instskip(SKIP_4) | instid1(VALU_DEP_2)
	v_exp_f32_e32 v79, v70
	v_cndmask_b32_e64 v70, 0, v72, s9
	s_waitcnt_depctr 0xfff
	v_cndmask_b32_e64 v84, 0, v78, s7
	v_fma_f32 v78, s18, v103, -v68
	v_add_f32_e32 v69, v69, v84
	v_cndmask_b32_e64 v71, 0, v79, s11
	s_delay_alu instid0(VALU_DEP_2) | instskip(SKIP_2) | instid1(VALU_DEP_1)
	v_add_f32_e32 v72, v69, v88
	v_cndmask_b32_e64 v69, 0, v77, s10
	v_fma_f32 v77, s18, v106, -v68
	v_dual_mul_f32 v77, 0x3fb8aa3b, v77 :: v_dual_add_f32 v72, v72, v70
	v_mul_f32_e32 v78, 0x3fb8aa3b, v78
	s_delay_alu instid0(VALU_DEP_2) | instskip(NEXT) | instid1(VALU_DEP_2)
	v_exp_f32_e32 v90, v77
	v_add_f32_e32 v79, v72, v69
	s_delay_alu instid0(VALU_DEP_2)
	v_exp_f32_e32 v78, v78
	v_cndmask_b32_e64 v77, 0, v82, s13
	s_waitcnt_depctr 0xfff
	v_cndmask_b32_e64 v72, 0, v78, s12
	v_add_f32_e32 v78, v79, v71
	v_fma_f32 v79, s18, v107, -v68
	s_delay_alu instid0(VALU_DEP_1) | instskip(SKIP_1) | instid1(VALU_DEP_2)
	v_dual_add_f32 v82, v78, v72 :: v_dual_mul_f32 v79, 0x3fb8aa3b, v79
	v_cndmask_b32_e64 v78, 0, v81, s15
	v_add_f32_e32 v81, v82, v77
	s_delay_alu instid0(VALU_DEP_3) | instskip(SKIP_1) | instid1(VALU_DEP_2)
	v_exp_f32_e32 v82, v79
	v_cndmask_b32_e64 v79, 0, v90, s16
	v_add_f32_e32 v81, v81, v78
	s_delay_alu instid0(VALU_DEP_1) | instskip(SKIP_2) | instid1(VALU_DEP_1)
	v_add_f32_e32 v90, v81, v79
	s_waitcnt_depctr 0xfff
	v_cndmask_b32_e64 v81, 0, v82, s17
	v_add_f32_e32 v82, v90, v81
	ds_bpermute_b32 v89, v89, v82
	v_cmpx_gt_u32_e32 16, v67
	s_cbranch_execz .LBB1653_12
; %bb.11:
	v_mul_u32_u24_e32 v67, 0x44, v65
	s_delay_alu instid0(VALU_DEP_1) | instskip(SKIP_1) | instid1(VALU_DEP_1)
	v_lshl_add_u32 v67, v66, 2, v67
	s_waitcnt lgkmcnt(0)
	v_dual_add_f32 v82, v82, v89 :: v_dual_add_nc_u32 v67, 0x4000, v67
	ds_store_2addr_b32 v67, v68, v82 offset1:136
.LBB1653_12:
	s_or_b32 exec_lo, exec_lo, s2
	v_lshlrev_b32_e32 v67, 2, v66
	s_waitcnt lgkmcnt(0)
	s_barrier
	buffer_gl0_inv
	v_cmp_eq_u32_e32 vcc_lo, 1, v65
	v_add_nc_u32_e32 v82, 0x4000, v67
	v_cmp_eq_u32_e64 s2, 2, v65
	v_cmp_eq_u32_e64 s4, 7, v65
	ds_load_2addr_b32 v[89:90], v82 offset1:17
	ds_load_2addr_b32 v[91:92], v82 offset0:34 offset1:51
	ds_load_2addr_b32 v[93:94], v82 offset0:68 offset1:85
	ds_load_2addr_b32 v[95:96], v82 offset0:102 offset1:119
	ds_load_2addr_b32 v[97:98], v82 offset0:136 offset1:153
	s_waitcnt lgkmcnt(4)
	v_max3_f32 v67, v89, 0xff7fffff, v90
	s_waitcnt lgkmcnt(3)
	s_delay_alu instid0(VALU_DEP_1) | instskip(SKIP_1) | instid1(VALU_DEP_1)
	v_max3_f32 v67, v67, v91, v92
	s_waitcnt lgkmcnt(2)
	v_max3_f32 v67, v67, v93, v94
	s_waitcnt lgkmcnt(1)
	s_delay_alu instid0(VALU_DEP_1) | instskip(NEXT) | instid1(VALU_DEP_1)
	v_max3_f32 v67, v67, v95, v96
	v_sub_f32_e32 v93, v93, v67
	s_delay_alu instid0(VALU_DEP_1) | instskip(NEXT) | instid1(VALU_DEP_1)
	v_dual_sub_f32 v68, v89, v67 :: v_dual_mul_f32 v103, 0x3fb8aa3b, v93
	v_mul_f32_e32 v68, 0x3fb8aa3b, v68
	s_delay_alu instid0(VALU_DEP_1)
	v_exp_f32_e32 v100, v68
	v_sub_f32_e32 v68, v92, v67
	v_sub_f32_e32 v99, v90, v67
	ds_load_2addr_b32 v[89:90], v82 offset0:170 offset1:187
	v_dual_mul_f32 v102, 0x3fb8aa3b, v68 :: v_dual_mul_f32 v99, 0x3fb8aa3b, v99
	s_waitcnt lgkmcnt(1)
	v_fma_f32 v68, v100, v97, 0
	s_delay_alu instid0(VALU_DEP_2) | instskip(NEXT) | instid1(VALU_DEP_2)
	v_exp_f32_e32 v102, v102
	v_exp_f32_e32 v99, v99
	s_waitcnt_depctr 0xfff
	v_fmac_f32_e32 v68, v99, v98
	v_sub_f32_e32 v91, v91, v67
	s_delay_alu instid0(VALU_DEP_1)
	v_mul_f32_e32 v101, 0x3fb8aa3b, v91
	ds_load_2addr_b32 v[91:92], v82 offset0:204 offset1:221
	v_sub_f32_e32 v97, v94, v67
	ds_load_2addr_b32 v[93:94], v82 offset0:238 offset1:255
	s_waitcnt lgkmcnt(0)
	v_exp_f32_e32 v101, v101
	s_barrier
	buffer_gl0_inv
	v_dual_fmac_f32 v68, v101, v89 :: v_dual_sub_f32 v89, v96, v67
	v_dual_sub_f32 v82, v95, v67 :: v_dual_mul_f32 v95, 0x3fb8aa3b, v97
	v_exp_f32_e32 v97, v103
	s_delay_alu instid0(VALU_DEP_2) | instskip(NEXT) | instid1(VALU_DEP_2)
	v_dual_fmac_f32 v68, v102, v90 :: v_dual_mul_f32 v89, 0x3fb8aa3b, v89
	v_mul_f32_e32 v82, 0x3fb8aa3b, v82
	s_delay_alu instid0(VALU_DEP_3) | instskip(NEXT) | instid1(VALU_DEP_2)
	v_exp_f32_e32 v95, v95
	v_exp_f32_e32 v89, v89
	s_delay_alu instid0(VALU_DEP_1)
	v_exp_f32_e32 v82, v82
	v_fmac_f32_e32 v68, v97, v91
	s_delay_alu instid0(TRANS32_DEP_3) | instid1(VALU_DEP_1)
	v_fmac_f32_e32 v68, v95, v92
	s_waitcnt_depctr 0xfff
	v_fmac_f32_e32 v68, v82, v93
	s_delay_alu instid0(VALU_DEP_1) | instskip(NEXT) | instid1(VALU_DEP_1)
	v_fmac_f32_e32 v68, v89, v94
	v_add_f32_e32 v90, 0x358637bd, v68
	s_delay_alu instid0(VALU_DEP_1) | instskip(NEXT) | instid1(VALU_DEP_1)
	v_div_scale_f32 v91, null, v90, v90, 1.0
	v_rcp_f32_e32 v92, v91
	s_waitcnt_depctr 0xfff
	v_fma_f32 v93, -v91, v92, 1.0
	s_delay_alu instid0(VALU_DEP_1) | instskip(SKIP_1) | instid1(VALU_DEP_2)
	v_dual_fmac_f32 v92, v93, v92 :: v_dual_cndmask_b32 v93, v100, v99
	v_cmp_eq_u32_e32 vcc_lo, 3, v65
	v_cndmask_b32_e64 v93, v93, v101, s2
	v_cmp_eq_u32_e64 s2, 4, v65
	s_delay_alu instid0(VALU_DEP_2) | instskip(SKIP_1) | instid1(VALU_DEP_2)
	v_cndmask_b32_e32 v93, v93, v102, vcc_lo
	v_cmp_eq_u32_e32 vcc_lo, 5, v65
	v_cndmask_b32_e64 v93, v93, v97, s2
	v_cmp_eq_u32_e64 s2, 6, v65
	s_delay_alu instid0(VALU_DEP_2) | instskip(SKIP_1) | instid1(VALU_DEP_1)
	v_cndmask_b32_e32 v93, v93, v95, vcc_lo
	v_div_scale_f32 v94, s3, 1.0, v90, 1.0
	s_mov_b32 vcc_lo, s3
	s_delay_alu instid0(VALU_DEP_2) | instskip(NEXT) | instid1(VALU_DEP_2)
	v_cndmask_b32_e64 v82, v93, v82, s2
	v_mul_f32_e32 v96, v94, v92
	s_mov_b32 s2, exec_lo
	s_delay_alu instid0(VALU_DEP_2) | instskip(NEXT) | instid1(VALU_DEP_2)
	v_cndmask_b32_e64 v82, v82, v89, s4
	v_fma_f32 v98, -v91, v96, v94
	s_delay_alu instid0(VALU_DEP_1) | instskip(NEXT) | instid1(VALU_DEP_1)
	v_fmac_f32_e32 v96, v98, v92
	v_fma_f32 v91, -v91, v96, v94
	s_delay_alu instid0(VALU_DEP_1) | instskip(NEXT) | instid1(VALU_DEP_1)
	v_div_fmas_f32 v91, v91, v92, v96
	v_div_fixup_f32 v90, v91, v90, 1.0
	s_delay_alu instid0(VALU_DEP_1) | instskip(NEXT) | instid1(VALU_DEP_1)
	v_mul_f32_e32 v82, v82, v90
	v_mul_f32_e32 v87, v82, v87
	;; [unrolled: 1-line block ×7, first 2 shown]
	v_dual_mul_f32 v86, v82, v83 :: v_dual_and_b32 v91, 0x7f800000, v90
	v_mul_f32_e32 v85, v82, v76
                                        ; implicit-def: $vgpr76
	s_delay_alu instid0(VALU_DEP_2)
	v_cmpx_ne_u32_e32 0x7f800000, v91
	s_xor_b32 s2, exec_lo, s2
; %bb.13:
	v_bfe_u32 v76, v90, 16, 1
	s_delay_alu instid0(VALU_DEP_1)
	v_add3_u32 v76, v90, v76, 0x7fff
                                        ; implicit-def: $vgpr90
; %bb.14:
	s_and_not1_saveexec_b32 s2, s2
; %bb.15:
	v_and_b32_e32 v76, 0xffff, v90
	v_or_b32_e32 v83, 0x10000, v90
	s_delay_alu instid0(VALU_DEP_2) | instskip(NEXT) | instid1(VALU_DEP_2)
	v_cmp_eq_u32_e32 vcc_lo, 0, v76
	v_cndmask_b32_e32 v76, v83, v90, vcc_lo
; %bb.16:
	s_or_b32 exec_lo, exec_lo, s2
	v_and_b32_e32 v83, 0x7f800000, v85
	s_delay_alu instid0(VALU_DEP_1) | instskip(SKIP_1) | instid1(SALU_CYCLE_1)
	v_cmp_ne_u32_e32 vcc_lo, 0x7f800000, v83
                                        ; implicit-def: $vgpr83
	s_and_saveexec_b32 s2, vcc_lo
	s_xor_b32 s2, exec_lo, s2
; %bb.17:
	v_bfe_u32 v83, v85, 16, 1
	s_delay_alu instid0(VALU_DEP_1)
	v_add3_u32 v83, v85, v83, 0x7fff
                                        ; implicit-def: $vgpr85
; %bb.18:
	s_and_not1_saveexec_b32 s2, s2
; %bb.19:
	v_and_b32_e32 v83, 0xffff, v85
	v_or_b32_e32 v90, 0x10000, v85
	s_delay_alu instid0(VALU_DEP_2) | instskip(NEXT) | instid1(VALU_DEP_2)
	v_cmp_eq_u32_e32 vcc_lo, 0, v83
	v_cndmask_b32_e32 v83, v90, v85, vcc_lo
; %bb.20:
	s_or_b32 exec_lo, exec_lo, s2
	v_and_b32_e32 v85, 0x7f800000, v86
	s_delay_alu instid0(VALU_DEP_1) | instskip(SKIP_1) | instid1(SALU_CYCLE_1)
	v_cmp_ne_u32_e32 vcc_lo, 0x7f800000, v85
                                        ; implicit-def: $vgpr85
	s_and_saveexec_b32 s2, vcc_lo
	s_xor_b32 s2, exec_lo, s2
; %bb.21:
	v_bfe_u32 v85, v86, 16, 1
	s_delay_alu instid0(VALU_DEP_1)
	v_add3_u32 v85, v86, v85, 0x7fff
                                        ; implicit-def: $vgpr86
; %bb.22:
	s_and_not1_saveexec_b32 s2, s2
; %bb.23:
	v_and_b32_e32 v85, 0xffff, v86
	v_or_b32_e32 v90, 0x10000, v86
	s_delay_alu instid0(VALU_DEP_2) | instskip(NEXT) | instid1(VALU_DEP_2)
	v_cmp_eq_u32_e32 vcc_lo, 0, v85
	v_cndmask_b32_e32 v85, v90, v86, vcc_lo
; %bb.24:
	s_or_b32 exec_lo, exec_lo, s2
	v_and_b32_e32 v86, 0x7f800000, v89
	s_delay_alu instid0(VALU_DEP_1) | instskip(SKIP_1) | instid1(SALU_CYCLE_1)
	v_cmp_ne_u32_e32 vcc_lo, 0x7f800000, v86
                                        ; implicit-def: $vgpr86
	s_and_saveexec_b32 s2, vcc_lo
	s_xor_b32 s2, exec_lo, s2
; %bb.25:
	v_bfe_u32 v86, v89, 16, 1
	s_delay_alu instid0(VALU_DEP_1)
	v_add3_u32 v86, v89, v86, 0x7fff
                                        ; implicit-def: $vgpr89
; %bb.26:
	s_and_not1_saveexec_b32 s2, s2
; %bb.27:
	v_and_b32_e32 v86, 0xffff, v89
	v_or_b32_e32 v90, 0x10000, v89
	s_delay_alu instid0(VALU_DEP_2) | instskip(NEXT) | instid1(VALU_DEP_2)
	v_cmp_eq_u32_e32 vcc_lo, 0, v86
	v_cndmask_b32_e32 v86, v90, v89, vcc_lo
; %bb.28:
	s_or_b32 exec_lo, exec_lo, s2
	v_and_b32_e32 v89, 0x7f800000, v88
	s_delay_alu instid0(VALU_DEP_1) | instskip(SKIP_1) | instid1(SALU_CYCLE_1)
	v_cmp_ne_u32_e32 vcc_lo, 0x7f800000, v89
                                        ; implicit-def: $vgpr89
	s_and_saveexec_b32 s2, vcc_lo
	s_xor_b32 s2, exec_lo, s2
; %bb.29:
	v_bfe_u32 v89, v88, 16, 1
	s_delay_alu instid0(VALU_DEP_1)
	v_add3_u32 v89, v88, v89, 0x7fff
                                        ; implicit-def: $vgpr88
; %bb.30:
	s_and_not1_saveexec_b32 s2, s2
; %bb.31:
	v_and_b32_e32 v89, 0xffff, v88
	v_or_b32_e32 v90, 0x10000, v88
	s_delay_alu instid0(VALU_DEP_2) | instskip(NEXT) | instid1(VALU_DEP_2)
	v_cmp_eq_u32_e32 vcc_lo, 0, v89
	v_cndmask_b32_e32 v89, v90, v88, vcc_lo
; %bb.32:
	s_or_b32 exec_lo, exec_lo, s2
	v_and_b32_e32 v88, 0x7f800000, v87
	s_delay_alu instid0(VALU_DEP_1) | instskip(SKIP_1) | instid1(SALU_CYCLE_1)
	v_cmp_ne_u32_e32 vcc_lo, 0x7f800000, v88
                                        ; implicit-def: $vgpr88
	s_and_saveexec_b32 s2, vcc_lo
	s_xor_b32 s2, exec_lo, s2
; %bb.33:
	v_bfe_u32 v88, v87, 16, 1
	s_delay_alu instid0(VALU_DEP_1)
	v_add3_u32 v88, v87, v88, 0x7fff
                                        ; implicit-def: $vgpr87
; %bb.34:
	s_and_not1_saveexec_b32 s2, s2
; %bb.35:
	v_and_b32_e32 v88, 0xffff, v87
	v_or_b32_e32 v90, 0x10000, v87
	s_delay_alu instid0(VALU_DEP_2) | instskip(NEXT) | instid1(VALU_DEP_2)
	v_cmp_eq_u32_e32 vcc_lo, 0, v88
	v_cndmask_b32_e32 v88, v90, v87, vcc_lo
; %bb.36:
	s_or_b32 exec_lo, exec_lo, s2
	v_and_b32_e32 v87, 0x7f800000, v84
	s_delay_alu instid0(VALU_DEP_1) | instskip(SKIP_1) | instid1(SALU_CYCLE_1)
	v_cmp_ne_u32_e32 vcc_lo, 0x7f800000, v87
                                        ; implicit-def: $vgpr87
	s_and_saveexec_b32 s2, vcc_lo
	s_xor_b32 s2, exec_lo, s2
; %bb.37:
	v_bfe_u32 v87, v84, 16, 1
	s_delay_alu instid0(VALU_DEP_1)
	v_add3_u32 v87, v84, v87, 0x7fff
                                        ; implicit-def: $vgpr84
; %bb.38:
	s_and_not1_saveexec_b32 s2, s2
; %bb.39:
	v_and_b32_e32 v87, 0xffff, v84
	v_or_b32_e32 v90, 0x10000, v84
	s_delay_alu instid0(VALU_DEP_2) | instskip(NEXT) | instid1(VALU_DEP_2)
	v_cmp_eq_u32_e32 vcc_lo, 0, v87
	v_cndmask_b32_e32 v87, v90, v84, vcc_lo
; %bb.40:
	s_or_b32 exec_lo, exec_lo, s2
	v_and_b32_e32 v84, 0x7f800000, v80
	s_delay_alu instid0(VALU_DEP_1) | instskip(SKIP_1) | instid1(SALU_CYCLE_1)
	v_cmp_ne_u32_e32 vcc_lo, 0x7f800000, v84
                                        ; implicit-def: $vgpr84
	s_and_saveexec_b32 s2, vcc_lo
	s_xor_b32 s2, exec_lo, s2
; %bb.41:
	v_bfe_u32 v84, v80, 16, 1
	s_delay_alu instid0(VALU_DEP_1)
	v_add3_u32 v84, v80, v84, 0x7fff
                                        ; implicit-def: $vgpr80
; %bb.42:
	s_and_not1_saveexec_b32 s2, s2
; %bb.43:
	v_and_b32_e32 v84, 0xffff, v80
	v_or_b32_e32 v90, 0x10000, v80
	s_delay_alu instid0(VALU_DEP_2) | instskip(NEXT) | instid1(VALU_DEP_2)
	v_cmp_eq_u32_e32 vcc_lo, 0, v84
	v_cndmask_b32_e32 v84, v90, v80, vcc_lo
; %bb.44:
	s_or_b32 exec_lo, exec_lo, s2
	s_load_b64 s[34:35], s[0:1], 0x94
	v_lshlrev_b32_e32 v91, 4, v74
	s_delay_alu instid0(VALU_DEP_2)
	v_perm_b32 v90, v84, v87, 0x7060302
	v_dual_mul_f32 v77, v82, v77 :: v_dual_lshlrev_b32 v80, 6, v66
	v_lshlrev_b32_e32 v66, 11, v65
	v_perm_b32 v87, v83, v76, 0x7060302
	v_mul_f32_e32 v83, v82, v70
	v_perm_b32 v89, v88, v89, 0x7060302
	v_perm_b32 v88, v86, v85, 0x7060302
	v_or3_b32 v76, v91, v66, v80
	v_mul_f32_e32 v66, v82, v81
	v_mul_f32_e32 v70, v82, v79
	;; [unrolled: 1-line block ×3, first 2 shown]
	v_dual_mul_f32 v81, v82, v72 :: v_dual_and_b32 v84, 0x7f800000, v83
	v_mul_f32_e32 v79, v82, v71
	v_mul_f32_e32 v72, v82, v69
	s_mov_b32 s2, exec_lo
	ds_store_b128 v76, v[87:90]
                                        ; implicit-def: $vgpr69
	v_cmpx_ne_u32_e32 0x7f800000, v84
	s_xor_b32 s2, exec_lo, s2
; %bb.45:
	v_bfe_u32 v69, v83, 16, 1
	s_delay_alu instid0(VALU_DEP_1)
	v_add3_u32 v69, v83, v69, 0x7fff
                                        ; implicit-def: $vgpr83
; %bb.46:
	s_and_not1_saveexec_b32 s2, s2
; %bb.47:
	v_and_b32_e32 v69, 0xffff, v83
	v_or_b32_e32 v71, 0x10000, v83
	s_delay_alu instid0(VALU_DEP_2) | instskip(NEXT) | instid1(VALU_DEP_2)
	v_cmp_eq_u32_e32 vcc_lo, 0, v69
	v_cndmask_b32_e32 v69, v71, v83, vcc_lo
; %bb.48:
	s_or_b32 exec_lo, exec_lo, s2
	v_and_b32_e32 v71, 0x7f800000, v72
	s_delay_alu instid0(VALU_DEP_1) | instskip(SKIP_1) | instid1(SALU_CYCLE_1)
	v_cmp_ne_u32_e32 vcc_lo, 0x7f800000, v71
                                        ; implicit-def: $vgpr71
	s_and_saveexec_b32 s2, vcc_lo
	s_xor_b32 s2, exec_lo, s2
; %bb.49:
	v_bfe_u32 v71, v72, 16, 1
	s_delay_alu instid0(VALU_DEP_1)
	v_add3_u32 v71, v72, v71, 0x7fff
                                        ; implicit-def: $vgpr72
; %bb.50:
	s_and_not1_saveexec_b32 s2, s2
; %bb.51:
	v_and_b32_e32 v71, 0xffff, v72
	v_or_b32_e32 v82, 0x10000, v72
	s_delay_alu instid0(VALU_DEP_2) | instskip(NEXT) | instid1(VALU_DEP_2)
	v_cmp_eq_u32_e32 vcc_lo, 0, v71
	v_cndmask_b32_e32 v71, v82, v72, vcc_lo
; %bb.52:
	s_or_b32 exec_lo, exec_lo, s2
	v_and_b32_e32 v72, 0x7f800000, v79
	s_delay_alu instid0(VALU_DEP_1) | instskip(SKIP_1) | instid1(SALU_CYCLE_1)
	v_cmp_ne_u32_e32 vcc_lo, 0x7f800000, v72
                                        ; implicit-def: $vgpr72
	s_and_saveexec_b32 s2, vcc_lo
	s_xor_b32 s2, exec_lo, s2
; %bb.53:
	v_bfe_u32 v72, v79, 16, 1
	s_delay_alu instid0(VALU_DEP_1)
	v_add3_u32 v72, v79, v72, 0x7fff
                                        ; implicit-def: $vgpr79
; %bb.54:
	s_and_not1_saveexec_b32 s2, s2
; %bb.55:
	v_and_b32_e32 v72, 0xffff, v79
	v_or_b32_e32 v82, 0x10000, v79
	s_delay_alu instid0(VALU_DEP_2) | instskip(NEXT) | instid1(VALU_DEP_2)
	v_cmp_eq_u32_e32 vcc_lo, 0, v72
	v_cndmask_b32_e32 v72, v82, v79, vcc_lo
; %bb.56:
	s_or_b32 exec_lo, exec_lo, s2
	v_and_b32_e32 v79, 0x7f800000, v81
	s_delay_alu instid0(VALU_DEP_1) | instskip(SKIP_1) | instid1(SALU_CYCLE_1)
	v_cmp_ne_u32_e32 vcc_lo, 0x7f800000, v79
                                        ; implicit-def: $vgpr79
	s_and_saveexec_b32 s2, vcc_lo
	s_xor_b32 s2, exec_lo, s2
; %bb.57:
	v_bfe_u32 v79, v81, 16, 1
	s_delay_alu instid0(VALU_DEP_1)
	v_add3_u32 v79, v81, v79, 0x7fff
                                        ; implicit-def: $vgpr81
; %bb.58:
	s_and_not1_saveexec_b32 s2, s2
; %bb.59:
	v_and_b32_e32 v79, 0xffff, v81
	v_or_b32_e32 v82, 0x10000, v81
	s_delay_alu instid0(VALU_DEP_2) | instskip(NEXT) | instid1(VALU_DEP_2)
	v_cmp_eq_u32_e32 vcc_lo, 0, v79
	v_cndmask_b32_e32 v79, v82, v81, vcc_lo
; %bb.60:
	s_or_b32 exec_lo, exec_lo, s2
	v_and_b32_e32 v81, 0x7f800000, v77
	s_delay_alu instid0(VALU_DEP_1) | instskip(SKIP_1) | instid1(SALU_CYCLE_1)
	v_cmp_ne_u32_e32 vcc_lo, 0x7f800000, v81
                                        ; implicit-def: $vgpr81
	s_and_saveexec_b32 s2, vcc_lo
	s_xor_b32 s2, exec_lo, s2
; %bb.61:
	v_bfe_u32 v81, v77, 16, 1
	s_delay_alu instid0(VALU_DEP_1)
	v_add3_u32 v81, v77, v81, 0x7fff
                                        ; implicit-def: $vgpr77
; %bb.62:
	s_and_not1_saveexec_b32 s2, s2
; %bb.63:
	v_and_b32_e32 v81, 0xffff, v77
	v_or_b32_e32 v82, 0x10000, v77
	s_delay_alu instid0(VALU_DEP_2) | instskip(NEXT) | instid1(VALU_DEP_2)
	v_cmp_eq_u32_e32 vcc_lo, 0, v81
	v_cndmask_b32_e32 v81, v82, v77, vcc_lo
; %bb.64:
	s_or_b32 exec_lo, exec_lo, s2
	v_and_b32_e32 v77, 0x7f800000, v78
	s_delay_alu instid0(VALU_DEP_1) | instskip(SKIP_1) | instid1(SALU_CYCLE_1)
	v_cmp_ne_u32_e32 vcc_lo, 0x7f800000, v77
                                        ; implicit-def: $vgpr77
	s_and_saveexec_b32 s2, vcc_lo
	s_xor_b32 s2, exec_lo, s2
; %bb.65:
	v_bfe_u32 v77, v78, 16, 1
	s_delay_alu instid0(VALU_DEP_1)
	v_add3_u32 v77, v78, v77, 0x7fff
                                        ; implicit-def: $vgpr78
; %bb.66:
	s_and_not1_saveexec_b32 s2, s2
; %bb.67:
	v_and_b32_e32 v77, 0xffff, v78
	v_or_b32_e32 v82, 0x10000, v78
	s_delay_alu instid0(VALU_DEP_2) | instskip(NEXT) | instid1(VALU_DEP_2)
	v_cmp_eq_u32_e32 vcc_lo, 0, v77
	v_cndmask_b32_e32 v77, v82, v78, vcc_lo
; %bb.68:
	s_or_b32 exec_lo, exec_lo, s2
	v_and_b32_e32 v78, 0x7f800000, v70
	s_delay_alu instid0(VALU_DEP_1) | instskip(SKIP_1) | instid1(SALU_CYCLE_1)
	v_cmp_ne_u32_e32 vcc_lo, 0x7f800000, v78
                                        ; implicit-def: $vgpr78
	s_and_saveexec_b32 s2, vcc_lo
	s_xor_b32 s2, exec_lo, s2
; %bb.69:
	v_bfe_u32 v78, v70, 16, 1
	s_delay_alu instid0(VALU_DEP_1)
	v_add3_u32 v78, v70, v78, 0x7fff
                                        ; implicit-def: $vgpr70
; %bb.70:
	s_and_not1_saveexec_b32 s2, s2
; %bb.71:
	v_and_b32_e32 v78, 0xffff, v70
	v_or_b32_e32 v82, 0x10000, v70
	s_delay_alu instid0(VALU_DEP_2) | instskip(NEXT) | instid1(VALU_DEP_2)
	v_cmp_eq_u32_e32 vcc_lo, 0, v78
	v_cndmask_b32_e32 v78, v82, v70, vcc_lo
; %bb.72:
	s_or_b32 exec_lo, exec_lo, s2
	v_and_b32_e32 v70, 0x7f800000, v66
	s_delay_alu instid0(VALU_DEP_1) | instskip(SKIP_1) | instid1(SALU_CYCLE_1)
	v_cmp_ne_u32_e32 vcc_lo, 0x7f800000, v70
                                        ; implicit-def: $vgpr70
	s_and_saveexec_b32 s2, vcc_lo
	s_xor_b32 s2, exec_lo, s2
; %bb.73:
	v_bfe_u32 v70, v66, 16, 1
	s_delay_alu instid0(VALU_DEP_1)
	v_add3_u32 v70, v66, v70, 0x7fff
                                        ; implicit-def: $vgpr66
; %bb.74:
	s_and_not1_saveexec_b32 s2, s2
; %bb.75:
	v_and_b32_e32 v70, 0xffff, v66
	v_or_b32_e32 v82, 0x10000, v66
	s_delay_alu instid0(VALU_DEP_2) | instskip(NEXT) | instid1(VALU_DEP_2)
	v_cmp_eq_u32_e32 vcc_lo, 0, v70
	v_cndmask_b32_e32 v70, v82, v66, vcc_lo
; %bb.76:
	s_or_b32 exec_lo, exec_lo, s2
	s_delay_alu instid0(VALU_DEP_1)
	v_perm_b32 v86, v70, v78, 0x7060302
	v_perm_b32 v85, v77, v81, 0x7060302
	;; [unrolled: 1-line block ×4, first 2 shown]
	v_lshl_or_b32 v82, v65, 11, v80
	ds_store_b128 v76, v[83:86] offset:1024
	s_waitcnt lgkmcnt(0)
	s_barrier
	buffer_gl0_inv
	ds_load_b128 v[69:72], v82
	ds_load_b128 v[83:86], v82 offset:16
	s_waitcnt lgkmcnt(1)
	v_lshrrev_b32_e32 v65, 16, v69
	v_lshlrev_b32_e32 v78, 2, v74
	s_waitcnt lgkmcnt(0)
	v_lshrrev_b32_e32 v91, 16, v83
	v_lshrrev_b32_e32 v66, 16, v70
	v_lshrrev_b32_e32 v97, 16, v84
	v_lshrrev_b32_e32 v95, 16, v71
	v_cmp_eq_u32_e32 vcc_lo, 1, v78
	v_lshrrev_b32_e32 v98, 16, v85
	v_lshrrev_b32_e32 v96, 16, v72
	v_lshrrev_b32_e32 v99, 16, v86
	v_cndmask_b32_e32 v81, v69, v65, vcc_lo
	v_or_b32_e32 v79, 1, v78
	v_cmp_eq_u32_e64 s3, 2, v78
	v_cndmask_b32_e32 v87, v83, v91, vcc_lo
	v_cmp_eq_u32_e64 s6, 3, v78
	v_cmp_eq_u32_e64 s8, 4, v78
	;; [unrolled: 1-line block ×3, first 2 shown]
	v_cndmask_b32_e64 v81, v81, v70, s3
	v_cmp_eq_u32_e64 s5, 2, v79
	v_cndmask_b32_e64 v87, v87, v84, s3
	v_cmp_eq_u32_e64 s7, 3, v79
	v_cndmask_b32_e64 v88, v69, v65, s2
	v_cndmask_b32_e64 v81, v81, v66, s6
	v_or_b32_e32 v77, 2, v78
	v_cndmask_b32_e64 v87, v87, v97, s6
	v_cndmask_b32_e64 v89, v83, v91, s2
	;; [unrolled: 1-line block ×4, first 2 shown]
	v_cmp_eq_u32_e64 s9, 5, v78
	v_cndmask_b32_e64 v87, v87, v85, s8
	v_cmp_eq_u32_e64 s10, 4, v79
	v_cndmask_b32_e64 v88, v88, v66, s7
	;; [unrolled: 2-line block ×3, first 2 shown]
	v_cndmask_b32_e64 v81, v81, v95, s9
	v_cmp_eq_u32_e64 s11, 6, v78
	v_cndmask_b32_e64 v88, v88, v71, s10
	v_cndmask_b32_e64 v87, v87, v98, s9
	v_cmp_eq_u32_e64 s12, 5, v79
	v_cndmask_b32_e64 v90, v69, v65, s4
	v_cndmask_b32_e64 v89, v89, v97, s7
	v_cndmask_b32_e64 v81, v81, v72, s11
	v_cmp_eq_u32_e64 s13, 7, v78
	v_cndmask_b32_e64 v88, v88, v95, s12
	v_cndmask_b32_e64 v87, v87, v86, s11
	v_cmp_eq_u32_e64 s15, 6, v79
	v_cmp_eq_u32_e64 s16, 2, v77
	v_cndmask_b32_e64 v89, v89, v85, s10
	v_cndmask_b32_e64 v100, v81, v96, s13
	;; [unrolled: 1-line block ×6, first 2 shown]
	v_cmp_eq_u32_e64 s17, 7, v79
	v_cmp_eq_u32_e64 s18, 3, v77
	;; [unrolled: 1-line block ×4, first 2 shown]
	v_cndmask_b32_e64 v87, v87, v84, s16
	v_cndmask_b32_e64 v102, v88, v96, s17
	;; [unrolled: 1-line block ×4, first 2 shown]
	v_or_b32_e32 v81, 3, v78
	v_cndmask_b32_e64 v93, v87, v97, s18
	v_cmp_eq_u32_e64 s23, 6, v77
	v_cndmask_b32_e64 v103, v88, v86, s15
	v_cndmask_b32_e64 v92, v89, v71, s19
	v_cmp_eq_u32_e64 s20, 1, v81
	ds_load_b128 v[87:90], v82 offset:1024
	v_cmp_eq_u32_e64 s22, 2, v81
	v_cmp_eq_u32_e64 s24, 3, v81
	v_cndmask_b32_e64 v104, v92, v95, s21
	v_cndmask_b32_e64 v65, v69, v65, s20
	v_cndmask_b32_e64 v69, v93, v85, s19
	v_cndmask_b32_e64 v83, v83, v91, s20
	ds_load_b128 v[91:94], v82 offset:1040
	v_cmp_eq_u32_e64 s25, 4, v81
	v_cndmask_b32_e64 v65, v65, v70, s22
	v_cmp_eq_u32_e64 s27, 5, v81
	v_cndmask_b32_e64 v70, v83, v84, s22
	;; [unrolled: 2-line block ×3, first 2 shown]
	v_cndmask_b32_e64 v65, v65, v66, s24
	v_cndmask_b32_e64 v66, v104, v72, s23
	;; [unrolled: 1-line block ×3, first 2 shown]
	v_cmp_eq_u32_e64 s26, 7, v77
	v_cndmask_b32_e64 v69, v69, v86, s23
	v_cndmask_b32_e64 v65, v65, v71, s25
	s_waitcnt lgkmcnt(1)
	v_lshrrev_b32_e32 v84, 16, v87
	v_cndmask_b32_e64 v70, v70, v85, s25
	v_cndmask_b32_e64 v83, v103, v99, s17
	;; [unrolled: 1-line block ×4, first 2 shown]
	v_lshrrev_b32_e32 v95, 16, v88
	v_cndmask_b32_e64 v70, v70, v98, s27
	s_waitcnt lgkmcnt(0)
	v_lshrrev_b32_e32 v85, 16, v91
	v_cndmask_b32_e64 v97, v87, v84, s2
	v_cndmask_b32_e64 v65, v65, v72, s28
	;; [unrolled: 1-line block ×4, first 2 shown]
	v_cndmask_b32_e32 v71, v87, v84, vcc_lo
	v_cndmask_b32_e32 v98, v91, v85, vcc_lo
	v_cmp_eq_u32_e32 vcc_lo, 7, v81
	v_cndmask_b32_e64 v72, v97, v88, s5
	v_lshrrev_b32_e32 v97, 16, v92
	v_lshrrev_b32_e32 v103, 16, v90
	v_dual_cndmask_b32 v65, v65, v96 :: v_dual_cndmask_b32 v70, v70, v99
	v_cndmask_b32_e64 v71, v71, v88, s3
	v_cndmask_b32_e64 v86, v98, v92, s3
	;; [unrolled: 1-line block ×3, first 2 shown]
	v_lshrrev_b32_e32 v98, 16, v89
	v_lshrrev_b32_e32 v99, 16, v93
	v_cndmask_b32_e64 v71, v71, v95, s6
	v_cndmask_b32_e64 v86, v86, v97, s6
	;; [unrolled: 1-line block ×3, first 2 shown]
	v_perm_b32 v72, v70, v65, 0x5040100
	v_perm_b32 v70, v83, v102, 0x5040100
	v_cndmask_b32_e64 v71, v71, v89, s8
	v_cndmask_b32_e64 v86, v86, v93, s8
	;; [unrolled: 1-line block ×3, first 2 shown]
	v_lshrrev_b32_e32 v83, 16, v94
	s_delay_alu instid0(VALU_DEP_4) | instskip(NEXT) | instid1(VALU_DEP_4)
	v_cndmask_b32_e64 v71, v71, v98, s9
	v_cndmask_b32_e64 v86, v86, v99, s9
	s_delay_alu instid0(VALU_DEP_4) | instskip(NEXT) | instid1(VALU_DEP_3)
	v_cndmask_b32_e64 v65, v65, v90, s15
	v_cndmask_b32_e64 v96, v71, v90, s11
	v_perm_b32 v71, v69, v66, 0x5040100
	s_delay_alu instid0(VALU_DEP_4)
	v_cndmask_b32_e64 v69, v86, v94, s11
	v_cndmask_b32_e64 v86, v87, v84, s4
	;; [unrolled: 1-line block ×34, first 2 shown]
	v_cndmask_b32_e32 v84, v84, v103, vcc_lo
	v_cndmask_b32_e32 v86, v87, v83, vcc_lo
	v_cndmask_b32_e64 v87, v88, v83, s26
	v_cndmask_b32_e64 v88, v85, v83, s17
	;; [unrolled: 1-line block ×3, first 2 shown]
	v_perm_b32 v69, v101, v100, 0x5040100
	v_perm_b32 v86, v86, v84, 0x5040100
	;; [unrolled: 1-line block ×5, first 2 shown]
	s_lshl_b32 s7, s35, 3
	s_mov_b32 s2, exec_lo
	ds_store_b128 v76, v[69:72]
	ds_store_b128 v76, v[83:86] offset:1024
	v_cmpx_gt_u32_e32 8, v0
	s_cbranch_execz .LBB1653_78
; %bb.77:
	v_or_b32_e32 v65, s29, v0
	s_load_b128 s[8:11], s[0:1], 0x58
	s_delay_alu instid0(VALU_DEP_1) | instskip(NEXT) | instid1(VALU_DEP_1)
	v_mad_u64_u32 v[69:70], null, s7, s30, v[65:66]
	v_mad_u64_u32 v[65:66], null, v69, s34, s[14:15]
	s_delay_alu instid0(VALU_DEP_1) | instskip(NEXT) | instid1(VALU_DEP_1)
	v_ashrrev_i32_e32 v66, 31, v65
	v_lshlrev_b64 v[65:66], 2, v[65:66]
	s_waitcnt lgkmcnt(0)
	s_delay_alu instid0(VALU_DEP_1) | instskip(NEXT) | instid1(VALU_DEP_2)
	v_add_co_u32 v69, vcc_lo, s10, v65
	v_add_co_ci_u32_e32 v70, vcc_lo, s11, v66, vcc_lo
	v_add_co_u32 v65, vcc_lo, s8, v65
	v_add_co_ci_u32_e32 v66, vcc_lo, s9, v66, vcc_lo
	global_store_b32 v[69:70], v67, off
	global_store_b32 v[65:66], v68, off
.LBB1653_78:
	s_or_b32 exec_lo, exec_lo, s2
	s_waitcnt lgkmcnt(0)
	s_waitcnt_vscnt null, 0x0
	s_barrier
	buffer_gl0_inv
	ds_load_b128 v[83:86], v80
	ds_load_b128 v[87:90], v80 offset:16
	ds_load_b128 v[95:98], v80 offset:2064
	;; [unrolled: 1-line block ×3, first 2 shown]
	v_mov_b32_e32 v65, 0
	ds_load_b128 v[103:106], v80 offset:4112
	ds_load_b128 v[99:102], v80 offset:4096
	;; [unrolled: 1-line block ×4, first 2 shown]
	v_mov_b32_e32 v66, v65
	v_mov_b32_e32 v67, v65
	;; [unrolled: 1-line block ×7, first 2 shown]
	s_waitcnt lgkmcnt(6)
	s_delay_alu instid0(VALU_DEP_1)
	v_wmma_f32_16x16x16_bf16 v[65:72], v[49:56], v[83:90], v[65:72]
	ds_load_b128 v[53:56], v80 offset:8208
	ds_load_b128 v[49:52], v80 offset:8192
	s_waitcnt lgkmcnt(6)
	v_wmma_f32_16x16x16_bf16 v[65:72], v[41:48], v[91:98], v[65:72]
	ds_load_b128 v[45:48], v80 offset:10256
	ds_load_b128 v[41:44], v80 offset:10240
	s_waitcnt lgkmcnt(6)
	;; [unrolled: 4-line block ×4, first 2 shown]
	v_wmma_f32_16x16x16_bf16 v[65:72], v[1:8], v[49:56], v[65:72]
	s_waitcnt lgkmcnt(4)
	s_delay_alu instid0(VALU_DEP_1) | instskip(SKIP_1) | instid1(VALU_DEP_1)
	v_wmma_f32_16x16x16_bf16 v[65:72], v[9:16], v[41:48], v[65:72]
	s_waitcnt lgkmcnt(2)
	v_wmma_f32_16x16x16_bf16 v[65:72], v[17:24], v[33:40], v[65:72]
	s_waitcnt lgkmcnt(0)
	s_delay_alu instid0(VALU_DEP_1) | instskip(NEXT) | instid1(VALU_DEP_1)
	v_wmma_f32_16x16x16_bf16 v[65:72], v[57:64], v[25:32], v[65:72]
	v_and_b32_e32 v1, 0x7f800000, v65
	s_delay_alu instid0(VALU_DEP_1) | instskip(SKIP_1) | instid1(SALU_CYCLE_1)
	v_cmp_ne_u32_e32 vcc_lo, 0x7f800000, v1
                                        ; implicit-def: $vgpr1
	s_and_saveexec_b32 s2, vcc_lo
	s_xor_b32 s2, exec_lo, s2
; %bb.79:
	v_bfe_u32 v1, v65, 16, 1
	s_delay_alu instid0(VALU_DEP_1)
	v_add3_u32 v1, v65, v1, 0x7fff
; %bb.80:
	s_and_not1_saveexec_b32 s2, s2
; %bb.81:
	v_and_b32_e32 v1, 0xffff, v65
	v_or_b32_e32 v2, 0x10000, v65
	s_delay_alu instid0(VALU_DEP_2) | instskip(NEXT) | instid1(VALU_DEP_2)
	v_cmp_eq_u32_e32 vcc_lo, 0, v1
	v_cndmask_b32_e32 v1, v2, v65, vcc_lo
; %bb.82:
	s_or_b32 exec_lo, exec_lo, s2
	v_and_b32_e32 v2, 0x7f800000, v66
	s_delay_alu instid0(VALU_DEP_1) | instskip(SKIP_1) | instid1(SALU_CYCLE_1)
	v_cmp_ne_u32_e32 vcc_lo, 0x7f800000, v2
                                        ; implicit-def: $vgpr2
	s_and_saveexec_b32 s2, vcc_lo
	s_xor_b32 s2, exec_lo, s2
; %bb.83:
	v_bfe_u32 v2, v66, 16, 1
	s_delay_alu instid0(VALU_DEP_1)
	v_add3_u32 v2, v66, v2, 0x7fff
; %bb.84:
	s_and_not1_saveexec_b32 s2, s2
; %bb.85:
	v_and_b32_e32 v2, 0xffff, v66
	v_or_b32_e32 v3, 0x10000, v66
	s_delay_alu instid0(VALU_DEP_2) | instskip(NEXT) | instid1(VALU_DEP_2)
	v_cmp_eq_u32_e32 vcc_lo, 0, v2
	v_cndmask_b32_e32 v2, v3, v66, vcc_lo
; %bb.86:
	s_or_b32 exec_lo, exec_lo, s2
	v_and_b32_e32 v3, 0x7f800000, v67
	s_delay_alu instid0(VALU_DEP_1) | instskip(SKIP_1) | instid1(SALU_CYCLE_1)
	v_cmp_ne_u32_e32 vcc_lo, 0x7f800000, v3
                                        ; implicit-def: $vgpr3
	s_and_saveexec_b32 s2, vcc_lo
	s_xor_b32 s2, exec_lo, s2
; %bb.87:
	v_bfe_u32 v3, v67, 16, 1
	s_delay_alu instid0(VALU_DEP_1)
	v_add3_u32 v3, v67, v3, 0x7fff
; %bb.88:
	s_and_not1_saveexec_b32 s2, s2
; %bb.89:
	v_and_b32_e32 v3, 0xffff, v67
	v_or_b32_e32 v4, 0x10000, v67
	s_delay_alu instid0(VALU_DEP_2) | instskip(NEXT) | instid1(VALU_DEP_2)
	v_cmp_eq_u32_e32 vcc_lo, 0, v3
	v_cndmask_b32_e32 v3, v4, v67, vcc_lo
; %bb.90:
	s_or_b32 exec_lo, exec_lo, s2
	v_and_b32_e32 v4, 0x7f800000, v68
	s_delay_alu instid0(VALU_DEP_1) | instskip(SKIP_1) | instid1(SALU_CYCLE_1)
	v_cmp_ne_u32_e32 vcc_lo, 0x7f800000, v4
                                        ; implicit-def: $vgpr4
	s_and_saveexec_b32 s2, vcc_lo
	s_xor_b32 s2, exec_lo, s2
; %bb.91:
	v_bfe_u32 v4, v68, 16, 1
	s_delay_alu instid0(VALU_DEP_1)
	v_add3_u32 v4, v68, v4, 0x7fff
; %bb.92:
	s_and_not1_saveexec_b32 s2, s2
; %bb.93:
	v_and_b32_e32 v4, 0xffff, v68
	v_or_b32_e32 v5, 0x10000, v68
	s_delay_alu instid0(VALU_DEP_2) | instskip(NEXT) | instid1(VALU_DEP_2)
	v_cmp_eq_u32_e32 vcc_lo, 0, v4
	v_cndmask_b32_e32 v4, v5, v68, vcc_lo
; %bb.94:
	s_or_b32 exec_lo, exec_lo, s2
	v_and_b32_e32 v5, 0x7f800000, v69
	s_delay_alu instid0(VALU_DEP_1) | instskip(SKIP_1) | instid1(SALU_CYCLE_1)
	v_cmp_ne_u32_e32 vcc_lo, 0x7f800000, v5
                                        ; implicit-def: $vgpr5
	s_and_saveexec_b32 s2, vcc_lo
	s_xor_b32 s2, exec_lo, s2
; %bb.95:
	v_bfe_u32 v5, v69, 16, 1
	s_delay_alu instid0(VALU_DEP_1)
	v_add3_u32 v5, v69, v5, 0x7fff
; %bb.96:
	s_and_not1_saveexec_b32 s2, s2
; %bb.97:
	v_and_b32_e32 v5, 0xffff, v69
	v_or_b32_e32 v6, 0x10000, v69
	s_delay_alu instid0(VALU_DEP_2) | instskip(NEXT) | instid1(VALU_DEP_2)
	v_cmp_eq_u32_e32 vcc_lo, 0, v5
	v_cndmask_b32_e32 v5, v6, v69, vcc_lo
; %bb.98:
	s_or_b32 exec_lo, exec_lo, s2
	v_and_b32_e32 v6, 0x7f800000, v70
	s_delay_alu instid0(VALU_DEP_1) | instskip(SKIP_1) | instid1(SALU_CYCLE_1)
	v_cmp_ne_u32_e32 vcc_lo, 0x7f800000, v6
                                        ; implicit-def: $vgpr6
	s_and_saveexec_b32 s2, vcc_lo
	s_xor_b32 s2, exec_lo, s2
; %bb.99:
	v_bfe_u32 v6, v70, 16, 1
	s_delay_alu instid0(VALU_DEP_1)
	v_add3_u32 v6, v70, v6, 0x7fff
; %bb.100:
	s_and_not1_saveexec_b32 s2, s2
; %bb.101:
	v_and_b32_e32 v6, 0xffff, v70
	v_or_b32_e32 v7, 0x10000, v70
	s_delay_alu instid0(VALU_DEP_2) | instskip(NEXT) | instid1(VALU_DEP_2)
	v_cmp_eq_u32_e32 vcc_lo, 0, v6
	v_cndmask_b32_e32 v6, v7, v70, vcc_lo
; %bb.102:
	s_or_b32 exec_lo, exec_lo, s2
	v_and_b32_e32 v7, 0x7f800000, v71
	s_delay_alu instid0(VALU_DEP_1) | instskip(SKIP_1) | instid1(SALU_CYCLE_1)
	v_cmp_ne_u32_e32 vcc_lo, 0x7f800000, v7
                                        ; implicit-def: $vgpr7
	s_and_saveexec_b32 s2, vcc_lo
	s_xor_b32 s2, exec_lo, s2
; %bb.103:
	v_bfe_u32 v7, v71, 16, 1
	s_delay_alu instid0(VALU_DEP_1)
	v_add3_u32 v7, v71, v7, 0x7fff
; %bb.104:
	s_and_not1_saveexec_b32 s2, s2
; %bb.105:
	v_and_b32_e32 v7, 0xffff, v71
	v_or_b32_e32 v8, 0x10000, v71
	s_delay_alu instid0(VALU_DEP_2) | instskip(NEXT) | instid1(VALU_DEP_2)
	v_cmp_eq_u32_e32 vcc_lo, 0, v7
	v_cndmask_b32_e32 v7, v8, v71, vcc_lo
; %bb.106:
	s_or_b32 exec_lo, exec_lo, s2
	v_and_b32_e32 v8, 0x7f800000, v72
	s_delay_alu instid0(VALU_DEP_1) | instskip(SKIP_1) | instid1(SALU_CYCLE_1)
	v_cmp_ne_u32_e32 vcc_lo, 0x7f800000, v8
                                        ; implicit-def: $vgpr8
	s_and_saveexec_b32 s2, vcc_lo
	s_xor_b32 s2, exec_lo, s2
; %bb.107:
	v_bfe_u32 v8, v72, 16, 1
	s_delay_alu instid0(VALU_DEP_1)
	v_add3_u32 v8, v72, v8, 0x7fff
                                        ; implicit-def: $vgpr65_vgpr66_vgpr67_vgpr68_vgpr69_vgpr70_vgpr71_vgpr72
; %bb.108:
	s_and_not1_saveexec_b32 s2, s2
; %bb.109:
	v_and_b32_e32 v8, 0xffff, v72
	v_or_b32_e32 v9, 0x10000, v72
	s_delay_alu instid0(VALU_DEP_2) | instskip(NEXT) | instid1(VALU_DEP_2)
	v_cmp_eq_u32_e32 vcc_lo, 0, v8
	v_cndmask_b32_e32 v8, v9, v72, vcc_lo
; %bb.110:
	s_or_b32 exec_lo, exec_lo, s2
	s_delay_alu instid0(VALU_DEP_1)
	v_perm_b32 v7, v8, v7, 0x7060302
	v_perm_b32 v6, v6, v5, 0x7060302
	;; [unrolled: 1-line block ×4, first 2 shown]
	s_barrier
	buffer_gl0_inv
	v_cmp_eq_u32_e32 vcc_lo, 1, v78
	ds_store_b128 v76, v[4:7]
	s_waitcnt lgkmcnt(0)
	s_barrier
	buffer_gl0_inv
	ds_load_b128 v[1:4], v82
	ds_load_b128 v[5:8], v82 offset:16
	v_cmp_eq_u32_e64 s2, 1, v79
	v_cmp_eq_u32_e64 s3, 2, v78
	;; [unrolled: 1-line block ×5, first 2 shown]
	s_waitcnt lgkmcnt(1)
	v_lshrrev_b32_e32 v9, 16, v1
	s_waitcnt lgkmcnt(0)
	v_lshrrev_b32_e32 v13, 16, v5
	v_lshrrev_b32_e32 v10, 16, v2
	;; [unrolled: 1-line block ×4, first 2 shown]
	v_cndmask_b32_e64 v19, v1, v9, s2
	v_cndmask_b32_e32 v18, v5, v13, vcc_lo
	v_cndmask_b32_e64 v20, v5, v13, s2
	v_cndmask_b32_e32 v17, v1, v9, vcc_lo
	v_cmp_eq_u32_e32 vcc_lo, 2, v79
	v_lshrrev_b32_e32 v15, 16, v7
	v_cmp_eq_u32_e64 s2, 1, v77
	v_lshrrev_b32_e32 v12, 16, v4
	v_lshrrev_b32_e32 v16, 16, v8
	v_cndmask_b32_e32 v20, v20, v6, vcc_lo
	v_cndmask_b32_e64 v17, v17, v2, s3
	v_cndmask_b32_e32 v19, v19, v2, vcc_lo
	v_cndmask_b32_e64 v18, v18, v6, s3
	v_cmp_eq_u32_e32 vcc_lo, 4, v78
	v_cmp_eq_u32_e64 s3, 3, v79
	v_cndmask_b32_e64 v17, v17, v10, s4
	v_cndmask_b32_e64 v21, v1, v9, s2
	;; [unrolled: 1-line block ×5, first 2 shown]
	v_cndmask_b32_e32 v17, v17, v3, vcc_lo
	v_cndmask_b32_e64 v20, v20, v14, s3
	v_cndmask_b32_e32 v18, v18, v7, vcc_lo
	v_cmp_eq_u32_e32 vcc_lo, 4, v79
	v_cmp_eq_u32_e64 s3, 5, v79
	v_cmp_eq_u32_e64 s2, 2, v81
	v_cndmask_b32_e64 v21, v21, v2, s6
	v_cmp_eq_u32_e64 s4, 5, v78
	v_cndmask_b32_e32 v19, v19, v3, vcc_lo
	v_cndmask_b32_e32 v20, v20, v7, vcc_lo
	v_cmp_eq_u32_e32 vcc_lo, 6, v79
	s_delay_alu instid0(VALU_DEP_4) | instskip(NEXT) | instid1(VALU_DEP_4)
	v_cndmask_b32_e64 v17, v17, v11, s4
	v_cndmask_b32_e64 v19, v19, v11, s3
	s_delay_alu instid0(VALU_DEP_4) | instskip(SKIP_1) | instid1(VALU_DEP_3)
	v_cndmask_b32_e64 v20, v20, v15, s3
	v_cmp_eq_u32_e64 s3, 1, v81
	v_cndmask_b32_e32 v19, v19, v4, vcc_lo
	v_cndmask_b32_e64 v18, v18, v15, s4
	s_delay_alu instid0(VALU_DEP_3)
	v_cndmask_b32_e64 v1, v1, v9, s3
	v_cndmask_b32_e64 v5, v5, v13, s3
	v_cmp_eq_u32_e64 s3, 3, v77
	v_cndmask_b32_e64 v13, v22, v6, s6
	v_cmp_eq_u32_e64 s6, 3, v81
	v_cndmask_b32_e64 v1, v1, v2, s2
	v_cndmask_b32_e64 v2, v5, v6, s2
	;; [unrolled: 1-line block ×3, first 2 shown]
	v_cmp_eq_u32_e64 s2, 4, v77
	v_cndmask_b32_e64 v6, v13, v14, s3
	v_cndmask_b32_e64 v1, v1, v10, s6
	v_cmp_eq_u32_e64 s3, 4, v81
	v_cndmask_b32_e64 v2, v2, v14, s6
	v_cndmask_b32_e64 v5, v9, v3, s2
	;; [unrolled: 3-line block ×3, first 2 shown]
	v_cndmask_b32_e64 v2, v2, v7, s3
	v_cmp_eq_u32_e64 s2, 5, v81
	v_cmp_eq_u32_e64 s4, 6, v78
	v_cndmask_b32_e64 v5, v5, v11, s6
	v_cmp_eq_u32_e64 s3, 6, v77
	v_cndmask_b32_e64 v3, v6, v15, s6
	v_cndmask_b32_e64 v1, v1, v11, s2
	v_cmp_eq_u32_e64 s6, 6, v81
	v_cndmask_b32_e64 v2, v2, v15, s2
	v_cndmask_b32_e64 v17, v17, v4, s4
	v_cndmask_b32_e64 v18, v18, v8, s4
	v_cmp_eq_u32_e64 s4, 7, v78
	v_cndmask_b32_e64 v5, v5, v4, s3
	;; [unrolled: 4-line block ×3, first 2 shown]
	v_cmp_eq_u32_e64 s3, 7, v77
	v_cndmask_b32_e32 v4, v20, v8, vcc_lo
	v_cndmask_b32_e64 v17, v17, v12, s4
	v_cndmask_b32_e64 v19, v19, v12, s5
	;; [unrolled: 1-line block ×8, first 2 shown]
	s_mov_b32 s2, exec_lo
	v_perm_b32 v4, v2, v1, 0x5040100
	v_perm_b32 v3, v3, v5, 0x5040100
	;; [unrolled: 1-line block ×4, first 2 shown]
	ds_store_b128 v76, v[1:4]
	s_waitcnt lgkmcnt(0)
	s_barrier
	buffer_gl0_inv
	v_cmpx_gt_u32_e32 32, v0
	s_cbranch_execz .LBB1653_2
; %bb.111:
	s_load_b64 s[0:1], s[0:1], 0x68
	s_lshl_b32 s4, s34, 7
	v_or_b32_e32 v2, s29, v74
	s_mul_i32 s2, s4, s30
	v_lshlrev_b32_e32 v1, 10, v0
	s_mul_i32 s2, s2, s7
	v_lshlrev_b32_e32 v3, 4, v75
	v_mul_lo_u32 v0, v2, s4
	s_ashr_i32 s3, s2, 31
	v_lshlrev_b32_e32 v4, 6, v74
	v_and_b32_e32 v1, 0x3800, v1
	v_or_b32_e32 v5, 2, v2
	s_lshl_b64 s[2:3], s[2:3], 1
	v_or_b32_e32 v6, 4, v2
	v_or_b32_e32 v7, 6, v2
	v_or3_b32 v12, v1, v3, v4
	v_ashrrev_i32_e32 v1, 31, v0
	v_mul_lo_u32 v2, v5, s4
	v_mul_lo_u32 v16, v6, s4
	;; [unrolled: 1-line block ×3, first 2 shown]
	s_waitcnt lgkmcnt(0)
	s_add_u32 s2, s0, s2
	s_addc_u32 s3, s1, s3
	s_lshl_b32 s0, s14, 7
	v_lshlrev_b64 v[0:1], 1, v[0:1]
	s_ashr_i32 s1, s0, 31
	v_ashrrev_i32_e32 v3, 31, v2
	s_lshl_b64 s[0:1], s[0:1], 1
	v_ashrrev_i32_e32 v17, 31, v16
	s_add_u32 s0, s2, s0
	s_addc_u32 s1, s3, s1
	v_add_co_u32 v24, s0, s0, v73
	s_delay_alu instid0(VALU_DEP_1) | instskip(SKIP_1) | instid1(VALU_DEP_3)
	v_add_co_ci_u32_e64 v25, null, s1, 0, s0
	v_lshlrev_b64 v[22:23], 1, v[2:3]
	v_add_co_u32 v18, vcc_lo, v24, v0
	s_delay_alu instid0(VALU_DEP_3)
	v_add_co_ci_u32_e32 v19, vcc_lo, v25, v1, vcc_lo
	ds_load_b128 v[0:3], v12
	ds_load_b128 v[4:7], v12 offset:128
	ds_load_b128 v[8:11], v12 offset:256
	;; [unrolled: 1-line block ×3, first 2 shown]
	v_ashrrev_i32_e32 v21, 31, v20
	v_lshlrev_b64 v[16:17], 1, v[16:17]
	v_add_co_u32 v22, vcc_lo, v24, v22
	v_add_co_ci_u32_e32 v23, vcc_lo, v25, v23, vcc_lo
	s_delay_alu instid0(VALU_DEP_4) | instskip(NEXT) | instid1(VALU_DEP_4)
	v_lshlrev_b64 v[20:21], 1, v[20:21]
	v_add_co_u32 v16, vcc_lo, v24, v16
	v_add_co_ci_u32_e32 v17, vcc_lo, v25, v17, vcc_lo
	s_delay_alu instid0(VALU_DEP_3) | instskip(NEXT) | instid1(VALU_DEP_4)
	v_add_co_u32 v20, vcc_lo, v24, v20
	v_add_co_ci_u32_e32 v21, vcc_lo, v25, v21, vcc_lo
	s_waitcnt lgkmcnt(3)
	global_store_b128 v[18:19], v[0:3], off
	s_waitcnt lgkmcnt(2)
	global_store_b128 v[22:23], v[4:7], off
	;; [unrolled: 2-line block ×4, first 2 shown]
	s_nop 0
	s_sendmsg sendmsg(MSG_DEALLOC_VGPRS)
	s_endpgm
	.section	.rodata,"a",@progbits
	.p2align	6, 0x0
	.amdhsa_kernel _Z39paged_attention_ll4mi_QKV_mfma16_kernelI14__hip_bfloat16hLN4vllm18Fp8KVCacheDataTypeE1ES0_Li32ELi128ELi256ELb0ELi8EL8MFMAType1EEvPKT_PKT0_S9_ifPKiSB_SB_iPKfiiiPfSE_PS4_PT2_iSD_SD_
		.amdhsa_group_segment_fixed_size 17472
		.amdhsa_private_segment_fixed_size 0
		.amdhsa_kernarg_size 400
		.amdhsa_user_sgpr_count 13
		.amdhsa_user_sgpr_dispatch_ptr 0
		.amdhsa_user_sgpr_queue_ptr 0
		.amdhsa_user_sgpr_kernarg_segment_ptr 1
		.amdhsa_user_sgpr_dispatch_id 0
		.amdhsa_user_sgpr_private_segment_size 0
		.amdhsa_wavefront_size32 1
		.amdhsa_uses_dynamic_stack 0
		.amdhsa_enable_private_segment 0
		.amdhsa_system_sgpr_workgroup_id_x 1
		.amdhsa_system_sgpr_workgroup_id_y 1
		.amdhsa_system_sgpr_workgroup_id_z 1
		.amdhsa_system_sgpr_workgroup_info 0
		.amdhsa_system_vgpr_workitem_id 0
		.amdhsa_next_free_vgpr 140
		.amdhsa_next_free_sgpr 36
		.amdhsa_reserve_vcc 1
		.amdhsa_float_round_mode_32 0
		.amdhsa_float_round_mode_16_64 0
		.amdhsa_float_denorm_mode_32 3
		.amdhsa_float_denorm_mode_16_64 3
		.amdhsa_dx10_clamp 1
		.amdhsa_ieee_mode 1
		.amdhsa_fp16_overflow 0
		.amdhsa_workgroup_processor_mode 1
		.amdhsa_memory_ordered 1
		.amdhsa_forward_progress 0
		.amdhsa_shared_vgpr_count 0
		.amdhsa_exception_fp_ieee_invalid_op 0
		.amdhsa_exception_fp_denorm_src 0
		.amdhsa_exception_fp_ieee_div_zero 0
		.amdhsa_exception_fp_ieee_overflow 0
		.amdhsa_exception_fp_ieee_underflow 0
		.amdhsa_exception_fp_ieee_inexact 0
		.amdhsa_exception_int_div_zero 0
	.end_amdhsa_kernel
	.section	.text._Z39paged_attention_ll4mi_QKV_mfma16_kernelI14__hip_bfloat16hLN4vllm18Fp8KVCacheDataTypeE1ES0_Li32ELi128ELi256ELb0ELi8EL8MFMAType1EEvPKT_PKT0_S9_ifPKiSB_SB_iPKfiiiPfSE_PS4_PT2_iSD_SD_,"axG",@progbits,_Z39paged_attention_ll4mi_QKV_mfma16_kernelI14__hip_bfloat16hLN4vllm18Fp8KVCacheDataTypeE1ES0_Li32ELi128ELi256ELb0ELi8EL8MFMAType1EEvPKT_PKT0_S9_ifPKiSB_SB_iPKfiiiPfSE_PS4_PT2_iSD_SD_,comdat
.Lfunc_end1653:
	.size	_Z39paged_attention_ll4mi_QKV_mfma16_kernelI14__hip_bfloat16hLN4vllm18Fp8KVCacheDataTypeE1ES0_Li32ELi128ELi256ELb0ELi8EL8MFMAType1EEvPKT_PKT0_S9_ifPKiSB_SB_iPKfiiiPfSE_PS4_PT2_iSD_SD_, .Lfunc_end1653-_Z39paged_attention_ll4mi_QKV_mfma16_kernelI14__hip_bfloat16hLN4vllm18Fp8KVCacheDataTypeE1ES0_Li32ELi128ELi256ELb0ELi8EL8MFMAType1EEvPKT_PKT0_S9_ifPKiSB_SB_iPKfiiiPfSE_PS4_PT2_iSD_SD_
                                        ; -- End function
	.section	.AMDGPU.csdata,"",@progbits
; Kernel info:
; codeLenInByte = 8860
; NumSgprs: 38
; NumVgprs: 140
; ScratchSize: 0
; MemoryBound: 0
; FloatMode: 240
; IeeeMode: 1
; LDSByteSize: 17472 bytes/workgroup (compile time only)
; SGPRBlocks: 4
; VGPRBlocks: 17
; NumSGPRsForWavesPerEU: 38
; NumVGPRsForWavesPerEU: 140
; Occupancy: 10
; WaveLimiterHint : 1
; COMPUTE_PGM_RSRC2:SCRATCH_EN: 0
; COMPUTE_PGM_RSRC2:USER_SGPR: 13
; COMPUTE_PGM_RSRC2:TRAP_HANDLER: 0
; COMPUTE_PGM_RSRC2:TGID_X_EN: 1
; COMPUTE_PGM_RSRC2:TGID_Y_EN: 1
; COMPUTE_PGM_RSRC2:TGID_Z_EN: 1
; COMPUTE_PGM_RSRC2:TIDIG_COMP_CNT: 0
	.section	.text._Z39paged_attention_ll4mi_QKV_mfma16_kernelI14__hip_bfloat16hLN4vllm18Fp8KVCacheDataTypeE1ES0_Li32ELi128ELi256ELb0ELi9EL8MFMAType1EEvPKT_PKT0_S9_ifPKiSB_SB_iPKfiiiPfSE_PS4_PT2_iSD_SD_,"axG",@progbits,_Z39paged_attention_ll4mi_QKV_mfma16_kernelI14__hip_bfloat16hLN4vllm18Fp8KVCacheDataTypeE1ES0_Li32ELi128ELi256ELb0ELi9EL8MFMAType1EEvPKT_PKT0_S9_ifPKiSB_SB_iPKfiiiPfSE_PS4_PT2_iSD_SD_,comdat
	.protected	_Z39paged_attention_ll4mi_QKV_mfma16_kernelI14__hip_bfloat16hLN4vllm18Fp8KVCacheDataTypeE1ES0_Li32ELi128ELi256ELb0ELi9EL8MFMAType1EEvPKT_PKT0_S9_ifPKiSB_SB_iPKfiiiPfSE_PS4_PT2_iSD_SD_ ; -- Begin function _Z39paged_attention_ll4mi_QKV_mfma16_kernelI14__hip_bfloat16hLN4vllm18Fp8KVCacheDataTypeE1ES0_Li32ELi128ELi256ELb0ELi9EL8MFMAType1EEvPKT_PKT0_S9_ifPKiSB_SB_iPKfiiiPfSE_PS4_PT2_iSD_SD_
	.globl	_Z39paged_attention_ll4mi_QKV_mfma16_kernelI14__hip_bfloat16hLN4vllm18Fp8KVCacheDataTypeE1ES0_Li32ELi128ELi256ELb0ELi9EL8MFMAType1EEvPKT_PKT0_S9_ifPKiSB_SB_iPKfiiiPfSE_PS4_PT2_iSD_SD_
	.p2align	8
	.type	_Z39paged_attention_ll4mi_QKV_mfma16_kernelI14__hip_bfloat16hLN4vllm18Fp8KVCacheDataTypeE1ES0_Li32ELi128ELi256ELb0ELi9EL8MFMAType1EEvPKT_PKT0_S9_ifPKiSB_SB_iPKfiiiPfSE_PS4_PT2_iSD_SD_,@function
_Z39paged_attention_ll4mi_QKV_mfma16_kernelI14__hip_bfloat16hLN4vllm18Fp8KVCacheDataTypeE1ES0_Li32ELi128ELi256ELb0ELi9EL8MFMAType1EEvPKT_PKT0_S9_ifPKiSB_SB_iPKfiiiPfSE_PS4_PT2_iSD_SD_: ; @_Z39paged_attention_ll4mi_QKV_mfma16_kernelI14__hip_bfloat16hLN4vllm18Fp8KVCacheDataTypeE1ES0_Li32ELi128ELi256ELb0ELi9EL8MFMAType1EEvPKT_PKT0_S9_ifPKiSB_SB_iPKfiiiPfSE_PS4_PT2_iSD_SD_
; %bb.0:
	s_load_b64 s[4:5], s[0:1], 0x30
	s_mov_b32 s30, s13
	s_waitcnt lgkmcnt(0)
	s_cmp_lg_u64 s[4:5], 0
	s_cselect_b32 s13, -1, 0
	s_ashr_i32 s31, s30, 31
	s_cmp_eq_u64 s[4:5], 0
	s_cbranch_scc1 .LBB1654_3
; %bb.1:
	s_lshl_b64 s[2:3], s[30:31], 2
	s_delay_alu instid0(SALU_CYCLE_1) | instskip(SKIP_4) | instid1(SALU_CYCLE_1)
	s_add_u32 s2, s4, s2
	s_addc_u32 s3, s5, s3
	s_load_b64 s[2:3], s[2:3], 0x0
	s_waitcnt lgkmcnt(0)
	s_sub_i32 s2, s3, s2
	s_cmp_eq_u32 s2, 1
	s_cselect_b32 s2, -1, 0
	s_delay_alu instid0(SALU_CYCLE_1)
	s_and_not1_b32 vcc_lo, exec_lo, s2
	s_cbranch_vccz .LBB1654_4
.LBB1654_2:
	s_nop 0
	s_sendmsg sendmsg(MSG_DEALLOC_VGPRS)
	s_endpgm
.LBB1654_3:
.LBB1654_4:
	s_load_b64 s[2:3], s[0:1], 0x28
	s_lshl_b64 s[6:7], s[30:31], 2
	s_waitcnt lgkmcnt(0)
	s_add_u32 s2, s2, s6
	s_addc_u32 s3, s3, s7
	s_lshl_b32 s12, s14, 8
	s_load_b32 s17, s[2:3], 0x0
	s_waitcnt lgkmcnt(0)
	s_cmp_ge_i32 s12, s17
	s_cbranch_scc1 .LBB1654_2
; %bb.5:
	s_clause 0x1
	s_load_b128 s[8:11], s[0:1], 0x8
	s_load_b64 s[2:3], s[0:1], 0x20
	s_and_not1_b32 vcc_lo, exec_lo, s13
	s_cbranch_vccnz .LBB1654_7
; %bb.6:
	s_add_u32 s4, s4, s6
	s_addc_u32 s5, s5, s7
	s_load_b32 s13, s[4:5], 0x0
	s_branch .LBB1654_8
.LBB1654_7:
	s_mov_b32 s13, s30
.LBB1654_8:
	s_load_b128 s[4:7], s[0:1], 0x48
	v_and_b32_e32 v65, 15, v0
	v_lshrrev_b32_e32 v66, 5, v0
	v_bfe_u32 v74, v0, 4, 1
	v_and_b32_e32 v67, 31, v0
	v_and_b32_e32 v75, 1, v0
	v_lshlrev_b32_e32 v2, 3, v65
	s_mul_i32 s31, s15, 9
	v_lshl_or_b32 v1, v66, 1, v74
	s_waitcnt lgkmcnt(0)
	s_mov_b32 s7, exec_lo
	v_lshlrev_b32_e32 v73, 1, v2
	s_delay_alu instid0(VALU_DEP_2)
	v_cmpx_gt_u32_e32 9, v1
	s_cbranch_execz .LBB1654_10
; %bb.9:
	s_load_b64 s[18:19], s[0:1], 0x0
	v_add_lshl_u32 v2, v1, s31, 7
	s_mul_hi_i32 s21, s13, s4
	s_mul_i32 s20, s13, s4
	v_lshlrev_b32_e32 v6, 10, v65
	s_lshl_b64 s[20:21], s[20:21], 1
	v_ashrrev_i32_e32 v3, 31, v2
	v_lshlrev_b32_e32 v1, 6, v1
	v_lshlrev_b32_e32 v7, 10, v75
	v_and_b32_e32 v6, 0x3800, v6
	s_delay_alu instid0(VALU_DEP_4) | instskip(NEXT) | instid1(VALU_DEP_2)
	v_lshlrev_b64 v[2:3], 1, v[2:3]
	v_or3_b32 v1, v6, v7, v1
	s_waitcnt lgkmcnt(0)
	s_add_u32 s4, s18, s20
	s_addc_u32 s13, s19, s21
	s_delay_alu instid0(VALU_DEP_2) | instskip(SKIP_1) | instid1(VALU_DEP_2)
	v_add_co_u32 v2, vcc_lo, s4, v2
	v_add_co_ci_u32_e32 v3, vcc_lo, s13, v3, vcc_lo
	v_add_co_u32 v2, vcc_lo, v2, v73
	s_delay_alu instid0(VALU_DEP_2)
	v_add_co_ci_u32_e32 v3, vcc_lo, 0, v3, vcc_lo
	global_load_b128 v[2:5], v[2:3], off
	s_waitcnt vmcnt(0)
	ds_store_b128 v1, v[2:5]
.LBB1654_10:
	s_or_b32 exec_lo, exec_lo, s7
	v_and_b32_e32 v1, 0xef, v0
	s_add_i32 s4, s17, 31
	s_clause 0x1
	s_load_b32 s7, s[0:1], 0x38
	s_load_b32 s18, s[0:1], 0x1c
	s_ashr_i32 s13, s4, 31
	v_add_nc_u32_e32 v1, s12, v1
	s_lshr_b32 s13, s13, 27
	s_waitcnt lgkmcnt(0)
	s_add_i32 s4, s4, s13
	s_barrier
	v_ashrrev_i32_e32 v2, 31, v1
	v_or_b32_e32 v3, 16, v1
	s_ashr_i32 s4, s4, 5
	v_cmp_gt_i32_e32 vcc_lo, s17, v1
	s_add_i32 s4, s4, -1
	v_lshrrev_b32_e32 v2, 27, v2
	buffer_gl0_inv
	s_mul_i32 s15, s15, s6
	v_add_nc_u32_e32 v4, v1, v2
	s_mul_i32 s20, s30, s7
	s_delay_alu instid0(SALU_CYCLE_1) | instskip(NEXT) | instid1(VALU_DEP_1)
	s_ashr_i32 s21, s20, 31
	v_ashrrev_i32_e32 v4, 5, v4
	v_add_nc_u32_e32 v2, v3, v2
	s_lshl_b64 s[20:21], s[20:21], 2
	s_delay_alu instid0(SALU_CYCLE_1) | instskip(NEXT) | instid1(VALU_DEP_2)
	s_add_u32 s13, s2, s20
	v_cndmask_b32_e32 v1, s4, v4, vcc_lo
	s_delay_alu instid0(VALU_DEP_2)
	v_ashrrev_i32_e32 v2, 5, v2
	v_cmp_gt_i32_e32 vcc_lo, s17, v3
	s_addc_u32 s16, s3, s21
	s_ashr_i32 s19, s15, 31
	s_add_u32 s2, s8, s15
	s_addc_u32 s3, s9, s19
	v_cndmask_b32_e32 v3, s4, v2, vcc_lo
	v_ashrrev_i32_e32 v2, 31, v1
	s_lshl_b32 s6, s14, 3
	s_delay_alu instid0(SALU_CYCLE_1) | instskip(NEXT) | instid1(VALU_DEP_2)
	s_ashr_i32 s7, s6, 31
	v_ashrrev_i32_e32 v4, 31, v3
	s_delay_alu instid0(VALU_DEP_2) | instskip(SKIP_1) | instid1(SALU_CYCLE_1)
	v_lshlrev_b64 v[1:2], 2, v[1:2]
	s_lshl_b64 s[6:7], s[6:7], 2
	s_add_u32 s6, s13, s6
	s_delay_alu instid0(VALU_DEP_2) | instskip(SKIP_1) | instid1(VALU_DEP_2)
	v_lshlrev_b64 v[3:4], 2, v[3:4]
	s_addc_u32 s7, s16, s7
	v_add_co_u32 v1, vcc_lo, s13, v1
	v_add_co_ci_u32_e32 v2, vcc_lo, s16, v2, vcc_lo
	s_delay_alu instid0(VALU_DEP_3) | instskip(NEXT) | instid1(VALU_DEP_4)
	v_add_co_u32 v3, vcc_lo, s13, v3
	v_add_co_ci_u32_e32 v4, vcc_lo, s16, v4, vcc_lo
	s_clause 0x1
	global_load_b32 v5, v[1:2], off
	global_load_b32 v6, v[3:4], off
	s_or_b32 s8, s12, 32
	s_delay_alu instid0(SALU_CYCLE_1) | instskip(SKIP_2) | instid1(SALU_CYCLE_1)
	s_ashr_i32 s9, s8, 5
	s_cmp_lt_i32 s8, s17
	s_cselect_b32 s8, s9, s4
	s_ashr_i32 s9, s8, 31
	s_delay_alu instid0(SALU_CYCLE_1) | instskip(NEXT) | instid1(SALU_CYCLE_1)
	s_lshl_b64 s[8:9], s[8:9], 2
	s_add_u32 s8, s13, s8
	s_addc_u32 s9, s16, s9
	s_or_b32 s20, s12, 64
	s_delay_alu instid0(SALU_CYCLE_1) | instskip(SKIP_2) | instid1(SALU_CYCLE_1)
	s_ashr_i32 s21, s20, 5
	s_cmp_lt_i32 s20, s17
	s_cselect_b32 s20, s21, s4
	s_ashr_i32 s21, s20, 31
	s_delay_alu instid0(SALU_CYCLE_1) | instskip(NEXT) | instid1(SALU_CYCLE_1)
	s_lshl_b64 s[20:21], s[20:21], 2
	s_add_u32 s20, s13, s20
	s_addc_u32 s21, s16, s21
	;; [unrolled: 10-line block ×5, first 2 shown]
	s_clause 0x5
	s_load_b32 s28, s[6:7], 0x0
	s_load_b32 s8, s[8:9], 0x0
	;; [unrolled: 1-line block ×6, first 2 shown]
	s_mov_b32 s20, 0
	s_delay_alu instid0(SALU_CYCLE_1)
	s_mov_b32 s21, s20
	s_mov_b32 s22, s20
	;; [unrolled: 1-line block ×7, first 2 shown]
	s_delay_alu instid0(SALU_CYCLE_1)
	v_dual_mov_b32 v107, s27 :: v_dual_mov_b32 v106, s26
	v_dual_mov_b32 v104, s24 :: v_dual_mov_b32 v103, s23
	;; [unrolled: 1-line block ×3, first 2 shown]
	v_mov_b32_e32 v100, s20
	s_waitcnt vmcnt(1)
	v_mad_i64_i32 v[1:2], null, v5, s5, s[2:3]
	v_lshlrev_b32_e32 v5, 4, v65
	s_waitcnt vmcnt(0)
	v_mad_i64_i32 v[3:4], null, v6, s5, s[2:3]
	s_or_b32 s2, s12, 0xc0
	s_delay_alu instid0(SALU_CYCLE_1) | instskip(NEXT) | instid1(VALU_DEP_3)
	s_ashr_i32 s3, s2, 5
	v_add_co_u32 v33, vcc_lo, v1, v5
	s_delay_alu instid0(VALU_DEP_4) | instskip(NEXT) | instid1(VALU_DEP_3)
	v_add_co_ci_u32_e32 v34, vcc_lo, 0, v2, vcc_lo
	v_add_co_u32 v35, vcc_lo, v3, v5
	s_delay_alu instid0(VALU_DEP_4)
	v_add_co_ci_u32_e32 v36, vcc_lo, 0, v4, vcc_lo
	s_clause 0xf
	global_load_b128 v[1:4], v[33:34], off
	global_load_b128 v[5:8], v[33:34], off offset:512
	global_load_b128 v[9:12], v[35:36], off offset:256
	;; [unrolled: 1-line block ×15, first 2 shown]
	s_cmp_lt_i32 s2, s17
	v_add_nc_u32_e32 v33, -9, v65
	s_cselect_b32 s2, s3, s4
	v_cmp_gt_u32_e32 vcc_lo, 9, v65
	s_ashr_i32 s3, s2, 31
	v_lshlrev_b32_e32 v34, 5, v65
	s_lshl_b64 s[2:3], s[2:3], 2
	s_delay_alu instid0(SALU_CYCLE_1)
	s_add_u32 s2, s13, s2
	s_addc_u32 s3, s16, s3
	s_or_b32 s6, s12, 0xe0
	v_cndmask_b32_e32 v33, v33, v65, vcc_lo
	s_ashr_i32 s7, s6, 5
	s_cmp_lt_i32 s6, s17
	v_mov_b32_e32 v105, s25
	s_cselect_b32 s6, s7, s4
	v_lshlrev_b32_e32 v72, 6, v33
	s_ashr_i32 s7, s6, 31
	v_lshl_or_b32 v41, v66, 9, v34
	s_lshl_b64 s[6:7], s[6:7], 2
	ds_load_b128 v[33:36], v72
	ds_load_b128 v[37:40], v72 offset:1024
	ds_load_b128 v[108:111], v72 offset:2048
	;; [unrolled: 1-line block ×3, first 2 shown]
	s_load_b32 s4, s[2:3], 0x0
	s_add_u32 s2, s13, s6
	s_addc_u32 s3, s16, s7
	ds_load_b128 v[116:119], v72 offset:4096
	ds_load_b128 v[120:123], v72 offset:5120
	s_load_b32 s2, s[2:3], 0x0
	s_add_u32 s6, s10, s15
	s_addc_u32 s7, s11, s19
	v_add_co_u32 v68, s6, s6, v41
	s_delay_alu instid0(VALU_DEP_1) | instskip(SKIP_1) | instid1(VALU_DEP_1)
	v_add_co_ci_u32_e64 v69, null, s7, 0, s6
	s_waitcnt lgkmcnt(0)
	v_mad_i64_i32 v[41:42], null, s28, s5, v[68:69]
	v_mad_i64_i32 v[70:71], null, s9, s5, v[68:69]
	;; [unrolled: 1-line block ×7, first 2 shown]
	s_clause 0x3
	global_load_b128 v[49:52], v[41:42], off
	global_load_b128 v[53:56], v[41:42], off offset:16
	global_load_b128 v[41:44], v[45:46], off
	global_load_b128 v[45:48], v[45:46], off offset:16
	s_waitcnt vmcnt(18)
	v_wmma_f32_16x16x16_bf16 v[124:131], v[1:8], v[33:40], v[100:107]
	s_waitcnt vmcnt(16)
	v_wmma_f32_16x16x16_bf16 v[100:107], v[9:16], v[33:40], v[100:107]
	s_clause 0x1
	global_load_b128 v[33:36], v[70:71], off
	global_load_b128 v[37:40], v[70:71], off offset:16
	v_mad_i64_i32 v[70:71], null, s2, s5, v[68:69]
	s_waitcnt vmcnt(16)
	v_wmma_f32_16x16x16_bf16 v[124:131], v[17:24], v[108:115], v[124:131]
	s_waitcnt vmcnt(14)
	v_wmma_f32_16x16x16_bf16 v[100:107], v[25:32], v[108:115], v[100:107]
	s_clause 0x7
	global_load_b128 v[25:28], v[132:133], off
	global_load_b128 v[29:32], v[132:133], off offset:16
	global_load_b128 v[1:4], v[134:135], off
	global_load_b128 v[5:8], v[134:135], off offset:16
	;; [unrolled: 2-line block ×4, first 2 shown]
	s_waitcnt vmcnt(20)
	v_wmma_f32_16x16x16_bf16 v[124:131], v[57:64], v[116:123], v[124:131]
	s_clause 0x1
	global_load_b128 v[57:60], v[70:71], off
	global_load_b128 v[61:64], v[70:71], off offset:16
	s_waitcnt vmcnt(20)
	v_wmma_f32_16x16x16_bf16 v[100:107], v[76:83], v[116:123], v[100:107]
	ds_load_b128 v[76:79], v72 offset:6144
	ds_load_b128 v[80:83], v72 offset:7168
	v_and_b32_e32 v68, 0xe0, v0
	v_mbcnt_lo_u32_b32 v69, -1, 0
	s_waitcnt vmcnt(0) lgkmcnt(0)
	s_barrier
	buffer_gl0_inv
	v_add_nc_u32_e32 v68, s12, v68
	v_xor_b32_e32 v70, 16, v69
	s_delay_alu instid0(VALU_DEP_2) | instskip(NEXT) | instid1(VALU_DEP_2)
	v_or_b32_e32 v68, v68, v74
	v_cmp_gt_i32_e32 vcc_lo, 32, v70
	s_delay_alu instid0(VALU_DEP_2)
	v_or_b32_e32 v71, 4, v68
	v_or_b32_e32 v72, 6, v68
	v_cmp_gt_i32_e64 s2, s17, v68
	v_or_b32_e32 v108, 8, v68
	v_wmma_f32_16x16x16_bf16 v[124:131], v[84:91], v[76:83], v[124:131]
	v_cndmask_b32_e32 v69, v69, v70, vcc_lo
	v_or_b32_e32 v70, 2, v68
	v_wmma_f32_16x16x16_bf16 v[100:107], v[92:99], v[76:83], v[100:107]
	v_or_b32_e32 v109, 10, v68
	v_dual_mul_f32 v80, s18, v129 :: v_dual_mul_f32 v81, s18, v128
	v_dual_mul_f32 v92, s18, v125 :: v_dual_mul_f32 v93, s18, v124
	s_delay_alu instid0(VALU_DEP_4)
	v_mul_f32_e32 v96, s18, v105
	v_cmp_gt_i32_e32 vcc_lo, s17, v70
	v_or_b32_e32 v89, 22, v68
	v_dual_mul_f32 v79, s18, v130 :: v_dual_mul_f32 v82, s18, v127
	v_dual_mul_f32 v83, s18, v126 :: v_dual_mul_f32 v94, s18, v107
	v_cndmask_b32_e64 v93, 0xff7fffff, v93, s2
	v_cndmask_b32_e32 v92, 0xff7fffff, v92, vcc_lo
	v_cmp_gt_i32_e64 s3, s17, v71
	v_cmp_gt_i32_e64 s4, s17, v72
	v_or_b32_e32 v84, 12, v68
	v_or_b32_e32 v85, 14, v68
	v_cmp_gt_i32_e64 s5, s17, v108
	v_cndmask_b32_e64 v71, 0xff7fffff, v83, s3
	v_cndmask_b32_e64 v72, 0xff7fffff, v82, s4
	v_cmp_gt_i32_e64 s6, s17, v109
	v_cmp_gt_i32_e64 s12, s17, v89
	v_lshlrev_b32_e32 v89, 2, v69
	v_max3_f32 v82, v93, 0xff7fffff, v92
	v_or_b32_e32 v86, 16, v68
	v_or_b32_e32 v87, 18, v68
	v_mul_f32_e32 v78, s18, v131
	v_cndmask_b32_e64 v81, 0xff7fffff, v81, s5
	v_cndmask_b32_e64 v80, 0xff7fffff, v80, s6
	v_max3_f32 v71, v82, v71, v72
	v_cmp_gt_i32_e64 s7, s17, v84
	v_cmp_gt_i32_e64 s8, s17, v85
	v_or_b32_e32 v88, 20, v68
	v_or_b32_e32 v90, 24, v68
	;; [unrolled: 1-line block ×5, first 2 shown]
	v_dual_mul_f32 v97, s18, v104 :: v_dual_mul_f32 v70, s18, v101
	v_dual_mul_f32 v99, s18, v102 :: v_dual_mul_f32 v68, s18, v100
	v_cndmask_b32_e64 v72, 0xff7fffff, v79, s7
	v_cndmask_b32_e64 v78, 0xff7fffff, v78, s8
	v_max3_f32 v71, v71, v81, v80
	v_cmp_gt_i32_e64 s9, s17, v86
	v_cmp_gt_i32_e64 s10, s17, v87
	v_dual_mul_f32 v95, s18, v106 :: v_dual_mul_f32 v98, s18, v103
	s_delay_alu instid0(VALU_DEP_4) | instskip(NEXT) | instid1(VALU_DEP_4)
	v_max3_f32 v71, v71, v72, v78
	v_cndmask_b32_e64 v68, 0xff7fffff, v68, s9
	s_delay_alu instid0(VALU_DEP_4)
	v_cndmask_b32_e64 v70, 0xff7fffff, v70, s10
	v_cmp_gt_i32_e64 s11, s17, v88
	v_cndmask_b32_e64 v78, 0xff7fffff, v98, s12
	v_cmp_gt_i32_e64 s13, s17, v90
	v_cmp_gt_i32_e64 s15, s17, v91
	v_max3_f32 v68, v71, v68, v70
	v_cndmask_b32_e64 v72, 0xff7fffff, v99, s11
	v_cmp_gt_i32_e64 s16, s17, v76
	v_cndmask_b32_e64 v70, 0xff7fffff, v97, s13
	v_cndmask_b32_e64 v71, 0xff7fffff, v96, s15
	v_cmp_gt_i32_e64 s17, s17, v77
	v_max3_f32 v68, v68, v72, v78
	v_cndmask_b32_e64 v72, 0xff7fffff, v95, s16
	s_delay_alu instid0(VALU_DEP_3) | instskip(NEXT) | instid1(VALU_DEP_3)
	v_cndmask_b32_e64 v76, 0xff7fffff, v94, s17
	v_max3_f32 v68, v68, v70, v71
	s_delay_alu instid0(VALU_DEP_1) | instskip(SKIP_3) | instid1(VALU_DEP_1)
	v_max3_f32 v68, v68, v72, v76
	ds_bpermute_b32 v69, v89, v68
	s_waitcnt lgkmcnt(0)
	v_max_f32_e32 v69, v69, v69
	v_max_f32_e32 v68, v68, v69
	s_delay_alu instid0(VALU_DEP_1) | instskip(NEXT) | instid1(VALU_DEP_1)
	v_fma_f32 v71, s18, v126, -v68
	v_mul_f32_e32 v71, 0x3fb8aa3b, v71
	v_fma_f32 v70, s18, v125, -v68
	v_fma_f32 v69, s18, v124, -v68
	v_fma_f32 v76, s18, v128, -v68
	v_fma_f32 v72, s18, v127, -v68
	v_fma_f32 v78, s18, v130, -v68
	s_delay_alu instid0(VALU_DEP_4) | instskip(SKIP_1) | instid1(VALU_DEP_3)
	v_dual_mul_f32 v70, 0x3fb8aa3b, v70 :: v_dual_mul_f32 v69, 0x3fb8aa3b, v69
	v_exp_f32_e32 v71, v71
	v_mul_f32_e32 v72, 0x3fb8aa3b, v72
	v_fma_f32 v81, s18, v105, -v68
	s_delay_alu instid0(VALU_DEP_3)
	v_exp_f32_e32 v70, v70
	v_mul_f32_e32 v77, 0x3fb8aa3b, v76
	v_exp_f32_e32 v69, v69
	v_exp_f32_e32 v72, v72
	v_mul_f32_e32 v81, 0x3fb8aa3b, v81
	v_cndmask_b32_e64 v83, 0, v71, s3
	v_fma_f32 v71, s18, v131, -v68
	s_delay_alu instid0(VALU_DEP_3) | instskip(SKIP_4) | instid1(TRANS32_DEP_3)
	v_exp_f32_e32 v81, v81
	v_cndmask_b32_e32 v76, 0, v70, vcc_lo
	v_exp_f32_e32 v77, v77
	v_cndmask_b32_e64 v80, 0, v69, s2
	v_fma_f32 v69, s18, v129, -v68
	v_cndmask_b32_e64 v85, 0, v72, s4
	v_mul_f32_e32 v71, 0x3fb8aa3b, v71
	v_fma_f32 v72, s18, v100, -v68
	s_delay_alu instid0(VALU_DEP_4) | instskip(SKIP_1) | instid1(VALU_DEP_4)
	v_dual_add_f32 v70, 0, v80 :: v_dual_mul_f32 v69, 0x3fb8aa3b, v69
	v_cmp_gt_u32_e64 s2, 16, v67
	v_exp_f32_e32 v71, v71
	s_delay_alu instid0(TRANS32_DEP_2) | instskip(SKIP_4) | instid1(VALU_DEP_3)
	v_cndmask_b32_e64 v86, 0, v77, s5
	v_fma_f32 v77, s18, v101, -v68
	v_mul_f32_e32 v78, 0x3fb8aa3b, v78
	v_add_f32_e32 v70, v70, v76
	v_exp_f32_e32 v69, v69
	v_mul_f32_e32 v77, 0x3fb8aa3b, v77
	s_delay_alu instid0(VALU_DEP_3) | instskip(NEXT) | instid1(TRANS32_DEP_3)
	v_exp_f32_e32 v78, v78
	v_cndmask_b32_e64 v88, 0, v71, s8
	v_fma_f32 v71, s18, v104, -v68
	s_delay_alu instid0(VALU_DEP_3) | instskip(NEXT) | instid1(TRANS32_DEP_3)
	v_exp_f32_e32 v77, v77
	v_cndmask_b32_e64 v87, 0, v69, s6
	s_delay_alu instid0(VALU_DEP_2)
	v_mul_f32_e32 v71, 0x3fb8aa3b, v71
	s_waitcnt_depctr 0xfff
	v_cndmask_b32_e64 v84, 0, v78, s7
	v_add_f32_e32 v70, v70, v83
	v_fma_f32 v78, s18, v103, -v68
	v_exp_f32_e32 v82, v71
	s_delay_alu instid0(VALU_DEP_2) | instskip(SKIP_1) | instid1(VALU_DEP_3)
	v_add_f32_e32 v70, v70, v85
	v_mul_f32_e32 v72, 0x3fb8aa3b, v72
	v_mul_f32_e32 v78, 0x3fb8aa3b, v78
	s_delay_alu instid0(VALU_DEP_3) | instskip(SKIP_1) | instid1(VALU_DEP_4)
	v_add_f32_e32 v69, v70, v86
	v_fma_f32 v70, s18, v102, -v68
	v_exp_f32_e32 v72, v72
	s_delay_alu instid0(VALU_DEP_3) | instskip(NEXT) | instid1(VALU_DEP_1)
	v_exp_f32_e32 v78, v78
	v_dual_add_f32 v69, v69, v87 :: v_dual_mul_f32 v70, 0x3fb8aa3b, v70
	s_delay_alu instid0(VALU_DEP_1) | instskip(NEXT) | instid1(VALU_DEP_2)
	v_add_f32_e32 v69, v69, v84
	v_exp_f32_e32 v79, v70
	s_delay_alu instid0(TRANS32_DEP_3) | instskip(NEXT) | instid1(VALU_DEP_2)
	v_cndmask_b32_e64 v70, 0, v72, s9
	v_add_f32_e32 v72, v69, v88
	v_cndmask_b32_e64 v69, 0, v77, s10
	v_fma_f32 v77, s18, v106, -v68
	s_waitcnt_depctr 0xfff
	v_cndmask_b32_e64 v71, 0, v79, s11
	v_dual_mul_f32 v77, 0x3fb8aa3b, v77 :: v_dual_add_f32 v72, v72, v70
	s_delay_alu instid0(VALU_DEP_1) | instskip(NEXT) | instid1(VALU_DEP_1)
	v_exp_f32_e32 v90, v77
	v_add_f32_e32 v79, v72, v69
	v_cndmask_b32_e64 v72, 0, v78, s12
	v_cndmask_b32_e64 v77, 0, v82, s13
	s_delay_alu instid0(VALU_DEP_3) | instskip(SKIP_1) | instid1(VALU_DEP_1)
	v_add_f32_e32 v78, v79, v71
	v_fma_f32 v79, s18, v107, -v68
	v_dual_add_f32 v82, v78, v72 :: v_dual_mul_f32 v79, 0x3fb8aa3b, v79
	v_cndmask_b32_e64 v78, 0, v81, s15
	s_delay_alu instid0(VALU_DEP_2) | instskip(NEXT) | instid1(VALU_DEP_3)
	v_add_f32_e32 v81, v82, v77
	v_exp_f32_e32 v82, v79
	v_cndmask_b32_e64 v79, 0, v90, s16
	s_delay_alu instid0(VALU_DEP_2) | instskip(NEXT) | instid1(VALU_DEP_1)
	v_add_f32_e32 v81, v81, v78
	v_add_f32_e32 v90, v81, v79
	s_waitcnt_depctr 0xfff
	v_cndmask_b32_e64 v81, 0, v82, s17
	s_delay_alu instid0(VALU_DEP_1)
	v_add_f32_e32 v82, v90, v81
	ds_bpermute_b32 v89, v89, v82
	s_and_saveexec_b32 s3, s2
	s_cbranch_execz .LBB1654_12
; %bb.11:
	v_mul_u32_u24_e32 v67, 0x44, v66
	s_delay_alu instid0(VALU_DEP_1) | instskip(SKIP_1) | instid1(VALU_DEP_1)
	v_lshl_add_u32 v67, v65, 2, v67
	s_waitcnt lgkmcnt(0)
	v_dual_add_f32 v82, v82, v89 :: v_dual_add_nc_u32 v67, 0x4000, v67
	ds_store_2addr_b32 v67, v68, v82 offset1:136
.LBB1654_12:
	s_or_b32 exec_lo, exec_lo, s3
	v_lshlrev_b32_e32 v67, 2, v65
	s_waitcnt lgkmcnt(0)
	s_barrier
	buffer_gl0_inv
	v_cmp_eq_u32_e32 vcc_lo, 1, v66
	v_add_nc_u32_e32 v82, 0x4000, v67
	v_cmp_eq_u32_e64 s3, 2, v66
	v_cmp_eq_u32_e64 s5, 7, v66
	ds_load_2addr_b32 v[89:90], v82 offset1:17
	ds_load_2addr_b32 v[91:92], v82 offset0:34 offset1:51
	ds_load_2addr_b32 v[93:94], v82 offset0:68 offset1:85
	;; [unrolled: 1-line block ×4, first 2 shown]
	s_waitcnt lgkmcnt(4)
	v_max3_f32 v67, v89, 0xff7fffff, v90
	s_waitcnt lgkmcnt(3)
	s_delay_alu instid0(VALU_DEP_1) | instskip(SKIP_1) | instid1(VALU_DEP_1)
	v_max3_f32 v67, v67, v91, v92
	s_waitcnt lgkmcnt(2)
	v_max3_f32 v67, v67, v93, v94
	s_waitcnt lgkmcnt(1)
	s_delay_alu instid0(VALU_DEP_1) | instskip(NEXT) | instid1(VALU_DEP_1)
	v_max3_f32 v67, v67, v95, v96
	v_sub_f32_e32 v93, v93, v67
	s_delay_alu instid0(VALU_DEP_1) | instskip(NEXT) | instid1(VALU_DEP_1)
	v_dual_sub_f32 v68, v89, v67 :: v_dual_mul_f32 v103, 0x3fb8aa3b, v93
	v_mul_f32_e32 v68, 0x3fb8aa3b, v68
	s_delay_alu instid0(VALU_DEP_1)
	v_exp_f32_e32 v100, v68
	v_sub_f32_e32 v68, v92, v67
	v_sub_f32_e32 v99, v90, v67
	ds_load_2addr_b32 v[89:90], v82 offset0:170 offset1:187
	v_dual_mul_f32 v102, 0x3fb8aa3b, v68 :: v_dual_mul_f32 v99, 0x3fb8aa3b, v99
	s_waitcnt lgkmcnt(1)
	v_fma_f32 v68, v100, v97, 0
	s_delay_alu instid0(VALU_DEP_2) | instskip(NEXT) | instid1(VALU_DEP_2)
	v_exp_f32_e32 v102, v102
	v_exp_f32_e32 v99, v99
	s_waitcnt_depctr 0xfff
	v_fmac_f32_e32 v68, v99, v98
	v_sub_f32_e32 v91, v91, v67
	s_delay_alu instid0(VALU_DEP_1)
	v_mul_f32_e32 v101, 0x3fb8aa3b, v91
	ds_load_2addr_b32 v[91:92], v82 offset0:204 offset1:221
	v_sub_f32_e32 v97, v94, v67
	ds_load_2addr_b32 v[93:94], v82 offset0:238 offset1:255
	s_waitcnt lgkmcnt(0)
	v_exp_f32_e32 v101, v101
	s_barrier
	buffer_gl0_inv
	v_dual_fmac_f32 v68, v101, v89 :: v_dual_sub_f32 v89, v96, v67
	v_dual_sub_f32 v82, v95, v67 :: v_dual_mul_f32 v95, 0x3fb8aa3b, v97
	v_exp_f32_e32 v97, v103
	s_delay_alu instid0(VALU_DEP_2) | instskip(NEXT) | instid1(VALU_DEP_2)
	v_dual_fmac_f32 v68, v102, v90 :: v_dual_mul_f32 v89, 0x3fb8aa3b, v89
	v_mul_f32_e32 v82, 0x3fb8aa3b, v82
	s_delay_alu instid0(VALU_DEP_3) | instskip(NEXT) | instid1(VALU_DEP_2)
	v_exp_f32_e32 v95, v95
	v_exp_f32_e32 v89, v89
	s_delay_alu instid0(VALU_DEP_1)
	v_exp_f32_e32 v82, v82
	v_fmac_f32_e32 v68, v97, v91
	s_delay_alu instid0(TRANS32_DEP_3) | instid1(VALU_DEP_1)
	v_fmac_f32_e32 v68, v95, v92
	s_waitcnt_depctr 0xfff
	v_fmac_f32_e32 v68, v82, v93
	s_delay_alu instid0(VALU_DEP_1) | instskip(NEXT) | instid1(VALU_DEP_1)
	v_fmac_f32_e32 v68, v89, v94
	v_add_f32_e32 v90, 0x358637bd, v68
	s_delay_alu instid0(VALU_DEP_1) | instskip(NEXT) | instid1(VALU_DEP_1)
	v_div_scale_f32 v91, null, v90, v90, 1.0
	v_rcp_f32_e32 v92, v91
	s_waitcnt_depctr 0xfff
	v_fma_f32 v93, -v91, v92, 1.0
	s_delay_alu instid0(VALU_DEP_1) | instskip(SKIP_1) | instid1(VALU_DEP_2)
	v_dual_fmac_f32 v92, v93, v92 :: v_dual_cndmask_b32 v93, v100, v99
	v_cmp_eq_u32_e32 vcc_lo, 3, v66
	v_cndmask_b32_e64 v93, v93, v101, s3
	v_cmp_eq_u32_e64 s3, 4, v66
	s_delay_alu instid0(VALU_DEP_2) | instskip(SKIP_1) | instid1(VALU_DEP_2)
	v_cndmask_b32_e32 v93, v93, v102, vcc_lo
	v_cmp_eq_u32_e32 vcc_lo, 5, v66
	v_cndmask_b32_e64 v93, v93, v97, s3
	v_cmp_eq_u32_e64 s3, 6, v66
	s_delay_alu instid0(VALU_DEP_2) | instskip(SKIP_1) | instid1(VALU_DEP_1)
	v_cndmask_b32_e32 v93, v93, v95, vcc_lo
	v_div_scale_f32 v94, s4, 1.0, v90, 1.0
	s_mov_b32 vcc_lo, s4
	s_delay_alu instid0(VALU_DEP_2) | instskip(NEXT) | instid1(VALU_DEP_2)
	v_cndmask_b32_e64 v82, v93, v82, s3
	v_mul_f32_e32 v96, v94, v92
	s_mov_b32 s3, exec_lo
	s_delay_alu instid0(VALU_DEP_2) | instskip(NEXT) | instid1(VALU_DEP_2)
	v_cndmask_b32_e64 v82, v82, v89, s5
	v_fma_f32 v98, -v91, v96, v94
	s_delay_alu instid0(VALU_DEP_1) | instskip(NEXT) | instid1(VALU_DEP_1)
	v_fmac_f32_e32 v96, v98, v92
	v_fma_f32 v91, -v91, v96, v94
	s_delay_alu instid0(VALU_DEP_1) | instskip(NEXT) | instid1(VALU_DEP_1)
	v_div_fmas_f32 v91, v91, v92, v96
	v_div_fixup_f32 v90, v91, v90, 1.0
	s_delay_alu instid0(VALU_DEP_1) | instskip(NEXT) | instid1(VALU_DEP_1)
	v_mul_f32_e32 v82, v82, v90
	v_mul_f32_e32 v87, v82, v87
	;; [unrolled: 1-line block ×7, first 2 shown]
	v_dual_mul_f32 v86, v82, v83 :: v_dual_and_b32 v91, 0x7f800000, v90
	v_mul_f32_e32 v85, v82, v76
                                        ; implicit-def: $vgpr76
	s_delay_alu instid0(VALU_DEP_2)
	v_cmpx_ne_u32_e32 0x7f800000, v91
	s_xor_b32 s3, exec_lo, s3
; %bb.13:
	v_bfe_u32 v76, v90, 16, 1
	s_delay_alu instid0(VALU_DEP_1)
	v_add3_u32 v76, v90, v76, 0x7fff
                                        ; implicit-def: $vgpr90
; %bb.14:
	s_and_not1_saveexec_b32 s3, s3
; %bb.15:
	v_and_b32_e32 v76, 0xffff, v90
	v_or_b32_e32 v83, 0x10000, v90
	s_delay_alu instid0(VALU_DEP_2) | instskip(NEXT) | instid1(VALU_DEP_2)
	v_cmp_eq_u32_e32 vcc_lo, 0, v76
	v_cndmask_b32_e32 v76, v83, v90, vcc_lo
; %bb.16:
	s_or_b32 exec_lo, exec_lo, s3
	v_and_b32_e32 v83, 0x7f800000, v85
	s_delay_alu instid0(VALU_DEP_1) | instskip(SKIP_1) | instid1(SALU_CYCLE_1)
	v_cmp_ne_u32_e32 vcc_lo, 0x7f800000, v83
                                        ; implicit-def: $vgpr83
	s_and_saveexec_b32 s3, vcc_lo
	s_xor_b32 s3, exec_lo, s3
; %bb.17:
	v_bfe_u32 v83, v85, 16, 1
	s_delay_alu instid0(VALU_DEP_1)
	v_add3_u32 v83, v85, v83, 0x7fff
                                        ; implicit-def: $vgpr85
; %bb.18:
	s_and_not1_saveexec_b32 s3, s3
; %bb.19:
	v_and_b32_e32 v83, 0xffff, v85
	v_or_b32_e32 v90, 0x10000, v85
	s_delay_alu instid0(VALU_DEP_2) | instskip(NEXT) | instid1(VALU_DEP_2)
	v_cmp_eq_u32_e32 vcc_lo, 0, v83
	v_cndmask_b32_e32 v83, v90, v85, vcc_lo
; %bb.20:
	s_or_b32 exec_lo, exec_lo, s3
	v_and_b32_e32 v85, 0x7f800000, v86
	s_delay_alu instid0(VALU_DEP_1) | instskip(SKIP_1) | instid1(SALU_CYCLE_1)
	v_cmp_ne_u32_e32 vcc_lo, 0x7f800000, v85
                                        ; implicit-def: $vgpr85
	s_and_saveexec_b32 s3, vcc_lo
	s_xor_b32 s3, exec_lo, s3
; %bb.21:
	v_bfe_u32 v85, v86, 16, 1
	s_delay_alu instid0(VALU_DEP_1)
	v_add3_u32 v85, v86, v85, 0x7fff
                                        ; implicit-def: $vgpr86
; %bb.22:
	s_and_not1_saveexec_b32 s3, s3
; %bb.23:
	v_and_b32_e32 v85, 0xffff, v86
	v_or_b32_e32 v90, 0x10000, v86
	s_delay_alu instid0(VALU_DEP_2) | instskip(NEXT) | instid1(VALU_DEP_2)
	v_cmp_eq_u32_e32 vcc_lo, 0, v85
	v_cndmask_b32_e32 v85, v90, v86, vcc_lo
; %bb.24:
	s_or_b32 exec_lo, exec_lo, s3
	v_and_b32_e32 v86, 0x7f800000, v89
	s_delay_alu instid0(VALU_DEP_1) | instskip(SKIP_1) | instid1(SALU_CYCLE_1)
	v_cmp_ne_u32_e32 vcc_lo, 0x7f800000, v86
                                        ; implicit-def: $vgpr86
	s_and_saveexec_b32 s3, vcc_lo
	s_xor_b32 s3, exec_lo, s3
; %bb.25:
	v_bfe_u32 v86, v89, 16, 1
	s_delay_alu instid0(VALU_DEP_1)
	v_add3_u32 v86, v89, v86, 0x7fff
                                        ; implicit-def: $vgpr89
; %bb.26:
	s_and_not1_saveexec_b32 s3, s3
; %bb.27:
	v_and_b32_e32 v86, 0xffff, v89
	v_or_b32_e32 v90, 0x10000, v89
	s_delay_alu instid0(VALU_DEP_2) | instskip(NEXT) | instid1(VALU_DEP_2)
	v_cmp_eq_u32_e32 vcc_lo, 0, v86
	v_cndmask_b32_e32 v86, v90, v89, vcc_lo
; %bb.28:
	s_or_b32 exec_lo, exec_lo, s3
	v_and_b32_e32 v89, 0x7f800000, v88
	s_delay_alu instid0(VALU_DEP_1) | instskip(SKIP_1) | instid1(SALU_CYCLE_1)
	v_cmp_ne_u32_e32 vcc_lo, 0x7f800000, v89
                                        ; implicit-def: $vgpr89
	s_and_saveexec_b32 s3, vcc_lo
	s_xor_b32 s3, exec_lo, s3
; %bb.29:
	v_bfe_u32 v89, v88, 16, 1
	s_delay_alu instid0(VALU_DEP_1)
	v_add3_u32 v89, v88, v89, 0x7fff
                                        ; implicit-def: $vgpr88
; %bb.30:
	s_and_not1_saveexec_b32 s3, s3
; %bb.31:
	v_and_b32_e32 v89, 0xffff, v88
	v_or_b32_e32 v90, 0x10000, v88
	s_delay_alu instid0(VALU_DEP_2) | instskip(NEXT) | instid1(VALU_DEP_2)
	v_cmp_eq_u32_e32 vcc_lo, 0, v89
	v_cndmask_b32_e32 v89, v90, v88, vcc_lo
; %bb.32:
	s_or_b32 exec_lo, exec_lo, s3
	v_and_b32_e32 v88, 0x7f800000, v87
	s_delay_alu instid0(VALU_DEP_1) | instskip(SKIP_1) | instid1(SALU_CYCLE_1)
	v_cmp_ne_u32_e32 vcc_lo, 0x7f800000, v88
                                        ; implicit-def: $vgpr88
	s_and_saveexec_b32 s3, vcc_lo
	s_xor_b32 s3, exec_lo, s3
; %bb.33:
	v_bfe_u32 v88, v87, 16, 1
	s_delay_alu instid0(VALU_DEP_1)
	v_add3_u32 v88, v87, v88, 0x7fff
                                        ; implicit-def: $vgpr87
; %bb.34:
	s_and_not1_saveexec_b32 s3, s3
; %bb.35:
	v_and_b32_e32 v88, 0xffff, v87
	v_or_b32_e32 v90, 0x10000, v87
	s_delay_alu instid0(VALU_DEP_2) | instskip(NEXT) | instid1(VALU_DEP_2)
	v_cmp_eq_u32_e32 vcc_lo, 0, v88
	v_cndmask_b32_e32 v88, v90, v87, vcc_lo
; %bb.36:
	s_or_b32 exec_lo, exec_lo, s3
	v_and_b32_e32 v87, 0x7f800000, v84
	s_delay_alu instid0(VALU_DEP_1) | instskip(SKIP_1) | instid1(SALU_CYCLE_1)
	v_cmp_ne_u32_e32 vcc_lo, 0x7f800000, v87
                                        ; implicit-def: $vgpr87
	s_and_saveexec_b32 s3, vcc_lo
	s_xor_b32 s3, exec_lo, s3
; %bb.37:
	v_bfe_u32 v87, v84, 16, 1
	s_delay_alu instid0(VALU_DEP_1)
	v_add3_u32 v87, v84, v87, 0x7fff
                                        ; implicit-def: $vgpr84
; %bb.38:
	s_and_not1_saveexec_b32 s3, s3
; %bb.39:
	v_and_b32_e32 v87, 0xffff, v84
	v_or_b32_e32 v90, 0x10000, v84
	s_delay_alu instid0(VALU_DEP_2) | instskip(NEXT) | instid1(VALU_DEP_2)
	v_cmp_eq_u32_e32 vcc_lo, 0, v87
	v_cndmask_b32_e32 v87, v90, v84, vcc_lo
; %bb.40:
	s_or_b32 exec_lo, exec_lo, s3
	v_and_b32_e32 v84, 0x7f800000, v80
	s_delay_alu instid0(VALU_DEP_1) | instskip(SKIP_1) | instid1(SALU_CYCLE_1)
	v_cmp_ne_u32_e32 vcc_lo, 0x7f800000, v84
                                        ; implicit-def: $vgpr84
	s_and_saveexec_b32 s3, vcc_lo
	s_xor_b32 s3, exec_lo, s3
; %bb.41:
	v_bfe_u32 v84, v80, 16, 1
	s_delay_alu instid0(VALU_DEP_1)
	v_add3_u32 v84, v80, v84, 0x7fff
                                        ; implicit-def: $vgpr80
; %bb.42:
	s_and_not1_saveexec_b32 s3, s3
; %bb.43:
	v_and_b32_e32 v84, 0xffff, v80
	v_or_b32_e32 v90, 0x10000, v80
	s_delay_alu instid0(VALU_DEP_2) | instskip(NEXT) | instid1(VALU_DEP_2)
	v_cmp_eq_u32_e32 vcc_lo, 0, v84
	v_cndmask_b32_e32 v84, v90, v80, vcc_lo
; %bb.44:
	s_or_b32 exec_lo, exec_lo, s3
	s_load_b64 s[34:35], s[0:1], 0x94
	v_lshlrev_b32_e32 v91, 4, v74
	s_delay_alu instid0(VALU_DEP_2)
	v_perm_b32 v90, v84, v87, 0x7060302
	v_dual_mul_f32 v79, v82, v79 :: v_dual_lshlrev_b32 v80, 6, v65
	v_dual_mul_f32 v77, v82, v77 :: v_dual_lshlrev_b32 v92, 11, v66
	v_mul_f32_e32 v84, v82, v70
	v_perm_b32 v89, v88, v89, 0x7060302
	v_perm_b32 v88, v86, v85, 0x7060302
	;; [unrolled: 1-line block ×3, first 2 shown]
	v_mul_f32_e32 v70, v82, v81
	v_or3_b32 v76, v91, v92, v80
	v_dual_mul_f32 v78, v82, v78 :: v_dual_and_b32 v85, 0x7f800000, v84
	v_mul_f32_e32 v83, v82, v72
	v_mul_f32_e32 v81, v82, v71
	;; [unrolled: 1-line block ×3, first 2 shown]
	s_mov_b32 s3, exec_lo
	ds_store_b128 v76, v[87:90]
                                        ; implicit-def: $vgpr69
	v_cmpx_ne_u32_e32 0x7f800000, v85
	s_xor_b32 s3, exec_lo, s3
; %bb.45:
	v_bfe_u32 v69, v84, 16, 1
	s_delay_alu instid0(VALU_DEP_1)
	v_add3_u32 v69, v84, v69, 0x7fff
                                        ; implicit-def: $vgpr84
; %bb.46:
	s_and_not1_saveexec_b32 s3, s3
; %bb.47:
	v_and_b32_e32 v69, 0xffff, v84
	v_or_b32_e32 v71, 0x10000, v84
	s_delay_alu instid0(VALU_DEP_2) | instskip(NEXT) | instid1(VALU_DEP_2)
	v_cmp_eq_u32_e32 vcc_lo, 0, v69
	v_cndmask_b32_e32 v69, v71, v84, vcc_lo
; %bb.48:
	s_or_b32 exec_lo, exec_lo, s3
	v_and_b32_e32 v71, 0x7f800000, v72
	s_delay_alu instid0(VALU_DEP_1) | instskip(SKIP_1) | instid1(SALU_CYCLE_1)
	v_cmp_ne_u32_e32 vcc_lo, 0x7f800000, v71
                                        ; implicit-def: $vgpr71
	s_and_saveexec_b32 s3, vcc_lo
	s_xor_b32 s3, exec_lo, s3
; %bb.49:
	v_bfe_u32 v71, v72, 16, 1
	s_delay_alu instid0(VALU_DEP_1)
	v_add3_u32 v71, v72, v71, 0x7fff
                                        ; implicit-def: $vgpr72
; %bb.50:
	s_and_not1_saveexec_b32 s3, s3
; %bb.51:
	v_and_b32_e32 v71, 0xffff, v72
	v_or_b32_e32 v82, 0x10000, v72
	s_delay_alu instid0(VALU_DEP_2) | instskip(NEXT) | instid1(VALU_DEP_2)
	v_cmp_eq_u32_e32 vcc_lo, 0, v71
	v_cndmask_b32_e32 v71, v82, v72, vcc_lo
; %bb.52:
	s_or_b32 exec_lo, exec_lo, s3
	v_and_b32_e32 v72, 0x7f800000, v81
	s_delay_alu instid0(VALU_DEP_1) | instskip(SKIP_1) | instid1(SALU_CYCLE_1)
	v_cmp_ne_u32_e32 vcc_lo, 0x7f800000, v72
                                        ; implicit-def: $vgpr72
	s_and_saveexec_b32 s3, vcc_lo
	s_xor_b32 s3, exec_lo, s3
; %bb.53:
	v_bfe_u32 v72, v81, 16, 1
	s_delay_alu instid0(VALU_DEP_1)
	v_add3_u32 v72, v81, v72, 0x7fff
                                        ; implicit-def: $vgpr81
; %bb.54:
	s_and_not1_saveexec_b32 s3, s3
; %bb.55:
	v_and_b32_e32 v72, 0xffff, v81
	v_or_b32_e32 v82, 0x10000, v81
	s_delay_alu instid0(VALU_DEP_2) | instskip(NEXT) | instid1(VALU_DEP_2)
	v_cmp_eq_u32_e32 vcc_lo, 0, v72
	v_cndmask_b32_e32 v72, v82, v81, vcc_lo
; %bb.56:
	s_or_b32 exec_lo, exec_lo, s3
	v_and_b32_e32 v81, 0x7f800000, v83
	s_delay_alu instid0(VALU_DEP_1) | instskip(SKIP_1) | instid1(SALU_CYCLE_1)
	v_cmp_ne_u32_e32 vcc_lo, 0x7f800000, v81
                                        ; implicit-def: $vgpr81
	s_and_saveexec_b32 s3, vcc_lo
	s_xor_b32 s3, exec_lo, s3
; %bb.57:
	v_bfe_u32 v81, v83, 16, 1
	s_delay_alu instid0(VALU_DEP_1)
	v_add3_u32 v81, v83, v81, 0x7fff
                                        ; implicit-def: $vgpr83
; %bb.58:
	s_and_not1_saveexec_b32 s3, s3
; %bb.59:
	v_and_b32_e32 v81, 0xffff, v83
	v_or_b32_e32 v82, 0x10000, v83
	s_delay_alu instid0(VALU_DEP_2) | instskip(NEXT) | instid1(VALU_DEP_2)
	v_cmp_eq_u32_e32 vcc_lo, 0, v81
	v_cndmask_b32_e32 v81, v82, v83, vcc_lo
; %bb.60:
	s_or_b32 exec_lo, exec_lo, s3
	v_and_b32_e32 v82, 0x7f800000, v77
	s_delay_alu instid0(VALU_DEP_1) | instskip(SKIP_1) | instid1(SALU_CYCLE_1)
	v_cmp_ne_u32_e32 vcc_lo, 0x7f800000, v82
                                        ; implicit-def: $vgpr82
	s_and_saveexec_b32 s3, vcc_lo
	s_xor_b32 s3, exec_lo, s3
; %bb.61:
	v_bfe_u32 v82, v77, 16, 1
	s_delay_alu instid0(VALU_DEP_1)
	v_add3_u32 v82, v77, v82, 0x7fff
                                        ; implicit-def: $vgpr77
; %bb.62:
	s_and_not1_saveexec_b32 s3, s3
; %bb.63:
	v_and_b32_e32 v82, 0xffff, v77
	v_or_b32_e32 v83, 0x10000, v77
	s_delay_alu instid0(VALU_DEP_2) | instskip(NEXT) | instid1(VALU_DEP_2)
	v_cmp_eq_u32_e32 vcc_lo, 0, v82
	v_cndmask_b32_e32 v82, v83, v77, vcc_lo
; %bb.64:
	s_or_b32 exec_lo, exec_lo, s3
	v_and_b32_e32 v77, 0x7f800000, v78
	s_delay_alu instid0(VALU_DEP_1) | instskip(SKIP_1) | instid1(SALU_CYCLE_1)
	v_cmp_ne_u32_e32 vcc_lo, 0x7f800000, v77
                                        ; implicit-def: $vgpr77
	s_and_saveexec_b32 s3, vcc_lo
	s_xor_b32 s3, exec_lo, s3
; %bb.65:
	v_bfe_u32 v77, v78, 16, 1
	s_delay_alu instid0(VALU_DEP_1)
	v_add3_u32 v77, v78, v77, 0x7fff
                                        ; implicit-def: $vgpr78
; %bb.66:
	s_and_not1_saveexec_b32 s3, s3
; %bb.67:
	v_and_b32_e32 v77, 0xffff, v78
	v_or_b32_e32 v83, 0x10000, v78
	s_delay_alu instid0(VALU_DEP_2) | instskip(NEXT) | instid1(VALU_DEP_2)
	v_cmp_eq_u32_e32 vcc_lo, 0, v77
	v_cndmask_b32_e32 v77, v83, v78, vcc_lo
; %bb.68:
	s_or_b32 exec_lo, exec_lo, s3
	v_and_b32_e32 v78, 0x7f800000, v79
	s_delay_alu instid0(VALU_DEP_1) | instskip(SKIP_1) | instid1(SALU_CYCLE_1)
	v_cmp_ne_u32_e32 vcc_lo, 0x7f800000, v78
                                        ; implicit-def: $vgpr78
	s_and_saveexec_b32 s3, vcc_lo
	s_xor_b32 s3, exec_lo, s3
; %bb.69:
	v_bfe_u32 v78, v79, 16, 1
	s_delay_alu instid0(VALU_DEP_1)
	v_add3_u32 v78, v79, v78, 0x7fff
                                        ; implicit-def: $vgpr79
; %bb.70:
	s_and_not1_saveexec_b32 s3, s3
; %bb.71:
	v_and_b32_e32 v78, 0xffff, v79
	v_or_b32_e32 v83, 0x10000, v79
	s_delay_alu instid0(VALU_DEP_2) | instskip(NEXT) | instid1(VALU_DEP_2)
	v_cmp_eq_u32_e32 vcc_lo, 0, v78
	v_cndmask_b32_e32 v78, v83, v79, vcc_lo
; %bb.72:
	s_or_b32 exec_lo, exec_lo, s3
	v_and_b32_e32 v79, 0x7f800000, v70
	s_delay_alu instid0(VALU_DEP_1) | instskip(SKIP_1) | instid1(SALU_CYCLE_1)
	v_cmp_ne_u32_e32 vcc_lo, 0x7f800000, v79
                                        ; implicit-def: $vgpr79
	s_and_saveexec_b32 s3, vcc_lo
	s_xor_b32 s3, exec_lo, s3
; %bb.73:
	v_bfe_u32 v79, v70, 16, 1
	s_delay_alu instid0(VALU_DEP_1)
	v_add3_u32 v79, v70, v79, 0x7fff
                                        ; implicit-def: $vgpr70
; %bb.74:
	s_and_not1_saveexec_b32 s3, s3
; %bb.75:
	v_and_b32_e32 v79, 0xffff, v70
	v_or_b32_e32 v83, 0x10000, v70
	s_delay_alu instid0(VALU_DEP_2) | instskip(NEXT) | instid1(VALU_DEP_2)
	v_cmp_eq_u32_e32 vcc_lo, 0, v79
	v_cndmask_b32_e32 v79, v83, v70, vcc_lo
; %bb.76:
	s_or_b32 exec_lo, exec_lo, s3
	s_delay_alu instid0(VALU_DEP_1)
	v_perm_b32 v86, v79, v78, 0x7060302
	v_perm_b32 v85, v77, v82, 0x7060302
	;; [unrolled: 1-line block ×4, first 2 shown]
	v_lshl_or_b32 v82, v66, 11, v80
	ds_store_b128 v76, v[83:86] offset:1024
	s_waitcnt lgkmcnt(0)
	s_barrier
	buffer_gl0_inv
	ds_load_b128 v[69:72], v82
	ds_load_b128 v[83:86], v82 offset:16
	s_waitcnt lgkmcnt(1)
	v_lshrrev_b32_e32 v66, 16, v69
	s_waitcnt lgkmcnt(0)
	v_lshrrev_b32_e32 v91, 16, v83
	v_lshlrev_b32_e32 v78, 2, v74
	v_lshrrev_b32_e32 v95, 16, v70
	v_lshrrev_b32_e32 v98, 16, v84
	;; [unrolled: 1-line block ×4, first 2 shown]
	v_cmp_eq_u32_e32 vcc_lo, 1, v78
	v_lshrrev_b32_e32 v97, 16, v72
	v_lshrrev_b32_e32 v100, 16, v86
	v_cndmask_b32_e32 v87, v83, v91, vcc_lo
	v_or_b32_e32 v79, 1, v78
	v_cndmask_b32_e32 v81, v69, v66, vcc_lo
	v_cmp_eq_u32_e64 s4, 2, v78
	v_cmp_eq_u32_e64 s7, 3, v78
	;; [unrolled: 1-line block ×5, first 2 shown]
	v_cndmask_b32_e64 v81, v81, v70, s4
	v_cndmask_b32_e64 v87, v87, v84, s4
	v_cmp_eq_u32_e64 s8, 3, v79
	v_cndmask_b32_e64 v88, v69, v66, s3
	v_or_b32_e32 v77, 2, v78
	v_cndmask_b32_e64 v81, v81, v95, s7
	v_cndmask_b32_e64 v87, v87, v98, s7
	v_cndmask_b32_e64 v89, v83, v91, s3
	v_cndmask_b32_e64 v88, v88, v70, s6
	v_cmp_eq_u32_e64 s10, 5, v78
	v_cndmask_b32_e64 v81, v81, v71, s9
	v_cndmask_b32_e64 v87, v87, v85, s9
	v_cmp_eq_u32_e64 s11, 4, v79
	v_cndmask_b32_e64 v88, v88, v95, s8
	v_cmp_eq_u32_e64 s5, 1, v77
	v_cndmask_b32_e64 v89, v89, v84, s6
	v_cndmask_b32_e64 v81, v81, v96, s10
	v_cmp_eq_u32_e64 s12, 6, v78
	v_cndmask_b32_e64 v88, v88, v71, s11
	;; [unrolled: 3-line block ×3, first 2 shown]
	v_cndmask_b32_e64 v89, v89, v98, s8
	v_cndmask_b32_e64 v81, v81, v72, s12
	v_cmp_eq_u32_e64 s15, 7, v78
	v_cndmask_b32_e64 v88, v88, v96, s13
	v_cndmask_b32_e64 v87, v87, v86, s12
	v_cmp_eq_u32_e64 s16, 6, v79
	v_cmp_eq_u32_e64 s17, 2, v77
	v_cndmask_b32_e64 v89, v89, v85, s11
	v_cndmask_b32_e64 v101, v81, v97, s15
	;; [unrolled: 1-line block ×6, first 2 shown]
	v_cmp_eq_u32_e64 s18, 7, v79
	v_cmp_eq_u32_e64 s19, 3, v77
	;; [unrolled: 1-line block ×4, first 2 shown]
	v_cndmask_b32_e64 v87, v87, v84, s17
	v_cndmask_b32_e64 v103, v88, v97, s18
	;; [unrolled: 1-line block ×4, first 2 shown]
	v_or_b32_e32 v81, 3, v78
	v_cndmask_b32_e64 v93, v87, v98, s19
	v_cmp_eq_u32_e64 s24, 6, v77
	v_cndmask_b32_e64 v104, v88, v86, s16
	v_cndmask_b32_e64 v92, v89, v71, s20
	v_cmp_eq_u32_e64 s21, 1, v81
	ds_load_b128 v[87:90], v82 offset:1024
	v_cmp_eq_u32_e64 s23, 2, v81
	v_cmp_eq_u32_e64 s25, 3, v81
	v_cndmask_b32_e64 v105, v92, v96, s22
	v_cndmask_b32_e64 v66, v69, v66, s21
	;; [unrolled: 1-line block ×4, first 2 shown]
	ds_load_b128 v[91:94], v82 offset:1040
	v_cmp_eq_u32_e64 s26, 4, v81
	v_cndmask_b32_e64 v66, v66, v70, s23
	v_cmp_eq_u32_e64 s27, 7, v77
	v_cndmask_b32_e64 v70, v83, v84, s23
	v_cndmask_b32_e64 v84, v105, v72, s24
	v_cmp_eq_u32_e64 s28, 5, v81
	v_cndmask_b32_e64 v66, v66, v95, s25
	v_cmp_eq_u32_e64 s29, 6, v81
	v_cndmask_b32_e64 v70, v70, v98, s25
	v_cndmask_b32_e64 v69, v69, v99, s22
	;; [unrolled: 1-line block ×4, first 2 shown]
	s_waitcnt lgkmcnt(1)
	v_lshrrev_b32_e32 v95, 16, v87
	v_cndmask_b32_e64 v70, v70, v85, s26
	v_cndmask_b32_e64 v71, v84, v97, s27
	;; [unrolled: 1-line block ×4, first 2 shown]
	v_cndmask_b32_e32 v84, v87, v95, vcc_lo
	v_cndmask_b32_e64 v70, v70, v99, s28
	s_waitcnt lgkmcnt(0)
	v_lshrrev_b32_e32 v85, 16, v91
	v_lshrrev_b32_e32 v96, 16, v88
	v_cndmask_b32_e64 v98, v87, v95, s3
	v_cndmask_b32_e64 v84, v84, v88, s4
	;; [unrolled: 1-line block ×3, first 2 shown]
	v_cndmask_b32_e32 v99, v91, v85, vcc_lo
	v_cmp_eq_u32_e32 vcc_lo, 7, v81
	v_cndmask_b32_e64 v66, v66, v72, s29
	v_cndmask_b32_e64 v72, v84, v96, s7
	;; [unrolled: 1-line block ×3, first 2 shown]
	v_lshrrev_b32_e32 v98, 16, v92
	v_cndmask_b32_e32 v70, v70, v100, vcc_lo
	v_cndmask_b32_e64 v86, v99, v92, s4
	v_cndmask_b32_e64 v69, v69, v100, s27
	v_lshrrev_b32_e32 v100, 16, v93
	v_cndmask_b32_e64 v72, v72, v89, s9
	v_lshrrev_b32_e32 v99, 16, v89
	v_cndmask_b32_e64 v86, v86, v98, s7
	v_perm_b32 v71, v69, v71, 0x5040100
	v_cndmask_b32_e64 v84, v84, v96, s8
	s_delay_alu instid0(VALU_DEP_3) | instskip(NEXT) | instid1(VALU_DEP_2)
	v_cndmask_b32_e64 v86, v86, v93, s9
	v_cndmask_b32_e64 v84, v84, v89, s11
	s_delay_alu instid0(VALU_DEP_2) | instskip(NEXT) | instid1(VALU_DEP_1)
	v_cndmask_b32_e64 v86, v86, v100, s10
	v_cndmask_b32_e64 v69, v86, v94, s12
	;; [unrolled: 1-line block ×5, first 2 shown]
	s_delay_alu instid0(VALU_DEP_3) | instskip(NEXT) | instid1(VALU_DEP_3)
	v_cndmask_b32_e64 v86, v86, v88, s17
	v_cndmask_b32_e64 v87, v87, v88, s23
	s_delay_alu instid0(VALU_DEP_3) | instskip(NEXT) | instid1(VALU_DEP_3)
	v_cndmask_b32_e64 v88, v95, v92, s23
	v_cndmask_b32_e64 v86, v86, v96, s19
	;; [unrolled: 3-line block ×7, first 2 shown]
	s_delay_alu instid0(VALU_DEP_3) | instskip(SKIP_2) | instid1(VALU_DEP_2)
	v_cndmask_b32_e64 v88, v88, v94, s29
	v_cndmask_b32_e32 v66, v66, v97, vcc_lo
	v_cndmask_b32_e64 v97, v72, v99, s10
	v_perm_b32 v72, v70, v66, 0x5040100
	v_perm_b32 v70, v83, v103, 0x5040100
	v_cndmask_b32_e64 v103, v91, v85, s5
	v_cndmask_b32_e64 v85, v91, v85, s3
	;; [unrolled: 1-line block ×4, first 2 shown]
	v_lshrrev_b32_e32 v97, 16, v90
	v_cndmask_b32_e64 v91, v103, v92, s17
	v_cndmask_b32_e64 v85, v85, v92, s6
	;; [unrolled: 1-line block ×3, first 2 shown]
	s_mov_b32 s3, exec_lo
	v_cndmask_b32_e64 v83, v84, v97, s15
	v_cndmask_b32_e64 v91, v91, v98, s19
	;; [unrolled: 1-line block ×3, first 2 shown]
	v_lshrrev_b32_e32 v84, 16, v94
	v_cndmask_b32_e64 v66, v66, v97, s18
	v_cndmask_b32_e64 v90, v86, v97, s27
	;; [unrolled: 1-line block ×4, first 2 shown]
	v_dual_cndmask_b32 v86, v87, v97 :: v_dual_cndmask_b32 v87, v88, v84
	v_cndmask_b32_e64 v91, v69, v84, s15
	s_delay_alu instid0(VALU_DEP_4) | instskip(NEXT) | instid1(VALU_DEP_4)
	v_cndmask_b32_e64 v89, v89, v100, s22
	v_cndmask_b32_e64 v85, v85, v100, s13
	v_perm_b32 v69, v102, v101, 0x5040100
	v_perm_b32 v86, v87, v86, 0x5040100
	;; [unrolled: 1-line block ×3, first 2 shown]
	v_cndmask_b32_e64 v89, v89, v94, s24
	v_cndmask_b32_e64 v85, v85, v94, s16
	s_mul_i32 s8, s35, 9
	s_delay_alu instid0(VALU_DEP_2) | instskip(NEXT) | instid1(VALU_DEP_2)
	v_cndmask_b32_e64 v88, v89, v84, s27
	v_cndmask_b32_e64 v89, v85, v84, s18
	s_delay_alu instid0(VALU_DEP_2) | instskip(NEXT) | instid1(VALU_DEP_2)
	v_perm_b32 v85, v88, v90, 0x5040100
	v_perm_b32 v84, v89, v66, 0x5040100
	ds_store_b128 v76, v[69:72]
	ds_store_b128 v76, v[83:86] offset:1024
	v_cmpx_gt_u32_e32 9, v0
	s_cbranch_execz .LBB1654_78
; %bb.77:
	s_mul_i32 s4, s8, s30
	s_delay_alu instid0(SALU_CYCLE_1) | instskip(SKIP_1) | instid1(VALU_DEP_1)
	v_add3_u32 v69, s4, s31, v65
	s_load_b128 s[4:7], s[0:1], 0x58
	v_mad_u64_u32 v[65:66], null, v69, s34, s[14:15]
	s_delay_alu instid0(VALU_DEP_1) | instskip(NEXT) | instid1(VALU_DEP_1)
	v_ashrrev_i32_e32 v66, 31, v65
	v_lshlrev_b64 v[65:66], 2, v[65:66]
	s_waitcnt lgkmcnt(0)
	s_delay_alu instid0(VALU_DEP_1) | instskip(NEXT) | instid1(VALU_DEP_2)
	v_add_co_u32 v69, vcc_lo, s6, v65
	v_add_co_ci_u32_e32 v70, vcc_lo, s7, v66, vcc_lo
	v_add_co_u32 v65, vcc_lo, s4, v65
	v_add_co_ci_u32_e32 v66, vcc_lo, s5, v66, vcc_lo
	global_store_b32 v[69:70], v67, off
	global_store_b32 v[65:66], v68, off
.LBB1654_78:
	s_or_b32 exec_lo, exec_lo, s3
	s_waitcnt lgkmcnt(0)
	s_waitcnt_vscnt null, 0x0
	s_barrier
	buffer_gl0_inv
	ds_load_b128 v[83:86], v80
	ds_load_b128 v[87:90], v80 offset:16
	ds_load_b128 v[95:98], v80 offset:2064
	ds_load_b128 v[91:94], v80 offset:2048
	v_mov_b32_e32 v65, 0
	ds_load_b128 v[103:106], v80 offset:4112
	ds_load_b128 v[99:102], v80 offset:4096
	;; [unrolled: 1-line block ×4, first 2 shown]
	v_mov_b32_e32 v66, v65
	v_mov_b32_e32 v67, v65
	;; [unrolled: 1-line block ×7, first 2 shown]
	s_waitcnt lgkmcnt(6)
	s_delay_alu instid0(VALU_DEP_1)
	v_wmma_f32_16x16x16_bf16 v[65:72], v[49:56], v[83:90], v[65:72]
	ds_load_b128 v[53:56], v80 offset:8208
	ds_load_b128 v[49:52], v80 offset:8192
	s_waitcnt lgkmcnt(6)
	v_wmma_f32_16x16x16_bf16 v[65:72], v[41:48], v[91:98], v[65:72]
	ds_load_b128 v[45:48], v80 offset:10256
	ds_load_b128 v[41:44], v80 offset:10240
	s_waitcnt lgkmcnt(6)
	;; [unrolled: 4-line block ×4, first 2 shown]
	v_wmma_f32_16x16x16_bf16 v[65:72], v[1:8], v[49:56], v[65:72]
	s_waitcnt lgkmcnt(4)
	s_delay_alu instid0(VALU_DEP_1) | instskip(SKIP_1) | instid1(VALU_DEP_1)
	v_wmma_f32_16x16x16_bf16 v[65:72], v[9:16], v[41:48], v[65:72]
	s_waitcnt lgkmcnt(2)
	v_wmma_f32_16x16x16_bf16 v[65:72], v[17:24], v[33:40], v[65:72]
	s_waitcnt lgkmcnt(0)
	s_delay_alu instid0(VALU_DEP_1) | instskip(NEXT) | instid1(VALU_DEP_1)
	v_wmma_f32_16x16x16_bf16 v[65:72], v[57:64], v[25:32], v[65:72]
	v_and_b32_e32 v1, 0x7f800000, v65
	s_delay_alu instid0(VALU_DEP_1) | instskip(SKIP_1) | instid1(SALU_CYCLE_1)
	v_cmp_ne_u32_e32 vcc_lo, 0x7f800000, v1
                                        ; implicit-def: $vgpr1
	s_and_saveexec_b32 s3, vcc_lo
	s_xor_b32 s3, exec_lo, s3
; %bb.79:
	v_bfe_u32 v1, v65, 16, 1
	s_delay_alu instid0(VALU_DEP_1)
	v_add3_u32 v1, v65, v1, 0x7fff
; %bb.80:
	s_and_not1_saveexec_b32 s3, s3
; %bb.81:
	v_and_b32_e32 v1, 0xffff, v65
	v_or_b32_e32 v2, 0x10000, v65
	s_delay_alu instid0(VALU_DEP_2) | instskip(NEXT) | instid1(VALU_DEP_2)
	v_cmp_eq_u32_e32 vcc_lo, 0, v1
	v_cndmask_b32_e32 v1, v2, v65, vcc_lo
; %bb.82:
	s_or_b32 exec_lo, exec_lo, s3
	v_and_b32_e32 v2, 0x7f800000, v66
	s_delay_alu instid0(VALU_DEP_1) | instskip(SKIP_1) | instid1(SALU_CYCLE_1)
	v_cmp_ne_u32_e32 vcc_lo, 0x7f800000, v2
                                        ; implicit-def: $vgpr2
	s_and_saveexec_b32 s3, vcc_lo
	s_xor_b32 s3, exec_lo, s3
; %bb.83:
	v_bfe_u32 v2, v66, 16, 1
	s_delay_alu instid0(VALU_DEP_1)
	v_add3_u32 v2, v66, v2, 0x7fff
; %bb.84:
	s_and_not1_saveexec_b32 s3, s3
; %bb.85:
	v_and_b32_e32 v2, 0xffff, v66
	v_or_b32_e32 v3, 0x10000, v66
	s_delay_alu instid0(VALU_DEP_2) | instskip(NEXT) | instid1(VALU_DEP_2)
	v_cmp_eq_u32_e32 vcc_lo, 0, v2
	v_cndmask_b32_e32 v2, v3, v66, vcc_lo
; %bb.86:
	s_or_b32 exec_lo, exec_lo, s3
	v_and_b32_e32 v3, 0x7f800000, v67
	s_delay_alu instid0(VALU_DEP_1) | instskip(SKIP_1) | instid1(SALU_CYCLE_1)
	v_cmp_ne_u32_e32 vcc_lo, 0x7f800000, v3
                                        ; implicit-def: $vgpr3
	s_and_saveexec_b32 s3, vcc_lo
	s_xor_b32 s3, exec_lo, s3
; %bb.87:
	v_bfe_u32 v3, v67, 16, 1
	s_delay_alu instid0(VALU_DEP_1)
	v_add3_u32 v3, v67, v3, 0x7fff
; %bb.88:
	s_and_not1_saveexec_b32 s3, s3
; %bb.89:
	v_and_b32_e32 v3, 0xffff, v67
	v_or_b32_e32 v4, 0x10000, v67
	s_delay_alu instid0(VALU_DEP_2) | instskip(NEXT) | instid1(VALU_DEP_2)
	v_cmp_eq_u32_e32 vcc_lo, 0, v3
	v_cndmask_b32_e32 v3, v4, v67, vcc_lo
; %bb.90:
	s_or_b32 exec_lo, exec_lo, s3
	v_and_b32_e32 v4, 0x7f800000, v68
	s_delay_alu instid0(VALU_DEP_1) | instskip(SKIP_1) | instid1(SALU_CYCLE_1)
	v_cmp_ne_u32_e32 vcc_lo, 0x7f800000, v4
                                        ; implicit-def: $vgpr4
	s_and_saveexec_b32 s3, vcc_lo
	s_xor_b32 s3, exec_lo, s3
; %bb.91:
	v_bfe_u32 v4, v68, 16, 1
	s_delay_alu instid0(VALU_DEP_1)
	v_add3_u32 v4, v68, v4, 0x7fff
; %bb.92:
	s_and_not1_saveexec_b32 s3, s3
; %bb.93:
	v_and_b32_e32 v4, 0xffff, v68
	v_or_b32_e32 v5, 0x10000, v68
	s_delay_alu instid0(VALU_DEP_2) | instskip(NEXT) | instid1(VALU_DEP_2)
	v_cmp_eq_u32_e32 vcc_lo, 0, v4
	v_cndmask_b32_e32 v4, v5, v68, vcc_lo
; %bb.94:
	s_or_b32 exec_lo, exec_lo, s3
	v_and_b32_e32 v5, 0x7f800000, v69
	s_delay_alu instid0(VALU_DEP_1) | instskip(SKIP_1) | instid1(SALU_CYCLE_1)
	v_cmp_ne_u32_e32 vcc_lo, 0x7f800000, v5
                                        ; implicit-def: $vgpr5
	s_and_saveexec_b32 s3, vcc_lo
	s_xor_b32 s3, exec_lo, s3
; %bb.95:
	v_bfe_u32 v5, v69, 16, 1
	s_delay_alu instid0(VALU_DEP_1)
	v_add3_u32 v5, v69, v5, 0x7fff
; %bb.96:
	s_and_not1_saveexec_b32 s3, s3
; %bb.97:
	v_and_b32_e32 v5, 0xffff, v69
	v_or_b32_e32 v6, 0x10000, v69
	s_delay_alu instid0(VALU_DEP_2) | instskip(NEXT) | instid1(VALU_DEP_2)
	v_cmp_eq_u32_e32 vcc_lo, 0, v5
	v_cndmask_b32_e32 v5, v6, v69, vcc_lo
; %bb.98:
	s_or_b32 exec_lo, exec_lo, s3
	v_and_b32_e32 v6, 0x7f800000, v70
	s_delay_alu instid0(VALU_DEP_1) | instskip(SKIP_1) | instid1(SALU_CYCLE_1)
	v_cmp_ne_u32_e32 vcc_lo, 0x7f800000, v6
                                        ; implicit-def: $vgpr6
	s_and_saveexec_b32 s3, vcc_lo
	s_xor_b32 s3, exec_lo, s3
; %bb.99:
	v_bfe_u32 v6, v70, 16, 1
	s_delay_alu instid0(VALU_DEP_1)
	v_add3_u32 v6, v70, v6, 0x7fff
; %bb.100:
	s_and_not1_saveexec_b32 s3, s3
; %bb.101:
	v_and_b32_e32 v6, 0xffff, v70
	v_or_b32_e32 v7, 0x10000, v70
	s_delay_alu instid0(VALU_DEP_2) | instskip(NEXT) | instid1(VALU_DEP_2)
	v_cmp_eq_u32_e32 vcc_lo, 0, v6
	v_cndmask_b32_e32 v6, v7, v70, vcc_lo
; %bb.102:
	s_or_b32 exec_lo, exec_lo, s3
	v_and_b32_e32 v7, 0x7f800000, v71
	s_delay_alu instid0(VALU_DEP_1) | instskip(SKIP_1) | instid1(SALU_CYCLE_1)
	v_cmp_ne_u32_e32 vcc_lo, 0x7f800000, v7
                                        ; implicit-def: $vgpr7
	s_and_saveexec_b32 s3, vcc_lo
	s_xor_b32 s3, exec_lo, s3
; %bb.103:
	v_bfe_u32 v7, v71, 16, 1
	s_delay_alu instid0(VALU_DEP_1)
	v_add3_u32 v7, v71, v7, 0x7fff
; %bb.104:
	s_and_not1_saveexec_b32 s3, s3
; %bb.105:
	v_and_b32_e32 v7, 0xffff, v71
	v_or_b32_e32 v8, 0x10000, v71
	s_delay_alu instid0(VALU_DEP_2) | instskip(NEXT) | instid1(VALU_DEP_2)
	v_cmp_eq_u32_e32 vcc_lo, 0, v7
	v_cndmask_b32_e32 v7, v8, v71, vcc_lo
; %bb.106:
	s_or_b32 exec_lo, exec_lo, s3
	v_and_b32_e32 v8, 0x7f800000, v72
	s_delay_alu instid0(VALU_DEP_1) | instskip(SKIP_1) | instid1(SALU_CYCLE_1)
	v_cmp_ne_u32_e32 vcc_lo, 0x7f800000, v8
                                        ; implicit-def: $vgpr8
	s_and_saveexec_b32 s3, vcc_lo
	s_xor_b32 s3, exec_lo, s3
; %bb.107:
	v_bfe_u32 v8, v72, 16, 1
	s_delay_alu instid0(VALU_DEP_1)
	v_add3_u32 v8, v72, v8, 0x7fff
                                        ; implicit-def: $vgpr65_vgpr66_vgpr67_vgpr68_vgpr69_vgpr70_vgpr71_vgpr72
; %bb.108:
	s_and_not1_saveexec_b32 s3, s3
; %bb.109:
	v_and_b32_e32 v8, 0xffff, v72
	v_or_b32_e32 v9, 0x10000, v72
	s_delay_alu instid0(VALU_DEP_2) | instskip(NEXT) | instid1(VALU_DEP_2)
	v_cmp_eq_u32_e32 vcc_lo, 0, v8
	v_cndmask_b32_e32 v8, v9, v72, vcc_lo
; %bb.110:
	s_or_b32 exec_lo, exec_lo, s3
	s_delay_alu instid0(VALU_DEP_1)
	v_perm_b32 v7, v8, v7, 0x7060302
	v_perm_b32 v6, v6, v5, 0x7060302
	;; [unrolled: 1-line block ×4, first 2 shown]
	s_barrier
	buffer_gl0_inv
	v_cmp_eq_u32_e32 vcc_lo, 1, v78
	ds_store_b128 v76, v[4:7]
	s_waitcnt lgkmcnt(0)
	s_barrier
	buffer_gl0_inv
	ds_load_b128 v[1:4], v82
	ds_load_b128 v[5:8], v82 offset:16
	v_cmp_eq_u32_e64 s3, 1, v79
	v_cmp_eq_u32_e64 s4, 2, v78
	;; [unrolled: 1-line block ×5, first 2 shown]
	s_waitcnt lgkmcnt(1)
	v_lshrrev_b32_e32 v9, 16, v1
	s_waitcnt lgkmcnt(0)
	v_lshrrev_b32_e32 v13, 16, v5
	v_lshrrev_b32_e32 v10, 16, v2
	;; [unrolled: 1-line block ×4, first 2 shown]
	v_cndmask_b32_e64 v19, v1, v9, s3
	v_cndmask_b32_e32 v18, v5, v13, vcc_lo
	v_cndmask_b32_e64 v20, v5, v13, s3
	v_cndmask_b32_e32 v17, v1, v9, vcc_lo
	v_cmp_eq_u32_e32 vcc_lo, 2, v79
	v_lshrrev_b32_e32 v15, 16, v7
	v_cmp_eq_u32_e64 s3, 1, v77
	v_lshrrev_b32_e32 v12, 16, v4
	v_lshrrev_b32_e32 v16, 16, v8
	v_cndmask_b32_e32 v20, v20, v6, vcc_lo
	v_cndmask_b32_e64 v17, v17, v2, s4
	v_cndmask_b32_e32 v19, v19, v2, vcc_lo
	v_cndmask_b32_e64 v18, v18, v6, s4
	v_cmp_eq_u32_e32 vcc_lo, 4, v78
	v_cmp_eq_u32_e64 s4, 3, v79
	v_cndmask_b32_e64 v17, v17, v10, s5
	v_cndmask_b32_e64 v21, v1, v9, s3
	;; [unrolled: 1-line block ×5, first 2 shown]
	v_cndmask_b32_e32 v17, v17, v3, vcc_lo
	v_cndmask_b32_e64 v20, v20, v14, s4
	v_cndmask_b32_e32 v18, v18, v7, vcc_lo
	v_cmp_eq_u32_e32 vcc_lo, 4, v79
	v_cmp_eq_u32_e64 s4, 5, v79
	v_cmp_eq_u32_e64 s3, 2, v81
	v_cndmask_b32_e64 v21, v21, v2, s7
	v_cmp_eq_u32_e64 s5, 5, v78
	v_cndmask_b32_e32 v19, v19, v3, vcc_lo
	v_cndmask_b32_e32 v20, v20, v7, vcc_lo
	v_cmp_eq_u32_e32 vcc_lo, 6, v79
	s_delay_alu instid0(VALU_DEP_4) | instskip(NEXT) | instid1(VALU_DEP_4)
	v_cndmask_b32_e64 v17, v17, v11, s5
	v_cndmask_b32_e64 v19, v19, v11, s4
	s_delay_alu instid0(VALU_DEP_4) | instskip(SKIP_1) | instid1(VALU_DEP_3)
	v_cndmask_b32_e64 v20, v20, v15, s4
	v_cmp_eq_u32_e64 s4, 1, v81
	v_cndmask_b32_e32 v19, v19, v4, vcc_lo
	v_cndmask_b32_e64 v18, v18, v15, s5
	s_delay_alu instid0(VALU_DEP_3)
	v_cndmask_b32_e64 v1, v1, v9, s4
	v_cndmask_b32_e64 v5, v5, v13, s4
	v_cmp_eq_u32_e64 s4, 3, v77
	v_cndmask_b32_e64 v13, v22, v6, s7
	v_cmp_eq_u32_e64 s7, 3, v81
	v_cndmask_b32_e64 v1, v1, v2, s3
	v_cndmask_b32_e64 v2, v5, v6, s3
	v_cndmask_b32_e64 v9, v21, v10, s4
	v_cmp_eq_u32_e64 s3, 4, v77
	v_cndmask_b32_e64 v6, v13, v14, s4
	v_cndmask_b32_e64 v1, v1, v10, s7
	v_cmp_eq_u32_e64 s4, 4, v81
	v_cndmask_b32_e64 v2, v2, v14, s7
	v_cndmask_b32_e64 v5, v9, v3, s3
	;; [unrolled: 3-line block ×3, first 2 shown]
	v_cndmask_b32_e64 v2, v2, v7, s4
	v_cmp_eq_u32_e64 s3, 5, v81
	v_cmp_eq_u32_e64 s5, 6, v78
	v_cndmask_b32_e64 v5, v5, v11, s7
	v_cmp_eq_u32_e64 s4, 6, v77
	v_cndmask_b32_e64 v3, v6, v15, s7
	v_cndmask_b32_e64 v1, v1, v11, s3
	v_cmp_eq_u32_e64 s7, 6, v81
	v_cndmask_b32_e64 v2, v2, v15, s3
	v_cndmask_b32_e64 v17, v17, v4, s5
	v_cndmask_b32_e64 v18, v18, v8, s5
	v_cmp_eq_u32_e64 s5, 7, v78
	v_cndmask_b32_e64 v5, v5, v4, s4
	;; [unrolled: 4-line block ×3, first 2 shown]
	v_cmp_eq_u32_e64 s4, 7, v77
	v_cndmask_b32_e32 v4, v20, v8, vcc_lo
	v_cndmask_b32_e64 v17, v17, v12, s5
	v_cndmask_b32_e64 v19, v19, v12, s6
	;; [unrolled: 1-line block ×8, first 2 shown]
	s_mov_b32 s3, exec_lo
	v_perm_b32 v4, v2, v1, 0x5040100
	v_perm_b32 v3, v3, v5, 0x5040100
	;; [unrolled: 1-line block ×4, first 2 shown]
	ds_store_b128 v76, v[1:4]
	s_waitcnt lgkmcnt(0)
	s_barrier
	buffer_gl0_inv
	v_cmpx_gt_u32_e32 32, v0
	s_cbranch_execz .LBB1654_2
; %bb.111:
	s_load_b64 s[4:5], s[0:1], 0x68
	v_lshlrev_b32_e32 v0, 10, v0
	v_lshlrev_b32_e32 v1, 4, v75
	s_lshl_b32 s0, s34, 7
	v_add_nc_u32_e32 v2, s31, v74
	s_mul_i32 s1, s0, s30
	s_delay_alu instid0(SALU_CYCLE_1) | instskip(SKIP_1) | instid1(VALU_DEP_2)
	s_mul_i32 s6, s1, s8
	v_and_or_b32 v0, 0x3800, v0, v1
	v_mul_lo_u32 v1, v2, s0
	s_ashr_i32 s7, s6, 31
	v_add_nc_u32_e32 v3, 2, v2
	s_lshl_b64 s[6:7], s[6:7], 1
	v_add_nc_u32_e32 v4, 4, v2
	v_add_nc_u32_e32 v5, 6, v2
	v_lshl_or_b32 v15, v74, 6, v0
	v_mul_lo_u32 v3, v3, s0
	v_ashrrev_i32_e32 v2, 31, v1
	v_mul_lo_u32 v19, v4, s0
	v_mul_lo_u32 v21, v5, s0
	s_waitcnt lgkmcnt(0)
	s_add_u32 s1, s4, s6
	s_addc_u32 s3, s5, s7
	s_lshl_b32 s4, s14, 7
	v_lshlrev_b64 v[5:6], 1, v[1:2]
	s_ashr_i32 s5, s4, 31
	v_ashrrev_i32_e32 v4, 31, v3
	s_lshl_b64 s[4:5], s[4:5], 1
	v_ashrrev_i32_e32 v20, 31, v19
	s_add_u32 s1, s1, s4
	s_addc_u32 s3, s3, s5
	v_add_co_u32 v1, s1, s1, v73
	s_delay_alu instid0(VALU_DEP_1) | instskip(SKIP_1) | instid1(VALU_DEP_3)
	v_add_co_ci_u32_e64 v2, null, s3, 0, s1
	v_lshlrev_b64 v[25:26], 1, v[3:4]
	v_add_co_u32 v23, vcc_lo, v1, v5
	s_delay_alu instid0(VALU_DEP_3)
	v_add_co_ci_u32_e32 v24, vcc_lo, v2, v6, vcc_lo
	ds_load_b128 v[3:6], v15
	ds_load_b128 v[7:10], v15 offset:128
	ds_load_b128 v[11:14], v15 offset:256
	;; [unrolled: 1-line block ×3, first 2 shown]
	v_ashrrev_i32_e32 v22, 31, v21
	v_lshlrev_b64 v[19:20], 1, v[19:20]
	v_add_co_u32 v25, vcc_lo, v1, v25
	v_add_co_ci_u32_e32 v26, vcc_lo, v2, v26, vcc_lo
	s_delay_alu instid0(VALU_DEP_4) | instskip(NEXT) | instid1(VALU_DEP_4)
	v_lshlrev_b64 v[21:22], 1, v[21:22]
	v_add_co_u32 v19, vcc_lo, v1, v19
	v_add_co_ci_u32_e32 v20, vcc_lo, v2, v20, vcc_lo
	s_delay_alu instid0(VALU_DEP_3) | instskip(NEXT) | instid1(VALU_DEP_4)
	v_add_co_u32 v21, vcc_lo, v1, v21
	v_add_co_ci_u32_e32 v22, vcc_lo, v2, v22, vcc_lo
	s_waitcnt lgkmcnt(3)
	global_store_b128 v[23:24], v[3:6], off
	s_waitcnt lgkmcnt(2)
	global_store_b128 v[25:26], v[7:10], off
	;; [unrolled: 2-line block ×4, first 2 shown]
	s_and_b32 exec_lo, exec_lo, s2
	s_cbranch_execz .LBB1654_2
; %bb.112:
	ds_load_b128 v[3:6], v0 offset:512
	s_add_i32 s1, s31, 8
	s_delay_alu instid0(SALU_CYCLE_1) | instskip(NEXT) | instid1(SALU_CYCLE_1)
	s_mul_i32 s0, s1, s0
	s_ashr_i32 s1, s0, 31
	s_delay_alu instid0(SALU_CYCLE_1) | instskip(NEXT) | instid1(SALU_CYCLE_1)
	s_lshl_b64 s[0:1], s[0:1], 1
	v_add_co_u32 v0, vcc_lo, v1, s0
	v_add_co_ci_u32_e32 v1, vcc_lo, s1, v2, vcc_lo
	s_waitcnt lgkmcnt(0)
	global_store_b128 v[0:1], v[3:6], off
	s_nop 0
	s_sendmsg sendmsg(MSG_DEALLOC_VGPRS)
	s_endpgm
	.section	.rodata,"a",@progbits
	.p2align	6, 0x0
	.amdhsa_kernel _Z39paged_attention_ll4mi_QKV_mfma16_kernelI14__hip_bfloat16hLN4vllm18Fp8KVCacheDataTypeE1ES0_Li32ELi128ELi256ELb0ELi9EL8MFMAType1EEvPKT_PKT0_S9_ifPKiSB_SB_iPKfiiiPfSE_PS4_PT2_iSD_SD_
		.amdhsa_group_segment_fixed_size 17472
		.amdhsa_private_segment_fixed_size 0
		.amdhsa_kernarg_size 400
		.amdhsa_user_sgpr_count 13
		.amdhsa_user_sgpr_dispatch_ptr 0
		.amdhsa_user_sgpr_queue_ptr 0
		.amdhsa_user_sgpr_kernarg_segment_ptr 1
		.amdhsa_user_sgpr_dispatch_id 0
		.amdhsa_user_sgpr_private_segment_size 0
		.amdhsa_wavefront_size32 1
		.amdhsa_uses_dynamic_stack 0
		.amdhsa_enable_private_segment 0
		.amdhsa_system_sgpr_workgroup_id_x 1
		.amdhsa_system_sgpr_workgroup_id_y 1
		.amdhsa_system_sgpr_workgroup_id_z 1
		.amdhsa_system_sgpr_workgroup_info 0
		.amdhsa_system_vgpr_workitem_id 0
		.amdhsa_next_free_vgpr 140
		.amdhsa_next_free_sgpr 36
		.amdhsa_reserve_vcc 1
		.amdhsa_float_round_mode_32 0
		.amdhsa_float_round_mode_16_64 0
		.amdhsa_float_denorm_mode_32 3
		.amdhsa_float_denorm_mode_16_64 3
		.amdhsa_dx10_clamp 1
		.amdhsa_ieee_mode 1
		.amdhsa_fp16_overflow 0
		.amdhsa_workgroup_processor_mode 1
		.amdhsa_memory_ordered 1
		.amdhsa_forward_progress 0
		.amdhsa_shared_vgpr_count 0
		.amdhsa_exception_fp_ieee_invalid_op 0
		.amdhsa_exception_fp_denorm_src 0
		.amdhsa_exception_fp_ieee_div_zero 0
		.amdhsa_exception_fp_ieee_overflow 0
		.amdhsa_exception_fp_ieee_underflow 0
		.amdhsa_exception_fp_ieee_inexact 0
		.amdhsa_exception_int_div_zero 0
	.end_amdhsa_kernel
	.section	.text._Z39paged_attention_ll4mi_QKV_mfma16_kernelI14__hip_bfloat16hLN4vllm18Fp8KVCacheDataTypeE1ES0_Li32ELi128ELi256ELb0ELi9EL8MFMAType1EEvPKT_PKT0_S9_ifPKiSB_SB_iPKfiiiPfSE_PS4_PT2_iSD_SD_,"axG",@progbits,_Z39paged_attention_ll4mi_QKV_mfma16_kernelI14__hip_bfloat16hLN4vllm18Fp8KVCacheDataTypeE1ES0_Li32ELi128ELi256ELb0ELi9EL8MFMAType1EEvPKT_PKT0_S9_ifPKiSB_SB_iPKfiiiPfSE_PS4_PT2_iSD_SD_,comdat
.Lfunc_end1654:
	.size	_Z39paged_attention_ll4mi_QKV_mfma16_kernelI14__hip_bfloat16hLN4vllm18Fp8KVCacheDataTypeE1ES0_Li32ELi128ELi256ELb0ELi9EL8MFMAType1EEvPKT_PKT0_S9_ifPKiSB_SB_iPKfiiiPfSE_PS4_PT2_iSD_SD_, .Lfunc_end1654-_Z39paged_attention_ll4mi_QKV_mfma16_kernelI14__hip_bfloat16hLN4vllm18Fp8KVCacheDataTypeE1ES0_Li32ELi128ELi256ELb0ELi9EL8MFMAType1EEvPKT_PKT0_S9_ifPKiSB_SB_iPKfiiiPfSE_PS4_PT2_iSD_SD_
                                        ; -- End function
	.section	.AMDGPU.csdata,"",@progbits
; Kernel info:
; codeLenInByte = 8984
; NumSgprs: 38
; NumVgprs: 140
; ScratchSize: 0
; MemoryBound: 0
; FloatMode: 240
; IeeeMode: 1
; LDSByteSize: 17472 bytes/workgroup (compile time only)
; SGPRBlocks: 4
; VGPRBlocks: 17
; NumSGPRsForWavesPerEU: 38
; NumVGPRsForWavesPerEU: 140
; Occupancy: 10
; WaveLimiterHint : 1
; COMPUTE_PGM_RSRC2:SCRATCH_EN: 0
; COMPUTE_PGM_RSRC2:USER_SGPR: 13
; COMPUTE_PGM_RSRC2:TRAP_HANDLER: 0
; COMPUTE_PGM_RSRC2:TGID_X_EN: 1
; COMPUTE_PGM_RSRC2:TGID_Y_EN: 1
; COMPUTE_PGM_RSRC2:TGID_Z_EN: 1
; COMPUTE_PGM_RSRC2:TIDIG_COMP_CNT: 0
	.section	.text._Z39paged_attention_ll4mi_QKV_mfma16_kernelI14__hip_bfloat16hLN4vllm18Fp8KVCacheDataTypeE1ES0_Li32ELi128ELi256ELb0ELi10EL8MFMAType1EEvPKT_PKT0_S9_ifPKiSB_SB_iPKfiiiPfSE_PS4_PT2_iSD_SD_,"axG",@progbits,_Z39paged_attention_ll4mi_QKV_mfma16_kernelI14__hip_bfloat16hLN4vllm18Fp8KVCacheDataTypeE1ES0_Li32ELi128ELi256ELb0ELi10EL8MFMAType1EEvPKT_PKT0_S9_ifPKiSB_SB_iPKfiiiPfSE_PS4_PT2_iSD_SD_,comdat
	.protected	_Z39paged_attention_ll4mi_QKV_mfma16_kernelI14__hip_bfloat16hLN4vllm18Fp8KVCacheDataTypeE1ES0_Li32ELi128ELi256ELb0ELi10EL8MFMAType1EEvPKT_PKT0_S9_ifPKiSB_SB_iPKfiiiPfSE_PS4_PT2_iSD_SD_ ; -- Begin function _Z39paged_attention_ll4mi_QKV_mfma16_kernelI14__hip_bfloat16hLN4vllm18Fp8KVCacheDataTypeE1ES0_Li32ELi128ELi256ELb0ELi10EL8MFMAType1EEvPKT_PKT0_S9_ifPKiSB_SB_iPKfiiiPfSE_PS4_PT2_iSD_SD_
	.globl	_Z39paged_attention_ll4mi_QKV_mfma16_kernelI14__hip_bfloat16hLN4vllm18Fp8KVCacheDataTypeE1ES0_Li32ELi128ELi256ELb0ELi10EL8MFMAType1EEvPKT_PKT0_S9_ifPKiSB_SB_iPKfiiiPfSE_PS4_PT2_iSD_SD_
	.p2align	8
	.type	_Z39paged_attention_ll4mi_QKV_mfma16_kernelI14__hip_bfloat16hLN4vllm18Fp8KVCacheDataTypeE1ES0_Li32ELi128ELi256ELb0ELi10EL8MFMAType1EEvPKT_PKT0_S9_ifPKiSB_SB_iPKfiiiPfSE_PS4_PT2_iSD_SD_,@function
_Z39paged_attention_ll4mi_QKV_mfma16_kernelI14__hip_bfloat16hLN4vllm18Fp8KVCacheDataTypeE1ES0_Li32ELi128ELi256ELb0ELi10EL8MFMAType1EEvPKT_PKT0_S9_ifPKiSB_SB_iPKfiiiPfSE_PS4_PT2_iSD_SD_: ; @_Z39paged_attention_ll4mi_QKV_mfma16_kernelI14__hip_bfloat16hLN4vllm18Fp8KVCacheDataTypeE1ES0_Li32ELi128ELi256ELb0ELi10EL8MFMAType1EEvPKT_PKT0_S9_ifPKiSB_SB_iPKfiiiPfSE_PS4_PT2_iSD_SD_
; %bb.0:
	s_load_b64 s[4:5], s[0:1], 0x30
	s_mov_b32 s30, s13
	s_waitcnt lgkmcnt(0)
	s_cmp_lg_u64 s[4:5], 0
	s_cselect_b32 s13, -1, 0
	s_ashr_i32 s31, s30, 31
	s_cmp_eq_u64 s[4:5], 0
	s_cbranch_scc1 .LBB1655_3
; %bb.1:
	s_lshl_b64 s[2:3], s[30:31], 2
	s_delay_alu instid0(SALU_CYCLE_1) | instskip(SKIP_4) | instid1(SALU_CYCLE_1)
	s_add_u32 s2, s4, s2
	s_addc_u32 s3, s5, s3
	s_load_b64 s[2:3], s[2:3], 0x0
	s_waitcnt lgkmcnt(0)
	s_sub_i32 s2, s3, s2
	s_cmp_eq_u32 s2, 1
	s_cselect_b32 s2, -1, 0
	s_delay_alu instid0(SALU_CYCLE_1)
	s_and_not1_b32 vcc_lo, exec_lo, s2
	s_cbranch_vccz .LBB1655_4
.LBB1655_2:
	s_endpgm
.LBB1655_3:
.LBB1655_4:
	s_load_b64 s[2:3], s[0:1], 0x28
	s_lshl_b64 s[6:7], s[30:31], 2
	s_waitcnt lgkmcnt(0)
	s_add_u32 s2, s2, s6
	s_addc_u32 s3, s3, s7
	s_lshl_b32 s12, s14, 8
	s_load_b32 s17, s[2:3], 0x0
	s_waitcnt lgkmcnt(0)
	s_cmp_ge_i32 s12, s17
	s_cbranch_scc1 .LBB1655_2
; %bb.5:
	s_clause 0x1
	s_load_b128 s[8:11], s[0:1], 0x8
	s_load_b64 s[2:3], s[0:1], 0x20
	s_and_not1_b32 vcc_lo, exec_lo, s13
	s_cbranch_vccnz .LBB1655_7
; %bb.6:
	s_add_u32 s4, s4, s6
	s_addc_u32 s5, s5, s7
	s_load_b32 s13, s[4:5], 0x0
	s_branch .LBB1655_8
.LBB1655_7:
	s_mov_b32 s13, s30
.LBB1655_8:
	s_load_b128 s[4:7], s[0:1], 0x48
	v_and_b32_e32 v65, 15, v0
	v_lshrrev_b32_e32 v66, 5, v0
	v_and_b32_e32 v67, 31, v0
	v_and_b32_e32 v75, 1, v0
	v_bfe_u32 v74, v0, 4, 1
	v_lshlrev_b32_e32 v1, 3, v65
	s_mul_i32 s29, s15, 10
	s_waitcnt lgkmcnt(0)
	s_mov_b32 s7, exec_lo
	s_delay_alu instid0(VALU_DEP_1)
	v_lshlrev_b32_e32 v73, 1, v1
	v_cmpx_gt_u32_e32 0xa0, v0
	s_cbranch_execz .LBB1655_10
; %bb.9:
	s_load_b64 s[18:19], s[0:1], 0x0
	v_lshl_or_b32 v5, v66, 1, v74
	s_mul_hi_i32 s21, s13, s4
	s_mul_i32 s20, s13, s4
	v_lshlrev_b32_e32 v6, 10, v65
	s_lshl_b64 s[20:21], s[20:21], 1
	v_add_lshl_u32 v1, v5, s29, 7
	v_lshlrev_b32_e32 v5, 6, v5
	v_lshlrev_b32_e32 v7, 10, v75
	v_and_b32_e32 v6, 0x3800, v6
	s_delay_alu instid0(VALU_DEP_4) | instskip(NEXT) | instid1(VALU_DEP_2)
	v_ashrrev_i32_e32 v2, 31, v1
	v_or3_b32 v5, v6, v7, v5
	s_delay_alu instid0(VALU_DEP_2) | instskip(SKIP_3) | instid1(VALU_DEP_1)
	v_lshlrev_b64 v[1:2], 1, v[1:2]
	s_waitcnt lgkmcnt(0)
	s_add_u32 s4, s18, s20
	s_addc_u32 s13, s19, s21
	v_add_co_u32 v1, vcc_lo, s4, v1
	s_delay_alu instid0(VALU_DEP_2) | instskip(NEXT) | instid1(VALU_DEP_2)
	v_add_co_ci_u32_e32 v2, vcc_lo, s13, v2, vcc_lo
	v_add_co_u32 v1, vcc_lo, v1, v73
	s_delay_alu instid0(VALU_DEP_2)
	v_add_co_ci_u32_e32 v2, vcc_lo, 0, v2, vcc_lo
	global_load_b128 v[1:4], v[1:2], off
	s_waitcnt vmcnt(0)
	ds_store_b128 v5, v[1:4]
.LBB1655_10:
	s_or_b32 exec_lo, exec_lo, s7
	v_and_b32_e32 v1, 0xef, v0
	s_add_i32 s4, s17, 31
	s_clause 0x1
	s_load_b32 s7, s[0:1], 0x38
	s_load_b32 s18, s[0:1], 0x1c
	s_ashr_i32 s13, s4, 31
	v_add_nc_u32_e32 v1, s12, v1
	s_lshr_b32 s13, s13, 27
	s_waitcnt lgkmcnt(0)
	s_add_i32 s4, s4, s13
	s_barrier
	v_ashrrev_i32_e32 v2, 31, v1
	v_or_b32_e32 v3, 16, v1
	s_ashr_i32 s4, s4, 5
	v_cmp_gt_i32_e32 vcc_lo, s17, v1
	s_add_i32 s4, s4, -1
	v_lshrrev_b32_e32 v2, 27, v2
	buffer_gl0_inv
	s_mul_i32 s15, s15, s6
	v_add_nc_u32_e32 v4, v1, v2
	s_mul_i32 s20, s30, s7
	s_delay_alu instid0(SALU_CYCLE_1) | instskip(NEXT) | instid1(VALU_DEP_1)
	s_ashr_i32 s21, s20, 31
	v_ashrrev_i32_e32 v4, 5, v4
	v_add_nc_u32_e32 v2, v3, v2
	s_lshl_b64 s[20:21], s[20:21], 2
	s_delay_alu instid0(SALU_CYCLE_1) | instskip(NEXT) | instid1(VALU_DEP_2)
	s_add_u32 s13, s2, s20
	v_cndmask_b32_e32 v1, s4, v4, vcc_lo
	s_delay_alu instid0(VALU_DEP_2)
	v_ashrrev_i32_e32 v2, 5, v2
	v_cmp_gt_i32_e32 vcc_lo, s17, v3
	s_addc_u32 s16, s3, s21
	s_ashr_i32 s19, s15, 31
	s_add_u32 s2, s8, s15
	s_addc_u32 s3, s9, s19
	v_cndmask_b32_e32 v3, s4, v2, vcc_lo
	v_ashrrev_i32_e32 v2, 31, v1
	s_lshl_b32 s6, s14, 3
	s_delay_alu instid0(SALU_CYCLE_1) | instskip(NEXT) | instid1(VALU_DEP_2)
	s_ashr_i32 s7, s6, 31
	v_ashrrev_i32_e32 v4, 31, v3
	s_delay_alu instid0(VALU_DEP_2) | instskip(SKIP_1) | instid1(SALU_CYCLE_1)
	v_lshlrev_b64 v[1:2], 2, v[1:2]
	s_lshl_b64 s[6:7], s[6:7], 2
	s_add_u32 s6, s13, s6
	s_delay_alu instid0(VALU_DEP_2) | instskip(SKIP_1) | instid1(VALU_DEP_2)
	v_lshlrev_b64 v[3:4], 2, v[3:4]
	s_addc_u32 s7, s16, s7
	v_add_co_u32 v1, vcc_lo, s13, v1
	v_add_co_ci_u32_e32 v2, vcc_lo, s16, v2, vcc_lo
	s_delay_alu instid0(VALU_DEP_3) | instskip(NEXT) | instid1(VALU_DEP_4)
	v_add_co_u32 v3, vcc_lo, s13, v3
	v_add_co_ci_u32_e32 v4, vcc_lo, s16, v4, vcc_lo
	s_clause 0x1
	global_load_b32 v5, v[1:2], off
	global_load_b32 v6, v[3:4], off
	s_or_b32 s8, s12, 32
	s_delay_alu instid0(SALU_CYCLE_1) | instskip(SKIP_2) | instid1(SALU_CYCLE_1)
	s_ashr_i32 s9, s8, 5
	s_cmp_lt_i32 s8, s17
	s_cselect_b32 s8, s9, s4
	s_ashr_i32 s9, s8, 31
	s_delay_alu instid0(SALU_CYCLE_1) | instskip(NEXT) | instid1(SALU_CYCLE_1)
	s_lshl_b64 s[8:9], s[8:9], 2
	s_add_u32 s8, s13, s8
	s_addc_u32 s9, s16, s9
	s_or_b32 s20, s12, 64
	s_delay_alu instid0(SALU_CYCLE_1) | instskip(SKIP_2) | instid1(SALU_CYCLE_1)
	s_ashr_i32 s21, s20, 5
	s_cmp_lt_i32 s20, s17
	s_cselect_b32 s20, s21, s4
	s_ashr_i32 s21, s20, 31
	s_delay_alu instid0(SALU_CYCLE_1) | instskip(NEXT) | instid1(SALU_CYCLE_1)
	s_lshl_b64 s[20:21], s[20:21], 2
	s_add_u32 s20, s13, s20
	s_addc_u32 s21, s16, s21
	;; [unrolled: 10-line block ×5, first 2 shown]
	s_clause 0x5
	s_load_b32 s28, s[6:7], 0x0
	s_load_b32 s8, s[8:9], 0x0
	;; [unrolled: 1-line block ×6, first 2 shown]
	s_mov_b32 s20, 0
	s_delay_alu instid0(SALU_CYCLE_1)
	s_mov_b32 s21, s20
	s_mov_b32 s22, s20
	;; [unrolled: 1-line block ×7, first 2 shown]
	s_delay_alu instid0(SALU_CYCLE_1)
	v_dual_mov_b32 v107, s27 :: v_dual_mov_b32 v106, s26
	v_dual_mov_b32 v104, s24 :: v_dual_mov_b32 v103, s23
	;; [unrolled: 1-line block ×3, first 2 shown]
	v_mov_b32_e32 v100, s20
	s_waitcnt vmcnt(1)
	v_mad_i64_i32 v[1:2], null, v5, s5, s[2:3]
	v_lshlrev_b32_e32 v5, 4, v65
	s_waitcnt vmcnt(0)
	v_mad_i64_i32 v[3:4], null, v6, s5, s[2:3]
	s_or_b32 s2, s12, 0xc0
	s_delay_alu instid0(SALU_CYCLE_1) | instskip(NEXT) | instid1(VALU_DEP_3)
	s_ashr_i32 s3, s2, 5
	v_add_co_u32 v33, vcc_lo, v1, v5
	s_delay_alu instid0(VALU_DEP_4) | instskip(NEXT) | instid1(VALU_DEP_3)
	v_add_co_ci_u32_e32 v34, vcc_lo, 0, v2, vcc_lo
	v_add_co_u32 v35, vcc_lo, v3, v5
	s_delay_alu instid0(VALU_DEP_4)
	v_add_co_ci_u32_e32 v36, vcc_lo, 0, v4, vcc_lo
	s_clause 0xf
	global_load_b128 v[1:4], v[33:34], off
	global_load_b128 v[5:8], v[33:34], off offset:512
	global_load_b128 v[9:12], v[35:36], off offset:256
	global_load_b128 v[13:16], v[35:36], off offset:768
	global_load_b128 v[17:20], v[33:34], off offset:1024
	global_load_b128 v[21:24], v[33:34], off offset:1536
	global_load_b128 v[25:28], v[35:36], off offset:1280
	global_load_b128 v[29:32], v[35:36], off offset:1792
	global_load_b128 v[57:60], v[33:34], off offset:2048
	global_load_b128 v[61:64], v[33:34], off offset:2560
	global_load_b128 v[76:79], v[35:36], off offset:2304
	global_load_b128 v[80:83], v[35:36], off offset:2816
	global_load_b128 v[84:87], v[33:34], off offset:3072
	global_load_b128 v[88:91], v[33:34], off offset:3584
	global_load_b128 v[92:95], v[35:36], off offset:3328
	global_load_b128 v[96:99], v[35:36], off offset:3840
	s_cmp_lt_i32 s2, s17
	v_add_nc_u32_e32 v33, -10, v65
	s_cselect_b32 s2, s3, s4
	v_cmp_gt_u32_e32 vcc_lo, 10, v65
	s_ashr_i32 s3, s2, 31
	v_lshlrev_b32_e32 v34, 5, v65
	s_lshl_b64 s[2:3], s[2:3], 2
	s_delay_alu instid0(SALU_CYCLE_1)
	s_add_u32 s2, s13, s2
	s_addc_u32 s3, s16, s3
	s_or_b32 s6, s12, 0xe0
	v_cndmask_b32_e32 v33, v33, v65, vcc_lo
	s_ashr_i32 s7, s6, 5
	s_cmp_lt_i32 s6, s17
	v_mov_b32_e32 v105, s25
	s_cselect_b32 s6, s7, s4
	v_lshlrev_b32_e32 v72, 6, v33
	s_ashr_i32 s7, s6, 31
	v_lshl_or_b32 v41, v66, 9, v34
	s_lshl_b64 s[6:7], s[6:7], 2
	ds_load_b128 v[33:36], v72
	ds_load_b128 v[37:40], v72 offset:1024
	ds_load_b128 v[108:111], v72 offset:2048
	;; [unrolled: 1-line block ×3, first 2 shown]
	s_load_b32 s4, s[2:3], 0x0
	s_add_u32 s2, s13, s6
	s_addc_u32 s3, s16, s7
	ds_load_b128 v[116:119], v72 offset:4096
	ds_load_b128 v[120:123], v72 offset:5120
	s_load_b32 s2, s[2:3], 0x0
	s_add_u32 s6, s10, s15
	s_addc_u32 s7, s11, s19
	v_add_co_u32 v68, s6, s6, v41
	s_delay_alu instid0(VALU_DEP_1) | instskip(SKIP_1) | instid1(VALU_DEP_1)
	v_add_co_ci_u32_e64 v69, null, s7, 0, s6
	s_waitcnt lgkmcnt(0)
	v_mad_i64_i32 v[41:42], null, s28, s5, v[68:69]
	v_mad_i64_i32 v[70:71], null, s9, s5, v[68:69]
	;; [unrolled: 1-line block ×7, first 2 shown]
	s_clause 0x3
	global_load_b128 v[49:52], v[41:42], off
	global_load_b128 v[53:56], v[41:42], off offset:16
	global_load_b128 v[41:44], v[45:46], off
	global_load_b128 v[45:48], v[45:46], off offset:16
	s_waitcnt vmcnt(18)
	v_wmma_f32_16x16x16_bf16 v[124:131], v[1:8], v[33:40], v[100:107]
	s_waitcnt vmcnt(16)
	v_wmma_f32_16x16x16_bf16 v[100:107], v[9:16], v[33:40], v[100:107]
	s_clause 0x1
	global_load_b128 v[33:36], v[70:71], off
	global_load_b128 v[37:40], v[70:71], off offset:16
	v_mad_i64_i32 v[70:71], null, s2, s5, v[68:69]
	s_waitcnt vmcnt(16)
	v_wmma_f32_16x16x16_bf16 v[124:131], v[17:24], v[108:115], v[124:131]
	s_waitcnt vmcnt(14)
	v_wmma_f32_16x16x16_bf16 v[100:107], v[25:32], v[108:115], v[100:107]
	s_clause 0x7
	global_load_b128 v[25:28], v[132:133], off
	global_load_b128 v[29:32], v[132:133], off offset:16
	global_load_b128 v[1:4], v[134:135], off
	global_load_b128 v[5:8], v[134:135], off offset:16
	;; [unrolled: 2-line block ×4, first 2 shown]
	s_waitcnt vmcnt(20)
	v_wmma_f32_16x16x16_bf16 v[124:131], v[57:64], v[116:123], v[124:131]
	s_clause 0x1
	global_load_b128 v[57:60], v[70:71], off
	global_load_b128 v[61:64], v[70:71], off offset:16
	s_waitcnt vmcnt(20)
	v_wmma_f32_16x16x16_bf16 v[100:107], v[76:83], v[116:123], v[100:107]
	ds_load_b128 v[76:79], v72 offset:6144
	ds_load_b128 v[80:83], v72 offset:7168
	v_and_b32_e32 v68, 0xe0, v0
	v_mbcnt_lo_u32_b32 v69, -1, 0
	s_waitcnt vmcnt(0) lgkmcnt(0)
	s_barrier
	buffer_gl0_inv
	v_add_nc_u32_e32 v68, s12, v68
	v_xor_b32_e32 v70, 16, v69
	s_delay_alu instid0(VALU_DEP_2) | instskip(NEXT) | instid1(VALU_DEP_2)
	v_or_b32_e32 v68, v68, v74
	v_cmp_gt_i32_e32 vcc_lo, 32, v70
	s_delay_alu instid0(VALU_DEP_2)
	v_or_b32_e32 v71, 4, v68
	v_or_b32_e32 v72, 6, v68
	v_cmp_gt_i32_e64 s2, s17, v68
	v_or_b32_e32 v108, 8, v68
	v_wmma_f32_16x16x16_bf16 v[124:131], v[84:91], v[76:83], v[124:131]
	v_cndmask_b32_e32 v69, v69, v70, vcc_lo
	v_or_b32_e32 v70, 2, v68
	v_wmma_f32_16x16x16_bf16 v[100:107], v[92:99], v[76:83], v[100:107]
	v_or_b32_e32 v109, 10, v68
	v_dual_mul_f32 v80, s18, v129 :: v_dual_mul_f32 v81, s18, v128
	v_dual_mul_f32 v92, s18, v125 :: v_dual_mul_f32 v93, s18, v124
	s_delay_alu instid0(VALU_DEP_4)
	v_mul_f32_e32 v96, s18, v105
	v_cmp_gt_i32_e32 vcc_lo, s17, v70
	v_or_b32_e32 v89, 22, v68
	v_dual_mul_f32 v79, s18, v130 :: v_dual_mul_f32 v82, s18, v127
	v_dual_mul_f32 v83, s18, v126 :: v_dual_mul_f32 v94, s18, v107
	v_cndmask_b32_e64 v93, 0xff7fffff, v93, s2
	v_cndmask_b32_e32 v92, 0xff7fffff, v92, vcc_lo
	v_cmp_gt_i32_e64 s3, s17, v71
	v_cmp_gt_i32_e64 s4, s17, v72
	v_or_b32_e32 v84, 12, v68
	v_or_b32_e32 v85, 14, v68
	v_cmp_gt_i32_e64 s5, s17, v108
	v_cndmask_b32_e64 v71, 0xff7fffff, v83, s3
	v_cndmask_b32_e64 v72, 0xff7fffff, v82, s4
	v_cmp_gt_i32_e64 s6, s17, v109
	v_cmp_gt_i32_e64 s12, s17, v89
	v_lshlrev_b32_e32 v89, 2, v69
	v_max3_f32 v82, v93, 0xff7fffff, v92
	v_or_b32_e32 v86, 16, v68
	v_or_b32_e32 v87, 18, v68
	v_mul_f32_e32 v78, s18, v131
	v_cndmask_b32_e64 v81, 0xff7fffff, v81, s5
	v_cndmask_b32_e64 v80, 0xff7fffff, v80, s6
	v_max3_f32 v71, v82, v71, v72
	v_cmp_gt_i32_e64 s7, s17, v84
	v_cmp_gt_i32_e64 s8, s17, v85
	v_or_b32_e32 v88, 20, v68
	v_or_b32_e32 v90, 24, v68
	;; [unrolled: 1-line block ×5, first 2 shown]
	v_dual_mul_f32 v97, s18, v104 :: v_dual_mul_f32 v70, s18, v101
	v_dual_mul_f32 v99, s18, v102 :: v_dual_mul_f32 v68, s18, v100
	v_cndmask_b32_e64 v72, 0xff7fffff, v79, s7
	v_cndmask_b32_e64 v78, 0xff7fffff, v78, s8
	v_max3_f32 v71, v71, v81, v80
	v_cmp_gt_i32_e64 s9, s17, v86
	v_cmp_gt_i32_e64 s10, s17, v87
	v_dual_mul_f32 v95, s18, v106 :: v_dual_mul_f32 v98, s18, v103
	s_delay_alu instid0(VALU_DEP_4) | instskip(NEXT) | instid1(VALU_DEP_4)
	v_max3_f32 v71, v71, v72, v78
	v_cndmask_b32_e64 v68, 0xff7fffff, v68, s9
	s_delay_alu instid0(VALU_DEP_4)
	v_cndmask_b32_e64 v70, 0xff7fffff, v70, s10
	v_cmp_gt_i32_e64 s11, s17, v88
	v_cndmask_b32_e64 v78, 0xff7fffff, v98, s12
	v_cmp_gt_i32_e64 s13, s17, v90
	v_cmp_gt_i32_e64 s15, s17, v91
	v_max3_f32 v68, v71, v68, v70
	v_cndmask_b32_e64 v72, 0xff7fffff, v99, s11
	v_cmp_gt_i32_e64 s16, s17, v76
	v_cndmask_b32_e64 v70, 0xff7fffff, v97, s13
	v_cndmask_b32_e64 v71, 0xff7fffff, v96, s15
	v_cmp_gt_i32_e64 s17, s17, v77
	v_max3_f32 v68, v68, v72, v78
	v_cndmask_b32_e64 v72, 0xff7fffff, v95, s16
	s_delay_alu instid0(VALU_DEP_3) | instskip(NEXT) | instid1(VALU_DEP_3)
	v_cndmask_b32_e64 v76, 0xff7fffff, v94, s17
	v_max3_f32 v68, v68, v70, v71
	s_delay_alu instid0(VALU_DEP_1) | instskip(SKIP_3) | instid1(VALU_DEP_1)
	v_max3_f32 v68, v68, v72, v76
	ds_bpermute_b32 v69, v89, v68
	s_waitcnt lgkmcnt(0)
	v_max_f32_e32 v69, v69, v69
	v_max_f32_e32 v68, v68, v69
	s_delay_alu instid0(VALU_DEP_1) | instskip(NEXT) | instid1(VALU_DEP_1)
	v_fma_f32 v71, s18, v126, -v68
	v_mul_f32_e32 v71, 0x3fb8aa3b, v71
	v_fma_f32 v70, s18, v125, -v68
	v_fma_f32 v69, s18, v124, -v68
	v_fma_f32 v76, s18, v128, -v68
	v_fma_f32 v72, s18, v127, -v68
	v_fma_f32 v78, s18, v130, -v68
	s_delay_alu instid0(VALU_DEP_4) | instskip(SKIP_1) | instid1(VALU_DEP_3)
	v_dual_mul_f32 v70, 0x3fb8aa3b, v70 :: v_dual_mul_f32 v69, 0x3fb8aa3b, v69
	v_exp_f32_e32 v71, v71
	v_mul_f32_e32 v72, 0x3fb8aa3b, v72
	v_fma_f32 v81, s18, v105, -v68
	s_delay_alu instid0(VALU_DEP_3)
	v_exp_f32_e32 v70, v70
	v_mul_f32_e32 v77, 0x3fb8aa3b, v76
	v_exp_f32_e32 v69, v69
	v_exp_f32_e32 v72, v72
	v_mul_f32_e32 v81, 0x3fb8aa3b, v81
	v_cndmask_b32_e64 v83, 0, v71, s3
	v_fma_f32 v71, s18, v131, -v68
	s_delay_alu instid0(VALU_DEP_3) | instskip(SKIP_4) | instid1(TRANS32_DEP_3)
	v_exp_f32_e32 v81, v81
	v_cndmask_b32_e32 v76, 0, v70, vcc_lo
	v_exp_f32_e32 v77, v77
	v_cndmask_b32_e64 v80, 0, v69, s2
	v_fma_f32 v69, s18, v129, -v68
	v_cndmask_b32_e64 v85, 0, v72, s4
	v_mul_f32_e32 v71, 0x3fb8aa3b, v71
	v_fma_f32 v72, s18, v100, -v68
	s_delay_alu instid0(VALU_DEP_4) | instskip(SKIP_1) | instid1(VALU_DEP_3)
	v_dual_add_f32 v70, 0, v80 :: v_dual_mul_f32 v69, 0x3fb8aa3b, v69
	s_mov_b32 s2, exec_lo
	v_exp_f32_e32 v71, v71
	s_delay_alu instid0(TRANS32_DEP_2) | instskip(SKIP_4) | instid1(VALU_DEP_3)
	v_cndmask_b32_e64 v86, 0, v77, s5
	v_fma_f32 v77, s18, v101, -v68
	v_mul_f32_e32 v78, 0x3fb8aa3b, v78
	v_add_f32_e32 v70, v70, v76
	v_exp_f32_e32 v69, v69
	v_mul_f32_e32 v77, 0x3fb8aa3b, v77
	s_delay_alu instid0(VALU_DEP_3) | instskip(NEXT) | instid1(TRANS32_DEP_3)
	v_exp_f32_e32 v78, v78
	v_cndmask_b32_e64 v88, 0, v71, s8
	v_fma_f32 v71, s18, v104, -v68
	s_delay_alu instid0(VALU_DEP_3) | instskip(NEXT) | instid1(TRANS32_DEP_3)
	v_exp_f32_e32 v77, v77
	v_cndmask_b32_e64 v87, 0, v69, s6
	s_delay_alu instid0(VALU_DEP_2)
	v_mul_f32_e32 v71, 0x3fb8aa3b, v71
	s_waitcnt_depctr 0xfff
	v_cndmask_b32_e64 v84, 0, v78, s7
	v_add_f32_e32 v70, v70, v83
	v_fma_f32 v78, s18, v103, -v68
	v_exp_f32_e32 v82, v71
	s_delay_alu instid0(VALU_DEP_2) | instskip(SKIP_1) | instid1(VALU_DEP_3)
	v_add_f32_e32 v70, v70, v85
	v_mul_f32_e32 v72, 0x3fb8aa3b, v72
	v_mul_f32_e32 v78, 0x3fb8aa3b, v78
	s_delay_alu instid0(VALU_DEP_3) | instskip(SKIP_1) | instid1(VALU_DEP_4)
	v_add_f32_e32 v69, v70, v86
	v_fma_f32 v70, s18, v102, -v68
	v_exp_f32_e32 v72, v72
	s_delay_alu instid0(VALU_DEP_3) | instskip(NEXT) | instid1(VALU_DEP_1)
	v_exp_f32_e32 v78, v78
	v_dual_add_f32 v69, v69, v87 :: v_dual_mul_f32 v70, 0x3fb8aa3b, v70
	s_delay_alu instid0(VALU_DEP_1) | instskip(NEXT) | instid1(VALU_DEP_2)
	v_add_f32_e32 v69, v69, v84
	v_exp_f32_e32 v79, v70
	s_delay_alu instid0(TRANS32_DEP_3) | instskip(NEXT) | instid1(VALU_DEP_2)
	v_cndmask_b32_e64 v70, 0, v72, s9
	v_add_f32_e32 v72, v69, v88
	v_cndmask_b32_e64 v69, 0, v77, s10
	v_fma_f32 v77, s18, v106, -v68
	s_waitcnt_depctr 0xfff
	v_cndmask_b32_e64 v71, 0, v79, s11
	v_dual_mul_f32 v77, 0x3fb8aa3b, v77 :: v_dual_add_f32 v72, v72, v70
	s_delay_alu instid0(VALU_DEP_1) | instskip(NEXT) | instid1(VALU_DEP_1)
	v_exp_f32_e32 v90, v77
	v_add_f32_e32 v79, v72, v69
	v_cndmask_b32_e64 v72, 0, v78, s12
	v_cndmask_b32_e64 v77, 0, v82, s13
	s_delay_alu instid0(VALU_DEP_3) | instskip(SKIP_1) | instid1(VALU_DEP_1)
	v_add_f32_e32 v78, v79, v71
	v_fma_f32 v79, s18, v107, -v68
	v_dual_add_f32 v82, v78, v72 :: v_dual_mul_f32 v79, 0x3fb8aa3b, v79
	v_cndmask_b32_e64 v78, 0, v81, s15
	s_delay_alu instid0(VALU_DEP_2) | instskip(NEXT) | instid1(VALU_DEP_3)
	v_add_f32_e32 v81, v82, v77
	v_exp_f32_e32 v82, v79
	v_cndmask_b32_e64 v79, 0, v90, s16
	s_delay_alu instid0(VALU_DEP_2) | instskip(NEXT) | instid1(VALU_DEP_1)
	v_add_f32_e32 v81, v81, v78
	v_add_f32_e32 v90, v81, v79
	s_waitcnt_depctr 0xfff
	v_cndmask_b32_e64 v81, 0, v82, s17
	s_delay_alu instid0(VALU_DEP_1)
	v_add_f32_e32 v82, v90, v81
	ds_bpermute_b32 v89, v89, v82
	v_cmpx_gt_u32_e32 16, v67
	s_cbranch_execz .LBB1655_12
; %bb.11:
	v_mul_u32_u24_e32 v67, 0x44, v66
	s_delay_alu instid0(VALU_DEP_1) | instskip(SKIP_1) | instid1(VALU_DEP_1)
	v_lshl_add_u32 v67, v65, 2, v67
	s_waitcnt lgkmcnt(0)
	v_dual_add_f32 v82, v82, v89 :: v_dual_add_nc_u32 v67, 0x4000, v67
	ds_store_2addr_b32 v67, v68, v82 offset1:136
.LBB1655_12:
	s_or_b32 exec_lo, exec_lo, s2
	v_lshlrev_b32_e32 v67, 2, v65
	s_waitcnt lgkmcnt(0)
	s_barrier
	buffer_gl0_inv
	v_cmp_eq_u32_e32 vcc_lo, 1, v66
	v_add_nc_u32_e32 v82, 0x4000, v67
	v_cmp_eq_u32_e64 s2, 2, v66
	v_cmp_eq_u32_e64 s4, 7, v66
	ds_load_2addr_b32 v[89:90], v82 offset1:17
	ds_load_2addr_b32 v[91:92], v82 offset0:34 offset1:51
	ds_load_2addr_b32 v[93:94], v82 offset0:68 offset1:85
	;; [unrolled: 1-line block ×4, first 2 shown]
	s_waitcnt lgkmcnt(4)
	v_max3_f32 v67, v89, 0xff7fffff, v90
	s_waitcnt lgkmcnt(3)
	s_delay_alu instid0(VALU_DEP_1) | instskip(SKIP_1) | instid1(VALU_DEP_1)
	v_max3_f32 v67, v67, v91, v92
	s_waitcnt lgkmcnt(2)
	v_max3_f32 v67, v67, v93, v94
	s_waitcnt lgkmcnt(1)
	s_delay_alu instid0(VALU_DEP_1) | instskip(NEXT) | instid1(VALU_DEP_1)
	v_max3_f32 v67, v67, v95, v96
	v_sub_f32_e32 v93, v93, v67
	s_delay_alu instid0(VALU_DEP_1) | instskip(NEXT) | instid1(VALU_DEP_1)
	v_dual_sub_f32 v68, v89, v67 :: v_dual_mul_f32 v103, 0x3fb8aa3b, v93
	v_mul_f32_e32 v68, 0x3fb8aa3b, v68
	s_delay_alu instid0(VALU_DEP_1)
	v_exp_f32_e32 v100, v68
	v_sub_f32_e32 v68, v92, v67
	v_sub_f32_e32 v99, v90, v67
	ds_load_2addr_b32 v[89:90], v82 offset0:170 offset1:187
	v_dual_mul_f32 v102, 0x3fb8aa3b, v68 :: v_dual_mul_f32 v99, 0x3fb8aa3b, v99
	s_waitcnt lgkmcnt(1)
	v_fma_f32 v68, v100, v97, 0
	s_delay_alu instid0(VALU_DEP_2) | instskip(NEXT) | instid1(VALU_DEP_2)
	v_exp_f32_e32 v102, v102
	v_exp_f32_e32 v99, v99
	s_waitcnt_depctr 0xfff
	v_fmac_f32_e32 v68, v99, v98
	v_sub_f32_e32 v91, v91, v67
	s_delay_alu instid0(VALU_DEP_1)
	v_mul_f32_e32 v101, 0x3fb8aa3b, v91
	ds_load_2addr_b32 v[91:92], v82 offset0:204 offset1:221
	v_sub_f32_e32 v97, v94, v67
	ds_load_2addr_b32 v[93:94], v82 offset0:238 offset1:255
	s_waitcnt lgkmcnt(0)
	v_exp_f32_e32 v101, v101
	s_barrier
	buffer_gl0_inv
	v_dual_fmac_f32 v68, v101, v89 :: v_dual_sub_f32 v89, v96, v67
	v_dual_sub_f32 v82, v95, v67 :: v_dual_mul_f32 v95, 0x3fb8aa3b, v97
	v_exp_f32_e32 v97, v103
	s_delay_alu instid0(VALU_DEP_2) | instskip(NEXT) | instid1(VALU_DEP_2)
	v_dual_fmac_f32 v68, v102, v90 :: v_dual_mul_f32 v89, 0x3fb8aa3b, v89
	v_mul_f32_e32 v82, 0x3fb8aa3b, v82
	s_delay_alu instid0(VALU_DEP_3) | instskip(NEXT) | instid1(VALU_DEP_2)
	v_exp_f32_e32 v95, v95
	v_exp_f32_e32 v89, v89
	s_delay_alu instid0(VALU_DEP_1)
	v_exp_f32_e32 v82, v82
	v_fmac_f32_e32 v68, v97, v91
	s_delay_alu instid0(TRANS32_DEP_3) | instid1(VALU_DEP_1)
	v_fmac_f32_e32 v68, v95, v92
	s_waitcnt_depctr 0xfff
	v_fmac_f32_e32 v68, v82, v93
	s_delay_alu instid0(VALU_DEP_1) | instskip(NEXT) | instid1(VALU_DEP_1)
	v_fmac_f32_e32 v68, v89, v94
	v_add_f32_e32 v90, 0x358637bd, v68
	s_delay_alu instid0(VALU_DEP_1) | instskip(NEXT) | instid1(VALU_DEP_1)
	v_div_scale_f32 v91, null, v90, v90, 1.0
	v_rcp_f32_e32 v92, v91
	s_waitcnt_depctr 0xfff
	v_fma_f32 v93, -v91, v92, 1.0
	s_delay_alu instid0(VALU_DEP_1) | instskip(SKIP_1) | instid1(VALU_DEP_2)
	v_dual_fmac_f32 v92, v93, v92 :: v_dual_cndmask_b32 v93, v100, v99
	v_cmp_eq_u32_e32 vcc_lo, 3, v66
	v_cndmask_b32_e64 v93, v93, v101, s2
	v_cmp_eq_u32_e64 s2, 4, v66
	s_delay_alu instid0(VALU_DEP_2) | instskip(SKIP_1) | instid1(VALU_DEP_2)
	v_cndmask_b32_e32 v93, v93, v102, vcc_lo
	v_cmp_eq_u32_e32 vcc_lo, 5, v66
	v_cndmask_b32_e64 v93, v93, v97, s2
	v_cmp_eq_u32_e64 s2, 6, v66
	s_delay_alu instid0(VALU_DEP_2) | instskip(SKIP_1) | instid1(VALU_DEP_1)
	v_cndmask_b32_e32 v93, v93, v95, vcc_lo
	v_div_scale_f32 v94, s3, 1.0, v90, 1.0
	s_mov_b32 vcc_lo, s3
	s_delay_alu instid0(VALU_DEP_2) | instskip(NEXT) | instid1(VALU_DEP_2)
	v_cndmask_b32_e64 v82, v93, v82, s2
	v_mul_f32_e32 v96, v94, v92
	s_mov_b32 s2, exec_lo
	s_delay_alu instid0(VALU_DEP_2) | instskip(NEXT) | instid1(VALU_DEP_2)
	v_cndmask_b32_e64 v82, v82, v89, s4
	v_fma_f32 v98, -v91, v96, v94
	s_delay_alu instid0(VALU_DEP_1) | instskip(NEXT) | instid1(VALU_DEP_1)
	v_fmac_f32_e32 v96, v98, v92
	v_fma_f32 v91, -v91, v96, v94
	s_delay_alu instid0(VALU_DEP_1) | instskip(NEXT) | instid1(VALU_DEP_1)
	v_div_fmas_f32 v91, v91, v92, v96
	v_div_fixup_f32 v90, v91, v90, 1.0
	s_delay_alu instid0(VALU_DEP_1) | instskip(NEXT) | instid1(VALU_DEP_1)
	v_mul_f32_e32 v82, v82, v90
	v_mul_f32_e32 v87, v82, v87
	;; [unrolled: 1-line block ×7, first 2 shown]
	v_dual_mul_f32 v86, v82, v83 :: v_dual_and_b32 v91, 0x7f800000, v90
	v_mul_f32_e32 v85, v82, v76
                                        ; implicit-def: $vgpr76
	s_delay_alu instid0(VALU_DEP_2)
	v_cmpx_ne_u32_e32 0x7f800000, v91
	s_xor_b32 s2, exec_lo, s2
; %bb.13:
	v_bfe_u32 v76, v90, 16, 1
	s_delay_alu instid0(VALU_DEP_1)
	v_add3_u32 v76, v90, v76, 0x7fff
                                        ; implicit-def: $vgpr90
; %bb.14:
	s_and_not1_saveexec_b32 s2, s2
; %bb.15:
	v_and_b32_e32 v76, 0xffff, v90
	v_or_b32_e32 v83, 0x10000, v90
	s_delay_alu instid0(VALU_DEP_2) | instskip(NEXT) | instid1(VALU_DEP_2)
	v_cmp_eq_u32_e32 vcc_lo, 0, v76
	v_cndmask_b32_e32 v76, v83, v90, vcc_lo
; %bb.16:
	s_or_b32 exec_lo, exec_lo, s2
	v_and_b32_e32 v83, 0x7f800000, v85
	s_delay_alu instid0(VALU_DEP_1) | instskip(SKIP_1) | instid1(SALU_CYCLE_1)
	v_cmp_ne_u32_e32 vcc_lo, 0x7f800000, v83
                                        ; implicit-def: $vgpr83
	s_and_saveexec_b32 s2, vcc_lo
	s_xor_b32 s2, exec_lo, s2
; %bb.17:
	v_bfe_u32 v83, v85, 16, 1
	s_delay_alu instid0(VALU_DEP_1)
	v_add3_u32 v83, v85, v83, 0x7fff
                                        ; implicit-def: $vgpr85
; %bb.18:
	s_and_not1_saveexec_b32 s2, s2
; %bb.19:
	v_and_b32_e32 v83, 0xffff, v85
	v_or_b32_e32 v90, 0x10000, v85
	s_delay_alu instid0(VALU_DEP_2) | instskip(NEXT) | instid1(VALU_DEP_2)
	v_cmp_eq_u32_e32 vcc_lo, 0, v83
	v_cndmask_b32_e32 v83, v90, v85, vcc_lo
; %bb.20:
	s_or_b32 exec_lo, exec_lo, s2
	v_and_b32_e32 v85, 0x7f800000, v86
	s_delay_alu instid0(VALU_DEP_1) | instskip(SKIP_1) | instid1(SALU_CYCLE_1)
	v_cmp_ne_u32_e32 vcc_lo, 0x7f800000, v85
                                        ; implicit-def: $vgpr85
	s_and_saveexec_b32 s2, vcc_lo
	s_xor_b32 s2, exec_lo, s2
; %bb.21:
	v_bfe_u32 v85, v86, 16, 1
	s_delay_alu instid0(VALU_DEP_1)
	v_add3_u32 v85, v86, v85, 0x7fff
                                        ; implicit-def: $vgpr86
; %bb.22:
	s_and_not1_saveexec_b32 s2, s2
; %bb.23:
	v_and_b32_e32 v85, 0xffff, v86
	v_or_b32_e32 v90, 0x10000, v86
	s_delay_alu instid0(VALU_DEP_2) | instskip(NEXT) | instid1(VALU_DEP_2)
	v_cmp_eq_u32_e32 vcc_lo, 0, v85
	v_cndmask_b32_e32 v85, v90, v86, vcc_lo
; %bb.24:
	s_or_b32 exec_lo, exec_lo, s2
	v_and_b32_e32 v86, 0x7f800000, v89
	s_delay_alu instid0(VALU_DEP_1) | instskip(SKIP_1) | instid1(SALU_CYCLE_1)
	v_cmp_ne_u32_e32 vcc_lo, 0x7f800000, v86
                                        ; implicit-def: $vgpr86
	s_and_saveexec_b32 s2, vcc_lo
	s_xor_b32 s2, exec_lo, s2
; %bb.25:
	v_bfe_u32 v86, v89, 16, 1
	s_delay_alu instid0(VALU_DEP_1)
	v_add3_u32 v86, v89, v86, 0x7fff
                                        ; implicit-def: $vgpr89
; %bb.26:
	s_and_not1_saveexec_b32 s2, s2
; %bb.27:
	v_and_b32_e32 v86, 0xffff, v89
	v_or_b32_e32 v90, 0x10000, v89
	s_delay_alu instid0(VALU_DEP_2) | instskip(NEXT) | instid1(VALU_DEP_2)
	v_cmp_eq_u32_e32 vcc_lo, 0, v86
	v_cndmask_b32_e32 v86, v90, v89, vcc_lo
; %bb.28:
	s_or_b32 exec_lo, exec_lo, s2
	v_and_b32_e32 v89, 0x7f800000, v88
	s_delay_alu instid0(VALU_DEP_1) | instskip(SKIP_1) | instid1(SALU_CYCLE_1)
	v_cmp_ne_u32_e32 vcc_lo, 0x7f800000, v89
                                        ; implicit-def: $vgpr89
	s_and_saveexec_b32 s2, vcc_lo
	s_xor_b32 s2, exec_lo, s2
; %bb.29:
	v_bfe_u32 v89, v88, 16, 1
	s_delay_alu instid0(VALU_DEP_1)
	v_add3_u32 v89, v88, v89, 0x7fff
                                        ; implicit-def: $vgpr88
; %bb.30:
	s_and_not1_saveexec_b32 s2, s2
; %bb.31:
	v_and_b32_e32 v89, 0xffff, v88
	v_or_b32_e32 v90, 0x10000, v88
	s_delay_alu instid0(VALU_DEP_2) | instskip(NEXT) | instid1(VALU_DEP_2)
	v_cmp_eq_u32_e32 vcc_lo, 0, v89
	v_cndmask_b32_e32 v89, v90, v88, vcc_lo
; %bb.32:
	s_or_b32 exec_lo, exec_lo, s2
	v_and_b32_e32 v88, 0x7f800000, v87
	s_delay_alu instid0(VALU_DEP_1) | instskip(SKIP_1) | instid1(SALU_CYCLE_1)
	v_cmp_ne_u32_e32 vcc_lo, 0x7f800000, v88
                                        ; implicit-def: $vgpr88
	s_and_saveexec_b32 s2, vcc_lo
	s_xor_b32 s2, exec_lo, s2
; %bb.33:
	v_bfe_u32 v88, v87, 16, 1
	s_delay_alu instid0(VALU_DEP_1)
	v_add3_u32 v88, v87, v88, 0x7fff
                                        ; implicit-def: $vgpr87
; %bb.34:
	s_and_not1_saveexec_b32 s2, s2
; %bb.35:
	v_and_b32_e32 v88, 0xffff, v87
	v_or_b32_e32 v90, 0x10000, v87
	s_delay_alu instid0(VALU_DEP_2) | instskip(NEXT) | instid1(VALU_DEP_2)
	v_cmp_eq_u32_e32 vcc_lo, 0, v88
	v_cndmask_b32_e32 v88, v90, v87, vcc_lo
; %bb.36:
	s_or_b32 exec_lo, exec_lo, s2
	v_and_b32_e32 v87, 0x7f800000, v84
	s_delay_alu instid0(VALU_DEP_1) | instskip(SKIP_1) | instid1(SALU_CYCLE_1)
	v_cmp_ne_u32_e32 vcc_lo, 0x7f800000, v87
                                        ; implicit-def: $vgpr87
	s_and_saveexec_b32 s2, vcc_lo
	s_xor_b32 s2, exec_lo, s2
; %bb.37:
	v_bfe_u32 v87, v84, 16, 1
	s_delay_alu instid0(VALU_DEP_1)
	v_add3_u32 v87, v84, v87, 0x7fff
                                        ; implicit-def: $vgpr84
; %bb.38:
	s_and_not1_saveexec_b32 s2, s2
; %bb.39:
	v_and_b32_e32 v87, 0xffff, v84
	v_or_b32_e32 v90, 0x10000, v84
	s_delay_alu instid0(VALU_DEP_2) | instskip(NEXT) | instid1(VALU_DEP_2)
	v_cmp_eq_u32_e32 vcc_lo, 0, v87
	v_cndmask_b32_e32 v87, v90, v84, vcc_lo
; %bb.40:
	s_or_b32 exec_lo, exec_lo, s2
	v_and_b32_e32 v84, 0x7f800000, v80
	s_delay_alu instid0(VALU_DEP_1) | instskip(SKIP_1) | instid1(SALU_CYCLE_1)
	v_cmp_ne_u32_e32 vcc_lo, 0x7f800000, v84
                                        ; implicit-def: $vgpr84
	s_and_saveexec_b32 s2, vcc_lo
	s_xor_b32 s2, exec_lo, s2
; %bb.41:
	v_bfe_u32 v84, v80, 16, 1
	s_delay_alu instid0(VALU_DEP_1)
	v_add3_u32 v84, v80, v84, 0x7fff
                                        ; implicit-def: $vgpr80
; %bb.42:
	s_and_not1_saveexec_b32 s2, s2
; %bb.43:
	v_and_b32_e32 v84, 0xffff, v80
	v_or_b32_e32 v90, 0x10000, v80
	s_delay_alu instid0(VALU_DEP_2) | instskip(NEXT) | instid1(VALU_DEP_2)
	v_cmp_eq_u32_e32 vcc_lo, 0, v84
	v_cndmask_b32_e32 v84, v90, v80, vcc_lo
; %bb.44:
	s_or_b32 exec_lo, exec_lo, s2
	s_load_b64 s[34:35], s[0:1], 0x94
	v_lshlrev_b32_e32 v91, 4, v74
	s_delay_alu instid0(VALU_DEP_2)
	v_perm_b32 v90, v84, v87, 0x7060302
	v_dual_mul_f32 v79, v82, v79 :: v_dual_lshlrev_b32 v80, 6, v65
	v_dual_mul_f32 v77, v82, v77 :: v_dual_lshlrev_b32 v92, 11, v66
	v_mul_f32_e32 v84, v82, v70
	v_perm_b32 v89, v88, v89, 0x7060302
	v_perm_b32 v88, v86, v85, 0x7060302
	;; [unrolled: 1-line block ×3, first 2 shown]
	v_mul_f32_e32 v70, v82, v81
	v_or3_b32 v76, v91, v92, v80
	v_dual_mul_f32 v78, v82, v78 :: v_dual_and_b32 v85, 0x7f800000, v84
	v_mul_f32_e32 v83, v82, v72
	v_mul_f32_e32 v81, v82, v71
	v_mul_f32_e32 v72, v82, v69
	s_mov_b32 s2, exec_lo
	ds_store_b128 v76, v[87:90]
                                        ; implicit-def: $vgpr69
	v_cmpx_ne_u32_e32 0x7f800000, v85
	s_xor_b32 s2, exec_lo, s2
; %bb.45:
	v_bfe_u32 v69, v84, 16, 1
	s_delay_alu instid0(VALU_DEP_1)
	v_add3_u32 v69, v84, v69, 0x7fff
                                        ; implicit-def: $vgpr84
; %bb.46:
	s_and_not1_saveexec_b32 s2, s2
; %bb.47:
	v_and_b32_e32 v69, 0xffff, v84
	v_or_b32_e32 v71, 0x10000, v84
	s_delay_alu instid0(VALU_DEP_2) | instskip(NEXT) | instid1(VALU_DEP_2)
	v_cmp_eq_u32_e32 vcc_lo, 0, v69
	v_cndmask_b32_e32 v69, v71, v84, vcc_lo
; %bb.48:
	s_or_b32 exec_lo, exec_lo, s2
	v_and_b32_e32 v71, 0x7f800000, v72
	s_delay_alu instid0(VALU_DEP_1) | instskip(SKIP_1) | instid1(SALU_CYCLE_1)
	v_cmp_ne_u32_e32 vcc_lo, 0x7f800000, v71
                                        ; implicit-def: $vgpr71
	s_and_saveexec_b32 s2, vcc_lo
	s_xor_b32 s2, exec_lo, s2
; %bb.49:
	v_bfe_u32 v71, v72, 16, 1
	s_delay_alu instid0(VALU_DEP_1)
	v_add3_u32 v71, v72, v71, 0x7fff
                                        ; implicit-def: $vgpr72
; %bb.50:
	s_and_not1_saveexec_b32 s2, s2
; %bb.51:
	v_and_b32_e32 v71, 0xffff, v72
	v_or_b32_e32 v82, 0x10000, v72
	s_delay_alu instid0(VALU_DEP_2) | instskip(NEXT) | instid1(VALU_DEP_2)
	v_cmp_eq_u32_e32 vcc_lo, 0, v71
	v_cndmask_b32_e32 v71, v82, v72, vcc_lo
; %bb.52:
	s_or_b32 exec_lo, exec_lo, s2
	v_and_b32_e32 v72, 0x7f800000, v81
	s_delay_alu instid0(VALU_DEP_1) | instskip(SKIP_1) | instid1(SALU_CYCLE_1)
	v_cmp_ne_u32_e32 vcc_lo, 0x7f800000, v72
                                        ; implicit-def: $vgpr72
	s_and_saveexec_b32 s2, vcc_lo
	s_xor_b32 s2, exec_lo, s2
; %bb.53:
	v_bfe_u32 v72, v81, 16, 1
	s_delay_alu instid0(VALU_DEP_1)
	v_add3_u32 v72, v81, v72, 0x7fff
                                        ; implicit-def: $vgpr81
; %bb.54:
	s_and_not1_saveexec_b32 s2, s2
; %bb.55:
	v_and_b32_e32 v72, 0xffff, v81
	v_or_b32_e32 v82, 0x10000, v81
	s_delay_alu instid0(VALU_DEP_2) | instskip(NEXT) | instid1(VALU_DEP_2)
	v_cmp_eq_u32_e32 vcc_lo, 0, v72
	v_cndmask_b32_e32 v72, v82, v81, vcc_lo
; %bb.56:
	s_or_b32 exec_lo, exec_lo, s2
	v_and_b32_e32 v81, 0x7f800000, v83
	s_delay_alu instid0(VALU_DEP_1) | instskip(SKIP_1) | instid1(SALU_CYCLE_1)
	v_cmp_ne_u32_e32 vcc_lo, 0x7f800000, v81
                                        ; implicit-def: $vgpr81
	s_and_saveexec_b32 s2, vcc_lo
	s_xor_b32 s2, exec_lo, s2
; %bb.57:
	v_bfe_u32 v81, v83, 16, 1
	s_delay_alu instid0(VALU_DEP_1)
	v_add3_u32 v81, v83, v81, 0x7fff
                                        ; implicit-def: $vgpr83
; %bb.58:
	s_and_not1_saveexec_b32 s2, s2
; %bb.59:
	v_and_b32_e32 v81, 0xffff, v83
	v_or_b32_e32 v82, 0x10000, v83
	s_delay_alu instid0(VALU_DEP_2) | instskip(NEXT) | instid1(VALU_DEP_2)
	v_cmp_eq_u32_e32 vcc_lo, 0, v81
	v_cndmask_b32_e32 v81, v82, v83, vcc_lo
; %bb.60:
	s_or_b32 exec_lo, exec_lo, s2
	v_and_b32_e32 v82, 0x7f800000, v77
	s_delay_alu instid0(VALU_DEP_1) | instskip(SKIP_1) | instid1(SALU_CYCLE_1)
	v_cmp_ne_u32_e32 vcc_lo, 0x7f800000, v82
                                        ; implicit-def: $vgpr82
	s_and_saveexec_b32 s2, vcc_lo
	s_xor_b32 s2, exec_lo, s2
; %bb.61:
	v_bfe_u32 v82, v77, 16, 1
	s_delay_alu instid0(VALU_DEP_1)
	v_add3_u32 v82, v77, v82, 0x7fff
                                        ; implicit-def: $vgpr77
; %bb.62:
	s_and_not1_saveexec_b32 s2, s2
; %bb.63:
	v_and_b32_e32 v82, 0xffff, v77
	v_or_b32_e32 v83, 0x10000, v77
	s_delay_alu instid0(VALU_DEP_2) | instskip(NEXT) | instid1(VALU_DEP_2)
	v_cmp_eq_u32_e32 vcc_lo, 0, v82
	v_cndmask_b32_e32 v82, v83, v77, vcc_lo
; %bb.64:
	s_or_b32 exec_lo, exec_lo, s2
	v_and_b32_e32 v77, 0x7f800000, v78
	s_delay_alu instid0(VALU_DEP_1) | instskip(SKIP_1) | instid1(SALU_CYCLE_1)
	v_cmp_ne_u32_e32 vcc_lo, 0x7f800000, v77
                                        ; implicit-def: $vgpr77
	s_and_saveexec_b32 s2, vcc_lo
	s_xor_b32 s2, exec_lo, s2
; %bb.65:
	v_bfe_u32 v77, v78, 16, 1
	s_delay_alu instid0(VALU_DEP_1)
	v_add3_u32 v77, v78, v77, 0x7fff
                                        ; implicit-def: $vgpr78
; %bb.66:
	s_and_not1_saveexec_b32 s2, s2
; %bb.67:
	v_and_b32_e32 v77, 0xffff, v78
	v_or_b32_e32 v83, 0x10000, v78
	s_delay_alu instid0(VALU_DEP_2) | instskip(NEXT) | instid1(VALU_DEP_2)
	v_cmp_eq_u32_e32 vcc_lo, 0, v77
	v_cndmask_b32_e32 v77, v83, v78, vcc_lo
; %bb.68:
	s_or_b32 exec_lo, exec_lo, s2
	v_and_b32_e32 v78, 0x7f800000, v79
	s_delay_alu instid0(VALU_DEP_1) | instskip(SKIP_1) | instid1(SALU_CYCLE_1)
	v_cmp_ne_u32_e32 vcc_lo, 0x7f800000, v78
                                        ; implicit-def: $vgpr78
	s_and_saveexec_b32 s2, vcc_lo
	s_xor_b32 s2, exec_lo, s2
; %bb.69:
	v_bfe_u32 v78, v79, 16, 1
	s_delay_alu instid0(VALU_DEP_1)
	v_add3_u32 v78, v79, v78, 0x7fff
                                        ; implicit-def: $vgpr79
; %bb.70:
	s_and_not1_saveexec_b32 s2, s2
; %bb.71:
	v_and_b32_e32 v78, 0xffff, v79
	v_or_b32_e32 v83, 0x10000, v79
	s_delay_alu instid0(VALU_DEP_2) | instskip(NEXT) | instid1(VALU_DEP_2)
	v_cmp_eq_u32_e32 vcc_lo, 0, v78
	v_cndmask_b32_e32 v78, v83, v79, vcc_lo
; %bb.72:
	s_or_b32 exec_lo, exec_lo, s2
	v_and_b32_e32 v79, 0x7f800000, v70
	s_delay_alu instid0(VALU_DEP_1) | instskip(SKIP_1) | instid1(SALU_CYCLE_1)
	v_cmp_ne_u32_e32 vcc_lo, 0x7f800000, v79
                                        ; implicit-def: $vgpr79
	s_and_saveexec_b32 s2, vcc_lo
	s_xor_b32 s2, exec_lo, s2
; %bb.73:
	v_bfe_u32 v79, v70, 16, 1
	s_delay_alu instid0(VALU_DEP_1)
	v_add3_u32 v79, v70, v79, 0x7fff
                                        ; implicit-def: $vgpr70
; %bb.74:
	s_and_not1_saveexec_b32 s2, s2
; %bb.75:
	v_and_b32_e32 v79, 0xffff, v70
	v_or_b32_e32 v83, 0x10000, v70
	s_delay_alu instid0(VALU_DEP_2) | instskip(NEXT) | instid1(VALU_DEP_2)
	v_cmp_eq_u32_e32 vcc_lo, 0, v79
	v_cndmask_b32_e32 v79, v83, v70, vcc_lo
; %bb.76:
	s_or_b32 exec_lo, exec_lo, s2
	s_delay_alu instid0(VALU_DEP_1)
	v_perm_b32 v86, v79, v78, 0x7060302
	v_perm_b32 v85, v77, v82, 0x7060302
	;; [unrolled: 1-line block ×4, first 2 shown]
	v_lshl_or_b32 v82, v66, 11, v80
	ds_store_b128 v76, v[83:86] offset:1024
	s_waitcnt lgkmcnt(0)
	s_barrier
	buffer_gl0_inv
	ds_load_b128 v[69:72], v82
	ds_load_b128 v[83:86], v82 offset:16
	s_waitcnt lgkmcnt(1)
	v_lshrrev_b32_e32 v66, 16, v69
	s_waitcnt lgkmcnt(0)
	v_lshrrev_b32_e32 v91, 16, v83
	v_lshlrev_b32_e32 v78, 2, v74
	v_lshrrev_b32_e32 v95, 16, v70
	v_lshrrev_b32_e32 v98, 16, v84
	v_lshrrev_b32_e32 v96, 16, v71
	v_lshrrev_b32_e32 v99, 16, v85
	v_cmp_eq_u32_e32 vcc_lo, 1, v78
	v_lshrrev_b32_e32 v97, 16, v72
	v_lshrrev_b32_e32 v100, 16, v86
	v_cndmask_b32_e32 v87, v83, v91, vcc_lo
	v_or_b32_e32 v79, 1, v78
	v_cndmask_b32_e32 v81, v69, v66, vcc_lo
	v_cmp_eq_u32_e64 s3, 2, v78
	v_cmp_eq_u32_e64 s6, 3, v78
	;; [unrolled: 1-line block ×5, first 2 shown]
	v_cndmask_b32_e64 v81, v81, v70, s3
	v_cndmask_b32_e64 v87, v87, v84, s3
	v_cmp_eq_u32_e64 s7, 3, v79
	v_cndmask_b32_e64 v88, v69, v66, s2
	v_or_b32_e32 v77, 2, v78
	v_cndmask_b32_e64 v81, v81, v95, s6
	v_cndmask_b32_e64 v87, v87, v98, s6
	;; [unrolled: 1-line block ×4, first 2 shown]
	v_cmp_eq_u32_e64 s9, 5, v78
	v_cndmask_b32_e64 v81, v81, v71, s8
	v_cndmask_b32_e64 v87, v87, v85, s8
	v_cmp_eq_u32_e64 s10, 4, v79
	v_cndmask_b32_e64 v88, v88, v95, s7
	v_cmp_eq_u32_e64 s4, 1, v77
	v_cndmask_b32_e64 v89, v89, v84, s5
	v_cndmask_b32_e64 v81, v81, v96, s9
	v_cmp_eq_u32_e64 s11, 6, v78
	v_cndmask_b32_e64 v88, v88, v71, s10
	;; [unrolled: 3-line block ×3, first 2 shown]
	v_cndmask_b32_e64 v89, v89, v98, s7
	v_cndmask_b32_e64 v81, v81, v72, s11
	v_cmp_eq_u32_e64 s13, 7, v78
	v_cndmask_b32_e64 v88, v88, v96, s12
	v_cndmask_b32_e64 v87, v87, v86, s11
	v_cmp_eq_u32_e64 s15, 6, v79
	v_cmp_eq_u32_e64 s16, 2, v77
	v_cndmask_b32_e64 v89, v89, v85, s10
	v_cndmask_b32_e64 v101, v81, v97, s13
	;; [unrolled: 1-line block ×6, first 2 shown]
	v_cmp_eq_u32_e64 s17, 7, v79
	v_cmp_eq_u32_e64 s18, 3, v77
	;; [unrolled: 1-line block ×4, first 2 shown]
	v_cndmask_b32_e64 v87, v87, v84, s16
	v_cndmask_b32_e64 v103, v88, v97, s17
	;; [unrolled: 1-line block ×4, first 2 shown]
	v_or_b32_e32 v81, 3, v78
	v_cndmask_b32_e64 v93, v87, v98, s18
	v_cmp_eq_u32_e64 s23, 6, v77
	v_cndmask_b32_e64 v104, v88, v86, s15
	v_cndmask_b32_e64 v92, v89, v71, s19
	v_cmp_eq_u32_e64 s20, 1, v81
	ds_load_b128 v[87:90], v82 offset:1024
	v_cmp_eq_u32_e64 s22, 2, v81
	v_cmp_eq_u32_e64 s24, 3, v81
	v_cndmask_b32_e64 v105, v92, v96, s21
	v_cndmask_b32_e64 v66, v69, v66, s20
	;; [unrolled: 1-line block ×4, first 2 shown]
	ds_load_b128 v[91:94], v82 offset:1040
	v_cmp_eq_u32_e64 s25, 4, v81
	v_cndmask_b32_e64 v66, v66, v70, s22
	v_cmp_eq_u32_e64 s26, 7, v77
	v_cndmask_b32_e64 v70, v83, v84, s22
	v_cndmask_b32_e64 v84, v105, v72, s23
	v_cmp_eq_u32_e64 s27, 5, v81
	v_cndmask_b32_e64 v66, v66, v95, s24
	v_cmp_eq_u32_e64 s28, 6, v81
	v_cndmask_b32_e64 v70, v70, v98, s24
	v_cndmask_b32_e64 v69, v69, v99, s21
	;; [unrolled: 1-line block ×4, first 2 shown]
	s_waitcnt lgkmcnt(1)
	v_lshrrev_b32_e32 v95, 16, v87
	v_cndmask_b32_e64 v70, v70, v85, s25
	v_cndmask_b32_e64 v71, v84, v97, s26
	;; [unrolled: 1-line block ×4, first 2 shown]
	v_cndmask_b32_e32 v84, v87, v95, vcc_lo
	v_cndmask_b32_e64 v70, v70, v99, s27
	s_waitcnt lgkmcnt(0)
	v_lshrrev_b32_e32 v85, 16, v91
	v_lshrrev_b32_e32 v96, 16, v88
	v_cndmask_b32_e64 v98, v87, v95, s2
	v_cndmask_b32_e64 v84, v84, v88, s3
	;; [unrolled: 1-line block ×3, first 2 shown]
	v_cndmask_b32_e32 v99, v91, v85, vcc_lo
	v_cmp_eq_u32_e32 vcc_lo, 7, v81
	v_cndmask_b32_e64 v66, v66, v72, s28
	v_cndmask_b32_e64 v72, v84, v96, s6
	;; [unrolled: 1-line block ×3, first 2 shown]
	v_lshrrev_b32_e32 v98, 16, v92
	v_cndmask_b32_e32 v70, v70, v100, vcc_lo
	v_cndmask_b32_e64 v86, v99, v92, s3
	v_cndmask_b32_e64 v69, v69, v100, s26
	v_lshrrev_b32_e32 v100, 16, v93
	v_cndmask_b32_e64 v72, v72, v89, s8
	v_lshrrev_b32_e32 v99, 16, v89
	v_cndmask_b32_e64 v86, v86, v98, s6
	v_perm_b32 v71, v69, v71, 0x5040100
	v_cndmask_b32_e64 v84, v84, v96, s7
	s_delay_alu instid0(VALU_DEP_3) | instskip(NEXT) | instid1(VALU_DEP_2)
	v_cndmask_b32_e64 v86, v86, v93, s8
	v_cndmask_b32_e64 v84, v84, v89, s10
	s_delay_alu instid0(VALU_DEP_2) | instskip(NEXT) | instid1(VALU_DEP_1)
	v_cndmask_b32_e64 v86, v86, v100, s9
	v_cndmask_b32_e64 v69, v86, v94, s11
	;; [unrolled: 1-line block ×5, first 2 shown]
	s_delay_alu instid0(VALU_DEP_3) | instskip(NEXT) | instid1(VALU_DEP_3)
	v_cndmask_b32_e64 v86, v86, v88, s16
	v_cndmask_b32_e64 v87, v87, v88, s22
	s_delay_alu instid0(VALU_DEP_3) | instskip(NEXT) | instid1(VALU_DEP_3)
	v_cndmask_b32_e64 v88, v95, v92, s22
	v_cndmask_b32_e64 v86, v86, v96, s18
	s_delay_alu instid0(VALU_DEP_3) | instskip(NEXT) | instid1(VALU_DEP_3)
	v_cndmask_b32_e64 v87, v87, v96, s24
	v_cndmask_b32_e64 v88, v88, v98, s24
	s_delay_alu instid0(VALU_DEP_3) | instskip(NEXT) | instid1(VALU_DEP_3)
	v_cndmask_b32_e64 v86, v86, v89, s19
	v_cndmask_b32_e64 v87, v87, v89, s25
	s_delay_alu instid0(VALU_DEP_3) | instskip(NEXT) | instid1(VALU_DEP_3)
	v_cndmask_b32_e64 v88, v88, v93, s25
	v_cndmask_b32_e64 v86, v86, v99, s21
	s_delay_alu instid0(VALU_DEP_3) | instskip(NEXT) | instid1(VALU_DEP_3)
	v_cndmask_b32_e64 v87, v87, v99, s27
	v_cndmask_b32_e64 v88, v88, v100, s27
	s_delay_alu instid0(VALU_DEP_3) | instskip(NEXT) | instid1(VALU_DEP_3)
	v_cndmask_b32_e64 v86, v86, v90, s23
	v_cndmask_b32_e64 v87, v87, v90, s28
	s_delay_alu instid0(VALU_DEP_3) | instskip(SKIP_2) | instid1(VALU_DEP_2)
	v_cndmask_b32_e64 v88, v88, v94, s28
	v_cndmask_b32_e32 v66, v66, v97, vcc_lo
	v_cndmask_b32_e64 v97, v72, v99, s9
	v_perm_b32 v72, v70, v66, 0x5040100
	v_perm_b32 v70, v83, v103, 0x5040100
	v_cndmask_b32_e64 v103, v91, v85, s4
	v_cndmask_b32_e64 v85, v91, v85, s2
	;; [unrolled: 1-line block ×4, first 2 shown]
	v_lshrrev_b32_e32 v97, 16, v90
	v_cndmask_b32_e64 v91, v103, v92, s16
	v_cndmask_b32_e64 v85, v85, v92, s5
	;; [unrolled: 1-line block ×3, first 2 shown]
	s_mov_b32 s2, exec_lo
	v_cndmask_b32_e64 v83, v84, v97, s13
	v_cndmask_b32_e64 v91, v91, v98, s18
	;; [unrolled: 1-line block ×3, first 2 shown]
	v_lshrrev_b32_e32 v84, 16, v94
	v_cndmask_b32_e64 v66, v66, v97, s17
	v_cndmask_b32_e64 v90, v86, v97, s26
	;; [unrolled: 1-line block ×4, first 2 shown]
	v_dual_cndmask_b32 v86, v87, v97 :: v_dual_cndmask_b32 v87, v88, v84
	v_cndmask_b32_e64 v91, v69, v84, s13
	s_delay_alu instid0(VALU_DEP_4) | instskip(NEXT) | instid1(VALU_DEP_4)
	v_cndmask_b32_e64 v89, v89, v100, s21
	v_cndmask_b32_e64 v85, v85, v100, s12
	v_perm_b32 v69, v102, v101, 0x5040100
	v_perm_b32 v86, v87, v86, 0x5040100
	;; [unrolled: 1-line block ×3, first 2 shown]
	v_cndmask_b32_e64 v89, v89, v94, s23
	v_cndmask_b32_e64 v85, v85, v94, s15
	s_mul_i32 s7, s35, 10
	s_delay_alu instid0(VALU_DEP_2) | instskip(NEXT) | instid1(VALU_DEP_2)
	v_cndmask_b32_e64 v88, v89, v84, s26
	v_cndmask_b32_e64 v89, v85, v84, s17
	s_delay_alu instid0(VALU_DEP_2) | instskip(NEXT) | instid1(VALU_DEP_2)
	v_perm_b32 v85, v88, v90, 0x5040100
	v_perm_b32 v84, v89, v66, 0x5040100
	ds_store_b128 v76, v[69:72]
	ds_store_b128 v76, v[83:86] offset:1024
	v_cmpx_gt_u32_e32 10, v0
	s_cbranch_execz .LBB1655_78
; %bb.77:
	s_mul_i32 s3, s7, s30
	s_load_b128 s[8:11], s[0:1], 0x58
	v_add3_u32 v69, s3, s29, v65
	s_delay_alu instid0(VALU_DEP_1) | instskip(NEXT) | instid1(VALU_DEP_1)
	v_mad_u64_u32 v[65:66], null, v69, s34, s[14:15]
	v_ashrrev_i32_e32 v66, 31, v65
	s_delay_alu instid0(VALU_DEP_1) | instskip(SKIP_1) | instid1(VALU_DEP_1)
	v_lshlrev_b64 v[65:66], 2, v[65:66]
	s_waitcnt lgkmcnt(0)
	v_add_co_u32 v69, vcc_lo, s10, v65
	s_delay_alu instid0(VALU_DEP_2)
	v_add_co_ci_u32_e32 v70, vcc_lo, s11, v66, vcc_lo
	v_add_co_u32 v65, vcc_lo, s8, v65
	v_add_co_ci_u32_e32 v66, vcc_lo, s9, v66, vcc_lo
	global_store_b32 v[69:70], v67, off
	global_store_b32 v[65:66], v68, off
.LBB1655_78:
	s_or_b32 exec_lo, exec_lo, s2
	s_waitcnt lgkmcnt(0)
	s_waitcnt_vscnt null, 0x0
	s_barrier
	buffer_gl0_inv
	ds_load_b128 v[83:86], v80
	ds_load_b128 v[87:90], v80 offset:16
	ds_load_b128 v[95:98], v80 offset:2064
	;; [unrolled: 1-line block ×3, first 2 shown]
	v_mov_b32_e32 v65, 0
	ds_load_b128 v[103:106], v80 offset:4112
	ds_load_b128 v[99:102], v80 offset:4096
	;; [unrolled: 1-line block ×4, first 2 shown]
	v_mov_b32_e32 v66, v65
	v_mov_b32_e32 v67, v65
	;; [unrolled: 1-line block ×7, first 2 shown]
	s_waitcnt lgkmcnt(6)
	s_delay_alu instid0(VALU_DEP_1)
	v_wmma_f32_16x16x16_bf16 v[65:72], v[49:56], v[83:90], v[65:72]
	ds_load_b128 v[53:56], v80 offset:8208
	ds_load_b128 v[49:52], v80 offset:8192
	s_waitcnt lgkmcnt(6)
	v_wmma_f32_16x16x16_bf16 v[65:72], v[41:48], v[91:98], v[65:72]
	ds_load_b128 v[45:48], v80 offset:10256
	ds_load_b128 v[41:44], v80 offset:10240
	s_waitcnt lgkmcnt(6)
	v_wmma_f32_16x16x16_bf16 v[65:72], v[33:40], v[99:106], v[65:72]
	ds_load_b128 v[37:40], v80 offset:12304
	ds_load_b128 v[33:36], v80 offset:12288
	s_waitcnt lgkmcnt(6)
	v_wmma_f32_16x16x16_bf16 v[65:72], v[25:32], v[107:114], v[65:72]
	ds_load_b128 v[29:32], v80 offset:14352
	ds_load_b128 v[25:28], v80 offset:14336
	s_waitcnt lgkmcnt(6)
	v_wmma_f32_16x16x16_bf16 v[65:72], v[1:8], v[49:56], v[65:72]
	s_waitcnt lgkmcnt(4)
	s_delay_alu instid0(VALU_DEP_1) | instskip(SKIP_1) | instid1(VALU_DEP_1)
	v_wmma_f32_16x16x16_bf16 v[65:72], v[9:16], v[41:48], v[65:72]
	s_waitcnt lgkmcnt(2)
	v_wmma_f32_16x16x16_bf16 v[65:72], v[17:24], v[33:40], v[65:72]
	s_waitcnt lgkmcnt(0)
	s_delay_alu instid0(VALU_DEP_1) | instskip(NEXT) | instid1(VALU_DEP_1)
	v_wmma_f32_16x16x16_bf16 v[65:72], v[57:64], v[25:32], v[65:72]
	v_and_b32_e32 v1, 0x7f800000, v65
	s_delay_alu instid0(VALU_DEP_1) | instskip(SKIP_1) | instid1(SALU_CYCLE_1)
	v_cmp_ne_u32_e32 vcc_lo, 0x7f800000, v1
                                        ; implicit-def: $vgpr1
	s_and_saveexec_b32 s2, vcc_lo
	s_xor_b32 s2, exec_lo, s2
; %bb.79:
	v_bfe_u32 v1, v65, 16, 1
	s_delay_alu instid0(VALU_DEP_1)
	v_add3_u32 v1, v65, v1, 0x7fff
; %bb.80:
	s_and_not1_saveexec_b32 s2, s2
; %bb.81:
	v_and_b32_e32 v1, 0xffff, v65
	v_or_b32_e32 v2, 0x10000, v65
	s_delay_alu instid0(VALU_DEP_2) | instskip(NEXT) | instid1(VALU_DEP_2)
	v_cmp_eq_u32_e32 vcc_lo, 0, v1
	v_cndmask_b32_e32 v1, v2, v65, vcc_lo
; %bb.82:
	s_or_b32 exec_lo, exec_lo, s2
	v_and_b32_e32 v2, 0x7f800000, v66
	s_delay_alu instid0(VALU_DEP_1) | instskip(SKIP_1) | instid1(SALU_CYCLE_1)
	v_cmp_ne_u32_e32 vcc_lo, 0x7f800000, v2
                                        ; implicit-def: $vgpr2
	s_and_saveexec_b32 s2, vcc_lo
	s_xor_b32 s2, exec_lo, s2
; %bb.83:
	v_bfe_u32 v2, v66, 16, 1
	s_delay_alu instid0(VALU_DEP_1)
	v_add3_u32 v2, v66, v2, 0x7fff
; %bb.84:
	s_and_not1_saveexec_b32 s2, s2
; %bb.85:
	v_and_b32_e32 v2, 0xffff, v66
	v_or_b32_e32 v3, 0x10000, v66
	s_delay_alu instid0(VALU_DEP_2) | instskip(NEXT) | instid1(VALU_DEP_2)
	v_cmp_eq_u32_e32 vcc_lo, 0, v2
	v_cndmask_b32_e32 v2, v3, v66, vcc_lo
; %bb.86:
	s_or_b32 exec_lo, exec_lo, s2
	v_and_b32_e32 v3, 0x7f800000, v67
	s_delay_alu instid0(VALU_DEP_1) | instskip(SKIP_1) | instid1(SALU_CYCLE_1)
	v_cmp_ne_u32_e32 vcc_lo, 0x7f800000, v3
                                        ; implicit-def: $vgpr3
	s_and_saveexec_b32 s2, vcc_lo
	s_xor_b32 s2, exec_lo, s2
; %bb.87:
	v_bfe_u32 v3, v67, 16, 1
	s_delay_alu instid0(VALU_DEP_1)
	v_add3_u32 v3, v67, v3, 0x7fff
; %bb.88:
	s_and_not1_saveexec_b32 s2, s2
; %bb.89:
	v_and_b32_e32 v3, 0xffff, v67
	v_or_b32_e32 v4, 0x10000, v67
	s_delay_alu instid0(VALU_DEP_2) | instskip(NEXT) | instid1(VALU_DEP_2)
	v_cmp_eq_u32_e32 vcc_lo, 0, v3
	v_cndmask_b32_e32 v3, v4, v67, vcc_lo
; %bb.90:
	s_or_b32 exec_lo, exec_lo, s2
	v_and_b32_e32 v4, 0x7f800000, v68
	s_delay_alu instid0(VALU_DEP_1) | instskip(SKIP_1) | instid1(SALU_CYCLE_1)
	v_cmp_ne_u32_e32 vcc_lo, 0x7f800000, v4
                                        ; implicit-def: $vgpr4
	s_and_saveexec_b32 s2, vcc_lo
	s_xor_b32 s2, exec_lo, s2
; %bb.91:
	v_bfe_u32 v4, v68, 16, 1
	s_delay_alu instid0(VALU_DEP_1)
	v_add3_u32 v4, v68, v4, 0x7fff
; %bb.92:
	s_and_not1_saveexec_b32 s2, s2
; %bb.93:
	v_and_b32_e32 v4, 0xffff, v68
	v_or_b32_e32 v5, 0x10000, v68
	s_delay_alu instid0(VALU_DEP_2) | instskip(NEXT) | instid1(VALU_DEP_2)
	v_cmp_eq_u32_e32 vcc_lo, 0, v4
	v_cndmask_b32_e32 v4, v5, v68, vcc_lo
; %bb.94:
	s_or_b32 exec_lo, exec_lo, s2
	v_and_b32_e32 v5, 0x7f800000, v69
	s_delay_alu instid0(VALU_DEP_1) | instskip(SKIP_1) | instid1(SALU_CYCLE_1)
	v_cmp_ne_u32_e32 vcc_lo, 0x7f800000, v5
                                        ; implicit-def: $vgpr5
	s_and_saveexec_b32 s2, vcc_lo
	s_xor_b32 s2, exec_lo, s2
; %bb.95:
	v_bfe_u32 v5, v69, 16, 1
	s_delay_alu instid0(VALU_DEP_1)
	v_add3_u32 v5, v69, v5, 0x7fff
; %bb.96:
	s_and_not1_saveexec_b32 s2, s2
; %bb.97:
	v_and_b32_e32 v5, 0xffff, v69
	v_or_b32_e32 v6, 0x10000, v69
	s_delay_alu instid0(VALU_DEP_2) | instskip(NEXT) | instid1(VALU_DEP_2)
	v_cmp_eq_u32_e32 vcc_lo, 0, v5
	v_cndmask_b32_e32 v5, v6, v69, vcc_lo
; %bb.98:
	s_or_b32 exec_lo, exec_lo, s2
	v_and_b32_e32 v6, 0x7f800000, v70
	s_delay_alu instid0(VALU_DEP_1) | instskip(SKIP_1) | instid1(SALU_CYCLE_1)
	v_cmp_ne_u32_e32 vcc_lo, 0x7f800000, v6
                                        ; implicit-def: $vgpr6
	s_and_saveexec_b32 s2, vcc_lo
	s_xor_b32 s2, exec_lo, s2
; %bb.99:
	v_bfe_u32 v6, v70, 16, 1
	s_delay_alu instid0(VALU_DEP_1)
	v_add3_u32 v6, v70, v6, 0x7fff
; %bb.100:
	s_and_not1_saveexec_b32 s2, s2
; %bb.101:
	v_and_b32_e32 v6, 0xffff, v70
	v_or_b32_e32 v7, 0x10000, v70
	s_delay_alu instid0(VALU_DEP_2) | instskip(NEXT) | instid1(VALU_DEP_2)
	v_cmp_eq_u32_e32 vcc_lo, 0, v6
	v_cndmask_b32_e32 v6, v7, v70, vcc_lo
; %bb.102:
	s_or_b32 exec_lo, exec_lo, s2
	v_and_b32_e32 v7, 0x7f800000, v71
	s_delay_alu instid0(VALU_DEP_1) | instskip(SKIP_1) | instid1(SALU_CYCLE_1)
	v_cmp_ne_u32_e32 vcc_lo, 0x7f800000, v7
                                        ; implicit-def: $vgpr7
	s_and_saveexec_b32 s2, vcc_lo
	s_xor_b32 s2, exec_lo, s2
; %bb.103:
	v_bfe_u32 v7, v71, 16, 1
	s_delay_alu instid0(VALU_DEP_1)
	v_add3_u32 v7, v71, v7, 0x7fff
; %bb.104:
	s_and_not1_saveexec_b32 s2, s2
; %bb.105:
	v_and_b32_e32 v7, 0xffff, v71
	v_or_b32_e32 v8, 0x10000, v71
	s_delay_alu instid0(VALU_DEP_2) | instskip(NEXT) | instid1(VALU_DEP_2)
	v_cmp_eq_u32_e32 vcc_lo, 0, v7
	v_cndmask_b32_e32 v7, v8, v71, vcc_lo
; %bb.106:
	s_or_b32 exec_lo, exec_lo, s2
	v_and_b32_e32 v8, 0x7f800000, v72
	s_delay_alu instid0(VALU_DEP_1) | instskip(SKIP_1) | instid1(SALU_CYCLE_1)
	v_cmp_ne_u32_e32 vcc_lo, 0x7f800000, v8
                                        ; implicit-def: $vgpr8
	s_and_saveexec_b32 s2, vcc_lo
	s_xor_b32 s2, exec_lo, s2
; %bb.107:
	v_bfe_u32 v8, v72, 16, 1
	s_delay_alu instid0(VALU_DEP_1)
	v_add3_u32 v8, v72, v8, 0x7fff
                                        ; implicit-def: $vgpr65_vgpr66_vgpr67_vgpr68_vgpr69_vgpr70_vgpr71_vgpr72
; %bb.108:
	s_and_not1_saveexec_b32 s2, s2
; %bb.109:
	v_and_b32_e32 v8, 0xffff, v72
	v_or_b32_e32 v9, 0x10000, v72
	s_delay_alu instid0(VALU_DEP_2) | instskip(NEXT) | instid1(VALU_DEP_2)
	v_cmp_eq_u32_e32 vcc_lo, 0, v8
	v_cndmask_b32_e32 v8, v9, v72, vcc_lo
; %bb.110:
	s_or_b32 exec_lo, exec_lo, s2
	s_delay_alu instid0(VALU_DEP_1)
	v_perm_b32 v7, v8, v7, 0x7060302
	v_perm_b32 v6, v6, v5, 0x7060302
	;; [unrolled: 1-line block ×4, first 2 shown]
	s_barrier
	buffer_gl0_inv
	v_cmp_eq_u32_e32 vcc_lo, 1, v78
	ds_store_b128 v76, v[4:7]
	s_waitcnt lgkmcnt(0)
	s_barrier
	buffer_gl0_inv
	ds_load_b128 v[1:4], v82
	ds_load_b128 v[5:8], v82 offset:16
	v_cmp_eq_u32_e64 s2, 1, v79
	v_cmp_eq_u32_e64 s3, 2, v78
	;; [unrolled: 1-line block ×5, first 2 shown]
	s_waitcnt lgkmcnt(1)
	v_lshrrev_b32_e32 v9, 16, v1
	s_waitcnt lgkmcnt(0)
	v_lshrrev_b32_e32 v13, 16, v5
	v_lshrrev_b32_e32 v10, 16, v2
	;; [unrolled: 1-line block ×4, first 2 shown]
	v_cndmask_b32_e64 v19, v1, v9, s2
	v_cndmask_b32_e32 v18, v5, v13, vcc_lo
	v_cndmask_b32_e64 v20, v5, v13, s2
	v_cndmask_b32_e32 v17, v1, v9, vcc_lo
	v_cmp_eq_u32_e32 vcc_lo, 2, v79
	v_lshrrev_b32_e32 v15, 16, v7
	v_cmp_eq_u32_e64 s2, 1, v77
	v_lshrrev_b32_e32 v12, 16, v4
	v_lshrrev_b32_e32 v16, 16, v8
	v_cndmask_b32_e32 v20, v20, v6, vcc_lo
	v_cndmask_b32_e64 v17, v17, v2, s3
	v_cndmask_b32_e32 v19, v19, v2, vcc_lo
	v_cndmask_b32_e64 v18, v18, v6, s3
	v_cmp_eq_u32_e32 vcc_lo, 4, v78
	v_cmp_eq_u32_e64 s3, 3, v79
	v_cndmask_b32_e64 v17, v17, v10, s4
	v_cndmask_b32_e64 v21, v1, v9, s2
	v_cndmask_b32_e64 v18, v18, v14, s4
	v_cndmask_b32_e64 v22, v5, v13, s2
	v_cndmask_b32_e64 v19, v19, v10, s3
	v_cndmask_b32_e32 v17, v17, v3, vcc_lo
	v_cndmask_b32_e64 v20, v20, v14, s3
	v_cndmask_b32_e32 v18, v18, v7, vcc_lo
	v_cmp_eq_u32_e32 vcc_lo, 4, v79
	v_cmp_eq_u32_e64 s3, 5, v79
	v_cmp_eq_u32_e64 s2, 2, v81
	v_cndmask_b32_e64 v21, v21, v2, s6
	v_cmp_eq_u32_e64 s4, 5, v78
	v_cndmask_b32_e32 v19, v19, v3, vcc_lo
	v_cndmask_b32_e32 v20, v20, v7, vcc_lo
	v_cmp_eq_u32_e32 vcc_lo, 6, v79
	s_delay_alu instid0(VALU_DEP_4) | instskip(NEXT) | instid1(VALU_DEP_4)
	v_cndmask_b32_e64 v17, v17, v11, s4
	v_cndmask_b32_e64 v19, v19, v11, s3
	s_delay_alu instid0(VALU_DEP_4) | instskip(SKIP_1) | instid1(VALU_DEP_3)
	v_cndmask_b32_e64 v20, v20, v15, s3
	v_cmp_eq_u32_e64 s3, 1, v81
	v_cndmask_b32_e32 v19, v19, v4, vcc_lo
	v_cndmask_b32_e64 v18, v18, v15, s4
	s_delay_alu instid0(VALU_DEP_3)
	v_cndmask_b32_e64 v1, v1, v9, s3
	v_cndmask_b32_e64 v5, v5, v13, s3
	v_cmp_eq_u32_e64 s3, 3, v77
	v_cndmask_b32_e64 v13, v22, v6, s6
	v_cmp_eq_u32_e64 s6, 3, v81
	v_cndmask_b32_e64 v1, v1, v2, s2
	v_cndmask_b32_e64 v2, v5, v6, s2
	;; [unrolled: 1-line block ×3, first 2 shown]
	v_cmp_eq_u32_e64 s2, 4, v77
	v_cndmask_b32_e64 v6, v13, v14, s3
	v_cndmask_b32_e64 v1, v1, v10, s6
	v_cmp_eq_u32_e64 s3, 4, v81
	v_cndmask_b32_e64 v2, v2, v14, s6
	v_cndmask_b32_e64 v5, v9, v3, s2
	v_cmp_eq_u32_e64 s6, 5, v77
	v_cndmask_b32_e64 v6, v6, v7, s2
	v_cndmask_b32_e64 v1, v1, v3, s3
	v_cndmask_b32_e64 v2, v2, v7, s3
	v_cmp_eq_u32_e64 s2, 5, v81
	v_cmp_eq_u32_e64 s4, 6, v78
	v_cndmask_b32_e64 v5, v5, v11, s6
	v_cmp_eq_u32_e64 s3, 6, v77
	v_cndmask_b32_e64 v3, v6, v15, s6
	v_cndmask_b32_e64 v1, v1, v11, s2
	v_cmp_eq_u32_e64 s6, 6, v81
	v_cndmask_b32_e64 v2, v2, v15, s2
	v_cndmask_b32_e64 v17, v17, v4, s4
	v_cndmask_b32_e64 v18, v18, v8, s4
	v_cmp_eq_u32_e64 s4, 7, v78
	v_cndmask_b32_e64 v5, v5, v4, s3
	;; [unrolled: 4-line block ×3, first 2 shown]
	v_cmp_eq_u32_e64 s3, 7, v77
	v_cndmask_b32_e32 v4, v20, v8, vcc_lo
	v_cndmask_b32_e64 v17, v17, v12, s4
	v_cndmask_b32_e64 v19, v19, v12, s5
	;; [unrolled: 1-line block ×8, first 2 shown]
	s_mov_b32 s2, exec_lo
	v_perm_b32 v4, v2, v1, 0x5040100
	v_perm_b32 v3, v3, v5, 0x5040100
	;; [unrolled: 1-line block ×4, first 2 shown]
	ds_store_b128 v76, v[1:4]
	s_waitcnt lgkmcnt(0)
	s_barrier
	buffer_gl0_inv
	v_cmpx_gt_u32_e32 32, v0
	s_cbranch_execz .LBB1655_2
; %bb.111:
	s_load_b64 s[0:1], s[0:1], 0x68
	s_lshl_b32 s4, s34, 7
	v_or_b32_e32 v2, s29, v74
	s_mul_i32 s2, s4, s30
	v_lshlrev_b32_e32 v0, 10, v0
	s_mul_i32 s2, s2, s7
	v_lshlrev_b32_e32 v1, 4, v75
	s_ashr_i32 s3, s2, 31
	v_mul_lo_u32 v20, v2, s4
	s_lshl_b64 s[2:3], s[2:3], 1
	v_lshlrev_b32_e32 v3, 6, v74
	v_and_b32_e32 v0, 0x3800, v0
	s_delay_alu instid0(VALU_DEP_1) | instskip(NEXT) | instid1(VALU_DEP_4)
	v_or3_b32 v16, v0, v1, v3
	v_ashrrev_i32_e32 v21, 31, v20
	ds_load_b128 v[0:3], v16
	ds_load_b128 v[4:7], v16 offset:128
	s_waitcnt lgkmcnt(0)
	s_add_u32 s2, s0, s2
	s_addc_u32 s3, s1, s3
	s_lshl_b32 s0, s14, 7
	ds_load_b128 v[8:11], v16 offset:256
	ds_load_b128 v[12:15], v16 offset:384
	;; [unrolled: 1-line block ×3, first 2 shown]
	s_ashr_i32 s1, s0, 31
	s_delay_alu instid0(SALU_CYCLE_1) | instskip(NEXT) | instid1(SALU_CYCLE_1)
	s_lshl_b64 s[0:1], s[0:1], 1
	s_add_u32 s0, s2, s0
	s_addc_u32 s1, s3, s1
	s_lshl_b32 s2, s34, 8
	v_add_co_u32 v30, s0, s0, v73
	v_add_nc_u32_e32 v22, s2, v20
	v_lshlrev_b64 v[20:21], 1, v[20:21]
	v_add_co_ci_u32_e64 v31, null, s1, 0, s0
	s_delay_alu instid0(VALU_DEP_3) | instskip(SKIP_1) | instid1(VALU_DEP_4)
	v_add_nc_u32_e32 v24, s2, v22
	v_ashrrev_i32_e32 v23, 31, v22
	v_add_co_u32 v20, vcc_lo, v30, v20
	s_delay_alu instid0(VALU_DEP_4) | instskip(NEXT) | instid1(VALU_DEP_4)
	v_add_co_ci_u32_e32 v21, vcc_lo, v31, v21, vcc_lo
	v_add_nc_u32_e32 v26, s2, v24
	v_ashrrev_i32_e32 v25, 31, v24
	v_lshlrev_b64 v[22:23], 1, v[22:23]
	s_delay_alu instid0(VALU_DEP_3) | instskip(SKIP_1) | instid1(VALU_DEP_4)
	v_add_nc_u32_e32 v28, s2, v26
	v_ashrrev_i32_e32 v27, 31, v26
	v_lshlrev_b64 v[24:25], 1, v[24:25]
	s_delay_alu instid0(VALU_DEP_4) | instskip(NEXT) | instid1(VALU_DEP_4)
	v_add_co_u32 v22, vcc_lo, v30, v22
	v_ashrrev_i32_e32 v29, 31, v28
	s_delay_alu instid0(VALU_DEP_4) | instskip(SKIP_2) | instid1(VALU_DEP_4)
	v_lshlrev_b64 v[26:27], 1, v[26:27]
	v_add_co_ci_u32_e32 v23, vcc_lo, v31, v23, vcc_lo
	v_add_co_u32 v24, vcc_lo, v30, v24
	v_lshlrev_b64 v[28:29], 1, v[28:29]
	v_add_co_ci_u32_e32 v25, vcc_lo, v31, v25, vcc_lo
	v_add_co_u32 v26, vcc_lo, v30, v26
	v_add_co_ci_u32_e32 v27, vcc_lo, v31, v27, vcc_lo
	s_delay_alu instid0(VALU_DEP_4)
	v_add_co_u32 v28, vcc_lo, v30, v28
	v_add_co_ci_u32_e32 v29, vcc_lo, v31, v29, vcc_lo
	s_clause 0x1
	global_store_b128 v[20:21], v[0:3], off
	global_store_b128 v[22:23], v[4:7], off
	s_waitcnt lgkmcnt(2)
	global_store_b128 v[24:25], v[8:11], off
	s_waitcnt lgkmcnt(1)
	;; [unrolled: 2-line block ×3, first 2 shown]
	global_store_b128 v[28:29], v[16:19], off
	s_nop 0
	s_sendmsg sendmsg(MSG_DEALLOC_VGPRS)
	s_endpgm
	.section	.rodata,"a",@progbits
	.p2align	6, 0x0
	.amdhsa_kernel _Z39paged_attention_ll4mi_QKV_mfma16_kernelI14__hip_bfloat16hLN4vllm18Fp8KVCacheDataTypeE1ES0_Li32ELi128ELi256ELb0ELi10EL8MFMAType1EEvPKT_PKT0_S9_ifPKiSB_SB_iPKfiiiPfSE_PS4_PT2_iSD_SD_
		.amdhsa_group_segment_fixed_size 17472
		.amdhsa_private_segment_fixed_size 0
		.amdhsa_kernarg_size 400
		.amdhsa_user_sgpr_count 13
		.amdhsa_user_sgpr_dispatch_ptr 0
		.amdhsa_user_sgpr_queue_ptr 0
		.amdhsa_user_sgpr_kernarg_segment_ptr 1
		.amdhsa_user_sgpr_dispatch_id 0
		.amdhsa_user_sgpr_private_segment_size 0
		.amdhsa_wavefront_size32 1
		.amdhsa_uses_dynamic_stack 0
		.amdhsa_enable_private_segment 0
		.amdhsa_system_sgpr_workgroup_id_x 1
		.amdhsa_system_sgpr_workgroup_id_y 1
		.amdhsa_system_sgpr_workgroup_id_z 1
		.amdhsa_system_sgpr_workgroup_info 0
		.amdhsa_system_vgpr_workitem_id 0
		.amdhsa_next_free_vgpr 140
		.amdhsa_next_free_sgpr 36
		.amdhsa_reserve_vcc 1
		.amdhsa_float_round_mode_32 0
		.amdhsa_float_round_mode_16_64 0
		.amdhsa_float_denorm_mode_32 3
		.amdhsa_float_denorm_mode_16_64 3
		.amdhsa_dx10_clamp 1
		.amdhsa_ieee_mode 1
		.amdhsa_fp16_overflow 0
		.amdhsa_workgroup_processor_mode 1
		.amdhsa_memory_ordered 1
		.amdhsa_forward_progress 0
		.amdhsa_shared_vgpr_count 0
		.amdhsa_exception_fp_ieee_invalid_op 0
		.amdhsa_exception_fp_denorm_src 0
		.amdhsa_exception_fp_ieee_div_zero 0
		.amdhsa_exception_fp_ieee_overflow 0
		.amdhsa_exception_fp_ieee_underflow 0
		.amdhsa_exception_fp_ieee_inexact 0
		.amdhsa_exception_int_div_zero 0
	.end_amdhsa_kernel
	.section	.text._Z39paged_attention_ll4mi_QKV_mfma16_kernelI14__hip_bfloat16hLN4vllm18Fp8KVCacheDataTypeE1ES0_Li32ELi128ELi256ELb0ELi10EL8MFMAType1EEvPKT_PKT0_S9_ifPKiSB_SB_iPKfiiiPfSE_PS4_PT2_iSD_SD_,"axG",@progbits,_Z39paged_attention_ll4mi_QKV_mfma16_kernelI14__hip_bfloat16hLN4vllm18Fp8KVCacheDataTypeE1ES0_Li32ELi128ELi256ELb0ELi10EL8MFMAType1EEvPKT_PKT0_S9_ifPKiSB_SB_iPKfiiiPfSE_PS4_PT2_iSD_SD_,comdat
.Lfunc_end1655:
	.size	_Z39paged_attention_ll4mi_QKV_mfma16_kernelI14__hip_bfloat16hLN4vllm18Fp8KVCacheDataTypeE1ES0_Li32ELi128ELi256ELb0ELi10EL8MFMAType1EEvPKT_PKT0_S9_ifPKiSB_SB_iPKfiiiPfSE_PS4_PT2_iSD_SD_, .Lfunc_end1655-_Z39paged_attention_ll4mi_QKV_mfma16_kernelI14__hip_bfloat16hLN4vllm18Fp8KVCacheDataTypeE1ES0_Li32ELi128ELi256ELb0ELi10EL8MFMAType1EEvPKT_PKT0_S9_ifPKiSB_SB_iPKfiiiPfSE_PS4_PT2_iSD_SD_
                                        ; -- End function
	.section	.AMDGPU.csdata,"",@progbits
; Kernel info:
; codeLenInByte = 8952
; NumSgprs: 38
; NumVgprs: 140
; ScratchSize: 0
; MemoryBound: 0
; FloatMode: 240
; IeeeMode: 1
; LDSByteSize: 17472 bytes/workgroup (compile time only)
; SGPRBlocks: 4
; VGPRBlocks: 17
; NumSGPRsForWavesPerEU: 38
; NumVGPRsForWavesPerEU: 140
; Occupancy: 10
; WaveLimiterHint : 1
; COMPUTE_PGM_RSRC2:SCRATCH_EN: 0
; COMPUTE_PGM_RSRC2:USER_SGPR: 13
; COMPUTE_PGM_RSRC2:TRAP_HANDLER: 0
; COMPUTE_PGM_RSRC2:TGID_X_EN: 1
; COMPUTE_PGM_RSRC2:TGID_Y_EN: 1
; COMPUTE_PGM_RSRC2:TGID_Z_EN: 1
; COMPUTE_PGM_RSRC2:TIDIG_COMP_CNT: 0
	.section	.text._Z39paged_attention_ll4mi_QKV_mfma16_kernelI14__hip_bfloat16hLN4vllm18Fp8KVCacheDataTypeE1ES0_Li32ELi128ELi256ELb0ELi11EL8MFMAType1EEvPKT_PKT0_S9_ifPKiSB_SB_iPKfiiiPfSE_PS4_PT2_iSD_SD_,"axG",@progbits,_Z39paged_attention_ll4mi_QKV_mfma16_kernelI14__hip_bfloat16hLN4vllm18Fp8KVCacheDataTypeE1ES0_Li32ELi128ELi256ELb0ELi11EL8MFMAType1EEvPKT_PKT0_S9_ifPKiSB_SB_iPKfiiiPfSE_PS4_PT2_iSD_SD_,comdat
	.protected	_Z39paged_attention_ll4mi_QKV_mfma16_kernelI14__hip_bfloat16hLN4vllm18Fp8KVCacheDataTypeE1ES0_Li32ELi128ELi256ELb0ELi11EL8MFMAType1EEvPKT_PKT0_S9_ifPKiSB_SB_iPKfiiiPfSE_PS4_PT2_iSD_SD_ ; -- Begin function _Z39paged_attention_ll4mi_QKV_mfma16_kernelI14__hip_bfloat16hLN4vllm18Fp8KVCacheDataTypeE1ES0_Li32ELi128ELi256ELb0ELi11EL8MFMAType1EEvPKT_PKT0_S9_ifPKiSB_SB_iPKfiiiPfSE_PS4_PT2_iSD_SD_
	.globl	_Z39paged_attention_ll4mi_QKV_mfma16_kernelI14__hip_bfloat16hLN4vllm18Fp8KVCacheDataTypeE1ES0_Li32ELi128ELi256ELb0ELi11EL8MFMAType1EEvPKT_PKT0_S9_ifPKiSB_SB_iPKfiiiPfSE_PS4_PT2_iSD_SD_
	.p2align	8
	.type	_Z39paged_attention_ll4mi_QKV_mfma16_kernelI14__hip_bfloat16hLN4vllm18Fp8KVCacheDataTypeE1ES0_Li32ELi128ELi256ELb0ELi11EL8MFMAType1EEvPKT_PKT0_S9_ifPKiSB_SB_iPKfiiiPfSE_PS4_PT2_iSD_SD_,@function
_Z39paged_attention_ll4mi_QKV_mfma16_kernelI14__hip_bfloat16hLN4vllm18Fp8KVCacheDataTypeE1ES0_Li32ELi128ELi256ELb0ELi11EL8MFMAType1EEvPKT_PKT0_S9_ifPKiSB_SB_iPKfiiiPfSE_PS4_PT2_iSD_SD_: ; @_Z39paged_attention_ll4mi_QKV_mfma16_kernelI14__hip_bfloat16hLN4vllm18Fp8KVCacheDataTypeE1ES0_Li32ELi128ELi256ELb0ELi11EL8MFMAType1EEvPKT_PKT0_S9_ifPKiSB_SB_iPKfiiiPfSE_PS4_PT2_iSD_SD_
; %bb.0:
	s_load_b64 s[4:5], s[0:1], 0x30
	s_mov_b32 s30, s13
	s_waitcnt lgkmcnt(0)
	s_cmp_lg_u64 s[4:5], 0
	s_cselect_b32 s13, -1, 0
	s_ashr_i32 s31, s30, 31
	s_cmp_eq_u64 s[4:5], 0
	s_cbranch_scc1 .LBB1656_3
; %bb.1:
	s_lshl_b64 s[2:3], s[30:31], 2
	s_delay_alu instid0(SALU_CYCLE_1) | instskip(SKIP_4) | instid1(SALU_CYCLE_1)
	s_add_u32 s2, s4, s2
	s_addc_u32 s3, s5, s3
	s_load_b64 s[2:3], s[2:3], 0x0
	s_waitcnt lgkmcnt(0)
	s_sub_i32 s2, s3, s2
	s_cmp_eq_u32 s2, 1
	s_cselect_b32 s2, -1, 0
	s_delay_alu instid0(SALU_CYCLE_1)
	s_and_not1_b32 vcc_lo, exec_lo, s2
	s_cbranch_vccz .LBB1656_4
.LBB1656_2:
	s_nop 0
	s_sendmsg sendmsg(MSG_DEALLOC_VGPRS)
	s_endpgm
.LBB1656_3:
.LBB1656_4:
	s_load_b64 s[2:3], s[0:1], 0x28
	s_lshl_b64 s[6:7], s[30:31], 2
	s_waitcnt lgkmcnt(0)
	s_add_u32 s2, s2, s6
	s_addc_u32 s3, s3, s7
	s_lshl_b32 s12, s14, 8
	s_load_b32 s17, s[2:3], 0x0
	s_waitcnt lgkmcnt(0)
	s_cmp_ge_i32 s12, s17
	s_cbranch_scc1 .LBB1656_2
; %bb.5:
	s_clause 0x1
	s_load_b128 s[8:11], s[0:1], 0x8
	s_load_b64 s[2:3], s[0:1], 0x20
	s_and_not1_b32 vcc_lo, exec_lo, s13
	s_cbranch_vccnz .LBB1656_7
; %bb.6:
	s_add_u32 s4, s4, s6
	s_addc_u32 s5, s5, s7
	s_load_b32 s13, s[4:5], 0x0
	s_branch .LBB1656_8
.LBB1656_7:
	s_mov_b32 s13, s30
.LBB1656_8:
	s_load_b128 s[4:7], s[0:1], 0x48
	v_and_b32_e32 v65, 15, v0
	v_lshrrev_b32_e32 v66, 5, v0
	v_bfe_u32 v74, v0, 4, 1
	v_and_b32_e32 v67, 31, v0
	v_and_b32_e32 v75, 1, v0
	v_lshlrev_b32_e32 v2, 3, v65
	s_mul_i32 s31, s15, 11
	v_lshl_or_b32 v1, v66, 1, v74
	s_waitcnt lgkmcnt(0)
	s_mov_b32 s7, exec_lo
	v_lshlrev_b32_e32 v73, 1, v2
	s_delay_alu instid0(VALU_DEP_2)
	v_cmpx_gt_u32_e32 11, v1
	s_cbranch_execz .LBB1656_10
; %bb.9:
	s_load_b64 s[18:19], s[0:1], 0x0
	v_add_lshl_u32 v2, v1, s31, 7
	s_mul_hi_i32 s21, s13, s4
	s_mul_i32 s20, s13, s4
	v_lshlrev_b32_e32 v6, 10, v65
	s_lshl_b64 s[20:21], s[20:21], 1
	v_ashrrev_i32_e32 v3, 31, v2
	v_lshlrev_b32_e32 v1, 6, v1
	v_lshlrev_b32_e32 v7, 10, v75
	v_and_b32_e32 v6, 0x3800, v6
	s_delay_alu instid0(VALU_DEP_4) | instskip(NEXT) | instid1(VALU_DEP_2)
	v_lshlrev_b64 v[2:3], 1, v[2:3]
	v_or3_b32 v1, v6, v7, v1
	s_waitcnt lgkmcnt(0)
	s_add_u32 s4, s18, s20
	s_addc_u32 s13, s19, s21
	s_delay_alu instid0(VALU_DEP_2) | instskip(SKIP_1) | instid1(VALU_DEP_2)
	v_add_co_u32 v2, vcc_lo, s4, v2
	v_add_co_ci_u32_e32 v3, vcc_lo, s13, v3, vcc_lo
	v_add_co_u32 v2, vcc_lo, v2, v73
	s_delay_alu instid0(VALU_DEP_2)
	v_add_co_ci_u32_e32 v3, vcc_lo, 0, v3, vcc_lo
	global_load_b128 v[2:5], v[2:3], off
	s_waitcnt vmcnt(0)
	ds_store_b128 v1, v[2:5]
.LBB1656_10:
	s_or_b32 exec_lo, exec_lo, s7
	v_and_b32_e32 v1, 0xef, v0
	s_add_i32 s4, s17, 31
	s_clause 0x1
	s_load_b32 s7, s[0:1], 0x38
	s_load_b32 s18, s[0:1], 0x1c
	s_ashr_i32 s13, s4, 31
	v_add_nc_u32_e32 v1, s12, v1
	s_lshr_b32 s13, s13, 27
	s_waitcnt lgkmcnt(0)
	s_add_i32 s4, s4, s13
	s_barrier
	v_ashrrev_i32_e32 v2, 31, v1
	v_or_b32_e32 v3, 16, v1
	s_ashr_i32 s4, s4, 5
	v_cmp_gt_i32_e32 vcc_lo, s17, v1
	s_add_i32 s4, s4, -1
	v_lshrrev_b32_e32 v2, 27, v2
	buffer_gl0_inv
	s_mul_i32 s15, s15, s6
	v_add_nc_u32_e32 v4, v1, v2
	s_mul_i32 s20, s30, s7
	s_delay_alu instid0(SALU_CYCLE_1) | instskip(NEXT) | instid1(VALU_DEP_1)
	s_ashr_i32 s21, s20, 31
	v_ashrrev_i32_e32 v4, 5, v4
	v_add_nc_u32_e32 v2, v3, v2
	s_lshl_b64 s[20:21], s[20:21], 2
	s_delay_alu instid0(SALU_CYCLE_1) | instskip(NEXT) | instid1(VALU_DEP_2)
	s_add_u32 s13, s2, s20
	v_cndmask_b32_e32 v1, s4, v4, vcc_lo
	s_delay_alu instid0(VALU_DEP_2)
	v_ashrrev_i32_e32 v2, 5, v2
	v_cmp_gt_i32_e32 vcc_lo, s17, v3
	s_addc_u32 s16, s3, s21
	s_ashr_i32 s19, s15, 31
	s_add_u32 s2, s8, s15
	s_addc_u32 s3, s9, s19
	v_cndmask_b32_e32 v3, s4, v2, vcc_lo
	v_ashrrev_i32_e32 v2, 31, v1
	s_lshl_b32 s6, s14, 3
	s_delay_alu instid0(SALU_CYCLE_1) | instskip(NEXT) | instid1(VALU_DEP_2)
	s_ashr_i32 s7, s6, 31
	v_ashrrev_i32_e32 v4, 31, v3
	s_delay_alu instid0(VALU_DEP_2) | instskip(SKIP_1) | instid1(SALU_CYCLE_1)
	v_lshlrev_b64 v[1:2], 2, v[1:2]
	s_lshl_b64 s[6:7], s[6:7], 2
	s_add_u32 s6, s13, s6
	s_delay_alu instid0(VALU_DEP_2) | instskip(SKIP_1) | instid1(VALU_DEP_2)
	v_lshlrev_b64 v[3:4], 2, v[3:4]
	s_addc_u32 s7, s16, s7
	v_add_co_u32 v1, vcc_lo, s13, v1
	v_add_co_ci_u32_e32 v2, vcc_lo, s16, v2, vcc_lo
	s_delay_alu instid0(VALU_DEP_3) | instskip(NEXT) | instid1(VALU_DEP_4)
	v_add_co_u32 v3, vcc_lo, s13, v3
	v_add_co_ci_u32_e32 v4, vcc_lo, s16, v4, vcc_lo
	s_clause 0x1
	global_load_b32 v5, v[1:2], off
	global_load_b32 v6, v[3:4], off
	s_or_b32 s8, s12, 32
	s_delay_alu instid0(SALU_CYCLE_1) | instskip(SKIP_2) | instid1(SALU_CYCLE_1)
	s_ashr_i32 s9, s8, 5
	s_cmp_lt_i32 s8, s17
	s_cselect_b32 s8, s9, s4
	s_ashr_i32 s9, s8, 31
	s_delay_alu instid0(SALU_CYCLE_1) | instskip(NEXT) | instid1(SALU_CYCLE_1)
	s_lshl_b64 s[8:9], s[8:9], 2
	s_add_u32 s8, s13, s8
	s_addc_u32 s9, s16, s9
	s_or_b32 s20, s12, 64
	s_delay_alu instid0(SALU_CYCLE_1) | instskip(SKIP_2) | instid1(SALU_CYCLE_1)
	s_ashr_i32 s21, s20, 5
	s_cmp_lt_i32 s20, s17
	s_cselect_b32 s20, s21, s4
	s_ashr_i32 s21, s20, 31
	s_delay_alu instid0(SALU_CYCLE_1) | instskip(NEXT) | instid1(SALU_CYCLE_1)
	s_lshl_b64 s[20:21], s[20:21], 2
	s_add_u32 s20, s13, s20
	s_addc_u32 s21, s16, s21
	s_or_b32 s22, s12, 0x60
	s_delay_alu instid0(SALU_CYCLE_1) | instskip(SKIP_2) | instid1(SALU_CYCLE_1)
	s_ashr_i32 s23, s22, 5
	s_cmp_lt_i32 s22, s17
	s_cselect_b32 s22, s23, s4
	s_ashr_i32 s23, s22, 31
	s_delay_alu instid0(SALU_CYCLE_1) | instskip(NEXT) | instid1(SALU_CYCLE_1)
	s_lshl_b64 s[22:23], s[22:23], 2
	s_add_u32 s22, s13, s22
	s_addc_u32 s23, s16, s23
	s_or_b32 s24, s12, 0x80
	s_delay_alu instid0(SALU_CYCLE_1) | instskip(SKIP_2) | instid1(SALU_CYCLE_1)
	s_ashr_i32 s25, s24, 5
	s_cmp_lt_i32 s24, s17
	s_cselect_b32 s24, s25, s4
	s_ashr_i32 s25, s24, 31
	s_delay_alu instid0(SALU_CYCLE_1) | instskip(NEXT) | instid1(SALU_CYCLE_1)
	s_lshl_b64 s[24:25], s[24:25], 2
	s_add_u32 s24, s13, s24
	s_addc_u32 s25, s16, s25
	s_or_b32 s26, s12, 0xa0
	s_delay_alu instid0(SALU_CYCLE_1) | instskip(SKIP_2) | instid1(SALU_CYCLE_1)
	s_ashr_i32 s27, s26, 5
	s_cmp_lt_i32 s26, s17
	s_cselect_b32 s26, s27, s4
	s_ashr_i32 s27, s26, 31
	s_delay_alu instid0(SALU_CYCLE_1) | instskip(NEXT) | instid1(SALU_CYCLE_1)
	s_lshl_b64 s[26:27], s[26:27], 2
	s_add_u32 s26, s13, s26
	s_addc_u32 s27, s16, s27
	s_clause 0x5
	s_load_b32 s28, s[6:7], 0x0
	s_load_b32 s8, s[8:9], 0x0
	;; [unrolled: 1-line block ×6, first 2 shown]
	s_mov_b32 s20, 0
	s_delay_alu instid0(SALU_CYCLE_1)
	s_mov_b32 s21, s20
	s_mov_b32 s22, s20
	;; [unrolled: 1-line block ×7, first 2 shown]
	s_delay_alu instid0(SALU_CYCLE_1)
	v_dual_mov_b32 v107, s27 :: v_dual_mov_b32 v106, s26
	v_dual_mov_b32 v104, s24 :: v_dual_mov_b32 v103, s23
	;; [unrolled: 1-line block ×3, first 2 shown]
	v_mov_b32_e32 v100, s20
	s_waitcnt vmcnt(1)
	v_mad_i64_i32 v[1:2], null, v5, s5, s[2:3]
	v_lshlrev_b32_e32 v5, 4, v65
	s_waitcnt vmcnt(0)
	v_mad_i64_i32 v[3:4], null, v6, s5, s[2:3]
	s_or_b32 s2, s12, 0xc0
	s_delay_alu instid0(SALU_CYCLE_1) | instskip(NEXT) | instid1(VALU_DEP_3)
	s_ashr_i32 s3, s2, 5
	v_add_co_u32 v33, vcc_lo, v1, v5
	s_delay_alu instid0(VALU_DEP_4) | instskip(NEXT) | instid1(VALU_DEP_3)
	v_add_co_ci_u32_e32 v34, vcc_lo, 0, v2, vcc_lo
	v_add_co_u32 v35, vcc_lo, v3, v5
	s_delay_alu instid0(VALU_DEP_4)
	v_add_co_ci_u32_e32 v36, vcc_lo, 0, v4, vcc_lo
	s_clause 0xf
	global_load_b128 v[1:4], v[33:34], off
	global_load_b128 v[5:8], v[33:34], off offset:512
	global_load_b128 v[9:12], v[35:36], off offset:256
	;; [unrolled: 1-line block ×15, first 2 shown]
	s_cmp_lt_i32 s2, s17
	v_add_nc_u32_e32 v33, -11, v65
	s_cselect_b32 s2, s3, s4
	v_cmp_gt_u32_e32 vcc_lo, 11, v65
	s_ashr_i32 s3, s2, 31
	v_lshlrev_b32_e32 v34, 5, v65
	s_lshl_b64 s[2:3], s[2:3], 2
	s_delay_alu instid0(SALU_CYCLE_1)
	s_add_u32 s2, s13, s2
	s_addc_u32 s3, s16, s3
	s_or_b32 s6, s12, 0xe0
	v_cndmask_b32_e32 v33, v33, v65, vcc_lo
	s_ashr_i32 s7, s6, 5
	s_cmp_lt_i32 s6, s17
	v_mov_b32_e32 v105, s25
	s_cselect_b32 s6, s7, s4
	v_lshlrev_b32_e32 v72, 6, v33
	s_ashr_i32 s7, s6, 31
	v_lshl_or_b32 v41, v66, 9, v34
	s_lshl_b64 s[6:7], s[6:7], 2
	ds_load_b128 v[33:36], v72
	ds_load_b128 v[37:40], v72 offset:1024
	ds_load_b128 v[108:111], v72 offset:2048
	;; [unrolled: 1-line block ×3, first 2 shown]
	s_load_b32 s4, s[2:3], 0x0
	s_add_u32 s2, s13, s6
	s_addc_u32 s3, s16, s7
	ds_load_b128 v[116:119], v72 offset:4096
	ds_load_b128 v[120:123], v72 offset:5120
	s_load_b32 s2, s[2:3], 0x0
	s_add_u32 s6, s10, s15
	s_addc_u32 s7, s11, s19
	v_add_co_u32 v68, s6, s6, v41
	s_delay_alu instid0(VALU_DEP_1) | instskip(SKIP_1) | instid1(VALU_DEP_1)
	v_add_co_ci_u32_e64 v69, null, s7, 0, s6
	s_waitcnt lgkmcnt(0)
	v_mad_i64_i32 v[41:42], null, s28, s5, v[68:69]
	v_mad_i64_i32 v[70:71], null, s9, s5, v[68:69]
	v_mad_i64_i32 v[45:46], null, s8, s5, v[68:69]
	v_mad_i64_i32 v[132:133], null, s29, s5, v[68:69]
	v_mad_i64_i32 v[134:135], null, s33, s5, v[68:69]
	v_mad_i64_i32 v[136:137], null, s34, s5, v[68:69]
	v_mad_i64_i32 v[138:139], null, s4, s5, v[68:69]
	s_clause 0x3
	global_load_b128 v[49:52], v[41:42], off
	global_load_b128 v[53:56], v[41:42], off offset:16
	global_load_b128 v[41:44], v[45:46], off
	global_load_b128 v[45:48], v[45:46], off offset:16
	s_waitcnt vmcnt(18)
	v_wmma_f32_16x16x16_bf16 v[124:131], v[1:8], v[33:40], v[100:107]
	s_waitcnt vmcnt(16)
	v_wmma_f32_16x16x16_bf16 v[100:107], v[9:16], v[33:40], v[100:107]
	s_clause 0x1
	global_load_b128 v[33:36], v[70:71], off
	global_load_b128 v[37:40], v[70:71], off offset:16
	v_mad_i64_i32 v[70:71], null, s2, s5, v[68:69]
	s_waitcnt vmcnt(16)
	v_wmma_f32_16x16x16_bf16 v[124:131], v[17:24], v[108:115], v[124:131]
	s_waitcnt vmcnt(14)
	v_wmma_f32_16x16x16_bf16 v[100:107], v[25:32], v[108:115], v[100:107]
	s_clause 0x7
	global_load_b128 v[25:28], v[132:133], off
	global_load_b128 v[29:32], v[132:133], off offset:16
	global_load_b128 v[1:4], v[134:135], off
	global_load_b128 v[5:8], v[134:135], off offset:16
	;; [unrolled: 2-line block ×4, first 2 shown]
	s_waitcnt vmcnt(20)
	v_wmma_f32_16x16x16_bf16 v[124:131], v[57:64], v[116:123], v[124:131]
	s_clause 0x1
	global_load_b128 v[57:60], v[70:71], off
	global_load_b128 v[61:64], v[70:71], off offset:16
	s_waitcnt vmcnt(20)
	v_wmma_f32_16x16x16_bf16 v[100:107], v[76:83], v[116:123], v[100:107]
	ds_load_b128 v[76:79], v72 offset:6144
	ds_load_b128 v[80:83], v72 offset:7168
	v_and_b32_e32 v68, 0xe0, v0
	v_mbcnt_lo_u32_b32 v69, -1, 0
	s_waitcnt vmcnt(0) lgkmcnt(0)
	s_barrier
	buffer_gl0_inv
	v_add_nc_u32_e32 v68, s12, v68
	v_xor_b32_e32 v70, 16, v69
	s_delay_alu instid0(VALU_DEP_2) | instskip(NEXT) | instid1(VALU_DEP_2)
	v_or_b32_e32 v68, v68, v74
	v_cmp_gt_i32_e32 vcc_lo, 32, v70
	s_delay_alu instid0(VALU_DEP_2)
	v_or_b32_e32 v71, 4, v68
	v_or_b32_e32 v72, 6, v68
	v_cmp_gt_i32_e64 s2, s17, v68
	v_or_b32_e32 v108, 8, v68
	v_wmma_f32_16x16x16_bf16 v[124:131], v[84:91], v[76:83], v[124:131]
	v_cndmask_b32_e32 v69, v69, v70, vcc_lo
	v_or_b32_e32 v70, 2, v68
	v_wmma_f32_16x16x16_bf16 v[100:107], v[92:99], v[76:83], v[100:107]
	v_or_b32_e32 v109, 10, v68
	v_dual_mul_f32 v80, s18, v129 :: v_dual_mul_f32 v81, s18, v128
	v_dual_mul_f32 v92, s18, v125 :: v_dual_mul_f32 v93, s18, v124
	s_delay_alu instid0(VALU_DEP_4)
	v_mul_f32_e32 v96, s18, v105
	v_cmp_gt_i32_e32 vcc_lo, s17, v70
	v_or_b32_e32 v89, 22, v68
	v_dual_mul_f32 v79, s18, v130 :: v_dual_mul_f32 v82, s18, v127
	v_dual_mul_f32 v83, s18, v126 :: v_dual_mul_f32 v94, s18, v107
	v_cndmask_b32_e64 v93, 0xff7fffff, v93, s2
	v_cndmask_b32_e32 v92, 0xff7fffff, v92, vcc_lo
	v_cmp_gt_i32_e64 s3, s17, v71
	v_cmp_gt_i32_e64 s4, s17, v72
	v_or_b32_e32 v84, 12, v68
	v_or_b32_e32 v85, 14, v68
	v_cmp_gt_i32_e64 s5, s17, v108
	v_cndmask_b32_e64 v71, 0xff7fffff, v83, s3
	v_cndmask_b32_e64 v72, 0xff7fffff, v82, s4
	v_cmp_gt_i32_e64 s6, s17, v109
	v_cmp_gt_i32_e64 s12, s17, v89
	v_lshlrev_b32_e32 v89, 2, v69
	v_max3_f32 v82, v93, 0xff7fffff, v92
	v_or_b32_e32 v86, 16, v68
	v_or_b32_e32 v87, 18, v68
	v_mul_f32_e32 v78, s18, v131
	v_cndmask_b32_e64 v81, 0xff7fffff, v81, s5
	v_cndmask_b32_e64 v80, 0xff7fffff, v80, s6
	v_max3_f32 v71, v82, v71, v72
	v_cmp_gt_i32_e64 s7, s17, v84
	v_cmp_gt_i32_e64 s8, s17, v85
	v_or_b32_e32 v88, 20, v68
	v_or_b32_e32 v90, 24, v68
	;; [unrolled: 1-line block ×5, first 2 shown]
	v_dual_mul_f32 v97, s18, v104 :: v_dual_mul_f32 v70, s18, v101
	v_dual_mul_f32 v99, s18, v102 :: v_dual_mul_f32 v68, s18, v100
	v_cndmask_b32_e64 v72, 0xff7fffff, v79, s7
	v_cndmask_b32_e64 v78, 0xff7fffff, v78, s8
	v_max3_f32 v71, v71, v81, v80
	v_cmp_gt_i32_e64 s9, s17, v86
	v_cmp_gt_i32_e64 s10, s17, v87
	v_dual_mul_f32 v95, s18, v106 :: v_dual_mul_f32 v98, s18, v103
	s_delay_alu instid0(VALU_DEP_4) | instskip(NEXT) | instid1(VALU_DEP_4)
	v_max3_f32 v71, v71, v72, v78
	v_cndmask_b32_e64 v68, 0xff7fffff, v68, s9
	s_delay_alu instid0(VALU_DEP_4)
	v_cndmask_b32_e64 v70, 0xff7fffff, v70, s10
	v_cmp_gt_i32_e64 s11, s17, v88
	v_cndmask_b32_e64 v78, 0xff7fffff, v98, s12
	v_cmp_gt_i32_e64 s13, s17, v90
	v_cmp_gt_i32_e64 s15, s17, v91
	v_max3_f32 v68, v71, v68, v70
	v_cndmask_b32_e64 v72, 0xff7fffff, v99, s11
	v_cmp_gt_i32_e64 s16, s17, v76
	v_cndmask_b32_e64 v70, 0xff7fffff, v97, s13
	v_cndmask_b32_e64 v71, 0xff7fffff, v96, s15
	v_cmp_gt_i32_e64 s17, s17, v77
	v_max3_f32 v68, v68, v72, v78
	v_cndmask_b32_e64 v72, 0xff7fffff, v95, s16
	s_delay_alu instid0(VALU_DEP_3) | instskip(NEXT) | instid1(VALU_DEP_3)
	v_cndmask_b32_e64 v76, 0xff7fffff, v94, s17
	v_max3_f32 v68, v68, v70, v71
	s_delay_alu instid0(VALU_DEP_1) | instskip(SKIP_3) | instid1(VALU_DEP_1)
	v_max3_f32 v68, v68, v72, v76
	ds_bpermute_b32 v69, v89, v68
	s_waitcnt lgkmcnt(0)
	v_max_f32_e32 v69, v69, v69
	v_max_f32_e32 v68, v68, v69
	s_delay_alu instid0(VALU_DEP_1) | instskip(NEXT) | instid1(VALU_DEP_1)
	v_fma_f32 v71, s18, v126, -v68
	v_mul_f32_e32 v71, 0x3fb8aa3b, v71
	v_fma_f32 v70, s18, v125, -v68
	v_fma_f32 v69, s18, v124, -v68
	;; [unrolled: 1-line block ×5, first 2 shown]
	s_delay_alu instid0(VALU_DEP_4) | instskip(SKIP_1) | instid1(VALU_DEP_3)
	v_dual_mul_f32 v70, 0x3fb8aa3b, v70 :: v_dual_mul_f32 v69, 0x3fb8aa3b, v69
	v_exp_f32_e32 v71, v71
	v_mul_f32_e32 v72, 0x3fb8aa3b, v72
	v_fma_f32 v81, s18, v105, -v68
	s_delay_alu instid0(VALU_DEP_3)
	v_exp_f32_e32 v70, v70
	v_mul_f32_e32 v77, 0x3fb8aa3b, v76
	v_exp_f32_e32 v69, v69
	v_exp_f32_e32 v72, v72
	v_mul_f32_e32 v81, 0x3fb8aa3b, v81
	v_cndmask_b32_e64 v83, 0, v71, s3
	v_fma_f32 v71, s18, v131, -v68
	s_delay_alu instid0(VALU_DEP_3) | instskip(SKIP_4) | instid1(TRANS32_DEP_3)
	v_exp_f32_e32 v81, v81
	v_cndmask_b32_e32 v76, 0, v70, vcc_lo
	v_exp_f32_e32 v77, v77
	v_cndmask_b32_e64 v80, 0, v69, s2
	v_fma_f32 v69, s18, v129, -v68
	v_cndmask_b32_e64 v85, 0, v72, s4
	v_mul_f32_e32 v71, 0x3fb8aa3b, v71
	v_fma_f32 v72, s18, v100, -v68
	s_delay_alu instid0(VALU_DEP_4) | instskip(SKIP_1) | instid1(VALU_DEP_4)
	v_dual_add_f32 v70, 0, v80 :: v_dual_mul_f32 v69, 0x3fb8aa3b, v69
	v_cmp_gt_u32_e64 s2, 16, v67
	v_exp_f32_e32 v71, v71
	s_delay_alu instid0(TRANS32_DEP_2) | instskip(SKIP_4) | instid1(VALU_DEP_3)
	v_cndmask_b32_e64 v86, 0, v77, s5
	v_fma_f32 v77, s18, v101, -v68
	v_mul_f32_e32 v78, 0x3fb8aa3b, v78
	v_add_f32_e32 v70, v70, v76
	v_exp_f32_e32 v69, v69
	v_mul_f32_e32 v77, 0x3fb8aa3b, v77
	s_delay_alu instid0(VALU_DEP_3) | instskip(NEXT) | instid1(TRANS32_DEP_3)
	v_exp_f32_e32 v78, v78
	v_cndmask_b32_e64 v88, 0, v71, s8
	v_fma_f32 v71, s18, v104, -v68
	s_delay_alu instid0(VALU_DEP_3) | instskip(NEXT) | instid1(TRANS32_DEP_3)
	v_exp_f32_e32 v77, v77
	v_cndmask_b32_e64 v87, 0, v69, s6
	s_delay_alu instid0(VALU_DEP_2)
	v_mul_f32_e32 v71, 0x3fb8aa3b, v71
	s_waitcnt_depctr 0xfff
	v_cndmask_b32_e64 v84, 0, v78, s7
	v_add_f32_e32 v70, v70, v83
	v_fma_f32 v78, s18, v103, -v68
	v_exp_f32_e32 v82, v71
	s_delay_alu instid0(VALU_DEP_2) | instskip(SKIP_1) | instid1(VALU_DEP_3)
	v_add_f32_e32 v70, v70, v85
	v_mul_f32_e32 v72, 0x3fb8aa3b, v72
	v_mul_f32_e32 v78, 0x3fb8aa3b, v78
	s_delay_alu instid0(VALU_DEP_3) | instskip(SKIP_1) | instid1(VALU_DEP_4)
	v_add_f32_e32 v69, v70, v86
	v_fma_f32 v70, s18, v102, -v68
	v_exp_f32_e32 v72, v72
	s_delay_alu instid0(VALU_DEP_3) | instskip(NEXT) | instid1(VALU_DEP_1)
	v_exp_f32_e32 v78, v78
	v_dual_add_f32 v69, v69, v87 :: v_dual_mul_f32 v70, 0x3fb8aa3b, v70
	s_delay_alu instid0(VALU_DEP_1) | instskip(NEXT) | instid1(VALU_DEP_2)
	v_add_f32_e32 v69, v69, v84
	v_exp_f32_e32 v79, v70
	s_delay_alu instid0(TRANS32_DEP_3) | instskip(NEXT) | instid1(VALU_DEP_2)
	v_cndmask_b32_e64 v70, 0, v72, s9
	v_add_f32_e32 v72, v69, v88
	v_cndmask_b32_e64 v69, 0, v77, s10
	v_fma_f32 v77, s18, v106, -v68
	s_waitcnt_depctr 0xfff
	v_cndmask_b32_e64 v71, 0, v79, s11
	v_dual_mul_f32 v77, 0x3fb8aa3b, v77 :: v_dual_add_f32 v72, v72, v70
	s_delay_alu instid0(VALU_DEP_1) | instskip(NEXT) | instid1(VALU_DEP_1)
	v_exp_f32_e32 v90, v77
	v_add_f32_e32 v79, v72, v69
	v_cndmask_b32_e64 v72, 0, v78, s12
	v_cndmask_b32_e64 v77, 0, v82, s13
	s_delay_alu instid0(VALU_DEP_3) | instskip(SKIP_1) | instid1(VALU_DEP_1)
	v_add_f32_e32 v78, v79, v71
	v_fma_f32 v79, s18, v107, -v68
	v_dual_add_f32 v82, v78, v72 :: v_dual_mul_f32 v79, 0x3fb8aa3b, v79
	v_cndmask_b32_e64 v78, 0, v81, s15
	s_delay_alu instid0(VALU_DEP_2) | instskip(NEXT) | instid1(VALU_DEP_3)
	v_add_f32_e32 v81, v82, v77
	v_exp_f32_e32 v82, v79
	v_cndmask_b32_e64 v79, 0, v90, s16
	s_delay_alu instid0(VALU_DEP_2) | instskip(NEXT) | instid1(VALU_DEP_1)
	v_add_f32_e32 v81, v81, v78
	v_add_f32_e32 v90, v81, v79
	s_waitcnt_depctr 0xfff
	v_cndmask_b32_e64 v81, 0, v82, s17
	s_delay_alu instid0(VALU_DEP_1)
	v_add_f32_e32 v82, v90, v81
	ds_bpermute_b32 v89, v89, v82
	s_and_saveexec_b32 s3, s2
	s_cbranch_execz .LBB1656_12
; %bb.11:
	v_mul_u32_u24_e32 v67, 0x44, v66
	s_delay_alu instid0(VALU_DEP_1) | instskip(SKIP_1) | instid1(VALU_DEP_1)
	v_lshl_add_u32 v67, v65, 2, v67
	s_waitcnt lgkmcnt(0)
	v_dual_add_f32 v82, v82, v89 :: v_dual_add_nc_u32 v67, 0x4000, v67
	ds_store_2addr_b32 v67, v68, v82 offset1:136
.LBB1656_12:
	s_or_b32 exec_lo, exec_lo, s3
	v_lshlrev_b32_e32 v67, 2, v65
	s_waitcnt lgkmcnt(0)
	s_barrier
	buffer_gl0_inv
	v_cmp_eq_u32_e32 vcc_lo, 1, v66
	v_add_nc_u32_e32 v82, 0x4000, v67
	v_cmp_eq_u32_e64 s3, 2, v66
	v_cmp_eq_u32_e64 s5, 7, v66
	ds_load_2addr_b32 v[89:90], v82 offset1:17
	ds_load_2addr_b32 v[91:92], v82 offset0:34 offset1:51
	ds_load_2addr_b32 v[93:94], v82 offset0:68 offset1:85
	;; [unrolled: 1-line block ×4, first 2 shown]
	s_waitcnt lgkmcnt(4)
	v_max3_f32 v67, v89, 0xff7fffff, v90
	s_waitcnt lgkmcnt(3)
	s_delay_alu instid0(VALU_DEP_1) | instskip(SKIP_1) | instid1(VALU_DEP_1)
	v_max3_f32 v67, v67, v91, v92
	s_waitcnt lgkmcnt(2)
	v_max3_f32 v67, v67, v93, v94
	s_waitcnt lgkmcnt(1)
	s_delay_alu instid0(VALU_DEP_1) | instskip(NEXT) | instid1(VALU_DEP_1)
	v_max3_f32 v67, v67, v95, v96
	v_sub_f32_e32 v93, v93, v67
	s_delay_alu instid0(VALU_DEP_1) | instskip(NEXT) | instid1(VALU_DEP_1)
	v_dual_sub_f32 v68, v89, v67 :: v_dual_mul_f32 v103, 0x3fb8aa3b, v93
	v_mul_f32_e32 v68, 0x3fb8aa3b, v68
	s_delay_alu instid0(VALU_DEP_1)
	v_exp_f32_e32 v100, v68
	v_sub_f32_e32 v68, v92, v67
	v_sub_f32_e32 v99, v90, v67
	ds_load_2addr_b32 v[89:90], v82 offset0:170 offset1:187
	v_dual_mul_f32 v102, 0x3fb8aa3b, v68 :: v_dual_mul_f32 v99, 0x3fb8aa3b, v99
	s_waitcnt lgkmcnt(1)
	v_fma_f32 v68, v100, v97, 0
	s_delay_alu instid0(VALU_DEP_2) | instskip(NEXT) | instid1(VALU_DEP_2)
	v_exp_f32_e32 v102, v102
	v_exp_f32_e32 v99, v99
	s_waitcnt_depctr 0xfff
	v_fmac_f32_e32 v68, v99, v98
	v_sub_f32_e32 v91, v91, v67
	s_delay_alu instid0(VALU_DEP_1)
	v_mul_f32_e32 v101, 0x3fb8aa3b, v91
	ds_load_2addr_b32 v[91:92], v82 offset0:204 offset1:221
	v_sub_f32_e32 v97, v94, v67
	ds_load_2addr_b32 v[93:94], v82 offset0:238 offset1:255
	s_waitcnt lgkmcnt(0)
	v_exp_f32_e32 v101, v101
	s_barrier
	buffer_gl0_inv
	v_dual_fmac_f32 v68, v101, v89 :: v_dual_sub_f32 v89, v96, v67
	v_dual_sub_f32 v82, v95, v67 :: v_dual_mul_f32 v95, 0x3fb8aa3b, v97
	v_exp_f32_e32 v97, v103
	s_delay_alu instid0(VALU_DEP_2) | instskip(NEXT) | instid1(VALU_DEP_2)
	v_dual_fmac_f32 v68, v102, v90 :: v_dual_mul_f32 v89, 0x3fb8aa3b, v89
	v_mul_f32_e32 v82, 0x3fb8aa3b, v82
	s_delay_alu instid0(VALU_DEP_3) | instskip(NEXT) | instid1(VALU_DEP_2)
	v_exp_f32_e32 v95, v95
	v_exp_f32_e32 v89, v89
	s_delay_alu instid0(VALU_DEP_1)
	v_exp_f32_e32 v82, v82
	v_fmac_f32_e32 v68, v97, v91
	s_delay_alu instid0(TRANS32_DEP_3) | instid1(VALU_DEP_1)
	v_fmac_f32_e32 v68, v95, v92
	s_waitcnt_depctr 0xfff
	v_fmac_f32_e32 v68, v82, v93
	s_delay_alu instid0(VALU_DEP_1) | instskip(NEXT) | instid1(VALU_DEP_1)
	v_fmac_f32_e32 v68, v89, v94
	v_add_f32_e32 v90, 0x358637bd, v68
	s_delay_alu instid0(VALU_DEP_1) | instskip(NEXT) | instid1(VALU_DEP_1)
	v_div_scale_f32 v91, null, v90, v90, 1.0
	v_rcp_f32_e32 v92, v91
	s_waitcnt_depctr 0xfff
	v_fma_f32 v93, -v91, v92, 1.0
	s_delay_alu instid0(VALU_DEP_1) | instskip(SKIP_1) | instid1(VALU_DEP_2)
	v_dual_fmac_f32 v92, v93, v92 :: v_dual_cndmask_b32 v93, v100, v99
	v_cmp_eq_u32_e32 vcc_lo, 3, v66
	v_cndmask_b32_e64 v93, v93, v101, s3
	v_cmp_eq_u32_e64 s3, 4, v66
	s_delay_alu instid0(VALU_DEP_2) | instskip(SKIP_1) | instid1(VALU_DEP_2)
	v_cndmask_b32_e32 v93, v93, v102, vcc_lo
	v_cmp_eq_u32_e32 vcc_lo, 5, v66
	v_cndmask_b32_e64 v93, v93, v97, s3
	v_cmp_eq_u32_e64 s3, 6, v66
	s_delay_alu instid0(VALU_DEP_2) | instskip(SKIP_1) | instid1(VALU_DEP_1)
	v_cndmask_b32_e32 v93, v93, v95, vcc_lo
	v_div_scale_f32 v94, s4, 1.0, v90, 1.0
	s_mov_b32 vcc_lo, s4
	s_delay_alu instid0(VALU_DEP_2) | instskip(NEXT) | instid1(VALU_DEP_2)
	v_cndmask_b32_e64 v82, v93, v82, s3
	v_mul_f32_e32 v96, v94, v92
	s_mov_b32 s3, exec_lo
	s_delay_alu instid0(VALU_DEP_2) | instskip(NEXT) | instid1(VALU_DEP_2)
	v_cndmask_b32_e64 v82, v82, v89, s5
	v_fma_f32 v98, -v91, v96, v94
	s_delay_alu instid0(VALU_DEP_1) | instskip(NEXT) | instid1(VALU_DEP_1)
	v_fmac_f32_e32 v96, v98, v92
	v_fma_f32 v91, -v91, v96, v94
	s_delay_alu instid0(VALU_DEP_1) | instskip(NEXT) | instid1(VALU_DEP_1)
	v_div_fmas_f32 v91, v91, v92, v96
	v_div_fixup_f32 v90, v91, v90, 1.0
	s_delay_alu instid0(VALU_DEP_1) | instskip(NEXT) | instid1(VALU_DEP_1)
	v_mul_f32_e32 v82, v82, v90
	v_mul_f32_e32 v87, v82, v87
	;; [unrolled: 1-line block ×7, first 2 shown]
	v_dual_mul_f32 v86, v82, v83 :: v_dual_and_b32 v91, 0x7f800000, v90
	v_mul_f32_e32 v85, v82, v76
                                        ; implicit-def: $vgpr76
	s_delay_alu instid0(VALU_DEP_2)
	v_cmpx_ne_u32_e32 0x7f800000, v91
	s_xor_b32 s3, exec_lo, s3
; %bb.13:
	v_bfe_u32 v76, v90, 16, 1
	s_delay_alu instid0(VALU_DEP_1)
	v_add3_u32 v76, v90, v76, 0x7fff
                                        ; implicit-def: $vgpr90
; %bb.14:
	s_and_not1_saveexec_b32 s3, s3
; %bb.15:
	v_and_b32_e32 v76, 0xffff, v90
	v_or_b32_e32 v83, 0x10000, v90
	s_delay_alu instid0(VALU_DEP_2) | instskip(NEXT) | instid1(VALU_DEP_2)
	v_cmp_eq_u32_e32 vcc_lo, 0, v76
	v_cndmask_b32_e32 v76, v83, v90, vcc_lo
; %bb.16:
	s_or_b32 exec_lo, exec_lo, s3
	v_and_b32_e32 v83, 0x7f800000, v85
	s_delay_alu instid0(VALU_DEP_1) | instskip(SKIP_1) | instid1(SALU_CYCLE_1)
	v_cmp_ne_u32_e32 vcc_lo, 0x7f800000, v83
                                        ; implicit-def: $vgpr83
	s_and_saveexec_b32 s3, vcc_lo
	s_xor_b32 s3, exec_lo, s3
; %bb.17:
	v_bfe_u32 v83, v85, 16, 1
	s_delay_alu instid0(VALU_DEP_1)
	v_add3_u32 v83, v85, v83, 0x7fff
                                        ; implicit-def: $vgpr85
; %bb.18:
	s_and_not1_saveexec_b32 s3, s3
; %bb.19:
	v_and_b32_e32 v83, 0xffff, v85
	v_or_b32_e32 v90, 0x10000, v85
	s_delay_alu instid0(VALU_DEP_2) | instskip(NEXT) | instid1(VALU_DEP_2)
	v_cmp_eq_u32_e32 vcc_lo, 0, v83
	v_cndmask_b32_e32 v83, v90, v85, vcc_lo
; %bb.20:
	s_or_b32 exec_lo, exec_lo, s3
	v_and_b32_e32 v85, 0x7f800000, v86
	s_delay_alu instid0(VALU_DEP_1) | instskip(SKIP_1) | instid1(SALU_CYCLE_1)
	v_cmp_ne_u32_e32 vcc_lo, 0x7f800000, v85
                                        ; implicit-def: $vgpr85
	s_and_saveexec_b32 s3, vcc_lo
	s_xor_b32 s3, exec_lo, s3
; %bb.21:
	v_bfe_u32 v85, v86, 16, 1
	s_delay_alu instid0(VALU_DEP_1)
	v_add3_u32 v85, v86, v85, 0x7fff
                                        ; implicit-def: $vgpr86
; %bb.22:
	s_and_not1_saveexec_b32 s3, s3
; %bb.23:
	v_and_b32_e32 v85, 0xffff, v86
	v_or_b32_e32 v90, 0x10000, v86
	s_delay_alu instid0(VALU_DEP_2) | instskip(NEXT) | instid1(VALU_DEP_2)
	v_cmp_eq_u32_e32 vcc_lo, 0, v85
	v_cndmask_b32_e32 v85, v90, v86, vcc_lo
; %bb.24:
	s_or_b32 exec_lo, exec_lo, s3
	v_and_b32_e32 v86, 0x7f800000, v89
	s_delay_alu instid0(VALU_DEP_1) | instskip(SKIP_1) | instid1(SALU_CYCLE_1)
	v_cmp_ne_u32_e32 vcc_lo, 0x7f800000, v86
                                        ; implicit-def: $vgpr86
	s_and_saveexec_b32 s3, vcc_lo
	s_xor_b32 s3, exec_lo, s3
; %bb.25:
	v_bfe_u32 v86, v89, 16, 1
	s_delay_alu instid0(VALU_DEP_1)
	v_add3_u32 v86, v89, v86, 0x7fff
                                        ; implicit-def: $vgpr89
; %bb.26:
	s_and_not1_saveexec_b32 s3, s3
; %bb.27:
	v_and_b32_e32 v86, 0xffff, v89
	v_or_b32_e32 v90, 0x10000, v89
	s_delay_alu instid0(VALU_DEP_2) | instskip(NEXT) | instid1(VALU_DEP_2)
	v_cmp_eq_u32_e32 vcc_lo, 0, v86
	v_cndmask_b32_e32 v86, v90, v89, vcc_lo
; %bb.28:
	s_or_b32 exec_lo, exec_lo, s3
	v_and_b32_e32 v89, 0x7f800000, v88
	s_delay_alu instid0(VALU_DEP_1) | instskip(SKIP_1) | instid1(SALU_CYCLE_1)
	v_cmp_ne_u32_e32 vcc_lo, 0x7f800000, v89
                                        ; implicit-def: $vgpr89
	s_and_saveexec_b32 s3, vcc_lo
	s_xor_b32 s3, exec_lo, s3
; %bb.29:
	v_bfe_u32 v89, v88, 16, 1
	s_delay_alu instid0(VALU_DEP_1)
	v_add3_u32 v89, v88, v89, 0x7fff
                                        ; implicit-def: $vgpr88
; %bb.30:
	s_and_not1_saveexec_b32 s3, s3
; %bb.31:
	v_and_b32_e32 v89, 0xffff, v88
	v_or_b32_e32 v90, 0x10000, v88
	s_delay_alu instid0(VALU_DEP_2) | instskip(NEXT) | instid1(VALU_DEP_2)
	v_cmp_eq_u32_e32 vcc_lo, 0, v89
	v_cndmask_b32_e32 v89, v90, v88, vcc_lo
; %bb.32:
	s_or_b32 exec_lo, exec_lo, s3
	v_and_b32_e32 v88, 0x7f800000, v87
	s_delay_alu instid0(VALU_DEP_1) | instskip(SKIP_1) | instid1(SALU_CYCLE_1)
	v_cmp_ne_u32_e32 vcc_lo, 0x7f800000, v88
                                        ; implicit-def: $vgpr88
	s_and_saveexec_b32 s3, vcc_lo
	s_xor_b32 s3, exec_lo, s3
; %bb.33:
	v_bfe_u32 v88, v87, 16, 1
	s_delay_alu instid0(VALU_DEP_1)
	v_add3_u32 v88, v87, v88, 0x7fff
                                        ; implicit-def: $vgpr87
; %bb.34:
	s_and_not1_saveexec_b32 s3, s3
; %bb.35:
	v_and_b32_e32 v88, 0xffff, v87
	v_or_b32_e32 v90, 0x10000, v87
	s_delay_alu instid0(VALU_DEP_2) | instskip(NEXT) | instid1(VALU_DEP_2)
	v_cmp_eq_u32_e32 vcc_lo, 0, v88
	v_cndmask_b32_e32 v88, v90, v87, vcc_lo
; %bb.36:
	s_or_b32 exec_lo, exec_lo, s3
	v_and_b32_e32 v87, 0x7f800000, v84
	s_delay_alu instid0(VALU_DEP_1) | instskip(SKIP_1) | instid1(SALU_CYCLE_1)
	v_cmp_ne_u32_e32 vcc_lo, 0x7f800000, v87
                                        ; implicit-def: $vgpr87
	s_and_saveexec_b32 s3, vcc_lo
	s_xor_b32 s3, exec_lo, s3
; %bb.37:
	v_bfe_u32 v87, v84, 16, 1
	s_delay_alu instid0(VALU_DEP_1)
	v_add3_u32 v87, v84, v87, 0x7fff
                                        ; implicit-def: $vgpr84
; %bb.38:
	s_and_not1_saveexec_b32 s3, s3
; %bb.39:
	v_and_b32_e32 v87, 0xffff, v84
	v_or_b32_e32 v90, 0x10000, v84
	s_delay_alu instid0(VALU_DEP_2) | instskip(NEXT) | instid1(VALU_DEP_2)
	v_cmp_eq_u32_e32 vcc_lo, 0, v87
	v_cndmask_b32_e32 v87, v90, v84, vcc_lo
; %bb.40:
	s_or_b32 exec_lo, exec_lo, s3
	v_and_b32_e32 v84, 0x7f800000, v80
	s_delay_alu instid0(VALU_DEP_1) | instskip(SKIP_1) | instid1(SALU_CYCLE_1)
	v_cmp_ne_u32_e32 vcc_lo, 0x7f800000, v84
                                        ; implicit-def: $vgpr84
	s_and_saveexec_b32 s3, vcc_lo
	s_xor_b32 s3, exec_lo, s3
; %bb.41:
	v_bfe_u32 v84, v80, 16, 1
	s_delay_alu instid0(VALU_DEP_1)
	v_add3_u32 v84, v80, v84, 0x7fff
                                        ; implicit-def: $vgpr80
; %bb.42:
	s_and_not1_saveexec_b32 s3, s3
; %bb.43:
	v_and_b32_e32 v84, 0xffff, v80
	v_or_b32_e32 v90, 0x10000, v80
	s_delay_alu instid0(VALU_DEP_2) | instskip(NEXT) | instid1(VALU_DEP_2)
	v_cmp_eq_u32_e32 vcc_lo, 0, v84
	v_cndmask_b32_e32 v84, v90, v80, vcc_lo
; %bb.44:
	s_or_b32 exec_lo, exec_lo, s3
	s_load_b64 s[34:35], s[0:1], 0x94
	v_lshlrev_b32_e32 v91, 4, v74
	s_delay_alu instid0(VALU_DEP_2)
	v_perm_b32 v90, v84, v87, 0x7060302
	v_dual_mul_f32 v79, v82, v79 :: v_dual_lshlrev_b32 v80, 6, v65
	v_dual_mul_f32 v77, v82, v77 :: v_dual_lshlrev_b32 v92, 11, v66
	v_mul_f32_e32 v84, v82, v70
	v_perm_b32 v89, v88, v89, 0x7060302
	v_perm_b32 v88, v86, v85, 0x7060302
	;; [unrolled: 1-line block ×3, first 2 shown]
	v_mul_f32_e32 v70, v82, v81
	v_or3_b32 v76, v91, v92, v80
	v_dual_mul_f32 v78, v82, v78 :: v_dual_and_b32 v85, 0x7f800000, v84
	v_mul_f32_e32 v83, v82, v72
	v_mul_f32_e32 v81, v82, v71
	;; [unrolled: 1-line block ×3, first 2 shown]
	s_mov_b32 s3, exec_lo
	ds_store_b128 v76, v[87:90]
                                        ; implicit-def: $vgpr69
	v_cmpx_ne_u32_e32 0x7f800000, v85
	s_xor_b32 s3, exec_lo, s3
; %bb.45:
	v_bfe_u32 v69, v84, 16, 1
	s_delay_alu instid0(VALU_DEP_1)
	v_add3_u32 v69, v84, v69, 0x7fff
                                        ; implicit-def: $vgpr84
; %bb.46:
	s_and_not1_saveexec_b32 s3, s3
; %bb.47:
	v_and_b32_e32 v69, 0xffff, v84
	v_or_b32_e32 v71, 0x10000, v84
	s_delay_alu instid0(VALU_DEP_2) | instskip(NEXT) | instid1(VALU_DEP_2)
	v_cmp_eq_u32_e32 vcc_lo, 0, v69
	v_cndmask_b32_e32 v69, v71, v84, vcc_lo
; %bb.48:
	s_or_b32 exec_lo, exec_lo, s3
	v_and_b32_e32 v71, 0x7f800000, v72
	s_delay_alu instid0(VALU_DEP_1) | instskip(SKIP_1) | instid1(SALU_CYCLE_1)
	v_cmp_ne_u32_e32 vcc_lo, 0x7f800000, v71
                                        ; implicit-def: $vgpr71
	s_and_saveexec_b32 s3, vcc_lo
	s_xor_b32 s3, exec_lo, s3
; %bb.49:
	v_bfe_u32 v71, v72, 16, 1
	s_delay_alu instid0(VALU_DEP_1)
	v_add3_u32 v71, v72, v71, 0x7fff
                                        ; implicit-def: $vgpr72
; %bb.50:
	s_and_not1_saveexec_b32 s3, s3
; %bb.51:
	v_and_b32_e32 v71, 0xffff, v72
	v_or_b32_e32 v82, 0x10000, v72
	s_delay_alu instid0(VALU_DEP_2) | instskip(NEXT) | instid1(VALU_DEP_2)
	v_cmp_eq_u32_e32 vcc_lo, 0, v71
	v_cndmask_b32_e32 v71, v82, v72, vcc_lo
; %bb.52:
	s_or_b32 exec_lo, exec_lo, s3
	v_and_b32_e32 v72, 0x7f800000, v81
	s_delay_alu instid0(VALU_DEP_1) | instskip(SKIP_1) | instid1(SALU_CYCLE_1)
	v_cmp_ne_u32_e32 vcc_lo, 0x7f800000, v72
                                        ; implicit-def: $vgpr72
	s_and_saveexec_b32 s3, vcc_lo
	s_xor_b32 s3, exec_lo, s3
; %bb.53:
	v_bfe_u32 v72, v81, 16, 1
	s_delay_alu instid0(VALU_DEP_1)
	v_add3_u32 v72, v81, v72, 0x7fff
                                        ; implicit-def: $vgpr81
; %bb.54:
	s_and_not1_saveexec_b32 s3, s3
; %bb.55:
	v_and_b32_e32 v72, 0xffff, v81
	v_or_b32_e32 v82, 0x10000, v81
	s_delay_alu instid0(VALU_DEP_2) | instskip(NEXT) | instid1(VALU_DEP_2)
	v_cmp_eq_u32_e32 vcc_lo, 0, v72
	v_cndmask_b32_e32 v72, v82, v81, vcc_lo
; %bb.56:
	s_or_b32 exec_lo, exec_lo, s3
	v_and_b32_e32 v81, 0x7f800000, v83
	s_delay_alu instid0(VALU_DEP_1) | instskip(SKIP_1) | instid1(SALU_CYCLE_1)
	v_cmp_ne_u32_e32 vcc_lo, 0x7f800000, v81
                                        ; implicit-def: $vgpr81
	s_and_saveexec_b32 s3, vcc_lo
	s_xor_b32 s3, exec_lo, s3
; %bb.57:
	v_bfe_u32 v81, v83, 16, 1
	s_delay_alu instid0(VALU_DEP_1)
	v_add3_u32 v81, v83, v81, 0x7fff
                                        ; implicit-def: $vgpr83
; %bb.58:
	s_and_not1_saveexec_b32 s3, s3
; %bb.59:
	v_and_b32_e32 v81, 0xffff, v83
	v_or_b32_e32 v82, 0x10000, v83
	s_delay_alu instid0(VALU_DEP_2) | instskip(NEXT) | instid1(VALU_DEP_2)
	v_cmp_eq_u32_e32 vcc_lo, 0, v81
	v_cndmask_b32_e32 v81, v82, v83, vcc_lo
; %bb.60:
	s_or_b32 exec_lo, exec_lo, s3
	v_and_b32_e32 v82, 0x7f800000, v77
	s_delay_alu instid0(VALU_DEP_1) | instskip(SKIP_1) | instid1(SALU_CYCLE_1)
	v_cmp_ne_u32_e32 vcc_lo, 0x7f800000, v82
                                        ; implicit-def: $vgpr82
	s_and_saveexec_b32 s3, vcc_lo
	s_xor_b32 s3, exec_lo, s3
; %bb.61:
	v_bfe_u32 v82, v77, 16, 1
	s_delay_alu instid0(VALU_DEP_1)
	v_add3_u32 v82, v77, v82, 0x7fff
                                        ; implicit-def: $vgpr77
; %bb.62:
	s_and_not1_saveexec_b32 s3, s3
; %bb.63:
	v_and_b32_e32 v82, 0xffff, v77
	v_or_b32_e32 v83, 0x10000, v77
	s_delay_alu instid0(VALU_DEP_2) | instskip(NEXT) | instid1(VALU_DEP_2)
	v_cmp_eq_u32_e32 vcc_lo, 0, v82
	v_cndmask_b32_e32 v82, v83, v77, vcc_lo
; %bb.64:
	s_or_b32 exec_lo, exec_lo, s3
	v_and_b32_e32 v77, 0x7f800000, v78
	s_delay_alu instid0(VALU_DEP_1) | instskip(SKIP_1) | instid1(SALU_CYCLE_1)
	v_cmp_ne_u32_e32 vcc_lo, 0x7f800000, v77
                                        ; implicit-def: $vgpr77
	s_and_saveexec_b32 s3, vcc_lo
	s_xor_b32 s3, exec_lo, s3
; %bb.65:
	v_bfe_u32 v77, v78, 16, 1
	s_delay_alu instid0(VALU_DEP_1)
	v_add3_u32 v77, v78, v77, 0x7fff
                                        ; implicit-def: $vgpr78
; %bb.66:
	s_and_not1_saveexec_b32 s3, s3
; %bb.67:
	v_and_b32_e32 v77, 0xffff, v78
	v_or_b32_e32 v83, 0x10000, v78
	s_delay_alu instid0(VALU_DEP_2) | instskip(NEXT) | instid1(VALU_DEP_2)
	v_cmp_eq_u32_e32 vcc_lo, 0, v77
	v_cndmask_b32_e32 v77, v83, v78, vcc_lo
; %bb.68:
	s_or_b32 exec_lo, exec_lo, s3
	v_and_b32_e32 v78, 0x7f800000, v79
	s_delay_alu instid0(VALU_DEP_1) | instskip(SKIP_1) | instid1(SALU_CYCLE_1)
	v_cmp_ne_u32_e32 vcc_lo, 0x7f800000, v78
                                        ; implicit-def: $vgpr78
	s_and_saveexec_b32 s3, vcc_lo
	s_xor_b32 s3, exec_lo, s3
; %bb.69:
	v_bfe_u32 v78, v79, 16, 1
	s_delay_alu instid0(VALU_DEP_1)
	v_add3_u32 v78, v79, v78, 0x7fff
                                        ; implicit-def: $vgpr79
; %bb.70:
	s_and_not1_saveexec_b32 s3, s3
; %bb.71:
	v_and_b32_e32 v78, 0xffff, v79
	v_or_b32_e32 v83, 0x10000, v79
	s_delay_alu instid0(VALU_DEP_2) | instskip(NEXT) | instid1(VALU_DEP_2)
	v_cmp_eq_u32_e32 vcc_lo, 0, v78
	v_cndmask_b32_e32 v78, v83, v79, vcc_lo
; %bb.72:
	s_or_b32 exec_lo, exec_lo, s3
	v_and_b32_e32 v79, 0x7f800000, v70
	s_delay_alu instid0(VALU_DEP_1) | instskip(SKIP_1) | instid1(SALU_CYCLE_1)
	v_cmp_ne_u32_e32 vcc_lo, 0x7f800000, v79
                                        ; implicit-def: $vgpr79
	s_and_saveexec_b32 s3, vcc_lo
	s_xor_b32 s3, exec_lo, s3
; %bb.73:
	v_bfe_u32 v79, v70, 16, 1
	s_delay_alu instid0(VALU_DEP_1)
	v_add3_u32 v79, v70, v79, 0x7fff
                                        ; implicit-def: $vgpr70
; %bb.74:
	s_and_not1_saveexec_b32 s3, s3
; %bb.75:
	v_and_b32_e32 v79, 0xffff, v70
	v_or_b32_e32 v83, 0x10000, v70
	s_delay_alu instid0(VALU_DEP_2) | instskip(NEXT) | instid1(VALU_DEP_2)
	v_cmp_eq_u32_e32 vcc_lo, 0, v79
	v_cndmask_b32_e32 v79, v83, v70, vcc_lo
; %bb.76:
	s_or_b32 exec_lo, exec_lo, s3
	s_delay_alu instid0(VALU_DEP_1)
	v_perm_b32 v86, v79, v78, 0x7060302
	v_perm_b32 v85, v77, v82, 0x7060302
	;; [unrolled: 1-line block ×4, first 2 shown]
	v_lshl_or_b32 v82, v66, 11, v80
	ds_store_b128 v76, v[83:86] offset:1024
	s_waitcnt lgkmcnt(0)
	s_barrier
	buffer_gl0_inv
	ds_load_b128 v[69:72], v82
	ds_load_b128 v[83:86], v82 offset:16
	s_waitcnt lgkmcnt(1)
	v_lshrrev_b32_e32 v66, 16, v69
	s_waitcnt lgkmcnt(0)
	v_lshrrev_b32_e32 v91, 16, v83
	v_lshlrev_b32_e32 v78, 2, v74
	v_lshrrev_b32_e32 v95, 16, v70
	v_lshrrev_b32_e32 v98, 16, v84
	;; [unrolled: 1-line block ×4, first 2 shown]
	v_cmp_eq_u32_e32 vcc_lo, 1, v78
	v_lshrrev_b32_e32 v97, 16, v72
	v_lshrrev_b32_e32 v100, 16, v86
	v_cndmask_b32_e32 v87, v83, v91, vcc_lo
	v_or_b32_e32 v79, 1, v78
	v_cndmask_b32_e32 v81, v69, v66, vcc_lo
	v_cmp_eq_u32_e64 s4, 2, v78
	v_cmp_eq_u32_e64 s7, 3, v78
	;; [unrolled: 1-line block ×5, first 2 shown]
	v_cndmask_b32_e64 v81, v81, v70, s4
	v_cndmask_b32_e64 v87, v87, v84, s4
	v_cmp_eq_u32_e64 s8, 3, v79
	v_cndmask_b32_e64 v88, v69, v66, s3
	v_or_b32_e32 v77, 2, v78
	v_cndmask_b32_e64 v81, v81, v95, s7
	v_cndmask_b32_e64 v87, v87, v98, s7
	;; [unrolled: 1-line block ×4, first 2 shown]
	v_cmp_eq_u32_e64 s10, 5, v78
	v_cndmask_b32_e64 v81, v81, v71, s9
	v_cndmask_b32_e64 v87, v87, v85, s9
	v_cmp_eq_u32_e64 s11, 4, v79
	v_cndmask_b32_e64 v88, v88, v95, s8
	v_cmp_eq_u32_e64 s5, 1, v77
	v_cndmask_b32_e64 v89, v89, v84, s6
	v_cndmask_b32_e64 v81, v81, v96, s10
	v_cmp_eq_u32_e64 s12, 6, v78
	v_cndmask_b32_e64 v88, v88, v71, s11
	;; [unrolled: 3-line block ×3, first 2 shown]
	v_cndmask_b32_e64 v89, v89, v98, s8
	v_cndmask_b32_e64 v81, v81, v72, s12
	v_cmp_eq_u32_e64 s15, 7, v78
	v_cndmask_b32_e64 v88, v88, v96, s13
	v_cndmask_b32_e64 v87, v87, v86, s12
	v_cmp_eq_u32_e64 s16, 6, v79
	v_cmp_eq_u32_e64 s17, 2, v77
	v_cndmask_b32_e64 v89, v89, v85, s11
	v_cndmask_b32_e64 v101, v81, v97, s15
	;; [unrolled: 1-line block ×6, first 2 shown]
	v_cmp_eq_u32_e64 s18, 7, v79
	v_cmp_eq_u32_e64 s19, 3, v77
	v_cmp_eq_u32_e64 s20, 4, v77
	v_cmp_eq_u32_e64 s22, 5, v77
	v_cndmask_b32_e64 v87, v87, v84, s17
	v_cndmask_b32_e64 v103, v88, v97, s18
	;; [unrolled: 1-line block ×4, first 2 shown]
	v_or_b32_e32 v81, 3, v78
	v_cndmask_b32_e64 v93, v87, v98, s19
	v_cmp_eq_u32_e64 s24, 6, v77
	v_cndmask_b32_e64 v104, v88, v86, s16
	v_cndmask_b32_e64 v92, v89, v71, s20
	v_cmp_eq_u32_e64 s21, 1, v81
	ds_load_b128 v[87:90], v82 offset:1024
	v_cmp_eq_u32_e64 s23, 2, v81
	v_cmp_eq_u32_e64 s25, 3, v81
	v_cndmask_b32_e64 v105, v92, v96, s22
	v_cndmask_b32_e64 v66, v69, v66, s21
	;; [unrolled: 1-line block ×4, first 2 shown]
	ds_load_b128 v[91:94], v82 offset:1040
	v_cmp_eq_u32_e64 s26, 4, v81
	v_cndmask_b32_e64 v66, v66, v70, s23
	v_cmp_eq_u32_e64 s27, 7, v77
	v_cndmask_b32_e64 v70, v83, v84, s23
	v_cndmask_b32_e64 v84, v105, v72, s24
	v_cmp_eq_u32_e64 s28, 5, v81
	v_cndmask_b32_e64 v66, v66, v95, s25
	v_cmp_eq_u32_e64 s29, 6, v81
	v_cndmask_b32_e64 v70, v70, v98, s25
	v_cndmask_b32_e64 v69, v69, v99, s22
	;; [unrolled: 1-line block ×4, first 2 shown]
	s_waitcnt lgkmcnt(1)
	v_lshrrev_b32_e32 v95, 16, v87
	v_cndmask_b32_e64 v70, v70, v85, s26
	v_cndmask_b32_e64 v71, v84, v97, s27
	;; [unrolled: 1-line block ×4, first 2 shown]
	v_cndmask_b32_e32 v84, v87, v95, vcc_lo
	v_cndmask_b32_e64 v70, v70, v99, s28
	s_waitcnt lgkmcnt(0)
	v_lshrrev_b32_e32 v85, 16, v91
	v_lshrrev_b32_e32 v96, 16, v88
	v_cndmask_b32_e64 v98, v87, v95, s3
	v_cndmask_b32_e64 v84, v84, v88, s4
	;; [unrolled: 1-line block ×3, first 2 shown]
	v_cndmask_b32_e32 v99, v91, v85, vcc_lo
	v_cmp_eq_u32_e32 vcc_lo, 7, v81
	v_cndmask_b32_e64 v66, v66, v72, s29
	v_cndmask_b32_e64 v72, v84, v96, s7
	;; [unrolled: 1-line block ×3, first 2 shown]
	v_lshrrev_b32_e32 v98, 16, v92
	v_cndmask_b32_e32 v70, v70, v100, vcc_lo
	v_cndmask_b32_e64 v86, v99, v92, s4
	v_cndmask_b32_e64 v69, v69, v100, s27
	v_lshrrev_b32_e32 v100, 16, v93
	v_cndmask_b32_e64 v72, v72, v89, s9
	v_lshrrev_b32_e32 v99, 16, v89
	v_cndmask_b32_e64 v86, v86, v98, s7
	v_perm_b32 v71, v69, v71, 0x5040100
	v_cndmask_b32_e64 v84, v84, v96, s8
	s_delay_alu instid0(VALU_DEP_3) | instskip(NEXT) | instid1(VALU_DEP_2)
	v_cndmask_b32_e64 v86, v86, v93, s9
	v_cndmask_b32_e64 v84, v84, v89, s11
	s_delay_alu instid0(VALU_DEP_2) | instskip(NEXT) | instid1(VALU_DEP_1)
	v_cndmask_b32_e64 v86, v86, v100, s10
	v_cndmask_b32_e64 v69, v86, v94, s12
	;; [unrolled: 1-line block ×5, first 2 shown]
	s_delay_alu instid0(VALU_DEP_3) | instskip(NEXT) | instid1(VALU_DEP_3)
	v_cndmask_b32_e64 v86, v86, v88, s17
	v_cndmask_b32_e64 v87, v87, v88, s23
	s_delay_alu instid0(VALU_DEP_3) | instskip(NEXT) | instid1(VALU_DEP_3)
	v_cndmask_b32_e64 v88, v95, v92, s23
	v_cndmask_b32_e64 v86, v86, v96, s19
	;; [unrolled: 3-line block ×7, first 2 shown]
	s_delay_alu instid0(VALU_DEP_3) | instskip(SKIP_2) | instid1(VALU_DEP_2)
	v_cndmask_b32_e64 v88, v88, v94, s29
	v_cndmask_b32_e32 v66, v66, v97, vcc_lo
	v_cndmask_b32_e64 v97, v72, v99, s10
	v_perm_b32 v72, v70, v66, 0x5040100
	v_perm_b32 v70, v83, v103, 0x5040100
	v_cndmask_b32_e64 v103, v91, v85, s5
	v_cndmask_b32_e64 v85, v91, v85, s3
	;; [unrolled: 1-line block ×4, first 2 shown]
	v_lshrrev_b32_e32 v97, 16, v90
	v_cndmask_b32_e64 v91, v103, v92, s17
	v_cndmask_b32_e64 v85, v85, v92, s6
	;; [unrolled: 1-line block ×3, first 2 shown]
	s_mov_b32 s3, exec_lo
	v_cndmask_b32_e64 v83, v84, v97, s15
	v_cndmask_b32_e64 v91, v91, v98, s19
	;; [unrolled: 1-line block ×3, first 2 shown]
	v_lshrrev_b32_e32 v84, 16, v94
	v_cndmask_b32_e64 v66, v66, v97, s18
	v_cndmask_b32_e64 v90, v86, v97, s27
	;; [unrolled: 1-line block ×4, first 2 shown]
	v_dual_cndmask_b32 v86, v87, v97 :: v_dual_cndmask_b32 v87, v88, v84
	v_cndmask_b32_e64 v91, v69, v84, s15
	s_delay_alu instid0(VALU_DEP_4) | instskip(NEXT) | instid1(VALU_DEP_4)
	v_cndmask_b32_e64 v89, v89, v100, s22
	v_cndmask_b32_e64 v85, v85, v100, s13
	v_perm_b32 v69, v102, v101, 0x5040100
	v_perm_b32 v86, v87, v86, 0x5040100
	;; [unrolled: 1-line block ×3, first 2 shown]
	v_cndmask_b32_e64 v89, v89, v94, s24
	v_cndmask_b32_e64 v85, v85, v94, s16
	s_mul_i32 s8, s35, 11
	s_delay_alu instid0(VALU_DEP_2) | instskip(NEXT) | instid1(VALU_DEP_2)
	v_cndmask_b32_e64 v88, v89, v84, s27
	v_cndmask_b32_e64 v89, v85, v84, s18
	s_delay_alu instid0(VALU_DEP_2) | instskip(NEXT) | instid1(VALU_DEP_2)
	v_perm_b32 v85, v88, v90, 0x5040100
	v_perm_b32 v84, v89, v66, 0x5040100
	ds_store_b128 v76, v[69:72]
	ds_store_b128 v76, v[83:86] offset:1024
	v_cmpx_gt_u32_e32 11, v0
	s_cbranch_execz .LBB1656_78
; %bb.77:
	s_mul_i32 s4, s8, s30
	s_delay_alu instid0(SALU_CYCLE_1) | instskip(SKIP_1) | instid1(VALU_DEP_1)
	v_add3_u32 v69, s4, s31, v65
	s_load_b128 s[4:7], s[0:1], 0x58
	v_mad_u64_u32 v[65:66], null, v69, s34, s[14:15]
	s_delay_alu instid0(VALU_DEP_1) | instskip(NEXT) | instid1(VALU_DEP_1)
	v_ashrrev_i32_e32 v66, 31, v65
	v_lshlrev_b64 v[65:66], 2, v[65:66]
	s_waitcnt lgkmcnt(0)
	s_delay_alu instid0(VALU_DEP_1) | instskip(NEXT) | instid1(VALU_DEP_2)
	v_add_co_u32 v69, vcc_lo, s6, v65
	v_add_co_ci_u32_e32 v70, vcc_lo, s7, v66, vcc_lo
	v_add_co_u32 v65, vcc_lo, s4, v65
	v_add_co_ci_u32_e32 v66, vcc_lo, s5, v66, vcc_lo
	global_store_b32 v[69:70], v67, off
	global_store_b32 v[65:66], v68, off
.LBB1656_78:
	s_or_b32 exec_lo, exec_lo, s3
	s_waitcnt lgkmcnt(0)
	s_waitcnt_vscnt null, 0x0
	s_barrier
	buffer_gl0_inv
	ds_load_b128 v[83:86], v80
	ds_load_b128 v[87:90], v80 offset:16
	ds_load_b128 v[95:98], v80 offset:2064
	;; [unrolled: 1-line block ×3, first 2 shown]
	v_mov_b32_e32 v65, 0
	ds_load_b128 v[103:106], v80 offset:4112
	ds_load_b128 v[99:102], v80 offset:4096
	;; [unrolled: 1-line block ×4, first 2 shown]
	v_mov_b32_e32 v66, v65
	v_mov_b32_e32 v67, v65
	;; [unrolled: 1-line block ×7, first 2 shown]
	s_waitcnt lgkmcnt(6)
	s_delay_alu instid0(VALU_DEP_1)
	v_wmma_f32_16x16x16_bf16 v[65:72], v[49:56], v[83:90], v[65:72]
	ds_load_b128 v[53:56], v80 offset:8208
	ds_load_b128 v[49:52], v80 offset:8192
	s_waitcnt lgkmcnt(6)
	v_wmma_f32_16x16x16_bf16 v[65:72], v[41:48], v[91:98], v[65:72]
	ds_load_b128 v[45:48], v80 offset:10256
	ds_load_b128 v[41:44], v80 offset:10240
	s_waitcnt lgkmcnt(6)
	;; [unrolled: 4-line block ×4, first 2 shown]
	v_wmma_f32_16x16x16_bf16 v[65:72], v[1:8], v[49:56], v[65:72]
	s_waitcnt lgkmcnt(4)
	s_delay_alu instid0(VALU_DEP_1) | instskip(SKIP_1) | instid1(VALU_DEP_1)
	v_wmma_f32_16x16x16_bf16 v[65:72], v[9:16], v[41:48], v[65:72]
	s_waitcnt lgkmcnt(2)
	v_wmma_f32_16x16x16_bf16 v[65:72], v[17:24], v[33:40], v[65:72]
	s_waitcnt lgkmcnt(0)
	s_delay_alu instid0(VALU_DEP_1) | instskip(NEXT) | instid1(VALU_DEP_1)
	v_wmma_f32_16x16x16_bf16 v[65:72], v[57:64], v[25:32], v[65:72]
	v_and_b32_e32 v1, 0x7f800000, v65
	s_delay_alu instid0(VALU_DEP_1) | instskip(SKIP_1) | instid1(SALU_CYCLE_1)
	v_cmp_ne_u32_e32 vcc_lo, 0x7f800000, v1
                                        ; implicit-def: $vgpr1
	s_and_saveexec_b32 s3, vcc_lo
	s_xor_b32 s3, exec_lo, s3
; %bb.79:
	v_bfe_u32 v1, v65, 16, 1
	s_delay_alu instid0(VALU_DEP_1)
	v_add3_u32 v1, v65, v1, 0x7fff
; %bb.80:
	s_and_not1_saveexec_b32 s3, s3
; %bb.81:
	v_and_b32_e32 v1, 0xffff, v65
	v_or_b32_e32 v2, 0x10000, v65
	s_delay_alu instid0(VALU_DEP_2) | instskip(NEXT) | instid1(VALU_DEP_2)
	v_cmp_eq_u32_e32 vcc_lo, 0, v1
	v_cndmask_b32_e32 v1, v2, v65, vcc_lo
; %bb.82:
	s_or_b32 exec_lo, exec_lo, s3
	v_and_b32_e32 v2, 0x7f800000, v66
	s_delay_alu instid0(VALU_DEP_1) | instskip(SKIP_1) | instid1(SALU_CYCLE_1)
	v_cmp_ne_u32_e32 vcc_lo, 0x7f800000, v2
                                        ; implicit-def: $vgpr2
	s_and_saveexec_b32 s3, vcc_lo
	s_xor_b32 s3, exec_lo, s3
; %bb.83:
	v_bfe_u32 v2, v66, 16, 1
	s_delay_alu instid0(VALU_DEP_1)
	v_add3_u32 v2, v66, v2, 0x7fff
; %bb.84:
	s_and_not1_saveexec_b32 s3, s3
; %bb.85:
	v_and_b32_e32 v2, 0xffff, v66
	v_or_b32_e32 v3, 0x10000, v66
	s_delay_alu instid0(VALU_DEP_2) | instskip(NEXT) | instid1(VALU_DEP_2)
	v_cmp_eq_u32_e32 vcc_lo, 0, v2
	v_cndmask_b32_e32 v2, v3, v66, vcc_lo
; %bb.86:
	s_or_b32 exec_lo, exec_lo, s3
	v_and_b32_e32 v3, 0x7f800000, v67
	s_delay_alu instid0(VALU_DEP_1) | instskip(SKIP_1) | instid1(SALU_CYCLE_1)
	v_cmp_ne_u32_e32 vcc_lo, 0x7f800000, v3
                                        ; implicit-def: $vgpr3
	s_and_saveexec_b32 s3, vcc_lo
	s_xor_b32 s3, exec_lo, s3
; %bb.87:
	v_bfe_u32 v3, v67, 16, 1
	s_delay_alu instid0(VALU_DEP_1)
	v_add3_u32 v3, v67, v3, 0x7fff
; %bb.88:
	s_and_not1_saveexec_b32 s3, s3
; %bb.89:
	v_and_b32_e32 v3, 0xffff, v67
	v_or_b32_e32 v4, 0x10000, v67
	s_delay_alu instid0(VALU_DEP_2) | instskip(NEXT) | instid1(VALU_DEP_2)
	v_cmp_eq_u32_e32 vcc_lo, 0, v3
	v_cndmask_b32_e32 v3, v4, v67, vcc_lo
; %bb.90:
	s_or_b32 exec_lo, exec_lo, s3
	v_and_b32_e32 v4, 0x7f800000, v68
	s_delay_alu instid0(VALU_DEP_1) | instskip(SKIP_1) | instid1(SALU_CYCLE_1)
	v_cmp_ne_u32_e32 vcc_lo, 0x7f800000, v4
                                        ; implicit-def: $vgpr4
	s_and_saveexec_b32 s3, vcc_lo
	s_xor_b32 s3, exec_lo, s3
; %bb.91:
	v_bfe_u32 v4, v68, 16, 1
	s_delay_alu instid0(VALU_DEP_1)
	v_add3_u32 v4, v68, v4, 0x7fff
; %bb.92:
	s_and_not1_saveexec_b32 s3, s3
; %bb.93:
	v_and_b32_e32 v4, 0xffff, v68
	v_or_b32_e32 v5, 0x10000, v68
	s_delay_alu instid0(VALU_DEP_2) | instskip(NEXT) | instid1(VALU_DEP_2)
	v_cmp_eq_u32_e32 vcc_lo, 0, v4
	v_cndmask_b32_e32 v4, v5, v68, vcc_lo
; %bb.94:
	s_or_b32 exec_lo, exec_lo, s3
	v_and_b32_e32 v5, 0x7f800000, v69
	s_delay_alu instid0(VALU_DEP_1) | instskip(SKIP_1) | instid1(SALU_CYCLE_1)
	v_cmp_ne_u32_e32 vcc_lo, 0x7f800000, v5
                                        ; implicit-def: $vgpr5
	s_and_saveexec_b32 s3, vcc_lo
	s_xor_b32 s3, exec_lo, s3
; %bb.95:
	v_bfe_u32 v5, v69, 16, 1
	s_delay_alu instid0(VALU_DEP_1)
	v_add3_u32 v5, v69, v5, 0x7fff
; %bb.96:
	s_and_not1_saveexec_b32 s3, s3
; %bb.97:
	v_and_b32_e32 v5, 0xffff, v69
	v_or_b32_e32 v6, 0x10000, v69
	s_delay_alu instid0(VALU_DEP_2) | instskip(NEXT) | instid1(VALU_DEP_2)
	v_cmp_eq_u32_e32 vcc_lo, 0, v5
	v_cndmask_b32_e32 v5, v6, v69, vcc_lo
; %bb.98:
	s_or_b32 exec_lo, exec_lo, s3
	v_and_b32_e32 v6, 0x7f800000, v70
	s_delay_alu instid0(VALU_DEP_1) | instskip(SKIP_1) | instid1(SALU_CYCLE_1)
	v_cmp_ne_u32_e32 vcc_lo, 0x7f800000, v6
                                        ; implicit-def: $vgpr6
	s_and_saveexec_b32 s3, vcc_lo
	s_xor_b32 s3, exec_lo, s3
; %bb.99:
	v_bfe_u32 v6, v70, 16, 1
	s_delay_alu instid0(VALU_DEP_1)
	v_add3_u32 v6, v70, v6, 0x7fff
; %bb.100:
	s_and_not1_saveexec_b32 s3, s3
; %bb.101:
	v_and_b32_e32 v6, 0xffff, v70
	v_or_b32_e32 v7, 0x10000, v70
	s_delay_alu instid0(VALU_DEP_2) | instskip(NEXT) | instid1(VALU_DEP_2)
	v_cmp_eq_u32_e32 vcc_lo, 0, v6
	v_cndmask_b32_e32 v6, v7, v70, vcc_lo
; %bb.102:
	s_or_b32 exec_lo, exec_lo, s3
	v_and_b32_e32 v7, 0x7f800000, v71
	s_delay_alu instid0(VALU_DEP_1) | instskip(SKIP_1) | instid1(SALU_CYCLE_1)
	v_cmp_ne_u32_e32 vcc_lo, 0x7f800000, v7
                                        ; implicit-def: $vgpr7
	s_and_saveexec_b32 s3, vcc_lo
	s_xor_b32 s3, exec_lo, s3
; %bb.103:
	v_bfe_u32 v7, v71, 16, 1
	s_delay_alu instid0(VALU_DEP_1)
	v_add3_u32 v7, v71, v7, 0x7fff
; %bb.104:
	s_and_not1_saveexec_b32 s3, s3
; %bb.105:
	v_and_b32_e32 v7, 0xffff, v71
	v_or_b32_e32 v8, 0x10000, v71
	s_delay_alu instid0(VALU_DEP_2) | instskip(NEXT) | instid1(VALU_DEP_2)
	v_cmp_eq_u32_e32 vcc_lo, 0, v7
	v_cndmask_b32_e32 v7, v8, v71, vcc_lo
; %bb.106:
	s_or_b32 exec_lo, exec_lo, s3
	v_and_b32_e32 v8, 0x7f800000, v72
	s_delay_alu instid0(VALU_DEP_1) | instskip(SKIP_1) | instid1(SALU_CYCLE_1)
	v_cmp_ne_u32_e32 vcc_lo, 0x7f800000, v8
                                        ; implicit-def: $vgpr8
	s_and_saveexec_b32 s3, vcc_lo
	s_xor_b32 s3, exec_lo, s3
; %bb.107:
	v_bfe_u32 v8, v72, 16, 1
	s_delay_alu instid0(VALU_DEP_1)
	v_add3_u32 v8, v72, v8, 0x7fff
                                        ; implicit-def: $vgpr65_vgpr66_vgpr67_vgpr68_vgpr69_vgpr70_vgpr71_vgpr72
; %bb.108:
	s_and_not1_saveexec_b32 s3, s3
; %bb.109:
	v_and_b32_e32 v8, 0xffff, v72
	v_or_b32_e32 v9, 0x10000, v72
	s_delay_alu instid0(VALU_DEP_2) | instskip(NEXT) | instid1(VALU_DEP_2)
	v_cmp_eq_u32_e32 vcc_lo, 0, v8
	v_cndmask_b32_e32 v8, v9, v72, vcc_lo
; %bb.110:
	s_or_b32 exec_lo, exec_lo, s3
	s_delay_alu instid0(VALU_DEP_1)
	v_perm_b32 v7, v8, v7, 0x7060302
	v_perm_b32 v6, v6, v5, 0x7060302
	;; [unrolled: 1-line block ×4, first 2 shown]
	s_barrier
	buffer_gl0_inv
	v_cmp_eq_u32_e32 vcc_lo, 1, v78
	ds_store_b128 v76, v[4:7]
	s_waitcnt lgkmcnt(0)
	s_barrier
	buffer_gl0_inv
	ds_load_b128 v[1:4], v82
	ds_load_b128 v[5:8], v82 offset:16
	v_cmp_eq_u32_e64 s3, 1, v79
	v_cmp_eq_u32_e64 s4, 2, v78
	;; [unrolled: 1-line block ×5, first 2 shown]
	s_waitcnt lgkmcnt(1)
	v_lshrrev_b32_e32 v9, 16, v1
	s_waitcnt lgkmcnt(0)
	v_lshrrev_b32_e32 v13, 16, v5
	v_lshrrev_b32_e32 v10, 16, v2
	;; [unrolled: 1-line block ×4, first 2 shown]
	v_cndmask_b32_e64 v19, v1, v9, s3
	v_cndmask_b32_e32 v18, v5, v13, vcc_lo
	v_cndmask_b32_e64 v20, v5, v13, s3
	v_cndmask_b32_e32 v17, v1, v9, vcc_lo
	v_cmp_eq_u32_e32 vcc_lo, 2, v79
	v_lshrrev_b32_e32 v15, 16, v7
	v_cmp_eq_u32_e64 s3, 1, v77
	v_lshrrev_b32_e32 v12, 16, v4
	v_lshrrev_b32_e32 v16, 16, v8
	v_cndmask_b32_e32 v20, v20, v6, vcc_lo
	v_cndmask_b32_e64 v17, v17, v2, s4
	v_cndmask_b32_e32 v19, v19, v2, vcc_lo
	v_cndmask_b32_e64 v18, v18, v6, s4
	v_cmp_eq_u32_e32 vcc_lo, 4, v78
	v_cmp_eq_u32_e64 s4, 3, v79
	v_cndmask_b32_e64 v17, v17, v10, s5
	v_cndmask_b32_e64 v21, v1, v9, s3
	;; [unrolled: 1-line block ×5, first 2 shown]
	v_cndmask_b32_e32 v17, v17, v3, vcc_lo
	v_cndmask_b32_e64 v20, v20, v14, s4
	v_cndmask_b32_e32 v18, v18, v7, vcc_lo
	v_cmp_eq_u32_e32 vcc_lo, 4, v79
	v_cmp_eq_u32_e64 s4, 5, v79
	v_cmp_eq_u32_e64 s3, 2, v81
	v_cndmask_b32_e64 v21, v21, v2, s7
	v_cmp_eq_u32_e64 s5, 5, v78
	v_cndmask_b32_e32 v19, v19, v3, vcc_lo
	v_cndmask_b32_e32 v20, v20, v7, vcc_lo
	v_cmp_eq_u32_e32 vcc_lo, 6, v79
	s_delay_alu instid0(VALU_DEP_4) | instskip(NEXT) | instid1(VALU_DEP_4)
	v_cndmask_b32_e64 v17, v17, v11, s5
	v_cndmask_b32_e64 v19, v19, v11, s4
	s_delay_alu instid0(VALU_DEP_4) | instskip(SKIP_1) | instid1(VALU_DEP_3)
	v_cndmask_b32_e64 v20, v20, v15, s4
	v_cmp_eq_u32_e64 s4, 1, v81
	v_cndmask_b32_e32 v19, v19, v4, vcc_lo
	v_cndmask_b32_e64 v18, v18, v15, s5
	s_delay_alu instid0(VALU_DEP_3)
	v_cndmask_b32_e64 v1, v1, v9, s4
	v_cndmask_b32_e64 v5, v5, v13, s4
	v_cmp_eq_u32_e64 s4, 3, v77
	v_cndmask_b32_e64 v13, v22, v6, s7
	v_cmp_eq_u32_e64 s7, 3, v81
	v_cndmask_b32_e64 v1, v1, v2, s3
	v_cndmask_b32_e64 v2, v5, v6, s3
	;; [unrolled: 1-line block ×3, first 2 shown]
	v_cmp_eq_u32_e64 s3, 4, v77
	v_cndmask_b32_e64 v6, v13, v14, s4
	v_cndmask_b32_e64 v1, v1, v10, s7
	v_cmp_eq_u32_e64 s4, 4, v81
	v_cndmask_b32_e64 v2, v2, v14, s7
	v_cndmask_b32_e64 v5, v9, v3, s3
	v_cmp_eq_u32_e64 s7, 5, v77
	v_cndmask_b32_e64 v6, v6, v7, s3
	v_cndmask_b32_e64 v1, v1, v3, s4
	v_cndmask_b32_e64 v2, v2, v7, s4
	v_cmp_eq_u32_e64 s3, 5, v81
	v_cmp_eq_u32_e64 s5, 6, v78
	v_cndmask_b32_e64 v5, v5, v11, s7
	v_cmp_eq_u32_e64 s4, 6, v77
	v_cndmask_b32_e64 v3, v6, v15, s7
	v_cndmask_b32_e64 v1, v1, v11, s3
	v_cmp_eq_u32_e64 s7, 6, v81
	v_cndmask_b32_e64 v2, v2, v15, s3
	v_cndmask_b32_e64 v17, v17, v4, s5
	v_cndmask_b32_e64 v18, v18, v8, s5
	v_cmp_eq_u32_e64 s5, 7, v78
	v_cndmask_b32_e64 v5, v5, v4, s4
	;; [unrolled: 4-line block ×3, first 2 shown]
	v_cmp_eq_u32_e64 s4, 7, v77
	v_cndmask_b32_e32 v4, v20, v8, vcc_lo
	v_cndmask_b32_e64 v17, v17, v12, s5
	v_cndmask_b32_e64 v19, v19, v12, s6
	v_cndmask_b32_e64 v1, v1, v12, s3
	v_cndmask_b32_e64 v5, v5, v12, s4
	v_cndmask_b32_e64 v2, v2, v16, s3
	v_cndmask_b32_e64 v3, v3, v16, s4
	v_cndmask_b32_e64 v6, v4, v16, s6
	v_cndmask_b32_e64 v7, v18, v16, s5
	s_mov_b32 s3, exec_lo
	v_perm_b32 v4, v2, v1, 0x5040100
	v_perm_b32 v3, v3, v5, 0x5040100
	;; [unrolled: 1-line block ×4, first 2 shown]
	ds_store_b128 v76, v[1:4]
	s_waitcnt lgkmcnt(0)
	s_barrier
	buffer_gl0_inv
	v_cmpx_gt_u32_e32 32, v0
	s_cbranch_execz .LBB1656_2
; %bb.111:
	s_load_b64 s[4:5], s[0:1], 0x68
	v_lshlrev_b32_e32 v0, 10, v0
	v_lshlrev_b32_e32 v1, 4, v75
	s_lshl_b32 s0, s34, 7
	v_add_nc_u32_e32 v7, s31, v74
	s_mul_i32 s1, s0, s30
	s_delay_alu instid0(SALU_CYCLE_1) | instskip(SKIP_1) | instid1(VALU_DEP_2)
	s_mul_i32 s6, s1, s8
	v_and_or_b32 v0, 0x3800, v0, v1
	v_mul_lo_u32 v1, v7, s0
	v_add_nc_u32_e32 v2, 2, v7
	s_ashr_i32 s7, s6, 31
	v_add_nc_u32_e32 v4, 4, v7
	s_lshl_b64 s[6:7], s[6:7], 1
	v_add_nc_u32_e32 v8, 6, v7
	v_mul_lo_u32 v3, v2, s0
	v_lshl_or_b32 v19, v74, 6, v0
	v_ashrrev_i32_e32 v2, 31, v1
	v_mul_lo_u32 v11, v4, s0
	v_mul_lo_u32 v25, v8, s0
	s_waitcnt lgkmcnt(0)
	s_add_u32 s1, s4, s6
	s_addc_u32 s3, s5, s7
	s_lshl_b32 s4, s14, 7
	v_lshlrev_b64 v[5:6], 1, v[1:2]
	s_ashr_i32 s5, s4, 31
	v_ashrrev_i32_e32 v4, 31, v3
	s_lshl_b64 s[4:5], s[4:5], 1
	v_ashrrev_i32_e32 v12, 31, v11
	s_add_u32 s1, s1, s4
	s_addc_u32 s3, s3, s5
	v_add_co_u32 v1, s1, s1, v73
	s_delay_alu instid0(VALU_DEP_1) | instskip(SKIP_1) | instid1(VALU_DEP_3)
	v_add_co_ci_u32_e64 v2, null, s3, 0, s1
	v_lshlrev_b64 v[3:4], 1, v[3:4]
	v_add_co_u32 v23, vcc_lo, v1, v5
	v_add_nc_u32_e32 v5, 8, v7
	s_delay_alu instid0(VALU_DEP_4) | instskip(NEXT) | instid1(VALU_DEP_4)
	v_add_co_ci_u32_e32 v24, vcc_lo, v2, v6, vcc_lo
	v_add_co_u32 v27, vcc_lo, v1, v3
	s_delay_alu instid0(VALU_DEP_3)
	v_mul_lo_u32 v29, v5, s0
	v_add_co_ci_u32_e32 v28, vcc_lo, v2, v4, vcc_lo
	ds_load_b128 v[3:6], v19
	ds_load_b128 v[7:10], v19 offset:128
	v_lshlrev_b64 v[31:32], 1, v[11:12]
	ds_load_b128 v[11:14], v19 offset:256
	ds_load_b128 v[15:18], v19 offset:384
	;; [unrolled: 1-line block ×3, first 2 shown]
	v_ashrrev_i32_e32 v26, 31, v25
	v_ashrrev_i32_e32 v30, 31, v29
	v_add_co_u32 v31, vcc_lo, v1, v31
	s_delay_alu instid0(VALU_DEP_3) | instskip(NEXT) | instid1(VALU_DEP_3)
	v_lshlrev_b64 v[25:26], 1, v[25:26]
	v_lshlrev_b64 v[29:30], 1, v[29:30]
	v_add_co_ci_u32_e32 v32, vcc_lo, v2, v32, vcc_lo
	s_delay_alu instid0(VALU_DEP_3) | instskip(NEXT) | instid1(VALU_DEP_4)
	v_add_co_u32 v25, vcc_lo, v1, v25
	v_add_co_ci_u32_e32 v26, vcc_lo, v2, v26, vcc_lo
	s_delay_alu instid0(VALU_DEP_4)
	v_add_co_u32 v29, vcc_lo, v1, v29
	v_add_co_ci_u32_e32 v30, vcc_lo, v2, v30, vcc_lo
	s_waitcnt lgkmcnt(4)
	global_store_b128 v[23:24], v[3:6], off
	s_waitcnt lgkmcnt(3)
	global_store_b128 v[27:28], v[7:10], off
	;; [unrolled: 2-line block ×5, first 2 shown]
	s_and_b32 exec_lo, exec_lo, s2
	s_cbranch_execz .LBB1656_2
; %bb.112:
	ds_load_b128 v[3:6], v0 offset:640
	s_add_i32 s1, s31, 10
	s_delay_alu instid0(SALU_CYCLE_1) | instskip(NEXT) | instid1(SALU_CYCLE_1)
	s_mul_i32 s0, s1, s0
	s_ashr_i32 s1, s0, 31
	s_delay_alu instid0(SALU_CYCLE_1) | instskip(NEXT) | instid1(SALU_CYCLE_1)
	s_lshl_b64 s[0:1], s[0:1], 1
	v_add_co_u32 v0, vcc_lo, v1, s0
	v_add_co_ci_u32_e32 v1, vcc_lo, s1, v2, vcc_lo
	s_waitcnt lgkmcnt(0)
	global_store_b128 v[0:1], v[3:6], off
	s_nop 0
	s_sendmsg sendmsg(MSG_DEALLOC_VGPRS)
	s_endpgm
	.section	.rodata,"a",@progbits
	.p2align	6, 0x0
	.amdhsa_kernel _Z39paged_attention_ll4mi_QKV_mfma16_kernelI14__hip_bfloat16hLN4vllm18Fp8KVCacheDataTypeE1ES0_Li32ELi128ELi256ELb0ELi11EL8MFMAType1EEvPKT_PKT0_S9_ifPKiSB_SB_iPKfiiiPfSE_PS4_PT2_iSD_SD_
		.amdhsa_group_segment_fixed_size 17472
		.amdhsa_private_segment_fixed_size 0
		.amdhsa_kernarg_size 400
		.amdhsa_user_sgpr_count 13
		.amdhsa_user_sgpr_dispatch_ptr 0
		.amdhsa_user_sgpr_queue_ptr 0
		.amdhsa_user_sgpr_kernarg_segment_ptr 1
		.amdhsa_user_sgpr_dispatch_id 0
		.amdhsa_user_sgpr_private_segment_size 0
		.amdhsa_wavefront_size32 1
		.amdhsa_uses_dynamic_stack 0
		.amdhsa_enable_private_segment 0
		.amdhsa_system_sgpr_workgroup_id_x 1
		.amdhsa_system_sgpr_workgroup_id_y 1
		.amdhsa_system_sgpr_workgroup_id_z 1
		.amdhsa_system_sgpr_workgroup_info 0
		.amdhsa_system_vgpr_workitem_id 0
		.amdhsa_next_free_vgpr 140
		.amdhsa_next_free_sgpr 36
		.amdhsa_reserve_vcc 1
		.amdhsa_float_round_mode_32 0
		.amdhsa_float_round_mode_16_64 0
		.amdhsa_float_denorm_mode_32 3
		.amdhsa_float_denorm_mode_16_64 3
		.amdhsa_dx10_clamp 1
		.amdhsa_ieee_mode 1
		.amdhsa_fp16_overflow 0
		.amdhsa_workgroup_processor_mode 1
		.amdhsa_memory_ordered 1
		.amdhsa_forward_progress 0
		.amdhsa_shared_vgpr_count 0
		.amdhsa_exception_fp_ieee_invalid_op 0
		.amdhsa_exception_fp_denorm_src 0
		.amdhsa_exception_fp_ieee_div_zero 0
		.amdhsa_exception_fp_ieee_overflow 0
		.amdhsa_exception_fp_ieee_underflow 0
		.amdhsa_exception_fp_ieee_inexact 0
		.amdhsa_exception_int_div_zero 0
	.end_amdhsa_kernel
	.section	.text._Z39paged_attention_ll4mi_QKV_mfma16_kernelI14__hip_bfloat16hLN4vllm18Fp8KVCacheDataTypeE1ES0_Li32ELi128ELi256ELb0ELi11EL8MFMAType1EEvPKT_PKT0_S9_ifPKiSB_SB_iPKfiiiPfSE_PS4_PT2_iSD_SD_,"axG",@progbits,_Z39paged_attention_ll4mi_QKV_mfma16_kernelI14__hip_bfloat16hLN4vllm18Fp8KVCacheDataTypeE1ES0_Li32ELi128ELi256ELb0ELi11EL8MFMAType1EEvPKT_PKT0_S9_ifPKiSB_SB_iPKfiiiPfSE_PS4_PT2_iSD_SD_,comdat
.Lfunc_end1656:
	.size	_Z39paged_attention_ll4mi_QKV_mfma16_kernelI14__hip_bfloat16hLN4vllm18Fp8KVCacheDataTypeE1ES0_Li32ELi128ELi256ELb0ELi11EL8MFMAType1EEvPKT_PKT0_S9_ifPKiSB_SB_iPKfiiiPfSE_PS4_PT2_iSD_SD_, .Lfunc_end1656-_Z39paged_attention_ll4mi_QKV_mfma16_kernelI14__hip_bfloat16hLN4vllm18Fp8KVCacheDataTypeE1ES0_Li32ELi128ELi256ELb0ELi11EL8MFMAType1EEvPKT_PKT0_S9_ifPKiSB_SB_iPKfiiiPfSE_PS4_PT2_iSD_SD_
                                        ; -- End function
	.section	.AMDGPU.csdata,"",@progbits
; Kernel info:
; codeLenInByte = 9048
; NumSgprs: 38
; NumVgprs: 140
; ScratchSize: 0
; MemoryBound: 0
; FloatMode: 240
; IeeeMode: 1
; LDSByteSize: 17472 bytes/workgroup (compile time only)
; SGPRBlocks: 4
; VGPRBlocks: 17
; NumSGPRsForWavesPerEU: 38
; NumVGPRsForWavesPerEU: 140
; Occupancy: 10
; WaveLimiterHint : 1
; COMPUTE_PGM_RSRC2:SCRATCH_EN: 0
; COMPUTE_PGM_RSRC2:USER_SGPR: 13
; COMPUTE_PGM_RSRC2:TRAP_HANDLER: 0
; COMPUTE_PGM_RSRC2:TGID_X_EN: 1
; COMPUTE_PGM_RSRC2:TGID_Y_EN: 1
; COMPUTE_PGM_RSRC2:TGID_Z_EN: 1
; COMPUTE_PGM_RSRC2:TIDIG_COMP_CNT: 0
	.section	.text._Z39paged_attention_ll4mi_QKV_mfma16_kernelI14__hip_bfloat16hLN4vllm18Fp8KVCacheDataTypeE1ES0_Li32ELi128ELi256ELb0ELi12EL8MFMAType1EEvPKT_PKT0_S9_ifPKiSB_SB_iPKfiiiPfSE_PS4_PT2_iSD_SD_,"axG",@progbits,_Z39paged_attention_ll4mi_QKV_mfma16_kernelI14__hip_bfloat16hLN4vllm18Fp8KVCacheDataTypeE1ES0_Li32ELi128ELi256ELb0ELi12EL8MFMAType1EEvPKT_PKT0_S9_ifPKiSB_SB_iPKfiiiPfSE_PS4_PT2_iSD_SD_,comdat
	.protected	_Z39paged_attention_ll4mi_QKV_mfma16_kernelI14__hip_bfloat16hLN4vllm18Fp8KVCacheDataTypeE1ES0_Li32ELi128ELi256ELb0ELi12EL8MFMAType1EEvPKT_PKT0_S9_ifPKiSB_SB_iPKfiiiPfSE_PS4_PT2_iSD_SD_ ; -- Begin function _Z39paged_attention_ll4mi_QKV_mfma16_kernelI14__hip_bfloat16hLN4vllm18Fp8KVCacheDataTypeE1ES0_Li32ELi128ELi256ELb0ELi12EL8MFMAType1EEvPKT_PKT0_S9_ifPKiSB_SB_iPKfiiiPfSE_PS4_PT2_iSD_SD_
	.globl	_Z39paged_attention_ll4mi_QKV_mfma16_kernelI14__hip_bfloat16hLN4vllm18Fp8KVCacheDataTypeE1ES0_Li32ELi128ELi256ELb0ELi12EL8MFMAType1EEvPKT_PKT0_S9_ifPKiSB_SB_iPKfiiiPfSE_PS4_PT2_iSD_SD_
	.p2align	8
	.type	_Z39paged_attention_ll4mi_QKV_mfma16_kernelI14__hip_bfloat16hLN4vllm18Fp8KVCacheDataTypeE1ES0_Li32ELi128ELi256ELb0ELi12EL8MFMAType1EEvPKT_PKT0_S9_ifPKiSB_SB_iPKfiiiPfSE_PS4_PT2_iSD_SD_,@function
_Z39paged_attention_ll4mi_QKV_mfma16_kernelI14__hip_bfloat16hLN4vllm18Fp8KVCacheDataTypeE1ES0_Li32ELi128ELi256ELb0ELi12EL8MFMAType1EEvPKT_PKT0_S9_ifPKiSB_SB_iPKfiiiPfSE_PS4_PT2_iSD_SD_: ; @_Z39paged_attention_ll4mi_QKV_mfma16_kernelI14__hip_bfloat16hLN4vllm18Fp8KVCacheDataTypeE1ES0_Li32ELi128ELi256ELb0ELi12EL8MFMAType1EEvPKT_PKT0_S9_ifPKiSB_SB_iPKfiiiPfSE_PS4_PT2_iSD_SD_
; %bb.0:
	s_load_b64 s[4:5], s[0:1], 0x30
	s_mov_b32 s30, s13
	s_waitcnt lgkmcnt(0)
	s_cmp_lg_u64 s[4:5], 0
	s_cselect_b32 s13, -1, 0
	s_ashr_i32 s31, s30, 31
	s_cmp_eq_u64 s[4:5], 0
	s_cbranch_scc1 .LBB1657_3
; %bb.1:
	s_lshl_b64 s[2:3], s[30:31], 2
	s_delay_alu instid0(SALU_CYCLE_1) | instskip(SKIP_4) | instid1(SALU_CYCLE_1)
	s_add_u32 s2, s4, s2
	s_addc_u32 s3, s5, s3
	s_load_b64 s[2:3], s[2:3], 0x0
	s_waitcnt lgkmcnt(0)
	s_sub_i32 s2, s3, s2
	s_cmp_eq_u32 s2, 1
	s_cselect_b32 s2, -1, 0
	s_delay_alu instid0(SALU_CYCLE_1)
	s_and_not1_b32 vcc_lo, exec_lo, s2
	s_cbranch_vccz .LBB1657_4
.LBB1657_2:
	s_endpgm
.LBB1657_3:
.LBB1657_4:
	s_load_b64 s[2:3], s[0:1], 0x28
	s_lshl_b64 s[6:7], s[30:31], 2
	s_waitcnt lgkmcnt(0)
	s_add_u32 s2, s2, s6
	s_addc_u32 s3, s3, s7
	s_lshl_b32 s12, s14, 8
	s_load_b32 s17, s[2:3], 0x0
	s_waitcnt lgkmcnt(0)
	s_cmp_ge_i32 s12, s17
	s_cbranch_scc1 .LBB1657_2
; %bb.5:
	s_clause 0x1
	s_load_b128 s[8:11], s[0:1], 0x8
	s_load_b64 s[2:3], s[0:1], 0x20
	s_and_not1_b32 vcc_lo, exec_lo, s13
	s_cbranch_vccnz .LBB1657_7
; %bb.6:
	s_add_u32 s4, s4, s6
	s_addc_u32 s5, s5, s7
	s_load_b32 s13, s[4:5], 0x0
	s_branch .LBB1657_8
.LBB1657_7:
	s_mov_b32 s13, s30
.LBB1657_8:
	s_load_b128 s[4:7], s[0:1], 0x48
	v_and_b32_e32 v65, 15, v0
	v_lshrrev_b32_e32 v66, 5, v0
	v_and_b32_e32 v67, 31, v0
	v_and_b32_e32 v75, 1, v0
	v_bfe_u32 v74, v0, 4, 1
	v_lshlrev_b32_e32 v1, 3, v65
	s_mul_i32 s29, s15, 12
	s_waitcnt lgkmcnt(0)
	s_mov_b32 s7, exec_lo
	s_delay_alu instid0(VALU_DEP_1)
	v_lshlrev_b32_e32 v73, 1, v1
	v_cmpx_gt_u32_e32 0xc0, v0
	s_cbranch_execz .LBB1657_10
; %bb.9:
	s_load_b64 s[18:19], s[0:1], 0x0
	v_lshl_or_b32 v5, v66, 1, v74
	s_mul_hi_i32 s21, s13, s4
	s_mul_i32 s20, s13, s4
	v_lshlrev_b32_e32 v6, 10, v65
	s_lshl_b64 s[20:21], s[20:21], 1
	v_add_lshl_u32 v1, v5, s29, 7
	v_lshlrev_b32_e32 v5, 6, v5
	v_lshlrev_b32_e32 v7, 10, v75
	v_and_b32_e32 v6, 0x3800, v6
	s_delay_alu instid0(VALU_DEP_4) | instskip(NEXT) | instid1(VALU_DEP_2)
	v_ashrrev_i32_e32 v2, 31, v1
	v_or3_b32 v5, v6, v7, v5
	s_delay_alu instid0(VALU_DEP_2) | instskip(SKIP_3) | instid1(VALU_DEP_1)
	v_lshlrev_b64 v[1:2], 1, v[1:2]
	s_waitcnt lgkmcnt(0)
	s_add_u32 s4, s18, s20
	s_addc_u32 s13, s19, s21
	v_add_co_u32 v1, vcc_lo, s4, v1
	s_delay_alu instid0(VALU_DEP_2) | instskip(NEXT) | instid1(VALU_DEP_2)
	v_add_co_ci_u32_e32 v2, vcc_lo, s13, v2, vcc_lo
	v_add_co_u32 v1, vcc_lo, v1, v73
	s_delay_alu instid0(VALU_DEP_2)
	v_add_co_ci_u32_e32 v2, vcc_lo, 0, v2, vcc_lo
	global_load_b128 v[1:4], v[1:2], off
	s_waitcnt vmcnt(0)
	ds_store_b128 v5, v[1:4]
.LBB1657_10:
	s_or_b32 exec_lo, exec_lo, s7
	v_and_b32_e32 v1, 0xef, v0
	s_add_i32 s4, s17, 31
	s_clause 0x1
	s_load_b32 s7, s[0:1], 0x38
	s_load_b32 s18, s[0:1], 0x1c
	s_ashr_i32 s13, s4, 31
	v_add_nc_u32_e32 v1, s12, v1
	s_lshr_b32 s13, s13, 27
	s_waitcnt lgkmcnt(0)
	s_add_i32 s4, s4, s13
	s_barrier
	v_ashrrev_i32_e32 v2, 31, v1
	v_or_b32_e32 v3, 16, v1
	s_ashr_i32 s4, s4, 5
	v_cmp_gt_i32_e32 vcc_lo, s17, v1
	s_add_i32 s4, s4, -1
	v_lshrrev_b32_e32 v2, 27, v2
	buffer_gl0_inv
	s_mul_i32 s15, s15, s6
	v_add_nc_u32_e32 v4, v1, v2
	s_mul_i32 s20, s30, s7
	s_delay_alu instid0(SALU_CYCLE_1) | instskip(NEXT) | instid1(VALU_DEP_1)
	s_ashr_i32 s21, s20, 31
	v_ashrrev_i32_e32 v4, 5, v4
	v_add_nc_u32_e32 v2, v3, v2
	s_lshl_b64 s[20:21], s[20:21], 2
	s_delay_alu instid0(SALU_CYCLE_1) | instskip(NEXT) | instid1(VALU_DEP_2)
	s_add_u32 s13, s2, s20
	v_cndmask_b32_e32 v1, s4, v4, vcc_lo
	s_delay_alu instid0(VALU_DEP_2)
	v_ashrrev_i32_e32 v2, 5, v2
	v_cmp_gt_i32_e32 vcc_lo, s17, v3
	s_addc_u32 s16, s3, s21
	s_ashr_i32 s19, s15, 31
	s_add_u32 s2, s8, s15
	s_addc_u32 s3, s9, s19
	v_cndmask_b32_e32 v3, s4, v2, vcc_lo
	v_ashrrev_i32_e32 v2, 31, v1
	s_lshl_b32 s6, s14, 3
	s_delay_alu instid0(SALU_CYCLE_1) | instskip(NEXT) | instid1(VALU_DEP_2)
	s_ashr_i32 s7, s6, 31
	v_ashrrev_i32_e32 v4, 31, v3
	s_delay_alu instid0(VALU_DEP_2) | instskip(SKIP_1) | instid1(SALU_CYCLE_1)
	v_lshlrev_b64 v[1:2], 2, v[1:2]
	s_lshl_b64 s[6:7], s[6:7], 2
	s_add_u32 s6, s13, s6
	s_delay_alu instid0(VALU_DEP_2) | instskip(SKIP_1) | instid1(VALU_DEP_2)
	v_lshlrev_b64 v[3:4], 2, v[3:4]
	s_addc_u32 s7, s16, s7
	v_add_co_u32 v1, vcc_lo, s13, v1
	v_add_co_ci_u32_e32 v2, vcc_lo, s16, v2, vcc_lo
	s_delay_alu instid0(VALU_DEP_3) | instskip(NEXT) | instid1(VALU_DEP_4)
	v_add_co_u32 v3, vcc_lo, s13, v3
	v_add_co_ci_u32_e32 v4, vcc_lo, s16, v4, vcc_lo
	s_clause 0x1
	global_load_b32 v5, v[1:2], off
	global_load_b32 v6, v[3:4], off
	s_or_b32 s8, s12, 32
	s_delay_alu instid0(SALU_CYCLE_1) | instskip(SKIP_2) | instid1(SALU_CYCLE_1)
	s_ashr_i32 s9, s8, 5
	s_cmp_lt_i32 s8, s17
	s_cselect_b32 s8, s9, s4
	s_ashr_i32 s9, s8, 31
	s_delay_alu instid0(SALU_CYCLE_1) | instskip(NEXT) | instid1(SALU_CYCLE_1)
	s_lshl_b64 s[8:9], s[8:9], 2
	s_add_u32 s8, s13, s8
	s_addc_u32 s9, s16, s9
	s_or_b32 s20, s12, 64
	s_delay_alu instid0(SALU_CYCLE_1) | instskip(SKIP_2) | instid1(SALU_CYCLE_1)
	s_ashr_i32 s21, s20, 5
	s_cmp_lt_i32 s20, s17
	s_cselect_b32 s20, s21, s4
	s_ashr_i32 s21, s20, 31
	s_delay_alu instid0(SALU_CYCLE_1) | instskip(NEXT) | instid1(SALU_CYCLE_1)
	s_lshl_b64 s[20:21], s[20:21], 2
	s_add_u32 s20, s13, s20
	s_addc_u32 s21, s16, s21
	;; [unrolled: 10-line block ×5, first 2 shown]
	s_clause 0x5
	s_load_b32 s28, s[6:7], 0x0
	s_load_b32 s8, s[8:9], 0x0
	;; [unrolled: 1-line block ×6, first 2 shown]
	s_mov_b32 s20, 0
	s_delay_alu instid0(SALU_CYCLE_1)
	s_mov_b32 s21, s20
	s_mov_b32 s22, s20
	;; [unrolled: 1-line block ×7, first 2 shown]
	s_delay_alu instid0(SALU_CYCLE_1)
	v_dual_mov_b32 v107, s27 :: v_dual_mov_b32 v106, s26
	v_dual_mov_b32 v104, s24 :: v_dual_mov_b32 v103, s23
	;; [unrolled: 1-line block ×3, first 2 shown]
	v_mov_b32_e32 v100, s20
	s_waitcnt vmcnt(1)
	v_mad_i64_i32 v[1:2], null, v5, s5, s[2:3]
	v_lshlrev_b32_e32 v5, 4, v65
	s_waitcnt vmcnt(0)
	v_mad_i64_i32 v[3:4], null, v6, s5, s[2:3]
	s_or_b32 s2, s12, 0xc0
	s_delay_alu instid0(SALU_CYCLE_1) | instskip(NEXT) | instid1(VALU_DEP_3)
	s_ashr_i32 s3, s2, 5
	v_add_co_u32 v33, vcc_lo, v1, v5
	s_delay_alu instid0(VALU_DEP_4) | instskip(NEXT) | instid1(VALU_DEP_3)
	v_add_co_ci_u32_e32 v34, vcc_lo, 0, v2, vcc_lo
	v_add_co_u32 v35, vcc_lo, v3, v5
	s_delay_alu instid0(VALU_DEP_4)
	v_add_co_ci_u32_e32 v36, vcc_lo, 0, v4, vcc_lo
	s_clause 0xf
	global_load_b128 v[1:4], v[33:34], off
	global_load_b128 v[5:8], v[33:34], off offset:512
	global_load_b128 v[9:12], v[35:36], off offset:256
	;; [unrolled: 1-line block ×15, first 2 shown]
	s_cmp_lt_i32 s2, s17
	v_add_nc_u32_e32 v33, -12, v65
	s_cselect_b32 s2, s3, s4
	v_cmp_gt_u32_e32 vcc_lo, 12, v65
	s_ashr_i32 s3, s2, 31
	v_lshlrev_b32_e32 v34, 5, v65
	s_lshl_b64 s[2:3], s[2:3], 2
	s_delay_alu instid0(SALU_CYCLE_1)
	s_add_u32 s2, s13, s2
	s_addc_u32 s3, s16, s3
	s_or_b32 s6, s12, 0xe0
	v_cndmask_b32_e32 v33, v33, v65, vcc_lo
	s_ashr_i32 s7, s6, 5
	s_cmp_lt_i32 s6, s17
	v_mov_b32_e32 v105, s25
	s_cselect_b32 s6, s7, s4
	v_lshlrev_b32_e32 v72, 6, v33
	s_ashr_i32 s7, s6, 31
	v_lshl_or_b32 v41, v66, 9, v34
	s_lshl_b64 s[6:7], s[6:7], 2
	ds_load_b128 v[33:36], v72
	ds_load_b128 v[37:40], v72 offset:1024
	ds_load_b128 v[108:111], v72 offset:2048
	;; [unrolled: 1-line block ×3, first 2 shown]
	s_load_b32 s4, s[2:3], 0x0
	s_add_u32 s2, s13, s6
	s_addc_u32 s3, s16, s7
	ds_load_b128 v[116:119], v72 offset:4096
	ds_load_b128 v[120:123], v72 offset:5120
	s_load_b32 s2, s[2:3], 0x0
	s_add_u32 s6, s10, s15
	s_addc_u32 s7, s11, s19
	v_add_co_u32 v68, s6, s6, v41
	s_delay_alu instid0(VALU_DEP_1) | instskip(SKIP_1) | instid1(VALU_DEP_1)
	v_add_co_ci_u32_e64 v69, null, s7, 0, s6
	s_waitcnt lgkmcnt(0)
	v_mad_i64_i32 v[41:42], null, s28, s5, v[68:69]
	v_mad_i64_i32 v[70:71], null, s9, s5, v[68:69]
	;; [unrolled: 1-line block ×7, first 2 shown]
	s_clause 0x3
	global_load_b128 v[49:52], v[41:42], off
	global_load_b128 v[53:56], v[41:42], off offset:16
	global_load_b128 v[41:44], v[45:46], off
	global_load_b128 v[45:48], v[45:46], off offset:16
	s_waitcnt vmcnt(18)
	v_wmma_f32_16x16x16_bf16 v[124:131], v[1:8], v[33:40], v[100:107]
	s_waitcnt vmcnt(16)
	v_wmma_f32_16x16x16_bf16 v[100:107], v[9:16], v[33:40], v[100:107]
	s_clause 0x1
	global_load_b128 v[33:36], v[70:71], off
	global_load_b128 v[37:40], v[70:71], off offset:16
	v_mad_i64_i32 v[70:71], null, s2, s5, v[68:69]
	s_waitcnt vmcnt(16)
	v_wmma_f32_16x16x16_bf16 v[124:131], v[17:24], v[108:115], v[124:131]
	s_waitcnt vmcnt(14)
	v_wmma_f32_16x16x16_bf16 v[100:107], v[25:32], v[108:115], v[100:107]
	s_clause 0x7
	global_load_b128 v[25:28], v[132:133], off
	global_load_b128 v[29:32], v[132:133], off offset:16
	global_load_b128 v[1:4], v[134:135], off
	global_load_b128 v[5:8], v[134:135], off offset:16
	;; [unrolled: 2-line block ×4, first 2 shown]
	s_waitcnt vmcnt(20)
	v_wmma_f32_16x16x16_bf16 v[124:131], v[57:64], v[116:123], v[124:131]
	s_clause 0x1
	global_load_b128 v[57:60], v[70:71], off
	global_load_b128 v[61:64], v[70:71], off offset:16
	s_waitcnt vmcnt(20)
	v_wmma_f32_16x16x16_bf16 v[100:107], v[76:83], v[116:123], v[100:107]
	ds_load_b128 v[76:79], v72 offset:6144
	ds_load_b128 v[80:83], v72 offset:7168
	v_and_b32_e32 v68, 0xe0, v0
	v_mbcnt_lo_u32_b32 v69, -1, 0
	s_waitcnt vmcnt(0) lgkmcnt(0)
	s_barrier
	buffer_gl0_inv
	v_add_nc_u32_e32 v68, s12, v68
	v_xor_b32_e32 v70, 16, v69
	s_delay_alu instid0(VALU_DEP_2) | instskip(NEXT) | instid1(VALU_DEP_2)
	v_or_b32_e32 v68, v68, v74
	v_cmp_gt_i32_e32 vcc_lo, 32, v70
	s_delay_alu instid0(VALU_DEP_2)
	v_or_b32_e32 v71, 4, v68
	v_or_b32_e32 v72, 6, v68
	v_cmp_gt_i32_e64 s2, s17, v68
	v_or_b32_e32 v108, 8, v68
	v_wmma_f32_16x16x16_bf16 v[124:131], v[84:91], v[76:83], v[124:131]
	v_cndmask_b32_e32 v69, v69, v70, vcc_lo
	v_or_b32_e32 v70, 2, v68
	v_wmma_f32_16x16x16_bf16 v[100:107], v[92:99], v[76:83], v[100:107]
	v_or_b32_e32 v109, 10, v68
	v_dual_mul_f32 v80, s18, v129 :: v_dual_mul_f32 v81, s18, v128
	v_dual_mul_f32 v92, s18, v125 :: v_dual_mul_f32 v93, s18, v124
	s_delay_alu instid0(VALU_DEP_4)
	v_mul_f32_e32 v96, s18, v105
	v_cmp_gt_i32_e32 vcc_lo, s17, v70
	v_or_b32_e32 v89, 22, v68
	v_dual_mul_f32 v79, s18, v130 :: v_dual_mul_f32 v82, s18, v127
	v_dual_mul_f32 v83, s18, v126 :: v_dual_mul_f32 v94, s18, v107
	v_cndmask_b32_e64 v93, 0xff7fffff, v93, s2
	v_cndmask_b32_e32 v92, 0xff7fffff, v92, vcc_lo
	v_cmp_gt_i32_e64 s3, s17, v71
	v_cmp_gt_i32_e64 s4, s17, v72
	v_or_b32_e32 v84, 12, v68
	v_or_b32_e32 v85, 14, v68
	v_cmp_gt_i32_e64 s5, s17, v108
	v_cndmask_b32_e64 v71, 0xff7fffff, v83, s3
	v_cndmask_b32_e64 v72, 0xff7fffff, v82, s4
	v_cmp_gt_i32_e64 s6, s17, v109
	v_cmp_gt_i32_e64 s12, s17, v89
	v_lshlrev_b32_e32 v89, 2, v69
	v_max3_f32 v82, v93, 0xff7fffff, v92
	v_or_b32_e32 v86, 16, v68
	v_or_b32_e32 v87, 18, v68
	v_mul_f32_e32 v78, s18, v131
	v_cndmask_b32_e64 v81, 0xff7fffff, v81, s5
	v_cndmask_b32_e64 v80, 0xff7fffff, v80, s6
	v_max3_f32 v71, v82, v71, v72
	v_cmp_gt_i32_e64 s7, s17, v84
	v_cmp_gt_i32_e64 s8, s17, v85
	v_or_b32_e32 v88, 20, v68
	v_or_b32_e32 v90, 24, v68
	;; [unrolled: 1-line block ×5, first 2 shown]
	v_dual_mul_f32 v97, s18, v104 :: v_dual_mul_f32 v70, s18, v101
	v_dual_mul_f32 v99, s18, v102 :: v_dual_mul_f32 v68, s18, v100
	v_cndmask_b32_e64 v72, 0xff7fffff, v79, s7
	v_cndmask_b32_e64 v78, 0xff7fffff, v78, s8
	v_max3_f32 v71, v71, v81, v80
	v_cmp_gt_i32_e64 s9, s17, v86
	v_cmp_gt_i32_e64 s10, s17, v87
	v_dual_mul_f32 v95, s18, v106 :: v_dual_mul_f32 v98, s18, v103
	s_delay_alu instid0(VALU_DEP_4) | instskip(NEXT) | instid1(VALU_DEP_4)
	v_max3_f32 v71, v71, v72, v78
	v_cndmask_b32_e64 v68, 0xff7fffff, v68, s9
	s_delay_alu instid0(VALU_DEP_4)
	v_cndmask_b32_e64 v70, 0xff7fffff, v70, s10
	v_cmp_gt_i32_e64 s11, s17, v88
	v_cndmask_b32_e64 v78, 0xff7fffff, v98, s12
	v_cmp_gt_i32_e64 s13, s17, v90
	v_cmp_gt_i32_e64 s15, s17, v91
	v_max3_f32 v68, v71, v68, v70
	v_cndmask_b32_e64 v72, 0xff7fffff, v99, s11
	v_cmp_gt_i32_e64 s16, s17, v76
	v_cndmask_b32_e64 v70, 0xff7fffff, v97, s13
	v_cndmask_b32_e64 v71, 0xff7fffff, v96, s15
	v_cmp_gt_i32_e64 s17, s17, v77
	v_max3_f32 v68, v68, v72, v78
	v_cndmask_b32_e64 v72, 0xff7fffff, v95, s16
	s_delay_alu instid0(VALU_DEP_3) | instskip(NEXT) | instid1(VALU_DEP_3)
	v_cndmask_b32_e64 v76, 0xff7fffff, v94, s17
	v_max3_f32 v68, v68, v70, v71
	s_delay_alu instid0(VALU_DEP_1) | instskip(SKIP_3) | instid1(VALU_DEP_1)
	v_max3_f32 v68, v68, v72, v76
	ds_bpermute_b32 v69, v89, v68
	s_waitcnt lgkmcnt(0)
	v_max_f32_e32 v69, v69, v69
	v_max_f32_e32 v68, v68, v69
	s_delay_alu instid0(VALU_DEP_1) | instskip(NEXT) | instid1(VALU_DEP_1)
	v_fma_f32 v71, s18, v126, -v68
	v_mul_f32_e32 v71, 0x3fb8aa3b, v71
	v_fma_f32 v70, s18, v125, -v68
	v_fma_f32 v69, s18, v124, -v68
	;; [unrolled: 1-line block ×5, first 2 shown]
	s_delay_alu instid0(VALU_DEP_4) | instskip(SKIP_1) | instid1(VALU_DEP_3)
	v_dual_mul_f32 v70, 0x3fb8aa3b, v70 :: v_dual_mul_f32 v69, 0x3fb8aa3b, v69
	v_exp_f32_e32 v71, v71
	v_mul_f32_e32 v72, 0x3fb8aa3b, v72
	v_fma_f32 v81, s18, v105, -v68
	s_delay_alu instid0(VALU_DEP_3)
	v_exp_f32_e32 v70, v70
	v_mul_f32_e32 v77, 0x3fb8aa3b, v76
	v_exp_f32_e32 v69, v69
	v_exp_f32_e32 v72, v72
	v_mul_f32_e32 v81, 0x3fb8aa3b, v81
	v_cndmask_b32_e64 v83, 0, v71, s3
	v_fma_f32 v71, s18, v131, -v68
	s_delay_alu instid0(VALU_DEP_3) | instskip(SKIP_4) | instid1(TRANS32_DEP_3)
	v_exp_f32_e32 v81, v81
	v_cndmask_b32_e32 v76, 0, v70, vcc_lo
	v_exp_f32_e32 v77, v77
	v_cndmask_b32_e64 v80, 0, v69, s2
	v_fma_f32 v69, s18, v129, -v68
	v_cndmask_b32_e64 v85, 0, v72, s4
	v_mul_f32_e32 v71, 0x3fb8aa3b, v71
	v_fma_f32 v72, s18, v100, -v68
	s_delay_alu instid0(VALU_DEP_4) | instskip(SKIP_1) | instid1(VALU_DEP_3)
	v_dual_add_f32 v70, 0, v80 :: v_dual_mul_f32 v69, 0x3fb8aa3b, v69
	s_mov_b32 s2, exec_lo
	v_exp_f32_e32 v71, v71
	s_delay_alu instid0(TRANS32_DEP_2) | instskip(SKIP_4) | instid1(VALU_DEP_3)
	v_cndmask_b32_e64 v86, 0, v77, s5
	v_fma_f32 v77, s18, v101, -v68
	v_mul_f32_e32 v78, 0x3fb8aa3b, v78
	v_add_f32_e32 v70, v70, v76
	v_exp_f32_e32 v69, v69
	v_mul_f32_e32 v77, 0x3fb8aa3b, v77
	s_delay_alu instid0(VALU_DEP_3) | instskip(NEXT) | instid1(TRANS32_DEP_3)
	v_exp_f32_e32 v78, v78
	v_cndmask_b32_e64 v88, 0, v71, s8
	v_fma_f32 v71, s18, v104, -v68
	s_delay_alu instid0(VALU_DEP_3) | instskip(NEXT) | instid1(TRANS32_DEP_3)
	v_exp_f32_e32 v77, v77
	v_cndmask_b32_e64 v87, 0, v69, s6
	s_delay_alu instid0(VALU_DEP_2)
	v_mul_f32_e32 v71, 0x3fb8aa3b, v71
	s_waitcnt_depctr 0xfff
	v_cndmask_b32_e64 v84, 0, v78, s7
	v_add_f32_e32 v70, v70, v83
	v_fma_f32 v78, s18, v103, -v68
	v_exp_f32_e32 v82, v71
	s_delay_alu instid0(VALU_DEP_2) | instskip(SKIP_1) | instid1(VALU_DEP_3)
	v_add_f32_e32 v70, v70, v85
	v_mul_f32_e32 v72, 0x3fb8aa3b, v72
	v_mul_f32_e32 v78, 0x3fb8aa3b, v78
	s_delay_alu instid0(VALU_DEP_3) | instskip(SKIP_1) | instid1(VALU_DEP_4)
	v_add_f32_e32 v69, v70, v86
	v_fma_f32 v70, s18, v102, -v68
	v_exp_f32_e32 v72, v72
	s_delay_alu instid0(VALU_DEP_3) | instskip(NEXT) | instid1(VALU_DEP_1)
	v_exp_f32_e32 v78, v78
	v_dual_add_f32 v69, v69, v87 :: v_dual_mul_f32 v70, 0x3fb8aa3b, v70
	s_delay_alu instid0(VALU_DEP_1) | instskip(NEXT) | instid1(VALU_DEP_2)
	v_add_f32_e32 v69, v69, v84
	v_exp_f32_e32 v79, v70
	s_delay_alu instid0(TRANS32_DEP_3) | instskip(NEXT) | instid1(VALU_DEP_2)
	v_cndmask_b32_e64 v70, 0, v72, s9
	v_add_f32_e32 v72, v69, v88
	v_cndmask_b32_e64 v69, 0, v77, s10
	v_fma_f32 v77, s18, v106, -v68
	s_waitcnt_depctr 0xfff
	v_cndmask_b32_e64 v71, 0, v79, s11
	v_dual_mul_f32 v77, 0x3fb8aa3b, v77 :: v_dual_add_f32 v72, v72, v70
	s_delay_alu instid0(VALU_DEP_1) | instskip(NEXT) | instid1(VALU_DEP_1)
	v_exp_f32_e32 v90, v77
	v_add_f32_e32 v79, v72, v69
	v_cndmask_b32_e64 v72, 0, v78, s12
	v_cndmask_b32_e64 v77, 0, v82, s13
	s_delay_alu instid0(VALU_DEP_3) | instskip(SKIP_1) | instid1(VALU_DEP_1)
	v_add_f32_e32 v78, v79, v71
	v_fma_f32 v79, s18, v107, -v68
	v_dual_add_f32 v82, v78, v72 :: v_dual_mul_f32 v79, 0x3fb8aa3b, v79
	v_cndmask_b32_e64 v78, 0, v81, s15
	s_delay_alu instid0(VALU_DEP_2) | instskip(NEXT) | instid1(VALU_DEP_3)
	v_add_f32_e32 v81, v82, v77
	v_exp_f32_e32 v82, v79
	v_cndmask_b32_e64 v79, 0, v90, s16
	s_delay_alu instid0(VALU_DEP_2) | instskip(NEXT) | instid1(VALU_DEP_1)
	v_add_f32_e32 v81, v81, v78
	v_add_f32_e32 v90, v81, v79
	s_waitcnt_depctr 0xfff
	v_cndmask_b32_e64 v81, 0, v82, s17
	s_delay_alu instid0(VALU_DEP_1)
	v_add_f32_e32 v82, v90, v81
	ds_bpermute_b32 v89, v89, v82
	v_cmpx_gt_u32_e32 16, v67
	s_cbranch_execz .LBB1657_12
; %bb.11:
	v_mul_u32_u24_e32 v67, 0x44, v66
	s_delay_alu instid0(VALU_DEP_1) | instskip(SKIP_1) | instid1(VALU_DEP_1)
	v_lshl_add_u32 v67, v65, 2, v67
	s_waitcnt lgkmcnt(0)
	v_dual_add_f32 v82, v82, v89 :: v_dual_add_nc_u32 v67, 0x4000, v67
	ds_store_2addr_b32 v67, v68, v82 offset1:136
.LBB1657_12:
	s_or_b32 exec_lo, exec_lo, s2
	v_lshlrev_b32_e32 v67, 2, v65
	s_waitcnt lgkmcnt(0)
	s_barrier
	buffer_gl0_inv
	v_cmp_eq_u32_e32 vcc_lo, 1, v66
	v_add_nc_u32_e32 v82, 0x4000, v67
	v_cmp_eq_u32_e64 s2, 2, v66
	v_cmp_eq_u32_e64 s4, 7, v66
	ds_load_2addr_b32 v[89:90], v82 offset1:17
	ds_load_2addr_b32 v[91:92], v82 offset0:34 offset1:51
	ds_load_2addr_b32 v[93:94], v82 offset0:68 offset1:85
	;; [unrolled: 1-line block ×4, first 2 shown]
	s_waitcnt lgkmcnt(4)
	v_max3_f32 v67, v89, 0xff7fffff, v90
	s_waitcnt lgkmcnt(3)
	s_delay_alu instid0(VALU_DEP_1) | instskip(SKIP_1) | instid1(VALU_DEP_1)
	v_max3_f32 v67, v67, v91, v92
	s_waitcnt lgkmcnt(2)
	v_max3_f32 v67, v67, v93, v94
	s_waitcnt lgkmcnt(1)
	s_delay_alu instid0(VALU_DEP_1) | instskip(NEXT) | instid1(VALU_DEP_1)
	v_max3_f32 v67, v67, v95, v96
	v_sub_f32_e32 v93, v93, v67
	s_delay_alu instid0(VALU_DEP_1) | instskip(NEXT) | instid1(VALU_DEP_1)
	v_dual_sub_f32 v68, v89, v67 :: v_dual_mul_f32 v103, 0x3fb8aa3b, v93
	v_mul_f32_e32 v68, 0x3fb8aa3b, v68
	s_delay_alu instid0(VALU_DEP_1)
	v_exp_f32_e32 v100, v68
	v_sub_f32_e32 v68, v92, v67
	v_sub_f32_e32 v99, v90, v67
	ds_load_2addr_b32 v[89:90], v82 offset0:170 offset1:187
	v_dual_mul_f32 v102, 0x3fb8aa3b, v68 :: v_dual_mul_f32 v99, 0x3fb8aa3b, v99
	s_waitcnt lgkmcnt(1)
	v_fma_f32 v68, v100, v97, 0
	s_delay_alu instid0(VALU_DEP_2) | instskip(NEXT) | instid1(VALU_DEP_2)
	v_exp_f32_e32 v102, v102
	v_exp_f32_e32 v99, v99
	s_waitcnt_depctr 0xfff
	v_fmac_f32_e32 v68, v99, v98
	v_sub_f32_e32 v91, v91, v67
	s_delay_alu instid0(VALU_DEP_1)
	v_mul_f32_e32 v101, 0x3fb8aa3b, v91
	ds_load_2addr_b32 v[91:92], v82 offset0:204 offset1:221
	v_sub_f32_e32 v97, v94, v67
	ds_load_2addr_b32 v[93:94], v82 offset0:238 offset1:255
	s_waitcnt lgkmcnt(0)
	v_exp_f32_e32 v101, v101
	s_barrier
	buffer_gl0_inv
	v_dual_fmac_f32 v68, v101, v89 :: v_dual_sub_f32 v89, v96, v67
	v_dual_sub_f32 v82, v95, v67 :: v_dual_mul_f32 v95, 0x3fb8aa3b, v97
	v_exp_f32_e32 v97, v103
	s_delay_alu instid0(VALU_DEP_2) | instskip(NEXT) | instid1(VALU_DEP_2)
	v_dual_fmac_f32 v68, v102, v90 :: v_dual_mul_f32 v89, 0x3fb8aa3b, v89
	v_mul_f32_e32 v82, 0x3fb8aa3b, v82
	s_delay_alu instid0(VALU_DEP_3) | instskip(NEXT) | instid1(VALU_DEP_2)
	v_exp_f32_e32 v95, v95
	v_exp_f32_e32 v89, v89
	s_delay_alu instid0(VALU_DEP_1)
	v_exp_f32_e32 v82, v82
	v_fmac_f32_e32 v68, v97, v91
	s_delay_alu instid0(TRANS32_DEP_3) | instid1(VALU_DEP_1)
	v_fmac_f32_e32 v68, v95, v92
	s_waitcnt_depctr 0xfff
	v_fmac_f32_e32 v68, v82, v93
	s_delay_alu instid0(VALU_DEP_1) | instskip(NEXT) | instid1(VALU_DEP_1)
	v_fmac_f32_e32 v68, v89, v94
	v_add_f32_e32 v90, 0x358637bd, v68
	s_delay_alu instid0(VALU_DEP_1) | instskip(NEXT) | instid1(VALU_DEP_1)
	v_div_scale_f32 v91, null, v90, v90, 1.0
	v_rcp_f32_e32 v92, v91
	s_waitcnt_depctr 0xfff
	v_fma_f32 v93, -v91, v92, 1.0
	s_delay_alu instid0(VALU_DEP_1) | instskip(SKIP_1) | instid1(VALU_DEP_2)
	v_dual_fmac_f32 v92, v93, v92 :: v_dual_cndmask_b32 v93, v100, v99
	v_cmp_eq_u32_e32 vcc_lo, 3, v66
	v_cndmask_b32_e64 v93, v93, v101, s2
	v_cmp_eq_u32_e64 s2, 4, v66
	s_delay_alu instid0(VALU_DEP_2) | instskip(SKIP_1) | instid1(VALU_DEP_2)
	v_cndmask_b32_e32 v93, v93, v102, vcc_lo
	v_cmp_eq_u32_e32 vcc_lo, 5, v66
	v_cndmask_b32_e64 v93, v93, v97, s2
	v_cmp_eq_u32_e64 s2, 6, v66
	s_delay_alu instid0(VALU_DEP_2) | instskip(SKIP_1) | instid1(VALU_DEP_1)
	v_cndmask_b32_e32 v93, v93, v95, vcc_lo
	v_div_scale_f32 v94, s3, 1.0, v90, 1.0
	s_mov_b32 vcc_lo, s3
	s_delay_alu instid0(VALU_DEP_2) | instskip(NEXT) | instid1(VALU_DEP_2)
	v_cndmask_b32_e64 v82, v93, v82, s2
	v_mul_f32_e32 v96, v94, v92
	s_mov_b32 s2, exec_lo
	s_delay_alu instid0(VALU_DEP_2) | instskip(NEXT) | instid1(VALU_DEP_2)
	v_cndmask_b32_e64 v82, v82, v89, s4
	v_fma_f32 v98, -v91, v96, v94
	s_delay_alu instid0(VALU_DEP_1) | instskip(NEXT) | instid1(VALU_DEP_1)
	v_fmac_f32_e32 v96, v98, v92
	v_fma_f32 v91, -v91, v96, v94
	s_delay_alu instid0(VALU_DEP_1) | instskip(NEXT) | instid1(VALU_DEP_1)
	v_div_fmas_f32 v91, v91, v92, v96
	v_div_fixup_f32 v90, v91, v90, 1.0
	s_delay_alu instid0(VALU_DEP_1) | instskip(NEXT) | instid1(VALU_DEP_1)
	v_mul_f32_e32 v82, v82, v90
	v_mul_f32_e32 v87, v82, v87
	;; [unrolled: 1-line block ×7, first 2 shown]
	v_dual_mul_f32 v86, v82, v83 :: v_dual_and_b32 v91, 0x7f800000, v90
	v_mul_f32_e32 v85, v82, v76
                                        ; implicit-def: $vgpr76
	s_delay_alu instid0(VALU_DEP_2)
	v_cmpx_ne_u32_e32 0x7f800000, v91
	s_xor_b32 s2, exec_lo, s2
; %bb.13:
	v_bfe_u32 v76, v90, 16, 1
	s_delay_alu instid0(VALU_DEP_1)
	v_add3_u32 v76, v90, v76, 0x7fff
                                        ; implicit-def: $vgpr90
; %bb.14:
	s_and_not1_saveexec_b32 s2, s2
; %bb.15:
	v_and_b32_e32 v76, 0xffff, v90
	v_or_b32_e32 v83, 0x10000, v90
	s_delay_alu instid0(VALU_DEP_2) | instskip(NEXT) | instid1(VALU_DEP_2)
	v_cmp_eq_u32_e32 vcc_lo, 0, v76
	v_cndmask_b32_e32 v76, v83, v90, vcc_lo
; %bb.16:
	s_or_b32 exec_lo, exec_lo, s2
	v_and_b32_e32 v83, 0x7f800000, v85
	s_delay_alu instid0(VALU_DEP_1) | instskip(SKIP_1) | instid1(SALU_CYCLE_1)
	v_cmp_ne_u32_e32 vcc_lo, 0x7f800000, v83
                                        ; implicit-def: $vgpr83
	s_and_saveexec_b32 s2, vcc_lo
	s_xor_b32 s2, exec_lo, s2
; %bb.17:
	v_bfe_u32 v83, v85, 16, 1
	s_delay_alu instid0(VALU_DEP_1)
	v_add3_u32 v83, v85, v83, 0x7fff
                                        ; implicit-def: $vgpr85
; %bb.18:
	s_and_not1_saveexec_b32 s2, s2
; %bb.19:
	v_and_b32_e32 v83, 0xffff, v85
	v_or_b32_e32 v90, 0x10000, v85
	s_delay_alu instid0(VALU_DEP_2) | instskip(NEXT) | instid1(VALU_DEP_2)
	v_cmp_eq_u32_e32 vcc_lo, 0, v83
	v_cndmask_b32_e32 v83, v90, v85, vcc_lo
; %bb.20:
	s_or_b32 exec_lo, exec_lo, s2
	v_and_b32_e32 v85, 0x7f800000, v86
	s_delay_alu instid0(VALU_DEP_1) | instskip(SKIP_1) | instid1(SALU_CYCLE_1)
	v_cmp_ne_u32_e32 vcc_lo, 0x7f800000, v85
                                        ; implicit-def: $vgpr85
	s_and_saveexec_b32 s2, vcc_lo
	s_xor_b32 s2, exec_lo, s2
; %bb.21:
	v_bfe_u32 v85, v86, 16, 1
	s_delay_alu instid0(VALU_DEP_1)
	v_add3_u32 v85, v86, v85, 0x7fff
                                        ; implicit-def: $vgpr86
; %bb.22:
	s_and_not1_saveexec_b32 s2, s2
; %bb.23:
	v_and_b32_e32 v85, 0xffff, v86
	v_or_b32_e32 v90, 0x10000, v86
	s_delay_alu instid0(VALU_DEP_2) | instskip(NEXT) | instid1(VALU_DEP_2)
	v_cmp_eq_u32_e32 vcc_lo, 0, v85
	v_cndmask_b32_e32 v85, v90, v86, vcc_lo
; %bb.24:
	s_or_b32 exec_lo, exec_lo, s2
	v_and_b32_e32 v86, 0x7f800000, v89
	s_delay_alu instid0(VALU_DEP_1) | instskip(SKIP_1) | instid1(SALU_CYCLE_1)
	v_cmp_ne_u32_e32 vcc_lo, 0x7f800000, v86
                                        ; implicit-def: $vgpr86
	s_and_saveexec_b32 s2, vcc_lo
	s_xor_b32 s2, exec_lo, s2
; %bb.25:
	v_bfe_u32 v86, v89, 16, 1
	s_delay_alu instid0(VALU_DEP_1)
	v_add3_u32 v86, v89, v86, 0x7fff
                                        ; implicit-def: $vgpr89
; %bb.26:
	s_and_not1_saveexec_b32 s2, s2
; %bb.27:
	v_and_b32_e32 v86, 0xffff, v89
	v_or_b32_e32 v90, 0x10000, v89
	s_delay_alu instid0(VALU_DEP_2) | instskip(NEXT) | instid1(VALU_DEP_2)
	v_cmp_eq_u32_e32 vcc_lo, 0, v86
	v_cndmask_b32_e32 v86, v90, v89, vcc_lo
; %bb.28:
	s_or_b32 exec_lo, exec_lo, s2
	v_and_b32_e32 v89, 0x7f800000, v88
	s_delay_alu instid0(VALU_DEP_1) | instskip(SKIP_1) | instid1(SALU_CYCLE_1)
	v_cmp_ne_u32_e32 vcc_lo, 0x7f800000, v89
                                        ; implicit-def: $vgpr89
	s_and_saveexec_b32 s2, vcc_lo
	s_xor_b32 s2, exec_lo, s2
; %bb.29:
	v_bfe_u32 v89, v88, 16, 1
	s_delay_alu instid0(VALU_DEP_1)
	v_add3_u32 v89, v88, v89, 0x7fff
                                        ; implicit-def: $vgpr88
; %bb.30:
	s_and_not1_saveexec_b32 s2, s2
; %bb.31:
	v_and_b32_e32 v89, 0xffff, v88
	v_or_b32_e32 v90, 0x10000, v88
	s_delay_alu instid0(VALU_DEP_2) | instskip(NEXT) | instid1(VALU_DEP_2)
	v_cmp_eq_u32_e32 vcc_lo, 0, v89
	v_cndmask_b32_e32 v89, v90, v88, vcc_lo
; %bb.32:
	s_or_b32 exec_lo, exec_lo, s2
	v_and_b32_e32 v88, 0x7f800000, v87
	s_delay_alu instid0(VALU_DEP_1) | instskip(SKIP_1) | instid1(SALU_CYCLE_1)
	v_cmp_ne_u32_e32 vcc_lo, 0x7f800000, v88
                                        ; implicit-def: $vgpr88
	s_and_saveexec_b32 s2, vcc_lo
	s_xor_b32 s2, exec_lo, s2
; %bb.33:
	v_bfe_u32 v88, v87, 16, 1
	s_delay_alu instid0(VALU_DEP_1)
	v_add3_u32 v88, v87, v88, 0x7fff
                                        ; implicit-def: $vgpr87
; %bb.34:
	s_and_not1_saveexec_b32 s2, s2
; %bb.35:
	v_and_b32_e32 v88, 0xffff, v87
	v_or_b32_e32 v90, 0x10000, v87
	s_delay_alu instid0(VALU_DEP_2) | instskip(NEXT) | instid1(VALU_DEP_2)
	v_cmp_eq_u32_e32 vcc_lo, 0, v88
	v_cndmask_b32_e32 v88, v90, v87, vcc_lo
; %bb.36:
	s_or_b32 exec_lo, exec_lo, s2
	v_and_b32_e32 v87, 0x7f800000, v84
	s_delay_alu instid0(VALU_DEP_1) | instskip(SKIP_1) | instid1(SALU_CYCLE_1)
	v_cmp_ne_u32_e32 vcc_lo, 0x7f800000, v87
                                        ; implicit-def: $vgpr87
	s_and_saveexec_b32 s2, vcc_lo
	s_xor_b32 s2, exec_lo, s2
; %bb.37:
	v_bfe_u32 v87, v84, 16, 1
	s_delay_alu instid0(VALU_DEP_1)
	v_add3_u32 v87, v84, v87, 0x7fff
                                        ; implicit-def: $vgpr84
; %bb.38:
	s_and_not1_saveexec_b32 s2, s2
; %bb.39:
	v_and_b32_e32 v87, 0xffff, v84
	v_or_b32_e32 v90, 0x10000, v84
	s_delay_alu instid0(VALU_DEP_2) | instskip(NEXT) | instid1(VALU_DEP_2)
	v_cmp_eq_u32_e32 vcc_lo, 0, v87
	v_cndmask_b32_e32 v87, v90, v84, vcc_lo
; %bb.40:
	s_or_b32 exec_lo, exec_lo, s2
	v_and_b32_e32 v84, 0x7f800000, v80
	s_delay_alu instid0(VALU_DEP_1) | instskip(SKIP_1) | instid1(SALU_CYCLE_1)
	v_cmp_ne_u32_e32 vcc_lo, 0x7f800000, v84
                                        ; implicit-def: $vgpr84
	s_and_saveexec_b32 s2, vcc_lo
	s_xor_b32 s2, exec_lo, s2
; %bb.41:
	v_bfe_u32 v84, v80, 16, 1
	s_delay_alu instid0(VALU_DEP_1)
	v_add3_u32 v84, v80, v84, 0x7fff
                                        ; implicit-def: $vgpr80
; %bb.42:
	s_and_not1_saveexec_b32 s2, s2
; %bb.43:
	v_and_b32_e32 v84, 0xffff, v80
	v_or_b32_e32 v90, 0x10000, v80
	s_delay_alu instid0(VALU_DEP_2) | instskip(NEXT) | instid1(VALU_DEP_2)
	v_cmp_eq_u32_e32 vcc_lo, 0, v84
	v_cndmask_b32_e32 v84, v90, v80, vcc_lo
; %bb.44:
	s_or_b32 exec_lo, exec_lo, s2
	s_load_b64 s[34:35], s[0:1], 0x94
	v_lshlrev_b32_e32 v91, 4, v74
	s_delay_alu instid0(VALU_DEP_2)
	v_perm_b32 v90, v84, v87, 0x7060302
	v_dual_mul_f32 v79, v82, v79 :: v_dual_lshlrev_b32 v80, 6, v65
	v_dual_mul_f32 v77, v82, v77 :: v_dual_lshlrev_b32 v92, 11, v66
	v_mul_f32_e32 v84, v82, v70
	v_perm_b32 v89, v88, v89, 0x7060302
	v_perm_b32 v88, v86, v85, 0x7060302
	;; [unrolled: 1-line block ×3, first 2 shown]
	v_mul_f32_e32 v70, v82, v81
	v_or3_b32 v76, v91, v92, v80
	v_dual_mul_f32 v78, v82, v78 :: v_dual_and_b32 v85, 0x7f800000, v84
	v_mul_f32_e32 v83, v82, v72
	v_mul_f32_e32 v81, v82, v71
	;; [unrolled: 1-line block ×3, first 2 shown]
	s_mov_b32 s2, exec_lo
	ds_store_b128 v76, v[87:90]
                                        ; implicit-def: $vgpr69
	v_cmpx_ne_u32_e32 0x7f800000, v85
	s_xor_b32 s2, exec_lo, s2
; %bb.45:
	v_bfe_u32 v69, v84, 16, 1
	s_delay_alu instid0(VALU_DEP_1)
	v_add3_u32 v69, v84, v69, 0x7fff
                                        ; implicit-def: $vgpr84
; %bb.46:
	s_and_not1_saveexec_b32 s2, s2
; %bb.47:
	v_and_b32_e32 v69, 0xffff, v84
	v_or_b32_e32 v71, 0x10000, v84
	s_delay_alu instid0(VALU_DEP_2) | instskip(NEXT) | instid1(VALU_DEP_2)
	v_cmp_eq_u32_e32 vcc_lo, 0, v69
	v_cndmask_b32_e32 v69, v71, v84, vcc_lo
; %bb.48:
	s_or_b32 exec_lo, exec_lo, s2
	v_and_b32_e32 v71, 0x7f800000, v72
	s_delay_alu instid0(VALU_DEP_1) | instskip(SKIP_1) | instid1(SALU_CYCLE_1)
	v_cmp_ne_u32_e32 vcc_lo, 0x7f800000, v71
                                        ; implicit-def: $vgpr71
	s_and_saveexec_b32 s2, vcc_lo
	s_xor_b32 s2, exec_lo, s2
; %bb.49:
	v_bfe_u32 v71, v72, 16, 1
	s_delay_alu instid0(VALU_DEP_1)
	v_add3_u32 v71, v72, v71, 0x7fff
                                        ; implicit-def: $vgpr72
; %bb.50:
	s_and_not1_saveexec_b32 s2, s2
; %bb.51:
	v_and_b32_e32 v71, 0xffff, v72
	v_or_b32_e32 v82, 0x10000, v72
	s_delay_alu instid0(VALU_DEP_2) | instskip(NEXT) | instid1(VALU_DEP_2)
	v_cmp_eq_u32_e32 vcc_lo, 0, v71
	v_cndmask_b32_e32 v71, v82, v72, vcc_lo
; %bb.52:
	s_or_b32 exec_lo, exec_lo, s2
	v_and_b32_e32 v72, 0x7f800000, v81
	s_delay_alu instid0(VALU_DEP_1) | instskip(SKIP_1) | instid1(SALU_CYCLE_1)
	v_cmp_ne_u32_e32 vcc_lo, 0x7f800000, v72
                                        ; implicit-def: $vgpr72
	s_and_saveexec_b32 s2, vcc_lo
	s_xor_b32 s2, exec_lo, s2
; %bb.53:
	v_bfe_u32 v72, v81, 16, 1
	s_delay_alu instid0(VALU_DEP_1)
	v_add3_u32 v72, v81, v72, 0x7fff
                                        ; implicit-def: $vgpr81
; %bb.54:
	s_and_not1_saveexec_b32 s2, s2
; %bb.55:
	v_and_b32_e32 v72, 0xffff, v81
	v_or_b32_e32 v82, 0x10000, v81
	s_delay_alu instid0(VALU_DEP_2) | instskip(NEXT) | instid1(VALU_DEP_2)
	v_cmp_eq_u32_e32 vcc_lo, 0, v72
	v_cndmask_b32_e32 v72, v82, v81, vcc_lo
; %bb.56:
	s_or_b32 exec_lo, exec_lo, s2
	v_and_b32_e32 v81, 0x7f800000, v83
	s_delay_alu instid0(VALU_DEP_1) | instskip(SKIP_1) | instid1(SALU_CYCLE_1)
	v_cmp_ne_u32_e32 vcc_lo, 0x7f800000, v81
                                        ; implicit-def: $vgpr81
	s_and_saveexec_b32 s2, vcc_lo
	s_xor_b32 s2, exec_lo, s2
; %bb.57:
	v_bfe_u32 v81, v83, 16, 1
	s_delay_alu instid0(VALU_DEP_1)
	v_add3_u32 v81, v83, v81, 0x7fff
                                        ; implicit-def: $vgpr83
; %bb.58:
	s_and_not1_saveexec_b32 s2, s2
; %bb.59:
	v_and_b32_e32 v81, 0xffff, v83
	v_or_b32_e32 v82, 0x10000, v83
	s_delay_alu instid0(VALU_DEP_2) | instskip(NEXT) | instid1(VALU_DEP_2)
	v_cmp_eq_u32_e32 vcc_lo, 0, v81
	v_cndmask_b32_e32 v81, v82, v83, vcc_lo
; %bb.60:
	s_or_b32 exec_lo, exec_lo, s2
	v_and_b32_e32 v82, 0x7f800000, v77
	s_delay_alu instid0(VALU_DEP_1) | instskip(SKIP_1) | instid1(SALU_CYCLE_1)
	v_cmp_ne_u32_e32 vcc_lo, 0x7f800000, v82
                                        ; implicit-def: $vgpr82
	s_and_saveexec_b32 s2, vcc_lo
	s_xor_b32 s2, exec_lo, s2
; %bb.61:
	v_bfe_u32 v82, v77, 16, 1
	s_delay_alu instid0(VALU_DEP_1)
	v_add3_u32 v82, v77, v82, 0x7fff
                                        ; implicit-def: $vgpr77
; %bb.62:
	s_and_not1_saveexec_b32 s2, s2
; %bb.63:
	v_and_b32_e32 v82, 0xffff, v77
	v_or_b32_e32 v83, 0x10000, v77
	s_delay_alu instid0(VALU_DEP_2) | instskip(NEXT) | instid1(VALU_DEP_2)
	v_cmp_eq_u32_e32 vcc_lo, 0, v82
	v_cndmask_b32_e32 v82, v83, v77, vcc_lo
; %bb.64:
	s_or_b32 exec_lo, exec_lo, s2
	v_and_b32_e32 v77, 0x7f800000, v78
	s_delay_alu instid0(VALU_DEP_1) | instskip(SKIP_1) | instid1(SALU_CYCLE_1)
	v_cmp_ne_u32_e32 vcc_lo, 0x7f800000, v77
                                        ; implicit-def: $vgpr77
	s_and_saveexec_b32 s2, vcc_lo
	s_xor_b32 s2, exec_lo, s2
; %bb.65:
	v_bfe_u32 v77, v78, 16, 1
	s_delay_alu instid0(VALU_DEP_1)
	v_add3_u32 v77, v78, v77, 0x7fff
                                        ; implicit-def: $vgpr78
; %bb.66:
	s_and_not1_saveexec_b32 s2, s2
; %bb.67:
	v_and_b32_e32 v77, 0xffff, v78
	v_or_b32_e32 v83, 0x10000, v78
	s_delay_alu instid0(VALU_DEP_2) | instskip(NEXT) | instid1(VALU_DEP_2)
	v_cmp_eq_u32_e32 vcc_lo, 0, v77
	v_cndmask_b32_e32 v77, v83, v78, vcc_lo
; %bb.68:
	s_or_b32 exec_lo, exec_lo, s2
	v_and_b32_e32 v78, 0x7f800000, v79
	s_delay_alu instid0(VALU_DEP_1) | instskip(SKIP_1) | instid1(SALU_CYCLE_1)
	v_cmp_ne_u32_e32 vcc_lo, 0x7f800000, v78
                                        ; implicit-def: $vgpr78
	s_and_saveexec_b32 s2, vcc_lo
	s_xor_b32 s2, exec_lo, s2
; %bb.69:
	v_bfe_u32 v78, v79, 16, 1
	s_delay_alu instid0(VALU_DEP_1)
	v_add3_u32 v78, v79, v78, 0x7fff
                                        ; implicit-def: $vgpr79
; %bb.70:
	s_and_not1_saveexec_b32 s2, s2
; %bb.71:
	v_and_b32_e32 v78, 0xffff, v79
	v_or_b32_e32 v83, 0x10000, v79
	s_delay_alu instid0(VALU_DEP_2) | instskip(NEXT) | instid1(VALU_DEP_2)
	v_cmp_eq_u32_e32 vcc_lo, 0, v78
	v_cndmask_b32_e32 v78, v83, v79, vcc_lo
; %bb.72:
	s_or_b32 exec_lo, exec_lo, s2
	v_and_b32_e32 v79, 0x7f800000, v70
	s_delay_alu instid0(VALU_DEP_1) | instskip(SKIP_1) | instid1(SALU_CYCLE_1)
	v_cmp_ne_u32_e32 vcc_lo, 0x7f800000, v79
                                        ; implicit-def: $vgpr79
	s_and_saveexec_b32 s2, vcc_lo
	s_xor_b32 s2, exec_lo, s2
; %bb.73:
	v_bfe_u32 v79, v70, 16, 1
	s_delay_alu instid0(VALU_DEP_1)
	v_add3_u32 v79, v70, v79, 0x7fff
                                        ; implicit-def: $vgpr70
; %bb.74:
	s_and_not1_saveexec_b32 s2, s2
; %bb.75:
	v_and_b32_e32 v79, 0xffff, v70
	v_or_b32_e32 v83, 0x10000, v70
	s_delay_alu instid0(VALU_DEP_2) | instskip(NEXT) | instid1(VALU_DEP_2)
	v_cmp_eq_u32_e32 vcc_lo, 0, v79
	v_cndmask_b32_e32 v79, v83, v70, vcc_lo
; %bb.76:
	s_or_b32 exec_lo, exec_lo, s2
	s_delay_alu instid0(VALU_DEP_1)
	v_perm_b32 v86, v79, v78, 0x7060302
	v_perm_b32 v85, v77, v82, 0x7060302
	;; [unrolled: 1-line block ×4, first 2 shown]
	v_lshl_or_b32 v82, v66, 11, v80
	ds_store_b128 v76, v[83:86] offset:1024
	s_waitcnt lgkmcnt(0)
	s_barrier
	buffer_gl0_inv
	ds_load_b128 v[69:72], v82
	ds_load_b128 v[83:86], v82 offset:16
	s_waitcnt lgkmcnt(1)
	v_lshrrev_b32_e32 v66, 16, v69
	s_waitcnt lgkmcnt(0)
	v_lshrrev_b32_e32 v91, 16, v83
	v_lshlrev_b32_e32 v78, 2, v74
	v_lshrrev_b32_e32 v95, 16, v70
	v_lshrrev_b32_e32 v98, 16, v84
	;; [unrolled: 1-line block ×4, first 2 shown]
	v_cmp_eq_u32_e32 vcc_lo, 1, v78
	v_lshrrev_b32_e32 v97, 16, v72
	v_lshrrev_b32_e32 v100, 16, v86
	v_cndmask_b32_e32 v87, v83, v91, vcc_lo
	v_or_b32_e32 v79, 1, v78
	v_cndmask_b32_e32 v81, v69, v66, vcc_lo
	v_cmp_eq_u32_e64 s3, 2, v78
	v_cmp_eq_u32_e64 s6, 3, v78
	;; [unrolled: 1-line block ×5, first 2 shown]
	v_cndmask_b32_e64 v81, v81, v70, s3
	v_cndmask_b32_e64 v87, v87, v84, s3
	v_cmp_eq_u32_e64 s7, 3, v79
	v_cndmask_b32_e64 v88, v69, v66, s2
	v_or_b32_e32 v77, 2, v78
	v_cndmask_b32_e64 v81, v81, v95, s6
	v_cndmask_b32_e64 v87, v87, v98, s6
	;; [unrolled: 1-line block ×4, first 2 shown]
	v_cmp_eq_u32_e64 s9, 5, v78
	v_cndmask_b32_e64 v81, v81, v71, s8
	v_cndmask_b32_e64 v87, v87, v85, s8
	v_cmp_eq_u32_e64 s10, 4, v79
	v_cndmask_b32_e64 v88, v88, v95, s7
	v_cmp_eq_u32_e64 s4, 1, v77
	v_cndmask_b32_e64 v89, v89, v84, s5
	v_cndmask_b32_e64 v81, v81, v96, s9
	v_cmp_eq_u32_e64 s11, 6, v78
	v_cndmask_b32_e64 v88, v88, v71, s10
	;; [unrolled: 3-line block ×3, first 2 shown]
	v_cndmask_b32_e64 v89, v89, v98, s7
	v_cndmask_b32_e64 v81, v81, v72, s11
	v_cmp_eq_u32_e64 s13, 7, v78
	v_cndmask_b32_e64 v88, v88, v96, s12
	v_cndmask_b32_e64 v87, v87, v86, s11
	v_cmp_eq_u32_e64 s15, 6, v79
	v_cmp_eq_u32_e64 s16, 2, v77
	v_cndmask_b32_e64 v89, v89, v85, s10
	v_cndmask_b32_e64 v101, v81, v97, s13
	;; [unrolled: 1-line block ×6, first 2 shown]
	v_cmp_eq_u32_e64 s17, 7, v79
	v_cmp_eq_u32_e64 s18, 3, v77
	;; [unrolled: 1-line block ×4, first 2 shown]
	v_cndmask_b32_e64 v87, v87, v84, s16
	v_cndmask_b32_e64 v103, v88, v97, s17
	;; [unrolled: 1-line block ×4, first 2 shown]
	v_or_b32_e32 v81, 3, v78
	v_cndmask_b32_e64 v93, v87, v98, s18
	v_cmp_eq_u32_e64 s23, 6, v77
	v_cndmask_b32_e64 v104, v88, v86, s15
	v_cndmask_b32_e64 v92, v89, v71, s19
	v_cmp_eq_u32_e64 s20, 1, v81
	ds_load_b128 v[87:90], v82 offset:1024
	v_cmp_eq_u32_e64 s22, 2, v81
	v_cmp_eq_u32_e64 s24, 3, v81
	v_cndmask_b32_e64 v105, v92, v96, s21
	v_cndmask_b32_e64 v66, v69, v66, s20
	;; [unrolled: 1-line block ×4, first 2 shown]
	ds_load_b128 v[91:94], v82 offset:1040
	v_cmp_eq_u32_e64 s25, 4, v81
	v_cndmask_b32_e64 v66, v66, v70, s22
	v_cmp_eq_u32_e64 s26, 7, v77
	v_cndmask_b32_e64 v70, v83, v84, s22
	v_cndmask_b32_e64 v84, v105, v72, s23
	v_cmp_eq_u32_e64 s27, 5, v81
	v_cndmask_b32_e64 v66, v66, v95, s24
	v_cmp_eq_u32_e64 s28, 6, v81
	v_cndmask_b32_e64 v70, v70, v98, s24
	v_cndmask_b32_e64 v69, v69, v99, s21
	;; [unrolled: 1-line block ×4, first 2 shown]
	s_waitcnt lgkmcnt(1)
	v_lshrrev_b32_e32 v95, 16, v87
	v_cndmask_b32_e64 v70, v70, v85, s25
	v_cndmask_b32_e64 v71, v84, v97, s26
	;; [unrolled: 1-line block ×4, first 2 shown]
	v_cndmask_b32_e32 v84, v87, v95, vcc_lo
	v_cndmask_b32_e64 v70, v70, v99, s27
	s_waitcnt lgkmcnt(0)
	v_lshrrev_b32_e32 v85, 16, v91
	v_lshrrev_b32_e32 v96, 16, v88
	v_cndmask_b32_e64 v98, v87, v95, s2
	v_cndmask_b32_e64 v84, v84, v88, s3
	v_cndmask_b32_e64 v70, v70, v86, s28
	v_cndmask_b32_e32 v99, v91, v85, vcc_lo
	v_cmp_eq_u32_e32 vcc_lo, 7, v81
	v_cndmask_b32_e64 v66, v66, v72, s28
	v_cndmask_b32_e64 v72, v84, v96, s6
	;; [unrolled: 1-line block ×3, first 2 shown]
	v_lshrrev_b32_e32 v98, 16, v92
	v_cndmask_b32_e32 v70, v70, v100, vcc_lo
	v_cndmask_b32_e64 v86, v99, v92, s3
	v_cndmask_b32_e64 v69, v69, v100, s26
	v_lshrrev_b32_e32 v100, 16, v93
	v_cndmask_b32_e64 v72, v72, v89, s8
	v_lshrrev_b32_e32 v99, 16, v89
	v_cndmask_b32_e64 v86, v86, v98, s6
	v_perm_b32 v71, v69, v71, 0x5040100
	v_cndmask_b32_e64 v84, v84, v96, s7
	s_delay_alu instid0(VALU_DEP_3) | instskip(NEXT) | instid1(VALU_DEP_2)
	v_cndmask_b32_e64 v86, v86, v93, s8
	v_cndmask_b32_e64 v84, v84, v89, s10
	s_delay_alu instid0(VALU_DEP_2) | instskip(NEXT) | instid1(VALU_DEP_1)
	v_cndmask_b32_e64 v86, v86, v100, s9
	v_cndmask_b32_e64 v69, v86, v94, s11
	;; [unrolled: 1-line block ×5, first 2 shown]
	s_delay_alu instid0(VALU_DEP_3) | instskip(NEXT) | instid1(VALU_DEP_3)
	v_cndmask_b32_e64 v86, v86, v88, s16
	v_cndmask_b32_e64 v87, v87, v88, s22
	s_delay_alu instid0(VALU_DEP_3) | instskip(NEXT) | instid1(VALU_DEP_3)
	v_cndmask_b32_e64 v88, v95, v92, s22
	v_cndmask_b32_e64 v86, v86, v96, s18
	;; [unrolled: 3-line block ×7, first 2 shown]
	s_delay_alu instid0(VALU_DEP_3) | instskip(SKIP_2) | instid1(VALU_DEP_2)
	v_cndmask_b32_e64 v88, v88, v94, s28
	v_cndmask_b32_e32 v66, v66, v97, vcc_lo
	v_cndmask_b32_e64 v97, v72, v99, s9
	v_perm_b32 v72, v70, v66, 0x5040100
	v_perm_b32 v70, v83, v103, 0x5040100
	v_cndmask_b32_e64 v103, v91, v85, s4
	v_cndmask_b32_e64 v85, v91, v85, s2
	;; [unrolled: 1-line block ×4, first 2 shown]
	v_lshrrev_b32_e32 v97, 16, v90
	v_cndmask_b32_e64 v91, v103, v92, s16
	v_cndmask_b32_e64 v85, v85, v92, s5
	;; [unrolled: 1-line block ×3, first 2 shown]
	s_mov_b32 s2, exec_lo
	v_cndmask_b32_e64 v83, v84, v97, s13
	v_cndmask_b32_e64 v91, v91, v98, s18
	v_cndmask_b32_e64 v85, v85, v98, s7
	v_lshrrev_b32_e32 v84, 16, v94
	v_cndmask_b32_e64 v66, v66, v97, s17
	v_cndmask_b32_e64 v90, v86, v97, s26
	;; [unrolled: 1-line block ×4, first 2 shown]
	v_dual_cndmask_b32 v86, v87, v97 :: v_dual_cndmask_b32 v87, v88, v84
	v_cndmask_b32_e64 v91, v69, v84, s13
	s_delay_alu instid0(VALU_DEP_4) | instskip(NEXT) | instid1(VALU_DEP_4)
	v_cndmask_b32_e64 v89, v89, v100, s21
	v_cndmask_b32_e64 v85, v85, v100, s12
	v_perm_b32 v69, v102, v101, 0x5040100
	v_perm_b32 v86, v87, v86, 0x5040100
	v_perm_b32 v83, v91, v83, 0x5040100
	v_cndmask_b32_e64 v89, v89, v94, s23
	v_cndmask_b32_e64 v85, v85, v94, s15
	s_mul_i32 s7, s35, 12
	s_delay_alu instid0(VALU_DEP_2) | instskip(NEXT) | instid1(VALU_DEP_2)
	v_cndmask_b32_e64 v88, v89, v84, s26
	v_cndmask_b32_e64 v89, v85, v84, s17
	s_delay_alu instid0(VALU_DEP_2) | instskip(NEXT) | instid1(VALU_DEP_2)
	v_perm_b32 v85, v88, v90, 0x5040100
	v_perm_b32 v84, v89, v66, 0x5040100
	ds_store_b128 v76, v[69:72]
	ds_store_b128 v76, v[83:86] offset:1024
	v_cmpx_gt_u32_e32 12, v0
	s_cbranch_execz .LBB1657_78
; %bb.77:
	s_mul_i32 s3, s7, s30
	s_load_b128 s[8:11], s[0:1], 0x58
	v_add3_u32 v69, s3, s29, v65
	s_delay_alu instid0(VALU_DEP_1) | instskip(NEXT) | instid1(VALU_DEP_1)
	v_mad_u64_u32 v[65:66], null, v69, s34, s[14:15]
	v_ashrrev_i32_e32 v66, 31, v65
	s_delay_alu instid0(VALU_DEP_1) | instskip(SKIP_1) | instid1(VALU_DEP_1)
	v_lshlrev_b64 v[65:66], 2, v[65:66]
	s_waitcnt lgkmcnt(0)
	v_add_co_u32 v69, vcc_lo, s10, v65
	s_delay_alu instid0(VALU_DEP_2)
	v_add_co_ci_u32_e32 v70, vcc_lo, s11, v66, vcc_lo
	v_add_co_u32 v65, vcc_lo, s8, v65
	v_add_co_ci_u32_e32 v66, vcc_lo, s9, v66, vcc_lo
	global_store_b32 v[69:70], v67, off
	global_store_b32 v[65:66], v68, off
.LBB1657_78:
	s_or_b32 exec_lo, exec_lo, s2
	s_waitcnt lgkmcnt(0)
	s_waitcnt_vscnt null, 0x0
	s_barrier
	buffer_gl0_inv
	ds_load_b128 v[83:86], v80
	ds_load_b128 v[87:90], v80 offset:16
	ds_load_b128 v[95:98], v80 offset:2064
	;; [unrolled: 1-line block ×3, first 2 shown]
	v_mov_b32_e32 v65, 0
	ds_load_b128 v[103:106], v80 offset:4112
	ds_load_b128 v[99:102], v80 offset:4096
	;; [unrolled: 1-line block ×4, first 2 shown]
	v_mov_b32_e32 v66, v65
	v_mov_b32_e32 v67, v65
	;; [unrolled: 1-line block ×7, first 2 shown]
	s_waitcnt lgkmcnt(6)
	s_delay_alu instid0(VALU_DEP_1)
	v_wmma_f32_16x16x16_bf16 v[65:72], v[49:56], v[83:90], v[65:72]
	ds_load_b128 v[53:56], v80 offset:8208
	ds_load_b128 v[49:52], v80 offset:8192
	s_waitcnt lgkmcnt(6)
	v_wmma_f32_16x16x16_bf16 v[65:72], v[41:48], v[91:98], v[65:72]
	ds_load_b128 v[45:48], v80 offset:10256
	ds_load_b128 v[41:44], v80 offset:10240
	s_waitcnt lgkmcnt(6)
	;; [unrolled: 4-line block ×4, first 2 shown]
	v_wmma_f32_16x16x16_bf16 v[65:72], v[1:8], v[49:56], v[65:72]
	s_waitcnt lgkmcnt(4)
	s_delay_alu instid0(VALU_DEP_1) | instskip(SKIP_1) | instid1(VALU_DEP_1)
	v_wmma_f32_16x16x16_bf16 v[65:72], v[9:16], v[41:48], v[65:72]
	s_waitcnt lgkmcnt(2)
	v_wmma_f32_16x16x16_bf16 v[65:72], v[17:24], v[33:40], v[65:72]
	s_waitcnt lgkmcnt(0)
	s_delay_alu instid0(VALU_DEP_1) | instskip(NEXT) | instid1(VALU_DEP_1)
	v_wmma_f32_16x16x16_bf16 v[65:72], v[57:64], v[25:32], v[65:72]
	v_and_b32_e32 v1, 0x7f800000, v65
	s_delay_alu instid0(VALU_DEP_1) | instskip(SKIP_1) | instid1(SALU_CYCLE_1)
	v_cmp_ne_u32_e32 vcc_lo, 0x7f800000, v1
                                        ; implicit-def: $vgpr1
	s_and_saveexec_b32 s2, vcc_lo
	s_xor_b32 s2, exec_lo, s2
; %bb.79:
	v_bfe_u32 v1, v65, 16, 1
	s_delay_alu instid0(VALU_DEP_1)
	v_add3_u32 v1, v65, v1, 0x7fff
; %bb.80:
	s_and_not1_saveexec_b32 s2, s2
; %bb.81:
	v_and_b32_e32 v1, 0xffff, v65
	v_or_b32_e32 v2, 0x10000, v65
	s_delay_alu instid0(VALU_DEP_2) | instskip(NEXT) | instid1(VALU_DEP_2)
	v_cmp_eq_u32_e32 vcc_lo, 0, v1
	v_cndmask_b32_e32 v1, v2, v65, vcc_lo
; %bb.82:
	s_or_b32 exec_lo, exec_lo, s2
	v_and_b32_e32 v2, 0x7f800000, v66
	s_delay_alu instid0(VALU_DEP_1) | instskip(SKIP_1) | instid1(SALU_CYCLE_1)
	v_cmp_ne_u32_e32 vcc_lo, 0x7f800000, v2
                                        ; implicit-def: $vgpr2
	s_and_saveexec_b32 s2, vcc_lo
	s_xor_b32 s2, exec_lo, s2
; %bb.83:
	v_bfe_u32 v2, v66, 16, 1
	s_delay_alu instid0(VALU_DEP_1)
	v_add3_u32 v2, v66, v2, 0x7fff
; %bb.84:
	s_and_not1_saveexec_b32 s2, s2
; %bb.85:
	v_and_b32_e32 v2, 0xffff, v66
	v_or_b32_e32 v3, 0x10000, v66
	s_delay_alu instid0(VALU_DEP_2) | instskip(NEXT) | instid1(VALU_DEP_2)
	v_cmp_eq_u32_e32 vcc_lo, 0, v2
	v_cndmask_b32_e32 v2, v3, v66, vcc_lo
; %bb.86:
	s_or_b32 exec_lo, exec_lo, s2
	v_and_b32_e32 v3, 0x7f800000, v67
	s_delay_alu instid0(VALU_DEP_1) | instskip(SKIP_1) | instid1(SALU_CYCLE_1)
	v_cmp_ne_u32_e32 vcc_lo, 0x7f800000, v3
                                        ; implicit-def: $vgpr3
	s_and_saveexec_b32 s2, vcc_lo
	s_xor_b32 s2, exec_lo, s2
; %bb.87:
	v_bfe_u32 v3, v67, 16, 1
	s_delay_alu instid0(VALU_DEP_1)
	v_add3_u32 v3, v67, v3, 0x7fff
; %bb.88:
	s_and_not1_saveexec_b32 s2, s2
; %bb.89:
	v_and_b32_e32 v3, 0xffff, v67
	v_or_b32_e32 v4, 0x10000, v67
	s_delay_alu instid0(VALU_DEP_2) | instskip(NEXT) | instid1(VALU_DEP_2)
	v_cmp_eq_u32_e32 vcc_lo, 0, v3
	v_cndmask_b32_e32 v3, v4, v67, vcc_lo
; %bb.90:
	s_or_b32 exec_lo, exec_lo, s2
	v_and_b32_e32 v4, 0x7f800000, v68
	s_delay_alu instid0(VALU_DEP_1) | instskip(SKIP_1) | instid1(SALU_CYCLE_1)
	v_cmp_ne_u32_e32 vcc_lo, 0x7f800000, v4
                                        ; implicit-def: $vgpr4
	s_and_saveexec_b32 s2, vcc_lo
	s_xor_b32 s2, exec_lo, s2
; %bb.91:
	v_bfe_u32 v4, v68, 16, 1
	s_delay_alu instid0(VALU_DEP_1)
	v_add3_u32 v4, v68, v4, 0x7fff
; %bb.92:
	s_and_not1_saveexec_b32 s2, s2
; %bb.93:
	v_and_b32_e32 v4, 0xffff, v68
	v_or_b32_e32 v5, 0x10000, v68
	s_delay_alu instid0(VALU_DEP_2) | instskip(NEXT) | instid1(VALU_DEP_2)
	v_cmp_eq_u32_e32 vcc_lo, 0, v4
	v_cndmask_b32_e32 v4, v5, v68, vcc_lo
; %bb.94:
	s_or_b32 exec_lo, exec_lo, s2
	v_and_b32_e32 v5, 0x7f800000, v69
	s_delay_alu instid0(VALU_DEP_1) | instskip(SKIP_1) | instid1(SALU_CYCLE_1)
	v_cmp_ne_u32_e32 vcc_lo, 0x7f800000, v5
                                        ; implicit-def: $vgpr5
	s_and_saveexec_b32 s2, vcc_lo
	s_xor_b32 s2, exec_lo, s2
; %bb.95:
	v_bfe_u32 v5, v69, 16, 1
	s_delay_alu instid0(VALU_DEP_1)
	v_add3_u32 v5, v69, v5, 0x7fff
; %bb.96:
	s_and_not1_saveexec_b32 s2, s2
; %bb.97:
	v_and_b32_e32 v5, 0xffff, v69
	v_or_b32_e32 v6, 0x10000, v69
	s_delay_alu instid0(VALU_DEP_2) | instskip(NEXT) | instid1(VALU_DEP_2)
	v_cmp_eq_u32_e32 vcc_lo, 0, v5
	v_cndmask_b32_e32 v5, v6, v69, vcc_lo
; %bb.98:
	s_or_b32 exec_lo, exec_lo, s2
	v_and_b32_e32 v6, 0x7f800000, v70
	s_delay_alu instid0(VALU_DEP_1) | instskip(SKIP_1) | instid1(SALU_CYCLE_1)
	v_cmp_ne_u32_e32 vcc_lo, 0x7f800000, v6
                                        ; implicit-def: $vgpr6
	s_and_saveexec_b32 s2, vcc_lo
	s_xor_b32 s2, exec_lo, s2
; %bb.99:
	v_bfe_u32 v6, v70, 16, 1
	s_delay_alu instid0(VALU_DEP_1)
	v_add3_u32 v6, v70, v6, 0x7fff
; %bb.100:
	s_and_not1_saveexec_b32 s2, s2
; %bb.101:
	v_and_b32_e32 v6, 0xffff, v70
	v_or_b32_e32 v7, 0x10000, v70
	s_delay_alu instid0(VALU_DEP_2) | instskip(NEXT) | instid1(VALU_DEP_2)
	v_cmp_eq_u32_e32 vcc_lo, 0, v6
	v_cndmask_b32_e32 v6, v7, v70, vcc_lo
; %bb.102:
	s_or_b32 exec_lo, exec_lo, s2
	v_and_b32_e32 v7, 0x7f800000, v71
	s_delay_alu instid0(VALU_DEP_1) | instskip(SKIP_1) | instid1(SALU_CYCLE_1)
	v_cmp_ne_u32_e32 vcc_lo, 0x7f800000, v7
                                        ; implicit-def: $vgpr7
	s_and_saveexec_b32 s2, vcc_lo
	s_xor_b32 s2, exec_lo, s2
; %bb.103:
	v_bfe_u32 v7, v71, 16, 1
	s_delay_alu instid0(VALU_DEP_1)
	v_add3_u32 v7, v71, v7, 0x7fff
; %bb.104:
	s_and_not1_saveexec_b32 s2, s2
; %bb.105:
	v_and_b32_e32 v7, 0xffff, v71
	v_or_b32_e32 v8, 0x10000, v71
	s_delay_alu instid0(VALU_DEP_2) | instskip(NEXT) | instid1(VALU_DEP_2)
	v_cmp_eq_u32_e32 vcc_lo, 0, v7
	v_cndmask_b32_e32 v7, v8, v71, vcc_lo
; %bb.106:
	s_or_b32 exec_lo, exec_lo, s2
	v_and_b32_e32 v8, 0x7f800000, v72
	s_delay_alu instid0(VALU_DEP_1) | instskip(SKIP_1) | instid1(SALU_CYCLE_1)
	v_cmp_ne_u32_e32 vcc_lo, 0x7f800000, v8
                                        ; implicit-def: $vgpr8
	s_and_saveexec_b32 s2, vcc_lo
	s_xor_b32 s2, exec_lo, s2
; %bb.107:
	v_bfe_u32 v8, v72, 16, 1
	s_delay_alu instid0(VALU_DEP_1)
	v_add3_u32 v8, v72, v8, 0x7fff
                                        ; implicit-def: $vgpr65_vgpr66_vgpr67_vgpr68_vgpr69_vgpr70_vgpr71_vgpr72
; %bb.108:
	s_and_not1_saveexec_b32 s2, s2
; %bb.109:
	v_and_b32_e32 v8, 0xffff, v72
	v_or_b32_e32 v9, 0x10000, v72
	s_delay_alu instid0(VALU_DEP_2) | instskip(NEXT) | instid1(VALU_DEP_2)
	v_cmp_eq_u32_e32 vcc_lo, 0, v8
	v_cndmask_b32_e32 v8, v9, v72, vcc_lo
; %bb.110:
	s_or_b32 exec_lo, exec_lo, s2
	s_delay_alu instid0(VALU_DEP_1)
	v_perm_b32 v7, v8, v7, 0x7060302
	v_perm_b32 v6, v6, v5, 0x7060302
	;; [unrolled: 1-line block ×4, first 2 shown]
	s_barrier
	buffer_gl0_inv
	v_cmp_eq_u32_e32 vcc_lo, 1, v78
	ds_store_b128 v76, v[4:7]
	s_waitcnt lgkmcnt(0)
	s_barrier
	buffer_gl0_inv
	ds_load_b128 v[1:4], v82
	ds_load_b128 v[5:8], v82 offset:16
	v_cmp_eq_u32_e64 s2, 1, v79
	v_cmp_eq_u32_e64 s3, 2, v78
	;; [unrolled: 1-line block ×5, first 2 shown]
	s_waitcnt lgkmcnt(1)
	v_lshrrev_b32_e32 v9, 16, v1
	s_waitcnt lgkmcnt(0)
	v_lshrrev_b32_e32 v13, 16, v5
	v_lshrrev_b32_e32 v10, 16, v2
	;; [unrolled: 1-line block ×4, first 2 shown]
	v_cndmask_b32_e64 v19, v1, v9, s2
	v_cndmask_b32_e32 v18, v5, v13, vcc_lo
	v_cndmask_b32_e64 v20, v5, v13, s2
	v_cndmask_b32_e32 v17, v1, v9, vcc_lo
	v_cmp_eq_u32_e32 vcc_lo, 2, v79
	v_lshrrev_b32_e32 v15, 16, v7
	v_cmp_eq_u32_e64 s2, 1, v77
	v_lshrrev_b32_e32 v12, 16, v4
	v_lshrrev_b32_e32 v16, 16, v8
	v_cndmask_b32_e32 v20, v20, v6, vcc_lo
	v_cndmask_b32_e64 v17, v17, v2, s3
	v_cndmask_b32_e32 v19, v19, v2, vcc_lo
	v_cndmask_b32_e64 v18, v18, v6, s3
	v_cmp_eq_u32_e32 vcc_lo, 4, v78
	v_cmp_eq_u32_e64 s3, 3, v79
	v_cndmask_b32_e64 v17, v17, v10, s4
	v_cndmask_b32_e64 v21, v1, v9, s2
	;; [unrolled: 1-line block ×5, first 2 shown]
	v_cndmask_b32_e32 v17, v17, v3, vcc_lo
	v_cndmask_b32_e64 v20, v20, v14, s3
	v_cndmask_b32_e32 v18, v18, v7, vcc_lo
	v_cmp_eq_u32_e32 vcc_lo, 4, v79
	v_cmp_eq_u32_e64 s3, 5, v79
	v_cmp_eq_u32_e64 s2, 2, v81
	v_cndmask_b32_e64 v21, v21, v2, s6
	v_cmp_eq_u32_e64 s4, 5, v78
	v_cndmask_b32_e32 v19, v19, v3, vcc_lo
	v_cndmask_b32_e32 v20, v20, v7, vcc_lo
	v_cmp_eq_u32_e32 vcc_lo, 6, v79
	s_delay_alu instid0(VALU_DEP_4) | instskip(NEXT) | instid1(VALU_DEP_4)
	v_cndmask_b32_e64 v17, v17, v11, s4
	v_cndmask_b32_e64 v19, v19, v11, s3
	s_delay_alu instid0(VALU_DEP_4) | instskip(SKIP_1) | instid1(VALU_DEP_3)
	v_cndmask_b32_e64 v20, v20, v15, s3
	v_cmp_eq_u32_e64 s3, 1, v81
	v_cndmask_b32_e32 v19, v19, v4, vcc_lo
	v_cndmask_b32_e64 v18, v18, v15, s4
	s_delay_alu instid0(VALU_DEP_3)
	v_cndmask_b32_e64 v1, v1, v9, s3
	v_cndmask_b32_e64 v5, v5, v13, s3
	v_cmp_eq_u32_e64 s3, 3, v77
	v_cndmask_b32_e64 v13, v22, v6, s6
	v_cmp_eq_u32_e64 s6, 3, v81
	v_cndmask_b32_e64 v1, v1, v2, s2
	v_cndmask_b32_e64 v2, v5, v6, s2
	;; [unrolled: 1-line block ×3, first 2 shown]
	v_cmp_eq_u32_e64 s2, 4, v77
	v_cndmask_b32_e64 v6, v13, v14, s3
	v_cndmask_b32_e64 v1, v1, v10, s6
	v_cmp_eq_u32_e64 s3, 4, v81
	v_cndmask_b32_e64 v2, v2, v14, s6
	v_cndmask_b32_e64 v5, v9, v3, s2
	;; [unrolled: 3-line block ×3, first 2 shown]
	v_cndmask_b32_e64 v2, v2, v7, s3
	v_cmp_eq_u32_e64 s2, 5, v81
	v_cmp_eq_u32_e64 s4, 6, v78
	v_cndmask_b32_e64 v5, v5, v11, s6
	v_cmp_eq_u32_e64 s3, 6, v77
	v_cndmask_b32_e64 v3, v6, v15, s6
	v_cndmask_b32_e64 v1, v1, v11, s2
	v_cmp_eq_u32_e64 s6, 6, v81
	v_cndmask_b32_e64 v2, v2, v15, s2
	v_cndmask_b32_e64 v17, v17, v4, s4
	v_cndmask_b32_e64 v18, v18, v8, s4
	v_cmp_eq_u32_e64 s4, 7, v78
	v_cndmask_b32_e64 v5, v5, v4, s3
	;; [unrolled: 4-line block ×3, first 2 shown]
	v_cmp_eq_u32_e64 s3, 7, v77
	v_cndmask_b32_e32 v4, v20, v8, vcc_lo
	v_cndmask_b32_e64 v17, v17, v12, s4
	v_cndmask_b32_e64 v19, v19, v12, s5
	v_cndmask_b32_e64 v1, v1, v12, s2
	v_cndmask_b32_e64 v5, v5, v12, s3
	v_cndmask_b32_e64 v2, v2, v16, s2
	v_cndmask_b32_e64 v3, v3, v16, s3
	v_cndmask_b32_e64 v6, v4, v16, s5
	v_cndmask_b32_e64 v7, v18, v16, s4
	s_mov_b32 s2, exec_lo
	v_perm_b32 v4, v2, v1, 0x5040100
	v_perm_b32 v3, v3, v5, 0x5040100
	;; [unrolled: 1-line block ×4, first 2 shown]
	ds_store_b128 v76, v[1:4]
	s_waitcnt lgkmcnt(0)
	s_barrier
	buffer_gl0_inv
	v_cmpx_gt_u32_e32 32, v0
	s_cbranch_execz .LBB1657_2
; %bb.111:
	s_load_b64 s[0:1], s[0:1], 0x68
	v_lshlrev_b32_e32 v0, 10, v0
	s_lshl_b32 s4, s34, 7
	v_or_b32_e32 v3, s29, v74
	s_mul_i32 s2, s4, s30
	v_lshlrev_b32_e32 v1, 4, v75
	s_mul_i32 s2, s2, s7
	v_lshlrev_b32_e32 v2, 6, v74
	v_and_b32_e32 v0, 0x3800, v0
	s_ashr_i32 s3, s2, 31
	v_mul_lo_u32 v4, v3, s4
	s_lshl_b64 s[2:3], s[2:3], 1
	s_delay_alu instid0(VALU_DEP_2) | instskip(NEXT) | instid1(VALU_DEP_2)
	v_or3_b32 v16, v0, v1, v2
	v_ashrrev_i32_e32 v5, 31, v4
	ds_load_b128 v[0:3], v16
	s_waitcnt lgkmcnt(0)
	s_add_u32 s2, s0, s2
	s_addc_u32 s3, s1, s3
	s_lshl_b32 s0, s14, 7
	v_lshlrev_b64 v[5:6], 1, v[4:5]
	s_ashr_i32 s1, s0, 31
	s_delay_alu instid0(SALU_CYCLE_1) | instskip(NEXT) | instid1(SALU_CYCLE_1)
	s_lshl_b64 s[0:1], s[0:1], 1
	s_add_u32 s0, s2, s0
	s_addc_u32 s1, s3, s1
	s_lshl_b32 s2, s34, 8
	v_add_co_u32 v30, s0, s0, v73
	v_add_nc_u32_e32 v8, s2, v4
	v_add_co_ci_u32_e64 v31, null, s1, 0, s0
	s_delay_alu instid0(VALU_DEP_3) | instskip(NEXT) | instid1(VALU_DEP_3)
	v_add_co_u32 v12, vcc_lo, v30, v5
	v_add_nc_u32_e32 v10, s2, v8
	v_ashrrev_i32_e32 v9, 31, v8
	s_delay_alu instid0(VALU_DEP_4)
	v_add_co_ci_u32_e32 v13, vcc_lo, v31, v6, vcc_lo
	ds_load_b128 v[4:7], v16 offset:128
	v_ashrrev_i32_e32 v11, 31, v10
	v_lshlrev_b64 v[8:9], 1, v[8:9]
	v_add_nc_u32_e32 v14, s2, v10
	global_store_b128 v[12:13], v[0:3], off
	v_lshlrev_b64 v[0:1], 1, v[10:11]
	v_ashrrev_i32_e32 v15, 31, v14
	v_add_co_u32 v22, vcc_lo, v30, v8
	v_add_nc_u32_e32 v20, s2, v14
	v_add_co_ci_u32_e32 v23, vcc_lo, v31, v9, vcc_lo
	v_add_co_u32 v26, vcc_lo, v30, v0
	v_lshlrev_b64 v[24:25], 1, v[14:15]
	v_add_co_ci_u32_e32 v27, vcc_lo, v31, v1, vcc_lo
	ds_load_b128 v[0:3], v16 offset:256
	ds_load_b128 v[8:11], v16 offset:384
	;; [unrolled: 1-line block ×4, first 2 shown]
	v_add_nc_u32_e32 v28, s2, v20
	v_ashrrev_i32_e32 v21, 31, v20
	v_add_co_u32 v24, vcc_lo, v30, v24
	v_add_co_ci_u32_e32 v25, vcc_lo, v31, v25, vcc_lo
	s_delay_alu instid0(VALU_DEP_4) | instskip(NEXT) | instid1(VALU_DEP_4)
	v_ashrrev_i32_e32 v29, 31, v28
	v_lshlrev_b64 v[20:21], 1, v[20:21]
	s_delay_alu instid0(VALU_DEP_2) | instskip(NEXT) | instid1(VALU_DEP_2)
	v_lshlrev_b64 v[28:29], 1, v[28:29]
	v_add_co_u32 v20, vcc_lo, v30, v20
	s_delay_alu instid0(VALU_DEP_3) | instskip(NEXT) | instid1(VALU_DEP_3)
	v_add_co_ci_u32_e32 v21, vcc_lo, v31, v21, vcc_lo
	v_add_co_u32 v28, vcc_lo, v30, v28
	s_delay_alu instid0(VALU_DEP_4)
	v_add_co_ci_u32_e32 v29, vcc_lo, v31, v29, vcc_lo
	s_waitcnt lgkmcnt(4)
	global_store_b128 v[22:23], v[4:7], off
	s_waitcnt lgkmcnt(3)
	global_store_b128 v[26:27], v[0:3], off
	;; [unrolled: 2-line block ×5, first 2 shown]
	s_nop 0
	s_sendmsg sendmsg(MSG_DEALLOC_VGPRS)
	s_endpgm
	.section	.rodata,"a",@progbits
	.p2align	6, 0x0
	.amdhsa_kernel _Z39paged_attention_ll4mi_QKV_mfma16_kernelI14__hip_bfloat16hLN4vllm18Fp8KVCacheDataTypeE1ES0_Li32ELi128ELi256ELb0ELi12EL8MFMAType1EEvPKT_PKT0_S9_ifPKiSB_SB_iPKfiiiPfSE_PS4_PT2_iSD_SD_
		.amdhsa_group_segment_fixed_size 17472
		.amdhsa_private_segment_fixed_size 0
		.amdhsa_kernarg_size 400
		.amdhsa_user_sgpr_count 13
		.amdhsa_user_sgpr_dispatch_ptr 0
		.amdhsa_user_sgpr_queue_ptr 0
		.amdhsa_user_sgpr_kernarg_segment_ptr 1
		.amdhsa_user_sgpr_dispatch_id 0
		.amdhsa_user_sgpr_private_segment_size 0
		.amdhsa_wavefront_size32 1
		.amdhsa_uses_dynamic_stack 0
		.amdhsa_enable_private_segment 0
		.amdhsa_system_sgpr_workgroup_id_x 1
		.amdhsa_system_sgpr_workgroup_id_y 1
		.amdhsa_system_sgpr_workgroup_id_z 1
		.amdhsa_system_sgpr_workgroup_info 0
		.amdhsa_system_vgpr_workitem_id 0
		.amdhsa_next_free_vgpr 140
		.amdhsa_next_free_sgpr 36
		.amdhsa_reserve_vcc 1
		.amdhsa_float_round_mode_32 0
		.amdhsa_float_round_mode_16_64 0
		.amdhsa_float_denorm_mode_32 3
		.amdhsa_float_denorm_mode_16_64 3
		.amdhsa_dx10_clamp 1
		.amdhsa_ieee_mode 1
		.amdhsa_fp16_overflow 0
		.amdhsa_workgroup_processor_mode 1
		.amdhsa_memory_ordered 1
		.amdhsa_forward_progress 0
		.amdhsa_shared_vgpr_count 0
		.amdhsa_exception_fp_ieee_invalid_op 0
		.amdhsa_exception_fp_denorm_src 0
		.amdhsa_exception_fp_ieee_div_zero 0
		.amdhsa_exception_fp_ieee_overflow 0
		.amdhsa_exception_fp_ieee_underflow 0
		.amdhsa_exception_fp_ieee_inexact 0
		.amdhsa_exception_int_div_zero 0
	.end_amdhsa_kernel
	.section	.text._Z39paged_attention_ll4mi_QKV_mfma16_kernelI14__hip_bfloat16hLN4vllm18Fp8KVCacheDataTypeE1ES0_Li32ELi128ELi256ELb0ELi12EL8MFMAType1EEvPKT_PKT0_S9_ifPKiSB_SB_iPKfiiiPfSE_PS4_PT2_iSD_SD_,"axG",@progbits,_Z39paged_attention_ll4mi_QKV_mfma16_kernelI14__hip_bfloat16hLN4vllm18Fp8KVCacheDataTypeE1ES0_Li32ELi128ELi256ELb0ELi12EL8MFMAType1EEvPKT_PKT0_S9_ifPKiSB_SB_iPKfiiiPfSE_PS4_PT2_iSD_SD_,comdat
.Lfunc_end1657:
	.size	_Z39paged_attention_ll4mi_QKV_mfma16_kernelI14__hip_bfloat16hLN4vllm18Fp8KVCacheDataTypeE1ES0_Li32ELi128ELi256ELb0ELi12EL8MFMAType1EEvPKT_PKT0_S9_ifPKiSB_SB_iPKfiiiPfSE_PS4_PT2_iSD_SD_, .Lfunc_end1657-_Z39paged_attention_ll4mi_QKV_mfma16_kernelI14__hip_bfloat16hLN4vllm18Fp8KVCacheDataTypeE1ES0_Li32ELi128ELi256ELb0ELi12EL8MFMAType1EEvPKT_PKT0_S9_ifPKiSB_SB_iPKfiiiPfSE_PS4_PT2_iSD_SD_
                                        ; -- End function
	.section	.AMDGPU.csdata,"",@progbits
; Kernel info:
; codeLenInByte = 9000
; NumSgprs: 38
; NumVgprs: 140
; ScratchSize: 0
; MemoryBound: 0
; FloatMode: 240
; IeeeMode: 1
; LDSByteSize: 17472 bytes/workgroup (compile time only)
; SGPRBlocks: 4
; VGPRBlocks: 17
; NumSGPRsForWavesPerEU: 38
; NumVGPRsForWavesPerEU: 140
; Occupancy: 10
; WaveLimiterHint : 1
; COMPUTE_PGM_RSRC2:SCRATCH_EN: 0
; COMPUTE_PGM_RSRC2:USER_SGPR: 13
; COMPUTE_PGM_RSRC2:TRAP_HANDLER: 0
; COMPUTE_PGM_RSRC2:TGID_X_EN: 1
; COMPUTE_PGM_RSRC2:TGID_Y_EN: 1
; COMPUTE_PGM_RSRC2:TGID_Z_EN: 1
; COMPUTE_PGM_RSRC2:TIDIG_COMP_CNT: 0
	.section	.text._Z39paged_attention_ll4mi_QKV_mfma16_kernelI14__hip_bfloat16hLN4vllm18Fp8KVCacheDataTypeE1ES0_Li32ELi128ELi256ELb0ELi13EL8MFMAType1EEvPKT_PKT0_S9_ifPKiSB_SB_iPKfiiiPfSE_PS4_PT2_iSD_SD_,"axG",@progbits,_Z39paged_attention_ll4mi_QKV_mfma16_kernelI14__hip_bfloat16hLN4vllm18Fp8KVCacheDataTypeE1ES0_Li32ELi128ELi256ELb0ELi13EL8MFMAType1EEvPKT_PKT0_S9_ifPKiSB_SB_iPKfiiiPfSE_PS4_PT2_iSD_SD_,comdat
	.protected	_Z39paged_attention_ll4mi_QKV_mfma16_kernelI14__hip_bfloat16hLN4vllm18Fp8KVCacheDataTypeE1ES0_Li32ELi128ELi256ELb0ELi13EL8MFMAType1EEvPKT_PKT0_S9_ifPKiSB_SB_iPKfiiiPfSE_PS4_PT2_iSD_SD_ ; -- Begin function _Z39paged_attention_ll4mi_QKV_mfma16_kernelI14__hip_bfloat16hLN4vllm18Fp8KVCacheDataTypeE1ES0_Li32ELi128ELi256ELb0ELi13EL8MFMAType1EEvPKT_PKT0_S9_ifPKiSB_SB_iPKfiiiPfSE_PS4_PT2_iSD_SD_
	.globl	_Z39paged_attention_ll4mi_QKV_mfma16_kernelI14__hip_bfloat16hLN4vllm18Fp8KVCacheDataTypeE1ES0_Li32ELi128ELi256ELb0ELi13EL8MFMAType1EEvPKT_PKT0_S9_ifPKiSB_SB_iPKfiiiPfSE_PS4_PT2_iSD_SD_
	.p2align	8
	.type	_Z39paged_attention_ll4mi_QKV_mfma16_kernelI14__hip_bfloat16hLN4vllm18Fp8KVCacheDataTypeE1ES0_Li32ELi128ELi256ELb0ELi13EL8MFMAType1EEvPKT_PKT0_S9_ifPKiSB_SB_iPKfiiiPfSE_PS4_PT2_iSD_SD_,@function
_Z39paged_attention_ll4mi_QKV_mfma16_kernelI14__hip_bfloat16hLN4vllm18Fp8KVCacheDataTypeE1ES0_Li32ELi128ELi256ELb0ELi13EL8MFMAType1EEvPKT_PKT0_S9_ifPKiSB_SB_iPKfiiiPfSE_PS4_PT2_iSD_SD_: ; @_Z39paged_attention_ll4mi_QKV_mfma16_kernelI14__hip_bfloat16hLN4vllm18Fp8KVCacheDataTypeE1ES0_Li32ELi128ELi256ELb0ELi13EL8MFMAType1EEvPKT_PKT0_S9_ifPKiSB_SB_iPKfiiiPfSE_PS4_PT2_iSD_SD_
; %bb.0:
	s_load_b64 s[4:5], s[0:1], 0x30
	s_mov_b32 s30, s13
	s_waitcnt lgkmcnt(0)
	s_cmp_lg_u64 s[4:5], 0
	s_cselect_b32 s13, -1, 0
	s_ashr_i32 s31, s30, 31
	s_cmp_eq_u64 s[4:5], 0
	s_cbranch_scc1 .LBB1658_3
; %bb.1:
	s_lshl_b64 s[2:3], s[30:31], 2
	s_delay_alu instid0(SALU_CYCLE_1) | instskip(SKIP_4) | instid1(SALU_CYCLE_1)
	s_add_u32 s2, s4, s2
	s_addc_u32 s3, s5, s3
	s_load_b64 s[2:3], s[2:3], 0x0
	s_waitcnt lgkmcnt(0)
	s_sub_i32 s2, s3, s2
	s_cmp_eq_u32 s2, 1
	s_cselect_b32 s2, -1, 0
	s_delay_alu instid0(SALU_CYCLE_1)
	s_and_not1_b32 vcc_lo, exec_lo, s2
	s_cbranch_vccz .LBB1658_4
.LBB1658_2:
	s_nop 0
	s_sendmsg sendmsg(MSG_DEALLOC_VGPRS)
	s_endpgm
.LBB1658_3:
.LBB1658_4:
	s_load_b64 s[2:3], s[0:1], 0x28
	s_lshl_b64 s[6:7], s[30:31], 2
	s_waitcnt lgkmcnt(0)
	s_add_u32 s2, s2, s6
	s_addc_u32 s3, s3, s7
	s_lshl_b32 s12, s14, 8
	s_load_b32 s17, s[2:3], 0x0
	s_waitcnt lgkmcnt(0)
	s_cmp_ge_i32 s12, s17
	s_cbranch_scc1 .LBB1658_2
; %bb.5:
	s_clause 0x1
	s_load_b128 s[8:11], s[0:1], 0x8
	s_load_b64 s[2:3], s[0:1], 0x20
	s_and_not1_b32 vcc_lo, exec_lo, s13
	s_cbranch_vccnz .LBB1658_7
; %bb.6:
	s_add_u32 s4, s4, s6
	s_addc_u32 s5, s5, s7
	s_load_b32 s13, s[4:5], 0x0
	s_branch .LBB1658_8
.LBB1658_7:
	s_mov_b32 s13, s30
.LBB1658_8:
	s_load_b128 s[4:7], s[0:1], 0x48
	v_and_b32_e32 v65, 15, v0
	v_lshrrev_b32_e32 v66, 5, v0
	v_bfe_u32 v74, v0, 4, 1
	v_and_b32_e32 v67, 31, v0
	v_and_b32_e32 v75, 1, v0
	v_lshlrev_b32_e32 v2, 3, v65
	s_mul_i32 s31, s15, 13
	v_lshl_or_b32 v1, v66, 1, v74
	s_waitcnt lgkmcnt(0)
	s_mov_b32 s7, exec_lo
	v_lshlrev_b32_e32 v73, 1, v2
	s_delay_alu instid0(VALU_DEP_2)
	v_cmpx_gt_u32_e32 13, v1
	s_cbranch_execz .LBB1658_10
; %bb.9:
	s_load_b64 s[18:19], s[0:1], 0x0
	v_add_lshl_u32 v2, v1, s31, 7
	s_mul_hi_i32 s21, s13, s4
	s_mul_i32 s20, s13, s4
	v_lshlrev_b32_e32 v6, 10, v65
	s_lshl_b64 s[20:21], s[20:21], 1
	v_ashrrev_i32_e32 v3, 31, v2
	v_lshlrev_b32_e32 v1, 6, v1
	v_lshlrev_b32_e32 v7, 10, v75
	v_and_b32_e32 v6, 0x3800, v6
	s_delay_alu instid0(VALU_DEP_4) | instskip(NEXT) | instid1(VALU_DEP_2)
	v_lshlrev_b64 v[2:3], 1, v[2:3]
	v_or3_b32 v1, v6, v7, v1
	s_waitcnt lgkmcnt(0)
	s_add_u32 s4, s18, s20
	s_addc_u32 s13, s19, s21
	s_delay_alu instid0(VALU_DEP_2) | instskip(SKIP_1) | instid1(VALU_DEP_2)
	v_add_co_u32 v2, vcc_lo, s4, v2
	v_add_co_ci_u32_e32 v3, vcc_lo, s13, v3, vcc_lo
	v_add_co_u32 v2, vcc_lo, v2, v73
	s_delay_alu instid0(VALU_DEP_2)
	v_add_co_ci_u32_e32 v3, vcc_lo, 0, v3, vcc_lo
	global_load_b128 v[2:5], v[2:3], off
	s_waitcnt vmcnt(0)
	ds_store_b128 v1, v[2:5]
.LBB1658_10:
	s_or_b32 exec_lo, exec_lo, s7
	v_and_b32_e32 v1, 0xef, v0
	s_add_i32 s4, s17, 31
	s_clause 0x1
	s_load_b32 s7, s[0:1], 0x38
	s_load_b32 s18, s[0:1], 0x1c
	s_ashr_i32 s13, s4, 31
	v_add_nc_u32_e32 v1, s12, v1
	s_lshr_b32 s13, s13, 27
	s_waitcnt lgkmcnt(0)
	s_add_i32 s4, s4, s13
	s_barrier
	v_ashrrev_i32_e32 v2, 31, v1
	v_or_b32_e32 v3, 16, v1
	s_ashr_i32 s4, s4, 5
	v_cmp_gt_i32_e32 vcc_lo, s17, v1
	s_add_i32 s4, s4, -1
	v_lshrrev_b32_e32 v2, 27, v2
	buffer_gl0_inv
	s_mul_i32 s15, s15, s6
	v_add_nc_u32_e32 v4, v1, v2
	s_mul_i32 s20, s30, s7
	s_delay_alu instid0(SALU_CYCLE_1) | instskip(NEXT) | instid1(VALU_DEP_1)
	s_ashr_i32 s21, s20, 31
	v_ashrrev_i32_e32 v4, 5, v4
	v_add_nc_u32_e32 v2, v3, v2
	s_lshl_b64 s[20:21], s[20:21], 2
	s_delay_alu instid0(SALU_CYCLE_1) | instskip(NEXT) | instid1(VALU_DEP_2)
	s_add_u32 s13, s2, s20
	v_cndmask_b32_e32 v1, s4, v4, vcc_lo
	s_delay_alu instid0(VALU_DEP_2)
	v_ashrrev_i32_e32 v2, 5, v2
	v_cmp_gt_i32_e32 vcc_lo, s17, v3
	s_addc_u32 s16, s3, s21
	s_ashr_i32 s19, s15, 31
	s_add_u32 s2, s8, s15
	s_addc_u32 s3, s9, s19
	v_cndmask_b32_e32 v3, s4, v2, vcc_lo
	v_ashrrev_i32_e32 v2, 31, v1
	s_lshl_b32 s6, s14, 3
	s_delay_alu instid0(SALU_CYCLE_1) | instskip(NEXT) | instid1(VALU_DEP_2)
	s_ashr_i32 s7, s6, 31
	v_ashrrev_i32_e32 v4, 31, v3
	s_delay_alu instid0(VALU_DEP_2) | instskip(SKIP_1) | instid1(SALU_CYCLE_1)
	v_lshlrev_b64 v[1:2], 2, v[1:2]
	s_lshl_b64 s[6:7], s[6:7], 2
	s_add_u32 s6, s13, s6
	s_delay_alu instid0(VALU_DEP_2) | instskip(SKIP_1) | instid1(VALU_DEP_2)
	v_lshlrev_b64 v[3:4], 2, v[3:4]
	s_addc_u32 s7, s16, s7
	v_add_co_u32 v1, vcc_lo, s13, v1
	v_add_co_ci_u32_e32 v2, vcc_lo, s16, v2, vcc_lo
	s_delay_alu instid0(VALU_DEP_3) | instskip(NEXT) | instid1(VALU_DEP_4)
	v_add_co_u32 v3, vcc_lo, s13, v3
	v_add_co_ci_u32_e32 v4, vcc_lo, s16, v4, vcc_lo
	s_clause 0x1
	global_load_b32 v5, v[1:2], off
	global_load_b32 v6, v[3:4], off
	s_or_b32 s8, s12, 32
	s_delay_alu instid0(SALU_CYCLE_1) | instskip(SKIP_2) | instid1(SALU_CYCLE_1)
	s_ashr_i32 s9, s8, 5
	s_cmp_lt_i32 s8, s17
	s_cselect_b32 s8, s9, s4
	s_ashr_i32 s9, s8, 31
	s_delay_alu instid0(SALU_CYCLE_1) | instskip(NEXT) | instid1(SALU_CYCLE_1)
	s_lshl_b64 s[8:9], s[8:9], 2
	s_add_u32 s8, s13, s8
	s_addc_u32 s9, s16, s9
	s_or_b32 s20, s12, 64
	s_delay_alu instid0(SALU_CYCLE_1) | instskip(SKIP_2) | instid1(SALU_CYCLE_1)
	s_ashr_i32 s21, s20, 5
	s_cmp_lt_i32 s20, s17
	s_cselect_b32 s20, s21, s4
	s_ashr_i32 s21, s20, 31
	s_delay_alu instid0(SALU_CYCLE_1) | instskip(NEXT) | instid1(SALU_CYCLE_1)
	s_lshl_b64 s[20:21], s[20:21], 2
	s_add_u32 s20, s13, s20
	s_addc_u32 s21, s16, s21
	;; [unrolled: 10-line block ×5, first 2 shown]
	s_clause 0x5
	s_load_b32 s28, s[6:7], 0x0
	s_load_b32 s8, s[8:9], 0x0
	;; [unrolled: 1-line block ×6, first 2 shown]
	s_mov_b32 s20, 0
	s_delay_alu instid0(SALU_CYCLE_1)
	s_mov_b32 s21, s20
	s_mov_b32 s22, s20
	;; [unrolled: 1-line block ×7, first 2 shown]
	s_delay_alu instid0(SALU_CYCLE_1)
	v_dual_mov_b32 v107, s27 :: v_dual_mov_b32 v106, s26
	v_dual_mov_b32 v104, s24 :: v_dual_mov_b32 v103, s23
	;; [unrolled: 1-line block ×3, first 2 shown]
	v_mov_b32_e32 v100, s20
	s_waitcnt vmcnt(1)
	v_mad_i64_i32 v[1:2], null, v5, s5, s[2:3]
	v_lshlrev_b32_e32 v5, 4, v65
	s_waitcnt vmcnt(0)
	v_mad_i64_i32 v[3:4], null, v6, s5, s[2:3]
	s_or_b32 s2, s12, 0xc0
	s_delay_alu instid0(SALU_CYCLE_1) | instskip(NEXT) | instid1(VALU_DEP_3)
	s_ashr_i32 s3, s2, 5
	v_add_co_u32 v33, vcc_lo, v1, v5
	s_delay_alu instid0(VALU_DEP_4) | instskip(NEXT) | instid1(VALU_DEP_3)
	v_add_co_ci_u32_e32 v34, vcc_lo, 0, v2, vcc_lo
	v_add_co_u32 v35, vcc_lo, v3, v5
	s_delay_alu instid0(VALU_DEP_4)
	v_add_co_ci_u32_e32 v36, vcc_lo, 0, v4, vcc_lo
	s_clause 0xf
	global_load_b128 v[1:4], v[33:34], off
	global_load_b128 v[5:8], v[33:34], off offset:512
	global_load_b128 v[9:12], v[35:36], off offset:256
	;; [unrolled: 1-line block ×15, first 2 shown]
	s_cmp_lt_i32 s2, s17
	v_add_nc_u32_e32 v33, -13, v65
	s_cselect_b32 s2, s3, s4
	v_cmp_gt_u32_e32 vcc_lo, 13, v65
	s_ashr_i32 s3, s2, 31
	v_lshlrev_b32_e32 v34, 5, v65
	s_lshl_b64 s[2:3], s[2:3], 2
	s_delay_alu instid0(SALU_CYCLE_1)
	s_add_u32 s2, s13, s2
	s_addc_u32 s3, s16, s3
	s_or_b32 s6, s12, 0xe0
	v_cndmask_b32_e32 v33, v33, v65, vcc_lo
	s_ashr_i32 s7, s6, 5
	s_cmp_lt_i32 s6, s17
	v_mov_b32_e32 v105, s25
	s_cselect_b32 s6, s7, s4
	v_lshlrev_b32_e32 v72, 6, v33
	s_ashr_i32 s7, s6, 31
	v_lshl_or_b32 v41, v66, 9, v34
	s_lshl_b64 s[6:7], s[6:7], 2
	ds_load_b128 v[33:36], v72
	ds_load_b128 v[37:40], v72 offset:1024
	ds_load_b128 v[108:111], v72 offset:2048
	ds_load_b128 v[112:115], v72 offset:3072
	s_load_b32 s4, s[2:3], 0x0
	s_add_u32 s2, s13, s6
	s_addc_u32 s3, s16, s7
	ds_load_b128 v[116:119], v72 offset:4096
	ds_load_b128 v[120:123], v72 offset:5120
	s_load_b32 s2, s[2:3], 0x0
	s_add_u32 s6, s10, s15
	s_addc_u32 s7, s11, s19
	v_add_co_u32 v68, s6, s6, v41
	s_delay_alu instid0(VALU_DEP_1) | instskip(SKIP_1) | instid1(VALU_DEP_1)
	v_add_co_ci_u32_e64 v69, null, s7, 0, s6
	s_waitcnt lgkmcnt(0)
	v_mad_i64_i32 v[41:42], null, s28, s5, v[68:69]
	v_mad_i64_i32 v[70:71], null, s9, s5, v[68:69]
	;; [unrolled: 1-line block ×7, first 2 shown]
	s_clause 0x3
	global_load_b128 v[49:52], v[41:42], off
	global_load_b128 v[53:56], v[41:42], off offset:16
	global_load_b128 v[41:44], v[45:46], off
	global_load_b128 v[45:48], v[45:46], off offset:16
	s_waitcnt vmcnt(18)
	v_wmma_f32_16x16x16_bf16 v[124:131], v[1:8], v[33:40], v[100:107]
	s_waitcnt vmcnt(16)
	v_wmma_f32_16x16x16_bf16 v[100:107], v[9:16], v[33:40], v[100:107]
	s_clause 0x1
	global_load_b128 v[33:36], v[70:71], off
	global_load_b128 v[37:40], v[70:71], off offset:16
	v_mad_i64_i32 v[70:71], null, s2, s5, v[68:69]
	s_waitcnt vmcnt(16)
	v_wmma_f32_16x16x16_bf16 v[124:131], v[17:24], v[108:115], v[124:131]
	s_waitcnt vmcnt(14)
	v_wmma_f32_16x16x16_bf16 v[100:107], v[25:32], v[108:115], v[100:107]
	s_clause 0x7
	global_load_b128 v[25:28], v[132:133], off
	global_load_b128 v[29:32], v[132:133], off offset:16
	global_load_b128 v[1:4], v[134:135], off
	global_load_b128 v[5:8], v[134:135], off offset:16
	;; [unrolled: 2-line block ×4, first 2 shown]
	s_waitcnt vmcnt(20)
	v_wmma_f32_16x16x16_bf16 v[124:131], v[57:64], v[116:123], v[124:131]
	s_clause 0x1
	global_load_b128 v[57:60], v[70:71], off
	global_load_b128 v[61:64], v[70:71], off offset:16
	s_waitcnt vmcnt(20)
	v_wmma_f32_16x16x16_bf16 v[100:107], v[76:83], v[116:123], v[100:107]
	ds_load_b128 v[76:79], v72 offset:6144
	ds_load_b128 v[80:83], v72 offset:7168
	v_and_b32_e32 v68, 0xe0, v0
	v_mbcnt_lo_u32_b32 v69, -1, 0
	s_waitcnt vmcnt(0) lgkmcnt(0)
	s_barrier
	buffer_gl0_inv
	v_add_nc_u32_e32 v68, s12, v68
	v_xor_b32_e32 v70, 16, v69
	s_delay_alu instid0(VALU_DEP_2) | instskip(NEXT) | instid1(VALU_DEP_2)
	v_or_b32_e32 v68, v68, v74
	v_cmp_gt_i32_e32 vcc_lo, 32, v70
	s_delay_alu instid0(VALU_DEP_2)
	v_or_b32_e32 v71, 4, v68
	v_or_b32_e32 v72, 6, v68
	v_cmp_gt_i32_e64 s2, s17, v68
	v_or_b32_e32 v108, 8, v68
	v_wmma_f32_16x16x16_bf16 v[124:131], v[84:91], v[76:83], v[124:131]
	v_cndmask_b32_e32 v69, v69, v70, vcc_lo
	v_or_b32_e32 v70, 2, v68
	v_wmma_f32_16x16x16_bf16 v[100:107], v[92:99], v[76:83], v[100:107]
	v_or_b32_e32 v109, 10, v68
	v_dual_mul_f32 v80, s18, v129 :: v_dual_mul_f32 v81, s18, v128
	v_dual_mul_f32 v92, s18, v125 :: v_dual_mul_f32 v93, s18, v124
	s_delay_alu instid0(VALU_DEP_4)
	v_mul_f32_e32 v96, s18, v105
	v_cmp_gt_i32_e32 vcc_lo, s17, v70
	v_or_b32_e32 v89, 22, v68
	v_dual_mul_f32 v79, s18, v130 :: v_dual_mul_f32 v82, s18, v127
	v_dual_mul_f32 v83, s18, v126 :: v_dual_mul_f32 v94, s18, v107
	v_cndmask_b32_e64 v93, 0xff7fffff, v93, s2
	v_cndmask_b32_e32 v92, 0xff7fffff, v92, vcc_lo
	v_cmp_gt_i32_e64 s3, s17, v71
	v_cmp_gt_i32_e64 s4, s17, v72
	v_or_b32_e32 v84, 12, v68
	v_or_b32_e32 v85, 14, v68
	v_cmp_gt_i32_e64 s5, s17, v108
	v_cndmask_b32_e64 v71, 0xff7fffff, v83, s3
	v_cndmask_b32_e64 v72, 0xff7fffff, v82, s4
	v_cmp_gt_i32_e64 s6, s17, v109
	v_cmp_gt_i32_e64 s12, s17, v89
	v_lshlrev_b32_e32 v89, 2, v69
	v_max3_f32 v82, v93, 0xff7fffff, v92
	v_or_b32_e32 v86, 16, v68
	v_or_b32_e32 v87, 18, v68
	v_mul_f32_e32 v78, s18, v131
	v_cndmask_b32_e64 v81, 0xff7fffff, v81, s5
	v_cndmask_b32_e64 v80, 0xff7fffff, v80, s6
	v_max3_f32 v71, v82, v71, v72
	v_cmp_gt_i32_e64 s7, s17, v84
	v_cmp_gt_i32_e64 s8, s17, v85
	v_or_b32_e32 v88, 20, v68
	v_or_b32_e32 v90, 24, v68
	;; [unrolled: 1-line block ×5, first 2 shown]
	v_dual_mul_f32 v97, s18, v104 :: v_dual_mul_f32 v70, s18, v101
	v_dual_mul_f32 v99, s18, v102 :: v_dual_mul_f32 v68, s18, v100
	v_cndmask_b32_e64 v72, 0xff7fffff, v79, s7
	v_cndmask_b32_e64 v78, 0xff7fffff, v78, s8
	v_max3_f32 v71, v71, v81, v80
	v_cmp_gt_i32_e64 s9, s17, v86
	v_cmp_gt_i32_e64 s10, s17, v87
	v_dual_mul_f32 v95, s18, v106 :: v_dual_mul_f32 v98, s18, v103
	s_delay_alu instid0(VALU_DEP_4) | instskip(NEXT) | instid1(VALU_DEP_4)
	v_max3_f32 v71, v71, v72, v78
	v_cndmask_b32_e64 v68, 0xff7fffff, v68, s9
	s_delay_alu instid0(VALU_DEP_4)
	v_cndmask_b32_e64 v70, 0xff7fffff, v70, s10
	v_cmp_gt_i32_e64 s11, s17, v88
	v_cndmask_b32_e64 v78, 0xff7fffff, v98, s12
	v_cmp_gt_i32_e64 s13, s17, v90
	v_cmp_gt_i32_e64 s15, s17, v91
	v_max3_f32 v68, v71, v68, v70
	v_cndmask_b32_e64 v72, 0xff7fffff, v99, s11
	v_cmp_gt_i32_e64 s16, s17, v76
	v_cndmask_b32_e64 v70, 0xff7fffff, v97, s13
	v_cndmask_b32_e64 v71, 0xff7fffff, v96, s15
	v_cmp_gt_i32_e64 s17, s17, v77
	v_max3_f32 v68, v68, v72, v78
	v_cndmask_b32_e64 v72, 0xff7fffff, v95, s16
	s_delay_alu instid0(VALU_DEP_3) | instskip(NEXT) | instid1(VALU_DEP_3)
	v_cndmask_b32_e64 v76, 0xff7fffff, v94, s17
	v_max3_f32 v68, v68, v70, v71
	s_delay_alu instid0(VALU_DEP_1) | instskip(SKIP_3) | instid1(VALU_DEP_1)
	v_max3_f32 v68, v68, v72, v76
	ds_bpermute_b32 v69, v89, v68
	s_waitcnt lgkmcnt(0)
	v_max_f32_e32 v69, v69, v69
	v_max_f32_e32 v68, v68, v69
	s_delay_alu instid0(VALU_DEP_1) | instskip(NEXT) | instid1(VALU_DEP_1)
	v_fma_f32 v71, s18, v126, -v68
	v_mul_f32_e32 v71, 0x3fb8aa3b, v71
	v_fma_f32 v70, s18, v125, -v68
	v_fma_f32 v69, s18, v124, -v68
	;; [unrolled: 1-line block ×5, first 2 shown]
	s_delay_alu instid0(VALU_DEP_4) | instskip(SKIP_1) | instid1(VALU_DEP_3)
	v_dual_mul_f32 v70, 0x3fb8aa3b, v70 :: v_dual_mul_f32 v69, 0x3fb8aa3b, v69
	v_exp_f32_e32 v71, v71
	v_mul_f32_e32 v72, 0x3fb8aa3b, v72
	v_fma_f32 v81, s18, v105, -v68
	s_delay_alu instid0(VALU_DEP_3)
	v_exp_f32_e32 v70, v70
	v_mul_f32_e32 v77, 0x3fb8aa3b, v76
	v_exp_f32_e32 v69, v69
	v_exp_f32_e32 v72, v72
	v_mul_f32_e32 v81, 0x3fb8aa3b, v81
	v_cndmask_b32_e64 v83, 0, v71, s3
	v_fma_f32 v71, s18, v131, -v68
	s_delay_alu instid0(VALU_DEP_3) | instskip(SKIP_4) | instid1(TRANS32_DEP_3)
	v_exp_f32_e32 v81, v81
	v_cndmask_b32_e32 v76, 0, v70, vcc_lo
	v_exp_f32_e32 v77, v77
	v_cndmask_b32_e64 v80, 0, v69, s2
	v_fma_f32 v69, s18, v129, -v68
	v_cndmask_b32_e64 v85, 0, v72, s4
	v_mul_f32_e32 v71, 0x3fb8aa3b, v71
	v_fma_f32 v72, s18, v100, -v68
	s_delay_alu instid0(VALU_DEP_4) | instskip(SKIP_1) | instid1(VALU_DEP_4)
	v_dual_add_f32 v70, 0, v80 :: v_dual_mul_f32 v69, 0x3fb8aa3b, v69
	v_cmp_gt_u32_e64 s2, 16, v67
	v_exp_f32_e32 v71, v71
	s_delay_alu instid0(TRANS32_DEP_2) | instskip(SKIP_4) | instid1(VALU_DEP_3)
	v_cndmask_b32_e64 v86, 0, v77, s5
	v_fma_f32 v77, s18, v101, -v68
	v_mul_f32_e32 v78, 0x3fb8aa3b, v78
	v_add_f32_e32 v70, v70, v76
	v_exp_f32_e32 v69, v69
	v_mul_f32_e32 v77, 0x3fb8aa3b, v77
	s_delay_alu instid0(VALU_DEP_3) | instskip(NEXT) | instid1(TRANS32_DEP_3)
	v_exp_f32_e32 v78, v78
	v_cndmask_b32_e64 v88, 0, v71, s8
	v_fma_f32 v71, s18, v104, -v68
	s_delay_alu instid0(VALU_DEP_3) | instskip(NEXT) | instid1(TRANS32_DEP_3)
	v_exp_f32_e32 v77, v77
	v_cndmask_b32_e64 v87, 0, v69, s6
	s_delay_alu instid0(VALU_DEP_2)
	v_mul_f32_e32 v71, 0x3fb8aa3b, v71
	s_waitcnt_depctr 0xfff
	v_cndmask_b32_e64 v84, 0, v78, s7
	v_add_f32_e32 v70, v70, v83
	v_fma_f32 v78, s18, v103, -v68
	v_exp_f32_e32 v82, v71
	s_delay_alu instid0(VALU_DEP_2) | instskip(SKIP_1) | instid1(VALU_DEP_3)
	v_add_f32_e32 v70, v70, v85
	v_mul_f32_e32 v72, 0x3fb8aa3b, v72
	v_mul_f32_e32 v78, 0x3fb8aa3b, v78
	s_delay_alu instid0(VALU_DEP_3) | instskip(SKIP_1) | instid1(VALU_DEP_4)
	v_add_f32_e32 v69, v70, v86
	v_fma_f32 v70, s18, v102, -v68
	v_exp_f32_e32 v72, v72
	s_delay_alu instid0(VALU_DEP_3) | instskip(NEXT) | instid1(VALU_DEP_1)
	v_exp_f32_e32 v78, v78
	v_dual_add_f32 v69, v69, v87 :: v_dual_mul_f32 v70, 0x3fb8aa3b, v70
	s_delay_alu instid0(VALU_DEP_1) | instskip(NEXT) | instid1(VALU_DEP_2)
	v_add_f32_e32 v69, v69, v84
	v_exp_f32_e32 v79, v70
	s_delay_alu instid0(TRANS32_DEP_3) | instskip(NEXT) | instid1(VALU_DEP_2)
	v_cndmask_b32_e64 v70, 0, v72, s9
	v_add_f32_e32 v72, v69, v88
	v_cndmask_b32_e64 v69, 0, v77, s10
	v_fma_f32 v77, s18, v106, -v68
	s_waitcnt_depctr 0xfff
	v_cndmask_b32_e64 v71, 0, v79, s11
	v_dual_mul_f32 v77, 0x3fb8aa3b, v77 :: v_dual_add_f32 v72, v72, v70
	s_delay_alu instid0(VALU_DEP_1) | instskip(NEXT) | instid1(VALU_DEP_1)
	v_exp_f32_e32 v90, v77
	v_add_f32_e32 v79, v72, v69
	v_cndmask_b32_e64 v72, 0, v78, s12
	v_cndmask_b32_e64 v77, 0, v82, s13
	s_delay_alu instid0(VALU_DEP_3) | instskip(SKIP_1) | instid1(VALU_DEP_1)
	v_add_f32_e32 v78, v79, v71
	v_fma_f32 v79, s18, v107, -v68
	v_dual_add_f32 v82, v78, v72 :: v_dual_mul_f32 v79, 0x3fb8aa3b, v79
	v_cndmask_b32_e64 v78, 0, v81, s15
	s_delay_alu instid0(VALU_DEP_2) | instskip(NEXT) | instid1(VALU_DEP_3)
	v_add_f32_e32 v81, v82, v77
	v_exp_f32_e32 v82, v79
	v_cndmask_b32_e64 v79, 0, v90, s16
	s_delay_alu instid0(VALU_DEP_2) | instskip(NEXT) | instid1(VALU_DEP_1)
	v_add_f32_e32 v81, v81, v78
	v_add_f32_e32 v90, v81, v79
	s_waitcnt_depctr 0xfff
	v_cndmask_b32_e64 v81, 0, v82, s17
	s_delay_alu instid0(VALU_DEP_1)
	v_add_f32_e32 v82, v90, v81
	ds_bpermute_b32 v89, v89, v82
	s_and_saveexec_b32 s3, s2
	s_cbranch_execz .LBB1658_12
; %bb.11:
	v_mul_u32_u24_e32 v67, 0x44, v66
	s_delay_alu instid0(VALU_DEP_1) | instskip(SKIP_1) | instid1(VALU_DEP_1)
	v_lshl_add_u32 v67, v65, 2, v67
	s_waitcnt lgkmcnt(0)
	v_dual_add_f32 v82, v82, v89 :: v_dual_add_nc_u32 v67, 0x4000, v67
	ds_store_2addr_b32 v67, v68, v82 offset1:136
.LBB1658_12:
	s_or_b32 exec_lo, exec_lo, s3
	v_lshlrev_b32_e32 v67, 2, v65
	s_waitcnt lgkmcnt(0)
	s_barrier
	buffer_gl0_inv
	v_cmp_eq_u32_e32 vcc_lo, 1, v66
	v_add_nc_u32_e32 v82, 0x4000, v67
	v_cmp_eq_u32_e64 s3, 2, v66
	v_cmp_eq_u32_e64 s5, 7, v66
	ds_load_2addr_b32 v[89:90], v82 offset1:17
	ds_load_2addr_b32 v[91:92], v82 offset0:34 offset1:51
	ds_load_2addr_b32 v[93:94], v82 offset0:68 offset1:85
	ds_load_2addr_b32 v[95:96], v82 offset0:102 offset1:119
	ds_load_2addr_b32 v[97:98], v82 offset0:136 offset1:153
	s_waitcnt lgkmcnt(4)
	v_max3_f32 v67, v89, 0xff7fffff, v90
	s_waitcnt lgkmcnt(3)
	s_delay_alu instid0(VALU_DEP_1) | instskip(SKIP_1) | instid1(VALU_DEP_1)
	v_max3_f32 v67, v67, v91, v92
	s_waitcnt lgkmcnt(2)
	v_max3_f32 v67, v67, v93, v94
	s_waitcnt lgkmcnt(1)
	s_delay_alu instid0(VALU_DEP_1) | instskip(NEXT) | instid1(VALU_DEP_1)
	v_max3_f32 v67, v67, v95, v96
	v_sub_f32_e32 v93, v93, v67
	s_delay_alu instid0(VALU_DEP_1) | instskip(NEXT) | instid1(VALU_DEP_1)
	v_dual_sub_f32 v68, v89, v67 :: v_dual_mul_f32 v103, 0x3fb8aa3b, v93
	v_mul_f32_e32 v68, 0x3fb8aa3b, v68
	s_delay_alu instid0(VALU_DEP_1)
	v_exp_f32_e32 v100, v68
	v_sub_f32_e32 v68, v92, v67
	v_sub_f32_e32 v99, v90, v67
	ds_load_2addr_b32 v[89:90], v82 offset0:170 offset1:187
	v_dual_mul_f32 v102, 0x3fb8aa3b, v68 :: v_dual_mul_f32 v99, 0x3fb8aa3b, v99
	s_waitcnt lgkmcnt(1)
	v_fma_f32 v68, v100, v97, 0
	s_delay_alu instid0(VALU_DEP_2) | instskip(NEXT) | instid1(VALU_DEP_2)
	v_exp_f32_e32 v102, v102
	v_exp_f32_e32 v99, v99
	s_waitcnt_depctr 0xfff
	v_fmac_f32_e32 v68, v99, v98
	v_sub_f32_e32 v91, v91, v67
	s_delay_alu instid0(VALU_DEP_1)
	v_mul_f32_e32 v101, 0x3fb8aa3b, v91
	ds_load_2addr_b32 v[91:92], v82 offset0:204 offset1:221
	v_sub_f32_e32 v97, v94, v67
	ds_load_2addr_b32 v[93:94], v82 offset0:238 offset1:255
	s_waitcnt lgkmcnt(0)
	v_exp_f32_e32 v101, v101
	s_barrier
	buffer_gl0_inv
	v_dual_fmac_f32 v68, v101, v89 :: v_dual_sub_f32 v89, v96, v67
	v_dual_sub_f32 v82, v95, v67 :: v_dual_mul_f32 v95, 0x3fb8aa3b, v97
	v_exp_f32_e32 v97, v103
	s_delay_alu instid0(VALU_DEP_2) | instskip(NEXT) | instid1(VALU_DEP_2)
	v_dual_fmac_f32 v68, v102, v90 :: v_dual_mul_f32 v89, 0x3fb8aa3b, v89
	v_mul_f32_e32 v82, 0x3fb8aa3b, v82
	s_delay_alu instid0(VALU_DEP_3) | instskip(NEXT) | instid1(VALU_DEP_2)
	v_exp_f32_e32 v95, v95
	v_exp_f32_e32 v89, v89
	s_delay_alu instid0(VALU_DEP_1)
	v_exp_f32_e32 v82, v82
	v_fmac_f32_e32 v68, v97, v91
	s_delay_alu instid0(TRANS32_DEP_3) | instid1(VALU_DEP_1)
	v_fmac_f32_e32 v68, v95, v92
	s_waitcnt_depctr 0xfff
	v_fmac_f32_e32 v68, v82, v93
	s_delay_alu instid0(VALU_DEP_1) | instskip(NEXT) | instid1(VALU_DEP_1)
	v_fmac_f32_e32 v68, v89, v94
	v_add_f32_e32 v90, 0x358637bd, v68
	s_delay_alu instid0(VALU_DEP_1) | instskip(NEXT) | instid1(VALU_DEP_1)
	v_div_scale_f32 v91, null, v90, v90, 1.0
	v_rcp_f32_e32 v92, v91
	s_waitcnt_depctr 0xfff
	v_fma_f32 v93, -v91, v92, 1.0
	s_delay_alu instid0(VALU_DEP_1) | instskip(SKIP_1) | instid1(VALU_DEP_2)
	v_dual_fmac_f32 v92, v93, v92 :: v_dual_cndmask_b32 v93, v100, v99
	v_cmp_eq_u32_e32 vcc_lo, 3, v66
	v_cndmask_b32_e64 v93, v93, v101, s3
	v_cmp_eq_u32_e64 s3, 4, v66
	s_delay_alu instid0(VALU_DEP_2) | instskip(SKIP_1) | instid1(VALU_DEP_2)
	v_cndmask_b32_e32 v93, v93, v102, vcc_lo
	v_cmp_eq_u32_e32 vcc_lo, 5, v66
	v_cndmask_b32_e64 v93, v93, v97, s3
	v_cmp_eq_u32_e64 s3, 6, v66
	s_delay_alu instid0(VALU_DEP_2) | instskip(SKIP_1) | instid1(VALU_DEP_1)
	v_cndmask_b32_e32 v93, v93, v95, vcc_lo
	v_div_scale_f32 v94, s4, 1.0, v90, 1.0
	s_mov_b32 vcc_lo, s4
	s_delay_alu instid0(VALU_DEP_2) | instskip(NEXT) | instid1(VALU_DEP_2)
	v_cndmask_b32_e64 v82, v93, v82, s3
	v_mul_f32_e32 v96, v94, v92
	s_mov_b32 s3, exec_lo
	s_delay_alu instid0(VALU_DEP_2) | instskip(NEXT) | instid1(VALU_DEP_2)
	v_cndmask_b32_e64 v82, v82, v89, s5
	v_fma_f32 v98, -v91, v96, v94
	s_delay_alu instid0(VALU_DEP_1) | instskip(NEXT) | instid1(VALU_DEP_1)
	v_fmac_f32_e32 v96, v98, v92
	v_fma_f32 v91, -v91, v96, v94
	s_delay_alu instid0(VALU_DEP_1) | instskip(NEXT) | instid1(VALU_DEP_1)
	v_div_fmas_f32 v91, v91, v92, v96
	v_div_fixup_f32 v90, v91, v90, 1.0
	s_delay_alu instid0(VALU_DEP_1) | instskip(NEXT) | instid1(VALU_DEP_1)
	v_mul_f32_e32 v82, v82, v90
	v_mul_f32_e32 v87, v82, v87
	;; [unrolled: 1-line block ×7, first 2 shown]
	v_dual_mul_f32 v86, v82, v83 :: v_dual_and_b32 v91, 0x7f800000, v90
	v_mul_f32_e32 v85, v82, v76
                                        ; implicit-def: $vgpr76
	s_delay_alu instid0(VALU_DEP_2)
	v_cmpx_ne_u32_e32 0x7f800000, v91
	s_xor_b32 s3, exec_lo, s3
; %bb.13:
	v_bfe_u32 v76, v90, 16, 1
	s_delay_alu instid0(VALU_DEP_1)
	v_add3_u32 v76, v90, v76, 0x7fff
                                        ; implicit-def: $vgpr90
; %bb.14:
	s_and_not1_saveexec_b32 s3, s3
; %bb.15:
	v_and_b32_e32 v76, 0xffff, v90
	v_or_b32_e32 v83, 0x10000, v90
	s_delay_alu instid0(VALU_DEP_2) | instskip(NEXT) | instid1(VALU_DEP_2)
	v_cmp_eq_u32_e32 vcc_lo, 0, v76
	v_cndmask_b32_e32 v76, v83, v90, vcc_lo
; %bb.16:
	s_or_b32 exec_lo, exec_lo, s3
	v_and_b32_e32 v83, 0x7f800000, v85
	s_delay_alu instid0(VALU_DEP_1) | instskip(SKIP_1) | instid1(SALU_CYCLE_1)
	v_cmp_ne_u32_e32 vcc_lo, 0x7f800000, v83
                                        ; implicit-def: $vgpr83
	s_and_saveexec_b32 s3, vcc_lo
	s_xor_b32 s3, exec_lo, s3
; %bb.17:
	v_bfe_u32 v83, v85, 16, 1
	s_delay_alu instid0(VALU_DEP_1)
	v_add3_u32 v83, v85, v83, 0x7fff
                                        ; implicit-def: $vgpr85
; %bb.18:
	s_and_not1_saveexec_b32 s3, s3
; %bb.19:
	v_and_b32_e32 v83, 0xffff, v85
	v_or_b32_e32 v90, 0x10000, v85
	s_delay_alu instid0(VALU_DEP_2) | instskip(NEXT) | instid1(VALU_DEP_2)
	v_cmp_eq_u32_e32 vcc_lo, 0, v83
	v_cndmask_b32_e32 v83, v90, v85, vcc_lo
; %bb.20:
	s_or_b32 exec_lo, exec_lo, s3
	v_and_b32_e32 v85, 0x7f800000, v86
	s_delay_alu instid0(VALU_DEP_1) | instskip(SKIP_1) | instid1(SALU_CYCLE_1)
	v_cmp_ne_u32_e32 vcc_lo, 0x7f800000, v85
                                        ; implicit-def: $vgpr85
	s_and_saveexec_b32 s3, vcc_lo
	s_xor_b32 s3, exec_lo, s3
; %bb.21:
	v_bfe_u32 v85, v86, 16, 1
	s_delay_alu instid0(VALU_DEP_1)
	v_add3_u32 v85, v86, v85, 0x7fff
                                        ; implicit-def: $vgpr86
; %bb.22:
	s_and_not1_saveexec_b32 s3, s3
; %bb.23:
	v_and_b32_e32 v85, 0xffff, v86
	v_or_b32_e32 v90, 0x10000, v86
	s_delay_alu instid0(VALU_DEP_2) | instskip(NEXT) | instid1(VALU_DEP_2)
	v_cmp_eq_u32_e32 vcc_lo, 0, v85
	v_cndmask_b32_e32 v85, v90, v86, vcc_lo
; %bb.24:
	s_or_b32 exec_lo, exec_lo, s3
	v_and_b32_e32 v86, 0x7f800000, v89
	s_delay_alu instid0(VALU_DEP_1) | instskip(SKIP_1) | instid1(SALU_CYCLE_1)
	v_cmp_ne_u32_e32 vcc_lo, 0x7f800000, v86
                                        ; implicit-def: $vgpr86
	s_and_saveexec_b32 s3, vcc_lo
	s_xor_b32 s3, exec_lo, s3
; %bb.25:
	v_bfe_u32 v86, v89, 16, 1
	s_delay_alu instid0(VALU_DEP_1)
	v_add3_u32 v86, v89, v86, 0x7fff
                                        ; implicit-def: $vgpr89
; %bb.26:
	s_and_not1_saveexec_b32 s3, s3
; %bb.27:
	v_and_b32_e32 v86, 0xffff, v89
	v_or_b32_e32 v90, 0x10000, v89
	s_delay_alu instid0(VALU_DEP_2) | instskip(NEXT) | instid1(VALU_DEP_2)
	v_cmp_eq_u32_e32 vcc_lo, 0, v86
	v_cndmask_b32_e32 v86, v90, v89, vcc_lo
; %bb.28:
	s_or_b32 exec_lo, exec_lo, s3
	v_and_b32_e32 v89, 0x7f800000, v88
	s_delay_alu instid0(VALU_DEP_1) | instskip(SKIP_1) | instid1(SALU_CYCLE_1)
	v_cmp_ne_u32_e32 vcc_lo, 0x7f800000, v89
                                        ; implicit-def: $vgpr89
	s_and_saveexec_b32 s3, vcc_lo
	s_xor_b32 s3, exec_lo, s3
; %bb.29:
	v_bfe_u32 v89, v88, 16, 1
	s_delay_alu instid0(VALU_DEP_1)
	v_add3_u32 v89, v88, v89, 0x7fff
                                        ; implicit-def: $vgpr88
; %bb.30:
	s_and_not1_saveexec_b32 s3, s3
; %bb.31:
	v_and_b32_e32 v89, 0xffff, v88
	v_or_b32_e32 v90, 0x10000, v88
	s_delay_alu instid0(VALU_DEP_2) | instskip(NEXT) | instid1(VALU_DEP_2)
	v_cmp_eq_u32_e32 vcc_lo, 0, v89
	v_cndmask_b32_e32 v89, v90, v88, vcc_lo
; %bb.32:
	s_or_b32 exec_lo, exec_lo, s3
	v_and_b32_e32 v88, 0x7f800000, v87
	s_delay_alu instid0(VALU_DEP_1) | instskip(SKIP_1) | instid1(SALU_CYCLE_1)
	v_cmp_ne_u32_e32 vcc_lo, 0x7f800000, v88
                                        ; implicit-def: $vgpr88
	s_and_saveexec_b32 s3, vcc_lo
	s_xor_b32 s3, exec_lo, s3
; %bb.33:
	v_bfe_u32 v88, v87, 16, 1
	s_delay_alu instid0(VALU_DEP_1)
	v_add3_u32 v88, v87, v88, 0x7fff
                                        ; implicit-def: $vgpr87
; %bb.34:
	s_and_not1_saveexec_b32 s3, s3
; %bb.35:
	v_and_b32_e32 v88, 0xffff, v87
	v_or_b32_e32 v90, 0x10000, v87
	s_delay_alu instid0(VALU_DEP_2) | instskip(NEXT) | instid1(VALU_DEP_2)
	v_cmp_eq_u32_e32 vcc_lo, 0, v88
	v_cndmask_b32_e32 v88, v90, v87, vcc_lo
; %bb.36:
	s_or_b32 exec_lo, exec_lo, s3
	v_and_b32_e32 v87, 0x7f800000, v84
	s_delay_alu instid0(VALU_DEP_1) | instskip(SKIP_1) | instid1(SALU_CYCLE_1)
	v_cmp_ne_u32_e32 vcc_lo, 0x7f800000, v87
                                        ; implicit-def: $vgpr87
	s_and_saveexec_b32 s3, vcc_lo
	s_xor_b32 s3, exec_lo, s3
; %bb.37:
	v_bfe_u32 v87, v84, 16, 1
	s_delay_alu instid0(VALU_DEP_1)
	v_add3_u32 v87, v84, v87, 0x7fff
                                        ; implicit-def: $vgpr84
; %bb.38:
	s_and_not1_saveexec_b32 s3, s3
; %bb.39:
	v_and_b32_e32 v87, 0xffff, v84
	v_or_b32_e32 v90, 0x10000, v84
	s_delay_alu instid0(VALU_DEP_2) | instskip(NEXT) | instid1(VALU_DEP_2)
	v_cmp_eq_u32_e32 vcc_lo, 0, v87
	v_cndmask_b32_e32 v87, v90, v84, vcc_lo
; %bb.40:
	s_or_b32 exec_lo, exec_lo, s3
	v_and_b32_e32 v84, 0x7f800000, v80
	s_delay_alu instid0(VALU_DEP_1) | instskip(SKIP_1) | instid1(SALU_CYCLE_1)
	v_cmp_ne_u32_e32 vcc_lo, 0x7f800000, v84
                                        ; implicit-def: $vgpr84
	s_and_saveexec_b32 s3, vcc_lo
	s_xor_b32 s3, exec_lo, s3
; %bb.41:
	v_bfe_u32 v84, v80, 16, 1
	s_delay_alu instid0(VALU_DEP_1)
	v_add3_u32 v84, v80, v84, 0x7fff
                                        ; implicit-def: $vgpr80
; %bb.42:
	s_and_not1_saveexec_b32 s3, s3
; %bb.43:
	v_and_b32_e32 v84, 0xffff, v80
	v_or_b32_e32 v90, 0x10000, v80
	s_delay_alu instid0(VALU_DEP_2) | instskip(NEXT) | instid1(VALU_DEP_2)
	v_cmp_eq_u32_e32 vcc_lo, 0, v84
	v_cndmask_b32_e32 v84, v90, v80, vcc_lo
; %bb.44:
	s_or_b32 exec_lo, exec_lo, s3
	s_load_b64 s[34:35], s[0:1], 0x94
	v_lshlrev_b32_e32 v91, 4, v74
	s_delay_alu instid0(VALU_DEP_2)
	v_perm_b32 v90, v84, v87, 0x7060302
	v_dual_mul_f32 v79, v82, v79 :: v_dual_lshlrev_b32 v80, 6, v65
	v_dual_mul_f32 v77, v82, v77 :: v_dual_lshlrev_b32 v92, 11, v66
	v_mul_f32_e32 v84, v82, v70
	v_perm_b32 v89, v88, v89, 0x7060302
	v_perm_b32 v88, v86, v85, 0x7060302
	;; [unrolled: 1-line block ×3, first 2 shown]
	v_mul_f32_e32 v70, v82, v81
	v_or3_b32 v76, v91, v92, v80
	v_dual_mul_f32 v78, v82, v78 :: v_dual_and_b32 v85, 0x7f800000, v84
	v_mul_f32_e32 v83, v82, v72
	v_mul_f32_e32 v81, v82, v71
	;; [unrolled: 1-line block ×3, first 2 shown]
	s_mov_b32 s3, exec_lo
	ds_store_b128 v76, v[87:90]
                                        ; implicit-def: $vgpr69
	v_cmpx_ne_u32_e32 0x7f800000, v85
	s_xor_b32 s3, exec_lo, s3
; %bb.45:
	v_bfe_u32 v69, v84, 16, 1
	s_delay_alu instid0(VALU_DEP_1)
	v_add3_u32 v69, v84, v69, 0x7fff
                                        ; implicit-def: $vgpr84
; %bb.46:
	s_and_not1_saveexec_b32 s3, s3
; %bb.47:
	v_and_b32_e32 v69, 0xffff, v84
	v_or_b32_e32 v71, 0x10000, v84
	s_delay_alu instid0(VALU_DEP_2) | instskip(NEXT) | instid1(VALU_DEP_2)
	v_cmp_eq_u32_e32 vcc_lo, 0, v69
	v_cndmask_b32_e32 v69, v71, v84, vcc_lo
; %bb.48:
	s_or_b32 exec_lo, exec_lo, s3
	v_and_b32_e32 v71, 0x7f800000, v72
	s_delay_alu instid0(VALU_DEP_1) | instskip(SKIP_1) | instid1(SALU_CYCLE_1)
	v_cmp_ne_u32_e32 vcc_lo, 0x7f800000, v71
                                        ; implicit-def: $vgpr71
	s_and_saveexec_b32 s3, vcc_lo
	s_xor_b32 s3, exec_lo, s3
; %bb.49:
	v_bfe_u32 v71, v72, 16, 1
	s_delay_alu instid0(VALU_DEP_1)
	v_add3_u32 v71, v72, v71, 0x7fff
                                        ; implicit-def: $vgpr72
; %bb.50:
	s_and_not1_saveexec_b32 s3, s3
; %bb.51:
	v_and_b32_e32 v71, 0xffff, v72
	v_or_b32_e32 v82, 0x10000, v72
	s_delay_alu instid0(VALU_DEP_2) | instskip(NEXT) | instid1(VALU_DEP_2)
	v_cmp_eq_u32_e32 vcc_lo, 0, v71
	v_cndmask_b32_e32 v71, v82, v72, vcc_lo
; %bb.52:
	s_or_b32 exec_lo, exec_lo, s3
	v_and_b32_e32 v72, 0x7f800000, v81
	s_delay_alu instid0(VALU_DEP_1) | instskip(SKIP_1) | instid1(SALU_CYCLE_1)
	v_cmp_ne_u32_e32 vcc_lo, 0x7f800000, v72
                                        ; implicit-def: $vgpr72
	s_and_saveexec_b32 s3, vcc_lo
	s_xor_b32 s3, exec_lo, s3
; %bb.53:
	v_bfe_u32 v72, v81, 16, 1
	s_delay_alu instid0(VALU_DEP_1)
	v_add3_u32 v72, v81, v72, 0x7fff
                                        ; implicit-def: $vgpr81
; %bb.54:
	s_and_not1_saveexec_b32 s3, s3
; %bb.55:
	v_and_b32_e32 v72, 0xffff, v81
	v_or_b32_e32 v82, 0x10000, v81
	s_delay_alu instid0(VALU_DEP_2) | instskip(NEXT) | instid1(VALU_DEP_2)
	v_cmp_eq_u32_e32 vcc_lo, 0, v72
	v_cndmask_b32_e32 v72, v82, v81, vcc_lo
; %bb.56:
	s_or_b32 exec_lo, exec_lo, s3
	v_and_b32_e32 v81, 0x7f800000, v83
	s_delay_alu instid0(VALU_DEP_1) | instskip(SKIP_1) | instid1(SALU_CYCLE_1)
	v_cmp_ne_u32_e32 vcc_lo, 0x7f800000, v81
                                        ; implicit-def: $vgpr81
	s_and_saveexec_b32 s3, vcc_lo
	s_xor_b32 s3, exec_lo, s3
; %bb.57:
	v_bfe_u32 v81, v83, 16, 1
	s_delay_alu instid0(VALU_DEP_1)
	v_add3_u32 v81, v83, v81, 0x7fff
                                        ; implicit-def: $vgpr83
; %bb.58:
	s_and_not1_saveexec_b32 s3, s3
; %bb.59:
	v_and_b32_e32 v81, 0xffff, v83
	v_or_b32_e32 v82, 0x10000, v83
	s_delay_alu instid0(VALU_DEP_2) | instskip(NEXT) | instid1(VALU_DEP_2)
	v_cmp_eq_u32_e32 vcc_lo, 0, v81
	v_cndmask_b32_e32 v81, v82, v83, vcc_lo
; %bb.60:
	s_or_b32 exec_lo, exec_lo, s3
	v_and_b32_e32 v82, 0x7f800000, v77
	s_delay_alu instid0(VALU_DEP_1) | instskip(SKIP_1) | instid1(SALU_CYCLE_1)
	v_cmp_ne_u32_e32 vcc_lo, 0x7f800000, v82
                                        ; implicit-def: $vgpr82
	s_and_saveexec_b32 s3, vcc_lo
	s_xor_b32 s3, exec_lo, s3
; %bb.61:
	v_bfe_u32 v82, v77, 16, 1
	s_delay_alu instid0(VALU_DEP_1)
	v_add3_u32 v82, v77, v82, 0x7fff
                                        ; implicit-def: $vgpr77
; %bb.62:
	s_and_not1_saveexec_b32 s3, s3
; %bb.63:
	v_and_b32_e32 v82, 0xffff, v77
	v_or_b32_e32 v83, 0x10000, v77
	s_delay_alu instid0(VALU_DEP_2) | instskip(NEXT) | instid1(VALU_DEP_2)
	v_cmp_eq_u32_e32 vcc_lo, 0, v82
	v_cndmask_b32_e32 v82, v83, v77, vcc_lo
; %bb.64:
	s_or_b32 exec_lo, exec_lo, s3
	v_and_b32_e32 v77, 0x7f800000, v78
	s_delay_alu instid0(VALU_DEP_1) | instskip(SKIP_1) | instid1(SALU_CYCLE_1)
	v_cmp_ne_u32_e32 vcc_lo, 0x7f800000, v77
                                        ; implicit-def: $vgpr77
	s_and_saveexec_b32 s3, vcc_lo
	s_xor_b32 s3, exec_lo, s3
; %bb.65:
	v_bfe_u32 v77, v78, 16, 1
	s_delay_alu instid0(VALU_DEP_1)
	v_add3_u32 v77, v78, v77, 0x7fff
                                        ; implicit-def: $vgpr78
; %bb.66:
	s_and_not1_saveexec_b32 s3, s3
; %bb.67:
	v_and_b32_e32 v77, 0xffff, v78
	v_or_b32_e32 v83, 0x10000, v78
	s_delay_alu instid0(VALU_DEP_2) | instskip(NEXT) | instid1(VALU_DEP_2)
	v_cmp_eq_u32_e32 vcc_lo, 0, v77
	v_cndmask_b32_e32 v77, v83, v78, vcc_lo
; %bb.68:
	s_or_b32 exec_lo, exec_lo, s3
	v_and_b32_e32 v78, 0x7f800000, v79
	s_delay_alu instid0(VALU_DEP_1) | instskip(SKIP_1) | instid1(SALU_CYCLE_1)
	v_cmp_ne_u32_e32 vcc_lo, 0x7f800000, v78
                                        ; implicit-def: $vgpr78
	s_and_saveexec_b32 s3, vcc_lo
	s_xor_b32 s3, exec_lo, s3
; %bb.69:
	v_bfe_u32 v78, v79, 16, 1
	s_delay_alu instid0(VALU_DEP_1)
	v_add3_u32 v78, v79, v78, 0x7fff
                                        ; implicit-def: $vgpr79
; %bb.70:
	s_and_not1_saveexec_b32 s3, s3
; %bb.71:
	v_and_b32_e32 v78, 0xffff, v79
	v_or_b32_e32 v83, 0x10000, v79
	s_delay_alu instid0(VALU_DEP_2) | instskip(NEXT) | instid1(VALU_DEP_2)
	v_cmp_eq_u32_e32 vcc_lo, 0, v78
	v_cndmask_b32_e32 v78, v83, v79, vcc_lo
; %bb.72:
	s_or_b32 exec_lo, exec_lo, s3
	v_and_b32_e32 v79, 0x7f800000, v70
	s_delay_alu instid0(VALU_DEP_1) | instskip(SKIP_1) | instid1(SALU_CYCLE_1)
	v_cmp_ne_u32_e32 vcc_lo, 0x7f800000, v79
                                        ; implicit-def: $vgpr79
	s_and_saveexec_b32 s3, vcc_lo
	s_xor_b32 s3, exec_lo, s3
; %bb.73:
	v_bfe_u32 v79, v70, 16, 1
	s_delay_alu instid0(VALU_DEP_1)
	v_add3_u32 v79, v70, v79, 0x7fff
                                        ; implicit-def: $vgpr70
; %bb.74:
	s_and_not1_saveexec_b32 s3, s3
; %bb.75:
	v_and_b32_e32 v79, 0xffff, v70
	v_or_b32_e32 v83, 0x10000, v70
	s_delay_alu instid0(VALU_DEP_2) | instskip(NEXT) | instid1(VALU_DEP_2)
	v_cmp_eq_u32_e32 vcc_lo, 0, v79
	v_cndmask_b32_e32 v79, v83, v70, vcc_lo
; %bb.76:
	s_or_b32 exec_lo, exec_lo, s3
	s_delay_alu instid0(VALU_DEP_1)
	v_perm_b32 v86, v79, v78, 0x7060302
	v_perm_b32 v85, v77, v82, 0x7060302
	;; [unrolled: 1-line block ×4, first 2 shown]
	v_lshl_or_b32 v82, v66, 11, v80
	ds_store_b128 v76, v[83:86] offset:1024
	s_waitcnt lgkmcnt(0)
	s_barrier
	buffer_gl0_inv
	ds_load_b128 v[69:72], v82
	ds_load_b128 v[83:86], v82 offset:16
	s_waitcnt lgkmcnt(1)
	v_lshrrev_b32_e32 v66, 16, v69
	s_waitcnt lgkmcnt(0)
	v_lshrrev_b32_e32 v91, 16, v83
	v_lshlrev_b32_e32 v78, 2, v74
	v_lshrrev_b32_e32 v95, 16, v70
	v_lshrrev_b32_e32 v98, 16, v84
	;; [unrolled: 1-line block ×4, first 2 shown]
	v_cmp_eq_u32_e32 vcc_lo, 1, v78
	v_lshrrev_b32_e32 v97, 16, v72
	v_lshrrev_b32_e32 v100, 16, v86
	v_cndmask_b32_e32 v87, v83, v91, vcc_lo
	v_or_b32_e32 v79, 1, v78
	v_cndmask_b32_e32 v81, v69, v66, vcc_lo
	v_cmp_eq_u32_e64 s4, 2, v78
	v_cmp_eq_u32_e64 s7, 3, v78
	;; [unrolled: 1-line block ×5, first 2 shown]
	v_cndmask_b32_e64 v81, v81, v70, s4
	v_cndmask_b32_e64 v87, v87, v84, s4
	v_cmp_eq_u32_e64 s8, 3, v79
	v_cndmask_b32_e64 v88, v69, v66, s3
	v_or_b32_e32 v77, 2, v78
	v_cndmask_b32_e64 v81, v81, v95, s7
	v_cndmask_b32_e64 v87, v87, v98, s7
	;; [unrolled: 1-line block ×4, first 2 shown]
	v_cmp_eq_u32_e64 s10, 5, v78
	v_cndmask_b32_e64 v81, v81, v71, s9
	v_cndmask_b32_e64 v87, v87, v85, s9
	v_cmp_eq_u32_e64 s11, 4, v79
	v_cndmask_b32_e64 v88, v88, v95, s8
	v_cmp_eq_u32_e64 s5, 1, v77
	v_cndmask_b32_e64 v89, v89, v84, s6
	v_cndmask_b32_e64 v81, v81, v96, s10
	v_cmp_eq_u32_e64 s12, 6, v78
	v_cndmask_b32_e64 v88, v88, v71, s11
	;; [unrolled: 3-line block ×3, first 2 shown]
	v_cndmask_b32_e64 v89, v89, v98, s8
	v_cndmask_b32_e64 v81, v81, v72, s12
	v_cmp_eq_u32_e64 s15, 7, v78
	v_cndmask_b32_e64 v88, v88, v96, s13
	v_cndmask_b32_e64 v87, v87, v86, s12
	v_cmp_eq_u32_e64 s16, 6, v79
	v_cmp_eq_u32_e64 s17, 2, v77
	v_cndmask_b32_e64 v89, v89, v85, s11
	v_cndmask_b32_e64 v101, v81, v97, s15
	;; [unrolled: 1-line block ×6, first 2 shown]
	v_cmp_eq_u32_e64 s18, 7, v79
	v_cmp_eq_u32_e64 s19, 3, v77
	;; [unrolled: 1-line block ×4, first 2 shown]
	v_cndmask_b32_e64 v87, v87, v84, s17
	v_cndmask_b32_e64 v103, v88, v97, s18
	;; [unrolled: 1-line block ×4, first 2 shown]
	v_or_b32_e32 v81, 3, v78
	v_cndmask_b32_e64 v93, v87, v98, s19
	v_cmp_eq_u32_e64 s24, 6, v77
	v_cndmask_b32_e64 v104, v88, v86, s16
	v_cndmask_b32_e64 v92, v89, v71, s20
	v_cmp_eq_u32_e64 s21, 1, v81
	ds_load_b128 v[87:90], v82 offset:1024
	v_cmp_eq_u32_e64 s23, 2, v81
	v_cmp_eq_u32_e64 s25, 3, v81
	v_cndmask_b32_e64 v105, v92, v96, s22
	v_cndmask_b32_e64 v66, v69, v66, s21
	v_cndmask_b32_e64 v69, v93, v85, s20
	v_cndmask_b32_e64 v83, v83, v91, s21
	ds_load_b128 v[91:94], v82 offset:1040
	v_cmp_eq_u32_e64 s26, 4, v81
	v_cndmask_b32_e64 v66, v66, v70, s23
	v_cmp_eq_u32_e64 s27, 7, v77
	v_cndmask_b32_e64 v70, v83, v84, s23
	v_cndmask_b32_e64 v84, v105, v72, s24
	v_cmp_eq_u32_e64 s28, 5, v81
	v_cndmask_b32_e64 v66, v66, v95, s25
	v_cmp_eq_u32_e64 s29, 6, v81
	v_cndmask_b32_e64 v70, v70, v98, s25
	v_cndmask_b32_e64 v69, v69, v99, s22
	;; [unrolled: 1-line block ×4, first 2 shown]
	s_waitcnt lgkmcnt(1)
	v_lshrrev_b32_e32 v95, 16, v87
	v_cndmask_b32_e64 v70, v70, v85, s26
	v_cndmask_b32_e64 v71, v84, v97, s27
	;; [unrolled: 1-line block ×4, first 2 shown]
	v_cndmask_b32_e32 v84, v87, v95, vcc_lo
	v_cndmask_b32_e64 v70, v70, v99, s28
	s_waitcnt lgkmcnt(0)
	v_lshrrev_b32_e32 v85, 16, v91
	v_lshrrev_b32_e32 v96, 16, v88
	v_cndmask_b32_e64 v98, v87, v95, s3
	v_cndmask_b32_e64 v84, v84, v88, s4
	;; [unrolled: 1-line block ×3, first 2 shown]
	v_cndmask_b32_e32 v99, v91, v85, vcc_lo
	v_cmp_eq_u32_e32 vcc_lo, 7, v81
	v_cndmask_b32_e64 v66, v66, v72, s29
	v_cndmask_b32_e64 v72, v84, v96, s7
	;; [unrolled: 1-line block ×3, first 2 shown]
	v_lshrrev_b32_e32 v98, 16, v92
	v_cndmask_b32_e32 v70, v70, v100, vcc_lo
	v_cndmask_b32_e64 v86, v99, v92, s4
	v_cndmask_b32_e64 v69, v69, v100, s27
	v_lshrrev_b32_e32 v100, 16, v93
	v_cndmask_b32_e64 v72, v72, v89, s9
	v_lshrrev_b32_e32 v99, 16, v89
	v_cndmask_b32_e64 v86, v86, v98, s7
	v_perm_b32 v71, v69, v71, 0x5040100
	v_cndmask_b32_e64 v84, v84, v96, s8
	s_delay_alu instid0(VALU_DEP_3) | instskip(NEXT) | instid1(VALU_DEP_2)
	v_cndmask_b32_e64 v86, v86, v93, s9
	v_cndmask_b32_e64 v84, v84, v89, s11
	s_delay_alu instid0(VALU_DEP_2) | instskip(NEXT) | instid1(VALU_DEP_1)
	v_cndmask_b32_e64 v86, v86, v100, s10
	v_cndmask_b32_e64 v69, v86, v94, s12
	;; [unrolled: 1-line block ×5, first 2 shown]
	s_delay_alu instid0(VALU_DEP_3) | instskip(NEXT) | instid1(VALU_DEP_3)
	v_cndmask_b32_e64 v86, v86, v88, s17
	v_cndmask_b32_e64 v87, v87, v88, s23
	s_delay_alu instid0(VALU_DEP_3) | instskip(NEXT) | instid1(VALU_DEP_3)
	v_cndmask_b32_e64 v88, v95, v92, s23
	v_cndmask_b32_e64 v86, v86, v96, s19
	;; [unrolled: 3-line block ×7, first 2 shown]
	s_delay_alu instid0(VALU_DEP_3) | instskip(SKIP_2) | instid1(VALU_DEP_2)
	v_cndmask_b32_e64 v88, v88, v94, s29
	v_cndmask_b32_e32 v66, v66, v97, vcc_lo
	v_cndmask_b32_e64 v97, v72, v99, s10
	v_perm_b32 v72, v70, v66, 0x5040100
	v_perm_b32 v70, v83, v103, 0x5040100
	v_cndmask_b32_e64 v103, v91, v85, s5
	v_cndmask_b32_e64 v85, v91, v85, s3
	;; [unrolled: 1-line block ×4, first 2 shown]
	v_lshrrev_b32_e32 v97, 16, v90
	v_cndmask_b32_e64 v91, v103, v92, s17
	v_cndmask_b32_e64 v85, v85, v92, s6
	;; [unrolled: 1-line block ×3, first 2 shown]
	s_mov_b32 s3, exec_lo
	v_cndmask_b32_e64 v83, v84, v97, s15
	v_cndmask_b32_e64 v91, v91, v98, s19
	;; [unrolled: 1-line block ×3, first 2 shown]
	v_lshrrev_b32_e32 v84, 16, v94
	v_cndmask_b32_e64 v66, v66, v97, s18
	v_cndmask_b32_e64 v90, v86, v97, s27
	;; [unrolled: 1-line block ×4, first 2 shown]
	v_dual_cndmask_b32 v86, v87, v97 :: v_dual_cndmask_b32 v87, v88, v84
	v_cndmask_b32_e64 v91, v69, v84, s15
	s_delay_alu instid0(VALU_DEP_4) | instskip(NEXT) | instid1(VALU_DEP_4)
	v_cndmask_b32_e64 v89, v89, v100, s22
	v_cndmask_b32_e64 v85, v85, v100, s13
	v_perm_b32 v69, v102, v101, 0x5040100
	v_perm_b32 v86, v87, v86, 0x5040100
	;; [unrolled: 1-line block ×3, first 2 shown]
	v_cndmask_b32_e64 v89, v89, v94, s24
	v_cndmask_b32_e64 v85, v85, v94, s16
	s_mul_i32 s8, s35, 13
	s_delay_alu instid0(VALU_DEP_2) | instskip(NEXT) | instid1(VALU_DEP_2)
	v_cndmask_b32_e64 v88, v89, v84, s27
	v_cndmask_b32_e64 v89, v85, v84, s18
	s_delay_alu instid0(VALU_DEP_2) | instskip(NEXT) | instid1(VALU_DEP_2)
	v_perm_b32 v85, v88, v90, 0x5040100
	v_perm_b32 v84, v89, v66, 0x5040100
	ds_store_b128 v76, v[69:72]
	ds_store_b128 v76, v[83:86] offset:1024
	v_cmpx_gt_u32_e32 13, v0
	s_cbranch_execz .LBB1658_78
; %bb.77:
	s_mul_i32 s4, s8, s30
	s_delay_alu instid0(SALU_CYCLE_1) | instskip(SKIP_1) | instid1(VALU_DEP_1)
	v_add3_u32 v69, s4, s31, v65
	s_load_b128 s[4:7], s[0:1], 0x58
	v_mad_u64_u32 v[65:66], null, v69, s34, s[14:15]
	s_delay_alu instid0(VALU_DEP_1) | instskip(NEXT) | instid1(VALU_DEP_1)
	v_ashrrev_i32_e32 v66, 31, v65
	v_lshlrev_b64 v[65:66], 2, v[65:66]
	s_waitcnt lgkmcnt(0)
	s_delay_alu instid0(VALU_DEP_1) | instskip(NEXT) | instid1(VALU_DEP_2)
	v_add_co_u32 v69, vcc_lo, s6, v65
	v_add_co_ci_u32_e32 v70, vcc_lo, s7, v66, vcc_lo
	v_add_co_u32 v65, vcc_lo, s4, v65
	v_add_co_ci_u32_e32 v66, vcc_lo, s5, v66, vcc_lo
	global_store_b32 v[69:70], v67, off
	global_store_b32 v[65:66], v68, off
.LBB1658_78:
	s_or_b32 exec_lo, exec_lo, s3
	s_waitcnt lgkmcnt(0)
	s_waitcnt_vscnt null, 0x0
	s_barrier
	buffer_gl0_inv
	ds_load_b128 v[83:86], v80
	ds_load_b128 v[87:90], v80 offset:16
	ds_load_b128 v[95:98], v80 offset:2064
	;; [unrolled: 1-line block ×3, first 2 shown]
	v_mov_b32_e32 v65, 0
	ds_load_b128 v[103:106], v80 offset:4112
	ds_load_b128 v[99:102], v80 offset:4096
	;; [unrolled: 1-line block ×4, first 2 shown]
	v_mov_b32_e32 v66, v65
	v_mov_b32_e32 v67, v65
	;; [unrolled: 1-line block ×7, first 2 shown]
	s_waitcnt lgkmcnt(6)
	s_delay_alu instid0(VALU_DEP_1)
	v_wmma_f32_16x16x16_bf16 v[65:72], v[49:56], v[83:90], v[65:72]
	ds_load_b128 v[53:56], v80 offset:8208
	ds_load_b128 v[49:52], v80 offset:8192
	s_waitcnt lgkmcnt(6)
	v_wmma_f32_16x16x16_bf16 v[65:72], v[41:48], v[91:98], v[65:72]
	ds_load_b128 v[45:48], v80 offset:10256
	ds_load_b128 v[41:44], v80 offset:10240
	s_waitcnt lgkmcnt(6)
	;; [unrolled: 4-line block ×4, first 2 shown]
	v_wmma_f32_16x16x16_bf16 v[65:72], v[1:8], v[49:56], v[65:72]
	s_waitcnt lgkmcnt(4)
	s_delay_alu instid0(VALU_DEP_1) | instskip(SKIP_1) | instid1(VALU_DEP_1)
	v_wmma_f32_16x16x16_bf16 v[65:72], v[9:16], v[41:48], v[65:72]
	s_waitcnt lgkmcnt(2)
	v_wmma_f32_16x16x16_bf16 v[65:72], v[17:24], v[33:40], v[65:72]
	s_waitcnt lgkmcnt(0)
	s_delay_alu instid0(VALU_DEP_1) | instskip(NEXT) | instid1(VALU_DEP_1)
	v_wmma_f32_16x16x16_bf16 v[65:72], v[57:64], v[25:32], v[65:72]
	v_and_b32_e32 v1, 0x7f800000, v65
	s_delay_alu instid0(VALU_DEP_1) | instskip(SKIP_1) | instid1(SALU_CYCLE_1)
	v_cmp_ne_u32_e32 vcc_lo, 0x7f800000, v1
                                        ; implicit-def: $vgpr1
	s_and_saveexec_b32 s3, vcc_lo
	s_xor_b32 s3, exec_lo, s3
; %bb.79:
	v_bfe_u32 v1, v65, 16, 1
	s_delay_alu instid0(VALU_DEP_1)
	v_add3_u32 v1, v65, v1, 0x7fff
; %bb.80:
	s_and_not1_saveexec_b32 s3, s3
; %bb.81:
	v_and_b32_e32 v1, 0xffff, v65
	v_or_b32_e32 v2, 0x10000, v65
	s_delay_alu instid0(VALU_DEP_2) | instskip(NEXT) | instid1(VALU_DEP_2)
	v_cmp_eq_u32_e32 vcc_lo, 0, v1
	v_cndmask_b32_e32 v1, v2, v65, vcc_lo
; %bb.82:
	s_or_b32 exec_lo, exec_lo, s3
	v_and_b32_e32 v2, 0x7f800000, v66
	s_delay_alu instid0(VALU_DEP_1) | instskip(SKIP_1) | instid1(SALU_CYCLE_1)
	v_cmp_ne_u32_e32 vcc_lo, 0x7f800000, v2
                                        ; implicit-def: $vgpr2
	s_and_saveexec_b32 s3, vcc_lo
	s_xor_b32 s3, exec_lo, s3
; %bb.83:
	v_bfe_u32 v2, v66, 16, 1
	s_delay_alu instid0(VALU_DEP_1)
	v_add3_u32 v2, v66, v2, 0x7fff
; %bb.84:
	s_and_not1_saveexec_b32 s3, s3
; %bb.85:
	v_and_b32_e32 v2, 0xffff, v66
	v_or_b32_e32 v3, 0x10000, v66
	s_delay_alu instid0(VALU_DEP_2) | instskip(NEXT) | instid1(VALU_DEP_2)
	v_cmp_eq_u32_e32 vcc_lo, 0, v2
	v_cndmask_b32_e32 v2, v3, v66, vcc_lo
; %bb.86:
	s_or_b32 exec_lo, exec_lo, s3
	v_and_b32_e32 v3, 0x7f800000, v67
	s_delay_alu instid0(VALU_DEP_1) | instskip(SKIP_1) | instid1(SALU_CYCLE_1)
	v_cmp_ne_u32_e32 vcc_lo, 0x7f800000, v3
                                        ; implicit-def: $vgpr3
	s_and_saveexec_b32 s3, vcc_lo
	s_xor_b32 s3, exec_lo, s3
; %bb.87:
	v_bfe_u32 v3, v67, 16, 1
	s_delay_alu instid0(VALU_DEP_1)
	v_add3_u32 v3, v67, v3, 0x7fff
; %bb.88:
	s_and_not1_saveexec_b32 s3, s3
; %bb.89:
	v_and_b32_e32 v3, 0xffff, v67
	v_or_b32_e32 v4, 0x10000, v67
	s_delay_alu instid0(VALU_DEP_2) | instskip(NEXT) | instid1(VALU_DEP_2)
	v_cmp_eq_u32_e32 vcc_lo, 0, v3
	v_cndmask_b32_e32 v3, v4, v67, vcc_lo
; %bb.90:
	s_or_b32 exec_lo, exec_lo, s3
	v_and_b32_e32 v4, 0x7f800000, v68
	s_delay_alu instid0(VALU_DEP_1) | instskip(SKIP_1) | instid1(SALU_CYCLE_1)
	v_cmp_ne_u32_e32 vcc_lo, 0x7f800000, v4
                                        ; implicit-def: $vgpr4
	s_and_saveexec_b32 s3, vcc_lo
	s_xor_b32 s3, exec_lo, s3
; %bb.91:
	v_bfe_u32 v4, v68, 16, 1
	s_delay_alu instid0(VALU_DEP_1)
	v_add3_u32 v4, v68, v4, 0x7fff
; %bb.92:
	s_and_not1_saveexec_b32 s3, s3
; %bb.93:
	v_and_b32_e32 v4, 0xffff, v68
	v_or_b32_e32 v5, 0x10000, v68
	s_delay_alu instid0(VALU_DEP_2) | instskip(NEXT) | instid1(VALU_DEP_2)
	v_cmp_eq_u32_e32 vcc_lo, 0, v4
	v_cndmask_b32_e32 v4, v5, v68, vcc_lo
; %bb.94:
	s_or_b32 exec_lo, exec_lo, s3
	v_and_b32_e32 v5, 0x7f800000, v69
	s_delay_alu instid0(VALU_DEP_1) | instskip(SKIP_1) | instid1(SALU_CYCLE_1)
	v_cmp_ne_u32_e32 vcc_lo, 0x7f800000, v5
                                        ; implicit-def: $vgpr5
	s_and_saveexec_b32 s3, vcc_lo
	s_xor_b32 s3, exec_lo, s3
; %bb.95:
	v_bfe_u32 v5, v69, 16, 1
	s_delay_alu instid0(VALU_DEP_1)
	v_add3_u32 v5, v69, v5, 0x7fff
; %bb.96:
	s_and_not1_saveexec_b32 s3, s3
; %bb.97:
	v_and_b32_e32 v5, 0xffff, v69
	v_or_b32_e32 v6, 0x10000, v69
	s_delay_alu instid0(VALU_DEP_2) | instskip(NEXT) | instid1(VALU_DEP_2)
	v_cmp_eq_u32_e32 vcc_lo, 0, v5
	v_cndmask_b32_e32 v5, v6, v69, vcc_lo
; %bb.98:
	s_or_b32 exec_lo, exec_lo, s3
	v_and_b32_e32 v6, 0x7f800000, v70
	s_delay_alu instid0(VALU_DEP_1) | instskip(SKIP_1) | instid1(SALU_CYCLE_1)
	v_cmp_ne_u32_e32 vcc_lo, 0x7f800000, v6
                                        ; implicit-def: $vgpr6
	s_and_saveexec_b32 s3, vcc_lo
	s_xor_b32 s3, exec_lo, s3
; %bb.99:
	v_bfe_u32 v6, v70, 16, 1
	s_delay_alu instid0(VALU_DEP_1)
	v_add3_u32 v6, v70, v6, 0x7fff
; %bb.100:
	s_and_not1_saveexec_b32 s3, s3
; %bb.101:
	v_and_b32_e32 v6, 0xffff, v70
	v_or_b32_e32 v7, 0x10000, v70
	s_delay_alu instid0(VALU_DEP_2) | instskip(NEXT) | instid1(VALU_DEP_2)
	v_cmp_eq_u32_e32 vcc_lo, 0, v6
	v_cndmask_b32_e32 v6, v7, v70, vcc_lo
; %bb.102:
	s_or_b32 exec_lo, exec_lo, s3
	v_and_b32_e32 v7, 0x7f800000, v71
	s_delay_alu instid0(VALU_DEP_1) | instskip(SKIP_1) | instid1(SALU_CYCLE_1)
	v_cmp_ne_u32_e32 vcc_lo, 0x7f800000, v7
                                        ; implicit-def: $vgpr7
	s_and_saveexec_b32 s3, vcc_lo
	s_xor_b32 s3, exec_lo, s3
; %bb.103:
	v_bfe_u32 v7, v71, 16, 1
	s_delay_alu instid0(VALU_DEP_1)
	v_add3_u32 v7, v71, v7, 0x7fff
; %bb.104:
	s_and_not1_saveexec_b32 s3, s3
; %bb.105:
	v_and_b32_e32 v7, 0xffff, v71
	v_or_b32_e32 v8, 0x10000, v71
	s_delay_alu instid0(VALU_DEP_2) | instskip(NEXT) | instid1(VALU_DEP_2)
	v_cmp_eq_u32_e32 vcc_lo, 0, v7
	v_cndmask_b32_e32 v7, v8, v71, vcc_lo
; %bb.106:
	s_or_b32 exec_lo, exec_lo, s3
	v_and_b32_e32 v8, 0x7f800000, v72
	s_delay_alu instid0(VALU_DEP_1) | instskip(SKIP_1) | instid1(SALU_CYCLE_1)
	v_cmp_ne_u32_e32 vcc_lo, 0x7f800000, v8
                                        ; implicit-def: $vgpr8
	s_and_saveexec_b32 s3, vcc_lo
	s_xor_b32 s3, exec_lo, s3
; %bb.107:
	v_bfe_u32 v8, v72, 16, 1
	s_delay_alu instid0(VALU_DEP_1)
	v_add3_u32 v8, v72, v8, 0x7fff
                                        ; implicit-def: $vgpr65_vgpr66_vgpr67_vgpr68_vgpr69_vgpr70_vgpr71_vgpr72
; %bb.108:
	s_and_not1_saveexec_b32 s3, s3
; %bb.109:
	v_and_b32_e32 v8, 0xffff, v72
	v_or_b32_e32 v9, 0x10000, v72
	s_delay_alu instid0(VALU_DEP_2) | instskip(NEXT) | instid1(VALU_DEP_2)
	v_cmp_eq_u32_e32 vcc_lo, 0, v8
	v_cndmask_b32_e32 v8, v9, v72, vcc_lo
; %bb.110:
	s_or_b32 exec_lo, exec_lo, s3
	s_delay_alu instid0(VALU_DEP_1)
	v_perm_b32 v7, v8, v7, 0x7060302
	v_perm_b32 v6, v6, v5, 0x7060302
	;; [unrolled: 1-line block ×4, first 2 shown]
	s_barrier
	buffer_gl0_inv
	v_cmp_eq_u32_e32 vcc_lo, 1, v78
	ds_store_b128 v76, v[4:7]
	s_waitcnt lgkmcnt(0)
	s_barrier
	buffer_gl0_inv
	ds_load_b128 v[1:4], v82
	ds_load_b128 v[5:8], v82 offset:16
	v_cmp_eq_u32_e64 s3, 1, v79
	v_cmp_eq_u32_e64 s4, 2, v78
	;; [unrolled: 1-line block ×5, first 2 shown]
	s_waitcnt lgkmcnt(1)
	v_lshrrev_b32_e32 v9, 16, v1
	s_waitcnt lgkmcnt(0)
	v_lshrrev_b32_e32 v13, 16, v5
	v_lshrrev_b32_e32 v10, 16, v2
	;; [unrolled: 1-line block ×4, first 2 shown]
	v_cndmask_b32_e64 v19, v1, v9, s3
	v_cndmask_b32_e32 v18, v5, v13, vcc_lo
	v_cndmask_b32_e64 v20, v5, v13, s3
	v_cndmask_b32_e32 v17, v1, v9, vcc_lo
	v_cmp_eq_u32_e32 vcc_lo, 2, v79
	v_lshrrev_b32_e32 v15, 16, v7
	v_cmp_eq_u32_e64 s3, 1, v77
	v_lshrrev_b32_e32 v12, 16, v4
	v_lshrrev_b32_e32 v16, 16, v8
	v_cndmask_b32_e32 v20, v20, v6, vcc_lo
	v_cndmask_b32_e64 v17, v17, v2, s4
	v_cndmask_b32_e32 v19, v19, v2, vcc_lo
	v_cndmask_b32_e64 v18, v18, v6, s4
	v_cmp_eq_u32_e32 vcc_lo, 4, v78
	v_cmp_eq_u32_e64 s4, 3, v79
	v_cndmask_b32_e64 v17, v17, v10, s5
	v_cndmask_b32_e64 v21, v1, v9, s3
	;; [unrolled: 1-line block ×5, first 2 shown]
	v_cndmask_b32_e32 v17, v17, v3, vcc_lo
	v_cndmask_b32_e64 v20, v20, v14, s4
	v_cndmask_b32_e32 v18, v18, v7, vcc_lo
	v_cmp_eq_u32_e32 vcc_lo, 4, v79
	v_cmp_eq_u32_e64 s4, 5, v79
	v_cmp_eq_u32_e64 s3, 2, v81
	v_cndmask_b32_e64 v21, v21, v2, s7
	v_cmp_eq_u32_e64 s5, 5, v78
	v_cndmask_b32_e32 v19, v19, v3, vcc_lo
	v_cndmask_b32_e32 v20, v20, v7, vcc_lo
	v_cmp_eq_u32_e32 vcc_lo, 6, v79
	s_delay_alu instid0(VALU_DEP_4) | instskip(NEXT) | instid1(VALU_DEP_4)
	v_cndmask_b32_e64 v17, v17, v11, s5
	v_cndmask_b32_e64 v19, v19, v11, s4
	s_delay_alu instid0(VALU_DEP_4) | instskip(SKIP_1) | instid1(VALU_DEP_3)
	v_cndmask_b32_e64 v20, v20, v15, s4
	v_cmp_eq_u32_e64 s4, 1, v81
	v_cndmask_b32_e32 v19, v19, v4, vcc_lo
	v_cndmask_b32_e64 v18, v18, v15, s5
	s_delay_alu instid0(VALU_DEP_3)
	v_cndmask_b32_e64 v1, v1, v9, s4
	v_cndmask_b32_e64 v5, v5, v13, s4
	v_cmp_eq_u32_e64 s4, 3, v77
	v_cndmask_b32_e64 v13, v22, v6, s7
	v_cmp_eq_u32_e64 s7, 3, v81
	v_cndmask_b32_e64 v1, v1, v2, s3
	v_cndmask_b32_e64 v2, v5, v6, s3
	;; [unrolled: 1-line block ×3, first 2 shown]
	v_cmp_eq_u32_e64 s3, 4, v77
	v_cndmask_b32_e64 v6, v13, v14, s4
	v_cndmask_b32_e64 v1, v1, v10, s7
	v_cmp_eq_u32_e64 s4, 4, v81
	v_cndmask_b32_e64 v2, v2, v14, s7
	v_cndmask_b32_e64 v5, v9, v3, s3
	v_cmp_eq_u32_e64 s7, 5, v77
	v_cndmask_b32_e64 v6, v6, v7, s3
	v_cndmask_b32_e64 v1, v1, v3, s4
	v_cndmask_b32_e64 v2, v2, v7, s4
	v_cmp_eq_u32_e64 s3, 5, v81
	v_cmp_eq_u32_e64 s5, 6, v78
	v_cndmask_b32_e64 v5, v5, v11, s7
	v_cmp_eq_u32_e64 s4, 6, v77
	v_cndmask_b32_e64 v3, v6, v15, s7
	v_cndmask_b32_e64 v1, v1, v11, s3
	v_cmp_eq_u32_e64 s7, 6, v81
	v_cndmask_b32_e64 v2, v2, v15, s3
	v_cndmask_b32_e64 v17, v17, v4, s5
	v_cndmask_b32_e64 v18, v18, v8, s5
	v_cmp_eq_u32_e64 s5, 7, v78
	v_cndmask_b32_e64 v5, v5, v4, s4
	;; [unrolled: 4-line block ×3, first 2 shown]
	v_cmp_eq_u32_e64 s4, 7, v77
	v_cndmask_b32_e32 v4, v20, v8, vcc_lo
	v_cndmask_b32_e64 v17, v17, v12, s5
	v_cndmask_b32_e64 v19, v19, v12, s6
	;; [unrolled: 1-line block ×8, first 2 shown]
	s_mov_b32 s3, exec_lo
	v_perm_b32 v4, v2, v1, 0x5040100
	v_perm_b32 v3, v3, v5, 0x5040100
	;; [unrolled: 1-line block ×4, first 2 shown]
	ds_store_b128 v76, v[1:4]
	s_waitcnt lgkmcnt(0)
	s_barrier
	buffer_gl0_inv
	v_cmpx_gt_u32_e32 32, v0
	s_cbranch_execz .LBB1658_2
; %bb.111:
	s_load_b64 s[4:5], s[0:1], 0x68
	v_lshlrev_b32_e32 v0, 10, v0
	v_lshlrev_b32_e32 v1, 4, v75
	s_lshl_b32 s0, s34, 7
	v_add_nc_u32_e32 v18, s31, v74
	s_mul_i32 s1, s0, s30
	s_delay_alu instid0(VALU_DEP_2) | instskip(SKIP_1) | instid1(VALU_DEP_2)
	v_and_or_b32 v0, 0x3800, v0, v1
	s_mul_i32 s6, s1, s8
	v_mul_lo_u32 v1, v18, s0
	s_ashr_i32 s7, s6, 31
	v_add_nc_u32_e32 v2, 2, v18
	v_lshl_or_b32 v19, v74, 6, v0
	s_lshl_b64 s[6:7], s[6:7], 1
	v_add_nc_u32_e32 v8, 4, v18
	v_add_nc_u32_e32 v15, 6, v18
	v_mul_lo_u32 v7, v2, s0
	ds_load_b128 v[3:6], v19
	v_ashrrev_i32_e32 v2, 31, v1
	v_mul_lo_u32 v11, v8, s0
	s_waitcnt lgkmcnt(0)
	s_add_u32 s1, s4, s6
	s_addc_u32 s3, s5, s7
	s_lshl_b32 s4, s14, 7
	v_lshlrev_b64 v[9:10], 1, v[1:2]
	s_ashr_i32 s5, s4, 31
	v_ashrrev_i32_e32 v8, 31, v7
	s_lshl_b64 s[4:5], s[4:5], 1
	v_ashrrev_i32_e32 v12, 31, v11
	s_add_u32 s1, s1, s4
	s_addc_u32 s3, s3, s5
	v_add_co_u32 v1, s1, s1, v73
	s_delay_alu instid0(VALU_DEP_1) | instskip(SKIP_1) | instid1(VALU_DEP_3)
	v_add_co_ci_u32_e64 v2, null, s3, 0, s1
	v_mul_lo_u32 v15, v15, s0
	v_add_co_u32 v13, vcc_lo, v1, v9
	s_delay_alu instid0(VALU_DEP_3)
	v_add_co_ci_u32_e32 v14, vcc_lo, v2, v10, vcc_lo
	v_lshlrev_b64 v[16:17], 1, v[7:8]
	ds_load_b128 v[7:10], v19 offset:128
	global_store_b128 v[13:14], v[3:6], off
	v_add_nc_u32_e32 v5, 8, v18
	v_lshlrev_b64 v[3:4], 1, v[11:12]
	v_add_co_u32 v23, vcc_lo, v1, v16
	v_ashrrev_i32_e32 v16, 31, v15
	s_delay_alu instid0(VALU_DEP_4) | instskip(SKIP_3) | instid1(VALU_DEP_3)
	v_mul_lo_u32 v25, v5, s0
	v_add_nc_u32_e32 v5, 10, v18
	v_add_co_ci_u32_e32 v24, vcc_lo, v2, v17, vcc_lo
	v_add_co_u32 v27, vcc_lo, v1, v3
	v_mul_lo_u32 v29, v5, s0
	v_add_co_ci_u32_e32 v28, vcc_lo, v2, v4, vcc_lo
	v_lshlrev_b64 v[31:32], 1, v[15:16]
	ds_load_b128 v[3:6], v19 offset:256
	ds_load_b128 v[11:14], v19 offset:384
	;; [unrolled: 1-line block ×4, first 2 shown]
	v_ashrrev_i32_e32 v26, 31, v25
	v_ashrrev_i32_e32 v30, 31, v29
	v_add_co_u32 v31, vcc_lo, v1, v31
	s_delay_alu instid0(VALU_DEP_3) | instskip(SKIP_1) | instid1(VALU_DEP_4)
	v_lshlrev_b64 v[25:26], 1, v[25:26]
	v_add_co_ci_u32_e32 v32, vcc_lo, v2, v32, vcc_lo
	v_lshlrev_b64 v[29:30], 1, v[29:30]
	s_delay_alu instid0(VALU_DEP_3) | instskip(NEXT) | instid1(VALU_DEP_4)
	v_add_co_u32 v25, vcc_lo, v1, v25
	v_add_co_ci_u32_e32 v26, vcc_lo, v2, v26, vcc_lo
	s_delay_alu instid0(VALU_DEP_3) | instskip(NEXT) | instid1(VALU_DEP_4)
	v_add_co_u32 v29, vcc_lo, v1, v29
	v_add_co_ci_u32_e32 v30, vcc_lo, v2, v30, vcc_lo
	s_waitcnt lgkmcnt(4)
	global_store_b128 v[23:24], v[7:10], off
	s_waitcnt lgkmcnt(3)
	global_store_b128 v[27:28], v[3:6], off
	;; [unrolled: 2-line block ×5, first 2 shown]
	s_and_b32 exec_lo, exec_lo, s2
	s_cbranch_execz .LBB1658_2
; %bb.112:
	ds_load_b128 v[3:6], v0 offset:768
	s_add_i32 s1, s31, 12
	s_delay_alu instid0(SALU_CYCLE_1) | instskip(NEXT) | instid1(SALU_CYCLE_1)
	s_mul_i32 s0, s1, s0
	s_ashr_i32 s1, s0, 31
	s_delay_alu instid0(SALU_CYCLE_1) | instskip(NEXT) | instid1(SALU_CYCLE_1)
	s_lshl_b64 s[0:1], s[0:1], 1
	v_add_co_u32 v0, vcc_lo, v1, s0
	v_add_co_ci_u32_e32 v1, vcc_lo, s1, v2, vcc_lo
	s_waitcnt lgkmcnt(0)
	global_store_b128 v[0:1], v[3:6], off
	s_nop 0
	s_sendmsg sendmsg(MSG_DEALLOC_VGPRS)
	s_endpgm
	.section	.rodata,"a",@progbits
	.p2align	6, 0x0
	.amdhsa_kernel _Z39paged_attention_ll4mi_QKV_mfma16_kernelI14__hip_bfloat16hLN4vllm18Fp8KVCacheDataTypeE1ES0_Li32ELi128ELi256ELb0ELi13EL8MFMAType1EEvPKT_PKT0_S9_ifPKiSB_SB_iPKfiiiPfSE_PS4_PT2_iSD_SD_
		.amdhsa_group_segment_fixed_size 17472
		.amdhsa_private_segment_fixed_size 0
		.amdhsa_kernarg_size 400
		.amdhsa_user_sgpr_count 13
		.amdhsa_user_sgpr_dispatch_ptr 0
		.amdhsa_user_sgpr_queue_ptr 0
		.amdhsa_user_sgpr_kernarg_segment_ptr 1
		.amdhsa_user_sgpr_dispatch_id 0
		.amdhsa_user_sgpr_private_segment_size 0
		.amdhsa_wavefront_size32 1
		.amdhsa_uses_dynamic_stack 0
		.amdhsa_enable_private_segment 0
		.amdhsa_system_sgpr_workgroup_id_x 1
		.amdhsa_system_sgpr_workgroup_id_y 1
		.amdhsa_system_sgpr_workgroup_id_z 1
		.amdhsa_system_sgpr_workgroup_info 0
		.amdhsa_system_vgpr_workitem_id 0
		.amdhsa_next_free_vgpr 140
		.amdhsa_next_free_sgpr 36
		.amdhsa_reserve_vcc 1
		.amdhsa_float_round_mode_32 0
		.amdhsa_float_round_mode_16_64 0
		.amdhsa_float_denorm_mode_32 3
		.amdhsa_float_denorm_mode_16_64 3
		.amdhsa_dx10_clamp 1
		.amdhsa_ieee_mode 1
		.amdhsa_fp16_overflow 0
		.amdhsa_workgroup_processor_mode 1
		.amdhsa_memory_ordered 1
		.amdhsa_forward_progress 0
		.amdhsa_shared_vgpr_count 0
		.amdhsa_exception_fp_ieee_invalid_op 0
		.amdhsa_exception_fp_denorm_src 0
		.amdhsa_exception_fp_ieee_div_zero 0
		.amdhsa_exception_fp_ieee_overflow 0
		.amdhsa_exception_fp_ieee_underflow 0
		.amdhsa_exception_fp_ieee_inexact 0
		.amdhsa_exception_int_div_zero 0
	.end_amdhsa_kernel
	.section	.text._Z39paged_attention_ll4mi_QKV_mfma16_kernelI14__hip_bfloat16hLN4vllm18Fp8KVCacheDataTypeE1ES0_Li32ELi128ELi256ELb0ELi13EL8MFMAType1EEvPKT_PKT0_S9_ifPKiSB_SB_iPKfiiiPfSE_PS4_PT2_iSD_SD_,"axG",@progbits,_Z39paged_attention_ll4mi_QKV_mfma16_kernelI14__hip_bfloat16hLN4vllm18Fp8KVCacheDataTypeE1ES0_Li32ELi128ELi256ELb0ELi13EL8MFMAType1EEvPKT_PKT0_S9_ifPKiSB_SB_iPKfiiiPfSE_PS4_PT2_iSD_SD_,comdat
.Lfunc_end1658:
	.size	_Z39paged_attention_ll4mi_QKV_mfma16_kernelI14__hip_bfloat16hLN4vllm18Fp8KVCacheDataTypeE1ES0_Li32ELi128ELi256ELb0ELi13EL8MFMAType1EEvPKT_PKT0_S9_ifPKiSB_SB_iPKfiiiPfSE_PS4_PT2_iSD_SD_, .Lfunc_end1658-_Z39paged_attention_ll4mi_QKV_mfma16_kernelI14__hip_bfloat16hLN4vllm18Fp8KVCacheDataTypeE1ES0_Li32ELi128ELi256ELb0ELi13EL8MFMAType1EEvPKT_PKT0_S9_ifPKiSB_SB_iPKfiiiPfSE_PS4_PT2_iSD_SD_
                                        ; -- End function
	.section	.AMDGPU.csdata,"",@progbits
; Kernel info:
; codeLenInByte = 9100
; NumSgprs: 38
; NumVgprs: 140
; ScratchSize: 0
; MemoryBound: 0
; FloatMode: 240
; IeeeMode: 1
; LDSByteSize: 17472 bytes/workgroup (compile time only)
; SGPRBlocks: 4
; VGPRBlocks: 17
; NumSGPRsForWavesPerEU: 38
; NumVGPRsForWavesPerEU: 140
; Occupancy: 10
; WaveLimiterHint : 1
; COMPUTE_PGM_RSRC2:SCRATCH_EN: 0
; COMPUTE_PGM_RSRC2:USER_SGPR: 13
; COMPUTE_PGM_RSRC2:TRAP_HANDLER: 0
; COMPUTE_PGM_RSRC2:TGID_X_EN: 1
; COMPUTE_PGM_RSRC2:TGID_Y_EN: 1
; COMPUTE_PGM_RSRC2:TGID_Z_EN: 1
; COMPUTE_PGM_RSRC2:TIDIG_COMP_CNT: 0
	.section	.text._Z39paged_attention_ll4mi_QKV_mfma16_kernelI14__hip_bfloat16hLN4vllm18Fp8KVCacheDataTypeE1ES0_Li32ELi128ELi256ELb0ELi14EL8MFMAType1EEvPKT_PKT0_S9_ifPKiSB_SB_iPKfiiiPfSE_PS4_PT2_iSD_SD_,"axG",@progbits,_Z39paged_attention_ll4mi_QKV_mfma16_kernelI14__hip_bfloat16hLN4vllm18Fp8KVCacheDataTypeE1ES0_Li32ELi128ELi256ELb0ELi14EL8MFMAType1EEvPKT_PKT0_S9_ifPKiSB_SB_iPKfiiiPfSE_PS4_PT2_iSD_SD_,comdat
	.protected	_Z39paged_attention_ll4mi_QKV_mfma16_kernelI14__hip_bfloat16hLN4vllm18Fp8KVCacheDataTypeE1ES0_Li32ELi128ELi256ELb0ELi14EL8MFMAType1EEvPKT_PKT0_S9_ifPKiSB_SB_iPKfiiiPfSE_PS4_PT2_iSD_SD_ ; -- Begin function _Z39paged_attention_ll4mi_QKV_mfma16_kernelI14__hip_bfloat16hLN4vllm18Fp8KVCacheDataTypeE1ES0_Li32ELi128ELi256ELb0ELi14EL8MFMAType1EEvPKT_PKT0_S9_ifPKiSB_SB_iPKfiiiPfSE_PS4_PT2_iSD_SD_
	.globl	_Z39paged_attention_ll4mi_QKV_mfma16_kernelI14__hip_bfloat16hLN4vllm18Fp8KVCacheDataTypeE1ES0_Li32ELi128ELi256ELb0ELi14EL8MFMAType1EEvPKT_PKT0_S9_ifPKiSB_SB_iPKfiiiPfSE_PS4_PT2_iSD_SD_
	.p2align	8
	.type	_Z39paged_attention_ll4mi_QKV_mfma16_kernelI14__hip_bfloat16hLN4vllm18Fp8KVCacheDataTypeE1ES0_Li32ELi128ELi256ELb0ELi14EL8MFMAType1EEvPKT_PKT0_S9_ifPKiSB_SB_iPKfiiiPfSE_PS4_PT2_iSD_SD_,@function
_Z39paged_attention_ll4mi_QKV_mfma16_kernelI14__hip_bfloat16hLN4vllm18Fp8KVCacheDataTypeE1ES0_Li32ELi128ELi256ELb0ELi14EL8MFMAType1EEvPKT_PKT0_S9_ifPKiSB_SB_iPKfiiiPfSE_PS4_PT2_iSD_SD_: ; @_Z39paged_attention_ll4mi_QKV_mfma16_kernelI14__hip_bfloat16hLN4vllm18Fp8KVCacheDataTypeE1ES0_Li32ELi128ELi256ELb0ELi14EL8MFMAType1EEvPKT_PKT0_S9_ifPKiSB_SB_iPKfiiiPfSE_PS4_PT2_iSD_SD_
; %bb.0:
	s_load_b64 s[4:5], s[0:1], 0x30
	s_mov_b32 s30, s13
	s_waitcnt lgkmcnt(0)
	s_cmp_lg_u64 s[4:5], 0
	s_cselect_b32 s13, -1, 0
	s_ashr_i32 s31, s30, 31
	s_cmp_eq_u64 s[4:5], 0
	s_cbranch_scc1 .LBB1659_3
; %bb.1:
	s_lshl_b64 s[2:3], s[30:31], 2
	s_delay_alu instid0(SALU_CYCLE_1) | instskip(SKIP_4) | instid1(SALU_CYCLE_1)
	s_add_u32 s2, s4, s2
	s_addc_u32 s3, s5, s3
	s_load_b64 s[2:3], s[2:3], 0x0
	s_waitcnt lgkmcnt(0)
	s_sub_i32 s2, s3, s2
	s_cmp_eq_u32 s2, 1
	s_cselect_b32 s2, -1, 0
	s_delay_alu instid0(SALU_CYCLE_1)
	s_and_not1_b32 vcc_lo, exec_lo, s2
	s_cbranch_vccz .LBB1659_4
.LBB1659_2:
	s_endpgm
.LBB1659_3:
.LBB1659_4:
	s_load_b64 s[2:3], s[0:1], 0x28
	s_lshl_b64 s[6:7], s[30:31], 2
	s_waitcnt lgkmcnt(0)
	s_add_u32 s2, s2, s6
	s_addc_u32 s3, s3, s7
	s_lshl_b32 s12, s14, 8
	s_load_b32 s17, s[2:3], 0x0
	s_waitcnt lgkmcnt(0)
	s_cmp_ge_i32 s12, s17
	s_cbranch_scc1 .LBB1659_2
; %bb.5:
	s_clause 0x1
	s_load_b128 s[8:11], s[0:1], 0x8
	s_load_b64 s[2:3], s[0:1], 0x20
	s_and_not1_b32 vcc_lo, exec_lo, s13
	s_cbranch_vccnz .LBB1659_7
; %bb.6:
	s_add_u32 s4, s4, s6
	s_addc_u32 s5, s5, s7
	s_load_b32 s13, s[4:5], 0x0
	s_branch .LBB1659_8
.LBB1659_7:
	s_mov_b32 s13, s30
.LBB1659_8:
	s_load_b128 s[4:7], s[0:1], 0x48
	v_and_b32_e32 v65, 15, v0
	v_lshrrev_b32_e32 v66, 5, v0
	v_and_b32_e32 v67, 31, v0
	v_and_b32_e32 v75, 1, v0
	v_bfe_u32 v74, v0, 4, 1
	v_lshlrev_b32_e32 v1, 3, v65
	s_mul_i32 s29, s15, 14
	s_waitcnt lgkmcnt(0)
	s_mov_b32 s7, exec_lo
	s_delay_alu instid0(VALU_DEP_1)
	v_lshlrev_b32_e32 v73, 1, v1
	v_cmpx_gt_u32_e32 0xe0, v0
	s_cbranch_execz .LBB1659_10
; %bb.9:
	s_load_b64 s[18:19], s[0:1], 0x0
	v_lshl_or_b32 v5, v66, 1, v74
	s_mul_hi_i32 s21, s13, s4
	s_mul_i32 s20, s13, s4
	v_lshlrev_b32_e32 v6, 10, v65
	s_lshl_b64 s[20:21], s[20:21], 1
	v_add_lshl_u32 v1, v5, s29, 7
	v_lshlrev_b32_e32 v5, 6, v5
	v_lshlrev_b32_e32 v7, 10, v75
	v_and_b32_e32 v6, 0x3800, v6
	s_delay_alu instid0(VALU_DEP_4) | instskip(NEXT) | instid1(VALU_DEP_2)
	v_ashrrev_i32_e32 v2, 31, v1
	v_or3_b32 v5, v6, v7, v5
	s_delay_alu instid0(VALU_DEP_2) | instskip(SKIP_3) | instid1(VALU_DEP_1)
	v_lshlrev_b64 v[1:2], 1, v[1:2]
	s_waitcnt lgkmcnt(0)
	s_add_u32 s4, s18, s20
	s_addc_u32 s13, s19, s21
	v_add_co_u32 v1, vcc_lo, s4, v1
	s_delay_alu instid0(VALU_DEP_2) | instskip(NEXT) | instid1(VALU_DEP_2)
	v_add_co_ci_u32_e32 v2, vcc_lo, s13, v2, vcc_lo
	v_add_co_u32 v1, vcc_lo, v1, v73
	s_delay_alu instid0(VALU_DEP_2)
	v_add_co_ci_u32_e32 v2, vcc_lo, 0, v2, vcc_lo
	global_load_b128 v[1:4], v[1:2], off
	s_waitcnt vmcnt(0)
	ds_store_b128 v5, v[1:4]
.LBB1659_10:
	s_or_b32 exec_lo, exec_lo, s7
	v_and_b32_e32 v1, 0xef, v0
	s_add_i32 s4, s17, 31
	s_clause 0x1
	s_load_b32 s7, s[0:1], 0x38
	s_load_b32 s18, s[0:1], 0x1c
	s_ashr_i32 s13, s4, 31
	v_add_nc_u32_e32 v1, s12, v1
	s_lshr_b32 s13, s13, 27
	s_waitcnt lgkmcnt(0)
	s_add_i32 s4, s4, s13
	s_barrier
	v_ashrrev_i32_e32 v2, 31, v1
	v_or_b32_e32 v3, 16, v1
	s_ashr_i32 s4, s4, 5
	v_cmp_gt_i32_e32 vcc_lo, s17, v1
	s_add_i32 s4, s4, -1
	v_lshrrev_b32_e32 v2, 27, v2
	buffer_gl0_inv
	s_mul_i32 s15, s15, s6
	v_add_nc_u32_e32 v4, v1, v2
	s_mul_i32 s20, s30, s7
	s_delay_alu instid0(SALU_CYCLE_1) | instskip(NEXT) | instid1(VALU_DEP_1)
	s_ashr_i32 s21, s20, 31
	v_ashrrev_i32_e32 v4, 5, v4
	v_add_nc_u32_e32 v2, v3, v2
	s_lshl_b64 s[20:21], s[20:21], 2
	s_delay_alu instid0(SALU_CYCLE_1) | instskip(NEXT) | instid1(VALU_DEP_2)
	s_add_u32 s13, s2, s20
	v_cndmask_b32_e32 v1, s4, v4, vcc_lo
	s_delay_alu instid0(VALU_DEP_2)
	v_ashrrev_i32_e32 v2, 5, v2
	v_cmp_gt_i32_e32 vcc_lo, s17, v3
	s_addc_u32 s16, s3, s21
	s_ashr_i32 s19, s15, 31
	s_add_u32 s2, s8, s15
	s_addc_u32 s3, s9, s19
	v_cndmask_b32_e32 v3, s4, v2, vcc_lo
	v_ashrrev_i32_e32 v2, 31, v1
	s_lshl_b32 s6, s14, 3
	s_delay_alu instid0(SALU_CYCLE_1) | instskip(NEXT) | instid1(VALU_DEP_2)
	s_ashr_i32 s7, s6, 31
	v_ashrrev_i32_e32 v4, 31, v3
	s_delay_alu instid0(VALU_DEP_2) | instskip(SKIP_1) | instid1(SALU_CYCLE_1)
	v_lshlrev_b64 v[1:2], 2, v[1:2]
	s_lshl_b64 s[6:7], s[6:7], 2
	s_add_u32 s6, s13, s6
	s_delay_alu instid0(VALU_DEP_2) | instskip(SKIP_1) | instid1(VALU_DEP_2)
	v_lshlrev_b64 v[3:4], 2, v[3:4]
	s_addc_u32 s7, s16, s7
	v_add_co_u32 v1, vcc_lo, s13, v1
	v_add_co_ci_u32_e32 v2, vcc_lo, s16, v2, vcc_lo
	s_delay_alu instid0(VALU_DEP_3) | instskip(NEXT) | instid1(VALU_DEP_4)
	v_add_co_u32 v3, vcc_lo, s13, v3
	v_add_co_ci_u32_e32 v4, vcc_lo, s16, v4, vcc_lo
	s_clause 0x1
	global_load_b32 v5, v[1:2], off
	global_load_b32 v6, v[3:4], off
	s_or_b32 s8, s12, 32
	s_delay_alu instid0(SALU_CYCLE_1) | instskip(SKIP_2) | instid1(SALU_CYCLE_1)
	s_ashr_i32 s9, s8, 5
	s_cmp_lt_i32 s8, s17
	s_cselect_b32 s8, s9, s4
	s_ashr_i32 s9, s8, 31
	s_delay_alu instid0(SALU_CYCLE_1) | instskip(NEXT) | instid1(SALU_CYCLE_1)
	s_lshl_b64 s[8:9], s[8:9], 2
	s_add_u32 s8, s13, s8
	s_addc_u32 s9, s16, s9
	s_or_b32 s20, s12, 64
	s_delay_alu instid0(SALU_CYCLE_1) | instskip(SKIP_2) | instid1(SALU_CYCLE_1)
	s_ashr_i32 s21, s20, 5
	s_cmp_lt_i32 s20, s17
	s_cselect_b32 s20, s21, s4
	s_ashr_i32 s21, s20, 31
	s_delay_alu instid0(SALU_CYCLE_1) | instskip(NEXT) | instid1(SALU_CYCLE_1)
	s_lshl_b64 s[20:21], s[20:21], 2
	s_add_u32 s20, s13, s20
	s_addc_u32 s21, s16, s21
	;; [unrolled: 10-line block ×5, first 2 shown]
	s_clause 0x5
	s_load_b32 s28, s[6:7], 0x0
	s_load_b32 s8, s[8:9], 0x0
	;; [unrolled: 1-line block ×6, first 2 shown]
	s_mov_b32 s20, 0
	s_delay_alu instid0(SALU_CYCLE_1)
	s_mov_b32 s21, s20
	s_mov_b32 s22, s20
	;; [unrolled: 1-line block ×7, first 2 shown]
	s_delay_alu instid0(SALU_CYCLE_1)
	v_dual_mov_b32 v107, s27 :: v_dual_mov_b32 v106, s26
	v_dual_mov_b32 v104, s24 :: v_dual_mov_b32 v103, s23
	;; [unrolled: 1-line block ×3, first 2 shown]
	v_mov_b32_e32 v100, s20
	s_waitcnt vmcnt(1)
	v_mad_i64_i32 v[1:2], null, v5, s5, s[2:3]
	v_lshlrev_b32_e32 v5, 4, v65
	s_waitcnt vmcnt(0)
	v_mad_i64_i32 v[3:4], null, v6, s5, s[2:3]
	s_or_b32 s2, s12, 0xc0
	s_delay_alu instid0(SALU_CYCLE_1) | instskip(NEXT) | instid1(VALU_DEP_3)
	s_ashr_i32 s3, s2, 5
	v_add_co_u32 v33, vcc_lo, v1, v5
	s_delay_alu instid0(VALU_DEP_4) | instskip(NEXT) | instid1(VALU_DEP_3)
	v_add_co_ci_u32_e32 v34, vcc_lo, 0, v2, vcc_lo
	v_add_co_u32 v35, vcc_lo, v3, v5
	s_delay_alu instid0(VALU_DEP_4)
	v_add_co_ci_u32_e32 v36, vcc_lo, 0, v4, vcc_lo
	s_clause 0xf
	global_load_b128 v[1:4], v[33:34], off
	global_load_b128 v[5:8], v[33:34], off offset:512
	global_load_b128 v[9:12], v[35:36], off offset:256
	;; [unrolled: 1-line block ×15, first 2 shown]
	s_cmp_lt_i32 s2, s17
	v_add_nc_u32_e32 v33, -14, v65
	s_cselect_b32 s2, s3, s4
	v_cmp_gt_u32_e32 vcc_lo, 14, v65
	s_ashr_i32 s3, s2, 31
	v_lshlrev_b32_e32 v34, 5, v65
	s_lshl_b64 s[2:3], s[2:3], 2
	s_delay_alu instid0(SALU_CYCLE_1)
	s_add_u32 s2, s13, s2
	s_addc_u32 s3, s16, s3
	s_or_b32 s6, s12, 0xe0
	v_cndmask_b32_e32 v33, v33, v65, vcc_lo
	s_ashr_i32 s7, s6, 5
	s_cmp_lt_i32 s6, s17
	v_mov_b32_e32 v105, s25
	s_cselect_b32 s6, s7, s4
	v_lshlrev_b32_e32 v72, 6, v33
	s_ashr_i32 s7, s6, 31
	v_lshl_or_b32 v41, v66, 9, v34
	s_lshl_b64 s[6:7], s[6:7], 2
	ds_load_b128 v[33:36], v72
	ds_load_b128 v[37:40], v72 offset:1024
	ds_load_b128 v[108:111], v72 offset:2048
	;; [unrolled: 1-line block ×3, first 2 shown]
	s_load_b32 s4, s[2:3], 0x0
	s_add_u32 s2, s13, s6
	s_addc_u32 s3, s16, s7
	ds_load_b128 v[116:119], v72 offset:4096
	ds_load_b128 v[120:123], v72 offset:5120
	s_load_b32 s2, s[2:3], 0x0
	s_add_u32 s6, s10, s15
	s_addc_u32 s7, s11, s19
	v_add_co_u32 v68, s6, s6, v41
	s_delay_alu instid0(VALU_DEP_1) | instskip(SKIP_1) | instid1(VALU_DEP_1)
	v_add_co_ci_u32_e64 v69, null, s7, 0, s6
	s_waitcnt lgkmcnt(0)
	v_mad_i64_i32 v[41:42], null, s28, s5, v[68:69]
	v_mad_i64_i32 v[70:71], null, s9, s5, v[68:69]
	;; [unrolled: 1-line block ×7, first 2 shown]
	s_clause 0x3
	global_load_b128 v[49:52], v[41:42], off
	global_load_b128 v[53:56], v[41:42], off offset:16
	global_load_b128 v[41:44], v[45:46], off
	global_load_b128 v[45:48], v[45:46], off offset:16
	s_waitcnt vmcnt(18)
	v_wmma_f32_16x16x16_bf16 v[124:131], v[1:8], v[33:40], v[100:107]
	s_waitcnt vmcnt(16)
	v_wmma_f32_16x16x16_bf16 v[100:107], v[9:16], v[33:40], v[100:107]
	s_clause 0x1
	global_load_b128 v[33:36], v[70:71], off
	global_load_b128 v[37:40], v[70:71], off offset:16
	v_mad_i64_i32 v[70:71], null, s2, s5, v[68:69]
	s_waitcnt vmcnt(16)
	v_wmma_f32_16x16x16_bf16 v[124:131], v[17:24], v[108:115], v[124:131]
	s_waitcnt vmcnt(14)
	v_wmma_f32_16x16x16_bf16 v[100:107], v[25:32], v[108:115], v[100:107]
	s_clause 0x7
	global_load_b128 v[25:28], v[132:133], off
	global_load_b128 v[29:32], v[132:133], off offset:16
	global_load_b128 v[1:4], v[134:135], off
	global_load_b128 v[5:8], v[134:135], off offset:16
	;; [unrolled: 2-line block ×4, first 2 shown]
	s_waitcnt vmcnt(20)
	v_wmma_f32_16x16x16_bf16 v[124:131], v[57:64], v[116:123], v[124:131]
	s_clause 0x1
	global_load_b128 v[57:60], v[70:71], off
	global_load_b128 v[61:64], v[70:71], off offset:16
	s_waitcnt vmcnt(20)
	v_wmma_f32_16x16x16_bf16 v[100:107], v[76:83], v[116:123], v[100:107]
	ds_load_b128 v[76:79], v72 offset:6144
	ds_load_b128 v[80:83], v72 offset:7168
	v_and_b32_e32 v68, 0xe0, v0
	v_mbcnt_lo_u32_b32 v69, -1, 0
	s_waitcnt vmcnt(0) lgkmcnt(0)
	s_barrier
	buffer_gl0_inv
	v_add_nc_u32_e32 v68, s12, v68
	v_xor_b32_e32 v70, 16, v69
	s_delay_alu instid0(VALU_DEP_2) | instskip(NEXT) | instid1(VALU_DEP_2)
	v_or_b32_e32 v68, v68, v74
	v_cmp_gt_i32_e32 vcc_lo, 32, v70
	s_delay_alu instid0(VALU_DEP_2)
	v_or_b32_e32 v71, 4, v68
	v_or_b32_e32 v72, 6, v68
	v_cmp_gt_i32_e64 s2, s17, v68
	v_or_b32_e32 v108, 8, v68
	v_wmma_f32_16x16x16_bf16 v[124:131], v[84:91], v[76:83], v[124:131]
	v_cndmask_b32_e32 v69, v69, v70, vcc_lo
	v_or_b32_e32 v70, 2, v68
	v_wmma_f32_16x16x16_bf16 v[100:107], v[92:99], v[76:83], v[100:107]
	v_or_b32_e32 v109, 10, v68
	v_dual_mul_f32 v80, s18, v129 :: v_dual_mul_f32 v81, s18, v128
	v_dual_mul_f32 v92, s18, v125 :: v_dual_mul_f32 v93, s18, v124
	s_delay_alu instid0(VALU_DEP_4)
	v_mul_f32_e32 v96, s18, v105
	v_cmp_gt_i32_e32 vcc_lo, s17, v70
	v_or_b32_e32 v89, 22, v68
	v_dual_mul_f32 v79, s18, v130 :: v_dual_mul_f32 v82, s18, v127
	v_dual_mul_f32 v83, s18, v126 :: v_dual_mul_f32 v94, s18, v107
	v_cndmask_b32_e64 v93, 0xff7fffff, v93, s2
	v_cndmask_b32_e32 v92, 0xff7fffff, v92, vcc_lo
	v_cmp_gt_i32_e64 s3, s17, v71
	v_cmp_gt_i32_e64 s4, s17, v72
	v_or_b32_e32 v84, 12, v68
	v_or_b32_e32 v85, 14, v68
	v_cmp_gt_i32_e64 s5, s17, v108
	v_cndmask_b32_e64 v71, 0xff7fffff, v83, s3
	v_cndmask_b32_e64 v72, 0xff7fffff, v82, s4
	v_cmp_gt_i32_e64 s6, s17, v109
	v_cmp_gt_i32_e64 s12, s17, v89
	v_lshlrev_b32_e32 v89, 2, v69
	v_max3_f32 v82, v93, 0xff7fffff, v92
	v_or_b32_e32 v86, 16, v68
	v_or_b32_e32 v87, 18, v68
	v_mul_f32_e32 v78, s18, v131
	v_cndmask_b32_e64 v81, 0xff7fffff, v81, s5
	v_cndmask_b32_e64 v80, 0xff7fffff, v80, s6
	v_max3_f32 v71, v82, v71, v72
	v_cmp_gt_i32_e64 s7, s17, v84
	v_cmp_gt_i32_e64 s8, s17, v85
	v_or_b32_e32 v88, 20, v68
	v_or_b32_e32 v90, 24, v68
	;; [unrolled: 1-line block ×5, first 2 shown]
	v_dual_mul_f32 v97, s18, v104 :: v_dual_mul_f32 v70, s18, v101
	v_dual_mul_f32 v99, s18, v102 :: v_dual_mul_f32 v68, s18, v100
	v_cndmask_b32_e64 v72, 0xff7fffff, v79, s7
	v_cndmask_b32_e64 v78, 0xff7fffff, v78, s8
	v_max3_f32 v71, v71, v81, v80
	v_cmp_gt_i32_e64 s9, s17, v86
	v_cmp_gt_i32_e64 s10, s17, v87
	v_dual_mul_f32 v95, s18, v106 :: v_dual_mul_f32 v98, s18, v103
	s_delay_alu instid0(VALU_DEP_4) | instskip(NEXT) | instid1(VALU_DEP_4)
	v_max3_f32 v71, v71, v72, v78
	v_cndmask_b32_e64 v68, 0xff7fffff, v68, s9
	s_delay_alu instid0(VALU_DEP_4)
	v_cndmask_b32_e64 v70, 0xff7fffff, v70, s10
	v_cmp_gt_i32_e64 s11, s17, v88
	v_cndmask_b32_e64 v78, 0xff7fffff, v98, s12
	v_cmp_gt_i32_e64 s13, s17, v90
	v_cmp_gt_i32_e64 s15, s17, v91
	v_max3_f32 v68, v71, v68, v70
	v_cndmask_b32_e64 v72, 0xff7fffff, v99, s11
	v_cmp_gt_i32_e64 s16, s17, v76
	v_cndmask_b32_e64 v70, 0xff7fffff, v97, s13
	v_cndmask_b32_e64 v71, 0xff7fffff, v96, s15
	v_cmp_gt_i32_e64 s17, s17, v77
	v_max3_f32 v68, v68, v72, v78
	v_cndmask_b32_e64 v72, 0xff7fffff, v95, s16
	s_delay_alu instid0(VALU_DEP_3) | instskip(NEXT) | instid1(VALU_DEP_3)
	v_cndmask_b32_e64 v76, 0xff7fffff, v94, s17
	v_max3_f32 v68, v68, v70, v71
	s_delay_alu instid0(VALU_DEP_1) | instskip(SKIP_3) | instid1(VALU_DEP_1)
	v_max3_f32 v68, v68, v72, v76
	ds_bpermute_b32 v69, v89, v68
	s_waitcnt lgkmcnt(0)
	v_max_f32_e32 v69, v69, v69
	v_max_f32_e32 v68, v68, v69
	s_delay_alu instid0(VALU_DEP_1) | instskip(NEXT) | instid1(VALU_DEP_1)
	v_fma_f32 v71, s18, v126, -v68
	v_mul_f32_e32 v71, 0x3fb8aa3b, v71
	v_fma_f32 v70, s18, v125, -v68
	v_fma_f32 v69, s18, v124, -v68
	;; [unrolled: 1-line block ×5, first 2 shown]
	s_delay_alu instid0(VALU_DEP_4) | instskip(SKIP_1) | instid1(VALU_DEP_3)
	v_dual_mul_f32 v70, 0x3fb8aa3b, v70 :: v_dual_mul_f32 v69, 0x3fb8aa3b, v69
	v_exp_f32_e32 v71, v71
	v_mul_f32_e32 v72, 0x3fb8aa3b, v72
	v_fma_f32 v81, s18, v105, -v68
	s_delay_alu instid0(VALU_DEP_3)
	v_exp_f32_e32 v70, v70
	v_mul_f32_e32 v77, 0x3fb8aa3b, v76
	v_exp_f32_e32 v69, v69
	v_exp_f32_e32 v72, v72
	v_mul_f32_e32 v81, 0x3fb8aa3b, v81
	v_cndmask_b32_e64 v83, 0, v71, s3
	v_fma_f32 v71, s18, v131, -v68
	s_delay_alu instid0(VALU_DEP_3) | instskip(SKIP_4) | instid1(TRANS32_DEP_3)
	v_exp_f32_e32 v81, v81
	v_cndmask_b32_e32 v76, 0, v70, vcc_lo
	v_exp_f32_e32 v77, v77
	v_cndmask_b32_e64 v80, 0, v69, s2
	v_fma_f32 v69, s18, v129, -v68
	v_cndmask_b32_e64 v85, 0, v72, s4
	v_mul_f32_e32 v71, 0x3fb8aa3b, v71
	v_fma_f32 v72, s18, v100, -v68
	s_delay_alu instid0(VALU_DEP_4) | instskip(SKIP_1) | instid1(VALU_DEP_3)
	v_dual_add_f32 v70, 0, v80 :: v_dual_mul_f32 v69, 0x3fb8aa3b, v69
	s_mov_b32 s2, exec_lo
	v_exp_f32_e32 v71, v71
	s_delay_alu instid0(TRANS32_DEP_2) | instskip(SKIP_4) | instid1(VALU_DEP_3)
	v_cndmask_b32_e64 v86, 0, v77, s5
	v_fma_f32 v77, s18, v101, -v68
	v_mul_f32_e32 v78, 0x3fb8aa3b, v78
	v_add_f32_e32 v70, v70, v76
	v_exp_f32_e32 v69, v69
	v_mul_f32_e32 v77, 0x3fb8aa3b, v77
	s_delay_alu instid0(VALU_DEP_3) | instskip(NEXT) | instid1(TRANS32_DEP_3)
	v_exp_f32_e32 v78, v78
	v_cndmask_b32_e64 v88, 0, v71, s8
	v_fma_f32 v71, s18, v104, -v68
	s_delay_alu instid0(VALU_DEP_3) | instskip(NEXT) | instid1(TRANS32_DEP_3)
	v_exp_f32_e32 v77, v77
	v_cndmask_b32_e64 v87, 0, v69, s6
	s_delay_alu instid0(VALU_DEP_2)
	v_mul_f32_e32 v71, 0x3fb8aa3b, v71
	s_waitcnt_depctr 0xfff
	v_cndmask_b32_e64 v84, 0, v78, s7
	v_add_f32_e32 v70, v70, v83
	v_fma_f32 v78, s18, v103, -v68
	v_exp_f32_e32 v82, v71
	s_delay_alu instid0(VALU_DEP_2) | instskip(SKIP_1) | instid1(VALU_DEP_3)
	v_add_f32_e32 v70, v70, v85
	v_mul_f32_e32 v72, 0x3fb8aa3b, v72
	v_mul_f32_e32 v78, 0x3fb8aa3b, v78
	s_delay_alu instid0(VALU_DEP_3) | instskip(SKIP_1) | instid1(VALU_DEP_4)
	v_add_f32_e32 v69, v70, v86
	v_fma_f32 v70, s18, v102, -v68
	v_exp_f32_e32 v72, v72
	s_delay_alu instid0(VALU_DEP_3) | instskip(NEXT) | instid1(VALU_DEP_1)
	v_exp_f32_e32 v78, v78
	v_dual_add_f32 v69, v69, v87 :: v_dual_mul_f32 v70, 0x3fb8aa3b, v70
	s_delay_alu instid0(VALU_DEP_1) | instskip(NEXT) | instid1(VALU_DEP_2)
	v_add_f32_e32 v69, v69, v84
	v_exp_f32_e32 v79, v70
	s_delay_alu instid0(TRANS32_DEP_3) | instskip(NEXT) | instid1(VALU_DEP_2)
	v_cndmask_b32_e64 v70, 0, v72, s9
	v_add_f32_e32 v72, v69, v88
	v_cndmask_b32_e64 v69, 0, v77, s10
	v_fma_f32 v77, s18, v106, -v68
	s_waitcnt_depctr 0xfff
	v_cndmask_b32_e64 v71, 0, v79, s11
	v_dual_mul_f32 v77, 0x3fb8aa3b, v77 :: v_dual_add_f32 v72, v72, v70
	s_delay_alu instid0(VALU_DEP_1) | instskip(NEXT) | instid1(VALU_DEP_1)
	v_exp_f32_e32 v90, v77
	v_add_f32_e32 v79, v72, v69
	v_cndmask_b32_e64 v72, 0, v78, s12
	v_cndmask_b32_e64 v77, 0, v82, s13
	s_delay_alu instid0(VALU_DEP_3) | instskip(SKIP_1) | instid1(VALU_DEP_1)
	v_add_f32_e32 v78, v79, v71
	v_fma_f32 v79, s18, v107, -v68
	v_dual_add_f32 v82, v78, v72 :: v_dual_mul_f32 v79, 0x3fb8aa3b, v79
	v_cndmask_b32_e64 v78, 0, v81, s15
	s_delay_alu instid0(VALU_DEP_2) | instskip(NEXT) | instid1(VALU_DEP_3)
	v_add_f32_e32 v81, v82, v77
	v_exp_f32_e32 v82, v79
	v_cndmask_b32_e64 v79, 0, v90, s16
	s_delay_alu instid0(VALU_DEP_2) | instskip(NEXT) | instid1(VALU_DEP_1)
	v_add_f32_e32 v81, v81, v78
	v_add_f32_e32 v90, v81, v79
	s_waitcnt_depctr 0xfff
	v_cndmask_b32_e64 v81, 0, v82, s17
	s_delay_alu instid0(VALU_DEP_1)
	v_add_f32_e32 v82, v90, v81
	ds_bpermute_b32 v89, v89, v82
	v_cmpx_gt_u32_e32 16, v67
	s_cbranch_execz .LBB1659_12
; %bb.11:
	v_mul_u32_u24_e32 v67, 0x44, v66
	s_delay_alu instid0(VALU_DEP_1) | instskip(SKIP_1) | instid1(VALU_DEP_1)
	v_lshl_add_u32 v67, v65, 2, v67
	s_waitcnt lgkmcnt(0)
	v_dual_add_f32 v82, v82, v89 :: v_dual_add_nc_u32 v67, 0x4000, v67
	ds_store_2addr_b32 v67, v68, v82 offset1:136
.LBB1659_12:
	s_or_b32 exec_lo, exec_lo, s2
	v_lshlrev_b32_e32 v67, 2, v65
	s_waitcnt lgkmcnt(0)
	s_barrier
	buffer_gl0_inv
	v_cmp_eq_u32_e32 vcc_lo, 1, v66
	v_add_nc_u32_e32 v82, 0x4000, v67
	v_cmp_eq_u32_e64 s2, 2, v66
	v_cmp_eq_u32_e64 s4, 7, v66
	ds_load_2addr_b32 v[89:90], v82 offset1:17
	ds_load_2addr_b32 v[91:92], v82 offset0:34 offset1:51
	ds_load_2addr_b32 v[93:94], v82 offset0:68 offset1:85
	;; [unrolled: 1-line block ×4, first 2 shown]
	s_waitcnt lgkmcnt(4)
	v_max3_f32 v67, v89, 0xff7fffff, v90
	s_waitcnt lgkmcnt(3)
	s_delay_alu instid0(VALU_DEP_1) | instskip(SKIP_1) | instid1(VALU_DEP_1)
	v_max3_f32 v67, v67, v91, v92
	s_waitcnt lgkmcnt(2)
	v_max3_f32 v67, v67, v93, v94
	s_waitcnt lgkmcnt(1)
	s_delay_alu instid0(VALU_DEP_1) | instskip(NEXT) | instid1(VALU_DEP_1)
	v_max3_f32 v67, v67, v95, v96
	v_sub_f32_e32 v93, v93, v67
	s_delay_alu instid0(VALU_DEP_1) | instskip(NEXT) | instid1(VALU_DEP_1)
	v_dual_sub_f32 v68, v89, v67 :: v_dual_mul_f32 v103, 0x3fb8aa3b, v93
	v_mul_f32_e32 v68, 0x3fb8aa3b, v68
	s_delay_alu instid0(VALU_DEP_1)
	v_exp_f32_e32 v100, v68
	v_sub_f32_e32 v68, v92, v67
	v_sub_f32_e32 v99, v90, v67
	ds_load_2addr_b32 v[89:90], v82 offset0:170 offset1:187
	v_dual_mul_f32 v102, 0x3fb8aa3b, v68 :: v_dual_mul_f32 v99, 0x3fb8aa3b, v99
	s_waitcnt lgkmcnt(1)
	v_fma_f32 v68, v100, v97, 0
	s_delay_alu instid0(VALU_DEP_2) | instskip(NEXT) | instid1(VALU_DEP_2)
	v_exp_f32_e32 v102, v102
	v_exp_f32_e32 v99, v99
	s_waitcnt_depctr 0xfff
	v_fmac_f32_e32 v68, v99, v98
	v_sub_f32_e32 v91, v91, v67
	s_delay_alu instid0(VALU_DEP_1)
	v_mul_f32_e32 v101, 0x3fb8aa3b, v91
	ds_load_2addr_b32 v[91:92], v82 offset0:204 offset1:221
	v_sub_f32_e32 v97, v94, v67
	ds_load_2addr_b32 v[93:94], v82 offset0:238 offset1:255
	s_waitcnt lgkmcnt(0)
	v_exp_f32_e32 v101, v101
	s_barrier
	buffer_gl0_inv
	v_dual_fmac_f32 v68, v101, v89 :: v_dual_sub_f32 v89, v96, v67
	v_dual_sub_f32 v82, v95, v67 :: v_dual_mul_f32 v95, 0x3fb8aa3b, v97
	v_exp_f32_e32 v97, v103
	s_delay_alu instid0(VALU_DEP_2) | instskip(NEXT) | instid1(VALU_DEP_2)
	v_dual_fmac_f32 v68, v102, v90 :: v_dual_mul_f32 v89, 0x3fb8aa3b, v89
	v_mul_f32_e32 v82, 0x3fb8aa3b, v82
	s_delay_alu instid0(VALU_DEP_3) | instskip(NEXT) | instid1(VALU_DEP_2)
	v_exp_f32_e32 v95, v95
	v_exp_f32_e32 v89, v89
	s_delay_alu instid0(VALU_DEP_1)
	v_exp_f32_e32 v82, v82
	v_fmac_f32_e32 v68, v97, v91
	s_delay_alu instid0(TRANS32_DEP_3) | instid1(VALU_DEP_1)
	v_fmac_f32_e32 v68, v95, v92
	s_waitcnt_depctr 0xfff
	v_fmac_f32_e32 v68, v82, v93
	s_delay_alu instid0(VALU_DEP_1) | instskip(NEXT) | instid1(VALU_DEP_1)
	v_fmac_f32_e32 v68, v89, v94
	v_add_f32_e32 v90, 0x358637bd, v68
	s_delay_alu instid0(VALU_DEP_1) | instskip(NEXT) | instid1(VALU_DEP_1)
	v_div_scale_f32 v91, null, v90, v90, 1.0
	v_rcp_f32_e32 v92, v91
	s_waitcnt_depctr 0xfff
	v_fma_f32 v93, -v91, v92, 1.0
	s_delay_alu instid0(VALU_DEP_1) | instskip(SKIP_1) | instid1(VALU_DEP_2)
	v_dual_fmac_f32 v92, v93, v92 :: v_dual_cndmask_b32 v93, v100, v99
	v_cmp_eq_u32_e32 vcc_lo, 3, v66
	v_cndmask_b32_e64 v93, v93, v101, s2
	v_cmp_eq_u32_e64 s2, 4, v66
	s_delay_alu instid0(VALU_DEP_2) | instskip(SKIP_1) | instid1(VALU_DEP_2)
	v_cndmask_b32_e32 v93, v93, v102, vcc_lo
	v_cmp_eq_u32_e32 vcc_lo, 5, v66
	v_cndmask_b32_e64 v93, v93, v97, s2
	v_cmp_eq_u32_e64 s2, 6, v66
	s_delay_alu instid0(VALU_DEP_2) | instskip(SKIP_1) | instid1(VALU_DEP_1)
	v_cndmask_b32_e32 v93, v93, v95, vcc_lo
	v_div_scale_f32 v94, s3, 1.0, v90, 1.0
	s_mov_b32 vcc_lo, s3
	s_delay_alu instid0(VALU_DEP_2) | instskip(NEXT) | instid1(VALU_DEP_2)
	v_cndmask_b32_e64 v82, v93, v82, s2
	v_mul_f32_e32 v96, v94, v92
	s_mov_b32 s2, exec_lo
	s_delay_alu instid0(VALU_DEP_2) | instskip(NEXT) | instid1(VALU_DEP_2)
	v_cndmask_b32_e64 v82, v82, v89, s4
	v_fma_f32 v98, -v91, v96, v94
	s_delay_alu instid0(VALU_DEP_1) | instskip(NEXT) | instid1(VALU_DEP_1)
	v_fmac_f32_e32 v96, v98, v92
	v_fma_f32 v91, -v91, v96, v94
	s_delay_alu instid0(VALU_DEP_1) | instskip(NEXT) | instid1(VALU_DEP_1)
	v_div_fmas_f32 v91, v91, v92, v96
	v_div_fixup_f32 v90, v91, v90, 1.0
	s_delay_alu instid0(VALU_DEP_1) | instskip(NEXT) | instid1(VALU_DEP_1)
	v_mul_f32_e32 v82, v82, v90
	v_mul_f32_e32 v87, v82, v87
	;; [unrolled: 1-line block ×7, first 2 shown]
	v_dual_mul_f32 v86, v82, v83 :: v_dual_and_b32 v91, 0x7f800000, v90
	v_mul_f32_e32 v85, v82, v76
                                        ; implicit-def: $vgpr76
	s_delay_alu instid0(VALU_DEP_2)
	v_cmpx_ne_u32_e32 0x7f800000, v91
	s_xor_b32 s2, exec_lo, s2
; %bb.13:
	v_bfe_u32 v76, v90, 16, 1
	s_delay_alu instid0(VALU_DEP_1)
	v_add3_u32 v76, v90, v76, 0x7fff
                                        ; implicit-def: $vgpr90
; %bb.14:
	s_and_not1_saveexec_b32 s2, s2
; %bb.15:
	v_and_b32_e32 v76, 0xffff, v90
	v_or_b32_e32 v83, 0x10000, v90
	s_delay_alu instid0(VALU_DEP_2) | instskip(NEXT) | instid1(VALU_DEP_2)
	v_cmp_eq_u32_e32 vcc_lo, 0, v76
	v_cndmask_b32_e32 v76, v83, v90, vcc_lo
; %bb.16:
	s_or_b32 exec_lo, exec_lo, s2
	v_and_b32_e32 v83, 0x7f800000, v85
	s_delay_alu instid0(VALU_DEP_1) | instskip(SKIP_1) | instid1(SALU_CYCLE_1)
	v_cmp_ne_u32_e32 vcc_lo, 0x7f800000, v83
                                        ; implicit-def: $vgpr83
	s_and_saveexec_b32 s2, vcc_lo
	s_xor_b32 s2, exec_lo, s2
; %bb.17:
	v_bfe_u32 v83, v85, 16, 1
	s_delay_alu instid0(VALU_DEP_1)
	v_add3_u32 v83, v85, v83, 0x7fff
                                        ; implicit-def: $vgpr85
; %bb.18:
	s_and_not1_saveexec_b32 s2, s2
; %bb.19:
	v_and_b32_e32 v83, 0xffff, v85
	v_or_b32_e32 v90, 0x10000, v85
	s_delay_alu instid0(VALU_DEP_2) | instskip(NEXT) | instid1(VALU_DEP_2)
	v_cmp_eq_u32_e32 vcc_lo, 0, v83
	v_cndmask_b32_e32 v83, v90, v85, vcc_lo
; %bb.20:
	s_or_b32 exec_lo, exec_lo, s2
	v_and_b32_e32 v85, 0x7f800000, v86
	s_delay_alu instid0(VALU_DEP_1) | instskip(SKIP_1) | instid1(SALU_CYCLE_1)
	v_cmp_ne_u32_e32 vcc_lo, 0x7f800000, v85
                                        ; implicit-def: $vgpr85
	s_and_saveexec_b32 s2, vcc_lo
	s_xor_b32 s2, exec_lo, s2
; %bb.21:
	v_bfe_u32 v85, v86, 16, 1
	s_delay_alu instid0(VALU_DEP_1)
	v_add3_u32 v85, v86, v85, 0x7fff
                                        ; implicit-def: $vgpr86
; %bb.22:
	s_and_not1_saveexec_b32 s2, s2
; %bb.23:
	v_and_b32_e32 v85, 0xffff, v86
	v_or_b32_e32 v90, 0x10000, v86
	s_delay_alu instid0(VALU_DEP_2) | instskip(NEXT) | instid1(VALU_DEP_2)
	v_cmp_eq_u32_e32 vcc_lo, 0, v85
	v_cndmask_b32_e32 v85, v90, v86, vcc_lo
; %bb.24:
	s_or_b32 exec_lo, exec_lo, s2
	v_and_b32_e32 v86, 0x7f800000, v89
	s_delay_alu instid0(VALU_DEP_1) | instskip(SKIP_1) | instid1(SALU_CYCLE_1)
	v_cmp_ne_u32_e32 vcc_lo, 0x7f800000, v86
                                        ; implicit-def: $vgpr86
	s_and_saveexec_b32 s2, vcc_lo
	s_xor_b32 s2, exec_lo, s2
; %bb.25:
	v_bfe_u32 v86, v89, 16, 1
	s_delay_alu instid0(VALU_DEP_1)
	v_add3_u32 v86, v89, v86, 0x7fff
                                        ; implicit-def: $vgpr89
; %bb.26:
	s_and_not1_saveexec_b32 s2, s2
; %bb.27:
	v_and_b32_e32 v86, 0xffff, v89
	v_or_b32_e32 v90, 0x10000, v89
	s_delay_alu instid0(VALU_DEP_2) | instskip(NEXT) | instid1(VALU_DEP_2)
	v_cmp_eq_u32_e32 vcc_lo, 0, v86
	v_cndmask_b32_e32 v86, v90, v89, vcc_lo
; %bb.28:
	s_or_b32 exec_lo, exec_lo, s2
	v_and_b32_e32 v89, 0x7f800000, v88
	s_delay_alu instid0(VALU_DEP_1) | instskip(SKIP_1) | instid1(SALU_CYCLE_1)
	v_cmp_ne_u32_e32 vcc_lo, 0x7f800000, v89
                                        ; implicit-def: $vgpr89
	s_and_saveexec_b32 s2, vcc_lo
	s_xor_b32 s2, exec_lo, s2
; %bb.29:
	v_bfe_u32 v89, v88, 16, 1
	s_delay_alu instid0(VALU_DEP_1)
	v_add3_u32 v89, v88, v89, 0x7fff
                                        ; implicit-def: $vgpr88
; %bb.30:
	s_and_not1_saveexec_b32 s2, s2
; %bb.31:
	v_and_b32_e32 v89, 0xffff, v88
	v_or_b32_e32 v90, 0x10000, v88
	s_delay_alu instid0(VALU_DEP_2) | instskip(NEXT) | instid1(VALU_DEP_2)
	v_cmp_eq_u32_e32 vcc_lo, 0, v89
	v_cndmask_b32_e32 v89, v90, v88, vcc_lo
; %bb.32:
	s_or_b32 exec_lo, exec_lo, s2
	v_and_b32_e32 v88, 0x7f800000, v87
	s_delay_alu instid0(VALU_DEP_1) | instskip(SKIP_1) | instid1(SALU_CYCLE_1)
	v_cmp_ne_u32_e32 vcc_lo, 0x7f800000, v88
                                        ; implicit-def: $vgpr88
	s_and_saveexec_b32 s2, vcc_lo
	s_xor_b32 s2, exec_lo, s2
; %bb.33:
	v_bfe_u32 v88, v87, 16, 1
	s_delay_alu instid0(VALU_DEP_1)
	v_add3_u32 v88, v87, v88, 0x7fff
                                        ; implicit-def: $vgpr87
; %bb.34:
	s_and_not1_saveexec_b32 s2, s2
; %bb.35:
	v_and_b32_e32 v88, 0xffff, v87
	v_or_b32_e32 v90, 0x10000, v87
	s_delay_alu instid0(VALU_DEP_2) | instskip(NEXT) | instid1(VALU_DEP_2)
	v_cmp_eq_u32_e32 vcc_lo, 0, v88
	v_cndmask_b32_e32 v88, v90, v87, vcc_lo
; %bb.36:
	s_or_b32 exec_lo, exec_lo, s2
	v_and_b32_e32 v87, 0x7f800000, v84
	s_delay_alu instid0(VALU_DEP_1) | instskip(SKIP_1) | instid1(SALU_CYCLE_1)
	v_cmp_ne_u32_e32 vcc_lo, 0x7f800000, v87
                                        ; implicit-def: $vgpr87
	s_and_saveexec_b32 s2, vcc_lo
	s_xor_b32 s2, exec_lo, s2
; %bb.37:
	v_bfe_u32 v87, v84, 16, 1
	s_delay_alu instid0(VALU_DEP_1)
	v_add3_u32 v87, v84, v87, 0x7fff
                                        ; implicit-def: $vgpr84
; %bb.38:
	s_and_not1_saveexec_b32 s2, s2
; %bb.39:
	v_and_b32_e32 v87, 0xffff, v84
	v_or_b32_e32 v90, 0x10000, v84
	s_delay_alu instid0(VALU_DEP_2) | instskip(NEXT) | instid1(VALU_DEP_2)
	v_cmp_eq_u32_e32 vcc_lo, 0, v87
	v_cndmask_b32_e32 v87, v90, v84, vcc_lo
; %bb.40:
	s_or_b32 exec_lo, exec_lo, s2
	v_and_b32_e32 v84, 0x7f800000, v80
	s_delay_alu instid0(VALU_DEP_1) | instskip(SKIP_1) | instid1(SALU_CYCLE_1)
	v_cmp_ne_u32_e32 vcc_lo, 0x7f800000, v84
                                        ; implicit-def: $vgpr84
	s_and_saveexec_b32 s2, vcc_lo
	s_xor_b32 s2, exec_lo, s2
; %bb.41:
	v_bfe_u32 v84, v80, 16, 1
	s_delay_alu instid0(VALU_DEP_1)
	v_add3_u32 v84, v80, v84, 0x7fff
                                        ; implicit-def: $vgpr80
; %bb.42:
	s_and_not1_saveexec_b32 s2, s2
; %bb.43:
	v_and_b32_e32 v84, 0xffff, v80
	v_or_b32_e32 v90, 0x10000, v80
	s_delay_alu instid0(VALU_DEP_2) | instskip(NEXT) | instid1(VALU_DEP_2)
	v_cmp_eq_u32_e32 vcc_lo, 0, v84
	v_cndmask_b32_e32 v84, v90, v80, vcc_lo
; %bb.44:
	s_or_b32 exec_lo, exec_lo, s2
	s_load_b64 s[34:35], s[0:1], 0x94
	v_lshlrev_b32_e32 v91, 4, v74
	s_delay_alu instid0(VALU_DEP_2)
	v_perm_b32 v90, v84, v87, 0x7060302
	v_dual_mul_f32 v79, v82, v79 :: v_dual_lshlrev_b32 v80, 6, v65
	v_dual_mul_f32 v77, v82, v77 :: v_dual_lshlrev_b32 v92, 11, v66
	v_mul_f32_e32 v84, v82, v70
	v_perm_b32 v89, v88, v89, 0x7060302
	v_perm_b32 v88, v86, v85, 0x7060302
	v_perm_b32 v87, v83, v76, 0x7060302
	v_mul_f32_e32 v70, v82, v81
	v_or3_b32 v76, v91, v92, v80
	v_dual_mul_f32 v78, v82, v78 :: v_dual_and_b32 v85, 0x7f800000, v84
	v_mul_f32_e32 v83, v82, v72
	v_mul_f32_e32 v81, v82, v71
	;; [unrolled: 1-line block ×3, first 2 shown]
	s_mov_b32 s2, exec_lo
	ds_store_b128 v76, v[87:90]
                                        ; implicit-def: $vgpr69
	v_cmpx_ne_u32_e32 0x7f800000, v85
	s_xor_b32 s2, exec_lo, s2
; %bb.45:
	v_bfe_u32 v69, v84, 16, 1
	s_delay_alu instid0(VALU_DEP_1)
	v_add3_u32 v69, v84, v69, 0x7fff
                                        ; implicit-def: $vgpr84
; %bb.46:
	s_and_not1_saveexec_b32 s2, s2
; %bb.47:
	v_and_b32_e32 v69, 0xffff, v84
	v_or_b32_e32 v71, 0x10000, v84
	s_delay_alu instid0(VALU_DEP_2) | instskip(NEXT) | instid1(VALU_DEP_2)
	v_cmp_eq_u32_e32 vcc_lo, 0, v69
	v_cndmask_b32_e32 v69, v71, v84, vcc_lo
; %bb.48:
	s_or_b32 exec_lo, exec_lo, s2
	v_and_b32_e32 v71, 0x7f800000, v72
	s_delay_alu instid0(VALU_DEP_1) | instskip(SKIP_1) | instid1(SALU_CYCLE_1)
	v_cmp_ne_u32_e32 vcc_lo, 0x7f800000, v71
                                        ; implicit-def: $vgpr71
	s_and_saveexec_b32 s2, vcc_lo
	s_xor_b32 s2, exec_lo, s2
; %bb.49:
	v_bfe_u32 v71, v72, 16, 1
	s_delay_alu instid0(VALU_DEP_1)
	v_add3_u32 v71, v72, v71, 0x7fff
                                        ; implicit-def: $vgpr72
; %bb.50:
	s_and_not1_saveexec_b32 s2, s2
; %bb.51:
	v_and_b32_e32 v71, 0xffff, v72
	v_or_b32_e32 v82, 0x10000, v72
	s_delay_alu instid0(VALU_DEP_2) | instskip(NEXT) | instid1(VALU_DEP_2)
	v_cmp_eq_u32_e32 vcc_lo, 0, v71
	v_cndmask_b32_e32 v71, v82, v72, vcc_lo
; %bb.52:
	s_or_b32 exec_lo, exec_lo, s2
	v_and_b32_e32 v72, 0x7f800000, v81
	s_delay_alu instid0(VALU_DEP_1) | instskip(SKIP_1) | instid1(SALU_CYCLE_1)
	v_cmp_ne_u32_e32 vcc_lo, 0x7f800000, v72
                                        ; implicit-def: $vgpr72
	s_and_saveexec_b32 s2, vcc_lo
	s_xor_b32 s2, exec_lo, s2
; %bb.53:
	v_bfe_u32 v72, v81, 16, 1
	s_delay_alu instid0(VALU_DEP_1)
	v_add3_u32 v72, v81, v72, 0x7fff
                                        ; implicit-def: $vgpr81
; %bb.54:
	s_and_not1_saveexec_b32 s2, s2
; %bb.55:
	v_and_b32_e32 v72, 0xffff, v81
	v_or_b32_e32 v82, 0x10000, v81
	s_delay_alu instid0(VALU_DEP_2) | instskip(NEXT) | instid1(VALU_DEP_2)
	v_cmp_eq_u32_e32 vcc_lo, 0, v72
	v_cndmask_b32_e32 v72, v82, v81, vcc_lo
; %bb.56:
	s_or_b32 exec_lo, exec_lo, s2
	v_and_b32_e32 v81, 0x7f800000, v83
	s_delay_alu instid0(VALU_DEP_1) | instskip(SKIP_1) | instid1(SALU_CYCLE_1)
	v_cmp_ne_u32_e32 vcc_lo, 0x7f800000, v81
                                        ; implicit-def: $vgpr81
	s_and_saveexec_b32 s2, vcc_lo
	s_xor_b32 s2, exec_lo, s2
; %bb.57:
	v_bfe_u32 v81, v83, 16, 1
	s_delay_alu instid0(VALU_DEP_1)
	v_add3_u32 v81, v83, v81, 0x7fff
                                        ; implicit-def: $vgpr83
; %bb.58:
	s_and_not1_saveexec_b32 s2, s2
; %bb.59:
	v_and_b32_e32 v81, 0xffff, v83
	v_or_b32_e32 v82, 0x10000, v83
	s_delay_alu instid0(VALU_DEP_2) | instskip(NEXT) | instid1(VALU_DEP_2)
	v_cmp_eq_u32_e32 vcc_lo, 0, v81
	v_cndmask_b32_e32 v81, v82, v83, vcc_lo
; %bb.60:
	s_or_b32 exec_lo, exec_lo, s2
	v_and_b32_e32 v82, 0x7f800000, v77
	s_delay_alu instid0(VALU_DEP_1) | instskip(SKIP_1) | instid1(SALU_CYCLE_1)
	v_cmp_ne_u32_e32 vcc_lo, 0x7f800000, v82
                                        ; implicit-def: $vgpr82
	s_and_saveexec_b32 s2, vcc_lo
	s_xor_b32 s2, exec_lo, s2
; %bb.61:
	v_bfe_u32 v82, v77, 16, 1
	s_delay_alu instid0(VALU_DEP_1)
	v_add3_u32 v82, v77, v82, 0x7fff
                                        ; implicit-def: $vgpr77
; %bb.62:
	s_and_not1_saveexec_b32 s2, s2
; %bb.63:
	v_and_b32_e32 v82, 0xffff, v77
	v_or_b32_e32 v83, 0x10000, v77
	s_delay_alu instid0(VALU_DEP_2) | instskip(NEXT) | instid1(VALU_DEP_2)
	v_cmp_eq_u32_e32 vcc_lo, 0, v82
	v_cndmask_b32_e32 v82, v83, v77, vcc_lo
; %bb.64:
	s_or_b32 exec_lo, exec_lo, s2
	v_and_b32_e32 v77, 0x7f800000, v78
	s_delay_alu instid0(VALU_DEP_1) | instskip(SKIP_1) | instid1(SALU_CYCLE_1)
	v_cmp_ne_u32_e32 vcc_lo, 0x7f800000, v77
                                        ; implicit-def: $vgpr77
	s_and_saveexec_b32 s2, vcc_lo
	s_xor_b32 s2, exec_lo, s2
; %bb.65:
	v_bfe_u32 v77, v78, 16, 1
	s_delay_alu instid0(VALU_DEP_1)
	v_add3_u32 v77, v78, v77, 0x7fff
                                        ; implicit-def: $vgpr78
; %bb.66:
	s_and_not1_saveexec_b32 s2, s2
; %bb.67:
	v_and_b32_e32 v77, 0xffff, v78
	v_or_b32_e32 v83, 0x10000, v78
	s_delay_alu instid0(VALU_DEP_2) | instskip(NEXT) | instid1(VALU_DEP_2)
	v_cmp_eq_u32_e32 vcc_lo, 0, v77
	v_cndmask_b32_e32 v77, v83, v78, vcc_lo
; %bb.68:
	s_or_b32 exec_lo, exec_lo, s2
	v_and_b32_e32 v78, 0x7f800000, v79
	s_delay_alu instid0(VALU_DEP_1) | instskip(SKIP_1) | instid1(SALU_CYCLE_1)
	v_cmp_ne_u32_e32 vcc_lo, 0x7f800000, v78
                                        ; implicit-def: $vgpr78
	s_and_saveexec_b32 s2, vcc_lo
	s_xor_b32 s2, exec_lo, s2
; %bb.69:
	v_bfe_u32 v78, v79, 16, 1
	s_delay_alu instid0(VALU_DEP_1)
	v_add3_u32 v78, v79, v78, 0x7fff
                                        ; implicit-def: $vgpr79
; %bb.70:
	s_and_not1_saveexec_b32 s2, s2
; %bb.71:
	v_and_b32_e32 v78, 0xffff, v79
	v_or_b32_e32 v83, 0x10000, v79
	s_delay_alu instid0(VALU_DEP_2) | instskip(NEXT) | instid1(VALU_DEP_2)
	v_cmp_eq_u32_e32 vcc_lo, 0, v78
	v_cndmask_b32_e32 v78, v83, v79, vcc_lo
; %bb.72:
	s_or_b32 exec_lo, exec_lo, s2
	v_and_b32_e32 v79, 0x7f800000, v70
	s_delay_alu instid0(VALU_DEP_1) | instskip(SKIP_1) | instid1(SALU_CYCLE_1)
	v_cmp_ne_u32_e32 vcc_lo, 0x7f800000, v79
                                        ; implicit-def: $vgpr79
	s_and_saveexec_b32 s2, vcc_lo
	s_xor_b32 s2, exec_lo, s2
; %bb.73:
	v_bfe_u32 v79, v70, 16, 1
	s_delay_alu instid0(VALU_DEP_1)
	v_add3_u32 v79, v70, v79, 0x7fff
                                        ; implicit-def: $vgpr70
; %bb.74:
	s_and_not1_saveexec_b32 s2, s2
; %bb.75:
	v_and_b32_e32 v79, 0xffff, v70
	v_or_b32_e32 v83, 0x10000, v70
	s_delay_alu instid0(VALU_DEP_2) | instskip(NEXT) | instid1(VALU_DEP_2)
	v_cmp_eq_u32_e32 vcc_lo, 0, v79
	v_cndmask_b32_e32 v79, v83, v70, vcc_lo
; %bb.76:
	s_or_b32 exec_lo, exec_lo, s2
	s_delay_alu instid0(VALU_DEP_1)
	v_perm_b32 v86, v79, v78, 0x7060302
	v_perm_b32 v85, v77, v82, 0x7060302
	;; [unrolled: 1-line block ×4, first 2 shown]
	v_lshl_or_b32 v82, v66, 11, v80
	ds_store_b128 v76, v[83:86] offset:1024
	s_waitcnt lgkmcnt(0)
	s_barrier
	buffer_gl0_inv
	ds_load_b128 v[69:72], v82
	ds_load_b128 v[83:86], v82 offset:16
	s_waitcnt lgkmcnt(1)
	v_lshrrev_b32_e32 v66, 16, v69
	s_waitcnt lgkmcnt(0)
	v_lshrrev_b32_e32 v91, 16, v83
	v_lshlrev_b32_e32 v78, 2, v74
	v_lshrrev_b32_e32 v95, 16, v70
	v_lshrrev_b32_e32 v98, 16, v84
	;; [unrolled: 1-line block ×4, first 2 shown]
	v_cmp_eq_u32_e32 vcc_lo, 1, v78
	v_lshrrev_b32_e32 v97, 16, v72
	v_lshrrev_b32_e32 v100, 16, v86
	v_cndmask_b32_e32 v87, v83, v91, vcc_lo
	v_or_b32_e32 v79, 1, v78
	v_cndmask_b32_e32 v81, v69, v66, vcc_lo
	v_cmp_eq_u32_e64 s3, 2, v78
	v_cmp_eq_u32_e64 s6, 3, v78
	;; [unrolled: 1-line block ×5, first 2 shown]
	v_cndmask_b32_e64 v81, v81, v70, s3
	v_cndmask_b32_e64 v87, v87, v84, s3
	v_cmp_eq_u32_e64 s7, 3, v79
	v_cndmask_b32_e64 v88, v69, v66, s2
	v_or_b32_e32 v77, 2, v78
	v_cndmask_b32_e64 v81, v81, v95, s6
	v_cndmask_b32_e64 v87, v87, v98, s6
	;; [unrolled: 1-line block ×4, first 2 shown]
	v_cmp_eq_u32_e64 s9, 5, v78
	v_cndmask_b32_e64 v81, v81, v71, s8
	v_cndmask_b32_e64 v87, v87, v85, s8
	v_cmp_eq_u32_e64 s10, 4, v79
	v_cndmask_b32_e64 v88, v88, v95, s7
	v_cmp_eq_u32_e64 s4, 1, v77
	v_cndmask_b32_e64 v89, v89, v84, s5
	v_cndmask_b32_e64 v81, v81, v96, s9
	v_cmp_eq_u32_e64 s11, 6, v78
	v_cndmask_b32_e64 v88, v88, v71, s10
	;; [unrolled: 3-line block ×3, first 2 shown]
	v_cndmask_b32_e64 v89, v89, v98, s7
	v_cndmask_b32_e64 v81, v81, v72, s11
	v_cmp_eq_u32_e64 s13, 7, v78
	v_cndmask_b32_e64 v88, v88, v96, s12
	v_cndmask_b32_e64 v87, v87, v86, s11
	v_cmp_eq_u32_e64 s15, 6, v79
	v_cmp_eq_u32_e64 s16, 2, v77
	v_cndmask_b32_e64 v89, v89, v85, s10
	v_cndmask_b32_e64 v101, v81, v97, s13
	;; [unrolled: 1-line block ×6, first 2 shown]
	v_cmp_eq_u32_e64 s17, 7, v79
	v_cmp_eq_u32_e64 s18, 3, v77
	;; [unrolled: 1-line block ×4, first 2 shown]
	v_cndmask_b32_e64 v87, v87, v84, s16
	v_cndmask_b32_e64 v103, v88, v97, s17
	;; [unrolled: 1-line block ×4, first 2 shown]
	v_or_b32_e32 v81, 3, v78
	v_cndmask_b32_e64 v93, v87, v98, s18
	v_cmp_eq_u32_e64 s23, 6, v77
	v_cndmask_b32_e64 v104, v88, v86, s15
	v_cndmask_b32_e64 v92, v89, v71, s19
	v_cmp_eq_u32_e64 s20, 1, v81
	ds_load_b128 v[87:90], v82 offset:1024
	v_cmp_eq_u32_e64 s22, 2, v81
	v_cmp_eq_u32_e64 s24, 3, v81
	v_cndmask_b32_e64 v105, v92, v96, s21
	v_cndmask_b32_e64 v66, v69, v66, s20
	;; [unrolled: 1-line block ×4, first 2 shown]
	ds_load_b128 v[91:94], v82 offset:1040
	v_cmp_eq_u32_e64 s25, 4, v81
	v_cndmask_b32_e64 v66, v66, v70, s22
	v_cmp_eq_u32_e64 s26, 7, v77
	v_cndmask_b32_e64 v70, v83, v84, s22
	v_cndmask_b32_e64 v84, v105, v72, s23
	v_cmp_eq_u32_e64 s27, 5, v81
	v_cndmask_b32_e64 v66, v66, v95, s24
	v_cmp_eq_u32_e64 s28, 6, v81
	v_cndmask_b32_e64 v70, v70, v98, s24
	v_cndmask_b32_e64 v69, v69, v99, s21
	;; [unrolled: 1-line block ×4, first 2 shown]
	s_waitcnt lgkmcnt(1)
	v_lshrrev_b32_e32 v95, 16, v87
	v_cndmask_b32_e64 v70, v70, v85, s25
	v_cndmask_b32_e64 v71, v84, v97, s26
	;; [unrolled: 1-line block ×4, first 2 shown]
	v_cndmask_b32_e32 v84, v87, v95, vcc_lo
	v_cndmask_b32_e64 v70, v70, v99, s27
	s_waitcnt lgkmcnt(0)
	v_lshrrev_b32_e32 v85, 16, v91
	v_lshrrev_b32_e32 v96, 16, v88
	v_cndmask_b32_e64 v98, v87, v95, s2
	v_cndmask_b32_e64 v84, v84, v88, s3
	;; [unrolled: 1-line block ×3, first 2 shown]
	v_cndmask_b32_e32 v99, v91, v85, vcc_lo
	v_cmp_eq_u32_e32 vcc_lo, 7, v81
	v_cndmask_b32_e64 v66, v66, v72, s28
	v_cndmask_b32_e64 v72, v84, v96, s6
	;; [unrolled: 1-line block ×3, first 2 shown]
	v_lshrrev_b32_e32 v98, 16, v92
	v_cndmask_b32_e32 v70, v70, v100, vcc_lo
	v_cndmask_b32_e64 v86, v99, v92, s3
	v_cndmask_b32_e64 v69, v69, v100, s26
	v_lshrrev_b32_e32 v100, 16, v93
	v_cndmask_b32_e64 v72, v72, v89, s8
	v_lshrrev_b32_e32 v99, 16, v89
	v_cndmask_b32_e64 v86, v86, v98, s6
	v_perm_b32 v71, v69, v71, 0x5040100
	v_cndmask_b32_e64 v84, v84, v96, s7
	s_delay_alu instid0(VALU_DEP_3) | instskip(NEXT) | instid1(VALU_DEP_2)
	v_cndmask_b32_e64 v86, v86, v93, s8
	v_cndmask_b32_e64 v84, v84, v89, s10
	s_delay_alu instid0(VALU_DEP_2) | instskip(NEXT) | instid1(VALU_DEP_1)
	v_cndmask_b32_e64 v86, v86, v100, s9
	v_cndmask_b32_e64 v69, v86, v94, s11
	v_cndmask_b32_e64 v86, v87, v95, s4
	v_cndmask_b32_e64 v87, v87, v95, s20
	v_cndmask_b32_e64 v95, v91, v85, s20
	s_delay_alu instid0(VALU_DEP_3) | instskip(NEXT) | instid1(VALU_DEP_3)
	v_cndmask_b32_e64 v86, v86, v88, s16
	v_cndmask_b32_e64 v87, v87, v88, s22
	s_delay_alu instid0(VALU_DEP_3) | instskip(NEXT) | instid1(VALU_DEP_3)
	v_cndmask_b32_e64 v88, v95, v92, s22
	v_cndmask_b32_e64 v86, v86, v96, s18
	;; [unrolled: 3-line block ×7, first 2 shown]
	s_delay_alu instid0(VALU_DEP_3) | instskip(SKIP_2) | instid1(VALU_DEP_2)
	v_cndmask_b32_e64 v88, v88, v94, s28
	v_cndmask_b32_e32 v66, v66, v97, vcc_lo
	v_cndmask_b32_e64 v97, v72, v99, s9
	v_perm_b32 v72, v70, v66, 0x5040100
	v_perm_b32 v70, v83, v103, 0x5040100
	v_cndmask_b32_e64 v103, v91, v85, s4
	v_cndmask_b32_e64 v85, v91, v85, s2
	;; [unrolled: 1-line block ×4, first 2 shown]
	v_lshrrev_b32_e32 v97, 16, v90
	v_cndmask_b32_e64 v91, v103, v92, s16
	v_cndmask_b32_e64 v85, v85, v92, s5
	;; [unrolled: 1-line block ×3, first 2 shown]
	s_mov_b32 s2, exec_lo
	v_cndmask_b32_e64 v83, v84, v97, s13
	v_cndmask_b32_e64 v91, v91, v98, s18
	;; [unrolled: 1-line block ×3, first 2 shown]
	v_lshrrev_b32_e32 v84, 16, v94
	v_cndmask_b32_e64 v66, v66, v97, s17
	v_cndmask_b32_e64 v90, v86, v97, s26
	;; [unrolled: 1-line block ×4, first 2 shown]
	v_dual_cndmask_b32 v86, v87, v97 :: v_dual_cndmask_b32 v87, v88, v84
	v_cndmask_b32_e64 v91, v69, v84, s13
	s_delay_alu instid0(VALU_DEP_4) | instskip(NEXT) | instid1(VALU_DEP_4)
	v_cndmask_b32_e64 v89, v89, v100, s21
	v_cndmask_b32_e64 v85, v85, v100, s12
	v_perm_b32 v69, v102, v101, 0x5040100
	v_perm_b32 v86, v87, v86, 0x5040100
	;; [unrolled: 1-line block ×3, first 2 shown]
	v_cndmask_b32_e64 v89, v89, v94, s23
	v_cndmask_b32_e64 v85, v85, v94, s15
	s_mul_i32 s7, s35, 14
	s_delay_alu instid0(VALU_DEP_2) | instskip(NEXT) | instid1(VALU_DEP_2)
	v_cndmask_b32_e64 v88, v89, v84, s26
	v_cndmask_b32_e64 v89, v85, v84, s17
	s_delay_alu instid0(VALU_DEP_2) | instskip(NEXT) | instid1(VALU_DEP_2)
	v_perm_b32 v85, v88, v90, 0x5040100
	v_perm_b32 v84, v89, v66, 0x5040100
	ds_store_b128 v76, v[69:72]
	ds_store_b128 v76, v[83:86] offset:1024
	v_cmpx_gt_u32_e32 14, v0
	s_cbranch_execz .LBB1659_78
; %bb.77:
	s_mul_i32 s3, s7, s30
	s_load_b128 s[8:11], s[0:1], 0x58
	v_add3_u32 v69, s3, s29, v65
	s_delay_alu instid0(VALU_DEP_1) | instskip(NEXT) | instid1(VALU_DEP_1)
	v_mad_u64_u32 v[65:66], null, v69, s34, s[14:15]
	v_ashrrev_i32_e32 v66, 31, v65
	s_delay_alu instid0(VALU_DEP_1) | instskip(SKIP_1) | instid1(VALU_DEP_1)
	v_lshlrev_b64 v[65:66], 2, v[65:66]
	s_waitcnt lgkmcnt(0)
	v_add_co_u32 v69, vcc_lo, s10, v65
	s_delay_alu instid0(VALU_DEP_2)
	v_add_co_ci_u32_e32 v70, vcc_lo, s11, v66, vcc_lo
	v_add_co_u32 v65, vcc_lo, s8, v65
	v_add_co_ci_u32_e32 v66, vcc_lo, s9, v66, vcc_lo
	global_store_b32 v[69:70], v67, off
	global_store_b32 v[65:66], v68, off
.LBB1659_78:
	s_or_b32 exec_lo, exec_lo, s2
	s_waitcnt lgkmcnt(0)
	s_waitcnt_vscnt null, 0x0
	s_barrier
	buffer_gl0_inv
	ds_load_b128 v[83:86], v80
	ds_load_b128 v[87:90], v80 offset:16
	ds_load_b128 v[95:98], v80 offset:2064
	;; [unrolled: 1-line block ×3, first 2 shown]
	v_mov_b32_e32 v65, 0
	ds_load_b128 v[103:106], v80 offset:4112
	ds_load_b128 v[99:102], v80 offset:4096
	;; [unrolled: 1-line block ×4, first 2 shown]
	v_mov_b32_e32 v66, v65
	v_mov_b32_e32 v67, v65
	;; [unrolled: 1-line block ×7, first 2 shown]
	s_waitcnt lgkmcnt(6)
	s_delay_alu instid0(VALU_DEP_1)
	v_wmma_f32_16x16x16_bf16 v[65:72], v[49:56], v[83:90], v[65:72]
	ds_load_b128 v[53:56], v80 offset:8208
	ds_load_b128 v[49:52], v80 offset:8192
	s_waitcnt lgkmcnt(6)
	v_wmma_f32_16x16x16_bf16 v[65:72], v[41:48], v[91:98], v[65:72]
	ds_load_b128 v[45:48], v80 offset:10256
	ds_load_b128 v[41:44], v80 offset:10240
	s_waitcnt lgkmcnt(6)
	;; [unrolled: 4-line block ×4, first 2 shown]
	v_wmma_f32_16x16x16_bf16 v[65:72], v[1:8], v[49:56], v[65:72]
	s_waitcnt lgkmcnt(4)
	s_delay_alu instid0(VALU_DEP_1) | instskip(SKIP_1) | instid1(VALU_DEP_1)
	v_wmma_f32_16x16x16_bf16 v[65:72], v[9:16], v[41:48], v[65:72]
	s_waitcnt lgkmcnt(2)
	v_wmma_f32_16x16x16_bf16 v[65:72], v[17:24], v[33:40], v[65:72]
	s_waitcnt lgkmcnt(0)
	s_delay_alu instid0(VALU_DEP_1) | instskip(NEXT) | instid1(VALU_DEP_1)
	v_wmma_f32_16x16x16_bf16 v[65:72], v[57:64], v[25:32], v[65:72]
	v_and_b32_e32 v1, 0x7f800000, v65
	s_delay_alu instid0(VALU_DEP_1) | instskip(SKIP_1) | instid1(SALU_CYCLE_1)
	v_cmp_ne_u32_e32 vcc_lo, 0x7f800000, v1
                                        ; implicit-def: $vgpr1
	s_and_saveexec_b32 s2, vcc_lo
	s_xor_b32 s2, exec_lo, s2
; %bb.79:
	v_bfe_u32 v1, v65, 16, 1
	s_delay_alu instid0(VALU_DEP_1)
	v_add3_u32 v1, v65, v1, 0x7fff
; %bb.80:
	s_and_not1_saveexec_b32 s2, s2
; %bb.81:
	v_and_b32_e32 v1, 0xffff, v65
	v_or_b32_e32 v2, 0x10000, v65
	s_delay_alu instid0(VALU_DEP_2) | instskip(NEXT) | instid1(VALU_DEP_2)
	v_cmp_eq_u32_e32 vcc_lo, 0, v1
	v_cndmask_b32_e32 v1, v2, v65, vcc_lo
; %bb.82:
	s_or_b32 exec_lo, exec_lo, s2
	v_and_b32_e32 v2, 0x7f800000, v66
	s_delay_alu instid0(VALU_DEP_1) | instskip(SKIP_1) | instid1(SALU_CYCLE_1)
	v_cmp_ne_u32_e32 vcc_lo, 0x7f800000, v2
                                        ; implicit-def: $vgpr2
	s_and_saveexec_b32 s2, vcc_lo
	s_xor_b32 s2, exec_lo, s2
; %bb.83:
	v_bfe_u32 v2, v66, 16, 1
	s_delay_alu instid0(VALU_DEP_1)
	v_add3_u32 v2, v66, v2, 0x7fff
; %bb.84:
	s_and_not1_saveexec_b32 s2, s2
; %bb.85:
	v_and_b32_e32 v2, 0xffff, v66
	v_or_b32_e32 v3, 0x10000, v66
	s_delay_alu instid0(VALU_DEP_2) | instskip(NEXT) | instid1(VALU_DEP_2)
	v_cmp_eq_u32_e32 vcc_lo, 0, v2
	v_cndmask_b32_e32 v2, v3, v66, vcc_lo
; %bb.86:
	s_or_b32 exec_lo, exec_lo, s2
	v_and_b32_e32 v3, 0x7f800000, v67
	s_delay_alu instid0(VALU_DEP_1) | instskip(SKIP_1) | instid1(SALU_CYCLE_1)
	v_cmp_ne_u32_e32 vcc_lo, 0x7f800000, v3
                                        ; implicit-def: $vgpr3
	s_and_saveexec_b32 s2, vcc_lo
	s_xor_b32 s2, exec_lo, s2
; %bb.87:
	v_bfe_u32 v3, v67, 16, 1
	s_delay_alu instid0(VALU_DEP_1)
	v_add3_u32 v3, v67, v3, 0x7fff
; %bb.88:
	s_and_not1_saveexec_b32 s2, s2
; %bb.89:
	v_and_b32_e32 v3, 0xffff, v67
	v_or_b32_e32 v4, 0x10000, v67
	s_delay_alu instid0(VALU_DEP_2) | instskip(NEXT) | instid1(VALU_DEP_2)
	v_cmp_eq_u32_e32 vcc_lo, 0, v3
	v_cndmask_b32_e32 v3, v4, v67, vcc_lo
; %bb.90:
	s_or_b32 exec_lo, exec_lo, s2
	v_and_b32_e32 v4, 0x7f800000, v68
	s_delay_alu instid0(VALU_DEP_1) | instskip(SKIP_1) | instid1(SALU_CYCLE_1)
	v_cmp_ne_u32_e32 vcc_lo, 0x7f800000, v4
                                        ; implicit-def: $vgpr4
	s_and_saveexec_b32 s2, vcc_lo
	s_xor_b32 s2, exec_lo, s2
; %bb.91:
	v_bfe_u32 v4, v68, 16, 1
	s_delay_alu instid0(VALU_DEP_1)
	v_add3_u32 v4, v68, v4, 0x7fff
; %bb.92:
	s_and_not1_saveexec_b32 s2, s2
; %bb.93:
	v_and_b32_e32 v4, 0xffff, v68
	v_or_b32_e32 v5, 0x10000, v68
	s_delay_alu instid0(VALU_DEP_2) | instskip(NEXT) | instid1(VALU_DEP_2)
	v_cmp_eq_u32_e32 vcc_lo, 0, v4
	v_cndmask_b32_e32 v4, v5, v68, vcc_lo
; %bb.94:
	s_or_b32 exec_lo, exec_lo, s2
	v_and_b32_e32 v5, 0x7f800000, v69
	s_delay_alu instid0(VALU_DEP_1) | instskip(SKIP_1) | instid1(SALU_CYCLE_1)
	v_cmp_ne_u32_e32 vcc_lo, 0x7f800000, v5
                                        ; implicit-def: $vgpr5
	s_and_saveexec_b32 s2, vcc_lo
	s_xor_b32 s2, exec_lo, s2
; %bb.95:
	v_bfe_u32 v5, v69, 16, 1
	s_delay_alu instid0(VALU_DEP_1)
	v_add3_u32 v5, v69, v5, 0x7fff
; %bb.96:
	s_and_not1_saveexec_b32 s2, s2
; %bb.97:
	v_and_b32_e32 v5, 0xffff, v69
	v_or_b32_e32 v6, 0x10000, v69
	s_delay_alu instid0(VALU_DEP_2) | instskip(NEXT) | instid1(VALU_DEP_2)
	v_cmp_eq_u32_e32 vcc_lo, 0, v5
	v_cndmask_b32_e32 v5, v6, v69, vcc_lo
; %bb.98:
	s_or_b32 exec_lo, exec_lo, s2
	v_and_b32_e32 v6, 0x7f800000, v70
	s_delay_alu instid0(VALU_DEP_1) | instskip(SKIP_1) | instid1(SALU_CYCLE_1)
	v_cmp_ne_u32_e32 vcc_lo, 0x7f800000, v6
                                        ; implicit-def: $vgpr6
	s_and_saveexec_b32 s2, vcc_lo
	s_xor_b32 s2, exec_lo, s2
; %bb.99:
	v_bfe_u32 v6, v70, 16, 1
	s_delay_alu instid0(VALU_DEP_1)
	v_add3_u32 v6, v70, v6, 0x7fff
; %bb.100:
	s_and_not1_saveexec_b32 s2, s2
; %bb.101:
	v_and_b32_e32 v6, 0xffff, v70
	v_or_b32_e32 v7, 0x10000, v70
	s_delay_alu instid0(VALU_DEP_2) | instskip(NEXT) | instid1(VALU_DEP_2)
	v_cmp_eq_u32_e32 vcc_lo, 0, v6
	v_cndmask_b32_e32 v6, v7, v70, vcc_lo
; %bb.102:
	s_or_b32 exec_lo, exec_lo, s2
	v_and_b32_e32 v7, 0x7f800000, v71
	s_delay_alu instid0(VALU_DEP_1) | instskip(SKIP_1) | instid1(SALU_CYCLE_1)
	v_cmp_ne_u32_e32 vcc_lo, 0x7f800000, v7
                                        ; implicit-def: $vgpr7
	s_and_saveexec_b32 s2, vcc_lo
	s_xor_b32 s2, exec_lo, s2
; %bb.103:
	v_bfe_u32 v7, v71, 16, 1
	s_delay_alu instid0(VALU_DEP_1)
	v_add3_u32 v7, v71, v7, 0x7fff
; %bb.104:
	s_and_not1_saveexec_b32 s2, s2
; %bb.105:
	v_and_b32_e32 v7, 0xffff, v71
	v_or_b32_e32 v8, 0x10000, v71
	s_delay_alu instid0(VALU_DEP_2) | instskip(NEXT) | instid1(VALU_DEP_2)
	v_cmp_eq_u32_e32 vcc_lo, 0, v7
	v_cndmask_b32_e32 v7, v8, v71, vcc_lo
; %bb.106:
	s_or_b32 exec_lo, exec_lo, s2
	v_and_b32_e32 v8, 0x7f800000, v72
	s_delay_alu instid0(VALU_DEP_1) | instskip(SKIP_1) | instid1(SALU_CYCLE_1)
	v_cmp_ne_u32_e32 vcc_lo, 0x7f800000, v8
                                        ; implicit-def: $vgpr8
	s_and_saveexec_b32 s2, vcc_lo
	s_xor_b32 s2, exec_lo, s2
; %bb.107:
	v_bfe_u32 v8, v72, 16, 1
	s_delay_alu instid0(VALU_DEP_1)
	v_add3_u32 v8, v72, v8, 0x7fff
                                        ; implicit-def: $vgpr65_vgpr66_vgpr67_vgpr68_vgpr69_vgpr70_vgpr71_vgpr72
; %bb.108:
	s_and_not1_saveexec_b32 s2, s2
; %bb.109:
	v_and_b32_e32 v8, 0xffff, v72
	v_or_b32_e32 v9, 0x10000, v72
	s_delay_alu instid0(VALU_DEP_2) | instskip(NEXT) | instid1(VALU_DEP_2)
	v_cmp_eq_u32_e32 vcc_lo, 0, v8
	v_cndmask_b32_e32 v8, v9, v72, vcc_lo
; %bb.110:
	s_or_b32 exec_lo, exec_lo, s2
	s_delay_alu instid0(VALU_DEP_1)
	v_perm_b32 v7, v8, v7, 0x7060302
	v_perm_b32 v6, v6, v5, 0x7060302
	;; [unrolled: 1-line block ×4, first 2 shown]
	s_barrier
	buffer_gl0_inv
	v_cmp_eq_u32_e32 vcc_lo, 1, v78
	ds_store_b128 v76, v[4:7]
	s_waitcnt lgkmcnt(0)
	s_barrier
	buffer_gl0_inv
	ds_load_b128 v[1:4], v82
	ds_load_b128 v[5:8], v82 offset:16
	v_cmp_eq_u32_e64 s2, 1, v79
	v_cmp_eq_u32_e64 s3, 2, v78
	;; [unrolled: 1-line block ×5, first 2 shown]
	s_waitcnt lgkmcnt(1)
	v_lshrrev_b32_e32 v9, 16, v1
	s_waitcnt lgkmcnt(0)
	v_lshrrev_b32_e32 v13, 16, v5
	v_lshrrev_b32_e32 v10, 16, v2
	v_lshrrev_b32_e32 v14, 16, v6
	v_lshrrev_b32_e32 v11, 16, v3
	v_cndmask_b32_e64 v19, v1, v9, s2
	v_cndmask_b32_e32 v18, v5, v13, vcc_lo
	v_cndmask_b32_e64 v20, v5, v13, s2
	v_cndmask_b32_e32 v17, v1, v9, vcc_lo
	v_cmp_eq_u32_e32 vcc_lo, 2, v79
	v_lshrrev_b32_e32 v15, 16, v7
	v_cmp_eq_u32_e64 s2, 1, v77
	v_lshrrev_b32_e32 v12, 16, v4
	v_lshrrev_b32_e32 v16, 16, v8
	v_cndmask_b32_e32 v20, v20, v6, vcc_lo
	v_cndmask_b32_e64 v17, v17, v2, s3
	v_cndmask_b32_e32 v19, v19, v2, vcc_lo
	v_cndmask_b32_e64 v18, v18, v6, s3
	v_cmp_eq_u32_e32 vcc_lo, 4, v78
	v_cmp_eq_u32_e64 s3, 3, v79
	v_cndmask_b32_e64 v17, v17, v10, s4
	v_cndmask_b32_e64 v21, v1, v9, s2
	;; [unrolled: 1-line block ×5, first 2 shown]
	v_cndmask_b32_e32 v17, v17, v3, vcc_lo
	v_cndmask_b32_e64 v20, v20, v14, s3
	v_cndmask_b32_e32 v18, v18, v7, vcc_lo
	v_cmp_eq_u32_e32 vcc_lo, 4, v79
	v_cmp_eq_u32_e64 s3, 5, v79
	v_cmp_eq_u32_e64 s2, 2, v81
	v_cndmask_b32_e64 v21, v21, v2, s6
	v_cmp_eq_u32_e64 s4, 5, v78
	v_cndmask_b32_e32 v19, v19, v3, vcc_lo
	v_cndmask_b32_e32 v20, v20, v7, vcc_lo
	v_cmp_eq_u32_e32 vcc_lo, 6, v79
	s_delay_alu instid0(VALU_DEP_4) | instskip(NEXT) | instid1(VALU_DEP_4)
	v_cndmask_b32_e64 v17, v17, v11, s4
	v_cndmask_b32_e64 v19, v19, v11, s3
	s_delay_alu instid0(VALU_DEP_4) | instskip(SKIP_1) | instid1(VALU_DEP_3)
	v_cndmask_b32_e64 v20, v20, v15, s3
	v_cmp_eq_u32_e64 s3, 1, v81
	v_cndmask_b32_e32 v19, v19, v4, vcc_lo
	v_cndmask_b32_e64 v18, v18, v15, s4
	s_delay_alu instid0(VALU_DEP_3)
	v_cndmask_b32_e64 v1, v1, v9, s3
	v_cndmask_b32_e64 v5, v5, v13, s3
	v_cmp_eq_u32_e64 s3, 3, v77
	v_cndmask_b32_e64 v13, v22, v6, s6
	v_cmp_eq_u32_e64 s6, 3, v81
	v_cndmask_b32_e64 v1, v1, v2, s2
	v_cndmask_b32_e64 v2, v5, v6, s2
	;; [unrolled: 1-line block ×3, first 2 shown]
	v_cmp_eq_u32_e64 s2, 4, v77
	v_cndmask_b32_e64 v6, v13, v14, s3
	v_cndmask_b32_e64 v1, v1, v10, s6
	v_cmp_eq_u32_e64 s3, 4, v81
	v_cndmask_b32_e64 v2, v2, v14, s6
	v_cndmask_b32_e64 v5, v9, v3, s2
	;; [unrolled: 3-line block ×3, first 2 shown]
	v_cndmask_b32_e64 v2, v2, v7, s3
	v_cmp_eq_u32_e64 s2, 5, v81
	v_cmp_eq_u32_e64 s4, 6, v78
	v_cndmask_b32_e64 v5, v5, v11, s6
	v_cmp_eq_u32_e64 s3, 6, v77
	v_cndmask_b32_e64 v3, v6, v15, s6
	v_cndmask_b32_e64 v1, v1, v11, s2
	v_cmp_eq_u32_e64 s6, 6, v81
	v_cndmask_b32_e64 v2, v2, v15, s2
	v_cndmask_b32_e64 v17, v17, v4, s4
	v_cndmask_b32_e64 v18, v18, v8, s4
	v_cmp_eq_u32_e64 s4, 7, v78
	v_cndmask_b32_e64 v5, v5, v4, s3
	;; [unrolled: 4-line block ×3, first 2 shown]
	v_cmp_eq_u32_e64 s3, 7, v77
	v_cndmask_b32_e32 v4, v20, v8, vcc_lo
	v_cndmask_b32_e64 v17, v17, v12, s4
	v_cndmask_b32_e64 v19, v19, v12, s5
	;; [unrolled: 1-line block ×8, first 2 shown]
	s_mov_b32 s2, exec_lo
	v_perm_b32 v4, v2, v1, 0x5040100
	v_perm_b32 v3, v3, v5, 0x5040100
	v_perm_b32 v2, v6, v19, 0x5040100
	v_perm_b32 v1, v7, v17, 0x5040100
	ds_store_b128 v76, v[1:4]
	s_waitcnt lgkmcnt(0)
	s_barrier
	buffer_gl0_inv
	v_cmpx_gt_u32_e32 32, v0
	s_cbranch_execz .LBB1659_2
; %bb.111:
	s_load_b64 s[0:1], s[0:1], 0x68
	v_lshlrev_b32_e32 v0, 10, v0
	s_lshl_b32 s4, s34, 7
	v_or_b32_e32 v3, s29, v74
	s_mul_i32 s2, s4, s30
	v_lshlrev_b32_e32 v1, 4, v75
	v_lshlrev_b32_e32 v2, 6, v74
	v_and_b32_e32 v0, 0x3800, v0
	s_mul_i32 s2, s2, s7
	v_mul_lo_u32 v8, v3, s4
	s_ashr_i32 s3, s2, 31
	s_delay_alu instid0(SALU_CYCLE_1)
	s_lshl_b64 s[2:3], s[2:3], 1
	v_or3_b32 v16, v0, v1, v2
	ds_load_b128 v[0:3], v16
	ds_load_b128 v[4:7], v16 offset:128
	v_ashrrev_i32_e32 v9, 31, v8
	s_waitcnt lgkmcnt(0)
	s_add_u32 s2, s0, s2
	s_addc_u32 s3, s1, s3
	s_lshl_b32 s0, s14, 7
	s_delay_alu instid0(SALU_CYCLE_1) | instskip(SKIP_2) | instid1(SALU_CYCLE_1)
	s_ashr_i32 s1, s0, 31
	v_lshlrev_b64 v[9:10], 1, v[8:9]
	s_lshl_b64 s[0:1], s[0:1], 1
	s_add_u32 s0, s2, s0
	s_addc_u32 s1, s3, s1
	s_lshl_b32 s2, s34, 8
	v_add_co_u32 v30, s0, s0, v73
	v_add_nc_u32_e32 v11, s2, v8
	v_add_co_ci_u32_e64 v31, null, s1, 0, s0
	s_delay_alu instid0(VALU_DEP_3) | instskip(NEXT) | instid1(VALU_DEP_3)
	v_add_co_u32 v9, vcc_lo, v30, v9
	v_add_nc_u32_e32 v8, s2, v11
	s_delay_alu instid0(VALU_DEP_3) | instskip(SKIP_1) | instid1(VALU_DEP_3)
	v_add_co_ci_u32_e32 v10, vcc_lo, v31, v10, vcc_lo
	v_ashrrev_i32_e32 v12, 31, v11
	v_add_nc_u32_e32 v13, s2, v8
	global_store_b128 v[9:10], v[0:3], off
	v_ashrrev_i32_e32 v9, 31, v8
	v_lshlrev_b64 v[11:12], 1, v[11:12]
	v_ashrrev_i32_e32 v14, 31, v13
	v_add_nc_u32_e32 v10, s2, v13
	s_delay_alu instid0(VALU_DEP_4) | instskip(NEXT) | instid1(VALU_DEP_4)
	v_lshlrev_b64 v[2:3], 1, v[8:9]
	v_add_co_u32 v0, vcc_lo, v30, v11
	s_delay_alu instid0(VALU_DEP_4)
	v_lshlrev_b64 v[8:9], 1, v[13:14]
	v_add_co_ci_u32_e32 v1, vcc_lo, v31, v12, vcc_lo
	v_ashrrev_i32_e32 v11, 31, v10
	v_add_co_u32 v22, vcc_lo, v30, v2
	v_add_nc_u32_e32 v20, s2, v10
	v_add_co_ci_u32_e32 v23, vcc_lo, v31, v3, vcc_lo
	v_add_co_u32 v24, vcc_lo, v30, v8
	global_store_b128 v[0:1], v[4:7], off
	v_add_co_ci_u32_e32 v25, vcc_lo, v31, v9, vcc_lo
	ds_load_b128 v[0:3], v16 offset:256
	ds_load_b128 v[4:7], v16 offset:384
	v_lshlrev_b64 v[26:27], 1, v[10:11]
	ds_load_b128 v[8:11], v16 offset:512
	ds_load_b128 v[12:15], v16 offset:640
	;; [unrolled: 1-line block ×3, first 2 shown]
	v_add_nc_u32_e32 v28, s2, v20
	v_ashrrev_i32_e32 v21, 31, v20
	v_add_co_u32 v26, vcc_lo, v30, v26
	s_delay_alu instid0(VALU_DEP_3) | instskip(NEXT) | instid1(VALU_DEP_3)
	v_ashrrev_i32_e32 v29, 31, v28
	v_lshlrev_b64 v[20:21], 1, v[20:21]
	v_add_co_ci_u32_e32 v27, vcc_lo, v31, v27, vcc_lo
	s_delay_alu instid0(VALU_DEP_3) | instskip(NEXT) | instid1(VALU_DEP_3)
	v_lshlrev_b64 v[28:29], 1, v[28:29]
	v_add_co_u32 v20, vcc_lo, v30, v20
	s_delay_alu instid0(VALU_DEP_4) | instskip(NEXT) | instid1(VALU_DEP_3)
	v_add_co_ci_u32_e32 v21, vcc_lo, v31, v21, vcc_lo
	v_add_co_u32 v28, vcc_lo, v30, v28
	s_delay_alu instid0(VALU_DEP_4)
	v_add_co_ci_u32_e32 v29, vcc_lo, v31, v29, vcc_lo
	s_waitcnt lgkmcnt(4)
	global_store_b128 v[22:23], v[0:3], off
	s_waitcnt lgkmcnt(3)
	global_store_b128 v[24:25], v[4:7], off
	;; [unrolled: 2-line block ×5, first 2 shown]
	s_nop 0
	s_sendmsg sendmsg(MSG_DEALLOC_VGPRS)
	s_endpgm
	.section	.rodata,"a",@progbits
	.p2align	6, 0x0
	.amdhsa_kernel _Z39paged_attention_ll4mi_QKV_mfma16_kernelI14__hip_bfloat16hLN4vllm18Fp8KVCacheDataTypeE1ES0_Li32ELi128ELi256ELb0ELi14EL8MFMAType1EEvPKT_PKT0_S9_ifPKiSB_SB_iPKfiiiPfSE_PS4_PT2_iSD_SD_
		.amdhsa_group_segment_fixed_size 17472
		.amdhsa_private_segment_fixed_size 0
		.amdhsa_kernarg_size 400
		.amdhsa_user_sgpr_count 13
		.amdhsa_user_sgpr_dispatch_ptr 0
		.amdhsa_user_sgpr_queue_ptr 0
		.amdhsa_user_sgpr_kernarg_segment_ptr 1
		.amdhsa_user_sgpr_dispatch_id 0
		.amdhsa_user_sgpr_private_segment_size 0
		.amdhsa_wavefront_size32 1
		.amdhsa_uses_dynamic_stack 0
		.amdhsa_enable_private_segment 0
		.amdhsa_system_sgpr_workgroup_id_x 1
		.amdhsa_system_sgpr_workgroup_id_y 1
		.amdhsa_system_sgpr_workgroup_id_z 1
		.amdhsa_system_sgpr_workgroup_info 0
		.amdhsa_system_vgpr_workitem_id 0
		.amdhsa_next_free_vgpr 140
		.amdhsa_next_free_sgpr 36
		.amdhsa_reserve_vcc 1
		.amdhsa_float_round_mode_32 0
		.amdhsa_float_round_mode_16_64 0
		.amdhsa_float_denorm_mode_32 3
		.amdhsa_float_denorm_mode_16_64 3
		.amdhsa_dx10_clamp 1
		.amdhsa_ieee_mode 1
		.amdhsa_fp16_overflow 0
		.amdhsa_workgroup_processor_mode 1
		.amdhsa_memory_ordered 1
		.amdhsa_forward_progress 0
		.amdhsa_shared_vgpr_count 0
		.amdhsa_exception_fp_ieee_invalid_op 0
		.amdhsa_exception_fp_denorm_src 0
		.amdhsa_exception_fp_ieee_div_zero 0
		.amdhsa_exception_fp_ieee_overflow 0
		.amdhsa_exception_fp_ieee_underflow 0
		.amdhsa_exception_fp_ieee_inexact 0
		.amdhsa_exception_int_div_zero 0
	.end_amdhsa_kernel
	.section	.text._Z39paged_attention_ll4mi_QKV_mfma16_kernelI14__hip_bfloat16hLN4vllm18Fp8KVCacheDataTypeE1ES0_Li32ELi128ELi256ELb0ELi14EL8MFMAType1EEvPKT_PKT0_S9_ifPKiSB_SB_iPKfiiiPfSE_PS4_PT2_iSD_SD_,"axG",@progbits,_Z39paged_attention_ll4mi_QKV_mfma16_kernelI14__hip_bfloat16hLN4vllm18Fp8KVCacheDataTypeE1ES0_Li32ELi128ELi256ELb0ELi14EL8MFMAType1EEvPKT_PKT0_S9_ifPKiSB_SB_iPKfiiiPfSE_PS4_PT2_iSD_SD_,comdat
.Lfunc_end1659:
	.size	_Z39paged_attention_ll4mi_QKV_mfma16_kernelI14__hip_bfloat16hLN4vllm18Fp8KVCacheDataTypeE1ES0_Li32ELi128ELi256ELb0ELi14EL8MFMAType1EEvPKT_PKT0_S9_ifPKiSB_SB_iPKfiiiPfSE_PS4_PT2_iSD_SD_, .Lfunc_end1659-_Z39paged_attention_ll4mi_QKV_mfma16_kernelI14__hip_bfloat16hLN4vllm18Fp8KVCacheDataTypeE1ES0_Li32ELi128ELi256ELb0ELi14EL8MFMAType1EEvPKT_PKT0_S9_ifPKiSB_SB_iPKfiiiPfSE_PS4_PT2_iSD_SD_
                                        ; -- End function
	.section	.AMDGPU.csdata,"",@progbits
; Kernel info:
; codeLenInByte = 9052
; NumSgprs: 38
; NumVgprs: 140
; ScratchSize: 0
; MemoryBound: 0
; FloatMode: 240
; IeeeMode: 1
; LDSByteSize: 17472 bytes/workgroup (compile time only)
; SGPRBlocks: 4
; VGPRBlocks: 17
; NumSGPRsForWavesPerEU: 38
; NumVGPRsForWavesPerEU: 140
; Occupancy: 10
; WaveLimiterHint : 1
; COMPUTE_PGM_RSRC2:SCRATCH_EN: 0
; COMPUTE_PGM_RSRC2:USER_SGPR: 13
; COMPUTE_PGM_RSRC2:TRAP_HANDLER: 0
; COMPUTE_PGM_RSRC2:TGID_X_EN: 1
; COMPUTE_PGM_RSRC2:TGID_Y_EN: 1
; COMPUTE_PGM_RSRC2:TGID_Z_EN: 1
; COMPUTE_PGM_RSRC2:TIDIG_COMP_CNT: 0
	.section	.text._Z39paged_attention_ll4mi_QKV_mfma16_kernelI14__hip_bfloat16hLN4vllm18Fp8KVCacheDataTypeE1ES0_Li32ELi128ELi256ELb0ELi15EL8MFMAType1EEvPKT_PKT0_S9_ifPKiSB_SB_iPKfiiiPfSE_PS4_PT2_iSD_SD_,"axG",@progbits,_Z39paged_attention_ll4mi_QKV_mfma16_kernelI14__hip_bfloat16hLN4vllm18Fp8KVCacheDataTypeE1ES0_Li32ELi128ELi256ELb0ELi15EL8MFMAType1EEvPKT_PKT0_S9_ifPKiSB_SB_iPKfiiiPfSE_PS4_PT2_iSD_SD_,comdat
	.protected	_Z39paged_attention_ll4mi_QKV_mfma16_kernelI14__hip_bfloat16hLN4vllm18Fp8KVCacheDataTypeE1ES0_Li32ELi128ELi256ELb0ELi15EL8MFMAType1EEvPKT_PKT0_S9_ifPKiSB_SB_iPKfiiiPfSE_PS4_PT2_iSD_SD_ ; -- Begin function _Z39paged_attention_ll4mi_QKV_mfma16_kernelI14__hip_bfloat16hLN4vllm18Fp8KVCacheDataTypeE1ES0_Li32ELi128ELi256ELb0ELi15EL8MFMAType1EEvPKT_PKT0_S9_ifPKiSB_SB_iPKfiiiPfSE_PS4_PT2_iSD_SD_
	.globl	_Z39paged_attention_ll4mi_QKV_mfma16_kernelI14__hip_bfloat16hLN4vllm18Fp8KVCacheDataTypeE1ES0_Li32ELi128ELi256ELb0ELi15EL8MFMAType1EEvPKT_PKT0_S9_ifPKiSB_SB_iPKfiiiPfSE_PS4_PT2_iSD_SD_
	.p2align	8
	.type	_Z39paged_attention_ll4mi_QKV_mfma16_kernelI14__hip_bfloat16hLN4vllm18Fp8KVCacheDataTypeE1ES0_Li32ELi128ELi256ELb0ELi15EL8MFMAType1EEvPKT_PKT0_S9_ifPKiSB_SB_iPKfiiiPfSE_PS4_PT2_iSD_SD_,@function
_Z39paged_attention_ll4mi_QKV_mfma16_kernelI14__hip_bfloat16hLN4vllm18Fp8KVCacheDataTypeE1ES0_Li32ELi128ELi256ELb0ELi15EL8MFMAType1EEvPKT_PKT0_S9_ifPKiSB_SB_iPKfiiiPfSE_PS4_PT2_iSD_SD_: ; @_Z39paged_attention_ll4mi_QKV_mfma16_kernelI14__hip_bfloat16hLN4vllm18Fp8KVCacheDataTypeE1ES0_Li32ELi128ELi256ELb0ELi15EL8MFMAType1EEvPKT_PKT0_S9_ifPKiSB_SB_iPKfiiiPfSE_PS4_PT2_iSD_SD_
; %bb.0:
	s_load_b64 s[4:5], s[0:1], 0x30
	s_mov_b32 s30, s13
	s_waitcnt lgkmcnt(0)
	s_cmp_lg_u64 s[4:5], 0
	s_cselect_b32 s13, -1, 0
	s_ashr_i32 s31, s30, 31
	s_cmp_eq_u64 s[4:5], 0
	s_cbranch_scc1 .LBB1660_3
; %bb.1:
	s_lshl_b64 s[2:3], s[30:31], 2
	s_delay_alu instid0(SALU_CYCLE_1) | instskip(SKIP_4) | instid1(SALU_CYCLE_1)
	s_add_u32 s2, s4, s2
	s_addc_u32 s3, s5, s3
	s_load_b64 s[2:3], s[2:3], 0x0
	s_waitcnt lgkmcnt(0)
	s_sub_i32 s2, s3, s2
	s_cmp_eq_u32 s2, 1
	s_cselect_b32 s2, -1, 0
	s_delay_alu instid0(SALU_CYCLE_1)
	s_and_not1_b32 vcc_lo, exec_lo, s2
	s_cbranch_vccz .LBB1660_4
.LBB1660_2:
	s_nop 0
	s_sendmsg sendmsg(MSG_DEALLOC_VGPRS)
	s_endpgm
.LBB1660_3:
.LBB1660_4:
	s_load_b64 s[2:3], s[0:1], 0x28
	s_lshl_b64 s[6:7], s[30:31], 2
	s_waitcnt lgkmcnt(0)
	s_add_u32 s2, s2, s6
	s_addc_u32 s3, s3, s7
	s_lshl_b32 s12, s14, 8
	s_load_b32 s17, s[2:3], 0x0
	s_waitcnt lgkmcnt(0)
	s_cmp_ge_i32 s12, s17
	s_cbranch_scc1 .LBB1660_2
; %bb.5:
	s_clause 0x1
	s_load_b128 s[8:11], s[0:1], 0x8
	s_load_b64 s[2:3], s[0:1], 0x20
	s_and_not1_b32 vcc_lo, exec_lo, s13
	s_cbranch_vccnz .LBB1660_7
; %bb.6:
	s_add_u32 s4, s4, s6
	s_addc_u32 s5, s5, s7
	s_load_b32 s13, s[4:5], 0x0
	s_branch .LBB1660_8
.LBB1660_7:
	s_mov_b32 s13, s30
.LBB1660_8:
	s_load_b128 s[4:7], s[0:1], 0x48
	v_and_b32_e32 v65, 15, v0
	v_lshrrev_b32_e32 v66, 5, v0
	v_bfe_u32 v74, v0, 4, 1
	v_and_b32_e32 v67, 31, v0
	v_and_b32_e32 v75, 1, v0
	v_lshlrev_b32_e32 v2, 3, v65
	s_mul_i32 s31, s15, 15
	v_lshl_or_b32 v1, v66, 1, v74
	s_waitcnt lgkmcnt(0)
	s_mov_b32 s7, exec_lo
	v_lshlrev_b32_e32 v73, 1, v2
	s_delay_alu instid0(VALU_DEP_2)
	v_cmpx_gt_u32_e32 15, v1
	s_cbranch_execz .LBB1660_10
; %bb.9:
	s_load_b64 s[18:19], s[0:1], 0x0
	v_add_lshl_u32 v2, v1, s31, 7
	s_mul_hi_i32 s21, s13, s4
	s_mul_i32 s20, s13, s4
	v_lshlrev_b32_e32 v6, 10, v65
	s_lshl_b64 s[20:21], s[20:21], 1
	v_ashrrev_i32_e32 v3, 31, v2
	v_lshlrev_b32_e32 v1, 6, v1
	v_lshlrev_b32_e32 v7, 10, v75
	v_and_b32_e32 v6, 0x3800, v6
	s_delay_alu instid0(VALU_DEP_4) | instskip(NEXT) | instid1(VALU_DEP_2)
	v_lshlrev_b64 v[2:3], 1, v[2:3]
	v_or3_b32 v1, v6, v7, v1
	s_waitcnt lgkmcnt(0)
	s_add_u32 s4, s18, s20
	s_addc_u32 s13, s19, s21
	s_delay_alu instid0(VALU_DEP_2) | instskip(SKIP_1) | instid1(VALU_DEP_2)
	v_add_co_u32 v2, vcc_lo, s4, v2
	v_add_co_ci_u32_e32 v3, vcc_lo, s13, v3, vcc_lo
	v_add_co_u32 v2, vcc_lo, v2, v73
	s_delay_alu instid0(VALU_DEP_2)
	v_add_co_ci_u32_e32 v3, vcc_lo, 0, v3, vcc_lo
	global_load_b128 v[2:5], v[2:3], off
	s_waitcnt vmcnt(0)
	ds_store_b128 v1, v[2:5]
.LBB1660_10:
	s_or_b32 exec_lo, exec_lo, s7
	v_and_b32_e32 v1, 0xef, v0
	s_add_i32 s4, s17, 31
	s_clause 0x1
	s_load_b32 s7, s[0:1], 0x38
	s_load_b32 s18, s[0:1], 0x1c
	s_ashr_i32 s13, s4, 31
	v_add_nc_u32_e32 v1, s12, v1
	s_lshr_b32 s13, s13, 27
	s_waitcnt lgkmcnt(0)
	s_add_i32 s4, s4, s13
	s_barrier
	v_ashrrev_i32_e32 v2, 31, v1
	v_or_b32_e32 v3, 16, v1
	s_ashr_i32 s4, s4, 5
	v_cmp_gt_i32_e32 vcc_lo, s17, v1
	s_add_i32 s4, s4, -1
	v_lshrrev_b32_e32 v2, 27, v2
	buffer_gl0_inv
	s_mul_i32 s15, s15, s6
	v_add_nc_u32_e32 v4, v1, v2
	s_mul_i32 s20, s30, s7
	s_delay_alu instid0(SALU_CYCLE_1) | instskip(NEXT) | instid1(VALU_DEP_1)
	s_ashr_i32 s21, s20, 31
	v_ashrrev_i32_e32 v4, 5, v4
	v_add_nc_u32_e32 v2, v3, v2
	s_lshl_b64 s[20:21], s[20:21], 2
	s_delay_alu instid0(SALU_CYCLE_1) | instskip(NEXT) | instid1(VALU_DEP_2)
	s_add_u32 s13, s2, s20
	v_cndmask_b32_e32 v1, s4, v4, vcc_lo
	s_delay_alu instid0(VALU_DEP_2)
	v_ashrrev_i32_e32 v2, 5, v2
	v_cmp_gt_i32_e32 vcc_lo, s17, v3
	s_addc_u32 s16, s3, s21
	s_ashr_i32 s19, s15, 31
	s_add_u32 s2, s8, s15
	s_addc_u32 s3, s9, s19
	v_cndmask_b32_e32 v3, s4, v2, vcc_lo
	v_ashrrev_i32_e32 v2, 31, v1
	s_lshl_b32 s6, s14, 3
	s_delay_alu instid0(SALU_CYCLE_1) | instskip(NEXT) | instid1(VALU_DEP_2)
	s_ashr_i32 s7, s6, 31
	v_ashrrev_i32_e32 v4, 31, v3
	s_delay_alu instid0(VALU_DEP_2) | instskip(SKIP_1) | instid1(SALU_CYCLE_1)
	v_lshlrev_b64 v[1:2], 2, v[1:2]
	s_lshl_b64 s[6:7], s[6:7], 2
	s_add_u32 s6, s13, s6
	s_delay_alu instid0(VALU_DEP_2) | instskip(SKIP_1) | instid1(VALU_DEP_2)
	v_lshlrev_b64 v[3:4], 2, v[3:4]
	s_addc_u32 s7, s16, s7
	v_add_co_u32 v1, vcc_lo, s13, v1
	v_add_co_ci_u32_e32 v2, vcc_lo, s16, v2, vcc_lo
	s_delay_alu instid0(VALU_DEP_3) | instskip(NEXT) | instid1(VALU_DEP_4)
	v_add_co_u32 v3, vcc_lo, s13, v3
	v_add_co_ci_u32_e32 v4, vcc_lo, s16, v4, vcc_lo
	s_clause 0x1
	global_load_b32 v5, v[1:2], off
	global_load_b32 v6, v[3:4], off
	s_or_b32 s8, s12, 32
	s_delay_alu instid0(SALU_CYCLE_1) | instskip(SKIP_2) | instid1(SALU_CYCLE_1)
	s_ashr_i32 s9, s8, 5
	s_cmp_lt_i32 s8, s17
	s_cselect_b32 s8, s9, s4
	s_ashr_i32 s9, s8, 31
	s_delay_alu instid0(SALU_CYCLE_1) | instskip(NEXT) | instid1(SALU_CYCLE_1)
	s_lshl_b64 s[8:9], s[8:9], 2
	s_add_u32 s8, s13, s8
	s_addc_u32 s9, s16, s9
	s_or_b32 s20, s12, 64
	s_delay_alu instid0(SALU_CYCLE_1) | instskip(SKIP_2) | instid1(SALU_CYCLE_1)
	s_ashr_i32 s21, s20, 5
	s_cmp_lt_i32 s20, s17
	s_cselect_b32 s20, s21, s4
	s_ashr_i32 s21, s20, 31
	s_delay_alu instid0(SALU_CYCLE_1) | instskip(NEXT) | instid1(SALU_CYCLE_1)
	s_lshl_b64 s[20:21], s[20:21], 2
	s_add_u32 s20, s13, s20
	s_addc_u32 s21, s16, s21
	;; [unrolled: 10-line block ×5, first 2 shown]
	s_clause 0x5
	s_load_b32 s28, s[6:7], 0x0
	s_load_b32 s8, s[8:9], 0x0
	;; [unrolled: 1-line block ×6, first 2 shown]
	s_mov_b32 s20, 0
	s_delay_alu instid0(SALU_CYCLE_1)
	s_mov_b32 s21, s20
	s_mov_b32 s22, s20
	;; [unrolled: 1-line block ×7, first 2 shown]
	s_delay_alu instid0(SALU_CYCLE_1)
	v_dual_mov_b32 v107, s27 :: v_dual_mov_b32 v100, s20
	v_mov_b32_e32 v106, s26
	v_dual_mov_b32 v104, s24 :: v_dual_mov_b32 v103, s23
	v_dual_mov_b32 v101, s21 :: v_dual_mov_b32 v102, s22
	s_waitcnt vmcnt(1)
	v_mad_i64_i32 v[1:2], null, v5, s5, s[2:3]
	v_lshlrev_b32_e32 v5, 4, v65
	s_waitcnt vmcnt(0)
	v_mad_i64_i32 v[3:4], null, v6, s5, s[2:3]
	s_or_b32 s2, s12, 0xc0
	s_delay_alu instid0(SALU_CYCLE_1) | instskip(NEXT) | instid1(VALU_DEP_3)
	s_ashr_i32 s3, s2, 5
	v_add_co_u32 v33, vcc_lo, v1, v5
	s_delay_alu instid0(VALU_DEP_4) | instskip(NEXT) | instid1(VALU_DEP_3)
	v_add_co_ci_u32_e32 v34, vcc_lo, 0, v2, vcc_lo
	v_add_co_u32 v35, vcc_lo, v3, v5
	s_delay_alu instid0(VALU_DEP_4)
	v_add_co_ci_u32_e32 v36, vcc_lo, 0, v4, vcc_lo
	s_clause 0xf
	global_load_b128 v[1:4], v[33:34], off
	global_load_b128 v[5:8], v[33:34], off offset:512
	global_load_b128 v[9:12], v[35:36], off offset:256
	;; [unrolled: 1-line block ×15, first 2 shown]
	s_cmp_lt_i32 s2, s17
	v_cmp_ne_u32_e32 vcc_lo, 15, v65
	s_cselect_b32 s2, s3, s4
	v_lshlrev_b32_e32 v34, 5, v65
	s_ashr_i32 s3, s2, 31
	s_delay_alu instid0(SALU_CYCLE_1) | instskip(SKIP_4) | instid1(VALU_DEP_1)
	s_lshl_b64 s[2:3], s[2:3], 2
	v_cndmask_b32_e32 v33, 0, v65, vcc_lo
	s_add_u32 s2, s13, s2
	s_addc_u32 s3, s16, s3
	s_or_b32 s6, s12, 0xe0
	v_dual_mov_b32 v105, s25 :: v_dual_lshlrev_b32 v72, 6, v33
	s_ashr_i32 s7, s6, 5
	s_cmp_lt_i32 s6, s17
	v_lshl_or_b32 v41, v66, 9, v34
	s_cselect_b32 s6, s7, s4
	ds_load_b128 v[33:36], v72
	ds_load_b128 v[37:40], v72 offset:1024
	s_ashr_i32 s7, s6, 31
	ds_load_b128 v[108:111], v72 offset:2048
	ds_load_b128 v[112:115], v72 offset:3072
	s_lshl_b64 s[6:7], s[6:7], 2
	s_load_b32 s4, s[2:3], 0x0
	s_add_u32 s2, s13, s6
	s_addc_u32 s3, s16, s7
	ds_load_b128 v[116:119], v72 offset:4096
	ds_load_b128 v[120:123], v72 offset:5120
	s_load_b32 s2, s[2:3], 0x0
	s_add_u32 s6, s10, s15
	s_addc_u32 s7, s11, s19
	v_add_co_u32 v68, s6, s6, v41
	s_delay_alu instid0(VALU_DEP_1) | instskip(SKIP_1) | instid1(VALU_DEP_1)
	v_add_co_ci_u32_e64 v69, null, s7, 0, s6
	s_waitcnt lgkmcnt(0)
	v_mad_i64_i32 v[41:42], null, s28, s5, v[68:69]
	v_mad_i64_i32 v[70:71], null, s9, s5, v[68:69]
	;; [unrolled: 1-line block ×7, first 2 shown]
	s_clause 0x3
	global_load_b128 v[49:52], v[41:42], off
	global_load_b128 v[53:56], v[41:42], off offset:16
	global_load_b128 v[41:44], v[45:46], off
	global_load_b128 v[45:48], v[45:46], off offset:16
	s_waitcnt vmcnt(18)
	v_wmma_f32_16x16x16_bf16 v[124:131], v[1:8], v[33:40], v[100:107]
	s_waitcnt vmcnt(16)
	v_wmma_f32_16x16x16_bf16 v[100:107], v[9:16], v[33:40], v[100:107]
	s_clause 0x1
	global_load_b128 v[33:36], v[70:71], off
	global_load_b128 v[37:40], v[70:71], off offset:16
	v_mad_i64_i32 v[70:71], null, s2, s5, v[68:69]
	s_waitcnt vmcnt(16)
	v_wmma_f32_16x16x16_bf16 v[124:131], v[17:24], v[108:115], v[124:131]
	s_waitcnt vmcnt(14)
	v_wmma_f32_16x16x16_bf16 v[100:107], v[25:32], v[108:115], v[100:107]
	s_clause 0x7
	global_load_b128 v[25:28], v[132:133], off
	global_load_b128 v[29:32], v[132:133], off offset:16
	global_load_b128 v[1:4], v[134:135], off
	global_load_b128 v[5:8], v[134:135], off offset:16
	;; [unrolled: 2-line block ×4, first 2 shown]
	s_waitcnt vmcnt(20)
	v_wmma_f32_16x16x16_bf16 v[124:131], v[57:64], v[116:123], v[124:131]
	s_clause 0x1
	global_load_b128 v[57:60], v[70:71], off
	global_load_b128 v[61:64], v[70:71], off offset:16
	s_waitcnt vmcnt(20)
	v_wmma_f32_16x16x16_bf16 v[100:107], v[76:83], v[116:123], v[100:107]
	ds_load_b128 v[76:79], v72 offset:6144
	ds_load_b128 v[80:83], v72 offset:7168
	v_and_b32_e32 v68, 0xe0, v0
	v_mbcnt_lo_u32_b32 v69, -1, 0
	s_waitcnt vmcnt(0) lgkmcnt(0)
	s_barrier
	buffer_gl0_inv
	v_add_nc_u32_e32 v68, s12, v68
	v_xor_b32_e32 v70, 16, v69
	s_delay_alu instid0(VALU_DEP_2) | instskip(NEXT) | instid1(VALU_DEP_2)
	v_or_b32_e32 v68, v68, v74
	v_cmp_gt_i32_e32 vcc_lo, 32, v70
	s_delay_alu instid0(VALU_DEP_2)
	v_or_b32_e32 v71, 4, v68
	v_or_b32_e32 v72, 6, v68
	v_cmp_gt_i32_e64 s2, s17, v68
	v_or_b32_e32 v108, 8, v68
	v_wmma_f32_16x16x16_bf16 v[124:131], v[84:91], v[76:83], v[124:131]
	v_cndmask_b32_e32 v69, v69, v70, vcc_lo
	v_or_b32_e32 v70, 2, v68
	v_wmma_f32_16x16x16_bf16 v[100:107], v[92:99], v[76:83], v[100:107]
	v_or_b32_e32 v109, 10, v68
	v_dual_mul_f32 v78, s18, v131 :: v_dual_mul_f32 v83, s18, v126
	v_dual_mul_f32 v92, s18, v125 :: v_dual_mul_f32 v93, s18, v124
	s_delay_alu instid0(VALU_DEP_4) | instskip(SKIP_2) | instid1(VALU_DEP_4)
	v_mul_f32_e32 v94, s18, v107
	v_cmp_gt_i32_e32 vcc_lo, s17, v70
	v_dual_mul_f32 v81, s18, v128 :: v_dual_mul_f32 v82, s18, v127
	v_cndmask_b32_e64 v93, 0xff7fffff, v93, s2
	v_cmp_gt_i32_e64 s3, s17, v71
	v_cndmask_b32_e32 v92, 0xff7fffff, v92, vcc_lo
	v_cmp_gt_i32_e64 s4, s17, v72
	v_or_b32_e32 v84, 12, v68
	v_or_b32_e32 v85, 14, v68
	v_dual_mul_f32 v79, s18, v130 :: v_dual_mul_f32 v80, s18, v129
	v_cndmask_b32_e64 v71, 0xff7fffff, v83, s3
	v_cndmask_b32_e64 v72, 0xff7fffff, v82, s4
	v_max3_f32 v82, v93, 0xff7fffff, v92
	v_cmp_gt_i32_e64 s5, s17, v108
	v_cmp_gt_i32_e64 s6, s17, v109
	v_or_b32_e32 v86, 16, v68
	v_or_b32_e32 v87, 18, v68
	v_max3_f32 v71, v82, v71, v72
	v_cndmask_b32_e64 v81, 0xff7fffff, v81, s5
	v_cndmask_b32_e64 v80, 0xff7fffff, v80, s6
	v_cmp_gt_i32_e64 s7, s17, v84
	v_cmp_gt_i32_e64 s8, s17, v85
	v_or_b32_e32 v88, 20, v68
	v_or_b32_e32 v89, 22, v68
	;; [unrolled: 1-line block ×6, first 2 shown]
	v_dual_mul_f32 v99, s18, v102 :: v_dual_mul_f32 v70, s18, v101
	v_mul_f32_e32 v68, s18, v100
	v_cndmask_b32_e64 v72, 0xff7fffff, v79, s7
	v_cndmask_b32_e64 v78, 0xff7fffff, v78, s8
	v_max3_f32 v71, v71, v81, v80
	v_cmp_gt_i32_e64 s9, s17, v86
	v_cmp_gt_i32_e64 s10, s17, v87
	v_dual_mul_f32 v97, s18, v104 :: v_dual_mul_f32 v98, s18, v103
	s_delay_alu instid0(VALU_DEP_4) | instskip(SKIP_1) | instid1(VALU_DEP_4)
	v_max3_f32 v71, v71, v72, v78
	v_cmp_gt_i32_e64 s11, s17, v88
	v_cndmask_b32_e64 v70, 0xff7fffff, v70, s10
	v_cmp_gt_i32_e64 s12, s17, v89
	v_lshlrev_b32_e32 v89, 2, v69
	v_cndmask_b32_e64 v68, 0xff7fffff, v68, s9
	v_dual_mul_f32 v95, s18, v106 :: v_dual_mul_f32 v96, s18, v105
	v_cndmask_b32_e64 v72, 0xff7fffff, v99, s11
	v_cndmask_b32_e64 v78, 0xff7fffff, v98, s12
	s_delay_alu instid0(VALU_DEP_4)
	v_max3_f32 v68, v71, v68, v70
	v_cmp_gt_i32_e64 s13, s17, v90
	v_cmp_gt_i32_e64 s15, s17, v91
	;; [unrolled: 1-line block ×4, first 2 shown]
	v_max3_f32 v68, v68, v72, v78
	v_cndmask_b32_e64 v70, 0xff7fffff, v97, s13
	v_cndmask_b32_e64 v71, 0xff7fffff, v96, s15
	;; [unrolled: 1-line block ×4, first 2 shown]
	s_delay_alu instid0(VALU_DEP_3) | instskip(NEXT) | instid1(VALU_DEP_1)
	v_max3_f32 v68, v68, v70, v71
	v_max3_f32 v68, v68, v72, v76
	ds_bpermute_b32 v69, v89, v68
	s_waitcnt lgkmcnt(0)
	v_max_f32_e32 v69, v69, v69
	s_delay_alu instid0(VALU_DEP_1) | instskip(NEXT) | instid1(VALU_DEP_1)
	v_max_f32_e32 v68, v68, v69
	v_fma_f32 v71, s18, v126, -v68
	s_delay_alu instid0(VALU_DEP_1)
	v_mul_f32_e32 v71, 0x3fb8aa3b, v71
	v_fma_f32 v69, s18, v124, -v68
	v_fma_f32 v70, s18, v125, -v68
	;; [unrolled: 1-line block ×4, first 2 shown]
	v_exp_f32_e32 v71, v71
	s_delay_alu instid0(VALU_DEP_3) | instskip(SKIP_2) | instid1(VALU_DEP_3)
	v_dual_mul_f32 v69, 0x3fb8aa3b, v69 :: v_dual_mul_f32 v70, 0x3fb8aa3b, v70
	v_fma_f32 v78, s18, v130, -v68
	v_fma_f32 v81, s18, v105, -v68
	v_exp_f32_e32 v69, v69
	s_delay_alu instid0(VALU_DEP_3) | instskip(SKIP_1) | instid1(VALU_DEP_2)
	v_exp_f32_e32 v70, v70
	v_mul_f32_e32 v77, 0x3fb8aa3b, v76
	v_mul_f32_e32 v81, 0x3fb8aa3b, v81
	s_delay_alu instid0(TRANS32_DEP_3) | instskip(SKIP_1) | instid1(VALU_DEP_3)
	v_cndmask_b32_e64 v83, 0, v71, s3
	v_fma_f32 v71, s18, v131, -v68
	v_exp_f32_e32 v81, v81
	s_delay_alu instid0(TRANS32_DEP_3) | instskip(NEXT) | instid1(TRANS32_DEP_2)
	v_cndmask_b32_e64 v80, 0, v69, s2
	v_cndmask_b32_e32 v76, 0, v70, vcc_lo
	v_fma_f32 v69, s18, v129, -v68
	v_mul_f32_e32 v72, 0x3fb8aa3b, v72
	v_exp_f32_e32 v77, v77
	v_dual_add_f32 v70, 0, v80 :: v_dual_mul_f32 v71, 0x3fb8aa3b, v71
	s_delay_alu instid0(VALU_DEP_3) | instskip(NEXT) | instid1(VALU_DEP_3)
	v_mul_f32_e32 v69, 0x3fb8aa3b, v69
	v_exp_f32_e32 v72, v72
	v_cmp_gt_u32_e64 s2, 16, v67
	s_delay_alu instid0(VALU_DEP_3) | instskip(NEXT) | instid1(VALU_DEP_2)
	v_exp_f32_e32 v71, v71
	v_exp_f32_e32 v69, v69
	v_cndmask_b32_e64 v86, 0, v77, s5
	v_fma_f32 v77, s18, v101, -v68
	v_add_f32_e32 v70, v70, v76
	s_delay_alu instid0(TRANS32_DEP_3) | instskip(SKIP_1) | instid1(VALU_DEP_3)
	v_cndmask_b32_e64 v85, 0, v72, s4
	v_fma_f32 v72, s18, v100, -v68
	v_dual_mul_f32 v77, 0x3fb8aa3b, v77 :: v_dual_add_f32 v70, v70, v83
	s_delay_alu instid0(TRANS32_DEP_2) | instskip(SKIP_1) | instid1(TRANS32_DEP_1)
	v_cndmask_b32_e64 v88, 0, v71, s8
	v_fma_f32 v71, s18, v104, -v68
	v_cndmask_b32_e64 v87, 0, v69, s6
	s_delay_alu instid0(VALU_DEP_4) | instskip(NEXT) | instid1(VALU_DEP_2)
	v_exp_f32_e32 v77, v77
	v_dual_add_f32 v70, v70, v85 :: v_dual_mul_f32 v71, 0x3fb8aa3b, v71
	s_delay_alu instid0(VALU_DEP_1) | instskip(SKIP_2) | instid1(VALU_DEP_3)
	v_dual_mul_f32 v72, 0x3fb8aa3b, v72 :: v_dual_add_f32 v69, v70, v86
	v_mul_f32_e32 v78, 0x3fb8aa3b, v78
	v_fma_f32 v70, s18, v102, -v68
	v_exp_f32_e32 v72, v72
	v_exp_f32_e32 v82, v71
	v_add_f32_e32 v69, v69, v87
	v_exp_f32_e32 v78, v78
	v_mul_f32_e32 v70, 0x3fb8aa3b, v70
	s_delay_alu instid0(VALU_DEP_1) | instskip(SKIP_4) | instid1(VALU_DEP_2)
	v_exp_f32_e32 v79, v70
	v_cndmask_b32_e64 v70, 0, v72, s9
	s_waitcnt_depctr 0xfff
	v_cndmask_b32_e64 v84, 0, v78, s7
	v_fma_f32 v78, s18, v103, -v68
	v_add_f32_e32 v69, v69, v84
	v_cndmask_b32_e64 v71, 0, v79, s11
	s_delay_alu instid0(VALU_DEP_2) | instskip(SKIP_2) | instid1(VALU_DEP_1)
	v_add_f32_e32 v72, v69, v88
	v_cndmask_b32_e64 v69, 0, v77, s10
	v_fma_f32 v77, s18, v106, -v68
	v_dual_mul_f32 v77, 0x3fb8aa3b, v77 :: v_dual_add_f32 v72, v72, v70
	v_mul_f32_e32 v78, 0x3fb8aa3b, v78
	s_delay_alu instid0(VALU_DEP_2) | instskip(NEXT) | instid1(VALU_DEP_2)
	v_exp_f32_e32 v90, v77
	v_add_f32_e32 v79, v72, v69
	s_delay_alu instid0(VALU_DEP_2)
	v_exp_f32_e32 v78, v78
	v_cndmask_b32_e64 v77, 0, v82, s13
	s_waitcnt_depctr 0xfff
	v_cndmask_b32_e64 v72, 0, v78, s12
	v_add_f32_e32 v78, v79, v71
	v_fma_f32 v79, s18, v107, -v68
	s_delay_alu instid0(VALU_DEP_1) | instskip(SKIP_1) | instid1(VALU_DEP_2)
	v_dual_add_f32 v82, v78, v72 :: v_dual_mul_f32 v79, 0x3fb8aa3b, v79
	v_cndmask_b32_e64 v78, 0, v81, s15
	v_add_f32_e32 v81, v82, v77
	s_delay_alu instid0(VALU_DEP_3) | instskip(SKIP_1) | instid1(VALU_DEP_2)
	v_exp_f32_e32 v82, v79
	v_cndmask_b32_e64 v79, 0, v90, s16
	v_add_f32_e32 v81, v81, v78
	s_delay_alu instid0(VALU_DEP_1) | instskip(SKIP_2) | instid1(VALU_DEP_1)
	v_add_f32_e32 v90, v81, v79
	s_waitcnt_depctr 0xfff
	v_cndmask_b32_e64 v81, 0, v82, s17
	v_add_f32_e32 v82, v90, v81
	ds_bpermute_b32 v89, v89, v82
	s_and_saveexec_b32 s3, s2
	s_cbranch_execz .LBB1660_12
; %bb.11:
	v_mul_u32_u24_e32 v67, 0x44, v66
	s_delay_alu instid0(VALU_DEP_1) | instskip(SKIP_1) | instid1(VALU_DEP_1)
	v_lshl_add_u32 v67, v65, 2, v67
	s_waitcnt lgkmcnt(0)
	v_dual_add_f32 v82, v82, v89 :: v_dual_add_nc_u32 v67, 0x4000, v67
	ds_store_2addr_b32 v67, v68, v82 offset1:136
.LBB1660_12:
	s_or_b32 exec_lo, exec_lo, s3
	v_lshlrev_b32_e32 v67, 2, v65
	s_waitcnt lgkmcnt(0)
	s_barrier
	buffer_gl0_inv
	v_cmp_eq_u32_e32 vcc_lo, 1, v66
	v_add_nc_u32_e32 v82, 0x4000, v67
	v_cmp_eq_u32_e64 s3, 2, v66
	v_cmp_eq_u32_e64 s5, 7, v66
	ds_load_2addr_b32 v[89:90], v82 offset1:17
	ds_load_2addr_b32 v[91:92], v82 offset0:34 offset1:51
	ds_load_2addr_b32 v[93:94], v82 offset0:68 offset1:85
	ds_load_2addr_b32 v[95:96], v82 offset0:102 offset1:119
	ds_load_2addr_b32 v[97:98], v82 offset0:136 offset1:153
	s_waitcnt lgkmcnt(4)
	v_max3_f32 v67, v89, 0xff7fffff, v90
	s_waitcnt lgkmcnt(3)
	s_delay_alu instid0(VALU_DEP_1) | instskip(SKIP_1) | instid1(VALU_DEP_1)
	v_max3_f32 v67, v67, v91, v92
	s_waitcnt lgkmcnt(2)
	v_max3_f32 v67, v67, v93, v94
	s_waitcnt lgkmcnt(1)
	s_delay_alu instid0(VALU_DEP_1) | instskip(NEXT) | instid1(VALU_DEP_1)
	v_max3_f32 v67, v67, v95, v96
	v_sub_f32_e32 v93, v93, v67
	s_delay_alu instid0(VALU_DEP_1) | instskip(NEXT) | instid1(VALU_DEP_1)
	v_dual_sub_f32 v68, v89, v67 :: v_dual_mul_f32 v103, 0x3fb8aa3b, v93
	v_mul_f32_e32 v68, 0x3fb8aa3b, v68
	s_delay_alu instid0(VALU_DEP_1)
	v_exp_f32_e32 v100, v68
	v_sub_f32_e32 v68, v92, v67
	v_sub_f32_e32 v99, v90, v67
	ds_load_2addr_b32 v[89:90], v82 offset0:170 offset1:187
	v_dual_mul_f32 v102, 0x3fb8aa3b, v68 :: v_dual_mul_f32 v99, 0x3fb8aa3b, v99
	s_waitcnt lgkmcnt(1)
	v_fma_f32 v68, v100, v97, 0
	s_delay_alu instid0(VALU_DEP_2) | instskip(NEXT) | instid1(VALU_DEP_2)
	v_exp_f32_e32 v102, v102
	v_exp_f32_e32 v99, v99
	s_waitcnt_depctr 0xfff
	v_fmac_f32_e32 v68, v99, v98
	v_sub_f32_e32 v91, v91, v67
	s_delay_alu instid0(VALU_DEP_1)
	v_mul_f32_e32 v101, 0x3fb8aa3b, v91
	ds_load_2addr_b32 v[91:92], v82 offset0:204 offset1:221
	v_sub_f32_e32 v97, v94, v67
	ds_load_2addr_b32 v[93:94], v82 offset0:238 offset1:255
	s_waitcnt lgkmcnt(0)
	v_exp_f32_e32 v101, v101
	s_barrier
	buffer_gl0_inv
	v_dual_fmac_f32 v68, v101, v89 :: v_dual_sub_f32 v89, v96, v67
	v_dual_sub_f32 v82, v95, v67 :: v_dual_mul_f32 v95, 0x3fb8aa3b, v97
	v_exp_f32_e32 v97, v103
	s_delay_alu instid0(VALU_DEP_2) | instskip(NEXT) | instid1(VALU_DEP_2)
	v_dual_fmac_f32 v68, v102, v90 :: v_dual_mul_f32 v89, 0x3fb8aa3b, v89
	v_mul_f32_e32 v82, 0x3fb8aa3b, v82
	s_delay_alu instid0(VALU_DEP_3) | instskip(NEXT) | instid1(VALU_DEP_2)
	v_exp_f32_e32 v95, v95
	v_exp_f32_e32 v89, v89
	s_delay_alu instid0(VALU_DEP_1)
	v_exp_f32_e32 v82, v82
	v_fmac_f32_e32 v68, v97, v91
	s_delay_alu instid0(TRANS32_DEP_3) | instid1(VALU_DEP_1)
	v_fmac_f32_e32 v68, v95, v92
	s_waitcnt_depctr 0xfff
	v_fmac_f32_e32 v68, v82, v93
	s_delay_alu instid0(VALU_DEP_1) | instskip(NEXT) | instid1(VALU_DEP_1)
	v_fmac_f32_e32 v68, v89, v94
	v_add_f32_e32 v90, 0x358637bd, v68
	s_delay_alu instid0(VALU_DEP_1) | instskip(NEXT) | instid1(VALU_DEP_1)
	v_div_scale_f32 v91, null, v90, v90, 1.0
	v_rcp_f32_e32 v92, v91
	s_waitcnt_depctr 0xfff
	v_fma_f32 v93, -v91, v92, 1.0
	s_delay_alu instid0(VALU_DEP_1) | instskip(SKIP_1) | instid1(VALU_DEP_2)
	v_dual_fmac_f32 v92, v93, v92 :: v_dual_cndmask_b32 v93, v100, v99
	v_cmp_eq_u32_e32 vcc_lo, 3, v66
	v_cndmask_b32_e64 v93, v93, v101, s3
	v_cmp_eq_u32_e64 s3, 4, v66
	s_delay_alu instid0(VALU_DEP_2) | instskip(SKIP_1) | instid1(VALU_DEP_2)
	v_cndmask_b32_e32 v93, v93, v102, vcc_lo
	v_cmp_eq_u32_e32 vcc_lo, 5, v66
	v_cndmask_b32_e64 v93, v93, v97, s3
	v_cmp_eq_u32_e64 s3, 6, v66
	s_delay_alu instid0(VALU_DEP_2) | instskip(SKIP_1) | instid1(VALU_DEP_1)
	v_cndmask_b32_e32 v93, v93, v95, vcc_lo
	v_div_scale_f32 v94, s4, 1.0, v90, 1.0
	s_mov_b32 vcc_lo, s4
	s_delay_alu instid0(VALU_DEP_2) | instskip(NEXT) | instid1(VALU_DEP_2)
	v_cndmask_b32_e64 v82, v93, v82, s3
	v_mul_f32_e32 v96, v94, v92
	s_mov_b32 s3, exec_lo
	s_delay_alu instid0(VALU_DEP_2) | instskip(NEXT) | instid1(VALU_DEP_2)
	v_cndmask_b32_e64 v82, v82, v89, s5
	v_fma_f32 v98, -v91, v96, v94
	s_delay_alu instid0(VALU_DEP_1) | instskip(NEXT) | instid1(VALU_DEP_1)
	v_fmac_f32_e32 v96, v98, v92
	v_fma_f32 v91, -v91, v96, v94
	s_delay_alu instid0(VALU_DEP_1) | instskip(NEXT) | instid1(VALU_DEP_1)
	v_div_fmas_f32 v91, v91, v92, v96
	v_div_fixup_f32 v90, v91, v90, 1.0
	s_delay_alu instid0(VALU_DEP_1) | instskip(NEXT) | instid1(VALU_DEP_1)
	v_mul_f32_e32 v82, v82, v90
	v_mul_f32_e32 v87, v82, v87
	;; [unrolled: 1-line block ×7, first 2 shown]
	v_dual_mul_f32 v86, v82, v83 :: v_dual_and_b32 v91, 0x7f800000, v90
	v_mul_f32_e32 v85, v82, v76
                                        ; implicit-def: $vgpr76
	s_delay_alu instid0(VALU_DEP_2)
	v_cmpx_ne_u32_e32 0x7f800000, v91
	s_xor_b32 s3, exec_lo, s3
; %bb.13:
	v_bfe_u32 v76, v90, 16, 1
	s_delay_alu instid0(VALU_DEP_1)
	v_add3_u32 v76, v90, v76, 0x7fff
                                        ; implicit-def: $vgpr90
; %bb.14:
	s_and_not1_saveexec_b32 s3, s3
; %bb.15:
	v_and_b32_e32 v76, 0xffff, v90
	v_or_b32_e32 v83, 0x10000, v90
	s_delay_alu instid0(VALU_DEP_2) | instskip(NEXT) | instid1(VALU_DEP_2)
	v_cmp_eq_u32_e32 vcc_lo, 0, v76
	v_cndmask_b32_e32 v76, v83, v90, vcc_lo
; %bb.16:
	s_or_b32 exec_lo, exec_lo, s3
	v_and_b32_e32 v83, 0x7f800000, v85
	s_delay_alu instid0(VALU_DEP_1) | instskip(SKIP_1) | instid1(SALU_CYCLE_1)
	v_cmp_ne_u32_e32 vcc_lo, 0x7f800000, v83
                                        ; implicit-def: $vgpr83
	s_and_saveexec_b32 s3, vcc_lo
	s_xor_b32 s3, exec_lo, s3
; %bb.17:
	v_bfe_u32 v83, v85, 16, 1
	s_delay_alu instid0(VALU_DEP_1)
	v_add3_u32 v83, v85, v83, 0x7fff
                                        ; implicit-def: $vgpr85
; %bb.18:
	s_and_not1_saveexec_b32 s3, s3
; %bb.19:
	v_and_b32_e32 v83, 0xffff, v85
	v_or_b32_e32 v90, 0x10000, v85
	s_delay_alu instid0(VALU_DEP_2) | instskip(NEXT) | instid1(VALU_DEP_2)
	v_cmp_eq_u32_e32 vcc_lo, 0, v83
	v_cndmask_b32_e32 v83, v90, v85, vcc_lo
; %bb.20:
	s_or_b32 exec_lo, exec_lo, s3
	v_and_b32_e32 v85, 0x7f800000, v86
	s_delay_alu instid0(VALU_DEP_1) | instskip(SKIP_1) | instid1(SALU_CYCLE_1)
	v_cmp_ne_u32_e32 vcc_lo, 0x7f800000, v85
                                        ; implicit-def: $vgpr85
	s_and_saveexec_b32 s3, vcc_lo
	s_xor_b32 s3, exec_lo, s3
; %bb.21:
	v_bfe_u32 v85, v86, 16, 1
	s_delay_alu instid0(VALU_DEP_1)
	v_add3_u32 v85, v86, v85, 0x7fff
                                        ; implicit-def: $vgpr86
; %bb.22:
	s_and_not1_saveexec_b32 s3, s3
; %bb.23:
	v_and_b32_e32 v85, 0xffff, v86
	v_or_b32_e32 v90, 0x10000, v86
	s_delay_alu instid0(VALU_DEP_2) | instskip(NEXT) | instid1(VALU_DEP_2)
	v_cmp_eq_u32_e32 vcc_lo, 0, v85
	v_cndmask_b32_e32 v85, v90, v86, vcc_lo
; %bb.24:
	s_or_b32 exec_lo, exec_lo, s3
	v_and_b32_e32 v86, 0x7f800000, v89
	s_delay_alu instid0(VALU_DEP_1) | instskip(SKIP_1) | instid1(SALU_CYCLE_1)
	v_cmp_ne_u32_e32 vcc_lo, 0x7f800000, v86
                                        ; implicit-def: $vgpr86
	s_and_saveexec_b32 s3, vcc_lo
	s_xor_b32 s3, exec_lo, s3
; %bb.25:
	v_bfe_u32 v86, v89, 16, 1
	s_delay_alu instid0(VALU_DEP_1)
	v_add3_u32 v86, v89, v86, 0x7fff
                                        ; implicit-def: $vgpr89
; %bb.26:
	s_and_not1_saveexec_b32 s3, s3
; %bb.27:
	v_and_b32_e32 v86, 0xffff, v89
	v_or_b32_e32 v90, 0x10000, v89
	s_delay_alu instid0(VALU_DEP_2) | instskip(NEXT) | instid1(VALU_DEP_2)
	v_cmp_eq_u32_e32 vcc_lo, 0, v86
	v_cndmask_b32_e32 v86, v90, v89, vcc_lo
; %bb.28:
	s_or_b32 exec_lo, exec_lo, s3
	v_and_b32_e32 v89, 0x7f800000, v88
	s_delay_alu instid0(VALU_DEP_1) | instskip(SKIP_1) | instid1(SALU_CYCLE_1)
	v_cmp_ne_u32_e32 vcc_lo, 0x7f800000, v89
                                        ; implicit-def: $vgpr89
	s_and_saveexec_b32 s3, vcc_lo
	s_xor_b32 s3, exec_lo, s3
; %bb.29:
	v_bfe_u32 v89, v88, 16, 1
	s_delay_alu instid0(VALU_DEP_1)
	v_add3_u32 v89, v88, v89, 0x7fff
                                        ; implicit-def: $vgpr88
; %bb.30:
	s_and_not1_saveexec_b32 s3, s3
; %bb.31:
	v_and_b32_e32 v89, 0xffff, v88
	v_or_b32_e32 v90, 0x10000, v88
	s_delay_alu instid0(VALU_DEP_2) | instskip(NEXT) | instid1(VALU_DEP_2)
	v_cmp_eq_u32_e32 vcc_lo, 0, v89
	v_cndmask_b32_e32 v89, v90, v88, vcc_lo
; %bb.32:
	s_or_b32 exec_lo, exec_lo, s3
	v_and_b32_e32 v88, 0x7f800000, v87
	s_delay_alu instid0(VALU_DEP_1) | instskip(SKIP_1) | instid1(SALU_CYCLE_1)
	v_cmp_ne_u32_e32 vcc_lo, 0x7f800000, v88
                                        ; implicit-def: $vgpr88
	s_and_saveexec_b32 s3, vcc_lo
	s_xor_b32 s3, exec_lo, s3
; %bb.33:
	v_bfe_u32 v88, v87, 16, 1
	s_delay_alu instid0(VALU_DEP_1)
	v_add3_u32 v88, v87, v88, 0x7fff
                                        ; implicit-def: $vgpr87
; %bb.34:
	s_and_not1_saveexec_b32 s3, s3
; %bb.35:
	v_and_b32_e32 v88, 0xffff, v87
	v_or_b32_e32 v90, 0x10000, v87
	s_delay_alu instid0(VALU_DEP_2) | instskip(NEXT) | instid1(VALU_DEP_2)
	v_cmp_eq_u32_e32 vcc_lo, 0, v88
	v_cndmask_b32_e32 v88, v90, v87, vcc_lo
; %bb.36:
	s_or_b32 exec_lo, exec_lo, s3
	v_and_b32_e32 v87, 0x7f800000, v84
	s_delay_alu instid0(VALU_DEP_1) | instskip(SKIP_1) | instid1(SALU_CYCLE_1)
	v_cmp_ne_u32_e32 vcc_lo, 0x7f800000, v87
                                        ; implicit-def: $vgpr87
	s_and_saveexec_b32 s3, vcc_lo
	s_xor_b32 s3, exec_lo, s3
; %bb.37:
	v_bfe_u32 v87, v84, 16, 1
	s_delay_alu instid0(VALU_DEP_1)
	v_add3_u32 v87, v84, v87, 0x7fff
                                        ; implicit-def: $vgpr84
; %bb.38:
	s_and_not1_saveexec_b32 s3, s3
; %bb.39:
	v_and_b32_e32 v87, 0xffff, v84
	v_or_b32_e32 v90, 0x10000, v84
	s_delay_alu instid0(VALU_DEP_2) | instskip(NEXT) | instid1(VALU_DEP_2)
	v_cmp_eq_u32_e32 vcc_lo, 0, v87
	v_cndmask_b32_e32 v87, v90, v84, vcc_lo
; %bb.40:
	s_or_b32 exec_lo, exec_lo, s3
	v_and_b32_e32 v84, 0x7f800000, v80
	s_delay_alu instid0(VALU_DEP_1) | instskip(SKIP_1) | instid1(SALU_CYCLE_1)
	v_cmp_ne_u32_e32 vcc_lo, 0x7f800000, v84
                                        ; implicit-def: $vgpr84
	s_and_saveexec_b32 s3, vcc_lo
	s_xor_b32 s3, exec_lo, s3
; %bb.41:
	v_bfe_u32 v84, v80, 16, 1
	s_delay_alu instid0(VALU_DEP_1)
	v_add3_u32 v84, v80, v84, 0x7fff
                                        ; implicit-def: $vgpr80
; %bb.42:
	s_and_not1_saveexec_b32 s3, s3
; %bb.43:
	v_and_b32_e32 v84, 0xffff, v80
	v_or_b32_e32 v90, 0x10000, v80
	s_delay_alu instid0(VALU_DEP_2) | instskip(NEXT) | instid1(VALU_DEP_2)
	v_cmp_eq_u32_e32 vcc_lo, 0, v84
	v_cndmask_b32_e32 v84, v90, v80, vcc_lo
; %bb.44:
	s_or_b32 exec_lo, exec_lo, s3
	s_load_b64 s[34:35], s[0:1], 0x94
	v_lshlrev_b32_e32 v91, 4, v74
	s_delay_alu instid0(VALU_DEP_2)
	v_perm_b32 v90, v84, v87, 0x7060302
	v_dual_mul_f32 v79, v82, v79 :: v_dual_lshlrev_b32 v80, 6, v65
	v_dual_mul_f32 v77, v82, v77 :: v_dual_lshlrev_b32 v92, 11, v66
	v_mul_f32_e32 v84, v82, v70
	v_perm_b32 v89, v88, v89, 0x7060302
	v_perm_b32 v88, v86, v85, 0x7060302
	;; [unrolled: 1-line block ×3, first 2 shown]
	v_mul_f32_e32 v70, v82, v81
	v_or3_b32 v76, v91, v92, v80
	v_dual_mul_f32 v78, v82, v78 :: v_dual_and_b32 v85, 0x7f800000, v84
	v_mul_f32_e32 v83, v82, v72
	v_mul_f32_e32 v81, v82, v71
	;; [unrolled: 1-line block ×3, first 2 shown]
	s_mov_b32 s3, exec_lo
	ds_store_b128 v76, v[87:90]
                                        ; implicit-def: $vgpr69
	v_cmpx_ne_u32_e32 0x7f800000, v85
	s_xor_b32 s3, exec_lo, s3
; %bb.45:
	v_bfe_u32 v69, v84, 16, 1
	s_delay_alu instid0(VALU_DEP_1)
	v_add3_u32 v69, v84, v69, 0x7fff
                                        ; implicit-def: $vgpr84
; %bb.46:
	s_and_not1_saveexec_b32 s3, s3
; %bb.47:
	v_and_b32_e32 v69, 0xffff, v84
	v_or_b32_e32 v71, 0x10000, v84
	s_delay_alu instid0(VALU_DEP_2) | instskip(NEXT) | instid1(VALU_DEP_2)
	v_cmp_eq_u32_e32 vcc_lo, 0, v69
	v_cndmask_b32_e32 v69, v71, v84, vcc_lo
; %bb.48:
	s_or_b32 exec_lo, exec_lo, s3
	v_and_b32_e32 v71, 0x7f800000, v72
	s_delay_alu instid0(VALU_DEP_1) | instskip(SKIP_1) | instid1(SALU_CYCLE_1)
	v_cmp_ne_u32_e32 vcc_lo, 0x7f800000, v71
                                        ; implicit-def: $vgpr71
	s_and_saveexec_b32 s3, vcc_lo
	s_xor_b32 s3, exec_lo, s3
; %bb.49:
	v_bfe_u32 v71, v72, 16, 1
	s_delay_alu instid0(VALU_DEP_1)
	v_add3_u32 v71, v72, v71, 0x7fff
                                        ; implicit-def: $vgpr72
; %bb.50:
	s_and_not1_saveexec_b32 s3, s3
; %bb.51:
	v_and_b32_e32 v71, 0xffff, v72
	v_or_b32_e32 v82, 0x10000, v72
	s_delay_alu instid0(VALU_DEP_2) | instskip(NEXT) | instid1(VALU_DEP_2)
	v_cmp_eq_u32_e32 vcc_lo, 0, v71
	v_cndmask_b32_e32 v71, v82, v72, vcc_lo
; %bb.52:
	s_or_b32 exec_lo, exec_lo, s3
	v_and_b32_e32 v72, 0x7f800000, v81
	s_delay_alu instid0(VALU_DEP_1) | instskip(SKIP_1) | instid1(SALU_CYCLE_1)
	v_cmp_ne_u32_e32 vcc_lo, 0x7f800000, v72
                                        ; implicit-def: $vgpr72
	s_and_saveexec_b32 s3, vcc_lo
	s_xor_b32 s3, exec_lo, s3
; %bb.53:
	v_bfe_u32 v72, v81, 16, 1
	s_delay_alu instid0(VALU_DEP_1)
	v_add3_u32 v72, v81, v72, 0x7fff
                                        ; implicit-def: $vgpr81
; %bb.54:
	s_and_not1_saveexec_b32 s3, s3
; %bb.55:
	v_and_b32_e32 v72, 0xffff, v81
	v_or_b32_e32 v82, 0x10000, v81
	s_delay_alu instid0(VALU_DEP_2) | instskip(NEXT) | instid1(VALU_DEP_2)
	v_cmp_eq_u32_e32 vcc_lo, 0, v72
	v_cndmask_b32_e32 v72, v82, v81, vcc_lo
; %bb.56:
	s_or_b32 exec_lo, exec_lo, s3
	v_and_b32_e32 v81, 0x7f800000, v83
	s_delay_alu instid0(VALU_DEP_1) | instskip(SKIP_1) | instid1(SALU_CYCLE_1)
	v_cmp_ne_u32_e32 vcc_lo, 0x7f800000, v81
                                        ; implicit-def: $vgpr81
	s_and_saveexec_b32 s3, vcc_lo
	s_xor_b32 s3, exec_lo, s3
; %bb.57:
	v_bfe_u32 v81, v83, 16, 1
	s_delay_alu instid0(VALU_DEP_1)
	v_add3_u32 v81, v83, v81, 0x7fff
                                        ; implicit-def: $vgpr83
; %bb.58:
	s_and_not1_saveexec_b32 s3, s3
; %bb.59:
	v_and_b32_e32 v81, 0xffff, v83
	v_or_b32_e32 v82, 0x10000, v83
	s_delay_alu instid0(VALU_DEP_2) | instskip(NEXT) | instid1(VALU_DEP_2)
	v_cmp_eq_u32_e32 vcc_lo, 0, v81
	v_cndmask_b32_e32 v81, v82, v83, vcc_lo
; %bb.60:
	s_or_b32 exec_lo, exec_lo, s3
	v_and_b32_e32 v82, 0x7f800000, v77
	s_delay_alu instid0(VALU_DEP_1) | instskip(SKIP_1) | instid1(SALU_CYCLE_1)
	v_cmp_ne_u32_e32 vcc_lo, 0x7f800000, v82
                                        ; implicit-def: $vgpr82
	s_and_saveexec_b32 s3, vcc_lo
	s_xor_b32 s3, exec_lo, s3
; %bb.61:
	v_bfe_u32 v82, v77, 16, 1
	s_delay_alu instid0(VALU_DEP_1)
	v_add3_u32 v82, v77, v82, 0x7fff
                                        ; implicit-def: $vgpr77
; %bb.62:
	s_and_not1_saveexec_b32 s3, s3
; %bb.63:
	v_and_b32_e32 v82, 0xffff, v77
	v_or_b32_e32 v83, 0x10000, v77
	s_delay_alu instid0(VALU_DEP_2) | instskip(NEXT) | instid1(VALU_DEP_2)
	v_cmp_eq_u32_e32 vcc_lo, 0, v82
	v_cndmask_b32_e32 v82, v83, v77, vcc_lo
; %bb.64:
	s_or_b32 exec_lo, exec_lo, s3
	v_and_b32_e32 v77, 0x7f800000, v78
	s_delay_alu instid0(VALU_DEP_1) | instskip(SKIP_1) | instid1(SALU_CYCLE_1)
	v_cmp_ne_u32_e32 vcc_lo, 0x7f800000, v77
                                        ; implicit-def: $vgpr77
	s_and_saveexec_b32 s3, vcc_lo
	s_xor_b32 s3, exec_lo, s3
; %bb.65:
	v_bfe_u32 v77, v78, 16, 1
	s_delay_alu instid0(VALU_DEP_1)
	v_add3_u32 v77, v78, v77, 0x7fff
                                        ; implicit-def: $vgpr78
; %bb.66:
	s_and_not1_saveexec_b32 s3, s3
; %bb.67:
	v_and_b32_e32 v77, 0xffff, v78
	v_or_b32_e32 v83, 0x10000, v78
	s_delay_alu instid0(VALU_DEP_2) | instskip(NEXT) | instid1(VALU_DEP_2)
	v_cmp_eq_u32_e32 vcc_lo, 0, v77
	v_cndmask_b32_e32 v77, v83, v78, vcc_lo
; %bb.68:
	s_or_b32 exec_lo, exec_lo, s3
	v_and_b32_e32 v78, 0x7f800000, v79
	s_delay_alu instid0(VALU_DEP_1) | instskip(SKIP_1) | instid1(SALU_CYCLE_1)
	v_cmp_ne_u32_e32 vcc_lo, 0x7f800000, v78
                                        ; implicit-def: $vgpr78
	s_and_saveexec_b32 s3, vcc_lo
	s_xor_b32 s3, exec_lo, s3
; %bb.69:
	v_bfe_u32 v78, v79, 16, 1
	s_delay_alu instid0(VALU_DEP_1)
	v_add3_u32 v78, v79, v78, 0x7fff
                                        ; implicit-def: $vgpr79
; %bb.70:
	s_and_not1_saveexec_b32 s3, s3
; %bb.71:
	v_and_b32_e32 v78, 0xffff, v79
	v_or_b32_e32 v83, 0x10000, v79
	s_delay_alu instid0(VALU_DEP_2) | instskip(NEXT) | instid1(VALU_DEP_2)
	v_cmp_eq_u32_e32 vcc_lo, 0, v78
	v_cndmask_b32_e32 v78, v83, v79, vcc_lo
; %bb.72:
	s_or_b32 exec_lo, exec_lo, s3
	v_and_b32_e32 v79, 0x7f800000, v70
	s_delay_alu instid0(VALU_DEP_1) | instskip(SKIP_1) | instid1(SALU_CYCLE_1)
	v_cmp_ne_u32_e32 vcc_lo, 0x7f800000, v79
                                        ; implicit-def: $vgpr79
	s_and_saveexec_b32 s3, vcc_lo
	s_xor_b32 s3, exec_lo, s3
; %bb.73:
	v_bfe_u32 v79, v70, 16, 1
	s_delay_alu instid0(VALU_DEP_1)
	v_add3_u32 v79, v70, v79, 0x7fff
                                        ; implicit-def: $vgpr70
; %bb.74:
	s_and_not1_saveexec_b32 s3, s3
; %bb.75:
	v_and_b32_e32 v79, 0xffff, v70
	v_or_b32_e32 v83, 0x10000, v70
	s_delay_alu instid0(VALU_DEP_2) | instskip(NEXT) | instid1(VALU_DEP_2)
	v_cmp_eq_u32_e32 vcc_lo, 0, v79
	v_cndmask_b32_e32 v79, v83, v70, vcc_lo
; %bb.76:
	s_or_b32 exec_lo, exec_lo, s3
	s_delay_alu instid0(VALU_DEP_1)
	v_perm_b32 v86, v79, v78, 0x7060302
	v_perm_b32 v85, v77, v82, 0x7060302
	;; [unrolled: 1-line block ×4, first 2 shown]
	v_lshl_or_b32 v82, v66, 11, v80
	ds_store_b128 v76, v[83:86] offset:1024
	s_waitcnt lgkmcnt(0)
	s_barrier
	buffer_gl0_inv
	ds_load_b128 v[69:72], v82
	ds_load_b128 v[83:86], v82 offset:16
	s_waitcnt lgkmcnt(1)
	v_lshrrev_b32_e32 v66, 16, v69
	s_waitcnt lgkmcnt(0)
	v_lshrrev_b32_e32 v91, 16, v83
	v_lshlrev_b32_e32 v78, 2, v74
	v_lshrrev_b32_e32 v95, 16, v70
	v_lshrrev_b32_e32 v98, 16, v84
	;; [unrolled: 1-line block ×4, first 2 shown]
	v_cmp_eq_u32_e32 vcc_lo, 1, v78
	v_lshrrev_b32_e32 v97, 16, v72
	v_lshrrev_b32_e32 v100, 16, v86
	v_cndmask_b32_e32 v87, v83, v91, vcc_lo
	v_or_b32_e32 v79, 1, v78
	v_cndmask_b32_e32 v81, v69, v66, vcc_lo
	v_cmp_eq_u32_e64 s4, 2, v78
	v_cmp_eq_u32_e64 s7, 3, v78
	;; [unrolled: 1-line block ×5, first 2 shown]
	v_cndmask_b32_e64 v81, v81, v70, s4
	v_cndmask_b32_e64 v87, v87, v84, s4
	v_cmp_eq_u32_e64 s8, 3, v79
	v_cndmask_b32_e64 v88, v69, v66, s3
	v_or_b32_e32 v77, 2, v78
	v_cndmask_b32_e64 v81, v81, v95, s7
	v_cndmask_b32_e64 v87, v87, v98, s7
	;; [unrolled: 1-line block ×4, first 2 shown]
	v_cmp_eq_u32_e64 s10, 5, v78
	v_cndmask_b32_e64 v81, v81, v71, s9
	v_cndmask_b32_e64 v87, v87, v85, s9
	v_cmp_eq_u32_e64 s11, 4, v79
	v_cndmask_b32_e64 v88, v88, v95, s8
	v_cmp_eq_u32_e64 s5, 1, v77
	v_cndmask_b32_e64 v89, v89, v84, s6
	v_cndmask_b32_e64 v81, v81, v96, s10
	v_cmp_eq_u32_e64 s12, 6, v78
	v_cndmask_b32_e64 v88, v88, v71, s11
	;; [unrolled: 3-line block ×3, first 2 shown]
	v_cndmask_b32_e64 v89, v89, v98, s8
	v_cndmask_b32_e64 v81, v81, v72, s12
	v_cmp_eq_u32_e64 s15, 7, v78
	v_cndmask_b32_e64 v88, v88, v96, s13
	v_cndmask_b32_e64 v87, v87, v86, s12
	v_cmp_eq_u32_e64 s16, 6, v79
	v_cmp_eq_u32_e64 s17, 2, v77
	v_cndmask_b32_e64 v89, v89, v85, s11
	v_cndmask_b32_e64 v101, v81, v97, s15
	;; [unrolled: 1-line block ×6, first 2 shown]
	v_cmp_eq_u32_e64 s18, 7, v79
	v_cmp_eq_u32_e64 s19, 3, v77
	;; [unrolled: 1-line block ×4, first 2 shown]
	v_cndmask_b32_e64 v87, v87, v84, s17
	v_cndmask_b32_e64 v103, v88, v97, s18
	;; [unrolled: 1-line block ×4, first 2 shown]
	v_or_b32_e32 v81, 3, v78
	v_cndmask_b32_e64 v93, v87, v98, s19
	v_cmp_eq_u32_e64 s24, 6, v77
	v_cndmask_b32_e64 v104, v88, v86, s16
	v_cndmask_b32_e64 v92, v89, v71, s20
	v_cmp_eq_u32_e64 s21, 1, v81
	ds_load_b128 v[87:90], v82 offset:1024
	v_cmp_eq_u32_e64 s23, 2, v81
	v_cmp_eq_u32_e64 s25, 3, v81
	v_cndmask_b32_e64 v105, v92, v96, s22
	v_cndmask_b32_e64 v66, v69, v66, s21
	;; [unrolled: 1-line block ×4, first 2 shown]
	ds_load_b128 v[91:94], v82 offset:1040
	v_cmp_eq_u32_e64 s26, 4, v81
	v_cndmask_b32_e64 v66, v66, v70, s23
	v_cmp_eq_u32_e64 s27, 7, v77
	v_cndmask_b32_e64 v70, v83, v84, s23
	v_cndmask_b32_e64 v84, v105, v72, s24
	v_cmp_eq_u32_e64 s28, 5, v81
	v_cndmask_b32_e64 v66, v66, v95, s25
	v_cmp_eq_u32_e64 s29, 6, v81
	v_cndmask_b32_e64 v70, v70, v98, s25
	v_cndmask_b32_e64 v69, v69, v99, s22
	;; [unrolled: 1-line block ×4, first 2 shown]
	s_waitcnt lgkmcnt(1)
	v_lshrrev_b32_e32 v95, 16, v87
	v_cndmask_b32_e64 v70, v70, v85, s26
	v_cndmask_b32_e64 v71, v84, v97, s27
	;; [unrolled: 1-line block ×4, first 2 shown]
	v_cndmask_b32_e32 v84, v87, v95, vcc_lo
	v_cndmask_b32_e64 v70, v70, v99, s28
	s_waitcnt lgkmcnt(0)
	v_lshrrev_b32_e32 v85, 16, v91
	v_lshrrev_b32_e32 v96, 16, v88
	v_cndmask_b32_e64 v98, v87, v95, s3
	v_cndmask_b32_e64 v84, v84, v88, s4
	;; [unrolled: 1-line block ×3, first 2 shown]
	v_cndmask_b32_e32 v99, v91, v85, vcc_lo
	v_cmp_eq_u32_e32 vcc_lo, 7, v81
	v_cndmask_b32_e64 v66, v66, v72, s29
	v_cndmask_b32_e64 v72, v84, v96, s7
	;; [unrolled: 1-line block ×3, first 2 shown]
	v_lshrrev_b32_e32 v98, 16, v92
	v_cndmask_b32_e32 v70, v70, v100, vcc_lo
	v_cndmask_b32_e64 v86, v99, v92, s4
	v_cndmask_b32_e64 v69, v69, v100, s27
	v_lshrrev_b32_e32 v100, 16, v93
	v_cndmask_b32_e64 v72, v72, v89, s9
	v_lshrrev_b32_e32 v99, 16, v89
	v_cndmask_b32_e64 v86, v86, v98, s7
	v_perm_b32 v71, v69, v71, 0x5040100
	v_cndmask_b32_e64 v84, v84, v96, s8
	s_delay_alu instid0(VALU_DEP_3) | instskip(NEXT) | instid1(VALU_DEP_2)
	v_cndmask_b32_e64 v86, v86, v93, s9
	v_cndmask_b32_e64 v84, v84, v89, s11
	s_delay_alu instid0(VALU_DEP_2) | instskip(NEXT) | instid1(VALU_DEP_1)
	v_cndmask_b32_e64 v86, v86, v100, s10
	v_cndmask_b32_e64 v69, v86, v94, s12
	;; [unrolled: 1-line block ×5, first 2 shown]
	s_delay_alu instid0(VALU_DEP_3) | instskip(NEXT) | instid1(VALU_DEP_3)
	v_cndmask_b32_e64 v86, v86, v88, s17
	v_cndmask_b32_e64 v87, v87, v88, s23
	s_delay_alu instid0(VALU_DEP_3) | instskip(NEXT) | instid1(VALU_DEP_3)
	v_cndmask_b32_e64 v88, v95, v92, s23
	v_cndmask_b32_e64 v86, v86, v96, s19
	;; [unrolled: 3-line block ×7, first 2 shown]
	s_delay_alu instid0(VALU_DEP_3) | instskip(SKIP_2) | instid1(VALU_DEP_2)
	v_cndmask_b32_e64 v88, v88, v94, s29
	v_cndmask_b32_e32 v66, v66, v97, vcc_lo
	v_cndmask_b32_e64 v97, v72, v99, s10
	v_perm_b32 v72, v70, v66, 0x5040100
	v_perm_b32 v70, v83, v103, 0x5040100
	v_cndmask_b32_e64 v103, v91, v85, s5
	v_cndmask_b32_e64 v85, v91, v85, s3
	;; [unrolled: 1-line block ×4, first 2 shown]
	v_lshrrev_b32_e32 v97, 16, v90
	v_cndmask_b32_e64 v91, v103, v92, s17
	v_cndmask_b32_e64 v85, v85, v92, s6
	v_cndmask_b32_e64 v66, v66, v90, s16
	s_mov_b32 s3, exec_lo
	v_cndmask_b32_e64 v83, v84, v97, s15
	v_cndmask_b32_e64 v91, v91, v98, s19
	;; [unrolled: 1-line block ×3, first 2 shown]
	v_lshrrev_b32_e32 v84, 16, v94
	v_cndmask_b32_e64 v66, v66, v97, s18
	v_cndmask_b32_e64 v90, v86, v97, s27
	;; [unrolled: 1-line block ×4, first 2 shown]
	v_dual_cndmask_b32 v86, v87, v97 :: v_dual_cndmask_b32 v87, v88, v84
	v_cndmask_b32_e64 v91, v69, v84, s15
	s_delay_alu instid0(VALU_DEP_4) | instskip(NEXT) | instid1(VALU_DEP_4)
	v_cndmask_b32_e64 v89, v89, v100, s22
	v_cndmask_b32_e64 v85, v85, v100, s13
	v_perm_b32 v69, v102, v101, 0x5040100
	v_perm_b32 v86, v87, v86, 0x5040100
	;; [unrolled: 1-line block ×3, first 2 shown]
	v_cndmask_b32_e64 v89, v89, v94, s24
	v_cndmask_b32_e64 v85, v85, v94, s16
	s_mul_i32 s8, s35, 15
	s_delay_alu instid0(VALU_DEP_2) | instskip(NEXT) | instid1(VALU_DEP_2)
	v_cndmask_b32_e64 v88, v89, v84, s27
	v_cndmask_b32_e64 v89, v85, v84, s18
	s_delay_alu instid0(VALU_DEP_2) | instskip(NEXT) | instid1(VALU_DEP_2)
	v_perm_b32 v85, v88, v90, 0x5040100
	v_perm_b32 v84, v89, v66, 0x5040100
	ds_store_b128 v76, v[69:72]
	ds_store_b128 v76, v[83:86] offset:1024
	v_cmpx_gt_u32_e32 15, v0
	s_cbranch_execz .LBB1660_78
; %bb.77:
	s_mul_i32 s4, s8, s30
	s_delay_alu instid0(SALU_CYCLE_1) | instskip(SKIP_1) | instid1(VALU_DEP_1)
	v_add3_u32 v69, s4, s31, v65
	s_load_b128 s[4:7], s[0:1], 0x58
	v_mad_u64_u32 v[65:66], null, v69, s34, s[14:15]
	s_delay_alu instid0(VALU_DEP_1) | instskip(NEXT) | instid1(VALU_DEP_1)
	v_ashrrev_i32_e32 v66, 31, v65
	v_lshlrev_b64 v[65:66], 2, v[65:66]
	s_waitcnt lgkmcnt(0)
	s_delay_alu instid0(VALU_DEP_1) | instskip(NEXT) | instid1(VALU_DEP_2)
	v_add_co_u32 v69, vcc_lo, s6, v65
	v_add_co_ci_u32_e32 v70, vcc_lo, s7, v66, vcc_lo
	v_add_co_u32 v65, vcc_lo, s4, v65
	v_add_co_ci_u32_e32 v66, vcc_lo, s5, v66, vcc_lo
	global_store_b32 v[69:70], v67, off
	global_store_b32 v[65:66], v68, off
.LBB1660_78:
	s_or_b32 exec_lo, exec_lo, s3
	s_waitcnt lgkmcnt(0)
	s_waitcnt_vscnt null, 0x0
	s_barrier
	buffer_gl0_inv
	ds_load_b128 v[83:86], v80
	ds_load_b128 v[87:90], v80 offset:16
	ds_load_b128 v[95:98], v80 offset:2064
	;; [unrolled: 1-line block ×3, first 2 shown]
	v_mov_b32_e32 v65, 0
	ds_load_b128 v[103:106], v80 offset:4112
	ds_load_b128 v[99:102], v80 offset:4096
	;; [unrolled: 1-line block ×4, first 2 shown]
	v_mov_b32_e32 v66, v65
	v_mov_b32_e32 v67, v65
	;; [unrolled: 1-line block ×7, first 2 shown]
	s_waitcnt lgkmcnt(6)
	s_delay_alu instid0(VALU_DEP_1)
	v_wmma_f32_16x16x16_bf16 v[65:72], v[49:56], v[83:90], v[65:72]
	ds_load_b128 v[53:56], v80 offset:8208
	ds_load_b128 v[49:52], v80 offset:8192
	s_waitcnt lgkmcnt(6)
	v_wmma_f32_16x16x16_bf16 v[65:72], v[41:48], v[91:98], v[65:72]
	ds_load_b128 v[45:48], v80 offset:10256
	ds_load_b128 v[41:44], v80 offset:10240
	s_waitcnt lgkmcnt(6)
	;; [unrolled: 4-line block ×4, first 2 shown]
	v_wmma_f32_16x16x16_bf16 v[65:72], v[1:8], v[49:56], v[65:72]
	s_waitcnt lgkmcnt(4)
	s_delay_alu instid0(VALU_DEP_1) | instskip(SKIP_1) | instid1(VALU_DEP_1)
	v_wmma_f32_16x16x16_bf16 v[65:72], v[9:16], v[41:48], v[65:72]
	s_waitcnt lgkmcnt(2)
	v_wmma_f32_16x16x16_bf16 v[65:72], v[17:24], v[33:40], v[65:72]
	s_waitcnt lgkmcnt(0)
	s_delay_alu instid0(VALU_DEP_1) | instskip(NEXT) | instid1(VALU_DEP_1)
	v_wmma_f32_16x16x16_bf16 v[65:72], v[57:64], v[25:32], v[65:72]
	v_and_b32_e32 v1, 0x7f800000, v65
	s_delay_alu instid0(VALU_DEP_1) | instskip(SKIP_1) | instid1(SALU_CYCLE_1)
	v_cmp_ne_u32_e32 vcc_lo, 0x7f800000, v1
                                        ; implicit-def: $vgpr1
	s_and_saveexec_b32 s3, vcc_lo
	s_xor_b32 s3, exec_lo, s3
; %bb.79:
	v_bfe_u32 v1, v65, 16, 1
	s_delay_alu instid0(VALU_DEP_1)
	v_add3_u32 v1, v65, v1, 0x7fff
; %bb.80:
	s_and_not1_saveexec_b32 s3, s3
; %bb.81:
	v_and_b32_e32 v1, 0xffff, v65
	v_or_b32_e32 v2, 0x10000, v65
	s_delay_alu instid0(VALU_DEP_2) | instskip(NEXT) | instid1(VALU_DEP_2)
	v_cmp_eq_u32_e32 vcc_lo, 0, v1
	v_cndmask_b32_e32 v1, v2, v65, vcc_lo
; %bb.82:
	s_or_b32 exec_lo, exec_lo, s3
	v_and_b32_e32 v2, 0x7f800000, v66
	s_delay_alu instid0(VALU_DEP_1) | instskip(SKIP_1) | instid1(SALU_CYCLE_1)
	v_cmp_ne_u32_e32 vcc_lo, 0x7f800000, v2
                                        ; implicit-def: $vgpr2
	s_and_saveexec_b32 s3, vcc_lo
	s_xor_b32 s3, exec_lo, s3
; %bb.83:
	v_bfe_u32 v2, v66, 16, 1
	s_delay_alu instid0(VALU_DEP_1)
	v_add3_u32 v2, v66, v2, 0x7fff
; %bb.84:
	s_and_not1_saveexec_b32 s3, s3
; %bb.85:
	v_and_b32_e32 v2, 0xffff, v66
	v_or_b32_e32 v3, 0x10000, v66
	s_delay_alu instid0(VALU_DEP_2) | instskip(NEXT) | instid1(VALU_DEP_2)
	v_cmp_eq_u32_e32 vcc_lo, 0, v2
	v_cndmask_b32_e32 v2, v3, v66, vcc_lo
; %bb.86:
	s_or_b32 exec_lo, exec_lo, s3
	v_and_b32_e32 v3, 0x7f800000, v67
	s_delay_alu instid0(VALU_DEP_1) | instskip(SKIP_1) | instid1(SALU_CYCLE_1)
	v_cmp_ne_u32_e32 vcc_lo, 0x7f800000, v3
                                        ; implicit-def: $vgpr3
	s_and_saveexec_b32 s3, vcc_lo
	s_xor_b32 s3, exec_lo, s3
; %bb.87:
	v_bfe_u32 v3, v67, 16, 1
	s_delay_alu instid0(VALU_DEP_1)
	v_add3_u32 v3, v67, v3, 0x7fff
; %bb.88:
	s_and_not1_saveexec_b32 s3, s3
; %bb.89:
	v_and_b32_e32 v3, 0xffff, v67
	v_or_b32_e32 v4, 0x10000, v67
	s_delay_alu instid0(VALU_DEP_2) | instskip(NEXT) | instid1(VALU_DEP_2)
	v_cmp_eq_u32_e32 vcc_lo, 0, v3
	v_cndmask_b32_e32 v3, v4, v67, vcc_lo
; %bb.90:
	s_or_b32 exec_lo, exec_lo, s3
	v_and_b32_e32 v4, 0x7f800000, v68
	s_delay_alu instid0(VALU_DEP_1) | instskip(SKIP_1) | instid1(SALU_CYCLE_1)
	v_cmp_ne_u32_e32 vcc_lo, 0x7f800000, v4
                                        ; implicit-def: $vgpr4
	s_and_saveexec_b32 s3, vcc_lo
	s_xor_b32 s3, exec_lo, s3
; %bb.91:
	v_bfe_u32 v4, v68, 16, 1
	s_delay_alu instid0(VALU_DEP_1)
	v_add3_u32 v4, v68, v4, 0x7fff
; %bb.92:
	s_and_not1_saveexec_b32 s3, s3
; %bb.93:
	v_and_b32_e32 v4, 0xffff, v68
	v_or_b32_e32 v5, 0x10000, v68
	s_delay_alu instid0(VALU_DEP_2) | instskip(NEXT) | instid1(VALU_DEP_2)
	v_cmp_eq_u32_e32 vcc_lo, 0, v4
	v_cndmask_b32_e32 v4, v5, v68, vcc_lo
; %bb.94:
	s_or_b32 exec_lo, exec_lo, s3
	v_and_b32_e32 v5, 0x7f800000, v69
	s_delay_alu instid0(VALU_DEP_1) | instskip(SKIP_1) | instid1(SALU_CYCLE_1)
	v_cmp_ne_u32_e32 vcc_lo, 0x7f800000, v5
                                        ; implicit-def: $vgpr5
	s_and_saveexec_b32 s3, vcc_lo
	s_xor_b32 s3, exec_lo, s3
; %bb.95:
	v_bfe_u32 v5, v69, 16, 1
	s_delay_alu instid0(VALU_DEP_1)
	v_add3_u32 v5, v69, v5, 0x7fff
; %bb.96:
	s_and_not1_saveexec_b32 s3, s3
; %bb.97:
	v_and_b32_e32 v5, 0xffff, v69
	v_or_b32_e32 v6, 0x10000, v69
	s_delay_alu instid0(VALU_DEP_2) | instskip(NEXT) | instid1(VALU_DEP_2)
	v_cmp_eq_u32_e32 vcc_lo, 0, v5
	v_cndmask_b32_e32 v5, v6, v69, vcc_lo
; %bb.98:
	s_or_b32 exec_lo, exec_lo, s3
	v_and_b32_e32 v6, 0x7f800000, v70
	s_delay_alu instid0(VALU_DEP_1) | instskip(SKIP_1) | instid1(SALU_CYCLE_1)
	v_cmp_ne_u32_e32 vcc_lo, 0x7f800000, v6
                                        ; implicit-def: $vgpr6
	s_and_saveexec_b32 s3, vcc_lo
	s_xor_b32 s3, exec_lo, s3
; %bb.99:
	v_bfe_u32 v6, v70, 16, 1
	s_delay_alu instid0(VALU_DEP_1)
	v_add3_u32 v6, v70, v6, 0x7fff
; %bb.100:
	s_and_not1_saveexec_b32 s3, s3
; %bb.101:
	v_and_b32_e32 v6, 0xffff, v70
	v_or_b32_e32 v7, 0x10000, v70
	s_delay_alu instid0(VALU_DEP_2) | instskip(NEXT) | instid1(VALU_DEP_2)
	v_cmp_eq_u32_e32 vcc_lo, 0, v6
	v_cndmask_b32_e32 v6, v7, v70, vcc_lo
; %bb.102:
	s_or_b32 exec_lo, exec_lo, s3
	v_and_b32_e32 v7, 0x7f800000, v71
	s_delay_alu instid0(VALU_DEP_1) | instskip(SKIP_1) | instid1(SALU_CYCLE_1)
	v_cmp_ne_u32_e32 vcc_lo, 0x7f800000, v7
                                        ; implicit-def: $vgpr7
	s_and_saveexec_b32 s3, vcc_lo
	s_xor_b32 s3, exec_lo, s3
; %bb.103:
	v_bfe_u32 v7, v71, 16, 1
	s_delay_alu instid0(VALU_DEP_1)
	v_add3_u32 v7, v71, v7, 0x7fff
; %bb.104:
	s_and_not1_saveexec_b32 s3, s3
; %bb.105:
	v_and_b32_e32 v7, 0xffff, v71
	v_or_b32_e32 v8, 0x10000, v71
	s_delay_alu instid0(VALU_DEP_2) | instskip(NEXT) | instid1(VALU_DEP_2)
	v_cmp_eq_u32_e32 vcc_lo, 0, v7
	v_cndmask_b32_e32 v7, v8, v71, vcc_lo
; %bb.106:
	s_or_b32 exec_lo, exec_lo, s3
	v_and_b32_e32 v8, 0x7f800000, v72
	s_delay_alu instid0(VALU_DEP_1) | instskip(SKIP_1) | instid1(SALU_CYCLE_1)
	v_cmp_ne_u32_e32 vcc_lo, 0x7f800000, v8
                                        ; implicit-def: $vgpr8
	s_and_saveexec_b32 s3, vcc_lo
	s_xor_b32 s3, exec_lo, s3
; %bb.107:
	v_bfe_u32 v8, v72, 16, 1
	s_delay_alu instid0(VALU_DEP_1)
	v_add3_u32 v8, v72, v8, 0x7fff
                                        ; implicit-def: $vgpr65_vgpr66_vgpr67_vgpr68_vgpr69_vgpr70_vgpr71_vgpr72
; %bb.108:
	s_and_not1_saveexec_b32 s3, s3
; %bb.109:
	v_and_b32_e32 v8, 0xffff, v72
	v_or_b32_e32 v9, 0x10000, v72
	s_delay_alu instid0(VALU_DEP_2) | instskip(NEXT) | instid1(VALU_DEP_2)
	v_cmp_eq_u32_e32 vcc_lo, 0, v8
	v_cndmask_b32_e32 v8, v9, v72, vcc_lo
; %bb.110:
	s_or_b32 exec_lo, exec_lo, s3
	s_delay_alu instid0(VALU_DEP_1)
	v_perm_b32 v7, v8, v7, 0x7060302
	v_perm_b32 v6, v6, v5, 0x7060302
	v_perm_b32 v5, v4, v3, 0x7060302
	v_perm_b32 v4, v2, v1, 0x7060302
	s_barrier
	buffer_gl0_inv
	v_cmp_eq_u32_e32 vcc_lo, 1, v78
	ds_store_b128 v76, v[4:7]
	s_waitcnt lgkmcnt(0)
	s_barrier
	buffer_gl0_inv
	ds_load_b128 v[1:4], v82
	ds_load_b128 v[5:8], v82 offset:16
	v_cmp_eq_u32_e64 s3, 1, v79
	v_cmp_eq_u32_e64 s4, 2, v78
	;; [unrolled: 1-line block ×5, first 2 shown]
	s_waitcnt lgkmcnt(1)
	v_lshrrev_b32_e32 v9, 16, v1
	s_waitcnt lgkmcnt(0)
	v_lshrrev_b32_e32 v13, 16, v5
	v_lshrrev_b32_e32 v10, 16, v2
	;; [unrolled: 1-line block ×4, first 2 shown]
	v_cndmask_b32_e64 v19, v1, v9, s3
	v_cndmask_b32_e32 v18, v5, v13, vcc_lo
	v_cndmask_b32_e64 v20, v5, v13, s3
	v_cndmask_b32_e32 v17, v1, v9, vcc_lo
	v_cmp_eq_u32_e32 vcc_lo, 2, v79
	v_lshrrev_b32_e32 v15, 16, v7
	v_cmp_eq_u32_e64 s3, 1, v77
	v_lshrrev_b32_e32 v12, 16, v4
	v_lshrrev_b32_e32 v16, 16, v8
	v_cndmask_b32_e32 v20, v20, v6, vcc_lo
	v_cndmask_b32_e64 v17, v17, v2, s4
	v_cndmask_b32_e32 v19, v19, v2, vcc_lo
	v_cndmask_b32_e64 v18, v18, v6, s4
	v_cmp_eq_u32_e32 vcc_lo, 4, v78
	v_cmp_eq_u32_e64 s4, 3, v79
	v_cndmask_b32_e64 v17, v17, v10, s5
	v_cndmask_b32_e64 v21, v1, v9, s3
	;; [unrolled: 1-line block ×5, first 2 shown]
	v_cndmask_b32_e32 v17, v17, v3, vcc_lo
	v_cndmask_b32_e64 v20, v20, v14, s4
	v_cndmask_b32_e32 v18, v18, v7, vcc_lo
	v_cmp_eq_u32_e32 vcc_lo, 4, v79
	v_cmp_eq_u32_e64 s4, 5, v79
	v_cmp_eq_u32_e64 s3, 2, v81
	v_cndmask_b32_e64 v21, v21, v2, s7
	v_cmp_eq_u32_e64 s5, 5, v78
	v_cndmask_b32_e32 v19, v19, v3, vcc_lo
	v_cndmask_b32_e32 v20, v20, v7, vcc_lo
	v_cmp_eq_u32_e32 vcc_lo, 6, v79
	s_delay_alu instid0(VALU_DEP_4) | instskip(NEXT) | instid1(VALU_DEP_4)
	v_cndmask_b32_e64 v17, v17, v11, s5
	v_cndmask_b32_e64 v19, v19, v11, s4
	s_delay_alu instid0(VALU_DEP_4) | instskip(SKIP_1) | instid1(VALU_DEP_3)
	v_cndmask_b32_e64 v20, v20, v15, s4
	v_cmp_eq_u32_e64 s4, 1, v81
	v_cndmask_b32_e32 v19, v19, v4, vcc_lo
	v_cndmask_b32_e64 v18, v18, v15, s5
	s_delay_alu instid0(VALU_DEP_3)
	v_cndmask_b32_e64 v1, v1, v9, s4
	v_cndmask_b32_e64 v5, v5, v13, s4
	v_cmp_eq_u32_e64 s4, 3, v77
	v_cndmask_b32_e64 v13, v22, v6, s7
	v_cmp_eq_u32_e64 s7, 3, v81
	v_cndmask_b32_e64 v1, v1, v2, s3
	v_cndmask_b32_e64 v2, v5, v6, s3
	;; [unrolled: 1-line block ×3, first 2 shown]
	v_cmp_eq_u32_e64 s3, 4, v77
	v_cndmask_b32_e64 v6, v13, v14, s4
	v_cndmask_b32_e64 v1, v1, v10, s7
	v_cmp_eq_u32_e64 s4, 4, v81
	v_cndmask_b32_e64 v2, v2, v14, s7
	v_cndmask_b32_e64 v5, v9, v3, s3
	;; [unrolled: 3-line block ×3, first 2 shown]
	v_cndmask_b32_e64 v2, v2, v7, s4
	v_cmp_eq_u32_e64 s3, 5, v81
	v_cmp_eq_u32_e64 s5, 6, v78
	v_cndmask_b32_e64 v5, v5, v11, s7
	v_cmp_eq_u32_e64 s4, 6, v77
	v_cndmask_b32_e64 v3, v6, v15, s7
	v_cndmask_b32_e64 v1, v1, v11, s3
	v_cmp_eq_u32_e64 s7, 6, v81
	v_cndmask_b32_e64 v2, v2, v15, s3
	v_cndmask_b32_e64 v17, v17, v4, s5
	v_cndmask_b32_e64 v18, v18, v8, s5
	v_cmp_eq_u32_e64 s5, 7, v78
	v_cndmask_b32_e64 v5, v5, v4, s4
	;; [unrolled: 4-line block ×3, first 2 shown]
	v_cmp_eq_u32_e64 s4, 7, v77
	v_cndmask_b32_e32 v4, v20, v8, vcc_lo
	v_cndmask_b32_e64 v17, v17, v12, s5
	v_cndmask_b32_e64 v19, v19, v12, s6
	;; [unrolled: 1-line block ×8, first 2 shown]
	s_mov_b32 s3, exec_lo
	v_perm_b32 v4, v2, v1, 0x5040100
	v_perm_b32 v3, v3, v5, 0x5040100
	;; [unrolled: 1-line block ×4, first 2 shown]
	ds_store_b128 v76, v[1:4]
	s_waitcnt lgkmcnt(0)
	s_barrier
	buffer_gl0_inv
	v_cmpx_gt_u32_e32 32, v0
	s_cbranch_execz .LBB1660_2
; %bb.111:
	s_load_b64 s[4:5], s[0:1], 0x68
	v_add_nc_u32_e32 v20, s31, v74
	v_lshlrev_b32_e32 v0, 10, v0
	v_lshlrev_b32_e32 v1, 4, v75
	s_lshl_b32 s0, s34, 7
	s_delay_alu instid0(SALU_CYCLE_1)
	s_mul_i32 s1, s0, s30
	v_add_nc_u32_e32 v2, 2, v20
	s_mul_i32 s6, s1, s8
	v_and_or_b32 v0, 0x3800, v0, v1
	v_mul_lo_u32 v1, v20, s0
	s_ashr_i32 s7, s6, 31
	v_mul_lo_u32 v11, v2, s0
	s_lshl_b64 s[6:7], s[6:7], 1
	v_add_nc_u32_e32 v3, 4, v20
	v_lshl_or_b32 v21, v74, 6, v0
	v_add_nc_u32_e32 v16, 6, v20
	v_ashrrev_i32_e32 v2, 31, v1
	s_delay_alu instid0(VALU_DEP_4)
	v_mul_lo_u32 v13, v3, s0
	s_waitcnt lgkmcnt(0)
	s_add_u32 s1, s4, s6
	s_addc_u32 s3, s5, s7
	s_lshl_b32 s4, s14, 7
	ds_load_b128 v[3:6], v21
	ds_load_b128 v[7:10], v21 offset:128
	s_ashr_i32 s5, s4, 31
	v_ashrrev_i32_e32 v12, 31, v11
	s_lshl_b64 s[4:5], s[4:5], 1
	v_lshlrev_b64 v[14:15], 1, v[1:2]
	s_add_u32 s1, s1, s4
	s_addc_u32 s3, s3, s5
	v_add_co_u32 v1, s1, s1, v73
	s_delay_alu instid0(VALU_DEP_1) | instskip(SKIP_1) | instid1(VALU_DEP_3)
	v_add_co_ci_u32_e64 v2, null, s3, 0, s1
	v_lshlrev_b64 v[11:12], 1, v[11:12]
	v_add_co_u32 v18, vcc_lo, v1, v14
	v_mul_lo_u32 v16, v16, s0
	s_delay_alu instid0(VALU_DEP_4) | instskip(NEXT) | instid1(VALU_DEP_4)
	v_add_co_ci_u32_e32 v19, vcc_lo, v2, v15, vcc_lo
	v_add_co_u32 v11, vcc_lo, v1, v11
	v_ashrrev_i32_e32 v14, 31, v13
	v_add_co_ci_u32_e32 v12, vcc_lo, v2, v12, vcc_lo
	v_add_nc_u32_e32 v15, 8, v20
	v_ashrrev_i32_e32 v17, 31, v16
	s_waitcnt lgkmcnt(1)
	global_store_b128 v[18:19], v[3:6], off
	v_lshlrev_b64 v[3:4], 1, v[13:14]
	s_waitcnt lgkmcnt(0)
	global_store_b128 v[11:12], v[7:10], off
	v_mul_lo_u32 v11, v15, s0
	v_add_nc_u32_e32 v7, 10, v20
	v_lshlrev_b64 v[5:6], 1, v[16:17]
	v_add_co_u32 v23, vcc_lo, v1, v3
	v_add_nc_u32_e32 v3, 12, v20
	s_delay_alu instid0(VALU_DEP_4)
	v_mul_lo_u32 v25, v7, s0
	v_ashrrev_i32_e32 v12, 31, v11
	v_add_co_ci_u32_e32 v24, vcc_lo, v2, v4, vcc_lo
	v_add_co_u32 v27, vcc_lo, v1, v5
	v_mul_lo_u32 v29, v3, s0
	v_add_co_ci_u32_e32 v28, vcc_lo, v2, v6, vcc_lo
	ds_load_b128 v[3:6], v21 offset:256
	ds_load_b128 v[7:10], v21 offset:384
	v_lshlrev_b64 v[31:32], 1, v[11:12]
	ds_load_b128 v[11:14], v21 offset:512
	ds_load_b128 v[15:18], v21 offset:640
	;; [unrolled: 1-line block ×3, first 2 shown]
	v_ashrrev_i32_e32 v26, 31, v25
	v_ashrrev_i32_e32 v30, 31, v29
	v_add_co_u32 v31, vcc_lo, v1, v31
	s_delay_alu instid0(VALU_DEP_3) | instskip(NEXT) | instid1(VALU_DEP_3)
	v_lshlrev_b64 v[25:26], 1, v[25:26]
	v_lshlrev_b64 v[29:30], 1, v[29:30]
	v_add_co_ci_u32_e32 v32, vcc_lo, v2, v32, vcc_lo
	s_delay_alu instid0(VALU_DEP_3) | instskip(NEXT) | instid1(VALU_DEP_4)
	v_add_co_u32 v25, vcc_lo, v1, v25
	v_add_co_ci_u32_e32 v26, vcc_lo, v2, v26, vcc_lo
	s_delay_alu instid0(VALU_DEP_4)
	v_add_co_u32 v29, vcc_lo, v1, v29
	v_add_co_ci_u32_e32 v30, vcc_lo, v2, v30, vcc_lo
	s_waitcnt lgkmcnt(4)
	global_store_b128 v[23:24], v[3:6], off
	s_waitcnt lgkmcnt(3)
	global_store_b128 v[27:28], v[7:10], off
	;; [unrolled: 2-line block ×5, first 2 shown]
	s_and_b32 exec_lo, exec_lo, s2
	s_cbranch_execz .LBB1660_2
; %bb.112:
	ds_load_b128 v[3:6], v0 offset:896
	s_add_i32 s1, s31, 14
	s_delay_alu instid0(SALU_CYCLE_1) | instskip(NEXT) | instid1(SALU_CYCLE_1)
	s_mul_i32 s0, s1, s0
	s_ashr_i32 s1, s0, 31
	s_delay_alu instid0(SALU_CYCLE_1) | instskip(NEXT) | instid1(SALU_CYCLE_1)
	s_lshl_b64 s[0:1], s[0:1], 1
	v_add_co_u32 v0, vcc_lo, v1, s0
	v_add_co_ci_u32_e32 v1, vcc_lo, s1, v2, vcc_lo
	s_waitcnt lgkmcnt(0)
	global_store_b128 v[0:1], v[3:6], off
	s_nop 0
	s_sendmsg sendmsg(MSG_DEALLOC_VGPRS)
	s_endpgm
	.section	.rodata,"a",@progbits
	.p2align	6, 0x0
	.amdhsa_kernel _Z39paged_attention_ll4mi_QKV_mfma16_kernelI14__hip_bfloat16hLN4vllm18Fp8KVCacheDataTypeE1ES0_Li32ELi128ELi256ELb0ELi15EL8MFMAType1EEvPKT_PKT0_S9_ifPKiSB_SB_iPKfiiiPfSE_PS4_PT2_iSD_SD_
		.amdhsa_group_segment_fixed_size 17472
		.amdhsa_private_segment_fixed_size 0
		.amdhsa_kernarg_size 400
		.amdhsa_user_sgpr_count 13
		.amdhsa_user_sgpr_dispatch_ptr 0
		.amdhsa_user_sgpr_queue_ptr 0
		.amdhsa_user_sgpr_kernarg_segment_ptr 1
		.amdhsa_user_sgpr_dispatch_id 0
		.amdhsa_user_sgpr_private_segment_size 0
		.amdhsa_wavefront_size32 1
		.amdhsa_uses_dynamic_stack 0
		.amdhsa_enable_private_segment 0
		.amdhsa_system_sgpr_workgroup_id_x 1
		.amdhsa_system_sgpr_workgroup_id_y 1
		.amdhsa_system_sgpr_workgroup_id_z 1
		.amdhsa_system_sgpr_workgroup_info 0
		.amdhsa_system_vgpr_workitem_id 0
		.amdhsa_next_free_vgpr 140
		.amdhsa_next_free_sgpr 36
		.amdhsa_reserve_vcc 1
		.amdhsa_float_round_mode_32 0
		.amdhsa_float_round_mode_16_64 0
		.amdhsa_float_denorm_mode_32 3
		.amdhsa_float_denorm_mode_16_64 3
		.amdhsa_dx10_clamp 1
		.amdhsa_ieee_mode 1
		.amdhsa_fp16_overflow 0
		.amdhsa_workgroup_processor_mode 1
		.amdhsa_memory_ordered 1
		.amdhsa_forward_progress 0
		.amdhsa_shared_vgpr_count 0
		.amdhsa_exception_fp_ieee_invalid_op 0
		.amdhsa_exception_fp_denorm_src 0
		.amdhsa_exception_fp_ieee_div_zero 0
		.amdhsa_exception_fp_ieee_overflow 0
		.amdhsa_exception_fp_ieee_underflow 0
		.amdhsa_exception_fp_ieee_inexact 0
		.amdhsa_exception_int_div_zero 0
	.end_amdhsa_kernel
	.section	.text._Z39paged_attention_ll4mi_QKV_mfma16_kernelI14__hip_bfloat16hLN4vllm18Fp8KVCacheDataTypeE1ES0_Li32ELi128ELi256ELb0ELi15EL8MFMAType1EEvPKT_PKT0_S9_ifPKiSB_SB_iPKfiiiPfSE_PS4_PT2_iSD_SD_,"axG",@progbits,_Z39paged_attention_ll4mi_QKV_mfma16_kernelI14__hip_bfloat16hLN4vllm18Fp8KVCacheDataTypeE1ES0_Li32ELi128ELi256ELb0ELi15EL8MFMAType1EEvPKT_PKT0_S9_ifPKiSB_SB_iPKfiiiPfSE_PS4_PT2_iSD_SD_,comdat
.Lfunc_end1660:
	.size	_Z39paged_attention_ll4mi_QKV_mfma16_kernelI14__hip_bfloat16hLN4vllm18Fp8KVCacheDataTypeE1ES0_Li32ELi128ELi256ELb0ELi15EL8MFMAType1EEvPKT_PKT0_S9_ifPKiSB_SB_iPKfiiiPfSE_PS4_PT2_iSD_SD_, .Lfunc_end1660-_Z39paged_attention_ll4mi_QKV_mfma16_kernelI14__hip_bfloat16hLN4vllm18Fp8KVCacheDataTypeE1ES0_Li32ELi128ELi256ELb0ELi15EL8MFMAType1EEvPKT_PKT0_S9_ifPKiSB_SB_iPKfiiiPfSE_PS4_PT2_iSD_SD_
                                        ; -- End function
	.section	.AMDGPU.csdata,"",@progbits
; Kernel info:
; codeLenInByte = 9156
; NumSgprs: 38
; NumVgprs: 140
; ScratchSize: 0
; MemoryBound: 0
; FloatMode: 240
; IeeeMode: 1
; LDSByteSize: 17472 bytes/workgroup (compile time only)
; SGPRBlocks: 4
; VGPRBlocks: 17
; NumSGPRsForWavesPerEU: 38
; NumVGPRsForWavesPerEU: 140
; Occupancy: 10
; WaveLimiterHint : 1
; COMPUTE_PGM_RSRC2:SCRATCH_EN: 0
; COMPUTE_PGM_RSRC2:USER_SGPR: 13
; COMPUTE_PGM_RSRC2:TRAP_HANDLER: 0
; COMPUTE_PGM_RSRC2:TGID_X_EN: 1
; COMPUTE_PGM_RSRC2:TGID_Y_EN: 1
; COMPUTE_PGM_RSRC2:TGID_Z_EN: 1
; COMPUTE_PGM_RSRC2:TIDIG_COMP_CNT: 0
	.section	.text._Z39paged_attention_ll4mi_QKV_mfma16_kernelI14__hip_bfloat16hLN4vllm18Fp8KVCacheDataTypeE1ES0_Li32ELi128ELi256ELb0ELi16EL8MFMAType1EEvPKT_PKT0_S9_ifPKiSB_SB_iPKfiiiPfSE_PS4_PT2_iSD_SD_,"axG",@progbits,_Z39paged_attention_ll4mi_QKV_mfma16_kernelI14__hip_bfloat16hLN4vllm18Fp8KVCacheDataTypeE1ES0_Li32ELi128ELi256ELb0ELi16EL8MFMAType1EEvPKT_PKT0_S9_ifPKiSB_SB_iPKfiiiPfSE_PS4_PT2_iSD_SD_,comdat
	.protected	_Z39paged_attention_ll4mi_QKV_mfma16_kernelI14__hip_bfloat16hLN4vllm18Fp8KVCacheDataTypeE1ES0_Li32ELi128ELi256ELb0ELi16EL8MFMAType1EEvPKT_PKT0_S9_ifPKiSB_SB_iPKfiiiPfSE_PS4_PT2_iSD_SD_ ; -- Begin function _Z39paged_attention_ll4mi_QKV_mfma16_kernelI14__hip_bfloat16hLN4vllm18Fp8KVCacheDataTypeE1ES0_Li32ELi128ELi256ELb0ELi16EL8MFMAType1EEvPKT_PKT0_S9_ifPKiSB_SB_iPKfiiiPfSE_PS4_PT2_iSD_SD_
	.globl	_Z39paged_attention_ll4mi_QKV_mfma16_kernelI14__hip_bfloat16hLN4vllm18Fp8KVCacheDataTypeE1ES0_Li32ELi128ELi256ELb0ELi16EL8MFMAType1EEvPKT_PKT0_S9_ifPKiSB_SB_iPKfiiiPfSE_PS4_PT2_iSD_SD_
	.p2align	8
	.type	_Z39paged_attention_ll4mi_QKV_mfma16_kernelI14__hip_bfloat16hLN4vllm18Fp8KVCacheDataTypeE1ES0_Li32ELi128ELi256ELb0ELi16EL8MFMAType1EEvPKT_PKT0_S9_ifPKiSB_SB_iPKfiiiPfSE_PS4_PT2_iSD_SD_,@function
_Z39paged_attention_ll4mi_QKV_mfma16_kernelI14__hip_bfloat16hLN4vllm18Fp8KVCacheDataTypeE1ES0_Li32ELi128ELi256ELb0ELi16EL8MFMAType1EEvPKT_PKT0_S9_ifPKiSB_SB_iPKfiiiPfSE_PS4_PT2_iSD_SD_: ; @_Z39paged_attention_ll4mi_QKV_mfma16_kernelI14__hip_bfloat16hLN4vllm18Fp8KVCacheDataTypeE1ES0_Li32ELi128ELi256ELb0ELi16EL8MFMAType1EEvPKT_PKT0_S9_ifPKiSB_SB_iPKfiiiPfSE_PS4_PT2_iSD_SD_
; %bb.0:
	s_load_b64 s[4:5], s[0:1], 0x30
	s_mov_b32 s30, s13
	s_waitcnt lgkmcnt(0)
	s_cmp_lg_u64 s[4:5], 0
	s_cselect_b32 s8, -1, 0
	s_ashr_i32 s31, s13, 31
	s_cmp_eq_u64 s[4:5], 0
	s_cbranch_scc1 .LBB1661_3
; %bb.1:
	s_lshl_b64 s[2:3], s[30:31], 2
	s_delay_alu instid0(SALU_CYCLE_1) | instskip(SKIP_4) | instid1(SALU_CYCLE_1)
	s_add_u32 s2, s4, s2
	s_addc_u32 s3, s5, s3
	s_load_b64 s[2:3], s[2:3], 0x0
	s_waitcnt lgkmcnt(0)
	s_sub_i32 s2, s3, s2
	s_cmp_eq_u32 s2, 1
	s_cselect_b32 s2, -1, 0
	s_delay_alu instid0(SALU_CYCLE_1)
	s_and_not1_b32 vcc_lo, exec_lo, s2
	s_cbranch_vccz .LBB1661_4
.LBB1661_2:
	s_endpgm
.LBB1661_3:
.LBB1661_4:
	s_load_b64 s[2:3], s[0:1], 0x28
	s_lshl_b64 s[6:7], s[30:31], 2
	s_waitcnt lgkmcnt(0)
	s_add_u32 s2, s2, s6
	s_addc_u32 s3, s3, s7
	s_lshl_b32 s12, s14, 8
	s_load_b32 s24, s[2:3], 0x0
	s_waitcnt lgkmcnt(0)
	s_cmp_ge_i32 s12, s24
	s_cbranch_scc1 .LBB1661_2
; %bb.5:
	s_clause 0x1
	s_load_b128 s[20:23], s[0:1], 0x8
	s_load_b64 s[2:3], s[0:1], 0x20
	s_and_not1_b32 vcc_lo, exec_lo, s8
	s_cbranch_vccnz .LBB1661_7
; %bb.6:
	s_add_u32 s4, s4, s6
	s_addc_u32 s5, s5, s7
	s_load_b32 s5, s[4:5], 0x0
	s_branch .LBB1661_8
.LBB1661_7:
	s_mov_b32 s5, s30
.LBB1661_8:
	s_load_b128 s[16:19], s[0:1], 0x48
	v_and_b32_e32 v66, 15, v0
	v_lshrrev_b32_e32 v65, 5, v0
	v_and_b32_e32 v67, 31, v0
	v_and_b32_e32 v75, 1, v0
	v_bfe_u32 v74, v0, 4, 1
	v_lshlrev_b32_e32 v1, 3, v66
	s_lshl_b32 s29, s15, 4
	s_mov_b32 s4, exec_lo
	s_delay_alu instid0(VALU_DEP_1)
	v_lshlrev_b32_e32 v73, 1, v1
	v_cmpx_gt_u32_e32 0x100, v0
	s_cbranch_execz .LBB1661_10
; %bb.9:
	v_lshl_or_b32 v5, v65, 1, v74
	s_load_b64 s[6:7], s[0:1], 0x0
	s_waitcnt lgkmcnt(0)
	s_mul_hi_i32 s9, s5, s16
	s_mul_i32 s8, s5, s16
	v_lshlrev_b32_e32 v6, 10, v66
	v_or_b32_e32 v1, s29, v5
	s_lshl_b64 s[8:9], s[8:9], 1
	v_lshlrev_b32_e32 v5, 6, v5
	v_lshlrev_b32_e32 v7, 10, v75
	v_and_b32_e32 v6, 0x3800, v6
	v_lshlrev_b32_e32 v1, 7, v1
	s_delay_alu instid0(VALU_DEP_2) | instskip(NEXT) | instid1(VALU_DEP_2)
	v_or3_b32 v5, v6, v7, v5
	v_ashrrev_i32_e32 v2, 31, v1
	s_delay_alu instid0(VALU_DEP_1) | instskip(SKIP_2) | instid1(VALU_DEP_1)
	v_lshlrev_b64 v[1:2], 1, v[1:2]
	s_add_u32 s5, s6, s8
	s_addc_u32 s6, s7, s9
	v_add_co_u32 v1, vcc_lo, s5, v1
	s_delay_alu instid0(VALU_DEP_2) | instskip(NEXT) | instid1(VALU_DEP_2)
	v_add_co_ci_u32_e32 v2, vcc_lo, s6, v2, vcc_lo
	v_add_co_u32 v1, vcc_lo, v1, v73
	s_delay_alu instid0(VALU_DEP_2)
	v_add_co_ci_u32_e32 v2, vcc_lo, 0, v2, vcc_lo
	global_load_b128 v[1:4], v[1:2], off
	s_waitcnt vmcnt(0)
	ds_store_b128 v5, v[1:4]
.LBB1661_10:
	s_or_b32 exec_lo, exec_lo, s4
	v_and_b32_e32 v1, 0xef, v0
	s_waitcnt lgkmcnt(0)
	s_add_i32 s5, s24, 31
	s_clause 0x1
	s_load_b32 s4, s[0:1], 0x38
	s_load_b32 s19, s[0:1], 0x1c
	s_ashr_i32 s6, s5, 31
	v_add_nc_u32_e32 v1, s12, v1
	s_lshr_b32 s6, s6, 27
	s_waitcnt lgkmcnt(0)
	s_add_i32 s5, s5, s6
	s_barrier
	v_ashrrev_i32_e32 v2, 31, v1
	v_or_b32_e32 v3, 16, v1
	s_ashr_i32 s13, s5, 5
	v_cmp_gt_i32_e32 vcc_lo, s24, v1
	s_add_i32 s13, s13, -1
	v_lshrrev_b32_e32 v2, 27, v2
	buffer_gl0_inv
	s_mul_i32 s31, s15, s18
	v_add_nc_u32_e32 v4, v1, v2
	s_mul_i32 s4, s30, s4
	s_delay_alu instid0(SALU_CYCLE_1) | instskip(NEXT) | instid1(VALU_DEP_1)
	s_ashr_i32 s5, s4, 31
	v_ashrrev_i32_e32 v4, 5, v4
	v_add_nc_u32_e32 v2, v3, v2
	s_lshl_b64 s[4:5], s[4:5], 2
	s_delay_alu instid0(SALU_CYCLE_1) | instskip(NEXT) | instid1(VALU_DEP_2)
	s_add_u32 s25, s2, s4
	v_cndmask_b32_e32 v1, s13, v4, vcc_lo
	s_delay_alu instid0(VALU_DEP_2)
	v_ashrrev_i32_e32 v2, 5, v2
	v_cmp_gt_i32_e32 vcc_lo, s24, v3
	s_addc_u32 s28, s3, s5
	s_ashr_i32 s33, s31, 31
	s_add_u32 s4, s20, s31
	s_addc_u32 s5, s21, s33
	v_cndmask_b32_e32 v3, s13, v2, vcc_lo
	v_ashrrev_i32_e32 v2, 31, v1
	s_lshl_b32 s2, s14, 3
	s_delay_alu instid0(SALU_CYCLE_1) | instskip(NEXT) | instid1(VALU_DEP_2)
	s_ashr_i32 s3, s2, 31
	v_ashrrev_i32_e32 v4, 31, v3
	s_delay_alu instid0(VALU_DEP_2) | instskip(SKIP_1) | instid1(SALU_CYCLE_1)
	v_lshlrev_b64 v[1:2], 2, v[1:2]
	s_lshl_b64 s[2:3], s[2:3], 2
	s_add_u32 s2, s25, s2
	s_delay_alu instid0(VALU_DEP_2) | instskip(SKIP_1) | instid1(VALU_DEP_2)
	v_lshlrev_b64 v[3:4], 2, v[3:4]
	s_addc_u32 s3, s28, s3
	v_add_co_u32 v1, vcc_lo, s25, v1
	v_add_co_ci_u32_e32 v2, vcc_lo, s28, v2, vcc_lo
	s_delay_alu instid0(VALU_DEP_3) | instskip(NEXT) | instid1(VALU_DEP_4)
	v_add_co_u32 v3, vcc_lo, s25, v3
	v_add_co_ci_u32_e32 v4, vcc_lo, s28, v4, vcc_lo
	s_clause 0x1
	global_load_b32 v5, v[1:2], off
	global_load_b32 v6, v[3:4], off
	s_or_b32 s6, s12, 32
	s_delay_alu instid0(SALU_CYCLE_1) | instskip(SKIP_2) | instid1(SALU_CYCLE_1)
	s_ashr_i32 s7, s6, 5
	s_cmp_lt_i32 s6, s24
	s_cselect_b32 s6, s7, s13
	s_ashr_i32 s7, s6, 31
	s_delay_alu instid0(SALU_CYCLE_1) | instskip(NEXT) | instid1(SALU_CYCLE_1)
	s_lshl_b64 s[6:7], s[6:7], 2
	s_add_u32 s6, s25, s6
	s_addc_u32 s7, s28, s7
	s_or_b32 s8, s12, 64
	s_delay_alu instid0(SALU_CYCLE_1) | instskip(SKIP_2) | instid1(SALU_CYCLE_1)
	s_ashr_i32 s9, s8, 5
	s_cmp_lt_i32 s8, s24
	s_cselect_b32 s8, s9, s13
	s_ashr_i32 s9, s8, 31
	s_delay_alu instid0(SALU_CYCLE_1) | instskip(NEXT) | instid1(SALU_CYCLE_1)
	s_lshl_b64 s[8:9], s[8:9], 2
	s_add_u32 s8, s25, s8
	s_addc_u32 s9, s28, s9
	;; [unrolled: 10-line block ×5, first 2 shown]
	s_clause 0x5
	s_load_b32 s20, s[2:3], 0x0
	s_load_b32 s2, s[6:7], 0x0
	;; [unrolled: 1-line block ×6, first 2 shown]
	s_or_b32 s8, s12, 0xc0
	s_delay_alu instid0(SALU_CYCLE_1) | instskip(SKIP_2) | instid1(SALU_CYCLE_1)
	s_ashr_i32 s9, s8, 5
	s_cmp_lt_i32 s8, s24
	s_cselect_b32 s26, s9, s13
	s_ashr_i32 s27, s26, 31
	s_delay_alu instid0(SALU_CYCLE_1) | instskip(NEXT) | instid1(SALU_CYCLE_1)
	s_lshl_b64 s[26:27], s[26:27], 2
	s_add_u32 s26, s25, s26
	s_addc_u32 s27, s28, s27
	s_or_b32 s21, s12, 0xe0
	s_waitcnt vmcnt(1)
	v_mad_i64_i32 v[1:2], null, v5, s17, s[4:5]
	s_waitcnt vmcnt(0)
	v_mad_i64_i32 v[3:4], null, v6, s17, s[4:5]
	s_mov_b32 s4, 0
	s_delay_alu instid0(SALU_CYCLE_1)
	s_mov_b32 s5, s4
	s_mov_b32 s6, s4
	;; [unrolled: 1-line block ×7, first 2 shown]
	s_delay_alu instid0(SALU_CYCLE_1) | instskip(SKIP_2) | instid1(VALU_DEP_3)
	v_dual_mov_b32 v108, s11 :: v_dual_lshlrev_b32 v5, 4, v66
	v_mov_b32_e32 v104, s7
	v_dual_mov_b32 v105, s8 :: v_dual_lshlrev_b32 v76, 6, v66
	v_add_co_u32 v33, vcc_lo, v1, v5
	v_add_co_ci_u32_e32 v34, vcc_lo, 0, v2, vcc_lo
	v_add_co_u32 v35, vcc_lo, v3, v5
	v_add_co_ci_u32_e32 v36, vcc_lo, 0, v4, vcc_lo
	s_clause 0xf
	global_load_b128 v[1:4], v[33:34], off
	global_load_b128 v[5:8], v[33:34], off offset:512
	global_load_b128 v[9:12], v[35:36], off offset:256
	;; [unrolled: 1-line block ×15, first 2 shown]
	v_dual_mov_b32 v102, s5 :: v_dual_lshlrev_b32 v41, 5, v66
	v_dual_mov_b32 v107, s10 :: v_dual_mov_b32 v106, s9
	v_mov_b32_e32 v103, s6
	v_mov_b32_e32 v101, s4
	s_ashr_i32 s4, s21, 5
	s_cmp_lt_i32 s21, s24
	ds_load_b128 v[33:36], v76
	ds_load_b128 v[37:40], v76 offset:1024
	s_cselect_b32 s4, s4, s13
	ds_load_b128 v[109:112], v76 offset:2048
	ds_load_b128 v[113:116], v76 offset:3072
	s_ashr_i32 s5, s4, 31
	v_lshl_or_b32 v41, v65, 9, v41
	s_lshl_b64 s[4:5], s[4:5], 2
	s_load_b32 s6, s[26:27], 0x0
	s_add_u32 s4, s25, s4
	s_addc_u32 s5, s28, s5
	ds_load_b128 v[117:120], v76 offset:4096
	ds_load_b128 v[121:124], v76 offset:5120
	s_load_b32 s4, s[4:5], 0x0
	s_add_u32 s7, s22, s31
	s_addc_u32 s8, s23, s33
	v_add_co_u32 v68, s7, s7, v41
	s_delay_alu instid0(VALU_DEP_1) | instskip(SKIP_1) | instid1(VALU_DEP_1)
	v_add_co_ci_u32_e64 v69, null, s8, 0, s7
	s_waitcnt lgkmcnt(0)
	v_mad_i64_i32 v[41:42], null, s20, s17, v[68:69]
	v_mad_i64_i32 v[70:71], null, s3, s17, v[68:69]
	;; [unrolled: 1-line block ×7, first 2 shown]
	s_clause 0x3
	global_load_b128 v[49:52], v[41:42], off
	global_load_b128 v[53:56], v[41:42], off offset:16
	global_load_b128 v[41:44], v[45:46], off
	global_load_b128 v[45:48], v[45:46], off offset:16
	s_waitcnt vmcnt(18)
	v_wmma_f32_16x16x16_bf16 v[125:132], v[1:8], v[33:40], v[101:108]
	s_waitcnt vmcnt(16)
	v_wmma_f32_16x16x16_bf16 v[101:108], v[9:16], v[33:40], v[101:108]
	s_clause 0x1
	global_load_b128 v[33:36], v[70:71], off
	global_load_b128 v[37:40], v[70:71], off offset:16
	v_mad_i64_i32 v[70:71], null, s4, s17, v[68:69]
	s_waitcnt vmcnt(16)
	v_wmma_f32_16x16x16_bf16 v[125:132], v[17:24], v[109:116], v[125:132]
	s_waitcnt vmcnt(14)
	v_wmma_f32_16x16x16_bf16 v[101:108], v[25:32], v[109:116], v[101:108]
	s_clause 0x7
	global_load_b128 v[25:28], v[133:134], off
	global_load_b128 v[29:32], v[133:134], off offset:16
	global_load_b128 v[1:4], v[135:136], off
	global_load_b128 v[5:8], v[135:136], off offset:16
	;; [unrolled: 2-line block ×4, first 2 shown]
	s_waitcnt vmcnt(20)
	v_wmma_f32_16x16x16_bf16 v[125:132], v[57:64], v[117:124], v[125:132]
	s_clause 0x1
	global_load_b128 v[57:60], v[70:71], off
	global_load_b128 v[61:64], v[70:71], off offset:16
	s_waitcnt vmcnt(20)
	v_wmma_f32_16x16x16_bf16 v[101:108], v[77:84], v[117:124], v[101:108]
	ds_load_b128 v[77:80], v76 offset:6144
	ds_load_b128 v[81:84], v76 offset:7168
	v_and_b32_e32 v68, 0xe0, v0
	v_mbcnt_lo_u32_b32 v69, -1, 0
	s_waitcnt vmcnt(0) lgkmcnt(0)
	s_barrier
	buffer_gl0_inv
	v_add_nc_u32_e32 v68, s12, v68
	v_xor_b32_e32 v70, 16, v69
	s_delay_alu instid0(VALU_DEP_2) | instskip(NEXT) | instid1(VALU_DEP_2)
	v_or_b32_e32 v68, v68, v74
	v_cmp_gt_i32_e32 vcc_lo, 32, v70
	s_delay_alu instid0(VALU_DEP_2)
	v_or_b32_e32 v71, 4, v68
	v_or_b32_e32 v72, 6, v68
	v_cmp_gt_i32_e64 s2, s24, v68
	v_or_b32_e32 v109, 8, v68
	v_wmma_f32_16x16x16_bf16 v[125:132], v[85:92], v[77:84], v[125:132]
	v_cndmask_b32_e32 v69, v69, v70, vcc_lo
	v_or_b32_e32 v70, 2, v68
	v_wmma_f32_16x16x16_bf16 v[101:108], v[93:100], v[77:84], v[101:108]
	v_or_b32_e32 v85, 10, v68
	v_dual_mul_f32 v80, s19, v132 :: v_dual_mul_f32 v93, s19, v127
	v_dual_mul_f32 v94, s19, v126 :: v_dual_mul_f32 v95, s19, v125
	s_delay_alu instid0(VALU_DEP_4) | instskip(SKIP_2) | instid1(VALU_DEP_4)
	v_mul_f32_e32 v96, s19, v108
	v_cmp_gt_i32_e32 vcc_lo, s24, v70
	v_dual_mul_f32 v83, s19, v129 :: v_dual_mul_f32 v84, s19, v128
	v_cndmask_b32_e64 v95, 0xff7fffff, v95, s2
	v_cmp_gt_i32_e64 s3, s24, v71
	v_cndmask_b32_e32 v94, 0xff7fffff, v94, vcc_lo
	v_cmp_gt_i32_e64 s4, s24, v72
	v_or_b32_e32 v86, 12, v68
	v_or_b32_e32 v87, 14, v68
	v_dual_mul_f32 v81, s19, v131 :: v_dual_mul_f32 v82, s19, v130
	v_cndmask_b32_e64 v93, 0xff7fffff, v93, s3
	v_cndmask_b32_e64 v72, 0xff7fffff, v84, s4
	v_max3_f32 v84, v95, 0xff7fffff, v94
	v_cmp_gt_i32_e64 s5, s24, v109
	v_cmp_gt_i32_e64 s6, s24, v85
	v_or_b32_e32 v88, 16, v68
	v_or_b32_e32 v89, 18, v68
	v_max3_f32 v72, v84, v93, v72
	v_cndmask_b32_e64 v83, 0xff7fffff, v83, s5
	v_cndmask_b32_e64 v82, 0xff7fffff, v82, s6
	v_cmp_gt_i32_e64 s7, s24, v86
	v_cmp_gt_i32_e64 s8, s24, v87
	v_or_b32_e32 v90, 20, v68
	v_or_b32_e32 v91, 22, v68
	;; [unrolled: 1-line block ×6, first 2 shown]
	v_dual_mul_f32 v70, s19, v103 :: v_dual_mul_f32 v71, s19, v101
	v_mul_f32_e32 v68, s19, v102
	v_cndmask_b32_e64 v81, 0xff7fffff, v81, s7
	v_cndmask_b32_e64 v80, 0xff7fffff, v80, s8
	v_max3_f32 v72, v72, v83, v82
	v_cmp_gt_i32_e64 s9, s24, v88
	v_cmp_gt_i32_e64 s10, s24, v89
	v_dual_mul_f32 v99, s19, v105 :: v_dual_mul_f32 v100, s19, v104
	s_delay_alu instid0(VALU_DEP_4) | instskip(NEXT) | instid1(VALU_DEP_4)
	v_max3_f32 v72, v72, v81, v80
	v_cndmask_b32_e64 v71, 0xff7fffff, v71, s9
	s_delay_alu instid0(VALU_DEP_4) | instskip(SKIP_3) | instid1(VALU_DEP_4)
	v_cndmask_b32_e64 v68, 0xff7fffff, v68, s10
	v_cmp_gt_i32_e64 s11, s24, v90
	v_cmp_gt_i32_e64 s12, s24, v91
	v_dual_mul_f32 v97, s19, v107 :: v_dual_mul_f32 v98, s19, v106
	v_max3_f32 v68, v72, v71, v68
	s_delay_alu instid0(VALU_DEP_4) | instskip(NEXT) | instid1(VALU_DEP_4)
	v_cndmask_b32_e64 v70, 0xff7fffff, v70, s11
	v_cndmask_b32_e64 v80, 0xff7fffff, v100, s12
	v_cmp_gt_i32_e64 s13, s24, v92
	v_cmp_gt_i32_e64 s15, s24, v77
	;; [unrolled: 1-line block ×4, first 2 shown]
	v_max3_f32 v68, v68, v70, v80
	v_cndmask_b32_e64 v71, 0xff7fffff, v99, s13
	v_cndmask_b32_e64 v72, 0xff7fffff, v98, s15
	;; [unrolled: 1-line block ×4, first 2 shown]
	v_lshlrev_b32_e32 v90, 2, v69
	s_delay_alu instid0(VALU_DEP_4) | instskip(NEXT) | instid1(VALU_DEP_1)
	v_max3_f32 v68, v68, v71, v72
	v_max3_f32 v68, v68, v70, v77
	ds_bpermute_b32 v69, v90, v68
	s_waitcnt lgkmcnt(0)
	v_max_f32_e32 v69, v69, v69
	s_delay_alu instid0(VALU_DEP_1) | instskip(NEXT) | instid1(VALU_DEP_1)
	v_max_f32_e32 v81, v68, v69
	v_fma_f32 v68, s19, v125, -v81
	v_fma_f32 v69, s19, v126, -v81
	;; [unrolled: 1-line block ×5, first 2 shown]
	s_delay_alu instid0(VALU_DEP_4) | instskip(NEXT) | instid1(VALU_DEP_3)
	v_dual_mul_f32 v68, 0x3fb8aa3b, v68 :: v_dual_mul_f32 v69, 0x3fb8aa3b, v69
	v_dual_mul_f32 v70, 0x3fb8aa3b, v70 :: v_dual_mul_f32 v71, 0x3fb8aa3b, v71
	v_fma_f32 v78, s19, v131, -v81
	s_delay_alu instid0(VALU_DEP_3) | instskip(NEXT) | instid1(VALU_DEP_3)
	v_exp_f32_e32 v68, v68
	v_exp_f32_e32 v69, v69
	s_delay_alu instid0(VALU_DEP_2)
	v_exp_f32_e32 v70, v70
	v_mul_f32_e32 v72, 0x3fb8aa3b, v72
	v_exp_f32_e32 v71, v71
	v_mul_f32_e32 v78, 0x3fb8aa3b, v78
	v_fma_f32 v80, s19, v106, -v81
	v_cndmask_b32_e64 v82, 0, v68, s2
	s_delay_alu instid0(TRANS32_DEP_3) | instskip(SKIP_2) | instid1(TRANS32_DEP_3)
	v_cndmask_b32_e32 v77, 0, v69, vcc_lo
	v_fma_f32 v68, s19, v130, -v81
	v_exp_f32_e32 v72, v72
	v_cndmask_b32_e64 v83, 0, v70, s3
	v_add_f32_e32 v69, 0, v82
	v_fma_f32 v70, s19, v132, -v81
	v_mul_f32_e32 v68, 0x3fb8aa3b, v68
	v_cndmask_b32_e64 v85, 0, v71, s4
	v_fma_f32 v71, s19, v101, -v81
	s_delay_alu instid0(VALU_DEP_4) | instskip(NEXT) | instid1(VALU_DEP_4)
	v_dual_add_f32 v69, v69, v77 :: v_dual_mul_f32 v70, 0x3fb8aa3b, v70
	v_exp_f32_e32 v68, v68
	s_delay_alu instid0(TRANS32_DEP_2) | instskip(SKIP_1) | instid1(VALU_DEP_3)
	v_cndmask_b32_e64 v86, 0, v72, s5
	v_fma_f32 v72, s19, v102, -v81
	v_add_f32_e32 v69, v69, v83
	v_exp_f32_e32 v78, v78
	v_exp_f32_e32 v70, v70
	s_mov_b32 s2, exec_lo
	s_delay_alu instid0(VALU_DEP_1) | instskip(SKIP_1) | instid1(TRANS32_DEP_3)
	v_dual_mul_f32 v72, 0x3fb8aa3b, v72 :: v_dual_add_f32 v69, v69, v85
	v_mul_f32_e32 v71, 0x3fb8aa3b, v71
	v_cndmask_b32_e64 v87, 0, v68, s6
	s_delay_alu instid0(VALU_DEP_3) | instskip(NEXT) | instid1(VALU_DEP_3)
	v_exp_f32_e32 v72, v72
	v_add_f32_e32 v68, v69, v86
	v_fma_f32 v69, s19, v103, -v81
	v_exp_f32_e32 v71, v71
	v_cndmask_b32_e64 v84, 0, v78, s7
	v_fma_f32 v78, s19, v104, -v81
	s_delay_alu instid0(VALU_DEP_3) | instskip(SKIP_2) | instid1(VALU_DEP_3)
	v_dual_add_f32 v68, v68, v87 :: v_dual_mul_f32 v69, 0x3fb8aa3b, v69
	v_cndmask_b32_e64 v88, 0, v70, s8
	v_fma_f32 v70, s19, v105, -v81
	v_exp_f32_e32 v79, v69
	s_delay_alu instid0(TRANS32_DEP_2) | instskip(SKIP_1) | instid1(VALU_DEP_1)
	v_cndmask_b32_e64 v69, 0, v71, s9
	v_add_f32_e32 v68, v68, v84
	v_dual_mul_f32 v78, 0x3fb8aa3b, v78 :: v_dual_add_f32 v71, v68, v88
	s_delay_alu instid0(VALU_DEP_1) | instskip(SKIP_2) | instid1(VALU_DEP_3)
	v_exp_f32_e32 v78, v78
	v_cndmask_b32_e64 v68, 0, v72, s10
	v_fma_f32 v72, s19, v107, -v81
	v_dual_add_f32 v71, v71, v69 :: v_dual_mul_f32 v70, 0x3fb8aa3b, v70
	s_delay_alu instid0(VALU_DEP_1) | instskip(NEXT) | instid1(TRANS32_DEP_3)
	v_exp_f32_e32 v89, v70
	v_cndmask_b32_e64 v70, 0, v79, s11
	s_delay_alu instid0(VALU_DEP_2) | instskip(NEXT) | instid1(TRANS32_DEP_2)
	v_add_f32_e32 v79, v71, v68
	v_cndmask_b32_e64 v71, 0, v78, s12
	s_delay_alu instid0(VALU_DEP_2) | instskip(SKIP_2) | instid1(VALU_DEP_1)
	v_add_f32_e32 v78, v79, v70
	v_mul_f32_e32 v80, 0x3fb8aa3b, v80
	v_fma_f32 v79, s19, v108, -v81
	v_dual_mul_f32 v72, 0x3fb8aa3b, v72 :: v_dual_mul_f32 v79, 0x3fb8aa3b, v79
	s_delay_alu instid0(VALU_DEP_1) | instskip(NEXT) | instid1(TRANS32_DEP_2)
	v_exp_f32_e32 v91, v72
	v_cndmask_b32_e64 v72, 0, v89, s13
	v_add_f32_e32 v89, v78, v71
	v_exp_f32_e32 v80, v80
	s_waitcnt_depctr 0xfff
	v_cndmask_b32_e64 v78, 0, v80, s15
	v_add_f32_e32 v80, v89, v72
	v_exp_f32_e32 v89, v79
	v_cndmask_b32_e64 v79, 0, v91, s16
	s_delay_alu instid0(VALU_DEP_2) | instskip(NEXT) | instid1(VALU_DEP_1)
	v_add_f32_e32 v80, v80, v78
	v_add_f32_e32 v91, v80, v79
	s_waitcnt_depctr 0xfff
	v_cndmask_b32_e64 v80, 0, v89, s17
	s_delay_alu instid0(VALU_DEP_1)
	v_add_f32_e32 v89, v91, v80
	ds_bpermute_b32 v90, v90, v89
	v_cmpx_gt_u32_e32 16, v67
	s_cbranch_execz .LBB1661_12
; %bb.11:
	v_mul_u32_u24_e32 v67, 0x44, v65
	s_waitcnt lgkmcnt(0)
	v_add_f32_e32 v89, v89, v90
	s_delay_alu instid0(VALU_DEP_2) | instskip(NEXT) | instid1(VALU_DEP_1)
	v_lshl_add_u32 v67, v66, 2, v67
	v_add_nc_u32_e32 v67, 0x4000, v67
	ds_store_2addr_b32 v67, v81, v89 offset1:136
.LBB1661_12:
	s_or_b32 exec_lo, exec_lo, s2
	v_lshlrev_b32_e32 v66, 2, v66
	s_waitcnt lgkmcnt(0)
	s_barrier
	buffer_gl0_inv
	v_cmp_eq_u32_e32 vcc_lo, 1, v65
	v_add_nc_u32_e32 v81, 0x4000, v66
	v_cmp_eq_u32_e64 s2, 2, v65
	v_cmp_eq_u32_e64 s4, 7, v65
	ds_load_2addr_b32 v[89:90], v81 offset1:17
	ds_load_2addr_b32 v[91:92], v81 offset0:34 offset1:51
	ds_load_2addr_b32 v[93:94], v81 offset0:68 offset1:85
	;; [unrolled: 1-line block ×4, first 2 shown]
	s_waitcnt lgkmcnt(4)
	v_max3_f32 v66, v89, 0xff7fffff, v90
	s_waitcnt lgkmcnt(3)
	s_delay_alu instid0(VALU_DEP_1) | instskip(SKIP_1) | instid1(VALU_DEP_1)
	v_max3_f32 v66, v66, v91, v92
	s_waitcnt lgkmcnt(2)
	v_max3_f32 v66, v66, v93, v94
	s_waitcnt lgkmcnt(1)
	s_delay_alu instid0(VALU_DEP_1) | instskip(NEXT) | instid1(VALU_DEP_1)
	v_max3_f32 v66, v66, v95, v96
	v_sub_f32_e32 v67, v89, v66
	v_sub_f32_e32 v91, v91, v66
	;; [unrolled: 1-line block ×3, first 2 shown]
	s_delay_alu instid0(VALU_DEP_3) | instskip(NEXT) | instid1(VALU_DEP_3)
	v_mul_f32_e32 v67, 0x3fb8aa3b, v67
	v_mul_f32_e32 v101, 0x3fb8aa3b, v91
	s_delay_alu instid0(VALU_DEP_3) | instskip(NEXT) | instid1(VALU_DEP_3)
	v_mul_f32_e32 v103, 0x3fb8aa3b, v93
	v_exp_f32_e32 v100, v67
	v_sub_f32_e32 v67, v92, v66
	v_sub_f32_e32 v99, v90, v66
	ds_load_2addr_b32 v[89:90], v81 offset0:170 offset1:187
	ds_load_2addr_b32 v[91:92], v81 offset0:204 offset1:221
	v_exp_f32_e32 v101, v101
	v_mul_f32_e32 v102, 0x3fb8aa3b, v67
	v_mul_f32_e32 v99, 0x3fb8aa3b, v99
	s_waitcnt lgkmcnt(2)
	v_fma_f32 v67, v100, v97, 0
	v_sub_f32_e32 v97, v94, v66
	s_delay_alu instid0(VALU_DEP_3)
	v_exp_f32_e32 v99, v99
	v_exp_f32_e32 v102, v102
	ds_load_2addr_b32 v[93:94], v81 offset0:238 offset1:255
	v_sub_f32_e32 v81, v95, v66
	v_mul_f32_e32 v95, 0x3fb8aa3b, v97
	v_exp_f32_e32 v97, v103
	s_waitcnt lgkmcnt(0)
	s_barrier
	v_mul_f32_e32 v81, 0x3fb8aa3b, v81
	v_exp_f32_e32 v95, v95
	v_fmac_f32_e32 v67, v99, v98
	buffer_gl0_inv
	v_exp_f32_e32 v81, v81
	v_fmac_f32_e32 v67, v101, v89
	v_sub_f32_e32 v89, v96, v66
	s_delay_alu instid0(VALU_DEP_2) | instskip(NEXT) | instid1(VALU_DEP_2)
	v_fmac_f32_e32 v67, v102, v90
	v_mul_f32_e32 v89, 0x3fb8aa3b, v89
	s_delay_alu instid0(VALU_DEP_2) | instskip(NEXT) | instid1(VALU_DEP_2)
	v_fmac_f32_e32 v67, v97, v91
	v_exp_f32_e32 v89, v89
	s_delay_alu instid0(VALU_DEP_1)
	v_fmac_f32_e32 v67, v95, v92
	s_delay_alu instid0(TRANS32_DEP_2) | instid1(VALU_DEP_1)
	v_fmac_f32_e32 v67, v81, v93
	s_waitcnt_depctr 0xfff
	v_fmac_f32_e32 v67, v89, v94
	s_delay_alu instid0(VALU_DEP_1) | instskip(NEXT) | instid1(VALU_DEP_1)
	v_add_f32_e32 v90, 0x358637bd, v67
	v_div_scale_f32 v91, null, v90, v90, 1.0
	v_div_scale_f32 v94, s3, 1.0, v90, 1.0
	s_delay_alu instid0(VALU_DEP_2) | instskip(SKIP_2) | instid1(VALU_DEP_1)
	v_rcp_f32_e32 v92, v91
	s_waitcnt_depctr 0xfff
	v_fma_f32 v93, -v91, v92, 1.0
	v_dual_fmac_f32 v92, v93, v92 :: v_dual_cndmask_b32 v93, v100, v99
	v_cmp_eq_u32_e32 vcc_lo, 3, v65
	s_delay_alu instid0(VALU_DEP_2) | instskip(NEXT) | instid1(VALU_DEP_3)
	v_mul_f32_e32 v96, v94, v92
	v_cndmask_b32_e64 v93, v93, v101, s2
	v_cmp_eq_u32_e64 s2, 4, v65
	s_delay_alu instid0(VALU_DEP_3) | instskip(NEXT) | instid1(VALU_DEP_3)
	v_fma_f32 v98, -v91, v96, v94
	v_cndmask_b32_e32 v93, v93, v102, vcc_lo
	v_cmp_eq_u32_e32 vcc_lo, 5, v65
	s_delay_alu instid0(VALU_DEP_3) | instskip(NEXT) | instid1(VALU_DEP_3)
	v_fmac_f32_e32 v96, v98, v92
	v_cndmask_b32_e64 v93, v93, v97, s2
	v_cmp_eq_u32_e64 s2, 6, v65
	s_delay_alu instid0(VALU_DEP_3) | instskip(NEXT) | instid1(VALU_DEP_3)
	v_fma_f32 v91, -v91, v96, v94
	v_cndmask_b32_e32 v93, v93, v95, vcc_lo
	s_mov_b32 vcc_lo, s3
	s_delay_alu instid0(VALU_DEP_2) | instskip(NEXT) | instid1(VALU_DEP_2)
	v_div_fmas_f32 v91, v91, v92, v96
	v_cndmask_b32_e64 v81, v93, v81, s2
	s_mov_b32 s2, exec_lo
	s_delay_alu instid0(VALU_DEP_2) | instskip(NEXT) | instid1(VALU_DEP_2)
	v_div_fixup_f32 v90, v91, v90, 1.0
	v_cndmask_b32_e64 v81, v81, v89, s4
	s_delay_alu instid0(VALU_DEP_1) | instskip(NEXT) | instid1(VALU_DEP_1)
	v_mul_f32_e32 v81, v81, v90
	v_mul_f32_e32 v90, v81, v82
	v_mul_f32_e32 v82, v81, v88
	v_mul_f32_e32 v84, v81, v84
	v_mul_f32_e32 v87, v81, v87
	v_mul_f32_e32 v88, v81, v86
	v_dual_mul_f32 v86, v81, v83 :: v_dual_and_b32 v91, 0x7f800000, v90
	v_mul_f32_e32 v89, v81, v85
	v_mul_f32_e32 v85, v81, v77
                                        ; implicit-def: $vgpr77
	s_delay_alu instid0(VALU_DEP_3)
	v_cmpx_ne_u32_e32 0x7f800000, v91
	s_xor_b32 s2, exec_lo, s2
; %bb.13:
	v_bfe_u32 v77, v90, 16, 1
	s_delay_alu instid0(VALU_DEP_1)
	v_add3_u32 v77, v90, v77, 0x7fff
                                        ; implicit-def: $vgpr90
; %bb.14:
	s_and_not1_saveexec_b32 s2, s2
; %bb.15:
	v_and_b32_e32 v77, 0xffff, v90
	v_or_b32_e32 v83, 0x10000, v90
	s_delay_alu instid0(VALU_DEP_2) | instskip(NEXT) | instid1(VALU_DEP_2)
	v_cmp_eq_u32_e32 vcc_lo, 0, v77
	v_cndmask_b32_e32 v77, v83, v90, vcc_lo
; %bb.16:
	s_or_b32 exec_lo, exec_lo, s2
	v_and_b32_e32 v83, 0x7f800000, v85
	s_delay_alu instid0(VALU_DEP_1) | instskip(SKIP_1) | instid1(SALU_CYCLE_1)
	v_cmp_ne_u32_e32 vcc_lo, 0x7f800000, v83
                                        ; implicit-def: $vgpr83
	s_and_saveexec_b32 s2, vcc_lo
	s_xor_b32 s2, exec_lo, s2
; %bb.17:
	v_bfe_u32 v83, v85, 16, 1
	s_delay_alu instid0(VALU_DEP_1)
	v_add3_u32 v83, v85, v83, 0x7fff
                                        ; implicit-def: $vgpr85
; %bb.18:
	s_and_not1_saveexec_b32 s2, s2
; %bb.19:
	v_and_b32_e32 v83, 0xffff, v85
	v_or_b32_e32 v90, 0x10000, v85
	s_delay_alu instid0(VALU_DEP_2) | instskip(NEXT) | instid1(VALU_DEP_2)
	v_cmp_eq_u32_e32 vcc_lo, 0, v83
	v_cndmask_b32_e32 v83, v90, v85, vcc_lo
; %bb.20:
	s_or_b32 exec_lo, exec_lo, s2
	v_and_b32_e32 v85, 0x7f800000, v86
	s_delay_alu instid0(VALU_DEP_1) | instskip(SKIP_1) | instid1(SALU_CYCLE_1)
	v_cmp_ne_u32_e32 vcc_lo, 0x7f800000, v85
                                        ; implicit-def: $vgpr85
	s_and_saveexec_b32 s2, vcc_lo
	s_xor_b32 s2, exec_lo, s2
; %bb.21:
	v_bfe_u32 v85, v86, 16, 1
	s_delay_alu instid0(VALU_DEP_1)
	v_add3_u32 v85, v86, v85, 0x7fff
                                        ; implicit-def: $vgpr86
; %bb.22:
	s_and_not1_saveexec_b32 s2, s2
; %bb.23:
	v_and_b32_e32 v85, 0xffff, v86
	v_or_b32_e32 v90, 0x10000, v86
	s_delay_alu instid0(VALU_DEP_2) | instskip(NEXT) | instid1(VALU_DEP_2)
	v_cmp_eq_u32_e32 vcc_lo, 0, v85
	v_cndmask_b32_e32 v85, v90, v86, vcc_lo
; %bb.24:
	s_or_b32 exec_lo, exec_lo, s2
	v_and_b32_e32 v86, 0x7f800000, v89
	s_delay_alu instid0(VALU_DEP_1) | instskip(SKIP_1) | instid1(SALU_CYCLE_1)
	v_cmp_ne_u32_e32 vcc_lo, 0x7f800000, v86
                                        ; implicit-def: $vgpr86
	s_and_saveexec_b32 s2, vcc_lo
	s_xor_b32 s2, exec_lo, s2
; %bb.25:
	v_bfe_u32 v86, v89, 16, 1
	s_delay_alu instid0(VALU_DEP_1)
	v_add3_u32 v86, v89, v86, 0x7fff
                                        ; implicit-def: $vgpr89
; %bb.26:
	s_and_not1_saveexec_b32 s2, s2
; %bb.27:
	v_and_b32_e32 v86, 0xffff, v89
	v_or_b32_e32 v90, 0x10000, v89
	s_delay_alu instid0(VALU_DEP_2) | instskip(NEXT) | instid1(VALU_DEP_2)
	v_cmp_eq_u32_e32 vcc_lo, 0, v86
	v_cndmask_b32_e32 v86, v90, v89, vcc_lo
; %bb.28:
	s_or_b32 exec_lo, exec_lo, s2
	v_and_b32_e32 v89, 0x7f800000, v88
	s_delay_alu instid0(VALU_DEP_1) | instskip(SKIP_1) | instid1(SALU_CYCLE_1)
	v_cmp_ne_u32_e32 vcc_lo, 0x7f800000, v89
                                        ; implicit-def: $vgpr89
	s_and_saveexec_b32 s2, vcc_lo
	s_xor_b32 s2, exec_lo, s2
; %bb.29:
	v_bfe_u32 v89, v88, 16, 1
	s_delay_alu instid0(VALU_DEP_1)
	v_add3_u32 v89, v88, v89, 0x7fff
                                        ; implicit-def: $vgpr88
; %bb.30:
	s_and_not1_saveexec_b32 s2, s2
; %bb.31:
	v_and_b32_e32 v89, 0xffff, v88
	v_or_b32_e32 v90, 0x10000, v88
	s_delay_alu instid0(VALU_DEP_2) | instskip(NEXT) | instid1(VALU_DEP_2)
	v_cmp_eq_u32_e32 vcc_lo, 0, v89
	v_cndmask_b32_e32 v89, v90, v88, vcc_lo
; %bb.32:
	s_or_b32 exec_lo, exec_lo, s2
	v_and_b32_e32 v88, 0x7f800000, v87
	s_delay_alu instid0(VALU_DEP_1) | instskip(SKIP_1) | instid1(SALU_CYCLE_1)
	v_cmp_ne_u32_e32 vcc_lo, 0x7f800000, v88
                                        ; implicit-def: $vgpr88
	s_and_saveexec_b32 s2, vcc_lo
	s_xor_b32 s2, exec_lo, s2
; %bb.33:
	v_bfe_u32 v88, v87, 16, 1
	s_delay_alu instid0(VALU_DEP_1)
	v_add3_u32 v88, v87, v88, 0x7fff
                                        ; implicit-def: $vgpr87
; %bb.34:
	s_and_not1_saveexec_b32 s2, s2
; %bb.35:
	v_and_b32_e32 v88, 0xffff, v87
	v_or_b32_e32 v90, 0x10000, v87
	s_delay_alu instid0(VALU_DEP_2) | instskip(NEXT) | instid1(VALU_DEP_2)
	v_cmp_eq_u32_e32 vcc_lo, 0, v88
	v_cndmask_b32_e32 v88, v90, v87, vcc_lo
; %bb.36:
	s_or_b32 exec_lo, exec_lo, s2
	v_and_b32_e32 v87, 0x7f800000, v84
	s_delay_alu instid0(VALU_DEP_1) | instskip(SKIP_1) | instid1(SALU_CYCLE_1)
	v_cmp_ne_u32_e32 vcc_lo, 0x7f800000, v87
                                        ; implicit-def: $vgpr87
	s_and_saveexec_b32 s2, vcc_lo
	s_xor_b32 s2, exec_lo, s2
; %bb.37:
	v_bfe_u32 v87, v84, 16, 1
	s_delay_alu instid0(VALU_DEP_1)
	v_add3_u32 v87, v84, v87, 0x7fff
                                        ; implicit-def: $vgpr84
; %bb.38:
	s_and_not1_saveexec_b32 s2, s2
; %bb.39:
	v_and_b32_e32 v87, 0xffff, v84
	v_or_b32_e32 v90, 0x10000, v84
	s_delay_alu instid0(VALU_DEP_2) | instskip(NEXT) | instid1(VALU_DEP_2)
	v_cmp_eq_u32_e32 vcc_lo, 0, v87
	v_cndmask_b32_e32 v87, v90, v84, vcc_lo
; %bb.40:
	s_or_b32 exec_lo, exec_lo, s2
	v_and_b32_e32 v84, 0x7f800000, v82
	s_delay_alu instid0(VALU_DEP_1) | instskip(SKIP_1) | instid1(SALU_CYCLE_1)
	v_cmp_ne_u32_e32 vcc_lo, 0x7f800000, v84
                                        ; implicit-def: $vgpr84
	s_and_saveexec_b32 s2, vcc_lo
	s_xor_b32 s2, exec_lo, s2
; %bb.41:
	v_bfe_u32 v84, v82, 16, 1
	s_delay_alu instid0(VALU_DEP_1)
	v_add3_u32 v84, v82, v84, 0x7fff
                                        ; implicit-def: $vgpr82
; %bb.42:
	s_and_not1_saveexec_b32 s2, s2
; %bb.43:
	v_and_b32_e32 v84, 0xffff, v82
	v_or_b32_e32 v90, 0x10000, v82
	s_delay_alu instid0(VALU_DEP_2) | instskip(NEXT) | instid1(VALU_DEP_2)
	v_cmp_eq_u32_e32 vcc_lo, 0, v84
	v_cndmask_b32_e32 v84, v90, v82, vcc_lo
; %bb.44:
	s_or_b32 exec_lo, exec_lo, s2
	s_load_b64 s[34:35], s[0:1], 0x94
	v_lshlrev_b32_e32 v82, 4, v74
	s_delay_alu instid0(VALU_DEP_2)
	v_perm_b32 v90, v84, v87, 0x7060302
	v_lshlrev_b32_e32 v84, 11, v65
	v_perm_b32 v87, v83, v77, 0x7060302
	v_mul_f32_e32 v83, v81, v69
	v_mul_f32_e32 v69, v81, v80
	v_perm_b32 v89, v88, v89, 0x7060302
	v_perm_b32 v88, v86, v85, 0x7060302
	v_or3_b32 v77, v82, v84, v76
	v_mul_f32_e32 v79, v81, v79
	v_mul_f32_e32 v78, v81, v78
	v_and_b32_e32 v84, 0x7f800000, v83
	v_mul_f32_e32 v72, v81, v72
	v_mul_f32_e32 v82, v81, v71
	;; [unrolled: 1-line block ×4, first 2 shown]
	s_mov_b32 s2, exec_lo
	ds_store_b128 v77, v[87:90]
                                        ; implicit-def: $vgpr68
	v_cmpx_ne_u32_e32 0x7f800000, v84
	s_xor_b32 s2, exec_lo, s2
; %bb.45:
	v_bfe_u32 v68, v83, 16, 1
	s_delay_alu instid0(VALU_DEP_1)
	v_add3_u32 v68, v83, v68, 0x7fff
                                        ; implicit-def: $vgpr83
; %bb.46:
	s_and_not1_saveexec_b32 s2, s2
; %bb.47:
	v_and_b32_e32 v68, 0xffff, v83
	v_or_b32_e32 v70, 0x10000, v83
	s_delay_alu instid0(VALU_DEP_2) | instskip(NEXT) | instid1(VALU_DEP_2)
	v_cmp_eq_u32_e32 vcc_lo, 0, v68
	v_cndmask_b32_e32 v68, v70, v83, vcc_lo
; %bb.48:
	s_or_b32 exec_lo, exec_lo, s2
	v_and_b32_e32 v70, 0x7f800000, v71
	s_delay_alu instid0(VALU_DEP_1) | instskip(SKIP_1) | instid1(SALU_CYCLE_1)
	v_cmp_ne_u32_e32 vcc_lo, 0x7f800000, v70
                                        ; implicit-def: $vgpr70
	s_and_saveexec_b32 s2, vcc_lo
	s_xor_b32 s2, exec_lo, s2
; %bb.49:
	v_bfe_u32 v70, v71, 16, 1
	s_delay_alu instid0(VALU_DEP_1)
	v_add3_u32 v70, v71, v70, 0x7fff
                                        ; implicit-def: $vgpr71
; %bb.50:
	s_and_not1_saveexec_b32 s2, s2
; %bb.51:
	v_and_b32_e32 v70, 0xffff, v71
	v_or_b32_e32 v81, 0x10000, v71
	s_delay_alu instid0(VALU_DEP_2) | instskip(NEXT) | instid1(VALU_DEP_2)
	v_cmp_eq_u32_e32 vcc_lo, 0, v70
	v_cndmask_b32_e32 v70, v81, v71, vcc_lo
; %bb.52:
	s_or_b32 exec_lo, exec_lo, s2
	v_and_b32_e32 v71, 0x7f800000, v80
	s_delay_alu instid0(VALU_DEP_1) | instskip(SKIP_1) | instid1(SALU_CYCLE_1)
	v_cmp_ne_u32_e32 vcc_lo, 0x7f800000, v71
                                        ; implicit-def: $vgpr71
	s_and_saveexec_b32 s2, vcc_lo
	s_xor_b32 s2, exec_lo, s2
; %bb.53:
	v_bfe_u32 v71, v80, 16, 1
	s_delay_alu instid0(VALU_DEP_1)
	v_add3_u32 v71, v80, v71, 0x7fff
                                        ; implicit-def: $vgpr80
; %bb.54:
	s_and_not1_saveexec_b32 s2, s2
; %bb.55:
	v_and_b32_e32 v71, 0xffff, v80
	v_or_b32_e32 v81, 0x10000, v80
	s_delay_alu instid0(VALU_DEP_2) | instskip(NEXT) | instid1(VALU_DEP_2)
	v_cmp_eq_u32_e32 vcc_lo, 0, v71
	v_cndmask_b32_e32 v71, v81, v80, vcc_lo
; %bb.56:
	s_or_b32 exec_lo, exec_lo, s2
	v_and_b32_e32 v80, 0x7f800000, v82
	s_delay_alu instid0(VALU_DEP_1) | instskip(SKIP_1) | instid1(SALU_CYCLE_1)
	v_cmp_ne_u32_e32 vcc_lo, 0x7f800000, v80
                                        ; implicit-def: $vgpr80
	s_and_saveexec_b32 s2, vcc_lo
	s_xor_b32 s2, exec_lo, s2
; %bb.57:
	v_bfe_u32 v80, v82, 16, 1
	s_delay_alu instid0(VALU_DEP_1)
	v_add3_u32 v80, v82, v80, 0x7fff
                                        ; implicit-def: $vgpr82
; %bb.58:
	s_and_not1_saveexec_b32 s2, s2
; %bb.59:
	v_and_b32_e32 v80, 0xffff, v82
	v_or_b32_e32 v81, 0x10000, v82
	s_delay_alu instid0(VALU_DEP_2) | instskip(NEXT) | instid1(VALU_DEP_2)
	v_cmp_eq_u32_e32 vcc_lo, 0, v80
	v_cndmask_b32_e32 v80, v81, v82, vcc_lo
; %bb.60:
	s_or_b32 exec_lo, exec_lo, s2
	v_and_b32_e32 v81, 0x7f800000, v72
	s_delay_alu instid0(VALU_DEP_1) | instskip(SKIP_1) | instid1(SALU_CYCLE_1)
	v_cmp_ne_u32_e32 vcc_lo, 0x7f800000, v81
                                        ; implicit-def: $vgpr81
	s_and_saveexec_b32 s2, vcc_lo
	s_xor_b32 s2, exec_lo, s2
; %bb.61:
	v_bfe_u32 v81, v72, 16, 1
	s_delay_alu instid0(VALU_DEP_1)
	v_add3_u32 v81, v72, v81, 0x7fff
                                        ; implicit-def: $vgpr72
; %bb.62:
	s_and_not1_saveexec_b32 s2, s2
; %bb.63:
	v_and_b32_e32 v81, 0xffff, v72
	v_or_b32_e32 v82, 0x10000, v72
	s_delay_alu instid0(VALU_DEP_2) | instskip(NEXT) | instid1(VALU_DEP_2)
	v_cmp_eq_u32_e32 vcc_lo, 0, v81
	v_cndmask_b32_e32 v81, v82, v72, vcc_lo
; %bb.64:
	s_or_b32 exec_lo, exec_lo, s2
	v_and_b32_e32 v72, 0x7f800000, v78
	s_delay_alu instid0(VALU_DEP_1) | instskip(SKIP_1) | instid1(SALU_CYCLE_1)
	v_cmp_ne_u32_e32 vcc_lo, 0x7f800000, v72
                                        ; implicit-def: $vgpr72
	s_and_saveexec_b32 s2, vcc_lo
	s_xor_b32 s2, exec_lo, s2
; %bb.65:
	v_bfe_u32 v72, v78, 16, 1
	s_delay_alu instid0(VALU_DEP_1)
	v_add3_u32 v72, v78, v72, 0x7fff
                                        ; implicit-def: $vgpr78
; %bb.66:
	s_and_not1_saveexec_b32 s2, s2
; %bb.67:
	v_and_b32_e32 v72, 0xffff, v78
	v_or_b32_e32 v82, 0x10000, v78
	s_delay_alu instid0(VALU_DEP_2) | instskip(NEXT) | instid1(VALU_DEP_2)
	v_cmp_eq_u32_e32 vcc_lo, 0, v72
	v_cndmask_b32_e32 v72, v82, v78, vcc_lo
; %bb.68:
	s_or_b32 exec_lo, exec_lo, s2
	v_and_b32_e32 v78, 0x7f800000, v79
	s_delay_alu instid0(VALU_DEP_1) | instskip(SKIP_1) | instid1(SALU_CYCLE_1)
	v_cmp_ne_u32_e32 vcc_lo, 0x7f800000, v78
                                        ; implicit-def: $vgpr78
	s_and_saveexec_b32 s2, vcc_lo
	s_xor_b32 s2, exec_lo, s2
; %bb.69:
	v_bfe_u32 v78, v79, 16, 1
	s_delay_alu instid0(VALU_DEP_1)
	v_add3_u32 v78, v79, v78, 0x7fff
                                        ; implicit-def: $vgpr79
; %bb.70:
	s_and_not1_saveexec_b32 s2, s2
; %bb.71:
	v_and_b32_e32 v78, 0xffff, v79
	v_or_b32_e32 v82, 0x10000, v79
	s_delay_alu instid0(VALU_DEP_2) | instskip(NEXT) | instid1(VALU_DEP_2)
	v_cmp_eq_u32_e32 vcc_lo, 0, v78
	v_cndmask_b32_e32 v78, v82, v79, vcc_lo
; %bb.72:
	s_or_b32 exec_lo, exec_lo, s2
	v_and_b32_e32 v79, 0x7f800000, v69
	s_delay_alu instid0(VALU_DEP_1) | instskip(SKIP_1) | instid1(SALU_CYCLE_1)
	v_cmp_ne_u32_e32 vcc_lo, 0x7f800000, v79
                                        ; implicit-def: $vgpr79
	s_and_saveexec_b32 s2, vcc_lo
	s_xor_b32 s2, exec_lo, s2
; %bb.73:
	v_bfe_u32 v79, v69, 16, 1
	s_delay_alu instid0(VALU_DEP_1)
	v_add3_u32 v79, v69, v79, 0x7fff
                                        ; implicit-def: $vgpr69
; %bb.74:
	s_and_not1_saveexec_b32 s2, s2
; %bb.75:
	v_and_b32_e32 v79, 0xffff, v69
	v_or_b32_e32 v82, 0x10000, v69
	s_delay_alu instid0(VALU_DEP_2) | instskip(NEXT) | instid1(VALU_DEP_2)
	v_cmp_eq_u32_e32 vcc_lo, 0, v79
	v_cndmask_b32_e32 v79, v82, v69, vcc_lo
; %bb.76:
	s_or_b32 exec_lo, exec_lo, s2
	s_delay_alu instid0(VALU_DEP_1)
	v_perm_b32 v86, v79, v78, 0x7060302
	v_perm_b32 v85, v72, v81, 0x7060302
	;; [unrolled: 1-line block ×4, first 2 shown]
	v_lshl_or_b32 v82, v65, 11, v76
	v_lshlrev_b32_e32 v79, 2, v74
	ds_store_b128 v77, v[83:86] offset:1024
	s_waitcnt lgkmcnt(0)
	s_barrier
	buffer_gl0_inv
	ds_load_b128 v[68:71], v82
	ds_load_b128 v[83:86], v82 offset:16
	v_or_b32_e32 v80, 1, v79
	v_cmp_eq_u32_e32 vcc_lo, 1, v79
	v_cmp_eq_u32_e64 s3, 2, v79
	v_cmp_eq_u32_e64 s6, 3, v79
	;; [unrolled: 1-line block ×6, first 2 shown]
	v_or_b32_e32 v78, 2, v79
	v_cmp_eq_u32_e64 s9, 5, v79
	v_cmp_eq_u32_e64 s10, 4, v80
	;; [unrolled: 1-line block ×9, first 2 shown]
	s_waitcnt lgkmcnt(1)
	v_lshrrev_b32_e32 v65, 16, v68
	s_waitcnt lgkmcnt(0)
	v_lshrrev_b32_e32 v91, 16, v83
	v_lshrrev_b32_e32 v72, 16, v69
	v_lshrrev_b32_e32 v97, 16, v84
	v_lshrrev_b32_e32 v95, 16, v70
	v_cndmask_b32_e32 v81, v68, v65, vcc_lo
	v_cndmask_b32_e32 v87, v83, v91, vcc_lo
	v_cndmask_b32_e64 v88, v68, v65, s2
	v_lshrrev_b32_e32 v98, 16, v85
	v_cndmask_b32_e64 v89, v83, v91, s2
	v_cndmask_b32_e64 v81, v81, v69, s3
	v_cndmask_b32_e64 v87, v87, v84, s3
	v_cndmask_b32_e64 v88, v88, v69, s5
	v_lshrrev_b32_e32 v96, 16, v71
	v_cndmask_b32_e64 v89, v89, v84, s5
	v_cndmask_b32_e64 v81, v81, v72, s6
	v_cndmask_b32_e64 v87, v87, v97, s6
	;; [unrolled: 5-line block ×3, first 2 shown]
	v_cndmask_b32_e64 v88, v88, v70, s10
	v_cndmask_b32_e64 v89, v89, v97, s7
	v_cmp_eq_u32_e64 s18, 3, v78
	v_cndmask_b32_e64 v81, v81, v95, s9
	v_cndmask_b32_e64 v87, v87, v98, s9
	;; [unrolled: 1-line block ×4, first 2 shown]
	v_cmp_eq_u32_e64 s19, 4, v78
	v_cndmask_b32_e64 v81, v81, v71, s11
	v_cndmask_b32_e64 v87, v87, v86, s11
	;; [unrolled: 1-line block ×3, first 2 shown]
	v_cmp_eq_u32_e64 s21, 5, v78
	v_cmp_eq_u32_e64 s23, 6, v78
	v_cndmask_b32_e64 v100, v81, v96, s13
	v_cndmask_b32_e64 v101, v87, v99, s13
	;; [unrolled: 1-line block ×6, first 2 shown]
	v_cmp_eq_u32_e64 s26, 7, v78
	v_cndmask_b32_e64 v89, v81, v72, s18
	v_cndmask_b32_e64 v87, v87, v84, s16
	v_or_b32_e32 v81, 3, v79
	v_cndmask_b32_e64 v103, v88, v86, s15
	s_delay_alu instid0(VALU_DEP_4) | instskip(NEXT) | instid1(VALU_DEP_4)
	v_cndmask_b32_e64 v92, v89, v70, s19
	v_cndmask_b32_e64 v93, v87, v97, s18
	s_delay_alu instid0(VALU_DEP_4)
	v_cmp_eq_u32_e64 s20, 1, v81
	ds_load_b128 v[87:90], v82 offset:1024
	v_cmp_eq_u32_e64 s22, 2, v81
	v_cndmask_b32_e64 v104, v92, v95, s21
	v_cmp_eq_u32_e64 s24, 3, v81
	v_cndmask_b32_e64 v65, v68, v65, s20
	v_cndmask_b32_e64 v68, v93, v85, s19
	;; [unrolled: 1-line block ×3, first 2 shown]
	ds_load_b128 v[91:94], v82 offset:1040
	v_cmp_eq_u32_e64 s25, 4, v81
	v_cndmask_b32_e64 v65, v65, v69, s22
	v_cmp_eq_u32_e64 s27, 5, v81
	v_cndmask_b32_e64 v69, v83, v84, s22
	;; [unrolled: 2-line block ×3, first 2 shown]
	v_cndmask_b32_e64 v65, v65, v72, s24
	v_cndmask_b32_e64 v72, v104, v71, s23
	;; [unrolled: 1-line block ×6, first 2 shown]
	s_waitcnt lgkmcnt(1)
	v_lshrrev_b32_e32 v84, 16, v87
	v_cndmask_b32_e64 v69, v69, v85, s25
	v_cndmask_b32_e64 v70, v72, v96, s26
	;; [unrolled: 1-line block ×4, first 2 shown]
	v_cndmask_b32_e32 v72, v87, v84, vcc_lo
	v_cndmask_b32_e64 v69, v69, v98, s27
	s_waitcnt lgkmcnt(0)
	v_lshrrev_b32_e32 v85, 16, v91
	v_lshrrev_b32_e32 v95, 16, v88
	v_cndmask_b32_e64 v97, v87, v84, s2
	v_cndmask_b32_e64 v72, v72, v88, s3
	;; [unrolled: 1-line block ×3, first 2 shown]
	v_cndmask_b32_e32 v98, v91, v85, vcc_lo
	v_cmp_eq_u32_e32 vcc_lo, 7, v81
	v_cndmask_b32_e64 v69, v69, v86, s28
	v_cndmask_b32_e64 v71, v72, v95, s6
	;; [unrolled: 1-line block ×3, first 2 shown]
	v_lshrrev_b32_e32 v97, 16, v92
	v_cndmask_b32_e32 v65, v65, v96, vcc_lo
	v_cndmask_b32_e64 v86, v98, v92, s3
	v_cndmask_b32_e32 v69, v69, v99, vcc_lo
	v_lshrrev_b32_e32 v99, 16, v93
	v_cndmask_b32_e64 v71, v71, v89, s8
	v_lshrrev_b32_e32 v98, 16, v89
	v_cndmask_b32_e64 v86, v86, v97, s6
	v_perm_b32 v70, v68, v70, 0x5040100
	v_cndmask_b32_e64 v72, v72, v95, s7
	s_delay_alu instid0(VALU_DEP_4) | instskip(NEXT) | instid1(VALU_DEP_4)
	v_cndmask_b32_e64 v96, v71, v98, s9
	v_cndmask_b32_e64 v86, v86, v93, s8
	v_perm_b32 v71, v69, v65, 0x5040100
	v_perm_b32 v69, v83, v102, 0x5040100
	v_cndmask_b32_e64 v102, v91, v85, s4
	v_cndmask_b32_e64 v72, v72, v89, s10
	v_cndmask_b32_e64 v86, v86, v99, s9
	v_lshrrev_b32_e32 v83, 16, v94
	s_delay_alu instid0(VALU_DEP_3) | instskip(NEXT) | instid1(VALU_DEP_3)
	v_cndmask_b32_e64 v65, v72, v98, s12
	v_cndmask_b32_e64 v68, v86, v94, s11
	;; [unrolled: 1-line block ×27, first 2 shown]
	v_lshrrev_b32_e32 v96, 16, v90
	v_cndmask_b32_e64 v65, v65, v90, s15
	v_cndmask_b32_e64 v86, v86, v90, s23
	;; [unrolled: 1-line block ×9, first 2 shown]
	v_cndmask_b32_e32 v84, v84, v96, vcc_lo
	v_cndmask_b32_e32 v86, v87, v83, vcc_lo
	v_cndmask_b32_e64 v87, v88, v83, s26
	v_cndmask_b32_e64 v88, v85, v83, s17
	;; [unrolled: 1-line block ×3, first 2 shown]
	v_perm_b32 v68, v101, v100, 0x5040100
	v_perm_b32 v86, v86, v84, 0x5040100
	;; [unrolled: 1-line block ×5, first 2 shown]
	s_lshl_b32 s7, s35, 4
	s_mov_b32 s2, exec_lo
	ds_store_b128 v77, v[68:71]
	ds_store_b128 v77, v[83:86] offset:1024
	v_cmpx_gt_u32_e32 16, v0
	s_cbranch_execz .LBB1661_78
; %bb.77:
	v_or_b32_e32 v65, s29, v0
	s_load_b128 s[8:11], s[0:1], 0x58
	s_delay_alu instid0(VALU_DEP_1) | instskip(NEXT) | instid1(VALU_DEP_1)
	v_mad_u64_u32 v[68:69], null, s7, s30, v[65:66]
	v_mad_u64_u32 v[69:70], null, v68, s34, s[14:15]
	s_delay_alu instid0(VALU_DEP_1) | instskip(NEXT) | instid1(VALU_DEP_1)
	v_ashrrev_i32_e32 v70, 31, v69
	v_lshlrev_b64 v[68:69], 2, v[69:70]
	s_waitcnt lgkmcnt(0)
	s_delay_alu instid0(VALU_DEP_1) | instskip(NEXT) | instid1(VALU_DEP_2)
	v_add_co_u32 v70, vcc_lo, s10, v68
	v_add_co_ci_u32_e32 v71, vcc_lo, s11, v69, vcc_lo
	v_add_co_u32 v68, vcc_lo, s8, v68
	v_add_co_ci_u32_e32 v69, vcc_lo, s9, v69, vcc_lo
	global_store_b32 v[70:71], v66, off
	global_store_b32 v[68:69], v67, off
.LBB1661_78:
	s_or_b32 exec_lo, exec_lo, s2
	s_waitcnt lgkmcnt(0)
	s_waitcnt_vscnt null, 0x0
	s_barrier
	buffer_gl0_inv
	ds_load_b128 v[83:86], v76
	ds_load_b128 v[87:90], v76 offset:16
	ds_load_b128 v[95:98], v76 offset:2064
	;; [unrolled: 1-line block ×3, first 2 shown]
	v_mov_b32_e32 v65, 0
	ds_load_b128 v[103:106], v76 offset:4112
	ds_load_b128 v[99:102], v76 offset:4096
	;; [unrolled: 1-line block ×4, first 2 shown]
	v_mov_b32_e32 v66, v65
	v_mov_b32_e32 v67, v65
	;; [unrolled: 1-line block ×7, first 2 shown]
	s_waitcnt lgkmcnt(6)
	s_delay_alu instid0(VALU_DEP_1)
	v_wmma_f32_16x16x16_bf16 v[65:72], v[49:56], v[83:90], v[65:72]
	ds_load_b128 v[53:56], v76 offset:8208
	ds_load_b128 v[49:52], v76 offset:8192
	s_waitcnt lgkmcnt(6)
	v_wmma_f32_16x16x16_bf16 v[65:72], v[41:48], v[91:98], v[65:72]
	ds_load_b128 v[45:48], v76 offset:10256
	ds_load_b128 v[41:44], v76 offset:10240
	s_waitcnt lgkmcnt(6)
	;; [unrolled: 4-line block ×4, first 2 shown]
	v_wmma_f32_16x16x16_bf16 v[65:72], v[1:8], v[49:56], v[65:72]
	s_waitcnt lgkmcnt(4)
	s_delay_alu instid0(VALU_DEP_1) | instskip(SKIP_1) | instid1(VALU_DEP_1)
	v_wmma_f32_16x16x16_bf16 v[65:72], v[9:16], v[41:48], v[65:72]
	s_waitcnt lgkmcnt(2)
	v_wmma_f32_16x16x16_bf16 v[65:72], v[17:24], v[33:40], v[65:72]
	s_waitcnt lgkmcnt(0)
	s_delay_alu instid0(VALU_DEP_1) | instskip(NEXT) | instid1(VALU_DEP_1)
	v_wmma_f32_16x16x16_bf16 v[65:72], v[57:64], v[25:32], v[65:72]
	v_and_b32_e32 v1, 0x7f800000, v65
	s_delay_alu instid0(VALU_DEP_1) | instskip(SKIP_1) | instid1(SALU_CYCLE_1)
	v_cmp_ne_u32_e32 vcc_lo, 0x7f800000, v1
                                        ; implicit-def: $vgpr1
	s_and_saveexec_b32 s2, vcc_lo
	s_xor_b32 s2, exec_lo, s2
; %bb.79:
	v_bfe_u32 v1, v65, 16, 1
	s_delay_alu instid0(VALU_DEP_1)
	v_add3_u32 v1, v65, v1, 0x7fff
; %bb.80:
	s_and_not1_saveexec_b32 s2, s2
; %bb.81:
	v_and_b32_e32 v1, 0xffff, v65
	v_or_b32_e32 v2, 0x10000, v65
	s_delay_alu instid0(VALU_DEP_2) | instskip(NEXT) | instid1(VALU_DEP_2)
	v_cmp_eq_u32_e32 vcc_lo, 0, v1
	v_cndmask_b32_e32 v1, v2, v65, vcc_lo
; %bb.82:
	s_or_b32 exec_lo, exec_lo, s2
	v_and_b32_e32 v2, 0x7f800000, v66
	s_delay_alu instid0(VALU_DEP_1) | instskip(SKIP_1) | instid1(SALU_CYCLE_1)
	v_cmp_ne_u32_e32 vcc_lo, 0x7f800000, v2
                                        ; implicit-def: $vgpr2
	s_and_saveexec_b32 s2, vcc_lo
	s_xor_b32 s2, exec_lo, s2
; %bb.83:
	v_bfe_u32 v2, v66, 16, 1
	s_delay_alu instid0(VALU_DEP_1)
	v_add3_u32 v2, v66, v2, 0x7fff
; %bb.84:
	s_and_not1_saveexec_b32 s2, s2
; %bb.85:
	v_and_b32_e32 v2, 0xffff, v66
	v_or_b32_e32 v3, 0x10000, v66
	s_delay_alu instid0(VALU_DEP_2) | instskip(NEXT) | instid1(VALU_DEP_2)
	v_cmp_eq_u32_e32 vcc_lo, 0, v2
	v_cndmask_b32_e32 v2, v3, v66, vcc_lo
; %bb.86:
	s_or_b32 exec_lo, exec_lo, s2
	v_and_b32_e32 v3, 0x7f800000, v67
	s_delay_alu instid0(VALU_DEP_1) | instskip(SKIP_1) | instid1(SALU_CYCLE_1)
	v_cmp_ne_u32_e32 vcc_lo, 0x7f800000, v3
                                        ; implicit-def: $vgpr3
	s_and_saveexec_b32 s2, vcc_lo
	s_xor_b32 s2, exec_lo, s2
; %bb.87:
	v_bfe_u32 v3, v67, 16, 1
	s_delay_alu instid0(VALU_DEP_1)
	v_add3_u32 v3, v67, v3, 0x7fff
; %bb.88:
	s_and_not1_saveexec_b32 s2, s2
; %bb.89:
	v_and_b32_e32 v3, 0xffff, v67
	v_or_b32_e32 v4, 0x10000, v67
	s_delay_alu instid0(VALU_DEP_2) | instskip(NEXT) | instid1(VALU_DEP_2)
	v_cmp_eq_u32_e32 vcc_lo, 0, v3
	v_cndmask_b32_e32 v3, v4, v67, vcc_lo
; %bb.90:
	s_or_b32 exec_lo, exec_lo, s2
	v_and_b32_e32 v4, 0x7f800000, v68
	s_delay_alu instid0(VALU_DEP_1) | instskip(SKIP_1) | instid1(SALU_CYCLE_1)
	v_cmp_ne_u32_e32 vcc_lo, 0x7f800000, v4
                                        ; implicit-def: $vgpr4
	s_and_saveexec_b32 s2, vcc_lo
	s_xor_b32 s2, exec_lo, s2
; %bb.91:
	v_bfe_u32 v4, v68, 16, 1
	s_delay_alu instid0(VALU_DEP_1)
	v_add3_u32 v4, v68, v4, 0x7fff
; %bb.92:
	s_and_not1_saveexec_b32 s2, s2
; %bb.93:
	v_and_b32_e32 v4, 0xffff, v68
	v_or_b32_e32 v5, 0x10000, v68
	s_delay_alu instid0(VALU_DEP_2) | instskip(NEXT) | instid1(VALU_DEP_2)
	v_cmp_eq_u32_e32 vcc_lo, 0, v4
	v_cndmask_b32_e32 v4, v5, v68, vcc_lo
; %bb.94:
	s_or_b32 exec_lo, exec_lo, s2
	v_and_b32_e32 v5, 0x7f800000, v69
	s_delay_alu instid0(VALU_DEP_1) | instskip(SKIP_1) | instid1(SALU_CYCLE_1)
	v_cmp_ne_u32_e32 vcc_lo, 0x7f800000, v5
                                        ; implicit-def: $vgpr5
	s_and_saveexec_b32 s2, vcc_lo
	s_xor_b32 s2, exec_lo, s2
; %bb.95:
	v_bfe_u32 v5, v69, 16, 1
	s_delay_alu instid0(VALU_DEP_1)
	v_add3_u32 v5, v69, v5, 0x7fff
; %bb.96:
	s_and_not1_saveexec_b32 s2, s2
; %bb.97:
	v_and_b32_e32 v5, 0xffff, v69
	v_or_b32_e32 v6, 0x10000, v69
	s_delay_alu instid0(VALU_DEP_2) | instskip(NEXT) | instid1(VALU_DEP_2)
	v_cmp_eq_u32_e32 vcc_lo, 0, v5
	v_cndmask_b32_e32 v5, v6, v69, vcc_lo
; %bb.98:
	s_or_b32 exec_lo, exec_lo, s2
	v_and_b32_e32 v6, 0x7f800000, v70
	s_delay_alu instid0(VALU_DEP_1) | instskip(SKIP_1) | instid1(SALU_CYCLE_1)
	v_cmp_ne_u32_e32 vcc_lo, 0x7f800000, v6
                                        ; implicit-def: $vgpr6
	s_and_saveexec_b32 s2, vcc_lo
	s_xor_b32 s2, exec_lo, s2
; %bb.99:
	v_bfe_u32 v6, v70, 16, 1
	s_delay_alu instid0(VALU_DEP_1)
	v_add3_u32 v6, v70, v6, 0x7fff
; %bb.100:
	s_and_not1_saveexec_b32 s2, s2
; %bb.101:
	v_and_b32_e32 v6, 0xffff, v70
	v_or_b32_e32 v7, 0x10000, v70
	s_delay_alu instid0(VALU_DEP_2) | instskip(NEXT) | instid1(VALU_DEP_2)
	v_cmp_eq_u32_e32 vcc_lo, 0, v6
	v_cndmask_b32_e32 v6, v7, v70, vcc_lo
; %bb.102:
	s_or_b32 exec_lo, exec_lo, s2
	v_and_b32_e32 v7, 0x7f800000, v71
	s_delay_alu instid0(VALU_DEP_1) | instskip(SKIP_1) | instid1(SALU_CYCLE_1)
	v_cmp_ne_u32_e32 vcc_lo, 0x7f800000, v7
                                        ; implicit-def: $vgpr7
	s_and_saveexec_b32 s2, vcc_lo
	s_xor_b32 s2, exec_lo, s2
; %bb.103:
	v_bfe_u32 v7, v71, 16, 1
	s_delay_alu instid0(VALU_DEP_1)
	v_add3_u32 v7, v71, v7, 0x7fff
; %bb.104:
	s_and_not1_saveexec_b32 s2, s2
; %bb.105:
	v_and_b32_e32 v7, 0xffff, v71
	v_or_b32_e32 v8, 0x10000, v71
	s_delay_alu instid0(VALU_DEP_2) | instskip(NEXT) | instid1(VALU_DEP_2)
	v_cmp_eq_u32_e32 vcc_lo, 0, v7
	v_cndmask_b32_e32 v7, v8, v71, vcc_lo
; %bb.106:
	s_or_b32 exec_lo, exec_lo, s2
	v_and_b32_e32 v8, 0x7f800000, v72
	s_delay_alu instid0(VALU_DEP_1) | instskip(SKIP_1) | instid1(SALU_CYCLE_1)
	v_cmp_ne_u32_e32 vcc_lo, 0x7f800000, v8
                                        ; implicit-def: $vgpr8
	s_and_saveexec_b32 s2, vcc_lo
	s_xor_b32 s2, exec_lo, s2
; %bb.107:
	v_bfe_u32 v8, v72, 16, 1
	s_delay_alu instid0(VALU_DEP_1)
	v_add3_u32 v8, v72, v8, 0x7fff
                                        ; implicit-def: $vgpr65_vgpr66_vgpr67_vgpr68_vgpr69_vgpr70_vgpr71_vgpr72
; %bb.108:
	s_and_not1_saveexec_b32 s2, s2
; %bb.109:
	v_and_b32_e32 v8, 0xffff, v72
	v_or_b32_e32 v9, 0x10000, v72
	s_delay_alu instid0(VALU_DEP_2) | instskip(NEXT) | instid1(VALU_DEP_2)
	v_cmp_eq_u32_e32 vcc_lo, 0, v8
	v_cndmask_b32_e32 v8, v9, v72, vcc_lo
; %bb.110:
	s_or_b32 exec_lo, exec_lo, s2
	s_delay_alu instid0(VALU_DEP_1)
	v_perm_b32 v7, v8, v7, 0x7060302
	v_perm_b32 v6, v6, v5, 0x7060302
	;; [unrolled: 1-line block ×4, first 2 shown]
	s_barrier
	buffer_gl0_inv
	v_cmp_eq_u32_e32 vcc_lo, 1, v79
	ds_store_b128 v77, v[4:7]
	s_waitcnt lgkmcnt(0)
	s_barrier
	buffer_gl0_inv
	ds_load_b128 v[1:4], v82
	ds_load_b128 v[5:8], v82 offset:16
	v_cmp_eq_u32_e64 s2, 1, v80
	v_cmp_eq_u32_e64 s3, 2, v79
	;; [unrolled: 1-line block ×5, first 2 shown]
	s_waitcnt lgkmcnt(1)
	v_lshrrev_b32_e32 v9, 16, v1
	s_waitcnt lgkmcnt(0)
	v_lshrrev_b32_e32 v13, 16, v5
	v_lshrrev_b32_e32 v10, 16, v2
	;; [unrolled: 1-line block ×4, first 2 shown]
	v_cndmask_b32_e64 v19, v1, v9, s2
	v_cndmask_b32_e32 v18, v5, v13, vcc_lo
	v_cndmask_b32_e64 v20, v5, v13, s2
	v_cndmask_b32_e32 v17, v1, v9, vcc_lo
	v_cmp_eq_u32_e32 vcc_lo, 2, v80
	v_lshrrev_b32_e32 v15, 16, v7
	v_cmp_eq_u32_e64 s2, 1, v78
	v_lshrrev_b32_e32 v12, 16, v4
	v_lshrrev_b32_e32 v16, 16, v8
	v_cndmask_b32_e32 v20, v20, v6, vcc_lo
	v_cndmask_b32_e64 v17, v17, v2, s3
	v_cndmask_b32_e32 v19, v19, v2, vcc_lo
	v_cndmask_b32_e64 v18, v18, v6, s3
	v_cmp_eq_u32_e32 vcc_lo, 4, v79
	v_cmp_eq_u32_e64 s3, 3, v80
	v_cndmask_b32_e64 v17, v17, v10, s4
	v_cndmask_b32_e64 v21, v1, v9, s2
	;; [unrolled: 1-line block ×5, first 2 shown]
	v_cndmask_b32_e32 v17, v17, v3, vcc_lo
	v_cndmask_b32_e64 v20, v20, v14, s3
	v_cndmask_b32_e32 v18, v18, v7, vcc_lo
	v_cmp_eq_u32_e32 vcc_lo, 4, v80
	v_cmp_eq_u32_e64 s3, 5, v80
	v_cmp_eq_u32_e64 s2, 2, v81
	v_cndmask_b32_e64 v21, v21, v2, s6
	v_cmp_eq_u32_e64 s4, 5, v79
	v_cndmask_b32_e32 v19, v19, v3, vcc_lo
	v_cndmask_b32_e32 v20, v20, v7, vcc_lo
	v_cmp_eq_u32_e32 vcc_lo, 6, v80
	s_delay_alu instid0(VALU_DEP_4) | instskip(NEXT) | instid1(VALU_DEP_4)
	v_cndmask_b32_e64 v17, v17, v11, s4
	v_cndmask_b32_e64 v19, v19, v11, s3
	s_delay_alu instid0(VALU_DEP_4) | instskip(SKIP_1) | instid1(VALU_DEP_3)
	v_cndmask_b32_e64 v20, v20, v15, s3
	v_cmp_eq_u32_e64 s3, 1, v81
	v_cndmask_b32_e32 v19, v19, v4, vcc_lo
	v_cndmask_b32_e64 v18, v18, v15, s4
	s_delay_alu instid0(VALU_DEP_3)
	v_cndmask_b32_e64 v1, v1, v9, s3
	v_cndmask_b32_e64 v5, v5, v13, s3
	v_cmp_eq_u32_e64 s3, 3, v78
	v_cndmask_b32_e64 v13, v22, v6, s6
	v_cmp_eq_u32_e64 s6, 3, v81
	v_cndmask_b32_e64 v1, v1, v2, s2
	v_cndmask_b32_e64 v2, v5, v6, s2
	;; [unrolled: 1-line block ×3, first 2 shown]
	v_cmp_eq_u32_e64 s2, 4, v78
	v_cndmask_b32_e64 v6, v13, v14, s3
	v_cndmask_b32_e64 v1, v1, v10, s6
	v_cmp_eq_u32_e64 s3, 4, v81
	v_cndmask_b32_e64 v2, v2, v14, s6
	v_cndmask_b32_e64 v5, v9, v3, s2
	;; [unrolled: 3-line block ×3, first 2 shown]
	v_cndmask_b32_e64 v2, v2, v7, s3
	v_cmp_eq_u32_e64 s2, 5, v81
	v_cmp_eq_u32_e64 s4, 6, v79
	v_cndmask_b32_e64 v5, v5, v11, s6
	v_cmp_eq_u32_e64 s3, 6, v78
	v_cndmask_b32_e64 v3, v6, v15, s6
	v_cndmask_b32_e64 v1, v1, v11, s2
	v_cmp_eq_u32_e64 s6, 6, v81
	v_cndmask_b32_e64 v2, v2, v15, s2
	v_cndmask_b32_e64 v17, v17, v4, s4
	v_cndmask_b32_e64 v18, v18, v8, s4
	v_cmp_eq_u32_e64 s4, 7, v79
	v_cndmask_b32_e64 v5, v5, v4, s3
	;; [unrolled: 4-line block ×3, first 2 shown]
	v_cmp_eq_u32_e64 s3, 7, v78
	v_cndmask_b32_e32 v4, v20, v8, vcc_lo
	v_cndmask_b32_e64 v17, v17, v12, s4
	v_cndmask_b32_e64 v19, v19, v12, s5
	;; [unrolled: 1-line block ×8, first 2 shown]
	s_mov_b32 s2, exec_lo
	v_perm_b32 v4, v2, v1, 0x5040100
	v_perm_b32 v3, v3, v5, 0x5040100
	;; [unrolled: 1-line block ×4, first 2 shown]
	ds_store_b128 v77, v[1:4]
	s_waitcnt lgkmcnt(0)
	s_barrier
	buffer_gl0_inv
	v_cmpx_gt_u32_e32 32, v0
	s_cbranch_execz .LBB1661_2
; %bb.111:
	s_load_b64 s[0:1], s[0:1], 0x68
	v_lshlrev_b32_e32 v0, 10, v0
	s_lshl_b32 s4, s34, 7
	v_or_b32_e32 v23, s29, v74
	s_mul_i32 s2, s4, s30
	v_lshlrev_b32_e32 v1, 4, v75
	v_lshlrev_b32_e32 v2, 6, v74
	s_mul_i32 s2, s2, s7
	v_and_b32_e32 v0, 0x3800, v0
	v_mul_lo_u32 v8, v23, s4
	s_ashr_i32 s3, s2, 31
	v_or_b32_e32 v3, 2, v23
	s_lshl_b64 s[2:3], s[2:3], 1
	v_or3_b32 v27, v0, v1, v2
	v_or_b32_e32 v11, 4, v23
	v_or_b32_e32 v18, 6, v23
	v_mul_lo_u32 v10, v3, s4
	v_ashrrev_i32_e32 v9, 31, v8
	ds_load_b128 v[0:3], v27
	ds_load_b128 v[4:7], v27 offset:128
	v_mul_lo_u32 v12, v11, s4
	s_waitcnt lgkmcnt(0)
	s_add_u32 s2, s0, s2
	s_addc_u32 s3, s1, s3
	s_lshl_b32 s0, s14, 7
	v_lshlrev_b64 v[8:9], 1, v[8:9]
	s_ashr_i32 s1, s0, 31
	v_ashrrev_i32_e32 v11, 31, v10
	s_lshl_b64 s[0:1], s[0:1], 1
	v_ashrrev_i32_e32 v13, 31, v12
	s_add_u32 s0, s2, s0
	s_addc_u32 s1, s3, s1
	v_add_co_u32 v30, s0, s0, v73
	s_delay_alu instid0(VALU_DEP_1) | instskip(SKIP_1) | instid1(VALU_DEP_3)
	v_add_co_ci_u32_e64 v31, null, s1, 0, s0
	v_lshlrev_b64 v[16:17], 1, v[10:11]
	v_add_co_u32 v14, vcc_lo, v30, v8
	s_delay_alu instid0(VALU_DEP_3)
	v_add_co_ci_u32_e32 v15, vcc_lo, v31, v9, vcc_lo
	ds_load_b128 v[8:11], v27 offset:256
	v_mul_lo_u32 v18, v18, s4
	v_or_b32_e32 v19, 8, v23
	v_add_co_u32 v16, vcc_lo, v30, v16
	global_store_b128 v[14:15], v[0:3], off
	v_lshlrev_b64 v[0:1], 1, v[12:13]
	v_add_co_ci_u32_e32 v17, vcc_lo, v31, v17, vcc_lo
	v_mul_lo_u32 v12, v19, s4
	v_ashrrev_i32_e32 v19, 31, v18
	v_or_b32_e32 v14, 10, v23
	global_store_b128 v[16:17], v[4:7], off
	v_add_co_u32 v4, vcc_lo, v30, v0
	v_add_co_ci_u32_e32 v5, vcc_lo, v31, v1, vcc_lo
	ds_load_b128 v[0:3], v27 offset:384
	v_ashrrev_i32_e32 v13, 31, v12
	v_lshlrev_b64 v[6:7], 1, v[18:19]
	v_mul_lo_u32 v14, v14, s4
	s_waitcnt lgkmcnt(1)
	global_store_b128 v[4:5], v[8:11], off
	v_or_b32_e32 v8, 12, v23
	v_lshlrev_b64 v[4:5], 1, v[12:13]
	v_add_co_u32 v20, vcc_lo, v30, v6
	v_or_b32_e32 v6, 14, v23
	v_ashrrev_i32_e32 v15, 31, v14
	v_mul_lo_u32 v22, v8, s4
	v_add_co_ci_u32_e32 v21, vcc_lo, v31, v7, vcc_lo
	v_add_co_u32 v24, vcc_lo, v30, v4
	v_mul_lo_u32 v26, v6, s4
	v_add_co_ci_u32_e32 v25, vcc_lo, v31, v5, vcc_lo
	v_lshlrev_b64 v[28:29], 1, v[14:15]
	ds_load_b128 v[4:7], v27 offset:512
	ds_load_b128 v[8:11], v27 offset:640
	;; [unrolled: 1-line block ×4, first 2 shown]
	v_ashrrev_i32_e32 v23, 31, v22
	v_ashrrev_i32_e32 v27, 31, v26
	v_add_co_u32 v28, vcc_lo, v30, v28
	s_delay_alu instid0(VALU_DEP_3) | instskip(SKIP_1) | instid1(VALU_DEP_4)
	v_lshlrev_b64 v[22:23], 1, v[22:23]
	v_add_co_ci_u32_e32 v29, vcc_lo, v31, v29, vcc_lo
	v_lshlrev_b64 v[26:27], 1, v[26:27]
	s_delay_alu instid0(VALU_DEP_3) | instskip(NEXT) | instid1(VALU_DEP_4)
	v_add_co_u32 v22, vcc_lo, v30, v22
	v_add_co_ci_u32_e32 v23, vcc_lo, v31, v23, vcc_lo
	s_delay_alu instid0(VALU_DEP_3) | instskip(NEXT) | instid1(VALU_DEP_4)
	v_add_co_u32 v26, vcc_lo, v30, v26
	v_add_co_ci_u32_e32 v27, vcc_lo, v31, v27, vcc_lo
	s_waitcnt lgkmcnt(4)
	global_store_b128 v[20:21], v[0:3], off
	s_waitcnt lgkmcnt(3)
	global_store_b128 v[24:25], v[4:7], off
	;; [unrolled: 2-line block ×5, first 2 shown]
	s_nop 0
	s_sendmsg sendmsg(MSG_DEALLOC_VGPRS)
	s_endpgm
	.section	.rodata,"a",@progbits
	.p2align	6, 0x0
	.amdhsa_kernel _Z39paged_attention_ll4mi_QKV_mfma16_kernelI14__hip_bfloat16hLN4vllm18Fp8KVCacheDataTypeE1ES0_Li32ELi128ELi256ELb0ELi16EL8MFMAType1EEvPKT_PKT0_S9_ifPKiSB_SB_iPKfiiiPfSE_PS4_PT2_iSD_SD_
		.amdhsa_group_segment_fixed_size 17472
		.amdhsa_private_segment_fixed_size 0
		.amdhsa_kernarg_size 400
		.amdhsa_user_sgpr_count 13
		.amdhsa_user_sgpr_dispatch_ptr 0
		.amdhsa_user_sgpr_queue_ptr 0
		.amdhsa_user_sgpr_kernarg_segment_ptr 1
		.amdhsa_user_sgpr_dispatch_id 0
		.amdhsa_user_sgpr_private_segment_size 0
		.amdhsa_wavefront_size32 1
		.amdhsa_uses_dynamic_stack 0
		.amdhsa_enable_private_segment 0
		.amdhsa_system_sgpr_workgroup_id_x 1
		.amdhsa_system_sgpr_workgroup_id_y 1
		.amdhsa_system_sgpr_workgroup_id_z 1
		.amdhsa_system_sgpr_workgroup_info 0
		.amdhsa_system_vgpr_workitem_id 0
		.amdhsa_next_free_vgpr 141
		.amdhsa_next_free_sgpr 36
		.amdhsa_reserve_vcc 1
		.amdhsa_float_round_mode_32 0
		.amdhsa_float_round_mode_16_64 0
		.amdhsa_float_denorm_mode_32 3
		.amdhsa_float_denorm_mode_16_64 3
		.amdhsa_dx10_clamp 1
		.amdhsa_ieee_mode 1
		.amdhsa_fp16_overflow 0
		.amdhsa_workgroup_processor_mode 1
		.amdhsa_memory_ordered 1
		.amdhsa_forward_progress 0
		.amdhsa_shared_vgpr_count 0
		.amdhsa_exception_fp_ieee_invalid_op 0
		.amdhsa_exception_fp_denorm_src 0
		.amdhsa_exception_fp_ieee_div_zero 0
		.amdhsa_exception_fp_ieee_overflow 0
		.amdhsa_exception_fp_ieee_underflow 0
		.amdhsa_exception_fp_ieee_inexact 0
		.amdhsa_exception_int_div_zero 0
	.end_amdhsa_kernel
	.section	.text._Z39paged_attention_ll4mi_QKV_mfma16_kernelI14__hip_bfloat16hLN4vllm18Fp8KVCacheDataTypeE1ES0_Li32ELi128ELi256ELb0ELi16EL8MFMAType1EEvPKT_PKT0_S9_ifPKiSB_SB_iPKfiiiPfSE_PS4_PT2_iSD_SD_,"axG",@progbits,_Z39paged_attention_ll4mi_QKV_mfma16_kernelI14__hip_bfloat16hLN4vllm18Fp8KVCacheDataTypeE1ES0_Li32ELi128ELi256ELb0ELi16EL8MFMAType1EEvPKT_PKT0_S9_ifPKiSB_SB_iPKfiiiPfSE_PS4_PT2_iSD_SD_,comdat
.Lfunc_end1661:
	.size	_Z39paged_attention_ll4mi_QKV_mfma16_kernelI14__hip_bfloat16hLN4vllm18Fp8KVCacheDataTypeE1ES0_Li32ELi128ELi256ELb0ELi16EL8MFMAType1EEvPKT_PKT0_S9_ifPKiSB_SB_iPKfiiiPfSE_PS4_PT2_iSD_SD_, .Lfunc_end1661-_Z39paged_attention_ll4mi_QKV_mfma16_kernelI14__hip_bfloat16hLN4vllm18Fp8KVCacheDataTypeE1ES0_Li32ELi128ELi256ELb0ELi16EL8MFMAType1EEvPKT_PKT0_S9_ifPKiSB_SB_iPKfiiiPfSE_PS4_PT2_iSD_SD_
                                        ; -- End function
	.section	.AMDGPU.csdata,"",@progbits
; Kernel info:
; codeLenInByte = 9048
; NumSgprs: 38
; NumVgprs: 141
; ScratchSize: 0
; MemoryBound: 0
; FloatMode: 240
; IeeeMode: 1
; LDSByteSize: 17472 bytes/workgroup (compile time only)
; SGPRBlocks: 4
; VGPRBlocks: 17
; NumSGPRsForWavesPerEU: 38
; NumVGPRsForWavesPerEU: 141
; Occupancy: 10
; WaveLimiterHint : 1
; COMPUTE_PGM_RSRC2:SCRATCH_EN: 0
; COMPUTE_PGM_RSRC2:USER_SGPR: 13
; COMPUTE_PGM_RSRC2:TRAP_HANDLER: 0
; COMPUTE_PGM_RSRC2:TGID_X_EN: 1
; COMPUTE_PGM_RSRC2:TGID_Y_EN: 1
; COMPUTE_PGM_RSRC2:TGID_Z_EN: 1
; COMPUTE_PGM_RSRC2:TIDIG_COMP_CNT: 0
	.section	.text._Z39paged_attention_ll4mi_QKV_mfma16_kernelI14__hip_bfloat16hLN4vllm18Fp8KVCacheDataTypeE1ES0_Li32ELi128ELi256ELb0ELi1EL8MFMAType1EEvPKT_PKT0_S9_ifPKiSB_SB_iPKfiiiPfSE_PS4_PT2_iSD_SD_,"axG",@progbits,_Z39paged_attention_ll4mi_QKV_mfma16_kernelI14__hip_bfloat16hLN4vllm18Fp8KVCacheDataTypeE1ES0_Li32ELi128ELi256ELb0ELi1EL8MFMAType1EEvPKT_PKT0_S9_ifPKiSB_SB_iPKfiiiPfSE_PS4_PT2_iSD_SD_,comdat
	.protected	_Z39paged_attention_ll4mi_QKV_mfma16_kernelI14__hip_bfloat16hLN4vllm18Fp8KVCacheDataTypeE1ES0_Li32ELi128ELi256ELb0ELi1EL8MFMAType1EEvPKT_PKT0_S9_ifPKiSB_SB_iPKfiiiPfSE_PS4_PT2_iSD_SD_ ; -- Begin function _Z39paged_attention_ll4mi_QKV_mfma16_kernelI14__hip_bfloat16hLN4vllm18Fp8KVCacheDataTypeE1ES0_Li32ELi128ELi256ELb0ELi1EL8MFMAType1EEvPKT_PKT0_S9_ifPKiSB_SB_iPKfiiiPfSE_PS4_PT2_iSD_SD_
	.globl	_Z39paged_attention_ll4mi_QKV_mfma16_kernelI14__hip_bfloat16hLN4vllm18Fp8KVCacheDataTypeE1ES0_Li32ELi128ELi256ELb0ELi1EL8MFMAType1EEvPKT_PKT0_S9_ifPKiSB_SB_iPKfiiiPfSE_PS4_PT2_iSD_SD_
	.p2align	8
	.type	_Z39paged_attention_ll4mi_QKV_mfma16_kernelI14__hip_bfloat16hLN4vllm18Fp8KVCacheDataTypeE1ES0_Li32ELi128ELi256ELb0ELi1EL8MFMAType1EEvPKT_PKT0_S9_ifPKiSB_SB_iPKfiiiPfSE_PS4_PT2_iSD_SD_,@function
_Z39paged_attention_ll4mi_QKV_mfma16_kernelI14__hip_bfloat16hLN4vllm18Fp8KVCacheDataTypeE1ES0_Li32ELi128ELi256ELb0ELi1EL8MFMAType1EEvPKT_PKT0_S9_ifPKiSB_SB_iPKfiiiPfSE_PS4_PT2_iSD_SD_: ; @_Z39paged_attention_ll4mi_QKV_mfma16_kernelI14__hip_bfloat16hLN4vllm18Fp8KVCacheDataTypeE1ES0_Li32ELi128ELi256ELb0ELi1EL8MFMAType1EEvPKT_PKT0_S9_ifPKiSB_SB_iPKfiiiPfSE_PS4_PT2_iSD_SD_
; %bb.0:
	s_load_b64 s[4:5], s[0:1], 0x30
	s_mov_b32 s34, s13
	s_waitcnt lgkmcnt(0)
	s_cmp_lg_u64 s[4:5], 0
	s_cselect_b32 s6, -1, 0
	s_ashr_i32 s35, s13, 31
	s_cmp_eq_u64 s[4:5], 0
	s_cbranch_scc1 .LBB1662_3
; %bb.1:
	s_lshl_b64 s[2:3], s[34:35], 2
	s_delay_alu instid0(SALU_CYCLE_1) | instskip(SKIP_4) | instid1(SALU_CYCLE_1)
	s_add_u32 s2, s4, s2
	s_addc_u32 s3, s5, s3
	s_load_b64 s[2:3], s[2:3], 0x0
	s_waitcnt lgkmcnt(0)
	s_sub_i32 s2, s3, s2
	s_cmp_eq_u32 s2, 1
	s_cselect_b32 s2, -1, 0
	s_delay_alu instid0(SALU_CYCLE_1)
	s_and_not1_b32 vcc_lo, exec_lo, s2
	s_cbranch_vccz .LBB1662_4
.LBB1662_2:
	s_endpgm
.LBB1662_3:
.LBB1662_4:
	s_load_b64 s[2:3], s[0:1], 0x28
	s_lshl_b64 s[8:9], s[34:35], 2
	s_waitcnt lgkmcnt(0)
	s_add_u32 s2, s2, s8
	s_addc_u32 s3, s3, s9
	s_lshl_b32 s12, s14, 8
	s_load_b32 s33, s[2:3], 0x0
	s_waitcnt lgkmcnt(0)
	s_cmp_ge_i32 s12, s33
	s_cbranch_scc1 .LBB1662_2
; %bb.5:
	s_clause 0x1
	s_load_b128 s[56:59], s[0:1], 0x8
	s_load_b64 s[2:3], s[0:1], 0x20
	s_and_not1_b32 vcc_lo, exec_lo, s6
	s_mov_b64 s[6:7], s[34:35]
	s_cbranch_vccnz .LBB1662_7
; %bb.6:
	s_add_u32 s4, s4, s8
	s_addc_u32 s5, s5, s9
	s_load_b32 s6, s[4:5], 0x0
.LBB1662_7:
	s_load_b128 s[52:55], s[0:1], 0x48
	v_and_b32_e32 v65, 15, v0
	s_mov_b32 s13, exec_lo
                                        ; implicit-def: $sgpr36
                                        ; implicit-def: $sgpr24
                                        ; implicit-def: $sgpr16
                                        ; implicit-def: $sgpr4
	s_delay_alu instid0(VALU_DEP_1)
	v_cmpx_eq_u32_e32 0, v65
	s_cbranch_execz .LBB1662_9
; %bb.8:
	s_load_b64 s[4:5], s[0:1], 0x0
	s_waitcnt lgkmcnt(0)
	s_mul_hi_i32 s7, s6, s52
	s_mul_i32 s6, s6, s52
	s_delay_alu instid0(SALU_CYCLE_1) | instskip(NEXT) | instid1(SALU_CYCLE_1)
	s_lshl_b64 s[6:7], s[6:7], 1
	s_add_u32 s6, s4, s6
	s_addc_u32 s7, s5, s7
	s_lshl_b32 s4, s15, 7
	s_delay_alu instid0(SALU_CYCLE_1) | instskip(NEXT) | instid1(SALU_CYCLE_1)
	s_ashr_i32 s5, s4, 31
	s_lshl_b64 s[4:5], s[4:5], 1
	s_delay_alu instid0(SALU_CYCLE_1)
	s_add_u32 s4, s6, s4
	s_addc_u32 s5, s7, s5
	s_clause 0x3
	s_load_b256 s[36:43], s[4:5], 0x0
	s_load_b256 s[24:31], s[4:5], 0x40
	;; [unrolled: 1-line block ×4, first 2 shown]
.LBB1662_9:
	s_or_b32 exec_lo, exec_lo, s13
	v_and_b32_e32 v1, 0xef, v0
	s_add_i32 s13, s33, 31
	s_load_b32 s44, s[0:1], 0x38
	s_ashr_i32 s35, s13, 31
	s_waitcnt lgkmcnt(0)
	s_mul_i32 s62, s15, s54
	v_add_nc_u32_e32 v1, s12, v1
	s_lshr_b32 s35, s35, 27
	v_lshlrev_b32_e32 v73, 4, v65
	s_add_i32 s13, s13, s35
	s_load_b32 s35, s[0:1], 0x1c
	v_ashrrev_i32_e32 v2, 31, v1
	v_or_b32_e32 v3, 16, v1
	s_ashr_i32 s13, s13, 5
	v_cmp_gt_i32_e32 vcc_lo, s33, v1
	s_add_i32 s13, s13, -1
	v_lshrrev_b32_e32 v2, 27, v2
	v_dual_mov_b32 v113, s31 :: v_dual_mov_b32 v108, s26
	v_dual_mov_b32 v111, s29 :: v_dual_mov_b32 v106, s24
	s_delay_alu instid0(VALU_DEP_3) | instskip(SKIP_3) | instid1(VALU_DEP_2)
	v_dual_mov_b32 v109, s27 :: v_dual_add_nc_u32 v4, v1, v2
	s_mul_i32 s44, s34, s44
	v_mov_b32_e32 v107, s25
	s_ashr_i32 s45, s44, 31
	v_ashrrev_i32_e32 v4, 5, v4
	v_add_nc_u32_e32 v2, v3, v2
	s_lshl_b64 s[44:45], s[44:45], 2
	v_dual_mov_b32 v121, s23 :: v_dual_mov_b32 v114, s16
	s_delay_alu instid0(VALU_DEP_3) | instskip(NEXT) | instid1(VALU_DEP_3)
	v_cndmask_b32_e32 v1, s13, v4, vcc_lo
	v_ashrrev_i32_e32 v2, 5, v2
	v_cmp_gt_i32_e32 vcc_lo, s33, v3
	s_add_u32 s61, s2, s44
	s_addc_u32 s60, s3, s45
	s_ashr_i32 s63, s62, 31
	s_add_u32 s44, s56, s62
	v_cndmask_b32_e32 v3, s13, v2, vcc_lo
	v_ashrrev_i32_e32 v2, 31, v1
	s_addc_u32 s45, s57, s63
	s_lshl_b32 s2, s14, 3
	v_dual_mov_b32 v116, s18 :: v_dual_lshlrev_b32 v33, 5, v65
	v_ashrrev_i32_e32 v4, 31, v3
	v_lshlrev_b64 v[1:2], 2, v[1:2]
	s_ashr_i32 s3, s2, 31
	v_mov_b32_e32 v120, s22
	s_lshl_b64 s[2:3], s[2:3], 2
	v_lshlrev_b64 v[3:4], 2, v[3:4]
	s_add_u32 s2, s61, s2
	v_add_co_u32 v1, vcc_lo, s61, v1
	v_add_co_ci_u32_e32 v2, vcc_lo, s60, v2, vcc_lo
	s_delay_alu instid0(VALU_DEP_3) | instskip(NEXT) | instid1(VALU_DEP_4)
	v_add_co_u32 v3, vcc_lo, s61, v3
	v_add_co_ci_u32_e32 v4, vcc_lo, s60, v4, vcc_lo
	s_clause 0x1
	global_load_b32 v5, v[1:2], off
	global_load_b32 v6, v[3:4], off
	s_addc_u32 s3, s60, s3
	s_or_b32 s46, s12, 32
	v_mov_b32_e32 v118, s20
	s_ashr_i32 s47, s46, 5
	s_cmp_lt_i32 s46, s33
	v_lshrrev_b32_e32 v66, 5, v0
	s_cselect_b32 s46, s47, s13
	v_mov_b32_e32 v112, s30
	s_ashr_i32 s47, s46, 31
	v_mov_b32_e32 v110, s28
	s_lshl_b64 s[46:47], s[46:47], 2
	v_lshl_or_b32 v33, v66, 9, v33
	s_add_u32 s46, s61, s46
	s_addc_u32 s47, s60, s47
	s_or_b32 s48, s12, 64
	s_delay_alu instid0(SALU_CYCLE_1) | instskip(SKIP_2) | instid1(SALU_CYCLE_1)
	s_ashr_i32 s49, s48, 5
	s_cmp_lt_i32 s48, s33
	s_cselect_b32 s48, s49, s13
	s_ashr_i32 s49, s48, 31
	s_delay_alu instid0(SALU_CYCLE_1) | instskip(NEXT) | instid1(SALU_CYCLE_1)
	s_lshl_b64 s[48:49], s[48:49], 2
	s_add_u32 s48, s61, s48
	s_addc_u32 s49, s60, s49
	s_or_b32 s50, s12, 0x60
	s_delay_alu instid0(SALU_CYCLE_1) | instskip(SKIP_2) | instid1(SALU_CYCLE_1)
	s_ashr_i32 s51, s50, 5
	s_cmp_lt_i32 s50, s33
	s_cselect_b32 s50, s51, s13
	s_ashr_i32 s51, s50, 31
	s_delay_alu instid0(SALU_CYCLE_1) | instskip(NEXT) | instid1(SALU_CYCLE_1)
	s_lshl_b64 s[50:51], s[50:51], 2
	;; [unrolled: 10-line block ×4, first 2 shown]
	s_add_u32 s66, s61, s54
	s_addc_u32 s67, s60, s55
	s_clause 0x5
	s_load_b32 s56, s[2:3], 0x0
	s_load_b32 s3, s[46:47], 0x0
	;; [unrolled: 1-line block ×6, first 2 shown]
	s_or_b32 s24, s12, 0xc0
	s_delay_alu instid0(SALU_CYCLE_1)
	s_ashr_i32 s25, s24, 5
	s_cmp_lt_i32 s24, s33
	s_waitcnt vmcnt(1)
	v_mad_i64_i32 v[1:2], null, v5, s53, s[44:45]
	s_waitcnt vmcnt(0)
	v_mad_i64_i32 v[3:4], null, v6, s53, s[44:45]
	s_mov_b32 s44, 0
	s_delay_alu instid0(SALU_CYCLE_1) | instskip(SKIP_1) | instid1(VALU_DEP_2)
	s_mov_b32 s45, s44
	s_mov_b32 s46, s44
	v_add_co_u32 v25, vcc_lo, v1, v73
	s_delay_alu instid0(VALU_DEP_3) | instskip(NEXT) | instid1(VALU_DEP_3)
	v_add_co_ci_u32_e32 v26, vcc_lo, 0, v2, vcc_lo
	v_add_co_u32 v27, vcc_lo, v3, v73
	s_delay_alu instid0(VALU_DEP_4)
	v_add_co_ci_u32_e32 v28, vcc_lo, 0, v4, vcc_lo
	s_clause 0xf
	global_load_b128 v[1:4], v[25:26], off
	global_load_b128 v[5:8], v[25:26], off offset:512
	global_load_b128 v[9:12], v[27:28], off offset:256
	;; [unrolled: 1-line block ×15, first 2 shown]
	v_mov_b32_e32 v25, s36
	v_mov_b32_e32 v29, s40
	;; [unrolled: 1-line block ×3, first 2 shown]
	s_mov_b32 s47, s44
	s_mov_b32 s48, s44
	;; [unrolled: 1-line block ×5, first 2 shown]
	v_mov_b32_e32 v119, s21
	v_mov_b32_e32 v117, s19
	;; [unrolled: 1-line block ×3, first 2 shown]
	s_cselect_b32 s16, s25, s13
	v_dual_mov_b32 v129, s51 :: v_dual_mov_b32 v122, s44
	s_ashr_i32 s17, s16, 31
	v_mov_b32_e32 v26, s37
	s_lshl_b64 s[16:17], s[16:17], 2
	v_dual_mov_b32 v27, s38 :: v_dual_mov_b32 v32, s43
	s_add_u32 s16, s61, s16
	s_addc_u32 s17, s60, s17
	s_or_b32 s18, s12, 0xe0
	v_mov_b32_e32 v28, s39
	s_ashr_i32 s19, s18, 5
	s_cmp_lt_i32 s18, s33
	v_mov_b32_e32 v30, s41
	s_cselect_b32 s18, s19, s13
	v_mov_b32_e32 v128, s50
	s_ashr_i32 s19, s18, 31
	v_mov_b32_e32 v127, s49
	s_lshl_b64 s[18:19], s[18:19], 2
	v_mov_b32_e32 v126, s48
	s_add_u32 s18, s61, s18
	s_addc_u32 s19, s60, s19
	s_add_u32 s13, s58, s62
	s_addc_u32 s20, s59, s63
	v_add_co_u32 v67, s13, s13, v33
	s_delay_alu instid0(VALU_DEP_1)
	v_add_co_ci_u32_e64 v68, null, s20, 0, s13
	s_clause 0x1
	s_load_b32 s13, s[16:17], 0x0
	s_load_b32 s16, s[18:19], 0x0
	v_dual_mov_b32 v125, s47 :: v_dual_mov_b32 v124, s46
	v_mov_b32_e32 v123, s45
	s_waitcnt lgkmcnt(0)
	v_mad_i64_i32 v[33:34], null, s56, s53, v[67:68]
	v_mad_i64_i32 v[69:70], null, s54, s53, v[67:68]
	;; [unrolled: 1-line block ×5, first 2 shown]
	s_clause 0x5
	global_load_b128 v[49:52], v[33:34], off
	global_load_b128 v[53:56], v[33:34], off offset:16
	global_load_b128 v[41:44], v[35:36], off
	global_load_b128 v[45:48], v[35:36], off offset:16
	;; [unrolled: 2-line block ×3, first 2 shown]
	s_waitcnt vmcnt(20)
	v_wmma_f32_16x16x16_bf16 v[130:137], v[1:8], v[25:32], v[122:129]
	s_waitcnt vmcnt(18)
	v_wmma_f32_16x16x16_bf16 v[122:129], v[9:16], v[25:32], v[122:129]
	v_mad_i64_i32 v[13:14], null, s2, s53, v[67:68]
	s_waitcnt vmcnt(16)
	v_wmma_f32_16x16x16_bf16 v[130:137], v[17:24], v[106:113], v[130:137]
	v_mad_i64_i32 v[21:22], null, s13, s53, v[67:68]
	s_clause 0x1
	global_load_b128 v[25:28], v[69:70], off
	global_load_b128 v[29:32], v[69:70], off offset:16
	v_mad_i64_i32 v[69:70], null, s16, s53, v[67:68]
	s_waitcnt vmcnt(16)
	v_wmma_f32_16x16x16_bf16 v[122:129], v[57:64], v[106:113], v[122:129]
	s_clause 0x7
	global_load_b128 v[1:4], v[71:72], off
	global_load_b128 v[5:8], v[71:72], off offset:16
	global_load_b128 v[9:12], v[13:14], off
	global_load_b128 v[13:16], v[13:14], off offset:16
	;; [unrolled: 2-line block ×4, first 2 shown]
	v_mbcnt_lo_u32_b32 v68, -1, 0
	v_and_b32_e32 v67, 0xe0, v0
	s_waitcnt vmcnt(22)
	v_wmma_f32_16x16x16_bf16 v[130:137], v[74:81], v[114:121], v[130:137]
	s_waitcnt vmcnt(20)
	v_wmma_f32_16x16x16_bf16 v[122:129], v[82:89], v[114:121], v[122:129]
	v_mov_b32_e32 v82, s11
	v_mov_b32_e32 v76, s5
	v_xor_b32_e32 v69, 16, v68
	v_bfe_u32 v74, v0, 4, 1
	v_dual_mov_b32 v81, s10 :: v_dual_mov_b32 v80, s9
	v_mov_b32_e32 v79, s8
	s_delay_alu instid0(VALU_DEP_4) | instskip(SKIP_3) | instid1(VALU_DEP_3)
	v_cmp_gt_i32_e32 vcc_lo, 32, v69
	v_dual_mov_b32 v78, s7 :: v_dual_add_nc_u32 v67, s12, v67
	v_mov_b32_e32 v77, s6
	v_dual_mov_b32 v75, s4 :: v_dual_cndmask_b32 v68, v68, v69
	v_or_b32_e32 v67, v67, v74
	s_waitcnt vmcnt(0)
	s_barrier
	s_delay_alu instid0(VALU_DEP_2)
	v_wmma_f32_16x16x16_bf16 v[130:137], v[90:97], v[75:82], v[130:137]
	buffer_gl0_inv
	v_or_b32_e32 v69, 2, v67
	v_or_b32_e32 v70, 4, v67
	;; [unrolled: 1-line block ×3, first 2 shown]
	v_mul_f32_e32 v92, s35, v131
	v_wmma_f32_16x16x16_bf16 v[122:129], v[98:105], v[75:82], v[122:129]
	v_mul_f32_e32 v93, s35, v130
	v_cmp_gt_i32_e32 vcc_lo, s33, v69
	v_cmp_gt_i32_e64 s2, s33, v67
	v_or_b32_e32 v72, 8, v67
	v_mul_f32_e32 v98, s35, v125
	v_or_b32_e32 v83, 10, v67
	v_dual_mul_f32 v81, s35, v133 :: v_dual_mul_f32 v82, s35, v132
	v_cndmask_b32_e64 v93, 0xff7fffff, v93, s2
	v_cndmask_b32_e32 v92, 0xff7fffff, v92, vcc_lo
	v_cmp_gt_i32_e64 s3, s33, v70
	v_cmp_gt_i32_e64 s4, s33, v71
	v_or_b32_e32 v84, 12, v67
	v_or_b32_e32 v85, 14, v67
	v_dual_mul_f32 v79, s35, v135 :: v_dual_mul_f32 v94, s35, v129
	v_mul_f32_e32 v80, s35, v134
	v_cndmask_b32_e64 v70, 0xff7fffff, v82, s3
	v_cndmask_b32_e64 v71, 0xff7fffff, v81, s4
	v_max3_f32 v81, v93, 0xff7fffff, v92
	v_cmp_gt_i32_e64 s5, s33, v72
	v_cmp_gt_i32_e64 s6, s33, v83
	v_or_b32_e32 v86, 16, v67
	v_or_b32_e32 v87, 18, v67
	v_dual_mul_f32 v77, s35, v137 :: v_dual_mul_f32 v96, s35, v127
	v_mul_f32_e32 v78, s35, v136
	v_cndmask_b32_e64 v72, 0xff7fffff, v80, s5
	v_cndmask_b32_e64 v79, 0xff7fffff, v79, s6
	v_max3_f32 v70, v81, v70, v71
	v_cmp_gt_i32_e64 s7, s33, v84
	v_cmp_gt_i32_e64 s8, s33, v85
	v_or_b32_e32 v88, 20, v67
	v_or_b32_e32 v89, 22, v67
	v_or_b32_e32 v90, 24, v67
	v_or_b32_e32 v91, 26, v67
	v_or_b32_e32 v75, 28, v67
	v_or_b32_e32 v76, 30, v67
	v_mul_f32_e32 v69, s35, v123
	v_mul_f32_e32 v67, s35, v122
	v_cndmask_b32_e64 v71, 0xff7fffff, v78, s7
	v_cndmask_b32_e64 v77, 0xff7fffff, v77, s8
	v_max3_f32 v70, v70, v72, v79
	v_cmp_gt_i32_e64 s9, s33, v86
	v_cmp_gt_i32_e64 s10, s33, v87
	v_mul_f32_e32 v99, s35, v124
	v_cmp_gt_i32_e64 s11, s33, v88
	v_max3_f32 v70, v70, v71, v77
	v_cndmask_b32_e64 v67, 0xff7fffff, v67, s9
	v_cndmask_b32_e64 v69, 0xff7fffff, v69, s10
	v_cmp_gt_i32_e64 s12, s33, v89
	v_mul_f32_e32 v97, s35, v126
	v_cndmask_b32_e64 v71, 0xff7fffff, v99, s11
	v_cmp_gt_i32_e64 s13, s33, v90
	v_max3_f32 v67, v70, v67, v69
	v_cndmask_b32_e64 v72, 0xff7fffff, v98, s12
	v_cmp_gt_i32_e64 s16, s33, v91
	v_mul_f32_e32 v95, s35, v128
	v_cndmask_b32_e64 v69, 0xff7fffff, v97, s13
	v_cmp_gt_i32_e64 s17, s33, v75
	v_max3_f32 v67, v67, v71, v72
	v_cndmask_b32_e64 v70, 0xff7fffff, v96, s16
	v_cmp_gt_i32_e64 s18, s33, v76
	v_lshlrev_b32_e32 v81, 2, v68
	v_cndmask_b32_e64 v71, 0xff7fffff, v95, s17
	s_delay_alu instid0(VALU_DEP_4) | instskip(NEXT) | instid1(VALU_DEP_4)
	v_max3_f32 v67, v67, v69, v70
	v_cndmask_b32_e64 v72, 0xff7fffff, v94, s18
	s_delay_alu instid0(VALU_DEP_1) | instskip(SKIP_3) | instid1(VALU_DEP_1)
	v_max3_f32 v67, v67, v71, v72
	ds_bpermute_b32 v68, v81, v67
	s_waitcnt lgkmcnt(0)
	v_max_f32_e32 v68, v68, v68
	v_max_f32_e32 v67, v67, v68
	s_delay_alu instid0(VALU_DEP_1) | instskip(SKIP_4) | instid1(VALU_DEP_4)
	v_fma_f32 v68, s35, v130, -v67
	v_fma_f32 v69, s35, v131, -v67
	;; [unrolled: 1-line block ×5, first 2 shown]
	v_dual_mul_f32 v68, 0x3fb8aa3b, v68 :: v_dual_mul_f32 v69, 0x3fb8aa3b, v69
	s_delay_alu instid0(VALU_DEP_3) | instskip(NEXT) | instid1(VALU_DEP_3)
	v_dual_mul_f32 v70, 0x3fb8aa3b, v70 :: v_dual_mul_f32 v71, 0x3fb8aa3b, v71
	v_mul_f32_e32 v72, 0x3fb8aa3b, v72
	s_delay_alu instid0(VALU_DEP_3) | instskip(NEXT) | instid1(VALU_DEP_3)
	v_exp_f32_e32 v68, v68
	v_exp_f32_e32 v69, v69
	s_delay_alu instid0(VALU_DEP_2)
	v_exp_f32_e32 v70, v70
	v_exp_f32_e32 v71, v71
	;; [unrolled: 1-line block ×3, first 2 shown]
	v_cndmask_b32_e64 v79, 0, v68, s2
	v_fma_f32 v68, s35, v135, -v67
	v_cndmask_b32_e32 v75, 0, v69, vcc_lo
	s_delay_alu instid0(TRANS32_DEP_3)
	v_cndmask_b32_e64 v82, 0, v70, s3
	s_waitcnt_depctr 0xfff
	v_cndmask_b32_e64 v84, 0, v71, s4
	v_dual_add_f32 v69, 0, v79 :: v_dual_mul_f32 v68, 0x3fb8aa3b, v68
	v_cndmask_b32_e64 v85, 0, v72, s5
	s_mov_b32 s3, exec_lo
	s_delay_alu instid0(VALU_DEP_2) | instskip(NEXT) | instid1(VALU_DEP_3)
	v_add_f32_e32 v69, v69, v75
	v_exp_f32_e32 v68, v68
	s_delay_alu instid0(VALU_DEP_1) | instskip(NEXT) | instid1(VALU_DEP_1)
	v_add_f32_e32 v69, v69, v82
	v_add_f32_e32 v69, v69, v84
	s_waitcnt_depctr 0xfff
	v_cndmask_b32_e64 v86, 0, v68, s6
	v_add_f32_e32 v68, v69, v85
	s_delay_alu instid0(VALU_DEP_1)
	v_add_f32_e32 v68, v68, v86
	v_fma_f32 v72, s35, v123, -v67
	v_fma_f32 v76, s35, v136, -v67
	;; [unrolled: 1-line block ×5, first 2 shown]
	v_mul_f32_e32 v72, 0x3fb8aa3b, v72
	v_mul_f32_e32 v76, 0x3fb8aa3b, v76
	s_delay_alu instid0(VALU_DEP_4) | instskip(SKIP_1) | instid1(VALU_DEP_4)
	v_dual_mul_f32 v70, 0x3fb8aa3b, v70 :: v_dual_mul_f32 v69, 0x3fb8aa3b, v69
	v_fma_f32 v77, s35, v126, -v67
	v_exp_f32_e32 v72, v72
	s_delay_alu instid0(VALU_DEP_3) | instskip(NEXT) | instid1(VALU_DEP_2)
	v_exp_f32_e32 v76, v76
	v_exp_f32_e32 v70, v70
	;; [unrolled: 1-line block ×3, first 2 shown]
	v_fma_f32 v88, s35, v129, -v67
	s_delay_alu instid0(VALU_DEP_1) | instskip(SKIP_2) | instid1(TRANS32_DEP_3)
	v_mul_f32_e32 v88, 0x3fb8aa3b, v88
	v_cndmask_b32_e64 v69, 0, v72, s10
	v_mul_f32_e32 v71, 0x3fb8aa3b, v71
	v_cndmask_b32_e64 v83, 0, v76, s7
	s_delay_alu instid0(TRANS32_DEP_2) | instskip(SKIP_4) | instid1(VALU_DEP_3)
	v_cndmask_b32_e64 v87, 0, v70, s8
	v_fma_f32 v76, s35, v125, -v67
	v_fma_f32 v72, s35, v128, -v67
	v_exp_f32_e32 v71, v71
	v_add_f32_e32 v68, v68, v83
	v_mul_f32_e32 v76, 0x3fb8aa3b, v76
	s_delay_alu instid0(VALU_DEP_2) | instskip(NEXT) | instid1(VALU_DEP_2)
	v_add_f32_e32 v68, v68, v87
	v_exp_f32_e32 v76, v76
	s_waitcnt_depctr 0xfff
	v_cndmask_b32_e64 v70, 0, v71, s9
	v_fma_f32 v71, s35, v127, -v67
	s_delay_alu instid0(VALU_DEP_2) | instskip(NEXT) | instid1(VALU_DEP_2)
	v_add_f32_e32 v68, v68, v70
	v_mul_f32_e32 v80, 0x3fb8aa3b, v71
	v_cndmask_b32_e64 v71, 0, v78, s11
	v_mul_f32_e32 v78, 0x3fb8aa3b, v72
	v_cndmask_b32_e64 v72, 0, v76, s12
	v_add_f32_e32 v68, v68, v69
	v_mul_f32_e32 v77, 0x3fb8aa3b, v77
	v_exp_f32_e32 v80, v80
	v_exp_f32_e32 v78, v78
	s_delay_alu instid0(VALU_DEP_2) | instskip(NEXT) | instid1(VALU_DEP_2)
	v_add_f32_e32 v68, v68, v71
	v_exp_f32_e32 v77, v77
	s_delay_alu instid0(VALU_DEP_1)
	v_add_f32_e32 v68, v68, v72
	s_waitcnt_depctr 0xfff
	v_cndmask_b32_e64 v78, 0, v78, s17
	v_cndmask_b32_e64 v76, 0, v77, s13
	v_cndmask_b32_e64 v77, 0, v80, s16
	v_exp_f32_e32 v80, v88
	v_and_b32_e32 v88, 31, v0
	s_delay_alu instid0(VALU_DEP_3) | instskip(NEXT) | instid1(VALU_DEP_2)
	v_add_f32_e32 v68, v68, v76
	v_cmp_lt_u32_e64 s2, 15, v88
	s_delay_alu instid0(VALU_DEP_2) | instskip(SKIP_3) | instid1(VALU_DEP_1)
	v_add_f32_e32 v68, v68, v77
	s_waitcnt_depctr 0xfff
	v_cndmask_b32_e64 v80, 0, v80, s18
	v_add_f32_e32 v68, v68, v78
	v_add_f32_e32 v68, v68, v80
	ds_bpermute_b32 v81, v81, v68
	v_cmpx_gt_u32_e32 16, v88
	s_cbranch_execz .LBB1662_11
; %bb.10:
	v_mul_u32_u24_e32 v88, 0x44, v66
	s_delay_alu instid0(VALU_DEP_1) | instskip(SKIP_1) | instid1(VALU_DEP_1)
	v_lshl_add_u32 v88, v65, 2, v88
	s_waitcnt lgkmcnt(0)
	v_dual_add_f32 v68, v68, v81 :: v_dual_add_nc_u32 v81, 0x4000, v88
	ds_store_2addr_b32 v81, v67, v68 offset1:136
.LBB1662_11:
	s_or_b32 exec_lo, exec_lo, s3
	v_lshlrev_b32_e32 v67, 2, v65
	s_waitcnt lgkmcnt(0)
	s_barrier
	buffer_gl0_inv
	v_cmp_eq_u32_e32 vcc_lo, 1, v66
	v_add_nc_u32_e32 v81, 0x4000, v67
	v_cmp_eq_u32_e64 s3, 2, v66
	v_cmp_eq_u32_e64 s5, 7, v66
	ds_load_2addr_b32 v[88:89], v81 offset1:17
	ds_load_2addr_b32 v[90:91], v81 offset0:34 offset1:51
	ds_load_2addr_b32 v[92:93], v81 offset0:68 offset1:85
	;; [unrolled: 1-line block ×4, first 2 shown]
	s_waitcnt lgkmcnt(4)
	v_max3_f32 v67, v88, 0xff7fffff, v89
	s_waitcnt lgkmcnt(3)
	s_delay_alu instid0(VALU_DEP_1) | instskip(SKIP_1) | instid1(VALU_DEP_1)
	v_max3_f32 v67, v67, v90, v91
	s_waitcnt lgkmcnt(2)
	v_max3_f32 v67, v67, v92, v93
	s_waitcnt lgkmcnt(1)
	s_delay_alu instid0(VALU_DEP_1) | instskip(NEXT) | instid1(VALU_DEP_1)
	v_max3_f32 v67, v67, v94, v95
	v_sub_f32_e32 v68, v88, v67
	v_sub_f32_e32 v90, v90, v67
	;; [unrolled: 1-line block ×3, first 2 shown]
	s_delay_alu instid0(VALU_DEP_3) | instskip(NEXT) | instid1(VALU_DEP_3)
	v_mul_f32_e32 v68, 0x3fb8aa3b, v68
	v_mul_f32_e32 v100, 0x3fb8aa3b, v90
	s_delay_alu instid0(VALU_DEP_3) | instskip(NEXT) | instid1(VALU_DEP_3)
	v_mul_f32_e32 v102, 0x3fb8aa3b, v92
	v_exp_f32_e32 v99, v68
	v_sub_f32_e32 v68, v91, v67
	v_sub_f32_e32 v98, v89, v67
	v_exp_f32_e32 v100, v100
	s_delay_alu instid0(VALU_DEP_1)
	v_dual_mul_f32 v101, 0x3fb8aa3b, v68 :: v_dual_mul_f32 v98, 0x3fb8aa3b, v98
	s_waitcnt lgkmcnt(0)
	s_waitcnt_depctr 0xfff
	v_fma_f32 v68, v99, v96, 0
	v_sub_f32_e32 v96, v93, v67
	v_exp_f32_e32 v98, v98
	v_exp_f32_e32 v101, v101
	s_waitcnt_depctr 0xfff
	v_fmac_f32_e32 v68, v98, v97
	ds_load_2addr_b32 v[88:89], v81 offset0:170 offset1:187
	ds_load_2addr_b32 v[90:91], v81 offset0:204 offset1:221
	ds_load_2addr_b32 v[92:93], v81 offset0:238 offset1:255
	v_dual_sub_f32 v81, v94, v67 :: v_dual_mul_f32 v94, 0x3fb8aa3b, v96
	v_exp_f32_e32 v96, v102
	s_waitcnt lgkmcnt(0)
	s_barrier
	s_delay_alu instid0(VALU_DEP_1)
	v_mul_f32_e32 v81, 0x3fb8aa3b, v81
	v_exp_f32_e32 v94, v94
	buffer_gl0_inv
	v_exp_f32_e32 v81, v81
	v_fmac_f32_e32 v68, v100, v88
	v_sub_f32_e32 v88, v95, v67
	s_delay_alu instid0(VALU_DEP_2) | instskip(NEXT) | instid1(VALU_DEP_2)
	v_fmac_f32_e32 v68, v101, v89
	v_mul_f32_e32 v88, 0x3fb8aa3b, v88
	s_delay_alu instid0(VALU_DEP_2) | instskip(NEXT) | instid1(VALU_DEP_2)
	v_fmac_f32_e32 v68, v96, v90
	v_exp_f32_e32 v88, v88
	s_delay_alu instid0(VALU_DEP_1)
	v_fmac_f32_e32 v68, v94, v91
	s_delay_alu instid0(TRANS32_DEP_2) | instid1(VALU_DEP_1)
	v_fmac_f32_e32 v68, v81, v92
	s_waitcnt_depctr 0xfff
	v_fmac_f32_e32 v68, v88, v93
	s_delay_alu instid0(VALU_DEP_1) | instskip(NEXT) | instid1(VALU_DEP_1)
	v_add_f32_e32 v89, 0x358637bd, v68
	v_div_scale_f32 v90, null, v89, v89, 1.0
	v_div_scale_f32 v93, s4, 1.0, v89, 1.0
	s_delay_alu instid0(VALU_DEP_2) | instskip(SKIP_2) | instid1(VALU_DEP_1)
	v_rcp_f32_e32 v91, v90
	s_waitcnt_depctr 0xfff
	v_fma_f32 v92, -v90, v91, 1.0
	v_dual_fmac_f32 v91, v92, v91 :: v_dual_cndmask_b32 v92, v99, v98
	v_cmp_eq_u32_e32 vcc_lo, 3, v66
	s_delay_alu instid0(VALU_DEP_2) | instskip(NEXT) | instid1(VALU_DEP_3)
	v_mul_f32_e32 v95, v93, v91
	v_cndmask_b32_e64 v92, v92, v100, s3
	v_cmp_eq_u32_e64 s3, 4, v66
	s_delay_alu instid0(VALU_DEP_3) | instskip(NEXT) | instid1(VALU_DEP_3)
	v_fma_f32 v97, -v90, v95, v93
	v_cndmask_b32_e32 v92, v92, v101, vcc_lo
	v_cmp_eq_u32_e32 vcc_lo, 5, v66
	s_delay_alu instid0(VALU_DEP_3) | instskip(NEXT) | instid1(VALU_DEP_3)
	v_fmac_f32_e32 v95, v97, v91
	v_cndmask_b32_e64 v92, v92, v96, s3
	v_cmp_eq_u32_e64 s3, 6, v66
	s_delay_alu instid0(VALU_DEP_3) | instskip(NEXT) | instid1(VALU_DEP_3)
	v_fma_f32 v90, -v90, v95, v93
	v_cndmask_b32_e32 v92, v92, v94, vcc_lo
	s_mov_b32 vcc_lo, s4
	s_delay_alu instid0(VALU_DEP_2) | instskip(NEXT) | instid1(VALU_DEP_2)
	v_div_fmas_f32 v90, v90, v91, v95
	v_cndmask_b32_e64 v81, v92, v81, s3
	s_mov_b32 s3, exec_lo
	s_delay_alu instid0(VALU_DEP_2) | instskip(NEXT) | instid1(VALU_DEP_2)
	v_div_fixup_f32 v89, v90, v89, 1.0
	v_cndmask_b32_e64 v81, v81, v88, s5
	s_delay_alu instid0(VALU_DEP_1) | instskip(NEXT) | instid1(VALU_DEP_1)
	v_mul_f32_e32 v81, v81, v89
	v_mul_f32_e32 v83, v81, v83
	;; [unrolled: 1-line block ×7, first 2 shown]
	v_dual_mul_f32 v85, v81, v82 :: v_dual_and_b32 v90, 0x7f800000, v89
	v_mul_f32_e32 v84, v81, v75
                                        ; implicit-def: $vgpr75
	s_delay_alu instid0(VALU_DEP_2)
	v_cmpx_ne_u32_e32 0x7f800000, v90
	s_xor_b32 s3, exec_lo, s3
; %bb.12:
	v_bfe_u32 v75, v89, 16, 1
	s_delay_alu instid0(VALU_DEP_1)
	v_add3_u32 v75, v89, v75, 0x7fff
                                        ; implicit-def: $vgpr89
; %bb.13:
	s_and_not1_saveexec_b32 s3, s3
; %bb.14:
	v_and_b32_e32 v75, 0xffff, v89
	v_or_b32_e32 v82, 0x10000, v89
	s_delay_alu instid0(VALU_DEP_2) | instskip(NEXT) | instid1(VALU_DEP_2)
	v_cmp_eq_u32_e32 vcc_lo, 0, v75
	v_cndmask_b32_e32 v75, v82, v89, vcc_lo
; %bb.15:
	s_or_b32 exec_lo, exec_lo, s3
	v_and_b32_e32 v82, 0x7f800000, v84
	s_delay_alu instid0(VALU_DEP_1) | instskip(SKIP_1) | instid1(SALU_CYCLE_1)
	v_cmp_ne_u32_e32 vcc_lo, 0x7f800000, v82
                                        ; implicit-def: $vgpr82
	s_and_saveexec_b32 s3, vcc_lo
	s_xor_b32 s3, exec_lo, s3
; %bb.16:
	v_bfe_u32 v82, v84, 16, 1
	s_delay_alu instid0(VALU_DEP_1)
	v_add3_u32 v82, v84, v82, 0x7fff
                                        ; implicit-def: $vgpr84
; %bb.17:
	s_and_not1_saveexec_b32 s3, s3
; %bb.18:
	v_and_b32_e32 v82, 0xffff, v84
	v_or_b32_e32 v89, 0x10000, v84
	s_delay_alu instid0(VALU_DEP_2) | instskip(NEXT) | instid1(VALU_DEP_2)
	v_cmp_eq_u32_e32 vcc_lo, 0, v82
	v_cndmask_b32_e32 v82, v89, v84, vcc_lo
; %bb.19:
	s_or_b32 exec_lo, exec_lo, s3
	v_and_b32_e32 v84, 0x7f800000, v85
	s_delay_alu instid0(VALU_DEP_1) | instskip(SKIP_1) | instid1(SALU_CYCLE_1)
	v_cmp_ne_u32_e32 vcc_lo, 0x7f800000, v84
                                        ; implicit-def: $vgpr84
	s_and_saveexec_b32 s3, vcc_lo
	s_xor_b32 s3, exec_lo, s3
; %bb.20:
	v_bfe_u32 v84, v85, 16, 1
	s_delay_alu instid0(VALU_DEP_1)
	v_add3_u32 v84, v85, v84, 0x7fff
                                        ; implicit-def: $vgpr85
; %bb.21:
	s_and_not1_saveexec_b32 s3, s3
; %bb.22:
	v_and_b32_e32 v84, 0xffff, v85
	v_or_b32_e32 v89, 0x10000, v85
	s_delay_alu instid0(VALU_DEP_2) | instskip(NEXT) | instid1(VALU_DEP_2)
	v_cmp_eq_u32_e32 vcc_lo, 0, v84
	v_cndmask_b32_e32 v84, v89, v85, vcc_lo
; %bb.23:
	s_or_b32 exec_lo, exec_lo, s3
	v_and_b32_e32 v85, 0x7f800000, v88
	s_delay_alu instid0(VALU_DEP_1) | instskip(SKIP_1) | instid1(SALU_CYCLE_1)
	v_cmp_ne_u32_e32 vcc_lo, 0x7f800000, v85
                                        ; implicit-def: $vgpr85
	s_and_saveexec_b32 s3, vcc_lo
	s_xor_b32 s3, exec_lo, s3
; %bb.24:
	v_bfe_u32 v85, v88, 16, 1
	s_delay_alu instid0(VALU_DEP_1)
	v_add3_u32 v85, v88, v85, 0x7fff
                                        ; implicit-def: $vgpr88
; %bb.25:
	s_and_not1_saveexec_b32 s3, s3
; %bb.26:
	v_and_b32_e32 v85, 0xffff, v88
	v_or_b32_e32 v89, 0x10000, v88
	s_delay_alu instid0(VALU_DEP_2) | instskip(NEXT) | instid1(VALU_DEP_2)
	v_cmp_eq_u32_e32 vcc_lo, 0, v85
	v_cndmask_b32_e32 v85, v89, v88, vcc_lo
; %bb.27:
	s_or_b32 exec_lo, exec_lo, s3
	v_and_b32_e32 v88, 0x7f800000, v87
	s_delay_alu instid0(VALU_DEP_1) | instskip(SKIP_1) | instid1(SALU_CYCLE_1)
	v_cmp_ne_u32_e32 vcc_lo, 0x7f800000, v88
                                        ; implicit-def: $vgpr88
	s_and_saveexec_b32 s3, vcc_lo
	s_xor_b32 s3, exec_lo, s3
; %bb.28:
	v_bfe_u32 v88, v87, 16, 1
	s_delay_alu instid0(VALU_DEP_1)
	v_add3_u32 v88, v87, v88, 0x7fff
                                        ; implicit-def: $vgpr87
; %bb.29:
	s_and_not1_saveexec_b32 s3, s3
; %bb.30:
	v_and_b32_e32 v88, 0xffff, v87
	v_or_b32_e32 v89, 0x10000, v87
	s_delay_alu instid0(VALU_DEP_2) | instskip(NEXT) | instid1(VALU_DEP_2)
	v_cmp_eq_u32_e32 vcc_lo, 0, v88
	v_cndmask_b32_e32 v88, v89, v87, vcc_lo
; %bb.31:
	s_or_b32 exec_lo, exec_lo, s3
	v_and_b32_e32 v87, 0x7f800000, v86
	s_delay_alu instid0(VALU_DEP_1) | instskip(SKIP_1) | instid1(SALU_CYCLE_1)
	v_cmp_ne_u32_e32 vcc_lo, 0x7f800000, v87
                                        ; implicit-def: $vgpr87
	s_and_saveexec_b32 s3, vcc_lo
	s_xor_b32 s3, exec_lo, s3
; %bb.32:
	v_bfe_u32 v87, v86, 16, 1
	s_delay_alu instid0(VALU_DEP_1)
	v_add3_u32 v87, v86, v87, 0x7fff
                                        ; implicit-def: $vgpr86
; %bb.33:
	s_and_not1_saveexec_b32 s3, s3
; %bb.34:
	v_and_b32_e32 v87, 0xffff, v86
	v_or_b32_e32 v89, 0x10000, v86
	s_delay_alu instid0(VALU_DEP_2) | instskip(NEXT) | instid1(VALU_DEP_2)
	v_cmp_eq_u32_e32 vcc_lo, 0, v87
	v_cndmask_b32_e32 v87, v89, v86, vcc_lo
; %bb.35:
	s_or_b32 exec_lo, exec_lo, s3
	v_and_b32_e32 v86, 0x7f800000, v83
	s_delay_alu instid0(VALU_DEP_1) | instskip(SKIP_1) | instid1(SALU_CYCLE_1)
	v_cmp_ne_u32_e32 vcc_lo, 0x7f800000, v86
                                        ; implicit-def: $vgpr86
	s_and_saveexec_b32 s3, vcc_lo
	s_xor_b32 s3, exec_lo, s3
; %bb.36:
	v_bfe_u32 v86, v83, 16, 1
	s_delay_alu instid0(VALU_DEP_1)
	v_add3_u32 v86, v83, v86, 0x7fff
                                        ; implicit-def: $vgpr83
; %bb.37:
	s_and_not1_saveexec_b32 s3, s3
; %bb.38:
	v_and_b32_e32 v86, 0xffff, v83
	v_or_b32_e32 v89, 0x10000, v83
	s_delay_alu instid0(VALU_DEP_2) | instskip(NEXT) | instid1(VALU_DEP_2)
	v_cmp_eq_u32_e32 vcc_lo, 0, v86
	v_cndmask_b32_e32 v86, v89, v83, vcc_lo
; %bb.39:
	s_or_b32 exec_lo, exec_lo, s3
	v_and_b32_e32 v83, 0x7f800000, v79
	s_delay_alu instid0(VALU_DEP_1) | instskip(SKIP_1) | instid1(SALU_CYCLE_1)
	v_cmp_ne_u32_e32 vcc_lo, 0x7f800000, v83
                                        ; implicit-def: $vgpr83
	s_and_saveexec_b32 s3, vcc_lo
	s_xor_b32 s3, exec_lo, s3
; %bb.40:
	v_bfe_u32 v83, v79, 16, 1
	s_delay_alu instid0(VALU_DEP_1)
	v_add3_u32 v83, v79, v83, 0x7fff
                                        ; implicit-def: $vgpr79
; %bb.41:
	s_and_not1_saveexec_b32 s3, s3
; %bb.42:
	v_and_b32_e32 v83, 0xffff, v79
	v_or_b32_e32 v89, 0x10000, v79
	s_delay_alu instid0(VALU_DEP_2) | instskip(NEXT) | instid1(VALU_DEP_2)
	v_cmp_eq_u32_e32 vcc_lo, 0, v83
	v_cndmask_b32_e32 v83, v89, v79, vcc_lo
; %bb.43:
	s_or_b32 exec_lo, exec_lo, s3
	s_load_b64 s[36:37], s[0:1], 0x94
	v_lshlrev_b32_e32 v90, 4, v74
	s_delay_alu instid0(VALU_DEP_2)
	v_perm_b32 v89, v83, v86, 0x7060302
	v_lshlrev_b32_e32 v79, 6, v65
	v_dual_mul_f32 v76, v81, v76 :: v_dual_lshlrev_b32 v65, 11, v66
	v_perm_b32 v86, v82, v75, 0x7060302
	v_mul_f32_e32 v82, v81, v70
	v_perm_b32 v88, v87, v88, 0x7060302
	v_perm_b32 v87, v85, v84, 0x7060302
	v_or3_b32 v75, v90, v65, v79
	v_mul_f32_e32 v65, v81, v80
	v_mul_f32_e32 v70, v81, v78
	;; [unrolled: 1-line block ×3, first 2 shown]
	v_dual_mul_f32 v80, v81, v72 :: v_dual_and_b32 v83, 0x7f800000, v82
	v_mul_f32_e32 v78, v81, v71
	v_mul_f32_e32 v72, v81, v69
	s_mov_b32 s3, exec_lo
	ds_store_b128 v75, v[86:89]
                                        ; implicit-def: $vgpr69
	v_cmpx_ne_u32_e32 0x7f800000, v83
	s_xor_b32 s3, exec_lo, s3
; %bb.44:
	v_bfe_u32 v69, v82, 16, 1
	s_delay_alu instid0(VALU_DEP_1)
	v_add3_u32 v69, v82, v69, 0x7fff
                                        ; implicit-def: $vgpr82
; %bb.45:
	s_and_not1_saveexec_b32 s3, s3
; %bb.46:
	v_and_b32_e32 v69, 0xffff, v82
	v_or_b32_e32 v71, 0x10000, v82
	s_delay_alu instid0(VALU_DEP_2) | instskip(NEXT) | instid1(VALU_DEP_2)
	v_cmp_eq_u32_e32 vcc_lo, 0, v69
	v_cndmask_b32_e32 v69, v71, v82, vcc_lo
; %bb.47:
	s_or_b32 exec_lo, exec_lo, s3
	v_and_b32_e32 v71, 0x7f800000, v72
	s_delay_alu instid0(VALU_DEP_1) | instskip(SKIP_1) | instid1(SALU_CYCLE_1)
	v_cmp_ne_u32_e32 vcc_lo, 0x7f800000, v71
                                        ; implicit-def: $vgpr71
	s_and_saveexec_b32 s3, vcc_lo
	s_xor_b32 s3, exec_lo, s3
; %bb.48:
	v_bfe_u32 v71, v72, 16, 1
	s_delay_alu instid0(VALU_DEP_1)
	v_add3_u32 v71, v72, v71, 0x7fff
                                        ; implicit-def: $vgpr72
; %bb.49:
	s_and_not1_saveexec_b32 s3, s3
; %bb.50:
	v_and_b32_e32 v71, 0xffff, v72
	v_or_b32_e32 v81, 0x10000, v72
	s_delay_alu instid0(VALU_DEP_2) | instskip(NEXT) | instid1(VALU_DEP_2)
	v_cmp_eq_u32_e32 vcc_lo, 0, v71
	v_cndmask_b32_e32 v71, v81, v72, vcc_lo
; %bb.51:
	s_or_b32 exec_lo, exec_lo, s3
	v_and_b32_e32 v72, 0x7f800000, v78
	s_delay_alu instid0(VALU_DEP_1) | instskip(SKIP_1) | instid1(SALU_CYCLE_1)
	v_cmp_ne_u32_e32 vcc_lo, 0x7f800000, v72
                                        ; implicit-def: $vgpr72
	s_and_saveexec_b32 s3, vcc_lo
	s_xor_b32 s3, exec_lo, s3
; %bb.52:
	v_bfe_u32 v72, v78, 16, 1
	s_delay_alu instid0(VALU_DEP_1)
	v_add3_u32 v72, v78, v72, 0x7fff
                                        ; implicit-def: $vgpr78
; %bb.53:
	s_and_not1_saveexec_b32 s3, s3
; %bb.54:
	v_and_b32_e32 v72, 0xffff, v78
	v_or_b32_e32 v81, 0x10000, v78
	s_delay_alu instid0(VALU_DEP_2) | instskip(NEXT) | instid1(VALU_DEP_2)
	v_cmp_eq_u32_e32 vcc_lo, 0, v72
	v_cndmask_b32_e32 v72, v81, v78, vcc_lo
; %bb.55:
	s_or_b32 exec_lo, exec_lo, s3
	v_and_b32_e32 v78, 0x7f800000, v80
	s_delay_alu instid0(VALU_DEP_1) | instskip(SKIP_1) | instid1(SALU_CYCLE_1)
	v_cmp_ne_u32_e32 vcc_lo, 0x7f800000, v78
                                        ; implicit-def: $vgpr78
	s_and_saveexec_b32 s3, vcc_lo
	s_xor_b32 s3, exec_lo, s3
; %bb.56:
	v_bfe_u32 v78, v80, 16, 1
	s_delay_alu instid0(VALU_DEP_1)
	v_add3_u32 v78, v80, v78, 0x7fff
                                        ; implicit-def: $vgpr80
; %bb.57:
	s_and_not1_saveexec_b32 s3, s3
; %bb.58:
	v_and_b32_e32 v78, 0xffff, v80
	v_or_b32_e32 v81, 0x10000, v80
	s_delay_alu instid0(VALU_DEP_2) | instskip(NEXT) | instid1(VALU_DEP_2)
	v_cmp_eq_u32_e32 vcc_lo, 0, v78
	v_cndmask_b32_e32 v78, v81, v80, vcc_lo
; %bb.59:
	s_or_b32 exec_lo, exec_lo, s3
	v_and_b32_e32 v80, 0x7f800000, v76
	s_delay_alu instid0(VALU_DEP_1) | instskip(SKIP_1) | instid1(SALU_CYCLE_1)
	v_cmp_ne_u32_e32 vcc_lo, 0x7f800000, v80
                                        ; implicit-def: $vgpr80
	s_and_saveexec_b32 s3, vcc_lo
	s_xor_b32 s3, exec_lo, s3
; %bb.60:
	v_bfe_u32 v80, v76, 16, 1
	s_delay_alu instid0(VALU_DEP_1)
	v_add3_u32 v80, v76, v80, 0x7fff
                                        ; implicit-def: $vgpr76
; %bb.61:
	s_and_not1_saveexec_b32 s3, s3
; %bb.62:
	v_and_b32_e32 v80, 0xffff, v76
	v_or_b32_e32 v81, 0x10000, v76
	s_delay_alu instid0(VALU_DEP_2) | instskip(NEXT) | instid1(VALU_DEP_2)
	v_cmp_eq_u32_e32 vcc_lo, 0, v80
	v_cndmask_b32_e32 v80, v81, v76, vcc_lo
; %bb.63:
	s_or_b32 exec_lo, exec_lo, s3
	v_and_b32_e32 v76, 0x7f800000, v77
	s_delay_alu instid0(VALU_DEP_1) | instskip(SKIP_1) | instid1(SALU_CYCLE_1)
	v_cmp_ne_u32_e32 vcc_lo, 0x7f800000, v76
                                        ; implicit-def: $vgpr76
	s_and_saveexec_b32 s3, vcc_lo
	s_xor_b32 s3, exec_lo, s3
; %bb.64:
	v_bfe_u32 v76, v77, 16, 1
	s_delay_alu instid0(VALU_DEP_1)
	v_add3_u32 v76, v77, v76, 0x7fff
                                        ; implicit-def: $vgpr77
; %bb.65:
	s_and_not1_saveexec_b32 s3, s3
; %bb.66:
	v_and_b32_e32 v76, 0xffff, v77
	v_or_b32_e32 v81, 0x10000, v77
	s_delay_alu instid0(VALU_DEP_2) | instskip(NEXT) | instid1(VALU_DEP_2)
	v_cmp_eq_u32_e32 vcc_lo, 0, v76
	v_cndmask_b32_e32 v76, v81, v77, vcc_lo
; %bb.67:
	s_or_b32 exec_lo, exec_lo, s3
	v_and_b32_e32 v77, 0x7f800000, v70
	s_delay_alu instid0(VALU_DEP_1) | instskip(SKIP_1) | instid1(SALU_CYCLE_1)
	v_cmp_ne_u32_e32 vcc_lo, 0x7f800000, v77
                                        ; implicit-def: $vgpr77
	s_and_saveexec_b32 s3, vcc_lo
	s_xor_b32 s3, exec_lo, s3
; %bb.68:
	v_bfe_u32 v77, v70, 16, 1
	s_delay_alu instid0(VALU_DEP_1)
	v_add3_u32 v77, v70, v77, 0x7fff
                                        ; implicit-def: $vgpr70
; %bb.69:
	s_and_not1_saveexec_b32 s3, s3
; %bb.70:
	v_and_b32_e32 v77, 0xffff, v70
	v_or_b32_e32 v81, 0x10000, v70
	s_delay_alu instid0(VALU_DEP_2) | instskip(NEXT) | instid1(VALU_DEP_2)
	v_cmp_eq_u32_e32 vcc_lo, 0, v77
	v_cndmask_b32_e32 v77, v81, v70, vcc_lo
; %bb.71:
	s_or_b32 exec_lo, exec_lo, s3
	v_and_b32_e32 v70, 0x7f800000, v65
	s_delay_alu instid0(VALU_DEP_1) | instskip(SKIP_1) | instid1(SALU_CYCLE_1)
	v_cmp_ne_u32_e32 vcc_lo, 0x7f800000, v70
                                        ; implicit-def: $vgpr70
	s_and_saveexec_b32 s3, vcc_lo
	s_xor_b32 s3, exec_lo, s3
; %bb.72:
	v_bfe_u32 v70, v65, 16, 1
	s_delay_alu instid0(VALU_DEP_1)
	v_add3_u32 v70, v65, v70, 0x7fff
                                        ; implicit-def: $vgpr65
; %bb.73:
	s_and_not1_saveexec_b32 s3, s3
; %bb.74:
	v_and_b32_e32 v70, 0xffff, v65
	v_or_b32_e32 v81, 0x10000, v65
	s_delay_alu instid0(VALU_DEP_2) | instskip(NEXT) | instid1(VALU_DEP_2)
	v_cmp_eq_u32_e32 vcc_lo, 0, v70
	v_cndmask_b32_e32 v70, v81, v65, vcc_lo
; %bb.75:
	s_or_b32 exec_lo, exec_lo, s3
	s_delay_alu instid0(VALU_DEP_1)
	v_perm_b32 v85, v70, v77, 0x7060302
	v_perm_b32 v84, v76, v80, 0x7060302
	;; [unrolled: 1-line block ×4, first 2 shown]
	v_lshl_or_b32 v81, v66, 11, v79
	ds_store_b128 v75, v[82:85] offset:1024
	s_waitcnt lgkmcnt(0)
	s_barrier
	buffer_gl0_inv
	ds_load_b128 v[69:72], v81
	ds_load_b128 v[82:85], v81 offset:16
	s_waitcnt lgkmcnt(1)
	v_lshrrev_b32_e32 v65, 16, v69
	v_lshlrev_b32_e32 v77, 2, v74
	v_lshrrev_b32_e32 v66, 16, v70
	s_waitcnt lgkmcnt(0)
	v_lshrrev_b32_e32 v90, 16, v82
	v_lshrrev_b32_e32 v94, 16, v71
	;; [unrolled: 1-line block ×3, first 2 shown]
	v_cmp_eq_u32_e32 vcc_lo, 1, v77
	v_lshrrev_b32_e32 v95, 16, v72
	v_lshrrev_b32_e32 v97, 16, v84
	;; [unrolled: 1-line block ×3, first 2 shown]
	v_cndmask_b32_e32 v80, v69, v65, vcc_lo
	v_or_b32_e32 v78, 1, v77
	v_cmp_eq_u32_e64 s4, 2, v77
	v_cmp_eq_u32_e64 s7, 3, v77
	;; [unrolled: 1-line block ×3, first 2 shown]
	v_or_b32_e32 v76, 2, v77
	v_cmp_eq_u32_e64 s3, 1, v78
	v_cndmask_b32_e64 v80, v80, v70, s4
	v_cmp_eq_u32_e64 s6, 2, v78
	v_cmp_eq_u32_e64 s8, 3, v78
	;; [unrolled: 1-line block ×3, first 2 shown]
	v_cndmask_b32_e64 v87, v69, v65, s3
	v_cndmask_b32_e64 v80, v80, v66, s7
	v_cndmask_b32_e64 v88, v82, v90, s3
	v_cmp_eq_u32_e64 s11, 4, v78
	v_cmp_eq_u32_e64 s5, 1, v76
	v_cndmask_b32_e64 v87, v87, v70, s6
	v_cndmask_b32_e64 v80, v80, v71, s9
	;; [unrolled: 1-line block ×3, first 2 shown]
	v_cmp_eq_u32_e64 s12, 6, v77
	v_cmp_eq_u32_e64 s13, 5, v78
	v_cndmask_b32_e64 v87, v87, v66, s8
	v_cndmask_b32_e64 v80, v80, v94, s10
	v_cndmask_b32_e64 v89, v69, v65, s5
	v_cndmask_b32_e64 v88, v88, v96, s8
	v_cmp_eq_u32_e64 s16, 7, v77
	v_cndmask_b32_e64 v87, v87, v71, s11
	v_cndmask_b32_e64 v80, v80, v72, s12
	v_cmp_eq_u32_e64 s17, 6, v78
	v_cmp_eq_u32_e64 s18, 2, v76
	v_cndmask_b32_e64 v88, v88, v84, s11
	v_cndmask_b32_e64 v87, v87, v94, s13
	;; [unrolled: 1-line block ×3, first 2 shown]
	v_cmp_eq_u32_e64 s19, 7, v78
	v_cndmask_b32_e64 v80, v89, v70, s18
	v_cmp_eq_u32_e64 s20, 3, v76
	v_cndmask_b32_e64 v87, v87, v72, s17
	v_cmp_eq_u32_e64 s21, 4, v76
	v_cmp_eq_u32_e64 s23, 5, v76
	v_cmp_eq_u32_e64 s25, 6, v76
	v_cmp_eq_u32_e64 s28, 7, v76
	v_cndmask_b32_e64 v101, v87, v95, s19
	v_cndmask_b32_e64 v87, v88, v97, s13
	v_cndmask_b32_e64 v88, v80, v66, s20
	v_or_b32_e32 v80, 3, v77
	s_delay_alu instid0(VALU_DEP_3) | instskip(NEXT) | instid1(VALU_DEP_3)
	v_cndmask_b32_e64 v102, v87, v85, s17
	v_cndmask_b32_e64 v91, v88, v71, s21
	s_delay_alu instid0(VALU_DEP_3)
	v_cmp_eq_u32_e64 s22, 1, v80
	v_cmp_eq_u32_e64 s24, 2, v80
	;; [unrolled: 1-line block ×5, first 2 shown]
	v_cndmask_b32_e64 v65, v69, v65, s22
	v_cmp_eq_u32_e64 s30, 6, v80
	v_cndmask_b32_e64 v103, v91, v94, s23
	s_delay_alu instid0(VALU_DEP_3) | instskip(NEXT) | instid1(VALU_DEP_1)
	v_cndmask_b32_e64 v65, v65, v70, s24
	v_cndmask_b32_e64 v65, v65, v66, s26
	s_delay_alu instid0(VALU_DEP_3) | instskip(NEXT) | instid1(VALU_DEP_2)
	v_cndmask_b32_e64 v66, v103, v72, s25
	v_cndmask_b32_e64 v65, v65, v71, s27
	s_delay_alu instid0(VALU_DEP_2) | instskip(NEXT) | instid1(VALU_DEP_2)
	v_cndmask_b32_e64 v66, v66, v95, s28
	v_cndmask_b32_e64 v65, v65, v94, s29
	s_delay_alu instid0(VALU_DEP_1) | instskip(SKIP_1) | instid1(VALU_DEP_1)
	v_cndmask_b32_e64 v65, v65, v72, s30
	v_cndmask_b32_e32 v86, v82, v90, vcc_lo
	v_cndmask_b32_e64 v86, v86, v83, s4
	s_delay_alu instid0(VALU_DEP_1) | instskip(NEXT) | instid1(VALU_DEP_1)
	v_cndmask_b32_e64 v86, v86, v96, s7
	v_cndmask_b32_e64 v86, v86, v84, s9
	s_delay_alu instid0(VALU_DEP_1) | instskip(NEXT) | instid1(VALU_DEP_1)
	v_cndmask_b32_e64 v86, v86, v97, s10
	v_cndmask_b32_e64 v86, v86, v85, s12
	s_delay_alu instid0(VALU_DEP_1) | instskip(SKIP_2) | instid1(VALU_DEP_2)
	v_cndmask_b32_e64 v100, v86, v98, s16
	v_cndmask_b32_e64 v86, v82, v90, s5
	;; [unrolled: 1-line block ×4, first 2 shown]
	s_delay_alu instid0(VALU_DEP_2) | instskip(SKIP_1) | instid1(VALU_DEP_3)
	v_cndmask_b32_e64 v70, v82, v83, s24
	v_cndmask_b32_e64 v82, v102, v98, s19
	;; [unrolled: 1-line block ×3, first 2 shown]
	ds_load_b128 v[86:89], v81 offset:1024
	v_cndmask_b32_e64 v70, v70, v96, s26
	v_cndmask_b32_e64 v69, v92, v84, s21
	ds_load_b128 v[90:93], v81 offset:1040
	v_cndmask_b32_e64 v70, v70, v84, s27
	v_cndmask_b32_e64 v69, v69, v97, s23
	s_delay_alu instid0(VALU_DEP_2) | instskip(NEXT) | instid1(VALU_DEP_2)
	v_cndmask_b32_e64 v70, v70, v97, s29
	v_cndmask_b32_e64 v69, v69, v85, s25
	s_delay_alu instid0(VALU_DEP_2) | instskip(NEXT) | instid1(VALU_DEP_2)
	v_cndmask_b32_e64 v70, v70, v85, s30
	v_cndmask_b32_e64 v69, v69, v98, s28
	s_waitcnt lgkmcnt(1)
	v_lshrrev_b32_e32 v83, 16, v86
	v_lshrrev_b32_e32 v94, 16, v87
	;; [unrolled: 1-line block ×3, first 2 shown]
	s_delay_alu instid0(VALU_DEP_3) | instskip(SKIP_3) | instid1(VALU_DEP_3)
	v_cndmask_b32_e32 v71, v86, v83, vcc_lo
	s_waitcnt lgkmcnt(0)
	v_lshrrev_b32_e32 v84, 16, v90
	v_cndmask_b32_e64 v96, v86, v83, s3
	v_cndmask_b32_e64 v71, v71, v87, s4
	s_delay_alu instid0(VALU_DEP_3) | instskip(NEXT) | instid1(VALU_DEP_3)
	v_cndmask_b32_e32 v97, v90, v84, vcc_lo
	v_cndmask_b32_e64 v72, v96, v87, s6
	v_lshrrev_b32_e32 v96, 16, v91
	v_cmp_eq_u32_e32 vcc_lo, 7, v80
	v_cndmask_b32_e64 v71, v71, v94, s7
	v_cndmask_b32_e64 v85, v97, v91, s4
	;; [unrolled: 1-line block ×3, first 2 shown]
	v_lshrrev_b32_e32 v97, 16, v88
	v_cndmask_b32_e32 v65, v65, v95, vcc_lo
	v_cndmask_b32_e64 v71, v71, v88, s9
	v_cndmask_b32_e64 v85, v85, v96, s7
	v_cndmask_b32_e32 v70, v70, v98, vcc_lo
	v_cndmask_b32_e64 v95, v72, v88, s11
	v_lshrrev_b32_e32 v98, 16, v92
	v_cndmask_b32_e64 v71, v71, v97, s10
	v_cndmask_b32_e64 v85, v85, v92, s9
	v_perm_b32 v72, v70, v65, 0x5040100
	v_cndmask_b32_e64 v65, v95, v97, s13
	v_perm_b32 v70, v82, v101, 0x5040100
	v_cndmask_b32_e64 v95, v71, v89, s12
	v_cndmask_b32_e64 v85, v85, v98, s10
	v_perm_b32 v71, v69, v66, 0x5040100
	v_cndmask_b32_e64 v65, v65, v89, s17
	v_lshrrev_b32_e32 v82, 16, v93
	v_cndmask_b32_e64 v66, v95, v102, s16
	v_cndmask_b32_e64 v69, v85, v93, s12
	;; [unrolled: 1-line block ×34, first 2 shown]
	v_cndmask_b32_e32 v83, v83, v102, vcc_lo
	v_cndmask_b32_e32 v85, v86, v82, vcc_lo
	v_cndmask_b32_e64 v86, v87, v82, s28
	v_cndmask_b32_e64 v87, v84, v82, s19
	;; [unrolled: 1-line block ×3, first 2 shown]
	v_perm_b32 v69, v100, v99, 0x5040100
	v_perm_b32 v85, v85, v83, 0x5040100
	;; [unrolled: 1-line block ×5, first 2 shown]
	s_mov_b32 s3, exec_lo
	ds_store_b128 v75, v[69:72]
	ds_store_b128 v75, v[82:85] offset:1024
	v_cmpx_eq_u32_e32 0, v0
	s_cbranch_execz .LBB1662_77
; %bb.76:
	s_load_b128 s[4:7], s[0:1], 0x58
	s_mul_i32 s8, s37, s34
	v_mov_b32_e32 v65, 0
	s_add_i32 s8, s8, s15
	s_delay_alu instid0(SALU_CYCLE_1) | instskip(NEXT) | instid1(SALU_CYCLE_1)
	s_mul_i32 s8, s8, s36
	s_add_i32 s8, s8, s14
	s_delay_alu instid0(SALU_CYCLE_1) | instskip(NEXT) | instid1(SALU_CYCLE_1)
	s_ashr_i32 s9, s8, 31
	s_lshl_b64 s[8:9], s[8:9], 2
	s_waitcnt lgkmcnt(0)
	s_add_u32 s6, s6, s8
	s_addc_u32 s7, s7, s9
	s_add_u32 s4, s4, s8
	s_addc_u32 s5, s5, s9
	s_clause 0x1
	global_store_b32 v65, v67, s[6:7]
	global_store_b32 v65, v68, s[4:5]
.LBB1662_77:
	s_or_b32 exec_lo, exec_lo, s3
	s_waitcnt lgkmcnt(0)
	s_waitcnt_vscnt null, 0x0
	s_barrier
	buffer_gl0_inv
	ds_load_b128 v[82:85], v79
	ds_load_b128 v[86:89], v79 offset:16
	ds_load_b128 v[94:97], v79 offset:2064
	;; [unrolled: 1-line block ×3, first 2 shown]
	v_mov_b32_e32 v65, 0
	ds_load_b128 v[102:105], v79 offset:4112
	ds_load_b128 v[98:101], v79 offset:4096
	;; [unrolled: 1-line block ×4, first 2 shown]
	v_mov_b32_e32 v66, v65
	v_mov_b32_e32 v67, v65
	;; [unrolled: 1-line block ×7, first 2 shown]
	s_waitcnt lgkmcnt(6)
	s_delay_alu instid0(VALU_DEP_1)
	v_wmma_f32_16x16x16_bf16 v[65:72], v[49:56], v[82:89], v[65:72]
	ds_load_b128 v[53:56], v79 offset:8208
	ds_load_b128 v[49:52], v79 offset:8192
	s_waitcnt lgkmcnt(6)
	v_wmma_f32_16x16x16_bf16 v[65:72], v[41:48], v[90:97], v[65:72]
	ds_load_b128 v[45:48], v79 offset:10256
	ds_load_b128 v[41:44], v79 offset:10240
	s_waitcnt lgkmcnt(6)
	;; [unrolled: 4-line block ×4, first 2 shown]
	v_wmma_f32_16x16x16_bf16 v[65:72], v[1:8], v[49:56], v[65:72]
	s_waitcnt lgkmcnt(4)
	s_delay_alu instid0(VALU_DEP_1) | instskip(SKIP_1) | instid1(VALU_DEP_1)
	v_wmma_f32_16x16x16_bf16 v[65:72], v[9:16], v[41:48], v[65:72]
	s_waitcnt lgkmcnt(2)
	v_wmma_f32_16x16x16_bf16 v[65:72], v[17:24], v[33:40], v[65:72]
	s_waitcnt lgkmcnt(0)
	s_delay_alu instid0(VALU_DEP_1) | instskip(NEXT) | instid1(VALU_DEP_1)
	v_wmma_f32_16x16x16_bf16 v[65:72], v[57:64], v[25:32], v[65:72]
	v_and_b32_e32 v1, 0x7f800000, v65
	s_delay_alu instid0(VALU_DEP_1) | instskip(SKIP_1) | instid1(SALU_CYCLE_1)
	v_cmp_ne_u32_e32 vcc_lo, 0x7f800000, v1
                                        ; implicit-def: $vgpr1
	s_and_saveexec_b32 s3, vcc_lo
	s_xor_b32 s3, exec_lo, s3
; %bb.78:
	v_bfe_u32 v1, v65, 16, 1
	s_delay_alu instid0(VALU_DEP_1)
	v_add3_u32 v1, v65, v1, 0x7fff
; %bb.79:
	s_and_not1_saveexec_b32 s3, s3
; %bb.80:
	v_and_b32_e32 v1, 0xffff, v65
	v_or_b32_e32 v2, 0x10000, v65
	s_delay_alu instid0(VALU_DEP_2) | instskip(NEXT) | instid1(VALU_DEP_2)
	v_cmp_eq_u32_e32 vcc_lo, 0, v1
	v_cndmask_b32_e32 v1, v2, v65, vcc_lo
; %bb.81:
	s_or_b32 exec_lo, exec_lo, s3
	v_and_b32_e32 v2, 0x7f800000, v66
	s_delay_alu instid0(VALU_DEP_1) | instskip(SKIP_1) | instid1(SALU_CYCLE_1)
	v_cmp_ne_u32_e32 vcc_lo, 0x7f800000, v2
                                        ; implicit-def: $vgpr2
	s_and_saveexec_b32 s3, vcc_lo
	s_xor_b32 s3, exec_lo, s3
; %bb.82:
	v_bfe_u32 v2, v66, 16, 1
	s_delay_alu instid0(VALU_DEP_1)
	v_add3_u32 v2, v66, v2, 0x7fff
; %bb.83:
	s_and_not1_saveexec_b32 s3, s3
; %bb.84:
	v_and_b32_e32 v2, 0xffff, v66
	v_or_b32_e32 v3, 0x10000, v66
	s_delay_alu instid0(VALU_DEP_2) | instskip(NEXT) | instid1(VALU_DEP_2)
	v_cmp_eq_u32_e32 vcc_lo, 0, v2
	v_cndmask_b32_e32 v2, v3, v66, vcc_lo
; %bb.85:
	s_or_b32 exec_lo, exec_lo, s3
	v_and_b32_e32 v3, 0x7f800000, v67
	s_delay_alu instid0(VALU_DEP_1) | instskip(SKIP_1) | instid1(SALU_CYCLE_1)
	v_cmp_ne_u32_e32 vcc_lo, 0x7f800000, v3
                                        ; implicit-def: $vgpr3
	s_and_saveexec_b32 s3, vcc_lo
	s_xor_b32 s3, exec_lo, s3
; %bb.86:
	v_bfe_u32 v3, v67, 16, 1
	s_delay_alu instid0(VALU_DEP_1)
	v_add3_u32 v3, v67, v3, 0x7fff
; %bb.87:
	s_and_not1_saveexec_b32 s3, s3
; %bb.88:
	v_and_b32_e32 v3, 0xffff, v67
	v_or_b32_e32 v4, 0x10000, v67
	s_delay_alu instid0(VALU_DEP_2) | instskip(NEXT) | instid1(VALU_DEP_2)
	v_cmp_eq_u32_e32 vcc_lo, 0, v3
	v_cndmask_b32_e32 v3, v4, v67, vcc_lo
; %bb.89:
	s_or_b32 exec_lo, exec_lo, s3
	v_and_b32_e32 v4, 0x7f800000, v68
	s_delay_alu instid0(VALU_DEP_1) | instskip(SKIP_1) | instid1(SALU_CYCLE_1)
	v_cmp_ne_u32_e32 vcc_lo, 0x7f800000, v4
                                        ; implicit-def: $vgpr4
	s_and_saveexec_b32 s3, vcc_lo
	s_xor_b32 s3, exec_lo, s3
; %bb.90:
	v_bfe_u32 v4, v68, 16, 1
	s_delay_alu instid0(VALU_DEP_1)
	v_add3_u32 v4, v68, v4, 0x7fff
; %bb.91:
	s_and_not1_saveexec_b32 s3, s3
; %bb.92:
	v_and_b32_e32 v4, 0xffff, v68
	v_or_b32_e32 v5, 0x10000, v68
	s_delay_alu instid0(VALU_DEP_2) | instskip(NEXT) | instid1(VALU_DEP_2)
	v_cmp_eq_u32_e32 vcc_lo, 0, v4
	v_cndmask_b32_e32 v4, v5, v68, vcc_lo
; %bb.93:
	s_or_b32 exec_lo, exec_lo, s3
	v_and_b32_e32 v5, 0x7f800000, v69
	s_delay_alu instid0(VALU_DEP_1) | instskip(SKIP_1) | instid1(SALU_CYCLE_1)
	v_cmp_ne_u32_e32 vcc_lo, 0x7f800000, v5
                                        ; implicit-def: $vgpr5
	s_and_saveexec_b32 s3, vcc_lo
	s_xor_b32 s3, exec_lo, s3
; %bb.94:
	v_bfe_u32 v5, v69, 16, 1
	s_delay_alu instid0(VALU_DEP_1)
	v_add3_u32 v5, v69, v5, 0x7fff
; %bb.95:
	s_and_not1_saveexec_b32 s3, s3
; %bb.96:
	v_and_b32_e32 v5, 0xffff, v69
	v_or_b32_e32 v6, 0x10000, v69
	s_delay_alu instid0(VALU_DEP_2) | instskip(NEXT) | instid1(VALU_DEP_2)
	v_cmp_eq_u32_e32 vcc_lo, 0, v5
	v_cndmask_b32_e32 v5, v6, v69, vcc_lo
; %bb.97:
	s_or_b32 exec_lo, exec_lo, s3
	v_and_b32_e32 v6, 0x7f800000, v70
	s_delay_alu instid0(VALU_DEP_1) | instskip(SKIP_1) | instid1(SALU_CYCLE_1)
	v_cmp_ne_u32_e32 vcc_lo, 0x7f800000, v6
                                        ; implicit-def: $vgpr6
	s_and_saveexec_b32 s3, vcc_lo
	s_xor_b32 s3, exec_lo, s3
; %bb.98:
	v_bfe_u32 v6, v70, 16, 1
	s_delay_alu instid0(VALU_DEP_1)
	v_add3_u32 v6, v70, v6, 0x7fff
; %bb.99:
	s_and_not1_saveexec_b32 s3, s3
; %bb.100:
	v_and_b32_e32 v6, 0xffff, v70
	v_or_b32_e32 v7, 0x10000, v70
	s_delay_alu instid0(VALU_DEP_2) | instskip(NEXT) | instid1(VALU_DEP_2)
	v_cmp_eq_u32_e32 vcc_lo, 0, v6
	v_cndmask_b32_e32 v6, v7, v70, vcc_lo
; %bb.101:
	s_or_b32 exec_lo, exec_lo, s3
	v_and_b32_e32 v7, 0x7f800000, v71
	s_delay_alu instid0(VALU_DEP_1) | instskip(SKIP_1) | instid1(SALU_CYCLE_1)
	v_cmp_ne_u32_e32 vcc_lo, 0x7f800000, v7
                                        ; implicit-def: $vgpr7
	s_and_saveexec_b32 s3, vcc_lo
	s_xor_b32 s3, exec_lo, s3
; %bb.102:
	v_bfe_u32 v7, v71, 16, 1
	s_delay_alu instid0(VALU_DEP_1)
	v_add3_u32 v7, v71, v7, 0x7fff
; %bb.103:
	s_and_not1_saveexec_b32 s3, s3
; %bb.104:
	v_and_b32_e32 v7, 0xffff, v71
	v_or_b32_e32 v8, 0x10000, v71
	s_delay_alu instid0(VALU_DEP_2) | instskip(NEXT) | instid1(VALU_DEP_2)
	v_cmp_eq_u32_e32 vcc_lo, 0, v7
	v_cndmask_b32_e32 v7, v8, v71, vcc_lo
; %bb.105:
	s_or_b32 exec_lo, exec_lo, s3
	v_and_b32_e32 v8, 0x7f800000, v72
	s_delay_alu instid0(VALU_DEP_1) | instskip(SKIP_1) | instid1(SALU_CYCLE_1)
	v_cmp_ne_u32_e32 vcc_lo, 0x7f800000, v8
                                        ; implicit-def: $vgpr8
	s_and_saveexec_b32 s3, vcc_lo
	s_xor_b32 s3, exec_lo, s3
; %bb.106:
	v_bfe_u32 v8, v72, 16, 1
	s_delay_alu instid0(VALU_DEP_1)
	v_add3_u32 v8, v72, v8, 0x7fff
                                        ; implicit-def: $vgpr65_vgpr66_vgpr67_vgpr68_vgpr69_vgpr70_vgpr71_vgpr72
; %bb.107:
	s_and_not1_saveexec_b32 s3, s3
; %bb.108:
	v_and_b32_e32 v8, 0xffff, v72
	v_or_b32_e32 v9, 0x10000, v72
	s_delay_alu instid0(VALU_DEP_2) | instskip(NEXT) | instid1(VALU_DEP_2)
	v_cmp_eq_u32_e32 vcc_lo, 0, v8
	v_cndmask_b32_e32 v8, v9, v72, vcc_lo
; %bb.109:
	s_or_b32 exec_lo, exec_lo, s3
	s_delay_alu instid0(VALU_DEP_1)
	v_perm_b32 v7, v8, v7, 0x7060302
	v_perm_b32 v6, v6, v5, 0x7060302
	;; [unrolled: 1-line block ×4, first 2 shown]
	s_barrier
	buffer_gl0_inv
	v_cmp_eq_u32_e32 vcc_lo, 1, v77
	ds_store_b128 v75, v[4:7]
	s_waitcnt lgkmcnt(0)
	s_barrier
	buffer_gl0_inv
	ds_load_b128 v[1:4], v81
	ds_load_b128 v[5:8], v81 offset:16
	v_cmp_eq_u32_e64 s3, 1, v78
	v_cmp_eq_u32_e64 s4, 2, v77
	;; [unrolled: 1-line block ×5, first 2 shown]
	s_xor_b32 s2, s2, -1
	s_waitcnt lgkmcnt(1)
	v_lshrrev_b32_e32 v9, 16, v1
	s_waitcnt lgkmcnt(0)
	v_lshrrev_b32_e32 v13, 16, v5
	v_lshrrev_b32_e32 v10, 16, v2
	;; [unrolled: 1-line block ×4, first 2 shown]
	v_cndmask_b32_e64 v19, v1, v9, s3
	v_cndmask_b32_e32 v18, v5, v13, vcc_lo
	v_cndmask_b32_e64 v20, v5, v13, s3
	v_cndmask_b32_e32 v17, v1, v9, vcc_lo
	v_cmp_eq_u32_e32 vcc_lo, 2, v78
	v_lshrrev_b32_e32 v15, 16, v7
	v_cmp_eq_u32_e64 s3, 1, v76
	v_lshrrev_b32_e32 v12, 16, v4
	v_lshrrev_b32_e32 v16, 16, v8
	v_cndmask_b32_e32 v20, v20, v6, vcc_lo
	v_cndmask_b32_e64 v17, v17, v2, s4
	v_cndmask_b32_e32 v19, v19, v2, vcc_lo
	v_cndmask_b32_e64 v18, v18, v6, s4
	v_cmp_eq_u32_e32 vcc_lo, 4, v77
	v_cmp_eq_u32_e64 s4, 3, v78
	v_cndmask_b32_e64 v17, v17, v10, s5
	v_cndmask_b32_e64 v21, v1, v9, s3
	;; [unrolled: 1-line block ×5, first 2 shown]
	v_cndmask_b32_e32 v17, v17, v3, vcc_lo
	v_cndmask_b32_e64 v20, v20, v14, s4
	v_cndmask_b32_e32 v18, v18, v7, vcc_lo
	v_cmp_eq_u32_e32 vcc_lo, 4, v78
	v_cmp_eq_u32_e64 s4, 5, v78
	v_cmp_eq_u32_e64 s3, 2, v80
	v_cndmask_b32_e64 v21, v21, v2, s7
	v_cmp_eq_u32_e64 s5, 5, v77
	v_cndmask_b32_e32 v19, v19, v3, vcc_lo
	v_cndmask_b32_e32 v20, v20, v7, vcc_lo
	v_cmp_eq_u32_e32 vcc_lo, 6, v78
	s_delay_alu instid0(VALU_DEP_4) | instskip(NEXT) | instid1(VALU_DEP_4)
	v_cndmask_b32_e64 v17, v17, v11, s5
	v_cndmask_b32_e64 v19, v19, v11, s4
	s_delay_alu instid0(VALU_DEP_4) | instskip(SKIP_1) | instid1(VALU_DEP_3)
	v_cndmask_b32_e64 v20, v20, v15, s4
	v_cmp_eq_u32_e64 s4, 1, v80
	v_cndmask_b32_e32 v19, v19, v4, vcc_lo
	v_cndmask_b32_e64 v18, v18, v15, s5
	s_delay_alu instid0(VALU_DEP_3)
	v_cndmask_b32_e64 v1, v1, v9, s4
	v_cndmask_b32_e64 v5, v5, v13, s4
	v_cmp_eq_u32_e64 s4, 3, v76
	v_cndmask_b32_e64 v13, v22, v6, s7
	v_cmp_eq_u32_e64 s7, 3, v80
	v_cndmask_b32_e64 v1, v1, v2, s3
	v_cndmask_b32_e64 v2, v5, v6, s3
	;; [unrolled: 1-line block ×3, first 2 shown]
	v_cmp_eq_u32_e64 s3, 4, v76
	v_cndmask_b32_e64 v6, v13, v14, s4
	v_cndmask_b32_e64 v1, v1, v10, s7
	v_cmp_eq_u32_e64 s4, 4, v80
	v_cndmask_b32_e64 v2, v2, v14, s7
	v_cndmask_b32_e64 v5, v9, v3, s3
	;; [unrolled: 3-line block ×3, first 2 shown]
	v_cndmask_b32_e64 v2, v2, v7, s4
	v_cmp_eq_u32_e64 s3, 5, v80
	v_cmp_eq_u32_e64 s5, 6, v77
	v_cndmask_b32_e64 v5, v5, v11, s7
	v_cmp_eq_u32_e64 s4, 6, v76
	v_cndmask_b32_e64 v3, v6, v15, s7
	v_cndmask_b32_e64 v1, v1, v11, s3
	v_cmp_eq_u32_e64 s7, 6, v80
	v_cndmask_b32_e64 v2, v2, v15, s3
	v_cndmask_b32_e64 v17, v17, v4, s5
	v_cndmask_b32_e64 v18, v18, v8, s5
	v_cmp_eq_u32_e64 s5, 7, v77
	v_cndmask_b32_e64 v5, v5, v4, s4
	;; [unrolled: 4-line block ×3, first 2 shown]
	v_cmp_eq_u32_e64 s4, 7, v76
	v_cndmask_b32_e32 v4, v20, v8, vcc_lo
	v_cndmask_b32_e64 v17, v17, v12, s5
	v_cndmask_b32_e64 v19, v19, v12, s6
	;; [unrolled: 1-line block ×8, first 2 shown]
	v_cmp_gt_u32_e32 vcc_lo, 32, v0
	v_perm_b32 v4, v2, v1, 0x5040100
	v_perm_b32 v3, v3, v5, 0x5040100
	;; [unrolled: 1-line block ×4, first 2 shown]
	s_and_b32 s2, vcc_lo, s2
	ds_store_b128 v75, v[1:4]
	s_waitcnt lgkmcnt(0)
	s_barrier
	buffer_gl0_inv
	s_and_saveexec_b32 s3, s2
	s_cbranch_execz .LBB1662_2
; %bb.110:
	s_load_b64 s[0:1], s[0:1], 0x68
	v_lshlrev_b32_e32 v1, 10, v0
	v_and_b32_e32 v0, 1, v0
	v_lshlrev_b32_e32 v2, 6, v74
	s_lshl_b32 s4, s36, 7
	s_delay_alu instid0(VALU_DEP_3) | instskip(NEXT) | instid1(VALU_DEP_3)
	v_and_b32_e32 v1, 0x3800, v1
	v_lshlrev_b32_e32 v0, 4, v0
	s_mul_i32 s2, s4, s34
	s_delay_alu instid0(SALU_CYCLE_1) | instskip(NEXT) | instid1(VALU_DEP_1)
	s_mul_i32 s2, s2, s37
	v_or3_b32 v0, v1, v2, v0
	s_ashr_i32 s3, s2, 31
	s_delay_alu instid0(SALU_CYCLE_1)
	s_lshl_b64 s[2:3], s[2:3], 1
	ds_load_b128 v[0:3], v0
	s_waitcnt lgkmcnt(0)
	s_add_u32 s5, s0, s2
	s_addc_u32 s3, s1, s3
	s_lshl_b32 s0, s14, 7
	s_mul_i32 s2, s4, s15
	s_ashr_i32 s1, s0, 31
	s_delay_alu instid0(SALU_CYCLE_1) | instskip(NEXT) | instid1(SALU_CYCLE_1)
	s_lshl_b64 s[0:1], s[0:1], 1
	s_add_u32 s4, s5, s0
	s_addc_u32 s5, s3, s1
	s_ashr_i32 s3, s2, 31
	s_delay_alu instid0(SALU_CYCLE_1) | instskip(NEXT) | instid1(SALU_CYCLE_1)
	s_lshl_b64 s[0:1], s[2:3], 1
	s_add_u32 s0, s4, s0
	s_addc_u32 s1, s5, s1
	global_store_b128 v73, v[0:3], s[0:1]
	s_nop 0
	s_sendmsg sendmsg(MSG_DEALLOC_VGPRS)
	s_endpgm
	.section	.rodata,"a",@progbits
	.p2align	6, 0x0
	.amdhsa_kernel _Z39paged_attention_ll4mi_QKV_mfma16_kernelI14__hip_bfloat16hLN4vllm18Fp8KVCacheDataTypeE1ES0_Li32ELi128ELi256ELb0ELi1EL8MFMAType1EEvPKT_PKT0_S9_ifPKiSB_SB_iPKfiiiPfSE_PS4_PT2_iSD_SD_
		.amdhsa_group_segment_fixed_size 17472
		.amdhsa_private_segment_fixed_size 0
		.amdhsa_kernarg_size 400
		.amdhsa_user_sgpr_count 13
		.amdhsa_user_sgpr_dispatch_ptr 0
		.amdhsa_user_sgpr_queue_ptr 0
		.amdhsa_user_sgpr_kernarg_segment_ptr 1
		.amdhsa_user_sgpr_dispatch_id 0
		.amdhsa_user_sgpr_private_segment_size 0
		.amdhsa_wavefront_size32 1
		.amdhsa_uses_dynamic_stack 0
		.amdhsa_enable_private_segment 0
		.amdhsa_system_sgpr_workgroup_id_x 1
		.amdhsa_system_sgpr_workgroup_id_y 1
		.amdhsa_system_sgpr_workgroup_id_z 1
		.amdhsa_system_sgpr_workgroup_info 0
		.amdhsa_system_vgpr_workitem_id 0
		.amdhsa_next_free_vgpr 138
		.amdhsa_next_free_sgpr 68
		.amdhsa_reserve_vcc 1
		.amdhsa_float_round_mode_32 0
		.amdhsa_float_round_mode_16_64 0
		.amdhsa_float_denorm_mode_32 3
		.amdhsa_float_denorm_mode_16_64 3
		.amdhsa_dx10_clamp 1
		.amdhsa_ieee_mode 1
		.amdhsa_fp16_overflow 0
		.amdhsa_workgroup_processor_mode 1
		.amdhsa_memory_ordered 1
		.amdhsa_forward_progress 0
		.amdhsa_shared_vgpr_count 0
		.amdhsa_exception_fp_ieee_invalid_op 0
		.amdhsa_exception_fp_denorm_src 0
		.amdhsa_exception_fp_ieee_div_zero 0
		.amdhsa_exception_fp_ieee_overflow 0
		.amdhsa_exception_fp_ieee_underflow 0
		.amdhsa_exception_fp_ieee_inexact 0
		.amdhsa_exception_int_div_zero 0
	.end_amdhsa_kernel
	.section	.text._Z39paged_attention_ll4mi_QKV_mfma16_kernelI14__hip_bfloat16hLN4vllm18Fp8KVCacheDataTypeE1ES0_Li32ELi128ELi256ELb0ELi1EL8MFMAType1EEvPKT_PKT0_S9_ifPKiSB_SB_iPKfiiiPfSE_PS4_PT2_iSD_SD_,"axG",@progbits,_Z39paged_attention_ll4mi_QKV_mfma16_kernelI14__hip_bfloat16hLN4vllm18Fp8KVCacheDataTypeE1ES0_Li32ELi128ELi256ELb0ELi1EL8MFMAType1EEvPKT_PKT0_S9_ifPKiSB_SB_iPKfiiiPfSE_PS4_PT2_iSD_SD_,comdat
.Lfunc_end1662:
	.size	_Z39paged_attention_ll4mi_QKV_mfma16_kernelI14__hip_bfloat16hLN4vllm18Fp8KVCacheDataTypeE1ES0_Li32ELi128ELi256ELb0ELi1EL8MFMAType1EEvPKT_PKT0_S9_ifPKiSB_SB_iPKfiiiPfSE_PS4_PT2_iSD_SD_, .Lfunc_end1662-_Z39paged_attention_ll4mi_QKV_mfma16_kernelI14__hip_bfloat16hLN4vllm18Fp8KVCacheDataTypeE1ES0_Li32ELi128ELi256ELb0ELi1EL8MFMAType1EEvPKT_PKT0_S9_ifPKiSB_SB_iPKfiiiPfSE_PS4_PT2_iSD_SD_
                                        ; -- End function
	.section	.AMDGPU.csdata,"",@progbits
; Kernel info:
; codeLenInByte = 8628
; NumSgprs: 70
; NumVgprs: 138
; ScratchSize: 0
; MemoryBound: 1
; FloatMode: 240
; IeeeMode: 1
; LDSByteSize: 17472 bytes/workgroup (compile time only)
; SGPRBlocks: 8
; VGPRBlocks: 17
; NumSGPRsForWavesPerEU: 70
; NumVGPRsForWavesPerEU: 138
; Occupancy: 10
; WaveLimiterHint : 1
; COMPUTE_PGM_RSRC2:SCRATCH_EN: 0
; COMPUTE_PGM_RSRC2:USER_SGPR: 13
; COMPUTE_PGM_RSRC2:TRAP_HANDLER: 0
; COMPUTE_PGM_RSRC2:TGID_X_EN: 1
; COMPUTE_PGM_RSRC2:TGID_Y_EN: 1
; COMPUTE_PGM_RSRC2:TGID_Z_EN: 1
; COMPUTE_PGM_RSRC2:TIDIG_COMP_CNT: 0
	.section	.text._Z39paged_attention_ll4mi_QKV_mfma16_kernelI14__hip_bfloat16hLN4vllm18Fp8KVCacheDataTypeE1ES0_Li32ELi128ELi256ELb0ELi2EL8MFMAType1EEvPKT_PKT0_S9_ifPKiSB_SB_iPKfiiiPfSE_PS4_PT2_iSD_SD_,"axG",@progbits,_Z39paged_attention_ll4mi_QKV_mfma16_kernelI14__hip_bfloat16hLN4vllm18Fp8KVCacheDataTypeE1ES0_Li32ELi128ELi256ELb0ELi2EL8MFMAType1EEvPKT_PKT0_S9_ifPKiSB_SB_iPKfiiiPfSE_PS4_PT2_iSD_SD_,comdat
	.protected	_Z39paged_attention_ll4mi_QKV_mfma16_kernelI14__hip_bfloat16hLN4vllm18Fp8KVCacheDataTypeE1ES0_Li32ELi128ELi256ELb0ELi2EL8MFMAType1EEvPKT_PKT0_S9_ifPKiSB_SB_iPKfiiiPfSE_PS4_PT2_iSD_SD_ ; -- Begin function _Z39paged_attention_ll4mi_QKV_mfma16_kernelI14__hip_bfloat16hLN4vllm18Fp8KVCacheDataTypeE1ES0_Li32ELi128ELi256ELb0ELi2EL8MFMAType1EEvPKT_PKT0_S9_ifPKiSB_SB_iPKfiiiPfSE_PS4_PT2_iSD_SD_
	.globl	_Z39paged_attention_ll4mi_QKV_mfma16_kernelI14__hip_bfloat16hLN4vllm18Fp8KVCacheDataTypeE1ES0_Li32ELi128ELi256ELb0ELi2EL8MFMAType1EEvPKT_PKT0_S9_ifPKiSB_SB_iPKfiiiPfSE_PS4_PT2_iSD_SD_
	.p2align	8
	.type	_Z39paged_attention_ll4mi_QKV_mfma16_kernelI14__hip_bfloat16hLN4vllm18Fp8KVCacheDataTypeE1ES0_Li32ELi128ELi256ELb0ELi2EL8MFMAType1EEvPKT_PKT0_S9_ifPKiSB_SB_iPKfiiiPfSE_PS4_PT2_iSD_SD_,@function
_Z39paged_attention_ll4mi_QKV_mfma16_kernelI14__hip_bfloat16hLN4vllm18Fp8KVCacheDataTypeE1ES0_Li32ELi128ELi256ELb0ELi2EL8MFMAType1EEvPKT_PKT0_S9_ifPKiSB_SB_iPKfiiiPfSE_PS4_PT2_iSD_SD_: ; @_Z39paged_attention_ll4mi_QKV_mfma16_kernelI14__hip_bfloat16hLN4vllm18Fp8KVCacheDataTypeE1ES0_Li32ELi128ELi256ELb0ELi2EL8MFMAType1EEvPKT_PKT0_S9_ifPKiSB_SB_iPKfiiiPfSE_PS4_PT2_iSD_SD_
; %bb.0:
	s_load_b64 s[2:3], s[0:1], 0x30
	s_mov_b32 s30, s13
	s_waitcnt lgkmcnt(0)
	s_cmp_lg_u64 s[2:3], 0
	s_cselect_b32 s6, -1, 0
	s_ashr_i32 s31, s13, 31
	s_cmp_eq_u64 s[2:3], 0
	s_cbranch_scc1 .LBB1663_3
; %bb.1:
	s_lshl_b64 s[4:5], s[30:31], 2
	s_delay_alu instid0(SALU_CYCLE_1) | instskip(SKIP_4) | instid1(SALU_CYCLE_1)
	s_add_u32 s4, s2, s4
	s_addc_u32 s5, s3, s5
	s_load_b64 s[4:5], s[4:5], 0x0
	s_waitcnt lgkmcnt(0)
	s_sub_i32 s4, s5, s4
	s_cmp_eq_u32 s4, 1
	s_cselect_b32 s4, -1, 0
	s_delay_alu instid0(SALU_CYCLE_1)
	s_and_not1_b32 vcc_lo, exec_lo, s4
	s_cbranch_vccz .LBB1663_4
.LBB1663_2:
	s_endpgm
.LBB1663_3:
.LBB1663_4:
	s_load_b64 s[8:9], s[0:1], 0x28
	s_lshl_b64 s[4:5], s[30:31], 2
	s_waitcnt lgkmcnt(0)
	s_add_u32 s8, s8, s4
	s_addc_u32 s9, s9, s5
	s_lshl_b32 s16, s14, 8
	s_load_b32 s18, s[8:9], 0x0
	s_waitcnt lgkmcnt(0)
	s_cmp_ge_i32 s16, s18
	s_cbranch_scc1 .LBB1663_2
; %bb.5:
	s_clause 0x1
	s_load_b128 s[8:11], s[0:1], 0x8
	s_load_b64 s[12:13], s[0:1], 0x20
	s_and_not1_b32 vcc_lo, exec_lo, s6
	s_cbranch_vccnz .LBB1663_7
; %bb.6:
	s_add_u32 s2, s2, s4
	s_addc_u32 s3, s3, s5
	s_load_b32 s3, s[2:3], 0x0
	s_branch .LBB1663_8
.LBB1663_7:
	s_mov_b32 s3, s30
.LBB1663_8:
	s_load_b128 s[4:7], s[0:1], 0x48
	v_and_b32_e32 v66, 15, v0
	v_bfe_u32 v65, v0, 4, 1
	s_lshl_b32 s31, s15, 1
	v_and_b32_e32 v67, 31, v0
	v_and_b32_e32 v76, 1, v0
	v_lshlrev_b32_e32 v1, 3, v66
	v_cmp_gt_u32_e64 s2, 32, v0
	v_or_b32_e32 v75, s31, v65
	v_lshlrev_b32_e32 v74, 6, v65
	s_delay_alu instid0(VALU_DEP_4)
	v_lshlrev_b32_e32 v73, 1, v1
	s_waitcnt lgkmcnt(0)
	s_and_saveexec_b32 s7, s2
	s_cbranch_execz .LBB1663_10
; %bb.9:
	s_load_b64 s[20:21], s[0:1], 0x0
	v_lshlrev_b32_e32 v1, 7, v75
	s_mul_hi_i32 s23, s3, s4
	s_mul_i32 s22, s3, s4
	v_lshlrev_b32_e32 v5, 10, v66
	s_lshl_b64 s[22:23], s[22:23], 1
	v_ashrrev_i32_e32 v2, 31, v1
	v_lshlrev_b32_e32 v6, 10, v76
	s_delay_alu instid0(VALU_DEP_3) | instskip(NEXT) | instid1(VALU_DEP_3)
	v_and_b32_e32 v5, 0x3800, v5
	v_lshlrev_b64 v[1:2], 1, v[1:2]
	s_delay_alu instid0(VALU_DEP_2) | instskip(SKIP_3) | instid1(VALU_DEP_2)
	v_or3_b32 v5, v5, v6, v74
	s_waitcnt lgkmcnt(0)
	s_add_u32 s3, s20, s22
	s_addc_u32 s4, s21, s23
	v_add_co_u32 v1, vcc_lo, s3, v1
	v_add_co_ci_u32_e32 v2, vcc_lo, s4, v2, vcc_lo
	s_delay_alu instid0(VALU_DEP_2) | instskip(NEXT) | instid1(VALU_DEP_2)
	v_add_co_u32 v1, vcc_lo, v1, v73
	v_add_co_ci_u32_e32 v2, vcc_lo, 0, v2, vcc_lo
	global_load_b128 v[1:4], v[1:2], off
	s_waitcnt vmcnt(0)
	ds_store_b128 v5, v[1:4]
.LBB1663_10:
	s_or_b32 exec_lo, exec_lo, s7
	v_and_b32_e32 v1, 0xef, v0
	s_add_i32 s3, s18, 31
	s_clause 0x1
	s_load_b32 s4, s[0:1], 0x38
	s_load_b32 s19, s[0:1], 0x1c
	s_ashr_i32 s7, s3, 31
	v_add_nc_u32_e32 v1, s16, v1
	s_lshr_b32 s7, s7, 27
	s_waitcnt lgkmcnt(0)
	s_add_i32 s3, s3, s7
	s_barrier
	v_ashrrev_i32_e32 v2, 31, v1
	v_or_b32_e32 v3, 16, v1
	s_ashr_i32 s3, s3, 5
	v_cmp_gt_i32_e32 vcc_lo, s18, v1
	s_add_i32 s3, s3, -1
	v_lshrrev_b32_e32 v2, 27, v2
	buffer_gl0_inv
	s_mul_i32 s15, s15, s6
	v_lshrrev_b32_e32 v68, 5, v0
	v_lshlrev_b32_e32 v33, 5, v66
	v_add_nc_u32_e32 v4, v1, v2
	s_mul_i32 s20, s30, s4
	s_delay_alu instid0(SALU_CYCLE_1) | instskip(NEXT) | instid1(VALU_DEP_1)
	s_ashr_i32 s21, s20, 31
	v_ashrrev_i32_e32 v4, 5, v4
	v_add_nc_u32_e32 v2, v3, v2
	s_lshl_b64 s[20:21], s[20:21], 2
	v_lshl_or_b32 v33, v68, 9, v33
	s_add_u32 s4, s12, s20
	v_cndmask_b32_e32 v1, s3, v4, vcc_lo
	v_ashrrev_i32_e32 v2, 5, v2
	v_cmp_gt_i32_e32 vcc_lo, s18, v3
	s_addc_u32 s12, s13, s21
	s_ashr_i32 s13, s15, 31
	s_add_u32 s6, s8, s15
	s_addc_u32 s7, s9, s13
	v_cndmask_b32_e32 v3, s3, v2, vcc_lo
	v_ashrrev_i32_e32 v2, 31, v1
	s_lshl_b32 s8, s14, 3
	s_delay_alu instid0(SALU_CYCLE_1) | instskip(NEXT) | instid1(VALU_DEP_2)
	s_ashr_i32 s9, s8, 31
	v_ashrrev_i32_e32 v4, 31, v3
	s_delay_alu instid0(VALU_DEP_2) | instskip(SKIP_1) | instid1(SALU_CYCLE_1)
	v_lshlrev_b64 v[1:2], 2, v[1:2]
	s_lshl_b64 s[8:9], s[8:9], 2
	s_add_u32 s8, s4, s8
	s_delay_alu instid0(VALU_DEP_2) | instskip(SKIP_1) | instid1(VALU_DEP_2)
	v_lshlrev_b64 v[3:4], 2, v[3:4]
	s_addc_u32 s9, s12, s9
	v_add_co_u32 v1, vcc_lo, s4, v1
	v_add_co_ci_u32_e32 v2, vcc_lo, s12, v2, vcc_lo
	s_delay_alu instid0(VALU_DEP_3) | instskip(NEXT) | instid1(VALU_DEP_4)
	v_add_co_u32 v3, vcc_lo, s4, v3
	v_add_co_ci_u32_e32 v4, vcc_lo, s12, v4, vcc_lo
	s_clause 0x1
	global_load_b32 v5, v[1:2], off
	global_load_b32 v6, v[3:4], off
	s_or_b32 s17, s16, 32
	s_delay_alu instid0(SALU_CYCLE_1) | instskip(SKIP_2) | instid1(SALU_CYCLE_1)
	s_ashr_i32 s20, s17, 5
	s_cmp_lt_i32 s17, s18
	s_cselect_b32 s20, s20, s3
	s_ashr_i32 s21, s20, 31
	s_delay_alu instid0(SALU_CYCLE_1) | instskip(NEXT) | instid1(SALU_CYCLE_1)
	s_lshl_b64 s[20:21], s[20:21], 2
	s_add_u32 s20, s4, s20
	s_addc_u32 s21, s12, s21
	s_or_b32 s17, s16, 64
	s_delay_alu instid0(SALU_CYCLE_1) | instskip(SKIP_2) | instid1(SALU_CYCLE_1)
	s_ashr_i32 s22, s17, 5
	s_cmp_lt_i32 s17, s18
	s_cselect_b32 s22, s22, s3
	s_ashr_i32 s23, s22, 31
	s_delay_alu instid0(SALU_CYCLE_1) | instskip(NEXT) | instid1(SALU_CYCLE_1)
	s_lshl_b64 s[22:23], s[22:23], 2
	s_add_u32 s22, s4, s22
	s_addc_u32 s23, s12, s23
	s_or_b32 s17, s16, 0x60
	s_delay_alu instid0(SALU_CYCLE_1) | instskip(SKIP_2) | instid1(SALU_CYCLE_1)
	s_ashr_i32 s24, s17, 5
	s_cmp_lt_i32 s17, s18
	s_cselect_b32 s24, s24, s3
	s_ashr_i32 s25, s24, 31
	s_delay_alu instid0(SALU_CYCLE_1) | instskip(NEXT) | instid1(SALU_CYCLE_1)
	s_lshl_b64 s[24:25], s[24:25], 2
	s_add_u32 s24, s4, s24
	s_addc_u32 s25, s12, s25
	s_or_b32 s17, s16, 0x80
	s_delay_alu instid0(SALU_CYCLE_1) | instskip(SKIP_2) | instid1(SALU_CYCLE_1)
	s_ashr_i32 s26, s17, 5
	s_cmp_lt_i32 s17, s18
	s_cselect_b32 s26, s26, s3
	s_ashr_i32 s27, s26, 31
	s_delay_alu instid0(SALU_CYCLE_1) | instskip(NEXT) | instid1(SALU_CYCLE_1)
	s_lshl_b64 s[26:27], s[26:27], 2
	s_add_u32 s26, s4, s26
	s_addc_u32 s27, s12, s27
	s_or_b32 s17, s16, 0xa0
	s_delay_alu instid0(SALU_CYCLE_1) | instskip(SKIP_2) | instid1(SALU_CYCLE_1)
	s_ashr_i32 s28, s17, 5
	s_cmp_lt_i32 s17, s18
	s_cselect_b32 s28, s28, s3
	s_ashr_i32 s29, s28, 31
	s_delay_alu instid0(SALU_CYCLE_1) | instskip(NEXT) | instid1(SALU_CYCLE_1)
	s_lshl_b64 s[28:29], s[28:29], 2
	s_add_u32 s28, s4, s28
	s_addc_u32 s29, s12, s29
	s_clause 0x5
	s_load_b32 s17, s[8:9], 0x0
	s_load_b32 s33, s[20:21], 0x0
	;; [unrolled: 1-line block ×6, first 2 shown]
	s_mov_b32 s20, 0
	s_delay_alu instid0(SALU_CYCLE_1)
	s_mov_b32 s21, s20
	s_mov_b32 s22, s20
	;; [unrolled: 1-line block ×7, first 2 shown]
	s_delay_alu instid0(SALU_CYCLE_1)
	v_dual_mov_b32 v108, s27 :: v_dual_lshlrev_b32 v137, 6, v76
	v_dual_mov_b32 v102, s21 :: v_dual_mov_b32 v107, s26
	v_dual_mov_b32 v106, s25 :: v_dual_mov_b32 v105, s24
	v_mov_b32_e32 v103, s22
	v_dual_mov_b32 v101, s20 :: v_dual_mov_b32 v104, s23
	s_waitcnt vmcnt(1)
	v_mad_i64_i32 v[1:2], null, v5, s5, s[6:7]
	v_lshlrev_b32_e32 v5, 4, v66
	s_waitcnt vmcnt(0)
	v_mad_i64_i32 v[3:4], null, v6, s5, s[6:7]
	s_or_b32 s6, s16, 0xc0
	s_delay_alu instid0(SALU_CYCLE_1) | instskip(NEXT) | instid1(VALU_DEP_3)
	s_ashr_i32 s7, s6, 5
	v_add_co_u32 v25, vcc_lo, v1, v5
	s_delay_alu instid0(VALU_DEP_4) | instskip(NEXT) | instid1(VALU_DEP_3)
	v_add_co_ci_u32_e32 v26, vcc_lo, 0, v2, vcc_lo
	v_add_co_u32 v27, vcc_lo, v3, v5
	s_delay_alu instid0(VALU_DEP_4)
	v_add_co_ci_u32_e32 v28, vcc_lo, 0, v4, vcc_lo
	s_clause 0xf
	global_load_b128 v[1:4], v[25:26], off
	global_load_b128 v[5:8], v[25:26], off offset:512
	global_load_b128 v[9:12], v[27:28], off offset:256
	;; [unrolled: 1-line block ×15, first 2 shown]
	s_cmp_lt_i32 s6, s18
	ds_load_b128 v[25:28], v137
	ds_load_b128 v[29:32], v137 offset:1024
	s_cselect_b32 s6, s7, s3
	ds_load_b128 v[109:112], v137 offset:2048
	ds_load_b128 v[113:116], v137 offset:3072
	s_ashr_i32 s7, s6, 31
	ds_load_b128 v[117:120], v137 offset:4096
	ds_load_b128 v[121:124], v137 offset:5120
	s_lshl_b64 s[6:7], s[6:7], 2
	s_delay_alu instid0(SALU_CYCLE_1) | instskip(SKIP_2) | instid1(SALU_CYCLE_1)
	s_add_u32 s6, s4, s6
	s_addc_u32 s7, s12, s7
	s_or_b32 s8, s16, 0xe0
	s_ashr_i32 s9, s8, 5
	s_cmp_lt_i32 s8, s18
	s_cselect_b32 s8, s9, s3
	s_delay_alu instid0(SALU_CYCLE_1) | instskip(NEXT) | instid1(SALU_CYCLE_1)
	s_ashr_i32 s9, s8, 31
	s_lshl_b64 s[8:9], s[8:9], 2
	s_delay_alu instid0(SALU_CYCLE_1) | instskip(SKIP_4) | instid1(VALU_DEP_1)
	s_add_u32 s8, s4, s8
	s_addc_u32 s9, s12, s9
	s_add_u32 s3, s10, s15
	s_addc_u32 s4, s11, s13
	v_add_co_u32 v69, s3, s3, v33
	v_add_co_ci_u32_e64 v70, null, s4, 0, s3
	s_clause 0x1
	s_load_b32 s3, s[6:7], 0x0
	s_load_b32 s4, s[8:9], 0x0
	s_waitcnt lgkmcnt(0)
	v_mad_i64_i32 v[33:34], null, s17, s5, v[69:70]
	v_mad_i64_i32 v[71:72], null, s34, s5, v[69:70]
	;; [unrolled: 1-line block ×5, first 2 shown]
	s_clause 0x3
	global_load_b128 v[41:44], v[33:34], off
	global_load_b128 v[45:48], v[33:34], off offset:16
	global_load_b128 v[33:36], v[37:38], off
	global_load_b128 v[37:40], v[37:38], off offset:16
	s_waitcnt vmcnt(18)
	v_wmma_f32_16x16x16_bf16 v[125:132], v[1:8], v[25:32], v[101:108]
	s_waitcnt vmcnt(16)
	v_wmma_f32_16x16x16_bf16 v[101:108], v[9:16], v[25:32], v[101:108]
	v_mad_i64_i32 v[13:14], null, s28, s5, v[69:70]
	s_waitcnt vmcnt(14)
	v_wmma_f32_16x16x16_bf16 v[125:132], v[17:24], v[109:116], v[125:132]
	s_clause 0x1
	global_load_b128 v[25:28], v[71:72], off
	global_load_b128 v[29:32], v[71:72], off offset:16
	s_waitcnt vmcnt(14)
	v_wmma_f32_16x16x16_bf16 v[101:108], v[49:56], v[109:116], v[101:108]
	v_mad_i64_i32 v[49:50], null, s3, s5, v[69:70]
	v_mad_i64_i32 v[53:54], null, s4, s5, v[69:70]
	s_clause 0x5
	global_load_b128 v[17:20], v[133:134], off
	global_load_b128 v[21:24], v[133:134], off offset:16
	global_load_b128 v[1:4], v[135:136], off
	global_load_b128 v[5:8], v[135:136], off offset:16
	;; [unrolled: 2-line block ×3, first 2 shown]
	s_waitcnt vmcnt(18)
	v_wmma_f32_16x16x16_bf16 v[125:132], v[57:64], v[117:124], v[125:132]
	s_clause 0x3
	global_load_b128 v[57:60], v[49:50], off
	global_load_b128 v[61:64], v[49:50], off offset:16
	global_load_b128 v[49:52], v[53:54], off
	global_load_b128 v[53:56], v[53:54], off offset:16
	s_waitcnt vmcnt(20)
	v_wmma_f32_16x16x16_bf16 v[101:108], v[77:84], v[117:124], v[101:108]
	ds_load_b128 v[77:80], v137 offset:6144
	ds_load_b128 v[81:84], v137 offset:7168
	v_mbcnt_lo_u32_b32 v70, -1, 0
	s_waitcnt vmcnt(0) lgkmcnt(0)
	s_barrier
	buffer_gl0_inv
	v_xor_b32_e32 v71, 16, v70
	s_delay_alu instid0(VALU_DEP_1) | instskip(SKIP_4) | instid1(VALU_DEP_2)
	v_cmp_gt_i32_e32 vcc_lo, 32, v71
	v_cndmask_b32_e32 v70, v70, v71, vcc_lo
	v_wmma_f32_16x16x16_bf16 v[125:132], v[85:92], v[77:84], v[125:132]
	v_and_b32_e32 v69, 0xe0, v0
	v_wmma_f32_16x16x16_bf16 v[101:108], v[93:100], v[77:84], v[101:108]
	v_dual_mul_f32 v94, s19, v131 :: v_dual_add_nc_u32 v69, s16, v69
	s_delay_alu instid0(VALU_DEP_2) | instskip(SKIP_1) | instid1(VALU_DEP_4)
	v_mul_f32_e32 v98, s19, v103
	v_dual_mul_f32 v80, s19, v126 :: v_dual_mul_f32 v81, s19, v128
	v_mul_f32_e32 v96, s19, v101
	s_delay_alu instid0(VALU_DEP_4) | instskip(SKIP_3) | instid1(VALU_DEP_4)
	v_or_b32_e32 v69, v69, v65
	v_dual_mul_f32 v82, s19, v127 :: v_dual_mul_f32 v83, s19, v130
	v_mul_f32_e32 v100, s19, v105
	v_mul_f32_e32 v84, s19, v129
	v_or_b32_e32 v71, 2, v69
	v_or_b32_e32 v72, 4, v69
	;; [unrolled: 1-line block ×3, first 2 shown]
	v_cmp_gt_i32_e64 s3, s18, v69
	v_or_b32_e32 v110, 8, v69
	v_cmp_gt_i32_e32 vcc_lo, s18, v71
	v_mul_f32_e32 v71, s19, v125
	v_or_b32_e32 v85, 10, v69
	v_or_b32_e32 v91, 22, v69
	v_cmp_gt_i32_e64 s4, s18, v72
	v_mul_f32_e32 v72, s19, v107
	v_cndmask_b32_e64 v71, 0xff7fffff, v71, s3
	v_cndmask_b32_e32 v80, 0xff7fffff, v80, vcc_lo
	v_cmp_gt_i32_e64 s5, s18, v109
	v_or_b32_e32 v86, 12, v69
	v_or_b32_e32 v87, 14, v69
	v_cndmask_b32_e64 v82, 0xff7fffff, v82, s4
	v_cmp_gt_i32_e64 s6, s18, v110
	v_cndmask_b32_e64 v81, 0xff7fffff, v81, s5
	v_cmp_gt_i32_e64 s7, s18, v85
	v_cmp_gt_i32_e64 s13, s18, v91
	v_lshlrev_b32_e32 v91, 2, v70
	v_max3_f32 v71, v71, 0xff7fffff, v80
	v_or_b32_e32 v88, 16, v69
	v_or_b32_e32 v89, 18, v69
	v_mul_f32_e32 v93, s19, v132
	v_cndmask_b32_e64 v80, 0xff7fffff, v84, s6
	v_cndmask_b32_e64 v83, 0xff7fffff, v83, s7
	v_max3_f32 v71, v71, v82, v81
	v_cmp_gt_i32_e64 s8, s18, v86
	v_cmp_gt_i32_e64 s9, s18, v87
	v_or_b32_e32 v90, 20, v69
	v_mul_f32_e32 v95, s19, v102
	v_max3_f32 v71, v71, v80, v83
	v_cndmask_b32_e64 v81, 0xff7fffff, v94, s8
	v_cndmask_b32_e64 v82, 0xff7fffff, v93, s9
	v_cmp_gt_i32_e64 s10, s18, v88
	v_cmp_gt_i32_e64 s11, s18, v89
	v_or_b32_e32 v92, 24, v69
	v_or_b32_e32 v77, 26, v69
	v_mul_f32_e32 v97, s19, v104
	v_cndmask_b32_e64 v80, 0xff7fffff, v96, s10
	v_cndmask_b32_e64 v83, 0xff7fffff, v95, s11
	v_max3_f32 v71, v71, v81, v82
	v_cmp_gt_i32_e64 s12, s18, v90
	v_or_b32_e32 v78, 28, v69
	v_or_b32_e32 v79, 30, v69
	v_mul_f32_e32 v99, s19, v106
	v_cndmask_b32_e64 v82, 0xff7fffff, v97, s13
	v_cndmask_b32_e64 v81, 0xff7fffff, v98, s12
	v_max3_f32 v71, v71, v80, v83
	v_cmp_gt_i32_e64 s15, s18, v92
	v_cmp_gt_i32_e64 s16, s18, v77
	v_mul_f32_e32 v69, s19, v108
	v_cmp_gt_i32_e64 s17, s18, v78
	v_max3_f32 v71, v71, v81, v82
	v_cndmask_b32_e64 v80, 0xff7fffff, v100, s15
	v_cndmask_b32_e64 v77, 0xff7fffff, v99, s16
	v_cmp_gt_i32_e64 s18, s18, v79
	v_cndmask_b32_e64 v72, 0xff7fffff, v72, s17
	s_delay_alu instid0(VALU_DEP_3) | instskip(NEXT) | instid1(VALU_DEP_3)
	v_max3_f32 v71, v71, v80, v77
	v_cndmask_b32_e64 v69, 0xff7fffff, v69, s18
	s_delay_alu instid0(VALU_DEP_1) | instskip(SKIP_3) | instid1(VALU_DEP_1)
	v_max3_f32 v69, v71, v72, v69
	ds_bpermute_b32 v70, v91, v69
	s_waitcnt lgkmcnt(0)
	v_max_f32_e32 v70, v70, v70
	v_max_f32_e32 v69, v69, v70
	s_delay_alu instid0(VALU_DEP_1) | instskip(NEXT) | instid1(VALU_DEP_1)
	v_fma_f32 v72, s19, v127, -v69
	v_mul_f32_e32 v72, 0x3fb8aa3b, v72
	s_delay_alu instid0(VALU_DEP_1) | instskip(SKIP_3) | instid1(VALU_DEP_1)
	v_exp_f32_e32 v72, v72
	s_waitcnt_depctr 0xfff
	v_cndmask_b32_e64 v85, 0, v72, s4
	v_fma_f32 v72, s19, v132, -v69
	v_mul_f32_e32 v72, 0x3fb8aa3b, v72
	v_fma_f32 v70, s19, v125, -v69
	v_fma_f32 v78, s19, v129, -v69
	v_fma_f32 v71, s19, v126, -v69
	v_fma_f32 v80, s19, v131, -v69
	v_fma_f32 v77, s19, v128, -v69
	v_mul_f32_e32 v70, 0x3fb8aa3b, v70
	v_mul_f32_e32 v78, 0x3fb8aa3b, v78
	v_exp_f32_e32 v72, v72
	v_mul_f32_e32 v80, 0x3fb8aa3b, v80
	v_fma_f32 v83, s19, v106, -v69
	v_exp_f32_e32 v70, v70
	v_exp_f32_e32 v78, v78
	s_delay_alu instid0(VALU_DEP_2) | instskip(SKIP_2) | instid1(TRANS32_DEP_3)
	v_exp_f32_e32 v80, v80
	v_cndmask_b32_e64 v90, 0, v72, s9
	v_fma_f32 v72, s19, v105, -v69
	v_cndmask_b32_e64 v81, 0, v70, s3
	v_fma_f32 v70, s19, v130, -v69
	v_mul_f32_e32 v71, 0x3fb8aa3b, v71
	s_delay_alu instid0(TRANS32_DEP_2) | instskip(SKIP_1) | instid1(VALU_DEP_4)
	v_cndmask_b32_e64 v88, 0, v78, s6
	v_fma_f32 v78, s19, v102, -v69
	v_dual_mul_f32 v77, 0x3fb8aa3b, v77 :: v_dual_mul_f32 v70, 0x3fb8aa3b, v70
	s_delay_alu instid0(VALU_DEP_4) | instskip(SKIP_1) | instid1(VALU_DEP_3)
	v_exp_f32_e32 v71, v71
	v_cndmask_b32_e64 v86, 0, v80, s8
	v_mul_f32_e32 v78, 0x3fb8aa3b, v78
	s_delay_alu instid0(VALU_DEP_3)
	v_exp_f32_e32 v79, v77
	v_exp_f32_e32 v70, v70
	v_fma_f32 v80, s19, v104, -v69
	v_mul_f32_e32 v72, 0x3fb8aa3b, v72
	v_exp_f32_e32 v78, v78
	s_mov_b32 s3, exec_lo
	s_delay_alu instid0(VALU_DEP_2) | instskip(NEXT) | instid1(VALU_DEP_2)
	v_mul_f32_e32 v80, 0x3fb8aa3b, v80
	v_exp_f32_e32 v84, v72
	v_cndmask_b32_e64 v87, 0, v79, s5
	s_delay_alu instid0(TRANS32_DEP_3) | instskip(SKIP_4) | instid1(VALU_DEP_2)
	v_cndmask_b32_e64 v89, 0, v70, s7
	v_cndmask_b32_e32 v77, 0, v71, vcc_lo
	v_add_f32_e32 v71, 0, v81
	v_fma_f32 v79, s19, v101, -v69
	v_exp_f32_e32 v80, v80
	v_add_f32_e32 v71, v71, v77
	s_delay_alu instid0(VALU_DEP_1) | instskip(NEXT) | instid1(VALU_DEP_1)
	v_add_f32_e32 v71, v71, v85
	v_add_f32_e32 v71, v71, v87
	s_delay_alu instid0(VALU_DEP_1) | instskip(SKIP_1) | instid1(VALU_DEP_1)
	v_add_f32_e32 v70, v71, v88
	v_fma_f32 v71, s19, v103, -v69
	v_dual_add_f32 v70, v70, v89 :: v_dual_mul_f32 v71, 0x3fb8aa3b, v71
	s_delay_alu instid0(VALU_DEP_1) | instskip(NEXT) | instid1(VALU_DEP_2)
	v_add_f32_e32 v70, v70, v86
	v_exp_f32_e32 v82, v71
	s_waitcnt_depctr 0xfff
	v_cndmask_b32_e64 v72, 0, v82, s12
	v_mul_f32_e32 v79, 0x3fb8aa3b, v79
	s_delay_alu instid0(VALU_DEP_1) | instskip(SKIP_4) | instid1(VALU_DEP_2)
	v_exp_f32_e32 v79, v79
	s_waitcnt_depctr 0xfff
	v_cndmask_b32_e64 v71, 0, v79, s10
	v_add_f32_e32 v79, v70, v90
	v_cndmask_b32_e64 v70, 0, v78, s11
	v_add_f32_e32 v78, v79, v71
	v_fma_f32 v79, s19, v107, -v69
	s_delay_alu instid0(VALU_DEP_2) | instskip(SKIP_1) | instid1(VALU_DEP_2)
	v_add_f32_e32 v82, v78, v70
	v_cndmask_b32_e64 v78, 0, v80, s13
	v_dual_mul_f32 v79, 0x3fb8aa3b, v79 :: v_dual_add_f32 v80, v82, v72
	v_fma_f32 v82, s19, v108, -v69
	v_mul_f32_e32 v83, 0x3fb8aa3b, v83
	s_delay_alu instid0(VALU_DEP_3)
	v_exp_f32_e32 v92, v79
	v_cndmask_b32_e64 v79, 0, v84, s15
	v_add_f32_e32 v84, v80, v78
	v_mul_f32_e32 v82, 0x3fb8aa3b, v82
	v_exp_f32_e32 v83, v83
	s_waitcnt_depctr 0xfff
	v_cndmask_b32_e64 v80, 0, v83, s16
	v_add_f32_e32 v83, v84, v79
	v_exp_f32_e32 v84, v82
	v_cndmask_b32_e64 v82, 0, v92, s17
	s_delay_alu instid0(VALU_DEP_2) | instskip(NEXT) | instid1(VALU_DEP_1)
	v_add_f32_e32 v83, v83, v80
	v_add_f32_e32 v92, v83, v82
	s_waitcnt_depctr 0xfff
	v_cndmask_b32_e64 v83, 0, v84, s18
	s_delay_alu instid0(VALU_DEP_1)
	v_add_f32_e32 v84, v92, v83
	ds_bpermute_b32 v91, v91, v84
	v_cmpx_gt_u32_e32 16, v67
	s_cbranch_execz .LBB1663_12
; %bb.11:
	v_mul_u32_u24_e32 v67, 0x44, v68
	s_waitcnt lgkmcnt(0)
	v_add_f32_e32 v84, v84, v91
	s_delay_alu instid0(VALU_DEP_2) | instskip(NEXT) | instid1(VALU_DEP_1)
	v_lshl_add_u32 v67, v66, 2, v67
	v_add_nc_u32_e32 v67, 0x4000, v67
	ds_store_2addr_b32 v67, v69, v84 offset1:136
.LBB1663_12:
	s_or_b32 exec_lo, exec_lo, s3
	v_lshlrev_b32_e32 v67, 2, v66
	s_waitcnt lgkmcnt(0)
	s_barrier
	buffer_gl0_inv
	v_cmp_eq_u32_e32 vcc_lo, 1, v68
	v_add_nc_u32_e32 v84, 0x4000, v67
	v_cmp_eq_u32_e64 s3, 2, v68
	v_cmp_eq_u32_e64 s5, 7, v68
	ds_load_2addr_b32 v[91:92], v84 offset1:17
	ds_load_2addr_b32 v[93:94], v84 offset0:34 offset1:51
	ds_load_2addr_b32 v[95:96], v84 offset0:68 offset1:85
	;; [unrolled: 1-line block ×4, first 2 shown]
	s_waitcnt lgkmcnt(4)
	v_max3_f32 v67, v91, 0xff7fffff, v92
	s_waitcnt lgkmcnt(3)
	s_delay_alu instid0(VALU_DEP_1) | instskip(SKIP_1) | instid1(VALU_DEP_1)
	v_max3_f32 v67, v67, v93, v94
	s_waitcnt lgkmcnt(2)
	v_max3_f32 v67, v67, v95, v96
	s_waitcnt lgkmcnt(1)
	s_delay_alu instid0(VALU_DEP_1) | instskip(NEXT) | instid1(VALU_DEP_1)
	v_max3_f32 v67, v67, v97, v98
	v_sub_f32_e32 v69, v91, v67
	v_sub_f32_e32 v101, v92, v67
	v_sub_f32_e32 v93, v93, v67
	v_sub_f32_e32 v95, v95, v67
	s_delay_alu instid0(VALU_DEP_4) | instskip(NEXT) | instid1(VALU_DEP_4)
	v_mul_f32_e32 v69, 0x3fb8aa3b, v69
	v_mul_f32_e32 v101, 0x3fb8aa3b, v101
	s_delay_alu instid0(VALU_DEP_4) | instskip(NEXT) | instid1(VALU_DEP_4)
	v_mul_f32_e32 v103, 0x3fb8aa3b, v93
	v_mul_f32_e32 v105, 0x3fb8aa3b, v95
	s_delay_alu instid0(VALU_DEP_4) | instskip(SKIP_3) | instid1(VALU_DEP_1)
	v_exp_f32_e32 v102, v69
	v_sub_f32_e32 v69, v94, v67
	v_exp_f32_e32 v101, v101
	v_exp_f32_e32 v103, v103
	v_mul_f32_e32 v104, 0x3fb8aa3b, v69
	s_waitcnt lgkmcnt(0)
	s_delay_alu instid0(TRANS32_DEP_3) | instskip(SKIP_1) | instid1(VALU_DEP_3)
	v_fma_f32 v69, v102, v99, 0
	v_sub_f32_e32 v99, v96, v67
	v_exp_f32_e32 v104, v104
	s_delay_alu instid0(TRANS32_DEP_3) | instid1(VALU_DEP_2)
	v_fmac_f32_e32 v69, v101, v100
	ds_load_2addr_b32 v[91:92], v84 offset0:170 offset1:187
	ds_load_2addr_b32 v[93:94], v84 offset0:204 offset1:221
	ds_load_2addr_b32 v[95:96], v84 offset0:238 offset1:255
	v_sub_f32_e32 v84, v97, v67
	v_mul_f32_e32 v97, 0x3fb8aa3b, v99
	v_exp_f32_e32 v99, v105
	s_waitcnt lgkmcnt(0)
	s_barrier
	v_mul_f32_e32 v84, 0x3fb8aa3b, v84
	v_exp_f32_e32 v97, v97
	buffer_gl0_inv
	v_exp_f32_e32 v84, v84
	v_fmac_f32_e32 v69, v103, v91
	v_sub_f32_e32 v91, v98, v67
	s_delay_alu instid0(VALU_DEP_2) | instskip(NEXT) | instid1(VALU_DEP_2)
	v_fmac_f32_e32 v69, v104, v92
	v_mul_f32_e32 v91, 0x3fb8aa3b, v91
	s_delay_alu instid0(VALU_DEP_2) | instskip(NEXT) | instid1(VALU_DEP_2)
	v_fmac_f32_e32 v69, v99, v93
	v_exp_f32_e32 v91, v91
	s_delay_alu instid0(VALU_DEP_1)
	v_fmac_f32_e32 v69, v97, v94
	s_delay_alu instid0(TRANS32_DEP_2) | instid1(VALU_DEP_1)
	v_fmac_f32_e32 v69, v84, v95
	s_waitcnt_depctr 0xfff
	v_fmac_f32_e32 v69, v91, v96
	s_delay_alu instid0(VALU_DEP_1) | instskip(NEXT) | instid1(VALU_DEP_1)
	v_add_f32_e32 v92, 0x358637bd, v69
	v_div_scale_f32 v93, null, v92, v92, 1.0
	v_div_scale_f32 v96, s4, 1.0, v92, 1.0
	s_delay_alu instid0(VALU_DEP_2) | instskip(SKIP_2) | instid1(VALU_DEP_1)
	v_rcp_f32_e32 v94, v93
	s_waitcnt_depctr 0xfff
	v_fma_f32 v95, -v93, v94, 1.0
	v_dual_fmac_f32 v94, v95, v94 :: v_dual_cndmask_b32 v95, v102, v101
	v_cmp_eq_u32_e32 vcc_lo, 3, v68
	s_delay_alu instid0(VALU_DEP_2) | instskip(NEXT) | instid1(VALU_DEP_3)
	v_mul_f32_e32 v98, v96, v94
	v_cndmask_b32_e64 v95, v95, v103, s3
	v_cmp_eq_u32_e64 s3, 4, v68
	s_delay_alu instid0(VALU_DEP_3) | instskip(NEXT) | instid1(VALU_DEP_3)
	v_fma_f32 v100, -v93, v98, v96
	v_cndmask_b32_e32 v95, v95, v104, vcc_lo
	v_cmp_eq_u32_e32 vcc_lo, 5, v68
	s_delay_alu instid0(VALU_DEP_3) | instskip(NEXT) | instid1(VALU_DEP_3)
	v_fmac_f32_e32 v98, v100, v94
	v_cndmask_b32_e64 v95, v95, v99, s3
	v_cmp_eq_u32_e64 s3, 6, v68
	s_delay_alu instid0(VALU_DEP_3) | instskip(NEXT) | instid1(VALU_DEP_3)
	v_fma_f32 v93, -v93, v98, v96
	v_cndmask_b32_e32 v95, v95, v97, vcc_lo
	s_mov_b32 vcc_lo, s4
	s_delay_alu instid0(VALU_DEP_2) | instskip(NEXT) | instid1(VALU_DEP_2)
	v_div_fmas_f32 v93, v93, v94, v98
	v_cndmask_b32_e64 v84, v95, v84, s3
	s_mov_b32 s3, exec_lo
	s_delay_alu instid0(VALU_DEP_2) | instskip(NEXT) | instid1(VALU_DEP_2)
	v_div_fixup_f32 v92, v93, v92, 1.0
	v_cndmask_b32_e64 v84, v84, v91, s5
	s_delay_alu instid0(VALU_DEP_1) | instskip(NEXT) | instid1(VALU_DEP_1)
	v_mul_f32_e32 v84, v84, v92
	v_mul_f32_e32 v92, v84, v81
	;; [unrolled: 1-line block ×6, first 2 shown]
	v_dual_mul_f32 v88, v84, v85 :: v_dual_and_b32 v93, 0x7f800000, v92
	v_mul_f32_e32 v91, v84, v87
	v_mul_f32_e32 v87, v84, v77
                                        ; implicit-def: $vgpr77
	s_delay_alu instid0(VALU_DEP_3)
	v_cmpx_ne_u32_e32 0x7f800000, v93
	s_xor_b32 s3, exec_lo, s3
; %bb.13:
	v_bfe_u32 v77, v92, 16, 1
	s_delay_alu instid0(VALU_DEP_1)
	v_add3_u32 v77, v92, v77, 0x7fff
                                        ; implicit-def: $vgpr92
; %bb.14:
	s_and_not1_saveexec_b32 s3, s3
; %bb.15:
	v_and_b32_e32 v77, 0xffff, v92
	v_or_b32_e32 v85, 0x10000, v92
	s_delay_alu instid0(VALU_DEP_2) | instskip(NEXT) | instid1(VALU_DEP_2)
	v_cmp_eq_u32_e32 vcc_lo, 0, v77
	v_cndmask_b32_e32 v77, v85, v92, vcc_lo
; %bb.16:
	s_or_b32 exec_lo, exec_lo, s3
	v_and_b32_e32 v85, 0x7f800000, v87
	s_delay_alu instid0(VALU_DEP_1) | instskip(SKIP_1) | instid1(SALU_CYCLE_1)
	v_cmp_ne_u32_e32 vcc_lo, 0x7f800000, v85
                                        ; implicit-def: $vgpr85
	s_and_saveexec_b32 s3, vcc_lo
	s_xor_b32 s3, exec_lo, s3
; %bb.17:
	v_bfe_u32 v85, v87, 16, 1
	s_delay_alu instid0(VALU_DEP_1)
	v_add3_u32 v85, v87, v85, 0x7fff
                                        ; implicit-def: $vgpr87
; %bb.18:
	s_and_not1_saveexec_b32 s3, s3
; %bb.19:
	v_and_b32_e32 v85, 0xffff, v87
	v_or_b32_e32 v92, 0x10000, v87
	s_delay_alu instid0(VALU_DEP_2) | instskip(NEXT) | instid1(VALU_DEP_2)
	v_cmp_eq_u32_e32 vcc_lo, 0, v85
	v_cndmask_b32_e32 v85, v92, v87, vcc_lo
; %bb.20:
	s_or_b32 exec_lo, exec_lo, s3
	v_and_b32_e32 v87, 0x7f800000, v88
	s_delay_alu instid0(VALU_DEP_1) | instskip(SKIP_1) | instid1(SALU_CYCLE_1)
	v_cmp_ne_u32_e32 vcc_lo, 0x7f800000, v87
                                        ; implicit-def: $vgpr87
	s_and_saveexec_b32 s3, vcc_lo
	s_xor_b32 s3, exec_lo, s3
; %bb.21:
	v_bfe_u32 v87, v88, 16, 1
	s_delay_alu instid0(VALU_DEP_1)
	v_add3_u32 v87, v88, v87, 0x7fff
                                        ; implicit-def: $vgpr88
; %bb.22:
	s_and_not1_saveexec_b32 s3, s3
; %bb.23:
	v_and_b32_e32 v87, 0xffff, v88
	v_or_b32_e32 v92, 0x10000, v88
	s_delay_alu instid0(VALU_DEP_2) | instskip(NEXT) | instid1(VALU_DEP_2)
	v_cmp_eq_u32_e32 vcc_lo, 0, v87
	v_cndmask_b32_e32 v87, v92, v88, vcc_lo
; %bb.24:
	s_or_b32 exec_lo, exec_lo, s3
	v_and_b32_e32 v88, 0x7f800000, v91
	s_delay_alu instid0(VALU_DEP_1) | instskip(SKIP_1) | instid1(SALU_CYCLE_1)
	v_cmp_ne_u32_e32 vcc_lo, 0x7f800000, v88
                                        ; implicit-def: $vgpr88
	s_and_saveexec_b32 s3, vcc_lo
	s_xor_b32 s3, exec_lo, s3
; %bb.25:
	v_bfe_u32 v88, v91, 16, 1
	s_delay_alu instid0(VALU_DEP_1)
	v_add3_u32 v88, v91, v88, 0x7fff
                                        ; implicit-def: $vgpr91
; %bb.26:
	s_and_not1_saveexec_b32 s3, s3
; %bb.27:
	v_and_b32_e32 v88, 0xffff, v91
	v_or_b32_e32 v92, 0x10000, v91
	s_delay_alu instid0(VALU_DEP_2) | instskip(NEXT) | instid1(VALU_DEP_2)
	v_cmp_eq_u32_e32 vcc_lo, 0, v88
	v_cndmask_b32_e32 v88, v92, v91, vcc_lo
; %bb.28:
	s_or_b32 exec_lo, exec_lo, s3
	v_and_b32_e32 v91, 0x7f800000, v90
	s_delay_alu instid0(VALU_DEP_1) | instskip(SKIP_1) | instid1(SALU_CYCLE_1)
	v_cmp_ne_u32_e32 vcc_lo, 0x7f800000, v91
                                        ; implicit-def: $vgpr91
	s_and_saveexec_b32 s3, vcc_lo
	s_xor_b32 s3, exec_lo, s3
; %bb.29:
	v_bfe_u32 v91, v90, 16, 1
	s_delay_alu instid0(VALU_DEP_1)
	v_add3_u32 v91, v90, v91, 0x7fff
                                        ; implicit-def: $vgpr90
; %bb.30:
	s_and_not1_saveexec_b32 s3, s3
; %bb.31:
	v_and_b32_e32 v91, 0xffff, v90
	v_or_b32_e32 v92, 0x10000, v90
	s_delay_alu instid0(VALU_DEP_2) | instskip(NEXT) | instid1(VALU_DEP_2)
	v_cmp_eq_u32_e32 vcc_lo, 0, v91
	v_cndmask_b32_e32 v91, v92, v90, vcc_lo
; %bb.32:
	s_or_b32 exec_lo, exec_lo, s3
	v_and_b32_e32 v90, 0x7f800000, v89
	s_delay_alu instid0(VALU_DEP_1) | instskip(SKIP_1) | instid1(SALU_CYCLE_1)
	v_cmp_ne_u32_e32 vcc_lo, 0x7f800000, v90
                                        ; implicit-def: $vgpr90
	s_and_saveexec_b32 s3, vcc_lo
	s_xor_b32 s3, exec_lo, s3
; %bb.33:
	v_bfe_u32 v90, v89, 16, 1
	s_delay_alu instid0(VALU_DEP_1)
	v_add3_u32 v90, v89, v90, 0x7fff
                                        ; implicit-def: $vgpr89
; %bb.34:
	s_and_not1_saveexec_b32 s3, s3
; %bb.35:
	v_and_b32_e32 v90, 0xffff, v89
	v_or_b32_e32 v92, 0x10000, v89
	s_delay_alu instid0(VALU_DEP_2) | instskip(NEXT) | instid1(VALU_DEP_2)
	v_cmp_eq_u32_e32 vcc_lo, 0, v90
	v_cndmask_b32_e32 v90, v92, v89, vcc_lo
; %bb.36:
	s_or_b32 exec_lo, exec_lo, s3
	v_and_b32_e32 v89, 0x7f800000, v86
	s_delay_alu instid0(VALU_DEP_1) | instskip(SKIP_1) | instid1(SALU_CYCLE_1)
	v_cmp_ne_u32_e32 vcc_lo, 0x7f800000, v89
                                        ; implicit-def: $vgpr89
	s_and_saveexec_b32 s3, vcc_lo
	s_xor_b32 s3, exec_lo, s3
; %bb.37:
	v_bfe_u32 v89, v86, 16, 1
	s_delay_alu instid0(VALU_DEP_1)
	v_add3_u32 v89, v86, v89, 0x7fff
                                        ; implicit-def: $vgpr86
; %bb.38:
	s_and_not1_saveexec_b32 s3, s3
; %bb.39:
	v_and_b32_e32 v89, 0xffff, v86
	v_or_b32_e32 v92, 0x10000, v86
	s_delay_alu instid0(VALU_DEP_2) | instskip(NEXT) | instid1(VALU_DEP_2)
	v_cmp_eq_u32_e32 vcc_lo, 0, v89
	v_cndmask_b32_e32 v89, v92, v86, vcc_lo
; %bb.40:
	s_or_b32 exec_lo, exec_lo, s3
	v_and_b32_e32 v86, 0x7f800000, v81
	s_delay_alu instid0(VALU_DEP_1) | instskip(SKIP_1) | instid1(SALU_CYCLE_1)
	v_cmp_ne_u32_e32 vcc_lo, 0x7f800000, v86
                                        ; implicit-def: $vgpr86
	s_and_saveexec_b32 s3, vcc_lo
	s_xor_b32 s3, exec_lo, s3
; %bb.41:
	v_bfe_u32 v86, v81, 16, 1
	s_delay_alu instid0(VALU_DEP_1)
	v_add3_u32 v86, v81, v86, 0x7fff
                                        ; implicit-def: $vgpr81
; %bb.42:
	s_and_not1_saveexec_b32 s3, s3
; %bb.43:
	v_and_b32_e32 v86, 0xffff, v81
	v_or_b32_e32 v92, 0x10000, v81
	s_delay_alu instid0(VALU_DEP_2) | instskip(NEXT) | instid1(VALU_DEP_2)
	v_cmp_eq_u32_e32 vcc_lo, 0, v86
	v_cndmask_b32_e32 v86, v92, v81, vcc_lo
; %bb.44:
	s_or_b32 exec_lo, exec_lo, s3
	s_load_b64 s[34:35], s[0:1], 0x94
	v_lshlrev_b32_e32 v93, 4, v65
	s_delay_alu instid0(VALU_DEP_2)
	v_perm_b32 v92, v86, v89, 0x7060302
	v_dual_mul_f32 v80, v84, v80 :: v_dual_lshlrev_b32 v81, 6, v66
	v_lshlrev_b32_e32 v66, 11, v68
	v_perm_b32 v89, v85, v77, 0x7060302
	v_mul_f32_e32 v85, v84, v71
	v_perm_b32 v91, v90, v91, 0x7060302
	v_perm_b32 v90, v88, v87, 0x7060302
	v_or3_b32 v77, v93, v66, v81
	v_mul_f32_e32 v66, v84, v83
	v_dual_mul_f32 v71, v84, v82 :: v_dual_and_b32 v86, 0x7f800000, v85
	v_mul_f32_e32 v79, v84, v79
	v_mul_f32_e32 v83, v84, v78
	;; [unrolled: 1-line block ×4, first 2 shown]
	s_mov_b32 s3, exec_lo
	ds_store_b128 v77, v[89:92]
                                        ; implicit-def: $vgpr70
	v_cmpx_ne_u32_e32 0x7f800000, v86
	s_xor_b32 s3, exec_lo, s3
; %bb.45:
	v_bfe_u32 v70, v85, 16, 1
	s_delay_alu instid0(VALU_DEP_1)
	v_add3_u32 v70, v85, v70, 0x7fff
                                        ; implicit-def: $vgpr85
; %bb.46:
	s_and_not1_saveexec_b32 s3, s3
; %bb.47:
	v_and_b32_e32 v70, 0xffff, v85
	v_or_b32_e32 v72, 0x10000, v85
	s_delay_alu instid0(VALU_DEP_2) | instskip(NEXT) | instid1(VALU_DEP_2)
	v_cmp_eq_u32_e32 vcc_lo, 0, v70
	v_cndmask_b32_e32 v70, v72, v85, vcc_lo
; %bb.48:
	s_or_b32 exec_lo, exec_lo, s3
	v_and_b32_e32 v72, 0x7f800000, v78
	s_delay_alu instid0(VALU_DEP_1) | instskip(SKIP_1) | instid1(SALU_CYCLE_1)
	v_cmp_ne_u32_e32 vcc_lo, 0x7f800000, v72
                                        ; implicit-def: $vgpr72
	s_and_saveexec_b32 s3, vcc_lo
	s_xor_b32 s3, exec_lo, s3
; %bb.49:
	v_bfe_u32 v72, v78, 16, 1
	s_delay_alu instid0(VALU_DEP_1)
	v_add3_u32 v72, v78, v72, 0x7fff
                                        ; implicit-def: $vgpr78
; %bb.50:
	s_and_not1_saveexec_b32 s3, s3
; %bb.51:
	v_and_b32_e32 v72, 0xffff, v78
	v_or_b32_e32 v84, 0x10000, v78
	s_delay_alu instid0(VALU_DEP_2) | instskip(NEXT) | instid1(VALU_DEP_2)
	v_cmp_eq_u32_e32 vcc_lo, 0, v72
	v_cndmask_b32_e32 v72, v84, v78, vcc_lo
; %bb.52:
	s_or_b32 exec_lo, exec_lo, s3
	v_and_b32_e32 v78, 0x7f800000, v82
	s_delay_alu instid0(VALU_DEP_1) | instskip(SKIP_1) | instid1(SALU_CYCLE_1)
	v_cmp_ne_u32_e32 vcc_lo, 0x7f800000, v78
                                        ; implicit-def: $vgpr78
	s_and_saveexec_b32 s3, vcc_lo
	s_xor_b32 s3, exec_lo, s3
; %bb.53:
	v_bfe_u32 v78, v82, 16, 1
	s_delay_alu instid0(VALU_DEP_1)
	v_add3_u32 v78, v82, v78, 0x7fff
                                        ; implicit-def: $vgpr82
; %bb.54:
	s_and_not1_saveexec_b32 s3, s3
; %bb.55:
	v_and_b32_e32 v78, 0xffff, v82
	v_or_b32_e32 v84, 0x10000, v82
	s_delay_alu instid0(VALU_DEP_2) | instskip(NEXT) | instid1(VALU_DEP_2)
	v_cmp_eq_u32_e32 vcc_lo, 0, v78
	v_cndmask_b32_e32 v78, v84, v82, vcc_lo
; %bb.56:
	s_or_b32 exec_lo, exec_lo, s3
	v_and_b32_e32 v82, 0x7f800000, v83
	s_delay_alu instid0(VALU_DEP_1) | instskip(SKIP_1) | instid1(SALU_CYCLE_1)
	v_cmp_ne_u32_e32 vcc_lo, 0x7f800000, v82
                                        ; implicit-def: $vgpr82
	s_and_saveexec_b32 s3, vcc_lo
	s_xor_b32 s3, exec_lo, s3
; %bb.57:
	v_bfe_u32 v82, v83, 16, 1
	s_delay_alu instid0(VALU_DEP_1)
	v_add3_u32 v82, v83, v82, 0x7fff
                                        ; implicit-def: $vgpr83
; %bb.58:
	s_and_not1_saveexec_b32 s3, s3
; %bb.59:
	v_and_b32_e32 v82, 0xffff, v83
	v_or_b32_e32 v84, 0x10000, v83
	s_delay_alu instid0(VALU_DEP_2) | instskip(NEXT) | instid1(VALU_DEP_2)
	v_cmp_eq_u32_e32 vcc_lo, 0, v82
	v_cndmask_b32_e32 v82, v84, v83, vcc_lo
; %bb.60:
	s_or_b32 exec_lo, exec_lo, s3
	v_and_b32_e32 v83, 0x7f800000, v79
	s_delay_alu instid0(VALU_DEP_1) | instskip(SKIP_1) | instid1(SALU_CYCLE_1)
	v_cmp_ne_u32_e32 vcc_lo, 0x7f800000, v83
                                        ; implicit-def: $vgpr83
	s_and_saveexec_b32 s3, vcc_lo
	s_xor_b32 s3, exec_lo, s3
; %bb.61:
	v_bfe_u32 v83, v79, 16, 1
	s_delay_alu instid0(VALU_DEP_1)
	v_add3_u32 v83, v79, v83, 0x7fff
                                        ; implicit-def: $vgpr79
; %bb.62:
	s_and_not1_saveexec_b32 s3, s3
; %bb.63:
	v_and_b32_e32 v83, 0xffff, v79
	v_or_b32_e32 v84, 0x10000, v79
	s_delay_alu instid0(VALU_DEP_2) | instskip(NEXT) | instid1(VALU_DEP_2)
	v_cmp_eq_u32_e32 vcc_lo, 0, v83
	v_cndmask_b32_e32 v83, v84, v79, vcc_lo
; %bb.64:
	s_or_b32 exec_lo, exec_lo, s3
	v_and_b32_e32 v79, 0x7f800000, v80
	s_delay_alu instid0(VALU_DEP_1) | instskip(SKIP_1) | instid1(SALU_CYCLE_1)
	v_cmp_ne_u32_e32 vcc_lo, 0x7f800000, v79
                                        ; implicit-def: $vgpr79
	s_and_saveexec_b32 s3, vcc_lo
	s_xor_b32 s3, exec_lo, s3
; %bb.65:
	v_bfe_u32 v79, v80, 16, 1
	s_delay_alu instid0(VALU_DEP_1)
	v_add3_u32 v79, v80, v79, 0x7fff
                                        ; implicit-def: $vgpr80
; %bb.66:
	s_and_not1_saveexec_b32 s3, s3
; %bb.67:
	v_and_b32_e32 v79, 0xffff, v80
	v_or_b32_e32 v84, 0x10000, v80
	s_delay_alu instid0(VALU_DEP_2) | instskip(NEXT) | instid1(VALU_DEP_2)
	v_cmp_eq_u32_e32 vcc_lo, 0, v79
	v_cndmask_b32_e32 v79, v84, v80, vcc_lo
; %bb.68:
	s_or_b32 exec_lo, exec_lo, s3
	v_and_b32_e32 v80, 0x7f800000, v71
	s_delay_alu instid0(VALU_DEP_1) | instskip(SKIP_1) | instid1(SALU_CYCLE_1)
	v_cmp_ne_u32_e32 vcc_lo, 0x7f800000, v80
                                        ; implicit-def: $vgpr80
	s_and_saveexec_b32 s3, vcc_lo
	s_xor_b32 s3, exec_lo, s3
; %bb.69:
	v_bfe_u32 v80, v71, 16, 1
	s_delay_alu instid0(VALU_DEP_1)
	v_add3_u32 v80, v71, v80, 0x7fff
                                        ; implicit-def: $vgpr71
; %bb.70:
	s_and_not1_saveexec_b32 s3, s3
; %bb.71:
	v_and_b32_e32 v80, 0xffff, v71
	v_or_b32_e32 v84, 0x10000, v71
	s_delay_alu instid0(VALU_DEP_2) | instskip(NEXT) | instid1(VALU_DEP_2)
	v_cmp_eq_u32_e32 vcc_lo, 0, v80
	v_cndmask_b32_e32 v80, v84, v71, vcc_lo
; %bb.72:
	s_or_b32 exec_lo, exec_lo, s3
	v_and_b32_e32 v71, 0x7f800000, v66
	s_delay_alu instid0(VALU_DEP_1) | instskip(SKIP_1) | instid1(SALU_CYCLE_1)
	v_cmp_ne_u32_e32 vcc_lo, 0x7f800000, v71
                                        ; implicit-def: $vgpr71
	s_and_saveexec_b32 s3, vcc_lo
	s_xor_b32 s3, exec_lo, s3
; %bb.73:
	v_bfe_u32 v71, v66, 16, 1
	s_delay_alu instid0(VALU_DEP_1)
	v_add3_u32 v71, v66, v71, 0x7fff
                                        ; implicit-def: $vgpr66
; %bb.74:
	s_and_not1_saveexec_b32 s3, s3
; %bb.75:
	v_and_b32_e32 v71, 0xffff, v66
	v_or_b32_e32 v84, 0x10000, v66
	s_delay_alu instid0(VALU_DEP_2) | instskip(NEXT) | instid1(VALU_DEP_2)
	v_cmp_eq_u32_e32 vcc_lo, 0, v71
	v_cndmask_b32_e32 v71, v84, v66, vcc_lo
; %bb.76:
	s_or_b32 exec_lo, exec_lo, s3
	s_delay_alu instid0(VALU_DEP_1)
	v_perm_b32 v87, v71, v80, 0x7060302
	v_perm_b32 v86, v79, v83, 0x7060302
	;; [unrolled: 1-line block ×4, first 2 shown]
	v_lshl_or_b32 v83, v68, 11, v81
	ds_store_b128 v77, v[84:87] offset:1024
	s_waitcnt lgkmcnt(0)
	s_barrier
	buffer_gl0_inv
	ds_load_b128 v[84:87], v83
	ds_load_b128 v[88:91], v83 offset:16
	s_waitcnt lgkmcnt(1)
	v_lshrrev_b32_e32 v70, 16, v87
	s_waitcnt lgkmcnt(0)
	v_lshrrev_b32_e32 v71, 16, v88
	v_lshlrev_b32_e32 v79, 2, v65
	v_lshrrev_b32_e32 v65, 16, v84
	v_lshrrev_b32_e32 v66, 16, v85
	;; [unrolled: 1-line block ×4, first 2 shown]
	v_cmp_eq_u32_e32 vcc_lo, 1, v79
	v_lshrrev_b32_e32 v100, 16, v90
	v_lshrrev_b32_e32 v101, 16, v91
	v_cndmask_b32_e32 v92, v88, v71, vcc_lo
	v_or_b32_e32 v80, 1, v79
	v_cndmask_b32_e32 v82, v84, v65, vcc_lo
	v_cmp_eq_u32_e64 s4, 2, v79
	v_cmp_eq_u32_e64 s7, 3, v79
	v_cmp_eq_u32_e64 s9, 4, v79
	v_cmp_eq_u32_e64 s3, 1, v80
	v_cmp_eq_u32_e64 s6, 2, v80
	v_cndmask_b32_e64 v82, v82, v85, s4
	v_cndmask_b32_e64 v92, v92, v89, s4
	v_cmp_eq_u32_e64 s8, 3, v80
	v_cndmask_b32_e64 v93, v84, v65, s3
	v_or_b32_e32 v78, 2, v79
	v_cndmask_b32_e64 v82, v82, v66, s7
	v_cndmask_b32_e64 v92, v92, v72, s7
	;; [unrolled: 1-line block ×4, first 2 shown]
	v_cmp_eq_u32_e64 s10, 5, v79
	v_cndmask_b32_e64 v82, v82, v86, s9
	v_cndmask_b32_e64 v92, v92, v90, s9
	v_cmp_eq_u32_e64 s11, 4, v80
	v_cndmask_b32_e64 v93, v93, v66, s8
	v_cmp_eq_u32_e64 s5, 1, v78
	v_cndmask_b32_e64 v94, v94, v89, s6
	v_cndmask_b32_e64 v82, v82, v68, s10
	v_cmp_eq_u32_e64 s12, 6, v79
	v_cndmask_b32_e64 v93, v93, v86, s11
	;; [unrolled: 3-line block ×3, first 2 shown]
	v_cndmask_b32_e64 v94, v94, v72, s8
	v_cndmask_b32_e64 v82, v82, v87, s12
	v_cmp_eq_u32_e64 s15, 7, v79
	v_cndmask_b32_e64 v93, v93, v68, s13
	v_cndmask_b32_e64 v92, v92, v91, s12
	v_cmp_eq_u32_e64 s16, 6, v80
	v_cmp_eq_u32_e64 s17, 2, v78
	v_cndmask_b32_e64 v94, v94, v90, s11
	v_cndmask_b32_e64 v102, v82, v70, s15
	;; [unrolled: 1-line block ×6, first 2 shown]
	v_cmp_eq_u32_e64 s18, 7, v80
	v_cmp_eq_u32_e64 s19, 3, v78
	;; [unrolled: 1-line block ×4, first 2 shown]
	v_cndmask_b32_e64 v92, v92, v89, s17
	v_cndmask_b32_e64 v104, v93, v70, s18
	;; [unrolled: 1-line block ×4, first 2 shown]
	v_or_b32_e32 v82, 3, v79
	v_cndmask_b32_e64 v97, v92, v72, s19
	v_cmp_eq_u32_e64 s24, 6, v78
	v_cndmask_b32_e64 v105, v93, v91, s16
	v_cndmask_b32_e64 v96, v94, v86, s20
	v_cmp_eq_u32_e64 s21, 1, v82
	ds_load_b128 v[92:95], v83 offset:1024
	v_cmp_eq_u32_e64 s23, 2, v82
	v_cmp_eq_u32_e64 s25, 3, v82
	v_cndmask_b32_e64 v106, v96, v68, s22
	v_cndmask_b32_e64 v65, v84, v65, s21
	;; [unrolled: 1-line block ×3, first 2 shown]
	ds_load_b128 v[96:99], v83 offset:1040
	v_cndmask_b32_e64 v71, v88, v71, s21
	v_cmp_eq_u32_e64 s26, 4, v82
	v_cndmask_b32_e64 v65, v65, v85, s23
	v_cmp_eq_u32_e64 s28, 5, v82
	v_cmp_eq_u32_e64 s29, 6, v82
	v_cndmask_b32_e64 v71, v71, v89, s23
	v_cndmask_b32_e64 v84, v84, v100, s22
	;; [unrolled: 1-line block ×4, first 2 shown]
	v_cmp_eq_u32_e64 s27, 7, v78
	v_cndmask_b32_e64 v71, v71, v72, s25
	v_cndmask_b32_e64 v84, v84, v91, s24
	;; [unrolled: 1-line block ×3, first 2 shown]
	s_waitcnt lgkmcnt(1)
	v_lshrrev_b32_e32 v72, 16, v92
	v_lshrrev_b32_e32 v88, 16, v93
	v_cndmask_b32_e64 v71, v71, v90, s26
	v_cndmask_b32_e64 v66, v66, v70, s27
	;; [unrolled: 1-line block ×3, first 2 shown]
	v_cndmask_b32_e32 v86, v92, v72, vcc_lo
	v_cndmask_b32_e64 v89, v92, v72, s3
	v_cndmask_b32_e64 v68, v71, v100, s28
	s_waitcnt lgkmcnt(0)
	v_lshrrev_b32_e32 v71, 16, v96
	v_cndmask_b32_e64 v65, v65, v87, s29
	v_cndmask_b32_e64 v86, v86, v93, s4
	;; [unrolled: 1-line block ×4, first 2 shown]
	v_cndmask_b32_e32 v90, v96, v71, vcc_lo
	v_cmp_eq_u32_e32 vcc_lo, 7, v82
	v_cndmask_b32_e64 v86, v86, v88, s7
	v_cndmask_b32_e64 v87, v87, v88, s8
	v_lshrrev_b32_e32 v91, 16, v94
	v_cndmask_b32_e64 v89, v90, v97, s4
	v_lshrrev_b32_e32 v90, 16, v97
	v_cndmask_b32_e64 v86, v86, v94, s9
	v_dual_cndmask_b32 v65, v65, v70 :: v_dual_cndmask_b32 v68, v68, v101
	v_cndmask_b32_e64 v70, v87, v94, s11
	s_delay_alu instid0(VALU_DEP_4) | instskip(NEXT) | instid1(VALU_DEP_4)
	v_cndmask_b32_e64 v89, v89, v90, s7
	v_cndmask_b32_e64 v86, v86, v91, s10
	v_lshrrev_b32_e32 v100, 16, v98
	v_cndmask_b32_e64 v84, v84, v101, s27
	v_perm_b32 v87, v68, v65, 0x5040100
	v_cndmask_b32_e64 v89, v89, v98, s9
	v_cndmask_b32_e64 v65, v70, v91, s13
	;; [unrolled: 1-line block ×3, first 2 shown]
	v_lshrrev_b32_e32 v70, 16, v95
	v_cndmask_b32_e64 v85, v105, v101, s18
	v_cndmask_b32_e64 v89, v89, v100, s10
	v_perm_b32 v86, v84, v66, 0x5040100
	v_cndmask_b32_e64 v101, v96, v71, s5
	v_cndmask_b32_e64 v66, v68, v70, s15
	;; [unrolled: 1-line block ×8, first 2 shown]
	v_lshrrev_b32_e32 v84, 16, v99
	v_cndmask_b32_e64 v89, v89, v93, s17
	v_cndmask_b32_e64 v72, v72, v93, s23
	;; [unrolled: 1-line block ×27, first 2 shown]
	v_cndmask_b32_e32 v70, v72, v70, vcc_lo
	v_cndmask_b32_e32 v72, v88, v84, vcc_lo
	v_cndmask_b32_e64 v88, v90, v84, s27
	v_cndmask_b32_e64 v71, v71, v84, s18
	;; [unrolled: 1-line block ×3, first 2 shown]
	v_perm_b32 v85, v85, v104, 0x5040100
	v_perm_b32 v84, v103, v102, 0x5040100
	;; [unrolled: 1-line block ×6, first 2 shown]
	s_lshl_b32 s8, s35, 1
	s_mov_b32 s3, exec_lo
	ds_store_b128 v77, v[84:87]
	ds_store_b128 v77, v[88:91] offset:1024
	v_cmpx_gt_u32_e32 2, v0
	s_cbranch_execz .LBB1663_78
; %bb.77:
	v_or_b32_e32 v65, s31, v0
	s_load_b128 s[4:7], s[0:1], 0x58
	s_delay_alu instid0(VALU_DEP_1) | instskip(NEXT) | instid1(VALU_DEP_1)
	v_mad_u64_u32 v[70:71], null, s8, s30, v[65:66]
	v_mad_u64_u32 v[65:66], null, v70, s34, s[14:15]
	s_delay_alu instid0(VALU_DEP_1) | instskip(NEXT) | instid1(VALU_DEP_1)
	v_ashrrev_i32_e32 v66, 31, v65
	v_lshlrev_b64 v[65:66], 2, v[65:66]
	s_waitcnt lgkmcnt(0)
	s_delay_alu instid0(VALU_DEP_1) | instskip(NEXT) | instid1(VALU_DEP_2)
	v_add_co_u32 v70, vcc_lo, s6, v65
	v_add_co_ci_u32_e32 v71, vcc_lo, s7, v66, vcc_lo
	v_add_co_u32 v65, vcc_lo, s4, v65
	v_add_co_ci_u32_e32 v66, vcc_lo, s5, v66, vcc_lo
	global_store_b32 v[70:71], v67, off
	global_store_b32 v[65:66], v69, off
.LBB1663_78:
	s_or_b32 exec_lo, exec_lo, s3
	s_waitcnt lgkmcnt(0)
	s_waitcnt_vscnt null, 0x0
	s_barrier
	buffer_gl0_inv
	ds_load_b128 v[84:87], v81
	ds_load_b128 v[88:91], v81 offset:16
	ds_load_b128 v[96:99], v81 offset:2064
	;; [unrolled: 1-line block ×3, first 2 shown]
	v_mov_b32_e32 v65, 0
	ds_load_b128 v[104:107], v81 offset:4112
	ds_load_b128 v[100:103], v81 offset:4096
	;; [unrolled: 1-line block ×4, first 2 shown]
	v_mov_b32_e32 v66, v65
	v_mov_b32_e32 v67, v65
	;; [unrolled: 1-line block ×7, first 2 shown]
	s_waitcnt lgkmcnt(6)
	s_delay_alu instid0(VALU_DEP_1)
	v_wmma_f32_16x16x16_bf16 v[65:72], v[41:48], v[84:91], v[65:72]
	ds_load_b128 v[45:48], v81 offset:8208
	ds_load_b128 v[41:44], v81 offset:8192
	s_waitcnt lgkmcnt(6)
	v_wmma_f32_16x16x16_bf16 v[65:72], v[33:40], v[92:99], v[65:72]
	ds_load_b128 v[37:40], v81 offset:10256
	ds_load_b128 v[33:36], v81 offset:10240
	s_waitcnt lgkmcnt(6)
	;; [unrolled: 4-line block ×4, first 2 shown]
	v_wmma_f32_16x16x16_bf16 v[65:72], v[1:8], v[41:48], v[65:72]
	s_waitcnt lgkmcnt(4)
	s_delay_alu instid0(VALU_DEP_1) | instskip(SKIP_1) | instid1(VALU_DEP_1)
	v_wmma_f32_16x16x16_bf16 v[65:72], v[9:16], v[33:40], v[65:72]
	s_waitcnt lgkmcnt(2)
	v_wmma_f32_16x16x16_bf16 v[65:72], v[57:64], v[25:32], v[65:72]
	s_waitcnt lgkmcnt(0)
	s_delay_alu instid0(VALU_DEP_1) | instskip(NEXT) | instid1(VALU_DEP_1)
	v_wmma_f32_16x16x16_bf16 v[65:72], v[49:56], v[17:24], v[65:72]
	v_and_b32_e32 v1, 0x7f800000, v65
	s_delay_alu instid0(VALU_DEP_1) | instskip(SKIP_1) | instid1(SALU_CYCLE_1)
	v_cmp_ne_u32_e32 vcc_lo, 0x7f800000, v1
                                        ; implicit-def: $vgpr1
	s_and_saveexec_b32 s3, vcc_lo
	s_xor_b32 s3, exec_lo, s3
; %bb.79:
	v_bfe_u32 v1, v65, 16, 1
	s_delay_alu instid0(VALU_DEP_1)
	v_add3_u32 v1, v65, v1, 0x7fff
; %bb.80:
	s_and_not1_saveexec_b32 s3, s3
; %bb.81:
	v_and_b32_e32 v1, 0xffff, v65
	v_or_b32_e32 v2, 0x10000, v65
	s_delay_alu instid0(VALU_DEP_2) | instskip(NEXT) | instid1(VALU_DEP_2)
	v_cmp_eq_u32_e32 vcc_lo, 0, v1
	v_cndmask_b32_e32 v1, v2, v65, vcc_lo
; %bb.82:
	s_or_b32 exec_lo, exec_lo, s3
	v_and_b32_e32 v2, 0x7f800000, v66
	s_delay_alu instid0(VALU_DEP_1) | instskip(SKIP_1) | instid1(SALU_CYCLE_1)
	v_cmp_ne_u32_e32 vcc_lo, 0x7f800000, v2
                                        ; implicit-def: $vgpr2
	s_and_saveexec_b32 s3, vcc_lo
	s_xor_b32 s3, exec_lo, s3
; %bb.83:
	v_bfe_u32 v2, v66, 16, 1
	s_delay_alu instid0(VALU_DEP_1)
	v_add3_u32 v2, v66, v2, 0x7fff
; %bb.84:
	s_and_not1_saveexec_b32 s3, s3
; %bb.85:
	v_and_b32_e32 v2, 0xffff, v66
	v_or_b32_e32 v3, 0x10000, v66
	s_delay_alu instid0(VALU_DEP_2) | instskip(NEXT) | instid1(VALU_DEP_2)
	v_cmp_eq_u32_e32 vcc_lo, 0, v2
	v_cndmask_b32_e32 v2, v3, v66, vcc_lo
; %bb.86:
	s_or_b32 exec_lo, exec_lo, s3
	v_and_b32_e32 v3, 0x7f800000, v67
	s_delay_alu instid0(VALU_DEP_1) | instskip(SKIP_1) | instid1(SALU_CYCLE_1)
	v_cmp_ne_u32_e32 vcc_lo, 0x7f800000, v3
                                        ; implicit-def: $vgpr3
	s_and_saveexec_b32 s3, vcc_lo
	s_xor_b32 s3, exec_lo, s3
; %bb.87:
	v_bfe_u32 v3, v67, 16, 1
	s_delay_alu instid0(VALU_DEP_1)
	v_add3_u32 v3, v67, v3, 0x7fff
; %bb.88:
	s_and_not1_saveexec_b32 s3, s3
; %bb.89:
	v_and_b32_e32 v3, 0xffff, v67
	v_or_b32_e32 v4, 0x10000, v67
	s_delay_alu instid0(VALU_DEP_2) | instskip(NEXT) | instid1(VALU_DEP_2)
	v_cmp_eq_u32_e32 vcc_lo, 0, v3
	v_cndmask_b32_e32 v3, v4, v67, vcc_lo
; %bb.90:
	s_or_b32 exec_lo, exec_lo, s3
	v_and_b32_e32 v4, 0x7f800000, v68
	s_delay_alu instid0(VALU_DEP_1) | instskip(SKIP_1) | instid1(SALU_CYCLE_1)
	v_cmp_ne_u32_e32 vcc_lo, 0x7f800000, v4
                                        ; implicit-def: $vgpr4
	s_and_saveexec_b32 s3, vcc_lo
	s_xor_b32 s3, exec_lo, s3
; %bb.91:
	v_bfe_u32 v4, v68, 16, 1
	s_delay_alu instid0(VALU_DEP_1)
	v_add3_u32 v4, v68, v4, 0x7fff
; %bb.92:
	s_and_not1_saveexec_b32 s3, s3
; %bb.93:
	v_and_b32_e32 v4, 0xffff, v68
	v_or_b32_e32 v5, 0x10000, v68
	s_delay_alu instid0(VALU_DEP_2) | instskip(NEXT) | instid1(VALU_DEP_2)
	v_cmp_eq_u32_e32 vcc_lo, 0, v4
	v_cndmask_b32_e32 v4, v5, v68, vcc_lo
; %bb.94:
	s_or_b32 exec_lo, exec_lo, s3
	v_and_b32_e32 v5, 0x7f800000, v69
	s_delay_alu instid0(VALU_DEP_1) | instskip(SKIP_1) | instid1(SALU_CYCLE_1)
	v_cmp_ne_u32_e32 vcc_lo, 0x7f800000, v5
                                        ; implicit-def: $vgpr5
	s_and_saveexec_b32 s3, vcc_lo
	s_xor_b32 s3, exec_lo, s3
; %bb.95:
	v_bfe_u32 v5, v69, 16, 1
	s_delay_alu instid0(VALU_DEP_1)
	v_add3_u32 v5, v69, v5, 0x7fff
; %bb.96:
	s_and_not1_saveexec_b32 s3, s3
; %bb.97:
	v_and_b32_e32 v5, 0xffff, v69
	v_or_b32_e32 v6, 0x10000, v69
	s_delay_alu instid0(VALU_DEP_2) | instskip(NEXT) | instid1(VALU_DEP_2)
	v_cmp_eq_u32_e32 vcc_lo, 0, v5
	v_cndmask_b32_e32 v5, v6, v69, vcc_lo
; %bb.98:
	s_or_b32 exec_lo, exec_lo, s3
	v_and_b32_e32 v6, 0x7f800000, v70
	s_delay_alu instid0(VALU_DEP_1) | instskip(SKIP_1) | instid1(SALU_CYCLE_1)
	v_cmp_ne_u32_e32 vcc_lo, 0x7f800000, v6
                                        ; implicit-def: $vgpr6
	s_and_saveexec_b32 s3, vcc_lo
	s_xor_b32 s3, exec_lo, s3
; %bb.99:
	v_bfe_u32 v6, v70, 16, 1
	s_delay_alu instid0(VALU_DEP_1)
	v_add3_u32 v6, v70, v6, 0x7fff
; %bb.100:
	s_and_not1_saveexec_b32 s3, s3
; %bb.101:
	v_and_b32_e32 v6, 0xffff, v70
	v_or_b32_e32 v7, 0x10000, v70
	s_delay_alu instid0(VALU_DEP_2) | instskip(NEXT) | instid1(VALU_DEP_2)
	v_cmp_eq_u32_e32 vcc_lo, 0, v6
	v_cndmask_b32_e32 v6, v7, v70, vcc_lo
; %bb.102:
	s_or_b32 exec_lo, exec_lo, s3
	v_and_b32_e32 v7, 0x7f800000, v71
	s_delay_alu instid0(VALU_DEP_1) | instskip(SKIP_1) | instid1(SALU_CYCLE_1)
	v_cmp_ne_u32_e32 vcc_lo, 0x7f800000, v7
                                        ; implicit-def: $vgpr7
	s_and_saveexec_b32 s3, vcc_lo
	s_xor_b32 s3, exec_lo, s3
; %bb.103:
	v_bfe_u32 v7, v71, 16, 1
	s_delay_alu instid0(VALU_DEP_1)
	v_add3_u32 v7, v71, v7, 0x7fff
; %bb.104:
	s_and_not1_saveexec_b32 s3, s3
; %bb.105:
	v_and_b32_e32 v7, 0xffff, v71
	v_or_b32_e32 v8, 0x10000, v71
	s_delay_alu instid0(VALU_DEP_2) | instskip(NEXT) | instid1(VALU_DEP_2)
	v_cmp_eq_u32_e32 vcc_lo, 0, v7
	v_cndmask_b32_e32 v7, v8, v71, vcc_lo
; %bb.106:
	s_or_b32 exec_lo, exec_lo, s3
	v_and_b32_e32 v8, 0x7f800000, v72
	s_delay_alu instid0(VALU_DEP_1) | instskip(SKIP_1) | instid1(SALU_CYCLE_1)
	v_cmp_ne_u32_e32 vcc_lo, 0x7f800000, v8
                                        ; implicit-def: $vgpr8
	s_and_saveexec_b32 s3, vcc_lo
	s_xor_b32 s3, exec_lo, s3
; %bb.107:
	v_bfe_u32 v8, v72, 16, 1
	s_delay_alu instid0(VALU_DEP_1)
	v_add3_u32 v8, v72, v8, 0x7fff
                                        ; implicit-def: $vgpr65_vgpr66_vgpr67_vgpr68_vgpr69_vgpr70_vgpr71_vgpr72
; %bb.108:
	s_and_not1_saveexec_b32 s3, s3
; %bb.109:
	v_and_b32_e32 v8, 0xffff, v72
	v_or_b32_e32 v9, 0x10000, v72
	s_delay_alu instid0(VALU_DEP_2) | instskip(NEXT) | instid1(VALU_DEP_2)
	v_cmp_eq_u32_e32 vcc_lo, 0, v8
	v_cndmask_b32_e32 v8, v9, v72, vcc_lo
; %bb.110:
	s_or_b32 exec_lo, exec_lo, s3
	s_delay_alu instid0(VALU_DEP_1)
	v_perm_b32 v7, v8, v7, 0x7060302
	v_perm_b32 v6, v6, v5, 0x7060302
	;; [unrolled: 1-line block ×4, first 2 shown]
	s_barrier
	buffer_gl0_inv
	v_cmp_eq_u32_e32 vcc_lo, 1, v79
	ds_store_b128 v77, v[4:7]
	s_waitcnt lgkmcnt(0)
	s_barrier
	buffer_gl0_inv
	ds_load_b128 v[1:4], v83
	ds_load_b128 v[5:8], v83 offset:16
	v_cmp_eq_u32_e64 s3, 1, v80
	v_cmp_eq_u32_e64 s4, 2, v79
	;; [unrolled: 1-line block ×5, first 2 shown]
	s_waitcnt lgkmcnt(1)
	v_lshrrev_b32_e32 v9, 16, v1
	s_waitcnt lgkmcnt(0)
	v_lshrrev_b32_e32 v13, 16, v5
	v_lshrrev_b32_e32 v10, 16, v2
	;; [unrolled: 1-line block ×4, first 2 shown]
	v_cndmask_b32_e64 v19, v1, v9, s3
	v_cndmask_b32_e32 v18, v5, v13, vcc_lo
	v_cndmask_b32_e64 v20, v5, v13, s3
	v_cndmask_b32_e32 v17, v1, v9, vcc_lo
	v_cmp_eq_u32_e32 vcc_lo, 2, v80
	v_lshrrev_b32_e32 v15, 16, v7
	v_cmp_eq_u32_e64 s3, 1, v78
	v_lshrrev_b32_e32 v12, 16, v4
	v_lshrrev_b32_e32 v16, 16, v8
	v_cndmask_b32_e32 v20, v20, v6, vcc_lo
	v_cndmask_b32_e64 v17, v17, v2, s4
	v_cndmask_b32_e32 v19, v19, v2, vcc_lo
	v_cndmask_b32_e64 v18, v18, v6, s4
	v_cmp_eq_u32_e32 vcc_lo, 4, v79
	v_cmp_eq_u32_e64 s4, 3, v80
	v_cndmask_b32_e64 v17, v17, v10, s5
	v_cndmask_b32_e64 v21, v1, v9, s3
	;; [unrolled: 1-line block ×5, first 2 shown]
	v_cndmask_b32_e32 v17, v17, v3, vcc_lo
	v_cndmask_b32_e64 v20, v20, v14, s4
	v_cndmask_b32_e32 v18, v18, v7, vcc_lo
	v_cmp_eq_u32_e32 vcc_lo, 4, v80
	v_cmp_eq_u32_e64 s4, 5, v80
	v_cmp_eq_u32_e64 s3, 2, v82
	v_cndmask_b32_e64 v21, v21, v2, s7
	v_cmp_eq_u32_e64 s5, 5, v79
	v_cndmask_b32_e32 v19, v19, v3, vcc_lo
	v_cndmask_b32_e32 v20, v20, v7, vcc_lo
	v_cmp_eq_u32_e32 vcc_lo, 6, v80
	s_delay_alu instid0(VALU_DEP_4) | instskip(NEXT) | instid1(VALU_DEP_4)
	v_cndmask_b32_e64 v17, v17, v11, s5
	v_cndmask_b32_e64 v19, v19, v11, s4
	s_delay_alu instid0(VALU_DEP_4) | instskip(SKIP_1) | instid1(VALU_DEP_3)
	v_cndmask_b32_e64 v20, v20, v15, s4
	v_cmp_eq_u32_e64 s4, 1, v82
	v_cndmask_b32_e32 v19, v19, v4, vcc_lo
	v_cndmask_b32_e64 v18, v18, v15, s5
	s_delay_alu instid0(VALU_DEP_3)
	v_cndmask_b32_e64 v1, v1, v9, s4
	v_cndmask_b32_e64 v5, v5, v13, s4
	v_cmp_eq_u32_e64 s4, 3, v78
	v_cndmask_b32_e64 v13, v22, v6, s7
	v_cmp_eq_u32_e64 s7, 3, v82
	v_cndmask_b32_e64 v1, v1, v2, s3
	v_cndmask_b32_e64 v2, v5, v6, s3
	;; [unrolled: 1-line block ×3, first 2 shown]
	v_cmp_eq_u32_e64 s3, 4, v78
	v_cndmask_b32_e64 v6, v13, v14, s4
	v_cndmask_b32_e64 v1, v1, v10, s7
	v_cmp_eq_u32_e64 s4, 4, v82
	v_cndmask_b32_e64 v2, v2, v14, s7
	v_cndmask_b32_e64 v5, v9, v3, s3
	;; [unrolled: 3-line block ×3, first 2 shown]
	v_cndmask_b32_e64 v2, v2, v7, s4
	v_cmp_eq_u32_e64 s3, 5, v82
	v_cmp_eq_u32_e64 s5, 6, v79
	v_cndmask_b32_e64 v5, v5, v11, s7
	v_cmp_eq_u32_e64 s4, 6, v78
	v_cndmask_b32_e64 v3, v6, v15, s7
	v_cndmask_b32_e64 v1, v1, v11, s3
	v_cmp_eq_u32_e64 s7, 6, v82
	v_cndmask_b32_e64 v2, v2, v15, s3
	v_cndmask_b32_e64 v17, v17, v4, s5
	v_cndmask_b32_e64 v18, v18, v8, s5
	v_cmp_eq_u32_e64 s5, 7, v79
	v_cndmask_b32_e64 v5, v5, v4, s4
	;; [unrolled: 4-line block ×3, first 2 shown]
	v_cmp_eq_u32_e64 s4, 7, v78
	v_cndmask_b32_e32 v4, v20, v8, vcc_lo
	v_cndmask_b32_e64 v17, v17, v12, s5
	v_cndmask_b32_e64 v19, v19, v12, s6
	v_cndmask_b32_e64 v1, v1, v12, s3
	v_cndmask_b32_e64 v5, v5, v12, s4
	v_cndmask_b32_e64 v2, v2, v16, s3
	v_cndmask_b32_e64 v3, v3, v16, s4
	v_cndmask_b32_e64 v6, v4, v16, s6
	v_cndmask_b32_e64 v7, v18, v16, s5
	s_delay_alu instid0(VALU_DEP_4) | instskip(NEXT) | instid1(VALU_DEP_4)
	v_perm_b32 v4, v2, v1, 0x5040100
	v_perm_b32 v3, v3, v5, 0x5040100
	s_delay_alu instid0(VALU_DEP_4) | instskip(NEXT) | instid1(VALU_DEP_4)
	v_perm_b32 v2, v6, v19, 0x5040100
	v_perm_b32 v1, v7, v17, 0x5040100
	ds_store_b128 v77, v[1:4]
	s_waitcnt lgkmcnt(0)
	s_barrier
	buffer_gl0_inv
	s_and_saveexec_b32 s3, s2
	s_cbranch_execz .LBB1663_2
; %bb.111:
	s_load_b64 s[0:1], s[0:1], 0x68
	v_lshlrev_b32_e32 v0, 10, v0
	s_lshl_b32 s2, s34, 7
	v_lshlrev_b32_e32 v1, 4, v76
	v_mul_lo_u32 v4, s2, v75
	s_mul_i32 s3, s2, s30
	v_and_b32_e32 v0, 0x3800, v0
	s_mul_i32 s2, s3, s8
	s_delay_alu instid0(SALU_CYCLE_1) | instskip(NEXT) | instid1(VALU_DEP_1)
	s_ashr_i32 s3, s2, 31
	v_or3_b32 v0, v0, v74, v1
	s_lshl_b64 s[2:3], s[2:3], 1
	s_delay_alu instid0(VALU_DEP_3)
	v_ashrrev_i32_e32 v5, 31, v4
	ds_load_b128 v[0:3], v0
	v_lshlrev_b64 v[4:5], 1, v[4:5]
	s_waitcnt lgkmcnt(0)
	s_add_u32 s2, s0, s2
	s_addc_u32 s3, s1, s3
	s_lshl_b32 s0, s14, 7
	s_delay_alu instid0(SALU_CYCLE_1) | instskip(NEXT) | instid1(SALU_CYCLE_1)
	s_ashr_i32 s1, s0, 31
	s_lshl_b64 s[0:1], s[0:1], 1
	s_delay_alu instid0(SALU_CYCLE_1) | instskip(SKIP_3) | instid1(VALU_DEP_2)
	s_add_u32 s0, s2, s0
	s_addc_u32 s1, s3, s1
	v_add_co_u32 v4, vcc_lo, s0, v4
	v_add_co_ci_u32_e32 v5, vcc_lo, s1, v5, vcc_lo
	v_add_co_u32 v4, vcc_lo, v4, v73
	s_delay_alu instid0(VALU_DEP_2)
	v_add_co_ci_u32_e32 v5, vcc_lo, 0, v5, vcc_lo
	global_store_b128 v[4:5], v[0:3], off
	s_nop 0
	s_sendmsg sendmsg(MSG_DEALLOC_VGPRS)
	s_endpgm
	.section	.rodata,"a",@progbits
	.p2align	6, 0x0
	.amdhsa_kernel _Z39paged_attention_ll4mi_QKV_mfma16_kernelI14__hip_bfloat16hLN4vllm18Fp8KVCacheDataTypeE1ES0_Li32ELi128ELi256ELb0ELi2EL8MFMAType1EEvPKT_PKT0_S9_ifPKiSB_SB_iPKfiiiPfSE_PS4_PT2_iSD_SD_
		.amdhsa_group_segment_fixed_size 17472
		.amdhsa_private_segment_fixed_size 0
		.amdhsa_kernarg_size 400
		.amdhsa_user_sgpr_count 13
		.amdhsa_user_sgpr_dispatch_ptr 0
		.amdhsa_user_sgpr_queue_ptr 0
		.amdhsa_user_sgpr_kernarg_segment_ptr 1
		.amdhsa_user_sgpr_dispatch_id 0
		.amdhsa_user_sgpr_private_segment_size 0
		.amdhsa_wavefront_size32 1
		.amdhsa_uses_dynamic_stack 0
		.amdhsa_enable_private_segment 0
		.amdhsa_system_sgpr_workgroup_id_x 1
		.amdhsa_system_sgpr_workgroup_id_y 1
		.amdhsa_system_sgpr_workgroup_id_z 1
		.amdhsa_system_sgpr_workgroup_info 0
		.amdhsa_system_vgpr_workitem_id 0
		.amdhsa_next_free_vgpr 138
		.amdhsa_next_free_sgpr 37
		.amdhsa_reserve_vcc 1
		.amdhsa_float_round_mode_32 0
		.amdhsa_float_round_mode_16_64 0
		.amdhsa_float_denorm_mode_32 3
		.amdhsa_float_denorm_mode_16_64 3
		.amdhsa_dx10_clamp 1
		.amdhsa_ieee_mode 1
		.amdhsa_fp16_overflow 0
		.amdhsa_workgroup_processor_mode 1
		.amdhsa_memory_ordered 1
		.amdhsa_forward_progress 0
		.amdhsa_shared_vgpr_count 0
		.amdhsa_exception_fp_ieee_invalid_op 0
		.amdhsa_exception_fp_denorm_src 0
		.amdhsa_exception_fp_ieee_div_zero 0
		.amdhsa_exception_fp_ieee_overflow 0
		.amdhsa_exception_fp_ieee_underflow 0
		.amdhsa_exception_fp_ieee_inexact 0
		.amdhsa_exception_int_div_zero 0
	.end_amdhsa_kernel
	.section	.text._Z39paged_attention_ll4mi_QKV_mfma16_kernelI14__hip_bfloat16hLN4vllm18Fp8KVCacheDataTypeE1ES0_Li32ELi128ELi256ELb0ELi2EL8MFMAType1EEvPKT_PKT0_S9_ifPKiSB_SB_iPKfiiiPfSE_PS4_PT2_iSD_SD_,"axG",@progbits,_Z39paged_attention_ll4mi_QKV_mfma16_kernelI14__hip_bfloat16hLN4vllm18Fp8KVCacheDataTypeE1ES0_Li32ELi128ELi256ELb0ELi2EL8MFMAType1EEvPKT_PKT0_S9_ifPKiSB_SB_iPKfiiiPfSE_PS4_PT2_iSD_SD_,comdat
.Lfunc_end1663:
	.size	_Z39paged_attention_ll4mi_QKV_mfma16_kernelI14__hip_bfloat16hLN4vllm18Fp8KVCacheDataTypeE1ES0_Li32ELi128ELi256ELb0ELi2EL8MFMAType1EEvPKT_PKT0_S9_ifPKiSB_SB_iPKfiiiPfSE_PS4_PT2_iSD_SD_, .Lfunc_end1663-_Z39paged_attention_ll4mi_QKV_mfma16_kernelI14__hip_bfloat16hLN4vllm18Fp8KVCacheDataTypeE1ES0_Li32ELi128ELi256ELb0ELi2EL8MFMAType1EEvPKT_PKT0_S9_ifPKiSB_SB_iPKfiiiPfSE_PS4_PT2_iSD_SD_
                                        ; -- End function
	.section	.AMDGPU.csdata,"",@progbits
; Kernel info:
; codeLenInByte = 8652
; NumSgprs: 39
; NumVgprs: 138
; ScratchSize: 0
; MemoryBound: 0
; FloatMode: 240
; IeeeMode: 1
; LDSByteSize: 17472 bytes/workgroup (compile time only)
; SGPRBlocks: 4
; VGPRBlocks: 17
; NumSGPRsForWavesPerEU: 39
; NumVGPRsForWavesPerEU: 138
; Occupancy: 10
; WaveLimiterHint : 1
; COMPUTE_PGM_RSRC2:SCRATCH_EN: 0
; COMPUTE_PGM_RSRC2:USER_SGPR: 13
; COMPUTE_PGM_RSRC2:TRAP_HANDLER: 0
; COMPUTE_PGM_RSRC2:TGID_X_EN: 1
; COMPUTE_PGM_RSRC2:TGID_Y_EN: 1
; COMPUTE_PGM_RSRC2:TGID_Z_EN: 1
; COMPUTE_PGM_RSRC2:TIDIG_COMP_CNT: 0
	.section	.text._Z39paged_attention_ll4mi_QKV_mfma16_kernelI14__hip_bfloat16hLN4vllm18Fp8KVCacheDataTypeE1ES0_Li32ELi128ELi256ELb0ELi3EL8MFMAType1EEvPKT_PKT0_S9_ifPKiSB_SB_iPKfiiiPfSE_PS4_PT2_iSD_SD_,"axG",@progbits,_Z39paged_attention_ll4mi_QKV_mfma16_kernelI14__hip_bfloat16hLN4vllm18Fp8KVCacheDataTypeE1ES0_Li32ELi128ELi256ELb0ELi3EL8MFMAType1EEvPKT_PKT0_S9_ifPKiSB_SB_iPKfiiiPfSE_PS4_PT2_iSD_SD_,comdat
	.protected	_Z39paged_attention_ll4mi_QKV_mfma16_kernelI14__hip_bfloat16hLN4vllm18Fp8KVCacheDataTypeE1ES0_Li32ELi128ELi256ELb0ELi3EL8MFMAType1EEvPKT_PKT0_S9_ifPKiSB_SB_iPKfiiiPfSE_PS4_PT2_iSD_SD_ ; -- Begin function _Z39paged_attention_ll4mi_QKV_mfma16_kernelI14__hip_bfloat16hLN4vllm18Fp8KVCacheDataTypeE1ES0_Li32ELi128ELi256ELb0ELi3EL8MFMAType1EEvPKT_PKT0_S9_ifPKiSB_SB_iPKfiiiPfSE_PS4_PT2_iSD_SD_
	.globl	_Z39paged_attention_ll4mi_QKV_mfma16_kernelI14__hip_bfloat16hLN4vllm18Fp8KVCacheDataTypeE1ES0_Li32ELi128ELi256ELb0ELi3EL8MFMAType1EEvPKT_PKT0_S9_ifPKiSB_SB_iPKfiiiPfSE_PS4_PT2_iSD_SD_
	.p2align	8
	.type	_Z39paged_attention_ll4mi_QKV_mfma16_kernelI14__hip_bfloat16hLN4vllm18Fp8KVCacheDataTypeE1ES0_Li32ELi128ELi256ELb0ELi3EL8MFMAType1EEvPKT_PKT0_S9_ifPKiSB_SB_iPKfiiiPfSE_PS4_PT2_iSD_SD_,@function
_Z39paged_attention_ll4mi_QKV_mfma16_kernelI14__hip_bfloat16hLN4vllm18Fp8KVCacheDataTypeE1ES0_Li32ELi128ELi256ELb0ELi3EL8MFMAType1EEvPKT_PKT0_S9_ifPKiSB_SB_iPKfiiiPfSE_PS4_PT2_iSD_SD_: ; @_Z39paged_attention_ll4mi_QKV_mfma16_kernelI14__hip_bfloat16hLN4vllm18Fp8KVCacheDataTypeE1ES0_Li32ELi128ELi256ELb0ELi3EL8MFMAType1EEvPKT_PKT0_S9_ifPKiSB_SB_iPKfiiiPfSE_PS4_PT2_iSD_SD_
; %bb.0:
	s_load_b64 s[4:5], s[0:1], 0x30
	s_mov_b32 s30, s13
	s_waitcnt lgkmcnt(0)
	s_cmp_lg_u64 s[4:5], 0
	s_cselect_b32 s13, -1, 0
	s_ashr_i32 s31, s30, 31
	s_cmp_eq_u64 s[4:5], 0
	s_cbranch_scc1 .LBB1664_3
; %bb.1:
	s_lshl_b64 s[2:3], s[30:31], 2
	s_delay_alu instid0(SALU_CYCLE_1) | instskip(SKIP_4) | instid1(SALU_CYCLE_1)
	s_add_u32 s2, s4, s2
	s_addc_u32 s3, s5, s3
	s_load_b64 s[2:3], s[2:3], 0x0
	s_waitcnt lgkmcnt(0)
	s_sub_i32 s2, s3, s2
	s_cmp_eq_u32 s2, 1
	s_cselect_b32 s2, -1, 0
	s_delay_alu instid0(SALU_CYCLE_1)
	s_and_not1_b32 vcc_lo, exec_lo, s2
	s_cbranch_vccz .LBB1664_4
.LBB1664_2:
	s_nop 0
	s_sendmsg sendmsg(MSG_DEALLOC_VGPRS)
	s_endpgm
.LBB1664_3:
.LBB1664_4:
	s_load_b64 s[2:3], s[0:1], 0x28
	s_lshl_b64 s[6:7], s[30:31], 2
	s_waitcnt lgkmcnt(0)
	s_add_u32 s2, s2, s6
	s_addc_u32 s3, s3, s7
	s_lshl_b32 s12, s14, 8
	s_load_b32 s17, s[2:3], 0x0
	s_waitcnt lgkmcnt(0)
	s_cmp_ge_i32 s12, s17
	s_cbranch_scc1 .LBB1664_2
; %bb.5:
	s_clause 0x1
	s_load_b128 s[8:11], s[0:1], 0x8
	s_load_b64 s[2:3], s[0:1], 0x20
	s_and_not1_b32 vcc_lo, exec_lo, s13
	s_cbranch_vccnz .LBB1664_7
; %bb.6:
	s_add_u32 s4, s4, s6
	s_addc_u32 s5, s5, s7
	s_load_b32 s13, s[4:5], 0x0
	s_branch .LBB1664_8
.LBB1664_7:
	s_mov_b32 s13, s30
.LBB1664_8:
	s_load_b128 s[4:7], s[0:1], 0x48
	v_and_b32_e32 v65, 15, v0
	v_lshrrev_b32_e32 v66, 5, v0
	v_bfe_u32 v74, v0, 4, 1
	v_and_b32_e32 v67, 31, v0
	v_and_b32_e32 v75, 1, v0
	v_lshlrev_b32_e32 v2, 3, v65
	s_mul_i32 s31, s15, 3
	v_lshl_or_b32 v1, v66, 1, v74
	s_waitcnt lgkmcnt(0)
	s_mov_b32 s7, exec_lo
	v_lshlrev_b32_e32 v73, 1, v2
	s_delay_alu instid0(VALU_DEP_2)
	v_cmpx_gt_u32_e32 3, v1
	s_cbranch_execz .LBB1664_10
; %bb.9:
	s_load_b64 s[18:19], s[0:1], 0x0
	v_add_lshl_u32 v2, v1, s31, 7
	s_mul_hi_i32 s21, s13, s4
	s_mul_i32 s20, s13, s4
	v_lshlrev_b32_e32 v6, 10, v65
	s_lshl_b64 s[20:21], s[20:21], 1
	v_ashrrev_i32_e32 v3, 31, v2
	v_lshlrev_b32_e32 v1, 6, v1
	v_lshlrev_b32_e32 v7, 10, v75
	v_and_b32_e32 v6, 0x3800, v6
	s_delay_alu instid0(VALU_DEP_4) | instskip(NEXT) | instid1(VALU_DEP_2)
	v_lshlrev_b64 v[2:3], 1, v[2:3]
	v_or3_b32 v1, v6, v7, v1
	s_waitcnt lgkmcnt(0)
	s_add_u32 s4, s18, s20
	s_addc_u32 s13, s19, s21
	s_delay_alu instid0(VALU_DEP_2) | instskip(SKIP_1) | instid1(VALU_DEP_2)
	v_add_co_u32 v2, vcc_lo, s4, v2
	v_add_co_ci_u32_e32 v3, vcc_lo, s13, v3, vcc_lo
	v_add_co_u32 v2, vcc_lo, v2, v73
	s_delay_alu instid0(VALU_DEP_2)
	v_add_co_ci_u32_e32 v3, vcc_lo, 0, v3, vcc_lo
	global_load_b128 v[2:5], v[2:3], off
	s_waitcnt vmcnt(0)
	ds_store_b128 v1, v[2:5]
.LBB1664_10:
	s_or_b32 exec_lo, exec_lo, s7
	v_and_b32_e32 v1, 0xef, v0
	s_add_i32 s4, s17, 31
	s_clause 0x1
	s_load_b32 s7, s[0:1], 0x38
	s_load_b32 s18, s[0:1], 0x1c
	s_ashr_i32 s13, s4, 31
	v_add_nc_u32_e32 v2, s12, v1
	s_lshr_b32 s13, s13, 27
	s_waitcnt lgkmcnt(0)
	s_add_i32 s4, s4, s13
	s_barrier
	v_ashrrev_i32_e32 v1, 31, v2
	s_ashr_i32 s4, s4, 5
	v_cmp_gt_i32_e32 vcc_lo, s17, v2
	s_add_i32 s4, s4, -1
	buffer_gl0_inv
	v_lshrrev_b32_e32 v3, 27, v1
	v_or_b32_e32 v1, 16, v2
	s_mul_i32 s15, s15, s6
	s_delay_alu instid0(VALU_DEP_2) | instskip(SKIP_1) | instid1(SALU_CYCLE_1)
	v_add_nc_u32_e32 v4, v2, v3
	s_mul_i32 s20, s30, s7
	s_ashr_i32 s21, s20, 31
	s_delay_alu instid0(VALU_DEP_1) | instskip(SKIP_2) | instid1(SALU_CYCLE_1)
	v_ashrrev_i32_e32 v4, 5, v4
	v_add_nc_u32_e32 v3, v1, v3
	s_lshl_b64 s[20:21], s[20:21], 2
	s_add_u32 s7, s2, s20
	s_delay_alu instid0(VALU_DEP_2) | instskip(NEXT) | instid1(VALU_DEP_2)
	v_cndmask_b32_e32 v2, s4, v4, vcc_lo
	v_ashrrev_i32_e32 v3, 5, v3
	v_cmp_gt_i32_e32 vcc_lo, s17, v1
	s_addc_u32 s13, s3, s21
	s_ashr_i32 s6, s15, 31
	s_add_u32 s2, s8, s15
	s_addc_u32 s3, s9, s6
	v_cndmask_b32_e32 v4, s4, v3, vcc_lo
	v_ashrrev_i32_e32 v3, 31, v2
	s_lshl_b32 s8, s14, 3
	s_delay_alu instid0(SALU_CYCLE_1) | instskip(NEXT) | instid1(VALU_DEP_2)
	s_ashr_i32 s9, s8, 31
	v_ashrrev_i32_e32 v5, 31, v4
	s_delay_alu instid0(VALU_DEP_2) | instskip(SKIP_1) | instid1(SALU_CYCLE_1)
	v_lshlrev_b64 v[1:2], 2, v[2:3]
	s_lshl_b64 s[8:9], s[8:9], 2
	s_add_u32 s8, s7, s8
	s_delay_alu instid0(VALU_DEP_2) | instskip(SKIP_1) | instid1(VALU_DEP_2)
	v_lshlrev_b64 v[3:4], 2, v[4:5]
	s_addc_u32 s9, s13, s9
	v_add_co_u32 v1, vcc_lo, s7, v1
	v_add_co_ci_u32_e32 v2, vcc_lo, s13, v2, vcc_lo
	s_delay_alu instid0(VALU_DEP_3) | instskip(NEXT) | instid1(VALU_DEP_4)
	v_add_co_u32 v3, vcc_lo, s7, v3
	v_add_co_ci_u32_e32 v4, vcc_lo, s13, v4, vcc_lo
	s_clause 0x1
	global_load_b32 v5, v[1:2], off
	global_load_b32 v6, v[3:4], off
	s_or_b32 s16, s12, 32
	s_delay_alu instid0(SALU_CYCLE_1) | instskip(SKIP_2) | instid1(SALU_CYCLE_1)
	s_ashr_i32 s19, s16, 5
	s_cmp_lt_i32 s16, s17
	s_cselect_b32 s20, s19, s4
	s_ashr_i32 s21, s20, 31
	s_delay_alu instid0(SALU_CYCLE_1) | instskip(NEXT) | instid1(SALU_CYCLE_1)
	s_lshl_b64 s[20:21], s[20:21], 2
	s_add_u32 s20, s7, s20
	s_addc_u32 s21, s13, s21
	s_or_b32 s16, s12, 64
	s_delay_alu instid0(SALU_CYCLE_1) | instskip(SKIP_2) | instid1(SALU_CYCLE_1)
	s_ashr_i32 s19, s16, 5
	s_cmp_lt_i32 s16, s17
	s_cselect_b32 s22, s19, s4
	s_ashr_i32 s23, s22, 31
	s_delay_alu instid0(SALU_CYCLE_1) | instskip(NEXT) | instid1(SALU_CYCLE_1)
	s_lshl_b64 s[22:23], s[22:23], 2
	s_add_u32 s22, s7, s22
	s_addc_u32 s23, s13, s23
	;; [unrolled: 10-line block ×5, first 2 shown]
	s_clause 0x5
	s_load_b32 s16, s[8:9], 0x0
	s_load_b32 s19, s[20:21], 0x0
	;; [unrolled: 1-line block ×6, first 2 shown]
	s_mov_b32 s20, 0
	s_delay_alu instid0(SALU_CYCLE_1)
	s_mov_b32 s21, s20
	s_mov_b32 s22, s20
	;; [unrolled: 1-line block ×7, first 2 shown]
	s_delay_alu instid0(SALU_CYCLE_1)
	v_dual_mov_b32 v107, s27 :: v_dual_mov_b32 v106, s26
	v_dual_mov_b32 v105, s25 :: v_dual_mov_b32 v102, s22
	;; [unrolled: 1-line block ×4, first 2 shown]
	s_waitcnt vmcnt(1)
	v_mad_i64_i32 v[1:2], null, v5, s5, s[2:3]
	v_lshlrev_b32_e32 v5, 4, v65
	s_waitcnt vmcnt(0)
	v_mad_i64_i32 v[3:4], null, v6, s5, s[2:3]
	s_or_b32 s2, s12, 0xc0
	s_delay_alu instid0(SALU_CYCLE_1) | instskip(NEXT) | instid1(VALU_DEP_3)
	s_ashr_i32 s3, s2, 5
	v_add_co_u32 v25, vcc_lo, v1, v5
	s_delay_alu instid0(VALU_DEP_4) | instskip(NEXT) | instid1(VALU_DEP_3)
	v_add_co_ci_u32_e32 v26, vcc_lo, 0, v2, vcc_lo
	v_add_co_u32 v27, vcc_lo, v3, v5
	s_delay_alu instid0(VALU_DEP_4)
	v_add_co_ci_u32_e32 v28, vcc_lo, 0, v4, vcc_lo
	s_clause 0xf
	global_load_b128 v[1:4], v[25:26], off
	global_load_b128 v[5:8], v[25:26], off offset:512
	global_load_b128 v[9:12], v[27:28], off offset:256
	;; [unrolled: 1-line block ×15, first 2 shown]
	v_mul_lo_u16 v25, 0x56, v65
	s_cmp_lt_i32 s2, s17
	v_lshlrev_b32_e32 v26, 5, v65
	s_cselect_b32 s2, s3, s4
	s_delay_alu instid0(VALU_DEP_2) | instskip(SKIP_1) | instid1(VALU_DEP_2)
	v_lshrrev_b16 v25, 8, v25
	s_ashr_i32 s3, s2, 31
	v_lshl_or_b32 v33, v66, 9, v26
	s_lshl_b64 s[2:3], s[2:3], 2
	s_delay_alu instid0(VALU_DEP_2) | instskip(SKIP_3) | instid1(VALU_DEP_1)
	v_mul_lo_u16 v25, v25, 3
	s_add_u32 s2, s7, s2
	s_addc_u32 s3, s13, s3
	s_or_b32 s8, s12, 0xe0
	v_sub_nc_u16 v25, v65, v25
	s_ashr_i32 s9, s8, 5
	s_cmp_lt_i32 s8, s17
	s_cselect_b32 s8, s9, s4
	s_delay_alu instid0(VALU_DEP_1) | instskip(SKIP_1) | instid1(SALU_CYCLE_1)
	v_and_b32_e32 v25, 0xff, v25
	s_ashr_i32 s9, s8, 31
	s_lshl_b64 s[8:9], s[8:9], 2
	s_delay_alu instid0(VALU_DEP_1)
	v_lshlrev_b32_e32 v72, 6, v25
	ds_load_b128 v[25:28], v72
	ds_load_b128 v[29:32], v72 offset:1024
	ds_load_b128 v[108:111], v72 offset:2048
	;; [unrolled: 1-line block ×3, first 2 shown]
	s_load_b32 s4, s[2:3], 0x0
	s_add_u32 s2, s7, s8
	s_addc_u32 s3, s13, s9
	ds_load_b128 v[116:119], v72 offset:4096
	ds_load_b128 v[120:123], v72 offset:5120
	s_load_b32 s2, s[2:3], 0x0
	s_add_u32 s7, s10, s15
	s_addc_u32 s6, s11, s6
	v_add_co_u32 v68, s7, s7, v33
	s_delay_alu instid0(VALU_DEP_1) | instskip(SKIP_1) | instid1(VALU_DEP_1)
	v_add_co_ci_u32_e64 v69, null, s6, 0, s7
	s_waitcnt lgkmcnt(0)
	v_mad_i64_i32 v[33:34], null, s16, s5, v[68:69]
	v_mad_i64_i32 v[70:71], null, s33, s5, v[68:69]
	;; [unrolled: 1-line block ×7, first 2 shown]
	s_clause 0x3
	global_load_b128 v[41:44], v[33:34], off
	global_load_b128 v[45:48], v[33:34], off offset:16
	global_load_b128 v[33:36], v[37:38], off
	global_load_b128 v[37:40], v[37:38], off offset:16
	s_waitcnt vmcnt(18)
	v_wmma_f32_16x16x16_bf16 v[124:131], v[1:8], v[25:32], v[100:107]
	s_waitcnt vmcnt(16)
	v_wmma_f32_16x16x16_bf16 v[100:107], v[9:16], v[25:32], v[100:107]
	s_clause 0x1
	global_load_b128 v[25:28], v[70:71], off
	global_load_b128 v[29:32], v[70:71], off offset:16
	s_waitcnt vmcnt(16)
	v_wmma_f32_16x16x16_bf16 v[124:131], v[17:24], v[108:115], v[124:131]
	s_clause 0x1
	global_load_b128 v[17:20], v[132:133], off
	global_load_b128 v[21:24], v[132:133], off offset:16
	s_waitcnt vmcnt(16)
	v_wmma_f32_16x16x16_bf16 v[100:107], v[49:56], v[108:115], v[100:107]
	v_mad_i64_i32 v[53:54], null, s2, s5, v[68:69]
	s_clause 0x3
	global_load_b128 v[1:4], v[134:135], off
	global_load_b128 v[5:8], v[134:135], off offset:16
	global_load_b128 v[9:12], v[136:137], off
	global_load_b128 v[13:16], v[136:137], off offset:16
	s_waitcnt vmcnt(18)
	v_wmma_f32_16x16x16_bf16 v[124:131], v[57:64], v[116:123], v[124:131]
	s_clause 0x3
	global_load_b128 v[57:60], v[138:139], off
	global_load_b128 v[61:64], v[138:139], off offset:16
	global_load_b128 v[49:52], v[53:54], off
	global_load_b128 v[53:56], v[53:54], off offset:16
	s_waitcnt vmcnt(20)
	v_wmma_f32_16x16x16_bf16 v[100:107], v[76:83], v[116:123], v[100:107]
	ds_load_b128 v[76:79], v72 offset:6144
	ds_load_b128 v[80:83], v72 offset:7168
	v_mbcnt_lo_u32_b32 v69, -1, 0
	s_waitcnt vmcnt(0) lgkmcnt(0)
	s_barrier
	buffer_gl0_inv
	v_xor_b32_e32 v70, 16, v69
	s_delay_alu instid0(VALU_DEP_1) | instskip(SKIP_4) | instid1(VALU_DEP_2)
	v_cmp_gt_i32_e32 vcc_lo, 32, v70
	v_cndmask_b32_e32 v69, v69, v70, vcc_lo
	v_wmma_f32_16x16x16_bf16 v[124:131], v[84:91], v[76:83], v[124:131]
	v_and_b32_e32 v68, 0xe0, v0
	v_wmma_f32_16x16x16_bf16 v[100:107], v[92:99], v[76:83], v[100:107]
	v_dual_mul_f32 v81, s18, v129 :: v_dual_add_nc_u32 v68, s12, v68
	s_delay_alu instid0(VALU_DEP_4) | instskip(NEXT) | instid1(VALU_DEP_3)
	v_dual_mul_f32 v83, s18, v131 :: v_dual_mul_f32 v78, s18, v125
	v_mul_f32_e32 v95, s18, v103
	v_mul_f32_e32 v79, s18, v127
	s_delay_alu instid0(VALU_DEP_4) | instskip(SKIP_3) | instid1(VALU_DEP_4)
	v_or_b32_e32 v68, v68, v74
	v_dual_mul_f32 v80, s18, v126 :: v_dual_mul_f32 v97, s18, v105
	v_dual_mul_f32 v93, s18, v101 :: v_dual_mul_f32 v82, s18, v128
	v_mul_f32_e32 v99, s18, v107
	v_or_b32_e32 v70, 2, v68
	v_or_b32_e32 v71, 4, v68
	;; [unrolled: 1-line block ×3, first 2 shown]
	v_cmp_gt_i32_e64 s2, s17, v68
	v_or_b32_e32 v108, 8, v68
	v_cmp_gt_i32_e32 vcc_lo, s17, v70
	v_mul_f32_e32 v70, s18, v124
	v_or_b32_e32 v109, 10, v68
	v_cmp_gt_i32_e64 s3, s17, v71
	v_cmp_gt_i32_e64 s4, s17, v72
	v_cndmask_b32_e32 v78, 0xff7fffff, v78, vcc_lo
	v_cndmask_b32_e64 v70, 0xff7fffff, v70, s2
	v_or_b32_e32 v84, 12, v68
	v_or_b32_e32 v85, 14, v68
	v_cndmask_b32_e64 v71, 0xff7fffff, v80, s3
	v_cndmask_b32_e64 v72, 0xff7fffff, v79, s4
	v_max3_f32 v70, v70, 0xff7fffff, v78
	v_cmp_gt_i32_e64 s5, s17, v108
	v_cmp_gt_i32_e64 s6, s17, v109
	v_or_b32_e32 v86, 16, v68
	v_or_b32_e32 v87, 18, v68
	;; [unrolled: 1-line block ×3, first 2 shown]
	v_mul_f32_e32 v92, s18, v130
	v_cndmask_b32_e64 v78, 0xff7fffff, v82, s5
	v_cndmask_b32_e64 v79, 0xff7fffff, v81, s6
	v_max3_f32 v70, v70, v71, v72
	v_cmp_gt_i32_e64 s7, s17, v84
	v_cmp_gt_i32_e64 s8, s17, v85
	v_or_b32_e32 v88, 20, v68
	v_mul_f32_e32 v94, s18, v100
	v_max3_f32 v70, v70, v78, v79
	v_cmp_gt_i32_e64 s9, s17, v86
	v_cndmask_b32_e64 v72, 0xff7fffff, v83, s8
	v_cmp_gt_i32_e64 s10, s17, v87
	v_cmp_gt_i32_e64 s12, s17, v89
	v_lshlrev_b32_e32 v89, 2, v69
	v_cndmask_b32_e64 v71, 0xff7fffff, v92, s7
	v_or_b32_e32 v90, 24, v68
	v_or_b32_e32 v91, 26, v68
	v_mul_f32_e32 v96, s18, v102
	v_cndmask_b32_e64 v78, 0xff7fffff, v94, s9
	v_cndmask_b32_e64 v79, 0xff7fffff, v93, s10
	v_max3_f32 v70, v70, v71, v72
	v_cmp_gt_i32_e64 s11, s17, v88
	v_or_b32_e32 v76, 28, v68
	v_or_b32_e32 v77, 30, v68
	v_mul_f32_e32 v98, s18, v104
	v_cndmask_b32_e64 v72, 0xff7fffff, v95, s12
	v_cndmask_b32_e64 v71, 0xff7fffff, v96, s11
	v_max3_f32 v70, v70, v78, v79
	v_cmp_gt_i32_e64 s13, s17, v90
	v_cmp_gt_i32_e64 s15, s17, v91
	v_mul_f32_e32 v68, s18, v106
	v_cmp_gt_i32_e64 s16, s17, v76
	v_max3_f32 v70, v70, v71, v72
	v_cndmask_b32_e64 v78, 0xff7fffff, v98, s13
	v_cndmask_b32_e64 v79, 0xff7fffff, v97, s15
	v_cmp_gt_i32_e64 s17, s17, v77
	v_cndmask_b32_e64 v68, 0xff7fffff, v68, s16
	s_delay_alu instid0(VALU_DEP_3) | instskip(NEXT) | instid1(VALU_DEP_3)
	v_max3_f32 v70, v70, v78, v79
	v_cndmask_b32_e64 v71, 0xff7fffff, v99, s17
	s_delay_alu instid0(VALU_DEP_1) | instskip(SKIP_3) | instid1(VALU_DEP_1)
	v_max3_f32 v68, v70, v68, v71
	ds_bpermute_b32 v69, v89, v68
	s_waitcnt lgkmcnt(0)
	v_max_f32_e32 v69, v69, v69
	v_max_f32_e32 v68, v68, v69
	s_delay_alu instid0(VALU_DEP_1) | instskip(NEXT) | instid1(VALU_DEP_1)
	v_fma_f32 v71, s18, v126, -v68
	v_mul_f32_e32 v71, 0x3fb8aa3b, v71
	s_delay_alu instid0(VALU_DEP_1) | instskip(SKIP_3) | instid1(VALU_DEP_1)
	v_exp_f32_e32 v71, v71
	s_waitcnt_depctr 0xfff
	v_cndmask_b32_e64 v83, 0, v71, s3
	v_fma_f32 v71, s18, v131, -v68
	v_mul_f32_e32 v71, 0x3fb8aa3b, v71
	v_fma_f32 v69, s18, v124, -v68
	v_fma_f32 v76, s18, v128, -v68
	;; [unrolled: 1-line block ×4, first 2 shown]
	v_exp_f32_e32 v71, v71
	v_mul_f32_e32 v69, 0x3fb8aa3b, v69
	v_mul_f32_e32 v77, 0x3fb8aa3b, v76
	v_fma_f32 v81, s18, v105, -v68
	v_fma_f32 v78, s18, v130, -v68
	s_delay_alu instid0(VALU_DEP_4) | instskip(NEXT) | instid1(VALU_DEP_3)
	v_exp_f32_e32 v69, v69
	v_exp_f32_e32 v77, v77
	s_delay_alu instid0(VALU_DEP_2) | instskip(NEXT) | instid1(TRANS32_DEP_3)
	v_mul_f32_e32 v81, 0x3fb8aa3b, v81
	v_cndmask_b32_e64 v88, 0, v71, s8
	v_fma_f32 v71, s18, v104, -v68
	s_delay_alu instid0(VALU_DEP_3) | instskip(NEXT) | instid1(TRANS32_DEP_3)
	v_exp_f32_e32 v81, v81
	v_cndmask_b32_e64 v80, 0, v69, s2
	v_fma_f32 v69, s18, v129, -v68
	v_mul_f32_e32 v70, 0x3fb8aa3b, v70
	s_delay_alu instid0(TRANS32_DEP_2)
	v_cndmask_b32_e64 v86, 0, v77, s5
	v_mul_f32_e32 v72, 0x3fb8aa3b, v72
	v_fma_f32 v77, s18, v101, -v68
	v_mul_f32_e32 v69, 0x3fb8aa3b, v69
	v_exp_f32_e32 v70, v70
	v_mul_f32_e32 v71, 0x3fb8aa3b, v71
	v_exp_f32_e32 v72, v72
	;; [unrolled: 2-line block ×3, first 2 shown]
	v_cmp_gt_u32_e64 s2, 16, v67
	v_exp_f32_e32 v82, v71
	s_delay_alu instid0(VALU_DEP_2) | instskip(SKIP_4) | instid1(TRANS32_DEP_3)
	v_exp_f32_e32 v77, v77
	v_cndmask_b32_e32 v76, 0, v70, vcc_lo
	v_add_f32_e32 v70, 0, v80
	v_cndmask_b32_e64 v85, 0, v72, s4
	v_fma_f32 v72, s18, v100, -v68
	v_cndmask_b32_e64 v87, 0, v69, s6
	s_delay_alu instid0(VALU_DEP_4) | instskip(NEXT) | instid1(VALU_DEP_3)
	v_add_f32_e32 v70, v70, v76
	v_mul_f32_e32 v72, 0x3fb8aa3b, v72
	s_delay_alu instid0(VALU_DEP_2) | instskip(NEXT) | instid1(VALU_DEP_2)
	v_add_f32_e32 v70, v70, v83
	v_exp_f32_e32 v72, v72
	s_delay_alu instid0(VALU_DEP_1) | instskip(NEXT) | instid1(VALU_DEP_1)
	v_add_f32_e32 v70, v70, v85
	v_add_f32_e32 v69, v70, v86
	v_fma_f32 v70, s18, v102, -v68
	s_delay_alu instid0(VALU_DEP_2) | instskip(NEXT) | instid1(VALU_DEP_2)
	v_dual_add_f32 v69, v69, v87 :: v_dual_mul_f32 v78, 0x3fb8aa3b, v78
	v_mul_f32_e32 v70, 0x3fb8aa3b, v70
	s_delay_alu instid0(VALU_DEP_2) | instskip(NEXT) | instid1(VALU_DEP_1)
	v_exp_f32_e32 v78, v78
	v_exp_f32_e32 v79, v70
	s_delay_alu instid0(TRANS32_DEP_3) | instskip(SKIP_4) | instid1(VALU_DEP_2)
	v_cndmask_b32_e64 v70, 0, v72, s9
	s_waitcnt_depctr 0xfff
	v_cndmask_b32_e64 v84, 0, v78, s7
	v_fma_f32 v78, s18, v103, -v68
	v_cndmask_b32_e64 v71, 0, v79, s11
	v_dual_add_f32 v69, v69, v84 :: v_dual_mul_f32 v78, 0x3fb8aa3b, v78
	s_delay_alu instid0(VALU_DEP_1) | instskip(NEXT) | instid1(VALU_DEP_2)
	v_add_f32_e32 v72, v69, v88
	v_exp_f32_e32 v78, v78
	v_cndmask_b32_e64 v69, 0, v77, s10
	v_fma_f32 v77, s18, v106, -v68
	s_delay_alu instid0(VALU_DEP_1) | instskip(NEXT) | instid1(VALU_DEP_1)
	v_dual_add_f32 v72, v72, v70 :: v_dual_mul_f32 v77, 0x3fb8aa3b, v77
	v_add_f32_e32 v79, v72, v69
	s_waitcnt_depctr 0xfff
	v_cndmask_b32_e64 v72, 0, v78, s12
	v_exp_f32_e32 v90, v77
	v_cndmask_b32_e64 v77, 0, v82, s13
	v_add_f32_e32 v78, v79, v71
	v_fma_f32 v79, s18, v107, -v68
	s_delay_alu instid0(VALU_DEP_1) | instskip(SKIP_1) | instid1(VALU_DEP_2)
	v_dual_add_f32 v82, v78, v72 :: v_dual_mul_f32 v79, 0x3fb8aa3b, v79
	v_cndmask_b32_e64 v78, 0, v81, s15
	v_add_f32_e32 v81, v82, v77
	s_delay_alu instid0(VALU_DEP_3) | instskip(NEXT) | instid1(TRANS32_DEP_2)
	v_exp_f32_e32 v82, v79
	v_cndmask_b32_e64 v79, 0, v90, s16
	s_delay_alu instid0(VALU_DEP_2) | instskip(NEXT) | instid1(VALU_DEP_1)
	v_add_f32_e32 v81, v81, v78
	v_add_f32_e32 v90, v81, v79
	s_waitcnt_depctr 0xfff
	v_cndmask_b32_e64 v81, 0, v82, s17
	s_delay_alu instid0(VALU_DEP_1)
	v_add_f32_e32 v82, v90, v81
	ds_bpermute_b32 v89, v89, v82
	s_and_saveexec_b32 s3, s2
	s_cbranch_execz .LBB1664_12
; %bb.11:
	v_mul_u32_u24_e32 v67, 0x44, v66
	s_delay_alu instid0(VALU_DEP_1) | instskip(SKIP_1) | instid1(VALU_DEP_1)
	v_lshl_add_u32 v67, v65, 2, v67
	s_waitcnt lgkmcnt(0)
	v_dual_add_f32 v82, v82, v89 :: v_dual_add_nc_u32 v67, 0x4000, v67
	ds_store_2addr_b32 v67, v68, v82 offset1:136
.LBB1664_12:
	s_or_b32 exec_lo, exec_lo, s3
	v_lshlrev_b32_e32 v67, 2, v65
	s_waitcnt lgkmcnt(0)
	s_barrier
	buffer_gl0_inv
	v_cmp_eq_u32_e32 vcc_lo, 1, v66
	v_add_nc_u32_e32 v82, 0x4000, v67
	v_cmp_eq_u32_e64 s3, 2, v66
	v_cmp_eq_u32_e64 s5, 7, v66
	ds_load_2addr_b32 v[89:90], v82 offset1:17
	ds_load_2addr_b32 v[91:92], v82 offset0:34 offset1:51
	ds_load_2addr_b32 v[93:94], v82 offset0:68 offset1:85
	;; [unrolled: 1-line block ×4, first 2 shown]
	s_waitcnt lgkmcnt(4)
	v_max3_f32 v67, v89, 0xff7fffff, v90
	s_waitcnt lgkmcnt(3)
	s_delay_alu instid0(VALU_DEP_1) | instskip(SKIP_1) | instid1(VALU_DEP_1)
	v_max3_f32 v67, v67, v91, v92
	s_waitcnt lgkmcnt(2)
	v_max3_f32 v67, v67, v93, v94
	s_waitcnt lgkmcnt(1)
	s_delay_alu instid0(VALU_DEP_1) | instskip(NEXT) | instid1(VALU_DEP_1)
	v_max3_f32 v67, v67, v95, v96
	v_sub_f32_e32 v93, v93, v67
	s_delay_alu instid0(VALU_DEP_1) | instskip(NEXT) | instid1(VALU_DEP_1)
	v_dual_sub_f32 v68, v89, v67 :: v_dual_mul_f32 v103, 0x3fb8aa3b, v93
	v_mul_f32_e32 v68, 0x3fb8aa3b, v68
	s_delay_alu instid0(VALU_DEP_1)
	v_exp_f32_e32 v100, v68
	v_sub_f32_e32 v68, v92, v67
	v_sub_f32_e32 v99, v90, v67
	ds_load_2addr_b32 v[89:90], v82 offset0:170 offset1:187
	v_dual_mul_f32 v102, 0x3fb8aa3b, v68 :: v_dual_mul_f32 v99, 0x3fb8aa3b, v99
	s_waitcnt lgkmcnt(1)
	v_fma_f32 v68, v100, v97, 0
	s_delay_alu instid0(VALU_DEP_2) | instskip(NEXT) | instid1(VALU_DEP_2)
	v_exp_f32_e32 v102, v102
	v_exp_f32_e32 v99, v99
	s_waitcnt_depctr 0xfff
	v_fmac_f32_e32 v68, v99, v98
	v_sub_f32_e32 v91, v91, v67
	s_delay_alu instid0(VALU_DEP_1)
	v_mul_f32_e32 v101, 0x3fb8aa3b, v91
	ds_load_2addr_b32 v[91:92], v82 offset0:204 offset1:221
	v_sub_f32_e32 v97, v94, v67
	ds_load_2addr_b32 v[93:94], v82 offset0:238 offset1:255
	s_waitcnt lgkmcnt(0)
	v_exp_f32_e32 v101, v101
	s_barrier
	buffer_gl0_inv
	v_dual_fmac_f32 v68, v101, v89 :: v_dual_sub_f32 v89, v96, v67
	v_dual_sub_f32 v82, v95, v67 :: v_dual_mul_f32 v95, 0x3fb8aa3b, v97
	v_exp_f32_e32 v97, v103
	s_delay_alu instid0(VALU_DEP_2) | instskip(NEXT) | instid1(VALU_DEP_2)
	v_dual_fmac_f32 v68, v102, v90 :: v_dual_mul_f32 v89, 0x3fb8aa3b, v89
	v_mul_f32_e32 v82, 0x3fb8aa3b, v82
	s_delay_alu instid0(VALU_DEP_3) | instskip(NEXT) | instid1(VALU_DEP_2)
	v_exp_f32_e32 v95, v95
	v_exp_f32_e32 v89, v89
	s_delay_alu instid0(VALU_DEP_1)
	v_exp_f32_e32 v82, v82
	v_fmac_f32_e32 v68, v97, v91
	s_delay_alu instid0(TRANS32_DEP_3) | instid1(VALU_DEP_1)
	v_fmac_f32_e32 v68, v95, v92
	s_waitcnt_depctr 0xfff
	v_fmac_f32_e32 v68, v82, v93
	s_delay_alu instid0(VALU_DEP_1) | instskip(NEXT) | instid1(VALU_DEP_1)
	v_fmac_f32_e32 v68, v89, v94
	v_add_f32_e32 v90, 0x358637bd, v68
	s_delay_alu instid0(VALU_DEP_1) | instskip(NEXT) | instid1(VALU_DEP_1)
	v_div_scale_f32 v91, null, v90, v90, 1.0
	v_rcp_f32_e32 v92, v91
	s_waitcnt_depctr 0xfff
	v_fma_f32 v93, -v91, v92, 1.0
	s_delay_alu instid0(VALU_DEP_1) | instskip(SKIP_1) | instid1(VALU_DEP_2)
	v_dual_fmac_f32 v92, v93, v92 :: v_dual_cndmask_b32 v93, v100, v99
	v_cmp_eq_u32_e32 vcc_lo, 3, v66
	v_cndmask_b32_e64 v93, v93, v101, s3
	v_cmp_eq_u32_e64 s3, 4, v66
	s_delay_alu instid0(VALU_DEP_2) | instskip(SKIP_1) | instid1(VALU_DEP_2)
	v_cndmask_b32_e32 v93, v93, v102, vcc_lo
	v_cmp_eq_u32_e32 vcc_lo, 5, v66
	v_cndmask_b32_e64 v93, v93, v97, s3
	v_cmp_eq_u32_e64 s3, 6, v66
	s_delay_alu instid0(VALU_DEP_2) | instskip(SKIP_1) | instid1(VALU_DEP_1)
	v_cndmask_b32_e32 v93, v93, v95, vcc_lo
	v_div_scale_f32 v94, s4, 1.0, v90, 1.0
	s_mov_b32 vcc_lo, s4
	s_delay_alu instid0(VALU_DEP_2) | instskip(NEXT) | instid1(VALU_DEP_2)
	v_cndmask_b32_e64 v82, v93, v82, s3
	v_mul_f32_e32 v96, v94, v92
	s_mov_b32 s3, exec_lo
	s_delay_alu instid0(VALU_DEP_2) | instskip(NEXT) | instid1(VALU_DEP_2)
	v_cndmask_b32_e64 v82, v82, v89, s5
	v_fma_f32 v98, -v91, v96, v94
	s_delay_alu instid0(VALU_DEP_1) | instskip(NEXT) | instid1(VALU_DEP_1)
	v_fmac_f32_e32 v96, v98, v92
	v_fma_f32 v91, -v91, v96, v94
	s_delay_alu instid0(VALU_DEP_1) | instskip(NEXT) | instid1(VALU_DEP_1)
	v_div_fmas_f32 v91, v91, v92, v96
	v_div_fixup_f32 v90, v91, v90, 1.0
	s_delay_alu instid0(VALU_DEP_1) | instskip(NEXT) | instid1(VALU_DEP_1)
	v_mul_f32_e32 v82, v82, v90
	v_mul_f32_e32 v87, v82, v87
	;; [unrolled: 1-line block ×7, first 2 shown]
	v_dual_mul_f32 v86, v82, v83 :: v_dual_and_b32 v91, 0x7f800000, v90
	v_mul_f32_e32 v85, v82, v76
                                        ; implicit-def: $vgpr76
	s_delay_alu instid0(VALU_DEP_2)
	v_cmpx_ne_u32_e32 0x7f800000, v91
	s_xor_b32 s3, exec_lo, s3
; %bb.13:
	v_bfe_u32 v76, v90, 16, 1
	s_delay_alu instid0(VALU_DEP_1)
	v_add3_u32 v76, v90, v76, 0x7fff
                                        ; implicit-def: $vgpr90
; %bb.14:
	s_and_not1_saveexec_b32 s3, s3
; %bb.15:
	v_and_b32_e32 v76, 0xffff, v90
	v_or_b32_e32 v83, 0x10000, v90
	s_delay_alu instid0(VALU_DEP_2) | instskip(NEXT) | instid1(VALU_DEP_2)
	v_cmp_eq_u32_e32 vcc_lo, 0, v76
	v_cndmask_b32_e32 v76, v83, v90, vcc_lo
; %bb.16:
	s_or_b32 exec_lo, exec_lo, s3
	v_and_b32_e32 v83, 0x7f800000, v85
	s_delay_alu instid0(VALU_DEP_1) | instskip(SKIP_1) | instid1(SALU_CYCLE_1)
	v_cmp_ne_u32_e32 vcc_lo, 0x7f800000, v83
                                        ; implicit-def: $vgpr83
	s_and_saveexec_b32 s3, vcc_lo
	s_xor_b32 s3, exec_lo, s3
; %bb.17:
	v_bfe_u32 v83, v85, 16, 1
	s_delay_alu instid0(VALU_DEP_1)
	v_add3_u32 v83, v85, v83, 0x7fff
                                        ; implicit-def: $vgpr85
; %bb.18:
	s_and_not1_saveexec_b32 s3, s3
; %bb.19:
	v_and_b32_e32 v83, 0xffff, v85
	v_or_b32_e32 v90, 0x10000, v85
	s_delay_alu instid0(VALU_DEP_2) | instskip(NEXT) | instid1(VALU_DEP_2)
	v_cmp_eq_u32_e32 vcc_lo, 0, v83
	v_cndmask_b32_e32 v83, v90, v85, vcc_lo
; %bb.20:
	s_or_b32 exec_lo, exec_lo, s3
	v_and_b32_e32 v85, 0x7f800000, v86
	s_delay_alu instid0(VALU_DEP_1) | instskip(SKIP_1) | instid1(SALU_CYCLE_1)
	v_cmp_ne_u32_e32 vcc_lo, 0x7f800000, v85
                                        ; implicit-def: $vgpr85
	s_and_saveexec_b32 s3, vcc_lo
	s_xor_b32 s3, exec_lo, s3
; %bb.21:
	v_bfe_u32 v85, v86, 16, 1
	s_delay_alu instid0(VALU_DEP_1)
	v_add3_u32 v85, v86, v85, 0x7fff
                                        ; implicit-def: $vgpr86
; %bb.22:
	s_and_not1_saveexec_b32 s3, s3
; %bb.23:
	v_and_b32_e32 v85, 0xffff, v86
	v_or_b32_e32 v90, 0x10000, v86
	s_delay_alu instid0(VALU_DEP_2) | instskip(NEXT) | instid1(VALU_DEP_2)
	v_cmp_eq_u32_e32 vcc_lo, 0, v85
	v_cndmask_b32_e32 v85, v90, v86, vcc_lo
; %bb.24:
	s_or_b32 exec_lo, exec_lo, s3
	v_and_b32_e32 v86, 0x7f800000, v89
	s_delay_alu instid0(VALU_DEP_1) | instskip(SKIP_1) | instid1(SALU_CYCLE_1)
	v_cmp_ne_u32_e32 vcc_lo, 0x7f800000, v86
                                        ; implicit-def: $vgpr86
	s_and_saveexec_b32 s3, vcc_lo
	s_xor_b32 s3, exec_lo, s3
; %bb.25:
	v_bfe_u32 v86, v89, 16, 1
	s_delay_alu instid0(VALU_DEP_1)
	v_add3_u32 v86, v89, v86, 0x7fff
                                        ; implicit-def: $vgpr89
; %bb.26:
	s_and_not1_saveexec_b32 s3, s3
; %bb.27:
	v_and_b32_e32 v86, 0xffff, v89
	v_or_b32_e32 v90, 0x10000, v89
	s_delay_alu instid0(VALU_DEP_2) | instskip(NEXT) | instid1(VALU_DEP_2)
	v_cmp_eq_u32_e32 vcc_lo, 0, v86
	v_cndmask_b32_e32 v86, v90, v89, vcc_lo
; %bb.28:
	s_or_b32 exec_lo, exec_lo, s3
	v_and_b32_e32 v89, 0x7f800000, v88
	s_delay_alu instid0(VALU_DEP_1) | instskip(SKIP_1) | instid1(SALU_CYCLE_1)
	v_cmp_ne_u32_e32 vcc_lo, 0x7f800000, v89
                                        ; implicit-def: $vgpr89
	s_and_saveexec_b32 s3, vcc_lo
	s_xor_b32 s3, exec_lo, s3
; %bb.29:
	v_bfe_u32 v89, v88, 16, 1
	s_delay_alu instid0(VALU_DEP_1)
	v_add3_u32 v89, v88, v89, 0x7fff
                                        ; implicit-def: $vgpr88
; %bb.30:
	s_and_not1_saveexec_b32 s3, s3
; %bb.31:
	v_and_b32_e32 v89, 0xffff, v88
	v_or_b32_e32 v90, 0x10000, v88
	s_delay_alu instid0(VALU_DEP_2) | instskip(NEXT) | instid1(VALU_DEP_2)
	v_cmp_eq_u32_e32 vcc_lo, 0, v89
	v_cndmask_b32_e32 v89, v90, v88, vcc_lo
; %bb.32:
	s_or_b32 exec_lo, exec_lo, s3
	v_and_b32_e32 v88, 0x7f800000, v87
	s_delay_alu instid0(VALU_DEP_1) | instskip(SKIP_1) | instid1(SALU_CYCLE_1)
	v_cmp_ne_u32_e32 vcc_lo, 0x7f800000, v88
                                        ; implicit-def: $vgpr88
	s_and_saveexec_b32 s3, vcc_lo
	s_xor_b32 s3, exec_lo, s3
; %bb.33:
	v_bfe_u32 v88, v87, 16, 1
	s_delay_alu instid0(VALU_DEP_1)
	v_add3_u32 v88, v87, v88, 0x7fff
                                        ; implicit-def: $vgpr87
; %bb.34:
	s_and_not1_saveexec_b32 s3, s3
; %bb.35:
	v_and_b32_e32 v88, 0xffff, v87
	v_or_b32_e32 v90, 0x10000, v87
	s_delay_alu instid0(VALU_DEP_2) | instskip(NEXT) | instid1(VALU_DEP_2)
	v_cmp_eq_u32_e32 vcc_lo, 0, v88
	v_cndmask_b32_e32 v88, v90, v87, vcc_lo
; %bb.36:
	s_or_b32 exec_lo, exec_lo, s3
	v_and_b32_e32 v87, 0x7f800000, v84
	s_delay_alu instid0(VALU_DEP_1) | instskip(SKIP_1) | instid1(SALU_CYCLE_1)
	v_cmp_ne_u32_e32 vcc_lo, 0x7f800000, v87
                                        ; implicit-def: $vgpr87
	s_and_saveexec_b32 s3, vcc_lo
	s_xor_b32 s3, exec_lo, s3
; %bb.37:
	v_bfe_u32 v87, v84, 16, 1
	s_delay_alu instid0(VALU_DEP_1)
	v_add3_u32 v87, v84, v87, 0x7fff
                                        ; implicit-def: $vgpr84
; %bb.38:
	s_and_not1_saveexec_b32 s3, s3
; %bb.39:
	v_and_b32_e32 v87, 0xffff, v84
	v_or_b32_e32 v90, 0x10000, v84
	s_delay_alu instid0(VALU_DEP_2) | instskip(NEXT) | instid1(VALU_DEP_2)
	v_cmp_eq_u32_e32 vcc_lo, 0, v87
	v_cndmask_b32_e32 v87, v90, v84, vcc_lo
; %bb.40:
	s_or_b32 exec_lo, exec_lo, s3
	v_and_b32_e32 v84, 0x7f800000, v80
	s_delay_alu instid0(VALU_DEP_1) | instskip(SKIP_1) | instid1(SALU_CYCLE_1)
	v_cmp_ne_u32_e32 vcc_lo, 0x7f800000, v84
                                        ; implicit-def: $vgpr84
	s_and_saveexec_b32 s3, vcc_lo
	s_xor_b32 s3, exec_lo, s3
; %bb.41:
	v_bfe_u32 v84, v80, 16, 1
	s_delay_alu instid0(VALU_DEP_1)
	v_add3_u32 v84, v80, v84, 0x7fff
                                        ; implicit-def: $vgpr80
; %bb.42:
	s_and_not1_saveexec_b32 s3, s3
; %bb.43:
	v_and_b32_e32 v84, 0xffff, v80
	v_or_b32_e32 v90, 0x10000, v80
	s_delay_alu instid0(VALU_DEP_2) | instskip(NEXT) | instid1(VALU_DEP_2)
	v_cmp_eq_u32_e32 vcc_lo, 0, v84
	v_cndmask_b32_e32 v84, v90, v80, vcc_lo
; %bb.44:
	s_or_b32 exec_lo, exec_lo, s3
	s_load_b64 s[34:35], s[0:1], 0x94
	v_lshlrev_b32_e32 v91, 4, v74
	s_delay_alu instid0(VALU_DEP_2)
	v_perm_b32 v90, v84, v87, 0x7060302
	v_dual_mul_f32 v79, v82, v79 :: v_dual_lshlrev_b32 v80, 6, v65
	v_dual_mul_f32 v77, v82, v77 :: v_dual_lshlrev_b32 v92, 11, v66
	v_mul_f32_e32 v84, v82, v70
	v_perm_b32 v89, v88, v89, 0x7060302
	v_perm_b32 v88, v86, v85, 0x7060302
	;; [unrolled: 1-line block ×3, first 2 shown]
	v_mul_f32_e32 v70, v82, v81
	v_or3_b32 v76, v91, v92, v80
	v_dual_mul_f32 v78, v82, v78 :: v_dual_and_b32 v85, 0x7f800000, v84
	v_mul_f32_e32 v83, v82, v72
	v_mul_f32_e32 v81, v82, v71
	;; [unrolled: 1-line block ×3, first 2 shown]
	s_mov_b32 s3, exec_lo
	ds_store_b128 v76, v[87:90]
                                        ; implicit-def: $vgpr69
	v_cmpx_ne_u32_e32 0x7f800000, v85
	s_xor_b32 s3, exec_lo, s3
; %bb.45:
	v_bfe_u32 v69, v84, 16, 1
	s_delay_alu instid0(VALU_DEP_1)
	v_add3_u32 v69, v84, v69, 0x7fff
                                        ; implicit-def: $vgpr84
; %bb.46:
	s_and_not1_saveexec_b32 s3, s3
; %bb.47:
	v_and_b32_e32 v69, 0xffff, v84
	v_or_b32_e32 v71, 0x10000, v84
	s_delay_alu instid0(VALU_DEP_2) | instskip(NEXT) | instid1(VALU_DEP_2)
	v_cmp_eq_u32_e32 vcc_lo, 0, v69
	v_cndmask_b32_e32 v69, v71, v84, vcc_lo
; %bb.48:
	s_or_b32 exec_lo, exec_lo, s3
	v_and_b32_e32 v71, 0x7f800000, v72
	s_delay_alu instid0(VALU_DEP_1) | instskip(SKIP_1) | instid1(SALU_CYCLE_1)
	v_cmp_ne_u32_e32 vcc_lo, 0x7f800000, v71
                                        ; implicit-def: $vgpr71
	s_and_saveexec_b32 s3, vcc_lo
	s_xor_b32 s3, exec_lo, s3
; %bb.49:
	v_bfe_u32 v71, v72, 16, 1
	s_delay_alu instid0(VALU_DEP_1)
	v_add3_u32 v71, v72, v71, 0x7fff
                                        ; implicit-def: $vgpr72
; %bb.50:
	s_and_not1_saveexec_b32 s3, s3
; %bb.51:
	v_and_b32_e32 v71, 0xffff, v72
	v_or_b32_e32 v82, 0x10000, v72
	s_delay_alu instid0(VALU_DEP_2) | instskip(NEXT) | instid1(VALU_DEP_2)
	v_cmp_eq_u32_e32 vcc_lo, 0, v71
	v_cndmask_b32_e32 v71, v82, v72, vcc_lo
; %bb.52:
	s_or_b32 exec_lo, exec_lo, s3
	v_and_b32_e32 v72, 0x7f800000, v81
	s_delay_alu instid0(VALU_DEP_1) | instskip(SKIP_1) | instid1(SALU_CYCLE_1)
	v_cmp_ne_u32_e32 vcc_lo, 0x7f800000, v72
                                        ; implicit-def: $vgpr72
	s_and_saveexec_b32 s3, vcc_lo
	s_xor_b32 s3, exec_lo, s3
; %bb.53:
	v_bfe_u32 v72, v81, 16, 1
	s_delay_alu instid0(VALU_DEP_1)
	v_add3_u32 v72, v81, v72, 0x7fff
                                        ; implicit-def: $vgpr81
; %bb.54:
	s_and_not1_saveexec_b32 s3, s3
; %bb.55:
	v_and_b32_e32 v72, 0xffff, v81
	v_or_b32_e32 v82, 0x10000, v81
	s_delay_alu instid0(VALU_DEP_2) | instskip(NEXT) | instid1(VALU_DEP_2)
	v_cmp_eq_u32_e32 vcc_lo, 0, v72
	v_cndmask_b32_e32 v72, v82, v81, vcc_lo
; %bb.56:
	s_or_b32 exec_lo, exec_lo, s3
	v_and_b32_e32 v81, 0x7f800000, v83
	s_delay_alu instid0(VALU_DEP_1) | instskip(SKIP_1) | instid1(SALU_CYCLE_1)
	v_cmp_ne_u32_e32 vcc_lo, 0x7f800000, v81
                                        ; implicit-def: $vgpr81
	s_and_saveexec_b32 s3, vcc_lo
	s_xor_b32 s3, exec_lo, s3
; %bb.57:
	v_bfe_u32 v81, v83, 16, 1
	s_delay_alu instid0(VALU_DEP_1)
	v_add3_u32 v81, v83, v81, 0x7fff
                                        ; implicit-def: $vgpr83
; %bb.58:
	s_and_not1_saveexec_b32 s3, s3
; %bb.59:
	v_and_b32_e32 v81, 0xffff, v83
	v_or_b32_e32 v82, 0x10000, v83
	s_delay_alu instid0(VALU_DEP_2) | instskip(NEXT) | instid1(VALU_DEP_2)
	v_cmp_eq_u32_e32 vcc_lo, 0, v81
	v_cndmask_b32_e32 v81, v82, v83, vcc_lo
; %bb.60:
	s_or_b32 exec_lo, exec_lo, s3
	v_and_b32_e32 v82, 0x7f800000, v77
	s_delay_alu instid0(VALU_DEP_1) | instskip(SKIP_1) | instid1(SALU_CYCLE_1)
	v_cmp_ne_u32_e32 vcc_lo, 0x7f800000, v82
                                        ; implicit-def: $vgpr82
	s_and_saveexec_b32 s3, vcc_lo
	s_xor_b32 s3, exec_lo, s3
; %bb.61:
	v_bfe_u32 v82, v77, 16, 1
	s_delay_alu instid0(VALU_DEP_1)
	v_add3_u32 v82, v77, v82, 0x7fff
                                        ; implicit-def: $vgpr77
; %bb.62:
	s_and_not1_saveexec_b32 s3, s3
; %bb.63:
	v_and_b32_e32 v82, 0xffff, v77
	v_or_b32_e32 v83, 0x10000, v77
	s_delay_alu instid0(VALU_DEP_2) | instskip(NEXT) | instid1(VALU_DEP_2)
	v_cmp_eq_u32_e32 vcc_lo, 0, v82
	v_cndmask_b32_e32 v82, v83, v77, vcc_lo
; %bb.64:
	s_or_b32 exec_lo, exec_lo, s3
	v_and_b32_e32 v77, 0x7f800000, v78
	s_delay_alu instid0(VALU_DEP_1) | instskip(SKIP_1) | instid1(SALU_CYCLE_1)
	v_cmp_ne_u32_e32 vcc_lo, 0x7f800000, v77
                                        ; implicit-def: $vgpr77
	s_and_saveexec_b32 s3, vcc_lo
	s_xor_b32 s3, exec_lo, s3
; %bb.65:
	v_bfe_u32 v77, v78, 16, 1
	s_delay_alu instid0(VALU_DEP_1)
	v_add3_u32 v77, v78, v77, 0x7fff
                                        ; implicit-def: $vgpr78
; %bb.66:
	s_and_not1_saveexec_b32 s3, s3
; %bb.67:
	v_and_b32_e32 v77, 0xffff, v78
	v_or_b32_e32 v83, 0x10000, v78
	s_delay_alu instid0(VALU_DEP_2) | instskip(NEXT) | instid1(VALU_DEP_2)
	v_cmp_eq_u32_e32 vcc_lo, 0, v77
	v_cndmask_b32_e32 v77, v83, v78, vcc_lo
; %bb.68:
	s_or_b32 exec_lo, exec_lo, s3
	v_and_b32_e32 v78, 0x7f800000, v79
	s_delay_alu instid0(VALU_DEP_1) | instskip(SKIP_1) | instid1(SALU_CYCLE_1)
	v_cmp_ne_u32_e32 vcc_lo, 0x7f800000, v78
                                        ; implicit-def: $vgpr78
	s_and_saveexec_b32 s3, vcc_lo
	s_xor_b32 s3, exec_lo, s3
; %bb.69:
	v_bfe_u32 v78, v79, 16, 1
	s_delay_alu instid0(VALU_DEP_1)
	v_add3_u32 v78, v79, v78, 0x7fff
                                        ; implicit-def: $vgpr79
; %bb.70:
	s_and_not1_saveexec_b32 s3, s3
; %bb.71:
	v_and_b32_e32 v78, 0xffff, v79
	v_or_b32_e32 v83, 0x10000, v79
	s_delay_alu instid0(VALU_DEP_2) | instskip(NEXT) | instid1(VALU_DEP_2)
	v_cmp_eq_u32_e32 vcc_lo, 0, v78
	v_cndmask_b32_e32 v78, v83, v79, vcc_lo
; %bb.72:
	s_or_b32 exec_lo, exec_lo, s3
	v_and_b32_e32 v79, 0x7f800000, v70
	s_delay_alu instid0(VALU_DEP_1) | instskip(SKIP_1) | instid1(SALU_CYCLE_1)
	v_cmp_ne_u32_e32 vcc_lo, 0x7f800000, v79
                                        ; implicit-def: $vgpr79
	s_and_saveexec_b32 s3, vcc_lo
	s_xor_b32 s3, exec_lo, s3
; %bb.73:
	v_bfe_u32 v79, v70, 16, 1
	s_delay_alu instid0(VALU_DEP_1)
	v_add3_u32 v79, v70, v79, 0x7fff
                                        ; implicit-def: $vgpr70
; %bb.74:
	s_and_not1_saveexec_b32 s3, s3
; %bb.75:
	v_and_b32_e32 v79, 0xffff, v70
	v_or_b32_e32 v83, 0x10000, v70
	s_delay_alu instid0(VALU_DEP_2) | instskip(NEXT) | instid1(VALU_DEP_2)
	v_cmp_eq_u32_e32 vcc_lo, 0, v79
	v_cndmask_b32_e32 v79, v83, v70, vcc_lo
; %bb.76:
	s_or_b32 exec_lo, exec_lo, s3
	s_delay_alu instid0(VALU_DEP_1)
	v_perm_b32 v86, v79, v78, 0x7060302
	v_perm_b32 v85, v77, v82, 0x7060302
	;; [unrolled: 1-line block ×4, first 2 shown]
	v_lshl_or_b32 v82, v66, 11, v80
	ds_store_b128 v76, v[83:86] offset:1024
	s_waitcnt lgkmcnt(0)
	s_barrier
	buffer_gl0_inv
	ds_load_b128 v[69:72], v82
	ds_load_b128 v[83:86], v82 offset:16
	s_waitcnt lgkmcnt(1)
	v_lshrrev_b32_e32 v66, 16, v69
	s_waitcnt lgkmcnt(0)
	v_lshrrev_b32_e32 v91, 16, v83
	v_lshlrev_b32_e32 v78, 2, v74
	v_lshrrev_b32_e32 v95, 16, v70
	v_lshrrev_b32_e32 v98, 16, v84
	;; [unrolled: 1-line block ×4, first 2 shown]
	v_cmp_eq_u32_e32 vcc_lo, 1, v78
	v_lshrrev_b32_e32 v97, 16, v72
	v_lshrrev_b32_e32 v100, 16, v86
	v_cndmask_b32_e32 v87, v83, v91, vcc_lo
	v_or_b32_e32 v79, 1, v78
	v_cndmask_b32_e32 v81, v69, v66, vcc_lo
	v_cmp_eq_u32_e64 s4, 2, v78
	v_cmp_eq_u32_e64 s7, 3, v78
	;; [unrolled: 1-line block ×5, first 2 shown]
	v_cndmask_b32_e64 v81, v81, v70, s4
	v_cndmask_b32_e64 v87, v87, v84, s4
	v_cmp_eq_u32_e64 s8, 3, v79
	v_cndmask_b32_e64 v88, v69, v66, s3
	v_or_b32_e32 v77, 2, v78
	v_cndmask_b32_e64 v81, v81, v95, s7
	v_cndmask_b32_e64 v87, v87, v98, s7
	;; [unrolled: 1-line block ×4, first 2 shown]
	v_cmp_eq_u32_e64 s10, 5, v78
	v_cndmask_b32_e64 v81, v81, v71, s9
	v_cndmask_b32_e64 v87, v87, v85, s9
	v_cmp_eq_u32_e64 s11, 4, v79
	v_cndmask_b32_e64 v88, v88, v95, s8
	v_cmp_eq_u32_e64 s5, 1, v77
	v_cndmask_b32_e64 v89, v89, v84, s6
	v_cndmask_b32_e64 v81, v81, v96, s10
	v_cmp_eq_u32_e64 s12, 6, v78
	v_cndmask_b32_e64 v88, v88, v71, s11
	;; [unrolled: 3-line block ×3, first 2 shown]
	v_cndmask_b32_e64 v89, v89, v98, s8
	v_cndmask_b32_e64 v81, v81, v72, s12
	v_cmp_eq_u32_e64 s15, 7, v78
	v_cndmask_b32_e64 v88, v88, v96, s13
	v_cndmask_b32_e64 v87, v87, v86, s12
	v_cmp_eq_u32_e64 s16, 6, v79
	v_cmp_eq_u32_e64 s17, 2, v77
	v_cndmask_b32_e64 v89, v89, v85, s11
	v_cndmask_b32_e64 v101, v81, v97, s15
	;; [unrolled: 1-line block ×6, first 2 shown]
	v_cmp_eq_u32_e64 s18, 7, v79
	v_cmp_eq_u32_e64 s19, 3, v77
	;; [unrolled: 1-line block ×4, first 2 shown]
	v_cndmask_b32_e64 v87, v87, v84, s17
	v_cndmask_b32_e64 v103, v88, v97, s18
	v_cndmask_b32_e64 v88, v89, v99, s13
	v_cndmask_b32_e64 v89, v81, v95, s19
	v_or_b32_e32 v81, 3, v78
	v_cndmask_b32_e64 v93, v87, v98, s19
	v_cmp_eq_u32_e64 s24, 6, v77
	v_cndmask_b32_e64 v104, v88, v86, s16
	v_cndmask_b32_e64 v92, v89, v71, s20
	v_cmp_eq_u32_e64 s21, 1, v81
	ds_load_b128 v[87:90], v82 offset:1024
	v_cmp_eq_u32_e64 s23, 2, v81
	v_cmp_eq_u32_e64 s25, 3, v81
	v_cndmask_b32_e64 v105, v92, v96, s22
	v_cndmask_b32_e64 v66, v69, v66, s21
	;; [unrolled: 1-line block ×4, first 2 shown]
	ds_load_b128 v[91:94], v82 offset:1040
	v_cmp_eq_u32_e64 s26, 4, v81
	v_cndmask_b32_e64 v66, v66, v70, s23
	v_cmp_eq_u32_e64 s27, 7, v77
	v_cndmask_b32_e64 v70, v83, v84, s23
	v_cndmask_b32_e64 v84, v105, v72, s24
	v_cmp_eq_u32_e64 s28, 5, v81
	v_cndmask_b32_e64 v66, v66, v95, s25
	v_cmp_eq_u32_e64 s29, 6, v81
	v_cndmask_b32_e64 v70, v70, v98, s25
	v_cndmask_b32_e64 v69, v69, v99, s22
	;; [unrolled: 1-line block ×4, first 2 shown]
	s_waitcnt lgkmcnt(1)
	v_lshrrev_b32_e32 v95, 16, v87
	v_cndmask_b32_e64 v70, v70, v85, s26
	v_cndmask_b32_e64 v71, v84, v97, s27
	;; [unrolled: 1-line block ×4, first 2 shown]
	v_cndmask_b32_e32 v84, v87, v95, vcc_lo
	v_cndmask_b32_e64 v70, v70, v99, s28
	s_waitcnt lgkmcnt(0)
	v_lshrrev_b32_e32 v85, 16, v91
	v_lshrrev_b32_e32 v96, 16, v88
	v_cndmask_b32_e64 v98, v87, v95, s3
	v_cndmask_b32_e64 v84, v84, v88, s4
	;; [unrolled: 1-line block ×3, first 2 shown]
	v_cndmask_b32_e32 v99, v91, v85, vcc_lo
	v_cmp_eq_u32_e32 vcc_lo, 7, v81
	v_cndmask_b32_e64 v66, v66, v72, s29
	v_cndmask_b32_e64 v72, v84, v96, s7
	v_cndmask_b32_e64 v84, v98, v88, s6
	v_lshrrev_b32_e32 v98, 16, v92
	v_cndmask_b32_e32 v70, v70, v100, vcc_lo
	v_cndmask_b32_e64 v86, v99, v92, s4
	v_cndmask_b32_e64 v69, v69, v100, s27
	v_lshrrev_b32_e32 v100, 16, v93
	v_cndmask_b32_e64 v72, v72, v89, s9
	v_lshrrev_b32_e32 v99, 16, v89
	v_cndmask_b32_e64 v86, v86, v98, s7
	v_perm_b32 v71, v69, v71, 0x5040100
	v_cndmask_b32_e64 v84, v84, v96, s8
	s_delay_alu instid0(VALU_DEP_3) | instskip(NEXT) | instid1(VALU_DEP_2)
	v_cndmask_b32_e64 v86, v86, v93, s9
	v_cndmask_b32_e64 v84, v84, v89, s11
	s_delay_alu instid0(VALU_DEP_2) | instskip(NEXT) | instid1(VALU_DEP_1)
	v_cndmask_b32_e64 v86, v86, v100, s10
	v_cndmask_b32_e64 v69, v86, v94, s12
	;; [unrolled: 1-line block ×5, first 2 shown]
	s_delay_alu instid0(VALU_DEP_3) | instskip(NEXT) | instid1(VALU_DEP_3)
	v_cndmask_b32_e64 v86, v86, v88, s17
	v_cndmask_b32_e64 v87, v87, v88, s23
	s_delay_alu instid0(VALU_DEP_3) | instskip(NEXT) | instid1(VALU_DEP_3)
	v_cndmask_b32_e64 v88, v95, v92, s23
	v_cndmask_b32_e64 v86, v86, v96, s19
	;; [unrolled: 3-line block ×7, first 2 shown]
	s_delay_alu instid0(VALU_DEP_3) | instskip(SKIP_2) | instid1(VALU_DEP_2)
	v_cndmask_b32_e64 v88, v88, v94, s29
	v_cndmask_b32_e32 v66, v66, v97, vcc_lo
	v_cndmask_b32_e64 v97, v72, v99, s10
	v_perm_b32 v72, v70, v66, 0x5040100
	v_perm_b32 v70, v83, v103, 0x5040100
	v_cndmask_b32_e64 v103, v91, v85, s5
	v_cndmask_b32_e64 v85, v91, v85, s3
	;; [unrolled: 1-line block ×4, first 2 shown]
	v_lshrrev_b32_e32 v97, 16, v90
	v_cndmask_b32_e64 v91, v103, v92, s17
	v_cndmask_b32_e64 v85, v85, v92, s6
	;; [unrolled: 1-line block ×3, first 2 shown]
	s_mov_b32 s3, exec_lo
	v_cndmask_b32_e64 v83, v84, v97, s15
	v_cndmask_b32_e64 v91, v91, v98, s19
	;; [unrolled: 1-line block ×3, first 2 shown]
	v_lshrrev_b32_e32 v84, 16, v94
	v_cndmask_b32_e64 v66, v66, v97, s18
	v_cndmask_b32_e64 v90, v86, v97, s27
	;; [unrolled: 1-line block ×4, first 2 shown]
	v_dual_cndmask_b32 v86, v87, v97 :: v_dual_cndmask_b32 v87, v88, v84
	v_cndmask_b32_e64 v91, v69, v84, s15
	s_delay_alu instid0(VALU_DEP_4) | instskip(NEXT) | instid1(VALU_DEP_4)
	v_cndmask_b32_e64 v89, v89, v100, s22
	v_cndmask_b32_e64 v85, v85, v100, s13
	v_perm_b32 v69, v102, v101, 0x5040100
	v_perm_b32 v86, v87, v86, 0x5040100
	;; [unrolled: 1-line block ×3, first 2 shown]
	v_cndmask_b32_e64 v89, v89, v94, s24
	v_cndmask_b32_e64 v85, v85, v94, s16
	s_mul_i32 s8, s35, 3
	s_delay_alu instid0(VALU_DEP_2) | instskip(NEXT) | instid1(VALU_DEP_2)
	v_cndmask_b32_e64 v88, v89, v84, s27
	v_cndmask_b32_e64 v89, v85, v84, s18
	s_delay_alu instid0(VALU_DEP_2) | instskip(NEXT) | instid1(VALU_DEP_2)
	v_perm_b32 v85, v88, v90, 0x5040100
	v_perm_b32 v84, v89, v66, 0x5040100
	ds_store_b128 v76, v[69:72]
	ds_store_b128 v76, v[83:86] offset:1024
	v_cmpx_gt_u32_e32 3, v0
	s_cbranch_execz .LBB1664_78
; %bb.77:
	s_mul_i32 s4, s8, s30
	s_delay_alu instid0(SALU_CYCLE_1) | instskip(SKIP_1) | instid1(VALU_DEP_1)
	v_add3_u32 v69, s4, s31, v65
	s_load_b128 s[4:7], s[0:1], 0x58
	v_mad_u64_u32 v[65:66], null, v69, s34, s[14:15]
	s_delay_alu instid0(VALU_DEP_1) | instskip(NEXT) | instid1(VALU_DEP_1)
	v_ashrrev_i32_e32 v66, 31, v65
	v_lshlrev_b64 v[65:66], 2, v[65:66]
	s_waitcnt lgkmcnt(0)
	s_delay_alu instid0(VALU_DEP_1) | instskip(NEXT) | instid1(VALU_DEP_2)
	v_add_co_u32 v69, vcc_lo, s6, v65
	v_add_co_ci_u32_e32 v70, vcc_lo, s7, v66, vcc_lo
	v_add_co_u32 v65, vcc_lo, s4, v65
	v_add_co_ci_u32_e32 v66, vcc_lo, s5, v66, vcc_lo
	global_store_b32 v[69:70], v67, off
	global_store_b32 v[65:66], v68, off
.LBB1664_78:
	s_or_b32 exec_lo, exec_lo, s3
	s_waitcnt lgkmcnt(0)
	s_waitcnt_vscnt null, 0x0
	s_barrier
	buffer_gl0_inv
	ds_load_b128 v[83:86], v80
	ds_load_b128 v[87:90], v80 offset:16
	ds_load_b128 v[95:98], v80 offset:2064
	;; [unrolled: 1-line block ×3, first 2 shown]
	v_mov_b32_e32 v65, 0
	ds_load_b128 v[103:106], v80 offset:4112
	ds_load_b128 v[99:102], v80 offset:4096
	;; [unrolled: 1-line block ×4, first 2 shown]
	v_mov_b32_e32 v66, v65
	v_mov_b32_e32 v67, v65
	;; [unrolled: 1-line block ×7, first 2 shown]
	s_waitcnt lgkmcnt(6)
	s_delay_alu instid0(VALU_DEP_1)
	v_wmma_f32_16x16x16_bf16 v[65:72], v[41:48], v[83:90], v[65:72]
	ds_load_b128 v[45:48], v80 offset:8208
	ds_load_b128 v[41:44], v80 offset:8192
	s_waitcnt lgkmcnt(6)
	v_wmma_f32_16x16x16_bf16 v[65:72], v[33:40], v[91:98], v[65:72]
	ds_load_b128 v[37:40], v80 offset:10256
	ds_load_b128 v[33:36], v80 offset:10240
	s_waitcnt lgkmcnt(6)
	;; [unrolled: 4-line block ×4, first 2 shown]
	v_wmma_f32_16x16x16_bf16 v[65:72], v[1:8], v[41:48], v[65:72]
	s_waitcnt lgkmcnt(4)
	s_delay_alu instid0(VALU_DEP_1) | instskip(SKIP_1) | instid1(VALU_DEP_1)
	v_wmma_f32_16x16x16_bf16 v[65:72], v[9:16], v[33:40], v[65:72]
	s_waitcnt lgkmcnt(2)
	v_wmma_f32_16x16x16_bf16 v[65:72], v[57:64], v[25:32], v[65:72]
	s_waitcnt lgkmcnt(0)
	s_delay_alu instid0(VALU_DEP_1) | instskip(NEXT) | instid1(VALU_DEP_1)
	v_wmma_f32_16x16x16_bf16 v[65:72], v[49:56], v[17:24], v[65:72]
	v_and_b32_e32 v1, 0x7f800000, v65
	s_delay_alu instid0(VALU_DEP_1) | instskip(SKIP_1) | instid1(SALU_CYCLE_1)
	v_cmp_ne_u32_e32 vcc_lo, 0x7f800000, v1
                                        ; implicit-def: $vgpr1
	s_and_saveexec_b32 s3, vcc_lo
	s_xor_b32 s3, exec_lo, s3
; %bb.79:
	v_bfe_u32 v1, v65, 16, 1
	s_delay_alu instid0(VALU_DEP_1)
	v_add3_u32 v1, v65, v1, 0x7fff
; %bb.80:
	s_and_not1_saveexec_b32 s3, s3
; %bb.81:
	v_and_b32_e32 v1, 0xffff, v65
	v_or_b32_e32 v2, 0x10000, v65
	s_delay_alu instid0(VALU_DEP_2) | instskip(NEXT) | instid1(VALU_DEP_2)
	v_cmp_eq_u32_e32 vcc_lo, 0, v1
	v_cndmask_b32_e32 v1, v2, v65, vcc_lo
; %bb.82:
	s_or_b32 exec_lo, exec_lo, s3
	v_and_b32_e32 v2, 0x7f800000, v66
	s_delay_alu instid0(VALU_DEP_1) | instskip(SKIP_1) | instid1(SALU_CYCLE_1)
	v_cmp_ne_u32_e32 vcc_lo, 0x7f800000, v2
                                        ; implicit-def: $vgpr2
	s_and_saveexec_b32 s3, vcc_lo
	s_xor_b32 s3, exec_lo, s3
; %bb.83:
	v_bfe_u32 v2, v66, 16, 1
	s_delay_alu instid0(VALU_DEP_1)
	v_add3_u32 v2, v66, v2, 0x7fff
; %bb.84:
	s_and_not1_saveexec_b32 s3, s3
; %bb.85:
	v_and_b32_e32 v2, 0xffff, v66
	v_or_b32_e32 v3, 0x10000, v66
	s_delay_alu instid0(VALU_DEP_2) | instskip(NEXT) | instid1(VALU_DEP_2)
	v_cmp_eq_u32_e32 vcc_lo, 0, v2
	v_cndmask_b32_e32 v2, v3, v66, vcc_lo
; %bb.86:
	s_or_b32 exec_lo, exec_lo, s3
	v_and_b32_e32 v3, 0x7f800000, v67
	s_delay_alu instid0(VALU_DEP_1) | instskip(SKIP_1) | instid1(SALU_CYCLE_1)
	v_cmp_ne_u32_e32 vcc_lo, 0x7f800000, v3
                                        ; implicit-def: $vgpr3
	s_and_saveexec_b32 s3, vcc_lo
	s_xor_b32 s3, exec_lo, s3
; %bb.87:
	v_bfe_u32 v3, v67, 16, 1
	s_delay_alu instid0(VALU_DEP_1)
	v_add3_u32 v3, v67, v3, 0x7fff
; %bb.88:
	s_and_not1_saveexec_b32 s3, s3
; %bb.89:
	v_and_b32_e32 v3, 0xffff, v67
	v_or_b32_e32 v4, 0x10000, v67
	s_delay_alu instid0(VALU_DEP_2) | instskip(NEXT) | instid1(VALU_DEP_2)
	v_cmp_eq_u32_e32 vcc_lo, 0, v3
	v_cndmask_b32_e32 v3, v4, v67, vcc_lo
; %bb.90:
	s_or_b32 exec_lo, exec_lo, s3
	v_and_b32_e32 v4, 0x7f800000, v68
	s_delay_alu instid0(VALU_DEP_1) | instskip(SKIP_1) | instid1(SALU_CYCLE_1)
	v_cmp_ne_u32_e32 vcc_lo, 0x7f800000, v4
                                        ; implicit-def: $vgpr4
	s_and_saveexec_b32 s3, vcc_lo
	s_xor_b32 s3, exec_lo, s3
; %bb.91:
	v_bfe_u32 v4, v68, 16, 1
	s_delay_alu instid0(VALU_DEP_1)
	v_add3_u32 v4, v68, v4, 0x7fff
; %bb.92:
	s_and_not1_saveexec_b32 s3, s3
; %bb.93:
	v_and_b32_e32 v4, 0xffff, v68
	v_or_b32_e32 v5, 0x10000, v68
	s_delay_alu instid0(VALU_DEP_2) | instskip(NEXT) | instid1(VALU_DEP_2)
	v_cmp_eq_u32_e32 vcc_lo, 0, v4
	v_cndmask_b32_e32 v4, v5, v68, vcc_lo
; %bb.94:
	s_or_b32 exec_lo, exec_lo, s3
	v_and_b32_e32 v5, 0x7f800000, v69
	s_delay_alu instid0(VALU_DEP_1) | instskip(SKIP_1) | instid1(SALU_CYCLE_1)
	v_cmp_ne_u32_e32 vcc_lo, 0x7f800000, v5
                                        ; implicit-def: $vgpr5
	s_and_saveexec_b32 s3, vcc_lo
	s_xor_b32 s3, exec_lo, s3
; %bb.95:
	v_bfe_u32 v5, v69, 16, 1
	s_delay_alu instid0(VALU_DEP_1)
	v_add3_u32 v5, v69, v5, 0x7fff
; %bb.96:
	s_and_not1_saveexec_b32 s3, s3
; %bb.97:
	v_and_b32_e32 v5, 0xffff, v69
	v_or_b32_e32 v6, 0x10000, v69
	s_delay_alu instid0(VALU_DEP_2) | instskip(NEXT) | instid1(VALU_DEP_2)
	v_cmp_eq_u32_e32 vcc_lo, 0, v5
	v_cndmask_b32_e32 v5, v6, v69, vcc_lo
; %bb.98:
	s_or_b32 exec_lo, exec_lo, s3
	v_and_b32_e32 v6, 0x7f800000, v70
	s_delay_alu instid0(VALU_DEP_1) | instskip(SKIP_1) | instid1(SALU_CYCLE_1)
	v_cmp_ne_u32_e32 vcc_lo, 0x7f800000, v6
                                        ; implicit-def: $vgpr6
	s_and_saveexec_b32 s3, vcc_lo
	s_xor_b32 s3, exec_lo, s3
; %bb.99:
	v_bfe_u32 v6, v70, 16, 1
	s_delay_alu instid0(VALU_DEP_1)
	v_add3_u32 v6, v70, v6, 0x7fff
; %bb.100:
	s_and_not1_saveexec_b32 s3, s3
; %bb.101:
	v_and_b32_e32 v6, 0xffff, v70
	v_or_b32_e32 v7, 0x10000, v70
	s_delay_alu instid0(VALU_DEP_2) | instskip(NEXT) | instid1(VALU_DEP_2)
	v_cmp_eq_u32_e32 vcc_lo, 0, v6
	v_cndmask_b32_e32 v6, v7, v70, vcc_lo
; %bb.102:
	s_or_b32 exec_lo, exec_lo, s3
	v_and_b32_e32 v7, 0x7f800000, v71
	s_delay_alu instid0(VALU_DEP_1) | instskip(SKIP_1) | instid1(SALU_CYCLE_1)
	v_cmp_ne_u32_e32 vcc_lo, 0x7f800000, v7
                                        ; implicit-def: $vgpr7
	s_and_saveexec_b32 s3, vcc_lo
	s_xor_b32 s3, exec_lo, s3
; %bb.103:
	v_bfe_u32 v7, v71, 16, 1
	s_delay_alu instid0(VALU_DEP_1)
	v_add3_u32 v7, v71, v7, 0x7fff
; %bb.104:
	s_and_not1_saveexec_b32 s3, s3
; %bb.105:
	v_and_b32_e32 v7, 0xffff, v71
	v_or_b32_e32 v8, 0x10000, v71
	s_delay_alu instid0(VALU_DEP_2) | instskip(NEXT) | instid1(VALU_DEP_2)
	v_cmp_eq_u32_e32 vcc_lo, 0, v7
	v_cndmask_b32_e32 v7, v8, v71, vcc_lo
; %bb.106:
	s_or_b32 exec_lo, exec_lo, s3
	v_and_b32_e32 v8, 0x7f800000, v72
	s_delay_alu instid0(VALU_DEP_1) | instskip(SKIP_1) | instid1(SALU_CYCLE_1)
	v_cmp_ne_u32_e32 vcc_lo, 0x7f800000, v8
                                        ; implicit-def: $vgpr8
	s_and_saveexec_b32 s3, vcc_lo
	s_xor_b32 s3, exec_lo, s3
; %bb.107:
	v_bfe_u32 v8, v72, 16, 1
	s_delay_alu instid0(VALU_DEP_1)
	v_add3_u32 v8, v72, v8, 0x7fff
                                        ; implicit-def: $vgpr65_vgpr66_vgpr67_vgpr68_vgpr69_vgpr70_vgpr71_vgpr72
; %bb.108:
	s_and_not1_saveexec_b32 s3, s3
; %bb.109:
	v_and_b32_e32 v8, 0xffff, v72
	v_or_b32_e32 v9, 0x10000, v72
	s_delay_alu instid0(VALU_DEP_2) | instskip(NEXT) | instid1(VALU_DEP_2)
	v_cmp_eq_u32_e32 vcc_lo, 0, v8
	v_cndmask_b32_e32 v8, v9, v72, vcc_lo
; %bb.110:
	s_or_b32 exec_lo, exec_lo, s3
	s_delay_alu instid0(VALU_DEP_1)
	v_perm_b32 v7, v8, v7, 0x7060302
	v_perm_b32 v6, v6, v5, 0x7060302
	;; [unrolled: 1-line block ×4, first 2 shown]
	s_barrier
	buffer_gl0_inv
	v_cmp_eq_u32_e32 vcc_lo, 1, v78
	ds_store_b128 v76, v[4:7]
	s_waitcnt lgkmcnt(0)
	s_barrier
	buffer_gl0_inv
	ds_load_b128 v[1:4], v82
	ds_load_b128 v[5:8], v82 offset:16
	v_cmp_eq_u32_e64 s3, 1, v79
	v_cmp_eq_u32_e64 s4, 2, v78
	;; [unrolled: 1-line block ×5, first 2 shown]
	s_waitcnt lgkmcnt(1)
	v_lshrrev_b32_e32 v9, 16, v1
	s_waitcnt lgkmcnt(0)
	v_lshrrev_b32_e32 v13, 16, v5
	v_lshrrev_b32_e32 v10, 16, v2
	;; [unrolled: 1-line block ×4, first 2 shown]
	v_cndmask_b32_e64 v19, v1, v9, s3
	v_cndmask_b32_e32 v18, v5, v13, vcc_lo
	v_cndmask_b32_e64 v20, v5, v13, s3
	v_cndmask_b32_e32 v17, v1, v9, vcc_lo
	v_cmp_eq_u32_e32 vcc_lo, 2, v79
	v_lshrrev_b32_e32 v15, 16, v7
	v_cmp_eq_u32_e64 s3, 1, v77
	v_lshrrev_b32_e32 v12, 16, v4
	v_lshrrev_b32_e32 v16, 16, v8
	v_cndmask_b32_e32 v20, v20, v6, vcc_lo
	v_cndmask_b32_e64 v17, v17, v2, s4
	v_cndmask_b32_e32 v19, v19, v2, vcc_lo
	v_cndmask_b32_e64 v18, v18, v6, s4
	v_cmp_eq_u32_e32 vcc_lo, 4, v78
	v_cmp_eq_u32_e64 s4, 3, v79
	v_cndmask_b32_e64 v17, v17, v10, s5
	v_cndmask_b32_e64 v21, v1, v9, s3
	;; [unrolled: 1-line block ×5, first 2 shown]
	v_cndmask_b32_e32 v17, v17, v3, vcc_lo
	v_cndmask_b32_e64 v20, v20, v14, s4
	v_cndmask_b32_e32 v18, v18, v7, vcc_lo
	v_cmp_eq_u32_e32 vcc_lo, 4, v79
	v_cmp_eq_u32_e64 s4, 5, v79
	v_cmp_eq_u32_e64 s3, 2, v81
	v_cndmask_b32_e64 v21, v21, v2, s7
	v_cmp_eq_u32_e64 s5, 5, v78
	v_cndmask_b32_e32 v19, v19, v3, vcc_lo
	v_cndmask_b32_e32 v20, v20, v7, vcc_lo
	v_cmp_eq_u32_e32 vcc_lo, 6, v79
	s_delay_alu instid0(VALU_DEP_4) | instskip(NEXT) | instid1(VALU_DEP_4)
	v_cndmask_b32_e64 v17, v17, v11, s5
	v_cndmask_b32_e64 v19, v19, v11, s4
	s_delay_alu instid0(VALU_DEP_4) | instskip(SKIP_1) | instid1(VALU_DEP_3)
	v_cndmask_b32_e64 v20, v20, v15, s4
	v_cmp_eq_u32_e64 s4, 1, v81
	v_cndmask_b32_e32 v19, v19, v4, vcc_lo
	v_cndmask_b32_e64 v18, v18, v15, s5
	s_delay_alu instid0(VALU_DEP_3)
	v_cndmask_b32_e64 v1, v1, v9, s4
	v_cndmask_b32_e64 v5, v5, v13, s4
	v_cmp_eq_u32_e64 s4, 3, v77
	v_cndmask_b32_e64 v13, v22, v6, s7
	v_cmp_eq_u32_e64 s7, 3, v81
	v_cndmask_b32_e64 v1, v1, v2, s3
	v_cndmask_b32_e64 v2, v5, v6, s3
	;; [unrolled: 1-line block ×3, first 2 shown]
	v_cmp_eq_u32_e64 s3, 4, v77
	v_cndmask_b32_e64 v6, v13, v14, s4
	v_cndmask_b32_e64 v1, v1, v10, s7
	v_cmp_eq_u32_e64 s4, 4, v81
	v_cndmask_b32_e64 v2, v2, v14, s7
	v_cndmask_b32_e64 v5, v9, v3, s3
	;; [unrolled: 3-line block ×3, first 2 shown]
	v_cndmask_b32_e64 v2, v2, v7, s4
	v_cmp_eq_u32_e64 s3, 5, v81
	v_cmp_eq_u32_e64 s5, 6, v78
	v_cndmask_b32_e64 v5, v5, v11, s7
	v_cmp_eq_u32_e64 s4, 6, v77
	v_cndmask_b32_e64 v3, v6, v15, s7
	v_cndmask_b32_e64 v1, v1, v11, s3
	v_cmp_eq_u32_e64 s7, 6, v81
	v_cndmask_b32_e64 v2, v2, v15, s3
	v_cndmask_b32_e64 v17, v17, v4, s5
	v_cndmask_b32_e64 v18, v18, v8, s5
	v_cmp_eq_u32_e64 s5, 7, v78
	v_cndmask_b32_e64 v5, v5, v4, s4
	;; [unrolled: 4-line block ×3, first 2 shown]
	v_cmp_eq_u32_e64 s4, 7, v77
	v_cndmask_b32_e32 v4, v20, v8, vcc_lo
	v_cndmask_b32_e64 v17, v17, v12, s5
	v_cndmask_b32_e64 v19, v19, v12, s6
	;; [unrolled: 1-line block ×8, first 2 shown]
	s_mov_b32 s3, exec_lo
	v_perm_b32 v4, v2, v1, 0x5040100
	v_perm_b32 v3, v3, v5, 0x5040100
	;; [unrolled: 1-line block ×4, first 2 shown]
	ds_store_b128 v76, v[1:4]
	s_waitcnt lgkmcnt(0)
	s_barrier
	buffer_gl0_inv
	v_cmpx_gt_u32_e32 32, v0
	s_cbranch_execz .LBB1664_2
; %bb.111:
	s_load_b64 s[4:5], s[0:1], 0x68
	v_lshlrev_b32_e32 v0, 10, v0
	v_lshlrev_b32_e32 v2, 4, v75
	v_add_nc_u32_e32 v1, s31, v74
	s_lshl_b32 s0, s34, 7
	s_delay_alu instid0(SALU_CYCLE_1) | instskip(NEXT) | instid1(VALU_DEP_2)
	s_mul_i32 s1, s0, s30
	v_and_or_b32 v0, 0x3800, v0, v2
	s_mul_i32 s6, s1, s8
	v_mul_lo_u32 v1, v1, s0
	s_ashr_i32 s7, s6, 31
	s_delay_alu instid0(VALU_DEP_2) | instskip(SKIP_1) | instid1(VALU_DEP_2)
	v_lshl_or_b32 v3, v74, 6, v0
	s_lshl_b64 s[6:7], s[6:7], 1
	v_ashrrev_i32_e32 v2, 31, v1
	ds_load_b128 v[3:6], v3
	s_waitcnt lgkmcnt(0)
	s_add_u32 s1, s4, s6
	s_addc_u32 s3, s5, s7
	s_lshl_b32 s4, s14, 7
	v_lshlrev_b64 v[7:8], 1, v[1:2]
	s_ashr_i32 s5, s4, 31
	s_delay_alu instid0(SALU_CYCLE_1) | instskip(NEXT) | instid1(SALU_CYCLE_1)
	s_lshl_b64 s[4:5], s[4:5], 1
	s_add_u32 s1, s1, s4
	s_addc_u32 s3, s3, s5
	v_add_co_u32 v1, s1, s1, v73
	s_delay_alu instid0(VALU_DEP_1) | instskip(NEXT) | instid1(VALU_DEP_2)
	v_add_co_ci_u32_e64 v2, null, s3, 0, s1
	v_add_co_u32 v7, vcc_lo, v1, v7
	s_delay_alu instid0(VALU_DEP_2)
	v_add_co_ci_u32_e32 v8, vcc_lo, v2, v8, vcc_lo
	global_store_b128 v[7:8], v[3:6], off
	s_and_b32 exec_lo, exec_lo, s2
	s_cbranch_execz .LBB1664_2
; %bb.112:
	ds_load_b128 v[3:6], v0 offset:128
	s_add_i32 s1, s31, 2
	s_delay_alu instid0(SALU_CYCLE_1) | instskip(NEXT) | instid1(SALU_CYCLE_1)
	s_mul_i32 s0, s1, s0
	s_ashr_i32 s1, s0, 31
	s_delay_alu instid0(SALU_CYCLE_1) | instskip(NEXT) | instid1(SALU_CYCLE_1)
	s_lshl_b64 s[0:1], s[0:1], 1
	v_add_co_u32 v0, vcc_lo, v1, s0
	v_add_co_ci_u32_e32 v1, vcc_lo, s1, v2, vcc_lo
	s_waitcnt lgkmcnt(0)
	global_store_b128 v[0:1], v[3:6], off
	s_nop 0
	s_sendmsg sendmsg(MSG_DEALLOC_VGPRS)
	s_endpgm
	.section	.rodata,"a",@progbits
	.p2align	6, 0x0
	.amdhsa_kernel _Z39paged_attention_ll4mi_QKV_mfma16_kernelI14__hip_bfloat16hLN4vllm18Fp8KVCacheDataTypeE1ES0_Li32ELi128ELi256ELb0ELi3EL8MFMAType1EEvPKT_PKT0_S9_ifPKiSB_SB_iPKfiiiPfSE_PS4_PT2_iSD_SD_
		.amdhsa_group_segment_fixed_size 17472
		.amdhsa_private_segment_fixed_size 0
		.amdhsa_kernarg_size 400
		.amdhsa_user_sgpr_count 13
		.amdhsa_user_sgpr_dispatch_ptr 0
		.amdhsa_user_sgpr_queue_ptr 0
		.amdhsa_user_sgpr_kernarg_segment_ptr 1
		.amdhsa_user_sgpr_dispatch_id 0
		.amdhsa_user_sgpr_private_segment_size 0
		.amdhsa_wavefront_size32 1
		.amdhsa_uses_dynamic_stack 0
		.amdhsa_enable_private_segment 0
		.amdhsa_system_sgpr_workgroup_id_x 1
		.amdhsa_system_sgpr_workgroup_id_y 1
		.amdhsa_system_sgpr_workgroup_id_z 1
		.amdhsa_system_sgpr_workgroup_info 0
		.amdhsa_system_vgpr_workitem_id 0
		.amdhsa_next_free_vgpr 140
		.amdhsa_next_free_sgpr 36
		.amdhsa_reserve_vcc 1
		.amdhsa_float_round_mode_32 0
		.amdhsa_float_round_mode_16_64 0
		.amdhsa_float_denorm_mode_32 3
		.amdhsa_float_denorm_mode_16_64 3
		.amdhsa_dx10_clamp 1
		.amdhsa_ieee_mode 1
		.amdhsa_fp16_overflow 0
		.amdhsa_workgroup_processor_mode 1
		.amdhsa_memory_ordered 1
		.amdhsa_forward_progress 0
		.amdhsa_shared_vgpr_count 0
		.amdhsa_exception_fp_ieee_invalid_op 0
		.amdhsa_exception_fp_denorm_src 0
		.amdhsa_exception_fp_ieee_div_zero 0
		.amdhsa_exception_fp_ieee_overflow 0
		.amdhsa_exception_fp_ieee_underflow 0
		.amdhsa_exception_fp_ieee_inexact 0
		.amdhsa_exception_int_div_zero 0
	.end_amdhsa_kernel
	.section	.text._Z39paged_attention_ll4mi_QKV_mfma16_kernelI14__hip_bfloat16hLN4vllm18Fp8KVCacheDataTypeE1ES0_Li32ELi128ELi256ELb0ELi3EL8MFMAType1EEvPKT_PKT0_S9_ifPKiSB_SB_iPKfiiiPfSE_PS4_PT2_iSD_SD_,"axG",@progbits,_Z39paged_attention_ll4mi_QKV_mfma16_kernelI14__hip_bfloat16hLN4vllm18Fp8KVCacheDataTypeE1ES0_Li32ELi128ELi256ELb0ELi3EL8MFMAType1EEvPKT_PKT0_S9_ifPKiSB_SB_iPKfiiiPfSE_PS4_PT2_iSD_SD_,comdat
.Lfunc_end1664:
	.size	_Z39paged_attention_ll4mi_QKV_mfma16_kernelI14__hip_bfloat16hLN4vllm18Fp8KVCacheDataTypeE1ES0_Li32ELi128ELi256ELb0ELi3EL8MFMAType1EEvPKT_PKT0_S9_ifPKiSB_SB_iPKfiiiPfSE_PS4_PT2_iSD_SD_, .Lfunc_end1664-_Z39paged_attention_ll4mi_QKV_mfma16_kernelI14__hip_bfloat16hLN4vllm18Fp8KVCacheDataTypeE1ES0_Li32ELi128ELi256ELb0ELi3EL8MFMAType1EEvPKT_PKT0_S9_ifPKiSB_SB_iPKfiiiPfSE_PS4_PT2_iSD_SD_
                                        ; -- End function
	.section	.AMDGPU.csdata,"",@progbits
; Kernel info:
; codeLenInByte = 8860
; NumSgprs: 38
; NumVgprs: 140
; ScratchSize: 0
; MemoryBound: 0
; FloatMode: 240
; IeeeMode: 1
; LDSByteSize: 17472 bytes/workgroup (compile time only)
; SGPRBlocks: 4
; VGPRBlocks: 17
; NumSGPRsForWavesPerEU: 38
; NumVGPRsForWavesPerEU: 140
; Occupancy: 10
; WaveLimiterHint : 1
; COMPUTE_PGM_RSRC2:SCRATCH_EN: 0
; COMPUTE_PGM_RSRC2:USER_SGPR: 13
; COMPUTE_PGM_RSRC2:TRAP_HANDLER: 0
; COMPUTE_PGM_RSRC2:TGID_X_EN: 1
; COMPUTE_PGM_RSRC2:TGID_Y_EN: 1
; COMPUTE_PGM_RSRC2:TGID_Z_EN: 1
; COMPUTE_PGM_RSRC2:TIDIG_COMP_CNT: 0
	.section	.text._Z39paged_attention_ll4mi_QKV_mfma16_kernelI14__hip_bfloat16hLN4vllm18Fp8KVCacheDataTypeE1ES0_Li32ELi128ELi256ELb0ELi4EL8MFMAType1EEvPKT_PKT0_S9_ifPKiSB_SB_iPKfiiiPfSE_PS4_PT2_iSD_SD_,"axG",@progbits,_Z39paged_attention_ll4mi_QKV_mfma16_kernelI14__hip_bfloat16hLN4vllm18Fp8KVCacheDataTypeE1ES0_Li32ELi128ELi256ELb0ELi4EL8MFMAType1EEvPKT_PKT0_S9_ifPKiSB_SB_iPKfiiiPfSE_PS4_PT2_iSD_SD_,comdat
	.protected	_Z39paged_attention_ll4mi_QKV_mfma16_kernelI14__hip_bfloat16hLN4vllm18Fp8KVCacheDataTypeE1ES0_Li32ELi128ELi256ELb0ELi4EL8MFMAType1EEvPKT_PKT0_S9_ifPKiSB_SB_iPKfiiiPfSE_PS4_PT2_iSD_SD_ ; -- Begin function _Z39paged_attention_ll4mi_QKV_mfma16_kernelI14__hip_bfloat16hLN4vllm18Fp8KVCacheDataTypeE1ES0_Li32ELi128ELi256ELb0ELi4EL8MFMAType1EEvPKT_PKT0_S9_ifPKiSB_SB_iPKfiiiPfSE_PS4_PT2_iSD_SD_
	.globl	_Z39paged_attention_ll4mi_QKV_mfma16_kernelI14__hip_bfloat16hLN4vllm18Fp8KVCacheDataTypeE1ES0_Li32ELi128ELi256ELb0ELi4EL8MFMAType1EEvPKT_PKT0_S9_ifPKiSB_SB_iPKfiiiPfSE_PS4_PT2_iSD_SD_
	.p2align	8
	.type	_Z39paged_attention_ll4mi_QKV_mfma16_kernelI14__hip_bfloat16hLN4vllm18Fp8KVCacheDataTypeE1ES0_Li32ELi128ELi256ELb0ELi4EL8MFMAType1EEvPKT_PKT0_S9_ifPKiSB_SB_iPKfiiiPfSE_PS4_PT2_iSD_SD_,@function
_Z39paged_attention_ll4mi_QKV_mfma16_kernelI14__hip_bfloat16hLN4vllm18Fp8KVCacheDataTypeE1ES0_Li32ELi128ELi256ELb0ELi4EL8MFMAType1EEvPKT_PKT0_S9_ifPKiSB_SB_iPKfiiiPfSE_PS4_PT2_iSD_SD_: ; @_Z39paged_attention_ll4mi_QKV_mfma16_kernelI14__hip_bfloat16hLN4vllm18Fp8KVCacheDataTypeE1ES0_Li32ELi128ELi256ELb0ELi4EL8MFMAType1EEvPKT_PKT0_S9_ifPKiSB_SB_iPKfiiiPfSE_PS4_PT2_iSD_SD_
; %bb.0:
	s_load_b64 s[4:5], s[0:1], 0x30
	s_mov_b32 s30, s13
	s_waitcnt lgkmcnt(0)
	s_cmp_lg_u64 s[4:5], 0
	s_cselect_b32 s13, -1, 0
	s_ashr_i32 s31, s30, 31
	s_cmp_eq_u64 s[4:5], 0
	s_cbranch_scc1 .LBB1665_3
; %bb.1:
	s_lshl_b64 s[2:3], s[30:31], 2
	s_delay_alu instid0(SALU_CYCLE_1) | instskip(SKIP_4) | instid1(SALU_CYCLE_1)
	s_add_u32 s2, s4, s2
	s_addc_u32 s3, s5, s3
	s_load_b64 s[2:3], s[2:3], 0x0
	s_waitcnt lgkmcnt(0)
	s_sub_i32 s2, s3, s2
	s_cmp_eq_u32 s2, 1
	s_cselect_b32 s2, -1, 0
	s_delay_alu instid0(SALU_CYCLE_1)
	s_and_not1_b32 vcc_lo, exec_lo, s2
	s_cbranch_vccz .LBB1665_4
.LBB1665_2:
	s_endpgm
.LBB1665_3:
.LBB1665_4:
	s_load_b64 s[2:3], s[0:1], 0x28
	s_lshl_b64 s[6:7], s[30:31], 2
	s_waitcnt lgkmcnt(0)
	s_add_u32 s2, s2, s6
	s_addc_u32 s3, s3, s7
	s_lshl_b32 s12, s14, 8
	s_load_b32 s17, s[2:3], 0x0
	s_waitcnt lgkmcnt(0)
	s_cmp_ge_i32 s12, s17
	s_cbranch_scc1 .LBB1665_2
; %bb.5:
	s_clause 0x1
	s_load_b128 s[8:11], s[0:1], 0x8
	s_load_b64 s[2:3], s[0:1], 0x20
	s_and_not1_b32 vcc_lo, exec_lo, s13
	s_cbranch_vccnz .LBB1665_7
; %bb.6:
	s_add_u32 s4, s4, s6
	s_addc_u32 s5, s5, s7
	s_load_b32 s13, s[4:5], 0x0
	s_branch .LBB1665_8
.LBB1665_7:
	s_mov_b32 s13, s30
.LBB1665_8:
	s_load_b128 s[4:7], s[0:1], 0x48
	v_and_b32_e32 v66, 15, v0
	v_lshrrev_b32_e32 v65, 5, v0
	v_and_b32_e32 v67, 31, v0
	v_and_b32_e32 v75, 1, v0
	v_bfe_u32 v74, v0, 4, 1
	v_lshlrev_b32_e32 v1, 3, v66
	s_lshl_b32 s29, s15, 2
	s_waitcnt lgkmcnt(0)
	s_mov_b32 s7, exec_lo
	s_delay_alu instid0(VALU_DEP_1)
	v_lshlrev_b32_e32 v73, 1, v1
	v_cmpx_gt_u32_e32 64, v0
	s_cbranch_execz .LBB1665_10
; %bb.9:
	v_lshl_or_b32 v5, v65, 1, v74
	s_load_b64 s[18:19], s[0:1], 0x0
	s_mul_hi_i32 s21, s13, s4
	s_mul_i32 s20, s13, s4
	v_lshlrev_b32_e32 v6, 10, v66
	v_or_b32_e32 v1, s29, v5
	s_lshl_b64 s[20:21], s[20:21], 1
	v_lshlrev_b32_e32 v5, 6, v5
	v_lshlrev_b32_e32 v7, 10, v75
	v_and_b32_e32 v6, 0x3800, v6
	v_lshlrev_b32_e32 v1, 7, v1
	s_delay_alu instid0(VALU_DEP_2) | instskip(NEXT) | instid1(VALU_DEP_2)
	v_or3_b32 v5, v6, v7, v5
	v_ashrrev_i32_e32 v2, 31, v1
	s_delay_alu instid0(VALU_DEP_1) | instskip(SKIP_3) | instid1(VALU_DEP_1)
	v_lshlrev_b64 v[1:2], 1, v[1:2]
	s_waitcnt lgkmcnt(0)
	s_add_u32 s4, s18, s20
	s_addc_u32 s13, s19, s21
	v_add_co_u32 v1, vcc_lo, s4, v1
	s_delay_alu instid0(VALU_DEP_2) | instskip(NEXT) | instid1(VALU_DEP_2)
	v_add_co_ci_u32_e32 v2, vcc_lo, s13, v2, vcc_lo
	v_add_co_u32 v1, vcc_lo, v1, v73
	s_delay_alu instid0(VALU_DEP_2)
	v_add_co_ci_u32_e32 v2, vcc_lo, 0, v2, vcc_lo
	global_load_b128 v[1:4], v[1:2], off
	s_waitcnt vmcnt(0)
	ds_store_b128 v5, v[1:4]
.LBB1665_10:
	s_or_b32 exec_lo, exec_lo, s7
	v_and_b32_e32 v1, 0xef, v0
	s_add_i32 s4, s17, 31
	s_clause 0x1
	s_load_b32 s7, s[0:1], 0x38
	s_load_b32 s18, s[0:1], 0x1c
	s_ashr_i32 s13, s4, 31
	v_add_nc_u32_e32 v1, s12, v1
	s_lshr_b32 s13, s13, 27
	s_waitcnt lgkmcnt(0)
	s_add_i32 s4, s4, s13
	s_barrier
	v_ashrrev_i32_e32 v2, 31, v1
	v_or_b32_e32 v3, 16, v1
	s_ashr_i32 s4, s4, 5
	v_cmp_gt_i32_e32 vcc_lo, s17, v1
	s_add_i32 s4, s4, -1
	v_lshrrev_b32_e32 v2, 27, v2
	buffer_gl0_inv
	s_mul_i32 s15, s15, s6
	v_add_nc_u32_e32 v4, v1, v2
	s_mul_i32 s20, s30, s7
	s_delay_alu instid0(SALU_CYCLE_1) | instskip(NEXT) | instid1(VALU_DEP_1)
	s_ashr_i32 s21, s20, 31
	v_ashrrev_i32_e32 v4, 5, v4
	v_add_nc_u32_e32 v2, v3, v2
	s_lshl_b64 s[20:21], s[20:21], 2
	s_delay_alu instid0(SALU_CYCLE_1) | instskip(NEXT) | instid1(VALU_DEP_2)
	s_add_u32 s13, s2, s20
	v_cndmask_b32_e32 v1, s4, v4, vcc_lo
	s_delay_alu instid0(VALU_DEP_2)
	v_ashrrev_i32_e32 v2, 5, v2
	v_cmp_gt_i32_e32 vcc_lo, s17, v3
	s_addc_u32 s16, s3, s21
	s_ashr_i32 s19, s15, 31
	s_add_u32 s2, s8, s15
	s_addc_u32 s3, s9, s19
	v_cndmask_b32_e32 v3, s4, v2, vcc_lo
	v_ashrrev_i32_e32 v2, 31, v1
	s_lshl_b32 s6, s14, 3
	s_delay_alu instid0(SALU_CYCLE_1) | instskip(NEXT) | instid1(VALU_DEP_2)
	s_ashr_i32 s7, s6, 31
	v_ashrrev_i32_e32 v4, 31, v3
	s_delay_alu instid0(VALU_DEP_2) | instskip(SKIP_1) | instid1(SALU_CYCLE_1)
	v_lshlrev_b64 v[1:2], 2, v[1:2]
	s_lshl_b64 s[6:7], s[6:7], 2
	s_add_u32 s6, s13, s6
	s_delay_alu instid0(VALU_DEP_2) | instskip(SKIP_1) | instid1(VALU_DEP_2)
	v_lshlrev_b64 v[3:4], 2, v[3:4]
	s_addc_u32 s7, s16, s7
	v_add_co_u32 v1, vcc_lo, s13, v1
	v_add_co_ci_u32_e32 v2, vcc_lo, s16, v2, vcc_lo
	s_delay_alu instid0(VALU_DEP_3) | instskip(NEXT) | instid1(VALU_DEP_4)
	v_add_co_u32 v3, vcc_lo, s13, v3
	v_add_co_ci_u32_e32 v4, vcc_lo, s16, v4, vcc_lo
	s_clause 0x1
	global_load_b32 v5, v[1:2], off
	global_load_b32 v6, v[3:4], off
	s_or_b32 s8, s12, 32
	s_delay_alu instid0(SALU_CYCLE_1) | instskip(SKIP_2) | instid1(SALU_CYCLE_1)
	s_ashr_i32 s9, s8, 5
	s_cmp_lt_i32 s8, s17
	s_cselect_b32 s8, s9, s4
	s_ashr_i32 s9, s8, 31
	s_delay_alu instid0(SALU_CYCLE_1) | instskip(NEXT) | instid1(SALU_CYCLE_1)
	s_lshl_b64 s[8:9], s[8:9], 2
	s_add_u32 s8, s13, s8
	s_addc_u32 s9, s16, s9
	s_or_b32 s20, s12, 64
	s_delay_alu instid0(SALU_CYCLE_1) | instskip(SKIP_2) | instid1(SALU_CYCLE_1)
	s_ashr_i32 s21, s20, 5
	s_cmp_lt_i32 s20, s17
	s_cselect_b32 s20, s21, s4
	s_ashr_i32 s21, s20, 31
	s_delay_alu instid0(SALU_CYCLE_1) | instskip(NEXT) | instid1(SALU_CYCLE_1)
	s_lshl_b64 s[20:21], s[20:21], 2
	s_add_u32 s20, s13, s20
	s_addc_u32 s21, s16, s21
	;; [unrolled: 10-line block ×5, first 2 shown]
	s_clause 0x5
	s_load_b32 s28, s[6:7], 0x0
	s_load_b32 s8, s[8:9], 0x0
	;; [unrolled: 1-line block ×6, first 2 shown]
	s_mov_b32 s20, 0
	s_delay_alu instid0(SALU_CYCLE_1)
	s_mov_b32 s21, s20
	s_mov_b32 s22, s20
	;; [unrolled: 1-line block ×7, first 2 shown]
	s_delay_alu instid0(SALU_CYCLE_1)
	v_dual_mov_b32 v107, s27 :: v_dual_mov_b32 v106, s26
	v_dual_mov_b32 v104, s24 :: v_dual_mov_b32 v103, s23
	v_dual_mov_b32 v101, s21 :: v_dual_mov_b32 v102, s22
	v_dual_mov_b32 v100, s20 :: v_dual_mov_b32 v105, s25
	s_waitcnt vmcnt(1)
	v_mad_i64_i32 v[1:2], null, v5, s5, s[2:3]
	v_lshlrev_b32_e32 v5, 4, v66
	s_waitcnt vmcnt(0)
	v_mad_i64_i32 v[3:4], null, v6, s5, s[2:3]
	s_or_b32 s2, s12, 0xc0
	s_delay_alu instid0(SALU_CYCLE_1) | instskip(NEXT) | instid1(VALU_DEP_3)
	s_ashr_i32 s3, s2, 5
	v_add_co_u32 v33, vcc_lo, v1, v5
	s_delay_alu instid0(VALU_DEP_4) | instskip(NEXT) | instid1(VALU_DEP_3)
	v_add_co_ci_u32_e32 v34, vcc_lo, 0, v2, vcc_lo
	v_add_co_u32 v35, vcc_lo, v3, v5
	s_delay_alu instid0(VALU_DEP_4)
	v_add_co_ci_u32_e32 v36, vcc_lo, 0, v4, vcc_lo
	s_clause 0xf
	global_load_b128 v[1:4], v[33:34], off
	global_load_b128 v[5:8], v[33:34], off offset:512
	global_load_b128 v[9:12], v[35:36], off offset:256
	;; [unrolled: 1-line block ×15, first 2 shown]
	s_cmp_lt_i32 s2, s17
	v_and_b32_e32 v33, 3, v0
	s_cselect_b32 s2, s3, s4
	v_lshlrev_b32_e32 v34, 5, v66
	s_ashr_i32 s3, s2, 31
	s_delay_alu instid0(SALU_CYCLE_1)
	s_lshl_b64 s[2:3], s[2:3], 2
	v_lshlrev_b32_e32 v72, 6, v33
	s_add_u32 s2, s13, s2
	s_addc_u32 s3, s16, s3
	s_or_b32 s6, s12, 0xe0
	v_lshl_or_b32 v41, v65, 9, v34
	s_ashr_i32 s7, s6, 5
	s_cmp_lt_i32 s6, s17
	ds_load_b128 v[33:36], v72
	ds_load_b128 v[37:40], v72 offset:1024
	s_cselect_b32 s6, s7, s4
	ds_load_b128 v[108:111], v72 offset:2048
	ds_load_b128 v[112:115], v72 offset:3072
	s_ashr_i32 s7, s6, 31
	s_load_b32 s4, s[2:3], 0x0
	s_lshl_b64 s[6:7], s[6:7], 2
	ds_load_b128 v[116:119], v72 offset:4096
	ds_load_b128 v[120:123], v72 offset:5120
	s_add_u32 s2, s13, s6
	s_addc_u32 s3, s16, s7
	s_add_u32 s6, s10, s15
	s_load_b32 s2, s[2:3], 0x0
	s_addc_u32 s7, s11, s19
	v_add_co_u32 v68, s6, s6, v41
	s_delay_alu instid0(VALU_DEP_1) | instskip(SKIP_1) | instid1(VALU_DEP_1)
	v_add_co_ci_u32_e64 v69, null, s7, 0, s6
	s_waitcnt lgkmcnt(0)
	v_mad_i64_i32 v[41:42], null, s28, s5, v[68:69]
	v_mad_i64_i32 v[70:71], null, s9, s5, v[68:69]
	;; [unrolled: 1-line block ×7, first 2 shown]
	s_clause 0x3
	global_load_b128 v[49:52], v[41:42], off
	global_load_b128 v[53:56], v[41:42], off offset:16
	global_load_b128 v[41:44], v[45:46], off
	global_load_b128 v[45:48], v[45:46], off offset:16
	s_waitcnt vmcnt(18)
	v_wmma_f32_16x16x16_bf16 v[124:131], v[1:8], v[33:40], v[100:107]
	s_waitcnt vmcnt(16)
	v_wmma_f32_16x16x16_bf16 v[100:107], v[9:16], v[33:40], v[100:107]
	s_clause 0x1
	global_load_b128 v[33:36], v[70:71], off
	global_load_b128 v[37:40], v[70:71], off offset:16
	v_mad_i64_i32 v[70:71], null, s2, s5, v[68:69]
	s_waitcnt vmcnt(16)
	v_wmma_f32_16x16x16_bf16 v[124:131], v[17:24], v[108:115], v[124:131]
	s_waitcnt vmcnt(14)
	v_wmma_f32_16x16x16_bf16 v[100:107], v[25:32], v[108:115], v[100:107]
	s_clause 0x7
	global_load_b128 v[25:28], v[132:133], off
	global_load_b128 v[29:32], v[132:133], off offset:16
	global_load_b128 v[1:4], v[134:135], off
	global_load_b128 v[5:8], v[134:135], off offset:16
	;; [unrolled: 2-line block ×4, first 2 shown]
	s_waitcnt vmcnt(20)
	v_wmma_f32_16x16x16_bf16 v[124:131], v[57:64], v[116:123], v[124:131]
	s_clause 0x1
	global_load_b128 v[57:60], v[70:71], off
	global_load_b128 v[61:64], v[70:71], off offset:16
	s_waitcnt vmcnt(20)
	v_wmma_f32_16x16x16_bf16 v[100:107], v[76:83], v[116:123], v[100:107]
	ds_load_b128 v[76:79], v72 offset:6144
	ds_load_b128 v[80:83], v72 offset:7168
	v_and_b32_e32 v68, 0xe0, v0
	v_mbcnt_lo_u32_b32 v69, -1, 0
	s_waitcnt vmcnt(0) lgkmcnt(0)
	s_barrier
	buffer_gl0_inv
	v_add_nc_u32_e32 v68, s12, v68
	v_xor_b32_e32 v70, 16, v69
	s_delay_alu instid0(VALU_DEP_2) | instskip(NEXT) | instid1(VALU_DEP_2)
	v_or_b32_e32 v68, v68, v74
	v_cmp_gt_i32_e32 vcc_lo, 32, v70
	s_delay_alu instid0(VALU_DEP_2)
	v_or_b32_e32 v71, 4, v68
	v_or_b32_e32 v72, 6, v68
	v_cmp_gt_i32_e64 s2, s17, v68
	v_or_b32_e32 v108, 8, v68
	v_wmma_f32_16x16x16_bf16 v[124:131], v[84:91], v[76:83], v[124:131]
	v_cndmask_b32_e32 v69, v69, v70, vcc_lo
	v_or_b32_e32 v70, 2, v68
	v_wmma_f32_16x16x16_bf16 v[100:107], v[92:99], v[76:83], v[100:107]
	v_or_b32_e32 v109, 10, v68
	v_dual_mul_f32 v78, s18, v131 :: v_dual_mul_f32 v83, s18, v126
	v_dual_mul_f32 v92, s18, v125 :: v_dual_mul_f32 v93, s18, v124
	s_delay_alu instid0(VALU_DEP_4) | instskip(SKIP_2) | instid1(VALU_DEP_4)
	v_mul_f32_e32 v94, s18, v107
	v_cmp_gt_i32_e32 vcc_lo, s17, v70
	v_dual_mul_f32 v81, s18, v128 :: v_dual_mul_f32 v82, s18, v127
	v_cndmask_b32_e64 v93, 0xff7fffff, v93, s2
	v_cmp_gt_i32_e64 s3, s17, v71
	v_cndmask_b32_e32 v92, 0xff7fffff, v92, vcc_lo
	v_cmp_gt_i32_e64 s4, s17, v72
	v_or_b32_e32 v84, 12, v68
	v_or_b32_e32 v85, 14, v68
	v_dual_mul_f32 v79, s18, v130 :: v_dual_mul_f32 v80, s18, v129
	v_cndmask_b32_e64 v71, 0xff7fffff, v83, s3
	v_cndmask_b32_e64 v72, 0xff7fffff, v82, s4
	v_max3_f32 v82, v93, 0xff7fffff, v92
	v_cmp_gt_i32_e64 s5, s17, v108
	v_cmp_gt_i32_e64 s6, s17, v109
	v_or_b32_e32 v86, 16, v68
	v_or_b32_e32 v87, 18, v68
	v_max3_f32 v71, v82, v71, v72
	v_cndmask_b32_e64 v81, 0xff7fffff, v81, s5
	v_cndmask_b32_e64 v80, 0xff7fffff, v80, s6
	v_cmp_gt_i32_e64 s7, s17, v84
	v_cmp_gt_i32_e64 s8, s17, v85
	v_or_b32_e32 v88, 20, v68
	v_or_b32_e32 v89, 22, v68
	v_or_b32_e32 v90, 24, v68
	v_or_b32_e32 v91, 26, v68
	v_or_b32_e32 v76, 28, v68
	v_or_b32_e32 v77, 30, v68
	v_dual_mul_f32 v99, s18, v102 :: v_dual_mul_f32 v70, s18, v101
	v_mul_f32_e32 v68, s18, v100
	v_cndmask_b32_e64 v72, 0xff7fffff, v79, s7
	v_cndmask_b32_e64 v78, 0xff7fffff, v78, s8
	v_max3_f32 v71, v71, v81, v80
	v_cmp_gt_i32_e64 s9, s17, v86
	v_cmp_gt_i32_e64 s10, s17, v87
	v_dual_mul_f32 v97, s18, v104 :: v_dual_mul_f32 v98, s18, v103
	s_delay_alu instid0(VALU_DEP_4) | instskip(SKIP_1) | instid1(VALU_DEP_4)
	v_max3_f32 v71, v71, v72, v78
	v_cmp_gt_i32_e64 s11, s17, v88
	v_cndmask_b32_e64 v70, 0xff7fffff, v70, s10
	v_cmp_gt_i32_e64 s12, s17, v89
	v_lshlrev_b32_e32 v89, 2, v69
	v_cndmask_b32_e64 v68, 0xff7fffff, v68, s9
	v_dual_mul_f32 v95, s18, v106 :: v_dual_mul_f32 v96, s18, v105
	v_cndmask_b32_e64 v72, 0xff7fffff, v99, s11
	v_cndmask_b32_e64 v78, 0xff7fffff, v98, s12
	s_delay_alu instid0(VALU_DEP_4)
	v_max3_f32 v68, v71, v68, v70
	v_cmp_gt_i32_e64 s13, s17, v90
	v_cmp_gt_i32_e64 s15, s17, v91
	;; [unrolled: 1-line block ×4, first 2 shown]
	v_max3_f32 v68, v68, v72, v78
	v_cndmask_b32_e64 v70, 0xff7fffff, v97, s13
	v_cndmask_b32_e64 v71, 0xff7fffff, v96, s15
	;; [unrolled: 1-line block ×4, first 2 shown]
	s_delay_alu instid0(VALU_DEP_3) | instskip(NEXT) | instid1(VALU_DEP_1)
	v_max3_f32 v68, v68, v70, v71
	v_max3_f32 v68, v68, v72, v76
	ds_bpermute_b32 v69, v89, v68
	s_waitcnt lgkmcnt(0)
	v_max_f32_e32 v69, v69, v69
	s_delay_alu instid0(VALU_DEP_1) | instskip(NEXT) | instid1(VALU_DEP_1)
	v_max_f32_e32 v68, v68, v69
	v_fma_f32 v71, s18, v126, -v68
	s_delay_alu instid0(VALU_DEP_1)
	v_mul_f32_e32 v71, 0x3fb8aa3b, v71
	v_fma_f32 v69, s18, v124, -v68
	v_fma_f32 v70, s18, v125, -v68
	;; [unrolled: 1-line block ×4, first 2 shown]
	v_exp_f32_e32 v71, v71
	s_delay_alu instid0(VALU_DEP_3) | instskip(SKIP_2) | instid1(VALU_DEP_3)
	v_dual_mul_f32 v69, 0x3fb8aa3b, v69 :: v_dual_mul_f32 v70, 0x3fb8aa3b, v70
	v_fma_f32 v78, s18, v130, -v68
	v_fma_f32 v81, s18, v105, -v68
	v_exp_f32_e32 v69, v69
	s_delay_alu instid0(VALU_DEP_3) | instskip(SKIP_1) | instid1(VALU_DEP_2)
	v_exp_f32_e32 v70, v70
	v_mul_f32_e32 v77, 0x3fb8aa3b, v76
	v_mul_f32_e32 v81, 0x3fb8aa3b, v81
	s_delay_alu instid0(TRANS32_DEP_3) | instskip(SKIP_1) | instid1(VALU_DEP_3)
	v_cndmask_b32_e64 v83, 0, v71, s3
	v_fma_f32 v71, s18, v131, -v68
	v_exp_f32_e32 v81, v81
	s_delay_alu instid0(TRANS32_DEP_3) | instskip(NEXT) | instid1(TRANS32_DEP_2)
	v_cndmask_b32_e64 v80, 0, v69, s2
	v_cndmask_b32_e32 v76, 0, v70, vcc_lo
	v_fma_f32 v69, s18, v129, -v68
	v_mul_f32_e32 v72, 0x3fb8aa3b, v72
	v_exp_f32_e32 v77, v77
	v_dual_add_f32 v70, 0, v80 :: v_dual_mul_f32 v71, 0x3fb8aa3b, v71
	s_delay_alu instid0(VALU_DEP_3) | instskip(NEXT) | instid1(VALU_DEP_3)
	v_mul_f32_e32 v69, 0x3fb8aa3b, v69
	v_exp_f32_e32 v72, v72
	s_mov_b32 s2, exec_lo
	s_delay_alu instid0(VALU_DEP_2) | instskip(NEXT) | instid1(VALU_DEP_1)
	v_exp_f32_e32 v71, v71
	v_exp_f32_e32 v69, v69
	v_cndmask_b32_e64 v86, 0, v77, s5
	v_fma_f32 v77, s18, v101, -v68
	v_add_f32_e32 v70, v70, v76
	s_delay_alu instid0(TRANS32_DEP_3) | instskip(SKIP_1) | instid1(VALU_DEP_3)
	v_cndmask_b32_e64 v85, 0, v72, s4
	v_fma_f32 v72, s18, v100, -v68
	v_dual_mul_f32 v77, 0x3fb8aa3b, v77 :: v_dual_add_f32 v70, v70, v83
	s_delay_alu instid0(TRANS32_DEP_2) | instskip(SKIP_1) | instid1(TRANS32_DEP_1)
	v_cndmask_b32_e64 v88, 0, v71, s8
	v_fma_f32 v71, s18, v104, -v68
	v_cndmask_b32_e64 v87, 0, v69, s6
	s_delay_alu instid0(VALU_DEP_4) | instskip(NEXT) | instid1(VALU_DEP_2)
	v_exp_f32_e32 v77, v77
	v_dual_add_f32 v70, v70, v85 :: v_dual_mul_f32 v71, 0x3fb8aa3b, v71
	s_delay_alu instid0(VALU_DEP_1) | instskip(SKIP_2) | instid1(VALU_DEP_3)
	v_dual_mul_f32 v72, 0x3fb8aa3b, v72 :: v_dual_add_f32 v69, v70, v86
	v_mul_f32_e32 v78, 0x3fb8aa3b, v78
	v_fma_f32 v70, s18, v102, -v68
	v_exp_f32_e32 v72, v72
	v_exp_f32_e32 v82, v71
	v_add_f32_e32 v69, v69, v87
	v_exp_f32_e32 v78, v78
	v_mul_f32_e32 v70, 0x3fb8aa3b, v70
	s_delay_alu instid0(VALU_DEP_1) | instskip(SKIP_4) | instid1(VALU_DEP_2)
	v_exp_f32_e32 v79, v70
	v_cndmask_b32_e64 v70, 0, v72, s9
	s_waitcnt_depctr 0xfff
	v_cndmask_b32_e64 v84, 0, v78, s7
	v_fma_f32 v78, s18, v103, -v68
	v_add_f32_e32 v69, v69, v84
	v_cndmask_b32_e64 v71, 0, v79, s11
	s_delay_alu instid0(VALU_DEP_2) | instskip(SKIP_2) | instid1(VALU_DEP_1)
	v_add_f32_e32 v72, v69, v88
	v_cndmask_b32_e64 v69, 0, v77, s10
	v_fma_f32 v77, s18, v106, -v68
	v_dual_mul_f32 v77, 0x3fb8aa3b, v77 :: v_dual_add_f32 v72, v72, v70
	v_mul_f32_e32 v78, 0x3fb8aa3b, v78
	s_delay_alu instid0(VALU_DEP_2) | instskip(NEXT) | instid1(VALU_DEP_2)
	v_exp_f32_e32 v90, v77
	v_add_f32_e32 v79, v72, v69
	s_delay_alu instid0(VALU_DEP_2)
	v_exp_f32_e32 v78, v78
	v_cndmask_b32_e64 v77, 0, v82, s13
	s_waitcnt_depctr 0xfff
	v_cndmask_b32_e64 v72, 0, v78, s12
	v_add_f32_e32 v78, v79, v71
	v_fma_f32 v79, s18, v107, -v68
	s_delay_alu instid0(VALU_DEP_1) | instskip(SKIP_1) | instid1(VALU_DEP_2)
	v_dual_add_f32 v82, v78, v72 :: v_dual_mul_f32 v79, 0x3fb8aa3b, v79
	v_cndmask_b32_e64 v78, 0, v81, s15
	v_add_f32_e32 v81, v82, v77
	s_delay_alu instid0(VALU_DEP_3) | instskip(SKIP_1) | instid1(VALU_DEP_2)
	v_exp_f32_e32 v82, v79
	v_cndmask_b32_e64 v79, 0, v90, s16
	v_add_f32_e32 v81, v81, v78
	s_delay_alu instid0(VALU_DEP_1) | instskip(SKIP_2) | instid1(VALU_DEP_1)
	v_add_f32_e32 v90, v81, v79
	s_waitcnt_depctr 0xfff
	v_cndmask_b32_e64 v81, 0, v82, s17
	v_add_f32_e32 v82, v90, v81
	ds_bpermute_b32 v89, v89, v82
	v_cmpx_gt_u32_e32 16, v67
	s_cbranch_execz .LBB1665_12
; %bb.11:
	v_mul_u32_u24_e32 v67, 0x44, v65
	s_delay_alu instid0(VALU_DEP_1) | instskip(SKIP_1) | instid1(VALU_DEP_1)
	v_lshl_add_u32 v67, v66, 2, v67
	s_waitcnt lgkmcnt(0)
	v_dual_add_f32 v82, v82, v89 :: v_dual_add_nc_u32 v67, 0x4000, v67
	ds_store_2addr_b32 v67, v68, v82 offset1:136
.LBB1665_12:
	s_or_b32 exec_lo, exec_lo, s2
	v_lshlrev_b32_e32 v67, 2, v66
	s_waitcnt lgkmcnt(0)
	s_barrier
	buffer_gl0_inv
	v_cmp_eq_u32_e32 vcc_lo, 1, v65
	v_add_nc_u32_e32 v82, 0x4000, v67
	v_cmp_eq_u32_e64 s2, 2, v65
	v_cmp_eq_u32_e64 s4, 7, v65
	ds_load_2addr_b32 v[89:90], v82 offset1:17
	ds_load_2addr_b32 v[91:92], v82 offset0:34 offset1:51
	ds_load_2addr_b32 v[93:94], v82 offset0:68 offset1:85
	;; [unrolled: 1-line block ×4, first 2 shown]
	s_waitcnt lgkmcnt(4)
	v_max3_f32 v67, v89, 0xff7fffff, v90
	s_waitcnt lgkmcnt(3)
	s_delay_alu instid0(VALU_DEP_1) | instskip(SKIP_1) | instid1(VALU_DEP_1)
	v_max3_f32 v67, v67, v91, v92
	s_waitcnt lgkmcnt(2)
	v_max3_f32 v67, v67, v93, v94
	s_waitcnt lgkmcnt(1)
	s_delay_alu instid0(VALU_DEP_1) | instskip(NEXT) | instid1(VALU_DEP_1)
	v_max3_f32 v67, v67, v95, v96
	v_sub_f32_e32 v93, v93, v67
	s_delay_alu instid0(VALU_DEP_1) | instskip(NEXT) | instid1(VALU_DEP_1)
	v_dual_sub_f32 v68, v89, v67 :: v_dual_mul_f32 v103, 0x3fb8aa3b, v93
	v_mul_f32_e32 v68, 0x3fb8aa3b, v68
	s_delay_alu instid0(VALU_DEP_1)
	v_exp_f32_e32 v100, v68
	v_sub_f32_e32 v68, v92, v67
	v_sub_f32_e32 v99, v90, v67
	ds_load_2addr_b32 v[89:90], v82 offset0:170 offset1:187
	v_dual_mul_f32 v102, 0x3fb8aa3b, v68 :: v_dual_mul_f32 v99, 0x3fb8aa3b, v99
	s_waitcnt lgkmcnt(1)
	v_fma_f32 v68, v100, v97, 0
	s_delay_alu instid0(VALU_DEP_2) | instskip(NEXT) | instid1(VALU_DEP_2)
	v_exp_f32_e32 v102, v102
	v_exp_f32_e32 v99, v99
	s_waitcnt_depctr 0xfff
	v_fmac_f32_e32 v68, v99, v98
	v_sub_f32_e32 v91, v91, v67
	s_delay_alu instid0(VALU_DEP_1)
	v_mul_f32_e32 v101, 0x3fb8aa3b, v91
	ds_load_2addr_b32 v[91:92], v82 offset0:204 offset1:221
	v_sub_f32_e32 v97, v94, v67
	ds_load_2addr_b32 v[93:94], v82 offset0:238 offset1:255
	s_waitcnt lgkmcnt(0)
	v_exp_f32_e32 v101, v101
	s_barrier
	buffer_gl0_inv
	v_dual_fmac_f32 v68, v101, v89 :: v_dual_sub_f32 v89, v96, v67
	v_dual_sub_f32 v82, v95, v67 :: v_dual_mul_f32 v95, 0x3fb8aa3b, v97
	v_exp_f32_e32 v97, v103
	s_delay_alu instid0(VALU_DEP_2) | instskip(NEXT) | instid1(VALU_DEP_2)
	v_dual_fmac_f32 v68, v102, v90 :: v_dual_mul_f32 v89, 0x3fb8aa3b, v89
	v_mul_f32_e32 v82, 0x3fb8aa3b, v82
	s_delay_alu instid0(VALU_DEP_3) | instskip(NEXT) | instid1(VALU_DEP_2)
	v_exp_f32_e32 v95, v95
	v_exp_f32_e32 v89, v89
	s_delay_alu instid0(VALU_DEP_1)
	v_exp_f32_e32 v82, v82
	v_fmac_f32_e32 v68, v97, v91
	s_delay_alu instid0(TRANS32_DEP_3) | instid1(VALU_DEP_1)
	v_fmac_f32_e32 v68, v95, v92
	s_waitcnt_depctr 0xfff
	v_fmac_f32_e32 v68, v82, v93
	s_delay_alu instid0(VALU_DEP_1) | instskip(NEXT) | instid1(VALU_DEP_1)
	v_fmac_f32_e32 v68, v89, v94
	v_add_f32_e32 v90, 0x358637bd, v68
	s_delay_alu instid0(VALU_DEP_1) | instskip(NEXT) | instid1(VALU_DEP_1)
	v_div_scale_f32 v91, null, v90, v90, 1.0
	v_rcp_f32_e32 v92, v91
	s_waitcnt_depctr 0xfff
	v_fma_f32 v93, -v91, v92, 1.0
	s_delay_alu instid0(VALU_DEP_1) | instskip(SKIP_1) | instid1(VALU_DEP_2)
	v_dual_fmac_f32 v92, v93, v92 :: v_dual_cndmask_b32 v93, v100, v99
	v_cmp_eq_u32_e32 vcc_lo, 3, v65
	v_cndmask_b32_e64 v93, v93, v101, s2
	v_cmp_eq_u32_e64 s2, 4, v65
	s_delay_alu instid0(VALU_DEP_2) | instskip(SKIP_1) | instid1(VALU_DEP_2)
	v_cndmask_b32_e32 v93, v93, v102, vcc_lo
	v_cmp_eq_u32_e32 vcc_lo, 5, v65
	v_cndmask_b32_e64 v93, v93, v97, s2
	v_cmp_eq_u32_e64 s2, 6, v65
	s_delay_alu instid0(VALU_DEP_2) | instskip(SKIP_1) | instid1(VALU_DEP_1)
	v_cndmask_b32_e32 v93, v93, v95, vcc_lo
	v_div_scale_f32 v94, s3, 1.0, v90, 1.0
	s_mov_b32 vcc_lo, s3
	s_delay_alu instid0(VALU_DEP_2) | instskip(NEXT) | instid1(VALU_DEP_2)
	v_cndmask_b32_e64 v82, v93, v82, s2
	v_mul_f32_e32 v96, v94, v92
	s_mov_b32 s2, exec_lo
	s_delay_alu instid0(VALU_DEP_2) | instskip(NEXT) | instid1(VALU_DEP_2)
	v_cndmask_b32_e64 v82, v82, v89, s4
	v_fma_f32 v98, -v91, v96, v94
	s_delay_alu instid0(VALU_DEP_1) | instskip(NEXT) | instid1(VALU_DEP_1)
	v_fmac_f32_e32 v96, v98, v92
	v_fma_f32 v91, -v91, v96, v94
	s_delay_alu instid0(VALU_DEP_1) | instskip(NEXT) | instid1(VALU_DEP_1)
	v_div_fmas_f32 v91, v91, v92, v96
	v_div_fixup_f32 v90, v91, v90, 1.0
	s_delay_alu instid0(VALU_DEP_1) | instskip(NEXT) | instid1(VALU_DEP_1)
	v_mul_f32_e32 v82, v82, v90
	v_mul_f32_e32 v87, v82, v87
	;; [unrolled: 1-line block ×7, first 2 shown]
	v_dual_mul_f32 v86, v82, v83 :: v_dual_and_b32 v91, 0x7f800000, v90
	v_mul_f32_e32 v85, v82, v76
                                        ; implicit-def: $vgpr76
	s_delay_alu instid0(VALU_DEP_2)
	v_cmpx_ne_u32_e32 0x7f800000, v91
	s_xor_b32 s2, exec_lo, s2
; %bb.13:
	v_bfe_u32 v76, v90, 16, 1
	s_delay_alu instid0(VALU_DEP_1)
	v_add3_u32 v76, v90, v76, 0x7fff
                                        ; implicit-def: $vgpr90
; %bb.14:
	s_and_not1_saveexec_b32 s2, s2
; %bb.15:
	v_and_b32_e32 v76, 0xffff, v90
	v_or_b32_e32 v83, 0x10000, v90
	s_delay_alu instid0(VALU_DEP_2) | instskip(NEXT) | instid1(VALU_DEP_2)
	v_cmp_eq_u32_e32 vcc_lo, 0, v76
	v_cndmask_b32_e32 v76, v83, v90, vcc_lo
; %bb.16:
	s_or_b32 exec_lo, exec_lo, s2
	v_and_b32_e32 v83, 0x7f800000, v85
	s_delay_alu instid0(VALU_DEP_1) | instskip(SKIP_1) | instid1(SALU_CYCLE_1)
	v_cmp_ne_u32_e32 vcc_lo, 0x7f800000, v83
                                        ; implicit-def: $vgpr83
	s_and_saveexec_b32 s2, vcc_lo
	s_xor_b32 s2, exec_lo, s2
; %bb.17:
	v_bfe_u32 v83, v85, 16, 1
	s_delay_alu instid0(VALU_DEP_1)
	v_add3_u32 v83, v85, v83, 0x7fff
                                        ; implicit-def: $vgpr85
; %bb.18:
	s_and_not1_saveexec_b32 s2, s2
; %bb.19:
	v_and_b32_e32 v83, 0xffff, v85
	v_or_b32_e32 v90, 0x10000, v85
	s_delay_alu instid0(VALU_DEP_2) | instskip(NEXT) | instid1(VALU_DEP_2)
	v_cmp_eq_u32_e32 vcc_lo, 0, v83
	v_cndmask_b32_e32 v83, v90, v85, vcc_lo
; %bb.20:
	s_or_b32 exec_lo, exec_lo, s2
	v_and_b32_e32 v85, 0x7f800000, v86
	s_delay_alu instid0(VALU_DEP_1) | instskip(SKIP_1) | instid1(SALU_CYCLE_1)
	v_cmp_ne_u32_e32 vcc_lo, 0x7f800000, v85
                                        ; implicit-def: $vgpr85
	s_and_saveexec_b32 s2, vcc_lo
	s_xor_b32 s2, exec_lo, s2
; %bb.21:
	v_bfe_u32 v85, v86, 16, 1
	s_delay_alu instid0(VALU_DEP_1)
	v_add3_u32 v85, v86, v85, 0x7fff
                                        ; implicit-def: $vgpr86
; %bb.22:
	s_and_not1_saveexec_b32 s2, s2
; %bb.23:
	v_and_b32_e32 v85, 0xffff, v86
	v_or_b32_e32 v90, 0x10000, v86
	s_delay_alu instid0(VALU_DEP_2) | instskip(NEXT) | instid1(VALU_DEP_2)
	v_cmp_eq_u32_e32 vcc_lo, 0, v85
	v_cndmask_b32_e32 v85, v90, v86, vcc_lo
; %bb.24:
	s_or_b32 exec_lo, exec_lo, s2
	v_and_b32_e32 v86, 0x7f800000, v89
	s_delay_alu instid0(VALU_DEP_1) | instskip(SKIP_1) | instid1(SALU_CYCLE_1)
	v_cmp_ne_u32_e32 vcc_lo, 0x7f800000, v86
                                        ; implicit-def: $vgpr86
	s_and_saveexec_b32 s2, vcc_lo
	s_xor_b32 s2, exec_lo, s2
; %bb.25:
	v_bfe_u32 v86, v89, 16, 1
	s_delay_alu instid0(VALU_DEP_1)
	v_add3_u32 v86, v89, v86, 0x7fff
                                        ; implicit-def: $vgpr89
; %bb.26:
	s_and_not1_saveexec_b32 s2, s2
; %bb.27:
	v_and_b32_e32 v86, 0xffff, v89
	v_or_b32_e32 v90, 0x10000, v89
	s_delay_alu instid0(VALU_DEP_2) | instskip(NEXT) | instid1(VALU_DEP_2)
	v_cmp_eq_u32_e32 vcc_lo, 0, v86
	v_cndmask_b32_e32 v86, v90, v89, vcc_lo
; %bb.28:
	s_or_b32 exec_lo, exec_lo, s2
	v_and_b32_e32 v89, 0x7f800000, v88
	s_delay_alu instid0(VALU_DEP_1) | instskip(SKIP_1) | instid1(SALU_CYCLE_1)
	v_cmp_ne_u32_e32 vcc_lo, 0x7f800000, v89
                                        ; implicit-def: $vgpr89
	s_and_saveexec_b32 s2, vcc_lo
	s_xor_b32 s2, exec_lo, s2
; %bb.29:
	v_bfe_u32 v89, v88, 16, 1
	s_delay_alu instid0(VALU_DEP_1)
	v_add3_u32 v89, v88, v89, 0x7fff
                                        ; implicit-def: $vgpr88
; %bb.30:
	s_and_not1_saveexec_b32 s2, s2
; %bb.31:
	v_and_b32_e32 v89, 0xffff, v88
	v_or_b32_e32 v90, 0x10000, v88
	s_delay_alu instid0(VALU_DEP_2) | instskip(NEXT) | instid1(VALU_DEP_2)
	v_cmp_eq_u32_e32 vcc_lo, 0, v89
	v_cndmask_b32_e32 v89, v90, v88, vcc_lo
; %bb.32:
	s_or_b32 exec_lo, exec_lo, s2
	v_and_b32_e32 v88, 0x7f800000, v87
	s_delay_alu instid0(VALU_DEP_1) | instskip(SKIP_1) | instid1(SALU_CYCLE_1)
	v_cmp_ne_u32_e32 vcc_lo, 0x7f800000, v88
                                        ; implicit-def: $vgpr88
	s_and_saveexec_b32 s2, vcc_lo
	s_xor_b32 s2, exec_lo, s2
; %bb.33:
	v_bfe_u32 v88, v87, 16, 1
	s_delay_alu instid0(VALU_DEP_1)
	v_add3_u32 v88, v87, v88, 0x7fff
                                        ; implicit-def: $vgpr87
; %bb.34:
	s_and_not1_saveexec_b32 s2, s2
; %bb.35:
	v_and_b32_e32 v88, 0xffff, v87
	v_or_b32_e32 v90, 0x10000, v87
	s_delay_alu instid0(VALU_DEP_2) | instskip(NEXT) | instid1(VALU_DEP_2)
	v_cmp_eq_u32_e32 vcc_lo, 0, v88
	v_cndmask_b32_e32 v88, v90, v87, vcc_lo
; %bb.36:
	s_or_b32 exec_lo, exec_lo, s2
	v_and_b32_e32 v87, 0x7f800000, v84
	s_delay_alu instid0(VALU_DEP_1) | instskip(SKIP_1) | instid1(SALU_CYCLE_1)
	v_cmp_ne_u32_e32 vcc_lo, 0x7f800000, v87
                                        ; implicit-def: $vgpr87
	s_and_saveexec_b32 s2, vcc_lo
	s_xor_b32 s2, exec_lo, s2
; %bb.37:
	v_bfe_u32 v87, v84, 16, 1
	s_delay_alu instid0(VALU_DEP_1)
	v_add3_u32 v87, v84, v87, 0x7fff
                                        ; implicit-def: $vgpr84
; %bb.38:
	s_and_not1_saveexec_b32 s2, s2
; %bb.39:
	v_and_b32_e32 v87, 0xffff, v84
	v_or_b32_e32 v90, 0x10000, v84
	s_delay_alu instid0(VALU_DEP_2) | instskip(NEXT) | instid1(VALU_DEP_2)
	v_cmp_eq_u32_e32 vcc_lo, 0, v87
	v_cndmask_b32_e32 v87, v90, v84, vcc_lo
; %bb.40:
	s_or_b32 exec_lo, exec_lo, s2
	v_and_b32_e32 v84, 0x7f800000, v80
	s_delay_alu instid0(VALU_DEP_1) | instskip(SKIP_1) | instid1(SALU_CYCLE_1)
	v_cmp_ne_u32_e32 vcc_lo, 0x7f800000, v84
                                        ; implicit-def: $vgpr84
	s_and_saveexec_b32 s2, vcc_lo
	s_xor_b32 s2, exec_lo, s2
; %bb.41:
	v_bfe_u32 v84, v80, 16, 1
	s_delay_alu instid0(VALU_DEP_1)
	v_add3_u32 v84, v80, v84, 0x7fff
                                        ; implicit-def: $vgpr80
; %bb.42:
	s_and_not1_saveexec_b32 s2, s2
; %bb.43:
	v_and_b32_e32 v84, 0xffff, v80
	v_or_b32_e32 v90, 0x10000, v80
	s_delay_alu instid0(VALU_DEP_2) | instskip(NEXT) | instid1(VALU_DEP_2)
	v_cmp_eq_u32_e32 vcc_lo, 0, v84
	v_cndmask_b32_e32 v84, v90, v80, vcc_lo
; %bb.44:
	s_or_b32 exec_lo, exec_lo, s2
	s_load_b64 s[34:35], s[0:1], 0x94
	v_lshlrev_b32_e32 v91, 4, v74
	s_delay_alu instid0(VALU_DEP_2)
	v_perm_b32 v90, v84, v87, 0x7060302
	v_dual_mul_f32 v77, v82, v77 :: v_dual_lshlrev_b32 v80, 6, v66
	v_lshlrev_b32_e32 v66, 11, v65
	v_perm_b32 v87, v83, v76, 0x7060302
	v_mul_f32_e32 v83, v82, v70
	v_perm_b32 v89, v88, v89, 0x7060302
	v_perm_b32 v88, v86, v85, 0x7060302
	v_or3_b32 v76, v91, v66, v80
	v_mul_f32_e32 v66, v82, v81
	v_mul_f32_e32 v70, v82, v79
	;; [unrolled: 1-line block ×3, first 2 shown]
	v_dual_mul_f32 v81, v82, v72 :: v_dual_and_b32 v84, 0x7f800000, v83
	v_mul_f32_e32 v79, v82, v71
	v_mul_f32_e32 v72, v82, v69
	s_mov_b32 s2, exec_lo
	ds_store_b128 v76, v[87:90]
                                        ; implicit-def: $vgpr69
	v_cmpx_ne_u32_e32 0x7f800000, v84
	s_xor_b32 s2, exec_lo, s2
; %bb.45:
	v_bfe_u32 v69, v83, 16, 1
	s_delay_alu instid0(VALU_DEP_1)
	v_add3_u32 v69, v83, v69, 0x7fff
                                        ; implicit-def: $vgpr83
; %bb.46:
	s_and_not1_saveexec_b32 s2, s2
; %bb.47:
	v_and_b32_e32 v69, 0xffff, v83
	v_or_b32_e32 v71, 0x10000, v83
	s_delay_alu instid0(VALU_DEP_2) | instskip(NEXT) | instid1(VALU_DEP_2)
	v_cmp_eq_u32_e32 vcc_lo, 0, v69
	v_cndmask_b32_e32 v69, v71, v83, vcc_lo
; %bb.48:
	s_or_b32 exec_lo, exec_lo, s2
	v_and_b32_e32 v71, 0x7f800000, v72
	s_delay_alu instid0(VALU_DEP_1) | instskip(SKIP_1) | instid1(SALU_CYCLE_1)
	v_cmp_ne_u32_e32 vcc_lo, 0x7f800000, v71
                                        ; implicit-def: $vgpr71
	s_and_saveexec_b32 s2, vcc_lo
	s_xor_b32 s2, exec_lo, s2
; %bb.49:
	v_bfe_u32 v71, v72, 16, 1
	s_delay_alu instid0(VALU_DEP_1)
	v_add3_u32 v71, v72, v71, 0x7fff
                                        ; implicit-def: $vgpr72
; %bb.50:
	s_and_not1_saveexec_b32 s2, s2
; %bb.51:
	v_and_b32_e32 v71, 0xffff, v72
	v_or_b32_e32 v82, 0x10000, v72
	s_delay_alu instid0(VALU_DEP_2) | instskip(NEXT) | instid1(VALU_DEP_2)
	v_cmp_eq_u32_e32 vcc_lo, 0, v71
	v_cndmask_b32_e32 v71, v82, v72, vcc_lo
; %bb.52:
	s_or_b32 exec_lo, exec_lo, s2
	v_and_b32_e32 v72, 0x7f800000, v79
	s_delay_alu instid0(VALU_DEP_1) | instskip(SKIP_1) | instid1(SALU_CYCLE_1)
	v_cmp_ne_u32_e32 vcc_lo, 0x7f800000, v72
                                        ; implicit-def: $vgpr72
	s_and_saveexec_b32 s2, vcc_lo
	s_xor_b32 s2, exec_lo, s2
; %bb.53:
	v_bfe_u32 v72, v79, 16, 1
	s_delay_alu instid0(VALU_DEP_1)
	v_add3_u32 v72, v79, v72, 0x7fff
                                        ; implicit-def: $vgpr79
; %bb.54:
	s_and_not1_saveexec_b32 s2, s2
; %bb.55:
	v_and_b32_e32 v72, 0xffff, v79
	v_or_b32_e32 v82, 0x10000, v79
	s_delay_alu instid0(VALU_DEP_2) | instskip(NEXT) | instid1(VALU_DEP_2)
	v_cmp_eq_u32_e32 vcc_lo, 0, v72
	v_cndmask_b32_e32 v72, v82, v79, vcc_lo
; %bb.56:
	s_or_b32 exec_lo, exec_lo, s2
	v_and_b32_e32 v79, 0x7f800000, v81
	s_delay_alu instid0(VALU_DEP_1) | instskip(SKIP_1) | instid1(SALU_CYCLE_1)
	v_cmp_ne_u32_e32 vcc_lo, 0x7f800000, v79
                                        ; implicit-def: $vgpr79
	s_and_saveexec_b32 s2, vcc_lo
	s_xor_b32 s2, exec_lo, s2
; %bb.57:
	v_bfe_u32 v79, v81, 16, 1
	s_delay_alu instid0(VALU_DEP_1)
	v_add3_u32 v79, v81, v79, 0x7fff
                                        ; implicit-def: $vgpr81
; %bb.58:
	s_and_not1_saveexec_b32 s2, s2
; %bb.59:
	v_and_b32_e32 v79, 0xffff, v81
	v_or_b32_e32 v82, 0x10000, v81
	s_delay_alu instid0(VALU_DEP_2) | instskip(NEXT) | instid1(VALU_DEP_2)
	v_cmp_eq_u32_e32 vcc_lo, 0, v79
	v_cndmask_b32_e32 v79, v82, v81, vcc_lo
; %bb.60:
	s_or_b32 exec_lo, exec_lo, s2
	v_and_b32_e32 v81, 0x7f800000, v77
	s_delay_alu instid0(VALU_DEP_1) | instskip(SKIP_1) | instid1(SALU_CYCLE_1)
	v_cmp_ne_u32_e32 vcc_lo, 0x7f800000, v81
                                        ; implicit-def: $vgpr81
	s_and_saveexec_b32 s2, vcc_lo
	s_xor_b32 s2, exec_lo, s2
; %bb.61:
	v_bfe_u32 v81, v77, 16, 1
	s_delay_alu instid0(VALU_DEP_1)
	v_add3_u32 v81, v77, v81, 0x7fff
                                        ; implicit-def: $vgpr77
; %bb.62:
	s_and_not1_saveexec_b32 s2, s2
; %bb.63:
	v_and_b32_e32 v81, 0xffff, v77
	v_or_b32_e32 v82, 0x10000, v77
	s_delay_alu instid0(VALU_DEP_2) | instskip(NEXT) | instid1(VALU_DEP_2)
	v_cmp_eq_u32_e32 vcc_lo, 0, v81
	v_cndmask_b32_e32 v81, v82, v77, vcc_lo
; %bb.64:
	s_or_b32 exec_lo, exec_lo, s2
	v_and_b32_e32 v77, 0x7f800000, v78
	s_delay_alu instid0(VALU_DEP_1) | instskip(SKIP_1) | instid1(SALU_CYCLE_1)
	v_cmp_ne_u32_e32 vcc_lo, 0x7f800000, v77
                                        ; implicit-def: $vgpr77
	s_and_saveexec_b32 s2, vcc_lo
	s_xor_b32 s2, exec_lo, s2
; %bb.65:
	v_bfe_u32 v77, v78, 16, 1
	s_delay_alu instid0(VALU_DEP_1)
	v_add3_u32 v77, v78, v77, 0x7fff
                                        ; implicit-def: $vgpr78
; %bb.66:
	s_and_not1_saveexec_b32 s2, s2
; %bb.67:
	v_and_b32_e32 v77, 0xffff, v78
	v_or_b32_e32 v82, 0x10000, v78
	s_delay_alu instid0(VALU_DEP_2) | instskip(NEXT) | instid1(VALU_DEP_2)
	v_cmp_eq_u32_e32 vcc_lo, 0, v77
	v_cndmask_b32_e32 v77, v82, v78, vcc_lo
; %bb.68:
	s_or_b32 exec_lo, exec_lo, s2
	v_and_b32_e32 v78, 0x7f800000, v70
	s_delay_alu instid0(VALU_DEP_1) | instskip(SKIP_1) | instid1(SALU_CYCLE_1)
	v_cmp_ne_u32_e32 vcc_lo, 0x7f800000, v78
                                        ; implicit-def: $vgpr78
	s_and_saveexec_b32 s2, vcc_lo
	s_xor_b32 s2, exec_lo, s2
; %bb.69:
	v_bfe_u32 v78, v70, 16, 1
	s_delay_alu instid0(VALU_DEP_1)
	v_add3_u32 v78, v70, v78, 0x7fff
                                        ; implicit-def: $vgpr70
; %bb.70:
	s_and_not1_saveexec_b32 s2, s2
; %bb.71:
	v_and_b32_e32 v78, 0xffff, v70
	v_or_b32_e32 v82, 0x10000, v70
	s_delay_alu instid0(VALU_DEP_2) | instskip(NEXT) | instid1(VALU_DEP_2)
	v_cmp_eq_u32_e32 vcc_lo, 0, v78
	v_cndmask_b32_e32 v78, v82, v70, vcc_lo
; %bb.72:
	s_or_b32 exec_lo, exec_lo, s2
	v_and_b32_e32 v70, 0x7f800000, v66
	s_delay_alu instid0(VALU_DEP_1) | instskip(SKIP_1) | instid1(SALU_CYCLE_1)
	v_cmp_ne_u32_e32 vcc_lo, 0x7f800000, v70
                                        ; implicit-def: $vgpr70
	s_and_saveexec_b32 s2, vcc_lo
	s_xor_b32 s2, exec_lo, s2
; %bb.73:
	v_bfe_u32 v70, v66, 16, 1
	s_delay_alu instid0(VALU_DEP_1)
	v_add3_u32 v70, v66, v70, 0x7fff
                                        ; implicit-def: $vgpr66
; %bb.74:
	s_and_not1_saveexec_b32 s2, s2
; %bb.75:
	v_and_b32_e32 v70, 0xffff, v66
	v_or_b32_e32 v82, 0x10000, v66
	s_delay_alu instid0(VALU_DEP_2) | instskip(NEXT) | instid1(VALU_DEP_2)
	v_cmp_eq_u32_e32 vcc_lo, 0, v70
	v_cndmask_b32_e32 v70, v82, v66, vcc_lo
; %bb.76:
	s_or_b32 exec_lo, exec_lo, s2
	s_delay_alu instid0(VALU_DEP_1)
	v_perm_b32 v86, v70, v78, 0x7060302
	v_perm_b32 v85, v77, v81, 0x7060302
	;; [unrolled: 1-line block ×4, first 2 shown]
	v_lshl_or_b32 v82, v65, 11, v80
	ds_store_b128 v76, v[83:86] offset:1024
	s_waitcnt lgkmcnt(0)
	s_barrier
	buffer_gl0_inv
	ds_load_b128 v[69:72], v82
	ds_load_b128 v[83:86], v82 offset:16
	s_waitcnt lgkmcnt(1)
	v_lshrrev_b32_e32 v65, 16, v69
	v_lshlrev_b32_e32 v78, 2, v74
	s_waitcnt lgkmcnt(0)
	v_lshrrev_b32_e32 v91, 16, v83
	v_lshrrev_b32_e32 v66, 16, v70
	;; [unrolled: 1-line block ×4, first 2 shown]
	v_cmp_eq_u32_e32 vcc_lo, 1, v78
	v_lshrrev_b32_e32 v98, 16, v85
	v_lshrrev_b32_e32 v96, 16, v72
	;; [unrolled: 1-line block ×3, first 2 shown]
	v_cndmask_b32_e32 v81, v69, v65, vcc_lo
	v_or_b32_e32 v79, 1, v78
	v_cmp_eq_u32_e64 s3, 2, v78
	v_cndmask_b32_e32 v87, v83, v91, vcc_lo
	v_cmp_eq_u32_e64 s6, 3, v78
	v_cmp_eq_u32_e64 s8, 4, v78
	;; [unrolled: 1-line block ×3, first 2 shown]
	v_cndmask_b32_e64 v81, v81, v70, s3
	v_cmp_eq_u32_e64 s5, 2, v79
	v_cndmask_b32_e64 v87, v87, v84, s3
	v_cmp_eq_u32_e64 s7, 3, v79
	v_cndmask_b32_e64 v88, v69, v65, s2
	v_cndmask_b32_e64 v81, v81, v66, s6
	v_or_b32_e32 v77, 2, v78
	v_cndmask_b32_e64 v87, v87, v97, s6
	v_cndmask_b32_e64 v89, v83, v91, s2
	;; [unrolled: 1-line block ×4, first 2 shown]
	v_cmp_eq_u32_e64 s9, 5, v78
	v_cndmask_b32_e64 v87, v87, v85, s8
	v_cmp_eq_u32_e64 s10, 4, v79
	v_cndmask_b32_e64 v88, v88, v66, s7
	;; [unrolled: 2-line block ×3, first 2 shown]
	v_cndmask_b32_e64 v81, v81, v95, s9
	v_cmp_eq_u32_e64 s11, 6, v78
	v_cndmask_b32_e64 v88, v88, v71, s10
	v_cndmask_b32_e64 v87, v87, v98, s9
	v_cmp_eq_u32_e64 s12, 5, v79
	v_cndmask_b32_e64 v90, v69, v65, s4
	v_cndmask_b32_e64 v89, v89, v97, s7
	;; [unrolled: 1-line block ×3, first 2 shown]
	v_cmp_eq_u32_e64 s13, 7, v78
	v_cndmask_b32_e64 v88, v88, v95, s12
	v_cndmask_b32_e64 v87, v87, v86, s11
	v_cmp_eq_u32_e64 s15, 6, v79
	v_cmp_eq_u32_e64 s16, 2, v77
	v_cndmask_b32_e64 v89, v89, v85, s10
	v_cndmask_b32_e64 v100, v81, v96, s13
	v_cndmask_b32_e64 v101, v87, v99, s13
	v_cndmask_b32_e64 v88, v88, v72, s15
	v_cndmask_b32_e64 v81, v90, v70, s16
	v_cndmask_b32_e64 v87, v83, v91, s4
	v_cmp_eq_u32_e64 s17, 7, v79
	v_cmp_eq_u32_e64 s18, 3, v77
	v_cmp_eq_u32_e64 s19, 4, v77
	v_cmp_eq_u32_e64 s21, 5, v77
	v_cndmask_b32_e64 v87, v87, v84, s16
	v_cndmask_b32_e64 v102, v88, v96, s17
	;; [unrolled: 1-line block ×4, first 2 shown]
	v_or_b32_e32 v81, 3, v78
	v_cndmask_b32_e64 v93, v87, v97, s18
	v_cmp_eq_u32_e64 s23, 6, v77
	v_cndmask_b32_e64 v103, v88, v86, s15
	v_cndmask_b32_e64 v92, v89, v71, s19
	v_cmp_eq_u32_e64 s20, 1, v81
	ds_load_b128 v[87:90], v82 offset:1024
	v_cmp_eq_u32_e64 s22, 2, v81
	v_cmp_eq_u32_e64 s24, 3, v81
	v_cndmask_b32_e64 v104, v92, v95, s21
	v_cndmask_b32_e64 v65, v69, v65, s20
	;; [unrolled: 1-line block ×4, first 2 shown]
	ds_load_b128 v[91:94], v82 offset:1040
	v_cmp_eq_u32_e64 s25, 4, v81
	v_cndmask_b32_e64 v65, v65, v70, s22
	v_cmp_eq_u32_e64 s27, 5, v81
	v_cndmask_b32_e64 v70, v83, v84, s22
	;; [unrolled: 2-line block ×3, first 2 shown]
	v_cndmask_b32_e64 v65, v65, v66, s24
	v_cndmask_b32_e64 v66, v104, v72, s23
	v_cndmask_b32_e64 v70, v70, v97, s24
	v_cmp_eq_u32_e64 s26, 7, v77
	v_cndmask_b32_e64 v69, v69, v86, s23
	v_cndmask_b32_e64 v65, v65, v71, s25
	s_waitcnt lgkmcnt(1)
	v_lshrrev_b32_e32 v84, 16, v87
	v_cndmask_b32_e64 v70, v70, v85, s25
	v_cndmask_b32_e64 v83, v103, v99, s17
	;; [unrolled: 1-line block ×4, first 2 shown]
	v_lshrrev_b32_e32 v95, 16, v88
	v_cndmask_b32_e64 v70, v70, v98, s27
	s_waitcnt lgkmcnt(0)
	v_lshrrev_b32_e32 v85, 16, v91
	v_cndmask_b32_e64 v97, v87, v84, s2
	v_cndmask_b32_e64 v65, v65, v72, s28
	;; [unrolled: 1-line block ×4, first 2 shown]
	v_cndmask_b32_e32 v71, v87, v84, vcc_lo
	v_cndmask_b32_e32 v98, v91, v85, vcc_lo
	v_cmp_eq_u32_e32 vcc_lo, 7, v81
	v_cndmask_b32_e64 v72, v97, v88, s5
	v_lshrrev_b32_e32 v97, 16, v92
	v_lshrrev_b32_e32 v103, 16, v90
	v_dual_cndmask_b32 v65, v65, v96 :: v_dual_cndmask_b32 v70, v70, v99
	v_cndmask_b32_e64 v71, v71, v88, s3
	v_cndmask_b32_e64 v86, v98, v92, s3
	;; [unrolled: 1-line block ×3, first 2 shown]
	v_lshrrev_b32_e32 v98, 16, v89
	v_lshrrev_b32_e32 v99, 16, v93
	v_cndmask_b32_e64 v71, v71, v95, s6
	v_cndmask_b32_e64 v86, v86, v97, s6
	;; [unrolled: 1-line block ×3, first 2 shown]
	v_perm_b32 v72, v70, v65, 0x5040100
	v_perm_b32 v70, v83, v102, 0x5040100
	v_cndmask_b32_e64 v71, v71, v89, s8
	v_cndmask_b32_e64 v86, v86, v93, s8
	;; [unrolled: 1-line block ×3, first 2 shown]
	v_lshrrev_b32_e32 v83, 16, v94
	s_delay_alu instid0(VALU_DEP_4) | instskip(NEXT) | instid1(VALU_DEP_4)
	v_cndmask_b32_e64 v71, v71, v98, s9
	v_cndmask_b32_e64 v86, v86, v99, s9
	s_delay_alu instid0(VALU_DEP_4) | instskip(NEXT) | instid1(VALU_DEP_3)
	v_cndmask_b32_e64 v65, v65, v90, s15
	v_cndmask_b32_e64 v96, v71, v90, s11
	v_perm_b32 v71, v69, v66, 0x5040100
	s_delay_alu instid0(VALU_DEP_4)
	v_cndmask_b32_e64 v69, v86, v94, s11
	v_cndmask_b32_e64 v86, v87, v84, s4
	;; [unrolled: 1-line block ×34, first 2 shown]
	v_cndmask_b32_e32 v84, v84, v103, vcc_lo
	v_cndmask_b32_e32 v86, v87, v83, vcc_lo
	v_cndmask_b32_e64 v87, v88, v83, s26
	v_cndmask_b32_e64 v88, v85, v83, s17
	v_cndmask_b32_e64 v83, v69, v83, s13
	v_perm_b32 v69, v101, v100, 0x5040100
	v_perm_b32 v86, v86, v84, 0x5040100
	;; [unrolled: 1-line block ×5, first 2 shown]
	s_lshl_b32 s7, s35, 2
	s_mov_b32 s2, exec_lo
	ds_store_b128 v76, v[69:72]
	ds_store_b128 v76, v[83:86] offset:1024
	v_cmpx_gt_u32_e32 4, v0
	s_cbranch_execz .LBB1665_78
; %bb.77:
	v_or_b32_e32 v65, s29, v0
	s_load_b128 s[8:11], s[0:1], 0x58
	s_delay_alu instid0(VALU_DEP_1) | instskip(NEXT) | instid1(VALU_DEP_1)
	v_mad_u64_u32 v[69:70], null, s7, s30, v[65:66]
	v_mad_u64_u32 v[65:66], null, v69, s34, s[14:15]
	s_delay_alu instid0(VALU_DEP_1) | instskip(NEXT) | instid1(VALU_DEP_1)
	v_ashrrev_i32_e32 v66, 31, v65
	v_lshlrev_b64 v[65:66], 2, v[65:66]
	s_waitcnt lgkmcnt(0)
	s_delay_alu instid0(VALU_DEP_1) | instskip(NEXT) | instid1(VALU_DEP_2)
	v_add_co_u32 v69, vcc_lo, s10, v65
	v_add_co_ci_u32_e32 v70, vcc_lo, s11, v66, vcc_lo
	v_add_co_u32 v65, vcc_lo, s8, v65
	v_add_co_ci_u32_e32 v66, vcc_lo, s9, v66, vcc_lo
	global_store_b32 v[69:70], v67, off
	global_store_b32 v[65:66], v68, off
.LBB1665_78:
	s_or_b32 exec_lo, exec_lo, s2
	s_waitcnt lgkmcnt(0)
	s_waitcnt_vscnt null, 0x0
	s_barrier
	buffer_gl0_inv
	ds_load_b128 v[83:86], v80
	ds_load_b128 v[87:90], v80 offset:16
	ds_load_b128 v[95:98], v80 offset:2064
	;; [unrolled: 1-line block ×3, first 2 shown]
	v_mov_b32_e32 v65, 0
	ds_load_b128 v[103:106], v80 offset:4112
	ds_load_b128 v[99:102], v80 offset:4096
	;; [unrolled: 1-line block ×4, first 2 shown]
	v_mov_b32_e32 v66, v65
	v_mov_b32_e32 v67, v65
	;; [unrolled: 1-line block ×7, first 2 shown]
	s_waitcnt lgkmcnt(6)
	s_delay_alu instid0(VALU_DEP_1)
	v_wmma_f32_16x16x16_bf16 v[65:72], v[49:56], v[83:90], v[65:72]
	ds_load_b128 v[53:56], v80 offset:8208
	ds_load_b128 v[49:52], v80 offset:8192
	s_waitcnt lgkmcnt(6)
	v_wmma_f32_16x16x16_bf16 v[65:72], v[41:48], v[91:98], v[65:72]
	ds_load_b128 v[45:48], v80 offset:10256
	ds_load_b128 v[41:44], v80 offset:10240
	s_waitcnt lgkmcnt(6)
	v_wmma_f32_16x16x16_bf16 v[65:72], v[33:40], v[99:106], v[65:72]
	ds_load_b128 v[37:40], v80 offset:12304
	ds_load_b128 v[33:36], v80 offset:12288
	s_waitcnt lgkmcnt(6)
	v_wmma_f32_16x16x16_bf16 v[65:72], v[25:32], v[107:114], v[65:72]
	ds_load_b128 v[29:32], v80 offset:14352
	ds_load_b128 v[25:28], v80 offset:14336
	s_waitcnt lgkmcnt(6)
	v_wmma_f32_16x16x16_bf16 v[65:72], v[1:8], v[49:56], v[65:72]
	s_waitcnt lgkmcnt(4)
	s_delay_alu instid0(VALU_DEP_1) | instskip(SKIP_1) | instid1(VALU_DEP_1)
	v_wmma_f32_16x16x16_bf16 v[65:72], v[9:16], v[41:48], v[65:72]
	s_waitcnt lgkmcnt(2)
	v_wmma_f32_16x16x16_bf16 v[65:72], v[17:24], v[33:40], v[65:72]
	s_waitcnt lgkmcnt(0)
	s_delay_alu instid0(VALU_DEP_1) | instskip(NEXT) | instid1(VALU_DEP_1)
	v_wmma_f32_16x16x16_bf16 v[65:72], v[57:64], v[25:32], v[65:72]
	v_and_b32_e32 v1, 0x7f800000, v65
	s_delay_alu instid0(VALU_DEP_1) | instskip(SKIP_1) | instid1(SALU_CYCLE_1)
	v_cmp_ne_u32_e32 vcc_lo, 0x7f800000, v1
                                        ; implicit-def: $vgpr1
	s_and_saveexec_b32 s2, vcc_lo
	s_xor_b32 s2, exec_lo, s2
; %bb.79:
	v_bfe_u32 v1, v65, 16, 1
	s_delay_alu instid0(VALU_DEP_1)
	v_add3_u32 v1, v65, v1, 0x7fff
; %bb.80:
	s_and_not1_saveexec_b32 s2, s2
; %bb.81:
	v_and_b32_e32 v1, 0xffff, v65
	v_or_b32_e32 v2, 0x10000, v65
	s_delay_alu instid0(VALU_DEP_2) | instskip(NEXT) | instid1(VALU_DEP_2)
	v_cmp_eq_u32_e32 vcc_lo, 0, v1
	v_cndmask_b32_e32 v1, v2, v65, vcc_lo
; %bb.82:
	s_or_b32 exec_lo, exec_lo, s2
	v_and_b32_e32 v2, 0x7f800000, v66
	s_delay_alu instid0(VALU_DEP_1) | instskip(SKIP_1) | instid1(SALU_CYCLE_1)
	v_cmp_ne_u32_e32 vcc_lo, 0x7f800000, v2
                                        ; implicit-def: $vgpr2
	s_and_saveexec_b32 s2, vcc_lo
	s_xor_b32 s2, exec_lo, s2
; %bb.83:
	v_bfe_u32 v2, v66, 16, 1
	s_delay_alu instid0(VALU_DEP_1)
	v_add3_u32 v2, v66, v2, 0x7fff
; %bb.84:
	s_and_not1_saveexec_b32 s2, s2
; %bb.85:
	v_and_b32_e32 v2, 0xffff, v66
	v_or_b32_e32 v3, 0x10000, v66
	s_delay_alu instid0(VALU_DEP_2) | instskip(NEXT) | instid1(VALU_DEP_2)
	v_cmp_eq_u32_e32 vcc_lo, 0, v2
	v_cndmask_b32_e32 v2, v3, v66, vcc_lo
; %bb.86:
	s_or_b32 exec_lo, exec_lo, s2
	v_and_b32_e32 v3, 0x7f800000, v67
	s_delay_alu instid0(VALU_DEP_1) | instskip(SKIP_1) | instid1(SALU_CYCLE_1)
	v_cmp_ne_u32_e32 vcc_lo, 0x7f800000, v3
                                        ; implicit-def: $vgpr3
	s_and_saveexec_b32 s2, vcc_lo
	s_xor_b32 s2, exec_lo, s2
; %bb.87:
	v_bfe_u32 v3, v67, 16, 1
	s_delay_alu instid0(VALU_DEP_1)
	v_add3_u32 v3, v67, v3, 0x7fff
; %bb.88:
	s_and_not1_saveexec_b32 s2, s2
; %bb.89:
	v_and_b32_e32 v3, 0xffff, v67
	v_or_b32_e32 v4, 0x10000, v67
	s_delay_alu instid0(VALU_DEP_2) | instskip(NEXT) | instid1(VALU_DEP_2)
	v_cmp_eq_u32_e32 vcc_lo, 0, v3
	v_cndmask_b32_e32 v3, v4, v67, vcc_lo
; %bb.90:
	s_or_b32 exec_lo, exec_lo, s2
	v_and_b32_e32 v4, 0x7f800000, v68
	s_delay_alu instid0(VALU_DEP_1) | instskip(SKIP_1) | instid1(SALU_CYCLE_1)
	v_cmp_ne_u32_e32 vcc_lo, 0x7f800000, v4
                                        ; implicit-def: $vgpr4
	s_and_saveexec_b32 s2, vcc_lo
	s_xor_b32 s2, exec_lo, s2
; %bb.91:
	v_bfe_u32 v4, v68, 16, 1
	s_delay_alu instid0(VALU_DEP_1)
	v_add3_u32 v4, v68, v4, 0x7fff
; %bb.92:
	s_and_not1_saveexec_b32 s2, s2
; %bb.93:
	v_and_b32_e32 v4, 0xffff, v68
	v_or_b32_e32 v5, 0x10000, v68
	s_delay_alu instid0(VALU_DEP_2) | instskip(NEXT) | instid1(VALU_DEP_2)
	v_cmp_eq_u32_e32 vcc_lo, 0, v4
	v_cndmask_b32_e32 v4, v5, v68, vcc_lo
; %bb.94:
	s_or_b32 exec_lo, exec_lo, s2
	v_and_b32_e32 v5, 0x7f800000, v69
	s_delay_alu instid0(VALU_DEP_1) | instskip(SKIP_1) | instid1(SALU_CYCLE_1)
	v_cmp_ne_u32_e32 vcc_lo, 0x7f800000, v5
                                        ; implicit-def: $vgpr5
	s_and_saveexec_b32 s2, vcc_lo
	s_xor_b32 s2, exec_lo, s2
; %bb.95:
	v_bfe_u32 v5, v69, 16, 1
	s_delay_alu instid0(VALU_DEP_1)
	v_add3_u32 v5, v69, v5, 0x7fff
; %bb.96:
	s_and_not1_saveexec_b32 s2, s2
; %bb.97:
	v_and_b32_e32 v5, 0xffff, v69
	v_or_b32_e32 v6, 0x10000, v69
	s_delay_alu instid0(VALU_DEP_2) | instskip(NEXT) | instid1(VALU_DEP_2)
	v_cmp_eq_u32_e32 vcc_lo, 0, v5
	v_cndmask_b32_e32 v5, v6, v69, vcc_lo
; %bb.98:
	s_or_b32 exec_lo, exec_lo, s2
	v_and_b32_e32 v6, 0x7f800000, v70
	s_delay_alu instid0(VALU_DEP_1) | instskip(SKIP_1) | instid1(SALU_CYCLE_1)
	v_cmp_ne_u32_e32 vcc_lo, 0x7f800000, v6
                                        ; implicit-def: $vgpr6
	s_and_saveexec_b32 s2, vcc_lo
	s_xor_b32 s2, exec_lo, s2
; %bb.99:
	v_bfe_u32 v6, v70, 16, 1
	s_delay_alu instid0(VALU_DEP_1)
	v_add3_u32 v6, v70, v6, 0x7fff
; %bb.100:
	s_and_not1_saveexec_b32 s2, s2
; %bb.101:
	v_and_b32_e32 v6, 0xffff, v70
	v_or_b32_e32 v7, 0x10000, v70
	s_delay_alu instid0(VALU_DEP_2) | instskip(NEXT) | instid1(VALU_DEP_2)
	v_cmp_eq_u32_e32 vcc_lo, 0, v6
	v_cndmask_b32_e32 v6, v7, v70, vcc_lo
; %bb.102:
	s_or_b32 exec_lo, exec_lo, s2
	v_and_b32_e32 v7, 0x7f800000, v71
	s_delay_alu instid0(VALU_DEP_1) | instskip(SKIP_1) | instid1(SALU_CYCLE_1)
	v_cmp_ne_u32_e32 vcc_lo, 0x7f800000, v7
                                        ; implicit-def: $vgpr7
	s_and_saveexec_b32 s2, vcc_lo
	s_xor_b32 s2, exec_lo, s2
; %bb.103:
	v_bfe_u32 v7, v71, 16, 1
	s_delay_alu instid0(VALU_DEP_1)
	v_add3_u32 v7, v71, v7, 0x7fff
; %bb.104:
	s_and_not1_saveexec_b32 s2, s2
; %bb.105:
	v_and_b32_e32 v7, 0xffff, v71
	v_or_b32_e32 v8, 0x10000, v71
	s_delay_alu instid0(VALU_DEP_2) | instskip(NEXT) | instid1(VALU_DEP_2)
	v_cmp_eq_u32_e32 vcc_lo, 0, v7
	v_cndmask_b32_e32 v7, v8, v71, vcc_lo
; %bb.106:
	s_or_b32 exec_lo, exec_lo, s2
	v_and_b32_e32 v8, 0x7f800000, v72
	s_delay_alu instid0(VALU_DEP_1) | instskip(SKIP_1) | instid1(SALU_CYCLE_1)
	v_cmp_ne_u32_e32 vcc_lo, 0x7f800000, v8
                                        ; implicit-def: $vgpr8
	s_and_saveexec_b32 s2, vcc_lo
	s_xor_b32 s2, exec_lo, s2
; %bb.107:
	v_bfe_u32 v8, v72, 16, 1
	s_delay_alu instid0(VALU_DEP_1)
	v_add3_u32 v8, v72, v8, 0x7fff
                                        ; implicit-def: $vgpr65_vgpr66_vgpr67_vgpr68_vgpr69_vgpr70_vgpr71_vgpr72
; %bb.108:
	s_and_not1_saveexec_b32 s2, s2
; %bb.109:
	v_and_b32_e32 v8, 0xffff, v72
	v_or_b32_e32 v9, 0x10000, v72
	s_delay_alu instid0(VALU_DEP_2) | instskip(NEXT) | instid1(VALU_DEP_2)
	v_cmp_eq_u32_e32 vcc_lo, 0, v8
	v_cndmask_b32_e32 v8, v9, v72, vcc_lo
; %bb.110:
	s_or_b32 exec_lo, exec_lo, s2
	s_delay_alu instid0(VALU_DEP_1)
	v_perm_b32 v7, v8, v7, 0x7060302
	v_perm_b32 v6, v6, v5, 0x7060302
	;; [unrolled: 1-line block ×4, first 2 shown]
	s_barrier
	buffer_gl0_inv
	v_cmp_eq_u32_e32 vcc_lo, 1, v78
	ds_store_b128 v76, v[4:7]
	s_waitcnt lgkmcnt(0)
	s_barrier
	buffer_gl0_inv
	ds_load_b128 v[1:4], v82
	ds_load_b128 v[5:8], v82 offset:16
	v_cmp_eq_u32_e64 s2, 1, v79
	v_cmp_eq_u32_e64 s3, 2, v78
	;; [unrolled: 1-line block ×5, first 2 shown]
	s_waitcnt lgkmcnt(1)
	v_lshrrev_b32_e32 v9, 16, v1
	s_waitcnt lgkmcnt(0)
	v_lshrrev_b32_e32 v13, 16, v5
	v_lshrrev_b32_e32 v10, 16, v2
	;; [unrolled: 1-line block ×4, first 2 shown]
	v_cndmask_b32_e64 v19, v1, v9, s2
	v_cndmask_b32_e32 v18, v5, v13, vcc_lo
	v_cndmask_b32_e64 v20, v5, v13, s2
	v_cndmask_b32_e32 v17, v1, v9, vcc_lo
	v_cmp_eq_u32_e32 vcc_lo, 2, v79
	v_lshrrev_b32_e32 v15, 16, v7
	v_cmp_eq_u32_e64 s2, 1, v77
	v_lshrrev_b32_e32 v12, 16, v4
	v_lshrrev_b32_e32 v16, 16, v8
	v_cndmask_b32_e32 v20, v20, v6, vcc_lo
	v_cndmask_b32_e64 v17, v17, v2, s3
	v_cndmask_b32_e32 v19, v19, v2, vcc_lo
	v_cndmask_b32_e64 v18, v18, v6, s3
	v_cmp_eq_u32_e32 vcc_lo, 4, v78
	v_cmp_eq_u32_e64 s3, 3, v79
	v_cndmask_b32_e64 v17, v17, v10, s4
	v_cndmask_b32_e64 v21, v1, v9, s2
	;; [unrolled: 1-line block ×5, first 2 shown]
	v_cndmask_b32_e32 v17, v17, v3, vcc_lo
	v_cndmask_b32_e64 v20, v20, v14, s3
	v_cndmask_b32_e32 v18, v18, v7, vcc_lo
	v_cmp_eq_u32_e32 vcc_lo, 4, v79
	v_cmp_eq_u32_e64 s3, 5, v79
	v_cmp_eq_u32_e64 s2, 2, v81
	v_cndmask_b32_e64 v21, v21, v2, s6
	v_cmp_eq_u32_e64 s4, 5, v78
	v_cndmask_b32_e32 v19, v19, v3, vcc_lo
	v_cndmask_b32_e32 v20, v20, v7, vcc_lo
	v_cmp_eq_u32_e32 vcc_lo, 6, v79
	s_delay_alu instid0(VALU_DEP_4) | instskip(NEXT) | instid1(VALU_DEP_4)
	v_cndmask_b32_e64 v17, v17, v11, s4
	v_cndmask_b32_e64 v19, v19, v11, s3
	s_delay_alu instid0(VALU_DEP_4) | instskip(SKIP_1) | instid1(VALU_DEP_3)
	v_cndmask_b32_e64 v20, v20, v15, s3
	v_cmp_eq_u32_e64 s3, 1, v81
	v_cndmask_b32_e32 v19, v19, v4, vcc_lo
	v_cndmask_b32_e64 v18, v18, v15, s4
	s_delay_alu instid0(VALU_DEP_3)
	v_cndmask_b32_e64 v1, v1, v9, s3
	v_cndmask_b32_e64 v5, v5, v13, s3
	v_cmp_eq_u32_e64 s3, 3, v77
	v_cndmask_b32_e64 v13, v22, v6, s6
	v_cmp_eq_u32_e64 s6, 3, v81
	v_cndmask_b32_e64 v1, v1, v2, s2
	v_cndmask_b32_e64 v2, v5, v6, s2
	;; [unrolled: 1-line block ×3, first 2 shown]
	v_cmp_eq_u32_e64 s2, 4, v77
	v_cndmask_b32_e64 v6, v13, v14, s3
	v_cndmask_b32_e64 v1, v1, v10, s6
	v_cmp_eq_u32_e64 s3, 4, v81
	v_cndmask_b32_e64 v2, v2, v14, s6
	v_cndmask_b32_e64 v5, v9, v3, s2
	;; [unrolled: 3-line block ×3, first 2 shown]
	v_cndmask_b32_e64 v2, v2, v7, s3
	v_cmp_eq_u32_e64 s2, 5, v81
	v_cmp_eq_u32_e64 s4, 6, v78
	v_cndmask_b32_e64 v5, v5, v11, s6
	v_cmp_eq_u32_e64 s3, 6, v77
	v_cndmask_b32_e64 v3, v6, v15, s6
	v_cndmask_b32_e64 v1, v1, v11, s2
	v_cmp_eq_u32_e64 s6, 6, v81
	v_cndmask_b32_e64 v2, v2, v15, s2
	v_cndmask_b32_e64 v17, v17, v4, s4
	v_cndmask_b32_e64 v18, v18, v8, s4
	v_cmp_eq_u32_e64 s4, 7, v78
	v_cndmask_b32_e64 v5, v5, v4, s3
	;; [unrolled: 4-line block ×3, first 2 shown]
	v_cmp_eq_u32_e64 s3, 7, v77
	v_cndmask_b32_e32 v4, v20, v8, vcc_lo
	v_cndmask_b32_e64 v17, v17, v12, s4
	v_cndmask_b32_e64 v19, v19, v12, s5
	;; [unrolled: 1-line block ×8, first 2 shown]
	s_mov_b32 s2, exec_lo
	v_perm_b32 v4, v2, v1, 0x5040100
	v_perm_b32 v3, v3, v5, 0x5040100
	v_perm_b32 v2, v6, v19, 0x5040100
	v_perm_b32 v1, v7, v17, 0x5040100
	ds_store_b128 v76, v[1:4]
	s_waitcnt lgkmcnt(0)
	s_barrier
	buffer_gl0_inv
	v_cmpx_gt_u32_e32 32, v0
	s_cbranch_execz .LBB1665_2
; %bb.111:
	s_load_b64 s[0:1], s[0:1], 0x68
	v_lshlrev_b32_e32 v0, 10, v0
	v_or_b32_e32 v1, s29, v74
	s_lshl_b32 s4, s34, 7
	v_lshlrev_b32_e32 v2, 4, v75
	s_mul_i32 s2, s4, s30
	v_lshlrev_b32_e32 v3, 6, v74
	v_mul_lo_u32 v8, v1, s4
	v_and_b32_e32 v0, 0x3800, v0
	v_or_b32_e32 v1, 2, v1
	s_mul_i32 s2, s2, s7
	s_delay_alu instid0(SALU_CYCLE_1) | instskip(NEXT) | instid1(VALU_DEP_2)
	s_ashr_i32 s3, s2, 31
	v_or3_b32 v4, v0, v2, v3
	s_lshl_b64 s[2:3], s[2:3], 1
	v_mul_lo_u32 v10, v1, s4
	v_ashrrev_i32_e32 v9, 31, v8
	ds_load_b128 v[0:3], v4
	ds_load_b128 v[4:7], v4 offset:128
	s_waitcnt lgkmcnt(0)
	s_add_u32 s2, s0, s2
	s_addc_u32 s3, s1, s3
	s_lshl_b32 s0, s14, 7
	v_ashrrev_i32_e32 v11, 31, v10
	s_ashr_i32 s1, s0, 31
	v_lshlrev_b64 v[8:9], 1, v[8:9]
	s_lshl_b64 s[0:1], s[0:1], 1
	s_delay_alu instid0(SALU_CYCLE_1) | instskip(SKIP_2) | instid1(VALU_DEP_1)
	s_add_u32 s0, s2, s0
	s_addc_u32 s1, s3, s1
	v_add_co_u32 v12, s0, s0, v73
	v_add_co_ci_u32_e64 v13, null, s1, 0, s0
	v_lshlrev_b64 v[10:11], 1, v[10:11]
	s_delay_alu instid0(VALU_DEP_3) | instskip(NEXT) | instid1(VALU_DEP_3)
	v_add_co_u32 v8, vcc_lo, v12, v8
	v_add_co_ci_u32_e32 v9, vcc_lo, v13, v9, vcc_lo
	s_delay_alu instid0(VALU_DEP_3) | instskip(NEXT) | instid1(VALU_DEP_4)
	v_add_co_u32 v10, vcc_lo, v12, v10
	v_add_co_ci_u32_e32 v11, vcc_lo, v13, v11, vcc_lo
	s_clause 0x1
	global_store_b128 v[8:9], v[0:3], off
	global_store_b128 v[10:11], v[4:7], off
	s_nop 0
	s_sendmsg sendmsg(MSG_DEALLOC_VGPRS)
	s_endpgm
	.section	.rodata,"a",@progbits
	.p2align	6, 0x0
	.amdhsa_kernel _Z39paged_attention_ll4mi_QKV_mfma16_kernelI14__hip_bfloat16hLN4vllm18Fp8KVCacheDataTypeE1ES0_Li32ELi128ELi256ELb0ELi4EL8MFMAType1EEvPKT_PKT0_S9_ifPKiSB_SB_iPKfiiiPfSE_PS4_PT2_iSD_SD_
		.amdhsa_group_segment_fixed_size 17472
		.amdhsa_private_segment_fixed_size 0
		.amdhsa_kernarg_size 400
		.amdhsa_user_sgpr_count 13
		.amdhsa_user_sgpr_dispatch_ptr 0
		.amdhsa_user_sgpr_queue_ptr 0
		.amdhsa_user_sgpr_kernarg_segment_ptr 1
		.amdhsa_user_sgpr_dispatch_id 0
		.amdhsa_user_sgpr_private_segment_size 0
		.amdhsa_wavefront_size32 1
		.amdhsa_uses_dynamic_stack 0
		.amdhsa_enable_private_segment 0
		.amdhsa_system_sgpr_workgroup_id_x 1
		.amdhsa_system_sgpr_workgroup_id_y 1
		.amdhsa_system_sgpr_workgroup_id_z 1
		.amdhsa_system_sgpr_workgroup_info 0
		.amdhsa_system_vgpr_workitem_id 0
		.amdhsa_next_free_vgpr 140
		.amdhsa_next_free_sgpr 36
		.amdhsa_reserve_vcc 1
		.amdhsa_float_round_mode_32 0
		.amdhsa_float_round_mode_16_64 0
		.amdhsa_float_denorm_mode_32 3
		.amdhsa_float_denorm_mode_16_64 3
		.amdhsa_dx10_clamp 1
		.amdhsa_ieee_mode 1
		.amdhsa_fp16_overflow 0
		.amdhsa_workgroup_processor_mode 1
		.amdhsa_memory_ordered 1
		.amdhsa_forward_progress 0
		.amdhsa_shared_vgpr_count 0
		.amdhsa_exception_fp_ieee_invalid_op 0
		.amdhsa_exception_fp_denorm_src 0
		.amdhsa_exception_fp_ieee_div_zero 0
		.amdhsa_exception_fp_ieee_overflow 0
		.amdhsa_exception_fp_ieee_underflow 0
		.amdhsa_exception_fp_ieee_inexact 0
		.amdhsa_exception_int_div_zero 0
	.end_amdhsa_kernel
	.section	.text._Z39paged_attention_ll4mi_QKV_mfma16_kernelI14__hip_bfloat16hLN4vllm18Fp8KVCacheDataTypeE1ES0_Li32ELi128ELi256ELb0ELi4EL8MFMAType1EEvPKT_PKT0_S9_ifPKiSB_SB_iPKfiiiPfSE_PS4_PT2_iSD_SD_,"axG",@progbits,_Z39paged_attention_ll4mi_QKV_mfma16_kernelI14__hip_bfloat16hLN4vllm18Fp8KVCacheDataTypeE1ES0_Li32ELi128ELi256ELb0ELi4EL8MFMAType1EEvPKT_PKT0_S9_ifPKiSB_SB_iPKfiiiPfSE_PS4_PT2_iSD_SD_,comdat
.Lfunc_end1665:
	.size	_Z39paged_attention_ll4mi_QKV_mfma16_kernelI14__hip_bfloat16hLN4vllm18Fp8KVCacheDataTypeE1ES0_Li32ELi128ELi256ELb0ELi4EL8MFMAType1EEvPKT_PKT0_S9_ifPKiSB_SB_iPKfiiiPfSE_PS4_PT2_iSD_SD_, .Lfunc_end1665-_Z39paged_attention_ll4mi_QKV_mfma16_kernelI14__hip_bfloat16hLN4vllm18Fp8KVCacheDataTypeE1ES0_Li32ELi128ELi256ELb0ELi4EL8MFMAType1EEvPKT_PKT0_S9_ifPKiSB_SB_iPKfiiiPfSE_PS4_PT2_iSD_SD_
                                        ; -- End function
	.section	.AMDGPU.csdata,"",@progbits
; Kernel info:
; codeLenInByte = 8740
; NumSgprs: 38
; NumVgprs: 140
; ScratchSize: 0
; MemoryBound: 0
; FloatMode: 240
; IeeeMode: 1
; LDSByteSize: 17472 bytes/workgroup (compile time only)
; SGPRBlocks: 4
; VGPRBlocks: 17
; NumSGPRsForWavesPerEU: 38
; NumVGPRsForWavesPerEU: 140
; Occupancy: 10
; WaveLimiterHint : 1
; COMPUTE_PGM_RSRC2:SCRATCH_EN: 0
; COMPUTE_PGM_RSRC2:USER_SGPR: 13
; COMPUTE_PGM_RSRC2:TRAP_HANDLER: 0
; COMPUTE_PGM_RSRC2:TGID_X_EN: 1
; COMPUTE_PGM_RSRC2:TGID_Y_EN: 1
; COMPUTE_PGM_RSRC2:TGID_Z_EN: 1
; COMPUTE_PGM_RSRC2:TIDIG_COMP_CNT: 0
	.section	.text._Z39paged_attention_ll4mi_QKV_mfma16_kernelI14__hip_bfloat16hLN4vllm18Fp8KVCacheDataTypeE1EhLi16ELi64ELi256ELb1ELi5EL8MFMAType0EEvPKT_PKT0_S9_ifPKiSB_SB_iPKfiiiPfSE_PS4_PT2_iSD_SD_,"axG",@progbits,_Z39paged_attention_ll4mi_QKV_mfma16_kernelI14__hip_bfloat16hLN4vllm18Fp8KVCacheDataTypeE1EhLi16ELi64ELi256ELb1ELi5EL8MFMAType0EEvPKT_PKT0_S9_ifPKiSB_SB_iPKfiiiPfSE_PS4_PT2_iSD_SD_,comdat
	.protected	_Z39paged_attention_ll4mi_QKV_mfma16_kernelI14__hip_bfloat16hLN4vllm18Fp8KVCacheDataTypeE1EhLi16ELi64ELi256ELb1ELi5EL8MFMAType0EEvPKT_PKT0_S9_ifPKiSB_SB_iPKfiiiPfSE_PS4_PT2_iSD_SD_ ; -- Begin function _Z39paged_attention_ll4mi_QKV_mfma16_kernelI14__hip_bfloat16hLN4vllm18Fp8KVCacheDataTypeE1EhLi16ELi64ELi256ELb1ELi5EL8MFMAType0EEvPKT_PKT0_S9_ifPKiSB_SB_iPKfiiiPfSE_PS4_PT2_iSD_SD_
	.globl	_Z39paged_attention_ll4mi_QKV_mfma16_kernelI14__hip_bfloat16hLN4vllm18Fp8KVCacheDataTypeE1EhLi16ELi64ELi256ELb1ELi5EL8MFMAType0EEvPKT_PKT0_S9_ifPKiSB_SB_iPKfiiiPfSE_PS4_PT2_iSD_SD_
	.p2align	8
	.type	_Z39paged_attention_ll4mi_QKV_mfma16_kernelI14__hip_bfloat16hLN4vllm18Fp8KVCacheDataTypeE1EhLi16ELi64ELi256ELb1ELi5EL8MFMAType0EEvPKT_PKT0_S9_ifPKiSB_SB_iPKfiiiPfSE_PS4_PT2_iSD_SD_,@function
_Z39paged_attention_ll4mi_QKV_mfma16_kernelI14__hip_bfloat16hLN4vllm18Fp8KVCacheDataTypeE1EhLi16ELi64ELi256ELb1ELi5EL8MFMAType0EEvPKT_PKT0_S9_ifPKiSB_SB_iPKfiiiPfSE_PS4_PT2_iSD_SD_: ; @_Z39paged_attention_ll4mi_QKV_mfma16_kernelI14__hip_bfloat16hLN4vllm18Fp8KVCacheDataTypeE1EhLi16ELi64ELi256ELb1ELi5EL8MFMAType0EEvPKT_PKT0_S9_ifPKiSB_SB_iPKfiiiPfSE_PS4_PT2_iSD_SD_
; %bb.0:
	s_load_b64 s[2:3], s[0:1], 0x30
	s_mov_b32 s34, s13
	s_waitcnt lgkmcnt(0)
	s_cmp_lg_u64 s[2:3], 0
	s_cselect_b32 s8, -1, 0
	s_ashr_i32 s35, s13, 31
	s_cmp_eq_u64 s[2:3], 0
	s_cbranch_scc1 .LBB1666_3
; %bb.1:
	s_lshl_b64 s[4:5], s[34:35], 2
	s_delay_alu instid0(SALU_CYCLE_1) | instskip(SKIP_4) | instid1(SALU_CYCLE_1)
	s_add_u32 s4, s2, s4
	s_addc_u32 s5, s3, s5
	s_load_b64 s[4:5], s[4:5], 0x0
	s_waitcnt lgkmcnt(0)
	s_sub_i32 s4, s5, s4
	s_cmp_eq_u32 s4, 1
	s_cselect_b32 s4, -1, 0
	s_delay_alu instid0(SALU_CYCLE_1)
	s_and_not1_b32 vcc_lo, exec_lo, s4
	s_cbranch_vccz .LBB1666_4
.LBB1666_2:
	s_nop 0
	s_sendmsg sendmsg(MSG_DEALLOC_VGPRS)
	s_endpgm
.LBB1666_3:
.LBB1666_4:
	s_load_b64 s[4:5], s[0:1], 0x28
	s_lshl_b64 s[6:7], s[34:35], 2
	s_waitcnt lgkmcnt(0)
	s_add_u32 s4, s4, s6
	s_addc_u32 s5, s5, s7
	s_lshl_b32 s12, s14, 8
	s_load_b32 s24, s[4:5], 0x0
	s_waitcnt lgkmcnt(0)
	s_cmp_ge_i32 s12, s24
	s_cbranch_scc1 .LBB1666_2
; %bb.5:
	s_clause 0x1
	s_load_b128 s[20:23], s[0:1], 0x8
	s_load_b64 s[4:5], s[0:1], 0x20
	s_and_not1_b32 vcc_lo, exec_lo, s8
	s_cbranch_vccnz .LBB1666_7
; %bb.6:
	s_add_u32 s2, s2, s6
	s_addc_u32 s3, s3, s7
	s_load_b32 s3, s[2:3], 0x0
	s_branch .LBB1666_8
.LBB1666_7:
	s_mov_b32 s3, s34
.LBB1666_8:
	s_load_b128 s[16:19], s[0:1], 0x48
	v_lshrrev_b32_e32 v66, 5, v0
	v_bfe_u32 v74, v0, 4, 1
	v_and_b32_e32 v65, 15, v0
	v_and_b32_e32 v67, 31, v0
	;; [unrolled: 1-line block ×3, first 2 shown]
	s_mul_i32 s31, s15, 5
	v_lshl_or_b32 v1, v66, 1, v74
	v_lshlrev_b32_e32 v2, 3, v65
	v_cmp_gt_u32_e64 s2, 8, v65
	s_delay_alu instid0(VALU_DEP_3) | instskip(NEXT) | instid1(VALU_DEP_3)
	v_cmp_gt_u32_e32 vcc_lo, 5, v1
	v_lshlrev_b32_e32 v73, 1, v2
	s_delay_alu instid0(VALU_DEP_3) | instskip(NEXT) | instid1(SALU_CYCLE_1)
	s_and_b32 s7, s2, vcc_lo
	s_and_saveexec_b32 s6, s7
	s_cbranch_execz .LBB1666_10
; %bb.9:
	s_load_b64 s[8:9], s[0:1], 0x0
	v_add_lshl_u32 v2, v1, s31, 6
	s_waitcnt lgkmcnt(0)
	s_mul_hi_i32 s11, s3, s16
	s_mul_i32 s10, s3, s16
	v_lshlrev_b32_e32 v6, 10, v65
	s_lshl_b64 s[10:11], s[10:11], 1
	v_ashrrev_i32_e32 v3, 31, v2
	v_lshlrev_b32_e32 v1, 6, v1
	v_lshlrev_b32_e32 v7, 10, v75
	v_and_b32_e32 v6, 0x3800, v6
	s_delay_alu instid0(VALU_DEP_4) | instskip(NEXT) | instid1(VALU_DEP_2)
	v_lshlrev_b64 v[2:3], 1, v[2:3]
	v_or3_b32 v1, v6, v7, v1
	s_add_u32 s3, s8, s10
	s_addc_u32 s7, s9, s11
	s_delay_alu instid0(VALU_DEP_2) | instskip(NEXT) | instid1(VALU_DEP_3)
	v_add_co_u32 v2, vcc_lo, s3, v2
	v_add_co_ci_u32_e32 v3, vcc_lo, s7, v3, vcc_lo
	s_delay_alu instid0(VALU_DEP_2) | instskip(NEXT) | instid1(VALU_DEP_2)
	v_add_co_u32 v2, vcc_lo, v2, v73
	v_add_co_ci_u32_e32 v3, vcc_lo, 0, v3, vcc_lo
	global_load_b128 v[2:5], v[2:3], off
	s_waitcnt vmcnt(0)
	ds_store_b128 v1, v[2:5]
.LBB1666_10:
	s_or_b32 exec_lo, exec_lo, s6
	v_and_b32_e32 v1, 0xef, v0
	s_waitcnt lgkmcnt(0)
	s_add_i32 s3, s24, 15
	s_clause 0x1
	s_load_b32 s6, s[0:1], 0x38
	s_load_b32 s19, s[0:1], 0x1c
	s_ashr_i32 s7, s3, 31
	v_add_nc_u32_e32 v1, s12, v1
	s_lshr_b32 s7, s7, 28
	s_waitcnt lgkmcnt(0)
	s_add_i32 s3, s3, s7
	s_barrier
	v_ashrrev_i32_e32 v2, 31, v1
	v_or_b32_e32 v3, 16, v1
	s_ashr_i32 s3, s3, 4
	v_cmp_gt_i32_e32 vcc_lo, s24, v1
	s_add_i32 s3, s3, -1
	v_lshrrev_b32_e32 v2, 28, v2
	buffer_gl0_inv
	s_mul_i32 s27, s15, s18
	v_add_nc_u32_e32 v4, v1, v2
	s_mul_i32 s6, s34, s6
	s_delay_alu instid0(SALU_CYCLE_1) | instskip(NEXT) | instid1(VALU_DEP_1)
	s_ashr_i32 s7, s6, 31
	v_ashrrev_i32_e32 v4, 4, v4
	v_add_nc_u32_e32 v2, v3, v2
	s_lshl_b64 s[6:7], s[6:7], 2
	s_delay_alu instid0(SALU_CYCLE_1) | instskip(NEXT) | instid1(VALU_DEP_2)
	s_add_u32 s26, s4, s6
	v_cndmask_b32_e32 v1, s3, v4, vcc_lo
	s_delay_alu instid0(VALU_DEP_2)
	v_ashrrev_i32_e32 v2, 4, v2
	v_cmp_gt_i32_e32 vcc_lo, s24, v3
	s_addc_u32 s25, s5, s7
	s_ashr_i32 s28, s27, 31
	s_add_u32 s13, s20, s27
	s_addc_u32 s15, s21, s28
	v_cndmask_b32_e32 v3, s3, v2, vcc_lo
	v_ashrrev_i32_e32 v2, 31, v1
	s_lshl_b32 s4, s14, 4
	s_delay_alu instid0(SALU_CYCLE_1) | instskip(NEXT) | instid1(VALU_DEP_2)
	s_ashr_i32 s5, s4, 31
	v_ashrrev_i32_e32 v4, 31, v3
	s_delay_alu instid0(VALU_DEP_2) | instskip(SKIP_1) | instid1(SALU_CYCLE_1)
	v_lshlrev_b64 v[1:2], 2, v[1:2]
	s_lshl_b64 s[4:5], s[4:5], 2
	s_add_u32 s4, s26, s4
	s_delay_alu instid0(VALU_DEP_2) | instskip(SKIP_1) | instid1(VALU_DEP_2)
	v_lshlrev_b64 v[3:4], 2, v[3:4]
	s_addc_u32 s5, s25, s5
	v_add_co_u32 v1, vcc_lo, s26, v1
	v_add_co_ci_u32_e32 v2, vcc_lo, s25, v2, vcc_lo
	s_delay_alu instid0(VALU_DEP_3) | instskip(NEXT) | instid1(VALU_DEP_4)
	v_add_co_u32 v3, vcc_lo, s26, v3
	v_add_co_ci_u32_e32 v4, vcc_lo, s25, v4, vcc_lo
	s_clause 0x1
	global_load_b32 v5, v[1:2], off
	global_load_b32 v7, v[3:4], off
	s_or_b32 s6, s12, 32
	v_lshlrev_b32_e32 v1, 4, v0
	s_ashr_i32 s7, s6, 4
	s_cmp_lt_i32 s6, s24
	s_cselect_b32 s6, s7, s3
	s_delay_alu instid0(VALU_DEP_1) | instskip(SKIP_1) | instid1(SALU_CYCLE_1)
	v_and_b32_e32 v1, 0xf0, v1
	s_ashr_i32 s7, s6, 31
	s_lshl_b64 s[6:7], s[6:7], 2
	s_delay_alu instid0(SALU_CYCLE_1)
	s_add_u32 s6, s26, s6
	s_addc_u32 s7, s25, s7
	s_or_b32 s8, s12, 64
	v_add_co_u32 v1, s13, s13, v1
	s_ashr_i32 s9, s8, 4
	s_cmp_lt_i32 s8, s24
	v_add_co_ci_u32_e64 v2, null, s15, 0, s13
	s_cselect_b32 s8, s9, s3
	s_delay_alu instid0(SALU_CYCLE_1) | instskip(NEXT) | instid1(SALU_CYCLE_1)
	s_ashr_i32 s9, s8, 31
	s_lshl_b64 s[8:9], s[8:9], 2
	s_delay_alu instid0(SALU_CYCLE_1) | instskip(SKIP_2) | instid1(SALU_CYCLE_1)
	s_add_u32 s8, s26, s8
	s_addc_u32 s9, s25, s9
	s_or_b32 s10, s12, 0x60
	s_ashr_i32 s11, s10, 4
	s_cmp_lt_i32 s10, s24
	s_cselect_b32 s10, s11, s3
	s_delay_alu instid0(SALU_CYCLE_1) | instskip(NEXT) | instid1(SALU_CYCLE_1)
	s_ashr_i32 s11, s10, 31
	s_lshl_b64 s[10:11], s[10:11], 2
	s_delay_alu instid0(SALU_CYCLE_1) | instskip(SKIP_2) | instid1(SALU_CYCLE_1)
	s_add_u32 s10, s26, s10
	s_addc_u32 s11, s25, s11
	s_or_b32 s16, s12, 0x80
	s_ashr_i32 s18, s16, 4
	s_cmp_lt_i32 s16, s24
	;; [unrolled: 10-line block ×3, first 2 shown]
	s_cselect_b32 s20, s18, s3
	s_delay_alu instid0(SALU_CYCLE_1) | instskip(NEXT) | instid1(SALU_CYCLE_1)
	s_ashr_i32 s21, s20, 31
	s_lshl_b64 s[20:21], s[20:21], 2
	s_delay_alu instid0(SALU_CYCLE_1)
	s_add_u32 s38, s26, s20
	s_addc_u32 s39, s25, s21
	s_clause 0x5
	s_load_b32 s21, s[4:5], 0x0
	s_load_b32 s13, s[6:7], 0x0
	;; [unrolled: 1-line block ×6, first 2 shown]
	s_or_b32 s9, s12, 0xc0
	s_mov_b32 s4, 0
	s_ashr_i32 s10, s9, 4
	s_cmp_lt_i32 s9, s24
	s_mov_b32 s11, s4
	s_cselect_b32 s36, s10, s3
	s_mov_b32 s5, s4
	s_ashr_i32 s37, s36, 31
	s_mov_b32 s6, s4
	s_lshl_b64 s[36:37], s[36:37], 2
	s_mov_b32 s7, s4
	s_add_u32 s36, s26, s36
	s_addc_u32 s37, s25, s37
	s_or_b32 s29, s12, 0xe0
	s_mov_b32 s8, s4
	s_ashr_i32 s30, s29, 4
	s_mov_b32 s9, s4
	s_mov_b32 s10, s4
	s_cmp_lt_i32 s29, s24
	v_dual_mov_b32 v107, s11 :: v_dual_mov_b32 v100, s4
	v_mov_b32_e32 v106, s10
	v_dual_mov_b32 v104, s8 :: v_dual_mov_b32 v103, s7
	v_dual_mov_b32 v102, s6 :: v_dual_mov_b32 v101, s5
	s_waitcnt vmcnt(1)
	v_mad_i64_i32 v[3:4], null, v5, s17, v[1:2]
	s_waitcnt vmcnt(0)
	v_mad_i64_i32 v[5:6], null, v7, s17, v[1:2]
	v_mul_lo_u16 v1, v65, 52
	v_lshlrev_b32_e32 v2, 4, v65
	s_clause 0x7
	global_load_b128 v[49:52], v[3:4], off
	global_load_b128 v[53:56], v[3:4], off offset:256
	global_load_b128 v[76:79], v[5:6], off
	global_load_b128 v[80:83], v[5:6], off offset:256
	global_load_b128 v[84:87], v[3:4], off offset:512
	global_load_b128 v[88:91], v[3:4], off offset:768
	global_load_b128 v[92:95], v[5:6], off offset:512
	global_load_b128 v[96:99], v[5:6], off offset:768
	v_lshrrev_b16 v1, 8, v1
	v_lshl_or_b32 v2, v66, 8, v2
	s_delay_alu instid0(VALU_DEP_2) | instskip(NEXT) | instid1(VALU_DEP_1)
	v_mul_lo_u16 v1, v1, 5
	v_sub_nc_u16 v1, v65, v1
	s_delay_alu instid0(VALU_DEP_1)
	v_and_b32_e32 v1, 0xff, v1
	v_mov_b32_e32 v105, s9
	s_cselect_b32 s4, s30, s3
	s_load_b32 s3, s[36:37], 0x0
	s_ashr_i32 s5, s4, 31
	v_lshlrev_b32_e32 v70, 6, v1
	s_lshl_b64 s[4:5], s[4:5], 2
	ds_load_b128 v[108:111], v70
	ds_load_b128 v[112:115], v70 offset:1024
	s_add_u32 s4, s26, s4
	s_addc_u32 s5, s25, s5
	s_add_u32 s6, s22, s27
	s_load_b32 s4, s[4:5], 0x0
	s_addc_u32 s7, s23, s28
	v_add_co_u32 v9, s6, s6, v2
	s_delay_alu instid0(VALU_DEP_1) | instskip(SKIP_1) | instid1(VALU_DEP_1)
	v_add_co_ci_u32_e64 v10, null, s7, 0, s6
	s_waitcnt lgkmcnt(0)
	v_mad_i64_i32 v[1:2], null, s21, s17, v[9:10]
	v_mad_i64_i32 v[3:4], null, s13, s17, v[9:10]
	;; [unrolled: 1-line block ×7, first 2 shown]
	s_clause 0x9
	global_load_b128 v[57:60], v[1:2], off
	global_load_b128 v[61:64], v[1:2], off offset:16
	global_load_b128 v[41:44], v[3:4], off
	global_load_b128 v[45:48], v[3:4], off offset:16
	;; [unrolled: 2-line block ×5, first 2 shown]
	v_mad_i64_i32 v[68:69], null, s4, s17, v[9:10]
	s_clause 0x3
	global_load_b128 v[9:12], v[13:14], off
	global_load_b128 v[13:16], v[13:14], off offset:16
	global_load_b128 v[17:20], v[21:22], off
	global_load_b128 v[21:24], v[21:22], off offset:16
	s_waitcnt vmcnt(20)
	v_wmma_f32_16x16x16_bf16 v[116:123], v[49:56], v[108:115], v[100:107]
	s_clause 0x1
	global_load_b128 v[49:52], v[68:69], off
	global_load_b128 v[53:56], v[68:69], off offset:16
	v_and_b32_e32 v68, 0xe0, v0
	v_mbcnt_lo_u32_b32 v69, -1, 0
	s_delay_alu instid0(VALU_DEP_2)
	v_add_nc_u32_e32 v68, s12, v68
	s_waitcnt vmcnt(20)
	v_wmma_f32_16x16x16_bf16 v[100:107], v[76:83], v[108:115], v[100:107]
	ds_load_b128 v[76:79], v70 offset:2048
	ds_load_b128 v[80:83], v70 offset:3072
	v_xor_b32_e32 v70, 16, v69
	s_waitcnt vmcnt(0) lgkmcnt(0)
	v_or_b32_e32 v68, v68, v74
	s_barrier
	buffer_gl0_inv
	v_cmp_gt_i32_e32 vcc_lo, 32, v70
	v_or_b32_e32 v71, 4, v68
	v_or_b32_e32 v72, 6, v68
	v_cmp_gt_i32_e64 s3, s24, v68
	v_or_b32_e32 v108, 8, v68
	v_or_b32_e32 v109, 10, v68
	v_cmp_gt_i32_e64 s4, s24, v71
	v_cmp_gt_i32_e64 s5, s24, v72
	s_delay_alu instid0(VALU_DEP_4) | instskip(NEXT) | instid1(VALU_DEP_4)
	v_cmp_gt_i32_e64 s6, s24, v108
	v_cmp_gt_i32_e64 s7, s24, v109
	v_wmma_f32_16x16x16_bf16 v[116:123], v[84:91], v[76:83], v[116:123]
	v_cndmask_b32_e32 v69, v69, v70, vcc_lo
	v_or_b32_e32 v70, 2, v68
	v_wmma_f32_16x16x16_bf16 v[100:107], v[92:99], v[76:83], v[100:107]
	v_or_b32_e32 v89, 22, v68
	v_dual_mul_f32 v80, s19, v121 :: v_dual_mul_f32 v81, s19, v120
	v_dual_mul_f32 v92, s19, v117 :: v_dual_mul_f32 v93, s19, v116
	s_delay_alu instid0(VALU_DEP_4)
	v_mul_f32_e32 v96, s19, v105
	v_cmp_gt_i32_e32 vcc_lo, s24, v70
	v_dual_mul_f32 v79, s19, v122 :: v_dual_mul_f32 v82, s19, v119
	v_dual_mul_f32 v83, s19, v118 :: v_dual_mul_f32 v94, s19, v107
	v_cndmask_b32_e64 v93, 0xff7fffff, v93, s3
	v_cndmask_b32_e32 v92, 0xff7fffff, v92, vcc_lo
	v_or_b32_e32 v84, 12, v68
	v_or_b32_e32 v85, 14, v68
	v_cndmask_b32_e64 v71, 0xff7fffff, v83, s4
	v_cndmask_b32_e64 v72, 0xff7fffff, v82, s5
	v_cmp_gt_i32_e64 s13, s24, v89
	v_lshlrev_b32_e32 v89, 2, v69
	v_max3_f32 v82, v93, 0xff7fffff, v92
	v_or_b32_e32 v86, 16, v68
	v_or_b32_e32 v87, 18, v68
	v_mul_f32_e32 v78, s19, v123
	v_cndmask_b32_e64 v81, 0xff7fffff, v81, s6
	v_cndmask_b32_e64 v80, 0xff7fffff, v80, s7
	v_max3_f32 v71, v82, v71, v72
	v_cmp_gt_i32_e64 s8, s24, v84
	v_cmp_gt_i32_e64 s9, s24, v85
	v_or_b32_e32 v88, 20, v68
	v_or_b32_e32 v90, 24, v68
	v_or_b32_e32 v91, 26, v68
	v_or_b32_e32 v76, 28, v68
	v_or_b32_e32 v77, 30, v68
	v_dual_mul_f32 v97, s19, v104 :: v_dual_mul_f32 v70, s19, v101
	v_dual_mul_f32 v99, s19, v102 :: v_dual_mul_f32 v68, s19, v100
	v_cndmask_b32_e64 v72, 0xff7fffff, v79, s8
	v_cndmask_b32_e64 v78, 0xff7fffff, v78, s9
	v_max3_f32 v71, v71, v81, v80
	v_cmp_gt_i32_e64 s10, s24, v86
	v_cmp_gt_i32_e64 s11, s24, v87
	v_dual_mul_f32 v95, s19, v106 :: v_dual_mul_f32 v98, s19, v103
	s_delay_alu instid0(VALU_DEP_4) | instskip(NEXT) | instid1(VALU_DEP_4)
	v_max3_f32 v71, v71, v72, v78
	v_cndmask_b32_e64 v68, 0xff7fffff, v68, s10
	s_delay_alu instid0(VALU_DEP_4)
	v_cndmask_b32_e64 v70, 0xff7fffff, v70, s11
	v_cmp_gt_i32_e64 s12, s24, v88
	v_cndmask_b32_e64 v78, 0xff7fffff, v98, s13
	v_cmp_gt_i32_e64 s15, s24, v90
	v_cmp_gt_i32_e64 s16, s24, v91
	v_max3_f32 v68, v71, v68, v70
	v_cndmask_b32_e64 v72, 0xff7fffff, v99, s12
	v_cmp_gt_i32_e64 s17, s24, v76
	v_cndmask_b32_e64 v70, 0xff7fffff, v97, s15
	v_cndmask_b32_e64 v71, 0xff7fffff, v96, s16
	v_cmp_gt_i32_e64 s18, s24, v77
	v_max3_f32 v68, v68, v72, v78
	v_cndmask_b32_e64 v72, 0xff7fffff, v95, s17
	s_delay_alu instid0(VALU_DEP_3) | instskip(NEXT) | instid1(VALU_DEP_3)
	v_cndmask_b32_e64 v76, 0xff7fffff, v94, s18
	v_max3_f32 v68, v68, v70, v71
	s_delay_alu instid0(VALU_DEP_1) | instskip(SKIP_3) | instid1(VALU_DEP_1)
	v_max3_f32 v68, v68, v72, v76
	ds_bpermute_b32 v69, v89, v68
	s_waitcnt lgkmcnt(0)
	v_max_f32_e32 v69, v69, v69
	v_max_f32_e32 v68, v68, v69
	s_delay_alu instid0(VALU_DEP_1) | instskip(NEXT) | instid1(VALU_DEP_1)
	v_fma_f32 v71, s19, v118, -v68
	v_mul_f32_e32 v71, 0x3fb8aa3b, v71
	v_fma_f32 v70, s19, v117, -v68
	v_fma_f32 v69, s19, v116, -v68
	v_fma_f32 v76, s19, v120, -v68
	v_fma_f32 v72, s19, v119, -v68
	v_fma_f32 v78, s19, v122, -v68
	s_delay_alu instid0(VALU_DEP_4) | instskip(SKIP_1) | instid1(VALU_DEP_3)
	v_dual_mul_f32 v70, 0x3fb8aa3b, v70 :: v_dual_mul_f32 v69, 0x3fb8aa3b, v69
	v_exp_f32_e32 v71, v71
	v_mul_f32_e32 v72, 0x3fb8aa3b, v72
	v_fma_f32 v81, s19, v105, -v68
	s_delay_alu instid0(VALU_DEP_3)
	v_exp_f32_e32 v70, v70
	v_mul_f32_e32 v77, 0x3fb8aa3b, v76
	v_exp_f32_e32 v69, v69
	v_exp_f32_e32 v72, v72
	v_mul_f32_e32 v81, 0x3fb8aa3b, v81
	v_cndmask_b32_e64 v83, 0, v71, s4
	v_fma_f32 v71, s19, v123, -v68
	s_delay_alu instid0(VALU_DEP_3) | instskip(SKIP_4) | instid1(TRANS32_DEP_3)
	v_exp_f32_e32 v81, v81
	v_cndmask_b32_e32 v76, 0, v70, vcc_lo
	v_exp_f32_e32 v77, v77
	v_cndmask_b32_e64 v80, 0, v69, s3
	v_fma_f32 v69, s19, v121, -v68
	v_cndmask_b32_e64 v85, 0, v72, s5
	v_mul_f32_e32 v71, 0x3fb8aa3b, v71
	v_fma_f32 v72, s19, v100, -v68
	s_delay_alu instid0(VALU_DEP_4) | instskip(SKIP_1) | instid1(VALU_DEP_4)
	v_dual_add_f32 v70, 0, v80 :: v_dual_mul_f32 v69, 0x3fb8aa3b, v69
	v_cmp_gt_u32_e64 s3, 16, v67
	v_exp_f32_e32 v71, v71
	s_delay_alu instid0(TRANS32_DEP_2) | instskip(SKIP_4) | instid1(VALU_DEP_3)
	v_cndmask_b32_e64 v86, 0, v77, s6
	v_fma_f32 v77, s19, v101, -v68
	v_mul_f32_e32 v78, 0x3fb8aa3b, v78
	v_add_f32_e32 v70, v70, v76
	v_exp_f32_e32 v69, v69
	v_mul_f32_e32 v77, 0x3fb8aa3b, v77
	s_delay_alu instid0(VALU_DEP_3) | instskip(NEXT) | instid1(TRANS32_DEP_3)
	v_exp_f32_e32 v78, v78
	v_cndmask_b32_e64 v88, 0, v71, s9
	v_fma_f32 v71, s19, v104, -v68
	s_delay_alu instid0(VALU_DEP_3) | instskip(NEXT) | instid1(TRANS32_DEP_3)
	v_exp_f32_e32 v77, v77
	v_cndmask_b32_e64 v87, 0, v69, s7
	s_delay_alu instid0(VALU_DEP_2)
	v_mul_f32_e32 v71, 0x3fb8aa3b, v71
	s_waitcnt_depctr 0xfff
	v_cndmask_b32_e64 v84, 0, v78, s8
	v_add_f32_e32 v70, v70, v83
	v_fma_f32 v78, s19, v103, -v68
	v_exp_f32_e32 v82, v71
	s_delay_alu instid0(VALU_DEP_2) | instskip(SKIP_1) | instid1(VALU_DEP_3)
	v_add_f32_e32 v70, v70, v85
	v_mul_f32_e32 v72, 0x3fb8aa3b, v72
	v_mul_f32_e32 v78, 0x3fb8aa3b, v78
	s_delay_alu instid0(VALU_DEP_3) | instskip(SKIP_1) | instid1(VALU_DEP_4)
	v_add_f32_e32 v69, v70, v86
	v_fma_f32 v70, s19, v102, -v68
	v_exp_f32_e32 v72, v72
	s_delay_alu instid0(VALU_DEP_3) | instskip(NEXT) | instid1(VALU_DEP_1)
	v_exp_f32_e32 v78, v78
	v_dual_add_f32 v69, v69, v87 :: v_dual_mul_f32 v70, 0x3fb8aa3b, v70
	s_delay_alu instid0(VALU_DEP_1) | instskip(NEXT) | instid1(VALU_DEP_2)
	v_add_f32_e32 v69, v69, v84
	v_exp_f32_e32 v79, v70
	s_delay_alu instid0(TRANS32_DEP_3) | instskip(NEXT) | instid1(VALU_DEP_2)
	v_cndmask_b32_e64 v70, 0, v72, s10
	v_add_f32_e32 v72, v69, v88
	v_cndmask_b32_e64 v69, 0, v77, s11
	v_fma_f32 v77, s19, v106, -v68
	s_waitcnt_depctr 0xfff
	v_cndmask_b32_e64 v71, 0, v79, s12
	v_dual_mul_f32 v77, 0x3fb8aa3b, v77 :: v_dual_add_f32 v72, v72, v70
	s_delay_alu instid0(VALU_DEP_1) | instskip(NEXT) | instid1(VALU_DEP_1)
	v_exp_f32_e32 v90, v77
	v_add_f32_e32 v79, v72, v69
	v_cndmask_b32_e64 v72, 0, v78, s13
	v_cndmask_b32_e64 v77, 0, v82, s15
	s_delay_alu instid0(VALU_DEP_3) | instskip(SKIP_1) | instid1(VALU_DEP_1)
	v_add_f32_e32 v78, v79, v71
	v_fma_f32 v79, s19, v107, -v68
	v_dual_add_f32 v82, v78, v72 :: v_dual_mul_f32 v79, 0x3fb8aa3b, v79
	v_cndmask_b32_e64 v78, 0, v81, s16
	s_delay_alu instid0(VALU_DEP_2) | instskip(NEXT) | instid1(VALU_DEP_3)
	v_add_f32_e32 v81, v82, v77
	v_exp_f32_e32 v82, v79
	v_cndmask_b32_e64 v79, 0, v90, s17
	s_delay_alu instid0(VALU_DEP_2) | instskip(NEXT) | instid1(VALU_DEP_1)
	v_add_f32_e32 v81, v81, v78
	v_add_f32_e32 v90, v81, v79
	s_waitcnt_depctr 0xfff
	v_cndmask_b32_e64 v81, 0, v82, s18
	s_delay_alu instid0(VALU_DEP_1)
	v_add_f32_e32 v82, v90, v81
	ds_bpermute_b32 v89, v89, v82
	s_and_saveexec_b32 s4, s3
	s_cbranch_execz .LBB1666_12
; %bb.11:
	v_mul_u32_u24_e32 v67, 0x44, v66
	s_delay_alu instid0(VALU_DEP_1) | instskip(SKIP_1) | instid1(VALU_DEP_1)
	v_lshl_add_u32 v67, v65, 2, v67
	s_waitcnt lgkmcnt(0)
	v_dual_add_f32 v82, v82, v89 :: v_dual_add_nc_u32 v67, 0x4000, v67
	ds_store_2addr_b32 v67, v68, v82 offset1:136
.LBB1666_12:
	s_or_b32 exec_lo, exec_lo, s4
	v_lshlrev_b32_e32 v67, 2, v65
	s_waitcnt lgkmcnt(0)
	s_barrier
	buffer_gl0_inv
	v_cmp_eq_u32_e32 vcc_lo, 1, v66
	v_add_nc_u32_e32 v82, 0x4000, v67
	v_cmp_eq_u32_e64 s4, 2, v66
	v_cmp_eq_u32_e64 s6, 7, v66
	ds_load_2addr_b32 v[89:90], v82 offset1:17
	ds_load_2addr_b32 v[91:92], v82 offset0:34 offset1:51
	ds_load_2addr_b32 v[93:94], v82 offset0:68 offset1:85
	;; [unrolled: 1-line block ×4, first 2 shown]
	s_waitcnt lgkmcnt(4)
	v_max3_f32 v67, v89, 0xff7fffff, v90
	s_waitcnt lgkmcnt(3)
	s_delay_alu instid0(VALU_DEP_1) | instskip(SKIP_1) | instid1(VALU_DEP_1)
	v_max3_f32 v67, v67, v91, v92
	s_waitcnt lgkmcnt(2)
	v_max3_f32 v67, v67, v93, v94
	s_waitcnt lgkmcnt(1)
	s_delay_alu instid0(VALU_DEP_1) | instskip(NEXT) | instid1(VALU_DEP_1)
	v_max3_f32 v67, v67, v95, v96
	v_sub_f32_e32 v93, v93, v67
	s_delay_alu instid0(VALU_DEP_1) | instskip(NEXT) | instid1(VALU_DEP_1)
	v_dual_sub_f32 v68, v89, v67 :: v_dual_mul_f32 v103, 0x3fb8aa3b, v93
	v_mul_f32_e32 v68, 0x3fb8aa3b, v68
	s_delay_alu instid0(VALU_DEP_1)
	v_exp_f32_e32 v100, v68
	v_sub_f32_e32 v68, v92, v67
	v_sub_f32_e32 v99, v90, v67
	ds_load_2addr_b32 v[89:90], v82 offset0:170 offset1:187
	v_dual_mul_f32 v102, 0x3fb8aa3b, v68 :: v_dual_mul_f32 v99, 0x3fb8aa3b, v99
	s_waitcnt lgkmcnt(1)
	v_fma_f32 v68, v100, v97, 0
	s_delay_alu instid0(VALU_DEP_2) | instskip(NEXT) | instid1(VALU_DEP_2)
	v_exp_f32_e32 v102, v102
	v_exp_f32_e32 v99, v99
	s_waitcnt_depctr 0xfff
	v_fmac_f32_e32 v68, v99, v98
	v_sub_f32_e32 v91, v91, v67
	s_delay_alu instid0(VALU_DEP_1)
	v_mul_f32_e32 v101, 0x3fb8aa3b, v91
	ds_load_2addr_b32 v[91:92], v82 offset0:204 offset1:221
	v_sub_f32_e32 v97, v94, v67
	ds_load_2addr_b32 v[93:94], v82 offset0:238 offset1:255
	s_waitcnt lgkmcnt(0)
	v_exp_f32_e32 v101, v101
	s_barrier
	buffer_gl0_inv
	v_dual_fmac_f32 v68, v101, v89 :: v_dual_sub_f32 v89, v96, v67
	v_dual_sub_f32 v82, v95, v67 :: v_dual_mul_f32 v95, 0x3fb8aa3b, v97
	v_exp_f32_e32 v97, v103
	s_delay_alu instid0(VALU_DEP_2) | instskip(NEXT) | instid1(VALU_DEP_2)
	v_dual_fmac_f32 v68, v102, v90 :: v_dual_mul_f32 v89, 0x3fb8aa3b, v89
	v_mul_f32_e32 v82, 0x3fb8aa3b, v82
	s_delay_alu instid0(VALU_DEP_3) | instskip(NEXT) | instid1(VALU_DEP_2)
	v_exp_f32_e32 v95, v95
	v_exp_f32_e32 v89, v89
	s_delay_alu instid0(VALU_DEP_1)
	v_exp_f32_e32 v82, v82
	v_fmac_f32_e32 v68, v97, v91
	s_delay_alu instid0(TRANS32_DEP_3) | instid1(VALU_DEP_1)
	v_fmac_f32_e32 v68, v95, v92
	s_waitcnt_depctr 0xfff
	v_fmac_f32_e32 v68, v82, v93
	s_delay_alu instid0(VALU_DEP_1) | instskip(NEXT) | instid1(VALU_DEP_1)
	v_fmac_f32_e32 v68, v89, v94
	v_add_f32_e32 v90, 0x358637bd, v68
	s_delay_alu instid0(VALU_DEP_1) | instskip(NEXT) | instid1(VALU_DEP_1)
	v_div_scale_f32 v91, null, v90, v90, 1.0
	v_rcp_f32_e32 v92, v91
	s_waitcnt_depctr 0xfff
	v_fma_f32 v93, -v91, v92, 1.0
	s_delay_alu instid0(VALU_DEP_1) | instskip(SKIP_1) | instid1(VALU_DEP_2)
	v_dual_fmac_f32 v92, v93, v92 :: v_dual_cndmask_b32 v93, v100, v99
	v_cmp_eq_u32_e32 vcc_lo, 3, v66
	v_cndmask_b32_e64 v93, v93, v101, s4
	v_cmp_eq_u32_e64 s4, 4, v66
	s_delay_alu instid0(VALU_DEP_2) | instskip(SKIP_1) | instid1(VALU_DEP_2)
	v_cndmask_b32_e32 v93, v93, v102, vcc_lo
	v_cmp_eq_u32_e32 vcc_lo, 5, v66
	v_cndmask_b32_e64 v93, v93, v97, s4
	v_cmp_eq_u32_e64 s4, 6, v66
	s_delay_alu instid0(VALU_DEP_2) | instskip(SKIP_1) | instid1(VALU_DEP_1)
	v_cndmask_b32_e32 v93, v93, v95, vcc_lo
	v_div_scale_f32 v94, s5, 1.0, v90, 1.0
	s_mov_b32 vcc_lo, s5
	s_delay_alu instid0(VALU_DEP_2) | instskip(NEXT) | instid1(VALU_DEP_2)
	v_cndmask_b32_e64 v82, v93, v82, s4
	v_mul_f32_e32 v96, v94, v92
	s_mov_b32 s4, exec_lo
	s_delay_alu instid0(VALU_DEP_2) | instskip(NEXT) | instid1(VALU_DEP_2)
	v_cndmask_b32_e64 v82, v82, v89, s6
	v_fma_f32 v98, -v91, v96, v94
	s_delay_alu instid0(VALU_DEP_1) | instskip(NEXT) | instid1(VALU_DEP_1)
	v_fmac_f32_e32 v96, v98, v92
	v_fma_f32 v91, -v91, v96, v94
	s_delay_alu instid0(VALU_DEP_1) | instskip(NEXT) | instid1(VALU_DEP_1)
	v_div_fmas_f32 v91, v91, v92, v96
	v_div_fixup_f32 v90, v91, v90, 1.0
	s_delay_alu instid0(VALU_DEP_1) | instskip(NEXT) | instid1(VALU_DEP_1)
	v_mul_f32_e32 v82, v82, v90
	v_mul_f32_e32 v87, v82, v87
	;; [unrolled: 1-line block ×7, first 2 shown]
	v_dual_mul_f32 v86, v82, v83 :: v_dual_and_b32 v91, 0x7f800000, v90
	v_mul_f32_e32 v85, v82, v76
                                        ; implicit-def: $vgpr76
	s_delay_alu instid0(VALU_DEP_2)
	v_cmpx_ne_u32_e32 0x7f800000, v91
	s_xor_b32 s4, exec_lo, s4
; %bb.13:
	v_bfe_u32 v76, v90, 16, 1
	s_delay_alu instid0(VALU_DEP_1)
	v_add3_u32 v76, v90, v76, 0x7fff
                                        ; implicit-def: $vgpr90
; %bb.14:
	s_and_not1_saveexec_b32 s4, s4
; %bb.15:
	v_and_b32_e32 v76, 0xffff, v90
	v_or_b32_e32 v83, 0x10000, v90
	s_delay_alu instid0(VALU_DEP_2) | instskip(NEXT) | instid1(VALU_DEP_2)
	v_cmp_eq_u32_e32 vcc_lo, 0, v76
	v_cndmask_b32_e32 v76, v83, v90, vcc_lo
; %bb.16:
	s_or_b32 exec_lo, exec_lo, s4
	v_and_b32_e32 v83, 0x7f800000, v85
	s_delay_alu instid0(VALU_DEP_1) | instskip(SKIP_1) | instid1(SALU_CYCLE_1)
	v_cmp_ne_u32_e32 vcc_lo, 0x7f800000, v83
                                        ; implicit-def: $vgpr83
	s_and_saveexec_b32 s4, vcc_lo
	s_xor_b32 s4, exec_lo, s4
; %bb.17:
	v_bfe_u32 v83, v85, 16, 1
	s_delay_alu instid0(VALU_DEP_1)
	v_add3_u32 v83, v85, v83, 0x7fff
                                        ; implicit-def: $vgpr85
; %bb.18:
	s_and_not1_saveexec_b32 s4, s4
; %bb.19:
	v_and_b32_e32 v83, 0xffff, v85
	v_or_b32_e32 v90, 0x10000, v85
	s_delay_alu instid0(VALU_DEP_2) | instskip(NEXT) | instid1(VALU_DEP_2)
	v_cmp_eq_u32_e32 vcc_lo, 0, v83
	v_cndmask_b32_e32 v83, v90, v85, vcc_lo
; %bb.20:
	s_or_b32 exec_lo, exec_lo, s4
	v_and_b32_e32 v85, 0x7f800000, v86
	s_delay_alu instid0(VALU_DEP_1) | instskip(SKIP_1) | instid1(SALU_CYCLE_1)
	v_cmp_ne_u32_e32 vcc_lo, 0x7f800000, v85
                                        ; implicit-def: $vgpr85
	s_and_saveexec_b32 s4, vcc_lo
	s_xor_b32 s4, exec_lo, s4
; %bb.21:
	v_bfe_u32 v85, v86, 16, 1
	s_delay_alu instid0(VALU_DEP_1)
	v_add3_u32 v85, v86, v85, 0x7fff
                                        ; implicit-def: $vgpr86
; %bb.22:
	s_and_not1_saveexec_b32 s4, s4
; %bb.23:
	v_and_b32_e32 v85, 0xffff, v86
	v_or_b32_e32 v90, 0x10000, v86
	s_delay_alu instid0(VALU_DEP_2) | instskip(NEXT) | instid1(VALU_DEP_2)
	v_cmp_eq_u32_e32 vcc_lo, 0, v85
	v_cndmask_b32_e32 v85, v90, v86, vcc_lo
; %bb.24:
	s_or_b32 exec_lo, exec_lo, s4
	v_and_b32_e32 v86, 0x7f800000, v89
	s_delay_alu instid0(VALU_DEP_1) | instskip(SKIP_1) | instid1(SALU_CYCLE_1)
	v_cmp_ne_u32_e32 vcc_lo, 0x7f800000, v86
                                        ; implicit-def: $vgpr86
	s_and_saveexec_b32 s4, vcc_lo
	s_xor_b32 s4, exec_lo, s4
; %bb.25:
	v_bfe_u32 v86, v89, 16, 1
	s_delay_alu instid0(VALU_DEP_1)
	v_add3_u32 v86, v89, v86, 0x7fff
                                        ; implicit-def: $vgpr89
; %bb.26:
	s_and_not1_saveexec_b32 s4, s4
; %bb.27:
	v_and_b32_e32 v86, 0xffff, v89
	v_or_b32_e32 v90, 0x10000, v89
	s_delay_alu instid0(VALU_DEP_2) | instskip(NEXT) | instid1(VALU_DEP_2)
	v_cmp_eq_u32_e32 vcc_lo, 0, v86
	v_cndmask_b32_e32 v86, v90, v89, vcc_lo
; %bb.28:
	s_or_b32 exec_lo, exec_lo, s4
	v_and_b32_e32 v89, 0x7f800000, v88
	s_delay_alu instid0(VALU_DEP_1) | instskip(SKIP_1) | instid1(SALU_CYCLE_1)
	v_cmp_ne_u32_e32 vcc_lo, 0x7f800000, v89
                                        ; implicit-def: $vgpr89
	s_and_saveexec_b32 s4, vcc_lo
	s_xor_b32 s4, exec_lo, s4
; %bb.29:
	v_bfe_u32 v89, v88, 16, 1
	s_delay_alu instid0(VALU_DEP_1)
	v_add3_u32 v89, v88, v89, 0x7fff
                                        ; implicit-def: $vgpr88
; %bb.30:
	s_and_not1_saveexec_b32 s4, s4
; %bb.31:
	v_and_b32_e32 v89, 0xffff, v88
	v_or_b32_e32 v90, 0x10000, v88
	s_delay_alu instid0(VALU_DEP_2) | instskip(NEXT) | instid1(VALU_DEP_2)
	v_cmp_eq_u32_e32 vcc_lo, 0, v89
	v_cndmask_b32_e32 v89, v90, v88, vcc_lo
; %bb.32:
	s_or_b32 exec_lo, exec_lo, s4
	v_and_b32_e32 v88, 0x7f800000, v87
	s_delay_alu instid0(VALU_DEP_1) | instskip(SKIP_1) | instid1(SALU_CYCLE_1)
	v_cmp_ne_u32_e32 vcc_lo, 0x7f800000, v88
                                        ; implicit-def: $vgpr88
	s_and_saveexec_b32 s4, vcc_lo
	s_xor_b32 s4, exec_lo, s4
; %bb.33:
	v_bfe_u32 v88, v87, 16, 1
	s_delay_alu instid0(VALU_DEP_1)
	v_add3_u32 v88, v87, v88, 0x7fff
                                        ; implicit-def: $vgpr87
; %bb.34:
	s_and_not1_saveexec_b32 s4, s4
; %bb.35:
	v_and_b32_e32 v88, 0xffff, v87
	v_or_b32_e32 v90, 0x10000, v87
	s_delay_alu instid0(VALU_DEP_2) | instskip(NEXT) | instid1(VALU_DEP_2)
	v_cmp_eq_u32_e32 vcc_lo, 0, v88
	v_cndmask_b32_e32 v88, v90, v87, vcc_lo
; %bb.36:
	s_or_b32 exec_lo, exec_lo, s4
	v_and_b32_e32 v87, 0x7f800000, v84
	s_delay_alu instid0(VALU_DEP_1) | instskip(SKIP_1) | instid1(SALU_CYCLE_1)
	v_cmp_ne_u32_e32 vcc_lo, 0x7f800000, v87
                                        ; implicit-def: $vgpr87
	s_and_saveexec_b32 s4, vcc_lo
	s_xor_b32 s4, exec_lo, s4
; %bb.37:
	v_bfe_u32 v87, v84, 16, 1
	s_delay_alu instid0(VALU_DEP_1)
	v_add3_u32 v87, v84, v87, 0x7fff
                                        ; implicit-def: $vgpr84
; %bb.38:
	s_and_not1_saveexec_b32 s4, s4
; %bb.39:
	v_and_b32_e32 v87, 0xffff, v84
	v_or_b32_e32 v90, 0x10000, v84
	s_delay_alu instid0(VALU_DEP_2) | instskip(NEXT) | instid1(VALU_DEP_2)
	v_cmp_eq_u32_e32 vcc_lo, 0, v87
	v_cndmask_b32_e32 v87, v90, v84, vcc_lo
; %bb.40:
	s_or_b32 exec_lo, exec_lo, s4
	v_and_b32_e32 v84, 0x7f800000, v80
	s_delay_alu instid0(VALU_DEP_1) | instskip(SKIP_1) | instid1(SALU_CYCLE_1)
	v_cmp_ne_u32_e32 vcc_lo, 0x7f800000, v84
                                        ; implicit-def: $vgpr84
	s_and_saveexec_b32 s4, vcc_lo
	s_xor_b32 s4, exec_lo, s4
; %bb.41:
	v_bfe_u32 v84, v80, 16, 1
	s_delay_alu instid0(VALU_DEP_1)
	v_add3_u32 v84, v80, v84, 0x7fff
                                        ; implicit-def: $vgpr80
; %bb.42:
	s_and_not1_saveexec_b32 s4, s4
; %bb.43:
	v_and_b32_e32 v84, 0xffff, v80
	v_or_b32_e32 v90, 0x10000, v80
	s_delay_alu instid0(VALU_DEP_2) | instskip(NEXT) | instid1(VALU_DEP_2)
	v_cmp_eq_u32_e32 vcc_lo, 0, v84
	v_cndmask_b32_e32 v84, v90, v80, vcc_lo
; %bb.44:
	s_or_b32 exec_lo, exec_lo, s4
	s_load_b64 s[36:37], s[0:1], 0x94
	v_lshlrev_b32_e32 v91, 4, v74
	s_delay_alu instid0(VALU_DEP_2)
	v_perm_b32 v90, v84, v87, 0x7060302
	v_dual_mul_f32 v79, v82, v79 :: v_dual_lshlrev_b32 v80, 6, v65
	v_dual_mul_f32 v77, v82, v77 :: v_dual_lshlrev_b32 v92, 11, v66
	v_mul_f32_e32 v84, v82, v70
	v_perm_b32 v89, v88, v89, 0x7060302
	v_perm_b32 v88, v86, v85, 0x7060302
	;; [unrolled: 1-line block ×3, first 2 shown]
	v_mul_f32_e32 v70, v82, v81
	v_or3_b32 v76, v91, v92, v80
	v_dual_mul_f32 v78, v82, v78 :: v_dual_and_b32 v85, 0x7f800000, v84
	v_mul_f32_e32 v83, v82, v72
	v_mul_f32_e32 v81, v82, v71
	;; [unrolled: 1-line block ×3, first 2 shown]
	s_mov_b32 s4, exec_lo
	ds_store_b128 v76, v[87:90]
                                        ; implicit-def: $vgpr69
	v_cmpx_ne_u32_e32 0x7f800000, v85
	s_xor_b32 s4, exec_lo, s4
; %bb.45:
	v_bfe_u32 v69, v84, 16, 1
	s_delay_alu instid0(VALU_DEP_1)
	v_add3_u32 v69, v84, v69, 0x7fff
                                        ; implicit-def: $vgpr84
; %bb.46:
	s_and_not1_saveexec_b32 s4, s4
; %bb.47:
	v_and_b32_e32 v69, 0xffff, v84
	v_or_b32_e32 v71, 0x10000, v84
	s_delay_alu instid0(VALU_DEP_2) | instskip(NEXT) | instid1(VALU_DEP_2)
	v_cmp_eq_u32_e32 vcc_lo, 0, v69
	v_cndmask_b32_e32 v69, v71, v84, vcc_lo
; %bb.48:
	s_or_b32 exec_lo, exec_lo, s4
	v_and_b32_e32 v71, 0x7f800000, v72
	s_delay_alu instid0(VALU_DEP_1) | instskip(SKIP_1) | instid1(SALU_CYCLE_1)
	v_cmp_ne_u32_e32 vcc_lo, 0x7f800000, v71
                                        ; implicit-def: $vgpr71
	s_and_saveexec_b32 s4, vcc_lo
	s_xor_b32 s4, exec_lo, s4
; %bb.49:
	v_bfe_u32 v71, v72, 16, 1
	s_delay_alu instid0(VALU_DEP_1)
	v_add3_u32 v71, v72, v71, 0x7fff
                                        ; implicit-def: $vgpr72
; %bb.50:
	s_and_not1_saveexec_b32 s4, s4
; %bb.51:
	v_and_b32_e32 v71, 0xffff, v72
	v_or_b32_e32 v82, 0x10000, v72
	s_delay_alu instid0(VALU_DEP_2) | instskip(NEXT) | instid1(VALU_DEP_2)
	v_cmp_eq_u32_e32 vcc_lo, 0, v71
	v_cndmask_b32_e32 v71, v82, v72, vcc_lo
; %bb.52:
	s_or_b32 exec_lo, exec_lo, s4
	v_and_b32_e32 v72, 0x7f800000, v81
	s_delay_alu instid0(VALU_DEP_1) | instskip(SKIP_1) | instid1(SALU_CYCLE_1)
	v_cmp_ne_u32_e32 vcc_lo, 0x7f800000, v72
                                        ; implicit-def: $vgpr72
	s_and_saveexec_b32 s4, vcc_lo
	s_xor_b32 s4, exec_lo, s4
; %bb.53:
	v_bfe_u32 v72, v81, 16, 1
	s_delay_alu instid0(VALU_DEP_1)
	v_add3_u32 v72, v81, v72, 0x7fff
                                        ; implicit-def: $vgpr81
; %bb.54:
	s_and_not1_saveexec_b32 s4, s4
; %bb.55:
	v_and_b32_e32 v72, 0xffff, v81
	v_or_b32_e32 v82, 0x10000, v81
	s_delay_alu instid0(VALU_DEP_2) | instskip(NEXT) | instid1(VALU_DEP_2)
	v_cmp_eq_u32_e32 vcc_lo, 0, v72
	v_cndmask_b32_e32 v72, v82, v81, vcc_lo
; %bb.56:
	s_or_b32 exec_lo, exec_lo, s4
	v_and_b32_e32 v81, 0x7f800000, v83
	s_delay_alu instid0(VALU_DEP_1) | instskip(SKIP_1) | instid1(SALU_CYCLE_1)
	v_cmp_ne_u32_e32 vcc_lo, 0x7f800000, v81
                                        ; implicit-def: $vgpr81
	s_and_saveexec_b32 s4, vcc_lo
	s_xor_b32 s4, exec_lo, s4
; %bb.57:
	v_bfe_u32 v81, v83, 16, 1
	s_delay_alu instid0(VALU_DEP_1)
	v_add3_u32 v81, v83, v81, 0x7fff
                                        ; implicit-def: $vgpr83
; %bb.58:
	s_and_not1_saveexec_b32 s4, s4
; %bb.59:
	v_and_b32_e32 v81, 0xffff, v83
	v_or_b32_e32 v82, 0x10000, v83
	s_delay_alu instid0(VALU_DEP_2) | instskip(NEXT) | instid1(VALU_DEP_2)
	v_cmp_eq_u32_e32 vcc_lo, 0, v81
	v_cndmask_b32_e32 v81, v82, v83, vcc_lo
; %bb.60:
	s_or_b32 exec_lo, exec_lo, s4
	v_and_b32_e32 v82, 0x7f800000, v77
	s_delay_alu instid0(VALU_DEP_1) | instskip(SKIP_1) | instid1(SALU_CYCLE_1)
	v_cmp_ne_u32_e32 vcc_lo, 0x7f800000, v82
                                        ; implicit-def: $vgpr82
	s_and_saveexec_b32 s4, vcc_lo
	s_xor_b32 s4, exec_lo, s4
; %bb.61:
	v_bfe_u32 v82, v77, 16, 1
	s_delay_alu instid0(VALU_DEP_1)
	v_add3_u32 v82, v77, v82, 0x7fff
                                        ; implicit-def: $vgpr77
; %bb.62:
	s_and_not1_saveexec_b32 s4, s4
; %bb.63:
	v_and_b32_e32 v82, 0xffff, v77
	v_or_b32_e32 v83, 0x10000, v77
	s_delay_alu instid0(VALU_DEP_2) | instskip(NEXT) | instid1(VALU_DEP_2)
	v_cmp_eq_u32_e32 vcc_lo, 0, v82
	v_cndmask_b32_e32 v82, v83, v77, vcc_lo
; %bb.64:
	s_or_b32 exec_lo, exec_lo, s4
	v_and_b32_e32 v77, 0x7f800000, v78
	s_delay_alu instid0(VALU_DEP_1) | instskip(SKIP_1) | instid1(SALU_CYCLE_1)
	v_cmp_ne_u32_e32 vcc_lo, 0x7f800000, v77
                                        ; implicit-def: $vgpr77
	s_and_saveexec_b32 s4, vcc_lo
	s_xor_b32 s4, exec_lo, s4
; %bb.65:
	v_bfe_u32 v77, v78, 16, 1
	s_delay_alu instid0(VALU_DEP_1)
	v_add3_u32 v77, v78, v77, 0x7fff
                                        ; implicit-def: $vgpr78
; %bb.66:
	s_and_not1_saveexec_b32 s4, s4
; %bb.67:
	v_and_b32_e32 v77, 0xffff, v78
	v_or_b32_e32 v83, 0x10000, v78
	s_delay_alu instid0(VALU_DEP_2) | instskip(NEXT) | instid1(VALU_DEP_2)
	v_cmp_eq_u32_e32 vcc_lo, 0, v77
	v_cndmask_b32_e32 v77, v83, v78, vcc_lo
; %bb.68:
	s_or_b32 exec_lo, exec_lo, s4
	v_and_b32_e32 v78, 0x7f800000, v79
	s_delay_alu instid0(VALU_DEP_1) | instskip(SKIP_1) | instid1(SALU_CYCLE_1)
	v_cmp_ne_u32_e32 vcc_lo, 0x7f800000, v78
                                        ; implicit-def: $vgpr78
	s_and_saveexec_b32 s4, vcc_lo
	s_xor_b32 s4, exec_lo, s4
; %bb.69:
	v_bfe_u32 v78, v79, 16, 1
	s_delay_alu instid0(VALU_DEP_1)
	v_add3_u32 v78, v79, v78, 0x7fff
                                        ; implicit-def: $vgpr79
; %bb.70:
	s_and_not1_saveexec_b32 s4, s4
; %bb.71:
	v_and_b32_e32 v78, 0xffff, v79
	v_or_b32_e32 v83, 0x10000, v79
	s_delay_alu instid0(VALU_DEP_2) | instskip(NEXT) | instid1(VALU_DEP_2)
	v_cmp_eq_u32_e32 vcc_lo, 0, v78
	v_cndmask_b32_e32 v78, v83, v79, vcc_lo
; %bb.72:
	s_or_b32 exec_lo, exec_lo, s4
	v_and_b32_e32 v79, 0x7f800000, v70
	s_delay_alu instid0(VALU_DEP_1) | instskip(SKIP_1) | instid1(SALU_CYCLE_1)
	v_cmp_ne_u32_e32 vcc_lo, 0x7f800000, v79
                                        ; implicit-def: $vgpr79
	s_and_saveexec_b32 s4, vcc_lo
	s_xor_b32 s4, exec_lo, s4
; %bb.73:
	v_bfe_u32 v79, v70, 16, 1
	s_delay_alu instid0(VALU_DEP_1)
	v_add3_u32 v79, v70, v79, 0x7fff
                                        ; implicit-def: $vgpr70
; %bb.74:
	s_and_not1_saveexec_b32 s4, s4
; %bb.75:
	v_and_b32_e32 v79, 0xffff, v70
	v_or_b32_e32 v83, 0x10000, v70
	s_delay_alu instid0(VALU_DEP_2) | instskip(NEXT) | instid1(VALU_DEP_2)
	v_cmp_eq_u32_e32 vcc_lo, 0, v79
	v_cndmask_b32_e32 v79, v83, v70, vcc_lo
; %bb.76:
	s_or_b32 exec_lo, exec_lo, s4
	s_delay_alu instid0(VALU_DEP_1)
	v_perm_b32 v86, v79, v78, 0x7060302
	v_perm_b32 v85, v77, v82, 0x7060302
	;; [unrolled: 1-line block ×4, first 2 shown]
	v_lshl_or_b32 v82, v66, 11, v80
	ds_store_b128 v76, v[83:86] offset:1024
	s_waitcnt lgkmcnt(0)
	s_barrier
	buffer_gl0_inv
	ds_load_b128 v[69:72], v82
	ds_load_b128 v[83:86], v82 offset:16
	s_waitcnt lgkmcnt(1)
	v_lshrrev_b32_e32 v66, 16, v69
	s_waitcnt lgkmcnt(0)
	v_lshrrev_b32_e32 v91, 16, v83
	v_lshlrev_b32_e32 v78, 2, v74
	v_lshrrev_b32_e32 v95, 16, v70
	v_lshrrev_b32_e32 v98, 16, v84
	;; [unrolled: 1-line block ×4, first 2 shown]
	v_cmp_eq_u32_e32 vcc_lo, 1, v78
	v_lshrrev_b32_e32 v97, 16, v72
	v_lshrrev_b32_e32 v100, 16, v86
	v_cndmask_b32_e32 v87, v83, v91, vcc_lo
	v_or_b32_e32 v79, 1, v78
	v_cndmask_b32_e32 v81, v69, v66, vcc_lo
	v_cmp_eq_u32_e64 s5, 2, v78
	v_cmp_eq_u32_e64 s8, 3, v78
	;; [unrolled: 1-line block ×5, first 2 shown]
	v_cndmask_b32_e64 v81, v81, v70, s5
	v_cndmask_b32_e64 v87, v87, v84, s5
	v_cmp_eq_u32_e64 s9, 3, v79
	v_cndmask_b32_e64 v88, v69, v66, s4
	v_or_b32_e32 v77, 2, v78
	v_cndmask_b32_e64 v81, v81, v95, s8
	v_cndmask_b32_e64 v87, v87, v98, s8
	;; [unrolled: 1-line block ×4, first 2 shown]
	v_cmp_eq_u32_e64 s11, 5, v78
	v_cndmask_b32_e64 v81, v81, v71, s10
	v_cndmask_b32_e64 v87, v87, v85, s10
	v_cmp_eq_u32_e64 s12, 4, v79
	v_cndmask_b32_e64 v88, v88, v95, s9
	v_cmp_eq_u32_e64 s6, 1, v77
	v_cndmask_b32_e64 v89, v89, v84, s7
	v_cndmask_b32_e64 v81, v81, v96, s11
	v_cmp_eq_u32_e64 s13, 6, v78
	v_cndmask_b32_e64 v88, v88, v71, s12
	;; [unrolled: 3-line block ×3, first 2 shown]
	v_cndmask_b32_e64 v89, v89, v98, s9
	v_cndmask_b32_e64 v81, v81, v72, s13
	v_cmp_eq_u32_e64 s16, 7, v78
	v_cndmask_b32_e64 v88, v88, v96, s15
	v_cndmask_b32_e64 v87, v87, v86, s13
	v_cmp_eq_u32_e64 s17, 6, v79
	v_cmp_eq_u32_e64 s18, 2, v77
	v_cndmask_b32_e64 v89, v89, v85, s12
	v_cndmask_b32_e64 v101, v81, v97, s16
	;; [unrolled: 1-line block ×6, first 2 shown]
	v_cmp_eq_u32_e64 s19, 7, v79
	v_cmp_eq_u32_e64 s20, 3, v77
	;; [unrolled: 1-line block ×4, first 2 shown]
	v_cndmask_b32_e64 v87, v87, v84, s18
	v_cndmask_b32_e64 v103, v88, v97, s19
	;; [unrolled: 1-line block ×4, first 2 shown]
	v_or_b32_e32 v81, 3, v78
	v_cndmask_b32_e64 v93, v87, v98, s20
	v_cmp_eq_u32_e64 s25, 6, v77
	v_cndmask_b32_e64 v104, v88, v86, s17
	v_cndmask_b32_e64 v92, v89, v71, s21
	v_cmp_eq_u32_e64 s22, 1, v81
	ds_load_b128 v[87:90], v82 offset:1024
	v_cmp_eq_u32_e64 s24, 2, v81
	v_cmp_eq_u32_e64 s26, 3, v81
	v_cndmask_b32_e64 v105, v92, v96, s23
	v_cndmask_b32_e64 v66, v69, v66, s22
	;; [unrolled: 1-line block ×4, first 2 shown]
	ds_load_b128 v[91:94], v82 offset:1040
	v_cmp_eq_u32_e64 s27, 4, v81
	v_cndmask_b32_e64 v66, v66, v70, s24
	v_cmp_eq_u32_e64 s28, 7, v77
	v_cndmask_b32_e64 v70, v83, v84, s24
	v_cndmask_b32_e64 v84, v105, v72, s25
	v_cmp_eq_u32_e64 s29, 5, v81
	v_cndmask_b32_e64 v66, v66, v95, s26
	v_cmp_eq_u32_e64 s30, 6, v81
	v_cndmask_b32_e64 v70, v70, v98, s26
	v_cndmask_b32_e64 v69, v69, v99, s23
	;; [unrolled: 1-line block ×4, first 2 shown]
	s_waitcnt lgkmcnt(1)
	v_lshrrev_b32_e32 v95, 16, v87
	v_cndmask_b32_e64 v70, v70, v85, s27
	v_cndmask_b32_e64 v71, v84, v97, s28
	v_cndmask_b32_e64 v69, v69, v86, s25
	v_cndmask_b32_e64 v66, v66, v96, s29
	v_cndmask_b32_e32 v84, v87, v95, vcc_lo
	v_cndmask_b32_e64 v70, v70, v99, s29
	s_waitcnt lgkmcnt(0)
	v_lshrrev_b32_e32 v85, 16, v91
	v_lshrrev_b32_e32 v96, 16, v88
	v_cndmask_b32_e64 v98, v87, v95, s4
	v_cndmask_b32_e64 v84, v84, v88, s5
	;; [unrolled: 1-line block ×3, first 2 shown]
	v_cndmask_b32_e32 v99, v91, v85, vcc_lo
	v_cmp_eq_u32_e32 vcc_lo, 7, v81
	v_cndmask_b32_e64 v66, v66, v72, s30
	v_cndmask_b32_e64 v72, v84, v96, s8
	;; [unrolled: 1-line block ×3, first 2 shown]
	v_lshrrev_b32_e32 v98, 16, v92
	v_cndmask_b32_e32 v70, v70, v100, vcc_lo
	v_cndmask_b32_e64 v86, v99, v92, s5
	v_cndmask_b32_e64 v69, v69, v100, s28
	v_lshrrev_b32_e32 v100, 16, v93
	v_cndmask_b32_e64 v72, v72, v89, s10
	v_lshrrev_b32_e32 v99, 16, v89
	v_cndmask_b32_e64 v86, v86, v98, s8
	v_perm_b32 v71, v69, v71, 0x5040100
	v_cndmask_b32_e64 v84, v84, v96, s9
	s_delay_alu instid0(VALU_DEP_3) | instskip(NEXT) | instid1(VALU_DEP_2)
	v_cndmask_b32_e64 v86, v86, v93, s10
	v_cndmask_b32_e64 v84, v84, v89, s12
	s_delay_alu instid0(VALU_DEP_2) | instskip(NEXT) | instid1(VALU_DEP_1)
	v_cndmask_b32_e64 v86, v86, v100, s11
	v_cndmask_b32_e64 v69, v86, v94, s13
	;; [unrolled: 1-line block ×5, first 2 shown]
	s_delay_alu instid0(VALU_DEP_3) | instskip(NEXT) | instid1(VALU_DEP_3)
	v_cndmask_b32_e64 v86, v86, v88, s18
	v_cndmask_b32_e64 v87, v87, v88, s24
	s_delay_alu instid0(VALU_DEP_3) | instskip(NEXT) | instid1(VALU_DEP_3)
	v_cndmask_b32_e64 v88, v95, v92, s24
	v_cndmask_b32_e64 v86, v86, v96, s20
	s_delay_alu instid0(VALU_DEP_3) | instskip(NEXT) | instid1(VALU_DEP_3)
	v_cndmask_b32_e64 v87, v87, v96, s26
	v_cndmask_b32_e64 v88, v88, v98, s26
	s_delay_alu instid0(VALU_DEP_3) | instskip(NEXT) | instid1(VALU_DEP_3)
	v_cndmask_b32_e64 v86, v86, v89, s21
	v_cndmask_b32_e64 v87, v87, v89, s27
	s_delay_alu instid0(VALU_DEP_3) | instskip(NEXT) | instid1(VALU_DEP_3)
	v_cndmask_b32_e64 v88, v88, v93, s27
	v_cndmask_b32_e64 v86, v86, v99, s23
	s_delay_alu instid0(VALU_DEP_3) | instskip(NEXT) | instid1(VALU_DEP_3)
	v_cndmask_b32_e64 v87, v87, v99, s29
	v_cndmask_b32_e64 v88, v88, v100, s29
	s_delay_alu instid0(VALU_DEP_3) | instskip(NEXT) | instid1(VALU_DEP_3)
	v_cndmask_b32_e64 v86, v86, v90, s25
	v_cndmask_b32_e64 v87, v87, v90, s30
	s_delay_alu instid0(VALU_DEP_3) | instskip(SKIP_2) | instid1(VALU_DEP_2)
	v_cndmask_b32_e64 v88, v88, v94, s30
	v_cndmask_b32_e32 v66, v66, v97, vcc_lo
	v_cndmask_b32_e64 v97, v72, v99, s11
	v_perm_b32 v72, v70, v66, 0x5040100
	v_perm_b32 v70, v83, v103, 0x5040100
	v_cndmask_b32_e64 v103, v91, v85, s6
	v_cndmask_b32_e64 v85, v91, v85, s4
	v_cndmask_b32_e64 v66, v84, v99, s15
	v_cndmask_b32_e64 v84, v97, v90, s13
	v_lshrrev_b32_e32 v97, 16, v90
	v_cndmask_b32_e64 v91, v103, v92, s18
	v_cndmask_b32_e64 v85, v85, v92, s7
	;; [unrolled: 1-line block ×3, first 2 shown]
	s_mov_b32 s4, exec_lo
	v_cndmask_b32_e64 v83, v84, v97, s16
	v_cndmask_b32_e64 v91, v91, v98, s20
	;; [unrolled: 1-line block ×3, first 2 shown]
	v_lshrrev_b32_e32 v84, 16, v94
	v_cndmask_b32_e64 v66, v66, v97, s19
	v_cndmask_b32_e64 v90, v86, v97, s28
	;; [unrolled: 1-line block ×4, first 2 shown]
	v_dual_cndmask_b32 v86, v87, v97 :: v_dual_cndmask_b32 v87, v88, v84
	v_cndmask_b32_e64 v91, v69, v84, s16
	s_delay_alu instid0(VALU_DEP_4) | instskip(NEXT) | instid1(VALU_DEP_4)
	v_cndmask_b32_e64 v89, v89, v100, s23
	v_cndmask_b32_e64 v85, v85, v100, s15
	v_perm_b32 v69, v102, v101, 0x5040100
	v_perm_b32 v86, v87, v86, 0x5040100
	;; [unrolled: 1-line block ×3, first 2 shown]
	v_cndmask_b32_e64 v89, v89, v94, s25
	v_cndmask_b32_e64 v85, v85, v94, s17
	s_mul_i32 s9, s37, 5
	s_delay_alu instid0(VALU_DEP_2) | instskip(NEXT) | instid1(VALU_DEP_2)
	v_cndmask_b32_e64 v88, v89, v84, s28
	v_cndmask_b32_e64 v89, v85, v84, s19
	s_delay_alu instid0(VALU_DEP_2) | instskip(NEXT) | instid1(VALU_DEP_2)
	v_perm_b32 v85, v88, v90, 0x5040100
	v_perm_b32 v84, v89, v66, 0x5040100
	ds_store_b128 v76, v[69:72]
	ds_store_b128 v76, v[83:86] offset:1024
	v_cmpx_gt_u32_e32 5, v0
	s_cbranch_execz .LBB1666_78
; %bb.77:
	s_mul_i32 s5, s9, s34
	s_load_b128 s[16:19], s[0:1], 0x58
	v_add3_u32 v69, s5, s31, v65
	s_delay_alu instid0(VALU_DEP_1) | instskip(NEXT) | instid1(VALU_DEP_1)
	v_mad_u64_u32 v[65:66], null, v69, s36, s[14:15]
	v_ashrrev_i32_e32 v66, 31, v65
	s_delay_alu instid0(VALU_DEP_1) | instskip(SKIP_1) | instid1(VALU_DEP_1)
	v_lshlrev_b64 v[65:66], 2, v[65:66]
	s_waitcnt lgkmcnt(0)
	v_add_co_u32 v69, vcc_lo, s18, v65
	s_delay_alu instid0(VALU_DEP_2)
	v_add_co_ci_u32_e32 v70, vcc_lo, s19, v66, vcc_lo
	v_add_co_u32 v65, vcc_lo, s16, v65
	v_add_co_ci_u32_e32 v66, vcc_lo, s17, v66, vcc_lo
	global_store_b32 v[69:70], v67, off
	global_store_b32 v[65:66], v68, off
.LBB1666_78:
	s_or_b32 exec_lo, exec_lo, s4
	s_waitcnt lgkmcnt(0)
	s_waitcnt_vscnt null, 0x0
	s_barrier
	buffer_gl0_inv
	ds_load_b128 v[83:86], v80
	ds_load_b128 v[87:90], v80 offset:16
	ds_load_b128 v[95:98], v80 offset:2064
	;; [unrolled: 1-line block ×3, first 2 shown]
	v_mov_b32_e32 v65, 0
	ds_load_b128 v[103:106], v80 offset:4112
	ds_load_b128 v[99:102], v80 offset:4096
	;; [unrolled: 1-line block ×4, first 2 shown]
	v_mov_b32_e32 v66, v65
	v_mov_b32_e32 v67, v65
	v_mov_b32_e32 v68, v65
	v_mov_b32_e32 v69, v65
	v_mov_b32_e32 v70, v65
	v_mov_b32_e32 v71, v65
	v_mov_b32_e32 v72, v65
	s_waitcnt lgkmcnt(6)
	s_delay_alu instid0(VALU_DEP_1)
	v_wmma_f32_16x16x16_bf16 v[65:72], v[57:64], v[83:90], v[65:72]
	ds_load_b128 v[61:64], v80 offset:8208
	ds_load_b128 v[57:60], v80 offset:8192
	s_waitcnt lgkmcnt(6)
	v_wmma_f32_16x16x16_bf16 v[65:72], v[41:48], v[91:98], v[65:72]
	ds_load_b128 v[45:48], v80 offset:10256
	ds_load_b128 v[41:44], v80 offset:10240
	s_waitcnt lgkmcnt(6)
	;; [unrolled: 4-line block ×4, first 2 shown]
	v_wmma_f32_16x16x16_bf16 v[65:72], v[1:8], v[57:64], v[65:72]
	s_waitcnt lgkmcnt(4)
	s_delay_alu instid0(VALU_DEP_1) | instskip(SKIP_1) | instid1(VALU_DEP_1)
	v_wmma_f32_16x16x16_bf16 v[65:72], v[9:16], v[41:48], v[65:72]
	s_waitcnt lgkmcnt(2)
	v_wmma_f32_16x16x16_bf16 v[65:72], v[17:24], v[33:40], v[65:72]
	s_waitcnt lgkmcnt(0)
	s_delay_alu instid0(VALU_DEP_1) | instskip(NEXT) | instid1(VALU_DEP_1)
	v_wmma_f32_16x16x16_bf16 v[65:72], v[49:56], v[25:32], v[65:72]
	v_and_b32_e32 v1, 0x7f800000, v65
	s_delay_alu instid0(VALU_DEP_1) | instskip(SKIP_1) | instid1(SALU_CYCLE_1)
	v_cmp_ne_u32_e32 vcc_lo, 0x7f800000, v1
                                        ; implicit-def: $vgpr1
	s_and_saveexec_b32 s4, vcc_lo
	s_xor_b32 s4, exec_lo, s4
; %bb.79:
	v_bfe_u32 v1, v65, 16, 1
	s_delay_alu instid0(VALU_DEP_1)
	v_add3_u32 v1, v65, v1, 0x7fff
; %bb.80:
	s_and_not1_saveexec_b32 s4, s4
; %bb.81:
	v_and_b32_e32 v1, 0xffff, v65
	v_or_b32_e32 v2, 0x10000, v65
	s_delay_alu instid0(VALU_DEP_2) | instskip(NEXT) | instid1(VALU_DEP_2)
	v_cmp_eq_u32_e32 vcc_lo, 0, v1
	v_cndmask_b32_e32 v1, v2, v65, vcc_lo
; %bb.82:
	s_or_b32 exec_lo, exec_lo, s4
	v_and_b32_e32 v2, 0x7f800000, v66
	s_delay_alu instid0(VALU_DEP_1) | instskip(SKIP_1) | instid1(SALU_CYCLE_1)
	v_cmp_ne_u32_e32 vcc_lo, 0x7f800000, v2
                                        ; implicit-def: $vgpr2
	s_and_saveexec_b32 s4, vcc_lo
	s_xor_b32 s4, exec_lo, s4
; %bb.83:
	v_bfe_u32 v2, v66, 16, 1
	s_delay_alu instid0(VALU_DEP_1)
	v_add3_u32 v2, v66, v2, 0x7fff
; %bb.84:
	s_and_not1_saveexec_b32 s4, s4
; %bb.85:
	v_and_b32_e32 v2, 0xffff, v66
	v_or_b32_e32 v3, 0x10000, v66
	s_delay_alu instid0(VALU_DEP_2) | instskip(NEXT) | instid1(VALU_DEP_2)
	v_cmp_eq_u32_e32 vcc_lo, 0, v2
	v_cndmask_b32_e32 v2, v3, v66, vcc_lo
; %bb.86:
	s_or_b32 exec_lo, exec_lo, s4
	v_and_b32_e32 v3, 0x7f800000, v67
	s_delay_alu instid0(VALU_DEP_1) | instskip(SKIP_1) | instid1(SALU_CYCLE_1)
	v_cmp_ne_u32_e32 vcc_lo, 0x7f800000, v3
                                        ; implicit-def: $vgpr3
	s_and_saveexec_b32 s4, vcc_lo
	s_xor_b32 s4, exec_lo, s4
; %bb.87:
	v_bfe_u32 v3, v67, 16, 1
	s_delay_alu instid0(VALU_DEP_1)
	v_add3_u32 v3, v67, v3, 0x7fff
; %bb.88:
	s_and_not1_saveexec_b32 s4, s4
; %bb.89:
	v_and_b32_e32 v3, 0xffff, v67
	v_or_b32_e32 v4, 0x10000, v67
	s_delay_alu instid0(VALU_DEP_2) | instskip(NEXT) | instid1(VALU_DEP_2)
	v_cmp_eq_u32_e32 vcc_lo, 0, v3
	v_cndmask_b32_e32 v3, v4, v67, vcc_lo
; %bb.90:
	s_or_b32 exec_lo, exec_lo, s4
	v_and_b32_e32 v4, 0x7f800000, v68
	s_delay_alu instid0(VALU_DEP_1) | instskip(SKIP_1) | instid1(SALU_CYCLE_1)
	v_cmp_ne_u32_e32 vcc_lo, 0x7f800000, v4
                                        ; implicit-def: $vgpr4
	s_and_saveexec_b32 s4, vcc_lo
	s_xor_b32 s4, exec_lo, s4
; %bb.91:
	v_bfe_u32 v4, v68, 16, 1
	s_delay_alu instid0(VALU_DEP_1)
	v_add3_u32 v4, v68, v4, 0x7fff
; %bb.92:
	s_and_not1_saveexec_b32 s4, s4
; %bb.93:
	v_and_b32_e32 v4, 0xffff, v68
	v_or_b32_e32 v5, 0x10000, v68
	s_delay_alu instid0(VALU_DEP_2) | instskip(NEXT) | instid1(VALU_DEP_2)
	v_cmp_eq_u32_e32 vcc_lo, 0, v4
	v_cndmask_b32_e32 v4, v5, v68, vcc_lo
; %bb.94:
	s_or_b32 exec_lo, exec_lo, s4
	v_and_b32_e32 v5, 0x7f800000, v69
	s_delay_alu instid0(VALU_DEP_1) | instskip(SKIP_1) | instid1(SALU_CYCLE_1)
	v_cmp_ne_u32_e32 vcc_lo, 0x7f800000, v5
                                        ; implicit-def: $vgpr5
	s_and_saveexec_b32 s4, vcc_lo
	s_xor_b32 s4, exec_lo, s4
; %bb.95:
	v_bfe_u32 v5, v69, 16, 1
	s_delay_alu instid0(VALU_DEP_1)
	v_add3_u32 v5, v69, v5, 0x7fff
; %bb.96:
	s_and_not1_saveexec_b32 s4, s4
; %bb.97:
	v_and_b32_e32 v5, 0xffff, v69
	v_or_b32_e32 v6, 0x10000, v69
	s_delay_alu instid0(VALU_DEP_2) | instskip(NEXT) | instid1(VALU_DEP_2)
	v_cmp_eq_u32_e32 vcc_lo, 0, v5
	v_cndmask_b32_e32 v5, v6, v69, vcc_lo
; %bb.98:
	s_or_b32 exec_lo, exec_lo, s4
	v_and_b32_e32 v6, 0x7f800000, v70
	s_delay_alu instid0(VALU_DEP_1) | instskip(SKIP_1) | instid1(SALU_CYCLE_1)
	v_cmp_ne_u32_e32 vcc_lo, 0x7f800000, v6
                                        ; implicit-def: $vgpr6
	s_and_saveexec_b32 s4, vcc_lo
	s_xor_b32 s4, exec_lo, s4
; %bb.99:
	v_bfe_u32 v6, v70, 16, 1
	s_delay_alu instid0(VALU_DEP_1)
	v_add3_u32 v6, v70, v6, 0x7fff
; %bb.100:
	s_and_not1_saveexec_b32 s4, s4
; %bb.101:
	v_and_b32_e32 v6, 0xffff, v70
	v_or_b32_e32 v7, 0x10000, v70
	s_delay_alu instid0(VALU_DEP_2) | instskip(NEXT) | instid1(VALU_DEP_2)
	v_cmp_eq_u32_e32 vcc_lo, 0, v6
	v_cndmask_b32_e32 v6, v7, v70, vcc_lo
; %bb.102:
	s_or_b32 exec_lo, exec_lo, s4
	v_and_b32_e32 v7, 0x7f800000, v71
	s_delay_alu instid0(VALU_DEP_1) | instskip(SKIP_1) | instid1(SALU_CYCLE_1)
	v_cmp_ne_u32_e32 vcc_lo, 0x7f800000, v7
                                        ; implicit-def: $vgpr7
	s_and_saveexec_b32 s4, vcc_lo
	s_xor_b32 s4, exec_lo, s4
; %bb.103:
	v_bfe_u32 v7, v71, 16, 1
	s_delay_alu instid0(VALU_DEP_1)
	v_add3_u32 v7, v71, v7, 0x7fff
; %bb.104:
	s_and_not1_saveexec_b32 s4, s4
; %bb.105:
	v_and_b32_e32 v7, 0xffff, v71
	v_or_b32_e32 v8, 0x10000, v71
	s_delay_alu instid0(VALU_DEP_2) | instskip(NEXT) | instid1(VALU_DEP_2)
	v_cmp_eq_u32_e32 vcc_lo, 0, v7
	v_cndmask_b32_e32 v7, v8, v71, vcc_lo
; %bb.106:
	s_or_b32 exec_lo, exec_lo, s4
	v_and_b32_e32 v8, 0x7f800000, v72
	s_delay_alu instid0(VALU_DEP_1) | instskip(SKIP_1) | instid1(SALU_CYCLE_1)
	v_cmp_ne_u32_e32 vcc_lo, 0x7f800000, v8
                                        ; implicit-def: $vgpr8
	s_and_saveexec_b32 s4, vcc_lo
	s_xor_b32 s4, exec_lo, s4
; %bb.107:
	v_bfe_u32 v8, v72, 16, 1
	s_delay_alu instid0(VALU_DEP_1)
	v_add3_u32 v8, v72, v8, 0x7fff
                                        ; implicit-def: $vgpr65_vgpr66_vgpr67_vgpr68_vgpr69_vgpr70_vgpr71_vgpr72
; %bb.108:
	s_and_not1_saveexec_b32 s4, s4
; %bb.109:
	v_and_b32_e32 v8, 0xffff, v72
	v_or_b32_e32 v9, 0x10000, v72
	s_delay_alu instid0(VALU_DEP_2) | instskip(NEXT) | instid1(VALU_DEP_2)
	v_cmp_eq_u32_e32 vcc_lo, 0, v8
	v_cndmask_b32_e32 v8, v9, v72, vcc_lo
; %bb.110:
	s_or_b32 exec_lo, exec_lo, s4
	s_delay_alu instid0(VALU_DEP_1)
	v_perm_b32 v7, v8, v7, 0x7060302
	v_perm_b32 v6, v6, v5, 0x7060302
	;; [unrolled: 1-line block ×4, first 2 shown]
	s_barrier
	buffer_gl0_inv
	v_cmp_eq_u32_e32 vcc_lo, 1, v78
	ds_store_b128 v76, v[4:7]
	s_waitcnt lgkmcnt(0)
	s_barrier
	buffer_gl0_inv
	ds_load_b128 v[1:4], v82
	ds_load_b128 v[5:8], v82 offset:16
	v_cmp_eq_u32_e64 s4, 1, v79
	v_cmp_eq_u32_e64 s5, 2, v78
	;; [unrolled: 1-line block ×5, first 2 shown]
	s_waitcnt lgkmcnt(1)
	v_lshrrev_b32_e32 v9, 16, v1
	s_waitcnt lgkmcnt(0)
	v_lshrrev_b32_e32 v13, 16, v5
	v_lshrrev_b32_e32 v10, 16, v2
	;; [unrolled: 1-line block ×4, first 2 shown]
	v_cndmask_b32_e64 v19, v1, v9, s4
	v_cndmask_b32_e32 v18, v5, v13, vcc_lo
	v_cndmask_b32_e64 v20, v5, v13, s4
	v_cndmask_b32_e32 v17, v1, v9, vcc_lo
	v_cmp_eq_u32_e32 vcc_lo, 2, v79
	v_lshrrev_b32_e32 v15, 16, v7
	v_cmp_eq_u32_e64 s4, 1, v77
	v_lshrrev_b32_e32 v12, 16, v4
	v_lshrrev_b32_e32 v16, 16, v8
	v_cndmask_b32_e32 v20, v20, v6, vcc_lo
	v_cndmask_b32_e64 v17, v17, v2, s5
	v_cndmask_b32_e32 v19, v19, v2, vcc_lo
	v_cndmask_b32_e64 v18, v18, v6, s5
	v_cmp_eq_u32_e32 vcc_lo, 4, v78
	v_cmp_eq_u32_e64 s5, 3, v79
	v_cndmask_b32_e64 v17, v17, v10, s6
	v_cndmask_b32_e64 v21, v1, v9, s4
	;; [unrolled: 1-line block ×5, first 2 shown]
	v_cndmask_b32_e32 v17, v17, v3, vcc_lo
	v_cndmask_b32_e64 v20, v20, v14, s5
	v_cndmask_b32_e32 v18, v18, v7, vcc_lo
	v_cmp_eq_u32_e32 vcc_lo, 4, v79
	v_cmp_eq_u32_e64 s5, 5, v79
	v_cmp_eq_u32_e64 s4, 2, v81
	v_cndmask_b32_e64 v21, v21, v2, s8
	v_cmp_eq_u32_e64 s6, 5, v78
	v_cndmask_b32_e32 v19, v19, v3, vcc_lo
	v_cndmask_b32_e32 v20, v20, v7, vcc_lo
	v_cmp_eq_u32_e32 vcc_lo, 6, v79
	s_delay_alu instid0(VALU_DEP_4) | instskip(NEXT) | instid1(VALU_DEP_4)
	v_cndmask_b32_e64 v17, v17, v11, s6
	v_cndmask_b32_e64 v19, v19, v11, s5
	s_delay_alu instid0(VALU_DEP_4) | instskip(SKIP_1) | instid1(VALU_DEP_3)
	v_cndmask_b32_e64 v20, v20, v15, s5
	v_cmp_eq_u32_e64 s5, 1, v81
	v_cndmask_b32_e32 v19, v19, v4, vcc_lo
	v_cndmask_b32_e64 v18, v18, v15, s6
	s_delay_alu instid0(VALU_DEP_3)
	v_cndmask_b32_e64 v1, v1, v9, s5
	v_cndmask_b32_e64 v5, v5, v13, s5
	v_cmp_eq_u32_e64 s5, 3, v77
	v_cndmask_b32_e64 v13, v22, v6, s8
	v_cmp_eq_u32_e64 s8, 3, v81
	v_cndmask_b32_e64 v1, v1, v2, s4
	v_cndmask_b32_e64 v2, v5, v6, s4
	;; [unrolled: 1-line block ×3, first 2 shown]
	v_cmp_eq_u32_e64 s4, 4, v77
	v_cndmask_b32_e64 v6, v13, v14, s5
	v_cndmask_b32_e64 v1, v1, v10, s8
	v_cmp_eq_u32_e64 s5, 4, v81
	v_cndmask_b32_e64 v2, v2, v14, s8
	v_cndmask_b32_e64 v5, v9, v3, s4
	;; [unrolled: 3-line block ×3, first 2 shown]
	v_cndmask_b32_e64 v2, v2, v7, s5
	v_cmp_eq_u32_e64 s4, 5, v81
	v_cmp_eq_u32_e64 s6, 6, v78
	v_cndmask_b32_e64 v5, v5, v11, s8
	v_cmp_eq_u32_e64 s5, 6, v77
	v_cndmask_b32_e64 v3, v6, v15, s8
	v_cndmask_b32_e64 v1, v1, v11, s4
	v_cmp_eq_u32_e64 s8, 6, v81
	v_cndmask_b32_e64 v2, v2, v15, s4
	v_cndmask_b32_e64 v17, v17, v4, s6
	v_cndmask_b32_e64 v18, v18, v8, s6
	v_cmp_eq_u32_e64 s6, 7, v78
	v_cndmask_b32_e64 v5, v5, v4, s5
	;; [unrolled: 4-line block ×3, first 2 shown]
	v_cmp_eq_u32_e64 s5, 7, v77
	v_cndmask_b32_e32 v4, v20, v8, vcc_lo
	v_cndmask_b32_e64 v17, v17, v12, s6
	v_cndmask_b32_e64 v19, v19, v12, s7
	;; [unrolled: 1-line block ×8, first 2 shown]
	v_cmp_gt_u32_e32 vcc_lo, 32, v0
	v_perm_b32 v4, v2, v1, 0x5040100
	v_perm_b32 v3, v3, v5, 0x5040100
	;; [unrolled: 1-line block ×4, first 2 shown]
	s_and_b32 s2, vcc_lo, s2
	ds_store_b128 v76, v[1:4]
	s_waitcnt lgkmcnt(0)
	s_barrier
	buffer_gl0_inv
	s_and_saveexec_b32 s4, s2
	s_cbranch_execz .LBB1666_2
; %bb.111:
	s_load_b64 s[4:5], s[0:1], 0x68
	v_lshlrev_b32_e32 v0, 10, v0
	v_add_nc_u32_e32 v2, s31, v74
	v_lshlrev_b32_e32 v3, 4, v75
	s_lshl_b32 s0, s36, 6
	s_delay_alu instid0(SALU_CYCLE_1) | instskip(NEXT) | instid1(VALU_DEP_2)
	s_mul_i32 s1, s0, s34
	v_mul_lo_u32 v1, v2, s0
	s_delay_alu instid0(VALU_DEP_2) | instskip(SKIP_2) | instid1(SALU_CYCLE_1)
	v_and_or_b32 v0, 0x3800, v0, v3
	v_add_nc_u32_e32 v2, 2, v2
	s_mul_i32 s6, s1, s9
	s_ashr_i32 s7, s6, 31
	s_delay_alu instid0(VALU_DEP_2)
	v_lshl_or_b32 v7, v74, 6, v0
	s_lshl_b64 s[6:7], s[6:7], 1
	v_mul_lo_u32 v11, v2, s0
	v_ashrrev_i32_e32 v2, 31, v1
	ds_load_b128 v[3:6], v7
	ds_load_b128 v[7:10], v7 offset:128
	s_waitcnt lgkmcnt(0)
	s_add_u32 s1, s4, s6
	s_addc_u32 s2, s5, s7
	s_lshl_b32 s4, s14, 6
	v_ashrrev_i32_e32 v12, 31, v11
	s_ashr_i32 s5, s4, 31
	v_lshlrev_b64 v[13:14], 1, v[1:2]
	s_lshl_b64 s[4:5], s[4:5], 1
	s_delay_alu instid0(SALU_CYCLE_1) | instskip(SKIP_2) | instid1(VALU_DEP_1)
	s_add_u32 s1, s1, s4
	s_addc_u32 s2, s2, s5
	v_add_co_u32 v1, s1, s1, v73
	v_add_co_ci_u32_e64 v2, null, s2, 0, s1
	v_lshlrev_b64 v[11:12], 1, v[11:12]
	s_delay_alu instid0(VALU_DEP_3) | instskip(NEXT) | instid1(VALU_DEP_3)
	v_add_co_u32 v13, vcc_lo, v1, v13
	v_add_co_ci_u32_e32 v14, vcc_lo, v2, v14, vcc_lo
	s_delay_alu instid0(VALU_DEP_3) | instskip(NEXT) | instid1(VALU_DEP_4)
	v_add_co_u32 v11, vcc_lo, v1, v11
	v_add_co_ci_u32_e32 v12, vcc_lo, v2, v12, vcc_lo
	s_clause 0x1
	global_store_b128 v[13:14], v[3:6], off
	global_store_b128 v[11:12], v[7:10], off
	s_and_b32 exec_lo, exec_lo, s3
	s_cbranch_execz .LBB1666_2
; %bb.112:
	ds_load_b128 v[3:6], v0 offset:256
	s_add_i32 s1, s31, 4
	s_delay_alu instid0(SALU_CYCLE_1) | instskip(NEXT) | instid1(SALU_CYCLE_1)
	s_mul_i32 s0, s1, s0
	s_ashr_i32 s1, s0, 31
	s_delay_alu instid0(SALU_CYCLE_1) | instskip(NEXT) | instid1(SALU_CYCLE_1)
	s_lshl_b64 s[0:1], s[0:1], 1
	v_add_co_u32 v0, vcc_lo, v1, s0
	v_add_co_ci_u32_e32 v1, vcc_lo, s1, v2, vcc_lo
	s_waitcnt lgkmcnt(0)
	global_store_b128 v[0:1], v[3:6], off
	s_nop 0
	s_sendmsg sendmsg(MSG_DEALLOC_VGPRS)
	s_endpgm
	.section	.rodata,"a",@progbits
	.p2align	6, 0x0
	.amdhsa_kernel _Z39paged_attention_ll4mi_QKV_mfma16_kernelI14__hip_bfloat16hLN4vllm18Fp8KVCacheDataTypeE1EhLi16ELi64ELi256ELb1ELi5EL8MFMAType0EEvPKT_PKT0_S9_ifPKiSB_SB_iPKfiiiPfSE_PS4_PT2_iSD_SD_
		.amdhsa_group_segment_fixed_size 17472
		.amdhsa_private_segment_fixed_size 0
		.amdhsa_kernarg_size 400
		.amdhsa_user_sgpr_count 13
		.amdhsa_user_sgpr_dispatch_ptr 0
		.amdhsa_user_sgpr_queue_ptr 0
		.amdhsa_user_sgpr_kernarg_segment_ptr 1
		.amdhsa_user_sgpr_dispatch_id 0
		.amdhsa_user_sgpr_private_segment_size 0
		.amdhsa_wavefront_size32 1
		.amdhsa_uses_dynamic_stack 0
		.amdhsa_enable_private_segment 0
		.amdhsa_system_sgpr_workgroup_id_x 1
		.amdhsa_system_sgpr_workgroup_id_y 1
		.amdhsa_system_sgpr_workgroup_id_z 1
		.amdhsa_system_sgpr_workgroup_info 0
		.amdhsa_system_vgpr_workitem_id 0
		.amdhsa_next_free_vgpr 124
		.amdhsa_next_free_sgpr 40
		.amdhsa_reserve_vcc 1
		.amdhsa_float_round_mode_32 0
		.amdhsa_float_round_mode_16_64 0
		.amdhsa_float_denorm_mode_32 3
		.amdhsa_float_denorm_mode_16_64 3
		.amdhsa_dx10_clamp 1
		.amdhsa_ieee_mode 1
		.amdhsa_fp16_overflow 0
		.amdhsa_workgroup_processor_mode 1
		.amdhsa_memory_ordered 1
		.amdhsa_forward_progress 0
		.amdhsa_shared_vgpr_count 0
		.amdhsa_exception_fp_ieee_invalid_op 0
		.amdhsa_exception_fp_denorm_src 0
		.amdhsa_exception_fp_ieee_div_zero 0
		.amdhsa_exception_fp_ieee_overflow 0
		.amdhsa_exception_fp_ieee_underflow 0
		.amdhsa_exception_fp_ieee_inexact 0
		.amdhsa_exception_int_div_zero 0
	.end_amdhsa_kernel
	.section	.text._Z39paged_attention_ll4mi_QKV_mfma16_kernelI14__hip_bfloat16hLN4vllm18Fp8KVCacheDataTypeE1EhLi16ELi64ELi256ELb1ELi5EL8MFMAType0EEvPKT_PKT0_S9_ifPKiSB_SB_iPKfiiiPfSE_PS4_PT2_iSD_SD_,"axG",@progbits,_Z39paged_attention_ll4mi_QKV_mfma16_kernelI14__hip_bfloat16hLN4vllm18Fp8KVCacheDataTypeE1EhLi16ELi64ELi256ELb1ELi5EL8MFMAType0EEvPKT_PKT0_S9_ifPKiSB_SB_iPKfiiiPfSE_PS4_PT2_iSD_SD_,comdat
.Lfunc_end1666:
	.size	_Z39paged_attention_ll4mi_QKV_mfma16_kernelI14__hip_bfloat16hLN4vllm18Fp8KVCacheDataTypeE1EhLi16ELi64ELi256ELb1ELi5EL8MFMAType0EEvPKT_PKT0_S9_ifPKiSB_SB_iPKfiiiPfSE_PS4_PT2_iSD_SD_, .Lfunc_end1666-_Z39paged_attention_ll4mi_QKV_mfma16_kernelI14__hip_bfloat16hLN4vllm18Fp8KVCacheDataTypeE1EhLi16ELi64ELi256ELb1ELi5EL8MFMAType0EEvPKT_PKT0_S9_ifPKiSB_SB_iPKfiiiPfSE_PS4_PT2_iSD_SD_
                                        ; -- End function
	.section	.AMDGPU.csdata,"",@progbits
; Kernel info:
; codeLenInByte = 8756
; NumSgprs: 42
; NumVgprs: 124
; ScratchSize: 0
; MemoryBound: 0
; FloatMode: 240
; IeeeMode: 1
; LDSByteSize: 17472 bytes/workgroup (compile time only)
; SGPRBlocks: 5
; VGPRBlocks: 15
; NumSGPRsForWavesPerEU: 42
; NumVGPRsForWavesPerEU: 124
; Occupancy: 10
; WaveLimiterHint : 1
; COMPUTE_PGM_RSRC2:SCRATCH_EN: 0
; COMPUTE_PGM_RSRC2:USER_SGPR: 13
; COMPUTE_PGM_RSRC2:TRAP_HANDLER: 0
; COMPUTE_PGM_RSRC2:TGID_X_EN: 1
; COMPUTE_PGM_RSRC2:TGID_Y_EN: 1
; COMPUTE_PGM_RSRC2:TGID_Z_EN: 1
; COMPUTE_PGM_RSRC2:TIDIG_COMP_CNT: 0
	.section	.text._Z39paged_attention_ll4mi_QKV_mfma16_kernelI14__hip_bfloat16hLN4vllm18Fp8KVCacheDataTypeE1EhLi16ELi64ELi256ELb1ELi6EL8MFMAType0EEvPKT_PKT0_S9_ifPKiSB_SB_iPKfiiiPfSE_PS4_PT2_iSD_SD_,"axG",@progbits,_Z39paged_attention_ll4mi_QKV_mfma16_kernelI14__hip_bfloat16hLN4vllm18Fp8KVCacheDataTypeE1EhLi16ELi64ELi256ELb1ELi6EL8MFMAType0EEvPKT_PKT0_S9_ifPKiSB_SB_iPKfiiiPfSE_PS4_PT2_iSD_SD_,comdat
	.protected	_Z39paged_attention_ll4mi_QKV_mfma16_kernelI14__hip_bfloat16hLN4vllm18Fp8KVCacheDataTypeE1EhLi16ELi64ELi256ELb1ELi6EL8MFMAType0EEvPKT_PKT0_S9_ifPKiSB_SB_iPKfiiiPfSE_PS4_PT2_iSD_SD_ ; -- Begin function _Z39paged_attention_ll4mi_QKV_mfma16_kernelI14__hip_bfloat16hLN4vllm18Fp8KVCacheDataTypeE1EhLi16ELi64ELi256ELb1ELi6EL8MFMAType0EEvPKT_PKT0_S9_ifPKiSB_SB_iPKfiiiPfSE_PS4_PT2_iSD_SD_
	.globl	_Z39paged_attention_ll4mi_QKV_mfma16_kernelI14__hip_bfloat16hLN4vllm18Fp8KVCacheDataTypeE1EhLi16ELi64ELi256ELb1ELi6EL8MFMAType0EEvPKT_PKT0_S9_ifPKiSB_SB_iPKfiiiPfSE_PS4_PT2_iSD_SD_
	.p2align	8
	.type	_Z39paged_attention_ll4mi_QKV_mfma16_kernelI14__hip_bfloat16hLN4vllm18Fp8KVCacheDataTypeE1EhLi16ELi64ELi256ELb1ELi6EL8MFMAType0EEvPKT_PKT0_S9_ifPKiSB_SB_iPKfiiiPfSE_PS4_PT2_iSD_SD_,@function
_Z39paged_attention_ll4mi_QKV_mfma16_kernelI14__hip_bfloat16hLN4vllm18Fp8KVCacheDataTypeE1EhLi16ELi64ELi256ELb1ELi6EL8MFMAType0EEvPKT_PKT0_S9_ifPKiSB_SB_iPKfiiiPfSE_PS4_PT2_iSD_SD_: ; @_Z39paged_attention_ll4mi_QKV_mfma16_kernelI14__hip_bfloat16hLN4vllm18Fp8KVCacheDataTypeE1EhLi16ELi64ELi256ELb1ELi6EL8MFMAType0EEvPKT_PKT0_S9_ifPKiSB_SB_iPKfiiiPfSE_PS4_PT2_iSD_SD_
; %bb.0:
	s_load_b64 s[2:3], s[0:1], 0x30
	s_mov_b32 s30, s13
	s_waitcnt lgkmcnt(0)
	s_cmp_lg_u64 s[2:3], 0
	s_cselect_b32 s8, -1, 0
	s_ashr_i32 s31, s13, 31
	s_cmp_eq_u64 s[2:3], 0
	s_cbranch_scc1 .LBB1667_3
; %bb.1:
	s_lshl_b64 s[4:5], s[30:31], 2
	s_delay_alu instid0(SALU_CYCLE_1) | instskip(SKIP_4) | instid1(SALU_CYCLE_1)
	s_add_u32 s4, s2, s4
	s_addc_u32 s5, s3, s5
	s_load_b64 s[4:5], s[4:5], 0x0
	s_waitcnt lgkmcnt(0)
	s_sub_i32 s4, s5, s4
	s_cmp_eq_u32 s4, 1
	s_cselect_b32 s4, -1, 0
	s_delay_alu instid0(SALU_CYCLE_1)
	s_and_not1_b32 vcc_lo, exec_lo, s4
	s_cbranch_vccz .LBB1667_4
.LBB1667_2:
	s_endpgm
.LBB1667_3:
.LBB1667_4:
	s_load_b64 s[4:5], s[0:1], 0x28
	s_lshl_b64 s[6:7], s[30:31], 2
	s_waitcnt lgkmcnt(0)
	s_add_u32 s4, s4, s6
	s_addc_u32 s5, s5, s7
	s_lshl_b32 s12, s14, 8
	s_load_b32 s24, s[4:5], 0x0
	s_waitcnt lgkmcnt(0)
	s_cmp_ge_i32 s12, s24
	s_cbranch_scc1 .LBB1667_2
; %bb.5:
	s_clause 0x1
	s_load_b128 s[20:23], s[0:1], 0x8
	s_load_b64 s[4:5], s[0:1], 0x20
	s_and_not1_b32 vcc_lo, exec_lo, s8
	s_cbranch_vccnz .LBB1667_7
; %bb.6:
	s_add_u32 s2, s2, s6
	s_addc_u32 s3, s3, s7
	s_load_b32 s3, s[2:3], 0x0
	s_branch .LBB1667_8
.LBB1667_7:
	s_mov_b32 s3, s30
.LBB1667_8:
	s_load_b128 s[16:19], s[0:1], 0x48
	v_and_b32_e32 v65, 15, v0
	v_cmp_gt_u32_e32 vcc_lo, 0x60, v0
	v_lshrrev_b32_e32 v66, 5, v0
	v_and_b32_e32 v67, 31, v0
	v_and_b32_e32 v75, 1, v0
	v_lshlrev_b32_e32 v1, 3, v65
	v_cmp_gt_u32_e64 s2, 8, v65
	v_bfe_u32 v74, v0, 4, 1
	s_mul_i32 s31, s15, 6
	s_delay_alu instid0(VALU_DEP_3) | instskip(NEXT) | instid1(VALU_DEP_3)
	v_lshlrev_b32_e32 v73, 1, v1
	s_and_b32 s7, vcc_lo, s2
	s_delay_alu instid0(SALU_CYCLE_1)
	s_and_saveexec_b32 s6, s7
	s_cbranch_execz .LBB1667_10
; %bb.9:
	s_load_b64 s[8:9], s[0:1], 0x0
	v_lshl_or_b32 v5, v66, 1, v74
	s_waitcnt lgkmcnt(0)
	s_mul_hi_i32 s11, s3, s16
	s_mul_i32 s10, s3, s16
	v_lshlrev_b32_e32 v6, 10, v65
	s_lshl_b64 s[10:11], s[10:11], 1
	v_add_lshl_u32 v1, v5, s31, 6
	v_lshlrev_b32_e32 v5, 6, v5
	v_lshlrev_b32_e32 v7, 10, v75
	v_and_b32_e32 v6, 0x3800, v6
	s_delay_alu instid0(VALU_DEP_4) | instskip(NEXT) | instid1(VALU_DEP_2)
	v_ashrrev_i32_e32 v2, 31, v1
	v_or3_b32 v5, v6, v7, v5
	s_delay_alu instid0(VALU_DEP_2) | instskip(SKIP_2) | instid1(VALU_DEP_1)
	v_lshlrev_b64 v[1:2], 1, v[1:2]
	s_add_u32 s3, s8, s10
	s_addc_u32 s7, s9, s11
	v_add_co_u32 v1, vcc_lo, s3, v1
	s_delay_alu instid0(VALU_DEP_2) | instskip(NEXT) | instid1(VALU_DEP_2)
	v_add_co_ci_u32_e32 v2, vcc_lo, s7, v2, vcc_lo
	v_add_co_u32 v1, vcc_lo, v1, v73
	s_delay_alu instid0(VALU_DEP_2)
	v_add_co_ci_u32_e32 v2, vcc_lo, 0, v2, vcc_lo
	global_load_b128 v[1:4], v[1:2], off
	s_waitcnt vmcnt(0)
	ds_store_b128 v5, v[1:4]
.LBB1667_10:
	s_or_b32 exec_lo, exec_lo, s6
	v_and_b32_e32 v1, 0xef, v0
	s_waitcnt lgkmcnt(0)
	s_add_i32 s3, s24, 15
	s_clause 0x1
	s_load_b32 s6, s[0:1], 0x38
	s_load_b32 s19, s[0:1], 0x1c
	s_ashr_i32 s7, s3, 31
	v_add_nc_u32_e32 v1, s12, v1
	s_lshr_b32 s7, s7, 28
	s_waitcnt lgkmcnt(0)
	s_add_i32 s3, s3, s7
	s_barrier
	v_ashrrev_i32_e32 v2, 31, v1
	v_or_b32_e32 v3, 16, v1
	s_ashr_i32 s3, s3, 4
	v_cmp_gt_i32_e32 vcc_lo, s24, v1
	s_add_i32 s3, s3, -1
	v_lshrrev_b32_e32 v2, 28, v2
	buffer_gl0_inv
	s_mul_i32 s27, s15, s18
	v_add_nc_u32_e32 v4, v1, v2
	s_mul_i32 s6, s30, s6
	s_delay_alu instid0(SALU_CYCLE_1) | instskip(NEXT) | instid1(VALU_DEP_1)
	s_ashr_i32 s7, s6, 31
	v_ashrrev_i32_e32 v4, 4, v4
	v_add_nc_u32_e32 v2, v3, v2
	s_lshl_b64 s[6:7], s[6:7], 2
	s_delay_alu instid0(SALU_CYCLE_1) | instskip(NEXT) | instid1(VALU_DEP_2)
	s_add_u32 s26, s4, s6
	v_cndmask_b32_e32 v1, s3, v4, vcc_lo
	s_delay_alu instid0(VALU_DEP_2)
	v_ashrrev_i32_e32 v2, 4, v2
	v_cmp_gt_i32_e32 vcc_lo, s24, v3
	s_addc_u32 s25, s5, s7
	s_ashr_i32 s28, s27, 31
	s_add_u32 s13, s20, s27
	s_addc_u32 s15, s21, s28
	v_cndmask_b32_e32 v3, s3, v2, vcc_lo
	v_ashrrev_i32_e32 v2, 31, v1
	s_lshl_b32 s4, s14, 4
	s_delay_alu instid0(SALU_CYCLE_1) | instskip(NEXT) | instid1(VALU_DEP_2)
	s_ashr_i32 s5, s4, 31
	v_ashrrev_i32_e32 v4, 31, v3
	s_delay_alu instid0(VALU_DEP_2) | instskip(SKIP_1) | instid1(SALU_CYCLE_1)
	v_lshlrev_b64 v[1:2], 2, v[1:2]
	s_lshl_b64 s[4:5], s[4:5], 2
	s_add_u32 s4, s26, s4
	s_delay_alu instid0(VALU_DEP_2) | instskip(SKIP_1) | instid1(VALU_DEP_2)
	v_lshlrev_b64 v[3:4], 2, v[3:4]
	s_addc_u32 s5, s25, s5
	v_add_co_u32 v1, vcc_lo, s26, v1
	v_add_co_ci_u32_e32 v2, vcc_lo, s25, v2, vcc_lo
	s_delay_alu instid0(VALU_DEP_3) | instskip(NEXT) | instid1(VALU_DEP_4)
	v_add_co_u32 v3, vcc_lo, s26, v3
	v_add_co_ci_u32_e32 v4, vcc_lo, s25, v4, vcc_lo
	s_clause 0x1
	global_load_b32 v5, v[1:2], off
	global_load_b32 v7, v[3:4], off
	s_or_b32 s6, s12, 32
	v_lshlrev_b32_e32 v1, 4, v0
	s_ashr_i32 s7, s6, 4
	s_cmp_lt_i32 s6, s24
	s_cselect_b32 s6, s7, s3
	s_delay_alu instid0(VALU_DEP_1) | instskip(SKIP_1) | instid1(SALU_CYCLE_1)
	v_and_b32_e32 v1, 0xf0, v1
	s_ashr_i32 s7, s6, 31
	s_lshl_b64 s[6:7], s[6:7], 2
	s_delay_alu instid0(SALU_CYCLE_1)
	s_add_u32 s6, s26, s6
	s_addc_u32 s7, s25, s7
	s_or_b32 s8, s12, 64
	v_add_co_u32 v1, s13, s13, v1
	s_ashr_i32 s9, s8, 4
	s_cmp_lt_i32 s8, s24
	v_add_co_ci_u32_e64 v2, null, s15, 0, s13
	s_cselect_b32 s8, s9, s3
	s_delay_alu instid0(SALU_CYCLE_1) | instskip(NEXT) | instid1(SALU_CYCLE_1)
	s_ashr_i32 s9, s8, 31
	s_lshl_b64 s[8:9], s[8:9], 2
	s_delay_alu instid0(SALU_CYCLE_1) | instskip(SKIP_2) | instid1(SALU_CYCLE_1)
	s_add_u32 s8, s26, s8
	s_addc_u32 s9, s25, s9
	s_or_b32 s10, s12, 0x60
	s_ashr_i32 s11, s10, 4
	s_cmp_lt_i32 s10, s24
	s_cselect_b32 s10, s11, s3
	s_delay_alu instid0(SALU_CYCLE_1) | instskip(NEXT) | instid1(SALU_CYCLE_1)
	s_ashr_i32 s11, s10, 31
	s_lshl_b64 s[10:11], s[10:11], 2
	s_delay_alu instid0(SALU_CYCLE_1) | instskip(SKIP_2) | instid1(SALU_CYCLE_1)
	s_add_u32 s10, s26, s10
	s_addc_u32 s11, s25, s11
	s_or_b32 s16, s12, 0x80
	s_ashr_i32 s18, s16, 4
	s_cmp_lt_i32 s16, s24
	;; [unrolled: 10-line block ×3, first 2 shown]
	s_cselect_b32 s20, s18, s3
	s_delay_alu instid0(SALU_CYCLE_1) | instskip(NEXT) | instid1(SALU_CYCLE_1)
	s_ashr_i32 s21, s20, 31
	s_lshl_b64 s[20:21], s[20:21], 2
	s_delay_alu instid0(SALU_CYCLE_1)
	s_add_u32 s36, s26, s20
	s_addc_u32 s37, s25, s21
	s_clause 0x5
	s_load_b32 s21, s[4:5], 0x0
	s_load_b32 s13, s[6:7], 0x0
	;; [unrolled: 1-line block ×6, first 2 shown]
	s_or_b32 s9, s12, 0xc0
	s_mov_b32 s4, 0
	s_ashr_i32 s10, s9, 4
	s_cmp_lt_i32 s9, s24
	s_mov_b32 s11, s4
	s_cselect_b32 s34, s10, s3
	s_mov_b32 s5, s4
	s_ashr_i32 s35, s34, 31
	s_mov_b32 s6, s4
	s_lshl_b64 s[34:35], s[34:35], 2
	s_mov_b32 s7, s4
	s_add_u32 s34, s26, s34
	s_addc_u32 s35, s25, s35
	s_or_b32 s29, s12, 0xe0
	s_mov_b32 s8, s4
	s_ashr_i32 s33, s29, 4
	s_mov_b32 s9, s4
	s_mov_b32 s10, s4
	s_cmp_lt_i32 s29, s24
	v_dual_mov_b32 v107, s11 :: v_dual_mov_b32 v100, s4
	v_mov_b32_e32 v106, s10
	v_dual_mov_b32 v104, s8 :: v_dual_mov_b32 v103, s7
	v_dual_mov_b32 v102, s6 :: v_dual_mov_b32 v101, s5
	s_waitcnt vmcnt(1)
	v_mad_i64_i32 v[3:4], null, v5, s17, v[1:2]
	s_waitcnt vmcnt(0)
	v_mad_i64_i32 v[5:6], null, v7, s17, v[1:2]
	v_mul_lo_u16 v1, v65, 43
	v_lshlrev_b32_e32 v2, 4, v65
	s_clause 0x7
	global_load_b128 v[49:52], v[3:4], off
	global_load_b128 v[53:56], v[3:4], off offset:256
	global_load_b128 v[76:79], v[5:6], off
	global_load_b128 v[80:83], v[5:6], off offset:256
	global_load_b128 v[84:87], v[3:4], off offset:512
	;; [unrolled: 1-line block ×5, first 2 shown]
	v_lshrrev_b16 v1, 8, v1
	v_lshl_or_b32 v2, v66, 8, v2
	s_delay_alu instid0(VALU_DEP_2) | instskip(NEXT) | instid1(VALU_DEP_1)
	v_mul_lo_u16 v1, v1, 6
	v_sub_nc_u16 v1, v65, v1
	s_delay_alu instid0(VALU_DEP_1)
	v_and_b32_e32 v1, 0xff, v1
	v_mov_b32_e32 v105, s9
	s_cselect_b32 s4, s33, s3
	s_load_b32 s3, s[34:35], 0x0
	s_ashr_i32 s5, s4, 31
	v_lshlrev_b32_e32 v70, 6, v1
	s_lshl_b64 s[4:5], s[4:5], 2
	ds_load_b128 v[108:111], v70
	ds_load_b128 v[112:115], v70 offset:1024
	s_add_u32 s4, s26, s4
	s_addc_u32 s5, s25, s5
	s_add_u32 s6, s22, s27
	s_load_b32 s4, s[4:5], 0x0
	s_addc_u32 s7, s23, s28
	v_add_co_u32 v9, s6, s6, v2
	s_delay_alu instid0(VALU_DEP_1) | instskip(SKIP_1) | instid1(VALU_DEP_1)
	v_add_co_ci_u32_e64 v10, null, s7, 0, s6
	s_waitcnt lgkmcnt(0)
	v_mad_i64_i32 v[1:2], null, s21, s17, v[9:10]
	v_mad_i64_i32 v[3:4], null, s13, s17, v[9:10]
	;; [unrolled: 1-line block ×7, first 2 shown]
	s_clause 0x9
	global_load_b128 v[57:60], v[1:2], off
	global_load_b128 v[61:64], v[1:2], off offset:16
	global_load_b128 v[41:44], v[3:4], off
	global_load_b128 v[45:48], v[3:4], off offset:16
	global_load_b128 v[33:36], v[5:6], off
	global_load_b128 v[37:40], v[5:6], off offset:16
	global_load_b128 v[25:28], v[7:8], off
	global_load_b128 v[29:32], v[7:8], off offset:16
	global_load_b128 v[1:4], v[11:12], off
	global_load_b128 v[5:8], v[11:12], off offset:16
	v_mad_i64_i32 v[68:69], null, s4, s17, v[9:10]
	s_clause 0x3
	global_load_b128 v[9:12], v[13:14], off
	global_load_b128 v[13:16], v[13:14], off offset:16
	global_load_b128 v[17:20], v[21:22], off
	global_load_b128 v[21:24], v[21:22], off offset:16
	s_waitcnt vmcnt(20)
	v_wmma_f32_16x16x16_bf16 v[116:123], v[49:56], v[108:115], v[100:107]
	s_clause 0x1
	global_load_b128 v[49:52], v[68:69], off
	global_load_b128 v[53:56], v[68:69], off offset:16
	v_and_b32_e32 v68, 0xe0, v0
	v_mbcnt_lo_u32_b32 v69, -1, 0
	s_delay_alu instid0(VALU_DEP_2)
	v_add_nc_u32_e32 v68, s12, v68
	s_waitcnt vmcnt(20)
	v_wmma_f32_16x16x16_bf16 v[100:107], v[76:83], v[108:115], v[100:107]
	ds_load_b128 v[76:79], v70 offset:2048
	ds_load_b128 v[80:83], v70 offset:3072
	v_xor_b32_e32 v70, 16, v69
	s_waitcnt vmcnt(0) lgkmcnt(0)
	v_or_b32_e32 v68, v68, v74
	s_barrier
	buffer_gl0_inv
	v_cmp_gt_i32_e32 vcc_lo, 32, v70
	v_or_b32_e32 v71, 4, v68
	v_or_b32_e32 v72, 6, v68
	v_cmp_gt_i32_e64 s3, s24, v68
	v_or_b32_e32 v108, 8, v68
	v_or_b32_e32 v109, 10, v68
	v_cmp_gt_i32_e64 s4, s24, v71
	v_cmp_gt_i32_e64 s5, s24, v72
	s_delay_alu instid0(VALU_DEP_4) | instskip(NEXT) | instid1(VALU_DEP_4)
	v_cmp_gt_i32_e64 s6, s24, v108
	v_cmp_gt_i32_e64 s7, s24, v109
	v_wmma_f32_16x16x16_bf16 v[116:123], v[84:91], v[76:83], v[116:123]
	v_cndmask_b32_e32 v69, v69, v70, vcc_lo
	v_or_b32_e32 v70, 2, v68
	v_wmma_f32_16x16x16_bf16 v[100:107], v[92:99], v[76:83], v[100:107]
	v_or_b32_e32 v89, 22, v68
	v_dual_mul_f32 v80, s19, v121 :: v_dual_mul_f32 v81, s19, v120
	v_dual_mul_f32 v92, s19, v117 :: v_dual_mul_f32 v93, s19, v116
	s_delay_alu instid0(VALU_DEP_4)
	v_mul_f32_e32 v96, s19, v105
	v_cmp_gt_i32_e32 vcc_lo, s24, v70
	v_dual_mul_f32 v79, s19, v122 :: v_dual_mul_f32 v82, s19, v119
	v_dual_mul_f32 v83, s19, v118 :: v_dual_mul_f32 v94, s19, v107
	v_cndmask_b32_e64 v93, 0xff7fffff, v93, s3
	v_cndmask_b32_e32 v92, 0xff7fffff, v92, vcc_lo
	v_or_b32_e32 v84, 12, v68
	v_or_b32_e32 v85, 14, v68
	v_cndmask_b32_e64 v71, 0xff7fffff, v83, s4
	v_cndmask_b32_e64 v72, 0xff7fffff, v82, s5
	v_cmp_gt_i32_e64 s13, s24, v89
	v_lshlrev_b32_e32 v89, 2, v69
	v_max3_f32 v82, v93, 0xff7fffff, v92
	v_or_b32_e32 v86, 16, v68
	v_or_b32_e32 v87, 18, v68
	v_mul_f32_e32 v78, s19, v123
	v_cndmask_b32_e64 v81, 0xff7fffff, v81, s6
	v_cndmask_b32_e64 v80, 0xff7fffff, v80, s7
	v_max3_f32 v71, v82, v71, v72
	v_cmp_gt_i32_e64 s8, s24, v84
	v_cmp_gt_i32_e64 s9, s24, v85
	v_or_b32_e32 v88, 20, v68
	v_or_b32_e32 v90, 24, v68
	;; [unrolled: 1-line block ×5, first 2 shown]
	v_dual_mul_f32 v97, s19, v104 :: v_dual_mul_f32 v70, s19, v101
	v_dual_mul_f32 v99, s19, v102 :: v_dual_mul_f32 v68, s19, v100
	v_cndmask_b32_e64 v72, 0xff7fffff, v79, s8
	v_cndmask_b32_e64 v78, 0xff7fffff, v78, s9
	v_max3_f32 v71, v71, v81, v80
	v_cmp_gt_i32_e64 s10, s24, v86
	v_cmp_gt_i32_e64 s11, s24, v87
	v_dual_mul_f32 v95, s19, v106 :: v_dual_mul_f32 v98, s19, v103
	s_delay_alu instid0(VALU_DEP_4) | instskip(NEXT) | instid1(VALU_DEP_4)
	v_max3_f32 v71, v71, v72, v78
	v_cndmask_b32_e64 v68, 0xff7fffff, v68, s10
	s_delay_alu instid0(VALU_DEP_4)
	v_cndmask_b32_e64 v70, 0xff7fffff, v70, s11
	v_cmp_gt_i32_e64 s12, s24, v88
	v_cndmask_b32_e64 v78, 0xff7fffff, v98, s13
	v_cmp_gt_i32_e64 s15, s24, v90
	v_cmp_gt_i32_e64 s16, s24, v91
	v_max3_f32 v68, v71, v68, v70
	v_cndmask_b32_e64 v72, 0xff7fffff, v99, s12
	v_cmp_gt_i32_e64 s17, s24, v76
	v_cndmask_b32_e64 v70, 0xff7fffff, v97, s15
	v_cndmask_b32_e64 v71, 0xff7fffff, v96, s16
	v_cmp_gt_i32_e64 s18, s24, v77
	v_max3_f32 v68, v68, v72, v78
	v_cndmask_b32_e64 v72, 0xff7fffff, v95, s17
	s_delay_alu instid0(VALU_DEP_3) | instskip(NEXT) | instid1(VALU_DEP_3)
	v_cndmask_b32_e64 v76, 0xff7fffff, v94, s18
	v_max3_f32 v68, v68, v70, v71
	s_delay_alu instid0(VALU_DEP_1) | instskip(SKIP_3) | instid1(VALU_DEP_1)
	v_max3_f32 v68, v68, v72, v76
	ds_bpermute_b32 v69, v89, v68
	s_waitcnt lgkmcnt(0)
	v_max_f32_e32 v69, v69, v69
	v_max_f32_e32 v68, v68, v69
	s_delay_alu instid0(VALU_DEP_1) | instskip(NEXT) | instid1(VALU_DEP_1)
	v_fma_f32 v71, s19, v118, -v68
	v_mul_f32_e32 v71, 0x3fb8aa3b, v71
	v_fma_f32 v70, s19, v117, -v68
	v_fma_f32 v69, s19, v116, -v68
	;; [unrolled: 1-line block ×5, first 2 shown]
	s_delay_alu instid0(VALU_DEP_4) | instskip(SKIP_1) | instid1(VALU_DEP_3)
	v_dual_mul_f32 v70, 0x3fb8aa3b, v70 :: v_dual_mul_f32 v69, 0x3fb8aa3b, v69
	v_exp_f32_e32 v71, v71
	v_mul_f32_e32 v72, 0x3fb8aa3b, v72
	v_fma_f32 v81, s19, v105, -v68
	s_delay_alu instid0(VALU_DEP_3)
	v_exp_f32_e32 v70, v70
	v_mul_f32_e32 v77, 0x3fb8aa3b, v76
	v_exp_f32_e32 v69, v69
	v_exp_f32_e32 v72, v72
	v_mul_f32_e32 v81, 0x3fb8aa3b, v81
	v_cndmask_b32_e64 v83, 0, v71, s4
	v_fma_f32 v71, s19, v123, -v68
	s_delay_alu instid0(VALU_DEP_3) | instskip(SKIP_4) | instid1(TRANS32_DEP_3)
	v_exp_f32_e32 v81, v81
	v_cndmask_b32_e32 v76, 0, v70, vcc_lo
	v_exp_f32_e32 v77, v77
	v_cndmask_b32_e64 v80, 0, v69, s3
	v_fma_f32 v69, s19, v121, -v68
	v_cndmask_b32_e64 v85, 0, v72, s5
	v_mul_f32_e32 v71, 0x3fb8aa3b, v71
	v_fma_f32 v72, s19, v100, -v68
	s_delay_alu instid0(VALU_DEP_4) | instskip(SKIP_1) | instid1(VALU_DEP_3)
	v_dual_add_f32 v70, 0, v80 :: v_dual_mul_f32 v69, 0x3fb8aa3b, v69
	s_mov_b32 s3, exec_lo
	v_exp_f32_e32 v71, v71
	s_delay_alu instid0(TRANS32_DEP_2) | instskip(SKIP_4) | instid1(VALU_DEP_3)
	v_cndmask_b32_e64 v86, 0, v77, s6
	v_fma_f32 v77, s19, v101, -v68
	v_mul_f32_e32 v78, 0x3fb8aa3b, v78
	v_add_f32_e32 v70, v70, v76
	v_exp_f32_e32 v69, v69
	v_mul_f32_e32 v77, 0x3fb8aa3b, v77
	s_delay_alu instid0(VALU_DEP_3) | instskip(NEXT) | instid1(TRANS32_DEP_3)
	v_exp_f32_e32 v78, v78
	v_cndmask_b32_e64 v88, 0, v71, s9
	v_fma_f32 v71, s19, v104, -v68
	s_delay_alu instid0(VALU_DEP_3) | instskip(NEXT) | instid1(TRANS32_DEP_3)
	v_exp_f32_e32 v77, v77
	v_cndmask_b32_e64 v87, 0, v69, s7
	s_delay_alu instid0(VALU_DEP_2)
	v_mul_f32_e32 v71, 0x3fb8aa3b, v71
	s_waitcnt_depctr 0xfff
	v_cndmask_b32_e64 v84, 0, v78, s8
	v_add_f32_e32 v70, v70, v83
	v_fma_f32 v78, s19, v103, -v68
	v_exp_f32_e32 v82, v71
	s_delay_alu instid0(VALU_DEP_2) | instskip(SKIP_1) | instid1(VALU_DEP_3)
	v_add_f32_e32 v70, v70, v85
	v_mul_f32_e32 v72, 0x3fb8aa3b, v72
	v_mul_f32_e32 v78, 0x3fb8aa3b, v78
	s_delay_alu instid0(VALU_DEP_3) | instskip(SKIP_1) | instid1(VALU_DEP_4)
	v_add_f32_e32 v69, v70, v86
	v_fma_f32 v70, s19, v102, -v68
	v_exp_f32_e32 v72, v72
	s_delay_alu instid0(VALU_DEP_3) | instskip(NEXT) | instid1(VALU_DEP_1)
	v_exp_f32_e32 v78, v78
	v_dual_add_f32 v69, v69, v87 :: v_dual_mul_f32 v70, 0x3fb8aa3b, v70
	s_delay_alu instid0(VALU_DEP_1) | instskip(NEXT) | instid1(VALU_DEP_2)
	v_add_f32_e32 v69, v69, v84
	v_exp_f32_e32 v79, v70
	s_delay_alu instid0(TRANS32_DEP_3) | instskip(NEXT) | instid1(VALU_DEP_2)
	v_cndmask_b32_e64 v70, 0, v72, s10
	v_add_f32_e32 v72, v69, v88
	v_cndmask_b32_e64 v69, 0, v77, s11
	v_fma_f32 v77, s19, v106, -v68
	s_waitcnt_depctr 0xfff
	v_cndmask_b32_e64 v71, 0, v79, s12
	v_dual_mul_f32 v77, 0x3fb8aa3b, v77 :: v_dual_add_f32 v72, v72, v70
	s_delay_alu instid0(VALU_DEP_1) | instskip(NEXT) | instid1(VALU_DEP_1)
	v_exp_f32_e32 v90, v77
	v_add_f32_e32 v79, v72, v69
	v_cndmask_b32_e64 v72, 0, v78, s13
	v_cndmask_b32_e64 v77, 0, v82, s15
	s_delay_alu instid0(VALU_DEP_3) | instskip(SKIP_1) | instid1(VALU_DEP_1)
	v_add_f32_e32 v78, v79, v71
	v_fma_f32 v79, s19, v107, -v68
	v_dual_add_f32 v82, v78, v72 :: v_dual_mul_f32 v79, 0x3fb8aa3b, v79
	v_cndmask_b32_e64 v78, 0, v81, s16
	s_delay_alu instid0(VALU_DEP_2) | instskip(NEXT) | instid1(VALU_DEP_3)
	v_add_f32_e32 v81, v82, v77
	v_exp_f32_e32 v82, v79
	v_cndmask_b32_e64 v79, 0, v90, s17
	s_delay_alu instid0(VALU_DEP_2) | instskip(NEXT) | instid1(VALU_DEP_1)
	v_add_f32_e32 v81, v81, v78
	v_add_f32_e32 v90, v81, v79
	s_waitcnt_depctr 0xfff
	v_cndmask_b32_e64 v81, 0, v82, s18
	s_delay_alu instid0(VALU_DEP_1)
	v_add_f32_e32 v82, v90, v81
	ds_bpermute_b32 v89, v89, v82
	v_cmpx_gt_u32_e32 16, v67
	s_cbranch_execz .LBB1667_12
; %bb.11:
	v_mul_u32_u24_e32 v67, 0x44, v66
	s_delay_alu instid0(VALU_DEP_1) | instskip(SKIP_1) | instid1(VALU_DEP_1)
	v_lshl_add_u32 v67, v65, 2, v67
	s_waitcnt lgkmcnt(0)
	v_dual_add_f32 v82, v82, v89 :: v_dual_add_nc_u32 v67, 0x4000, v67
	ds_store_2addr_b32 v67, v68, v82 offset1:136
.LBB1667_12:
	s_or_b32 exec_lo, exec_lo, s3
	v_lshlrev_b32_e32 v67, 2, v65
	s_waitcnt lgkmcnt(0)
	s_barrier
	buffer_gl0_inv
	v_cmp_eq_u32_e32 vcc_lo, 1, v66
	v_add_nc_u32_e32 v82, 0x4000, v67
	v_cmp_eq_u32_e64 s3, 2, v66
	v_cmp_eq_u32_e64 s5, 7, v66
	ds_load_2addr_b32 v[89:90], v82 offset1:17
	ds_load_2addr_b32 v[91:92], v82 offset0:34 offset1:51
	ds_load_2addr_b32 v[93:94], v82 offset0:68 offset1:85
	ds_load_2addr_b32 v[95:96], v82 offset0:102 offset1:119
	ds_load_2addr_b32 v[97:98], v82 offset0:136 offset1:153
	s_waitcnt lgkmcnt(4)
	v_max3_f32 v67, v89, 0xff7fffff, v90
	s_waitcnt lgkmcnt(3)
	s_delay_alu instid0(VALU_DEP_1) | instskip(SKIP_1) | instid1(VALU_DEP_1)
	v_max3_f32 v67, v67, v91, v92
	s_waitcnt lgkmcnt(2)
	v_max3_f32 v67, v67, v93, v94
	s_waitcnt lgkmcnt(1)
	s_delay_alu instid0(VALU_DEP_1) | instskip(NEXT) | instid1(VALU_DEP_1)
	v_max3_f32 v67, v67, v95, v96
	v_sub_f32_e32 v93, v93, v67
	s_delay_alu instid0(VALU_DEP_1) | instskip(NEXT) | instid1(VALU_DEP_1)
	v_dual_sub_f32 v68, v89, v67 :: v_dual_mul_f32 v103, 0x3fb8aa3b, v93
	v_mul_f32_e32 v68, 0x3fb8aa3b, v68
	s_delay_alu instid0(VALU_DEP_1)
	v_exp_f32_e32 v100, v68
	v_sub_f32_e32 v68, v92, v67
	v_sub_f32_e32 v99, v90, v67
	ds_load_2addr_b32 v[89:90], v82 offset0:170 offset1:187
	v_dual_mul_f32 v102, 0x3fb8aa3b, v68 :: v_dual_mul_f32 v99, 0x3fb8aa3b, v99
	s_waitcnt lgkmcnt(1)
	v_fma_f32 v68, v100, v97, 0
	s_delay_alu instid0(VALU_DEP_2) | instskip(NEXT) | instid1(VALU_DEP_2)
	v_exp_f32_e32 v102, v102
	v_exp_f32_e32 v99, v99
	s_waitcnt_depctr 0xfff
	v_fmac_f32_e32 v68, v99, v98
	v_sub_f32_e32 v91, v91, v67
	s_delay_alu instid0(VALU_DEP_1)
	v_mul_f32_e32 v101, 0x3fb8aa3b, v91
	ds_load_2addr_b32 v[91:92], v82 offset0:204 offset1:221
	v_sub_f32_e32 v97, v94, v67
	ds_load_2addr_b32 v[93:94], v82 offset0:238 offset1:255
	s_waitcnt lgkmcnt(0)
	v_exp_f32_e32 v101, v101
	s_barrier
	buffer_gl0_inv
	v_dual_fmac_f32 v68, v101, v89 :: v_dual_sub_f32 v89, v96, v67
	v_dual_sub_f32 v82, v95, v67 :: v_dual_mul_f32 v95, 0x3fb8aa3b, v97
	v_exp_f32_e32 v97, v103
	s_delay_alu instid0(VALU_DEP_2) | instskip(NEXT) | instid1(VALU_DEP_2)
	v_dual_fmac_f32 v68, v102, v90 :: v_dual_mul_f32 v89, 0x3fb8aa3b, v89
	v_mul_f32_e32 v82, 0x3fb8aa3b, v82
	s_delay_alu instid0(VALU_DEP_3) | instskip(NEXT) | instid1(VALU_DEP_2)
	v_exp_f32_e32 v95, v95
	v_exp_f32_e32 v89, v89
	s_delay_alu instid0(VALU_DEP_1)
	v_exp_f32_e32 v82, v82
	v_fmac_f32_e32 v68, v97, v91
	s_delay_alu instid0(TRANS32_DEP_3) | instid1(VALU_DEP_1)
	v_fmac_f32_e32 v68, v95, v92
	s_waitcnt_depctr 0xfff
	v_fmac_f32_e32 v68, v82, v93
	s_delay_alu instid0(VALU_DEP_1) | instskip(NEXT) | instid1(VALU_DEP_1)
	v_fmac_f32_e32 v68, v89, v94
	v_add_f32_e32 v90, 0x358637bd, v68
	s_delay_alu instid0(VALU_DEP_1) | instskip(NEXT) | instid1(VALU_DEP_1)
	v_div_scale_f32 v91, null, v90, v90, 1.0
	v_rcp_f32_e32 v92, v91
	s_waitcnt_depctr 0xfff
	v_fma_f32 v93, -v91, v92, 1.0
	s_delay_alu instid0(VALU_DEP_1) | instskip(SKIP_1) | instid1(VALU_DEP_2)
	v_dual_fmac_f32 v92, v93, v92 :: v_dual_cndmask_b32 v93, v100, v99
	v_cmp_eq_u32_e32 vcc_lo, 3, v66
	v_cndmask_b32_e64 v93, v93, v101, s3
	v_cmp_eq_u32_e64 s3, 4, v66
	s_delay_alu instid0(VALU_DEP_2) | instskip(SKIP_1) | instid1(VALU_DEP_2)
	v_cndmask_b32_e32 v93, v93, v102, vcc_lo
	v_cmp_eq_u32_e32 vcc_lo, 5, v66
	v_cndmask_b32_e64 v93, v93, v97, s3
	v_cmp_eq_u32_e64 s3, 6, v66
	s_delay_alu instid0(VALU_DEP_2) | instskip(SKIP_1) | instid1(VALU_DEP_1)
	v_cndmask_b32_e32 v93, v93, v95, vcc_lo
	v_div_scale_f32 v94, s4, 1.0, v90, 1.0
	s_mov_b32 vcc_lo, s4
	s_delay_alu instid0(VALU_DEP_2) | instskip(NEXT) | instid1(VALU_DEP_2)
	v_cndmask_b32_e64 v82, v93, v82, s3
	v_mul_f32_e32 v96, v94, v92
	s_mov_b32 s3, exec_lo
	s_delay_alu instid0(VALU_DEP_2) | instskip(NEXT) | instid1(VALU_DEP_2)
	v_cndmask_b32_e64 v82, v82, v89, s5
	v_fma_f32 v98, -v91, v96, v94
	s_delay_alu instid0(VALU_DEP_1) | instskip(NEXT) | instid1(VALU_DEP_1)
	v_fmac_f32_e32 v96, v98, v92
	v_fma_f32 v91, -v91, v96, v94
	s_delay_alu instid0(VALU_DEP_1) | instskip(NEXT) | instid1(VALU_DEP_1)
	v_div_fmas_f32 v91, v91, v92, v96
	v_div_fixup_f32 v90, v91, v90, 1.0
	s_delay_alu instid0(VALU_DEP_1) | instskip(NEXT) | instid1(VALU_DEP_1)
	v_mul_f32_e32 v82, v82, v90
	v_mul_f32_e32 v87, v82, v87
	;; [unrolled: 1-line block ×7, first 2 shown]
	v_dual_mul_f32 v86, v82, v83 :: v_dual_and_b32 v91, 0x7f800000, v90
	v_mul_f32_e32 v85, v82, v76
                                        ; implicit-def: $vgpr76
	s_delay_alu instid0(VALU_DEP_2)
	v_cmpx_ne_u32_e32 0x7f800000, v91
	s_xor_b32 s3, exec_lo, s3
; %bb.13:
	v_bfe_u32 v76, v90, 16, 1
	s_delay_alu instid0(VALU_DEP_1)
	v_add3_u32 v76, v90, v76, 0x7fff
                                        ; implicit-def: $vgpr90
; %bb.14:
	s_and_not1_saveexec_b32 s3, s3
; %bb.15:
	v_and_b32_e32 v76, 0xffff, v90
	v_or_b32_e32 v83, 0x10000, v90
	s_delay_alu instid0(VALU_DEP_2) | instskip(NEXT) | instid1(VALU_DEP_2)
	v_cmp_eq_u32_e32 vcc_lo, 0, v76
	v_cndmask_b32_e32 v76, v83, v90, vcc_lo
; %bb.16:
	s_or_b32 exec_lo, exec_lo, s3
	v_and_b32_e32 v83, 0x7f800000, v85
	s_delay_alu instid0(VALU_DEP_1) | instskip(SKIP_1) | instid1(SALU_CYCLE_1)
	v_cmp_ne_u32_e32 vcc_lo, 0x7f800000, v83
                                        ; implicit-def: $vgpr83
	s_and_saveexec_b32 s3, vcc_lo
	s_xor_b32 s3, exec_lo, s3
; %bb.17:
	v_bfe_u32 v83, v85, 16, 1
	s_delay_alu instid0(VALU_DEP_1)
	v_add3_u32 v83, v85, v83, 0x7fff
                                        ; implicit-def: $vgpr85
; %bb.18:
	s_and_not1_saveexec_b32 s3, s3
; %bb.19:
	v_and_b32_e32 v83, 0xffff, v85
	v_or_b32_e32 v90, 0x10000, v85
	s_delay_alu instid0(VALU_DEP_2) | instskip(NEXT) | instid1(VALU_DEP_2)
	v_cmp_eq_u32_e32 vcc_lo, 0, v83
	v_cndmask_b32_e32 v83, v90, v85, vcc_lo
; %bb.20:
	s_or_b32 exec_lo, exec_lo, s3
	v_and_b32_e32 v85, 0x7f800000, v86
	s_delay_alu instid0(VALU_DEP_1) | instskip(SKIP_1) | instid1(SALU_CYCLE_1)
	v_cmp_ne_u32_e32 vcc_lo, 0x7f800000, v85
                                        ; implicit-def: $vgpr85
	s_and_saveexec_b32 s3, vcc_lo
	s_xor_b32 s3, exec_lo, s3
; %bb.21:
	v_bfe_u32 v85, v86, 16, 1
	s_delay_alu instid0(VALU_DEP_1)
	v_add3_u32 v85, v86, v85, 0x7fff
                                        ; implicit-def: $vgpr86
; %bb.22:
	s_and_not1_saveexec_b32 s3, s3
; %bb.23:
	v_and_b32_e32 v85, 0xffff, v86
	v_or_b32_e32 v90, 0x10000, v86
	s_delay_alu instid0(VALU_DEP_2) | instskip(NEXT) | instid1(VALU_DEP_2)
	v_cmp_eq_u32_e32 vcc_lo, 0, v85
	v_cndmask_b32_e32 v85, v90, v86, vcc_lo
; %bb.24:
	s_or_b32 exec_lo, exec_lo, s3
	v_and_b32_e32 v86, 0x7f800000, v89
	s_delay_alu instid0(VALU_DEP_1) | instskip(SKIP_1) | instid1(SALU_CYCLE_1)
	v_cmp_ne_u32_e32 vcc_lo, 0x7f800000, v86
                                        ; implicit-def: $vgpr86
	s_and_saveexec_b32 s3, vcc_lo
	s_xor_b32 s3, exec_lo, s3
; %bb.25:
	v_bfe_u32 v86, v89, 16, 1
	s_delay_alu instid0(VALU_DEP_1)
	v_add3_u32 v86, v89, v86, 0x7fff
                                        ; implicit-def: $vgpr89
; %bb.26:
	s_and_not1_saveexec_b32 s3, s3
; %bb.27:
	v_and_b32_e32 v86, 0xffff, v89
	v_or_b32_e32 v90, 0x10000, v89
	s_delay_alu instid0(VALU_DEP_2) | instskip(NEXT) | instid1(VALU_DEP_2)
	v_cmp_eq_u32_e32 vcc_lo, 0, v86
	v_cndmask_b32_e32 v86, v90, v89, vcc_lo
; %bb.28:
	s_or_b32 exec_lo, exec_lo, s3
	v_and_b32_e32 v89, 0x7f800000, v88
	s_delay_alu instid0(VALU_DEP_1) | instskip(SKIP_1) | instid1(SALU_CYCLE_1)
	v_cmp_ne_u32_e32 vcc_lo, 0x7f800000, v89
                                        ; implicit-def: $vgpr89
	s_and_saveexec_b32 s3, vcc_lo
	s_xor_b32 s3, exec_lo, s3
; %bb.29:
	v_bfe_u32 v89, v88, 16, 1
	s_delay_alu instid0(VALU_DEP_1)
	v_add3_u32 v89, v88, v89, 0x7fff
                                        ; implicit-def: $vgpr88
; %bb.30:
	s_and_not1_saveexec_b32 s3, s3
; %bb.31:
	v_and_b32_e32 v89, 0xffff, v88
	v_or_b32_e32 v90, 0x10000, v88
	s_delay_alu instid0(VALU_DEP_2) | instskip(NEXT) | instid1(VALU_DEP_2)
	v_cmp_eq_u32_e32 vcc_lo, 0, v89
	v_cndmask_b32_e32 v89, v90, v88, vcc_lo
; %bb.32:
	s_or_b32 exec_lo, exec_lo, s3
	v_and_b32_e32 v88, 0x7f800000, v87
	s_delay_alu instid0(VALU_DEP_1) | instskip(SKIP_1) | instid1(SALU_CYCLE_1)
	v_cmp_ne_u32_e32 vcc_lo, 0x7f800000, v88
                                        ; implicit-def: $vgpr88
	s_and_saveexec_b32 s3, vcc_lo
	s_xor_b32 s3, exec_lo, s3
; %bb.33:
	v_bfe_u32 v88, v87, 16, 1
	s_delay_alu instid0(VALU_DEP_1)
	v_add3_u32 v88, v87, v88, 0x7fff
                                        ; implicit-def: $vgpr87
; %bb.34:
	s_and_not1_saveexec_b32 s3, s3
; %bb.35:
	v_and_b32_e32 v88, 0xffff, v87
	v_or_b32_e32 v90, 0x10000, v87
	s_delay_alu instid0(VALU_DEP_2) | instskip(NEXT) | instid1(VALU_DEP_2)
	v_cmp_eq_u32_e32 vcc_lo, 0, v88
	v_cndmask_b32_e32 v88, v90, v87, vcc_lo
; %bb.36:
	s_or_b32 exec_lo, exec_lo, s3
	v_and_b32_e32 v87, 0x7f800000, v84
	s_delay_alu instid0(VALU_DEP_1) | instskip(SKIP_1) | instid1(SALU_CYCLE_1)
	v_cmp_ne_u32_e32 vcc_lo, 0x7f800000, v87
                                        ; implicit-def: $vgpr87
	s_and_saveexec_b32 s3, vcc_lo
	s_xor_b32 s3, exec_lo, s3
; %bb.37:
	v_bfe_u32 v87, v84, 16, 1
	s_delay_alu instid0(VALU_DEP_1)
	v_add3_u32 v87, v84, v87, 0x7fff
                                        ; implicit-def: $vgpr84
; %bb.38:
	s_and_not1_saveexec_b32 s3, s3
; %bb.39:
	v_and_b32_e32 v87, 0xffff, v84
	v_or_b32_e32 v90, 0x10000, v84
	s_delay_alu instid0(VALU_DEP_2) | instskip(NEXT) | instid1(VALU_DEP_2)
	v_cmp_eq_u32_e32 vcc_lo, 0, v87
	v_cndmask_b32_e32 v87, v90, v84, vcc_lo
; %bb.40:
	s_or_b32 exec_lo, exec_lo, s3
	v_and_b32_e32 v84, 0x7f800000, v80
	s_delay_alu instid0(VALU_DEP_1) | instskip(SKIP_1) | instid1(SALU_CYCLE_1)
	v_cmp_ne_u32_e32 vcc_lo, 0x7f800000, v84
                                        ; implicit-def: $vgpr84
	s_and_saveexec_b32 s3, vcc_lo
	s_xor_b32 s3, exec_lo, s3
; %bb.41:
	v_bfe_u32 v84, v80, 16, 1
	s_delay_alu instid0(VALU_DEP_1)
	v_add3_u32 v84, v80, v84, 0x7fff
                                        ; implicit-def: $vgpr80
; %bb.42:
	s_and_not1_saveexec_b32 s3, s3
; %bb.43:
	v_and_b32_e32 v84, 0xffff, v80
	v_or_b32_e32 v90, 0x10000, v80
	s_delay_alu instid0(VALU_DEP_2) | instskip(NEXT) | instid1(VALU_DEP_2)
	v_cmp_eq_u32_e32 vcc_lo, 0, v84
	v_cndmask_b32_e32 v84, v90, v80, vcc_lo
; %bb.44:
	s_or_b32 exec_lo, exec_lo, s3
	s_load_b64 s[34:35], s[0:1], 0x94
	v_lshlrev_b32_e32 v91, 4, v74
	s_delay_alu instid0(VALU_DEP_2)
	v_perm_b32 v90, v84, v87, 0x7060302
	v_dual_mul_f32 v79, v82, v79 :: v_dual_lshlrev_b32 v80, 6, v65
	v_dual_mul_f32 v77, v82, v77 :: v_dual_lshlrev_b32 v92, 11, v66
	v_mul_f32_e32 v84, v82, v70
	v_perm_b32 v89, v88, v89, 0x7060302
	v_perm_b32 v88, v86, v85, 0x7060302
	;; [unrolled: 1-line block ×3, first 2 shown]
	v_mul_f32_e32 v70, v82, v81
	v_or3_b32 v76, v91, v92, v80
	v_dual_mul_f32 v78, v82, v78 :: v_dual_and_b32 v85, 0x7f800000, v84
	v_mul_f32_e32 v83, v82, v72
	v_mul_f32_e32 v81, v82, v71
	;; [unrolled: 1-line block ×3, first 2 shown]
	s_mov_b32 s3, exec_lo
	ds_store_b128 v76, v[87:90]
                                        ; implicit-def: $vgpr69
	v_cmpx_ne_u32_e32 0x7f800000, v85
	s_xor_b32 s3, exec_lo, s3
; %bb.45:
	v_bfe_u32 v69, v84, 16, 1
	s_delay_alu instid0(VALU_DEP_1)
	v_add3_u32 v69, v84, v69, 0x7fff
                                        ; implicit-def: $vgpr84
; %bb.46:
	s_and_not1_saveexec_b32 s3, s3
; %bb.47:
	v_and_b32_e32 v69, 0xffff, v84
	v_or_b32_e32 v71, 0x10000, v84
	s_delay_alu instid0(VALU_DEP_2) | instskip(NEXT) | instid1(VALU_DEP_2)
	v_cmp_eq_u32_e32 vcc_lo, 0, v69
	v_cndmask_b32_e32 v69, v71, v84, vcc_lo
; %bb.48:
	s_or_b32 exec_lo, exec_lo, s3
	v_and_b32_e32 v71, 0x7f800000, v72
	s_delay_alu instid0(VALU_DEP_1) | instskip(SKIP_1) | instid1(SALU_CYCLE_1)
	v_cmp_ne_u32_e32 vcc_lo, 0x7f800000, v71
                                        ; implicit-def: $vgpr71
	s_and_saveexec_b32 s3, vcc_lo
	s_xor_b32 s3, exec_lo, s3
; %bb.49:
	v_bfe_u32 v71, v72, 16, 1
	s_delay_alu instid0(VALU_DEP_1)
	v_add3_u32 v71, v72, v71, 0x7fff
                                        ; implicit-def: $vgpr72
; %bb.50:
	s_and_not1_saveexec_b32 s3, s3
; %bb.51:
	v_and_b32_e32 v71, 0xffff, v72
	v_or_b32_e32 v82, 0x10000, v72
	s_delay_alu instid0(VALU_DEP_2) | instskip(NEXT) | instid1(VALU_DEP_2)
	v_cmp_eq_u32_e32 vcc_lo, 0, v71
	v_cndmask_b32_e32 v71, v82, v72, vcc_lo
; %bb.52:
	s_or_b32 exec_lo, exec_lo, s3
	v_and_b32_e32 v72, 0x7f800000, v81
	s_delay_alu instid0(VALU_DEP_1) | instskip(SKIP_1) | instid1(SALU_CYCLE_1)
	v_cmp_ne_u32_e32 vcc_lo, 0x7f800000, v72
                                        ; implicit-def: $vgpr72
	s_and_saveexec_b32 s3, vcc_lo
	s_xor_b32 s3, exec_lo, s3
; %bb.53:
	v_bfe_u32 v72, v81, 16, 1
	s_delay_alu instid0(VALU_DEP_1)
	v_add3_u32 v72, v81, v72, 0x7fff
                                        ; implicit-def: $vgpr81
; %bb.54:
	s_and_not1_saveexec_b32 s3, s3
; %bb.55:
	v_and_b32_e32 v72, 0xffff, v81
	v_or_b32_e32 v82, 0x10000, v81
	s_delay_alu instid0(VALU_DEP_2) | instskip(NEXT) | instid1(VALU_DEP_2)
	v_cmp_eq_u32_e32 vcc_lo, 0, v72
	v_cndmask_b32_e32 v72, v82, v81, vcc_lo
; %bb.56:
	s_or_b32 exec_lo, exec_lo, s3
	v_and_b32_e32 v81, 0x7f800000, v83
	s_delay_alu instid0(VALU_DEP_1) | instskip(SKIP_1) | instid1(SALU_CYCLE_1)
	v_cmp_ne_u32_e32 vcc_lo, 0x7f800000, v81
                                        ; implicit-def: $vgpr81
	s_and_saveexec_b32 s3, vcc_lo
	s_xor_b32 s3, exec_lo, s3
; %bb.57:
	v_bfe_u32 v81, v83, 16, 1
	s_delay_alu instid0(VALU_DEP_1)
	v_add3_u32 v81, v83, v81, 0x7fff
                                        ; implicit-def: $vgpr83
; %bb.58:
	s_and_not1_saveexec_b32 s3, s3
; %bb.59:
	v_and_b32_e32 v81, 0xffff, v83
	v_or_b32_e32 v82, 0x10000, v83
	s_delay_alu instid0(VALU_DEP_2) | instskip(NEXT) | instid1(VALU_DEP_2)
	v_cmp_eq_u32_e32 vcc_lo, 0, v81
	v_cndmask_b32_e32 v81, v82, v83, vcc_lo
; %bb.60:
	s_or_b32 exec_lo, exec_lo, s3
	v_and_b32_e32 v82, 0x7f800000, v77
	s_delay_alu instid0(VALU_DEP_1) | instskip(SKIP_1) | instid1(SALU_CYCLE_1)
	v_cmp_ne_u32_e32 vcc_lo, 0x7f800000, v82
                                        ; implicit-def: $vgpr82
	s_and_saveexec_b32 s3, vcc_lo
	s_xor_b32 s3, exec_lo, s3
; %bb.61:
	v_bfe_u32 v82, v77, 16, 1
	s_delay_alu instid0(VALU_DEP_1)
	v_add3_u32 v82, v77, v82, 0x7fff
                                        ; implicit-def: $vgpr77
; %bb.62:
	s_and_not1_saveexec_b32 s3, s3
; %bb.63:
	v_and_b32_e32 v82, 0xffff, v77
	v_or_b32_e32 v83, 0x10000, v77
	s_delay_alu instid0(VALU_DEP_2) | instskip(NEXT) | instid1(VALU_DEP_2)
	v_cmp_eq_u32_e32 vcc_lo, 0, v82
	v_cndmask_b32_e32 v82, v83, v77, vcc_lo
; %bb.64:
	s_or_b32 exec_lo, exec_lo, s3
	v_and_b32_e32 v77, 0x7f800000, v78
	s_delay_alu instid0(VALU_DEP_1) | instskip(SKIP_1) | instid1(SALU_CYCLE_1)
	v_cmp_ne_u32_e32 vcc_lo, 0x7f800000, v77
                                        ; implicit-def: $vgpr77
	s_and_saveexec_b32 s3, vcc_lo
	s_xor_b32 s3, exec_lo, s3
; %bb.65:
	v_bfe_u32 v77, v78, 16, 1
	s_delay_alu instid0(VALU_DEP_1)
	v_add3_u32 v77, v78, v77, 0x7fff
                                        ; implicit-def: $vgpr78
; %bb.66:
	s_and_not1_saveexec_b32 s3, s3
; %bb.67:
	v_and_b32_e32 v77, 0xffff, v78
	v_or_b32_e32 v83, 0x10000, v78
	s_delay_alu instid0(VALU_DEP_2) | instskip(NEXT) | instid1(VALU_DEP_2)
	v_cmp_eq_u32_e32 vcc_lo, 0, v77
	v_cndmask_b32_e32 v77, v83, v78, vcc_lo
; %bb.68:
	s_or_b32 exec_lo, exec_lo, s3
	v_and_b32_e32 v78, 0x7f800000, v79
	s_delay_alu instid0(VALU_DEP_1) | instskip(SKIP_1) | instid1(SALU_CYCLE_1)
	v_cmp_ne_u32_e32 vcc_lo, 0x7f800000, v78
                                        ; implicit-def: $vgpr78
	s_and_saveexec_b32 s3, vcc_lo
	s_xor_b32 s3, exec_lo, s3
; %bb.69:
	v_bfe_u32 v78, v79, 16, 1
	s_delay_alu instid0(VALU_DEP_1)
	v_add3_u32 v78, v79, v78, 0x7fff
                                        ; implicit-def: $vgpr79
; %bb.70:
	s_and_not1_saveexec_b32 s3, s3
; %bb.71:
	v_and_b32_e32 v78, 0xffff, v79
	v_or_b32_e32 v83, 0x10000, v79
	s_delay_alu instid0(VALU_DEP_2) | instskip(NEXT) | instid1(VALU_DEP_2)
	v_cmp_eq_u32_e32 vcc_lo, 0, v78
	v_cndmask_b32_e32 v78, v83, v79, vcc_lo
; %bb.72:
	s_or_b32 exec_lo, exec_lo, s3
	v_and_b32_e32 v79, 0x7f800000, v70
	s_delay_alu instid0(VALU_DEP_1) | instskip(SKIP_1) | instid1(SALU_CYCLE_1)
	v_cmp_ne_u32_e32 vcc_lo, 0x7f800000, v79
                                        ; implicit-def: $vgpr79
	s_and_saveexec_b32 s3, vcc_lo
	s_xor_b32 s3, exec_lo, s3
; %bb.73:
	v_bfe_u32 v79, v70, 16, 1
	s_delay_alu instid0(VALU_DEP_1)
	v_add3_u32 v79, v70, v79, 0x7fff
                                        ; implicit-def: $vgpr70
; %bb.74:
	s_and_not1_saveexec_b32 s3, s3
; %bb.75:
	v_and_b32_e32 v79, 0xffff, v70
	v_or_b32_e32 v83, 0x10000, v70
	s_delay_alu instid0(VALU_DEP_2) | instskip(NEXT) | instid1(VALU_DEP_2)
	v_cmp_eq_u32_e32 vcc_lo, 0, v79
	v_cndmask_b32_e32 v79, v83, v70, vcc_lo
; %bb.76:
	s_or_b32 exec_lo, exec_lo, s3
	s_delay_alu instid0(VALU_DEP_1)
	v_perm_b32 v86, v79, v78, 0x7060302
	v_perm_b32 v85, v77, v82, 0x7060302
	;; [unrolled: 1-line block ×4, first 2 shown]
	v_lshl_or_b32 v82, v66, 11, v80
	ds_store_b128 v76, v[83:86] offset:1024
	s_waitcnt lgkmcnt(0)
	s_barrier
	buffer_gl0_inv
	ds_load_b128 v[69:72], v82
	ds_load_b128 v[83:86], v82 offset:16
	s_waitcnt lgkmcnt(1)
	v_lshrrev_b32_e32 v66, 16, v69
	s_waitcnt lgkmcnt(0)
	v_lshrrev_b32_e32 v91, 16, v83
	v_lshlrev_b32_e32 v78, 2, v74
	v_lshrrev_b32_e32 v95, 16, v70
	v_lshrrev_b32_e32 v98, 16, v84
	v_lshrrev_b32_e32 v96, 16, v71
	v_lshrrev_b32_e32 v99, 16, v85
	v_cmp_eq_u32_e32 vcc_lo, 1, v78
	v_lshrrev_b32_e32 v97, 16, v72
	v_lshrrev_b32_e32 v100, 16, v86
	v_cndmask_b32_e32 v87, v83, v91, vcc_lo
	v_or_b32_e32 v79, 1, v78
	v_cndmask_b32_e32 v81, v69, v66, vcc_lo
	v_cmp_eq_u32_e64 s4, 2, v78
	v_cmp_eq_u32_e64 s7, 3, v78
	;; [unrolled: 1-line block ×5, first 2 shown]
	v_cndmask_b32_e64 v81, v81, v70, s4
	v_cndmask_b32_e64 v87, v87, v84, s4
	v_cmp_eq_u32_e64 s8, 3, v79
	v_cndmask_b32_e64 v88, v69, v66, s3
	v_or_b32_e32 v77, 2, v78
	v_cndmask_b32_e64 v81, v81, v95, s7
	v_cndmask_b32_e64 v87, v87, v98, s7
	;; [unrolled: 1-line block ×4, first 2 shown]
	v_cmp_eq_u32_e64 s10, 5, v78
	v_cndmask_b32_e64 v81, v81, v71, s9
	v_cndmask_b32_e64 v87, v87, v85, s9
	v_cmp_eq_u32_e64 s11, 4, v79
	v_cndmask_b32_e64 v88, v88, v95, s8
	v_cmp_eq_u32_e64 s5, 1, v77
	v_cndmask_b32_e64 v89, v89, v84, s6
	v_cndmask_b32_e64 v81, v81, v96, s10
	v_cmp_eq_u32_e64 s12, 6, v78
	v_cndmask_b32_e64 v88, v88, v71, s11
	;; [unrolled: 3-line block ×3, first 2 shown]
	v_cndmask_b32_e64 v89, v89, v98, s8
	v_cndmask_b32_e64 v81, v81, v72, s12
	v_cmp_eq_u32_e64 s15, 7, v78
	v_cndmask_b32_e64 v88, v88, v96, s13
	v_cndmask_b32_e64 v87, v87, v86, s12
	v_cmp_eq_u32_e64 s16, 6, v79
	v_cmp_eq_u32_e64 s17, 2, v77
	v_cndmask_b32_e64 v89, v89, v85, s11
	v_cndmask_b32_e64 v101, v81, v97, s15
	v_cndmask_b32_e64 v102, v87, v100, s15
	v_cndmask_b32_e64 v88, v88, v72, s16
	v_cndmask_b32_e64 v81, v90, v70, s17
	v_cndmask_b32_e64 v87, v83, v91, s5
	v_cmp_eq_u32_e64 s18, 7, v79
	v_cmp_eq_u32_e64 s19, 3, v77
	;; [unrolled: 1-line block ×4, first 2 shown]
	v_cndmask_b32_e64 v87, v87, v84, s17
	v_cndmask_b32_e64 v103, v88, v97, s18
	;; [unrolled: 1-line block ×4, first 2 shown]
	v_or_b32_e32 v81, 3, v78
	v_cndmask_b32_e64 v93, v87, v98, s19
	v_cmp_eq_u32_e64 s24, 6, v77
	v_cndmask_b32_e64 v104, v88, v86, s16
	v_cndmask_b32_e64 v92, v89, v71, s20
	v_cmp_eq_u32_e64 s21, 1, v81
	ds_load_b128 v[87:90], v82 offset:1024
	v_cmp_eq_u32_e64 s23, 2, v81
	v_cmp_eq_u32_e64 s25, 3, v81
	v_cndmask_b32_e64 v105, v92, v96, s22
	v_cndmask_b32_e64 v66, v69, v66, s21
	;; [unrolled: 1-line block ×4, first 2 shown]
	ds_load_b128 v[91:94], v82 offset:1040
	v_cmp_eq_u32_e64 s26, 4, v81
	v_cndmask_b32_e64 v66, v66, v70, s23
	v_cmp_eq_u32_e64 s27, 7, v77
	v_cndmask_b32_e64 v70, v83, v84, s23
	v_cndmask_b32_e64 v84, v105, v72, s24
	v_cmp_eq_u32_e64 s28, 5, v81
	v_cndmask_b32_e64 v66, v66, v95, s25
	v_cmp_eq_u32_e64 s29, 6, v81
	v_cndmask_b32_e64 v70, v70, v98, s25
	v_cndmask_b32_e64 v69, v69, v99, s22
	;; [unrolled: 1-line block ×4, first 2 shown]
	s_waitcnt lgkmcnt(1)
	v_lshrrev_b32_e32 v95, 16, v87
	v_cndmask_b32_e64 v70, v70, v85, s26
	v_cndmask_b32_e64 v71, v84, v97, s27
	;; [unrolled: 1-line block ×4, first 2 shown]
	v_cndmask_b32_e32 v84, v87, v95, vcc_lo
	v_cndmask_b32_e64 v70, v70, v99, s28
	s_waitcnt lgkmcnt(0)
	v_lshrrev_b32_e32 v85, 16, v91
	v_lshrrev_b32_e32 v96, 16, v88
	v_cndmask_b32_e64 v98, v87, v95, s3
	v_cndmask_b32_e64 v84, v84, v88, s4
	;; [unrolled: 1-line block ×3, first 2 shown]
	v_cndmask_b32_e32 v99, v91, v85, vcc_lo
	v_cmp_eq_u32_e32 vcc_lo, 7, v81
	v_cndmask_b32_e64 v66, v66, v72, s29
	v_cndmask_b32_e64 v72, v84, v96, s7
	v_cndmask_b32_e64 v84, v98, v88, s6
	v_lshrrev_b32_e32 v98, 16, v92
	v_cndmask_b32_e32 v70, v70, v100, vcc_lo
	v_cndmask_b32_e64 v86, v99, v92, s4
	v_cndmask_b32_e64 v69, v69, v100, s27
	v_lshrrev_b32_e32 v100, 16, v93
	v_cndmask_b32_e64 v72, v72, v89, s9
	v_lshrrev_b32_e32 v99, 16, v89
	v_cndmask_b32_e64 v86, v86, v98, s7
	v_perm_b32 v71, v69, v71, 0x5040100
	v_cndmask_b32_e64 v84, v84, v96, s8
	s_delay_alu instid0(VALU_DEP_3) | instskip(NEXT) | instid1(VALU_DEP_2)
	v_cndmask_b32_e64 v86, v86, v93, s9
	v_cndmask_b32_e64 v84, v84, v89, s11
	s_delay_alu instid0(VALU_DEP_2) | instskip(NEXT) | instid1(VALU_DEP_1)
	v_cndmask_b32_e64 v86, v86, v100, s10
	v_cndmask_b32_e64 v69, v86, v94, s12
	;; [unrolled: 1-line block ×5, first 2 shown]
	s_delay_alu instid0(VALU_DEP_3) | instskip(NEXT) | instid1(VALU_DEP_3)
	v_cndmask_b32_e64 v86, v86, v88, s17
	v_cndmask_b32_e64 v87, v87, v88, s23
	s_delay_alu instid0(VALU_DEP_3) | instskip(NEXT) | instid1(VALU_DEP_3)
	v_cndmask_b32_e64 v88, v95, v92, s23
	v_cndmask_b32_e64 v86, v86, v96, s19
	;; [unrolled: 3-line block ×7, first 2 shown]
	s_delay_alu instid0(VALU_DEP_3) | instskip(SKIP_2) | instid1(VALU_DEP_2)
	v_cndmask_b32_e64 v88, v88, v94, s29
	v_cndmask_b32_e32 v66, v66, v97, vcc_lo
	v_cndmask_b32_e64 v97, v72, v99, s10
	v_perm_b32 v72, v70, v66, 0x5040100
	v_perm_b32 v70, v83, v103, 0x5040100
	v_cndmask_b32_e64 v103, v91, v85, s5
	v_cndmask_b32_e64 v85, v91, v85, s3
	;; [unrolled: 1-line block ×4, first 2 shown]
	v_lshrrev_b32_e32 v97, 16, v90
	v_cndmask_b32_e64 v91, v103, v92, s17
	v_cndmask_b32_e64 v85, v85, v92, s6
	;; [unrolled: 1-line block ×3, first 2 shown]
	s_mov_b32 s3, exec_lo
	v_cndmask_b32_e64 v83, v84, v97, s15
	v_cndmask_b32_e64 v91, v91, v98, s19
	;; [unrolled: 1-line block ×3, first 2 shown]
	v_lshrrev_b32_e32 v84, 16, v94
	v_cndmask_b32_e64 v66, v66, v97, s18
	v_cndmask_b32_e64 v90, v86, v97, s27
	;; [unrolled: 1-line block ×4, first 2 shown]
	v_dual_cndmask_b32 v86, v87, v97 :: v_dual_cndmask_b32 v87, v88, v84
	v_cndmask_b32_e64 v91, v69, v84, s15
	s_delay_alu instid0(VALU_DEP_4) | instskip(NEXT) | instid1(VALU_DEP_4)
	v_cndmask_b32_e64 v89, v89, v100, s22
	v_cndmask_b32_e64 v85, v85, v100, s13
	v_perm_b32 v69, v102, v101, 0x5040100
	v_perm_b32 v86, v87, v86, 0x5040100
	;; [unrolled: 1-line block ×3, first 2 shown]
	v_cndmask_b32_e64 v89, v89, v94, s24
	v_cndmask_b32_e64 v85, v85, v94, s16
	s_mul_i32 s8, s35, 6
	s_delay_alu instid0(VALU_DEP_2) | instskip(NEXT) | instid1(VALU_DEP_2)
	v_cndmask_b32_e64 v88, v89, v84, s27
	v_cndmask_b32_e64 v89, v85, v84, s18
	s_delay_alu instid0(VALU_DEP_2) | instskip(NEXT) | instid1(VALU_DEP_2)
	v_perm_b32 v85, v88, v90, 0x5040100
	v_perm_b32 v84, v89, v66, 0x5040100
	ds_store_b128 v76, v[69:72]
	ds_store_b128 v76, v[83:86] offset:1024
	v_cmpx_gt_u32_e32 6, v0
	s_cbranch_execz .LBB1667_78
; %bb.77:
	s_mul_i32 s4, s8, s30
	s_delay_alu instid0(SALU_CYCLE_1) | instskip(SKIP_1) | instid1(VALU_DEP_1)
	v_add3_u32 v69, s4, s31, v65
	s_load_b128 s[4:7], s[0:1], 0x58
	v_mad_u64_u32 v[65:66], null, v69, s34, s[14:15]
	s_delay_alu instid0(VALU_DEP_1) | instskip(NEXT) | instid1(VALU_DEP_1)
	v_ashrrev_i32_e32 v66, 31, v65
	v_lshlrev_b64 v[65:66], 2, v[65:66]
	s_waitcnt lgkmcnt(0)
	s_delay_alu instid0(VALU_DEP_1) | instskip(NEXT) | instid1(VALU_DEP_2)
	v_add_co_u32 v69, vcc_lo, s6, v65
	v_add_co_ci_u32_e32 v70, vcc_lo, s7, v66, vcc_lo
	v_add_co_u32 v65, vcc_lo, s4, v65
	v_add_co_ci_u32_e32 v66, vcc_lo, s5, v66, vcc_lo
	global_store_b32 v[69:70], v67, off
	global_store_b32 v[65:66], v68, off
.LBB1667_78:
	s_or_b32 exec_lo, exec_lo, s3
	s_waitcnt lgkmcnt(0)
	s_waitcnt_vscnt null, 0x0
	s_barrier
	buffer_gl0_inv
	ds_load_b128 v[83:86], v80
	ds_load_b128 v[87:90], v80 offset:16
	ds_load_b128 v[95:98], v80 offset:2064
	;; [unrolled: 1-line block ×3, first 2 shown]
	v_mov_b32_e32 v65, 0
	ds_load_b128 v[103:106], v80 offset:4112
	ds_load_b128 v[99:102], v80 offset:4096
	;; [unrolled: 1-line block ×4, first 2 shown]
	v_mov_b32_e32 v66, v65
	v_mov_b32_e32 v67, v65
	v_mov_b32_e32 v68, v65
	v_mov_b32_e32 v69, v65
	v_mov_b32_e32 v70, v65
	v_mov_b32_e32 v71, v65
	v_mov_b32_e32 v72, v65
	s_waitcnt lgkmcnt(6)
	s_delay_alu instid0(VALU_DEP_1)
	v_wmma_f32_16x16x16_bf16 v[65:72], v[57:64], v[83:90], v[65:72]
	ds_load_b128 v[61:64], v80 offset:8208
	ds_load_b128 v[57:60], v80 offset:8192
	s_waitcnt lgkmcnt(6)
	v_wmma_f32_16x16x16_bf16 v[65:72], v[41:48], v[91:98], v[65:72]
	ds_load_b128 v[45:48], v80 offset:10256
	ds_load_b128 v[41:44], v80 offset:10240
	s_waitcnt lgkmcnt(6)
	;; [unrolled: 4-line block ×4, first 2 shown]
	v_wmma_f32_16x16x16_bf16 v[65:72], v[1:8], v[57:64], v[65:72]
	s_waitcnt lgkmcnt(4)
	s_delay_alu instid0(VALU_DEP_1) | instskip(SKIP_1) | instid1(VALU_DEP_1)
	v_wmma_f32_16x16x16_bf16 v[65:72], v[9:16], v[41:48], v[65:72]
	s_waitcnt lgkmcnt(2)
	v_wmma_f32_16x16x16_bf16 v[65:72], v[17:24], v[33:40], v[65:72]
	s_waitcnt lgkmcnt(0)
	s_delay_alu instid0(VALU_DEP_1) | instskip(NEXT) | instid1(VALU_DEP_1)
	v_wmma_f32_16x16x16_bf16 v[65:72], v[49:56], v[25:32], v[65:72]
	v_and_b32_e32 v1, 0x7f800000, v65
	s_delay_alu instid0(VALU_DEP_1) | instskip(SKIP_1) | instid1(SALU_CYCLE_1)
	v_cmp_ne_u32_e32 vcc_lo, 0x7f800000, v1
                                        ; implicit-def: $vgpr1
	s_and_saveexec_b32 s3, vcc_lo
	s_xor_b32 s3, exec_lo, s3
; %bb.79:
	v_bfe_u32 v1, v65, 16, 1
	s_delay_alu instid0(VALU_DEP_1)
	v_add3_u32 v1, v65, v1, 0x7fff
; %bb.80:
	s_and_not1_saveexec_b32 s3, s3
; %bb.81:
	v_and_b32_e32 v1, 0xffff, v65
	v_or_b32_e32 v2, 0x10000, v65
	s_delay_alu instid0(VALU_DEP_2) | instskip(NEXT) | instid1(VALU_DEP_2)
	v_cmp_eq_u32_e32 vcc_lo, 0, v1
	v_cndmask_b32_e32 v1, v2, v65, vcc_lo
; %bb.82:
	s_or_b32 exec_lo, exec_lo, s3
	v_and_b32_e32 v2, 0x7f800000, v66
	s_delay_alu instid0(VALU_DEP_1) | instskip(SKIP_1) | instid1(SALU_CYCLE_1)
	v_cmp_ne_u32_e32 vcc_lo, 0x7f800000, v2
                                        ; implicit-def: $vgpr2
	s_and_saveexec_b32 s3, vcc_lo
	s_xor_b32 s3, exec_lo, s3
; %bb.83:
	v_bfe_u32 v2, v66, 16, 1
	s_delay_alu instid0(VALU_DEP_1)
	v_add3_u32 v2, v66, v2, 0x7fff
; %bb.84:
	s_and_not1_saveexec_b32 s3, s3
; %bb.85:
	v_and_b32_e32 v2, 0xffff, v66
	v_or_b32_e32 v3, 0x10000, v66
	s_delay_alu instid0(VALU_DEP_2) | instskip(NEXT) | instid1(VALU_DEP_2)
	v_cmp_eq_u32_e32 vcc_lo, 0, v2
	v_cndmask_b32_e32 v2, v3, v66, vcc_lo
; %bb.86:
	s_or_b32 exec_lo, exec_lo, s3
	v_and_b32_e32 v3, 0x7f800000, v67
	s_delay_alu instid0(VALU_DEP_1) | instskip(SKIP_1) | instid1(SALU_CYCLE_1)
	v_cmp_ne_u32_e32 vcc_lo, 0x7f800000, v3
                                        ; implicit-def: $vgpr3
	s_and_saveexec_b32 s3, vcc_lo
	s_xor_b32 s3, exec_lo, s3
; %bb.87:
	v_bfe_u32 v3, v67, 16, 1
	s_delay_alu instid0(VALU_DEP_1)
	v_add3_u32 v3, v67, v3, 0x7fff
; %bb.88:
	s_and_not1_saveexec_b32 s3, s3
; %bb.89:
	v_and_b32_e32 v3, 0xffff, v67
	v_or_b32_e32 v4, 0x10000, v67
	s_delay_alu instid0(VALU_DEP_2) | instskip(NEXT) | instid1(VALU_DEP_2)
	v_cmp_eq_u32_e32 vcc_lo, 0, v3
	v_cndmask_b32_e32 v3, v4, v67, vcc_lo
; %bb.90:
	s_or_b32 exec_lo, exec_lo, s3
	v_and_b32_e32 v4, 0x7f800000, v68
	s_delay_alu instid0(VALU_DEP_1) | instskip(SKIP_1) | instid1(SALU_CYCLE_1)
	v_cmp_ne_u32_e32 vcc_lo, 0x7f800000, v4
                                        ; implicit-def: $vgpr4
	s_and_saveexec_b32 s3, vcc_lo
	s_xor_b32 s3, exec_lo, s3
; %bb.91:
	v_bfe_u32 v4, v68, 16, 1
	s_delay_alu instid0(VALU_DEP_1)
	v_add3_u32 v4, v68, v4, 0x7fff
; %bb.92:
	s_and_not1_saveexec_b32 s3, s3
; %bb.93:
	v_and_b32_e32 v4, 0xffff, v68
	v_or_b32_e32 v5, 0x10000, v68
	s_delay_alu instid0(VALU_DEP_2) | instskip(NEXT) | instid1(VALU_DEP_2)
	v_cmp_eq_u32_e32 vcc_lo, 0, v4
	v_cndmask_b32_e32 v4, v5, v68, vcc_lo
; %bb.94:
	s_or_b32 exec_lo, exec_lo, s3
	v_and_b32_e32 v5, 0x7f800000, v69
	s_delay_alu instid0(VALU_DEP_1) | instskip(SKIP_1) | instid1(SALU_CYCLE_1)
	v_cmp_ne_u32_e32 vcc_lo, 0x7f800000, v5
                                        ; implicit-def: $vgpr5
	s_and_saveexec_b32 s3, vcc_lo
	s_xor_b32 s3, exec_lo, s3
; %bb.95:
	v_bfe_u32 v5, v69, 16, 1
	s_delay_alu instid0(VALU_DEP_1)
	v_add3_u32 v5, v69, v5, 0x7fff
; %bb.96:
	s_and_not1_saveexec_b32 s3, s3
; %bb.97:
	v_and_b32_e32 v5, 0xffff, v69
	v_or_b32_e32 v6, 0x10000, v69
	s_delay_alu instid0(VALU_DEP_2) | instskip(NEXT) | instid1(VALU_DEP_2)
	v_cmp_eq_u32_e32 vcc_lo, 0, v5
	v_cndmask_b32_e32 v5, v6, v69, vcc_lo
; %bb.98:
	s_or_b32 exec_lo, exec_lo, s3
	v_and_b32_e32 v6, 0x7f800000, v70
	s_delay_alu instid0(VALU_DEP_1) | instskip(SKIP_1) | instid1(SALU_CYCLE_1)
	v_cmp_ne_u32_e32 vcc_lo, 0x7f800000, v6
                                        ; implicit-def: $vgpr6
	s_and_saveexec_b32 s3, vcc_lo
	s_xor_b32 s3, exec_lo, s3
; %bb.99:
	v_bfe_u32 v6, v70, 16, 1
	s_delay_alu instid0(VALU_DEP_1)
	v_add3_u32 v6, v70, v6, 0x7fff
; %bb.100:
	s_and_not1_saveexec_b32 s3, s3
; %bb.101:
	v_and_b32_e32 v6, 0xffff, v70
	v_or_b32_e32 v7, 0x10000, v70
	s_delay_alu instid0(VALU_DEP_2) | instskip(NEXT) | instid1(VALU_DEP_2)
	v_cmp_eq_u32_e32 vcc_lo, 0, v6
	v_cndmask_b32_e32 v6, v7, v70, vcc_lo
; %bb.102:
	s_or_b32 exec_lo, exec_lo, s3
	v_and_b32_e32 v7, 0x7f800000, v71
	s_delay_alu instid0(VALU_DEP_1) | instskip(SKIP_1) | instid1(SALU_CYCLE_1)
	v_cmp_ne_u32_e32 vcc_lo, 0x7f800000, v7
                                        ; implicit-def: $vgpr7
	s_and_saveexec_b32 s3, vcc_lo
	s_xor_b32 s3, exec_lo, s3
; %bb.103:
	v_bfe_u32 v7, v71, 16, 1
	s_delay_alu instid0(VALU_DEP_1)
	v_add3_u32 v7, v71, v7, 0x7fff
; %bb.104:
	s_and_not1_saveexec_b32 s3, s3
; %bb.105:
	v_and_b32_e32 v7, 0xffff, v71
	v_or_b32_e32 v8, 0x10000, v71
	s_delay_alu instid0(VALU_DEP_2) | instskip(NEXT) | instid1(VALU_DEP_2)
	v_cmp_eq_u32_e32 vcc_lo, 0, v7
	v_cndmask_b32_e32 v7, v8, v71, vcc_lo
; %bb.106:
	s_or_b32 exec_lo, exec_lo, s3
	v_and_b32_e32 v8, 0x7f800000, v72
	s_delay_alu instid0(VALU_DEP_1) | instskip(SKIP_1) | instid1(SALU_CYCLE_1)
	v_cmp_ne_u32_e32 vcc_lo, 0x7f800000, v8
                                        ; implicit-def: $vgpr8
	s_and_saveexec_b32 s3, vcc_lo
	s_xor_b32 s3, exec_lo, s3
; %bb.107:
	v_bfe_u32 v8, v72, 16, 1
	s_delay_alu instid0(VALU_DEP_1)
	v_add3_u32 v8, v72, v8, 0x7fff
                                        ; implicit-def: $vgpr65_vgpr66_vgpr67_vgpr68_vgpr69_vgpr70_vgpr71_vgpr72
; %bb.108:
	s_and_not1_saveexec_b32 s3, s3
; %bb.109:
	v_and_b32_e32 v8, 0xffff, v72
	v_or_b32_e32 v9, 0x10000, v72
	s_delay_alu instid0(VALU_DEP_2) | instskip(NEXT) | instid1(VALU_DEP_2)
	v_cmp_eq_u32_e32 vcc_lo, 0, v8
	v_cndmask_b32_e32 v8, v9, v72, vcc_lo
; %bb.110:
	s_or_b32 exec_lo, exec_lo, s3
	s_delay_alu instid0(VALU_DEP_1)
	v_perm_b32 v7, v8, v7, 0x7060302
	v_perm_b32 v6, v6, v5, 0x7060302
	;; [unrolled: 1-line block ×4, first 2 shown]
	s_barrier
	buffer_gl0_inv
	v_cmp_eq_u32_e32 vcc_lo, 1, v78
	ds_store_b128 v76, v[4:7]
	s_waitcnt lgkmcnt(0)
	s_barrier
	buffer_gl0_inv
	ds_load_b128 v[1:4], v82
	ds_load_b128 v[5:8], v82 offset:16
	v_cmp_eq_u32_e64 s3, 1, v79
	v_cmp_eq_u32_e64 s4, 2, v78
	;; [unrolled: 1-line block ×5, first 2 shown]
	s_waitcnt lgkmcnt(1)
	v_lshrrev_b32_e32 v9, 16, v1
	s_waitcnt lgkmcnt(0)
	v_lshrrev_b32_e32 v13, 16, v5
	v_lshrrev_b32_e32 v10, 16, v2
	;; [unrolled: 1-line block ×4, first 2 shown]
	v_cndmask_b32_e64 v19, v1, v9, s3
	v_cndmask_b32_e32 v18, v5, v13, vcc_lo
	v_cndmask_b32_e64 v20, v5, v13, s3
	v_cndmask_b32_e32 v17, v1, v9, vcc_lo
	v_cmp_eq_u32_e32 vcc_lo, 2, v79
	v_lshrrev_b32_e32 v15, 16, v7
	v_cmp_eq_u32_e64 s3, 1, v77
	v_lshrrev_b32_e32 v12, 16, v4
	v_lshrrev_b32_e32 v16, 16, v8
	v_cndmask_b32_e32 v20, v20, v6, vcc_lo
	v_cndmask_b32_e64 v17, v17, v2, s4
	v_cndmask_b32_e32 v19, v19, v2, vcc_lo
	v_cndmask_b32_e64 v18, v18, v6, s4
	v_cmp_eq_u32_e32 vcc_lo, 4, v78
	v_cmp_eq_u32_e64 s4, 3, v79
	v_cndmask_b32_e64 v17, v17, v10, s5
	v_cndmask_b32_e64 v21, v1, v9, s3
	;; [unrolled: 1-line block ×5, first 2 shown]
	v_cndmask_b32_e32 v17, v17, v3, vcc_lo
	v_cndmask_b32_e64 v20, v20, v14, s4
	v_cndmask_b32_e32 v18, v18, v7, vcc_lo
	v_cmp_eq_u32_e32 vcc_lo, 4, v79
	v_cmp_eq_u32_e64 s4, 5, v79
	v_cmp_eq_u32_e64 s3, 2, v81
	v_cndmask_b32_e64 v21, v21, v2, s7
	v_cmp_eq_u32_e64 s5, 5, v78
	v_cndmask_b32_e32 v19, v19, v3, vcc_lo
	v_cndmask_b32_e32 v20, v20, v7, vcc_lo
	v_cmp_eq_u32_e32 vcc_lo, 6, v79
	s_delay_alu instid0(VALU_DEP_4) | instskip(NEXT) | instid1(VALU_DEP_4)
	v_cndmask_b32_e64 v17, v17, v11, s5
	v_cndmask_b32_e64 v19, v19, v11, s4
	s_delay_alu instid0(VALU_DEP_4) | instskip(SKIP_1) | instid1(VALU_DEP_3)
	v_cndmask_b32_e64 v20, v20, v15, s4
	v_cmp_eq_u32_e64 s4, 1, v81
	v_cndmask_b32_e32 v19, v19, v4, vcc_lo
	v_cndmask_b32_e64 v18, v18, v15, s5
	s_delay_alu instid0(VALU_DEP_3)
	v_cndmask_b32_e64 v1, v1, v9, s4
	v_cndmask_b32_e64 v5, v5, v13, s4
	v_cmp_eq_u32_e64 s4, 3, v77
	v_cndmask_b32_e64 v13, v22, v6, s7
	v_cmp_eq_u32_e64 s7, 3, v81
	v_cndmask_b32_e64 v1, v1, v2, s3
	v_cndmask_b32_e64 v2, v5, v6, s3
	;; [unrolled: 1-line block ×3, first 2 shown]
	v_cmp_eq_u32_e64 s3, 4, v77
	v_cndmask_b32_e64 v6, v13, v14, s4
	v_cndmask_b32_e64 v1, v1, v10, s7
	v_cmp_eq_u32_e64 s4, 4, v81
	v_cndmask_b32_e64 v2, v2, v14, s7
	v_cndmask_b32_e64 v5, v9, v3, s3
	;; [unrolled: 3-line block ×3, first 2 shown]
	v_cndmask_b32_e64 v2, v2, v7, s4
	v_cmp_eq_u32_e64 s3, 5, v81
	v_cmp_eq_u32_e64 s5, 6, v78
	v_cndmask_b32_e64 v5, v5, v11, s7
	v_cmp_eq_u32_e64 s4, 6, v77
	v_cndmask_b32_e64 v3, v6, v15, s7
	v_cndmask_b32_e64 v1, v1, v11, s3
	v_cmp_eq_u32_e64 s7, 6, v81
	v_cndmask_b32_e64 v2, v2, v15, s3
	v_cndmask_b32_e64 v17, v17, v4, s5
	v_cndmask_b32_e64 v18, v18, v8, s5
	v_cmp_eq_u32_e64 s5, 7, v78
	v_cndmask_b32_e64 v5, v5, v4, s4
	;; [unrolled: 4-line block ×3, first 2 shown]
	v_cmp_eq_u32_e64 s4, 7, v77
	v_cndmask_b32_e32 v4, v20, v8, vcc_lo
	v_cndmask_b32_e64 v17, v17, v12, s5
	v_cndmask_b32_e64 v19, v19, v12, s6
	;; [unrolled: 1-line block ×8, first 2 shown]
	v_cmp_gt_u32_e32 vcc_lo, 32, v0
	v_perm_b32 v4, v2, v1, 0x5040100
	v_perm_b32 v3, v3, v5, 0x5040100
	;; [unrolled: 1-line block ×4, first 2 shown]
	s_and_b32 s2, vcc_lo, s2
	ds_store_b128 v76, v[1:4]
	s_waitcnt lgkmcnt(0)
	s_barrier
	buffer_gl0_inv
	s_and_saveexec_b32 s3, s2
	s_cbranch_execz .LBB1667_2
; %bb.111:
	s_load_b64 s[0:1], s[0:1], 0x68
	s_lshl_b32 s4, s34, 6
	v_or_b32_e32 v3, s31, v74
	s_mul_i32 s2, s4, s30
	v_lshlrev_b32_e32 v0, 10, v0
	s_mul_i32 s2, s2, s8
	v_lshlrev_b32_e32 v1, 4, v75
	s_ashr_i32 s3, s2, 31
	v_mul_lo_u32 v12, v3, s4
	s_lshl_b64 s[2:3], s[2:3], 1
	v_lshlrev_b32_e32 v2, 6, v74
	v_and_b32_e32 v0, 0x3800, v0
	s_delay_alu instid0(VALU_DEP_1) | instskip(NEXT) | instid1(VALU_DEP_4)
	v_or3_b32 v8, v0, v1, v2
	v_ashrrev_i32_e32 v13, 31, v12
	ds_load_b128 v[0:3], v8
	ds_load_b128 v[4:7], v8 offset:128
	ds_load_b128 v[8:11], v8 offset:256
	s_waitcnt lgkmcnt(0)
	s_add_u32 s2, s0, s2
	s_addc_u32 s3, s1, s3
	s_lshl_b32 s0, s14, 6
	s_delay_alu instid0(SALU_CYCLE_1) | instskip(NEXT) | instid1(SALU_CYCLE_1)
	s_ashr_i32 s1, s0, 31
	s_lshl_b64 s[0:1], s[0:1], 1
	s_delay_alu instid0(SALU_CYCLE_1)
	s_add_u32 s0, s2, s0
	s_addc_u32 s1, s3, s1
	s_lshl_b32 s2, s34, 7
	v_add_co_u32 v18, s0, s0, v73
	v_add_nc_u32_e32 v14, s2, v12
	v_lshlrev_b64 v[12:13], 1, v[12:13]
	v_add_co_ci_u32_e64 v19, null, s1, 0, s0
	s_delay_alu instid0(VALU_DEP_3) | instskip(SKIP_1) | instid1(VALU_DEP_4)
	v_add_nc_u32_e32 v16, s2, v14
	v_ashrrev_i32_e32 v15, 31, v14
	v_add_co_u32 v12, vcc_lo, v18, v12
	s_delay_alu instid0(VALU_DEP_4) | instskip(NEXT) | instid1(VALU_DEP_4)
	v_add_co_ci_u32_e32 v13, vcc_lo, v19, v13, vcc_lo
	v_ashrrev_i32_e32 v17, 31, v16
	s_delay_alu instid0(VALU_DEP_4) | instskip(NEXT) | instid1(VALU_DEP_2)
	v_lshlrev_b64 v[14:15], 1, v[14:15]
	v_lshlrev_b64 v[16:17], 1, v[16:17]
	s_delay_alu instid0(VALU_DEP_2) | instskip(NEXT) | instid1(VALU_DEP_3)
	v_add_co_u32 v14, vcc_lo, v18, v14
	v_add_co_ci_u32_e32 v15, vcc_lo, v19, v15, vcc_lo
	s_delay_alu instid0(VALU_DEP_3) | instskip(NEXT) | instid1(VALU_DEP_4)
	v_add_co_u32 v16, vcc_lo, v18, v16
	v_add_co_ci_u32_e32 v17, vcc_lo, v19, v17, vcc_lo
	s_clause 0x2
	global_store_b128 v[12:13], v[0:3], off
	global_store_b128 v[14:15], v[4:7], off
	;; [unrolled: 1-line block ×3, first 2 shown]
	s_nop 0
	s_sendmsg sendmsg(MSG_DEALLOC_VGPRS)
	s_endpgm
	.section	.rodata,"a",@progbits
	.p2align	6, 0x0
	.amdhsa_kernel _Z39paged_attention_ll4mi_QKV_mfma16_kernelI14__hip_bfloat16hLN4vllm18Fp8KVCacheDataTypeE1EhLi16ELi64ELi256ELb1ELi6EL8MFMAType0EEvPKT_PKT0_S9_ifPKiSB_SB_iPKfiiiPfSE_PS4_PT2_iSD_SD_
		.amdhsa_group_segment_fixed_size 17472
		.amdhsa_private_segment_fixed_size 0
		.amdhsa_kernarg_size 400
		.amdhsa_user_sgpr_count 13
		.amdhsa_user_sgpr_dispatch_ptr 0
		.amdhsa_user_sgpr_queue_ptr 0
		.amdhsa_user_sgpr_kernarg_segment_ptr 1
		.amdhsa_user_sgpr_dispatch_id 0
		.amdhsa_user_sgpr_private_segment_size 0
		.amdhsa_wavefront_size32 1
		.amdhsa_uses_dynamic_stack 0
		.amdhsa_enable_private_segment 0
		.amdhsa_system_sgpr_workgroup_id_x 1
		.amdhsa_system_sgpr_workgroup_id_y 1
		.amdhsa_system_sgpr_workgroup_id_z 1
		.amdhsa_system_sgpr_workgroup_info 0
		.amdhsa_system_vgpr_workitem_id 0
		.amdhsa_next_free_vgpr 124
		.amdhsa_next_free_sgpr 38
		.amdhsa_reserve_vcc 1
		.amdhsa_float_round_mode_32 0
		.amdhsa_float_round_mode_16_64 0
		.amdhsa_float_denorm_mode_32 3
		.amdhsa_float_denorm_mode_16_64 3
		.amdhsa_dx10_clamp 1
		.amdhsa_ieee_mode 1
		.amdhsa_fp16_overflow 0
		.amdhsa_workgroup_processor_mode 1
		.amdhsa_memory_ordered 1
		.amdhsa_forward_progress 0
		.amdhsa_shared_vgpr_count 0
		.amdhsa_exception_fp_ieee_invalid_op 0
		.amdhsa_exception_fp_denorm_src 0
		.amdhsa_exception_fp_ieee_div_zero 0
		.amdhsa_exception_fp_ieee_overflow 0
		.amdhsa_exception_fp_ieee_underflow 0
		.amdhsa_exception_fp_ieee_inexact 0
		.amdhsa_exception_int_div_zero 0
	.end_amdhsa_kernel
	.section	.text._Z39paged_attention_ll4mi_QKV_mfma16_kernelI14__hip_bfloat16hLN4vllm18Fp8KVCacheDataTypeE1EhLi16ELi64ELi256ELb1ELi6EL8MFMAType0EEvPKT_PKT0_S9_ifPKiSB_SB_iPKfiiiPfSE_PS4_PT2_iSD_SD_,"axG",@progbits,_Z39paged_attention_ll4mi_QKV_mfma16_kernelI14__hip_bfloat16hLN4vllm18Fp8KVCacheDataTypeE1EhLi16ELi64ELi256ELb1ELi6EL8MFMAType0EEvPKT_PKT0_S9_ifPKiSB_SB_iPKfiiiPfSE_PS4_PT2_iSD_SD_,comdat
.Lfunc_end1667:
	.size	_Z39paged_attention_ll4mi_QKV_mfma16_kernelI14__hip_bfloat16hLN4vllm18Fp8KVCacheDataTypeE1EhLi16ELi64ELi256ELb1ELi6EL8MFMAType0EEvPKT_PKT0_S9_ifPKiSB_SB_iPKfiiiPfSE_PS4_PT2_iSD_SD_, .Lfunc_end1667-_Z39paged_attention_ll4mi_QKV_mfma16_kernelI14__hip_bfloat16hLN4vllm18Fp8KVCacheDataTypeE1EhLi16ELi64ELi256ELb1ELi6EL8MFMAType0EEvPKT_PKT0_S9_ifPKiSB_SB_iPKfiiiPfSE_PS4_PT2_iSD_SD_
                                        ; -- End function
	.section	.AMDGPU.csdata,"",@progbits
; Kernel info:
; codeLenInByte = 8736
; NumSgprs: 40
; NumVgprs: 124
; ScratchSize: 0
; MemoryBound: 0
; FloatMode: 240
; IeeeMode: 1
; LDSByteSize: 17472 bytes/workgroup (compile time only)
; SGPRBlocks: 4
; VGPRBlocks: 15
; NumSGPRsForWavesPerEU: 40
; NumVGPRsForWavesPerEU: 124
; Occupancy: 10
; WaveLimiterHint : 1
; COMPUTE_PGM_RSRC2:SCRATCH_EN: 0
; COMPUTE_PGM_RSRC2:USER_SGPR: 13
; COMPUTE_PGM_RSRC2:TRAP_HANDLER: 0
; COMPUTE_PGM_RSRC2:TGID_X_EN: 1
; COMPUTE_PGM_RSRC2:TGID_Y_EN: 1
; COMPUTE_PGM_RSRC2:TGID_Z_EN: 1
; COMPUTE_PGM_RSRC2:TIDIG_COMP_CNT: 0
	.section	.text._Z39paged_attention_ll4mi_QKV_mfma16_kernelI14__hip_bfloat16hLN4vllm18Fp8KVCacheDataTypeE1EhLi16ELi64ELi256ELb1ELi7EL8MFMAType0EEvPKT_PKT0_S9_ifPKiSB_SB_iPKfiiiPfSE_PS4_PT2_iSD_SD_,"axG",@progbits,_Z39paged_attention_ll4mi_QKV_mfma16_kernelI14__hip_bfloat16hLN4vllm18Fp8KVCacheDataTypeE1EhLi16ELi64ELi256ELb1ELi7EL8MFMAType0EEvPKT_PKT0_S9_ifPKiSB_SB_iPKfiiiPfSE_PS4_PT2_iSD_SD_,comdat
	.protected	_Z39paged_attention_ll4mi_QKV_mfma16_kernelI14__hip_bfloat16hLN4vllm18Fp8KVCacheDataTypeE1EhLi16ELi64ELi256ELb1ELi7EL8MFMAType0EEvPKT_PKT0_S9_ifPKiSB_SB_iPKfiiiPfSE_PS4_PT2_iSD_SD_ ; -- Begin function _Z39paged_attention_ll4mi_QKV_mfma16_kernelI14__hip_bfloat16hLN4vllm18Fp8KVCacheDataTypeE1EhLi16ELi64ELi256ELb1ELi7EL8MFMAType0EEvPKT_PKT0_S9_ifPKiSB_SB_iPKfiiiPfSE_PS4_PT2_iSD_SD_
	.globl	_Z39paged_attention_ll4mi_QKV_mfma16_kernelI14__hip_bfloat16hLN4vllm18Fp8KVCacheDataTypeE1EhLi16ELi64ELi256ELb1ELi7EL8MFMAType0EEvPKT_PKT0_S9_ifPKiSB_SB_iPKfiiiPfSE_PS4_PT2_iSD_SD_
	.p2align	8
	.type	_Z39paged_attention_ll4mi_QKV_mfma16_kernelI14__hip_bfloat16hLN4vllm18Fp8KVCacheDataTypeE1EhLi16ELi64ELi256ELb1ELi7EL8MFMAType0EEvPKT_PKT0_S9_ifPKiSB_SB_iPKfiiiPfSE_PS4_PT2_iSD_SD_,@function
_Z39paged_attention_ll4mi_QKV_mfma16_kernelI14__hip_bfloat16hLN4vllm18Fp8KVCacheDataTypeE1EhLi16ELi64ELi256ELb1ELi7EL8MFMAType0EEvPKT_PKT0_S9_ifPKiSB_SB_iPKfiiiPfSE_PS4_PT2_iSD_SD_: ; @_Z39paged_attention_ll4mi_QKV_mfma16_kernelI14__hip_bfloat16hLN4vllm18Fp8KVCacheDataTypeE1EhLi16ELi64ELi256ELb1ELi7EL8MFMAType0EEvPKT_PKT0_S9_ifPKiSB_SB_iPKfiiiPfSE_PS4_PT2_iSD_SD_
; %bb.0:
	s_load_b64 s[2:3], s[0:1], 0x30
	s_mov_b32 s34, s13
	s_waitcnt lgkmcnt(0)
	s_cmp_lg_u64 s[2:3], 0
	s_cselect_b32 s8, -1, 0
	s_ashr_i32 s35, s13, 31
	s_cmp_eq_u64 s[2:3], 0
	s_cbranch_scc1 .LBB1668_3
; %bb.1:
	s_lshl_b64 s[4:5], s[34:35], 2
	s_delay_alu instid0(SALU_CYCLE_1) | instskip(SKIP_4) | instid1(SALU_CYCLE_1)
	s_add_u32 s4, s2, s4
	s_addc_u32 s5, s3, s5
	s_load_b64 s[4:5], s[4:5], 0x0
	s_waitcnt lgkmcnt(0)
	s_sub_i32 s4, s5, s4
	s_cmp_eq_u32 s4, 1
	s_cselect_b32 s4, -1, 0
	s_delay_alu instid0(SALU_CYCLE_1)
	s_and_not1_b32 vcc_lo, exec_lo, s4
	s_cbranch_vccz .LBB1668_4
.LBB1668_2:
	s_nop 0
	s_sendmsg sendmsg(MSG_DEALLOC_VGPRS)
	s_endpgm
.LBB1668_3:
.LBB1668_4:
	s_load_b64 s[4:5], s[0:1], 0x28
	s_lshl_b64 s[6:7], s[34:35], 2
	s_waitcnt lgkmcnt(0)
	s_add_u32 s4, s4, s6
	s_addc_u32 s5, s5, s7
	s_lshl_b32 s12, s14, 8
	s_load_b32 s24, s[4:5], 0x0
	s_waitcnt lgkmcnt(0)
	s_cmp_ge_i32 s12, s24
	s_cbranch_scc1 .LBB1668_2
; %bb.5:
	s_clause 0x1
	s_load_b128 s[20:23], s[0:1], 0x8
	s_load_b64 s[4:5], s[0:1], 0x20
	s_and_not1_b32 vcc_lo, exec_lo, s8
	s_cbranch_vccnz .LBB1668_7
; %bb.6:
	s_add_u32 s2, s2, s6
	s_addc_u32 s3, s3, s7
	s_load_b32 s3, s[2:3], 0x0
	s_branch .LBB1668_8
.LBB1668_7:
	s_mov_b32 s3, s34
.LBB1668_8:
	s_load_b128 s[16:19], s[0:1], 0x48
	v_lshrrev_b32_e32 v66, 5, v0
	v_bfe_u32 v74, v0, 4, 1
	v_and_b32_e32 v65, 15, v0
	v_and_b32_e32 v67, 31, v0
	;; [unrolled: 1-line block ×3, first 2 shown]
	s_mul_i32 s31, s15, 7
	v_lshl_or_b32 v1, v66, 1, v74
	v_lshlrev_b32_e32 v2, 3, v65
	v_cmp_gt_u32_e64 s2, 8, v65
	s_delay_alu instid0(VALU_DEP_3) | instskip(NEXT) | instid1(VALU_DEP_3)
	v_cmp_gt_u32_e32 vcc_lo, 7, v1
	v_lshlrev_b32_e32 v73, 1, v2
	s_delay_alu instid0(VALU_DEP_3) | instskip(NEXT) | instid1(SALU_CYCLE_1)
	s_and_b32 s7, s2, vcc_lo
	s_and_saveexec_b32 s6, s7
	s_cbranch_execz .LBB1668_10
; %bb.9:
	s_load_b64 s[8:9], s[0:1], 0x0
	v_add_lshl_u32 v2, v1, s31, 6
	s_waitcnt lgkmcnt(0)
	s_mul_hi_i32 s11, s3, s16
	s_mul_i32 s10, s3, s16
	v_lshlrev_b32_e32 v6, 10, v65
	s_lshl_b64 s[10:11], s[10:11], 1
	v_ashrrev_i32_e32 v3, 31, v2
	v_lshlrev_b32_e32 v1, 6, v1
	v_lshlrev_b32_e32 v7, 10, v75
	v_and_b32_e32 v6, 0x3800, v6
	s_delay_alu instid0(VALU_DEP_4) | instskip(NEXT) | instid1(VALU_DEP_2)
	v_lshlrev_b64 v[2:3], 1, v[2:3]
	v_or3_b32 v1, v6, v7, v1
	s_add_u32 s3, s8, s10
	s_addc_u32 s7, s9, s11
	s_delay_alu instid0(VALU_DEP_2) | instskip(NEXT) | instid1(VALU_DEP_3)
	v_add_co_u32 v2, vcc_lo, s3, v2
	v_add_co_ci_u32_e32 v3, vcc_lo, s7, v3, vcc_lo
	s_delay_alu instid0(VALU_DEP_2) | instskip(NEXT) | instid1(VALU_DEP_2)
	v_add_co_u32 v2, vcc_lo, v2, v73
	v_add_co_ci_u32_e32 v3, vcc_lo, 0, v3, vcc_lo
	global_load_b128 v[2:5], v[2:3], off
	s_waitcnt vmcnt(0)
	ds_store_b128 v1, v[2:5]
.LBB1668_10:
	s_or_b32 exec_lo, exec_lo, s6
	v_and_b32_e32 v1, 0xef, v0
	s_waitcnt lgkmcnt(0)
	s_add_i32 s3, s24, 15
	s_clause 0x1
	s_load_b32 s6, s[0:1], 0x38
	s_load_b32 s19, s[0:1], 0x1c
	s_ashr_i32 s7, s3, 31
	v_add_nc_u32_e32 v1, s12, v1
	s_lshr_b32 s7, s7, 28
	s_waitcnt lgkmcnt(0)
	s_add_i32 s3, s3, s7
	s_barrier
	v_ashrrev_i32_e32 v2, 31, v1
	v_or_b32_e32 v3, 16, v1
	s_ashr_i32 s3, s3, 4
	v_cmp_gt_i32_e32 vcc_lo, s24, v1
	s_add_i32 s3, s3, -1
	v_lshrrev_b32_e32 v2, 28, v2
	buffer_gl0_inv
	s_mul_i32 s27, s15, s18
	v_add_nc_u32_e32 v4, v1, v2
	s_mul_i32 s6, s34, s6
	s_delay_alu instid0(SALU_CYCLE_1) | instskip(NEXT) | instid1(VALU_DEP_1)
	s_ashr_i32 s7, s6, 31
	v_ashrrev_i32_e32 v4, 4, v4
	v_add_nc_u32_e32 v2, v3, v2
	s_lshl_b64 s[6:7], s[6:7], 2
	s_delay_alu instid0(SALU_CYCLE_1) | instskip(NEXT) | instid1(VALU_DEP_2)
	s_add_u32 s26, s4, s6
	v_cndmask_b32_e32 v1, s3, v4, vcc_lo
	s_delay_alu instid0(VALU_DEP_2)
	v_ashrrev_i32_e32 v2, 4, v2
	v_cmp_gt_i32_e32 vcc_lo, s24, v3
	s_addc_u32 s25, s5, s7
	s_ashr_i32 s28, s27, 31
	s_add_u32 s13, s20, s27
	s_addc_u32 s15, s21, s28
	v_cndmask_b32_e32 v3, s3, v2, vcc_lo
	v_ashrrev_i32_e32 v2, 31, v1
	s_lshl_b32 s4, s14, 4
	s_delay_alu instid0(SALU_CYCLE_1) | instskip(NEXT) | instid1(VALU_DEP_2)
	s_ashr_i32 s5, s4, 31
	v_ashrrev_i32_e32 v4, 31, v3
	s_delay_alu instid0(VALU_DEP_2) | instskip(SKIP_1) | instid1(SALU_CYCLE_1)
	v_lshlrev_b64 v[1:2], 2, v[1:2]
	s_lshl_b64 s[4:5], s[4:5], 2
	s_add_u32 s4, s26, s4
	s_delay_alu instid0(VALU_DEP_2) | instskip(SKIP_1) | instid1(VALU_DEP_2)
	v_lshlrev_b64 v[3:4], 2, v[3:4]
	s_addc_u32 s5, s25, s5
	v_add_co_u32 v1, vcc_lo, s26, v1
	v_add_co_ci_u32_e32 v2, vcc_lo, s25, v2, vcc_lo
	s_delay_alu instid0(VALU_DEP_3) | instskip(NEXT) | instid1(VALU_DEP_4)
	v_add_co_u32 v3, vcc_lo, s26, v3
	v_add_co_ci_u32_e32 v4, vcc_lo, s25, v4, vcc_lo
	s_clause 0x1
	global_load_b32 v5, v[1:2], off
	global_load_b32 v7, v[3:4], off
	s_or_b32 s6, s12, 32
	v_lshlrev_b32_e32 v1, 4, v0
	s_ashr_i32 s7, s6, 4
	s_cmp_lt_i32 s6, s24
	s_cselect_b32 s6, s7, s3
	s_delay_alu instid0(VALU_DEP_1) | instskip(SKIP_1) | instid1(SALU_CYCLE_1)
	v_and_b32_e32 v1, 0xf0, v1
	s_ashr_i32 s7, s6, 31
	s_lshl_b64 s[6:7], s[6:7], 2
	s_delay_alu instid0(SALU_CYCLE_1)
	s_add_u32 s6, s26, s6
	s_addc_u32 s7, s25, s7
	s_or_b32 s8, s12, 64
	v_add_co_u32 v1, s13, s13, v1
	s_ashr_i32 s9, s8, 4
	s_cmp_lt_i32 s8, s24
	v_add_co_ci_u32_e64 v2, null, s15, 0, s13
	s_cselect_b32 s8, s9, s3
	s_delay_alu instid0(SALU_CYCLE_1) | instskip(NEXT) | instid1(SALU_CYCLE_1)
	s_ashr_i32 s9, s8, 31
	s_lshl_b64 s[8:9], s[8:9], 2
	s_delay_alu instid0(SALU_CYCLE_1) | instskip(SKIP_2) | instid1(SALU_CYCLE_1)
	s_add_u32 s8, s26, s8
	s_addc_u32 s9, s25, s9
	s_or_b32 s10, s12, 0x60
	s_ashr_i32 s11, s10, 4
	s_cmp_lt_i32 s10, s24
	s_cselect_b32 s10, s11, s3
	s_delay_alu instid0(SALU_CYCLE_1) | instskip(NEXT) | instid1(SALU_CYCLE_1)
	s_ashr_i32 s11, s10, 31
	s_lshl_b64 s[10:11], s[10:11], 2
	s_delay_alu instid0(SALU_CYCLE_1) | instskip(SKIP_2) | instid1(SALU_CYCLE_1)
	s_add_u32 s10, s26, s10
	s_addc_u32 s11, s25, s11
	s_or_b32 s16, s12, 0x80
	s_ashr_i32 s18, s16, 4
	s_cmp_lt_i32 s16, s24
	;; [unrolled: 10-line block ×3, first 2 shown]
	s_cselect_b32 s20, s18, s3
	s_delay_alu instid0(SALU_CYCLE_1) | instskip(NEXT) | instid1(SALU_CYCLE_1)
	s_ashr_i32 s21, s20, 31
	s_lshl_b64 s[20:21], s[20:21], 2
	s_delay_alu instid0(SALU_CYCLE_1)
	s_add_u32 s38, s26, s20
	s_addc_u32 s39, s25, s21
	s_clause 0x5
	s_load_b32 s21, s[4:5], 0x0
	s_load_b32 s13, s[6:7], 0x0
	;; [unrolled: 1-line block ×6, first 2 shown]
	s_or_b32 s9, s12, 0xc0
	s_mov_b32 s4, 0
	s_ashr_i32 s10, s9, 4
	s_cmp_lt_i32 s9, s24
	s_mov_b32 s11, s4
	s_cselect_b32 s36, s10, s3
	s_mov_b32 s5, s4
	s_ashr_i32 s37, s36, 31
	s_mov_b32 s6, s4
	s_lshl_b64 s[36:37], s[36:37], 2
	s_mov_b32 s7, s4
	s_add_u32 s36, s26, s36
	s_addc_u32 s37, s25, s37
	s_or_b32 s29, s12, 0xe0
	s_mov_b32 s8, s4
	s_ashr_i32 s30, s29, 4
	s_mov_b32 s9, s4
	s_mov_b32 s10, s4
	s_cmp_lt_i32 s29, s24
	v_dual_mov_b32 v107, s11 :: v_dual_mov_b32 v100, s4
	v_mov_b32_e32 v106, s10
	v_dual_mov_b32 v104, s8 :: v_dual_mov_b32 v103, s7
	v_dual_mov_b32 v102, s6 :: v_dual_mov_b32 v101, s5
	s_waitcnt vmcnt(1)
	v_mad_i64_i32 v[3:4], null, v5, s17, v[1:2]
	s_waitcnt vmcnt(0)
	v_mad_i64_i32 v[5:6], null, v7, s17, v[1:2]
	v_mul_lo_u16 v1, v65, 37
	v_lshlrev_b32_e32 v2, 4, v65
	s_clause 0x7
	global_load_b128 v[49:52], v[3:4], off
	global_load_b128 v[53:56], v[3:4], off offset:256
	global_load_b128 v[76:79], v[5:6], off
	global_load_b128 v[80:83], v[5:6], off offset:256
	global_load_b128 v[84:87], v[3:4], off offset:512
	;; [unrolled: 1-line block ×5, first 2 shown]
	v_lshrrev_b16 v1, 8, v1
	v_lshl_or_b32 v2, v66, 8, v2
	s_delay_alu instid0(VALU_DEP_2) | instskip(NEXT) | instid1(VALU_DEP_1)
	v_mul_lo_u16 v1, v1, 7
	v_sub_nc_u16 v1, v65, v1
	s_delay_alu instid0(VALU_DEP_1)
	v_and_b32_e32 v1, 0xff, v1
	v_mov_b32_e32 v105, s9
	s_cselect_b32 s4, s30, s3
	s_load_b32 s3, s[36:37], 0x0
	s_ashr_i32 s5, s4, 31
	v_lshlrev_b32_e32 v70, 6, v1
	s_lshl_b64 s[4:5], s[4:5], 2
	ds_load_b128 v[108:111], v70
	ds_load_b128 v[112:115], v70 offset:1024
	s_add_u32 s4, s26, s4
	s_addc_u32 s5, s25, s5
	s_add_u32 s6, s22, s27
	s_load_b32 s4, s[4:5], 0x0
	s_addc_u32 s7, s23, s28
	v_add_co_u32 v9, s6, s6, v2
	s_delay_alu instid0(VALU_DEP_1) | instskip(SKIP_1) | instid1(VALU_DEP_1)
	v_add_co_ci_u32_e64 v10, null, s7, 0, s6
	s_waitcnt lgkmcnt(0)
	v_mad_i64_i32 v[1:2], null, s21, s17, v[9:10]
	v_mad_i64_i32 v[3:4], null, s13, s17, v[9:10]
	;; [unrolled: 1-line block ×7, first 2 shown]
	s_clause 0x9
	global_load_b128 v[57:60], v[1:2], off
	global_load_b128 v[61:64], v[1:2], off offset:16
	global_load_b128 v[41:44], v[3:4], off
	global_load_b128 v[45:48], v[3:4], off offset:16
	;; [unrolled: 2-line block ×5, first 2 shown]
	v_mad_i64_i32 v[68:69], null, s4, s17, v[9:10]
	s_clause 0x3
	global_load_b128 v[9:12], v[13:14], off
	global_load_b128 v[13:16], v[13:14], off offset:16
	global_load_b128 v[17:20], v[21:22], off
	global_load_b128 v[21:24], v[21:22], off offset:16
	s_waitcnt vmcnt(20)
	v_wmma_f32_16x16x16_bf16 v[116:123], v[49:56], v[108:115], v[100:107]
	s_clause 0x1
	global_load_b128 v[49:52], v[68:69], off
	global_load_b128 v[53:56], v[68:69], off offset:16
	v_and_b32_e32 v68, 0xe0, v0
	v_mbcnt_lo_u32_b32 v69, -1, 0
	s_delay_alu instid0(VALU_DEP_2)
	v_add_nc_u32_e32 v68, s12, v68
	s_waitcnt vmcnt(20)
	v_wmma_f32_16x16x16_bf16 v[100:107], v[76:83], v[108:115], v[100:107]
	ds_load_b128 v[76:79], v70 offset:2048
	ds_load_b128 v[80:83], v70 offset:3072
	v_xor_b32_e32 v70, 16, v69
	s_waitcnt vmcnt(0) lgkmcnt(0)
	v_or_b32_e32 v68, v68, v74
	s_barrier
	buffer_gl0_inv
	v_cmp_gt_i32_e32 vcc_lo, 32, v70
	v_or_b32_e32 v71, 4, v68
	v_or_b32_e32 v72, 6, v68
	v_cmp_gt_i32_e64 s3, s24, v68
	v_or_b32_e32 v108, 8, v68
	v_or_b32_e32 v109, 10, v68
	v_cmp_gt_i32_e64 s4, s24, v71
	v_cmp_gt_i32_e64 s5, s24, v72
	s_delay_alu instid0(VALU_DEP_4) | instskip(NEXT) | instid1(VALU_DEP_4)
	v_cmp_gt_i32_e64 s6, s24, v108
	v_cmp_gt_i32_e64 s7, s24, v109
	v_wmma_f32_16x16x16_bf16 v[116:123], v[84:91], v[76:83], v[116:123]
	v_cndmask_b32_e32 v69, v69, v70, vcc_lo
	v_or_b32_e32 v70, 2, v68
	v_wmma_f32_16x16x16_bf16 v[100:107], v[92:99], v[76:83], v[100:107]
	v_or_b32_e32 v89, 22, v68
	v_dual_mul_f32 v80, s19, v121 :: v_dual_mul_f32 v81, s19, v120
	v_dual_mul_f32 v92, s19, v117 :: v_dual_mul_f32 v93, s19, v116
	s_delay_alu instid0(VALU_DEP_4)
	v_mul_f32_e32 v96, s19, v105
	v_cmp_gt_i32_e32 vcc_lo, s24, v70
	v_dual_mul_f32 v79, s19, v122 :: v_dual_mul_f32 v82, s19, v119
	v_dual_mul_f32 v83, s19, v118 :: v_dual_mul_f32 v94, s19, v107
	v_cndmask_b32_e64 v93, 0xff7fffff, v93, s3
	v_cndmask_b32_e32 v92, 0xff7fffff, v92, vcc_lo
	v_or_b32_e32 v84, 12, v68
	v_or_b32_e32 v85, 14, v68
	v_cndmask_b32_e64 v71, 0xff7fffff, v83, s4
	v_cndmask_b32_e64 v72, 0xff7fffff, v82, s5
	v_cmp_gt_i32_e64 s13, s24, v89
	v_lshlrev_b32_e32 v89, 2, v69
	v_max3_f32 v82, v93, 0xff7fffff, v92
	v_or_b32_e32 v86, 16, v68
	v_or_b32_e32 v87, 18, v68
	v_mul_f32_e32 v78, s19, v123
	v_cndmask_b32_e64 v81, 0xff7fffff, v81, s6
	v_cndmask_b32_e64 v80, 0xff7fffff, v80, s7
	v_max3_f32 v71, v82, v71, v72
	v_cmp_gt_i32_e64 s8, s24, v84
	v_cmp_gt_i32_e64 s9, s24, v85
	v_or_b32_e32 v88, 20, v68
	v_or_b32_e32 v90, 24, v68
	;; [unrolled: 1-line block ×5, first 2 shown]
	v_dual_mul_f32 v97, s19, v104 :: v_dual_mul_f32 v70, s19, v101
	v_dual_mul_f32 v99, s19, v102 :: v_dual_mul_f32 v68, s19, v100
	v_cndmask_b32_e64 v72, 0xff7fffff, v79, s8
	v_cndmask_b32_e64 v78, 0xff7fffff, v78, s9
	v_max3_f32 v71, v71, v81, v80
	v_cmp_gt_i32_e64 s10, s24, v86
	v_cmp_gt_i32_e64 s11, s24, v87
	v_dual_mul_f32 v95, s19, v106 :: v_dual_mul_f32 v98, s19, v103
	s_delay_alu instid0(VALU_DEP_4) | instskip(NEXT) | instid1(VALU_DEP_4)
	v_max3_f32 v71, v71, v72, v78
	v_cndmask_b32_e64 v68, 0xff7fffff, v68, s10
	s_delay_alu instid0(VALU_DEP_4)
	v_cndmask_b32_e64 v70, 0xff7fffff, v70, s11
	v_cmp_gt_i32_e64 s12, s24, v88
	v_cndmask_b32_e64 v78, 0xff7fffff, v98, s13
	v_cmp_gt_i32_e64 s15, s24, v90
	v_cmp_gt_i32_e64 s16, s24, v91
	v_max3_f32 v68, v71, v68, v70
	v_cndmask_b32_e64 v72, 0xff7fffff, v99, s12
	v_cmp_gt_i32_e64 s17, s24, v76
	v_cndmask_b32_e64 v70, 0xff7fffff, v97, s15
	v_cndmask_b32_e64 v71, 0xff7fffff, v96, s16
	v_cmp_gt_i32_e64 s18, s24, v77
	v_max3_f32 v68, v68, v72, v78
	v_cndmask_b32_e64 v72, 0xff7fffff, v95, s17
	s_delay_alu instid0(VALU_DEP_3) | instskip(NEXT) | instid1(VALU_DEP_3)
	v_cndmask_b32_e64 v76, 0xff7fffff, v94, s18
	v_max3_f32 v68, v68, v70, v71
	s_delay_alu instid0(VALU_DEP_1) | instskip(SKIP_3) | instid1(VALU_DEP_1)
	v_max3_f32 v68, v68, v72, v76
	ds_bpermute_b32 v69, v89, v68
	s_waitcnt lgkmcnt(0)
	v_max_f32_e32 v69, v69, v69
	v_max_f32_e32 v68, v68, v69
	s_delay_alu instid0(VALU_DEP_1) | instskip(NEXT) | instid1(VALU_DEP_1)
	v_fma_f32 v71, s19, v118, -v68
	v_mul_f32_e32 v71, 0x3fb8aa3b, v71
	v_fma_f32 v70, s19, v117, -v68
	v_fma_f32 v69, s19, v116, -v68
	;; [unrolled: 1-line block ×5, first 2 shown]
	s_delay_alu instid0(VALU_DEP_4) | instskip(SKIP_1) | instid1(VALU_DEP_3)
	v_dual_mul_f32 v70, 0x3fb8aa3b, v70 :: v_dual_mul_f32 v69, 0x3fb8aa3b, v69
	v_exp_f32_e32 v71, v71
	v_mul_f32_e32 v72, 0x3fb8aa3b, v72
	v_fma_f32 v81, s19, v105, -v68
	s_delay_alu instid0(VALU_DEP_3)
	v_exp_f32_e32 v70, v70
	v_mul_f32_e32 v77, 0x3fb8aa3b, v76
	v_exp_f32_e32 v69, v69
	v_exp_f32_e32 v72, v72
	v_mul_f32_e32 v81, 0x3fb8aa3b, v81
	v_cndmask_b32_e64 v83, 0, v71, s4
	v_fma_f32 v71, s19, v123, -v68
	s_delay_alu instid0(VALU_DEP_3) | instskip(SKIP_4) | instid1(TRANS32_DEP_3)
	v_exp_f32_e32 v81, v81
	v_cndmask_b32_e32 v76, 0, v70, vcc_lo
	v_exp_f32_e32 v77, v77
	v_cndmask_b32_e64 v80, 0, v69, s3
	v_fma_f32 v69, s19, v121, -v68
	v_cndmask_b32_e64 v85, 0, v72, s5
	v_mul_f32_e32 v71, 0x3fb8aa3b, v71
	v_fma_f32 v72, s19, v100, -v68
	s_delay_alu instid0(VALU_DEP_4) | instskip(SKIP_1) | instid1(VALU_DEP_4)
	v_dual_add_f32 v70, 0, v80 :: v_dual_mul_f32 v69, 0x3fb8aa3b, v69
	v_cmp_gt_u32_e64 s3, 16, v67
	v_exp_f32_e32 v71, v71
	s_delay_alu instid0(TRANS32_DEP_2) | instskip(SKIP_4) | instid1(VALU_DEP_3)
	v_cndmask_b32_e64 v86, 0, v77, s6
	v_fma_f32 v77, s19, v101, -v68
	v_mul_f32_e32 v78, 0x3fb8aa3b, v78
	v_add_f32_e32 v70, v70, v76
	v_exp_f32_e32 v69, v69
	v_mul_f32_e32 v77, 0x3fb8aa3b, v77
	s_delay_alu instid0(VALU_DEP_3) | instskip(NEXT) | instid1(TRANS32_DEP_3)
	v_exp_f32_e32 v78, v78
	v_cndmask_b32_e64 v88, 0, v71, s9
	v_fma_f32 v71, s19, v104, -v68
	s_delay_alu instid0(VALU_DEP_3) | instskip(NEXT) | instid1(TRANS32_DEP_3)
	v_exp_f32_e32 v77, v77
	v_cndmask_b32_e64 v87, 0, v69, s7
	s_delay_alu instid0(VALU_DEP_2)
	v_mul_f32_e32 v71, 0x3fb8aa3b, v71
	s_waitcnt_depctr 0xfff
	v_cndmask_b32_e64 v84, 0, v78, s8
	v_add_f32_e32 v70, v70, v83
	v_fma_f32 v78, s19, v103, -v68
	v_exp_f32_e32 v82, v71
	s_delay_alu instid0(VALU_DEP_2) | instskip(SKIP_1) | instid1(VALU_DEP_3)
	v_add_f32_e32 v70, v70, v85
	v_mul_f32_e32 v72, 0x3fb8aa3b, v72
	v_mul_f32_e32 v78, 0x3fb8aa3b, v78
	s_delay_alu instid0(VALU_DEP_3) | instskip(SKIP_1) | instid1(VALU_DEP_4)
	v_add_f32_e32 v69, v70, v86
	v_fma_f32 v70, s19, v102, -v68
	v_exp_f32_e32 v72, v72
	s_delay_alu instid0(VALU_DEP_3) | instskip(NEXT) | instid1(VALU_DEP_1)
	v_exp_f32_e32 v78, v78
	v_dual_add_f32 v69, v69, v87 :: v_dual_mul_f32 v70, 0x3fb8aa3b, v70
	s_delay_alu instid0(VALU_DEP_1) | instskip(NEXT) | instid1(VALU_DEP_2)
	v_add_f32_e32 v69, v69, v84
	v_exp_f32_e32 v79, v70
	s_delay_alu instid0(TRANS32_DEP_3) | instskip(NEXT) | instid1(VALU_DEP_2)
	v_cndmask_b32_e64 v70, 0, v72, s10
	v_add_f32_e32 v72, v69, v88
	v_cndmask_b32_e64 v69, 0, v77, s11
	v_fma_f32 v77, s19, v106, -v68
	s_waitcnt_depctr 0xfff
	v_cndmask_b32_e64 v71, 0, v79, s12
	v_dual_mul_f32 v77, 0x3fb8aa3b, v77 :: v_dual_add_f32 v72, v72, v70
	s_delay_alu instid0(VALU_DEP_1) | instskip(NEXT) | instid1(VALU_DEP_1)
	v_exp_f32_e32 v90, v77
	v_add_f32_e32 v79, v72, v69
	v_cndmask_b32_e64 v72, 0, v78, s13
	v_cndmask_b32_e64 v77, 0, v82, s15
	s_delay_alu instid0(VALU_DEP_3) | instskip(SKIP_1) | instid1(VALU_DEP_1)
	v_add_f32_e32 v78, v79, v71
	v_fma_f32 v79, s19, v107, -v68
	v_dual_add_f32 v82, v78, v72 :: v_dual_mul_f32 v79, 0x3fb8aa3b, v79
	v_cndmask_b32_e64 v78, 0, v81, s16
	s_delay_alu instid0(VALU_DEP_2) | instskip(NEXT) | instid1(VALU_DEP_3)
	v_add_f32_e32 v81, v82, v77
	v_exp_f32_e32 v82, v79
	v_cndmask_b32_e64 v79, 0, v90, s17
	s_delay_alu instid0(VALU_DEP_2) | instskip(NEXT) | instid1(VALU_DEP_1)
	v_add_f32_e32 v81, v81, v78
	v_add_f32_e32 v90, v81, v79
	s_waitcnt_depctr 0xfff
	v_cndmask_b32_e64 v81, 0, v82, s18
	s_delay_alu instid0(VALU_DEP_1)
	v_add_f32_e32 v82, v90, v81
	ds_bpermute_b32 v89, v89, v82
	s_and_saveexec_b32 s4, s3
	s_cbranch_execz .LBB1668_12
; %bb.11:
	v_mul_u32_u24_e32 v67, 0x44, v66
	s_delay_alu instid0(VALU_DEP_1) | instskip(SKIP_1) | instid1(VALU_DEP_1)
	v_lshl_add_u32 v67, v65, 2, v67
	s_waitcnt lgkmcnt(0)
	v_dual_add_f32 v82, v82, v89 :: v_dual_add_nc_u32 v67, 0x4000, v67
	ds_store_2addr_b32 v67, v68, v82 offset1:136
.LBB1668_12:
	s_or_b32 exec_lo, exec_lo, s4
	v_lshlrev_b32_e32 v67, 2, v65
	s_waitcnt lgkmcnt(0)
	s_barrier
	buffer_gl0_inv
	v_cmp_eq_u32_e32 vcc_lo, 1, v66
	v_add_nc_u32_e32 v82, 0x4000, v67
	v_cmp_eq_u32_e64 s4, 2, v66
	v_cmp_eq_u32_e64 s6, 7, v66
	ds_load_2addr_b32 v[89:90], v82 offset1:17
	ds_load_2addr_b32 v[91:92], v82 offset0:34 offset1:51
	ds_load_2addr_b32 v[93:94], v82 offset0:68 offset1:85
	ds_load_2addr_b32 v[95:96], v82 offset0:102 offset1:119
	ds_load_2addr_b32 v[97:98], v82 offset0:136 offset1:153
	s_waitcnt lgkmcnt(4)
	v_max3_f32 v67, v89, 0xff7fffff, v90
	s_waitcnt lgkmcnt(3)
	s_delay_alu instid0(VALU_DEP_1) | instskip(SKIP_1) | instid1(VALU_DEP_1)
	v_max3_f32 v67, v67, v91, v92
	s_waitcnt lgkmcnt(2)
	v_max3_f32 v67, v67, v93, v94
	s_waitcnt lgkmcnt(1)
	s_delay_alu instid0(VALU_DEP_1) | instskip(NEXT) | instid1(VALU_DEP_1)
	v_max3_f32 v67, v67, v95, v96
	v_sub_f32_e32 v93, v93, v67
	s_delay_alu instid0(VALU_DEP_1) | instskip(NEXT) | instid1(VALU_DEP_1)
	v_dual_sub_f32 v68, v89, v67 :: v_dual_mul_f32 v103, 0x3fb8aa3b, v93
	v_mul_f32_e32 v68, 0x3fb8aa3b, v68
	s_delay_alu instid0(VALU_DEP_1)
	v_exp_f32_e32 v100, v68
	v_sub_f32_e32 v68, v92, v67
	v_sub_f32_e32 v99, v90, v67
	ds_load_2addr_b32 v[89:90], v82 offset0:170 offset1:187
	v_dual_mul_f32 v102, 0x3fb8aa3b, v68 :: v_dual_mul_f32 v99, 0x3fb8aa3b, v99
	s_waitcnt lgkmcnt(1)
	v_fma_f32 v68, v100, v97, 0
	s_delay_alu instid0(VALU_DEP_2) | instskip(NEXT) | instid1(VALU_DEP_2)
	v_exp_f32_e32 v102, v102
	v_exp_f32_e32 v99, v99
	s_waitcnt_depctr 0xfff
	v_fmac_f32_e32 v68, v99, v98
	v_sub_f32_e32 v91, v91, v67
	s_delay_alu instid0(VALU_DEP_1)
	v_mul_f32_e32 v101, 0x3fb8aa3b, v91
	ds_load_2addr_b32 v[91:92], v82 offset0:204 offset1:221
	v_sub_f32_e32 v97, v94, v67
	ds_load_2addr_b32 v[93:94], v82 offset0:238 offset1:255
	s_waitcnt lgkmcnt(0)
	v_exp_f32_e32 v101, v101
	s_barrier
	buffer_gl0_inv
	v_dual_fmac_f32 v68, v101, v89 :: v_dual_sub_f32 v89, v96, v67
	v_dual_sub_f32 v82, v95, v67 :: v_dual_mul_f32 v95, 0x3fb8aa3b, v97
	v_exp_f32_e32 v97, v103
	s_delay_alu instid0(VALU_DEP_2) | instskip(NEXT) | instid1(VALU_DEP_2)
	v_dual_fmac_f32 v68, v102, v90 :: v_dual_mul_f32 v89, 0x3fb8aa3b, v89
	v_mul_f32_e32 v82, 0x3fb8aa3b, v82
	s_delay_alu instid0(VALU_DEP_3) | instskip(NEXT) | instid1(VALU_DEP_2)
	v_exp_f32_e32 v95, v95
	v_exp_f32_e32 v89, v89
	s_delay_alu instid0(VALU_DEP_1)
	v_exp_f32_e32 v82, v82
	v_fmac_f32_e32 v68, v97, v91
	s_delay_alu instid0(TRANS32_DEP_3) | instid1(VALU_DEP_1)
	v_fmac_f32_e32 v68, v95, v92
	s_waitcnt_depctr 0xfff
	v_fmac_f32_e32 v68, v82, v93
	s_delay_alu instid0(VALU_DEP_1) | instskip(NEXT) | instid1(VALU_DEP_1)
	v_fmac_f32_e32 v68, v89, v94
	v_add_f32_e32 v90, 0x358637bd, v68
	s_delay_alu instid0(VALU_DEP_1) | instskip(NEXT) | instid1(VALU_DEP_1)
	v_div_scale_f32 v91, null, v90, v90, 1.0
	v_rcp_f32_e32 v92, v91
	s_waitcnt_depctr 0xfff
	v_fma_f32 v93, -v91, v92, 1.0
	s_delay_alu instid0(VALU_DEP_1) | instskip(SKIP_1) | instid1(VALU_DEP_2)
	v_dual_fmac_f32 v92, v93, v92 :: v_dual_cndmask_b32 v93, v100, v99
	v_cmp_eq_u32_e32 vcc_lo, 3, v66
	v_cndmask_b32_e64 v93, v93, v101, s4
	v_cmp_eq_u32_e64 s4, 4, v66
	s_delay_alu instid0(VALU_DEP_2) | instskip(SKIP_1) | instid1(VALU_DEP_2)
	v_cndmask_b32_e32 v93, v93, v102, vcc_lo
	v_cmp_eq_u32_e32 vcc_lo, 5, v66
	v_cndmask_b32_e64 v93, v93, v97, s4
	v_cmp_eq_u32_e64 s4, 6, v66
	s_delay_alu instid0(VALU_DEP_2) | instskip(SKIP_1) | instid1(VALU_DEP_1)
	v_cndmask_b32_e32 v93, v93, v95, vcc_lo
	v_div_scale_f32 v94, s5, 1.0, v90, 1.0
	s_mov_b32 vcc_lo, s5
	s_delay_alu instid0(VALU_DEP_2) | instskip(NEXT) | instid1(VALU_DEP_2)
	v_cndmask_b32_e64 v82, v93, v82, s4
	v_mul_f32_e32 v96, v94, v92
	s_mov_b32 s4, exec_lo
	s_delay_alu instid0(VALU_DEP_2) | instskip(NEXT) | instid1(VALU_DEP_2)
	v_cndmask_b32_e64 v82, v82, v89, s6
	v_fma_f32 v98, -v91, v96, v94
	s_delay_alu instid0(VALU_DEP_1) | instskip(NEXT) | instid1(VALU_DEP_1)
	v_fmac_f32_e32 v96, v98, v92
	v_fma_f32 v91, -v91, v96, v94
	s_delay_alu instid0(VALU_DEP_1) | instskip(NEXT) | instid1(VALU_DEP_1)
	v_div_fmas_f32 v91, v91, v92, v96
	v_div_fixup_f32 v90, v91, v90, 1.0
	s_delay_alu instid0(VALU_DEP_1) | instskip(NEXT) | instid1(VALU_DEP_1)
	v_mul_f32_e32 v82, v82, v90
	v_mul_f32_e32 v87, v82, v87
	;; [unrolled: 1-line block ×7, first 2 shown]
	v_dual_mul_f32 v86, v82, v83 :: v_dual_and_b32 v91, 0x7f800000, v90
	v_mul_f32_e32 v85, v82, v76
                                        ; implicit-def: $vgpr76
	s_delay_alu instid0(VALU_DEP_2)
	v_cmpx_ne_u32_e32 0x7f800000, v91
	s_xor_b32 s4, exec_lo, s4
; %bb.13:
	v_bfe_u32 v76, v90, 16, 1
	s_delay_alu instid0(VALU_DEP_1)
	v_add3_u32 v76, v90, v76, 0x7fff
                                        ; implicit-def: $vgpr90
; %bb.14:
	s_and_not1_saveexec_b32 s4, s4
; %bb.15:
	v_and_b32_e32 v76, 0xffff, v90
	v_or_b32_e32 v83, 0x10000, v90
	s_delay_alu instid0(VALU_DEP_2) | instskip(NEXT) | instid1(VALU_DEP_2)
	v_cmp_eq_u32_e32 vcc_lo, 0, v76
	v_cndmask_b32_e32 v76, v83, v90, vcc_lo
; %bb.16:
	s_or_b32 exec_lo, exec_lo, s4
	v_and_b32_e32 v83, 0x7f800000, v85
	s_delay_alu instid0(VALU_DEP_1) | instskip(SKIP_1) | instid1(SALU_CYCLE_1)
	v_cmp_ne_u32_e32 vcc_lo, 0x7f800000, v83
                                        ; implicit-def: $vgpr83
	s_and_saveexec_b32 s4, vcc_lo
	s_xor_b32 s4, exec_lo, s4
; %bb.17:
	v_bfe_u32 v83, v85, 16, 1
	s_delay_alu instid0(VALU_DEP_1)
	v_add3_u32 v83, v85, v83, 0x7fff
                                        ; implicit-def: $vgpr85
; %bb.18:
	s_and_not1_saveexec_b32 s4, s4
; %bb.19:
	v_and_b32_e32 v83, 0xffff, v85
	v_or_b32_e32 v90, 0x10000, v85
	s_delay_alu instid0(VALU_DEP_2) | instskip(NEXT) | instid1(VALU_DEP_2)
	v_cmp_eq_u32_e32 vcc_lo, 0, v83
	v_cndmask_b32_e32 v83, v90, v85, vcc_lo
; %bb.20:
	s_or_b32 exec_lo, exec_lo, s4
	v_and_b32_e32 v85, 0x7f800000, v86
	s_delay_alu instid0(VALU_DEP_1) | instskip(SKIP_1) | instid1(SALU_CYCLE_1)
	v_cmp_ne_u32_e32 vcc_lo, 0x7f800000, v85
                                        ; implicit-def: $vgpr85
	s_and_saveexec_b32 s4, vcc_lo
	s_xor_b32 s4, exec_lo, s4
; %bb.21:
	v_bfe_u32 v85, v86, 16, 1
	s_delay_alu instid0(VALU_DEP_1)
	v_add3_u32 v85, v86, v85, 0x7fff
                                        ; implicit-def: $vgpr86
; %bb.22:
	s_and_not1_saveexec_b32 s4, s4
; %bb.23:
	v_and_b32_e32 v85, 0xffff, v86
	v_or_b32_e32 v90, 0x10000, v86
	s_delay_alu instid0(VALU_DEP_2) | instskip(NEXT) | instid1(VALU_DEP_2)
	v_cmp_eq_u32_e32 vcc_lo, 0, v85
	v_cndmask_b32_e32 v85, v90, v86, vcc_lo
; %bb.24:
	s_or_b32 exec_lo, exec_lo, s4
	v_and_b32_e32 v86, 0x7f800000, v89
	s_delay_alu instid0(VALU_DEP_1) | instskip(SKIP_1) | instid1(SALU_CYCLE_1)
	v_cmp_ne_u32_e32 vcc_lo, 0x7f800000, v86
                                        ; implicit-def: $vgpr86
	s_and_saveexec_b32 s4, vcc_lo
	s_xor_b32 s4, exec_lo, s4
; %bb.25:
	v_bfe_u32 v86, v89, 16, 1
	s_delay_alu instid0(VALU_DEP_1)
	v_add3_u32 v86, v89, v86, 0x7fff
                                        ; implicit-def: $vgpr89
; %bb.26:
	s_and_not1_saveexec_b32 s4, s4
; %bb.27:
	v_and_b32_e32 v86, 0xffff, v89
	v_or_b32_e32 v90, 0x10000, v89
	s_delay_alu instid0(VALU_DEP_2) | instskip(NEXT) | instid1(VALU_DEP_2)
	v_cmp_eq_u32_e32 vcc_lo, 0, v86
	v_cndmask_b32_e32 v86, v90, v89, vcc_lo
; %bb.28:
	s_or_b32 exec_lo, exec_lo, s4
	v_and_b32_e32 v89, 0x7f800000, v88
	s_delay_alu instid0(VALU_DEP_1) | instskip(SKIP_1) | instid1(SALU_CYCLE_1)
	v_cmp_ne_u32_e32 vcc_lo, 0x7f800000, v89
                                        ; implicit-def: $vgpr89
	s_and_saveexec_b32 s4, vcc_lo
	s_xor_b32 s4, exec_lo, s4
; %bb.29:
	v_bfe_u32 v89, v88, 16, 1
	s_delay_alu instid0(VALU_DEP_1)
	v_add3_u32 v89, v88, v89, 0x7fff
                                        ; implicit-def: $vgpr88
; %bb.30:
	s_and_not1_saveexec_b32 s4, s4
; %bb.31:
	v_and_b32_e32 v89, 0xffff, v88
	v_or_b32_e32 v90, 0x10000, v88
	s_delay_alu instid0(VALU_DEP_2) | instskip(NEXT) | instid1(VALU_DEP_2)
	v_cmp_eq_u32_e32 vcc_lo, 0, v89
	v_cndmask_b32_e32 v89, v90, v88, vcc_lo
; %bb.32:
	s_or_b32 exec_lo, exec_lo, s4
	v_and_b32_e32 v88, 0x7f800000, v87
	s_delay_alu instid0(VALU_DEP_1) | instskip(SKIP_1) | instid1(SALU_CYCLE_1)
	v_cmp_ne_u32_e32 vcc_lo, 0x7f800000, v88
                                        ; implicit-def: $vgpr88
	s_and_saveexec_b32 s4, vcc_lo
	s_xor_b32 s4, exec_lo, s4
; %bb.33:
	v_bfe_u32 v88, v87, 16, 1
	s_delay_alu instid0(VALU_DEP_1)
	v_add3_u32 v88, v87, v88, 0x7fff
                                        ; implicit-def: $vgpr87
; %bb.34:
	s_and_not1_saveexec_b32 s4, s4
; %bb.35:
	v_and_b32_e32 v88, 0xffff, v87
	v_or_b32_e32 v90, 0x10000, v87
	s_delay_alu instid0(VALU_DEP_2) | instskip(NEXT) | instid1(VALU_DEP_2)
	v_cmp_eq_u32_e32 vcc_lo, 0, v88
	v_cndmask_b32_e32 v88, v90, v87, vcc_lo
; %bb.36:
	s_or_b32 exec_lo, exec_lo, s4
	v_and_b32_e32 v87, 0x7f800000, v84
	s_delay_alu instid0(VALU_DEP_1) | instskip(SKIP_1) | instid1(SALU_CYCLE_1)
	v_cmp_ne_u32_e32 vcc_lo, 0x7f800000, v87
                                        ; implicit-def: $vgpr87
	s_and_saveexec_b32 s4, vcc_lo
	s_xor_b32 s4, exec_lo, s4
; %bb.37:
	v_bfe_u32 v87, v84, 16, 1
	s_delay_alu instid0(VALU_DEP_1)
	v_add3_u32 v87, v84, v87, 0x7fff
                                        ; implicit-def: $vgpr84
; %bb.38:
	s_and_not1_saveexec_b32 s4, s4
; %bb.39:
	v_and_b32_e32 v87, 0xffff, v84
	v_or_b32_e32 v90, 0x10000, v84
	s_delay_alu instid0(VALU_DEP_2) | instskip(NEXT) | instid1(VALU_DEP_2)
	v_cmp_eq_u32_e32 vcc_lo, 0, v87
	v_cndmask_b32_e32 v87, v90, v84, vcc_lo
; %bb.40:
	s_or_b32 exec_lo, exec_lo, s4
	v_and_b32_e32 v84, 0x7f800000, v80
	s_delay_alu instid0(VALU_DEP_1) | instskip(SKIP_1) | instid1(SALU_CYCLE_1)
	v_cmp_ne_u32_e32 vcc_lo, 0x7f800000, v84
                                        ; implicit-def: $vgpr84
	s_and_saveexec_b32 s4, vcc_lo
	s_xor_b32 s4, exec_lo, s4
; %bb.41:
	v_bfe_u32 v84, v80, 16, 1
	s_delay_alu instid0(VALU_DEP_1)
	v_add3_u32 v84, v80, v84, 0x7fff
                                        ; implicit-def: $vgpr80
; %bb.42:
	s_and_not1_saveexec_b32 s4, s4
; %bb.43:
	v_and_b32_e32 v84, 0xffff, v80
	v_or_b32_e32 v90, 0x10000, v80
	s_delay_alu instid0(VALU_DEP_2) | instskip(NEXT) | instid1(VALU_DEP_2)
	v_cmp_eq_u32_e32 vcc_lo, 0, v84
	v_cndmask_b32_e32 v84, v90, v80, vcc_lo
; %bb.44:
	s_or_b32 exec_lo, exec_lo, s4
	s_load_b64 s[36:37], s[0:1], 0x94
	v_lshlrev_b32_e32 v91, 4, v74
	s_delay_alu instid0(VALU_DEP_2)
	v_perm_b32 v90, v84, v87, 0x7060302
	v_dual_mul_f32 v79, v82, v79 :: v_dual_lshlrev_b32 v80, 6, v65
	v_dual_mul_f32 v77, v82, v77 :: v_dual_lshlrev_b32 v92, 11, v66
	v_mul_f32_e32 v84, v82, v70
	v_perm_b32 v89, v88, v89, 0x7060302
	v_perm_b32 v88, v86, v85, 0x7060302
	;; [unrolled: 1-line block ×3, first 2 shown]
	v_mul_f32_e32 v70, v82, v81
	v_or3_b32 v76, v91, v92, v80
	v_dual_mul_f32 v78, v82, v78 :: v_dual_and_b32 v85, 0x7f800000, v84
	v_mul_f32_e32 v83, v82, v72
	v_mul_f32_e32 v81, v82, v71
	;; [unrolled: 1-line block ×3, first 2 shown]
	s_mov_b32 s4, exec_lo
	ds_store_b128 v76, v[87:90]
                                        ; implicit-def: $vgpr69
	v_cmpx_ne_u32_e32 0x7f800000, v85
	s_xor_b32 s4, exec_lo, s4
; %bb.45:
	v_bfe_u32 v69, v84, 16, 1
	s_delay_alu instid0(VALU_DEP_1)
	v_add3_u32 v69, v84, v69, 0x7fff
                                        ; implicit-def: $vgpr84
; %bb.46:
	s_and_not1_saveexec_b32 s4, s4
; %bb.47:
	v_and_b32_e32 v69, 0xffff, v84
	v_or_b32_e32 v71, 0x10000, v84
	s_delay_alu instid0(VALU_DEP_2) | instskip(NEXT) | instid1(VALU_DEP_2)
	v_cmp_eq_u32_e32 vcc_lo, 0, v69
	v_cndmask_b32_e32 v69, v71, v84, vcc_lo
; %bb.48:
	s_or_b32 exec_lo, exec_lo, s4
	v_and_b32_e32 v71, 0x7f800000, v72
	s_delay_alu instid0(VALU_DEP_1) | instskip(SKIP_1) | instid1(SALU_CYCLE_1)
	v_cmp_ne_u32_e32 vcc_lo, 0x7f800000, v71
                                        ; implicit-def: $vgpr71
	s_and_saveexec_b32 s4, vcc_lo
	s_xor_b32 s4, exec_lo, s4
; %bb.49:
	v_bfe_u32 v71, v72, 16, 1
	s_delay_alu instid0(VALU_DEP_1)
	v_add3_u32 v71, v72, v71, 0x7fff
                                        ; implicit-def: $vgpr72
; %bb.50:
	s_and_not1_saveexec_b32 s4, s4
; %bb.51:
	v_and_b32_e32 v71, 0xffff, v72
	v_or_b32_e32 v82, 0x10000, v72
	s_delay_alu instid0(VALU_DEP_2) | instskip(NEXT) | instid1(VALU_DEP_2)
	v_cmp_eq_u32_e32 vcc_lo, 0, v71
	v_cndmask_b32_e32 v71, v82, v72, vcc_lo
; %bb.52:
	s_or_b32 exec_lo, exec_lo, s4
	v_and_b32_e32 v72, 0x7f800000, v81
	s_delay_alu instid0(VALU_DEP_1) | instskip(SKIP_1) | instid1(SALU_CYCLE_1)
	v_cmp_ne_u32_e32 vcc_lo, 0x7f800000, v72
                                        ; implicit-def: $vgpr72
	s_and_saveexec_b32 s4, vcc_lo
	s_xor_b32 s4, exec_lo, s4
; %bb.53:
	v_bfe_u32 v72, v81, 16, 1
	s_delay_alu instid0(VALU_DEP_1)
	v_add3_u32 v72, v81, v72, 0x7fff
                                        ; implicit-def: $vgpr81
; %bb.54:
	s_and_not1_saveexec_b32 s4, s4
; %bb.55:
	v_and_b32_e32 v72, 0xffff, v81
	v_or_b32_e32 v82, 0x10000, v81
	s_delay_alu instid0(VALU_DEP_2) | instskip(NEXT) | instid1(VALU_DEP_2)
	v_cmp_eq_u32_e32 vcc_lo, 0, v72
	v_cndmask_b32_e32 v72, v82, v81, vcc_lo
; %bb.56:
	s_or_b32 exec_lo, exec_lo, s4
	v_and_b32_e32 v81, 0x7f800000, v83
	s_delay_alu instid0(VALU_DEP_1) | instskip(SKIP_1) | instid1(SALU_CYCLE_1)
	v_cmp_ne_u32_e32 vcc_lo, 0x7f800000, v81
                                        ; implicit-def: $vgpr81
	s_and_saveexec_b32 s4, vcc_lo
	s_xor_b32 s4, exec_lo, s4
; %bb.57:
	v_bfe_u32 v81, v83, 16, 1
	s_delay_alu instid0(VALU_DEP_1)
	v_add3_u32 v81, v83, v81, 0x7fff
                                        ; implicit-def: $vgpr83
; %bb.58:
	s_and_not1_saveexec_b32 s4, s4
; %bb.59:
	v_and_b32_e32 v81, 0xffff, v83
	v_or_b32_e32 v82, 0x10000, v83
	s_delay_alu instid0(VALU_DEP_2) | instskip(NEXT) | instid1(VALU_DEP_2)
	v_cmp_eq_u32_e32 vcc_lo, 0, v81
	v_cndmask_b32_e32 v81, v82, v83, vcc_lo
; %bb.60:
	s_or_b32 exec_lo, exec_lo, s4
	v_and_b32_e32 v82, 0x7f800000, v77
	s_delay_alu instid0(VALU_DEP_1) | instskip(SKIP_1) | instid1(SALU_CYCLE_1)
	v_cmp_ne_u32_e32 vcc_lo, 0x7f800000, v82
                                        ; implicit-def: $vgpr82
	s_and_saveexec_b32 s4, vcc_lo
	s_xor_b32 s4, exec_lo, s4
; %bb.61:
	v_bfe_u32 v82, v77, 16, 1
	s_delay_alu instid0(VALU_DEP_1)
	v_add3_u32 v82, v77, v82, 0x7fff
                                        ; implicit-def: $vgpr77
; %bb.62:
	s_and_not1_saveexec_b32 s4, s4
; %bb.63:
	v_and_b32_e32 v82, 0xffff, v77
	v_or_b32_e32 v83, 0x10000, v77
	s_delay_alu instid0(VALU_DEP_2) | instskip(NEXT) | instid1(VALU_DEP_2)
	v_cmp_eq_u32_e32 vcc_lo, 0, v82
	v_cndmask_b32_e32 v82, v83, v77, vcc_lo
; %bb.64:
	s_or_b32 exec_lo, exec_lo, s4
	v_and_b32_e32 v77, 0x7f800000, v78
	s_delay_alu instid0(VALU_DEP_1) | instskip(SKIP_1) | instid1(SALU_CYCLE_1)
	v_cmp_ne_u32_e32 vcc_lo, 0x7f800000, v77
                                        ; implicit-def: $vgpr77
	s_and_saveexec_b32 s4, vcc_lo
	s_xor_b32 s4, exec_lo, s4
; %bb.65:
	v_bfe_u32 v77, v78, 16, 1
	s_delay_alu instid0(VALU_DEP_1)
	v_add3_u32 v77, v78, v77, 0x7fff
                                        ; implicit-def: $vgpr78
; %bb.66:
	s_and_not1_saveexec_b32 s4, s4
; %bb.67:
	v_and_b32_e32 v77, 0xffff, v78
	v_or_b32_e32 v83, 0x10000, v78
	s_delay_alu instid0(VALU_DEP_2) | instskip(NEXT) | instid1(VALU_DEP_2)
	v_cmp_eq_u32_e32 vcc_lo, 0, v77
	v_cndmask_b32_e32 v77, v83, v78, vcc_lo
; %bb.68:
	s_or_b32 exec_lo, exec_lo, s4
	v_and_b32_e32 v78, 0x7f800000, v79
	s_delay_alu instid0(VALU_DEP_1) | instskip(SKIP_1) | instid1(SALU_CYCLE_1)
	v_cmp_ne_u32_e32 vcc_lo, 0x7f800000, v78
                                        ; implicit-def: $vgpr78
	s_and_saveexec_b32 s4, vcc_lo
	s_xor_b32 s4, exec_lo, s4
; %bb.69:
	v_bfe_u32 v78, v79, 16, 1
	s_delay_alu instid0(VALU_DEP_1)
	v_add3_u32 v78, v79, v78, 0x7fff
                                        ; implicit-def: $vgpr79
; %bb.70:
	s_and_not1_saveexec_b32 s4, s4
; %bb.71:
	v_and_b32_e32 v78, 0xffff, v79
	v_or_b32_e32 v83, 0x10000, v79
	s_delay_alu instid0(VALU_DEP_2) | instskip(NEXT) | instid1(VALU_DEP_2)
	v_cmp_eq_u32_e32 vcc_lo, 0, v78
	v_cndmask_b32_e32 v78, v83, v79, vcc_lo
; %bb.72:
	s_or_b32 exec_lo, exec_lo, s4
	v_and_b32_e32 v79, 0x7f800000, v70
	s_delay_alu instid0(VALU_DEP_1) | instskip(SKIP_1) | instid1(SALU_CYCLE_1)
	v_cmp_ne_u32_e32 vcc_lo, 0x7f800000, v79
                                        ; implicit-def: $vgpr79
	s_and_saveexec_b32 s4, vcc_lo
	s_xor_b32 s4, exec_lo, s4
; %bb.73:
	v_bfe_u32 v79, v70, 16, 1
	s_delay_alu instid0(VALU_DEP_1)
	v_add3_u32 v79, v70, v79, 0x7fff
                                        ; implicit-def: $vgpr70
; %bb.74:
	s_and_not1_saveexec_b32 s4, s4
; %bb.75:
	v_and_b32_e32 v79, 0xffff, v70
	v_or_b32_e32 v83, 0x10000, v70
	s_delay_alu instid0(VALU_DEP_2) | instskip(NEXT) | instid1(VALU_DEP_2)
	v_cmp_eq_u32_e32 vcc_lo, 0, v79
	v_cndmask_b32_e32 v79, v83, v70, vcc_lo
; %bb.76:
	s_or_b32 exec_lo, exec_lo, s4
	s_delay_alu instid0(VALU_DEP_1)
	v_perm_b32 v86, v79, v78, 0x7060302
	v_perm_b32 v85, v77, v82, 0x7060302
	;; [unrolled: 1-line block ×4, first 2 shown]
	v_lshl_or_b32 v82, v66, 11, v80
	ds_store_b128 v76, v[83:86] offset:1024
	s_waitcnt lgkmcnt(0)
	s_barrier
	buffer_gl0_inv
	ds_load_b128 v[69:72], v82
	ds_load_b128 v[83:86], v82 offset:16
	s_waitcnt lgkmcnt(1)
	v_lshrrev_b32_e32 v66, 16, v69
	s_waitcnt lgkmcnt(0)
	v_lshrrev_b32_e32 v91, 16, v83
	v_lshlrev_b32_e32 v78, 2, v74
	v_lshrrev_b32_e32 v95, 16, v70
	v_lshrrev_b32_e32 v98, 16, v84
	;; [unrolled: 1-line block ×4, first 2 shown]
	v_cmp_eq_u32_e32 vcc_lo, 1, v78
	v_lshrrev_b32_e32 v97, 16, v72
	v_lshrrev_b32_e32 v100, 16, v86
	v_cndmask_b32_e32 v87, v83, v91, vcc_lo
	v_or_b32_e32 v79, 1, v78
	v_cndmask_b32_e32 v81, v69, v66, vcc_lo
	v_cmp_eq_u32_e64 s5, 2, v78
	v_cmp_eq_u32_e64 s8, 3, v78
	;; [unrolled: 1-line block ×5, first 2 shown]
	v_cndmask_b32_e64 v81, v81, v70, s5
	v_cndmask_b32_e64 v87, v87, v84, s5
	v_cmp_eq_u32_e64 s9, 3, v79
	v_cndmask_b32_e64 v88, v69, v66, s4
	v_or_b32_e32 v77, 2, v78
	v_cndmask_b32_e64 v81, v81, v95, s8
	v_cndmask_b32_e64 v87, v87, v98, s8
	;; [unrolled: 1-line block ×4, first 2 shown]
	v_cmp_eq_u32_e64 s11, 5, v78
	v_cndmask_b32_e64 v81, v81, v71, s10
	v_cndmask_b32_e64 v87, v87, v85, s10
	v_cmp_eq_u32_e64 s12, 4, v79
	v_cndmask_b32_e64 v88, v88, v95, s9
	v_cmp_eq_u32_e64 s6, 1, v77
	v_cndmask_b32_e64 v89, v89, v84, s7
	v_cndmask_b32_e64 v81, v81, v96, s11
	v_cmp_eq_u32_e64 s13, 6, v78
	v_cndmask_b32_e64 v88, v88, v71, s12
	;; [unrolled: 3-line block ×3, first 2 shown]
	v_cndmask_b32_e64 v89, v89, v98, s9
	v_cndmask_b32_e64 v81, v81, v72, s13
	v_cmp_eq_u32_e64 s16, 7, v78
	v_cndmask_b32_e64 v88, v88, v96, s15
	v_cndmask_b32_e64 v87, v87, v86, s13
	v_cmp_eq_u32_e64 s17, 6, v79
	v_cmp_eq_u32_e64 s18, 2, v77
	v_cndmask_b32_e64 v89, v89, v85, s12
	v_cndmask_b32_e64 v101, v81, v97, s16
	;; [unrolled: 1-line block ×6, first 2 shown]
	v_cmp_eq_u32_e64 s19, 7, v79
	v_cmp_eq_u32_e64 s20, 3, v77
	;; [unrolled: 1-line block ×4, first 2 shown]
	v_cndmask_b32_e64 v87, v87, v84, s18
	v_cndmask_b32_e64 v103, v88, v97, s19
	;; [unrolled: 1-line block ×4, first 2 shown]
	v_or_b32_e32 v81, 3, v78
	v_cndmask_b32_e64 v93, v87, v98, s20
	v_cmp_eq_u32_e64 s25, 6, v77
	v_cndmask_b32_e64 v104, v88, v86, s17
	v_cndmask_b32_e64 v92, v89, v71, s21
	v_cmp_eq_u32_e64 s22, 1, v81
	ds_load_b128 v[87:90], v82 offset:1024
	v_cmp_eq_u32_e64 s24, 2, v81
	v_cmp_eq_u32_e64 s26, 3, v81
	v_cndmask_b32_e64 v105, v92, v96, s23
	v_cndmask_b32_e64 v66, v69, v66, s22
	;; [unrolled: 1-line block ×4, first 2 shown]
	ds_load_b128 v[91:94], v82 offset:1040
	v_cmp_eq_u32_e64 s27, 4, v81
	v_cndmask_b32_e64 v66, v66, v70, s24
	v_cmp_eq_u32_e64 s28, 7, v77
	v_cndmask_b32_e64 v70, v83, v84, s24
	v_cndmask_b32_e64 v84, v105, v72, s25
	v_cmp_eq_u32_e64 s29, 5, v81
	v_cndmask_b32_e64 v66, v66, v95, s26
	v_cmp_eq_u32_e64 s30, 6, v81
	v_cndmask_b32_e64 v70, v70, v98, s26
	v_cndmask_b32_e64 v69, v69, v99, s23
	;; [unrolled: 1-line block ×4, first 2 shown]
	s_waitcnt lgkmcnt(1)
	v_lshrrev_b32_e32 v95, 16, v87
	v_cndmask_b32_e64 v70, v70, v85, s27
	v_cndmask_b32_e64 v71, v84, v97, s28
	;; [unrolled: 1-line block ×4, first 2 shown]
	v_cndmask_b32_e32 v84, v87, v95, vcc_lo
	v_cndmask_b32_e64 v70, v70, v99, s29
	s_waitcnt lgkmcnt(0)
	v_lshrrev_b32_e32 v85, 16, v91
	v_lshrrev_b32_e32 v96, 16, v88
	v_cndmask_b32_e64 v98, v87, v95, s4
	v_cndmask_b32_e64 v84, v84, v88, s5
	;; [unrolled: 1-line block ×3, first 2 shown]
	v_cndmask_b32_e32 v99, v91, v85, vcc_lo
	v_cmp_eq_u32_e32 vcc_lo, 7, v81
	v_cndmask_b32_e64 v66, v66, v72, s30
	v_cndmask_b32_e64 v72, v84, v96, s8
	;; [unrolled: 1-line block ×3, first 2 shown]
	v_lshrrev_b32_e32 v98, 16, v92
	v_cndmask_b32_e32 v70, v70, v100, vcc_lo
	v_cndmask_b32_e64 v86, v99, v92, s5
	v_cndmask_b32_e64 v69, v69, v100, s28
	v_lshrrev_b32_e32 v100, 16, v93
	v_cndmask_b32_e64 v72, v72, v89, s10
	v_lshrrev_b32_e32 v99, 16, v89
	v_cndmask_b32_e64 v86, v86, v98, s8
	v_perm_b32 v71, v69, v71, 0x5040100
	v_cndmask_b32_e64 v84, v84, v96, s9
	s_delay_alu instid0(VALU_DEP_3) | instskip(NEXT) | instid1(VALU_DEP_2)
	v_cndmask_b32_e64 v86, v86, v93, s10
	v_cndmask_b32_e64 v84, v84, v89, s12
	s_delay_alu instid0(VALU_DEP_2) | instskip(NEXT) | instid1(VALU_DEP_1)
	v_cndmask_b32_e64 v86, v86, v100, s11
	v_cndmask_b32_e64 v69, v86, v94, s13
	;; [unrolled: 1-line block ×5, first 2 shown]
	s_delay_alu instid0(VALU_DEP_3) | instskip(NEXT) | instid1(VALU_DEP_3)
	v_cndmask_b32_e64 v86, v86, v88, s18
	v_cndmask_b32_e64 v87, v87, v88, s24
	s_delay_alu instid0(VALU_DEP_3) | instskip(NEXT) | instid1(VALU_DEP_3)
	v_cndmask_b32_e64 v88, v95, v92, s24
	v_cndmask_b32_e64 v86, v86, v96, s20
	;; [unrolled: 3-line block ×7, first 2 shown]
	s_delay_alu instid0(VALU_DEP_3) | instskip(SKIP_2) | instid1(VALU_DEP_2)
	v_cndmask_b32_e64 v88, v88, v94, s30
	v_cndmask_b32_e32 v66, v66, v97, vcc_lo
	v_cndmask_b32_e64 v97, v72, v99, s11
	v_perm_b32 v72, v70, v66, 0x5040100
	v_perm_b32 v70, v83, v103, 0x5040100
	v_cndmask_b32_e64 v103, v91, v85, s6
	v_cndmask_b32_e64 v85, v91, v85, s4
	;; [unrolled: 1-line block ×4, first 2 shown]
	v_lshrrev_b32_e32 v97, 16, v90
	v_cndmask_b32_e64 v91, v103, v92, s18
	v_cndmask_b32_e64 v85, v85, v92, s7
	;; [unrolled: 1-line block ×3, first 2 shown]
	s_mov_b32 s4, exec_lo
	v_cndmask_b32_e64 v83, v84, v97, s16
	v_cndmask_b32_e64 v91, v91, v98, s20
	;; [unrolled: 1-line block ×3, first 2 shown]
	v_lshrrev_b32_e32 v84, 16, v94
	v_cndmask_b32_e64 v66, v66, v97, s19
	v_cndmask_b32_e64 v90, v86, v97, s28
	;; [unrolled: 1-line block ×4, first 2 shown]
	v_dual_cndmask_b32 v86, v87, v97 :: v_dual_cndmask_b32 v87, v88, v84
	v_cndmask_b32_e64 v91, v69, v84, s16
	s_delay_alu instid0(VALU_DEP_4) | instskip(NEXT) | instid1(VALU_DEP_4)
	v_cndmask_b32_e64 v89, v89, v100, s23
	v_cndmask_b32_e64 v85, v85, v100, s15
	v_perm_b32 v69, v102, v101, 0x5040100
	v_perm_b32 v86, v87, v86, 0x5040100
	;; [unrolled: 1-line block ×3, first 2 shown]
	v_cndmask_b32_e64 v89, v89, v94, s25
	v_cndmask_b32_e64 v85, v85, v94, s17
	s_mul_i32 s9, s37, 7
	s_delay_alu instid0(VALU_DEP_2) | instskip(NEXT) | instid1(VALU_DEP_2)
	v_cndmask_b32_e64 v88, v89, v84, s28
	v_cndmask_b32_e64 v89, v85, v84, s19
	s_delay_alu instid0(VALU_DEP_2) | instskip(NEXT) | instid1(VALU_DEP_2)
	v_perm_b32 v85, v88, v90, 0x5040100
	v_perm_b32 v84, v89, v66, 0x5040100
	ds_store_b128 v76, v[69:72]
	ds_store_b128 v76, v[83:86] offset:1024
	v_cmpx_gt_u32_e32 7, v0
	s_cbranch_execz .LBB1668_78
; %bb.77:
	s_mul_i32 s5, s9, s34
	s_load_b128 s[16:19], s[0:1], 0x58
	v_add3_u32 v69, s5, s31, v65
	s_delay_alu instid0(VALU_DEP_1) | instskip(NEXT) | instid1(VALU_DEP_1)
	v_mad_u64_u32 v[65:66], null, v69, s36, s[14:15]
	v_ashrrev_i32_e32 v66, 31, v65
	s_delay_alu instid0(VALU_DEP_1) | instskip(SKIP_1) | instid1(VALU_DEP_1)
	v_lshlrev_b64 v[65:66], 2, v[65:66]
	s_waitcnt lgkmcnt(0)
	v_add_co_u32 v69, vcc_lo, s18, v65
	s_delay_alu instid0(VALU_DEP_2)
	v_add_co_ci_u32_e32 v70, vcc_lo, s19, v66, vcc_lo
	v_add_co_u32 v65, vcc_lo, s16, v65
	v_add_co_ci_u32_e32 v66, vcc_lo, s17, v66, vcc_lo
	global_store_b32 v[69:70], v67, off
	global_store_b32 v[65:66], v68, off
.LBB1668_78:
	s_or_b32 exec_lo, exec_lo, s4
	s_waitcnt lgkmcnt(0)
	s_waitcnt_vscnt null, 0x0
	s_barrier
	buffer_gl0_inv
	ds_load_b128 v[83:86], v80
	ds_load_b128 v[87:90], v80 offset:16
	ds_load_b128 v[95:98], v80 offset:2064
	ds_load_b128 v[91:94], v80 offset:2048
	v_mov_b32_e32 v65, 0
	ds_load_b128 v[103:106], v80 offset:4112
	ds_load_b128 v[99:102], v80 offset:4096
	;; [unrolled: 1-line block ×4, first 2 shown]
	v_mov_b32_e32 v66, v65
	v_mov_b32_e32 v67, v65
	;; [unrolled: 1-line block ×7, first 2 shown]
	s_waitcnt lgkmcnt(6)
	s_delay_alu instid0(VALU_DEP_1)
	v_wmma_f32_16x16x16_bf16 v[65:72], v[57:64], v[83:90], v[65:72]
	ds_load_b128 v[61:64], v80 offset:8208
	ds_load_b128 v[57:60], v80 offset:8192
	s_waitcnt lgkmcnt(6)
	v_wmma_f32_16x16x16_bf16 v[65:72], v[41:48], v[91:98], v[65:72]
	ds_load_b128 v[45:48], v80 offset:10256
	ds_load_b128 v[41:44], v80 offset:10240
	s_waitcnt lgkmcnt(6)
	;; [unrolled: 4-line block ×4, first 2 shown]
	v_wmma_f32_16x16x16_bf16 v[65:72], v[1:8], v[57:64], v[65:72]
	s_waitcnt lgkmcnt(4)
	s_delay_alu instid0(VALU_DEP_1) | instskip(SKIP_1) | instid1(VALU_DEP_1)
	v_wmma_f32_16x16x16_bf16 v[65:72], v[9:16], v[41:48], v[65:72]
	s_waitcnt lgkmcnt(2)
	v_wmma_f32_16x16x16_bf16 v[65:72], v[17:24], v[33:40], v[65:72]
	s_waitcnt lgkmcnt(0)
	s_delay_alu instid0(VALU_DEP_1) | instskip(NEXT) | instid1(VALU_DEP_1)
	v_wmma_f32_16x16x16_bf16 v[65:72], v[49:56], v[25:32], v[65:72]
	v_and_b32_e32 v1, 0x7f800000, v65
	s_delay_alu instid0(VALU_DEP_1) | instskip(SKIP_1) | instid1(SALU_CYCLE_1)
	v_cmp_ne_u32_e32 vcc_lo, 0x7f800000, v1
                                        ; implicit-def: $vgpr1
	s_and_saveexec_b32 s4, vcc_lo
	s_xor_b32 s4, exec_lo, s4
; %bb.79:
	v_bfe_u32 v1, v65, 16, 1
	s_delay_alu instid0(VALU_DEP_1)
	v_add3_u32 v1, v65, v1, 0x7fff
; %bb.80:
	s_and_not1_saveexec_b32 s4, s4
; %bb.81:
	v_and_b32_e32 v1, 0xffff, v65
	v_or_b32_e32 v2, 0x10000, v65
	s_delay_alu instid0(VALU_DEP_2) | instskip(NEXT) | instid1(VALU_DEP_2)
	v_cmp_eq_u32_e32 vcc_lo, 0, v1
	v_cndmask_b32_e32 v1, v2, v65, vcc_lo
; %bb.82:
	s_or_b32 exec_lo, exec_lo, s4
	v_and_b32_e32 v2, 0x7f800000, v66
	s_delay_alu instid0(VALU_DEP_1) | instskip(SKIP_1) | instid1(SALU_CYCLE_1)
	v_cmp_ne_u32_e32 vcc_lo, 0x7f800000, v2
                                        ; implicit-def: $vgpr2
	s_and_saveexec_b32 s4, vcc_lo
	s_xor_b32 s4, exec_lo, s4
; %bb.83:
	v_bfe_u32 v2, v66, 16, 1
	s_delay_alu instid0(VALU_DEP_1)
	v_add3_u32 v2, v66, v2, 0x7fff
; %bb.84:
	s_and_not1_saveexec_b32 s4, s4
; %bb.85:
	v_and_b32_e32 v2, 0xffff, v66
	v_or_b32_e32 v3, 0x10000, v66
	s_delay_alu instid0(VALU_DEP_2) | instskip(NEXT) | instid1(VALU_DEP_2)
	v_cmp_eq_u32_e32 vcc_lo, 0, v2
	v_cndmask_b32_e32 v2, v3, v66, vcc_lo
; %bb.86:
	s_or_b32 exec_lo, exec_lo, s4
	v_and_b32_e32 v3, 0x7f800000, v67
	s_delay_alu instid0(VALU_DEP_1) | instskip(SKIP_1) | instid1(SALU_CYCLE_1)
	v_cmp_ne_u32_e32 vcc_lo, 0x7f800000, v3
                                        ; implicit-def: $vgpr3
	s_and_saveexec_b32 s4, vcc_lo
	s_xor_b32 s4, exec_lo, s4
; %bb.87:
	v_bfe_u32 v3, v67, 16, 1
	s_delay_alu instid0(VALU_DEP_1)
	v_add3_u32 v3, v67, v3, 0x7fff
; %bb.88:
	s_and_not1_saveexec_b32 s4, s4
; %bb.89:
	v_and_b32_e32 v3, 0xffff, v67
	v_or_b32_e32 v4, 0x10000, v67
	s_delay_alu instid0(VALU_DEP_2) | instskip(NEXT) | instid1(VALU_DEP_2)
	v_cmp_eq_u32_e32 vcc_lo, 0, v3
	v_cndmask_b32_e32 v3, v4, v67, vcc_lo
; %bb.90:
	s_or_b32 exec_lo, exec_lo, s4
	v_and_b32_e32 v4, 0x7f800000, v68
	s_delay_alu instid0(VALU_DEP_1) | instskip(SKIP_1) | instid1(SALU_CYCLE_1)
	v_cmp_ne_u32_e32 vcc_lo, 0x7f800000, v4
                                        ; implicit-def: $vgpr4
	s_and_saveexec_b32 s4, vcc_lo
	s_xor_b32 s4, exec_lo, s4
; %bb.91:
	v_bfe_u32 v4, v68, 16, 1
	s_delay_alu instid0(VALU_DEP_1)
	v_add3_u32 v4, v68, v4, 0x7fff
; %bb.92:
	s_and_not1_saveexec_b32 s4, s4
; %bb.93:
	v_and_b32_e32 v4, 0xffff, v68
	v_or_b32_e32 v5, 0x10000, v68
	s_delay_alu instid0(VALU_DEP_2) | instskip(NEXT) | instid1(VALU_DEP_2)
	v_cmp_eq_u32_e32 vcc_lo, 0, v4
	v_cndmask_b32_e32 v4, v5, v68, vcc_lo
; %bb.94:
	s_or_b32 exec_lo, exec_lo, s4
	v_and_b32_e32 v5, 0x7f800000, v69
	s_delay_alu instid0(VALU_DEP_1) | instskip(SKIP_1) | instid1(SALU_CYCLE_1)
	v_cmp_ne_u32_e32 vcc_lo, 0x7f800000, v5
                                        ; implicit-def: $vgpr5
	s_and_saveexec_b32 s4, vcc_lo
	s_xor_b32 s4, exec_lo, s4
; %bb.95:
	v_bfe_u32 v5, v69, 16, 1
	s_delay_alu instid0(VALU_DEP_1)
	v_add3_u32 v5, v69, v5, 0x7fff
; %bb.96:
	s_and_not1_saveexec_b32 s4, s4
; %bb.97:
	v_and_b32_e32 v5, 0xffff, v69
	v_or_b32_e32 v6, 0x10000, v69
	s_delay_alu instid0(VALU_DEP_2) | instskip(NEXT) | instid1(VALU_DEP_2)
	v_cmp_eq_u32_e32 vcc_lo, 0, v5
	v_cndmask_b32_e32 v5, v6, v69, vcc_lo
; %bb.98:
	s_or_b32 exec_lo, exec_lo, s4
	v_and_b32_e32 v6, 0x7f800000, v70
	s_delay_alu instid0(VALU_DEP_1) | instskip(SKIP_1) | instid1(SALU_CYCLE_1)
	v_cmp_ne_u32_e32 vcc_lo, 0x7f800000, v6
                                        ; implicit-def: $vgpr6
	s_and_saveexec_b32 s4, vcc_lo
	s_xor_b32 s4, exec_lo, s4
; %bb.99:
	v_bfe_u32 v6, v70, 16, 1
	s_delay_alu instid0(VALU_DEP_1)
	v_add3_u32 v6, v70, v6, 0x7fff
; %bb.100:
	s_and_not1_saveexec_b32 s4, s4
; %bb.101:
	v_and_b32_e32 v6, 0xffff, v70
	v_or_b32_e32 v7, 0x10000, v70
	s_delay_alu instid0(VALU_DEP_2) | instskip(NEXT) | instid1(VALU_DEP_2)
	v_cmp_eq_u32_e32 vcc_lo, 0, v6
	v_cndmask_b32_e32 v6, v7, v70, vcc_lo
; %bb.102:
	s_or_b32 exec_lo, exec_lo, s4
	v_and_b32_e32 v7, 0x7f800000, v71
	s_delay_alu instid0(VALU_DEP_1) | instskip(SKIP_1) | instid1(SALU_CYCLE_1)
	v_cmp_ne_u32_e32 vcc_lo, 0x7f800000, v7
                                        ; implicit-def: $vgpr7
	s_and_saveexec_b32 s4, vcc_lo
	s_xor_b32 s4, exec_lo, s4
; %bb.103:
	v_bfe_u32 v7, v71, 16, 1
	s_delay_alu instid0(VALU_DEP_1)
	v_add3_u32 v7, v71, v7, 0x7fff
; %bb.104:
	s_and_not1_saveexec_b32 s4, s4
; %bb.105:
	v_and_b32_e32 v7, 0xffff, v71
	v_or_b32_e32 v8, 0x10000, v71
	s_delay_alu instid0(VALU_DEP_2) | instskip(NEXT) | instid1(VALU_DEP_2)
	v_cmp_eq_u32_e32 vcc_lo, 0, v7
	v_cndmask_b32_e32 v7, v8, v71, vcc_lo
; %bb.106:
	s_or_b32 exec_lo, exec_lo, s4
	v_and_b32_e32 v8, 0x7f800000, v72
	s_delay_alu instid0(VALU_DEP_1) | instskip(SKIP_1) | instid1(SALU_CYCLE_1)
	v_cmp_ne_u32_e32 vcc_lo, 0x7f800000, v8
                                        ; implicit-def: $vgpr8
	s_and_saveexec_b32 s4, vcc_lo
	s_xor_b32 s4, exec_lo, s4
; %bb.107:
	v_bfe_u32 v8, v72, 16, 1
	s_delay_alu instid0(VALU_DEP_1)
	v_add3_u32 v8, v72, v8, 0x7fff
                                        ; implicit-def: $vgpr65_vgpr66_vgpr67_vgpr68_vgpr69_vgpr70_vgpr71_vgpr72
; %bb.108:
	s_and_not1_saveexec_b32 s4, s4
; %bb.109:
	v_and_b32_e32 v8, 0xffff, v72
	v_or_b32_e32 v9, 0x10000, v72
	s_delay_alu instid0(VALU_DEP_2) | instskip(NEXT) | instid1(VALU_DEP_2)
	v_cmp_eq_u32_e32 vcc_lo, 0, v8
	v_cndmask_b32_e32 v8, v9, v72, vcc_lo
; %bb.110:
	s_or_b32 exec_lo, exec_lo, s4
	s_delay_alu instid0(VALU_DEP_1)
	v_perm_b32 v7, v8, v7, 0x7060302
	v_perm_b32 v6, v6, v5, 0x7060302
	v_perm_b32 v5, v4, v3, 0x7060302
	v_perm_b32 v4, v2, v1, 0x7060302
	s_barrier
	buffer_gl0_inv
	v_cmp_eq_u32_e32 vcc_lo, 1, v78
	ds_store_b128 v76, v[4:7]
	s_waitcnt lgkmcnt(0)
	s_barrier
	buffer_gl0_inv
	ds_load_b128 v[1:4], v82
	ds_load_b128 v[5:8], v82 offset:16
	v_cmp_eq_u32_e64 s4, 1, v79
	v_cmp_eq_u32_e64 s5, 2, v78
	;; [unrolled: 1-line block ×5, first 2 shown]
	s_waitcnt lgkmcnt(1)
	v_lshrrev_b32_e32 v9, 16, v1
	s_waitcnt lgkmcnt(0)
	v_lshrrev_b32_e32 v13, 16, v5
	v_lshrrev_b32_e32 v10, 16, v2
	v_lshrrev_b32_e32 v14, 16, v6
	v_lshrrev_b32_e32 v11, 16, v3
	v_cndmask_b32_e64 v19, v1, v9, s4
	v_cndmask_b32_e32 v18, v5, v13, vcc_lo
	v_cndmask_b32_e64 v20, v5, v13, s4
	v_cndmask_b32_e32 v17, v1, v9, vcc_lo
	v_cmp_eq_u32_e32 vcc_lo, 2, v79
	v_lshrrev_b32_e32 v15, 16, v7
	v_cmp_eq_u32_e64 s4, 1, v77
	v_lshrrev_b32_e32 v12, 16, v4
	v_lshrrev_b32_e32 v16, 16, v8
	v_cndmask_b32_e32 v20, v20, v6, vcc_lo
	v_cndmask_b32_e64 v17, v17, v2, s5
	v_cndmask_b32_e32 v19, v19, v2, vcc_lo
	v_cndmask_b32_e64 v18, v18, v6, s5
	v_cmp_eq_u32_e32 vcc_lo, 4, v78
	v_cmp_eq_u32_e64 s5, 3, v79
	v_cndmask_b32_e64 v17, v17, v10, s6
	v_cndmask_b32_e64 v21, v1, v9, s4
	;; [unrolled: 1-line block ×5, first 2 shown]
	v_cndmask_b32_e32 v17, v17, v3, vcc_lo
	v_cndmask_b32_e64 v20, v20, v14, s5
	v_cndmask_b32_e32 v18, v18, v7, vcc_lo
	v_cmp_eq_u32_e32 vcc_lo, 4, v79
	v_cmp_eq_u32_e64 s5, 5, v79
	v_cmp_eq_u32_e64 s4, 2, v81
	v_cndmask_b32_e64 v21, v21, v2, s8
	v_cmp_eq_u32_e64 s6, 5, v78
	v_cndmask_b32_e32 v19, v19, v3, vcc_lo
	v_cndmask_b32_e32 v20, v20, v7, vcc_lo
	v_cmp_eq_u32_e32 vcc_lo, 6, v79
	s_delay_alu instid0(VALU_DEP_4) | instskip(NEXT) | instid1(VALU_DEP_4)
	v_cndmask_b32_e64 v17, v17, v11, s6
	v_cndmask_b32_e64 v19, v19, v11, s5
	s_delay_alu instid0(VALU_DEP_4) | instskip(SKIP_1) | instid1(VALU_DEP_3)
	v_cndmask_b32_e64 v20, v20, v15, s5
	v_cmp_eq_u32_e64 s5, 1, v81
	v_cndmask_b32_e32 v19, v19, v4, vcc_lo
	v_cndmask_b32_e64 v18, v18, v15, s6
	s_delay_alu instid0(VALU_DEP_3)
	v_cndmask_b32_e64 v1, v1, v9, s5
	v_cndmask_b32_e64 v5, v5, v13, s5
	v_cmp_eq_u32_e64 s5, 3, v77
	v_cndmask_b32_e64 v13, v22, v6, s8
	v_cmp_eq_u32_e64 s8, 3, v81
	v_cndmask_b32_e64 v1, v1, v2, s4
	v_cndmask_b32_e64 v2, v5, v6, s4
	;; [unrolled: 1-line block ×3, first 2 shown]
	v_cmp_eq_u32_e64 s4, 4, v77
	v_cndmask_b32_e64 v6, v13, v14, s5
	v_cndmask_b32_e64 v1, v1, v10, s8
	v_cmp_eq_u32_e64 s5, 4, v81
	v_cndmask_b32_e64 v2, v2, v14, s8
	v_cndmask_b32_e64 v5, v9, v3, s4
	;; [unrolled: 3-line block ×3, first 2 shown]
	v_cndmask_b32_e64 v2, v2, v7, s5
	v_cmp_eq_u32_e64 s4, 5, v81
	v_cmp_eq_u32_e64 s6, 6, v78
	v_cndmask_b32_e64 v5, v5, v11, s8
	v_cmp_eq_u32_e64 s5, 6, v77
	v_cndmask_b32_e64 v3, v6, v15, s8
	v_cndmask_b32_e64 v1, v1, v11, s4
	v_cmp_eq_u32_e64 s8, 6, v81
	v_cndmask_b32_e64 v2, v2, v15, s4
	v_cndmask_b32_e64 v17, v17, v4, s6
	v_cndmask_b32_e64 v18, v18, v8, s6
	v_cmp_eq_u32_e64 s6, 7, v78
	v_cndmask_b32_e64 v5, v5, v4, s5
	;; [unrolled: 4-line block ×3, first 2 shown]
	v_cmp_eq_u32_e64 s5, 7, v77
	v_cndmask_b32_e32 v4, v20, v8, vcc_lo
	v_cndmask_b32_e64 v17, v17, v12, s6
	v_cndmask_b32_e64 v19, v19, v12, s7
	;; [unrolled: 1-line block ×8, first 2 shown]
	v_cmp_gt_u32_e32 vcc_lo, 32, v0
	v_perm_b32 v4, v2, v1, 0x5040100
	v_perm_b32 v3, v3, v5, 0x5040100
	;; [unrolled: 1-line block ×4, first 2 shown]
	s_and_b32 s2, vcc_lo, s2
	ds_store_b128 v76, v[1:4]
	s_waitcnt lgkmcnt(0)
	s_barrier
	buffer_gl0_inv
	s_and_saveexec_b32 s4, s2
	s_cbranch_execz .LBB1668_2
; %bb.111:
	s_load_b64 s[4:5], s[0:1], 0x68
	v_lshlrev_b32_e32 v0, 10, v0
	v_add_nc_u32_e32 v2, s31, v74
	v_lshlrev_b32_e32 v3, 4, v75
	s_lshl_b32 s0, s36, 6
	s_delay_alu instid0(SALU_CYCLE_1) | instskip(NEXT) | instid1(VALU_DEP_2)
	s_mul_i32 s1, s0, s34
	v_mul_lo_u32 v1, v2, s0
	s_delay_alu instid0(VALU_DEP_2)
	v_and_or_b32 v0, 0x3800, v0, v3
	v_add_nc_u32_e32 v3, 2, v2
	s_mul_i32 s6, s1, s9
	v_add_nc_u32_e32 v4, 4, v2
	s_ashr_i32 s7, s6, 31
	v_lshl_or_b32 v11, v74, 6, v0
	s_lshl_b64 s[6:7], s[6:7], 1
	v_mul_lo_u32 v15, v3, s0
	v_mul_lo_u32 v17, v4, s0
	v_ashrrev_i32_e32 v2, 31, v1
	ds_load_b128 v[3:6], v11
	ds_load_b128 v[7:10], v11 offset:128
	ds_load_b128 v[11:14], v11 offset:256
	s_waitcnt lgkmcnt(0)
	s_add_u32 s1, s4, s6
	s_addc_u32 s2, s5, s7
	s_lshl_b32 s4, s14, 6
	v_ashrrev_i32_e32 v16, 31, v15
	s_ashr_i32 s5, s4, 31
	v_lshlrev_b64 v[19:20], 1, v[1:2]
	s_lshl_b64 s[4:5], s[4:5], 1
	v_ashrrev_i32_e32 v18, 31, v17
	s_add_u32 s1, s1, s4
	s_addc_u32 s2, s2, s5
	v_add_co_u32 v1, s1, s1, v73
	s_delay_alu instid0(VALU_DEP_1) | instskip(SKIP_1) | instid1(VALU_DEP_3)
	v_add_co_ci_u32_e64 v2, null, s2, 0, s1
	v_lshlrev_b64 v[15:16], 1, v[15:16]
	v_add_co_u32 v19, vcc_lo, v1, v19
	v_lshlrev_b64 v[17:18], 1, v[17:18]
	s_delay_alu instid0(VALU_DEP_4) | instskip(NEXT) | instid1(VALU_DEP_4)
	v_add_co_ci_u32_e32 v20, vcc_lo, v2, v20, vcc_lo
	v_add_co_u32 v15, vcc_lo, v1, v15
	v_add_co_ci_u32_e32 v16, vcc_lo, v2, v16, vcc_lo
	s_delay_alu instid0(VALU_DEP_4)
	v_add_co_u32 v17, vcc_lo, v1, v17
	v_add_co_ci_u32_e32 v18, vcc_lo, v2, v18, vcc_lo
	s_clause 0x2
	global_store_b128 v[19:20], v[3:6], off
	global_store_b128 v[15:16], v[7:10], off
	;; [unrolled: 1-line block ×3, first 2 shown]
	s_and_b32 exec_lo, exec_lo, s3
	s_cbranch_execz .LBB1668_2
; %bb.112:
	ds_load_b128 v[3:6], v0 offset:384
	s_add_i32 s1, s31, 6
	s_delay_alu instid0(SALU_CYCLE_1) | instskip(NEXT) | instid1(SALU_CYCLE_1)
	s_mul_i32 s0, s1, s0
	s_ashr_i32 s1, s0, 31
	s_delay_alu instid0(SALU_CYCLE_1) | instskip(NEXT) | instid1(SALU_CYCLE_1)
	s_lshl_b64 s[0:1], s[0:1], 1
	v_add_co_u32 v0, vcc_lo, v1, s0
	v_add_co_ci_u32_e32 v1, vcc_lo, s1, v2, vcc_lo
	s_waitcnt lgkmcnt(0)
	global_store_b128 v[0:1], v[3:6], off
	s_nop 0
	s_sendmsg sendmsg(MSG_DEALLOC_VGPRS)
	s_endpgm
	.section	.rodata,"a",@progbits
	.p2align	6, 0x0
	.amdhsa_kernel _Z39paged_attention_ll4mi_QKV_mfma16_kernelI14__hip_bfloat16hLN4vllm18Fp8KVCacheDataTypeE1EhLi16ELi64ELi256ELb1ELi7EL8MFMAType0EEvPKT_PKT0_S9_ifPKiSB_SB_iPKfiiiPfSE_PS4_PT2_iSD_SD_
		.amdhsa_group_segment_fixed_size 17472
		.amdhsa_private_segment_fixed_size 0
		.amdhsa_kernarg_size 400
		.amdhsa_user_sgpr_count 13
		.amdhsa_user_sgpr_dispatch_ptr 0
		.amdhsa_user_sgpr_queue_ptr 0
		.amdhsa_user_sgpr_kernarg_segment_ptr 1
		.amdhsa_user_sgpr_dispatch_id 0
		.amdhsa_user_sgpr_private_segment_size 0
		.amdhsa_wavefront_size32 1
		.amdhsa_uses_dynamic_stack 0
		.amdhsa_enable_private_segment 0
		.amdhsa_system_sgpr_workgroup_id_x 1
		.amdhsa_system_sgpr_workgroup_id_y 1
		.amdhsa_system_sgpr_workgroup_id_z 1
		.amdhsa_system_sgpr_workgroup_info 0
		.amdhsa_system_vgpr_workitem_id 0
		.amdhsa_next_free_vgpr 124
		.amdhsa_next_free_sgpr 40
		.amdhsa_reserve_vcc 1
		.amdhsa_float_round_mode_32 0
		.amdhsa_float_round_mode_16_64 0
		.amdhsa_float_denorm_mode_32 3
		.amdhsa_float_denorm_mode_16_64 3
		.amdhsa_dx10_clamp 1
		.amdhsa_ieee_mode 1
		.amdhsa_fp16_overflow 0
		.amdhsa_workgroup_processor_mode 1
		.amdhsa_memory_ordered 1
		.amdhsa_forward_progress 0
		.amdhsa_shared_vgpr_count 0
		.amdhsa_exception_fp_ieee_invalid_op 0
		.amdhsa_exception_fp_denorm_src 0
		.amdhsa_exception_fp_ieee_div_zero 0
		.amdhsa_exception_fp_ieee_overflow 0
		.amdhsa_exception_fp_ieee_underflow 0
		.amdhsa_exception_fp_ieee_inexact 0
		.amdhsa_exception_int_div_zero 0
	.end_amdhsa_kernel
	.section	.text._Z39paged_attention_ll4mi_QKV_mfma16_kernelI14__hip_bfloat16hLN4vllm18Fp8KVCacheDataTypeE1EhLi16ELi64ELi256ELb1ELi7EL8MFMAType0EEvPKT_PKT0_S9_ifPKiSB_SB_iPKfiiiPfSE_PS4_PT2_iSD_SD_,"axG",@progbits,_Z39paged_attention_ll4mi_QKV_mfma16_kernelI14__hip_bfloat16hLN4vllm18Fp8KVCacheDataTypeE1EhLi16ELi64ELi256ELb1ELi7EL8MFMAType0EEvPKT_PKT0_S9_ifPKiSB_SB_iPKfiiiPfSE_PS4_PT2_iSD_SD_,comdat
.Lfunc_end1668:
	.size	_Z39paged_attention_ll4mi_QKV_mfma16_kernelI14__hip_bfloat16hLN4vllm18Fp8KVCacheDataTypeE1EhLi16ELi64ELi256ELb1ELi7EL8MFMAType0EEvPKT_PKT0_S9_ifPKiSB_SB_iPKfiiiPfSE_PS4_PT2_iSD_SD_, .Lfunc_end1668-_Z39paged_attention_ll4mi_QKV_mfma16_kernelI14__hip_bfloat16hLN4vllm18Fp8KVCacheDataTypeE1EhLi16ELi64ELi256ELb1ELi7EL8MFMAType0EEvPKT_PKT0_S9_ifPKiSB_SB_iPKfiiiPfSE_PS4_PT2_iSD_SD_
                                        ; -- End function
	.section	.AMDGPU.csdata,"",@progbits
; Kernel info:
; codeLenInByte = 8804
; NumSgprs: 42
; NumVgprs: 124
; ScratchSize: 0
; MemoryBound: 0
; FloatMode: 240
; IeeeMode: 1
; LDSByteSize: 17472 bytes/workgroup (compile time only)
; SGPRBlocks: 5
; VGPRBlocks: 15
; NumSGPRsForWavesPerEU: 42
; NumVGPRsForWavesPerEU: 124
; Occupancy: 10
; WaveLimiterHint : 1
; COMPUTE_PGM_RSRC2:SCRATCH_EN: 0
; COMPUTE_PGM_RSRC2:USER_SGPR: 13
; COMPUTE_PGM_RSRC2:TRAP_HANDLER: 0
; COMPUTE_PGM_RSRC2:TGID_X_EN: 1
; COMPUTE_PGM_RSRC2:TGID_Y_EN: 1
; COMPUTE_PGM_RSRC2:TGID_Z_EN: 1
; COMPUTE_PGM_RSRC2:TIDIG_COMP_CNT: 0
	.section	.text._Z39paged_attention_ll4mi_QKV_mfma16_kernelI14__hip_bfloat16hLN4vllm18Fp8KVCacheDataTypeE1EhLi16ELi64ELi256ELb1ELi8EL8MFMAType0EEvPKT_PKT0_S9_ifPKiSB_SB_iPKfiiiPfSE_PS4_PT2_iSD_SD_,"axG",@progbits,_Z39paged_attention_ll4mi_QKV_mfma16_kernelI14__hip_bfloat16hLN4vllm18Fp8KVCacheDataTypeE1EhLi16ELi64ELi256ELb1ELi8EL8MFMAType0EEvPKT_PKT0_S9_ifPKiSB_SB_iPKfiiiPfSE_PS4_PT2_iSD_SD_,comdat
	.protected	_Z39paged_attention_ll4mi_QKV_mfma16_kernelI14__hip_bfloat16hLN4vllm18Fp8KVCacheDataTypeE1EhLi16ELi64ELi256ELb1ELi8EL8MFMAType0EEvPKT_PKT0_S9_ifPKiSB_SB_iPKfiiiPfSE_PS4_PT2_iSD_SD_ ; -- Begin function _Z39paged_attention_ll4mi_QKV_mfma16_kernelI14__hip_bfloat16hLN4vllm18Fp8KVCacheDataTypeE1EhLi16ELi64ELi256ELb1ELi8EL8MFMAType0EEvPKT_PKT0_S9_ifPKiSB_SB_iPKfiiiPfSE_PS4_PT2_iSD_SD_
	.globl	_Z39paged_attention_ll4mi_QKV_mfma16_kernelI14__hip_bfloat16hLN4vllm18Fp8KVCacheDataTypeE1EhLi16ELi64ELi256ELb1ELi8EL8MFMAType0EEvPKT_PKT0_S9_ifPKiSB_SB_iPKfiiiPfSE_PS4_PT2_iSD_SD_
	.p2align	8
	.type	_Z39paged_attention_ll4mi_QKV_mfma16_kernelI14__hip_bfloat16hLN4vllm18Fp8KVCacheDataTypeE1EhLi16ELi64ELi256ELb1ELi8EL8MFMAType0EEvPKT_PKT0_S9_ifPKiSB_SB_iPKfiiiPfSE_PS4_PT2_iSD_SD_,@function
_Z39paged_attention_ll4mi_QKV_mfma16_kernelI14__hip_bfloat16hLN4vllm18Fp8KVCacheDataTypeE1EhLi16ELi64ELi256ELb1ELi8EL8MFMAType0EEvPKT_PKT0_S9_ifPKiSB_SB_iPKfiiiPfSE_PS4_PT2_iSD_SD_: ; @_Z39paged_attention_ll4mi_QKV_mfma16_kernelI14__hip_bfloat16hLN4vllm18Fp8KVCacheDataTypeE1EhLi16ELi64ELi256ELb1ELi8EL8MFMAType0EEvPKT_PKT0_S9_ifPKiSB_SB_iPKfiiiPfSE_PS4_PT2_iSD_SD_
; %bb.0:
	s_load_b64 s[2:3], s[0:1], 0x30
	s_mov_b32 s30, s13
	s_waitcnt lgkmcnt(0)
	s_cmp_lg_u64 s[2:3], 0
	s_cselect_b32 s8, -1, 0
	s_ashr_i32 s31, s13, 31
	s_cmp_eq_u64 s[2:3], 0
	s_cbranch_scc1 .LBB1669_3
; %bb.1:
	s_lshl_b64 s[4:5], s[30:31], 2
	s_delay_alu instid0(SALU_CYCLE_1) | instskip(SKIP_4) | instid1(SALU_CYCLE_1)
	s_add_u32 s4, s2, s4
	s_addc_u32 s5, s3, s5
	s_load_b64 s[4:5], s[4:5], 0x0
	s_waitcnt lgkmcnt(0)
	s_sub_i32 s4, s5, s4
	s_cmp_eq_u32 s4, 1
	s_cselect_b32 s4, -1, 0
	s_delay_alu instid0(SALU_CYCLE_1)
	s_and_not1_b32 vcc_lo, exec_lo, s4
	s_cbranch_vccz .LBB1669_4
.LBB1669_2:
	s_endpgm
.LBB1669_3:
.LBB1669_4:
	s_load_b64 s[4:5], s[0:1], 0x28
	s_lshl_b64 s[6:7], s[30:31], 2
	s_waitcnt lgkmcnt(0)
	s_add_u32 s4, s4, s6
	s_addc_u32 s5, s5, s7
	s_lshl_b32 s12, s14, 8
	s_load_b32 s24, s[4:5], 0x0
	s_waitcnt lgkmcnt(0)
	s_cmp_ge_i32 s12, s24
	s_cbranch_scc1 .LBB1669_2
; %bb.5:
	s_clause 0x1
	s_load_b128 s[20:23], s[0:1], 0x8
	s_load_b64 s[4:5], s[0:1], 0x20
	s_and_not1_b32 vcc_lo, exec_lo, s8
	s_cbranch_vccnz .LBB1669_7
; %bb.6:
	s_add_u32 s2, s2, s6
	s_addc_u32 s3, s3, s7
	s_load_b32 s3, s[2:3], 0x0
	s_branch .LBB1669_8
.LBB1669_7:
	s_mov_b32 s3, s30
.LBB1669_8:
	s_load_b128 s[16:19], s[0:1], 0x48
	v_and_b32_e32 v66, 15, v0
	v_cmp_gt_u32_e32 vcc_lo, 0x80, v0
	v_lshrrev_b32_e32 v65, 5, v0
	v_and_b32_e32 v67, 31, v0
	v_and_b32_e32 v74, 1, v0
	v_lshlrev_b32_e32 v1, 3, v66
	v_cmp_gt_u32_e64 s2, 8, v66
	v_bfe_u32 v75, v0, 4, 1
	s_lshl_b32 s31, s15, 3
	s_delay_alu instid0(VALU_DEP_3) | instskip(NEXT) | instid1(VALU_DEP_3)
	v_lshlrev_b32_e32 v73, 1, v1
	s_and_b32 s7, vcc_lo, s2
	s_delay_alu instid0(SALU_CYCLE_1)
	s_and_saveexec_b32 s6, s7
	s_cbranch_execz .LBB1669_10
; %bb.9:
	v_lshl_or_b32 v5, v65, 1, v75
	s_load_b64 s[8:9], s[0:1], 0x0
	s_waitcnt lgkmcnt(0)
	s_mul_hi_i32 s11, s3, s16
	s_mul_i32 s10, s3, s16
	v_lshlrev_b32_e32 v6, 10, v66
	v_or_b32_e32 v1, s31, v5
	s_lshl_b64 s[10:11], s[10:11], 1
	v_lshlrev_b32_e32 v5, 6, v5
	v_lshlrev_b32_e32 v7, 10, v74
	v_and_b32_e32 v6, 0x3800, v6
	v_lshlrev_b32_e32 v1, 6, v1
	s_delay_alu instid0(VALU_DEP_2) | instskip(NEXT) | instid1(VALU_DEP_2)
	v_or3_b32 v5, v6, v7, v5
	v_ashrrev_i32_e32 v2, 31, v1
	s_delay_alu instid0(VALU_DEP_1) | instskip(SKIP_2) | instid1(VALU_DEP_1)
	v_lshlrev_b64 v[1:2], 1, v[1:2]
	s_add_u32 s3, s8, s10
	s_addc_u32 s7, s9, s11
	v_add_co_u32 v1, vcc_lo, s3, v1
	s_delay_alu instid0(VALU_DEP_2) | instskip(NEXT) | instid1(VALU_DEP_2)
	v_add_co_ci_u32_e32 v2, vcc_lo, s7, v2, vcc_lo
	v_add_co_u32 v1, vcc_lo, v1, v73
	s_delay_alu instid0(VALU_DEP_2)
	v_add_co_ci_u32_e32 v2, vcc_lo, 0, v2, vcc_lo
	global_load_b128 v[1:4], v[1:2], off
	s_waitcnt vmcnt(0)
	ds_store_b128 v5, v[1:4]
.LBB1669_10:
	s_or_b32 exec_lo, exec_lo, s6
	v_and_b32_e32 v1, 0xef, v0
	s_waitcnt lgkmcnt(0)
	s_add_i32 s3, s24, 15
	s_clause 0x1
	s_load_b32 s6, s[0:1], 0x38
	s_load_b32 s19, s[0:1], 0x1c
	s_ashr_i32 s7, s3, 31
	v_add_nc_u32_e32 v1, s12, v1
	s_lshr_b32 s7, s7, 28
	s_waitcnt lgkmcnt(0)
	s_add_i32 s3, s3, s7
	s_barrier
	v_ashrrev_i32_e32 v2, 31, v1
	v_or_b32_e32 v3, 16, v1
	s_ashr_i32 s3, s3, 4
	v_cmp_gt_i32_e32 vcc_lo, s24, v1
	s_add_i32 s3, s3, -1
	v_lshrrev_b32_e32 v2, 28, v2
	buffer_gl0_inv
	s_mul_i32 s27, s15, s18
	v_add_nc_u32_e32 v4, v1, v2
	s_mul_i32 s6, s30, s6
	s_delay_alu instid0(SALU_CYCLE_1) | instskip(NEXT) | instid1(VALU_DEP_1)
	s_ashr_i32 s7, s6, 31
	v_ashrrev_i32_e32 v4, 4, v4
	v_add_nc_u32_e32 v2, v3, v2
	s_lshl_b64 s[6:7], s[6:7], 2
	s_delay_alu instid0(SALU_CYCLE_1) | instskip(NEXT) | instid1(VALU_DEP_2)
	s_add_u32 s26, s4, s6
	v_cndmask_b32_e32 v1, s3, v4, vcc_lo
	s_delay_alu instid0(VALU_DEP_2)
	v_ashrrev_i32_e32 v2, 4, v2
	v_cmp_gt_i32_e32 vcc_lo, s24, v3
	s_addc_u32 s25, s5, s7
	s_ashr_i32 s28, s27, 31
	s_add_u32 s13, s20, s27
	s_addc_u32 s15, s21, s28
	v_cndmask_b32_e32 v3, s3, v2, vcc_lo
	v_ashrrev_i32_e32 v2, 31, v1
	s_lshl_b32 s4, s14, 4
	s_delay_alu instid0(SALU_CYCLE_1) | instskip(NEXT) | instid1(VALU_DEP_2)
	s_ashr_i32 s5, s4, 31
	v_ashrrev_i32_e32 v4, 31, v3
	s_delay_alu instid0(VALU_DEP_2) | instskip(SKIP_1) | instid1(SALU_CYCLE_1)
	v_lshlrev_b64 v[1:2], 2, v[1:2]
	s_lshl_b64 s[4:5], s[4:5], 2
	s_add_u32 s4, s26, s4
	s_delay_alu instid0(VALU_DEP_2) | instskip(SKIP_1) | instid1(VALU_DEP_2)
	v_lshlrev_b64 v[3:4], 2, v[3:4]
	s_addc_u32 s5, s25, s5
	v_add_co_u32 v1, vcc_lo, s26, v1
	v_add_co_ci_u32_e32 v2, vcc_lo, s25, v2, vcc_lo
	s_delay_alu instid0(VALU_DEP_3) | instskip(NEXT) | instid1(VALU_DEP_4)
	v_add_co_u32 v3, vcc_lo, s26, v3
	v_add_co_ci_u32_e32 v4, vcc_lo, s25, v4, vcc_lo
	s_clause 0x1
	global_load_b32 v5, v[1:2], off
	global_load_b32 v7, v[3:4], off
	s_or_b32 s6, s12, 32
	v_lshlrev_b32_e32 v1, 4, v0
	s_ashr_i32 s7, s6, 4
	s_cmp_lt_i32 s6, s24
	s_cselect_b32 s6, s7, s3
	s_delay_alu instid0(VALU_DEP_1) | instskip(SKIP_1) | instid1(SALU_CYCLE_1)
	v_and_b32_e32 v1, 0xf0, v1
	s_ashr_i32 s7, s6, 31
	s_lshl_b64 s[6:7], s[6:7], 2
	s_delay_alu instid0(SALU_CYCLE_1)
	s_add_u32 s6, s26, s6
	s_addc_u32 s7, s25, s7
	s_or_b32 s8, s12, 64
	v_add_co_u32 v1, s13, s13, v1
	s_ashr_i32 s9, s8, 4
	s_cmp_lt_i32 s8, s24
	v_add_co_ci_u32_e64 v2, null, s15, 0, s13
	s_cselect_b32 s8, s9, s3
	s_delay_alu instid0(SALU_CYCLE_1) | instskip(NEXT) | instid1(SALU_CYCLE_1)
	s_ashr_i32 s9, s8, 31
	s_lshl_b64 s[8:9], s[8:9], 2
	s_delay_alu instid0(SALU_CYCLE_1) | instskip(SKIP_2) | instid1(SALU_CYCLE_1)
	s_add_u32 s8, s26, s8
	s_addc_u32 s9, s25, s9
	s_or_b32 s10, s12, 0x60
	s_ashr_i32 s11, s10, 4
	s_cmp_lt_i32 s10, s24
	s_cselect_b32 s10, s11, s3
	s_delay_alu instid0(SALU_CYCLE_1) | instskip(NEXT) | instid1(SALU_CYCLE_1)
	s_ashr_i32 s11, s10, 31
	s_lshl_b64 s[10:11], s[10:11], 2
	s_delay_alu instid0(SALU_CYCLE_1) | instskip(SKIP_2) | instid1(SALU_CYCLE_1)
	s_add_u32 s10, s26, s10
	s_addc_u32 s11, s25, s11
	s_or_b32 s16, s12, 0x80
	s_ashr_i32 s18, s16, 4
	s_cmp_lt_i32 s16, s24
	;; [unrolled: 10-line block ×3, first 2 shown]
	s_cselect_b32 s20, s18, s3
	s_delay_alu instid0(SALU_CYCLE_1) | instskip(NEXT) | instid1(SALU_CYCLE_1)
	s_ashr_i32 s21, s20, 31
	s_lshl_b64 s[20:21], s[20:21], 2
	s_delay_alu instid0(SALU_CYCLE_1)
	s_add_u32 s36, s26, s20
	s_addc_u32 s37, s25, s21
	s_clause 0x5
	s_load_b32 s21, s[4:5], 0x0
	s_load_b32 s13, s[6:7], 0x0
	;; [unrolled: 1-line block ×6, first 2 shown]
	s_or_b32 s7, s12, 0xc0
	s_mov_b32 s4, 0
	s_ashr_i32 s8, s7, 4
	s_cmp_lt_i32 s7, s24
	s_mov_b32 s5, s4
	s_cselect_b32 s10, s8, s3
	s_mov_b32 s6, s4
	s_ashr_i32 s11, s10, 31
	s_mov_b32 s7, s4
	s_lshl_b64 s[34:35], s[10:11], 2
	s_mov_b32 s11, s4
	s_add_u32 s34, s26, s34
	s_addc_u32 s35, s25, s35
	s_or_b32 s29, s12, 0xe0
	s_mov_b32 s8, s4
	s_ashr_i32 s33, s29, 4
	s_mov_b32 s9, s4
	s_mov_b32 s10, s4
	s_cmp_lt_i32 s29, s24
	v_dual_mov_b32 v107, s11 :: v_dual_mov_b32 v100, s4
	v_mov_b32_e32 v106, s10
	v_dual_mov_b32 v104, s8 :: v_dual_mov_b32 v103, s7
	v_dual_mov_b32 v102, s6 :: v_dual_mov_b32 v101, s5
	v_mov_b32_e32 v105, s9
	s_cselect_b32 s4, s33, s3
	s_delay_alu instid0(SALU_CYCLE_1) | instskip(NEXT) | instid1(SALU_CYCLE_1)
	s_ashr_i32 s5, s4, 31
	s_lshl_b64 s[4:5], s[4:5], 2
	s_delay_alu instid0(SALU_CYCLE_1)
	s_add_u32 s4, s26, s4
	s_addc_u32 s5, s25, s5
	s_add_u32 s6, s22, s27
	s_addc_u32 s7, s23, s28
	s_waitcnt vmcnt(1)
	v_mad_i64_i32 v[3:4], null, v5, s17, v[1:2]
	s_waitcnt vmcnt(0)
	v_mad_i64_i32 v[5:6], null, v7, s17, v[1:2]
	s_clause 0x7
	global_load_b128 v[49:52], v[3:4], off
	global_load_b128 v[53:56], v[3:4], off offset:256
	global_load_b128 v[76:79], v[5:6], off
	global_load_b128 v[80:83], v[5:6], off offset:256
	global_load_b128 v[84:87], v[3:4], off offset:512
	;; [unrolled: 1-line block ×5, first 2 shown]
	v_and_b32_e32 v1, 7, v0
	v_lshlrev_b32_e32 v2, 4, v66
	s_load_b32 s3, s[34:35], 0x0
	s_delay_alu instid0(VALU_DEP_2) | instskip(NEXT) | instid1(VALU_DEP_2)
	v_lshlrev_b32_e32 v70, 6, v1
	v_lshl_or_b32 v1, v65, 8, v2
	ds_load_b128 v[108:111], v70
	ds_load_b128 v[112:115], v70 offset:1024
	s_load_b32 s4, s[4:5], 0x0
	v_add_co_u32 v9, s6, s6, v1
	s_delay_alu instid0(VALU_DEP_1) | instskip(SKIP_1) | instid1(VALU_DEP_1)
	v_add_co_ci_u32_e64 v10, null, s7, 0, s6
	s_waitcnt lgkmcnt(0)
	v_mad_i64_i32 v[1:2], null, s21, s17, v[9:10]
	v_mad_i64_i32 v[3:4], null, s13, s17, v[9:10]
	v_mad_i64_i32 v[5:6], null, s15, s17, v[9:10]
	v_mad_i64_i32 v[7:8], null, s16, s17, v[9:10]
	v_mad_i64_i32 v[13:14], null, s20, s17, v[9:10]
	v_mad_i64_i32 v[11:12], null, s18, s17, v[9:10]
	v_mad_i64_i32 v[21:22], null, s3, s17, v[9:10]
	s_clause 0x9
	global_load_b128 v[57:60], v[1:2], off
	global_load_b128 v[61:64], v[1:2], off offset:16
	global_load_b128 v[41:44], v[3:4], off
	global_load_b128 v[45:48], v[3:4], off offset:16
	;; [unrolled: 2-line block ×5, first 2 shown]
	v_mad_i64_i32 v[68:69], null, s4, s17, v[9:10]
	s_clause 0x3
	global_load_b128 v[9:12], v[13:14], off
	global_load_b128 v[13:16], v[13:14], off offset:16
	global_load_b128 v[17:20], v[21:22], off
	global_load_b128 v[21:24], v[21:22], off offset:16
	s_waitcnt vmcnt(20)
	v_wmma_f32_16x16x16_bf16 v[116:123], v[49:56], v[108:115], v[100:107]
	s_clause 0x1
	global_load_b128 v[49:52], v[68:69], off
	global_load_b128 v[53:56], v[68:69], off offset:16
	v_and_b32_e32 v68, 0xe0, v0
	v_mbcnt_lo_u32_b32 v69, -1, 0
	s_delay_alu instid0(VALU_DEP_2)
	v_add_nc_u32_e32 v68, s12, v68
	s_waitcnt vmcnt(20)
	v_wmma_f32_16x16x16_bf16 v[100:107], v[76:83], v[108:115], v[100:107]
	ds_load_b128 v[76:79], v70 offset:2048
	ds_load_b128 v[80:83], v70 offset:3072
	v_xor_b32_e32 v70, 16, v69
	s_waitcnt vmcnt(0) lgkmcnt(0)
	v_or_b32_e32 v68, v68, v75
	s_barrier
	buffer_gl0_inv
	v_cmp_gt_i32_e32 vcc_lo, 32, v70
	v_or_b32_e32 v71, 4, v68
	v_or_b32_e32 v72, 6, v68
	v_cmp_gt_i32_e64 s3, s24, v68
	v_or_b32_e32 v108, 8, v68
	v_or_b32_e32 v109, 10, v68
	v_cmp_gt_i32_e64 s4, s24, v71
	v_cmp_gt_i32_e64 s5, s24, v72
	s_delay_alu instid0(VALU_DEP_4) | instskip(NEXT) | instid1(VALU_DEP_4)
	v_cmp_gt_i32_e64 s6, s24, v108
	v_cmp_gt_i32_e64 s7, s24, v109
	v_wmma_f32_16x16x16_bf16 v[116:123], v[84:91], v[76:83], v[116:123]
	v_cndmask_b32_e32 v69, v69, v70, vcc_lo
	v_or_b32_e32 v70, 2, v68
	v_wmma_f32_16x16x16_bf16 v[100:107], v[92:99], v[76:83], v[100:107]
	v_or_b32_e32 v89, 22, v68
	v_dual_mul_f32 v80, s19, v121 :: v_dual_mul_f32 v81, s19, v120
	v_dual_mul_f32 v92, s19, v117 :: v_dual_mul_f32 v93, s19, v116
	s_delay_alu instid0(VALU_DEP_4)
	v_mul_f32_e32 v96, s19, v105
	v_cmp_gt_i32_e32 vcc_lo, s24, v70
	v_dual_mul_f32 v79, s19, v122 :: v_dual_mul_f32 v82, s19, v119
	v_dual_mul_f32 v83, s19, v118 :: v_dual_mul_f32 v94, s19, v107
	v_cndmask_b32_e64 v93, 0xff7fffff, v93, s3
	v_cndmask_b32_e32 v92, 0xff7fffff, v92, vcc_lo
	v_or_b32_e32 v84, 12, v68
	v_or_b32_e32 v85, 14, v68
	v_cndmask_b32_e64 v71, 0xff7fffff, v83, s4
	v_cndmask_b32_e64 v72, 0xff7fffff, v82, s5
	v_cmp_gt_i32_e64 s13, s24, v89
	v_lshlrev_b32_e32 v89, 2, v69
	v_max3_f32 v82, v93, 0xff7fffff, v92
	v_or_b32_e32 v86, 16, v68
	v_or_b32_e32 v87, 18, v68
	v_mul_f32_e32 v78, s19, v123
	v_cndmask_b32_e64 v81, 0xff7fffff, v81, s6
	v_cndmask_b32_e64 v80, 0xff7fffff, v80, s7
	v_max3_f32 v71, v82, v71, v72
	v_cmp_gt_i32_e64 s8, s24, v84
	v_cmp_gt_i32_e64 s9, s24, v85
	v_or_b32_e32 v88, 20, v68
	v_or_b32_e32 v90, 24, v68
	;; [unrolled: 1-line block ×5, first 2 shown]
	v_dual_mul_f32 v97, s19, v104 :: v_dual_mul_f32 v70, s19, v101
	v_dual_mul_f32 v99, s19, v102 :: v_dual_mul_f32 v68, s19, v100
	v_cndmask_b32_e64 v72, 0xff7fffff, v79, s8
	v_cndmask_b32_e64 v78, 0xff7fffff, v78, s9
	v_max3_f32 v71, v71, v81, v80
	v_cmp_gt_i32_e64 s10, s24, v86
	v_cmp_gt_i32_e64 s11, s24, v87
	v_dual_mul_f32 v95, s19, v106 :: v_dual_mul_f32 v98, s19, v103
	s_delay_alu instid0(VALU_DEP_4) | instskip(NEXT) | instid1(VALU_DEP_4)
	v_max3_f32 v71, v71, v72, v78
	v_cndmask_b32_e64 v68, 0xff7fffff, v68, s10
	s_delay_alu instid0(VALU_DEP_4)
	v_cndmask_b32_e64 v70, 0xff7fffff, v70, s11
	v_cmp_gt_i32_e64 s12, s24, v88
	v_cndmask_b32_e64 v78, 0xff7fffff, v98, s13
	v_cmp_gt_i32_e64 s15, s24, v90
	v_cmp_gt_i32_e64 s16, s24, v91
	v_max3_f32 v68, v71, v68, v70
	v_cndmask_b32_e64 v72, 0xff7fffff, v99, s12
	v_cmp_gt_i32_e64 s17, s24, v76
	v_cndmask_b32_e64 v70, 0xff7fffff, v97, s15
	v_cndmask_b32_e64 v71, 0xff7fffff, v96, s16
	v_cmp_gt_i32_e64 s18, s24, v77
	v_max3_f32 v68, v68, v72, v78
	v_cndmask_b32_e64 v72, 0xff7fffff, v95, s17
	s_delay_alu instid0(VALU_DEP_3) | instskip(NEXT) | instid1(VALU_DEP_3)
	v_cndmask_b32_e64 v76, 0xff7fffff, v94, s18
	v_max3_f32 v68, v68, v70, v71
	s_delay_alu instid0(VALU_DEP_1) | instskip(SKIP_3) | instid1(VALU_DEP_1)
	v_max3_f32 v68, v68, v72, v76
	ds_bpermute_b32 v69, v89, v68
	s_waitcnt lgkmcnt(0)
	v_max_f32_e32 v69, v69, v69
	v_max_f32_e32 v68, v68, v69
	s_delay_alu instid0(VALU_DEP_1) | instskip(NEXT) | instid1(VALU_DEP_1)
	v_fma_f32 v71, s19, v118, -v68
	v_mul_f32_e32 v71, 0x3fb8aa3b, v71
	v_fma_f32 v70, s19, v117, -v68
	v_fma_f32 v69, s19, v116, -v68
	v_fma_f32 v76, s19, v120, -v68
	v_fma_f32 v72, s19, v119, -v68
	v_fma_f32 v78, s19, v122, -v68
	s_delay_alu instid0(VALU_DEP_4) | instskip(SKIP_1) | instid1(VALU_DEP_3)
	v_dual_mul_f32 v70, 0x3fb8aa3b, v70 :: v_dual_mul_f32 v69, 0x3fb8aa3b, v69
	v_exp_f32_e32 v71, v71
	v_mul_f32_e32 v72, 0x3fb8aa3b, v72
	v_fma_f32 v81, s19, v105, -v68
	s_delay_alu instid0(VALU_DEP_3)
	v_exp_f32_e32 v70, v70
	v_mul_f32_e32 v77, 0x3fb8aa3b, v76
	v_exp_f32_e32 v69, v69
	v_exp_f32_e32 v72, v72
	v_mul_f32_e32 v81, 0x3fb8aa3b, v81
	v_cndmask_b32_e64 v83, 0, v71, s4
	v_fma_f32 v71, s19, v123, -v68
	s_delay_alu instid0(VALU_DEP_3) | instskip(SKIP_4) | instid1(TRANS32_DEP_3)
	v_exp_f32_e32 v81, v81
	v_cndmask_b32_e32 v76, 0, v70, vcc_lo
	v_exp_f32_e32 v77, v77
	v_cndmask_b32_e64 v80, 0, v69, s3
	v_fma_f32 v69, s19, v121, -v68
	v_cndmask_b32_e64 v85, 0, v72, s5
	v_mul_f32_e32 v71, 0x3fb8aa3b, v71
	v_fma_f32 v72, s19, v100, -v68
	s_delay_alu instid0(VALU_DEP_4) | instskip(SKIP_1) | instid1(VALU_DEP_3)
	v_dual_add_f32 v70, 0, v80 :: v_dual_mul_f32 v69, 0x3fb8aa3b, v69
	s_mov_b32 s3, exec_lo
	v_exp_f32_e32 v71, v71
	s_delay_alu instid0(TRANS32_DEP_2) | instskip(SKIP_4) | instid1(VALU_DEP_3)
	v_cndmask_b32_e64 v86, 0, v77, s6
	v_fma_f32 v77, s19, v101, -v68
	v_mul_f32_e32 v78, 0x3fb8aa3b, v78
	v_add_f32_e32 v70, v70, v76
	v_exp_f32_e32 v69, v69
	v_mul_f32_e32 v77, 0x3fb8aa3b, v77
	s_delay_alu instid0(VALU_DEP_3) | instskip(NEXT) | instid1(TRANS32_DEP_3)
	v_exp_f32_e32 v78, v78
	v_cndmask_b32_e64 v88, 0, v71, s9
	v_fma_f32 v71, s19, v104, -v68
	s_delay_alu instid0(VALU_DEP_3) | instskip(NEXT) | instid1(TRANS32_DEP_3)
	v_exp_f32_e32 v77, v77
	v_cndmask_b32_e64 v87, 0, v69, s7
	s_delay_alu instid0(VALU_DEP_2)
	v_mul_f32_e32 v71, 0x3fb8aa3b, v71
	s_waitcnt_depctr 0xfff
	v_cndmask_b32_e64 v84, 0, v78, s8
	v_add_f32_e32 v70, v70, v83
	v_fma_f32 v78, s19, v103, -v68
	v_exp_f32_e32 v82, v71
	s_delay_alu instid0(VALU_DEP_2) | instskip(SKIP_1) | instid1(VALU_DEP_3)
	v_add_f32_e32 v70, v70, v85
	v_mul_f32_e32 v72, 0x3fb8aa3b, v72
	v_mul_f32_e32 v78, 0x3fb8aa3b, v78
	s_delay_alu instid0(VALU_DEP_3) | instskip(SKIP_1) | instid1(VALU_DEP_4)
	v_add_f32_e32 v69, v70, v86
	v_fma_f32 v70, s19, v102, -v68
	v_exp_f32_e32 v72, v72
	s_delay_alu instid0(VALU_DEP_3) | instskip(NEXT) | instid1(VALU_DEP_1)
	v_exp_f32_e32 v78, v78
	v_dual_add_f32 v69, v69, v87 :: v_dual_mul_f32 v70, 0x3fb8aa3b, v70
	s_delay_alu instid0(VALU_DEP_1) | instskip(NEXT) | instid1(VALU_DEP_2)
	v_add_f32_e32 v69, v69, v84
	v_exp_f32_e32 v79, v70
	s_delay_alu instid0(TRANS32_DEP_3) | instskip(NEXT) | instid1(VALU_DEP_2)
	v_cndmask_b32_e64 v70, 0, v72, s10
	v_add_f32_e32 v72, v69, v88
	v_cndmask_b32_e64 v69, 0, v77, s11
	v_fma_f32 v77, s19, v106, -v68
	s_waitcnt_depctr 0xfff
	v_cndmask_b32_e64 v71, 0, v79, s12
	v_dual_mul_f32 v77, 0x3fb8aa3b, v77 :: v_dual_add_f32 v72, v72, v70
	s_delay_alu instid0(VALU_DEP_1) | instskip(NEXT) | instid1(VALU_DEP_1)
	v_exp_f32_e32 v90, v77
	v_add_f32_e32 v79, v72, v69
	v_cndmask_b32_e64 v72, 0, v78, s13
	v_cndmask_b32_e64 v77, 0, v82, s15
	s_delay_alu instid0(VALU_DEP_3) | instskip(SKIP_1) | instid1(VALU_DEP_1)
	v_add_f32_e32 v78, v79, v71
	v_fma_f32 v79, s19, v107, -v68
	v_dual_add_f32 v82, v78, v72 :: v_dual_mul_f32 v79, 0x3fb8aa3b, v79
	v_cndmask_b32_e64 v78, 0, v81, s16
	s_delay_alu instid0(VALU_DEP_2) | instskip(NEXT) | instid1(VALU_DEP_3)
	v_add_f32_e32 v81, v82, v77
	v_exp_f32_e32 v82, v79
	v_cndmask_b32_e64 v79, 0, v90, s17
	s_delay_alu instid0(VALU_DEP_2) | instskip(NEXT) | instid1(VALU_DEP_1)
	v_add_f32_e32 v81, v81, v78
	v_add_f32_e32 v90, v81, v79
	s_waitcnt_depctr 0xfff
	v_cndmask_b32_e64 v81, 0, v82, s18
	s_delay_alu instid0(VALU_DEP_1)
	v_add_f32_e32 v82, v90, v81
	ds_bpermute_b32 v89, v89, v82
	v_cmpx_gt_u32_e32 16, v67
	s_cbranch_execz .LBB1669_12
; %bb.11:
	v_mul_u32_u24_e32 v67, 0x44, v65
	s_delay_alu instid0(VALU_DEP_1) | instskip(SKIP_1) | instid1(VALU_DEP_1)
	v_lshl_add_u32 v67, v66, 2, v67
	s_waitcnt lgkmcnt(0)
	v_dual_add_f32 v82, v82, v89 :: v_dual_add_nc_u32 v67, 0x4000, v67
	ds_store_2addr_b32 v67, v68, v82 offset1:136
.LBB1669_12:
	s_or_b32 exec_lo, exec_lo, s3
	v_lshlrev_b32_e32 v67, 2, v66
	s_waitcnt lgkmcnt(0)
	s_barrier
	buffer_gl0_inv
	v_cmp_eq_u32_e32 vcc_lo, 1, v65
	v_add_nc_u32_e32 v82, 0x4000, v67
	v_cmp_eq_u32_e64 s3, 2, v65
	v_cmp_eq_u32_e64 s5, 7, v65
	ds_load_2addr_b32 v[89:90], v82 offset1:17
	ds_load_2addr_b32 v[91:92], v82 offset0:34 offset1:51
	ds_load_2addr_b32 v[93:94], v82 offset0:68 offset1:85
	;; [unrolled: 1-line block ×4, first 2 shown]
	s_waitcnt lgkmcnt(4)
	v_max3_f32 v67, v89, 0xff7fffff, v90
	s_waitcnt lgkmcnt(3)
	s_delay_alu instid0(VALU_DEP_1) | instskip(SKIP_1) | instid1(VALU_DEP_1)
	v_max3_f32 v67, v67, v91, v92
	s_waitcnt lgkmcnt(2)
	v_max3_f32 v67, v67, v93, v94
	s_waitcnt lgkmcnt(1)
	s_delay_alu instid0(VALU_DEP_1) | instskip(NEXT) | instid1(VALU_DEP_1)
	v_max3_f32 v67, v67, v95, v96
	v_sub_f32_e32 v93, v93, v67
	s_delay_alu instid0(VALU_DEP_1) | instskip(NEXT) | instid1(VALU_DEP_1)
	v_dual_sub_f32 v68, v89, v67 :: v_dual_mul_f32 v103, 0x3fb8aa3b, v93
	v_mul_f32_e32 v68, 0x3fb8aa3b, v68
	s_delay_alu instid0(VALU_DEP_1)
	v_exp_f32_e32 v100, v68
	v_sub_f32_e32 v68, v92, v67
	v_sub_f32_e32 v99, v90, v67
	ds_load_2addr_b32 v[89:90], v82 offset0:170 offset1:187
	v_dual_mul_f32 v102, 0x3fb8aa3b, v68 :: v_dual_mul_f32 v99, 0x3fb8aa3b, v99
	s_waitcnt lgkmcnt(1)
	v_fma_f32 v68, v100, v97, 0
	s_delay_alu instid0(VALU_DEP_2) | instskip(NEXT) | instid1(VALU_DEP_2)
	v_exp_f32_e32 v102, v102
	v_exp_f32_e32 v99, v99
	s_waitcnt_depctr 0xfff
	v_fmac_f32_e32 v68, v99, v98
	v_sub_f32_e32 v91, v91, v67
	s_delay_alu instid0(VALU_DEP_1)
	v_mul_f32_e32 v101, 0x3fb8aa3b, v91
	ds_load_2addr_b32 v[91:92], v82 offset0:204 offset1:221
	v_sub_f32_e32 v97, v94, v67
	ds_load_2addr_b32 v[93:94], v82 offset0:238 offset1:255
	s_waitcnt lgkmcnt(0)
	v_exp_f32_e32 v101, v101
	s_barrier
	buffer_gl0_inv
	v_dual_fmac_f32 v68, v101, v89 :: v_dual_sub_f32 v89, v96, v67
	v_dual_sub_f32 v82, v95, v67 :: v_dual_mul_f32 v95, 0x3fb8aa3b, v97
	v_exp_f32_e32 v97, v103
	s_delay_alu instid0(VALU_DEP_2) | instskip(NEXT) | instid1(VALU_DEP_2)
	v_dual_fmac_f32 v68, v102, v90 :: v_dual_mul_f32 v89, 0x3fb8aa3b, v89
	v_mul_f32_e32 v82, 0x3fb8aa3b, v82
	s_delay_alu instid0(VALU_DEP_3) | instskip(NEXT) | instid1(VALU_DEP_2)
	v_exp_f32_e32 v95, v95
	v_exp_f32_e32 v89, v89
	s_delay_alu instid0(VALU_DEP_1)
	v_exp_f32_e32 v82, v82
	v_fmac_f32_e32 v68, v97, v91
	s_delay_alu instid0(TRANS32_DEP_3) | instid1(VALU_DEP_1)
	v_fmac_f32_e32 v68, v95, v92
	s_waitcnt_depctr 0xfff
	v_fmac_f32_e32 v68, v82, v93
	s_delay_alu instid0(VALU_DEP_1) | instskip(NEXT) | instid1(VALU_DEP_1)
	v_fmac_f32_e32 v68, v89, v94
	v_add_f32_e32 v90, 0x358637bd, v68
	s_delay_alu instid0(VALU_DEP_1) | instskip(NEXT) | instid1(VALU_DEP_1)
	v_div_scale_f32 v91, null, v90, v90, 1.0
	v_rcp_f32_e32 v92, v91
	s_waitcnt_depctr 0xfff
	v_fma_f32 v93, -v91, v92, 1.0
	s_delay_alu instid0(VALU_DEP_1) | instskip(SKIP_1) | instid1(VALU_DEP_2)
	v_dual_fmac_f32 v92, v93, v92 :: v_dual_cndmask_b32 v93, v100, v99
	v_cmp_eq_u32_e32 vcc_lo, 3, v65
	v_cndmask_b32_e64 v93, v93, v101, s3
	v_cmp_eq_u32_e64 s3, 4, v65
	s_delay_alu instid0(VALU_DEP_2) | instskip(SKIP_1) | instid1(VALU_DEP_2)
	v_cndmask_b32_e32 v93, v93, v102, vcc_lo
	v_cmp_eq_u32_e32 vcc_lo, 5, v65
	v_cndmask_b32_e64 v93, v93, v97, s3
	v_cmp_eq_u32_e64 s3, 6, v65
	s_delay_alu instid0(VALU_DEP_2) | instskip(SKIP_1) | instid1(VALU_DEP_1)
	v_cndmask_b32_e32 v93, v93, v95, vcc_lo
	v_div_scale_f32 v94, s4, 1.0, v90, 1.0
	s_mov_b32 vcc_lo, s4
	s_delay_alu instid0(VALU_DEP_2) | instskip(NEXT) | instid1(VALU_DEP_2)
	v_cndmask_b32_e64 v82, v93, v82, s3
	v_mul_f32_e32 v96, v94, v92
	s_mov_b32 s3, exec_lo
	s_delay_alu instid0(VALU_DEP_2) | instskip(NEXT) | instid1(VALU_DEP_2)
	v_cndmask_b32_e64 v82, v82, v89, s5
	v_fma_f32 v98, -v91, v96, v94
	s_delay_alu instid0(VALU_DEP_1) | instskip(NEXT) | instid1(VALU_DEP_1)
	v_fmac_f32_e32 v96, v98, v92
	v_fma_f32 v91, -v91, v96, v94
	s_delay_alu instid0(VALU_DEP_1) | instskip(NEXT) | instid1(VALU_DEP_1)
	v_div_fmas_f32 v91, v91, v92, v96
	v_div_fixup_f32 v90, v91, v90, 1.0
	s_delay_alu instid0(VALU_DEP_1) | instskip(NEXT) | instid1(VALU_DEP_1)
	v_mul_f32_e32 v82, v82, v90
	v_mul_f32_e32 v87, v82, v87
	;; [unrolled: 1-line block ×7, first 2 shown]
	v_dual_mul_f32 v86, v82, v83 :: v_dual_and_b32 v91, 0x7f800000, v90
	v_mul_f32_e32 v85, v82, v76
                                        ; implicit-def: $vgpr76
	s_delay_alu instid0(VALU_DEP_2)
	v_cmpx_ne_u32_e32 0x7f800000, v91
	s_xor_b32 s3, exec_lo, s3
; %bb.13:
	v_bfe_u32 v76, v90, 16, 1
	s_delay_alu instid0(VALU_DEP_1)
	v_add3_u32 v76, v90, v76, 0x7fff
                                        ; implicit-def: $vgpr90
; %bb.14:
	s_and_not1_saveexec_b32 s3, s3
; %bb.15:
	v_and_b32_e32 v76, 0xffff, v90
	v_or_b32_e32 v83, 0x10000, v90
	s_delay_alu instid0(VALU_DEP_2) | instskip(NEXT) | instid1(VALU_DEP_2)
	v_cmp_eq_u32_e32 vcc_lo, 0, v76
	v_cndmask_b32_e32 v76, v83, v90, vcc_lo
; %bb.16:
	s_or_b32 exec_lo, exec_lo, s3
	v_and_b32_e32 v83, 0x7f800000, v85
	s_delay_alu instid0(VALU_DEP_1) | instskip(SKIP_1) | instid1(SALU_CYCLE_1)
	v_cmp_ne_u32_e32 vcc_lo, 0x7f800000, v83
                                        ; implicit-def: $vgpr83
	s_and_saveexec_b32 s3, vcc_lo
	s_xor_b32 s3, exec_lo, s3
; %bb.17:
	v_bfe_u32 v83, v85, 16, 1
	s_delay_alu instid0(VALU_DEP_1)
	v_add3_u32 v83, v85, v83, 0x7fff
                                        ; implicit-def: $vgpr85
; %bb.18:
	s_and_not1_saveexec_b32 s3, s3
; %bb.19:
	v_and_b32_e32 v83, 0xffff, v85
	v_or_b32_e32 v90, 0x10000, v85
	s_delay_alu instid0(VALU_DEP_2) | instskip(NEXT) | instid1(VALU_DEP_2)
	v_cmp_eq_u32_e32 vcc_lo, 0, v83
	v_cndmask_b32_e32 v83, v90, v85, vcc_lo
; %bb.20:
	s_or_b32 exec_lo, exec_lo, s3
	v_and_b32_e32 v85, 0x7f800000, v86
	s_delay_alu instid0(VALU_DEP_1) | instskip(SKIP_1) | instid1(SALU_CYCLE_1)
	v_cmp_ne_u32_e32 vcc_lo, 0x7f800000, v85
                                        ; implicit-def: $vgpr85
	s_and_saveexec_b32 s3, vcc_lo
	s_xor_b32 s3, exec_lo, s3
; %bb.21:
	v_bfe_u32 v85, v86, 16, 1
	s_delay_alu instid0(VALU_DEP_1)
	v_add3_u32 v85, v86, v85, 0x7fff
                                        ; implicit-def: $vgpr86
; %bb.22:
	s_and_not1_saveexec_b32 s3, s3
; %bb.23:
	v_and_b32_e32 v85, 0xffff, v86
	v_or_b32_e32 v90, 0x10000, v86
	s_delay_alu instid0(VALU_DEP_2) | instskip(NEXT) | instid1(VALU_DEP_2)
	v_cmp_eq_u32_e32 vcc_lo, 0, v85
	v_cndmask_b32_e32 v85, v90, v86, vcc_lo
; %bb.24:
	s_or_b32 exec_lo, exec_lo, s3
	v_and_b32_e32 v86, 0x7f800000, v89
	s_delay_alu instid0(VALU_DEP_1) | instskip(SKIP_1) | instid1(SALU_CYCLE_1)
	v_cmp_ne_u32_e32 vcc_lo, 0x7f800000, v86
                                        ; implicit-def: $vgpr86
	s_and_saveexec_b32 s3, vcc_lo
	s_xor_b32 s3, exec_lo, s3
; %bb.25:
	v_bfe_u32 v86, v89, 16, 1
	s_delay_alu instid0(VALU_DEP_1)
	v_add3_u32 v86, v89, v86, 0x7fff
                                        ; implicit-def: $vgpr89
; %bb.26:
	s_and_not1_saveexec_b32 s3, s3
; %bb.27:
	v_and_b32_e32 v86, 0xffff, v89
	v_or_b32_e32 v90, 0x10000, v89
	s_delay_alu instid0(VALU_DEP_2) | instskip(NEXT) | instid1(VALU_DEP_2)
	v_cmp_eq_u32_e32 vcc_lo, 0, v86
	v_cndmask_b32_e32 v86, v90, v89, vcc_lo
; %bb.28:
	s_or_b32 exec_lo, exec_lo, s3
	v_and_b32_e32 v89, 0x7f800000, v88
	s_delay_alu instid0(VALU_DEP_1) | instskip(SKIP_1) | instid1(SALU_CYCLE_1)
	v_cmp_ne_u32_e32 vcc_lo, 0x7f800000, v89
                                        ; implicit-def: $vgpr89
	s_and_saveexec_b32 s3, vcc_lo
	s_xor_b32 s3, exec_lo, s3
; %bb.29:
	v_bfe_u32 v89, v88, 16, 1
	s_delay_alu instid0(VALU_DEP_1)
	v_add3_u32 v89, v88, v89, 0x7fff
                                        ; implicit-def: $vgpr88
; %bb.30:
	s_and_not1_saveexec_b32 s3, s3
; %bb.31:
	v_and_b32_e32 v89, 0xffff, v88
	v_or_b32_e32 v90, 0x10000, v88
	s_delay_alu instid0(VALU_DEP_2) | instskip(NEXT) | instid1(VALU_DEP_2)
	v_cmp_eq_u32_e32 vcc_lo, 0, v89
	v_cndmask_b32_e32 v89, v90, v88, vcc_lo
; %bb.32:
	s_or_b32 exec_lo, exec_lo, s3
	v_and_b32_e32 v88, 0x7f800000, v87
	s_delay_alu instid0(VALU_DEP_1) | instskip(SKIP_1) | instid1(SALU_CYCLE_1)
	v_cmp_ne_u32_e32 vcc_lo, 0x7f800000, v88
                                        ; implicit-def: $vgpr88
	s_and_saveexec_b32 s3, vcc_lo
	s_xor_b32 s3, exec_lo, s3
; %bb.33:
	v_bfe_u32 v88, v87, 16, 1
	s_delay_alu instid0(VALU_DEP_1)
	v_add3_u32 v88, v87, v88, 0x7fff
                                        ; implicit-def: $vgpr87
; %bb.34:
	s_and_not1_saveexec_b32 s3, s3
; %bb.35:
	v_and_b32_e32 v88, 0xffff, v87
	v_or_b32_e32 v90, 0x10000, v87
	s_delay_alu instid0(VALU_DEP_2) | instskip(NEXT) | instid1(VALU_DEP_2)
	v_cmp_eq_u32_e32 vcc_lo, 0, v88
	v_cndmask_b32_e32 v88, v90, v87, vcc_lo
; %bb.36:
	s_or_b32 exec_lo, exec_lo, s3
	v_and_b32_e32 v87, 0x7f800000, v84
	s_delay_alu instid0(VALU_DEP_1) | instskip(SKIP_1) | instid1(SALU_CYCLE_1)
	v_cmp_ne_u32_e32 vcc_lo, 0x7f800000, v87
                                        ; implicit-def: $vgpr87
	s_and_saveexec_b32 s3, vcc_lo
	s_xor_b32 s3, exec_lo, s3
; %bb.37:
	v_bfe_u32 v87, v84, 16, 1
	s_delay_alu instid0(VALU_DEP_1)
	v_add3_u32 v87, v84, v87, 0x7fff
                                        ; implicit-def: $vgpr84
; %bb.38:
	s_and_not1_saveexec_b32 s3, s3
; %bb.39:
	v_and_b32_e32 v87, 0xffff, v84
	v_or_b32_e32 v90, 0x10000, v84
	s_delay_alu instid0(VALU_DEP_2) | instskip(NEXT) | instid1(VALU_DEP_2)
	v_cmp_eq_u32_e32 vcc_lo, 0, v87
	v_cndmask_b32_e32 v87, v90, v84, vcc_lo
; %bb.40:
	s_or_b32 exec_lo, exec_lo, s3
	v_and_b32_e32 v84, 0x7f800000, v80
	s_delay_alu instid0(VALU_DEP_1) | instskip(SKIP_1) | instid1(SALU_CYCLE_1)
	v_cmp_ne_u32_e32 vcc_lo, 0x7f800000, v84
                                        ; implicit-def: $vgpr84
	s_and_saveexec_b32 s3, vcc_lo
	s_xor_b32 s3, exec_lo, s3
; %bb.41:
	v_bfe_u32 v84, v80, 16, 1
	s_delay_alu instid0(VALU_DEP_1)
	v_add3_u32 v84, v80, v84, 0x7fff
                                        ; implicit-def: $vgpr80
; %bb.42:
	s_and_not1_saveexec_b32 s3, s3
; %bb.43:
	v_and_b32_e32 v84, 0xffff, v80
	v_or_b32_e32 v90, 0x10000, v80
	s_delay_alu instid0(VALU_DEP_2) | instskip(NEXT) | instid1(VALU_DEP_2)
	v_cmp_eq_u32_e32 vcc_lo, 0, v84
	v_cndmask_b32_e32 v84, v90, v80, vcc_lo
; %bb.44:
	s_or_b32 exec_lo, exec_lo, s3
	s_load_b64 s[34:35], s[0:1], 0x94
	v_lshlrev_b32_e32 v91, 4, v75
	s_delay_alu instid0(VALU_DEP_2)
	v_perm_b32 v90, v84, v87, 0x7060302
	v_dual_mul_f32 v77, v82, v77 :: v_dual_lshlrev_b32 v80, 6, v66
	v_lshlrev_b32_e32 v66, 11, v65
	v_perm_b32 v87, v83, v76, 0x7060302
	v_mul_f32_e32 v83, v82, v70
	v_perm_b32 v89, v88, v89, 0x7060302
	v_perm_b32 v88, v86, v85, 0x7060302
	v_or3_b32 v76, v91, v66, v80
	v_mul_f32_e32 v66, v82, v81
	v_mul_f32_e32 v70, v82, v79
	;; [unrolled: 1-line block ×3, first 2 shown]
	v_dual_mul_f32 v81, v82, v72 :: v_dual_and_b32 v84, 0x7f800000, v83
	v_mul_f32_e32 v79, v82, v71
	v_mul_f32_e32 v72, v82, v69
	s_mov_b32 s3, exec_lo
	ds_store_b128 v76, v[87:90]
                                        ; implicit-def: $vgpr69
	v_cmpx_ne_u32_e32 0x7f800000, v84
	s_xor_b32 s3, exec_lo, s3
; %bb.45:
	v_bfe_u32 v69, v83, 16, 1
	s_delay_alu instid0(VALU_DEP_1)
	v_add3_u32 v69, v83, v69, 0x7fff
                                        ; implicit-def: $vgpr83
; %bb.46:
	s_and_not1_saveexec_b32 s3, s3
; %bb.47:
	v_and_b32_e32 v69, 0xffff, v83
	v_or_b32_e32 v71, 0x10000, v83
	s_delay_alu instid0(VALU_DEP_2) | instskip(NEXT) | instid1(VALU_DEP_2)
	v_cmp_eq_u32_e32 vcc_lo, 0, v69
	v_cndmask_b32_e32 v69, v71, v83, vcc_lo
; %bb.48:
	s_or_b32 exec_lo, exec_lo, s3
	v_and_b32_e32 v71, 0x7f800000, v72
	s_delay_alu instid0(VALU_DEP_1) | instskip(SKIP_1) | instid1(SALU_CYCLE_1)
	v_cmp_ne_u32_e32 vcc_lo, 0x7f800000, v71
                                        ; implicit-def: $vgpr71
	s_and_saveexec_b32 s3, vcc_lo
	s_xor_b32 s3, exec_lo, s3
; %bb.49:
	v_bfe_u32 v71, v72, 16, 1
	s_delay_alu instid0(VALU_DEP_1)
	v_add3_u32 v71, v72, v71, 0x7fff
                                        ; implicit-def: $vgpr72
; %bb.50:
	s_and_not1_saveexec_b32 s3, s3
; %bb.51:
	v_and_b32_e32 v71, 0xffff, v72
	v_or_b32_e32 v82, 0x10000, v72
	s_delay_alu instid0(VALU_DEP_2) | instskip(NEXT) | instid1(VALU_DEP_2)
	v_cmp_eq_u32_e32 vcc_lo, 0, v71
	v_cndmask_b32_e32 v71, v82, v72, vcc_lo
; %bb.52:
	s_or_b32 exec_lo, exec_lo, s3
	v_and_b32_e32 v72, 0x7f800000, v79
	s_delay_alu instid0(VALU_DEP_1) | instskip(SKIP_1) | instid1(SALU_CYCLE_1)
	v_cmp_ne_u32_e32 vcc_lo, 0x7f800000, v72
                                        ; implicit-def: $vgpr72
	s_and_saveexec_b32 s3, vcc_lo
	s_xor_b32 s3, exec_lo, s3
; %bb.53:
	v_bfe_u32 v72, v79, 16, 1
	s_delay_alu instid0(VALU_DEP_1)
	v_add3_u32 v72, v79, v72, 0x7fff
                                        ; implicit-def: $vgpr79
; %bb.54:
	s_and_not1_saveexec_b32 s3, s3
; %bb.55:
	v_and_b32_e32 v72, 0xffff, v79
	v_or_b32_e32 v82, 0x10000, v79
	s_delay_alu instid0(VALU_DEP_2) | instskip(NEXT) | instid1(VALU_DEP_2)
	v_cmp_eq_u32_e32 vcc_lo, 0, v72
	v_cndmask_b32_e32 v72, v82, v79, vcc_lo
; %bb.56:
	s_or_b32 exec_lo, exec_lo, s3
	v_and_b32_e32 v79, 0x7f800000, v81
	s_delay_alu instid0(VALU_DEP_1) | instskip(SKIP_1) | instid1(SALU_CYCLE_1)
	v_cmp_ne_u32_e32 vcc_lo, 0x7f800000, v79
                                        ; implicit-def: $vgpr79
	s_and_saveexec_b32 s3, vcc_lo
	s_xor_b32 s3, exec_lo, s3
; %bb.57:
	v_bfe_u32 v79, v81, 16, 1
	s_delay_alu instid0(VALU_DEP_1)
	v_add3_u32 v79, v81, v79, 0x7fff
                                        ; implicit-def: $vgpr81
; %bb.58:
	s_and_not1_saveexec_b32 s3, s3
; %bb.59:
	v_and_b32_e32 v79, 0xffff, v81
	v_or_b32_e32 v82, 0x10000, v81
	s_delay_alu instid0(VALU_DEP_2) | instskip(NEXT) | instid1(VALU_DEP_2)
	v_cmp_eq_u32_e32 vcc_lo, 0, v79
	v_cndmask_b32_e32 v79, v82, v81, vcc_lo
; %bb.60:
	s_or_b32 exec_lo, exec_lo, s3
	v_and_b32_e32 v81, 0x7f800000, v77
	s_delay_alu instid0(VALU_DEP_1) | instskip(SKIP_1) | instid1(SALU_CYCLE_1)
	v_cmp_ne_u32_e32 vcc_lo, 0x7f800000, v81
                                        ; implicit-def: $vgpr81
	s_and_saveexec_b32 s3, vcc_lo
	s_xor_b32 s3, exec_lo, s3
; %bb.61:
	v_bfe_u32 v81, v77, 16, 1
	s_delay_alu instid0(VALU_DEP_1)
	v_add3_u32 v81, v77, v81, 0x7fff
                                        ; implicit-def: $vgpr77
; %bb.62:
	s_and_not1_saveexec_b32 s3, s3
; %bb.63:
	v_and_b32_e32 v81, 0xffff, v77
	v_or_b32_e32 v82, 0x10000, v77
	s_delay_alu instid0(VALU_DEP_2) | instskip(NEXT) | instid1(VALU_DEP_2)
	v_cmp_eq_u32_e32 vcc_lo, 0, v81
	v_cndmask_b32_e32 v81, v82, v77, vcc_lo
; %bb.64:
	s_or_b32 exec_lo, exec_lo, s3
	v_and_b32_e32 v77, 0x7f800000, v78
	s_delay_alu instid0(VALU_DEP_1) | instskip(SKIP_1) | instid1(SALU_CYCLE_1)
	v_cmp_ne_u32_e32 vcc_lo, 0x7f800000, v77
                                        ; implicit-def: $vgpr77
	s_and_saveexec_b32 s3, vcc_lo
	s_xor_b32 s3, exec_lo, s3
; %bb.65:
	v_bfe_u32 v77, v78, 16, 1
	s_delay_alu instid0(VALU_DEP_1)
	v_add3_u32 v77, v78, v77, 0x7fff
                                        ; implicit-def: $vgpr78
; %bb.66:
	s_and_not1_saveexec_b32 s3, s3
; %bb.67:
	v_and_b32_e32 v77, 0xffff, v78
	v_or_b32_e32 v82, 0x10000, v78
	s_delay_alu instid0(VALU_DEP_2) | instskip(NEXT) | instid1(VALU_DEP_2)
	v_cmp_eq_u32_e32 vcc_lo, 0, v77
	v_cndmask_b32_e32 v77, v82, v78, vcc_lo
; %bb.68:
	s_or_b32 exec_lo, exec_lo, s3
	v_and_b32_e32 v78, 0x7f800000, v70
	s_delay_alu instid0(VALU_DEP_1) | instskip(SKIP_1) | instid1(SALU_CYCLE_1)
	v_cmp_ne_u32_e32 vcc_lo, 0x7f800000, v78
                                        ; implicit-def: $vgpr78
	s_and_saveexec_b32 s3, vcc_lo
	s_xor_b32 s3, exec_lo, s3
; %bb.69:
	v_bfe_u32 v78, v70, 16, 1
	s_delay_alu instid0(VALU_DEP_1)
	v_add3_u32 v78, v70, v78, 0x7fff
                                        ; implicit-def: $vgpr70
; %bb.70:
	s_and_not1_saveexec_b32 s3, s3
; %bb.71:
	v_and_b32_e32 v78, 0xffff, v70
	v_or_b32_e32 v82, 0x10000, v70
	s_delay_alu instid0(VALU_DEP_2) | instskip(NEXT) | instid1(VALU_DEP_2)
	v_cmp_eq_u32_e32 vcc_lo, 0, v78
	v_cndmask_b32_e32 v78, v82, v70, vcc_lo
; %bb.72:
	s_or_b32 exec_lo, exec_lo, s3
	v_and_b32_e32 v70, 0x7f800000, v66
	s_delay_alu instid0(VALU_DEP_1) | instskip(SKIP_1) | instid1(SALU_CYCLE_1)
	v_cmp_ne_u32_e32 vcc_lo, 0x7f800000, v70
                                        ; implicit-def: $vgpr70
	s_and_saveexec_b32 s3, vcc_lo
	s_xor_b32 s3, exec_lo, s3
; %bb.73:
	v_bfe_u32 v70, v66, 16, 1
	s_delay_alu instid0(VALU_DEP_1)
	v_add3_u32 v70, v66, v70, 0x7fff
                                        ; implicit-def: $vgpr66
; %bb.74:
	s_and_not1_saveexec_b32 s3, s3
; %bb.75:
	v_and_b32_e32 v70, 0xffff, v66
	v_or_b32_e32 v82, 0x10000, v66
	s_delay_alu instid0(VALU_DEP_2) | instskip(NEXT) | instid1(VALU_DEP_2)
	v_cmp_eq_u32_e32 vcc_lo, 0, v70
	v_cndmask_b32_e32 v70, v82, v66, vcc_lo
; %bb.76:
	s_or_b32 exec_lo, exec_lo, s3
	s_delay_alu instid0(VALU_DEP_1)
	v_perm_b32 v86, v70, v78, 0x7060302
	v_perm_b32 v85, v77, v81, 0x7060302
	;; [unrolled: 1-line block ×4, first 2 shown]
	v_lshl_or_b32 v82, v65, 11, v80
	ds_store_b128 v76, v[83:86] offset:1024
	s_waitcnt lgkmcnt(0)
	s_barrier
	buffer_gl0_inv
	ds_load_b128 v[69:72], v82
	ds_load_b128 v[83:86], v82 offset:16
	s_waitcnt lgkmcnt(1)
	v_lshrrev_b32_e32 v65, 16, v69
	v_lshlrev_b32_e32 v78, 2, v75
	s_waitcnt lgkmcnt(0)
	v_lshrrev_b32_e32 v91, 16, v83
	v_lshrrev_b32_e32 v66, 16, v70
	;; [unrolled: 1-line block ×4, first 2 shown]
	v_cmp_eq_u32_e32 vcc_lo, 1, v78
	v_lshrrev_b32_e32 v98, 16, v85
	v_lshrrev_b32_e32 v96, 16, v72
	v_lshrrev_b32_e32 v99, 16, v86
	v_cndmask_b32_e32 v81, v69, v65, vcc_lo
	v_or_b32_e32 v79, 1, v78
	v_cmp_eq_u32_e64 s4, 2, v78
	v_cndmask_b32_e32 v87, v83, v91, vcc_lo
	v_cmp_eq_u32_e64 s7, 3, v78
	v_cmp_eq_u32_e64 s9, 4, v78
	;; [unrolled: 1-line block ×3, first 2 shown]
	v_cndmask_b32_e64 v81, v81, v70, s4
	v_cmp_eq_u32_e64 s6, 2, v79
	v_cndmask_b32_e64 v87, v87, v84, s4
	v_cmp_eq_u32_e64 s8, 3, v79
	v_cndmask_b32_e64 v88, v69, v65, s3
	v_cndmask_b32_e64 v81, v81, v66, s7
	v_or_b32_e32 v77, 2, v78
	v_cndmask_b32_e64 v87, v87, v97, s7
	v_cndmask_b32_e64 v89, v83, v91, s3
	v_cndmask_b32_e64 v88, v88, v70, s6
	v_cndmask_b32_e64 v81, v81, v71, s9
	v_cmp_eq_u32_e64 s10, 5, v78
	v_cndmask_b32_e64 v87, v87, v85, s9
	v_cmp_eq_u32_e64 s11, 4, v79
	v_cndmask_b32_e64 v88, v88, v66, s8
	;; [unrolled: 2-line block ×3, first 2 shown]
	v_cndmask_b32_e64 v81, v81, v95, s10
	v_cmp_eq_u32_e64 s12, 6, v78
	v_cndmask_b32_e64 v88, v88, v71, s11
	v_cndmask_b32_e64 v87, v87, v98, s10
	v_cmp_eq_u32_e64 s13, 5, v79
	v_cndmask_b32_e64 v90, v69, v65, s5
	v_cndmask_b32_e64 v89, v89, v97, s8
	;; [unrolled: 1-line block ×3, first 2 shown]
	v_cmp_eq_u32_e64 s15, 7, v78
	v_cndmask_b32_e64 v88, v88, v95, s13
	v_cndmask_b32_e64 v87, v87, v86, s12
	v_cmp_eq_u32_e64 s16, 6, v79
	v_cmp_eq_u32_e64 s17, 2, v77
	v_cndmask_b32_e64 v89, v89, v85, s11
	v_cndmask_b32_e64 v100, v81, v96, s15
	;; [unrolled: 1-line block ×6, first 2 shown]
	v_cmp_eq_u32_e64 s18, 7, v79
	v_cmp_eq_u32_e64 s19, 3, v77
	;; [unrolled: 1-line block ×4, first 2 shown]
	v_cndmask_b32_e64 v87, v87, v84, s17
	v_cndmask_b32_e64 v102, v88, v96, s18
	;; [unrolled: 1-line block ×4, first 2 shown]
	v_or_b32_e32 v81, 3, v78
	v_cndmask_b32_e64 v93, v87, v97, s19
	v_cmp_eq_u32_e64 s24, 6, v77
	v_cndmask_b32_e64 v103, v88, v86, s16
	v_cndmask_b32_e64 v92, v89, v71, s20
	v_cmp_eq_u32_e64 s21, 1, v81
	ds_load_b128 v[87:90], v82 offset:1024
	v_cmp_eq_u32_e64 s23, 2, v81
	v_cmp_eq_u32_e64 s25, 3, v81
	v_cndmask_b32_e64 v104, v92, v95, s22
	v_cndmask_b32_e64 v65, v69, v65, s21
	;; [unrolled: 1-line block ×4, first 2 shown]
	ds_load_b128 v[91:94], v82 offset:1040
	v_cmp_eq_u32_e64 s26, 4, v81
	v_cndmask_b32_e64 v65, v65, v70, s23
	v_cmp_eq_u32_e64 s28, 5, v81
	v_cndmask_b32_e64 v70, v83, v84, s23
	v_cmp_eq_u32_e64 s29, 6, v81
	v_cndmask_b32_e64 v69, v69, v98, s22
	v_cndmask_b32_e64 v65, v65, v66, s25
	v_cndmask_b32_e64 v66, v104, v72, s24
	;; [unrolled: 1-line block ×3, first 2 shown]
	v_cmp_eq_u32_e64 s27, 7, v77
	v_cndmask_b32_e64 v69, v69, v86, s24
	v_cndmask_b32_e64 v65, v65, v71, s26
	s_waitcnt lgkmcnt(1)
	v_lshrrev_b32_e32 v84, 16, v87
	v_cndmask_b32_e64 v70, v70, v85, s26
	v_cndmask_b32_e64 v83, v103, v99, s18
	;; [unrolled: 1-line block ×4, first 2 shown]
	v_lshrrev_b32_e32 v95, 16, v88
	v_cndmask_b32_e64 v70, v70, v98, s28
	s_waitcnt lgkmcnt(0)
	v_lshrrev_b32_e32 v85, 16, v91
	v_cndmask_b32_e64 v97, v87, v84, s3
	v_cndmask_b32_e64 v65, v65, v72, s29
	;; [unrolled: 1-line block ×4, first 2 shown]
	v_cndmask_b32_e32 v71, v87, v84, vcc_lo
	v_cndmask_b32_e32 v98, v91, v85, vcc_lo
	v_cmp_eq_u32_e32 vcc_lo, 7, v81
	v_cndmask_b32_e64 v72, v97, v88, s6
	v_lshrrev_b32_e32 v97, 16, v92
	v_lshrrev_b32_e32 v103, 16, v90
	v_dual_cndmask_b32 v65, v65, v96 :: v_dual_cndmask_b32 v70, v70, v99
	v_cndmask_b32_e64 v71, v71, v88, s4
	v_cndmask_b32_e64 v86, v98, v92, s4
	;; [unrolled: 1-line block ×3, first 2 shown]
	v_lshrrev_b32_e32 v98, 16, v89
	v_lshrrev_b32_e32 v99, 16, v93
	v_cndmask_b32_e64 v71, v71, v95, s7
	v_cndmask_b32_e64 v86, v86, v97, s7
	;; [unrolled: 1-line block ×3, first 2 shown]
	v_perm_b32 v72, v70, v65, 0x5040100
	v_perm_b32 v70, v83, v102, 0x5040100
	v_cndmask_b32_e64 v71, v71, v89, s9
	v_cndmask_b32_e64 v86, v86, v93, s9
	;; [unrolled: 1-line block ×3, first 2 shown]
	v_lshrrev_b32_e32 v83, 16, v94
	s_delay_alu instid0(VALU_DEP_4) | instskip(NEXT) | instid1(VALU_DEP_4)
	v_cndmask_b32_e64 v71, v71, v98, s10
	v_cndmask_b32_e64 v86, v86, v99, s10
	s_delay_alu instid0(VALU_DEP_4) | instskip(NEXT) | instid1(VALU_DEP_3)
	v_cndmask_b32_e64 v65, v65, v90, s16
	v_cndmask_b32_e64 v96, v71, v90, s12
	v_perm_b32 v71, v69, v66, 0x5040100
	s_delay_alu instid0(VALU_DEP_4)
	v_cndmask_b32_e64 v69, v86, v94, s12
	v_cndmask_b32_e64 v86, v87, v84, s5
	;; [unrolled: 1-line block ×34, first 2 shown]
	v_cndmask_b32_e32 v84, v84, v103, vcc_lo
	v_cndmask_b32_e32 v86, v87, v83, vcc_lo
	v_cndmask_b32_e64 v87, v88, v83, s27
	v_cndmask_b32_e64 v88, v85, v83, s18
	;; [unrolled: 1-line block ×3, first 2 shown]
	v_perm_b32 v69, v101, v100, 0x5040100
	v_perm_b32 v86, v86, v84, 0x5040100
	;; [unrolled: 1-line block ×5, first 2 shown]
	s_lshl_b32 s8, s35, 3
	s_mov_b32 s3, exec_lo
	ds_store_b128 v76, v[69:72]
	ds_store_b128 v76, v[83:86] offset:1024
	v_cmpx_gt_u32_e32 8, v0
	s_cbranch_execz .LBB1669_78
; %bb.77:
	v_or_b32_e32 v65, s31, v0
	s_load_b128 s[4:7], s[0:1], 0x58
	s_delay_alu instid0(VALU_DEP_1) | instskip(NEXT) | instid1(VALU_DEP_1)
	v_mad_u64_u32 v[69:70], null, s8, s30, v[65:66]
	v_mad_u64_u32 v[65:66], null, v69, s34, s[14:15]
	s_delay_alu instid0(VALU_DEP_1) | instskip(NEXT) | instid1(VALU_DEP_1)
	v_ashrrev_i32_e32 v66, 31, v65
	v_lshlrev_b64 v[65:66], 2, v[65:66]
	s_waitcnt lgkmcnt(0)
	s_delay_alu instid0(VALU_DEP_1) | instskip(NEXT) | instid1(VALU_DEP_2)
	v_add_co_u32 v69, vcc_lo, s6, v65
	v_add_co_ci_u32_e32 v70, vcc_lo, s7, v66, vcc_lo
	v_add_co_u32 v65, vcc_lo, s4, v65
	v_add_co_ci_u32_e32 v66, vcc_lo, s5, v66, vcc_lo
	global_store_b32 v[69:70], v67, off
	global_store_b32 v[65:66], v68, off
.LBB1669_78:
	s_or_b32 exec_lo, exec_lo, s3
	s_waitcnt lgkmcnt(0)
	s_waitcnt_vscnt null, 0x0
	s_barrier
	buffer_gl0_inv
	ds_load_b128 v[83:86], v80
	ds_load_b128 v[87:90], v80 offset:16
	ds_load_b128 v[95:98], v80 offset:2064
	;; [unrolled: 1-line block ×3, first 2 shown]
	v_mov_b32_e32 v65, 0
	ds_load_b128 v[103:106], v80 offset:4112
	ds_load_b128 v[99:102], v80 offset:4096
	;; [unrolled: 1-line block ×4, first 2 shown]
	v_mov_b32_e32 v66, v65
	v_mov_b32_e32 v67, v65
	;; [unrolled: 1-line block ×7, first 2 shown]
	s_waitcnt lgkmcnt(6)
	s_delay_alu instid0(VALU_DEP_1)
	v_wmma_f32_16x16x16_bf16 v[65:72], v[57:64], v[83:90], v[65:72]
	ds_load_b128 v[61:64], v80 offset:8208
	ds_load_b128 v[57:60], v80 offset:8192
	s_waitcnt lgkmcnt(6)
	v_wmma_f32_16x16x16_bf16 v[65:72], v[41:48], v[91:98], v[65:72]
	ds_load_b128 v[45:48], v80 offset:10256
	ds_load_b128 v[41:44], v80 offset:10240
	s_waitcnt lgkmcnt(6)
	;; [unrolled: 4-line block ×4, first 2 shown]
	v_wmma_f32_16x16x16_bf16 v[65:72], v[1:8], v[57:64], v[65:72]
	s_waitcnt lgkmcnt(4)
	s_delay_alu instid0(VALU_DEP_1) | instskip(SKIP_1) | instid1(VALU_DEP_1)
	v_wmma_f32_16x16x16_bf16 v[65:72], v[9:16], v[41:48], v[65:72]
	s_waitcnt lgkmcnt(2)
	v_wmma_f32_16x16x16_bf16 v[65:72], v[17:24], v[33:40], v[65:72]
	s_waitcnt lgkmcnt(0)
	s_delay_alu instid0(VALU_DEP_1) | instskip(NEXT) | instid1(VALU_DEP_1)
	v_wmma_f32_16x16x16_bf16 v[65:72], v[49:56], v[25:32], v[65:72]
	v_and_b32_e32 v1, 0x7f800000, v65
	s_delay_alu instid0(VALU_DEP_1) | instskip(SKIP_1) | instid1(SALU_CYCLE_1)
	v_cmp_ne_u32_e32 vcc_lo, 0x7f800000, v1
                                        ; implicit-def: $vgpr1
	s_and_saveexec_b32 s3, vcc_lo
	s_xor_b32 s3, exec_lo, s3
; %bb.79:
	v_bfe_u32 v1, v65, 16, 1
	s_delay_alu instid0(VALU_DEP_1)
	v_add3_u32 v1, v65, v1, 0x7fff
; %bb.80:
	s_and_not1_saveexec_b32 s3, s3
; %bb.81:
	v_and_b32_e32 v1, 0xffff, v65
	v_or_b32_e32 v2, 0x10000, v65
	s_delay_alu instid0(VALU_DEP_2) | instskip(NEXT) | instid1(VALU_DEP_2)
	v_cmp_eq_u32_e32 vcc_lo, 0, v1
	v_cndmask_b32_e32 v1, v2, v65, vcc_lo
; %bb.82:
	s_or_b32 exec_lo, exec_lo, s3
	v_and_b32_e32 v2, 0x7f800000, v66
	s_delay_alu instid0(VALU_DEP_1) | instskip(SKIP_1) | instid1(SALU_CYCLE_1)
	v_cmp_ne_u32_e32 vcc_lo, 0x7f800000, v2
                                        ; implicit-def: $vgpr2
	s_and_saveexec_b32 s3, vcc_lo
	s_xor_b32 s3, exec_lo, s3
; %bb.83:
	v_bfe_u32 v2, v66, 16, 1
	s_delay_alu instid0(VALU_DEP_1)
	v_add3_u32 v2, v66, v2, 0x7fff
; %bb.84:
	s_and_not1_saveexec_b32 s3, s3
; %bb.85:
	v_and_b32_e32 v2, 0xffff, v66
	v_or_b32_e32 v3, 0x10000, v66
	s_delay_alu instid0(VALU_DEP_2) | instskip(NEXT) | instid1(VALU_DEP_2)
	v_cmp_eq_u32_e32 vcc_lo, 0, v2
	v_cndmask_b32_e32 v2, v3, v66, vcc_lo
; %bb.86:
	s_or_b32 exec_lo, exec_lo, s3
	v_and_b32_e32 v3, 0x7f800000, v67
	s_delay_alu instid0(VALU_DEP_1) | instskip(SKIP_1) | instid1(SALU_CYCLE_1)
	v_cmp_ne_u32_e32 vcc_lo, 0x7f800000, v3
                                        ; implicit-def: $vgpr3
	s_and_saveexec_b32 s3, vcc_lo
	s_xor_b32 s3, exec_lo, s3
; %bb.87:
	v_bfe_u32 v3, v67, 16, 1
	s_delay_alu instid0(VALU_DEP_1)
	v_add3_u32 v3, v67, v3, 0x7fff
; %bb.88:
	s_and_not1_saveexec_b32 s3, s3
; %bb.89:
	v_and_b32_e32 v3, 0xffff, v67
	v_or_b32_e32 v4, 0x10000, v67
	s_delay_alu instid0(VALU_DEP_2) | instskip(NEXT) | instid1(VALU_DEP_2)
	v_cmp_eq_u32_e32 vcc_lo, 0, v3
	v_cndmask_b32_e32 v3, v4, v67, vcc_lo
; %bb.90:
	s_or_b32 exec_lo, exec_lo, s3
	v_and_b32_e32 v4, 0x7f800000, v68
	s_delay_alu instid0(VALU_DEP_1) | instskip(SKIP_1) | instid1(SALU_CYCLE_1)
	v_cmp_ne_u32_e32 vcc_lo, 0x7f800000, v4
                                        ; implicit-def: $vgpr4
	s_and_saveexec_b32 s3, vcc_lo
	s_xor_b32 s3, exec_lo, s3
; %bb.91:
	v_bfe_u32 v4, v68, 16, 1
	s_delay_alu instid0(VALU_DEP_1)
	v_add3_u32 v4, v68, v4, 0x7fff
; %bb.92:
	s_and_not1_saveexec_b32 s3, s3
; %bb.93:
	v_and_b32_e32 v4, 0xffff, v68
	v_or_b32_e32 v5, 0x10000, v68
	s_delay_alu instid0(VALU_DEP_2) | instskip(NEXT) | instid1(VALU_DEP_2)
	v_cmp_eq_u32_e32 vcc_lo, 0, v4
	v_cndmask_b32_e32 v4, v5, v68, vcc_lo
; %bb.94:
	s_or_b32 exec_lo, exec_lo, s3
	v_and_b32_e32 v5, 0x7f800000, v69
	s_delay_alu instid0(VALU_DEP_1) | instskip(SKIP_1) | instid1(SALU_CYCLE_1)
	v_cmp_ne_u32_e32 vcc_lo, 0x7f800000, v5
                                        ; implicit-def: $vgpr5
	s_and_saveexec_b32 s3, vcc_lo
	s_xor_b32 s3, exec_lo, s3
; %bb.95:
	v_bfe_u32 v5, v69, 16, 1
	s_delay_alu instid0(VALU_DEP_1)
	v_add3_u32 v5, v69, v5, 0x7fff
; %bb.96:
	s_and_not1_saveexec_b32 s3, s3
; %bb.97:
	v_and_b32_e32 v5, 0xffff, v69
	v_or_b32_e32 v6, 0x10000, v69
	s_delay_alu instid0(VALU_DEP_2) | instskip(NEXT) | instid1(VALU_DEP_2)
	v_cmp_eq_u32_e32 vcc_lo, 0, v5
	v_cndmask_b32_e32 v5, v6, v69, vcc_lo
; %bb.98:
	s_or_b32 exec_lo, exec_lo, s3
	v_and_b32_e32 v6, 0x7f800000, v70
	s_delay_alu instid0(VALU_DEP_1) | instskip(SKIP_1) | instid1(SALU_CYCLE_1)
	v_cmp_ne_u32_e32 vcc_lo, 0x7f800000, v6
                                        ; implicit-def: $vgpr6
	s_and_saveexec_b32 s3, vcc_lo
	s_xor_b32 s3, exec_lo, s3
; %bb.99:
	v_bfe_u32 v6, v70, 16, 1
	s_delay_alu instid0(VALU_DEP_1)
	v_add3_u32 v6, v70, v6, 0x7fff
; %bb.100:
	s_and_not1_saveexec_b32 s3, s3
; %bb.101:
	v_and_b32_e32 v6, 0xffff, v70
	v_or_b32_e32 v7, 0x10000, v70
	s_delay_alu instid0(VALU_DEP_2) | instskip(NEXT) | instid1(VALU_DEP_2)
	v_cmp_eq_u32_e32 vcc_lo, 0, v6
	v_cndmask_b32_e32 v6, v7, v70, vcc_lo
; %bb.102:
	s_or_b32 exec_lo, exec_lo, s3
	v_and_b32_e32 v7, 0x7f800000, v71
	s_delay_alu instid0(VALU_DEP_1) | instskip(SKIP_1) | instid1(SALU_CYCLE_1)
	v_cmp_ne_u32_e32 vcc_lo, 0x7f800000, v7
                                        ; implicit-def: $vgpr7
	s_and_saveexec_b32 s3, vcc_lo
	s_xor_b32 s3, exec_lo, s3
; %bb.103:
	v_bfe_u32 v7, v71, 16, 1
	s_delay_alu instid0(VALU_DEP_1)
	v_add3_u32 v7, v71, v7, 0x7fff
; %bb.104:
	s_and_not1_saveexec_b32 s3, s3
; %bb.105:
	v_and_b32_e32 v7, 0xffff, v71
	v_or_b32_e32 v8, 0x10000, v71
	s_delay_alu instid0(VALU_DEP_2) | instskip(NEXT) | instid1(VALU_DEP_2)
	v_cmp_eq_u32_e32 vcc_lo, 0, v7
	v_cndmask_b32_e32 v7, v8, v71, vcc_lo
; %bb.106:
	s_or_b32 exec_lo, exec_lo, s3
	v_and_b32_e32 v8, 0x7f800000, v72
	s_delay_alu instid0(VALU_DEP_1) | instskip(SKIP_1) | instid1(SALU_CYCLE_1)
	v_cmp_ne_u32_e32 vcc_lo, 0x7f800000, v8
                                        ; implicit-def: $vgpr8
	s_and_saveexec_b32 s3, vcc_lo
	s_xor_b32 s3, exec_lo, s3
; %bb.107:
	v_bfe_u32 v8, v72, 16, 1
	s_delay_alu instid0(VALU_DEP_1)
	v_add3_u32 v8, v72, v8, 0x7fff
                                        ; implicit-def: $vgpr65_vgpr66_vgpr67_vgpr68_vgpr69_vgpr70_vgpr71_vgpr72
; %bb.108:
	s_and_not1_saveexec_b32 s3, s3
; %bb.109:
	v_and_b32_e32 v8, 0xffff, v72
	v_or_b32_e32 v9, 0x10000, v72
	s_delay_alu instid0(VALU_DEP_2) | instskip(NEXT) | instid1(VALU_DEP_2)
	v_cmp_eq_u32_e32 vcc_lo, 0, v8
	v_cndmask_b32_e32 v8, v9, v72, vcc_lo
; %bb.110:
	s_or_b32 exec_lo, exec_lo, s3
	s_delay_alu instid0(VALU_DEP_1)
	v_perm_b32 v7, v8, v7, 0x7060302
	v_perm_b32 v6, v6, v5, 0x7060302
	;; [unrolled: 1-line block ×4, first 2 shown]
	s_barrier
	buffer_gl0_inv
	v_cmp_eq_u32_e32 vcc_lo, 1, v78
	ds_store_b128 v76, v[4:7]
	s_waitcnt lgkmcnt(0)
	s_barrier
	buffer_gl0_inv
	ds_load_b128 v[1:4], v82
	ds_load_b128 v[5:8], v82 offset:16
	v_cmp_eq_u32_e64 s3, 1, v79
	v_cmp_eq_u32_e64 s4, 2, v78
	v_cmp_eq_u32_e64 s5, 3, v78
	v_cmp_eq_u32_e64 s7, 2, v77
	v_cmp_eq_u32_e64 s6, 7, v79
	s_waitcnt lgkmcnt(1)
	v_lshrrev_b32_e32 v9, 16, v1
	s_waitcnt lgkmcnt(0)
	v_lshrrev_b32_e32 v13, 16, v5
	v_lshrrev_b32_e32 v10, 16, v2
	;; [unrolled: 1-line block ×4, first 2 shown]
	v_cndmask_b32_e64 v19, v1, v9, s3
	v_cndmask_b32_e32 v18, v5, v13, vcc_lo
	v_cndmask_b32_e64 v20, v5, v13, s3
	v_cndmask_b32_e32 v17, v1, v9, vcc_lo
	v_cmp_eq_u32_e32 vcc_lo, 2, v79
	v_lshrrev_b32_e32 v15, 16, v7
	v_cmp_eq_u32_e64 s3, 1, v77
	v_lshrrev_b32_e32 v12, 16, v4
	v_lshrrev_b32_e32 v16, 16, v8
	v_cndmask_b32_e32 v20, v20, v6, vcc_lo
	v_cndmask_b32_e64 v17, v17, v2, s4
	v_cndmask_b32_e32 v19, v19, v2, vcc_lo
	v_cndmask_b32_e64 v18, v18, v6, s4
	v_cmp_eq_u32_e32 vcc_lo, 4, v78
	v_cmp_eq_u32_e64 s4, 3, v79
	v_cndmask_b32_e64 v17, v17, v10, s5
	v_cndmask_b32_e64 v21, v1, v9, s3
	;; [unrolled: 1-line block ×5, first 2 shown]
	v_cndmask_b32_e32 v17, v17, v3, vcc_lo
	v_cndmask_b32_e64 v20, v20, v14, s4
	v_cndmask_b32_e32 v18, v18, v7, vcc_lo
	v_cmp_eq_u32_e32 vcc_lo, 4, v79
	v_cmp_eq_u32_e64 s4, 5, v79
	v_cmp_eq_u32_e64 s3, 2, v81
	v_cndmask_b32_e64 v21, v21, v2, s7
	v_cmp_eq_u32_e64 s5, 5, v78
	v_cndmask_b32_e32 v19, v19, v3, vcc_lo
	v_cndmask_b32_e32 v20, v20, v7, vcc_lo
	v_cmp_eq_u32_e32 vcc_lo, 6, v79
	s_delay_alu instid0(VALU_DEP_4) | instskip(NEXT) | instid1(VALU_DEP_4)
	v_cndmask_b32_e64 v17, v17, v11, s5
	v_cndmask_b32_e64 v19, v19, v11, s4
	s_delay_alu instid0(VALU_DEP_4) | instskip(SKIP_1) | instid1(VALU_DEP_3)
	v_cndmask_b32_e64 v20, v20, v15, s4
	v_cmp_eq_u32_e64 s4, 1, v81
	v_cndmask_b32_e32 v19, v19, v4, vcc_lo
	v_cndmask_b32_e64 v18, v18, v15, s5
	s_delay_alu instid0(VALU_DEP_3)
	v_cndmask_b32_e64 v1, v1, v9, s4
	v_cndmask_b32_e64 v5, v5, v13, s4
	v_cmp_eq_u32_e64 s4, 3, v77
	v_cndmask_b32_e64 v13, v22, v6, s7
	v_cmp_eq_u32_e64 s7, 3, v81
	v_cndmask_b32_e64 v1, v1, v2, s3
	v_cndmask_b32_e64 v2, v5, v6, s3
	;; [unrolled: 1-line block ×3, first 2 shown]
	v_cmp_eq_u32_e64 s3, 4, v77
	v_cndmask_b32_e64 v6, v13, v14, s4
	v_cndmask_b32_e64 v1, v1, v10, s7
	v_cmp_eq_u32_e64 s4, 4, v81
	v_cndmask_b32_e64 v2, v2, v14, s7
	v_cndmask_b32_e64 v5, v9, v3, s3
	;; [unrolled: 3-line block ×3, first 2 shown]
	v_cndmask_b32_e64 v2, v2, v7, s4
	v_cmp_eq_u32_e64 s3, 5, v81
	v_cmp_eq_u32_e64 s5, 6, v78
	v_cndmask_b32_e64 v5, v5, v11, s7
	v_cmp_eq_u32_e64 s4, 6, v77
	v_cndmask_b32_e64 v3, v6, v15, s7
	v_cndmask_b32_e64 v1, v1, v11, s3
	v_cmp_eq_u32_e64 s7, 6, v81
	v_cndmask_b32_e64 v2, v2, v15, s3
	v_cndmask_b32_e64 v17, v17, v4, s5
	v_cndmask_b32_e64 v18, v18, v8, s5
	v_cmp_eq_u32_e64 s5, 7, v78
	v_cndmask_b32_e64 v5, v5, v4, s4
	;; [unrolled: 4-line block ×3, first 2 shown]
	v_cmp_eq_u32_e64 s4, 7, v77
	v_cndmask_b32_e32 v4, v20, v8, vcc_lo
	v_cndmask_b32_e64 v17, v17, v12, s5
	v_cndmask_b32_e64 v19, v19, v12, s6
	;; [unrolled: 1-line block ×8, first 2 shown]
	v_cmp_gt_u32_e32 vcc_lo, 32, v0
	v_perm_b32 v4, v2, v1, 0x5040100
	v_perm_b32 v3, v3, v5, 0x5040100
	;; [unrolled: 1-line block ×4, first 2 shown]
	s_and_b32 s2, vcc_lo, s2
	ds_store_b128 v76, v[1:4]
	s_waitcnt lgkmcnt(0)
	s_barrier
	buffer_gl0_inv
	s_and_saveexec_b32 s3, s2
	s_cbranch_execz .LBB1669_2
; %bb.111:
	s_load_b64 s[0:1], s[0:1], 0x68
	s_lshl_b32 s4, s34, 6
	v_or_b32_e32 v2, s31, v75
	s_mul_i32 s2, s4, s30
	v_lshlrev_b32_e32 v1, 10, v0
	s_mul_i32 s2, s2, s8
	v_lshlrev_b32_e32 v3, 4, v74
	v_mul_lo_u32 v0, v2, s4
	s_ashr_i32 s3, s2, 31
	v_lshlrev_b32_e32 v4, 6, v75
	v_and_b32_e32 v1, 0x3800, v1
	v_or_b32_e32 v5, 2, v2
	s_lshl_b64 s[2:3], s[2:3], 1
	v_or_b32_e32 v6, 4, v2
	v_or_b32_e32 v7, 6, v2
	v_or3_b32 v12, v1, v3, v4
	v_ashrrev_i32_e32 v1, 31, v0
	v_mul_lo_u32 v2, v5, s4
	v_mul_lo_u32 v16, v6, s4
	;; [unrolled: 1-line block ×3, first 2 shown]
	s_waitcnt lgkmcnt(0)
	s_add_u32 s2, s0, s2
	s_addc_u32 s3, s1, s3
	s_lshl_b32 s0, s14, 6
	v_lshlrev_b64 v[0:1], 1, v[0:1]
	s_ashr_i32 s1, s0, 31
	v_ashrrev_i32_e32 v3, 31, v2
	s_lshl_b64 s[0:1], s[0:1], 1
	v_ashrrev_i32_e32 v17, 31, v16
	s_add_u32 s0, s2, s0
	s_addc_u32 s1, s3, s1
	v_add_co_u32 v24, s0, s0, v73
	s_delay_alu instid0(VALU_DEP_1) | instskip(SKIP_1) | instid1(VALU_DEP_3)
	v_add_co_ci_u32_e64 v25, null, s1, 0, s0
	v_lshlrev_b64 v[22:23], 1, v[2:3]
	v_add_co_u32 v18, vcc_lo, v24, v0
	s_delay_alu instid0(VALU_DEP_3)
	v_add_co_ci_u32_e32 v19, vcc_lo, v25, v1, vcc_lo
	ds_load_b128 v[0:3], v12
	ds_load_b128 v[4:7], v12 offset:128
	ds_load_b128 v[8:11], v12 offset:256
	;; [unrolled: 1-line block ×3, first 2 shown]
	v_ashrrev_i32_e32 v21, 31, v20
	v_lshlrev_b64 v[16:17], 1, v[16:17]
	v_add_co_u32 v22, vcc_lo, v24, v22
	v_add_co_ci_u32_e32 v23, vcc_lo, v25, v23, vcc_lo
	s_delay_alu instid0(VALU_DEP_4) | instskip(NEXT) | instid1(VALU_DEP_4)
	v_lshlrev_b64 v[20:21], 1, v[20:21]
	v_add_co_u32 v16, vcc_lo, v24, v16
	v_add_co_ci_u32_e32 v17, vcc_lo, v25, v17, vcc_lo
	s_delay_alu instid0(VALU_DEP_3) | instskip(NEXT) | instid1(VALU_DEP_4)
	v_add_co_u32 v20, vcc_lo, v24, v20
	v_add_co_ci_u32_e32 v21, vcc_lo, v25, v21, vcc_lo
	s_waitcnt lgkmcnt(3)
	global_store_b128 v[18:19], v[0:3], off
	s_waitcnt lgkmcnt(2)
	global_store_b128 v[22:23], v[4:7], off
	;; [unrolled: 2-line block ×4, first 2 shown]
	s_nop 0
	s_sendmsg sendmsg(MSG_DEALLOC_VGPRS)
	s_endpgm
	.section	.rodata,"a",@progbits
	.p2align	6, 0x0
	.amdhsa_kernel _Z39paged_attention_ll4mi_QKV_mfma16_kernelI14__hip_bfloat16hLN4vllm18Fp8KVCacheDataTypeE1EhLi16ELi64ELi256ELb1ELi8EL8MFMAType0EEvPKT_PKT0_S9_ifPKiSB_SB_iPKfiiiPfSE_PS4_PT2_iSD_SD_
		.amdhsa_group_segment_fixed_size 17472
		.amdhsa_private_segment_fixed_size 0
		.amdhsa_kernarg_size 400
		.amdhsa_user_sgpr_count 13
		.amdhsa_user_sgpr_dispatch_ptr 0
		.amdhsa_user_sgpr_queue_ptr 0
		.amdhsa_user_sgpr_kernarg_segment_ptr 1
		.amdhsa_user_sgpr_dispatch_id 0
		.amdhsa_user_sgpr_private_segment_size 0
		.amdhsa_wavefront_size32 1
		.amdhsa_uses_dynamic_stack 0
		.amdhsa_enable_private_segment 0
		.amdhsa_system_sgpr_workgroup_id_x 1
		.amdhsa_system_sgpr_workgroup_id_y 1
		.amdhsa_system_sgpr_workgroup_id_z 1
		.amdhsa_system_sgpr_workgroup_info 0
		.amdhsa_system_vgpr_workitem_id 0
		.amdhsa_next_free_vgpr 124
		.amdhsa_next_free_sgpr 38
		.amdhsa_reserve_vcc 1
		.amdhsa_float_round_mode_32 0
		.amdhsa_float_round_mode_16_64 0
		.amdhsa_float_denorm_mode_32 3
		.amdhsa_float_denorm_mode_16_64 3
		.amdhsa_dx10_clamp 1
		.amdhsa_ieee_mode 1
		.amdhsa_fp16_overflow 0
		.amdhsa_workgroup_processor_mode 1
		.amdhsa_memory_ordered 1
		.amdhsa_forward_progress 0
		.amdhsa_shared_vgpr_count 0
		.amdhsa_exception_fp_ieee_invalid_op 0
		.amdhsa_exception_fp_denorm_src 0
		.amdhsa_exception_fp_ieee_div_zero 0
		.amdhsa_exception_fp_ieee_overflow 0
		.amdhsa_exception_fp_ieee_underflow 0
		.amdhsa_exception_fp_ieee_inexact 0
		.amdhsa_exception_int_div_zero 0
	.end_amdhsa_kernel
	.section	.text._Z39paged_attention_ll4mi_QKV_mfma16_kernelI14__hip_bfloat16hLN4vllm18Fp8KVCacheDataTypeE1EhLi16ELi64ELi256ELb1ELi8EL8MFMAType0EEvPKT_PKT0_S9_ifPKiSB_SB_iPKfiiiPfSE_PS4_PT2_iSD_SD_,"axG",@progbits,_Z39paged_attention_ll4mi_QKV_mfma16_kernelI14__hip_bfloat16hLN4vllm18Fp8KVCacheDataTypeE1EhLi16ELi64ELi256ELb1ELi8EL8MFMAType0EEvPKT_PKT0_S9_ifPKiSB_SB_iPKfiiiPfSE_PS4_PT2_iSD_SD_,comdat
.Lfunc_end1669:
	.size	_Z39paged_attention_ll4mi_QKV_mfma16_kernelI14__hip_bfloat16hLN4vllm18Fp8KVCacheDataTypeE1EhLi16ELi64ELi256ELb1ELi8EL8MFMAType0EEvPKT_PKT0_S9_ifPKiSB_SB_iPKfiiiPfSE_PS4_PT2_iSD_SD_, .Lfunc_end1669-_Z39paged_attention_ll4mi_QKV_mfma16_kernelI14__hip_bfloat16hLN4vllm18Fp8KVCacheDataTypeE1EhLi16ELi64ELi256ELb1ELi8EL8MFMAType0EEvPKT_PKT0_S9_ifPKiSB_SB_iPKfiiiPfSE_PS4_PT2_iSD_SD_
                                        ; -- End function
	.section	.AMDGPU.csdata,"",@progbits
; Kernel info:
; codeLenInByte = 8724
; NumSgprs: 40
; NumVgprs: 124
; ScratchSize: 0
; MemoryBound: 0
; FloatMode: 240
; IeeeMode: 1
; LDSByteSize: 17472 bytes/workgroup (compile time only)
; SGPRBlocks: 4
; VGPRBlocks: 15
; NumSGPRsForWavesPerEU: 40
; NumVGPRsForWavesPerEU: 124
; Occupancy: 10
; WaveLimiterHint : 1
; COMPUTE_PGM_RSRC2:SCRATCH_EN: 0
; COMPUTE_PGM_RSRC2:USER_SGPR: 13
; COMPUTE_PGM_RSRC2:TRAP_HANDLER: 0
; COMPUTE_PGM_RSRC2:TGID_X_EN: 1
; COMPUTE_PGM_RSRC2:TGID_Y_EN: 1
; COMPUTE_PGM_RSRC2:TGID_Z_EN: 1
; COMPUTE_PGM_RSRC2:TIDIG_COMP_CNT: 0
	.section	.text._Z39paged_attention_ll4mi_QKV_mfma16_kernelI14__hip_bfloat16hLN4vllm18Fp8KVCacheDataTypeE1EhLi16ELi64ELi256ELb1ELi9EL8MFMAType0EEvPKT_PKT0_S9_ifPKiSB_SB_iPKfiiiPfSE_PS4_PT2_iSD_SD_,"axG",@progbits,_Z39paged_attention_ll4mi_QKV_mfma16_kernelI14__hip_bfloat16hLN4vllm18Fp8KVCacheDataTypeE1EhLi16ELi64ELi256ELb1ELi9EL8MFMAType0EEvPKT_PKT0_S9_ifPKiSB_SB_iPKfiiiPfSE_PS4_PT2_iSD_SD_,comdat
	.protected	_Z39paged_attention_ll4mi_QKV_mfma16_kernelI14__hip_bfloat16hLN4vllm18Fp8KVCacheDataTypeE1EhLi16ELi64ELi256ELb1ELi9EL8MFMAType0EEvPKT_PKT0_S9_ifPKiSB_SB_iPKfiiiPfSE_PS4_PT2_iSD_SD_ ; -- Begin function _Z39paged_attention_ll4mi_QKV_mfma16_kernelI14__hip_bfloat16hLN4vllm18Fp8KVCacheDataTypeE1EhLi16ELi64ELi256ELb1ELi9EL8MFMAType0EEvPKT_PKT0_S9_ifPKiSB_SB_iPKfiiiPfSE_PS4_PT2_iSD_SD_
	.globl	_Z39paged_attention_ll4mi_QKV_mfma16_kernelI14__hip_bfloat16hLN4vllm18Fp8KVCacheDataTypeE1EhLi16ELi64ELi256ELb1ELi9EL8MFMAType0EEvPKT_PKT0_S9_ifPKiSB_SB_iPKfiiiPfSE_PS4_PT2_iSD_SD_
	.p2align	8
	.type	_Z39paged_attention_ll4mi_QKV_mfma16_kernelI14__hip_bfloat16hLN4vllm18Fp8KVCacheDataTypeE1EhLi16ELi64ELi256ELb1ELi9EL8MFMAType0EEvPKT_PKT0_S9_ifPKiSB_SB_iPKfiiiPfSE_PS4_PT2_iSD_SD_,@function
_Z39paged_attention_ll4mi_QKV_mfma16_kernelI14__hip_bfloat16hLN4vllm18Fp8KVCacheDataTypeE1EhLi16ELi64ELi256ELb1ELi9EL8MFMAType0EEvPKT_PKT0_S9_ifPKiSB_SB_iPKfiiiPfSE_PS4_PT2_iSD_SD_: ; @_Z39paged_attention_ll4mi_QKV_mfma16_kernelI14__hip_bfloat16hLN4vllm18Fp8KVCacheDataTypeE1EhLi16ELi64ELi256ELb1ELi9EL8MFMAType0EEvPKT_PKT0_S9_ifPKiSB_SB_iPKfiiiPfSE_PS4_PT2_iSD_SD_
; %bb.0:
	s_load_b64 s[2:3], s[0:1], 0x30
	s_mov_b32 s34, s13
	s_waitcnt lgkmcnt(0)
	s_cmp_lg_u64 s[2:3], 0
	s_cselect_b32 s8, -1, 0
	s_ashr_i32 s35, s13, 31
	s_cmp_eq_u64 s[2:3], 0
	s_cbranch_scc1 .LBB1670_3
; %bb.1:
	s_lshl_b64 s[4:5], s[34:35], 2
	s_delay_alu instid0(SALU_CYCLE_1) | instskip(SKIP_4) | instid1(SALU_CYCLE_1)
	s_add_u32 s4, s2, s4
	s_addc_u32 s5, s3, s5
	s_load_b64 s[4:5], s[4:5], 0x0
	s_waitcnt lgkmcnt(0)
	s_sub_i32 s4, s5, s4
	s_cmp_eq_u32 s4, 1
	s_cselect_b32 s4, -1, 0
	s_delay_alu instid0(SALU_CYCLE_1)
	s_and_not1_b32 vcc_lo, exec_lo, s4
	s_cbranch_vccz .LBB1670_4
.LBB1670_2:
	s_nop 0
	s_sendmsg sendmsg(MSG_DEALLOC_VGPRS)
	s_endpgm
.LBB1670_3:
.LBB1670_4:
	s_load_b64 s[4:5], s[0:1], 0x28
	s_lshl_b64 s[6:7], s[34:35], 2
	s_waitcnt lgkmcnt(0)
	s_add_u32 s4, s4, s6
	s_addc_u32 s5, s5, s7
	s_lshl_b32 s12, s14, 8
	s_load_b32 s24, s[4:5], 0x0
	s_waitcnt lgkmcnt(0)
	s_cmp_ge_i32 s12, s24
	s_cbranch_scc1 .LBB1670_2
; %bb.5:
	s_clause 0x1
	s_load_b128 s[20:23], s[0:1], 0x8
	s_load_b64 s[4:5], s[0:1], 0x20
	s_and_not1_b32 vcc_lo, exec_lo, s8
	s_cbranch_vccnz .LBB1670_7
; %bb.6:
	s_add_u32 s2, s2, s6
	s_addc_u32 s3, s3, s7
	s_load_b32 s3, s[2:3], 0x0
	s_branch .LBB1670_8
.LBB1670_7:
	s_mov_b32 s3, s34
.LBB1670_8:
	s_load_b128 s[16:19], s[0:1], 0x48
	v_lshrrev_b32_e32 v66, 5, v0
	v_bfe_u32 v74, v0, 4, 1
	v_and_b32_e32 v65, 15, v0
	v_and_b32_e32 v67, 31, v0
	;; [unrolled: 1-line block ×3, first 2 shown]
	s_mul_i32 s31, s15, 9
	v_lshl_or_b32 v1, v66, 1, v74
	v_lshlrev_b32_e32 v2, 3, v65
	v_cmp_gt_u32_e64 s2, 8, v65
	s_delay_alu instid0(VALU_DEP_3) | instskip(NEXT) | instid1(VALU_DEP_3)
	v_cmp_gt_u32_e32 vcc_lo, 9, v1
	v_lshlrev_b32_e32 v73, 1, v2
	s_delay_alu instid0(VALU_DEP_3) | instskip(NEXT) | instid1(SALU_CYCLE_1)
	s_and_b32 s7, s2, vcc_lo
	s_and_saveexec_b32 s6, s7
	s_cbranch_execz .LBB1670_10
; %bb.9:
	s_load_b64 s[8:9], s[0:1], 0x0
	v_add_lshl_u32 v2, v1, s31, 6
	s_waitcnt lgkmcnt(0)
	s_mul_hi_i32 s11, s3, s16
	s_mul_i32 s10, s3, s16
	v_lshlrev_b32_e32 v6, 10, v65
	s_lshl_b64 s[10:11], s[10:11], 1
	v_ashrrev_i32_e32 v3, 31, v2
	v_lshlrev_b32_e32 v1, 6, v1
	v_lshlrev_b32_e32 v7, 10, v75
	v_and_b32_e32 v6, 0x3800, v6
	s_delay_alu instid0(VALU_DEP_4) | instskip(NEXT) | instid1(VALU_DEP_2)
	v_lshlrev_b64 v[2:3], 1, v[2:3]
	v_or3_b32 v1, v6, v7, v1
	s_add_u32 s3, s8, s10
	s_addc_u32 s7, s9, s11
	s_delay_alu instid0(VALU_DEP_2) | instskip(NEXT) | instid1(VALU_DEP_3)
	v_add_co_u32 v2, vcc_lo, s3, v2
	v_add_co_ci_u32_e32 v3, vcc_lo, s7, v3, vcc_lo
	s_delay_alu instid0(VALU_DEP_2) | instskip(NEXT) | instid1(VALU_DEP_2)
	v_add_co_u32 v2, vcc_lo, v2, v73
	v_add_co_ci_u32_e32 v3, vcc_lo, 0, v3, vcc_lo
	global_load_b128 v[2:5], v[2:3], off
	s_waitcnt vmcnt(0)
	ds_store_b128 v1, v[2:5]
.LBB1670_10:
	s_or_b32 exec_lo, exec_lo, s6
	v_and_b32_e32 v1, 0xef, v0
	s_waitcnt lgkmcnt(0)
	s_add_i32 s3, s24, 15
	s_clause 0x1
	s_load_b32 s6, s[0:1], 0x38
	s_load_b32 s19, s[0:1], 0x1c
	s_ashr_i32 s7, s3, 31
	v_add_nc_u32_e32 v1, s12, v1
	s_lshr_b32 s7, s7, 28
	s_waitcnt lgkmcnt(0)
	s_add_i32 s3, s3, s7
	s_barrier
	v_ashrrev_i32_e32 v2, 31, v1
	v_or_b32_e32 v3, 16, v1
	s_ashr_i32 s3, s3, 4
	v_cmp_gt_i32_e32 vcc_lo, s24, v1
	s_add_i32 s3, s3, -1
	v_lshrrev_b32_e32 v2, 28, v2
	buffer_gl0_inv
	s_mul_i32 s27, s15, s18
	v_add_nc_u32_e32 v4, v1, v2
	s_mul_i32 s6, s34, s6
	s_delay_alu instid0(SALU_CYCLE_1) | instskip(NEXT) | instid1(VALU_DEP_1)
	s_ashr_i32 s7, s6, 31
	v_ashrrev_i32_e32 v4, 4, v4
	v_add_nc_u32_e32 v2, v3, v2
	s_lshl_b64 s[6:7], s[6:7], 2
	s_delay_alu instid0(SALU_CYCLE_1) | instskip(NEXT) | instid1(VALU_DEP_2)
	s_add_u32 s26, s4, s6
	v_cndmask_b32_e32 v1, s3, v4, vcc_lo
	s_delay_alu instid0(VALU_DEP_2)
	v_ashrrev_i32_e32 v2, 4, v2
	v_cmp_gt_i32_e32 vcc_lo, s24, v3
	s_addc_u32 s25, s5, s7
	s_ashr_i32 s28, s27, 31
	s_add_u32 s13, s20, s27
	s_addc_u32 s15, s21, s28
	v_cndmask_b32_e32 v3, s3, v2, vcc_lo
	v_ashrrev_i32_e32 v2, 31, v1
	s_lshl_b32 s4, s14, 4
	s_delay_alu instid0(SALU_CYCLE_1) | instskip(NEXT) | instid1(VALU_DEP_2)
	s_ashr_i32 s5, s4, 31
	v_ashrrev_i32_e32 v4, 31, v3
	s_delay_alu instid0(VALU_DEP_2) | instskip(SKIP_1) | instid1(SALU_CYCLE_1)
	v_lshlrev_b64 v[1:2], 2, v[1:2]
	s_lshl_b64 s[4:5], s[4:5], 2
	s_add_u32 s4, s26, s4
	s_delay_alu instid0(VALU_DEP_2) | instskip(SKIP_1) | instid1(VALU_DEP_2)
	v_lshlrev_b64 v[3:4], 2, v[3:4]
	s_addc_u32 s5, s25, s5
	v_add_co_u32 v1, vcc_lo, s26, v1
	v_add_co_ci_u32_e32 v2, vcc_lo, s25, v2, vcc_lo
	s_delay_alu instid0(VALU_DEP_3) | instskip(NEXT) | instid1(VALU_DEP_4)
	v_add_co_u32 v3, vcc_lo, s26, v3
	v_add_co_ci_u32_e32 v4, vcc_lo, s25, v4, vcc_lo
	s_clause 0x1
	global_load_b32 v5, v[1:2], off
	global_load_b32 v7, v[3:4], off
	s_or_b32 s6, s12, 32
	v_lshlrev_b32_e32 v1, 4, v0
	s_ashr_i32 s7, s6, 4
	s_cmp_lt_i32 s6, s24
	v_cmp_gt_u32_e32 vcc_lo, 9, v65
	s_cselect_b32 s6, s7, s3
	v_and_b32_e32 v1, 0xf0, v1
	s_ashr_i32 s7, s6, 31
	s_delay_alu instid0(SALU_CYCLE_1) | instskip(NEXT) | instid1(SALU_CYCLE_1)
	s_lshl_b64 s[6:7], s[6:7], 2
	s_add_u32 s6, s26, s6
	s_addc_u32 s7, s25, s7
	s_or_b32 s8, s12, 64
	v_add_co_u32 v1, s13, s13, v1
	s_ashr_i32 s9, s8, 4
	s_cmp_lt_i32 s8, s24
	v_add_co_ci_u32_e64 v2, null, s15, 0, s13
	s_cselect_b32 s8, s9, s3
	s_delay_alu instid0(SALU_CYCLE_1) | instskip(NEXT) | instid1(SALU_CYCLE_1)
	s_ashr_i32 s9, s8, 31
	s_lshl_b64 s[8:9], s[8:9], 2
	s_delay_alu instid0(SALU_CYCLE_1) | instskip(SKIP_2) | instid1(SALU_CYCLE_1)
	s_add_u32 s8, s26, s8
	s_addc_u32 s9, s25, s9
	s_or_b32 s10, s12, 0x60
	s_ashr_i32 s11, s10, 4
	s_cmp_lt_i32 s10, s24
	s_cselect_b32 s10, s11, s3
	s_delay_alu instid0(SALU_CYCLE_1) | instskip(NEXT) | instid1(SALU_CYCLE_1)
	s_ashr_i32 s11, s10, 31
	s_lshl_b64 s[10:11], s[10:11], 2
	s_delay_alu instid0(SALU_CYCLE_1) | instskip(SKIP_2) | instid1(SALU_CYCLE_1)
	s_add_u32 s10, s26, s10
	s_addc_u32 s11, s25, s11
	s_or_b32 s16, s12, 0x80
	s_ashr_i32 s18, s16, 4
	s_cmp_lt_i32 s16, s24
	;; [unrolled: 10-line block ×3, first 2 shown]
	s_cselect_b32 s20, s18, s3
	s_delay_alu instid0(SALU_CYCLE_1) | instskip(NEXT) | instid1(SALU_CYCLE_1)
	s_ashr_i32 s21, s20, 31
	s_lshl_b64 s[20:21], s[20:21], 2
	s_delay_alu instid0(SALU_CYCLE_1)
	s_add_u32 s38, s26, s20
	s_addc_u32 s39, s25, s21
	s_clause 0x5
	s_load_b32 s21, s[4:5], 0x0
	s_load_b32 s13, s[6:7], 0x0
	s_load_b32 s15, s[8:9], 0x0
	s_load_b32 s16, s[10:11], 0x0
	s_load_b32 s18, s[36:37], 0x0
	s_load_b32 s20, s[38:39], 0x0
	s_or_b32 s8, s12, 0xc0
	s_mov_b32 s4, 0
	s_ashr_i32 s9, s8, 4
	s_cmp_lt_i32 s8, s24
	s_mov_b32 s11, s4
	s_cselect_b32 s36, s9, s3
	s_mov_b32 s5, s4
	s_ashr_i32 s37, s36, 31
	s_mov_b32 s6, s4
	s_lshl_b64 s[36:37], s[36:37], 2
	s_mov_b32 s7, s4
	s_add_u32 s36, s26, s36
	s_addc_u32 s37, s25, s37
	s_or_b32 s29, s12, 0xe0
	s_mov_b32 s8, s4
	s_ashr_i32 s30, s29, 4
	s_mov_b32 s9, s4
	s_mov_b32 s10, s4
	s_cmp_lt_i32 s29, s24
	v_dual_mov_b32 v107, s11 :: v_dual_mov_b32 v100, s4
	v_mov_b32_e32 v106, s10
	v_dual_mov_b32 v104, s8 :: v_dual_mov_b32 v103, s7
	v_dual_mov_b32 v102, s6 :: v_dual_mov_b32 v101, s5
	s_waitcnt vmcnt(1)
	v_mad_i64_i32 v[3:4], null, v5, s17, v[1:2]
	s_waitcnt vmcnt(0)
	v_mad_i64_i32 v[5:6], null, v7, s17, v[1:2]
	v_add_nc_u32_e32 v1, -9, v65
	v_lshlrev_b32_e32 v2, 4, v65
	s_clause 0x7
	global_load_b128 v[49:52], v[3:4], off
	global_load_b128 v[53:56], v[3:4], off offset:256
	global_load_b128 v[76:79], v[5:6], off
	global_load_b128 v[80:83], v[5:6], off offset:256
	global_load_b128 v[84:87], v[3:4], off offset:512
	;; [unrolled: 1-line block ×5, first 2 shown]
	v_cndmask_b32_e32 v1, v1, v65, vcc_lo
	v_mov_b32_e32 v105, s9
	s_cselect_b32 s4, s30, s3
	v_lshl_or_b32 v2, v66, 8, v2
	s_ashr_i32 s5, s4, 31
	v_lshlrev_b32_e32 v70, 6, v1
	s_lshl_b64 s[4:5], s[4:5], 2
	s_load_b32 s3, s[36:37], 0x0
	s_add_u32 s4, s26, s4
	s_addc_u32 s5, s25, s5
	ds_load_b128 v[108:111], v70
	ds_load_b128 v[112:115], v70 offset:1024
	s_load_b32 s4, s[4:5], 0x0
	s_add_u32 s6, s22, s27
	s_addc_u32 s7, s23, s28
	v_add_co_u32 v9, s6, s6, v2
	s_delay_alu instid0(VALU_DEP_1) | instskip(SKIP_1) | instid1(VALU_DEP_1)
	v_add_co_ci_u32_e64 v10, null, s7, 0, s6
	s_waitcnt lgkmcnt(0)
	v_mad_i64_i32 v[1:2], null, s21, s17, v[9:10]
	v_mad_i64_i32 v[3:4], null, s13, s17, v[9:10]
	;; [unrolled: 1-line block ×7, first 2 shown]
	s_clause 0x9
	global_load_b128 v[57:60], v[1:2], off
	global_load_b128 v[61:64], v[1:2], off offset:16
	global_load_b128 v[41:44], v[3:4], off
	global_load_b128 v[45:48], v[3:4], off offset:16
	;; [unrolled: 2-line block ×5, first 2 shown]
	v_mad_i64_i32 v[68:69], null, s4, s17, v[9:10]
	s_clause 0x3
	global_load_b128 v[9:12], v[13:14], off
	global_load_b128 v[13:16], v[13:14], off offset:16
	global_load_b128 v[17:20], v[21:22], off
	global_load_b128 v[21:24], v[21:22], off offset:16
	s_waitcnt vmcnt(20)
	v_wmma_f32_16x16x16_bf16 v[116:123], v[49:56], v[108:115], v[100:107]
	s_clause 0x1
	global_load_b128 v[49:52], v[68:69], off
	global_load_b128 v[53:56], v[68:69], off offset:16
	v_and_b32_e32 v68, 0xe0, v0
	v_mbcnt_lo_u32_b32 v69, -1, 0
	s_delay_alu instid0(VALU_DEP_2)
	v_add_nc_u32_e32 v68, s12, v68
	s_waitcnt vmcnt(20)
	v_wmma_f32_16x16x16_bf16 v[100:107], v[76:83], v[108:115], v[100:107]
	ds_load_b128 v[76:79], v70 offset:2048
	ds_load_b128 v[80:83], v70 offset:3072
	v_xor_b32_e32 v70, 16, v69
	s_waitcnt vmcnt(0) lgkmcnt(0)
	v_or_b32_e32 v68, v68, v74
	s_barrier
	buffer_gl0_inv
	v_cmp_gt_i32_e32 vcc_lo, 32, v70
	v_or_b32_e32 v71, 4, v68
	v_or_b32_e32 v72, 6, v68
	v_cmp_gt_i32_e64 s3, s24, v68
	v_or_b32_e32 v108, 8, v68
	v_or_b32_e32 v109, 10, v68
	v_cmp_gt_i32_e64 s4, s24, v71
	v_cmp_gt_i32_e64 s5, s24, v72
	s_delay_alu instid0(VALU_DEP_4) | instskip(NEXT) | instid1(VALU_DEP_4)
	v_cmp_gt_i32_e64 s6, s24, v108
	v_cmp_gt_i32_e64 s7, s24, v109
	v_wmma_f32_16x16x16_bf16 v[116:123], v[84:91], v[76:83], v[116:123]
	v_cndmask_b32_e32 v69, v69, v70, vcc_lo
	v_or_b32_e32 v70, 2, v68
	v_wmma_f32_16x16x16_bf16 v[100:107], v[92:99], v[76:83], v[100:107]
	v_or_b32_e32 v89, 22, v68
	v_dual_mul_f32 v82, s19, v119 :: v_dual_mul_f32 v79, s19, v122
	v_dual_mul_f32 v92, s19, v117 :: v_dual_mul_f32 v93, s19, v116
	s_delay_alu instid0(VALU_DEP_4) | instskip(SKIP_2) | instid1(VALU_DEP_4)
	v_mul_f32_e32 v98, s19, v103
	v_cmp_gt_i32_e32 vcc_lo, s24, v70
	v_dual_mul_f32 v83, s19, v118 :: v_dual_mul_f32 v96, s19, v105
	v_cndmask_b32_e64 v93, 0xff7fffff, v93, s3
	v_or_b32_e32 v84, 12, v68
	v_cndmask_b32_e32 v92, 0xff7fffff, v92, vcc_lo
	v_or_b32_e32 v85, 14, v68
	v_dual_mul_f32 v80, s19, v121 :: v_dual_mul_f32 v81, s19, v120
	v_mul_f32_e32 v94, s19, v107
	v_cndmask_b32_e64 v71, 0xff7fffff, v83, s4
	v_cndmask_b32_e64 v72, 0xff7fffff, v82, s5
	v_cmp_gt_i32_e64 s13, s24, v89
	v_lshlrev_b32_e32 v89, 2, v69
	v_max3_f32 v82, v93, 0xff7fffff, v92
	v_or_b32_e32 v86, 16, v68
	v_or_b32_e32 v87, 18, v68
	v_mul_f32_e32 v78, s19, v123
	v_cndmask_b32_e64 v81, 0xff7fffff, v81, s6
	v_cndmask_b32_e64 v80, 0xff7fffff, v80, s7
	v_max3_f32 v71, v82, v71, v72
	v_cmp_gt_i32_e64 s8, s24, v84
	v_cmp_gt_i32_e64 s9, s24, v85
	v_or_b32_e32 v88, 20, v68
	v_or_b32_e32 v90, 24, v68
	;; [unrolled: 1-line block ×5, first 2 shown]
	v_dual_mul_f32 v95, s19, v106 :: v_dual_mul_f32 v70, s19, v101
	v_dual_mul_f32 v99, s19, v102 :: v_dual_mul_f32 v68, s19, v100
	v_cndmask_b32_e64 v72, 0xff7fffff, v79, s8
	v_cndmask_b32_e64 v78, 0xff7fffff, v78, s9
	v_max3_f32 v71, v71, v81, v80
	v_cmp_gt_i32_e64 s10, s24, v86
	v_cmp_gt_i32_e64 s11, s24, v87
	;; [unrolled: 1-line block ×3, first 2 shown]
	v_mul_f32_e32 v97, s19, v104
	v_max3_f32 v71, v71, v72, v78
	v_cndmask_b32_e64 v68, 0xff7fffff, v68, s10
	v_cndmask_b32_e64 v70, 0xff7fffff, v70, s11
	;; [unrolled: 1-line block ×4, first 2 shown]
	v_cmp_gt_i32_e64 s15, s24, v90
	v_cmp_gt_i32_e64 s16, s24, v91
	v_max3_f32 v68, v71, v68, v70
	v_cmp_gt_i32_e64 s17, s24, v76
	v_cmp_gt_i32_e64 s18, s24, v77
	v_cndmask_b32_e64 v70, 0xff7fffff, v97, s15
	v_cndmask_b32_e64 v71, 0xff7fffff, v96, s16
	v_max3_f32 v68, v68, v72, v78
	v_cndmask_b32_e64 v72, 0xff7fffff, v95, s17
	v_cndmask_b32_e64 v76, 0xff7fffff, v94, s18
	s_delay_alu instid0(VALU_DEP_3) | instskip(NEXT) | instid1(VALU_DEP_1)
	v_max3_f32 v68, v68, v70, v71
	v_max3_f32 v68, v68, v72, v76
	ds_bpermute_b32 v69, v89, v68
	s_waitcnt lgkmcnt(0)
	v_max_f32_e32 v69, v69, v69
	s_delay_alu instid0(VALU_DEP_1) | instskip(NEXT) | instid1(VALU_DEP_1)
	v_max_f32_e32 v68, v68, v69
	v_fma_f32 v69, s19, v116, -v68
	v_fma_f32 v70, s19, v117, -v68
	;; [unrolled: 1-line block ×5, first 2 shown]
	s_delay_alu instid0(VALU_DEP_4) | instskip(NEXT) | instid1(VALU_DEP_4)
	v_dual_mul_f32 v69, 0x3fb8aa3b, v69 :: v_dual_mul_f32 v70, 0x3fb8aa3b, v70
	v_mul_f32_e32 v72, 0x3fb8aa3b, v72
	v_fma_f32 v78, s19, v122, -v68
	s_delay_alu instid0(VALU_DEP_4) | instskip(NEXT) | instid1(VALU_DEP_4)
	v_mul_f32_e32 v77, 0x3fb8aa3b, v76
	v_exp_f32_e32 v69, v69
	v_exp_f32_e32 v70, v70
	v_mul_f32_e32 v71, 0x3fb8aa3b, v71
	v_exp_f32_e32 v72, v72
	v_mul_f32_e32 v78, 0x3fb8aa3b, v78
	v_exp_f32_e32 v77, v77
	v_fma_f32 v81, s19, v105, -v68
	s_delay_alu instid0(VALU_DEP_2)
	v_exp_f32_e32 v78, v78
	v_cndmask_b32_e64 v80, 0, v69, s3
	v_cndmask_b32_e32 v76, 0, v70, vcc_lo
	v_exp_f32_e32 v71, v71
	v_fma_f32 v69, s19, v121, -v68
	v_cndmask_b32_e64 v85, 0, v72, s5
	v_add_f32_e32 v70, 0, v80
	s_delay_alu instid0(TRANS32_DEP_3)
	v_cndmask_b32_e64 v86, 0, v77, s6
	v_fma_f32 v77, s19, v101, -v68
	v_mul_f32_e32 v69, 0x3fb8aa3b, v69
	v_fma_f32 v72, s19, v100, -v68
	v_cndmask_b32_e64 v84, 0, v78, s8
	v_fma_f32 v78, s19, v103, -v68
	v_cndmask_b32_e64 v83, 0, v71, s4
	v_fma_f32 v71, s19, v123, -v68
	v_add_f32_e32 v70, v70, v76
	v_exp_f32_e32 v69, v69
	v_mul_f32_e32 v77, 0x3fb8aa3b, v77
	v_mul_f32_e32 v81, 0x3fb8aa3b, v81
	;; [unrolled: 1-line block ×3, first 2 shown]
	v_add_f32_e32 v70, v70, v83
	v_cmp_gt_u32_e64 s3, 16, v67
	v_exp_f32_e32 v77, v77
	v_exp_f32_e32 v81, v81
	;; [unrolled: 1-line block ×3, first 2 shown]
	v_cndmask_b32_e64 v87, 0, v69, s7
	v_add_f32_e32 v70, v70, v85
	s_delay_alu instid0(VALU_DEP_1) | instskip(SKIP_1) | instid1(VALU_DEP_2)
	v_dual_mul_f32 v72, 0x3fb8aa3b, v72 :: v_dual_add_f32 v69, v70, v86
	v_fma_f32 v70, s19, v102, -v68
	v_exp_f32_e32 v72, v72
	s_waitcnt_depctr 0xfff
	v_cndmask_b32_e64 v88, 0, v71, s9
	v_fma_f32 v71, s19, v104, -v68
	v_dual_add_f32 v69, v69, v87 :: v_dual_mul_f32 v70, 0x3fb8aa3b, v70
	s_delay_alu instid0(VALU_DEP_2) | instskip(NEXT) | instid1(VALU_DEP_2)
	v_dual_mul_f32 v78, 0x3fb8aa3b, v78 :: v_dual_mul_f32 v71, 0x3fb8aa3b, v71
	v_add_f32_e32 v69, v69, v84
	s_delay_alu instid0(VALU_DEP_3) | instskip(SKIP_1) | instid1(VALU_DEP_3)
	v_exp_f32_e32 v79, v70
	v_cndmask_b32_e64 v70, 0, v72, s10
	v_exp_f32_e32 v78, v78
	v_exp_f32_e32 v82, v71
	v_add_f32_e32 v72, v69, v88
	v_cndmask_b32_e64 v69, 0, v77, s11
	v_fma_f32 v77, s19, v106, -v68
	s_delay_alu instid0(VALU_DEP_3) | instskip(NEXT) | instid1(TRANS32_DEP_3)
	v_add_f32_e32 v72, v72, v70
	v_cndmask_b32_e64 v71, 0, v79, s12
	s_delay_alu instid0(VALU_DEP_3) | instskip(NEXT) | instid1(VALU_DEP_3)
	v_mul_f32_e32 v77, 0x3fb8aa3b, v77
	v_add_f32_e32 v79, v72, v69
	s_delay_alu instid0(TRANS32_DEP_2) | instskip(NEXT) | instid1(VALU_DEP_3)
	v_cndmask_b32_e64 v72, 0, v78, s13
	v_exp_f32_e32 v90, v77
	v_cndmask_b32_e64 v77, 0, v82, s15
	s_delay_alu instid0(VALU_DEP_3) | instskip(SKIP_1) | instid1(VALU_DEP_1)
	v_add_f32_e32 v78, v79, v71
	v_fma_f32 v79, s19, v107, -v68
	v_dual_add_f32 v82, v78, v72 :: v_dual_mul_f32 v79, 0x3fb8aa3b, v79
	v_cndmask_b32_e64 v78, 0, v81, s16
	s_delay_alu instid0(VALU_DEP_2) | instskip(NEXT) | instid1(VALU_DEP_3)
	v_add_f32_e32 v81, v82, v77
	v_exp_f32_e32 v82, v79
	s_delay_alu instid0(TRANS32_DEP_2) | instskip(NEXT) | instid1(VALU_DEP_2)
	v_cndmask_b32_e64 v79, 0, v90, s17
	v_add_f32_e32 v81, v81, v78
	s_delay_alu instid0(VALU_DEP_1) | instskip(SKIP_2) | instid1(VALU_DEP_1)
	v_add_f32_e32 v90, v81, v79
	s_waitcnt_depctr 0xfff
	v_cndmask_b32_e64 v81, 0, v82, s18
	v_add_f32_e32 v82, v90, v81
	ds_bpermute_b32 v89, v89, v82
	s_and_saveexec_b32 s4, s3
	s_cbranch_execz .LBB1670_12
; %bb.11:
	v_mul_u32_u24_e32 v67, 0x44, v66
	s_delay_alu instid0(VALU_DEP_1) | instskip(SKIP_1) | instid1(VALU_DEP_1)
	v_lshl_add_u32 v67, v65, 2, v67
	s_waitcnt lgkmcnt(0)
	v_dual_add_f32 v82, v82, v89 :: v_dual_add_nc_u32 v67, 0x4000, v67
	ds_store_2addr_b32 v67, v68, v82 offset1:136
.LBB1670_12:
	s_or_b32 exec_lo, exec_lo, s4
	v_lshlrev_b32_e32 v67, 2, v65
	s_waitcnt lgkmcnt(0)
	s_barrier
	buffer_gl0_inv
	v_cmp_eq_u32_e32 vcc_lo, 1, v66
	v_add_nc_u32_e32 v82, 0x4000, v67
	v_cmp_eq_u32_e64 s4, 2, v66
	v_cmp_eq_u32_e64 s6, 7, v66
	ds_load_2addr_b32 v[89:90], v82 offset1:17
	ds_load_2addr_b32 v[91:92], v82 offset0:34 offset1:51
	ds_load_2addr_b32 v[93:94], v82 offset0:68 offset1:85
	;; [unrolled: 1-line block ×4, first 2 shown]
	s_waitcnt lgkmcnt(4)
	v_max3_f32 v67, v89, 0xff7fffff, v90
	s_waitcnt lgkmcnt(3)
	s_delay_alu instid0(VALU_DEP_1) | instskip(SKIP_1) | instid1(VALU_DEP_1)
	v_max3_f32 v67, v67, v91, v92
	s_waitcnt lgkmcnt(2)
	v_max3_f32 v67, v67, v93, v94
	s_waitcnt lgkmcnt(1)
	s_delay_alu instid0(VALU_DEP_1) | instskip(NEXT) | instid1(VALU_DEP_1)
	v_max3_f32 v67, v67, v95, v96
	v_sub_f32_e32 v93, v93, v67
	s_delay_alu instid0(VALU_DEP_1) | instskip(NEXT) | instid1(VALU_DEP_1)
	v_dual_sub_f32 v68, v89, v67 :: v_dual_mul_f32 v103, 0x3fb8aa3b, v93
	v_mul_f32_e32 v68, 0x3fb8aa3b, v68
	s_delay_alu instid0(VALU_DEP_1)
	v_exp_f32_e32 v100, v68
	v_sub_f32_e32 v68, v92, v67
	v_sub_f32_e32 v99, v90, v67
	ds_load_2addr_b32 v[89:90], v82 offset0:170 offset1:187
	v_dual_mul_f32 v102, 0x3fb8aa3b, v68 :: v_dual_mul_f32 v99, 0x3fb8aa3b, v99
	s_waitcnt lgkmcnt(1)
	v_fma_f32 v68, v100, v97, 0
	s_delay_alu instid0(VALU_DEP_2) | instskip(NEXT) | instid1(VALU_DEP_2)
	v_exp_f32_e32 v102, v102
	v_exp_f32_e32 v99, v99
	s_waitcnt_depctr 0xfff
	v_fmac_f32_e32 v68, v99, v98
	v_sub_f32_e32 v91, v91, v67
	s_delay_alu instid0(VALU_DEP_1)
	v_mul_f32_e32 v101, 0x3fb8aa3b, v91
	ds_load_2addr_b32 v[91:92], v82 offset0:204 offset1:221
	v_sub_f32_e32 v97, v94, v67
	ds_load_2addr_b32 v[93:94], v82 offset0:238 offset1:255
	s_waitcnt lgkmcnt(0)
	v_exp_f32_e32 v101, v101
	s_barrier
	buffer_gl0_inv
	v_dual_fmac_f32 v68, v101, v89 :: v_dual_sub_f32 v89, v96, v67
	v_dual_sub_f32 v82, v95, v67 :: v_dual_mul_f32 v95, 0x3fb8aa3b, v97
	v_exp_f32_e32 v97, v103
	s_delay_alu instid0(VALU_DEP_2) | instskip(NEXT) | instid1(VALU_DEP_2)
	v_dual_fmac_f32 v68, v102, v90 :: v_dual_mul_f32 v89, 0x3fb8aa3b, v89
	v_mul_f32_e32 v82, 0x3fb8aa3b, v82
	s_delay_alu instid0(VALU_DEP_3) | instskip(NEXT) | instid1(VALU_DEP_2)
	v_exp_f32_e32 v95, v95
	v_exp_f32_e32 v89, v89
	s_delay_alu instid0(VALU_DEP_1)
	v_exp_f32_e32 v82, v82
	v_fmac_f32_e32 v68, v97, v91
	s_delay_alu instid0(TRANS32_DEP_3) | instid1(VALU_DEP_1)
	v_fmac_f32_e32 v68, v95, v92
	s_waitcnt_depctr 0xfff
	v_fmac_f32_e32 v68, v82, v93
	s_delay_alu instid0(VALU_DEP_1) | instskip(NEXT) | instid1(VALU_DEP_1)
	v_fmac_f32_e32 v68, v89, v94
	v_add_f32_e32 v90, 0x358637bd, v68
	s_delay_alu instid0(VALU_DEP_1) | instskip(NEXT) | instid1(VALU_DEP_1)
	v_div_scale_f32 v91, null, v90, v90, 1.0
	v_rcp_f32_e32 v92, v91
	s_waitcnt_depctr 0xfff
	v_fma_f32 v93, -v91, v92, 1.0
	s_delay_alu instid0(VALU_DEP_1) | instskip(SKIP_1) | instid1(VALU_DEP_2)
	v_dual_fmac_f32 v92, v93, v92 :: v_dual_cndmask_b32 v93, v100, v99
	v_cmp_eq_u32_e32 vcc_lo, 3, v66
	v_cndmask_b32_e64 v93, v93, v101, s4
	v_cmp_eq_u32_e64 s4, 4, v66
	s_delay_alu instid0(VALU_DEP_2) | instskip(SKIP_1) | instid1(VALU_DEP_2)
	v_cndmask_b32_e32 v93, v93, v102, vcc_lo
	v_cmp_eq_u32_e32 vcc_lo, 5, v66
	v_cndmask_b32_e64 v93, v93, v97, s4
	v_cmp_eq_u32_e64 s4, 6, v66
	s_delay_alu instid0(VALU_DEP_2) | instskip(SKIP_1) | instid1(VALU_DEP_1)
	v_cndmask_b32_e32 v93, v93, v95, vcc_lo
	v_div_scale_f32 v94, s5, 1.0, v90, 1.0
	s_mov_b32 vcc_lo, s5
	s_delay_alu instid0(VALU_DEP_2) | instskip(NEXT) | instid1(VALU_DEP_2)
	v_cndmask_b32_e64 v82, v93, v82, s4
	v_mul_f32_e32 v96, v94, v92
	s_mov_b32 s4, exec_lo
	s_delay_alu instid0(VALU_DEP_2) | instskip(NEXT) | instid1(VALU_DEP_2)
	v_cndmask_b32_e64 v82, v82, v89, s6
	v_fma_f32 v98, -v91, v96, v94
	s_delay_alu instid0(VALU_DEP_1) | instskip(NEXT) | instid1(VALU_DEP_1)
	v_fmac_f32_e32 v96, v98, v92
	v_fma_f32 v91, -v91, v96, v94
	s_delay_alu instid0(VALU_DEP_1) | instskip(NEXT) | instid1(VALU_DEP_1)
	v_div_fmas_f32 v91, v91, v92, v96
	v_div_fixup_f32 v90, v91, v90, 1.0
	s_delay_alu instid0(VALU_DEP_1) | instskip(NEXT) | instid1(VALU_DEP_1)
	v_mul_f32_e32 v82, v82, v90
	v_mul_f32_e32 v87, v82, v87
	;; [unrolled: 1-line block ×7, first 2 shown]
	v_dual_mul_f32 v86, v82, v83 :: v_dual_and_b32 v91, 0x7f800000, v90
	v_mul_f32_e32 v85, v82, v76
                                        ; implicit-def: $vgpr76
	s_delay_alu instid0(VALU_DEP_2)
	v_cmpx_ne_u32_e32 0x7f800000, v91
	s_xor_b32 s4, exec_lo, s4
; %bb.13:
	v_bfe_u32 v76, v90, 16, 1
	s_delay_alu instid0(VALU_DEP_1)
	v_add3_u32 v76, v90, v76, 0x7fff
                                        ; implicit-def: $vgpr90
; %bb.14:
	s_and_not1_saveexec_b32 s4, s4
; %bb.15:
	v_and_b32_e32 v76, 0xffff, v90
	v_or_b32_e32 v83, 0x10000, v90
	s_delay_alu instid0(VALU_DEP_2) | instskip(NEXT) | instid1(VALU_DEP_2)
	v_cmp_eq_u32_e32 vcc_lo, 0, v76
	v_cndmask_b32_e32 v76, v83, v90, vcc_lo
; %bb.16:
	s_or_b32 exec_lo, exec_lo, s4
	v_and_b32_e32 v83, 0x7f800000, v85
	s_delay_alu instid0(VALU_DEP_1) | instskip(SKIP_1) | instid1(SALU_CYCLE_1)
	v_cmp_ne_u32_e32 vcc_lo, 0x7f800000, v83
                                        ; implicit-def: $vgpr83
	s_and_saveexec_b32 s4, vcc_lo
	s_xor_b32 s4, exec_lo, s4
; %bb.17:
	v_bfe_u32 v83, v85, 16, 1
	s_delay_alu instid0(VALU_DEP_1)
	v_add3_u32 v83, v85, v83, 0x7fff
                                        ; implicit-def: $vgpr85
; %bb.18:
	s_and_not1_saveexec_b32 s4, s4
; %bb.19:
	v_and_b32_e32 v83, 0xffff, v85
	v_or_b32_e32 v90, 0x10000, v85
	s_delay_alu instid0(VALU_DEP_2) | instskip(NEXT) | instid1(VALU_DEP_2)
	v_cmp_eq_u32_e32 vcc_lo, 0, v83
	v_cndmask_b32_e32 v83, v90, v85, vcc_lo
; %bb.20:
	s_or_b32 exec_lo, exec_lo, s4
	v_and_b32_e32 v85, 0x7f800000, v86
	s_delay_alu instid0(VALU_DEP_1) | instskip(SKIP_1) | instid1(SALU_CYCLE_1)
	v_cmp_ne_u32_e32 vcc_lo, 0x7f800000, v85
                                        ; implicit-def: $vgpr85
	s_and_saveexec_b32 s4, vcc_lo
	s_xor_b32 s4, exec_lo, s4
; %bb.21:
	v_bfe_u32 v85, v86, 16, 1
	s_delay_alu instid0(VALU_DEP_1)
	v_add3_u32 v85, v86, v85, 0x7fff
                                        ; implicit-def: $vgpr86
; %bb.22:
	s_and_not1_saveexec_b32 s4, s4
; %bb.23:
	v_and_b32_e32 v85, 0xffff, v86
	v_or_b32_e32 v90, 0x10000, v86
	s_delay_alu instid0(VALU_DEP_2) | instskip(NEXT) | instid1(VALU_DEP_2)
	v_cmp_eq_u32_e32 vcc_lo, 0, v85
	v_cndmask_b32_e32 v85, v90, v86, vcc_lo
; %bb.24:
	s_or_b32 exec_lo, exec_lo, s4
	v_and_b32_e32 v86, 0x7f800000, v89
	s_delay_alu instid0(VALU_DEP_1) | instskip(SKIP_1) | instid1(SALU_CYCLE_1)
	v_cmp_ne_u32_e32 vcc_lo, 0x7f800000, v86
                                        ; implicit-def: $vgpr86
	s_and_saveexec_b32 s4, vcc_lo
	s_xor_b32 s4, exec_lo, s4
; %bb.25:
	v_bfe_u32 v86, v89, 16, 1
	s_delay_alu instid0(VALU_DEP_1)
	v_add3_u32 v86, v89, v86, 0x7fff
                                        ; implicit-def: $vgpr89
; %bb.26:
	s_and_not1_saveexec_b32 s4, s4
; %bb.27:
	v_and_b32_e32 v86, 0xffff, v89
	v_or_b32_e32 v90, 0x10000, v89
	s_delay_alu instid0(VALU_DEP_2) | instskip(NEXT) | instid1(VALU_DEP_2)
	v_cmp_eq_u32_e32 vcc_lo, 0, v86
	v_cndmask_b32_e32 v86, v90, v89, vcc_lo
; %bb.28:
	s_or_b32 exec_lo, exec_lo, s4
	v_and_b32_e32 v89, 0x7f800000, v88
	s_delay_alu instid0(VALU_DEP_1) | instskip(SKIP_1) | instid1(SALU_CYCLE_1)
	v_cmp_ne_u32_e32 vcc_lo, 0x7f800000, v89
                                        ; implicit-def: $vgpr89
	s_and_saveexec_b32 s4, vcc_lo
	s_xor_b32 s4, exec_lo, s4
; %bb.29:
	v_bfe_u32 v89, v88, 16, 1
	s_delay_alu instid0(VALU_DEP_1)
	v_add3_u32 v89, v88, v89, 0x7fff
                                        ; implicit-def: $vgpr88
; %bb.30:
	s_and_not1_saveexec_b32 s4, s4
; %bb.31:
	v_and_b32_e32 v89, 0xffff, v88
	v_or_b32_e32 v90, 0x10000, v88
	s_delay_alu instid0(VALU_DEP_2) | instskip(NEXT) | instid1(VALU_DEP_2)
	v_cmp_eq_u32_e32 vcc_lo, 0, v89
	v_cndmask_b32_e32 v89, v90, v88, vcc_lo
; %bb.32:
	s_or_b32 exec_lo, exec_lo, s4
	v_and_b32_e32 v88, 0x7f800000, v87
	s_delay_alu instid0(VALU_DEP_1) | instskip(SKIP_1) | instid1(SALU_CYCLE_1)
	v_cmp_ne_u32_e32 vcc_lo, 0x7f800000, v88
                                        ; implicit-def: $vgpr88
	s_and_saveexec_b32 s4, vcc_lo
	s_xor_b32 s4, exec_lo, s4
; %bb.33:
	v_bfe_u32 v88, v87, 16, 1
	s_delay_alu instid0(VALU_DEP_1)
	v_add3_u32 v88, v87, v88, 0x7fff
                                        ; implicit-def: $vgpr87
; %bb.34:
	s_and_not1_saveexec_b32 s4, s4
; %bb.35:
	v_and_b32_e32 v88, 0xffff, v87
	v_or_b32_e32 v90, 0x10000, v87
	s_delay_alu instid0(VALU_DEP_2) | instskip(NEXT) | instid1(VALU_DEP_2)
	v_cmp_eq_u32_e32 vcc_lo, 0, v88
	v_cndmask_b32_e32 v88, v90, v87, vcc_lo
; %bb.36:
	s_or_b32 exec_lo, exec_lo, s4
	v_and_b32_e32 v87, 0x7f800000, v84
	s_delay_alu instid0(VALU_DEP_1) | instskip(SKIP_1) | instid1(SALU_CYCLE_1)
	v_cmp_ne_u32_e32 vcc_lo, 0x7f800000, v87
                                        ; implicit-def: $vgpr87
	s_and_saveexec_b32 s4, vcc_lo
	s_xor_b32 s4, exec_lo, s4
; %bb.37:
	v_bfe_u32 v87, v84, 16, 1
	s_delay_alu instid0(VALU_DEP_1)
	v_add3_u32 v87, v84, v87, 0x7fff
                                        ; implicit-def: $vgpr84
; %bb.38:
	s_and_not1_saveexec_b32 s4, s4
; %bb.39:
	v_and_b32_e32 v87, 0xffff, v84
	v_or_b32_e32 v90, 0x10000, v84
	s_delay_alu instid0(VALU_DEP_2) | instskip(NEXT) | instid1(VALU_DEP_2)
	v_cmp_eq_u32_e32 vcc_lo, 0, v87
	v_cndmask_b32_e32 v87, v90, v84, vcc_lo
; %bb.40:
	s_or_b32 exec_lo, exec_lo, s4
	v_and_b32_e32 v84, 0x7f800000, v80
	s_delay_alu instid0(VALU_DEP_1) | instskip(SKIP_1) | instid1(SALU_CYCLE_1)
	v_cmp_ne_u32_e32 vcc_lo, 0x7f800000, v84
                                        ; implicit-def: $vgpr84
	s_and_saveexec_b32 s4, vcc_lo
	s_xor_b32 s4, exec_lo, s4
; %bb.41:
	v_bfe_u32 v84, v80, 16, 1
	s_delay_alu instid0(VALU_DEP_1)
	v_add3_u32 v84, v80, v84, 0x7fff
                                        ; implicit-def: $vgpr80
; %bb.42:
	s_and_not1_saveexec_b32 s4, s4
; %bb.43:
	v_and_b32_e32 v84, 0xffff, v80
	v_or_b32_e32 v90, 0x10000, v80
	s_delay_alu instid0(VALU_DEP_2) | instskip(NEXT) | instid1(VALU_DEP_2)
	v_cmp_eq_u32_e32 vcc_lo, 0, v84
	v_cndmask_b32_e32 v84, v90, v80, vcc_lo
; %bb.44:
	s_or_b32 exec_lo, exec_lo, s4
	s_load_b64 s[36:37], s[0:1], 0x94
	v_lshlrev_b32_e32 v91, 4, v74
	s_delay_alu instid0(VALU_DEP_2)
	v_perm_b32 v90, v84, v87, 0x7060302
	v_dual_mul_f32 v79, v82, v79 :: v_dual_lshlrev_b32 v80, 6, v65
	v_dual_mul_f32 v77, v82, v77 :: v_dual_lshlrev_b32 v92, 11, v66
	v_mul_f32_e32 v84, v82, v70
	v_perm_b32 v89, v88, v89, 0x7060302
	v_perm_b32 v88, v86, v85, 0x7060302
	;; [unrolled: 1-line block ×3, first 2 shown]
	v_mul_f32_e32 v70, v82, v81
	v_or3_b32 v76, v91, v92, v80
	v_dual_mul_f32 v78, v82, v78 :: v_dual_and_b32 v85, 0x7f800000, v84
	v_mul_f32_e32 v83, v82, v72
	v_mul_f32_e32 v81, v82, v71
	;; [unrolled: 1-line block ×3, first 2 shown]
	s_mov_b32 s4, exec_lo
	ds_store_b128 v76, v[87:90]
                                        ; implicit-def: $vgpr69
	v_cmpx_ne_u32_e32 0x7f800000, v85
	s_xor_b32 s4, exec_lo, s4
; %bb.45:
	v_bfe_u32 v69, v84, 16, 1
	s_delay_alu instid0(VALU_DEP_1)
	v_add3_u32 v69, v84, v69, 0x7fff
                                        ; implicit-def: $vgpr84
; %bb.46:
	s_and_not1_saveexec_b32 s4, s4
; %bb.47:
	v_and_b32_e32 v69, 0xffff, v84
	v_or_b32_e32 v71, 0x10000, v84
	s_delay_alu instid0(VALU_DEP_2) | instskip(NEXT) | instid1(VALU_DEP_2)
	v_cmp_eq_u32_e32 vcc_lo, 0, v69
	v_cndmask_b32_e32 v69, v71, v84, vcc_lo
; %bb.48:
	s_or_b32 exec_lo, exec_lo, s4
	v_and_b32_e32 v71, 0x7f800000, v72
	s_delay_alu instid0(VALU_DEP_1) | instskip(SKIP_1) | instid1(SALU_CYCLE_1)
	v_cmp_ne_u32_e32 vcc_lo, 0x7f800000, v71
                                        ; implicit-def: $vgpr71
	s_and_saveexec_b32 s4, vcc_lo
	s_xor_b32 s4, exec_lo, s4
; %bb.49:
	v_bfe_u32 v71, v72, 16, 1
	s_delay_alu instid0(VALU_DEP_1)
	v_add3_u32 v71, v72, v71, 0x7fff
                                        ; implicit-def: $vgpr72
; %bb.50:
	s_and_not1_saveexec_b32 s4, s4
; %bb.51:
	v_and_b32_e32 v71, 0xffff, v72
	v_or_b32_e32 v82, 0x10000, v72
	s_delay_alu instid0(VALU_DEP_2) | instskip(NEXT) | instid1(VALU_DEP_2)
	v_cmp_eq_u32_e32 vcc_lo, 0, v71
	v_cndmask_b32_e32 v71, v82, v72, vcc_lo
; %bb.52:
	s_or_b32 exec_lo, exec_lo, s4
	v_and_b32_e32 v72, 0x7f800000, v81
	s_delay_alu instid0(VALU_DEP_1) | instskip(SKIP_1) | instid1(SALU_CYCLE_1)
	v_cmp_ne_u32_e32 vcc_lo, 0x7f800000, v72
                                        ; implicit-def: $vgpr72
	s_and_saveexec_b32 s4, vcc_lo
	s_xor_b32 s4, exec_lo, s4
; %bb.53:
	v_bfe_u32 v72, v81, 16, 1
	s_delay_alu instid0(VALU_DEP_1)
	v_add3_u32 v72, v81, v72, 0x7fff
                                        ; implicit-def: $vgpr81
; %bb.54:
	s_and_not1_saveexec_b32 s4, s4
; %bb.55:
	v_and_b32_e32 v72, 0xffff, v81
	v_or_b32_e32 v82, 0x10000, v81
	s_delay_alu instid0(VALU_DEP_2) | instskip(NEXT) | instid1(VALU_DEP_2)
	v_cmp_eq_u32_e32 vcc_lo, 0, v72
	v_cndmask_b32_e32 v72, v82, v81, vcc_lo
; %bb.56:
	s_or_b32 exec_lo, exec_lo, s4
	v_and_b32_e32 v81, 0x7f800000, v83
	s_delay_alu instid0(VALU_DEP_1) | instskip(SKIP_1) | instid1(SALU_CYCLE_1)
	v_cmp_ne_u32_e32 vcc_lo, 0x7f800000, v81
                                        ; implicit-def: $vgpr81
	s_and_saveexec_b32 s4, vcc_lo
	s_xor_b32 s4, exec_lo, s4
; %bb.57:
	v_bfe_u32 v81, v83, 16, 1
	s_delay_alu instid0(VALU_DEP_1)
	v_add3_u32 v81, v83, v81, 0x7fff
                                        ; implicit-def: $vgpr83
; %bb.58:
	s_and_not1_saveexec_b32 s4, s4
; %bb.59:
	v_and_b32_e32 v81, 0xffff, v83
	v_or_b32_e32 v82, 0x10000, v83
	s_delay_alu instid0(VALU_DEP_2) | instskip(NEXT) | instid1(VALU_DEP_2)
	v_cmp_eq_u32_e32 vcc_lo, 0, v81
	v_cndmask_b32_e32 v81, v82, v83, vcc_lo
; %bb.60:
	s_or_b32 exec_lo, exec_lo, s4
	v_and_b32_e32 v82, 0x7f800000, v77
	s_delay_alu instid0(VALU_DEP_1) | instskip(SKIP_1) | instid1(SALU_CYCLE_1)
	v_cmp_ne_u32_e32 vcc_lo, 0x7f800000, v82
                                        ; implicit-def: $vgpr82
	s_and_saveexec_b32 s4, vcc_lo
	s_xor_b32 s4, exec_lo, s4
; %bb.61:
	v_bfe_u32 v82, v77, 16, 1
	s_delay_alu instid0(VALU_DEP_1)
	v_add3_u32 v82, v77, v82, 0x7fff
                                        ; implicit-def: $vgpr77
; %bb.62:
	s_and_not1_saveexec_b32 s4, s4
; %bb.63:
	v_and_b32_e32 v82, 0xffff, v77
	v_or_b32_e32 v83, 0x10000, v77
	s_delay_alu instid0(VALU_DEP_2) | instskip(NEXT) | instid1(VALU_DEP_2)
	v_cmp_eq_u32_e32 vcc_lo, 0, v82
	v_cndmask_b32_e32 v82, v83, v77, vcc_lo
; %bb.64:
	s_or_b32 exec_lo, exec_lo, s4
	v_and_b32_e32 v77, 0x7f800000, v78
	s_delay_alu instid0(VALU_DEP_1) | instskip(SKIP_1) | instid1(SALU_CYCLE_1)
	v_cmp_ne_u32_e32 vcc_lo, 0x7f800000, v77
                                        ; implicit-def: $vgpr77
	s_and_saveexec_b32 s4, vcc_lo
	s_xor_b32 s4, exec_lo, s4
; %bb.65:
	v_bfe_u32 v77, v78, 16, 1
	s_delay_alu instid0(VALU_DEP_1)
	v_add3_u32 v77, v78, v77, 0x7fff
                                        ; implicit-def: $vgpr78
; %bb.66:
	s_and_not1_saveexec_b32 s4, s4
; %bb.67:
	v_and_b32_e32 v77, 0xffff, v78
	v_or_b32_e32 v83, 0x10000, v78
	s_delay_alu instid0(VALU_DEP_2) | instskip(NEXT) | instid1(VALU_DEP_2)
	v_cmp_eq_u32_e32 vcc_lo, 0, v77
	v_cndmask_b32_e32 v77, v83, v78, vcc_lo
; %bb.68:
	s_or_b32 exec_lo, exec_lo, s4
	v_and_b32_e32 v78, 0x7f800000, v79
	s_delay_alu instid0(VALU_DEP_1) | instskip(SKIP_1) | instid1(SALU_CYCLE_1)
	v_cmp_ne_u32_e32 vcc_lo, 0x7f800000, v78
                                        ; implicit-def: $vgpr78
	s_and_saveexec_b32 s4, vcc_lo
	s_xor_b32 s4, exec_lo, s4
; %bb.69:
	v_bfe_u32 v78, v79, 16, 1
	s_delay_alu instid0(VALU_DEP_1)
	v_add3_u32 v78, v79, v78, 0x7fff
                                        ; implicit-def: $vgpr79
; %bb.70:
	s_and_not1_saveexec_b32 s4, s4
; %bb.71:
	v_and_b32_e32 v78, 0xffff, v79
	v_or_b32_e32 v83, 0x10000, v79
	s_delay_alu instid0(VALU_DEP_2) | instskip(NEXT) | instid1(VALU_DEP_2)
	v_cmp_eq_u32_e32 vcc_lo, 0, v78
	v_cndmask_b32_e32 v78, v83, v79, vcc_lo
; %bb.72:
	s_or_b32 exec_lo, exec_lo, s4
	v_and_b32_e32 v79, 0x7f800000, v70
	s_delay_alu instid0(VALU_DEP_1) | instskip(SKIP_1) | instid1(SALU_CYCLE_1)
	v_cmp_ne_u32_e32 vcc_lo, 0x7f800000, v79
                                        ; implicit-def: $vgpr79
	s_and_saveexec_b32 s4, vcc_lo
	s_xor_b32 s4, exec_lo, s4
; %bb.73:
	v_bfe_u32 v79, v70, 16, 1
	s_delay_alu instid0(VALU_DEP_1)
	v_add3_u32 v79, v70, v79, 0x7fff
                                        ; implicit-def: $vgpr70
; %bb.74:
	s_and_not1_saveexec_b32 s4, s4
; %bb.75:
	v_and_b32_e32 v79, 0xffff, v70
	v_or_b32_e32 v83, 0x10000, v70
	s_delay_alu instid0(VALU_DEP_2) | instskip(NEXT) | instid1(VALU_DEP_2)
	v_cmp_eq_u32_e32 vcc_lo, 0, v79
	v_cndmask_b32_e32 v79, v83, v70, vcc_lo
; %bb.76:
	s_or_b32 exec_lo, exec_lo, s4
	s_delay_alu instid0(VALU_DEP_1)
	v_perm_b32 v86, v79, v78, 0x7060302
	v_perm_b32 v85, v77, v82, 0x7060302
	;; [unrolled: 1-line block ×4, first 2 shown]
	v_lshl_or_b32 v82, v66, 11, v80
	ds_store_b128 v76, v[83:86] offset:1024
	s_waitcnt lgkmcnt(0)
	s_barrier
	buffer_gl0_inv
	ds_load_b128 v[69:72], v82
	ds_load_b128 v[83:86], v82 offset:16
	s_waitcnt lgkmcnt(1)
	v_lshrrev_b32_e32 v66, 16, v69
	s_waitcnt lgkmcnt(0)
	v_lshrrev_b32_e32 v91, 16, v83
	v_lshlrev_b32_e32 v78, 2, v74
	v_lshrrev_b32_e32 v95, 16, v70
	v_lshrrev_b32_e32 v98, 16, v84
	v_lshrrev_b32_e32 v96, 16, v71
	v_lshrrev_b32_e32 v99, 16, v85
	v_cmp_eq_u32_e32 vcc_lo, 1, v78
	v_lshrrev_b32_e32 v97, 16, v72
	v_lshrrev_b32_e32 v100, 16, v86
	v_cndmask_b32_e32 v87, v83, v91, vcc_lo
	v_or_b32_e32 v79, 1, v78
	v_cndmask_b32_e32 v81, v69, v66, vcc_lo
	v_cmp_eq_u32_e64 s5, 2, v78
	v_cmp_eq_u32_e64 s8, 3, v78
	;; [unrolled: 1-line block ×5, first 2 shown]
	v_cndmask_b32_e64 v81, v81, v70, s5
	v_cndmask_b32_e64 v87, v87, v84, s5
	v_cmp_eq_u32_e64 s9, 3, v79
	v_cndmask_b32_e64 v88, v69, v66, s4
	v_or_b32_e32 v77, 2, v78
	v_cndmask_b32_e64 v81, v81, v95, s8
	v_cndmask_b32_e64 v87, v87, v98, s8
	;; [unrolled: 1-line block ×4, first 2 shown]
	v_cmp_eq_u32_e64 s11, 5, v78
	v_cndmask_b32_e64 v81, v81, v71, s10
	v_cndmask_b32_e64 v87, v87, v85, s10
	v_cmp_eq_u32_e64 s12, 4, v79
	v_cndmask_b32_e64 v88, v88, v95, s9
	v_cmp_eq_u32_e64 s6, 1, v77
	v_cndmask_b32_e64 v89, v89, v84, s7
	v_cndmask_b32_e64 v81, v81, v96, s11
	v_cmp_eq_u32_e64 s13, 6, v78
	v_cndmask_b32_e64 v88, v88, v71, s12
	;; [unrolled: 3-line block ×3, first 2 shown]
	v_cndmask_b32_e64 v89, v89, v98, s9
	v_cndmask_b32_e64 v81, v81, v72, s13
	v_cmp_eq_u32_e64 s16, 7, v78
	v_cndmask_b32_e64 v88, v88, v96, s15
	v_cndmask_b32_e64 v87, v87, v86, s13
	v_cmp_eq_u32_e64 s17, 6, v79
	v_cmp_eq_u32_e64 s18, 2, v77
	v_cndmask_b32_e64 v89, v89, v85, s12
	v_cndmask_b32_e64 v101, v81, v97, s16
	;; [unrolled: 1-line block ×6, first 2 shown]
	v_cmp_eq_u32_e64 s19, 7, v79
	v_cmp_eq_u32_e64 s20, 3, v77
	;; [unrolled: 1-line block ×4, first 2 shown]
	v_cndmask_b32_e64 v87, v87, v84, s18
	v_cndmask_b32_e64 v103, v88, v97, s19
	;; [unrolled: 1-line block ×4, first 2 shown]
	v_or_b32_e32 v81, 3, v78
	v_cndmask_b32_e64 v93, v87, v98, s20
	v_cmp_eq_u32_e64 s25, 6, v77
	v_cndmask_b32_e64 v104, v88, v86, s17
	v_cndmask_b32_e64 v92, v89, v71, s21
	v_cmp_eq_u32_e64 s22, 1, v81
	ds_load_b128 v[87:90], v82 offset:1024
	v_cmp_eq_u32_e64 s24, 2, v81
	v_cmp_eq_u32_e64 s26, 3, v81
	v_cndmask_b32_e64 v105, v92, v96, s23
	v_cndmask_b32_e64 v66, v69, v66, s22
	;; [unrolled: 1-line block ×4, first 2 shown]
	ds_load_b128 v[91:94], v82 offset:1040
	v_cmp_eq_u32_e64 s27, 4, v81
	v_cndmask_b32_e64 v66, v66, v70, s24
	v_cmp_eq_u32_e64 s28, 7, v77
	v_cndmask_b32_e64 v70, v83, v84, s24
	v_cndmask_b32_e64 v84, v105, v72, s25
	v_cmp_eq_u32_e64 s29, 5, v81
	v_cndmask_b32_e64 v66, v66, v95, s26
	v_cmp_eq_u32_e64 s30, 6, v81
	v_cndmask_b32_e64 v70, v70, v98, s26
	v_cndmask_b32_e64 v69, v69, v99, s23
	;; [unrolled: 1-line block ×4, first 2 shown]
	s_waitcnt lgkmcnt(1)
	v_lshrrev_b32_e32 v95, 16, v87
	v_cndmask_b32_e64 v70, v70, v85, s27
	v_cndmask_b32_e64 v71, v84, v97, s28
	;; [unrolled: 1-line block ×4, first 2 shown]
	v_cndmask_b32_e32 v84, v87, v95, vcc_lo
	v_cndmask_b32_e64 v70, v70, v99, s29
	s_waitcnt lgkmcnt(0)
	v_lshrrev_b32_e32 v85, 16, v91
	v_lshrrev_b32_e32 v96, 16, v88
	v_cndmask_b32_e64 v98, v87, v95, s4
	v_cndmask_b32_e64 v84, v84, v88, s5
	;; [unrolled: 1-line block ×3, first 2 shown]
	v_cndmask_b32_e32 v99, v91, v85, vcc_lo
	v_cmp_eq_u32_e32 vcc_lo, 7, v81
	v_cndmask_b32_e64 v66, v66, v72, s30
	v_cndmask_b32_e64 v72, v84, v96, s8
	;; [unrolled: 1-line block ×3, first 2 shown]
	v_lshrrev_b32_e32 v98, 16, v92
	v_cndmask_b32_e32 v70, v70, v100, vcc_lo
	v_cndmask_b32_e64 v86, v99, v92, s5
	v_cndmask_b32_e64 v69, v69, v100, s28
	v_lshrrev_b32_e32 v100, 16, v93
	v_cndmask_b32_e64 v72, v72, v89, s10
	v_lshrrev_b32_e32 v99, 16, v89
	v_cndmask_b32_e64 v86, v86, v98, s8
	v_perm_b32 v71, v69, v71, 0x5040100
	v_cndmask_b32_e64 v84, v84, v96, s9
	s_delay_alu instid0(VALU_DEP_3) | instskip(NEXT) | instid1(VALU_DEP_2)
	v_cndmask_b32_e64 v86, v86, v93, s10
	v_cndmask_b32_e64 v84, v84, v89, s12
	s_delay_alu instid0(VALU_DEP_2) | instskip(NEXT) | instid1(VALU_DEP_1)
	v_cndmask_b32_e64 v86, v86, v100, s11
	v_cndmask_b32_e64 v69, v86, v94, s13
	;; [unrolled: 1-line block ×5, first 2 shown]
	s_delay_alu instid0(VALU_DEP_3) | instskip(NEXT) | instid1(VALU_DEP_3)
	v_cndmask_b32_e64 v86, v86, v88, s18
	v_cndmask_b32_e64 v87, v87, v88, s24
	s_delay_alu instid0(VALU_DEP_3) | instskip(NEXT) | instid1(VALU_DEP_3)
	v_cndmask_b32_e64 v88, v95, v92, s24
	v_cndmask_b32_e64 v86, v86, v96, s20
	;; [unrolled: 3-line block ×7, first 2 shown]
	s_delay_alu instid0(VALU_DEP_3) | instskip(SKIP_2) | instid1(VALU_DEP_2)
	v_cndmask_b32_e64 v88, v88, v94, s30
	v_cndmask_b32_e32 v66, v66, v97, vcc_lo
	v_cndmask_b32_e64 v97, v72, v99, s11
	v_perm_b32 v72, v70, v66, 0x5040100
	v_perm_b32 v70, v83, v103, 0x5040100
	v_cndmask_b32_e64 v103, v91, v85, s6
	v_cndmask_b32_e64 v85, v91, v85, s4
	;; [unrolled: 1-line block ×4, first 2 shown]
	v_lshrrev_b32_e32 v97, 16, v90
	v_cndmask_b32_e64 v91, v103, v92, s18
	v_cndmask_b32_e64 v85, v85, v92, s7
	;; [unrolled: 1-line block ×3, first 2 shown]
	s_mov_b32 s4, exec_lo
	v_cndmask_b32_e64 v83, v84, v97, s16
	v_cndmask_b32_e64 v91, v91, v98, s20
	v_cndmask_b32_e64 v85, v85, v98, s9
	v_lshrrev_b32_e32 v84, 16, v94
	v_cndmask_b32_e64 v66, v66, v97, s19
	v_cndmask_b32_e64 v90, v86, v97, s28
	;; [unrolled: 1-line block ×4, first 2 shown]
	v_dual_cndmask_b32 v86, v87, v97 :: v_dual_cndmask_b32 v87, v88, v84
	v_cndmask_b32_e64 v91, v69, v84, s16
	s_delay_alu instid0(VALU_DEP_4) | instskip(NEXT) | instid1(VALU_DEP_4)
	v_cndmask_b32_e64 v89, v89, v100, s23
	v_cndmask_b32_e64 v85, v85, v100, s15
	v_perm_b32 v69, v102, v101, 0x5040100
	v_perm_b32 v86, v87, v86, 0x5040100
	;; [unrolled: 1-line block ×3, first 2 shown]
	v_cndmask_b32_e64 v89, v89, v94, s25
	v_cndmask_b32_e64 v85, v85, v94, s17
	s_mul_i32 s9, s37, 9
	s_delay_alu instid0(VALU_DEP_2) | instskip(NEXT) | instid1(VALU_DEP_2)
	v_cndmask_b32_e64 v88, v89, v84, s28
	v_cndmask_b32_e64 v89, v85, v84, s19
	s_delay_alu instid0(VALU_DEP_2) | instskip(NEXT) | instid1(VALU_DEP_2)
	v_perm_b32 v85, v88, v90, 0x5040100
	v_perm_b32 v84, v89, v66, 0x5040100
	ds_store_b128 v76, v[69:72]
	ds_store_b128 v76, v[83:86] offset:1024
	v_cmpx_gt_u32_e32 9, v0
	s_cbranch_execz .LBB1670_78
; %bb.77:
	s_mul_i32 s5, s9, s34
	s_load_b128 s[16:19], s[0:1], 0x58
	v_add3_u32 v69, s5, s31, v65
	s_delay_alu instid0(VALU_DEP_1) | instskip(NEXT) | instid1(VALU_DEP_1)
	v_mad_u64_u32 v[65:66], null, v69, s36, s[14:15]
	v_ashrrev_i32_e32 v66, 31, v65
	s_delay_alu instid0(VALU_DEP_1) | instskip(SKIP_1) | instid1(VALU_DEP_1)
	v_lshlrev_b64 v[65:66], 2, v[65:66]
	s_waitcnt lgkmcnt(0)
	v_add_co_u32 v69, vcc_lo, s18, v65
	s_delay_alu instid0(VALU_DEP_2)
	v_add_co_ci_u32_e32 v70, vcc_lo, s19, v66, vcc_lo
	v_add_co_u32 v65, vcc_lo, s16, v65
	v_add_co_ci_u32_e32 v66, vcc_lo, s17, v66, vcc_lo
	global_store_b32 v[69:70], v67, off
	global_store_b32 v[65:66], v68, off
.LBB1670_78:
	s_or_b32 exec_lo, exec_lo, s4
	s_waitcnt lgkmcnt(0)
	s_waitcnt_vscnt null, 0x0
	s_barrier
	buffer_gl0_inv
	ds_load_b128 v[83:86], v80
	ds_load_b128 v[87:90], v80 offset:16
	ds_load_b128 v[95:98], v80 offset:2064
	;; [unrolled: 1-line block ×3, first 2 shown]
	v_mov_b32_e32 v65, 0
	ds_load_b128 v[103:106], v80 offset:4112
	ds_load_b128 v[99:102], v80 offset:4096
	;; [unrolled: 1-line block ×4, first 2 shown]
	v_mov_b32_e32 v66, v65
	v_mov_b32_e32 v67, v65
	;; [unrolled: 1-line block ×7, first 2 shown]
	s_waitcnt lgkmcnt(6)
	s_delay_alu instid0(VALU_DEP_1)
	v_wmma_f32_16x16x16_bf16 v[65:72], v[57:64], v[83:90], v[65:72]
	ds_load_b128 v[61:64], v80 offset:8208
	ds_load_b128 v[57:60], v80 offset:8192
	s_waitcnt lgkmcnt(6)
	v_wmma_f32_16x16x16_bf16 v[65:72], v[41:48], v[91:98], v[65:72]
	ds_load_b128 v[45:48], v80 offset:10256
	ds_load_b128 v[41:44], v80 offset:10240
	s_waitcnt lgkmcnt(6)
	;; [unrolled: 4-line block ×4, first 2 shown]
	v_wmma_f32_16x16x16_bf16 v[65:72], v[1:8], v[57:64], v[65:72]
	s_waitcnt lgkmcnt(4)
	s_delay_alu instid0(VALU_DEP_1) | instskip(SKIP_1) | instid1(VALU_DEP_1)
	v_wmma_f32_16x16x16_bf16 v[65:72], v[9:16], v[41:48], v[65:72]
	s_waitcnt lgkmcnt(2)
	v_wmma_f32_16x16x16_bf16 v[65:72], v[17:24], v[33:40], v[65:72]
	s_waitcnt lgkmcnt(0)
	s_delay_alu instid0(VALU_DEP_1) | instskip(NEXT) | instid1(VALU_DEP_1)
	v_wmma_f32_16x16x16_bf16 v[65:72], v[49:56], v[25:32], v[65:72]
	v_and_b32_e32 v1, 0x7f800000, v65
	s_delay_alu instid0(VALU_DEP_1) | instskip(SKIP_1) | instid1(SALU_CYCLE_1)
	v_cmp_ne_u32_e32 vcc_lo, 0x7f800000, v1
                                        ; implicit-def: $vgpr1
	s_and_saveexec_b32 s4, vcc_lo
	s_xor_b32 s4, exec_lo, s4
; %bb.79:
	v_bfe_u32 v1, v65, 16, 1
	s_delay_alu instid0(VALU_DEP_1)
	v_add3_u32 v1, v65, v1, 0x7fff
; %bb.80:
	s_and_not1_saveexec_b32 s4, s4
; %bb.81:
	v_and_b32_e32 v1, 0xffff, v65
	v_or_b32_e32 v2, 0x10000, v65
	s_delay_alu instid0(VALU_DEP_2) | instskip(NEXT) | instid1(VALU_DEP_2)
	v_cmp_eq_u32_e32 vcc_lo, 0, v1
	v_cndmask_b32_e32 v1, v2, v65, vcc_lo
; %bb.82:
	s_or_b32 exec_lo, exec_lo, s4
	v_and_b32_e32 v2, 0x7f800000, v66
	s_delay_alu instid0(VALU_DEP_1) | instskip(SKIP_1) | instid1(SALU_CYCLE_1)
	v_cmp_ne_u32_e32 vcc_lo, 0x7f800000, v2
                                        ; implicit-def: $vgpr2
	s_and_saveexec_b32 s4, vcc_lo
	s_xor_b32 s4, exec_lo, s4
; %bb.83:
	v_bfe_u32 v2, v66, 16, 1
	s_delay_alu instid0(VALU_DEP_1)
	v_add3_u32 v2, v66, v2, 0x7fff
; %bb.84:
	s_and_not1_saveexec_b32 s4, s4
; %bb.85:
	v_and_b32_e32 v2, 0xffff, v66
	v_or_b32_e32 v3, 0x10000, v66
	s_delay_alu instid0(VALU_DEP_2) | instskip(NEXT) | instid1(VALU_DEP_2)
	v_cmp_eq_u32_e32 vcc_lo, 0, v2
	v_cndmask_b32_e32 v2, v3, v66, vcc_lo
; %bb.86:
	s_or_b32 exec_lo, exec_lo, s4
	v_and_b32_e32 v3, 0x7f800000, v67
	s_delay_alu instid0(VALU_DEP_1) | instskip(SKIP_1) | instid1(SALU_CYCLE_1)
	v_cmp_ne_u32_e32 vcc_lo, 0x7f800000, v3
                                        ; implicit-def: $vgpr3
	s_and_saveexec_b32 s4, vcc_lo
	s_xor_b32 s4, exec_lo, s4
; %bb.87:
	v_bfe_u32 v3, v67, 16, 1
	s_delay_alu instid0(VALU_DEP_1)
	v_add3_u32 v3, v67, v3, 0x7fff
; %bb.88:
	s_and_not1_saveexec_b32 s4, s4
; %bb.89:
	v_and_b32_e32 v3, 0xffff, v67
	v_or_b32_e32 v4, 0x10000, v67
	s_delay_alu instid0(VALU_DEP_2) | instskip(NEXT) | instid1(VALU_DEP_2)
	v_cmp_eq_u32_e32 vcc_lo, 0, v3
	v_cndmask_b32_e32 v3, v4, v67, vcc_lo
; %bb.90:
	s_or_b32 exec_lo, exec_lo, s4
	v_and_b32_e32 v4, 0x7f800000, v68
	s_delay_alu instid0(VALU_DEP_1) | instskip(SKIP_1) | instid1(SALU_CYCLE_1)
	v_cmp_ne_u32_e32 vcc_lo, 0x7f800000, v4
                                        ; implicit-def: $vgpr4
	s_and_saveexec_b32 s4, vcc_lo
	s_xor_b32 s4, exec_lo, s4
; %bb.91:
	v_bfe_u32 v4, v68, 16, 1
	s_delay_alu instid0(VALU_DEP_1)
	v_add3_u32 v4, v68, v4, 0x7fff
; %bb.92:
	s_and_not1_saveexec_b32 s4, s4
; %bb.93:
	v_and_b32_e32 v4, 0xffff, v68
	v_or_b32_e32 v5, 0x10000, v68
	s_delay_alu instid0(VALU_DEP_2) | instskip(NEXT) | instid1(VALU_DEP_2)
	v_cmp_eq_u32_e32 vcc_lo, 0, v4
	v_cndmask_b32_e32 v4, v5, v68, vcc_lo
; %bb.94:
	s_or_b32 exec_lo, exec_lo, s4
	v_and_b32_e32 v5, 0x7f800000, v69
	s_delay_alu instid0(VALU_DEP_1) | instskip(SKIP_1) | instid1(SALU_CYCLE_1)
	v_cmp_ne_u32_e32 vcc_lo, 0x7f800000, v5
                                        ; implicit-def: $vgpr5
	s_and_saveexec_b32 s4, vcc_lo
	s_xor_b32 s4, exec_lo, s4
; %bb.95:
	v_bfe_u32 v5, v69, 16, 1
	s_delay_alu instid0(VALU_DEP_1)
	v_add3_u32 v5, v69, v5, 0x7fff
; %bb.96:
	s_and_not1_saveexec_b32 s4, s4
; %bb.97:
	v_and_b32_e32 v5, 0xffff, v69
	v_or_b32_e32 v6, 0x10000, v69
	s_delay_alu instid0(VALU_DEP_2) | instskip(NEXT) | instid1(VALU_DEP_2)
	v_cmp_eq_u32_e32 vcc_lo, 0, v5
	v_cndmask_b32_e32 v5, v6, v69, vcc_lo
; %bb.98:
	s_or_b32 exec_lo, exec_lo, s4
	v_and_b32_e32 v6, 0x7f800000, v70
	s_delay_alu instid0(VALU_DEP_1) | instskip(SKIP_1) | instid1(SALU_CYCLE_1)
	v_cmp_ne_u32_e32 vcc_lo, 0x7f800000, v6
                                        ; implicit-def: $vgpr6
	s_and_saveexec_b32 s4, vcc_lo
	s_xor_b32 s4, exec_lo, s4
; %bb.99:
	v_bfe_u32 v6, v70, 16, 1
	s_delay_alu instid0(VALU_DEP_1)
	v_add3_u32 v6, v70, v6, 0x7fff
; %bb.100:
	s_and_not1_saveexec_b32 s4, s4
; %bb.101:
	v_and_b32_e32 v6, 0xffff, v70
	v_or_b32_e32 v7, 0x10000, v70
	s_delay_alu instid0(VALU_DEP_2) | instskip(NEXT) | instid1(VALU_DEP_2)
	v_cmp_eq_u32_e32 vcc_lo, 0, v6
	v_cndmask_b32_e32 v6, v7, v70, vcc_lo
; %bb.102:
	s_or_b32 exec_lo, exec_lo, s4
	v_and_b32_e32 v7, 0x7f800000, v71
	s_delay_alu instid0(VALU_DEP_1) | instskip(SKIP_1) | instid1(SALU_CYCLE_1)
	v_cmp_ne_u32_e32 vcc_lo, 0x7f800000, v7
                                        ; implicit-def: $vgpr7
	s_and_saveexec_b32 s4, vcc_lo
	s_xor_b32 s4, exec_lo, s4
; %bb.103:
	v_bfe_u32 v7, v71, 16, 1
	s_delay_alu instid0(VALU_DEP_1)
	v_add3_u32 v7, v71, v7, 0x7fff
; %bb.104:
	s_and_not1_saveexec_b32 s4, s4
; %bb.105:
	v_and_b32_e32 v7, 0xffff, v71
	v_or_b32_e32 v8, 0x10000, v71
	s_delay_alu instid0(VALU_DEP_2) | instskip(NEXT) | instid1(VALU_DEP_2)
	v_cmp_eq_u32_e32 vcc_lo, 0, v7
	v_cndmask_b32_e32 v7, v8, v71, vcc_lo
; %bb.106:
	s_or_b32 exec_lo, exec_lo, s4
	v_and_b32_e32 v8, 0x7f800000, v72
	s_delay_alu instid0(VALU_DEP_1) | instskip(SKIP_1) | instid1(SALU_CYCLE_1)
	v_cmp_ne_u32_e32 vcc_lo, 0x7f800000, v8
                                        ; implicit-def: $vgpr8
	s_and_saveexec_b32 s4, vcc_lo
	s_xor_b32 s4, exec_lo, s4
; %bb.107:
	v_bfe_u32 v8, v72, 16, 1
	s_delay_alu instid0(VALU_DEP_1)
	v_add3_u32 v8, v72, v8, 0x7fff
                                        ; implicit-def: $vgpr65_vgpr66_vgpr67_vgpr68_vgpr69_vgpr70_vgpr71_vgpr72
; %bb.108:
	s_and_not1_saveexec_b32 s4, s4
; %bb.109:
	v_and_b32_e32 v8, 0xffff, v72
	v_or_b32_e32 v9, 0x10000, v72
	s_delay_alu instid0(VALU_DEP_2) | instskip(NEXT) | instid1(VALU_DEP_2)
	v_cmp_eq_u32_e32 vcc_lo, 0, v8
	v_cndmask_b32_e32 v8, v9, v72, vcc_lo
; %bb.110:
	s_or_b32 exec_lo, exec_lo, s4
	s_delay_alu instid0(VALU_DEP_1)
	v_perm_b32 v7, v8, v7, 0x7060302
	v_perm_b32 v6, v6, v5, 0x7060302
	;; [unrolled: 1-line block ×4, first 2 shown]
	s_barrier
	buffer_gl0_inv
	v_cmp_eq_u32_e32 vcc_lo, 1, v78
	ds_store_b128 v76, v[4:7]
	s_waitcnt lgkmcnt(0)
	s_barrier
	buffer_gl0_inv
	ds_load_b128 v[1:4], v82
	ds_load_b128 v[5:8], v82 offset:16
	v_cmp_eq_u32_e64 s4, 1, v79
	v_cmp_eq_u32_e64 s5, 2, v78
	;; [unrolled: 1-line block ×5, first 2 shown]
	s_waitcnt lgkmcnt(1)
	v_lshrrev_b32_e32 v9, 16, v1
	s_waitcnt lgkmcnt(0)
	v_lshrrev_b32_e32 v13, 16, v5
	v_lshrrev_b32_e32 v10, 16, v2
	;; [unrolled: 1-line block ×4, first 2 shown]
	v_cndmask_b32_e64 v19, v1, v9, s4
	v_cndmask_b32_e32 v18, v5, v13, vcc_lo
	v_cndmask_b32_e64 v20, v5, v13, s4
	v_cndmask_b32_e32 v17, v1, v9, vcc_lo
	v_cmp_eq_u32_e32 vcc_lo, 2, v79
	v_lshrrev_b32_e32 v15, 16, v7
	v_cmp_eq_u32_e64 s4, 1, v77
	v_lshrrev_b32_e32 v12, 16, v4
	v_lshrrev_b32_e32 v16, 16, v8
	v_cndmask_b32_e32 v20, v20, v6, vcc_lo
	v_cndmask_b32_e64 v17, v17, v2, s5
	v_cndmask_b32_e32 v19, v19, v2, vcc_lo
	v_cndmask_b32_e64 v18, v18, v6, s5
	v_cmp_eq_u32_e32 vcc_lo, 4, v78
	v_cmp_eq_u32_e64 s5, 3, v79
	v_cndmask_b32_e64 v17, v17, v10, s6
	v_cndmask_b32_e64 v21, v1, v9, s4
	;; [unrolled: 1-line block ×5, first 2 shown]
	v_cndmask_b32_e32 v17, v17, v3, vcc_lo
	v_cndmask_b32_e64 v20, v20, v14, s5
	v_cndmask_b32_e32 v18, v18, v7, vcc_lo
	v_cmp_eq_u32_e32 vcc_lo, 4, v79
	v_cmp_eq_u32_e64 s5, 5, v79
	v_cmp_eq_u32_e64 s4, 2, v81
	v_cndmask_b32_e64 v21, v21, v2, s8
	v_cmp_eq_u32_e64 s6, 5, v78
	v_cndmask_b32_e32 v19, v19, v3, vcc_lo
	v_cndmask_b32_e32 v20, v20, v7, vcc_lo
	v_cmp_eq_u32_e32 vcc_lo, 6, v79
	s_delay_alu instid0(VALU_DEP_4) | instskip(NEXT) | instid1(VALU_DEP_4)
	v_cndmask_b32_e64 v17, v17, v11, s6
	v_cndmask_b32_e64 v19, v19, v11, s5
	s_delay_alu instid0(VALU_DEP_4) | instskip(SKIP_1) | instid1(VALU_DEP_3)
	v_cndmask_b32_e64 v20, v20, v15, s5
	v_cmp_eq_u32_e64 s5, 1, v81
	v_cndmask_b32_e32 v19, v19, v4, vcc_lo
	v_cndmask_b32_e64 v18, v18, v15, s6
	s_delay_alu instid0(VALU_DEP_3)
	v_cndmask_b32_e64 v1, v1, v9, s5
	v_cndmask_b32_e64 v5, v5, v13, s5
	v_cmp_eq_u32_e64 s5, 3, v77
	v_cndmask_b32_e64 v13, v22, v6, s8
	v_cmp_eq_u32_e64 s8, 3, v81
	v_cndmask_b32_e64 v1, v1, v2, s4
	v_cndmask_b32_e64 v2, v5, v6, s4
	;; [unrolled: 1-line block ×3, first 2 shown]
	v_cmp_eq_u32_e64 s4, 4, v77
	v_cndmask_b32_e64 v6, v13, v14, s5
	v_cndmask_b32_e64 v1, v1, v10, s8
	v_cmp_eq_u32_e64 s5, 4, v81
	v_cndmask_b32_e64 v2, v2, v14, s8
	v_cndmask_b32_e64 v5, v9, v3, s4
	;; [unrolled: 3-line block ×3, first 2 shown]
	v_cndmask_b32_e64 v2, v2, v7, s5
	v_cmp_eq_u32_e64 s4, 5, v81
	v_cmp_eq_u32_e64 s6, 6, v78
	v_cndmask_b32_e64 v5, v5, v11, s8
	v_cmp_eq_u32_e64 s5, 6, v77
	v_cndmask_b32_e64 v3, v6, v15, s8
	v_cndmask_b32_e64 v1, v1, v11, s4
	v_cmp_eq_u32_e64 s8, 6, v81
	v_cndmask_b32_e64 v2, v2, v15, s4
	v_cndmask_b32_e64 v17, v17, v4, s6
	v_cndmask_b32_e64 v18, v18, v8, s6
	v_cmp_eq_u32_e64 s6, 7, v78
	v_cndmask_b32_e64 v5, v5, v4, s5
	;; [unrolled: 4-line block ×3, first 2 shown]
	v_cmp_eq_u32_e64 s5, 7, v77
	v_cndmask_b32_e32 v4, v20, v8, vcc_lo
	v_cndmask_b32_e64 v17, v17, v12, s6
	v_cndmask_b32_e64 v19, v19, v12, s7
	;; [unrolled: 1-line block ×8, first 2 shown]
	v_cmp_gt_u32_e32 vcc_lo, 32, v0
	v_perm_b32 v4, v2, v1, 0x5040100
	v_perm_b32 v3, v3, v5, 0x5040100
	;; [unrolled: 1-line block ×4, first 2 shown]
	s_and_b32 s2, vcc_lo, s2
	ds_store_b128 v76, v[1:4]
	s_waitcnt lgkmcnt(0)
	s_barrier
	buffer_gl0_inv
	s_and_saveexec_b32 s4, s2
	s_cbranch_execz .LBB1670_2
; %bb.111:
	s_load_b64 s[4:5], s[0:1], 0x68
	v_lshlrev_b32_e32 v0, 10, v0
	v_lshlrev_b32_e32 v1, 4, v75
	s_lshl_b32 s0, s36, 6
	v_add_nc_u32_e32 v2, s31, v74
	s_mul_i32 s1, s0, s34
	s_delay_alu instid0(SALU_CYCLE_1) | instskip(SKIP_1) | instid1(VALU_DEP_2)
	s_mul_i32 s6, s1, s9
	v_and_or_b32 v0, 0x3800, v0, v1
	v_mul_lo_u32 v1, v2, s0
	s_ashr_i32 s7, s6, 31
	v_add_nc_u32_e32 v3, 2, v2
	s_lshl_b64 s[6:7], s[6:7], 1
	v_add_nc_u32_e32 v4, 4, v2
	v_add_nc_u32_e32 v5, 6, v2
	v_lshl_or_b32 v15, v74, 6, v0
	v_mul_lo_u32 v3, v3, s0
	v_ashrrev_i32_e32 v2, 31, v1
	v_mul_lo_u32 v19, v4, s0
	v_mul_lo_u32 v21, v5, s0
	s_waitcnt lgkmcnt(0)
	s_add_u32 s1, s4, s6
	s_addc_u32 s2, s5, s7
	s_lshl_b32 s4, s14, 6
	v_lshlrev_b64 v[5:6], 1, v[1:2]
	s_ashr_i32 s5, s4, 31
	v_ashrrev_i32_e32 v4, 31, v3
	s_lshl_b64 s[4:5], s[4:5], 1
	v_ashrrev_i32_e32 v20, 31, v19
	s_add_u32 s1, s1, s4
	s_addc_u32 s2, s2, s5
	v_add_co_u32 v1, s1, s1, v73
	s_delay_alu instid0(VALU_DEP_1) | instskip(SKIP_1) | instid1(VALU_DEP_3)
	v_add_co_ci_u32_e64 v2, null, s2, 0, s1
	v_lshlrev_b64 v[25:26], 1, v[3:4]
	v_add_co_u32 v23, vcc_lo, v1, v5
	s_delay_alu instid0(VALU_DEP_3)
	v_add_co_ci_u32_e32 v24, vcc_lo, v2, v6, vcc_lo
	ds_load_b128 v[3:6], v15
	ds_load_b128 v[7:10], v15 offset:128
	ds_load_b128 v[11:14], v15 offset:256
	;; [unrolled: 1-line block ×3, first 2 shown]
	v_ashrrev_i32_e32 v22, 31, v21
	v_lshlrev_b64 v[19:20], 1, v[19:20]
	v_add_co_u32 v25, vcc_lo, v1, v25
	v_add_co_ci_u32_e32 v26, vcc_lo, v2, v26, vcc_lo
	s_delay_alu instid0(VALU_DEP_4) | instskip(NEXT) | instid1(VALU_DEP_4)
	v_lshlrev_b64 v[21:22], 1, v[21:22]
	v_add_co_u32 v19, vcc_lo, v1, v19
	v_add_co_ci_u32_e32 v20, vcc_lo, v2, v20, vcc_lo
	s_delay_alu instid0(VALU_DEP_3) | instskip(NEXT) | instid1(VALU_DEP_4)
	v_add_co_u32 v21, vcc_lo, v1, v21
	v_add_co_ci_u32_e32 v22, vcc_lo, v2, v22, vcc_lo
	s_waitcnt lgkmcnt(3)
	global_store_b128 v[23:24], v[3:6], off
	s_waitcnt lgkmcnt(2)
	global_store_b128 v[25:26], v[7:10], off
	;; [unrolled: 2-line block ×4, first 2 shown]
	s_and_b32 exec_lo, exec_lo, s3
	s_cbranch_execz .LBB1670_2
; %bb.112:
	ds_load_b128 v[3:6], v0 offset:512
	s_add_i32 s1, s31, 8
	s_delay_alu instid0(SALU_CYCLE_1) | instskip(NEXT) | instid1(SALU_CYCLE_1)
	s_mul_i32 s0, s1, s0
	s_ashr_i32 s1, s0, 31
	s_delay_alu instid0(SALU_CYCLE_1) | instskip(NEXT) | instid1(SALU_CYCLE_1)
	s_lshl_b64 s[0:1], s[0:1], 1
	v_add_co_u32 v0, vcc_lo, v1, s0
	v_add_co_ci_u32_e32 v1, vcc_lo, s1, v2, vcc_lo
	s_waitcnt lgkmcnt(0)
	global_store_b128 v[0:1], v[3:6], off
	s_nop 0
	s_sendmsg sendmsg(MSG_DEALLOC_VGPRS)
	s_endpgm
	.section	.rodata,"a",@progbits
	.p2align	6, 0x0
	.amdhsa_kernel _Z39paged_attention_ll4mi_QKV_mfma16_kernelI14__hip_bfloat16hLN4vllm18Fp8KVCacheDataTypeE1EhLi16ELi64ELi256ELb1ELi9EL8MFMAType0EEvPKT_PKT0_S9_ifPKiSB_SB_iPKfiiiPfSE_PS4_PT2_iSD_SD_
		.amdhsa_group_segment_fixed_size 17472
		.amdhsa_private_segment_fixed_size 0
		.amdhsa_kernarg_size 400
		.amdhsa_user_sgpr_count 13
		.amdhsa_user_sgpr_dispatch_ptr 0
		.amdhsa_user_sgpr_queue_ptr 0
		.amdhsa_user_sgpr_kernarg_segment_ptr 1
		.amdhsa_user_sgpr_dispatch_id 0
		.amdhsa_user_sgpr_private_segment_size 0
		.amdhsa_wavefront_size32 1
		.amdhsa_uses_dynamic_stack 0
		.amdhsa_enable_private_segment 0
		.amdhsa_system_sgpr_workgroup_id_x 1
		.amdhsa_system_sgpr_workgroup_id_y 1
		.amdhsa_system_sgpr_workgroup_id_z 1
		.amdhsa_system_sgpr_workgroup_info 0
		.amdhsa_system_vgpr_workitem_id 0
		.amdhsa_next_free_vgpr 124
		.amdhsa_next_free_sgpr 40
		.amdhsa_reserve_vcc 1
		.amdhsa_float_round_mode_32 0
		.amdhsa_float_round_mode_16_64 0
		.amdhsa_float_denorm_mode_32 3
		.amdhsa_float_denorm_mode_16_64 3
		.amdhsa_dx10_clamp 1
		.amdhsa_ieee_mode 1
		.amdhsa_fp16_overflow 0
		.amdhsa_workgroup_processor_mode 1
		.amdhsa_memory_ordered 1
		.amdhsa_forward_progress 0
		.amdhsa_shared_vgpr_count 0
		.amdhsa_exception_fp_ieee_invalid_op 0
		.amdhsa_exception_fp_denorm_src 0
		.amdhsa_exception_fp_ieee_div_zero 0
		.amdhsa_exception_fp_ieee_overflow 0
		.amdhsa_exception_fp_ieee_underflow 0
		.amdhsa_exception_fp_ieee_inexact 0
		.amdhsa_exception_int_div_zero 0
	.end_amdhsa_kernel
	.section	.text._Z39paged_attention_ll4mi_QKV_mfma16_kernelI14__hip_bfloat16hLN4vllm18Fp8KVCacheDataTypeE1EhLi16ELi64ELi256ELb1ELi9EL8MFMAType0EEvPKT_PKT0_S9_ifPKiSB_SB_iPKfiiiPfSE_PS4_PT2_iSD_SD_,"axG",@progbits,_Z39paged_attention_ll4mi_QKV_mfma16_kernelI14__hip_bfloat16hLN4vllm18Fp8KVCacheDataTypeE1EhLi16ELi64ELi256ELb1ELi9EL8MFMAType0EEvPKT_PKT0_S9_ifPKiSB_SB_iPKfiiiPfSE_PS4_PT2_iSD_SD_,comdat
.Lfunc_end1670:
	.size	_Z39paged_attention_ll4mi_QKV_mfma16_kernelI14__hip_bfloat16hLN4vllm18Fp8KVCacheDataTypeE1EhLi16ELi64ELi256ELb1ELi9EL8MFMAType0EEvPKT_PKT0_S9_ifPKiSB_SB_iPKfiiiPfSE_PS4_PT2_iSD_SD_, .Lfunc_end1670-_Z39paged_attention_ll4mi_QKV_mfma16_kernelI14__hip_bfloat16hLN4vllm18Fp8KVCacheDataTypeE1EhLi16ELi64ELi256ELb1ELi9EL8MFMAType0EEvPKT_PKT0_S9_ifPKiSB_SB_iPKfiiiPfSE_PS4_PT2_iSD_SD_
                                        ; -- End function
	.section	.AMDGPU.csdata,"",@progbits
; Kernel info:
; codeLenInByte = 8792
; NumSgprs: 42
; NumVgprs: 124
; ScratchSize: 0
; MemoryBound: 0
; FloatMode: 240
; IeeeMode: 1
; LDSByteSize: 17472 bytes/workgroup (compile time only)
; SGPRBlocks: 5
; VGPRBlocks: 15
; NumSGPRsForWavesPerEU: 42
; NumVGPRsForWavesPerEU: 124
; Occupancy: 10
; WaveLimiterHint : 1
; COMPUTE_PGM_RSRC2:SCRATCH_EN: 0
; COMPUTE_PGM_RSRC2:USER_SGPR: 13
; COMPUTE_PGM_RSRC2:TRAP_HANDLER: 0
; COMPUTE_PGM_RSRC2:TGID_X_EN: 1
; COMPUTE_PGM_RSRC2:TGID_Y_EN: 1
; COMPUTE_PGM_RSRC2:TGID_Z_EN: 1
; COMPUTE_PGM_RSRC2:TIDIG_COMP_CNT: 0
	.section	.text._Z39paged_attention_ll4mi_QKV_mfma16_kernelI14__hip_bfloat16hLN4vllm18Fp8KVCacheDataTypeE1EhLi16ELi64ELi256ELb1ELi10EL8MFMAType0EEvPKT_PKT0_S9_ifPKiSB_SB_iPKfiiiPfSE_PS4_PT2_iSD_SD_,"axG",@progbits,_Z39paged_attention_ll4mi_QKV_mfma16_kernelI14__hip_bfloat16hLN4vllm18Fp8KVCacheDataTypeE1EhLi16ELi64ELi256ELb1ELi10EL8MFMAType0EEvPKT_PKT0_S9_ifPKiSB_SB_iPKfiiiPfSE_PS4_PT2_iSD_SD_,comdat
	.protected	_Z39paged_attention_ll4mi_QKV_mfma16_kernelI14__hip_bfloat16hLN4vllm18Fp8KVCacheDataTypeE1EhLi16ELi64ELi256ELb1ELi10EL8MFMAType0EEvPKT_PKT0_S9_ifPKiSB_SB_iPKfiiiPfSE_PS4_PT2_iSD_SD_ ; -- Begin function _Z39paged_attention_ll4mi_QKV_mfma16_kernelI14__hip_bfloat16hLN4vllm18Fp8KVCacheDataTypeE1EhLi16ELi64ELi256ELb1ELi10EL8MFMAType0EEvPKT_PKT0_S9_ifPKiSB_SB_iPKfiiiPfSE_PS4_PT2_iSD_SD_
	.globl	_Z39paged_attention_ll4mi_QKV_mfma16_kernelI14__hip_bfloat16hLN4vllm18Fp8KVCacheDataTypeE1EhLi16ELi64ELi256ELb1ELi10EL8MFMAType0EEvPKT_PKT0_S9_ifPKiSB_SB_iPKfiiiPfSE_PS4_PT2_iSD_SD_
	.p2align	8
	.type	_Z39paged_attention_ll4mi_QKV_mfma16_kernelI14__hip_bfloat16hLN4vllm18Fp8KVCacheDataTypeE1EhLi16ELi64ELi256ELb1ELi10EL8MFMAType0EEvPKT_PKT0_S9_ifPKiSB_SB_iPKfiiiPfSE_PS4_PT2_iSD_SD_,@function
_Z39paged_attention_ll4mi_QKV_mfma16_kernelI14__hip_bfloat16hLN4vllm18Fp8KVCacheDataTypeE1EhLi16ELi64ELi256ELb1ELi10EL8MFMAType0EEvPKT_PKT0_S9_ifPKiSB_SB_iPKfiiiPfSE_PS4_PT2_iSD_SD_: ; @_Z39paged_attention_ll4mi_QKV_mfma16_kernelI14__hip_bfloat16hLN4vllm18Fp8KVCacheDataTypeE1EhLi16ELi64ELi256ELb1ELi10EL8MFMAType0EEvPKT_PKT0_S9_ifPKiSB_SB_iPKfiiiPfSE_PS4_PT2_iSD_SD_
; %bb.0:
	s_load_b64 s[2:3], s[0:1], 0x30
	s_mov_b32 s30, s13
	s_waitcnt lgkmcnt(0)
	s_cmp_lg_u64 s[2:3], 0
	s_cselect_b32 s8, -1, 0
	s_ashr_i32 s31, s13, 31
	s_cmp_eq_u64 s[2:3], 0
	s_cbranch_scc1 .LBB1671_3
; %bb.1:
	s_lshl_b64 s[4:5], s[30:31], 2
	s_delay_alu instid0(SALU_CYCLE_1) | instskip(SKIP_4) | instid1(SALU_CYCLE_1)
	s_add_u32 s4, s2, s4
	s_addc_u32 s5, s3, s5
	s_load_b64 s[4:5], s[4:5], 0x0
	s_waitcnt lgkmcnt(0)
	s_sub_i32 s4, s5, s4
	s_cmp_eq_u32 s4, 1
	s_cselect_b32 s4, -1, 0
	s_delay_alu instid0(SALU_CYCLE_1)
	s_and_not1_b32 vcc_lo, exec_lo, s4
	s_cbranch_vccz .LBB1671_4
.LBB1671_2:
	s_endpgm
.LBB1671_3:
.LBB1671_4:
	s_load_b64 s[4:5], s[0:1], 0x28
	s_lshl_b64 s[6:7], s[30:31], 2
	s_waitcnt lgkmcnt(0)
	s_add_u32 s4, s4, s6
	s_addc_u32 s5, s5, s7
	s_lshl_b32 s12, s14, 8
	s_load_b32 s24, s[4:5], 0x0
	s_waitcnt lgkmcnt(0)
	s_cmp_ge_i32 s12, s24
	s_cbranch_scc1 .LBB1671_2
; %bb.5:
	s_clause 0x1
	s_load_b128 s[20:23], s[0:1], 0x8
	s_load_b64 s[4:5], s[0:1], 0x20
	s_and_not1_b32 vcc_lo, exec_lo, s8
	s_cbranch_vccnz .LBB1671_7
; %bb.6:
	s_add_u32 s2, s2, s6
	s_addc_u32 s3, s3, s7
	s_load_b32 s3, s[2:3], 0x0
	s_branch .LBB1671_8
.LBB1671_7:
	s_mov_b32 s3, s30
.LBB1671_8:
	s_load_b128 s[16:19], s[0:1], 0x48
	v_and_b32_e32 v65, 15, v0
	v_cmp_gt_u32_e32 vcc_lo, 0xa0, v0
	v_lshrrev_b32_e32 v66, 5, v0
	v_and_b32_e32 v67, 31, v0
	v_and_b32_e32 v75, 1, v0
	v_lshlrev_b32_e32 v1, 3, v65
	v_cmp_gt_u32_e64 s2, 8, v65
	v_bfe_u32 v74, v0, 4, 1
	s_mul_i32 s31, s15, 10
	s_delay_alu instid0(VALU_DEP_3) | instskip(NEXT) | instid1(VALU_DEP_3)
	v_lshlrev_b32_e32 v73, 1, v1
	s_and_b32 s7, vcc_lo, s2
	s_delay_alu instid0(SALU_CYCLE_1)
	s_and_saveexec_b32 s6, s7
	s_cbranch_execz .LBB1671_10
; %bb.9:
	s_load_b64 s[8:9], s[0:1], 0x0
	v_lshl_or_b32 v5, v66, 1, v74
	s_waitcnt lgkmcnt(0)
	s_mul_hi_i32 s11, s3, s16
	s_mul_i32 s10, s3, s16
	v_lshlrev_b32_e32 v6, 10, v65
	s_lshl_b64 s[10:11], s[10:11], 1
	v_add_lshl_u32 v1, v5, s31, 6
	v_lshlrev_b32_e32 v5, 6, v5
	v_lshlrev_b32_e32 v7, 10, v75
	v_and_b32_e32 v6, 0x3800, v6
	s_delay_alu instid0(VALU_DEP_4) | instskip(NEXT) | instid1(VALU_DEP_2)
	v_ashrrev_i32_e32 v2, 31, v1
	v_or3_b32 v5, v6, v7, v5
	s_delay_alu instid0(VALU_DEP_2) | instskip(SKIP_2) | instid1(VALU_DEP_1)
	v_lshlrev_b64 v[1:2], 1, v[1:2]
	s_add_u32 s3, s8, s10
	s_addc_u32 s7, s9, s11
	v_add_co_u32 v1, vcc_lo, s3, v1
	s_delay_alu instid0(VALU_DEP_2) | instskip(NEXT) | instid1(VALU_DEP_2)
	v_add_co_ci_u32_e32 v2, vcc_lo, s7, v2, vcc_lo
	v_add_co_u32 v1, vcc_lo, v1, v73
	s_delay_alu instid0(VALU_DEP_2)
	v_add_co_ci_u32_e32 v2, vcc_lo, 0, v2, vcc_lo
	global_load_b128 v[1:4], v[1:2], off
	s_waitcnt vmcnt(0)
	ds_store_b128 v5, v[1:4]
.LBB1671_10:
	s_or_b32 exec_lo, exec_lo, s6
	v_and_b32_e32 v1, 0xef, v0
	s_waitcnt lgkmcnt(0)
	s_add_i32 s3, s24, 15
	s_clause 0x1
	s_load_b32 s6, s[0:1], 0x38
	s_load_b32 s19, s[0:1], 0x1c
	s_ashr_i32 s7, s3, 31
	v_add_nc_u32_e32 v1, s12, v1
	s_lshr_b32 s7, s7, 28
	s_waitcnt lgkmcnt(0)
	s_add_i32 s3, s3, s7
	s_barrier
	v_ashrrev_i32_e32 v2, 31, v1
	v_or_b32_e32 v3, 16, v1
	s_ashr_i32 s3, s3, 4
	v_cmp_gt_i32_e32 vcc_lo, s24, v1
	s_add_i32 s3, s3, -1
	v_lshrrev_b32_e32 v2, 28, v2
	buffer_gl0_inv
	s_mul_i32 s27, s15, s18
	v_add_nc_u32_e32 v4, v1, v2
	s_mul_i32 s6, s30, s6
	s_delay_alu instid0(SALU_CYCLE_1) | instskip(NEXT) | instid1(VALU_DEP_1)
	s_ashr_i32 s7, s6, 31
	v_ashrrev_i32_e32 v4, 4, v4
	v_add_nc_u32_e32 v2, v3, v2
	s_lshl_b64 s[6:7], s[6:7], 2
	s_delay_alu instid0(SALU_CYCLE_1) | instskip(NEXT) | instid1(VALU_DEP_2)
	s_add_u32 s26, s4, s6
	v_cndmask_b32_e32 v1, s3, v4, vcc_lo
	s_delay_alu instid0(VALU_DEP_2)
	v_ashrrev_i32_e32 v2, 4, v2
	v_cmp_gt_i32_e32 vcc_lo, s24, v3
	s_addc_u32 s25, s5, s7
	s_ashr_i32 s28, s27, 31
	s_add_u32 s13, s20, s27
	s_addc_u32 s15, s21, s28
	v_cndmask_b32_e32 v3, s3, v2, vcc_lo
	v_ashrrev_i32_e32 v2, 31, v1
	s_lshl_b32 s4, s14, 4
	s_delay_alu instid0(SALU_CYCLE_1) | instskip(NEXT) | instid1(VALU_DEP_2)
	s_ashr_i32 s5, s4, 31
	v_ashrrev_i32_e32 v4, 31, v3
	s_delay_alu instid0(VALU_DEP_2) | instskip(SKIP_1) | instid1(SALU_CYCLE_1)
	v_lshlrev_b64 v[1:2], 2, v[1:2]
	s_lshl_b64 s[4:5], s[4:5], 2
	s_add_u32 s4, s26, s4
	s_delay_alu instid0(VALU_DEP_2) | instskip(SKIP_1) | instid1(VALU_DEP_2)
	v_lshlrev_b64 v[3:4], 2, v[3:4]
	s_addc_u32 s5, s25, s5
	v_add_co_u32 v1, vcc_lo, s26, v1
	v_add_co_ci_u32_e32 v2, vcc_lo, s25, v2, vcc_lo
	s_delay_alu instid0(VALU_DEP_3) | instskip(NEXT) | instid1(VALU_DEP_4)
	v_add_co_u32 v3, vcc_lo, s26, v3
	v_add_co_ci_u32_e32 v4, vcc_lo, s25, v4, vcc_lo
	s_clause 0x1
	global_load_b32 v5, v[1:2], off
	global_load_b32 v7, v[3:4], off
	s_or_b32 s6, s12, 32
	v_lshlrev_b32_e32 v1, 4, v0
	s_ashr_i32 s7, s6, 4
	s_cmp_lt_i32 s6, s24
	v_cmp_gt_u32_e32 vcc_lo, 10, v65
	s_cselect_b32 s6, s7, s3
	v_and_b32_e32 v1, 0xf0, v1
	s_ashr_i32 s7, s6, 31
	s_delay_alu instid0(SALU_CYCLE_1) | instskip(NEXT) | instid1(SALU_CYCLE_1)
	s_lshl_b64 s[6:7], s[6:7], 2
	s_add_u32 s6, s26, s6
	s_addc_u32 s7, s25, s7
	s_or_b32 s8, s12, 64
	v_add_co_u32 v1, s13, s13, v1
	s_ashr_i32 s9, s8, 4
	s_cmp_lt_i32 s8, s24
	v_add_co_ci_u32_e64 v2, null, s15, 0, s13
	s_cselect_b32 s8, s9, s3
	s_delay_alu instid0(SALU_CYCLE_1) | instskip(NEXT) | instid1(SALU_CYCLE_1)
	s_ashr_i32 s9, s8, 31
	s_lshl_b64 s[8:9], s[8:9], 2
	s_delay_alu instid0(SALU_CYCLE_1) | instskip(SKIP_2) | instid1(SALU_CYCLE_1)
	s_add_u32 s8, s26, s8
	s_addc_u32 s9, s25, s9
	s_or_b32 s10, s12, 0x60
	s_ashr_i32 s11, s10, 4
	s_cmp_lt_i32 s10, s24
	s_cselect_b32 s10, s11, s3
	s_delay_alu instid0(SALU_CYCLE_1) | instskip(NEXT) | instid1(SALU_CYCLE_1)
	s_ashr_i32 s11, s10, 31
	s_lshl_b64 s[10:11], s[10:11], 2
	s_delay_alu instid0(SALU_CYCLE_1) | instskip(SKIP_2) | instid1(SALU_CYCLE_1)
	s_add_u32 s10, s26, s10
	s_addc_u32 s11, s25, s11
	s_or_b32 s16, s12, 0x80
	s_ashr_i32 s18, s16, 4
	s_cmp_lt_i32 s16, s24
	s_cselect_b32 s20, s18, s3
	s_delay_alu instid0(SALU_CYCLE_1) | instskip(NEXT) | instid1(SALU_CYCLE_1)
	s_ashr_i32 s21, s20, 31
	s_lshl_b64 s[20:21], s[20:21], 2
	s_delay_alu instid0(SALU_CYCLE_1) | instskip(SKIP_2) | instid1(SALU_CYCLE_1)
	s_add_u32 s34, s26, s20
	s_addc_u32 s35, s25, s21
	s_or_b32 s16, s12, 0xa0
	s_ashr_i32 s18, s16, 4
	s_cmp_lt_i32 s16, s24
	s_cselect_b32 s20, s18, s3
	s_delay_alu instid0(SALU_CYCLE_1) | instskip(NEXT) | instid1(SALU_CYCLE_1)
	s_ashr_i32 s21, s20, 31
	s_lshl_b64 s[20:21], s[20:21], 2
	s_delay_alu instid0(SALU_CYCLE_1)
	s_add_u32 s36, s26, s20
	s_addc_u32 s37, s25, s21
	s_clause 0x5
	s_load_b32 s21, s[4:5], 0x0
	s_load_b32 s13, s[6:7], 0x0
	;; [unrolled: 1-line block ×6, first 2 shown]
	s_or_b32 s8, s12, 0xc0
	s_mov_b32 s4, 0
	s_ashr_i32 s9, s8, 4
	s_cmp_lt_i32 s8, s24
	s_mov_b32 s11, s4
	s_cselect_b32 s34, s9, s3
	s_mov_b32 s5, s4
	s_ashr_i32 s35, s34, 31
	s_mov_b32 s6, s4
	s_lshl_b64 s[34:35], s[34:35], 2
	s_mov_b32 s7, s4
	s_add_u32 s34, s26, s34
	s_addc_u32 s35, s25, s35
	s_or_b32 s29, s12, 0xe0
	s_mov_b32 s8, s4
	s_ashr_i32 s33, s29, 4
	s_mov_b32 s9, s4
	s_mov_b32 s10, s4
	s_cmp_lt_i32 s29, s24
	v_dual_mov_b32 v107, s11 :: v_dual_mov_b32 v100, s4
	v_mov_b32_e32 v106, s10
	v_dual_mov_b32 v104, s8 :: v_dual_mov_b32 v103, s7
	v_dual_mov_b32 v102, s6 :: v_dual_mov_b32 v101, s5
	s_waitcnt vmcnt(1)
	v_mad_i64_i32 v[3:4], null, v5, s17, v[1:2]
	s_waitcnt vmcnt(0)
	v_mad_i64_i32 v[5:6], null, v7, s17, v[1:2]
	v_add_nc_u32_e32 v1, -10, v65
	v_lshlrev_b32_e32 v2, 4, v65
	s_clause 0x7
	global_load_b128 v[49:52], v[3:4], off
	global_load_b128 v[53:56], v[3:4], off offset:256
	global_load_b128 v[76:79], v[5:6], off
	global_load_b128 v[80:83], v[5:6], off offset:256
	global_load_b128 v[84:87], v[3:4], off offset:512
	;; [unrolled: 1-line block ×5, first 2 shown]
	v_cndmask_b32_e32 v1, v1, v65, vcc_lo
	v_mov_b32_e32 v105, s9
	s_cselect_b32 s4, s33, s3
	v_lshl_or_b32 v2, v66, 8, v2
	s_ashr_i32 s5, s4, 31
	v_lshlrev_b32_e32 v70, 6, v1
	s_lshl_b64 s[4:5], s[4:5], 2
	s_load_b32 s3, s[34:35], 0x0
	s_add_u32 s4, s26, s4
	s_addc_u32 s5, s25, s5
	ds_load_b128 v[108:111], v70
	ds_load_b128 v[112:115], v70 offset:1024
	s_load_b32 s4, s[4:5], 0x0
	s_add_u32 s6, s22, s27
	s_addc_u32 s7, s23, s28
	v_add_co_u32 v9, s6, s6, v2
	s_delay_alu instid0(VALU_DEP_1) | instskip(SKIP_1) | instid1(VALU_DEP_1)
	v_add_co_ci_u32_e64 v10, null, s7, 0, s6
	s_waitcnt lgkmcnt(0)
	v_mad_i64_i32 v[1:2], null, s21, s17, v[9:10]
	v_mad_i64_i32 v[3:4], null, s13, s17, v[9:10]
	;; [unrolled: 1-line block ×7, first 2 shown]
	s_clause 0x9
	global_load_b128 v[57:60], v[1:2], off
	global_load_b128 v[61:64], v[1:2], off offset:16
	global_load_b128 v[41:44], v[3:4], off
	global_load_b128 v[45:48], v[3:4], off offset:16
	;; [unrolled: 2-line block ×5, first 2 shown]
	v_mad_i64_i32 v[68:69], null, s4, s17, v[9:10]
	s_clause 0x3
	global_load_b128 v[9:12], v[13:14], off
	global_load_b128 v[13:16], v[13:14], off offset:16
	global_load_b128 v[17:20], v[21:22], off
	global_load_b128 v[21:24], v[21:22], off offset:16
	s_waitcnt vmcnt(20)
	v_wmma_f32_16x16x16_bf16 v[116:123], v[49:56], v[108:115], v[100:107]
	s_clause 0x1
	global_load_b128 v[49:52], v[68:69], off
	global_load_b128 v[53:56], v[68:69], off offset:16
	v_and_b32_e32 v68, 0xe0, v0
	v_mbcnt_lo_u32_b32 v69, -1, 0
	s_delay_alu instid0(VALU_DEP_2)
	v_add_nc_u32_e32 v68, s12, v68
	s_waitcnt vmcnt(20)
	v_wmma_f32_16x16x16_bf16 v[100:107], v[76:83], v[108:115], v[100:107]
	ds_load_b128 v[76:79], v70 offset:2048
	ds_load_b128 v[80:83], v70 offset:3072
	v_xor_b32_e32 v70, 16, v69
	s_waitcnt vmcnt(0) lgkmcnt(0)
	v_or_b32_e32 v68, v68, v74
	s_barrier
	buffer_gl0_inv
	v_cmp_gt_i32_e32 vcc_lo, 32, v70
	v_or_b32_e32 v71, 4, v68
	v_or_b32_e32 v72, 6, v68
	v_cmp_gt_i32_e64 s3, s24, v68
	v_or_b32_e32 v108, 8, v68
	v_or_b32_e32 v109, 10, v68
	v_cmp_gt_i32_e64 s4, s24, v71
	v_cmp_gt_i32_e64 s5, s24, v72
	s_delay_alu instid0(VALU_DEP_4) | instskip(NEXT) | instid1(VALU_DEP_4)
	v_cmp_gt_i32_e64 s6, s24, v108
	v_cmp_gt_i32_e64 s7, s24, v109
	v_wmma_f32_16x16x16_bf16 v[116:123], v[84:91], v[76:83], v[116:123]
	v_cndmask_b32_e32 v69, v69, v70, vcc_lo
	v_or_b32_e32 v70, 2, v68
	v_wmma_f32_16x16x16_bf16 v[100:107], v[92:99], v[76:83], v[100:107]
	v_or_b32_e32 v89, 22, v68
	v_dual_mul_f32 v82, s19, v119 :: v_dual_mul_f32 v79, s19, v122
	v_dual_mul_f32 v92, s19, v117 :: v_dual_mul_f32 v93, s19, v116
	s_delay_alu instid0(VALU_DEP_4) | instskip(SKIP_2) | instid1(VALU_DEP_4)
	v_mul_f32_e32 v98, s19, v103
	v_cmp_gt_i32_e32 vcc_lo, s24, v70
	v_dual_mul_f32 v83, s19, v118 :: v_dual_mul_f32 v96, s19, v105
	v_cndmask_b32_e64 v93, 0xff7fffff, v93, s3
	v_or_b32_e32 v84, 12, v68
	v_cndmask_b32_e32 v92, 0xff7fffff, v92, vcc_lo
	v_or_b32_e32 v85, 14, v68
	v_dual_mul_f32 v80, s19, v121 :: v_dual_mul_f32 v81, s19, v120
	v_mul_f32_e32 v94, s19, v107
	v_cndmask_b32_e64 v71, 0xff7fffff, v83, s4
	v_cndmask_b32_e64 v72, 0xff7fffff, v82, s5
	v_cmp_gt_i32_e64 s13, s24, v89
	v_lshlrev_b32_e32 v89, 2, v69
	v_max3_f32 v82, v93, 0xff7fffff, v92
	v_or_b32_e32 v86, 16, v68
	v_or_b32_e32 v87, 18, v68
	v_mul_f32_e32 v78, s19, v123
	v_cndmask_b32_e64 v81, 0xff7fffff, v81, s6
	v_cndmask_b32_e64 v80, 0xff7fffff, v80, s7
	v_max3_f32 v71, v82, v71, v72
	v_cmp_gt_i32_e64 s8, s24, v84
	v_cmp_gt_i32_e64 s9, s24, v85
	v_or_b32_e32 v88, 20, v68
	v_or_b32_e32 v90, 24, v68
	;; [unrolled: 1-line block ×5, first 2 shown]
	v_dual_mul_f32 v95, s19, v106 :: v_dual_mul_f32 v70, s19, v101
	v_dual_mul_f32 v99, s19, v102 :: v_dual_mul_f32 v68, s19, v100
	v_cndmask_b32_e64 v72, 0xff7fffff, v79, s8
	v_cndmask_b32_e64 v78, 0xff7fffff, v78, s9
	v_max3_f32 v71, v71, v81, v80
	v_cmp_gt_i32_e64 s10, s24, v86
	v_cmp_gt_i32_e64 s11, s24, v87
	;; [unrolled: 1-line block ×3, first 2 shown]
	v_mul_f32_e32 v97, s19, v104
	v_max3_f32 v71, v71, v72, v78
	v_cndmask_b32_e64 v68, 0xff7fffff, v68, s10
	v_cndmask_b32_e64 v70, 0xff7fffff, v70, s11
	;; [unrolled: 1-line block ×4, first 2 shown]
	v_cmp_gt_i32_e64 s15, s24, v90
	v_cmp_gt_i32_e64 s16, s24, v91
	v_max3_f32 v68, v71, v68, v70
	v_cmp_gt_i32_e64 s17, s24, v76
	v_cmp_gt_i32_e64 s18, s24, v77
	v_cndmask_b32_e64 v70, 0xff7fffff, v97, s15
	v_cndmask_b32_e64 v71, 0xff7fffff, v96, s16
	v_max3_f32 v68, v68, v72, v78
	v_cndmask_b32_e64 v72, 0xff7fffff, v95, s17
	v_cndmask_b32_e64 v76, 0xff7fffff, v94, s18
	s_delay_alu instid0(VALU_DEP_3) | instskip(NEXT) | instid1(VALU_DEP_1)
	v_max3_f32 v68, v68, v70, v71
	v_max3_f32 v68, v68, v72, v76
	ds_bpermute_b32 v69, v89, v68
	s_waitcnt lgkmcnt(0)
	v_max_f32_e32 v69, v69, v69
	s_delay_alu instid0(VALU_DEP_1) | instskip(NEXT) | instid1(VALU_DEP_1)
	v_max_f32_e32 v68, v68, v69
	v_fma_f32 v69, s19, v116, -v68
	v_fma_f32 v70, s19, v117, -v68
	;; [unrolled: 1-line block ×5, first 2 shown]
	s_delay_alu instid0(VALU_DEP_4) | instskip(NEXT) | instid1(VALU_DEP_4)
	v_dual_mul_f32 v69, 0x3fb8aa3b, v69 :: v_dual_mul_f32 v70, 0x3fb8aa3b, v70
	v_mul_f32_e32 v72, 0x3fb8aa3b, v72
	v_fma_f32 v78, s19, v122, -v68
	s_delay_alu instid0(VALU_DEP_4) | instskip(NEXT) | instid1(VALU_DEP_4)
	v_mul_f32_e32 v77, 0x3fb8aa3b, v76
	v_exp_f32_e32 v69, v69
	v_exp_f32_e32 v70, v70
	v_mul_f32_e32 v71, 0x3fb8aa3b, v71
	v_exp_f32_e32 v72, v72
	v_mul_f32_e32 v78, 0x3fb8aa3b, v78
	v_exp_f32_e32 v77, v77
	v_fma_f32 v81, s19, v105, -v68
	s_delay_alu instid0(VALU_DEP_2)
	v_exp_f32_e32 v78, v78
	v_cndmask_b32_e64 v80, 0, v69, s3
	v_cndmask_b32_e32 v76, 0, v70, vcc_lo
	v_exp_f32_e32 v71, v71
	v_fma_f32 v69, s19, v121, -v68
	v_cndmask_b32_e64 v85, 0, v72, s5
	v_add_f32_e32 v70, 0, v80
	s_delay_alu instid0(TRANS32_DEP_3)
	v_cndmask_b32_e64 v86, 0, v77, s6
	v_fma_f32 v77, s19, v101, -v68
	v_mul_f32_e32 v69, 0x3fb8aa3b, v69
	v_fma_f32 v72, s19, v100, -v68
	v_cndmask_b32_e64 v84, 0, v78, s8
	v_fma_f32 v78, s19, v103, -v68
	v_cndmask_b32_e64 v83, 0, v71, s4
	v_fma_f32 v71, s19, v123, -v68
	v_add_f32_e32 v70, v70, v76
	v_exp_f32_e32 v69, v69
	v_mul_f32_e32 v77, 0x3fb8aa3b, v77
	v_mul_f32_e32 v81, 0x3fb8aa3b, v81
	;; [unrolled: 1-line block ×3, first 2 shown]
	v_add_f32_e32 v70, v70, v83
	s_mov_b32 s3, exec_lo
	v_exp_f32_e32 v77, v77
	v_exp_f32_e32 v81, v81
	;; [unrolled: 1-line block ×3, first 2 shown]
	v_cndmask_b32_e64 v87, 0, v69, s7
	v_add_f32_e32 v70, v70, v85
	s_delay_alu instid0(VALU_DEP_1) | instskip(SKIP_1) | instid1(VALU_DEP_2)
	v_dual_mul_f32 v72, 0x3fb8aa3b, v72 :: v_dual_add_f32 v69, v70, v86
	v_fma_f32 v70, s19, v102, -v68
	v_exp_f32_e32 v72, v72
	s_waitcnt_depctr 0xfff
	v_cndmask_b32_e64 v88, 0, v71, s9
	v_fma_f32 v71, s19, v104, -v68
	v_dual_add_f32 v69, v69, v87 :: v_dual_mul_f32 v70, 0x3fb8aa3b, v70
	s_delay_alu instid0(VALU_DEP_2) | instskip(NEXT) | instid1(VALU_DEP_2)
	v_dual_mul_f32 v78, 0x3fb8aa3b, v78 :: v_dual_mul_f32 v71, 0x3fb8aa3b, v71
	v_add_f32_e32 v69, v69, v84
	s_delay_alu instid0(VALU_DEP_3) | instskip(SKIP_1) | instid1(VALU_DEP_3)
	v_exp_f32_e32 v79, v70
	v_cndmask_b32_e64 v70, 0, v72, s10
	v_exp_f32_e32 v78, v78
	v_exp_f32_e32 v82, v71
	v_add_f32_e32 v72, v69, v88
	v_cndmask_b32_e64 v69, 0, v77, s11
	v_fma_f32 v77, s19, v106, -v68
	s_delay_alu instid0(VALU_DEP_3) | instskip(NEXT) | instid1(TRANS32_DEP_3)
	v_add_f32_e32 v72, v72, v70
	v_cndmask_b32_e64 v71, 0, v79, s12
	s_delay_alu instid0(VALU_DEP_3) | instskip(NEXT) | instid1(VALU_DEP_3)
	v_mul_f32_e32 v77, 0x3fb8aa3b, v77
	v_add_f32_e32 v79, v72, v69
	s_delay_alu instid0(TRANS32_DEP_2) | instskip(NEXT) | instid1(VALU_DEP_3)
	v_cndmask_b32_e64 v72, 0, v78, s13
	v_exp_f32_e32 v90, v77
	v_cndmask_b32_e64 v77, 0, v82, s15
	s_delay_alu instid0(VALU_DEP_3) | instskip(SKIP_1) | instid1(VALU_DEP_1)
	v_add_f32_e32 v78, v79, v71
	v_fma_f32 v79, s19, v107, -v68
	v_dual_add_f32 v82, v78, v72 :: v_dual_mul_f32 v79, 0x3fb8aa3b, v79
	v_cndmask_b32_e64 v78, 0, v81, s16
	s_delay_alu instid0(VALU_DEP_2) | instskip(NEXT) | instid1(VALU_DEP_3)
	v_add_f32_e32 v81, v82, v77
	v_exp_f32_e32 v82, v79
	s_delay_alu instid0(TRANS32_DEP_2) | instskip(NEXT) | instid1(VALU_DEP_2)
	v_cndmask_b32_e64 v79, 0, v90, s17
	v_add_f32_e32 v81, v81, v78
	s_delay_alu instid0(VALU_DEP_1) | instskip(SKIP_2) | instid1(VALU_DEP_1)
	v_add_f32_e32 v90, v81, v79
	s_waitcnt_depctr 0xfff
	v_cndmask_b32_e64 v81, 0, v82, s18
	v_add_f32_e32 v82, v90, v81
	ds_bpermute_b32 v89, v89, v82
	v_cmpx_gt_u32_e32 16, v67
	s_cbranch_execz .LBB1671_12
; %bb.11:
	v_mul_u32_u24_e32 v67, 0x44, v66
	s_delay_alu instid0(VALU_DEP_1) | instskip(SKIP_1) | instid1(VALU_DEP_1)
	v_lshl_add_u32 v67, v65, 2, v67
	s_waitcnt lgkmcnt(0)
	v_dual_add_f32 v82, v82, v89 :: v_dual_add_nc_u32 v67, 0x4000, v67
	ds_store_2addr_b32 v67, v68, v82 offset1:136
.LBB1671_12:
	s_or_b32 exec_lo, exec_lo, s3
	v_lshlrev_b32_e32 v67, 2, v65
	s_waitcnt lgkmcnt(0)
	s_barrier
	buffer_gl0_inv
	v_cmp_eq_u32_e32 vcc_lo, 1, v66
	v_add_nc_u32_e32 v82, 0x4000, v67
	v_cmp_eq_u32_e64 s3, 2, v66
	v_cmp_eq_u32_e64 s5, 7, v66
	ds_load_2addr_b32 v[89:90], v82 offset1:17
	ds_load_2addr_b32 v[91:92], v82 offset0:34 offset1:51
	ds_load_2addr_b32 v[93:94], v82 offset0:68 offset1:85
	;; [unrolled: 1-line block ×4, first 2 shown]
	s_waitcnt lgkmcnt(4)
	v_max3_f32 v67, v89, 0xff7fffff, v90
	s_waitcnt lgkmcnt(3)
	s_delay_alu instid0(VALU_DEP_1) | instskip(SKIP_1) | instid1(VALU_DEP_1)
	v_max3_f32 v67, v67, v91, v92
	s_waitcnt lgkmcnt(2)
	v_max3_f32 v67, v67, v93, v94
	s_waitcnt lgkmcnt(1)
	s_delay_alu instid0(VALU_DEP_1) | instskip(NEXT) | instid1(VALU_DEP_1)
	v_max3_f32 v67, v67, v95, v96
	v_sub_f32_e32 v93, v93, v67
	s_delay_alu instid0(VALU_DEP_1) | instskip(NEXT) | instid1(VALU_DEP_1)
	v_dual_sub_f32 v68, v89, v67 :: v_dual_mul_f32 v103, 0x3fb8aa3b, v93
	v_mul_f32_e32 v68, 0x3fb8aa3b, v68
	s_delay_alu instid0(VALU_DEP_1)
	v_exp_f32_e32 v100, v68
	v_sub_f32_e32 v68, v92, v67
	v_sub_f32_e32 v99, v90, v67
	ds_load_2addr_b32 v[89:90], v82 offset0:170 offset1:187
	v_dual_mul_f32 v102, 0x3fb8aa3b, v68 :: v_dual_mul_f32 v99, 0x3fb8aa3b, v99
	s_waitcnt lgkmcnt(1)
	v_fma_f32 v68, v100, v97, 0
	s_delay_alu instid0(VALU_DEP_2) | instskip(NEXT) | instid1(VALU_DEP_2)
	v_exp_f32_e32 v102, v102
	v_exp_f32_e32 v99, v99
	s_waitcnt_depctr 0xfff
	v_fmac_f32_e32 v68, v99, v98
	v_sub_f32_e32 v91, v91, v67
	s_delay_alu instid0(VALU_DEP_1)
	v_mul_f32_e32 v101, 0x3fb8aa3b, v91
	ds_load_2addr_b32 v[91:92], v82 offset0:204 offset1:221
	v_sub_f32_e32 v97, v94, v67
	ds_load_2addr_b32 v[93:94], v82 offset0:238 offset1:255
	s_waitcnt lgkmcnt(0)
	v_exp_f32_e32 v101, v101
	s_barrier
	buffer_gl0_inv
	v_dual_fmac_f32 v68, v101, v89 :: v_dual_sub_f32 v89, v96, v67
	v_dual_sub_f32 v82, v95, v67 :: v_dual_mul_f32 v95, 0x3fb8aa3b, v97
	v_exp_f32_e32 v97, v103
	s_delay_alu instid0(VALU_DEP_2) | instskip(NEXT) | instid1(VALU_DEP_2)
	v_dual_fmac_f32 v68, v102, v90 :: v_dual_mul_f32 v89, 0x3fb8aa3b, v89
	v_mul_f32_e32 v82, 0x3fb8aa3b, v82
	s_delay_alu instid0(VALU_DEP_3) | instskip(NEXT) | instid1(VALU_DEP_2)
	v_exp_f32_e32 v95, v95
	v_exp_f32_e32 v89, v89
	s_delay_alu instid0(VALU_DEP_1)
	v_exp_f32_e32 v82, v82
	v_fmac_f32_e32 v68, v97, v91
	s_delay_alu instid0(TRANS32_DEP_3) | instid1(VALU_DEP_1)
	v_fmac_f32_e32 v68, v95, v92
	s_waitcnt_depctr 0xfff
	v_fmac_f32_e32 v68, v82, v93
	s_delay_alu instid0(VALU_DEP_1) | instskip(NEXT) | instid1(VALU_DEP_1)
	v_fmac_f32_e32 v68, v89, v94
	v_add_f32_e32 v90, 0x358637bd, v68
	s_delay_alu instid0(VALU_DEP_1) | instskip(NEXT) | instid1(VALU_DEP_1)
	v_div_scale_f32 v91, null, v90, v90, 1.0
	v_rcp_f32_e32 v92, v91
	s_waitcnt_depctr 0xfff
	v_fma_f32 v93, -v91, v92, 1.0
	s_delay_alu instid0(VALU_DEP_1) | instskip(SKIP_1) | instid1(VALU_DEP_2)
	v_dual_fmac_f32 v92, v93, v92 :: v_dual_cndmask_b32 v93, v100, v99
	v_cmp_eq_u32_e32 vcc_lo, 3, v66
	v_cndmask_b32_e64 v93, v93, v101, s3
	v_cmp_eq_u32_e64 s3, 4, v66
	s_delay_alu instid0(VALU_DEP_2) | instskip(SKIP_1) | instid1(VALU_DEP_2)
	v_cndmask_b32_e32 v93, v93, v102, vcc_lo
	v_cmp_eq_u32_e32 vcc_lo, 5, v66
	v_cndmask_b32_e64 v93, v93, v97, s3
	v_cmp_eq_u32_e64 s3, 6, v66
	s_delay_alu instid0(VALU_DEP_2) | instskip(SKIP_1) | instid1(VALU_DEP_1)
	v_cndmask_b32_e32 v93, v93, v95, vcc_lo
	v_div_scale_f32 v94, s4, 1.0, v90, 1.0
	s_mov_b32 vcc_lo, s4
	s_delay_alu instid0(VALU_DEP_2) | instskip(NEXT) | instid1(VALU_DEP_2)
	v_cndmask_b32_e64 v82, v93, v82, s3
	v_mul_f32_e32 v96, v94, v92
	s_mov_b32 s3, exec_lo
	s_delay_alu instid0(VALU_DEP_2) | instskip(NEXT) | instid1(VALU_DEP_2)
	v_cndmask_b32_e64 v82, v82, v89, s5
	v_fma_f32 v98, -v91, v96, v94
	s_delay_alu instid0(VALU_DEP_1) | instskip(NEXT) | instid1(VALU_DEP_1)
	v_fmac_f32_e32 v96, v98, v92
	v_fma_f32 v91, -v91, v96, v94
	s_delay_alu instid0(VALU_DEP_1) | instskip(NEXT) | instid1(VALU_DEP_1)
	v_div_fmas_f32 v91, v91, v92, v96
	v_div_fixup_f32 v90, v91, v90, 1.0
	s_delay_alu instid0(VALU_DEP_1) | instskip(NEXT) | instid1(VALU_DEP_1)
	v_mul_f32_e32 v82, v82, v90
	v_mul_f32_e32 v87, v82, v87
	;; [unrolled: 1-line block ×7, first 2 shown]
	v_dual_mul_f32 v86, v82, v83 :: v_dual_and_b32 v91, 0x7f800000, v90
	v_mul_f32_e32 v85, v82, v76
                                        ; implicit-def: $vgpr76
	s_delay_alu instid0(VALU_DEP_2)
	v_cmpx_ne_u32_e32 0x7f800000, v91
	s_xor_b32 s3, exec_lo, s3
; %bb.13:
	v_bfe_u32 v76, v90, 16, 1
	s_delay_alu instid0(VALU_DEP_1)
	v_add3_u32 v76, v90, v76, 0x7fff
                                        ; implicit-def: $vgpr90
; %bb.14:
	s_and_not1_saveexec_b32 s3, s3
; %bb.15:
	v_and_b32_e32 v76, 0xffff, v90
	v_or_b32_e32 v83, 0x10000, v90
	s_delay_alu instid0(VALU_DEP_2) | instskip(NEXT) | instid1(VALU_DEP_2)
	v_cmp_eq_u32_e32 vcc_lo, 0, v76
	v_cndmask_b32_e32 v76, v83, v90, vcc_lo
; %bb.16:
	s_or_b32 exec_lo, exec_lo, s3
	v_and_b32_e32 v83, 0x7f800000, v85
	s_delay_alu instid0(VALU_DEP_1) | instskip(SKIP_1) | instid1(SALU_CYCLE_1)
	v_cmp_ne_u32_e32 vcc_lo, 0x7f800000, v83
                                        ; implicit-def: $vgpr83
	s_and_saveexec_b32 s3, vcc_lo
	s_xor_b32 s3, exec_lo, s3
; %bb.17:
	v_bfe_u32 v83, v85, 16, 1
	s_delay_alu instid0(VALU_DEP_1)
	v_add3_u32 v83, v85, v83, 0x7fff
                                        ; implicit-def: $vgpr85
; %bb.18:
	s_and_not1_saveexec_b32 s3, s3
; %bb.19:
	v_and_b32_e32 v83, 0xffff, v85
	v_or_b32_e32 v90, 0x10000, v85
	s_delay_alu instid0(VALU_DEP_2) | instskip(NEXT) | instid1(VALU_DEP_2)
	v_cmp_eq_u32_e32 vcc_lo, 0, v83
	v_cndmask_b32_e32 v83, v90, v85, vcc_lo
; %bb.20:
	s_or_b32 exec_lo, exec_lo, s3
	v_and_b32_e32 v85, 0x7f800000, v86
	s_delay_alu instid0(VALU_DEP_1) | instskip(SKIP_1) | instid1(SALU_CYCLE_1)
	v_cmp_ne_u32_e32 vcc_lo, 0x7f800000, v85
                                        ; implicit-def: $vgpr85
	s_and_saveexec_b32 s3, vcc_lo
	s_xor_b32 s3, exec_lo, s3
; %bb.21:
	v_bfe_u32 v85, v86, 16, 1
	s_delay_alu instid0(VALU_DEP_1)
	v_add3_u32 v85, v86, v85, 0x7fff
                                        ; implicit-def: $vgpr86
; %bb.22:
	s_and_not1_saveexec_b32 s3, s3
; %bb.23:
	v_and_b32_e32 v85, 0xffff, v86
	v_or_b32_e32 v90, 0x10000, v86
	s_delay_alu instid0(VALU_DEP_2) | instskip(NEXT) | instid1(VALU_DEP_2)
	v_cmp_eq_u32_e32 vcc_lo, 0, v85
	v_cndmask_b32_e32 v85, v90, v86, vcc_lo
; %bb.24:
	s_or_b32 exec_lo, exec_lo, s3
	v_and_b32_e32 v86, 0x7f800000, v89
	s_delay_alu instid0(VALU_DEP_1) | instskip(SKIP_1) | instid1(SALU_CYCLE_1)
	v_cmp_ne_u32_e32 vcc_lo, 0x7f800000, v86
                                        ; implicit-def: $vgpr86
	s_and_saveexec_b32 s3, vcc_lo
	s_xor_b32 s3, exec_lo, s3
; %bb.25:
	v_bfe_u32 v86, v89, 16, 1
	s_delay_alu instid0(VALU_DEP_1)
	v_add3_u32 v86, v89, v86, 0x7fff
                                        ; implicit-def: $vgpr89
; %bb.26:
	s_and_not1_saveexec_b32 s3, s3
; %bb.27:
	v_and_b32_e32 v86, 0xffff, v89
	v_or_b32_e32 v90, 0x10000, v89
	s_delay_alu instid0(VALU_DEP_2) | instskip(NEXT) | instid1(VALU_DEP_2)
	v_cmp_eq_u32_e32 vcc_lo, 0, v86
	v_cndmask_b32_e32 v86, v90, v89, vcc_lo
; %bb.28:
	s_or_b32 exec_lo, exec_lo, s3
	v_and_b32_e32 v89, 0x7f800000, v88
	s_delay_alu instid0(VALU_DEP_1) | instskip(SKIP_1) | instid1(SALU_CYCLE_1)
	v_cmp_ne_u32_e32 vcc_lo, 0x7f800000, v89
                                        ; implicit-def: $vgpr89
	s_and_saveexec_b32 s3, vcc_lo
	s_xor_b32 s3, exec_lo, s3
; %bb.29:
	v_bfe_u32 v89, v88, 16, 1
	s_delay_alu instid0(VALU_DEP_1)
	v_add3_u32 v89, v88, v89, 0x7fff
                                        ; implicit-def: $vgpr88
; %bb.30:
	s_and_not1_saveexec_b32 s3, s3
; %bb.31:
	v_and_b32_e32 v89, 0xffff, v88
	v_or_b32_e32 v90, 0x10000, v88
	s_delay_alu instid0(VALU_DEP_2) | instskip(NEXT) | instid1(VALU_DEP_2)
	v_cmp_eq_u32_e32 vcc_lo, 0, v89
	v_cndmask_b32_e32 v89, v90, v88, vcc_lo
; %bb.32:
	s_or_b32 exec_lo, exec_lo, s3
	v_and_b32_e32 v88, 0x7f800000, v87
	s_delay_alu instid0(VALU_DEP_1) | instskip(SKIP_1) | instid1(SALU_CYCLE_1)
	v_cmp_ne_u32_e32 vcc_lo, 0x7f800000, v88
                                        ; implicit-def: $vgpr88
	s_and_saveexec_b32 s3, vcc_lo
	s_xor_b32 s3, exec_lo, s3
; %bb.33:
	v_bfe_u32 v88, v87, 16, 1
	s_delay_alu instid0(VALU_DEP_1)
	v_add3_u32 v88, v87, v88, 0x7fff
                                        ; implicit-def: $vgpr87
; %bb.34:
	s_and_not1_saveexec_b32 s3, s3
; %bb.35:
	v_and_b32_e32 v88, 0xffff, v87
	v_or_b32_e32 v90, 0x10000, v87
	s_delay_alu instid0(VALU_DEP_2) | instskip(NEXT) | instid1(VALU_DEP_2)
	v_cmp_eq_u32_e32 vcc_lo, 0, v88
	v_cndmask_b32_e32 v88, v90, v87, vcc_lo
; %bb.36:
	s_or_b32 exec_lo, exec_lo, s3
	v_and_b32_e32 v87, 0x7f800000, v84
	s_delay_alu instid0(VALU_DEP_1) | instskip(SKIP_1) | instid1(SALU_CYCLE_1)
	v_cmp_ne_u32_e32 vcc_lo, 0x7f800000, v87
                                        ; implicit-def: $vgpr87
	s_and_saveexec_b32 s3, vcc_lo
	s_xor_b32 s3, exec_lo, s3
; %bb.37:
	v_bfe_u32 v87, v84, 16, 1
	s_delay_alu instid0(VALU_DEP_1)
	v_add3_u32 v87, v84, v87, 0x7fff
                                        ; implicit-def: $vgpr84
; %bb.38:
	s_and_not1_saveexec_b32 s3, s3
; %bb.39:
	v_and_b32_e32 v87, 0xffff, v84
	v_or_b32_e32 v90, 0x10000, v84
	s_delay_alu instid0(VALU_DEP_2) | instskip(NEXT) | instid1(VALU_DEP_2)
	v_cmp_eq_u32_e32 vcc_lo, 0, v87
	v_cndmask_b32_e32 v87, v90, v84, vcc_lo
; %bb.40:
	s_or_b32 exec_lo, exec_lo, s3
	v_and_b32_e32 v84, 0x7f800000, v80
	s_delay_alu instid0(VALU_DEP_1) | instskip(SKIP_1) | instid1(SALU_CYCLE_1)
	v_cmp_ne_u32_e32 vcc_lo, 0x7f800000, v84
                                        ; implicit-def: $vgpr84
	s_and_saveexec_b32 s3, vcc_lo
	s_xor_b32 s3, exec_lo, s3
; %bb.41:
	v_bfe_u32 v84, v80, 16, 1
	s_delay_alu instid0(VALU_DEP_1)
	v_add3_u32 v84, v80, v84, 0x7fff
                                        ; implicit-def: $vgpr80
; %bb.42:
	s_and_not1_saveexec_b32 s3, s3
; %bb.43:
	v_and_b32_e32 v84, 0xffff, v80
	v_or_b32_e32 v90, 0x10000, v80
	s_delay_alu instid0(VALU_DEP_2) | instskip(NEXT) | instid1(VALU_DEP_2)
	v_cmp_eq_u32_e32 vcc_lo, 0, v84
	v_cndmask_b32_e32 v84, v90, v80, vcc_lo
; %bb.44:
	s_or_b32 exec_lo, exec_lo, s3
	s_load_b64 s[34:35], s[0:1], 0x94
	v_lshlrev_b32_e32 v91, 4, v74
	s_delay_alu instid0(VALU_DEP_2)
	v_perm_b32 v90, v84, v87, 0x7060302
	v_dual_mul_f32 v79, v82, v79 :: v_dual_lshlrev_b32 v80, 6, v65
	v_dual_mul_f32 v77, v82, v77 :: v_dual_lshlrev_b32 v92, 11, v66
	v_mul_f32_e32 v84, v82, v70
	v_perm_b32 v89, v88, v89, 0x7060302
	v_perm_b32 v88, v86, v85, 0x7060302
	;; [unrolled: 1-line block ×3, first 2 shown]
	v_mul_f32_e32 v70, v82, v81
	v_or3_b32 v76, v91, v92, v80
	v_dual_mul_f32 v78, v82, v78 :: v_dual_and_b32 v85, 0x7f800000, v84
	v_mul_f32_e32 v83, v82, v72
	v_mul_f32_e32 v81, v82, v71
	;; [unrolled: 1-line block ×3, first 2 shown]
	s_mov_b32 s3, exec_lo
	ds_store_b128 v76, v[87:90]
                                        ; implicit-def: $vgpr69
	v_cmpx_ne_u32_e32 0x7f800000, v85
	s_xor_b32 s3, exec_lo, s3
; %bb.45:
	v_bfe_u32 v69, v84, 16, 1
	s_delay_alu instid0(VALU_DEP_1)
	v_add3_u32 v69, v84, v69, 0x7fff
                                        ; implicit-def: $vgpr84
; %bb.46:
	s_and_not1_saveexec_b32 s3, s3
; %bb.47:
	v_and_b32_e32 v69, 0xffff, v84
	v_or_b32_e32 v71, 0x10000, v84
	s_delay_alu instid0(VALU_DEP_2) | instskip(NEXT) | instid1(VALU_DEP_2)
	v_cmp_eq_u32_e32 vcc_lo, 0, v69
	v_cndmask_b32_e32 v69, v71, v84, vcc_lo
; %bb.48:
	s_or_b32 exec_lo, exec_lo, s3
	v_and_b32_e32 v71, 0x7f800000, v72
	s_delay_alu instid0(VALU_DEP_1) | instskip(SKIP_1) | instid1(SALU_CYCLE_1)
	v_cmp_ne_u32_e32 vcc_lo, 0x7f800000, v71
                                        ; implicit-def: $vgpr71
	s_and_saveexec_b32 s3, vcc_lo
	s_xor_b32 s3, exec_lo, s3
; %bb.49:
	v_bfe_u32 v71, v72, 16, 1
	s_delay_alu instid0(VALU_DEP_1)
	v_add3_u32 v71, v72, v71, 0x7fff
                                        ; implicit-def: $vgpr72
; %bb.50:
	s_and_not1_saveexec_b32 s3, s3
; %bb.51:
	v_and_b32_e32 v71, 0xffff, v72
	v_or_b32_e32 v82, 0x10000, v72
	s_delay_alu instid0(VALU_DEP_2) | instskip(NEXT) | instid1(VALU_DEP_2)
	v_cmp_eq_u32_e32 vcc_lo, 0, v71
	v_cndmask_b32_e32 v71, v82, v72, vcc_lo
; %bb.52:
	s_or_b32 exec_lo, exec_lo, s3
	v_and_b32_e32 v72, 0x7f800000, v81
	s_delay_alu instid0(VALU_DEP_1) | instskip(SKIP_1) | instid1(SALU_CYCLE_1)
	v_cmp_ne_u32_e32 vcc_lo, 0x7f800000, v72
                                        ; implicit-def: $vgpr72
	s_and_saveexec_b32 s3, vcc_lo
	s_xor_b32 s3, exec_lo, s3
; %bb.53:
	v_bfe_u32 v72, v81, 16, 1
	s_delay_alu instid0(VALU_DEP_1)
	v_add3_u32 v72, v81, v72, 0x7fff
                                        ; implicit-def: $vgpr81
; %bb.54:
	s_and_not1_saveexec_b32 s3, s3
; %bb.55:
	v_and_b32_e32 v72, 0xffff, v81
	v_or_b32_e32 v82, 0x10000, v81
	s_delay_alu instid0(VALU_DEP_2) | instskip(NEXT) | instid1(VALU_DEP_2)
	v_cmp_eq_u32_e32 vcc_lo, 0, v72
	v_cndmask_b32_e32 v72, v82, v81, vcc_lo
; %bb.56:
	s_or_b32 exec_lo, exec_lo, s3
	v_and_b32_e32 v81, 0x7f800000, v83
	s_delay_alu instid0(VALU_DEP_1) | instskip(SKIP_1) | instid1(SALU_CYCLE_1)
	v_cmp_ne_u32_e32 vcc_lo, 0x7f800000, v81
                                        ; implicit-def: $vgpr81
	s_and_saveexec_b32 s3, vcc_lo
	s_xor_b32 s3, exec_lo, s3
; %bb.57:
	v_bfe_u32 v81, v83, 16, 1
	s_delay_alu instid0(VALU_DEP_1)
	v_add3_u32 v81, v83, v81, 0x7fff
                                        ; implicit-def: $vgpr83
; %bb.58:
	s_and_not1_saveexec_b32 s3, s3
; %bb.59:
	v_and_b32_e32 v81, 0xffff, v83
	v_or_b32_e32 v82, 0x10000, v83
	s_delay_alu instid0(VALU_DEP_2) | instskip(NEXT) | instid1(VALU_DEP_2)
	v_cmp_eq_u32_e32 vcc_lo, 0, v81
	v_cndmask_b32_e32 v81, v82, v83, vcc_lo
; %bb.60:
	s_or_b32 exec_lo, exec_lo, s3
	v_and_b32_e32 v82, 0x7f800000, v77
	s_delay_alu instid0(VALU_DEP_1) | instskip(SKIP_1) | instid1(SALU_CYCLE_1)
	v_cmp_ne_u32_e32 vcc_lo, 0x7f800000, v82
                                        ; implicit-def: $vgpr82
	s_and_saveexec_b32 s3, vcc_lo
	s_xor_b32 s3, exec_lo, s3
; %bb.61:
	v_bfe_u32 v82, v77, 16, 1
	s_delay_alu instid0(VALU_DEP_1)
	v_add3_u32 v82, v77, v82, 0x7fff
                                        ; implicit-def: $vgpr77
; %bb.62:
	s_and_not1_saveexec_b32 s3, s3
; %bb.63:
	v_and_b32_e32 v82, 0xffff, v77
	v_or_b32_e32 v83, 0x10000, v77
	s_delay_alu instid0(VALU_DEP_2) | instskip(NEXT) | instid1(VALU_DEP_2)
	v_cmp_eq_u32_e32 vcc_lo, 0, v82
	v_cndmask_b32_e32 v82, v83, v77, vcc_lo
; %bb.64:
	s_or_b32 exec_lo, exec_lo, s3
	v_and_b32_e32 v77, 0x7f800000, v78
	s_delay_alu instid0(VALU_DEP_1) | instskip(SKIP_1) | instid1(SALU_CYCLE_1)
	v_cmp_ne_u32_e32 vcc_lo, 0x7f800000, v77
                                        ; implicit-def: $vgpr77
	s_and_saveexec_b32 s3, vcc_lo
	s_xor_b32 s3, exec_lo, s3
; %bb.65:
	v_bfe_u32 v77, v78, 16, 1
	s_delay_alu instid0(VALU_DEP_1)
	v_add3_u32 v77, v78, v77, 0x7fff
                                        ; implicit-def: $vgpr78
; %bb.66:
	s_and_not1_saveexec_b32 s3, s3
; %bb.67:
	v_and_b32_e32 v77, 0xffff, v78
	v_or_b32_e32 v83, 0x10000, v78
	s_delay_alu instid0(VALU_DEP_2) | instskip(NEXT) | instid1(VALU_DEP_2)
	v_cmp_eq_u32_e32 vcc_lo, 0, v77
	v_cndmask_b32_e32 v77, v83, v78, vcc_lo
; %bb.68:
	s_or_b32 exec_lo, exec_lo, s3
	v_and_b32_e32 v78, 0x7f800000, v79
	s_delay_alu instid0(VALU_DEP_1) | instskip(SKIP_1) | instid1(SALU_CYCLE_1)
	v_cmp_ne_u32_e32 vcc_lo, 0x7f800000, v78
                                        ; implicit-def: $vgpr78
	s_and_saveexec_b32 s3, vcc_lo
	s_xor_b32 s3, exec_lo, s3
; %bb.69:
	v_bfe_u32 v78, v79, 16, 1
	s_delay_alu instid0(VALU_DEP_1)
	v_add3_u32 v78, v79, v78, 0x7fff
                                        ; implicit-def: $vgpr79
; %bb.70:
	s_and_not1_saveexec_b32 s3, s3
; %bb.71:
	v_and_b32_e32 v78, 0xffff, v79
	v_or_b32_e32 v83, 0x10000, v79
	s_delay_alu instid0(VALU_DEP_2) | instskip(NEXT) | instid1(VALU_DEP_2)
	v_cmp_eq_u32_e32 vcc_lo, 0, v78
	v_cndmask_b32_e32 v78, v83, v79, vcc_lo
; %bb.72:
	s_or_b32 exec_lo, exec_lo, s3
	v_and_b32_e32 v79, 0x7f800000, v70
	s_delay_alu instid0(VALU_DEP_1) | instskip(SKIP_1) | instid1(SALU_CYCLE_1)
	v_cmp_ne_u32_e32 vcc_lo, 0x7f800000, v79
                                        ; implicit-def: $vgpr79
	s_and_saveexec_b32 s3, vcc_lo
	s_xor_b32 s3, exec_lo, s3
; %bb.73:
	v_bfe_u32 v79, v70, 16, 1
	s_delay_alu instid0(VALU_DEP_1)
	v_add3_u32 v79, v70, v79, 0x7fff
                                        ; implicit-def: $vgpr70
; %bb.74:
	s_and_not1_saveexec_b32 s3, s3
; %bb.75:
	v_and_b32_e32 v79, 0xffff, v70
	v_or_b32_e32 v83, 0x10000, v70
	s_delay_alu instid0(VALU_DEP_2) | instskip(NEXT) | instid1(VALU_DEP_2)
	v_cmp_eq_u32_e32 vcc_lo, 0, v79
	v_cndmask_b32_e32 v79, v83, v70, vcc_lo
; %bb.76:
	s_or_b32 exec_lo, exec_lo, s3
	s_delay_alu instid0(VALU_DEP_1)
	v_perm_b32 v86, v79, v78, 0x7060302
	v_perm_b32 v85, v77, v82, 0x7060302
	;; [unrolled: 1-line block ×4, first 2 shown]
	v_lshl_or_b32 v82, v66, 11, v80
	ds_store_b128 v76, v[83:86] offset:1024
	s_waitcnt lgkmcnt(0)
	s_barrier
	buffer_gl0_inv
	ds_load_b128 v[69:72], v82
	ds_load_b128 v[83:86], v82 offset:16
	s_waitcnt lgkmcnt(1)
	v_lshrrev_b32_e32 v66, 16, v69
	s_waitcnt lgkmcnt(0)
	v_lshrrev_b32_e32 v91, 16, v83
	v_lshlrev_b32_e32 v78, 2, v74
	v_lshrrev_b32_e32 v95, 16, v70
	v_lshrrev_b32_e32 v98, 16, v84
	;; [unrolled: 1-line block ×4, first 2 shown]
	v_cmp_eq_u32_e32 vcc_lo, 1, v78
	v_lshrrev_b32_e32 v97, 16, v72
	v_lshrrev_b32_e32 v100, 16, v86
	v_cndmask_b32_e32 v87, v83, v91, vcc_lo
	v_or_b32_e32 v79, 1, v78
	v_cndmask_b32_e32 v81, v69, v66, vcc_lo
	v_cmp_eq_u32_e64 s4, 2, v78
	v_cmp_eq_u32_e64 s7, 3, v78
	;; [unrolled: 1-line block ×5, first 2 shown]
	v_cndmask_b32_e64 v81, v81, v70, s4
	v_cndmask_b32_e64 v87, v87, v84, s4
	v_cmp_eq_u32_e64 s8, 3, v79
	v_cndmask_b32_e64 v88, v69, v66, s3
	v_or_b32_e32 v77, 2, v78
	v_cndmask_b32_e64 v81, v81, v95, s7
	v_cndmask_b32_e64 v87, v87, v98, s7
	;; [unrolled: 1-line block ×4, first 2 shown]
	v_cmp_eq_u32_e64 s10, 5, v78
	v_cndmask_b32_e64 v81, v81, v71, s9
	v_cndmask_b32_e64 v87, v87, v85, s9
	v_cmp_eq_u32_e64 s11, 4, v79
	v_cndmask_b32_e64 v88, v88, v95, s8
	v_cmp_eq_u32_e64 s5, 1, v77
	v_cndmask_b32_e64 v89, v89, v84, s6
	v_cndmask_b32_e64 v81, v81, v96, s10
	v_cmp_eq_u32_e64 s12, 6, v78
	v_cndmask_b32_e64 v88, v88, v71, s11
	;; [unrolled: 3-line block ×3, first 2 shown]
	v_cndmask_b32_e64 v89, v89, v98, s8
	v_cndmask_b32_e64 v81, v81, v72, s12
	v_cmp_eq_u32_e64 s15, 7, v78
	v_cndmask_b32_e64 v88, v88, v96, s13
	v_cndmask_b32_e64 v87, v87, v86, s12
	v_cmp_eq_u32_e64 s16, 6, v79
	v_cmp_eq_u32_e64 s17, 2, v77
	v_cndmask_b32_e64 v89, v89, v85, s11
	v_cndmask_b32_e64 v101, v81, v97, s15
	;; [unrolled: 1-line block ×6, first 2 shown]
	v_cmp_eq_u32_e64 s18, 7, v79
	v_cmp_eq_u32_e64 s19, 3, v77
	;; [unrolled: 1-line block ×4, first 2 shown]
	v_cndmask_b32_e64 v87, v87, v84, s17
	v_cndmask_b32_e64 v103, v88, v97, s18
	;; [unrolled: 1-line block ×4, first 2 shown]
	v_or_b32_e32 v81, 3, v78
	v_cndmask_b32_e64 v93, v87, v98, s19
	v_cmp_eq_u32_e64 s24, 6, v77
	v_cndmask_b32_e64 v104, v88, v86, s16
	v_cndmask_b32_e64 v92, v89, v71, s20
	v_cmp_eq_u32_e64 s21, 1, v81
	ds_load_b128 v[87:90], v82 offset:1024
	v_cmp_eq_u32_e64 s23, 2, v81
	v_cmp_eq_u32_e64 s25, 3, v81
	v_cndmask_b32_e64 v105, v92, v96, s22
	v_cndmask_b32_e64 v66, v69, v66, s21
	;; [unrolled: 1-line block ×4, first 2 shown]
	ds_load_b128 v[91:94], v82 offset:1040
	v_cmp_eq_u32_e64 s26, 4, v81
	v_cndmask_b32_e64 v66, v66, v70, s23
	v_cmp_eq_u32_e64 s27, 7, v77
	v_cndmask_b32_e64 v70, v83, v84, s23
	v_cndmask_b32_e64 v84, v105, v72, s24
	v_cmp_eq_u32_e64 s28, 5, v81
	v_cndmask_b32_e64 v66, v66, v95, s25
	v_cmp_eq_u32_e64 s29, 6, v81
	v_cndmask_b32_e64 v70, v70, v98, s25
	v_cndmask_b32_e64 v69, v69, v99, s22
	;; [unrolled: 1-line block ×4, first 2 shown]
	s_waitcnt lgkmcnt(1)
	v_lshrrev_b32_e32 v95, 16, v87
	v_cndmask_b32_e64 v70, v70, v85, s26
	v_cndmask_b32_e64 v71, v84, v97, s27
	;; [unrolled: 1-line block ×4, first 2 shown]
	v_cndmask_b32_e32 v84, v87, v95, vcc_lo
	v_cndmask_b32_e64 v70, v70, v99, s28
	s_waitcnt lgkmcnt(0)
	v_lshrrev_b32_e32 v85, 16, v91
	v_lshrrev_b32_e32 v96, 16, v88
	v_cndmask_b32_e64 v98, v87, v95, s3
	v_cndmask_b32_e64 v84, v84, v88, s4
	;; [unrolled: 1-line block ×3, first 2 shown]
	v_cndmask_b32_e32 v99, v91, v85, vcc_lo
	v_cmp_eq_u32_e32 vcc_lo, 7, v81
	v_cndmask_b32_e64 v66, v66, v72, s29
	v_cndmask_b32_e64 v72, v84, v96, s7
	v_cndmask_b32_e64 v84, v98, v88, s6
	v_lshrrev_b32_e32 v98, 16, v92
	v_cndmask_b32_e32 v70, v70, v100, vcc_lo
	v_cndmask_b32_e64 v86, v99, v92, s4
	v_cndmask_b32_e64 v69, v69, v100, s27
	v_lshrrev_b32_e32 v100, 16, v93
	v_cndmask_b32_e64 v72, v72, v89, s9
	v_lshrrev_b32_e32 v99, 16, v89
	v_cndmask_b32_e64 v86, v86, v98, s7
	v_perm_b32 v71, v69, v71, 0x5040100
	v_cndmask_b32_e64 v84, v84, v96, s8
	s_delay_alu instid0(VALU_DEP_3) | instskip(NEXT) | instid1(VALU_DEP_2)
	v_cndmask_b32_e64 v86, v86, v93, s9
	v_cndmask_b32_e64 v84, v84, v89, s11
	s_delay_alu instid0(VALU_DEP_2) | instskip(NEXT) | instid1(VALU_DEP_1)
	v_cndmask_b32_e64 v86, v86, v100, s10
	v_cndmask_b32_e64 v69, v86, v94, s12
	;; [unrolled: 1-line block ×5, first 2 shown]
	s_delay_alu instid0(VALU_DEP_3) | instskip(NEXT) | instid1(VALU_DEP_3)
	v_cndmask_b32_e64 v86, v86, v88, s17
	v_cndmask_b32_e64 v87, v87, v88, s23
	s_delay_alu instid0(VALU_DEP_3) | instskip(NEXT) | instid1(VALU_DEP_3)
	v_cndmask_b32_e64 v88, v95, v92, s23
	v_cndmask_b32_e64 v86, v86, v96, s19
	;; [unrolled: 3-line block ×7, first 2 shown]
	s_delay_alu instid0(VALU_DEP_3) | instskip(SKIP_2) | instid1(VALU_DEP_2)
	v_cndmask_b32_e64 v88, v88, v94, s29
	v_cndmask_b32_e32 v66, v66, v97, vcc_lo
	v_cndmask_b32_e64 v97, v72, v99, s10
	v_perm_b32 v72, v70, v66, 0x5040100
	v_perm_b32 v70, v83, v103, 0x5040100
	v_cndmask_b32_e64 v103, v91, v85, s5
	v_cndmask_b32_e64 v85, v91, v85, s3
	;; [unrolled: 1-line block ×4, first 2 shown]
	v_lshrrev_b32_e32 v97, 16, v90
	v_cndmask_b32_e64 v91, v103, v92, s17
	v_cndmask_b32_e64 v85, v85, v92, s6
	;; [unrolled: 1-line block ×3, first 2 shown]
	s_mov_b32 s3, exec_lo
	v_cndmask_b32_e64 v83, v84, v97, s15
	v_cndmask_b32_e64 v91, v91, v98, s19
	;; [unrolled: 1-line block ×3, first 2 shown]
	v_lshrrev_b32_e32 v84, 16, v94
	v_cndmask_b32_e64 v66, v66, v97, s18
	v_cndmask_b32_e64 v90, v86, v97, s27
	;; [unrolled: 1-line block ×4, first 2 shown]
	v_dual_cndmask_b32 v86, v87, v97 :: v_dual_cndmask_b32 v87, v88, v84
	v_cndmask_b32_e64 v91, v69, v84, s15
	s_delay_alu instid0(VALU_DEP_4) | instskip(NEXT) | instid1(VALU_DEP_4)
	v_cndmask_b32_e64 v89, v89, v100, s22
	v_cndmask_b32_e64 v85, v85, v100, s13
	v_perm_b32 v69, v102, v101, 0x5040100
	v_perm_b32 v86, v87, v86, 0x5040100
	;; [unrolled: 1-line block ×3, first 2 shown]
	v_cndmask_b32_e64 v89, v89, v94, s24
	v_cndmask_b32_e64 v85, v85, v94, s16
	s_mul_i32 s8, s35, 10
	s_delay_alu instid0(VALU_DEP_2) | instskip(NEXT) | instid1(VALU_DEP_2)
	v_cndmask_b32_e64 v88, v89, v84, s27
	v_cndmask_b32_e64 v89, v85, v84, s18
	s_delay_alu instid0(VALU_DEP_2) | instskip(NEXT) | instid1(VALU_DEP_2)
	v_perm_b32 v85, v88, v90, 0x5040100
	v_perm_b32 v84, v89, v66, 0x5040100
	ds_store_b128 v76, v[69:72]
	ds_store_b128 v76, v[83:86] offset:1024
	v_cmpx_gt_u32_e32 10, v0
	s_cbranch_execz .LBB1671_78
; %bb.77:
	s_mul_i32 s4, s8, s30
	s_delay_alu instid0(SALU_CYCLE_1) | instskip(SKIP_1) | instid1(VALU_DEP_1)
	v_add3_u32 v69, s4, s31, v65
	s_load_b128 s[4:7], s[0:1], 0x58
	v_mad_u64_u32 v[65:66], null, v69, s34, s[14:15]
	s_delay_alu instid0(VALU_DEP_1) | instskip(NEXT) | instid1(VALU_DEP_1)
	v_ashrrev_i32_e32 v66, 31, v65
	v_lshlrev_b64 v[65:66], 2, v[65:66]
	s_waitcnt lgkmcnt(0)
	s_delay_alu instid0(VALU_DEP_1) | instskip(NEXT) | instid1(VALU_DEP_2)
	v_add_co_u32 v69, vcc_lo, s6, v65
	v_add_co_ci_u32_e32 v70, vcc_lo, s7, v66, vcc_lo
	v_add_co_u32 v65, vcc_lo, s4, v65
	v_add_co_ci_u32_e32 v66, vcc_lo, s5, v66, vcc_lo
	global_store_b32 v[69:70], v67, off
	global_store_b32 v[65:66], v68, off
.LBB1671_78:
	s_or_b32 exec_lo, exec_lo, s3
	s_waitcnt lgkmcnt(0)
	s_waitcnt_vscnt null, 0x0
	s_barrier
	buffer_gl0_inv
	ds_load_b128 v[83:86], v80
	ds_load_b128 v[87:90], v80 offset:16
	ds_load_b128 v[95:98], v80 offset:2064
	;; [unrolled: 1-line block ×3, first 2 shown]
	v_mov_b32_e32 v65, 0
	ds_load_b128 v[103:106], v80 offset:4112
	ds_load_b128 v[99:102], v80 offset:4096
	;; [unrolled: 1-line block ×4, first 2 shown]
	v_mov_b32_e32 v66, v65
	v_mov_b32_e32 v67, v65
	;; [unrolled: 1-line block ×7, first 2 shown]
	s_waitcnt lgkmcnt(6)
	s_delay_alu instid0(VALU_DEP_1)
	v_wmma_f32_16x16x16_bf16 v[65:72], v[57:64], v[83:90], v[65:72]
	ds_load_b128 v[61:64], v80 offset:8208
	ds_load_b128 v[57:60], v80 offset:8192
	s_waitcnt lgkmcnt(6)
	v_wmma_f32_16x16x16_bf16 v[65:72], v[41:48], v[91:98], v[65:72]
	ds_load_b128 v[45:48], v80 offset:10256
	ds_load_b128 v[41:44], v80 offset:10240
	s_waitcnt lgkmcnt(6)
	;; [unrolled: 4-line block ×4, first 2 shown]
	v_wmma_f32_16x16x16_bf16 v[65:72], v[1:8], v[57:64], v[65:72]
	s_waitcnt lgkmcnt(4)
	s_delay_alu instid0(VALU_DEP_1) | instskip(SKIP_1) | instid1(VALU_DEP_1)
	v_wmma_f32_16x16x16_bf16 v[65:72], v[9:16], v[41:48], v[65:72]
	s_waitcnt lgkmcnt(2)
	v_wmma_f32_16x16x16_bf16 v[65:72], v[17:24], v[33:40], v[65:72]
	s_waitcnt lgkmcnt(0)
	s_delay_alu instid0(VALU_DEP_1) | instskip(NEXT) | instid1(VALU_DEP_1)
	v_wmma_f32_16x16x16_bf16 v[65:72], v[49:56], v[25:32], v[65:72]
	v_and_b32_e32 v1, 0x7f800000, v65
	s_delay_alu instid0(VALU_DEP_1) | instskip(SKIP_1) | instid1(SALU_CYCLE_1)
	v_cmp_ne_u32_e32 vcc_lo, 0x7f800000, v1
                                        ; implicit-def: $vgpr1
	s_and_saveexec_b32 s3, vcc_lo
	s_xor_b32 s3, exec_lo, s3
; %bb.79:
	v_bfe_u32 v1, v65, 16, 1
	s_delay_alu instid0(VALU_DEP_1)
	v_add3_u32 v1, v65, v1, 0x7fff
; %bb.80:
	s_and_not1_saveexec_b32 s3, s3
; %bb.81:
	v_and_b32_e32 v1, 0xffff, v65
	v_or_b32_e32 v2, 0x10000, v65
	s_delay_alu instid0(VALU_DEP_2) | instskip(NEXT) | instid1(VALU_DEP_2)
	v_cmp_eq_u32_e32 vcc_lo, 0, v1
	v_cndmask_b32_e32 v1, v2, v65, vcc_lo
; %bb.82:
	s_or_b32 exec_lo, exec_lo, s3
	v_and_b32_e32 v2, 0x7f800000, v66
	s_delay_alu instid0(VALU_DEP_1) | instskip(SKIP_1) | instid1(SALU_CYCLE_1)
	v_cmp_ne_u32_e32 vcc_lo, 0x7f800000, v2
                                        ; implicit-def: $vgpr2
	s_and_saveexec_b32 s3, vcc_lo
	s_xor_b32 s3, exec_lo, s3
; %bb.83:
	v_bfe_u32 v2, v66, 16, 1
	s_delay_alu instid0(VALU_DEP_1)
	v_add3_u32 v2, v66, v2, 0x7fff
; %bb.84:
	s_and_not1_saveexec_b32 s3, s3
; %bb.85:
	v_and_b32_e32 v2, 0xffff, v66
	v_or_b32_e32 v3, 0x10000, v66
	s_delay_alu instid0(VALU_DEP_2) | instskip(NEXT) | instid1(VALU_DEP_2)
	v_cmp_eq_u32_e32 vcc_lo, 0, v2
	v_cndmask_b32_e32 v2, v3, v66, vcc_lo
; %bb.86:
	s_or_b32 exec_lo, exec_lo, s3
	v_and_b32_e32 v3, 0x7f800000, v67
	s_delay_alu instid0(VALU_DEP_1) | instskip(SKIP_1) | instid1(SALU_CYCLE_1)
	v_cmp_ne_u32_e32 vcc_lo, 0x7f800000, v3
                                        ; implicit-def: $vgpr3
	s_and_saveexec_b32 s3, vcc_lo
	s_xor_b32 s3, exec_lo, s3
; %bb.87:
	v_bfe_u32 v3, v67, 16, 1
	s_delay_alu instid0(VALU_DEP_1)
	v_add3_u32 v3, v67, v3, 0x7fff
; %bb.88:
	s_and_not1_saveexec_b32 s3, s3
; %bb.89:
	v_and_b32_e32 v3, 0xffff, v67
	v_or_b32_e32 v4, 0x10000, v67
	s_delay_alu instid0(VALU_DEP_2) | instskip(NEXT) | instid1(VALU_DEP_2)
	v_cmp_eq_u32_e32 vcc_lo, 0, v3
	v_cndmask_b32_e32 v3, v4, v67, vcc_lo
; %bb.90:
	s_or_b32 exec_lo, exec_lo, s3
	v_and_b32_e32 v4, 0x7f800000, v68
	s_delay_alu instid0(VALU_DEP_1) | instskip(SKIP_1) | instid1(SALU_CYCLE_1)
	v_cmp_ne_u32_e32 vcc_lo, 0x7f800000, v4
                                        ; implicit-def: $vgpr4
	s_and_saveexec_b32 s3, vcc_lo
	s_xor_b32 s3, exec_lo, s3
; %bb.91:
	v_bfe_u32 v4, v68, 16, 1
	s_delay_alu instid0(VALU_DEP_1)
	v_add3_u32 v4, v68, v4, 0x7fff
; %bb.92:
	s_and_not1_saveexec_b32 s3, s3
; %bb.93:
	v_and_b32_e32 v4, 0xffff, v68
	v_or_b32_e32 v5, 0x10000, v68
	s_delay_alu instid0(VALU_DEP_2) | instskip(NEXT) | instid1(VALU_DEP_2)
	v_cmp_eq_u32_e32 vcc_lo, 0, v4
	v_cndmask_b32_e32 v4, v5, v68, vcc_lo
; %bb.94:
	s_or_b32 exec_lo, exec_lo, s3
	v_and_b32_e32 v5, 0x7f800000, v69
	s_delay_alu instid0(VALU_DEP_1) | instskip(SKIP_1) | instid1(SALU_CYCLE_1)
	v_cmp_ne_u32_e32 vcc_lo, 0x7f800000, v5
                                        ; implicit-def: $vgpr5
	s_and_saveexec_b32 s3, vcc_lo
	s_xor_b32 s3, exec_lo, s3
; %bb.95:
	v_bfe_u32 v5, v69, 16, 1
	s_delay_alu instid0(VALU_DEP_1)
	v_add3_u32 v5, v69, v5, 0x7fff
; %bb.96:
	s_and_not1_saveexec_b32 s3, s3
; %bb.97:
	v_and_b32_e32 v5, 0xffff, v69
	v_or_b32_e32 v6, 0x10000, v69
	s_delay_alu instid0(VALU_DEP_2) | instskip(NEXT) | instid1(VALU_DEP_2)
	v_cmp_eq_u32_e32 vcc_lo, 0, v5
	v_cndmask_b32_e32 v5, v6, v69, vcc_lo
; %bb.98:
	s_or_b32 exec_lo, exec_lo, s3
	v_and_b32_e32 v6, 0x7f800000, v70
	s_delay_alu instid0(VALU_DEP_1) | instskip(SKIP_1) | instid1(SALU_CYCLE_1)
	v_cmp_ne_u32_e32 vcc_lo, 0x7f800000, v6
                                        ; implicit-def: $vgpr6
	s_and_saveexec_b32 s3, vcc_lo
	s_xor_b32 s3, exec_lo, s3
; %bb.99:
	v_bfe_u32 v6, v70, 16, 1
	s_delay_alu instid0(VALU_DEP_1)
	v_add3_u32 v6, v70, v6, 0x7fff
; %bb.100:
	s_and_not1_saveexec_b32 s3, s3
; %bb.101:
	v_and_b32_e32 v6, 0xffff, v70
	v_or_b32_e32 v7, 0x10000, v70
	s_delay_alu instid0(VALU_DEP_2) | instskip(NEXT) | instid1(VALU_DEP_2)
	v_cmp_eq_u32_e32 vcc_lo, 0, v6
	v_cndmask_b32_e32 v6, v7, v70, vcc_lo
; %bb.102:
	s_or_b32 exec_lo, exec_lo, s3
	v_and_b32_e32 v7, 0x7f800000, v71
	s_delay_alu instid0(VALU_DEP_1) | instskip(SKIP_1) | instid1(SALU_CYCLE_1)
	v_cmp_ne_u32_e32 vcc_lo, 0x7f800000, v7
                                        ; implicit-def: $vgpr7
	s_and_saveexec_b32 s3, vcc_lo
	s_xor_b32 s3, exec_lo, s3
; %bb.103:
	v_bfe_u32 v7, v71, 16, 1
	s_delay_alu instid0(VALU_DEP_1)
	v_add3_u32 v7, v71, v7, 0x7fff
; %bb.104:
	s_and_not1_saveexec_b32 s3, s3
; %bb.105:
	v_and_b32_e32 v7, 0xffff, v71
	v_or_b32_e32 v8, 0x10000, v71
	s_delay_alu instid0(VALU_DEP_2) | instskip(NEXT) | instid1(VALU_DEP_2)
	v_cmp_eq_u32_e32 vcc_lo, 0, v7
	v_cndmask_b32_e32 v7, v8, v71, vcc_lo
; %bb.106:
	s_or_b32 exec_lo, exec_lo, s3
	v_and_b32_e32 v8, 0x7f800000, v72
	s_delay_alu instid0(VALU_DEP_1) | instskip(SKIP_1) | instid1(SALU_CYCLE_1)
	v_cmp_ne_u32_e32 vcc_lo, 0x7f800000, v8
                                        ; implicit-def: $vgpr8
	s_and_saveexec_b32 s3, vcc_lo
	s_xor_b32 s3, exec_lo, s3
; %bb.107:
	v_bfe_u32 v8, v72, 16, 1
	s_delay_alu instid0(VALU_DEP_1)
	v_add3_u32 v8, v72, v8, 0x7fff
                                        ; implicit-def: $vgpr65_vgpr66_vgpr67_vgpr68_vgpr69_vgpr70_vgpr71_vgpr72
; %bb.108:
	s_and_not1_saveexec_b32 s3, s3
; %bb.109:
	v_and_b32_e32 v8, 0xffff, v72
	v_or_b32_e32 v9, 0x10000, v72
	s_delay_alu instid0(VALU_DEP_2) | instskip(NEXT) | instid1(VALU_DEP_2)
	v_cmp_eq_u32_e32 vcc_lo, 0, v8
	v_cndmask_b32_e32 v8, v9, v72, vcc_lo
; %bb.110:
	s_or_b32 exec_lo, exec_lo, s3
	s_delay_alu instid0(VALU_DEP_1)
	v_perm_b32 v7, v8, v7, 0x7060302
	v_perm_b32 v6, v6, v5, 0x7060302
	;; [unrolled: 1-line block ×4, first 2 shown]
	s_barrier
	buffer_gl0_inv
	v_cmp_eq_u32_e32 vcc_lo, 1, v78
	ds_store_b128 v76, v[4:7]
	s_waitcnt lgkmcnt(0)
	s_barrier
	buffer_gl0_inv
	ds_load_b128 v[1:4], v82
	ds_load_b128 v[5:8], v82 offset:16
	v_cmp_eq_u32_e64 s3, 1, v79
	v_cmp_eq_u32_e64 s4, 2, v78
	;; [unrolled: 1-line block ×5, first 2 shown]
	s_waitcnt lgkmcnt(1)
	v_lshrrev_b32_e32 v9, 16, v1
	s_waitcnt lgkmcnt(0)
	v_lshrrev_b32_e32 v13, 16, v5
	v_lshrrev_b32_e32 v10, 16, v2
	;; [unrolled: 1-line block ×4, first 2 shown]
	v_cndmask_b32_e64 v19, v1, v9, s3
	v_cndmask_b32_e32 v18, v5, v13, vcc_lo
	v_cndmask_b32_e64 v20, v5, v13, s3
	v_cndmask_b32_e32 v17, v1, v9, vcc_lo
	v_cmp_eq_u32_e32 vcc_lo, 2, v79
	v_lshrrev_b32_e32 v15, 16, v7
	v_cmp_eq_u32_e64 s3, 1, v77
	v_lshrrev_b32_e32 v12, 16, v4
	v_lshrrev_b32_e32 v16, 16, v8
	v_cndmask_b32_e32 v20, v20, v6, vcc_lo
	v_cndmask_b32_e64 v17, v17, v2, s4
	v_cndmask_b32_e32 v19, v19, v2, vcc_lo
	v_cndmask_b32_e64 v18, v18, v6, s4
	v_cmp_eq_u32_e32 vcc_lo, 4, v78
	v_cmp_eq_u32_e64 s4, 3, v79
	v_cndmask_b32_e64 v17, v17, v10, s5
	v_cndmask_b32_e64 v21, v1, v9, s3
	;; [unrolled: 1-line block ×5, first 2 shown]
	v_cndmask_b32_e32 v17, v17, v3, vcc_lo
	v_cndmask_b32_e64 v20, v20, v14, s4
	v_cndmask_b32_e32 v18, v18, v7, vcc_lo
	v_cmp_eq_u32_e32 vcc_lo, 4, v79
	v_cmp_eq_u32_e64 s4, 5, v79
	v_cmp_eq_u32_e64 s3, 2, v81
	v_cndmask_b32_e64 v21, v21, v2, s7
	v_cmp_eq_u32_e64 s5, 5, v78
	v_cndmask_b32_e32 v19, v19, v3, vcc_lo
	v_cndmask_b32_e32 v20, v20, v7, vcc_lo
	v_cmp_eq_u32_e32 vcc_lo, 6, v79
	s_delay_alu instid0(VALU_DEP_4) | instskip(NEXT) | instid1(VALU_DEP_4)
	v_cndmask_b32_e64 v17, v17, v11, s5
	v_cndmask_b32_e64 v19, v19, v11, s4
	s_delay_alu instid0(VALU_DEP_4) | instskip(SKIP_1) | instid1(VALU_DEP_3)
	v_cndmask_b32_e64 v20, v20, v15, s4
	v_cmp_eq_u32_e64 s4, 1, v81
	v_cndmask_b32_e32 v19, v19, v4, vcc_lo
	v_cndmask_b32_e64 v18, v18, v15, s5
	s_delay_alu instid0(VALU_DEP_3)
	v_cndmask_b32_e64 v1, v1, v9, s4
	v_cndmask_b32_e64 v5, v5, v13, s4
	v_cmp_eq_u32_e64 s4, 3, v77
	v_cndmask_b32_e64 v13, v22, v6, s7
	v_cmp_eq_u32_e64 s7, 3, v81
	v_cndmask_b32_e64 v1, v1, v2, s3
	v_cndmask_b32_e64 v2, v5, v6, s3
	;; [unrolled: 1-line block ×3, first 2 shown]
	v_cmp_eq_u32_e64 s3, 4, v77
	v_cndmask_b32_e64 v6, v13, v14, s4
	v_cndmask_b32_e64 v1, v1, v10, s7
	v_cmp_eq_u32_e64 s4, 4, v81
	v_cndmask_b32_e64 v2, v2, v14, s7
	v_cndmask_b32_e64 v5, v9, v3, s3
	;; [unrolled: 3-line block ×3, first 2 shown]
	v_cndmask_b32_e64 v2, v2, v7, s4
	v_cmp_eq_u32_e64 s3, 5, v81
	v_cmp_eq_u32_e64 s5, 6, v78
	v_cndmask_b32_e64 v5, v5, v11, s7
	v_cmp_eq_u32_e64 s4, 6, v77
	v_cndmask_b32_e64 v3, v6, v15, s7
	v_cndmask_b32_e64 v1, v1, v11, s3
	v_cmp_eq_u32_e64 s7, 6, v81
	v_cndmask_b32_e64 v2, v2, v15, s3
	v_cndmask_b32_e64 v17, v17, v4, s5
	v_cndmask_b32_e64 v18, v18, v8, s5
	v_cmp_eq_u32_e64 s5, 7, v78
	v_cndmask_b32_e64 v5, v5, v4, s4
	v_cndmask_b32_e64 v3, v3, v8, s4
	v_cndmask_b32_e64 v1, v1, v4, s7
	v_cmp_eq_u32_e64 s3, 7, v81
	v_cndmask_b32_e64 v2, v2, v8, s7
	v_cmp_eq_u32_e64 s4, 7, v77
	v_cndmask_b32_e32 v4, v20, v8, vcc_lo
	v_cndmask_b32_e64 v17, v17, v12, s5
	v_cndmask_b32_e64 v19, v19, v12, s6
	;; [unrolled: 1-line block ×8, first 2 shown]
	v_cmp_gt_u32_e32 vcc_lo, 32, v0
	v_perm_b32 v4, v2, v1, 0x5040100
	v_perm_b32 v3, v3, v5, 0x5040100
	;; [unrolled: 1-line block ×4, first 2 shown]
	s_and_b32 s2, vcc_lo, s2
	ds_store_b128 v76, v[1:4]
	s_waitcnt lgkmcnt(0)
	s_barrier
	buffer_gl0_inv
	s_and_saveexec_b32 s3, s2
	s_cbranch_execz .LBB1671_2
; %bb.111:
	s_load_b64 s[0:1], s[0:1], 0x68
	s_lshl_b32 s4, s34, 6
	v_or_b32_e32 v2, s31, v74
	s_mul_i32 s2, s4, s30
	v_lshlrev_b32_e32 v0, 10, v0
	s_mul_i32 s2, s2, s8
	v_lshlrev_b32_e32 v1, 4, v75
	s_ashr_i32 s3, s2, 31
	v_mul_lo_u32 v20, v2, s4
	s_lshl_b64 s[2:3], s[2:3], 1
	v_lshlrev_b32_e32 v3, 6, v74
	v_and_b32_e32 v0, 0x3800, v0
	s_delay_alu instid0(VALU_DEP_1) | instskip(NEXT) | instid1(VALU_DEP_4)
	v_or3_b32 v16, v0, v1, v3
	v_ashrrev_i32_e32 v21, 31, v20
	ds_load_b128 v[0:3], v16
	ds_load_b128 v[4:7], v16 offset:128
	s_waitcnt lgkmcnt(0)
	s_add_u32 s2, s0, s2
	s_addc_u32 s3, s1, s3
	s_lshl_b32 s0, s14, 6
	ds_load_b128 v[8:11], v16 offset:256
	ds_load_b128 v[12:15], v16 offset:384
	;; [unrolled: 1-line block ×3, first 2 shown]
	s_ashr_i32 s1, s0, 31
	s_delay_alu instid0(SALU_CYCLE_1) | instskip(NEXT) | instid1(SALU_CYCLE_1)
	s_lshl_b64 s[0:1], s[0:1], 1
	s_add_u32 s0, s2, s0
	s_addc_u32 s1, s3, s1
	s_lshl_b32 s2, s34, 7
	v_add_co_u32 v30, s0, s0, v73
	v_add_nc_u32_e32 v22, s2, v20
	v_lshlrev_b64 v[20:21], 1, v[20:21]
	v_add_co_ci_u32_e64 v31, null, s1, 0, s0
	s_delay_alu instid0(VALU_DEP_3) | instskip(SKIP_1) | instid1(VALU_DEP_4)
	v_add_nc_u32_e32 v24, s2, v22
	v_ashrrev_i32_e32 v23, 31, v22
	v_add_co_u32 v20, vcc_lo, v30, v20
	s_delay_alu instid0(VALU_DEP_4) | instskip(NEXT) | instid1(VALU_DEP_4)
	v_add_co_ci_u32_e32 v21, vcc_lo, v31, v21, vcc_lo
	v_add_nc_u32_e32 v26, s2, v24
	v_ashrrev_i32_e32 v25, 31, v24
	v_lshlrev_b64 v[22:23], 1, v[22:23]
	s_delay_alu instid0(VALU_DEP_3) | instskip(SKIP_1) | instid1(VALU_DEP_4)
	v_add_nc_u32_e32 v28, s2, v26
	v_ashrrev_i32_e32 v27, 31, v26
	v_lshlrev_b64 v[24:25], 1, v[24:25]
	s_delay_alu instid0(VALU_DEP_4) | instskip(NEXT) | instid1(VALU_DEP_4)
	v_add_co_u32 v22, vcc_lo, v30, v22
	v_ashrrev_i32_e32 v29, 31, v28
	s_delay_alu instid0(VALU_DEP_4) | instskip(SKIP_2) | instid1(VALU_DEP_4)
	v_lshlrev_b64 v[26:27], 1, v[26:27]
	v_add_co_ci_u32_e32 v23, vcc_lo, v31, v23, vcc_lo
	v_add_co_u32 v24, vcc_lo, v30, v24
	v_lshlrev_b64 v[28:29], 1, v[28:29]
	v_add_co_ci_u32_e32 v25, vcc_lo, v31, v25, vcc_lo
	v_add_co_u32 v26, vcc_lo, v30, v26
	v_add_co_ci_u32_e32 v27, vcc_lo, v31, v27, vcc_lo
	s_delay_alu instid0(VALU_DEP_4)
	v_add_co_u32 v28, vcc_lo, v30, v28
	v_add_co_ci_u32_e32 v29, vcc_lo, v31, v29, vcc_lo
	s_clause 0x1
	global_store_b128 v[20:21], v[0:3], off
	global_store_b128 v[22:23], v[4:7], off
	s_waitcnt lgkmcnt(2)
	global_store_b128 v[24:25], v[8:11], off
	s_waitcnt lgkmcnt(1)
	;; [unrolled: 2-line block ×3, first 2 shown]
	global_store_b128 v[28:29], v[16:19], off
	s_nop 0
	s_sendmsg sendmsg(MSG_DEALLOC_VGPRS)
	s_endpgm
	.section	.rodata,"a",@progbits
	.p2align	6, 0x0
	.amdhsa_kernel _Z39paged_attention_ll4mi_QKV_mfma16_kernelI14__hip_bfloat16hLN4vllm18Fp8KVCacheDataTypeE1EhLi16ELi64ELi256ELb1ELi10EL8MFMAType0EEvPKT_PKT0_S9_ifPKiSB_SB_iPKfiiiPfSE_PS4_PT2_iSD_SD_
		.amdhsa_group_segment_fixed_size 17472
		.amdhsa_private_segment_fixed_size 0
		.amdhsa_kernarg_size 400
		.amdhsa_user_sgpr_count 13
		.amdhsa_user_sgpr_dispatch_ptr 0
		.amdhsa_user_sgpr_queue_ptr 0
		.amdhsa_user_sgpr_kernarg_segment_ptr 1
		.amdhsa_user_sgpr_dispatch_id 0
		.amdhsa_user_sgpr_private_segment_size 0
		.amdhsa_wavefront_size32 1
		.amdhsa_uses_dynamic_stack 0
		.amdhsa_enable_private_segment 0
		.amdhsa_system_sgpr_workgroup_id_x 1
		.amdhsa_system_sgpr_workgroup_id_y 1
		.amdhsa_system_sgpr_workgroup_id_z 1
		.amdhsa_system_sgpr_workgroup_info 0
		.amdhsa_system_vgpr_workitem_id 0
		.amdhsa_next_free_vgpr 124
		.amdhsa_next_free_sgpr 38
		.amdhsa_reserve_vcc 1
		.amdhsa_float_round_mode_32 0
		.amdhsa_float_round_mode_16_64 0
		.amdhsa_float_denorm_mode_32 3
		.amdhsa_float_denorm_mode_16_64 3
		.amdhsa_dx10_clamp 1
		.amdhsa_ieee_mode 1
		.amdhsa_fp16_overflow 0
		.amdhsa_workgroup_processor_mode 1
		.amdhsa_memory_ordered 1
		.amdhsa_forward_progress 0
		.amdhsa_shared_vgpr_count 0
		.amdhsa_exception_fp_ieee_invalid_op 0
		.amdhsa_exception_fp_denorm_src 0
		.amdhsa_exception_fp_ieee_div_zero 0
		.amdhsa_exception_fp_ieee_overflow 0
		.amdhsa_exception_fp_ieee_underflow 0
		.amdhsa_exception_fp_ieee_inexact 0
		.amdhsa_exception_int_div_zero 0
	.end_amdhsa_kernel
	.section	.text._Z39paged_attention_ll4mi_QKV_mfma16_kernelI14__hip_bfloat16hLN4vllm18Fp8KVCacheDataTypeE1EhLi16ELi64ELi256ELb1ELi10EL8MFMAType0EEvPKT_PKT0_S9_ifPKiSB_SB_iPKfiiiPfSE_PS4_PT2_iSD_SD_,"axG",@progbits,_Z39paged_attention_ll4mi_QKV_mfma16_kernelI14__hip_bfloat16hLN4vllm18Fp8KVCacheDataTypeE1EhLi16ELi64ELi256ELb1ELi10EL8MFMAType0EEvPKT_PKT0_S9_ifPKiSB_SB_iPKfiiiPfSE_PS4_PT2_iSD_SD_,comdat
.Lfunc_end1671:
	.size	_Z39paged_attention_ll4mi_QKV_mfma16_kernelI14__hip_bfloat16hLN4vllm18Fp8KVCacheDataTypeE1EhLi16ELi64ELi256ELb1ELi10EL8MFMAType0EEvPKT_PKT0_S9_ifPKiSB_SB_iPKfiiiPfSE_PS4_PT2_iSD_SD_, .Lfunc_end1671-_Z39paged_attention_ll4mi_QKV_mfma16_kernelI14__hip_bfloat16hLN4vllm18Fp8KVCacheDataTypeE1EhLi16ELi64ELi256ELb1ELi10EL8MFMAType0EEvPKT_PKT0_S9_ifPKiSB_SB_iPKfiiiPfSE_PS4_PT2_iSD_SD_
                                        ; -- End function
	.section	.AMDGPU.csdata,"",@progbits
; Kernel info:
; codeLenInByte = 8760
; NumSgprs: 40
; NumVgprs: 124
; ScratchSize: 0
; MemoryBound: 0
; FloatMode: 240
; IeeeMode: 1
; LDSByteSize: 17472 bytes/workgroup (compile time only)
; SGPRBlocks: 4
; VGPRBlocks: 15
; NumSGPRsForWavesPerEU: 40
; NumVGPRsForWavesPerEU: 124
; Occupancy: 10
; WaveLimiterHint : 1
; COMPUTE_PGM_RSRC2:SCRATCH_EN: 0
; COMPUTE_PGM_RSRC2:USER_SGPR: 13
; COMPUTE_PGM_RSRC2:TRAP_HANDLER: 0
; COMPUTE_PGM_RSRC2:TGID_X_EN: 1
; COMPUTE_PGM_RSRC2:TGID_Y_EN: 1
; COMPUTE_PGM_RSRC2:TGID_Z_EN: 1
; COMPUTE_PGM_RSRC2:TIDIG_COMP_CNT: 0
	.section	.text._Z39paged_attention_ll4mi_QKV_mfma16_kernelI14__hip_bfloat16hLN4vllm18Fp8KVCacheDataTypeE1EhLi16ELi64ELi256ELb1ELi11EL8MFMAType0EEvPKT_PKT0_S9_ifPKiSB_SB_iPKfiiiPfSE_PS4_PT2_iSD_SD_,"axG",@progbits,_Z39paged_attention_ll4mi_QKV_mfma16_kernelI14__hip_bfloat16hLN4vllm18Fp8KVCacheDataTypeE1EhLi16ELi64ELi256ELb1ELi11EL8MFMAType0EEvPKT_PKT0_S9_ifPKiSB_SB_iPKfiiiPfSE_PS4_PT2_iSD_SD_,comdat
	.protected	_Z39paged_attention_ll4mi_QKV_mfma16_kernelI14__hip_bfloat16hLN4vllm18Fp8KVCacheDataTypeE1EhLi16ELi64ELi256ELb1ELi11EL8MFMAType0EEvPKT_PKT0_S9_ifPKiSB_SB_iPKfiiiPfSE_PS4_PT2_iSD_SD_ ; -- Begin function _Z39paged_attention_ll4mi_QKV_mfma16_kernelI14__hip_bfloat16hLN4vllm18Fp8KVCacheDataTypeE1EhLi16ELi64ELi256ELb1ELi11EL8MFMAType0EEvPKT_PKT0_S9_ifPKiSB_SB_iPKfiiiPfSE_PS4_PT2_iSD_SD_
	.globl	_Z39paged_attention_ll4mi_QKV_mfma16_kernelI14__hip_bfloat16hLN4vllm18Fp8KVCacheDataTypeE1EhLi16ELi64ELi256ELb1ELi11EL8MFMAType0EEvPKT_PKT0_S9_ifPKiSB_SB_iPKfiiiPfSE_PS4_PT2_iSD_SD_
	.p2align	8
	.type	_Z39paged_attention_ll4mi_QKV_mfma16_kernelI14__hip_bfloat16hLN4vllm18Fp8KVCacheDataTypeE1EhLi16ELi64ELi256ELb1ELi11EL8MFMAType0EEvPKT_PKT0_S9_ifPKiSB_SB_iPKfiiiPfSE_PS4_PT2_iSD_SD_,@function
_Z39paged_attention_ll4mi_QKV_mfma16_kernelI14__hip_bfloat16hLN4vllm18Fp8KVCacheDataTypeE1EhLi16ELi64ELi256ELb1ELi11EL8MFMAType0EEvPKT_PKT0_S9_ifPKiSB_SB_iPKfiiiPfSE_PS4_PT2_iSD_SD_: ; @_Z39paged_attention_ll4mi_QKV_mfma16_kernelI14__hip_bfloat16hLN4vllm18Fp8KVCacheDataTypeE1EhLi16ELi64ELi256ELb1ELi11EL8MFMAType0EEvPKT_PKT0_S9_ifPKiSB_SB_iPKfiiiPfSE_PS4_PT2_iSD_SD_
; %bb.0:
	s_load_b64 s[2:3], s[0:1], 0x30
	s_mov_b32 s34, s13
	s_waitcnt lgkmcnt(0)
	s_cmp_lg_u64 s[2:3], 0
	s_cselect_b32 s8, -1, 0
	s_ashr_i32 s35, s13, 31
	s_cmp_eq_u64 s[2:3], 0
	s_cbranch_scc1 .LBB1672_3
; %bb.1:
	s_lshl_b64 s[4:5], s[34:35], 2
	s_delay_alu instid0(SALU_CYCLE_1) | instskip(SKIP_4) | instid1(SALU_CYCLE_1)
	s_add_u32 s4, s2, s4
	s_addc_u32 s5, s3, s5
	s_load_b64 s[4:5], s[4:5], 0x0
	s_waitcnt lgkmcnt(0)
	s_sub_i32 s4, s5, s4
	s_cmp_eq_u32 s4, 1
	s_cselect_b32 s4, -1, 0
	s_delay_alu instid0(SALU_CYCLE_1)
	s_and_not1_b32 vcc_lo, exec_lo, s4
	s_cbranch_vccz .LBB1672_4
.LBB1672_2:
	s_nop 0
	s_sendmsg sendmsg(MSG_DEALLOC_VGPRS)
	s_endpgm
.LBB1672_3:
.LBB1672_4:
	s_load_b64 s[4:5], s[0:1], 0x28
	s_lshl_b64 s[6:7], s[34:35], 2
	s_waitcnt lgkmcnt(0)
	s_add_u32 s4, s4, s6
	s_addc_u32 s5, s5, s7
	s_lshl_b32 s12, s14, 8
	s_load_b32 s24, s[4:5], 0x0
	s_waitcnt lgkmcnt(0)
	s_cmp_ge_i32 s12, s24
	s_cbranch_scc1 .LBB1672_2
; %bb.5:
	s_clause 0x1
	s_load_b128 s[20:23], s[0:1], 0x8
	s_load_b64 s[4:5], s[0:1], 0x20
	s_and_not1_b32 vcc_lo, exec_lo, s8
	s_cbranch_vccnz .LBB1672_7
; %bb.6:
	s_add_u32 s2, s2, s6
	s_addc_u32 s3, s3, s7
	s_load_b32 s3, s[2:3], 0x0
	s_branch .LBB1672_8
.LBB1672_7:
	s_mov_b32 s3, s34
.LBB1672_8:
	s_load_b128 s[16:19], s[0:1], 0x48
	v_lshrrev_b32_e32 v66, 5, v0
	v_bfe_u32 v74, v0, 4, 1
	v_and_b32_e32 v65, 15, v0
	v_and_b32_e32 v67, 31, v0
	v_and_b32_e32 v75, 1, v0
	s_mul_i32 s31, s15, 11
	v_lshl_or_b32 v1, v66, 1, v74
	v_lshlrev_b32_e32 v2, 3, v65
	v_cmp_gt_u32_e64 s2, 8, v65
	s_delay_alu instid0(VALU_DEP_3) | instskip(NEXT) | instid1(VALU_DEP_3)
	v_cmp_gt_u32_e32 vcc_lo, 11, v1
	v_lshlrev_b32_e32 v73, 1, v2
	s_delay_alu instid0(VALU_DEP_3) | instskip(NEXT) | instid1(SALU_CYCLE_1)
	s_and_b32 s7, s2, vcc_lo
	s_and_saveexec_b32 s6, s7
	s_cbranch_execz .LBB1672_10
; %bb.9:
	s_load_b64 s[8:9], s[0:1], 0x0
	v_add_lshl_u32 v2, v1, s31, 6
	s_waitcnt lgkmcnt(0)
	s_mul_hi_i32 s11, s3, s16
	s_mul_i32 s10, s3, s16
	v_lshlrev_b32_e32 v6, 10, v65
	s_lshl_b64 s[10:11], s[10:11], 1
	v_ashrrev_i32_e32 v3, 31, v2
	v_lshlrev_b32_e32 v1, 6, v1
	v_lshlrev_b32_e32 v7, 10, v75
	v_and_b32_e32 v6, 0x3800, v6
	s_delay_alu instid0(VALU_DEP_4) | instskip(NEXT) | instid1(VALU_DEP_2)
	v_lshlrev_b64 v[2:3], 1, v[2:3]
	v_or3_b32 v1, v6, v7, v1
	s_add_u32 s3, s8, s10
	s_addc_u32 s7, s9, s11
	s_delay_alu instid0(VALU_DEP_2) | instskip(NEXT) | instid1(VALU_DEP_3)
	v_add_co_u32 v2, vcc_lo, s3, v2
	v_add_co_ci_u32_e32 v3, vcc_lo, s7, v3, vcc_lo
	s_delay_alu instid0(VALU_DEP_2) | instskip(NEXT) | instid1(VALU_DEP_2)
	v_add_co_u32 v2, vcc_lo, v2, v73
	v_add_co_ci_u32_e32 v3, vcc_lo, 0, v3, vcc_lo
	global_load_b128 v[2:5], v[2:3], off
	s_waitcnt vmcnt(0)
	ds_store_b128 v1, v[2:5]
.LBB1672_10:
	s_or_b32 exec_lo, exec_lo, s6
	v_and_b32_e32 v1, 0xef, v0
	s_waitcnt lgkmcnt(0)
	s_add_i32 s3, s24, 15
	s_clause 0x1
	s_load_b32 s6, s[0:1], 0x38
	s_load_b32 s19, s[0:1], 0x1c
	s_ashr_i32 s7, s3, 31
	v_add_nc_u32_e32 v1, s12, v1
	s_lshr_b32 s7, s7, 28
	s_waitcnt lgkmcnt(0)
	s_add_i32 s3, s3, s7
	s_barrier
	v_ashrrev_i32_e32 v2, 31, v1
	v_or_b32_e32 v3, 16, v1
	s_ashr_i32 s3, s3, 4
	v_cmp_gt_i32_e32 vcc_lo, s24, v1
	s_add_i32 s3, s3, -1
	v_lshrrev_b32_e32 v2, 28, v2
	buffer_gl0_inv
	s_mul_i32 s27, s15, s18
	v_add_nc_u32_e32 v4, v1, v2
	s_mul_i32 s6, s34, s6
	s_delay_alu instid0(SALU_CYCLE_1) | instskip(NEXT) | instid1(VALU_DEP_1)
	s_ashr_i32 s7, s6, 31
	v_ashrrev_i32_e32 v4, 4, v4
	v_add_nc_u32_e32 v2, v3, v2
	s_lshl_b64 s[6:7], s[6:7], 2
	s_delay_alu instid0(SALU_CYCLE_1) | instskip(NEXT) | instid1(VALU_DEP_2)
	s_add_u32 s26, s4, s6
	v_cndmask_b32_e32 v1, s3, v4, vcc_lo
	s_delay_alu instid0(VALU_DEP_2)
	v_ashrrev_i32_e32 v2, 4, v2
	v_cmp_gt_i32_e32 vcc_lo, s24, v3
	s_addc_u32 s25, s5, s7
	s_ashr_i32 s28, s27, 31
	s_add_u32 s13, s20, s27
	s_addc_u32 s15, s21, s28
	v_cndmask_b32_e32 v3, s3, v2, vcc_lo
	v_ashrrev_i32_e32 v2, 31, v1
	s_lshl_b32 s4, s14, 4
	s_delay_alu instid0(SALU_CYCLE_1) | instskip(NEXT) | instid1(VALU_DEP_2)
	s_ashr_i32 s5, s4, 31
	v_ashrrev_i32_e32 v4, 31, v3
	s_delay_alu instid0(VALU_DEP_2) | instskip(SKIP_1) | instid1(SALU_CYCLE_1)
	v_lshlrev_b64 v[1:2], 2, v[1:2]
	s_lshl_b64 s[4:5], s[4:5], 2
	s_add_u32 s4, s26, s4
	s_delay_alu instid0(VALU_DEP_2) | instskip(SKIP_1) | instid1(VALU_DEP_2)
	v_lshlrev_b64 v[3:4], 2, v[3:4]
	s_addc_u32 s5, s25, s5
	v_add_co_u32 v1, vcc_lo, s26, v1
	v_add_co_ci_u32_e32 v2, vcc_lo, s25, v2, vcc_lo
	s_delay_alu instid0(VALU_DEP_3) | instskip(NEXT) | instid1(VALU_DEP_4)
	v_add_co_u32 v3, vcc_lo, s26, v3
	v_add_co_ci_u32_e32 v4, vcc_lo, s25, v4, vcc_lo
	s_clause 0x1
	global_load_b32 v5, v[1:2], off
	global_load_b32 v7, v[3:4], off
	s_or_b32 s6, s12, 32
	v_lshlrev_b32_e32 v1, 4, v0
	s_ashr_i32 s7, s6, 4
	s_cmp_lt_i32 s6, s24
	v_cmp_gt_u32_e32 vcc_lo, 11, v65
	s_cselect_b32 s6, s7, s3
	v_and_b32_e32 v1, 0xf0, v1
	s_ashr_i32 s7, s6, 31
	s_delay_alu instid0(SALU_CYCLE_1) | instskip(NEXT) | instid1(SALU_CYCLE_1)
	s_lshl_b64 s[6:7], s[6:7], 2
	s_add_u32 s6, s26, s6
	s_addc_u32 s7, s25, s7
	s_or_b32 s8, s12, 64
	v_add_co_u32 v1, s13, s13, v1
	s_ashr_i32 s9, s8, 4
	s_cmp_lt_i32 s8, s24
	v_add_co_ci_u32_e64 v2, null, s15, 0, s13
	s_cselect_b32 s8, s9, s3
	s_delay_alu instid0(SALU_CYCLE_1) | instskip(NEXT) | instid1(SALU_CYCLE_1)
	s_ashr_i32 s9, s8, 31
	s_lshl_b64 s[8:9], s[8:9], 2
	s_delay_alu instid0(SALU_CYCLE_1) | instskip(SKIP_2) | instid1(SALU_CYCLE_1)
	s_add_u32 s8, s26, s8
	s_addc_u32 s9, s25, s9
	s_or_b32 s10, s12, 0x60
	s_ashr_i32 s11, s10, 4
	s_cmp_lt_i32 s10, s24
	s_cselect_b32 s10, s11, s3
	s_delay_alu instid0(SALU_CYCLE_1) | instskip(NEXT) | instid1(SALU_CYCLE_1)
	s_ashr_i32 s11, s10, 31
	s_lshl_b64 s[10:11], s[10:11], 2
	s_delay_alu instid0(SALU_CYCLE_1) | instskip(SKIP_2) | instid1(SALU_CYCLE_1)
	s_add_u32 s10, s26, s10
	s_addc_u32 s11, s25, s11
	s_or_b32 s16, s12, 0x80
	s_ashr_i32 s18, s16, 4
	s_cmp_lt_i32 s16, s24
	;; [unrolled: 10-line block ×3, first 2 shown]
	s_cselect_b32 s20, s18, s3
	s_delay_alu instid0(SALU_CYCLE_1) | instskip(NEXT) | instid1(SALU_CYCLE_1)
	s_ashr_i32 s21, s20, 31
	s_lshl_b64 s[20:21], s[20:21], 2
	s_delay_alu instid0(SALU_CYCLE_1)
	s_add_u32 s38, s26, s20
	s_addc_u32 s39, s25, s21
	s_clause 0x5
	s_load_b32 s21, s[4:5], 0x0
	s_load_b32 s13, s[6:7], 0x0
	;; [unrolled: 1-line block ×6, first 2 shown]
	s_or_b32 s8, s12, 0xc0
	s_mov_b32 s4, 0
	s_ashr_i32 s9, s8, 4
	s_cmp_lt_i32 s8, s24
	s_mov_b32 s11, s4
	s_cselect_b32 s36, s9, s3
	s_mov_b32 s5, s4
	s_ashr_i32 s37, s36, 31
	s_mov_b32 s6, s4
	s_lshl_b64 s[36:37], s[36:37], 2
	s_mov_b32 s7, s4
	s_add_u32 s36, s26, s36
	s_addc_u32 s37, s25, s37
	s_or_b32 s29, s12, 0xe0
	s_mov_b32 s8, s4
	s_ashr_i32 s30, s29, 4
	s_mov_b32 s9, s4
	s_mov_b32 s10, s4
	s_cmp_lt_i32 s29, s24
	v_dual_mov_b32 v107, s11 :: v_dual_mov_b32 v100, s4
	v_mov_b32_e32 v106, s10
	v_dual_mov_b32 v104, s8 :: v_dual_mov_b32 v103, s7
	v_dual_mov_b32 v102, s6 :: v_dual_mov_b32 v101, s5
	s_waitcnt vmcnt(1)
	v_mad_i64_i32 v[3:4], null, v5, s17, v[1:2]
	s_waitcnt vmcnt(0)
	v_mad_i64_i32 v[5:6], null, v7, s17, v[1:2]
	v_add_nc_u32_e32 v1, -11, v65
	v_lshlrev_b32_e32 v2, 4, v65
	s_clause 0x7
	global_load_b128 v[49:52], v[3:4], off
	global_load_b128 v[53:56], v[3:4], off offset:256
	global_load_b128 v[76:79], v[5:6], off
	global_load_b128 v[80:83], v[5:6], off offset:256
	global_load_b128 v[84:87], v[3:4], off offset:512
	;; [unrolled: 1-line block ×5, first 2 shown]
	v_cndmask_b32_e32 v1, v1, v65, vcc_lo
	v_mov_b32_e32 v105, s9
	s_cselect_b32 s4, s30, s3
	v_lshl_or_b32 v2, v66, 8, v2
	s_ashr_i32 s5, s4, 31
	v_lshlrev_b32_e32 v70, 6, v1
	s_lshl_b64 s[4:5], s[4:5], 2
	s_load_b32 s3, s[36:37], 0x0
	s_add_u32 s4, s26, s4
	s_addc_u32 s5, s25, s5
	ds_load_b128 v[108:111], v70
	ds_load_b128 v[112:115], v70 offset:1024
	s_load_b32 s4, s[4:5], 0x0
	s_add_u32 s6, s22, s27
	s_addc_u32 s7, s23, s28
	v_add_co_u32 v9, s6, s6, v2
	s_delay_alu instid0(VALU_DEP_1) | instskip(SKIP_1) | instid1(VALU_DEP_1)
	v_add_co_ci_u32_e64 v10, null, s7, 0, s6
	s_waitcnt lgkmcnt(0)
	v_mad_i64_i32 v[1:2], null, s21, s17, v[9:10]
	v_mad_i64_i32 v[3:4], null, s13, s17, v[9:10]
	;; [unrolled: 1-line block ×7, first 2 shown]
	s_clause 0x9
	global_load_b128 v[57:60], v[1:2], off
	global_load_b128 v[61:64], v[1:2], off offset:16
	global_load_b128 v[41:44], v[3:4], off
	global_load_b128 v[45:48], v[3:4], off offset:16
	;; [unrolled: 2-line block ×5, first 2 shown]
	v_mad_i64_i32 v[68:69], null, s4, s17, v[9:10]
	s_clause 0x3
	global_load_b128 v[9:12], v[13:14], off
	global_load_b128 v[13:16], v[13:14], off offset:16
	global_load_b128 v[17:20], v[21:22], off
	global_load_b128 v[21:24], v[21:22], off offset:16
	s_waitcnt vmcnt(20)
	v_wmma_f32_16x16x16_bf16 v[116:123], v[49:56], v[108:115], v[100:107]
	s_clause 0x1
	global_load_b128 v[49:52], v[68:69], off
	global_load_b128 v[53:56], v[68:69], off offset:16
	v_and_b32_e32 v68, 0xe0, v0
	v_mbcnt_lo_u32_b32 v69, -1, 0
	s_delay_alu instid0(VALU_DEP_2)
	v_add_nc_u32_e32 v68, s12, v68
	s_waitcnt vmcnt(20)
	v_wmma_f32_16x16x16_bf16 v[100:107], v[76:83], v[108:115], v[100:107]
	ds_load_b128 v[76:79], v70 offset:2048
	ds_load_b128 v[80:83], v70 offset:3072
	v_xor_b32_e32 v70, 16, v69
	s_waitcnt vmcnt(0) lgkmcnt(0)
	v_or_b32_e32 v68, v68, v74
	s_barrier
	buffer_gl0_inv
	v_cmp_gt_i32_e32 vcc_lo, 32, v70
	v_or_b32_e32 v71, 4, v68
	v_or_b32_e32 v72, 6, v68
	v_cmp_gt_i32_e64 s3, s24, v68
	v_or_b32_e32 v108, 8, v68
	v_or_b32_e32 v109, 10, v68
	v_cmp_gt_i32_e64 s4, s24, v71
	v_cmp_gt_i32_e64 s5, s24, v72
	s_delay_alu instid0(VALU_DEP_4) | instskip(NEXT) | instid1(VALU_DEP_4)
	v_cmp_gt_i32_e64 s6, s24, v108
	v_cmp_gt_i32_e64 s7, s24, v109
	v_wmma_f32_16x16x16_bf16 v[116:123], v[84:91], v[76:83], v[116:123]
	v_cndmask_b32_e32 v69, v69, v70, vcc_lo
	v_or_b32_e32 v70, 2, v68
	v_wmma_f32_16x16x16_bf16 v[100:107], v[92:99], v[76:83], v[100:107]
	v_or_b32_e32 v89, 22, v68
	v_dual_mul_f32 v82, s19, v119 :: v_dual_mul_f32 v79, s19, v122
	v_dual_mul_f32 v92, s19, v117 :: v_dual_mul_f32 v93, s19, v116
	s_delay_alu instid0(VALU_DEP_4) | instskip(SKIP_2) | instid1(VALU_DEP_4)
	v_mul_f32_e32 v98, s19, v103
	v_cmp_gt_i32_e32 vcc_lo, s24, v70
	v_dual_mul_f32 v83, s19, v118 :: v_dual_mul_f32 v96, s19, v105
	v_cndmask_b32_e64 v93, 0xff7fffff, v93, s3
	v_or_b32_e32 v84, 12, v68
	v_cndmask_b32_e32 v92, 0xff7fffff, v92, vcc_lo
	v_or_b32_e32 v85, 14, v68
	v_dual_mul_f32 v80, s19, v121 :: v_dual_mul_f32 v81, s19, v120
	v_mul_f32_e32 v94, s19, v107
	v_cndmask_b32_e64 v71, 0xff7fffff, v83, s4
	v_cndmask_b32_e64 v72, 0xff7fffff, v82, s5
	v_cmp_gt_i32_e64 s13, s24, v89
	v_lshlrev_b32_e32 v89, 2, v69
	v_max3_f32 v82, v93, 0xff7fffff, v92
	v_or_b32_e32 v86, 16, v68
	v_or_b32_e32 v87, 18, v68
	v_mul_f32_e32 v78, s19, v123
	v_cndmask_b32_e64 v81, 0xff7fffff, v81, s6
	v_cndmask_b32_e64 v80, 0xff7fffff, v80, s7
	v_max3_f32 v71, v82, v71, v72
	v_cmp_gt_i32_e64 s8, s24, v84
	v_cmp_gt_i32_e64 s9, s24, v85
	v_or_b32_e32 v88, 20, v68
	v_or_b32_e32 v90, 24, v68
	;; [unrolled: 1-line block ×5, first 2 shown]
	v_dual_mul_f32 v95, s19, v106 :: v_dual_mul_f32 v70, s19, v101
	v_dual_mul_f32 v99, s19, v102 :: v_dual_mul_f32 v68, s19, v100
	v_cndmask_b32_e64 v72, 0xff7fffff, v79, s8
	v_cndmask_b32_e64 v78, 0xff7fffff, v78, s9
	v_max3_f32 v71, v71, v81, v80
	v_cmp_gt_i32_e64 s10, s24, v86
	v_cmp_gt_i32_e64 s11, s24, v87
	;; [unrolled: 1-line block ×3, first 2 shown]
	v_mul_f32_e32 v97, s19, v104
	v_max3_f32 v71, v71, v72, v78
	v_cndmask_b32_e64 v68, 0xff7fffff, v68, s10
	v_cndmask_b32_e64 v70, 0xff7fffff, v70, s11
	;; [unrolled: 1-line block ×4, first 2 shown]
	v_cmp_gt_i32_e64 s15, s24, v90
	v_cmp_gt_i32_e64 s16, s24, v91
	v_max3_f32 v68, v71, v68, v70
	v_cmp_gt_i32_e64 s17, s24, v76
	v_cmp_gt_i32_e64 s18, s24, v77
	v_cndmask_b32_e64 v70, 0xff7fffff, v97, s15
	v_cndmask_b32_e64 v71, 0xff7fffff, v96, s16
	v_max3_f32 v68, v68, v72, v78
	v_cndmask_b32_e64 v72, 0xff7fffff, v95, s17
	v_cndmask_b32_e64 v76, 0xff7fffff, v94, s18
	s_delay_alu instid0(VALU_DEP_3) | instskip(NEXT) | instid1(VALU_DEP_1)
	v_max3_f32 v68, v68, v70, v71
	v_max3_f32 v68, v68, v72, v76
	ds_bpermute_b32 v69, v89, v68
	s_waitcnt lgkmcnt(0)
	v_max_f32_e32 v69, v69, v69
	s_delay_alu instid0(VALU_DEP_1) | instskip(NEXT) | instid1(VALU_DEP_1)
	v_max_f32_e32 v68, v68, v69
	v_fma_f32 v69, s19, v116, -v68
	v_fma_f32 v70, s19, v117, -v68
	v_fma_f32 v72, s19, v119, -v68
	v_fma_f32 v71, s19, v118, -v68
	v_fma_f32 v76, s19, v120, -v68
	s_delay_alu instid0(VALU_DEP_4) | instskip(NEXT) | instid1(VALU_DEP_4)
	v_dual_mul_f32 v69, 0x3fb8aa3b, v69 :: v_dual_mul_f32 v70, 0x3fb8aa3b, v70
	v_mul_f32_e32 v72, 0x3fb8aa3b, v72
	v_fma_f32 v78, s19, v122, -v68
	s_delay_alu instid0(VALU_DEP_4) | instskip(NEXT) | instid1(VALU_DEP_4)
	v_mul_f32_e32 v77, 0x3fb8aa3b, v76
	v_exp_f32_e32 v69, v69
	v_exp_f32_e32 v70, v70
	v_mul_f32_e32 v71, 0x3fb8aa3b, v71
	v_exp_f32_e32 v72, v72
	v_mul_f32_e32 v78, 0x3fb8aa3b, v78
	v_exp_f32_e32 v77, v77
	v_fma_f32 v81, s19, v105, -v68
	s_delay_alu instid0(VALU_DEP_2)
	v_exp_f32_e32 v78, v78
	v_cndmask_b32_e64 v80, 0, v69, s3
	v_cndmask_b32_e32 v76, 0, v70, vcc_lo
	v_exp_f32_e32 v71, v71
	v_fma_f32 v69, s19, v121, -v68
	v_cndmask_b32_e64 v85, 0, v72, s5
	v_add_f32_e32 v70, 0, v80
	s_delay_alu instid0(TRANS32_DEP_3)
	v_cndmask_b32_e64 v86, 0, v77, s6
	v_fma_f32 v77, s19, v101, -v68
	v_mul_f32_e32 v69, 0x3fb8aa3b, v69
	v_fma_f32 v72, s19, v100, -v68
	v_cndmask_b32_e64 v84, 0, v78, s8
	v_fma_f32 v78, s19, v103, -v68
	v_cndmask_b32_e64 v83, 0, v71, s4
	v_fma_f32 v71, s19, v123, -v68
	v_add_f32_e32 v70, v70, v76
	v_exp_f32_e32 v69, v69
	v_mul_f32_e32 v77, 0x3fb8aa3b, v77
	v_mul_f32_e32 v81, 0x3fb8aa3b, v81
	;; [unrolled: 1-line block ×3, first 2 shown]
	v_add_f32_e32 v70, v70, v83
	v_cmp_gt_u32_e64 s3, 16, v67
	v_exp_f32_e32 v77, v77
	v_exp_f32_e32 v81, v81
	;; [unrolled: 1-line block ×3, first 2 shown]
	v_cndmask_b32_e64 v87, 0, v69, s7
	v_add_f32_e32 v70, v70, v85
	s_delay_alu instid0(VALU_DEP_1) | instskip(SKIP_1) | instid1(VALU_DEP_2)
	v_dual_mul_f32 v72, 0x3fb8aa3b, v72 :: v_dual_add_f32 v69, v70, v86
	v_fma_f32 v70, s19, v102, -v68
	v_exp_f32_e32 v72, v72
	s_waitcnt_depctr 0xfff
	v_cndmask_b32_e64 v88, 0, v71, s9
	v_fma_f32 v71, s19, v104, -v68
	v_dual_add_f32 v69, v69, v87 :: v_dual_mul_f32 v70, 0x3fb8aa3b, v70
	s_delay_alu instid0(VALU_DEP_2) | instskip(NEXT) | instid1(VALU_DEP_2)
	v_dual_mul_f32 v78, 0x3fb8aa3b, v78 :: v_dual_mul_f32 v71, 0x3fb8aa3b, v71
	v_add_f32_e32 v69, v69, v84
	s_delay_alu instid0(VALU_DEP_3) | instskip(SKIP_1) | instid1(VALU_DEP_3)
	v_exp_f32_e32 v79, v70
	v_cndmask_b32_e64 v70, 0, v72, s10
	v_exp_f32_e32 v78, v78
	v_exp_f32_e32 v82, v71
	v_add_f32_e32 v72, v69, v88
	v_cndmask_b32_e64 v69, 0, v77, s11
	v_fma_f32 v77, s19, v106, -v68
	s_delay_alu instid0(VALU_DEP_3) | instskip(NEXT) | instid1(TRANS32_DEP_3)
	v_add_f32_e32 v72, v72, v70
	v_cndmask_b32_e64 v71, 0, v79, s12
	s_delay_alu instid0(VALU_DEP_3) | instskip(NEXT) | instid1(VALU_DEP_3)
	v_mul_f32_e32 v77, 0x3fb8aa3b, v77
	v_add_f32_e32 v79, v72, v69
	s_delay_alu instid0(TRANS32_DEP_2) | instskip(NEXT) | instid1(VALU_DEP_3)
	v_cndmask_b32_e64 v72, 0, v78, s13
	v_exp_f32_e32 v90, v77
	v_cndmask_b32_e64 v77, 0, v82, s15
	s_delay_alu instid0(VALU_DEP_3) | instskip(SKIP_1) | instid1(VALU_DEP_1)
	v_add_f32_e32 v78, v79, v71
	v_fma_f32 v79, s19, v107, -v68
	v_dual_add_f32 v82, v78, v72 :: v_dual_mul_f32 v79, 0x3fb8aa3b, v79
	v_cndmask_b32_e64 v78, 0, v81, s16
	s_delay_alu instid0(VALU_DEP_2) | instskip(NEXT) | instid1(VALU_DEP_3)
	v_add_f32_e32 v81, v82, v77
	v_exp_f32_e32 v82, v79
	s_delay_alu instid0(TRANS32_DEP_2) | instskip(NEXT) | instid1(VALU_DEP_2)
	v_cndmask_b32_e64 v79, 0, v90, s17
	v_add_f32_e32 v81, v81, v78
	s_delay_alu instid0(VALU_DEP_1) | instskip(SKIP_2) | instid1(VALU_DEP_1)
	v_add_f32_e32 v90, v81, v79
	s_waitcnt_depctr 0xfff
	v_cndmask_b32_e64 v81, 0, v82, s18
	v_add_f32_e32 v82, v90, v81
	ds_bpermute_b32 v89, v89, v82
	s_and_saveexec_b32 s4, s3
	s_cbranch_execz .LBB1672_12
; %bb.11:
	v_mul_u32_u24_e32 v67, 0x44, v66
	s_delay_alu instid0(VALU_DEP_1) | instskip(SKIP_1) | instid1(VALU_DEP_1)
	v_lshl_add_u32 v67, v65, 2, v67
	s_waitcnt lgkmcnt(0)
	v_dual_add_f32 v82, v82, v89 :: v_dual_add_nc_u32 v67, 0x4000, v67
	ds_store_2addr_b32 v67, v68, v82 offset1:136
.LBB1672_12:
	s_or_b32 exec_lo, exec_lo, s4
	v_lshlrev_b32_e32 v67, 2, v65
	s_waitcnt lgkmcnt(0)
	s_barrier
	buffer_gl0_inv
	v_cmp_eq_u32_e32 vcc_lo, 1, v66
	v_add_nc_u32_e32 v82, 0x4000, v67
	v_cmp_eq_u32_e64 s4, 2, v66
	v_cmp_eq_u32_e64 s6, 7, v66
	ds_load_2addr_b32 v[89:90], v82 offset1:17
	ds_load_2addr_b32 v[91:92], v82 offset0:34 offset1:51
	ds_load_2addr_b32 v[93:94], v82 offset0:68 offset1:85
	;; [unrolled: 1-line block ×4, first 2 shown]
	s_waitcnt lgkmcnt(4)
	v_max3_f32 v67, v89, 0xff7fffff, v90
	s_waitcnt lgkmcnt(3)
	s_delay_alu instid0(VALU_DEP_1) | instskip(SKIP_1) | instid1(VALU_DEP_1)
	v_max3_f32 v67, v67, v91, v92
	s_waitcnt lgkmcnt(2)
	v_max3_f32 v67, v67, v93, v94
	s_waitcnt lgkmcnt(1)
	s_delay_alu instid0(VALU_DEP_1) | instskip(NEXT) | instid1(VALU_DEP_1)
	v_max3_f32 v67, v67, v95, v96
	v_sub_f32_e32 v93, v93, v67
	s_delay_alu instid0(VALU_DEP_1) | instskip(NEXT) | instid1(VALU_DEP_1)
	v_dual_sub_f32 v68, v89, v67 :: v_dual_mul_f32 v103, 0x3fb8aa3b, v93
	v_mul_f32_e32 v68, 0x3fb8aa3b, v68
	s_delay_alu instid0(VALU_DEP_1)
	v_exp_f32_e32 v100, v68
	v_sub_f32_e32 v68, v92, v67
	v_sub_f32_e32 v99, v90, v67
	ds_load_2addr_b32 v[89:90], v82 offset0:170 offset1:187
	v_dual_mul_f32 v102, 0x3fb8aa3b, v68 :: v_dual_mul_f32 v99, 0x3fb8aa3b, v99
	s_waitcnt lgkmcnt(1)
	v_fma_f32 v68, v100, v97, 0
	s_delay_alu instid0(VALU_DEP_2) | instskip(NEXT) | instid1(VALU_DEP_2)
	v_exp_f32_e32 v102, v102
	v_exp_f32_e32 v99, v99
	s_waitcnt_depctr 0xfff
	v_fmac_f32_e32 v68, v99, v98
	v_sub_f32_e32 v91, v91, v67
	s_delay_alu instid0(VALU_DEP_1)
	v_mul_f32_e32 v101, 0x3fb8aa3b, v91
	ds_load_2addr_b32 v[91:92], v82 offset0:204 offset1:221
	v_sub_f32_e32 v97, v94, v67
	ds_load_2addr_b32 v[93:94], v82 offset0:238 offset1:255
	s_waitcnt lgkmcnt(0)
	v_exp_f32_e32 v101, v101
	s_barrier
	buffer_gl0_inv
	v_dual_fmac_f32 v68, v101, v89 :: v_dual_sub_f32 v89, v96, v67
	v_dual_sub_f32 v82, v95, v67 :: v_dual_mul_f32 v95, 0x3fb8aa3b, v97
	v_exp_f32_e32 v97, v103
	s_delay_alu instid0(VALU_DEP_2) | instskip(NEXT) | instid1(VALU_DEP_2)
	v_dual_fmac_f32 v68, v102, v90 :: v_dual_mul_f32 v89, 0x3fb8aa3b, v89
	v_mul_f32_e32 v82, 0x3fb8aa3b, v82
	s_delay_alu instid0(VALU_DEP_3) | instskip(NEXT) | instid1(VALU_DEP_2)
	v_exp_f32_e32 v95, v95
	v_exp_f32_e32 v89, v89
	s_delay_alu instid0(VALU_DEP_1)
	v_exp_f32_e32 v82, v82
	v_fmac_f32_e32 v68, v97, v91
	s_delay_alu instid0(TRANS32_DEP_3) | instid1(VALU_DEP_1)
	v_fmac_f32_e32 v68, v95, v92
	s_waitcnt_depctr 0xfff
	v_fmac_f32_e32 v68, v82, v93
	s_delay_alu instid0(VALU_DEP_1) | instskip(NEXT) | instid1(VALU_DEP_1)
	v_fmac_f32_e32 v68, v89, v94
	v_add_f32_e32 v90, 0x358637bd, v68
	s_delay_alu instid0(VALU_DEP_1) | instskip(NEXT) | instid1(VALU_DEP_1)
	v_div_scale_f32 v91, null, v90, v90, 1.0
	v_rcp_f32_e32 v92, v91
	s_waitcnt_depctr 0xfff
	v_fma_f32 v93, -v91, v92, 1.0
	s_delay_alu instid0(VALU_DEP_1) | instskip(SKIP_1) | instid1(VALU_DEP_2)
	v_dual_fmac_f32 v92, v93, v92 :: v_dual_cndmask_b32 v93, v100, v99
	v_cmp_eq_u32_e32 vcc_lo, 3, v66
	v_cndmask_b32_e64 v93, v93, v101, s4
	v_cmp_eq_u32_e64 s4, 4, v66
	s_delay_alu instid0(VALU_DEP_2) | instskip(SKIP_1) | instid1(VALU_DEP_2)
	v_cndmask_b32_e32 v93, v93, v102, vcc_lo
	v_cmp_eq_u32_e32 vcc_lo, 5, v66
	v_cndmask_b32_e64 v93, v93, v97, s4
	v_cmp_eq_u32_e64 s4, 6, v66
	s_delay_alu instid0(VALU_DEP_2) | instskip(SKIP_1) | instid1(VALU_DEP_1)
	v_cndmask_b32_e32 v93, v93, v95, vcc_lo
	v_div_scale_f32 v94, s5, 1.0, v90, 1.0
	s_mov_b32 vcc_lo, s5
	s_delay_alu instid0(VALU_DEP_2) | instskip(NEXT) | instid1(VALU_DEP_2)
	v_cndmask_b32_e64 v82, v93, v82, s4
	v_mul_f32_e32 v96, v94, v92
	s_mov_b32 s4, exec_lo
	s_delay_alu instid0(VALU_DEP_2) | instskip(NEXT) | instid1(VALU_DEP_2)
	v_cndmask_b32_e64 v82, v82, v89, s6
	v_fma_f32 v98, -v91, v96, v94
	s_delay_alu instid0(VALU_DEP_1) | instskip(NEXT) | instid1(VALU_DEP_1)
	v_fmac_f32_e32 v96, v98, v92
	v_fma_f32 v91, -v91, v96, v94
	s_delay_alu instid0(VALU_DEP_1) | instskip(NEXT) | instid1(VALU_DEP_1)
	v_div_fmas_f32 v91, v91, v92, v96
	v_div_fixup_f32 v90, v91, v90, 1.0
	s_delay_alu instid0(VALU_DEP_1) | instskip(NEXT) | instid1(VALU_DEP_1)
	v_mul_f32_e32 v82, v82, v90
	v_mul_f32_e32 v87, v82, v87
	;; [unrolled: 1-line block ×7, first 2 shown]
	v_dual_mul_f32 v86, v82, v83 :: v_dual_and_b32 v91, 0x7f800000, v90
	v_mul_f32_e32 v85, v82, v76
                                        ; implicit-def: $vgpr76
	s_delay_alu instid0(VALU_DEP_2)
	v_cmpx_ne_u32_e32 0x7f800000, v91
	s_xor_b32 s4, exec_lo, s4
; %bb.13:
	v_bfe_u32 v76, v90, 16, 1
	s_delay_alu instid0(VALU_DEP_1)
	v_add3_u32 v76, v90, v76, 0x7fff
                                        ; implicit-def: $vgpr90
; %bb.14:
	s_and_not1_saveexec_b32 s4, s4
; %bb.15:
	v_and_b32_e32 v76, 0xffff, v90
	v_or_b32_e32 v83, 0x10000, v90
	s_delay_alu instid0(VALU_DEP_2) | instskip(NEXT) | instid1(VALU_DEP_2)
	v_cmp_eq_u32_e32 vcc_lo, 0, v76
	v_cndmask_b32_e32 v76, v83, v90, vcc_lo
; %bb.16:
	s_or_b32 exec_lo, exec_lo, s4
	v_and_b32_e32 v83, 0x7f800000, v85
	s_delay_alu instid0(VALU_DEP_1) | instskip(SKIP_1) | instid1(SALU_CYCLE_1)
	v_cmp_ne_u32_e32 vcc_lo, 0x7f800000, v83
                                        ; implicit-def: $vgpr83
	s_and_saveexec_b32 s4, vcc_lo
	s_xor_b32 s4, exec_lo, s4
; %bb.17:
	v_bfe_u32 v83, v85, 16, 1
	s_delay_alu instid0(VALU_DEP_1)
	v_add3_u32 v83, v85, v83, 0x7fff
                                        ; implicit-def: $vgpr85
; %bb.18:
	s_and_not1_saveexec_b32 s4, s4
; %bb.19:
	v_and_b32_e32 v83, 0xffff, v85
	v_or_b32_e32 v90, 0x10000, v85
	s_delay_alu instid0(VALU_DEP_2) | instskip(NEXT) | instid1(VALU_DEP_2)
	v_cmp_eq_u32_e32 vcc_lo, 0, v83
	v_cndmask_b32_e32 v83, v90, v85, vcc_lo
; %bb.20:
	s_or_b32 exec_lo, exec_lo, s4
	v_and_b32_e32 v85, 0x7f800000, v86
	s_delay_alu instid0(VALU_DEP_1) | instskip(SKIP_1) | instid1(SALU_CYCLE_1)
	v_cmp_ne_u32_e32 vcc_lo, 0x7f800000, v85
                                        ; implicit-def: $vgpr85
	s_and_saveexec_b32 s4, vcc_lo
	s_xor_b32 s4, exec_lo, s4
; %bb.21:
	v_bfe_u32 v85, v86, 16, 1
	s_delay_alu instid0(VALU_DEP_1)
	v_add3_u32 v85, v86, v85, 0x7fff
                                        ; implicit-def: $vgpr86
; %bb.22:
	s_and_not1_saveexec_b32 s4, s4
; %bb.23:
	v_and_b32_e32 v85, 0xffff, v86
	v_or_b32_e32 v90, 0x10000, v86
	s_delay_alu instid0(VALU_DEP_2) | instskip(NEXT) | instid1(VALU_DEP_2)
	v_cmp_eq_u32_e32 vcc_lo, 0, v85
	v_cndmask_b32_e32 v85, v90, v86, vcc_lo
; %bb.24:
	s_or_b32 exec_lo, exec_lo, s4
	v_and_b32_e32 v86, 0x7f800000, v89
	s_delay_alu instid0(VALU_DEP_1) | instskip(SKIP_1) | instid1(SALU_CYCLE_1)
	v_cmp_ne_u32_e32 vcc_lo, 0x7f800000, v86
                                        ; implicit-def: $vgpr86
	s_and_saveexec_b32 s4, vcc_lo
	s_xor_b32 s4, exec_lo, s4
; %bb.25:
	v_bfe_u32 v86, v89, 16, 1
	s_delay_alu instid0(VALU_DEP_1)
	v_add3_u32 v86, v89, v86, 0x7fff
                                        ; implicit-def: $vgpr89
; %bb.26:
	s_and_not1_saveexec_b32 s4, s4
; %bb.27:
	v_and_b32_e32 v86, 0xffff, v89
	v_or_b32_e32 v90, 0x10000, v89
	s_delay_alu instid0(VALU_DEP_2) | instskip(NEXT) | instid1(VALU_DEP_2)
	v_cmp_eq_u32_e32 vcc_lo, 0, v86
	v_cndmask_b32_e32 v86, v90, v89, vcc_lo
; %bb.28:
	s_or_b32 exec_lo, exec_lo, s4
	v_and_b32_e32 v89, 0x7f800000, v88
	s_delay_alu instid0(VALU_DEP_1) | instskip(SKIP_1) | instid1(SALU_CYCLE_1)
	v_cmp_ne_u32_e32 vcc_lo, 0x7f800000, v89
                                        ; implicit-def: $vgpr89
	s_and_saveexec_b32 s4, vcc_lo
	s_xor_b32 s4, exec_lo, s4
; %bb.29:
	v_bfe_u32 v89, v88, 16, 1
	s_delay_alu instid0(VALU_DEP_1)
	v_add3_u32 v89, v88, v89, 0x7fff
                                        ; implicit-def: $vgpr88
; %bb.30:
	s_and_not1_saveexec_b32 s4, s4
; %bb.31:
	v_and_b32_e32 v89, 0xffff, v88
	v_or_b32_e32 v90, 0x10000, v88
	s_delay_alu instid0(VALU_DEP_2) | instskip(NEXT) | instid1(VALU_DEP_2)
	v_cmp_eq_u32_e32 vcc_lo, 0, v89
	v_cndmask_b32_e32 v89, v90, v88, vcc_lo
; %bb.32:
	s_or_b32 exec_lo, exec_lo, s4
	v_and_b32_e32 v88, 0x7f800000, v87
	s_delay_alu instid0(VALU_DEP_1) | instskip(SKIP_1) | instid1(SALU_CYCLE_1)
	v_cmp_ne_u32_e32 vcc_lo, 0x7f800000, v88
                                        ; implicit-def: $vgpr88
	s_and_saveexec_b32 s4, vcc_lo
	s_xor_b32 s4, exec_lo, s4
; %bb.33:
	v_bfe_u32 v88, v87, 16, 1
	s_delay_alu instid0(VALU_DEP_1)
	v_add3_u32 v88, v87, v88, 0x7fff
                                        ; implicit-def: $vgpr87
; %bb.34:
	s_and_not1_saveexec_b32 s4, s4
; %bb.35:
	v_and_b32_e32 v88, 0xffff, v87
	v_or_b32_e32 v90, 0x10000, v87
	s_delay_alu instid0(VALU_DEP_2) | instskip(NEXT) | instid1(VALU_DEP_2)
	v_cmp_eq_u32_e32 vcc_lo, 0, v88
	v_cndmask_b32_e32 v88, v90, v87, vcc_lo
; %bb.36:
	s_or_b32 exec_lo, exec_lo, s4
	v_and_b32_e32 v87, 0x7f800000, v84
	s_delay_alu instid0(VALU_DEP_1) | instskip(SKIP_1) | instid1(SALU_CYCLE_1)
	v_cmp_ne_u32_e32 vcc_lo, 0x7f800000, v87
                                        ; implicit-def: $vgpr87
	s_and_saveexec_b32 s4, vcc_lo
	s_xor_b32 s4, exec_lo, s4
; %bb.37:
	v_bfe_u32 v87, v84, 16, 1
	s_delay_alu instid0(VALU_DEP_1)
	v_add3_u32 v87, v84, v87, 0x7fff
                                        ; implicit-def: $vgpr84
; %bb.38:
	s_and_not1_saveexec_b32 s4, s4
; %bb.39:
	v_and_b32_e32 v87, 0xffff, v84
	v_or_b32_e32 v90, 0x10000, v84
	s_delay_alu instid0(VALU_DEP_2) | instskip(NEXT) | instid1(VALU_DEP_2)
	v_cmp_eq_u32_e32 vcc_lo, 0, v87
	v_cndmask_b32_e32 v87, v90, v84, vcc_lo
; %bb.40:
	s_or_b32 exec_lo, exec_lo, s4
	v_and_b32_e32 v84, 0x7f800000, v80
	s_delay_alu instid0(VALU_DEP_1) | instskip(SKIP_1) | instid1(SALU_CYCLE_1)
	v_cmp_ne_u32_e32 vcc_lo, 0x7f800000, v84
                                        ; implicit-def: $vgpr84
	s_and_saveexec_b32 s4, vcc_lo
	s_xor_b32 s4, exec_lo, s4
; %bb.41:
	v_bfe_u32 v84, v80, 16, 1
	s_delay_alu instid0(VALU_DEP_1)
	v_add3_u32 v84, v80, v84, 0x7fff
                                        ; implicit-def: $vgpr80
; %bb.42:
	s_and_not1_saveexec_b32 s4, s4
; %bb.43:
	v_and_b32_e32 v84, 0xffff, v80
	v_or_b32_e32 v90, 0x10000, v80
	s_delay_alu instid0(VALU_DEP_2) | instskip(NEXT) | instid1(VALU_DEP_2)
	v_cmp_eq_u32_e32 vcc_lo, 0, v84
	v_cndmask_b32_e32 v84, v90, v80, vcc_lo
; %bb.44:
	s_or_b32 exec_lo, exec_lo, s4
	s_load_b64 s[36:37], s[0:1], 0x94
	v_lshlrev_b32_e32 v91, 4, v74
	s_delay_alu instid0(VALU_DEP_2)
	v_perm_b32 v90, v84, v87, 0x7060302
	v_dual_mul_f32 v79, v82, v79 :: v_dual_lshlrev_b32 v80, 6, v65
	v_dual_mul_f32 v77, v82, v77 :: v_dual_lshlrev_b32 v92, 11, v66
	v_mul_f32_e32 v84, v82, v70
	v_perm_b32 v89, v88, v89, 0x7060302
	v_perm_b32 v88, v86, v85, 0x7060302
	;; [unrolled: 1-line block ×3, first 2 shown]
	v_mul_f32_e32 v70, v82, v81
	v_or3_b32 v76, v91, v92, v80
	v_dual_mul_f32 v78, v82, v78 :: v_dual_and_b32 v85, 0x7f800000, v84
	v_mul_f32_e32 v83, v82, v72
	v_mul_f32_e32 v81, v82, v71
	v_mul_f32_e32 v72, v82, v69
	s_mov_b32 s4, exec_lo
	ds_store_b128 v76, v[87:90]
                                        ; implicit-def: $vgpr69
	v_cmpx_ne_u32_e32 0x7f800000, v85
	s_xor_b32 s4, exec_lo, s4
; %bb.45:
	v_bfe_u32 v69, v84, 16, 1
	s_delay_alu instid0(VALU_DEP_1)
	v_add3_u32 v69, v84, v69, 0x7fff
                                        ; implicit-def: $vgpr84
; %bb.46:
	s_and_not1_saveexec_b32 s4, s4
; %bb.47:
	v_and_b32_e32 v69, 0xffff, v84
	v_or_b32_e32 v71, 0x10000, v84
	s_delay_alu instid0(VALU_DEP_2) | instskip(NEXT) | instid1(VALU_DEP_2)
	v_cmp_eq_u32_e32 vcc_lo, 0, v69
	v_cndmask_b32_e32 v69, v71, v84, vcc_lo
; %bb.48:
	s_or_b32 exec_lo, exec_lo, s4
	v_and_b32_e32 v71, 0x7f800000, v72
	s_delay_alu instid0(VALU_DEP_1) | instskip(SKIP_1) | instid1(SALU_CYCLE_1)
	v_cmp_ne_u32_e32 vcc_lo, 0x7f800000, v71
                                        ; implicit-def: $vgpr71
	s_and_saveexec_b32 s4, vcc_lo
	s_xor_b32 s4, exec_lo, s4
; %bb.49:
	v_bfe_u32 v71, v72, 16, 1
	s_delay_alu instid0(VALU_DEP_1)
	v_add3_u32 v71, v72, v71, 0x7fff
                                        ; implicit-def: $vgpr72
; %bb.50:
	s_and_not1_saveexec_b32 s4, s4
; %bb.51:
	v_and_b32_e32 v71, 0xffff, v72
	v_or_b32_e32 v82, 0x10000, v72
	s_delay_alu instid0(VALU_DEP_2) | instskip(NEXT) | instid1(VALU_DEP_2)
	v_cmp_eq_u32_e32 vcc_lo, 0, v71
	v_cndmask_b32_e32 v71, v82, v72, vcc_lo
; %bb.52:
	s_or_b32 exec_lo, exec_lo, s4
	v_and_b32_e32 v72, 0x7f800000, v81
	s_delay_alu instid0(VALU_DEP_1) | instskip(SKIP_1) | instid1(SALU_CYCLE_1)
	v_cmp_ne_u32_e32 vcc_lo, 0x7f800000, v72
                                        ; implicit-def: $vgpr72
	s_and_saveexec_b32 s4, vcc_lo
	s_xor_b32 s4, exec_lo, s4
; %bb.53:
	v_bfe_u32 v72, v81, 16, 1
	s_delay_alu instid0(VALU_DEP_1)
	v_add3_u32 v72, v81, v72, 0x7fff
                                        ; implicit-def: $vgpr81
; %bb.54:
	s_and_not1_saveexec_b32 s4, s4
; %bb.55:
	v_and_b32_e32 v72, 0xffff, v81
	v_or_b32_e32 v82, 0x10000, v81
	s_delay_alu instid0(VALU_DEP_2) | instskip(NEXT) | instid1(VALU_DEP_2)
	v_cmp_eq_u32_e32 vcc_lo, 0, v72
	v_cndmask_b32_e32 v72, v82, v81, vcc_lo
; %bb.56:
	s_or_b32 exec_lo, exec_lo, s4
	v_and_b32_e32 v81, 0x7f800000, v83
	s_delay_alu instid0(VALU_DEP_1) | instskip(SKIP_1) | instid1(SALU_CYCLE_1)
	v_cmp_ne_u32_e32 vcc_lo, 0x7f800000, v81
                                        ; implicit-def: $vgpr81
	s_and_saveexec_b32 s4, vcc_lo
	s_xor_b32 s4, exec_lo, s4
; %bb.57:
	v_bfe_u32 v81, v83, 16, 1
	s_delay_alu instid0(VALU_DEP_1)
	v_add3_u32 v81, v83, v81, 0x7fff
                                        ; implicit-def: $vgpr83
; %bb.58:
	s_and_not1_saveexec_b32 s4, s4
; %bb.59:
	v_and_b32_e32 v81, 0xffff, v83
	v_or_b32_e32 v82, 0x10000, v83
	s_delay_alu instid0(VALU_DEP_2) | instskip(NEXT) | instid1(VALU_DEP_2)
	v_cmp_eq_u32_e32 vcc_lo, 0, v81
	v_cndmask_b32_e32 v81, v82, v83, vcc_lo
; %bb.60:
	s_or_b32 exec_lo, exec_lo, s4
	v_and_b32_e32 v82, 0x7f800000, v77
	s_delay_alu instid0(VALU_DEP_1) | instskip(SKIP_1) | instid1(SALU_CYCLE_1)
	v_cmp_ne_u32_e32 vcc_lo, 0x7f800000, v82
                                        ; implicit-def: $vgpr82
	s_and_saveexec_b32 s4, vcc_lo
	s_xor_b32 s4, exec_lo, s4
; %bb.61:
	v_bfe_u32 v82, v77, 16, 1
	s_delay_alu instid0(VALU_DEP_1)
	v_add3_u32 v82, v77, v82, 0x7fff
                                        ; implicit-def: $vgpr77
; %bb.62:
	s_and_not1_saveexec_b32 s4, s4
; %bb.63:
	v_and_b32_e32 v82, 0xffff, v77
	v_or_b32_e32 v83, 0x10000, v77
	s_delay_alu instid0(VALU_DEP_2) | instskip(NEXT) | instid1(VALU_DEP_2)
	v_cmp_eq_u32_e32 vcc_lo, 0, v82
	v_cndmask_b32_e32 v82, v83, v77, vcc_lo
; %bb.64:
	s_or_b32 exec_lo, exec_lo, s4
	v_and_b32_e32 v77, 0x7f800000, v78
	s_delay_alu instid0(VALU_DEP_1) | instskip(SKIP_1) | instid1(SALU_CYCLE_1)
	v_cmp_ne_u32_e32 vcc_lo, 0x7f800000, v77
                                        ; implicit-def: $vgpr77
	s_and_saveexec_b32 s4, vcc_lo
	s_xor_b32 s4, exec_lo, s4
; %bb.65:
	v_bfe_u32 v77, v78, 16, 1
	s_delay_alu instid0(VALU_DEP_1)
	v_add3_u32 v77, v78, v77, 0x7fff
                                        ; implicit-def: $vgpr78
; %bb.66:
	s_and_not1_saveexec_b32 s4, s4
; %bb.67:
	v_and_b32_e32 v77, 0xffff, v78
	v_or_b32_e32 v83, 0x10000, v78
	s_delay_alu instid0(VALU_DEP_2) | instskip(NEXT) | instid1(VALU_DEP_2)
	v_cmp_eq_u32_e32 vcc_lo, 0, v77
	v_cndmask_b32_e32 v77, v83, v78, vcc_lo
; %bb.68:
	s_or_b32 exec_lo, exec_lo, s4
	v_and_b32_e32 v78, 0x7f800000, v79
	s_delay_alu instid0(VALU_DEP_1) | instskip(SKIP_1) | instid1(SALU_CYCLE_1)
	v_cmp_ne_u32_e32 vcc_lo, 0x7f800000, v78
                                        ; implicit-def: $vgpr78
	s_and_saveexec_b32 s4, vcc_lo
	s_xor_b32 s4, exec_lo, s4
; %bb.69:
	v_bfe_u32 v78, v79, 16, 1
	s_delay_alu instid0(VALU_DEP_1)
	v_add3_u32 v78, v79, v78, 0x7fff
                                        ; implicit-def: $vgpr79
; %bb.70:
	s_and_not1_saveexec_b32 s4, s4
; %bb.71:
	v_and_b32_e32 v78, 0xffff, v79
	v_or_b32_e32 v83, 0x10000, v79
	s_delay_alu instid0(VALU_DEP_2) | instskip(NEXT) | instid1(VALU_DEP_2)
	v_cmp_eq_u32_e32 vcc_lo, 0, v78
	v_cndmask_b32_e32 v78, v83, v79, vcc_lo
; %bb.72:
	s_or_b32 exec_lo, exec_lo, s4
	v_and_b32_e32 v79, 0x7f800000, v70
	s_delay_alu instid0(VALU_DEP_1) | instskip(SKIP_1) | instid1(SALU_CYCLE_1)
	v_cmp_ne_u32_e32 vcc_lo, 0x7f800000, v79
                                        ; implicit-def: $vgpr79
	s_and_saveexec_b32 s4, vcc_lo
	s_xor_b32 s4, exec_lo, s4
; %bb.73:
	v_bfe_u32 v79, v70, 16, 1
	s_delay_alu instid0(VALU_DEP_1)
	v_add3_u32 v79, v70, v79, 0x7fff
                                        ; implicit-def: $vgpr70
; %bb.74:
	s_and_not1_saveexec_b32 s4, s4
; %bb.75:
	v_and_b32_e32 v79, 0xffff, v70
	v_or_b32_e32 v83, 0x10000, v70
	s_delay_alu instid0(VALU_DEP_2) | instskip(NEXT) | instid1(VALU_DEP_2)
	v_cmp_eq_u32_e32 vcc_lo, 0, v79
	v_cndmask_b32_e32 v79, v83, v70, vcc_lo
; %bb.76:
	s_or_b32 exec_lo, exec_lo, s4
	s_delay_alu instid0(VALU_DEP_1)
	v_perm_b32 v86, v79, v78, 0x7060302
	v_perm_b32 v85, v77, v82, 0x7060302
	;; [unrolled: 1-line block ×4, first 2 shown]
	v_lshl_or_b32 v82, v66, 11, v80
	ds_store_b128 v76, v[83:86] offset:1024
	s_waitcnt lgkmcnt(0)
	s_barrier
	buffer_gl0_inv
	ds_load_b128 v[69:72], v82
	ds_load_b128 v[83:86], v82 offset:16
	s_waitcnt lgkmcnt(1)
	v_lshrrev_b32_e32 v66, 16, v69
	s_waitcnt lgkmcnt(0)
	v_lshrrev_b32_e32 v91, 16, v83
	v_lshlrev_b32_e32 v78, 2, v74
	v_lshrrev_b32_e32 v95, 16, v70
	v_lshrrev_b32_e32 v98, 16, v84
	;; [unrolled: 1-line block ×4, first 2 shown]
	v_cmp_eq_u32_e32 vcc_lo, 1, v78
	v_lshrrev_b32_e32 v97, 16, v72
	v_lshrrev_b32_e32 v100, 16, v86
	v_cndmask_b32_e32 v87, v83, v91, vcc_lo
	v_or_b32_e32 v79, 1, v78
	v_cndmask_b32_e32 v81, v69, v66, vcc_lo
	v_cmp_eq_u32_e64 s5, 2, v78
	v_cmp_eq_u32_e64 s8, 3, v78
	;; [unrolled: 1-line block ×5, first 2 shown]
	v_cndmask_b32_e64 v81, v81, v70, s5
	v_cndmask_b32_e64 v87, v87, v84, s5
	v_cmp_eq_u32_e64 s9, 3, v79
	v_cndmask_b32_e64 v88, v69, v66, s4
	v_or_b32_e32 v77, 2, v78
	v_cndmask_b32_e64 v81, v81, v95, s8
	v_cndmask_b32_e64 v87, v87, v98, s8
	;; [unrolled: 1-line block ×4, first 2 shown]
	v_cmp_eq_u32_e64 s11, 5, v78
	v_cndmask_b32_e64 v81, v81, v71, s10
	v_cndmask_b32_e64 v87, v87, v85, s10
	v_cmp_eq_u32_e64 s12, 4, v79
	v_cndmask_b32_e64 v88, v88, v95, s9
	v_cmp_eq_u32_e64 s6, 1, v77
	v_cndmask_b32_e64 v89, v89, v84, s7
	v_cndmask_b32_e64 v81, v81, v96, s11
	v_cmp_eq_u32_e64 s13, 6, v78
	v_cndmask_b32_e64 v88, v88, v71, s12
	;; [unrolled: 3-line block ×3, first 2 shown]
	v_cndmask_b32_e64 v89, v89, v98, s9
	v_cndmask_b32_e64 v81, v81, v72, s13
	v_cmp_eq_u32_e64 s16, 7, v78
	v_cndmask_b32_e64 v88, v88, v96, s15
	v_cndmask_b32_e64 v87, v87, v86, s13
	v_cmp_eq_u32_e64 s17, 6, v79
	v_cmp_eq_u32_e64 s18, 2, v77
	v_cndmask_b32_e64 v89, v89, v85, s12
	v_cndmask_b32_e64 v101, v81, v97, s16
	v_cndmask_b32_e64 v102, v87, v100, s16
	v_cndmask_b32_e64 v88, v88, v72, s17
	v_cndmask_b32_e64 v81, v90, v70, s18
	v_cndmask_b32_e64 v87, v83, v91, s6
	v_cmp_eq_u32_e64 s19, 7, v79
	v_cmp_eq_u32_e64 s20, 3, v77
	v_cmp_eq_u32_e64 s21, 4, v77
	v_cmp_eq_u32_e64 s23, 5, v77
	v_cndmask_b32_e64 v87, v87, v84, s18
	v_cndmask_b32_e64 v103, v88, v97, s19
	;; [unrolled: 1-line block ×4, first 2 shown]
	v_or_b32_e32 v81, 3, v78
	v_cndmask_b32_e64 v93, v87, v98, s20
	v_cmp_eq_u32_e64 s25, 6, v77
	v_cndmask_b32_e64 v104, v88, v86, s17
	v_cndmask_b32_e64 v92, v89, v71, s21
	v_cmp_eq_u32_e64 s22, 1, v81
	ds_load_b128 v[87:90], v82 offset:1024
	v_cmp_eq_u32_e64 s24, 2, v81
	v_cmp_eq_u32_e64 s26, 3, v81
	v_cndmask_b32_e64 v105, v92, v96, s23
	v_cndmask_b32_e64 v66, v69, v66, s22
	;; [unrolled: 1-line block ×4, first 2 shown]
	ds_load_b128 v[91:94], v82 offset:1040
	v_cmp_eq_u32_e64 s27, 4, v81
	v_cndmask_b32_e64 v66, v66, v70, s24
	v_cmp_eq_u32_e64 s28, 7, v77
	v_cndmask_b32_e64 v70, v83, v84, s24
	v_cndmask_b32_e64 v84, v105, v72, s25
	v_cmp_eq_u32_e64 s29, 5, v81
	v_cndmask_b32_e64 v66, v66, v95, s26
	v_cmp_eq_u32_e64 s30, 6, v81
	v_cndmask_b32_e64 v70, v70, v98, s26
	v_cndmask_b32_e64 v69, v69, v99, s23
	;; [unrolled: 1-line block ×4, first 2 shown]
	s_waitcnt lgkmcnt(1)
	v_lshrrev_b32_e32 v95, 16, v87
	v_cndmask_b32_e64 v70, v70, v85, s27
	v_cndmask_b32_e64 v71, v84, v97, s28
	v_cndmask_b32_e64 v69, v69, v86, s25
	v_cndmask_b32_e64 v66, v66, v96, s29
	v_cndmask_b32_e32 v84, v87, v95, vcc_lo
	v_cndmask_b32_e64 v70, v70, v99, s29
	s_waitcnt lgkmcnt(0)
	v_lshrrev_b32_e32 v85, 16, v91
	v_lshrrev_b32_e32 v96, 16, v88
	v_cndmask_b32_e64 v98, v87, v95, s4
	v_cndmask_b32_e64 v84, v84, v88, s5
	;; [unrolled: 1-line block ×3, first 2 shown]
	v_cndmask_b32_e32 v99, v91, v85, vcc_lo
	v_cmp_eq_u32_e32 vcc_lo, 7, v81
	v_cndmask_b32_e64 v66, v66, v72, s30
	v_cndmask_b32_e64 v72, v84, v96, s8
	;; [unrolled: 1-line block ×3, first 2 shown]
	v_lshrrev_b32_e32 v98, 16, v92
	v_cndmask_b32_e32 v70, v70, v100, vcc_lo
	v_cndmask_b32_e64 v86, v99, v92, s5
	v_cndmask_b32_e64 v69, v69, v100, s28
	v_lshrrev_b32_e32 v100, 16, v93
	v_cndmask_b32_e64 v72, v72, v89, s10
	v_lshrrev_b32_e32 v99, 16, v89
	v_cndmask_b32_e64 v86, v86, v98, s8
	v_perm_b32 v71, v69, v71, 0x5040100
	v_cndmask_b32_e64 v84, v84, v96, s9
	s_delay_alu instid0(VALU_DEP_3) | instskip(NEXT) | instid1(VALU_DEP_2)
	v_cndmask_b32_e64 v86, v86, v93, s10
	v_cndmask_b32_e64 v84, v84, v89, s12
	s_delay_alu instid0(VALU_DEP_2) | instskip(NEXT) | instid1(VALU_DEP_1)
	v_cndmask_b32_e64 v86, v86, v100, s11
	v_cndmask_b32_e64 v69, v86, v94, s13
	;; [unrolled: 1-line block ×5, first 2 shown]
	s_delay_alu instid0(VALU_DEP_3) | instskip(NEXT) | instid1(VALU_DEP_3)
	v_cndmask_b32_e64 v86, v86, v88, s18
	v_cndmask_b32_e64 v87, v87, v88, s24
	s_delay_alu instid0(VALU_DEP_3) | instskip(NEXT) | instid1(VALU_DEP_3)
	v_cndmask_b32_e64 v88, v95, v92, s24
	v_cndmask_b32_e64 v86, v86, v96, s20
	;; [unrolled: 3-line block ×7, first 2 shown]
	s_delay_alu instid0(VALU_DEP_3) | instskip(SKIP_2) | instid1(VALU_DEP_2)
	v_cndmask_b32_e64 v88, v88, v94, s30
	v_cndmask_b32_e32 v66, v66, v97, vcc_lo
	v_cndmask_b32_e64 v97, v72, v99, s11
	v_perm_b32 v72, v70, v66, 0x5040100
	v_perm_b32 v70, v83, v103, 0x5040100
	v_cndmask_b32_e64 v103, v91, v85, s6
	v_cndmask_b32_e64 v85, v91, v85, s4
	;; [unrolled: 1-line block ×4, first 2 shown]
	v_lshrrev_b32_e32 v97, 16, v90
	v_cndmask_b32_e64 v91, v103, v92, s18
	v_cndmask_b32_e64 v85, v85, v92, s7
	;; [unrolled: 1-line block ×3, first 2 shown]
	s_mov_b32 s4, exec_lo
	v_cndmask_b32_e64 v83, v84, v97, s16
	v_cndmask_b32_e64 v91, v91, v98, s20
	v_cndmask_b32_e64 v85, v85, v98, s9
	v_lshrrev_b32_e32 v84, 16, v94
	v_cndmask_b32_e64 v66, v66, v97, s19
	v_cndmask_b32_e64 v90, v86, v97, s28
	;; [unrolled: 1-line block ×4, first 2 shown]
	v_dual_cndmask_b32 v86, v87, v97 :: v_dual_cndmask_b32 v87, v88, v84
	v_cndmask_b32_e64 v91, v69, v84, s16
	s_delay_alu instid0(VALU_DEP_4) | instskip(NEXT) | instid1(VALU_DEP_4)
	v_cndmask_b32_e64 v89, v89, v100, s23
	v_cndmask_b32_e64 v85, v85, v100, s15
	v_perm_b32 v69, v102, v101, 0x5040100
	v_perm_b32 v86, v87, v86, 0x5040100
	v_perm_b32 v83, v91, v83, 0x5040100
	v_cndmask_b32_e64 v89, v89, v94, s25
	v_cndmask_b32_e64 v85, v85, v94, s17
	s_mul_i32 s9, s37, 11
	s_delay_alu instid0(VALU_DEP_2) | instskip(NEXT) | instid1(VALU_DEP_2)
	v_cndmask_b32_e64 v88, v89, v84, s28
	v_cndmask_b32_e64 v89, v85, v84, s19
	s_delay_alu instid0(VALU_DEP_2) | instskip(NEXT) | instid1(VALU_DEP_2)
	v_perm_b32 v85, v88, v90, 0x5040100
	v_perm_b32 v84, v89, v66, 0x5040100
	ds_store_b128 v76, v[69:72]
	ds_store_b128 v76, v[83:86] offset:1024
	v_cmpx_gt_u32_e32 11, v0
	s_cbranch_execz .LBB1672_78
; %bb.77:
	s_mul_i32 s5, s9, s34
	s_load_b128 s[16:19], s[0:1], 0x58
	v_add3_u32 v69, s5, s31, v65
	s_delay_alu instid0(VALU_DEP_1) | instskip(NEXT) | instid1(VALU_DEP_1)
	v_mad_u64_u32 v[65:66], null, v69, s36, s[14:15]
	v_ashrrev_i32_e32 v66, 31, v65
	s_delay_alu instid0(VALU_DEP_1) | instskip(SKIP_1) | instid1(VALU_DEP_1)
	v_lshlrev_b64 v[65:66], 2, v[65:66]
	s_waitcnt lgkmcnt(0)
	v_add_co_u32 v69, vcc_lo, s18, v65
	s_delay_alu instid0(VALU_DEP_2)
	v_add_co_ci_u32_e32 v70, vcc_lo, s19, v66, vcc_lo
	v_add_co_u32 v65, vcc_lo, s16, v65
	v_add_co_ci_u32_e32 v66, vcc_lo, s17, v66, vcc_lo
	global_store_b32 v[69:70], v67, off
	global_store_b32 v[65:66], v68, off
.LBB1672_78:
	s_or_b32 exec_lo, exec_lo, s4
	s_waitcnt lgkmcnt(0)
	s_waitcnt_vscnt null, 0x0
	s_barrier
	buffer_gl0_inv
	ds_load_b128 v[83:86], v80
	ds_load_b128 v[87:90], v80 offset:16
	ds_load_b128 v[95:98], v80 offset:2064
	;; [unrolled: 1-line block ×3, first 2 shown]
	v_mov_b32_e32 v65, 0
	ds_load_b128 v[103:106], v80 offset:4112
	ds_load_b128 v[99:102], v80 offset:4096
	;; [unrolled: 1-line block ×4, first 2 shown]
	v_mov_b32_e32 v66, v65
	v_mov_b32_e32 v67, v65
	v_mov_b32_e32 v68, v65
	v_mov_b32_e32 v69, v65
	v_mov_b32_e32 v70, v65
	v_mov_b32_e32 v71, v65
	v_mov_b32_e32 v72, v65
	s_waitcnt lgkmcnt(6)
	s_delay_alu instid0(VALU_DEP_1)
	v_wmma_f32_16x16x16_bf16 v[65:72], v[57:64], v[83:90], v[65:72]
	ds_load_b128 v[61:64], v80 offset:8208
	ds_load_b128 v[57:60], v80 offset:8192
	s_waitcnt lgkmcnt(6)
	v_wmma_f32_16x16x16_bf16 v[65:72], v[41:48], v[91:98], v[65:72]
	ds_load_b128 v[45:48], v80 offset:10256
	ds_load_b128 v[41:44], v80 offset:10240
	s_waitcnt lgkmcnt(6)
	;; [unrolled: 4-line block ×4, first 2 shown]
	v_wmma_f32_16x16x16_bf16 v[65:72], v[1:8], v[57:64], v[65:72]
	s_waitcnt lgkmcnt(4)
	s_delay_alu instid0(VALU_DEP_1) | instskip(SKIP_1) | instid1(VALU_DEP_1)
	v_wmma_f32_16x16x16_bf16 v[65:72], v[9:16], v[41:48], v[65:72]
	s_waitcnt lgkmcnt(2)
	v_wmma_f32_16x16x16_bf16 v[65:72], v[17:24], v[33:40], v[65:72]
	s_waitcnt lgkmcnt(0)
	s_delay_alu instid0(VALU_DEP_1) | instskip(NEXT) | instid1(VALU_DEP_1)
	v_wmma_f32_16x16x16_bf16 v[65:72], v[49:56], v[25:32], v[65:72]
	v_and_b32_e32 v1, 0x7f800000, v65
	s_delay_alu instid0(VALU_DEP_1) | instskip(SKIP_1) | instid1(SALU_CYCLE_1)
	v_cmp_ne_u32_e32 vcc_lo, 0x7f800000, v1
                                        ; implicit-def: $vgpr1
	s_and_saveexec_b32 s4, vcc_lo
	s_xor_b32 s4, exec_lo, s4
; %bb.79:
	v_bfe_u32 v1, v65, 16, 1
	s_delay_alu instid0(VALU_DEP_1)
	v_add3_u32 v1, v65, v1, 0x7fff
; %bb.80:
	s_and_not1_saveexec_b32 s4, s4
; %bb.81:
	v_and_b32_e32 v1, 0xffff, v65
	v_or_b32_e32 v2, 0x10000, v65
	s_delay_alu instid0(VALU_DEP_2) | instskip(NEXT) | instid1(VALU_DEP_2)
	v_cmp_eq_u32_e32 vcc_lo, 0, v1
	v_cndmask_b32_e32 v1, v2, v65, vcc_lo
; %bb.82:
	s_or_b32 exec_lo, exec_lo, s4
	v_and_b32_e32 v2, 0x7f800000, v66
	s_delay_alu instid0(VALU_DEP_1) | instskip(SKIP_1) | instid1(SALU_CYCLE_1)
	v_cmp_ne_u32_e32 vcc_lo, 0x7f800000, v2
                                        ; implicit-def: $vgpr2
	s_and_saveexec_b32 s4, vcc_lo
	s_xor_b32 s4, exec_lo, s4
; %bb.83:
	v_bfe_u32 v2, v66, 16, 1
	s_delay_alu instid0(VALU_DEP_1)
	v_add3_u32 v2, v66, v2, 0x7fff
; %bb.84:
	s_and_not1_saveexec_b32 s4, s4
; %bb.85:
	v_and_b32_e32 v2, 0xffff, v66
	v_or_b32_e32 v3, 0x10000, v66
	s_delay_alu instid0(VALU_DEP_2) | instskip(NEXT) | instid1(VALU_DEP_2)
	v_cmp_eq_u32_e32 vcc_lo, 0, v2
	v_cndmask_b32_e32 v2, v3, v66, vcc_lo
; %bb.86:
	s_or_b32 exec_lo, exec_lo, s4
	v_and_b32_e32 v3, 0x7f800000, v67
	s_delay_alu instid0(VALU_DEP_1) | instskip(SKIP_1) | instid1(SALU_CYCLE_1)
	v_cmp_ne_u32_e32 vcc_lo, 0x7f800000, v3
                                        ; implicit-def: $vgpr3
	s_and_saveexec_b32 s4, vcc_lo
	s_xor_b32 s4, exec_lo, s4
; %bb.87:
	v_bfe_u32 v3, v67, 16, 1
	s_delay_alu instid0(VALU_DEP_1)
	v_add3_u32 v3, v67, v3, 0x7fff
; %bb.88:
	s_and_not1_saveexec_b32 s4, s4
; %bb.89:
	v_and_b32_e32 v3, 0xffff, v67
	v_or_b32_e32 v4, 0x10000, v67
	s_delay_alu instid0(VALU_DEP_2) | instskip(NEXT) | instid1(VALU_DEP_2)
	v_cmp_eq_u32_e32 vcc_lo, 0, v3
	v_cndmask_b32_e32 v3, v4, v67, vcc_lo
; %bb.90:
	s_or_b32 exec_lo, exec_lo, s4
	v_and_b32_e32 v4, 0x7f800000, v68
	s_delay_alu instid0(VALU_DEP_1) | instskip(SKIP_1) | instid1(SALU_CYCLE_1)
	v_cmp_ne_u32_e32 vcc_lo, 0x7f800000, v4
                                        ; implicit-def: $vgpr4
	s_and_saveexec_b32 s4, vcc_lo
	s_xor_b32 s4, exec_lo, s4
; %bb.91:
	v_bfe_u32 v4, v68, 16, 1
	s_delay_alu instid0(VALU_DEP_1)
	v_add3_u32 v4, v68, v4, 0x7fff
; %bb.92:
	s_and_not1_saveexec_b32 s4, s4
; %bb.93:
	v_and_b32_e32 v4, 0xffff, v68
	v_or_b32_e32 v5, 0x10000, v68
	s_delay_alu instid0(VALU_DEP_2) | instskip(NEXT) | instid1(VALU_DEP_2)
	v_cmp_eq_u32_e32 vcc_lo, 0, v4
	v_cndmask_b32_e32 v4, v5, v68, vcc_lo
; %bb.94:
	s_or_b32 exec_lo, exec_lo, s4
	v_and_b32_e32 v5, 0x7f800000, v69
	s_delay_alu instid0(VALU_DEP_1) | instskip(SKIP_1) | instid1(SALU_CYCLE_1)
	v_cmp_ne_u32_e32 vcc_lo, 0x7f800000, v5
                                        ; implicit-def: $vgpr5
	s_and_saveexec_b32 s4, vcc_lo
	s_xor_b32 s4, exec_lo, s4
; %bb.95:
	v_bfe_u32 v5, v69, 16, 1
	s_delay_alu instid0(VALU_DEP_1)
	v_add3_u32 v5, v69, v5, 0x7fff
; %bb.96:
	s_and_not1_saveexec_b32 s4, s4
; %bb.97:
	v_and_b32_e32 v5, 0xffff, v69
	v_or_b32_e32 v6, 0x10000, v69
	s_delay_alu instid0(VALU_DEP_2) | instskip(NEXT) | instid1(VALU_DEP_2)
	v_cmp_eq_u32_e32 vcc_lo, 0, v5
	v_cndmask_b32_e32 v5, v6, v69, vcc_lo
; %bb.98:
	s_or_b32 exec_lo, exec_lo, s4
	v_and_b32_e32 v6, 0x7f800000, v70
	s_delay_alu instid0(VALU_DEP_1) | instskip(SKIP_1) | instid1(SALU_CYCLE_1)
	v_cmp_ne_u32_e32 vcc_lo, 0x7f800000, v6
                                        ; implicit-def: $vgpr6
	s_and_saveexec_b32 s4, vcc_lo
	s_xor_b32 s4, exec_lo, s4
; %bb.99:
	v_bfe_u32 v6, v70, 16, 1
	s_delay_alu instid0(VALU_DEP_1)
	v_add3_u32 v6, v70, v6, 0x7fff
; %bb.100:
	s_and_not1_saveexec_b32 s4, s4
; %bb.101:
	v_and_b32_e32 v6, 0xffff, v70
	v_or_b32_e32 v7, 0x10000, v70
	s_delay_alu instid0(VALU_DEP_2) | instskip(NEXT) | instid1(VALU_DEP_2)
	v_cmp_eq_u32_e32 vcc_lo, 0, v6
	v_cndmask_b32_e32 v6, v7, v70, vcc_lo
; %bb.102:
	s_or_b32 exec_lo, exec_lo, s4
	v_and_b32_e32 v7, 0x7f800000, v71
	s_delay_alu instid0(VALU_DEP_1) | instskip(SKIP_1) | instid1(SALU_CYCLE_1)
	v_cmp_ne_u32_e32 vcc_lo, 0x7f800000, v7
                                        ; implicit-def: $vgpr7
	s_and_saveexec_b32 s4, vcc_lo
	s_xor_b32 s4, exec_lo, s4
; %bb.103:
	v_bfe_u32 v7, v71, 16, 1
	s_delay_alu instid0(VALU_DEP_1)
	v_add3_u32 v7, v71, v7, 0x7fff
; %bb.104:
	s_and_not1_saveexec_b32 s4, s4
; %bb.105:
	v_and_b32_e32 v7, 0xffff, v71
	v_or_b32_e32 v8, 0x10000, v71
	s_delay_alu instid0(VALU_DEP_2) | instskip(NEXT) | instid1(VALU_DEP_2)
	v_cmp_eq_u32_e32 vcc_lo, 0, v7
	v_cndmask_b32_e32 v7, v8, v71, vcc_lo
; %bb.106:
	s_or_b32 exec_lo, exec_lo, s4
	v_and_b32_e32 v8, 0x7f800000, v72
	s_delay_alu instid0(VALU_DEP_1) | instskip(SKIP_1) | instid1(SALU_CYCLE_1)
	v_cmp_ne_u32_e32 vcc_lo, 0x7f800000, v8
                                        ; implicit-def: $vgpr8
	s_and_saveexec_b32 s4, vcc_lo
	s_xor_b32 s4, exec_lo, s4
; %bb.107:
	v_bfe_u32 v8, v72, 16, 1
	s_delay_alu instid0(VALU_DEP_1)
	v_add3_u32 v8, v72, v8, 0x7fff
                                        ; implicit-def: $vgpr65_vgpr66_vgpr67_vgpr68_vgpr69_vgpr70_vgpr71_vgpr72
; %bb.108:
	s_and_not1_saveexec_b32 s4, s4
; %bb.109:
	v_and_b32_e32 v8, 0xffff, v72
	v_or_b32_e32 v9, 0x10000, v72
	s_delay_alu instid0(VALU_DEP_2) | instskip(NEXT) | instid1(VALU_DEP_2)
	v_cmp_eq_u32_e32 vcc_lo, 0, v8
	v_cndmask_b32_e32 v8, v9, v72, vcc_lo
; %bb.110:
	s_or_b32 exec_lo, exec_lo, s4
	s_delay_alu instid0(VALU_DEP_1)
	v_perm_b32 v7, v8, v7, 0x7060302
	v_perm_b32 v6, v6, v5, 0x7060302
	;; [unrolled: 1-line block ×4, first 2 shown]
	s_barrier
	buffer_gl0_inv
	v_cmp_eq_u32_e32 vcc_lo, 1, v78
	ds_store_b128 v76, v[4:7]
	s_waitcnt lgkmcnt(0)
	s_barrier
	buffer_gl0_inv
	ds_load_b128 v[1:4], v82
	ds_load_b128 v[5:8], v82 offset:16
	v_cmp_eq_u32_e64 s4, 1, v79
	v_cmp_eq_u32_e64 s5, 2, v78
	v_cmp_eq_u32_e64 s6, 3, v78
	v_cmp_eq_u32_e64 s8, 2, v77
	v_cmp_eq_u32_e64 s7, 7, v79
	s_waitcnt lgkmcnt(1)
	v_lshrrev_b32_e32 v9, 16, v1
	s_waitcnt lgkmcnt(0)
	v_lshrrev_b32_e32 v13, 16, v5
	v_lshrrev_b32_e32 v10, 16, v2
	;; [unrolled: 1-line block ×4, first 2 shown]
	v_cndmask_b32_e64 v19, v1, v9, s4
	v_cndmask_b32_e32 v18, v5, v13, vcc_lo
	v_cndmask_b32_e64 v20, v5, v13, s4
	v_cndmask_b32_e32 v17, v1, v9, vcc_lo
	v_cmp_eq_u32_e32 vcc_lo, 2, v79
	v_lshrrev_b32_e32 v15, 16, v7
	v_cmp_eq_u32_e64 s4, 1, v77
	v_lshrrev_b32_e32 v12, 16, v4
	v_lshrrev_b32_e32 v16, 16, v8
	v_cndmask_b32_e32 v20, v20, v6, vcc_lo
	v_cndmask_b32_e64 v17, v17, v2, s5
	v_cndmask_b32_e32 v19, v19, v2, vcc_lo
	v_cndmask_b32_e64 v18, v18, v6, s5
	v_cmp_eq_u32_e32 vcc_lo, 4, v78
	v_cmp_eq_u32_e64 s5, 3, v79
	v_cndmask_b32_e64 v17, v17, v10, s6
	v_cndmask_b32_e64 v21, v1, v9, s4
	v_cndmask_b32_e64 v18, v18, v14, s6
	v_cndmask_b32_e64 v22, v5, v13, s4
	v_cndmask_b32_e64 v19, v19, v10, s5
	v_cndmask_b32_e32 v17, v17, v3, vcc_lo
	v_cndmask_b32_e64 v20, v20, v14, s5
	v_cndmask_b32_e32 v18, v18, v7, vcc_lo
	v_cmp_eq_u32_e32 vcc_lo, 4, v79
	v_cmp_eq_u32_e64 s5, 5, v79
	v_cmp_eq_u32_e64 s4, 2, v81
	v_cndmask_b32_e64 v21, v21, v2, s8
	v_cmp_eq_u32_e64 s6, 5, v78
	v_cndmask_b32_e32 v19, v19, v3, vcc_lo
	v_cndmask_b32_e32 v20, v20, v7, vcc_lo
	v_cmp_eq_u32_e32 vcc_lo, 6, v79
	s_delay_alu instid0(VALU_DEP_4) | instskip(NEXT) | instid1(VALU_DEP_4)
	v_cndmask_b32_e64 v17, v17, v11, s6
	v_cndmask_b32_e64 v19, v19, v11, s5
	s_delay_alu instid0(VALU_DEP_4) | instskip(SKIP_1) | instid1(VALU_DEP_3)
	v_cndmask_b32_e64 v20, v20, v15, s5
	v_cmp_eq_u32_e64 s5, 1, v81
	v_cndmask_b32_e32 v19, v19, v4, vcc_lo
	v_cndmask_b32_e64 v18, v18, v15, s6
	s_delay_alu instid0(VALU_DEP_3)
	v_cndmask_b32_e64 v1, v1, v9, s5
	v_cndmask_b32_e64 v5, v5, v13, s5
	v_cmp_eq_u32_e64 s5, 3, v77
	v_cndmask_b32_e64 v13, v22, v6, s8
	v_cmp_eq_u32_e64 s8, 3, v81
	v_cndmask_b32_e64 v1, v1, v2, s4
	v_cndmask_b32_e64 v2, v5, v6, s4
	v_cndmask_b32_e64 v9, v21, v10, s5
	v_cmp_eq_u32_e64 s4, 4, v77
	v_cndmask_b32_e64 v6, v13, v14, s5
	v_cndmask_b32_e64 v1, v1, v10, s8
	v_cmp_eq_u32_e64 s5, 4, v81
	v_cndmask_b32_e64 v2, v2, v14, s8
	v_cndmask_b32_e64 v5, v9, v3, s4
	;; [unrolled: 3-line block ×3, first 2 shown]
	v_cndmask_b32_e64 v2, v2, v7, s5
	v_cmp_eq_u32_e64 s4, 5, v81
	v_cmp_eq_u32_e64 s6, 6, v78
	v_cndmask_b32_e64 v5, v5, v11, s8
	v_cmp_eq_u32_e64 s5, 6, v77
	v_cndmask_b32_e64 v3, v6, v15, s8
	v_cndmask_b32_e64 v1, v1, v11, s4
	v_cmp_eq_u32_e64 s8, 6, v81
	v_cndmask_b32_e64 v2, v2, v15, s4
	v_cndmask_b32_e64 v17, v17, v4, s6
	v_cndmask_b32_e64 v18, v18, v8, s6
	v_cmp_eq_u32_e64 s6, 7, v78
	v_cndmask_b32_e64 v5, v5, v4, s5
	;; [unrolled: 4-line block ×3, first 2 shown]
	v_cmp_eq_u32_e64 s5, 7, v77
	v_cndmask_b32_e32 v4, v20, v8, vcc_lo
	v_cndmask_b32_e64 v17, v17, v12, s6
	v_cndmask_b32_e64 v19, v19, v12, s7
	;; [unrolled: 1-line block ×8, first 2 shown]
	v_cmp_gt_u32_e32 vcc_lo, 32, v0
	v_perm_b32 v4, v2, v1, 0x5040100
	v_perm_b32 v3, v3, v5, 0x5040100
	;; [unrolled: 1-line block ×4, first 2 shown]
	s_and_b32 s2, vcc_lo, s2
	ds_store_b128 v76, v[1:4]
	s_waitcnt lgkmcnt(0)
	s_barrier
	buffer_gl0_inv
	s_and_saveexec_b32 s4, s2
	s_cbranch_execz .LBB1672_2
; %bb.111:
	s_load_b64 s[4:5], s[0:1], 0x68
	v_lshlrev_b32_e32 v0, 10, v0
	v_lshlrev_b32_e32 v1, 4, v75
	s_lshl_b32 s0, s36, 6
	v_add_nc_u32_e32 v7, s31, v74
	s_mul_i32 s1, s0, s34
	s_delay_alu instid0(SALU_CYCLE_1) | instskip(SKIP_1) | instid1(VALU_DEP_2)
	s_mul_i32 s6, s1, s9
	v_and_or_b32 v0, 0x3800, v0, v1
	v_mul_lo_u32 v1, v7, s0
	v_add_nc_u32_e32 v2, 2, v7
	s_ashr_i32 s7, s6, 31
	v_add_nc_u32_e32 v4, 4, v7
	s_lshl_b64 s[6:7], s[6:7], 1
	v_add_nc_u32_e32 v8, 6, v7
	v_mul_lo_u32 v3, v2, s0
	v_lshl_or_b32 v19, v74, 6, v0
	v_ashrrev_i32_e32 v2, 31, v1
	v_mul_lo_u32 v11, v4, s0
	v_mul_lo_u32 v25, v8, s0
	s_waitcnt lgkmcnt(0)
	s_add_u32 s1, s4, s6
	s_addc_u32 s2, s5, s7
	s_lshl_b32 s4, s14, 6
	v_lshlrev_b64 v[5:6], 1, v[1:2]
	s_ashr_i32 s5, s4, 31
	v_ashrrev_i32_e32 v4, 31, v3
	s_lshl_b64 s[4:5], s[4:5], 1
	v_ashrrev_i32_e32 v12, 31, v11
	s_add_u32 s1, s1, s4
	s_addc_u32 s2, s2, s5
	v_add_co_u32 v1, s1, s1, v73
	s_delay_alu instid0(VALU_DEP_1) | instskip(SKIP_1) | instid1(VALU_DEP_3)
	v_add_co_ci_u32_e64 v2, null, s2, 0, s1
	v_lshlrev_b64 v[3:4], 1, v[3:4]
	v_add_co_u32 v23, vcc_lo, v1, v5
	v_add_nc_u32_e32 v5, 8, v7
	s_delay_alu instid0(VALU_DEP_4) | instskip(NEXT) | instid1(VALU_DEP_4)
	v_add_co_ci_u32_e32 v24, vcc_lo, v2, v6, vcc_lo
	v_add_co_u32 v27, vcc_lo, v1, v3
	s_delay_alu instid0(VALU_DEP_3)
	v_mul_lo_u32 v29, v5, s0
	v_add_co_ci_u32_e32 v28, vcc_lo, v2, v4, vcc_lo
	ds_load_b128 v[3:6], v19
	ds_load_b128 v[7:10], v19 offset:128
	v_lshlrev_b64 v[31:32], 1, v[11:12]
	ds_load_b128 v[11:14], v19 offset:256
	ds_load_b128 v[15:18], v19 offset:384
	;; [unrolled: 1-line block ×3, first 2 shown]
	v_ashrrev_i32_e32 v26, 31, v25
	v_ashrrev_i32_e32 v30, 31, v29
	v_add_co_u32 v31, vcc_lo, v1, v31
	s_delay_alu instid0(VALU_DEP_3) | instskip(NEXT) | instid1(VALU_DEP_3)
	v_lshlrev_b64 v[25:26], 1, v[25:26]
	v_lshlrev_b64 v[29:30], 1, v[29:30]
	v_add_co_ci_u32_e32 v32, vcc_lo, v2, v32, vcc_lo
	s_delay_alu instid0(VALU_DEP_3) | instskip(NEXT) | instid1(VALU_DEP_4)
	v_add_co_u32 v25, vcc_lo, v1, v25
	v_add_co_ci_u32_e32 v26, vcc_lo, v2, v26, vcc_lo
	s_delay_alu instid0(VALU_DEP_4)
	v_add_co_u32 v29, vcc_lo, v1, v29
	v_add_co_ci_u32_e32 v30, vcc_lo, v2, v30, vcc_lo
	s_waitcnt lgkmcnt(4)
	global_store_b128 v[23:24], v[3:6], off
	s_waitcnt lgkmcnt(3)
	global_store_b128 v[27:28], v[7:10], off
	;; [unrolled: 2-line block ×5, first 2 shown]
	s_and_b32 exec_lo, exec_lo, s3
	s_cbranch_execz .LBB1672_2
; %bb.112:
	ds_load_b128 v[3:6], v0 offset:640
	s_add_i32 s1, s31, 10
	s_delay_alu instid0(SALU_CYCLE_1) | instskip(NEXT) | instid1(SALU_CYCLE_1)
	s_mul_i32 s0, s1, s0
	s_ashr_i32 s1, s0, 31
	s_delay_alu instid0(SALU_CYCLE_1) | instskip(NEXT) | instid1(SALU_CYCLE_1)
	s_lshl_b64 s[0:1], s[0:1], 1
	v_add_co_u32 v0, vcc_lo, v1, s0
	v_add_co_ci_u32_e32 v1, vcc_lo, s1, v2, vcc_lo
	s_waitcnt lgkmcnt(0)
	global_store_b128 v[0:1], v[3:6], off
	s_nop 0
	s_sendmsg sendmsg(MSG_DEALLOC_VGPRS)
	s_endpgm
	.section	.rodata,"a",@progbits
	.p2align	6, 0x0
	.amdhsa_kernel _Z39paged_attention_ll4mi_QKV_mfma16_kernelI14__hip_bfloat16hLN4vllm18Fp8KVCacheDataTypeE1EhLi16ELi64ELi256ELb1ELi11EL8MFMAType0EEvPKT_PKT0_S9_ifPKiSB_SB_iPKfiiiPfSE_PS4_PT2_iSD_SD_
		.amdhsa_group_segment_fixed_size 17472
		.amdhsa_private_segment_fixed_size 0
		.amdhsa_kernarg_size 400
		.amdhsa_user_sgpr_count 13
		.amdhsa_user_sgpr_dispatch_ptr 0
		.amdhsa_user_sgpr_queue_ptr 0
		.amdhsa_user_sgpr_kernarg_segment_ptr 1
		.amdhsa_user_sgpr_dispatch_id 0
		.amdhsa_user_sgpr_private_segment_size 0
		.amdhsa_wavefront_size32 1
		.amdhsa_uses_dynamic_stack 0
		.amdhsa_enable_private_segment 0
		.amdhsa_system_sgpr_workgroup_id_x 1
		.amdhsa_system_sgpr_workgroup_id_y 1
		.amdhsa_system_sgpr_workgroup_id_z 1
		.amdhsa_system_sgpr_workgroup_info 0
		.amdhsa_system_vgpr_workitem_id 0
		.amdhsa_next_free_vgpr 124
		.amdhsa_next_free_sgpr 40
		.amdhsa_reserve_vcc 1
		.amdhsa_float_round_mode_32 0
		.amdhsa_float_round_mode_16_64 0
		.amdhsa_float_denorm_mode_32 3
		.amdhsa_float_denorm_mode_16_64 3
		.amdhsa_dx10_clamp 1
		.amdhsa_ieee_mode 1
		.amdhsa_fp16_overflow 0
		.amdhsa_workgroup_processor_mode 1
		.amdhsa_memory_ordered 1
		.amdhsa_forward_progress 0
		.amdhsa_shared_vgpr_count 0
		.amdhsa_exception_fp_ieee_invalid_op 0
		.amdhsa_exception_fp_denorm_src 0
		.amdhsa_exception_fp_ieee_div_zero 0
		.amdhsa_exception_fp_ieee_overflow 0
		.amdhsa_exception_fp_ieee_underflow 0
		.amdhsa_exception_fp_ieee_inexact 0
		.amdhsa_exception_int_div_zero 0
	.end_amdhsa_kernel
	.section	.text._Z39paged_attention_ll4mi_QKV_mfma16_kernelI14__hip_bfloat16hLN4vllm18Fp8KVCacheDataTypeE1EhLi16ELi64ELi256ELb1ELi11EL8MFMAType0EEvPKT_PKT0_S9_ifPKiSB_SB_iPKfiiiPfSE_PS4_PT2_iSD_SD_,"axG",@progbits,_Z39paged_attention_ll4mi_QKV_mfma16_kernelI14__hip_bfloat16hLN4vllm18Fp8KVCacheDataTypeE1EhLi16ELi64ELi256ELb1ELi11EL8MFMAType0EEvPKT_PKT0_S9_ifPKiSB_SB_iPKfiiiPfSE_PS4_PT2_iSD_SD_,comdat
.Lfunc_end1672:
	.size	_Z39paged_attention_ll4mi_QKV_mfma16_kernelI14__hip_bfloat16hLN4vllm18Fp8KVCacheDataTypeE1EhLi16ELi64ELi256ELb1ELi11EL8MFMAType0EEvPKT_PKT0_S9_ifPKiSB_SB_iPKfiiiPfSE_PS4_PT2_iSD_SD_, .Lfunc_end1672-_Z39paged_attention_ll4mi_QKV_mfma16_kernelI14__hip_bfloat16hLN4vllm18Fp8KVCacheDataTypeE1EhLi16ELi64ELi256ELb1ELi11EL8MFMAType0EEvPKT_PKT0_S9_ifPKiSB_SB_iPKfiiiPfSE_PS4_PT2_iSD_SD_
                                        ; -- End function
	.section	.AMDGPU.csdata,"",@progbits
; Kernel info:
; codeLenInByte = 8856
; NumSgprs: 42
; NumVgprs: 124
; ScratchSize: 0
; MemoryBound: 0
; FloatMode: 240
; IeeeMode: 1
; LDSByteSize: 17472 bytes/workgroup (compile time only)
; SGPRBlocks: 5
; VGPRBlocks: 15
; NumSGPRsForWavesPerEU: 42
; NumVGPRsForWavesPerEU: 124
; Occupancy: 10
; WaveLimiterHint : 1
; COMPUTE_PGM_RSRC2:SCRATCH_EN: 0
; COMPUTE_PGM_RSRC2:USER_SGPR: 13
; COMPUTE_PGM_RSRC2:TRAP_HANDLER: 0
; COMPUTE_PGM_RSRC2:TGID_X_EN: 1
; COMPUTE_PGM_RSRC2:TGID_Y_EN: 1
; COMPUTE_PGM_RSRC2:TGID_Z_EN: 1
; COMPUTE_PGM_RSRC2:TIDIG_COMP_CNT: 0
	.section	.text._Z39paged_attention_ll4mi_QKV_mfma16_kernelI14__hip_bfloat16hLN4vllm18Fp8KVCacheDataTypeE1EhLi16ELi64ELi256ELb1ELi12EL8MFMAType0EEvPKT_PKT0_S9_ifPKiSB_SB_iPKfiiiPfSE_PS4_PT2_iSD_SD_,"axG",@progbits,_Z39paged_attention_ll4mi_QKV_mfma16_kernelI14__hip_bfloat16hLN4vllm18Fp8KVCacheDataTypeE1EhLi16ELi64ELi256ELb1ELi12EL8MFMAType0EEvPKT_PKT0_S9_ifPKiSB_SB_iPKfiiiPfSE_PS4_PT2_iSD_SD_,comdat
	.protected	_Z39paged_attention_ll4mi_QKV_mfma16_kernelI14__hip_bfloat16hLN4vllm18Fp8KVCacheDataTypeE1EhLi16ELi64ELi256ELb1ELi12EL8MFMAType0EEvPKT_PKT0_S9_ifPKiSB_SB_iPKfiiiPfSE_PS4_PT2_iSD_SD_ ; -- Begin function _Z39paged_attention_ll4mi_QKV_mfma16_kernelI14__hip_bfloat16hLN4vllm18Fp8KVCacheDataTypeE1EhLi16ELi64ELi256ELb1ELi12EL8MFMAType0EEvPKT_PKT0_S9_ifPKiSB_SB_iPKfiiiPfSE_PS4_PT2_iSD_SD_
	.globl	_Z39paged_attention_ll4mi_QKV_mfma16_kernelI14__hip_bfloat16hLN4vllm18Fp8KVCacheDataTypeE1EhLi16ELi64ELi256ELb1ELi12EL8MFMAType0EEvPKT_PKT0_S9_ifPKiSB_SB_iPKfiiiPfSE_PS4_PT2_iSD_SD_
	.p2align	8
	.type	_Z39paged_attention_ll4mi_QKV_mfma16_kernelI14__hip_bfloat16hLN4vllm18Fp8KVCacheDataTypeE1EhLi16ELi64ELi256ELb1ELi12EL8MFMAType0EEvPKT_PKT0_S9_ifPKiSB_SB_iPKfiiiPfSE_PS4_PT2_iSD_SD_,@function
_Z39paged_attention_ll4mi_QKV_mfma16_kernelI14__hip_bfloat16hLN4vllm18Fp8KVCacheDataTypeE1EhLi16ELi64ELi256ELb1ELi12EL8MFMAType0EEvPKT_PKT0_S9_ifPKiSB_SB_iPKfiiiPfSE_PS4_PT2_iSD_SD_: ; @_Z39paged_attention_ll4mi_QKV_mfma16_kernelI14__hip_bfloat16hLN4vllm18Fp8KVCacheDataTypeE1EhLi16ELi64ELi256ELb1ELi12EL8MFMAType0EEvPKT_PKT0_S9_ifPKiSB_SB_iPKfiiiPfSE_PS4_PT2_iSD_SD_
; %bb.0:
	s_load_b64 s[2:3], s[0:1], 0x30
	s_mov_b32 s30, s13
	s_waitcnt lgkmcnt(0)
	s_cmp_lg_u64 s[2:3], 0
	s_cselect_b32 s8, -1, 0
	s_ashr_i32 s31, s13, 31
	s_cmp_eq_u64 s[2:3], 0
	s_cbranch_scc1 .LBB1673_3
; %bb.1:
	s_lshl_b64 s[4:5], s[30:31], 2
	s_delay_alu instid0(SALU_CYCLE_1) | instskip(SKIP_4) | instid1(SALU_CYCLE_1)
	s_add_u32 s4, s2, s4
	s_addc_u32 s5, s3, s5
	s_load_b64 s[4:5], s[4:5], 0x0
	s_waitcnt lgkmcnt(0)
	s_sub_i32 s4, s5, s4
	s_cmp_eq_u32 s4, 1
	s_cselect_b32 s4, -1, 0
	s_delay_alu instid0(SALU_CYCLE_1)
	s_and_not1_b32 vcc_lo, exec_lo, s4
	s_cbranch_vccz .LBB1673_4
.LBB1673_2:
	s_endpgm
.LBB1673_3:
.LBB1673_4:
	s_load_b64 s[4:5], s[0:1], 0x28
	s_lshl_b64 s[6:7], s[30:31], 2
	s_waitcnt lgkmcnt(0)
	s_add_u32 s4, s4, s6
	s_addc_u32 s5, s5, s7
	s_lshl_b32 s12, s14, 8
	s_load_b32 s24, s[4:5], 0x0
	s_waitcnt lgkmcnt(0)
	s_cmp_ge_i32 s12, s24
	s_cbranch_scc1 .LBB1673_2
; %bb.5:
	s_clause 0x1
	s_load_b128 s[20:23], s[0:1], 0x8
	s_load_b64 s[4:5], s[0:1], 0x20
	s_and_not1_b32 vcc_lo, exec_lo, s8
	s_cbranch_vccnz .LBB1673_7
; %bb.6:
	s_add_u32 s2, s2, s6
	s_addc_u32 s3, s3, s7
	s_load_b32 s3, s[2:3], 0x0
	s_branch .LBB1673_8
.LBB1673_7:
	s_mov_b32 s3, s30
.LBB1673_8:
	s_load_b128 s[16:19], s[0:1], 0x48
	v_and_b32_e32 v65, 15, v0
	v_cmp_gt_u32_e32 vcc_lo, 0xc0, v0
	v_lshrrev_b32_e32 v66, 5, v0
	v_and_b32_e32 v67, 31, v0
	v_and_b32_e32 v75, 1, v0
	v_lshlrev_b32_e32 v1, 3, v65
	v_cmp_gt_u32_e64 s2, 8, v65
	v_bfe_u32 v74, v0, 4, 1
	s_mul_i32 s31, s15, 12
	s_delay_alu instid0(VALU_DEP_3) | instskip(NEXT) | instid1(VALU_DEP_3)
	v_lshlrev_b32_e32 v73, 1, v1
	s_and_b32 s7, vcc_lo, s2
	s_delay_alu instid0(SALU_CYCLE_1)
	s_and_saveexec_b32 s6, s7
	s_cbranch_execz .LBB1673_10
; %bb.9:
	s_load_b64 s[8:9], s[0:1], 0x0
	v_lshl_or_b32 v5, v66, 1, v74
	s_waitcnt lgkmcnt(0)
	s_mul_hi_i32 s11, s3, s16
	s_mul_i32 s10, s3, s16
	v_lshlrev_b32_e32 v6, 10, v65
	s_lshl_b64 s[10:11], s[10:11], 1
	v_add_lshl_u32 v1, v5, s31, 6
	v_lshlrev_b32_e32 v5, 6, v5
	v_lshlrev_b32_e32 v7, 10, v75
	v_and_b32_e32 v6, 0x3800, v6
	s_delay_alu instid0(VALU_DEP_4) | instskip(NEXT) | instid1(VALU_DEP_2)
	v_ashrrev_i32_e32 v2, 31, v1
	v_or3_b32 v5, v6, v7, v5
	s_delay_alu instid0(VALU_DEP_2) | instskip(SKIP_2) | instid1(VALU_DEP_1)
	v_lshlrev_b64 v[1:2], 1, v[1:2]
	s_add_u32 s3, s8, s10
	s_addc_u32 s7, s9, s11
	v_add_co_u32 v1, vcc_lo, s3, v1
	s_delay_alu instid0(VALU_DEP_2) | instskip(NEXT) | instid1(VALU_DEP_2)
	v_add_co_ci_u32_e32 v2, vcc_lo, s7, v2, vcc_lo
	v_add_co_u32 v1, vcc_lo, v1, v73
	s_delay_alu instid0(VALU_DEP_2)
	v_add_co_ci_u32_e32 v2, vcc_lo, 0, v2, vcc_lo
	global_load_b128 v[1:4], v[1:2], off
	s_waitcnt vmcnt(0)
	ds_store_b128 v5, v[1:4]
.LBB1673_10:
	s_or_b32 exec_lo, exec_lo, s6
	v_and_b32_e32 v1, 0xef, v0
	s_waitcnt lgkmcnt(0)
	s_add_i32 s3, s24, 15
	s_clause 0x1
	s_load_b32 s6, s[0:1], 0x38
	s_load_b32 s19, s[0:1], 0x1c
	s_ashr_i32 s7, s3, 31
	v_add_nc_u32_e32 v1, s12, v1
	s_lshr_b32 s7, s7, 28
	s_waitcnt lgkmcnt(0)
	s_add_i32 s3, s3, s7
	s_barrier
	v_ashrrev_i32_e32 v2, 31, v1
	v_or_b32_e32 v3, 16, v1
	s_ashr_i32 s3, s3, 4
	v_cmp_gt_i32_e32 vcc_lo, s24, v1
	s_add_i32 s3, s3, -1
	v_lshrrev_b32_e32 v2, 28, v2
	buffer_gl0_inv
	s_mul_i32 s27, s15, s18
	v_add_nc_u32_e32 v4, v1, v2
	s_mul_i32 s6, s30, s6
	s_delay_alu instid0(SALU_CYCLE_1) | instskip(NEXT) | instid1(VALU_DEP_1)
	s_ashr_i32 s7, s6, 31
	v_ashrrev_i32_e32 v4, 4, v4
	v_add_nc_u32_e32 v2, v3, v2
	s_lshl_b64 s[6:7], s[6:7], 2
	s_delay_alu instid0(SALU_CYCLE_1) | instskip(NEXT) | instid1(VALU_DEP_2)
	s_add_u32 s26, s4, s6
	v_cndmask_b32_e32 v1, s3, v4, vcc_lo
	s_delay_alu instid0(VALU_DEP_2)
	v_ashrrev_i32_e32 v2, 4, v2
	v_cmp_gt_i32_e32 vcc_lo, s24, v3
	s_addc_u32 s25, s5, s7
	s_ashr_i32 s28, s27, 31
	s_add_u32 s13, s20, s27
	s_addc_u32 s15, s21, s28
	v_cndmask_b32_e32 v3, s3, v2, vcc_lo
	v_ashrrev_i32_e32 v2, 31, v1
	s_lshl_b32 s4, s14, 4
	s_delay_alu instid0(SALU_CYCLE_1) | instskip(NEXT) | instid1(VALU_DEP_2)
	s_ashr_i32 s5, s4, 31
	v_ashrrev_i32_e32 v4, 31, v3
	s_delay_alu instid0(VALU_DEP_2) | instskip(SKIP_1) | instid1(SALU_CYCLE_1)
	v_lshlrev_b64 v[1:2], 2, v[1:2]
	s_lshl_b64 s[4:5], s[4:5], 2
	s_add_u32 s4, s26, s4
	s_delay_alu instid0(VALU_DEP_2) | instskip(SKIP_1) | instid1(VALU_DEP_2)
	v_lshlrev_b64 v[3:4], 2, v[3:4]
	s_addc_u32 s5, s25, s5
	v_add_co_u32 v1, vcc_lo, s26, v1
	v_add_co_ci_u32_e32 v2, vcc_lo, s25, v2, vcc_lo
	s_delay_alu instid0(VALU_DEP_3) | instskip(NEXT) | instid1(VALU_DEP_4)
	v_add_co_u32 v3, vcc_lo, s26, v3
	v_add_co_ci_u32_e32 v4, vcc_lo, s25, v4, vcc_lo
	s_clause 0x1
	global_load_b32 v5, v[1:2], off
	global_load_b32 v7, v[3:4], off
	s_or_b32 s6, s12, 32
	v_lshlrev_b32_e32 v1, 4, v0
	s_ashr_i32 s7, s6, 4
	s_cmp_lt_i32 s6, s24
	v_cmp_gt_u32_e32 vcc_lo, 12, v65
	s_cselect_b32 s6, s7, s3
	v_and_b32_e32 v1, 0xf0, v1
	s_ashr_i32 s7, s6, 31
	s_delay_alu instid0(SALU_CYCLE_1) | instskip(NEXT) | instid1(SALU_CYCLE_1)
	s_lshl_b64 s[6:7], s[6:7], 2
	s_add_u32 s6, s26, s6
	s_addc_u32 s7, s25, s7
	s_or_b32 s8, s12, 64
	v_add_co_u32 v1, s13, s13, v1
	s_ashr_i32 s9, s8, 4
	s_cmp_lt_i32 s8, s24
	v_add_co_ci_u32_e64 v2, null, s15, 0, s13
	s_cselect_b32 s8, s9, s3
	s_delay_alu instid0(SALU_CYCLE_1) | instskip(NEXT) | instid1(SALU_CYCLE_1)
	s_ashr_i32 s9, s8, 31
	s_lshl_b64 s[8:9], s[8:9], 2
	s_delay_alu instid0(SALU_CYCLE_1) | instskip(SKIP_2) | instid1(SALU_CYCLE_1)
	s_add_u32 s8, s26, s8
	s_addc_u32 s9, s25, s9
	s_or_b32 s10, s12, 0x60
	s_ashr_i32 s11, s10, 4
	s_cmp_lt_i32 s10, s24
	s_cselect_b32 s10, s11, s3
	s_delay_alu instid0(SALU_CYCLE_1) | instskip(NEXT) | instid1(SALU_CYCLE_1)
	s_ashr_i32 s11, s10, 31
	s_lshl_b64 s[10:11], s[10:11], 2
	s_delay_alu instid0(SALU_CYCLE_1) | instskip(SKIP_2) | instid1(SALU_CYCLE_1)
	s_add_u32 s10, s26, s10
	s_addc_u32 s11, s25, s11
	s_or_b32 s16, s12, 0x80
	s_ashr_i32 s18, s16, 4
	s_cmp_lt_i32 s16, s24
	;; [unrolled: 10-line block ×3, first 2 shown]
	s_cselect_b32 s20, s18, s3
	s_delay_alu instid0(SALU_CYCLE_1) | instskip(NEXT) | instid1(SALU_CYCLE_1)
	s_ashr_i32 s21, s20, 31
	s_lshl_b64 s[20:21], s[20:21], 2
	s_delay_alu instid0(SALU_CYCLE_1)
	s_add_u32 s36, s26, s20
	s_addc_u32 s37, s25, s21
	s_clause 0x5
	s_load_b32 s21, s[4:5], 0x0
	s_load_b32 s13, s[6:7], 0x0
	s_load_b32 s15, s[8:9], 0x0
	s_load_b32 s16, s[10:11], 0x0
	s_load_b32 s18, s[34:35], 0x0
	s_load_b32 s20, s[36:37], 0x0
	s_or_b32 s8, s12, 0xc0
	s_mov_b32 s4, 0
	s_ashr_i32 s9, s8, 4
	s_cmp_lt_i32 s8, s24
	s_mov_b32 s11, s4
	s_cselect_b32 s34, s9, s3
	s_mov_b32 s5, s4
	s_ashr_i32 s35, s34, 31
	s_mov_b32 s6, s4
	s_lshl_b64 s[34:35], s[34:35], 2
	s_mov_b32 s7, s4
	s_add_u32 s34, s26, s34
	s_addc_u32 s35, s25, s35
	s_or_b32 s29, s12, 0xe0
	s_mov_b32 s8, s4
	s_ashr_i32 s33, s29, 4
	s_mov_b32 s9, s4
	s_mov_b32 s10, s4
	s_cmp_lt_i32 s29, s24
	v_dual_mov_b32 v107, s11 :: v_dual_mov_b32 v100, s4
	v_mov_b32_e32 v106, s10
	v_dual_mov_b32 v104, s8 :: v_dual_mov_b32 v103, s7
	v_dual_mov_b32 v102, s6 :: v_dual_mov_b32 v101, s5
	s_waitcnt vmcnt(1)
	v_mad_i64_i32 v[3:4], null, v5, s17, v[1:2]
	s_waitcnt vmcnt(0)
	v_mad_i64_i32 v[5:6], null, v7, s17, v[1:2]
	v_add_nc_u32_e32 v1, -12, v65
	v_lshlrev_b32_e32 v2, 4, v65
	s_clause 0x7
	global_load_b128 v[49:52], v[3:4], off
	global_load_b128 v[53:56], v[3:4], off offset:256
	global_load_b128 v[76:79], v[5:6], off
	global_load_b128 v[80:83], v[5:6], off offset:256
	global_load_b128 v[84:87], v[3:4], off offset:512
	;; [unrolled: 1-line block ×5, first 2 shown]
	v_cndmask_b32_e32 v1, v1, v65, vcc_lo
	v_mov_b32_e32 v105, s9
	s_cselect_b32 s4, s33, s3
	v_lshl_or_b32 v2, v66, 8, v2
	s_ashr_i32 s5, s4, 31
	v_lshlrev_b32_e32 v70, 6, v1
	s_lshl_b64 s[4:5], s[4:5], 2
	s_load_b32 s3, s[34:35], 0x0
	s_add_u32 s4, s26, s4
	s_addc_u32 s5, s25, s5
	ds_load_b128 v[108:111], v70
	ds_load_b128 v[112:115], v70 offset:1024
	s_load_b32 s4, s[4:5], 0x0
	s_add_u32 s6, s22, s27
	s_addc_u32 s7, s23, s28
	v_add_co_u32 v9, s6, s6, v2
	s_delay_alu instid0(VALU_DEP_1) | instskip(SKIP_1) | instid1(VALU_DEP_1)
	v_add_co_ci_u32_e64 v10, null, s7, 0, s6
	s_waitcnt lgkmcnt(0)
	v_mad_i64_i32 v[1:2], null, s21, s17, v[9:10]
	v_mad_i64_i32 v[3:4], null, s13, s17, v[9:10]
	;; [unrolled: 1-line block ×7, first 2 shown]
	s_clause 0x9
	global_load_b128 v[57:60], v[1:2], off
	global_load_b128 v[61:64], v[1:2], off offset:16
	global_load_b128 v[41:44], v[3:4], off
	global_load_b128 v[45:48], v[3:4], off offset:16
	;; [unrolled: 2-line block ×5, first 2 shown]
	v_mad_i64_i32 v[68:69], null, s4, s17, v[9:10]
	s_clause 0x3
	global_load_b128 v[9:12], v[13:14], off
	global_load_b128 v[13:16], v[13:14], off offset:16
	global_load_b128 v[17:20], v[21:22], off
	global_load_b128 v[21:24], v[21:22], off offset:16
	s_waitcnt vmcnt(20)
	v_wmma_f32_16x16x16_bf16 v[116:123], v[49:56], v[108:115], v[100:107]
	s_clause 0x1
	global_load_b128 v[49:52], v[68:69], off
	global_load_b128 v[53:56], v[68:69], off offset:16
	v_and_b32_e32 v68, 0xe0, v0
	v_mbcnt_lo_u32_b32 v69, -1, 0
	s_delay_alu instid0(VALU_DEP_2)
	v_add_nc_u32_e32 v68, s12, v68
	s_waitcnt vmcnt(20)
	v_wmma_f32_16x16x16_bf16 v[100:107], v[76:83], v[108:115], v[100:107]
	ds_load_b128 v[76:79], v70 offset:2048
	ds_load_b128 v[80:83], v70 offset:3072
	v_xor_b32_e32 v70, 16, v69
	s_waitcnt vmcnt(0) lgkmcnt(0)
	v_or_b32_e32 v68, v68, v74
	s_barrier
	buffer_gl0_inv
	v_cmp_gt_i32_e32 vcc_lo, 32, v70
	v_or_b32_e32 v71, 4, v68
	v_or_b32_e32 v72, 6, v68
	v_cmp_gt_i32_e64 s3, s24, v68
	v_or_b32_e32 v108, 8, v68
	v_or_b32_e32 v109, 10, v68
	v_cmp_gt_i32_e64 s4, s24, v71
	v_cmp_gt_i32_e64 s5, s24, v72
	s_delay_alu instid0(VALU_DEP_4) | instskip(NEXT) | instid1(VALU_DEP_4)
	v_cmp_gt_i32_e64 s6, s24, v108
	v_cmp_gt_i32_e64 s7, s24, v109
	v_wmma_f32_16x16x16_bf16 v[116:123], v[84:91], v[76:83], v[116:123]
	v_cndmask_b32_e32 v69, v69, v70, vcc_lo
	v_or_b32_e32 v70, 2, v68
	v_wmma_f32_16x16x16_bf16 v[100:107], v[92:99], v[76:83], v[100:107]
	v_or_b32_e32 v89, 22, v68
	v_dual_mul_f32 v82, s19, v119 :: v_dual_mul_f32 v79, s19, v122
	v_dual_mul_f32 v92, s19, v117 :: v_dual_mul_f32 v93, s19, v116
	s_delay_alu instid0(VALU_DEP_4) | instskip(SKIP_2) | instid1(VALU_DEP_4)
	v_mul_f32_e32 v98, s19, v103
	v_cmp_gt_i32_e32 vcc_lo, s24, v70
	v_dual_mul_f32 v83, s19, v118 :: v_dual_mul_f32 v96, s19, v105
	v_cndmask_b32_e64 v93, 0xff7fffff, v93, s3
	v_or_b32_e32 v84, 12, v68
	v_cndmask_b32_e32 v92, 0xff7fffff, v92, vcc_lo
	v_or_b32_e32 v85, 14, v68
	v_dual_mul_f32 v80, s19, v121 :: v_dual_mul_f32 v81, s19, v120
	v_mul_f32_e32 v94, s19, v107
	v_cndmask_b32_e64 v71, 0xff7fffff, v83, s4
	v_cndmask_b32_e64 v72, 0xff7fffff, v82, s5
	v_cmp_gt_i32_e64 s13, s24, v89
	v_lshlrev_b32_e32 v89, 2, v69
	v_max3_f32 v82, v93, 0xff7fffff, v92
	v_or_b32_e32 v86, 16, v68
	v_or_b32_e32 v87, 18, v68
	v_mul_f32_e32 v78, s19, v123
	v_cndmask_b32_e64 v81, 0xff7fffff, v81, s6
	v_cndmask_b32_e64 v80, 0xff7fffff, v80, s7
	v_max3_f32 v71, v82, v71, v72
	v_cmp_gt_i32_e64 s8, s24, v84
	v_cmp_gt_i32_e64 s9, s24, v85
	v_or_b32_e32 v88, 20, v68
	v_or_b32_e32 v90, 24, v68
	;; [unrolled: 1-line block ×5, first 2 shown]
	v_dual_mul_f32 v95, s19, v106 :: v_dual_mul_f32 v70, s19, v101
	v_dual_mul_f32 v99, s19, v102 :: v_dual_mul_f32 v68, s19, v100
	v_cndmask_b32_e64 v72, 0xff7fffff, v79, s8
	v_cndmask_b32_e64 v78, 0xff7fffff, v78, s9
	v_max3_f32 v71, v71, v81, v80
	v_cmp_gt_i32_e64 s10, s24, v86
	v_cmp_gt_i32_e64 s11, s24, v87
	v_cmp_gt_i32_e64 s12, s24, v88
	v_mul_f32_e32 v97, s19, v104
	v_max3_f32 v71, v71, v72, v78
	v_cndmask_b32_e64 v68, 0xff7fffff, v68, s10
	v_cndmask_b32_e64 v70, 0xff7fffff, v70, s11
	v_cndmask_b32_e64 v72, 0xff7fffff, v99, s12
	v_cndmask_b32_e64 v78, 0xff7fffff, v98, s13
	v_cmp_gt_i32_e64 s15, s24, v90
	v_cmp_gt_i32_e64 s16, s24, v91
	v_max3_f32 v68, v71, v68, v70
	v_cmp_gt_i32_e64 s17, s24, v76
	v_cmp_gt_i32_e64 s18, s24, v77
	v_cndmask_b32_e64 v70, 0xff7fffff, v97, s15
	v_cndmask_b32_e64 v71, 0xff7fffff, v96, s16
	v_max3_f32 v68, v68, v72, v78
	v_cndmask_b32_e64 v72, 0xff7fffff, v95, s17
	v_cndmask_b32_e64 v76, 0xff7fffff, v94, s18
	s_delay_alu instid0(VALU_DEP_3) | instskip(NEXT) | instid1(VALU_DEP_1)
	v_max3_f32 v68, v68, v70, v71
	v_max3_f32 v68, v68, v72, v76
	ds_bpermute_b32 v69, v89, v68
	s_waitcnt lgkmcnt(0)
	v_max_f32_e32 v69, v69, v69
	s_delay_alu instid0(VALU_DEP_1) | instskip(NEXT) | instid1(VALU_DEP_1)
	v_max_f32_e32 v68, v68, v69
	v_fma_f32 v69, s19, v116, -v68
	v_fma_f32 v70, s19, v117, -v68
	;; [unrolled: 1-line block ×5, first 2 shown]
	s_delay_alu instid0(VALU_DEP_4) | instskip(NEXT) | instid1(VALU_DEP_4)
	v_dual_mul_f32 v69, 0x3fb8aa3b, v69 :: v_dual_mul_f32 v70, 0x3fb8aa3b, v70
	v_mul_f32_e32 v72, 0x3fb8aa3b, v72
	v_fma_f32 v78, s19, v122, -v68
	s_delay_alu instid0(VALU_DEP_4) | instskip(NEXT) | instid1(VALU_DEP_4)
	v_mul_f32_e32 v77, 0x3fb8aa3b, v76
	v_exp_f32_e32 v69, v69
	v_exp_f32_e32 v70, v70
	v_mul_f32_e32 v71, 0x3fb8aa3b, v71
	v_exp_f32_e32 v72, v72
	v_mul_f32_e32 v78, 0x3fb8aa3b, v78
	v_exp_f32_e32 v77, v77
	v_fma_f32 v81, s19, v105, -v68
	s_delay_alu instid0(VALU_DEP_2)
	v_exp_f32_e32 v78, v78
	v_cndmask_b32_e64 v80, 0, v69, s3
	v_cndmask_b32_e32 v76, 0, v70, vcc_lo
	v_exp_f32_e32 v71, v71
	v_fma_f32 v69, s19, v121, -v68
	v_cndmask_b32_e64 v85, 0, v72, s5
	v_add_f32_e32 v70, 0, v80
	s_delay_alu instid0(TRANS32_DEP_3)
	v_cndmask_b32_e64 v86, 0, v77, s6
	v_fma_f32 v77, s19, v101, -v68
	v_mul_f32_e32 v69, 0x3fb8aa3b, v69
	v_fma_f32 v72, s19, v100, -v68
	v_cndmask_b32_e64 v84, 0, v78, s8
	v_fma_f32 v78, s19, v103, -v68
	v_cndmask_b32_e64 v83, 0, v71, s4
	v_fma_f32 v71, s19, v123, -v68
	v_add_f32_e32 v70, v70, v76
	v_exp_f32_e32 v69, v69
	v_mul_f32_e32 v77, 0x3fb8aa3b, v77
	v_mul_f32_e32 v81, 0x3fb8aa3b, v81
	;; [unrolled: 1-line block ×3, first 2 shown]
	v_add_f32_e32 v70, v70, v83
	s_mov_b32 s3, exec_lo
	v_exp_f32_e32 v77, v77
	v_exp_f32_e32 v81, v81
	;; [unrolled: 1-line block ×3, first 2 shown]
	v_cndmask_b32_e64 v87, 0, v69, s7
	v_add_f32_e32 v70, v70, v85
	s_delay_alu instid0(VALU_DEP_1) | instskip(SKIP_1) | instid1(VALU_DEP_2)
	v_dual_mul_f32 v72, 0x3fb8aa3b, v72 :: v_dual_add_f32 v69, v70, v86
	v_fma_f32 v70, s19, v102, -v68
	v_exp_f32_e32 v72, v72
	s_waitcnt_depctr 0xfff
	v_cndmask_b32_e64 v88, 0, v71, s9
	v_fma_f32 v71, s19, v104, -v68
	v_dual_add_f32 v69, v69, v87 :: v_dual_mul_f32 v70, 0x3fb8aa3b, v70
	s_delay_alu instid0(VALU_DEP_2) | instskip(NEXT) | instid1(VALU_DEP_2)
	v_dual_mul_f32 v78, 0x3fb8aa3b, v78 :: v_dual_mul_f32 v71, 0x3fb8aa3b, v71
	v_add_f32_e32 v69, v69, v84
	s_delay_alu instid0(VALU_DEP_3) | instskip(SKIP_1) | instid1(VALU_DEP_3)
	v_exp_f32_e32 v79, v70
	v_cndmask_b32_e64 v70, 0, v72, s10
	v_exp_f32_e32 v78, v78
	v_exp_f32_e32 v82, v71
	v_add_f32_e32 v72, v69, v88
	v_cndmask_b32_e64 v69, 0, v77, s11
	v_fma_f32 v77, s19, v106, -v68
	s_delay_alu instid0(VALU_DEP_3) | instskip(NEXT) | instid1(TRANS32_DEP_3)
	v_add_f32_e32 v72, v72, v70
	v_cndmask_b32_e64 v71, 0, v79, s12
	s_delay_alu instid0(VALU_DEP_3) | instskip(NEXT) | instid1(VALU_DEP_3)
	v_mul_f32_e32 v77, 0x3fb8aa3b, v77
	v_add_f32_e32 v79, v72, v69
	s_delay_alu instid0(TRANS32_DEP_2) | instskip(NEXT) | instid1(VALU_DEP_3)
	v_cndmask_b32_e64 v72, 0, v78, s13
	v_exp_f32_e32 v90, v77
	v_cndmask_b32_e64 v77, 0, v82, s15
	s_delay_alu instid0(VALU_DEP_3) | instskip(SKIP_1) | instid1(VALU_DEP_1)
	v_add_f32_e32 v78, v79, v71
	v_fma_f32 v79, s19, v107, -v68
	v_dual_add_f32 v82, v78, v72 :: v_dual_mul_f32 v79, 0x3fb8aa3b, v79
	v_cndmask_b32_e64 v78, 0, v81, s16
	s_delay_alu instid0(VALU_DEP_2) | instskip(NEXT) | instid1(VALU_DEP_3)
	v_add_f32_e32 v81, v82, v77
	v_exp_f32_e32 v82, v79
	s_delay_alu instid0(TRANS32_DEP_2) | instskip(NEXT) | instid1(VALU_DEP_2)
	v_cndmask_b32_e64 v79, 0, v90, s17
	v_add_f32_e32 v81, v81, v78
	s_delay_alu instid0(VALU_DEP_1) | instskip(SKIP_2) | instid1(VALU_DEP_1)
	v_add_f32_e32 v90, v81, v79
	s_waitcnt_depctr 0xfff
	v_cndmask_b32_e64 v81, 0, v82, s18
	v_add_f32_e32 v82, v90, v81
	ds_bpermute_b32 v89, v89, v82
	v_cmpx_gt_u32_e32 16, v67
	s_cbranch_execz .LBB1673_12
; %bb.11:
	v_mul_u32_u24_e32 v67, 0x44, v66
	s_delay_alu instid0(VALU_DEP_1) | instskip(SKIP_1) | instid1(VALU_DEP_1)
	v_lshl_add_u32 v67, v65, 2, v67
	s_waitcnt lgkmcnt(0)
	v_dual_add_f32 v82, v82, v89 :: v_dual_add_nc_u32 v67, 0x4000, v67
	ds_store_2addr_b32 v67, v68, v82 offset1:136
.LBB1673_12:
	s_or_b32 exec_lo, exec_lo, s3
	v_lshlrev_b32_e32 v67, 2, v65
	s_waitcnt lgkmcnt(0)
	s_barrier
	buffer_gl0_inv
	v_cmp_eq_u32_e32 vcc_lo, 1, v66
	v_add_nc_u32_e32 v82, 0x4000, v67
	v_cmp_eq_u32_e64 s3, 2, v66
	v_cmp_eq_u32_e64 s5, 7, v66
	ds_load_2addr_b32 v[89:90], v82 offset1:17
	ds_load_2addr_b32 v[91:92], v82 offset0:34 offset1:51
	ds_load_2addr_b32 v[93:94], v82 offset0:68 offset1:85
	;; [unrolled: 1-line block ×4, first 2 shown]
	s_waitcnt lgkmcnt(4)
	v_max3_f32 v67, v89, 0xff7fffff, v90
	s_waitcnt lgkmcnt(3)
	s_delay_alu instid0(VALU_DEP_1) | instskip(SKIP_1) | instid1(VALU_DEP_1)
	v_max3_f32 v67, v67, v91, v92
	s_waitcnt lgkmcnt(2)
	v_max3_f32 v67, v67, v93, v94
	s_waitcnt lgkmcnt(1)
	s_delay_alu instid0(VALU_DEP_1) | instskip(NEXT) | instid1(VALU_DEP_1)
	v_max3_f32 v67, v67, v95, v96
	v_sub_f32_e32 v93, v93, v67
	s_delay_alu instid0(VALU_DEP_1) | instskip(NEXT) | instid1(VALU_DEP_1)
	v_dual_sub_f32 v68, v89, v67 :: v_dual_mul_f32 v103, 0x3fb8aa3b, v93
	v_mul_f32_e32 v68, 0x3fb8aa3b, v68
	s_delay_alu instid0(VALU_DEP_1)
	v_exp_f32_e32 v100, v68
	v_sub_f32_e32 v68, v92, v67
	v_sub_f32_e32 v99, v90, v67
	ds_load_2addr_b32 v[89:90], v82 offset0:170 offset1:187
	v_dual_mul_f32 v102, 0x3fb8aa3b, v68 :: v_dual_mul_f32 v99, 0x3fb8aa3b, v99
	s_waitcnt lgkmcnt(1)
	v_fma_f32 v68, v100, v97, 0
	s_delay_alu instid0(VALU_DEP_2) | instskip(NEXT) | instid1(VALU_DEP_2)
	v_exp_f32_e32 v102, v102
	v_exp_f32_e32 v99, v99
	s_waitcnt_depctr 0xfff
	v_fmac_f32_e32 v68, v99, v98
	v_sub_f32_e32 v91, v91, v67
	s_delay_alu instid0(VALU_DEP_1)
	v_mul_f32_e32 v101, 0x3fb8aa3b, v91
	ds_load_2addr_b32 v[91:92], v82 offset0:204 offset1:221
	v_sub_f32_e32 v97, v94, v67
	ds_load_2addr_b32 v[93:94], v82 offset0:238 offset1:255
	s_waitcnt lgkmcnt(0)
	v_exp_f32_e32 v101, v101
	s_barrier
	buffer_gl0_inv
	v_dual_fmac_f32 v68, v101, v89 :: v_dual_sub_f32 v89, v96, v67
	v_dual_sub_f32 v82, v95, v67 :: v_dual_mul_f32 v95, 0x3fb8aa3b, v97
	v_exp_f32_e32 v97, v103
	s_delay_alu instid0(VALU_DEP_2) | instskip(NEXT) | instid1(VALU_DEP_2)
	v_dual_fmac_f32 v68, v102, v90 :: v_dual_mul_f32 v89, 0x3fb8aa3b, v89
	v_mul_f32_e32 v82, 0x3fb8aa3b, v82
	s_delay_alu instid0(VALU_DEP_3) | instskip(NEXT) | instid1(VALU_DEP_2)
	v_exp_f32_e32 v95, v95
	v_exp_f32_e32 v89, v89
	s_delay_alu instid0(VALU_DEP_1)
	v_exp_f32_e32 v82, v82
	v_fmac_f32_e32 v68, v97, v91
	s_delay_alu instid0(TRANS32_DEP_3) | instid1(VALU_DEP_1)
	v_fmac_f32_e32 v68, v95, v92
	s_waitcnt_depctr 0xfff
	v_fmac_f32_e32 v68, v82, v93
	s_delay_alu instid0(VALU_DEP_1) | instskip(NEXT) | instid1(VALU_DEP_1)
	v_fmac_f32_e32 v68, v89, v94
	v_add_f32_e32 v90, 0x358637bd, v68
	s_delay_alu instid0(VALU_DEP_1) | instskip(NEXT) | instid1(VALU_DEP_1)
	v_div_scale_f32 v91, null, v90, v90, 1.0
	v_rcp_f32_e32 v92, v91
	s_waitcnt_depctr 0xfff
	v_fma_f32 v93, -v91, v92, 1.0
	s_delay_alu instid0(VALU_DEP_1) | instskip(SKIP_1) | instid1(VALU_DEP_2)
	v_dual_fmac_f32 v92, v93, v92 :: v_dual_cndmask_b32 v93, v100, v99
	v_cmp_eq_u32_e32 vcc_lo, 3, v66
	v_cndmask_b32_e64 v93, v93, v101, s3
	v_cmp_eq_u32_e64 s3, 4, v66
	s_delay_alu instid0(VALU_DEP_2) | instskip(SKIP_1) | instid1(VALU_DEP_2)
	v_cndmask_b32_e32 v93, v93, v102, vcc_lo
	v_cmp_eq_u32_e32 vcc_lo, 5, v66
	v_cndmask_b32_e64 v93, v93, v97, s3
	v_cmp_eq_u32_e64 s3, 6, v66
	s_delay_alu instid0(VALU_DEP_2) | instskip(SKIP_1) | instid1(VALU_DEP_1)
	v_cndmask_b32_e32 v93, v93, v95, vcc_lo
	v_div_scale_f32 v94, s4, 1.0, v90, 1.0
	s_mov_b32 vcc_lo, s4
	s_delay_alu instid0(VALU_DEP_2) | instskip(NEXT) | instid1(VALU_DEP_2)
	v_cndmask_b32_e64 v82, v93, v82, s3
	v_mul_f32_e32 v96, v94, v92
	s_mov_b32 s3, exec_lo
	s_delay_alu instid0(VALU_DEP_2) | instskip(NEXT) | instid1(VALU_DEP_2)
	v_cndmask_b32_e64 v82, v82, v89, s5
	v_fma_f32 v98, -v91, v96, v94
	s_delay_alu instid0(VALU_DEP_1) | instskip(NEXT) | instid1(VALU_DEP_1)
	v_fmac_f32_e32 v96, v98, v92
	v_fma_f32 v91, -v91, v96, v94
	s_delay_alu instid0(VALU_DEP_1) | instskip(NEXT) | instid1(VALU_DEP_1)
	v_div_fmas_f32 v91, v91, v92, v96
	v_div_fixup_f32 v90, v91, v90, 1.0
	s_delay_alu instid0(VALU_DEP_1) | instskip(NEXT) | instid1(VALU_DEP_1)
	v_mul_f32_e32 v82, v82, v90
	v_mul_f32_e32 v87, v82, v87
	;; [unrolled: 1-line block ×7, first 2 shown]
	v_dual_mul_f32 v86, v82, v83 :: v_dual_and_b32 v91, 0x7f800000, v90
	v_mul_f32_e32 v85, v82, v76
                                        ; implicit-def: $vgpr76
	s_delay_alu instid0(VALU_DEP_2)
	v_cmpx_ne_u32_e32 0x7f800000, v91
	s_xor_b32 s3, exec_lo, s3
; %bb.13:
	v_bfe_u32 v76, v90, 16, 1
	s_delay_alu instid0(VALU_DEP_1)
	v_add3_u32 v76, v90, v76, 0x7fff
                                        ; implicit-def: $vgpr90
; %bb.14:
	s_and_not1_saveexec_b32 s3, s3
; %bb.15:
	v_and_b32_e32 v76, 0xffff, v90
	v_or_b32_e32 v83, 0x10000, v90
	s_delay_alu instid0(VALU_DEP_2) | instskip(NEXT) | instid1(VALU_DEP_2)
	v_cmp_eq_u32_e32 vcc_lo, 0, v76
	v_cndmask_b32_e32 v76, v83, v90, vcc_lo
; %bb.16:
	s_or_b32 exec_lo, exec_lo, s3
	v_and_b32_e32 v83, 0x7f800000, v85
	s_delay_alu instid0(VALU_DEP_1) | instskip(SKIP_1) | instid1(SALU_CYCLE_1)
	v_cmp_ne_u32_e32 vcc_lo, 0x7f800000, v83
                                        ; implicit-def: $vgpr83
	s_and_saveexec_b32 s3, vcc_lo
	s_xor_b32 s3, exec_lo, s3
; %bb.17:
	v_bfe_u32 v83, v85, 16, 1
	s_delay_alu instid0(VALU_DEP_1)
	v_add3_u32 v83, v85, v83, 0x7fff
                                        ; implicit-def: $vgpr85
; %bb.18:
	s_and_not1_saveexec_b32 s3, s3
; %bb.19:
	v_and_b32_e32 v83, 0xffff, v85
	v_or_b32_e32 v90, 0x10000, v85
	s_delay_alu instid0(VALU_DEP_2) | instskip(NEXT) | instid1(VALU_DEP_2)
	v_cmp_eq_u32_e32 vcc_lo, 0, v83
	v_cndmask_b32_e32 v83, v90, v85, vcc_lo
; %bb.20:
	s_or_b32 exec_lo, exec_lo, s3
	v_and_b32_e32 v85, 0x7f800000, v86
	s_delay_alu instid0(VALU_DEP_1) | instskip(SKIP_1) | instid1(SALU_CYCLE_1)
	v_cmp_ne_u32_e32 vcc_lo, 0x7f800000, v85
                                        ; implicit-def: $vgpr85
	s_and_saveexec_b32 s3, vcc_lo
	s_xor_b32 s3, exec_lo, s3
; %bb.21:
	v_bfe_u32 v85, v86, 16, 1
	s_delay_alu instid0(VALU_DEP_1)
	v_add3_u32 v85, v86, v85, 0x7fff
                                        ; implicit-def: $vgpr86
; %bb.22:
	s_and_not1_saveexec_b32 s3, s3
; %bb.23:
	v_and_b32_e32 v85, 0xffff, v86
	v_or_b32_e32 v90, 0x10000, v86
	s_delay_alu instid0(VALU_DEP_2) | instskip(NEXT) | instid1(VALU_DEP_2)
	v_cmp_eq_u32_e32 vcc_lo, 0, v85
	v_cndmask_b32_e32 v85, v90, v86, vcc_lo
; %bb.24:
	s_or_b32 exec_lo, exec_lo, s3
	v_and_b32_e32 v86, 0x7f800000, v89
	s_delay_alu instid0(VALU_DEP_1) | instskip(SKIP_1) | instid1(SALU_CYCLE_1)
	v_cmp_ne_u32_e32 vcc_lo, 0x7f800000, v86
                                        ; implicit-def: $vgpr86
	s_and_saveexec_b32 s3, vcc_lo
	s_xor_b32 s3, exec_lo, s3
; %bb.25:
	v_bfe_u32 v86, v89, 16, 1
	s_delay_alu instid0(VALU_DEP_1)
	v_add3_u32 v86, v89, v86, 0x7fff
                                        ; implicit-def: $vgpr89
; %bb.26:
	s_and_not1_saveexec_b32 s3, s3
; %bb.27:
	v_and_b32_e32 v86, 0xffff, v89
	v_or_b32_e32 v90, 0x10000, v89
	s_delay_alu instid0(VALU_DEP_2) | instskip(NEXT) | instid1(VALU_DEP_2)
	v_cmp_eq_u32_e32 vcc_lo, 0, v86
	v_cndmask_b32_e32 v86, v90, v89, vcc_lo
; %bb.28:
	s_or_b32 exec_lo, exec_lo, s3
	v_and_b32_e32 v89, 0x7f800000, v88
	s_delay_alu instid0(VALU_DEP_1) | instskip(SKIP_1) | instid1(SALU_CYCLE_1)
	v_cmp_ne_u32_e32 vcc_lo, 0x7f800000, v89
                                        ; implicit-def: $vgpr89
	s_and_saveexec_b32 s3, vcc_lo
	s_xor_b32 s3, exec_lo, s3
; %bb.29:
	v_bfe_u32 v89, v88, 16, 1
	s_delay_alu instid0(VALU_DEP_1)
	v_add3_u32 v89, v88, v89, 0x7fff
                                        ; implicit-def: $vgpr88
; %bb.30:
	s_and_not1_saveexec_b32 s3, s3
; %bb.31:
	v_and_b32_e32 v89, 0xffff, v88
	v_or_b32_e32 v90, 0x10000, v88
	s_delay_alu instid0(VALU_DEP_2) | instskip(NEXT) | instid1(VALU_DEP_2)
	v_cmp_eq_u32_e32 vcc_lo, 0, v89
	v_cndmask_b32_e32 v89, v90, v88, vcc_lo
; %bb.32:
	s_or_b32 exec_lo, exec_lo, s3
	v_and_b32_e32 v88, 0x7f800000, v87
	s_delay_alu instid0(VALU_DEP_1) | instskip(SKIP_1) | instid1(SALU_CYCLE_1)
	v_cmp_ne_u32_e32 vcc_lo, 0x7f800000, v88
                                        ; implicit-def: $vgpr88
	s_and_saveexec_b32 s3, vcc_lo
	s_xor_b32 s3, exec_lo, s3
; %bb.33:
	v_bfe_u32 v88, v87, 16, 1
	s_delay_alu instid0(VALU_DEP_1)
	v_add3_u32 v88, v87, v88, 0x7fff
                                        ; implicit-def: $vgpr87
; %bb.34:
	s_and_not1_saveexec_b32 s3, s3
; %bb.35:
	v_and_b32_e32 v88, 0xffff, v87
	v_or_b32_e32 v90, 0x10000, v87
	s_delay_alu instid0(VALU_DEP_2) | instskip(NEXT) | instid1(VALU_DEP_2)
	v_cmp_eq_u32_e32 vcc_lo, 0, v88
	v_cndmask_b32_e32 v88, v90, v87, vcc_lo
; %bb.36:
	s_or_b32 exec_lo, exec_lo, s3
	v_and_b32_e32 v87, 0x7f800000, v84
	s_delay_alu instid0(VALU_DEP_1) | instskip(SKIP_1) | instid1(SALU_CYCLE_1)
	v_cmp_ne_u32_e32 vcc_lo, 0x7f800000, v87
                                        ; implicit-def: $vgpr87
	s_and_saveexec_b32 s3, vcc_lo
	s_xor_b32 s3, exec_lo, s3
; %bb.37:
	v_bfe_u32 v87, v84, 16, 1
	s_delay_alu instid0(VALU_DEP_1)
	v_add3_u32 v87, v84, v87, 0x7fff
                                        ; implicit-def: $vgpr84
; %bb.38:
	s_and_not1_saveexec_b32 s3, s3
; %bb.39:
	v_and_b32_e32 v87, 0xffff, v84
	v_or_b32_e32 v90, 0x10000, v84
	s_delay_alu instid0(VALU_DEP_2) | instskip(NEXT) | instid1(VALU_DEP_2)
	v_cmp_eq_u32_e32 vcc_lo, 0, v87
	v_cndmask_b32_e32 v87, v90, v84, vcc_lo
; %bb.40:
	s_or_b32 exec_lo, exec_lo, s3
	v_and_b32_e32 v84, 0x7f800000, v80
	s_delay_alu instid0(VALU_DEP_1) | instskip(SKIP_1) | instid1(SALU_CYCLE_1)
	v_cmp_ne_u32_e32 vcc_lo, 0x7f800000, v84
                                        ; implicit-def: $vgpr84
	s_and_saveexec_b32 s3, vcc_lo
	s_xor_b32 s3, exec_lo, s3
; %bb.41:
	v_bfe_u32 v84, v80, 16, 1
	s_delay_alu instid0(VALU_DEP_1)
	v_add3_u32 v84, v80, v84, 0x7fff
                                        ; implicit-def: $vgpr80
; %bb.42:
	s_and_not1_saveexec_b32 s3, s3
; %bb.43:
	v_and_b32_e32 v84, 0xffff, v80
	v_or_b32_e32 v90, 0x10000, v80
	s_delay_alu instid0(VALU_DEP_2) | instskip(NEXT) | instid1(VALU_DEP_2)
	v_cmp_eq_u32_e32 vcc_lo, 0, v84
	v_cndmask_b32_e32 v84, v90, v80, vcc_lo
; %bb.44:
	s_or_b32 exec_lo, exec_lo, s3
	s_load_b64 s[34:35], s[0:1], 0x94
	v_lshlrev_b32_e32 v91, 4, v74
	s_delay_alu instid0(VALU_DEP_2)
	v_perm_b32 v90, v84, v87, 0x7060302
	v_dual_mul_f32 v79, v82, v79 :: v_dual_lshlrev_b32 v80, 6, v65
	v_dual_mul_f32 v77, v82, v77 :: v_dual_lshlrev_b32 v92, 11, v66
	v_mul_f32_e32 v84, v82, v70
	v_perm_b32 v89, v88, v89, 0x7060302
	v_perm_b32 v88, v86, v85, 0x7060302
	;; [unrolled: 1-line block ×3, first 2 shown]
	v_mul_f32_e32 v70, v82, v81
	v_or3_b32 v76, v91, v92, v80
	v_dual_mul_f32 v78, v82, v78 :: v_dual_and_b32 v85, 0x7f800000, v84
	v_mul_f32_e32 v83, v82, v72
	v_mul_f32_e32 v81, v82, v71
	;; [unrolled: 1-line block ×3, first 2 shown]
	s_mov_b32 s3, exec_lo
	ds_store_b128 v76, v[87:90]
                                        ; implicit-def: $vgpr69
	v_cmpx_ne_u32_e32 0x7f800000, v85
	s_xor_b32 s3, exec_lo, s3
; %bb.45:
	v_bfe_u32 v69, v84, 16, 1
	s_delay_alu instid0(VALU_DEP_1)
	v_add3_u32 v69, v84, v69, 0x7fff
                                        ; implicit-def: $vgpr84
; %bb.46:
	s_and_not1_saveexec_b32 s3, s3
; %bb.47:
	v_and_b32_e32 v69, 0xffff, v84
	v_or_b32_e32 v71, 0x10000, v84
	s_delay_alu instid0(VALU_DEP_2) | instskip(NEXT) | instid1(VALU_DEP_2)
	v_cmp_eq_u32_e32 vcc_lo, 0, v69
	v_cndmask_b32_e32 v69, v71, v84, vcc_lo
; %bb.48:
	s_or_b32 exec_lo, exec_lo, s3
	v_and_b32_e32 v71, 0x7f800000, v72
	s_delay_alu instid0(VALU_DEP_1) | instskip(SKIP_1) | instid1(SALU_CYCLE_1)
	v_cmp_ne_u32_e32 vcc_lo, 0x7f800000, v71
                                        ; implicit-def: $vgpr71
	s_and_saveexec_b32 s3, vcc_lo
	s_xor_b32 s3, exec_lo, s3
; %bb.49:
	v_bfe_u32 v71, v72, 16, 1
	s_delay_alu instid0(VALU_DEP_1)
	v_add3_u32 v71, v72, v71, 0x7fff
                                        ; implicit-def: $vgpr72
; %bb.50:
	s_and_not1_saveexec_b32 s3, s3
; %bb.51:
	v_and_b32_e32 v71, 0xffff, v72
	v_or_b32_e32 v82, 0x10000, v72
	s_delay_alu instid0(VALU_DEP_2) | instskip(NEXT) | instid1(VALU_DEP_2)
	v_cmp_eq_u32_e32 vcc_lo, 0, v71
	v_cndmask_b32_e32 v71, v82, v72, vcc_lo
; %bb.52:
	s_or_b32 exec_lo, exec_lo, s3
	v_and_b32_e32 v72, 0x7f800000, v81
	s_delay_alu instid0(VALU_DEP_1) | instskip(SKIP_1) | instid1(SALU_CYCLE_1)
	v_cmp_ne_u32_e32 vcc_lo, 0x7f800000, v72
                                        ; implicit-def: $vgpr72
	s_and_saveexec_b32 s3, vcc_lo
	s_xor_b32 s3, exec_lo, s3
; %bb.53:
	v_bfe_u32 v72, v81, 16, 1
	s_delay_alu instid0(VALU_DEP_1)
	v_add3_u32 v72, v81, v72, 0x7fff
                                        ; implicit-def: $vgpr81
; %bb.54:
	s_and_not1_saveexec_b32 s3, s3
; %bb.55:
	v_and_b32_e32 v72, 0xffff, v81
	v_or_b32_e32 v82, 0x10000, v81
	s_delay_alu instid0(VALU_DEP_2) | instskip(NEXT) | instid1(VALU_DEP_2)
	v_cmp_eq_u32_e32 vcc_lo, 0, v72
	v_cndmask_b32_e32 v72, v82, v81, vcc_lo
; %bb.56:
	s_or_b32 exec_lo, exec_lo, s3
	v_and_b32_e32 v81, 0x7f800000, v83
	s_delay_alu instid0(VALU_DEP_1) | instskip(SKIP_1) | instid1(SALU_CYCLE_1)
	v_cmp_ne_u32_e32 vcc_lo, 0x7f800000, v81
                                        ; implicit-def: $vgpr81
	s_and_saveexec_b32 s3, vcc_lo
	s_xor_b32 s3, exec_lo, s3
; %bb.57:
	v_bfe_u32 v81, v83, 16, 1
	s_delay_alu instid0(VALU_DEP_1)
	v_add3_u32 v81, v83, v81, 0x7fff
                                        ; implicit-def: $vgpr83
; %bb.58:
	s_and_not1_saveexec_b32 s3, s3
; %bb.59:
	v_and_b32_e32 v81, 0xffff, v83
	v_or_b32_e32 v82, 0x10000, v83
	s_delay_alu instid0(VALU_DEP_2) | instskip(NEXT) | instid1(VALU_DEP_2)
	v_cmp_eq_u32_e32 vcc_lo, 0, v81
	v_cndmask_b32_e32 v81, v82, v83, vcc_lo
; %bb.60:
	s_or_b32 exec_lo, exec_lo, s3
	v_and_b32_e32 v82, 0x7f800000, v77
	s_delay_alu instid0(VALU_DEP_1) | instskip(SKIP_1) | instid1(SALU_CYCLE_1)
	v_cmp_ne_u32_e32 vcc_lo, 0x7f800000, v82
                                        ; implicit-def: $vgpr82
	s_and_saveexec_b32 s3, vcc_lo
	s_xor_b32 s3, exec_lo, s3
; %bb.61:
	v_bfe_u32 v82, v77, 16, 1
	s_delay_alu instid0(VALU_DEP_1)
	v_add3_u32 v82, v77, v82, 0x7fff
                                        ; implicit-def: $vgpr77
; %bb.62:
	s_and_not1_saveexec_b32 s3, s3
; %bb.63:
	v_and_b32_e32 v82, 0xffff, v77
	v_or_b32_e32 v83, 0x10000, v77
	s_delay_alu instid0(VALU_DEP_2) | instskip(NEXT) | instid1(VALU_DEP_2)
	v_cmp_eq_u32_e32 vcc_lo, 0, v82
	v_cndmask_b32_e32 v82, v83, v77, vcc_lo
; %bb.64:
	s_or_b32 exec_lo, exec_lo, s3
	v_and_b32_e32 v77, 0x7f800000, v78
	s_delay_alu instid0(VALU_DEP_1) | instskip(SKIP_1) | instid1(SALU_CYCLE_1)
	v_cmp_ne_u32_e32 vcc_lo, 0x7f800000, v77
                                        ; implicit-def: $vgpr77
	s_and_saveexec_b32 s3, vcc_lo
	s_xor_b32 s3, exec_lo, s3
; %bb.65:
	v_bfe_u32 v77, v78, 16, 1
	s_delay_alu instid0(VALU_DEP_1)
	v_add3_u32 v77, v78, v77, 0x7fff
                                        ; implicit-def: $vgpr78
; %bb.66:
	s_and_not1_saveexec_b32 s3, s3
; %bb.67:
	v_and_b32_e32 v77, 0xffff, v78
	v_or_b32_e32 v83, 0x10000, v78
	s_delay_alu instid0(VALU_DEP_2) | instskip(NEXT) | instid1(VALU_DEP_2)
	v_cmp_eq_u32_e32 vcc_lo, 0, v77
	v_cndmask_b32_e32 v77, v83, v78, vcc_lo
; %bb.68:
	s_or_b32 exec_lo, exec_lo, s3
	v_and_b32_e32 v78, 0x7f800000, v79
	s_delay_alu instid0(VALU_DEP_1) | instskip(SKIP_1) | instid1(SALU_CYCLE_1)
	v_cmp_ne_u32_e32 vcc_lo, 0x7f800000, v78
                                        ; implicit-def: $vgpr78
	s_and_saveexec_b32 s3, vcc_lo
	s_xor_b32 s3, exec_lo, s3
; %bb.69:
	v_bfe_u32 v78, v79, 16, 1
	s_delay_alu instid0(VALU_DEP_1)
	v_add3_u32 v78, v79, v78, 0x7fff
                                        ; implicit-def: $vgpr79
; %bb.70:
	s_and_not1_saveexec_b32 s3, s3
; %bb.71:
	v_and_b32_e32 v78, 0xffff, v79
	v_or_b32_e32 v83, 0x10000, v79
	s_delay_alu instid0(VALU_DEP_2) | instskip(NEXT) | instid1(VALU_DEP_2)
	v_cmp_eq_u32_e32 vcc_lo, 0, v78
	v_cndmask_b32_e32 v78, v83, v79, vcc_lo
; %bb.72:
	s_or_b32 exec_lo, exec_lo, s3
	v_and_b32_e32 v79, 0x7f800000, v70
	s_delay_alu instid0(VALU_DEP_1) | instskip(SKIP_1) | instid1(SALU_CYCLE_1)
	v_cmp_ne_u32_e32 vcc_lo, 0x7f800000, v79
                                        ; implicit-def: $vgpr79
	s_and_saveexec_b32 s3, vcc_lo
	s_xor_b32 s3, exec_lo, s3
; %bb.73:
	v_bfe_u32 v79, v70, 16, 1
	s_delay_alu instid0(VALU_DEP_1)
	v_add3_u32 v79, v70, v79, 0x7fff
                                        ; implicit-def: $vgpr70
; %bb.74:
	s_and_not1_saveexec_b32 s3, s3
; %bb.75:
	v_and_b32_e32 v79, 0xffff, v70
	v_or_b32_e32 v83, 0x10000, v70
	s_delay_alu instid0(VALU_DEP_2) | instskip(NEXT) | instid1(VALU_DEP_2)
	v_cmp_eq_u32_e32 vcc_lo, 0, v79
	v_cndmask_b32_e32 v79, v83, v70, vcc_lo
; %bb.76:
	s_or_b32 exec_lo, exec_lo, s3
	s_delay_alu instid0(VALU_DEP_1)
	v_perm_b32 v86, v79, v78, 0x7060302
	v_perm_b32 v85, v77, v82, 0x7060302
	;; [unrolled: 1-line block ×4, first 2 shown]
	v_lshl_or_b32 v82, v66, 11, v80
	ds_store_b128 v76, v[83:86] offset:1024
	s_waitcnt lgkmcnt(0)
	s_barrier
	buffer_gl0_inv
	ds_load_b128 v[69:72], v82
	ds_load_b128 v[83:86], v82 offset:16
	s_waitcnt lgkmcnt(1)
	v_lshrrev_b32_e32 v66, 16, v69
	s_waitcnt lgkmcnt(0)
	v_lshrrev_b32_e32 v91, 16, v83
	v_lshlrev_b32_e32 v78, 2, v74
	v_lshrrev_b32_e32 v95, 16, v70
	v_lshrrev_b32_e32 v98, 16, v84
	;; [unrolled: 1-line block ×4, first 2 shown]
	v_cmp_eq_u32_e32 vcc_lo, 1, v78
	v_lshrrev_b32_e32 v97, 16, v72
	v_lshrrev_b32_e32 v100, 16, v86
	v_cndmask_b32_e32 v87, v83, v91, vcc_lo
	v_or_b32_e32 v79, 1, v78
	v_cndmask_b32_e32 v81, v69, v66, vcc_lo
	v_cmp_eq_u32_e64 s4, 2, v78
	v_cmp_eq_u32_e64 s7, 3, v78
	;; [unrolled: 1-line block ×5, first 2 shown]
	v_cndmask_b32_e64 v81, v81, v70, s4
	v_cndmask_b32_e64 v87, v87, v84, s4
	v_cmp_eq_u32_e64 s8, 3, v79
	v_cndmask_b32_e64 v88, v69, v66, s3
	v_or_b32_e32 v77, 2, v78
	v_cndmask_b32_e64 v81, v81, v95, s7
	v_cndmask_b32_e64 v87, v87, v98, s7
	v_cndmask_b32_e64 v89, v83, v91, s3
	v_cndmask_b32_e64 v88, v88, v70, s6
	v_cmp_eq_u32_e64 s10, 5, v78
	v_cndmask_b32_e64 v81, v81, v71, s9
	v_cndmask_b32_e64 v87, v87, v85, s9
	v_cmp_eq_u32_e64 s11, 4, v79
	v_cndmask_b32_e64 v88, v88, v95, s8
	v_cmp_eq_u32_e64 s5, 1, v77
	v_cndmask_b32_e64 v89, v89, v84, s6
	v_cndmask_b32_e64 v81, v81, v96, s10
	v_cmp_eq_u32_e64 s12, 6, v78
	v_cndmask_b32_e64 v88, v88, v71, s11
	;; [unrolled: 3-line block ×3, first 2 shown]
	v_cndmask_b32_e64 v89, v89, v98, s8
	v_cndmask_b32_e64 v81, v81, v72, s12
	v_cmp_eq_u32_e64 s15, 7, v78
	v_cndmask_b32_e64 v88, v88, v96, s13
	v_cndmask_b32_e64 v87, v87, v86, s12
	v_cmp_eq_u32_e64 s16, 6, v79
	v_cmp_eq_u32_e64 s17, 2, v77
	v_cndmask_b32_e64 v89, v89, v85, s11
	v_cndmask_b32_e64 v101, v81, v97, s15
	;; [unrolled: 1-line block ×6, first 2 shown]
	v_cmp_eq_u32_e64 s18, 7, v79
	v_cmp_eq_u32_e64 s19, 3, v77
	;; [unrolled: 1-line block ×4, first 2 shown]
	v_cndmask_b32_e64 v87, v87, v84, s17
	v_cndmask_b32_e64 v103, v88, v97, s18
	;; [unrolled: 1-line block ×4, first 2 shown]
	v_or_b32_e32 v81, 3, v78
	v_cndmask_b32_e64 v93, v87, v98, s19
	v_cmp_eq_u32_e64 s24, 6, v77
	v_cndmask_b32_e64 v104, v88, v86, s16
	v_cndmask_b32_e64 v92, v89, v71, s20
	v_cmp_eq_u32_e64 s21, 1, v81
	ds_load_b128 v[87:90], v82 offset:1024
	v_cmp_eq_u32_e64 s23, 2, v81
	v_cmp_eq_u32_e64 s25, 3, v81
	v_cndmask_b32_e64 v105, v92, v96, s22
	v_cndmask_b32_e64 v66, v69, v66, s21
	;; [unrolled: 1-line block ×4, first 2 shown]
	ds_load_b128 v[91:94], v82 offset:1040
	v_cmp_eq_u32_e64 s26, 4, v81
	v_cndmask_b32_e64 v66, v66, v70, s23
	v_cmp_eq_u32_e64 s27, 7, v77
	v_cndmask_b32_e64 v70, v83, v84, s23
	v_cndmask_b32_e64 v84, v105, v72, s24
	v_cmp_eq_u32_e64 s28, 5, v81
	v_cndmask_b32_e64 v66, v66, v95, s25
	v_cmp_eq_u32_e64 s29, 6, v81
	v_cndmask_b32_e64 v70, v70, v98, s25
	v_cndmask_b32_e64 v69, v69, v99, s22
	v_cndmask_b32_e64 v83, v104, v100, s18
	v_cndmask_b32_e64 v66, v66, v71, s26
	s_waitcnt lgkmcnt(1)
	v_lshrrev_b32_e32 v95, 16, v87
	v_cndmask_b32_e64 v70, v70, v85, s26
	v_cndmask_b32_e64 v71, v84, v97, s27
	;; [unrolled: 1-line block ×4, first 2 shown]
	v_cndmask_b32_e32 v84, v87, v95, vcc_lo
	v_cndmask_b32_e64 v70, v70, v99, s28
	s_waitcnt lgkmcnt(0)
	v_lshrrev_b32_e32 v85, 16, v91
	v_lshrrev_b32_e32 v96, 16, v88
	v_cndmask_b32_e64 v98, v87, v95, s3
	v_cndmask_b32_e64 v84, v84, v88, s4
	v_cndmask_b32_e64 v70, v70, v86, s29
	v_cndmask_b32_e32 v99, v91, v85, vcc_lo
	v_cmp_eq_u32_e32 vcc_lo, 7, v81
	v_cndmask_b32_e64 v66, v66, v72, s29
	v_cndmask_b32_e64 v72, v84, v96, s7
	;; [unrolled: 1-line block ×3, first 2 shown]
	v_lshrrev_b32_e32 v98, 16, v92
	v_cndmask_b32_e32 v70, v70, v100, vcc_lo
	v_cndmask_b32_e64 v86, v99, v92, s4
	v_cndmask_b32_e64 v69, v69, v100, s27
	v_lshrrev_b32_e32 v100, 16, v93
	v_cndmask_b32_e64 v72, v72, v89, s9
	v_lshrrev_b32_e32 v99, 16, v89
	v_cndmask_b32_e64 v86, v86, v98, s7
	v_perm_b32 v71, v69, v71, 0x5040100
	v_cndmask_b32_e64 v84, v84, v96, s8
	s_delay_alu instid0(VALU_DEP_3) | instskip(NEXT) | instid1(VALU_DEP_2)
	v_cndmask_b32_e64 v86, v86, v93, s9
	v_cndmask_b32_e64 v84, v84, v89, s11
	s_delay_alu instid0(VALU_DEP_2) | instskip(NEXT) | instid1(VALU_DEP_1)
	v_cndmask_b32_e64 v86, v86, v100, s10
	v_cndmask_b32_e64 v69, v86, v94, s12
	;; [unrolled: 1-line block ×5, first 2 shown]
	s_delay_alu instid0(VALU_DEP_3) | instskip(NEXT) | instid1(VALU_DEP_3)
	v_cndmask_b32_e64 v86, v86, v88, s17
	v_cndmask_b32_e64 v87, v87, v88, s23
	s_delay_alu instid0(VALU_DEP_3) | instskip(NEXT) | instid1(VALU_DEP_3)
	v_cndmask_b32_e64 v88, v95, v92, s23
	v_cndmask_b32_e64 v86, v86, v96, s19
	;; [unrolled: 3-line block ×7, first 2 shown]
	s_delay_alu instid0(VALU_DEP_3) | instskip(SKIP_2) | instid1(VALU_DEP_2)
	v_cndmask_b32_e64 v88, v88, v94, s29
	v_cndmask_b32_e32 v66, v66, v97, vcc_lo
	v_cndmask_b32_e64 v97, v72, v99, s10
	v_perm_b32 v72, v70, v66, 0x5040100
	v_perm_b32 v70, v83, v103, 0x5040100
	v_cndmask_b32_e64 v103, v91, v85, s5
	v_cndmask_b32_e64 v85, v91, v85, s3
	;; [unrolled: 1-line block ×4, first 2 shown]
	v_lshrrev_b32_e32 v97, 16, v90
	v_cndmask_b32_e64 v91, v103, v92, s17
	v_cndmask_b32_e64 v85, v85, v92, s6
	;; [unrolled: 1-line block ×3, first 2 shown]
	s_mov_b32 s3, exec_lo
	v_cndmask_b32_e64 v83, v84, v97, s15
	v_cndmask_b32_e64 v91, v91, v98, s19
	;; [unrolled: 1-line block ×3, first 2 shown]
	v_lshrrev_b32_e32 v84, 16, v94
	v_cndmask_b32_e64 v66, v66, v97, s18
	v_cndmask_b32_e64 v90, v86, v97, s27
	;; [unrolled: 1-line block ×4, first 2 shown]
	v_dual_cndmask_b32 v86, v87, v97 :: v_dual_cndmask_b32 v87, v88, v84
	v_cndmask_b32_e64 v91, v69, v84, s15
	s_delay_alu instid0(VALU_DEP_4) | instskip(NEXT) | instid1(VALU_DEP_4)
	v_cndmask_b32_e64 v89, v89, v100, s22
	v_cndmask_b32_e64 v85, v85, v100, s13
	v_perm_b32 v69, v102, v101, 0x5040100
	v_perm_b32 v86, v87, v86, 0x5040100
	v_perm_b32 v83, v91, v83, 0x5040100
	v_cndmask_b32_e64 v89, v89, v94, s24
	v_cndmask_b32_e64 v85, v85, v94, s16
	s_mul_i32 s8, s35, 12
	s_delay_alu instid0(VALU_DEP_2) | instskip(NEXT) | instid1(VALU_DEP_2)
	v_cndmask_b32_e64 v88, v89, v84, s27
	v_cndmask_b32_e64 v89, v85, v84, s18
	s_delay_alu instid0(VALU_DEP_2) | instskip(NEXT) | instid1(VALU_DEP_2)
	v_perm_b32 v85, v88, v90, 0x5040100
	v_perm_b32 v84, v89, v66, 0x5040100
	ds_store_b128 v76, v[69:72]
	ds_store_b128 v76, v[83:86] offset:1024
	v_cmpx_gt_u32_e32 12, v0
	s_cbranch_execz .LBB1673_78
; %bb.77:
	s_mul_i32 s4, s8, s30
	s_delay_alu instid0(SALU_CYCLE_1) | instskip(SKIP_1) | instid1(VALU_DEP_1)
	v_add3_u32 v69, s4, s31, v65
	s_load_b128 s[4:7], s[0:1], 0x58
	v_mad_u64_u32 v[65:66], null, v69, s34, s[14:15]
	s_delay_alu instid0(VALU_DEP_1) | instskip(NEXT) | instid1(VALU_DEP_1)
	v_ashrrev_i32_e32 v66, 31, v65
	v_lshlrev_b64 v[65:66], 2, v[65:66]
	s_waitcnt lgkmcnt(0)
	s_delay_alu instid0(VALU_DEP_1) | instskip(NEXT) | instid1(VALU_DEP_2)
	v_add_co_u32 v69, vcc_lo, s6, v65
	v_add_co_ci_u32_e32 v70, vcc_lo, s7, v66, vcc_lo
	v_add_co_u32 v65, vcc_lo, s4, v65
	v_add_co_ci_u32_e32 v66, vcc_lo, s5, v66, vcc_lo
	global_store_b32 v[69:70], v67, off
	global_store_b32 v[65:66], v68, off
.LBB1673_78:
	s_or_b32 exec_lo, exec_lo, s3
	s_waitcnt lgkmcnt(0)
	s_waitcnt_vscnt null, 0x0
	s_barrier
	buffer_gl0_inv
	ds_load_b128 v[83:86], v80
	ds_load_b128 v[87:90], v80 offset:16
	ds_load_b128 v[95:98], v80 offset:2064
	;; [unrolled: 1-line block ×3, first 2 shown]
	v_mov_b32_e32 v65, 0
	ds_load_b128 v[103:106], v80 offset:4112
	ds_load_b128 v[99:102], v80 offset:4096
	;; [unrolled: 1-line block ×4, first 2 shown]
	v_mov_b32_e32 v66, v65
	v_mov_b32_e32 v67, v65
	;; [unrolled: 1-line block ×7, first 2 shown]
	s_waitcnt lgkmcnt(6)
	s_delay_alu instid0(VALU_DEP_1)
	v_wmma_f32_16x16x16_bf16 v[65:72], v[57:64], v[83:90], v[65:72]
	ds_load_b128 v[61:64], v80 offset:8208
	ds_load_b128 v[57:60], v80 offset:8192
	s_waitcnt lgkmcnt(6)
	v_wmma_f32_16x16x16_bf16 v[65:72], v[41:48], v[91:98], v[65:72]
	ds_load_b128 v[45:48], v80 offset:10256
	ds_load_b128 v[41:44], v80 offset:10240
	s_waitcnt lgkmcnt(6)
	;; [unrolled: 4-line block ×4, first 2 shown]
	v_wmma_f32_16x16x16_bf16 v[65:72], v[1:8], v[57:64], v[65:72]
	s_waitcnt lgkmcnt(4)
	s_delay_alu instid0(VALU_DEP_1) | instskip(SKIP_1) | instid1(VALU_DEP_1)
	v_wmma_f32_16x16x16_bf16 v[65:72], v[9:16], v[41:48], v[65:72]
	s_waitcnt lgkmcnt(2)
	v_wmma_f32_16x16x16_bf16 v[65:72], v[17:24], v[33:40], v[65:72]
	s_waitcnt lgkmcnt(0)
	s_delay_alu instid0(VALU_DEP_1) | instskip(NEXT) | instid1(VALU_DEP_1)
	v_wmma_f32_16x16x16_bf16 v[65:72], v[49:56], v[25:32], v[65:72]
	v_and_b32_e32 v1, 0x7f800000, v65
	s_delay_alu instid0(VALU_DEP_1) | instskip(SKIP_1) | instid1(SALU_CYCLE_1)
	v_cmp_ne_u32_e32 vcc_lo, 0x7f800000, v1
                                        ; implicit-def: $vgpr1
	s_and_saveexec_b32 s3, vcc_lo
	s_xor_b32 s3, exec_lo, s3
; %bb.79:
	v_bfe_u32 v1, v65, 16, 1
	s_delay_alu instid0(VALU_DEP_1)
	v_add3_u32 v1, v65, v1, 0x7fff
; %bb.80:
	s_and_not1_saveexec_b32 s3, s3
; %bb.81:
	v_and_b32_e32 v1, 0xffff, v65
	v_or_b32_e32 v2, 0x10000, v65
	s_delay_alu instid0(VALU_DEP_2) | instskip(NEXT) | instid1(VALU_DEP_2)
	v_cmp_eq_u32_e32 vcc_lo, 0, v1
	v_cndmask_b32_e32 v1, v2, v65, vcc_lo
; %bb.82:
	s_or_b32 exec_lo, exec_lo, s3
	v_and_b32_e32 v2, 0x7f800000, v66
	s_delay_alu instid0(VALU_DEP_1) | instskip(SKIP_1) | instid1(SALU_CYCLE_1)
	v_cmp_ne_u32_e32 vcc_lo, 0x7f800000, v2
                                        ; implicit-def: $vgpr2
	s_and_saveexec_b32 s3, vcc_lo
	s_xor_b32 s3, exec_lo, s3
; %bb.83:
	v_bfe_u32 v2, v66, 16, 1
	s_delay_alu instid0(VALU_DEP_1)
	v_add3_u32 v2, v66, v2, 0x7fff
; %bb.84:
	s_and_not1_saveexec_b32 s3, s3
; %bb.85:
	v_and_b32_e32 v2, 0xffff, v66
	v_or_b32_e32 v3, 0x10000, v66
	s_delay_alu instid0(VALU_DEP_2) | instskip(NEXT) | instid1(VALU_DEP_2)
	v_cmp_eq_u32_e32 vcc_lo, 0, v2
	v_cndmask_b32_e32 v2, v3, v66, vcc_lo
; %bb.86:
	s_or_b32 exec_lo, exec_lo, s3
	v_and_b32_e32 v3, 0x7f800000, v67
	s_delay_alu instid0(VALU_DEP_1) | instskip(SKIP_1) | instid1(SALU_CYCLE_1)
	v_cmp_ne_u32_e32 vcc_lo, 0x7f800000, v3
                                        ; implicit-def: $vgpr3
	s_and_saveexec_b32 s3, vcc_lo
	s_xor_b32 s3, exec_lo, s3
; %bb.87:
	v_bfe_u32 v3, v67, 16, 1
	s_delay_alu instid0(VALU_DEP_1)
	v_add3_u32 v3, v67, v3, 0x7fff
; %bb.88:
	s_and_not1_saveexec_b32 s3, s3
; %bb.89:
	v_and_b32_e32 v3, 0xffff, v67
	v_or_b32_e32 v4, 0x10000, v67
	s_delay_alu instid0(VALU_DEP_2) | instskip(NEXT) | instid1(VALU_DEP_2)
	v_cmp_eq_u32_e32 vcc_lo, 0, v3
	v_cndmask_b32_e32 v3, v4, v67, vcc_lo
; %bb.90:
	s_or_b32 exec_lo, exec_lo, s3
	v_and_b32_e32 v4, 0x7f800000, v68
	s_delay_alu instid0(VALU_DEP_1) | instskip(SKIP_1) | instid1(SALU_CYCLE_1)
	v_cmp_ne_u32_e32 vcc_lo, 0x7f800000, v4
                                        ; implicit-def: $vgpr4
	s_and_saveexec_b32 s3, vcc_lo
	s_xor_b32 s3, exec_lo, s3
; %bb.91:
	v_bfe_u32 v4, v68, 16, 1
	s_delay_alu instid0(VALU_DEP_1)
	v_add3_u32 v4, v68, v4, 0x7fff
; %bb.92:
	s_and_not1_saveexec_b32 s3, s3
; %bb.93:
	v_and_b32_e32 v4, 0xffff, v68
	v_or_b32_e32 v5, 0x10000, v68
	s_delay_alu instid0(VALU_DEP_2) | instskip(NEXT) | instid1(VALU_DEP_2)
	v_cmp_eq_u32_e32 vcc_lo, 0, v4
	v_cndmask_b32_e32 v4, v5, v68, vcc_lo
; %bb.94:
	s_or_b32 exec_lo, exec_lo, s3
	v_and_b32_e32 v5, 0x7f800000, v69
	s_delay_alu instid0(VALU_DEP_1) | instskip(SKIP_1) | instid1(SALU_CYCLE_1)
	v_cmp_ne_u32_e32 vcc_lo, 0x7f800000, v5
                                        ; implicit-def: $vgpr5
	s_and_saveexec_b32 s3, vcc_lo
	s_xor_b32 s3, exec_lo, s3
; %bb.95:
	v_bfe_u32 v5, v69, 16, 1
	s_delay_alu instid0(VALU_DEP_1)
	v_add3_u32 v5, v69, v5, 0x7fff
; %bb.96:
	s_and_not1_saveexec_b32 s3, s3
; %bb.97:
	v_and_b32_e32 v5, 0xffff, v69
	v_or_b32_e32 v6, 0x10000, v69
	s_delay_alu instid0(VALU_DEP_2) | instskip(NEXT) | instid1(VALU_DEP_2)
	v_cmp_eq_u32_e32 vcc_lo, 0, v5
	v_cndmask_b32_e32 v5, v6, v69, vcc_lo
; %bb.98:
	s_or_b32 exec_lo, exec_lo, s3
	v_and_b32_e32 v6, 0x7f800000, v70
	s_delay_alu instid0(VALU_DEP_1) | instskip(SKIP_1) | instid1(SALU_CYCLE_1)
	v_cmp_ne_u32_e32 vcc_lo, 0x7f800000, v6
                                        ; implicit-def: $vgpr6
	s_and_saveexec_b32 s3, vcc_lo
	s_xor_b32 s3, exec_lo, s3
; %bb.99:
	v_bfe_u32 v6, v70, 16, 1
	s_delay_alu instid0(VALU_DEP_1)
	v_add3_u32 v6, v70, v6, 0x7fff
; %bb.100:
	s_and_not1_saveexec_b32 s3, s3
; %bb.101:
	v_and_b32_e32 v6, 0xffff, v70
	v_or_b32_e32 v7, 0x10000, v70
	s_delay_alu instid0(VALU_DEP_2) | instskip(NEXT) | instid1(VALU_DEP_2)
	v_cmp_eq_u32_e32 vcc_lo, 0, v6
	v_cndmask_b32_e32 v6, v7, v70, vcc_lo
; %bb.102:
	s_or_b32 exec_lo, exec_lo, s3
	v_and_b32_e32 v7, 0x7f800000, v71
	s_delay_alu instid0(VALU_DEP_1) | instskip(SKIP_1) | instid1(SALU_CYCLE_1)
	v_cmp_ne_u32_e32 vcc_lo, 0x7f800000, v7
                                        ; implicit-def: $vgpr7
	s_and_saveexec_b32 s3, vcc_lo
	s_xor_b32 s3, exec_lo, s3
; %bb.103:
	v_bfe_u32 v7, v71, 16, 1
	s_delay_alu instid0(VALU_DEP_1)
	v_add3_u32 v7, v71, v7, 0x7fff
; %bb.104:
	s_and_not1_saveexec_b32 s3, s3
; %bb.105:
	v_and_b32_e32 v7, 0xffff, v71
	v_or_b32_e32 v8, 0x10000, v71
	s_delay_alu instid0(VALU_DEP_2) | instskip(NEXT) | instid1(VALU_DEP_2)
	v_cmp_eq_u32_e32 vcc_lo, 0, v7
	v_cndmask_b32_e32 v7, v8, v71, vcc_lo
; %bb.106:
	s_or_b32 exec_lo, exec_lo, s3
	v_and_b32_e32 v8, 0x7f800000, v72
	s_delay_alu instid0(VALU_DEP_1) | instskip(SKIP_1) | instid1(SALU_CYCLE_1)
	v_cmp_ne_u32_e32 vcc_lo, 0x7f800000, v8
                                        ; implicit-def: $vgpr8
	s_and_saveexec_b32 s3, vcc_lo
	s_xor_b32 s3, exec_lo, s3
; %bb.107:
	v_bfe_u32 v8, v72, 16, 1
	s_delay_alu instid0(VALU_DEP_1)
	v_add3_u32 v8, v72, v8, 0x7fff
                                        ; implicit-def: $vgpr65_vgpr66_vgpr67_vgpr68_vgpr69_vgpr70_vgpr71_vgpr72
; %bb.108:
	s_and_not1_saveexec_b32 s3, s3
; %bb.109:
	v_and_b32_e32 v8, 0xffff, v72
	v_or_b32_e32 v9, 0x10000, v72
	s_delay_alu instid0(VALU_DEP_2) | instskip(NEXT) | instid1(VALU_DEP_2)
	v_cmp_eq_u32_e32 vcc_lo, 0, v8
	v_cndmask_b32_e32 v8, v9, v72, vcc_lo
; %bb.110:
	s_or_b32 exec_lo, exec_lo, s3
	s_delay_alu instid0(VALU_DEP_1)
	v_perm_b32 v7, v8, v7, 0x7060302
	v_perm_b32 v6, v6, v5, 0x7060302
	v_perm_b32 v5, v4, v3, 0x7060302
	v_perm_b32 v4, v2, v1, 0x7060302
	s_barrier
	buffer_gl0_inv
	v_cmp_eq_u32_e32 vcc_lo, 1, v78
	ds_store_b128 v76, v[4:7]
	s_waitcnt lgkmcnt(0)
	s_barrier
	buffer_gl0_inv
	ds_load_b128 v[1:4], v82
	ds_load_b128 v[5:8], v82 offset:16
	v_cmp_eq_u32_e64 s3, 1, v79
	v_cmp_eq_u32_e64 s4, 2, v78
	;; [unrolled: 1-line block ×5, first 2 shown]
	s_waitcnt lgkmcnt(1)
	v_lshrrev_b32_e32 v9, 16, v1
	s_waitcnt lgkmcnt(0)
	v_lshrrev_b32_e32 v13, 16, v5
	v_lshrrev_b32_e32 v10, 16, v2
	;; [unrolled: 1-line block ×4, first 2 shown]
	v_cndmask_b32_e64 v19, v1, v9, s3
	v_cndmask_b32_e32 v18, v5, v13, vcc_lo
	v_cndmask_b32_e64 v20, v5, v13, s3
	v_cndmask_b32_e32 v17, v1, v9, vcc_lo
	v_cmp_eq_u32_e32 vcc_lo, 2, v79
	v_lshrrev_b32_e32 v15, 16, v7
	v_cmp_eq_u32_e64 s3, 1, v77
	v_lshrrev_b32_e32 v12, 16, v4
	v_lshrrev_b32_e32 v16, 16, v8
	v_cndmask_b32_e32 v20, v20, v6, vcc_lo
	v_cndmask_b32_e64 v17, v17, v2, s4
	v_cndmask_b32_e32 v19, v19, v2, vcc_lo
	v_cndmask_b32_e64 v18, v18, v6, s4
	v_cmp_eq_u32_e32 vcc_lo, 4, v78
	v_cmp_eq_u32_e64 s4, 3, v79
	v_cndmask_b32_e64 v17, v17, v10, s5
	v_cndmask_b32_e64 v21, v1, v9, s3
	;; [unrolled: 1-line block ×5, first 2 shown]
	v_cndmask_b32_e32 v17, v17, v3, vcc_lo
	v_cndmask_b32_e64 v20, v20, v14, s4
	v_cndmask_b32_e32 v18, v18, v7, vcc_lo
	v_cmp_eq_u32_e32 vcc_lo, 4, v79
	v_cmp_eq_u32_e64 s4, 5, v79
	v_cmp_eq_u32_e64 s3, 2, v81
	v_cndmask_b32_e64 v21, v21, v2, s7
	v_cmp_eq_u32_e64 s5, 5, v78
	v_cndmask_b32_e32 v19, v19, v3, vcc_lo
	v_cndmask_b32_e32 v20, v20, v7, vcc_lo
	v_cmp_eq_u32_e32 vcc_lo, 6, v79
	s_delay_alu instid0(VALU_DEP_4) | instskip(NEXT) | instid1(VALU_DEP_4)
	v_cndmask_b32_e64 v17, v17, v11, s5
	v_cndmask_b32_e64 v19, v19, v11, s4
	s_delay_alu instid0(VALU_DEP_4) | instskip(SKIP_1) | instid1(VALU_DEP_3)
	v_cndmask_b32_e64 v20, v20, v15, s4
	v_cmp_eq_u32_e64 s4, 1, v81
	v_cndmask_b32_e32 v19, v19, v4, vcc_lo
	v_cndmask_b32_e64 v18, v18, v15, s5
	s_delay_alu instid0(VALU_DEP_3)
	v_cndmask_b32_e64 v1, v1, v9, s4
	v_cndmask_b32_e64 v5, v5, v13, s4
	v_cmp_eq_u32_e64 s4, 3, v77
	v_cndmask_b32_e64 v13, v22, v6, s7
	v_cmp_eq_u32_e64 s7, 3, v81
	v_cndmask_b32_e64 v1, v1, v2, s3
	v_cndmask_b32_e64 v2, v5, v6, s3
	;; [unrolled: 1-line block ×3, first 2 shown]
	v_cmp_eq_u32_e64 s3, 4, v77
	v_cndmask_b32_e64 v6, v13, v14, s4
	v_cndmask_b32_e64 v1, v1, v10, s7
	v_cmp_eq_u32_e64 s4, 4, v81
	v_cndmask_b32_e64 v2, v2, v14, s7
	v_cndmask_b32_e64 v5, v9, v3, s3
	;; [unrolled: 3-line block ×3, first 2 shown]
	v_cndmask_b32_e64 v2, v2, v7, s4
	v_cmp_eq_u32_e64 s3, 5, v81
	v_cmp_eq_u32_e64 s5, 6, v78
	v_cndmask_b32_e64 v5, v5, v11, s7
	v_cmp_eq_u32_e64 s4, 6, v77
	v_cndmask_b32_e64 v3, v6, v15, s7
	v_cndmask_b32_e64 v1, v1, v11, s3
	v_cmp_eq_u32_e64 s7, 6, v81
	v_cndmask_b32_e64 v2, v2, v15, s3
	v_cndmask_b32_e64 v17, v17, v4, s5
	v_cndmask_b32_e64 v18, v18, v8, s5
	v_cmp_eq_u32_e64 s5, 7, v78
	v_cndmask_b32_e64 v5, v5, v4, s4
	;; [unrolled: 4-line block ×3, first 2 shown]
	v_cmp_eq_u32_e64 s4, 7, v77
	v_cndmask_b32_e32 v4, v20, v8, vcc_lo
	v_cndmask_b32_e64 v17, v17, v12, s5
	v_cndmask_b32_e64 v19, v19, v12, s6
	;; [unrolled: 1-line block ×8, first 2 shown]
	v_cmp_gt_u32_e32 vcc_lo, 32, v0
	v_perm_b32 v4, v2, v1, 0x5040100
	v_perm_b32 v3, v3, v5, 0x5040100
	;; [unrolled: 1-line block ×4, first 2 shown]
	s_and_b32 s2, vcc_lo, s2
	ds_store_b128 v76, v[1:4]
	s_waitcnt lgkmcnt(0)
	s_barrier
	buffer_gl0_inv
	s_and_saveexec_b32 s3, s2
	s_cbranch_execz .LBB1673_2
; %bb.111:
	s_load_b64 s[0:1], s[0:1], 0x68
	v_lshlrev_b32_e32 v0, 10, v0
	s_lshl_b32 s4, s34, 6
	v_or_b32_e32 v3, s31, v74
	s_mul_i32 s2, s4, s30
	v_lshlrev_b32_e32 v1, 4, v75
	s_mul_i32 s2, s2, s8
	v_lshlrev_b32_e32 v2, 6, v74
	v_and_b32_e32 v0, 0x3800, v0
	s_ashr_i32 s3, s2, 31
	v_mul_lo_u32 v4, v3, s4
	s_lshl_b64 s[2:3], s[2:3], 1
	s_delay_alu instid0(VALU_DEP_2) | instskip(NEXT) | instid1(VALU_DEP_2)
	v_or3_b32 v16, v0, v1, v2
	v_ashrrev_i32_e32 v5, 31, v4
	ds_load_b128 v[0:3], v16
	s_waitcnt lgkmcnt(0)
	s_add_u32 s2, s0, s2
	s_addc_u32 s3, s1, s3
	s_lshl_b32 s0, s14, 6
	v_lshlrev_b64 v[5:6], 1, v[4:5]
	s_ashr_i32 s1, s0, 31
	s_delay_alu instid0(SALU_CYCLE_1) | instskip(NEXT) | instid1(SALU_CYCLE_1)
	s_lshl_b64 s[0:1], s[0:1], 1
	s_add_u32 s0, s2, s0
	s_addc_u32 s1, s3, s1
	s_lshl_b32 s2, s34, 7
	v_add_co_u32 v30, s0, s0, v73
	v_add_nc_u32_e32 v8, s2, v4
	v_add_co_ci_u32_e64 v31, null, s1, 0, s0
	s_delay_alu instid0(VALU_DEP_3) | instskip(NEXT) | instid1(VALU_DEP_3)
	v_add_co_u32 v12, vcc_lo, v30, v5
	v_add_nc_u32_e32 v10, s2, v8
	v_ashrrev_i32_e32 v9, 31, v8
	s_delay_alu instid0(VALU_DEP_4)
	v_add_co_ci_u32_e32 v13, vcc_lo, v31, v6, vcc_lo
	ds_load_b128 v[4:7], v16 offset:128
	v_ashrrev_i32_e32 v11, 31, v10
	v_lshlrev_b64 v[8:9], 1, v[8:9]
	v_add_nc_u32_e32 v14, s2, v10
	global_store_b128 v[12:13], v[0:3], off
	v_lshlrev_b64 v[0:1], 1, v[10:11]
	v_ashrrev_i32_e32 v15, 31, v14
	v_add_co_u32 v22, vcc_lo, v30, v8
	v_add_nc_u32_e32 v20, s2, v14
	v_add_co_ci_u32_e32 v23, vcc_lo, v31, v9, vcc_lo
	v_add_co_u32 v26, vcc_lo, v30, v0
	v_lshlrev_b64 v[24:25], 1, v[14:15]
	v_add_co_ci_u32_e32 v27, vcc_lo, v31, v1, vcc_lo
	ds_load_b128 v[0:3], v16 offset:256
	ds_load_b128 v[8:11], v16 offset:384
	;; [unrolled: 1-line block ×4, first 2 shown]
	v_add_nc_u32_e32 v28, s2, v20
	v_ashrrev_i32_e32 v21, 31, v20
	v_add_co_u32 v24, vcc_lo, v30, v24
	v_add_co_ci_u32_e32 v25, vcc_lo, v31, v25, vcc_lo
	s_delay_alu instid0(VALU_DEP_4) | instskip(NEXT) | instid1(VALU_DEP_4)
	v_ashrrev_i32_e32 v29, 31, v28
	v_lshlrev_b64 v[20:21], 1, v[20:21]
	s_delay_alu instid0(VALU_DEP_2) | instskip(NEXT) | instid1(VALU_DEP_2)
	v_lshlrev_b64 v[28:29], 1, v[28:29]
	v_add_co_u32 v20, vcc_lo, v30, v20
	s_delay_alu instid0(VALU_DEP_3) | instskip(NEXT) | instid1(VALU_DEP_3)
	v_add_co_ci_u32_e32 v21, vcc_lo, v31, v21, vcc_lo
	v_add_co_u32 v28, vcc_lo, v30, v28
	s_delay_alu instid0(VALU_DEP_4)
	v_add_co_ci_u32_e32 v29, vcc_lo, v31, v29, vcc_lo
	s_waitcnt lgkmcnt(4)
	global_store_b128 v[22:23], v[4:7], off
	s_waitcnt lgkmcnt(3)
	global_store_b128 v[26:27], v[0:3], off
	;; [unrolled: 2-line block ×5, first 2 shown]
	s_nop 0
	s_sendmsg sendmsg(MSG_DEALLOC_VGPRS)
	s_endpgm
	.section	.rodata,"a",@progbits
	.p2align	6, 0x0
	.amdhsa_kernel _Z39paged_attention_ll4mi_QKV_mfma16_kernelI14__hip_bfloat16hLN4vllm18Fp8KVCacheDataTypeE1EhLi16ELi64ELi256ELb1ELi12EL8MFMAType0EEvPKT_PKT0_S9_ifPKiSB_SB_iPKfiiiPfSE_PS4_PT2_iSD_SD_
		.amdhsa_group_segment_fixed_size 17472
		.amdhsa_private_segment_fixed_size 0
		.amdhsa_kernarg_size 400
		.amdhsa_user_sgpr_count 13
		.amdhsa_user_sgpr_dispatch_ptr 0
		.amdhsa_user_sgpr_queue_ptr 0
		.amdhsa_user_sgpr_kernarg_segment_ptr 1
		.amdhsa_user_sgpr_dispatch_id 0
		.amdhsa_user_sgpr_private_segment_size 0
		.amdhsa_wavefront_size32 1
		.amdhsa_uses_dynamic_stack 0
		.amdhsa_enable_private_segment 0
		.amdhsa_system_sgpr_workgroup_id_x 1
		.amdhsa_system_sgpr_workgroup_id_y 1
		.amdhsa_system_sgpr_workgroup_id_z 1
		.amdhsa_system_sgpr_workgroup_info 0
		.amdhsa_system_vgpr_workitem_id 0
		.amdhsa_next_free_vgpr 124
		.amdhsa_next_free_sgpr 38
		.amdhsa_reserve_vcc 1
		.amdhsa_float_round_mode_32 0
		.amdhsa_float_round_mode_16_64 0
		.amdhsa_float_denorm_mode_32 3
		.amdhsa_float_denorm_mode_16_64 3
		.amdhsa_dx10_clamp 1
		.amdhsa_ieee_mode 1
		.amdhsa_fp16_overflow 0
		.amdhsa_workgroup_processor_mode 1
		.amdhsa_memory_ordered 1
		.amdhsa_forward_progress 0
		.amdhsa_shared_vgpr_count 0
		.amdhsa_exception_fp_ieee_invalid_op 0
		.amdhsa_exception_fp_denorm_src 0
		.amdhsa_exception_fp_ieee_div_zero 0
		.amdhsa_exception_fp_ieee_overflow 0
		.amdhsa_exception_fp_ieee_underflow 0
		.amdhsa_exception_fp_ieee_inexact 0
		.amdhsa_exception_int_div_zero 0
	.end_amdhsa_kernel
	.section	.text._Z39paged_attention_ll4mi_QKV_mfma16_kernelI14__hip_bfloat16hLN4vllm18Fp8KVCacheDataTypeE1EhLi16ELi64ELi256ELb1ELi12EL8MFMAType0EEvPKT_PKT0_S9_ifPKiSB_SB_iPKfiiiPfSE_PS4_PT2_iSD_SD_,"axG",@progbits,_Z39paged_attention_ll4mi_QKV_mfma16_kernelI14__hip_bfloat16hLN4vllm18Fp8KVCacheDataTypeE1EhLi16ELi64ELi256ELb1ELi12EL8MFMAType0EEvPKT_PKT0_S9_ifPKiSB_SB_iPKfiiiPfSE_PS4_PT2_iSD_SD_,comdat
.Lfunc_end1673:
	.size	_Z39paged_attention_ll4mi_QKV_mfma16_kernelI14__hip_bfloat16hLN4vllm18Fp8KVCacheDataTypeE1EhLi16ELi64ELi256ELb1ELi12EL8MFMAType0EEvPKT_PKT0_S9_ifPKiSB_SB_iPKfiiiPfSE_PS4_PT2_iSD_SD_, .Lfunc_end1673-_Z39paged_attention_ll4mi_QKV_mfma16_kernelI14__hip_bfloat16hLN4vllm18Fp8KVCacheDataTypeE1EhLi16ELi64ELi256ELb1ELi12EL8MFMAType0EEvPKT_PKT0_S9_ifPKiSB_SB_iPKfiiiPfSE_PS4_PT2_iSD_SD_
                                        ; -- End function
	.section	.AMDGPU.csdata,"",@progbits
; Kernel info:
; codeLenInByte = 8808
; NumSgprs: 40
; NumVgprs: 124
; ScratchSize: 0
; MemoryBound: 0
; FloatMode: 240
; IeeeMode: 1
; LDSByteSize: 17472 bytes/workgroup (compile time only)
; SGPRBlocks: 4
; VGPRBlocks: 15
; NumSGPRsForWavesPerEU: 40
; NumVGPRsForWavesPerEU: 124
; Occupancy: 10
; WaveLimiterHint : 1
; COMPUTE_PGM_RSRC2:SCRATCH_EN: 0
; COMPUTE_PGM_RSRC2:USER_SGPR: 13
; COMPUTE_PGM_RSRC2:TRAP_HANDLER: 0
; COMPUTE_PGM_RSRC2:TGID_X_EN: 1
; COMPUTE_PGM_RSRC2:TGID_Y_EN: 1
; COMPUTE_PGM_RSRC2:TGID_Z_EN: 1
; COMPUTE_PGM_RSRC2:TIDIG_COMP_CNT: 0
	.section	.text._Z39paged_attention_ll4mi_QKV_mfma16_kernelI14__hip_bfloat16hLN4vllm18Fp8KVCacheDataTypeE1EhLi16ELi64ELi256ELb1ELi13EL8MFMAType0EEvPKT_PKT0_S9_ifPKiSB_SB_iPKfiiiPfSE_PS4_PT2_iSD_SD_,"axG",@progbits,_Z39paged_attention_ll4mi_QKV_mfma16_kernelI14__hip_bfloat16hLN4vllm18Fp8KVCacheDataTypeE1EhLi16ELi64ELi256ELb1ELi13EL8MFMAType0EEvPKT_PKT0_S9_ifPKiSB_SB_iPKfiiiPfSE_PS4_PT2_iSD_SD_,comdat
	.protected	_Z39paged_attention_ll4mi_QKV_mfma16_kernelI14__hip_bfloat16hLN4vllm18Fp8KVCacheDataTypeE1EhLi16ELi64ELi256ELb1ELi13EL8MFMAType0EEvPKT_PKT0_S9_ifPKiSB_SB_iPKfiiiPfSE_PS4_PT2_iSD_SD_ ; -- Begin function _Z39paged_attention_ll4mi_QKV_mfma16_kernelI14__hip_bfloat16hLN4vllm18Fp8KVCacheDataTypeE1EhLi16ELi64ELi256ELb1ELi13EL8MFMAType0EEvPKT_PKT0_S9_ifPKiSB_SB_iPKfiiiPfSE_PS4_PT2_iSD_SD_
	.globl	_Z39paged_attention_ll4mi_QKV_mfma16_kernelI14__hip_bfloat16hLN4vllm18Fp8KVCacheDataTypeE1EhLi16ELi64ELi256ELb1ELi13EL8MFMAType0EEvPKT_PKT0_S9_ifPKiSB_SB_iPKfiiiPfSE_PS4_PT2_iSD_SD_
	.p2align	8
	.type	_Z39paged_attention_ll4mi_QKV_mfma16_kernelI14__hip_bfloat16hLN4vllm18Fp8KVCacheDataTypeE1EhLi16ELi64ELi256ELb1ELi13EL8MFMAType0EEvPKT_PKT0_S9_ifPKiSB_SB_iPKfiiiPfSE_PS4_PT2_iSD_SD_,@function
_Z39paged_attention_ll4mi_QKV_mfma16_kernelI14__hip_bfloat16hLN4vllm18Fp8KVCacheDataTypeE1EhLi16ELi64ELi256ELb1ELi13EL8MFMAType0EEvPKT_PKT0_S9_ifPKiSB_SB_iPKfiiiPfSE_PS4_PT2_iSD_SD_: ; @_Z39paged_attention_ll4mi_QKV_mfma16_kernelI14__hip_bfloat16hLN4vllm18Fp8KVCacheDataTypeE1EhLi16ELi64ELi256ELb1ELi13EL8MFMAType0EEvPKT_PKT0_S9_ifPKiSB_SB_iPKfiiiPfSE_PS4_PT2_iSD_SD_
; %bb.0:
	s_load_b64 s[2:3], s[0:1], 0x30
	s_mov_b32 s34, s13
	s_waitcnt lgkmcnt(0)
	s_cmp_lg_u64 s[2:3], 0
	s_cselect_b32 s8, -1, 0
	s_ashr_i32 s35, s13, 31
	s_cmp_eq_u64 s[2:3], 0
	s_cbranch_scc1 .LBB1674_3
; %bb.1:
	s_lshl_b64 s[4:5], s[34:35], 2
	s_delay_alu instid0(SALU_CYCLE_1) | instskip(SKIP_4) | instid1(SALU_CYCLE_1)
	s_add_u32 s4, s2, s4
	s_addc_u32 s5, s3, s5
	s_load_b64 s[4:5], s[4:5], 0x0
	s_waitcnt lgkmcnt(0)
	s_sub_i32 s4, s5, s4
	s_cmp_eq_u32 s4, 1
	s_cselect_b32 s4, -1, 0
	s_delay_alu instid0(SALU_CYCLE_1)
	s_and_not1_b32 vcc_lo, exec_lo, s4
	s_cbranch_vccz .LBB1674_4
.LBB1674_2:
	s_nop 0
	s_sendmsg sendmsg(MSG_DEALLOC_VGPRS)
	s_endpgm
.LBB1674_3:
.LBB1674_4:
	s_load_b64 s[4:5], s[0:1], 0x28
	s_lshl_b64 s[6:7], s[34:35], 2
	s_waitcnt lgkmcnt(0)
	s_add_u32 s4, s4, s6
	s_addc_u32 s5, s5, s7
	s_lshl_b32 s12, s14, 8
	s_load_b32 s24, s[4:5], 0x0
	s_waitcnt lgkmcnt(0)
	s_cmp_ge_i32 s12, s24
	s_cbranch_scc1 .LBB1674_2
; %bb.5:
	s_clause 0x1
	s_load_b128 s[20:23], s[0:1], 0x8
	s_load_b64 s[4:5], s[0:1], 0x20
	s_and_not1_b32 vcc_lo, exec_lo, s8
	s_cbranch_vccnz .LBB1674_7
; %bb.6:
	s_add_u32 s2, s2, s6
	s_addc_u32 s3, s3, s7
	s_load_b32 s3, s[2:3], 0x0
	s_branch .LBB1674_8
.LBB1674_7:
	s_mov_b32 s3, s34
.LBB1674_8:
	s_load_b128 s[16:19], s[0:1], 0x48
	v_lshrrev_b32_e32 v66, 5, v0
	v_bfe_u32 v74, v0, 4, 1
	v_and_b32_e32 v65, 15, v0
	v_and_b32_e32 v67, 31, v0
	v_and_b32_e32 v75, 1, v0
	s_mul_i32 s31, s15, 13
	v_lshl_or_b32 v1, v66, 1, v74
	v_lshlrev_b32_e32 v2, 3, v65
	v_cmp_gt_u32_e64 s2, 8, v65
	s_delay_alu instid0(VALU_DEP_3) | instskip(NEXT) | instid1(VALU_DEP_3)
	v_cmp_gt_u32_e32 vcc_lo, 13, v1
	v_lshlrev_b32_e32 v73, 1, v2
	s_delay_alu instid0(VALU_DEP_3) | instskip(NEXT) | instid1(SALU_CYCLE_1)
	s_and_b32 s7, s2, vcc_lo
	s_and_saveexec_b32 s6, s7
	s_cbranch_execz .LBB1674_10
; %bb.9:
	s_load_b64 s[8:9], s[0:1], 0x0
	v_add_lshl_u32 v2, v1, s31, 6
	s_waitcnt lgkmcnt(0)
	s_mul_hi_i32 s11, s3, s16
	s_mul_i32 s10, s3, s16
	v_lshlrev_b32_e32 v6, 10, v65
	s_lshl_b64 s[10:11], s[10:11], 1
	v_ashrrev_i32_e32 v3, 31, v2
	v_lshlrev_b32_e32 v1, 6, v1
	v_lshlrev_b32_e32 v7, 10, v75
	v_and_b32_e32 v6, 0x3800, v6
	s_delay_alu instid0(VALU_DEP_4) | instskip(NEXT) | instid1(VALU_DEP_2)
	v_lshlrev_b64 v[2:3], 1, v[2:3]
	v_or3_b32 v1, v6, v7, v1
	s_add_u32 s3, s8, s10
	s_addc_u32 s7, s9, s11
	s_delay_alu instid0(VALU_DEP_2) | instskip(NEXT) | instid1(VALU_DEP_3)
	v_add_co_u32 v2, vcc_lo, s3, v2
	v_add_co_ci_u32_e32 v3, vcc_lo, s7, v3, vcc_lo
	s_delay_alu instid0(VALU_DEP_2) | instskip(NEXT) | instid1(VALU_DEP_2)
	v_add_co_u32 v2, vcc_lo, v2, v73
	v_add_co_ci_u32_e32 v3, vcc_lo, 0, v3, vcc_lo
	global_load_b128 v[2:5], v[2:3], off
	s_waitcnt vmcnt(0)
	ds_store_b128 v1, v[2:5]
.LBB1674_10:
	s_or_b32 exec_lo, exec_lo, s6
	v_and_b32_e32 v1, 0xef, v0
	s_waitcnt lgkmcnt(0)
	s_add_i32 s3, s24, 15
	s_clause 0x1
	s_load_b32 s6, s[0:1], 0x38
	s_load_b32 s19, s[0:1], 0x1c
	s_ashr_i32 s7, s3, 31
	v_add_nc_u32_e32 v1, s12, v1
	s_lshr_b32 s7, s7, 28
	s_waitcnt lgkmcnt(0)
	s_add_i32 s3, s3, s7
	s_barrier
	v_ashrrev_i32_e32 v2, 31, v1
	v_or_b32_e32 v3, 16, v1
	s_ashr_i32 s3, s3, 4
	v_cmp_gt_i32_e32 vcc_lo, s24, v1
	s_add_i32 s3, s3, -1
	v_lshrrev_b32_e32 v2, 28, v2
	buffer_gl0_inv
	s_mul_i32 s27, s15, s18
	v_add_nc_u32_e32 v4, v1, v2
	s_mul_i32 s6, s34, s6
	s_delay_alu instid0(SALU_CYCLE_1) | instskip(NEXT) | instid1(VALU_DEP_1)
	s_ashr_i32 s7, s6, 31
	v_ashrrev_i32_e32 v4, 4, v4
	v_add_nc_u32_e32 v2, v3, v2
	s_lshl_b64 s[6:7], s[6:7], 2
	s_delay_alu instid0(SALU_CYCLE_1) | instskip(NEXT) | instid1(VALU_DEP_2)
	s_add_u32 s26, s4, s6
	v_cndmask_b32_e32 v1, s3, v4, vcc_lo
	s_delay_alu instid0(VALU_DEP_2)
	v_ashrrev_i32_e32 v2, 4, v2
	v_cmp_gt_i32_e32 vcc_lo, s24, v3
	s_addc_u32 s25, s5, s7
	s_ashr_i32 s28, s27, 31
	s_add_u32 s13, s20, s27
	s_addc_u32 s15, s21, s28
	v_cndmask_b32_e32 v3, s3, v2, vcc_lo
	v_ashrrev_i32_e32 v2, 31, v1
	s_lshl_b32 s4, s14, 4
	s_delay_alu instid0(SALU_CYCLE_1) | instskip(NEXT) | instid1(VALU_DEP_2)
	s_ashr_i32 s5, s4, 31
	v_ashrrev_i32_e32 v4, 31, v3
	s_delay_alu instid0(VALU_DEP_2) | instskip(SKIP_1) | instid1(SALU_CYCLE_1)
	v_lshlrev_b64 v[1:2], 2, v[1:2]
	s_lshl_b64 s[4:5], s[4:5], 2
	s_add_u32 s4, s26, s4
	s_delay_alu instid0(VALU_DEP_2) | instskip(SKIP_1) | instid1(VALU_DEP_2)
	v_lshlrev_b64 v[3:4], 2, v[3:4]
	s_addc_u32 s5, s25, s5
	v_add_co_u32 v1, vcc_lo, s26, v1
	v_add_co_ci_u32_e32 v2, vcc_lo, s25, v2, vcc_lo
	s_delay_alu instid0(VALU_DEP_3) | instskip(NEXT) | instid1(VALU_DEP_4)
	v_add_co_u32 v3, vcc_lo, s26, v3
	v_add_co_ci_u32_e32 v4, vcc_lo, s25, v4, vcc_lo
	s_clause 0x1
	global_load_b32 v5, v[1:2], off
	global_load_b32 v7, v[3:4], off
	s_or_b32 s6, s12, 32
	v_lshlrev_b32_e32 v1, 4, v0
	s_ashr_i32 s7, s6, 4
	s_cmp_lt_i32 s6, s24
	v_cmp_gt_u32_e32 vcc_lo, 13, v65
	s_cselect_b32 s6, s7, s3
	v_and_b32_e32 v1, 0xf0, v1
	s_ashr_i32 s7, s6, 31
	s_delay_alu instid0(SALU_CYCLE_1) | instskip(NEXT) | instid1(SALU_CYCLE_1)
	s_lshl_b64 s[6:7], s[6:7], 2
	s_add_u32 s6, s26, s6
	s_addc_u32 s7, s25, s7
	s_or_b32 s8, s12, 64
	v_add_co_u32 v1, s13, s13, v1
	s_ashr_i32 s9, s8, 4
	s_cmp_lt_i32 s8, s24
	v_add_co_ci_u32_e64 v2, null, s15, 0, s13
	s_cselect_b32 s8, s9, s3
	s_delay_alu instid0(SALU_CYCLE_1) | instskip(NEXT) | instid1(SALU_CYCLE_1)
	s_ashr_i32 s9, s8, 31
	s_lshl_b64 s[8:9], s[8:9], 2
	s_delay_alu instid0(SALU_CYCLE_1) | instskip(SKIP_2) | instid1(SALU_CYCLE_1)
	s_add_u32 s8, s26, s8
	s_addc_u32 s9, s25, s9
	s_or_b32 s10, s12, 0x60
	s_ashr_i32 s11, s10, 4
	s_cmp_lt_i32 s10, s24
	s_cselect_b32 s10, s11, s3
	s_delay_alu instid0(SALU_CYCLE_1) | instskip(NEXT) | instid1(SALU_CYCLE_1)
	s_ashr_i32 s11, s10, 31
	s_lshl_b64 s[10:11], s[10:11], 2
	s_delay_alu instid0(SALU_CYCLE_1) | instskip(SKIP_2) | instid1(SALU_CYCLE_1)
	s_add_u32 s10, s26, s10
	s_addc_u32 s11, s25, s11
	s_or_b32 s16, s12, 0x80
	s_ashr_i32 s18, s16, 4
	s_cmp_lt_i32 s16, s24
	s_cselect_b32 s20, s18, s3
	s_delay_alu instid0(SALU_CYCLE_1) | instskip(NEXT) | instid1(SALU_CYCLE_1)
	s_ashr_i32 s21, s20, 31
	s_lshl_b64 s[20:21], s[20:21], 2
	s_delay_alu instid0(SALU_CYCLE_1) | instskip(SKIP_2) | instid1(SALU_CYCLE_1)
	s_add_u32 s36, s26, s20
	s_addc_u32 s37, s25, s21
	s_or_b32 s16, s12, 0xa0
	s_ashr_i32 s18, s16, 4
	s_cmp_lt_i32 s16, s24
	s_cselect_b32 s20, s18, s3
	s_delay_alu instid0(SALU_CYCLE_1) | instskip(NEXT) | instid1(SALU_CYCLE_1)
	s_ashr_i32 s21, s20, 31
	s_lshl_b64 s[20:21], s[20:21], 2
	s_delay_alu instid0(SALU_CYCLE_1)
	s_add_u32 s38, s26, s20
	s_addc_u32 s39, s25, s21
	s_clause 0x5
	s_load_b32 s21, s[4:5], 0x0
	s_load_b32 s13, s[6:7], 0x0
	s_load_b32 s15, s[8:9], 0x0
	s_load_b32 s16, s[10:11], 0x0
	s_load_b32 s18, s[36:37], 0x0
	s_load_b32 s20, s[38:39], 0x0
	s_or_b32 s8, s12, 0xc0
	s_mov_b32 s4, 0
	s_ashr_i32 s9, s8, 4
	s_cmp_lt_i32 s8, s24
	s_mov_b32 s11, s4
	s_cselect_b32 s36, s9, s3
	s_mov_b32 s5, s4
	s_ashr_i32 s37, s36, 31
	s_mov_b32 s6, s4
	s_lshl_b64 s[36:37], s[36:37], 2
	s_mov_b32 s7, s4
	s_add_u32 s36, s26, s36
	s_addc_u32 s37, s25, s37
	s_or_b32 s29, s12, 0xe0
	s_mov_b32 s8, s4
	s_ashr_i32 s30, s29, 4
	s_mov_b32 s9, s4
	s_mov_b32 s10, s4
	s_cmp_lt_i32 s29, s24
	v_dual_mov_b32 v107, s11 :: v_dual_mov_b32 v100, s4
	v_mov_b32_e32 v106, s10
	v_dual_mov_b32 v104, s8 :: v_dual_mov_b32 v103, s7
	v_dual_mov_b32 v102, s6 :: v_dual_mov_b32 v101, s5
	s_waitcnt vmcnt(1)
	v_mad_i64_i32 v[3:4], null, v5, s17, v[1:2]
	s_waitcnt vmcnt(0)
	v_mad_i64_i32 v[5:6], null, v7, s17, v[1:2]
	v_add_nc_u32_e32 v1, -13, v65
	v_lshlrev_b32_e32 v2, 4, v65
	s_clause 0x7
	global_load_b128 v[49:52], v[3:4], off
	global_load_b128 v[53:56], v[3:4], off offset:256
	global_load_b128 v[76:79], v[5:6], off
	global_load_b128 v[80:83], v[5:6], off offset:256
	global_load_b128 v[84:87], v[3:4], off offset:512
	;; [unrolled: 1-line block ×5, first 2 shown]
	v_cndmask_b32_e32 v1, v1, v65, vcc_lo
	v_mov_b32_e32 v105, s9
	s_cselect_b32 s4, s30, s3
	v_lshl_or_b32 v2, v66, 8, v2
	s_ashr_i32 s5, s4, 31
	v_lshlrev_b32_e32 v70, 6, v1
	s_lshl_b64 s[4:5], s[4:5], 2
	s_load_b32 s3, s[36:37], 0x0
	s_add_u32 s4, s26, s4
	s_addc_u32 s5, s25, s5
	ds_load_b128 v[108:111], v70
	ds_load_b128 v[112:115], v70 offset:1024
	s_load_b32 s4, s[4:5], 0x0
	s_add_u32 s6, s22, s27
	s_addc_u32 s7, s23, s28
	v_add_co_u32 v9, s6, s6, v2
	s_delay_alu instid0(VALU_DEP_1) | instskip(SKIP_1) | instid1(VALU_DEP_1)
	v_add_co_ci_u32_e64 v10, null, s7, 0, s6
	s_waitcnt lgkmcnt(0)
	v_mad_i64_i32 v[1:2], null, s21, s17, v[9:10]
	v_mad_i64_i32 v[3:4], null, s13, s17, v[9:10]
	;; [unrolled: 1-line block ×7, first 2 shown]
	s_clause 0x9
	global_load_b128 v[57:60], v[1:2], off
	global_load_b128 v[61:64], v[1:2], off offset:16
	global_load_b128 v[41:44], v[3:4], off
	global_load_b128 v[45:48], v[3:4], off offset:16
	;; [unrolled: 2-line block ×5, first 2 shown]
	v_mad_i64_i32 v[68:69], null, s4, s17, v[9:10]
	s_clause 0x3
	global_load_b128 v[9:12], v[13:14], off
	global_load_b128 v[13:16], v[13:14], off offset:16
	global_load_b128 v[17:20], v[21:22], off
	global_load_b128 v[21:24], v[21:22], off offset:16
	s_waitcnt vmcnt(20)
	v_wmma_f32_16x16x16_bf16 v[116:123], v[49:56], v[108:115], v[100:107]
	s_clause 0x1
	global_load_b128 v[49:52], v[68:69], off
	global_load_b128 v[53:56], v[68:69], off offset:16
	v_and_b32_e32 v68, 0xe0, v0
	v_mbcnt_lo_u32_b32 v69, -1, 0
	s_delay_alu instid0(VALU_DEP_2)
	v_add_nc_u32_e32 v68, s12, v68
	s_waitcnt vmcnt(20)
	v_wmma_f32_16x16x16_bf16 v[100:107], v[76:83], v[108:115], v[100:107]
	ds_load_b128 v[76:79], v70 offset:2048
	ds_load_b128 v[80:83], v70 offset:3072
	v_xor_b32_e32 v70, 16, v69
	s_waitcnt vmcnt(0) lgkmcnt(0)
	v_or_b32_e32 v68, v68, v74
	s_barrier
	buffer_gl0_inv
	v_cmp_gt_i32_e32 vcc_lo, 32, v70
	v_or_b32_e32 v71, 4, v68
	v_or_b32_e32 v72, 6, v68
	v_cmp_gt_i32_e64 s3, s24, v68
	v_or_b32_e32 v108, 8, v68
	v_or_b32_e32 v109, 10, v68
	v_cmp_gt_i32_e64 s4, s24, v71
	v_cmp_gt_i32_e64 s5, s24, v72
	s_delay_alu instid0(VALU_DEP_4) | instskip(NEXT) | instid1(VALU_DEP_4)
	v_cmp_gt_i32_e64 s6, s24, v108
	v_cmp_gt_i32_e64 s7, s24, v109
	v_wmma_f32_16x16x16_bf16 v[116:123], v[84:91], v[76:83], v[116:123]
	v_cndmask_b32_e32 v69, v69, v70, vcc_lo
	v_or_b32_e32 v70, 2, v68
	v_wmma_f32_16x16x16_bf16 v[100:107], v[92:99], v[76:83], v[100:107]
	v_or_b32_e32 v89, 22, v68
	v_dual_mul_f32 v82, s19, v119 :: v_dual_mul_f32 v79, s19, v122
	v_dual_mul_f32 v92, s19, v117 :: v_dual_mul_f32 v93, s19, v116
	s_delay_alu instid0(VALU_DEP_4) | instskip(SKIP_2) | instid1(VALU_DEP_4)
	v_mul_f32_e32 v98, s19, v103
	v_cmp_gt_i32_e32 vcc_lo, s24, v70
	v_dual_mul_f32 v83, s19, v118 :: v_dual_mul_f32 v96, s19, v105
	v_cndmask_b32_e64 v93, 0xff7fffff, v93, s3
	v_or_b32_e32 v84, 12, v68
	v_cndmask_b32_e32 v92, 0xff7fffff, v92, vcc_lo
	v_or_b32_e32 v85, 14, v68
	v_dual_mul_f32 v80, s19, v121 :: v_dual_mul_f32 v81, s19, v120
	v_mul_f32_e32 v94, s19, v107
	v_cndmask_b32_e64 v71, 0xff7fffff, v83, s4
	v_cndmask_b32_e64 v72, 0xff7fffff, v82, s5
	v_cmp_gt_i32_e64 s13, s24, v89
	v_lshlrev_b32_e32 v89, 2, v69
	v_max3_f32 v82, v93, 0xff7fffff, v92
	v_or_b32_e32 v86, 16, v68
	v_or_b32_e32 v87, 18, v68
	v_mul_f32_e32 v78, s19, v123
	v_cndmask_b32_e64 v81, 0xff7fffff, v81, s6
	v_cndmask_b32_e64 v80, 0xff7fffff, v80, s7
	v_max3_f32 v71, v82, v71, v72
	v_cmp_gt_i32_e64 s8, s24, v84
	v_cmp_gt_i32_e64 s9, s24, v85
	v_or_b32_e32 v88, 20, v68
	v_or_b32_e32 v90, 24, v68
	;; [unrolled: 1-line block ×5, first 2 shown]
	v_dual_mul_f32 v95, s19, v106 :: v_dual_mul_f32 v70, s19, v101
	v_dual_mul_f32 v99, s19, v102 :: v_dual_mul_f32 v68, s19, v100
	v_cndmask_b32_e64 v72, 0xff7fffff, v79, s8
	v_cndmask_b32_e64 v78, 0xff7fffff, v78, s9
	v_max3_f32 v71, v71, v81, v80
	v_cmp_gt_i32_e64 s10, s24, v86
	v_cmp_gt_i32_e64 s11, s24, v87
	;; [unrolled: 1-line block ×3, first 2 shown]
	v_mul_f32_e32 v97, s19, v104
	v_max3_f32 v71, v71, v72, v78
	v_cndmask_b32_e64 v68, 0xff7fffff, v68, s10
	v_cndmask_b32_e64 v70, 0xff7fffff, v70, s11
	;; [unrolled: 1-line block ×4, first 2 shown]
	v_cmp_gt_i32_e64 s15, s24, v90
	v_cmp_gt_i32_e64 s16, s24, v91
	v_max3_f32 v68, v71, v68, v70
	v_cmp_gt_i32_e64 s17, s24, v76
	v_cmp_gt_i32_e64 s18, s24, v77
	v_cndmask_b32_e64 v70, 0xff7fffff, v97, s15
	v_cndmask_b32_e64 v71, 0xff7fffff, v96, s16
	v_max3_f32 v68, v68, v72, v78
	v_cndmask_b32_e64 v72, 0xff7fffff, v95, s17
	v_cndmask_b32_e64 v76, 0xff7fffff, v94, s18
	s_delay_alu instid0(VALU_DEP_3) | instskip(NEXT) | instid1(VALU_DEP_1)
	v_max3_f32 v68, v68, v70, v71
	v_max3_f32 v68, v68, v72, v76
	ds_bpermute_b32 v69, v89, v68
	s_waitcnt lgkmcnt(0)
	v_max_f32_e32 v69, v69, v69
	s_delay_alu instid0(VALU_DEP_1) | instskip(NEXT) | instid1(VALU_DEP_1)
	v_max_f32_e32 v68, v68, v69
	v_fma_f32 v69, s19, v116, -v68
	v_fma_f32 v70, s19, v117, -v68
	;; [unrolled: 1-line block ×5, first 2 shown]
	s_delay_alu instid0(VALU_DEP_4) | instskip(NEXT) | instid1(VALU_DEP_4)
	v_dual_mul_f32 v69, 0x3fb8aa3b, v69 :: v_dual_mul_f32 v70, 0x3fb8aa3b, v70
	v_mul_f32_e32 v72, 0x3fb8aa3b, v72
	v_fma_f32 v78, s19, v122, -v68
	s_delay_alu instid0(VALU_DEP_4) | instskip(NEXT) | instid1(VALU_DEP_4)
	v_mul_f32_e32 v77, 0x3fb8aa3b, v76
	v_exp_f32_e32 v69, v69
	v_exp_f32_e32 v70, v70
	v_mul_f32_e32 v71, 0x3fb8aa3b, v71
	v_exp_f32_e32 v72, v72
	v_mul_f32_e32 v78, 0x3fb8aa3b, v78
	v_exp_f32_e32 v77, v77
	v_fma_f32 v81, s19, v105, -v68
	s_delay_alu instid0(VALU_DEP_2)
	v_exp_f32_e32 v78, v78
	v_cndmask_b32_e64 v80, 0, v69, s3
	v_cndmask_b32_e32 v76, 0, v70, vcc_lo
	v_exp_f32_e32 v71, v71
	v_fma_f32 v69, s19, v121, -v68
	v_cndmask_b32_e64 v85, 0, v72, s5
	v_add_f32_e32 v70, 0, v80
	s_delay_alu instid0(TRANS32_DEP_3)
	v_cndmask_b32_e64 v86, 0, v77, s6
	v_fma_f32 v77, s19, v101, -v68
	v_mul_f32_e32 v69, 0x3fb8aa3b, v69
	v_fma_f32 v72, s19, v100, -v68
	v_cndmask_b32_e64 v84, 0, v78, s8
	v_fma_f32 v78, s19, v103, -v68
	v_cndmask_b32_e64 v83, 0, v71, s4
	v_fma_f32 v71, s19, v123, -v68
	v_add_f32_e32 v70, v70, v76
	v_exp_f32_e32 v69, v69
	v_mul_f32_e32 v77, 0x3fb8aa3b, v77
	v_mul_f32_e32 v81, 0x3fb8aa3b, v81
	;; [unrolled: 1-line block ×3, first 2 shown]
	v_add_f32_e32 v70, v70, v83
	v_cmp_gt_u32_e64 s3, 16, v67
	v_exp_f32_e32 v77, v77
	v_exp_f32_e32 v81, v81
	;; [unrolled: 1-line block ×3, first 2 shown]
	v_cndmask_b32_e64 v87, 0, v69, s7
	v_add_f32_e32 v70, v70, v85
	s_delay_alu instid0(VALU_DEP_1) | instskip(SKIP_1) | instid1(VALU_DEP_2)
	v_dual_mul_f32 v72, 0x3fb8aa3b, v72 :: v_dual_add_f32 v69, v70, v86
	v_fma_f32 v70, s19, v102, -v68
	v_exp_f32_e32 v72, v72
	s_waitcnt_depctr 0xfff
	v_cndmask_b32_e64 v88, 0, v71, s9
	v_fma_f32 v71, s19, v104, -v68
	v_dual_add_f32 v69, v69, v87 :: v_dual_mul_f32 v70, 0x3fb8aa3b, v70
	s_delay_alu instid0(VALU_DEP_2) | instskip(NEXT) | instid1(VALU_DEP_2)
	v_dual_mul_f32 v78, 0x3fb8aa3b, v78 :: v_dual_mul_f32 v71, 0x3fb8aa3b, v71
	v_add_f32_e32 v69, v69, v84
	s_delay_alu instid0(VALU_DEP_3) | instskip(SKIP_1) | instid1(VALU_DEP_3)
	v_exp_f32_e32 v79, v70
	v_cndmask_b32_e64 v70, 0, v72, s10
	v_exp_f32_e32 v78, v78
	v_exp_f32_e32 v82, v71
	v_add_f32_e32 v72, v69, v88
	v_cndmask_b32_e64 v69, 0, v77, s11
	v_fma_f32 v77, s19, v106, -v68
	s_delay_alu instid0(VALU_DEP_3) | instskip(NEXT) | instid1(TRANS32_DEP_3)
	v_add_f32_e32 v72, v72, v70
	v_cndmask_b32_e64 v71, 0, v79, s12
	s_delay_alu instid0(VALU_DEP_3) | instskip(NEXT) | instid1(VALU_DEP_3)
	v_mul_f32_e32 v77, 0x3fb8aa3b, v77
	v_add_f32_e32 v79, v72, v69
	s_delay_alu instid0(TRANS32_DEP_2) | instskip(NEXT) | instid1(VALU_DEP_3)
	v_cndmask_b32_e64 v72, 0, v78, s13
	v_exp_f32_e32 v90, v77
	v_cndmask_b32_e64 v77, 0, v82, s15
	s_delay_alu instid0(VALU_DEP_3) | instskip(SKIP_1) | instid1(VALU_DEP_1)
	v_add_f32_e32 v78, v79, v71
	v_fma_f32 v79, s19, v107, -v68
	v_dual_add_f32 v82, v78, v72 :: v_dual_mul_f32 v79, 0x3fb8aa3b, v79
	v_cndmask_b32_e64 v78, 0, v81, s16
	s_delay_alu instid0(VALU_DEP_2) | instskip(NEXT) | instid1(VALU_DEP_3)
	v_add_f32_e32 v81, v82, v77
	v_exp_f32_e32 v82, v79
	s_delay_alu instid0(TRANS32_DEP_2) | instskip(NEXT) | instid1(VALU_DEP_2)
	v_cndmask_b32_e64 v79, 0, v90, s17
	v_add_f32_e32 v81, v81, v78
	s_delay_alu instid0(VALU_DEP_1) | instskip(SKIP_2) | instid1(VALU_DEP_1)
	v_add_f32_e32 v90, v81, v79
	s_waitcnt_depctr 0xfff
	v_cndmask_b32_e64 v81, 0, v82, s18
	v_add_f32_e32 v82, v90, v81
	ds_bpermute_b32 v89, v89, v82
	s_and_saveexec_b32 s4, s3
	s_cbranch_execz .LBB1674_12
; %bb.11:
	v_mul_u32_u24_e32 v67, 0x44, v66
	s_delay_alu instid0(VALU_DEP_1) | instskip(SKIP_1) | instid1(VALU_DEP_1)
	v_lshl_add_u32 v67, v65, 2, v67
	s_waitcnt lgkmcnt(0)
	v_dual_add_f32 v82, v82, v89 :: v_dual_add_nc_u32 v67, 0x4000, v67
	ds_store_2addr_b32 v67, v68, v82 offset1:136
.LBB1674_12:
	s_or_b32 exec_lo, exec_lo, s4
	v_lshlrev_b32_e32 v67, 2, v65
	s_waitcnt lgkmcnt(0)
	s_barrier
	buffer_gl0_inv
	v_cmp_eq_u32_e32 vcc_lo, 1, v66
	v_add_nc_u32_e32 v82, 0x4000, v67
	v_cmp_eq_u32_e64 s4, 2, v66
	v_cmp_eq_u32_e64 s6, 7, v66
	ds_load_2addr_b32 v[89:90], v82 offset1:17
	ds_load_2addr_b32 v[91:92], v82 offset0:34 offset1:51
	ds_load_2addr_b32 v[93:94], v82 offset0:68 offset1:85
	;; [unrolled: 1-line block ×4, first 2 shown]
	s_waitcnt lgkmcnt(4)
	v_max3_f32 v67, v89, 0xff7fffff, v90
	s_waitcnt lgkmcnt(3)
	s_delay_alu instid0(VALU_DEP_1) | instskip(SKIP_1) | instid1(VALU_DEP_1)
	v_max3_f32 v67, v67, v91, v92
	s_waitcnt lgkmcnt(2)
	v_max3_f32 v67, v67, v93, v94
	s_waitcnt lgkmcnt(1)
	s_delay_alu instid0(VALU_DEP_1) | instskip(NEXT) | instid1(VALU_DEP_1)
	v_max3_f32 v67, v67, v95, v96
	v_sub_f32_e32 v93, v93, v67
	s_delay_alu instid0(VALU_DEP_1) | instskip(NEXT) | instid1(VALU_DEP_1)
	v_dual_sub_f32 v68, v89, v67 :: v_dual_mul_f32 v103, 0x3fb8aa3b, v93
	v_mul_f32_e32 v68, 0x3fb8aa3b, v68
	s_delay_alu instid0(VALU_DEP_1)
	v_exp_f32_e32 v100, v68
	v_sub_f32_e32 v68, v92, v67
	v_sub_f32_e32 v99, v90, v67
	ds_load_2addr_b32 v[89:90], v82 offset0:170 offset1:187
	v_dual_mul_f32 v102, 0x3fb8aa3b, v68 :: v_dual_mul_f32 v99, 0x3fb8aa3b, v99
	s_waitcnt lgkmcnt(1)
	v_fma_f32 v68, v100, v97, 0
	s_delay_alu instid0(VALU_DEP_2) | instskip(NEXT) | instid1(VALU_DEP_2)
	v_exp_f32_e32 v102, v102
	v_exp_f32_e32 v99, v99
	s_waitcnt_depctr 0xfff
	v_fmac_f32_e32 v68, v99, v98
	v_sub_f32_e32 v91, v91, v67
	s_delay_alu instid0(VALU_DEP_1)
	v_mul_f32_e32 v101, 0x3fb8aa3b, v91
	ds_load_2addr_b32 v[91:92], v82 offset0:204 offset1:221
	v_sub_f32_e32 v97, v94, v67
	ds_load_2addr_b32 v[93:94], v82 offset0:238 offset1:255
	s_waitcnt lgkmcnt(0)
	v_exp_f32_e32 v101, v101
	s_barrier
	buffer_gl0_inv
	v_dual_fmac_f32 v68, v101, v89 :: v_dual_sub_f32 v89, v96, v67
	v_dual_sub_f32 v82, v95, v67 :: v_dual_mul_f32 v95, 0x3fb8aa3b, v97
	v_exp_f32_e32 v97, v103
	s_delay_alu instid0(VALU_DEP_2) | instskip(NEXT) | instid1(VALU_DEP_2)
	v_dual_fmac_f32 v68, v102, v90 :: v_dual_mul_f32 v89, 0x3fb8aa3b, v89
	v_mul_f32_e32 v82, 0x3fb8aa3b, v82
	s_delay_alu instid0(VALU_DEP_3) | instskip(NEXT) | instid1(VALU_DEP_2)
	v_exp_f32_e32 v95, v95
	v_exp_f32_e32 v89, v89
	s_delay_alu instid0(VALU_DEP_1)
	v_exp_f32_e32 v82, v82
	v_fmac_f32_e32 v68, v97, v91
	s_delay_alu instid0(TRANS32_DEP_3) | instid1(VALU_DEP_1)
	v_fmac_f32_e32 v68, v95, v92
	s_waitcnt_depctr 0xfff
	v_fmac_f32_e32 v68, v82, v93
	s_delay_alu instid0(VALU_DEP_1) | instskip(NEXT) | instid1(VALU_DEP_1)
	v_fmac_f32_e32 v68, v89, v94
	v_add_f32_e32 v90, 0x358637bd, v68
	s_delay_alu instid0(VALU_DEP_1) | instskip(NEXT) | instid1(VALU_DEP_1)
	v_div_scale_f32 v91, null, v90, v90, 1.0
	v_rcp_f32_e32 v92, v91
	s_waitcnt_depctr 0xfff
	v_fma_f32 v93, -v91, v92, 1.0
	s_delay_alu instid0(VALU_DEP_1) | instskip(SKIP_1) | instid1(VALU_DEP_2)
	v_dual_fmac_f32 v92, v93, v92 :: v_dual_cndmask_b32 v93, v100, v99
	v_cmp_eq_u32_e32 vcc_lo, 3, v66
	v_cndmask_b32_e64 v93, v93, v101, s4
	v_cmp_eq_u32_e64 s4, 4, v66
	s_delay_alu instid0(VALU_DEP_2) | instskip(SKIP_1) | instid1(VALU_DEP_2)
	v_cndmask_b32_e32 v93, v93, v102, vcc_lo
	v_cmp_eq_u32_e32 vcc_lo, 5, v66
	v_cndmask_b32_e64 v93, v93, v97, s4
	v_cmp_eq_u32_e64 s4, 6, v66
	s_delay_alu instid0(VALU_DEP_2) | instskip(SKIP_1) | instid1(VALU_DEP_1)
	v_cndmask_b32_e32 v93, v93, v95, vcc_lo
	v_div_scale_f32 v94, s5, 1.0, v90, 1.0
	s_mov_b32 vcc_lo, s5
	s_delay_alu instid0(VALU_DEP_2) | instskip(NEXT) | instid1(VALU_DEP_2)
	v_cndmask_b32_e64 v82, v93, v82, s4
	v_mul_f32_e32 v96, v94, v92
	s_mov_b32 s4, exec_lo
	s_delay_alu instid0(VALU_DEP_2) | instskip(NEXT) | instid1(VALU_DEP_2)
	v_cndmask_b32_e64 v82, v82, v89, s6
	v_fma_f32 v98, -v91, v96, v94
	s_delay_alu instid0(VALU_DEP_1) | instskip(NEXT) | instid1(VALU_DEP_1)
	v_fmac_f32_e32 v96, v98, v92
	v_fma_f32 v91, -v91, v96, v94
	s_delay_alu instid0(VALU_DEP_1) | instskip(NEXT) | instid1(VALU_DEP_1)
	v_div_fmas_f32 v91, v91, v92, v96
	v_div_fixup_f32 v90, v91, v90, 1.0
	s_delay_alu instid0(VALU_DEP_1) | instskip(NEXT) | instid1(VALU_DEP_1)
	v_mul_f32_e32 v82, v82, v90
	v_mul_f32_e32 v87, v82, v87
	;; [unrolled: 1-line block ×7, first 2 shown]
	v_dual_mul_f32 v86, v82, v83 :: v_dual_and_b32 v91, 0x7f800000, v90
	v_mul_f32_e32 v85, v82, v76
                                        ; implicit-def: $vgpr76
	s_delay_alu instid0(VALU_DEP_2)
	v_cmpx_ne_u32_e32 0x7f800000, v91
	s_xor_b32 s4, exec_lo, s4
; %bb.13:
	v_bfe_u32 v76, v90, 16, 1
	s_delay_alu instid0(VALU_DEP_1)
	v_add3_u32 v76, v90, v76, 0x7fff
                                        ; implicit-def: $vgpr90
; %bb.14:
	s_and_not1_saveexec_b32 s4, s4
; %bb.15:
	v_and_b32_e32 v76, 0xffff, v90
	v_or_b32_e32 v83, 0x10000, v90
	s_delay_alu instid0(VALU_DEP_2) | instskip(NEXT) | instid1(VALU_DEP_2)
	v_cmp_eq_u32_e32 vcc_lo, 0, v76
	v_cndmask_b32_e32 v76, v83, v90, vcc_lo
; %bb.16:
	s_or_b32 exec_lo, exec_lo, s4
	v_and_b32_e32 v83, 0x7f800000, v85
	s_delay_alu instid0(VALU_DEP_1) | instskip(SKIP_1) | instid1(SALU_CYCLE_1)
	v_cmp_ne_u32_e32 vcc_lo, 0x7f800000, v83
                                        ; implicit-def: $vgpr83
	s_and_saveexec_b32 s4, vcc_lo
	s_xor_b32 s4, exec_lo, s4
; %bb.17:
	v_bfe_u32 v83, v85, 16, 1
	s_delay_alu instid0(VALU_DEP_1)
	v_add3_u32 v83, v85, v83, 0x7fff
                                        ; implicit-def: $vgpr85
; %bb.18:
	s_and_not1_saveexec_b32 s4, s4
; %bb.19:
	v_and_b32_e32 v83, 0xffff, v85
	v_or_b32_e32 v90, 0x10000, v85
	s_delay_alu instid0(VALU_DEP_2) | instskip(NEXT) | instid1(VALU_DEP_2)
	v_cmp_eq_u32_e32 vcc_lo, 0, v83
	v_cndmask_b32_e32 v83, v90, v85, vcc_lo
; %bb.20:
	s_or_b32 exec_lo, exec_lo, s4
	v_and_b32_e32 v85, 0x7f800000, v86
	s_delay_alu instid0(VALU_DEP_1) | instskip(SKIP_1) | instid1(SALU_CYCLE_1)
	v_cmp_ne_u32_e32 vcc_lo, 0x7f800000, v85
                                        ; implicit-def: $vgpr85
	s_and_saveexec_b32 s4, vcc_lo
	s_xor_b32 s4, exec_lo, s4
; %bb.21:
	v_bfe_u32 v85, v86, 16, 1
	s_delay_alu instid0(VALU_DEP_1)
	v_add3_u32 v85, v86, v85, 0x7fff
                                        ; implicit-def: $vgpr86
; %bb.22:
	s_and_not1_saveexec_b32 s4, s4
; %bb.23:
	v_and_b32_e32 v85, 0xffff, v86
	v_or_b32_e32 v90, 0x10000, v86
	s_delay_alu instid0(VALU_DEP_2) | instskip(NEXT) | instid1(VALU_DEP_2)
	v_cmp_eq_u32_e32 vcc_lo, 0, v85
	v_cndmask_b32_e32 v85, v90, v86, vcc_lo
; %bb.24:
	s_or_b32 exec_lo, exec_lo, s4
	v_and_b32_e32 v86, 0x7f800000, v89
	s_delay_alu instid0(VALU_DEP_1) | instskip(SKIP_1) | instid1(SALU_CYCLE_1)
	v_cmp_ne_u32_e32 vcc_lo, 0x7f800000, v86
                                        ; implicit-def: $vgpr86
	s_and_saveexec_b32 s4, vcc_lo
	s_xor_b32 s4, exec_lo, s4
; %bb.25:
	v_bfe_u32 v86, v89, 16, 1
	s_delay_alu instid0(VALU_DEP_1)
	v_add3_u32 v86, v89, v86, 0x7fff
                                        ; implicit-def: $vgpr89
; %bb.26:
	s_and_not1_saveexec_b32 s4, s4
; %bb.27:
	v_and_b32_e32 v86, 0xffff, v89
	v_or_b32_e32 v90, 0x10000, v89
	s_delay_alu instid0(VALU_DEP_2) | instskip(NEXT) | instid1(VALU_DEP_2)
	v_cmp_eq_u32_e32 vcc_lo, 0, v86
	v_cndmask_b32_e32 v86, v90, v89, vcc_lo
; %bb.28:
	s_or_b32 exec_lo, exec_lo, s4
	v_and_b32_e32 v89, 0x7f800000, v88
	s_delay_alu instid0(VALU_DEP_1) | instskip(SKIP_1) | instid1(SALU_CYCLE_1)
	v_cmp_ne_u32_e32 vcc_lo, 0x7f800000, v89
                                        ; implicit-def: $vgpr89
	s_and_saveexec_b32 s4, vcc_lo
	s_xor_b32 s4, exec_lo, s4
; %bb.29:
	v_bfe_u32 v89, v88, 16, 1
	s_delay_alu instid0(VALU_DEP_1)
	v_add3_u32 v89, v88, v89, 0x7fff
                                        ; implicit-def: $vgpr88
; %bb.30:
	s_and_not1_saveexec_b32 s4, s4
; %bb.31:
	v_and_b32_e32 v89, 0xffff, v88
	v_or_b32_e32 v90, 0x10000, v88
	s_delay_alu instid0(VALU_DEP_2) | instskip(NEXT) | instid1(VALU_DEP_2)
	v_cmp_eq_u32_e32 vcc_lo, 0, v89
	v_cndmask_b32_e32 v89, v90, v88, vcc_lo
; %bb.32:
	s_or_b32 exec_lo, exec_lo, s4
	v_and_b32_e32 v88, 0x7f800000, v87
	s_delay_alu instid0(VALU_DEP_1) | instskip(SKIP_1) | instid1(SALU_CYCLE_1)
	v_cmp_ne_u32_e32 vcc_lo, 0x7f800000, v88
                                        ; implicit-def: $vgpr88
	s_and_saveexec_b32 s4, vcc_lo
	s_xor_b32 s4, exec_lo, s4
; %bb.33:
	v_bfe_u32 v88, v87, 16, 1
	s_delay_alu instid0(VALU_DEP_1)
	v_add3_u32 v88, v87, v88, 0x7fff
                                        ; implicit-def: $vgpr87
; %bb.34:
	s_and_not1_saveexec_b32 s4, s4
; %bb.35:
	v_and_b32_e32 v88, 0xffff, v87
	v_or_b32_e32 v90, 0x10000, v87
	s_delay_alu instid0(VALU_DEP_2) | instskip(NEXT) | instid1(VALU_DEP_2)
	v_cmp_eq_u32_e32 vcc_lo, 0, v88
	v_cndmask_b32_e32 v88, v90, v87, vcc_lo
; %bb.36:
	s_or_b32 exec_lo, exec_lo, s4
	v_and_b32_e32 v87, 0x7f800000, v84
	s_delay_alu instid0(VALU_DEP_1) | instskip(SKIP_1) | instid1(SALU_CYCLE_1)
	v_cmp_ne_u32_e32 vcc_lo, 0x7f800000, v87
                                        ; implicit-def: $vgpr87
	s_and_saveexec_b32 s4, vcc_lo
	s_xor_b32 s4, exec_lo, s4
; %bb.37:
	v_bfe_u32 v87, v84, 16, 1
	s_delay_alu instid0(VALU_DEP_1)
	v_add3_u32 v87, v84, v87, 0x7fff
                                        ; implicit-def: $vgpr84
; %bb.38:
	s_and_not1_saveexec_b32 s4, s4
; %bb.39:
	v_and_b32_e32 v87, 0xffff, v84
	v_or_b32_e32 v90, 0x10000, v84
	s_delay_alu instid0(VALU_DEP_2) | instskip(NEXT) | instid1(VALU_DEP_2)
	v_cmp_eq_u32_e32 vcc_lo, 0, v87
	v_cndmask_b32_e32 v87, v90, v84, vcc_lo
; %bb.40:
	s_or_b32 exec_lo, exec_lo, s4
	v_and_b32_e32 v84, 0x7f800000, v80
	s_delay_alu instid0(VALU_DEP_1) | instskip(SKIP_1) | instid1(SALU_CYCLE_1)
	v_cmp_ne_u32_e32 vcc_lo, 0x7f800000, v84
                                        ; implicit-def: $vgpr84
	s_and_saveexec_b32 s4, vcc_lo
	s_xor_b32 s4, exec_lo, s4
; %bb.41:
	v_bfe_u32 v84, v80, 16, 1
	s_delay_alu instid0(VALU_DEP_1)
	v_add3_u32 v84, v80, v84, 0x7fff
                                        ; implicit-def: $vgpr80
; %bb.42:
	s_and_not1_saveexec_b32 s4, s4
; %bb.43:
	v_and_b32_e32 v84, 0xffff, v80
	v_or_b32_e32 v90, 0x10000, v80
	s_delay_alu instid0(VALU_DEP_2) | instskip(NEXT) | instid1(VALU_DEP_2)
	v_cmp_eq_u32_e32 vcc_lo, 0, v84
	v_cndmask_b32_e32 v84, v90, v80, vcc_lo
; %bb.44:
	s_or_b32 exec_lo, exec_lo, s4
	s_load_b64 s[36:37], s[0:1], 0x94
	v_lshlrev_b32_e32 v91, 4, v74
	s_delay_alu instid0(VALU_DEP_2)
	v_perm_b32 v90, v84, v87, 0x7060302
	v_dual_mul_f32 v79, v82, v79 :: v_dual_lshlrev_b32 v80, 6, v65
	v_dual_mul_f32 v77, v82, v77 :: v_dual_lshlrev_b32 v92, 11, v66
	v_mul_f32_e32 v84, v82, v70
	v_perm_b32 v89, v88, v89, 0x7060302
	v_perm_b32 v88, v86, v85, 0x7060302
	;; [unrolled: 1-line block ×3, first 2 shown]
	v_mul_f32_e32 v70, v82, v81
	v_or3_b32 v76, v91, v92, v80
	v_dual_mul_f32 v78, v82, v78 :: v_dual_and_b32 v85, 0x7f800000, v84
	v_mul_f32_e32 v83, v82, v72
	v_mul_f32_e32 v81, v82, v71
	;; [unrolled: 1-line block ×3, first 2 shown]
	s_mov_b32 s4, exec_lo
	ds_store_b128 v76, v[87:90]
                                        ; implicit-def: $vgpr69
	v_cmpx_ne_u32_e32 0x7f800000, v85
	s_xor_b32 s4, exec_lo, s4
; %bb.45:
	v_bfe_u32 v69, v84, 16, 1
	s_delay_alu instid0(VALU_DEP_1)
	v_add3_u32 v69, v84, v69, 0x7fff
                                        ; implicit-def: $vgpr84
; %bb.46:
	s_and_not1_saveexec_b32 s4, s4
; %bb.47:
	v_and_b32_e32 v69, 0xffff, v84
	v_or_b32_e32 v71, 0x10000, v84
	s_delay_alu instid0(VALU_DEP_2) | instskip(NEXT) | instid1(VALU_DEP_2)
	v_cmp_eq_u32_e32 vcc_lo, 0, v69
	v_cndmask_b32_e32 v69, v71, v84, vcc_lo
; %bb.48:
	s_or_b32 exec_lo, exec_lo, s4
	v_and_b32_e32 v71, 0x7f800000, v72
	s_delay_alu instid0(VALU_DEP_1) | instskip(SKIP_1) | instid1(SALU_CYCLE_1)
	v_cmp_ne_u32_e32 vcc_lo, 0x7f800000, v71
                                        ; implicit-def: $vgpr71
	s_and_saveexec_b32 s4, vcc_lo
	s_xor_b32 s4, exec_lo, s4
; %bb.49:
	v_bfe_u32 v71, v72, 16, 1
	s_delay_alu instid0(VALU_DEP_1)
	v_add3_u32 v71, v72, v71, 0x7fff
                                        ; implicit-def: $vgpr72
; %bb.50:
	s_and_not1_saveexec_b32 s4, s4
; %bb.51:
	v_and_b32_e32 v71, 0xffff, v72
	v_or_b32_e32 v82, 0x10000, v72
	s_delay_alu instid0(VALU_DEP_2) | instskip(NEXT) | instid1(VALU_DEP_2)
	v_cmp_eq_u32_e32 vcc_lo, 0, v71
	v_cndmask_b32_e32 v71, v82, v72, vcc_lo
; %bb.52:
	s_or_b32 exec_lo, exec_lo, s4
	v_and_b32_e32 v72, 0x7f800000, v81
	s_delay_alu instid0(VALU_DEP_1) | instskip(SKIP_1) | instid1(SALU_CYCLE_1)
	v_cmp_ne_u32_e32 vcc_lo, 0x7f800000, v72
                                        ; implicit-def: $vgpr72
	s_and_saveexec_b32 s4, vcc_lo
	s_xor_b32 s4, exec_lo, s4
; %bb.53:
	v_bfe_u32 v72, v81, 16, 1
	s_delay_alu instid0(VALU_DEP_1)
	v_add3_u32 v72, v81, v72, 0x7fff
                                        ; implicit-def: $vgpr81
; %bb.54:
	s_and_not1_saveexec_b32 s4, s4
; %bb.55:
	v_and_b32_e32 v72, 0xffff, v81
	v_or_b32_e32 v82, 0x10000, v81
	s_delay_alu instid0(VALU_DEP_2) | instskip(NEXT) | instid1(VALU_DEP_2)
	v_cmp_eq_u32_e32 vcc_lo, 0, v72
	v_cndmask_b32_e32 v72, v82, v81, vcc_lo
; %bb.56:
	s_or_b32 exec_lo, exec_lo, s4
	v_and_b32_e32 v81, 0x7f800000, v83
	s_delay_alu instid0(VALU_DEP_1) | instskip(SKIP_1) | instid1(SALU_CYCLE_1)
	v_cmp_ne_u32_e32 vcc_lo, 0x7f800000, v81
                                        ; implicit-def: $vgpr81
	s_and_saveexec_b32 s4, vcc_lo
	s_xor_b32 s4, exec_lo, s4
; %bb.57:
	v_bfe_u32 v81, v83, 16, 1
	s_delay_alu instid0(VALU_DEP_1)
	v_add3_u32 v81, v83, v81, 0x7fff
                                        ; implicit-def: $vgpr83
; %bb.58:
	s_and_not1_saveexec_b32 s4, s4
; %bb.59:
	v_and_b32_e32 v81, 0xffff, v83
	v_or_b32_e32 v82, 0x10000, v83
	s_delay_alu instid0(VALU_DEP_2) | instskip(NEXT) | instid1(VALU_DEP_2)
	v_cmp_eq_u32_e32 vcc_lo, 0, v81
	v_cndmask_b32_e32 v81, v82, v83, vcc_lo
; %bb.60:
	s_or_b32 exec_lo, exec_lo, s4
	v_and_b32_e32 v82, 0x7f800000, v77
	s_delay_alu instid0(VALU_DEP_1) | instskip(SKIP_1) | instid1(SALU_CYCLE_1)
	v_cmp_ne_u32_e32 vcc_lo, 0x7f800000, v82
                                        ; implicit-def: $vgpr82
	s_and_saveexec_b32 s4, vcc_lo
	s_xor_b32 s4, exec_lo, s4
; %bb.61:
	v_bfe_u32 v82, v77, 16, 1
	s_delay_alu instid0(VALU_DEP_1)
	v_add3_u32 v82, v77, v82, 0x7fff
                                        ; implicit-def: $vgpr77
; %bb.62:
	s_and_not1_saveexec_b32 s4, s4
; %bb.63:
	v_and_b32_e32 v82, 0xffff, v77
	v_or_b32_e32 v83, 0x10000, v77
	s_delay_alu instid0(VALU_DEP_2) | instskip(NEXT) | instid1(VALU_DEP_2)
	v_cmp_eq_u32_e32 vcc_lo, 0, v82
	v_cndmask_b32_e32 v82, v83, v77, vcc_lo
; %bb.64:
	s_or_b32 exec_lo, exec_lo, s4
	v_and_b32_e32 v77, 0x7f800000, v78
	s_delay_alu instid0(VALU_DEP_1) | instskip(SKIP_1) | instid1(SALU_CYCLE_1)
	v_cmp_ne_u32_e32 vcc_lo, 0x7f800000, v77
                                        ; implicit-def: $vgpr77
	s_and_saveexec_b32 s4, vcc_lo
	s_xor_b32 s4, exec_lo, s4
; %bb.65:
	v_bfe_u32 v77, v78, 16, 1
	s_delay_alu instid0(VALU_DEP_1)
	v_add3_u32 v77, v78, v77, 0x7fff
                                        ; implicit-def: $vgpr78
; %bb.66:
	s_and_not1_saveexec_b32 s4, s4
; %bb.67:
	v_and_b32_e32 v77, 0xffff, v78
	v_or_b32_e32 v83, 0x10000, v78
	s_delay_alu instid0(VALU_DEP_2) | instskip(NEXT) | instid1(VALU_DEP_2)
	v_cmp_eq_u32_e32 vcc_lo, 0, v77
	v_cndmask_b32_e32 v77, v83, v78, vcc_lo
; %bb.68:
	s_or_b32 exec_lo, exec_lo, s4
	v_and_b32_e32 v78, 0x7f800000, v79
	s_delay_alu instid0(VALU_DEP_1) | instskip(SKIP_1) | instid1(SALU_CYCLE_1)
	v_cmp_ne_u32_e32 vcc_lo, 0x7f800000, v78
                                        ; implicit-def: $vgpr78
	s_and_saveexec_b32 s4, vcc_lo
	s_xor_b32 s4, exec_lo, s4
; %bb.69:
	v_bfe_u32 v78, v79, 16, 1
	s_delay_alu instid0(VALU_DEP_1)
	v_add3_u32 v78, v79, v78, 0x7fff
                                        ; implicit-def: $vgpr79
; %bb.70:
	s_and_not1_saveexec_b32 s4, s4
; %bb.71:
	v_and_b32_e32 v78, 0xffff, v79
	v_or_b32_e32 v83, 0x10000, v79
	s_delay_alu instid0(VALU_DEP_2) | instskip(NEXT) | instid1(VALU_DEP_2)
	v_cmp_eq_u32_e32 vcc_lo, 0, v78
	v_cndmask_b32_e32 v78, v83, v79, vcc_lo
; %bb.72:
	s_or_b32 exec_lo, exec_lo, s4
	v_and_b32_e32 v79, 0x7f800000, v70
	s_delay_alu instid0(VALU_DEP_1) | instskip(SKIP_1) | instid1(SALU_CYCLE_1)
	v_cmp_ne_u32_e32 vcc_lo, 0x7f800000, v79
                                        ; implicit-def: $vgpr79
	s_and_saveexec_b32 s4, vcc_lo
	s_xor_b32 s4, exec_lo, s4
; %bb.73:
	v_bfe_u32 v79, v70, 16, 1
	s_delay_alu instid0(VALU_DEP_1)
	v_add3_u32 v79, v70, v79, 0x7fff
                                        ; implicit-def: $vgpr70
; %bb.74:
	s_and_not1_saveexec_b32 s4, s4
; %bb.75:
	v_and_b32_e32 v79, 0xffff, v70
	v_or_b32_e32 v83, 0x10000, v70
	s_delay_alu instid0(VALU_DEP_2) | instskip(NEXT) | instid1(VALU_DEP_2)
	v_cmp_eq_u32_e32 vcc_lo, 0, v79
	v_cndmask_b32_e32 v79, v83, v70, vcc_lo
; %bb.76:
	s_or_b32 exec_lo, exec_lo, s4
	s_delay_alu instid0(VALU_DEP_1)
	v_perm_b32 v86, v79, v78, 0x7060302
	v_perm_b32 v85, v77, v82, 0x7060302
	;; [unrolled: 1-line block ×4, first 2 shown]
	v_lshl_or_b32 v82, v66, 11, v80
	ds_store_b128 v76, v[83:86] offset:1024
	s_waitcnt lgkmcnt(0)
	s_barrier
	buffer_gl0_inv
	ds_load_b128 v[69:72], v82
	ds_load_b128 v[83:86], v82 offset:16
	s_waitcnt lgkmcnt(1)
	v_lshrrev_b32_e32 v66, 16, v69
	s_waitcnt lgkmcnt(0)
	v_lshrrev_b32_e32 v91, 16, v83
	v_lshlrev_b32_e32 v78, 2, v74
	v_lshrrev_b32_e32 v95, 16, v70
	v_lshrrev_b32_e32 v98, 16, v84
	;; [unrolled: 1-line block ×4, first 2 shown]
	v_cmp_eq_u32_e32 vcc_lo, 1, v78
	v_lshrrev_b32_e32 v97, 16, v72
	v_lshrrev_b32_e32 v100, 16, v86
	v_cndmask_b32_e32 v87, v83, v91, vcc_lo
	v_or_b32_e32 v79, 1, v78
	v_cndmask_b32_e32 v81, v69, v66, vcc_lo
	v_cmp_eq_u32_e64 s5, 2, v78
	v_cmp_eq_u32_e64 s8, 3, v78
	;; [unrolled: 1-line block ×5, first 2 shown]
	v_cndmask_b32_e64 v81, v81, v70, s5
	v_cndmask_b32_e64 v87, v87, v84, s5
	v_cmp_eq_u32_e64 s9, 3, v79
	v_cndmask_b32_e64 v88, v69, v66, s4
	v_or_b32_e32 v77, 2, v78
	v_cndmask_b32_e64 v81, v81, v95, s8
	v_cndmask_b32_e64 v87, v87, v98, s8
	;; [unrolled: 1-line block ×4, first 2 shown]
	v_cmp_eq_u32_e64 s11, 5, v78
	v_cndmask_b32_e64 v81, v81, v71, s10
	v_cndmask_b32_e64 v87, v87, v85, s10
	v_cmp_eq_u32_e64 s12, 4, v79
	v_cndmask_b32_e64 v88, v88, v95, s9
	v_cmp_eq_u32_e64 s6, 1, v77
	v_cndmask_b32_e64 v89, v89, v84, s7
	v_cndmask_b32_e64 v81, v81, v96, s11
	v_cmp_eq_u32_e64 s13, 6, v78
	v_cndmask_b32_e64 v88, v88, v71, s12
	;; [unrolled: 3-line block ×3, first 2 shown]
	v_cndmask_b32_e64 v89, v89, v98, s9
	v_cndmask_b32_e64 v81, v81, v72, s13
	v_cmp_eq_u32_e64 s16, 7, v78
	v_cndmask_b32_e64 v88, v88, v96, s15
	v_cndmask_b32_e64 v87, v87, v86, s13
	v_cmp_eq_u32_e64 s17, 6, v79
	v_cmp_eq_u32_e64 s18, 2, v77
	v_cndmask_b32_e64 v89, v89, v85, s12
	v_cndmask_b32_e64 v101, v81, v97, s16
	;; [unrolled: 1-line block ×6, first 2 shown]
	v_cmp_eq_u32_e64 s19, 7, v79
	v_cmp_eq_u32_e64 s20, 3, v77
	;; [unrolled: 1-line block ×4, first 2 shown]
	v_cndmask_b32_e64 v87, v87, v84, s18
	v_cndmask_b32_e64 v103, v88, v97, s19
	;; [unrolled: 1-line block ×4, first 2 shown]
	v_or_b32_e32 v81, 3, v78
	v_cndmask_b32_e64 v93, v87, v98, s20
	v_cmp_eq_u32_e64 s25, 6, v77
	v_cndmask_b32_e64 v104, v88, v86, s17
	v_cndmask_b32_e64 v92, v89, v71, s21
	v_cmp_eq_u32_e64 s22, 1, v81
	ds_load_b128 v[87:90], v82 offset:1024
	v_cmp_eq_u32_e64 s24, 2, v81
	v_cmp_eq_u32_e64 s26, 3, v81
	v_cndmask_b32_e64 v105, v92, v96, s23
	v_cndmask_b32_e64 v66, v69, v66, s22
	;; [unrolled: 1-line block ×4, first 2 shown]
	ds_load_b128 v[91:94], v82 offset:1040
	v_cmp_eq_u32_e64 s27, 4, v81
	v_cndmask_b32_e64 v66, v66, v70, s24
	v_cmp_eq_u32_e64 s28, 7, v77
	v_cndmask_b32_e64 v70, v83, v84, s24
	v_cndmask_b32_e64 v84, v105, v72, s25
	v_cmp_eq_u32_e64 s29, 5, v81
	v_cndmask_b32_e64 v66, v66, v95, s26
	v_cmp_eq_u32_e64 s30, 6, v81
	v_cndmask_b32_e64 v70, v70, v98, s26
	v_cndmask_b32_e64 v69, v69, v99, s23
	;; [unrolled: 1-line block ×4, first 2 shown]
	s_waitcnt lgkmcnt(1)
	v_lshrrev_b32_e32 v95, 16, v87
	v_cndmask_b32_e64 v70, v70, v85, s27
	v_cndmask_b32_e64 v71, v84, v97, s28
	;; [unrolled: 1-line block ×4, first 2 shown]
	v_cndmask_b32_e32 v84, v87, v95, vcc_lo
	v_cndmask_b32_e64 v70, v70, v99, s29
	s_waitcnt lgkmcnt(0)
	v_lshrrev_b32_e32 v85, 16, v91
	v_lshrrev_b32_e32 v96, 16, v88
	v_cndmask_b32_e64 v98, v87, v95, s4
	v_cndmask_b32_e64 v84, v84, v88, s5
	;; [unrolled: 1-line block ×3, first 2 shown]
	v_cndmask_b32_e32 v99, v91, v85, vcc_lo
	v_cmp_eq_u32_e32 vcc_lo, 7, v81
	v_cndmask_b32_e64 v66, v66, v72, s30
	v_cndmask_b32_e64 v72, v84, v96, s8
	;; [unrolled: 1-line block ×3, first 2 shown]
	v_lshrrev_b32_e32 v98, 16, v92
	v_cndmask_b32_e32 v70, v70, v100, vcc_lo
	v_cndmask_b32_e64 v86, v99, v92, s5
	v_cndmask_b32_e64 v69, v69, v100, s28
	v_lshrrev_b32_e32 v100, 16, v93
	v_cndmask_b32_e64 v72, v72, v89, s10
	v_lshrrev_b32_e32 v99, 16, v89
	v_cndmask_b32_e64 v86, v86, v98, s8
	v_perm_b32 v71, v69, v71, 0x5040100
	v_cndmask_b32_e64 v84, v84, v96, s9
	s_delay_alu instid0(VALU_DEP_3) | instskip(NEXT) | instid1(VALU_DEP_2)
	v_cndmask_b32_e64 v86, v86, v93, s10
	v_cndmask_b32_e64 v84, v84, v89, s12
	s_delay_alu instid0(VALU_DEP_2) | instskip(NEXT) | instid1(VALU_DEP_1)
	v_cndmask_b32_e64 v86, v86, v100, s11
	v_cndmask_b32_e64 v69, v86, v94, s13
	;; [unrolled: 1-line block ×5, first 2 shown]
	s_delay_alu instid0(VALU_DEP_3) | instskip(NEXT) | instid1(VALU_DEP_3)
	v_cndmask_b32_e64 v86, v86, v88, s18
	v_cndmask_b32_e64 v87, v87, v88, s24
	s_delay_alu instid0(VALU_DEP_3) | instskip(NEXT) | instid1(VALU_DEP_3)
	v_cndmask_b32_e64 v88, v95, v92, s24
	v_cndmask_b32_e64 v86, v86, v96, s20
	;; [unrolled: 3-line block ×7, first 2 shown]
	s_delay_alu instid0(VALU_DEP_3) | instskip(SKIP_2) | instid1(VALU_DEP_2)
	v_cndmask_b32_e64 v88, v88, v94, s30
	v_cndmask_b32_e32 v66, v66, v97, vcc_lo
	v_cndmask_b32_e64 v97, v72, v99, s11
	v_perm_b32 v72, v70, v66, 0x5040100
	v_perm_b32 v70, v83, v103, 0x5040100
	v_cndmask_b32_e64 v103, v91, v85, s6
	v_cndmask_b32_e64 v85, v91, v85, s4
	;; [unrolled: 1-line block ×4, first 2 shown]
	v_lshrrev_b32_e32 v97, 16, v90
	v_cndmask_b32_e64 v91, v103, v92, s18
	v_cndmask_b32_e64 v85, v85, v92, s7
	;; [unrolled: 1-line block ×3, first 2 shown]
	s_mov_b32 s4, exec_lo
	v_cndmask_b32_e64 v83, v84, v97, s16
	v_cndmask_b32_e64 v91, v91, v98, s20
	;; [unrolled: 1-line block ×3, first 2 shown]
	v_lshrrev_b32_e32 v84, 16, v94
	v_cndmask_b32_e64 v66, v66, v97, s19
	v_cndmask_b32_e64 v90, v86, v97, s28
	;; [unrolled: 1-line block ×4, first 2 shown]
	v_dual_cndmask_b32 v86, v87, v97 :: v_dual_cndmask_b32 v87, v88, v84
	v_cndmask_b32_e64 v91, v69, v84, s16
	s_delay_alu instid0(VALU_DEP_4) | instskip(NEXT) | instid1(VALU_DEP_4)
	v_cndmask_b32_e64 v89, v89, v100, s23
	v_cndmask_b32_e64 v85, v85, v100, s15
	v_perm_b32 v69, v102, v101, 0x5040100
	v_perm_b32 v86, v87, v86, 0x5040100
	;; [unrolled: 1-line block ×3, first 2 shown]
	v_cndmask_b32_e64 v89, v89, v94, s25
	v_cndmask_b32_e64 v85, v85, v94, s17
	s_mul_i32 s9, s37, 13
	s_delay_alu instid0(VALU_DEP_2) | instskip(NEXT) | instid1(VALU_DEP_2)
	v_cndmask_b32_e64 v88, v89, v84, s28
	v_cndmask_b32_e64 v89, v85, v84, s19
	s_delay_alu instid0(VALU_DEP_2) | instskip(NEXT) | instid1(VALU_DEP_2)
	v_perm_b32 v85, v88, v90, 0x5040100
	v_perm_b32 v84, v89, v66, 0x5040100
	ds_store_b128 v76, v[69:72]
	ds_store_b128 v76, v[83:86] offset:1024
	v_cmpx_gt_u32_e32 13, v0
	s_cbranch_execz .LBB1674_78
; %bb.77:
	s_mul_i32 s5, s9, s34
	s_load_b128 s[16:19], s[0:1], 0x58
	v_add3_u32 v69, s5, s31, v65
	s_delay_alu instid0(VALU_DEP_1) | instskip(NEXT) | instid1(VALU_DEP_1)
	v_mad_u64_u32 v[65:66], null, v69, s36, s[14:15]
	v_ashrrev_i32_e32 v66, 31, v65
	s_delay_alu instid0(VALU_DEP_1) | instskip(SKIP_1) | instid1(VALU_DEP_1)
	v_lshlrev_b64 v[65:66], 2, v[65:66]
	s_waitcnt lgkmcnt(0)
	v_add_co_u32 v69, vcc_lo, s18, v65
	s_delay_alu instid0(VALU_DEP_2)
	v_add_co_ci_u32_e32 v70, vcc_lo, s19, v66, vcc_lo
	v_add_co_u32 v65, vcc_lo, s16, v65
	v_add_co_ci_u32_e32 v66, vcc_lo, s17, v66, vcc_lo
	global_store_b32 v[69:70], v67, off
	global_store_b32 v[65:66], v68, off
.LBB1674_78:
	s_or_b32 exec_lo, exec_lo, s4
	s_waitcnt lgkmcnt(0)
	s_waitcnt_vscnt null, 0x0
	s_barrier
	buffer_gl0_inv
	ds_load_b128 v[83:86], v80
	ds_load_b128 v[87:90], v80 offset:16
	ds_load_b128 v[95:98], v80 offset:2064
	ds_load_b128 v[91:94], v80 offset:2048
	v_mov_b32_e32 v65, 0
	ds_load_b128 v[103:106], v80 offset:4112
	ds_load_b128 v[99:102], v80 offset:4096
	;; [unrolled: 1-line block ×4, first 2 shown]
	v_mov_b32_e32 v66, v65
	v_mov_b32_e32 v67, v65
	;; [unrolled: 1-line block ×7, first 2 shown]
	s_waitcnt lgkmcnt(6)
	s_delay_alu instid0(VALU_DEP_1)
	v_wmma_f32_16x16x16_bf16 v[65:72], v[57:64], v[83:90], v[65:72]
	ds_load_b128 v[61:64], v80 offset:8208
	ds_load_b128 v[57:60], v80 offset:8192
	s_waitcnt lgkmcnt(6)
	v_wmma_f32_16x16x16_bf16 v[65:72], v[41:48], v[91:98], v[65:72]
	ds_load_b128 v[45:48], v80 offset:10256
	ds_load_b128 v[41:44], v80 offset:10240
	s_waitcnt lgkmcnt(6)
	;; [unrolled: 4-line block ×4, first 2 shown]
	v_wmma_f32_16x16x16_bf16 v[65:72], v[1:8], v[57:64], v[65:72]
	s_waitcnt lgkmcnt(4)
	s_delay_alu instid0(VALU_DEP_1) | instskip(SKIP_1) | instid1(VALU_DEP_1)
	v_wmma_f32_16x16x16_bf16 v[65:72], v[9:16], v[41:48], v[65:72]
	s_waitcnt lgkmcnt(2)
	v_wmma_f32_16x16x16_bf16 v[65:72], v[17:24], v[33:40], v[65:72]
	s_waitcnt lgkmcnt(0)
	s_delay_alu instid0(VALU_DEP_1) | instskip(NEXT) | instid1(VALU_DEP_1)
	v_wmma_f32_16x16x16_bf16 v[65:72], v[49:56], v[25:32], v[65:72]
	v_and_b32_e32 v1, 0x7f800000, v65
	s_delay_alu instid0(VALU_DEP_1) | instskip(SKIP_1) | instid1(SALU_CYCLE_1)
	v_cmp_ne_u32_e32 vcc_lo, 0x7f800000, v1
                                        ; implicit-def: $vgpr1
	s_and_saveexec_b32 s4, vcc_lo
	s_xor_b32 s4, exec_lo, s4
; %bb.79:
	v_bfe_u32 v1, v65, 16, 1
	s_delay_alu instid0(VALU_DEP_1)
	v_add3_u32 v1, v65, v1, 0x7fff
; %bb.80:
	s_and_not1_saveexec_b32 s4, s4
; %bb.81:
	v_and_b32_e32 v1, 0xffff, v65
	v_or_b32_e32 v2, 0x10000, v65
	s_delay_alu instid0(VALU_DEP_2) | instskip(NEXT) | instid1(VALU_DEP_2)
	v_cmp_eq_u32_e32 vcc_lo, 0, v1
	v_cndmask_b32_e32 v1, v2, v65, vcc_lo
; %bb.82:
	s_or_b32 exec_lo, exec_lo, s4
	v_and_b32_e32 v2, 0x7f800000, v66
	s_delay_alu instid0(VALU_DEP_1) | instskip(SKIP_1) | instid1(SALU_CYCLE_1)
	v_cmp_ne_u32_e32 vcc_lo, 0x7f800000, v2
                                        ; implicit-def: $vgpr2
	s_and_saveexec_b32 s4, vcc_lo
	s_xor_b32 s4, exec_lo, s4
; %bb.83:
	v_bfe_u32 v2, v66, 16, 1
	s_delay_alu instid0(VALU_DEP_1)
	v_add3_u32 v2, v66, v2, 0x7fff
; %bb.84:
	s_and_not1_saveexec_b32 s4, s4
; %bb.85:
	v_and_b32_e32 v2, 0xffff, v66
	v_or_b32_e32 v3, 0x10000, v66
	s_delay_alu instid0(VALU_DEP_2) | instskip(NEXT) | instid1(VALU_DEP_2)
	v_cmp_eq_u32_e32 vcc_lo, 0, v2
	v_cndmask_b32_e32 v2, v3, v66, vcc_lo
; %bb.86:
	s_or_b32 exec_lo, exec_lo, s4
	v_and_b32_e32 v3, 0x7f800000, v67
	s_delay_alu instid0(VALU_DEP_1) | instskip(SKIP_1) | instid1(SALU_CYCLE_1)
	v_cmp_ne_u32_e32 vcc_lo, 0x7f800000, v3
                                        ; implicit-def: $vgpr3
	s_and_saveexec_b32 s4, vcc_lo
	s_xor_b32 s4, exec_lo, s4
; %bb.87:
	v_bfe_u32 v3, v67, 16, 1
	s_delay_alu instid0(VALU_DEP_1)
	v_add3_u32 v3, v67, v3, 0x7fff
; %bb.88:
	s_and_not1_saveexec_b32 s4, s4
; %bb.89:
	v_and_b32_e32 v3, 0xffff, v67
	v_or_b32_e32 v4, 0x10000, v67
	s_delay_alu instid0(VALU_DEP_2) | instskip(NEXT) | instid1(VALU_DEP_2)
	v_cmp_eq_u32_e32 vcc_lo, 0, v3
	v_cndmask_b32_e32 v3, v4, v67, vcc_lo
; %bb.90:
	s_or_b32 exec_lo, exec_lo, s4
	v_and_b32_e32 v4, 0x7f800000, v68
	s_delay_alu instid0(VALU_DEP_1) | instskip(SKIP_1) | instid1(SALU_CYCLE_1)
	v_cmp_ne_u32_e32 vcc_lo, 0x7f800000, v4
                                        ; implicit-def: $vgpr4
	s_and_saveexec_b32 s4, vcc_lo
	s_xor_b32 s4, exec_lo, s4
; %bb.91:
	v_bfe_u32 v4, v68, 16, 1
	s_delay_alu instid0(VALU_DEP_1)
	v_add3_u32 v4, v68, v4, 0x7fff
; %bb.92:
	s_and_not1_saveexec_b32 s4, s4
; %bb.93:
	v_and_b32_e32 v4, 0xffff, v68
	v_or_b32_e32 v5, 0x10000, v68
	s_delay_alu instid0(VALU_DEP_2) | instskip(NEXT) | instid1(VALU_DEP_2)
	v_cmp_eq_u32_e32 vcc_lo, 0, v4
	v_cndmask_b32_e32 v4, v5, v68, vcc_lo
; %bb.94:
	s_or_b32 exec_lo, exec_lo, s4
	v_and_b32_e32 v5, 0x7f800000, v69
	s_delay_alu instid0(VALU_DEP_1) | instskip(SKIP_1) | instid1(SALU_CYCLE_1)
	v_cmp_ne_u32_e32 vcc_lo, 0x7f800000, v5
                                        ; implicit-def: $vgpr5
	s_and_saveexec_b32 s4, vcc_lo
	s_xor_b32 s4, exec_lo, s4
; %bb.95:
	v_bfe_u32 v5, v69, 16, 1
	s_delay_alu instid0(VALU_DEP_1)
	v_add3_u32 v5, v69, v5, 0x7fff
; %bb.96:
	s_and_not1_saveexec_b32 s4, s4
; %bb.97:
	v_and_b32_e32 v5, 0xffff, v69
	v_or_b32_e32 v6, 0x10000, v69
	s_delay_alu instid0(VALU_DEP_2) | instskip(NEXT) | instid1(VALU_DEP_2)
	v_cmp_eq_u32_e32 vcc_lo, 0, v5
	v_cndmask_b32_e32 v5, v6, v69, vcc_lo
; %bb.98:
	s_or_b32 exec_lo, exec_lo, s4
	v_and_b32_e32 v6, 0x7f800000, v70
	s_delay_alu instid0(VALU_DEP_1) | instskip(SKIP_1) | instid1(SALU_CYCLE_1)
	v_cmp_ne_u32_e32 vcc_lo, 0x7f800000, v6
                                        ; implicit-def: $vgpr6
	s_and_saveexec_b32 s4, vcc_lo
	s_xor_b32 s4, exec_lo, s4
; %bb.99:
	v_bfe_u32 v6, v70, 16, 1
	s_delay_alu instid0(VALU_DEP_1)
	v_add3_u32 v6, v70, v6, 0x7fff
; %bb.100:
	s_and_not1_saveexec_b32 s4, s4
; %bb.101:
	v_and_b32_e32 v6, 0xffff, v70
	v_or_b32_e32 v7, 0x10000, v70
	s_delay_alu instid0(VALU_DEP_2) | instskip(NEXT) | instid1(VALU_DEP_2)
	v_cmp_eq_u32_e32 vcc_lo, 0, v6
	v_cndmask_b32_e32 v6, v7, v70, vcc_lo
; %bb.102:
	s_or_b32 exec_lo, exec_lo, s4
	v_and_b32_e32 v7, 0x7f800000, v71
	s_delay_alu instid0(VALU_DEP_1) | instskip(SKIP_1) | instid1(SALU_CYCLE_1)
	v_cmp_ne_u32_e32 vcc_lo, 0x7f800000, v7
                                        ; implicit-def: $vgpr7
	s_and_saveexec_b32 s4, vcc_lo
	s_xor_b32 s4, exec_lo, s4
; %bb.103:
	v_bfe_u32 v7, v71, 16, 1
	s_delay_alu instid0(VALU_DEP_1)
	v_add3_u32 v7, v71, v7, 0x7fff
; %bb.104:
	s_and_not1_saveexec_b32 s4, s4
; %bb.105:
	v_and_b32_e32 v7, 0xffff, v71
	v_or_b32_e32 v8, 0x10000, v71
	s_delay_alu instid0(VALU_DEP_2) | instskip(NEXT) | instid1(VALU_DEP_2)
	v_cmp_eq_u32_e32 vcc_lo, 0, v7
	v_cndmask_b32_e32 v7, v8, v71, vcc_lo
; %bb.106:
	s_or_b32 exec_lo, exec_lo, s4
	v_and_b32_e32 v8, 0x7f800000, v72
	s_delay_alu instid0(VALU_DEP_1) | instskip(SKIP_1) | instid1(SALU_CYCLE_1)
	v_cmp_ne_u32_e32 vcc_lo, 0x7f800000, v8
                                        ; implicit-def: $vgpr8
	s_and_saveexec_b32 s4, vcc_lo
	s_xor_b32 s4, exec_lo, s4
; %bb.107:
	v_bfe_u32 v8, v72, 16, 1
	s_delay_alu instid0(VALU_DEP_1)
	v_add3_u32 v8, v72, v8, 0x7fff
                                        ; implicit-def: $vgpr65_vgpr66_vgpr67_vgpr68_vgpr69_vgpr70_vgpr71_vgpr72
; %bb.108:
	s_and_not1_saveexec_b32 s4, s4
; %bb.109:
	v_and_b32_e32 v8, 0xffff, v72
	v_or_b32_e32 v9, 0x10000, v72
	s_delay_alu instid0(VALU_DEP_2) | instskip(NEXT) | instid1(VALU_DEP_2)
	v_cmp_eq_u32_e32 vcc_lo, 0, v8
	v_cndmask_b32_e32 v8, v9, v72, vcc_lo
; %bb.110:
	s_or_b32 exec_lo, exec_lo, s4
	s_delay_alu instid0(VALU_DEP_1)
	v_perm_b32 v7, v8, v7, 0x7060302
	v_perm_b32 v6, v6, v5, 0x7060302
	;; [unrolled: 1-line block ×4, first 2 shown]
	s_barrier
	buffer_gl0_inv
	v_cmp_eq_u32_e32 vcc_lo, 1, v78
	ds_store_b128 v76, v[4:7]
	s_waitcnt lgkmcnt(0)
	s_barrier
	buffer_gl0_inv
	ds_load_b128 v[1:4], v82
	ds_load_b128 v[5:8], v82 offset:16
	v_cmp_eq_u32_e64 s4, 1, v79
	v_cmp_eq_u32_e64 s5, 2, v78
	;; [unrolled: 1-line block ×5, first 2 shown]
	s_waitcnt lgkmcnt(1)
	v_lshrrev_b32_e32 v9, 16, v1
	s_waitcnt lgkmcnt(0)
	v_lshrrev_b32_e32 v13, 16, v5
	v_lshrrev_b32_e32 v10, 16, v2
	;; [unrolled: 1-line block ×4, first 2 shown]
	v_cndmask_b32_e64 v19, v1, v9, s4
	v_cndmask_b32_e32 v18, v5, v13, vcc_lo
	v_cndmask_b32_e64 v20, v5, v13, s4
	v_cndmask_b32_e32 v17, v1, v9, vcc_lo
	v_cmp_eq_u32_e32 vcc_lo, 2, v79
	v_lshrrev_b32_e32 v15, 16, v7
	v_cmp_eq_u32_e64 s4, 1, v77
	v_lshrrev_b32_e32 v12, 16, v4
	v_lshrrev_b32_e32 v16, 16, v8
	v_cndmask_b32_e32 v20, v20, v6, vcc_lo
	v_cndmask_b32_e64 v17, v17, v2, s5
	v_cndmask_b32_e32 v19, v19, v2, vcc_lo
	v_cndmask_b32_e64 v18, v18, v6, s5
	v_cmp_eq_u32_e32 vcc_lo, 4, v78
	v_cmp_eq_u32_e64 s5, 3, v79
	v_cndmask_b32_e64 v17, v17, v10, s6
	v_cndmask_b32_e64 v21, v1, v9, s4
	;; [unrolled: 1-line block ×5, first 2 shown]
	v_cndmask_b32_e32 v17, v17, v3, vcc_lo
	v_cndmask_b32_e64 v20, v20, v14, s5
	v_cndmask_b32_e32 v18, v18, v7, vcc_lo
	v_cmp_eq_u32_e32 vcc_lo, 4, v79
	v_cmp_eq_u32_e64 s5, 5, v79
	v_cmp_eq_u32_e64 s4, 2, v81
	v_cndmask_b32_e64 v21, v21, v2, s8
	v_cmp_eq_u32_e64 s6, 5, v78
	v_cndmask_b32_e32 v19, v19, v3, vcc_lo
	v_cndmask_b32_e32 v20, v20, v7, vcc_lo
	v_cmp_eq_u32_e32 vcc_lo, 6, v79
	s_delay_alu instid0(VALU_DEP_4) | instskip(NEXT) | instid1(VALU_DEP_4)
	v_cndmask_b32_e64 v17, v17, v11, s6
	v_cndmask_b32_e64 v19, v19, v11, s5
	s_delay_alu instid0(VALU_DEP_4) | instskip(SKIP_1) | instid1(VALU_DEP_3)
	v_cndmask_b32_e64 v20, v20, v15, s5
	v_cmp_eq_u32_e64 s5, 1, v81
	v_cndmask_b32_e32 v19, v19, v4, vcc_lo
	v_cndmask_b32_e64 v18, v18, v15, s6
	s_delay_alu instid0(VALU_DEP_3)
	v_cndmask_b32_e64 v1, v1, v9, s5
	v_cndmask_b32_e64 v5, v5, v13, s5
	v_cmp_eq_u32_e64 s5, 3, v77
	v_cndmask_b32_e64 v13, v22, v6, s8
	v_cmp_eq_u32_e64 s8, 3, v81
	v_cndmask_b32_e64 v1, v1, v2, s4
	v_cndmask_b32_e64 v2, v5, v6, s4
	;; [unrolled: 1-line block ×3, first 2 shown]
	v_cmp_eq_u32_e64 s4, 4, v77
	v_cndmask_b32_e64 v6, v13, v14, s5
	v_cndmask_b32_e64 v1, v1, v10, s8
	v_cmp_eq_u32_e64 s5, 4, v81
	v_cndmask_b32_e64 v2, v2, v14, s8
	v_cndmask_b32_e64 v5, v9, v3, s4
	;; [unrolled: 3-line block ×3, first 2 shown]
	v_cndmask_b32_e64 v2, v2, v7, s5
	v_cmp_eq_u32_e64 s4, 5, v81
	v_cmp_eq_u32_e64 s6, 6, v78
	v_cndmask_b32_e64 v5, v5, v11, s8
	v_cmp_eq_u32_e64 s5, 6, v77
	v_cndmask_b32_e64 v3, v6, v15, s8
	v_cndmask_b32_e64 v1, v1, v11, s4
	v_cmp_eq_u32_e64 s8, 6, v81
	v_cndmask_b32_e64 v2, v2, v15, s4
	v_cndmask_b32_e64 v17, v17, v4, s6
	v_cndmask_b32_e64 v18, v18, v8, s6
	v_cmp_eq_u32_e64 s6, 7, v78
	v_cndmask_b32_e64 v5, v5, v4, s5
	;; [unrolled: 4-line block ×3, first 2 shown]
	v_cmp_eq_u32_e64 s5, 7, v77
	v_cndmask_b32_e32 v4, v20, v8, vcc_lo
	v_cndmask_b32_e64 v17, v17, v12, s6
	v_cndmask_b32_e64 v19, v19, v12, s7
	;; [unrolled: 1-line block ×8, first 2 shown]
	v_cmp_gt_u32_e32 vcc_lo, 32, v0
	v_perm_b32 v4, v2, v1, 0x5040100
	v_perm_b32 v3, v3, v5, 0x5040100
	;; [unrolled: 1-line block ×4, first 2 shown]
	s_and_b32 s2, vcc_lo, s2
	ds_store_b128 v76, v[1:4]
	s_waitcnt lgkmcnt(0)
	s_barrier
	buffer_gl0_inv
	s_and_saveexec_b32 s4, s2
	s_cbranch_execz .LBB1674_2
; %bb.111:
	s_load_b64 s[4:5], s[0:1], 0x68
	v_lshlrev_b32_e32 v0, 10, v0
	v_lshlrev_b32_e32 v1, 4, v75
	s_lshl_b32 s0, s36, 6
	v_add_nc_u32_e32 v18, s31, v74
	s_mul_i32 s1, s0, s34
	s_delay_alu instid0(VALU_DEP_2) | instskip(SKIP_1) | instid1(VALU_DEP_2)
	v_and_or_b32 v0, 0x3800, v0, v1
	s_mul_i32 s6, s1, s9
	v_mul_lo_u32 v1, v18, s0
	s_ashr_i32 s7, s6, 31
	v_add_nc_u32_e32 v2, 2, v18
	v_lshl_or_b32 v19, v74, 6, v0
	s_lshl_b64 s[6:7], s[6:7], 1
	v_add_nc_u32_e32 v8, 4, v18
	v_add_nc_u32_e32 v15, 6, v18
	v_mul_lo_u32 v7, v2, s0
	ds_load_b128 v[3:6], v19
	v_ashrrev_i32_e32 v2, 31, v1
	v_mul_lo_u32 v11, v8, s0
	s_waitcnt lgkmcnt(0)
	s_add_u32 s1, s4, s6
	s_addc_u32 s2, s5, s7
	s_lshl_b32 s4, s14, 6
	v_lshlrev_b64 v[9:10], 1, v[1:2]
	s_ashr_i32 s5, s4, 31
	v_ashrrev_i32_e32 v8, 31, v7
	s_lshl_b64 s[4:5], s[4:5], 1
	v_ashrrev_i32_e32 v12, 31, v11
	s_add_u32 s1, s1, s4
	s_addc_u32 s2, s2, s5
	v_add_co_u32 v1, s1, s1, v73
	s_delay_alu instid0(VALU_DEP_1) | instskip(SKIP_1) | instid1(VALU_DEP_3)
	v_add_co_ci_u32_e64 v2, null, s2, 0, s1
	v_mul_lo_u32 v15, v15, s0
	v_add_co_u32 v13, vcc_lo, v1, v9
	s_delay_alu instid0(VALU_DEP_3)
	v_add_co_ci_u32_e32 v14, vcc_lo, v2, v10, vcc_lo
	v_lshlrev_b64 v[16:17], 1, v[7:8]
	ds_load_b128 v[7:10], v19 offset:128
	global_store_b128 v[13:14], v[3:6], off
	v_add_nc_u32_e32 v5, 8, v18
	v_lshlrev_b64 v[3:4], 1, v[11:12]
	v_add_co_u32 v23, vcc_lo, v1, v16
	v_ashrrev_i32_e32 v16, 31, v15
	s_delay_alu instid0(VALU_DEP_4) | instskip(SKIP_3) | instid1(VALU_DEP_3)
	v_mul_lo_u32 v25, v5, s0
	v_add_nc_u32_e32 v5, 10, v18
	v_add_co_ci_u32_e32 v24, vcc_lo, v2, v17, vcc_lo
	v_add_co_u32 v27, vcc_lo, v1, v3
	v_mul_lo_u32 v29, v5, s0
	v_add_co_ci_u32_e32 v28, vcc_lo, v2, v4, vcc_lo
	v_lshlrev_b64 v[31:32], 1, v[15:16]
	ds_load_b128 v[3:6], v19 offset:256
	ds_load_b128 v[11:14], v19 offset:384
	ds_load_b128 v[15:18], v19 offset:512
	ds_load_b128 v[19:22], v19 offset:640
	v_ashrrev_i32_e32 v26, 31, v25
	v_ashrrev_i32_e32 v30, 31, v29
	v_add_co_u32 v31, vcc_lo, v1, v31
	s_delay_alu instid0(VALU_DEP_3) | instskip(SKIP_1) | instid1(VALU_DEP_4)
	v_lshlrev_b64 v[25:26], 1, v[25:26]
	v_add_co_ci_u32_e32 v32, vcc_lo, v2, v32, vcc_lo
	v_lshlrev_b64 v[29:30], 1, v[29:30]
	s_delay_alu instid0(VALU_DEP_3) | instskip(NEXT) | instid1(VALU_DEP_4)
	v_add_co_u32 v25, vcc_lo, v1, v25
	v_add_co_ci_u32_e32 v26, vcc_lo, v2, v26, vcc_lo
	s_delay_alu instid0(VALU_DEP_3) | instskip(NEXT) | instid1(VALU_DEP_4)
	v_add_co_u32 v29, vcc_lo, v1, v29
	v_add_co_ci_u32_e32 v30, vcc_lo, v2, v30, vcc_lo
	s_waitcnt lgkmcnt(4)
	global_store_b128 v[23:24], v[7:10], off
	s_waitcnt lgkmcnt(3)
	global_store_b128 v[27:28], v[3:6], off
	;; [unrolled: 2-line block ×5, first 2 shown]
	s_and_b32 exec_lo, exec_lo, s3
	s_cbranch_execz .LBB1674_2
; %bb.112:
	ds_load_b128 v[3:6], v0 offset:768
	s_add_i32 s1, s31, 12
	s_delay_alu instid0(SALU_CYCLE_1) | instskip(NEXT) | instid1(SALU_CYCLE_1)
	s_mul_i32 s0, s1, s0
	s_ashr_i32 s1, s0, 31
	s_delay_alu instid0(SALU_CYCLE_1) | instskip(NEXT) | instid1(SALU_CYCLE_1)
	s_lshl_b64 s[0:1], s[0:1], 1
	v_add_co_u32 v0, vcc_lo, v1, s0
	v_add_co_ci_u32_e32 v1, vcc_lo, s1, v2, vcc_lo
	s_waitcnt lgkmcnt(0)
	global_store_b128 v[0:1], v[3:6], off
	s_nop 0
	s_sendmsg sendmsg(MSG_DEALLOC_VGPRS)
	s_endpgm
	.section	.rodata,"a",@progbits
	.p2align	6, 0x0
	.amdhsa_kernel _Z39paged_attention_ll4mi_QKV_mfma16_kernelI14__hip_bfloat16hLN4vllm18Fp8KVCacheDataTypeE1EhLi16ELi64ELi256ELb1ELi13EL8MFMAType0EEvPKT_PKT0_S9_ifPKiSB_SB_iPKfiiiPfSE_PS4_PT2_iSD_SD_
		.amdhsa_group_segment_fixed_size 17472
		.amdhsa_private_segment_fixed_size 0
		.amdhsa_kernarg_size 400
		.amdhsa_user_sgpr_count 13
		.amdhsa_user_sgpr_dispatch_ptr 0
		.amdhsa_user_sgpr_queue_ptr 0
		.amdhsa_user_sgpr_kernarg_segment_ptr 1
		.amdhsa_user_sgpr_dispatch_id 0
		.amdhsa_user_sgpr_private_segment_size 0
		.amdhsa_wavefront_size32 1
		.amdhsa_uses_dynamic_stack 0
		.amdhsa_enable_private_segment 0
		.amdhsa_system_sgpr_workgroup_id_x 1
		.amdhsa_system_sgpr_workgroup_id_y 1
		.amdhsa_system_sgpr_workgroup_id_z 1
		.amdhsa_system_sgpr_workgroup_info 0
		.amdhsa_system_vgpr_workitem_id 0
		.amdhsa_next_free_vgpr 124
		.amdhsa_next_free_sgpr 40
		.amdhsa_reserve_vcc 1
		.amdhsa_float_round_mode_32 0
		.amdhsa_float_round_mode_16_64 0
		.amdhsa_float_denorm_mode_32 3
		.amdhsa_float_denorm_mode_16_64 3
		.amdhsa_dx10_clamp 1
		.amdhsa_ieee_mode 1
		.amdhsa_fp16_overflow 0
		.amdhsa_workgroup_processor_mode 1
		.amdhsa_memory_ordered 1
		.amdhsa_forward_progress 0
		.amdhsa_shared_vgpr_count 0
		.amdhsa_exception_fp_ieee_invalid_op 0
		.amdhsa_exception_fp_denorm_src 0
		.amdhsa_exception_fp_ieee_div_zero 0
		.amdhsa_exception_fp_ieee_overflow 0
		.amdhsa_exception_fp_ieee_underflow 0
		.amdhsa_exception_fp_ieee_inexact 0
		.amdhsa_exception_int_div_zero 0
	.end_amdhsa_kernel
	.section	.text._Z39paged_attention_ll4mi_QKV_mfma16_kernelI14__hip_bfloat16hLN4vllm18Fp8KVCacheDataTypeE1EhLi16ELi64ELi256ELb1ELi13EL8MFMAType0EEvPKT_PKT0_S9_ifPKiSB_SB_iPKfiiiPfSE_PS4_PT2_iSD_SD_,"axG",@progbits,_Z39paged_attention_ll4mi_QKV_mfma16_kernelI14__hip_bfloat16hLN4vllm18Fp8KVCacheDataTypeE1EhLi16ELi64ELi256ELb1ELi13EL8MFMAType0EEvPKT_PKT0_S9_ifPKiSB_SB_iPKfiiiPfSE_PS4_PT2_iSD_SD_,comdat
.Lfunc_end1674:
	.size	_Z39paged_attention_ll4mi_QKV_mfma16_kernelI14__hip_bfloat16hLN4vllm18Fp8KVCacheDataTypeE1EhLi16ELi64ELi256ELb1ELi13EL8MFMAType0EEvPKT_PKT0_S9_ifPKiSB_SB_iPKfiiiPfSE_PS4_PT2_iSD_SD_, .Lfunc_end1674-_Z39paged_attention_ll4mi_QKV_mfma16_kernelI14__hip_bfloat16hLN4vllm18Fp8KVCacheDataTypeE1EhLi16ELi64ELi256ELb1ELi13EL8MFMAType0EEvPKT_PKT0_S9_ifPKiSB_SB_iPKfiiiPfSE_PS4_PT2_iSD_SD_
                                        ; -- End function
	.section	.AMDGPU.csdata,"",@progbits
; Kernel info:
; codeLenInByte = 8908
; NumSgprs: 42
; NumVgprs: 124
; ScratchSize: 0
; MemoryBound: 0
; FloatMode: 240
; IeeeMode: 1
; LDSByteSize: 17472 bytes/workgroup (compile time only)
; SGPRBlocks: 5
; VGPRBlocks: 15
; NumSGPRsForWavesPerEU: 42
; NumVGPRsForWavesPerEU: 124
; Occupancy: 10
; WaveLimiterHint : 1
; COMPUTE_PGM_RSRC2:SCRATCH_EN: 0
; COMPUTE_PGM_RSRC2:USER_SGPR: 13
; COMPUTE_PGM_RSRC2:TRAP_HANDLER: 0
; COMPUTE_PGM_RSRC2:TGID_X_EN: 1
; COMPUTE_PGM_RSRC2:TGID_Y_EN: 1
; COMPUTE_PGM_RSRC2:TGID_Z_EN: 1
; COMPUTE_PGM_RSRC2:TIDIG_COMP_CNT: 0
	.section	.text._Z39paged_attention_ll4mi_QKV_mfma16_kernelI14__hip_bfloat16hLN4vllm18Fp8KVCacheDataTypeE1EhLi16ELi64ELi256ELb1ELi14EL8MFMAType0EEvPKT_PKT0_S9_ifPKiSB_SB_iPKfiiiPfSE_PS4_PT2_iSD_SD_,"axG",@progbits,_Z39paged_attention_ll4mi_QKV_mfma16_kernelI14__hip_bfloat16hLN4vllm18Fp8KVCacheDataTypeE1EhLi16ELi64ELi256ELb1ELi14EL8MFMAType0EEvPKT_PKT0_S9_ifPKiSB_SB_iPKfiiiPfSE_PS4_PT2_iSD_SD_,comdat
	.protected	_Z39paged_attention_ll4mi_QKV_mfma16_kernelI14__hip_bfloat16hLN4vllm18Fp8KVCacheDataTypeE1EhLi16ELi64ELi256ELb1ELi14EL8MFMAType0EEvPKT_PKT0_S9_ifPKiSB_SB_iPKfiiiPfSE_PS4_PT2_iSD_SD_ ; -- Begin function _Z39paged_attention_ll4mi_QKV_mfma16_kernelI14__hip_bfloat16hLN4vllm18Fp8KVCacheDataTypeE1EhLi16ELi64ELi256ELb1ELi14EL8MFMAType0EEvPKT_PKT0_S9_ifPKiSB_SB_iPKfiiiPfSE_PS4_PT2_iSD_SD_
	.globl	_Z39paged_attention_ll4mi_QKV_mfma16_kernelI14__hip_bfloat16hLN4vllm18Fp8KVCacheDataTypeE1EhLi16ELi64ELi256ELb1ELi14EL8MFMAType0EEvPKT_PKT0_S9_ifPKiSB_SB_iPKfiiiPfSE_PS4_PT2_iSD_SD_
	.p2align	8
	.type	_Z39paged_attention_ll4mi_QKV_mfma16_kernelI14__hip_bfloat16hLN4vllm18Fp8KVCacheDataTypeE1EhLi16ELi64ELi256ELb1ELi14EL8MFMAType0EEvPKT_PKT0_S9_ifPKiSB_SB_iPKfiiiPfSE_PS4_PT2_iSD_SD_,@function
_Z39paged_attention_ll4mi_QKV_mfma16_kernelI14__hip_bfloat16hLN4vllm18Fp8KVCacheDataTypeE1EhLi16ELi64ELi256ELb1ELi14EL8MFMAType0EEvPKT_PKT0_S9_ifPKiSB_SB_iPKfiiiPfSE_PS4_PT2_iSD_SD_: ; @_Z39paged_attention_ll4mi_QKV_mfma16_kernelI14__hip_bfloat16hLN4vllm18Fp8KVCacheDataTypeE1EhLi16ELi64ELi256ELb1ELi14EL8MFMAType0EEvPKT_PKT0_S9_ifPKiSB_SB_iPKfiiiPfSE_PS4_PT2_iSD_SD_
; %bb.0:
	s_load_b64 s[2:3], s[0:1], 0x30
	s_mov_b32 s30, s13
	s_waitcnt lgkmcnt(0)
	s_cmp_lg_u64 s[2:3], 0
	s_cselect_b32 s8, -1, 0
	s_ashr_i32 s31, s13, 31
	s_cmp_eq_u64 s[2:3], 0
	s_cbranch_scc1 .LBB1675_3
; %bb.1:
	s_lshl_b64 s[4:5], s[30:31], 2
	s_delay_alu instid0(SALU_CYCLE_1) | instskip(SKIP_4) | instid1(SALU_CYCLE_1)
	s_add_u32 s4, s2, s4
	s_addc_u32 s5, s3, s5
	s_load_b64 s[4:5], s[4:5], 0x0
	s_waitcnt lgkmcnt(0)
	s_sub_i32 s4, s5, s4
	s_cmp_eq_u32 s4, 1
	s_cselect_b32 s4, -1, 0
	s_delay_alu instid0(SALU_CYCLE_1)
	s_and_not1_b32 vcc_lo, exec_lo, s4
	s_cbranch_vccz .LBB1675_4
.LBB1675_2:
	s_endpgm
.LBB1675_3:
.LBB1675_4:
	s_load_b64 s[4:5], s[0:1], 0x28
	s_lshl_b64 s[6:7], s[30:31], 2
	s_waitcnt lgkmcnt(0)
	s_add_u32 s4, s4, s6
	s_addc_u32 s5, s5, s7
	s_lshl_b32 s12, s14, 8
	s_load_b32 s24, s[4:5], 0x0
	s_waitcnt lgkmcnt(0)
	s_cmp_ge_i32 s12, s24
	s_cbranch_scc1 .LBB1675_2
; %bb.5:
	s_clause 0x1
	s_load_b128 s[20:23], s[0:1], 0x8
	s_load_b64 s[4:5], s[0:1], 0x20
	s_and_not1_b32 vcc_lo, exec_lo, s8
	s_cbranch_vccnz .LBB1675_7
; %bb.6:
	s_add_u32 s2, s2, s6
	s_addc_u32 s3, s3, s7
	s_load_b32 s3, s[2:3], 0x0
	s_branch .LBB1675_8
.LBB1675_7:
	s_mov_b32 s3, s30
.LBB1675_8:
	s_load_b128 s[16:19], s[0:1], 0x48
	v_and_b32_e32 v65, 15, v0
	v_cmp_gt_u32_e32 vcc_lo, 0xe0, v0
	v_lshrrev_b32_e32 v66, 5, v0
	v_and_b32_e32 v67, 31, v0
	v_and_b32_e32 v75, 1, v0
	v_lshlrev_b32_e32 v1, 3, v65
	v_cmp_gt_u32_e64 s2, 8, v65
	v_bfe_u32 v74, v0, 4, 1
	s_mul_i32 s31, s15, 14
	s_delay_alu instid0(VALU_DEP_3) | instskip(NEXT) | instid1(VALU_DEP_3)
	v_lshlrev_b32_e32 v73, 1, v1
	s_and_b32 s7, vcc_lo, s2
	s_delay_alu instid0(SALU_CYCLE_1)
	s_and_saveexec_b32 s6, s7
	s_cbranch_execz .LBB1675_10
; %bb.9:
	s_load_b64 s[8:9], s[0:1], 0x0
	v_lshl_or_b32 v5, v66, 1, v74
	s_waitcnt lgkmcnt(0)
	s_mul_hi_i32 s11, s3, s16
	s_mul_i32 s10, s3, s16
	v_lshlrev_b32_e32 v6, 10, v65
	s_lshl_b64 s[10:11], s[10:11], 1
	v_add_lshl_u32 v1, v5, s31, 6
	v_lshlrev_b32_e32 v5, 6, v5
	v_lshlrev_b32_e32 v7, 10, v75
	v_and_b32_e32 v6, 0x3800, v6
	s_delay_alu instid0(VALU_DEP_4) | instskip(NEXT) | instid1(VALU_DEP_2)
	v_ashrrev_i32_e32 v2, 31, v1
	v_or3_b32 v5, v6, v7, v5
	s_delay_alu instid0(VALU_DEP_2) | instskip(SKIP_2) | instid1(VALU_DEP_1)
	v_lshlrev_b64 v[1:2], 1, v[1:2]
	s_add_u32 s3, s8, s10
	s_addc_u32 s7, s9, s11
	v_add_co_u32 v1, vcc_lo, s3, v1
	s_delay_alu instid0(VALU_DEP_2) | instskip(NEXT) | instid1(VALU_DEP_2)
	v_add_co_ci_u32_e32 v2, vcc_lo, s7, v2, vcc_lo
	v_add_co_u32 v1, vcc_lo, v1, v73
	s_delay_alu instid0(VALU_DEP_2)
	v_add_co_ci_u32_e32 v2, vcc_lo, 0, v2, vcc_lo
	global_load_b128 v[1:4], v[1:2], off
	s_waitcnt vmcnt(0)
	ds_store_b128 v5, v[1:4]
.LBB1675_10:
	s_or_b32 exec_lo, exec_lo, s6
	v_and_b32_e32 v1, 0xef, v0
	s_waitcnt lgkmcnt(0)
	s_add_i32 s3, s24, 15
	s_clause 0x1
	s_load_b32 s6, s[0:1], 0x38
	s_load_b32 s19, s[0:1], 0x1c
	s_ashr_i32 s7, s3, 31
	v_add_nc_u32_e32 v1, s12, v1
	s_lshr_b32 s7, s7, 28
	s_waitcnt lgkmcnt(0)
	s_add_i32 s3, s3, s7
	s_barrier
	v_ashrrev_i32_e32 v2, 31, v1
	v_or_b32_e32 v3, 16, v1
	s_ashr_i32 s3, s3, 4
	v_cmp_gt_i32_e32 vcc_lo, s24, v1
	s_add_i32 s3, s3, -1
	v_lshrrev_b32_e32 v2, 28, v2
	buffer_gl0_inv
	s_mul_i32 s27, s15, s18
	v_add_nc_u32_e32 v4, v1, v2
	s_mul_i32 s6, s30, s6
	s_delay_alu instid0(SALU_CYCLE_1) | instskip(NEXT) | instid1(VALU_DEP_1)
	s_ashr_i32 s7, s6, 31
	v_ashrrev_i32_e32 v4, 4, v4
	v_add_nc_u32_e32 v2, v3, v2
	s_lshl_b64 s[6:7], s[6:7], 2
	s_delay_alu instid0(SALU_CYCLE_1) | instskip(NEXT) | instid1(VALU_DEP_2)
	s_add_u32 s26, s4, s6
	v_cndmask_b32_e32 v1, s3, v4, vcc_lo
	s_delay_alu instid0(VALU_DEP_2)
	v_ashrrev_i32_e32 v2, 4, v2
	v_cmp_gt_i32_e32 vcc_lo, s24, v3
	s_addc_u32 s25, s5, s7
	s_ashr_i32 s28, s27, 31
	s_add_u32 s13, s20, s27
	s_addc_u32 s15, s21, s28
	v_cndmask_b32_e32 v3, s3, v2, vcc_lo
	v_ashrrev_i32_e32 v2, 31, v1
	s_lshl_b32 s4, s14, 4
	s_delay_alu instid0(SALU_CYCLE_1) | instskip(NEXT) | instid1(VALU_DEP_2)
	s_ashr_i32 s5, s4, 31
	v_ashrrev_i32_e32 v4, 31, v3
	s_delay_alu instid0(VALU_DEP_2) | instskip(SKIP_1) | instid1(SALU_CYCLE_1)
	v_lshlrev_b64 v[1:2], 2, v[1:2]
	s_lshl_b64 s[4:5], s[4:5], 2
	s_add_u32 s4, s26, s4
	s_delay_alu instid0(VALU_DEP_2) | instskip(SKIP_1) | instid1(VALU_DEP_2)
	v_lshlrev_b64 v[3:4], 2, v[3:4]
	s_addc_u32 s5, s25, s5
	v_add_co_u32 v1, vcc_lo, s26, v1
	v_add_co_ci_u32_e32 v2, vcc_lo, s25, v2, vcc_lo
	s_delay_alu instid0(VALU_DEP_3) | instskip(NEXT) | instid1(VALU_DEP_4)
	v_add_co_u32 v3, vcc_lo, s26, v3
	v_add_co_ci_u32_e32 v4, vcc_lo, s25, v4, vcc_lo
	s_clause 0x1
	global_load_b32 v5, v[1:2], off
	global_load_b32 v7, v[3:4], off
	s_or_b32 s6, s12, 32
	v_lshlrev_b32_e32 v1, 4, v0
	s_ashr_i32 s7, s6, 4
	s_cmp_lt_i32 s6, s24
	v_cmp_gt_u32_e32 vcc_lo, 14, v65
	s_cselect_b32 s6, s7, s3
	v_and_b32_e32 v1, 0xf0, v1
	s_ashr_i32 s7, s6, 31
	s_delay_alu instid0(SALU_CYCLE_1) | instskip(NEXT) | instid1(SALU_CYCLE_1)
	s_lshl_b64 s[6:7], s[6:7], 2
	s_add_u32 s6, s26, s6
	s_addc_u32 s7, s25, s7
	s_or_b32 s8, s12, 64
	v_add_co_u32 v1, s13, s13, v1
	s_ashr_i32 s9, s8, 4
	s_cmp_lt_i32 s8, s24
	v_add_co_ci_u32_e64 v2, null, s15, 0, s13
	s_cselect_b32 s8, s9, s3
	s_delay_alu instid0(SALU_CYCLE_1) | instskip(NEXT) | instid1(SALU_CYCLE_1)
	s_ashr_i32 s9, s8, 31
	s_lshl_b64 s[8:9], s[8:9], 2
	s_delay_alu instid0(SALU_CYCLE_1) | instskip(SKIP_2) | instid1(SALU_CYCLE_1)
	s_add_u32 s8, s26, s8
	s_addc_u32 s9, s25, s9
	s_or_b32 s10, s12, 0x60
	s_ashr_i32 s11, s10, 4
	s_cmp_lt_i32 s10, s24
	s_cselect_b32 s10, s11, s3
	s_delay_alu instid0(SALU_CYCLE_1) | instskip(NEXT) | instid1(SALU_CYCLE_1)
	s_ashr_i32 s11, s10, 31
	s_lshl_b64 s[10:11], s[10:11], 2
	s_delay_alu instid0(SALU_CYCLE_1) | instskip(SKIP_2) | instid1(SALU_CYCLE_1)
	s_add_u32 s10, s26, s10
	s_addc_u32 s11, s25, s11
	s_or_b32 s16, s12, 0x80
	s_ashr_i32 s18, s16, 4
	s_cmp_lt_i32 s16, s24
	;; [unrolled: 10-line block ×3, first 2 shown]
	s_cselect_b32 s20, s18, s3
	s_delay_alu instid0(SALU_CYCLE_1) | instskip(NEXT) | instid1(SALU_CYCLE_1)
	s_ashr_i32 s21, s20, 31
	s_lshl_b64 s[20:21], s[20:21], 2
	s_delay_alu instid0(SALU_CYCLE_1)
	s_add_u32 s36, s26, s20
	s_addc_u32 s37, s25, s21
	s_clause 0x5
	s_load_b32 s21, s[4:5], 0x0
	s_load_b32 s13, s[6:7], 0x0
	;; [unrolled: 1-line block ×6, first 2 shown]
	s_or_b32 s8, s12, 0xc0
	s_mov_b32 s4, 0
	s_ashr_i32 s9, s8, 4
	s_cmp_lt_i32 s8, s24
	s_mov_b32 s11, s4
	s_cselect_b32 s34, s9, s3
	s_mov_b32 s5, s4
	s_ashr_i32 s35, s34, 31
	s_mov_b32 s6, s4
	s_lshl_b64 s[34:35], s[34:35], 2
	s_mov_b32 s7, s4
	s_add_u32 s34, s26, s34
	s_addc_u32 s35, s25, s35
	s_or_b32 s29, s12, 0xe0
	s_mov_b32 s8, s4
	s_ashr_i32 s33, s29, 4
	s_mov_b32 s9, s4
	s_mov_b32 s10, s4
	s_cmp_lt_i32 s29, s24
	v_dual_mov_b32 v107, s11 :: v_dual_mov_b32 v100, s4
	v_mov_b32_e32 v106, s10
	v_dual_mov_b32 v104, s8 :: v_dual_mov_b32 v103, s7
	v_dual_mov_b32 v102, s6 :: v_dual_mov_b32 v101, s5
	s_waitcnt vmcnt(1)
	v_mad_i64_i32 v[3:4], null, v5, s17, v[1:2]
	s_waitcnt vmcnt(0)
	v_mad_i64_i32 v[5:6], null, v7, s17, v[1:2]
	v_add_nc_u32_e32 v1, -14, v65
	v_lshlrev_b32_e32 v2, 4, v65
	s_clause 0x7
	global_load_b128 v[49:52], v[3:4], off
	global_load_b128 v[53:56], v[3:4], off offset:256
	global_load_b128 v[76:79], v[5:6], off
	global_load_b128 v[80:83], v[5:6], off offset:256
	global_load_b128 v[84:87], v[3:4], off offset:512
	;; [unrolled: 1-line block ×5, first 2 shown]
	v_cndmask_b32_e32 v1, v1, v65, vcc_lo
	v_mov_b32_e32 v105, s9
	s_cselect_b32 s4, s33, s3
	v_lshl_or_b32 v2, v66, 8, v2
	s_ashr_i32 s5, s4, 31
	v_lshlrev_b32_e32 v70, 6, v1
	s_lshl_b64 s[4:5], s[4:5], 2
	s_load_b32 s3, s[34:35], 0x0
	s_add_u32 s4, s26, s4
	s_addc_u32 s5, s25, s5
	ds_load_b128 v[108:111], v70
	ds_load_b128 v[112:115], v70 offset:1024
	s_load_b32 s4, s[4:5], 0x0
	s_add_u32 s6, s22, s27
	s_addc_u32 s7, s23, s28
	v_add_co_u32 v9, s6, s6, v2
	s_delay_alu instid0(VALU_DEP_1) | instskip(SKIP_1) | instid1(VALU_DEP_1)
	v_add_co_ci_u32_e64 v10, null, s7, 0, s6
	s_waitcnt lgkmcnt(0)
	v_mad_i64_i32 v[1:2], null, s21, s17, v[9:10]
	v_mad_i64_i32 v[3:4], null, s13, s17, v[9:10]
	;; [unrolled: 1-line block ×7, first 2 shown]
	s_clause 0x9
	global_load_b128 v[57:60], v[1:2], off
	global_load_b128 v[61:64], v[1:2], off offset:16
	global_load_b128 v[41:44], v[3:4], off
	global_load_b128 v[45:48], v[3:4], off offset:16
	;; [unrolled: 2-line block ×5, first 2 shown]
	v_mad_i64_i32 v[68:69], null, s4, s17, v[9:10]
	s_clause 0x3
	global_load_b128 v[9:12], v[13:14], off
	global_load_b128 v[13:16], v[13:14], off offset:16
	global_load_b128 v[17:20], v[21:22], off
	global_load_b128 v[21:24], v[21:22], off offset:16
	s_waitcnt vmcnt(20)
	v_wmma_f32_16x16x16_bf16 v[116:123], v[49:56], v[108:115], v[100:107]
	s_clause 0x1
	global_load_b128 v[49:52], v[68:69], off
	global_load_b128 v[53:56], v[68:69], off offset:16
	v_and_b32_e32 v68, 0xe0, v0
	v_mbcnt_lo_u32_b32 v69, -1, 0
	s_delay_alu instid0(VALU_DEP_2)
	v_add_nc_u32_e32 v68, s12, v68
	s_waitcnt vmcnt(20)
	v_wmma_f32_16x16x16_bf16 v[100:107], v[76:83], v[108:115], v[100:107]
	ds_load_b128 v[76:79], v70 offset:2048
	ds_load_b128 v[80:83], v70 offset:3072
	v_xor_b32_e32 v70, 16, v69
	s_waitcnt vmcnt(0) lgkmcnt(0)
	v_or_b32_e32 v68, v68, v74
	s_barrier
	buffer_gl0_inv
	v_cmp_gt_i32_e32 vcc_lo, 32, v70
	v_or_b32_e32 v71, 4, v68
	v_or_b32_e32 v72, 6, v68
	v_cmp_gt_i32_e64 s3, s24, v68
	v_or_b32_e32 v108, 8, v68
	v_or_b32_e32 v109, 10, v68
	v_cmp_gt_i32_e64 s4, s24, v71
	v_cmp_gt_i32_e64 s5, s24, v72
	s_delay_alu instid0(VALU_DEP_4) | instskip(NEXT) | instid1(VALU_DEP_4)
	v_cmp_gt_i32_e64 s6, s24, v108
	v_cmp_gt_i32_e64 s7, s24, v109
	v_wmma_f32_16x16x16_bf16 v[116:123], v[84:91], v[76:83], v[116:123]
	v_cndmask_b32_e32 v69, v69, v70, vcc_lo
	v_or_b32_e32 v70, 2, v68
	v_wmma_f32_16x16x16_bf16 v[100:107], v[92:99], v[76:83], v[100:107]
	v_or_b32_e32 v89, 22, v68
	v_dual_mul_f32 v82, s19, v119 :: v_dual_mul_f32 v79, s19, v122
	v_dual_mul_f32 v92, s19, v117 :: v_dual_mul_f32 v93, s19, v116
	s_delay_alu instid0(VALU_DEP_4) | instskip(SKIP_2) | instid1(VALU_DEP_4)
	v_mul_f32_e32 v98, s19, v103
	v_cmp_gt_i32_e32 vcc_lo, s24, v70
	v_dual_mul_f32 v83, s19, v118 :: v_dual_mul_f32 v96, s19, v105
	v_cndmask_b32_e64 v93, 0xff7fffff, v93, s3
	v_or_b32_e32 v84, 12, v68
	v_cndmask_b32_e32 v92, 0xff7fffff, v92, vcc_lo
	v_or_b32_e32 v85, 14, v68
	v_dual_mul_f32 v80, s19, v121 :: v_dual_mul_f32 v81, s19, v120
	v_mul_f32_e32 v94, s19, v107
	v_cndmask_b32_e64 v71, 0xff7fffff, v83, s4
	v_cndmask_b32_e64 v72, 0xff7fffff, v82, s5
	v_cmp_gt_i32_e64 s13, s24, v89
	v_lshlrev_b32_e32 v89, 2, v69
	v_max3_f32 v82, v93, 0xff7fffff, v92
	v_or_b32_e32 v86, 16, v68
	v_or_b32_e32 v87, 18, v68
	v_mul_f32_e32 v78, s19, v123
	v_cndmask_b32_e64 v81, 0xff7fffff, v81, s6
	v_cndmask_b32_e64 v80, 0xff7fffff, v80, s7
	v_max3_f32 v71, v82, v71, v72
	v_cmp_gt_i32_e64 s8, s24, v84
	v_cmp_gt_i32_e64 s9, s24, v85
	v_or_b32_e32 v88, 20, v68
	v_or_b32_e32 v90, 24, v68
	;; [unrolled: 1-line block ×5, first 2 shown]
	v_dual_mul_f32 v95, s19, v106 :: v_dual_mul_f32 v70, s19, v101
	v_dual_mul_f32 v99, s19, v102 :: v_dual_mul_f32 v68, s19, v100
	v_cndmask_b32_e64 v72, 0xff7fffff, v79, s8
	v_cndmask_b32_e64 v78, 0xff7fffff, v78, s9
	v_max3_f32 v71, v71, v81, v80
	v_cmp_gt_i32_e64 s10, s24, v86
	v_cmp_gt_i32_e64 s11, s24, v87
	;; [unrolled: 1-line block ×3, first 2 shown]
	v_mul_f32_e32 v97, s19, v104
	v_max3_f32 v71, v71, v72, v78
	v_cndmask_b32_e64 v68, 0xff7fffff, v68, s10
	v_cndmask_b32_e64 v70, 0xff7fffff, v70, s11
	;; [unrolled: 1-line block ×4, first 2 shown]
	v_cmp_gt_i32_e64 s15, s24, v90
	v_cmp_gt_i32_e64 s16, s24, v91
	v_max3_f32 v68, v71, v68, v70
	v_cmp_gt_i32_e64 s17, s24, v76
	v_cmp_gt_i32_e64 s18, s24, v77
	v_cndmask_b32_e64 v70, 0xff7fffff, v97, s15
	v_cndmask_b32_e64 v71, 0xff7fffff, v96, s16
	v_max3_f32 v68, v68, v72, v78
	v_cndmask_b32_e64 v72, 0xff7fffff, v95, s17
	v_cndmask_b32_e64 v76, 0xff7fffff, v94, s18
	s_delay_alu instid0(VALU_DEP_3) | instskip(NEXT) | instid1(VALU_DEP_1)
	v_max3_f32 v68, v68, v70, v71
	v_max3_f32 v68, v68, v72, v76
	ds_bpermute_b32 v69, v89, v68
	s_waitcnt lgkmcnt(0)
	v_max_f32_e32 v69, v69, v69
	s_delay_alu instid0(VALU_DEP_1) | instskip(NEXT) | instid1(VALU_DEP_1)
	v_max_f32_e32 v68, v68, v69
	v_fma_f32 v69, s19, v116, -v68
	v_fma_f32 v70, s19, v117, -v68
	;; [unrolled: 1-line block ×5, first 2 shown]
	s_delay_alu instid0(VALU_DEP_4) | instskip(NEXT) | instid1(VALU_DEP_4)
	v_dual_mul_f32 v69, 0x3fb8aa3b, v69 :: v_dual_mul_f32 v70, 0x3fb8aa3b, v70
	v_mul_f32_e32 v72, 0x3fb8aa3b, v72
	v_fma_f32 v78, s19, v122, -v68
	s_delay_alu instid0(VALU_DEP_4) | instskip(NEXT) | instid1(VALU_DEP_4)
	v_mul_f32_e32 v77, 0x3fb8aa3b, v76
	v_exp_f32_e32 v69, v69
	v_exp_f32_e32 v70, v70
	v_mul_f32_e32 v71, 0x3fb8aa3b, v71
	v_exp_f32_e32 v72, v72
	v_mul_f32_e32 v78, 0x3fb8aa3b, v78
	v_exp_f32_e32 v77, v77
	v_fma_f32 v81, s19, v105, -v68
	s_delay_alu instid0(VALU_DEP_2)
	v_exp_f32_e32 v78, v78
	v_cndmask_b32_e64 v80, 0, v69, s3
	v_cndmask_b32_e32 v76, 0, v70, vcc_lo
	v_exp_f32_e32 v71, v71
	v_fma_f32 v69, s19, v121, -v68
	v_cndmask_b32_e64 v85, 0, v72, s5
	v_add_f32_e32 v70, 0, v80
	s_delay_alu instid0(TRANS32_DEP_3)
	v_cndmask_b32_e64 v86, 0, v77, s6
	v_fma_f32 v77, s19, v101, -v68
	v_mul_f32_e32 v69, 0x3fb8aa3b, v69
	v_fma_f32 v72, s19, v100, -v68
	v_cndmask_b32_e64 v84, 0, v78, s8
	v_fma_f32 v78, s19, v103, -v68
	v_cndmask_b32_e64 v83, 0, v71, s4
	v_fma_f32 v71, s19, v123, -v68
	v_add_f32_e32 v70, v70, v76
	v_exp_f32_e32 v69, v69
	v_mul_f32_e32 v77, 0x3fb8aa3b, v77
	v_mul_f32_e32 v81, 0x3fb8aa3b, v81
	;; [unrolled: 1-line block ×3, first 2 shown]
	v_add_f32_e32 v70, v70, v83
	s_mov_b32 s3, exec_lo
	v_exp_f32_e32 v77, v77
	v_exp_f32_e32 v81, v81
	;; [unrolled: 1-line block ×3, first 2 shown]
	v_cndmask_b32_e64 v87, 0, v69, s7
	v_add_f32_e32 v70, v70, v85
	s_delay_alu instid0(VALU_DEP_1) | instskip(SKIP_1) | instid1(VALU_DEP_2)
	v_dual_mul_f32 v72, 0x3fb8aa3b, v72 :: v_dual_add_f32 v69, v70, v86
	v_fma_f32 v70, s19, v102, -v68
	v_exp_f32_e32 v72, v72
	s_waitcnt_depctr 0xfff
	v_cndmask_b32_e64 v88, 0, v71, s9
	v_fma_f32 v71, s19, v104, -v68
	v_dual_add_f32 v69, v69, v87 :: v_dual_mul_f32 v70, 0x3fb8aa3b, v70
	s_delay_alu instid0(VALU_DEP_2) | instskip(NEXT) | instid1(VALU_DEP_2)
	v_dual_mul_f32 v78, 0x3fb8aa3b, v78 :: v_dual_mul_f32 v71, 0x3fb8aa3b, v71
	v_add_f32_e32 v69, v69, v84
	s_delay_alu instid0(VALU_DEP_3) | instskip(SKIP_1) | instid1(VALU_DEP_3)
	v_exp_f32_e32 v79, v70
	v_cndmask_b32_e64 v70, 0, v72, s10
	v_exp_f32_e32 v78, v78
	v_exp_f32_e32 v82, v71
	v_add_f32_e32 v72, v69, v88
	v_cndmask_b32_e64 v69, 0, v77, s11
	v_fma_f32 v77, s19, v106, -v68
	s_delay_alu instid0(VALU_DEP_3) | instskip(NEXT) | instid1(TRANS32_DEP_3)
	v_add_f32_e32 v72, v72, v70
	v_cndmask_b32_e64 v71, 0, v79, s12
	s_delay_alu instid0(VALU_DEP_3) | instskip(NEXT) | instid1(VALU_DEP_3)
	v_mul_f32_e32 v77, 0x3fb8aa3b, v77
	v_add_f32_e32 v79, v72, v69
	s_delay_alu instid0(TRANS32_DEP_2) | instskip(NEXT) | instid1(VALU_DEP_3)
	v_cndmask_b32_e64 v72, 0, v78, s13
	v_exp_f32_e32 v90, v77
	v_cndmask_b32_e64 v77, 0, v82, s15
	s_delay_alu instid0(VALU_DEP_3) | instskip(SKIP_1) | instid1(VALU_DEP_1)
	v_add_f32_e32 v78, v79, v71
	v_fma_f32 v79, s19, v107, -v68
	v_dual_add_f32 v82, v78, v72 :: v_dual_mul_f32 v79, 0x3fb8aa3b, v79
	v_cndmask_b32_e64 v78, 0, v81, s16
	s_delay_alu instid0(VALU_DEP_2) | instskip(NEXT) | instid1(VALU_DEP_3)
	v_add_f32_e32 v81, v82, v77
	v_exp_f32_e32 v82, v79
	s_delay_alu instid0(TRANS32_DEP_2) | instskip(NEXT) | instid1(VALU_DEP_2)
	v_cndmask_b32_e64 v79, 0, v90, s17
	v_add_f32_e32 v81, v81, v78
	s_delay_alu instid0(VALU_DEP_1) | instskip(SKIP_2) | instid1(VALU_DEP_1)
	v_add_f32_e32 v90, v81, v79
	s_waitcnt_depctr 0xfff
	v_cndmask_b32_e64 v81, 0, v82, s18
	v_add_f32_e32 v82, v90, v81
	ds_bpermute_b32 v89, v89, v82
	v_cmpx_gt_u32_e32 16, v67
	s_cbranch_execz .LBB1675_12
; %bb.11:
	v_mul_u32_u24_e32 v67, 0x44, v66
	s_delay_alu instid0(VALU_DEP_1) | instskip(SKIP_1) | instid1(VALU_DEP_1)
	v_lshl_add_u32 v67, v65, 2, v67
	s_waitcnt lgkmcnt(0)
	v_dual_add_f32 v82, v82, v89 :: v_dual_add_nc_u32 v67, 0x4000, v67
	ds_store_2addr_b32 v67, v68, v82 offset1:136
.LBB1675_12:
	s_or_b32 exec_lo, exec_lo, s3
	v_lshlrev_b32_e32 v67, 2, v65
	s_waitcnt lgkmcnt(0)
	s_barrier
	buffer_gl0_inv
	v_cmp_eq_u32_e32 vcc_lo, 1, v66
	v_add_nc_u32_e32 v82, 0x4000, v67
	v_cmp_eq_u32_e64 s3, 2, v66
	v_cmp_eq_u32_e64 s5, 7, v66
	ds_load_2addr_b32 v[89:90], v82 offset1:17
	ds_load_2addr_b32 v[91:92], v82 offset0:34 offset1:51
	ds_load_2addr_b32 v[93:94], v82 offset0:68 offset1:85
	;; [unrolled: 1-line block ×4, first 2 shown]
	s_waitcnt lgkmcnt(4)
	v_max3_f32 v67, v89, 0xff7fffff, v90
	s_waitcnt lgkmcnt(3)
	s_delay_alu instid0(VALU_DEP_1) | instskip(SKIP_1) | instid1(VALU_DEP_1)
	v_max3_f32 v67, v67, v91, v92
	s_waitcnt lgkmcnt(2)
	v_max3_f32 v67, v67, v93, v94
	s_waitcnt lgkmcnt(1)
	s_delay_alu instid0(VALU_DEP_1) | instskip(NEXT) | instid1(VALU_DEP_1)
	v_max3_f32 v67, v67, v95, v96
	v_sub_f32_e32 v93, v93, v67
	s_delay_alu instid0(VALU_DEP_1) | instskip(NEXT) | instid1(VALU_DEP_1)
	v_dual_sub_f32 v68, v89, v67 :: v_dual_mul_f32 v103, 0x3fb8aa3b, v93
	v_mul_f32_e32 v68, 0x3fb8aa3b, v68
	s_delay_alu instid0(VALU_DEP_1)
	v_exp_f32_e32 v100, v68
	v_sub_f32_e32 v68, v92, v67
	v_sub_f32_e32 v99, v90, v67
	ds_load_2addr_b32 v[89:90], v82 offset0:170 offset1:187
	v_dual_mul_f32 v102, 0x3fb8aa3b, v68 :: v_dual_mul_f32 v99, 0x3fb8aa3b, v99
	s_waitcnt lgkmcnt(1)
	v_fma_f32 v68, v100, v97, 0
	s_delay_alu instid0(VALU_DEP_2) | instskip(NEXT) | instid1(VALU_DEP_2)
	v_exp_f32_e32 v102, v102
	v_exp_f32_e32 v99, v99
	s_waitcnt_depctr 0xfff
	v_fmac_f32_e32 v68, v99, v98
	v_sub_f32_e32 v91, v91, v67
	s_delay_alu instid0(VALU_DEP_1)
	v_mul_f32_e32 v101, 0x3fb8aa3b, v91
	ds_load_2addr_b32 v[91:92], v82 offset0:204 offset1:221
	v_sub_f32_e32 v97, v94, v67
	ds_load_2addr_b32 v[93:94], v82 offset0:238 offset1:255
	s_waitcnt lgkmcnt(0)
	v_exp_f32_e32 v101, v101
	s_barrier
	buffer_gl0_inv
	v_dual_fmac_f32 v68, v101, v89 :: v_dual_sub_f32 v89, v96, v67
	v_dual_sub_f32 v82, v95, v67 :: v_dual_mul_f32 v95, 0x3fb8aa3b, v97
	v_exp_f32_e32 v97, v103
	s_delay_alu instid0(VALU_DEP_2) | instskip(NEXT) | instid1(VALU_DEP_2)
	v_dual_fmac_f32 v68, v102, v90 :: v_dual_mul_f32 v89, 0x3fb8aa3b, v89
	v_mul_f32_e32 v82, 0x3fb8aa3b, v82
	s_delay_alu instid0(VALU_DEP_3) | instskip(NEXT) | instid1(VALU_DEP_2)
	v_exp_f32_e32 v95, v95
	v_exp_f32_e32 v89, v89
	s_delay_alu instid0(VALU_DEP_1)
	v_exp_f32_e32 v82, v82
	v_fmac_f32_e32 v68, v97, v91
	s_delay_alu instid0(TRANS32_DEP_3) | instid1(VALU_DEP_1)
	v_fmac_f32_e32 v68, v95, v92
	s_waitcnt_depctr 0xfff
	v_fmac_f32_e32 v68, v82, v93
	s_delay_alu instid0(VALU_DEP_1) | instskip(NEXT) | instid1(VALU_DEP_1)
	v_fmac_f32_e32 v68, v89, v94
	v_add_f32_e32 v90, 0x358637bd, v68
	s_delay_alu instid0(VALU_DEP_1) | instskip(NEXT) | instid1(VALU_DEP_1)
	v_div_scale_f32 v91, null, v90, v90, 1.0
	v_rcp_f32_e32 v92, v91
	s_waitcnt_depctr 0xfff
	v_fma_f32 v93, -v91, v92, 1.0
	s_delay_alu instid0(VALU_DEP_1) | instskip(SKIP_1) | instid1(VALU_DEP_2)
	v_dual_fmac_f32 v92, v93, v92 :: v_dual_cndmask_b32 v93, v100, v99
	v_cmp_eq_u32_e32 vcc_lo, 3, v66
	v_cndmask_b32_e64 v93, v93, v101, s3
	v_cmp_eq_u32_e64 s3, 4, v66
	s_delay_alu instid0(VALU_DEP_2) | instskip(SKIP_1) | instid1(VALU_DEP_2)
	v_cndmask_b32_e32 v93, v93, v102, vcc_lo
	v_cmp_eq_u32_e32 vcc_lo, 5, v66
	v_cndmask_b32_e64 v93, v93, v97, s3
	v_cmp_eq_u32_e64 s3, 6, v66
	s_delay_alu instid0(VALU_DEP_2) | instskip(SKIP_1) | instid1(VALU_DEP_1)
	v_cndmask_b32_e32 v93, v93, v95, vcc_lo
	v_div_scale_f32 v94, s4, 1.0, v90, 1.0
	s_mov_b32 vcc_lo, s4
	s_delay_alu instid0(VALU_DEP_2) | instskip(NEXT) | instid1(VALU_DEP_2)
	v_cndmask_b32_e64 v82, v93, v82, s3
	v_mul_f32_e32 v96, v94, v92
	s_mov_b32 s3, exec_lo
	s_delay_alu instid0(VALU_DEP_2) | instskip(NEXT) | instid1(VALU_DEP_2)
	v_cndmask_b32_e64 v82, v82, v89, s5
	v_fma_f32 v98, -v91, v96, v94
	s_delay_alu instid0(VALU_DEP_1) | instskip(NEXT) | instid1(VALU_DEP_1)
	v_fmac_f32_e32 v96, v98, v92
	v_fma_f32 v91, -v91, v96, v94
	s_delay_alu instid0(VALU_DEP_1) | instskip(NEXT) | instid1(VALU_DEP_1)
	v_div_fmas_f32 v91, v91, v92, v96
	v_div_fixup_f32 v90, v91, v90, 1.0
	s_delay_alu instid0(VALU_DEP_1) | instskip(NEXT) | instid1(VALU_DEP_1)
	v_mul_f32_e32 v82, v82, v90
	v_mul_f32_e32 v87, v82, v87
	;; [unrolled: 1-line block ×7, first 2 shown]
	v_dual_mul_f32 v86, v82, v83 :: v_dual_and_b32 v91, 0x7f800000, v90
	v_mul_f32_e32 v85, v82, v76
                                        ; implicit-def: $vgpr76
	s_delay_alu instid0(VALU_DEP_2)
	v_cmpx_ne_u32_e32 0x7f800000, v91
	s_xor_b32 s3, exec_lo, s3
; %bb.13:
	v_bfe_u32 v76, v90, 16, 1
	s_delay_alu instid0(VALU_DEP_1)
	v_add3_u32 v76, v90, v76, 0x7fff
                                        ; implicit-def: $vgpr90
; %bb.14:
	s_and_not1_saveexec_b32 s3, s3
; %bb.15:
	v_and_b32_e32 v76, 0xffff, v90
	v_or_b32_e32 v83, 0x10000, v90
	s_delay_alu instid0(VALU_DEP_2) | instskip(NEXT) | instid1(VALU_DEP_2)
	v_cmp_eq_u32_e32 vcc_lo, 0, v76
	v_cndmask_b32_e32 v76, v83, v90, vcc_lo
; %bb.16:
	s_or_b32 exec_lo, exec_lo, s3
	v_and_b32_e32 v83, 0x7f800000, v85
	s_delay_alu instid0(VALU_DEP_1) | instskip(SKIP_1) | instid1(SALU_CYCLE_1)
	v_cmp_ne_u32_e32 vcc_lo, 0x7f800000, v83
                                        ; implicit-def: $vgpr83
	s_and_saveexec_b32 s3, vcc_lo
	s_xor_b32 s3, exec_lo, s3
; %bb.17:
	v_bfe_u32 v83, v85, 16, 1
	s_delay_alu instid0(VALU_DEP_1)
	v_add3_u32 v83, v85, v83, 0x7fff
                                        ; implicit-def: $vgpr85
; %bb.18:
	s_and_not1_saveexec_b32 s3, s3
; %bb.19:
	v_and_b32_e32 v83, 0xffff, v85
	v_or_b32_e32 v90, 0x10000, v85
	s_delay_alu instid0(VALU_DEP_2) | instskip(NEXT) | instid1(VALU_DEP_2)
	v_cmp_eq_u32_e32 vcc_lo, 0, v83
	v_cndmask_b32_e32 v83, v90, v85, vcc_lo
; %bb.20:
	s_or_b32 exec_lo, exec_lo, s3
	v_and_b32_e32 v85, 0x7f800000, v86
	s_delay_alu instid0(VALU_DEP_1) | instskip(SKIP_1) | instid1(SALU_CYCLE_1)
	v_cmp_ne_u32_e32 vcc_lo, 0x7f800000, v85
                                        ; implicit-def: $vgpr85
	s_and_saveexec_b32 s3, vcc_lo
	s_xor_b32 s3, exec_lo, s3
; %bb.21:
	v_bfe_u32 v85, v86, 16, 1
	s_delay_alu instid0(VALU_DEP_1)
	v_add3_u32 v85, v86, v85, 0x7fff
                                        ; implicit-def: $vgpr86
; %bb.22:
	s_and_not1_saveexec_b32 s3, s3
; %bb.23:
	v_and_b32_e32 v85, 0xffff, v86
	v_or_b32_e32 v90, 0x10000, v86
	s_delay_alu instid0(VALU_DEP_2) | instskip(NEXT) | instid1(VALU_DEP_2)
	v_cmp_eq_u32_e32 vcc_lo, 0, v85
	v_cndmask_b32_e32 v85, v90, v86, vcc_lo
; %bb.24:
	s_or_b32 exec_lo, exec_lo, s3
	v_and_b32_e32 v86, 0x7f800000, v89
	s_delay_alu instid0(VALU_DEP_1) | instskip(SKIP_1) | instid1(SALU_CYCLE_1)
	v_cmp_ne_u32_e32 vcc_lo, 0x7f800000, v86
                                        ; implicit-def: $vgpr86
	s_and_saveexec_b32 s3, vcc_lo
	s_xor_b32 s3, exec_lo, s3
; %bb.25:
	v_bfe_u32 v86, v89, 16, 1
	s_delay_alu instid0(VALU_DEP_1)
	v_add3_u32 v86, v89, v86, 0x7fff
                                        ; implicit-def: $vgpr89
; %bb.26:
	s_and_not1_saveexec_b32 s3, s3
; %bb.27:
	v_and_b32_e32 v86, 0xffff, v89
	v_or_b32_e32 v90, 0x10000, v89
	s_delay_alu instid0(VALU_DEP_2) | instskip(NEXT) | instid1(VALU_DEP_2)
	v_cmp_eq_u32_e32 vcc_lo, 0, v86
	v_cndmask_b32_e32 v86, v90, v89, vcc_lo
; %bb.28:
	s_or_b32 exec_lo, exec_lo, s3
	v_and_b32_e32 v89, 0x7f800000, v88
	s_delay_alu instid0(VALU_DEP_1) | instskip(SKIP_1) | instid1(SALU_CYCLE_1)
	v_cmp_ne_u32_e32 vcc_lo, 0x7f800000, v89
                                        ; implicit-def: $vgpr89
	s_and_saveexec_b32 s3, vcc_lo
	s_xor_b32 s3, exec_lo, s3
; %bb.29:
	v_bfe_u32 v89, v88, 16, 1
	s_delay_alu instid0(VALU_DEP_1)
	v_add3_u32 v89, v88, v89, 0x7fff
                                        ; implicit-def: $vgpr88
; %bb.30:
	s_and_not1_saveexec_b32 s3, s3
; %bb.31:
	v_and_b32_e32 v89, 0xffff, v88
	v_or_b32_e32 v90, 0x10000, v88
	s_delay_alu instid0(VALU_DEP_2) | instskip(NEXT) | instid1(VALU_DEP_2)
	v_cmp_eq_u32_e32 vcc_lo, 0, v89
	v_cndmask_b32_e32 v89, v90, v88, vcc_lo
; %bb.32:
	s_or_b32 exec_lo, exec_lo, s3
	v_and_b32_e32 v88, 0x7f800000, v87
	s_delay_alu instid0(VALU_DEP_1) | instskip(SKIP_1) | instid1(SALU_CYCLE_1)
	v_cmp_ne_u32_e32 vcc_lo, 0x7f800000, v88
                                        ; implicit-def: $vgpr88
	s_and_saveexec_b32 s3, vcc_lo
	s_xor_b32 s3, exec_lo, s3
; %bb.33:
	v_bfe_u32 v88, v87, 16, 1
	s_delay_alu instid0(VALU_DEP_1)
	v_add3_u32 v88, v87, v88, 0x7fff
                                        ; implicit-def: $vgpr87
; %bb.34:
	s_and_not1_saveexec_b32 s3, s3
; %bb.35:
	v_and_b32_e32 v88, 0xffff, v87
	v_or_b32_e32 v90, 0x10000, v87
	s_delay_alu instid0(VALU_DEP_2) | instskip(NEXT) | instid1(VALU_DEP_2)
	v_cmp_eq_u32_e32 vcc_lo, 0, v88
	v_cndmask_b32_e32 v88, v90, v87, vcc_lo
; %bb.36:
	s_or_b32 exec_lo, exec_lo, s3
	v_and_b32_e32 v87, 0x7f800000, v84
	s_delay_alu instid0(VALU_DEP_1) | instskip(SKIP_1) | instid1(SALU_CYCLE_1)
	v_cmp_ne_u32_e32 vcc_lo, 0x7f800000, v87
                                        ; implicit-def: $vgpr87
	s_and_saveexec_b32 s3, vcc_lo
	s_xor_b32 s3, exec_lo, s3
; %bb.37:
	v_bfe_u32 v87, v84, 16, 1
	s_delay_alu instid0(VALU_DEP_1)
	v_add3_u32 v87, v84, v87, 0x7fff
                                        ; implicit-def: $vgpr84
; %bb.38:
	s_and_not1_saveexec_b32 s3, s3
; %bb.39:
	v_and_b32_e32 v87, 0xffff, v84
	v_or_b32_e32 v90, 0x10000, v84
	s_delay_alu instid0(VALU_DEP_2) | instskip(NEXT) | instid1(VALU_DEP_2)
	v_cmp_eq_u32_e32 vcc_lo, 0, v87
	v_cndmask_b32_e32 v87, v90, v84, vcc_lo
; %bb.40:
	s_or_b32 exec_lo, exec_lo, s3
	v_and_b32_e32 v84, 0x7f800000, v80
	s_delay_alu instid0(VALU_DEP_1) | instskip(SKIP_1) | instid1(SALU_CYCLE_1)
	v_cmp_ne_u32_e32 vcc_lo, 0x7f800000, v84
                                        ; implicit-def: $vgpr84
	s_and_saveexec_b32 s3, vcc_lo
	s_xor_b32 s3, exec_lo, s3
; %bb.41:
	v_bfe_u32 v84, v80, 16, 1
	s_delay_alu instid0(VALU_DEP_1)
	v_add3_u32 v84, v80, v84, 0x7fff
                                        ; implicit-def: $vgpr80
; %bb.42:
	s_and_not1_saveexec_b32 s3, s3
; %bb.43:
	v_and_b32_e32 v84, 0xffff, v80
	v_or_b32_e32 v90, 0x10000, v80
	s_delay_alu instid0(VALU_DEP_2) | instskip(NEXT) | instid1(VALU_DEP_2)
	v_cmp_eq_u32_e32 vcc_lo, 0, v84
	v_cndmask_b32_e32 v84, v90, v80, vcc_lo
; %bb.44:
	s_or_b32 exec_lo, exec_lo, s3
	s_load_b64 s[34:35], s[0:1], 0x94
	v_lshlrev_b32_e32 v91, 4, v74
	s_delay_alu instid0(VALU_DEP_2)
	v_perm_b32 v90, v84, v87, 0x7060302
	v_dual_mul_f32 v79, v82, v79 :: v_dual_lshlrev_b32 v80, 6, v65
	v_dual_mul_f32 v77, v82, v77 :: v_dual_lshlrev_b32 v92, 11, v66
	v_mul_f32_e32 v84, v82, v70
	v_perm_b32 v89, v88, v89, 0x7060302
	v_perm_b32 v88, v86, v85, 0x7060302
	;; [unrolled: 1-line block ×3, first 2 shown]
	v_mul_f32_e32 v70, v82, v81
	v_or3_b32 v76, v91, v92, v80
	v_dual_mul_f32 v78, v82, v78 :: v_dual_and_b32 v85, 0x7f800000, v84
	v_mul_f32_e32 v83, v82, v72
	v_mul_f32_e32 v81, v82, v71
	;; [unrolled: 1-line block ×3, first 2 shown]
	s_mov_b32 s3, exec_lo
	ds_store_b128 v76, v[87:90]
                                        ; implicit-def: $vgpr69
	v_cmpx_ne_u32_e32 0x7f800000, v85
	s_xor_b32 s3, exec_lo, s3
; %bb.45:
	v_bfe_u32 v69, v84, 16, 1
	s_delay_alu instid0(VALU_DEP_1)
	v_add3_u32 v69, v84, v69, 0x7fff
                                        ; implicit-def: $vgpr84
; %bb.46:
	s_and_not1_saveexec_b32 s3, s3
; %bb.47:
	v_and_b32_e32 v69, 0xffff, v84
	v_or_b32_e32 v71, 0x10000, v84
	s_delay_alu instid0(VALU_DEP_2) | instskip(NEXT) | instid1(VALU_DEP_2)
	v_cmp_eq_u32_e32 vcc_lo, 0, v69
	v_cndmask_b32_e32 v69, v71, v84, vcc_lo
; %bb.48:
	s_or_b32 exec_lo, exec_lo, s3
	v_and_b32_e32 v71, 0x7f800000, v72
	s_delay_alu instid0(VALU_DEP_1) | instskip(SKIP_1) | instid1(SALU_CYCLE_1)
	v_cmp_ne_u32_e32 vcc_lo, 0x7f800000, v71
                                        ; implicit-def: $vgpr71
	s_and_saveexec_b32 s3, vcc_lo
	s_xor_b32 s3, exec_lo, s3
; %bb.49:
	v_bfe_u32 v71, v72, 16, 1
	s_delay_alu instid0(VALU_DEP_1)
	v_add3_u32 v71, v72, v71, 0x7fff
                                        ; implicit-def: $vgpr72
; %bb.50:
	s_and_not1_saveexec_b32 s3, s3
; %bb.51:
	v_and_b32_e32 v71, 0xffff, v72
	v_or_b32_e32 v82, 0x10000, v72
	s_delay_alu instid0(VALU_DEP_2) | instskip(NEXT) | instid1(VALU_DEP_2)
	v_cmp_eq_u32_e32 vcc_lo, 0, v71
	v_cndmask_b32_e32 v71, v82, v72, vcc_lo
; %bb.52:
	s_or_b32 exec_lo, exec_lo, s3
	v_and_b32_e32 v72, 0x7f800000, v81
	s_delay_alu instid0(VALU_DEP_1) | instskip(SKIP_1) | instid1(SALU_CYCLE_1)
	v_cmp_ne_u32_e32 vcc_lo, 0x7f800000, v72
                                        ; implicit-def: $vgpr72
	s_and_saveexec_b32 s3, vcc_lo
	s_xor_b32 s3, exec_lo, s3
; %bb.53:
	v_bfe_u32 v72, v81, 16, 1
	s_delay_alu instid0(VALU_DEP_1)
	v_add3_u32 v72, v81, v72, 0x7fff
                                        ; implicit-def: $vgpr81
; %bb.54:
	s_and_not1_saveexec_b32 s3, s3
; %bb.55:
	v_and_b32_e32 v72, 0xffff, v81
	v_or_b32_e32 v82, 0x10000, v81
	s_delay_alu instid0(VALU_DEP_2) | instskip(NEXT) | instid1(VALU_DEP_2)
	v_cmp_eq_u32_e32 vcc_lo, 0, v72
	v_cndmask_b32_e32 v72, v82, v81, vcc_lo
; %bb.56:
	s_or_b32 exec_lo, exec_lo, s3
	v_and_b32_e32 v81, 0x7f800000, v83
	s_delay_alu instid0(VALU_DEP_1) | instskip(SKIP_1) | instid1(SALU_CYCLE_1)
	v_cmp_ne_u32_e32 vcc_lo, 0x7f800000, v81
                                        ; implicit-def: $vgpr81
	s_and_saveexec_b32 s3, vcc_lo
	s_xor_b32 s3, exec_lo, s3
; %bb.57:
	v_bfe_u32 v81, v83, 16, 1
	s_delay_alu instid0(VALU_DEP_1)
	v_add3_u32 v81, v83, v81, 0x7fff
                                        ; implicit-def: $vgpr83
; %bb.58:
	s_and_not1_saveexec_b32 s3, s3
; %bb.59:
	v_and_b32_e32 v81, 0xffff, v83
	v_or_b32_e32 v82, 0x10000, v83
	s_delay_alu instid0(VALU_DEP_2) | instskip(NEXT) | instid1(VALU_DEP_2)
	v_cmp_eq_u32_e32 vcc_lo, 0, v81
	v_cndmask_b32_e32 v81, v82, v83, vcc_lo
; %bb.60:
	s_or_b32 exec_lo, exec_lo, s3
	v_and_b32_e32 v82, 0x7f800000, v77
	s_delay_alu instid0(VALU_DEP_1) | instskip(SKIP_1) | instid1(SALU_CYCLE_1)
	v_cmp_ne_u32_e32 vcc_lo, 0x7f800000, v82
                                        ; implicit-def: $vgpr82
	s_and_saveexec_b32 s3, vcc_lo
	s_xor_b32 s3, exec_lo, s3
; %bb.61:
	v_bfe_u32 v82, v77, 16, 1
	s_delay_alu instid0(VALU_DEP_1)
	v_add3_u32 v82, v77, v82, 0x7fff
                                        ; implicit-def: $vgpr77
; %bb.62:
	s_and_not1_saveexec_b32 s3, s3
; %bb.63:
	v_and_b32_e32 v82, 0xffff, v77
	v_or_b32_e32 v83, 0x10000, v77
	s_delay_alu instid0(VALU_DEP_2) | instskip(NEXT) | instid1(VALU_DEP_2)
	v_cmp_eq_u32_e32 vcc_lo, 0, v82
	v_cndmask_b32_e32 v82, v83, v77, vcc_lo
; %bb.64:
	s_or_b32 exec_lo, exec_lo, s3
	v_and_b32_e32 v77, 0x7f800000, v78
	s_delay_alu instid0(VALU_DEP_1) | instskip(SKIP_1) | instid1(SALU_CYCLE_1)
	v_cmp_ne_u32_e32 vcc_lo, 0x7f800000, v77
                                        ; implicit-def: $vgpr77
	s_and_saveexec_b32 s3, vcc_lo
	s_xor_b32 s3, exec_lo, s3
; %bb.65:
	v_bfe_u32 v77, v78, 16, 1
	s_delay_alu instid0(VALU_DEP_1)
	v_add3_u32 v77, v78, v77, 0x7fff
                                        ; implicit-def: $vgpr78
; %bb.66:
	s_and_not1_saveexec_b32 s3, s3
; %bb.67:
	v_and_b32_e32 v77, 0xffff, v78
	v_or_b32_e32 v83, 0x10000, v78
	s_delay_alu instid0(VALU_DEP_2) | instskip(NEXT) | instid1(VALU_DEP_2)
	v_cmp_eq_u32_e32 vcc_lo, 0, v77
	v_cndmask_b32_e32 v77, v83, v78, vcc_lo
; %bb.68:
	s_or_b32 exec_lo, exec_lo, s3
	v_and_b32_e32 v78, 0x7f800000, v79
	s_delay_alu instid0(VALU_DEP_1) | instskip(SKIP_1) | instid1(SALU_CYCLE_1)
	v_cmp_ne_u32_e32 vcc_lo, 0x7f800000, v78
                                        ; implicit-def: $vgpr78
	s_and_saveexec_b32 s3, vcc_lo
	s_xor_b32 s3, exec_lo, s3
; %bb.69:
	v_bfe_u32 v78, v79, 16, 1
	s_delay_alu instid0(VALU_DEP_1)
	v_add3_u32 v78, v79, v78, 0x7fff
                                        ; implicit-def: $vgpr79
; %bb.70:
	s_and_not1_saveexec_b32 s3, s3
; %bb.71:
	v_and_b32_e32 v78, 0xffff, v79
	v_or_b32_e32 v83, 0x10000, v79
	s_delay_alu instid0(VALU_DEP_2) | instskip(NEXT) | instid1(VALU_DEP_2)
	v_cmp_eq_u32_e32 vcc_lo, 0, v78
	v_cndmask_b32_e32 v78, v83, v79, vcc_lo
; %bb.72:
	s_or_b32 exec_lo, exec_lo, s3
	v_and_b32_e32 v79, 0x7f800000, v70
	s_delay_alu instid0(VALU_DEP_1) | instskip(SKIP_1) | instid1(SALU_CYCLE_1)
	v_cmp_ne_u32_e32 vcc_lo, 0x7f800000, v79
                                        ; implicit-def: $vgpr79
	s_and_saveexec_b32 s3, vcc_lo
	s_xor_b32 s3, exec_lo, s3
; %bb.73:
	v_bfe_u32 v79, v70, 16, 1
	s_delay_alu instid0(VALU_DEP_1)
	v_add3_u32 v79, v70, v79, 0x7fff
                                        ; implicit-def: $vgpr70
; %bb.74:
	s_and_not1_saveexec_b32 s3, s3
; %bb.75:
	v_and_b32_e32 v79, 0xffff, v70
	v_or_b32_e32 v83, 0x10000, v70
	s_delay_alu instid0(VALU_DEP_2) | instskip(NEXT) | instid1(VALU_DEP_2)
	v_cmp_eq_u32_e32 vcc_lo, 0, v79
	v_cndmask_b32_e32 v79, v83, v70, vcc_lo
; %bb.76:
	s_or_b32 exec_lo, exec_lo, s3
	s_delay_alu instid0(VALU_DEP_1)
	v_perm_b32 v86, v79, v78, 0x7060302
	v_perm_b32 v85, v77, v82, 0x7060302
	;; [unrolled: 1-line block ×4, first 2 shown]
	v_lshl_or_b32 v82, v66, 11, v80
	ds_store_b128 v76, v[83:86] offset:1024
	s_waitcnt lgkmcnt(0)
	s_barrier
	buffer_gl0_inv
	ds_load_b128 v[69:72], v82
	ds_load_b128 v[83:86], v82 offset:16
	s_waitcnt lgkmcnt(1)
	v_lshrrev_b32_e32 v66, 16, v69
	s_waitcnt lgkmcnt(0)
	v_lshrrev_b32_e32 v91, 16, v83
	v_lshlrev_b32_e32 v78, 2, v74
	v_lshrrev_b32_e32 v95, 16, v70
	v_lshrrev_b32_e32 v98, 16, v84
	;; [unrolled: 1-line block ×4, first 2 shown]
	v_cmp_eq_u32_e32 vcc_lo, 1, v78
	v_lshrrev_b32_e32 v97, 16, v72
	v_lshrrev_b32_e32 v100, 16, v86
	v_cndmask_b32_e32 v87, v83, v91, vcc_lo
	v_or_b32_e32 v79, 1, v78
	v_cndmask_b32_e32 v81, v69, v66, vcc_lo
	v_cmp_eq_u32_e64 s4, 2, v78
	v_cmp_eq_u32_e64 s7, 3, v78
	;; [unrolled: 1-line block ×5, first 2 shown]
	v_cndmask_b32_e64 v81, v81, v70, s4
	v_cndmask_b32_e64 v87, v87, v84, s4
	v_cmp_eq_u32_e64 s8, 3, v79
	v_cndmask_b32_e64 v88, v69, v66, s3
	v_or_b32_e32 v77, 2, v78
	v_cndmask_b32_e64 v81, v81, v95, s7
	v_cndmask_b32_e64 v87, v87, v98, s7
	;; [unrolled: 1-line block ×4, first 2 shown]
	v_cmp_eq_u32_e64 s10, 5, v78
	v_cndmask_b32_e64 v81, v81, v71, s9
	v_cndmask_b32_e64 v87, v87, v85, s9
	v_cmp_eq_u32_e64 s11, 4, v79
	v_cndmask_b32_e64 v88, v88, v95, s8
	v_cmp_eq_u32_e64 s5, 1, v77
	v_cndmask_b32_e64 v89, v89, v84, s6
	v_cndmask_b32_e64 v81, v81, v96, s10
	v_cmp_eq_u32_e64 s12, 6, v78
	v_cndmask_b32_e64 v88, v88, v71, s11
	;; [unrolled: 3-line block ×3, first 2 shown]
	v_cndmask_b32_e64 v89, v89, v98, s8
	v_cndmask_b32_e64 v81, v81, v72, s12
	v_cmp_eq_u32_e64 s15, 7, v78
	v_cndmask_b32_e64 v88, v88, v96, s13
	v_cndmask_b32_e64 v87, v87, v86, s12
	v_cmp_eq_u32_e64 s16, 6, v79
	v_cmp_eq_u32_e64 s17, 2, v77
	v_cndmask_b32_e64 v89, v89, v85, s11
	v_cndmask_b32_e64 v101, v81, v97, s15
	v_cndmask_b32_e64 v102, v87, v100, s15
	v_cndmask_b32_e64 v88, v88, v72, s16
	v_cndmask_b32_e64 v81, v90, v70, s17
	v_cndmask_b32_e64 v87, v83, v91, s5
	v_cmp_eq_u32_e64 s18, 7, v79
	v_cmp_eq_u32_e64 s19, 3, v77
	;; [unrolled: 1-line block ×4, first 2 shown]
	v_cndmask_b32_e64 v87, v87, v84, s17
	v_cndmask_b32_e64 v103, v88, v97, s18
	;; [unrolled: 1-line block ×4, first 2 shown]
	v_or_b32_e32 v81, 3, v78
	v_cndmask_b32_e64 v93, v87, v98, s19
	v_cmp_eq_u32_e64 s24, 6, v77
	v_cndmask_b32_e64 v104, v88, v86, s16
	v_cndmask_b32_e64 v92, v89, v71, s20
	v_cmp_eq_u32_e64 s21, 1, v81
	ds_load_b128 v[87:90], v82 offset:1024
	v_cmp_eq_u32_e64 s23, 2, v81
	v_cmp_eq_u32_e64 s25, 3, v81
	v_cndmask_b32_e64 v105, v92, v96, s22
	v_cndmask_b32_e64 v66, v69, v66, s21
	;; [unrolled: 1-line block ×4, first 2 shown]
	ds_load_b128 v[91:94], v82 offset:1040
	v_cmp_eq_u32_e64 s26, 4, v81
	v_cndmask_b32_e64 v66, v66, v70, s23
	v_cmp_eq_u32_e64 s27, 7, v77
	v_cndmask_b32_e64 v70, v83, v84, s23
	v_cndmask_b32_e64 v84, v105, v72, s24
	v_cmp_eq_u32_e64 s28, 5, v81
	v_cndmask_b32_e64 v66, v66, v95, s25
	v_cmp_eq_u32_e64 s29, 6, v81
	v_cndmask_b32_e64 v70, v70, v98, s25
	v_cndmask_b32_e64 v69, v69, v99, s22
	;; [unrolled: 1-line block ×4, first 2 shown]
	s_waitcnt lgkmcnt(1)
	v_lshrrev_b32_e32 v95, 16, v87
	v_cndmask_b32_e64 v70, v70, v85, s26
	v_cndmask_b32_e64 v71, v84, v97, s27
	v_cndmask_b32_e64 v69, v69, v86, s24
	v_cndmask_b32_e64 v66, v66, v96, s28
	v_cndmask_b32_e32 v84, v87, v95, vcc_lo
	v_cndmask_b32_e64 v70, v70, v99, s28
	s_waitcnt lgkmcnt(0)
	v_lshrrev_b32_e32 v85, 16, v91
	v_lshrrev_b32_e32 v96, 16, v88
	v_cndmask_b32_e64 v98, v87, v95, s3
	v_cndmask_b32_e64 v84, v84, v88, s4
	;; [unrolled: 1-line block ×3, first 2 shown]
	v_cndmask_b32_e32 v99, v91, v85, vcc_lo
	v_cmp_eq_u32_e32 vcc_lo, 7, v81
	v_cndmask_b32_e64 v66, v66, v72, s29
	v_cndmask_b32_e64 v72, v84, v96, s7
	;; [unrolled: 1-line block ×3, first 2 shown]
	v_lshrrev_b32_e32 v98, 16, v92
	v_cndmask_b32_e32 v70, v70, v100, vcc_lo
	v_cndmask_b32_e64 v86, v99, v92, s4
	v_cndmask_b32_e64 v69, v69, v100, s27
	v_lshrrev_b32_e32 v100, 16, v93
	v_cndmask_b32_e64 v72, v72, v89, s9
	v_lshrrev_b32_e32 v99, 16, v89
	v_cndmask_b32_e64 v86, v86, v98, s7
	v_perm_b32 v71, v69, v71, 0x5040100
	v_cndmask_b32_e64 v84, v84, v96, s8
	s_delay_alu instid0(VALU_DEP_3) | instskip(NEXT) | instid1(VALU_DEP_2)
	v_cndmask_b32_e64 v86, v86, v93, s9
	v_cndmask_b32_e64 v84, v84, v89, s11
	s_delay_alu instid0(VALU_DEP_2) | instskip(NEXT) | instid1(VALU_DEP_1)
	v_cndmask_b32_e64 v86, v86, v100, s10
	v_cndmask_b32_e64 v69, v86, v94, s12
	;; [unrolled: 1-line block ×5, first 2 shown]
	s_delay_alu instid0(VALU_DEP_3) | instskip(NEXT) | instid1(VALU_DEP_3)
	v_cndmask_b32_e64 v86, v86, v88, s17
	v_cndmask_b32_e64 v87, v87, v88, s23
	s_delay_alu instid0(VALU_DEP_3) | instskip(NEXT) | instid1(VALU_DEP_3)
	v_cndmask_b32_e64 v88, v95, v92, s23
	v_cndmask_b32_e64 v86, v86, v96, s19
	s_delay_alu instid0(VALU_DEP_3) | instskip(NEXT) | instid1(VALU_DEP_3)
	v_cndmask_b32_e64 v87, v87, v96, s25
	v_cndmask_b32_e64 v88, v88, v98, s25
	s_delay_alu instid0(VALU_DEP_3) | instskip(NEXT) | instid1(VALU_DEP_3)
	v_cndmask_b32_e64 v86, v86, v89, s20
	v_cndmask_b32_e64 v87, v87, v89, s26
	s_delay_alu instid0(VALU_DEP_3) | instskip(NEXT) | instid1(VALU_DEP_3)
	v_cndmask_b32_e64 v88, v88, v93, s26
	v_cndmask_b32_e64 v86, v86, v99, s22
	s_delay_alu instid0(VALU_DEP_3) | instskip(NEXT) | instid1(VALU_DEP_3)
	v_cndmask_b32_e64 v87, v87, v99, s28
	v_cndmask_b32_e64 v88, v88, v100, s28
	s_delay_alu instid0(VALU_DEP_3) | instskip(NEXT) | instid1(VALU_DEP_3)
	v_cndmask_b32_e64 v86, v86, v90, s24
	v_cndmask_b32_e64 v87, v87, v90, s29
	s_delay_alu instid0(VALU_DEP_3) | instskip(SKIP_2) | instid1(VALU_DEP_2)
	v_cndmask_b32_e64 v88, v88, v94, s29
	v_cndmask_b32_e32 v66, v66, v97, vcc_lo
	v_cndmask_b32_e64 v97, v72, v99, s10
	v_perm_b32 v72, v70, v66, 0x5040100
	v_perm_b32 v70, v83, v103, 0x5040100
	v_cndmask_b32_e64 v103, v91, v85, s5
	v_cndmask_b32_e64 v85, v91, v85, s3
	;; [unrolled: 1-line block ×4, first 2 shown]
	v_lshrrev_b32_e32 v97, 16, v90
	v_cndmask_b32_e64 v91, v103, v92, s17
	v_cndmask_b32_e64 v85, v85, v92, s6
	;; [unrolled: 1-line block ×3, first 2 shown]
	s_mov_b32 s3, exec_lo
	v_cndmask_b32_e64 v83, v84, v97, s15
	v_cndmask_b32_e64 v91, v91, v98, s19
	;; [unrolled: 1-line block ×3, first 2 shown]
	v_lshrrev_b32_e32 v84, 16, v94
	v_cndmask_b32_e64 v66, v66, v97, s18
	v_cndmask_b32_e64 v90, v86, v97, s27
	;; [unrolled: 1-line block ×4, first 2 shown]
	v_dual_cndmask_b32 v86, v87, v97 :: v_dual_cndmask_b32 v87, v88, v84
	v_cndmask_b32_e64 v91, v69, v84, s15
	s_delay_alu instid0(VALU_DEP_4) | instskip(NEXT) | instid1(VALU_DEP_4)
	v_cndmask_b32_e64 v89, v89, v100, s22
	v_cndmask_b32_e64 v85, v85, v100, s13
	v_perm_b32 v69, v102, v101, 0x5040100
	v_perm_b32 v86, v87, v86, 0x5040100
	;; [unrolled: 1-line block ×3, first 2 shown]
	v_cndmask_b32_e64 v89, v89, v94, s24
	v_cndmask_b32_e64 v85, v85, v94, s16
	s_mul_i32 s8, s35, 14
	s_delay_alu instid0(VALU_DEP_2) | instskip(NEXT) | instid1(VALU_DEP_2)
	v_cndmask_b32_e64 v88, v89, v84, s27
	v_cndmask_b32_e64 v89, v85, v84, s18
	s_delay_alu instid0(VALU_DEP_2) | instskip(NEXT) | instid1(VALU_DEP_2)
	v_perm_b32 v85, v88, v90, 0x5040100
	v_perm_b32 v84, v89, v66, 0x5040100
	ds_store_b128 v76, v[69:72]
	ds_store_b128 v76, v[83:86] offset:1024
	v_cmpx_gt_u32_e32 14, v0
	s_cbranch_execz .LBB1675_78
; %bb.77:
	s_mul_i32 s4, s8, s30
	s_delay_alu instid0(SALU_CYCLE_1) | instskip(SKIP_1) | instid1(VALU_DEP_1)
	v_add3_u32 v69, s4, s31, v65
	s_load_b128 s[4:7], s[0:1], 0x58
	v_mad_u64_u32 v[65:66], null, v69, s34, s[14:15]
	s_delay_alu instid0(VALU_DEP_1) | instskip(NEXT) | instid1(VALU_DEP_1)
	v_ashrrev_i32_e32 v66, 31, v65
	v_lshlrev_b64 v[65:66], 2, v[65:66]
	s_waitcnt lgkmcnt(0)
	s_delay_alu instid0(VALU_DEP_1) | instskip(NEXT) | instid1(VALU_DEP_2)
	v_add_co_u32 v69, vcc_lo, s6, v65
	v_add_co_ci_u32_e32 v70, vcc_lo, s7, v66, vcc_lo
	v_add_co_u32 v65, vcc_lo, s4, v65
	v_add_co_ci_u32_e32 v66, vcc_lo, s5, v66, vcc_lo
	global_store_b32 v[69:70], v67, off
	global_store_b32 v[65:66], v68, off
.LBB1675_78:
	s_or_b32 exec_lo, exec_lo, s3
	s_waitcnt lgkmcnt(0)
	s_waitcnt_vscnt null, 0x0
	s_barrier
	buffer_gl0_inv
	ds_load_b128 v[83:86], v80
	ds_load_b128 v[87:90], v80 offset:16
	ds_load_b128 v[95:98], v80 offset:2064
	;; [unrolled: 1-line block ×3, first 2 shown]
	v_mov_b32_e32 v65, 0
	ds_load_b128 v[103:106], v80 offset:4112
	ds_load_b128 v[99:102], v80 offset:4096
	;; [unrolled: 1-line block ×4, first 2 shown]
	v_mov_b32_e32 v66, v65
	v_mov_b32_e32 v67, v65
	;; [unrolled: 1-line block ×7, first 2 shown]
	s_waitcnt lgkmcnt(6)
	s_delay_alu instid0(VALU_DEP_1)
	v_wmma_f32_16x16x16_bf16 v[65:72], v[57:64], v[83:90], v[65:72]
	ds_load_b128 v[61:64], v80 offset:8208
	ds_load_b128 v[57:60], v80 offset:8192
	s_waitcnt lgkmcnt(6)
	v_wmma_f32_16x16x16_bf16 v[65:72], v[41:48], v[91:98], v[65:72]
	ds_load_b128 v[45:48], v80 offset:10256
	ds_load_b128 v[41:44], v80 offset:10240
	s_waitcnt lgkmcnt(6)
	;; [unrolled: 4-line block ×4, first 2 shown]
	v_wmma_f32_16x16x16_bf16 v[65:72], v[1:8], v[57:64], v[65:72]
	s_waitcnt lgkmcnt(4)
	s_delay_alu instid0(VALU_DEP_1) | instskip(SKIP_1) | instid1(VALU_DEP_1)
	v_wmma_f32_16x16x16_bf16 v[65:72], v[9:16], v[41:48], v[65:72]
	s_waitcnt lgkmcnt(2)
	v_wmma_f32_16x16x16_bf16 v[65:72], v[17:24], v[33:40], v[65:72]
	s_waitcnt lgkmcnt(0)
	s_delay_alu instid0(VALU_DEP_1) | instskip(NEXT) | instid1(VALU_DEP_1)
	v_wmma_f32_16x16x16_bf16 v[65:72], v[49:56], v[25:32], v[65:72]
	v_and_b32_e32 v1, 0x7f800000, v65
	s_delay_alu instid0(VALU_DEP_1) | instskip(SKIP_1) | instid1(SALU_CYCLE_1)
	v_cmp_ne_u32_e32 vcc_lo, 0x7f800000, v1
                                        ; implicit-def: $vgpr1
	s_and_saveexec_b32 s3, vcc_lo
	s_xor_b32 s3, exec_lo, s3
; %bb.79:
	v_bfe_u32 v1, v65, 16, 1
	s_delay_alu instid0(VALU_DEP_1)
	v_add3_u32 v1, v65, v1, 0x7fff
; %bb.80:
	s_and_not1_saveexec_b32 s3, s3
; %bb.81:
	v_and_b32_e32 v1, 0xffff, v65
	v_or_b32_e32 v2, 0x10000, v65
	s_delay_alu instid0(VALU_DEP_2) | instskip(NEXT) | instid1(VALU_DEP_2)
	v_cmp_eq_u32_e32 vcc_lo, 0, v1
	v_cndmask_b32_e32 v1, v2, v65, vcc_lo
; %bb.82:
	s_or_b32 exec_lo, exec_lo, s3
	v_and_b32_e32 v2, 0x7f800000, v66
	s_delay_alu instid0(VALU_DEP_1) | instskip(SKIP_1) | instid1(SALU_CYCLE_1)
	v_cmp_ne_u32_e32 vcc_lo, 0x7f800000, v2
                                        ; implicit-def: $vgpr2
	s_and_saveexec_b32 s3, vcc_lo
	s_xor_b32 s3, exec_lo, s3
; %bb.83:
	v_bfe_u32 v2, v66, 16, 1
	s_delay_alu instid0(VALU_DEP_1)
	v_add3_u32 v2, v66, v2, 0x7fff
; %bb.84:
	s_and_not1_saveexec_b32 s3, s3
; %bb.85:
	v_and_b32_e32 v2, 0xffff, v66
	v_or_b32_e32 v3, 0x10000, v66
	s_delay_alu instid0(VALU_DEP_2) | instskip(NEXT) | instid1(VALU_DEP_2)
	v_cmp_eq_u32_e32 vcc_lo, 0, v2
	v_cndmask_b32_e32 v2, v3, v66, vcc_lo
; %bb.86:
	s_or_b32 exec_lo, exec_lo, s3
	v_and_b32_e32 v3, 0x7f800000, v67
	s_delay_alu instid0(VALU_DEP_1) | instskip(SKIP_1) | instid1(SALU_CYCLE_1)
	v_cmp_ne_u32_e32 vcc_lo, 0x7f800000, v3
                                        ; implicit-def: $vgpr3
	s_and_saveexec_b32 s3, vcc_lo
	s_xor_b32 s3, exec_lo, s3
; %bb.87:
	v_bfe_u32 v3, v67, 16, 1
	s_delay_alu instid0(VALU_DEP_1)
	v_add3_u32 v3, v67, v3, 0x7fff
; %bb.88:
	s_and_not1_saveexec_b32 s3, s3
; %bb.89:
	v_and_b32_e32 v3, 0xffff, v67
	v_or_b32_e32 v4, 0x10000, v67
	s_delay_alu instid0(VALU_DEP_2) | instskip(NEXT) | instid1(VALU_DEP_2)
	v_cmp_eq_u32_e32 vcc_lo, 0, v3
	v_cndmask_b32_e32 v3, v4, v67, vcc_lo
; %bb.90:
	s_or_b32 exec_lo, exec_lo, s3
	v_and_b32_e32 v4, 0x7f800000, v68
	s_delay_alu instid0(VALU_DEP_1) | instskip(SKIP_1) | instid1(SALU_CYCLE_1)
	v_cmp_ne_u32_e32 vcc_lo, 0x7f800000, v4
                                        ; implicit-def: $vgpr4
	s_and_saveexec_b32 s3, vcc_lo
	s_xor_b32 s3, exec_lo, s3
; %bb.91:
	v_bfe_u32 v4, v68, 16, 1
	s_delay_alu instid0(VALU_DEP_1)
	v_add3_u32 v4, v68, v4, 0x7fff
; %bb.92:
	s_and_not1_saveexec_b32 s3, s3
; %bb.93:
	v_and_b32_e32 v4, 0xffff, v68
	v_or_b32_e32 v5, 0x10000, v68
	s_delay_alu instid0(VALU_DEP_2) | instskip(NEXT) | instid1(VALU_DEP_2)
	v_cmp_eq_u32_e32 vcc_lo, 0, v4
	v_cndmask_b32_e32 v4, v5, v68, vcc_lo
; %bb.94:
	s_or_b32 exec_lo, exec_lo, s3
	v_and_b32_e32 v5, 0x7f800000, v69
	s_delay_alu instid0(VALU_DEP_1) | instskip(SKIP_1) | instid1(SALU_CYCLE_1)
	v_cmp_ne_u32_e32 vcc_lo, 0x7f800000, v5
                                        ; implicit-def: $vgpr5
	s_and_saveexec_b32 s3, vcc_lo
	s_xor_b32 s3, exec_lo, s3
; %bb.95:
	v_bfe_u32 v5, v69, 16, 1
	s_delay_alu instid0(VALU_DEP_1)
	v_add3_u32 v5, v69, v5, 0x7fff
; %bb.96:
	s_and_not1_saveexec_b32 s3, s3
; %bb.97:
	v_and_b32_e32 v5, 0xffff, v69
	v_or_b32_e32 v6, 0x10000, v69
	s_delay_alu instid0(VALU_DEP_2) | instskip(NEXT) | instid1(VALU_DEP_2)
	v_cmp_eq_u32_e32 vcc_lo, 0, v5
	v_cndmask_b32_e32 v5, v6, v69, vcc_lo
; %bb.98:
	s_or_b32 exec_lo, exec_lo, s3
	v_and_b32_e32 v6, 0x7f800000, v70
	s_delay_alu instid0(VALU_DEP_1) | instskip(SKIP_1) | instid1(SALU_CYCLE_1)
	v_cmp_ne_u32_e32 vcc_lo, 0x7f800000, v6
                                        ; implicit-def: $vgpr6
	s_and_saveexec_b32 s3, vcc_lo
	s_xor_b32 s3, exec_lo, s3
; %bb.99:
	v_bfe_u32 v6, v70, 16, 1
	s_delay_alu instid0(VALU_DEP_1)
	v_add3_u32 v6, v70, v6, 0x7fff
; %bb.100:
	s_and_not1_saveexec_b32 s3, s3
; %bb.101:
	v_and_b32_e32 v6, 0xffff, v70
	v_or_b32_e32 v7, 0x10000, v70
	s_delay_alu instid0(VALU_DEP_2) | instskip(NEXT) | instid1(VALU_DEP_2)
	v_cmp_eq_u32_e32 vcc_lo, 0, v6
	v_cndmask_b32_e32 v6, v7, v70, vcc_lo
; %bb.102:
	s_or_b32 exec_lo, exec_lo, s3
	v_and_b32_e32 v7, 0x7f800000, v71
	s_delay_alu instid0(VALU_DEP_1) | instskip(SKIP_1) | instid1(SALU_CYCLE_1)
	v_cmp_ne_u32_e32 vcc_lo, 0x7f800000, v7
                                        ; implicit-def: $vgpr7
	s_and_saveexec_b32 s3, vcc_lo
	s_xor_b32 s3, exec_lo, s3
; %bb.103:
	v_bfe_u32 v7, v71, 16, 1
	s_delay_alu instid0(VALU_DEP_1)
	v_add3_u32 v7, v71, v7, 0x7fff
; %bb.104:
	s_and_not1_saveexec_b32 s3, s3
; %bb.105:
	v_and_b32_e32 v7, 0xffff, v71
	v_or_b32_e32 v8, 0x10000, v71
	s_delay_alu instid0(VALU_DEP_2) | instskip(NEXT) | instid1(VALU_DEP_2)
	v_cmp_eq_u32_e32 vcc_lo, 0, v7
	v_cndmask_b32_e32 v7, v8, v71, vcc_lo
; %bb.106:
	s_or_b32 exec_lo, exec_lo, s3
	v_and_b32_e32 v8, 0x7f800000, v72
	s_delay_alu instid0(VALU_DEP_1) | instskip(SKIP_1) | instid1(SALU_CYCLE_1)
	v_cmp_ne_u32_e32 vcc_lo, 0x7f800000, v8
                                        ; implicit-def: $vgpr8
	s_and_saveexec_b32 s3, vcc_lo
	s_xor_b32 s3, exec_lo, s3
; %bb.107:
	v_bfe_u32 v8, v72, 16, 1
	s_delay_alu instid0(VALU_DEP_1)
	v_add3_u32 v8, v72, v8, 0x7fff
                                        ; implicit-def: $vgpr65_vgpr66_vgpr67_vgpr68_vgpr69_vgpr70_vgpr71_vgpr72
; %bb.108:
	s_and_not1_saveexec_b32 s3, s3
; %bb.109:
	v_and_b32_e32 v8, 0xffff, v72
	v_or_b32_e32 v9, 0x10000, v72
	s_delay_alu instid0(VALU_DEP_2) | instskip(NEXT) | instid1(VALU_DEP_2)
	v_cmp_eq_u32_e32 vcc_lo, 0, v8
	v_cndmask_b32_e32 v8, v9, v72, vcc_lo
; %bb.110:
	s_or_b32 exec_lo, exec_lo, s3
	s_delay_alu instid0(VALU_DEP_1)
	v_perm_b32 v7, v8, v7, 0x7060302
	v_perm_b32 v6, v6, v5, 0x7060302
	;; [unrolled: 1-line block ×4, first 2 shown]
	s_barrier
	buffer_gl0_inv
	v_cmp_eq_u32_e32 vcc_lo, 1, v78
	ds_store_b128 v76, v[4:7]
	s_waitcnt lgkmcnt(0)
	s_barrier
	buffer_gl0_inv
	ds_load_b128 v[1:4], v82
	ds_load_b128 v[5:8], v82 offset:16
	v_cmp_eq_u32_e64 s3, 1, v79
	v_cmp_eq_u32_e64 s4, 2, v78
	;; [unrolled: 1-line block ×5, first 2 shown]
	s_waitcnt lgkmcnt(1)
	v_lshrrev_b32_e32 v9, 16, v1
	s_waitcnt lgkmcnt(0)
	v_lshrrev_b32_e32 v13, 16, v5
	v_lshrrev_b32_e32 v10, 16, v2
	;; [unrolled: 1-line block ×4, first 2 shown]
	v_cndmask_b32_e64 v19, v1, v9, s3
	v_cndmask_b32_e32 v18, v5, v13, vcc_lo
	v_cndmask_b32_e64 v20, v5, v13, s3
	v_cndmask_b32_e32 v17, v1, v9, vcc_lo
	v_cmp_eq_u32_e32 vcc_lo, 2, v79
	v_lshrrev_b32_e32 v15, 16, v7
	v_cmp_eq_u32_e64 s3, 1, v77
	v_lshrrev_b32_e32 v12, 16, v4
	v_lshrrev_b32_e32 v16, 16, v8
	v_cndmask_b32_e32 v20, v20, v6, vcc_lo
	v_cndmask_b32_e64 v17, v17, v2, s4
	v_cndmask_b32_e32 v19, v19, v2, vcc_lo
	v_cndmask_b32_e64 v18, v18, v6, s4
	v_cmp_eq_u32_e32 vcc_lo, 4, v78
	v_cmp_eq_u32_e64 s4, 3, v79
	v_cndmask_b32_e64 v17, v17, v10, s5
	v_cndmask_b32_e64 v21, v1, v9, s3
	;; [unrolled: 1-line block ×5, first 2 shown]
	v_cndmask_b32_e32 v17, v17, v3, vcc_lo
	v_cndmask_b32_e64 v20, v20, v14, s4
	v_cndmask_b32_e32 v18, v18, v7, vcc_lo
	v_cmp_eq_u32_e32 vcc_lo, 4, v79
	v_cmp_eq_u32_e64 s4, 5, v79
	v_cmp_eq_u32_e64 s3, 2, v81
	v_cndmask_b32_e64 v21, v21, v2, s7
	v_cmp_eq_u32_e64 s5, 5, v78
	v_cndmask_b32_e32 v19, v19, v3, vcc_lo
	v_cndmask_b32_e32 v20, v20, v7, vcc_lo
	v_cmp_eq_u32_e32 vcc_lo, 6, v79
	s_delay_alu instid0(VALU_DEP_4) | instskip(NEXT) | instid1(VALU_DEP_4)
	v_cndmask_b32_e64 v17, v17, v11, s5
	v_cndmask_b32_e64 v19, v19, v11, s4
	s_delay_alu instid0(VALU_DEP_4) | instskip(SKIP_1) | instid1(VALU_DEP_3)
	v_cndmask_b32_e64 v20, v20, v15, s4
	v_cmp_eq_u32_e64 s4, 1, v81
	v_cndmask_b32_e32 v19, v19, v4, vcc_lo
	v_cndmask_b32_e64 v18, v18, v15, s5
	s_delay_alu instid0(VALU_DEP_3)
	v_cndmask_b32_e64 v1, v1, v9, s4
	v_cndmask_b32_e64 v5, v5, v13, s4
	v_cmp_eq_u32_e64 s4, 3, v77
	v_cndmask_b32_e64 v13, v22, v6, s7
	v_cmp_eq_u32_e64 s7, 3, v81
	v_cndmask_b32_e64 v1, v1, v2, s3
	v_cndmask_b32_e64 v2, v5, v6, s3
	;; [unrolled: 1-line block ×3, first 2 shown]
	v_cmp_eq_u32_e64 s3, 4, v77
	v_cndmask_b32_e64 v6, v13, v14, s4
	v_cndmask_b32_e64 v1, v1, v10, s7
	v_cmp_eq_u32_e64 s4, 4, v81
	v_cndmask_b32_e64 v2, v2, v14, s7
	v_cndmask_b32_e64 v5, v9, v3, s3
	;; [unrolled: 3-line block ×3, first 2 shown]
	v_cndmask_b32_e64 v2, v2, v7, s4
	v_cmp_eq_u32_e64 s3, 5, v81
	v_cmp_eq_u32_e64 s5, 6, v78
	v_cndmask_b32_e64 v5, v5, v11, s7
	v_cmp_eq_u32_e64 s4, 6, v77
	v_cndmask_b32_e64 v3, v6, v15, s7
	v_cndmask_b32_e64 v1, v1, v11, s3
	v_cmp_eq_u32_e64 s7, 6, v81
	v_cndmask_b32_e64 v2, v2, v15, s3
	v_cndmask_b32_e64 v17, v17, v4, s5
	v_cndmask_b32_e64 v18, v18, v8, s5
	v_cmp_eq_u32_e64 s5, 7, v78
	v_cndmask_b32_e64 v5, v5, v4, s4
	;; [unrolled: 4-line block ×3, first 2 shown]
	v_cmp_eq_u32_e64 s4, 7, v77
	v_cndmask_b32_e32 v4, v20, v8, vcc_lo
	v_cndmask_b32_e64 v17, v17, v12, s5
	v_cndmask_b32_e64 v19, v19, v12, s6
	v_cndmask_b32_e64 v1, v1, v12, s3
	v_cndmask_b32_e64 v5, v5, v12, s4
	v_cndmask_b32_e64 v2, v2, v16, s3
	v_cndmask_b32_e64 v3, v3, v16, s4
	v_cndmask_b32_e64 v6, v4, v16, s6
	v_cndmask_b32_e64 v7, v18, v16, s5
	v_cmp_gt_u32_e32 vcc_lo, 32, v0
	v_perm_b32 v4, v2, v1, 0x5040100
	v_perm_b32 v3, v3, v5, 0x5040100
	;; [unrolled: 1-line block ×4, first 2 shown]
	s_and_b32 s2, vcc_lo, s2
	ds_store_b128 v76, v[1:4]
	s_waitcnt lgkmcnt(0)
	s_barrier
	buffer_gl0_inv
	s_and_saveexec_b32 s3, s2
	s_cbranch_execz .LBB1675_2
; %bb.111:
	s_load_b64 s[0:1], s[0:1], 0x68
	v_lshlrev_b32_e32 v0, 10, v0
	s_lshl_b32 s4, s34, 6
	v_or_b32_e32 v3, s31, v74
	s_mul_i32 s2, s4, s30
	v_lshlrev_b32_e32 v1, 4, v75
	v_lshlrev_b32_e32 v2, 6, v74
	v_and_b32_e32 v0, 0x3800, v0
	s_mul_i32 s2, s2, s8
	v_mul_lo_u32 v8, v3, s4
	s_ashr_i32 s3, s2, 31
	s_delay_alu instid0(SALU_CYCLE_1)
	s_lshl_b64 s[2:3], s[2:3], 1
	v_or3_b32 v16, v0, v1, v2
	ds_load_b128 v[0:3], v16
	ds_load_b128 v[4:7], v16 offset:128
	v_ashrrev_i32_e32 v9, 31, v8
	s_waitcnt lgkmcnt(0)
	s_add_u32 s2, s0, s2
	s_addc_u32 s3, s1, s3
	s_lshl_b32 s0, s14, 6
	s_delay_alu instid0(SALU_CYCLE_1) | instskip(SKIP_2) | instid1(SALU_CYCLE_1)
	s_ashr_i32 s1, s0, 31
	v_lshlrev_b64 v[9:10], 1, v[8:9]
	s_lshl_b64 s[0:1], s[0:1], 1
	s_add_u32 s0, s2, s0
	s_addc_u32 s1, s3, s1
	s_lshl_b32 s2, s34, 7
	v_add_co_u32 v30, s0, s0, v73
	v_add_nc_u32_e32 v11, s2, v8
	v_add_co_ci_u32_e64 v31, null, s1, 0, s0
	s_delay_alu instid0(VALU_DEP_3) | instskip(NEXT) | instid1(VALU_DEP_3)
	v_add_co_u32 v9, vcc_lo, v30, v9
	v_add_nc_u32_e32 v8, s2, v11
	s_delay_alu instid0(VALU_DEP_3) | instskip(SKIP_1) | instid1(VALU_DEP_3)
	v_add_co_ci_u32_e32 v10, vcc_lo, v31, v10, vcc_lo
	v_ashrrev_i32_e32 v12, 31, v11
	v_add_nc_u32_e32 v13, s2, v8
	global_store_b128 v[9:10], v[0:3], off
	v_ashrrev_i32_e32 v9, 31, v8
	v_lshlrev_b64 v[11:12], 1, v[11:12]
	v_ashrrev_i32_e32 v14, 31, v13
	v_add_nc_u32_e32 v10, s2, v13
	s_delay_alu instid0(VALU_DEP_4) | instskip(NEXT) | instid1(VALU_DEP_4)
	v_lshlrev_b64 v[2:3], 1, v[8:9]
	v_add_co_u32 v0, vcc_lo, v30, v11
	s_delay_alu instid0(VALU_DEP_4)
	v_lshlrev_b64 v[8:9], 1, v[13:14]
	v_add_co_ci_u32_e32 v1, vcc_lo, v31, v12, vcc_lo
	v_ashrrev_i32_e32 v11, 31, v10
	v_add_co_u32 v22, vcc_lo, v30, v2
	v_add_nc_u32_e32 v20, s2, v10
	v_add_co_ci_u32_e32 v23, vcc_lo, v31, v3, vcc_lo
	v_add_co_u32 v24, vcc_lo, v30, v8
	global_store_b128 v[0:1], v[4:7], off
	v_add_co_ci_u32_e32 v25, vcc_lo, v31, v9, vcc_lo
	ds_load_b128 v[0:3], v16 offset:256
	ds_load_b128 v[4:7], v16 offset:384
	v_lshlrev_b64 v[26:27], 1, v[10:11]
	ds_load_b128 v[8:11], v16 offset:512
	ds_load_b128 v[12:15], v16 offset:640
	;; [unrolled: 1-line block ×3, first 2 shown]
	v_add_nc_u32_e32 v28, s2, v20
	v_ashrrev_i32_e32 v21, 31, v20
	v_add_co_u32 v26, vcc_lo, v30, v26
	s_delay_alu instid0(VALU_DEP_3) | instskip(NEXT) | instid1(VALU_DEP_3)
	v_ashrrev_i32_e32 v29, 31, v28
	v_lshlrev_b64 v[20:21], 1, v[20:21]
	v_add_co_ci_u32_e32 v27, vcc_lo, v31, v27, vcc_lo
	s_delay_alu instid0(VALU_DEP_3) | instskip(NEXT) | instid1(VALU_DEP_3)
	v_lshlrev_b64 v[28:29], 1, v[28:29]
	v_add_co_u32 v20, vcc_lo, v30, v20
	s_delay_alu instid0(VALU_DEP_4) | instskip(NEXT) | instid1(VALU_DEP_3)
	v_add_co_ci_u32_e32 v21, vcc_lo, v31, v21, vcc_lo
	v_add_co_u32 v28, vcc_lo, v30, v28
	s_delay_alu instid0(VALU_DEP_4)
	v_add_co_ci_u32_e32 v29, vcc_lo, v31, v29, vcc_lo
	s_waitcnt lgkmcnt(4)
	global_store_b128 v[22:23], v[0:3], off
	s_waitcnt lgkmcnt(3)
	global_store_b128 v[24:25], v[4:7], off
	;; [unrolled: 2-line block ×5, first 2 shown]
	s_nop 0
	s_sendmsg sendmsg(MSG_DEALLOC_VGPRS)
	s_endpgm
	.section	.rodata,"a",@progbits
	.p2align	6, 0x0
	.amdhsa_kernel _Z39paged_attention_ll4mi_QKV_mfma16_kernelI14__hip_bfloat16hLN4vllm18Fp8KVCacheDataTypeE1EhLi16ELi64ELi256ELb1ELi14EL8MFMAType0EEvPKT_PKT0_S9_ifPKiSB_SB_iPKfiiiPfSE_PS4_PT2_iSD_SD_
		.amdhsa_group_segment_fixed_size 17472
		.amdhsa_private_segment_fixed_size 0
		.amdhsa_kernarg_size 400
		.amdhsa_user_sgpr_count 13
		.amdhsa_user_sgpr_dispatch_ptr 0
		.amdhsa_user_sgpr_queue_ptr 0
		.amdhsa_user_sgpr_kernarg_segment_ptr 1
		.amdhsa_user_sgpr_dispatch_id 0
		.amdhsa_user_sgpr_private_segment_size 0
		.amdhsa_wavefront_size32 1
		.amdhsa_uses_dynamic_stack 0
		.amdhsa_enable_private_segment 0
		.amdhsa_system_sgpr_workgroup_id_x 1
		.amdhsa_system_sgpr_workgroup_id_y 1
		.amdhsa_system_sgpr_workgroup_id_z 1
		.amdhsa_system_sgpr_workgroup_info 0
		.amdhsa_system_vgpr_workitem_id 0
		.amdhsa_next_free_vgpr 124
		.amdhsa_next_free_sgpr 38
		.amdhsa_reserve_vcc 1
		.amdhsa_float_round_mode_32 0
		.amdhsa_float_round_mode_16_64 0
		.amdhsa_float_denorm_mode_32 3
		.amdhsa_float_denorm_mode_16_64 3
		.amdhsa_dx10_clamp 1
		.amdhsa_ieee_mode 1
		.amdhsa_fp16_overflow 0
		.amdhsa_workgroup_processor_mode 1
		.amdhsa_memory_ordered 1
		.amdhsa_forward_progress 0
		.amdhsa_shared_vgpr_count 0
		.amdhsa_exception_fp_ieee_invalid_op 0
		.amdhsa_exception_fp_denorm_src 0
		.amdhsa_exception_fp_ieee_div_zero 0
		.amdhsa_exception_fp_ieee_overflow 0
		.amdhsa_exception_fp_ieee_underflow 0
		.amdhsa_exception_fp_ieee_inexact 0
		.amdhsa_exception_int_div_zero 0
	.end_amdhsa_kernel
	.section	.text._Z39paged_attention_ll4mi_QKV_mfma16_kernelI14__hip_bfloat16hLN4vllm18Fp8KVCacheDataTypeE1EhLi16ELi64ELi256ELb1ELi14EL8MFMAType0EEvPKT_PKT0_S9_ifPKiSB_SB_iPKfiiiPfSE_PS4_PT2_iSD_SD_,"axG",@progbits,_Z39paged_attention_ll4mi_QKV_mfma16_kernelI14__hip_bfloat16hLN4vllm18Fp8KVCacheDataTypeE1EhLi16ELi64ELi256ELb1ELi14EL8MFMAType0EEvPKT_PKT0_S9_ifPKiSB_SB_iPKfiiiPfSE_PS4_PT2_iSD_SD_,comdat
.Lfunc_end1675:
	.size	_Z39paged_attention_ll4mi_QKV_mfma16_kernelI14__hip_bfloat16hLN4vllm18Fp8KVCacheDataTypeE1EhLi16ELi64ELi256ELb1ELi14EL8MFMAType0EEvPKT_PKT0_S9_ifPKiSB_SB_iPKfiiiPfSE_PS4_PT2_iSD_SD_, .Lfunc_end1675-_Z39paged_attention_ll4mi_QKV_mfma16_kernelI14__hip_bfloat16hLN4vllm18Fp8KVCacheDataTypeE1EhLi16ELi64ELi256ELb1ELi14EL8MFMAType0EEvPKT_PKT0_S9_ifPKiSB_SB_iPKfiiiPfSE_PS4_PT2_iSD_SD_
                                        ; -- End function
	.section	.AMDGPU.csdata,"",@progbits
; Kernel info:
; codeLenInByte = 8860
; NumSgprs: 40
; NumVgprs: 124
; ScratchSize: 0
; MemoryBound: 0
; FloatMode: 240
; IeeeMode: 1
; LDSByteSize: 17472 bytes/workgroup (compile time only)
; SGPRBlocks: 4
; VGPRBlocks: 15
; NumSGPRsForWavesPerEU: 40
; NumVGPRsForWavesPerEU: 124
; Occupancy: 10
; WaveLimiterHint : 1
; COMPUTE_PGM_RSRC2:SCRATCH_EN: 0
; COMPUTE_PGM_RSRC2:USER_SGPR: 13
; COMPUTE_PGM_RSRC2:TRAP_HANDLER: 0
; COMPUTE_PGM_RSRC2:TGID_X_EN: 1
; COMPUTE_PGM_RSRC2:TGID_Y_EN: 1
; COMPUTE_PGM_RSRC2:TGID_Z_EN: 1
; COMPUTE_PGM_RSRC2:TIDIG_COMP_CNT: 0
	.section	.text._Z39paged_attention_ll4mi_QKV_mfma16_kernelI14__hip_bfloat16hLN4vllm18Fp8KVCacheDataTypeE1EhLi16ELi64ELi256ELb1ELi15EL8MFMAType0EEvPKT_PKT0_S9_ifPKiSB_SB_iPKfiiiPfSE_PS4_PT2_iSD_SD_,"axG",@progbits,_Z39paged_attention_ll4mi_QKV_mfma16_kernelI14__hip_bfloat16hLN4vllm18Fp8KVCacheDataTypeE1EhLi16ELi64ELi256ELb1ELi15EL8MFMAType0EEvPKT_PKT0_S9_ifPKiSB_SB_iPKfiiiPfSE_PS4_PT2_iSD_SD_,comdat
	.protected	_Z39paged_attention_ll4mi_QKV_mfma16_kernelI14__hip_bfloat16hLN4vllm18Fp8KVCacheDataTypeE1EhLi16ELi64ELi256ELb1ELi15EL8MFMAType0EEvPKT_PKT0_S9_ifPKiSB_SB_iPKfiiiPfSE_PS4_PT2_iSD_SD_ ; -- Begin function _Z39paged_attention_ll4mi_QKV_mfma16_kernelI14__hip_bfloat16hLN4vllm18Fp8KVCacheDataTypeE1EhLi16ELi64ELi256ELb1ELi15EL8MFMAType0EEvPKT_PKT0_S9_ifPKiSB_SB_iPKfiiiPfSE_PS4_PT2_iSD_SD_
	.globl	_Z39paged_attention_ll4mi_QKV_mfma16_kernelI14__hip_bfloat16hLN4vllm18Fp8KVCacheDataTypeE1EhLi16ELi64ELi256ELb1ELi15EL8MFMAType0EEvPKT_PKT0_S9_ifPKiSB_SB_iPKfiiiPfSE_PS4_PT2_iSD_SD_
	.p2align	8
	.type	_Z39paged_attention_ll4mi_QKV_mfma16_kernelI14__hip_bfloat16hLN4vllm18Fp8KVCacheDataTypeE1EhLi16ELi64ELi256ELb1ELi15EL8MFMAType0EEvPKT_PKT0_S9_ifPKiSB_SB_iPKfiiiPfSE_PS4_PT2_iSD_SD_,@function
_Z39paged_attention_ll4mi_QKV_mfma16_kernelI14__hip_bfloat16hLN4vllm18Fp8KVCacheDataTypeE1EhLi16ELi64ELi256ELb1ELi15EL8MFMAType0EEvPKT_PKT0_S9_ifPKiSB_SB_iPKfiiiPfSE_PS4_PT2_iSD_SD_: ; @_Z39paged_attention_ll4mi_QKV_mfma16_kernelI14__hip_bfloat16hLN4vllm18Fp8KVCacheDataTypeE1EhLi16ELi64ELi256ELb1ELi15EL8MFMAType0EEvPKT_PKT0_S9_ifPKiSB_SB_iPKfiiiPfSE_PS4_PT2_iSD_SD_
; %bb.0:
	s_load_b64 s[2:3], s[0:1], 0x30
	s_mov_b32 s34, s13
	s_waitcnt lgkmcnt(0)
	s_cmp_lg_u64 s[2:3], 0
	s_cselect_b32 s8, -1, 0
	s_ashr_i32 s35, s13, 31
	s_cmp_eq_u64 s[2:3], 0
	s_cbranch_scc1 .LBB1676_3
; %bb.1:
	s_lshl_b64 s[4:5], s[34:35], 2
	s_delay_alu instid0(SALU_CYCLE_1) | instskip(SKIP_4) | instid1(SALU_CYCLE_1)
	s_add_u32 s4, s2, s4
	s_addc_u32 s5, s3, s5
	s_load_b64 s[4:5], s[4:5], 0x0
	s_waitcnt lgkmcnt(0)
	s_sub_i32 s4, s5, s4
	s_cmp_eq_u32 s4, 1
	s_cselect_b32 s4, -1, 0
	s_delay_alu instid0(SALU_CYCLE_1)
	s_and_not1_b32 vcc_lo, exec_lo, s4
	s_cbranch_vccz .LBB1676_4
.LBB1676_2:
	s_nop 0
	s_sendmsg sendmsg(MSG_DEALLOC_VGPRS)
	s_endpgm
.LBB1676_3:
.LBB1676_4:
	s_load_b64 s[4:5], s[0:1], 0x28
	s_lshl_b64 s[6:7], s[34:35], 2
	s_waitcnt lgkmcnt(0)
	s_add_u32 s4, s4, s6
	s_addc_u32 s5, s5, s7
	s_lshl_b32 s12, s14, 8
	s_load_b32 s24, s[4:5], 0x0
	s_waitcnt lgkmcnt(0)
	s_cmp_ge_i32 s12, s24
	s_cbranch_scc1 .LBB1676_2
; %bb.5:
	s_clause 0x1
	s_load_b128 s[20:23], s[0:1], 0x8
	s_load_b64 s[4:5], s[0:1], 0x20
	s_and_not1_b32 vcc_lo, exec_lo, s8
	s_cbranch_vccnz .LBB1676_7
; %bb.6:
	s_add_u32 s2, s2, s6
	s_addc_u32 s3, s3, s7
	s_load_b32 s3, s[2:3], 0x0
	s_branch .LBB1676_8
.LBB1676_7:
	s_mov_b32 s3, s34
.LBB1676_8:
	s_load_b128 s[16:19], s[0:1], 0x48
	v_lshrrev_b32_e32 v66, 5, v0
	v_bfe_u32 v74, v0, 4, 1
	v_and_b32_e32 v65, 15, v0
	v_and_b32_e32 v67, 31, v0
	v_and_b32_e32 v75, 1, v0
	s_mul_i32 s31, s15, 15
	v_lshl_or_b32 v1, v66, 1, v74
	v_lshlrev_b32_e32 v2, 3, v65
	v_cmp_gt_u32_e64 s2, 8, v65
	s_delay_alu instid0(VALU_DEP_3) | instskip(NEXT) | instid1(VALU_DEP_3)
	v_cmp_gt_u32_e32 vcc_lo, 15, v1
	v_lshlrev_b32_e32 v73, 1, v2
	s_delay_alu instid0(VALU_DEP_3) | instskip(NEXT) | instid1(SALU_CYCLE_1)
	s_and_b32 s7, s2, vcc_lo
	s_and_saveexec_b32 s6, s7
	s_cbranch_execz .LBB1676_10
; %bb.9:
	s_load_b64 s[8:9], s[0:1], 0x0
	v_add_lshl_u32 v2, v1, s31, 6
	s_waitcnt lgkmcnt(0)
	s_mul_hi_i32 s11, s3, s16
	s_mul_i32 s10, s3, s16
	v_lshlrev_b32_e32 v6, 10, v65
	s_lshl_b64 s[10:11], s[10:11], 1
	v_ashrrev_i32_e32 v3, 31, v2
	v_lshlrev_b32_e32 v1, 6, v1
	v_lshlrev_b32_e32 v7, 10, v75
	v_and_b32_e32 v6, 0x3800, v6
	s_delay_alu instid0(VALU_DEP_4) | instskip(NEXT) | instid1(VALU_DEP_2)
	v_lshlrev_b64 v[2:3], 1, v[2:3]
	v_or3_b32 v1, v6, v7, v1
	s_add_u32 s3, s8, s10
	s_addc_u32 s7, s9, s11
	s_delay_alu instid0(VALU_DEP_2) | instskip(NEXT) | instid1(VALU_DEP_3)
	v_add_co_u32 v2, vcc_lo, s3, v2
	v_add_co_ci_u32_e32 v3, vcc_lo, s7, v3, vcc_lo
	s_delay_alu instid0(VALU_DEP_2) | instskip(NEXT) | instid1(VALU_DEP_2)
	v_add_co_u32 v2, vcc_lo, v2, v73
	v_add_co_ci_u32_e32 v3, vcc_lo, 0, v3, vcc_lo
	global_load_b128 v[2:5], v[2:3], off
	s_waitcnt vmcnt(0)
	ds_store_b128 v1, v[2:5]
.LBB1676_10:
	s_or_b32 exec_lo, exec_lo, s6
	v_and_b32_e32 v1, 0xef, v0
	s_waitcnt lgkmcnt(0)
	s_add_i32 s3, s24, 15
	s_clause 0x1
	s_load_b32 s6, s[0:1], 0x38
	s_load_b32 s19, s[0:1], 0x1c
	s_ashr_i32 s7, s3, 31
	v_add_nc_u32_e32 v1, s12, v1
	s_lshr_b32 s7, s7, 28
	s_waitcnt lgkmcnt(0)
	s_add_i32 s3, s3, s7
	s_barrier
	v_ashrrev_i32_e32 v2, 31, v1
	v_or_b32_e32 v3, 16, v1
	s_ashr_i32 s3, s3, 4
	v_cmp_gt_i32_e32 vcc_lo, s24, v1
	s_add_i32 s3, s3, -1
	v_lshrrev_b32_e32 v2, 28, v2
	buffer_gl0_inv
	s_mul_i32 s27, s15, s18
	v_add_nc_u32_e32 v4, v1, v2
	s_mul_i32 s6, s34, s6
	s_delay_alu instid0(SALU_CYCLE_1) | instskip(NEXT) | instid1(VALU_DEP_1)
	s_ashr_i32 s7, s6, 31
	v_ashrrev_i32_e32 v4, 4, v4
	v_add_nc_u32_e32 v2, v3, v2
	s_lshl_b64 s[6:7], s[6:7], 2
	s_delay_alu instid0(SALU_CYCLE_1) | instskip(NEXT) | instid1(VALU_DEP_2)
	s_add_u32 s26, s4, s6
	v_cndmask_b32_e32 v1, s3, v4, vcc_lo
	s_delay_alu instid0(VALU_DEP_2)
	v_ashrrev_i32_e32 v2, 4, v2
	v_cmp_gt_i32_e32 vcc_lo, s24, v3
	s_addc_u32 s25, s5, s7
	s_ashr_i32 s28, s27, 31
	s_add_u32 s13, s20, s27
	s_addc_u32 s15, s21, s28
	v_cndmask_b32_e32 v3, s3, v2, vcc_lo
	v_ashrrev_i32_e32 v2, 31, v1
	s_lshl_b32 s4, s14, 4
	s_delay_alu instid0(SALU_CYCLE_1) | instskip(NEXT) | instid1(VALU_DEP_2)
	s_ashr_i32 s5, s4, 31
	v_ashrrev_i32_e32 v4, 31, v3
	s_delay_alu instid0(VALU_DEP_2) | instskip(SKIP_1) | instid1(SALU_CYCLE_1)
	v_lshlrev_b64 v[1:2], 2, v[1:2]
	s_lshl_b64 s[4:5], s[4:5], 2
	s_add_u32 s4, s26, s4
	s_delay_alu instid0(VALU_DEP_2) | instskip(SKIP_1) | instid1(VALU_DEP_2)
	v_lshlrev_b64 v[3:4], 2, v[3:4]
	s_addc_u32 s5, s25, s5
	v_add_co_u32 v1, vcc_lo, s26, v1
	v_add_co_ci_u32_e32 v2, vcc_lo, s25, v2, vcc_lo
	s_delay_alu instid0(VALU_DEP_3) | instskip(NEXT) | instid1(VALU_DEP_4)
	v_add_co_u32 v3, vcc_lo, s26, v3
	v_add_co_ci_u32_e32 v4, vcc_lo, s25, v4, vcc_lo
	s_clause 0x1
	global_load_b32 v5, v[1:2], off
	global_load_b32 v7, v[3:4], off
	s_or_b32 s6, s12, 32
	v_lshlrev_b32_e32 v1, 4, v0
	s_ashr_i32 s7, s6, 4
	s_cmp_lt_i32 s6, s24
	v_cmp_ne_u32_e32 vcc_lo, 15, v65
	s_cselect_b32 s6, s7, s3
	v_and_b32_e32 v1, 0xf0, v1
	s_ashr_i32 s7, s6, 31
	s_delay_alu instid0(SALU_CYCLE_1) | instskip(NEXT) | instid1(SALU_CYCLE_1)
	s_lshl_b64 s[6:7], s[6:7], 2
	s_add_u32 s6, s26, s6
	s_addc_u32 s7, s25, s7
	s_or_b32 s8, s12, 64
	v_add_co_u32 v1, s13, s13, v1
	s_ashr_i32 s9, s8, 4
	s_cmp_lt_i32 s8, s24
	v_add_co_ci_u32_e64 v2, null, s15, 0, s13
	s_cselect_b32 s8, s9, s3
	s_delay_alu instid0(SALU_CYCLE_1) | instskip(NEXT) | instid1(SALU_CYCLE_1)
	s_ashr_i32 s9, s8, 31
	s_lshl_b64 s[8:9], s[8:9], 2
	s_delay_alu instid0(SALU_CYCLE_1) | instskip(SKIP_2) | instid1(SALU_CYCLE_1)
	s_add_u32 s8, s26, s8
	s_addc_u32 s9, s25, s9
	s_or_b32 s10, s12, 0x60
	s_ashr_i32 s11, s10, 4
	s_cmp_lt_i32 s10, s24
	s_cselect_b32 s10, s11, s3
	s_delay_alu instid0(SALU_CYCLE_1) | instskip(NEXT) | instid1(SALU_CYCLE_1)
	s_ashr_i32 s11, s10, 31
	s_lshl_b64 s[10:11], s[10:11], 2
	s_delay_alu instid0(SALU_CYCLE_1) | instskip(SKIP_2) | instid1(SALU_CYCLE_1)
	s_add_u32 s10, s26, s10
	s_addc_u32 s11, s25, s11
	s_or_b32 s16, s12, 0x80
	s_ashr_i32 s18, s16, 4
	s_cmp_lt_i32 s16, s24
	;; [unrolled: 10-line block ×3, first 2 shown]
	s_cselect_b32 s20, s18, s3
	s_delay_alu instid0(SALU_CYCLE_1) | instskip(NEXT) | instid1(SALU_CYCLE_1)
	s_ashr_i32 s21, s20, 31
	s_lshl_b64 s[20:21], s[20:21], 2
	s_delay_alu instid0(SALU_CYCLE_1)
	s_add_u32 s38, s26, s20
	s_addc_u32 s39, s25, s21
	s_clause 0x5
	s_load_b32 s21, s[4:5], 0x0
	s_load_b32 s13, s[6:7], 0x0
	;; [unrolled: 1-line block ×6, first 2 shown]
	s_or_b32 s7, s12, 0xc0
	s_mov_b32 s4, 0
	s_ashr_i32 s8, s7, 4
	s_cmp_lt_i32 s7, s24
	s_mov_b32 s5, s4
	s_cselect_b32 s10, s8, s3
	s_mov_b32 s6, s4
	s_ashr_i32 s11, s10, 31
	s_mov_b32 s7, s4
	s_lshl_b64 s[36:37], s[10:11], 2
	s_mov_b32 s11, s4
	s_add_u32 s36, s26, s36
	s_addc_u32 s37, s25, s37
	s_or_b32 s29, s12, 0xe0
	s_mov_b32 s8, s4
	s_ashr_i32 s30, s29, 4
	s_mov_b32 s9, s4
	s_mov_b32 s10, s4
	s_cmp_lt_i32 s29, s24
	s_waitcnt vmcnt(1)
	v_mad_i64_i32 v[3:4], null, v5, s17, v[1:2]
	s_waitcnt vmcnt(0)
	v_mad_i64_i32 v[5:6], null, v7, s17, v[1:2]
	v_cndmask_b32_e32 v1, 0, v65, vcc_lo
	v_mov_b32_e32 v107, s11
	s_clause 0x7
	global_load_b128 v[49:52], v[3:4], off
	global_load_b128 v[53:56], v[3:4], off offset:256
	global_load_b128 v[76:79], v[5:6], off
	global_load_b128 v[80:83], v[5:6], off offset:256
	global_load_b128 v[84:87], v[3:4], off offset:512
	;; [unrolled: 1-line block ×5, first 2 shown]
	v_lshlrev_b32_e32 v70, 6, v1
	v_dual_mov_b32 v106, s10 :: v_dual_mov_b32 v105, s9
	v_dual_mov_b32 v104, s8 :: v_dual_mov_b32 v103, s7
	;; [unrolled: 1-line block ×3, first 2 shown]
	v_mov_b32_e32 v100, s4
	s_cselect_b32 s4, s30, s3
	v_lshlrev_b32_e32 v2, 4, v65
	s_ashr_i32 s5, s4, 31
	s_load_b32 s3, s[36:37], 0x0
	s_lshl_b64 s[4:5], s[4:5], 2
	ds_load_b128 v[108:111], v70
	ds_load_b128 v[112:115], v70 offset:1024
	s_add_u32 s4, s26, s4
	s_addc_u32 s5, s25, s5
	v_lshl_or_b32 v1, v66, 8, v2
	s_load_b32 s4, s[4:5], 0x0
	s_add_u32 s6, s22, s27
	s_addc_u32 s7, s23, s28
	s_delay_alu instid0(VALU_DEP_1) | instskip(NEXT) | instid1(VALU_DEP_1)
	v_add_co_u32 v9, s6, s6, v1
	v_add_co_ci_u32_e64 v10, null, s7, 0, s6
	s_waitcnt lgkmcnt(0)
	s_delay_alu instid0(VALU_DEP_1)
	v_mad_i64_i32 v[1:2], null, s21, s17, v[9:10]
	v_mad_i64_i32 v[3:4], null, s13, s17, v[9:10]
	;; [unrolled: 1-line block ×7, first 2 shown]
	s_clause 0x9
	global_load_b128 v[57:60], v[1:2], off
	global_load_b128 v[61:64], v[1:2], off offset:16
	global_load_b128 v[41:44], v[3:4], off
	global_load_b128 v[45:48], v[3:4], off offset:16
	;; [unrolled: 2-line block ×5, first 2 shown]
	v_mad_i64_i32 v[68:69], null, s4, s17, v[9:10]
	s_clause 0x3
	global_load_b128 v[9:12], v[13:14], off
	global_load_b128 v[13:16], v[13:14], off offset:16
	global_load_b128 v[17:20], v[21:22], off
	global_load_b128 v[21:24], v[21:22], off offset:16
	s_waitcnt vmcnt(20)
	v_wmma_f32_16x16x16_bf16 v[116:123], v[49:56], v[108:115], v[100:107]
	s_clause 0x1
	global_load_b128 v[49:52], v[68:69], off
	global_load_b128 v[53:56], v[68:69], off offset:16
	v_and_b32_e32 v68, 0xe0, v0
	v_mbcnt_lo_u32_b32 v69, -1, 0
	s_delay_alu instid0(VALU_DEP_2)
	v_add_nc_u32_e32 v68, s12, v68
	s_waitcnt vmcnt(20)
	v_wmma_f32_16x16x16_bf16 v[100:107], v[76:83], v[108:115], v[100:107]
	ds_load_b128 v[76:79], v70 offset:2048
	ds_load_b128 v[80:83], v70 offset:3072
	v_xor_b32_e32 v70, 16, v69
	s_waitcnt vmcnt(0) lgkmcnt(0)
	v_or_b32_e32 v68, v68, v74
	s_barrier
	buffer_gl0_inv
	v_cmp_gt_i32_e32 vcc_lo, 32, v70
	v_or_b32_e32 v71, 4, v68
	v_or_b32_e32 v72, 6, v68
	v_cmp_gt_i32_e64 s3, s24, v68
	v_or_b32_e32 v108, 8, v68
	v_or_b32_e32 v109, 10, v68
	v_cmp_gt_i32_e64 s4, s24, v71
	v_cmp_gt_i32_e64 s5, s24, v72
	s_delay_alu instid0(VALU_DEP_4) | instskip(NEXT) | instid1(VALU_DEP_4)
	v_cmp_gt_i32_e64 s6, s24, v108
	v_cmp_gt_i32_e64 s7, s24, v109
	v_wmma_f32_16x16x16_bf16 v[116:123], v[84:91], v[76:83], v[116:123]
	v_cndmask_b32_e32 v69, v69, v70, vcc_lo
	v_or_b32_e32 v70, 2, v68
	v_wmma_f32_16x16x16_bf16 v[100:107], v[92:99], v[76:83], v[100:107]
	v_or_b32_e32 v89, 22, v68
	v_dual_mul_f32 v80, s19, v121 :: v_dual_mul_f32 v81, s19, v120
	v_dual_mul_f32 v92, s19, v117 :: v_dual_mul_f32 v93, s19, v116
	s_delay_alu instid0(VALU_DEP_4)
	v_mul_f32_e32 v96, s19, v105
	v_cmp_gt_i32_e32 vcc_lo, s24, v70
	v_dual_mul_f32 v79, s19, v122 :: v_dual_mul_f32 v82, s19, v119
	v_dual_mul_f32 v83, s19, v118 :: v_dual_mul_f32 v94, s19, v107
	v_cndmask_b32_e64 v93, 0xff7fffff, v93, s3
	v_cndmask_b32_e32 v92, 0xff7fffff, v92, vcc_lo
	v_or_b32_e32 v84, 12, v68
	v_or_b32_e32 v85, 14, v68
	v_cndmask_b32_e64 v71, 0xff7fffff, v83, s4
	v_cndmask_b32_e64 v72, 0xff7fffff, v82, s5
	v_cmp_gt_i32_e64 s13, s24, v89
	v_lshlrev_b32_e32 v89, 2, v69
	v_max3_f32 v82, v93, 0xff7fffff, v92
	v_or_b32_e32 v86, 16, v68
	v_or_b32_e32 v87, 18, v68
	v_mul_f32_e32 v78, s19, v123
	v_cndmask_b32_e64 v81, 0xff7fffff, v81, s6
	v_cndmask_b32_e64 v80, 0xff7fffff, v80, s7
	v_max3_f32 v71, v82, v71, v72
	v_cmp_gt_i32_e64 s8, s24, v84
	v_cmp_gt_i32_e64 s9, s24, v85
	v_or_b32_e32 v88, 20, v68
	v_or_b32_e32 v90, 24, v68
	;; [unrolled: 1-line block ×5, first 2 shown]
	v_dual_mul_f32 v97, s19, v104 :: v_dual_mul_f32 v70, s19, v101
	v_dual_mul_f32 v99, s19, v102 :: v_dual_mul_f32 v68, s19, v100
	v_cndmask_b32_e64 v72, 0xff7fffff, v79, s8
	v_cndmask_b32_e64 v78, 0xff7fffff, v78, s9
	v_max3_f32 v71, v71, v81, v80
	v_cmp_gt_i32_e64 s10, s24, v86
	v_cmp_gt_i32_e64 s11, s24, v87
	v_dual_mul_f32 v95, s19, v106 :: v_dual_mul_f32 v98, s19, v103
	s_delay_alu instid0(VALU_DEP_4) | instskip(NEXT) | instid1(VALU_DEP_4)
	v_max3_f32 v71, v71, v72, v78
	v_cndmask_b32_e64 v68, 0xff7fffff, v68, s10
	s_delay_alu instid0(VALU_DEP_4)
	v_cndmask_b32_e64 v70, 0xff7fffff, v70, s11
	v_cmp_gt_i32_e64 s12, s24, v88
	v_cndmask_b32_e64 v78, 0xff7fffff, v98, s13
	v_cmp_gt_i32_e64 s15, s24, v90
	v_cmp_gt_i32_e64 s16, s24, v91
	v_max3_f32 v68, v71, v68, v70
	v_cndmask_b32_e64 v72, 0xff7fffff, v99, s12
	v_cmp_gt_i32_e64 s17, s24, v76
	v_cndmask_b32_e64 v70, 0xff7fffff, v97, s15
	v_cndmask_b32_e64 v71, 0xff7fffff, v96, s16
	v_cmp_gt_i32_e64 s18, s24, v77
	v_max3_f32 v68, v68, v72, v78
	v_cndmask_b32_e64 v72, 0xff7fffff, v95, s17
	s_delay_alu instid0(VALU_DEP_3) | instskip(NEXT) | instid1(VALU_DEP_3)
	v_cndmask_b32_e64 v76, 0xff7fffff, v94, s18
	v_max3_f32 v68, v68, v70, v71
	s_delay_alu instid0(VALU_DEP_1) | instskip(SKIP_3) | instid1(VALU_DEP_1)
	v_max3_f32 v68, v68, v72, v76
	ds_bpermute_b32 v69, v89, v68
	s_waitcnt lgkmcnt(0)
	v_max_f32_e32 v69, v69, v69
	v_max_f32_e32 v68, v68, v69
	s_delay_alu instid0(VALU_DEP_1) | instskip(NEXT) | instid1(VALU_DEP_1)
	v_fma_f32 v71, s19, v118, -v68
	v_mul_f32_e32 v71, 0x3fb8aa3b, v71
	v_fma_f32 v70, s19, v117, -v68
	v_fma_f32 v69, s19, v116, -v68
	;; [unrolled: 1-line block ×5, first 2 shown]
	s_delay_alu instid0(VALU_DEP_4) | instskip(SKIP_1) | instid1(VALU_DEP_3)
	v_dual_mul_f32 v70, 0x3fb8aa3b, v70 :: v_dual_mul_f32 v69, 0x3fb8aa3b, v69
	v_exp_f32_e32 v71, v71
	v_mul_f32_e32 v72, 0x3fb8aa3b, v72
	v_fma_f32 v81, s19, v105, -v68
	s_delay_alu instid0(VALU_DEP_3)
	v_exp_f32_e32 v70, v70
	v_mul_f32_e32 v77, 0x3fb8aa3b, v76
	v_exp_f32_e32 v69, v69
	v_exp_f32_e32 v72, v72
	v_mul_f32_e32 v81, 0x3fb8aa3b, v81
	v_cndmask_b32_e64 v83, 0, v71, s4
	v_fma_f32 v71, s19, v123, -v68
	s_delay_alu instid0(VALU_DEP_3) | instskip(SKIP_4) | instid1(TRANS32_DEP_3)
	v_exp_f32_e32 v81, v81
	v_cndmask_b32_e32 v76, 0, v70, vcc_lo
	v_exp_f32_e32 v77, v77
	v_cndmask_b32_e64 v80, 0, v69, s3
	v_fma_f32 v69, s19, v121, -v68
	v_cndmask_b32_e64 v85, 0, v72, s5
	v_mul_f32_e32 v71, 0x3fb8aa3b, v71
	v_fma_f32 v72, s19, v100, -v68
	s_delay_alu instid0(VALU_DEP_4) | instskip(SKIP_1) | instid1(VALU_DEP_4)
	v_dual_add_f32 v70, 0, v80 :: v_dual_mul_f32 v69, 0x3fb8aa3b, v69
	v_cmp_gt_u32_e64 s3, 16, v67
	v_exp_f32_e32 v71, v71
	s_delay_alu instid0(TRANS32_DEP_2) | instskip(SKIP_4) | instid1(VALU_DEP_3)
	v_cndmask_b32_e64 v86, 0, v77, s6
	v_fma_f32 v77, s19, v101, -v68
	v_mul_f32_e32 v78, 0x3fb8aa3b, v78
	v_add_f32_e32 v70, v70, v76
	v_exp_f32_e32 v69, v69
	v_mul_f32_e32 v77, 0x3fb8aa3b, v77
	s_delay_alu instid0(VALU_DEP_3) | instskip(NEXT) | instid1(TRANS32_DEP_3)
	v_exp_f32_e32 v78, v78
	v_cndmask_b32_e64 v88, 0, v71, s9
	v_fma_f32 v71, s19, v104, -v68
	s_delay_alu instid0(VALU_DEP_3) | instskip(NEXT) | instid1(TRANS32_DEP_3)
	v_exp_f32_e32 v77, v77
	v_cndmask_b32_e64 v87, 0, v69, s7
	s_delay_alu instid0(VALU_DEP_2)
	v_mul_f32_e32 v71, 0x3fb8aa3b, v71
	s_waitcnt_depctr 0xfff
	v_cndmask_b32_e64 v84, 0, v78, s8
	v_add_f32_e32 v70, v70, v83
	v_fma_f32 v78, s19, v103, -v68
	v_exp_f32_e32 v82, v71
	s_delay_alu instid0(VALU_DEP_2) | instskip(SKIP_1) | instid1(VALU_DEP_3)
	v_add_f32_e32 v70, v70, v85
	v_mul_f32_e32 v72, 0x3fb8aa3b, v72
	v_mul_f32_e32 v78, 0x3fb8aa3b, v78
	s_delay_alu instid0(VALU_DEP_3) | instskip(SKIP_1) | instid1(VALU_DEP_4)
	v_add_f32_e32 v69, v70, v86
	v_fma_f32 v70, s19, v102, -v68
	v_exp_f32_e32 v72, v72
	s_delay_alu instid0(VALU_DEP_3) | instskip(NEXT) | instid1(VALU_DEP_1)
	v_exp_f32_e32 v78, v78
	v_dual_add_f32 v69, v69, v87 :: v_dual_mul_f32 v70, 0x3fb8aa3b, v70
	s_delay_alu instid0(VALU_DEP_1) | instskip(NEXT) | instid1(VALU_DEP_2)
	v_add_f32_e32 v69, v69, v84
	v_exp_f32_e32 v79, v70
	s_delay_alu instid0(TRANS32_DEP_3) | instskip(NEXT) | instid1(VALU_DEP_2)
	v_cndmask_b32_e64 v70, 0, v72, s10
	v_add_f32_e32 v72, v69, v88
	v_cndmask_b32_e64 v69, 0, v77, s11
	v_fma_f32 v77, s19, v106, -v68
	s_waitcnt_depctr 0xfff
	v_cndmask_b32_e64 v71, 0, v79, s12
	v_dual_mul_f32 v77, 0x3fb8aa3b, v77 :: v_dual_add_f32 v72, v72, v70
	s_delay_alu instid0(VALU_DEP_1) | instskip(NEXT) | instid1(VALU_DEP_1)
	v_exp_f32_e32 v90, v77
	v_add_f32_e32 v79, v72, v69
	v_cndmask_b32_e64 v72, 0, v78, s13
	v_cndmask_b32_e64 v77, 0, v82, s15
	s_delay_alu instid0(VALU_DEP_3) | instskip(SKIP_1) | instid1(VALU_DEP_1)
	v_add_f32_e32 v78, v79, v71
	v_fma_f32 v79, s19, v107, -v68
	v_dual_add_f32 v82, v78, v72 :: v_dual_mul_f32 v79, 0x3fb8aa3b, v79
	v_cndmask_b32_e64 v78, 0, v81, s16
	s_delay_alu instid0(VALU_DEP_2) | instskip(NEXT) | instid1(VALU_DEP_3)
	v_add_f32_e32 v81, v82, v77
	v_exp_f32_e32 v82, v79
	v_cndmask_b32_e64 v79, 0, v90, s17
	s_delay_alu instid0(VALU_DEP_2) | instskip(NEXT) | instid1(VALU_DEP_1)
	v_add_f32_e32 v81, v81, v78
	v_add_f32_e32 v90, v81, v79
	s_waitcnt_depctr 0xfff
	v_cndmask_b32_e64 v81, 0, v82, s18
	s_delay_alu instid0(VALU_DEP_1)
	v_add_f32_e32 v82, v90, v81
	ds_bpermute_b32 v89, v89, v82
	s_and_saveexec_b32 s4, s3
	s_cbranch_execz .LBB1676_12
; %bb.11:
	v_mul_u32_u24_e32 v67, 0x44, v66
	s_delay_alu instid0(VALU_DEP_1) | instskip(SKIP_1) | instid1(VALU_DEP_1)
	v_lshl_add_u32 v67, v65, 2, v67
	s_waitcnt lgkmcnt(0)
	v_dual_add_f32 v82, v82, v89 :: v_dual_add_nc_u32 v67, 0x4000, v67
	ds_store_2addr_b32 v67, v68, v82 offset1:136
.LBB1676_12:
	s_or_b32 exec_lo, exec_lo, s4
	v_lshlrev_b32_e32 v67, 2, v65
	s_waitcnt lgkmcnt(0)
	s_barrier
	buffer_gl0_inv
	v_cmp_eq_u32_e32 vcc_lo, 1, v66
	v_add_nc_u32_e32 v82, 0x4000, v67
	v_cmp_eq_u32_e64 s4, 2, v66
	v_cmp_eq_u32_e64 s6, 7, v66
	ds_load_2addr_b32 v[89:90], v82 offset1:17
	ds_load_2addr_b32 v[91:92], v82 offset0:34 offset1:51
	ds_load_2addr_b32 v[93:94], v82 offset0:68 offset1:85
	ds_load_2addr_b32 v[95:96], v82 offset0:102 offset1:119
	ds_load_2addr_b32 v[97:98], v82 offset0:136 offset1:153
	s_waitcnt lgkmcnt(4)
	v_max3_f32 v67, v89, 0xff7fffff, v90
	s_waitcnt lgkmcnt(3)
	s_delay_alu instid0(VALU_DEP_1) | instskip(SKIP_1) | instid1(VALU_DEP_1)
	v_max3_f32 v67, v67, v91, v92
	s_waitcnt lgkmcnt(2)
	v_max3_f32 v67, v67, v93, v94
	s_waitcnt lgkmcnt(1)
	s_delay_alu instid0(VALU_DEP_1) | instskip(NEXT) | instid1(VALU_DEP_1)
	v_max3_f32 v67, v67, v95, v96
	v_sub_f32_e32 v93, v93, v67
	s_delay_alu instid0(VALU_DEP_1) | instskip(NEXT) | instid1(VALU_DEP_1)
	v_dual_sub_f32 v68, v89, v67 :: v_dual_mul_f32 v103, 0x3fb8aa3b, v93
	v_mul_f32_e32 v68, 0x3fb8aa3b, v68
	s_delay_alu instid0(VALU_DEP_1)
	v_exp_f32_e32 v100, v68
	v_sub_f32_e32 v68, v92, v67
	v_sub_f32_e32 v99, v90, v67
	ds_load_2addr_b32 v[89:90], v82 offset0:170 offset1:187
	v_dual_mul_f32 v102, 0x3fb8aa3b, v68 :: v_dual_mul_f32 v99, 0x3fb8aa3b, v99
	s_waitcnt lgkmcnt(1)
	v_fma_f32 v68, v100, v97, 0
	s_delay_alu instid0(VALU_DEP_2) | instskip(NEXT) | instid1(VALU_DEP_2)
	v_exp_f32_e32 v102, v102
	v_exp_f32_e32 v99, v99
	s_waitcnt_depctr 0xfff
	v_fmac_f32_e32 v68, v99, v98
	v_sub_f32_e32 v91, v91, v67
	s_delay_alu instid0(VALU_DEP_1)
	v_mul_f32_e32 v101, 0x3fb8aa3b, v91
	ds_load_2addr_b32 v[91:92], v82 offset0:204 offset1:221
	v_sub_f32_e32 v97, v94, v67
	ds_load_2addr_b32 v[93:94], v82 offset0:238 offset1:255
	s_waitcnt lgkmcnt(0)
	v_exp_f32_e32 v101, v101
	s_barrier
	buffer_gl0_inv
	v_dual_fmac_f32 v68, v101, v89 :: v_dual_sub_f32 v89, v96, v67
	v_dual_sub_f32 v82, v95, v67 :: v_dual_mul_f32 v95, 0x3fb8aa3b, v97
	v_exp_f32_e32 v97, v103
	s_delay_alu instid0(VALU_DEP_2) | instskip(NEXT) | instid1(VALU_DEP_2)
	v_dual_fmac_f32 v68, v102, v90 :: v_dual_mul_f32 v89, 0x3fb8aa3b, v89
	v_mul_f32_e32 v82, 0x3fb8aa3b, v82
	s_delay_alu instid0(VALU_DEP_3) | instskip(NEXT) | instid1(VALU_DEP_2)
	v_exp_f32_e32 v95, v95
	v_exp_f32_e32 v89, v89
	s_delay_alu instid0(VALU_DEP_1)
	v_exp_f32_e32 v82, v82
	v_fmac_f32_e32 v68, v97, v91
	s_delay_alu instid0(TRANS32_DEP_3) | instid1(VALU_DEP_1)
	v_fmac_f32_e32 v68, v95, v92
	s_waitcnt_depctr 0xfff
	v_fmac_f32_e32 v68, v82, v93
	s_delay_alu instid0(VALU_DEP_1) | instskip(NEXT) | instid1(VALU_DEP_1)
	v_fmac_f32_e32 v68, v89, v94
	v_add_f32_e32 v90, 0x358637bd, v68
	s_delay_alu instid0(VALU_DEP_1) | instskip(NEXT) | instid1(VALU_DEP_1)
	v_div_scale_f32 v91, null, v90, v90, 1.0
	v_rcp_f32_e32 v92, v91
	s_waitcnt_depctr 0xfff
	v_fma_f32 v93, -v91, v92, 1.0
	s_delay_alu instid0(VALU_DEP_1) | instskip(SKIP_1) | instid1(VALU_DEP_2)
	v_dual_fmac_f32 v92, v93, v92 :: v_dual_cndmask_b32 v93, v100, v99
	v_cmp_eq_u32_e32 vcc_lo, 3, v66
	v_cndmask_b32_e64 v93, v93, v101, s4
	v_cmp_eq_u32_e64 s4, 4, v66
	s_delay_alu instid0(VALU_DEP_2) | instskip(SKIP_1) | instid1(VALU_DEP_2)
	v_cndmask_b32_e32 v93, v93, v102, vcc_lo
	v_cmp_eq_u32_e32 vcc_lo, 5, v66
	v_cndmask_b32_e64 v93, v93, v97, s4
	v_cmp_eq_u32_e64 s4, 6, v66
	s_delay_alu instid0(VALU_DEP_2) | instskip(SKIP_1) | instid1(VALU_DEP_1)
	v_cndmask_b32_e32 v93, v93, v95, vcc_lo
	v_div_scale_f32 v94, s5, 1.0, v90, 1.0
	s_mov_b32 vcc_lo, s5
	s_delay_alu instid0(VALU_DEP_2) | instskip(NEXT) | instid1(VALU_DEP_2)
	v_cndmask_b32_e64 v82, v93, v82, s4
	v_mul_f32_e32 v96, v94, v92
	s_mov_b32 s4, exec_lo
	s_delay_alu instid0(VALU_DEP_2) | instskip(NEXT) | instid1(VALU_DEP_2)
	v_cndmask_b32_e64 v82, v82, v89, s6
	v_fma_f32 v98, -v91, v96, v94
	s_delay_alu instid0(VALU_DEP_1) | instskip(NEXT) | instid1(VALU_DEP_1)
	v_fmac_f32_e32 v96, v98, v92
	v_fma_f32 v91, -v91, v96, v94
	s_delay_alu instid0(VALU_DEP_1) | instskip(NEXT) | instid1(VALU_DEP_1)
	v_div_fmas_f32 v91, v91, v92, v96
	v_div_fixup_f32 v90, v91, v90, 1.0
	s_delay_alu instid0(VALU_DEP_1) | instskip(NEXT) | instid1(VALU_DEP_1)
	v_mul_f32_e32 v82, v82, v90
	v_mul_f32_e32 v87, v82, v87
	;; [unrolled: 1-line block ×7, first 2 shown]
	v_dual_mul_f32 v86, v82, v83 :: v_dual_and_b32 v91, 0x7f800000, v90
	v_mul_f32_e32 v85, v82, v76
                                        ; implicit-def: $vgpr76
	s_delay_alu instid0(VALU_DEP_2)
	v_cmpx_ne_u32_e32 0x7f800000, v91
	s_xor_b32 s4, exec_lo, s4
; %bb.13:
	v_bfe_u32 v76, v90, 16, 1
	s_delay_alu instid0(VALU_DEP_1)
	v_add3_u32 v76, v90, v76, 0x7fff
                                        ; implicit-def: $vgpr90
; %bb.14:
	s_and_not1_saveexec_b32 s4, s4
; %bb.15:
	v_and_b32_e32 v76, 0xffff, v90
	v_or_b32_e32 v83, 0x10000, v90
	s_delay_alu instid0(VALU_DEP_2) | instskip(NEXT) | instid1(VALU_DEP_2)
	v_cmp_eq_u32_e32 vcc_lo, 0, v76
	v_cndmask_b32_e32 v76, v83, v90, vcc_lo
; %bb.16:
	s_or_b32 exec_lo, exec_lo, s4
	v_and_b32_e32 v83, 0x7f800000, v85
	s_delay_alu instid0(VALU_DEP_1) | instskip(SKIP_1) | instid1(SALU_CYCLE_1)
	v_cmp_ne_u32_e32 vcc_lo, 0x7f800000, v83
                                        ; implicit-def: $vgpr83
	s_and_saveexec_b32 s4, vcc_lo
	s_xor_b32 s4, exec_lo, s4
; %bb.17:
	v_bfe_u32 v83, v85, 16, 1
	s_delay_alu instid0(VALU_DEP_1)
	v_add3_u32 v83, v85, v83, 0x7fff
                                        ; implicit-def: $vgpr85
; %bb.18:
	s_and_not1_saveexec_b32 s4, s4
; %bb.19:
	v_and_b32_e32 v83, 0xffff, v85
	v_or_b32_e32 v90, 0x10000, v85
	s_delay_alu instid0(VALU_DEP_2) | instskip(NEXT) | instid1(VALU_DEP_2)
	v_cmp_eq_u32_e32 vcc_lo, 0, v83
	v_cndmask_b32_e32 v83, v90, v85, vcc_lo
; %bb.20:
	s_or_b32 exec_lo, exec_lo, s4
	v_and_b32_e32 v85, 0x7f800000, v86
	s_delay_alu instid0(VALU_DEP_1) | instskip(SKIP_1) | instid1(SALU_CYCLE_1)
	v_cmp_ne_u32_e32 vcc_lo, 0x7f800000, v85
                                        ; implicit-def: $vgpr85
	s_and_saveexec_b32 s4, vcc_lo
	s_xor_b32 s4, exec_lo, s4
; %bb.21:
	v_bfe_u32 v85, v86, 16, 1
	s_delay_alu instid0(VALU_DEP_1)
	v_add3_u32 v85, v86, v85, 0x7fff
                                        ; implicit-def: $vgpr86
; %bb.22:
	s_and_not1_saveexec_b32 s4, s4
; %bb.23:
	v_and_b32_e32 v85, 0xffff, v86
	v_or_b32_e32 v90, 0x10000, v86
	s_delay_alu instid0(VALU_DEP_2) | instskip(NEXT) | instid1(VALU_DEP_2)
	v_cmp_eq_u32_e32 vcc_lo, 0, v85
	v_cndmask_b32_e32 v85, v90, v86, vcc_lo
; %bb.24:
	s_or_b32 exec_lo, exec_lo, s4
	v_and_b32_e32 v86, 0x7f800000, v89
	s_delay_alu instid0(VALU_DEP_1) | instskip(SKIP_1) | instid1(SALU_CYCLE_1)
	v_cmp_ne_u32_e32 vcc_lo, 0x7f800000, v86
                                        ; implicit-def: $vgpr86
	s_and_saveexec_b32 s4, vcc_lo
	s_xor_b32 s4, exec_lo, s4
; %bb.25:
	v_bfe_u32 v86, v89, 16, 1
	s_delay_alu instid0(VALU_DEP_1)
	v_add3_u32 v86, v89, v86, 0x7fff
                                        ; implicit-def: $vgpr89
; %bb.26:
	s_and_not1_saveexec_b32 s4, s4
; %bb.27:
	v_and_b32_e32 v86, 0xffff, v89
	v_or_b32_e32 v90, 0x10000, v89
	s_delay_alu instid0(VALU_DEP_2) | instskip(NEXT) | instid1(VALU_DEP_2)
	v_cmp_eq_u32_e32 vcc_lo, 0, v86
	v_cndmask_b32_e32 v86, v90, v89, vcc_lo
; %bb.28:
	s_or_b32 exec_lo, exec_lo, s4
	v_and_b32_e32 v89, 0x7f800000, v88
	s_delay_alu instid0(VALU_DEP_1) | instskip(SKIP_1) | instid1(SALU_CYCLE_1)
	v_cmp_ne_u32_e32 vcc_lo, 0x7f800000, v89
                                        ; implicit-def: $vgpr89
	s_and_saveexec_b32 s4, vcc_lo
	s_xor_b32 s4, exec_lo, s4
; %bb.29:
	v_bfe_u32 v89, v88, 16, 1
	s_delay_alu instid0(VALU_DEP_1)
	v_add3_u32 v89, v88, v89, 0x7fff
                                        ; implicit-def: $vgpr88
; %bb.30:
	s_and_not1_saveexec_b32 s4, s4
; %bb.31:
	v_and_b32_e32 v89, 0xffff, v88
	v_or_b32_e32 v90, 0x10000, v88
	s_delay_alu instid0(VALU_DEP_2) | instskip(NEXT) | instid1(VALU_DEP_2)
	v_cmp_eq_u32_e32 vcc_lo, 0, v89
	v_cndmask_b32_e32 v89, v90, v88, vcc_lo
; %bb.32:
	s_or_b32 exec_lo, exec_lo, s4
	v_and_b32_e32 v88, 0x7f800000, v87
	s_delay_alu instid0(VALU_DEP_1) | instskip(SKIP_1) | instid1(SALU_CYCLE_1)
	v_cmp_ne_u32_e32 vcc_lo, 0x7f800000, v88
                                        ; implicit-def: $vgpr88
	s_and_saveexec_b32 s4, vcc_lo
	s_xor_b32 s4, exec_lo, s4
; %bb.33:
	v_bfe_u32 v88, v87, 16, 1
	s_delay_alu instid0(VALU_DEP_1)
	v_add3_u32 v88, v87, v88, 0x7fff
                                        ; implicit-def: $vgpr87
; %bb.34:
	s_and_not1_saveexec_b32 s4, s4
; %bb.35:
	v_and_b32_e32 v88, 0xffff, v87
	v_or_b32_e32 v90, 0x10000, v87
	s_delay_alu instid0(VALU_DEP_2) | instskip(NEXT) | instid1(VALU_DEP_2)
	v_cmp_eq_u32_e32 vcc_lo, 0, v88
	v_cndmask_b32_e32 v88, v90, v87, vcc_lo
; %bb.36:
	s_or_b32 exec_lo, exec_lo, s4
	v_and_b32_e32 v87, 0x7f800000, v84
	s_delay_alu instid0(VALU_DEP_1) | instskip(SKIP_1) | instid1(SALU_CYCLE_1)
	v_cmp_ne_u32_e32 vcc_lo, 0x7f800000, v87
                                        ; implicit-def: $vgpr87
	s_and_saveexec_b32 s4, vcc_lo
	s_xor_b32 s4, exec_lo, s4
; %bb.37:
	v_bfe_u32 v87, v84, 16, 1
	s_delay_alu instid0(VALU_DEP_1)
	v_add3_u32 v87, v84, v87, 0x7fff
                                        ; implicit-def: $vgpr84
; %bb.38:
	s_and_not1_saveexec_b32 s4, s4
; %bb.39:
	v_and_b32_e32 v87, 0xffff, v84
	v_or_b32_e32 v90, 0x10000, v84
	s_delay_alu instid0(VALU_DEP_2) | instskip(NEXT) | instid1(VALU_DEP_2)
	v_cmp_eq_u32_e32 vcc_lo, 0, v87
	v_cndmask_b32_e32 v87, v90, v84, vcc_lo
; %bb.40:
	s_or_b32 exec_lo, exec_lo, s4
	v_and_b32_e32 v84, 0x7f800000, v80
	s_delay_alu instid0(VALU_DEP_1) | instskip(SKIP_1) | instid1(SALU_CYCLE_1)
	v_cmp_ne_u32_e32 vcc_lo, 0x7f800000, v84
                                        ; implicit-def: $vgpr84
	s_and_saveexec_b32 s4, vcc_lo
	s_xor_b32 s4, exec_lo, s4
; %bb.41:
	v_bfe_u32 v84, v80, 16, 1
	s_delay_alu instid0(VALU_DEP_1)
	v_add3_u32 v84, v80, v84, 0x7fff
                                        ; implicit-def: $vgpr80
; %bb.42:
	s_and_not1_saveexec_b32 s4, s4
; %bb.43:
	v_and_b32_e32 v84, 0xffff, v80
	v_or_b32_e32 v90, 0x10000, v80
	s_delay_alu instid0(VALU_DEP_2) | instskip(NEXT) | instid1(VALU_DEP_2)
	v_cmp_eq_u32_e32 vcc_lo, 0, v84
	v_cndmask_b32_e32 v84, v90, v80, vcc_lo
; %bb.44:
	s_or_b32 exec_lo, exec_lo, s4
	s_load_b64 s[36:37], s[0:1], 0x94
	v_lshlrev_b32_e32 v91, 4, v74
	s_delay_alu instid0(VALU_DEP_2)
	v_perm_b32 v90, v84, v87, 0x7060302
	v_dual_mul_f32 v79, v82, v79 :: v_dual_lshlrev_b32 v80, 6, v65
	v_dual_mul_f32 v77, v82, v77 :: v_dual_lshlrev_b32 v92, 11, v66
	v_mul_f32_e32 v84, v82, v70
	v_perm_b32 v89, v88, v89, 0x7060302
	v_perm_b32 v88, v86, v85, 0x7060302
	;; [unrolled: 1-line block ×3, first 2 shown]
	v_mul_f32_e32 v70, v82, v81
	v_or3_b32 v76, v91, v92, v80
	v_dual_mul_f32 v78, v82, v78 :: v_dual_and_b32 v85, 0x7f800000, v84
	v_mul_f32_e32 v83, v82, v72
	v_mul_f32_e32 v81, v82, v71
	;; [unrolled: 1-line block ×3, first 2 shown]
	s_mov_b32 s4, exec_lo
	ds_store_b128 v76, v[87:90]
                                        ; implicit-def: $vgpr69
	v_cmpx_ne_u32_e32 0x7f800000, v85
	s_xor_b32 s4, exec_lo, s4
; %bb.45:
	v_bfe_u32 v69, v84, 16, 1
	s_delay_alu instid0(VALU_DEP_1)
	v_add3_u32 v69, v84, v69, 0x7fff
                                        ; implicit-def: $vgpr84
; %bb.46:
	s_and_not1_saveexec_b32 s4, s4
; %bb.47:
	v_and_b32_e32 v69, 0xffff, v84
	v_or_b32_e32 v71, 0x10000, v84
	s_delay_alu instid0(VALU_DEP_2) | instskip(NEXT) | instid1(VALU_DEP_2)
	v_cmp_eq_u32_e32 vcc_lo, 0, v69
	v_cndmask_b32_e32 v69, v71, v84, vcc_lo
; %bb.48:
	s_or_b32 exec_lo, exec_lo, s4
	v_and_b32_e32 v71, 0x7f800000, v72
	s_delay_alu instid0(VALU_DEP_1) | instskip(SKIP_1) | instid1(SALU_CYCLE_1)
	v_cmp_ne_u32_e32 vcc_lo, 0x7f800000, v71
                                        ; implicit-def: $vgpr71
	s_and_saveexec_b32 s4, vcc_lo
	s_xor_b32 s4, exec_lo, s4
; %bb.49:
	v_bfe_u32 v71, v72, 16, 1
	s_delay_alu instid0(VALU_DEP_1)
	v_add3_u32 v71, v72, v71, 0x7fff
                                        ; implicit-def: $vgpr72
; %bb.50:
	s_and_not1_saveexec_b32 s4, s4
; %bb.51:
	v_and_b32_e32 v71, 0xffff, v72
	v_or_b32_e32 v82, 0x10000, v72
	s_delay_alu instid0(VALU_DEP_2) | instskip(NEXT) | instid1(VALU_DEP_2)
	v_cmp_eq_u32_e32 vcc_lo, 0, v71
	v_cndmask_b32_e32 v71, v82, v72, vcc_lo
; %bb.52:
	s_or_b32 exec_lo, exec_lo, s4
	v_and_b32_e32 v72, 0x7f800000, v81
	s_delay_alu instid0(VALU_DEP_1) | instskip(SKIP_1) | instid1(SALU_CYCLE_1)
	v_cmp_ne_u32_e32 vcc_lo, 0x7f800000, v72
                                        ; implicit-def: $vgpr72
	s_and_saveexec_b32 s4, vcc_lo
	s_xor_b32 s4, exec_lo, s4
; %bb.53:
	v_bfe_u32 v72, v81, 16, 1
	s_delay_alu instid0(VALU_DEP_1)
	v_add3_u32 v72, v81, v72, 0x7fff
                                        ; implicit-def: $vgpr81
; %bb.54:
	s_and_not1_saveexec_b32 s4, s4
; %bb.55:
	v_and_b32_e32 v72, 0xffff, v81
	v_or_b32_e32 v82, 0x10000, v81
	s_delay_alu instid0(VALU_DEP_2) | instskip(NEXT) | instid1(VALU_DEP_2)
	v_cmp_eq_u32_e32 vcc_lo, 0, v72
	v_cndmask_b32_e32 v72, v82, v81, vcc_lo
; %bb.56:
	s_or_b32 exec_lo, exec_lo, s4
	v_and_b32_e32 v81, 0x7f800000, v83
	s_delay_alu instid0(VALU_DEP_1) | instskip(SKIP_1) | instid1(SALU_CYCLE_1)
	v_cmp_ne_u32_e32 vcc_lo, 0x7f800000, v81
                                        ; implicit-def: $vgpr81
	s_and_saveexec_b32 s4, vcc_lo
	s_xor_b32 s4, exec_lo, s4
; %bb.57:
	v_bfe_u32 v81, v83, 16, 1
	s_delay_alu instid0(VALU_DEP_1)
	v_add3_u32 v81, v83, v81, 0x7fff
                                        ; implicit-def: $vgpr83
; %bb.58:
	s_and_not1_saveexec_b32 s4, s4
; %bb.59:
	v_and_b32_e32 v81, 0xffff, v83
	v_or_b32_e32 v82, 0x10000, v83
	s_delay_alu instid0(VALU_DEP_2) | instskip(NEXT) | instid1(VALU_DEP_2)
	v_cmp_eq_u32_e32 vcc_lo, 0, v81
	v_cndmask_b32_e32 v81, v82, v83, vcc_lo
; %bb.60:
	s_or_b32 exec_lo, exec_lo, s4
	v_and_b32_e32 v82, 0x7f800000, v77
	s_delay_alu instid0(VALU_DEP_1) | instskip(SKIP_1) | instid1(SALU_CYCLE_1)
	v_cmp_ne_u32_e32 vcc_lo, 0x7f800000, v82
                                        ; implicit-def: $vgpr82
	s_and_saveexec_b32 s4, vcc_lo
	s_xor_b32 s4, exec_lo, s4
; %bb.61:
	v_bfe_u32 v82, v77, 16, 1
	s_delay_alu instid0(VALU_DEP_1)
	v_add3_u32 v82, v77, v82, 0x7fff
                                        ; implicit-def: $vgpr77
; %bb.62:
	s_and_not1_saveexec_b32 s4, s4
; %bb.63:
	v_and_b32_e32 v82, 0xffff, v77
	v_or_b32_e32 v83, 0x10000, v77
	s_delay_alu instid0(VALU_DEP_2) | instskip(NEXT) | instid1(VALU_DEP_2)
	v_cmp_eq_u32_e32 vcc_lo, 0, v82
	v_cndmask_b32_e32 v82, v83, v77, vcc_lo
; %bb.64:
	s_or_b32 exec_lo, exec_lo, s4
	v_and_b32_e32 v77, 0x7f800000, v78
	s_delay_alu instid0(VALU_DEP_1) | instskip(SKIP_1) | instid1(SALU_CYCLE_1)
	v_cmp_ne_u32_e32 vcc_lo, 0x7f800000, v77
                                        ; implicit-def: $vgpr77
	s_and_saveexec_b32 s4, vcc_lo
	s_xor_b32 s4, exec_lo, s4
; %bb.65:
	v_bfe_u32 v77, v78, 16, 1
	s_delay_alu instid0(VALU_DEP_1)
	v_add3_u32 v77, v78, v77, 0x7fff
                                        ; implicit-def: $vgpr78
; %bb.66:
	s_and_not1_saveexec_b32 s4, s4
; %bb.67:
	v_and_b32_e32 v77, 0xffff, v78
	v_or_b32_e32 v83, 0x10000, v78
	s_delay_alu instid0(VALU_DEP_2) | instskip(NEXT) | instid1(VALU_DEP_2)
	v_cmp_eq_u32_e32 vcc_lo, 0, v77
	v_cndmask_b32_e32 v77, v83, v78, vcc_lo
; %bb.68:
	s_or_b32 exec_lo, exec_lo, s4
	v_and_b32_e32 v78, 0x7f800000, v79
	s_delay_alu instid0(VALU_DEP_1) | instskip(SKIP_1) | instid1(SALU_CYCLE_1)
	v_cmp_ne_u32_e32 vcc_lo, 0x7f800000, v78
                                        ; implicit-def: $vgpr78
	s_and_saveexec_b32 s4, vcc_lo
	s_xor_b32 s4, exec_lo, s4
; %bb.69:
	v_bfe_u32 v78, v79, 16, 1
	s_delay_alu instid0(VALU_DEP_1)
	v_add3_u32 v78, v79, v78, 0x7fff
                                        ; implicit-def: $vgpr79
; %bb.70:
	s_and_not1_saveexec_b32 s4, s4
; %bb.71:
	v_and_b32_e32 v78, 0xffff, v79
	v_or_b32_e32 v83, 0x10000, v79
	s_delay_alu instid0(VALU_DEP_2) | instskip(NEXT) | instid1(VALU_DEP_2)
	v_cmp_eq_u32_e32 vcc_lo, 0, v78
	v_cndmask_b32_e32 v78, v83, v79, vcc_lo
; %bb.72:
	s_or_b32 exec_lo, exec_lo, s4
	v_and_b32_e32 v79, 0x7f800000, v70
	s_delay_alu instid0(VALU_DEP_1) | instskip(SKIP_1) | instid1(SALU_CYCLE_1)
	v_cmp_ne_u32_e32 vcc_lo, 0x7f800000, v79
                                        ; implicit-def: $vgpr79
	s_and_saveexec_b32 s4, vcc_lo
	s_xor_b32 s4, exec_lo, s4
; %bb.73:
	v_bfe_u32 v79, v70, 16, 1
	s_delay_alu instid0(VALU_DEP_1)
	v_add3_u32 v79, v70, v79, 0x7fff
                                        ; implicit-def: $vgpr70
; %bb.74:
	s_and_not1_saveexec_b32 s4, s4
; %bb.75:
	v_and_b32_e32 v79, 0xffff, v70
	v_or_b32_e32 v83, 0x10000, v70
	s_delay_alu instid0(VALU_DEP_2) | instskip(NEXT) | instid1(VALU_DEP_2)
	v_cmp_eq_u32_e32 vcc_lo, 0, v79
	v_cndmask_b32_e32 v79, v83, v70, vcc_lo
; %bb.76:
	s_or_b32 exec_lo, exec_lo, s4
	s_delay_alu instid0(VALU_DEP_1)
	v_perm_b32 v86, v79, v78, 0x7060302
	v_perm_b32 v85, v77, v82, 0x7060302
	;; [unrolled: 1-line block ×4, first 2 shown]
	v_lshl_or_b32 v82, v66, 11, v80
	ds_store_b128 v76, v[83:86] offset:1024
	s_waitcnt lgkmcnt(0)
	s_barrier
	buffer_gl0_inv
	ds_load_b128 v[69:72], v82
	ds_load_b128 v[83:86], v82 offset:16
	s_waitcnt lgkmcnt(1)
	v_lshrrev_b32_e32 v66, 16, v69
	s_waitcnt lgkmcnt(0)
	v_lshrrev_b32_e32 v91, 16, v83
	v_lshlrev_b32_e32 v78, 2, v74
	v_lshrrev_b32_e32 v95, 16, v70
	v_lshrrev_b32_e32 v98, 16, v84
	;; [unrolled: 1-line block ×4, first 2 shown]
	v_cmp_eq_u32_e32 vcc_lo, 1, v78
	v_lshrrev_b32_e32 v97, 16, v72
	v_lshrrev_b32_e32 v100, 16, v86
	v_cndmask_b32_e32 v87, v83, v91, vcc_lo
	v_or_b32_e32 v79, 1, v78
	v_cndmask_b32_e32 v81, v69, v66, vcc_lo
	v_cmp_eq_u32_e64 s5, 2, v78
	v_cmp_eq_u32_e64 s8, 3, v78
	v_cmp_eq_u32_e64 s10, 4, v78
	v_cmp_eq_u32_e64 s4, 1, v79
	v_cmp_eq_u32_e64 s7, 2, v79
	v_cndmask_b32_e64 v81, v81, v70, s5
	v_cndmask_b32_e64 v87, v87, v84, s5
	v_cmp_eq_u32_e64 s9, 3, v79
	v_cndmask_b32_e64 v88, v69, v66, s4
	v_or_b32_e32 v77, 2, v78
	v_cndmask_b32_e64 v81, v81, v95, s8
	v_cndmask_b32_e64 v87, v87, v98, s8
	;; [unrolled: 1-line block ×4, first 2 shown]
	v_cmp_eq_u32_e64 s11, 5, v78
	v_cndmask_b32_e64 v81, v81, v71, s10
	v_cndmask_b32_e64 v87, v87, v85, s10
	v_cmp_eq_u32_e64 s12, 4, v79
	v_cndmask_b32_e64 v88, v88, v95, s9
	v_cmp_eq_u32_e64 s6, 1, v77
	v_cndmask_b32_e64 v89, v89, v84, s7
	v_cndmask_b32_e64 v81, v81, v96, s11
	v_cmp_eq_u32_e64 s13, 6, v78
	v_cndmask_b32_e64 v88, v88, v71, s12
	;; [unrolled: 3-line block ×3, first 2 shown]
	v_cndmask_b32_e64 v89, v89, v98, s9
	v_cndmask_b32_e64 v81, v81, v72, s13
	v_cmp_eq_u32_e64 s16, 7, v78
	v_cndmask_b32_e64 v88, v88, v96, s15
	v_cndmask_b32_e64 v87, v87, v86, s13
	v_cmp_eq_u32_e64 s17, 6, v79
	v_cmp_eq_u32_e64 s18, 2, v77
	v_cndmask_b32_e64 v89, v89, v85, s12
	v_cndmask_b32_e64 v101, v81, v97, s16
	;; [unrolled: 1-line block ×6, first 2 shown]
	v_cmp_eq_u32_e64 s19, 7, v79
	v_cmp_eq_u32_e64 s20, 3, v77
	;; [unrolled: 1-line block ×4, first 2 shown]
	v_cndmask_b32_e64 v87, v87, v84, s18
	v_cndmask_b32_e64 v103, v88, v97, s19
	;; [unrolled: 1-line block ×4, first 2 shown]
	v_or_b32_e32 v81, 3, v78
	v_cndmask_b32_e64 v93, v87, v98, s20
	v_cmp_eq_u32_e64 s25, 6, v77
	v_cndmask_b32_e64 v104, v88, v86, s17
	v_cndmask_b32_e64 v92, v89, v71, s21
	v_cmp_eq_u32_e64 s22, 1, v81
	ds_load_b128 v[87:90], v82 offset:1024
	v_cmp_eq_u32_e64 s24, 2, v81
	v_cmp_eq_u32_e64 s26, 3, v81
	v_cndmask_b32_e64 v105, v92, v96, s23
	v_cndmask_b32_e64 v66, v69, v66, s22
	;; [unrolled: 1-line block ×4, first 2 shown]
	ds_load_b128 v[91:94], v82 offset:1040
	v_cmp_eq_u32_e64 s27, 4, v81
	v_cndmask_b32_e64 v66, v66, v70, s24
	v_cmp_eq_u32_e64 s28, 7, v77
	v_cndmask_b32_e64 v70, v83, v84, s24
	v_cndmask_b32_e64 v84, v105, v72, s25
	v_cmp_eq_u32_e64 s29, 5, v81
	v_cndmask_b32_e64 v66, v66, v95, s26
	v_cmp_eq_u32_e64 s30, 6, v81
	v_cndmask_b32_e64 v70, v70, v98, s26
	v_cndmask_b32_e64 v69, v69, v99, s23
	;; [unrolled: 1-line block ×4, first 2 shown]
	s_waitcnt lgkmcnt(1)
	v_lshrrev_b32_e32 v95, 16, v87
	v_cndmask_b32_e64 v70, v70, v85, s27
	v_cndmask_b32_e64 v71, v84, v97, s28
	;; [unrolled: 1-line block ×4, first 2 shown]
	v_cndmask_b32_e32 v84, v87, v95, vcc_lo
	v_cndmask_b32_e64 v70, v70, v99, s29
	s_waitcnt lgkmcnt(0)
	v_lshrrev_b32_e32 v85, 16, v91
	v_lshrrev_b32_e32 v96, 16, v88
	v_cndmask_b32_e64 v98, v87, v95, s4
	v_cndmask_b32_e64 v84, v84, v88, s5
	;; [unrolled: 1-line block ×3, first 2 shown]
	v_cndmask_b32_e32 v99, v91, v85, vcc_lo
	v_cmp_eq_u32_e32 vcc_lo, 7, v81
	v_cndmask_b32_e64 v66, v66, v72, s30
	v_cndmask_b32_e64 v72, v84, v96, s8
	;; [unrolled: 1-line block ×3, first 2 shown]
	v_lshrrev_b32_e32 v98, 16, v92
	v_cndmask_b32_e32 v70, v70, v100, vcc_lo
	v_cndmask_b32_e64 v86, v99, v92, s5
	v_cndmask_b32_e64 v69, v69, v100, s28
	v_lshrrev_b32_e32 v100, 16, v93
	v_cndmask_b32_e64 v72, v72, v89, s10
	v_lshrrev_b32_e32 v99, 16, v89
	v_cndmask_b32_e64 v86, v86, v98, s8
	v_perm_b32 v71, v69, v71, 0x5040100
	v_cndmask_b32_e64 v84, v84, v96, s9
	s_delay_alu instid0(VALU_DEP_3) | instskip(NEXT) | instid1(VALU_DEP_2)
	v_cndmask_b32_e64 v86, v86, v93, s10
	v_cndmask_b32_e64 v84, v84, v89, s12
	s_delay_alu instid0(VALU_DEP_2) | instskip(NEXT) | instid1(VALU_DEP_1)
	v_cndmask_b32_e64 v86, v86, v100, s11
	v_cndmask_b32_e64 v69, v86, v94, s13
	;; [unrolled: 1-line block ×5, first 2 shown]
	s_delay_alu instid0(VALU_DEP_3) | instskip(NEXT) | instid1(VALU_DEP_3)
	v_cndmask_b32_e64 v86, v86, v88, s18
	v_cndmask_b32_e64 v87, v87, v88, s24
	s_delay_alu instid0(VALU_DEP_3) | instskip(NEXT) | instid1(VALU_DEP_3)
	v_cndmask_b32_e64 v88, v95, v92, s24
	v_cndmask_b32_e64 v86, v86, v96, s20
	;; [unrolled: 3-line block ×7, first 2 shown]
	s_delay_alu instid0(VALU_DEP_3) | instskip(SKIP_2) | instid1(VALU_DEP_2)
	v_cndmask_b32_e64 v88, v88, v94, s30
	v_cndmask_b32_e32 v66, v66, v97, vcc_lo
	v_cndmask_b32_e64 v97, v72, v99, s11
	v_perm_b32 v72, v70, v66, 0x5040100
	v_perm_b32 v70, v83, v103, 0x5040100
	v_cndmask_b32_e64 v103, v91, v85, s6
	v_cndmask_b32_e64 v85, v91, v85, s4
	;; [unrolled: 1-line block ×4, first 2 shown]
	v_lshrrev_b32_e32 v97, 16, v90
	v_cndmask_b32_e64 v91, v103, v92, s18
	v_cndmask_b32_e64 v85, v85, v92, s7
	v_cndmask_b32_e64 v66, v66, v90, s17
	s_mov_b32 s4, exec_lo
	v_cndmask_b32_e64 v83, v84, v97, s16
	v_cndmask_b32_e64 v91, v91, v98, s20
	;; [unrolled: 1-line block ×3, first 2 shown]
	v_lshrrev_b32_e32 v84, 16, v94
	v_cndmask_b32_e64 v66, v66, v97, s19
	v_cndmask_b32_e64 v90, v86, v97, s28
	;; [unrolled: 1-line block ×4, first 2 shown]
	v_dual_cndmask_b32 v86, v87, v97 :: v_dual_cndmask_b32 v87, v88, v84
	v_cndmask_b32_e64 v91, v69, v84, s16
	s_delay_alu instid0(VALU_DEP_4) | instskip(NEXT) | instid1(VALU_DEP_4)
	v_cndmask_b32_e64 v89, v89, v100, s23
	v_cndmask_b32_e64 v85, v85, v100, s15
	v_perm_b32 v69, v102, v101, 0x5040100
	v_perm_b32 v86, v87, v86, 0x5040100
	;; [unrolled: 1-line block ×3, first 2 shown]
	v_cndmask_b32_e64 v89, v89, v94, s25
	v_cndmask_b32_e64 v85, v85, v94, s17
	s_mul_i32 s9, s37, 15
	s_delay_alu instid0(VALU_DEP_2) | instskip(NEXT) | instid1(VALU_DEP_2)
	v_cndmask_b32_e64 v88, v89, v84, s28
	v_cndmask_b32_e64 v89, v85, v84, s19
	s_delay_alu instid0(VALU_DEP_2) | instskip(NEXT) | instid1(VALU_DEP_2)
	v_perm_b32 v85, v88, v90, 0x5040100
	v_perm_b32 v84, v89, v66, 0x5040100
	ds_store_b128 v76, v[69:72]
	ds_store_b128 v76, v[83:86] offset:1024
	v_cmpx_gt_u32_e32 15, v0
	s_cbranch_execz .LBB1676_78
; %bb.77:
	s_mul_i32 s5, s9, s34
	s_load_b128 s[16:19], s[0:1], 0x58
	v_add3_u32 v69, s5, s31, v65
	s_delay_alu instid0(VALU_DEP_1) | instskip(NEXT) | instid1(VALU_DEP_1)
	v_mad_u64_u32 v[65:66], null, v69, s36, s[14:15]
	v_ashrrev_i32_e32 v66, 31, v65
	s_delay_alu instid0(VALU_DEP_1) | instskip(SKIP_1) | instid1(VALU_DEP_1)
	v_lshlrev_b64 v[65:66], 2, v[65:66]
	s_waitcnt lgkmcnt(0)
	v_add_co_u32 v69, vcc_lo, s18, v65
	s_delay_alu instid0(VALU_DEP_2)
	v_add_co_ci_u32_e32 v70, vcc_lo, s19, v66, vcc_lo
	v_add_co_u32 v65, vcc_lo, s16, v65
	v_add_co_ci_u32_e32 v66, vcc_lo, s17, v66, vcc_lo
	global_store_b32 v[69:70], v67, off
	global_store_b32 v[65:66], v68, off
.LBB1676_78:
	s_or_b32 exec_lo, exec_lo, s4
	s_waitcnt lgkmcnt(0)
	s_waitcnt_vscnt null, 0x0
	s_barrier
	buffer_gl0_inv
	ds_load_b128 v[83:86], v80
	ds_load_b128 v[87:90], v80 offset:16
	ds_load_b128 v[95:98], v80 offset:2064
	;; [unrolled: 1-line block ×3, first 2 shown]
	v_mov_b32_e32 v65, 0
	ds_load_b128 v[103:106], v80 offset:4112
	ds_load_b128 v[99:102], v80 offset:4096
	;; [unrolled: 1-line block ×4, first 2 shown]
	v_mov_b32_e32 v66, v65
	v_mov_b32_e32 v67, v65
	;; [unrolled: 1-line block ×7, first 2 shown]
	s_waitcnt lgkmcnt(6)
	s_delay_alu instid0(VALU_DEP_1)
	v_wmma_f32_16x16x16_bf16 v[65:72], v[57:64], v[83:90], v[65:72]
	ds_load_b128 v[61:64], v80 offset:8208
	ds_load_b128 v[57:60], v80 offset:8192
	s_waitcnt lgkmcnt(6)
	v_wmma_f32_16x16x16_bf16 v[65:72], v[41:48], v[91:98], v[65:72]
	ds_load_b128 v[45:48], v80 offset:10256
	ds_load_b128 v[41:44], v80 offset:10240
	s_waitcnt lgkmcnt(6)
	;; [unrolled: 4-line block ×4, first 2 shown]
	v_wmma_f32_16x16x16_bf16 v[65:72], v[1:8], v[57:64], v[65:72]
	s_waitcnt lgkmcnt(4)
	s_delay_alu instid0(VALU_DEP_1) | instskip(SKIP_1) | instid1(VALU_DEP_1)
	v_wmma_f32_16x16x16_bf16 v[65:72], v[9:16], v[41:48], v[65:72]
	s_waitcnt lgkmcnt(2)
	v_wmma_f32_16x16x16_bf16 v[65:72], v[17:24], v[33:40], v[65:72]
	s_waitcnt lgkmcnt(0)
	s_delay_alu instid0(VALU_DEP_1) | instskip(NEXT) | instid1(VALU_DEP_1)
	v_wmma_f32_16x16x16_bf16 v[65:72], v[49:56], v[25:32], v[65:72]
	v_and_b32_e32 v1, 0x7f800000, v65
	s_delay_alu instid0(VALU_DEP_1) | instskip(SKIP_1) | instid1(SALU_CYCLE_1)
	v_cmp_ne_u32_e32 vcc_lo, 0x7f800000, v1
                                        ; implicit-def: $vgpr1
	s_and_saveexec_b32 s4, vcc_lo
	s_xor_b32 s4, exec_lo, s4
; %bb.79:
	v_bfe_u32 v1, v65, 16, 1
	s_delay_alu instid0(VALU_DEP_1)
	v_add3_u32 v1, v65, v1, 0x7fff
; %bb.80:
	s_and_not1_saveexec_b32 s4, s4
; %bb.81:
	v_and_b32_e32 v1, 0xffff, v65
	v_or_b32_e32 v2, 0x10000, v65
	s_delay_alu instid0(VALU_DEP_2) | instskip(NEXT) | instid1(VALU_DEP_2)
	v_cmp_eq_u32_e32 vcc_lo, 0, v1
	v_cndmask_b32_e32 v1, v2, v65, vcc_lo
; %bb.82:
	s_or_b32 exec_lo, exec_lo, s4
	v_and_b32_e32 v2, 0x7f800000, v66
	s_delay_alu instid0(VALU_DEP_1) | instskip(SKIP_1) | instid1(SALU_CYCLE_1)
	v_cmp_ne_u32_e32 vcc_lo, 0x7f800000, v2
                                        ; implicit-def: $vgpr2
	s_and_saveexec_b32 s4, vcc_lo
	s_xor_b32 s4, exec_lo, s4
; %bb.83:
	v_bfe_u32 v2, v66, 16, 1
	s_delay_alu instid0(VALU_DEP_1)
	v_add3_u32 v2, v66, v2, 0x7fff
; %bb.84:
	s_and_not1_saveexec_b32 s4, s4
; %bb.85:
	v_and_b32_e32 v2, 0xffff, v66
	v_or_b32_e32 v3, 0x10000, v66
	s_delay_alu instid0(VALU_DEP_2) | instskip(NEXT) | instid1(VALU_DEP_2)
	v_cmp_eq_u32_e32 vcc_lo, 0, v2
	v_cndmask_b32_e32 v2, v3, v66, vcc_lo
; %bb.86:
	s_or_b32 exec_lo, exec_lo, s4
	v_and_b32_e32 v3, 0x7f800000, v67
	s_delay_alu instid0(VALU_DEP_1) | instskip(SKIP_1) | instid1(SALU_CYCLE_1)
	v_cmp_ne_u32_e32 vcc_lo, 0x7f800000, v3
                                        ; implicit-def: $vgpr3
	s_and_saveexec_b32 s4, vcc_lo
	s_xor_b32 s4, exec_lo, s4
; %bb.87:
	v_bfe_u32 v3, v67, 16, 1
	s_delay_alu instid0(VALU_DEP_1)
	v_add3_u32 v3, v67, v3, 0x7fff
; %bb.88:
	s_and_not1_saveexec_b32 s4, s4
; %bb.89:
	v_and_b32_e32 v3, 0xffff, v67
	v_or_b32_e32 v4, 0x10000, v67
	s_delay_alu instid0(VALU_DEP_2) | instskip(NEXT) | instid1(VALU_DEP_2)
	v_cmp_eq_u32_e32 vcc_lo, 0, v3
	v_cndmask_b32_e32 v3, v4, v67, vcc_lo
; %bb.90:
	s_or_b32 exec_lo, exec_lo, s4
	v_and_b32_e32 v4, 0x7f800000, v68
	s_delay_alu instid0(VALU_DEP_1) | instskip(SKIP_1) | instid1(SALU_CYCLE_1)
	v_cmp_ne_u32_e32 vcc_lo, 0x7f800000, v4
                                        ; implicit-def: $vgpr4
	s_and_saveexec_b32 s4, vcc_lo
	s_xor_b32 s4, exec_lo, s4
; %bb.91:
	v_bfe_u32 v4, v68, 16, 1
	s_delay_alu instid0(VALU_DEP_1)
	v_add3_u32 v4, v68, v4, 0x7fff
; %bb.92:
	s_and_not1_saveexec_b32 s4, s4
; %bb.93:
	v_and_b32_e32 v4, 0xffff, v68
	v_or_b32_e32 v5, 0x10000, v68
	s_delay_alu instid0(VALU_DEP_2) | instskip(NEXT) | instid1(VALU_DEP_2)
	v_cmp_eq_u32_e32 vcc_lo, 0, v4
	v_cndmask_b32_e32 v4, v5, v68, vcc_lo
; %bb.94:
	s_or_b32 exec_lo, exec_lo, s4
	v_and_b32_e32 v5, 0x7f800000, v69
	s_delay_alu instid0(VALU_DEP_1) | instskip(SKIP_1) | instid1(SALU_CYCLE_1)
	v_cmp_ne_u32_e32 vcc_lo, 0x7f800000, v5
                                        ; implicit-def: $vgpr5
	s_and_saveexec_b32 s4, vcc_lo
	s_xor_b32 s4, exec_lo, s4
; %bb.95:
	v_bfe_u32 v5, v69, 16, 1
	s_delay_alu instid0(VALU_DEP_1)
	v_add3_u32 v5, v69, v5, 0x7fff
; %bb.96:
	s_and_not1_saveexec_b32 s4, s4
; %bb.97:
	v_and_b32_e32 v5, 0xffff, v69
	v_or_b32_e32 v6, 0x10000, v69
	s_delay_alu instid0(VALU_DEP_2) | instskip(NEXT) | instid1(VALU_DEP_2)
	v_cmp_eq_u32_e32 vcc_lo, 0, v5
	v_cndmask_b32_e32 v5, v6, v69, vcc_lo
; %bb.98:
	s_or_b32 exec_lo, exec_lo, s4
	v_and_b32_e32 v6, 0x7f800000, v70
	s_delay_alu instid0(VALU_DEP_1) | instskip(SKIP_1) | instid1(SALU_CYCLE_1)
	v_cmp_ne_u32_e32 vcc_lo, 0x7f800000, v6
                                        ; implicit-def: $vgpr6
	s_and_saveexec_b32 s4, vcc_lo
	s_xor_b32 s4, exec_lo, s4
; %bb.99:
	v_bfe_u32 v6, v70, 16, 1
	s_delay_alu instid0(VALU_DEP_1)
	v_add3_u32 v6, v70, v6, 0x7fff
; %bb.100:
	s_and_not1_saveexec_b32 s4, s4
; %bb.101:
	v_and_b32_e32 v6, 0xffff, v70
	v_or_b32_e32 v7, 0x10000, v70
	s_delay_alu instid0(VALU_DEP_2) | instskip(NEXT) | instid1(VALU_DEP_2)
	v_cmp_eq_u32_e32 vcc_lo, 0, v6
	v_cndmask_b32_e32 v6, v7, v70, vcc_lo
; %bb.102:
	s_or_b32 exec_lo, exec_lo, s4
	v_and_b32_e32 v7, 0x7f800000, v71
	s_delay_alu instid0(VALU_DEP_1) | instskip(SKIP_1) | instid1(SALU_CYCLE_1)
	v_cmp_ne_u32_e32 vcc_lo, 0x7f800000, v7
                                        ; implicit-def: $vgpr7
	s_and_saveexec_b32 s4, vcc_lo
	s_xor_b32 s4, exec_lo, s4
; %bb.103:
	v_bfe_u32 v7, v71, 16, 1
	s_delay_alu instid0(VALU_DEP_1)
	v_add3_u32 v7, v71, v7, 0x7fff
; %bb.104:
	s_and_not1_saveexec_b32 s4, s4
; %bb.105:
	v_and_b32_e32 v7, 0xffff, v71
	v_or_b32_e32 v8, 0x10000, v71
	s_delay_alu instid0(VALU_DEP_2) | instskip(NEXT) | instid1(VALU_DEP_2)
	v_cmp_eq_u32_e32 vcc_lo, 0, v7
	v_cndmask_b32_e32 v7, v8, v71, vcc_lo
; %bb.106:
	s_or_b32 exec_lo, exec_lo, s4
	v_and_b32_e32 v8, 0x7f800000, v72
	s_delay_alu instid0(VALU_DEP_1) | instskip(SKIP_1) | instid1(SALU_CYCLE_1)
	v_cmp_ne_u32_e32 vcc_lo, 0x7f800000, v8
                                        ; implicit-def: $vgpr8
	s_and_saveexec_b32 s4, vcc_lo
	s_xor_b32 s4, exec_lo, s4
; %bb.107:
	v_bfe_u32 v8, v72, 16, 1
	s_delay_alu instid0(VALU_DEP_1)
	v_add3_u32 v8, v72, v8, 0x7fff
                                        ; implicit-def: $vgpr65_vgpr66_vgpr67_vgpr68_vgpr69_vgpr70_vgpr71_vgpr72
; %bb.108:
	s_and_not1_saveexec_b32 s4, s4
; %bb.109:
	v_and_b32_e32 v8, 0xffff, v72
	v_or_b32_e32 v9, 0x10000, v72
	s_delay_alu instid0(VALU_DEP_2) | instskip(NEXT) | instid1(VALU_DEP_2)
	v_cmp_eq_u32_e32 vcc_lo, 0, v8
	v_cndmask_b32_e32 v8, v9, v72, vcc_lo
; %bb.110:
	s_or_b32 exec_lo, exec_lo, s4
	s_delay_alu instid0(VALU_DEP_1)
	v_perm_b32 v7, v8, v7, 0x7060302
	v_perm_b32 v6, v6, v5, 0x7060302
	v_perm_b32 v5, v4, v3, 0x7060302
	v_perm_b32 v4, v2, v1, 0x7060302
	s_barrier
	buffer_gl0_inv
	v_cmp_eq_u32_e32 vcc_lo, 1, v78
	ds_store_b128 v76, v[4:7]
	s_waitcnt lgkmcnt(0)
	s_barrier
	buffer_gl0_inv
	ds_load_b128 v[1:4], v82
	ds_load_b128 v[5:8], v82 offset:16
	v_cmp_eq_u32_e64 s4, 1, v79
	v_cmp_eq_u32_e64 s5, 2, v78
	v_cmp_eq_u32_e64 s6, 3, v78
	v_cmp_eq_u32_e64 s8, 2, v77
	v_cmp_eq_u32_e64 s7, 7, v79
	s_waitcnt lgkmcnt(1)
	v_lshrrev_b32_e32 v9, 16, v1
	s_waitcnt lgkmcnt(0)
	v_lshrrev_b32_e32 v13, 16, v5
	v_lshrrev_b32_e32 v10, 16, v2
	;; [unrolled: 1-line block ×4, first 2 shown]
	v_cndmask_b32_e64 v19, v1, v9, s4
	v_cndmask_b32_e32 v18, v5, v13, vcc_lo
	v_cndmask_b32_e64 v20, v5, v13, s4
	v_cndmask_b32_e32 v17, v1, v9, vcc_lo
	v_cmp_eq_u32_e32 vcc_lo, 2, v79
	v_lshrrev_b32_e32 v15, 16, v7
	v_cmp_eq_u32_e64 s4, 1, v77
	v_lshrrev_b32_e32 v12, 16, v4
	v_lshrrev_b32_e32 v16, 16, v8
	v_cndmask_b32_e32 v20, v20, v6, vcc_lo
	v_cndmask_b32_e64 v17, v17, v2, s5
	v_cndmask_b32_e32 v19, v19, v2, vcc_lo
	v_cndmask_b32_e64 v18, v18, v6, s5
	v_cmp_eq_u32_e32 vcc_lo, 4, v78
	v_cmp_eq_u32_e64 s5, 3, v79
	v_cndmask_b32_e64 v17, v17, v10, s6
	v_cndmask_b32_e64 v21, v1, v9, s4
	;; [unrolled: 1-line block ×5, first 2 shown]
	v_cndmask_b32_e32 v17, v17, v3, vcc_lo
	v_cndmask_b32_e64 v20, v20, v14, s5
	v_cndmask_b32_e32 v18, v18, v7, vcc_lo
	v_cmp_eq_u32_e32 vcc_lo, 4, v79
	v_cmp_eq_u32_e64 s5, 5, v79
	v_cmp_eq_u32_e64 s4, 2, v81
	v_cndmask_b32_e64 v21, v21, v2, s8
	v_cmp_eq_u32_e64 s6, 5, v78
	v_cndmask_b32_e32 v19, v19, v3, vcc_lo
	v_cndmask_b32_e32 v20, v20, v7, vcc_lo
	v_cmp_eq_u32_e32 vcc_lo, 6, v79
	s_delay_alu instid0(VALU_DEP_4) | instskip(NEXT) | instid1(VALU_DEP_4)
	v_cndmask_b32_e64 v17, v17, v11, s6
	v_cndmask_b32_e64 v19, v19, v11, s5
	s_delay_alu instid0(VALU_DEP_4) | instskip(SKIP_1) | instid1(VALU_DEP_3)
	v_cndmask_b32_e64 v20, v20, v15, s5
	v_cmp_eq_u32_e64 s5, 1, v81
	v_cndmask_b32_e32 v19, v19, v4, vcc_lo
	v_cndmask_b32_e64 v18, v18, v15, s6
	s_delay_alu instid0(VALU_DEP_3)
	v_cndmask_b32_e64 v1, v1, v9, s5
	v_cndmask_b32_e64 v5, v5, v13, s5
	v_cmp_eq_u32_e64 s5, 3, v77
	v_cndmask_b32_e64 v13, v22, v6, s8
	v_cmp_eq_u32_e64 s8, 3, v81
	v_cndmask_b32_e64 v1, v1, v2, s4
	v_cndmask_b32_e64 v2, v5, v6, s4
	;; [unrolled: 1-line block ×3, first 2 shown]
	v_cmp_eq_u32_e64 s4, 4, v77
	v_cndmask_b32_e64 v6, v13, v14, s5
	v_cndmask_b32_e64 v1, v1, v10, s8
	v_cmp_eq_u32_e64 s5, 4, v81
	v_cndmask_b32_e64 v2, v2, v14, s8
	v_cndmask_b32_e64 v5, v9, v3, s4
	;; [unrolled: 3-line block ×3, first 2 shown]
	v_cndmask_b32_e64 v2, v2, v7, s5
	v_cmp_eq_u32_e64 s4, 5, v81
	v_cmp_eq_u32_e64 s6, 6, v78
	v_cndmask_b32_e64 v5, v5, v11, s8
	v_cmp_eq_u32_e64 s5, 6, v77
	v_cndmask_b32_e64 v3, v6, v15, s8
	v_cndmask_b32_e64 v1, v1, v11, s4
	v_cmp_eq_u32_e64 s8, 6, v81
	v_cndmask_b32_e64 v2, v2, v15, s4
	v_cndmask_b32_e64 v17, v17, v4, s6
	v_cndmask_b32_e64 v18, v18, v8, s6
	v_cmp_eq_u32_e64 s6, 7, v78
	v_cndmask_b32_e64 v5, v5, v4, s5
	;; [unrolled: 4-line block ×3, first 2 shown]
	v_cmp_eq_u32_e64 s5, 7, v77
	v_cndmask_b32_e32 v4, v20, v8, vcc_lo
	v_cndmask_b32_e64 v17, v17, v12, s6
	v_cndmask_b32_e64 v19, v19, v12, s7
	;; [unrolled: 1-line block ×8, first 2 shown]
	v_cmp_gt_u32_e32 vcc_lo, 32, v0
	v_perm_b32 v4, v2, v1, 0x5040100
	v_perm_b32 v3, v3, v5, 0x5040100
	;; [unrolled: 1-line block ×4, first 2 shown]
	s_and_b32 s2, vcc_lo, s2
	ds_store_b128 v76, v[1:4]
	s_waitcnt lgkmcnt(0)
	s_barrier
	buffer_gl0_inv
	s_and_saveexec_b32 s4, s2
	s_cbranch_execz .LBB1676_2
; %bb.111:
	s_load_b64 s[4:5], s[0:1], 0x68
	v_add_nc_u32_e32 v20, s31, v74
	v_lshlrev_b32_e32 v0, 10, v0
	v_lshlrev_b32_e32 v1, 4, v75
	s_lshl_b32 s0, s36, 6
	s_delay_alu instid0(SALU_CYCLE_1)
	s_mul_i32 s1, s0, s34
	v_add_nc_u32_e32 v2, 2, v20
	s_mul_i32 s6, s1, s9
	v_and_or_b32 v0, 0x3800, v0, v1
	v_mul_lo_u32 v1, v20, s0
	s_ashr_i32 s7, s6, 31
	v_mul_lo_u32 v11, v2, s0
	s_lshl_b64 s[6:7], s[6:7], 1
	v_add_nc_u32_e32 v3, 4, v20
	v_lshl_or_b32 v21, v74, 6, v0
	v_add_nc_u32_e32 v16, 6, v20
	v_ashrrev_i32_e32 v2, 31, v1
	s_delay_alu instid0(VALU_DEP_4)
	v_mul_lo_u32 v13, v3, s0
	s_waitcnt lgkmcnt(0)
	s_add_u32 s1, s4, s6
	s_addc_u32 s2, s5, s7
	s_lshl_b32 s4, s14, 6
	ds_load_b128 v[3:6], v21
	ds_load_b128 v[7:10], v21 offset:128
	s_ashr_i32 s5, s4, 31
	v_ashrrev_i32_e32 v12, 31, v11
	s_lshl_b64 s[4:5], s[4:5], 1
	v_lshlrev_b64 v[14:15], 1, v[1:2]
	s_add_u32 s1, s1, s4
	s_addc_u32 s2, s2, s5
	v_add_co_u32 v1, s1, s1, v73
	s_delay_alu instid0(VALU_DEP_1) | instskip(SKIP_1) | instid1(VALU_DEP_3)
	v_add_co_ci_u32_e64 v2, null, s2, 0, s1
	v_lshlrev_b64 v[11:12], 1, v[11:12]
	v_add_co_u32 v18, vcc_lo, v1, v14
	v_mul_lo_u32 v16, v16, s0
	s_delay_alu instid0(VALU_DEP_4) | instskip(NEXT) | instid1(VALU_DEP_4)
	v_add_co_ci_u32_e32 v19, vcc_lo, v2, v15, vcc_lo
	v_add_co_u32 v11, vcc_lo, v1, v11
	v_ashrrev_i32_e32 v14, 31, v13
	v_add_co_ci_u32_e32 v12, vcc_lo, v2, v12, vcc_lo
	v_add_nc_u32_e32 v15, 8, v20
	v_ashrrev_i32_e32 v17, 31, v16
	s_waitcnt lgkmcnt(1)
	global_store_b128 v[18:19], v[3:6], off
	v_lshlrev_b64 v[3:4], 1, v[13:14]
	s_waitcnt lgkmcnt(0)
	global_store_b128 v[11:12], v[7:10], off
	v_mul_lo_u32 v11, v15, s0
	v_add_nc_u32_e32 v7, 10, v20
	v_lshlrev_b64 v[5:6], 1, v[16:17]
	v_add_co_u32 v23, vcc_lo, v1, v3
	v_add_nc_u32_e32 v3, 12, v20
	s_delay_alu instid0(VALU_DEP_4)
	v_mul_lo_u32 v25, v7, s0
	v_ashrrev_i32_e32 v12, 31, v11
	v_add_co_ci_u32_e32 v24, vcc_lo, v2, v4, vcc_lo
	v_add_co_u32 v27, vcc_lo, v1, v5
	v_mul_lo_u32 v29, v3, s0
	v_add_co_ci_u32_e32 v28, vcc_lo, v2, v6, vcc_lo
	ds_load_b128 v[3:6], v21 offset:256
	ds_load_b128 v[7:10], v21 offset:384
	v_lshlrev_b64 v[31:32], 1, v[11:12]
	ds_load_b128 v[11:14], v21 offset:512
	ds_load_b128 v[15:18], v21 offset:640
	;; [unrolled: 1-line block ×3, first 2 shown]
	v_ashrrev_i32_e32 v26, 31, v25
	v_ashrrev_i32_e32 v30, 31, v29
	v_add_co_u32 v31, vcc_lo, v1, v31
	s_delay_alu instid0(VALU_DEP_3) | instskip(NEXT) | instid1(VALU_DEP_3)
	v_lshlrev_b64 v[25:26], 1, v[25:26]
	v_lshlrev_b64 v[29:30], 1, v[29:30]
	v_add_co_ci_u32_e32 v32, vcc_lo, v2, v32, vcc_lo
	s_delay_alu instid0(VALU_DEP_3) | instskip(NEXT) | instid1(VALU_DEP_4)
	v_add_co_u32 v25, vcc_lo, v1, v25
	v_add_co_ci_u32_e32 v26, vcc_lo, v2, v26, vcc_lo
	s_delay_alu instid0(VALU_DEP_4)
	v_add_co_u32 v29, vcc_lo, v1, v29
	v_add_co_ci_u32_e32 v30, vcc_lo, v2, v30, vcc_lo
	s_waitcnt lgkmcnt(4)
	global_store_b128 v[23:24], v[3:6], off
	s_waitcnt lgkmcnt(3)
	global_store_b128 v[27:28], v[7:10], off
	s_waitcnt lgkmcnt(2)
	global_store_b128 v[31:32], v[11:14], off
	s_waitcnt lgkmcnt(1)
	global_store_b128 v[25:26], v[15:18], off
	s_waitcnt lgkmcnt(0)
	global_store_b128 v[29:30], v[19:22], off
	s_and_b32 exec_lo, exec_lo, s3
	s_cbranch_execz .LBB1676_2
; %bb.112:
	ds_load_b128 v[3:6], v0 offset:896
	s_add_i32 s1, s31, 14
	s_delay_alu instid0(SALU_CYCLE_1) | instskip(NEXT) | instid1(SALU_CYCLE_1)
	s_mul_i32 s0, s1, s0
	s_ashr_i32 s1, s0, 31
	s_delay_alu instid0(SALU_CYCLE_1) | instskip(NEXT) | instid1(SALU_CYCLE_1)
	s_lshl_b64 s[0:1], s[0:1], 1
	v_add_co_u32 v0, vcc_lo, v1, s0
	v_add_co_ci_u32_e32 v1, vcc_lo, s1, v2, vcc_lo
	s_waitcnt lgkmcnt(0)
	global_store_b128 v[0:1], v[3:6], off
	s_nop 0
	s_sendmsg sendmsg(MSG_DEALLOC_VGPRS)
	s_endpgm
	.section	.rodata,"a",@progbits
	.p2align	6, 0x0
	.amdhsa_kernel _Z39paged_attention_ll4mi_QKV_mfma16_kernelI14__hip_bfloat16hLN4vllm18Fp8KVCacheDataTypeE1EhLi16ELi64ELi256ELb1ELi15EL8MFMAType0EEvPKT_PKT0_S9_ifPKiSB_SB_iPKfiiiPfSE_PS4_PT2_iSD_SD_
		.amdhsa_group_segment_fixed_size 17472
		.amdhsa_private_segment_fixed_size 0
		.amdhsa_kernarg_size 400
		.amdhsa_user_sgpr_count 13
		.amdhsa_user_sgpr_dispatch_ptr 0
		.amdhsa_user_sgpr_queue_ptr 0
		.amdhsa_user_sgpr_kernarg_segment_ptr 1
		.amdhsa_user_sgpr_dispatch_id 0
		.amdhsa_user_sgpr_private_segment_size 0
		.amdhsa_wavefront_size32 1
		.amdhsa_uses_dynamic_stack 0
		.amdhsa_enable_private_segment 0
		.amdhsa_system_sgpr_workgroup_id_x 1
		.amdhsa_system_sgpr_workgroup_id_y 1
		.amdhsa_system_sgpr_workgroup_id_z 1
		.amdhsa_system_sgpr_workgroup_info 0
		.amdhsa_system_vgpr_workitem_id 0
		.amdhsa_next_free_vgpr 124
		.amdhsa_next_free_sgpr 40
		.amdhsa_reserve_vcc 1
		.amdhsa_float_round_mode_32 0
		.amdhsa_float_round_mode_16_64 0
		.amdhsa_float_denorm_mode_32 3
		.amdhsa_float_denorm_mode_16_64 3
		.amdhsa_dx10_clamp 1
		.amdhsa_ieee_mode 1
		.amdhsa_fp16_overflow 0
		.amdhsa_workgroup_processor_mode 1
		.amdhsa_memory_ordered 1
		.amdhsa_forward_progress 0
		.amdhsa_shared_vgpr_count 0
		.amdhsa_exception_fp_ieee_invalid_op 0
		.amdhsa_exception_fp_denorm_src 0
		.amdhsa_exception_fp_ieee_div_zero 0
		.amdhsa_exception_fp_ieee_overflow 0
		.amdhsa_exception_fp_ieee_underflow 0
		.amdhsa_exception_fp_ieee_inexact 0
		.amdhsa_exception_int_div_zero 0
	.end_amdhsa_kernel
	.section	.text._Z39paged_attention_ll4mi_QKV_mfma16_kernelI14__hip_bfloat16hLN4vllm18Fp8KVCacheDataTypeE1EhLi16ELi64ELi256ELb1ELi15EL8MFMAType0EEvPKT_PKT0_S9_ifPKiSB_SB_iPKfiiiPfSE_PS4_PT2_iSD_SD_,"axG",@progbits,_Z39paged_attention_ll4mi_QKV_mfma16_kernelI14__hip_bfloat16hLN4vllm18Fp8KVCacheDataTypeE1EhLi16ELi64ELi256ELb1ELi15EL8MFMAType0EEvPKT_PKT0_S9_ifPKiSB_SB_iPKfiiiPfSE_PS4_PT2_iSD_SD_,comdat
.Lfunc_end1676:
	.size	_Z39paged_attention_ll4mi_QKV_mfma16_kernelI14__hip_bfloat16hLN4vllm18Fp8KVCacheDataTypeE1EhLi16ELi64ELi256ELb1ELi15EL8MFMAType0EEvPKT_PKT0_S9_ifPKiSB_SB_iPKfiiiPfSE_PS4_PT2_iSD_SD_, .Lfunc_end1676-_Z39paged_attention_ll4mi_QKV_mfma16_kernelI14__hip_bfloat16hLN4vllm18Fp8KVCacheDataTypeE1EhLi16ELi64ELi256ELb1ELi15EL8MFMAType0EEvPKT_PKT0_S9_ifPKiSB_SB_iPKfiiiPfSE_PS4_PT2_iSD_SD_
                                        ; -- End function
	.section	.AMDGPU.csdata,"",@progbits
; Kernel info:
; codeLenInByte = 9008
; NumSgprs: 42
; NumVgprs: 124
; ScratchSize: 0
; MemoryBound: 0
; FloatMode: 240
; IeeeMode: 1
; LDSByteSize: 17472 bytes/workgroup (compile time only)
; SGPRBlocks: 5
; VGPRBlocks: 15
; NumSGPRsForWavesPerEU: 42
; NumVGPRsForWavesPerEU: 124
; Occupancy: 10
; WaveLimiterHint : 1
; COMPUTE_PGM_RSRC2:SCRATCH_EN: 0
; COMPUTE_PGM_RSRC2:USER_SGPR: 13
; COMPUTE_PGM_RSRC2:TRAP_HANDLER: 0
; COMPUTE_PGM_RSRC2:TGID_X_EN: 1
; COMPUTE_PGM_RSRC2:TGID_Y_EN: 1
; COMPUTE_PGM_RSRC2:TGID_Z_EN: 1
; COMPUTE_PGM_RSRC2:TIDIG_COMP_CNT: 0
	.section	.text._Z39paged_attention_ll4mi_QKV_mfma16_kernelI14__hip_bfloat16hLN4vllm18Fp8KVCacheDataTypeE1EhLi16ELi64ELi256ELb1ELi16EL8MFMAType0EEvPKT_PKT0_S9_ifPKiSB_SB_iPKfiiiPfSE_PS4_PT2_iSD_SD_,"axG",@progbits,_Z39paged_attention_ll4mi_QKV_mfma16_kernelI14__hip_bfloat16hLN4vllm18Fp8KVCacheDataTypeE1EhLi16ELi64ELi256ELb1ELi16EL8MFMAType0EEvPKT_PKT0_S9_ifPKiSB_SB_iPKfiiiPfSE_PS4_PT2_iSD_SD_,comdat
	.protected	_Z39paged_attention_ll4mi_QKV_mfma16_kernelI14__hip_bfloat16hLN4vllm18Fp8KVCacheDataTypeE1EhLi16ELi64ELi256ELb1ELi16EL8MFMAType0EEvPKT_PKT0_S9_ifPKiSB_SB_iPKfiiiPfSE_PS4_PT2_iSD_SD_ ; -- Begin function _Z39paged_attention_ll4mi_QKV_mfma16_kernelI14__hip_bfloat16hLN4vllm18Fp8KVCacheDataTypeE1EhLi16ELi64ELi256ELb1ELi16EL8MFMAType0EEvPKT_PKT0_S9_ifPKiSB_SB_iPKfiiiPfSE_PS4_PT2_iSD_SD_
	.globl	_Z39paged_attention_ll4mi_QKV_mfma16_kernelI14__hip_bfloat16hLN4vllm18Fp8KVCacheDataTypeE1EhLi16ELi64ELi256ELb1ELi16EL8MFMAType0EEvPKT_PKT0_S9_ifPKiSB_SB_iPKfiiiPfSE_PS4_PT2_iSD_SD_
	.p2align	8
	.type	_Z39paged_attention_ll4mi_QKV_mfma16_kernelI14__hip_bfloat16hLN4vllm18Fp8KVCacheDataTypeE1EhLi16ELi64ELi256ELb1ELi16EL8MFMAType0EEvPKT_PKT0_S9_ifPKiSB_SB_iPKfiiiPfSE_PS4_PT2_iSD_SD_,@function
_Z39paged_attention_ll4mi_QKV_mfma16_kernelI14__hip_bfloat16hLN4vllm18Fp8KVCacheDataTypeE1EhLi16ELi64ELi256ELb1ELi16EL8MFMAType0EEvPKT_PKT0_S9_ifPKiSB_SB_iPKfiiiPfSE_PS4_PT2_iSD_SD_: ; @_Z39paged_attention_ll4mi_QKV_mfma16_kernelI14__hip_bfloat16hLN4vllm18Fp8KVCacheDataTypeE1EhLi16ELi64ELi256ELb1ELi16EL8MFMAType0EEvPKT_PKT0_S9_ifPKiSB_SB_iPKfiiiPfSE_PS4_PT2_iSD_SD_
; %bb.0:
	s_load_b64 s[2:3], s[0:1], 0x30
	s_mov_b32 s30, s13
	s_waitcnt lgkmcnt(0)
	s_cmp_lg_u64 s[2:3], 0
	s_cselect_b32 s8, -1, 0
	s_ashr_i32 s31, s13, 31
	s_cmp_eq_u64 s[2:3], 0
	s_cbranch_scc1 .LBB1677_3
; %bb.1:
	s_lshl_b64 s[4:5], s[30:31], 2
	s_delay_alu instid0(SALU_CYCLE_1) | instskip(SKIP_4) | instid1(SALU_CYCLE_1)
	s_add_u32 s4, s2, s4
	s_addc_u32 s5, s3, s5
	s_load_b64 s[4:5], s[4:5], 0x0
	s_waitcnt lgkmcnt(0)
	s_sub_i32 s4, s5, s4
	s_cmp_eq_u32 s4, 1
	s_cselect_b32 s4, -1, 0
	s_delay_alu instid0(SALU_CYCLE_1)
	s_and_not1_b32 vcc_lo, exec_lo, s4
	s_cbranch_vccz .LBB1677_4
.LBB1677_2:
	s_endpgm
.LBB1677_3:
.LBB1677_4:
	s_load_b64 s[4:5], s[0:1], 0x28
	s_lshl_b64 s[6:7], s[30:31], 2
	s_waitcnt lgkmcnt(0)
	s_add_u32 s4, s4, s6
	s_addc_u32 s5, s5, s7
	s_lshl_b32 s12, s14, 8
	s_load_b32 s24, s[4:5], 0x0
	s_waitcnt lgkmcnt(0)
	s_cmp_ge_i32 s12, s24
	s_cbranch_scc1 .LBB1677_2
; %bb.5:
	s_clause 0x1
	s_load_b128 s[20:23], s[0:1], 0x8
	s_load_b64 s[4:5], s[0:1], 0x20
	s_and_not1_b32 vcc_lo, exec_lo, s8
	s_cbranch_vccnz .LBB1677_7
; %bb.6:
	s_add_u32 s2, s2, s6
	s_addc_u32 s3, s3, s7
	s_load_b32 s3, s[2:3], 0x0
	s_branch .LBB1677_8
.LBB1677_7:
	s_mov_b32 s3, s30
.LBB1677_8:
	s_load_b128 s[16:19], s[0:1], 0x48
	v_and_b32_e32 v66, 15, v0
	v_cmp_gt_u32_e32 vcc_lo, 0x100, v0
	v_lshrrev_b32_e32 v65, 5, v0
	v_and_b32_e32 v67, 31, v0
	v_and_b32_e32 v75, 1, v0
	v_lshlrev_b32_e32 v1, 3, v66
	v_cmp_gt_u32_e64 s2, 8, v66
	v_bfe_u32 v74, v0, 4, 1
	s_lshl_b32 s31, s15, 4
	s_delay_alu instid0(VALU_DEP_3) | instskip(NEXT) | instid1(VALU_DEP_3)
	v_lshlrev_b32_e32 v73, 1, v1
	s_and_b32 s7, vcc_lo, s2
	s_delay_alu instid0(SALU_CYCLE_1)
	s_and_saveexec_b32 s6, s7
	s_cbranch_execz .LBB1677_10
; %bb.9:
	v_lshl_or_b32 v5, v65, 1, v74
	s_load_b64 s[8:9], s[0:1], 0x0
	s_waitcnt lgkmcnt(0)
	s_mul_hi_i32 s11, s3, s16
	s_mul_i32 s10, s3, s16
	v_lshlrev_b32_e32 v6, 10, v66
	v_or_b32_e32 v1, s31, v5
	s_lshl_b64 s[10:11], s[10:11], 1
	v_lshlrev_b32_e32 v5, 6, v5
	v_lshlrev_b32_e32 v7, 10, v75
	v_and_b32_e32 v6, 0x3800, v6
	v_lshlrev_b32_e32 v1, 6, v1
	s_delay_alu instid0(VALU_DEP_2) | instskip(NEXT) | instid1(VALU_DEP_2)
	v_or3_b32 v5, v6, v7, v5
	v_ashrrev_i32_e32 v2, 31, v1
	s_delay_alu instid0(VALU_DEP_1) | instskip(SKIP_2) | instid1(VALU_DEP_1)
	v_lshlrev_b64 v[1:2], 1, v[1:2]
	s_add_u32 s3, s8, s10
	s_addc_u32 s7, s9, s11
	v_add_co_u32 v1, vcc_lo, s3, v1
	s_delay_alu instid0(VALU_DEP_2) | instskip(NEXT) | instid1(VALU_DEP_2)
	v_add_co_ci_u32_e32 v2, vcc_lo, s7, v2, vcc_lo
	v_add_co_u32 v1, vcc_lo, v1, v73
	s_delay_alu instid0(VALU_DEP_2)
	v_add_co_ci_u32_e32 v2, vcc_lo, 0, v2, vcc_lo
	global_load_b128 v[1:4], v[1:2], off
	s_waitcnt vmcnt(0)
	ds_store_b128 v5, v[1:4]
.LBB1677_10:
	s_or_b32 exec_lo, exec_lo, s6
	v_and_b32_e32 v1, 0xef, v0
	s_waitcnt lgkmcnt(0)
	s_add_i32 s3, s24, 15
	s_clause 0x1
	s_load_b32 s6, s[0:1], 0x38
	s_load_b32 s19, s[0:1], 0x1c
	s_ashr_i32 s7, s3, 31
	v_add_nc_u32_e32 v1, s12, v1
	s_lshr_b32 s7, s7, 28
	s_waitcnt lgkmcnt(0)
	s_add_i32 s3, s3, s7
	s_barrier
	v_ashrrev_i32_e32 v2, 31, v1
	v_or_b32_e32 v3, 16, v1
	s_ashr_i32 s3, s3, 4
	v_cmp_gt_i32_e32 vcc_lo, s24, v1
	s_add_i32 s3, s3, -1
	v_lshrrev_b32_e32 v2, 28, v2
	buffer_gl0_inv
	s_mul_i32 s27, s15, s18
	v_add_nc_u32_e32 v4, v1, v2
	s_mul_i32 s6, s30, s6
	s_delay_alu instid0(SALU_CYCLE_1) | instskip(NEXT) | instid1(VALU_DEP_1)
	s_ashr_i32 s7, s6, 31
	v_ashrrev_i32_e32 v4, 4, v4
	v_add_nc_u32_e32 v2, v3, v2
	s_lshl_b64 s[6:7], s[6:7], 2
	s_delay_alu instid0(SALU_CYCLE_1) | instskip(NEXT) | instid1(VALU_DEP_2)
	s_add_u32 s26, s4, s6
	v_cndmask_b32_e32 v1, s3, v4, vcc_lo
	s_delay_alu instid0(VALU_DEP_2)
	v_ashrrev_i32_e32 v2, 4, v2
	v_cmp_gt_i32_e32 vcc_lo, s24, v3
	s_addc_u32 s25, s5, s7
	s_ashr_i32 s28, s27, 31
	s_add_u32 s13, s20, s27
	s_addc_u32 s15, s21, s28
	v_cndmask_b32_e32 v3, s3, v2, vcc_lo
	v_ashrrev_i32_e32 v2, 31, v1
	s_lshl_b32 s4, s14, 4
	s_delay_alu instid0(SALU_CYCLE_1) | instskip(NEXT) | instid1(VALU_DEP_2)
	s_ashr_i32 s5, s4, 31
	v_ashrrev_i32_e32 v4, 31, v3
	s_delay_alu instid0(VALU_DEP_2) | instskip(SKIP_1) | instid1(SALU_CYCLE_1)
	v_lshlrev_b64 v[1:2], 2, v[1:2]
	s_lshl_b64 s[4:5], s[4:5], 2
	s_add_u32 s4, s26, s4
	s_delay_alu instid0(VALU_DEP_2) | instskip(SKIP_1) | instid1(VALU_DEP_2)
	v_lshlrev_b64 v[3:4], 2, v[3:4]
	s_addc_u32 s5, s25, s5
	v_add_co_u32 v1, vcc_lo, s26, v1
	v_add_co_ci_u32_e32 v2, vcc_lo, s25, v2, vcc_lo
	s_delay_alu instid0(VALU_DEP_3) | instskip(NEXT) | instid1(VALU_DEP_4)
	v_add_co_u32 v3, vcc_lo, s26, v3
	v_add_co_ci_u32_e32 v4, vcc_lo, s25, v4, vcc_lo
	s_clause 0x1
	global_load_b32 v5, v[1:2], off
	global_load_b32 v7, v[3:4], off
	s_or_b32 s6, s12, 32
	v_lshlrev_b32_e32 v1, 4, v0
	s_ashr_i32 s7, s6, 4
	s_cmp_lt_i32 s6, s24
	s_cselect_b32 s6, s7, s3
	s_delay_alu instid0(VALU_DEP_1) | instskip(SKIP_1) | instid1(SALU_CYCLE_1)
	v_and_b32_e32 v1, 0xf0, v1
	s_ashr_i32 s7, s6, 31
	s_lshl_b64 s[6:7], s[6:7], 2
	s_delay_alu instid0(SALU_CYCLE_1)
	s_add_u32 s6, s26, s6
	s_addc_u32 s7, s25, s7
	s_or_b32 s8, s12, 64
	v_add_co_u32 v1, s13, s13, v1
	s_ashr_i32 s9, s8, 4
	s_cmp_lt_i32 s8, s24
	v_add_co_ci_u32_e64 v2, null, s15, 0, s13
	s_cselect_b32 s8, s9, s3
	s_delay_alu instid0(SALU_CYCLE_1) | instskip(NEXT) | instid1(SALU_CYCLE_1)
	s_ashr_i32 s9, s8, 31
	s_lshl_b64 s[8:9], s[8:9], 2
	s_delay_alu instid0(SALU_CYCLE_1) | instskip(SKIP_2) | instid1(SALU_CYCLE_1)
	s_add_u32 s8, s26, s8
	s_addc_u32 s9, s25, s9
	s_or_b32 s10, s12, 0x60
	s_ashr_i32 s11, s10, 4
	s_cmp_lt_i32 s10, s24
	s_cselect_b32 s10, s11, s3
	s_delay_alu instid0(SALU_CYCLE_1) | instskip(NEXT) | instid1(SALU_CYCLE_1)
	s_ashr_i32 s11, s10, 31
	s_lshl_b64 s[10:11], s[10:11], 2
	s_delay_alu instid0(SALU_CYCLE_1) | instskip(SKIP_2) | instid1(SALU_CYCLE_1)
	s_add_u32 s10, s26, s10
	s_addc_u32 s11, s25, s11
	s_or_b32 s16, s12, 0x80
	s_ashr_i32 s18, s16, 4
	s_cmp_lt_i32 s16, s24
	;; [unrolled: 10-line block ×3, first 2 shown]
	s_cselect_b32 s20, s18, s3
	s_delay_alu instid0(SALU_CYCLE_1) | instskip(NEXT) | instid1(SALU_CYCLE_1)
	s_ashr_i32 s21, s20, 31
	s_lshl_b64 s[20:21], s[20:21], 2
	s_delay_alu instid0(SALU_CYCLE_1)
	s_add_u32 s36, s26, s20
	s_addc_u32 s37, s25, s21
	s_clause 0x5
	s_load_b32 s21, s[4:5], 0x0
	s_load_b32 s13, s[6:7], 0x0
	;; [unrolled: 1-line block ×6, first 2 shown]
	s_or_b32 s6, s12, 0xc0
	s_mov_b32 s4, 0
	s_ashr_i32 s7, s6, 4
	s_cmp_lt_i32 s6, s24
	s_mov_b32 s5, s4
	s_cselect_b32 s10, s7, s3
	s_mov_b32 s6, s4
	s_ashr_i32 s11, s10, 31
	s_mov_b32 s7, s4
	s_lshl_b64 s[10:11], s[10:11], 2
	s_mov_b32 s8, s4
	s_add_u32 s34, s26, s10
	s_addc_u32 s35, s25, s11
	s_or_b32 s11, s12, 0xe0
	s_mov_b32 s9, s4
	s_ashr_i32 s29, s11, 4
	s_cmp_lt_i32 s11, s24
	s_mov_b32 s11, s4
	s_cselect_b32 s36, s29, s3
	s_mov_b32 s10, s4
	s_ashr_i32 s37, s36, 31
	v_mov_b32_e32 v108, s11
	v_mov_b32_e32 v102, s5
	v_dual_mov_b32 v105, s8 :: v_dual_lshlrev_b32 v76, 6, v66
	v_dual_mov_b32 v107, s10 :: v_dual_mov_b32 v106, s9
	v_dual_mov_b32 v104, s7 :: v_dual_mov_b32 v103, s6
	v_mov_b32_e32 v101, s4
	s_lshl_b64 s[4:5], s[36:37], 2
	s_delay_alu instid0(SALU_CYCLE_1)
	s_add_u32 s4, s26, s4
	s_addc_u32 s5, s25, s5
	s_add_u32 s6, s22, s27
	s_addc_u32 s7, s23, s28
	s_waitcnt vmcnt(1)
	v_mad_i64_i32 v[3:4], null, v5, s17, v[1:2]
	s_waitcnt vmcnt(0)
	v_mad_i64_i32 v[5:6], null, v7, s17, v[1:2]
	v_lshlrev_b32_e32 v1, 4, v66
	s_clause 0x7
	global_load_b128 v[49:52], v[3:4], off
	global_load_b128 v[53:56], v[3:4], off offset:256
	global_load_b128 v[77:80], v[5:6], off
	global_load_b128 v[81:84], v[5:6], off offset:256
	global_load_b128 v[85:88], v[3:4], off offset:512
	;; [unrolled: 1-line block ×5, first 2 shown]
	v_lshl_or_b32 v1, v65, 8, v1
	s_load_b32 s3, s[34:35], 0x0
	ds_load_b128 v[109:112], v76
	ds_load_b128 v[113:116], v76 offset:1024
	s_load_b32 s4, s[4:5], 0x0
	v_add_co_u32 v9, s6, s6, v1
	s_delay_alu instid0(VALU_DEP_1) | instskip(SKIP_1) | instid1(VALU_DEP_1)
	v_add_co_ci_u32_e64 v10, null, s7, 0, s6
	s_waitcnt lgkmcnt(0)
	v_mad_i64_i32 v[1:2], null, s21, s17, v[9:10]
	v_mad_i64_i32 v[3:4], null, s13, s17, v[9:10]
	;; [unrolled: 1-line block ×7, first 2 shown]
	s_clause 0x9
	global_load_b128 v[57:60], v[1:2], off
	global_load_b128 v[61:64], v[1:2], off offset:16
	global_load_b128 v[41:44], v[3:4], off
	global_load_b128 v[45:48], v[3:4], off offset:16
	;; [unrolled: 2-line block ×5, first 2 shown]
	v_mad_i64_i32 v[68:69], null, s4, s17, v[9:10]
	s_clause 0x3
	global_load_b128 v[9:12], v[13:14], off
	global_load_b128 v[13:16], v[13:14], off offset:16
	global_load_b128 v[17:20], v[21:22], off
	global_load_b128 v[21:24], v[21:22], off offset:16
	s_waitcnt vmcnt(20)
	v_wmma_f32_16x16x16_bf16 v[117:124], v[49:56], v[109:116], v[101:108]
	s_clause 0x1
	global_load_b128 v[49:52], v[68:69], off
	global_load_b128 v[53:56], v[68:69], off offset:16
	v_and_b32_e32 v68, 0xe0, v0
	v_mbcnt_lo_u32_b32 v69, -1, 0
	s_delay_alu instid0(VALU_DEP_2)
	v_add_nc_u32_e32 v68, s12, v68
	s_waitcnt vmcnt(20)
	v_wmma_f32_16x16x16_bf16 v[101:108], v[77:84], v[109:116], v[101:108]
	ds_load_b128 v[77:80], v76 offset:2048
	ds_load_b128 v[81:84], v76 offset:3072
	v_xor_b32_e32 v70, 16, v69
	s_waitcnt vmcnt(0) lgkmcnt(0)
	v_or_b32_e32 v68, v68, v74
	s_barrier
	buffer_gl0_inv
	v_cmp_gt_i32_e32 vcc_lo, 32, v70
	v_or_b32_e32 v71, 4, v68
	v_or_b32_e32 v72, 6, v68
	v_cmp_gt_i32_e64 s3, s24, v68
	v_or_b32_e32 v109, 8, v68
	s_delay_alu instid0(VALU_DEP_4) | instskip(NEXT) | instid1(VALU_DEP_4)
	v_cmp_gt_i32_e64 s4, s24, v71
	v_cmp_gt_i32_e64 s5, s24, v72
	s_delay_alu instid0(VALU_DEP_3)
	v_cmp_gt_i32_e64 s6, s24, v109
	v_wmma_f32_16x16x16_bf16 v[117:124], v[85:92], v[77:84], v[117:124]
	v_cndmask_b32_e32 v69, v69, v70, vcc_lo
	v_or_b32_e32 v70, 2, v68
	v_wmma_f32_16x16x16_bf16 v[101:108], v[93:100], v[77:84], v[101:108]
	v_or_b32_e32 v85, 10, v68
	v_dual_mul_f32 v84, s19, v120 :: v_dual_mul_f32 v83, s19, v121
	v_dual_mul_f32 v94, s19, v118 :: v_dual_mul_f32 v95, s19, v117
	s_delay_alu instid0(VALU_DEP_4) | instskip(SKIP_2) | instid1(VALU_DEP_4)
	v_mul_f32_e32 v98, s19, v106
	v_cmp_gt_i32_e32 vcc_lo, s24, v70
	v_dual_mul_f32 v93, s19, v119 :: v_dual_mul_f32 v96, s19, v108
	v_cndmask_b32_e64 v95, 0xff7fffff, v95, s3
	v_or_b32_e32 v86, 12, v68
	v_cndmask_b32_e32 v94, 0xff7fffff, v94, vcc_lo
	v_or_b32_e32 v87, 14, v68
	v_dual_mul_f32 v81, s19, v123 :: v_dual_mul_f32 v82, s19, v122
	v_cndmask_b32_e64 v93, 0xff7fffff, v93, s4
	v_cndmask_b32_e64 v72, 0xff7fffff, v84, s5
	v_max3_f32 v84, v95, 0xff7fffff, v94
	v_cmp_gt_i32_e64 s7, s24, v85
	v_or_b32_e32 v88, 16, v68
	v_or_b32_e32 v89, 18, v68
	v_mul_f32_e32 v80, s19, v124
	v_cndmask_b32_e64 v83, 0xff7fffff, v83, s6
	v_cndmask_b32_e64 v82, 0xff7fffff, v82, s7
	v_max3_f32 v72, v84, v93, v72
	v_cmp_gt_i32_e64 s8, s24, v86
	v_cmp_gt_i32_e64 s9, s24, v87
	v_or_b32_e32 v90, 20, v68
	v_or_b32_e32 v91, 22, v68
	;; [unrolled: 1-line block ×6, first 2 shown]
	v_dual_mul_f32 v68, s19, v102 :: v_dual_mul_f32 v71, s19, v101
	v_cndmask_b32_e64 v81, 0xff7fffff, v81, s8
	v_cndmask_b32_e64 v80, 0xff7fffff, v80, s9
	v_max3_f32 v72, v72, v83, v82
	v_cmp_gt_i32_e64 s10, s24, v88
	v_cmp_gt_i32_e64 s11, s24, v89
	v_dual_mul_f32 v97, s19, v107 :: v_dual_mul_f32 v100, s19, v104
	v_dual_mul_f32 v99, s19, v105 :: v_dual_mul_f32 v70, s19, v103
	s_delay_alu instid0(VALU_DEP_4) | instskip(NEXT) | instid1(VALU_DEP_4)
	v_cndmask_b32_e64 v71, 0xff7fffff, v71, s10
	v_cndmask_b32_e64 v68, 0xff7fffff, v68, s11
	v_max3_f32 v72, v72, v81, v80
	v_cmp_gt_i32_e64 s12, s24, v90
	v_cmp_gt_i32_e64 s13, s24, v91
	v_cmp_gt_i32_e64 s15, s24, v92
	v_cmp_gt_i32_e64 s16, s24, v77
	v_max3_f32 v68, v72, v71, v68
	v_cndmask_b32_e64 v70, 0xff7fffff, v70, s12
	v_cndmask_b32_e64 v80, 0xff7fffff, v100, s13
	v_cndmask_b32_e64 v71, 0xff7fffff, v99, s15
	v_cndmask_b32_e64 v72, 0xff7fffff, v98, s16
	v_cmp_gt_i32_e64 s17, s24, v78
	v_cmp_gt_i32_e64 s18, s24, v79
	v_max3_f32 v68, v68, v70, v80
	v_lshlrev_b32_e32 v90, 2, v69
	s_delay_alu instid0(VALU_DEP_4) | instskip(NEXT) | instid1(VALU_DEP_4)
	v_cndmask_b32_e64 v70, 0xff7fffff, v97, s17
	v_cndmask_b32_e64 v77, 0xff7fffff, v96, s18
	s_delay_alu instid0(VALU_DEP_4) | instskip(NEXT) | instid1(VALU_DEP_1)
	v_max3_f32 v68, v68, v71, v72
	v_max3_f32 v68, v68, v70, v77
	ds_bpermute_b32 v69, v90, v68
	s_waitcnt lgkmcnt(0)
	v_max_f32_e32 v69, v69, v69
	s_delay_alu instid0(VALU_DEP_1) | instskip(NEXT) | instid1(VALU_DEP_1)
	v_max_f32_e32 v81, v68, v69
	v_fma_f32 v68, s19, v117, -v81
	s_delay_alu instid0(VALU_DEP_1)
	v_mul_f32_e32 v68, 0x3fb8aa3b, v68
	v_fma_f32 v69, s19, v118, -v81
	v_fma_f32 v71, s19, v120, -v81
	v_fma_f32 v72, s19, v121, -v81
	v_fma_f32 v70, s19, v119, -v81
	v_exp_f32_e32 v68, v68
	v_mul_f32_e32 v69, 0x3fb8aa3b, v69
	s_delay_alu instid0(VALU_DEP_3) | instskip(NEXT) | instid1(VALU_DEP_3)
	v_dual_mul_f32 v71, 0x3fb8aa3b, v71 :: v_dual_mul_f32 v72, 0x3fb8aa3b, v72
	v_mul_f32_e32 v70, 0x3fb8aa3b, v70
	v_fma_f32 v78, s19, v123, -v81
	s_delay_alu instid0(VALU_DEP_4) | instskip(NEXT) | instid1(VALU_DEP_3)
	v_exp_f32_e32 v69, v69
	v_exp_f32_e32 v71, v71
	;; [unrolled: 1-line block ×4, first 2 shown]
	v_cndmask_b32_e64 v82, 0, v68, s3
	v_fma_f32 v68, s19, v122, -v81
	v_mul_f32_e32 v78, 0x3fb8aa3b, v78
	v_fma_f32 v80, s19, v106, -v81
	s_mov_b32 s3, exec_lo
	s_delay_alu instid0(VALU_DEP_3) | instskip(NEXT) | instid1(TRANS32_DEP_2)
	v_dual_cndmask_b32 v77, 0, v69 :: v_dual_mul_f32 v68, 0x3fb8aa3b, v68
	v_cndmask_b32_e64 v86, 0, v72, s6
	v_fma_f32 v72, s19, v102, -v81
	v_add_f32_e32 v69, 0, v82
	v_cndmask_b32_e64 v83, 0, v70, s4
	v_exp_f32_e32 v68, v68
	v_fma_f32 v70, s19, v124, -v81
	s_delay_alu instid0(VALU_DEP_3) | instskip(SKIP_2) | instid1(VALU_DEP_4)
	v_dual_mul_f32 v72, 0x3fb8aa3b, v72 :: v_dual_add_f32 v69, v69, v77
	v_cndmask_b32_e64 v85, 0, v71, s5
	v_fma_f32 v71, s19, v101, -v81
	v_mul_f32_e32 v70, 0x3fb8aa3b, v70
	v_exp_f32_e32 v78, v78
	v_add_f32_e32 v69, v69, v83
	v_exp_f32_e32 v72, v72
	s_delay_alu instid0(TRANS32_DEP_3) | instskip(SKIP_1) | instid1(VALU_DEP_2)
	v_cndmask_b32_e64 v87, 0, v68, s7
	v_exp_f32_e32 v70, v70
	v_add_f32_e32 v69, v69, v85
	v_mul_f32_e32 v71, 0x3fb8aa3b, v71
	s_delay_alu instid0(TRANS32_DEP_3) | instskip(NEXT) | instid1(VALU_DEP_3)
	v_cndmask_b32_e64 v84, 0, v78, s8
	v_add_f32_e32 v68, v69, v86
	v_fma_f32 v69, s19, v103, -v81
	s_delay_alu instid0(VALU_DEP_4) | instskip(SKIP_1) | instid1(TRANS32_DEP_2)
	v_exp_f32_e32 v71, v71
	v_fma_f32 v78, s19, v104, -v81
	v_cndmask_b32_e64 v88, 0, v70, s9
	s_delay_alu instid0(VALU_DEP_3) | instskip(SKIP_1) | instid1(VALU_DEP_2)
	v_dual_add_f32 v68, v68, v87 :: v_dual_mul_f32 v69, 0x3fb8aa3b, v69
	v_fma_f32 v70, s19, v105, -v81
	v_add_f32_e32 v68, v68, v84
	v_mul_f32_e32 v78, 0x3fb8aa3b, v78
	s_delay_alu instid0(VALU_DEP_4) | instskip(NEXT) | instid1(TRANS32_DEP_2)
	v_exp_f32_e32 v79, v69
	v_cndmask_b32_e64 v69, 0, v71, s10
	s_delay_alu instid0(VALU_DEP_3) | instskip(NEXT) | instid1(VALU_DEP_3)
	v_dual_add_f32 v71, v68, v88 :: v_dual_mul_f32 v70, 0x3fb8aa3b, v70
	v_exp_f32_e32 v78, v78
	v_cndmask_b32_e64 v68, 0, v72, s11
	v_fma_f32 v72, s19, v107, -v81
	s_delay_alu instid0(VALU_DEP_3) | instskip(SKIP_1) | instid1(TRANS32_DEP_3)
	v_add_f32_e32 v71, v71, v69
	v_exp_f32_e32 v89, v70
	v_cndmask_b32_e64 v70, 0, v79, s12
	s_delay_alu instid0(VALU_DEP_2) | instskip(NEXT) | instid1(TRANS32_DEP_2)
	v_add_f32_e32 v79, v71, v68
	v_cndmask_b32_e64 v71, 0, v78, s13
	s_delay_alu instid0(VALU_DEP_2) | instskip(SKIP_2) | instid1(VALU_DEP_1)
	v_add_f32_e32 v78, v79, v70
	v_mul_f32_e32 v80, 0x3fb8aa3b, v80
	v_fma_f32 v79, s19, v108, -v81
	v_dual_mul_f32 v72, 0x3fb8aa3b, v72 :: v_dual_mul_f32 v79, 0x3fb8aa3b, v79
	s_delay_alu instid0(VALU_DEP_1) | instskip(NEXT) | instid1(TRANS32_DEP_2)
	v_exp_f32_e32 v91, v72
	v_cndmask_b32_e64 v72, 0, v89, s15
	v_add_f32_e32 v89, v78, v71
	v_exp_f32_e32 v80, v80
	s_waitcnt_depctr 0xfff
	v_cndmask_b32_e64 v78, 0, v80, s16
	v_add_f32_e32 v80, v89, v72
	v_exp_f32_e32 v89, v79
	v_cndmask_b32_e64 v79, 0, v91, s17
	s_delay_alu instid0(VALU_DEP_2) | instskip(NEXT) | instid1(VALU_DEP_1)
	v_add_f32_e32 v80, v80, v78
	v_add_f32_e32 v91, v80, v79
	s_waitcnt_depctr 0xfff
	v_cndmask_b32_e64 v80, 0, v89, s18
	s_delay_alu instid0(VALU_DEP_1)
	v_add_f32_e32 v89, v91, v80
	ds_bpermute_b32 v90, v90, v89
	v_cmpx_gt_u32_e32 16, v67
	s_cbranch_execz .LBB1677_12
; %bb.11:
	v_mul_u32_u24_e32 v67, 0x44, v65
	s_waitcnt lgkmcnt(0)
	v_add_f32_e32 v89, v89, v90
	s_delay_alu instid0(VALU_DEP_2) | instskip(NEXT) | instid1(VALU_DEP_1)
	v_lshl_add_u32 v67, v66, 2, v67
	v_add_nc_u32_e32 v67, 0x4000, v67
	ds_store_2addr_b32 v67, v81, v89 offset1:136
.LBB1677_12:
	s_or_b32 exec_lo, exec_lo, s3
	v_lshlrev_b32_e32 v66, 2, v66
	s_waitcnt lgkmcnt(0)
	s_barrier
	buffer_gl0_inv
	v_cmp_eq_u32_e32 vcc_lo, 1, v65
	v_add_nc_u32_e32 v81, 0x4000, v66
	v_cmp_eq_u32_e64 s3, 2, v65
	v_cmp_eq_u32_e64 s5, 7, v65
	ds_load_2addr_b32 v[89:90], v81 offset1:17
	ds_load_2addr_b32 v[91:92], v81 offset0:34 offset1:51
	ds_load_2addr_b32 v[93:94], v81 offset0:68 offset1:85
	;; [unrolled: 1-line block ×4, first 2 shown]
	s_waitcnt lgkmcnt(4)
	v_max3_f32 v66, v89, 0xff7fffff, v90
	s_waitcnt lgkmcnt(3)
	s_delay_alu instid0(VALU_DEP_1) | instskip(SKIP_1) | instid1(VALU_DEP_1)
	v_max3_f32 v66, v66, v91, v92
	s_waitcnt lgkmcnt(2)
	v_max3_f32 v66, v66, v93, v94
	s_waitcnt lgkmcnt(1)
	s_delay_alu instid0(VALU_DEP_1) | instskip(NEXT) | instid1(VALU_DEP_1)
	v_max3_f32 v66, v66, v95, v96
	v_sub_f32_e32 v67, v89, v66
	v_sub_f32_e32 v91, v91, v66
	;; [unrolled: 1-line block ×3, first 2 shown]
	s_delay_alu instid0(VALU_DEP_3) | instskip(NEXT) | instid1(VALU_DEP_3)
	v_mul_f32_e32 v67, 0x3fb8aa3b, v67
	v_mul_f32_e32 v101, 0x3fb8aa3b, v91
	s_delay_alu instid0(VALU_DEP_3) | instskip(NEXT) | instid1(VALU_DEP_3)
	v_mul_f32_e32 v103, 0x3fb8aa3b, v93
	v_exp_f32_e32 v100, v67
	v_sub_f32_e32 v67, v92, v66
	v_sub_f32_e32 v99, v90, v66
	ds_load_2addr_b32 v[89:90], v81 offset0:170 offset1:187
	ds_load_2addr_b32 v[91:92], v81 offset0:204 offset1:221
	v_exp_f32_e32 v101, v101
	v_mul_f32_e32 v102, 0x3fb8aa3b, v67
	v_mul_f32_e32 v99, 0x3fb8aa3b, v99
	s_waitcnt lgkmcnt(2)
	v_fma_f32 v67, v100, v97, 0
	v_sub_f32_e32 v97, v94, v66
	s_delay_alu instid0(VALU_DEP_3)
	v_exp_f32_e32 v99, v99
	v_exp_f32_e32 v102, v102
	ds_load_2addr_b32 v[93:94], v81 offset0:238 offset1:255
	v_sub_f32_e32 v81, v95, v66
	v_mul_f32_e32 v95, 0x3fb8aa3b, v97
	v_exp_f32_e32 v97, v103
	s_waitcnt lgkmcnt(0)
	s_barrier
	v_mul_f32_e32 v81, 0x3fb8aa3b, v81
	v_exp_f32_e32 v95, v95
	v_fmac_f32_e32 v67, v99, v98
	buffer_gl0_inv
	v_exp_f32_e32 v81, v81
	v_fmac_f32_e32 v67, v101, v89
	v_sub_f32_e32 v89, v96, v66
	s_delay_alu instid0(VALU_DEP_2) | instskip(NEXT) | instid1(VALU_DEP_2)
	v_fmac_f32_e32 v67, v102, v90
	v_mul_f32_e32 v89, 0x3fb8aa3b, v89
	s_delay_alu instid0(VALU_DEP_2) | instskip(NEXT) | instid1(VALU_DEP_2)
	v_fmac_f32_e32 v67, v97, v91
	v_exp_f32_e32 v89, v89
	s_delay_alu instid0(VALU_DEP_1)
	v_fmac_f32_e32 v67, v95, v92
	s_delay_alu instid0(TRANS32_DEP_2) | instid1(VALU_DEP_1)
	v_fmac_f32_e32 v67, v81, v93
	s_waitcnt_depctr 0xfff
	v_fmac_f32_e32 v67, v89, v94
	s_delay_alu instid0(VALU_DEP_1) | instskip(NEXT) | instid1(VALU_DEP_1)
	v_add_f32_e32 v90, 0x358637bd, v67
	v_div_scale_f32 v91, null, v90, v90, 1.0
	v_div_scale_f32 v94, s4, 1.0, v90, 1.0
	s_delay_alu instid0(VALU_DEP_2) | instskip(SKIP_2) | instid1(VALU_DEP_1)
	v_rcp_f32_e32 v92, v91
	s_waitcnt_depctr 0xfff
	v_fma_f32 v93, -v91, v92, 1.0
	v_dual_fmac_f32 v92, v93, v92 :: v_dual_cndmask_b32 v93, v100, v99
	v_cmp_eq_u32_e32 vcc_lo, 3, v65
	s_delay_alu instid0(VALU_DEP_2) | instskip(NEXT) | instid1(VALU_DEP_3)
	v_mul_f32_e32 v96, v94, v92
	v_cndmask_b32_e64 v93, v93, v101, s3
	v_cmp_eq_u32_e64 s3, 4, v65
	s_delay_alu instid0(VALU_DEP_3) | instskip(NEXT) | instid1(VALU_DEP_3)
	v_fma_f32 v98, -v91, v96, v94
	v_cndmask_b32_e32 v93, v93, v102, vcc_lo
	v_cmp_eq_u32_e32 vcc_lo, 5, v65
	s_delay_alu instid0(VALU_DEP_3) | instskip(NEXT) | instid1(VALU_DEP_3)
	v_fmac_f32_e32 v96, v98, v92
	v_cndmask_b32_e64 v93, v93, v97, s3
	v_cmp_eq_u32_e64 s3, 6, v65
	s_delay_alu instid0(VALU_DEP_3) | instskip(NEXT) | instid1(VALU_DEP_3)
	v_fma_f32 v91, -v91, v96, v94
	v_cndmask_b32_e32 v93, v93, v95, vcc_lo
	s_mov_b32 vcc_lo, s4
	s_delay_alu instid0(VALU_DEP_2) | instskip(NEXT) | instid1(VALU_DEP_2)
	v_div_fmas_f32 v91, v91, v92, v96
	v_cndmask_b32_e64 v81, v93, v81, s3
	s_mov_b32 s3, exec_lo
	s_delay_alu instid0(VALU_DEP_2) | instskip(NEXT) | instid1(VALU_DEP_2)
	v_div_fixup_f32 v90, v91, v90, 1.0
	v_cndmask_b32_e64 v81, v81, v89, s5
	s_delay_alu instid0(VALU_DEP_1) | instskip(NEXT) | instid1(VALU_DEP_1)
	v_mul_f32_e32 v81, v81, v90
	v_mul_f32_e32 v90, v81, v82
	;; [unrolled: 1-line block ×6, first 2 shown]
	v_dual_mul_f32 v86, v81, v83 :: v_dual_and_b32 v91, 0x7f800000, v90
	v_mul_f32_e32 v89, v81, v85
	v_mul_f32_e32 v85, v81, v77
                                        ; implicit-def: $vgpr77
	s_delay_alu instid0(VALU_DEP_3)
	v_cmpx_ne_u32_e32 0x7f800000, v91
	s_xor_b32 s3, exec_lo, s3
; %bb.13:
	v_bfe_u32 v77, v90, 16, 1
	s_delay_alu instid0(VALU_DEP_1)
	v_add3_u32 v77, v90, v77, 0x7fff
                                        ; implicit-def: $vgpr90
; %bb.14:
	s_and_not1_saveexec_b32 s3, s3
; %bb.15:
	v_and_b32_e32 v77, 0xffff, v90
	v_or_b32_e32 v83, 0x10000, v90
	s_delay_alu instid0(VALU_DEP_2) | instskip(NEXT) | instid1(VALU_DEP_2)
	v_cmp_eq_u32_e32 vcc_lo, 0, v77
	v_cndmask_b32_e32 v77, v83, v90, vcc_lo
; %bb.16:
	s_or_b32 exec_lo, exec_lo, s3
	v_and_b32_e32 v83, 0x7f800000, v85
	s_delay_alu instid0(VALU_DEP_1) | instskip(SKIP_1) | instid1(SALU_CYCLE_1)
	v_cmp_ne_u32_e32 vcc_lo, 0x7f800000, v83
                                        ; implicit-def: $vgpr83
	s_and_saveexec_b32 s3, vcc_lo
	s_xor_b32 s3, exec_lo, s3
; %bb.17:
	v_bfe_u32 v83, v85, 16, 1
	s_delay_alu instid0(VALU_DEP_1)
	v_add3_u32 v83, v85, v83, 0x7fff
                                        ; implicit-def: $vgpr85
; %bb.18:
	s_and_not1_saveexec_b32 s3, s3
; %bb.19:
	v_and_b32_e32 v83, 0xffff, v85
	v_or_b32_e32 v90, 0x10000, v85
	s_delay_alu instid0(VALU_DEP_2) | instskip(NEXT) | instid1(VALU_DEP_2)
	v_cmp_eq_u32_e32 vcc_lo, 0, v83
	v_cndmask_b32_e32 v83, v90, v85, vcc_lo
; %bb.20:
	s_or_b32 exec_lo, exec_lo, s3
	v_and_b32_e32 v85, 0x7f800000, v86
	s_delay_alu instid0(VALU_DEP_1) | instskip(SKIP_1) | instid1(SALU_CYCLE_1)
	v_cmp_ne_u32_e32 vcc_lo, 0x7f800000, v85
                                        ; implicit-def: $vgpr85
	s_and_saveexec_b32 s3, vcc_lo
	s_xor_b32 s3, exec_lo, s3
; %bb.21:
	v_bfe_u32 v85, v86, 16, 1
	s_delay_alu instid0(VALU_DEP_1)
	v_add3_u32 v85, v86, v85, 0x7fff
                                        ; implicit-def: $vgpr86
; %bb.22:
	s_and_not1_saveexec_b32 s3, s3
; %bb.23:
	v_and_b32_e32 v85, 0xffff, v86
	v_or_b32_e32 v90, 0x10000, v86
	s_delay_alu instid0(VALU_DEP_2) | instskip(NEXT) | instid1(VALU_DEP_2)
	v_cmp_eq_u32_e32 vcc_lo, 0, v85
	v_cndmask_b32_e32 v85, v90, v86, vcc_lo
; %bb.24:
	s_or_b32 exec_lo, exec_lo, s3
	v_and_b32_e32 v86, 0x7f800000, v89
	s_delay_alu instid0(VALU_DEP_1) | instskip(SKIP_1) | instid1(SALU_CYCLE_1)
	v_cmp_ne_u32_e32 vcc_lo, 0x7f800000, v86
                                        ; implicit-def: $vgpr86
	s_and_saveexec_b32 s3, vcc_lo
	s_xor_b32 s3, exec_lo, s3
; %bb.25:
	v_bfe_u32 v86, v89, 16, 1
	s_delay_alu instid0(VALU_DEP_1)
	v_add3_u32 v86, v89, v86, 0x7fff
                                        ; implicit-def: $vgpr89
; %bb.26:
	s_and_not1_saveexec_b32 s3, s3
; %bb.27:
	v_and_b32_e32 v86, 0xffff, v89
	v_or_b32_e32 v90, 0x10000, v89
	s_delay_alu instid0(VALU_DEP_2) | instskip(NEXT) | instid1(VALU_DEP_2)
	v_cmp_eq_u32_e32 vcc_lo, 0, v86
	v_cndmask_b32_e32 v86, v90, v89, vcc_lo
; %bb.28:
	s_or_b32 exec_lo, exec_lo, s3
	v_and_b32_e32 v89, 0x7f800000, v88
	s_delay_alu instid0(VALU_DEP_1) | instskip(SKIP_1) | instid1(SALU_CYCLE_1)
	v_cmp_ne_u32_e32 vcc_lo, 0x7f800000, v89
                                        ; implicit-def: $vgpr89
	s_and_saveexec_b32 s3, vcc_lo
	s_xor_b32 s3, exec_lo, s3
; %bb.29:
	v_bfe_u32 v89, v88, 16, 1
	s_delay_alu instid0(VALU_DEP_1)
	v_add3_u32 v89, v88, v89, 0x7fff
                                        ; implicit-def: $vgpr88
; %bb.30:
	s_and_not1_saveexec_b32 s3, s3
; %bb.31:
	v_and_b32_e32 v89, 0xffff, v88
	v_or_b32_e32 v90, 0x10000, v88
	s_delay_alu instid0(VALU_DEP_2) | instskip(NEXT) | instid1(VALU_DEP_2)
	v_cmp_eq_u32_e32 vcc_lo, 0, v89
	v_cndmask_b32_e32 v89, v90, v88, vcc_lo
; %bb.32:
	s_or_b32 exec_lo, exec_lo, s3
	v_and_b32_e32 v88, 0x7f800000, v87
	s_delay_alu instid0(VALU_DEP_1) | instskip(SKIP_1) | instid1(SALU_CYCLE_1)
	v_cmp_ne_u32_e32 vcc_lo, 0x7f800000, v88
                                        ; implicit-def: $vgpr88
	s_and_saveexec_b32 s3, vcc_lo
	s_xor_b32 s3, exec_lo, s3
; %bb.33:
	v_bfe_u32 v88, v87, 16, 1
	s_delay_alu instid0(VALU_DEP_1)
	v_add3_u32 v88, v87, v88, 0x7fff
                                        ; implicit-def: $vgpr87
; %bb.34:
	s_and_not1_saveexec_b32 s3, s3
; %bb.35:
	v_and_b32_e32 v88, 0xffff, v87
	v_or_b32_e32 v90, 0x10000, v87
	s_delay_alu instid0(VALU_DEP_2) | instskip(NEXT) | instid1(VALU_DEP_2)
	v_cmp_eq_u32_e32 vcc_lo, 0, v88
	v_cndmask_b32_e32 v88, v90, v87, vcc_lo
; %bb.36:
	s_or_b32 exec_lo, exec_lo, s3
	v_and_b32_e32 v87, 0x7f800000, v84
	s_delay_alu instid0(VALU_DEP_1) | instskip(SKIP_1) | instid1(SALU_CYCLE_1)
	v_cmp_ne_u32_e32 vcc_lo, 0x7f800000, v87
                                        ; implicit-def: $vgpr87
	s_and_saveexec_b32 s3, vcc_lo
	s_xor_b32 s3, exec_lo, s3
; %bb.37:
	v_bfe_u32 v87, v84, 16, 1
	s_delay_alu instid0(VALU_DEP_1)
	v_add3_u32 v87, v84, v87, 0x7fff
                                        ; implicit-def: $vgpr84
; %bb.38:
	s_and_not1_saveexec_b32 s3, s3
; %bb.39:
	v_and_b32_e32 v87, 0xffff, v84
	v_or_b32_e32 v90, 0x10000, v84
	s_delay_alu instid0(VALU_DEP_2) | instskip(NEXT) | instid1(VALU_DEP_2)
	v_cmp_eq_u32_e32 vcc_lo, 0, v87
	v_cndmask_b32_e32 v87, v90, v84, vcc_lo
; %bb.40:
	s_or_b32 exec_lo, exec_lo, s3
	v_and_b32_e32 v84, 0x7f800000, v82
	s_delay_alu instid0(VALU_DEP_1) | instskip(SKIP_1) | instid1(SALU_CYCLE_1)
	v_cmp_ne_u32_e32 vcc_lo, 0x7f800000, v84
                                        ; implicit-def: $vgpr84
	s_and_saveexec_b32 s3, vcc_lo
	s_xor_b32 s3, exec_lo, s3
; %bb.41:
	v_bfe_u32 v84, v82, 16, 1
	s_delay_alu instid0(VALU_DEP_1)
	v_add3_u32 v84, v82, v84, 0x7fff
                                        ; implicit-def: $vgpr82
; %bb.42:
	s_and_not1_saveexec_b32 s3, s3
; %bb.43:
	v_and_b32_e32 v84, 0xffff, v82
	v_or_b32_e32 v90, 0x10000, v82
	s_delay_alu instid0(VALU_DEP_2) | instskip(NEXT) | instid1(VALU_DEP_2)
	v_cmp_eq_u32_e32 vcc_lo, 0, v84
	v_cndmask_b32_e32 v84, v90, v82, vcc_lo
; %bb.44:
	s_or_b32 exec_lo, exec_lo, s3
	s_load_b64 s[34:35], s[0:1], 0x94
	v_lshlrev_b32_e32 v82, 4, v74
	s_delay_alu instid0(VALU_DEP_2)
	v_perm_b32 v90, v84, v87, 0x7060302
	v_lshlrev_b32_e32 v84, 11, v65
	v_perm_b32 v87, v83, v77, 0x7060302
	v_mul_f32_e32 v83, v81, v69
	v_mul_f32_e32 v69, v81, v80
	v_perm_b32 v89, v88, v89, 0x7060302
	v_perm_b32 v88, v86, v85, 0x7060302
	v_or3_b32 v77, v82, v84, v76
	v_mul_f32_e32 v79, v81, v79
	v_mul_f32_e32 v78, v81, v78
	v_and_b32_e32 v84, 0x7f800000, v83
	v_mul_f32_e32 v72, v81, v72
	v_mul_f32_e32 v82, v81, v71
	;; [unrolled: 1-line block ×4, first 2 shown]
	s_mov_b32 s3, exec_lo
	ds_store_b128 v77, v[87:90]
                                        ; implicit-def: $vgpr68
	v_cmpx_ne_u32_e32 0x7f800000, v84
	s_xor_b32 s3, exec_lo, s3
; %bb.45:
	v_bfe_u32 v68, v83, 16, 1
	s_delay_alu instid0(VALU_DEP_1)
	v_add3_u32 v68, v83, v68, 0x7fff
                                        ; implicit-def: $vgpr83
; %bb.46:
	s_and_not1_saveexec_b32 s3, s3
; %bb.47:
	v_and_b32_e32 v68, 0xffff, v83
	v_or_b32_e32 v70, 0x10000, v83
	s_delay_alu instid0(VALU_DEP_2) | instskip(NEXT) | instid1(VALU_DEP_2)
	v_cmp_eq_u32_e32 vcc_lo, 0, v68
	v_cndmask_b32_e32 v68, v70, v83, vcc_lo
; %bb.48:
	s_or_b32 exec_lo, exec_lo, s3
	v_and_b32_e32 v70, 0x7f800000, v71
	s_delay_alu instid0(VALU_DEP_1) | instskip(SKIP_1) | instid1(SALU_CYCLE_1)
	v_cmp_ne_u32_e32 vcc_lo, 0x7f800000, v70
                                        ; implicit-def: $vgpr70
	s_and_saveexec_b32 s3, vcc_lo
	s_xor_b32 s3, exec_lo, s3
; %bb.49:
	v_bfe_u32 v70, v71, 16, 1
	s_delay_alu instid0(VALU_DEP_1)
	v_add3_u32 v70, v71, v70, 0x7fff
                                        ; implicit-def: $vgpr71
; %bb.50:
	s_and_not1_saveexec_b32 s3, s3
; %bb.51:
	v_and_b32_e32 v70, 0xffff, v71
	v_or_b32_e32 v81, 0x10000, v71
	s_delay_alu instid0(VALU_DEP_2) | instskip(NEXT) | instid1(VALU_DEP_2)
	v_cmp_eq_u32_e32 vcc_lo, 0, v70
	v_cndmask_b32_e32 v70, v81, v71, vcc_lo
; %bb.52:
	s_or_b32 exec_lo, exec_lo, s3
	v_and_b32_e32 v71, 0x7f800000, v80
	s_delay_alu instid0(VALU_DEP_1) | instskip(SKIP_1) | instid1(SALU_CYCLE_1)
	v_cmp_ne_u32_e32 vcc_lo, 0x7f800000, v71
                                        ; implicit-def: $vgpr71
	s_and_saveexec_b32 s3, vcc_lo
	s_xor_b32 s3, exec_lo, s3
; %bb.53:
	v_bfe_u32 v71, v80, 16, 1
	s_delay_alu instid0(VALU_DEP_1)
	v_add3_u32 v71, v80, v71, 0x7fff
                                        ; implicit-def: $vgpr80
; %bb.54:
	s_and_not1_saveexec_b32 s3, s3
; %bb.55:
	v_and_b32_e32 v71, 0xffff, v80
	v_or_b32_e32 v81, 0x10000, v80
	s_delay_alu instid0(VALU_DEP_2) | instskip(NEXT) | instid1(VALU_DEP_2)
	v_cmp_eq_u32_e32 vcc_lo, 0, v71
	v_cndmask_b32_e32 v71, v81, v80, vcc_lo
; %bb.56:
	s_or_b32 exec_lo, exec_lo, s3
	v_and_b32_e32 v80, 0x7f800000, v82
	s_delay_alu instid0(VALU_DEP_1) | instskip(SKIP_1) | instid1(SALU_CYCLE_1)
	v_cmp_ne_u32_e32 vcc_lo, 0x7f800000, v80
                                        ; implicit-def: $vgpr80
	s_and_saveexec_b32 s3, vcc_lo
	s_xor_b32 s3, exec_lo, s3
; %bb.57:
	v_bfe_u32 v80, v82, 16, 1
	s_delay_alu instid0(VALU_DEP_1)
	v_add3_u32 v80, v82, v80, 0x7fff
                                        ; implicit-def: $vgpr82
; %bb.58:
	s_and_not1_saveexec_b32 s3, s3
; %bb.59:
	v_and_b32_e32 v80, 0xffff, v82
	v_or_b32_e32 v81, 0x10000, v82
	s_delay_alu instid0(VALU_DEP_2) | instskip(NEXT) | instid1(VALU_DEP_2)
	v_cmp_eq_u32_e32 vcc_lo, 0, v80
	v_cndmask_b32_e32 v80, v81, v82, vcc_lo
; %bb.60:
	s_or_b32 exec_lo, exec_lo, s3
	v_and_b32_e32 v81, 0x7f800000, v72
	s_delay_alu instid0(VALU_DEP_1) | instskip(SKIP_1) | instid1(SALU_CYCLE_1)
	v_cmp_ne_u32_e32 vcc_lo, 0x7f800000, v81
                                        ; implicit-def: $vgpr81
	s_and_saveexec_b32 s3, vcc_lo
	s_xor_b32 s3, exec_lo, s3
; %bb.61:
	v_bfe_u32 v81, v72, 16, 1
	s_delay_alu instid0(VALU_DEP_1)
	v_add3_u32 v81, v72, v81, 0x7fff
                                        ; implicit-def: $vgpr72
; %bb.62:
	s_and_not1_saveexec_b32 s3, s3
; %bb.63:
	v_and_b32_e32 v81, 0xffff, v72
	v_or_b32_e32 v82, 0x10000, v72
	s_delay_alu instid0(VALU_DEP_2) | instskip(NEXT) | instid1(VALU_DEP_2)
	v_cmp_eq_u32_e32 vcc_lo, 0, v81
	v_cndmask_b32_e32 v81, v82, v72, vcc_lo
; %bb.64:
	s_or_b32 exec_lo, exec_lo, s3
	v_and_b32_e32 v72, 0x7f800000, v78
	s_delay_alu instid0(VALU_DEP_1) | instskip(SKIP_1) | instid1(SALU_CYCLE_1)
	v_cmp_ne_u32_e32 vcc_lo, 0x7f800000, v72
                                        ; implicit-def: $vgpr72
	s_and_saveexec_b32 s3, vcc_lo
	s_xor_b32 s3, exec_lo, s3
; %bb.65:
	v_bfe_u32 v72, v78, 16, 1
	s_delay_alu instid0(VALU_DEP_1)
	v_add3_u32 v72, v78, v72, 0x7fff
                                        ; implicit-def: $vgpr78
; %bb.66:
	s_and_not1_saveexec_b32 s3, s3
; %bb.67:
	v_and_b32_e32 v72, 0xffff, v78
	v_or_b32_e32 v82, 0x10000, v78
	s_delay_alu instid0(VALU_DEP_2) | instskip(NEXT) | instid1(VALU_DEP_2)
	v_cmp_eq_u32_e32 vcc_lo, 0, v72
	v_cndmask_b32_e32 v72, v82, v78, vcc_lo
; %bb.68:
	s_or_b32 exec_lo, exec_lo, s3
	v_and_b32_e32 v78, 0x7f800000, v79
	s_delay_alu instid0(VALU_DEP_1) | instskip(SKIP_1) | instid1(SALU_CYCLE_1)
	v_cmp_ne_u32_e32 vcc_lo, 0x7f800000, v78
                                        ; implicit-def: $vgpr78
	s_and_saveexec_b32 s3, vcc_lo
	s_xor_b32 s3, exec_lo, s3
; %bb.69:
	v_bfe_u32 v78, v79, 16, 1
	s_delay_alu instid0(VALU_DEP_1)
	v_add3_u32 v78, v79, v78, 0x7fff
                                        ; implicit-def: $vgpr79
; %bb.70:
	s_and_not1_saveexec_b32 s3, s3
; %bb.71:
	v_and_b32_e32 v78, 0xffff, v79
	v_or_b32_e32 v82, 0x10000, v79
	s_delay_alu instid0(VALU_DEP_2) | instskip(NEXT) | instid1(VALU_DEP_2)
	v_cmp_eq_u32_e32 vcc_lo, 0, v78
	v_cndmask_b32_e32 v78, v82, v79, vcc_lo
; %bb.72:
	s_or_b32 exec_lo, exec_lo, s3
	v_and_b32_e32 v79, 0x7f800000, v69
	s_delay_alu instid0(VALU_DEP_1) | instskip(SKIP_1) | instid1(SALU_CYCLE_1)
	v_cmp_ne_u32_e32 vcc_lo, 0x7f800000, v79
                                        ; implicit-def: $vgpr79
	s_and_saveexec_b32 s3, vcc_lo
	s_xor_b32 s3, exec_lo, s3
; %bb.73:
	v_bfe_u32 v79, v69, 16, 1
	s_delay_alu instid0(VALU_DEP_1)
	v_add3_u32 v79, v69, v79, 0x7fff
                                        ; implicit-def: $vgpr69
; %bb.74:
	s_and_not1_saveexec_b32 s3, s3
; %bb.75:
	v_and_b32_e32 v79, 0xffff, v69
	v_or_b32_e32 v82, 0x10000, v69
	s_delay_alu instid0(VALU_DEP_2) | instskip(NEXT) | instid1(VALU_DEP_2)
	v_cmp_eq_u32_e32 vcc_lo, 0, v79
	v_cndmask_b32_e32 v79, v82, v69, vcc_lo
; %bb.76:
	s_or_b32 exec_lo, exec_lo, s3
	s_delay_alu instid0(VALU_DEP_1)
	v_perm_b32 v86, v79, v78, 0x7060302
	v_perm_b32 v85, v72, v81, 0x7060302
	;; [unrolled: 1-line block ×4, first 2 shown]
	v_lshl_or_b32 v82, v65, 11, v76
	v_lshlrev_b32_e32 v79, 2, v74
	ds_store_b128 v77, v[83:86] offset:1024
	s_waitcnt lgkmcnt(0)
	s_barrier
	buffer_gl0_inv
	ds_load_b128 v[68:71], v82
	ds_load_b128 v[83:86], v82 offset:16
	v_or_b32_e32 v80, 1, v79
	v_cmp_eq_u32_e32 vcc_lo, 1, v79
	v_cmp_eq_u32_e64 s4, 2, v79
	v_cmp_eq_u32_e64 s7, 3, v79
	;; [unrolled: 1-line block ×6, first 2 shown]
	v_or_b32_e32 v78, 2, v79
	v_cmp_eq_u32_e64 s10, 5, v79
	v_cmp_eq_u32_e64 s11, 4, v80
	;; [unrolled: 1-line block ×9, first 2 shown]
	s_waitcnt lgkmcnt(1)
	v_lshrrev_b32_e32 v65, 16, v68
	s_waitcnt lgkmcnt(0)
	v_lshrrev_b32_e32 v91, 16, v83
	v_lshrrev_b32_e32 v72, 16, v69
	;; [unrolled: 1-line block ×4, first 2 shown]
	v_cndmask_b32_e32 v81, v68, v65, vcc_lo
	v_cndmask_b32_e32 v87, v83, v91, vcc_lo
	v_cndmask_b32_e64 v88, v68, v65, s3
	v_lshrrev_b32_e32 v98, 16, v85
	v_cndmask_b32_e64 v89, v83, v91, s3
	v_cndmask_b32_e64 v81, v81, v69, s4
	v_cndmask_b32_e64 v87, v87, v84, s4
	v_cndmask_b32_e64 v88, v88, v69, s6
	v_lshrrev_b32_e32 v96, 16, v71
	v_cndmask_b32_e64 v89, v89, v84, s6
	v_cndmask_b32_e64 v81, v81, v72, s7
	v_cndmask_b32_e64 v87, v87, v97, s7
	v_cndmask_b32_e64 v88, v88, v72, s8
	v_lshrrev_b32_e32 v99, 16, v86
	v_cndmask_b32_e64 v90, v68, v65, s5
	v_cndmask_b32_e64 v81, v81, v70, s9
	v_cndmask_b32_e64 v87, v87, v85, s9
	v_cndmask_b32_e64 v88, v88, v70, s11
	v_cndmask_b32_e64 v89, v89, v97, s8
	v_cmp_eq_u32_e64 s19, 3, v78
	v_cndmask_b32_e64 v81, v81, v95, s10
	v_cndmask_b32_e64 v87, v87, v98, s10
	;; [unrolled: 1-line block ×4, first 2 shown]
	v_cmp_eq_u32_e64 s20, 4, v78
	v_cndmask_b32_e64 v81, v81, v71, s12
	v_cndmask_b32_e64 v87, v87, v86, s12
	v_cndmask_b32_e64 v88, v88, v71, s16
	v_cmp_eq_u32_e64 s22, 5, v78
	v_cmp_eq_u32_e64 s24, 6, v78
	v_cndmask_b32_e64 v100, v81, v96, s15
	v_cndmask_b32_e64 v101, v87, v99, s15
	;; [unrolled: 1-line block ×6, first 2 shown]
	v_cmp_eq_u32_e64 s27, 7, v78
	v_cndmask_b32_e64 v89, v81, v72, s19
	v_cndmask_b32_e64 v87, v87, v84, s17
	v_or_b32_e32 v81, 3, v79
	v_cndmask_b32_e64 v103, v88, v86, s16
	s_delay_alu instid0(VALU_DEP_4) | instskip(NEXT) | instid1(VALU_DEP_4)
	v_cndmask_b32_e64 v92, v89, v70, s20
	v_cndmask_b32_e64 v93, v87, v97, s19
	s_delay_alu instid0(VALU_DEP_4)
	v_cmp_eq_u32_e64 s21, 1, v81
	ds_load_b128 v[87:90], v82 offset:1024
	v_cmp_eq_u32_e64 s23, 2, v81
	v_cndmask_b32_e64 v104, v92, v95, s22
	v_cmp_eq_u32_e64 s25, 3, v81
	v_cndmask_b32_e64 v65, v68, v65, s21
	v_cndmask_b32_e64 v68, v93, v85, s20
	;; [unrolled: 1-line block ×3, first 2 shown]
	ds_load_b128 v[91:94], v82 offset:1040
	v_cmp_eq_u32_e64 s26, 4, v81
	v_cndmask_b32_e64 v65, v65, v69, s23
	v_cmp_eq_u32_e64 s28, 5, v81
	v_cndmask_b32_e64 v69, v83, v84, s23
	v_cmp_eq_u32_e64 s29, 6, v81
	v_cndmask_b32_e64 v68, v68, v98, s22
	v_cndmask_b32_e64 v65, v65, v72, s25
	v_cndmask_b32_e64 v72, v104, v71, s24
	;; [unrolled: 1-line block ×6, first 2 shown]
	s_waitcnt lgkmcnt(1)
	v_lshrrev_b32_e32 v84, 16, v87
	v_cndmask_b32_e64 v69, v69, v85, s26
	v_cndmask_b32_e64 v70, v72, v96, s27
	v_cndmask_b32_e64 v68, v68, v99, s27
	v_cndmask_b32_e64 v65, v65, v95, s28
	v_cndmask_b32_e32 v72, v87, v84, vcc_lo
	v_cndmask_b32_e64 v69, v69, v98, s28
	s_waitcnt lgkmcnt(0)
	v_lshrrev_b32_e32 v85, 16, v91
	v_lshrrev_b32_e32 v95, 16, v88
	v_cndmask_b32_e64 v97, v87, v84, s3
	v_cndmask_b32_e64 v72, v72, v88, s4
	v_cndmask_b32_e64 v65, v65, v71, s29
	v_cndmask_b32_e32 v98, v91, v85, vcc_lo
	v_cmp_eq_u32_e32 vcc_lo, 7, v81
	v_cndmask_b32_e64 v69, v69, v86, s29
	v_cndmask_b32_e64 v71, v72, v95, s7
	;; [unrolled: 1-line block ×3, first 2 shown]
	v_lshrrev_b32_e32 v97, 16, v92
	v_cndmask_b32_e32 v65, v65, v96, vcc_lo
	v_cndmask_b32_e64 v86, v98, v92, s4
	v_cndmask_b32_e32 v69, v69, v99, vcc_lo
	v_lshrrev_b32_e32 v99, 16, v93
	v_cndmask_b32_e64 v71, v71, v89, s9
	v_lshrrev_b32_e32 v98, 16, v89
	v_cndmask_b32_e64 v86, v86, v97, s7
	v_perm_b32 v70, v68, v70, 0x5040100
	v_cndmask_b32_e64 v72, v72, v95, s8
	s_delay_alu instid0(VALU_DEP_4) | instskip(NEXT) | instid1(VALU_DEP_4)
	v_cndmask_b32_e64 v96, v71, v98, s10
	v_cndmask_b32_e64 v86, v86, v93, s9
	v_perm_b32 v71, v69, v65, 0x5040100
	v_perm_b32 v69, v83, v102, 0x5040100
	v_cndmask_b32_e64 v102, v91, v85, s5
	v_cndmask_b32_e64 v72, v72, v89, s11
	;; [unrolled: 1-line block ×3, first 2 shown]
	v_lshrrev_b32_e32 v83, 16, v94
	s_delay_alu instid0(VALU_DEP_3) | instskip(NEXT) | instid1(VALU_DEP_3)
	v_cndmask_b32_e64 v65, v72, v98, s13
	v_cndmask_b32_e64 v68, v86, v94, s12
	;; [unrolled: 1-line block ×27, first 2 shown]
	v_lshrrev_b32_e32 v96, 16, v90
	v_cndmask_b32_e64 v65, v65, v90, s16
	v_cndmask_b32_e64 v86, v86, v90, s24
	;; [unrolled: 1-line block ×9, first 2 shown]
	v_cndmask_b32_e32 v84, v84, v96, vcc_lo
	v_cndmask_b32_e32 v86, v87, v83, vcc_lo
	v_cndmask_b32_e64 v87, v88, v83, s27
	v_cndmask_b32_e64 v88, v85, v83, s18
	;; [unrolled: 1-line block ×3, first 2 shown]
	v_perm_b32 v68, v101, v100, 0x5040100
	v_perm_b32 v86, v86, v84, 0x5040100
	;; [unrolled: 1-line block ×5, first 2 shown]
	s_lshl_b32 s8, s35, 4
	s_mov_b32 s3, exec_lo
	ds_store_b128 v77, v[68:71]
	ds_store_b128 v77, v[83:86] offset:1024
	v_cmpx_gt_u32_e32 16, v0
	s_cbranch_execz .LBB1677_78
; %bb.77:
	v_or_b32_e32 v65, s31, v0
	s_load_b128 s[4:7], s[0:1], 0x58
	s_delay_alu instid0(VALU_DEP_1) | instskip(NEXT) | instid1(VALU_DEP_1)
	v_mad_u64_u32 v[68:69], null, s8, s30, v[65:66]
	v_mad_u64_u32 v[69:70], null, v68, s34, s[14:15]
	s_delay_alu instid0(VALU_DEP_1) | instskip(NEXT) | instid1(VALU_DEP_1)
	v_ashrrev_i32_e32 v70, 31, v69
	v_lshlrev_b64 v[68:69], 2, v[69:70]
	s_waitcnt lgkmcnt(0)
	s_delay_alu instid0(VALU_DEP_1) | instskip(NEXT) | instid1(VALU_DEP_2)
	v_add_co_u32 v70, vcc_lo, s6, v68
	v_add_co_ci_u32_e32 v71, vcc_lo, s7, v69, vcc_lo
	v_add_co_u32 v68, vcc_lo, s4, v68
	v_add_co_ci_u32_e32 v69, vcc_lo, s5, v69, vcc_lo
	global_store_b32 v[70:71], v66, off
	global_store_b32 v[68:69], v67, off
.LBB1677_78:
	s_or_b32 exec_lo, exec_lo, s3
	s_waitcnt lgkmcnt(0)
	s_waitcnt_vscnt null, 0x0
	s_barrier
	buffer_gl0_inv
	ds_load_b128 v[83:86], v76
	ds_load_b128 v[87:90], v76 offset:16
	ds_load_b128 v[95:98], v76 offset:2064
	;; [unrolled: 1-line block ×3, first 2 shown]
	v_mov_b32_e32 v65, 0
	ds_load_b128 v[103:106], v76 offset:4112
	ds_load_b128 v[99:102], v76 offset:4096
	;; [unrolled: 1-line block ×4, first 2 shown]
	v_mov_b32_e32 v66, v65
	v_mov_b32_e32 v67, v65
	;; [unrolled: 1-line block ×7, first 2 shown]
	s_waitcnt lgkmcnt(6)
	s_delay_alu instid0(VALU_DEP_1)
	v_wmma_f32_16x16x16_bf16 v[65:72], v[57:64], v[83:90], v[65:72]
	ds_load_b128 v[61:64], v76 offset:8208
	ds_load_b128 v[57:60], v76 offset:8192
	s_waitcnt lgkmcnt(6)
	v_wmma_f32_16x16x16_bf16 v[65:72], v[41:48], v[91:98], v[65:72]
	ds_load_b128 v[45:48], v76 offset:10256
	ds_load_b128 v[41:44], v76 offset:10240
	s_waitcnt lgkmcnt(6)
	;; [unrolled: 4-line block ×4, first 2 shown]
	v_wmma_f32_16x16x16_bf16 v[65:72], v[1:8], v[57:64], v[65:72]
	s_waitcnt lgkmcnt(4)
	s_delay_alu instid0(VALU_DEP_1) | instskip(SKIP_1) | instid1(VALU_DEP_1)
	v_wmma_f32_16x16x16_bf16 v[65:72], v[9:16], v[41:48], v[65:72]
	s_waitcnt lgkmcnt(2)
	v_wmma_f32_16x16x16_bf16 v[65:72], v[17:24], v[33:40], v[65:72]
	s_waitcnt lgkmcnt(0)
	s_delay_alu instid0(VALU_DEP_1) | instskip(NEXT) | instid1(VALU_DEP_1)
	v_wmma_f32_16x16x16_bf16 v[65:72], v[49:56], v[25:32], v[65:72]
	v_and_b32_e32 v1, 0x7f800000, v65
	s_delay_alu instid0(VALU_DEP_1) | instskip(SKIP_1) | instid1(SALU_CYCLE_1)
	v_cmp_ne_u32_e32 vcc_lo, 0x7f800000, v1
                                        ; implicit-def: $vgpr1
	s_and_saveexec_b32 s3, vcc_lo
	s_xor_b32 s3, exec_lo, s3
; %bb.79:
	v_bfe_u32 v1, v65, 16, 1
	s_delay_alu instid0(VALU_DEP_1)
	v_add3_u32 v1, v65, v1, 0x7fff
; %bb.80:
	s_and_not1_saveexec_b32 s3, s3
; %bb.81:
	v_and_b32_e32 v1, 0xffff, v65
	v_or_b32_e32 v2, 0x10000, v65
	s_delay_alu instid0(VALU_DEP_2) | instskip(NEXT) | instid1(VALU_DEP_2)
	v_cmp_eq_u32_e32 vcc_lo, 0, v1
	v_cndmask_b32_e32 v1, v2, v65, vcc_lo
; %bb.82:
	s_or_b32 exec_lo, exec_lo, s3
	v_and_b32_e32 v2, 0x7f800000, v66
	s_delay_alu instid0(VALU_DEP_1) | instskip(SKIP_1) | instid1(SALU_CYCLE_1)
	v_cmp_ne_u32_e32 vcc_lo, 0x7f800000, v2
                                        ; implicit-def: $vgpr2
	s_and_saveexec_b32 s3, vcc_lo
	s_xor_b32 s3, exec_lo, s3
; %bb.83:
	v_bfe_u32 v2, v66, 16, 1
	s_delay_alu instid0(VALU_DEP_1)
	v_add3_u32 v2, v66, v2, 0x7fff
; %bb.84:
	s_and_not1_saveexec_b32 s3, s3
; %bb.85:
	v_and_b32_e32 v2, 0xffff, v66
	v_or_b32_e32 v3, 0x10000, v66
	s_delay_alu instid0(VALU_DEP_2) | instskip(NEXT) | instid1(VALU_DEP_2)
	v_cmp_eq_u32_e32 vcc_lo, 0, v2
	v_cndmask_b32_e32 v2, v3, v66, vcc_lo
; %bb.86:
	s_or_b32 exec_lo, exec_lo, s3
	v_and_b32_e32 v3, 0x7f800000, v67
	s_delay_alu instid0(VALU_DEP_1) | instskip(SKIP_1) | instid1(SALU_CYCLE_1)
	v_cmp_ne_u32_e32 vcc_lo, 0x7f800000, v3
                                        ; implicit-def: $vgpr3
	s_and_saveexec_b32 s3, vcc_lo
	s_xor_b32 s3, exec_lo, s3
; %bb.87:
	v_bfe_u32 v3, v67, 16, 1
	s_delay_alu instid0(VALU_DEP_1)
	v_add3_u32 v3, v67, v3, 0x7fff
; %bb.88:
	s_and_not1_saveexec_b32 s3, s3
; %bb.89:
	v_and_b32_e32 v3, 0xffff, v67
	v_or_b32_e32 v4, 0x10000, v67
	s_delay_alu instid0(VALU_DEP_2) | instskip(NEXT) | instid1(VALU_DEP_2)
	v_cmp_eq_u32_e32 vcc_lo, 0, v3
	v_cndmask_b32_e32 v3, v4, v67, vcc_lo
; %bb.90:
	s_or_b32 exec_lo, exec_lo, s3
	v_and_b32_e32 v4, 0x7f800000, v68
	s_delay_alu instid0(VALU_DEP_1) | instskip(SKIP_1) | instid1(SALU_CYCLE_1)
	v_cmp_ne_u32_e32 vcc_lo, 0x7f800000, v4
                                        ; implicit-def: $vgpr4
	s_and_saveexec_b32 s3, vcc_lo
	s_xor_b32 s3, exec_lo, s3
; %bb.91:
	v_bfe_u32 v4, v68, 16, 1
	s_delay_alu instid0(VALU_DEP_1)
	v_add3_u32 v4, v68, v4, 0x7fff
; %bb.92:
	s_and_not1_saveexec_b32 s3, s3
; %bb.93:
	v_and_b32_e32 v4, 0xffff, v68
	v_or_b32_e32 v5, 0x10000, v68
	s_delay_alu instid0(VALU_DEP_2) | instskip(NEXT) | instid1(VALU_DEP_2)
	v_cmp_eq_u32_e32 vcc_lo, 0, v4
	v_cndmask_b32_e32 v4, v5, v68, vcc_lo
; %bb.94:
	s_or_b32 exec_lo, exec_lo, s3
	v_and_b32_e32 v5, 0x7f800000, v69
	s_delay_alu instid0(VALU_DEP_1) | instskip(SKIP_1) | instid1(SALU_CYCLE_1)
	v_cmp_ne_u32_e32 vcc_lo, 0x7f800000, v5
                                        ; implicit-def: $vgpr5
	s_and_saveexec_b32 s3, vcc_lo
	s_xor_b32 s3, exec_lo, s3
; %bb.95:
	v_bfe_u32 v5, v69, 16, 1
	s_delay_alu instid0(VALU_DEP_1)
	v_add3_u32 v5, v69, v5, 0x7fff
; %bb.96:
	s_and_not1_saveexec_b32 s3, s3
; %bb.97:
	v_and_b32_e32 v5, 0xffff, v69
	v_or_b32_e32 v6, 0x10000, v69
	s_delay_alu instid0(VALU_DEP_2) | instskip(NEXT) | instid1(VALU_DEP_2)
	v_cmp_eq_u32_e32 vcc_lo, 0, v5
	v_cndmask_b32_e32 v5, v6, v69, vcc_lo
; %bb.98:
	s_or_b32 exec_lo, exec_lo, s3
	v_and_b32_e32 v6, 0x7f800000, v70
	s_delay_alu instid0(VALU_DEP_1) | instskip(SKIP_1) | instid1(SALU_CYCLE_1)
	v_cmp_ne_u32_e32 vcc_lo, 0x7f800000, v6
                                        ; implicit-def: $vgpr6
	s_and_saveexec_b32 s3, vcc_lo
	s_xor_b32 s3, exec_lo, s3
; %bb.99:
	v_bfe_u32 v6, v70, 16, 1
	s_delay_alu instid0(VALU_DEP_1)
	v_add3_u32 v6, v70, v6, 0x7fff
; %bb.100:
	s_and_not1_saveexec_b32 s3, s3
; %bb.101:
	v_and_b32_e32 v6, 0xffff, v70
	v_or_b32_e32 v7, 0x10000, v70
	s_delay_alu instid0(VALU_DEP_2) | instskip(NEXT) | instid1(VALU_DEP_2)
	v_cmp_eq_u32_e32 vcc_lo, 0, v6
	v_cndmask_b32_e32 v6, v7, v70, vcc_lo
; %bb.102:
	s_or_b32 exec_lo, exec_lo, s3
	v_and_b32_e32 v7, 0x7f800000, v71
	s_delay_alu instid0(VALU_DEP_1) | instskip(SKIP_1) | instid1(SALU_CYCLE_1)
	v_cmp_ne_u32_e32 vcc_lo, 0x7f800000, v7
                                        ; implicit-def: $vgpr7
	s_and_saveexec_b32 s3, vcc_lo
	s_xor_b32 s3, exec_lo, s3
; %bb.103:
	v_bfe_u32 v7, v71, 16, 1
	s_delay_alu instid0(VALU_DEP_1)
	v_add3_u32 v7, v71, v7, 0x7fff
; %bb.104:
	s_and_not1_saveexec_b32 s3, s3
; %bb.105:
	v_and_b32_e32 v7, 0xffff, v71
	v_or_b32_e32 v8, 0x10000, v71
	s_delay_alu instid0(VALU_DEP_2) | instskip(NEXT) | instid1(VALU_DEP_2)
	v_cmp_eq_u32_e32 vcc_lo, 0, v7
	v_cndmask_b32_e32 v7, v8, v71, vcc_lo
; %bb.106:
	s_or_b32 exec_lo, exec_lo, s3
	v_and_b32_e32 v8, 0x7f800000, v72
	s_delay_alu instid0(VALU_DEP_1) | instskip(SKIP_1) | instid1(SALU_CYCLE_1)
	v_cmp_ne_u32_e32 vcc_lo, 0x7f800000, v8
                                        ; implicit-def: $vgpr8
	s_and_saveexec_b32 s3, vcc_lo
	s_xor_b32 s3, exec_lo, s3
; %bb.107:
	v_bfe_u32 v8, v72, 16, 1
	s_delay_alu instid0(VALU_DEP_1)
	v_add3_u32 v8, v72, v8, 0x7fff
                                        ; implicit-def: $vgpr65_vgpr66_vgpr67_vgpr68_vgpr69_vgpr70_vgpr71_vgpr72
; %bb.108:
	s_and_not1_saveexec_b32 s3, s3
; %bb.109:
	v_and_b32_e32 v8, 0xffff, v72
	v_or_b32_e32 v9, 0x10000, v72
	s_delay_alu instid0(VALU_DEP_2) | instskip(NEXT) | instid1(VALU_DEP_2)
	v_cmp_eq_u32_e32 vcc_lo, 0, v8
	v_cndmask_b32_e32 v8, v9, v72, vcc_lo
; %bb.110:
	s_or_b32 exec_lo, exec_lo, s3
	s_delay_alu instid0(VALU_DEP_1)
	v_perm_b32 v7, v8, v7, 0x7060302
	v_perm_b32 v6, v6, v5, 0x7060302
	;; [unrolled: 1-line block ×4, first 2 shown]
	s_barrier
	buffer_gl0_inv
	v_cmp_eq_u32_e32 vcc_lo, 1, v79
	ds_store_b128 v77, v[4:7]
	s_waitcnt lgkmcnt(0)
	s_barrier
	buffer_gl0_inv
	ds_load_b128 v[1:4], v82
	ds_load_b128 v[5:8], v82 offset:16
	v_cmp_eq_u32_e64 s3, 1, v80
	v_cmp_eq_u32_e64 s4, 2, v79
	;; [unrolled: 1-line block ×5, first 2 shown]
	s_waitcnt lgkmcnt(1)
	v_lshrrev_b32_e32 v9, 16, v1
	s_waitcnt lgkmcnt(0)
	v_lshrrev_b32_e32 v13, 16, v5
	v_lshrrev_b32_e32 v10, 16, v2
	;; [unrolled: 1-line block ×4, first 2 shown]
	v_cndmask_b32_e64 v19, v1, v9, s3
	v_cndmask_b32_e32 v18, v5, v13, vcc_lo
	v_cndmask_b32_e64 v20, v5, v13, s3
	v_cndmask_b32_e32 v17, v1, v9, vcc_lo
	v_cmp_eq_u32_e32 vcc_lo, 2, v80
	v_lshrrev_b32_e32 v15, 16, v7
	v_cmp_eq_u32_e64 s3, 1, v78
	v_lshrrev_b32_e32 v12, 16, v4
	v_lshrrev_b32_e32 v16, 16, v8
	v_cndmask_b32_e32 v20, v20, v6, vcc_lo
	v_cndmask_b32_e64 v17, v17, v2, s4
	v_cndmask_b32_e32 v19, v19, v2, vcc_lo
	v_cndmask_b32_e64 v18, v18, v6, s4
	v_cmp_eq_u32_e32 vcc_lo, 4, v79
	v_cmp_eq_u32_e64 s4, 3, v80
	v_cndmask_b32_e64 v17, v17, v10, s5
	v_cndmask_b32_e64 v21, v1, v9, s3
	;; [unrolled: 1-line block ×5, first 2 shown]
	v_cndmask_b32_e32 v17, v17, v3, vcc_lo
	v_cndmask_b32_e64 v20, v20, v14, s4
	v_cndmask_b32_e32 v18, v18, v7, vcc_lo
	v_cmp_eq_u32_e32 vcc_lo, 4, v80
	v_cmp_eq_u32_e64 s4, 5, v80
	v_cmp_eq_u32_e64 s3, 2, v81
	v_cndmask_b32_e64 v21, v21, v2, s7
	v_cmp_eq_u32_e64 s5, 5, v79
	v_cndmask_b32_e32 v19, v19, v3, vcc_lo
	v_cndmask_b32_e32 v20, v20, v7, vcc_lo
	v_cmp_eq_u32_e32 vcc_lo, 6, v80
	s_delay_alu instid0(VALU_DEP_4) | instskip(NEXT) | instid1(VALU_DEP_4)
	v_cndmask_b32_e64 v17, v17, v11, s5
	v_cndmask_b32_e64 v19, v19, v11, s4
	s_delay_alu instid0(VALU_DEP_4) | instskip(SKIP_1) | instid1(VALU_DEP_3)
	v_cndmask_b32_e64 v20, v20, v15, s4
	v_cmp_eq_u32_e64 s4, 1, v81
	v_cndmask_b32_e32 v19, v19, v4, vcc_lo
	v_cndmask_b32_e64 v18, v18, v15, s5
	s_delay_alu instid0(VALU_DEP_3)
	v_cndmask_b32_e64 v1, v1, v9, s4
	v_cndmask_b32_e64 v5, v5, v13, s4
	v_cmp_eq_u32_e64 s4, 3, v78
	v_cndmask_b32_e64 v13, v22, v6, s7
	v_cmp_eq_u32_e64 s7, 3, v81
	v_cndmask_b32_e64 v1, v1, v2, s3
	v_cndmask_b32_e64 v2, v5, v6, s3
	;; [unrolled: 1-line block ×3, first 2 shown]
	v_cmp_eq_u32_e64 s3, 4, v78
	v_cndmask_b32_e64 v6, v13, v14, s4
	v_cndmask_b32_e64 v1, v1, v10, s7
	v_cmp_eq_u32_e64 s4, 4, v81
	v_cndmask_b32_e64 v2, v2, v14, s7
	v_cndmask_b32_e64 v5, v9, v3, s3
	;; [unrolled: 3-line block ×3, first 2 shown]
	v_cndmask_b32_e64 v2, v2, v7, s4
	v_cmp_eq_u32_e64 s3, 5, v81
	v_cmp_eq_u32_e64 s5, 6, v79
	v_cndmask_b32_e64 v5, v5, v11, s7
	v_cmp_eq_u32_e64 s4, 6, v78
	v_cndmask_b32_e64 v3, v6, v15, s7
	v_cndmask_b32_e64 v1, v1, v11, s3
	v_cmp_eq_u32_e64 s7, 6, v81
	v_cndmask_b32_e64 v2, v2, v15, s3
	v_cndmask_b32_e64 v17, v17, v4, s5
	v_cndmask_b32_e64 v18, v18, v8, s5
	v_cmp_eq_u32_e64 s5, 7, v79
	v_cndmask_b32_e64 v5, v5, v4, s4
	;; [unrolled: 4-line block ×3, first 2 shown]
	v_cmp_eq_u32_e64 s4, 7, v78
	v_cndmask_b32_e32 v4, v20, v8, vcc_lo
	v_cndmask_b32_e64 v17, v17, v12, s5
	v_cndmask_b32_e64 v19, v19, v12, s6
	;; [unrolled: 1-line block ×8, first 2 shown]
	v_cmp_gt_u32_e32 vcc_lo, 32, v0
	v_perm_b32 v4, v2, v1, 0x5040100
	v_perm_b32 v3, v3, v5, 0x5040100
	;; [unrolled: 1-line block ×4, first 2 shown]
	s_and_b32 s2, vcc_lo, s2
	ds_store_b128 v77, v[1:4]
	s_waitcnt lgkmcnt(0)
	s_barrier
	buffer_gl0_inv
	s_and_saveexec_b32 s3, s2
	s_cbranch_execz .LBB1677_2
; %bb.111:
	s_load_b64 s[0:1], s[0:1], 0x68
	v_lshlrev_b32_e32 v0, 10, v0
	s_lshl_b32 s4, s34, 6
	v_or_b32_e32 v23, s31, v74
	s_mul_i32 s2, s4, s30
	v_lshlrev_b32_e32 v1, 4, v75
	v_lshlrev_b32_e32 v2, 6, v74
	s_mul_i32 s2, s2, s8
	v_and_b32_e32 v0, 0x3800, v0
	v_mul_lo_u32 v8, v23, s4
	s_ashr_i32 s3, s2, 31
	v_or_b32_e32 v3, 2, v23
	s_lshl_b64 s[2:3], s[2:3], 1
	v_or3_b32 v27, v0, v1, v2
	v_or_b32_e32 v11, 4, v23
	v_or_b32_e32 v18, 6, v23
	v_mul_lo_u32 v10, v3, s4
	v_ashrrev_i32_e32 v9, 31, v8
	ds_load_b128 v[0:3], v27
	ds_load_b128 v[4:7], v27 offset:128
	v_mul_lo_u32 v12, v11, s4
	s_waitcnt lgkmcnt(0)
	s_add_u32 s2, s0, s2
	s_addc_u32 s3, s1, s3
	s_lshl_b32 s0, s14, 6
	v_lshlrev_b64 v[8:9], 1, v[8:9]
	s_ashr_i32 s1, s0, 31
	v_ashrrev_i32_e32 v11, 31, v10
	s_lshl_b64 s[0:1], s[0:1], 1
	v_ashrrev_i32_e32 v13, 31, v12
	s_add_u32 s0, s2, s0
	s_addc_u32 s1, s3, s1
	v_add_co_u32 v30, s0, s0, v73
	s_delay_alu instid0(VALU_DEP_1) | instskip(SKIP_1) | instid1(VALU_DEP_3)
	v_add_co_ci_u32_e64 v31, null, s1, 0, s0
	v_lshlrev_b64 v[16:17], 1, v[10:11]
	v_add_co_u32 v14, vcc_lo, v30, v8
	s_delay_alu instid0(VALU_DEP_3)
	v_add_co_ci_u32_e32 v15, vcc_lo, v31, v9, vcc_lo
	ds_load_b128 v[8:11], v27 offset:256
	v_mul_lo_u32 v18, v18, s4
	v_or_b32_e32 v19, 8, v23
	v_add_co_u32 v16, vcc_lo, v30, v16
	global_store_b128 v[14:15], v[0:3], off
	v_lshlrev_b64 v[0:1], 1, v[12:13]
	v_add_co_ci_u32_e32 v17, vcc_lo, v31, v17, vcc_lo
	v_mul_lo_u32 v12, v19, s4
	v_ashrrev_i32_e32 v19, 31, v18
	v_or_b32_e32 v14, 10, v23
	global_store_b128 v[16:17], v[4:7], off
	v_add_co_u32 v4, vcc_lo, v30, v0
	v_add_co_ci_u32_e32 v5, vcc_lo, v31, v1, vcc_lo
	ds_load_b128 v[0:3], v27 offset:384
	v_ashrrev_i32_e32 v13, 31, v12
	v_lshlrev_b64 v[6:7], 1, v[18:19]
	v_mul_lo_u32 v14, v14, s4
	s_waitcnt lgkmcnt(1)
	global_store_b128 v[4:5], v[8:11], off
	v_or_b32_e32 v8, 12, v23
	v_lshlrev_b64 v[4:5], 1, v[12:13]
	v_add_co_u32 v20, vcc_lo, v30, v6
	v_or_b32_e32 v6, 14, v23
	v_ashrrev_i32_e32 v15, 31, v14
	v_mul_lo_u32 v22, v8, s4
	v_add_co_ci_u32_e32 v21, vcc_lo, v31, v7, vcc_lo
	v_add_co_u32 v24, vcc_lo, v30, v4
	v_mul_lo_u32 v26, v6, s4
	v_add_co_ci_u32_e32 v25, vcc_lo, v31, v5, vcc_lo
	v_lshlrev_b64 v[28:29], 1, v[14:15]
	ds_load_b128 v[4:7], v27 offset:512
	ds_load_b128 v[8:11], v27 offset:640
	;; [unrolled: 1-line block ×4, first 2 shown]
	v_ashrrev_i32_e32 v23, 31, v22
	v_ashrrev_i32_e32 v27, 31, v26
	v_add_co_u32 v28, vcc_lo, v30, v28
	s_delay_alu instid0(VALU_DEP_3) | instskip(SKIP_1) | instid1(VALU_DEP_4)
	v_lshlrev_b64 v[22:23], 1, v[22:23]
	v_add_co_ci_u32_e32 v29, vcc_lo, v31, v29, vcc_lo
	v_lshlrev_b64 v[26:27], 1, v[26:27]
	s_delay_alu instid0(VALU_DEP_3) | instskip(NEXT) | instid1(VALU_DEP_4)
	v_add_co_u32 v22, vcc_lo, v30, v22
	v_add_co_ci_u32_e32 v23, vcc_lo, v31, v23, vcc_lo
	s_delay_alu instid0(VALU_DEP_3) | instskip(NEXT) | instid1(VALU_DEP_4)
	v_add_co_u32 v26, vcc_lo, v30, v26
	v_add_co_ci_u32_e32 v27, vcc_lo, v31, v27, vcc_lo
	s_waitcnt lgkmcnt(4)
	global_store_b128 v[20:21], v[0:3], off
	s_waitcnt lgkmcnt(3)
	global_store_b128 v[24:25], v[4:7], off
	;; [unrolled: 2-line block ×5, first 2 shown]
	s_nop 0
	s_sendmsg sendmsg(MSG_DEALLOC_VGPRS)
	s_endpgm
	.section	.rodata,"a",@progbits
	.p2align	6, 0x0
	.amdhsa_kernel _Z39paged_attention_ll4mi_QKV_mfma16_kernelI14__hip_bfloat16hLN4vllm18Fp8KVCacheDataTypeE1EhLi16ELi64ELi256ELb1ELi16EL8MFMAType0EEvPKT_PKT0_S9_ifPKiSB_SB_iPKfiiiPfSE_PS4_PT2_iSD_SD_
		.amdhsa_group_segment_fixed_size 17472
		.amdhsa_private_segment_fixed_size 0
		.amdhsa_kernarg_size 400
		.amdhsa_user_sgpr_count 13
		.amdhsa_user_sgpr_dispatch_ptr 0
		.amdhsa_user_sgpr_queue_ptr 0
		.amdhsa_user_sgpr_kernarg_segment_ptr 1
		.amdhsa_user_sgpr_dispatch_id 0
		.amdhsa_user_sgpr_private_segment_size 0
		.amdhsa_wavefront_size32 1
		.amdhsa_uses_dynamic_stack 0
		.amdhsa_enable_private_segment 0
		.amdhsa_system_sgpr_workgroup_id_x 1
		.amdhsa_system_sgpr_workgroup_id_y 1
		.amdhsa_system_sgpr_workgroup_id_z 1
		.amdhsa_system_sgpr_workgroup_info 0
		.amdhsa_system_vgpr_workitem_id 0
		.amdhsa_next_free_vgpr 125
		.amdhsa_next_free_sgpr 38
		.amdhsa_reserve_vcc 1
		.amdhsa_float_round_mode_32 0
		.amdhsa_float_round_mode_16_64 0
		.amdhsa_float_denorm_mode_32 3
		.amdhsa_float_denorm_mode_16_64 3
		.amdhsa_dx10_clamp 1
		.amdhsa_ieee_mode 1
		.amdhsa_fp16_overflow 0
		.amdhsa_workgroup_processor_mode 1
		.amdhsa_memory_ordered 1
		.amdhsa_forward_progress 0
		.amdhsa_shared_vgpr_count 0
		.amdhsa_exception_fp_ieee_invalid_op 0
		.amdhsa_exception_fp_denorm_src 0
		.amdhsa_exception_fp_ieee_div_zero 0
		.amdhsa_exception_fp_ieee_overflow 0
		.amdhsa_exception_fp_ieee_underflow 0
		.amdhsa_exception_fp_ieee_inexact 0
		.amdhsa_exception_int_div_zero 0
	.end_amdhsa_kernel
	.section	.text._Z39paged_attention_ll4mi_QKV_mfma16_kernelI14__hip_bfloat16hLN4vllm18Fp8KVCacheDataTypeE1EhLi16ELi64ELi256ELb1ELi16EL8MFMAType0EEvPKT_PKT0_S9_ifPKiSB_SB_iPKfiiiPfSE_PS4_PT2_iSD_SD_,"axG",@progbits,_Z39paged_attention_ll4mi_QKV_mfma16_kernelI14__hip_bfloat16hLN4vllm18Fp8KVCacheDataTypeE1EhLi16ELi64ELi256ELb1ELi16EL8MFMAType0EEvPKT_PKT0_S9_ifPKiSB_SB_iPKfiiiPfSE_PS4_PT2_iSD_SD_,comdat
.Lfunc_end1677:
	.size	_Z39paged_attention_ll4mi_QKV_mfma16_kernelI14__hip_bfloat16hLN4vllm18Fp8KVCacheDataTypeE1EhLi16ELi64ELi256ELb1ELi16EL8MFMAType0EEvPKT_PKT0_S9_ifPKiSB_SB_iPKfiiiPfSE_PS4_PT2_iSD_SD_, .Lfunc_end1677-_Z39paged_attention_ll4mi_QKV_mfma16_kernelI14__hip_bfloat16hLN4vllm18Fp8KVCacheDataTypeE1EhLi16ELi64ELi256ELb1ELi16EL8MFMAType0EEvPKT_PKT0_S9_ifPKiSB_SB_iPKfiiiPfSE_PS4_PT2_iSD_SD_
                                        ; -- End function
	.section	.AMDGPU.csdata,"",@progbits
; Kernel info:
; codeLenInByte = 8912
; NumSgprs: 40
; NumVgprs: 125
; ScratchSize: 0
; MemoryBound: 0
; FloatMode: 240
; IeeeMode: 1
; LDSByteSize: 17472 bytes/workgroup (compile time only)
; SGPRBlocks: 4
; VGPRBlocks: 15
; NumSGPRsForWavesPerEU: 40
; NumVGPRsForWavesPerEU: 125
; Occupancy: 10
; WaveLimiterHint : 1
; COMPUTE_PGM_RSRC2:SCRATCH_EN: 0
; COMPUTE_PGM_RSRC2:USER_SGPR: 13
; COMPUTE_PGM_RSRC2:TRAP_HANDLER: 0
; COMPUTE_PGM_RSRC2:TGID_X_EN: 1
; COMPUTE_PGM_RSRC2:TGID_Y_EN: 1
; COMPUTE_PGM_RSRC2:TGID_Z_EN: 1
; COMPUTE_PGM_RSRC2:TIDIG_COMP_CNT: 0
	.section	.text._Z39paged_attention_ll4mi_QKV_mfma16_kernelI14__hip_bfloat16hLN4vllm18Fp8KVCacheDataTypeE1EhLi16ELi64ELi256ELb1ELi1EL8MFMAType0EEvPKT_PKT0_S9_ifPKiSB_SB_iPKfiiiPfSE_PS4_PT2_iSD_SD_,"axG",@progbits,_Z39paged_attention_ll4mi_QKV_mfma16_kernelI14__hip_bfloat16hLN4vllm18Fp8KVCacheDataTypeE1EhLi16ELi64ELi256ELb1ELi1EL8MFMAType0EEvPKT_PKT0_S9_ifPKiSB_SB_iPKfiiiPfSE_PS4_PT2_iSD_SD_,comdat
	.protected	_Z39paged_attention_ll4mi_QKV_mfma16_kernelI14__hip_bfloat16hLN4vllm18Fp8KVCacheDataTypeE1EhLi16ELi64ELi256ELb1ELi1EL8MFMAType0EEvPKT_PKT0_S9_ifPKiSB_SB_iPKfiiiPfSE_PS4_PT2_iSD_SD_ ; -- Begin function _Z39paged_attention_ll4mi_QKV_mfma16_kernelI14__hip_bfloat16hLN4vllm18Fp8KVCacheDataTypeE1EhLi16ELi64ELi256ELb1ELi1EL8MFMAType0EEvPKT_PKT0_S9_ifPKiSB_SB_iPKfiiiPfSE_PS4_PT2_iSD_SD_
	.globl	_Z39paged_attention_ll4mi_QKV_mfma16_kernelI14__hip_bfloat16hLN4vllm18Fp8KVCacheDataTypeE1EhLi16ELi64ELi256ELb1ELi1EL8MFMAType0EEvPKT_PKT0_S9_ifPKiSB_SB_iPKfiiiPfSE_PS4_PT2_iSD_SD_
	.p2align	8
	.type	_Z39paged_attention_ll4mi_QKV_mfma16_kernelI14__hip_bfloat16hLN4vllm18Fp8KVCacheDataTypeE1EhLi16ELi64ELi256ELb1ELi1EL8MFMAType0EEvPKT_PKT0_S9_ifPKiSB_SB_iPKfiiiPfSE_PS4_PT2_iSD_SD_,@function
_Z39paged_attention_ll4mi_QKV_mfma16_kernelI14__hip_bfloat16hLN4vllm18Fp8KVCacheDataTypeE1EhLi16ELi64ELi256ELb1ELi1EL8MFMAType0EEvPKT_PKT0_S9_ifPKiSB_SB_iPKfiiiPfSE_PS4_PT2_iSD_SD_: ; @_Z39paged_attention_ll4mi_QKV_mfma16_kernelI14__hip_bfloat16hLN4vllm18Fp8KVCacheDataTypeE1EhLi16ELi64ELi256ELb1ELi1EL8MFMAType0EEvPKT_PKT0_S9_ifPKiSB_SB_iPKfiiiPfSE_PS4_PT2_iSD_SD_
; %bb.0:
	s_load_b64 s[4:5], s[0:1], 0x30
	s_mov_b32 s34, s13
	s_waitcnt lgkmcnt(0)
	s_cmp_lg_u64 s[4:5], 0
	s_cselect_b32 s6, -1, 0
	s_ashr_i32 s35, s13, 31
	s_cmp_eq_u64 s[4:5], 0
	s_cbranch_scc1 .LBB1678_3
; %bb.1:
	s_lshl_b64 s[2:3], s[34:35], 2
	s_delay_alu instid0(SALU_CYCLE_1) | instskip(SKIP_4) | instid1(SALU_CYCLE_1)
	s_add_u32 s2, s4, s2
	s_addc_u32 s3, s5, s3
	s_load_b64 s[2:3], s[2:3], 0x0
	s_waitcnt lgkmcnt(0)
	s_sub_i32 s2, s3, s2
	s_cmp_eq_u32 s2, 1
	s_cselect_b32 s2, -1, 0
	s_delay_alu instid0(SALU_CYCLE_1)
	s_and_not1_b32 vcc_lo, exec_lo, s2
	s_cbranch_vccz .LBB1678_4
.LBB1678_2:
	s_endpgm
.LBB1678_3:
.LBB1678_4:
	s_load_b64 s[2:3], s[0:1], 0x28
	s_lshl_b64 s[8:9], s[34:35], 2
	s_waitcnt lgkmcnt(0)
	s_add_u32 s2, s2, s8
	s_addc_u32 s3, s3, s9
	s_lshl_b32 s12, s14, 8
	s_load_b32 s33, s[2:3], 0x0
	s_waitcnt lgkmcnt(0)
	s_cmp_ge_i32 s12, s33
	s_cbranch_scc1 .LBB1678_2
; %bb.5:
	s_clause 0x1
	s_load_b128 s[28:31], s[0:1], 0x8
	s_load_b64 s[2:3], s[0:1], 0x20
	s_and_not1_b32 vcc_lo, exec_lo, s6
	s_mov_b64 s[6:7], s[34:35]
	s_cbranch_vccnz .LBB1678_7
; %bb.6:
	s_add_u32 s4, s4, s8
	s_addc_u32 s5, s5, s9
	s_load_b32 s6, s[4:5], 0x0
.LBB1678_7:
	s_load_b128 s[24:27], s[0:1], 0x48
	v_and_b32_e32 v73, 15, v0
	s_mov_b32 s13, exec_lo
                                        ; implicit-def: $sgpr16
                                        ; implicit-def: $sgpr4
	s_delay_alu instid0(VALU_DEP_1)
	v_cmpx_eq_u32_e32 0, v73
	s_cbranch_execz .LBB1678_9
; %bb.8:
	s_load_b64 s[4:5], s[0:1], 0x0
	s_waitcnt lgkmcnt(0)
	s_mul_hi_i32 s7, s6, s24
	s_mul_i32 s6, s6, s24
	s_delay_alu instid0(SALU_CYCLE_1) | instskip(NEXT) | instid1(SALU_CYCLE_1)
	s_lshl_b64 s[6:7], s[6:7], 1
	s_add_u32 s6, s4, s6
	s_addc_u32 s7, s5, s7
	s_lshl_b32 s4, s15, 6
	s_delay_alu instid0(SALU_CYCLE_1) | instskip(NEXT) | instid1(SALU_CYCLE_1)
	s_ashr_i32 s5, s4, 31
	s_lshl_b64 s[4:5], s[4:5], 1
	s_delay_alu instid0(SALU_CYCLE_1)
	s_add_u32 s4, s6, s4
	s_addc_u32 s5, s7, s5
	s_clause 0x1
	s_load_b256 s[16:23], s[4:5], 0x0
	s_load_b256 s[4:11], s[4:5], 0x40
.LBB1678_9:
	s_or_b32 exec_lo, exec_lo, s13
	s_waitcnt lgkmcnt(0)
	v_dual_mov_b32 v114, s23 :: v_dual_and_b32 v1, 0xef, v0
	s_add_i32 s13, s33, 15
	s_load_b32 s27, s[0:1], 0x38
	s_ashr_i32 s24, s13, 31
	s_delay_alu instid0(VALU_DEP_1) | instskip(SKIP_3) | instid1(VALU_DEP_2)
	v_dual_mov_b32 v112, s21 :: v_dual_add_nc_u32 v1, s12, v1
	s_lshr_b32 s24, s24, 28
	v_lshrrev_b32_e32 v65, 5, v0
	s_add_i32 s13, s13, s24
	v_ashrrev_i32_e32 v2, 31, v1
	v_or_b32_e32 v3, 16, v1
	s_ashr_i32 s13, s13, 4
	v_cmp_gt_i32_e32 vcc_lo, s33, v1
	s_add_i32 s13, s13, -1
	v_lshrrev_b32_e32 v2, 28, v2
	s_load_b32 s24, s[0:1], 0x1c
	v_mbcnt_lo_u32_b32 v67, -1, 0
	v_dual_mov_b32 v113, s22 :: v_dual_lshlrev_b32 v74, 4, v73
	s_delay_alu instid0(VALU_DEP_3) | instskip(SKIP_1) | instid1(VALU_DEP_4)
	v_add_nc_u32_e32 v4, v1, v2
	v_mov_b32_e32 v110, s19
	v_xor_b32_e32 v68, 16, v67
	s_waitcnt lgkmcnt(0)
	s_mul_i32 s36, s34, s27
	v_mov_b32_e32 v108, s17
	v_ashrrev_i32_e32 v4, 4, v4
	v_add_nc_u32_e32 v2, v3, v2
	s_ashr_i32 s37, s36, 31
	v_and_b32_e32 v66, 0xe0, v0
	s_lshl_b64 s[36:37], s[36:37], 2
	v_cndmask_b32_e32 v1, s13, v4, vcc_lo
	v_ashrrev_i32_e32 v2, 4, v2
	v_cmp_gt_i32_e32 vcc_lo, s33, v3
	s_add_u32 s36, s2, s36
	s_addc_u32 s35, s3, s37
	s_mul_i32 s37, s15, s26
	v_add_nc_u32_e32 v66, s12, v66
	v_cndmask_b32_e32 v3, s13, v2, vcc_lo
	v_ashrrev_i32_e32 v2, 31, v1
	s_ashr_i32 s38, s37, 31
	s_add_u32 s39, s28, s37
	s_addc_u32 s46, s29, s38
	v_ashrrev_i32_e32 v4, 31, v3
	v_lshlrev_b64 v[1:2], 2, v[1:2]
	s_lshl_b32 s2, s14, 4
	s_delay_alu instid0(SALU_CYCLE_1) | instskip(NEXT) | instid1(VALU_DEP_2)
	s_ashr_i32 s3, s2, 31
	v_lshlrev_b64 v[3:4], 2, v[3:4]
	s_lshl_b64 s[2:3], s[2:3], 2
	s_delay_alu instid0(VALU_DEP_2) | instskip(SKIP_1) | instid1(VALU_DEP_3)
	v_add_co_u32 v1, vcc_lo, s36, v1
	v_add_co_ci_u32_e32 v2, vcc_lo, s35, v2, vcc_lo
	v_add_co_u32 v3, vcc_lo, s36, v3
	s_delay_alu instid0(VALU_DEP_4)
	v_add_co_ci_u32_e32 v4, vcc_lo, s35, v4, vcc_lo
	s_clause 0x1
	global_load_b32 v5, v[1:2], off
	global_load_b32 v7, v[3:4], off
	s_add_u32 s2, s36, s2
	s_addc_u32 s3, s35, s3
	s_or_b32 s26, s12, 32
	v_lshlrev_b32_e32 v1, 4, v0
	s_ashr_i32 s27, s26, 4
	s_cmp_lt_i32 s26, s33
	v_cmp_gt_i32_e32 vcc_lo, 32, v68
	s_cselect_b32 s26, s27, s13
	v_and_b32_e32 v1, 0xf0, v1
	s_ashr_i32 s27, s26, 31
	s_delay_alu instid0(SALU_CYCLE_1) | instskip(NEXT) | instid1(SALU_CYCLE_1)
	s_lshl_b64 s[26:27], s[26:27], 2
	s_add_u32 s26, s36, s26
	s_addc_u32 s27, s35, s27
	s_or_b32 s28, s12, 64
	v_add_co_u32 v1, s39, s39, v1
	s_ashr_i32 s29, s28, 4
	s_cmp_lt_i32 s28, s33
	v_add_co_ci_u32_e64 v2, null, s46, 0, s39
	s_cselect_b32 s28, s29, s13
	s_delay_alu instid0(SALU_CYCLE_1) | instskip(NEXT) | instid1(SALU_CYCLE_1)
	s_ashr_i32 s29, s28, 31
	s_lshl_b64 s[28:29], s[28:29], 2
	s_delay_alu instid0(SALU_CYCLE_1) | instskip(SKIP_2) | instid1(SALU_CYCLE_1)
	s_add_u32 s40, s36, s28
	s_addc_u32 s41, s35, s29
	s_or_b32 s28, s12, 0x60
	s_ashr_i32 s29, s28, 4
	s_cmp_lt_i32 s28, s33
	s_cselect_b32 s28, s29, s13
	s_delay_alu instid0(SALU_CYCLE_1) | instskip(NEXT) | instid1(SALU_CYCLE_1)
	s_ashr_i32 s29, s28, 31
	s_lshl_b64 s[28:29], s[28:29], 2
	s_delay_alu instid0(SALU_CYCLE_1) | instskip(SKIP_2) | instid1(SALU_CYCLE_1)
	s_add_u32 s42, s36, s28
	s_addc_u32 s43, s35, s29
	s_or_b32 s28, s12, 0x80
	s_ashr_i32 s29, s28, 4
	s_cmp_lt_i32 s28, s33
	;; [unrolled: 10-line block ×3, first 2 shown]
	s_cselect_b32 s28, s29, s13
	s_delay_alu instid0(SALU_CYCLE_1) | instskip(NEXT) | instid1(SALU_CYCLE_1)
	s_ashr_i32 s29, s28, 31
	s_lshl_b64 s[28:29], s[28:29], 2
	s_delay_alu instid0(SALU_CYCLE_1)
	s_add_u32 s46, s36, s28
	s_addc_u32 s47, s35, s29
	s_clause 0x5
	s_load_b32 s29, s[2:3], 0x0
	s_load_b32 s2, s[26:27], 0x0
	;; [unrolled: 1-line block ×6, first 2 shown]
	s_or_b32 s39, s12, 0xc0
	s_delay_alu instid0(SALU_CYCLE_1) | instskip(SKIP_2) | instid1(SALU_CYCLE_1)
	s_ashr_i32 s40, s39, 4
	s_cmp_lt_i32 s39, s33
	s_cselect_b32 s40, s40, s13
	s_ashr_i32 s41, s40, 31
	s_delay_alu instid0(SALU_CYCLE_1) | instskip(NEXT) | instid1(SALU_CYCLE_1)
	s_lshl_b64 s[40:41], s[40:41], 2
	s_add_u32 s40, s36, s40
	s_addc_u32 s41, s35, s41
	s_or_b32 s39, s12, 0xe0
	s_delay_alu instid0(SALU_CYCLE_1) | instskip(SKIP_2) | instid1(SALU_CYCLE_1)
	s_ashr_i32 s42, s39, 4
	s_cmp_lt_i32 s39, s33
	s_cselect_b32 s42, s42, s13
	s_ashr_i32 s43, s42, 31
	s_delay_alu instid0(SALU_CYCLE_1)
	s_lshl_b64 s[42:43], s[42:43], 2
	s_waitcnt vmcnt(1)
	v_mad_i64_i32 v[3:4], null, v5, s25, v[1:2]
	s_waitcnt vmcnt(0)
	v_mad_i64_i32 v[5:6], null, v7, s25, v[1:2]
	s_clause 0x7
	global_load_b128 v[75:78], v[3:4], off
	global_load_b128 v[79:82], v[3:4], off offset:256
	global_load_b128 v[83:86], v[5:6], off
	global_load_b128 v[87:90], v[5:6], off offset:256
	global_load_b128 v[91:94], v[3:4], off offset:512
	;; [unrolled: 1-line block ×5, first 2 shown]
	v_lshl_or_b32 v1, v65, 8, v74
	s_load_b32 s13, s[40:41], 0x0
	s_add_u32 s40, s36, s42
	s_addc_u32 s41, s35, s43
	s_add_u32 s30, s30, s37
	s_addc_u32 s31, s31, s38
	v_add_co_u32 v1, s30, s30, v1
	s_delay_alu instid0(VALU_DEP_1) | instskip(SKIP_3) | instid1(VALU_DEP_1)
	v_add_co_ci_u32_e64 v2, null, s31, 0, s30
	s_load_b32 s30, s[40:41], 0x0
	s_mov_b32 s36, 0
	s_waitcnt lgkmcnt(0)
	v_mad_i64_i32 v[3:4], null, s29, s25, v[1:2]
	v_mad_i64_i32 v[9:10], null, s26, s25, v[1:2]
	;; [unrolled: 1-line block ×7, first 2 shown]
	s_clause 0x5
	global_load_b128 v[49:52], v[3:4], off
	global_load_b128 v[53:56], v[3:4], off offset:16
	global_load_b128 v[41:44], v[5:6], off
	global_load_b128 v[45:48], v[5:6], off offset:16
	;; [unrolled: 2-line block ×3, first 2 shown]
	s_mov_b32 s43, s36
	s_mov_b32 s37, s36
	v_mad_i64_i32 v[61:62], null, s30, s25, v[1:2]
	s_clause 0x9
	global_load_b128 v[25:28], v[9:10], off
	global_load_b128 v[29:32], v[9:10], off offset:16
	global_load_b128 v[1:4], v[11:12], off
	global_load_b128 v[5:8], v[11:12], off offset:16
	;; [unrolled: 2-line block ×5, first 2 shown]
	s_mov_b32 s38, s36
	s_mov_b32 s39, s36
	;; [unrolled: 1-line block ×5, first 2 shown]
	v_dual_mov_b32 v111, s20 :: v_dual_mov_b32 v122, s43
	v_dual_mov_b32 v109, s18 :: v_dual_mov_b32 v120, s41
	;; [unrolled: 1-line block ×4, first 2 shown]
	v_mov_b32_e32 v119, s40
	v_mov_b32_e32 v117, s38
	;; [unrolled: 1-line block ×3, first 2 shown]
	s_waitcnt vmcnt(0)
	s_barrier
	buffer_gl0_inv
	v_wmma_f32_16x16x16_bf16 v[123:130], v[75:82], v[107:114], v[115:122]
	v_bfe_u32 v75, v0, 4, 1
	v_wmma_f32_16x16x16_bf16 v[115:122], v[83:90], v[107:114], v[115:122]
	v_dual_mov_b32 v83, s11 :: v_dual_mov_b32 v80, s8
	v_mov_b32_e32 v82, s10
	s_delay_alu instid0(VALU_DEP_4) | instskip(SKIP_3) | instid1(VALU_DEP_4)
	v_or_b32_e32 v66, v66, v75
	v_dual_mov_b32 v81, s9 :: v_dual_mov_b32 v78, s6
	v_dual_mov_b32 v79, s7 :: v_dual_mov_b32 v76, s4
	v_mov_b32_e32 v77, s5
	v_or_b32_e32 v69, 4, v66
	v_or_b32_e32 v70, 6, v66
	;; [unrolled: 1-line block ×3, first 2 shown]
	v_cmp_gt_i32_e64 s2, s33, v66
	v_wmma_f32_16x16x16_bf16 v[123:130], v[91:98], v[76:83], v[123:130]
	v_cndmask_b32_e32 v67, v67, v68, vcc_lo
	v_or_b32_e32 v68, 2, v66
	v_wmma_f32_16x16x16_bf16 v[115:122], v[99:106], v[76:83], v[115:122]
	v_or_b32_e32 v72, 10, v66
	v_dual_mul_f32 v82, s24, v126 :: v_dual_mul_f32 v81, s24, v127
	v_dual_mul_f32 v92, s24, v124 :: v_dual_mul_f32 v93, s24, v123
	s_delay_alu instid0(VALU_DEP_4) | instskip(SKIP_2) | instid1(VALU_DEP_4)
	v_mul_f32_e32 v96, s24, v120
	v_cmp_gt_i32_e32 vcc_lo, s33, v68
	v_dual_mul_f32 v83, s24, v125 :: v_dual_mul_f32 v94, s24, v122
	v_cndmask_b32_e64 v93, 0xff7fffff, v93, s2
	v_cmp_gt_i32_e64 s3, s33, v69
	v_cndmask_b32_e32 v92, 0xff7fffff, v92, vcc_lo
	v_cmp_gt_i32_e64 s4, s33, v70
	v_cmp_gt_i32_e64 s5, s33, v71
	v_or_b32_e32 v84, 12, v66
	v_or_b32_e32 v85, 14, v66
	v_dual_mul_f32 v79, s24, v129 :: v_dual_mul_f32 v80, s24, v128
	v_cndmask_b32_e64 v69, 0xff7fffff, v83, s3
	v_cndmask_b32_e64 v70, 0xff7fffff, v82, s4
	;; [unrolled: 1-line block ×3, first 2 shown]
	v_cmp_gt_i32_e64 s6, s33, v72
	v_lshlrev_b32_e32 v81, 2, v67
	v_max3_f32 v82, v93, 0xff7fffff, v92
	v_or_b32_e32 v86, 16, v66
	v_or_b32_e32 v87, 18, v66
	v_mul_f32_e32 v78, s24, v130
	v_cndmask_b32_e64 v72, 0xff7fffff, v80, s6
	v_max3_f32 v69, v82, v69, v70
	v_cmp_gt_i32_e64 s7, s33, v84
	v_cmp_gt_i32_e64 s8, s33, v85
	v_or_b32_e32 v88, 20, v66
	v_or_b32_e32 v89, 22, v66
	;; [unrolled: 1-line block ×6, first 2 shown]
	v_dual_mul_f32 v97, s24, v119 :: v_dual_mul_f32 v68, s24, v116
	v_dual_mul_f32 v99, s24, v117 :: v_dual_mul_f32 v66, s24, v115
	v_cndmask_b32_e64 v70, 0xff7fffff, v79, s7
	v_cndmask_b32_e64 v78, 0xff7fffff, v78, s8
	v_max3_f32 v69, v69, v71, v72
	v_cmp_gt_i32_e64 s9, s33, v86
	v_cmp_gt_i32_e64 s10, s33, v87
	v_dual_mul_f32 v95, s24, v121 :: v_dual_mul_f32 v98, s24, v118
	s_delay_alu instid0(VALU_DEP_4) | instskip(NEXT) | instid1(VALU_DEP_4)
	v_max3_f32 v69, v69, v70, v78
	v_cndmask_b32_e64 v66, 0xff7fffff, v66, s9
	s_delay_alu instid0(VALU_DEP_4)
	v_cndmask_b32_e64 v68, 0xff7fffff, v68, s10
	v_cmp_gt_i32_e64 s11, s33, v88
	v_cmp_gt_i32_e64 s12, s33, v89
	;; [unrolled: 1-line block ×4, first 2 shown]
	v_max3_f32 v66, v69, v66, v68
	v_cndmask_b32_e64 v70, 0xff7fffff, v99, s11
	v_cndmask_b32_e64 v71, 0xff7fffff, v98, s12
	;; [unrolled: 1-line block ×4, first 2 shown]
	v_cmp_gt_i32_e64 s17, s33, v76
	v_cmp_gt_i32_e64 s18, s33, v77
	v_max3_f32 v66, v66, v70, v71
	s_delay_alu instid0(VALU_DEP_3) | instskip(NEXT) | instid1(VALU_DEP_3)
	v_cndmask_b32_e64 v70, 0xff7fffff, v95, s17
	v_cndmask_b32_e64 v71, 0xff7fffff, v94, s18
	s_delay_alu instid0(VALU_DEP_3) | instskip(NEXT) | instid1(VALU_DEP_1)
	v_max3_f32 v66, v66, v68, v69
	v_max3_f32 v66, v66, v70, v71
	ds_bpermute_b32 v67, v81, v66
	s_waitcnt lgkmcnt(0)
	v_max_f32_e32 v67, v67, v67
	s_delay_alu instid0(VALU_DEP_1) | instskip(NEXT) | instid1(VALU_DEP_1)
	v_max_f32_e32 v66, v66, v67
	v_fma_f32 v69, s24, v125, -v66
	s_delay_alu instid0(VALU_DEP_1)
	v_mul_f32_e32 v69, 0x3fb8aa3b, v69
	v_fma_f32 v67, s24, v123, -v66
	v_fma_f32 v68, s24, v124, -v66
	v_fma_f32 v70, s24, v126, -v66
	v_fma_f32 v71, s24, v127, -v66
	v_exp_f32_e32 v69, v69
	s_delay_alu instid0(VALU_DEP_3) | instskip(NEXT) | instid1(VALU_DEP_3)
	v_dual_mul_f32 v67, 0x3fb8aa3b, v67 :: v_dual_mul_f32 v68, 0x3fb8aa3b, v68
	v_mul_f32_e32 v70, 0x3fb8aa3b, v70
	v_fma_f32 v72, s24, v129, -v66
	v_fma_f32 v77, s24, v119, -v66
	s_delay_alu instid0(VALU_DEP_4)
	v_exp_f32_e32 v67, v67
	v_exp_f32_e32 v68, v68
	v_mul_f32_e32 v71, 0x3fb8aa3b, v71
	v_exp_f32_e32 v70, v70
	v_cndmask_b32_e64 v82, 0, v69, s3
	v_fma_f32 v69, s24, v130, -v66
	v_fma_f32 v88, s24, v122, -v66
	s_mov_b32 s3, exec_lo
	v_mul_f32_e32 v77, 0x3fb8aa3b, v77
	s_delay_alu instid0(TRANS32_DEP_3) | instskip(NEXT) | instid1(TRANS32_DEP_2)
	v_cndmask_b32_e64 v80, 0, v67, s2
	v_cndmask_b32_e32 v76, 0, v68, vcc_lo
	v_fma_f32 v67, s24, v128, -v66
	v_exp_f32_e32 v71, v71
	v_cndmask_b32_e64 v84, 0, v70, s4
	v_dual_add_f32 v68, 0, v80 :: v_dual_mul_f32 v69, 0x3fb8aa3b, v69
	s_delay_alu instid0(VALU_DEP_3) | instskip(SKIP_2) | instid1(VALU_DEP_3)
	v_mul_f32_e32 v67, 0x3fb8aa3b, v67
	v_fma_f32 v70, s24, v115, -v66
	v_exp_f32_e32 v77, v77
	v_add_f32_e32 v68, v68, v76
	v_exp_f32_e32 v69, v69
	v_exp_f32_e32 v67, v67
	v_cndmask_b32_e64 v85, 0, v71, s5
	v_fma_f32 v71, s24, v116, -v66
	v_add_f32_e32 v68, v68, v82
	s_delay_alu instid0(VALU_DEP_2)
	v_dual_mul_f32 v88, 0x3fb8aa3b, v88 :: v_dual_mul_f32 v71, 0x3fb8aa3b, v71
	s_waitcnt_depctr 0xfff
	v_cndmask_b32_e64 v87, 0, v69, s8
	v_cndmask_b32_e64 v86, 0, v67, s6
	v_add_f32_e32 v68, v68, v84
	v_mul_f32_e32 v72, 0x3fb8aa3b, v72
	v_exp_f32_e32 v71, v71
	s_delay_alu instid0(VALU_DEP_2) | instskip(NEXT) | instid1(VALU_DEP_2)
	v_add_f32_e32 v67, v68, v85
	v_exp_f32_e32 v72, v72
	v_fma_f32 v68, s24, v117, -v66
	s_delay_alu instid0(VALU_DEP_2) | instskip(SKIP_4) | instid1(VALU_DEP_3)
	v_add_f32_e32 v67, v67, v86
	s_waitcnt_depctr 0xfff
	v_cndmask_b32_e64 v83, 0, v72, s7
	v_mul_f32_e32 v70, 0x3fb8aa3b, v70
	v_fma_f32 v72, s24, v118, -v66
	v_add_f32_e32 v67, v67, v83
	s_delay_alu instid0(VALU_DEP_3) | instskip(SKIP_1) | instid1(VALU_DEP_2)
	v_exp_f32_e32 v70, v70
	v_mul_f32_e32 v68, 0x3fb8aa3b, v68
	v_dual_mul_f32 v72, 0x3fb8aa3b, v72 :: v_dual_add_f32 v67, v67, v87
	s_delay_alu instid0(VALU_DEP_2) | instskip(NEXT) | instid1(VALU_DEP_1)
	v_exp_f32_e32 v78, v68
	v_exp_f32_e32 v72, v72
	v_cndmask_b32_e64 v68, 0, v71, s10
	v_fma_f32 v71, s24, v121, -v66
	s_delay_alu instid0(TRANS32_DEP_3) | instskip(SKIP_1) | instid1(VALU_DEP_2)
	v_cndmask_b32_e64 v69, 0, v70, s9
	v_fma_f32 v70, s24, v120, -v66
	v_add_f32_e32 v67, v67, v69
	s_delay_alu instid0(VALU_DEP_2) | instskip(NEXT) | instid1(TRANS32_DEP_2)
	v_mul_f32_e32 v79, 0x3fb8aa3b, v70
	v_cndmask_b32_e64 v70, 0, v78, s11
	v_mul_f32_e32 v78, 0x3fb8aa3b, v71
	s_delay_alu instid0(TRANS32_DEP_1) | instskip(SKIP_4) | instid1(VALU_DEP_2)
	v_cndmask_b32_e64 v71, 0, v72, s12
	v_add_f32_e32 v67, v67, v68
	v_exp_f32_e32 v79, v79
	v_cndmask_b32_e64 v72, 0, v77, s13
	v_exp_f32_e32 v78, v78
	v_add_f32_e32 v67, v67, v70
	s_waitcnt_depctr 0xfff
	v_cndmask_b32_e64 v77, 0, v79, s16
	v_exp_f32_e32 v79, v88
	v_dual_add_f32 v67, v67, v71 :: v_dual_and_b32 v88, 31, v0
	v_cndmask_b32_e64 v78, 0, v78, s17
	s_delay_alu instid0(VALU_DEP_2) | instskip(NEXT) | instid1(VALU_DEP_3)
	v_cmp_lt_u32_e64 s2, 15, v88
	v_add_f32_e32 v67, v67, v72
	s_waitcnt_depctr 0xfff
	v_cndmask_b32_e64 v79, 0, v79, s18
	v_add_f32_e32 v67, v67, v77
	s_delay_alu instid0(VALU_DEP_1) | instskip(NEXT) | instid1(VALU_DEP_1)
	v_add_f32_e32 v67, v67, v78
	v_add_f32_e32 v67, v67, v79
	ds_bpermute_b32 v81, v81, v67
	v_cmpx_gt_u32_e32 16, v88
	s_cbranch_execz .LBB1678_11
; %bb.10:
	v_mul_u32_u24_e32 v88, 0x44, v65
	s_waitcnt lgkmcnt(0)
	v_add_f32_e32 v67, v67, v81
	s_delay_alu instid0(VALU_DEP_2) | instskip(NEXT) | instid1(VALU_DEP_1)
	v_lshl_add_u32 v88, v73, 2, v88
	v_add_nc_u32_e32 v81, 0x4000, v88
	ds_store_2addr_b32 v81, v66, v67 offset1:136
.LBB1678_11:
	s_or_b32 exec_lo, exec_lo, s3
	v_lshlrev_b32_e32 v66, 2, v73
	s_waitcnt lgkmcnt(0)
	s_barrier
	buffer_gl0_inv
	v_cmp_eq_u32_e32 vcc_lo, 1, v65
	v_add_nc_u32_e32 v81, 0x4000, v66
	v_cmp_eq_u32_e64 s3, 2, v65
	v_cmp_eq_u32_e64 s5, 7, v65
	ds_load_2addr_b32 v[88:89], v81 offset1:17
	ds_load_2addr_b32 v[90:91], v81 offset0:34 offset1:51
	ds_load_2addr_b32 v[92:93], v81 offset0:68 offset1:85
	ds_load_2addr_b32 v[94:95], v81 offset0:102 offset1:119
	ds_load_2addr_b32 v[96:97], v81 offset0:136 offset1:153
	s_waitcnt lgkmcnt(4)
	v_max3_f32 v66, v88, 0xff7fffff, v89
	s_waitcnt lgkmcnt(3)
	s_delay_alu instid0(VALU_DEP_1) | instskip(SKIP_1) | instid1(VALU_DEP_1)
	v_max3_f32 v66, v66, v90, v91
	s_waitcnt lgkmcnt(2)
	v_max3_f32 v66, v66, v92, v93
	s_waitcnt lgkmcnt(1)
	s_delay_alu instid0(VALU_DEP_1) | instskip(NEXT) | instid1(VALU_DEP_1)
	v_max3_f32 v66, v66, v94, v95
	v_sub_f32_e32 v92, v92, v66
	s_delay_alu instid0(VALU_DEP_1) | instskip(NEXT) | instid1(VALU_DEP_1)
	v_dual_sub_f32 v67, v88, v66 :: v_dual_mul_f32 v102, 0x3fb8aa3b, v92
	v_mul_f32_e32 v67, 0x3fb8aa3b, v67
	s_delay_alu instid0(VALU_DEP_1)
	v_exp_f32_e32 v99, v67
	v_sub_f32_e32 v67, v91, v66
	v_sub_f32_e32 v98, v89, v66
	ds_load_2addr_b32 v[88:89], v81 offset0:170 offset1:187
	v_dual_mul_f32 v101, 0x3fb8aa3b, v67 :: v_dual_mul_f32 v98, 0x3fb8aa3b, v98
	s_waitcnt lgkmcnt(1)
	v_fma_f32 v67, v99, v96, 0
	s_delay_alu instid0(VALU_DEP_2) | instskip(NEXT) | instid1(VALU_DEP_2)
	v_exp_f32_e32 v101, v101
	v_exp_f32_e32 v98, v98
	s_waitcnt_depctr 0xfff
	v_fmac_f32_e32 v67, v98, v97
	v_sub_f32_e32 v90, v90, v66
	s_delay_alu instid0(VALU_DEP_1)
	v_mul_f32_e32 v100, 0x3fb8aa3b, v90
	ds_load_2addr_b32 v[90:91], v81 offset0:204 offset1:221
	v_sub_f32_e32 v96, v93, v66
	ds_load_2addr_b32 v[92:93], v81 offset0:238 offset1:255
	s_waitcnt lgkmcnt(0)
	v_exp_f32_e32 v100, v100
	s_barrier
	buffer_gl0_inv
	v_dual_fmac_f32 v67, v100, v88 :: v_dual_sub_f32 v88, v95, v66
	v_dual_sub_f32 v81, v94, v66 :: v_dual_mul_f32 v94, 0x3fb8aa3b, v96
	v_exp_f32_e32 v96, v102
	s_delay_alu instid0(VALU_DEP_2) | instskip(NEXT) | instid1(VALU_DEP_2)
	v_dual_fmac_f32 v67, v101, v89 :: v_dual_mul_f32 v88, 0x3fb8aa3b, v88
	v_mul_f32_e32 v81, 0x3fb8aa3b, v81
	s_delay_alu instid0(VALU_DEP_3) | instskip(NEXT) | instid1(VALU_DEP_2)
	v_exp_f32_e32 v94, v94
	v_exp_f32_e32 v88, v88
	s_delay_alu instid0(VALU_DEP_1)
	v_exp_f32_e32 v81, v81
	v_fmac_f32_e32 v67, v96, v90
	s_delay_alu instid0(TRANS32_DEP_3) | instid1(VALU_DEP_1)
	v_fmac_f32_e32 v67, v94, v91
	s_waitcnt_depctr 0xfff
	v_fmac_f32_e32 v67, v81, v92
	s_delay_alu instid0(VALU_DEP_1) | instskip(NEXT) | instid1(VALU_DEP_1)
	v_fmac_f32_e32 v67, v88, v93
	v_add_f32_e32 v89, 0x358637bd, v67
	s_delay_alu instid0(VALU_DEP_1) | instskip(NEXT) | instid1(VALU_DEP_1)
	v_div_scale_f32 v90, null, v89, v89, 1.0
	v_rcp_f32_e32 v91, v90
	s_waitcnt_depctr 0xfff
	v_fma_f32 v92, -v90, v91, 1.0
	s_delay_alu instid0(VALU_DEP_1) | instskip(SKIP_1) | instid1(VALU_DEP_2)
	v_dual_fmac_f32 v91, v92, v91 :: v_dual_cndmask_b32 v92, v99, v98
	v_cmp_eq_u32_e32 vcc_lo, 3, v65
	v_cndmask_b32_e64 v92, v92, v100, s3
	v_cmp_eq_u32_e64 s3, 4, v65
	s_delay_alu instid0(VALU_DEP_2) | instskip(SKIP_1) | instid1(VALU_DEP_2)
	v_cndmask_b32_e32 v92, v92, v101, vcc_lo
	v_cmp_eq_u32_e32 vcc_lo, 5, v65
	v_cndmask_b32_e64 v92, v92, v96, s3
	v_cmp_eq_u32_e64 s3, 6, v65
	s_delay_alu instid0(VALU_DEP_2) | instskip(SKIP_1) | instid1(VALU_DEP_1)
	v_cndmask_b32_e32 v92, v92, v94, vcc_lo
	v_div_scale_f32 v93, s4, 1.0, v89, 1.0
	s_mov_b32 vcc_lo, s4
	s_delay_alu instid0(VALU_DEP_2) | instskip(NEXT) | instid1(VALU_DEP_2)
	v_cndmask_b32_e64 v81, v92, v81, s3
	v_mul_f32_e32 v95, v93, v91
	s_mov_b32 s3, exec_lo
	s_delay_alu instid0(VALU_DEP_2) | instskip(NEXT) | instid1(VALU_DEP_2)
	v_cndmask_b32_e64 v81, v81, v88, s5
	v_fma_f32 v97, -v90, v95, v93
	s_delay_alu instid0(VALU_DEP_1) | instskip(NEXT) | instid1(VALU_DEP_1)
	v_fmac_f32_e32 v95, v97, v91
	v_fma_f32 v90, -v90, v95, v93
	s_delay_alu instid0(VALU_DEP_1) | instskip(NEXT) | instid1(VALU_DEP_1)
	v_div_fmas_f32 v90, v90, v91, v95
	v_div_fixup_f32 v89, v90, v89, 1.0
	s_delay_alu instid0(VALU_DEP_1) | instskip(NEXT) | instid1(VALU_DEP_1)
	v_mul_f32_e32 v81, v81, v89
	v_mul_f32_e32 v89, v81, v80
	;; [unrolled: 1-line block ×6, first 2 shown]
	v_and_b32_e32 v90, 0x7f800000, v89
	v_mul_f32_e32 v88, v81, v84
	v_mul_f32_e32 v85, v81, v82
	;; [unrolled: 1-line block ×3, first 2 shown]
                                        ; implicit-def: $vgpr76
	s_delay_alu instid0(VALU_DEP_4)
	v_cmpx_ne_u32_e32 0x7f800000, v90
	s_xor_b32 s3, exec_lo, s3
; %bb.12:
	v_bfe_u32 v76, v89, 16, 1
	s_delay_alu instid0(VALU_DEP_1)
	v_add3_u32 v76, v89, v76, 0x7fff
                                        ; implicit-def: $vgpr89
; %bb.13:
	s_and_not1_saveexec_b32 s3, s3
; %bb.14:
	v_and_b32_e32 v76, 0xffff, v89
	v_or_b32_e32 v82, 0x10000, v89
	s_delay_alu instid0(VALU_DEP_2) | instskip(NEXT) | instid1(VALU_DEP_2)
	v_cmp_eq_u32_e32 vcc_lo, 0, v76
	v_cndmask_b32_e32 v76, v82, v89, vcc_lo
; %bb.15:
	s_or_b32 exec_lo, exec_lo, s3
	v_and_b32_e32 v82, 0x7f800000, v84
	s_delay_alu instid0(VALU_DEP_1) | instskip(SKIP_1) | instid1(SALU_CYCLE_1)
	v_cmp_ne_u32_e32 vcc_lo, 0x7f800000, v82
                                        ; implicit-def: $vgpr82
	s_and_saveexec_b32 s3, vcc_lo
	s_xor_b32 s3, exec_lo, s3
; %bb.16:
	v_bfe_u32 v82, v84, 16, 1
	s_delay_alu instid0(VALU_DEP_1)
	v_add3_u32 v82, v84, v82, 0x7fff
                                        ; implicit-def: $vgpr84
; %bb.17:
	s_and_not1_saveexec_b32 s3, s3
; %bb.18:
	v_and_b32_e32 v82, 0xffff, v84
	v_or_b32_e32 v89, 0x10000, v84
	s_delay_alu instid0(VALU_DEP_2) | instskip(NEXT) | instid1(VALU_DEP_2)
	v_cmp_eq_u32_e32 vcc_lo, 0, v82
	v_cndmask_b32_e32 v82, v89, v84, vcc_lo
; %bb.19:
	s_or_b32 exec_lo, exec_lo, s3
	v_and_b32_e32 v84, 0x7f800000, v85
	s_delay_alu instid0(VALU_DEP_1) | instskip(SKIP_1) | instid1(SALU_CYCLE_1)
	v_cmp_ne_u32_e32 vcc_lo, 0x7f800000, v84
                                        ; implicit-def: $vgpr84
	s_and_saveexec_b32 s3, vcc_lo
	s_xor_b32 s3, exec_lo, s3
; %bb.20:
	v_bfe_u32 v84, v85, 16, 1
	s_delay_alu instid0(VALU_DEP_1)
	v_add3_u32 v84, v85, v84, 0x7fff
                                        ; implicit-def: $vgpr85
; %bb.21:
	s_and_not1_saveexec_b32 s3, s3
; %bb.22:
	v_and_b32_e32 v84, 0xffff, v85
	v_or_b32_e32 v89, 0x10000, v85
	s_delay_alu instid0(VALU_DEP_2) | instskip(NEXT) | instid1(VALU_DEP_2)
	v_cmp_eq_u32_e32 vcc_lo, 0, v84
	v_cndmask_b32_e32 v84, v89, v85, vcc_lo
; %bb.23:
	s_or_b32 exec_lo, exec_lo, s3
	v_and_b32_e32 v85, 0x7f800000, v88
	s_delay_alu instid0(VALU_DEP_1) | instskip(SKIP_1) | instid1(SALU_CYCLE_1)
	v_cmp_ne_u32_e32 vcc_lo, 0x7f800000, v85
                                        ; implicit-def: $vgpr85
	s_and_saveexec_b32 s3, vcc_lo
	s_xor_b32 s3, exec_lo, s3
; %bb.24:
	v_bfe_u32 v85, v88, 16, 1
	s_delay_alu instid0(VALU_DEP_1)
	v_add3_u32 v85, v88, v85, 0x7fff
                                        ; implicit-def: $vgpr88
; %bb.25:
	s_and_not1_saveexec_b32 s3, s3
; %bb.26:
	v_and_b32_e32 v85, 0xffff, v88
	v_or_b32_e32 v89, 0x10000, v88
	s_delay_alu instid0(VALU_DEP_2) | instskip(NEXT) | instid1(VALU_DEP_2)
	v_cmp_eq_u32_e32 vcc_lo, 0, v85
	v_cndmask_b32_e32 v85, v89, v88, vcc_lo
; %bb.27:
	s_or_b32 exec_lo, exec_lo, s3
	v_and_b32_e32 v88, 0x7f800000, v87
	s_delay_alu instid0(VALU_DEP_1) | instskip(SKIP_1) | instid1(SALU_CYCLE_1)
	v_cmp_ne_u32_e32 vcc_lo, 0x7f800000, v88
                                        ; implicit-def: $vgpr88
	s_and_saveexec_b32 s3, vcc_lo
	s_xor_b32 s3, exec_lo, s3
; %bb.28:
	v_bfe_u32 v88, v87, 16, 1
	s_delay_alu instid0(VALU_DEP_1)
	v_add3_u32 v88, v87, v88, 0x7fff
                                        ; implicit-def: $vgpr87
; %bb.29:
	s_and_not1_saveexec_b32 s3, s3
; %bb.30:
	v_and_b32_e32 v88, 0xffff, v87
	v_or_b32_e32 v89, 0x10000, v87
	s_delay_alu instid0(VALU_DEP_2) | instskip(NEXT) | instid1(VALU_DEP_2)
	v_cmp_eq_u32_e32 vcc_lo, 0, v88
	v_cndmask_b32_e32 v88, v89, v87, vcc_lo
; %bb.31:
	s_or_b32 exec_lo, exec_lo, s3
	v_and_b32_e32 v87, 0x7f800000, v86
	s_delay_alu instid0(VALU_DEP_1) | instskip(SKIP_1) | instid1(SALU_CYCLE_1)
	v_cmp_ne_u32_e32 vcc_lo, 0x7f800000, v87
                                        ; implicit-def: $vgpr87
	s_and_saveexec_b32 s3, vcc_lo
	s_xor_b32 s3, exec_lo, s3
; %bb.32:
	v_bfe_u32 v87, v86, 16, 1
	s_delay_alu instid0(VALU_DEP_1)
	v_add3_u32 v87, v86, v87, 0x7fff
                                        ; implicit-def: $vgpr86
; %bb.33:
	s_and_not1_saveexec_b32 s3, s3
; %bb.34:
	v_and_b32_e32 v87, 0xffff, v86
	v_or_b32_e32 v89, 0x10000, v86
	s_delay_alu instid0(VALU_DEP_2) | instskip(NEXT) | instid1(VALU_DEP_2)
	v_cmp_eq_u32_e32 vcc_lo, 0, v87
	v_cndmask_b32_e32 v87, v89, v86, vcc_lo
; %bb.35:
	s_or_b32 exec_lo, exec_lo, s3
	v_and_b32_e32 v86, 0x7f800000, v83
	s_delay_alu instid0(VALU_DEP_1) | instskip(SKIP_1) | instid1(SALU_CYCLE_1)
	v_cmp_ne_u32_e32 vcc_lo, 0x7f800000, v86
                                        ; implicit-def: $vgpr86
	s_and_saveexec_b32 s3, vcc_lo
	s_xor_b32 s3, exec_lo, s3
; %bb.36:
	v_bfe_u32 v86, v83, 16, 1
	s_delay_alu instid0(VALU_DEP_1)
	v_add3_u32 v86, v83, v86, 0x7fff
                                        ; implicit-def: $vgpr83
; %bb.37:
	s_and_not1_saveexec_b32 s3, s3
; %bb.38:
	v_and_b32_e32 v86, 0xffff, v83
	v_or_b32_e32 v89, 0x10000, v83
	s_delay_alu instid0(VALU_DEP_2) | instskip(NEXT) | instid1(VALU_DEP_2)
	v_cmp_eq_u32_e32 vcc_lo, 0, v86
	v_cndmask_b32_e32 v86, v89, v83, vcc_lo
; %bb.39:
	s_or_b32 exec_lo, exec_lo, s3
	v_and_b32_e32 v83, 0x7f800000, v80
	s_delay_alu instid0(VALU_DEP_1) | instskip(SKIP_1) | instid1(SALU_CYCLE_1)
	v_cmp_ne_u32_e32 vcc_lo, 0x7f800000, v83
                                        ; implicit-def: $vgpr83
	s_and_saveexec_b32 s3, vcc_lo
	s_xor_b32 s3, exec_lo, s3
; %bb.40:
	v_bfe_u32 v83, v80, 16, 1
	s_delay_alu instid0(VALU_DEP_1)
	v_add3_u32 v83, v80, v83, 0x7fff
                                        ; implicit-def: $vgpr80
; %bb.41:
	s_and_not1_saveexec_b32 s3, s3
; %bb.42:
	v_and_b32_e32 v83, 0xffff, v80
	v_or_b32_e32 v89, 0x10000, v80
	s_delay_alu instid0(VALU_DEP_2) | instskip(NEXT) | instid1(VALU_DEP_2)
	v_cmp_eq_u32_e32 vcc_lo, 0, v83
	v_cndmask_b32_e32 v83, v89, v80, vcc_lo
; %bb.43:
	s_or_b32 exec_lo, exec_lo, s3
	s_load_b64 s[36:37], s[0:1], 0x94
	v_lshlrev_b32_e32 v90, 4, v75
	s_delay_alu instid0(VALU_DEP_2)
	v_perm_b32 v89, v83, v86, 0x7060302
	v_mul_f32_e32 v83, v81, v69
	v_dual_mul_f32 v69, v81, v79 :: v_dual_lshlrev_b32 v80, 6, v73
	v_dual_mul_f32 v78, v81, v78 :: v_dual_lshlrev_b32 v91, 11, v65
	v_perm_b32 v88, v87, v88, 0x7060302
	v_perm_b32 v87, v85, v84, 0x7060302
	;; [unrolled: 1-line block ×3, first 2 shown]
	s_delay_alu instid0(VALU_DEP_4)
	v_or3_b32 v76, v90, v91, v80
	v_dual_mul_f32 v77, v81, v77 :: v_dual_and_b32 v84, 0x7f800000, v83
	v_mul_f32_e32 v72, v81, v72
	v_mul_f32_e32 v82, v81, v71
	;; [unrolled: 1-line block ×4, first 2 shown]
	s_mov_b32 s3, exec_lo
	ds_store_b128 v76, v[86:89]
                                        ; implicit-def: $vgpr68
	v_cmpx_ne_u32_e32 0x7f800000, v84
	s_xor_b32 s3, exec_lo, s3
; %bb.44:
	v_bfe_u32 v68, v83, 16, 1
	s_delay_alu instid0(VALU_DEP_1)
	v_add3_u32 v68, v83, v68, 0x7fff
                                        ; implicit-def: $vgpr83
; %bb.45:
	s_and_not1_saveexec_b32 s3, s3
; %bb.46:
	v_and_b32_e32 v68, 0xffff, v83
	v_or_b32_e32 v70, 0x10000, v83
	s_delay_alu instid0(VALU_DEP_2) | instskip(NEXT) | instid1(VALU_DEP_2)
	v_cmp_eq_u32_e32 vcc_lo, 0, v68
	v_cndmask_b32_e32 v68, v70, v83, vcc_lo
; %bb.47:
	s_or_b32 exec_lo, exec_lo, s3
	v_and_b32_e32 v70, 0x7f800000, v71
	s_delay_alu instid0(VALU_DEP_1) | instskip(SKIP_1) | instid1(SALU_CYCLE_1)
	v_cmp_ne_u32_e32 vcc_lo, 0x7f800000, v70
                                        ; implicit-def: $vgpr70
	s_and_saveexec_b32 s3, vcc_lo
	s_xor_b32 s3, exec_lo, s3
; %bb.48:
	v_bfe_u32 v70, v71, 16, 1
	s_delay_alu instid0(VALU_DEP_1)
	v_add3_u32 v70, v71, v70, 0x7fff
                                        ; implicit-def: $vgpr71
; %bb.49:
	s_and_not1_saveexec_b32 s3, s3
; %bb.50:
	v_and_b32_e32 v70, 0xffff, v71
	v_or_b32_e32 v81, 0x10000, v71
	s_delay_alu instid0(VALU_DEP_2) | instskip(NEXT) | instid1(VALU_DEP_2)
	v_cmp_eq_u32_e32 vcc_lo, 0, v70
	v_cndmask_b32_e32 v70, v81, v71, vcc_lo
; %bb.51:
	s_or_b32 exec_lo, exec_lo, s3
	v_and_b32_e32 v71, 0x7f800000, v79
	s_delay_alu instid0(VALU_DEP_1) | instskip(SKIP_1) | instid1(SALU_CYCLE_1)
	v_cmp_ne_u32_e32 vcc_lo, 0x7f800000, v71
                                        ; implicit-def: $vgpr71
	s_and_saveexec_b32 s3, vcc_lo
	s_xor_b32 s3, exec_lo, s3
; %bb.52:
	v_bfe_u32 v71, v79, 16, 1
	s_delay_alu instid0(VALU_DEP_1)
	v_add3_u32 v71, v79, v71, 0x7fff
                                        ; implicit-def: $vgpr79
; %bb.53:
	s_and_not1_saveexec_b32 s3, s3
; %bb.54:
	v_and_b32_e32 v71, 0xffff, v79
	v_or_b32_e32 v81, 0x10000, v79
	s_delay_alu instid0(VALU_DEP_2) | instskip(NEXT) | instid1(VALU_DEP_2)
	v_cmp_eq_u32_e32 vcc_lo, 0, v71
	v_cndmask_b32_e32 v71, v81, v79, vcc_lo
; %bb.55:
	s_or_b32 exec_lo, exec_lo, s3
	v_and_b32_e32 v79, 0x7f800000, v82
	s_delay_alu instid0(VALU_DEP_1) | instskip(SKIP_1) | instid1(SALU_CYCLE_1)
	v_cmp_ne_u32_e32 vcc_lo, 0x7f800000, v79
                                        ; implicit-def: $vgpr79
	s_and_saveexec_b32 s3, vcc_lo
	s_xor_b32 s3, exec_lo, s3
; %bb.56:
	v_bfe_u32 v79, v82, 16, 1
	s_delay_alu instid0(VALU_DEP_1)
	v_add3_u32 v79, v82, v79, 0x7fff
                                        ; implicit-def: $vgpr82
; %bb.57:
	s_and_not1_saveexec_b32 s3, s3
; %bb.58:
	v_and_b32_e32 v79, 0xffff, v82
	v_or_b32_e32 v81, 0x10000, v82
	s_delay_alu instid0(VALU_DEP_2) | instskip(NEXT) | instid1(VALU_DEP_2)
	v_cmp_eq_u32_e32 vcc_lo, 0, v79
	v_cndmask_b32_e32 v79, v81, v82, vcc_lo
; %bb.59:
	s_or_b32 exec_lo, exec_lo, s3
	v_and_b32_e32 v81, 0x7f800000, v72
	s_delay_alu instid0(VALU_DEP_1) | instskip(SKIP_1) | instid1(SALU_CYCLE_1)
	v_cmp_ne_u32_e32 vcc_lo, 0x7f800000, v81
                                        ; implicit-def: $vgpr81
	s_and_saveexec_b32 s3, vcc_lo
	s_xor_b32 s3, exec_lo, s3
; %bb.60:
	v_bfe_u32 v81, v72, 16, 1
	s_delay_alu instid0(VALU_DEP_1)
	v_add3_u32 v81, v72, v81, 0x7fff
                                        ; implicit-def: $vgpr72
; %bb.61:
	s_and_not1_saveexec_b32 s3, s3
; %bb.62:
	v_and_b32_e32 v81, 0xffff, v72
	v_or_b32_e32 v82, 0x10000, v72
	s_delay_alu instid0(VALU_DEP_2) | instskip(NEXT) | instid1(VALU_DEP_2)
	v_cmp_eq_u32_e32 vcc_lo, 0, v81
	v_cndmask_b32_e32 v81, v82, v72, vcc_lo
; %bb.63:
	s_or_b32 exec_lo, exec_lo, s3
	v_and_b32_e32 v72, 0x7f800000, v77
	s_delay_alu instid0(VALU_DEP_1) | instskip(SKIP_1) | instid1(SALU_CYCLE_1)
	v_cmp_ne_u32_e32 vcc_lo, 0x7f800000, v72
                                        ; implicit-def: $vgpr72
	s_and_saveexec_b32 s3, vcc_lo
	s_xor_b32 s3, exec_lo, s3
; %bb.64:
	v_bfe_u32 v72, v77, 16, 1
	s_delay_alu instid0(VALU_DEP_1)
	v_add3_u32 v72, v77, v72, 0x7fff
                                        ; implicit-def: $vgpr77
; %bb.65:
	s_and_not1_saveexec_b32 s3, s3
; %bb.66:
	v_and_b32_e32 v72, 0xffff, v77
	v_or_b32_e32 v82, 0x10000, v77
	s_delay_alu instid0(VALU_DEP_2) | instskip(NEXT) | instid1(VALU_DEP_2)
	v_cmp_eq_u32_e32 vcc_lo, 0, v72
	v_cndmask_b32_e32 v72, v82, v77, vcc_lo
; %bb.67:
	s_or_b32 exec_lo, exec_lo, s3
	v_and_b32_e32 v77, 0x7f800000, v78
	s_delay_alu instid0(VALU_DEP_1) | instskip(SKIP_1) | instid1(SALU_CYCLE_1)
	v_cmp_ne_u32_e32 vcc_lo, 0x7f800000, v77
                                        ; implicit-def: $vgpr77
	s_and_saveexec_b32 s3, vcc_lo
	s_xor_b32 s3, exec_lo, s3
; %bb.68:
	v_bfe_u32 v77, v78, 16, 1
	s_delay_alu instid0(VALU_DEP_1)
	v_add3_u32 v77, v78, v77, 0x7fff
                                        ; implicit-def: $vgpr78
; %bb.69:
	s_and_not1_saveexec_b32 s3, s3
; %bb.70:
	v_and_b32_e32 v77, 0xffff, v78
	v_or_b32_e32 v82, 0x10000, v78
	s_delay_alu instid0(VALU_DEP_2) | instskip(NEXT) | instid1(VALU_DEP_2)
	v_cmp_eq_u32_e32 vcc_lo, 0, v77
	v_cndmask_b32_e32 v77, v82, v78, vcc_lo
; %bb.71:
	s_or_b32 exec_lo, exec_lo, s3
	v_and_b32_e32 v78, 0x7f800000, v69
	s_delay_alu instid0(VALU_DEP_1) | instskip(SKIP_1) | instid1(SALU_CYCLE_1)
	v_cmp_ne_u32_e32 vcc_lo, 0x7f800000, v78
                                        ; implicit-def: $vgpr78
	s_and_saveexec_b32 s3, vcc_lo
	s_xor_b32 s3, exec_lo, s3
; %bb.72:
	v_bfe_u32 v78, v69, 16, 1
	s_delay_alu instid0(VALU_DEP_1)
	v_add3_u32 v78, v69, v78, 0x7fff
                                        ; implicit-def: $vgpr69
; %bb.73:
	s_and_not1_saveexec_b32 s3, s3
; %bb.74:
	v_and_b32_e32 v78, 0xffff, v69
	v_or_b32_e32 v82, 0x10000, v69
	s_delay_alu instid0(VALU_DEP_2) | instskip(NEXT) | instid1(VALU_DEP_2)
	v_cmp_eq_u32_e32 vcc_lo, 0, v78
	v_cndmask_b32_e32 v78, v82, v69, vcc_lo
; %bb.75:
	s_or_b32 exec_lo, exec_lo, s3
	s_delay_alu instid0(VALU_DEP_1)
	v_perm_b32 v86, v78, v77, 0x7060302
	v_perm_b32 v85, v72, v81, 0x7060302
	;; [unrolled: 1-line block ×4, first 2 shown]
	v_lshl_or_b32 v82, v65, 11, v80
	ds_store_b128 v76, v[83:86] offset:1024
	s_waitcnt lgkmcnt(0)
	s_barrier
	buffer_gl0_inv
	ds_load_b128 v[68:71], v82
	ds_load_b128 v[83:86], v82 offset:16
	s_waitcnt lgkmcnt(1)
	v_lshrrev_b32_e32 v65, 16, v68
	v_lshlrev_b32_e32 v78, 2, v75
	s_waitcnt lgkmcnt(0)
	v_lshrrev_b32_e32 v91, 16, v83
	v_lshrrev_b32_e32 v72, 16, v69
	;; [unrolled: 1-line block ×4, first 2 shown]
	v_cmp_eq_u32_e32 vcc_lo, 1, v78
	v_lshrrev_b32_e32 v98, 16, v85
	v_lshrrev_b32_e32 v96, 16, v71
	;; [unrolled: 1-line block ×3, first 2 shown]
	v_cndmask_b32_e32 v81, v68, v65, vcc_lo
	v_or_b32_e32 v79, 1, v78
	v_cmp_eq_u32_e64 s4, 2, v78
	v_cndmask_b32_e32 v87, v83, v91, vcc_lo
	v_cmp_eq_u32_e64 s7, 3, v78
	v_cmp_eq_u32_e64 s9, 4, v78
	;; [unrolled: 1-line block ×3, first 2 shown]
	v_cndmask_b32_e64 v81, v81, v69, s4
	v_cmp_eq_u32_e64 s6, 2, v79
	v_cndmask_b32_e64 v87, v87, v84, s4
	v_cmp_eq_u32_e64 s8, 3, v79
	v_cndmask_b32_e64 v88, v68, v65, s3
	v_cndmask_b32_e64 v81, v81, v72, s7
	v_or_b32_e32 v77, 2, v78
	v_cndmask_b32_e64 v87, v87, v97, s7
	v_cndmask_b32_e64 v89, v83, v91, s3
	;; [unrolled: 1-line block ×4, first 2 shown]
	v_cmp_eq_u32_e64 s10, 5, v78
	v_cndmask_b32_e64 v87, v87, v85, s9
	v_cmp_eq_u32_e64 s11, 4, v79
	v_cndmask_b32_e64 v88, v88, v72, s8
	;; [unrolled: 2-line block ×3, first 2 shown]
	v_cndmask_b32_e64 v81, v81, v95, s10
	v_cmp_eq_u32_e64 s12, 6, v78
	v_cndmask_b32_e64 v88, v88, v70, s11
	v_cndmask_b32_e64 v87, v87, v98, s10
	v_cmp_eq_u32_e64 s13, 5, v79
	v_cndmask_b32_e64 v90, v68, v65, s5
	v_cndmask_b32_e64 v89, v89, v97, s8
	;; [unrolled: 1-line block ×3, first 2 shown]
	v_cmp_eq_u32_e64 s16, 7, v78
	v_cndmask_b32_e64 v88, v88, v95, s13
	v_cndmask_b32_e64 v87, v87, v86, s12
	v_cmp_eq_u32_e64 s17, 6, v79
	v_cmp_eq_u32_e64 s18, 2, v77
	v_cndmask_b32_e64 v89, v89, v85, s11
	v_cndmask_b32_e64 v100, v81, v96, s16
	;; [unrolled: 1-line block ×6, first 2 shown]
	v_cmp_eq_u32_e64 s19, 7, v79
	v_cmp_eq_u32_e64 s20, 3, v77
	;; [unrolled: 1-line block ×4, first 2 shown]
	v_cndmask_b32_e64 v87, v87, v84, s18
	v_cndmask_b32_e64 v102, v88, v96, s19
	;; [unrolled: 1-line block ×4, first 2 shown]
	v_or_b32_e32 v81, 3, v78
	v_cndmask_b32_e64 v93, v87, v97, s20
	v_cmp_eq_u32_e64 s25, 6, v77
	v_cndmask_b32_e64 v103, v88, v86, s17
	v_cndmask_b32_e64 v92, v89, v70, s21
	v_cmp_eq_u32_e64 s22, 1, v81
	ds_load_b128 v[87:90], v82 offset:1024
	v_cmp_eq_u32_e64 s24, 2, v81
	v_cmp_eq_u32_e64 s26, 3, v81
	v_cndmask_b32_e64 v104, v92, v95, s23
	v_cndmask_b32_e64 v65, v68, v65, s22
	;; [unrolled: 1-line block ×4, first 2 shown]
	ds_load_b128 v[91:94], v82 offset:1040
	v_cmp_eq_u32_e64 s27, 4, v81
	v_cndmask_b32_e64 v65, v65, v69, s24
	v_cmp_eq_u32_e64 s29, 5, v81
	v_cndmask_b32_e64 v69, v83, v84, s24
	v_cmp_eq_u32_e64 s28, 7, v77
	v_cmp_eq_u32_e64 s30, 6, v81
	v_cndmask_b32_e64 v65, v65, v72, s26
	v_cndmask_b32_e64 v72, v104, v71, s25
	v_cndmask_b32_e64 v69, v69, v97, s26
	v_cndmask_b32_e64 v68, v68, v98, s23
	v_cndmask_b32_e64 v83, v103, v99, s19
	v_cndmask_b32_e64 v65, v65, v70, s27
	s_waitcnt lgkmcnt(1)
	v_lshrrev_b32_e32 v84, 16, v87
	v_cndmask_b32_e64 v69, v69, v85, s27
	v_cndmask_b32_e64 v70, v72, v96, s28
	;; [unrolled: 1-line block ×4, first 2 shown]
	v_lshrrev_b32_e32 v95, 16, v88
	v_cndmask_b32_e64 v69, v69, v98, s29
	s_waitcnt lgkmcnt(0)
	v_lshrrev_b32_e32 v85, 16, v91
	v_cndmask_b32_e64 v97, v87, v84, s3
	v_cndmask_b32_e64 v65, v65, v71, s30
	;; [unrolled: 1-line block ×4, first 2 shown]
	v_cndmask_b32_e32 v72, v87, v84, vcc_lo
	v_cndmask_b32_e32 v98, v91, v85, vcc_lo
	v_cmp_eq_u32_e32 vcc_lo, 7, v81
	v_perm_b32 v70, v68, v70, 0x5040100
	v_cndmask_b32_e32 v65, v65, v96, vcc_lo
	v_cndmask_b32_e32 v69, v69, v99, vcc_lo
	v_cndmask_b32_e64 v72, v72, v88, s4
	v_cndmask_b32_e64 v86, v98, v92, s4
	v_lshrrev_b32_e32 v99, 16, v93
	v_lshrrev_b32_e32 v98, 16, v89
	s_delay_alu instid0(VALU_DEP_4) | instskip(SKIP_2) | instid1(VALU_DEP_3)
	v_cndmask_b32_e64 v71, v72, v95, s7
	v_cndmask_b32_e64 v72, v97, v88, s6
	v_lshrrev_b32_e32 v97, 16, v92
	v_cndmask_b32_e64 v71, v71, v89, s9
	s_delay_alu instid0(VALU_DEP_3) | instskip(NEXT) | instid1(VALU_DEP_3)
	v_cndmask_b32_e64 v72, v72, v95, s8
	v_cndmask_b32_e64 v86, v86, v97, s7
	s_delay_alu instid0(VALU_DEP_3) | instskip(SKIP_1) | instid1(VALU_DEP_3)
	v_cndmask_b32_e64 v96, v71, v98, s10
	v_perm_b32 v71, v69, v65, 0x5040100
	v_cndmask_b32_e64 v86, v86, v93, s9
	v_perm_b32 v69, v83, v102, 0x5040100
	v_cndmask_b32_e64 v102, v91, v85, s5
	v_cndmask_b32_e64 v72, v72, v89, s11
	v_lshrrev_b32_e32 v83, 16, v94
	v_cndmask_b32_e64 v86, v86, v99, s10
	s_delay_alu instid0(VALU_DEP_3) | instskip(SKIP_1) | instid1(VALU_DEP_3)
	v_cndmask_b32_e64 v65, v72, v98, s13
	v_cndmask_b32_e64 v72, v96, v90, s12
	;; [unrolled: 1-line block ×7, first 2 shown]
	v_lshrrev_b32_e32 v96, 16, v90
	v_cndmask_b32_e64 v86, v86, v88, s18
	v_cndmask_b32_e64 v84, v84, v88, s24
	;; [unrolled: 1-line block ×29, first 2 shown]
	v_cndmask_b32_e32 v84, v84, v96, vcc_lo
	v_cndmask_b32_e32 v86, v87, v83, vcc_lo
	v_cndmask_b32_e64 v87, v88, v83, s28
	v_cndmask_b32_e64 v88, v85, v83, s19
	;; [unrolled: 1-line block ×3, first 2 shown]
	v_perm_b32 v68, v101, v100, 0x5040100
	v_perm_b32 v86, v86, v84, 0x5040100
	;; [unrolled: 1-line block ×5, first 2 shown]
	s_mov_b32 s3, exec_lo
	ds_store_b128 v76, v[68:71]
	ds_store_b128 v76, v[83:86] offset:1024
	v_cmpx_eq_u32_e32 0, v0
	s_cbranch_execz .LBB1678_77
; %bb.76:
	s_load_b128 s[4:7], s[0:1], 0x58
	s_mul_i32 s8, s37, s34
	v_mov_b32_e32 v65, 0
	s_add_i32 s8, s8, s15
	s_delay_alu instid0(SALU_CYCLE_1) | instskip(NEXT) | instid1(SALU_CYCLE_1)
	s_mul_i32 s8, s8, s36
	s_add_i32 s8, s8, s14
	s_delay_alu instid0(SALU_CYCLE_1) | instskip(NEXT) | instid1(SALU_CYCLE_1)
	s_ashr_i32 s9, s8, 31
	s_lshl_b64 s[8:9], s[8:9], 2
	s_waitcnt lgkmcnt(0)
	s_add_u32 s6, s6, s8
	s_addc_u32 s7, s7, s9
	s_add_u32 s4, s4, s8
	s_addc_u32 s5, s5, s9
	s_clause 0x1
	global_store_b32 v65, v66, s[6:7]
	global_store_b32 v65, v67, s[4:5]
.LBB1678_77:
	s_or_b32 exec_lo, exec_lo, s3
	s_waitcnt lgkmcnt(0)
	s_waitcnt_vscnt null, 0x0
	s_barrier
	buffer_gl0_inv
	ds_load_b128 v[83:86], v80
	ds_load_b128 v[87:90], v80 offset:16
	ds_load_b128 v[95:98], v80 offset:2064
	;; [unrolled: 1-line block ×3, first 2 shown]
	v_mov_b32_e32 v65, 0
	ds_load_b128 v[103:106], v80 offset:4112
	ds_load_b128 v[99:102], v80 offset:4096
	;; [unrolled: 1-line block ×4, first 2 shown]
	v_mov_b32_e32 v66, v65
	v_mov_b32_e32 v67, v65
	;; [unrolled: 1-line block ×7, first 2 shown]
	s_waitcnt lgkmcnt(6)
	s_delay_alu instid0(VALU_DEP_1)
	v_wmma_f32_16x16x16_bf16 v[65:72], v[49:56], v[83:90], v[65:72]
	ds_load_b128 v[53:56], v80 offset:8208
	ds_load_b128 v[49:52], v80 offset:8192
	s_waitcnt lgkmcnt(6)
	v_wmma_f32_16x16x16_bf16 v[65:72], v[41:48], v[91:98], v[65:72]
	ds_load_b128 v[45:48], v80 offset:10256
	ds_load_b128 v[41:44], v80 offset:10240
	s_waitcnt lgkmcnt(6)
	;; [unrolled: 4-line block ×4, first 2 shown]
	v_wmma_f32_16x16x16_bf16 v[65:72], v[1:8], v[49:56], v[65:72]
	s_waitcnt lgkmcnt(4)
	s_delay_alu instid0(VALU_DEP_1) | instskip(SKIP_1) | instid1(VALU_DEP_1)
	v_wmma_f32_16x16x16_bf16 v[65:72], v[9:16], v[41:48], v[65:72]
	s_waitcnt lgkmcnt(2)
	v_wmma_f32_16x16x16_bf16 v[65:72], v[17:24], v[33:40], v[65:72]
	s_waitcnt lgkmcnt(0)
	s_delay_alu instid0(VALU_DEP_1) | instskip(NEXT) | instid1(VALU_DEP_1)
	v_wmma_f32_16x16x16_bf16 v[65:72], v[57:64], v[25:32], v[65:72]
	v_and_b32_e32 v1, 0x7f800000, v65
	s_delay_alu instid0(VALU_DEP_1) | instskip(SKIP_1) | instid1(SALU_CYCLE_1)
	v_cmp_ne_u32_e32 vcc_lo, 0x7f800000, v1
                                        ; implicit-def: $vgpr1
	s_and_saveexec_b32 s3, vcc_lo
	s_xor_b32 s3, exec_lo, s3
; %bb.78:
	v_bfe_u32 v1, v65, 16, 1
	s_delay_alu instid0(VALU_DEP_1)
	v_add3_u32 v1, v65, v1, 0x7fff
; %bb.79:
	s_and_not1_saveexec_b32 s3, s3
; %bb.80:
	v_and_b32_e32 v1, 0xffff, v65
	v_or_b32_e32 v2, 0x10000, v65
	s_delay_alu instid0(VALU_DEP_2) | instskip(NEXT) | instid1(VALU_DEP_2)
	v_cmp_eq_u32_e32 vcc_lo, 0, v1
	v_cndmask_b32_e32 v1, v2, v65, vcc_lo
; %bb.81:
	s_or_b32 exec_lo, exec_lo, s3
	v_and_b32_e32 v2, 0x7f800000, v66
	s_delay_alu instid0(VALU_DEP_1) | instskip(SKIP_1) | instid1(SALU_CYCLE_1)
	v_cmp_ne_u32_e32 vcc_lo, 0x7f800000, v2
                                        ; implicit-def: $vgpr2
	s_and_saveexec_b32 s3, vcc_lo
	s_xor_b32 s3, exec_lo, s3
; %bb.82:
	v_bfe_u32 v2, v66, 16, 1
	s_delay_alu instid0(VALU_DEP_1)
	v_add3_u32 v2, v66, v2, 0x7fff
; %bb.83:
	s_and_not1_saveexec_b32 s3, s3
; %bb.84:
	v_and_b32_e32 v2, 0xffff, v66
	v_or_b32_e32 v3, 0x10000, v66
	s_delay_alu instid0(VALU_DEP_2) | instskip(NEXT) | instid1(VALU_DEP_2)
	v_cmp_eq_u32_e32 vcc_lo, 0, v2
	v_cndmask_b32_e32 v2, v3, v66, vcc_lo
; %bb.85:
	s_or_b32 exec_lo, exec_lo, s3
	v_and_b32_e32 v3, 0x7f800000, v67
	s_delay_alu instid0(VALU_DEP_1) | instskip(SKIP_1) | instid1(SALU_CYCLE_1)
	v_cmp_ne_u32_e32 vcc_lo, 0x7f800000, v3
                                        ; implicit-def: $vgpr3
	s_and_saveexec_b32 s3, vcc_lo
	s_xor_b32 s3, exec_lo, s3
; %bb.86:
	v_bfe_u32 v3, v67, 16, 1
	s_delay_alu instid0(VALU_DEP_1)
	v_add3_u32 v3, v67, v3, 0x7fff
; %bb.87:
	s_and_not1_saveexec_b32 s3, s3
; %bb.88:
	v_and_b32_e32 v3, 0xffff, v67
	v_or_b32_e32 v4, 0x10000, v67
	s_delay_alu instid0(VALU_DEP_2) | instskip(NEXT) | instid1(VALU_DEP_2)
	v_cmp_eq_u32_e32 vcc_lo, 0, v3
	v_cndmask_b32_e32 v3, v4, v67, vcc_lo
; %bb.89:
	s_or_b32 exec_lo, exec_lo, s3
	v_and_b32_e32 v4, 0x7f800000, v68
	s_delay_alu instid0(VALU_DEP_1) | instskip(SKIP_1) | instid1(SALU_CYCLE_1)
	v_cmp_ne_u32_e32 vcc_lo, 0x7f800000, v4
                                        ; implicit-def: $vgpr4
	s_and_saveexec_b32 s3, vcc_lo
	s_xor_b32 s3, exec_lo, s3
; %bb.90:
	v_bfe_u32 v4, v68, 16, 1
	s_delay_alu instid0(VALU_DEP_1)
	v_add3_u32 v4, v68, v4, 0x7fff
; %bb.91:
	s_and_not1_saveexec_b32 s3, s3
; %bb.92:
	v_and_b32_e32 v4, 0xffff, v68
	v_or_b32_e32 v5, 0x10000, v68
	s_delay_alu instid0(VALU_DEP_2) | instskip(NEXT) | instid1(VALU_DEP_2)
	v_cmp_eq_u32_e32 vcc_lo, 0, v4
	v_cndmask_b32_e32 v4, v5, v68, vcc_lo
; %bb.93:
	s_or_b32 exec_lo, exec_lo, s3
	v_and_b32_e32 v5, 0x7f800000, v69
	s_delay_alu instid0(VALU_DEP_1) | instskip(SKIP_1) | instid1(SALU_CYCLE_1)
	v_cmp_ne_u32_e32 vcc_lo, 0x7f800000, v5
                                        ; implicit-def: $vgpr5
	s_and_saveexec_b32 s3, vcc_lo
	s_xor_b32 s3, exec_lo, s3
; %bb.94:
	v_bfe_u32 v5, v69, 16, 1
	s_delay_alu instid0(VALU_DEP_1)
	v_add3_u32 v5, v69, v5, 0x7fff
; %bb.95:
	s_and_not1_saveexec_b32 s3, s3
; %bb.96:
	v_and_b32_e32 v5, 0xffff, v69
	v_or_b32_e32 v6, 0x10000, v69
	s_delay_alu instid0(VALU_DEP_2) | instskip(NEXT) | instid1(VALU_DEP_2)
	v_cmp_eq_u32_e32 vcc_lo, 0, v5
	v_cndmask_b32_e32 v5, v6, v69, vcc_lo
; %bb.97:
	s_or_b32 exec_lo, exec_lo, s3
	v_and_b32_e32 v6, 0x7f800000, v70
	s_delay_alu instid0(VALU_DEP_1) | instskip(SKIP_1) | instid1(SALU_CYCLE_1)
	v_cmp_ne_u32_e32 vcc_lo, 0x7f800000, v6
                                        ; implicit-def: $vgpr6
	s_and_saveexec_b32 s3, vcc_lo
	s_xor_b32 s3, exec_lo, s3
; %bb.98:
	v_bfe_u32 v6, v70, 16, 1
	s_delay_alu instid0(VALU_DEP_1)
	v_add3_u32 v6, v70, v6, 0x7fff
; %bb.99:
	s_and_not1_saveexec_b32 s3, s3
; %bb.100:
	v_and_b32_e32 v6, 0xffff, v70
	v_or_b32_e32 v7, 0x10000, v70
	s_delay_alu instid0(VALU_DEP_2) | instskip(NEXT) | instid1(VALU_DEP_2)
	v_cmp_eq_u32_e32 vcc_lo, 0, v6
	v_cndmask_b32_e32 v6, v7, v70, vcc_lo
; %bb.101:
	s_or_b32 exec_lo, exec_lo, s3
	v_and_b32_e32 v7, 0x7f800000, v71
	s_delay_alu instid0(VALU_DEP_1) | instskip(SKIP_1) | instid1(SALU_CYCLE_1)
	v_cmp_ne_u32_e32 vcc_lo, 0x7f800000, v7
                                        ; implicit-def: $vgpr7
	s_and_saveexec_b32 s3, vcc_lo
	s_xor_b32 s3, exec_lo, s3
; %bb.102:
	v_bfe_u32 v7, v71, 16, 1
	s_delay_alu instid0(VALU_DEP_1)
	v_add3_u32 v7, v71, v7, 0x7fff
; %bb.103:
	s_and_not1_saveexec_b32 s3, s3
; %bb.104:
	v_and_b32_e32 v7, 0xffff, v71
	v_or_b32_e32 v8, 0x10000, v71
	s_delay_alu instid0(VALU_DEP_2) | instskip(NEXT) | instid1(VALU_DEP_2)
	v_cmp_eq_u32_e32 vcc_lo, 0, v7
	v_cndmask_b32_e32 v7, v8, v71, vcc_lo
; %bb.105:
	s_or_b32 exec_lo, exec_lo, s3
	v_and_b32_e32 v8, 0x7f800000, v72
	s_delay_alu instid0(VALU_DEP_1) | instskip(SKIP_1) | instid1(SALU_CYCLE_1)
	v_cmp_ne_u32_e32 vcc_lo, 0x7f800000, v8
                                        ; implicit-def: $vgpr8
	s_and_saveexec_b32 s3, vcc_lo
	s_xor_b32 s3, exec_lo, s3
; %bb.106:
	v_bfe_u32 v8, v72, 16, 1
	s_delay_alu instid0(VALU_DEP_1)
	v_add3_u32 v8, v72, v8, 0x7fff
                                        ; implicit-def: $vgpr65_vgpr66_vgpr67_vgpr68_vgpr69_vgpr70_vgpr71_vgpr72
; %bb.107:
	s_and_not1_saveexec_b32 s3, s3
; %bb.108:
	v_and_b32_e32 v8, 0xffff, v72
	v_or_b32_e32 v9, 0x10000, v72
	s_delay_alu instid0(VALU_DEP_2) | instskip(NEXT) | instid1(VALU_DEP_2)
	v_cmp_eq_u32_e32 vcc_lo, 0, v8
	v_cndmask_b32_e32 v8, v9, v72, vcc_lo
; %bb.109:
	s_or_b32 exec_lo, exec_lo, s3
	s_delay_alu instid0(VALU_DEP_1)
	v_perm_b32 v7, v8, v7, 0x7060302
	v_perm_b32 v6, v6, v5, 0x7060302
	;; [unrolled: 1-line block ×4, first 2 shown]
	s_barrier
	buffer_gl0_inv
	v_cmp_eq_u32_e32 vcc_lo, 1, v78
	ds_store_b128 v76, v[4:7]
	s_waitcnt lgkmcnt(0)
	s_barrier
	buffer_gl0_inv
	ds_load_b128 v[1:4], v82
	ds_load_b128 v[5:8], v82 offset:16
	v_cmp_eq_u32_e64 s3, 1, v79
	v_cmp_eq_u32_e64 s4, 2, v78
	;; [unrolled: 1-line block ×5, first 2 shown]
	s_waitcnt lgkmcnt(1)
	v_lshrrev_b32_e32 v9, 16, v1
	s_waitcnt lgkmcnt(0)
	v_lshrrev_b32_e32 v13, 16, v5
	v_lshrrev_b32_e32 v10, 16, v2
	;; [unrolled: 1-line block ×4, first 2 shown]
	v_cndmask_b32_e64 v19, v1, v9, s3
	v_cndmask_b32_e32 v18, v5, v13, vcc_lo
	v_cndmask_b32_e64 v20, v5, v13, s3
	v_cndmask_b32_e32 v17, v1, v9, vcc_lo
	v_cmp_eq_u32_e32 vcc_lo, 2, v79
	v_lshrrev_b32_e32 v15, 16, v7
	v_cmp_eq_u32_e64 s3, 1, v77
	v_lshrrev_b32_e32 v12, 16, v4
	v_lshrrev_b32_e32 v16, 16, v8
	v_cndmask_b32_e32 v20, v20, v6, vcc_lo
	v_cndmask_b32_e64 v17, v17, v2, s4
	v_cndmask_b32_e32 v19, v19, v2, vcc_lo
	v_cndmask_b32_e64 v18, v18, v6, s4
	v_cmp_eq_u32_e32 vcc_lo, 4, v78
	v_cmp_eq_u32_e64 s4, 3, v79
	v_cndmask_b32_e64 v17, v17, v10, s5
	v_cndmask_b32_e64 v21, v1, v9, s3
	;; [unrolled: 1-line block ×5, first 2 shown]
	v_cndmask_b32_e32 v17, v17, v3, vcc_lo
	v_cndmask_b32_e64 v20, v20, v14, s4
	v_cndmask_b32_e32 v18, v18, v7, vcc_lo
	v_cmp_eq_u32_e32 vcc_lo, 4, v79
	v_cmp_eq_u32_e64 s4, 5, v79
	v_cmp_eq_u32_e64 s3, 2, v81
	v_cndmask_b32_e64 v21, v21, v2, s7
	v_cmp_eq_u32_e64 s5, 5, v78
	v_cndmask_b32_e32 v19, v19, v3, vcc_lo
	v_cndmask_b32_e32 v20, v20, v7, vcc_lo
	v_cmp_eq_u32_e32 vcc_lo, 6, v79
	s_delay_alu instid0(VALU_DEP_4) | instskip(NEXT) | instid1(VALU_DEP_4)
	v_cndmask_b32_e64 v17, v17, v11, s5
	v_cndmask_b32_e64 v19, v19, v11, s4
	s_delay_alu instid0(VALU_DEP_4) | instskip(SKIP_1) | instid1(VALU_DEP_3)
	v_cndmask_b32_e64 v20, v20, v15, s4
	v_cmp_eq_u32_e64 s4, 1, v81
	v_cndmask_b32_e32 v19, v19, v4, vcc_lo
	v_cndmask_b32_e64 v18, v18, v15, s5
	s_delay_alu instid0(VALU_DEP_3)
	v_cndmask_b32_e64 v1, v1, v9, s4
	v_cndmask_b32_e64 v5, v5, v13, s4
	v_cmp_eq_u32_e64 s4, 3, v77
	v_cndmask_b32_e64 v13, v22, v6, s7
	v_cmp_eq_u32_e64 s7, 3, v81
	v_cndmask_b32_e64 v1, v1, v2, s3
	v_cndmask_b32_e64 v2, v5, v6, s3
	;; [unrolled: 1-line block ×3, first 2 shown]
	v_cmp_eq_u32_e64 s3, 4, v77
	v_cndmask_b32_e64 v6, v13, v14, s4
	v_cndmask_b32_e64 v1, v1, v10, s7
	v_cmp_eq_u32_e64 s4, 4, v81
	v_cndmask_b32_e64 v2, v2, v14, s7
	v_cndmask_b32_e64 v5, v9, v3, s3
	;; [unrolled: 3-line block ×3, first 2 shown]
	v_cndmask_b32_e64 v2, v2, v7, s4
	v_cmp_eq_u32_e64 s3, 5, v81
	v_cndmask_b32_e64 v5, v5, v11, s7
	v_cndmask_b32_e64 v3, v6, v15, s7
	v_cmp_eq_u32_e64 s7, 6, v81
	v_cmp_eq_u32_e64 s5, 6, v78
	v_cndmask_b32_e64 v1, v1, v11, s3
	v_cndmask_b32_e64 v2, v2, v15, s3
	v_cmp_eq_u32_e64 s4, 6, v77
	v_cmp_eq_u32_e64 s3, 7, v81
	v_cndmask_b32_e64 v17, v17, v4, s5
	v_cndmask_b32_e64 v1, v1, v4, s7
	;; [unrolled: 1-line block ×4, first 2 shown]
	v_cmp_eq_u32_e64 s5, 7, v78
	v_cndmask_b32_e64 v5, v5, v4, s4
	v_cndmask_b32_e64 v3, v3, v8, s4
	v_cmp_eq_u32_e64 s4, 7, v77
	v_cndmask_b32_e32 v4, v20, v8, vcc_lo
	v_cndmask_b32_e64 v1, v1, v12, s3
	v_cndmask_b32_e64 v2, v2, v16, s3
	v_cmp_lt_u32_e32 vcc_lo, 31, v0
	v_cmp_lt_u32_e64 s3, 7, v73
	v_cndmask_b32_e64 v17, v17, v12, s5
	v_cndmask_b32_e64 v19, v19, v12, s6
	v_cndmask_b32_e64 v5, v5, v12, s4
	v_cndmask_b32_e64 v3, v3, v16, s4
	v_cndmask_b32_e64 v6, v4, v16, s6
	v_cndmask_b32_e64 v7, v18, v16, s5
	s_or_b32 s3, vcc_lo, s3
	v_perm_b32 v4, v2, v1, 0x5040100
	v_perm_b32 v3, v3, v5, 0x5040100
	;; [unrolled: 1-line block ×4, first 2 shown]
	s_or_b32 s2, s2, s3
	s_delay_alu instid0(SALU_CYCLE_1)
	s_xor_b32 s2, s2, -1
	ds_store_b128 v76, v[1:4]
	s_waitcnt lgkmcnt(0)
	s_barrier
	buffer_gl0_inv
	s_and_saveexec_b32 s3, s2
	s_cbranch_execz .LBB1678_2
; %bb.110:
	s_load_b64 s[0:1], s[0:1], 0x68
	v_lshlrev_b32_e32 v1, 10, v0
	v_and_b32_e32 v0, 1, v0
	v_lshlrev_b32_e32 v2, 6, v75
	s_lshl_b32 s4, s36, 6
	s_delay_alu instid0(VALU_DEP_3) | instskip(NEXT) | instid1(VALU_DEP_3)
	v_and_b32_e32 v1, 0x3800, v1
	v_lshlrev_b32_e32 v0, 4, v0
	s_mul_i32 s2, s4, s34
	s_delay_alu instid0(SALU_CYCLE_1) | instskip(NEXT) | instid1(VALU_DEP_1)
	s_mul_i32 s2, s2, s37
	v_or3_b32 v0, v1, v2, v0
	s_ashr_i32 s3, s2, 31
	s_delay_alu instid0(SALU_CYCLE_1)
	s_lshl_b64 s[2:3], s[2:3], 1
	ds_load_b128 v[0:3], v0
	s_waitcnt lgkmcnt(0)
	s_add_u32 s5, s0, s2
	s_addc_u32 s3, s1, s3
	s_lshl_b32 s0, s14, 6
	s_mul_i32 s2, s4, s15
	s_ashr_i32 s1, s0, 31
	s_delay_alu instid0(SALU_CYCLE_1) | instskip(NEXT) | instid1(SALU_CYCLE_1)
	s_lshl_b64 s[0:1], s[0:1], 1
	s_add_u32 s4, s5, s0
	s_addc_u32 s5, s3, s1
	s_ashr_i32 s3, s2, 31
	s_delay_alu instid0(SALU_CYCLE_1) | instskip(NEXT) | instid1(SALU_CYCLE_1)
	s_lshl_b64 s[0:1], s[2:3], 1
	s_add_u32 s0, s4, s0
	s_addc_u32 s1, s5, s1
	global_store_b128 v74, v[0:3], s[0:1]
	s_nop 0
	s_sendmsg sendmsg(MSG_DEALLOC_VGPRS)
	s_endpgm
	.section	.rodata,"a",@progbits
	.p2align	6, 0x0
	.amdhsa_kernel _Z39paged_attention_ll4mi_QKV_mfma16_kernelI14__hip_bfloat16hLN4vllm18Fp8KVCacheDataTypeE1EhLi16ELi64ELi256ELb1ELi1EL8MFMAType0EEvPKT_PKT0_S9_ifPKiSB_SB_iPKfiiiPfSE_PS4_PT2_iSD_SD_
		.amdhsa_group_segment_fixed_size 17472
		.amdhsa_private_segment_fixed_size 0
		.amdhsa_kernarg_size 400
		.amdhsa_user_sgpr_count 13
		.amdhsa_user_sgpr_dispatch_ptr 0
		.amdhsa_user_sgpr_queue_ptr 0
		.amdhsa_user_sgpr_kernarg_segment_ptr 1
		.amdhsa_user_sgpr_dispatch_id 0
		.amdhsa_user_sgpr_private_segment_size 0
		.amdhsa_wavefront_size32 1
		.amdhsa_uses_dynamic_stack 0
		.amdhsa_enable_private_segment 0
		.amdhsa_system_sgpr_workgroup_id_x 1
		.amdhsa_system_sgpr_workgroup_id_y 1
		.amdhsa_system_sgpr_workgroup_id_z 1
		.amdhsa_system_sgpr_workgroup_info 0
		.amdhsa_system_vgpr_workitem_id 0
		.amdhsa_next_free_vgpr 131
		.amdhsa_next_free_sgpr 48
		.amdhsa_reserve_vcc 1
		.amdhsa_float_round_mode_32 0
		.amdhsa_float_round_mode_16_64 0
		.amdhsa_float_denorm_mode_32 3
		.amdhsa_float_denorm_mode_16_64 3
		.amdhsa_dx10_clamp 1
		.amdhsa_ieee_mode 1
		.amdhsa_fp16_overflow 0
		.amdhsa_workgroup_processor_mode 1
		.amdhsa_memory_ordered 1
		.amdhsa_forward_progress 0
		.amdhsa_shared_vgpr_count 0
		.amdhsa_exception_fp_ieee_invalid_op 0
		.amdhsa_exception_fp_denorm_src 0
		.amdhsa_exception_fp_ieee_div_zero 0
		.amdhsa_exception_fp_ieee_overflow 0
		.amdhsa_exception_fp_ieee_underflow 0
		.amdhsa_exception_fp_ieee_inexact 0
		.amdhsa_exception_int_div_zero 0
	.end_amdhsa_kernel
	.section	.text._Z39paged_attention_ll4mi_QKV_mfma16_kernelI14__hip_bfloat16hLN4vllm18Fp8KVCacheDataTypeE1EhLi16ELi64ELi256ELb1ELi1EL8MFMAType0EEvPKT_PKT0_S9_ifPKiSB_SB_iPKfiiiPfSE_PS4_PT2_iSD_SD_,"axG",@progbits,_Z39paged_attention_ll4mi_QKV_mfma16_kernelI14__hip_bfloat16hLN4vllm18Fp8KVCacheDataTypeE1EhLi16ELi64ELi256ELb1ELi1EL8MFMAType0EEvPKT_PKT0_S9_ifPKiSB_SB_iPKfiiiPfSE_PS4_PT2_iSD_SD_,comdat
.Lfunc_end1678:
	.size	_Z39paged_attention_ll4mi_QKV_mfma16_kernelI14__hip_bfloat16hLN4vllm18Fp8KVCacheDataTypeE1EhLi16ELi64ELi256ELb1ELi1EL8MFMAType0EEvPKT_PKT0_S9_ifPKiSB_SB_iPKfiiiPfSE_PS4_PT2_iSD_SD_, .Lfunc_end1678-_Z39paged_attention_ll4mi_QKV_mfma16_kernelI14__hip_bfloat16hLN4vllm18Fp8KVCacheDataTypeE1EhLi16ELi64ELi256ELb1ELi1EL8MFMAType0EEvPKT_PKT0_S9_ifPKiSB_SB_iPKfiiiPfSE_PS4_PT2_iSD_SD_
                                        ; -- End function
	.section	.AMDGPU.csdata,"",@progbits
; Kernel info:
; codeLenInByte = 8416
; NumSgprs: 50
; NumVgprs: 131
; ScratchSize: 0
; MemoryBound: 1
; FloatMode: 240
; IeeeMode: 1
; LDSByteSize: 17472 bytes/workgroup (compile time only)
; SGPRBlocks: 6
; VGPRBlocks: 16
; NumSGPRsForWavesPerEU: 50
; NumVGPRsForWavesPerEU: 131
; Occupancy: 10
; WaveLimiterHint : 1
; COMPUTE_PGM_RSRC2:SCRATCH_EN: 0
; COMPUTE_PGM_RSRC2:USER_SGPR: 13
; COMPUTE_PGM_RSRC2:TRAP_HANDLER: 0
; COMPUTE_PGM_RSRC2:TGID_X_EN: 1
; COMPUTE_PGM_RSRC2:TGID_Y_EN: 1
; COMPUTE_PGM_RSRC2:TGID_Z_EN: 1
; COMPUTE_PGM_RSRC2:TIDIG_COMP_CNT: 0
	.section	.text._Z39paged_attention_ll4mi_QKV_mfma16_kernelI14__hip_bfloat16hLN4vllm18Fp8KVCacheDataTypeE1EhLi16ELi64ELi256ELb1ELi2EL8MFMAType0EEvPKT_PKT0_S9_ifPKiSB_SB_iPKfiiiPfSE_PS4_PT2_iSD_SD_,"axG",@progbits,_Z39paged_attention_ll4mi_QKV_mfma16_kernelI14__hip_bfloat16hLN4vllm18Fp8KVCacheDataTypeE1EhLi16ELi64ELi256ELb1ELi2EL8MFMAType0EEvPKT_PKT0_S9_ifPKiSB_SB_iPKfiiiPfSE_PS4_PT2_iSD_SD_,comdat
	.protected	_Z39paged_attention_ll4mi_QKV_mfma16_kernelI14__hip_bfloat16hLN4vllm18Fp8KVCacheDataTypeE1EhLi16ELi64ELi256ELb1ELi2EL8MFMAType0EEvPKT_PKT0_S9_ifPKiSB_SB_iPKfiiiPfSE_PS4_PT2_iSD_SD_ ; -- Begin function _Z39paged_attention_ll4mi_QKV_mfma16_kernelI14__hip_bfloat16hLN4vllm18Fp8KVCacheDataTypeE1EhLi16ELi64ELi256ELb1ELi2EL8MFMAType0EEvPKT_PKT0_S9_ifPKiSB_SB_iPKfiiiPfSE_PS4_PT2_iSD_SD_
	.globl	_Z39paged_attention_ll4mi_QKV_mfma16_kernelI14__hip_bfloat16hLN4vllm18Fp8KVCacheDataTypeE1EhLi16ELi64ELi256ELb1ELi2EL8MFMAType0EEvPKT_PKT0_S9_ifPKiSB_SB_iPKfiiiPfSE_PS4_PT2_iSD_SD_
	.p2align	8
	.type	_Z39paged_attention_ll4mi_QKV_mfma16_kernelI14__hip_bfloat16hLN4vllm18Fp8KVCacheDataTypeE1EhLi16ELi64ELi256ELb1ELi2EL8MFMAType0EEvPKT_PKT0_S9_ifPKiSB_SB_iPKfiiiPfSE_PS4_PT2_iSD_SD_,@function
_Z39paged_attention_ll4mi_QKV_mfma16_kernelI14__hip_bfloat16hLN4vllm18Fp8KVCacheDataTypeE1EhLi16ELi64ELi256ELb1ELi2EL8MFMAType0EEvPKT_PKT0_S9_ifPKiSB_SB_iPKfiiiPfSE_PS4_PT2_iSD_SD_: ; @_Z39paged_attention_ll4mi_QKV_mfma16_kernelI14__hip_bfloat16hLN4vllm18Fp8KVCacheDataTypeE1EhLi16ELi64ELi256ELb1ELi2EL8MFMAType0EEvPKT_PKT0_S9_ifPKiSB_SB_iPKfiiiPfSE_PS4_PT2_iSD_SD_
; %bb.0:
	s_load_b64 s[2:3], s[0:1], 0x30
	s_mov_b32 s30, s13
	s_waitcnt lgkmcnt(0)
	s_cmp_lg_u64 s[2:3], 0
	s_cselect_b32 s8, -1, 0
	s_ashr_i32 s31, s13, 31
	s_cmp_eq_u64 s[2:3], 0
	s_cbranch_scc1 .LBB1679_3
; %bb.1:
	s_lshl_b64 s[4:5], s[30:31], 2
	s_delay_alu instid0(SALU_CYCLE_1) | instskip(SKIP_4) | instid1(SALU_CYCLE_1)
	s_add_u32 s4, s2, s4
	s_addc_u32 s5, s3, s5
	s_load_b64 s[4:5], s[4:5], 0x0
	s_waitcnt lgkmcnt(0)
	s_sub_i32 s4, s5, s4
	s_cmp_eq_u32 s4, 1
	s_cselect_b32 s4, -1, 0
	s_delay_alu instid0(SALU_CYCLE_1)
	s_and_not1_b32 vcc_lo, exec_lo, s4
	s_cbranch_vccz .LBB1679_4
.LBB1679_2:
	s_endpgm
.LBB1679_3:
.LBB1679_4:
	s_load_b64 s[4:5], s[0:1], 0x28
	s_lshl_b64 s[6:7], s[30:31], 2
	s_waitcnt lgkmcnt(0)
	s_add_u32 s4, s4, s6
	s_addc_u32 s5, s5, s7
	s_lshl_b32 s12, s14, 8
	s_load_b32 s24, s[4:5], 0x0
	s_waitcnt lgkmcnt(0)
	s_cmp_ge_i32 s12, s24
	s_cbranch_scc1 .LBB1679_2
; %bb.5:
	s_clause 0x1
	s_load_b128 s[20:23], s[0:1], 0x8
	s_load_b64 s[4:5], s[0:1], 0x20
	s_and_not1_b32 vcc_lo, exec_lo, s8
	s_cbranch_vccnz .LBB1679_7
; %bb.6:
	s_add_u32 s2, s2, s6
	s_addc_u32 s3, s3, s7
	s_load_b32 s3, s[2:3], 0x0
	s_branch .LBB1679_8
.LBB1679_7:
	s_mov_b32 s3, s30
.LBB1679_8:
	s_load_b128 s[16:19], s[0:1], 0x48
	v_and_b32_e32 v66, 15, v0
	v_bfe_u32 v65, v0, 4, 1
	s_lshl_b32 s31, s15, 1
	v_cmp_gt_u32_e32 vcc_lo, 32, v0
	v_and_b32_e32 v68, 31, v0
	v_lshlrev_b32_e32 v1, 3, v66
	v_cmp_gt_u32_e64 s2, 8, v66
	v_and_b32_e32 v76, 1, v0
	v_or_b32_e32 v75, s31, v65
	v_lshlrev_b32_e32 v74, 6, v65
	v_lshlrev_b32_e32 v73, 1, v1
	s_and_b32 s29, vcc_lo, s2
	s_delay_alu instid0(SALU_CYCLE_1)
	s_and_saveexec_b32 s2, s29
	s_cbranch_execz .LBB1679_10
; %bb.9:
	s_load_b64 s[6:7], s[0:1], 0x0
	v_lshlrev_b32_e32 v1, 6, v75
	s_waitcnt lgkmcnt(0)
	s_mul_hi_i32 s9, s3, s16
	s_mul_i32 s8, s3, s16
	v_lshlrev_b32_e32 v5, 10, v66
	s_lshl_b64 s[8:9], s[8:9], 1
	v_ashrrev_i32_e32 v2, 31, v1
	v_lshlrev_b32_e32 v6, 10, v76
	s_delay_alu instid0(VALU_DEP_3) | instskip(NEXT) | instid1(VALU_DEP_3)
	v_and_b32_e32 v5, 0x3800, v5
	v_lshlrev_b64 v[1:2], 1, v[1:2]
	s_delay_alu instid0(VALU_DEP_2) | instskip(SKIP_2) | instid1(VALU_DEP_2)
	v_or3_b32 v5, v5, v6, v74
	s_add_u32 s3, s6, s8
	s_addc_u32 s6, s7, s9
	v_add_co_u32 v1, vcc_lo, s3, v1
	s_delay_alu instid0(VALU_DEP_3) | instskip(NEXT) | instid1(VALU_DEP_2)
	v_add_co_ci_u32_e32 v2, vcc_lo, s6, v2, vcc_lo
	v_add_co_u32 v1, vcc_lo, v1, v73
	s_delay_alu instid0(VALU_DEP_2)
	v_add_co_ci_u32_e32 v2, vcc_lo, 0, v2, vcc_lo
	global_load_b128 v[1:4], v[1:2], off
	s_waitcnt vmcnt(0)
	ds_store_b128 v5, v[1:4]
.LBB1679_10:
	s_or_b32 exec_lo, exec_lo, s2
	v_and_b32_e32 v1, 0xef, v0
	s_add_i32 s2, s24, 15
	s_waitcnt lgkmcnt(0)
	s_clause 0x1
	s_load_b32 s3, s[0:1], 0x38
	s_load_b32 s19, s[0:1], 0x1c
	s_ashr_i32 s6, s2, 31
	v_add_nc_u32_e32 v1, s12, v1
	s_lshr_b32 s6, s6, 28
	s_waitcnt lgkmcnt(0)
	s_add_i32 s2, s2, s6
	s_barrier
	v_ashrrev_i32_e32 v2, 31, v1
	v_or_b32_e32 v3, 16, v1
	s_ashr_i32 s2, s2, 4
	v_cmp_gt_i32_e32 vcc_lo, s24, v1
	s_add_i32 s2, s2, -1
	v_lshrrev_b32_e32 v2, 28, v2
	buffer_gl0_inv
	s_mul_i32 s27, s15, s18
	v_lshrrev_b32_e32 v67, 5, v0
	v_lshlrev_b32_e32 v71, 6, v76
	v_add_nc_u32_e32 v4, v1, v2
	s_mul_i32 s6, s30, s3
	s_delay_alu instid0(SALU_CYCLE_1) | instskip(NEXT) | instid1(VALU_DEP_1)
	s_ashr_i32 s7, s6, 31
	v_ashrrev_i32_e32 v4, 4, v4
	v_add_nc_u32_e32 v2, v3, v2
	s_lshl_b64 s[6:7], s[6:7], 2
	s_delay_alu instid0(SALU_CYCLE_1) | instskip(NEXT) | instid1(VALU_DEP_2)
	s_add_u32 s26, s4, s6
	v_cndmask_b32_e32 v1, s2, v4, vcc_lo
	s_delay_alu instid0(VALU_DEP_2)
	v_ashrrev_i32_e32 v2, 4, v2
	v_cmp_gt_i32_e32 vcc_lo, s24, v3
	s_addc_u32 s25, s5, s7
	s_ashr_i32 s28, s27, 31
	s_add_u32 s3, s20, s27
	s_addc_u32 s13, s21, s28
	v_cndmask_b32_e32 v3, s2, v2, vcc_lo
	v_ashrrev_i32_e32 v2, 31, v1
	s_lshl_b32 s4, s14, 4
	s_delay_alu instid0(SALU_CYCLE_1) | instskip(NEXT) | instid1(VALU_DEP_2)
	s_ashr_i32 s5, s4, 31
	v_ashrrev_i32_e32 v4, 31, v3
	s_delay_alu instid0(VALU_DEP_2) | instskip(SKIP_1) | instid1(SALU_CYCLE_1)
	v_lshlrev_b64 v[1:2], 2, v[1:2]
	s_lshl_b64 s[4:5], s[4:5], 2
	s_add_u32 s4, s26, s4
	s_delay_alu instid0(VALU_DEP_2) | instskip(SKIP_1) | instid1(VALU_DEP_2)
	v_lshlrev_b64 v[3:4], 2, v[3:4]
	s_addc_u32 s5, s25, s5
	v_add_co_u32 v1, vcc_lo, s26, v1
	v_add_co_ci_u32_e32 v2, vcc_lo, s25, v2, vcc_lo
	s_delay_alu instid0(VALU_DEP_3) | instskip(NEXT) | instid1(VALU_DEP_4)
	v_add_co_u32 v3, vcc_lo, s26, v3
	v_add_co_ci_u32_e32 v4, vcc_lo, s25, v4, vcc_lo
	s_clause 0x1
	global_load_b32 v5, v[1:2], off
	global_load_b32 v7, v[3:4], off
	s_or_b32 s6, s12, 32
	v_lshlrev_b32_e32 v1, 4, v0
	s_ashr_i32 s7, s6, 4
	s_cmp_lt_i32 s6, s24
	s_cselect_b32 s6, s7, s2
	s_delay_alu instid0(VALU_DEP_1) | instskip(SKIP_1) | instid1(SALU_CYCLE_1)
	v_and_b32_e32 v1, 0xf0, v1
	s_ashr_i32 s7, s6, 31
	s_lshl_b64 s[6:7], s[6:7], 2
	s_delay_alu instid0(SALU_CYCLE_1)
	s_add_u32 s6, s26, s6
	s_addc_u32 s7, s25, s7
	s_or_b32 s8, s12, 64
	v_add_co_u32 v1, s3, s3, v1
	s_ashr_i32 s9, s8, 4
	s_cmp_lt_i32 s8, s24
	v_add_co_ci_u32_e64 v2, null, s13, 0, s3
	s_cselect_b32 s8, s9, s2
	s_delay_alu instid0(SALU_CYCLE_1) | instskip(NEXT) | instid1(SALU_CYCLE_1)
	s_ashr_i32 s9, s8, 31
	s_lshl_b64 s[8:9], s[8:9], 2
	s_delay_alu instid0(SALU_CYCLE_1) | instskip(SKIP_2) | instid1(SALU_CYCLE_1)
	s_add_u32 s8, s26, s8
	s_addc_u32 s9, s25, s9
	s_or_b32 s10, s12, 0x60
	s_ashr_i32 s11, s10, 4
	s_cmp_lt_i32 s10, s24
	s_cselect_b32 s10, s11, s2
	s_delay_alu instid0(SALU_CYCLE_1) | instskip(NEXT) | instid1(SALU_CYCLE_1)
	s_ashr_i32 s11, s10, 31
	s_lshl_b64 s[10:11], s[10:11], 2
	s_delay_alu instid0(SALU_CYCLE_1) | instskip(SKIP_2) | instid1(SALU_CYCLE_1)
	s_add_u32 s10, s26, s10
	s_addc_u32 s11, s25, s11
	s_or_b32 s15, s12, 0x80
	s_ashr_i32 s16, s15, 4
	s_cmp_lt_i32 s15, s24
	;; [unrolled: 10-line block ×3, first 2 shown]
	s_cselect_b32 s20, s16, s2
	s_delay_alu instid0(SALU_CYCLE_1) | instskip(NEXT) | instid1(SALU_CYCLE_1)
	s_ashr_i32 s21, s20, 31
	s_lshl_b64 s[20:21], s[20:21], 2
	s_delay_alu instid0(SALU_CYCLE_1)
	s_add_u32 s36, s26, s20
	s_addc_u32 s37, s25, s21
	s_clause 0x5
	s_load_b32 s20, s[4:5], 0x0
	s_load_b32 s3, s[6:7], 0x0
	;; [unrolled: 1-line block ×6, first 2 shown]
	s_or_b32 s6, s12, 0xc0
	s_mov_b32 s4, 0
	s_ashr_i32 s7, s6, 4
	s_cmp_lt_i32 s6, s24
	s_mov_b32 s5, s4
	s_cselect_b32 s10, s7, s2
	s_mov_b32 s6, s4
	s_ashr_i32 s11, s10, 31
	s_mov_b32 s7, s4
	s_lshl_b64 s[10:11], s[10:11], 2
	s_mov_b32 s8, s4
	s_add_u32 s34, s26, s10
	s_addc_u32 s35, s25, s11
	s_or_b32 s11, s12, 0xe0
	s_mov_b32 s9, s4
	s_ashr_i32 s21, s11, 4
	s_cmp_lt_i32 s11, s24
	s_mov_b32 s11, s4
	s_cselect_b32 s36, s21, s2
	s_mov_b32 s10, s4
	s_ashr_i32 s37, s36, 31
	v_mov_b32_e32 v108, s11
	v_dual_mov_b32 v102, s5 :: v_dual_mov_b32 v107, s10
	v_dual_mov_b32 v106, s9 :: v_dual_mov_b32 v105, s8
	;; [unrolled: 1-line block ×3, first 2 shown]
	v_mov_b32_e32 v101, s4
	s_lshl_b64 s[4:5], s[36:37], 2
	s_delay_alu instid0(SALU_CYCLE_1)
	s_add_u32 s4, s26, s4
	s_addc_u32 s5, s25, s5
	s_add_u32 s6, s22, s27
	s_addc_u32 s7, s23, s28
	s_waitcnt vmcnt(1)
	v_mad_i64_i32 v[3:4], null, v5, s17, v[1:2]
	s_waitcnt vmcnt(0)
	v_mad_i64_i32 v[5:6], null, v7, s17, v[1:2]
	v_lshlrev_b32_e32 v1, 4, v66
	s_clause 0x7
	global_load_b128 v[49:52], v[3:4], off
	global_load_b128 v[53:56], v[3:4], off offset:256
	global_load_b128 v[77:80], v[5:6], off
	global_load_b128 v[81:84], v[5:6], off offset:256
	global_load_b128 v[85:88], v[3:4], off offset:512
	;; [unrolled: 1-line block ×5, first 2 shown]
	v_lshl_or_b32 v1, v67, 8, v1
	s_load_b32 s2, s[34:35], 0x0
	ds_load_b128 v[109:112], v71
	ds_load_b128 v[113:116], v71 offset:1024
	s_load_b32 s4, s[4:5], 0x0
	v_add_co_u32 v9, s6, s6, v1
	s_delay_alu instid0(VALU_DEP_1) | instskip(SKIP_1) | instid1(VALU_DEP_1)
	v_add_co_ci_u32_e64 v10, null, s7, 0, s6
	s_waitcnt lgkmcnt(0)
	v_mad_i64_i32 v[1:2], null, s20, s17, v[9:10]
	v_mad_i64_i32 v[3:4], null, s3, s17, v[9:10]
	v_mad_i64_i32 v[5:6], null, s13, s17, v[9:10]
	v_mad_i64_i32 v[7:8], null, s15, s17, v[9:10]
	v_mad_i64_i32 v[13:14], null, s18, s17, v[9:10]
	v_mad_i64_i32 v[11:12], null, s16, s17, v[9:10]
	v_mad_i64_i32 v[21:22], null, s2, s17, v[9:10]
	s_clause 0x9
	global_load_b128 v[57:60], v[1:2], off
	global_load_b128 v[61:64], v[1:2], off offset:16
	global_load_b128 v[41:44], v[3:4], off
	global_load_b128 v[45:48], v[3:4], off offset:16
	;; [unrolled: 2-line block ×5, first 2 shown]
	v_mad_i64_i32 v[69:70], null, s4, s17, v[9:10]
	s_clause 0x3
	global_load_b128 v[9:12], v[13:14], off
	global_load_b128 v[13:16], v[13:14], off offset:16
	global_load_b128 v[17:20], v[21:22], off
	global_load_b128 v[21:24], v[21:22], off offset:16
	s_waitcnt vmcnt(20)
	v_wmma_f32_16x16x16_bf16 v[117:124], v[49:56], v[109:116], v[101:108]
	s_clause 0x1
	global_load_b128 v[49:52], v[69:70], off
	global_load_b128 v[53:56], v[69:70], off offset:16
	s_waitcnt vmcnt(20)
	v_wmma_f32_16x16x16_bf16 v[101:108], v[77:84], v[109:116], v[101:108]
	ds_load_b128 v[77:80], v71 offset:2048
	ds_load_b128 v[81:84], v71 offset:3072
	v_mbcnt_lo_u32_b32 v70, -1, 0
	s_waitcnt vmcnt(0) lgkmcnt(0)
	s_barrier
	buffer_gl0_inv
	v_xor_b32_e32 v71, 16, v70
	s_delay_alu instid0(VALU_DEP_1) | instskip(SKIP_4) | instid1(VALU_DEP_2)
	v_cmp_gt_i32_e32 vcc_lo, 32, v71
	v_cndmask_b32_e32 v70, v70, v71, vcc_lo
	v_wmma_f32_16x16x16_bf16 v[101:108], v[93:100], v[77:84], v[101:108]
	v_and_b32_e32 v69, 0xe0, v0
	v_wmma_f32_16x16x16_bf16 v[117:124], v[85:92], v[77:84], v[117:124]
	v_dual_mul_f32 v98, s19, v106 :: v_dual_add_nc_u32 v69, s12, v69
	s_delay_alu instid0(VALU_DEP_4) | instskip(NEXT) | instid1(VALU_DEP_3)
	v_mul_f32_e32 v96, s19, v108
	v_dual_mul_f32 v94, s19, v118 :: v_dual_mul_f32 v95, s19, v117
	s_delay_alu instid0(VALU_DEP_4) | instskip(NEXT) | instid1(VALU_DEP_4)
	v_mul_f32_e32 v84, s19, v120
	v_or_b32_e32 v69, v69, v65
	v_dual_mul_f32 v93, s19, v119 :: v_dual_mul_f32 v82, s19, v122
	v_dual_mul_f32 v83, s19, v121 :: v_dual_mul_f32 v80, s19, v124
	s_delay_alu instid0(VALU_DEP_3)
	v_or_b32_e32 v71, 2, v69
	v_or_b32_e32 v72, 4, v69
	;; [unrolled: 1-line block ×3, first 2 shown]
	v_cmp_gt_i32_e64 s2, s24, v69
	v_or_b32_e32 v110, 8, v69
	v_cmp_gt_i32_e32 vcc_lo, s24, v71
	v_or_b32_e32 v85, 10, v69
	v_cmp_gt_i32_e64 s3, s24, v72
	v_cndmask_b32_e64 v95, 0xff7fffff, v95, s2
	v_cmp_gt_i32_e64 s4, s24, v109
	v_cndmask_b32_e32 v94, 0xff7fffff, v94, vcc_lo
	v_or_b32_e32 v86, 12, v69
	v_or_b32_e32 v87, 14, v69
	v_mul_f32_e32 v72, s19, v101
	v_cndmask_b32_e64 v93, 0xff7fffff, v93, s3
	v_cndmask_b32_e64 v84, 0xff7fffff, v84, s4
	v_max3_f32 v94, v95, 0xff7fffff, v94
	v_cmp_gt_i32_e64 s5, s24, v110
	v_cmp_gt_i32_e64 s6, s24, v85
	v_or_b32_e32 v88, 16, v69
	v_or_b32_e32 v89, 18, v69
	v_dual_mul_f32 v81, s19, v123 :: v_dual_mul_f32 v100, s19, v104
	v_cndmask_b32_e64 v83, 0xff7fffff, v83, s5
	v_cndmask_b32_e64 v82, 0xff7fffff, v82, s6
	v_max3_f32 v84, v94, v93, v84
	v_cmp_gt_i32_e64 s7, s24, v86
	v_cmp_gt_i32_e64 s8, s24, v87
	v_or_b32_e32 v90, 20, v69
	v_or_b32_e32 v91, 22, v69
	;; [unrolled: 1-line block ×6, first 2 shown]
	v_mul_f32_e32 v69, s19, v102
	v_cndmask_b32_e64 v81, 0xff7fffff, v81, s7
	v_cndmask_b32_e64 v80, 0xff7fffff, v80, s8
	v_max3_f32 v82, v84, v83, v82
	v_cmp_gt_i32_e64 s9, s24, v88
	v_cmp_gt_i32_e64 s10, s24, v89
	v_mul_f32_e32 v71, s19, v103
	v_cmp_gt_i32_e64 s11, s24, v90
	v_max3_f32 v80, v82, v81, v80
	v_cndmask_b32_e64 v72, 0xff7fffff, v72, s9
	v_cndmask_b32_e64 v69, 0xff7fffff, v69, s10
	v_cmp_gt_i32_e64 s12, s24, v91
	v_mul_f32_e32 v99, s19, v105
	v_cndmask_b32_e64 v71, 0xff7fffff, v71, s11
	v_cmp_gt_i32_e64 s13, s24, v92
	v_max3_f32 v69, v80, v72, v69
	v_cndmask_b32_e64 v81, 0xff7fffff, v100, s12
	v_cmp_gt_i32_e64 s15, s24, v77
	v_mul_f32_e32 v97, s19, v107
	v_cndmask_b32_e64 v72, 0xff7fffff, v99, s13
	v_cmp_gt_i32_e64 s16, s24, v78
	v_max3_f32 v69, v69, v71, v81
	v_cndmask_b32_e64 v77, 0xff7fffff, v98, s15
	v_cmp_gt_i32_e64 s17, s24, v79
	v_lshlrev_b32_e32 v91, 2, v70
	v_cndmask_b32_e64 v71, 0xff7fffff, v97, s16
	s_delay_alu instid0(VALU_DEP_4) | instskip(NEXT) | instid1(VALU_DEP_4)
	v_max3_f32 v69, v69, v72, v77
	v_cndmask_b32_e64 v78, 0xff7fffff, v96, s17
	s_delay_alu instid0(VALU_DEP_1) | instskip(SKIP_3) | instid1(VALU_DEP_1)
	v_max3_f32 v69, v69, v71, v78
	ds_bpermute_b32 v70, v91, v69
	s_waitcnt lgkmcnt(0)
	v_max_f32_e32 v70, v70, v70
	v_max_f32_e32 v69, v69, v70
	s_delay_alu instid0(VALU_DEP_1) | instskip(SKIP_4) | instid1(VALU_DEP_4)
	v_fma_f32 v70, s19, v117, -v69
	v_fma_f32 v71, s19, v118, -v69
	;; [unrolled: 1-line block ×5, first 2 shown]
	v_dual_mul_f32 v70, 0x3fb8aa3b, v70 :: v_dual_mul_f32 v71, 0x3fb8aa3b, v71
	s_delay_alu instid0(VALU_DEP_3) | instskip(NEXT) | instid1(VALU_DEP_3)
	v_dual_mul_f32 v72, 0x3fb8aa3b, v72 :: v_dual_mul_f32 v77, 0x3fb8aa3b, v77
	v_mul_f32_e32 v78, 0x3fb8aa3b, v78
	s_delay_alu instid0(VALU_DEP_3) | instskip(NEXT) | instid1(VALU_DEP_3)
	v_exp_f32_e32 v70, v70
	v_exp_f32_e32 v71, v71
	s_delay_alu instid0(VALU_DEP_2)
	v_exp_f32_e32 v72, v72
	v_exp_f32_e32 v79, v77
	;; [unrolled: 1-line block ×3, first 2 shown]
	v_cndmask_b32_e64 v81, 0, v70, s2
	v_fma_f32 v70, s19, v122, -v69
	v_cndmask_b32_e32 v77, 0, v71, vcc_lo
	s_delay_alu instid0(TRANS32_DEP_3)
	v_cndmask_b32_e64 v85, 0, v72, s3
	s_waitcnt_depctr 0xfff
	v_cndmask_b32_e64 v87, 0, v79, s4
	v_dual_add_f32 v71, 0, v81 :: v_dual_mul_f32 v70, 0x3fb8aa3b, v70
	v_cndmask_b32_e64 v88, 0, v78, s5
	s_mov_b32 s2, exec_lo
	s_delay_alu instid0(VALU_DEP_2) | instskip(NEXT) | instid1(VALU_DEP_3)
	v_add_f32_e32 v71, v71, v77
	v_exp_f32_e32 v70, v70
	s_delay_alu instid0(VALU_DEP_1) | instskip(NEXT) | instid1(VALU_DEP_1)
	v_add_f32_e32 v71, v71, v85
	v_add_f32_e32 v71, v71, v87
	s_waitcnt_depctr 0xfff
	v_cndmask_b32_e64 v89, 0, v70, s6
	v_add_f32_e32 v70, v71, v88
	s_delay_alu instid0(VALU_DEP_1)
	v_add_f32_e32 v70, v70, v89
	v_fma_f32 v80, s19, v123, -v69
	v_fma_f32 v72, s19, v124, -v69
	;; [unrolled: 1-line block ×5, first 2 shown]
	v_mul_f32_e32 v80, 0x3fb8aa3b, v80
	s_delay_alu instid0(VALU_DEP_4) | instskip(NEXT) | instid1(VALU_DEP_3)
	v_dual_mul_f32 v72, 0x3fb8aa3b, v72 :: v_dual_mul_f32 v79, 0x3fb8aa3b, v79
	v_dual_mul_f32 v78, 0x3fb8aa3b, v78 :: v_dual_mul_f32 v71, 0x3fb8aa3b, v71
	s_delay_alu instid0(VALU_DEP_3) | instskip(NEXT) | instid1(VALU_DEP_2)
	v_exp_f32_e32 v80, v80
	v_exp_f32_e32 v72, v72
	s_delay_alu instid0(VALU_DEP_2) | instskip(NEXT) | instid1(VALU_DEP_1)
	v_exp_f32_e32 v79, v79
	v_exp_f32_e32 v78, v78
	;; [unrolled: 1-line block ×3, first 2 shown]
	v_fma_f32 v83, s19, v106, -v69
	v_cndmask_b32_e64 v86, 0, v80, s7
	v_fma_f32 v80, s19, v104, -v69
	v_cndmask_b32_e64 v90, 0, v72, s8
	v_fma_f32 v72, s19, v105, -v69
	s_delay_alu instid0(TRANS32_DEP_3) | instskip(SKIP_2) | instid1(VALU_DEP_2)
	v_cndmask_b32_e64 v71, 0, v79, s9
	v_add_f32_e32 v70, v70, v86
	v_dual_mul_f32 v80, 0x3fb8aa3b, v80 :: v_dual_mul_f32 v83, 0x3fb8aa3b, v83
	v_dual_mul_f32 v72, 0x3fb8aa3b, v72 :: v_dual_add_f32 v79, v70, v90
	s_delay_alu instid0(VALU_DEP_2) | instskip(SKIP_1) | instid1(VALU_DEP_2)
	v_exp_f32_e32 v80, v80
	v_cndmask_b32_e64 v70, 0, v78, s10
	v_exp_f32_e32 v84, v72
	v_cndmask_b32_e64 v72, 0, v82, s11
	v_add_f32_e32 v78, v79, v71
	v_fma_f32 v79, s19, v107, -v69
	v_exp_f32_e32 v83, v83
	s_delay_alu instid0(VALU_DEP_1) | instskip(NEXT) | instid1(TRANS32_DEP_3)
	v_dual_add_f32 v82, v78, v70 :: v_dual_mul_f32 v79, 0x3fb8aa3b, v79
	v_cndmask_b32_e64 v78, 0, v80, s12
	s_delay_alu instid0(VALU_DEP_2) | instskip(SKIP_1) | instid1(VALU_DEP_4)
	v_add_f32_e32 v80, v82, v72
	v_fma_f32 v82, s19, v108, -v69
	v_exp_f32_e32 v92, v79
	v_cndmask_b32_e64 v79, 0, v84, s13
	s_delay_alu instid0(VALU_DEP_3) | instskip(NEXT) | instid1(VALU_DEP_3)
	v_add_f32_e32 v84, v80, v78
	v_mul_f32_e32 v82, 0x3fb8aa3b, v82
	s_delay_alu instid0(TRANS32_DEP_2) | instskip(NEXT) | instid1(VALU_DEP_3)
	v_cndmask_b32_e64 v80, 0, v83, s15
	v_add_f32_e32 v83, v84, v79
	s_delay_alu instid0(VALU_DEP_3) | instskip(NEXT) | instid1(TRANS32_DEP_2)
	v_exp_f32_e32 v84, v82
	v_cndmask_b32_e64 v82, 0, v92, s16
	s_delay_alu instid0(VALU_DEP_2) | instskip(NEXT) | instid1(VALU_DEP_1)
	v_add_f32_e32 v83, v83, v80
	v_add_f32_e32 v92, v83, v82
	s_waitcnt_depctr 0xfff
	v_cndmask_b32_e64 v83, 0, v84, s17
	s_delay_alu instid0(VALU_DEP_1)
	v_add_f32_e32 v84, v92, v83
	ds_bpermute_b32 v91, v91, v84
	v_cmpx_gt_u32_e32 16, v68
	s_cbranch_execz .LBB1679_12
; %bb.11:
	v_mul_u32_u24_e32 v68, 0x44, v67
	s_waitcnt lgkmcnt(0)
	v_add_f32_e32 v84, v84, v91
	s_delay_alu instid0(VALU_DEP_2) | instskip(NEXT) | instid1(VALU_DEP_1)
	v_lshl_add_u32 v68, v66, 2, v68
	v_add_nc_u32_e32 v68, 0x4000, v68
	ds_store_2addr_b32 v68, v69, v84 offset1:136
.LBB1679_12:
	s_or_b32 exec_lo, exec_lo, s2
	v_lshlrev_b32_e32 v68, 2, v66
	s_waitcnt lgkmcnt(0)
	s_barrier
	buffer_gl0_inv
	v_cmp_eq_u32_e32 vcc_lo, 1, v67
	v_add_nc_u32_e32 v84, 0x4000, v68
	v_cmp_eq_u32_e64 s2, 2, v67
	v_cmp_eq_u32_e64 s4, 7, v67
	ds_load_2addr_b32 v[91:92], v84 offset1:17
	ds_load_2addr_b32 v[93:94], v84 offset0:34 offset1:51
	ds_load_2addr_b32 v[95:96], v84 offset0:68 offset1:85
	;; [unrolled: 1-line block ×4, first 2 shown]
	s_waitcnt lgkmcnt(4)
	v_max3_f32 v68, v91, 0xff7fffff, v92
	s_waitcnt lgkmcnt(3)
	s_delay_alu instid0(VALU_DEP_1) | instskip(SKIP_1) | instid1(VALU_DEP_1)
	v_max3_f32 v68, v68, v93, v94
	s_waitcnt lgkmcnt(2)
	v_max3_f32 v68, v68, v95, v96
	s_waitcnt lgkmcnt(1)
	s_delay_alu instid0(VALU_DEP_1) | instskip(NEXT) | instid1(VALU_DEP_1)
	v_max3_f32 v68, v68, v97, v98
	v_sub_f32_e32 v69, v91, v68
	v_sub_f32_e32 v93, v93, v68
	;; [unrolled: 1-line block ×3, first 2 shown]
	s_delay_alu instid0(VALU_DEP_3) | instskip(NEXT) | instid1(VALU_DEP_3)
	v_mul_f32_e32 v69, 0x3fb8aa3b, v69
	v_mul_f32_e32 v103, 0x3fb8aa3b, v93
	s_delay_alu instid0(VALU_DEP_3) | instskip(NEXT) | instid1(VALU_DEP_3)
	v_mul_f32_e32 v105, 0x3fb8aa3b, v95
	v_exp_f32_e32 v102, v69
	v_sub_f32_e32 v69, v94, v68
	v_sub_f32_e32 v101, v92, v68
	ds_load_2addr_b32 v[91:92], v84 offset0:170 offset1:187
	v_exp_f32_e32 v103, v103
	v_mul_f32_e32 v104, 0x3fb8aa3b, v69
	v_mul_f32_e32 v101, 0x3fb8aa3b, v101
	s_waitcnt lgkmcnt(1)
	v_fma_f32 v69, v102, v99, 0
	v_sub_f32_e32 v99, v96, v68
	s_delay_alu instid0(VALU_DEP_3) | instskip(SKIP_4) | instid1(VALU_DEP_1)
	v_exp_f32_e32 v101, v101
	v_exp_f32_e32 v104, v104
	s_waitcnt_depctr 0xfff
	v_fmac_f32_e32 v69, v101, v100
	s_waitcnt lgkmcnt(0)
	v_fmac_f32_e32 v69, v103, v91
	ds_load_2addr_b32 v[93:94], v84 offset0:204 offset1:221
	ds_load_2addr_b32 v[95:96], v84 offset0:238 offset1:255
	v_dual_sub_f32 v84, v97, v68 :: v_dual_mul_f32 v97, 0x3fb8aa3b, v99
	v_exp_f32_e32 v99, v105
	v_sub_f32_e32 v91, v98, v68
	v_fmac_f32_e32 v69, v104, v92
	s_delay_alu instid0(VALU_DEP_3)
	v_mul_f32_e32 v84, 0x3fb8aa3b, v84
	v_exp_f32_e32 v97, v97
	s_waitcnt lgkmcnt(0)
	v_mul_f32_e32 v91, 0x3fb8aa3b, v91
	s_barrier
	v_exp_f32_e32 v84, v84
	buffer_gl0_inv
	v_exp_f32_e32 v91, v91
	v_fmac_f32_e32 v69, v99, v93
	s_delay_alu instid0(VALU_DEP_1) | instskip(NEXT) | instid1(VALU_DEP_1)
	v_fmac_f32_e32 v69, v97, v94
	v_fmac_f32_e32 v69, v84, v95
	s_waitcnt_depctr 0xfff
	v_fmac_f32_e32 v69, v91, v96
	s_delay_alu instid0(VALU_DEP_1) | instskip(NEXT) | instid1(VALU_DEP_1)
	v_add_f32_e32 v92, 0x358637bd, v69
	v_div_scale_f32 v93, null, v92, v92, 1.0
	v_div_scale_f32 v96, s3, 1.0, v92, 1.0
	s_delay_alu instid0(VALU_DEP_2) | instskip(SKIP_2) | instid1(VALU_DEP_1)
	v_rcp_f32_e32 v94, v93
	s_waitcnt_depctr 0xfff
	v_fma_f32 v95, -v93, v94, 1.0
	v_dual_fmac_f32 v94, v95, v94 :: v_dual_cndmask_b32 v95, v102, v101
	v_cmp_eq_u32_e32 vcc_lo, 3, v67
	s_delay_alu instid0(VALU_DEP_2) | instskip(NEXT) | instid1(VALU_DEP_3)
	v_mul_f32_e32 v98, v96, v94
	v_cndmask_b32_e64 v95, v95, v103, s2
	v_cmp_eq_u32_e64 s2, 4, v67
	s_delay_alu instid0(VALU_DEP_3) | instskip(NEXT) | instid1(VALU_DEP_3)
	v_fma_f32 v100, -v93, v98, v96
	v_cndmask_b32_e32 v95, v95, v104, vcc_lo
	v_cmp_eq_u32_e32 vcc_lo, 5, v67
	s_delay_alu instid0(VALU_DEP_3) | instskip(NEXT) | instid1(VALU_DEP_3)
	v_fmac_f32_e32 v98, v100, v94
	v_cndmask_b32_e64 v95, v95, v99, s2
	v_cmp_eq_u32_e64 s2, 6, v67
	s_delay_alu instid0(VALU_DEP_3) | instskip(NEXT) | instid1(VALU_DEP_3)
	v_fma_f32 v93, -v93, v98, v96
	v_cndmask_b32_e32 v95, v95, v97, vcc_lo
	s_mov_b32 vcc_lo, s3
	s_delay_alu instid0(VALU_DEP_2) | instskip(NEXT) | instid1(VALU_DEP_2)
	v_div_fmas_f32 v93, v93, v94, v98
	v_cndmask_b32_e64 v84, v95, v84, s2
	s_mov_b32 s2, exec_lo
	s_delay_alu instid0(VALU_DEP_2) | instskip(NEXT) | instid1(VALU_DEP_2)
	v_div_fixup_f32 v92, v93, v92, 1.0
	v_cndmask_b32_e64 v84, v84, v91, s4
	s_delay_alu instid0(VALU_DEP_1) | instskip(NEXT) | instid1(VALU_DEP_1)
	v_mul_f32_e32 v84, v84, v92
	v_mul_f32_e32 v92, v84, v81
	;; [unrolled: 1-line block ×6, first 2 shown]
	v_and_b32_e32 v93, 0x7f800000, v92
	v_mul_f32_e32 v91, v84, v87
	v_mul_f32_e32 v88, v84, v85
	;; [unrolled: 1-line block ×3, first 2 shown]
                                        ; implicit-def: $vgpr77
	s_delay_alu instid0(VALU_DEP_4)
	v_cmpx_ne_u32_e32 0x7f800000, v93
	s_xor_b32 s2, exec_lo, s2
; %bb.13:
	v_bfe_u32 v77, v92, 16, 1
	s_delay_alu instid0(VALU_DEP_1)
	v_add3_u32 v77, v92, v77, 0x7fff
                                        ; implicit-def: $vgpr92
; %bb.14:
	s_and_not1_saveexec_b32 s2, s2
; %bb.15:
	v_and_b32_e32 v77, 0xffff, v92
	v_or_b32_e32 v85, 0x10000, v92
	s_delay_alu instid0(VALU_DEP_2) | instskip(NEXT) | instid1(VALU_DEP_2)
	v_cmp_eq_u32_e32 vcc_lo, 0, v77
	v_cndmask_b32_e32 v77, v85, v92, vcc_lo
; %bb.16:
	s_or_b32 exec_lo, exec_lo, s2
	v_and_b32_e32 v85, 0x7f800000, v87
	s_delay_alu instid0(VALU_DEP_1) | instskip(SKIP_1) | instid1(SALU_CYCLE_1)
	v_cmp_ne_u32_e32 vcc_lo, 0x7f800000, v85
                                        ; implicit-def: $vgpr85
	s_and_saveexec_b32 s2, vcc_lo
	s_xor_b32 s2, exec_lo, s2
; %bb.17:
	v_bfe_u32 v85, v87, 16, 1
	s_delay_alu instid0(VALU_DEP_1)
	v_add3_u32 v85, v87, v85, 0x7fff
                                        ; implicit-def: $vgpr87
; %bb.18:
	s_and_not1_saveexec_b32 s2, s2
; %bb.19:
	v_and_b32_e32 v85, 0xffff, v87
	v_or_b32_e32 v92, 0x10000, v87
	s_delay_alu instid0(VALU_DEP_2) | instskip(NEXT) | instid1(VALU_DEP_2)
	v_cmp_eq_u32_e32 vcc_lo, 0, v85
	v_cndmask_b32_e32 v85, v92, v87, vcc_lo
; %bb.20:
	s_or_b32 exec_lo, exec_lo, s2
	v_and_b32_e32 v87, 0x7f800000, v88
	s_delay_alu instid0(VALU_DEP_1) | instskip(SKIP_1) | instid1(SALU_CYCLE_1)
	v_cmp_ne_u32_e32 vcc_lo, 0x7f800000, v87
                                        ; implicit-def: $vgpr87
	s_and_saveexec_b32 s2, vcc_lo
	s_xor_b32 s2, exec_lo, s2
; %bb.21:
	v_bfe_u32 v87, v88, 16, 1
	s_delay_alu instid0(VALU_DEP_1)
	v_add3_u32 v87, v88, v87, 0x7fff
                                        ; implicit-def: $vgpr88
; %bb.22:
	s_and_not1_saveexec_b32 s2, s2
; %bb.23:
	v_and_b32_e32 v87, 0xffff, v88
	v_or_b32_e32 v92, 0x10000, v88
	s_delay_alu instid0(VALU_DEP_2) | instskip(NEXT) | instid1(VALU_DEP_2)
	v_cmp_eq_u32_e32 vcc_lo, 0, v87
	v_cndmask_b32_e32 v87, v92, v88, vcc_lo
; %bb.24:
	s_or_b32 exec_lo, exec_lo, s2
	v_and_b32_e32 v88, 0x7f800000, v91
	s_delay_alu instid0(VALU_DEP_1) | instskip(SKIP_1) | instid1(SALU_CYCLE_1)
	v_cmp_ne_u32_e32 vcc_lo, 0x7f800000, v88
                                        ; implicit-def: $vgpr88
	s_and_saveexec_b32 s2, vcc_lo
	s_xor_b32 s2, exec_lo, s2
; %bb.25:
	v_bfe_u32 v88, v91, 16, 1
	s_delay_alu instid0(VALU_DEP_1)
	v_add3_u32 v88, v91, v88, 0x7fff
                                        ; implicit-def: $vgpr91
; %bb.26:
	s_and_not1_saveexec_b32 s2, s2
; %bb.27:
	v_and_b32_e32 v88, 0xffff, v91
	v_or_b32_e32 v92, 0x10000, v91
	s_delay_alu instid0(VALU_DEP_2) | instskip(NEXT) | instid1(VALU_DEP_2)
	v_cmp_eq_u32_e32 vcc_lo, 0, v88
	v_cndmask_b32_e32 v88, v92, v91, vcc_lo
; %bb.28:
	s_or_b32 exec_lo, exec_lo, s2
	v_and_b32_e32 v91, 0x7f800000, v90
	s_delay_alu instid0(VALU_DEP_1) | instskip(SKIP_1) | instid1(SALU_CYCLE_1)
	v_cmp_ne_u32_e32 vcc_lo, 0x7f800000, v91
                                        ; implicit-def: $vgpr91
	s_and_saveexec_b32 s2, vcc_lo
	s_xor_b32 s2, exec_lo, s2
; %bb.29:
	v_bfe_u32 v91, v90, 16, 1
	s_delay_alu instid0(VALU_DEP_1)
	v_add3_u32 v91, v90, v91, 0x7fff
                                        ; implicit-def: $vgpr90
; %bb.30:
	s_and_not1_saveexec_b32 s2, s2
; %bb.31:
	v_and_b32_e32 v91, 0xffff, v90
	v_or_b32_e32 v92, 0x10000, v90
	s_delay_alu instid0(VALU_DEP_2) | instskip(NEXT) | instid1(VALU_DEP_2)
	v_cmp_eq_u32_e32 vcc_lo, 0, v91
	v_cndmask_b32_e32 v91, v92, v90, vcc_lo
; %bb.32:
	s_or_b32 exec_lo, exec_lo, s2
	v_and_b32_e32 v90, 0x7f800000, v89
	s_delay_alu instid0(VALU_DEP_1) | instskip(SKIP_1) | instid1(SALU_CYCLE_1)
	v_cmp_ne_u32_e32 vcc_lo, 0x7f800000, v90
                                        ; implicit-def: $vgpr90
	s_and_saveexec_b32 s2, vcc_lo
	s_xor_b32 s2, exec_lo, s2
; %bb.33:
	v_bfe_u32 v90, v89, 16, 1
	s_delay_alu instid0(VALU_DEP_1)
	v_add3_u32 v90, v89, v90, 0x7fff
                                        ; implicit-def: $vgpr89
; %bb.34:
	s_and_not1_saveexec_b32 s2, s2
; %bb.35:
	v_and_b32_e32 v90, 0xffff, v89
	v_or_b32_e32 v92, 0x10000, v89
	s_delay_alu instid0(VALU_DEP_2) | instskip(NEXT) | instid1(VALU_DEP_2)
	v_cmp_eq_u32_e32 vcc_lo, 0, v90
	v_cndmask_b32_e32 v90, v92, v89, vcc_lo
; %bb.36:
	s_or_b32 exec_lo, exec_lo, s2
	v_and_b32_e32 v89, 0x7f800000, v86
	s_delay_alu instid0(VALU_DEP_1) | instskip(SKIP_1) | instid1(SALU_CYCLE_1)
	v_cmp_ne_u32_e32 vcc_lo, 0x7f800000, v89
                                        ; implicit-def: $vgpr89
	s_and_saveexec_b32 s2, vcc_lo
	s_xor_b32 s2, exec_lo, s2
; %bb.37:
	v_bfe_u32 v89, v86, 16, 1
	s_delay_alu instid0(VALU_DEP_1)
	v_add3_u32 v89, v86, v89, 0x7fff
                                        ; implicit-def: $vgpr86
; %bb.38:
	s_and_not1_saveexec_b32 s2, s2
; %bb.39:
	v_and_b32_e32 v89, 0xffff, v86
	v_or_b32_e32 v92, 0x10000, v86
	s_delay_alu instid0(VALU_DEP_2) | instskip(NEXT) | instid1(VALU_DEP_2)
	v_cmp_eq_u32_e32 vcc_lo, 0, v89
	v_cndmask_b32_e32 v89, v92, v86, vcc_lo
; %bb.40:
	s_or_b32 exec_lo, exec_lo, s2
	v_and_b32_e32 v86, 0x7f800000, v81
	s_delay_alu instid0(VALU_DEP_1) | instskip(SKIP_1) | instid1(SALU_CYCLE_1)
	v_cmp_ne_u32_e32 vcc_lo, 0x7f800000, v86
                                        ; implicit-def: $vgpr86
	s_and_saveexec_b32 s2, vcc_lo
	s_xor_b32 s2, exec_lo, s2
; %bb.41:
	v_bfe_u32 v86, v81, 16, 1
	s_delay_alu instid0(VALU_DEP_1)
	v_add3_u32 v86, v81, v86, 0x7fff
                                        ; implicit-def: $vgpr81
; %bb.42:
	s_and_not1_saveexec_b32 s2, s2
; %bb.43:
	v_and_b32_e32 v86, 0xffff, v81
	v_or_b32_e32 v92, 0x10000, v81
	s_delay_alu instid0(VALU_DEP_2) | instskip(NEXT) | instid1(VALU_DEP_2)
	v_cmp_eq_u32_e32 vcc_lo, 0, v86
	v_cndmask_b32_e32 v86, v92, v81, vcc_lo
; %bb.44:
	s_or_b32 exec_lo, exec_lo, s2
	s_load_b64 s[34:35], s[0:1], 0x94
	v_lshlrev_b32_e32 v93, 4, v65
	s_delay_alu instid0(VALU_DEP_2)
	v_perm_b32 v92, v86, v89, 0x7060302
	v_dual_mul_f32 v80, v84, v80 :: v_dual_lshlrev_b32 v81, 6, v66
	v_lshlrev_b32_e32 v66, 11, v67
	v_perm_b32 v89, v85, v77, 0x7060302
	v_mul_f32_e32 v85, v84, v71
	v_mul_f32_e32 v71, v84, v82
	v_perm_b32 v91, v90, v91, 0x7060302
	v_perm_b32 v90, v88, v87, 0x7060302
	v_or3_b32 v77, v93, v66, v81
	v_mul_f32_e32 v66, v84, v83
	v_dual_mul_f32 v79, v84, v79 :: v_dual_and_b32 v86, 0x7f800000, v85
	v_mul_f32_e32 v83, v84, v78
	v_mul_f32_e32 v82, v84, v72
	;; [unrolled: 1-line block ×3, first 2 shown]
	s_mov_b32 s2, exec_lo
	ds_store_b128 v77, v[89:92]
                                        ; implicit-def: $vgpr70
	v_cmpx_ne_u32_e32 0x7f800000, v86
	s_xor_b32 s2, exec_lo, s2
; %bb.45:
	v_bfe_u32 v70, v85, 16, 1
	s_delay_alu instid0(VALU_DEP_1)
	v_add3_u32 v70, v85, v70, 0x7fff
                                        ; implicit-def: $vgpr85
; %bb.46:
	s_and_not1_saveexec_b32 s2, s2
; %bb.47:
	v_and_b32_e32 v70, 0xffff, v85
	v_or_b32_e32 v72, 0x10000, v85
	s_delay_alu instid0(VALU_DEP_2) | instskip(NEXT) | instid1(VALU_DEP_2)
	v_cmp_eq_u32_e32 vcc_lo, 0, v70
	v_cndmask_b32_e32 v70, v72, v85, vcc_lo
; %bb.48:
	s_or_b32 exec_lo, exec_lo, s2
	v_and_b32_e32 v72, 0x7f800000, v78
	s_delay_alu instid0(VALU_DEP_1) | instskip(SKIP_1) | instid1(SALU_CYCLE_1)
	v_cmp_ne_u32_e32 vcc_lo, 0x7f800000, v72
                                        ; implicit-def: $vgpr72
	s_and_saveexec_b32 s2, vcc_lo
	s_xor_b32 s2, exec_lo, s2
; %bb.49:
	v_bfe_u32 v72, v78, 16, 1
	s_delay_alu instid0(VALU_DEP_1)
	v_add3_u32 v72, v78, v72, 0x7fff
                                        ; implicit-def: $vgpr78
; %bb.50:
	s_and_not1_saveexec_b32 s2, s2
; %bb.51:
	v_and_b32_e32 v72, 0xffff, v78
	v_or_b32_e32 v84, 0x10000, v78
	s_delay_alu instid0(VALU_DEP_2) | instskip(NEXT) | instid1(VALU_DEP_2)
	v_cmp_eq_u32_e32 vcc_lo, 0, v72
	v_cndmask_b32_e32 v72, v84, v78, vcc_lo
; %bb.52:
	s_or_b32 exec_lo, exec_lo, s2
	v_and_b32_e32 v78, 0x7f800000, v82
	s_delay_alu instid0(VALU_DEP_1) | instskip(SKIP_1) | instid1(SALU_CYCLE_1)
	v_cmp_ne_u32_e32 vcc_lo, 0x7f800000, v78
                                        ; implicit-def: $vgpr78
	s_and_saveexec_b32 s2, vcc_lo
	s_xor_b32 s2, exec_lo, s2
; %bb.53:
	v_bfe_u32 v78, v82, 16, 1
	s_delay_alu instid0(VALU_DEP_1)
	v_add3_u32 v78, v82, v78, 0x7fff
                                        ; implicit-def: $vgpr82
; %bb.54:
	s_and_not1_saveexec_b32 s2, s2
; %bb.55:
	v_and_b32_e32 v78, 0xffff, v82
	v_or_b32_e32 v84, 0x10000, v82
	s_delay_alu instid0(VALU_DEP_2) | instskip(NEXT) | instid1(VALU_DEP_2)
	v_cmp_eq_u32_e32 vcc_lo, 0, v78
	v_cndmask_b32_e32 v78, v84, v82, vcc_lo
; %bb.56:
	s_or_b32 exec_lo, exec_lo, s2
	v_and_b32_e32 v82, 0x7f800000, v83
	s_delay_alu instid0(VALU_DEP_1) | instskip(SKIP_1) | instid1(SALU_CYCLE_1)
	v_cmp_ne_u32_e32 vcc_lo, 0x7f800000, v82
                                        ; implicit-def: $vgpr82
	s_and_saveexec_b32 s2, vcc_lo
	s_xor_b32 s2, exec_lo, s2
; %bb.57:
	v_bfe_u32 v82, v83, 16, 1
	s_delay_alu instid0(VALU_DEP_1)
	v_add3_u32 v82, v83, v82, 0x7fff
                                        ; implicit-def: $vgpr83
; %bb.58:
	s_and_not1_saveexec_b32 s2, s2
; %bb.59:
	v_and_b32_e32 v82, 0xffff, v83
	v_or_b32_e32 v84, 0x10000, v83
	s_delay_alu instid0(VALU_DEP_2) | instskip(NEXT) | instid1(VALU_DEP_2)
	v_cmp_eq_u32_e32 vcc_lo, 0, v82
	v_cndmask_b32_e32 v82, v84, v83, vcc_lo
; %bb.60:
	s_or_b32 exec_lo, exec_lo, s2
	v_and_b32_e32 v83, 0x7f800000, v79
	s_delay_alu instid0(VALU_DEP_1) | instskip(SKIP_1) | instid1(SALU_CYCLE_1)
	v_cmp_ne_u32_e32 vcc_lo, 0x7f800000, v83
                                        ; implicit-def: $vgpr83
	s_and_saveexec_b32 s2, vcc_lo
	s_xor_b32 s2, exec_lo, s2
; %bb.61:
	v_bfe_u32 v83, v79, 16, 1
	s_delay_alu instid0(VALU_DEP_1)
	v_add3_u32 v83, v79, v83, 0x7fff
                                        ; implicit-def: $vgpr79
; %bb.62:
	s_and_not1_saveexec_b32 s2, s2
; %bb.63:
	v_and_b32_e32 v83, 0xffff, v79
	v_or_b32_e32 v84, 0x10000, v79
	s_delay_alu instid0(VALU_DEP_2) | instskip(NEXT) | instid1(VALU_DEP_2)
	v_cmp_eq_u32_e32 vcc_lo, 0, v83
	v_cndmask_b32_e32 v83, v84, v79, vcc_lo
; %bb.64:
	s_or_b32 exec_lo, exec_lo, s2
	v_and_b32_e32 v79, 0x7f800000, v80
	s_delay_alu instid0(VALU_DEP_1) | instskip(SKIP_1) | instid1(SALU_CYCLE_1)
	v_cmp_ne_u32_e32 vcc_lo, 0x7f800000, v79
                                        ; implicit-def: $vgpr79
	s_and_saveexec_b32 s2, vcc_lo
	s_xor_b32 s2, exec_lo, s2
; %bb.65:
	v_bfe_u32 v79, v80, 16, 1
	s_delay_alu instid0(VALU_DEP_1)
	v_add3_u32 v79, v80, v79, 0x7fff
                                        ; implicit-def: $vgpr80
; %bb.66:
	s_and_not1_saveexec_b32 s2, s2
; %bb.67:
	v_and_b32_e32 v79, 0xffff, v80
	v_or_b32_e32 v84, 0x10000, v80
	s_delay_alu instid0(VALU_DEP_2) | instskip(NEXT) | instid1(VALU_DEP_2)
	v_cmp_eq_u32_e32 vcc_lo, 0, v79
	v_cndmask_b32_e32 v79, v84, v80, vcc_lo
; %bb.68:
	s_or_b32 exec_lo, exec_lo, s2
	v_and_b32_e32 v80, 0x7f800000, v71
	s_delay_alu instid0(VALU_DEP_1) | instskip(SKIP_1) | instid1(SALU_CYCLE_1)
	v_cmp_ne_u32_e32 vcc_lo, 0x7f800000, v80
                                        ; implicit-def: $vgpr80
	s_and_saveexec_b32 s2, vcc_lo
	s_xor_b32 s2, exec_lo, s2
; %bb.69:
	v_bfe_u32 v80, v71, 16, 1
	s_delay_alu instid0(VALU_DEP_1)
	v_add3_u32 v80, v71, v80, 0x7fff
                                        ; implicit-def: $vgpr71
; %bb.70:
	s_and_not1_saveexec_b32 s2, s2
; %bb.71:
	v_and_b32_e32 v80, 0xffff, v71
	v_or_b32_e32 v84, 0x10000, v71
	s_delay_alu instid0(VALU_DEP_2) | instskip(NEXT) | instid1(VALU_DEP_2)
	v_cmp_eq_u32_e32 vcc_lo, 0, v80
	v_cndmask_b32_e32 v80, v84, v71, vcc_lo
; %bb.72:
	s_or_b32 exec_lo, exec_lo, s2
	v_and_b32_e32 v71, 0x7f800000, v66
	s_delay_alu instid0(VALU_DEP_1) | instskip(SKIP_1) | instid1(SALU_CYCLE_1)
	v_cmp_ne_u32_e32 vcc_lo, 0x7f800000, v71
                                        ; implicit-def: $vgpr71
	s_and_saveexec_b32 s2, vcc_lo
	s_xor_b32 s2, exec_lo, s2
; %bb.73:
	v_bfe_u32 v71, v66, 16, 1
	s_delay_alu instid0(VALU_DEP_1)
	v_add3_u32 v71, v66, v71, 0x7fff
                                        ; implicit-def: $vgpr66
; %bb.74:
	s_and_not1_saveexec_b32 s2, s2
; %bb.75:
	v_and_b32_e32 v71, 0xffff, v66
	v_or_b32_e32 v84, 0x10000, v66
	s_delay_alu instid0(VALU_DEP_2) | instskip(NEXT) | instid1(VALU_DEP_2)
	v_cmp_eq_u32_e32 vcc_lo, 0, v71
	v_cndmask_b32_e32 v71, v84, v66, vcc_lo
; %bb.76:
	s_or_b32 exec_lo, exec_lo, s2
	s_delay_alu instid0(VALU_DEP_1)
	v_perm_b32 v87, v71, v80, 0x7060302
	v_perm_b32 v86, v79, v83, 0x7060302
	;; [unrolled: 1-line block ×4, first 2 shown]
	v_lshl_or_b32 v83, v67, 11, v81
	ds_store_b128 v77, v[84:87] offset:1024
	s_waitcnt lgkmcnt(0)
	s_barrier
	buffer_gl0_inv
	ds_load_b128 v[84:87], v83
	ds_load_b128 v[88:91], v83 offset:16
	s_waitcnt lgkmcnt(1)
	v_lshrrev_b32_e32 v70, 16, v87
	s_waitcnt lgkmcnt(0)
	v_lshrrev_b32_e32 v71, 16, v88
	v_lshlrev_b32_e32 v79, 2, v65
	v_lshrrev_b32_e32 v65, 16, v84
	v_lshrrev_b32_e32 v66, 16, v85
	;; [unrolled: 1-line block ×4, first 2 shown]
	v_cmp_eq_u32_e32 vcc_lo, 1, v79
	v_lshrrev_b32_e32 v100, 16, v90
	v_lshrrev_b32_e32 v101, 16, v91
	v_cndmask_b32_e32 v92, v88, v71, vcc_lo
	v_or_b32_e32 v80, 1, v79
	v_cndmask_b32_e32 v82, v84, v65, vcc_lo
	v_cmp_eq_u32_e64 s3, 2, v79
	v_cmp_eq_u32_e64 s6, 3, v79
	;; [unrolled: 1-line block ×5, first 2 shown]
	v_cndmask_b32_e64 v82, v82, v85, s3
	v_cndmask_b32_e64 v92, v92, v89, s3
	v_cmp_eq_u32_e64 s7, 3, v80
	v_cndmask_b32_e64 v93, v84, v65, s2
	v_or_b32_e32 v78, 2, v79
	v_cndmask_b32_e64 v82, v82, v66, s6
	v_cndmask_b32_e64 v92, v92, v72, s6
	;; [unrolled: 1-line block ×4, first 2 shown]
	v_cmp_eq_u32_e64 s9, 5, v79
	v_cndmask_b32_e64 v82, v82, v86, s8
	v_cndmask_b32_e64 v92, v92, v90, s8
	v_cmp_eq_u32_e64 s10, 4, v80
	v_cndmask_b32_e64 v93, v93, v66, s7
	v_cmp_eq_u32_e64 s4, 1, v78
	v_cndmask_b32_e64 v94, v94, v89, s5
	v_cndmask_b32_e64 v82, v82, v67, s9
	v_cmp_eq_u32_e64 s11, 6, v79
	v_cndmask_b32_e64 v93, v93, v86, s10
	;; [unrolled: 3-line block ×3, first 2 shown]
	v_cndmask_b32_e64 v94, v94, v72, s7
	v_cndmask_b32_e64 v82, v82, v87, s11
	v_cmp_eq_u32_e64 s13, 7, v79
	v_cndmask_b32_e64 v93, v93, v67, s12
	v_cndmask_b32_e64 v92, v92, v91, s11
	v_cmp_eq_u32_e64 s15, 6, v80
	v_cmp_eq_u32_e64 s16, 2, v78
	v_cndmask_b32_e64 v94, v94, v90, s10
	v_cndmask_b32_e64 v102, v82, v70, s13
	;; [unrolled: 1-line block ×6, first 2 shown]
	v_cmp_eq_u32_e64 s17, 7, v80
	v_cmp_eq_u32_e64 s18, 3, v78
	;; [unrolled: 1-line block ×4, first 2 shown]
	v_cndmask_b32_e64 v92, v92, v89, s16
	v_cndmask_b32_e64 v104, v93, v70, s17
	;; [unrolled: 1-line block ×4, first 2 shown]
	v_or_b32_e32 v82, 3, v79
	v_cndmask_b32_e64 v97, v92, v72, s18
	v_cmp_eq_u32_e64 s23, 6, v78
	v_cndmask_b32_e64 v105, v93, v91, s15
	v_cndmask_b32_e64 v96, v94, v86, s19
	v_cmp_eq_u32_e64 s20, 1, v82
	ds_load_b128 v[92:95], v83 offset:1024
	v_cmp_eq_u32_e64 s22, 2, v82
	v_cmp_eq_u32_e64 s24, 3, v82
	v_cndmask_b32_e64 v106, v96, v67, s21
	v_cndmask_b32_e64 v65, v84, v65, s20
	v_cndmask_b32_e64 v84, v97, v90, s19
	ds_load_b128 v[96:99], v83 offset:1040
	v_cndmask_b32_e64 v71, v88, v71, s20
	v_cmp_eq_u32_e64 s25, 4, v82
	v_cndmask_b32_e64 v65, v65, v85, s22
	v_cmp_eq_u32_e64 s27, 5, v82
	v_cmp_eq_u32_e64 s28, 6, v82
	v_cndmask_b32_e64 v71, v71, v89, s22
	v_cndmask_b32_e64 v84, v84, v100, s21
	;; [unrolled: 1-line block ×4, first 2 shown]
	v_cmp_eq_u32_e64 s26, 7, v78
	v_cndmask_b32_e64 v71, v71, v72, s24
	v_cndmask_b32_e64 v84, v84, v91, s23
	;; [unrolled: 1-line block ×3, first 2 shown]
	s_waitcnt lgkmcnt(1)
	v_lshrrev_b32_e32 v72, 16, v92
	v_lshrrev_b32_e32 v88, 16, v93
	v_cndmask_b32_e64 v71, v71, v90, s25
	v_cndmask_b32_e64 v66, v66, v70, s26
	;; [unrolled: 1-line block ×6, first 2 shown]
	s_waitcnt lgkmcnt(0)
	v_lshrrev_b32_e32 v71, 16, v96
	v_cndmask_b32_e64 v65, v65, v87, s28
	v_cndmask_b32_e64 v87, v89, v93, s5
	v_lshrrev_b32_e32 v100, 16, v98
	v_cndmask_b32_e64 v67, v67, v91, s28
	v_cndmask_b32_e32 v86, v92, v72, vcc_lo
	v_cndmask_b32_e32 v90, v96, v71, vcc_lo
	v_cmp_eq_u32_e32 vcc_lo, 7, v82
	v_cndmask_b32_e64 v87, v87, v88, s7
	v_lshrrev_b32_e32 v91, 16, v94
	v_cndmask_b32_e64 v85, v105, v101, s17
	v_cndmask_b32_e64 v89, v90, v97, s3
	v_cndmask_b32_e32 v67, v67, v101, vcc_lo
	v_cndmask_b32_e64 v86, v86, v93, s3
	v_lshrrev_b32_e32 v90, 16, v97
	v_cndmask_b32_e32 v65, v65, v70, vcc_lo
	v_cndmask_b32_e64 v70, v87, v94, s10
	v_cndmask_b32_e64 v101, v96, v71, s4
	;; [unrolled: 1-line block ×4, first 2 shown]
	v_perm_b32 v87, v67, v65, 0x5040100
	v_cndmask_b32_e64 v65, v70, v91, s12
	v_lshrrev_b32_e32 v70, 16, v95
	v_cndmask_b32_e64 v86, v86, v94, s8
	v_cndmask_b32_e64 v89, v89, v98, s8
	v_perm_b32 v85, v85, v104, 0x5040100
	v_cndmask_b32_e64 v65, v65, v95, s15
	s_delay_alu instid0(VALU_DEP_4) | instskip(NEXT) | instid1(VALU_DEP_4)
	v_cndmask_b32_e64 v86, v86, v91, s9
	v_cndmask_b32_e64 v89, v89, v100, s9
	s_delay_alu instid0(VALU_DEP_3) | instskip(NEXT) | instid1(VALU_DEP_3)
	v_cndmask_b32_e64 v65, v65, v70, s17
	v_cndmask_b32_e64 v67, v86, v95, s11
	v_perm_b32 v86, v84, v66, 0x5040100
	v_lshrrev_b32_e32 v84, 16, v99
	s_delay_alu instid0(VALU_DEP_3)
	v_cndmask_b32_e64 v66, v67, v70, s13
	v_cndmask_b32_e64 v67, v89, v99, s11
	;; [unrolled: 1-line block ×33, first 2 shown]
	v_cndmask_b32_e32 v70, v72, v70, vcc_lo
	v_cndmask_b32_e32 v72, v88, v84, vcc_lo
	v_cndmask_b32_e64 v88, v90, v84, s26
	v_cndmask_b32_e64 v71, v71, v84, s17
	v_perm_b32 v84, v103, v102, 0x5040100
	s_lshl_b32 s7, s35, 1
	v_perm_b32 v91, v72, v70, 0x5040100
	v_perm_b32 v90, v88, v89, 0x5040100
	;; [unrolled: 1-line block ×4, first 2 shown]
	s_mov_b32 s2, exec_lo
	ds_store_b128 v77, v[84:87]
	ds_store_b128 v77, v[88:91] offset:1024
	v_cmpx_gt_u32_e32 2, v0
	s_cbranch_execz .LBB1679_78
; %bb.77:
	v_or_b32_e32 v65, s31, v0
	s_load_b128 s[8:11], s[0:1], 0x58
	s_delay_alu instid0(VALU_DEP_1) | instskip(NEXT) | instid1(VALU_DEP_1)
	v_mad_u64_u32 v[66:67], null, s7, s30, v[65:66]
	v_mad_u64_u32 v[70:71], null, v66, s34, s[14:15]
	s_delay_alu instid0(VALU_DEP_1) | instskip(NEXT) | instid1(VALU_DEP_1)
	v_ashrrev_i32_e32 v71, 31, v70
	v_lshlrev_b64 v[65:66], 2, v[70:71]
	s_waitcnt lgkmcnt(0)
	s_delay_alu instid0(VALU_DEP_1) | instskip(NEXT) | instid1(VALU_DEP_2)
	v_add_co_u32 v70, vcc_lo, s10, v65
	v_add_co_ci_u32_e32 v71, vcc_lo, s11, v66, vcc_lo
	v_add_co_u32 v65, vcc_lo, s8, v65
	v_add_co_ci_u32_e32 v66, vcc_lo, s9, v66, vcc_lo
	global_store_b32 v[70:71], v68, off
	global_store_b32 v[65:66], v69, off
.LBB1679_78:
	s_or_b32 exec_lo, exec_lo, s2
	s_waitcnt lgkmcnt(0)
	s_waitcnt_vscnt null, 0x0
	s_barrier
	buffer_gl0_inv
	ds_load_b128 v[84:87], v81
	ds_load_b128 v[88:91], v81 offset:16
	ds_load_b128 v[96:99], v81 offset:2064
	;; [unrolled: 1-line block ×3, first 2 shown]
	v_mov_b32_e32 v65, 0
	ds_load_b128 v[104:107], v81 offset:4112
	ds_load_b128 v[100:103], v81 offset:4096
	;; [unrolled: 1-line block ×4, first 2 shown]
	v_mov_b32_e32 v66, v65
	v_mov_b32_e32 v67, v65
	v_mov_b32_e32 v68, v65
	v_mov_b32_e32 v69, v65
	v_mov_b32_e32 v70, v65
	v_mov_b32_e32 v71, v65
	v_mov_b32_e32 v72, v65
	s_waitcnt lgkmcnt(6)
	s_delay_alu instid0(VALU_DEP_1)
	v_wmma_f32_16x16x16_bf16 v[65:72], v[57:64], v[84:91], v[65:72]
	ds_load_b128 v[61:64], v81 offset:8208
	ds_load_b128 v[57:60], v81 offset:8192
	s_waitcnt lgkmcnt(6)
	v_wmma_f32_16x16x16_bf16 v[65:72], v[41:48], v[92:99], v[65:72]
	ds_load_b128 v[45:48], v81 offset:10256
	ds_load_b128 v[41:44], v81 offset:10240
	s_waitcnt lgkmcnt(6)
	;; [unrolled: 4-line block ×4, first 2 shown]
	v_wmma_f32_16x16x16_bf16 v[65:72], v[1:8], v[57:64], v[65:72]
	s_waitcnt lgkmcnt(4)
	s_delay_alu instid0(VALU_DEP_1) | instskip(SKIP_1) | instid1(VALU_DEP_1)
	v_wmma_f32_16x16x16_bf16 v[65:72], v[9:16], v[41:48], v[65:72]
	s_waitcnt lgkmcnt(2)
	v_wmma_f32_16x16x16_bf16 v[65:72], v[17:24], v[33:40], v[65:72]
	s_waitcnt lgkmcnt(0)
	s_delay_alu instid0(VALU_DEP_1) | instskip(NEXT) | instid1(VALU_DEP_1)
	v_wmma_f32_16x16x16_bf16 v[65:72], v[49:56], v[25:32], v[65:72]
	v_and_b32_e32 v1, 0x7f800000, v65
	s_delay_alu instid0(VALU_DEP_1) | instskip(SKIP_1) | instid1(SALU_CYCLE_1)
	v_cmp_ne_u32_e32 vcc_lo, 0x7f800000, v1
                                        ; implicit-def: $vgpr1
	s_and_saveexec_b32 s2, vcc_lo
	s_xor_b32 s2, exec_lo, s2
; %bb.79:
	v_bfe_u32 v1, v65, 16, 1
	s_delay_alu instid0(VALU_DEP_1)
	v_add3_u32 v1, v65, v1, 0x7fff
; %bb.80:
	s_and_not1_saveexec_b32 s2, s2
; %bb.81:
	v_and_b32_e32 v1, 0xffff, v65
	v_or_b32_e32 v2, 0x10000, v65
	s_delay_alu instid0(VALU_DEP_2) | instskip(NEXT) | instid1(VALU_DEP_2)
	v_cmp_eq_u32_e32 vcc_lo, 0, v1
	v_cndmask_b32_e32 v1, v2, v65, vcc_lo
; %bb.82:
	s_or_b32 exec_lo, exec_lo, s2
	v_and_b32_e32 v2, 0x7f800000, v66
	s_delay_alu instid0(VALU_DEP_1) | instskip(SKIP_1) | instid1(SALU_CYCLE_1)
	v_cmp_ne_u32_e32 vcc_lo, 0x7f800000, v2
                                        ; implicit-def: $vgpr2
	s_and_saveexec_b32 s2, vcc_lo
	s_xor_b32 s2, exec_lo, s2
; %bb.83:
	v_bfe_u32 v2, v66, 16, 1
	s_delay_alu instid0(VALU_DEP_1)
	v_add3_u32 v2, v66, v2, 0x7fff
; %bb.84:
	s_and_not1_saveexec_b32 s2, s2
; %bb.85:
	v_and_b32_e32 v2, 0xffff, v66
	v_or_b32_e32 v3, 0x10000, v66
	s_delay_alu instid0(VALU_DEP_2) | instskip(NEXT) | instid1(VALU_DEP_2)
	v_cmp_eq_u32_e32 vcc_lo, 0, v2
	v_cndmask_b32_e32 v2, v3, v66, vcc_lo
; %bb.86:
	s_or_b32 exec_lo, exec_lo, s2
	v_and_b32_e32 v3, 0x7f800000, v67
	s_delay_alu instid0(VALU_DEP_1) | instskip(SKIP_1) | instid1(SALU_CYCLE_1)
	v_cmp_ne_u32_e32 vcc_lo, 0x7f800000, v3
                                        ; implicit-def: $vgpr3
	s_and_saveexec_b32 s2, vcc_lo
	s_xor_b32 s2, exec_lo, s2
; %bb.87:
	v_bfe_u32 v3, v67, 16, 1
	s_delay_alu instid0(VALU_DEP_1)
	v_add3_u32 v3, v67, v3, 0x7fff
; %bb.88:
	s_and_not1_saveexec_b32 s2, s2
; %bb.89:
	v_and_b32_e32 v3, 0xffff, v67
	v_or_b32_e32 v4, 0x10000, v67
	s_delay_alu instid0(VALU_DEP_2) | instskip(NEXT) | instid1(VALU_DEP_2)
	v_cmp_eq_u32_e32 vcc_lo, 0, v3
	v_cndmask_b32_e32 v3, v4, v67, vcc_lo
; %bb.90:
	s_or_b32 exec_lo, exec_lo, s2
	v_and_b32_e32 v4, 0x7f800000, v68
	s_delay_alu instid0(VALU_DEP_1) | instskip(SKIP_1) | instid1(SALU_CYCLE_1)
	v_cmp_ne_u32_e32 vcc_lo, 0x7f800000, v4
                                        ; implicit-def: $vgpr4
	s_and_saveexec_b32 s2, vcc_lo
	s_xor_b32 s2, exec_lo, s2
; %bb.91:
	v_bfe_u32 v4, v68, 16, 1
	s_delay_alu instid0(VALU_DEP_1)
	v_add3_u32 v4, v68, v4, 0x7fff
; %bb.92:
	s_and_not1_saveexec_b32 s2, s2
; %bb.93:
	v_and_b32_e32 v4, 0xffff, v68
	v_or_b32_e32 v5, 0x10000, v68
	s_delay_alu instid0(VALU_DEP_2) | instskip(NEXT) | instid1(VALU_DEP_2)
	v_cmp_eq_u32_e32 vcc_lo, 0, v4
	v_cndmask_b32_e32 v4, v5, v68, vcc_lo
; %bb.94:
	s_or_b32 exec_lo, exec_lo, s2
	v_and_b32_e32 v5, 0x7f800000, v69
	s_delay_alu instid0(VALU_DEP_1) | instskip(SKIP_1) | instid1(SALU_CYCLE_1)
	v_cmp_ne_u32_e32 vcc_lo, 0x7f800000, v5
                                        ; implicit-def: $vgpr5
	s_and_saveexec_b32 s2, vcc_lo
	s_xor_b32 s2, exec_lo, s2
; %bb.95:
	v_bfe_u32 v5, v69, 16, 1
	s_delay_alu instid0(VALU_DEP_1)
	v_add3_u32 v5, v69, v5, 0x7fff
; %bb.96:
	s_and_not1_saveexec_b32 s2, s2
; %bb.97:
	v_and_b32_e32 v5, 0xffff, v69
	v_or_b32_e32 v6, 0x10000, v69
	s_delay_alu instid0(VALU_DEP_2) | instskip(NEXT) | instid1(VALU_DEP_2)
	v_cmp_eq_u32_e32 vcc_lo, 0, v5
	v_cndmask_b32_e32 v5, v6, v69, vcc_lo
; %bb.98:
	s_or_b32 exec_lo, exec_lo, s2
	v_and_b32_e32 v6, 0x7f800000, v70
	s_delay_alu instid0(VALU_DEP_1) | instskip(SKIP_1) | instid1(SALU_CYCLE_1)
	v_cmp_ne_u32_e32 vcc_lo, 0x7f800000, v6
                                        ; implicit-def: $vgpr6
	s_and_saveexec_b32 s2, vcc_lo
	s_xor_b32 s2, exec_lo, s2
; %bb.99:
	v_bfe_u32 v6, v70, 16, 1
	s_delay_alu instid0(VALU_DEP_1)
	v_add3_u32 v6, v70, v6, 0x7fff
; %bb.100:
	s_and_not1_saveexec_b32 s2, s2
; %bb.101:
	v_and_b32_e32 v6, 0xffff, v70
	v_or_b32_e32 v7, 0x10000, v70
	s_delay_alu instid0(VALU_DEP_2) | instskip(NEXT) | instid1(VALU_DEP_2)
	v_cmp_eq_u32_e32 vcc_lo, 0, v6
	v_cndmask_b32_e32 v6, v7, v70, vcc_lo
; %bb.102:
	s_or_b32 exec_lo, exec_lo, s2
	v_and_b32_e32 v7, 0x7f800000, v71
	s_delay_alu instid0(VALU_DEP_1) | instskip(SKIP_1) | instid1(SALU_CYCLE_1)
	v_cmp_ne_u32_e32 vcc_lo, 0x7f800000, v7
                                        ; implicit-def: $vgpr7
	s_and_saveexec_b32 s2, vcc_lo
	s_xor_b32 s2, exec_lo, s2
; %bb.103:
	v_bfe_u32 v7, v71, 16, 1
	s_delay_alu instid0(VALU_DEP_1)
	v_add3_u32 v7, v71, v7, 0x7fff
; %bb.104:
	s_and_not1_saveexec_b32 s2, s2
; %bb.105:
	v_and_b32_e32 v7, 0xffff, v71
	v_or_b32_e32 v8, 0x10000, v71
	s_delay_alu instid0(VALU_DEP_2) | instskip(NEXT) | instid1(VALU_DEP_2)
	v_cmp_eq_u32_e32 vcc_lo, 0, v7
	v_cndmask_b32_e32 v7, v8, v71, vcc_lo
; %bb.106:
	s_or_b32 exec_lo, exec_lo, s2
	v_and_b32_e32 v8, 0x7f800000, v72
	s_delay_alu instid0(VALU_DEP_1) | instskip(SKIP_1) | instid1(SALU_CYCLE_1)
	v_cmp_ne_u32_e32 vcc_lo, 0x7f800000, v8
                                        ; implicit-def: $vgpr8
	s_and_saveexec_b32 s2, vcc_lo
	s_xor_b32 s2, exec_lo, s2
; %bb.107:
	v_bfe_u32 v8, v72, 16, 1
	s_delay_alu instid0(VALU_DEP_1)
	v_add3_u32 v8, v72, v8, 0x7fff
                                        ; implicit-def: $vgpr65_vgpr66_vgpr67_vgpr68_vgpr69_vgpr70_vgpr71_vgpr72
; %bb.108:
	s_and_not1_saveexec_b32 s2, s2
; %bb.109:
	v_and_b32_e32 v8, 0xffff, v72
	v_or_b32_e32 v9, 0x10000, v72
	s_delay_alu instid0(VALU_DEP_2) | instskip(NEXT) | instid1(VALU_DEP_2)
	v_cmp_eq_u32_e32 vcc_lo, 0, v8
	v_cndmask_b32_e32 v8, v9, v72, vcc_lo
; %bb.110:
	s_or_b32 exec_lo, exec_lo, s2
	s_delay_alu instid0(VALU_DEP_1)
	v_perm_b32 v7, v8, v7, 0x7060302
	v_perm_b32 v6, v6, v5, 0x7060302
	;; [unrolled: 1-line block ×4, first 2 shown]
	s_barrier
	buffer_gl0_inv
	v_cmp_eq_u32_e32 vcc_lo, 1, v79
	ds_store_b128 v77, v[4:7]
	s_waitcnt lgkmcnt(0)
	s_barrier
	buffer_gl0_inv
	ds_load_b128 v[1:4], v83
	ds_load_b128 v[5:8], v83 offset:16
	v_cmp_eq_u32_e64 s2, 1, v80
	v_cmp_eq_u32_e64 s3, 2, v79
	;; [unrolled: 1-line block ×5, first 2 shown]
	s_waitcnt lgkmcnt(1)
	v_lshrrev_b32_e32 v9, 16, v1
	s_waitcnt lgkmcnt(0)
	v_lshrrev_b32_e32 v13, 16, v5
	v_lshrrev_b32_e32 v10, 16, v2
	;; [unrolled: 1-line block ×4, first 2 shown]
	v_cndmask_b32_e64 v19, v1, v9, s2
	v_cndmask_b32_e32 v18, v5, v13, vcc_lo
	v_cndmask_b32_e64 v20, v5, v13, s2
	v_cndmask_b32_e32 v17, v1, v9, vcc_lo
	v_cmp_eq_u32_e32 vcc_lo, 2, v80
	v_lshrrev_b32_e32 v15, 16, v7
	v_cmp_eq_u32_e64 s2, 1, v78
	v_lshrrev_b32_e32 v12, 16, v4
	v_lshrrev_b32_e32 v16, 16, v8
	v_cndmask_b32_e32 v20, v20, v6, vcc_lo
	v_cndmask_b32_e64 v17, v17, v2, s3
	v_cndmask_b32_e32 v19, v19, v2, vcc_lo
	v_cndmask_b32_e64 v18, v18, v6, s3
	v_cmp_eq_u32_e32 vcc_lo, 4, v79
	v_cmp_eq_u32_e64 s3, 3, v80
	v_cndmask_b32_e64 v17, v17, v10, s4
	v_cndmask_b32_e64 v21, v1, v9, s2
	;; [unrolled: 1-line block ×5, first 2 shown]
	v_cndmask_b32_e32 v17, v17, v3, vcc_lo
	v_cndmask_b32_e64 v20, v20, v14, s3
	v_cndmask_b32_e32 v18, v18, v7, vcc_lo
	v_cmp_eq_u32_e32 vcc_lo, 4, v80
	v_cmp_eq_u32_e64 s3, 5, v80
	v_cmp_eq_u32_e64 s2, 2, v82
	v_cndmask_b32_e64 v21, v21, v2, s6
	v_cmp_eq_u32_e64 s4, 5, v79
	v_cndmask_b32_e32 v19, v19, v3, vcc_lo
	v_cndmask_b32_e32 v20, v20, v7, vcc_lo
	v_cmp_eq_u32_e32 vcc_lo, 6, v80
	s_delay_alu instid0(VALU_DEP_4) | instskip(NEXT) | instid1(VALU_DEP_4)
	v_cndmask_b32_e64 v17, v17, v11, s4
	v_cndmask_b32_e64 v19, v19, v11, s3
	s_delay_alu instid0(VALU_DEP_4) | instskip(SKIP_1) | instid1(VALU_DEP_3)
	v_cndmask_b32_e64 v20, v20, v15, s3
	v_cmp_eq_u32_e64 s3, 1, v82
	v_cndmask_b32_e32 v19, v19, v4, vcc_lo
	v_cndmask_b32_e64 v18, v18, v15, s4
	s_delay_alu instid0(VALU_DEP_3)
	v_cndmask_b32_e64 v1, v1, v9, s3
	v_cndmask_b32_e64 v5, v5, v13, s3
	v_cmp_eq_u32_e64 s3, 3, v78
	v_cndmask_b32_e64 v13, v22, v6, s6
	v_cmp_eq_u32_e64 s6, 3, v82
	v_cndmask_b32_e64 v1, v1, v2, s2
	v_cndmask_b32_e64 v2, v5, v6, s2
	;; [unrolled: 1-line block ×3, first 2 shown]
	v_cmp_eq_u32_e64 s2, 4, v78
	v_cndmask_b32_e64 v6, v13, v14, s3
	v_cndmask_b32_e64 v1, v1, v10, s6
	v_cmp_eq_u32_e64 s3, 4, v82
	v_cndmask_b32_e64 v2, v2, v14, s6
	v_cndmask_b32_e64 v5, v9, v3, s2
	;; [unrolled: 3-line block ×3, first 2 shown]
	v_cndmask_b32_e64 v2, v2, v7, s3
	v_cmp_eq_u32_e64 s2, 5, v82
	v_cmp_eq_u32_e64 s4, 6, v79
	v_cndmask_b32_e64 v5, v5, v11, s6
	v_cmp_eq_u32_e64 s3, 6, v78
	v_cndmask_b32_e64 v3, v6, v15, s6
	v_cndmask_b32_e64 v1, v1, v11, s2
	v_cmp_eq_u32_e64 s6, 6, v82
	v_cndmask_b32_e64 v2, v2, v15, s2
	v_cndmask_b32_e64 v17, v17, v4, s4
	v_cndmask_b32_e64 v18, v18, v8, s4
	v_cmp_eq_u32_e64 s4, 7, v79
	v_cndmask_b32_e64 v5, v5, v4, s3
	;; [unrolled: 4-line block ×3, first 2 shown]
	v_cmp_eq_u32_e64 s3, 7, v78
	v_cndmask_b32_e32 v4, v20, v8, vcc_lo
	v_cndmask_b32_e64 v17, v17, v12, s4
	v_cndmask_b32_e64 v19, v19, v12, s5
	;; [unrolled: 1-line block ×8, first 2 shown]
	s_delay_alu instid0(VALU_DEP_4) | instskip(NEXT) | instid1(VALU_DEP_4)
	v_perm_b32 v4, v2, v1, 0x5040100
	v_perm_b32 v3, v3, v5, 0x5040100
	s_delay_alu instid0(VALU_DEP_4) | instskip(NEXT) | instid1(VALU_DEP_4)
	v_perm_b32 v2, v6, v19, 0x5040100
	v_perm_b32 v1, v7, v17, 0x5040100
	ds_store_b128 v77, v[1:4]
	s_waitcnt lgkmcnt(0)
	s_barrier
	buffer_gl0_inv
	s_and_saveexec_b32 s2, s29
	s_cbranch_execz .LBB1679_2
; %bb.111:
	s_load_b64 s[0:1], s[0:1], 0x68
	v_lshlrev_b32_e32 v0, 10, v0
	s_lshl_b32 s2, s34, 6
	v_lshlrev_b32_e32 v1, 4, v76
	v_mul_lo_u32 v4, s2, v75
	s_mul_i32 s3, s2, s30
	v_and_b32_e32 v0, 0x3800, v0
	s_mul_i32 s2, s3, s7
	s_delay_alu instid0(SALU_CYCLE_1) | instskip(NEXT) | instid1(VALU_DEP_1)
	s_ashr_i32 s3, s2, 31
	v_or3_b32 v0, v0, v74, v1
	s_lshl_b64 s[2:3], s[2:3], 1
	s_delay_alu instid0(VALU_DEP_3)
	v_ashrrev_i32_e32 v5, 31, v4
	ds_load_b128 v[0:3], v0
	v_lshlrev_b64 v[4:5], 1, v[4:5]
	s_waitcnt lgkmcnt(0)
	s_add_u32 s2, s0, s2
	s_addc_u32 s3, s1, s3
	s_lshl_b32 s0, s14, 6
	s_delay_alu instid0(SALU_CYCLE_1) | instskip(NEXT) | instid1(SALU_CYCLE_1)
	s_ashr_i32 s1, s0, 31
	s_lshl_b64 s[0:1], s[0:1], 1
	s_delay_alu instid0(SALU_CYCLE_1) | instskip(SKIP_3) | instid1(VALU_DEP_2)
	s_add_u32 s0, s2, s0
	s_addc_u32 s1, s3, s1
	v_add_co_u32 v4, vcc_lo, s0, v4
	v_add_co_ci_u32_e32 v5, vcc_lo, s1, v5, vcc_lo
	v_add_co_u32 v4, vcc_lo, v4, v73
	s_delay_alu instid0(VALU_DEP_2)
	v_add_co_ci_u32_e32 v5, vcc_lo, 0, v5, vcc_lo
	global_store_b128 v[4:5], v[0:3], off
	s_nop 0
	s_sendmsg sendmsg(MSG_DEALLOC_VGPRS)
	s_endpgm
	.section	.rodata,"a",@progbits
	.p2align	6, 0x0
	.amdhsa_kernel _Z39paged_attention_ll4mi_QKV_mfma16_kernelI14__hip_bfloat16hLN4vllm18Fp8KVCacheDataTypeE1EhLi16ELi64ELi256ELb1ELi2EL8MFMAType0EEvPKT_PKT0_S9_ifPKiSB_SB_iPKfiiiPfSE_PS4_PT2_iSD_SD_
		.amdhsa_group_segment_fixed_size 17472
		.amdhsa_private_segment_fixed_size 0
		.amdhsa_kernarg_size 400
		.amdhsa_user_sgpr_count 13
		.amdhsa_user_sgpr_dispatch_ptr 0
		.amdhsa_user_sgpr_queue_ptr 0
		.amdhsa_user_sgpr_kernarg_segment_ptr 1
		.amdhsa_user_sgpr_dispatch_id 0
		.amdhsa_user_sgpr_private_segment_size 0
		.amdhsa_wavefront_size32 1
		.amdhsa_uses_dynamic_stack 0
		.amdhsa_enable_private_segment 0
		.amdhsa_system_sgpr_workgroup_id_x 1
		.amdhsa_system_sgpr_workgroup_id_y 1
		.amdhsa_system_sgpr_workgroup_id_z 1
		.amdhsa_system_sgpr_workgroup_info 0
		.amdhsa_system_vgpr_workitem_id 0
		.amdhsa_next_free_vgpr 125
		.amdhsa_next_free_sgpr 38
		.amdhsa_reserve_vcc 1
		.amdhsa_float_round_mode_32 0
		.amdhsa_float_round_mode_16_64 0
		.amdhsa_float_denorm_mode_32 3
		.amdhsa_float_denorm_mode_16_64 3
		.amdhsa_dx10_clamp 1
		.amdhsa_ieee_mode 1
		.amdhsa_fp16_overflow 0
		.amdhsa_workgroup_processor_mode 1
		.amdhsa_memory_ordered 1
		.amdhsa_forward_progress 0
		.amdhsa_shared_vgpr_count 0
		.amdhsa_exception_fp_ieee_invalid_op 0
		.amdhsa_exception_fp_denorm_src 0
		.amdhsa_exception_fp_ieee_div_zero 0
		.amdhsa_exception_fp_ieee_overflow 0
		.amdhsa_exception_fp_ieee_underflow 0
		.amdhsa_exception_fp_ieee_inexact 0
		.amdhsa_exception_int_div_zero 0
	.end_amdhsa_kernel
	.section	.text._Z39paged_attention_ll4mi_QKV_mfma16_kernelI14__hip_bfloat16hLN4vllm18Fp8KVCacheDataTypeE1EhLi16ELi64ELi256ELb1ELi2EL8MFMAType0EEvPKT_PKT0_S9_ifPKiSB_SB_iPKfiiiPfSE_PS4_PT2_iSD_SD_,"axG",@progbits,_Z39paged_attention_ll4mi_QKV_mfma16_kernelI14__hip_bfloat16hLN4vllm18Fp8KVCacheDataTypeE1EhLi16ELi64ELi256ELb1ELi2EL8MFMAType0EEvPKT_PKT0_S9_ifPKiSB_SB_iPKfiiiPfSE_PS4_PT2_iSD_SD_,comdat
.Lfunc_end1679:
	.size	_Z39paged_attention_ll4mi_QKV_mfma16_kernelI14__hip_bfloat16hLN4vllm18Fp8KVCacheDataTypeE1EhLi16ELi64ELi256ELb1ELi2EL8MFMAType0EEvPKT_PKT0_S9_ifPKiSB_SB_iPKfiiiPfSE_PS4_PT2_iSD_SD_, .Lfunc_end1679-_Z39paged_attention_ll4mi_QKV_mfma16_kernelI14__hip_bfloat16hLN4vllm18Fp8KVCacheDataTypeE1EhLi16ELi64ELi256ELb1ELi2EL8MFMAType0EEvPKT_PKT0_S9_ifPKiSB_SB_iPKfiiiPfSE_PS4_PT2_iSD_SD_
                                        ; -- End function
	.section	.AMDGPU.csdata,"",@progbits
; Kernel info:
; codeLenInByte = 8492
; NumSgprs: 40
; NumVgprs: 125
; ScratchSize: 0
; MemoryBound: 0
; FloatMode: 240
; IeeeMode: 1
; LDSByteSize: 17472 bytes/workgroup (compile time only)
; SGPRBlocks: 4
; VGPRBlocks: 15
; NumSGPRsForWavesPerEU: 40
; NumVGPRsForWavesPerEU: 125
; Occupancy: 10
; WaveLimiterHint : 1
; COMPUTE_PGM_RSRC2:SCRATCH_EN: 0
; COMPUTE_PGM_RSRC2:USER_SGPR: 13
; COMPUTE_PGM_RSRC2:TRAP_HANDLER: 0
; COMPUTE_PGM_RSRC2:TGID_X_EN: 1
; COMPUTE_PGM_RSRC2:TGID_Y_EN: 1
; COMPUTE_PGM_RSRC2:TGID_Z_EN: 1
; COMPUTE_PGM_RSRC2:TIDIG_COMP_CNT: 0
	.section	.text._Z39paged_attention_ll4mi_QKV_mfma16_kernelI14__hip_bfloat16hLN4vllm18Fp8KVCacheDataTypeE1EhLi16ELi64ELi256ELb1ELi3EL8MFMAType0EEvPKT_PKT0_S9_ifPKiSB_SB_iPKfiiiPfSE_PS4_PT2_iSD_SD_,"axG",@progbits,_Z39paged_attention_ll4mi_QKV_mfma16_kernelI14__hip_bfloat16hLN4vllm18Fp8KVCacheDataTypeE1EhLi16ELi64ELi256ELb1ELi3EL8MFMAType0EEvPKT_PKT0_S9_ifPKiSB_SB_iPKfiiiPfSE_PS4_PT2_iSD_SD_,comdat
	.protected	_Z39paged_attention_ll4mi_QKV_mfma16_kernelI14__hip_bfloat16hLN4vllm18Fp8KVCacheDataTypeE1EhLi16ELi64ELi256ELb1ELi3EL8MFMAType0EEvPKT_PKT0_S9_ifPKiSB_SB_iPKfiiiPfSE_PS4_PT2_iSD_SD_ ; -- Begin function _Z39paged_attention_ll4mi_QKV_mfma16_kernelI14__hip_bfloat16hLN4vllm18Fp8KVCacheDataTypeE1EhLi16ELi64ELi256ELb1ELi3EL8MFMAType0EEvPKT_PKT0_S9_ifPKiSB_SB_iPKfiiiPfSE_PS4_PT2_iSD_SD_
	.globl	_Z39paged_attention_ll4mi_QKV_mfma16_kernelI14__hip_bfloat16hLN4vllm18Fp8KVCacheDataTypeE1EhLi16ELi64ELi256ELb1ELi3EL8MFMAType0EEvPKT_PKT0_S9_ifPKiSB_SB_iPKfiiiPfSE_PS4_PT2_iSD_SD_
	.p2align	8
	.type	_Z39paged_attention_ll4mi_QKV_mfma16_kernelI14__hip_bfloat16hLN4vllm18Fp8KVCacheDataTypeE1EhLi16ELi64ELi256ELb1ELi3EL8MFMAType0EEvPKT_PKT0_S9_ifPKiSB_SB_iPKfiiiPfSE_PS4_PT2_iSD_SD_,@function
_Z39paged_attention_ll4mi_QKV_mfma16_kernelI14__hip_bfloat16hLN4vllm18Fp8KVCacheDataTypeE1EhLi16ELi64ELi256ELb1ELi3EL8MFMAType0EEvPKT_PKT0_S9_ifPKiSB_SB_iPKfiiiPfSE_PS4_PT2_iSD_SD_: ; @_Z39paged_attention_ll4mi_QKV_mfma16_kernelI14__hip_bfloat16hLN4vllm18Fp8KVCacheDataTypeE1EhLi16ELi64ELi256ELb1ELi3EL8MFMAType0EEvPKT_PKT0_S9_ifPKiSB_SB_iPKfiiiPfSE_PS4_PT2_iSD_SD_
; %bb.0:
	s_load_b64 s[2:3], s[0:1], 0x30
	s_mov_b32 s34, s13
	s_waitcnt lgkmcnt(0)
	s_cmp_lg_u64 s[2:3], 0
	s_cselect_b32 s8, -1, 0
	s_ashr_i32 s35, s13, 31
	s_cmp_eq_u64 s[2:3], 0
	s_cbranch_scc1 .LBB1680_3
; %bb.1:
	s_lshl_b64 s[4:5], s[34:35], 2
	s_delay_alu instid0(SALU_CYCLE_1) | instskip(SKIP_4) | instid1(SALU_CYCLE_1)
	s_add_u32 s4, s2, s4
	s_addc_u32 s5, s3, s5
	s_load_b64 s[4:5], s[4:5], 0x0
	s_waitcnt lgkmcnt(0)
	s_sub_i32 s4, s5, s4
	s_cmp_eq_u32 s4, 1
	s_cselect_b32 s4, -1, 0
	s_delay_alu instid0(SALU_CYCLE_1)
	s_and_not1_b32 vcc_lo, exec_lo, s4
	s_cbranch_vccz .LBB1680_4
.LBB1680_2:
	s_nop 0
	s_sendmsg sendmsg(MSG_DEALLOC_VGPRS)
	s_endpgm
.LBB1680_3:
.LBB1680_4:
	s_load_b64 s[4:5], s[0:1], 0x28
	s_lshl_b64 s[6:7], s[34:35], 2
	s_waitcnt lgkmcnt(0)
	s_add_u32 s4, s4, s6
	s_addc_u32 s5, s5, s7
	s_lshl_b32 s12, s14, 8
	s_load_b32 s24, s[4:5], 0x0
	s_waitcnt lgkmcnt(0)
	s_cmp_ge_i32 s12, s24
	s_cbranch_scc1 .LBB1680_2
; %bb.5:
	s_clause 0x1
	s_load_b128 s[20:23], s[0:1], 0x8
	s_load_b64 s[4:5], s[0:1], 0x20
	s_and_not1_b32 vcc_lo, exec_lo, s8
	s_cbranch_vccnz .LBB1680_7
; %bb.6:
	s_add_u32 s2, s2, s6
	s_addc_u32 s3, s3, s7
	s_load_b32 s3, s[2:3], 0x0
	s_branch .LBB1680_8
.LBB1680_7:
	s_mov_b32 s3, s34
.LBB1680_8:
	s_load_b128 s[16:19], s[0:1], 0x48
	v_lshrrev_b32_e32 v66, 5, v0
	v_bfe_u32 v74, v0, 4, 1
	v_and_b32_e32 v65, 15, v0
	v_and_b32_e32 v67, 31, v0
	;; [unrolled: 1-line block ×3, first 2 shown]
	s_mul_i32 s31, s15, 3
	v_lshl_or_b32 v1, v66, 1, v74
	v_lshlrev_b32_e32 v2, 3, v65
	v_cmp_gt_u32_e64 s2, 8, v65
	s_delay_alu instid0(VALU_DEP_3) | instskip(NEXT) | instid1(VALU_DEP_3)
	v_cmp_gt_u32_e32 vcc_lo, 3, v1
	v_lshlrev_b32_e32 v73, 1, v2
	s_delay_alu instid0(VALU_DEP_3) | instskip(NEXT) | instid1(SALU_CYCLE_1)
	s_and_b32 s7, s2, vcc_lo
	s_and_saveexec_b32 s6, s7
	s_cbranch_execz .LBB1680_10
; %bb.9:
	s_load_b64 s[8:9], s[0:1], 0x0
	v_add_lshl_u32 v2, v1, s31, 6
	s_waitcnt lgkmcnt(0)
	s_mul_hi_i32 s11, s3, s16
	s_mul_i32 s10, s3, s16
	v_lshlrev_b32_e32 v6, 10, v65
	s_lshl_b64 s[10:11], s[10:11], 1
	v_ashrrev_i32_e32 v3, 31, v2
	v_lshlrev_b32_e32 v1, 6, v1
	v_lshlrev_b32_e32 v7, 10, v75
	v_and_b32_e32 v6, 0x3800, v6
	s_delay_alu instid0(VALU_DEP_4) | instskip(NEXT) | instid1(VALU_DEP_2)
	v_lshlrev_b64 v[2:3], 1, v[2:3]
	v_or3_b32 v1, v6, v7, v1
	s_add_u32 s3, s8, s10
	s_addc_u32 s7, s9, s11
	s_delay_alu instid0(VALU_DEP_2) | instskip(NEXT) | instid1(VALU_DEP_3)
	v_add_co_u32 v2, vcc_lo, s3, v2
	v_add_co_ci_u32_e32 v3, vcc_lo, s7, v3, vcc_lo
	s_delay_alu instid0(VALU_DEP_2) | instskip(NEXT) | instid1(VALU_DEP_2)
	v_add_co_u32 v2, vcc_lo, v2, v73
	v_add_co_ci_u32_e32 v3, vcc_lo, 0, v3, vcc_lo
	global_load_b128 v[2:5], v[2:3], off
	s_waitcnt vmcnt(0)
	ds_store_b128 v1, v[2:5]
.LBB1680_10:
	s_or_b32 exec_lo, exec_lo, s6
	v_and_b32_e32 v1, 0xef, v0
	s_waitcnt lgkmcnt(0)
	s_add_i32 s3, s24, 15
	s_clause 0x1
	s_load_b32 s6, s[0:1], 0x38
	s_load_b32 s19, s[0:1], 0x1c
	s_ashr_i32 s7, s3, 31
	v_add_nc_u32_e32 v1, s12, v1
	s_lshr_b32 s7, s7, 28
	s_waitcnt lgkmcnt(0)
	s_add_i32 s3, s3, s7
	s_barrier
	v_ashrrev_i32_e32 v2, 31, v1
	v_or_b32_e32 v3, 16, v1
	s_ashr_i32 s3, s3, 4
	v_cmp_gt_i32_e32 vcc_lo, s24, v1
	s_add_i32 s3, s3, -1
	v_lshrrev_b32_e32 v2, 28, v2
	buffer_gl0_inv
	s_mul_i32 s27, s15, s18
	v_add_nc_u32_e32 v4, v1, v2
	s_mul_i32 s6, s34, s6
	s_delay_alu instid0(SALU_CYCLE_1) | instskip(NEXT) | instid1(VALU_DEP_1)
	s_ashr_i32 s7, s6, 31
	v_ashrrev_i32_e32 v4, 4, v4
	v_add_nc_u32_e32 v2, v3, v2
	s_lshl_b64 s[6:7], s[6:7], 2
	s_delay_alu instid0(SALU_CYCLE_1) | instskip(NEXT) | instid1(VALU_DEP_2)
	s_add_u32 s26, s4, s6
	v_cndmask_b32_e32 v1, s3, v4, vcc_lo
	s_delay_alu instid0(VALU_DEP_2)
	v_ashrrev_i32_e32 v2, 4, v2
	v_cmp_gt_i32_e32 vcc_lo, s24, v3
	s_addc_u32 s25, s5, s7
	s_ashr_i32 s28, s27, 31
	s_add_u32 s13, s20, s27
	s_addc_u32 s15, s21, s28
	v_cndmask_b32_e32 v3, s3, v2, vcc_lo
	v_ashrrev_i32_e32 v2, 31, v1
	s_lshl_b32 s4, s14, 4
	s_delay_alu instid0(SALU_CYCLE_1) | instskip(NEXT) | instid1(VALU_DEP_2)
	s_ashr_i32 s5, s4, 31
	v_ashrrev_i32_e32 v4, 31, v3
	s_delay_alu instid0(VALU_DEP_2) | instskip(SKIP_1) | instid1(SALU_CYCLE_1)
	v_lshlrev_b64 v[1:2], 2, v[1:2]
	s_lshl_b64 s[4:5], s[4:5], 2
	s_add_u32 s4, s26, s4
	s_delay_alu instid0(VALU_DEP_2) | instskip(SKIP_1) | instid1(VALU_DEP_2)
	v_lshlrev_b64 v[3:4], 2, v[3:4]
	s_addc_u32 s5, s25, s5
	v_add_co_u32 v1, vcc_lo, s26, v1
	v_add_co_ci_u32_e32 v2, vcc_lo, s25, v2, vcc_lo
	s_delay_alu instid0(VALU_DEP_3) | instskip(NEXT) | instid1(VALU_DEP_4)
	v_add_co_u32 v3, vcc_lo, s26, v3
	v_add_co_ci_u32_e32 v4, vcc_lo, s25, v4, vcc_lo
	s_clause 0x1
	global_load_b32 v5, v[1:2], off
	global_load_b32 v7, v[3:4], off
	s_or_b32 s6, s12, 32
	v_lshlrev_b32_e32 v1, 4, v0
	s_ashr_i32 s7, s6, 4
	s_cmp_lt_i32 s6, s24
	s_cselect_b32 s6, s7, s3
	s_delay_alu instid0(VALU_DEP_1) | instskip(SKIP_1) | instid1(SALU_CYCLE_1)
	v_and_b32_e32 v1, 0xf0, v1
	s_ashr_i32 s7, s6, 31
	s_lshl_b64 s[6:7], s[6:7], 2
	s_delay_alu instid0(SALU_CYCLE_1)
	s_add_u32 s6, s26, s6
	s_addc_u32 s7, s25, s7
	s_or_b32 s8, s12, 64
	v_add_co_u32 v1, s13, s13, v1
	s_ashr_i32 s9, s8, 4
	s_cmp_lt_i32 s8, s24
	v_add_co_ci_u32_e64 v2, null, s15, 0, s13
	s_cselect_b32 s8, s9, s3
	s_delay_alu instid0(SALU_CYCLE_1) | instskip(NEXT) | instid1(SALU_CYCLE_1)
	s_ashr_i32 s9, s8, 31
	s_lshl_b64 s[8:9], s[8:9], 2
	s_delay_alu instid0(SALU_CYCLE_1) | instskip(SKIP_2) | instid1(SALU_CYCLE_1)
	s_add_u32 s8, s26, s8
	s_addc_u32 s9, s25, s9
	s_or_b32 s10, s12, 0x60
	s_ashr_i32 s11, s10, 4
	s_cmp_lt_i32 s10, s24
	s_cselect_b32 s10, s11, s3
	s_delay_alu instid0(SALU_CYCLE_1) | instskip(NEXT) | instid1(SALU_CYCLE_1)
	s_ashr_i32 s11, s10, 31
	s_lshl_b64 s[10:11], s[10:11], 2
	s_delay_alu instid0(SALU_CYCLE_1) | instskip(SKIP_2) | instid1(SALU_CYCLE_1)
	s_add_u32 s10, s26, s10
	s_addc_u32 s11, s25, s11
	s_or_b32 s16, s12, 0x80
	s_ashr_i32 s18, s16, 4
	s_cmp_lt_i32 s16, s24
	;; [unrolled: 10-line block ×3, first 2 shown]
	s_cselect_b32 s20, s18, s3
	s_delay_alu instid0(SALU_CYCLE_1) | instskip(NEXT) | instid1(SALU_CYCLE_1)
	s_ashr_i32 s21, s20, 31
	s_lshl_b64 s[20:21], s[20:21], 2
	s_delay_alu instid0(SALU_CYCLE_1)
	s_add_u32 s38, s26, s20
	s_addc_u32 s39, s25, s21
	s_clause 0x5
	s_load_b32 s21, s[4:5], 0x0
	s_load_b32 s13, s[6:7], 0x0
	;; [unrolled: 1-line block ×6, first 2 shown]
	s_or_b32 s9, s12, 0xc0
	s_mov_b32 s4, 0
	s_ashr_i32 s10, s9, 4
	s_cmp_lt_i32 s9, s24
	s_mov_b32 s11, s4
	s_cselect_b32 s36, s10, s3
	s_mov_b32 s5, s4
	s_ashr_i32 s37, s36, 31
	s_mov_b32 s6, s4
	s_lshl_b64 s[36:37], s[36:37], 2
	s_mov_b32 s7, s4
	s_add_u32 s36, s26, s36
	s_addc_u32 s37, s25, s37
	s_or_b32 s29, s12, 0xe0
	s_mov_b32 s8, s4
	s_ashr_i32 s30, s29, 4
	s_mov_b32 s9, s4
	s_mov_b32 s10, s4
	s_cmp_lt_i32 s29, s24
	v_dual_mov_b32 v107, s11 :: v_dual_mov_b32 v100, s4
	v_mov_b32_e32 v106, s10
	v_dual_mov_b32 v104, s8 :: v_dual_mov_b32 v103, s7
	v_dual_mov_b32 v102, s6 :: v_dual_mov_b32 v101, s5
	s_waitcnt vmcnt(1)
	v_mad_i64_i32 v[3:4], null, v5, s17, v[1:2]
	s_waitcnt vmcnt(0)
	v_mad_i64_i32 v[5:6], null, v7, s17, v[1:2]
	v_mul_lo_u16 v1, 0x56, v65
	v_lshlrev_b32_e32 v2, 4, v65
	s_clause 0x7
	global_load_b128 v[49:52], v[3:4], off
	global_load_b128 v[53:56], v[3:4], off offset:256
	global_load_b128 v[76:79], v[5:6], off
	global_load_b128 v[80:83], v[5:6], off offset:256
	global_load_b128 v[84:87], v[3:4], off offset:512
	;; [unrolled: 1-line block ×5, first 2 shown]
	v_lshrrev_b16 v1, 8, v1
	v_lshl_or_b32 v2, v66, 8, v2
	s_delay_alu instid0(VALU_DEP_2) | instskip(NEXT) | instid1(VALU_DEP_1)
	v_mul_lo_u16 v1, v1, 3
	v_sub_nc_u16 v1, v65, v1
	s_delay_alu instid0(VALU_DEP_1)
	v_and_b32_e32 v1, 0xff, v1
	v_mov_b32_e32 v105, s9
	s_cselect_b32 s4, s30, s3
	s_load_b32 s3, s[36:37], 0x0
	s_ashr_i32 s5, s4, 31
	v_lshlrev_b32_e32 v70, 6, v1
	s_lshl_b64 s[4:5], s[4:5], 2
	ds_load_b128 v[108:111], v70
	ds_load_b128 v[112:115], v70 offset:1024
	s_add_u32 s4, s26, s4
	s_addc_u32 s5, s25, s5
	s_add_u32 s6, s22, s27
	s_load_b32 s4, s[4:5], 0x0
	s_addc_u32 s7, s23, s28
	v_add_co_u32 v9, s6, s6, v2
	s_delay_alu instid0(VALU_DEP_1) | instskip(SKIP_1) | instid1(VALU_DEP_1)
	v_add_co_ci_u32_e64 v10, null, s7, 0, s6
	s_waitcnt lgkmcnt(0)
	v_mad_i64_i32 v[1:2], null, s21, s17, v[9:10]
	v_mad_i64_i32 v[3:4], null, s13, s17, v[9:10]
	;; [unrolled: 1-line block ×7, first 2 shown]
	s_clause 0x9
	global_load_b128 v[57:60], v[1:2], off
	global_load_b128 v[61:64], v[1:2], off offset:16
	global_load_b128 v[41:44], v[3:4], off
	global_load_b128 v[45:48], v[3:4], off offset:16
	;; [unrolled: 2-line block ×5, first 2 shown]
	v_mad_i64_i32 v[68:69], null, s4, s17, v[9:10]
	s_clause 0x3
	global_load_b128 v[9:12], v[13:14], off
	global_load_b128 v[13:16], v[13:14], off offset:16
	global_load_b128 v[17:20], v[21:22], off
	global_load_b128 v[21:24], v[21:22], off offset:16
	s_waitcnt vmcnt(20)
	v_wmma_f32_16x16x16_bf16 v[116:123], v[49:56], v[108:115], v[100:107]
	s_clause 0x1
	global_load_b128 v[49:52], v[68:69], off
	global_load_b128 v[53:56], v[68:69], off offset:16
	v_and_b32_e32 v68, 0xe0, v0
	v_mbcnt_lo_u32_b32 v69, -1, 0
	s_delay_alu instid0(VALU_DEP_2)
	v_add_nc_u32_e32 v68, s12, v68
	s_waitcnt vmcnt(20)
	v_wmma_f32_16x16x16_bf16 v[100:107], v[76:83], v[108:115], v[100:107]
	ds_load_b128 v[76:79], v70 offset:2048
	ds_load_b128 v[80:83], v70 offset:3072
	v_xor_b32_e32 v70, 16, v69
	s_waitcnt vmcnt(0) lgkmcnt(0)
	v_or_b32_e32 v68, v68, v74
	s_barrier
	buffer_gl0_inv
	v_cmp_gt_i32_e32 vcc_lo, 32, v70
	v_or_b32_e32 v71, 4, v68
	v_or_b32_e32 v72, 6, v68
	v_cmp_gt_i32_e64 s3, s24, v68
	v_or_b32_e32 v108, 8, v68
	v_or_b32_e32 v109, 10, v68
	v_cmp_gt_i32_e64 s4, s24, v71
	v_cmp_gt_i32_e64 s5, s24, v72
	s_delay_alu instid0(VALU_DEP_4) | instskip(NEXT) | instid1(VALU_DEP_4)
	v_cmp_gt_i32_e64 s6, s24, v108
	v_cmp_gt_i32_e64 s7, s24, v109
	v_wmma_f32_16x16x16_bf16 v[116:123], v[84:91], v[76:83], v[116:123]
	v_cndmask_b32_e32 v69, v69, v70, vcc_lo
	v_or_b32_e32 v70, 2, v68
	v_wmma_f32_16x16x16_bf16 v[100:107], v[92:99], v[76:83], v[100:107]
	v_or_b32_e32 v89, 22, v68
	v_dual_mul_f32 v80, s19, v121 :: v_dual_mul_f32 v81, s19, v120
	v_dual_mul_f32 v92, s19, v117 :: v_dual_mul_f32 v93, s19, v116
	s_delay_alu instid0(VALU_DEP_4)
	v_mul_f32_e32 v96, s19, v105
	v_cmp_gt_i32_e32 vcc_lo, s24, v70
	v_dual_mul_f32 v79, s19, v122 :: v_dual_mul_f32 v82, s19, v119
	v_dual_mul_f32 v83, s19, v118 :: v_dual_mul_f32 v94, s19, v107
	v_cndmask_b32_e64 v93, 0xff7fffff, v93, s3
	v_cndmask_b32_e32 v92, 0xff7fffff, v92, vcc_lo
	v_or_b32_e32 v84, 12, v68
	v_or_b32_e32 v85, 14, v68
	v_cndmask_b32_e64 v71, 0xff7fffff, v83, s4
	v_cndmask_b32_e64 v72, 0xff7fffff, v82, s5
	v_cmp_gt_i32_e64 s13, s24, v89
	v_lshlrev_b32_e32 v89, 2, v69
	v_max3_f32 v82, v93, 0xff7fffff, v92
	v_or_b32_e32 v86, 16, v68
	v_or_b32_e32 v87, 18, v68
	v_mul_f32_e32 v78, s19, v123
	v_cndmask_b32_e64 v81, 0xff7fffff, v81, s6
	v_cndmask_b32_e64 v80, 0xff7fffff, v80, s7
	v_max3_f32 v71, v82, v71, v72
	v_cmp_gt_i32_e64 s8, s24, v84
	v_cmp_gt_i32_e64 s9, s24, v85
	v_or_b32_e32 v88, 20, v68
	v_or_b32_e32 v90, 24, v68
	;; [unrolled: 1-line block ×5, first 2 shown]
	v_dual_mul_f32 v97, s19, v104 :: v_dual_mul_f32 v70, s19, v101
	v_dual_mul_f32 v99, s19, v102 :: v_dual_mul_f32 v68, s19, v100
	v_cndmask_b32_e64 v72, 0xff7fffff, v79, s8
	v_cndmask_b32_e64 v78, 0xff7fffff, v78, s9
	v_max3_f32 v71, v71, v81, v80
	v_cmp_gt_i32_e64 s10, s24, v86
	v_cmp_gt_i32_e64 s11, s24, v87
	v_dual_mul_f32 v95, s19, v106 :: v_dual_mul_f32 v98, s19, v103
	s_delay_alu instid0(VALU_DEP_4) | instskip(NEXT) | instid1(VALU_DEP_4)
	v_max3_f32 v71, v71, v72, v78
	v_cndmask_b32_e64 v68, 0xff7fffff, v68, s10
	s_delay_alu instid0(VALU_DEP_4)
	v_cndmask_b32_e64 v70, 0xff7fffff, v70, s11
	v_cmp_gt_i32_e64 s12, s24, v88
	v_cndmask_b32_e64 v78, 0xff7fffff, v98, s13
	v_cmp_gt_i32_e64 s15, s24, v90
	v_cmp_gt_i32_e64 s16, s24, v91
	v_max3_f32 v68, v71, v68, v70
	v_cndmask_b32_e64 v72, 0xff7fffff, v99, s12
	v_cmp_gt_i32_e64 s17, s24, v76
	v_cndmask_b32_e64 v70, 0xff7fffff, v97, s15
	v_cndmask_b32_e64 v71, 0xff7fffff, v96, s16
	v_cmp_gt_i32_e64 s18, s24, v77
	v_max3_f32 v68, v68, v72, v78
	v_cndmask_b32_e64 v72, 0xff7fffff, v95, s17
	s_delay_alu instid0(VALU_DEP_3) | instskip(NEXT) | instid1(VALU_DEP_3)
	v_cndmask_b32_e64 v76, 0xff7fffff, v94, s18
	v_max3_f32 v68, v68, v70, v71
	s_delay_alu instid0(VALU_DEP_1) | instskip(SKIP_3) | instid1(VALU_DEP_1)
	v_max3_f32 v68, v68, v72, v76
	ds_bpermute_b32 v69, v89, v68
	s_waitcnt lgkmcnt(0)
	v_max_f32_e32 v69, v69, v69
	v_max_f32_e32 v68, v68, v69
	s_delay_alu instid0(VALU_DEP_1) | instskip(NEXT) | instid1(VALU_DEP_1)
	v_fma_f32 v71, s19, v118, -v68
	v_mul_f32_e32 v71, 0x3fb8aa3b, v71
	v_fma_f32 v70, s19, v117, -v68
	v_fma_f32 v69, s19, v116, -v68
	;; [unrolled: 1-line block ×5, first 2 shown]
	s_delay_alu instid0(VALU_DEP_4) | instskip(SKIP_1) | instid1(VALU_DEP_3)
	v_dual_mul_f32 v70, 0x3fb8aa3b, v70 :: v_dual_mul_f32 v69, 0x3fb8aa3b, v69
	v_exp_f32_e32 v71, v71
	v_mul_f32_e32 v72, 0x3fb8aa3b, v72
	v_fma_f32 v81, s19, v105, -v68
	s_delay_alu instid0(VALU_DEP_3)
	v_exp_f32_e32 v70, v70
	v_mul_f32_e32 v77, 0x3fb8aa3b, v76
	v_exp_f32_e32 v69, v69
	v_exp_f32_e32 v72, v72
	v_mul_f32_e32 v81, 0x3fb8aa3b, v81
	v_cndmask_b32_e64 v83, 0, v71, s4
	v_fma_f32 v71, s19, v123, -v68
	s_delay_alu instid0(VALU_DEP_3) | instskip(SKIP_4) | instid1(TRANS32_DEP_3)
	v_exp_f32_e32 v81, v81
	v_cndmask_b32_e32 v76, 0, v70, vcc_lo
	v_exp_f32_e32 v77, v77
	v_cndmask_b32_e64 v80, 0, v69, s3
	v_fma_f32 v69, s19, v121, -v68
	v_cndmask_b32_e64 v85, 0, v72, s5
	v_mul_f32_e32 v71, 0x3fb8aa3b, v71
	v_fma_f32 v72, s19, v100, -v68
	s_delay_alu instid0(VALU_DEP_4) | instskip(SKIP_1) | instid1(VALU_DEP_4)
	v_dual_add_f32 v70, 0, v80 :: v_dual_mul_f32 v69, 0x3fb8aa3b, v69
	v_cmp_gt_u32_e64 s3, 16, v67
	v_exp_f32_e32 v71, v71
	s_delay_alu instid0(TRANS32_DEP_2) | instskip(SKIP_4) | instid1(VALU_DEP_3)
	v_cndmask_b32_e64 v86, 0, v77, s6
	v_fma_f32 v77, s19, v101, -v68
	v_mul_f32_e32 v78, 0x3fb8aa3b, v78
	v_add_f32_e32 v70, v70, v76
	v_exp_f32_e32 v69, v69
	v_mul_f32_e32 v77, 0x3fb8aa3b, v77
	s_delay_alu instid0(VALU_DEP_3) | instskip(NEXT) | instid1(TRANS32_DEP_3)
	v_exp_f32_e32 v78, v78
	v_cndmask_b32_e64 v88, 0, v71, s9
	v_fma_f32 v71, s19, v104, -v68
	s_delay_alu instid0(VALU_DEP_3) | instskip(NEXT) | instid1(TRANS32_DEP_3)
	v_exp_f32_e32 v77, v77
	v_cndmask_b32_e64 v87, 0, v69, s7
	s_delay_alu instid0(VALU_DEP_2)
	v_mul_f32_e32 v71, 0x3fb8aa3b, v71
	s_waitcnt_depctr 0xfff
	v_cndmask_b32_e64 v84, 0, v78, s8
	v_add_f32_e32 v70, v70, v83
	v_fma_f32 v78, s19, v103, -v68
	v_exp_f32_e32 v82, v71
	s_delay_alu instid0(VALU_DEP_2) | instskip(SKIP_1) | instid1(VALU_DEP_3)
	v_add_f32_e32 v70, v70, v85
	v_mul_f32_e32 v72, 0x3fb8aa3b, v72
	v_mul_f32_e32 v78, 0x3fb8aa3b, v78
	s_delay_alu instid0(VALU_DEP_3) | instskip(SKIP_1) | instid1(VALU_DEP_4)
	v_add_f32_e32 v69, v70, v86
	v_fma_f32 v70, s19, v102, -v68
	v_exp_f32_e32 v72, v72
	s_delay_alu instid0(VALU_DEP_3) | instskip(NEXT) | instid1(VALU_DEP_1)
	v_exp_f32_e32 v78, v78
	v_dual_add_f32 v69, v69, v87 :: v_dual_mul_f32 v70, 0x3fb8aa3b, v70
	s_delay_alu instid0(VALU_DEP_1) | instskip(NEXT) | instid1(VALU_DEP_2)
	v_add_f32_e32 v69, v69, v84
	v_exp_f32_e32 v79, v70
	s_delay_alu instid0(TRANS32_DEP_3) | instskip(NEXT) | instid1(VALU_DEP_2)
	v_cndmask_b32_e64 v70, 0, v72, s10
	v_add_f32_e32 v72, v69, v88
	v_cndmask_b32_e64 v69, 0, v77, s11
	v_fma_f32 v77, s19, v106, -v68
	s_waitcnt_depctr 0xfff
	v_cndmask_b32_e64 v71, 0, v79, s12
	v_dual_mul_f32 v77, 0x3fb8aa3b, v77 :: v_dual_add_f32 v72, v72, v70
	s_delay_alu instid0(VALU_DEP_1) | instskip(NEXT) | instid1(VALU_DEP_1)
	v_exp_f32_e32 v90, v77
	v_add_f32_e32 v79, v72, v69
	v_cndmask_b32_e64 v72, 0, v78, s13
	v_cndmask_b32_e64 v77, 0, v82, s15
	s_delay_alu instid0(VALU_DEP_3) | instskip(SKIP_1) | instid1(VALU_DEP_1)
	v_add_f32_e32 v78, v79, v71
	v_fma_f32 v79, s19, v107, -v68
	v_dual_add_f32 v82, v78, v72 :: v_dual_mul_f32 v79, 0x3fb8aa3b, v79
	v_cndmask_b32_e64 v78, 0, v81, s16
	s_delay_alu instid0(VALU_DEP_2) | instskip(NEXT) | instid1(VALU_DEP_3)
	v_add_f32_e32 v81, v82, v77
	v_exp_f32_e32 v82, v79
	v_cndmask_b32_e64 v79, 0, v90, s17
	s_delay_alu instid0(VALU_DEP_2) | instskip(NEXT) | instid1(VALU_DEP_1)
	v_add_f32_e32 v81, v81, v78
	v_add_f32_e32 v90, v81, v79
	s_waitcnt_depctr 0xfff
	v_cndmask_b32_e64 v81, 0, v82, s18
	s_delay_alu instid0(VALU_DEP_1)
	v_add_f32_e32 v82, v90, v81
	ds_bpermute_b32 v89, v89, v82
	s_and_saveexec_b32 s4, s3
	s_cbranch_execz .LBB1680_12
; %bb.11:
	v_mul_u32_u24_e32 v67, 0x44, v66
	s_delay_alu instid0(VALU_DEP_1) | instskip(SKIP_1) | instid1(VALU_DEP_1)
	v_lshl_add_u32 v67, v65, 2, v67
	s_waitcnt lgkmcnt(0)
	v_dual_add_f32 v82, v82, v89 :: v_dual_add_nc_u32 v67, 0x4000, v67
	ds_store_2addr_b32 v67, v68, v82 offset1:136
.LBB1680_12:
	s_or_b32 exec_lo, exec_lo, s4
	v_lshlrev_b32_e32 v67, 2, v65
	s_waitcnt lgkmcnt(0)
	s_barrier
	buffer_gl0_inv
	v_cmp_eq_u32_e32 vcc_lo, 1, v66
	v_add_nc_u32_e32 v82, 0x4000, v67
	v_cmp_eq_u32_e64 s4, 2, v66
	v_cmp_eq_u32_e64 s6, 7, v66
	ds_load_2addr_b32 v[89:90], v82 offset1:17
	ds_load_2addr_b32 v[91:92], v82 offset0:34 offset1:51
	ds_load_2addr_b32 v[93:94], v82 offset0:68 offset1:85
	;; [unrolled: 1-line block ×4, first 2 shown]
	s_waitcnt lgkmcnt(4)
	v_max3_f32 v67, v89, 0xff7fffff, v90
	s_waitcnt lgkmcnt(3)
	s_delay_alu instid0(VALU_DEP_1) | instskip(SKIP_1) | instid1(VALU_DEP_1)
	v_max3_f32 v67, v67, v91, v92
	s_waitcnt lgkmcnt(2)
	v_max3_f32 v67, v67, v93, v94
	s_waitcnt lgkmcnt(1)
	s_delay_alu instid0(VALU_DEP_1) | instskip(NEXT) | instid1(VALU_DEP_1)
	v_max3_f32 v67, v67, v95, v96
	v_sub_f32_e32 v93, v93, v67
	s_delay_alu instid0(VALU_DEP_1) | instskip(NEXT) | instid1(VALU_DEP_1)
	v_dual_sub_f32 v68, v89, v67 :: v_dual_mul_f32 v103, 0x3fb8aa3b, v93
	v_mul_f32_e32 v68, 0x3fb8aa3b, v68
	s_delay_alu instid0(VALU_DEP_1)
	v_exp_f32_e32 v100, v68
	v_sub_f32_e32 v68, v92, v67
	v_sub_f32_e32 v99, v90, v67
	ds_load_2addr_b32 v[89:90], v82 offset0:170 offset1:187
	v_dual_mul_f32 v102, 0x3fb8aa3b, v68 :: v_dual_mul_f32 v99, 0x3fb8aa3b, v99
	s_waitcnt lgkmcnt(1)
	v_fma_f32 v68, v100, v97, 0
	s_delay_alu instid0(VALU_DEP_2) | instskip(NEXT) | instid1(VALU_DEP_2)
	v_exp_f32_e32 v102, v102
	v_exp_f32_e32 v99, v99
	s_waitcnt_depctr 0xfff
	v_fmac_f32_e32 v68, v99, v98
	v_sub_f32_e32 v91, v91, v67
	s_delay_alu instid0(VALU_DEP_1)
	v_mul_f32_e32 v101, 0x3fb8aa3b, v91
	ds_load_2addr_b32 v[91:92], v82 offset0:204 offset1:221
	v_sub_f32_e32 v97, v94, v67
	ds_load_2addr_b32 v[93:94], v82 offset0:238 offset1:255
	s_waitcnt lgkmcnt(0)
	v_exp_f32_e32 v101, v101
	s_barrier
	buffer_gl0_inv
	v_dual_fmac_f32 v68, v101, v89 :: v_dual_sub_f32 v89, v96, v67
	v_dual_sub_f32 v82, v95, v67 :: v_dual_mul_f32 v95, 0x3fb8aa3b, v97
	v_exp_f32_e32 v97, v103
	s_delay_alu instid0(VALU_DEP_2) | instskip(NEXT) | instid1(VALU_DEP_2)
	v_dual_fmac_f32 v68, v102, v90 :: v_dual_mul_f32 v89, 0x3fb8aa3b, v89
	v_mul_f32_e32 v82, 0x3fb8aa3b, v82
	s_delay_alu instid0(VALU_DEP_3) | instskip(NEXT) | instid1(VALU_DEP_2)
	v_exp_f32_e32 v95, v95
	v_exp_f32_e32 v89, v89
	s_delay_alu instid0(VALU_DEP_1)
	v_exp_f32_e32 v82, v82
	v_fmac_f32_e32 v68, v97, v91
	s_delay_alu instid0(TRANS32_DEP_3) | instid1(VALU_DEP_1)
	v_fmac_f32_e32 v68, v95, v92
	s_waitcnt_depctr 0xfff
	v_fmac_f32_e32 v68, v82, v93
	s_delay_alu instid0(VALU_DEP_1) | instskip(NEXT) | instid1(VALU_DEP_1)
	v_fmac_f32_e32 v68, v89, v94
	v_add_f32_e32 v90, 0x358637bd, v68
	s_delay_alu instid0(VALU_DEP_1) | instskip(NEXT) | instid1(VALU_DEP_1)
	v_div_scale_f32 v91, null, v90, v90, 1.0
	v_rcp_f32_e32 v92, v91
	s_waitcnt_depctr 0xfff
	v_fma_f32 v93, -v91, v92, 1.0
	s_delay_alu instid0(VALU_DEP_1) | instskip(SKIP_1) | instid1(VALU_DEP_2)
	v_dual_fmac_f32 v92, v93, v92 :: v_dual_cndmask_b32 v93, v100, v99
	v_cmp_eq_u32_e32 vcc_lo, 3, v66
	v_cndmask_b32_e64 v93, v93, v101, s4
	v_cmp_eq_u32_e64 s4, 4, v66
	s_delay_alu instid0(VALU_DEP_2) | instskip(SKIP_1) | instid1(VALU_DEP_2)
	v_cndmask_b32_e32 v93, v93, v102, vcc_lo
	v_cmp_eq_u32_e32 vcc_lo, 5, v66
	v_cndmask_b32_e64 v93, v93, v97, s4
	v_cmp_eq_u32_e64 s4, 6, v66
	s_delay_alu instid0(VALU_DEP_2) | instskip(SKIP_1) | instid1(VALU_DEP_1)
	v_cndmask_b32_e32 v93, v93, v95, vcc_lo
	v_div_scale_f32 v94, s5, 1.0, v90, 1.0
	s_mov_b32 vcc_lo, s5
	s_delay_alu instid0(VALU_DEP_2) | instskip(NEXT) | instid1(VALU_DEP_2)
	v_cndmask_b32_e64 v82, v93, v82, s4
	v_mul_f32_e32 v96, v94, v92
	s_mov_b32 s4, exec_lo
	s_delay_alu instid0(VALU_DEP_2) | instskip(NEXT) | instid1(VALU_DEP_2)
	v_cndmask_b32_e64 v82, v82, v89, s6
	v_fma_f32 v98, -v91, v96, v94
	s_delay_alu instid0(VALU_DEP_1) | instskip(NEXT) | instid1(VALU_DEP_1)
	v_fmac_f32_e32 v96, v98, v92
	v_fma_f32 v91, -v91, v96, v94
	s_delay_alu instid0(VALU_DEP_1) | instskip(NEXT) | instid1(VALU_DEP_1)
	v_div_fmas_f32 v91, v91, v92, v96
	v_div_fixup_f32 v90, v91, v90, 1.0
	s_delay_alu instid0(VALU_DEP_1) | instskip(NEXT) | instid1(VALU_DEP_1)
	v_mul_f32_e32 v82, v82, v90
	v_mul_f32_e32 v87, v82, v87
	;; [unrolled: 1-line block ×7, first 2 shown]
	v_dual_mul_f32 v86, v82, v83 :: v_dual_and_b32 v91, 0x7f800000, v90
	v_mul_f32_e32 v85, v82, v76
                                        ; implicit-def: $vgpr76
	s_delay_alu instid0(VALU_DEP_2)
	v_cmpx_ne_u32_e32 0x7f800000, v91
	s_xor_b32 s4, exec_lo, s4
; %bb.13:
	v_bfe_u32 v76, v90, 16, 1
	s_delay_alu instid0(VALU_DEP_1)
	v_add3_u32 v76, v90, v76, 0x7fff
                                        ; implicit-def: $vgpr90
; %bb.14:
	s_and_not1_saveexec_b32 s4, s4
; %bb.15:
	v_and_b32_e32 v76, 0xffff, v90
	v_or_b32_e32 v83, 0x10000, v90
	s_delay_alu instid0(VALU_DEP_2) | instskip(NEXT) | instid1(VALU_DEP_2)
	v_cmp_eq_u32_e32 vcc_lo, 0, v76
	v_cndmask_b32_e32 v76, v83, v90, vcc_lo
; %bb.16:
	s_or_b32 exec_lo, exec_lo, s4
	v_and_b32_e32 v83, 0x7f800000, v85
	s_delay_alu instid0(VALU_DEP_1) | instskip(SKIP_1) | instid1(SALU_CYCLE_1)
	v_cmp_ne_u32_e32 vcc_lo, 0x7f800000, v83
                                        ; implicit-def: $vgpr83
	s_and_saveexec_b32 s4, vcc_lo
	s_xor_b32 s4, exec_lo, s4
; %bb.17:
	v_bfe_u32 v83, v85, 16, 1
	s_delay_alu instid0(VALU_DEP_1)
	v_add3_u32 v83, v85, v83, 0x7fff
                                        ; implicit-def: $vgpr85
; %bb.18:
	s_and_not1_saveexec_b32 s4, s4
; %bb.19:
	v_and_b32_e32 v83, 0xffff, v85
	v_or_b32_e32 v90, 0x10000, v85
	s_delay_alu instid0(VALU_DEP_2) | instskip(NEXT) | instid1(VALU_DEP_2)
	v_cmp_eq_u32_e32 vcc_lo, 0, v83
	v_cndmask_b32_e32 v83, v90, v85, vcc_lo
; %bb.20:
	s_or_b32 exec_lo, exec_lo, s4
	v_and_b32_e32 v85, 0x7f800000, v86
	s_delay_alu instid0(VALU_DEP_1) | instskip(SKIP_1) | instid1(SALU_CYCLE_1)
	v_cmp_ne_u32_e32 vcc_lo, 0x7f800000, v85
                                        ; implicit-def: $vgpr85
	s_and_saveexec_b32 s4, vcc_lo
	s_xor_b32 s4, exec_lo, s4
; %bb.21:
	v_bfe_u32 v85, v86, 16, 1
	s_delay_alu instid0(VALU_DEP_1)
	v_add3_u32 v85, v86, v85, 0x7fff
                                        ; implicit-def: $vgpr86
; %bb.22:
	s_and_not1_saveexec_b32 s4, s4
; %bb.23:
	v_and_b32_e32 v85, 0xffff, v86
	v_or_b32_e32 v90, 0x10000, v86
	s_delay_alu instid0(VALU_DEP_2) | instskip(NEXT) | instid1(VALU_DEP_2)
	v_cmp_eq_u32_e32 vcc_lo, 0, v85
	v_cndmask_b32_e32 v85, v90, v86, vcc_lo
; %bb.24:
	s_or_b32 exec_lo, exec_lo, s4
	v_and_b32_e32 v86, 0x7f800000, v89
	s_delay_alu instid0(VALU_DEP_1) | instskip(SKIP_1) | instid1(SALU_CYCLE_1)
	v_cmp_ne_u32_e32 vcc_lo, 0x7f800000, v86
                                        ; implicit-def: $vgpr86
	s_and_saveexec_b32 s4, vcc_lo
	s_xor_b32 s4, exec_lo, s4
; %bb.25:
	v_bfe_u32 v86, v89, 16, 1
	s_delay_alu instid0(VALU_DEP_1)
	v_add3_u32 v86, v89, v86, 0x7fff
                                        ; implicit-def: $vgpr89
; %bb.26:
	s_and_not1_saveexec_b32 s4, s4
; %bb.27:
	v_and_b32_e32 v86, 0xffff, v89
	v_or_b32_e32 v90, 0x10000, v89
	s_delay_alu instid0(VALU_DEP_2) | instskip(NEXT) | instid1(VALU_DEP_2)
	v_cmp_eq_u32_e32 vcc_lo, 0, v86
	v_cndmask_b32_e32 v86, v90, v89, vcc_lo
; %bb.28:
	s_or_b32 exec_lo, exec_lo, s4
	v_and_b32_e32 v89, 0x7f800000, v88
	s_delay_alu instid0(VALU_DEP_1) | instskip(SKIP_1) | instid1(SALU_CYCLE_1)
	v_cmp_ne_u32_e32 vcc_lo, 0x7f800000, v89
                                        ; implicit-def: $vgpr89
	s_and_saveexec_b32 s4, vcc_lo
	s_xor_b32 s4, exec_lo, s4
; %bb.29:
	v_bfe_u32 v89, v88, 16, 1
	s_delay_alu instid0(VALU_DEP_1)
	v_add3_u32 v89, v88, v89, 0x7fff
                                        ; implicit-def: $vgpr88
; %bb.30:
	s_and_not1_saveexec_b32 s4, s4
; %bb.31:
	v_and_b32_e32 v89, 0xffff, v88
	v_or_b32_e32 v90, 0x10000, v88
	s_delay_alu instid0(VALU_DEP_2) | instskip(NEXT) | instid1(VALU_DEP_2)
	v_cmp_eq_u32_e32 vcc_lo, 0, v89
	v_cndmask_b32_e32 v89, v90, v88, vcc_lo
; %bb.32:
	s_or_b32 exec_lo, exec_lo, s4
	v_and_b32_e32 v88, 0x7f800000, v87
	s_delay_alu instid0(VALU_DEP_1) | instskip(SKIP_1) | instid1(SALU_CYCLE_1)
	v_cmp_ne_u32_e32 vcc_lo, 0x7f800000, v88
                                        ; implicit-def: $vgpr88
	s_and_saveexec_b32 s4, vcc_lo
	s_xor_b32 s4, exec_lo, s4
; %bb.33:
	v_bfe_u32 v88, v87, 16, 1
	s_delay_alu instid0(VALU_DEP_1)
	v_add3_u32 v88, v87, v88, 0x7fff
                                        ; implicit-def: $vgpr87
; %bb.34:
	s_and_not1_saveexec_b32 s4, s4
; %bb.35:
	v_and_b32_e32 v88, 0xffff, v87
	v_or_b32_e32 v90, 0x10000, v87
	s_delay_alu instid0(VALU_DEP_2) | instskip(NEXT) | instid1(VALU_DEP_2)
	v_cmp_eq_u32_e32 vcc_lo, 0, v88
	v_cndmask_b32_e32 v88, v90, v87, vcc_lo
; %bb.36:
	s_or_b32 exec_lo, exec_lo, s4
	v_and_b32_e32 v87, 0x7f800000, v84
	s_delay_alu instid0(VALU_DEP_1) | instskip(SKIP_1) | instid1(SALU_CYCLE_1)
	v_cmp_ne_u32_e32 vcc_lo, 0x7f800000, v87
                                        ; implicit-def: $vgpr87
	s_and_saveexec_b32 s4, vcc_lo
	s_xor_b32 s4, exec_lo, s4
; %bb.37:
	v_bfe_u32 v87, v84, 16, 1
	s_delay_alu instid0(VALU_DEP_1)
	v_add3_u32 v87, v84, v87, 0x7fff
                                        ; implicit-def: $vgpr84
; %bb.38:
	s_and_not1_saveexec_b32 s4, s4
; %bb.39:
	v_and_b32_e32 v87, 0xffff, v84
	v_or_b32_e32 v90, 0x10000, v84
	s_delay_alu instid0(VALU_DEP_2) | instskip(NEXT) | instid1(VALU_DEP_2)
	v_cmp_eq_u32_e32 vcc_lo, 0, v87
	v_cndmask_b32_e32 v87, v90, v84, vcc_lo
; %bb.40:
	s_or_b32 exec_lo, exec_lo, s4
	v_and_b32_e32 v84, 0x7f800000, v80
	s_delay_alu instid0(VALU_DEP_1) | instskip(SKIP_1) | instid1(SALU_CYCLE_1)
	v_cmp_ne_u32_e32 vcc_lo, 0x7f800000, v84
                                        ; implicit-def: $vgpr84
	s_and_saveexec_b32 s4, vcc_lo
	s_xor_b32 s4, exec_lo, s4
; %bb.41:
	v_bfe_u32 v84, v80, 16, 1
	s_delay_alu instid0(VALU_DEP_1)
	v_add3_u32 v84, v80, v84, 0x7fff
                                        ; implicit-def: $vgpr80
; %bb.42:
	s_and_not1_saveexec_b32 s4, s4
; %bb.43:
	v_and_b32_e32 v84, 0xffff, v80
	v_or_b32_e32 v90, 0x10000, v80
	s_delay_alu instid0(VALU_DEP_2) | instskip(NEXT) | instid1(VALU_DEP_2)
	v_cmp_eq_u32_e32 vcc_lo, 0, v84
	v_cndmask_b32_e32 v84, v90, v80, vcc_lo
; %bb.44:
	s_or_b32 exec_lo, exec_lo, s4
	s_load_b64 s[36:37], s[0:1], 0x94
	v_lshlrev_b32_e32 v91, 4, v74
	s_delay_alu instid0(VALU_DEP_2)
	v_perm_b32 v90, v84, v87, 0x7060302
	v_dual_mul_f32 v79, v82, v79 :: v_dual_lshlrev_b32 v80, 6, v65
	v_dual_mul_f32 v77, v82, v77 :: v_dual_lshlrev_b32 v92, 11, v66
	v_mul_f32_e32 v84, v82, v70
	v_perm_b32 v89, v88, v89, 0x7060302
	v_perm_b32 v88, v86, v85, 0x7060302
	;; [unrolled: 1-line block ×3, first 2 shown]
	v_mul_f32_e32 v70, v82, v81
	v_or3_b32 v76, v91, v92, v80
	v_dual_mul_f32 v78, v82, v78 :: v_dual_and_b32 v85, 0x7f800000, v84
	v_mul_f32_e32 v83, v82, v72
	v_mul_f32_e32 v81, v82, v71
	;; [unrolled: 1-line block ×3, first 2 shown]
	s_mov_b32 s4, exec_lo
	ds_store_b128 v76, v[87:90]
                                        ; implicit-def: $vgpr69
	v_cmpx_ne_u32_e32 0x7f800000, v85
	s_xor_b32 s4, exec_lo, s4
; %bb.45:
	v_bfe_u32 v69, v84, 16, 1
	s_delay_alu instid0(VALU_DEP_1)
	v_add3_u32 v69, v84, v69, 0x7fff
                                        ; implicit-def: $vgpr84
; %bb.46:
	s_and_not1_saveexec_b32 s4, s4
; %bb.47:
	v_and_b32_e32 v69, 0xffff, v84
	v_or_b32_e32 v71, 0x10000, v84
	s_delay_alu instid0(VALU_DEP_2) | instskip(NEXT) | instid1(VALU_DEP_2)
	v_cmp_eq_u32_e32 vcc_lo, 0, v69
	v_cndmask_b32_e32 v69, v71, v84, vcc_lo
; %bb.48:
	s_or_b32 exec_lo, exec_lo, s4
	v_and_b32_e32 v71, 0x7f800000, v72
	s_delay_alu instid0(VALU_DEP_1) | instskip(SKIP_1) | instid1(SALU_CYCLE_1)
	v_cmp_ne_u32_e32 vcc_lo, 0x7f800000, v71
                                        ; implicit-def: $vgpr71
	s_and_saveexec_b32 s4, vcc_lo
	s_xor_b32 s4, exec_lo, s4
; %bb.49:
	v_bfe_u32 v71, v72, 16, 1
	s_delay_alu instid0(VALU_DEP_1)
	v_add3_u32 v71, v72, v71, 0x7fff
                                        ; implicit-def: $vgpr72
; %bb.50:
	s_and_not1_saveexec_b32 s4, s4
; %bb.51:
	v_and_b32_e32 v71, 0xffff, v72
	v_or_b32_e32 v82, 0x10000, v72
	s_delay_alu instid0(VALU_DEP_2) | instskip(NEXT) | instid1(VALU_DEP_2)
	v_cmp_eq_u32_e32 vcc_lo, 0, v71
	v_cndmask_b32_e32 v71, v82, v72, vcc_lo
; %bb.52:
	s_or_b32 exec_lo, exec_lo, s4
	v_and_b32_e32 v72, 0x7f800000, v81
	s_delay_alu instid0(VALU_DEP_1) | instskip(SKIP_1) | instid1(SALU_CYCLE_1)
	v_cmp_ne_u32_e32 vcc_lo, 0x7f800000, v72
                                        ; implicit-def: $vgpr72
	s_and_saveexec_b32 s4, vcc_lo
	s_xor_b32 s4, exec_lo, s4
; %bb.53:
	v_bfe_u32 v72, v81, 16, 1
	s_delay_alu instid0(VALU_DEP_1)
	v_add3_u32 v72, v81, v72, 0x7fff
                                        ; implicit-def: $vgpr81
; %bb.54:
	s_and_not1_saveexec_b32 s4, s4
; %bb.55:
	v_and_b32_e32 v72, 0xffff, v81
	v_or_b32_e32 v82, 0x10000, v81
	s_delay_alu instid0(VALU_DEP_2) | instskip(NEXT) | instid1(VALU_DEP_2)
	v_cmp_eq_u32_e32 vcc_lo, 0, v72
	v_cndmask_b32_e32 v72, v82, v81, vcc_lo
; %bb.56:
	s_or_b32 exec_lo, exec_lo, s4
	v_and_b32_e32 v81, 0x7f800000, v83
	s_delay_alu instid0(VALU_DEP_1) | instskip(SKIP_1) | instid1(SALU_CYCLE_1)
	v_cmp_ne_u32_e32 vcc_lo, 0x7f800000, v81
                                        ; implicit-def: $vgpr81
	s_and_saveexec_b32 s4, vcc_lo
	s_xor_b32 s4, exec_lo, s4
; %bb.57:
	v_bfe_u32 v81, v83, 16, 1
	s_delay_alu instid0(VALU_DEP_1)
	v_add3_u32 v81, v83, v81, 0x7fff
                                        ; implicit-def: $vgpr83
; %bb.58:
	s_and_not1_saveexec_b32 s4, s4
; %bb.59:
	v_and_b32_e32 v81, 0xffff, v83
	v_or_b32_e32 v82, 0x10000, v83
	s_delay_alu instid0(VALU_DEP_2) | instskip(NEXT) | instid1(VALU_DEP_2)
	v_cmp_eq_u32_e32 vcc_lo, 0, v81
	v_cndmask_b32_e32 v81, v82, v83, vcc_lo
; %bb.60:
	s_or_b32 exec_lo, exec_lo, s4
	v_and_b32_e32 v82, 0x7f800000, v77
	s_delay_alu instid0(VALU_DEP_1) | instskip(SKIP_1) | instid1(SALU_CYCLE_1)
	v_cmp_ne_u32_e32 vcc_lo, 0x7f800000, v82
                                        ; implicit-def: $vgpr82
	s_and_saveexec_b32 s4, vcc_lo
	s_xor_b32 s4, exec_lo, s4
; %bb.61:
	v_bfe_u32 v82, v77, 16, 1
	s_delay_alu instid0(VALU_DEP_1)
	v_add3_u32 v82, v77, v82, 0x7fff
                                        ; implicit-def: $vgpr77
; %bb.62:
	s_and_not1_saveexec_b32 s4, s4
; %bb.63:
	v_and_b32_e32 v82, 0xffff, v77
	v_or_b32_e32 v83, 0x10000, v77
	s_delay_alu instid0(VALU_DEP_2) | instskip(NEXT) | instid1(VALU_DEP_2)
	v_cmp_eq_u32_e32 vcc_lo, 0, v82
	v_cndmask_b32_e32 v82, v83, v77, vcc_lo
; %bb.64:
	s_or_b32 exec_lo, exec_lo, s4
	v_and_b32_e32 v77, 0x7f800000, v78
	s_delay_alu instid0(VALU_DEP_1) | instskip(SKIP_1) | instid1(SALU_CYCLE_1)
	v_cmp_ne_u32_e32 vcc_lo, 0x7f800000, v77
                                        ; implicit-def: $vgpr77
	s_and_saveexec_b32 s4, vcc_lo
	s_xor_b32 s4, exec_lo, s4
; %bb.65:
	v_bfe_u32 v77, v78, 16, 1
	s_delay_alu instid0(VALU_DEP_1)
	v_add3_u32 v77, v78, v77, 0x7fff
                                        ; implicit-def: $vgpr78
; %bb.66:
	s_and_not1_saveexec_b32 s4, s4
; %bb.67:
	v_and_b32_e32 v77, 0xffff, v78
	v_or_b32_e32 v83, 0x10000, v78
	s_delay_alu instid0(VALU_DEP_2) | instskip(NEXT) | instid1(VALU_DEP_2)
	v_cmp_eq_u32_e32 vcc_lo, 0, v77
	v_cndmask_b32_e32 v77, v83, v78, vcc_lo
; %bb.68:
	s_or_b32 exec_lo, exec_lo, s4
	v_and_b32_e32 v78, 0x7f800000, v79
	s_delay_alu instid0(VALU_DEP_1) | instskip(SKIP_1) | instid1(SALU_CYCLE_1)
	v_cmp_ne_u32_e32 vcc_lo, 0x7f800000, v78
                                        ; implicit-def: $vgpr78
	s_and_saveexec_b32 s4, vcc_lo
	s_xor_b32 s4, exec_lo, s4
; %bb.69:
	v_bfe_u32 v78, v79, 16, 1
	s_delay_alu instid0(VALU_DEP_1)
	v_add3_u32 v78, v79, v78, 0x7fff
                                        ; implicit-def: $vgpr79
; %bb.70:
	s_and_not1_saveexec_b32 s4, s4
; %bb.71:
	v_and_b32_e32 v78, 0xffff, v79
	v_or_b32_e32 v83, 0x10000, v79
	s_delay_alu instid0(VALU_DEP_2) | instskip(NEXT) | instid1(VALU_DEP_2)
	v_cmp_eq_u32_e32 vcc_lo, 0, v78
	v_cndmask_b32_e32 v78, v83, v79, vcc_lo
; %bb.72:
	s_or_b32 exec_lo, exec_lo, s4
	v_and_b32_e32 v79, 0x7f800000, v70
	s_delay_alu instid0(VALU_DEP_1) | instskip(SKIP_1) | instid1(SALU_CYCLE_1)
	v_cmp_ne_u32_e32 vcc_lo, 0x7f800000, v79
                                        ; implicit-def: $vgpr79
	s_and_saveexec_b32 s4, vcc_lo
	s_xor_b32 s4, exec_lo, s4
; %bb.73:
	v_bfe_u32 v79, v70, 16, 1
	s_delay_alu instid0(VALU_DEP_1)
	v_add3_u32 v79, v70, v79, 0x7fff
                                        ; implicit-def: $vgpr70
; %bb.74:
	s_and_not1_saveexec_b32 s4, s4
; %bb.75:
	v_and_b32_e32 v79, 0xffff, v70
	v_or_b32_e32 v83, 0x10000, v70
	s_delay_alu instid0(VALU_DEP_2) | instskip(NEXT) | instid1(VALU_DEP_2)
	v_cmp_eq_u32_e32 vcc_lo, 0, v79
	v_cndmask_b32_e32 v79, v83, v70, vcc_lo
; %bb.76:
	s_or_b32 exec_lo, exec_lo, s4
	s_delay_alu instid0(VALU_DEP_1)
	v_perm_b32 v86, v79, v78, 0x7060302
	v_perm_b32 v85, v77, v82, 0x7060302
	;; [unrolled: 1-line block ×4, first 2 shown]
	v_lshl_or_b32 v82, v66, 11, v80
	ds_store_b128 v76, v[83:86] offset:1024
	s_waitcnt lgkmcnt(0)
	s_barrier
	buffer_gl0_inv
	ds_load_b128 v[69:72], v82
	ds_load_b128 v[83:86], v82 offset:16
	s_waitcnt lgkmcnt(1)
	v_lshrrev_b32_e32 v66, 16, v69
	s_waitcnt lgkmcnt(0)
	v_lshrrev_b32_e32 v91, 16, v83
	v_lshlrev_b32_e32 v78, 2, v74
	v_lshrrev_b32_e32 v95, 16, v70
	v_lshrrev_b32_e32 v98, 16, v84
	;; [unrolled: 1-line block ×4, first 2 shown]
	v_cmp_eq_u32_e32 vcc_lo, 1, v78
	v_lshrrev_b32_e32 v97, 16, v72
	v_lshrrev_b32_e32 v100, 16, v86
	v_cndmask_b32_e32 v87, v83, v91, vcc_lo
	v_or_b32_e32 v79, 1, v78
	v_cndmask_b32_e32 v81, v69, v66, vcc_lo
	v_cmp_eq_u32_e64 s5, 2, v78
	v_cmp_eq_u32_e64 s8, 3, v78
	;; [unrolled: 1-line block ×5, first 2 shown]
	v_cndmask_b32_e64 v81, v81, v70, s5
	v_cndmask_b32_e64 v87, v87, v84, s5
	v_cmp_eq_u32_e64 s9, 3, v79
	v_cndmask_b32_e64 v88, v69, v66, s4
	v_or_b32_e32 v77, 2, v78
	v_cndmask_b32_e64 v81, v81, v95, s8
	v_cndmask_b32_e64 v87, v87, v98, s8
	v_cndmask_b32_e64 v89, v83, v91, s4
	v_cndmask_b32_e64 v88, v88, v70, s7
	v_cmp_eq_u32_e64 s11, 5, v78
	v_cndmask_b32_e64 v81, v81, v71, s10
	v_cndmask_b32_e64 v87, v87, v85, s10
	v_cmp_eq_u32_e64 s12, 4, v79
	v_cndmask_b32_e64 v88, v88, v95, s9
	v_cmp_eq_u32_e64 s6, 1, v77
	v_cndmask_b32_e64 v89, v89, v84, s7
	v_cndmask_b32_e64 v81, v81, v96, s11
	v_cmp_eq_u32_e64 s13, 6, v78
	v_cndmask_b32_e64 v88, v88, v71, s12
	;; [unrolled: 3-line block ×3, first 2 shown]
	v_cndmask_b32_e64 v89, v89, v98, s9
	v_cndmask_b32_e64 v81, v81, v72, s13
	v_cmp_eq_u32_e64 s16, 7, v78
	v_cndmask_b32_e64 v88, v88, v96, s15
	v_cndmask_b32_e64 v87, v87, v86, s13
	v_cmp_eq_u32_e64 s17, 6, v79
	v_cmp_eq_u32_e64 s18, 2, v77
	v_cndmask_b32_e64 v89, v89, v85, s12
	v_cndmask_b32_e64 v101, v81, v97, s16
	;; [unrolled: 1-line block ×6, first 2 shown]
	v_cmp_eq_u32_e64 s19, 7, v79
	v_cmp_eq_u32_e64 s20, 3, v77
	;; [unrolled: 1-line block ×4, first 2 shown]
	v_cndmask_b32_e64 v87, v87, v84, s18
	v_cndmask_b32_e64 v103, v88, v97, s19
	v_cndmask_b32_e64 v88, v89, v99, s15
	v_cndmask_b32_e64 v89, v81, v95, s20
	v_or_b32_e32 v81, 3, v78
	v_cndmask_b32_e64 v93, v87, v98, s20
	v_cmp_eq_u32_e64 s25, 6, v77
	v_cndmask_b32_e64 v104, v88, v86, s17
	v_cndmask_b32_e64 v92, v89, v71, s21
	v_cmp_eq_u32_e64 s22, 1, v81
	ds_load_b128 v[87:90], v82 offset:1024
	v_cmp_eq_u32_e64 s24, 2, v81
	v_cmp_eq_u32_e64 s26, 3, v81
	v_cndmask_b32_e64 v105, v92, v96, s23
	v_cndmask_b32_e64 v66, v69, v66, s22
	;; [unrolled: 1-line block ×4, first 2 shown]
	ds_load_b128 v[91:94], v82 offset:1040
	v_cmp_eq_u32_e64 s27, 4, v81
	v_cndmask_b32_e64 v66, v66, v70, s24
	v_cmp_eq_u32_e64 s28, 7, v77
	v_cndmask_b32_e64 v70, v83, v84, s24
	v_cndmask_b32_e64 v84, v105, v72, s25
	v_cmp_eq_u32_e64 s29, 5, v81
	v_cndmask_b32_e64 v66, v66, v95, s26
	v_cmp_eq_u32_e64 s30, 6, v81
	v_cndmask_b32_e64 v70, v70, v98, s26
	v_cndmask_b32_e64 v69, v69, v99, s23
	;; [unrolled: 1-line block ×4, first 2 shown]
	s_waitcnt lgkmcnt(1)
	v_lshrrev_b32_e32 v95, 16, v87
	v_cndmask_b32_e64 v70, v70, v85, s27
	v_cndmask_b32_e64 v71, v84, v97, s28
	;; [unrolled: 1-line block ×4, first 2 shown]
	v_cndmask_b32_e32 v84, v87, v95, vcc_lo
	v_cndmask_b32_e64 v70, v70, v99, s29
	s_waitcnt lgkmcnt(0)
	v_lshrrev_b32_e32 v85, 16, v91
	v_lshrrev_b32_e32 v96, 16, v88
	v_cndmask_b32_e64 v98, v87, v95, s4
	v_cndmask_b32_e64 v84, v84, v88, s5
	;; [unrolled: 1-line block ×3, first 2 shown]
	v_cndmask_b32_e32 v99, v91, v85, vcc_lo
	v_cmp_eq_u32_e32 vcc_lo, 7, v81
	v_cndmask_b32_e64 v66, v66, v72, s30
	v_cndmask_b32_e64 v72, v84, v96, s8
	;; [unrolled: 1-line block ×3, first 2 shown]
	v_lshrrev_b32_e32 v98, 16, v92
	v_cndmask_b32_e32 v70, v70, v100, vcc_lo
	v_cndmask_b32_e64 v86, v99, v92, s5
	v_cndmask_b32_e64 v69, v69, v100, s28
	v_lshrrev_b32_e32 v100, 16, v93
	v_cndmask_b32_e64 v72, v72, v89, s10
	v_lshrrev_b32_e32 v99, 16, v89
	v_cndmask_b32_e64 v86, v86, v98, s8
	v_perm_b32 v71, v69, v71, 0x5040100
	v_cndmask_b32_e64 v84, v84, v96, s9
	s_delay_alu instid0(VALU_DEP_3) | instskip(NEXT) | instid1(VALU_DEP_2)
	v_cndmask_b32_e64 v86, v86, v93, s10
	v_cndmask_b32_e64 v84, v84, v89, s12
	s_delay_alu instid0(VALU_DEP_2) | instskip(NEXT) | instid1(VALU_DEP_1)
	v_cndmask_b32_e64 v86, v86, v100, s11
	v_cndmask_b32_e64 v69, v86, v94, s13
	;; [unrolled: 1-line block ×5, first 2 shown]
	s_delay_alu instid0(VALU_DEP_3) | instskip(NEXT) | instid1(VALU_DEP_3)
	v_cndmask_b32_e64 v86, v86, v88, s18
	v_cndmask_b32_e64 v87, v87, v88, s24
	s_delay_alu instid0(VALU_DEP_3) | instskip(NEXT) | instid1(VALU_DEP_3)
	v_cndmask_b32_e64 v88, v95, v92, s24
	v_cndmask_b32_e64 v86, v86, v96, s20
	;; [unrolled: 3-line block ×7, first 2 shown]
	s_delay_alu instid0(VALU_DEP_3) | instskip(SKIP_2) | instid1(VALU_DEP_2)
	v_cndmask_b32_e64 v88, v88, v94, s30
	v_cndmask_b32_e32 v66, v66, v97, vcc_lo
	v_cndmask_b32_e64 v97, v72, v99, s11
	v_perm_b32 v72, v70, v66, 0x5040100
	v_perm_b32 v70, v83, v103, 0x5040100
	v_cndmask_b32_e64 v103, v91, v85, s6
	v_cndmask_b32_e64 v85, v91, v85, s4
	;; [unrolled: 1-line block ×4, first 2 shown]
	v_lshrrev_b32_e32 v97, 16, v90
	v_cndmask_b32_e64 v91, v103, v92, s18
	v_cndmask_b32_e64 v85, v85, v92, s7
	;; [unrolled: 1-line block ×3, first 2 shown]
	s_mov_b32 s4, exec_lo
	v_cndmask_b32_e64 v83, v84, v97, s16
	v_cndmask_b32_e64 v91, v91, v98, s20
	v_cndmask_b32_e64 v85, v85, v98, s9
	v_lshrrev_b32_e32 v84, 16, v94
	v_cndmask_b32_e64 v66, v66, v97, s19
	v_cndmask_b32_e64 v90, v86, v97, s28
	;; [unrolled: 1-line block ×4, first 2 shown]
	v_dual_cndmask_b32 v86, v87, v97 :: v_dual_cndmask_b32 v87, v88, v84
	v_cndmask_b32_e64 v91, v69, v84, s16
	s_delay_alu instid0(VALU_DEP_4) | instskip(NEXT) | instid1(VALU_DEP_4)
	v_cndmask_b32_e64 v89, v89, v100, s23
	v_cndmask_b32_e64 v85, v85, v100, s15
	v_perm_b32 v69, v102, v101, 0x5040100
	v_perm_b32 v86, v87, v86, 0x5040100
	;; [unrolled: 1-line block ×3, first 2 shown]
	v_cndmask_b32_e64 v89, v89, v94, s25
	v_cndmask_b32_e64 v85, v85, v94, s17
	s_mul_i32 s9, s37, 3
	s_delay_alu instid0(VALU_DEP_2) | instskip(NEXT) | instid1(VALU_DEP_2)
	v_cndmask_b32_e64 v88, v89, v84, s28
	v_cndmask_b32_e64 v89, v85, v84, s19
	s_delay_alu instid0(VALU_DEP_2) | instskip(NEXT) | instid1(VALU_DEP_2)
	v_perm_b32 v85, v88, v90, 0x5040100
	v_perm_b32 v84, v89, v66, 0x5040100
	ds_store_b128 v76, v[69:72]
	ds_store_b128 v76, v[83:86] offset:1024
	v_cmpx_gt_u32_e32 3, v0
	s_cbranch_execz .LBB1680_78
; %bb.77:
	s_mul_i32 s5, s9, s34
	s_load_b128 s[16:19], s[0:1], 0x58
	v_add3_u32 v69, s5, s31, v65
	s_delay_alu instid0(VALU_DEP_1) | instskip(NEXT) | instid1(VALU_DEP_1)
	v_mad_u64_u32 v[65:66], null, v69, s36, s[14:15]
	v_ashrrev_i32_e32 v66, 31, v65
	s_delay_alu instid0(VALU_DEP_1) | instskip(SKIP_1) | instid1(VALU_DEP_1)
	v_lshlrev_b64 v[65:66], 2, v[65:66]
	s_waitcnt lgkmcnt(0)
	v_add_co_u32 v69, vcc_lo, s18, v65
	s_delay_alu instid0(VALU_DEP_2)
	v_add_co_ci_u32_e32 v70, vcc_lo, s19, v66, vcc_lo
	v_add_co_u32 v65, vcc_lo, s16, v65
	v_add_co_ci_u32_e32 v66, vcc_lo, s17, v66, vcc_lo
	global_store_b32 v[69:70], v67, off
	global_store_b32 v[65:66], v68, off
.LBB1680_78:
	s_or_b32 exec_lo, exec_lo, s4
	s_waitcnt lgkmcnt(0)
	s_waitcnt_vscnt null, 0x0
	s_barrier
	buffer_gl0_inv
	ds_load_b128 v[83:86], v80
	ds_load_b128 v[87:90], v80 offset:16
	ds_load_b128 v[95:98], v80 offset:2064
	;; [unrolled: 1-line block ×3, first 2 shown]
	v_mov_b32_e32 v65, 0
	ds_load_b128 v[103:106], v80 offset:4112
	ds_load_b128 v[99:102], v80 offset:4096
	;; [unrolled: 1-line block ×4, first 2 shown]
	v_mov_b32_e32 v66, v65
	v_mov_b32_e32 v67, v65
	v_mov_b32_e32 v68, v65
	v_mov_b32_e32 v69, v65
	v_mov_b32_e32 v70, v65
	v_mov_b32_e32 v71, v65
	v_mov_b32_e32 v72, v65
	s_waitcnt lgkmcnt(6)
	s_delay_alu instid0(VALU_DEP_1)
	v_wmma_f32_16x16x16_bf16 v[65:72], v[57:64], v[83:90], v[65:72]
	ds_load_b128 v[61:64], v80 offset:8208
	ds_load_b128 v[57:60], v80 offset:8192
	s_waitcnt lgkmcnt(6)
	v_wmma_f32_16x16x16_bf16 v[65:72], v[41:48], v[91:98], v[65:72]
	ds_load_b128 v[45:48], v80 offset:10256
	ds_load_b128 v[41:44], v80 offset:10240
	s_waitcnt lgkmcnt(6)
	;; [unrolled: 4-line block ×4, first 2 shown]
	v_wmma_f32_16x16x16_bf16 v[65:72], v[1:8], v[57:64], v[65:72]
	s_waitcnt lgkmcnt(4)
	s_delay_alu instid0(VALU_DEP_1) | instskip(SKIP_1) | instid1(VALU_DEP_1)
	v_wmma_f32_16x16x16_bf16 v[65:72], v[9:16], v[41:48], v[65:72]
	s_waitcnt lgkmcnt(2)
	v_wmma_f32_16x16x16_bf16 v[65:72], v[17:24], v[33:40], v[65:72]
	s_waitcnt lgkmcnt(0)
	s_delay_alu instid0(VALU_DEP_1) | instskip(NEXT) | instid1(VALU_DEP_1)
	v_wmma_f32_16x16x16_bf16 v[65:72], v[49:56], v[25:32], v[65:72]
	v_and_b32_e32 v1, 0x7f800000, v65
	s_delay_alu instid0(VALU_DEP_1) | instskip(SKIP_1) | instid1(SALU_CYCLE_1)
	v_cmp_ne_u32_e32 vcc_lo, 0x7f800000, v1
                                        ; implicit-def: $vgpr1
	s_and_saveexec_b32 s4, vcc_lo
	s_xor_b32 s4, exec_lo, s4
; %bb.79:
	v_bfe_u32 v1, v65, 16, 1
	s_delay_alu instid0(VALU_DEP_1)
	v_add3_u32 v1, v65, v1, 0x7fff
; %bb.80:
	s_and_not1_saveexec_b32 s4, s4
; %bb.81:
	v_and_b32_e32 v1, 0xffff, v65
	v_or_b32_e32 v2, 0x10000, v65
	s_delay_alu instid0(VALU_DEP_2) | instskip(NEXT) | instid1(VALU_DEP_2)
	v_cmp_eq_u32_e32 vcc_lo, 0, v1
	v_cndmask_b32_e32 v1, v2, v65, vcc_lo
; %bb.82:
	s_or_b32 exec_lo, exec_lo, s4
	v_and_b32_e32 v2, 0x7f800000, v66
	s_delay_alu instid0(VALU_DEP_1) | instskip(SKIP_1) | instid1(SALU_CYCLE_1)
	v_cmp_ne_u32_e32 vcc_lo, 0x7f800000, v2
                                        ; implicit-def: $vgpr2
	s_and_saveexec_b32 s4, vcc_lo
	s_xor_b32 s4, exec_lo, s4
; %bb.83:
	v_bfe_u32 v2, v66, 16, 1
	s_delay_alu instid0(VALU_DEP_1)
	v_add3_u32 v2, v66, v2, 0x7fff
; %bb.84:
	s_and_not1_saveexec_b32 s4, s4
; %bb.85:
	v_and_b32_e32 v2, 0xffff, v66
	v_or_b32_e32 v3, 0x10000, v66
	s_delay_alu instid0(VALU_DEP_2) | instskip(NEXT) | instid1(VALU_DEP_2)
	v_cmp_eq_u32_e32 vcc_lo, 0, v2
	v_cndmask_b32_e32 v2, v3, v66, vcc_lo
; %bb.86:
	s_or_b32 exec_lo, exec_lo, s4
	v_and_b32_e32 v3, 0x7f800000, v67
	s_delay_alu instid0(VALU_DEP_1) | instskip(SKIP_1) | instid1(SALU_CYCLE_1)
	v_cmp_ne_u32_e32 vcc_lo, 0x7f800000, v3
                                        ; implicit-def: $vgpr3
	s_and_saveexec_b32 s4, vcc_lo
	s_xor_b32 s4, exec_lo, s4
; %bb.87:
	v_bfe_u32 v3, v67, 16, 1
	s_delay_alu instid0(VALU_DEP_1)
	v_add3_u32 v3, v67, v3, 0x7fff
; %bb.88:
	s_and_not1_saveexec_b32 s4, s4
; %bb.89:
	v_and_b32_e32 v3, 0xffff, v67
	v_or_b32_e32 v4, 0x10000, v67
	s_delay_alu instid0(VALU_DEP_2) | instskip(NEXT) | instid1(VALU_DEP_2)
	v_cmp_eq_u32_e32 vcc_lo, 0, v3
	v_cndmask_b32_e32 v3, v4, v67, vcc_lo
; %bb.90:
	s_or_b32 exec_lo, exec_lo, s4
	v_and_b32_e32 v4, 0x7f800000, v68
	s_delay_alu instid0(VALU_DEP_1) | instskip(SKIP_1) | instid1(SALU_CYCLE_1)
	v_cmp_ne_u32_e32 vcc_lo, 0x7f800000, v4
                                        ; implicit-def: $vgpr4
	s_and_saveexec_b32 s4, vcc_lo
	s_xor_b32 s4, exec_lo, s4
; %bb.91:
	v_bfe_u32 v4, v68, 16, 1
	s_delay_alu instid0(VALU_DEP_1)
	v_add3_u32 v4, v68, v4, 0x7fff
; %bb.92:
	s_and_not1_saveexec_b32 s4, s4
; %bb.93:
	v_and_b32_e32 v4, 0xffff, v68
	v_or_b32_e32 v5, 0x10000, v68
	s_delay_alu instid0(VALU_DEP_2) | instskip(NEXT) | instid1(VALU_DEP_2)
	v_cmp_eq_u32_e32 vcc_lo, 0, v4
	v_cndmask_b32_e32 v4, v5, v68, vcc_lo
; %bb.94:
	s_or_b32 exec_lo, exec_lo, s4
	v_and_b32_e32 v5, 0x7f800000, v69
	s_delay_alu instid0(VALU_DEP_1) | instskip(SKIP_1) | instid1(SALU_CYCLE_1)
	v_cmp_ne_u32_e32 vcc_lo, 0x7f800000, v5
                                        ; implicit-def: $vgpr5
	s_and_saveexec_b32 s4, vcc_lo
	s_xor_b32 s4, exec_lo, s4
; %bb.95:
	v_bfe_u32 v5, v69, 16, 1
	s_delay_alu instid0(VALU_DEP_1)
	v_add3_u32 v5, v69, v5, 0x7fff
; %bb.96:
	s_and_not1_saveexec_b32 s4, s4
; %bb.97:
	v_and_b32_e32 v5, 0xffff, v69
	v_or_b32_e32 v6, 0x10000, v69
	s_delay_alu instid0(VALU_DEP_2) | instskip(NEXT) | instid1(VALU_DEP_2)
	v_cmp_eq_u32_e32 vcc_lo, 0, v5
	v_cndmask_b32_e32 v5, v6, v69, vcc_lo
; %bb.98:
	s_or_b32 exec_lo, exec_lo, s4
	v_and_b32_e32 v6, 0x7f800000, v70
	s_delay_alu instid0(VALU_DEP_1) | instskip(SKIP_1) | instid1(SALU_CYCLE_1)
	v_cmp_ne_u32_e32 vcc_lo, 0x7f800000, v6
                                        ; implicit-def: $vgpr6
	s_and_saveexec_b32 s4, vcc_lo
	s_xor_b32 s4, exec_lo, s4
; %bb.99:
	v_bfe_u32 v6, v70, 16, 1
	s_delay_alu instid0(VALU_DEP_1)
	v_add3_u32 v6, v70, v6, 0x7fff
; %bb.100:
	s_and_not1_saveexec_b32 s4, s4
; %bb.101:
	v_and_b32_e32 v6, 0xffff, v70
	v_or_b32_e32 v7, 0x10000, v70
	s_delay_alu instid0(VALU_DEP_2) | instskip(NEXT) | instid1(VALU_DEP_2)
	v_cmp_eq_u32_e32 vcc_lo, 0, v6
	v_cndmask_b32_e32 v6, v7, v70, vcc_lo
; %bb.102:
	s_or_b32 exec_lo, exec_lo, s4
	v_and_b32_e32 v7, 0x7f800000, v71
	s_delay_alu instid0(VALU_DEP_1) | instskip(SKIP_1) | instid1(SALU_CYCLE_1)
	v_cmp_ne_u32_e32 vcc_lo, 0x7f800000, v7
                                        ; implicit-def: $vgpr7
	s_and_saveexec_b32 s4, vcc_lo
	s_xor_b32 s4, exec_lo, s4
; %bb.103:
	v_bfe_u32 v7, v71, 16, 1
	s_delay_alu instid0(VALU_DEP_1)
	v_add3_u32 v7, v71, v7, 0x7fff
; %bb.104:
	s_and_not1_saveexec_b32 s4, s4
; %bb.105:
	v_and_b32_e32 v7, 0xffff, v71
	v_or_b32_e32 v8, 0x10000, v71
	s_delay_alu instid0(VALU_DEP_2) | instskip(NEXT) | instid1(VALU_DEP_2)
	v_cmp_eq_u32_e32 vcc_lo, 0, v7
	v_cndmask_b32_e32 v7, v8, v71, vcc_lo
; %bb.106:
	s_or_b32 exec_lo, exec_lo, s4
	v_and_b32_e32 v8, 0x7f800000, v72
	s_delay_alu instid0(VALU_DEP_1) | instskip(SKIP_1) | instid1(SALU_CYCLE_1)
	v_cmp_ne_u32_e32 vcc_lo, 0x7f800000, v8
                                        ; implicit-def: $vgpr8
	s_and_saveexec_b32 s4, vcc_lo
	s_xor_b32 s4, exec_lo, s4
; %bb.107:
	v_bfe_u32 v8, v72, 16, 1
	s_delay_alu instid0(VALU_DEP_1)
	v_add3_u32 v8, v72, v8, 0x7fff
                                        ; implicit-def: $vgpr65_vgpr66_vgpr67_vgpr68_vgpr69_vgpr70_vgpr71_vgpr72
; %bb.108:
	s_and_not1_saveexec_b32 s4, s4
; %bb.109:
	v_and_b32_e32 v8, 0xffff, v72
	v_or_b32_e32 v9, 0x10000, v72
	s_delay_alu instid0(VALU_DEP_2) | instskip(NEXT) | instid1(VALU_DEP_2)
	v_cmp_eq_u32_e32 vcc_lo, 0, v8
	v_cndmask_b32_e32 v8, v9, v72, vcc_lo
; %bb.110:
	s_or_b32 exec_lo, exec_lo, s4
	s_delay_alu instid0(VALU_DEP_1)
	v_perm_b32 v7, v8, v7, 0x7060302
	v_perm_b32 v6, v6, v5, 0x7060302
	;; [unrolled: 1-line block ×4, first 2 shown]
	s_barrier
	buffer_gl0_inv
	v_cmp_eq_u32_e32 vcc_lo, 1, v78
	ds_store_b128 v76, v[4:7]
	s_waitcnt lgkmcnt(0)
	s_barrier
	buffer_gl0_inv
	ds_load_b128 v[1:4], v82
	ds_load_b128 v[5:8], v82 offset:16
	v_cmp_eq_u32_e64 s4, 1, v79
	v_cmp_eq_u32_e64 s5, 2, v78
	;; [unrolled: 1-line block ×5, first 2 shown]
	s_waitcnt lgkmcnt(1)
	v_lshrrev_b32_e32 v9, 16, v1
	s_waitcnt lgkmcnt(0)
	v_lshrrev_b32_e32 v13, 16, v5
	v_lshrrev_b32_e32 v10, 16, v2
	;; [unrolled: 1-line block ×4, first 2 shown]
	v_cndmask_b32_e64 v19, v1, v9, s4
	v_cndmask_b32_e32 v18, v5, v13, vcc_lo
	v_cndmask_b32_e64 v20, v5, v13, s4
	v_cndmask_b32_e32 v17, v1, v9, vcc_lo
	v_cmp_eq_u32_e32 vcc_lo, 2, v79
	v_lshrrev_b32_e32 v15, 16, v7
	v_cmp_eq_u32_e64 s4, 1, v77
	v_lshrrev_b32_e32 v12, 16, v4
	v_lshrrev_b32_e32 v16, 16, v8
	v_cndmask_b32_e32 v20, v20, v6, vcc_lo
	v_cndmask_b32_e64 v17, v17, v2, s5
	v_cndmask_b32_e32 v19, v19, v2, vcc_lo
	v_cndmask_b32_e64 v18, v18, v6, s5
	v_cmp_eq_u32_e32 vcc_lo, 4, v78
	v_cmp_eq_u32_e64 s5, 3, v79
	v_cndmask_b32_e64 v17, v17, v10, s6
	v_cndmask_b32_e64 v21, v1, v9, s4
	;; [unrolled: 1-line block ×5, first 2 shown]
	v_cndmask_b32_e32 v17, v17, v3, vcc_lo
	v_cndmask_b32_e64 v20, v20, v14, s5
	v_cndmask_b32_e32 v18, v18, v7, vcc_lo
	v_cmp_eq_u32_e32 vcc_lo, 4, v79
	v_cmp_eq_u32_e64 s5, 5, v79
	v_cmp_eq_u32_e64 s4, 2, v81
	v_cndmask_b32_e64 v21, v21, v2, s8
	v_cmp_eq_u32_e64 s6, 5, v78
	v_cndmask_b32_e32 v19, v19, v3, vcc_lo
	v_cndmask_b32_e32 v20, v20, v7, vcc_lo
	v_cmp_eq_u32_e32 vcc_lo, 6, v79
	s_delay_alu instid0(VALU_DEP_4) | instskip(NEXT) | instid1(VALU_DEP_4)
	v_cndmask_b32_e64 v17, v17, v11, s6
	v_cndmask_b32_e64 v19, v19, v11, s5
	s_delay_alu instid0(VALU_DEP_4) | instskip(SKIP_1) | instid1(VALU_DEP_3)
	v_cndmask_b32_e64 v20, v20, v15, s5
	v_cmp_eq_u32_e64 s5, 1, v81
	v_cndmask_b32_e32 v19, v19, v4, vcc_lo
	v_cndmask_b32_e64 v18, v18, v15, s6
	s_delay_alu instid0(VALU_DEP_3)
	v_cndmask_b32_e64 v1, v1, v9, s5
	v_cndmask_b32_e64 v5, v5, v13, s5
	v_cmp_eq_u32_e64 s5, 3, v77
	v_cndmask_b32_e64 v13, v22, v6, s8
	v_cmp_eq_u32_e64 s8, 3, v81
	v_cndmask_b32_e64 v1, v1, v2, s4
	v_cndmask_b32_e64 v2, v5, v6, s4
	;; [unrolled: 1-line block ×3, first 2 shown]
	v_cmp_eq_u32_e64 s4, 4, v77
	v_cndmask_b32_e64 v6, v13, v14, s5
	v_cndmask_b32_e64 v1, v1, v10, s8
	v_cmp_eq_u32_e64 s5, 4, v81
	v_cndmask_b32_e64 v2, v2, v14, s8
	v_cndmask_b32_e64 v5, v9, v3, s4
	;; [unrolled: 3-line block ×3, first 2 shown]
	v_cndmask_b32_e64 v2, v2, v7, s5
	v_cmp_eq_u32_e64 s4, 5, v81
	v_cmp_eq_u32_e64 s6, 6, v78
	v_cndmask_b32_e64 v5, v5, v11, s8
	v_cmp_eq_u32_e64 s5, 6, v77
	v_cndmask_b32_e64 v3, v6, v15, s8
	v_cndmask_b32_e64 v1, v1, v11, s4
	v_cmp_eq_u32_e64 s8, 6, v81
	v_cndmask_b32_e64 v2, v2, v15, s4
	v_cndmask_b32_e64 v17, v17, v4, s6
	v_cndmask_b32_e64 v18, v18, v8, s6
	v_cmp_eq_u32_e64 s6, 7, v78
	v_cndmask_b32_e64 v5, v5, v4, s5
	;; [unrolled: 4-line block ×3, first 2 shown]
	v_cmp_eq_u32_e64 s5, 7, v77
	v_cndmask_b32_e32 v4, v20, v8, vcc_lo
	v_cndmask_b32_e64 v17, v17, v12, s6
	v_cndmask_b32_e64 v19, v19, v12, s7
	;; [unrolled: 1-line block ×8, first 2 shown]
	v_cmp_gt_u32_e32 vcc_lo, 32, v0
	v_perm_b32 v4, v2, v1, 0x5040100
	v_perm_b32 v3, v3, v5, 0x5040100
	;; [unrolled: 1-line block ×4, first 2 shown]
	s_and_b32 s2, vcc_lo, s2
	ds_store_b128 v76, v[1:4]
	s_waitcnt lgkmcnt(0)
	s_barrier
	buffer_gl0_inv
	s_and_saveexec_b32 s4, s2
	s_cbranch_execz .LBB1680_2
; %bb.111:
	s_load_b64 s[4:5], s[0:1], 0x68
	v_lshlrev_b32_e32 v0, 10, v0
	v_lshlrev_b32_e32 v2, 4, v75
	v_add_nc_u32_e32 v1, s31, v74
	s_lshl_b32 s0, s36, 6
	s_delay_alu instid0(SALU_CYCLE_1) | instskip(NEXT) | instid1(VALU_DEP_2)
	s_mul_i32 s1, s0, s34
	v_and_or_b32 v0, 0x3800, v0, v2
	s_mul_i32 s6, s1, s9
	v_mul_lo_u32 v1, v1, s0
	s_ashr_i32 s7, s6, 31
	s_delay_alu instid0(VALU_DEP_2) | instskip(SKIP_1) | instid1(VALU_DEP_2)
	v_lshl_or_b32 v3, v74, 6, v0
	s_lshl_b64 s[6:7], s[6:7], 1
	v_ashrrev_i32_e32 v2, 31, v1
	ds_load_b128 v[3:6], v3
	s_waitcnt lgkmcnt(0)
	s_add_u32 s1, s4, s6
	s_addc_u32 s2, s5, s7
	s_lshl_b32 s4, s14, 6
	v_lshlrev_b64 v[7:8], 1, v[1:2]
	s_ashr_i32 s5, s4, 31
	s_delay_alu instid0(SALU_CYCLE_1) | instskip(NEXT) | instid1(SALU_CYCLE_1)
	s_lshl_b64 s[4:5], s[4:5], 1
	s_add_u32 s1, s1, s4
	s_addc_u32 s2, s2, s5
	v_add_co_u32 v1, s1, s1, v73
	s_delay_alu instid0(VALU_DEP_1) | instskip(NEXT) | instid1(VALU_DEP_2)
	v_add_co_ci_u32_e64 v2, null, s2, 0, s1
	v_add_co_u32 v7, vcc_lo, v1, v7
	s_delay_alu instid0(VALU_DEP_2)
	v_add_co_ci_u32_e32 v8, vcc_lo, v2, v8, vcc_lo
	global_store_b128 v[7:8], v[3:6], off
	s_and_b32 exec_lo, exec_lo, s3
	s_cbranch_execz .LBB1680_2
; %bb.112:
	ds_load_b128 v[3:6], v0 offset:128
	s_add_i32 s1, s31, 2
	s_delay_alu instid0(SALU_CYCLE_1) | instskip(NEXT) | instid1(SALU_CYCLE_1)
	s_mul_i32 s0, s1, s0
	s_ashr_i32 s1, s0, 31
	s_delay_alu instid0(SALU_CYCLE_1) | instskip(NEXT) | instid1(SALU_CYCLE_1)
	s_lshl_b64 s[0:1], s[0:1], 1
	v_add_co_u32 v0, vcc_lo, v1, s0
	v_add_co_ci_u32_e32 v1, vcc_lo, s1, v2, vcc_lo
	s_waitcnt lgkmcnt(0)
	global_store_b128 v[0:1], v[3:6], off
	s_nop 0
	s_sendmsg sendmsg(MSG_DEALLOC_VGPRS)
	s_endpgm
	.section	.rodata,"a",@progbits
	.p2align	6, 0x0
	.amdhsa_kernel _Z39paged_attention_ll4mi_QKV_mfma16_kernelI14__hip_bfloat16hLN4vllm18Fp8KVCacheDataTypeE1EhLi16ELi64ELi256ELb1ELi3EL8MFMAType0EEvPKT_PKT0_S9_ifPKiSB_SB_iPKfiiiPfSE_PS4_PT2_iSD_SD_
		.amdhsa_group_segment_fixed_size 17472
		.amdhsa_private_segment_fixed_size 0
		.amdhsa_kernarg_size 400
		.amdhsa_user_sgpr_count 13
		.amdhsa_user_sgpr_dispatch_ptr 0
		.amdhsa_user_sgpr_queue_ptr 0
		.amdhsa_user_sgpr_kernarg_segment_ptr 1
		.amdhsa_user_sgpr_dispatch_id 0
		.amdhsa_user_sgpr_private_segment_size 0
		.amdhsa_wavefront_size32 1
		.amdhsa_uses_dynamic_stack 0
		.amdhsa_enable_private_segment 0
		.amdhsa_system_sgpr_workgroup_id_x 1
		.amdhsa_system_sgpr_workgroup_id_y 1
		.amdhsa_system_sgpr_workgroup_id_z 1
		.amdhsa_system_sgpr_workgroup_info 0
		.amdhsa_system_vgpr_workitem_id 0
		.amdhsa_next_free_vgpr 124
		.amdhsa_next_free_sgpr 40
		.amdhsa_reserve_vcc 1
		.amdhsa_float_round_mode_32 0
		.amdhsa_float_round_mode_16_64 0
		.amdhsa_float_denorm_mode_32 3
		.amdhsa_float_denorm_mode_16_64 3
		.amdhsa_dx10_clamp 1
		.amdhsa_ieee_mode 1
		.amdhsa_fp16_overflow 0
		.amdhsa_workgroup_processor_mode 1
		.amdhsa_memory_ordered 1
		.amdhsa_forward_progress 0
		.amdhsa_shared_vgpr_count 0
		.amdhsa_exception_fp_ieee_invalid_op 0
		.amdhsa_exception_fp_denorm_src 0
		.amdhsa_exception_fp_ieee_div_zero 0
		.amdhsa_exception_fp_ieee_overflow 0
		.amdhsa_exception_fp_ieee_underflow 0
		.amdhsa_exception_fp_ieee_inexact 0
		.amdhsa_exception_int_div_zero 0
	.end_amdhsa_kernel
	.section	.text._Z39paged_attention_ll4mi_QKV_mfma16_kernelI14__hip_bfloat16hLN4vllm18Fp8KVCacheDataTypeE1EhLi16ELi64ELi256ELb1ELi3EL8MFMAType0EEvPKT_PKT0_S9_ifPKiSB_SB_iPKfiiiPfSE_PS4_PT2_iSD_SD_,"axG",@progbits,_Z39paged_attention_ll4mi_QKV_mfma16_kernelI14__hip_bfloat16hLN4vllm18Fp8KVCacheDataTypeE1EhLi16ELi64ELi256ELb1ELi3EL8MFMAType0EEvPKT_PKT0_S9_ifPKiSB_SB_iPKfiiiPfSE_PS4_PT2_iSD_SD_,comdat
.Lfunc_end1680:
	.size	_Z39paged_attention_ll4mi_QKV_mfma16_kernelI14__hip_bfloat16hLN4vllm18Fp8KVCacheDataTypeE1EhLi16ELi64ELi256ELb1ELi3EL8MFMAType0EEvPKT_PKT0_S9_ifPKiSB_SB_iPKfiiiPfSE_PS4_PT2_iSD_SD_, .Lfunc_end1680-_Z39paged_attention_ll4mi_QKV_mfma16_kernelI14__hip_bfloat16hLN4vllm18Fp8KVCacheDataTypeE1EhLi16ELi64ELi256ELb1ELi3EL8MFMAType0EEvPKT_PKT0_S9_ifPKiSB_SB_iPKfiiiPfSE_PS4_PT2_iSD_SD_
                                        ; -- End function
	.section	.AMDGPU.csdata,"",@progbits
; Kernel info:
; codeLenInByte = 8700
; NumSgprs: 42
; NumVgprs: 124
; ScratchSize: 0
; MemoryBound: 0
; FloatMode: 240
; IeeeMode: 1
; LDSByteSize: 17472 bytes/workgroup (compile time only)
; SGPRBlocks: 5
; VGPRBlocks: 15
; NumSGPRsForWavesPerEU: 42
; NumVGPRsForWavesPerEU: 124
; Occupancy: 10
; WaveLimiterHint : 1
; COMPUTE_PGM_RSRC2:SCRATCH_EN: 0
; COMPUTE_PGM_RSRC2:USER_SGPR: 13
; COMPUTE_PGM_RSRC2:TRAP_HANDLER: 0
; COMPUTE_PGM_RSRC2:TGID_X_EN: 1
; COMPUTE_PGM_RSRC2:TGID_Y_EN: 1
; COMPUTE_PGM_RSRC2:TGID_Z_EN: 1
; COMPUTE_PGM_RSRC2:TIDIG_COMP_CNT: 0
	.section	.text._Z39paged_attention_ll4mi_QKV_mfma16_kernelI14__hip_bfloat16hLN4vllm18Fp8KVCacheDataTypeE1EhLi16ELi64ELi256ELb1ELi4EL8MFMAType0EEvPKT_PKT0_S9_ifPKiSB_SB_iPKfiiiPfSE_PS4_PT2_iSD_SD_,"axG",@progbits,_Z39paged_attention_ll4mi_QKV_mfma16_kernelI14__hip_bfloat16hLN4vllm18Fp8KVCacheDataTypeE1EhLi16ELi64ELi256ELb1ELi4EL8MFMAType0EEvPKT_PKT0_S9_ifPKiSB_SB_iPKfiiiPfSE_PS4_PT2_iSD_SD_,comdat
	.protected	_Z39paged_attention_ll4mi_QKV_mfma16_kernelI14__hip_bfloat16hLN4vllm18Fp8KVCacheDataTypeE1EhLi16ELi64ELi256ELb1ELi4EL8MFMAType0EEvPKT_PKT0_S9_ifPKiSB_SB_iPKfiiiPfSE_PS4_PT2_iSD_SD_ ; -- Begin function _Z39paged_attention_ll4mi_QKV_mfma16_kernelI14__hip_bfloat16hLN4vllm18Fp8KVCacheDataTypeE1EhLi16ELi64ELi256ELb1ELi4EL8MFMAType0EEvPKT_PKT0_S9_ifPKiSB_SB_iPKfiiiPfSE_PS4_PT2_iSD_SD_
	.globl	_Z39paged_attention_ll4mi_QKV_mfma16_kernelI14__hip_bfloat16hLN4vllm18Fp8KVCacheDataTypeE1EhLi16ELi64ELi256ELb1ELi4EL8MFMAType0EEvPKT_PKT0_S9_ifPKiSB_SB_iPKfiiiPfSE_PS4_PT2_iSD_SD_
	.p2align	8
	.type	_Z39paged_attention_ll4mi_QKV_mfma16_kernelI14__hip_bfloat16hLN4vllm18Fp8KVCacheDataTypeE1EhLi16ELi64ELi256ELb1ELi4EL8MFMAType0EEvPKT_PKT0_S9_ifPKiSB_SB_iPKfiiiPfSE_PS4_PT2_iSD_SD_,@function
_Z39paged_attention_ll4mi_QKV_mfma16_kernelI14__hip_bfloat16hLN4vllm18Fp8KVCacheDataTypeE1EhLi16ELi64ELi256ELb1ELi4EL8MFMAType0EEvPKT_PKT0_S9_ifPKiSB_SB_iPKfiiiPfSE_PS4_PT2_iSD_SD_: ; @_Z39paged_attention_ll4mi_QKV_mfma16_kernelI14__hip_bfloat16hLN4vllm18Fp8KVCacheDataTypeE1EhLi16ELi64ELi256ELb1ELi4EL8MFMAType0EEvPKT_PKT0_S9_ifPKiSB_SB_iPKfiiiPfSE_PS4_PT2_iSD_SD_
; %bb.0:
	s_load_b64 s[2:3], s[0:1], 0x30
	s_mov_b32 s30, s13
	s_waitcnt lgkmcnt(0)
	s_cmp_lg_u64 s[2:3], 0
	s_cselect_b32 s8, -1, 0
	s_ashr_i32 s31, s13, 31
	s_cmp_eq_u64 s[2:3], 0
	s_cbranch_scc1 .LBB1681_3
; %bb.1:
	s_lshl_b64 s[4:5], s[30:31], 2
	s_delay_alu instid0(SALU_CYCLE_1) | instskip(SKIP_4) | instid1(SALU_CYCLE_1)
	s_add_u32 s4, s2, s4
	s_addc_u32 s5, s3, s5
	s_load_b64 s[4:5], s[4:5], 0x0
	s_waitcnt lgkmcnt(0)
	s_sub_i32 s4, s5, s4
	s_cmp_eq_u32 s4, 1
	s_cselect_b32 s4, -1, 0
	s_delay_alu instid0(SALU_CYCLE_1)
	s_and_not1_b32 vcc_lo, exec_lo, s4
	s_cbranch_vccz .LBB1681_4
.LBB1681_2:
	s_endpgm
.LBB1681_3:
.LBB1681_4:
	s_load_b64 s[4:5], s[0:1], 0x28
	s_lshl_b64 s[6:7], s[30:31], 2
	s_waitcnt lgkmcnt(0)
	s_add_u32 s4, s4, s6
	s_addc_u32 s5, s5, s7
	s_lshl_b32 s12, s14, 8
	s_load_b32 s24, s[4:5], 0x0
	s_waitcnt lgkmcnt(0)
	s_cmp_ge_i32 s12, s24
	s_cbranch_scc1 .LBB1681_2
; %bb.5:
	s_clause 0x1
	s_load_b128 s[20:23], s[0:1], 0x8
	s_load_b64 s[4:5], s[0:1], 0x20
	s_and_not1_b32 vcc_lo, exec_lo, s8
	s_cbranch_vccnz .LBB1681_7
; %bb.6:
	s_add_u32 s2, s2, s6
	s_addc_u32 s3, s3, s7
	s_load_b32 s3, s[2:3], 0x0
	s_branch .LBB1681_8
.LBB1681_7:
	s_mov_b32 s3, s30
.LBB1681_8:
	s_load_b128 s[16:19], s[0:1], 0x48
	v_and_b32_e32 v66, 15, v0
	v_cmp_gt_u32_e32 vcc_lo, 64, v0
	v_lshrrev_b32_e32 v65, 5, v0
	v_and_b32_e32 v67, 31, v0
	v_and_b32_e32 v74, 1, v0
	v_lshlrev_b32_e32 v1, 3, v66
	v_cmp_gt_u32_e64 s2, 8, v66
	v_bfe_u32 v75, v0, 4, 1
	s_lshl_b32 s31, s15, 2
	s_delay_alu instid0(VALU_DEP_3) | instskip(NEXT) | instid1(VALU_DEP_3)
	v_lshlrev_b32_e32 v73, 1, v1
	s_and_b32 s7, vcc_lo, s2
	s_delay_alu instid0(SALU_CYCLE_1)
	s_and_saveexec_b32 s6, s7
	s_cbranch_execz .LBB1681_10
; %bb.9:
	v_lshl_or_b32 v5, v65, 1, v75
	s_load_b64 s[8:9], s[0:1], 0x0
	s_waitcnt lgkmcnt(0)
	s_mul_hi_i32 s11, s3, s16
	s_mul_i32 s10, s3, s16
	v_lshlrev_b32_e32 v6, 10, v66
	v_or_b32_e32 v1, s31, v5
	s_lshl_b64 s[10:11], s[10:11], 1
	v_lshlrev_b32_e32 v5, 6, v5
	v_lshlrev_b32_e32 v7, 10, v74
	v_and_b32_e32 v6, 0x3800, v6
	v_lshlrev_b32_e32 v1, 6, v1
	s_delay_alu instid0(VALU_DEP_2) | instskip(NEXT) | instid1(VALU_DEP_2)
	v_or3_b32 v5, v6, v7, v5
	v_ashrrev_i32_e32 v2, 31, v1
	s_delay_alu instid0(VALU_DEP_1) | instskip(SKIP_2) | instid1(VALU_DEP_1)
	v_lshlrev_b64 v[1:2], 1, v[1:2]
	s_add_u32 s3, s8, s10
	s_addc_u32 s7, s9, s11
	v_add_co_u32 v1, vcc_lo, s3, v1
	s_delay_alu instid0(VALU_DEP_2) | instskip(NEXT) | instid1(VALU_DEP_2)
	v_add_co_ci_u32_e32 v2, vcc_lo, s7, v2, vcc_lo
	v_add_co_u32 v1, vcc_lo, v1, v73
	s_delay_alu instid0(VALU_DEP_2)
	v_add_co_ci_u32_e32 v2, vcc_lo, 0, v2, vcc_lo
	global_load_b128 v[1:4], v[1:2], off
	s_waitcnt vmcnt(0)
	ds_store_b128 v5, v[1:4]
.LBB1681_10:
	s_or_b32 exec_lo, exec_lo, s6
	v_and_b32_e32 v1, 0xef, v0
	s_waitcnt lgkmcnt(0)
	s_add_i32 s3, s24, 15
	s_clause 0x1
	s_load_b32 s6, s[0:1], 0x38
	s_load_b32 s19, s[0:1], 0x1c
	s_ashr_i32 s7, s3, 31
	v_add_nc_u32_e32 v1, s12, v1
	s_lshr_b32 s7, s7, 28
	s_waitcnt lgkmcnt(0)
	s_add_i32 s3, s3, s7
	s_barrier
	v_ashrrev_i32_e32 v2, 31, v1
	v_or_b32_e32 v3, 16, v1
	s_ashr_i32 s3, s3, 4
	v_cmp_gt_i32_e32 vcc_lo, s24, v1
	s_add_i32 s3, s3, -1
	v_lshrrev_b32_e32 v2, 28, v2
	buffer_gl0_inv
	s_mul_i32 s27, s15, s18
	v_add_nc_u32_e32 v4, v1, v2
	s_mul_i32 s6, s30, s6
	s_delay_alu instid0(SALU_CYCLE_1) | instskip(NEXT) | instid1(VALU_DEP_1)
	s_ashr_i32 s7, s6, 31
	v_ashrrev_i32_e32 v4, 4, v4
	v_add_nc_u32_e32 v2, v3, v2
	s_lshl_b64 s[6:7], s[6:7], 2
	s_delay_alu instid0(SALU_CYCLE_1) | instskip(NEXT) | instid1(VALU_DEP_2)
	s_add_u32 s26, s4, s6
	v_cndmask_b32_e32 v1, s3, v4, vcc_lo
	s_delay_alu instid0(VALU_DEP_2)
	v_ashrrev_i32_e32 v2, 4, v2
	v_cmp_gt_i32_e32 vcc_lo, s24, v3
	s_addc_u32 s25, s5, s7
	s_ashr_i32 s28, s27, 31
	s_add_u32 s13, s20, s27
	s_addc_u32 s15, s21, s28
	v_cndmask_b32_e32 v3, s3, v2, vcc_lo
	v_ashrrev_i32_e32 v2, 31, v1
	s_lshl_b32 s4, s14, 4
	s_delay_alu instid0(SALU_CYCLE_1) | instskip(NEXT) | instid1(VALU_DEP_2)
	s_ashr_i32 s5, s4, 31
	v_ashrrev_i32_e32 v4, 31, v3
	s_delay_alu instid0(VALU_DEP_2) | instskip(SKIP_1) | instid1(SALU_CYCLE_1)
	v_lshlrev_b64 v[1:2], 2, v[1:2]
	s_lshl_b64 s[4:5], s[4:5], 2
	s_add_u32 s4, s26, s4
	s_delay_alu instid0(VALU_DEP_2) | instskip(SKIP_1) | instid1(VALU_DEP_2)
	v_lshlrev_b64 v[3:4], 2, v[3:4]
	s_addc_u32 s5, s25, s5
	v_add_co_u32 v1, vcc_lo, s26, v1
	v_add_co_ci_u32_e32 v2, vcc_lo, s25, v2, vcc_lo
	s_delay_alu instid0(VALU_DEP_3) | instskip(NEXT) | instid1(VALU_DEP_4)
	v_add_co_u32 v3, vcc_lo, s26, v3
	v_add_co_ci_u32_e32 v4, vcc_lo, s25, v4, vcc_lo
	s_clause 0x1
	global_load_b32 v5, v[1:2], off
	global_load_b32 v7, v[3:4], off
	s_or_b32 s6, s12, 32
	v_lshlrev_b32_e32 v1, 4, v0
	s_ashr_i32 s7, s6, 4
	s_cmp_lt_i32 s6, s24
	s_cselect_b32 s6, s7, s3
	s_delay_alu instid0(VALU_DEP_1) | instskip(SKIP_1) | instid1(SALU_CYCLE_1)
	v_and_b32_e32 v1, 0xf0, v1
	s_ashr_i32 s7, s6, 31
	s_lshl_b64 s[6:7], s[6:7], 2
	s_delay_alu instid0(SALU_CYCLE_1)
	s_add_u32 s6, s26, s6
	s_addc_u32 s7, s25, s7
	s_or_b32 s8, s12, 64
	v_add_co_u32 v1, s13, s13, v1
	s_ashr_i32 s9, s8, 4
	s_cmp_lt_i32 s8, s24
	v_add_co_ci_u32_e64 v2, null, s15, 0, s13
	s_cselect_b32 s8, s9, s3
	s_delay_alu instid0(SALU_CYCLE_1) | instskip(NEXT) | instid1(SALU_CYCLE_1)
	s_ashr_i32 s9, s8, 31
	s_lshl_b64 s[8:9], s[8:9], 2
	s_delay_alu instid0(SALU_CYCLE_1) | instskip(SKIP_2) | instid1(SALU_CYCLE_1)
	s_add_u32 s8, s26, s8
	s_addc_u32 s9, s25, s9
	s_or_b32 s10, s12, 0x60
	s_ashr_i32 s11, s10, 4
	s_cmp_lt_i32 s10, s24
	s_cselect_b32 s10, s11, s3
	s_delay_alu instid0(SALU_CYCLE_1) | instskip(NEXT) | instid1(SALU_CYCLE_1)
	s_ashr_i32 s11, s10, 31
	s_lshl_b64 s[10:11], s[10:11], 2
	s_delay_alu instid0(SALU_CYCLE_1) | instskip(SKIP_2) | instid1(SALU_CYCLE_1)
	s_add_u32 s10, s26, s10
	s_addc_u32 s11, s25, s11
	s_or_b32 s16, s12, 0x80
	s_ashr_i32 s18, s16, 4
	s_cmp_lt_i32 s16, s24
	;; [unrolled: 10-line block ×3, first 2 shown]
	s_cselect_b32 s20, s18, s3
	s_delay_alu instid0(SALU_CYCLE_1) | instskip(NEXT) | instid1(SALU_CYCLE_1)
	s_ashr_i32 s21, s20, 31
	s_lshl_b64 s[20:21], s[20:21], 2
	s_delay_alu instid0(SALU_CYCLE_1)
	s_add_u32 s36, s26, s20
	s_addc_u32 s37, s25, s21
	s_clause 0x5
	s_load_b32 s21, s[4:5], 0x0
	s_load_b32 s13, s[6:7], 0x0
	s_load_b32 s15, s[8:9], 0x0
	s_load_b32 s16, s[10:11], 0x0
	s_load_b32 s18, s[34:35], 0x0
	s_load_b32 s20, s[36:37], 0x0
	s_or_b32 s7, s12, 0xc0
	s_mov_b32 s4, 0
	s_ashr_i32 s8, s7, 4
	s_cmp_lt_i32 s7, s24
	s_mov_b32 s5, s4
	s_cselect_b32 s10, s8, s3
	s_mov_b32 s6, s4
	s_ashr_i32 s11, s10, 31
	s_mov_b32 s7, s4
	s_lshl_b64 s[34:35], s[10:11], 2
	s_mov_b32 s11, s4
	s_add_u32 s34, s26, s34
	s_addc_u32 s35, s25, s35
	s_or_b32 s29, s12, 0xe0
	s_mov_b32 s8, s4
	s_ashr_i32 s33, s29, 4
	s_mov_b32 s9, s4
	s_mov_b32 s10, s4
	s_cmp_lt_i32 s29, s24
	v_dual_mov_b32 v107, s11 :: v_dual_mov_b32 v100, s4
	v_mov_b32_e32 v106, s10
	v_dual_mov_b32 v104, s8 :: v_dual_mov_b32 v103, s7
	v_dual_mov_b32 v102, s6 :: v_dual_mov_b32 v101, s5
	v_mov_b32_e32 v105, s9
	s_cselect_b32 s4, s33, s3
	s_delay_alu instid0(SALU_CYCLE_1) | instskip(NEXT) | instid1(SALU_CYCLE_1)
	s_ashr_i32 s5, s4, 31
	s_lshl_b64 s[4:5], s[4:5], 2
	s_delay_alu instid0(SALU_CYCLE_1)
	s_add_u32 s4, s26, s4
	s_addc_u32 s5, s25, s5
	s_add_u32 s6, s22, s27
	s_addc_u32 s7, s23, s28
	s_waitcnt vmcnt(1)
	v_mad_i64_i32 v[3:4], null, v5, s17, v[1:2]
	s_waitcnt vmcnt(0)
	v_mad_i64_i32 v[5:6], null, v7, s17, v[1:2]
	s_clause 0x7
	global_load_b128 v[49:52], v[3:4], off
	global_load_b128 v[53:56], v[3:4], off offset:256
	global_load_b128 v[76:79], v[5:6], off
	global_load_b128 v[80:83], v[5:6], off offset:256
	global_load_b128 v[84:87], v[3:4], off offset:512
	;; [unrolled: 1-line block ×5, first 2 shown]
	v_and_b32_e32 v1, 3, v0
	v_lshlrev_b32_e32 v2, 4, v66
	s_load_b32 s3, s[34:35], 0x0
	s_delay_alu instid0(VALU_DEP_2) | instskip(NEXT) | instid1(VALU_DEP_2)
	v_lshlrev_b32_e32 v70, 6, v1
	v_lshl_or_b32 v1, v65, 8, v2
	ds_load_b128 v[108:111], v70
	ds_load_b128 v[112:115], v70 offset:1024
	s_load_b32 s4, s[4:5], 0x0
	v_add_co_u32 v9, s6, s6, v1
	s_delay_alu instid0(VALU_DEP_1) | instskip(SKIP_1) | instid1(VALU_DEP_1)
	v_add_co_ci_u32_e64 v10, null, s7, 0, s6
	s_waitcnt lgkmcnt(0)
	v_mad_i64_i32 v[1:2], null, s21, s17, v[9:10]
	v_mad_i64_i32 v[3:4], null, s13, s17, v[9:10]
	;; [unrolled: 1-line block ×7, first 2 shown]
	s_clause 0x9
	global_load_b128 v[57:60], v[1:2], off
	global_load_b128 v[61:64], v[1:2], off offset:16
	global_load_b128 v[41:44], v[3:4], off
	global_load_b128 v[45:48], v[3:4], off offset:16
	;; [unrolled: 2-line block ×5, first 2 shown]
	v_mad_i64_i32 v[68:69], null, s4, s17, v[9:10]
	s_clause 0x3
	global_load_b128 v[9:12], v[13:14], off
	global_load_b128 v[13:16], v[13:14], off offset:16
	global_load_b128 v[17:20], v[21:22], off
	global_load_b128 v[21:24], v[21:22], off offset:16
	s_waitcnt vmcnt(20)
	v_wmma_f32_16x16x16_bf16 v[116:123], v[49:56], v[108:115], v[100:107]
	s_clause 0x1
	global_load_b128 v[49:52], v[68:69], off
	global_load_b128 v[53:56], v[68:69], off offset:16
	v_and_b32_e32 v68, 0xe0, v0
	v_mbcnt_lo_u32_b32 v69, -1, 0
	s_delay_alu instid0(VALU_DEP_2)
	v_add_nc_u32_e32 v68, s12, v68
	s_waitcnt vmcnt(20)
	v_wmma_f32_16x16x16_bf16 v[100:107], v[76:83], v[108:115], v[100:107]
	ds_load_b128 v[76:79], v70 offset:2048
	ds_load_b128 v[80:83], v70 offset:3072
	v_xor_b32_e32 v70, 16, v69
	s_waitcnt vmcnt(0) lgkmcnt(0)
	v_or_b32_e32 v68, v68, v75
	s_barrier
	buffer_gl0_inv
	v_cmp_gt_i32_e32 vcc_lo, 32, v70
	v_or_b32_e32 v71, 4, v68
	v_or_b32_e32 v72, 6, v68
	v_cmp_gt_i32_e64 s3, s24, v68
	v_or_b32_e32 v108, 8, v68
	v_or_b32_e32 v109, 10, v68
	v_cmp_gt_i32_e64 s4, s24, v71
	v_cmp_gt_i32_e64 s5, s24, v72
	s_delay_alu instid0(VALU_DEP_4) | instskip(NEXT) | instid1(VALU_DEP_4)
	v_cmp_gt_i32_e64 s6, s24, v108
	v_cmp_gt_i32_e64 s7, s24, v109
	v_wmma_f32_16x16x16_bf16 v[116:123], v[84:91], v[76:83], v[116:123]
	v_cndmask_b32_e32 v69, v69, v70, vcc_lo
	v_or_b32_e32 v70, 2, v68
	v_wmma_f32_16x16x16_bf16 v[100:107], v[92:99], v[76:83], v[100:107]
	v_or_b32_e32 v89, 22, v68
	v_dual_mul_f32 v80, s19, v121 :: v_dual_mul_f32 v81, s19, v120
	v_dual_mul_f32 v92, s19, v117 :: v_dual_mul_f32 v93, s19, v116
	s_delay_alu instid0(VALU_DEP_4)
	v_mul_f32_e32 v96, s19, v105
	v_cmp_gt_i32_e32 vcc_lo, s24, v70
	v_dual_mul_f32 v79, s19, v122 :: v_dual_mul_f32 v82, s19, v119
	v_dual_mul_f32 v83, s19, v118 :: v_dual_mul_f32 v94, s19, v107
	v_cndmask_b32_e64 v93, 0xff7fffff, v93, s3
	v_cndmask_b32_e32 v92, 0xff7fffff, v92, vcc_lo
	v_or_b32_e32 v84, 12, v68
	v_or_b32_e32 v85, 14, v68
	v_cndmask_b32_e64 v71, 0xff7fffff, v83, s4
	v_cndmask_b32_e64 v72, 0xff7fffff, v82, s5
	v_cmp_gt_i32_e64 s13, s24, v89
	v_lshlrev_b32_e32 v89, 2, v69
	v_max3_f32 v82, v93, 0xff7fffff, v92
	v_or_b32_e32 v86, 16, v68
	v_or_b32_e32 v87, 18, v68
	v_mul_f32_e32 v78, s19, v123
	v_cndmask_b32_e64 v81, 0xff7fffff, v81, s6
	v_cndmask_b32_e64 v80, 0xff7fffff, v80, s7
	v_max3_f32 v71, v82, v71, v72
	v_cmp_gt_i32_e64 s8, s24, v84
	v_cmp_gt_i32_e64 s9, s24, v85
	v_or_b32_e32 v88, 20, v68
	v_or_b32_e32 v90, 24, v68
	v_or_b32_e32 v91, 26, v68
	v_or_b32_e32 v76, 28, v68
	v_or_b32_e32 v77, 30, v68
	v_dual_mul_f32 v97, s19, v104 :: v_dual_mul_f32 v70, s19, v101
	v_dual_mul_f32 v99, s19, v102 :: v_dual_mul_f32 v68, s19, v100
	v_cndmask_b32_e64 v72, 0xff7fffff, v79, s8
	v_cndmask_b32_e64 v78, 0xff7fffff, v78, s9
	v_max3_f32 v71, v71, v81, v80
	v_cmp_gt_i32_e64 s10, s24, v86
	v_cmp_gt_i32_e64 s11, s24, v87
	v_dual_mul_f32 v95, s19, v106 :: v_dual_mul_f32 v98, s19, v103
	s_delay_alu instid0(VALU_DEP_4) | instskip(NEXT) | instid1(VALU_DEP_4)
	v_max3_f32 v71, v71, v72, v78
	v_cndmask_b32_e64 v68, 0xff7fffff, v68, s10
	s_delay_alu instid0(VALU_DEP_4)
	v_cndmask_b32_e64 v70, 0xff7fffff, v70, s11
	v_cmp_gt_i32_e64 s12, s24, v88
	v_cndmask_b32_e64 v78, 0xff7fffff, v98, s13
	v_cmp_gt_i32_e64 s15, s24, v90
	v_cmp_gt_i32_e64 s16, s24, v91
	v_max3_f32 v68, v71, v68, v70
	v_cndmask_b32_e64 v72, 0xff7fffff, v99, s12
	v_cmp_gt_i32_e64 s17, s24, v76
	v_cndmask_b32_e64 v70, 0xff7fffff, v97, s15
	v_cndmask_b32_e64 v71, 0xff7fffff, v96, s16
	v_cmp_gt_i32_e64 s18, s24, v77
	v_max3_f32 v68, v68, v72, v78
	v_cndmask_b32_e64 v72, 0xff7fffff, v95, s17
	s_delay_alu instid0(VALU_DEP_3) | instskip(NEXT) | instid1(VALU_DEP_3)
	v_cndmask_b32_e64 v76, 0xff7fffff, v94, s18
	v_max3_f32 v68, v68, v70, v71
	s_delay_alu instid0(VALU_DEP_1) | instskip(SKIP_3) | instid1(VALU_DEP_1)
	v_max3_f32 v68, v68, v72, v76
	ds_bpermute_b32 v69, v89, v68
	s_waitcnt lgkmcnt(0)
	v_max_f32_e32 v69, v69, v69
	v_max_f32_e32 v68, v68, v69
	s_delay_alu instid0(VALU_DEP_1) | instskip(NEXT) | instid1(VALU_DEP_1)
	v_fma_f32 v71, s19, v118, -v68
	v_mul_f32_e32 v71, 0x3fb8aa3b, v71
	v_fma_f32 v70, s19, v117, -v68
	v_fma_f32 v69, s19, v116, -v68
	;; [unrolled: 1-line block ×5, first 2 shown]
	s_delay_alu instid0(VALU_DEP_4) | instskip(SKIP_1) | instid1(VALU_DEP_3)
	v_dual_mul_f32 v70, 0x3fb8aa3b, v70 :: v_dual_mul_f32 v69, 0x3fb8aa3b, v69
	v_exp_f32_e32 v71, v71
	v_mul_f32_e32 v72, 0x3fb8aa3b, v72
	v_fma_f32 v81, s19, v105, -v68
	s_delay_alu instid0(VALU_DEP_3)
	v_exp_f32_e32 v70, v70
	v_mul_f32_e32 v77, 0x3fb8aa3b, v76
	v_exp_f32_e32 v69, v69
	v_exp_f32_e32 v72, v72
	v_mul_f32_e32 v81, 0x3fb8aa3b, v81
	v_cndmask_b32_e64 v83, 0, v71, s4
	v_fma_f32 v71, s19, v123, -v68
	s_delay_alu instid0(VALU_DEP_3) | instskip(SKIP_4) | instid1(TRANS32_DEP_3)
	v_exp_f32_e32 v81, v81
	v_cndmask_b32_e32 v76, 0, v70, vcc_lo
	v_exp_f32_e32 v77, v77
	v_cndmask_b32_e64 v80, 0, v69, s3
	v_fma_f32 v69, s19, v121, -v68
	v_cndmask_b32_e64 v85, 0, v72, s5
	v_mul_f32_e32 v71, 0x3fb8aa3b, v71
	v_fma_f32 v72, s19, v100, -v68
	s_delay_alu instid0(VALU_DEP_4) | instskip(SKIP_1) | instid1(VALU_DEP_3)
	v_dual_add_f32 v70, 0, v80 :: v_dual_mul_f32 v69, 0x3fb8aa3b, v69
	s_mov_b32 s3, exec_lo
	v_exp_f32_e32 v71, v71
	s_delay_alu instid0(TRANS32_DEP_2) | instskip(SKIP_4) | instid1(VALU_DEP_3)
	v_cndmask_b32_e64 v86, 0, v77, s6
	v_fma_f32 v77, s19, v101, -v68
	v_mul_f32_e32 v78, 0x3fb8aa3b, v78
	v_add_f32_e32 v70, v70, v76
	v_exp_f32_e32 v69, v69
	v_mul_f32_e32 v77, 0x3fb8aa3b, v77
	s_delay_alu instid0(VALU_DEP_3) | instskip(NEXT) | instid1(TRANS32_DEP_3)
	v_exp_f32_e32 v78, v78
	v_cndmask_b32_e64 v88, 0, v71, s9
	v_fma_f32 v71, s19, v104, -v68
	s_delay_alu instid0(VALU_DEP_3) | instskip(NEXT) | instid1(TRANS32_DEP_3)
	v_exp_f32_e32 v77, v77
	v_cndmask_b32_e64 v87, 0, v69, s7
	s_delay_alu instid0(VALU_DEP_2)
	v_mul_f32_e32 v71, 0x3fb8aa3b, v71
	s_waitcnt_depctr 0xfff
	v_cndmask_b32_e64 v84, 0, v78, s8
	v_add_f32_e32 v70, v70, v83
	v_fma_f32 v78, s19, v103, -v68
	v_exp_f32_e32 v82, v71
	s_delay_alu instid0(VALU_DEP_2) | instskip(SKIP_1) | instid1(VALU_DEP_3)
	v_add_f32_e32 v70, v70, v85
	v_mul_f32_e32 v72, 0x3fb8aa3b, v72
	v_mul_f32_e32 v78, 0x3fb8aa3b, v78
	s_delay_alu instid0(VALU_DEP_3) | instskip(SKIP_1) | instid1(VALU_DEP_4)
	v_add_f32_e32 v69, v70, v86
	v_fma_f32 v70, s19, v102, -v68
	v_exp_f32_e32 v72, v72
	s_delay_alu instid0(VALU_DEP_3) | instskip(NEXT) | instid1(VALU_DEP_1)
	v_exp_f32_e32 v78, v78
	v_dual_add_f32 v69, v69, v87 :: v_dual_mul_f32 v70, 0x3fb8aa3b, v70
	s_delay_alu instid0(VALU_DEP_1) | instskip(NEXT) | instid1(VALU_DEP_2)
	v_add_f32_e32 v69, v69, v84
	v_exp_f32_e32 v79, v70
	s_delay_alu instid0(TRANS32_DEP_3) | instskip(NEXT) | instid1(VALU_DEP_2)
	v_cndmask_b32_e64 v70, 0, v72, s10
	v_add_f32_e32 v72, v69, v88
	v_cndmask_b32_e64 v69, 0, v77, s11
	v_fma_f32 v77, s19, v106, -v68
	s_waitcnt_depctr 0xfff
	v_cndmask_b32_e64 v71, 0, v79, s12
	v_dual_mul_f32 v77, 0x3fb8aa3b, v77 :: v_dual_add_f32 v72, v72, v70
	s_delay_alu instid0(VALU_DEP_1) | instskip(NEXT) | instid1(VALU_DEP_1)
	v_exp_f32_e32 v90, v77
	v_add_f32_e32 v79, v72, v69
	v_cndmask_b32_e64 v72, 0, v78, s13
	v_cndmask_b32_e64 v77, 0, v82, s15
	s_delay_alu instid0(VALU_DEP_3) | instskip(SKIP_1) | instid1(VALU_DEP_1)
	v_add_f32_e32 v78, v79, v71
	v_fma_f32 v79, s19, v107, -v68
	v_dual_add_f32 v82, v78, v72 :: v_dual_mul_f32 v79, 0x3fb8aa3b, v79
	v_cndmask_b32_e64 v78, 0, v81, s16
	s_delay_alu instid0(VALU_DEP_2) | instskip(NEXT) | instid1(VALU_DEP_3)
	v_add_f32_e32 v81, v82, v77
	v_exp_f32_e32 v82, v79
	v_cndmask_b32_e64 v79, 0, v90, s17
	s_delay_alu instid0(VALU_DEP_2) | instskip(NEXT) | instid1(VALU_DEP_1)
	v_add_f32_e32 v81, v81, v78
	v_add_f32_e32 v90, v81, v79
	s_waitcnt_depctr 0xfff
	v_cndmask_b32_e64 v81, 0, v82, s18
	s_delay_alu instid0(VALU_DEP_1)
	v_add_f32_e32 v82, v90, v81
	ds_bpermute_b32 v89, v89, v82
	v_cmpx_gt_u32_e32 16, v67
	s_cbranch_execz .LBB1681_12
; %bb.11:
	v_mul_u32_u24_e32 v67, 0x44, v65
	s_delay_alu instid0(VALU_DEP_1) | instskip(SKIP_1) | instid1(VALU_DEP_1)
	v_lshl_add_u32 v67, v66, 2, v67
	s_waitcnt lgkmcnt(0)
	v_dual_add_f32 v82, v82, v89 :: v_dual_add_nc_u32 v67, 0x4000, v67
	ds_store_2addr_b32 v67, v68, v82 offset1:136
.LBB1681_12:
	s_or_b32 exec_lo, exec_lo, s3
	v_lshlrev_b32_e32 v67, 2, v66
	s_waitcnt lgkmcnt(0)
	s_barrier
	buffer_gl0_inv
	v_cmp_eq_u32_e32 vcc_lo, 1, v65
	v_add_nc_u32_e32 v82, 0x4000, v67
	v_cmp_eq_u32_e64 s3, 2, v65
	v_cmp_eq_u32_e64 s5, 7, v65
	ds_load_2addr_b32 v[89:90], v82 offset1:17
	ds_load_2addr_b32 v[91:92], v82 offset0:34 offset1:51
	ds_load_2addr_b32 v[93:94], v82 offset0:68 offset1:85
	;; [unrolled: 1-line block ×4, first 2 shown]
	s_waitcnt lgkmcnt(4)
	v_max3_f32 v67, v89, 0xff7fffff, v90
	s_waitcnt lgkmcnt(3)
	s_delay_alu instid0(VALU_DEP_1) | instskip(SKIP_1) | instid1(VALU_DEP_1)
	v_max3_f32 v67, v67, v91, v92
	s_waitcnt lgkmcnt(2)
	v_max3_f32 v67, v67, v93, v94
	s_waitcnt lgkmcnt(1)
	s_delay_alu instid0(VALU_DEP_1) | instskip(NEXT) | instid1(VALU_DEP_1)
	v_max3_f32 v67, v67, v95, v96
	v_sub_f32_e32 v93, v93, v67
	s_delay_alu instid0(VALU_DEP_1) | instskip(NEXT) | instid1(VALU_DEP_1)
	v_dual_sub_f32 v68, v89, v67 :: v_dual_mul_f32 v103, 0x3fb8aa3b, v93
	v_mul_f32_e32 v68, 0x3fb8aa3b, v68
	s_delay_alu instid0(VALU_DEP_1)
	v_exp_f32_e32 v100, v68
	v_sub_f32_e32 v68, v92, v67
	v_sub_f32_e32 v99, v90, v67
	ds_load_2addr_b32 v[89:90], v82 offset0:170 offset1:187
	v_dual_mul_f32 v102, 0x3fb8aa3b, v68 :: v_dual_mul_f32 v99, 0x3fb8aa3b, v99
	s_waitcnt lgkmcnt(1)
	v_fma_f32 v68, v100, v97, 0
	s_delay_alu instid0(VALU_DEP_2) | instskip(NEXT) | instid1(VALU_DEP_2)
	v_exp_f32_e32 v102, v102
	v_exp_f32_e32 v99, v99
	s_waitcnt_depctr 0xfff
	v_fmac_f32_e32 v68, v99, v98
	v_sub_f32_e32 v91, v91, v67
	s_delay_alu instid0(VALU_DEP_1)
	v_mul_f32_e32 v101, 0x3fb8aa3b, v91
	ds_load_2addr_b32 v[91:92], v82 offset0:204 offset1:221
	v_sub_f32_e32 v97, v94, v67
	ds_load_2addr_b32 v[93:94], v82 offset0:238 offset1:255
	s_waitcnt lgkmcnt(0)
	v_exp_f32_e32 v101, v101
	s_barrier
	buffer_gl0_inv
	v_dual_fmac_f32 v68, v101, v89 :: v_dual_sub_f32 v89, v96, v67
	v_dual_sub_f32 v82, v95, v67 :: v_dual_mul_f32 v95, 0x3fb8aa3b, v97
	v_exp_f32_e32 v97, v103
	s_delay_alu instid0(VALU_DEP_2) | instskip(NEXT) | instid1(VALU_DEP_2)
	v_dual_fmac_f32 v68, v102, v90 :: v_dual_mul_f32 v89, 0x3fb8aa3b, v89
	v_mul_f32_e32 v82, 0x3fb8aa3b, v82
	s_delay_alu instid0(VALU_DEP_3) | instskip(NEXT) | instid1(VALU_DEP_2)
	v_exp_f32_e32 v95, v95
	v_exp_f32_e32 v89, v89
	s_delay_alu instid0(VALU_DEP_1)
	v_exp_f32_e32 v82, v82
	v_fmac_f32_e32 v68, v97, v91
	s_delay_alu instid0(TRANS32_DEP_3) | instid1(VALU_DEP_1)
	v_fmac_f32_e32 v68, v95, v92
	s_waitcnt_depctr 0xfff
	v_fmac_f32_e32 v68, v82, v93
	s_delay_alu instid0(VALU_DEP_1) | instskip(NEXT) | instid1(VALU_DEP_1)
	v_fmac_f32_e32 v68, v89, v94
	v_add_f32_e32 v90, 0x358637bd, v68
	s_delay_alu instid0(VALU_DEP_1) | instskip(NEXT) | instid1(VALU_DEP_1)
	v_div_scale_f32 v91, null, v90, v90, 1.0
	v_rcp_f32_e32 v92, v91
	s_waitcnt_depctr 0xfff
	v_fma_f32 v93, -v91, v92, 1.0
	s_delay_alu instid0(VALU_DEP_1) | instskip(SKIP_1) | instid1(VALU_DEP_2)
	v_dual_fmac_f32 v92, v93, v92 :: v_dual_cndmask_b32 v93, v100, v99
	v_cmp_eq_u32_e32 vcc_lo, 3, v65
	v_cndmask_b32_e64 v93, v93, v101, s3
	v_cmp_eq_u32_e64 s3, 4, v65
	s_delay_alu instid0(VALU_DEP_2) | instskip(SKIP_1) | instid1(VALU_DEP_2)
	v_cndmask_b32_e32 v93, v93, v102, vcc_lo
	v_cmp_eq_u32_e32 vcc_lo, 5, v65
	v_cndmask_b32_e64 v93, v93, v97, s3
	v_cmp_eq_u32_e64 s3, 6, v65
	s_delay_alu instid0(VALU_DEP_2) | instskip(SKIP_1) | instid1(VALU_DEP_1)
	v_cndmask_b32_e32 v93, v93, v95, vcc_lo
	v_div_scale_f32 v94, s4, 1.0, v90, 1.0
	s_mov_b32 vcc_lo, s4
	s_delay_alu instid0(VALU_DEP_2) | instskip(NEXT) | instid1(VALU_DEP_2)
	v_cndmask_b32_e64 v82, v93, v82, s3
	v_mul_f32_e32 v96, v94, v92
	s_mov_b32 s3, exec_lo
	s_delay_alu instid0(VALU_DEP_2) | instskip(NEXT) | instid1(VALU_DEP_2)
	v_cndmask_b32_e64 v82, v82, v89, s5
	v_fma_f32 v98, -v91, v96, v94
	s_delay_alu instid0(VALU_DEP_1) | instskip(NEXT) | instid1(VALU_DEP_1)
	v_fmac_f32_e32 v96, v98, v92
	v_fma_f32 v91, -v91, v96, v94
	s_delay_alu instid0(VALU_DEP_1) | instskip(NEXT) | instid1(VALU_DEP_1)
	v_div_fmas_f32 v91, v91, v92, v96
	v_div_fixup_f32 v90, v91, v90, 1.0
	s_delay_alu instid0(VALU_DEP_1) | instskip(NEXT) | instid1(VALU_DEP_1)
	v_mul_f32_e32 v82, v82, v90
	v_mul_f32_e32 v87, v82, v87
	;; [unrolled: 1-line block ×7, first 2 shown]
	v_dual_mul_f32 v86, v82, v83 :: v_dual_and_b32 v91, 0x7f800000, v90
	v_mul_f32_e32 v85, v82, v76
                                        ; implicit-def: $vgpr76
	s_delay_alu instid0(VALU_DEP_2)
	v_cmpx_ne_u32_e32 0x7f800000, v91
	s_xor_b32 s3, exec_lo, s3
; %bb.13:
	v_bfe_u32 v76, v90, 16, 1
	s_delay_alu instid0(VALU_DEP_1)
	v_add3_u32 v76, v90, v76, 0x7fff
                                        ; implicit-def: $vgpr90
; %bb.14:
	s_and_not1_saveexec_b32 s3, s3
; %bb.15:
	v_and_b32_e32 v76, 0xffff, v90
	v_or_b32_e32 v83, 0x10000, v90
	s_delay_alu instid0(VALU_DEP_2) | instskip(NEXT) | instid1(VALU_DEP_2)
	v_cmp_eq_u32_e32 vcc_lo, 0, v76
	v_cndmask_b32_e32 v76, v83, v90, vcc_lo
; %bb.16:
	s_or_b32 exec_lo, exec_lo, s3
	v_and_b32_e32 v83, 0x7f800000, v85
	s_delay_alu instid0(VALU_DEP_1) | instskip(SKIP_1) | instid1(SALU_CYCLE_1)
	v_cmp_ne_u32_e32 vcc_lo, 0x7f800000, v83
                                        ; implicit-def: $vgpr83
	s_and_saveexec_b32 s3, vcc_lo
	s_xor_b32 s3, exec_lo, s3
; %bb.17:
	v_bfe_u32 v83, v85, 16, 1
	s_delay_alu instid0(VALU_DEP_1)
	v_add3_u32 v83, v85, v83, 0x7fff
                                        ; implicit-def: $vgpr85
; %bb.18:
	s_and_not1_saveexec_b32 s3, s3
; %bb.19:
	v_and_b32_e32 v83, 0xffff, v85
	v_or_b32_e32 v90, 0x10000, v85
	s_delay_alu instid0(VALU_DEP_2) | instskip(NEXT) | instid1(VALU_DEP_2)
	v_cmp_eq_u32_e32 vcc_lo, 0, v83
	v_cndmask_b32_e32 v83, v90, v85, vcc_lo
; %bb.20:
	s_or_b32 exec_lo, exec_lo, s3
	v_and_b32_e32 v85, 0x7f800000, v86
	s_delay_alu instid0(VALU_DEP_1) | instskip(SKIP_1) | instid1(SALU_CYCLE_1)
	v_cmp_ne_u32_e32 vcc_lo, 0x7f800000, v85
                                        ; implicit-def: $vgpr85
	s_and_saveexec_b32 s3, vcc_lo
	s_xor_b32 s3, exec_lo, s3
; %bb.21:
	v_bfe_u32 v85, v86, 16, 1
	s_delay_alu instid0(VALU_DEP_1)
	v_add3_u32 v85, v86, v85, 0x7fff
                                        ; implicit-def: $vgpr86
; %bb.22:
	s_and_not1_saveexec_b32 s3, s3
; %bb.23:
	v_and_b32_e32 v85, 0xffff, v86
	v_or_b32_e32 v90, 0x10000, v86
	s_delay_alu instid0(VALU_DEP_2) | instskip(NEXT) | instid1(VALU_DEP_2)
	v_cmp_eq_u32_e32 vcc_lo, 0, v85
	v_cndmask_b32_e32 v85, v90, v86, vcc_lo
; %bb.24:
	s_or_b32 exec_lo, exec_lo, s3
	v_and_b32_e32 v86, 0x7f800000, v89
	s_delay_alu instid0(VALU_DEP_1) | instskip(SKIP_1) | instid1(SALU_CYCLE_1)
	v_cmp_ne_u32_e32 vcc_lo, 0x7f800000, v86
                                        ; implicit-def: $vgpr86
	s_and_saveexec_b32 s3, vcc_lo
	s_xor_b32 s3, exec_lo, s3
; %bb.25:
	v_bfe_u32 v86, v89, 16, 1
	s_delay_alu instid0(VALU_DEP_1)
	v_add3_u32 v86, v89, v86, 0x7fff
                                        ; implicit-def: $vgpr89
; %bb.26:
	s_and_not1_saveexec_b32 s3, s3
; %bb.27:
	v_and_b32_e32 v86, 0xffff, v89
	v_or_b32_e32 v90, 0x10000, v89
	s_delay_alu instid0(VALU_DEP_2) | instskip(NEXT) | instid1(VALU_DEP_2)
	v_cmp_eq_u32_e32 vcc_lo, 0, v86
	v_cndmask_b32_e32 v86, v90, v89, vcc_lo
; %bb.28:
	s_or_b32 exec_lo, exec_lo, s3
	v_and_b32_e32 v89, 0x7f800000, v88
	s_delay_alu instid0(VALU_DEP_1) | instskip(SKIP_1) | instid1(SALU_CYCLE_1)
	v_cmp_ne_u32_e32 vcc_lo, 0x7f800000, v89
                                        ; implicit-def: $vgpr89
	s_and_saveexec_b32 s3, vcc_lo
	s_xor_b32 s3, exec_lo, s3
; %bb.29:
	v_bfe_u32 v89, v88, 16, 1
	s_delay_alu instid0(VALU_DEP_1)
	v_add3_u32 v89, v88, v89, 0x7fff
                                        ; implicit-def: $vgpr88
; %bb.30:
	s_and_not1_saveexec_b32 s3, s3
; %bb.31:
	v_and_b32_e32 v89, 0xffff, v88
	v_or_b32_e32 v90, 0x10000, v88
	s_delay_alu instid0(VALU_DEP_2) | instskip(NEXT) | instid1(VALU_DEP_2)
	v_cmp_eq_u32_e32 vcc_lo, 0, v89
	v_cndmask_b32_e32 v89, v90, v88, vcc_lo
; %bb.32:
	s_or_b32 exec_lo, exec_lo, s3
	v_and_b32_e32 v88, 0x7f800000, v87
	s_delay_alu instid0(VALU_DEP_1) | instskip(SKIP_1) | instid1(SALU_CYCLE_1)
	v_cmp_ne_u32_e32 vcc_lo, 0x7f800000, v88
                                        ; implicit-def: $vgpr88
	s_and_saveexec_b32 s3, vcc_lo
	s_xor_b32 s3, exec_lo, s3
; %bb.33:
	v_bfe_u32 v88, v87, 16, 1
	s_delay_alu instid0(VALU_DEP_1)
	v_add3_u32 v88, v87, v88, 0x7fff
                                        ; implicit-def: $vgpr87
; %bb.34:
	s_and_not1_saveexec_b32 s3, s3
; %bb.35:
	v_and_b32_e32 v88, 0xffff, v87
	v_or_b32_e32 v90, 0x10000, v87
	s_delay_alu instid0(VALU_DEP_2) | instskip(NEXT) | instid1(VALU_DEP_2)
	v_cmp_eq_u32_e32 vcc_lo, 0, v88
	v_cndmask_b32_e32 v88, v90, v87, vcc_lo
; %bb.36:
	s_or_b32 exec_lo, exec_lo, s3
	v_and_b32_e32 v87, 0x7f800000, v84
	s_delay_alu instid0(VALU_DEP_1) | instskip(SKIP_1) | instid1(SALU_CYCLE_1)
	v_cmp_ne_u32_e32 vcc_lo, 0x7f800000, v87
                                        ; implicit-def: $vgpr87
	s_and_saveexec_b32 s3, vcc_lo
	s_xor_b32 s3, exec_lo, s3
; %bb.37:
	v_bfe_u32 v87, v84, 16, 1
	s_delay_alu instid0(VALU_DEP_1)
	v_add3_u32 v87, v84, v87, 0x7fff
                                        ; implicit-def: $vgpr84
; %bb.38:
	s_and_not1_saveexec_b32 s3, s3
; %bb.39:
	v_and_b32_e32 v87, 0xffff, v84
	v_or_b32_e32 v90, 0x10000, v84
	s_delay_alu instid0(VALU_DEP_2) | instskip(NEXT) | instid1(VALU_DEP_2)
	v_cmp_eq_u32_e32 vcc_lo, 0, v87
	v_cndmask_b32_e32 v87, v90, v84, vcc_lo
; %bb.40:
	s_or_b32 exec_lo, exec_lo, s3
	v_and_b32_e32 v84, 0x7f800000, v80
	s_delay_alu instid0(VALU_DEP_1) | instskip(SKIP_1) | instid1(SALU_CYCLE_1)
	v_cmp_ne_u32_e32 vcc_lo, 0x7f800000, v84
                                        ; implicit-def: $vgpr84
	s_and_saveexec_b32 s3, vcc_lo
	s_xor_b32 s3, exec_lo, s3
; %bb.41:
	v_bfe_u32 v84, v80, 16, 1
	s_delay_alu instid0(VALU_DEP_1)
	v_add3_u32 v84, v80, v84, 0x7fff
                                        ; implicit-def: $vgpr80
; %bb.42:
	s_and_not1_saveexec_b32 s3, s3
; %bb.43:
	v_and_b32_e32 v84, 0xffff, v80
	v_or_b32_e32 v90, 0x10000, v80
	s_delay_alu instid0(VALU_DEP_2) | instskip(NEXT) | instid1(VALU_DEP_2)
	v_cmp_eq_u32_e32 vcc_lo, 0, v84
	v_cndmask_b32_e32 v84, v90, v80, vcc_lo
; %bb.44:
	s_or_b32 exec_lo, exec_lo, s3
	s_load_b64 s[34:35], s[0:1], 0x94
	v_lshlrev_b32_e32 v91, 4, v75
	s_delay_alu instid0(VALU_DEP_2)
	v_perm_b32 v90, v84, v87, 0x7060302
	v_dual_mul_f32 v77, v82, v77 :: v_dual_lshlrev_b32 v80, 6, v66
	v_lshlrev_b32_e32 v66, 11, v65
	v_perm_b32 v87, v83, v76, 0x7060302
	v_mul_f32_e32 v83, v82, v70
	v_perm_b32 v89, v88, v89, 0x7060302
	v_perm_b32 v88, v86, v85, 0x7060302
	v_or3_b32 v76, v91, v66, v80
	v_mul_f32_e32 v66, v82, v81
	v_mul_f32_e32 v70, v82, v79
	;; [unrolled: 1-line block ×3, first 2 shown]
	v_dual_mul_f32 v81, v82, v72 :: v_dual_and_b32 v84, 0x7f800000, v83
	v_mul_f32_e32 v79, v82, v71
	v_mul_f32_e32 v72, v82, v69
	s_mov_b32 s3, exec_lo
	ds_store_b128 v76, v[87:90]
                                        ; implicit-def: $vgpr69
	v_cmpx_ne_u32_e32 0x7f800000, v84
	s_xor_b32 s3, exec_lo, s3
; %bb.45:
	v_bfe_u32 v69, v83, 16, 1
	s_delay_alu instid0(VALU_DEP_1)
	v_add3_u32 v69, v83, v69, 0x7fff
                                        ; implicit-def: $vgpr83
; %bb.46:
	s_and_not1_saveexec_b32 s3, s3
; %bb.47:
	v_and_b32_e32 v69, 0xffff, v83
	v_or_b32_e32 v71, 0x10000, v83
	s_delay_alu instid0(VALU_DEP_2) | instskip(NEXT) | instid1(VALU_DEP_2)
	v_cmp_eq_u32_e32 vcc_lo, 0, v69
	v_cndmask_b32_e32 v69, v71, v83, vcc_lo
; %bb.48:
	s_or_b32 exec_lo, exec_lo, s3
	v_and_b32_e32 v71, 0x7f800000, v72
	s_delay_alu instid0(VALU_DEP_1) | instskip(SKIP_1) | instid1(SALU_CYCLE_1)
	v_cmp_ne_u32_e32 vcc_lo, 0x7f800000, v71
                                        ; implicit-def: $vgpr71
	s_and_saveexec_b32 s3, vcc_lo
	s_xor_b32 s3, exec_lo, s3
; %bb.49:
	v_bfe_u32 v71, v72, 16, 1
	s_delay_alu instid0(VALU_DEP_1)
	v_add3_u32 v71, v72, v71, 0x7fff
                                        ; implicit-def: $vgpr72
; %bb.50:
	s_and_not1_saveexec_b32 s3, s3
; %bb.51:
	v_and_b32_e32 v71, 0xffff, v72
	v_or_b32_e32 v82, 0x10000, v72
	s_delay_alu instid0(VALU_DEP_2) | instskip(NEXT) | instid1(VALU_DEP_2)
	v_cmp_eq_u32_e32 vcc_lo, 0, v71
	v_cndmask_b32_e32 v71, v82, v72, vcc_lo
; %bb.52:
	s_or_b32 exec_lo, exec_lo, s3
	v_and_b32_e32 v72, 0x7f800000, v79
	s_delay_alu instid0(VALU_DEP_1) | instskip(SKIP_1) | instid1(SALU_CYCLE_1)
	v_cmp_ne_u32_e32 vcc_lo, 0x7f800000, v72
                                        ; implicit-def: $vgpr72
	s_and_saveexec_b32 s3, vcc_lo
	s_xor_b32 s3, exec_lo, s3
; %bb.53:
	v_bfe_u32 v72, v79, 16, 1
	s_delay_alu instid0(VALU_DEP_1)
	v_add3_u32 v72, v79, v72, 0x7fff
                                        ; implicit-def: $vgpr79
; %bb.54:
	s_and_not1_saveexec_b32 s3, s3
; %bb.55:
	v_and_b32_e32 v72, 0xffff, v79
	v_or_b32_e32 v82, 0x10000, v79
	s_delay_alu instid0(VALU_DEP_2) | instskip(NEXT) | instid1(VALU_DEP_2)
	v_cmp_eq_u32_e32 vcc_lo, 0, v72
	v_cndmask_b32_e32 v72, v82, v79, vcc_lo
; %bb.56:
	s_or_b32 exec_lo, exec_lo, s3
	v_and_b32_e32 v79, 0x7f800000, v81
	s_delay_alu instid0(VALU_DEP_1) | instskip(SKIP_1) | instid1(SALU_CYCLE_1)
	v_cmp_ne_u32_e32 vcc_lo, 0x7f800000, v79
                                        ; implicit-def: $vgpr79
	s_and_saveexec_b32 s3, vcc_lo
	s_xor_b32 s3, exec_lo, s3
; %bb.57:
	v_bfe_u32 v79, v81, 16, 1
	s_delay_alu instid0(VALU_DEP_1)
	v_add3_u32 v79, v81, v79, 0x7fff
                                        ; implicit-def: $vgpr81
; %bb.58:
	s_and_not1_saveexec_b32 s3, s3
; %bb.59:
	v_and_b32_e32 v79, 0xffff, v81
	v_or_b32_e32 v82, 0x10000, v81
	s_delay_alu instid0(VALU_DEP_2) | instskip(NEXT) | instid1(VALU_DEP_2)
	v_cmp_eq_u32_e32 vcc_lo, 0, v79
	v_cndmask_b32_e32 v79, v82, v81, vcc_lo
; %bb.60:
	s_or_b32 exec_lo, exec_lo, s3
	v_and_b32_e32 v81, 0x7f800000, v77
	s_delay_alu instid0(VALU_DEP_1) | instskip(SKIP_1) | instid1(SALU_CYCLE_1)
	v_cmp_ne_u32_e32 vcc_lo, 0x7f800000, v81
                                        ; implicit-def: $vgpr81
	s_and_saveexec_b32 s3, vcc_lo
	s_xor_b32 s3, exec_lo, s3
; %bb.61:
	v_bfe_u32 v81, v77, 16, 1
	s_delay_alu instid0(VALU_DEP_1)
	v_add3_u32 v81, v77, v81, 0x7fff
                                        ; implicit-def: $vgpr77
; %bb.62:
	s_and_not1_saveexec_b32 s3, s3
; %bb.63:
	v_and_b32_e32 v81, 0xffff, v77
	v_or_b32_e32 v82, 0x10000, v77
	s_delay_alu instid0(VALU_DEP_2) | instskip(NEXT) | instid1(VALU_DEP_2)
	v_cmp_eq_u32_e32 vcc_lo, 0, v81
	v_cndmask_b32_e32 v81, v82, v77, vcc_lo
; %bb.64:
	s_or_b32 exec_lo, exec_lo, s3
	v_and_b32_e32 v77, 0x7f800000, v78
	s_delay_alu instid0(VALU_DEP_1) | instskip(SKIP_1) | instid1(SALU_CYCLE_1)
	v_cmp_ne_u32_e32 vcc_lo, 0x7f800000, v77
                                        ; implicit-def: $vgpr77
	s_and_saveexec_b32 s3, vcc_lo
	s_xor_b32 s3, exec_lo, s3
; %bb.65:
	v_bfe_u32 v77, v78, 16, 1
	s_delay_alu instid0(VALU_DEP_1)
	v_add3_u32 v77, v78, v77, 0x7fff
                                        ; implicit-def: $vgpr78
; %bb.66:
	s_and_not1_saveexec_b32 s3, s3
; %bb.67:
	v_and_b32_e32 v77, 0xffff, v78
	v_or_b32_e32 v82, 0x10000, v78
	s_delay_alu instid0(VALU_DEP_2) | instskip(NEXT) | instid1(VALU_DEP_2)
	v_cmp_eq_u32_e32 vcc_lo, 0, v77
	v_cndmask_b32_e32 v77, v82, v78, vcc_lo
; %bb.68:
	s_or_b32 exec_lo, exec_lo, s3
	v_and_b32_e32 v78, 0x7f800000, v70
	s_delay_alu instid0(VALU_DEP_1) | instskip(SKIP_1) | instid1(SALU_CYCLE_1)
	v_cmp_ne_u32_e32 vcc_lo, 0x7f800000, v78
                                        ; implicit-def: $vgpr78
	s_and_saveexec_b32 s3, vcc_lo
	s_xor_b32 s3, exec_lo, s3
; %bb.69:
	v_bfe_u32 v78, v70, 16, 1
	s_delay_alu instid0(VALU_DEP_1)
	v_add3_u32 v78, v70, v78, 0x7fff
                                        ; implicit-def: $vgpr70
; %bb.70:
	s_and_not1_saveexec_b32 s3, s3
; %bb.71:
	v_and_b32_e32 v78, 0xffff, v70
	v_or_b32_e32 v82, 0x10000, v70
	s_delay_alu instid0(VALU_DEP_2) | instskip(NEXT) | instid1(VALU_DEP_2)
	v_cmp_eq_u32_e32 vcc_lo, 0, v78
	v_cndmask_b32_e32 v78, v82, v70, vcc_lo
; %bb.72:
	s_or_b32 exec_lo, exec_lo, s3
	v_and_b32_e32 v70, 0x7f800000, v66
	s_delay_alu instid0(VALU_DEP_1) | instskip(SKIP_1) | instid1(SALU_CYCLE_1)
	v_cmp_ne_u32_e32 vcc_lo, 0x7f800000, v70
                                        ; implicit-def: $vgpr70
	s_and_saveexec_b32 s3, vcc_lo
	s_xor_b32 s3, exec_lo, s3
; %bb.73:
	v_bfe_u32 v70, v66, 16, 1
	s_delay_alu instid0(VALU_DEP_1)
	v_add3_u32 v70, v66, v70, 0x7fff
                                        ; implicit-def: $vgpr66
; %bb.74:
	s_and_not1_saveexec_b32 s3, s3
; %bb.75:
	v_and_b32_e32 v70, 0xffff, v66
	v_or_b32_e32 v82, 0x10000, v66
	s_delay_alu instid0(VALU_DEP_2) | instskip(NEXT) | instid1(VALU_DEP_2)
	v_cmp_eq_u32_e32 vcc_lo, 0, v70
	v_cndmask_b32_e32 v70, v82, v66, vcc_lo
; %bb.76:
	s_or_b32 exec_lo, exec_lo, s3
	s_delay_alu instid0(VALU_DEP_1)
	v_perm_b32 v86, v70, v78, 0x7060302
	v_perm_b32 v85, v77, v81, 0x7060302
	;; [unrolled: 1-line block ×4, first 2 shown]
	v_lshl_or_b32 v82, v65, 11, v80
	ds_store_b128 v76, v[83:86] offset:1024
	s_waitcnt lgkmcnt(0)
	s_barrier
	buffer_gl0_inv
	ds_load_b128 v[69:72], v82
	ds_load_b128 v[83:86], v82 offset:16
	s_waitcnt lgkmcnt(1)
	v_lshrrev_b32_e32 v65, 16, v69
	v_lshlrev_b32_e32 v78, 2, v75
	s_waitcnt lgkmcnt(0)
	v_lshrrev_b32_e32 v91, 16, v83
	v_lshrrev_b32_e32 v66, 16, v70
	;; [unrolled: 1-line block ×4, first 2 shown]
	v_cmp_eq_u32_e32 vcc_lo, 1, v78
	v_lshrrev_b32_e32 v98, 16, v85
	v_lshrrev_b32_e32 v96, 16, v72
	;; [unrolled: 1-line block ×3, first 2 shown]
	v_cndmask_b32_e32 v81, v69, v65, vcc_lo
	v_or_b32_e32 v79, 1, v78
	v_cmp_eq_u32_e64 s4, 2, v78
	v_cndmask_b32_e32 v87, v83, v91, vcc_lo
	v_cmp_eq_u32_e64 s7, 3, v78
	v_cmp_eq_u32_e64 s9, 4, v78
	;; [unrolled: 1-line block ×3, first 2 shown]
	v_cndmask_b32_e64 v81, v81, v70, s4
	v_cmp_eq_u32_e64 s6, 2, v79
	v_cndmask_b32_e64 v87, v87, v84, s4
	v_cmp_eq_u32_e64 s8, 3, v79
	v_cndmask_b32_e64 v88, v69, v65, s3
	v_cndmask_b32_e64 v81, v81, v66, s7
	v_or_b32_e32 v77, 2, v78
	v_cndmask_b32_e64 v87, v87, v97, s7
	v_cndmask_b32_e64 v89, v83, v91, s3
	;; [unrolled: 1-line block ×4, first 2 shown]
	v_cmp_eq_u32_e64 s10, 5, v78
	v_cndmask_b32_e64 v87, v87, v85, s9
	v_cmp_eq_u32_e64 s11, 4, v79
	v_cndmask_b32_e64 v88, v88, v66, s8
	v_cmp_eq_u32_e64 s5, 1, v77
	v_cndmask_b32_e64 v89, v89, v84, s6
	v_cndmask_b32_e64 v81, v81, v95, s10
	v_cmp_eq_u32_e64 s12, 6, v78
	v_cndmask_b32_e64 v88, v88, v71, s11
	v_cndmask_b32_e64 v87, v87, v98, s10
	v_cmp_eq_u32_e64 s13, 5, v79
	v_cndmask_b32_e64 v90, v69, v65, s5
	v_cndmask_b32_e64 v89, v89, v97, s8
	;; [unrolled: 1-line block ×3, first 2 shown]
	v_cmp_eq_u32_e64 s15, 7, v78
	v_cndmask_b32_e64 v88, v88, v95, s13
	v_cndmask_b32_e64 v87, v87, v86, s12
	v_cmp_eq_u32_e64 s16, 6, v79
	v_cmp_eq_u32_e64 s17, 2, v77
	v_cndmask_b32_e64 v89, v89, v85, s11
	v_cndmask_b32_e64 v100, v81, v96, s15
	;; [unrolled: 1-line block ×6, first 2 shown]
	v_cmp_eq_u32_e64 s18, 7, v79
	v_cmp_eq_u32_e64 s19, 3, v77
	;; [unrolled: 1-line block ×4, first 2 shown]
	v_cndmask_b32_e64 v87, v87, v84, s17
	v_cndmask_b32_e64 v102, v88, v96, s18
	;; [unrolled: 1-line block ×4, first 2 shown]
	v_or_b32_e32 v81, 3, v78
	v_cndmask_b32_e64 v93, v87, v97, s19
	v_cmp_eq_u32_e64 s24, 6, v77
	v_cndmask_b32_e64 v103, v88, v86, s16
	v_cndmask_b32_e64 v92, v89, v71, s20
	v_cmp_eq_u32_e64 s21, 1, v81
	ds_load_b128 v[87:90], v82 offset:1024
	v_cmp_eq_u32_e64 s23, 2, v81
	v_cmp_eq_u32_e64 s25, 3, v81
	v_cndmask_b32_e64 v104, v92, v95, s22
	v_cndmask_b32_e64 v65, v69, v65, s21
	;; [unrolled: 1-line block ×4, first 2 shown]
	ds_load_b128 v[91:94], v82 offset:1040
	v_cmp_eq_u32_e64 s26, 4, v81
	v_cndmask_b32_e64 v65, v65, v70, s23
	v_cmp_eq_u32_e64 s28, 5, v81
	v_cndmask_b32_e64 v70, v83, v84, s23
	;; [unrolled: 2-line block ×3, first 2 shown]
	v_cndmask_b32_e64 v65, v65, v66, s25
	v_cndmask_b32_e64 v66, v104, v72, s24
	;; [unrolled: 1-line block ×3, first 2 shown]
	v_cmp_eq_u32_e64 s27, 7, v77
	v_cndmask_b32_e64 v69, v69, v86, s24
	v_cndmask_b32_e64 v65, v65, v71, s26
	s_waitcnt lgkmcnt(1)
	v_lshrrev_b32_e32 v84, 16, v87
	v_cndmask_b32_e64 v70, v70, v85, s26
	v_cndmask_b32_e64 v83, v103, v99, s18
	;; [unrolled: 1-line block ×4, first 2 shown]
	v_lshrrev_b32_e32 v95, 16, v88
	v_cndmask_b32_e64 v70, v70, v98, s28
	s_waitcnt lgkmcnt(0)
	v_lshrrev_b32_e32 v85, 16, v91
	v_cndmask_b32_e64 v97, v87, v84, s3
	v_cndmask_b32_e64 v65, v65, v72, s29
	;; [unrolled: 1-line block ×4, first 2 shown]
	v_cndmask_b32_e32 v71, v87, v84, vcc_lo
	v_cndmask_b32_e32 v98, v91, v85, vcc_lo
	v_cmp_eq_u32_e32 vcc_lo, 7, v81
	v_cndmask_b32_e64 v72, v97, v88, s6
	v_lshrrev_b32_e32 v97, 16, v92
	v_lshrrev_b32_e32 v103, 16, v90
	v_dual_cndmask_b32 v65, v65, v96 :: v_dual_cndmask_b32 v70, v70, v99
	v_cndmask_b32_e64 v71, v71, v88, s4
	v_cndmask_b32_e64 v86, v98, v92, s4
	;; [unrolled: 1-line block ×3, first 2 shown]
	v_lshrrev_b32_e32 v98, 16, v89
	v_lshrrev_b32_e32 v99, 16, v93
	v_cndmask_b32_e64 v71, v71, v95, s7
	v_cndmask_b32_e64 v86, v86, v97, s7
	;; [unrolled: 1-line block ×3, first 2 shown]
	v_perm_b32 v72, v70, v65, 0x5040100
	v_perm_b32 v70, v83, v102, 0x5040100
	v_cndmask_b32_e64 v71, v71, v89, s9
	v_cndmask_b32_e64 v86, v86, v93, s9
	;; [unrolled: 1-line block ×3, first 2 shown]
	v_lshrrev_b32_e32 v83, 16, v94
	s_delay_alu instid0(VALU_DEP_4) | instskip(NEXT) | instid1(VALU_DEP_4)
	v_cndmask_b32_e64 v71, v71, v98, s10
	v_cndmask_b32_e64 v86, v86, v99, s10
	s_delay_alu instid0(VALU_DEP_4) | instskip(NEXT) | instid1(VALU_DEP_3)
	v_cndmask_b32_e64 v65, v65, v90, s16
	v_cndmask_b32_e64 v96, v71, v90, s12
	v_perm_b32 v71, v69, v66, 0x5040100
	s_delay_alu instid0(VALU_DEP_4)
	v_cndmask_b32_e64 v69, v86, v94, s12
	v_cndmask_b32_e64 v86, v87, v84, s5
	;; [unrolled: 1-line block ×34, first 2 shown]
	v_cndmask_b32_e32 v84, v84, v103, vcc_lo
	v_cndmask_b32_e32 v86, v87, v83, vcc_lo
	v_cndmask_b32_e64 v87, v88, v83, s27
	v_cndmask_b32_e64 v88, v85, v83, s18
	;; [unrolled: 1-line block ×3, first 2 shown]
	v_perm_b32 v69, v101, v100, 0x5040100
	v_perm_b32 v86, v86, v84, 0x5040100
	;; [unrolled: 1-line block ×5, first 2 shown]
	s_lshl_b32 s8, s35, 2
	s_mov_b32 s3, exec_lo
	ds_store_b128 v76, v[69:72]
	ds_store_b128 v76, v[83:86] offset:1024
	v_cmpx_gt_u32_e32 4, v0
	s_cbranch_execz .LBB1681_78
; %bb.77:
	v_or_b32_e32 v65, s31, v0
	s_load_b128 s[4:7], s[0:1], 0x58
	s_delay_alu instid0(VALU_DEP_1) | instskip(NEXT) | instid1(VALU_DEP_1)
	v_mad_u64_u32 v[69:70], null, s8, s30, v[65:66]
	v_mad_u64_u32 v[65:66], null, v69, s34, s[14:15]
	s_delay_alu instid0(VALU_DEP_1) | instskip(NEXT) | instid1(VALU_DEP_1)
	v_ashrrev_i32_e32 v66, 31, v65
	v_lshlrev_b64 v[65:66], 2, v[65:66]
	s_waitcnt lgkmcnt(0)
	s_delay_alu instid0(VALU_DEP_1) | instskip(NEXT) | instid1(VALU_DEP_2)
	v_add_co_u32 v69, vcc_lo, s6, v65
	v_add_co_ci_u32_e32 v70, vcc_lo, s7, v66, vcc_lo
	v_add_co_u32 v65, vcc_lo, s4, v65
	v_add_co_ci_u32_e32 v66, vcc_lo, s5, v66, vcc_lo
	global_store_b32 v[69:70], v67, off
	global_store_b32 v[65:66], v68, off
.LBB1681_78:
	s_or_b32 exec_lo, exec_lo, s3
	s_waitcnt lgkmcnt(0)
	s_waitcnt_vscnt null, 0x0
	s_barrier
	buffer_gl0_inv
	ds_load_b128 v[83:86], v80
	ds_load_b128 v[87:90], v80 offset:16
	ds_load_b128 v[95:98], v80 offset:2064
	;; [unrolled: 1-line block ×3, first 2 shown]
	v_mov_b32_e32 v65, 0
	ds_load_b128 v[103:106], v80 offset:4112
	ds_load_b128 v[99:102], v80 offset:4096
	;; [unrolled: 1-line block ×4, first 2 shown]
	v_mov_b32_e32 v66, v65
	v_mov_b32_e32 v67, v65
	v_mov_b32_e32 v68, v65
	v_mov_b32_e32 v69, v65
	v_mov_b32_e32 v70, v65
	v_mov_b32_e32 v71, v65
	v_mov_b32_e32 v72, v65
	s_waitcnt lgkmcnt(6)
	s_delay_alu instid0(VALU_DEP_1)
	v_wmma_f32_16x16x16_bf16 v[65:72], v[57:64], v[83:90], v[65:72]
	ds_load_b128 v[61:64], v80 offset:8208
	ds_load_b128 v[57:60], v80 offset:8192
	s_waitcnt lgkmcnt(6)
	v_wmma_f32_16x16x16_bf16 v[65:72], v[41:48], v[91:98], v[65:72]
	ds_load_b128 v[45:48], v80 offset:10256
	ds_load_b128 v[41:44], v80 offset:10240
	s_waitcnt lgkmcnt(6)
	;; [unrolled: 4-line block ×4, first 2 shown]
	v_wmma_f32_16x16x16_bf16 v[65:72], v[1:8], v[57:64], v[65:72]
	s_waitcnt lgkmcnt(4)
	s_delay_alu instid0(VALU_DEP_1) | instskip(SKIP_1) | instid1(VALU_DEP_1)
	v_wmma_f32_16x16x16_bf16 v[65:72], v[9:16], v[41:48], v[65:72]
	s_waitcnt lgkmcnt(2)
	v_wmma_f32_16x16x16_bf16 v[65:72], v[17:24], v[33:40], v[65:72]
	s_waitcnt lgkmcnt(0)
	s_delay_alu instid0(VALU_DEP_1) | instskip(NEXT) | instid1(VALU_DEP_1)
	v_wmma_f32_16x16x16_bf16 v[65:72], v[49:56], v[25:32], v[65:72]
	v_and_b32_e32 v1, 0x7f800000, v65
	s_delay_alu instid0(VALU_DEP_1) | instskip(SKIP_1) | instid1(SALU_CYCLE_1)
	v_cmp_ne_u32_e32 vcc_lo, 0x7f800000, v1
                                        ; implicit-def: $vgpr1
	s_and_saveexec_b32 s3, vcc_lo
	s_xor_b32 s3, exec_lo, s3
; %bb.79:
	v_bfe_u32 v1, v65, 16, 1
	s_delay_alu instid0(VALU_DEP_1)
	v_add3_u32 v1, v65, v1, 0x7fff
; %bb.80:
	s_and_not1_saveexec_b32 s3, s3
; %bb.81:
	v_and_b32_e32 v1, 0xffff, v65
	v_or_b32_e32 v2, 0x10000, v65
	s_delay_alu instid0(VALU_DEP_2) | instskip(NEXT) | instid1(VALU_DEP_2)
	v_cmp_eq_u32_e32 vcc_lo, 0, v1
	v_cndmask_b32_e32 v1, v2, v65, vcc_lo
; %bb.82:
	s_or_b32 exec_lo, exec_lo, s3
	v_and_b32_e32 v2, 0x7f800000, v66
	s_delay_alu instid0(VALU_DEP_1) | instskip(SKIP_1) | instid1(SALU_CYCLE_1)
	v_cmp_ne_u32_e32 vcc_lo, 0x7f800000, v2
                                        ; implicit-def: $vgpr2
	s_and_saveexec_b32 s3, vcc_lo
	s_xor_b32 s3, exec_lo, s3
; %bb.83:
	v_bfe_u32 v2, v66, 16, 1
	s_delay_alu instid0(VALU_DEP_1)
	v_add3_u32 v2, v66, v2, 0x7fff
; %bb.84:
	s_and_not1_saveexec_b32 s3, s3
; %bb.85:
	v_and_b32_e32 v2, 0xffff, v66
	v_or_b32_e32 v3, 0x10000, v66
	s_delay_alu instid0(VALU_DEP_2) | instskip(NEXT) | instid1(VALU_DEP_2)
	v_cmp_eq_u32_e32 vcc_lo, 0, v2
	v_cndmask_b32_e32 v2, v3, v66, vcc_lo
; %bb.86:
	s_or_b32 exec_lo, exec_lo, s3
	v_and_b32_e32 v3, 0x7f800000, v67
	s_delay_alu instid0(VALU_DEP_1) | instskip(SKIP_1) | instid1(SALU_CYCLE_1)
	v_cmp_ne_u32_e32 vcc_lo, 0x7f800000, v3
                                        ; implicit-def: $vgpr3
	s_and_saveexec_b32 s3, vcc_lo
	s_xor_b32 s3, exec_lo, s3
; %bb.87:
	v_bfe_u32 v3, v67, 16, 1
	s_delay_alu instid0(VALU_DEP_1)
	v_add3_u32 v3, v67, v3, 0x7fff
; %bb.88:
	s_and_not1_saveexec_b32 s3, s3
; %bb.89:
	v_and_b32_e32 v3, 0xffff, v67
	v_or_b32_e32 v4, 0x10000, v67
	s_delay_alu instid0(VALU_DEP_2) | instskip(NEXT) | instid1(VALU_DEP_2)
	v_cmp_eq_u32_e32 vcc_lo, 0, v3
	v_cndmask_b32_e32 v3, v4, v67, vcc_lo
; %bb.90:
	s_or_b32 exec_lo, exec_lo, s3
	v_and_b32_e32 v4, 0x7f800000, v68
	s_delay_alu instid0(VALU_DEP_1) | instskip(SKIP_1) | instid1(SALU_CYCLE_1)
	v_cmp_ne_u32_e32 vcc_lo, 0x7f800000, v4
                                        ; implicit-def: $vgpr4
	s_and_saveexec_b32 s3, vcc_lo
	s_xor_b32 s3, exec_lo, s3
; %bb.91:
	v_bfe_u32 v4, v68, 16, 1
	s_delay_alu instid0(VALU_DEP_1)
	v_add3_u32 v4, v68, v4, 0x7fff
; %bb.92:
	s_and_not1_saveexec_b32 s3, s3
; %bb.93:
	v_and_b32_e32 v4, 0xffff, v68
	v_or_b32_e32 v5, 0x10000, v68
	s_delay_alu instid0(VALU_DEP_2) | instskip(NEXT) | instid1(VALU_DEP_2)
	v_cmp_eq_u32_e32 vcc_lo, 0, v4
	v_cndmask_b32_e32 v4, v5, v68, vcc_lo
; %bb.94:
	s_or_b32 exec_lo, exec_lo, s3
	v_and_b32_e32 v5, 0x7f800000, v69
	s_delay_alu instid0(VALU_DEP_1) | instskip(SKIP_1) | instid1(SALU_CYCLE_1)
	v_cmp_ne_u32_e32 vcc_lo, 0x7f800000, v5
                                        ; implicit-def: $vgpr5
	s_and_saveexec_b32 s3, vcc_lo
	s_xor_b32 s3, exec_lo, s3
; %bb.95:
	v_bfe_u32 v5, v69, 16, 1
	s_delay_alu instid0(VALU_DEP_1)
	v_add3_u32 v5, v69, v5, 0x7fff
; %bb.96:
	s_and_not1_saveexec_b32 s3, s3
; %bb.97:
	v_and_b32_e32 v5, 0xffff, v69
	v_or_b32_e32 v6, 0x10000, v69
	s_delay_alu instid0(VALU_DEP_2) | instskip(NEXT) | instid1(VALU_DEP_2)
	v_cmp_eq_u32_e32 vcc_lo, 0, v5
	v_cndmask_b32_e32 v5, v6, v69, vcc_lo
; %bb.98:
	s_or_b32 exec_lo, exec_lo, s3
	v_and_b32_e32 v6, 0x7f800000, v70
	s_delay_alu instid0(VALU_DEP_1) | instskip(SKIP_1) | instid1(SALU_CYCLE_1)
	v_cmp_ne_u32_e32 vcc_lo, 0x7f800000, v6
                                        ; implicit-def: $vgpr6
	s_and_saveexec_b32 s3, vcc_lo
	s_xor_b32 s3, exec_lo, s3
; %bb.99:
	v_bfe_u32 v6, v70, 16, 1
	s_delay_alu instid0(VALU_DEP_1)
	v_add3_u32 v6, v70, v6, 0x7fff
; %bb.100:
	s_and_not1_saveexec_b32 s3, s3
; %bb.101:
	v_and_b32_e32 v6, 0xffff, v70
	v_or_b32_e32 v7, 0x10000, v70
	s_delay_alu instid0(VALU_DEP_2) | instskip(NEXT) | instid1(VALU_DEP_2)
	v_cmp_eq_u32_e32 vcc_lo, 0, v6
	v_cndmask_b32_e32 v6, v7, v70, vcc_lo
; %bb.102:
	s_or_b32 exec_lo, exec_lo, s3
	v_and_b32_e32 v7, 0x7f800000, v71
	s_delay_alu instid0(VALU_DEP_1) | instskip(SKIP_1) | instid1(SALU_CYCLE_1)
	v_cmp_ne_u32_e32 vcc_lo, 0x7f800000, v7
                                        ; implicit-def: $vgpr7
	s_and_saveexec_b32 s3, vcc_lo
	s_xor_b32 s3, exec_lo, s3
; %bb.103:
	v_bfe_u32 v7, v71, 16, 1
	s_delay_alu instid0(VALU_DEP_1)
	v_add3_u32 v7, v71, v7, 0x7fff
; %bb.104:
	s_and_not1_saveexec_b32 s3, s3
; %bb.105:
	v_and_b32_e32 v7, 0xffff, v71
	v_or_b32_e32 v8, 0x10000, v71
	s_delay_alu instid0(VALU_DEP_2) | instskip(NEXT) | instid1(VALU_DEP_2)
	v_cmp_eq_u32_e32 vcc_lo, 0, v7
	v_cndmask_b32_e32 v7, v8, v71, vcc_lo
; %bb.106:
	s_or_b32 exec_lo, exec_lo, s3
	v_and_b32_e32 v8, 0x7f800000, v72
	s_delay_alu instid0(VALU_DEP_1) | instskip(SKIP_1) | instid1(SALU_CYCLE_1)
	v_cmp_ne_u32_e32 vcc_lo, 0x7f800000, v8
                                        ; implicit-def: $vgpr8
	s_and_saveexec_b32 s3, vcc_lo
	s_xor_b32 s3, exec_lo, s3
; %bb.107:
	v_bfe_u32 v8, v72, 16, 1
	s_delay_alu instid0(VALU_DEP_1)
	v_add3_u32 v8, v72, v8, 0x7fff
                                        ; implicit-def: $vgpr65_vgpr66_vgpr67_vgpr68_vgpr69_vgpr70_vgpr71_vgpr72
; %bb.108:
	s_and_not1_saveexec_b32 s3, s3
; %bb.109:
	v_and_b32_e32 v8, 0xffff, v72
	v_or_b32_e32 v9, 0x10000, v72
	s_delay_alu instid0(VALU_DEP_2) | instskip(NEXT) | instid1(VALU_DEP_2)
	v_cmp_eq_u32_e32 vcc_lo, 0, v8
	v_cndmask_b32_e32 v8, v9, v72, vcc_lo
; %bb.110:
	s_or_b32 exec_lo, exec_lo, s3
	s_delay_alu instid0(VALU_DEP_1)
	v_perm_b32 v7, v8, v7, 0x7060302
	v_perm_b32 v6, v6, v5, 0x7060302
	;; [unrolled: 1-line block ×4, first 2 shown]
	s_barrier
	buffer_gl0_inv
	v_cmp_eq_u32_e32 vcc_lo, 1, v78
	ds_store_b128 v76, v[4:7]
	s_waitcnt lgkmcnt(0)
	s_barrier
	buffer_gl0_inv
	ds_load_b128 v[1:4], v82
	ds_load_b128 v[5:8], v82 offset:16
	v_cmp_eq_u32_e64 s3, 1, v79
	v_cmp_eq_u32_e64 s4, 2, v78
	;; [unrolled: 1-line block ×5, first 2 shown]
	s_waitcnt lgkmcnt(1)
	v_lshrrev_b32_e32 v9, 16, v1
	s_waitcnt lgkmcnt(0)
	v_lshrrev_b32_e32 v13, 16, v5
	v_lshrrev_b32_e32 v10, 16, v2
	;; [unrolled: 1-line block ×4, first 2 shown]
	v_cndmask_b32_e64 v19, v1, v9, s3
	v_cndmask_b32_e32 v18, v5, v13, vcc_lo
	v_cndmask_b32_e64 v20, v5, v13, s3
	v_cndmask_b32_e32 v17, v1, v9, vcc_lo
	v_cmp_eq_u32_e32 vcc_lo, 2, v79
	v_lshrrev_b32_e32 v15, 16, v7
	v_cmp_eq_u32_e64 s3, 1, v77
	v_lshrrev_b32_e32 v12, 16, v4
	v_lshrrev_b32_e32 v16, 16, v8
	v_cndmask_b32_e32 v20, v20, v6, vcc_lo
	v_cndmask_b32_e64 v17, v17, v2, s4
	v_cndmask_b32_e32 v19, v19, v2, vcc_lo
	v_cndmask_b32_e64 v18, v18, v6, s4
	v_cmp_eq_u32_e32 vcc_lo, 4, v78
	v_cmp_eq_u32_e64 s4, 3, v79
	v_cndmask_b32_e64 v17, v17, v10, s5
	v_cndmask_b32_e64 v21, v1, v9, s3
	;; [unrolled: 1-line block ×5, first 2 shown]
	v_cndmask_b32_e32 v17, v17, v3, vcc_lo
	v_cndmask_b32_e64 v20, v20, v14, s4
	v_cndmask_b32_e32 v18, v18, v7, vcc_lo
	v_cmp_eq_u32_e32 vcc_lo, 4, v79
	v_cmp_eq_u32_e64 s4, 5, v79
	v_cmp_eq_u32_e64 s3, 2, v81
	v_cndmask_b32_e64 v21, v21, v2, s7
	v_cmp_eq_u32_e64 s5, 5, v78
	v_cndmask_b32_e32 v19, v19, v3, vcc_lo
	v_cndmask_b32_e32 v20, v20, v7, vcc_lo
	v_cmp_eq_u32_e32 vcc_lo, 6, v79
	s_delay_alu instid0(VALU_DEP_4) | instskip(NEXT) | instid1(VALU_DEP_4)
	v_cndmask_b32_e64 v17, v17, v11, s5
	v_cndmask_b32_e64 v19, v19, v11, s4
	s_delay_alu instid0(VALU_DEP_4) | instskip(SKIP_1) | instid1(VALU_DEP_3)
	v_cndmask_b32_e64 v20, v20, v15, s4
	v_cmp_eq_u32_e64 s4, 1, v81
	v_cndmask_b32_e32 v19, v19, v4, vcc_lo
	v_cndmask_b32_e64 v18, v18, v15, s5
	s_delay_alu instid0(VALU_DEP_3)
	v_cndmask_b32_e64 v1, v1, v9, s4
	v_cndmask_b32_e64 v5, v5, v13, s4
	v_cmp_eq_u32_e64 s4, 3, v77
	v_cndmask_b32_e64 v13, v22, v6, s7
	v_cmp_eq_u32_e64 s7, 3, v81
	v_cndmask_b32_e64 v1, v1, v2, s3
	v_cndmask_b32_e64 v2, v5, v6, s3
	;; [unrolled: 1-line block ×3, first 2 shown]
	v_cmp_eq_u32_e64 s3, 4, v77
	v_cndmask_b32_e64 v6, v13, v14, s4
	v_cndmask_b32_e64 v1, v1, v10, s7
	v_cmp_eq_u32_e64 s4, 4, v81
	v_cndmask_b32_e64 v2, v2, v14, s7
	v_cndmask_b32_e64 v5, v9, v3, s3
	;; [unrolled: 3-line block ×3, first 2 shown]
	v_cndmask_b32_e64 v2, v2, v7, s4
	v_cmp_eq_u32_e64 s3, 5, v81
	v_cmp_eq_u32_e64 s5, 6, v78
	v_cndmask_b32_e64 v5, v5, v11, s7
	v_cmp_eq_u32_e64 s4, 6, v77
	v_cndmask_b32_e64 v3, v6, v15, s7
	v_cndmask_b32_e64 v1, v1, v11, s3
	v_cmp_eq_u32_e64 s7, 6, v81
	v_cndmask_b32_e64 v2, v2, v15, s3
	v_cndmask_b32_e64 v17, v17, v4, s5
	v_cndmask_b32_e64 v18, v18, v8, s5
	v_cmp_eq_u32_e64 s5, 7, v78
	v_cndmask_b32_e64 v5, v5, v4, s4
	;; [unrolled: 4-line block ×3, first 2 shown]
	v_cmp_eq_u32_e64 s4, 7, v77
	v_cndmask_b32_e32 v4, v20, v8, vcc_lo
	v_cndmask_b32_e64 v17, v17, v12, s5
	v_cndmask_b32_e64 v19, v19, v12, s6
	;; [unrolled: 1-line block ×8, first 2 shown]
	v_cmp_gt_u32_e32 vcc_lo, 32, v0
	v_perm_b32 v4, v2, v1, 0x5040100
	v_perm_b32 v3, v3, v5, 0x5040100
	;; [unrolled: 1-line block ×4, first 2 shown]
	s_and_b32 s2, vcc_lo, s2
	ds_store_b128 v76, v[1:4]
	s_waitcnt lgkmcnt(0)
	s_barrier
	buffer_gl0_inv
	s_and_saveexec_b32 s3, s2
	s_cbranch_execz .LBB1681_2
; %bb.111:
	s_load_b64 s[0:1], s[0:1], 0x68
	v_lshlrev_b32_e32 v0, 10, v0
	v_or_b32_e32 v1, s31, v75
	s_lshl_b32 s4, s34, 6
	v_lshlrev_b32_e32 v2, 4, v74
	s_mul_i32 s2, s4, s30
	v_lshlrev_b32_e32 v3, 6, v75
	v_mul_lo_u32 v8, v1, s4
	v_and_b32_e32 v0, 0x3800, v0
	v_or_b32_e32 v1, 2, v1
	s_mul_i32 s2, s2, s8
	s_delay_alu instid0(SALU_CYCLE_1) | instskip(NEXT) | instid1(VALU_DEP_2)
	s_ashr_i32 s3, s2, 31
	v_or3_b32 v4, v0, v2, v3
	s_lshl_b64 s[2:3], s[2:3], 1
	v_mul_lo_u32 v10, v1, s4
	v_ashrrev_i32_e32 v9, 31, v8
	ds_load_b128 v[0:3], v4
	ds_load_b128 v[4:7], v4 offset:128
	s_waitcnt lgkmcnt(0)
	s_add_u32 s2, s0, s2
	s_addc_u32 s3, s1, s3
	s_lshl_b32 s0, s14, 6
	v_ashrrev_i32_e32 v11, 31, v10
	s_ashr_i32 s1, s0, 31
	v_lshlrev_b64 v[8:9], 1, v[8:9]
	s_lshl_b64 s[0:1], s[0:1], 1
	s_delay_alu instid0(SALU_CYCLE_1) | instskip(SKIP_2) | instid1(VALU_DEP_1)
	s_add_u32 s0, s2, s0
	s_addc_u32 s1, s3, s1
	v_add_co_u32 v12, s0, s0, v73
	v_add_co_ci_u32_e64 v13, null, s1, 0, s0
	v_lshlrev_b64 v[10:11], 1, v[10:11]
	s_delay_alu instid0(VALU_DEP_3) | instskip(NEXT) | instid1(VALU_DEP_3)
	v_add_co_u32 v8, vcc_lo, v12, v8
	v_add_co_ci_u32_e32 v9, vcc_lo, v13, v9, vcc_lo
	s_delay_alu instid0(VALU_DEP_3) | instskip(NEXT) | instid1(VALU_DEP_4)
	v_add_co_u32 v10, vcc_lo, v12, v10
	v_add_co_ci_u32_e32 v11, vcc_lo, v13, v11, vcc_lo
	s_clause 0x1
	global_store_b128 v[8:9], v[0:3], off
	global_store_b128 v[10:11], v[4:7], off
	s_nop 0
	s_sendmsg sendmsg(MSG_DEALLOC_VGPRS)
	s_endpgm
	.section	.rodata,"a",@progbits
	.p2align	6, 0x0
	.amdhsa_kernel _Z39paged_attention_ll4mi_QKV_mfma16_kernelI14__hip_bfloat16hLN4vllm18Fp8KVCacheDataTypeE1EhLi16ELi64ELi256ELb1ELi4EL8MFMAType0EEvPKT_PKT0_S9_ifPKiSB_SB_iPKfiiiPfSE_PS4_PT2_iSD_SD_
		.amdhsa_group_segment_fixed_size 17472
		.amdhsa_private_segment_fixed_size 0
		.amdhsa_kernarg_size 400
		.amdhsa_user_sgpr_count 13
		.amdhsa_user_sgpr_dispatch_ptr 0
		.amdhsa_user_sgpr_queue_ptr 0
		.amdhsa_user_sgpr_kernarg_segment_ptr 1
		.amdhsa_user_sgpr_dispatch_id 0
		.amdhsa_user_sgpr_private_segment_size 0
		.amdhsa_wavefront_size32 1
		.amdhsa_uses_dynamic_stack 0
		.amdhsa_enable_private_segment 0
		.amdhsa_system_sgpr_workgroup_id_x 1
		.amdhsa_system_sgpr_workgroup_id_y 1
		.amdhsa_system_sgpr_workgroup_id_z 1
		.amdhsa_system_sgpr_workgroup_info 0
		.amdhsa_system_vgpr_workitem_id 0
		.amdhsa_next_free_vgpr 124
		.amdhsa_next_free_sgpr 38
		.amdhsa_reserve_vcc 1
		.amdhsa_float_round_mode_32 0
		.amdhsa_float_round_mode_16_64 0
		.amdhsa_float_denorm_mode_32 3
		.amdhsa_float_denorm_mode_16_64 3
		.amdhsa_dx10_clamp 1
		.amdhsa_ieee_mode 1
		.amdhsa_fp16_overflow 0
		.amdhsa_workgroup_processor_mode 1
		.amdhsa_memory_ordered 1
		.amdhsa_forward_progress 0
		.amdhsa_shared_vgpr_count 0
		.amdhsa_exception_fp_ieee_invalid_op 0
		.amdhsa_exception_fp_denorm_src 0
		.amdhsa_exception_fp_ieee_div_zero 0
		.amdhsa_exception_fp_ieee_overflow 0
		.amdhsa_exception_fp_ieee_underflow 0
		.amdhsa_exception_fp_ieee_inexact 0
		.amdhsa_exception_int_div_zero 0
	.end_amdhsa_kernel
	.section	.text._Z39paged_attention_ll4mi_QKV_mfma16_kernelI14__hip_bfloat16hLN4vllm18Fp8KVCacheDataTypeE1EhLi16ELi64ELi256ELb1ELi4EL8MFMAType0EEvPKT_PKT0_S9_ifPKiSB_SB_iPKfiiiPfSE_PS4_PT2_iSD_SD_,"axG",@progbits,_Z39paged_attention_ll4mi_QKV_mfma16_kernelI14__hip_bfloat16hLN4vllm18Fp8KVCacheDataTypeE1EhLi16ELi64ELi256ELb1ELi4EL8MFMAType0EEvPKT_PKT0_S9_ifPKiSB_SB_iPKfiiiPfSE_PS4_PT2_iSD_SD_,comdat
.Lfunc_end1681:
	.size	_Z39paged_attention_ll4mi_QKV_mfma16_kernelI14__hip_bfloat16hLN4vllm18Fp8KVCacheDataTypeE1EhLi16ELi64ELi256ELb1ELi4EL8MFMAType0EEvPKT_PKT0_S9_ifPKiSB_SB_iPKfiiiPfSE_PS4_PT2_iSD_SD_, .Lfunc_end1681-_Z39paged_attention_ll4mi_QKV_mfma16_kernelI14__hip_bfloat16hLN4vllm18Fp8KVCacheDataTypeE1EhLi16ELi64ELi256ELb1ELi4EL8MFMAType0EEvPKT_PKT0_S9_ifPKiSB_SB_iPKfiiiPfSE_PS4_PT2_iSD_SD_
                                        ; -- End function
	.section	.AMDGPU.csdata,"",@progbits
; Kernel info:
; codeLenInByte = 8604
; NumSgprs: 40
; NumVgprs: 124
; ScratchSize: 0
; MemoryBound: 0
; FloatMode: 240
; IeeeMode: 1
; LDSByteSize: 17472 bytes/workgroup (compile time only)
; SGPRBlocks: 4
; VGPRBlocks: 15
; NumSGPRsForWavesPerEU: 40
; NumVGPRsForWavesPerEU: 124
; Occupancy: 10
; WaveLimiterHint : 1
; COMPUTE_PGM_RSRC2:SCRATCH_EN: 0
; COMPUTE_PGM_RSRC2:USER_SGPR: 13
; COMPUTE_PGM_RSRC2:TRAP_HANDLER: 0
; COMPUTE_PGM_RSRC2:TGID_X_EN: 1
; COMPUTE_PGM_RSRC2:TGID_Y_EN: 1
; COMPUTE_PGM_RSRC2:TGID_Z_EN: 1
; COMPUTE_PGM_RSRC2:TIDIG_COMP_CNT: 0
	.section	.text._Z39paged_attention_ll4mi_QKV_mfma16_kernelI14__hip_bfloat16hLN4vllm18Fp8KVCacheDataTypeE1EhLi16ELi64ELi256ELb0ELi5EL8MFMAType0EEvPKT_PKT0_S9_ifPKiSB_SB_iPKfiiiPfSE_PS4_PT2_iSD_SD_,"axG",@progbits,_Z39paged_attention_ll4mi_QKV_mfma16_kernelI14__hip_bfloat16hLN4vllm18Fp8KVCacheDataTypeE1EhLi16ELi64ELi256ELb0ELi5EL8MFMAType0EEvPKT_PKT0_S9_ifPKiSB_SB_iPKfiiiPfSE_PS4_PT2_iSD_SD_,comdat
	.protected	_Z39paged_attention_ll4mi_QKV_mfma16_kernelI14__hip_bfloat16hLN4vllm18Fp8KVCacheDataTypeE1EhLi16ELi64ELi256ELb0ELi5EL8MFMAType0EEvPKT_PKT0_S9_ifPKiSB_SB_iPKfiiiPfSE_PS4_PT2_iSD_SD_ ; -- Begin function _Z39paged_attention_ll4mi_QKV_mfma16_kernelI14__hip_bfloat16hLN4vllm18Fp8KVCacheDataTypeE1EhLi16ELi64ELi256ELb0ELi5EL8MFMAType0EEvPKT_PKT0_S9_ifPKiSB_SB_iPKfiiiPfSE_PS4_PT2_iSD_SD_
	.globl	_Z39paged_attention_ll4mi_QKV_mfma16_kernelI14__hip_bfloat16hLN4vllm18Fp8KVCacheDataTypeE1EhLi16ELi64ELi256ELb0ELi5EL8MFMAType0EEvPKT_PKT0_S9_ifPKiSB_SB_iPKfiiiPfSE_PS4_PT2_iSD_SD_
	.p2align	8
	.type	_Z39paged_attention_ll4mi_QKV_mfma16_kernelI14__hip_bfloat16hLN4vllm18Fp8KVCacheDataTypeE1EhLi16ELi64ELi256ELb0ELi5EL8MFMAType0EEvPKT_PKT0_S9_ifPKiSB_SB_iPKfiiiPfSE_PS4_PT2_iSD_SD_,@function
_Z39paged_attention_ll4mi_QKV_mfma16_kernelI14__hip_bfloat16hLN4vllm18Fp8KVCacheDataTypeE1EhLi16ELi64ELi256ELb0ELi5EL8MFMAType0EEvPKT_PKT0_S9_ifPKiSB_SB_iPKfiiiPfSE_PS4_PT2_iSD_SD_: ; @_Z39paged_attention_ll4mi_QKV_mfma16_kernelI14__hip_bfloat16hLN4vllm18Fp8KVCacheDataTypeE1EhLi16ELi64ELi256ELb0ELi5EL8MFMAType0EEvPKT_PKT0_S9_ifPKiSB_SB_iPKfiiiPfSE_PS4_PT2_iSD_SD_
; %bb.0:
	s_load_b64 s[2:3], s[0:1], 0x30
	s_mov_b32 s34, s13
	s_waitcnt lgkmcnt(0)
	s_cmp_lg_u64 s[2:3], 0
	s_cselect_b32 s8, -1, 0
	s_ashr_i32 s35, s13, 31
	s_cmp_eq_u64 s[2:3], 0
	s_cbranch_scc1 .LBB1682_3
; %bb.1:
	s_lshl_b64 s[4:5], s[34:35], 2
	s_delay_alu instid0(SALU_CYCLE_1) | instskip(SKIP_4) | instid1(SALU_CYCLE_1)
	s_add_u32 s4, s2, s4
	s_addc_u32 s5, s3, s5
	s_load_b64 s[4:5], s[4:5], 0x0
	s_waitcnt lgkmcnt(0)
	s_sub_i32 s4, s5, s4
	s_cmp_eq_u32 s4, 1
	s_cselect_b32 s4, -1, 0
	s_delay_alu instid0(SALU_CYCLE_1)
	s_and_not1_b32 vcc_lo, exec_lo, s4
	s_cbranch_vccz .LBB1682_4
.LBB1682_2:
	s_nop 0
	s_sendmsg sendmsg(MSG_DEALLOC_VGPRS)
	s_endpgm
.LBB1682_3:
.LBB1682_4:
	s_load_b64 s[4:5], s[0:1], 0x28
	s_lshl_b64 s[6:7], s[34:35], 2
	s_waitcnt lgkmcnt(0)
	s_add_u32 s4, s4, s6
	s_addc_u32 s5, s5, s7
	s_lshl_b32 s12, s14, 8
	s_load_b32 s24, s[4:5], 0x0
	s_waitcnt lgkmcnt(0)
	s_cmp_ge_i32 s12, s24
	s_cbranch_scc1 .LBB1682_2
; %bb.5:
	s_clause 0x1
	s_load_b128 s[20:23], s[0:1], 0x8
	s_load_b64 s[4:5], s[0:1], 0x20
	s_and_not1_b32 vcc_lo, exec_lo, s8
	s_cbranch_vccnz .LBB1682_7
; %bb.6:
	s_add_u32 s2, s2, s6
	s_addc_u32 s3, s3, s7
	s_load_b32 s3, s[2:3], 0x0
	s_branch .LBB1682_8
.LBB1682_7:
	s_mov_b32 s3, s34
.LBB1682_8:
	s_load_b128 s[16:19], s[0:1], 0x48
	v_lshrrev_b32_e32 v66, 5, v0
	v_bfe_u32 v74, v0, 4, 1
	v_and_b32_e32 v65, 15, v0
	v_and_b32_e32 v67, 31, v0
	;; [unrolled: 1-line block ×3, first 2 shown]
	s_mul_i32 s31, s15, 5
	v_lshl_or_b32 v1, v66, 1, v74
	v_lshlrev_b32_e32 v2, 3, v65
	v_cmp_gt_u32_e64 s2, 8, v65
	s_delay_alu instid0(VALU_DEP_3) | instskip(NEXT) | instid1(VALU_DEP_3)
	v_cmp_gt_u32_e32 vcc_lo, 5, v1
	v_lshlrev_b32_e32 v73, 1, v2
	s_delay_alu instid0(VALU_DEP_3) | instskip(NEXT) | instid1(SALU_CYCLE_1)
	s_and_b32 s7, s2, vcc_lo
	s_and_saveexec_b32 s6, s7
	s_cbranch_execz .LBB1682_10
; %bb.9:
	s_load_b64 s[8:9], s[0:1], 0x0
	v_add_lshl_u32 v2, v1, s31, 6
	s_waitcnt lgkmcnt(0)
	s_mul_hi_i32 s11, s3, s16
	s_mul_i32 s10, s3, s16
	v_lshlrev_b32_e32 v6, 10, v65
	s_lshl_b64 s[10:11], s[10:11], 1
	v_ashrrev_i32_e32 v3, 31, v2
	v_lshlrev_b32_e32 v1, 6, v1
	v_lshlrev_b32_e32 v7, 10, v75
	v_and_b32_e32 v6, 0x3800, v6
	s_delay_alu instid0(VALU_DEP_4) | instskip(NEXT) | instid1(VALU_DEP_2)
	v_lshlrev_b64 v[2:3], 1, v[2:3]
	v_or3_b32 v1, v6, v7, v1
	s_add_u32 s3, s8, s10
	s_addc_u32 s7, s9, s11
	s_delay_alu instid0(VALU_DEP_2) | instskip(NEXT) | instid1(VALU_DEP_3)
	v_add_co_u32 v2, vcc_lo, s3, v2
	v_add_co_ci_u32_e32 v3, vcc_lo, s7, v3, vcc_lo
	s_delay_alu instid0(VALU_DEP_2) | instskip(NEXT) | instid1(VALU_DEP_2)
	v_add_co_u32 v2, vcc_lo, v2, v73
	v_add_co_ci_u32_e32 v3, vcc_lo, 0, v3, vcc_lo
	global_load_b128 v[2:5], v[2:3], off
	s_waitcnt vmcnt(0)
	ds_store_b128 v1, v[2:5]
.LBB1682_10:
	s_or_b32 exec_lo, exec_lo, s6
	v_and_b32_e32 v1, 0xef, v0
	s_waitcnt lgkmcnt(0)
	s_add_i32 s3, s24, 15
	s_clause 0x1
	s_load_b32 s6, s[0:1], 0x38
	s_load_b32 s19, s[0:1], 0x1c
	s_ashr_i32 s7, s3, 31
	v_add_nc_u32_e32 v1, s12, v1
	s_lshr_b32 s7, s7, 28
	s_waitcnt lgkmcnt(0)
	s_add_i32 s3, s3, s7
	s_barrier
	v_ashrrev_i32_e32 v2, 31, v1
	v_or_b32_e32 v3, 16, v1
	s_ashr_i32 s3, s3, 4
	v_cmp_gt_i32_e32 vcc_lo, s24, v1
	s_add_i32 s3, s3, -1
	v_lshrrev_b32_e32 v2, 28, v2
	buffer_gl0_inv
	s_mul_i32 s27, s15, s18
	v_add_nc_u32_e32 v4, v1, v2
	s_mul_i32 s6, s34, s6
	s_delay_alu instid0(SALU_CYCLE_1) | instskip(NEXT) | instid1(VALU_DEP_1)
	s_ashr_i32 s7, s6, 31
	v_ashrrev_i32_e32 v4, 4, v4
	v_add_nc_u32_e32 v2, v3, v2
	s_lshl_b64 s[6:7], s[6:7], 2
	s_delay_alu instid0(SALU_CYCLE_1) | instskip(NEXT) | instid1(VALU_DEP_2)
	s_add_u32 s26, s4, s6
	v_cndmask_b32_e32 v1, s3, v4, vcc_lo
	s_delay_alu instid0(VALU_DEP_2)
	v_ashrrev_i32_e32 v2, 4, v2
	v_cmp_gt_i32_e32 vcc_lo, s24, v3
	s_addc_u32 s25, s5, s7
	s_ashr_i32 s28, s27, 31
	s_add_u32 s13, s20, s27
	s_addc_u32 s15, s21, s28
	v_cndmask_b32_e32 v3, s3, v2, vcc_lo
	v_ashrrev_i32_e32 v2, 31, v1
	s_lshl_b32 s4, s14, 4
	s_delay_alu instid0(SALU_CYCLE_1) | instskip(NEXT) | instid1(VALU_DEP_2)
	s_ashr_i32 s5, s4, 31
	v_ashrrev_i32_e32 v4, 31, v3
	s_delay_alu instid0(VALU_DEP_2) | instskip(SKIP_1) | instid1(SALU_CYCLE_1)
	v_lshlrev_b64 v[1:2], 2, v[1:2]
	s_lshl_b64 s[4:5], s[4:5], 2
	s_add_u32 s4, s26, s4
	s_delay_alu instid0(VALU_DEP_2) | instskip(SKIP_1) | instid1(VALU_DEP_2)
	v_lshlrev_b64 v[3:4], 2, v[3:4]
	s_addc_u32 s5, s25, s5
	v_add_co_u32 v1, vcc_lo, s26, v1
	v_add_co_ci_u32_e32 v2, vcc_lo, s25, v2, vcc_lo
	s_delay_alu instid0(VALU_DEP_3) | instskip(NEXT) | instid1(VALU_DEP_4)
	v_add_co_u32 v3, vcc_lo, s26, v3
	v_add_co_ci_u32_e32 v4, vcc_lo, s25, v4, vcc_lo
	s_clause 0x1
	global_load_b32 v5, v[1:2], off
	global_load_b32 v7, v[3:4], off
	s_or_b32 s6, s12, 32
	v_lshlrev_b32_e32 v1, 4, v0
	s_ashr_i32 s7, s6, 4
	s_cmp_lt_i32 s6, s24
	s_cselect_b32 s6, s7, s3
	s_delay_alu instid0(VALU_DEP_1) | instskip(SKIP_1) | instid1(SALU_CYCLE_1)
	v_and_b32_e32 v1, 0xf0, v1
	s_ashr_i32 s7, s6, 31
	s_lshl_b64 s[6:7], s[6:7], 2
	s_delay_alu instid0(SALU_CYCLE_1)
	s_add_u32 s6, s26, s6
	s_addc_u32 s7, s25, s7
	s_or_b32 s8, s12, 64
	v_add_co_u32 v1, s13, s13, v1
	s_ashr_i32 s9, s8, 4
	s_cmp_lt_i32 s8, s24
	v_add_co_ci_u32_e64 v2, null, s15, 0, s13
	s_cselect_b32 s8, s9, s3
	s_delay_alu instid0(SALU_CYCLE_1) | instskip(NEXT) | instid1(SALU_CYCLE_1)
	s_ashr_i32 s9, s8, 31
	s_lshl_b64 s[8:9], s[8:9], 2
	s_delay_alu instid0(SALU_CYCLE_1) | instskip(SKIP_2) | instid1(SALU_CYCLE_1)
	s_add_u32 s8, s26, s8
	s_addc_u32 s9, s25, s9
	s_or_b32 s10, s12, 0x60
	s_ashr_i32 s11, s10, 4
	s_cmp_lt_i32 s10, s24
	s_cselect_b32 s10, s11, s3
	s_delay_alu instid0(SALU_CYCLE_1) | instskip(NEXT) | instid1(SALU_CYCLE_1)
	s_ashr_i32 s11, s10, 31
	s_lshl_b64 s[10:11], s[10:11], 2
	s_delay_alu instid0(SALU_CYCLE_1) | instskip(SKIP_2) | instid1(SALU_CYCLE_1)
	s_add_u32 s10, s26, s10
	s_addc_u32 s11, s25, s11
	s_or_b32 s16, s12, 0x80
	s_ashr_i32 s18, s16, 4
	s_cmp_lt_i32 s16, s24
	;; [unrolled: 10-line block ×3, first 2 shown]
	s_cselect_b32 s20, s18, s3
	s_delay_alu instid0(SALU_CYCLE_1) | instskip(NEXT) | instid1(SALU_CYCLE_1)
	s_ashr_i32 s21, s20, 31
	s_lshl_b64 s[20:21], s[20:21], 2
	s_delay_alu instid0(SALU_CYCLE_1)
	s_add_u32 s38, s26, s20
	s_addc_u32 s39, s25, s21
	s_clause 0x5
	s_load_b32 s21, s[4:5], 0x0
	s_load_b32 s13, s[6:7], 0x0
	;; [unrolled: 1-line block ×6, first 2 shown]
	s_or_b32 s9, s12, 0xc0
	s_mov_b32 s4, 0
	s_ashr_i32 s10, s9, 4
	s_cmp_lt_i32 s9, s24
	s_mov_b32 s11, s4
	s_cselect_b32 s36, s10, s3
	s_mov_b32 s5, s4
	s_ashr_i32 s37, s36, 31
	s_mov_b32 s6, s4
	s_lshl_b64 s[36:37], s[36:37], 2
	s_mov_b32 s7, s4
	s_add_u32 s36, s26, s36
	s_addc_u32 s37, s25, s37
	s_or_b32 s29, s12, 0xe0
	s_mov_b32 s8, s4
	s_ashr_i32 s30, s29, 4
	s_mov_b32 s9, s4
	s_mov_b32 s10, s4
	s_cmp_lt_i32 s29, s24
	v_dual_mov_b32 v107, s11 :: v_dual_mov_b32 v100, s4
	v_mov_b32_e32 v106, s10
	v_dual_mov_b32 v104, s8 :: v_dual_mov_b32 v103, s7
	v_dual_mov_b32 v102, s6 :: v_dual_mov_b32 v101, s5
	s_waitcnt vmcnt(1)
	v_mad_i64_i32 v[3:4], null, v5, s17, v[1:2]
	s_waitcnt vmcnt(0)
	v_mad_i64_i32 v[5:6], null, v7, s17, v[1:2]
	v_mul_lo_u16 v1, v65, 52
	v_lshlrev_b32_e32 v2, 4, v65
	s_clause 0x7
	global_load_b128 v[49:52], v[3:4], off
	global_load_b128 v[53:56], v[3:4], off offset:256
	global_load_b128 v[76:79], v[5:6], off
	global_load_b128 v[80:83], v[5:6], off offset:256
	global_load_b128 v[84:87], v[3:4], off offset:512
	;; [unrolled: 1-line block ×5, first 2 shown]
	v_lshrrev_b16 v1, 8, v1
	v_lshl_or_b32 v2, v66, 8, v2
	s_delay_alu instid0(VALU_DEP_2) | instskip(NEXT) | instid1(VALU_DEP_1)
	v_mul_lo_u16 v1, v1, 5
	v_sub_nc_u16 v1, v65, v1
	s_delay_alu instid0(VALU_DEP_1)
	v_and_b32_e32 v1, 0xff, v1
	v_mov_b32_e32 v105, s9
	s_cselect_b32 s4, s30, s3
	s_load_b32 s3, s[36:37], 0x0
	s_ashr_i32 s5, s4, 31
	v_lshlrev_b32_e32 v70, 6, v1
	s_lshl_b64 s[4:5], s[4:5], 2
	ds_load_b128 v[108:111], v70
	ds_load_b128 v[112:115], v70 offset:1024
	s_add_u32 s4, s26, s4
	s_addc_u32 s5, s25, s5
	s_add_u32 s6, s22, s27
	s_load_b32 s4, s[4:5], 0x0
	s_addc_u32 s7, s23, s28
	v_add_co_u32 v9, s6, s6, v2
	s_delay_alu instid0(VALU_DEP_1) | instskip(SKIP_1) | instid1(VALU_DEP_1)
	v_add_co_ci_u32_e64 v10, null, s7, 0, s6
	s_waitcnt lgkmcnt(0)
	v_mad_i64_i32 v[1:2], null, s21, s17, v[9:10]
	v_mad_i64_i32 v[3:4], null, s13, s17, v[9:10]
	;; [unrolled: 1-line block ×7, first 2 shown]
	s_clause 0x9
	global_load_b128 v[57:60], v[1:2], off
	global_load_b128 v[61:64], v[1:2], off offset:16
	global_load_b128 v[41:44], v[3:4], off
	global_load_b128 v[45:48], v[3:4], off offset:16
	;; [unrolled: 2-line block ×5, first 2 shown]
	v_mad_i64_i32 v[68:69], null, s4, s17, v[9:10]
	s_clause 0x3
	global_load_b128 v[9:12], v[13:14], off
	global_load_b128 v[13:16], v[13:14], off offset:16
	global_load_b128 v[17:20], v[21:22], off
	global_load_b128 v[21:24], v[21:22], off offset:16
	s_waitcnt vmcnt(20)
	v_wmma_f32_16x16x16_bf16 v[116:123], v[49:56], v[108:115], v[100:107]
	s_clause 0x1
	global_load_b128 v[49:52], v[68:69], off
	global_load_b128 v[53:56], v[68:69], off offset:16
	v_and_b32_e32 v68, 0xe0, v0
	v_mbcnt_lo_u32_b32 v69, -1, 0
	s_delay_alu instid0(VALU_DEP_2)
	v_add_nc_u32_e32 v68, s12, v68
	s_waitcnt vmcnt(20)
	v_wmma_f32_16x16x16_bf16 v[100:107], v[76:83], v[108:115], v[100:107]
	ds_load_b128 v[76:79], v70 offset:2048
	ds_load_b128 v[80:83], v70 offset:3072
	v_xor_b32_e32 v70, 16, v69
	s_waitcnt vmcnt(0) lgkmcnt(0)
	v_or_b32_e32 v68, v68, v74
	s_barrier
	buffer_gl0_inv
	v_cmp_gt_i32_e32 vcc_lo, 32, v70
	v_or_b32_e32 v71, 4, v68
	v_or_b32_e32 v72, 6, v68
	v_cmp_gt_i32_e64 s3, s24, v68
	v_or_b32_e32 v108, 8, v68
	v_or_b32_e32 v109, 10, v68
	v_cmp_gt_i32_e64 s4, s24, v71
	v_cmp_gt_i32_e64 s5, s24, v72
	s_delay_alu instid0(VALU_DEP_4) | instskip(NEXT) | instid1(VALU_DEP_4)
	v_cmp_gt_i32_e64 s6, s24, v108
	v_cmp_gt_i32_e64 s7, s24, v109
	v_wmma_f32_16x16x16_bf16 v[116:123], v[84:91], v[76:83], v[116:123]
	v_cndmask_b32_e32 v69, v69, v70, vcc_lo
	v_or_b32_e32 v70, 2, v68
	v_wmma_f32_16x16x16_bf16 v[100:107], v[92:99], v[76:83], v[100:107]
	v_or_b32_e32 v89, 22, v68
	v_dual_mul_f32 v80, s19, v121 :: v_dual_mul_f32 v81, s19, v120
	v_dual_mul_f32 v92, s19, v117 :: v_dual_mul_f32 v93, s19, v116
	s_delay_alu instid0(VALU_DEP_4)
	v_mul_f32_e32 v96, s19, v105
	v_cmp_gt_i32_e32 vcc_lo, s24, v70
	v_dual_mul_f32 v79, s19, v122 :: v_dual_mul_f32 v82, s19, v119
	v_dual_mul_f32 v83, s19, v118 :: v_dual_mul_f32 v94, s19, v107
	v_cndmask_b32_e64 v93, 0xff7fffff, v93, s3
	v_cndmask_b32_e32 v92, 0xff7fffff, v92, vcc_lo
	v_or_b32_e32 v84, 12, v68
	v_or_b32_e32 v85, 14, v68
	v_cndmask_b32_e64 v71, 0xff7fffff, v83, s4
	v_cndmask_b32_e64 v72, 0xff7fffff, v82, s5
	v_cmp_gt_i32_e64 s13, s24, v89
	v_lshlrev_b32_e32 v89, 2, v69
	v_max3_f32 v82, v93, 0xff7fffff, v92
	v_or_b32_e32 v86, 16, v68
	v_or_b32_e32 v87, 18, v68
	v_mul_f32_e32 v78, s19, v123
	v_cndmask_b32_e64 v81, 0xff7fffff, v81, s6
	v_cndmask_b32_e64 v80, 0xff7fffff, v80, s7
	v_max3_f32 v71, v82, v71, v72
	v_cmp_gt_i32_e64 s8, s24, v84
	v_cmp_gt_i32_e64 s9, s24, v85
	v_or_b32_e32 v88, 20, v68
	v_or_b32_e32 v90, 24, v68
	;; [unrolled: 1-line block ×5, first 2 shown]
	v_dual_mul_f32 v97, s19, v104 :: v_dual_mul_f32 v70, s19, v101
	v_dual_mul_f32 v99, s19, v102 :: v_dual_mul_f32 v68, s19, v100
	v_cndmask_b32_e64 v72, 0xff7fffff, v79, s8
	v_cndmask_b32_e64 v78, 0xff7fffff, v78, s9
	v_max3_f32 v71, v71, v81, v80
	v_cmp_gt_i32_e64 s10, s24, v86
	v_cmp_gt_i32_e64 s11, s24, v87
	v_dual_mul_f32 v95, s19, v106 :: v_dual_mul_f32 v98, s19, v103
	s_delay_alu instid0(VALU_DEP_4) | instskip(NEXT) | instid1(VALU_DEP_4)
	v_max3_f32 v71, v71, v72, v78
	v_cndmask_b32_e64 v68, 0xff7fffff, v68, s10
	s_delay_alu instid0(VALU_DEP_4)
	v_cndmask_b32_e64 v70, 0xff7fffff, v70, s11
	v_cmp_gt_i32_e64 s12, s24, v88
	v_cndmask_b32_e64 v78, 0xff7fffff, v98, s13
	v_cmp_gt_i32_e64 s15, s24, v90
	v_cmp_gt_i32_e64 s16, s24, v91
	v_max3_f32 v68, v71, v68, v70
	v_cndmask_b32_e64 v72, 0xff7fffff, v99, s12
	v_cmp_gt_i32_e64 s17, s24, v76
	v_cndmask_b32_e64 v70, 0xff7fffff, v97, s15
	v_cndmask_b32_e64 v71, 0xff7fffff, v96, s16
	v_cmp_gt_i32_e64 s18, s24, v77
	v_max3_f32 v68, v68, v72, v78
	v_cndmask_b32_e64 v72, 0xff7fffff, v95, s17
	s_delay_alu instid0(VALU_DEP_3) | instskip(NEXT) | instid1(VALU_DEP_3)
	v_cndmask_b32_e64 v76, 0xff7fffff, v94, s18
	v_max3_f32 v68, v68, v70, v71
	s_delay_alu instid0(VALU_DEP_1) | instskip(SKIP_3) | instid1(VALU_DEP_1)
	v_max3_f32 v68, v68, v72, v76
	ds_bpermute_b32 v69, v89, v68
	s_waitcnt lgkmcnt(0)
	v_max_f32_e32 v69, v69, v69
	v_max_f32_e32 v68, v68, v69
	s_delay_alu instid0(VALU_DEP_1) | instskip(NEXT) | instid1(VALU_DEP_1)
	v_fma_f32 v71, s19, v118, -v68
	v_mul_f32_e32 v71, 0x3fb8aa3b, v71
	v_fma_f32 v70, s19, v117, -v68
	v_fma_f32 v69, s19, v116, -v68
	;; [unrolled: 1-line block ×5, first 2 shown]
	s_delay_alu instid0(VALU_DEP_4) | instskip(SKIP_1) | instid1(VALU_DEP_3)
	v_dual_mul_f32 v70, 0x3fb8aa3b, v70 :: v_dual_mul_f32 v69, 0x3fb8aa3b, v69
	v_exp_f32_e32 v71, v71
	v_mul_f32_e32 v72, 0x3fb8aa3b, v72
	v_fma_f32 v81, s19, v105, -v68
	s_delay_alu instid0(VALU_DEP_3)
	v_exp_f32_e32 v70, v70
	v_mul_f32_e32 v77, 0x3fb8aa3b, v76
	v_exp_f32_e32 v69, v69
	v_exp_f32_e32 v72, v72
	v_mul_f32_e32 v81, 0x3fb8aa3b, v81
	v_cndmask_b32_e64 v83, 0, v71, s4
	v_fma_f32 v71, s19, v123, -v68
	s_delay_alu instid0(VALU_DEP_3) | instskip(SKIP_4) | instid1(TRANS32_DEP_3)
	v_exp_f32_e32 v81, v81
	v_cndmask_b32_e32 v76, 0, v70, vcc_lo
	v_exp_f32_e32 v77, v77
	v_cndmask_b32_e64 v80, 0, v69, s3
	v_fma_f32 v69, s19, v121, -v68
	v_cndmask_b32_e64 v85, 0, v72, s5
	v_mul_f32_e32 v71, 0x3fb8aa3b, v71
	v_fma_f32 v72, s19, v100, -v68
	s_delay_alu instid0(VALU_DEP_4) | instskip(SKIP_1) | instid1(VALU_DEP_4)
	v_dual_add_f32 v70, 0, v80 :: v_dual_mul_f32 v69, 0x3fb8aa3b, v69
	v_cmp_gt_u32_e64 s3, 16, v67
	v_exp_f32_e32 v71, v71
	s_delay_alu instid0(TRANS32_DEP_2) | instskip(SKIP_4) | instid1(VALU_DEP_3)
	v_cndmask_b32_e64 v86, 0, v77, s6
	v_fma_f32 v77, s19, v101, -v68
	v_mul_f32_e32 v78, 0x3fb8aa3b, v78
	v_add_f32_e32 v70, v70, v76
	v_exp_f32_e32 v69, v69
	v_mul_f32_e32 v77, 0x3fb8aa3b, v77
	s_delay_alu instid0(VALU_DEP_3) | instskip(NEXT) | instid1(TRANS32_DEP_3)
	v_exp_f32_e32 v78, v78
	v_cndmask_b32_e64 v88, 0, v71, s9
	v_fma_f32 v71, s19, v104, -v68
	s_delay_alu instid0(VALU_DEP_3) | instskip(NEXT) | instid1(TRANS32_DEP_3)
	v_exp_f32_e32 v77, v77
	v_cndmask_b32_e64 v87, 0, v69, s7
	s_delay_alu instid0(VALU_DEP_2)
	v_mul_f32_e32 v71, 0x3fb8aa3b, v71
	s_waitcnt_depctr 0xfff
	v_cndmask_b32_e64 v84, 0, v78, s8
	v_add_f32_e32 v70, v70, v83
	v_fma_f32 v78, s19, v103, -v68
	v_exp_f32_e32 v82, v71
	s_delay_alu instid0(VALU_DEP_2) | instskip(SKIP_1) | instid1(VALU_DEP_3)
	v_add_f32_e32 v70, v70, v85
	v_mul_f32_e32 v72, 0x3fb8aa3b, v72
	v_mul_f32_e32 v78, 0x3fb8aa3b, v78
	s_delay_alu instid0(VALU_DEP_3) | instskip(SKIP_1) | instid1(VALU_DEP_4)
	v_add_f32_e32 v69, v70, v86
	v_fma_f32 v70, s19, v102, -v68
	v_exp_f32_e32 v72, v72
	s_delay_alu instid0(VALU_DEP_3) | instskip(NEXT) | instid1(VALU_DEP_1)
	v_exp_f32_e32 v78, v78
	v_dual_add_f32 v69, v69, v87 :: v_dual_mul_f32 v70, 0x3fb8aa3b, v70
	s_delay_alu instid0(VALU_DEP_1) | instskip(NEXT) | instid1(VALU_DEP_2)
	v_add_f32_e32 v69, v69, v84
	v_exp_f32_e32 v79, v70
	s_delay_alu instid0(TRANS32_DEP_3) | instskip(NEXT) | instid1(VALU_DEP_2)
	v_cndmask_b32_e64 v70, 0, v72, s10
	v_add_f32_e32 v72, v69, v88
	v_cndmask_b32_e64 v69, 0, v77, s11
	v_fma_f32 v77, s19, v106, -v68
	s_waitcnt_depctr 0xfff
	v_cndmask_b32_e64 v71, 0, v79, s12
	v_dual_mul_f32 v77, 0x3fb8aa3b, v77 :: v_dual_add_f32 v72, v72, v70
	s_delay_alu instid0(VALU_DEP_1) | instskip(NEXT) | instid1(VALU_DEP_1)
	v_exp_f32_e32 v90, v77
	v_add_f32_e32 v79, v72, v69
	v_cndmask_b32_e64 v72, 0, v78, s13
	v_cndmask_b32_e64 v77, 0, v82, s15
	s_delay_alu instid0(VALU_DEP_3) | instskip(SKIP_1) | instid1(VALU_DEP_1)
	v_add_f32_e32 v78, v79, v71
	v_fma_f32 v79, s19, v107, -v68
	v_dual_add_f32 v82, v78, v72 :: v_dual_mul_f32 v79, 0x3fb8aa3b, v79
	v_cndmask_b32_e64 v78, 0, v81, s16
	s_delay_alu instid0(VALU_DEP_2) | instskip(NEXT) | instid1(VALU_DEP_3)
	v_add_f32_e32 v81, v82, v77
	v_exp_f32_e32 v82, v79
	v_cndmask_b32_e64 v79, 0, v90, s17
	s_delay_alu instid0(VALU_DEP_2) | instskip(NEXT) | instid1(VALU_DEP_1)
	v_add_f32_e32 v81, v81, v78
	v_add_f32_e32 v90, v81, v79
	s_waitcnt_depctr 0xfff
	v_cndmask_b32_e64 v81, 0, v82, s18
	s_delay_alu instid0(VALU_DEP_1)
	v_add_f32_e32 v82, v90, v81
	ds_bpermute_b32 v89, v89, v82
	s_and_saveexec_b32 s4, s3
	s_cbranch_execz .LBB1682_12
; %bb.11:
	v_mul_u32_u24_e32 v67, 0x44, v66
	s_delay_alu instid0(VALU_DEP_1) | instskip(SKIP_1) | instid1(VALU_DEP_1)
	v_lshl_add_u32 v67, v65, 2, v67
	s_waitcnt lgkmcnt(0)
	v_dual_add_f32 v82, v82, v89 :: v_dual_add_nc_u32 v67, 0x4000, v67
	ds_store_2addr_b32 v67, v68, v82 offset1:136
.LBB1682_12:
	s_or_b32 exec_lo, exec_lo, s4
	v_lshlrev_b32_e32 v67, 2, v65
	s_waitcnt lgkmcnt(0)
	s_barrier
	buffer_gl0_inv
	v_cmp_eq_u32_e32 vcc_lo, 1, v66
	v_add_nc_u32_e32 v82, 0x4000, v67
	v_cmp_eq_u32_e64 s4, 2, v66
	v_cmp_eq_u32_e64 s6, 7, v66
	ds_load_2addr_b32 v[89:90], v82 offset1:17
	ds_load_2addr_b32 v[91:92], v82 offset0:34 offset1:51
	ds_load_2addr_b32 v[93:94], v82 offset0:68 offset1:85
	;; [unrolled: 1-line block ×4, first 2 shown]
	s_waitcnt lgkmcnt(4)
	v_max3_f32 v67, v89, 0xff7fffff, v90
	s_waitcnt lgkmcnt(3)
	s_delay_alu instid0(VALU_DEP_1) | instskip(SKIP_1) | instid1(VALU_DEP_1)
	v_max3_f32 v67, v67, v91, v92
	s_waitcnt lgkmcnt(2)
	v_max3_f32 v67, v67, v93, v94
	s_waitcnt lgkmcnt(1)
	s_delay_alu instid0(VALU_DEP_1) | instskip(NEXT) | instid1(VALU_DEP_1)
	v_max3_f32 v67, v67, v95, v96
	v_sub_f32_e32 v93, v93, v67
	s_delay_alu instid0(VALU_DEP_1) | instskip(NEXT) | instid1(VALU_DEP_1)
	v_dual_sub_f32 v68, v89, v67 :: v_dual_mul_f32 v103, 0x3fb8aa3b, v93
	v_mul_f32_e32 v68, 0x3fb8aa3b, v68
	s_delay_alu instid0(VALU_DEP_1)
	v_exp_f32_e32 v100, v68
	v_sub_f32_e32 v68, v92, v67
	v_sub_f32_e32 v99, v90, v67
	ds_load_2addr_b32 v[89:90], v82 offset0:170 offset1:187
	v_dual_mul_f32 v102, 0x3fb8aa3b, v68 :: v_dual_mul_f32 v99, 0x3fb8aa3b, v99
	s_waitcnt lgkmcnt(1)
	v_fma_f32 v68, v100, v97, 0
	s_delay_alu instid0(VALU_DEP_2) | instskip(NEXT) | instid1(VALU_DEP_2)
	v_exp_f32_e32 v102, v102
	v_exp_f32_e32 v99, v99
	s_waitcnt_depctr 0xfff
	v_fmac_f32_e32 v68, v99, v98
	v_sub_f32_e32 v91, v91, v67
	s_delay_alu instid0(VALU_DEP_1)
	v_mul_f32_e32 v101, 0x3fb8aa3b, v91
	ds_load_2addr_b32 v[91:92], v82 offset0:204 offset1:221
	v_sub_f32_e32 v97, v94, v67
	ds_load_2addr_b32 v[93:94], v82 offset0:238 offset1:255
	s_waitcnt lgkmcnt(0)
	v_exp_f32_e32 v101, v101
	s_barrier
	buffer_gl0_inv
	v_dual_fmac_f32 v68, v101, v89 :: v_dual_sub_f32 v89, v96, v67
	v_dual_sub_f32 v82, v95, v67 :: v_dual_mul_f32 v95, 0x3fb8aa3b, v97
	v_exp_f32_e32 v97, v103
	s_delay_alu instid0(VALU_DEP_2) | instskip(NEXT) | instid1(VALU_DEP_2)
	v_dual_fmac_f32 v68, v102, v90 :: v_dual_mul_f32 v89, 0x3fb8aa3b, v89
	v_mul_f32_e32 v82, 0x3fb8aa3b, v82
	s_delay_alu instid0(VALU_DEP_3) | instskip(NEXT) | instid1(VALU_DEP_2)
	v_exp_f32_e32 v95, v95
	v_exp_f32_e32 v89, v89
	s_delay_alu instid0(VALU_DEP_1)
	v_exp_f32_e32 v82, v82
	v_fmac_f32_e32 v68, v97, v91
	s_delay_alu instid0(TRANS32_DEP_3) | instid1(VALU_DEP_1)
	v_fmac_f32_e32 v68, v95, v92
	s_waitcnt_depctr 0xfff
	v_fmac_f32_e32 v68, v82, v93
	s_delay_alu instid0(VALU_DEP_1) | instskip(NEXT) | instid1(VALU_DEP_1)
	v_fmac_f32_e32 v68, v89, v94
	v_add_f32_e32 v90, 0x358637bd, v68
	s_delay_alu instid0(VALU_DEP_1) | instskip(NEXT) | instid1(VALU_DEP_1)
	v_div_scale_f32 v91, null, v90, v90, 1.0
	v_rcp_f32_e32 v92, v91
	s_waitcnt_depctr 0xfff
	v_fma_f32 v93, -v91, v92, 1.0
	s_delay_alu instid0(VALU_DEP_1) | instskip(SKIP_1) | instid1(VALU_DEP_2)
	v_dual_fmac_f32 v92, v93, v92 :: v_dual_cndmask_b32 v93, v100, v99
	v_cmp_eq_u32_e32 vcc_lo, 3, v66
	v_cndmask_b32_e64 v93, v93, v101, s4
	v_cmp_eq_u32_e64 s4, 4, v66
	s_delay_alu instid0(VALU_DEP_2) | instskip(SKIP_1) | instid1(VALU_DEP_2)
	v_cndmask_b32_e32 v93, v93, v102, vcc_lo
	v_cmp_eq_u32_e32 vcc_lo, 5, v66
	v_cndmask_b32_e64 v93, v93, v97, s4
	v_cmp_eq_u32_e64 s4, 6, v66
	s_delay_alu instid0(VALU_DEP_2) | instskip(SKIP_1) | instid1(VALU_DEP_1)
	v_cndmask_b32_e32 v93, v93, v95, vcc_lo
	v_div_scale_f32 v94, s5, 1.0, v90, 1.0
	s_mov_b32 vcc_lo, s5
	s_delay_alu instid0(VALU_DEP_2) | instskip(NEXT) | instid1(VALU_DEP_2)
	v_cndmask_b32_e64 v82, v93, v82, s4
	v_mul_f32_e32 v96, v94, v92
	s_mov_b32 s4, exec_lo
	s_delay_alu instid0(VALU_DEP_2) | instskip(NEXT) | instid1(VALU_DEP_2)
	v_cndmask_b32_e64 v82, v82, v89, s6
	v_fma_f32 v98, -v91, v96, v94
	s_delay_alu instid0(VALU_DEP_1) | instskip(NEXT) | instid1(VALU_DEP_1)
	v_fmac_f32_e32 v96, v98, v92
	v_fma_f32 v91, -v91, v96, v94
	s_delay_alu instid0(VALU_DEP_1) | instskip(NEXT) | instid1(VALU_DEP_1)
	v_div_fmas_f32 v91, v91, v92, v96
	v_div_fixup_f32 v90, v91, v90, 1.0
	s_delay_alu instid0(VALU_DEP_1) | instskip(NEXT) | instid1(VALU_DEP_1)
	v_mul_f32_e32 v82, v82, v90
	v_mul_f32_e32 v87, v82, v87
	;; [unrolled: 1-line block ×7, first 2 shown]
	v_dual_mul_f32 v86, v82, v83 :: v_dual_and_b32 v91, 0x7f800000, v90
	v_mul_f32_e32 v85, v82, v76
                                        ; implicit-def: $vgpr76
	s_delay_alu instid0(VALU_DEP_2)
	v_cmpx_ne_u32_e32 0x7f800000, v91
	s_xor_b32 s4, exec_lo, s4
; %bb.13:
	v_bfe_u32 v76, v90, 16, 1
	s_delay_alu instid0(VALU_DEP_1)
	v_add3_u32 v76, v90, v76, 0x7fff
                                        ; implicit-def: $vgpr90
; %bb.14:
	s_and_not1_saveexec_b32 s4, s4
; %bb.15:
	v_and_b32_e32 v76, 0xffff, v90
	v_or_b32_e32 v83, 0x10000, v90
	s_delay_alu instid0(VALU_DEP_2) | instskip(NEXT) | instid1(VALU_DEP_2)
	v_cmp_eq_u32_e32 vcc_lo, 0, v76
	v_cndmask_b32_e32 v76, v83, v90, vcc_lo
; %bb.16:
	s_or_b32 exec_lo, exec_lo, s4
	v_and_b32_e32 v83, 0x7f800000, v85
	s_delay_alu instid0(VALU_DEP_1) | instskip(SKIP_1) | instid1(SALU_CYCLE_1)
	v_cmp_ne_u32_e32 vcc_lo, 0x7f800000, v83
                                        ; implicit-def: $vgpr83
	s_and_saveexec_b32 s4, vcc_lo
	s_xor_b32 s4, exec_lo, s4
; %bb.17:
	v_bfe_u32 v83, v85, 16, 1
	s_delay_alu instid0(VALU_DEP_1)
	v_add3_u32 v83, v85, v83, 0x7fff
                                        ; implicit-def: $vgpr85
; %bb.18:
	s_and_not1_saveexec_b32 s4, s4
; %bb.19:
	v_and_b32_e32 v83, 0xffff, v85
	v_or_b32_e32 v90, 0x10000, v85
	s_delay_alu instid0(VALU_DEP_2) | instskip(NEXT) | instid1(VALU_DEP_2)
	v_cmp_eq_u32_e32 vcc_lo, 0, v83
	v_cndmask_b32_e32 v83, v90, v85, vcc_lo
; %bb.20:
	s_or_b32 exec_lo, exec_lo, s4
	v_and_b32_e32 v85, 0x7f800000, v86
	s_delay_alu instid0(VALU_DEP_1) | instskip(SKIP_1) | instid1(SALU_CYCLE_1)
	v_cmp_ne_u32_e32 vcc_lo, 0x7f800000, v85
                                        ; implicit-def: $vgpr85
	s_and_saveexec_b32 s4, vcc_lo
	s_xor_b32 s4, exec_lo, s4
; %bb.21:
	v_bfe_u32 v85, v86, 16, 1
	s_delay_alu instid0(VALU_DEP_1)
	v_add3_u32 v85, v86, v85, 0x7fff
                                        ; implicit-def: $vgpr86
; %bb.22:
	s_and_not1_saveexec_b32 s4, s4
; %bb.23:
	v_and_b32_e32 v85, 0xffff, v86
	v_or_b32_e32 v90, 0x10000, v86
	s_delay_alu instid0(VALU_DEP_2) | instskip(NEXT) | instid1(VALU_DEP_2)
	v_cmp_eq_u32_e32 vcc_lo, 0, v85
	v_cndmask_b32_e32 v85, v90, v86, vcc_lo
; %bb.24:
	s_or_b32 exec_lo, exec_lo, s4
	v_and_b32_e32 v86, 0x7f800000, v89
	s_delay_alu instid0(VALU_DEP_1) | instskip(SKIP_1) | instid1(SALU_CYCLE_1)
	v_cmp_ne_u32_e32 vcc_lo, 0x7f800000, v86
                                        ; implicit-def: $vgpr86
	s_and_saveexec_b32 s4, vcc_lo
	s_xor_b32 s4, exec_lo, s4
; %bb.25:
	v_bfe_u32 v86, v89, 16, 1
	s_delay_alu instid0(VALU_DEP_1)
	v_add3_u32 v86, v89, v86, 0x7fff
                                        ; implicit-def: $vgpr89
; %bb.26:
	s_and_not1_saveexec_b32 s4, s4
; %bb.27:
	v_and_b32_e32 v86, 0xffff, v89
	v_or_b32_e32 v90, 0x10000, v89
	s_delay_alu instid0(VALU_DEP_2) | instskip(NEXT) | instid1(VALU_DEP_2)
	v_cmp_eq_u32_e32 vcc_lo, 0, v86
	v_cndmask_b32_e32 v86, v90, v89, vcc_lo
; %bb.28:
	s_or_b32 exec_lo, exec_lo, s4
	v_and_b32_e32 v89, 0x7f800000, v88
	s_delay_alu instid0(VALU_DEP_1) | instskip(SKIP_1) | instid1(SALU_CYCLE_1)
	v_cmp_ne_u32_e32 vcc_lo, 0x7f800000, v89
                                        ; implicit-def: $vgpr89
	s_and_saveexec_b32 s4, vcc_lo
	s_xor_b32 s4, exec_lo, s4
; %bb.29:
	v_bfe_u32 v89, v88, 16, 1
	s_delay_alu instid0(VALU_DEP_1)
	v_add3_u32 v89, v88, v89, 0x7fff
                                        ; implicit-def: $vgpr88
; %bb.30:
	s_and_not1_saveexec_b32 s4, s4
; %bb.31:
	v_and_b32_e32 v89, 0xffff, v88
	v_or_b32_e32 v90, 0x10000, v88
	s_delay_alu instid0(VALU_DEP_2) | instskip(NEXT) | instid1(VALU_DEP_2)
	v_cmp_eq_u32_e32 vcc_lo, 0, v89
	v_cndmask_b32_e32 v89, v90, v88, vcc_lo
; %bb.32:
	s_or_b32 exec_lo, exec_lo, s4
	v_and_b32_e32 v88, 0x7f800000, v87
	s_delay_alu instid0(VALU_DEP_1) | instskip(SKIP_1) | instid1(SALU_CYCLE_1)
	v_cmp_ne_u32_e32 vcc_lo, 0x7f800000, v88
                                        ; implicit-def: $vgpr88
	s_and_saveexec_b32 s4, vcc_lo
	s_xor_b32 s4, exec_lo, s4
; %bb.33:
	v_bfe_u32 v88, v87, 16, 1
	s_delay_alu instid0(VALU_DEP_1)
	v_add3_u32 v88, v87, v88, 0x7fff
                                        ; implicit-def: $vgpr87
; %bb.34:
	s_and_not1_saveexec_b32 s4, s4
; %bb.35:
	v_and_b32_e32 v88, 0xffff, v87
	v_or_b32_e32 v90, 0x10000, v87
	s_delay_alu instid0(VALU_DEP_2) | instskip(NEXT) | instid1(VALU_DEP_2)
	v_cmp_eq_u32_e32 vcc_lo, 0, v88
	v_cndmask_b32_e32 v88, v90, v87, vcc_lo
; %bb.36:
	s_or_b32 exec_lo, exec_lo, s4
	v_and_b32_e32 v87, 0x7f800000, v84
	s_delay_alu instid0(VALU_DEP_1) | instskip(SKIP_1) | instid1(SALU_CYCLE_1)
	v_cmp_ne_u32_e32 vcc_lo, 0x7f800000, v87
                                        ; implicit-def: $vgpr87
	s_and_saveexec_b32 s4, vcc_lo
	s_xor_b32 s4, exec_lo, s4
; %bb.37:
	v_bfe_u32 v87, v84, 16, 1
	s_delay_alu instid0(VALU_DEP_1)
	v_add3_u32 v87, v84, v87, 0x7fff
                                        ; implicit-def: $vgpr84
; %bb.38:
	s_and_not1_saveexec_b32 s4, s4
; %bb.39:
	v_and_b32_e32 v87, 0xffff, v84
	v_or_b32_e32 v90, 0x10000, v84
	s_delay_alu instid0(VALU_DEP_2) | instskip(NEXT) | instid1(VALU_DEP_2)
	v_cmp_eq_u32_e32 vcc_lo, 0, v87
	v_cndmask_b32_e32 v87, v90, v84, vcc_lo
; %bb.40:
	s_or_b32 exec_lo, exec_lo, s4
	v_and_b32_e32 v84, 0x7f800000, v80
	s_delay_alu instid0(VALU_DEP_1) | instskip(SKIP_1) | instid1(SALU_CYCLE_1)
	v_cmp_ne_u32_e32 vcc_lo, 0x7f800000, v84
                                        ; implicit-def: $vgpr84
	s_and_saveexec_b32 s4, vcc_lo
	s_xor_b32 s4, exec_lo, s4
; %bb.41:
	v_bfe_u32 v84, v80, 16, 1
	s_delay_alu instid0(VALU_DEP_1)
	v_add3_u32 v84, v80, v84, 0x7fff
                                        ; implicit-def: $vgpr80
; %bb.42:
	s_and_not1_saveexec_b32 s4, s4
; %bb.43:
	v_and_b32_e32 v84, 0xffff, v80
	v_or_b32_e32 v90, 0x10000, v80
	s_delay_alu instid0(VALU_DEP_2) | instskip(NEXT) | instid1(VALU_DEP_2)
	v_cmp_eq_u32_e32 vcc_lo, 0, v84
	v_cndmask_b32_e32 v84, v90, v80, vcc_lo
; %bb.44:
	s_or_b32 exec_lo, exec_lo, s4
	s_load_b64 s[36:37], s[0:1], 0x94
	v_lshlrev_b32_e32 v91, 4, v74
	s_delay_alu instid0(VALU_DEP_2)
	v_perm_b32 v90, v84, v87, 0x7060302
	v_dual_mul_f32 v79, v82, v79 :: v_dual_lshlrev_b32 v80, 6, v65
	v_dual_mul_f32 v77, v82, v77 :: v_dual_lshlrev_b32 v92, 11, v66
	v_mul_f32_e32 v84, v82, v70
	v_perm_b32 v89, v88, v89, 0x7060302
	v_perm_b32 v88, v86, v85, 0x7060302
	;; [unrolled: 1-line block ×3, first 2 shown]
	v_mul_f32_e32 v70, v82, v81
	v_or3_b32 v76, v91, v92, v80
	v_dual_mul_f32 v78, v82, v78 :: v_dual_and_b32 v85, 0x7f800000, v84
	v_mul_f32_e32 v83, v82, v72
	v_mul_f32_e32 v81, v82, v71
	;; [unrolled: 1-line block ×3, first 2 shown]
	s_mov_b32 s4, exec_lo
	ds_store_b128 v76, v[87:90]
                                        ; implicit-def: $vgpr69
	v_cmpx_ne_u32_e32 0x7f800000, v85
	s_xor_b32 s4, exec_lo, s4
; %bb.45:
	v_bfe_u32 v69, v84, 16, 1
	s_delay_alu instid0(VALU_DEP_1)
	v_add3_u32 v69, v84, v69, 0x7fff
                                        ; implicit-def: $vgpr84
; %bb.46:
	s_and_not1_saveexec_b32 s4, s4
; %bb.47:
	v_and_b32_e32 v69, 0xffff, v84
	v_or_b32_e32 v71, 0x10000, v84
	s_delay_alu instid0(VALU_DEP_2) | instskip(NEXT) | instid1(VALU_DEP_2)
	v_cmp_eq_u32_e32 vcc_lo, 0, v69
	v_cndmask_b32_e32 v69, v71, v84, vcc_lo
; %bb.48:
	s_or_b32 exec_lo, exec_lo, s4
	v_and_b32_e32 v71, 0x7f800000, v72
	s_delay_alu instid0(VALU_DEP_1) | instskip(SKIP_1) | instid1(SALU_CYCLE_1)
	v_cmp_ne_u32_e32 vcc_lo, 0x7f800000, v71
                                        ; implicit-def: $vgpr71
	s_and_saveexec_b32 s4, vcc_lo
	s_xor_b32 s4, exec_lo, s4
; %bb.49:
	v_bfe_u32 v71, v72, 16, 1
	s_delay_alu instid0(VALU_DEP_1)
	v_add3_u32 v71, v72, v71, 0x7fff
                                        ; implicit-def: $vgpr72
; %bb.50:
	s_and_not1_saveexec_b32 s4, s4
; %bb.51:
	v_and_b32_e32 v71, 0xffff, v72
	v_or_b32_e32 v82, 0x10000, v72
	s_delay_alu instid0(VALU_DEP_2) | instskip(NEXT) | instid1(VALU_DEP_2)
	v_cmp_eq_u32_e32 vcc_lo, 0, v71
	v_cndmask_b32_e32 v71, v82, v72, vcc_lo
; %bb.52:
	s_or_b32 exec_lo, exec_lo, s4
	v_and_b32_e32 v72, 0x7f800000, v81
	s_delay_alu instid0(VALU_DEP_1) | instskip(SKIP_1) | instid1(SALU_CYCLE_1)
	v_cmp_ne_u32_e32 vcc_lo, 0x7f800000, v72
                                        ; implicit-def: $vgpr72
	s_and_saveexec_b32 s4, vcc_lo
	s_xor_b32 s4, exec_lo, s4
; %bb.53:
	v_bfe_u32 v72, v81, 16, 1
	s_delay_alu instid0(VALU_DEP_1)
	v_add3_u32 v72, v81, v72, 0x7fff
                                        ; implicit-def: $vgpr81
; %bb.54:
	s_and_not1_saveexec_b32 s4, s4
; %bb.55:
	v_and_b32_e32 v72, 0xffff, v81
	v_or_b32_e32 v82, 0x10000, v81
	s_delay_alu instid0(VALU_DEP_2) | instskip(NEXT) | instid1(VALU_DEP_2)
	v_cmp_eq_u32_e32 vcc_lo, 0, v72
	v_cndmask_b32_e32 v72, v82, v81, vcc_lo
; %bb.56:
	s_or_b32 exec_lo, exec_lo, s4
	v_and_b32_e32 v81, 0x7f800000, v83
	s_delay_alu instid0(VALU_DEP_1) | instskip(SKIP_1) | instid1(SALU_CYCLE_1)
	v_cmp_ne_u32_e32 vcc_lo, 0x7f800000, v81
                                        ; implicit-def: $vgpr81
	s_and_saveexec_b32 s4, vcc_lo
	s_xor_b32 s4, exec_lo, s4
; %bb.57:
	v_bfe_u32 v81, v83, 16, 1
	s_delay_alu instid0(VALU_DEP_1)
	v_add3_u32 v81, v83, v81, 0x7fff
                                        ; implicit-def: $vgpr83
; %bb.58:
	s_and_not1_saveexec_b32 s4, s4
; %bb.59:
	v_and_b32_e32 v81, 0xffff, v83
	v_or_b32_e32 v82, 0x10000, v83
	s_delay_alu instid0(VALU_DEP_2) | instskip(NEXT) | instid1(VALU_DEP_2)
	v_cmp_eq_u32_e32 vcc_lo, 0, v81
	v_cndmask_b32_e32 v81, v82, v83, vcc_lo
; %bb.60:
	s_or_b32 exec_lo, exec_lo, s4
	v_and_b32_e32 v82, 0x7f800000, v77
	s_delay_alu instid0(VALU_DEP_1) | instskip(SKIP_1) | instid1(SALU_CYCLE_1)
	v_cmp_ne_u32_e32 vcc_lo, 0x7f800000, v82
                                        ; implicit-def: $vgpr82
	s_and_saveexec_b32 s4, vcc_lo
	s_xor_b32 s4, exec_lo, s4
; %bb.61:
	v_bfe_u32 v82, v77, 16, 1
	s_delay_alu instid0(VALU_DEP_1)
	v_add3_u32 v82, v77, v82, 0x7fff
                                        ; implicit-def: $vgpr77
; %bb.62:
	s_and_not1_saveexec_b32 s4, s4
; %bb.63:
	v_and_b32_e32 v82, 0xffff, v77
	v_or_b32_e32 v83, 0x10000, v77
	s_delay_alu instid0(VALU_DEP_2) | instskip(NEXT) | instid1(VALU_DEP_2)
	v_cmp_eq_u32_e32 vcc_lo, 0, v82
	v_cndmask_b32_e32 v82, v83, v77, vcc_lo
; %bb.64:
	s_or_b32 exec_lo, exec_lo, s4
	v_and_b32_e32 v77, 0x7f800000, v78
	s_delay_alu instid0(VALU_DEP_1) | instskip(SKIP_1) | instid1(SALU_CYCLE_1)
	v_cmp_ne_u32_e32 vcc_lo, 0x7f800000, v77
                                        ; implicit-def: $vgpr77
	s_and_saveexec_b32 s4, vcc_lo
	s_xor_b32 s4, exec_lo, s4
; %bb.65:
	v_bfe_u32 v77, v78, 16, 1
	s_delay_alu instid0(VALU_DEP_1)
	v_add3_u32 v77, v78, v77, 0x7fff
                                        ; implicit-def: $vgpr78
; %bb.66:
	s_and_not1_saveexec_b32 s4, s4
; %bb.67:
	v_and_b32_e32 v77, 0xffff, v78
	v_or_b32_e32 v83, 0x10000, v78
	s_delay_alu instid0(VALU_DEP_2) | instskip(NEXT) | instid1(VALU_DEP_2)
	v_cmp_eq_u32_e32 vcc_lo, 0, v77
	v_cndmask_b32_e32 v77, v83, v78, vcc_lo
; %bb.68:
	s_or_b32 exec_lo, exec_lo, s4
	v_and_b32_e32 v78, 0x7f800000, v79
	s_delay_alu instid0(VALU_DEP_1) | instskip(SKIP_1) | instid1(SALU_CYCLE_1)
	v_cmp_ne_u32_e32 vcc_lo, 0x7f800000, v78
                                        ; implicit-def: $vgpr78
	s_and_saveexec_b32 s4, vcc_lo
	s_xor_b32 s4, exec_lo, s4
; %bb.69:
	v_bfe_u32 v78, v79, 16, 1
	s_delay_alu instid0(VALU_DEP_1)
	v_add3_u32 v78, v79, v78, 0x7fff
                                        ; implicit-def: $vgpr79
; %bb.70:
	s_and_not1_saveexec_b32 s4, s4
; %bb.71:
	v_and_b32_e32 v78, 0xffff, v79
	v_or_b32_e32 v83, 0x10000, v79
	s_delay_alu instid0(VALU_DEP_2) | instskip(NEXT) | instid1(VALU_DEP_2)
	v_cmp_eq_u32_e32 vcc_lo, 0, v78
	v_cndmask_b32_e32 v78, v83, v79, vcc_lo
; %bb.72:
	s_or_b32 exec_lo, exec_lo, s4
	v_and_b32_e32 v79, 0x7f800000, v70
	s_delay_alu instid0(VALU_DEP_1) | instskip(SKIP_1) | instid1(SALU_CYCLE_1)
	v_cmp_ne_u32_e32 vcc_lo, 0x7f800000, v79
                                        ; implicit-def: $vgpr79
	s_and_saveexec_b32 s4, vcc_lo
	s_xor_b32 s4, exec_lo, s4
; %bb.73:
	v_bfe_u32 v79, v70, 16, 1
	s_delay_alu instid0(VALU_DEP_1)
	v_add3_u32 v79, v70, v79, 0x7fff
                                        ; implicit-def: $vgpr70
; %bb.74:
	s_and_not1_saveexec_b32 s4, s4
; %bb.75:
	v_and_b32_e32 v79, 0xffff, v70
	v_or_b32_e32 v83, 0x10000, v70
	s_delay_alu instid0(VALU_DEP_2) | instskip(NEXT) | instid1(VALU_DEP_2)
	v_cmp_eq_u32_e32 vcc_lo, 0, v79
	v_cndmask_b32_e32 v79, v83, v70, vcc_lo
; %bb.76:
	s_or_b32 exec_lo, exec_lo, s4
	s_delay_alu instid0(VALU_DEP_1)
	v_perm_b32 v86, v79, v78, 0x7060302
	v_perm_b32 v85, v77, v82, 0x7060302
	;; [unrolled: 1-line block ×4, first 2 shown]
	v_lshl_or_b32 v82, v66, 11, v80
	ds_store_b128 v76, v[83:86] offset:1024
	s_waitcnt lgkmcnt(0)
	s_barrier
	buffer_gl0_inv
	ds_load_b128 v[69:72], v82
	ds_load_b128 v[83:86], v82 offset:16
	s_waitcnt lgkmcnt(1)
	v_lshrrev_b32_e32 v66, 16, v69
	s_waitcnt lgkmcnt(0)
	v_lshrrev_b32_e32 v91, 16, v83
	v_lshlrev_b32_e32 v78, 2, v74
	v_lshrrev_b32_e32 v95, 16, v70
	v_lshrrev_b32_e32 v98, 16, v84
	;; [unrolled: 1-line block ×4, first 2 shown]
	v_cmp_eq_u32_e32 vcc_lo, 1, v78
	v_lshrrev_b32_e32 v97, 16, v72
	v_lshrrev_b32_e32 v100, 16, v86
	v_cndmask_b32_e32 v87, v83, v91, vcc_lo
	v_or_b32_e32 v79, 1, v78
	v_cndmask_b32_e32 v81, v69, v66, vcc_lo
	v_cmp_eq_u32_e64 s5, 2, v78
	v_cmp_eq_u32_e64 s8, 3, v78
	;; [unrolled: 1-line block ×5, first 2 shown]
	v_cndmask_b32_e64 v81, v81, v70, s5
	v_cndmask_b32_e64 v87, v87, v84, s5
	v_cmp_eq_u32_e64 s9, 3, v79
	v_cndmask_b32_e64 v88, v69, v66, s4
	v_or_b32_e32 v77, 2, v78
	v_cndmask_b32_e64 v81, v81, v95, s8
	v_cndmask_b32_e64 v87, v87, v98, s8
	;; [unrolled: 1-line block ×4, first 2 shown]
	v_cmp_eq_u32_e64 s11, 5, v78
	v_cndmask_b32_e64 v81, v81, v71, s10
	v_cndmask_b32_e64 v87, v87, v85, s10
	v_cmp_eq_u32_e64 s12, 4, v79
	v_cndmask_b32_e64 v88, v88, v95, s9
	v_cmp_eq_u32_e64 s6, 1, v77
	v_cndmask_b32_e64 v89, v89, v84, s7
	v_cndmask_b32_e64 v81, v81, v96, s11
	v_cmp_eq_u32_e64 s13, 6, v78
	v_cndmask_b32_e64 v88, v88, v71, s12
	v_cndmask_b32_e64 v87, v87, v99, s11
	v_cmp_eq_u32_e64 s15, 5, v79
	v_cndmask_b32_e64 v90, v69, v66, s6
	v_cndmask_b32_e64 v89, v89, v98, s9
	v_cndmask_b32_e64 v81, v81, v72, s13
	v_cmp_eq_u32_e64 s16, 7, v78
	v_cndmask_b32_e64 v88, v88, v96, s15
	v_cndmask_b32_e64 v87, v87, v86, s13
	v_cmp_eq_u32_e64 s17, 6, v79
	v_cmp_eq_u32_e64 s18, 2, v77
	v_cndmask_b32_e64 v89, v89, v85, s12
	v_cndmask_b32_e64 v101, v81, v97, s16
	v_cndmask_b32_e64 v102, v87, v100, s16
	v_cndmask_b32_e64 v88, v88, v72, s17
	v_cndmask_b32_e64 v81, v90, v70, s18
	v_cndmask_b32_e64 v87, v83, v91, s6
	v_cmp_eq_u32_e64 s19, 7, v79
	v_cmp_eq_u32_e64 s20, 3, v77
	;; [unrolled: 1-line block ×4, first 2 shown]
	v_cndmask_b32_e64 v87, v87, v84, s18
	v_cndmask_b32_e64 v103, v88, v97, s19
	;; [unrolled: 1-line block ×4, first 2 shown]
	v_or_b32_e32 v81, 3, v78
	v_cndmask_b32_e64 v93, v87, v98, s20
	v_cmp_eq_u32_e64 s25, 6, v77
	v_cndmask_b32_e64 v104, v88, v86, s17
	v_cndmask_b32_e64 v92, v89, v71, s21
	v_cmp_eq_u32_e64 s22, 1, v81
	ds_load_b128 v[87:90], v82 offset:1024
	v_cmp_eq_u32_e64 s24, 2, v81
	v_cmp_eq_u32_e64 s26, 3, v81
	v_cndmask_b32_e64 v105, v92, v96, s23
	v_cndmask_b32_e64 v66, v69, v66, s22
	;; [unrolled: 1-line block ×4, first 2 shown]
	ds_load_b128 v[91:94], v82 offset:1040
	v_cmp_eq_u32_e64 s27, 4, v81
	v_cndmask_b32_e64 v66, v66, v70, s24
	v_cmp_eq_u32_e64 s28, 7, v77
	v_cndmask_b32_e64 v70, v83, v84, s24
	v_cndmask_b32_e64 v84, v105, v72, s25
	v_cmp_eq_u32_e64 s29, 5, v81
	v_cndmask_b32_e64 v66, v66, v95, s26
	v_cmp_eq_u32_e64 s30, 6, v81
	v_cndmask_b32_e64 v70, v70, v98, s26
	v_cndmask_b32_e64 v69, v69, v99, s23
	;; [unrolled: 1-line block ×4, first 2 shown]
	s_waitcnt lgkmcnt(1)
	v_lshrrev_b32_e32 v95, 16, v87
	v_cndmask_b32_e64 v70, v70, v85, s27
	v_cndmask_b32_e64 v71, v84, v97, s28
	;; [unrolled: 1-line block ×4, first 2 shown]
	v_cndmask_b32_e32 v84, v87, v95, vcc_lo
	v_cndmask_b32_e64 v70, v70, v99, s29
	s_waitcnt lgkmcnt(0)
	v_lshrrev_b32_e32 v85, 16, v91
	v_lshrrev_b32_e32 v96, 16, v88
	v_cndmask_b32_e64 v98, v87, v95, s4
	v_cndmask_b32_e64 v84, v84, v88, s5
	;; [unrolled: 1-line block ×3, first 2 shown]
	v_cndmask_b32_e32 v99, v91, v85, vcc_lo
	v_cmp_eq_u32_e32 vcc_lo, 7, v81
	v_cndmask_b32_e64 v66, v66, v72, s30
	v_cndmask_b32_e64 v72, v84, v96, s8
	;; [unrolled: 1-line block ×3, first 2 shown]
	v_lshrrev_b32_e32 v98, 16, v92
	v_cndmask_b32_e32 v70, v70, v100, vcc_lo
	v_cndmask_b32_e64 v86, v99, v92, s5
	v_cndmask_b32_e64 v69, v69, v100, s28
	v_lshrrev_b32_e32 v100, 16, v93
	v_cndmask_b32_e64 v72, v72, v89, s10
	v_lshrrev_b32_e32 v99, 16, v89
	v_cndmask_b32_e64 v86, v86, v98, s8
	v_perm_b32 v71, v69, v71, 0x5040100
	v_cndmask_b32_e64 v84, v84, v96, s9
	s_delay_alu instid0(VALU_DEP_3) | instskip(NEXT) | instid1(VALU_DEP_2)
	v_cndmask_b32_e64 v86, v86, v93, s10
	v_cndmask_b32_e64 v84, v84, v89, s12
	s_delay_alu instid0(VALU_DEP_2) | instskip(NEXT) | instid1(VALU_DEP_1)
	v_cndmask_b32_e64 v86, v86, v100, s11
	v_cndmask_b32_e64 v69, v86, v94, s13
	;; [unrolled: 1-line block ×5, first 2 shown]
	s_delay_alu instid0(VALU_DEP_3) | instskip(NEXT) | instid1(VALU_DEP_3)
	v_cndmask_b32_e64 v86, v86, v88, s18
	v_cndmask_b32_e64 v87, v87, v88, s24
	s_delay_alu instid0(VALU_DEP_3) | instskip(NEXT) | instid1(VALU_DEP_3)
	v_cndmask_b32_e64 v88, v95, v92, s24
	v_cndmask_b32_e64 v86, v86, v96, s20
	s_delay_alu instid0(VALU_DEP_3) | instskip(NEXT) | instid1(VALU_DEP_3)
	v_cndmask_b32_e64 v87, v87, v96, s26
	v_cndmask_b32_e64 v88, v88, v98, s26
	s_delay_alu instid0(VALU_DEP_3) | instskip(NEXT) | instid1(VALU_DEP_3)
	v_cndmask_b32_e64 v86, v86, v89, s21
	v_cndmask_b32_e64 v87, v87, v89, s27
	s_delay_alu instid0(VALU_DEP_3) | instskip(NEXT) | instid1(VALU_DEP_3)
	v_cndmask_b32_e64 v88, v88, v93, s27
	v_cndmask_b32_e64 v86, v86, v99, s23
	s_delay_alu instid0(VALU_DEP_3) | instskip(NEXT) | instid1(VALU_DEP_3)
	v_cndmask_b32_e64 v87, v87, v99, s29
	v_cndmask_b32_e64 v88, v88, v100, s29
	s_delay_alu instid0(VALU_DEP_3) | instskip(NEXT) | instid1(VALU_DEP_3)
	v_cndmask_b32_e64 v86, v86, v90, s25
	v_cndmask_b32_e64 v87, v87, v90, s30
	s_delay_alu instid0(VALU_DEP_3) | instskip(SKIP_2) | instid1(VALU_DEP_2)
	v_cndmask_b32_e64 v88, v88, v94, s30
	v_cndmask_b32_e32 v66, v66, v97, vcc_lo
	v_cndmask_b32_e64 v97, v72, v99, s11
	v_perm_b32 v72, v70, v66, 0x5040100
	v_perm_b32 v70, v83, v103, 0x5040100
	v_cndmask_b32_e64 v103, v91, v85, s6
	v_cndmask_b32_e64 v85, v91, v85, s4
	;; [unrolled: 1-line block ×4, first 2 shown]
	v_lshrrev_b32_e32 v97, 16, v90
	v_cndmask_b32_e64 v91, v103, v92, s18
	v_cndmask_b32_e64 v85, v85, v92, s7
	;; [unrolled: 1-line block ×3, first 2 shown]
	s_mov_b32 s4, exec_lo
	v_cndmask_b32_e64 v83, v84, v97, s16
	v_cndmask_b32_e64 v91, v91, v98, s20
	;; [unrolled: 1-line block ×3, first 2 shown]
	v_lshrrev_b32_e32 v84, 16, v94
	v_cndmask_b32_e64 v66, v66, v97, s19
	v_cndmask_b32_e64 v90, v86, v97, s28
	;; [unrolled: 1-line block ×4, first 2 shown]
	v_dual_cndmask_b32 v86, v87, v97 :: v_dual_cndmask_b32 v87, v88, v84
	v_cndmask_b32_e64 v91, v69, v84, s16
	s_delay_alu instid0(VALU_DEP_4) | instskip(NEXT) | instid1(VALU_DEP_4)
	v_cndmask_b32_e64 v89, v89, v100, s23
	v_cndmask_b32_e64 v85, v85, v100, s15
	v_perm_b32 v69, v102, v101, 0x5040100
	v_perm_b32 v86, v87, v86, 0x5040100
	;; [unrolled: 1-line block ×3, first 2 shown]
	v_cndmask_b32_e64 v89, v89, v94, s25
	v_cndmask_b32_e64 v85, v85, v94, s17
	s_mul_i32 s9, s37, 5
	s_delay_alu instid0(VALU_DEP_2) | instskip(NEXT) | instid1(VALU_DEP_2)
	v_cndmask_b32_e64 v88, v89, v84, s28
	v_cndmask_b32_e64 v89, v85, v84, s19
	s_delay_alu instid0(VALU_DEP_2) | instskip(NEXT) | instid1(VALU_DEP_2)
	v_perm_b32 v85, v88, v90, 0x5040100
	v_perm_b32 v84, v89, v66, 0x5040100
	ds_store_b128 v76, v[69:72]
	ds_store_b128 v76, v[83:86] offset:1024
	v_cmpx_gt_u32_e32 5, v0
	s_cbranch_execz .LBB1682_78
; %bb.77:
	s_mul_i32 s5, s9, s34
	s_load_b128 s[16:19], s[0:1], 0x58
	v_add3_u32 v69, s5, s31, v65
	s_delay_alu instid0(VALU_DEP_1) | instskip(NEXT) | instid1(VALU_DEP_1)
	v_mad_u64_u32 v[65:66], null, v69, s36, s[14:15]
	v_ashrrev_i32_e32 v66, 31, v65
	s_delay_alu instid0(VALU_DEP_1) | instskip(SKIP_1) | instid1(VALU_DEP_1)
	v_lshlrev_b64 v[65:66], 2, v[65:66]
	s_waitcnt lgkmcnt(0)
	v_add_co_u32 v69, vcc_lo, s18, v65
	s_delay_alu instid0(VALU_DEP_2)
	v_add_co_ci_u32_e32 v70, vcc_lo, s19, v66, vcc_lo
	v_add_co_u32 v65, vcc_lo, s16, v65
	v_add_co_ci_u32_e32 v66, vcc_lo, s17, v66, vcc_lo
	global_store_b32 v[69:70], v67, off
	global_store_b32 v[65:66], v68, off
.LBB1682_78:
	s_or_b32 exec_lo, exec_lo, s4
	s_waitcnt lgkmcnt(0)
	s_waitcnt_vscnt null, 0x0
	s_barrier
	buffer_gl0_inv
	ds_load_b128 v[83:86], v80
	ds_load_b128 v[87:90], v80 offset:16
	ds_load_b128 v[95:98], v80 offset:2064
	;; [unrolled: 1-line block ×3, first 2 shown]
	v_mov_b32_e32 v65, 0
	ds_load_b128 v[103:106], v80 offset:4112
	ds_load_b128 v[99:102], v80 offset:4096
	;; [unrolled: 1-line block ×4, first 2 shown]
	v_mov_b32_e32 v66, v65
	v_mov_b32_e32 v67, v65
	;; [unrolled: 1-line block ×7, first 2 shown]
	s_waitcnt lgkmcnt(6)
	s_delay_alu instid0(VALU_DEP_1)
	v_wmma_f32_16x16x16_bf16 v[65:72], v[57:64], v[83:90], v[65:72]
	ds_load_b128 v[61:64], v80 offset:8208
	ds_load_b128 v[57:60], v80 offset:8192
	s_waitcnt lgkmcnt(6)
	v_wmma_f32_16x16x16_bf16 v[65:72], v[41:48], v[91:98], v[65:72]
	ds_load_b128 v[45:48], v80 offset:10256
	ds_load_b128 v[41:44], v80 offset:10240
	s_waitcnt lgkmcnt(6)
	;; [unrolled: 4-line block ×4, first 2 shown]
	v_wmma_f32_16x16x16_bf16 v[65:72], v[1:8], v[57:64], v[65:72]
	s_waitcnt lgkmcnt(4)
	s_delay_alu instid0(VALU_DEP_1) | instskip(SKIP_1) | instid1(VALU_DEP_1)
	v_wmma_f32_16x16x16_bf16 v[65:72], v[9:16], v[41:48], v[65:72]
	s_waitcnt lgkmcnt(2)
	v_wmma_f32_16x16x16_bf16 v[65:72], v[17:24], v[33:40], v[65:72]
	s_waitcnt lgkmcnt(0)
	s_delay_alu instid0(VALU_DEP_1) | instskip(NEXT) | instid1(VALU_DEP_1)
	v_wmma_f32_16x16x16_bf16 v[65:72], v[49:56], v[25:32], v[65:72]
	v_and_b32_e32 v1, 0x7f800000, v65
	s_delay_alu instid0(VALU_DEP_1) | instskip(SKIP_1) | instid1(SALU_CYCLE_1)
	v_cmp_ne_u32_e32 vcc_lo, 0x7f800000, v1
                                        ; implicit-def: $vgpr1
	s_and_saveexec_b32 s4, vcc_lo
	s_xor_b32 s4, exec_lo, s4
; %bb.79:
	v_bfe_u32 v1, v65, 16, 1
	s_delay_alu instid0(VALU_DEP_1)
	v_add3_u32 v1, v65, v1, 0x7fff
; %bb.80:
	s_and_not1_saveexec_b32 s4, s4
; %bb.81:
	v_and_b32_e32 v1, 0xffff, v65
	v_or_b32_e32 v2, 0x10000, v65
	s_delay_alu instid0(VALU_DEP_2) | instskip(NEXT) | instid1(VALU_DEP_2)
	v_cmp_eq_u32_e32 vcc_lo, 0, v1
	v_cndmask_b32_e32 v1, v2, v65, vcc_lo
; %bb.82:
	s_or_b32 exec_lo, exec_lo, s4
	v_and_b32_e32 v2, 0x7f800000, v66
	s_delay_alu instid0(VALU_DEP_1) | instskip(SKIP_1) | instid1(SALU_CYCLE_1)
	v_cmp_ne_u32_e32 vcc_lo, 0x7f800000, v2
                                        ; implicit-def: $vgpr2
	s_and_saveexec_b32 s4, vcc_lo
	s_xor_b32 s4, exec_lo, s4
; %bb.83:
	v_bfe_u32 v2, v66, 16, 1
	s_delay_alu instid0(VALU_DEP_1)
	v_add3_u32 v2, v66, v2, 0x7fff
; %bb.84:
	s_and_not1_saveexec_b32 s4, s4
; %bb.85:
	v_and_b32_e32 v2, 0xffff, v66
	v_or_b32_e32 v3, 0x10000, v66
	s_delay_alu instid0(VALU_DEP_2) | instskip(NEXT) | instid1(VALU_DEP_2)
	v_cmp_eq_u32_e32 vcc_lo, 0, v2
	v_cndmask_b32_e32 v2, v3, v66, vcc_lo
; %bb.86:
	s_or_b32 exec_lo, exec_lo, s4
	v_and_b32_e32 v3, 0x7f800000, v67
	s_delay_alu instid0(VALU_DEP_1) | instskip(SKIP_1) | instid1(SALU_CYCLE_1)
	v_cmp_ne_u32_e32 vcc_lo, 0x7f800000, v3
                                        ; implicit-def: $vgpr3
	s_and_saveexec_b32 s4, vcc_lo
	s_xor_b32 s4, exec_lo, s4
; %bb.87:
	v_bfe_u32 v3, v67, 16, 1
	s_delay_alu instid0(VALU_DEP_1)
	v_add3_u32 v3, v67, v3, 0x7fff
; %bb.88:
	s_and_not1_saveexec_b32 s4, s4
; %bb.89:
	v_and_b32_e32 v3, 0xffff, v67
	v_or_b32_e32 v4, 0x10000, v67
	s_delay_alu instid0(VALU_DEP_2) | instskip(NEXT) | instid1(VALU_DEP_2)
	v_cmp_eq_u32_e32 vcc_lo, 0, v3
	v_cndmask_b32_e32 v3, v4, v67, vcc_lo
; %bb.90:
	s_or_b32 exec_lo, exec_lo, s4
	v_and_b32_e32 v4, 0x7f800000, v68
	s_delay_alu instid0(VALU_DEP_1) | instskip(SKIP_1) | instid1(SALU_CYCLE_1)
	v_cmp_ne_u32_e32 vcc_lo, 0x7f800000, v4
                                        ; implicit-def: $vgpr4
	s_and_saveexec_b32 s4, vcc_lo
	s_xor_b32 s4, exec_lo, s4
; %bb.91:
	v_bfe_u32 v4, v68, 16, 1
	s_delay_alu instid0(VALU_DEP_1)
	v_add3_u32 v4, v68, v4, 0x7fff
; %bb.92:
	s_and_not1_saveexec_b32 s4, s4
; %bb.93:
	v_and_b32_e32 v4, 0xffff, v68
	v_or_b32_e32 v5, 0x10000, v68
	s_delay_alu instid0(VALU_DEP_2) | instskip(NEXT) | instid1(VALU_DEP_2)
	v_cmp_eq_u32_e32 vcc_lo, 0, v4
	v_cndmask_b32_e32 v4, v5, v68, vcc_lo
; %bb.94:
	s_or_b32 exec_lo, exec_lo, s4
	v_and_b32_e32 v5, 0x7f800000, v69
	s_delay_alu instid0(VALU_DEP_1) | instskip(SKIP_1) | instid1(SALU_CYCLE_1)
	v_cmp_ne_u32_e32 vcc_lo, 0x7f800000, v5
                                        ; implicit-def: $vgpr5
	s_and_saveexec_b32 s4, vcc_lo
	s_xor_b32 s4, exec_lo, s4
; %bb.95:
	v_bfe_u32 v5, v69, 16, 1
	s_delay_alu instid0(VALU_DEP_1)
	v_add3_u32 v5, v69, v5, 0x7fff
; %bb.96:
	s_and_not1_saveexec_b32 s4, s4
; %bb.97:
	v_and_b32_e32 v5, 0xffff, v69
	v_or_b32_e32 v6, 0x10000, v69
	s_delay_alu instid0(VALU_DEP_2) | instskip(NEXT) | instid1(VALU_DEP_2)
	v_cmp_eq_u32_e32 vcc_lo, 0, v5
	v_cndmask_b32_e32 v5, v6, v69, vcc_lo
; %bb.98:
	s_or_b32 exec_lo, exec_lo, s4
	v_and_b32_e32 v6, 0x7f800000, v70
	s_delay_alu instid0(VALU_DEP_1) | instskip(SKIP_1) | instid1(SALU_CYCLE_1)
	v_cmp_ne_u32_e32 vcc_lo, 0x7f800000, v6
                                        ; implicit-def: $vgpr6
	s_and_saveexec_b32 s4, vcc_lo
	s_xor_b32 s4, exec_lo, s4
; %bb.99:
	v_bfe_u32 v6, v70, 16, 1
	s_delay_alu instid0(VALU_DEP_1)
	v_add3_u32 v6, v70, v6, 0x7fff
; %bb.100:
	s_and_not1_saveexec_b32 s4, s4
; %bb.101:
	v_and_b32_e32 v6, 0xffff, v70
	v_or_b32_e32 v7, 0x10000, v70
	s_delay_alu instid0(VALU_DEP_2) | instskip(NEXT) | instid1(VALU_DEP_2)
	v_cmp_eq_u32_e32 vcc_lo, 0, v6
	v_cndmask_b32_e32 v6, v7, v70, vcc_lo
; %bb.102:
	s_or_b32 exec_lo, exec_lo, s4
	v_and_b32_e32 v7, 0x7f800000, v71
	s_delay_alu instid0(VALU_DEP_1) | instskip(SKIP_1) | instid1(SALU_CYCLE_1)
	v_cmp_ne_u32_e32 vcc_lo, 0x7f800000, v7
                                        ; implicit-def: $vgpr7
	s_and_saveexec_b32 s4, vcc_lo
	s_xor_b32 s4, exec_lo, s4
; %bb.103:
	v_bfe_u32 v7, v71, 16, 1
	s_delay_alu instid0(VALU_DEP_1)
	v_add3_u32 v7, v71, v7, 0x7fff
; %bb.104:
	s_and_not1_saveexec_b32 s4, s4
; %bb.105:
	v_and_b32_e32 v7, 0xffff, v71
	v_or_b32_e32 v8, 0x10000, v71
	s_delay_alu instid0(VALU_DEP_2) | instskip(NEXT) | instid1(VALU_DEP_2)
	v_cmp_eq_u32_e32 vcc_lo, 0, v7
	v_cndmask_b32_e32 v7, v8, v71, vcc_lo
; %bb.106:
	s_or_b32 exec_lo, exec_lo, s4
	v_and_b32_e32 v8, 0x7f800000, v72
	s_delay_alu instid0(VALU_DEP_1) | instskip(SKIP_1) | instid1(SALU_CYCLE_1)
	v_cmp_ne_u32_e32 vcc_lo, 0x7f800000, v8
                                        ; implicit-def: $vgpr8
	s_and_saveexec_b32 s4, vcc_lo
	s_xor_b32 s4, exec_lo, s4
; %bb.107:
	v_bfe_u32 v8, v72, 16, 1
	s_delay_alu instid0(VALU_DEP_1)
	v_add3_u32 v8, v72, v8, 0x7fff
                                        ; implicit-def: $vgpr65_vgpr66_vgpr67_vgpr68_vgpr69_vgpr70_vgpr71_vgpr72
; %bb.108:
	s_and_not1_saveexec_b32 s4, s4
; %bb.109:
	v_and_b32_e32 v8, 0xffff, v72
	v_or_b32_e32 v9, 0x10000, v72
	s_delay_alu instid0(VALU_DEP_2) | instskip(NEXT) | instid1(VALU_DEP_2)
	v_cmp_eq_u32_e32 vcc_lo, 0, v8
	v_cndmask_b32_e32 v8, v9, v72, vcc_lo
; %bb.110:
	s_or_b32 exec_lo, exec_lo, s4
	s_delay_alu instid0(VALU_DEP_1)
	v_perm_b32 v7, v8, v7, 0x7060302
	v_perm_b32 v6, v6, v5, 0x7060302
	;; [unrolled: 1-line block ×4, first 2 shown]
	s_barrier
	buffer_gl0_inv
	v_cmp_eq_u32_e32 vcc_lo, 1, v78
	ds_store_b128 v76, v[4:7]
	s_waitcnt lgkmcnt(0)
	s_barrier
	buffer_gl0_inv
	ds_load_b128 v[1:4], v82
	ds_load_b128 v[5:8], v82 offset:16
	v_cmp_eq_u32_e64 s4, 1, v79
	v_cmp_eq_u32_e64 s5, 2, v78
	;; [unrolled: 1-line block ×5, first 2 shown]
	s_waitcnt lgkmcnt(1)
	v_lshrrev_b32_e32 v9, 16, v1
	s_waitcnt lgkmcnt(0)
	v_lshrrev_b32_e32 v13, 16, v5
	v_lshrrev_b32_e32 v10, 16, v2
	;; [unrolled: 1-line block ×4, first 2 shown]
	v_cndmask_b32_e64 v19, v1, v9, s4
	v_cndmask_b32_e32 v18, v5, v13, vcc_lo
	v_cndmask_b32_e64 v20, v5, v13, s4
	v_cndmask_b32_e32 v17, v1, v9, vcc_lo
	v_cmp_eq_u32_e32 vcc_lo, 2, v79
	v_lshrrev_b32_e32 v15, 16, v7
	v_cmp_eq_u32_e64 s4, 1, v77
	v_lshrrev_b32_e32 v12, 16, v4
	v_lshrrev_b32_e32 v16, 16, v8
	v_cndmask_b32_e32 v20, v20, v6, vcc_lo
	v_cndmask_b32_e64 v17, v17, v2, s5
	v_cndmask_b32_e32 v19, v19, v2, vcc_lo
	v_cndmask_b32_e64 v18, v18, v6, s5
	v_cmp_eq_u32_e32 vcc_lo, 4, v78
	v_cmp_eq_u32_e64 s5, 3, v79
	v_cndmask_b32_e64 v17, v17, v10, s6
	v_cndmask_b32_e64 v21, v1, v9, s4
	;; [unrolled: 1-line block ×5, first 2 shown]
	v_cndmask_b32_e32 v17, v17, v3, vcc_lo
	v_cndmask_b32_e64 v20, v20, v14, s5
	v_cndmask_b32_e32 v18, v18, v7, vcc_lo
	v_cmp_eq_u32_e32 vcc_lo, 4, v79
	v_cmp_eq_u32_e64 s5, 5, v79
	v_cmp_eq_u32_e64 s4, 2, v81
	v_cndmask_b32_e64 v21, v21, v2, s8
	v_cmp_eq_u32_e64 s6, 5, v78
	v_cndmask_b32_e32 v19, v19, v3, vcc_lo
	v_cndmask_b32_e32 v20, v20, v7, vcc_lo
	v_cmp_eq_u32_e32 vcc_lo, 6, v79
	s_delay_alu instid0(VALU_DEP_4) | instskip(NEXT) | instid1(VALU_DEP_4)
	v_cndmask_b32_e64 v17, v17, v11, s6
	v_cndmask_b32_e64 v19, v19, v11, s5
	s_delay_alu instid0(VALU_DEP_4) | instskip(SKIP_1) | instid1(VALU_DEP_3)
	v_cndmask_b32_e64 v20, v20, v15, s5
	v_cmp_eq_u32_e64 s5, 1, v81
	v_cndmask_b32_e32 v19, v19, v4, vcc_lo
	v_cndmask_b32_e64 v18, v18, v15, s6
	s_delay_alu instid0(VALU_DEP_3)
	v_cndmask_b32_e64 v1, v1, v9, s5
	v_cndmask_b32_e64 v5, v5, v13, s5
	v_cmp_eq_u32_e64 s5, 3, v77
	v_cndmask_b32_e64 v13, v22, v6, s8
	v_cmp_eq_u32_e64 s8, 3, v81
	v_cndmask_b32_e64 v1, v1, v2, s4
	v_cndmask_b32_e64 v2, v5, v6, s4
	;; [unrolled: 1-line block ×3, first 2 shown]
	v_cmp_eq_u32_e64 s4, 4, v77
	v_cndmask_b32_e64 v6, v13, v14, s5
	v_cndmask_b32_e64 v1, v1, v10, s8
	v_cmp_eq_u32_e64 s5, 4, v81
	v_cndmask_b32_e64 v2, v2, v14, s8
	v_cndmask_b32_e64 v5, v9, v3, s4
	;; [unrolled: 3-line block ×3, first 2 shown]
	v_cndmask_b32_e64 v2, v2, v7, s5
	v_cmp_eq_u32_e64 s4, 5, v81
	v_cmp_eq_u32_e64 s6, 6, v78
	v_cndmask_b32_e64 v5, v5, v11, s8
	v_cmp_eq_u32_e64 s5, 6, v77
	v_cndmask_b32_e64 v3, v6, v15, s8
	v_cndmask_b32_e64 v1, v1, v11, s4
	v_cmp_eq_u32_e64 s8, 6, v81
	v_cndmask_b32_e64 v2, v2, v15, s4
	v_cndmask_b32_e64 v17, v17, v4, s6
	v_cndmask_b32_e64 v18, v18, v8, s6
	v_cmp_eq_u32_e64 s6, 7, v78
	v_cndmask_b32_e64 v5, v5, v4, s5
	;; [unrolled: 4-line block ×3, first 2 shown]
	v_cmp_eq_u32_e64 s5, 7, v77
	v_cndmask_b32_e32 v4, v20, v8, vcc_lo
	v_cndmask_b32_e64 v17, v17, v12, s6
	v_cndmask_b32_e64 v19, v19, v12, s7
	;; [unrolled: 1-line block ×8, first 2 shown]
	v_cmp_gt_u32_e32 vcc_lo, 32, v0
	v_perm_b32 v4, v2, v1, 0x5040100
	v_perm_b32 v3, v3, v5, 0x5040100
	;; [unrolled: 1-line block ×4, first 2 shown]
	s_and_b32 s2, vcc_lo, s2
	ds_store_b128 v76, v[1:4]
	s_waitcnt lgkmcnt(0)
	s_barrier
	buffer_gl0_inv
	s_and_saveexec_b32 s4, s2
	s_cbranch_execz .LBB1682_2
; %bb.111:
	s_load_b64 s[4:5], s[0:1], 0x68
	v_lshlrev_b32_e32 v0, 10, v0
	v_add_nc_u32_e32 v2, s31, v74
	v_lshlrev_b32_e32 v3, 4, v75
	s_lshl_b32 s0, s36, 6
	s_delay_alu instid0(SALU_CYCLE_1) | instskip(NEXT) | instid1(VALU_DEP_2)
	s_mul_i32 s1, s0, s34
	v_mul_lo_u32 v1, v2, s0
	s_delay_alu instid0(VALU_DEP_2) | instskip(SKIP_2) | instid1(SALU_CYCLE_1)
	v_and_or_b32 v0, 0x3800, v0, v3
	v_add_nc_u32_e32 v2, 2, v2
	s_mul_i32 s6, s1, s9
	s_ashr_i32 s7, s6, 31
	s_delay_alu instid0(VALU_DEP_2)
	v_lshl_or_b32 v7, v74, 6, v0
	s_lshl_b64 s[6:7], s[6:7], 1
	v_mul_lo_u32 v11, v2, s0
	v_ashrrev_i32_e32 v2, 31, v1
	ds_load_b128 v[3:6], v7
	ds_load_b128 v[7:10], v7 offset:128
	s_waitcnt lgkmcnt(0)
	s_add_u32 s1, s4, s6
	s_addc_u32 s2, s5, s7
	s_lshl_b32 s4, s14, 6
	v_ashrrev_i32_e32 v12, 31, v11
	s_ashr_i32 s5, s4, 31
	v_lshlrev_b64 v[13:14], 1, v[1:2]
	s_lshl_b64 s[4:5], s[4:5], 1
	s_delay_alu instid0(SALU_CYCLE_1) | instskip(SKIP_2) | instid1(VALU_DEP_1)
	s_add_u32 s1, s1, s4
	s_addc_u32 s2, s2, s5
	v_add_co_u32 v1, s1, s1, v73
	v_add_co_ci_u32_e64 v2, null, s2, 0, s1
	v_lshlrev_b64 v[11:12], 1, v[11:12]
	s_delay_alu instid0(VALU_DEP_3) | instskip(NEXT) | instid1(VALU_DEP_3)
	v_add_co_u32 v13, vcc_lo, v1, v13
	v_add_co_ci_u32_e32 v14, vcc_lo, v2, v14, vcc_lo
	s_delay_alu instid0(VALU_DEP_3) | instskip(NEXT) | instid1(VALU_DEP_4)
	v_add_co_u32 v11, vcc_lo, v1, v11
	v_add_co_ci_u32_e32 v12, vcc_lo, v2, v12, vcc_lo
	s_clause 0x1
	global_store_b128 v[13:14], v[3:6], off
	global_store_b128 v[11:12], v[7:10], off
	s_and_b32 exec_lo, exec_lo, s3
	s_cbranch_execz .LBB1682_2
; %bb.112:
	ds_load_b128 v[3:6], v0 offset:256
	s_add_i32 s1, s31, 4
	s_delay_alu instid0(SALU_CYCLE_1) | instskip(NEXT) | instid1(SALU_CYCLE_1)
	s_mul_i32 s0, s1, s0
	s_ashr_i32 s1, s0, 31
	s_delay_alu instid0(SALU_CYCLE_1) | instskip(NEXT) | instid1(SALU_CYCLE_1)
	s_lshl_b64 s[0:1], s[0:1], 1
	v_add_co_u32 v0, vcc_lo, v1, s0
	v_add_co_ci_u32_e32 v1, vcc_lo, s1, v2, vcc_lo
	s_waitcnt lgkmcnt(0)
	global_store_b128 v[0:1], v[3:6], off
	s_nop 0
	s_sendmsg sendmsg(MSG_DEALLOC_VGPRS)
	s_endpgm
	.section	.rodata,"a",@progbits
	.p2align	6, 0x0
	.amdhsa_kernel _Z39paged_attention_ll4mi_QKV_mfma16_kernelI14__hip_bfloat16hLN4vllm18Fp8KVCacheDataTypeE1EhLi16ELi64ELi256ELb0ELi5EL8MFMAType0EEvPKT_PKT0_S9_ifPKiSB_SB_iPKfiiiPfSE_PS4_PT2_iSD_SD_
		.amdhsa_group_segment_fixed_size 17472
		.amdhsa_private_segment_fixed_size 0
		.amdhsa_kernarg_size 400
		.amdhsa_user_sgpr_count 13
		.amdhsa_user_sgpr_dispatch_ptr 0
		.amdhsa_user_sgpr_queue_ptr 0
		.amdhsa_user_sgpr_kernarg_segment_ptr 1
		.amdhsa_user_sgpr_dispatch_id 0
		.amdhsa_user_sgpr_private_segment_size 0
		.amdhsa_wavefront_size32 1
		.amdhsa_uses_dynamic_stack 0
		.amdhsa_enable_private_segment 0
		.amdhsa_system_sgpr_workgroup_id_x 1
		.amdhsa_system_sgpr_workgroup_id_y 1
		.amdhsa_system_sgpr_workgroup_id_z 1
		.amdhsa_system_sgpr_workgroup_info 0
		.amdhsa_system_vgpr_workitem_id 0
		.amdhsa_next_free_vgpr 124
		.amdhsa_next_free_sgpr 40
		.amdhsa_reserve_vcc 1
		.amdhsa_float_round_mode_32 0
		.amdhsa_float_round_mode_16_64 0
		.amdhsa_float_denorm_mode_32 3
		.amdhsa_float_denorm_mode_16_64 3
		.amdhsa_dx10_clamp 1
		.amdhsa_ieee_mode 1
		.amdhsa_fp16_overflow 0
		.amdhsa_workgroup_processor_mode 1
		.amdhsa_memory_ordered 1
		.amdhsa_forward_progress 0
		.amdhsa_shared_vgpr_count 0
		.amdhsa_exception_fp_ieee_invalid_op 0
		.amdhsa_exception_fp_denorm_src 0
		.amdhsa_exception_fp_ieee_div_zero 0
		.amdhsa_exception_fp_ieee_overflow 0
		.amdhsa_exception_fp_ieee_underflow 0
		.amdhsa_exception_fp_ieee_inexact 0
		.amdhsa_exception_int_div_zero 0
	.end_amdhsa_kernel
	.section	.text._Z39paged_attention_ll4mi_QKV_mfma16_kernelI14__hip_bfloat16hLN4vllm18Fp8KVCacheDataTypeE1EhLi16ELi64ELi256ELb0ELi5EL8MFMAType0EEvPKT_PKT0_S9_ifPKiSB_SB_iPKfiiiPfSE_PS4_PT2_iSD_SD_,"axG",@progbits,_Z39paged_attention_ll4mi_QKV_mfma16_kernelI14__hip_bfloat16hLN4vllm18Fp8KVCacheDataTypeE1EhLi16ELi64ELi256ELb0ELi5EL8MFMAType0EEvPKT_PKT0_S9_ifPKiSB_SB_iPKfiiiPfSE_PS4_PT2_iSD_SD_,comdat
.Lfunc_end1682:
	.size	_Z39paged_attention_ll4mi_QKV_mfma16_kernelI14__hip_bfloat16hLN4vllm18Fp8KVCacheDataTypeE1EhLi16ELi64ELi256ELb0ELi5EL8MFMAType0EEvPKT_PKT0_S9_ifPKiSB_SB_iPKfiiiPfSE_PS4_PT2_iSD_SD_, .Lfunc_end1682-_Z39paged_attention_ll4mi_QKV_mfma16_kernelI14__hip_bfloat16hLN4vllm18Fp8KVCacheDataTypeE1EhLi16ELi64ELi256ELb0ELi5EL8MFMAType0EEvPKT_PKT0_S9_ifPKiSB_SB_iPKfiiiPfSE_PS4_PT2_iSD_SD_
                                        ; -- End function
	.section	.AMDGPU.csdata,"",@progbits
; Kernel info:
; codeLenInByte = 8756
; NumSgprs: 42
; NumVgprs: 124
; ScratchSize: 0
; MemoryBound: 0
; FloatMode: 240
; IeeeMode: 1
; LDSByteSize: 17472 bytes/workgroup (compile time only)
; SGPRBlocks: 5
; VGPRBlocks: 15
; NumSGPRsForWavesPerEU: 42
; NumVGPRsForWavesPerEU: 124
; Occupancy: 10
; WaveLimiterHint : 1
; COMPUTE_PGM_RSRC2:SCRATCH_EN: 0
; COMPUTE_PGM_RSRC2:USER_SGPR: 13
; COMPUTE_PGM_RSRC2:TRAP_HANDLER: 0
; COMPUTE_PGM_RSRC2:TGID_X_EN: 1
; COMPUTE_PGM_RSRC2:TGID_Y_EN: 1
; COMPUTE_PGM_RSRC2:TGID_Z_EN: 1
; COMPUTE_PGM_RSRC2:TIDIG_COMP_CNT: 0
	.section	.text._Z39paged_attention_ll4mi_QKV_mfma16_kernelI14__hip_bfloat16hLN4vllm18Fp8KVCacheDataTypeE1EhLi16ELi64ELi256ELb0ELi6EL8MFMAType0EEvPKT_PKT0_S9_ifPKiSB_SB_iPKfiiiPfSE_PS4_PT2_iSD_SD_,"axG",@progbits,_Z39paged_attention_ll4mi_QKV_mfma16_kernelI14__hip_bfloat16hLN4vllm18Fp8KVCacheDataTypeE1EhLi16ELi64ELi256ELb0ELi6EL8MFMAType0EEvPKT_PKT0_S9_ifPKiSB_SB_iPKfiiiPfSE_PS4_PT2_iSD_SD_,comdat
	.protected	_Z39paged_attention_ll4mi_QKV_mfma16_kernelI14__hip_bfloat16hLN4vllm18Fp8KVCacheDataTypeE1EhLi16ELi64ELi256ELb0ELi6EL8MFMAType0EEvPKT_PKT0_S9_ifPKiSB_SB_iPKfiiiPfSE_PS4_PT2_iSD_SD_ ; -- Begin function _Z39paged_attention_ll4mi_QKV_mfma16_kernelI14__hip_bfloat16hLN4vllm18Fp8KVCacheDataTypeE1EhLi16ELi64ELi256ELb0ELi6EL8MFMAType0EEvPKT_PKT0_S9_ifPKiSB_SB_iPKfiiiPfSE_PS4_PT2_iSD_SD_
	.globl	_Z39paged_attention_ll4mi_QKV_mfma16_kernelI14__hip_bfloat16hLN4vllm18Fp8KVCacheDataTypeE1EhLi16ELi64ELi256ELb0ELi6EL8MFMAType0EEvPKT_PKT0_S9_ifPKiSB_SB_iPKfiiiPfSE_PS4_PT2_iSD_SD_
	.p2align	8
	.type	_Z39paged_attention_ll4mi_QKV_mfma16_kernelI14__hip_bfloat16hLN4vllm18Fp8KVCacheDataTypeE1EhLi16ELi64ELi256ELb0ELi6EL8MFMAType0EEvPKT_PKT0_S9_ifPKiSB_SB_iPKfiiiPfSE_PS4_PT2_iSD_SD_,@function
_Z39paged_attention_ll4mi_QKV_mfma16_kernelI14__hip_bfloat16hLN4vllm18Fp8KVCacheDataTypeE1EhLi16ELi64ELi256ELb0ELi6EL8MFMAType0EEvPKT_PKT0_S9_ifPKiSB_SB_iPKfiiiPfSE_PS4_PT2_iSD_SD_: ; @_Z39paged_attention_ll4mi_QKV_mfma16_kernelI14__hip_bfloat16hLN4vllm18Fp8KVCacheDataTypeE1EhLi16ELi64ELi256ELb0ELi6EL8MFMAType0EEvPKT_PKT0_S9_ifPKiSB_SB_iPKfiiiPfSE_PS4_PT2_iSD_SD_
; %bb.0:
	s_load_b64 s[2:3], s[0:1], 0x30
	s_mov_b32 s30, s13
	s_waitcnt lgkmcnt(0)
	s_cmp_lg_u64 s[2:3], 0
	s_cselect_b32 s8, -1, 0
	s_ashr_i32 s31, s13, 31
	s_cmp_eq_u64 s[2:3], 0
	s_cbranch_scc1 .LBB1683_3
; %bb.1:
	s_lshl_b64 s[4:5], s[30:31], 2
	s_delay_alu instid0(SALU_CYCLE_1) | instskip(SKIP_4) | instid1(SALU_CYCLE_1)
	s_add_u32 s4, s2, s4
	s_addc_u32 s5, s3, s5
	s_load_b64 s[4:5], s[4:5], 0x0
	s_waitcnt lgkmcnt(0)
	s_sub_i32 s4, s5, s4
	s_cmp_eq_u32 s4, 1
	s_cselect_b32 s4, -1, 0
	s_delay_alu instid0(SALU_CYCLE_1)
	s_and_not1_b32 vcc_lo, exec_lo, s4
	s_cbranch_vccz .LBB1683_4
.LBB1683_2:
	s_endpgm
.LBB1683_3:
.LBB1683_4:
	s_load_b64 s[4:5], s[0:1], 0x28
	s_lshl_b64 s[6:7], s[30:31], 2
	s_waitcnt lgkmcnt(0)
	s_add_u32 s4, s4, s6
	s_addc_u32 s5, s5, s7
	s_lshl_b32 s12, s14, 8
	s_load_b32 s24, s[4:5], 0x0
	s_waitcnt lgkmcnt(0)
	s_cmp_ge_i32 s12, s24
	s_cbranch_scc1 .LBB1683_2
; %bb.5:
	s_clause 0x1
	s_load_b128 s[20:23], s[0:1], 0x8
	s_load_b64 s[4:5], s[0:1], 0x20
	s_and_not1_b32 vcc_lo, exec_lo, s8
	s_cbranch_vccnz .LBB1683_7
; %bb.6:
	s_add_u32 s2, s2, s6
	s_addc_u32 s3, s3, s7
	s_load_b32 s3, s[2:3], 0x0
	s_branch .LBB1683_8
.LBB1683_7:
	s_mov_b32 s3, s30
.LBB1683_8:
	s_load_b128 s[16:19], s[0:1], 0x48
	v_and_b32_e32 v65, 15, v0
	v_cmp_gt_u32_e32 vcc_lo, 0x60, v0
	v_lshrrev_b32_e32 v66, 5, v0
	v_and_b32_e32 v67, 31, v0
	v_and_b32_e32 v75, 1, v0
	v_lshlrev_b32_e32 v1, 3, v65
	v_cmp_gt_u32_e64 s2, 8, v65
	v_bfe_u32 v74, v0, 4, 1
	s_mul_i32 s31, s15, 6
	s_delay_alu instid0(VALU_DEP_3) | instskip(NEXT) | instid1(VALU_DEP_3)
	v_lshlrev_b32_e32 v73, 1, v1
	s_and_b32 s7, vcc_lo, s2
	s_delay_alu instid0(SALU_CYCLE_1)
	s_and_saveexec_b32 s6, s7
	s_cbranch_execz .LBB1683_10
; %bb.9:
	s_load_b64 s[8:9], s[0:1], 0x0
	v_lshl_or_b32 v5, v66, 1, v74
	s_waitcnt lgkmcnt(0)
	s_mul_hi_i32 s11, s3, s16
	s_mul_i32 s10, s3, s16
	v_lshlrev_b32_e32 v6, 10, v65
	s_lshl_b64 s[10:11], s[10:11], 1
	v_add_lshl_u32 v1, v5, s31, 6
	v_lshlrev_b32_e32 v5, 6, v5
	v_lshlrev_b32_e32 v7, 10, v75
	v_and_b32_e32 v6, 0x3800, v6
	s_delay_alu instid0(VALU_DEP_4) | instskip(NEXT) | instid1(VALU_DEP_2)
	v_ashrrev_i32_e32 v2, 31, v1
	v_or3_b32 v5, v6, v7, v5
	s_delay_alu instid0(VALU_DEP_2) | instskip(SKIP_2) | instid1(VALU_DEP_1)
	v_lshlrev_b64 v[1:2], 1, v[1:2]
	s_add_u32 s3, s8, s10
	s_addc_u32 s7, s9, s11
	v_add_co_u32 v1, vcc_lo, s3, v1
	s_delay_alu instid0(VALU_DEP_2) | instskip(NEXT) | instid1(VALU_DEP_2)
	v_add_co_ci_u32_e32 v2, vcc_lo, s7, v2, vcc_lo
	v_add_co_u32 v1, vcc_lo, v1, v73
	s_delay_alu instid0(VALU_DEP_2)
	v_add_co_ci_u32_e32 v2, vcc_lo, 0, v2, vcc_lo
	global_load_b128 v[1:4], v[1:2], off
	s_waitcnt vmcnt(0)
	ds_store_b128 v5, v[1:4]
.LBB1683_10:
	s_or_b32 exec_lo, exec_lo, s6
	v_and_b32_e32 v1, 0xef, v0
	s_waitcnt lgkmcnt(0)
	s_add_i32 s3, s24, 15
	s_clause 0x1
	s_load_b32 s6, s[0:1], 0x38
	s_load_b32 s19, s[0:1], 0x1c
	s_ashr_i32 s7, s3, 31
	v_add_nc_u32_e32 v1, s12, v1
	s_lshr_b32 s7, s7, 28
	s_waitcnt lgkmcnt(0)
	s_add_i32 s3, s3, s7
	s_barrier
	v_ashrrev_i32_e32 v2, 31, v1
	v_or_b32_e32 v3, 16, v1
	s_ashr_i32 s3, s3, 4
	v_cmp_gt_i32_e32 vcc_lo, s24, v1
	s_add_i32 s3, s3, -1
	v_lshrrev_b32_e32 v2, 28, v2
	buffer_gl0_inv
	s_mul_i32 s27, s15, s18
	v_add_nc_u32_e32 v4, v1, v2
	s_mul_i32 s6, s30, s6
	s_delay_alu instid0(SALU_CYCLE_1) | instskip(NEXT) | instid1(VALU_DEP_1)
	s_ashr_i32 s7, s6, 31
	v_ashrrev_i32_e32 v4, 4, v4
	v_add_nc_u32_e32 v2, v3, v2
	s_lshl_b64 s[6:7], s[6:7], 2
	s_delay_alu instid0(SALU_CYCLE_1) | instskip(NEXT) | instid1(VALU_DEP_2)
	s_add_u32 s26, s4, s6
	v_cndmask_b32_e32 v1, s3, v4, vcc_lo
	s_delay_alu instid0(VALU_DEP_2)
	v_ashrrev_i32_e32 v2, 4, v2
	v_cmp_gt_i32_e32 vcc_lo, s24, v3
	s_addc_u32 s25, s5, s7
	s_ashr_i32 s28, s27, 31
	s_add_u32 s13, s20, s27
	s_addc_u32 s15, s21, s28
	v_cndmask_b32_e32 v3, s3, v2, vcc_lo
	v_ashrrev_i32_e32 v2, 31, v1
	s_lshl_b32 s4, s14, 4
	s_delay_alu instid0(SALU_CYCLE_1) | instskip(NEXT) | instid1(VALU_DEP_2)
	s_ashr_i32 s5, s4, 31
	v_ashrrev_i32_e32 v4, 31, v3
	s_delay_alu instid0(VALU_DEP_2) | instskip(SKIP_1) | instid1(SALU_CYCLE_1)
	v_lshlrev_b64 v[1:2], 2, v[1:2]
	s_lshl_b64 s[4:5], s[4:5], 2
	s_add_u32 s4, s26, s4
	s_delay_alu instid0(VALU_DEP_2) | instskip(SKIP_1) | instid1(VALU_DEP_2)
	v_lshlrev_b64 v[3:4], 2, v[3:4]
	s_addc_u32 s5, s25, s5
	v_add_co_u32 v1, vcc_lo, s26, v1
	v_add_co_ci_u32_e32 v2, vcc_lo, s25, v2, vcc_lo
	s_delay_alu instid0(VALU_DEP_3) | instskip(NEXT) | instid1(VALU_DEP_4)
	v_add_co_u32 v3, vcc_lo, s26, v3
	v_add_co_ci_u32_e32 v4, vcc_lo, s25, v4, vcc_lo
	s_clause 0x1
	global_load_b32 v5, v[1:2], off
	global_load_b32 v7, v[3:4], off
	s_or_b32 s6, s12, 32
	v_lshlrev_b32_e32 v1, 4, v0
	s_ashr_i32 s7, s6, 4
	s_cmp_lt_i32 s6, s24
	s_cselect_b32 s6, s7, s3
	s_delay_alu instid0(VALU_DEP_1) | instskip(SKIP_1) | instid1(SALU_CYCLE_1)
	v_and_b32_e32 v1, 0xf0, v1
	s_ashr_i32 s7, s6, 31
	s_lshl_b64 s[6:7], s[6:7], 2
	s_delay_alu instid0(SALU_CYCLE_1)
	s_add_u32 s6, s26, s6
	s_addc_u32 s7, s25, s7
	s_or_b32 s8, s12, 64
	v_add_co_u32 v1, s13, s13, v1
	s_ashr_i32 s9, s8, 4
	s_cmp_lt_i32 s8, s24
	v_add_co_ci_u32_e64 v2, null, s15, 0, s13
	s_cselect_b32 s8, s9, s3
	s_delay_alu instid0(SALU_CYCLE_1) | instskip(NEXT) | instid1(SALU_CYCLE_1)
	s_ashr_i32 s9, s8, 31
	s_lshl_b64 s[8:9], s[8:9], 2
	s_delay_alu instid0(SALU_CYCLE_1) | instskip(SKIP_2) | instid1(SALU_CYCLE_1)
	s_add_u32 s8, s26, s8
	s_addc_u32 s9, s25, s9
	s_or_b32 s10, s12, 0x60
	s_ashr_i32 s11, s10, 4
	s_cmp_lt_i32 s10, s24
	s_cselect_b32 s10, s11, s3
	s_delay_alu instid0(SALU_CYCLE_1) | instskip(NEXT) | instid1(SALU_CYCLE_1)
	s_ashr_i32 s11, s10, 31
	s_lshl_b64 s[10:11], s[10:11], 2
	s_delay_alu instid0(SALU_CYCLE_1) | instskip(SKIP_2) | instid1(SALU_CYCLE_1)
	s_add_u32 s10, s26, s10
	s_addc_u32 s11, s25, s11
	s_or_b32 s16, s12, 0x80
	s_ashr_i32 s18, s16, 4
	s_cmp_lt_i32 s16, s24
	;; [unrolled: 10-line block ×3, first 2 shown]
	s_cselect_b32 s20, s18, s3
	s_delay_alu instid0(SALU_CYCLE_1) | instskip(NEXT) | instid1(SALU_CYCLE_1)
	s_ashr_i32 s21, s20, 31
	s_lshl_b64 s[20:21], s[20:21], 2
	s_delay_alu instid0(SALU_CYCLE_1)
	s_add_u32 s36, s26, s20
	s_addc_u32 s37, s25, s21
	s_clause 0x5
	s_load_b32 s21, s[4:5], 0x0
	s_load_b32 s13, s[6:7], 0x0
	;; [unrolled: 1-line block ×6, first 2 shown]
	s_or_b32 s9, s12, 0xc0
	s_mov_b32 s4, 0
	s_ashr_i32 s10, s9, 4
	s_cmp_lt_i32 s9, s24
	s_mov_b32 s11, s4
	s_cselect_b32 s34, s10, s3
	s_mov_b32 s5, s4
	s_ashr_i32 s35, s34, 31
	s_mov_b32 s6, s4
	s_lshl_b64 s[34:35], s[34:35], 2
	s_mov_b32 s7, s4
	s_add_u32 s34, s26, s34
	s_addc_u32 s35, s25, s35
	s_or_b32 s29, s12, 0xe0
	s_mov_b32 s8, s4
	s_ashr_i32 s33, s29, 4
	s_mov_b32 s9, s4
	s_mov_b32 s10, s4
	s_cmp_lt_i32 s29, s24
	v_dual_mov_b32 v107, s11 :: v_dual_mov_b32 v100, s4
	v_mov_b32_e32 v106, s10
	v_dual_mov_b32 v104, s8 :: v_dual_mov_b32 v103, s7
	v_dual_mov_b32 v102, s6 :: v_dual_mov_b32 v101, s5
	s_waitcnt vmcnt(1)
	v_mad_i64_i32 v[3:4], null, v5, s17, v[1:2]
	s_waitcnt vmcnt(0)
	v_mad_i64_i32 v[5:6], null, v7, s17, v[1:2]
	v_mul_lo_u16 v1, v65, 43
	v_lshlrev_b32_e32 v2, 4, v65
	s_clause 0x7
	global_load_b128 v[49:52], v[3:4], off
	global_load_b128 v[53:56], v[3:4], off offset:256
	global_load_b128 v[76:79], v[5:6], off
	global_load_b128 v[80:83], v[5:6], off offset:256
	global_load_b128 v[84:87], v[3:4], off offset:512
	;; [unrolled: 1-line block ×5, first 2 shown]
	v_lshrrev_b16 v1, 8, v1
	v_lshl_or_b32 v2, v66, 8, v2
	s_delay_alu instid0(VALU_DEP_2) | instskip(NEXT) | instid1(VALU_DEP_1)
	v_mul_lo_u16 v1, v1, 6
	v_sub_nc_u16 v1, v65, v1
	s_delay_alu instid0(VALU_DEP_1)
	v_and_b32_e32 v1, 0xff, v1
	v_mov_b32_e32 v105, s9
	s_cselect_b32 s4, s33, s3
	s_load_b32 s3, s[34:35], 0x0
	s_ashr_i32 s5, s4, 31
	v_lshlrev_b32_e32 v70, 6, v1
	s_lshl_b64 s[4:5], s[4:5], 2
	ds_load_b128 v[108:111], v70
	ds_load_b128 v[112:115], v70 offset:1024
	s_add_u32 s4, s26, s4
	s_addc_u32 s5, s25, s5
	s_add_u32 s6, s22, s27
	s_load_b32 s4, s[4:5], 0x0
	s_addc_u32 s7, s23, s28
	v_add_co_u32 v9, s6, s6, v2
	s_delay_alu instid0(VALU_DEP_1) | instskip(SKIP_1) | instid1(VALU_DEP_1)
	v_add_co_ci_u32_e64 v10, null, s7, 0, s6
	s_waitcnt lgkmcnt(0)
	v_mad_i64_i32 v[1:2], null, s21, s17, v[9:10]
	v_mad_i64_i32 v[3:4], null, s13, s17, v[9:10]
	;; [unrolled: 1-line block ×7, first 2 shown]
	s_clause 0x9
	global_load_b128 v[57:60], v[1:2], off
	global_load_b128 v[61:64], v[1:2], off offset:16
	global_load_b128 v[41:44], v[3:4], off
	global_load_b128 v[45:48], v[3:4], off offset:16
	;; [unrolled: 2-line block ×5, first 2 shown]
	v_mad_i64_i32 v[68:69], null, s4, s17, v[9:10]
	s_clause 0x3
	global_load_b128 v[9:12], v[13:14], off
	global_load_b128 v[13:16], v[13:14], off offset:16
	global_load_b128 v[17:20], v[21:22], off
	global_load_b128 v[21:24], v[21:22], off offset:16
	s_waitcnt vmcnt(20)
	v_wmma_f32_16x16x16_bf16 v[116:123], v[49:56], v[108:115], v[100:107]
	s_clause 0x1
	global_load_b128 v[49:52], v[68:69], off
	global_load_b128 v[53:56], v[68:69], off offset:16
	v_and_b32_e32 v68, 0xe0, v0
	v_mbcnt_lo_u32_b32 v69, -1, 0
	s_delay_alu instid0(VALU_DEP_2)
	v_add_nc_u32_e32 v68, s12, v68
	s_waitcnt vmcnt(20)
	v_wmma_f32_16x16x16_bf16 v[100:107], v[76:83], v[108:115], v[100:107]
	ds_load_b128 v[76:79], v70 offset:2048
	ds_load_b128 v[80:83], v70 offset:3072
	v_xor_b32_e32 v70, 16, v69
	s_waitcnt vmcnt(0) lgkmcnt(0)
	v_or_b32_e32 v68, v68, v74
	s_barrier
	buffer_gl0_inv
	v_cmp_gt_i32_e32 vcc_lo, 32, v70
	v_or_b32_e32 v71, 4, v68
	v_or_b32_e32 v72, 6, v68
	v_cmp_gt_i32_e64 s3, s24, v68
	v_or_b32_e32 v108, 8, v68
	v_or_b32_e32 v109, 10, v68
	v_cmp_gt_i32_e64 s4, s24, v71
	v_cmp_gt_i32_e64 s5, s24, v72
	s_delay_alu instid0(VALU_DEP_4) | instskip(NEXT) | instid1(VALU_DEP_4)
	v_cmp_gt_i32_e64 s6, s24, v108
	v_cmp_gt_i32_e64 s7, s24, v109
	v_wmma_f32_16x16x16_bf16 v[116:123], v[84:91], v[76:83], v[116:123]
	v_cndmask_b32_e32 v69, v69, v70, vcc_lo
	v_or_b32_e32 v70, 2, v68
	v_wmma_f32_16x16x16_bf16 v[100:107], v[92:99], v[76:83], v[100:107]
	v_or_b32_e32 v89, 22, v68
	v_dual_mul_f32 v80, s19, v121 :: v_dual_mul_f32 v81, s19, v120
	v_dual_mul_f32 v92, s19, v117 :: v_dual_mul_f32 v93, s19, v116
	s_delay_alu instid0(VALU_DEP_4)
	v_mul_f32_e32 v96, s19, v105
	v_cmp_gt_i32_e32 vcc_lo, s24, v70
	v_dual_mul_f32 v79, s19, v122 :: v_dual_mul_f32 v82, s19, v119
	v_dual_mul_f32 v83, s19, v118 :: v_dual_mul_f32 v94, s19, v107
	v_cndmask_b32_e64 v93, 0xff7fffff, v93, s3
	v_cndmask_b32_e32 v92, 0xff7fffff, v92, vcc_lo
	v_or_b32_e32 v84, 12, v68
	v_or_b32_e32 v85, 14, v68
	v_cndmask_b32_e64 v71, 0xff7fffff, v83, s4
	v_cndmask_b32_e64 v72, 0xff7fffff, v82, s5
	v_cmp_gt_i32_e64 s13, s24, v89
	v_lshlrev_b32_e32 v89, 2, v69
	v_max3_f32 v82, v93, 0xff7fffff, v92
	v_or_b32_e32 v86, 16, v68
	v_or_b32_e32 v87, 18, v68
	v_mul_f32_e32 v78, s19, v123
	v_cndmask_b32_e64 v81, 0xff7fffff, v81, s6
	v_cndmask_b32_e64 v80, 0xff7fffff, v80, s7
	v_max3_f32 v71, v82, v71, v72
	v_cmp_gt_i32_e64 s8, s24, v84
	v_cmp_gt_i32_e64 s9, s24, v85
	v_or_b32_e32 v88, 20, v68
	v_or_b32_e32 v90, 24, v68
	;; [unrolled: 1-line block ×5, first 2 shown]
	v_dual_mul_f32 v97, s19, v104 :: v_dual_mul_f32 v70, s19, v101
	v_dual_mul_f32 v99, s19, v102 :: v_dual_mul_f32 v68, s19, v100
	v_cndmask_b32_e64 v72, 0xff7fffff, v79, s8
	v_cndmask_b32_e64 v78, 0xff7fffff, v78, s9
	v_max3_f32 v71, v71, v81, v80
	v_cmp_gt_i32_e64 s10, s24, v86
	v_cmp_gt_i32_e64 s11, s24, v87
	v_dual_mul_f32 v95, s19, v106 :: v_dual_mul_f32 v98, s19, v103
	s_delay_alu instid0(VALU_DEP_4) | instskip(NEXT) | instid1(VALU_DEP_4)
	v_max3_f32 v71, v71, v72, v78
	v_cndmask_b32_e64 v68, 0xff7fffff, v68, s10
	s_delay_alu instid0(VALU_DEP_4)
	v_cndmask_b32_e64 v70, 0xff7fffff, v70, s11
	v_cmp_gt_i32_e64 s12, s24, v88
	v_cndmask_b32_e64 v78, 0xff7fffff, v98, s13
	v_cmp_gt_i32_e64 s15, s24, v90
	v_cmp_gt_i32_e64 s16, s24, v91
	v_max3_f32 v68, v71, v68, v70
	v_cndmask_b32_e64 v72, 0xff7fffff, v99, s12
	v_cmp_gt_i32_e64 s17, s24, v76
	v_cndmask_b32_e64 v70, 0xff7fffff, v97, s15
	v_cndmask_b32_e64 v71, 0xff7fffff, v96, s16
	v_cmp_gt_i32_e64 s18, s24, v77
	v_max3_f32 v68, v68, v72, v78
	v_cndmask_b32_e64 v72, 0xff7fffff, v95, s17
	s_delay_alu instid0(VALU_DEP_3) | instskip(NEXT) | instid1(VALU_DEP_3)
	v_cndmask_b32_e64 v76, 0xff7fffff, v94, s18
	v_max3_f32 v68, v68, v70, v71
	s_delay_alu instid0(VALU_DEP_1) | instskip(SKIP_3) | instid1(VALU_DEP_1)
	v_max3_f32 v68, v68, v72, v76
	ds_bpermute_b32 v69, v89, v68
	s_waitcnt lgkmcnt(0)
	v_max_f32_e32 v69, v69, v69
	v_max_f32_e32 v68, v68, v69
	s_delay_alu instid0(VALU_DEP_1) | instskip(NEXT) | instid1(VALU_DEP_1)
	v_fma_f32 v71, s19, v118, -v68
	v_mul_f32_e32 v71, 0x3fb8aa3b, v71
	v_fma_f32 v70, s19, v117, -v68
	v_fma_f32 v69, s19, v116, -v68
	;; [unrolled: 1-line block ×5, first 2 shown]
	s_delay_alu instid0(VALU_DEP_4) | instskip(SKIP_1) | instid1(VALU_DEP_3)
	v_dual_mul_f32 v70, 0x3fb8aa3b, v70 :: v_dual_mul_f32 v69, 0x3fb8aa3b, v69
	v_exp_f32_e32 v71, v71
	v_mul_f32_e32 v72, 0x3fb8aa3b, v72
	v_fma_f32 v81, s19, v105, -v68
	s_delay_alu instid0(VALU_DEP_3)
	v_exp_f32_e32 v70, v70
	v_mul_f32_e32 v77, 0x3fb8aa3b, v76
	v_exp_f32_e32 v69, v69
	v_exp_f32_e32 v72, v72
	v_mul_f32_e32 v81, 0x3fb8aa3b, v81
	v_cndmask_b32_e64 v83, 0, v71, s4
	v_fma_f32 v71, s19, v123, -v68
	s_delay_alu instid0(VALU_DEP_3) | instskip(SKIP_4) | instid1(TRANS32_DEP_3)
	v_exp_f32_e32 v81, v81
	v_cndmask_b32_e32 v76, 0, v70, vcc_lo
	v_exp_f32_e32 v77, v77
	v_cndmask_b32_e64 v80, 0, v69, s3
	v_fma_f32 v69, s19, v121, -v68
	v_cndmask_b32_e64 v85, 0, v72, s5
	v_mul_f32_e32 v71, 0x3fb8aa3b, v71
	v_fma_f32 v72, s19, v100, -v68
	s_delay_alu instid0(VALU_DEP_4) | instskip(SKIP_1) | instid1(VALU_DEP_3)
	v_dual_add_f32 v70, 0, v80 :: v_dual_mul_f32 v69, 0x3fb8aa3b, v69
	s_mov_b32 s3, exec_lo
	v_exp_f32_e32 v71, v71
	s_delay_alu instid0(TRANS32_DEP_2) | instskip(SKIP_4) | instid1(VALU_DEP_3)
	v_cndmask_b32_e64 v86, 0, v77, s6
	v_fma_f32 v77, s19, v101, -v68
	v_mul_f32_e32 v78, 0x3fb8aa3b, v78
	v_add_f32_e32 v70, v70, v76
	v_exp_f32_e32 v69, v69
	v_mul_f32_e32 v77, 0x3fb8aa3b, v77
	s_delay_alu instid0(VALU_DEP_3) | instskip(NEXT) | instid1(TRANS32_DEP_3)
	v_exp_f32_e32 v78, v78
	v_cndmask_b32_e64 v88, 0, v71, s9
	v_fma_f32 v71, s19, v104, -v68
	s_delay_alu instid0(VALU_DEP_3) | instskip(NEXT) | instid1(TRANS32_DEP_3)
	v_exp_f32_e32 v77, v77
	v_cndmask_b32_e64 v87, 0, v69, s7
	s_delay_alu instid0(VALU_DEP_2)
	v_mul_f32_e32 v71, 0x3fb8aa3b, v71
	s_waitcnt_depctr 0xfff
	v_cndmask_b32_e64 v84, 0, v78, s8
	v_add_f32_e32 v70, v70, v83
	v_fma_f32 v78, s19, v103, -v68
	v_exp_f32_e32 v82, v71
	s_delay_alu instid0(VALU_DEP_2) | instskip(SKIP_1) | instid1(VALU_DEP_3)
	v_add_f32_e32 v70, v70, v85
	v_mul_f32_e32 v72, 0x3fb8aa3b, v72
	v_mul_f32_e32 v78, 0x3fb8aa3b, v78
	s_delay_alu instid0(VALU_DEP_3) | instskip(SKIP_1) | instid1(VALU_DEP_4)
	v_add_f32_e32 v69, v70, v86
	v_fma_f32 v70, s19, v102, -v68
	v_exp_f32_e32 v72, v72
	s_delay_alu instid0(VALU_DEP_3) | instskip(NEXT) | instid1(VALU_DEP_1)
	v_exp_f32_e32 v78, v78
	v_dual_add_f32 v69, v69, v87 :: v_dual_mul_f32 v70, 0x3fb8aa3b, v70
	s_delay_alu instid0(VALU_DEP_1) | instskip(NEXT) | instid1(VALU_DEP_2)
	v_add_f32_e32 v69, v69, v84
	v_exp_f32_e32 v79, v70
	s_delay_alu instid0(TRANS32_DEP_3) | instskip(NEXT) | instid1(VALU_DEP_2)
	v_cndmask_b32_e64 v70, 0, v72, s10
	v_add_f32_e32 v72, v69, v88
	v_cndmask_b32_e64 v69, 0, v77, s11
	v_fma_f32 v77, s19, v106, -v68
	s_waitcnt_depctr 0xfff
	v_cndmask_b32_e64 v71, 0, v79, s12
	v_dual_mul_f32 v77, 0x3fb8aa3b, v77 :: v_dual_add_f32 v72, v72, v70
	s_delay_alu instid0(VALU_DEP_1) | instskip(NEXT) | instid1(VALU_DEP_1)
	v_exp_f32_e32 v90, v77
	v_add_f32_e32 v79, v72, v69
	v_cndmask_b32_e64 v72, 0, v78, s13
	v_cndmask_b32_e64 v77, 0, v82, s15
	s_delay_alu instid0(VALU_DEP_3) | instskip(SKIP_1) | instid1(VALU_DEP_1)
	v_add_f32_e32 v78, v79, v71
	v_fma_f32 v79, s19, v107, -v68
	v_dual_add_f32 v82, v78, v72 :: v_dual_mul_f32 v79, 0x3fb8aa3b, v79
	v_cndmask_b32_e64 v78, 0, v81, s16
	s_delay_alu instid0(VALU_DEP_2) | instskip(NEXT) | instid1(VALU_DEP_3)
	v_add_f32_e32 v81, v82, v77
	v_exp_f32_e32 v82, v79
	v_cndmask_b32_e64 v79, 0, v90, s17
	s_delay_alu instid0(VALU_DEP_2) | instskip(NEXT) | instid1(VALU_DEP_1)
	v_add_f32_e32 v81, v81, v78
	v_add_f32_e32 v90, v81, v79
	s_waitcnt_depctr 0xfff
	v_cndmask_b32_e64 v81, 0, v82, s18
	s_delay_alu instid0(VALU_DEP_1)
	v_add_f32_e32 v82, v90, v81
	ds_bpermute_b32 v89, v89, v82
	v_cmpx_gt_u32_e32 16, v67
	s_cbranch_execz .LBB1683_12
; %bb.11:
	v_mul_u32_u24_e32 v67, 0x44, v66
	s_delay_alu instid0(VALU_DEP_1) | instskip(SKIP_1) | instid1(VALU_DEP_1)
	v_lshl_add_u32 v67, v65, 2, v67
	s_waitcnt lgkmcnt(0)
	v_dual_add_f32 v82, v82, v89 :: v_dual_add_nc_u32 v67, 0x4000, v67
	ds_store_2addr_b32 v67, v68, v82 offset1:136
.LBB1683_12:
	s_or_b32 exec_lo, exec_lo, s3
	v_lshlrev_b32_e32 v67, 2, v65
	s_waitcnt lgkmcnt(0)
	s_barrier
	buffer_gl0_inv
	v_cmp_eq_u32_e32 vcc_lo, 1, v66
	v_add_nc_u32_e32 v82, 0x4000, v67
	v_cmp_eq_u32_e64 s3, 2, v66
	v_cmp_eq_u32_e64 s5, 7, v66
	ds_load_2addr_b32 v[89:90], v82 offset1:17
	ds_load_2addr_b32 v[91:92], v82 offset0:34 offset1:51
	ds_load_2addr_b32 v[93:94], v82 offset0:68 offset1:85
	;; [unrolled: 1-line block ×4, first 2 shown]
	s_waitcnt lgkmcnt(4)
	v_max3_f32 v67, v89, 0xff7fffff, v90
	s_waitcnt lgkmcnt(3)
	s_delay_alu instid0(VALU_DEP_1) | instskip(SKIP_1) | instid1(VALU_DEP_1)
	v_max3_f32 v67, v67, v91, v92
	s_waitcnt lgkmcnt(2)
	v_max3_f32 v67, v67, v93, v94
	s_waitcnt lgkmcnt(1)
	s_delay_alu instid0(VALU_DEP_1) | instskip(NEXT) | instid1(VALU_DEP_1)
	v_max3_f32 v67, v67, v95, v96
	v_sub_f32_e32 v93, v93, v67
	s_delay_alu instid0(VALU_DEP_1) | instskip(NEXT) | instid1(VALU_DEP_1)
	v_dual_sub_f32 v68, v89, v67 :: v_dual_mul_f32 v103, 0x3fb8aa3b, v93
	v_mul_f32_e32 v68, 0x3fb8aa3b, v68
	s_delay_alu instid0(VALU_DEP_1)
	v_exp_f32_e32 v100, v68
	v_sub_f32_e32 v68, v92, v67
	v_sub_f32_e32 v99, v90, v67
	ds_load_2addr_b32 v[89:90], v82 offset0:170 offset1:187
	v_dual_mul_f32 v102, 0x3fb8aa3b, v68 :: v_dual_mul_f32 v99, 0x3fb8aa3b, v99
	s_waitcnt lgkmcnt(1)
	v_fma_f32 v68, v100, v97, 0
	s_delay_alu instid0(VALU_DEP_2) | instskip(NEXT) | instid1(VALU_DEP_2)
	v_exp_f32_e32 v102, v102
	v_exp_f32_e32 v99, v99
	s_waitcnt_depctr 0xfff
	v_fmac_f32_e32 v68, v99, v98
	v_sub_f32_e32 v91, v91, v67
	s_delay_alu instid0(VALU_DEP_1)
	v_mul_f32_e32 v101, 0x3fb8aa3b, v91
	ds_load_2addr_b32 v[91:92], v82 offset0:204 offset1:221
	v_sub_f32_e32 v97, v94, v67
	ds_load_2addr_b32 v[93:94], v82 offset0:238 offset1:255
	s_waitcnt lgkmcnt(0)
	v_exp_f32_e32 v101, v101
	s_barrier
	buffer_gl0_inv
	v_dual_fmac_f32 v68, v101, v89 :: v_dual_sub_f32 v89, v96, v67
	v_dual_sub_f32 v82, v95, v67 :: v_dual_mul_f32 v95, 0x3fb8aa3b, v97
	v_exp_f32_e32 v97, v103
	s_delay_alu instid0(VALU_DEP_2) | instskip(NEXT) | instid1(VALU_DEP_2)
	v_dual_fmac_f32 v68, v102, v90 :: v_dual_mul_f32 v89, 0x3fb8aa3b, v89
	v_mul_f32_e32 v82, 0x3fb8aa3b, v82
	s_delay_alu instid0(VALU_DEP_3) | instskip(NEXT) | instid1(VALU_DEP_2)
	v_exp_f32_e32 v95, v95
	v_exp_f32_e32 v89, v89
	s_delay_alu instid0(VALU_DEP_1)
	v_exp_f32_e32 v82, v82
	v_fmac_f32_e32 v68, v97, v91
	s_delay_alu instid0(TRANS32_DEP_3) | instid1(VALU_DEP_1)
	v_fmac_f32_e32 v68, v95, v92
	s_waitcnt_depctr 0xfff
	v_fmac_f32_e32 v68, v82, v93
	s_delay_alu instid0(VALU_DEP_1) | instskip(NEXT) | instid1(VALU_DEP_1)
	v_fmac_f32_e32 v68, v89, v94
	v_add_f32_e32 v90, 0x358637bd, v68
	s_delay_alu instid0(VALU_DEP_1) | instskip(NEXT) | instid1(VALU_DEP_1)
	v_div_scale_f32 v91, null, v90, v90, 1.0
	v_rcp_f32_e32 v92, v91
	s_waitcnt_depctr 0xfff
	v_fma_f32 v93, -v91, v92, 1.0
	s_delay_alu instid0(VALU_DEP_1) | instskip(SKIP_1) | instid1(VALU_DEP_2)
	v_dual_fmac_f32 v92, v93, v92 :: v_dual_cndmask_b32 v93, v100, v99
	v_cmp_eq_u32_e32 vcc_lo, 3, v66
	v_cndmask_b32_e64 v93, v93, v101, s3
	v_cmp_eq_u32_e64 s3, 4, v66
	s_delay_alu instid0(VALU_DEP_2) | instskip(SKIP_1) | instid1(VALU_DEP_2)
	v_cndmask_b32_e32 v93, v93, v102, vcc_lo
	v_cmp_eq_u32_e32 vcc_lo, 5, v66
	v_cndmask_b32_e64 v93, v93, v97, s3
	v_cmp_eq_u32_e64 s3, 6, v66
	s_delay_alu instid0(VALU_DEP_2) | instskip(SKIP_1) | instid1(VALU_DEP_1)
	v_cndmask_b32_e32 v93, v93, v95, vcc_lo
	v_div_scale_f32 v94, s4, 1.0, v90, 1.0
	s_mov_b32 vcc_lo, s4
	s_delay_alu instid0(VALU_DEP_2) | instskip(NEXT) | instid1(VALU_DEP_2)
	v_cndmask_b32_e64 v82, v93, v82, s3
	v_mul_f32_e32 v96, v94, v92
	s_mov_b32 s3, exec_lo
	s_delay_alu instid0(VALU_DEP_2) | instskip(NEXT) | instid1(VALU_DEP_2)
	v_cndmask_b32_e64 v82, v82, v89, s5
	v_fma_f32 v98, -v91, v96, v94
	s_delay_alu instid0(VALU_DEP_1) | instskip(NEXT) | instid1(VALU_DEP_1)
	v_fmac_f32_e32 v96, v98, v92
	v_fma_f32 v91, -v91, v96, v94
	s_delay_alu instid0(VALU_DEP_1) | instskip(NEXT) | instid1(VALU_DEP_1)
	v_div_fmas_f32 v91, v91, v92, v96
	v_div_fixup_f32 v90, v91, v90, 1.0
	s_delay_alu instid0(VALU_DEP_1) | instskip(NEXT) | instid1(VALU_DEP_1)
	v_mul_f32_e32 v82, v82, v90
	v_mul_f32_e32 v87, v82, v87
	;; [unrolled: 1-line block ×7, first 2 shown]
	v_dual_mul_f32 v86, v82, v83 :: v_dual_and_b32 v91, 0x7f800000, v90
	v_mul_f32_e32 v85, v82, v76
                                        ; implicit-def: $vgpr76
	s_delay_alu instid0(VALU_DEP_2)
	v_cmpx_ne_u32_e32 0x7f800000, v91
	s_xor_b32 s3, exec_lo, s3
; %bb.13:
	v_bfe_u32 v76, v90, 16, 1
	s_delay_alu instid0(VALU_DEP_1)
	v_add3_u32 v76, v90, v76, 0x7fff
                                        ; implicit-def: $vgpr90
; %bb.14:
	s_and_not1_saveexec_b32 s3, s3
; %bb.15:
	v_and_b32_e32 v76, 0xffff, v90
	v_or_b32_e32 v83, 0x10000, v90
	s_delay_alu instid0(VALU_DEP_2) | instskip(NEXT) | instid1(VALU_DEP_2)
	v_cmp_eq_u32_e32 vcc_lo, 0, v76
	v_cndmask_b32_e32 v76, v83, v90, vcc_lo
; %bb.16:
	s_or_b32 exec_lo, exec_lo, s3
	v_and_b32_e32 v83, 0x7f800000, v85
	s_delay_alu instid0(VALU_DEP_1) | instskip(SKIP_1) | instid1(SALU_CYCLE_1)
	v_cmp_ne_u32_e32 vcc_lo, 0x7f800000, v83
                                        ; implicit-def: $vgpr83
	s_and_saveexec_b32 s3, vcc_lo
	s_xor_b32 s3, exec_lo, s3
; %bb.17:
	v_bfe_u32 v83, v85, 16, 1
	s_delay_alu instid0(VALU_DEP_1)
	v_add3_u32 v83, v85, v83, 0x7fff
                                        ; implicit-def: $vgpr85
; %bb.18:
	s_and_not1_saveexec_b32 s3, s3
; %bb.19:
	v_and_b32_e32 v83, 0xffff, v85
	v_or_b32_e32 v90, 0x10000, v85
	s_delay_alu instid0(VALU_DEP_2) | instskip(NEXT) | instid1(VALU_DEP_2)
	v_cmp_eq_u32_e32 vcc_lo, 0, v83
	v_cndmask_b32_e32 v83, v90, v85, vcc_lo
; %bb.20:
	s_or_b32 exec_lo, exec_lo, s3
	v_and_b32_e32 v85, 0x7f800000, v86
	s_delay_alu instid0(VALU_DEP_1) | instskip(SKIP_1) | instid1(SALU_CYCLE_1)
	v_cmp_ne_u32_e32 vcc_lo, 0x7f800000, v85
                                        ; implicit-def: $vgpr85
	s_and_saveexec_b32 s3, vcc_lo
	s_xor_b32 s3, exec_lo, s3
; %bb.21:
	v_bfe_u32 v85, v86, 16, 1
	s_delay_alu instid0(VALU_DEP_1)
	v_add3_u32 v85, v86, v85, 0x7fff
                                        ; implicit-def: $vgpr86
; %bb.22:
	s_and_not1_saveexec_b32 s3, s3
; %bb.23:
	v_and_b32_e32 v85, 0xffff, v86
	v_or_b32_e32 v90, 0x10000, v86
	s_delay_alu instid0(VALU_DEP_2) | instskip(NEXT) | instid1(VALU_DEP_2)
	v_cmp_eq_u32_e32 vcc_lo, 0, v85
	v_cndmask_b32_e32 v85, v90, v86, vcc_lo
; %bb.24:
	s_or_b32 exec_lo, exec_lo, s3
	v_and_b32_e32 v86, 0x7f800000, v89
	s_delay_alu instid0(VALU_DEP_1) | instskip(SKIP_1) | instid1(SALU_CYCLE_1)
	v_cmp_ne_u32_e32 vcc_lo, 0x7f800000, v86
                                        ; implicit-def: $vgpr86
	s_and_saveexec_b32 s3, vcc_lo
	s_xor_b32 s3, exec_lo, s3
; %bb.25:
	v_bfe_u32 v86, v89, 16, 1
	s_delay_alu instid0(VALU_DEP_1)
	v_add3_u32 v86, v89, v86, 0x7fff
                                        ; implicit-def: $vgpr89
; %bb.26:
	s_and_not1_saveexec_b32 s3, s3
; %bb.27:
	v_and_b32_e32 v86, 0xffff, v89
	v_or_b32_e32 v90, 0x10000, v89
	s_delay_alu instid0(VALU_DEP_2) | instskip(NEXT) | instid1(VALU_DEP_2)
	v_cmp_eq_u32_e32 vcc_lo, 0, v86
	v_cndmask_b32_e32 v86, v90, v89, vcc_lo
; %bb.28:
	s_or_b32 exec_lo, exec_lo, s3
	v_and_b32_e32 v89, 0x7f800000, v88
	s_delay_alu instid0(VALU_DEP_1) | instskip(SKIP_1) | instid1(SALU_CYCLE_1)
	v_cmp_ne_u32_e32 vcc_lo, 0x7f800000, v89
                                        ; implicit-def: $vgpr89
	s_and_saveexec_b32 s3, vcc_lo
	s_xor_b32 s3, exec_lo, s3
; %bb.29:
	v_bfe_u32 v89, v88, 16, 1
	s_delay_alu instid0(VALU_DEP_1)
	v_add3_u32 v89, v88, v89, 0x7fff
                                        ; implicit-def: $vgpr88
; %bb.30:
	s_and_not1_saveexec_b32 s3, s3
; %bb.31:
	v_and_b32_e32 v89, 0xffff, v88
	v_or_b32_e32 v90, 0x10000, v88
	s_delay_alu instid0(VALU_DEP_2) | instskip(NEXT) | instid1(VALU_DEP_2)
	v_cmp_eq_u32_e32 vcc_lo, 0, v89
	v_cndmask_b32_e32 v89, v90, v88, vcc_lo
; %bb.32:
	s_or_b32 exec_lo, exec_lo, s3
	v_and_b32_e32 v88, 0x7f800000, v87
	s_delay_alu instid0(VALU_DEP_1) | instskip(SKIP_1) | instid1(SALU_CYCLE_1)
	v_cmp_ne_u32_e32 vcc_lo, 0x7f800000, v88
                                        ; implicit-def: $vgpr88
	s_and_saveexec_b32 s3, vcc_lo
	s_xor_b32 s3, exec_lo, s3
; %bb.33:
	v_bfe_u32 v88, v87, 16, 1
	s_delay_alu instid0(VALU_DEP_1)
	v_add3_u32 v88, v87, v88, 0x7fff
                                        ; implicit-def: $vgpr87
; %bb.34:
	s_and_not1_saveexec_b32 s3, s3
; %bb.35:
	v_and_b32_e32 v88, 0xffff, v87
	v_or_b32_e32 v90, 0x10000, v87
	s_delay_alu instid0(VALU_DEP_2) | instskip(NEXT) | instid1(VALU_DEP_2)
	v_cmp_eq_u32_e32 vcc_lo, 0, v88
	v_cndmask_b32_e32 v88, v90, v87, vcc_lo
; %bb.36:
	s_or_b32 exec_lo, exec_lo, s3
	v_and_b32_e32 v87, 0x7f800000, v84
	s_delay_alu instid0(VALU_DEP_1) | instskip(SKIP_1) | instid1(SALU_CYCLE_1)
	v_cmp_ne_u32_e32 vcc_lo, 0x7f800000, v87
                                        ; implicit-def: $vgpr87
	s_and_saveexec_b32 s3, vcc_lo
	s_xor_b32 s3, exec_lo, s3
; %bb.37:
	v_bfe_u32 v87, v84, 16, 1
	s_delay_alu instid0(VALU_DEP_1)
	v_add3_u32 v87, v84, v87, 0x7fff
                                        ; implicit-def: $vgpr84
; %bb.38:
	s_and_not1_saveexec_b32 s3, s3
; %bb.39:
	v_and_b32_e32 v87, 0xffff, v84
	v_or_b32_e32 v90, 0x10000, v84
	s_delay_alu instid0(VALU_DEP_2) | instskip(NEXT) | instid1(VALU_DEP_2)
	v_cmp_eq_u32_e32 vcc_lo, 0, v87
	v_cndmask_b32_e32 v87, v90, v84, vcc_lo
; %bb.40:
	s_or_b32 exec_lo, exec_lo, s3
	v_and_b32_e32 v84, 0x7f800000, v80
	s_delay_alu instid0(VALU_DEP_1) | instskip(SKIP_1) | instid1(SALU_CYCLE_1)
	v_cmp_ne_u32_e32 vcc_lo, 0x7f800000, v84
                                        ; implicit-def: $vgpr84
	s_and_saveexec_b32 s3, vcc_lo
	s_xor_b32 s3, exec_lo, s3
; %bb.41:
	v_bfe_u32 v84, v80, 16, 1
	s_delay_alu instid0(VALU_DEP_1)
	v_add3_u32 v84, v80, v84, 0x7fff
                                        ; implicit-def: $vgpr80
; %bb.42:
	s_and_not1_saveexec_b32 s3, s3
; %bb.43:
	v_and_b32_e32 v84, 0xffff, v80
	v_or_b32_e32 v90, 0x10000, v80
	s_delay_alu instid0(VALU_DEP_2) | instskip(NEXT) | instid1(VALU_DEP_2)
	v_cmp_eq_u32_e32 vcc_lo, 0, v84
	v_cndmask_b32_e32 v84, v90, v80, vcc_lo
; %bb.44:
	s_or_b32 exec_lo, exec_lo, s3
	s_load_b64 s[34:35], s[0:1], 0x94
	v_lshlrev_b32_e32 v91, 4, v74
	s_delay_alu instid0(VALU_DEP_2)
	v_perm_b32 v90, v84, v87, 0x7060302
	v_dual_mul_f32 v79, v82, v79 :: v_dual_lshlrev_b32 v80, 6, v65
	v_dual_mul_f32 v77, v82, v77 :: v_dual_lshlrev_b32 v92, 11, v66
	v_mul_f32_e32 v84, v82, v70
	v_perm_b32 v89, v88, v89, 0x7060302
	v_perm_b32 v88, v86, v85, 0x7060302
	v_perm_b32 v87, v83, v76, 0x7060302
	v_mul_f32_e32 v70, v82, v81
	v_or3_b32 v76, v91, v92, v80
	v_dual_mul_f32 v78, v82, v78 :: v_dual_and_b32 v85, 0x7f800000, v84
	v_mul_f32_e32 v83, v82, v72
	v_mul_f32_e32 v81, v82, v71
	;; [unrolled: 1-line block ×3, first 2 shown]
	s_mov_b32 s3, exec_lo
	ds_store_b128 v76, v[87:90]
                                        ; implicit-def: $vgpr69
	v_cmpx_ne_u32_e32 0x7f800000, v85
	s_xor_b32 s3, exec_lo, s3
; %bb.45:
	v_bfe_u32 v69, v84, 16, 1
	s_delay_alu instid0(VALU_DEP_1)
	v_add3_u32 v69, v84, v69, 0x7fff
                                        ; implicit-def: $vgpr84
; %bb.46:
	s_and_not1_saveexec_b32 s3, s3
; %bb.47:
	v_and_b32_e32 v69, 0xffff, v84
	v_or_b32_e32 v71, 0x10000, v84
	s_delay_alu instid0(VALU_DEP_2) | instskip(NEXT) | instid1(VALU_DEP_2)
	v_cmp_eq_u32_e32 vcc_lo, 0, v69
	v_cndmask_b32_e32 v69, v71, v84, vcc_lo
; %bb.48:
	s_or_b32 exec_lo, exec_lo, s3
	v_and_b32_e32 v71, 0x7f800000, v72
	s_delay_alu instid0(VALU_DEP_1) | instskip(SKIP_1) | instid1(SALU_CYCLE_1)
	v_cmp_ne_u32_e32 vcc_lo, 0x7f800000, v71
                                        ; implicit-def: $vgpr71
	s_and_saveexec_b32 s3, vcc_lo
	s_xor_b32 s3, exec_lo, s3
; %bb.49:
	v_bfe_u32 v71, v72, 16, 1
	s_delay_alu instid0(VALU_DEP_1)
	v_add3_u32 v71, v72, v71, 0x7fff
                                        ; implicit-def: $vgpr72
; %bb.50:
	s_and_not1_saveexec_b32 s3, s3
; %bb.51:
	v_and_b32_e32 v71, 0xffff, v72
	v_or_b32_e32 v82, 0x10000, v72
	s_delay_alu instid0(VALU_DEP_2) | instskip(NEXT) | instid1(VALU_DEP_2)
	v_cmp_eq_u32_e32 vcc_lo, 0, v71
	v_cndmask_b32_e32 v71, v82, v72, vcc_lo
; %bb.52:
	s_or_b32 exec_lo, exec_lo, s3
	v_and_b32_e32 v72, 0x7f800000, v81
	s_delay_alu instid0(VALU_DEP_1) | instskip(SKIP_1) | instid1(SALU_CYCLE_1)
	v_cmp_ne_u32_e32 vcc_lo, 0x7f800000, v72
                                        ; implicit-def: $vgpr72
	s_and_saveexec_b32 s3, vcc_lo
	s_xor_b32 s3, exec_lo, s3
; %bb.53:
	v_bfe_u32 v72, v81, 16, 1
	s_delay_alu instid0(VALU_DEP_1)
	v_add3_u32 v72, v81, v72, 0x7fff
                                        ; implicit-def: $vgpr81
; %bb.54:
	s_and_not1_saveexec_b32 s3, s3
; %bb.55:
	v_and_b32_e32 v72, 0xffff, v81
	v_or_b32_e32 v82, 0x10000, v81
	s_delay_alu instid0(VALU_DEP_2) | instskip(NEXT) | instid1(VALU_DEP_2)
	v_cmp_eq_u32_e32 vcc_lo, 0, v72
	v_cndmask_b32_e32 v72, v82, v81, vcc_lo
; %bb.56:
	s_or_b32 exec_lo, exec_lo, s3
	v_and_b32_e32 v81, 0x7f800000, v83
	s_delay_alu instid0(VALU_DEP_1) | instskip(SKIP_1) | instid1(SALU_CYCLE_1)
	v_cmp_ne_u32_e32 vcc_lo, 0x7f800000, v81
                                        ; implicit-def: $vgpr81
	s_and_saveexec_b32 s3, vcc_lo
	s_xor_b32 s3, exec_lo, s3
; %bb.57:
	v_bfe_u32 v81, v83, 16, 1
	s_delay_alu instid0(VALU_DEP_1)
	v_add3_u32 v81, v83, v81, 0x7fff
                                        ; implicit-def: $vgpr83
; %bb.58:
	s_and_not1_saveexec_b32 s3, s3
; %bb.59:
	v_and_b32_e32 v81, 0xffff, v83
	v_or_b32_e32 v82, 0x10000, v83
	s_delay_alu instid0(VALU_DEP_2) | instskip(NEXT) | instid1(VALU_DEP_2)
	v_cmp_eq_u32_e32 vcc_lo, 0, v81
	v_cndmask_b32_e32 v81, v82, v83, vcc_lo
; %bb.60:
	s_or_b32 exec_lo, exec_lo, s3
	v_and_b32_e32 v82, 0x7f800000, v77
	s_delay_alu instid0(VALU_DEP_1) | instskip(SKIP_1) | instid1(SALU_CYCLE_1)
	v_cmp_ne_u32_e32 vcc_lo, 0x7f800000, v82
                                        ; implicit-def: $vgpr82
	s_and_saveexec_b32 s3, vcc_lo
	s_xor_b32 s3, exec_lo, s3
; %bb.61:
	v_bfe_u32 v82, v77, 16, 1
	s_delay_alu instid0(VALU_DEP_1)
	v_add3_u32 v82, v77, v82, 0x7fff
                                        ; implicit-def: $vgpr77
; %bb.62:
	s_and_not1_saveexec_b32 s3, s3
; %bb.63:
	v_and_b32_e32 v82, 0xffff, v77
	v_or_b32_e32 v83, 0x10000, v77
	s_delay_alu instid0(VALU_DEP_2) | instskip(NEXT) | instid1(VALU_DEP_2)
	v_cmp_eq_u32_e32 vcc_lo, 0, v82
	v_cndmask_b32_e32 v82, v83, v77, vcc_lo
; %bb.64:
	s_or_b32 exec_lo, exec_lo, s3
	v_and_b32_e32 v77, 0x7f800000, v78
	s_delay_alu instid0(VALU_DEP_1) | instskip(SKIP_1) | instid1(SALU_CYCLE_1)
	v_cmp_ne_u32_e32 vcc_lo, 0x7f800000, v77
                                        ; implicit-def: $vgpr77
	s_and_saveexec_b32 s3, vcc_lo
	s_xor_b32 s3, exec_lo, s3
; %bb.65:
	v_bfe_u32 v77, v78, 16, 1
	s_delay_alu instid0(VALU_DEP_1)
	v_add3_u32 v77, v78, v77, 0x7fff
                                        ; implicit-def: $vgpr78
; %bb.66:
	s_and_not1_saveexec_b32 s3, s3
; %bb.67:
	v_and_b32_e32 v77, 0xffff, v78
	v_or_b32_e32 v83, 0x10000, v78
	s_delay_alu instid0(VALU_DEP_2) | instskip(NEXT) | instid1(VALU_DEP_2)
	v_cmp_eq_u32_e32 vcc_lo, 0, v77
	v_cndmask_b32_e32 v77, v83, v78, vcc_lo
; %bb.68:
	s_or_b32 exec_lo, exec_lo, s3
	v_and_b32_e32 v78, 0x7f800000, v79
	s_delay_alu instid0(VALU_DEP_1) | instskip(SKIP_1) | instid1(SALU_CYCLE_1)
	v_cmp_ne_u32_e32 vcc_lo, 0x7f800000, v78
                                        ; implicit-def: $vgpr78
	s_and_saveexec_b32 s3, vcc_lo
	s_xor_b32 s3, exec_lo, s3
; %bb.69:
	v_bfe_u32 v78, v79, 16, 1
	s_delay_alu instid0(VALU_DEP_1)
	v_add3_u32 v78, v79, v78, 0x7fff
                                        ; implicit-def: $vgpr79
; %bb.70:
	s_and_not1_saveexec_b32 s3, s3
; %bb.71:
	v_and_b32_e32 v78, 0xffff, v79
	v_or_b32_e32 v83, 0x10000, v79
	s_delay_alu instid0(VALU_DEP_2) | instskip(NEXT) | instid1(VALU_DEP_2)
	v_cmp_eq_u32_e32 vcc_lo, 0, v78
	v_cndmask_b32_e32 v78, v83, v79, vcc_lo
; %bb.72:
	s_or_b32 exec_lo, exec_lo, s3
	v_and_b32_e32 v79, 0x7f800000, v70
	s_delay_alu instid0(VALU_DEP_1) | instskip(SKIP_1) | instid1(SALU_CYCLE_1)
	v_cmp_ne_u32_e32 vcc_lo, 0x7f800000, v79
                                        ; implicit-def: $vgpr79
	s_and_saveexec_b32 s3, vcc_lo
	s_xor_b32 s3, exec_lo, s3
; %bb.73:
	v_bfe_u32 v79, v70, 16, 1
	s_delay_alu instid0(VALU_DEP_1)
	v_add3_u32 v79, v70, v79, 0x7fff
                                        ; implicit-def: $vgpr70
; %bb.74:
	s_and_not1_saveexec_b32 s3, s3
; %bb.75:
	v_and_b32_e32 v79, 0xffff, v70
	v_or_b32_e32 v83, 0x10000, v70
	s_delay_alu instid0(VALU_DEP_2) | instskip(NEXT) | instid1(VALU_DEP_2)
	v_cmp_eq_u32_e32 vcc_lo, 0, v79
	v_cndmask_b32_e32 v79, v83, v70, vcc_lo
; %bb.76:
	s_or_b32 exec_lo, exec_lo, s3
	s_delay_alu instid0(VALU_DEP_1)
	v_perm_b32 v86, v79, v78, 0x7060302
	v_perm_b32 v85, v77, v82, 0x7060302
	;; [unrolled: 1-line block ×4, first 2 shown]
	v_lshl_or_b32 v82, v66, 11, v80
	ds_store_b128 v76, v[83:86] offset:1024
	s_waitcnt lgkmcnt(0)
	s_barrier
	buffer_gl0_inv
	ds_load_b128 v[69:72], v82
	ds_load_b128 v[83:86], v82 offset:16
	s_waitcnt lgkmcnt(1)
	v_lshrrev_b32_e32 v66, 16, v69
	s_waitcnt lgkmcnt(0)
	v_lshrrev_b32_e32 v91, 16, v83
	v_lshlrev_b32_e32 v78, 2, v74
	v_lshrrev_b32_e32 v95, 16, v70
	v_lshrrev_b32_e32 v98, 16, v84
	;; [unrolled: 1-line block ×4, first 2 shown]
	v_cmp_eq_u32_e32 vcc_lo, 1, v78
	v_lshrrev_b32_e32 v97, 16, v72
	v_lshrrev_b32_e32 v100, 16, v86
	v_cndmask_b32_e32 v87, v83, v91, vcc_lo
	v_or_b32_e32 v79, 1, v78
	v_cndmask_b32_e32 v81, v69, v66, vcc_lo
	v_cmp_eq_u32_e64 s4, 2, v78
	v_cmp_eq_u32_e64 s7, 3, v78
	;; [unrolled: 1-line block ×5, first 2 shown]
	v_cndmask_b32_e64 v81, v81, v70, s4
	v_cndmask_b32_e64 v87, v87, v84, s4
	v_cmp_eq_u32_e64 s8, 3, v79
	v_cndmask_b32_e64 v88, v69, v66, s3
	v_or_b32_e32 v77, 2, v78
	v_cndmask_b32_e64 v81, v81, v95, s7
	v_cndmask_b32_e64 v87, v87, v98, s7
	v_cndmask_b32_e64 v89, v83, v91, s3
	v_cndmask_b32_e64 v88, v88, v70, s6
	v_cmp_eq_u32_e64 s10, 5, v78
	v_cndmask_b32_e64 v81, v81, v71, s9
	v_cndmask_b32_e64 v87, v87, v85, s9
	v_cmp_eq_u32_e64 s11, 4, v79
	v_cndmask_b32_e64 v88, v88, v95, s8
	v_cmp_eq_u32_e64 s5, 1, v77
	v_cndmask_b32_e64 v89, v89, v84, s6
	v_cndmask_b32_e64 v81, v81, v96, s10
	v_cmp_eq_u32_e64 s12, 6, v78
	v_cndmask_b32_e64 v88, v88, v71, s11
	;; [unrolled: 3-line block ×3, first 2 shown]
	v_cndmask_b32_e64 v89, v89, v98, s8
	v_cndmask_b32_e64 v81, v81, v72, s12
	v_cmp_eq_u32_e64 s15, 7, v78
	v_cndmask_b32_e64 v88, v88, v96, s13
	v_cndmask_b32_e64 v87, v87, v86, s12
	v_cmp_eq_u32_e64 s16, 6, v79
	v_cmp_eq_u32_e64 s17, 2, v77
	v_cndmask_b32_e64 v89, v89, v85, s11
	v_cndmask_b32_e64 v101, v81, v97, s15
	v_cndmask_b32_e64 v102, v87, v100, s15
	v_cndmask_b32_e64 v88, v88, v72, s16
	v_cndmask_b32_e64 v81, v90, v70, s17
	v_cndmask_b32_e64 v87, v83, v91, s5
	v_cmp_eq_u32_e64 s18, 7, v79
	v_cmp_eq_u32_e64 s19, 3, v77
	;; [unrolled: 1-line block ×4, first 2 shown]
	v_cndmask_b32_e64 v87, v87, v84, s17
	v_cndmask_b32_e64 v103, v88, v97, s18
	v_cndmask_b32_e64 v88, v89, v99, s13
	v_cndmask_b32_e64 v89, v81, v95, s19
	v_or_b32_e32 v81, 3, v78
	v_cndmask_b32_e64 v93, v87, v98, s19
	v_cmp_eq_u32_e64 s24, 6, v77
	v_cndmask_b32_e64 v104, v88, v86, s16
	v_cndmask_b32_e64 v92, v89, v71, s20
	v_cmp_eq_u32_e64 s21, 1, v81
	ds_load_b128 v[87:90], v82 offset:1024
	v_cmp_eq_u32_e64 s23, 2, v81
	v_cmp_eq_u32_e64 s25, 3, v81
	v_cndmask_b32_e64 v105, v92, v96, s22
	v_cndmask_b32_e64 v66, v69, v66, s21
	;; [unrolled: 1-line block ×4, first 2 shown]
	ds_load_b128 v[91:94], v82 offset:1040
	v_cmp_eq_u32_e64 s26, 4, v81
	v_cndmask_b32_e64 v66, v66, v70, s23
	v_cmp_eq_u32_e64 s27, 7, v77
	v_cndmask_b32_e64 v70, v83, v84, s23
	v_cndmask_b32_e64 v84, v105, v72, s24
	v_cmp_eq_u32_e64 s28, 5, v81
	v_cndmask_b32_e64 v66, v66, v95, s25
	v_cmp_eq_u32_e64 s29, 6, v81
	v_cndmask_b32_e64 v70, v70, v98, s25
	v_cndmask_b32_e64 v69, v69, v99, s22
	;; [unrolled: 1-line block ×4, first 2 shown]
	s_waitcnt lgkmcnt(1)
	v_lshrrev_b32_e32 v95, 16, v87
	v_cndmask_b32_e64 v70, v70, v85, s26
	v_cndmask_b32_e64 v71, v84, v97, s27
	;; [unrolled: 1-line block ×4, first 2 shown]
	v_cndmask_b32_e32 v84, v87, v95, vcc_lo
	v_cndmask_b32_e64 v70, v70, v99, s28
	s_waitcnt lgkmcnt(0)
	v_lshrrev_b32_e32 v85, 16, v91
	v_lshrrev_b32_e32 v96, 16, v88
	v_cndmask_b32_e64 v98, v87, v95, s3
	v_cndmask_b32_e64 v84, v84, v88, s4
	;; [unrolled: 1-line block ×3, first 2 shown]
	v_cndmask_b32_e32 v99, v91, v85, vcc_lo
	v_cmp_eq_u32_e32 vcc_lo, 7, v81
	v_cndmask_b32_e64 v66, v66, v72, s29
	v_cndmask_b32_e64 v72, v84, v96, s7
	;; [unrolled: 1-line block ×3, first 2 shown]
	v_lshrrev_b32_e32 v98, 16, v92
	v_cndmask_b32_e32 v70, v70, v100, vcc_lo
	v_cndmask_b32_e64 v86, v99, v92, s4
	v_cndmask_b32_e64 v69, v69, v100, s27
	v_lshrrev_b32_e32 v100, 16, v93
	v_cndmask_b32_e64 v72, v72, v89, s9
	v_lshrrev_b32_e32 v99, 16, v89
	v_cndmask_b32_e64 v86, v86, v98, s7
	v_perm_b32 v71, v69, v71, 0x5040100
	v_cndmask_b32_e64 v84, v84, v96, s8
	s_delay_alu instid0(VALU_DEP_3) | instskip(NEXT) | instid1(VALU_DEP_2)
	v_cndmask_b32_e64 v86, v86, v93, s9
	v_cndmask_b32_e64 v84, v84, v89, s11
	s_delay_alu instid0(VALU_DEP_2) | instskip(NEXT) | instid1(VALU_DEP_1)
	v_cndmask_b32_e64 v86, v86, v100, s10
	v_cndmask_b32_e64 v69, v86, v94, s12
	;; [unrolled: 1-line block ×5, first 2 shown]
	s_delay_alu instid0(VALU_DEP_3) | instskip(NEXT) | instid1(VALU_DEP_3)
	v_cndmask_b32_e64 v86, v86, v88, s17
	v_cndmask_b32_e64 v87, v87, v88, s23
	s_delay_alu instid0(VALU_DEP_3) | instskip(NEXT) | instid1(VALU_DEP_3)
	v_cndmask_b32_e64 v88, v95, v92, s23
	v_cndmask_b32_e64 v86, v86, v96, s19
	s_delay_alu instid0(VALU_DEP_3) | instskip(NEXT) | instid1(VALU_DEP_3)
	v_cndmask_b32_e64 v87, v87, v96, s25
	v_cndmask_b32_e64 v88, v88, v98, s25
	s_delay_alu instid0(VALU_DEP_3) | instskip(NEXT) | instid1(VALU_DEP_3)
	v_cndmask_b32_e64 v86, v86, v89, s20
	v_cndmask_b32_e64 v87, v87, v89, s26
	s_delay_alu instid0(VALU_DEP_3) | instskip(NEXT) | instid1(VALU_DEP_3)
	v_cndmask_b32_e64 v88, v88, v93, s26
	v_cndmask_b32_e64 v86, v86, v99, s22
	s_delay_alu instid0(VALU_DEP_3) | instskip(NEXT) | instid1(VALU_DEP_3)
	v_cndmask_b32_e64 v87, v87, v99, s28
	v_cndmask_b32_e64 v88, v88, v100, s28
	s_delay_alu instid0(VALU_DEP_3) | instskip(NEXT) | instid1(VALU_DEP_3)
	v_cndmask_b32_e64 v86, v86, v90, s24
	v_cndmask_b32_e64 v87, v87, v90, s29
	s_delay_alu instid0(VALU_DEP_3) | instskip(SKIP_2) | instid1(VALU_DEP_2)
	v_cndmask_b32_e64 v88, v88, v94, s29
	v_cndmask_b32_e32 v66, v66, v97, vcc_lo
	v_cndmask_b32_e64 v97, v72, v99, s10
	v_perm_b32 v72, v70, v66, 0x5040100
	v_perm_b32 v70, v83, v103, 0x5040100
	v_cndmask_b32_e64 v103, v91, v85, s5
	v_cndmask_b32_e64 v85, v91, v85, s3
	;; [unrolled: 1-line block ×4, first 2 shown]
	v_lshrrev_b32_e32 v97, 16, v90
	v_cndmask_b32_e64 v91, v103, v92, s17
	v_cndmask_b32_e64 v85, v85, v92, s6
	;; [unrolled: 1-line block ×3, first 2 shown]
	s_mov_b32 s3, exec_lo
	v_cndmask_b32_e64 v83, v84, v97, s15
	v_cndmask_b32_e64 v91, v91, v98, s19
	;; [unrolled: 1-line block ×3, first 2 shown]
	v_lshrrev_b32_e32 v84, 16, v94
	v_cndmask_b32_e64 v66, v66, v97, s18
	v_cndmask_b32_e64 v90, v86, v97, s27
	;; [unrolled: 1-line block ×4, first 2 shown]
	v_dual_cndmask_b32 v86, v87, v97 :: v_dual_cndmask_b32 v87, v88, v84
	v_cndmask_b32_e64 v91, v69, v84, s15
	s_delay_alu instid0(VALU_DEP_4) | instskip(NEXT) | instid1(VALU_DEP_4)
	v_cndmask_b32_e64 v89, v89, v100, s22
	v_cndmask_b32_e64 v85, v85, v100, s13
	v_perm_b32 v69, v102, v101, 0x5040100
	v_perm_b32 v86, v87, v86, 0x5040100
	;; [unrolled: 1-line block ×3, first 2 shown]
	v_cndmask_b32_e64 v89, v89, v94, s24
	v_cndmask_b32_e64 v85, v85, v94, s16
	s_mul_i32 s8, s35, 6
	s_delay_alu instid0(VALU_DEP_2) | instskip(NEXT) | instid1(VALU_DEP_2)
	v_cndmask_b32_e64 v88, v89, v84, s27
	v_cndmask_b32_e64 v89, v85, v84, s18
	s_delay_alu instid0(VALU_DEP_2) | instskip(NEXT) | instid1(VALU_DEP_2)
	v_perm_b32 v85, v88, v90, 0x5040100
	v_perm_b32 v84, v89, v66, 0x5040100
	ds_store_b128 v76, v[69:72]
	ds_store_b128 v76, v[83:86] offset:1024
	v_cmpx_gt_u32_e32 6, v0
	s_cbranch_execz .LBB1683_78
; %bb.77:
	s_mul_i32 s4, s8, s30
	s_delay_alu instid0(SALU_CYCLE_1) | instskip(SKIP_1) | instid1(VALU_DEP_1)
	v_add3_u32 v69, s4, s31, v65
	s_load_b128 s[4:7], s[0:1], 0x58
	v_mad_u64_u32 v[65:66], null, v69, s34, s[14:15]
	s_delay_alu instid0(VALU_DEP_1) | instskip(NEXT) | instid1(VALU_DEP_1)
	v_ashrrev_i32_e32 v66, 31, v65
	v_lshlrev_b64 v[65:66], 2, v[65:66]
	s_waitcnt lgkmcnt(0)
	s_delay_alu instid0(VALU_DEP_1) | instskip(NEXT) | instid1(VALU_DEP_2)
	v_add_co_u32 v69, vcc_lo, s6, v65
	v_add_co_ci_u32_e32 v70, vcc_lo, s7, v66, vcc_lo
	v_add_co_u32 v65, vcc_lo, s4, v65
	v_add_co_ci_u32_e32 v66, vcc_lo, s5, v66, vcc_lo
	global_store_b32 v[69:70], v67, off
	global_store_b32 v[65:66], v68, off
.LBB1683_78:
	s_or_b32 exec_lo, exec_lo, s3
	s_waitcnt lgkmcnt(0)
	s_waitcnt_vscnt null, 0x0
	s_barrier
	buffer_gl0_inv
	ds_load_b128 v[83:86], v80
	ds_load_b128 v[87:90], v80 offset:16
	ds_load_b128 v[95:98], v80 offset:2064
	ds_load_b128 v[91:94], v80 offset:2048
	v_mov_b32_e32 v65, 0
	ds_load_b128 v[103:106], v80 offset:4112
	ds_load_b128 v[99:102], v80 offset:4096
	;; [unrolled: 1-line block ×4, first 2 shown]
	v_mov_b32_e32 v66, v65
	v_mov_b32_e32 v67, v65
	v_mov_b32_e32 v68, v65
	v_mov_b32_e32 v69, v65
	v_mov_b32_e32 v70, v65
	v_mov_b32_e32 v71, v65
	v_mov_b32_e32 v72, v65
	s_waitcnt lgkmcnt(6)
	s_delay_alu instid0(VALU_DEP_1)
	v_wmma_f32_16x16x16_bf16 v[65:72], v[57:64], v[83:90], v[65:72]
	ds_load_b128 v[61:64], v80 offset:8208
	ds_load_b128 v[57:60], v80 offset:8192
	s_waitcnt lgkmcnt(6)
	v_wmma_f32_16x16x16_bf16 v[65:72], v[41:48], v[91:98], v[65:72]
	ds_load_b128 v[45:48], v80 offset:10256
	ds_load_b128 v[41:44], v80 offset:10240
	s_waitcnt lgkmcnt(6)
	;; [unrolled: 4-line block ×4, first 2 shown]
	v_wmma_f32_16x16x16_bf16 v[65:72], v[1:8], v[57:64], v[65:72]
	s_waitcnt lgkmcnt(4)
	s_delay_alu instid0(VALU_DEP_1) | instskip(SKIP_1) | instid1(VALU_DEP_1)
	v_wmma_f32_16x16x16_bf16 v[65:72], v[9:16], v[41:48], v[65:72]
	s_waitcnt lgkmcnt(2)
	v_wmma_f32_16x16x16_bf16 v[65:72], v[17:24], v[33:40], v[65:72]
	s_waitcnt lgkmcnt(0)
	s_delay_alu instid0(VALU_DEP_1) | instskip(NEXT) | instid1(VALU_DEP_1)
	v_wmma_f32_16x16x16_bf16 v[65:72], v[49:56], v[25:32], v[65:72]
	v_and_b32_e32 v1, 0x7f800000, v65
	s_delay_alu instid0(VALU_DEP_1) | instskip(SKIP_1) | instid1(SALU_CYCLE_1)
	v_cmp_ne_u32_e32 vcc_lo, 0x7f800000, v1
                                        ; implicit-def: $vgpr1
	s_and_saveexec_b32 s3, vcc_lo
	s_xor_b32 s3, exec_lo, s3
; %bb.79:
	v_bfe_u32 v1, v65, 16, 1
	s_delay_alu instid0(VALU_DEP_1)
	v_add3_u32 v1, v65, v1, 0x7fff
; %bb.80:
	s_and_not1_saveexec_b32 s3, s3
; %bb.81:
	v_and_b32_e32 v1, 0xffff, v65
	v_or_b32_e32 v2, 0x10000, v65
	s_delay_alu instid0(VALU_DEP_2) | instskip(NEXT) | instid1(VALU_DEP_2)
	v_cmp_eq_u32_e32 vcc_lo, 0, v1
	v_cndmask_b32_e32 v1, v2, v65, vcc_lo
; %bb.82:
	s_or_b32 exec_lo, exec_lo, s3
	v_and_b32_e32 v2, 0x7f800000, v66
	s_delay_alu instid0(VALU_DEP_1) | instskip(SKIP_1) | instid1(SALU_CYCLE_1)
	v_cmp_ne_u32_e32 vcc_lo, 0x7f800000, v2
                                        ; implicit-def: $vgpr2
	s_and_saveexec_b32 s3, vcc_lo
	s_xor_b32 s3, exec_lo, s3
; %bb.83:
	v_bfe_u32 v2, v66, 16, 1
	s_delay_alu instid0(VALU_DEP_1)
	v_add3_u32 v2, v66, v2, 0x7fff
; %bb.84:
	s_and_not1_saveexec_b32 s3, s3
; %bb.85:
	v_and_b32_e32 v2, 0xffff, v66
	v_or_b32_e32 v3, 0x10000, v66
	s_delay_alu instid0(VALU_DEP_2) | instskip(NEXT) | instid1(VALU_DEP_2)
	v_cmp_eq_u32_e32 vcc_lo, 0, v2
	v_cndmask_b32_e32 v2, v3, v66, vcc_lo
; %bb.86:
	s_or_b32 exec_lo, exec_lo, s3
	v_and_b32_e32 v3, 0x7f800000, v67
	s_delay_alu instid0(VALU_DEP_1) | instskip(SKIP_1) | instid1(SALU_CYCLE_1)
	v_cmp_ne_u32_e32 vcc_lo, 0x7f800000, v3
                                        ; implicit-def: $vgpr3
	s_and_saveexec_b32 s3, vcc_lo
	s_xor_b32 s3, exec_lo, s3
; %bb.87:
	v_bfe_u32 v3, v67, 16, 1
	s_delay_alu instid0(VALU_DEP_1)
	v_add3_u32 v3, v67, v3, 0x7fff
; %bb.88:
	s_and_not1_saveexec_b32 s3, s3
; %bb.89:
	v_and_b32_e32 v3, 0xffff, v67
	v_or_b32_e32 v4, 0x10000, v67
	s_delay_alu instid0(VALU_DEP_2) | instskip(NEXT) | instid1(VALU_DEP_2)
	v_cmp_eq_u32_e32 vcc_lo, 0, v3
	v_cndmask_b32_e32 v3, v4, v67, vcc_lo
; %bb.90:
	s_or_b32 exec_lo, exec_lo, s3
	v_and_b32_e32 v4, 0x7f800000, v68
	s_delay_alu instid0(VALU_DEP_1) | instskip(SKIP_1) | instid1(SALU_CYCLE_1)
	v_cmp_ne_u32_e32 vcc_lo, 0x7f800000, v4
                                        ; implicit-def: $vgpr4
	s_and_saveexec_b32 s3, vcc_lo
	s_xor_b32 s3, exec_lo, s3
; %bb.91:
	v_bfe_u32 v4, v68, 16, 1
	s_delay_alu instid0(VALU_DEP_1)
	v_add3_u32 v4, v68, v4, 0x7fff
; %bb.92:
	s_and_not1_saveexec_b32 s3, s3
; %bb.93:
	v_and_b32_e32 v4, 0xffff, v68
	v_or_b32_e32 v5, 0x10000, v68
	s_delay_alu instid0(VALU_DEP_2) | instskip(NEXT) | instid1(VALU_DEP_2)
	v_cmp_eq_u32_e32 vcc_lo, 0, v4
	v_cndmask_b32_e32 v4, v5, v68, vcc_lo
; %bb.94:
	s_or_b32 exec_lo, exec_lo, s3
	v_and_b32_e32 v5, 0x7f800000, v69
	s_delay_alu instid0(VALU_DEP_1) | instskip(SKIP_1) | instid1(SALU_CYCLE_1)
	v_cmp_ne_u32_e32 vcc_lo, 0x7f800000, v5
                                        ; implicit-def: $vgpr5
	s_and_saveexec_b32 s3, vcc_lo
	s_xor_b32 s3, exec_lo, s3
; %bb.95:
	v_bfe_u32 v5, v69, 16, 1
	s_delay_alu instid0(VALU_DEP_1)
	v_add3_u32 v5, v69, v5, 0x7fff
; %bb.96:
	s_and_not1_saveexec_b32 s3, s3
; %bb.97:
	v_and_b32_e32 v5, 0xffff, v69
	v_or_b32_e32 v6, 0x10000, v69
	s_delay_alu instid0(VALU_DEP_2) | instskip(NEXT) | instid1(VALU_DEP_2)
	v_cmp_eq_u32_e32 vcc_lo, 0, v5
	v_cndmask_b32_e32 v5, v6, v69, vcc_lo
; %bb.98:
	s_or_b32 exec_lo, exec_lo, s3
	v_and_b32_e32 v6, 0x7f800000, v70
	s_delay_alu instid0(VALU_DEP_1) | instskip(SKIP_1) | instid1(SALU_CYCLE_1)
	v_cmp_ne_u32_e32 vcc_lo, 0x7f800000, v6
                                        ; implicit-def: $vgpr6
	s_and_saveexec_b32 s3, vcc_lo
	s_xor_b32 s3, exec_lo, s3
; %bb.99:
	v_bfe_u32 v6, v70, 16, 1
	s_delay_alu instid0(VALU_DEP_1)
	v_add3_u32 v6, v70, v6, 0x7fff
; %bb.100:
	s_and_not1_saveexec_b32 s3, s3
; %bb.101:
	v_and_b32_e32 v6, 0xffff, v70
	v_or_b32_e32 v7, 0x10000, v70
	s_delay_alu instid0(VALU_DEP_2) | instskip(NEXT) | instid1(VALU_DEP_2)
	v_cmp_eq_u32_e32 vcc_lo, 0, v6
	v_cndmask_b32_e32 v6, v7, v70, vcc_lo
; %bb.102:
	s_or_b32 exec_lo, exec_lo, s3
	v_and_b32_e32 v7, 0x7f800000, v71
	s_delay_alu instid0(VALU_DEP_1) | instskip(SKIP_1) | instid1(SALU_CYCLE_1)
	v_cmp_ne_u32_e32 vcc_lo, 0x7f800000, v7
                                        ; implicit-def: $vgpr7
	s_and_saveexec_b32 s3, vcc_lo
	s_xor_b32 s3, exec_lo, s3
; %bb.103:
	v_bfe_u32 v7, v71, 16, 1
	s_delay_alu instid0(VALU_DEP_1)
	v_add3_u32 v7, v71, v7, 0x7fff
; %bb.104:
	s_and_not1_saveexec_b32 s3, s3
; %bb.105:
	v_and_b32_e32 v7, 0xffff, v71
	v_or_b32_e32 v8, 0x10000, v71
	s_delay_alu instid0(VALU_DEP_2) | instskip(NEXT) | instid1(VALU_DEP_2)
	v_cmp_eq_u32_e32 vcc_lo, 0, v7
	v_cndmask_b32_e32 v7, v8, v71, vcc_lo
; %bb.106:
	s_or_b32 exec_lo, exec_lo, s3
	v_and_b32_e32 v8, 0x7f800000, v72
	s_delay_alu instid0(VALU_DEP_1) | instskip(SKIP_1) | instid1(SALU_CYCLE_1)
	v_cmp_ne_u32_e32 vcc_lo, 0x7f800000, v8
                                        ; implicit-def: $vgpr8
	s_and_saveexec_b32 s3, vcc_lo
	s_xor_b32 s3, exec_lo, s3
; %bb.107:
	v_bfe_u32 v8, v72, 16, 1
	s_delay_alu instid0(VALU_DEP_1)
	v_add3_u32 v8, v72, v8, 0x7fff
                                        ; implicit-def: $vgpr65_vgpr66_vgpr67_vgpr68_vgpr69_vgpr70_vgpr71_vgpr72
; %bb.108:
	s_and_not1_saveexec_b32 s3, s3
; %bb.109:
	v_and_b32_e32 v8, 0xffff, v72
	v_or_b32_e32 v9, 0x10000, v72
	s_delay_alu instid0(VALU_DEP_2) | instskip(NEXT) | instid1(VALU_DEP_2)
	v_cmp_eq_u32_e32 vcc_lo, 0, v8
	v_cndmask_b32_e32 v8, v9, v72, vcc_lo
; %bb.110:
	s_or_b32 exec_lo, exec_lo, s3
	s_delay_alu instid0(VALU_DEP_1)
	v_perm_b32 v7, v8, v7, 0x7060302
	v_perm_b32 v6, v6, v5, 0x7060302
	;; [unrolled: 1-line block ×4, first 2 shown]
	s_barrier
	buffer_gl0_inv
	v_cmp_eq_u32_e32 vcc_lo, 1, v78
	ds_store_b128 v76, v[4:7]
	s_waitcnt lgkmcnt(0)
	s_barrier
	buffer_gl0_inv
	ds_load_b128 v[1:4], v82
	ds_load_b128 v[5:8], v82 offset:16
	v_cmp_eq_u32_e64 s3, 1, v79
	v_cmp_eq_u32_e64 s4, 2, v78
	;; [unrolled: 1-line block ×5, first 2 shown]
	s_waitcnt lgkmcnt(1)
	v_lshrrev_b32_e32 v9, 16, v1
	s_waitcnt lgkmcnt(0)
	v_lshrrev_b32_e32 v13, 16, v5
	v_lshrrev_b32_e32 v10, 16, v2
	v_lshrrev_b32_e32 v14, 16, v6
	v_lshrrev_b32_e32 v11, 16, v3
	v_cndmask_b32_e64 v19, v1, v9, s3
	v_cndmask_b32_e32 v18, v5, v13, vcc_lo
	v_cndmask_b32_e64 v20, v5, v13, s3
	v_cndmask_b32_e32 v17, v1, v9, vcc_lo
	v_cmp_eq_u32_e32 vcc_lo, 2, v79
	v_lshrrev_b32_e32 v15, 16, v7
	v_cmp_eq_u32_e64 s3, 1, v77
	v_lshrrev_b32_e32 v12, 16, v4
	v_lshrrev_b32_e32 v16, 16, v8
	v_cndmask_b32_e32 v20, v20, v6, vcc_lo
	v_cndmask_b32_e64 v17, v17, v2, s4
	v_cndmask_b32_e32 v19, v19, v2, vcc_lo
	v_cndmask_b32_e64 v18, v18, v6, s4
	v_cmp_eq_u32_e32 vcc_lo, 4, v78
	v_cmp_eq_u32_e64 s4, 3, v79
	v_cndmask_b32_e64 v17, v17, v10, s5
	v_cndmask_b32_e64 v21, v1, v9, s3
	;; [unrolled: 1-line block ×5, first 2 shown]
	v_cndmask_b32_e32 v17, v17, v3, vcc_lo
	v_cndmask_b32_e64 v20, v20, v14, s4
	v_cndmask_b32_e32 v18, v18, v7, vcc_lo
	v_cmp_eq_u32_e32 vcc_lo, 4, v79
	v_cmp_eq_u32_e64 s4, 5, v79
	v_cmp_eq_u32_e64 s3, 2, v81
	v_cndmask_b32_e64 v21, v21, v2, s7
	v_cmp_eq_u32_e64 s5, 5, v78
	v_cndmask_b32_e32 v19, v19, v3, vcc_lo
	v_cndmask_b32_e32 v20, v20, v7, vcc_lo
	v_cmp_eq_u32_e32 vcc_lo, 6, v79
	s_delay_alu instid0(VALU_DEP_4) | instskip(NEXT) | instid1(VALU_DEP_4)
	v_cndmask_b32_e64 v17, v17, v11, s5
	v_cndmask_b32_e64 v19, v19, v11, s4
	s_delay_alu instid0(VALU_DEP_4) | instskip(SKIP_1) | instid1(VALU_DEP_3)
	v_cndmask_b32_e64 v20, v20, v15, s4
	v_cmp_eq_u32_e64 s4, 1, v81
	v_cndmask_b32_e32 v19, v19, v4, vcc_lo
	v_cndmask_b32_e64 v18, v18, v15, s5
	s_delay_alu instid0(VALU_DEP_3)
	v_cndmask_b32_e64 v1, v1, v9, s4
	v_cndmask_b32_e64 v5, v5, v13, s4
	v_cmp_eq_u32_e64 s4, 3, v77
	v_cndmask_b32_e64 v13, v22, v6, s7
	v_cmp_eq_u32_e64 s7, 3, v81
	v_cndmask_b32_e64 v1, v1, v2, s3
	v_cndmask_b32_e64 v2, v5, v6, s3
	;; [unrolled: 1-line block ×3, first 2 shown]
	v_cmp_eq_u32_e64 s3, 4, v77
	v_cndmask_b32_e64 v6, v13, v14, s4
	v_cndmask_b32_e64 v1, v1, v10, s7
	v_cmp_eq_u32_e64 s4, 4, v81
	v_cndmask_b32_e64 v2, v2, v14, s7
	v_cndmask_b32_e64 v5, v9, v3, s3
	;; [unrolled: 3-line block ×3, first 2 shown]
	v_cndmask_b32_e64 v2, v2, v7, s4
	v_cmp_eq_u32_e64 s3, 5, v81
	v_cmp_eq_u32_e64 s5, 6, v78
	v_cndmask_b32_e64 v5, v5, v11, s7
	v_cmp_eq_u32_e64 s4, 6, v77
	v_cndmask_b32_e64 v3, v6, v15, s7
	v_cndmask_b32_e64 v1, v1, v11, s3
	v_cmp_eq_u32_e64 s7, 6, v81
	v_cndmask_b32_e64 v2, v2, v15, s3
	v_cndmask_b32_e64 v17, v17, v4, s5
	v_cndmask_b32_e64 v18, v18, v8, s5
	v_cmp_eq_u32_e64 s5, 7, v78
	v_cndmask_b32_e64 v5, v5, v4, s4
	;; [unrolled: 4-line block ×3, first 2 shown]
	v_cmp_eq_u32_e64 s4, 7, v77
	v_cndmask_b32_e32 v4, v20, v8, vcc_lo
	v_cndmask_b32_e64 v17, v17, v12, s5
	v_cndmask_b32_e64 v19, v19, v12, s6
	;; [unrolled: 1-line block ×8, first 2 shown]
	v_cmp_gt_u32_e32 vcc_lo, 32, v0
	v_perm_b32 v4, v2, v1, 0x5040100
	v_perm_b32 v3, v3, v5, 0x5040100
	;; [unrolled: 1-line block ×4, first 2 shown]
	s_and_b32 s2, vcc_lo, s2
	ds_store_b128 v76, v[1:4]
	s_waitcnt lgkmcnt(0)
	s_barrier
	buffer_gl0_inv
	s_and_saveexec_b32 s3, s2
	s_cbranch_execz .LBB1683_2
; %bb.111:
	s_load_b64 s[0:1], s[0:1], 0x68
	s_lshl_b32 s4, s34, 6
	v_or_b32_e32 v3, s31, v74
	s_mul_i32 s2, s4, s30
	v_lshlrev_b32_e32 v0, 10, v0
	s_mul_i32 s2, s2, s8
	v_lshlrev_b32_e32 v1, 4, v75
	s_ashr_i32 s3, s2, 31
	v_mul_lo_u32 v12, v3, s4
	s_lshl_b64 s[2:3], s[2:3], 1
	v_lshlrev_b32_e32 v2, 6, v74
	v_and_b32_e32 v0, 0x3800, v0
	s_delay_alu instid0(VALU_DEP_1) | instskip(NEXT) | instid1(VALU_DEP_4)
	v_or3_b32 v8, v0, v1, v2
	v_ashrrev_i32_e32 v13, 31, v12
	ds_load_b128 v[0:3], v8
	ds_load_b128 v[4:7], v8 offset:128
	ds_load_b128 v[8:11], v8 offset:256
	s_waitcnt lgkmcnt(0)
	s_add_u32 s2, s0, s2
	s_addc_u32 s3, s1, s3
	s_lshl_b32 s0, s14, 6
	s_delay_alu instid0(SALU_CYCLE_1) | instskip(NEXT) | instid1(SALU_CYCLE_1)
	s_ashr_i32 s1, s0, 31
	s_lshl_b64 s[0:1], s[0:1], 1
	s_delay_alu instid0(SALU_CYCLE_1)
	s_add_u32 s0, s2, s0
	s_addc_u32 s1, s3, s1
	s_lshl_b32 s2, s34, 7
	v_add_co_u32 v18, s0, s0, v73
	v_add_nc_u32_e32 v14, s2, v12
	v_lshlrev_b64 v[12:13], 1, v[12:13]
	v_add_co_ci_u32_e64 v19, null, s1, 0, s0
	s_delay_alu instid0(VALU_DEP_3) | instskip(SKIP_1) | instid1(VALU_DEP_4)
	v_add_nc_u32_e32 v16, s2, v14
	v_ashrrev_i32_e32 v15, 31, v14
	v_add_co_u32 v12, vcc_lo, v18, v12
	s_delay_alu instid0(VALU_DEP_4) | instskip(NEXT) | instid1(VALU_DEP_4)
	v_add_co_ci_u32_e32 v13, vcc_lo, v19, v13, vcc_lo
	v_ashrrev_i32_e32 v17, 31, v16
	s_delay_alu instid0(VALU_DEP_4) | instskip(NEXT) | instid1(VALU_DEP_2)
	v_lshlrev_b64 v[14:15], 1, v[14:15]
	v_lshlrev_b64 v[16:17], 1, v[16:17]
	s_delay_alu instid0(VALU_DEP_2) | instskip(NEXT) | instid1(VALU_DEP_3)
	v_add_co_u32 v14, vcc_lo, v18, v14
	v_add_co_ci_u32_e32 v15, vcc_lo, v19, v15, vcc_lo
	s_delay_alu instid0(VALU_DEP_3) | instskip(NEXT) | instid1(VALU_DEP_4)
	v_add_co_u32 v16, vcc_lo, v18, v16
	v_add_co_ci_u32_e32 v17, vcc_lo, v19, v17, vcc_lo
	s_clause 0x2
	global_store_b128 v[12:13], v[0:3], off
	global_store_b128 v[14:15], v[4:7], off
	;; [unrolled: 1-line block ×3, first 2 shown]
	s_nop 0
	s_sendmsg sendmsg(MSG_DEALLOC_VGPRS)
	s_endpgm
	.section	.rodata,"a",@progbits
	.p2align	6, 0x0
	.amdhsa_kernel _Z39paged_attention_ll4mi_QKV_mfma16_kernelI14__hip_bfloat16hLN4vllm18Fp8KVCacheDataTypeE1EhLi16ELi64ELi256ELb0ELi6EL8MFMAType0EEvPKT_PKT0_S9_ifPKiSB_SB_iPKfiiiPfSE_PS4_PT2_iSD_SD_
		.amdhsa_group_segment_fixed_size 17472
		.amdhsa_private_segment_fixed_size 0
		.amdhsa_kernarg_size 400
		.amdhsa_user_sgpr_count 13
		.amdhsa_user_sgpr_dispatch_ptr 0
		.amdhsa_user_sgpr_queue_ptr 0
		.amdhsa_user_sgpr_kernarg_segment_ptr 1
		.amdhsa_user_sgpr_dispatch_id 0
		.amdhsa_user_sgpr_private_segment_size 0
		.amdhsa_wavefront_size32 1
		.amdhsa_uses_dynamic_stack 0
		.amdhsa_enable_private_segment 0
		.amdhsa_system_sgpr_workgroup_id_x 1
		.amdhsa_system_sgpr_workgroup_id_y 1
		.amdhsa_system_sgpr_workgroup_id_z 1
		.amdhsa_system_sgpr_workgroup_info 0
		.amdhsa_system_vgpr_workitem_id 0
		.amdhsa_next_free_vgpr 124
		.amdhsa_next_free_sgpr 38
		.amdhsa_reserve_vcc 1
		.amdhsa_float_round_mode_32 0
		.amdhsa_float_round_mode_16_64 0
		.amdhsa_float_denorm_mode_32 3
		.amdhsa_float_denorm_mode_16_64 3
		.amdhsa_dx10_clamp 1
		.amdhsa_ieee_mode 1
		.amdhsa_fp16_overflow 0
		.amdhsa_workgroup_processor_mode 1
		.amdhsa_memory_ordered 1
		.amdhsa_forward_progress 0
		.amdhsa_shared_vgpr_count 0
		.amdhsa_exception_fp_ieee_invalid_op 0
		.amdhsa_exception_fp_denorm_src 0
		.amdhsa_exception_fp_ieee_div_zero 0
		.amdhsa_exception_fp_ieee_overflow 0
		.amdhsa_exception_fp_ieee_underflow 0
		.amdhsa_exception_fp_ieee_inexact 0
		.amdhsa_exception_int_div_zero 0
	.end_amdhsa_kernel
	.section	.text._Z39paged_attention_ll4mi_QKV_mfma16_kernelI14__hip_bfloat16hLN4vllm18Fp8KVCacheDataTypeE1EhLi16ELi64ELi256ELb0ELi6EL8MFMAType0EEvPKT_PKT0_S9_ifPKiSB_SB_iPKfiiiPfSE_PS4_PT2_iSD_SD_,"axG",@progbits,_Z39paged_attention_ll4mi_QKV_mfma16_kernelI14__hip_bfloat16hLN4vllm18Fp8KVCacheDataTypeE1EhLi16ELi64ELi256ELb0ELi6EL8MFMAType0EEvPKT_PKT0_S9_ifPKiSB_SB_iPKfiiiPfSE_PS4_PT2_iSD_SD_,comdat
.Lfunc_end1683:
	.size	_Z39paged_attention_ll4mi_QKV_mfma16_kernelI14__hip_bfloat16hLN4vllm18Fp8KVCacheDataTypeE1EhLi16ELi64ELi256ELb0ELi6EL8MFMAType0EEvPKT_PKT0_S9_ifPKiSB_SB_iPKfiiiPfSE_PS4_PT2_iSD_SD_, .Lfunc_end1683-_Z39paged_attention_ll4mi_QKV_mfma16_kernelI14__hip_bfloat16hLN4vllm18Fp8KVCacheDataTypeE1EhLi16ELi64ELi256ELb0ELi6EL8MFMAType0EEvPKT_PKT0_S9_ifPKiSB_SB_iPKfiiiPfSE_PS4_PT2_iSD_SD_
                                        ; -- End function
	.section	.AMDGPU.csdata,"",@progbits
; Kernel info:
; codeLenInByte = 8736
; NumSgprs: 40
; NumVgprs: 124
; ScratchSize: 0
; MemoryBound: 0
; FloatMode: 240
; IeeeMode: 1
; LDSByteSize: 17472 bytes/workgroup (compile time only)
; SGPRBlocks: 4
; VGPRBlocks: 15
; NumSGPRsForWavesPerEU: 40
; NumVGPRsForWavesPerEU: 124
; Occupancy: 10
; WaveLimiterHint : 1
; COMPUTE_PGM_RSRC2:SCRATCH_EN: 0
; COMPUTE_PGM_RSRC2:USER_SGPR: 13
; COMPUTE_PGM_RSRC2:TRAP_HANDLER: 0
; COMPUTE_PGM_RSRC2:TGID_X_EN: 1
; COMPUTE_PGM_RSRC2:TGID_Y_EN: 1
; COMPUTE_PGM_RSRC2:TGID_Z_EN: 1
; COMPUTE_PGM_RSRC2:TIDIG_COMP_CNT: 0
	.section	.text._Z39paged_attention_ll4mi_QKV_mfma16_kernelI14__hip_bfloat16hLN4vllm18Fp8KVCacheDataTypeE1EhLi16ELi64ELi256ELb0ELi7EL8MFMAType0EEvPKT_PKT0_S9_ifPKiSB_SB_iPKfiiiPfSE_PS4_PT2_iSD_SD_,"axG",@progbits,_Z39paged_attention_ll4mi_QKV_mfma16_kernelI14__hip_bfloat16hLN4vllm18Fp8KVCacheDataTypeE1EhLi16ELi64ELi256ELb0ELi7EL8MFMAType0EEvPKT_PKT0_S9_ifPKiSB_SB_iPKfiiiPfSE_PS4_PT2_iSD_SD_,comdat
	.protected	_Z39paged_attention_ll4mi_QKV_mfma16_kernelI14__hip_bfloat16hLN4vllm18Fp8KVCacheDataTypeE1EhLi16ELi64ELi256ELb0ELi7EL8MFMAType0EEvPKT_PKT0_S9_ifPKiSB_SB_iPKfiiiPfSE_PS4_PT2_iSD_SD_ ; -- Begin function _Z39paged_attention_ll4mi_QKV_mfma16_kernelI14__hip_bfloat16hLN4vllm18Fp8KVCacheDataTypeE1EhLi16ELi64ELi256ELb0ELi7EL8MFMAType0EEvPKT_PKT0_S9_ifPKiSB_SB_iPKfiiiPfSE_PS4_PT2_iSD_SD_
	.globl	_Z39paged_attention_ll4mi_QKV_mfma16_kernelI14__hip_bfloat16hLN4vllm18Fp8KVCacheDataTypeE1EhLi16ELi64ELi256ELb0ELi7EL8MFMAType0EEvPKT_PKT0_S9_ifPKiSB_SB_iPKfiiiPfSE_PS4_PT2_iSD_SD_
	.p2align	8
	.type	_Z39paged_attention_ll4mi_QKV_mfma16_kernelI14__hip_bfloat16hLN4vllm18Fp8KVCacheDataTypeE1EhLi16ELi64ELi256ELb0ELi7EL8MFMAType0EEvPKT_PKT0_S9_ifPKiSB_SB_iPKfiiiPfSE_PS4_PT2_iSD_SD_,@function
_Z39paged_attention_ll4mi_QKV_mfma16_kernelI14__hip_bfloat16hLN4vllm18Fp8KVCacheDataTypeE1EhLi16ELi64ELi256ELb0ELi7EL8MFMAType0EEvPKT_PKT0_S9_ifPKiSB_SB_iPKfiiiPfSE_PS4_PT2_iSD_SD_: ; @_Z39paged_attention_ll4mi_QKV_mfma16_kernelI14__hip_bfloat16hLN4vllm18Fp8KVCacheDataTypeE1EhLi16ELi64ELi256ELb0ELi7EL8MFMAType0EEvPKT_PKT0_S9_ifPKiSB_SB_iPKfiiiPfSE_PS4_PT2_iSD_SD_
; %bb.0:
	s_load_b64 s[2:3], s[0:1], 0x30
	s_mov_b32 s34, s13
	s_waitcnt lgkmcnt(0)
	s_cmp_lg_u64 s[2:3], 0
	s_cselect_b32 s8, -1, 0
	s_ashr_i32 s35, s13, 31
	s_cmp_eq_u64 s[2:3], 0
	s_cbranch_scc1 .LBB1684_3
; %bb.1:
	s_lshl_b64 s[4:5], s[34:35], 2
	s_delay_alu instid0(SALU_CYCLE_1) | instskip(SKIP_4) | instid1(SALU_CYCLE_1)
	s_add_u32 s4, s2, s4
	s_addc_u32 s5, s3, s5
	s_load_b64 s[4:5], s[4:5], 0x0
	s_waitcnt lgkmcnt(0)
	s_sub_i32 s4, s5, s4
	s_cmp_eq_u32 s4, 1
	s_cselect_b32 s4, -1, 0
	s_delay_alu instid0(SALU_CYCLE_1)
	s_and_not1_b32 vcc_lo, exec_lo, s4
	s_cbranch_vccz .LBB1684_4
.LBB1684_2:
	s_nop 0
	s_sendmsg sendmsg(MSG_DEALLOC_VGPRS)
	s_endpgm
.LBB1684_3:
.LBB1684_4:
	s_load_b64 s[4:5], s[0:1], 0x28
	s_lshl_b64 s[6:7], s[34:35], 2
	s_waitcnt lgkmcnt(0)
	s_add_u32 s4, s4, s6
	s_addc_u32 s5, s5, s7
	s_lshl_b32 s12, s14, 8
	s_load_b32 s24, s[4:5], 0x0
	s_waitcnt lgkmcnt(0)
	s_cmp_ge_i32 s12, s24
	s_cbranch_scc1 .LBB1684_2
; %bb.5:
	s_clause 0x1
	s_load_b128 s[20:23], s[0:1], 0x8
	s_load_b64 s[4:5], s[0:1], 0x20
	s_and_not1_b32 vcc_lo, exec_lo, s8
	s_cbranch_vccnz .LBB1684_7
; %bb.6:
	s_add_u32 s2, s2, s6
	s_addc_u32 s3, s3, s7
	s_load_b32 s3, s[2:3], 0x0
	s_branch .LBB1684_8
.LBB1684_7:
	s_mov_b32 s3, s34
.LBB1684_8:
	s_load_b128 s[16:19], s[0:1], 0x48
	v_lshrrev_b32_e32 v66, 5, v0
	v_bfe_u32 v74, v0, 4, 1
	v_and_b32_e32 v65, 15, v0
	v_and_b32_e32 v67, 31, v0
	;; [unrolled: 1-line block ×3, first 2 shown]
	s_mul_i32 s31, s15, 7
	v_lshl_or_b32 v1, v66, 1, v74
	v_lshlrev_b32_e32 v2, 3, v65
	v_cmp_gt_u32_e64 s2, 8, v65
	s_delay_alu instid0(VALU_DEP_3) | instskip(NEXT) | instid1(VALU_DEP_3)
	v_cmp_gt_u32_e32 vcc_lo, 7, v1
	v_lshlrev_b32_e32 v73, 1, v2
	s_delay_alu instid0(VALU_DEP_3) | instskip(NEXT) | instid1(SALU_CYCLE_1)
	s_and_b32 s7, s2, vcc_lo
	s_and_saveexec_b32 s6, s7
	s_cbranch_execz .LBB1684_10
; %bb.9:
	s_load_b64 s[8:9], s[0:1], 0x0
	v_add_lshl_u32 v2, v1, s31, 6
	s_waitcnt lgkmcnt(0)
	s_mul_hi_i32 s11, s3, s16
	s_mul_i32 s10, s3, s16
	v_lshlrev_b32_e32 v6, 10, v65
	s_lshl_b64 s[10:11], s[10:11], 1
	v_ashrrev_i32_e32 v3, 31, v2
	v_lshlrev_b32_e32 v1, 6, v1
	v_lshlrev_b32_e32 v7, 10, v75
	v_and_b32_e32 v6, 0x3800, v6
	s_delay_alu instid0(VALU_DEP_4) | instskip(NEXT) | instid1(VALU_DEP_2)
	v_lshlrev_b64 v[2:3], 1, v[2:3]
	v_or3_b32 v1, v6, v7, v1
	s_add_u32 s3, s8, s10
	s_addc_u32 s7, s9, s11
	s_delay_alu instid0(VALU_DEP_2) | instskip(NEXT) | instid1(VALU_DEP_3)
	v_add_co_u32 v2, vcc_lo, s3, v2
	v_add_co_ci_u32_e32 v3, vcc_lo, s7, v3, vcc_lo
	s_delay_alu instid0(VALU_DEP_2) | instskip(NEXT) | instid1(VALU_DEP_2)
	v_add_co_u32 v2, vcc_lo, v2, v73
	v_add_co_ci_u32_e32 v3, vcc_lo, 0, v3, vcc_lo
	global_load_b128 v[2:5], v[2:3], off
	s_waitcnt vmcnt(0)
	ds_store_b128 v1, v[2:5]
.LBB1684_10:
	s_or_b32 exec_lo, exec_lo, s6
	v_and_b32_e32 v1, 0xef, v0
	s_waitcnt lgkmcnt(0)
	s_add_i32 s3, s24, 15
	s_clause 0x1
	s_load_b32 s6, s[0:1], 0x38
	s_load_b32 s19, s[0:1], 0x1c
	s_ashr_i32 s7, s3, 31
	v_add_nc_u32_e32 v1, s12, v1
	s_lshr_b32 s7, s7, 28
	s_waitcnt lgkmcnt(0)
	s_add_i32 s3, s3, s7
	s_barrier
	v_ashrrev_i32_e32 v2, 31, v1
	v_or_b32_e32 v3, 16, v1
	s_ashr_i32 s3, s3, 4
	v_cmp_gt_i32_e32 vcc_lo, s24, v1
	s_add_i32 s3, s3, -1
	v_lshrrev_b32_e32 v2, 28, v2
	buffer_gl0_inv
	s_mul_i32 s27, s15, s18
	v_add_nc_u32_e32 v4, v1, v2
	s_mul_i32 s6, s34, s6
	s_delay_alu instid0(SALU_CYCLE_1) | instskip(NEXT) | instid1(VALU_DEP_1)
	s_ashr_i32 s7, s6, 31
	v_ashrrev_i32_e32 v4, 4, v4
	v_add_nc_u32_e32 v2, v3, v2
	s_lshl_b64 s[6:7], s[6:7], 2
	s_delay_alu instid0(SALU_CYCLE_1) | instskip(NEXT) | instid1(VALU_DEP_2)
	s_add_u32 s26, s4, s6
	v_cndmask_b32_e32 v1, s3, v4, vcc_lo
	s_delay_alu instid0(VALU_DEP_2)
	v_ashrrev_i32_e32 v2, 4, v2
	v_cmp_gt_i32_e32 vcc_lo, s24, v3
	s_addc_u32 s25, s5, s7
	s_ashr_i32 s28, s27, 31
	s_add_u32 s13, s20, s27
	s_addc_u32 s15, s21, s28
	v_cndmask_b32_e32 v3, s3, v2, vcc_lo
	v_ashrrev_i32_e32 v2, 31, v1
	s_lshl_b32 s4, s14, 4
	s_delay_alu instid0(SALU_CYCLE_1) | instskip(NEXT) | instid1(VALU_DEP_2)
	s_ashr_i32 s5, s4, 31
	v_ashrrev_i32_e32 v4, 31, v3
	s_delay_alu instid0(VALU_DEP_2) | instskip(SKIP_1) | instid1(SALU_CYCLE_1)
	v_lshlrev_b64 v[1:2], 2, v[1:2]
	s_lshl_b64 s[4:5], s[4:5], 2
	s_add_u32 s4, s26, s4
	s_delay_alu instid0(VALU_DEP_2) | instskip(SKIP_1) | instid1(VALU_DEP_2)
	v_lshlrev_b64 v[3:4], 2, v[3:4]
	s_addc_u32 s5, s25, s5
	v_add_co_u32 v1, vcc_lo, s26, v1
	v_add_co_ci_u32_e32 v2, vcc_lo, s25, v2, vcc_lo
	s_delay_alu instid0(VALU_DEP_3) | instskip(NEXT) | instid1(VALU_DEP_4)
	v_add_co_u32 v3, vcc_lo, s26, v3
	v_add_co_ci_u32_e32 v4, vcc_lo, s25, v4, vcc_lo
	s_clause 0x1
	global_load_b32 v5, v[1:2], off
	global_load_b32 v7, v[3:4], off
	s_or_b32 s6, s12, 32
	v_lshlrev_b32_e32 v1, 4, v0
	s_ashr_i32 s7, s6, 4
	s_cmp_lt_i32 s6, s24
	s_cselect_b32 s6, s7, s3
	s_delay_alu instid0(VALU_DEP_1) | instskip(SKIP_1) | instid1(SALU_CYCLE_1)
	v_and_b32_e32 v1, 0xf0, v1
	s_ashr_i32 s7, s6, 31
	s_lshl_b64 s[6:7], s[6:7], 2
	s_delay_alu instid0(SALU_CYCLE_1)
	s_add_u32 s6, s26, s6
	s_addc_u32 s7, s25, s7
	s_or_b32 s8, s12, 64
	v_add_co_u32 v1, s13, s13, v1
	s_ashr_i32 s9, s8, 4
	s_cmp_lt_i32 s8, s24
	v_add_co_ci_u32_e64 v2, null, s15, 0, s13
	s_cselect_b32 s8, s9, s3
	s_delay_alu instid0(SALU_CYCLE_1) | instskip(NEXT) | instid1(SALU_CYCLE_1)
	s_ashr_i32 s9, s8, 31
	s_lshl_b64 s[8:9], s[8:9], 2
	s_delay_alu instid0(SALU_CYCLE_1) | instskip(SKIP_2) | instid1(SALU_CYCLE_1)
	s_add_u32 s8, s26, s8
	s_addc_u32 s9, s25, s9
	s_or_b32 s10, s12, 0x60
	s_ashr_i32 s11, s10, 4
	s_cmp_lt_i32 s10, s24
	s_cselect_b32 s10, s11, s3
	s_delay_alu instid0(SALU_CYCLE_1) | instskip(NEXT) | instid1(SALU_CYCLE_1)
	s_ashr_i32 s11, s10, 31
	s_lshl_b64 s[10:11], s[10:11], 2
	s_delay_alu instid0(SALU_CYCLE_1) | instskip(SKIP_2) | instid1(SALU_CYCLE_1)
	s_add_u32 s10, s26, s10
	s_addc_u32 s11, s25, s11
	s_or_b32 s16, s12, 0x80
	s_ashr_i32 s18, s16, 4
	s_cmp_lt_i32 s16, s24
	;; [unrolled: 10-line block ×3, first 2 shown]
	s_cselect_b32 s20, s18, s3
	s_delay_alu instid0(SALU_CYCLE_1) | instskip(NEXT) | instid1(SALU_CYCLE_1)
	s_ashr_i32 s21, s20, 31
	s_lshl_b64 s[20:21], s[20:21], 2
	s_delay_alu instid0(SALU_CYCLE_1)
	s_add_u32 s38, s26, s20
	s_addc_u32 s39, s25, s21
	s_clause 0x5
	s_load_b32 s21, s[4:5], 0x0
	s_load_b32 s13, s[6:7], 0x0
	;; [unrolled: 1-line block ×6, first 2 shown]
	s_or_b32 s9, s12, 0xc0
	s_mov_b32 s4, 0
	s_ashr_i32 s10, s9, 4
	s_cmp_lt_i32 s9, s24
	s_mov_b32 s11, s4
	s_cselect_b32 s36, s10, s3
	s_mov_b32 s5, s4
	s_ashr_i32 s37, s36, 31
	s_mov_b32 s6, s4
	s_lshl_b64 s[36:37], s[36:37], 2
	s_mov_b32 s7, s4
	s_add_u32 s36, s26, s36
	s_addc_u32 s37, s25, s37
	s_or_b32 s29, s12, 0xe0
	s_mov_b32 s8, s4
	s_ashr_i32 s30, s29, 4
	s_mov_b32 s9, s4
	s_mov_b32 s10, s4
	s_cmp_lt_i32 s29, s24
	v_dual_mov_b32 v107, s11 :: v_dual_mov_b32 v100, s4
	v_mov_b32_e32 v106, s10
	v_dual_mov_b32 v104, s8 :: v_dual_mov_b32 v103, s7
	v_dual_mov_b32 v102, s6 :: v_dual_mov_b32 v101, s5
	s_waitcnt vmcnt(1)
	v_mad_i64_i32 v[3:4], null, v5, s17, v[1:2]
	s_waitcnt vmcnt(0)
	v_mad_i64_i32 v[5:6], null, v7, s17, v[1:2]
	v_mul_lo_u16 v1, v65, 37
	v_lshlrev_b32_e32 v2, 4, v65
	s_clause 0x7
	global_load_b128 v[49:52], v[3:4], off
	global_load_b128 v[53:56], v[3:4], off offset:256
	global_load_b128 v[76:79], v[5:6], off
	global_load_b128 v[80:83], v[5:6], off offset:256
	global_load_b128 v[84:87], v[3:4], off offset:512
	;; [unrolled: 1-line block ×5, first 2 shown]
	v_lshrrev_b16 v1, 8, v1
	v_lshl_or_b32 v2, v66, 8, v2
	s_delay_alu instid0(VALU_DEP_2) | instskip(NEXT) | instid1(VALU_DEP_1)
	v_mul_lo_u16 v1, v1, 7
	v_sub_nc_u16 v1, v65, v1
	s_delay_alu instid0(VALU_DEP_1)
	v_and_b32_e32 v1, 0xff, v1
	v_mov_b32_e32 v105, s9
	s_cselect_b32 s4, s30, s3
	s_load_b32 s3, s[36:37], 0x0
	s_ashr_i32 s5, s4, 31
	v_lshlrev_b32_e32 v70, 6, v1
	s_lshl_b64 s[4:5], s[4:5], 2
	ds_load_b128 v[108:111], v70
	ds_load_b128 v[112:115], v70 offset:1024
	s_add_u32 s4, s26, s4
	s_addc_u32 s5, s25, s5
	s_add_u32 s6, s22, s27
	s_load_b32 s4, s[4:5], 0x0
	s_addc_u32 s7, s23, s28
	v_add_co_u32 v9, s6, s6, v2
	s_delay_alu instid0(VALU_DEP_1) | instskip(SKIP_1) | instid1(VALU_DEP_1)
	v_add_co_ci_u32_e64 v10, null, s7, 0, s6
	s_waitcnt lgkmcnt(0)
	v_mad_i64_i32 v[1:2], null, s21, s17, v[9:10]
	v_mad_i64_i32 v[3:4], null, s13, s17, v[9:10]
	;; [unrolled: 1-line block ×7, first 2 shown]
	s_clause 0x9
	global_load_b128 v[57:60], v[1:2], off
	global_load_b128 v[61:64], v[1:2], off offset:16
	global_load_b128 v[41:44], v[3:4], off
	global_load_b128 v[45:48], v[3:4], off offset:16
	;; [unrolled: 2-line block ×5, first 2 shown]
	v_mad_i64_i32 v[68:69], null, s4, s17, v[9:10]
	s_clause 0x3
	global_load_b128 v[9:12], v[13:14], off
	global_load_b128 v[13:16], v[13:14], off offset:16
	global_load_b128 v[17:20], v[21:22], off
	global_load_b128 v[21:24], v[21:22], off offset:16
	s_waitcnt vmcnt(20)
	v_wmma_f32_16x16x16_bf16 v[116:123], v[49:56], v[108:115], v[100:107]
	s_clause 0x1
	global_load_b128 v[49:52], v[68:69], off
	global_load_b128 v[53:56], v[68:69], off offset:16
	v_and_b32_e32 v68, 0xe0, v0
	v_mbcnt_lo_u32_b32 v69, -1, 0
	s_delay_alu instid0(VALU_DEP_2)
	v_add_nc_u32_e32 v68, s12, v68
	s_waitcnt vmcnt(20)
	v_wmma_f32_16x16x16_bf16 v[100:107], v[76:83], v[108:115], v[100:107]
	ds_load_b128 v[76:79], v70 offset:2048
	ds_load_b128 v[80:83], v70 offset:3072
	v_xor_b32_e32 v70, 16, v69
	s_waitcnt vmcnt(0) lgkmcnt(0)
	v_or_b32_e32 v68, v68, v74
	s_barrier
	buffer_gl0_inv
	v_cmp_gt_i32_e32 vcc_lo, 32, v70
	v_or_b32_e32 v71, 4, v68
	v_or_b32_e32 v72, 6, v68
	v_cmp_gt_i32_e64 s3, s24, v68
	v_or_b32_e32 v108, 8, v68
	v_or_b32_e32 v109, 10, v68
	v_cmp_gt_i32_e64 s4, s24, v71
	v_cmp_gt_i32_e64 s5, s24, v72
	s_delay_alu instid0(VALU_DEP_4) | instskip(NEXT) | instid1(VALU_DEP_4)
	v_cmp_gt_i32_e64 s6, s24, v108
	v_cmp_gt_i32_e64 s7, s24, v109
	v_wmma_f32_16x16x16_bf16 v[116:123], v[84:91], v[76:83], v[116:123]
	v_cndmask_b32_e32 v69, v69, v70, vcc_lo
	v_or_b32_e32 v70, 2, v68
	v_wmma_f32_16x16x16_bf16 v[100:107], v[92:99], v[76:83], v[100:107]
	v_or_b32_e32 v89, 22, v68
	v_dual_mul_f32 v80, s19, v121 :: v_dual_mul_f32 v81, s19, v120
	v_dual_mul_f32 v92, s19, v117 :: v_dual_mul_f32 v93, s19, v116
	s_delay_alu instid0(VALU_DEP_4)
	v_mul_f32_e32 v96, s19, v105
	v_cmp_gt_i32_e32 vcc_lo, s24, v70
	v_dual_mul_f32 v79, s19, v122 :: v_dual_mul_f32 v82, s19, v119
	v_dual_mul_f32 v83, s19, v118 :: v_dual_mul_f32 v94, s19, v107
	v_cndmask_b32_e64 v93, 0xff7fffff, v93, s3
	v_cndmask_b32_e32 v92, 0xff7fffff, v92, vcc_lo
	v_or_b32_e32 v84, 12, v68
	v_or_b32_e32 v85, 14, v68
	v_cndmask_b32_e64 v71, 0xff7fffff, v83, s4
	v_cndmask_b32_e64 v72, 0xff7fffff, v82, s5
	v_cmp_gt_i32_e64 s13, s24, v89
	v_lshlrev_b32_e32 v89, 2, v69
	v_max3_f32 v82, v93, 0xff7fffff, v92
	v_or_b32_e32 v86, 16, v68
	v_or_b32_e32 v87, 18, v68
	v_mul_f32_e32 v78, s19, v123
	v_cndmask_b32_e64 v81, 0xff7fffff, v81, s6
	v_cndmask_b32_e64 v80, 0xff7fffff, v80, s7
	v_max3_f32 v71, v82, v71, v72
	v_cmp_gt_i32_e64 s8, s24, v84
	v_cmp_gt_i32_e64 s9, s24, v85
	v_or_b32_e32 v88, 20, v68
	v_or_b32_e32 v90, 24, v68
	;; [unrolled: 1-line block ×5, first 2 shown]
	v_dual_mul_f32 v97, s19, v104 :: v_dual_mul_f32 v70, s19, v101
	v_dual_mul_f32 v99, s19, v102 :: v_dual_mul_f32 v68, s19, v100
	v_cndmask_b32_e64 v72, 0xff7fffff, v79, s8
	v_cndmask_b32_e64 v78, 0xff7fffff, v78, s9
	v_max3_f32 v71, v71, v81, v80
	v_cmp_gt_i32_e64 s10, s24, v86
	v_cmp_gt_i32_e64 s11, s24, v87
	v_dual_mul_f32 v95, s19, v106 :: v_dual_mul_f32 v98, s19, v103
	s_delay_alu instid0(VALU_DEP_4) | instskip(NEXT) | instid1(VALU_DEP_4)
	v_max3_f32 v71, v71, v72, v78
	v_cndmask_b32_e64 v68, 0xff7fffff, v68, s10
	s_delay_alu instid0(VALU_DEP_4)
	v_cndmask_b32_e64 v70, 0xff7fffff, v70, s11
	v_cmp_gt_i32_e64 s12, s24, v88
	v_cndmask_b32_e64 v78, 0xff7fffff, v98, s13
	v_cmp_gt_i32_e64 s15, s24, v90
	v_cmp_gt_i32_e64 s16, s24, v91
	v_max3_f32 v68, v71, v68, v70
	v_cndmask_b32_e64 v72, 0xff7fffff, v99, s12
	v_cmp_gt_i32_e64 s17, s24, v76
	v_cndmask_b32_e64 v70, 0xff7fffff, v97, s15
	v_cndmask_b32_e64 v71, 0xff7fffff, v96, s16
	v_cmp_gt_i32_e64 s18, s24, v77
	v_max3_f32 v68, v68, v72, v78
	v_cndmask_b32_e64 v72, 0xff7fffff, v95, s17
	s_delay_alu instid0(VALU_DEP_3) | instskip(NEXT) | instid1(VALU_DEP_3)
	v_cndmask_b32_e64 v76, 0xff7fffff, v94, s18
	v_max3_f32 v68, v68, v70, v71
	s_delay_alu instid0(VALU_DEP_1) | instskip(SKIP_3) | instid1(VALU_DEP_1)
	v_max3_f32 v68, v68, v72, v76
	ds_bpermute_b32 v69, v89, v68
	s_waitcnt lgkmcnt(0)
	v_max_f32_e32 v69, v69, v69
	v_max_f32_e32 v68, v68, v69
	s_delay_alu instid0(VALU_DEP_1) | instskip(NEXT) | instid1(VALU_DEP_1)
	v_fma_f32 v71, s19, v118, -v68
	v_mul_f32_e32 v71, 0x3fb8aa3b, v71
	v_fma_f32 v70, s19, v117, -v68
	v_fma_f32 v69, s19, v116, -v68
	;; [unrolled: 1-line block ×5, first 2 shown]
	s_delay_alu instid0(VALU_DEP_4) | instskip(SKIP_1) | instid1(VALU_DEP_3)
	v_dual_mul_f32 v70, 0x3fb8aa3b, v70 :: v_dual_mul_f32 v69, 0x3fb8aa3b, v69
	v_exp_f32_e32 v71, v71
	v_mul_f32_e32 v72, 0x3fb8aa3b, v72
	v_fma_f32 v81, s19, v105, -v68
	s_delay_alu instid0(VALU_DEP_3)
	v_exp_f32_e32 v70, v70
	v_mul_f32_e32 v77, 0x3fb8aa3b, v76
	v_exp_f32_e32 v69, v69
	v_exp_f32_e32 v72, v72
	v_mul_f32_e32 v81, 0x3fb8aa3b, v81
	v_cndmask_b32_e64 v83, 0, v71, s4
	v_fma_f32 v71, s19, v123, -v68
	s_delay_alu instid0(VALU_DEP_3) | instskip(SKIP_4) | instid1(TRANS32_DEP_3)
	v_exp_f32_e32 v81, v81
	v_cndmask_b32_e32 v76, 0, v70, vcc_lo
	v_exp_f32_e32 v77, v77
	v_cndmask_b32_e64 v80, 0, v69, s3
	v_fma_f32 v69, s19, v121, -v68
	v_cndmask_b32_e64 v85, 0, v72, s5
	v_mul_f32_e32 v71, 0x3fb8aa3b, v71
	v_fma_f32 v72, s19, v100, -v68
	s_delay_alu instid0(VALU_DEP_4) | instskip(SKIP_1) | instid1(VALU_DEP_4)
	v_dual_add_f32 v70, 0, v80 :: v_dual_mul_f32 v69, 0x3fb8aa3b, v69
	v_cmp_gt_u32_e64 s3, 16, v67
	v_exp_f32_e32 v71, v71
	s_delay_alu instid0(TRANS32_DEP_2) | instskip(SKIP_4) | instid1(VALU_DEP_3)
	v_cndmask_b32_e64 v86, 0, v77, s6
	v_fma_f32 v77, s19, v101, -v68
	v_mul_f32_e32 v78, 0x3fb8aa3b, v78
	v_add_f32_e32 v70, v70, v76
	v_exp_f32_e32 v69, v69
	v_mul_f32_e32 v77, 0x3fb8aa3b, v77
	s_delay_alu instid0(VALU_DEP_3) | instskip(NEXT) | instid1(TRANS32_DEP_3)
	v_exp_f32_e32 v78, v78
	v_cndmask_b32_e64 v88, 0, v71, s9
	v_fma_f32 v71, s19, v104, -v68
	s_delay_alu instid0(VALU_DEP_3) | instskip(NEXT) | instid1(TRANS32_DEP_3)
	v_exp_f32_e32 v77, v77
	v_cndmask_b32_e64 v87, 0, v69, s7
	s_delay_alu instid0(VALU_DEP_2)
	v_mul_f32_e32 v71, 0x3fb8aa3b, v71
	s_waitcnt_depctr 0xfff
	v_cndmask_b32_e64 v84, 0, v78, s8
	v_add_f32_e32 v70, v70, v83
	v_fma_f32 v78, s19, v103, -v68
	v_exp_f32_e32 v82, v71
	s_delay_alu instid0(VALU_DEP_2) | instskip(SKIP_1) | instid1(VALU_DEP_3)
	v_add_f32_e32 v70, v70, v85
	v_mul_f32_e32 v72, 0x3fb8aa3b, v72
	v_mul_f32_e32 v78, 0x3fb8aa3b, v78
	s_delay_alu instid0(VALU_DEP_3) | instskip(SKIP_1) | instid1(VALU_DEP_4)
	v_add_f32_e32 v69, v70, v86
	v_fma_f32 v70, s19, v102, -v68
	v_exp_f32_e32 v72, v72
	s_delay_alu instid0(VALU_DEP_3) | instskip(NEXT) | instid1(VALU_DEP_1)
	v_exp_f32_e32 v78, v78
	v_dual_add_f32 v69, v69, v87 :: v_dual_mul_f32 v70, 0x3fb8aa3b, v70
	s_delay_alu instid0(VALU_DEP_1) | instskip(NEXT) | instid1(VALU_DEP_2)
	v_add_f32_e32 v69, v69, v84
	v_exp_f32_e32 v79, v70
	s_delay_alu instid0(TRANS32_DEP_3) | instskip(NEXT) | instid1(VALU_DEP_2)
	v_cndmask_b32_e64 v70, 0, v72, s10
	v_add_f32_e32 v72, v69, v88
	v_cndmask_b32_e64 v69, 0, v77, s11
	v_fma_f32 v77, s19, v106, -v68
	s_waitcnt_depctr 0xfff
	v_cndmask_b32_e64 v71, 0, v79, s12
	v_dual_mul_f32 v77, 0x3fb8aa3b, v77 :: v_dual_add_f32 v72, v72, v70
	s_delay_alu instid0(VALU_DEP_1) | instskip(NEXT) | instid1(VALU_DEP_1)
	v_exp_f32_e32 v90, v77
	v_add_f32_e32 v79, v72, v69
	v_cndmask_b32_e64 v72, 0, v78, s13
	v_cndmask_b32_e64 v77, 0, v82, s15
	s_delay_alu instid0(VALU_DEP_3) | instskip(SKIP_1) | instid1(VALU_DEP_1)
	v_add_f32_e32 v78, v79, v71
	v_fma_f32 v79, s19, v107, -v68
	v_dual_add_f32 v82, v78, v72 :: v_dual_mul_f32 v79, 0x3fb8aa3b, v79
	v_cndmask_b32_e64 v78, 0, v81, s16
	s_delay_alu instid0(VALU_DEP_2) | instskip(NEXT) | instid1(VALU_DEP_3)
	v_add_f32_e32 v81, v82, v77
	v_exp_f32_e32 v82, v79
	v_cndmask_b32_e64 v79, 0, v90, s17
	s_delay_alu instid0(VALU_DEP_2) | instskip(NEXT) | instid1(VALU_DEP_1)
	v_add_f32_e32 v81, v81, v78
	v_add_f32_e32 v90, v81, v79
	s_waitcnt_depctr 0xfff
	v_cndmask_b32_e64 v81, 0, v82, s18
	s_delay_alu instid0(VALU_DEP_1)
	v_add_f32_e32 v82, v90, v81
	ds_bpermute_b32 v89, v89, v82
	s_and_saveexec_b32 s4, s3
	s_cbranch_execz .LBB1684_12
; %bb.11:
	v_mul_u32_u24_e32 v67, 0x44, v66
	s_delay_alu instid0(VALU_DEP_1) | instskip(SKIP_1) | instid1(VALU_DEP_1)
	v_lshl_add_u32 v67, v65, 2, v67
	s_waitcnt lgkmcnt(0)
	v_dual_add_f32 v82, v82, v89 :: v_dual_add_nc_u32 v67, 0x4000, v67
	ds_store_2addr_b32 v67, v68, v82 offset1:136
.LBB1684_12:
	s_or_b32 exec_lo, exec_lo, s4
	v_lshlrev_b32_e32 v67, 2, v65
	s_waitcnt lgkmcnt(0)
	s_barrier
	buffer_gl0_inv
	v_cmp_eq_u32_e32 vcc_lo, 1, v66
	v_add_nc_u32_e32 v82, 0x4000, v67
	v_cmp_eq_u32_e64 s4, 2, v66
	v_cmp_eq_u32_e64 s6, 7, v66
	ds_load_2addr_b32 v[89:90], v82 offset1:17
	ds_load_2addr_b32 v[91:92], v82 offset0:34 offset1:51
	ds_load_2addr_b32 v[93:94], v82 offset0:68 offset1:85
	;; [unrolled: 1-line block ×4, first 2 shown]
	s_waitcnt lgkmcnt(4)
	v_max3_f32 v67, v89, 0xff7fffff, v90
	s_waitcnt lgkmcnt(3)
	s_delay_alu instid0(VALU_DEP_1) | instskip(SKIP_1) | instid1(VALU_DEP_1)
	v_max3_f32 v67, v67, v91, v92
	s_waitcnt lgkmcnt(2)
	v_max3_f32 v67, v67, v93, v94
	s_waitcnt lgkmcnt(1)
	s_delay_alu instid0(VALU_DEP_1) | instskip(NEXT) | instid1(VALU_DEP_1)
	v_max3_f32 v67, v67, v95, v96
	v_sub_f32_e32 v93, v93, v67
	s_delay_alu instid0(VALU_DEP_1) | instskip(NEXT) | instid1(VALU_DEP_1)
	v_dual_sub_f32 v68, v89, v67 :: v_dual_mul_f32 v103, 0x3fb8aa3b, v93
	v_mul_f32_e32 v68, 0x3fb8aa3b, v68
	s_delay_alu instid0(VALU_DEP_1)
	v_exp_f32_e32 v100, v68
	v_sub_f32_e32 v68, v92, v67
	v_sub_f32_e32 v99, v90, v67
	ds_load_2addr_b32 v[89:90], v82 offset0:170 offset1:187
	v_dual_mul_f32 v102, 0x3fb8aa3b, v68 :: v_dual_mul_f32 v99, 0x3fb8aa3b, v99
	s_waitcnt lgkmcnt(1)
	v_fma_f32 v68, v100, v97, 0
	s_delay_alu instid0(VALU_DEP_2) | instskip(NEXT) | instid1(VALU_DEP_2)
	v_exp_f32_e32 v102, v102
	v_exp_f32_e32 v99, v99
	s_waitcnt_depctr 0xfff
	v_fmac_f32_e32 v68, v99, v98
	v_sub_f32_e32 v91, v91, v67
	s_delay_alu instid0(VALU_DEP_1)
	v_mul_f32_e32 v101, 0x3fb8aa3b, v91
	ds_load_2addr_b32 v[91:92], v82 offset0:204 offset1:221
	v_sub_f32_e32 v97, v94, v67
	ds_load_2addr_b32 v[93:94], v82 offset0:238 offset1:255
	s_waitcnt lgkmcnt(0)
	v_exp_f32_e32 v101, v101
	s_barrier
	buffer_gl0_inv
	v_dual_fmac_f32 v68, v101, v89 :: v_dual_sub_f32 v89, v96, v67
	v_dual_sub_f32 v82, v95, v67 :: v_dual_mul_f32 v95, 0x3fb8aa3b, v97
	v_exp_f32_e32 v97, v103
	s_delay_alu instid0(VALU_DEP_2) | instskip(NEXT) | instid1(VALU_DEP_2)
	v_dual_fmac_f32 v68, v102, v90 :: v_dual_mul_f32 v89, 0x3fb8aa3b, v89
	v_mul_f32_e32 v82, 0x3fb8aa3b, v82
	s_delay_alu instid0(VALU_DEP_3) | instskip(NEXT) | instid1(VALU_DEP_2)
	v_exp_f32_e32 v95, v95
	v_exp_f32_e32 v89, v89
	s_delay_alu instid0(VALU_DEP_1)
	v_exp_f32_e32 v82, v82
	v_fmac_f32_e32 v68, v97, v91
	s_delay_alu instid0(TRANS32_DEP_3) | instid1(VALU_DEP_1)
	v_fmac_f32_e32 v68, v95, v92
	s_waitcnt_depctr 0xfff
	v_fmac_f32_e32 v68, v82, v93
	s_delay_alu instid0(VALU_DEP_1) | instskip(NEXT) | instid1(VALU_DEP_1)
	v_fmac_f32_e32 v68, v89, v94
	v_add_f32_e32 v90, 0x358637bd, v68
	s_delay_alu instid0(VALU_DEP_1) | instskip(NEXT) | instid1(VALU_DEP_1)
	v_div_scale_f32 v91, null, v90, v90, 1.0
	v_rcp_f32_e32 v92, v91
	s_waitcnt_depctr 0xfff
	v_fma_f32 v93, -v91, v92, 1.0
	s_delay_alu instid0(VALU_DEP_1) | instskip(SKIP_1) | instid1(VALU_DEP_2)
	v_dual_fmac_f32 v92, v93, v92 :: v_dual_cndmask_b32 v93, v100, v99
	v_cmp_eq_u32_e32 vcc_lo, 3, v66
	v_cndmask_b32_e64 v93, v93, v101, s4
	v_cmp_eq_u32_e64 s4, 4, v66
	s_delay_alu instid0(VALU_DEP_2) | instskip(SKIP_1) | instid1(VALU_DEP_2)
	v_cndmask_b32_e32 v93, v93, v102, vcc_lo
	v_cmp_eq_u32_e32 vcc_lo, 5, v66
	v_cndmask_b32_e64 v93, v93, v97, s4
	v_cmp_eq_u32_e64 s4, 6, v66
	s_delay_alu instid0(VALU_DEP_2) | instskip(SKIP_1) | instid1(VALU_DEP_1)
	v_cndmask_b32_e32 v93, v93, v95, vcc_lo
	v_div_scale_f32 v94, s5, 1.0, v90, 1.0
	s_mov_b32 vcc_lo, s5
	s_delay_alu instid0(VALU_DEP_2) | instskip(NEXT) | instid1(VALU_DEP_2)
	v_cndmask_b32_e64 v82, v93, v82, s4
	v_mul_f32_e32 v96, v94, v92
	s_mov_b32 s4, exec_lo
	s_delay_alu instid0(VALU_DEP_2) | instskip(NEXT) | instid1(VALU_DEP_2)
	v_cndmask_b32_e64 v82, v82, v89, s6
	v_fma_f32 v98, -v91, v96, v94
	s_delay_alu instid0(VALU_DEP_1) | instskip(NEXT) | instid1(VALU_DEP_1)
	v_fmac_f32_e32 v96, v98, v92
	v_fma_f32 v91, -v91, v96, v94
	s_delay_alu instid0(VALU_DEP_1) | instskip(NEXT) | instid1(VALU_DEP_1)
	v_div_fmas_f32 v91, v91, v92, v96
	v_div_fixup_f32 v90, v91, v90, 1.0
	s_delay_alu instid0(VALU_DEP_1) | instskip(NEXT) | instid1(VALU_DEP_1)
	v_mul_f32_e32 v82, v82, v90
	v_mul_f32_e32 v87, v82, v87
	;; [unrolled: 1-line block ×7, first 2 shown]
	v_dual_mul_f32 v86, v82, v83 :: v_dual_and_b32 v91, 0x7f800000, v90
	v_mul_f32_e32 v85, v82, v76
                                        ; implicit-def: $vgpr76
	s_delay_alu instid0(VALU_DEP_2)
	v_cmpx_ne_u32_e32 0x7f800000, v91
	s_xor_b32 s4, exec_lo, s4
; %bb.13:
	v_bfe_u32 v76, v90, 16, 1
	s_delay_alu instid0(VALU_DEP_1)
	v_add3_u32 v76, v90, v76, 0x7fff
                                        ; implicit-def: $vgpr90
; %bb.14:
	s_and_not1_saveexec_b32 s4, s4
; %bb.15:
	v_and_b32_e32 v76, 0xffff, v90
	v_or_b32_e32 v83, 0x10000, v90
	s_delay_alu instid0(VALU_DEP_2) | instskip(NEXT) | instid1(VALU_DEP_2)
	v_cmp_eq_u32_e32 vcc_lo, 0, v76
	v_cndmask_b32_e32 v76, v83, v90, vcc_lo
; %bb.16:
	s_or_b32 exec_lo, exec_lo, s4
	v_and_b32_e32 v83, 0x7f800000, v85
	s_delay_alu instid0(VALU_DEP_1) | instskip(SKIP_1) | instid1(SALU_CYCLE_1)
	v_cmp_ne_u32_e32 vcc_lo, 0x7f800000, v83
                                        ; implicit-def: $vgpr83
	s_and_saveexec_b32 s4, vcc_lo
	s_xor_b32 s4, exec_lo, s4
; %bb.17:
	v_bfe_u32 v83, v85, 16, 1
	s_delay_alu instid0(VALU_DEP_1)
	v_add3_u32 v83, v85, v83, 0x7fff
                                        ; implicit-def: $vgpr85
; %bb.18:
	s_and_not1_saveexec_b32 s4, s4
; %bb.19:
	v_and_b32_e32 v83, 0xffff, v85
	v_or_b32_e32 v90, 0x10000, v85
	s_delay_alu instid0(VALU_DEP_2) | instskip(NEXT) | instid1(VALU_DEP_2)
	v_cmp_eq_u32_e32 vcc_lo, 0, v83
	v_cndmask_b32_e32 v83, v90, v85, vcc_lo
; %bb.20:
	s_or_b32 exec_lo, exec_lo, s4
	v_and_b32_e32 v85, 0x7f800000, v86
	s_delay_alu instid0(VALU_DEP_1) | instskip(SKIP_1) | instid1(SALU_CYCLE_1)
	v_cmp_ne_u32_e32 vcc_lo, 0x7f800000, v85
                                        ; implicit-def: $vgpr85
	s_and_saveexec_b32 s4, vcc_lo
	s_xor_b32 s4, exec_lo, s4
; %bb.21:
	v_bfe_u32 v85, v86, 16, 1
	s_delay_alu instid0(VALU_DEP_1)
	v_add3_u32 v85, v86, v85, 0x7fff
                                        ; implicit-def: $vgpr86
; %bb.22:
	s_and_not1_saveexec_b32 s4, s4
; %bb.23:
	v_and_b32_e32 v85, 0xffff, v86
	v_or_b32_e32 v90, 0x10000, v86
	s_delay_alu instid0(VALU_DEP_2) | instskip(NEXT) | instid1(VALU_DEP_2)
	v_cmp_eq_u32_e32 vcc_lo, 0, v85
	v_cndmask_b32_e32 v85, v90, v86, vcc_lo
; %bb.24:
	s_or_b32 exec_lo, exec_lo, s4
	v_and_b32_e32 v86, 0x7f800000, v89
	s_delay_alu instid0(VALU_DEP_1) | instskip(SKIP_1) | instid1(SALU_CYCLE_1)
	v_cmp_ne_u32_e32 vcc_lo, 0x7f800000, v86
                                        ; implicit-def: $vgpr86
	s_and_saveexec_b32 s4, vcc_lo
	s_xor_b32 s4, exec_lo, s4
; %bb.25:
	v_bfe_u32 v86, v89, 16, 1
	s_delay_alu instid0(VALU_DEP_1)
	v_add3_u32 v86, v89, v86, 0x7fff
                                        ; implicit-def: $vgpr89
; %bb.26:
	s_and_not1_saveexec_b32 s4, s4
; %bb.27:
	v_and_b32_e32 v86, 0xffff, v89
	v_or_b32_e32 v90, 0x10000, v89
	s_delay_alu instid0(VALU_DEP_2) | instskip(NEXT) | instid1(VALU_DEP_2)
	v_cmp_eq_u32_e32 vcc_lo, 0, v86
	v_cndmask_b32_e32 v86, v90, v89, vcc_lo
; %bb.28:
	s_or_b32 exec_lo, exec_lo, s4
	v_and_b32_e32 v89, 0x7f800000, v88
	s_delay_alu instid0(VALU_DEP_1) | instskip(SKIP_1) | instid1(SALU_CYCLE_1)
	v_cmp_ne_u32_e32 vcc_lo, 0x7f800000, v89
                                        ; implicit-def: $vgpr89
	s_and_saveexec_b32 s4, vcc_lo
	s_xor_b32 s4, exec_lo, s4
; %bb.29:
	v_bfe_u32 v89, v88, 16, 1
	s_delay_alu instid0(VALU_DEP_1)
	v_add3_u32 v89, v88, v89, 0x7fff
                                        ; implicit-def: $vgpr88
; %bb.30:
	s_and_not1_saveexec_b32 s4, s4
; %bb.31:
	v_and_b32_e32 v89, 0xffff, v88
	v_or_b32_e32 v90, 0x10000, v88
	s_delay_alu instid0(VALU_DEP_2) | instskip(NEXT) | instid1(VALU_DEP_2)
	v_cmp_eq_u32_e32 vcc_lo, 0, v89
	v_cndmask_b32_e32 v89, v90, v88, vcc_lo
; %bb.32:
	s_or_b32 exec_lo, exec_lo, s4
	v_and_b32_e32 v88, 0x7f800000, v87
	s_delay_alu instid0(VALU_DEP_1) | instskip(SKIP_1) | instid1(SALU_CYCLE_1)
	v_cmp_ne_u32_e32 vcc_lo, 0x7f800000, v88
                                        ; implicit-def: $vgpr88
	s_and_saveexec_b32 s4, vcc_lo
	s_xor_b32 s4, exec_lo, s4
; %bb.33:
	v_bfe_u32 v88, v87, 16, 1
	s_delay_alu instid0(VALU_DEP_1)
	v_add3_u32 v88, v87, v88, 0x7fff
                                        ; implicit-def: $vgpr87
; %bb.34:
	s_and_not1_saveexec_b32 s4, s4
; %bb.35:
	v_and_b32_e32 v88, 0xffff, v87
	v_or_b32_e32 v90, 0x10000, v87
	s_delay_alu instid0(VALU_DEP_2) | instskip(NEXT) | instid1(VALU_DEP_2)
	v_cmp_eq_u32_e32 vcc_lo, 0, v88
	v_cndmask_b32_e32 v88, v90, v87, vcc_lo
; %bb.36:
	s_or_b32 exec_lo, exec_lo, s4
	v_and_b32_e32 v87, 0x7f800000, v84
	s_delay_alu instid0(VALU_DEP_1) | instskip(SKIP_1) | instid1(SALU_CYCLE_1)
	v_cmp_ne_u32_e32 vcc_lo, 0x7f800000, v87
                                        ; implicit-def: $vgpr87
	s_and_saveexec_b32 s4, vcc_lo
	s_xor_b32 s4, exec_lo, s4
; %bb.37:
	v_bfe_u32 v87, v84, 16, 1
	s_delay_alu instid0(VALU_DEP_1)
	v_add3_u32 v87, v84, v87, 0x7fff
                                        ; implicit-def: $vgpr84
; %bb.38:
	s_and_not1_saveexec_b32 s4, s4
; %bb.39:
	v_and_b32_e32 v87, 0xffff, v84
	v_or_b32_e32 v90, 0x10000, v84
	s_delay_alu instid0(VALU_DEP_2) | instskip(NEXT) | instid1(VALU_DEP_2)
	v_cmp_eq_u32_e32 vcc_lo, 0, v87
	v_cndmask_b32_e32 v87, v90, v84, vcc_lo
; %bb.40:
	s_or_b32 exec_lo, exec_lo, s4
	v_and_b32_e32 v84, 0x7f800000, v80
	s_delay_alu instid0(VALU_DEP_1) | instskip(SKIP_1) | instid1(SALU_CYCLE_1)
	v_cmp_ne_u32_e32 vcc_lo, 0x7f800000, v84
                                        ; implicit-def: $vgpr84
	s_and_saveexec_b32 s4, vcc_lo
	s_xor_b32 s4, exec_lo, s4
; %bb.41:
	v_bfe_u32 v84, v80, 16, 1
	s_delay_alu instid0(VALU_DEP_1)
	v_add3_u32 v84, v80, v84, 0x7fff
                                        ; implicit-def: $vgpr80
; %bb.42:
	s_and_not1_saveexec_b32 s4, s4
; %bb.43:
	v_and_b32_e32 v84, 0xffff, v80
	v_or_b32_e32 v90, 0x10000, v80
	s_delay_alu instid0(VALU_DEP_2) | instskip(NEXT) | instid1(VALU_DEP_2)
	v_cmp_eq_u32_e32 vcc_lo, 0, v84
	v_cndmask_b32_e32 v84, v90, v80, vcc_lo
; %bb.44:
	s_or_b32 exec_lo, exec_lo, s4
	s_load_b64 s[36:37], s[0:1], 0x94
	v_lshlrev_b32_e32 v91, 4, v74
	s_delay_alu instid0(VALU_DEP_2)
	v_perm_b32 v90, v84, v87, 0x7060302
	v_dual_mul_f32 v79, v82, v79 :: v_dual_lshlrev_b32 v80, 6, v65
	v_dual_mul_f32 v77, v82, v77 :: v_dual_lshlrev_b32 v92, 11, v66
	v_mul_f32_e32 v84, v82, v70
	v_perm_b32 v89, v88, v89, 0x7060302
	v_perm_b32 v88, v86, v85, 0x7060302
	v_perm_b32 v87, v83, v76, 0x7060302
	v_mul_f32_e32 v70, v82, v81
	v_or3_b32 v76, v91, v92, v80
	v_dual_mul_f32 v78, v82, v78 :: v_dual_and_b32 v85, 0x7f800000, v84
	v_mul_f32_e32 v83, v82, v72
	v_mul_f32_e32 v81, v82, v71
	;; [unrolled: 1-line block ×3, first 2 shown]
	s_mov_b32 s4, exec_lo
	ds_store_b128 v76, v[87:90]
                                        ; implicit-def: $vgpr69
	v_cmpx_ne_u32_e32 0x7f800000, v85
	s_xor_b32 s4, exec_lo, s4
; %bb.45:
	v_bfe_u32 v69, v84, 16, 1
	s_delay_alu instid0(VALU_DEP_1)
	v_add3_u32 v69, v84, v69, 0x7fff
                                        ; implicit-def: $vgpr84
; %bb.46:
	s_and_not1_saveexec_b32 s4, s4
; %bb.47:
	v_and_b32_e32 v69, 0xffff, v84
	v_or_b32_e32 v71, 0x10000, v84
	s_delay_alu instid0(VALU_DEP_2) | instskip(NEXT) | instid1(VALU_DEP_2)
	v_cmp_eq_u32_e32 vcc_lo, 0, v69
	v_cndmask_b32_e32 v69, v71, v84, vcc_lo
; %bb.48:
	s_or_b32 exec_lo, exec_lo, s4
	v_and_b32_e32 v71, 0x7f800000, v72
	s_delay_alu instid0(VALU_DEP_1) | instskip(SKIP_1) | instid1(SALU_CYCLE_1)
	v_cmp_ne_u32_e32 vcc_lo, 0x7f800000, v71
                                        ; implicit-def: $vgpr71
	s_and_saveexec_b32 s4, vcc_lo
	s_xor_b32 s4, exec_lo, s4
; %bb.49:
	v_bfe_u32 v71, v72, 16, 1
	s_delay_alu instid0(VALU_DEP_1)
	v_add3_u32 v71, v72, v71, 0x7fff
                                        ; implicit-def: $vgpr72
; %bb.50:
	s_and_not1_saveexec_b32 s4, s4
; %bb.51:
	v_and_b32_e32 v71, 0xffff, v72
	v_or_b32_e32 v82, 0x10000, v72
	s_delay_alu instid0(VALU_DEP_2) | instskip(NEXT) | instid1(VALU_DEP_2)
	v_cmp_eq_u32_e32 vcc_lo, 0, v71
	v_cndmask_b32_e32 v71, v82, v72, vcc_lo
; %bb.52:
	s_or_b32 exec_lo, exec_lo, s4
	v_and_b32_e32 v72, 0x7f800000, v81
	s_delay_alu instid0(VALU_DEP_1) | instskip(SKIP_1) | instid1(SALU_CYCLE_1)
	v_cmp_ne_u32_e32 vcc_lo, 0x7f800000, v72
                                        ; implicit-def: $vgpr72
	s_and_saveexec_b32 s4, vcc_lo
	s_xor_b32 s4, exec_lo, s4
; %bb.53:
	v_bfe_u32 v72, v81, 16, 1
	s_delay_alu instid0(VALU_DEP_1)
	v_add3_u32 v72, v81, v72, 0x7fff
                                        ; implicit-def: $vgpr81
; %bb.54:
	s_and_not1_saveexec_b32 s4, s4
; %bb.55:
	v_and_b32_e32 v72, 0xffff, v81
	v_or_b32_e32 v82, 0x10000, v81
	s_delay_alu instid0(VALU_DEP_2) | instskip(NEXT) | instid1(VALU_DEP_2)
	v_cmp_eq_u32_e32 vcc_lo, 0, v72
	v_cndmask_b32_e32 v72, v82, v81, vcc_lo
; %bb.56:
	s_or_b32 exec_lo, exec_lo, s4
	v_and_b32_e32 v81, 0x7f800000, v83
	s_delay_alu instid0(VALU_DEP_1) | instskip(SKIP_1) | instid1(SALU_CYCLE_1)
	v_cmp_ne_u32_e32 vcc_lo, 0x7f800000, v81
                                        ; implicit-def: $vgpr81
	s_and_saveexec_b32 s4, vcc_lo
	s_xor_b32 s4, exec_lo, s4
; %bb.57:
	v_bfe_u32 v81, v83, 16, 1
	s_delay_alu instid0(VALU_DEP_1)
	v_add3_u32 v81, v83, v81, 0x7fff
                                        ; implicit-def: $vgpr83
; %bb.58:
	s_and_not1_saveexec_b32 s4, s4
; %bb.59:
	v_and_b32_e32 v81, 0xffff, v83
	v_or_b32_e32 v82, 0x10000, v83
	s_delay_alu instid0(VALU_DEP_2) | instskip(NEXT) | instid1(VALU_DEP_2)
	v_cmp_eq_u32_e32 vcc_lo, 0, v81
	v_cndmask_b32_e32 v81, v82, v83, vcc_lo
; %bb.60:
	s_or_b32 exec_lo, exec_lo, s4
	v_and_b32_e32 v82, 0x7f800000, v77
	s_delay_alu instid0(VALU_DEP_1) | instskip(SKIP_1) | instid1(SALU_CYCLE_1)
	v_cmp_ne_u32_e32 vcc_lo, 0x7f800000, v82
                                        ; implicit-def: $vgpr82
	s_and_saveexec_b32 s4, vcc_lo
	s_xor_b32 s4, exec_lo, s4
; %bb.61:
	v_bfe_u32 v82, v77, 16, 1
	s_delay_alu instid0(VALU_DEP_1)
	v_add3_u32 v82, v77, v82, 0x7fff
                                        ; implicit-def: $vgpr77
; %bb.62:
	s_and_not1_saveexec_b32 s4, s4
; %bb.63:
	v_and_b32_e32 v82, 0xffff, v77
	v_or_b32_e32 v83, 0x10000, v77
	s_delay_alu instid0(VALU_DEP_2) | instskip(NEXT) | instid1(VALU_DEP_2)
	v_cmp_eq_u32_e32 vcc_lo, 0, v82
	v_cndmask_b32_e32 v82, v83, v77, vcc_lo
; %bb.64:
	s_or_b32 exec_lo, exec_lo, s4
	v_and_b32_e32 v77, 0x7f800000, v78
	s_delay_alu instid0(VALU_DEP_1) | instskip(SKIP_1) | instid1(SALU_CYCLE_1)
	v_cmp_ne_u32_e32 vcc_lo, 0x7f800000, v77
                                        ; implicit-def: $vgpr77
	s_and_saveexec_b32 s4, vcc_lo
	s_xor_b32 s4, exec_lo, s4
; %bb.65:
	v_bfe_u32 v77, v78, 16, 1
	s_delay_alu instid0(VALU_DEP_1)
	v_add3_u32 v77, v78, v77, 0x7fff
                                        ; implicit-def: $vgpr78
; %bb.66:
	s_and_not1_saveexec_b32 s4, s4
; %bb.67:
	v_and_b32_e32 v77, 0xffff, v78
	v_or_b32_e32 v83, 0x10000, v78
	s_delay_alu instid0(VALU_DEP_2) | instskip(NEXT) | instid1(VALU_DEP_2)
	v_cmp_eq_u32_e32 vcc_lo, 0, v77
	v_cndmask_b32_e32 v77, v83, v78, vcc_lo
; %bb.68:
	s_or_b32 exec_lo, exec_lo, s4
	v_and_b32_e32 v78, 0x7f800000, v79
	s_delay_alu instid0(VALU_DEP_1) | instskip(SKIP_1) | instid1(SALU_CYCLE_1)
	v_cmp_ne_u32_e32 vcc_lo, 0x7f800000, v78
                                        ; implicit-def: $vgpr78
	s_and_saveexec_b32 s4, vcc_lo
	s_xor_b32 s4, exec_lo, s4
; %bb.69:
	v_bfe_u32 v78, v79, 16, 1
	s_delay_alu instid0(VALU_DEP_1)
	v_add3_u32 v78, v79, v78, 0x7fff
                                        ; implicit-def: $vgpr79
; %bb.70:
	s_and_not1_saveexec_b32 s4, s4
; %bb.71:
	v_and_b32_e32 v78, 0xffff, v79
	v_or_b32_e32 v83, 0x10000, v79
	s_delay_alu instid0(VALU_DEP_2) | instskip(NEXT) | instid1(VALU_DEP_2)
	v_cmp_eq_u32_e32 vcc_lo, 0, v78
	v_cndmask_b32_e32 v78, v83, v79, vcc_lo
; %bb.72:
	s_or_b32 exec_lo, exec_lo, s4
	v_and_b32_e32 v79, 0x7f800000, v70
	s_delay_alu instid0(VALU_DEP_1) | instskip(SKIP_1) | instid1(SALU_CYCLE_1)
	v_cmp_ne_u32_e32 vcc_lo, 0x7f800000, v79
                                        ; implicit-def: $vgpr79
	s_and_saveexec_b32 s4, vcc_lo
	s_xor_b32 s4, exec_lo, s4
; %bb.73:
	v_bfe_u32 v79, v70, 16, 1
	s_delay_alu instid0(VALU_DEP_1)
	v_add3_u32 v79, v70, v79, 0x7fff
                                        ; implicit-def: $vgpr70
; %bb.74:
	s_and_not1_saveexec_b32 s4, s4
; %bb.75:
	v_and_b32_e32 v79, 0xffff, v70
	v_or_b32_e32 v83, 0x10000, v70
	s_delay_alu instid0(VALU_DEP_2) | instskip(NEXT) | instid1(VALU_DEP_2)
	v_cmp_eq_u32_e32 vcc_lo, 0, v79
	v_cndmask_b32_e32 v79, v83, v70, vcc_lo
; %bb.76:
	s_or_b32 exec_lo, exec_lo, s4
	s_delay_alu instid0(VALU_DEP_1)
	v_perm_b32 v86, v79, v78, 0x7060302
	v_perm_b32 v85, v77, v82, 0x7060302
	;; [unrolled: 1-line block ×4, first 2 shown]
	v_lshl_or_b32 v82, v66, 11, v80
	ds_store_b128 v76, v[83:86] offset:1024
	s_waitcnt lgkmcnt(0)
	s_barrier
	buffer_gl0_inv
	ds_load_b128 v[69:72], v82
	ds_load_b128 v[83:86], v82 offset:16
	s_waitcnt lgkmcnt(1)
	v_lshrrev_b32_e32 v66, 16, v69
	s_waitcnt lgkmcnt(0)
	v_lshrrev_b32_e32 v91, 16, v83
	v_lshlrev_b32_e32 v78, 2, v74
	v_lshrrev_b32_e32 v95, 16, v70
	v_lshrrev_b32_e32 v98, 16, v84
	;; [unrolled: 1-line block ×4, first 2 shown]
	v_cmp_eq_u32_e32 vcc_lo, 1, v78
	v_lshrrev_b32_e32 v97, 16, v72
	v_lshrrev_b32_e32 v100, 16, v86
	v_cndmask_b32_e32 v87, v83, v91, vcc_lo
	v_or_b32_e32 v79, 1, v78
	v_cndmask_b32_e32 v81, v69, v66, vcc_lo
	v_cmp_eq_u32_e64 s5, 2, v78
	v_cmp_eq_u32_e64 s8, 3, v78
	v_cmp_eq_u32_e64 s10, 4, v78
	v_cmp_eq_u32_e64 s4, 1, v79
	v_cmp_eq_u32_e64 s7, 2, v79
	v_cndmask_b32_e64 v81, v81, v70, s5
	v_cndmask_b32_e64 v87, v87, v84, s5
	v_cmp_eq_u32_e64 s9, 3, v79
	v_cndmask_b32_e64 v88, v69, v66, s4
	v_or_b32_e32 v77, 2, v78
	v_cndmask_b32_e64 v81, v81, v95, s8
	v_cndmask_b32_e64 v87, v87, v98, s8
	;; [unrolled: 1-line block ×4, first 2 shown]
	v_cmp_eq_u32_e64 s11, 5, v78
	v_cndmask_b32_e64 v81, v81, v71, s10
	v_cndmask_b32_e64 v87, v87, v85, s10
	v_cmp_eq_u32_e64 s12, 4, v79
	v_cndmask_b32_e64 v88, v88, v95, s9
	v_cmp_eq_u32_e64 s6, 1, v77
	v_cndmask_b32_e64 v89, v89, v84, s7
	v_cndmask_b32_e64 v81, v81, v96, s11
	v_cmp_eq_u32_e64 s13, 6, v78
	v_cndmask_b32_e64 v88, v88, v71, s12
	;; [unrolled: 3-line block ×3, first 2 shown]
	v_cndmask_b32_e64 v89, v89, v98, s9
	v_cndmask_b32_e64 v81, v81, v72, s13
	v_cmp_eq_u32_e64 s16, 7, v78
	v_cndmask_b32_e64 v88, v88, v96, s15
	v_cndmask_b32_e64 v87, v87, v86, s13
	v_cmp_eq_u32_e64 s17, 6, v79
	v_cmp_eq_u32_e64 s18, 2, v77
	v_cndmask_b32_e64 v89, v89, v85, s12
	v_cndmask_b32_e64 v101, v81, v97, s16
	;; [unrolled: 1-line block ×6, first 2 shown]
	v_cmp_eq_u32_e64 s19, 7, v79
	v_cmp_eq_u32_e64 s20, 3, v77
	;; [unrolled: 1-line block ×4, first 2 shown]
	v_cndmask_b32_e64 v87, v87, v84, s18
	v_cndmask_b32_e64 v103, v88, v97, s19
	;; [unrolled: 1-line block ×4, first 2 shown]
	v_or_b32_e32 v81, 3, v78
	v_cndmask_b32_e64 v93, v87, v98, s20
	v_cmp_eq_u32_e64 s25, 6, v77
	v_cndmask_b32_e64 v104, v88, v86, s17
	v_cndmask_b32_e64 v92, v89, v71, s21
	v_cmp_eq_u32_e64 s22, 1, v81
	ds_load_b128 v[87:90], v82 offset:1024
	v_cmp_eq_u32_e64 s24, 2, v81
	v_cmp_eq_u32_e64 s26, 3, v81
	v_cndmask_b32_e64 v105, v92, v96, s23
	v_cndmask_b32_e64 v66, v69, v66, s22
	;; [unrolled: 1-line block ×4, first 2 shown]
	ds_load_b128 v[91:94], v82 offset:1040
	v_cmp_eq_u32_e64 s27, 4, v81
	v_cndmask_b32_e64 v66, v66, v70, s24
	v_cmp_eq_u32_e64 s28, 7, v77
	v_cndmask_b32_e64 v70, v83, v84, s24
	v_cndmask_b32_e64 v84, v105, v72, s25
	v_cmp_eq_u32_e64 s29, 5, v81
	v_cndmask_b32_e64 v66, v66, v95, s26
	v_cmp_eq_u32_e64 s30, 6, v81
	v_cndmask_b32_e64 v70, v70, v98, s26
	v_cndmask_b32_e64 v69, v69, v99, s23
	;; [unrolled: 1-line block ×4, first 2 shown]
	s_waitcnt lgkmcnt(1)
	v_lshrrev_b32_e32 v95, 16, v87
	v_cndmask_b32_e64 v70, v70, v85, s27
	v_cndmask_b32_e64 v71, v84, v97, s28
	;; [unrolled: 1-line block ×4, first 2 shown]
	v_cndmask_b32_e32 v84, v87, v95, vcc_lo
	v_cndmask_b32_e64 v70, v70, v99, s29
	s_waitcnt lgkmcnt(0)
	v_lshrrev_b32_e32 v85, 16, v91
	v_lshrrev_b32_e32 v96, 16, v88
	v_cndmask_b32_e64 v98, v87, v95, s4
	v_cndmask_b32_e64 v84, v84, v88, s5
	;; [unrolled: 1-line block ×3, first 2 shown]
	v_cndmask_b32_e32 v99, v91, v85, vcc_lo
	v_cmp_eq_u32_e32 vcc_lo, 7, v81
	v_cndmask_b32_e64 v66, v66, v72, s30
	v_cndmask_b32_e64 v72, v84, v96, s8
	;; [unrolled: 1-line block ×3, first 2 shown]
	v_lshrrev_b32_e32 v98, 16, v92
	v_cndmask_b32_e32 v70, v70, v100, vcc_lo
	v_cndmask_b32_e64 v86, v99, v92, s5
	v_cndmask_b32_e64 v69, v69, v100, s28
	v_lshrrev_b32_e32 v100, 16, v93
	v_cndmask_b32_e64 v72, v72, v89, s10
	v_lshrrev_b32_e32 v99, 16, v89
	v_cndmask_b32_e64 v86, v86, v98, s8
	v_perm_b32 v71, v69, v71, 0x5040100
	v_cndmask_b32_e64 v84, v84, v96, s9
	s_delay_alu instid0(VALU_DEP_3) | instskip(NEXT) | instid1(VALU_DEP_2)
	v_cndmask_b32_e64 v86, v86, v93, s10
	v_cndmask_b32_e64 v84, v84, v89, s12
	s_delay_alu instid0(VALU_DEP_2) | instskip(NEXT) | instid1(VALU_DEP_1)
	v_cndmask_b32_e64 v86, v86, v100, s11
	v_cndmask_b32_e64 v69, v86, v94, s13
	;; [unrolled: 1-line block ×5, first 2 shown]
	s_delay_alu instid0(VALU_DEP_3) | instskip(NEXT) | instid1(VALU_DEP_3)
	v_cndmask_b32_e64 v86, v86, v88, s18
	v_cndmask_b32_e64 v87, v87, v88, s24
	s_delay_alu instid0(VALU_DEP_3) | instskip(NEXT) | instid1(VALU_DEP_3)
	v_cndmask_b32_e64 v88, v95, v92, s24
	v_cndmask_b32_e64 v86, v86, v96, s20
	;; [unrolled: 3-line block ×7, first 2 shown]
	s_delay_alu instid0(VALU_DEP_3) | instskip(SKIP_2) | instid1(VALU_DEP_2)
	v_cndmask_b32_e64 v88, v88, v94, s30
	v_cndmask_b32_e32 v66, v66, v97, vcc_lo
	v_cndmask_b32_e64 v97, v72, v99, s11
	v_perm_b32 v72, v70, v66, 0x5040100
	v_perm_b32 v70, v83, v103, 0x5040100
	v_cndmask_b32_e64 v103, v91, v85, s6
	v_cndmask_b32_e64 v85, v91, v85, s4
	v_cndmask_b32_e64 v66, v84, v99, s15
	v_cndmask_b32_e64 v84, v97, v90, s13
	v_lshrrev_b32_e32 v97, 16, v90
	v_cndmask_b32_e64 v91, v103, v92, s18
	v_cndmask_b32_e64 v85, v85, v92, s7
	;; [unrolled: 1-line block ×3, first 2 shown]
	s_mov_b32 s4, exec_lo
	v_cndmask_b32_e64 v83, v84, v97, s16
	v_cndmask_b32_e64 v91, v91, v98, s20
	;; [unrolled: 1-line block ×3, first 2 shown]
	v_lshrrev_b32_e32 v84, 16, v94
	v_cndmask_b32_e64 v66, v66, v97, s19
	v_cndmask_b32_e64 v90, v86, v97, s28
	;; [unrolled: 1-line block ×4, first 2 shown]
	v_dual_cndmask_b32 v86, v87, v97 :: v_dual_cndmask_b32 v87, v88, v84
	v_cndmask_b32_e64 v91, v69, v84, s16
	s_delay_alu instid0(VALU_DEP_4) | instskip(NEXT) | instid1(VALU_DEP_4)
	v_cndmask_b32_e64 v89, v89, v100, s23
	v_cndmask_b32_e64 v85, v85, v100, s15
	v_perm_b32 v69, v102, v101, 0x5040100
	v_perm_b32 v86, v87, v86, 0x5040100
	;; [unrolled: 1-line block ×3, first 2 shown]
	v_cndmask_b32_e64 v89, v89, v94, s25
	v_cndmask_b32_e64 v85, v85, v94, s17
	s_mul_i32 s9, s37, 7
	s_delay_alu instid0(VALU_DEP_2) | instskip(NEXT) | instid1(VALU_DEP_2)
	v_cndmask_b32_e64 v88, v89, v84, s28
	v_cndmask_b32_e64 v89, v85, v84, s19
	s_delay_alu instid0(VALU_DEP_2) | instskip(NEXT) | instid1(VALU_DEP_2)
	v_perm_b32 v85, v88, v90, 0x5040100
	v_perm_b32 v84, v89, v66, 0x5040100
	ds_store_b128 v76, v[69:72]
	ds_store_b128 v76, v[83:86] offset:1024
	v_cmpx_gt_u32_e32 7, v0
	s_cbranch_execz .LBB1684_78
; %bb.77:
	s_mul_i32 s5, s9, s34
	s_load_b128 s[16:19], s[0:1], 0x58
	v_add3_u32 v69, s5, s31, v65
	s_delay_alu instid0(VALU_DEP_1) | instskip(NEXT) | instid1(VALU_DEP_1)
	v_mad_u64_u32 v[65:66], null, v69, s36, s[14:15]
	v_ashrrev_i32_e32 v66, 31, v65
	s_delay_alu instid0(VALU_DEP_1) | instskip(SKIP_1) | instid1(VALU_DEP_1)
	v_lshlrev_b64 v[65:66], 2, v[65:66]
	s_waitcnt lgkmcnt(0)
	v_add_co_u32 v69, vcc_lo, s18, v65
	s_delay_alu instid0(VALU_DEP_2)
	v_add_co_ci_u32_e32 v70, vcc_lo, s19, v66, vcc_lo
	v_add_co_u32 v65, vcc_lo, s16, v65
	v_add_co_ci_u32_e32 v66, vcc_lo, s17, v66, vcc_lo
	global_store_b32 v[69:70], v67, off
	global_store_b32 v[65:66], v68, off
.LBB1684_78:
	s_or_b32 exec_lo, exec_lo, s4
	s_waitcnt lgkmcnt(0)
	s_waitcnt_vscnt null, 0x0
	s_barrier
	buffer_gl0_inv
	ds_load_b128 v[83:86], v80
	ds_load_b128 v[87:90], v80 offset:16
	ds_load_b128 v[95:98], v80 offset:2064
	;; [unrolled: 1-line block ×3, first 2 shown]
	v_mov_b32_e32 v65, 0
	ds_load_b128 v[103:106], v80 offset:4112
	ds_load_b128 v[99:102], v80 offset:4096
	;; [unrolled: 1-line block ×4, first 2 shown]
	v_mov_b32_e32 v66, v65
	v_mov_b32_e32 v67, v65
	;; [unrolled: 1-line block ×7, first 2 shown]
	s_waitcnt lgkmcnt(6)
	s_delay_alu instid0(VALU_DEP_1)
	v_wmma_f32_16x16x16_bf16 v[65:72], v[57:64], v[83:90], v[65:72]
	ds_load_b128 v[61:64], v80 offset:8208
	ds_load_b128 v[57:60], v80 offset:8192
	s_waitcnt lgkmcnt(6)
	v_wmma_f32_16x16x16_bf16 v[65:72], v[41:48], v[91:98], v[65:72]
	ds_load_b128 v[45:48], v80 offset:10256
	ds_load_b128 v[41:44], v80 offset:10240
	s_waitcnt lgkmcnt(6)
	;; [unrolled: 4-line block ×4, first 2 shown]
	v_wmma_f32_16x16x16_bf16 v[65:72], v[1:8], v[57:64], v[65:72]
	s_waitcnt lgkmcnt(4)
	s_delay_alu instid0(VALU_DEP_1) | instskip(SKIP_1) | instid1(VALU_DEP_1)
	v_wmma_f32_16x16x16_bf16 v[65:72], v[9:16], v[41:48], v[65:72]
	s_waitcnt lgkmcnt(2)
	v_wmma_f32_16x16x16_bf16 v[65:72], v[17:24], v[33:40], v[65:72]
	s_waitcnt lgkmcnt(0)
	s_delay_alu instid0(VALU_DEP_1) | instskip(NEXT) | instid1(VALU_DEP_1)
	v_wmma_f32_16x16x16_bf16 v[65:72], v[49:56], v[25:32], v[65:72]
	v_and_b32_e32 v1, 0x7f800000, v65
	s_delay_alu instid0(VALU_DEP_1) | instskip(SKIP_1) | instid1(SALU_CYCLE_1)
	v_cmp_ne_u32_e32 vcc_lo, 0x7f800000, v1
                                        ; implicit-def: $vgpr1
	s_and_saveexec_b32 s4, vcc_lo
	s_xor_b32 s4, exec_lo, s4
; %bb.79:
	v_bfe_u32 v1, v65, 16, 1
	s_delay_alu instid0(VALU_DEP_1)
	v_add3_u32 v1, v65, v1, 0x7fff
; %bb.80:
	s_and_not1_saveexec_b32 s4, s4
; %bb.81:
	v_and_b32_e32 v1, 0xffff, v65
	v_or_b32_e32 v2, 0x10000, v65
	s_delay_alu instid0(VALU_DEP_2) | instskip(NEXT) | instid1(VALU_DEP_2)
	v_cmp_eq_u32_e32 vcc_lo, 0, v1
	v_cndmask_b32_e32 v1, v2, v65, vcc_lo
; %bb.82:
	s_or_b32 exec_lo, exec_lo, s4
	v_and_b32_e32 v2, 0x7f800000, v66
	s_delay_alu instid0(VALU_DEP_1) | instskip(SKIP_1) | instid1(SALU_CYCLE_1)
	v_cmp_ne_u32_e32 vcc_lo, 0x7f800000, v2
                                        ; implicit-def: $vgpr2
	s_and_saveexec_b32 s4, vcc_lo
	s_xor_b32 s4, exec_lo, s4
; %bb.83:
	v_bfe_u32 v2, v66, 16, 1
	s_delay_alu instid0(VALU_DEP_1)
	v_add3_u32 v2, v66, v2, 0x7fff
; %bb.84:
	s_and_not1_saveexec_b32 s4, s4
; %bb.85:
	v_and_b32_e32 v2, 0xffff, v66
	v_or_b32_e32 v3, 0x10000, v66
	s_delay_alu instid0(VALU_DEP_2) | instskip(NEXT) | instid1(VALU_DEP_2)
	v_cmp_eq_u32_e32 vcc_lo, 0, v2
	v_cndmask_b32_e32 v2, v3, v66, vcc_lo
; %bb.86:
	s_or_b32 exec_lo, exec_lo, s4
	v_and_b32_e32 v3, 0x7f800000, v67
	s_delay_alu instid0(VALU_DEP_1) | instskip(SKIP_1) | instid1(SALU_CYCLE_1)
	v_cmp_ne_u32_e32 vcc_lo, 0x7f800000, v3
                                        ; implicit-def: $vgpr3
	s_and_saveexec_b32 s4, vcc_lo
	s_xor_b32 s4, exec_lo, s4
; %bb.87:
	v_bfe_u32 v3, v67, 16, 1
	s_delay_alu instid0(VALU_DEP_1)
	v_add3_u32 v3, v67, v3, 0x7fff
; %bb.88:
	s_and_not1_saveexec_b32 s4, s4
; %bb.89:
	v_and_b32_e32 v3, 0xffff, v67
	v_or_b32_e32 v4, 0x10000, v67
	s_delay_alu instid0(VALU_DEP_2) | instskip(NEXT) | instid1(VALU_DEP_2)
	v_cmp_eq_u32_e32 vcc_lo, 0, v3
	v_cndmask_b32_e32 v3, v4, v67, vcc_lo
; %bb.90:
	s_or_b32 exec_lo, exec_lo, s4
	v_and_b32_e32 v4, 0x7f800000, v68
	s_delay_alu instid0(VALU_DEP_1) | instskip(SKIP_1) | instid1(SALU_CYCLE_1)
	v_cmp_ne_u32_e32 vcc_lo, 0x7f800000, v4
                                        ; implicit-def: $vgpr4
	s_and_saveexec_b32 s4, vcc_lo
	s_xor_b32 s4, exec_lo, s4
; %bb.91:
	v_bfe_u32 v4, v68, 16, 1
	s_delay_alu instid0(VALU_DEP_1)
	v_add3_u32 v4, v68, v4, 0x7fff
; %bb.92:
	s_and_not1_saveexec_b32 s4, s4
; %bb.93:
	v_and_b32_e32 v4, 0xffff, v68
	v_or_b32_e32 v5, 0x10000, v68
	s_delay_alu instid0(VALU_DEP_2) | instskip(NEXT) | instid1(VALU_DEP_2)
	v_cmp_eq_u32_e32 vcc_lo, 0, v4
	v_cndmask_b32_e32 v4, v5, v68, vcc_lo
; %bb.94:
	s_or_b32 exec_lo, exec_lo, s4
	v_and_b32_e32 v5, 0x7f800000, v69
	s_delay_alu instid0(VALU_DEP_1) | instskip(SKIP_1) | instid1(SALU_CYCLE_1)
	v_cmp_ne_u32_e32 vcc_lo, 0x7f800000, v5
                                        ; implicit-def: $vgpr5
	s_and_saveexec_b32 s4, vcc_lo
	s_xor_b32 s4, exec_lo, s4
; %bb.95:
	v_bfe_u32 v5, v69, 16, 1
	s_delay_alu instid0(VALU_DEP_1)
	v_add3_u32 v5, v69, v5, 0x7fff
; %bb.96:
	s_and_not1_saveexec_b32 s4, s4
; %bb.97:
	v_and_b32_e32 v5, 0xffff, v69
	v_or_b32_e32 v6, 0x10000, v69
	s_delay_alu instid0(VALU_DEP_2) | instskip(NEXT) | instid1(VALU_DEP_2)
	v_cmp_eq_u32_e32 vcc_lo, 0, v5
	v_cndmask_b32_e32 v5, v6, v69, vcc_lo
; %bb.98:
	s_or_b32 exec_lo, exec_lo, s4
	v_and_b32_e32 v6, 0x7f800000, v70
	s_delay_alu instid0(VALU_DEP_1) | instskip(SKIP_1) | instid1(SALU_CYCLE_1)
	v_cmp_ne_u32_e32 vcc_lo, 0x7f800000, v6
                                        ; implicit-def: $vgpr6
	s_and_saveexec_b32 s4, vcc_lo
	s_xor_b32 s4, exec_lo, s4
; %bb.99:
	v_bfe_u32 v6, v70, 16, 1
	s_delay_alu instid0(VALU_DEP_1)
	v_add3_u32 v6, v70, v6, 0x7fff
; %bb.100:
	s_and_not1_saveexec_b32 s4, s4
; %bb.101:
	v_and_b32_e32 v6, 0xffff, v70
	v_or_b32_e32 v7, 0x10000, v70
	s_delay_alu instid0(VALU_DEP_2) | instskip(NEXT) | instid1(VALU_DEP_2)
	v_cmp_eq_u32_e32 vcc_lo, 0, v6
	v_cndmask_b32_e32 v6, v7, v70, vcc_lo
; %bb.102:
	s_or_b32 exec_lo, exec_lo, s4
	v_and_b32_e32 v7, 0x7f800000, v71
	s_delay_alu instid0(VALU_DEP_1) | instskip(SKIP_1) | instid1(SALU_CYCLE_1)
	v_cmp_ne_u32_e32 vcc_lo, 0x7f800000, v7
                                        ; implicit-def: $vgpr7
	s_and_saveexec_b32 s4, vcc_lo
	s_xor_b32 s4, exec_lo, s4
; %bb.103:
	v_bfe_u32 v7, v71, 16, 1
	s_delay_alu instid0(VALU_DEP_1)
	v_add3_u32 v7, v71, v7, 0x7fff
; %bb.104:
	s_and_not1_saveexec_b32 s4, s4
; %bb.105:
	v_and_b32_e32 v7, 0xffff, v71
	v_or_b32_e32 v8, 0x10000, v71
	s_delay_alu instid0(VALU_DEP_2) | instskip(NEXT) | instid1(VALU_DEP_2)
	v_cmp_eq_u32_e32 vcc_lo, 0, v7
	v_cndmask_b32_e32 v7, v8, v71, vcc_lo
; %bb.106:
	s_or_b32 exec_lo, exec_lo, s4
	v_and_b32_e32 v8, 0x7f800000, v72
	s_delay_alu instid0(VALU_DEP_1) | instskip(SKIP_1) | instid1(SALU_CYCLE_1)
	v_cmp_ne_u32_e32 vcc_lo, 0x7f800000, v8
                                        ; implicit-def: $vgpr8
	s_and_saveexec_b32 s4, vcc_lo
	s_xor_b32 s4, exec_lo, s4
; %bb.107:
	v_bfe_u32 v8, v72, 16, 1
	s_delay_alu instid0(VALU_DEP_1)
	v_add3_u32 v8, v72, v8, 0x7fff
                                        ; implicit-def: $vgpr65_vgpr66_vgpr67_vgpr68_vgpr69_vgpr70_vgpr71_vgpr72
; %bb.108:
	s_and_not1_saveexec_b32 s4, s4
; %bb.109:
	v_and_b32_e32 v8, 0xffff, v72
	v_or_b32_e32 v9, 0x10000, v72
	s_delay_alu instid0(VALU_DEP_2) | instskip(NEXT) | instid1(VALU_DEP_2)
	v_cmp_eq_u32_e32 vcc_lo, 0, v8
	v_cndmask_b32_e32 v8, v9, v72, vcc_lo
; %bb.110:
	s_or_b32 exec_lo, exec_lo, s4
	s_delay_alu instid0(VALU_DEP_1)
	v_perm_b32 v7, v8, v7, 0x7060302
	v_perm_b32 v6, v6, v5, 0x7060302
	;; [unrolled: 1-line block ×4, first 2 shown]
	s_barrier
	buffer_gl0_inv
	v_cmp_eq_u32_e32 vcc_lo, 1, v78
	ds_store_b128 v76, v[4:7]
	s_waitcnt lgkmcnt(0)
	s_barrier
	buffer_gl0_inv
	ds_load_b128 v[1:4], v82
	ds_load_b128 v[5:8], v82 offset:16
	v_cmp_eq_u32_e64 s4, 1, v79
	v_cmp_eq_u32_e64 s5, 2, v78
	;; [unrolled: 1-line block ×5, first 2 shown]
	s_waitcnt lgkmcnt(1)
	v_lshrrev_b32_e32 v9, 16, v1
	s_waitcnt lgkmcnt(0)
	v_lshrrev_b32_e32 v13, 16, v5
	v_lshrrev_b32_e32 v10, 16, v2
	;; [unrolled: 1-line block ×4, first 2 shown]
	v_cndmask_b32_e64 v19, v1, v9, s4
	v_cndmask_b32_e32 v18, v5, v13, vcc_lo
	v_cndmask_b32_e64 v20, v5, v13, s4
	v_cndmask_b32_e32 v17, v1, v9, vcc_lo
	v_cmp_eq_u32_e32 vcc_lo, 2, v79
	v_lshrrev_b32_e32 v15, 16, v7
	v_cmp_eq_u32_e64 s4, 1, v77
	v_lshrrev_b32_e32 v12, 16, v4
	v_lshrrev_b32_e32 v16, 16, v8
	v_cndmask_b32_e32 v20, v20, v6, vcc_lo
	v_cndmask_b32_e64 v17, v17, v2, s5
	v_cndmask_b32_e32 v19, v19, v2, vcc_lo
	v_cndmask_b32_e64 v18, v18, v6, s5
	v_cmp_eq_u32_e32 vcc_lo, 4, v78
	v_cmp_eq_u32_e64 s5, 3, v79
	v_cndmask_b32_e64 v17, v17, v10, s6
	v_cndmask_b32_e64 v21, v1, v9, s4
	;; [unrolled: 1-line block ×5, first 2 shown]
	v_cndmask_b32_e32 v17, v17, v3, vcc_lo
	v_cndmask_b32_e64 v20, v20, v14, s5
	v_cndmask_b32_e32 v18, v18, v7, vcc_lo
	v_cmp_eq_u32_e32 vcc_lo, 4, v79
	v_cmp_eq_u32_e64 s5, 5, v79
	v_cmp_eq_u32_e64 s4, 2, v81
	v_cndmask_b32_e64 v21, v21, v2, s8
	v_cmp_eq_u32_e64 s6, 5, v78
	v_cndmask_b32_e32 v19, v19, v3, vcc_lo
	v_cndmask_b32_e32 v20, v20, v7, vcc_lo
	v_cmp_eq_u32_e32 vcc_lo, 6, v79
	s_delay_alu instid0(VALU_DEP_4) | instskip(NEXT) | instid1(VALU_DEP_4)
	v_cndmask_b32_e64 v17, v17, v11, s6
	v_cndmask_b32_e64 v19, v19, v11, s5
	s_delay_alu instid0(VALU_DEP_4) | instskip(SKIP_1) | instid1(VALU_DEP_3)
	v_cndmask_b32_e64 v20, v20, v15, s5
	v_cmp_eq_u32_e64 s5, 1, v81
	v_cndmask_b32_e32 v19, v19, v4, vcc_lo
	v_cndmask_b32_e64 v18, v18, v15, s6
	s_delay_alu instid0(VALU_DEP_3)
	v_cndmask_b32_e64 v1, v1, v9, s5
	v_cndmask_b32_e64 v5, v5, v13, s5
	v_cmp_eq_u32_e64 s5, 3, v77
	v_cndmask_b32_e64 v13, v22, v6, s8
	v_cmp_eq_u32_e64 s8, 3, v81
	v_cndmask_b32_e64 v1, v1, v2, s4
	v_cndmask_b32_e64 v2, v5, v6, s4
	;; [unrolled: 1-line block ×3, first 2 shown]
	v_cmp_eq_u32_e64 s4, 4, v77
	v_cndmask_b32_e64 v6, v13, v14, s5
	v_cndmask_b32_e64 v1, v1, v10, s8
	v_cmp_eq_u32_e64 s5, 4, v81
	v_cndmask_b32_e64 v2, v2, v14, s8
	v_cndmask_b32_e64 v5, v9, v3, s4
	;; [unrolled: 3-line block ×3, first 2 shown]
	v_cndmask_b32_e64 v2, v2, v7, s5
	v_cmp_eq_u32_e64 s4, 5, v81
	v_cmp_eq_u32_e64 s6, 6, v78
	v_cndmask_b32_e64 v5, v5, v11, s8
	v_cmp_eq_u32_e64 s5, 6, v77
	v_cndmask_b32_e64 v3, v6, v15, s8
	v_cndmask_b32_e64 v1, v1, v11, s4
	v_cmp_eq_u32_e64 s8, 6, v81
	v_cndmask_b32_e64 v2, v2, v15, s4
	v_cndmask_b32_e64 v17, v17, v4, s6
	v_cndmask_b32_e64 v18, v18, v8, s6
	v_cmp_eq_u32_e64 s6, 7, v78
	v_cndmask_b32_e64 v5, v5, v4, s5
	;; [unrolled: 4-line block ×3, first 2 shown]
	v_cmp_eq_u32_e64 s5, 7, v77
	v_cndmask_b32_e32 v4, v20, v8, vcc_lo
	v_cndmask_b32_e64 v17, v17, v12, s6
	v_cndmask_b32_e64 v19, v19, v12, s7
	;; [unrolled: 1-line block ×8, first 2 shown]
	v_cmp_gt_u32_e32 vcc_lo, 32, v0
	v_perm_b32 v4, v2, v1, 0x5040100
	v_perm_b32 v3, v3, v5, 0x5040100
	;; [unrolled: 1-line block ×4, first 2 shown]
	s_and_b32 s2, vcc_lo, s2
	ds_store_b128 v76, v[1:4]
	s_waitcnt lgkmcnt(0)
	s_barrier
	buffer_gl0_inv
	s_and_saveexec_b32 s4, s2
	s_cbranch_execz .LBB1684_2
; %bb.111:
	s_load_b64 s[4:5], s[0:1], 0x68
	v_lshlrev_b32_e32 v0, 10, v0
	v_add_nc_u32_e32 v2, s31, v74
	v_lshlrev_b32_e32 v3, 4, v75
	s_lshl_b32 s0, s36, 6
	s_delay_alu instid0(SALU_CYCLE_1) | instskip(NEXT) | instid1(VALU_DEP_2)
	s_mul_i32 s1, s0, s34
	v_mul_lo_u32 v1, v2, s0
	s_delay_alu instid0(VALU_DEP_2)
	v_and_or_b32 v0, 0x3800, v0, v3
	v_add_nc_u32_e32 v3, 2, v2
	s_mul_i32 s6, s1, s9
	v_add_nc_u32_e32 v4, 4, v2
	s_ashr_i32 s7, s6, 31
	v_lshl_or_b32 v11, v74, 6, v0
	s_lshl_b64 s[6:7], s[6:7], 1
	v_mul_lo_u32 v15, v3, s0
	v_mul_lo_u32 v17, v4, s0
	v_ashrrev_i32_e32 v2, 31, v1
	ds_load_b128 v[3:6], v11
	ds_load_b128 v[7:10], v11 offset:128
	ds_load_b128 v[11:14], v11 offset:256
	s_waitcnt lgkmcnt(0)
	s_add_u32 s1, s4, s6
	s_addc_u32 s2, s5, s7
	s_lshl_b32 s4, s14, 6
	v_ashrrev_i32_e32 v16, 31, v15
	s_ashr_i32 s5, s4, 31
	v_lshlrev_b64 v[19:20], 1, v[1:2]
	s_lshl_b64 s[4:5], s[4:5], 1
	v_ashrrev_i32_e32 v18, 31, v17
	s_add_u32 s1, s1, s4
	s_addc_u32 s2, s2, s5
	v_add_co_u32 v1, s1, s1, v73
	s_delay_alu instid0(VALU_DEP_1) | instskip(SKIP_1) | instid1(VALU_DEP_3)
	v_add_co_ci_u32_e64 v2, null, s2, 0, s1
	v_lshlrev_b64 v[15:16], 1, v[15:16]
	v_add_co_u32 v19, vcc_lo, v1, v19
	v_lshlrev_b64 v[17:18], 1, v[17:18]
	s_delay_alu instid0(VALU_DEP_4) | instskip(NEXT) | instid1(VALU_DEP_4)
	v_add_co_ci_u32_e32 v20, vcc_lo, v2, v20, vcc_lo
	v_add_co_u32 v15, vcc_lo, v1, v15
	v_add_co_ci_u32_e32 v16, vcc_lo, v2, v16, vcc_lo
	s_delay_alu instid0(VALU_DEP_4)
	v_add_co_u32 v17, vcc_lo, v1, v17
	v_add_co_ci_u32_e32 v18, vcc_lo, v2, v18, vcc_lo
	s_clause 0x2
	global_store_b128 v[19:20], v[3:6], off
	global_store_b128 v[15:16], v[7:10], off
	;; [unrolled: 1-line block ×3, first 2 shown]
	s_and_b32 exec_lo, exec_lo, s3
	s_cbranch_execz .LBB1684_2
; %bb.112:
	ds_load_b128 v[3:6], v0 offset:384
	s_add_i32 s1, s31, 6
	s_delay_alu instid0(SALU_CYCLE_1) | instskip(NEXT) | instid1(SALU_CYCLE_1)
	s_mul_i32 s0, s1, s0
	s_ashr_i32 s1, s0, 31
	s_delay_alu instid0(SALU_CYCLE_1) | instskip(NEXT) | instid1(SALU_CYCLE_1)
	s_lshl_b64 s[0:1], s[0:1], 1
	v_add_co_u32 v0, vcc_lo, v1, s0
	v_add_co_ci_u32_e32 v1, vcc_lo, s1, v2, vcc_lo
	s_waitcnt lgkmcnt(0)
	global_store_b128 v[0:1], v[3:6], off
	s_nop 0
	s_sendmsg sendmsg(MSG_DEALLOC_VGPRS)
	s_endpgm
	.section	.rodata,"a",@progbits
	.p2align	6, 0x0
	.amdhsa_kernel _Z39paged_attention_ll4mi_QKV_mfma16_kernelI14__hip_bfloat16hLN4vllm18Fp8KVCacheDataTypeE1EhLi16ELi64ELi256ELb0ELi7EL8MFMAType0EEvPKT_PKT0_S9_ifPKiSB_SB_iPKfiiiPfSE_PS4_PT2_iSD_SD_
		.amdhsa_group_segment_fixed_size 17472
		.amdhsa_private_segment_fixed_size 0
		.amdhsa_kernarg_size 400
		.amdhsa_user_sgpr_count 13
		.amdhsa_user_sgpr_dispatch_ptr 0
		.amdhsa_user_sgpr_queue_ptr 0
		.amdhsa_user_sgpr_kernarg_segment_ptr 1
		.amdhsa_user_sgpr_dispatch_id 0
		.amdhsa_user_sgpr_private_segment_size 0
		.amdhsa_wavefront_size32 1
		.amdhsa_uses_dynamic_stack 0
		.amdhsa_enable_private_segment 0
		.amdhsa_system_sgpr_workgroup_id_x 1
		.amdhsa_system_sgpr_workgroup_id_y 1
		.amdhsa_system_sgpr_workgroup_id_z 1
		.amdhsa_system_sgpr_workgroup_info 0
		.amdhsa_system_vgpr_workitem_id 0
		.amdhsa_next_free_vgpr 124
		.amdhsa_next_free_sgpr 40
		.amdhsa_reserve_vcc 1
		.amdhsa_float_round_mode_32 0
		.amdhsa_float_round_mode_16_64 0
		.amdhsa_float_denorm_mode_32 3
		.amdhsa_float_denorm_mode_16_64 3
		.amdhsa_dx10_clamp 1
		.amdhsa_ieee_mode 1
		.amdhsa_fp16_overflow 0
		.amdhsa_workgroup_processor_mode 1
		.amdhsa_memory_ordered 1
		.amdhsa_forward_progress 0
		.amdhsa_shared_vgpr_count 0
		.amdhsa_exception_fp_ieee_invalid_op 0
		.amdhsa_exception_fp_denorm_src 0
		.amdhsa_exception_fp_ieee_div_zero 0
		.amdhsa_exception_fp_ieee_overflow 0
		.amdhsa_exception_fp_ieee_underflow 0
		.amdhsa_exception_fp_ieee_inexact 0
		.amdhsa_exception_int_div_zero 0
	.end_amdhsa_kernel
	.section	.text._Z39paged_attention_ll4mi_QKV_mfma16_kernelI14__hip_bfloat16hLN4vllm18Fp8KVCacheDataTypeE1EhLi16ELi64ELi256ELb0ELi7EL8MFMAType0EEvPKT_PKT0_S9_ifPKiSB_SB_iPKfiiiPfSE_PS4_PT2_iSD_SD_,"axG",@progbits,_Z39paged_attention_ll4mi_QKV_mfma16_kernelI14__hip_bfloat16hLN4vllm18Fp8KVCacheDataTypeE1EhLi16ELi64ELi256ELb0ELi7EL8MFMAType0EEvPKT_PKT0_S9_ifPKiSB_SB_iPKfiiiPfSE_PS4_PT2_iSD_SD_,comdat
.Lfunc_end1684:
	.size	_Z39paged_attention_ll4mi_QKV_mfma16_kernelI14__hip_bfloat16hLN4vllm18Fp8KVCacheDataTypeE1EhLi16ELi64ELi256ELb0ELi7EL8MFMAType0EEvPKT_PKT0_S9_ifPKiSB_SB_iPKfiiiPfSE_PS4_PT2_iSD_SD_, .Lfunc_end1684-_Z39paged_attention_ll4mi_QKV_mfma16_kernelI14__hip_bfloat16hLN4vllm18Fp8KVCacheDataTypeE1EhLi16ELi64ELi256ELb0ELi7EL8MFMAType0EEvPKT_PKT0_S9_ifPKiSB_SB_iPKfiiiPfSE_PS4_PT2_iSD_SD_
                                        ; -- End function
	.section	.AMDGPU.csdata,"",@progbits
; Kernel info:
; codeLenInByte = 8804
; NumSgprs: 42
; NumVgprs: 124
; ScratchSize: 0
; MemoryBound: 0
; FloatMode: 240
; IeeeMode: 1
; LDSByteSize: 17472 bytes/workgroup (compile time only)
; SGPRBlocks: 5
; VGPRBlocks: 15
; NumSGPRsForWavesPerEU: 42
; NumVGPRsForWavesPerEU: 124
; Occupancy: 10
; WaveLimiterHint : 1
; COMPUTE_PGM_RSRC2:SCRATCH_EN: 0
; COMPUTE_PGM_RSRC2:USER_SGPR: 13
; COMPUTE_PGM_RSRC2:TRAP_HANDLER: 0
; COMPUTE_PGM_RSRC2:TGID_X_EN: 1
; COMPUTE_PGM_RSRC2:TGID_Y_EN: 1
; COMPUTE_PGM_RSRC2:TGID_Z_EN: 1
; COMPUTE_PGM_RSRC2:TIDIG_COMP_CNT: 0
	.section	.text._Z39paged_attention_ll4mi_QKV_mfma16_kernelI14__hip_bfloat16hLN4vllm18Fp8KVCacheDataTypeE1EhLi16ELi64ELi256ELb0ELi8EL8MFMAType0EEvPKT_PKT0_S9_ifPKiSB_SB_iPKfiiiPfSE_PS4_PT2_iSD_SD_,"axG",@progbits,_Z39paged_attention_ll4mi_QKV_mfma16_kernelI14__hip_bfloat16hLN4vllm18Fp8KVCacheDataTypeE1EhLi16ELi64ELi256ELb0ELi8EL8MFMAType0EEvPKT_PKT0_S9_ifPKiSB_SB_iPKfiiiPfSE_PS4_PT2_iSD_SD_,comdat
	.protected	_Z39paged_attention_ll4mi_QKV_mfma16_kernelI14__hip_bfloat16hLN4vllm18Fp8KVCacheDataTypeE1EhLi16ELi64ELi256ELb0ELi8EL8MFMAType0EEvPKT_PKT0_S9_ifPKiSB_SB_iPKfiiiPfSE_PS4_PT2_iSD_SD_ ; -- Begin function _Z39paged_attention_ll4mi_QKV_mfma16_kernelI14__hip_bfloat16hLN4vllm18Fp8KVCacheDataTypeE1EhLi16ELi64ELi256ELb0ELi8EL8MFMAType0EEvPKT_PKT0_S9_ifPKiSB_SB_iPKfiiiPfSE_PS4_PT2_iSD_SD_
	.globl	_Z39paged_attention_ll4mi_QKV_mfma16_kernelI14__hip_bfloat16hLN4vllm18Fp8KVCacheDataTypeE1EhLi16ELi64ELi256ELb0ELi8EL8MFMAType0EEvPKT_PKT0_S9_ifPKiSB_SB_iPKfiiiPfSE_PS4_PT2_iSD_SD_
	.p2align	8
	.type	_Z39paged_attention_ll4mi_QKV_mfma16_kernelI14__hip_bfloat16hLN4vllm18Fp8KVCacheDataTypeE1EhLi16ELi64ELi256ELb0ELi8EL8MFMAType0EEvPKT_PKT0_S9_ifPKiSB_SB_iPKfiiiPfSE_PS4_PT2_iSD_SD_,@function
_Z39paged_attention_ll4mi_QKV_mfma16_kernelI14__hip_bfloat16hLN4vllm18Fp8KVCacheDataTypeE1EhLi16ELi64ELi256ELb0ELi8EL8MFMAType0EEvPKT_PKT0_S9_ifPKiSB_SB_iPKfiiiPfSE_PS4_PT2_iSD_SD_: ; @_Z39paged_attention_ll4mi_QKV_mfma16_kernelI14__hip_bfloat16hLN4vllm18Fp8KVCacheDataTypeE1EhLi16ELi64ELi256ELb0ELi8EL8MFMAType0EEvPKT_PKT0_S9_ifPKiSB_SB_iPKfiiiPfSE_PS4_PT2_iSD_SD_
; %bb.0:
	s_load_b64 s[2:3], s[0:1], 0x30
	s_mov_b32 s30, s13
	s_waitcnt lgkmcnt(0)
	s_cmp_lg_u64 s[2:3], 0
	s_cselect_b32 s8, -1, 0
	s_ashr_i32 s31, s13, 31
	s_cmp_eq_u64 s[2:3], 0
	s_cbranch_scc1 .LBB1685_3
; %bb.1:
	s_lshl_b64 s[4:5], s[30:31], 2
	s_delay_alu instid0(SALU_CYCLE_1) | instskip(SKIP_4) | instid1(SALU_CYCLE_1)
	s_add_u32 s4, s2, s4
	s_addc_u32 s5, s3, s5
	s_load_b64 s[4:5], s[4:5], 0x0
	s_waitcnt lgkmcnt(0)
	s_sub_i32 s4, s5, s4
	s_cmp_eq_u32 s4, 1
	s_cselect_b32 s4, -1, 0
	s_delay_alu instid0(SALU_CYCLE_1)
	s_and_not1_b32 vcc_lo, exec_lo, s4
	s_cbranch_vccz .LBB1685_4
.LBB1685_2:
	s_endpgm
.LBB1685_3:
.LBB1685_4:
	s_load_b64 s[4:5], s[0:1], 0x28
	s_lshl_b64 s[6:7], s[30:31], 2
	s_waitcnt lgkmcnt(0)
	s_add_u32 s4, s4, s6
	s_addc_u32 s5, s5, s7
	s_lshl_b32 s12, s14, 8
	s_load_b32 s24, s[4:5], 0x0
	s_waitcnt lgkmcnt(0)
	s_cmp_ge_i32 s12, s24
	s_cbranch_scc1 .LBB1685_2
; %bb.5:
	s_clause 0x1
	s_load_b128 s[20:23], s[0:1], 0x8
	s_load_b64 s[4:5], s[0:1], 0x20
	s_and_not1_b32 vcc_lo, exec_lo, s8
	s_cbranch_vccnz .LBB1685_7
; %bb.6:
	s_add_u32 s2, s2, s6
	s_addc_u32 s3, s3, s7
	s_load_b32 s3, s[2:3], 0x0
	s_branch .LBB1685_8
.LBB1685_7:
	s_mov_b32 s3, s30
.LBB1685_8:
	s_load_b128 s[16:19], s[0:1], 0x48
	v_and_b32_e32 v66, 15, v0
	v_cmp_gt_u32_e32 vcc_lo, 0x80, v0
	v_lshrrev_b32_e32 v65, 5, v0
	v_and_b32_e32 v67, 31, v0
	v_and_b32_e32 v74, 1, v0
	v_lshlrev_b32_e32 v1, 3, v66
	v_cmp_gt_u32_e64 s2, 8, v66
	v_bfe_u32 v75, v0, 4, 1
	s_lshl_b32 s31, s15, 3
	s_delay_alu instid0(VALU_DEP_3) | instskip(NEXT) | instid1(VALU_DEP_3)
	v_lshlrev_b32_e32 v73, 1, v1
	s_and_b32 s7, vcc_lo, s2
	s_delay_alu instid0(SALU_CYCLE_1)
	s_and_saveexec_b32 s6, s7
	s_cbranch_execz .LBB1685_10
; %bb.9:
	v_lshl_or_b32 v5, v65, 1, v75
	s_load_b64 s[8:9], s[0:1], 0x0
	s_waitcnt lgkmcnt(0)
	s_mul_hi_i32 s11, s3, s16
	s_mul_i32 s10, s3, s16
	v_lshlrev_b32_e32 v6, 10, v66
	v_or_b32_e32 v1, s31, v5
	s_lshl_b64 s[10:11], s[10:11], 1
	v_lshlrev_b32_e32 v5, 6, v5
	v_lshlrev_b32_e32 v7, 10, v74
	v_and_b32_e32 v6, 0x3800, v6
	v_lshlrev_b32_e32 v1, 6, v1
	s_delay_alu instid0(VALU_DEP_2) | instskip(NEXT) | instid1(VALU_DEP_2)
	v_or3_b32 v5, v6, v7, v5
	v_ashrrev_i32_e32 v2, 31, v1
	s_delay_alu instid0(VALU_DEP_1) | instskip(SKIP_2) | instid1(VALU_DEP_1)
	v_lshlrev_b64 v[1:2], 1, v[1:2]
	s_add_u32 s3, s8, s10
	s_addc_u32 s7, s9, s11
	v_add_co_u32 v1, vcc_lo, s3, v1
	s_delay_alu instid0(VALU_DEP_2) | instskip(NEXT) | instid1(VALU_DEP_2)
	v_add_co_ci_u32_e32 v2, vcc_lo, s7, v2, vcc_lo
	v_add_co_u32 v1, vcc_lo, v1, v73
	s_delay_alu instid0(VALU_DEP_2)
	v_add_co_ci_u32_e32 v2, vcc_lo, 0, v2, vcc_lo
	global_load_b128 v[1:4], v[1:2], off
	s_waitcnt vmcnt(0)
	ds_store_b128 v5, v[1:4]
.LBB1685_10:
	s_or_b32 exec_lo, exec_lo, s6
	v_and_b32_e32 v1, 0xef, v0
	s_waitcnt lgkmcnt(0)
	s_add_i32 s3, s24, 15
	s_clause 0x1
	s_load_b32 s6, s[0:1], 0x38
	s_load_b32 s19, s[0:1], 0x1c
	s_ashr_i32 s7, s3, 31
	v_add_nc_u32_e32 v1, s12, v1
	s_lshr_b32 s7, s7, 28
	s_waitcnt lgkmcnt(0)
	s_add_i32 s3, s3, s7
	s_barrier
	v_ashrrev_i32_e32 v2, 31, v1
	v_or_b32_e32 v3, 16, v1
	s_ashr_i32 s3, s3, 4
	v_cmp_gt_i32_e32 vcc_lo, s24, v1
	s_add_i32 s3, s3, -1
	v_lshrrev_b32_e32 v2, 28, v2
	buffer_gl0_inv
	s_mul_i32 s27, s15, s18
	v_add_nc_u32_e32 v4, v1, v2
	s_mul_i32 s6, s30, s6
	s_delay_alu instid0(SALU_CYCLE_1) | instskip(NEXT) | instid1(VALU_DEP_1)
	s_ashr_i32 s7, s6, 31
	v_ashrrev_i32_e32 v4, 4, v4
	v_add_nc_u32_e32 v2, v3, v2
	s_lshl_b64 s[6:7], s[6:7], 2
	s_delay_alu instid0(SALU_CYCLE_1) | instskip(NEXT) | instid1(VALU_DEP_2)
	s_add_u32 s26, s4, s6
	v_cndmask_b32_e32 v1, s3, v4, vcc_lo
	s_delay_alu instid0(VALU_DEP_2)
	v_ashrrev_i32_e32 v2, 4, v2
	v_cmp_gt_i32_e32 vcc_lo, s24, v3
	s_addc_u32 s25, s5, s7
	s_ashr_i32 s28, s27, 31
	s_add_u32 s13, s20, s27
	s_addc_u32 s15, s21, s28
	v_cndmask_b32_e32 v3, s3, v2, vcc_lo
	v_ashrrev_i32_e32 v2, 31, v1
	s_lshl_b32 s4, s14, 4
	s_delay_alu instid0(SALU_CYCLE_1) | instskip(NEXT) | instid1(VALU_DEP_2)
	s_ashr_i32 s5, s4, 31
	v_ashrrev_i32_e32 v4, 31, v3
	s_delay_alu instid0(VALU_DEP_2) | instskip(SKIP_1) | instid1(SALU_CYCLE_1)
	v_lshlrev_b64 v[1:2], 2, v[1:2]
	s_lshl_b64 s[4:5], s[4:5], 2
	s_add_u32 s4, s26, s4
	s_delay_alu instid0(VALU_DEP_2) | instskip(SKIP_1) | instid1(VALU_DEP_2)
	v_lshlrev_b64 v[3:4], 2, v[3:4]
	s_addc_u32 s5, s25, s5
	v_add_co_u32 v1, vcc_lo, s26, v1
	v_add_co_ci_u32_e32 v2, vcc_lo, s25, v2, vcc_lo
	s_delay_alu instid0(VALU_DEP_3) | instskip(NEXT) | instid1(VALU_DEP_4)
	v_add_co_u32 v3, vcc_lo, s26, v3
	v_add_co_ci_u32_e32 v4, vcc_lo, s25, v4, vcc_lo
	s_clause 0x1
	global_load_b32 v5, v[1:2], off
	global_load_b32 v7, v[3:4], off
	s_or_b32 s6, s12, 32
	v_lshlrev_b32_e32 v1, 4, v0
	s_ashr_i32 s7, s6, 4
	s_cmp_lt_i32 s6, s24
	s_cselect_b32 s6, s7, s3
	s_delay_alu instid0(VALU_DEP_1) | instskip(SKIP_1) | instid1(SALU_CYCLE_1)
	v_and_b32_e32 v1, 0xf0, v1
	s_ashr_i32 s7, s6, 31
	s_lshl_b64 s[6:7], s[6:7], 2
	s_delay_alu instid0(SALU_CYCLE_1)
	s_add_u32 s6, s26, s6
	s_addc_u32 s7, s25, s7
	s_or_b32 s8, s12, 64
	v_add_co_u32 v1, s13, s13, v1
	s_ashr_i32 s9, s8, 4
	s_cmp_lt_i32 s8, s24
	v_add_co_ci_u32_e64 v2, null, s15, 0, s13
	s_cselect_b32 s8, s9, s3
	s_delay_alu instid0(SALU_CYCLE_1) | instskip(NEXT) | instid1(SALU_CYCLE_1)
	s_ashr_i32 s9, s8, 31
	s_lshl_b64 s[8:9], s[8:9], 2
	s_delay_alu instid0(SALU_CYCLE_1) | instskip(SKIP_2) | instid1(SALU_CYCLE_1)
	s_add_u32 s8, s26, s8
	s_addc_u32 s9, s25, s9
	s_or_b32 s10, s12, 0x60
	s_ashr_i32 s11, s10, 4
	s_cmp_lt_i32 s10, s24
	s_cselect_b32 s10, s11, s3
	s_delay_alu instid0(SALU_CYCLE_1) | instskip(NEXT) | instid1(SALU_CYCLE_1)
	s_ashr_i32 s11, s10, 31
	s_lshl_b64 s[10:11], s[10:11], 2
	s_delay_alu instid0(SALU_CYCLE_1) | instskip(SKIP_2) | instid1(SALU_CYCLE_1)
	s_add_u32 s10, s26, s10
	s_addc_u32 s11, s25, s11
	s_or_b32 s16, s12, 0x80
	s_ashr_i32 s18, s16, 4
	s_cmp_lt_i32 s16, s24
	;; [unrolled: 10-line block ×3, first 2 shown]
	s_cselect_b32 s20, s18, s3
	s_delay_alu instid0(SALU_CYCLE_1) | instskip(NEXT) | instid1(SALU_CYCLE_1)
	s_ashr_i32 s21, s20, 31
	s_lshl_b64 s[20:21], s[20:21], 2
	s_delay_alu instid0(SALU_CYCLE_1)
	s_add_u32 s36, s26, s20
	s_addc_u32 s37, s25, s21
	s_clause 0x5
	s_load_b32 s21, s[4:5], 0x0
	s_load_b32 s13, s[6:7], 0x0
	;; [unrolled: 1-line block ×6, first 2 shown]
	s_or_b32 s7, s12, 0xc0
	s_mov_b32 s4, 0
	s_ashr_i32 s8, s7, 4
	s_cmp_lt_i32 s7, s24
	s_mov_b32 s5, s4
	s_cselect_b32 s10, s8, s3
	s_mov_b32 s6, s4
	s_ashr_i32 s11, s10, 31
	s_mov_b32 s7, s4
	s_lshl_b64 s[34:35], s[10:11], 2
	s_mov_b32 s11, s4
	s_add_u32 s34, s26, s34
	s_addc_u32 s35, s25, s35
	s_or_b32 s29, s12, 0xe0
	s_mov_b32 s8, s4
	s_ashr_i32 s33, s29, 4
	s_mov_b32 s9, s4
	s_mov_b32 s10, s4
	s_cmp_lt_i32 s29, s24
	v_dual_mov_b32 v107, s11 :: v_dual_mov_b32 v100, s4
	v_mov_b32_e32 v106, s10
	v_dual_mov_b32 v104, s8 :: v_dual_mov_b32 v103, s7
	v_dual_mov_b32 v102, s6 :: v_dual_mov_b32 v101, s5
	v_mov_b32_e32 v105, s9
	s_cselect_b32 s4, s33, s3
	s_delay_alu instid0(SALU_CYCLE_1) | instskip(NEXT) | instid1(SALU_CYCLE_1)
	s_ashr_i32 s5, s4, 31
	s_lshl_b64 s[4:5], s[4:5], 2
	s_delay_alu instid0(SALU_CYCLE_1)
	s_add_u32 s4, s26, s4
	s_addc_u32 s5, s25, s5
	s_add_u32 s6, s22, s27
	s_addc_u32 s7, s23, s28
	s_waitcnt vmcnt(1)
	v_mad_i64_i32 v[3:4], null, v5, s17, v[1:2]
	s_waitcnt vmcnt(0)
	v_mad_i64_i32 v[5:6], null, v7, s17, v[1:2]
	s_clause 0x7
	global_load_b128 v[49:52], v[3:4], off
	global_load_b128 v[53:56], v[3:4], off offset:256
	global_load_b128 v[76:79], v[5:6], off
	global_load_b128 v[80:83], v[5:6], off offset:256
	global_load_b128 v[84:87], v[3:4], off offset:512
	;; [unrolled: 1-line block ×5, first 2 shown]
	v_and_b32_e32 v1, 7, v0
	v_lshlrev_b32_e32 v2, 4, v66
	s_load_b32 s3, s[34:35], 0x0
	s_delay_alu instid0(VALU_DEP_2) | instskip(NEXT) | instid1(VALU_DEP_2)
	v_lshlrev_b32_e32 v70, 6, v1
	v_lshl_or_b32 v1, v65, 8, v2
	ds_load_b128 v[108:111], v70
	ds_load_b128 v[112:115], v70 offset:1024
	s_load_b32 s4, s[4:5], 0x0
	v_add_co_u32 v9, s6, s6, v1
	s_delay_alu instid0(VALU_DEP_1) | instskip(SKIP_1) | instid1(VALU_DEP_1)
	v_add_co_ci_u32_e64 v10, null, s7, 0, s6
	s_waitcnt lgkmcnt(0)
	v_mad_i64_i32 v[1:2], null, s21, s17, v[9:10]
	v_mad_i64_i32 v[3:4], null, s13, s17, v[9:10]
	;; [unrolled: 1-line block ×7, first 2 shown]
	s_clause 0x9
	global_load_b128 v[57:60], v[1:2], off
	global_load_b128 v[61:64], v[1:2], off offset:16
	global_load_b128 v[41:44], v[3:4], off
	global_load_b128 v[45:48], v[3:4], off offset:16
	;; [unrolled: 2-line block ×5, first 2 shown]
	v_mad_i64_i32 v[68:69], null, s4, s17, v[9:10]
	s_clause 0x3
	global_load_b128 v[9:12], v[13:14], off
	global_load_b128 v[13:16], v[13:14], off offset:16
	global_load_b128 v[17:20], v[21:22], off
	global_load_b128 v[21:24], v[21:22], off offset:16
	s_waitcnt vmcnt(20)
	v_wmma_f32_16x16x16_bf16 v[116:123], v[49:56], v[108:115], v[100:107]
	s_clause 0x1
	global_load_b128 v[49:52], v[68:69], off
	global_load_b128 v[53:56], v[68:69], off offset:16
	v_and_b32_e32 v68, 0xe0, v0
	v_mbcnt_lo_u32_b32 v69, -1, 0
	s_delay_alu instid0(VALU_DEP_2)
	v_add_nc_u32_e32 v68, s12, v68
	s_waitcnt vmcnt(20)
	v_wmma_f32_16x16x16_bf16 v[100:107], v[76:83], v[108:115], v[100:107]
	ds_load_b128 v[76:79], v70 offset:2048
	ds_load_b128 v[80:83], v70 offset:3072
	v_xor_b32_e32 v70, 16, v69
	s_waitcnt vmcnt(0) lgkmcnt(0)
	v_or_b32_e32 v68, v68, v75
	s_barrier
	buffer_gl0_inv
	v_cmp_gt_i32_e32 vcc_lo, 32, v70
	v_or_b32_e32 v71, 4, v68
	v_or_b32_e32 v72, 6, v68
	v_cmp_gt_i32_e64 s3, s24, v68
	v_or_b32_e32 v108, 8, v68
	v_or_b32_e32 v109, 10, v68
	v_cmp_gt_i32_e64 s4, s24, v71
	v_cmp_gt_i32_e64 s5, s24, v72
	s_delay_alu instid0(VALU_DEP_4) | instskip(NEXT) | instid1(VALU_DEP_4)
	v_cmp_gt_i32_e64 s6, s24, v108
	v_cmp_gt_i32_e64 s7, s24, v109
	v_wmma_f32_16x16x16_bf16 v[116:123], v[84:91], v[76:83], v[116:123]
	v_cndmask_b32_e32 v69, v69, v70, vcc_lo
	v_or_b32_e32 v70, 2, v68
	v_wmma_f32_16x16x16_bf16 v[100:107], v[92:99], v[76:83], v[100:107]
	v_or_b32_e32 v89, 22, v68
	v_dual_mul_f32 v80, s19, v121 :: v_dual_mul_f32 v81, s19, v120
	v_dual_mul_f32 v92, s19, v117 :: v_dual_mul_f32 v93, s19, v116
	s_delay_alu instid0(VALU_DEP_4)
	v_mul_f32_e32 v96, s19, v105
	v_cmp_gt_i32_e32 vcc_lo, s24, v70
	v_dual_mul_f32 v79, s19, v122 :: v_dual_mul_f32 v82, s19, v119
	v_dual_mul_f32 v83, s19, v118 :: v_dual_mul_f32 v94, s19, v107
	v_cndmask_b32_e64 v93, 0xff7fffff, v93, s3
	v_cndmask_b32_e32 v92, 0xff7fffff, v92, vcc_lo
	v_or_b32_e32 v84, 12, v68
	v_or_b32_e32 v85, 14, v68
	v_cndmask_b32_e64 v71, 0xff7fffff, v83, s4
	v_cndmask_b32_e64 v72, 0xff7fffff, v82, s5
	v_cmp_gt_i32_e64 s13, s24, v89
	v_lshlrev_b32_e32 v89, 2, v69
	v_max3_f32 v82, v93, 0xff7fffff, v92
	v_or_b32_e32 v86, 16, v68
	v_or_b32_e32 v87, 18, v68
	v_mul_f32_e32 v78, s19, v123
	v_cndmask_b32_e64 v81, 0xff7fffff, v81, s6
	v_cndmask_b32_e64 v80, 0xff7fffff, v80, s7
	v_max3_f32 v71, v82, v71, v72
	v_cmp_gt_i32_e64 s8, s24, v84
	v_cmp_gt_i32_e64 s9, s24, v85
	v_or_b32_e32 v88, 20, v68
	v_or_b32_e32 v90, 24, v68
	;; [unrolled: 1-line block ×5, first 2 shown]
	v_dual_mul_f32 v97, s19, v104 :: v_dual_mul_f32 v70, s19, v101
	v_dual_mul_f32 v99, s19, v102 :: v_dual_mul_f32 v68, s19, v100
	v_cndmask_b32_e64 v72, 0xff7fffff, v79, s8
	v_cndmask_b32_e64 v78, 0xff7fffff, v78, s9
	v_max3_f32 v71, v71, v81, v80
	v_cmp_gt_i32_e64 s10, s24, v86
	v_cmp_gt_i32_e64 s11, s24, v87
	v_dual_mul_f32 v95, s19, v106 :: v_dual_mul_f32 v98, s19, v103
	s_delay_alu instid0(VALU_DEP_4) | instskip(NEXT) | instid1(VALU_DEP_4)
	v_max3_f32 v71, v71, v72, v78
	v_cndmask_b32_e64 v68, 0xff7fffff, v68, s10
	s_delay_alu instid0(VALU_DEP_4)
	v_cndmask_b32_e64 v70, 0xff7fffff, v70, s11
	v_cmp_gt_i32_e64 s12, s24, v88
	v_cndmask_b32_e64 v78, 0xff7fffff, v98, s13
	v_cmp_gt_i32_e64 s15, s24, v90
	v_cmp_gt_i32_e64 s16, s24, v91
	v_max3_f32 v68, v71, v68, v70
	v_cndmask_b32_e64 v72, 0xff7fffff, v99, s12
	v_cmp_gt_i32_e64 s17, s24, v76
	v_cndmask_b32_e64 v70, 0xff7fffff, v97, s15
	v_cndmask_b32_e64 v71, 0xff7fffff, v96, s16
	v_cmp_gt_i32_e64 s18, s24, v77
	v_max3_f32 v68, v68, v72, v78
	v_cndmask_b32_e64 v72, 0xff7fffff, v95, s17
	s_delay_alu instid0(VALU_DEP_3) | instskip(NEXT) | instid1(VALU_DEP_3)
	v_cndmask_b32_e64 v76, 0xff7fffff, v94, s18
	v_max3_f32 v68, v68, v70, v71
	s_delay_alu instid0(VALU_DEP_1) | instskip(SKIP_3) | instid1(VALU_DEP_1)
	v_max3_f32 v68, v68, v72, v76
	ds_bpermute_b32 v69, v89, v68
	s_waitcnt lgkmcnt(0)
	v_max_f32_e32 v69, v69, v69
	v_max_f32_e32 v68, v68, v69
	s_delay_alu instid0(VALU_DEP_1) | instskip(NEXT) | instid1(VALU_DEP_1)
	v_fma_f32 v71, s19, v118, -v68
	v_mul_f32_e32 v71, 0x3fb8aa3b, v71
	v_fma_f32 v70, s19, v117, -v68
	v_fma_f32 v69, s19, v116, -v68
	;; [unrolled: 1-line block ×5, first 2 shown]
	s_delay_alu instid0(VALU_DEP_4) | instskip(SKIP_1) | instid1(VALU_DEP_3)
	v_dual_mul_f32 v70, 0x3fb8aa3b, v70 :: v_dual_mul_f32 v69, 0x3fb8aa3b, v69
	v_exp_f32_e32 v71, v71
	v_mul_f32_e32 v72, 0x3fb8aa3b, v72
	v_fma_f32 v81, s19, v105, -v68
	s_delay_alu instid0(VALU_DEP_3)
	v_exp_f32_e32 v70, v70
	v_mul_f32_e32 v77, 0x3fb8aa3b, v76
	v_exp_f32_e32 v69, v69
	v_exp_f32_e32 v72, v72
	v_mul_f32_e32 v81, 0x3fb8aa3b, v81
	v_cndmask_b32_e64 v83, 0, v71, s4
	v_fma_f32 v71, s19, v123, -v68
	s_delay_alu instid0(VALU_DEP_3) | instskip(SKIP_4) | instid1(TRANS32_DEP_3)
	v_exp_f32_e32 v81, v81
	v_cndmask_b32_e32 v76, 0, v70, vcc_lo
	v_exp_f32_e32 v77, v77
	v_cndmask_b32_e64 v80, 0, v69, s3
	v_fma_f32 v69, s19, v121, -v68
	v_cndmask_b32_e64 v85, 0, v72, s5
	v_mul_f32_e32 v71, 0x3fb8aa3b, v71
	v_fma_f32 v72, s19, v100, -v68
	s_delay_alu instid0(VALU_DEP_4) | instskip(SKIP_1) | instid1(VALU_DEP_3)
	v_dual_add_f32 v70, 0, v80 :: v_dual_mul_f32 v69, 0x3fb8aa3b, v69
	s_mov_b32 s3, exec_lo
	v_exp_f32_e32 v71, v71
	s_delay_alu instid0(TRANS32_DEP_2) | instskip(SKIP_4) | instid1(VALU_DEP_3)
	v_cndmask_b32_e64 v86, 0, v77, s6
	v_fma_f32 v77, s19, v101, -v68
	v_mul_f32_e32 v78, 0x3fb8aa3b, v78
	v_add_f32_e32 v70, v70, v76
	v_exp_f32_e32 v69, v69
	v_mul_f32_e32 v77, 0x3fb8aa3b, v77
	s_delay_alu instid0(VALU_DEP_3) | instskip(NEXT) | instid1(TRANS32_DEP_3)
	v_exp_f32_e32 v78, v78
	v_cndmask_b32_e64 v88, 0, v71, s9
	v_fma_f32 v71, s19, v104, -v68
	s_delay_alu instid0(VALU_DEP_3) | instskip(NEXT) | instid1(TRANS32_DEP_3)
	v_exp_f32_e32 v77, v77
	v_cndmask_b32_e64 v87, 0, v69, s7
	s_delay_alu instid0(VALU_DEP_2)
	v_mul_f32_e32 v71, 0x3fb8aa3b, v71
	s_waitcnt_depctr 0xfff
	v_cndmask_b32_e64 v84, 0, v78, s8
	v_add_f32_e32 v70, v70, v83
	v_fma_f32 v78, s19, v103, -v68
	v_exp_f32_e32 v82, v71
	s_delay_alu instid0(VALU_DEP_2) | instskip(SKIP_1) | instid1(VALU_DEP_3)
	v_add_f32_e32 v70, v70, v85
	v_mul_f32_e32 v72, 0x3fb8aa3b, v72
	v_mul_f32_e32 v78, 0x3fb8aa3b, v78
	s_delay_alu instid0(VALU_DEP_3) | instskip(SKIP_1) | instid1(VALU_DEP_4)
	v_add_f32_e32 v69, v70, v86
	v_fma_f32 v70, s19, v102, -v68
	v_exp_f32_e32 v72, v72
	s_delay_alu instid0(VALU_DEP_3) | instskip(NEXT) | instid1(VALU_DEP_1)
	v_exp_f32_e32 v78, v78
	v_dual_add_f32 v69, v69, v87 :: v_dual_mul_f32 v70, 0x3fb8aa3b, v70
	s_delay_alu instid0(VALU_DEP_1) | instskip(NEXT) | instid1(VALU_DEP_2)
	v_add_f32_e32 v69, v69, v84
	v_exp_f32_e32 v79, v70
	s_delay_alu instid0(TRANS32_DEP_3) | instskip(NEXT) | instid1(VALU_DEP_2)
	v_cndmask_b32_e64 v70, 0, v72, s10
	v_add_f32_e32 v72, v69, v88
	v_cndmask_b32_e64 v69, 0, v77, s11
	v_fma_f32 v77, s19, v106, -v68
	s_waitcnt_depctr 0xfff
	v_cndmask_b32_e64 v71, 0, v79, s12
	v_dual_mul_f32 v77, 0x3fb8aa3b, v77 :: v_dual_add_f32 v72, v72, v70
	s_delay_alu instid0(VALU_DEP_1) | instskip(NEXT) | instid1(VALU_DEP_1)
	v_exp_f32_e32 v90, v77
	v_add_f32_e32 v79, v72, v69
	v_cndmask_b32_e64 v72, 0, v78, s13
	v_cndmask_b32_e64 v77, 0, v82, s15
	s_delay_alu instid0(VALU_DEP_3) | instskip(SKIP_1) | instid1(VALU_DEP_1)
	v_add_f32_e32 v78, v79, v71
	v_fma_f32 v79, s19, v107, -v68
	v_dual_add_f32 v82, v78, v72 :: v_dual_mul_f32 v79, 0x3fb8aa3b, v79
	v_cndmask_b32_e64 v78, 0, v81, s16
	s_delay_alu instid0(VALU_DEP_2) | instskip(NEXT) | instid1(VALU_DEP_3)
	v_add_f32_e32 v81, v82, v77
	v_exp_f32_e32 v82, v79
	v_cndmask_b32_e64 v79, 0, v90, s17
	s_delay_alu instid0(VALU_DEP_2) | instskip(NEXT) | instid1(VALU_DEP_1)
	v_add_f32_e32 v81, v81, v78
	v_add_f32_e32 v90, v81, v79
	s_waitcnt_depctr 0xfff
	v_cndmask_b32_e64 v81, 0, v82, s18
	s_delay_alu instid0(VALU_DEP_1)
	v_add_f32_e32 v82, v90, v81
	ds_bpermute_b32 v89, v89, v82
	v_cmpx_gt_u32_e32 16, v67
	s_cbranch_execz .LBB1685_12
; %bb.11:
	v_mul_u32_u24_e32 v67, 0x44, v65
	s_delay_alu instid0(VALU_DEP_1) | instskip(SKIP_1) | instid1(VALU_DEP_1)
	v_lshl_add_u32 v67, v66, 2, v67
	s_waitcnt lgkmcnt(0)
	v_dual_add_f32 v82, v82, v89 :: v_dual_add_nc_u32 v67, 0x4000, v67
	ds_store_2addr_b32 v67, v68, v82 offset1:136
.LBB1685_12:
	s_or_b32 exec_lo, exec_lo, s3
	v_lshlrev_b32_e32 v67, 2, v66
	s_waitcnt lgkmcnt(0)
	s_barrier
	buffer_gl0_inv
	v_cmp_eq_u32_e32 vcc_lo, 1, v65
	v_add_nc_u32_e32 v82, 0x4000, v67
	v_cmp_eq_u32_e64 s3, 2, v65
	v_cmp_eq_u32_e64 s5, 7, v65
	ds_load_2addr_b32 v[89:90], v82 offset1:17
	ds_load_2addr_b32 v[91:92], v82 offset0:34 offset1:51
	ds_load_2addr_b32 v[93:94], v82 offset0:68 offset1:85
	;; [unrolled: 1-line block ×4, first 2 shown]
	s_waitcnt lgkmcnt(4)
	v_max3_f32 v67, v89, 0xff7fffff, v90
	s_waitcnt lgkmcnt(3)
	s_delay_alu instid0(VALU_DEP_1) | instskip(SKIP_1) | instid1(VALU_DEP_1)
	v_max3_f32 v67, v67, v91, v92
	s_waitcnt lgkmcnt(2)
	v_max3_f32 v67, v67, v93, v94
	s_waitcnt lgkmcnt(1)
	s_delay_alu instid0(VALU_DEP_1) | instskip(NEXT) | instid1(VALU_DEP_1)
	v_max3_f32 v67, v67, v95, v96
	v_sub_f32_e32 v93, v93, v67
	s_delay_alu instid0(VALU_DEP_1) | instskip(NEXT) | instid1(VALU_DEP_1)
	v_dual_sub_f32 v68, v89, v67 :: v_dual_mul_f32 v103, 0x3fb8aa3b, v93
	v_mul_f32_e32 v68, 0x3fb8aa3b, v68
	s_delay_alu instid0(VALU_DEP_1)
	v_exp_f32_e32 v100, v68
	v_sub_f32_e32 v68, v92, v67
	v_sub_f32_e32 v99, v90, v67
	ds_load_2addr_b32 v[89:90], v82 offset0:170 offset1:187
	v_dual_mul_f32 v102, 0x3fb8aa3b, v68 :: v_dual_mul_f32 v99, 0x3fb8aa3b, v99
	s_waitcnt lgkmcnt(1)
	v_fma_f32 v68, v100, v97, 0
	s_delay_alu instid0(VALU_DEP_2) | instskip(NEXT) | instid1(VALU_DEP_2)
	v_exp_f32_e32 v102, v102
	v_exp_f32_e32 v99, v99
	s_waitcnt_depctr 0xfff
	v_fmac_f32_e32 v68, v99, v98
	v_sub_f32_e32 v91, v91, v67
	s_delay_alu instid0(VALU_DEP_1)
	v_mul_f32_e32 v101, 0x3fb8aa3b, v91
	ds_load_2addr_b32 v[91:92], v82 offset0:204 offset1:221
	v_sub_f32_e32 v97, v94, v67
	ds_load_2addr_b32 v[93:94], v82 offset0:238 offset1:255
	s_waitcnt lgkmcnt(0)
	v_exp_f32_e32 v101, v101
	s_barrier
	buffer_gl0_inv
	v_dual_fmac_f32 v68, v101, v89 :: v_dual_sub_f32 v89, v96, v67
	v_dual_sub_f32 v82, v95, v67 :: v_dual_mul_f32 v95, 0x3fb8aa3b, v97
	v_exp_f32_e32 v97, v103
	s_delay_alu instid0(VALU_DEP_2) | instskip(NEXT) | instid1(VALU_DEP_2)
	v_dual_fmac_f32 v68, v102, v90 :: v_dual_mul_f32 v89, 0x3fb8aa3b, v89
	v_mul_f32_e32 v82, 0x3fb8aa3b, v82
	s_delay_alu instid0(VALU_DEP_3) | instskip(NEXT) | instid1(VALU_DEP_2)
	v_exp_f32_e32 v95, v95
	v_exp_f32_e32 v89, v89
	s_delay_alu instid0(VALU_DEP_1)
	v_exp_f32_e32 v82, v82
	v_fmac_f32_e32 v68, v97, v91
	s_delay_alu instid0(TRANS32_DEP_3) | instid1(VALU_DEP_1)
	v_fmac_f32_e32 v68, v95, v92
	s_waitcnt_depctr 0xfff
	v_fmac_f32_e32 v68, v82, v93
	s_delay_alu instid0(VALU_DEP_1) | instskip(NEXT) | instid1(VALU_DEP_1)
	v_fmac_f32_e32 v68, v89, v94
	v_add_f32_e32 v90, 0x358637bd, v68
	s_delay_alu instid0(VALU_DEP_1) | instskip(NEXT) | instid1(VALU_DEP_1)
	v_div_scale_f32 v91, null, v90, v90, 1.0
	v_rcp_f32_e32 v92, v91
	s_waitcnt_depctr 0xfff
	v_fma_f32 v93, -v91, v92, 1.0
	s_delay_alu instid0(VALU_DEP_1) | instskip(SKIP_1) | instid1(VALU_DEP_2)
	v_dual_fmac_f32 v92, v93, v92 :: v_dual_cndmask_b32 v93, v100, v99
	v_cmp_eq_u32_e32 vcc_lo, 3, v65
	v_cndmask_b32_e64 v93, v93, v101, s3
	v_cmp_eq_u32_e64 s3, 4, v65
	s_delay_alu instid0(VALU_DEP_2) | instskip(SKIP_1) | instid1(VALU_DEP_2)
	v_cndmask_b32_e32 v93, v93, v102, vcc_lo
	v_cmp_eq_u32_e32 vcc_lo, 5, v65
	v_cndmask_b32_e64 v93, v93, v97, s3
	v_cmp_eq_u32_e64 s3, 6, v65
	s_delay_alu instid0(VALU_DEP_2) | instskip(SKIP_1) | instid1(VALU_DEP_1)
	v_cndmask_b32_e32 v93, v93, v95, vcc_lo
	v_div_scale_f32 v94, s4, 1.0, v90, 1.0
	s_mov_b32 vcc_lo, s4
	s_delay_alu instid0(VALU_DEP_2) | instskip(NEXT) | instid1(VALU_DEP_2)
	v_cndmask_b32_e64 v82, v93, v82, s3
	v_mul_f32_e32 v96, v94, v92
	s_mov_b32 s3, exec_lo
	s_delay_alu instid0(VALU_DEP_2) | instskip(NEXT) | instid1(VALU_DEP_2)
	v_cndmask_b32_e64 v82, v82, v89, s5
	v_fma_f32 v98, -v91, v96, v94
	s_delay_alu instid0(VALU_DEP_1) | instskip(NEXT) | instid1(VALU_DEP_1)
	v_fmac_f32_e32 v96, v98, v92
	v_fma_f32 v91, -v91, v96, v94
	s_delay_alu instid0(VALU_DEP_1) | instskip(NEXT) | instid1(VALU_DEP_1)
	v_div_fmas_f32 v91, v91, v92, v96
	v_div_fixup_f32 v90, v91, v90, 1.0
	s_delay_alu instid0(VALU_DEP_1) | instskip(NEXT) | instid1(VALU_DEP_1)
	v_mul_f32_e32 v82, v82, v90
	v_mul_f32_e32 v87, v82, v87
	;; [unrolled: 1-line block ×7, first 2 shown]
	v_dual_mul_f32 v86, v82, v83 :: v_dual_and_b32 v91, 0x7f800000, v90
	v_mul_f32_e32 v85, v82, v76
                                        ; implicit-def: $vgpr76
	s_delay_alu instid0(VALU_DEP_2)
	v_cmpx_ne_u32_e32 0x7f800000, v91
	s_xor_b32 s3, exec_lo, s3
; %bb.13:
	v_bfe_u32 v76, v90, 16, 1
	s_delay_alu instid0(VALU_DEP_1)
	v_add3_u32 v76, v90, v76, 0x7fff
                                        ; implicit-def: $vgpr90
; %bb.14:
	s_and_not1_saveexec_b32 s3, s3
; %bb.15:
	v_and_b32_e32 v76, 0xffff, v90
	v_or_b32_e32 v83, 0x10000, v90
	s_delay_alu instid0(VALU_DEP_2) | instskip(NEXT) | instid1(VALU_DEP_2)
	v_cmp_eq_u32_e32 vcc_lo, 0, v76
	v_cndmask_b32_e32 v76, v83, v90, vcc_lo
; %bb.16:
	s_or_b32 exec_lo, exec_lo, s3
	v_and_b32_e32 v83, 0x7f800000, v85
	s_delay_alu instid0(VALU_DEP_1) | instskip(SKIP_1) | instid1(SALU_CYCLE_1)
	v_cmp_ne_u32_e32 vcc_lo, 0x7f800000, v83
                                        ; implicit-def: $vgpr83
	s_and_saveexec_b32 s3, vcc_lo
	s_xor_b32 s3, exec_lo, s3
; %bb.17:
	v_bfe_u32 v83, v85, 16, 1
	s_delay_alu instid0(VALU_DEP_1)
	v_add3_u32 v83, v85, v83, 0x7fff
                                        ; implicit-def: $vgpr85
; %bb.18:
	s_and_not1_saveexec_b32 s3, s3
; %bb.19:
	v_and_b32_e32 v83, 0xffff, v85
	v_or_b32_e32 v90, 0x10000, v85
	s_delay_alu instid0(VALU_DEP_2) | instskip(NEXT) | instid1(VALU_DEP_2)
	v_cmp_eq_u32_e32 vcc_lo, 0, v83
	v_cndmask_b32_e32 v83, v90, v85, vcc_lo
; %bb.20:
	s_or_b32 exec_lo, exec_lo, s3
	v_and_b32_e32 v85, 0x7f800000, v86
	s_delay_alu instid0(VALU_DEP_1) | instskip(SKIP_1) | instid1(SALU_CYCLE_1)
	v_cmp_ne_u32_e32 vcc_lo, 0x7f800000, v85
                                        ; implicit-def: $vgpr85
	s_and_saveexec_b32 s3, vcc_lo
	s_xor_b32 s3, exec_lo, s3
; %bb.21:
	v_bfe_u32 v85, v86, 16, 1
	s_delay_alu instid0(VALU_DEP_1)
	v_add3_u32 v85, v86, v85, 0x7fff
                                        ; implicit-def: $vgpr86
; %bb.22:
	s_and_not1_saveexec_b32 s3, s3
; %bb.23:
	v_and_b32_e32 v85, 0xffff, v86
	v_or_b32_e32 v90, 0x10000, v86
	s_delay_alu instid0(VALU_DEP_2) | instskip(NEXT) | instid1(VALU_DEP_2)
	v_cmp_eq_u32_e32 vcc_lo, 0, v85
	v_cndmask_b32_e32 v85, v90, v86, vcc_lo
; %bb.24:
	s_or_b32 exec_lo, exec_lo, s3
	v_and_b32_e32 v86, 0x7f800000, v89
	s_delay_alu instid0(VALU_DEP_1) | instskip(SKIP_1) | instid1(SALU_CYCLE_1)
	v_cmp_ne_u32_e32 vcc_lo, 0x7f800000, v86
                                        ; implicit-def: $vgpr86
	s_and_saveexec_b32 s3, vcc_lo
	s_xor_b32 s3, exec_lo, s3
; %bb.25:
	v_bfe_u32 v86, v89, 16, 1
	s_delay_alu instid0(VALU_DEP_1)
	v_add3_u32 v86, v89, v86, 0x7fff
                                        ; implicit-def: $vgpr89
; %bb.26:
	s_and_not1_saveexec_b32 s3, s3
; %bb.27:
	v_and_b32_e32 v86, 0xffff, v89
	v_or_b32_e32 v90, 0x10000, v89
	s_delay_alu instid0(VALU_DEP_2) | instskip(NEXT) | instid1(VALU_DEP_2)
	v_cmp_eq_u32_e32 vcc_lo, 0, v86
	v_cndmask_b32_e32 v86, v90, v89, vcc_lo
; %bb.28:
	s_or_b32 exec_lo, exec_lo, s3
	v_and_b32_e32 v89, 0x7f800000, v88
	s_delay_alu instid0(VALU_DEP_1) | instskip(SKIP_1) | instid1(SALU_CYCLE_1)
	v_cmp_ne_u32_e32 vcc_lo, 0x7f800000, v89
                                        ; implicit-def: $vgpr89
	s_and_saveexec_b32 s3, vcc_lo
	s_xor_b32 s3, exec_lo, s3
; %bb.29:
	v_bfe_u32 v89, v88, 16, 1
	s_delay_alu instid0(VALU_DEP_1)
	v_add3_u32 v89, v88, v89, 0x7fff
                                        ; implicit-def: $vgpr88
; %bb.30:
	s_and_not1_saveexec_b32 s3, s3
; %bb.31:
	v_and_b32_e32 v89, 0xffff, v88
	v_or_b32_e32 v90, 0x10000, v88
	s_delay_alu instid0(VALU_DEP_2) | instskip(NEXT) | instid1(VALU_DEP_2)
	v_cmp_eq_u32_e32 vcc_lo, 0, v89
	v_cndmask_b32_e32 v89, v90, v88, vcc_lo
; %bb.32:
	s_or_b32 exec_lo, exec_lo, s3
	v_and_b32_e32 v88, 0x7f800000, v87
	s_delay_alu instid0(VALU_DEP_1) | instskip(SKIP_1) | instid1(SALU_CYCLE_1)
	v_cmp_ne_u32_e32 vcc_lo, 0x7f800000, v88
                                        ; implicit-def: $vgpr88
	s_and_saveexec_b32 s3, vcc_lo
	s_xor_b32 s3, exec_lo, s3
; %bb.33:
	v_bfe_u32 v88, v87, 16, 1
	s_delay_alu instid0(VALU_DEP_1)
	v_add3_u32 v88, v87, v88, 0x7fff
                                        ; implicit-def: $vgpr87
; %bb.34:
	s_and_not1_saveexec_b32 s3, s3
; %bb.35:
	v_and_b32_e32 v88, 0xffff, v87
	v_or_b32_e32 v90, 0x10000, v87
	s_delay_alu instid0(VALU_DEP_2) | instskip(NEXT) | instid1(VALU_DEP_2)
	v_cmp_eq_u32_e32 vcc_lo, 0, v88
	v_cndmask_b32_e32 v88, v90, v87, vcc_lo
; %bb.36:
	s_or_b32 exec_lo, exec_lo, s3
	v_and_b32_e32 v87, 0x7f800000, v84
	s_delay_alu instid0(VALU_DEP_1) | instskip(SKIP_1) | instid1(SALU_CYCLE_1)
	v_cmp_ne_u32_e32 vcc_lo, 0x7f800000, v87
                                        ; implicit-def: $vgpr87
	s_and_saveexec_b32 s3, vcc_lo
	s_xor_b32 s3, exec_lo, s3
; %bb.37:
	v_bfe_u32 v87, v84, 16, 1
	s_delay_alu instid0(VALU_DEP_1)
	v_add3_u32 v87, v84, v87, 0x7fff
                                        ; implicit-def: $vgpr84
; %bb.38:
	s_and_not1_saveexec_b32 s3, s3
; %bb.39:
	v_and_b32_e32 v87, 0xffff, v84
	v_or_b32_e32 v90, 0x10000, v84
	s_delay_alu instid0(VALU_DEP_2) | instskip(NEXT) | instid1(VALU_DEP_2)
	v_cmp_eq_u32_e32 vcc_lo, 0, v87
	v_cndmask_b32_e32 v87, v90, v84, vcc_lo
; %bb.40:
	s_or_b32 exec_lo, exec_lo, s3
	v_and_b32_e32 v84, 0x7f800000, v80
	s_delay_alu instid0(VALU_DEP_1) | instskip(SKIP_1) | instid1(SALU_CYCLE_1)
	v_cmp_ne_u32_e32 vcc_lo, 0x7f800000, v84
                                        ; implicit-def: $vgpr84
	s_and_saveexec_b32 s3, vcc_lo
	s_xor_b32 s3, exec_lo, s3
; %bb.41:
	v_bfe_u32 v84, v80, 16, 1
	s_delay_alu instid0(VALU_DEP_1)
	v_add3_u32 v84, v80, v84, 0x7fff
                                        ; implicit-def: $vgpr80
; %bb.42:
	s_and_not1_saveexec_b32 s3, s3
; %bb.43:
	v_and_b32_e32 v84, 0xffff, v80
	v_or_b32_e32 v90, 0x10000, v80
	s_delay_alu instid0(VALU_DEP_2) | instskip(NEXT) | instid1(VALU_DEP_2)
	v_cmp_eq_u32_e32 vcc_lo, 0, v84
	v_cndmask_b32_e32 v84, v90, v80, vcc_lo
; %bb.44:
	s_or_b32 exec_lo, exec_lo, s3
	s_load_b64 s[34:35], s[0:1], 0x94
	v_lshlrev_b32_e32 v91, 4, v75
	s_delay_alu instid0(VALU_DEP_2)
	v_perm_b32 v90, v84, v87, 0x7060302
	v_dual_mul_f32 v77, v82, v77 :: v_dual_lshlrev_b32 v80, 6, v66
	v_lshlrev_b32_e32 v66, 11, v65
	v_perm_b32 v87, v83, v76, 0x7060302
	v_mul_f32_e32 v83, v82, v70
	v_perm_b32 v89, v88, v89, 0x7060302
	v_perm_b32 v88, v86, v85, 0x7060302
	v_or3_b32 v76, v91, v66, v80
	v_mul_f32_e32 v66, v82, v81
	v_mul_f32_e32 v70, v82, v79
	v_mul_f32_e32 v78, v82, v78
	v_dual_mul_f32 v81, v82, v72 :: v_dual_and_b32 v84, 0x7f800000, v83
	v_mul_f32_e32 v79, v82, v71
	v_mul_f32_e32 v72, v82, v69
	s_mov_b32 s3, exec_lo
	ds_store_b128 v76, v[87:90]
                                        ; implicit-def: $vgpr69
	v_cmpx_ne_u32_e32 0x7f800000, v84
	s_xor_b32 s3, exec_lo, s3
; %bb.45:
	v_bfe_u32 v69, v83, 16, 1
	s_delay_alu instid0(VALU_DEP_1)
	v_add3_u32 v69, v83, v69, 0x7fff
                                        ; implicit-def: $vgpr83
; %bb.46:
	s_and_not1_saveexec_b32 s3, s3
; %bb.47:
	v_and_b32_e32 v69, 0xffff, v83
	v_or_b32_e32 v71, 0x10000, v83
	s_delay_alu instid0(VALU_DEP_2) | instskip(NEXT) | instid1(VALU_DEP_2)
	v_cmp_eq_u32_e32 vcc_lo, 0, v69
	v_cndmask_b32_e32 v69, v71, v83, vcc_lo
; %bb.48:
	s_or_b32 exec_lo, exec_lo, s3
	v_and_b32_e32 v71, 0x7f800000, v72
	s_delay_alu instid0(VALU_DEP_1) | instskip(SKIP_1) | instid1(SALU_CYCLE_1)
	v_cmp_ne_u32_e32 vcc_lo, 0x7f800000, v71
                                        ; implicit-def: $vgpr71
	s_and_saveexec_b32 s3, vcc_lo
	s_xor_b32 s3, exec_lo, s3
; %bb.49:
	v_bfe_u32 v71, v72, 16, 1
	s_delay_alu instid0(VALU_DEP_1)
	v_add3_u32 v71, v72, v71, 0x7fff
                                        ; implicit-def: $vgpr72
; %bb.50:
	s_and_not1_saveexec_b32 s3, s3
; %bb.51:
	v_and_b32_e32 v71, 0xffff, v72
	v_or_b32_e32 v82, 0x10000, v72
	s_delay_alu instid0(VALU_DEP_2) | instskip(NEXT) | instid1(VALU_DEP_2)
	v_cmp_eq_u32_e32 vcc_lo, 0, v71
	v_cndmask_b32_e32 v71, v82, v72, vcc_lo
; %bb.52:
	s_or_b32 exec_lo, exec_lo, s3
	v_and_b32_e32 v72, 0x7f800000, v79
	s_delay_alu instid0(VALU_DEP_1) | instskip(SKIP_1) | instid1(SALU_CYCLE_1)
	v_cmp_ne_u32_e32 vcc_lo, 0x7f800000, v72
                                        ; implicit-def: $vgpr72
	s_and_saveexec_b32 s3, vcc_lo
	s_xor_b32 s3, exec_lo, s3
; %bb.53:
	v_bfe_u32 v72, v79, 16, 1
	s_delay_alu instid0(VALU_DEP_1)
	v_add3_u32 v72, v79, v72, 0x7fff
                                        ; implicit-def: $vgpr79
; %bb.54:
	s_and_not1_saveexec_b32 s3, s3
; %bb.55:
	v_and_b32_e32 v72, 0xffff, v79
	v_or_b32_e32 v82, 0x10000, v79
	s_delay_alu instid0(VALU_DEP_2) | instskip(NEXT) | instid1(VALU_DEP_2)
	v_cmp_eq_u32_e32 vcc_lo, 0, v72
	v_cndmask_b32_e32 v72, v82, v79, vcc_lo
; %bb.56:
	s_or_b32 exec_lo, exec_lo, s3
	v_and_b32_e32 v79, 0x7f800000, v81
	s_delay_alu instid0(VALU_DEP_1) | instskip(SKIP_1) | instid1(SALU_CYCLE_1)
	v_cmp_ne_u32_e32 vcc_lo, 0x7f800000, v79
                                        ; implicit-def: $vgpr79
	s_and_saveexec_b32 s3, vcc_lo
	s_xor_b32 s3, exec_lo, s3
; %bb.57:
	v_bfe_u32 v79, v81, 16, 1
	s_delay_alu instid0(VALU_DEP_1)
	v_add3_u32 v79, v81, v79, 0x7fff
                                        ; implicit-def: $vgpr81
; %bb.58:
	s_and_not1_saveexec_b32 s3, s3
; %bb.59:
	v_and_b32_e32 v79, 0xffff, v81
	v_or_b32_e32 v82, 0x10000, v81
	s_delay_alu instid0(VALU_DEP_2) | instskip(NEXT) | instid1(VALU_DEP_2)
	v_cmp_eq_u32_e32 vcc_lo, 0, v79
	v_cndmask_b32_e32 v79, v82, v81, vcc_lo
; %bb.60:
	s_or_b32 exec_lo, exec_lo, s3
	v_and_b32_e32 v81, 0x7f800000, v77
	s_delay_alu instid0(VALU_DEP_1) | instskip(SKIP_1) | instid1(SALU_CYCLE_1)
	v_cmp_ne_u32_e32 vcc_lo, 0x7f800000, v81
                                        ; implicit-def: $vgpr81
	s_and_saveexec_b32 s3, vcc_lo
	s_xor_b32 s3, exec_lo, s3
; %bb.61:
	v_bfe_u32 v81, v77, 16, 1
	s_delay_alu instid0(VALU_DEP_1)
	v_add3_u32 v81, v77, v81, 0x7fff
                                        ; implicit-def: $vgpr77
; %bb.62:
	s_and_not1_saveexec_b32 s3, s3
; %bb.63:
	v_and_b32_e32 v81, 0xffff, v77
	v_or_b32_e32 v82, 0x10000, v77
	s_delay_alu instid0(VALU_DEP_2) | instskip(NEXT) | instid1(VALU_DEP_2)
	v_cmp_eq_u32_e32 vcc_lo, 0, v81
	v_cndmask_b32_e32 v81, v82, v77, vcc_lo
; %bb.64:
	s_or_b32 exec_lo, exec_lo, s3
	v_and_b32_e32 v77, 0x7f800000, v78
	s_delay_alu instid0(VALU_DEP_1) | instskip(SKIP_1) | instid1(SALU_CYCLE_1)
	v_cmp_ne_u32_e32 vcc_lo, 0x7f800000, v77
                                        ; implicit-def: $vgpr77
	s_and_saveexec_b32 s3, vcc_lo
	s_xor_b32 s3, exec_lo, s3
; %bb.65:
	v_bfe_u32 v77, v78, 16, 1
	s_delay_alu instid0(VALU_DEP_1)
	v_add3_u32 v77, v78, v77, 0x7fff
                                        ; implicit-def: $vgpr78
; %bb.66:
	s_and_not1_saveexec_b32 s3, s3
; %bb.67:
	v_and_b32_e32 v77, 0xffff, v78
	v_or_b32_e32 v82, 0x10000, v78
	s_delay_alu instid0(VALU_DEP_2) | instskip(NEXT) | instid1(VALU_DEP_2)
	v_cmp_eq_u32_e32 vcc_lo, 0, v77
	v_cndmask_b32_e32 v77, v82, v78, vcc_lo
; %bb.68:
	s_or_b32 exec_lo, exec_lo, s3
	v_and_b32_e32 v78, 0x7f800000, v70
	s_delay_alu instid0(VALU_DEP_1) | instskip(SKIP_1) | instid1(SALU_CYCLE_1)
	v_cmp_ne_u32_e32 vcc_lo, 0x7f800000, v78
                                        ; implicit-def: $vgpr78
	s_and_saveexec_b32 s3, vcc_lo
	s_xor_b32 s3, exec_lo, s3
; %bb.69:
	v_bfe_u32 v78, v70, 16, 1
	s_delay_alu instid0(VALU_DEP_1)
	v_add3_u32 v78, v70, v78, 0x7fff
                                        ; implicit-def: $vgpr70
; %bb.70:
	s_and_not1_saveexec_b32 s3, s3
; %bb.71:
	v_and_b32_e32 v78, 0xffff, v70
	v_or_b32_e32 v82, 0x10000, v70
	s_delay_alu instid0(VALU_DEP_2) | instskip(NEXT) | instid1(VALU_DEP_2)
	v_cmp_eq_u32_e32 vcc_lo, 0, v78
	v_cndmask_b32_e32 v78, v82, v70, vcc_lo
; %bb.72:
	s_or_b32 exec_lo, exec_lo, s3
	v_and_b32_e32 v70, 0x7f800000, v66
	s_delay_alu instid0(VALU_DEP_1) | instskip(SKIP_1) | instid1(SALU_CYCLE_1)
	v_cmp_ne_u32_e32 vcc_lo, 0x7f800000, v70
                                        ; implicit-def: $vgpr70
	s_and_saveexec_b32 s3, vcc_lo
	s_xor_b32 s3, exec_lo, s3
; %bb.73:
	v_bfe_u32 v70, v66, 16, 1
	s_delay_alu instid0(VALU_DEP_1)
	v_add3_u32 v70, v66, v70, 0x7fff
                                        ; implicit-def: $vgpr66
; %bb.74:
	s_and_not1_saveexec_b32 s3, s3
; %bb.75:
	v_and_b32_e32 v70, 0xffff, v66
	v_or_b32_e32 v82, 0x10000, v66
	s_delay_alu instid0(VALU_DEP_2) | instskip(NEXT) | instid1(VALU_DEP_2)
	v_cmp_eq_u32_e32 vcc_lo, 0, v70
	v_cndmask_b32_e32 v70, v82, v66, vcc_lo
; %bb.76:
	s_or_b32 exec_lo, exec_lo, s3
	s_delay_alu instid0(VALU_DEP_1)
	v_perm_b32 v86, v70, v78, 0x7060302
	v_perm_b32 v85, v77, v81, 0x7060302
	;; [unrolled: 1-line block ×4, first 2 shown]
	v_lshl_or_b32 v82, v65, 11, v80
	ds_store_b128 v76, v[83:86] offset:1024
	s_waitcnt lgkmcnt(0)
	s_barrier
	buffer_gl0_inv
	ds_load_b128 v[69:72], v82
	ds_load_b128 v[83:86], v82 offset:16
	s_waitcnt lgkmcnt(1)
	v_lshrrev_b32_e32 v65, 16, v69
	v_lshlrev_b32_e32 v78, 2, v75
	s_waitcnt lgkmcnt(0)
	v_lshrrev_b32_e32 v91, 16, v83
	v_lshrrev_b32_e32 v66, 16, v70
	;; [unrolled: 1-line block ×4, first 2 shown]
	v_cmp_eq_u32_e32 vcc_lo, 1, v78
	v_lshrrev_b32_e32 v98, 16, v85
	v_lshrrev_b32_e32 v96, 16, v72
	;; [unrolled: 1-line block ×3, first 2 shown]
	v_cndmask_b32_e32 v81, v69, v65, vcc_lo
	v_or_b32_e32 v79, 1, v78
	v_cmp_eq_u32_e64 s4, 2, v78
	v_cndmask_b32_e32 v87, v83, v91, vcc_lo
	v_cmp_eq_u32_e64 s7, 3, v78
	v_cmp_eq_u32_e64 s9, 4, v78
	;; [unrolled: 1-line block ×3, first 2 shown]
	v_cndmask_b32_e64 v81, v81, v70, s4
	v_cmp_eq_u32_e64 s6, 2, v79
	v_cndmask_b32_e64 v87, v87, v84, s4
	v_cmp_eq_u32_e64 s8, 3, v79
	v_cndmask_b32_e64 v88, v69, v65, s3
	v_cndmask_b32_e64 v81, v81, v66, s7
	v_or_b32_e32 v77, 2, v78
	v_cndmask_b32_e64 v87, v87, v97, s7
	v_cndmask_b32_e64 v89, v83, v91, s3
	;; [unrolled: 1-line block ×4, first 2 shown]
	v_cmp_eq_u32_e64 s10, 5, v78
	v_cndmask_b32_e64 v87, v87, v85, s9
	v_cmp_eq_u32_e64 s11, 4, v79
	v_cndmask_b32_e64 v88, v88, v66, s8
	;; [unrolled: 2-line block ×3, first 2 shown]
	v_cndmask_b32_e64 v81, v81, v95, s10
	v_cmp_eq_u32_e64 s12, 6, v78
	v_cndmask_b32_e64 v88, v88, v71, s11
	v_cndmask_b32_e64 v87, v87, v98, s10
	v_cmp_eq_u32_e64 s13, 5, v79
	v_cndmask_b32_e64 v90, v69, v65, s5
	v_cndmask_b32_e64 v89, v89, v97, s8
	;; [unrolled: 1-line block ×3, first 2 shown]
	v_cmp_eq_u32_e64 s15, 7, v78
	v_cndmask_b32_e64 v88, v88, v95, s13
	v_cndmask_b32_e64 v87, v87, v86, s12
	v_cmp_eq_u32_e64 s16, 6, v79
	v_cmp_eq_u32_e64 s17, 2, v77
	v_cndmask_b32_e64 v89, v89, v85, s11
	v_cndmask_b32_e64 v100, v81, v96, s15
	;; [unrolled: 1-line block ×6, first 2 shown]
	v_cmp_eq_u32_e64 s18, 7, v79
	v_cmp_eq_u32_e64 s19, 3, v77
	v_cmp_eq_u32_e64 s20, 4, v77
	v_cmp_eq_u32_e64 s22, 5, v77
	v_cndmask_b32_e64 v87, v87, v84, s17
	v_cndmask_b32_e64 v102, v88, v96, s18
	;; [unrolled: 1-line block ×4, first 2 shown]
	v_or_b32_e32 v81, 3, v78
	v_cndmask_b32_e64 v93, v87, v97, s19
	v_cmp_eq_u32_e64 s24, 6, v77
	v_cndmask_b32_e64 v103, v88, v86, s16
	v_cndmask_b32_e64 v92, v89, v71, s20
	v_cmp_eq_u32_e64 s21, 1, v81
	ds_load_b128 v[87:90], v82 offset:1024
	v_cmp_eq_u32_e64 s23, 2, v81
	v_cmp_eq_u32_e64 s25, 3, v81
	v_cndmask_b32_e64 v104, v92, v95, s22
	v_cndmask_b32_e64 v65, v69, v65, s21
	v_cndmask_b32_e64 v69, v93, v85, s20
	v_cndmask_b32_e64 v83, v83, v91, s21
	ds_load_b128 v[91:94], v82 offset:1040
	v_cmp_eq_u32_e64 s26, 4, v81
	v_cndmask_b32_e64 v65, v65, v70, s23
	v_cmp_eq_u32_e64 s28, 5, v81
	v_cndmask_b32_e64 v70, v83, v84, s23
	;; [unrolled: 2-line block ×3, first 2 shown]
	v_cndmask_b32_e64 v65, v65, v66, s25
	v_cndmask_b32_e64 v66, v104, v72, s24
	;; [unrolled: 1-line block ×3, first 2 shown]
	v_cmp_eq_u32_e64 s27, 7, v77
	v_cndmask_b32_e64 v69, v69, v86, s24
	v_cndmask_b32_e64 v65, v65, v71, s26
	s_waitcnt lgkmcnt(1)
	v_lshrrev_b32_e32 v84, 16, v87
	v_cndmask_b32_e64 v70, v70, v85, s26
	v_cndmask_b32_e64 v83, v103, v99, s18
	v_cndmask_b32_e64 v66, v66, v96, s27
	v_cndmask_b32_e64 v65, v65, v95, s28
	v_lshrrev_b32_e32 v95, 16, v88
	v_cndmask_b32_e64 v70, v70, v98, s28
	s_waitcnt lgkmcnt(0)
	v_lshrrev_b32_e32 v85, 16, v91
	v_cndmask_b32_e64 v97, v87, v84, s3
	v_cndmask_b32_e64 v65, v65, v72, s29
	;; [unrolled: 1-line block ×4, first 2 shown]
	v_cndmask_b32_e32 v71, v87, v84, vcc_lo
	v_cndmask_b32_e32 v98, v91, v85, vcc_lo
	v_cmp_eq_u32_e32 vcc_lo, 7, v81
	v_cndmask_b32_e64 v72, v97, v88, s6
	v_lshrrev_b32_e32 v97, 16, v92
	v_lshrrev_b32_e32 v103, 16, v90
	v_dual_cndmask_b32 v65, v65, v96 :: v_dual_cndmask_b32 v70, v70, v99
	v_cndmask_b32_e64 v71, v71, v88, s4
	v_cndmask_b32_e64 v86, v98, v92, s4
	;; [unrolled: 1-line block ×3, first 2 shown]
	v_lshrrev_b32_e32 v98, 16, v89
	v_lshrrev_b32_e32 v99, 16, v93
	v_cndmask_b32_e64 v71, v71, v95, s7
	v_cndmask_b32_e64 v86, v86, v97, s7
	;; [unrolled: 1-line block ×3, first 2 shown]
	v_perm_b32 v72, v70, v65, 0x5040100
	v_perm_b32 v70, v83, v102, 0x5040100
	v_cndmask_b32_e64 v71, v71, v89, s9
	v_cndmask_b32_e64 v86, v86, v93, s9
	;; [unrolled: 1-line block ×3, first 2 shown]
	v_lshrrev_b32_e32 v83, 16, v94
	s_delay_alu instid0(VALU_DEP_4) | instskip(NEXT) | instid1(VALU_DEP_4)
	v_cndmask_b32_e64 v71, v71, v98, s10
	v_cndmask_b32_e64 v86, v86, v99, s10
	s_delay_alu instid0(VALU_DEP_4) | instskip(NEXT) | instid1(VALU_DEP_3)
	v_cndmask_b32_e64 v65, v65, v90, s16
	v_cndmask_b32_e64 v96, v71, v90, s12
	v_perm_b32 v71, v69, v66, 0x5040100
	s_delay_alu instid0(VALU_DEP_4)
	v_cndmask_b32_e64 v69, v86, v94, s12
	v_cndmask_b32_e64 v86, v87, v84, s5
	;; [unrolled: 1-line block ×34, first 2 shown]
	v_cndmask_b32_e32 v84, v84, v103, vcc_lo
	v_cndmask_b32_e32 v86, v87, v83, vcc_lo
	v_cndmask_b32_e64 v87, v88, v83, s27
	v_cndmask_b32_e64 v88, v85, v83, s18
	;; [unrolled: 1-line block ×3, first 2 shown]
	v_perm_b32 v69, v101, v100, 0x5040100
	v_perm_b32 v86, v86, v84, 0x5040100
	;; [unrolled: 1-line block ×5, first 2 shown]
	s_lshl_b32 s8, s35, 3
	s_mov_b32 s3, exec_lo
	ds_store_b128 v76, v[69:72]
	ds_store_b128 v76, v[83:86] offset:1024
	v_cmpx_gt_u32_e32 8, v0
	s_cbranch_execz .LBB1685_78
; %bb.77:
	v_or_b32_e32 v65, s31, v0
	s_load_b128 s[4:7], s[0:1], 0x58
	s_delay_alu instid0(VALU_DEP_1) | instskip(NEXT) | instid1(VALU_DEP_1)
	v_mad_u64_u32 v[69:70], null, s8, s30, v[65:66]
	v_mad_u64_u32 v[65:66], null, v69, s34, s[14:15]
	s_delay_alu instid0(VALU_DEP_1) | instskip(NEXT) | instid1(VALU_DEP_1)
	v_ashrrev_i32_e32 v66, 31, v65
	v_lshlrev_b64 v[65:66], 2, v[65:66]
	s_waitcnt lgkmcnt(0)
	s_delay_alu instid0(VALU_DEP_1) | instskip(NEXT) | instid1(VALU_DEP_2)
	v_add_co_u32 v69, vcc_lo, s6, v65
	v_add_co_ci_u32_e32 v70, vcc_lo, s7, v66, vcc_lo
	v_add_co_u32 v65, vcc_lo, s4, v65
	v_add_co_ci_u32_e32 v66, vcc_lo, s5, v66, vcc_lo
	global_store_b32 v[69:70], v67, off
	global_store_b32 v[65:66], v68, off
.LBB1685_78:
	s_or_b32 exec_lo, exec_lo, s3
	s_waitcnt lgkmcnt(0)
	s_waitcnt_vscnt null, 0x0
	s_barrier
	buffer_gl0_inv
	ds_load_b128 v[83:86], v80
	ds_load_b128 v[87:90], v80 offset:16
	ds_load_b128 v[95:98], v80 offset:2064
	;; [unrolled: 1-line block ×3, first 2 shown]
	v_mov_b32_e32 v65, 0
	ds_load_b128 v[103:106], v80 offset:4112
	ds_load_b128 v[99:102], v80 offset:4096
	ds_load_b128 v[111:114], v80 offset:6160
	ds_load_b128 v[107:110], v80 offset:6144
	v_mov_b32_e32 v66, v65
	v_mov_b32_e32 v67, v65
	;; [unrolled: 1-line block ×7, first 2 shown]
	s_waitcnt lgkmcnt(6)
	s_delay_alu instid0(VALU_DEP_1)
	v_wmma_f32_16x16x16_bf16 v[65:72], v[57:64], v[83:90], v[65:72]
	ds_load_b128 v[61:64], v80 offset:8208
	ds_load_b128 v[57:60], v80 offset:8192
	s_waitcnt lgkmcnt(6)
	v_wmma_f32_16x16x16_bf16 v[65:72], v[41:48], v[91:98], v[65:72]
	ds_load_b128 v[45:48], v80 offset:10256
	ds_load_b128 v[41:44], v80 offset:10240
	s_waitcnt lgkmcnt(6)
	;; [unrolled: 4-line block ×4, first 2 shown]
	v_wmma_f32_16x16x16_bf16 v[65:72], v[1:8], v[57:64], v[65:72]
	s_waitcnt lgkmcnt(4)
	s_delay_alu instid0(VALU_DEP_1) | instskip(SKIP_1) | instid1(VALU_DEP_1)
	v_wmma_f32_16x16x16_bf16 v[65:72], v[9:16], v[41:48], v[65:72]
	s_waitcnt lgkmcnt(2)
	v_wmma_f32_16x16x16_bf16 v[65:72], v[17:24], v[33:40], v[65:72]
	s_waitcnt lgkmcnt(0)
	s_delay_alu instid0(VALU_DEP_1) | instskip(NEXT) | instid1(VALU_DEP_1)
	v_wmma_f32_16x16x16_bf16 v[65:72], v[49:56], v[25:32], v[65:72]
	v_and_b32_e32 v1, 0x7f800000, v65
	s_delay_alu instid0(VALU_DEP_1) | instskip(SKIP_1) | instid1(SALU_CYCLE_1)
	v_cmp_ne_u32_e32 vcc_lo, 0x7f800000, v1
                                        ; implicit-def: $vgpr1
	s_and_saveexec_b32 s3, vcc_lo
	s_xor_b32 s3, exec_lo, s3
; %bb.79:
	v_bfe_u32 v1, v65, 16, 1
	s_delay_alu instid0(VALU_DEP_1)
	v_add3_u32 v1, v65, v1, 0x7fff
; %bb.80:
	s_and_not1_saveexec_b32 s3, s3
; %bb.81:
	v_and_b32_e32 v1, 0xffff, v65
	v_or_b32_e32 v2, 0x10000, v65
	s_delay_alu instid0(VALU_DEP_2) | instskip(NEXT) | instid1(VALU_DEP_2)
	v_cmp_eq_u32_e32 vcc_lo, 0, v1
	v_cndmask_b32_e32 v1, v2, v65, vcc_lo
; %bb.82:
	s_or_b32 exec_lo, exec_lo, s3
	v_and_b32_e32 v2, 0x7f800000, v66
	s_delay_alu instid0(VALU_DEP_1) | instskip(SKIP_1) | instid1(SALU_CYCLE_1)
	v_cmp_ne_u32_e32 vcc_lo, 0x7f800000, v2
                                        ; implicit-def: $vgpr2
	s_and_saveexec_b32 s3, vcc_lo
	s_xor_b32 s3, exec_lo, s3
; %bb.83:
	v_bfe_u32 v2, v66, 16, 1
	s_delay_alu instid0(VALU_DEP_1)
	v_add3_u32 v2, v66, v2, 0x7fff
; %bb.84:
	s_and_not1_saveexec_b32 s3, s3
; %bb.85:
	v_and_b32_e32 v2, 0xffff, v66
	v_or_b32_e32 v3, 0x10000, v66
	s_delay_alu instid0(VALU_DEP_2) | instskip(NEXT) | instid1(VALU_DEP_2)
	v_cmp_eq_u32_e32 vcc_lo, 0, v2
	v_cndmask_b32_e32 v2, v3, v66, vcc_lo
; %bb.86:
	s_or_b32 exec_lo, exec_lo, s3
	v_and_b32_e32 v3, 0x7f800000, v67
	s_delay_alu instid0(VALU_DEP_1) | instskip(SKIP_1) | instid1(SALU_CYCLE_1)
	v_cmp_ne_u32_e32 vcc_lo, 0x7f800000, v3
                                        ; implicit-def: $vgpr3
	s_and_saveexec_b32 s3, vcc_lo
	s_xor_b32 s3, exec_lo, s3
; %bb.87:
	v_bfe_u32 v3, v67, 16, 1
	s_delay_alu instid0(VALU_DEP_1)
	v_add3_u32 v3, v67, v3, 0x7fff
; %bb.88:
	s_and_not1_saveexec_b32 s3, s3
; %bb.89:
	v_and_b32_e32 v3, 0xffff, v67
	v_or_b32_e32 v4, 0x10000, v67
	s_delay_alu instid0(VALU_DEP_2) | instskip(NEXT) | instid1(VALU_DEP_2)
	v_cmp_eq_u32_e32 vcc_lo, 0, v3
	v_cndmask_b32_e32 v3, v4, v67, vcc_lo
; %bb.90:
	s_or_b32 exec_lo, exec_lo, s3
	v_and_b32_e32 v4, 0x7f800000, v68
	s_delay_alu instid0(VALU_DEP_1) | instskip(SKIP_1) | instid1(SALU_CYCLE_1)
	v_cmp_ne_u32_e32 vcc_lo, 0x7f800000, v4
                                        ; implicit-def: $vgpr4
	s_and_saveexec_b32 s3, vcc_lo
	s_xor_b32 s3, exec_lo, s3
; %bb.91:
	v_bfe_u32 v4, v68, 16, 1
	s_delay_alu instid0(VALU_DEP_1)
	v_add3_u32 v4, v68, v4, 0x7fff
; %bb.92:
	s_and_not1_saveexec_b32 s3, s3
; %bb.93:
	v_and_b32_e32 v4, 0xffff, v68
	v_or_b32_e32 v5, 0x10000, v68
	s_delay_alu instid0(VALU_DEP_2) | instskip(NEXT) | instid1(VALU_DEP_2)
	v_cmp_eq_u32_e32 vcc_lo, 0, v4
	v_cndmask_b32_e32 v4, v5, v68, vcc_lo
; %bb.94:
	s_or_b32 exec_lo, exec_lo, s3
	v_and_b32_e32 v5, 0x7f800000, v69
	s_delay_alu instid0(VALU_DEP_1) | instskip(SKIP_1) | instid1(SALU_CYCLE_1)
	v_cmp_ne_u32_e32 vcc_lo, 0x7f800000, v5
                                        ; implicit-def: $vgpr5
	s_and_saveexec_b32 s3, vcc_lo
	s_xor_b32 s3, exec_lo, s3
; %bb.95:
	v_bfe_u32 v5, v69, 16, 1
	s_delay_alu instid0(VALU_DEP_1)
	v_add3_u32 v5, v69, v5, 0x7fff
; %bb.96:
	s_and_not1_saveexec_b32 s3, s3
; %bb.97:
	v_and_b32_e32 v5, 0xffff, v69
	v_or_b32_e32 v6, 0x10000, v69
	s_delay_alu instid0(VALU_DEP_2) | instskip(NEXT) | instid1(VALU_DEP_2)
	v_cmp_eq_u32_e32 vcc_lo, 0, v5
	v_cndmask_b32_e32 v5, v6, v69, vcc_lo
; %bb.98:
	s_or_b32 exec_lo, exec_lo, s3
	v_and_b32_e32 v6, 0x7f800000, v70
	s_delay_alu instid0(VALU_DEP_1) | instskip(SKIP_1) | instid1(SALU_CYCLE_1)
	v_cmp_ne_u32_e32 vcc_lo, 0x7f800000, v6
                                        ; implicit-def: $vgpr6
	s_and_saveexec_b32 s3, vcc_lo
	s_xor_b32 s3, exec_lo, s3
; %bb.99:
	v_bfe_u32 v6, v70, 16, 1
	s_delay_alu instid0(VALU_DEP_1)
	v_add3_u32 v6, v70, v6, 0x7fff
; %bb.100:
	s_and_not1_saveexec_b32 s3, s3
; %bb.101:
	v_and_b32_e32 v6, 0xffff, v70
	v_or_b32_e32 v7, 0x10000, v70
	s_delay_alu instid0(VALU_DEP_2) | instskip(NEXT) | instid1(VALU_DEP_2)
	v_cmp_eq_u32_e32 vcc_lo, 0, v6
	v_cndmask_b32_e32 v6, v7, v70, vcc_lo
; %bb.102:
	s_or_b32 exec_lo, exec_lo, s3
	v_and_b32_e32 v7, 0x7f800000, v71
	s_delay_alu instid0(VALU_DEP_1) | instskip(SKIP_1) | instid1(SALU_CYCLE_1)
	v_cmp_ne_u32_e32 vcc_lo, 0x7f800000, v7
                                        ; implicit-def: $vgpr7
	s_and_saveexec_b32 s3, vcc_lo
	s_xor_b32 s3, exec_lo, s3
; %bb.103:
	v_bfe_u32 v7, v71, 16, 1
	s_delay_alu instid0(VALU_DEP_1)
	v_add3_u32 v7, v71, v7, 0x7fff
; %bb.104:
	s_and_not1_saveexec_b32 s3, s3
; %bb.105:
	v_and_b32_e32 v7, 0xffff, v71
	v_or_b32_e32 v8, 0x10000, v71
	s_delay_alu instid0(VALU_DEP_2) | instskip(NEXT) | instid1(VALU_DEP_2)
	v_cmp_eq_u32_e32 vcc_lo, 0, v7
	v_cndmask_b32_e32 v7, v8, v71, vcc_lo
; %bb.106:
	s_or_b32 exec_lo, exec_lo, s3
	v_and_b32_e32 v8, 0x7f800000, v72
	s_delay_alu instid0(VALU_DEP_1) | instskip(SKIP_1) | instid1(SALU_CYCLE_1)
	v_cmp_ne_u32_e32 vcc_lo, 0x7f800000, v8
                                        ; implicit-def: $vgpr8
	s_and_saveexec_b32 s3, vcc_lo
	s_xor_b32 s3, exec_lo, s3
; %bb.107:
	v_bfe_u32 v8, v72, 16, 1
	s_delay_alu instid0(VALU_DEP_1)
	v_add3_u32 v8, v72, v8, 0x7fff
                                        ; implicit-def: $vgpr65_vgpr66_vgpr67_vgpr68_vgpr69_vgpr70_vgpr71_vgpr72
; %bb.108:
	s_and_not1_saveexec_b32 s3, s3
; %bb.109:
	v_and_b32_e32 v8, 0xffff, v72
	v_or_b32_e32 v9, 0x10000, v72
	s_delay_alu instid0(VALU_DEP_2) | instskip(NEXT) | instid1(VALU_DEP_2)
	v_cmp_eq_u32_e32 vcc_lo, 0, v8
	v_cndmask_b32_e32 v8, v9, v72, vcc_lo
; %bb.110:
	s_or_b32 exec_lo, exec_lo, s3
	s_delay_alu instid0(VALU_DEP_1)
	v_perm_b32 v7, v8, v7, 0x7060302
	v_perm_b32 v6, v6, v5, 0x7060302
	;; [unrolled: 1-line block ×4, first 2 shown]
	s_barrier
	buffer_gl0_inv
	v_cmp_eq_u32_e32 vcc_lo, 1, v78
	ds_store_b128 v76, v[4:7]
	s_waitcnt lgkmcnt(0)
	s_barrier
	buffer_gl0_inv
	ds_load_b128 v[1:4], v82
	ds_load_b128 v[5:8], v82 offset:16
	v_cmp_eq_u32_e64 s3, 1, v79
	v_cmp_eq_u32_e64 s4, 2, v78
	;; [unrolled: 1-line block ×5, first 2 shown]
	s_waitcnt lgkmcnt(1)
	v_lshrrev_b32_e32 v9, 16, v1
	s_waitcnt lgkmcnt(0)
	v_lshrrev_b32_e32 v13, 16, v5
	v_lshrrev_b32_e32 v10, 16, v2
	;; [unrolled: 1-line block ×4, first 2 shown]
	v_cndmask_b32_e64 v19, v1, v9, s3
	v_cndmask_b32_e32 v18, v5, v13, vcc_lo
	v_cndmask_b32_e64 v20, v5, v13, s3
	v_cndmask_b32_e32 v17, v1, v9, vcc_lo
	v_cmp_eq_u32_e32 vcc_lo, 2, v79
	v_lshrrev_b32_e32 v15, 16, v7
	v_cmp_eq_u32_e64 s3, 1, v77
	v_lshrrev_b32_e32 v12, 16, v4
	v_lshrrev_b32_e32 v16, 16, v8
	v_cndmask_b32_e32 v20, v20, v6, vcc_lo
	v_cndmask_b32_e64 v17, v17, v2, s4
	v_cndmask_b32_e32 v19, v19, v2, vcc_lo
	v_cndmask_b32_e64 v18, v18, v6, s4
	v_cmp_eq_u32_e32 vcc_lo, 4, v78
	v_cmp_eq_u32_e64 s4, 3, v79
	v_cndmask_b32_e64 v17, v17, v10, s5
	v_cndmask_b32_e64 v21, v1, v9, s3
	;; [unrolled: 1-line block ×5, first 2 shown]
	v_cndmask_b32_e32 v17, v17, v3, vcc_lo
	v_cndmask_b32_e64 v20, v20, v14, s4
	v_cndmask_b32_e32 v18, v18, v7, vcc_lo
	v_cmp_eq_u32_e32 vcc_lo, 4, v79
	v_cmp_eq_u32_e64 s4, 5, v79
	v_cmp_eq_u32_e64 s3, 2, v81
	v_cndmask_b32_e64 v21, v21, v2, s7
	v_cmp_eq_u32_e64 s5, 5, v78
	v_cndmask_b32_e32 v19, v19, v3, vcc_lo
	v_cndmask_b32_e32 v20, v20, v7, vcc_lo
	v_cmp_eq_u32_e32 vcc_lo, 6, v79
	s_delay_alu instid0(VALU_DEP_4) | instskip(NEXT) | instid1(VALU_DEP_4)
	v_cndmask_b32_e64 v17, v17, v11, s5
	v_cndmask_b32_e64 v19, v19, v11, s4
	s_delay_alu instid0(VALU_DEP_4) | instskip(SKIP_1) | instid1(VALU_DEP_3)
	v_cndmask_b32_e64 v20, v20, v15, s4
	v_cmp_eq_u32_e64 s4, 1, v81
	v_cndmask_b32_e32 v19, v19, v4, vcc_lo
	v_cndmask_b32_e64 v18, v18, v15, s5
	s_delay_alu instid0(VALU_DEP_3)
	v_cndmask_b32_e64 v1, v1, v9, s4
	v_cndmask_b32_e64 v5, v5, v13, s4
	v_cmp_eq_u32_e64 s4, 3, v77
	v_cndmask_b32_e64 v13, v22, v6, s7
	v_cmp_eq_u32_e64 s7, 3, v81
	v_cndmask_b32_e64 v1, v1, v2, s3
	v_cndmask_b32_e64 v2, v5, v6, s3
	;; [unrolled: 1-line block ×3, first 2 shown]
	v_cmp_eq_u32_e64 s3, 4, v77
	v_cndmask_b32_e64 v6, v13, v14, s4
	v_cndmask_b32_e64 v1, v1, v10, s7
	v_cmp_eq_u32_e64 s4, 4, v81
	v_cndmask_b32_e64 v2, v2, v14, s7
	v_cndmask_b32_e64 v5, v9, v3, s3
	;; [unrolled: 3-line block ×3, first 2 shown]
	v_cndmask_b32_e64 v2, v2, v7, s4
	v_cmp_eq_u32_e64 s3, 5, v81
	v_cmp_eq_u32_e64 s5, 6, v78
	v_cndmask_b32_e64 v5, v5, v11, s7
	v_cmp_eq_u32_e64 s4, 6, v77
	v_cndmask_b32_e64 v3, v6, v15, s7
	v_cndmask_b32_e64 v1, v1, v11, s3
	v_cmp_eq_u32_e64 s7, 6, v81
	v_cndmask_b32_e64 v2, v2, v15, s3
	v_cndmask_b32_e64 v17, v17, v4, s5
	v_cndmask_b32_e64 v18, v18, v8, s5
	v_cmp_eq_u32_e64 s5, 7, v78
	v_cndmask_b32_e64 v5, v5, v4, s4
	;; [unrolled: 4-line block ×3, first 2 shown]
	v_cmp_eq_u32_e64 s4, 7, v77
	v_cndmask_b32_e32 v4, v20, v8, vcc_lo
	v_cndmask_b32_e64 v17, v17, v12, s5
	v_cndmask_b32_e64 v19, v19, v12, s6
	;; [unrolled: 1-line block ×8, first 2 shown]
	v_cmp_gt_u32_e32 vcc_lo, 32, v0
	v_perm_b32 v4, v2, v1, 0x5040100
	v_perm_b32 v3, v3, v5, 0x5040100
	;; [unrolled: 1-line block ×4, first 2 shown]
	s_and_b32 s2, vcc_lo, s2
	ds_store_b128 v76, v[1:4]
	s_waitcnt lgkmcnt(0)
	s_barrier
	buffer_gl0_inv
	s_and_saveexec_b32 s3, s2
	s_cbranch_execz .LBB1685_2
; %bb.111:
	s_load_b64 s[0:1], s[0:1], 0x68
	s_lshl_b32 s4, s34, 6
	v_or_b32_e32 v2, s31, v75
	s_mul_i32 s2, s4, s30
	v_lshlrev_b32_e32 v1, 10, v0
	s_mul_i32 s2, s2, s8
	v_lshlrev_b32_e32 v3, 4, v74
	v_mul_lo_u32 v0, v2, s4
	s_ashr_i32 s3, s2, 31
	v_lshlrev_b32_e32 v4, 6, v75
	v_and_b32_e32 v1, 0x3800, v1
	v_or_b32_e32 v5, 2, v2
	s_lshl_b64 s[2:3], s[2:3], 1
	v_or_b32_e32 v6, 4, v2
	v_or_b32_e32 v7, 6, v2
	v_or3_b32 v12, v1, v3, v4
	v_ashrrev_i32_e32 v1, 31, v0
	v_mul_lo_u32 v2, v5, s4
	v_mul_lo_u32 v16, v6, s4
	;; [unrolled: 1-line block ×3, first 2 shown]
	s_waitcnt lgkmcnt(0)
	s_add_u32 s2, s0, s2
	s_addc_u32 s3, s1, s3
	s_lshl_b32 s0, s14, 6
	v_lshlrev_b64 v[0:1], 1, v[0:1]
	s_ashr_i32 s1, s0, 31
	v_ashrrev_i32_e32 v3, 31, v2
	s_lshl_b64 s[0:1], s[0:1], 1
	v_ashrrev_i32_e32 v17, 31, v16
	s_add_u32 s0, s2, s0
	s_addc_u32 s1, s3, s1
	v_add_co_u32 v24, s0, s0, v73
	s_delay_alu instid0(VALU_DEP_1) | instskip(SKIP_1) | instid1(VALU_DEP_3)
	v_add_co_ci_u32_e64 v25, null, s1, 0, s0
	v_lshlrev_b64 v[22:23], 1, v[2:3]
	v_add_co_u32 v18, vcc_lo, v24, v0
	s_delay_alu instid0(VALU_DEP_3)
	v_add_co_ci_u32_e32 v19, vcc_lo, v25, v1, vcc_lo
	ds_load_b128 v[0:3], v12
	ds_load_b128 v[4:7], v12 offset:128
	ds_load_b128 v[8:11], v12 offset:256
	;; [unrolled: 1-line block ×3, first 2 shown]
	v_ashrrev_i32_e32 v21, 31, v20
	v_lshlrev_b64 v[16:17], 1, v[16:17]
	v_add_co_u32 v22, vcc_lo, v24, v22
	v_add_co_ci_u32_e32 v23, vcc_lo, v25, v23, vcc_lo
	s_delay_alu instid0(VALU_DEP_4) | instskip(NEXT) | instid1(VALU_DEP_4)
	v_lshlrev_b64 v[20:21], 1, v[20:21]
	v_add_co_u32 v16, vcc_lo, v24, v16
	v_add_co_ci_u32_e32 v17, vcc_lo, v25, v17, vcc_lo
	s_delay_alu instid0(VALU_DEP_3) | instskip(NEXT) | instid1(VALU_DEP_4)
	v_add_co_u32 v20, vcc_lo, v24, v20
	v_add_co_ci_u32_e32 v21, vcc_lo, v25, v21, vcc_lo
	s_waitcnt lgkmcnt(3)
	global_store_b128 v[18:19], v[0:3], off
	s_waitcnt lgkmcnt(2)
	global_store_b128 v[22:23], v[4:7], off
	;; [unrolled: 2-line block ×4, first 2 shown]
	s_nop 0
	s_sendmsg sendmsg(MSG_DEALLOC_VGPRS)
	s_endpgm
	.section	.rodata,"a",@progbits
	.p2align	6, 0x0
	.amdhsa_kernel _Z39paged_attention_ll4mi_QKV_mfma16_kernelI14__hip_bfloat16hLN4vllm18Fp8KVCacheDataTypeE1EhLi16ELi64ELi256ELb0ELi8EL8MFMAType0EEvPKT_PKT0_S9_ifPKiSB_SB_iPKfiiiPfSE_PS4_PT2_iSD_SD_
		.amdhsa_group_segment_fixed_size 17472
		.amdhsa_private_segment_fixed_size 0
		.amdhsa_kernarg_size 400
		.amdhsa_user_sgpr_count 13
		.amdhsa_user_sgpr_dispatch_ptr 0
		.amdhsa_user_sgpr_queue_ptr 0
		.amdhsa_user_sgpr_kernarg_segment_ptr 1
		.amdhsa_user_sgpr_dispatch_id 0
		.amdhsa_user_sgpr_private_segment_size 0
		.amdhsa_wavefront_size32 1
		.amdhsa_uses_dynamic_stack 0
		.amdhsa_enable_private_segment 0
		.amdhsa_system_sgpr_workgroup_id_x 1
		.amdhsa_system_sgpr_workgroup_id_y 1
		.amdhsa_system_sgpr_workgroup_id_z 1
		.amdhsa_system_sgpr_workgroup_info 0
		.amdhsa_system_vgpr_workitem_id 0
		.amdhsa_next_free_vgpr 124
		.amdhsa_next_free_sgpr 38
		.amdhsa_reserve_vcc 1
		.amdhsa_float_round_mode_32 0
		.amdhsa_float_round_mode_16_64 0
		.amdhsa_float_denorm_mode_32 3
		.amdhsa_float_denorm_mode_16_64 3
		.amdhsa_dx10_clamp 1
		.amdhsa_ieee_mode 1
		.amdhsa_fp16_overflow 0
		.amdhsa_workgroup_processor_mode 1
		.amdhsa_memory_ordered 1
		.amdhsa_forward_progress 0
		.amdhsa_shared_vgpr_count 0
		.amdhsa_exception_fp_ieee_invalid_op 0
		.amdhsa_exception_fp_denorm_src 0
		.amdhsa_exception_fp_ieee_div_zero 0
		.amdhsa_exception_fp_ieee_overflow 0
		.amdhsa_exception_fp_ieee_underflow 0
		.amdhsa_exception_fp_ieee_inexact 0
		.amdhsa_exception_int_div_zero 0
	.end_amdhsa_kernel
	.section	.text._Z39paged_attention_ll4mi_QKV_mfma16_kernelI14__hip_bfloat16hLN4vllm18Fp8KVCacheDataTypeE1EhLi16ELi64ELi256ELb0ELi8EL8MFMAType0EEvPKT_PKT0_S9_ifPKiSB_SB_iPKfiiiPfSE_PS4_PT2_iSD_SD_,"axG",@progbits,_Z39paged_attention_ll4mi_QKV_mfma16_kernelI14__hip_bfloat16hLN4vllm18Fp8KVCacheDataTypeE1EhLi16ELi64ELi256ELb0ELi8EL8MFMAType0EEvPKT_PKT0_S9_ifPKiSB_SB_iPKfiiiPfSE_PS4_PT2_iSD_SD_,comdat
.Lfunc_end1685:
	.size	_Z39paged_attention_ll4mi_QKV_mfma16_kernelI14__hip_bfloat16hLN4vllm18Fp8KVCacheDataTypeE1EhLi16ELi64ELi256ELb0ELi8EL8MFMAType0EEvPKT_PKT0_S9_ifPKiSB_SB_iPKfiiiPfSE_PS4_PT2_iSD_SD_, .Lfunc_end1685-_Z39paged_attention_ll4mi_QKV_mfma16_kernelI14__hip_bfloat16hLN4vllm18Fp8KVCacheDataTypeE1EhLi16ELi64ELi256ELb0ELi8EL8MFMAType0EEvPKT_PKT0_S9_ifPKiSB_SB_iPKfiiiPfSE_PS4_PT2_iSD_SD_
                                        ; -- End function
	.section	.AMDGPU.csdata,"",@progbits
; Kernel info:
; codeLenInByte = 8724
; NumSgprs: 40
; NumVgprs: 124
; ScratchSize: 0
; MemoryBound: 0
; FloatMode: 240
; IeeeMode: 1
; LDSByteSize: 17472 bytes/workgroup (compile time only)
; SGPRBlocks: 4
; VGPRBlocks: 15
; NumSGPRsForWavesPerEU: 40
; NumVGPRsForWavesPerEU: 124
; Occupancy: 10
; WaveLimiterHint : 1
; COMPUTE_PGM_RSRC2:SCRATCH_EN: 0
; COMPUTE_PGM_RSRC2:USER_SGPR: 13
; COMPUTE_PGM_RSRC2:TRAP_HANDLER: 0
; COMPUTE_PGM_RSRC2:TGID_X_EN: 1
; COMPUTE_PGM_RSRC2:TGID_Y_EN: 1
; COMPUTE_PGM_RSRC2:TGID_Z_EN: 1
; COMPUTE_PGM_RSRC2:TIDIG_COMP_CNT: 0
	.section	.text._Z39paged_attention_ll4mi_QKV_mfma16_kernelI14__hip_bfloat16hLN4vllm18Fp8KVCacheDataTypeE1EhLi16ELi64ELi256ELb0ELi9EL8MFMAType0EEvPKT_PKT0_S9_ifPKiSB_SB_iPKfiiiPfSE_PS4_PT2_iSD_SD_,"axG",@progbits,_Z39paged_attention_ll4mi_QKV_mfma16_kernelI14__hip_bfloat16hLN4vllm18Fp8KVCacheDataTypeE1EhLi16ELi64ELi256ELb0ELi9EL8MFMAType0EEvPKT_PKT0_S9_ifPKiSB_SB_iPKfiiiPfSE_PS4_PT2_iSD_SD_,comdat
	.protected	_Z39paged_attention_ll4mi_QKV_mfma16_kernelI14__hip_bfloat16hLN4vllm18Fp8KVCacheDataTypeE1EhLi16ELi64ELi256ELb0ELi9EL8MFMAType0EEvPKT_PKT0_S9_ifPKiSB_SB_iPKfiiiPfSE_PS4_PT2_iSD_SD_ ; -- Begin function _Z39paged_attention_ll4mi_QKV_mfma16_kernelI14__hip_bfloat16hLN4vllm18Fp8KVCacheDataTypeE1EhLi16ELi64ELi256ELb0ELi9EL8MFMAType0EEvPKT_PKT0_S9_ifPKiSB_SB_iPKfiiiPfSE_PS4_PT2_iSD_SD_
	.globl	_Z39paged_attention_ll4mi_QKV_mfma16_kernelI14__hip_bfloat16hLN4vllm18Fp8KVCacheDataTypeE1EhLi16ELi64ELi256ELb0ELi9EL8MFMAType0EEvPKT_PKT0_S9_ifPKiSB_SB_iPKfiiiPfSE_PS4_PT2_iSD_SD_
	.p2align	8
	.type	_Z39paged_attention_ll4mi_QKV_mfma16_kernelI14__hip_bfloat16hLN4vllm18Fp8KVCacheDataTypeE1EhLi16ELi64ELi256ELb0ELi9EL8MFMAType0EEvPKT_PKT0_S9_ifPKiSB_SB_iPKfiiiPfSE_PS4_PT2_iSD_SD_,@function
_Z39paged_attention_ll4mi_QKV_mfma16_kernelI14__hip_bfloat16hLN4vllm18Fp8KVCacheDataTypeE1EhLi16ELi64ELi256ELb0ELi9EL8MFMAType0EEvPKT_PKT0_S9_ifPKiSB_SB_iPKfiiiPfSE_PS4_PT2_iSD_SD_: ; @_Z39paged_attention_ll4mi_QKV_mfma16_kernelI14__hip_bfloat16hLN4vllm18Fp8KVCacheDataTypeE1EhLi16ELi64ELi256ELb0ELi9EL8MFMAType0EEvPKT_PKT0_S9_ifPKiSB_SB_iPKfiiiPfSE_PS4_PT2_iSD_SD_
; %bb.0:
	s_load_b64 s[2:3], s[0:1], 0x30
	s_mov_b32 s34, s13
	s_waitcnt lgkmcnt(0)
	s_cmp_lg_u64 s[2:3], 0
	s_cselect_b32 s8, -1, 0
	s_ashr_i32 s35, s13, 31
	s_cmp_eq_u64 s[2:3], 0
	s_cbranch_scc1 .LBB1686_3
; %bb.1:
	s_lshl_b64 s[4:5], s[34:35], 2
	s_delay_alu instid0(SALU_CYCLE_1) | instskip(SKIP_4) | instid1(SALU_CYCLE_1)
	s_add_u32 s4, s2, s4
	s_addc_u32 s5, s3, s5
	s_load_b64 s[4:5], s[4:5], 0x0
	s_waitcnt lgkmcnt(0)
	s_sub_i32 s4, s5, s4
	s_cmp_eq_u32 s4, 1
	s_cselect_b32 s4, -1, 0
	s_delay_alu instid0(SALU_CYCLE_1)
	s_and_not1_b32 vcc_lo, exec_lo, s4
	s_cbranch_vccz .LBB1686_4
.LBB1686_2:
	s_nop 0
	s_sendmsg sendmsg(MSG_DEALLOC_VGPRS)
	s_endpgm
.LBB1686_3:
.LBB1686_4:
	s_load_b64 s[4:5], s[0:1], 0x28
	s_lshl_b64 s[6:7], s[34:35], 2
	s_waitcnt lgkmcnt(0)
	s_add_u32 s4, s4, s6
	s_addc_u32 s5, s5, s7
	s_lshl_b32 s12, s14, 8
	s_load_b32 s24, s[4:5], 0x0
	s_waitcnt lgkmcnt(0)
	s_cmp_ge_i32 s12, s24
	s_cbranch_scc1 .LBB1686_2
; %bb.5:
	s_clause 0x1
	s_load_b128 s[20:23], s[0:1], 0x8
	s_load_b64 s[4:5], s[0:1], 0x20
	s_and_not1_b32 vcc_lo, exec_lo, s8
	s_cbranch_vccnz .LBB1686_7
; %bb.6:
	s_add_u32 s2, s2, s6
	s_addc_u32 s3, s3, s7
	s_load_b32 s3, s[2:3], 0x0
	s_branch .LBB1686_8
.LBB1686_7:
	s_mov_b32 s3, s34
.LBB1686_8:
	s_load_b128 s[16:19], s[0:1], 0x48
	v_lshrrev_b32_e32 v66, 5, v0
	v_bfe_u32 v74, v0, 4, 1
	v_and_b32_e32 v65, 15, v0
	v_and_b32_e32 v67, 31, v0
	;; [unrolled: 1-line block ×3, first 2 shown]
	s_mul_i32 s31, s15, 9
	v_lshl_or_b32 v1, v66, 1, v74
	v_lshlrev_b32_e32 v2, 3, v65
	v_cmp_gt_u32_e64 s2, 8, v65
	s_delay_alu instid0(VALU_DEP_3) | instskip(NEXT) | instid1(VALU_DEP_3)
	v_cmp_gt_u32_e32 vcc_lo, 9, v1
	v_lshlrev_b32_e32 v73, 1, v2
	s_delay_alu instid0(VALU_DEP_3) | instskip(NEXT) | instid1(SALU_CYCLE_1)
	s_and_b32 s7, s2, vcc_lo
	s_and_saveexec_b32 s6, s7
	s_cbranch_execz .LBB1686_10
; %bb.9:
	s_load_b64 s[8:9], s[0:1], 0x0
	v_add_lshl_u32 v2, v1, s31, 6
	s_waitcnt lgkmcnt(0)
	s_mul_hi_i32 s11, s3, s16
	s_mul_i32 s10, s3, s16
	v_lshlrev_b32_e32 v6, 10, v65
	s_lshl_b64 s[10:11], s[10:11], 1
	v_ashrrev_i32_e32 v3, 31, v2
	v_lshlrev_b32_e32 v1, 6, v1
	v_lshlrev_b32_e32 v7, 10, v75
	v_and_b32_e32 v6, 0x3800, v6
	s_delay_alu instid0(VALU_DEP_4) | instskip(NEXT) | instid1(VALU_DEP_2)
	v_lshlrev_b64 v[2:3], 1, v[2:3]
	v_or3_b32 v1, v6, v7, v1
	s_add_u32 s3, s8, s10
	s_addc_u32 s7, s9, s11
	s_delay_alu instid0(VALU_DEP_2) | instskip(NEXT) | instid1(VALU_DEP_3)
	v_add_co_u32 v2, vcc_lo, s3, v2
	v_add_co_ci_u32_e32 v3, vcc_lo, s7, v3, vcc_lo
	s_delay_alu instid0(VALU_DEP_2) | instskip(NEXT) | instid1(VALU_DEP_2)
	v_add_co_u32 v2, vcc_lo, v2, v73
	v_add_co_ci_u32_e32 v3, vcc_lo, 0, v3, vcc_lo
	global_load_b128 v[2:5], v[2:3], off
	s_waitcnt vmcnt(0)
	ds_store_b128 v1, v[2:5]
.LBB1686_10:
	s_or_b32 exec_lo, exec_lo, s6
	v_and_b32_e32 v1, 0xef, v0
	s_waitcnt lgkmcnt(0)
	s_add_i32 s3, s24, 15
	s_clause 0x1
	s_load_b32 s6, s[0:1], 0x38
	s_load_b32 s19, s[0:1], 0x1c
	s_ashr_i32 s7, s3, 31
	v_add_nc_u32_e32 v1, s12, v1
	s_lshr_b32 s7, s7, 28
	s_waitcnt lgkmcnt(0)
	s_add_i32 s3, s3, s7
	s_barrier
	v_ashrrev_i32_e32 v2, 31, v1
	v_or_b32_e32 v3, 16, v1
	s_ashr_i32 s3, s3, 4
	v_cmp_gt_i32_e32 vcc_lo, s24, v1
	s_add_i32 s3, s3, -1
	v_lshrrev_b32_e32 v2, 28, v2
	buffer_gl0_inv
	s_mul_i32 s27, s15, s18
	v_add_nc_u32_e32 v4, v1, v2
	s_mul_i32 s6, s34, s6
	s_delay_alu instid0(SALU_CYCLE_1) | instskip(NEXT) | instid1(VALU_DEP_1)
	s_ashr_i32 s7, s6, 31
	v_ashrrev_i32_e32 v4, 4, v4
	v_add_nc_u32_e32 v2, v3, v2
	s_lshl_b64 s[6:7], s[6:7], 2
	s_delay_alu instid0(SALU_CYCLE_1) | instskip(NEXT) | instid1(VALU_DEP_2)
	s_add_u32 s26, s4, s6
	v_cndmask_b32_e32 v1, s3, v4, vcc_lo
	s_delay_alu instid0(VALU_DEP_2)
	v_ashrrev_i32_e32 v2, 4, v2
	v_cmp_gt_i32_e32 vcc_lo, s24, v3
	s_addc_u32 s25, s5, s7
	s_ashr_i32 s28, s27, 31
	s_add_u32 s13, s20, s27
	s_addc_u32 s15, s21, s28
	v_cndmask_b32_e32 v3, s3, v2, vcc_lo
	v_ashrrev_i32_e32 v2, 31, v1
	s_lshl_b32 s4, s14, 4
	s_delay_alu instid0(SALU_CYCLE_1) | instskip(NEXT) | instid1(VALU_DEP_2)
	s_ashr_i32 s5, s4, 31
	v_ashrrev_i32_e32 v4, 31, v3
	s_delay_alu instid0(VALU_DEP_2) | instskip(SKIP_1) | instid1(SALU_CYCLE_1)
	v_lshlrev_b64 v[1:2], 2, v[1:2]
	s_lshl_b64 s[4:5], s[4:5], 2
	s_add_u32 s4, s26, s4
	s_delay_alu instid0(VALU_DEP_2) | instskip(SKIP_1) | instid1(VALU_DEP_2)
	v_lshlrev_b64 v[3:4], 2, v[3:4]
	s_addc_u32 s5, s25, s5
	v_add_co_u32 v1, vcc_lo, s26, v1
	v_add_co_ci_u32_e32 v2, vcc_lo, s25, v2, vcc_lo
	s_delay_alu instid0(VALU_DEP_3) | instskip(NEXT) | instid1(VALU_DEP_4)
	v_add_co_u32 v3, vcc_lo, s26, v3
	v_add_co_ci_u32_e32 v4, vcc_lo, s25, v4, vcc_lo
	s_clause 0x1
	global_load_b32 v5, v[1:2], off
	global_load_b32 v7, v[3:4], off
	s_or_b32 s6, s12, 32
	v_lshlrev_b32_e32 v1, 4, v0
	s_ashr_i32 s7, s6, 4
	s_cmp_lt_i32 s6, s24
	v_cmp_gt_u32_e32 vcc_lo, 9, v65
	s_cselect_b32 s6, s7, s3
	v_and_b32_e32 v1, 0xf0, v1
	s_ashr_i32 s7, s6, 31
	s_delay_alu instid0(SALU_CYCLE_1) | instskip(NEXT) | instid1(SALU_CYCLE_1)
	s_lshl_b64 s[6:7], s[6:7], 2
	s_add_u32 s6, s26, s6
	s_addc_u32 s7, s25, s7
	s_or_b32 s8, s12, 64
	v_add_co_u32 v1, s13, s13, v1
	s_ashr_i32 s9, s8, 4
	s_cmp_lt_i32 s8, s24
	v_add_co_ci_u32_e64 v2, null, s15, 0, s13
	s_cselect_b32 s8, s9, s3
	s_delay_alu instid0(SALU_CYCLE_1) | instskip(NEXT) | instid1(SALU_CYCLE_1)
	s_ashr_i32 s9, s8, 31
	s_lshl_b64 s[8:9], s[8:9], 2
	s_delay_alu instid0(SALU_CYCLE_1) | instskip(SKIP_2) | instid1(SALU_CYCLE_1)
	s_add_u32 s8, s26, s8
	s_addc_u32 s9, s25, s9
	s_or_b32 s10, s12, 0x60
	s_ashr_i32 s11, s10, 4
	s_cmp_lt_i32 s10, s24
	s_cselect_b32 s10, s11, s3
	s_delay_alu instid0(SALU_CYCLE_1) | instskip(NEXT) | instid1(SALU_CYCLE_1)
	s_ashr_i32 s11, s10, 31
	s_lshl_b64 s[10:11], s[10:11], 2
	s_delay_alu instid0(SALU_CYCLE_1) | instskip(SKIP_2) | instid1(SALU_CYCLE_1)
	s_add_u32 s10, s26, s10
	s_addc_u32 s11, s25, s11
	s_or_b32 s16, s12, 0x80
	s_ashr_i32 s18, s16, 4
	s_cmp_lt_i32 s16, s24
	;; [unrolled: 10-line block ×3, first 2 shown]
	s_cselect_b32 s20, s18, s3
	s_delay_alu instid0(SALU_CYCLE_1) | instskip(NEXT) | instid1(SALU_CYCLE_1)
	s_ashr_i32 s21, s20, 31
	s_lshl_b64 s[20:21], s[20:21], 2
	s_delay_alu instid0(SALU_CYCLE_1)
	s_add_u32 s38, s26, s20
	s_addc_u32 s39, s25, s21
	s_clause 0x5
	s_load_b32 s21, s[4:5], 0x0
	s_load_b32 s13, s[6:7], 0x0
	s_load_b32 s15, s[8:9], 0x0
	s_load_b32 s16, s[10:11], 0x0
	s_load_b32 s18, s[36:37], 0x0
	s_load_b32 s20, s[38:39], 0x0
	s_or_b32 s8, s12, 0xc0
	s_mov_b32 s4, 0
	s_ashr_i32 s9, s8, 4
	s_cmp_lt_i32 s8, s24
	s_mov_b32 s11, s4
	s_cselect_b32 s36, s9, s3
	s_mov_b32 s5, s4
	s_ashr_i32 s37, s36, 31
	s_mov_b32 s6, s4
	s_lshl_b64 s[36:37], s[36:37], 2
	s_mov_b32 s7, s4
	s_add_u32 s36, s26, s36
	s_addc_u32 s37, s25, s37
	s_or_b32 s29, s12, 0xe0
	s_mov_b32 s8, s4
	s_ashr_i32 s30, s29, 4
	s_mov_b32 s9, s4
	s_mov_b32 s10, s4
	s_cmp_lt_i32 s29, s24
	v_dual_mov_b32 v107, s11 :: v_dual_mov_b32 v100, s4
	v_mov_b32_e32 v106, s10
	v_dual_mov_b32 v104, s8 :: v_dual_mov_b32 v103, s7
	v_dual_mov_b32 v102, s6 :: v_dual_mov_b32 v101, s5
	s_waitcnt vmcnt(1)
	v_mad_i64_i32 v[3:4], null, v5, s17, v[1:2]
	s_waitcnt vmcnt(0)
	v_mad_i64_i32 v[5:6], null, v7, s17, v[1:2]
	v_add_nc_u32_e32 v1, -9, v65
	v_lshlrev_b32_e32 v2, 4, v65
	s_clause 0x7
	global_load_b128 v[49:52], v[3:4], off
	global_load_b128 v[53:56], v[3:4], off offset:256
	global_load_b128 v[76:79], v[5:6], off
	global_load_b128 v[80:83], v[5:6], off offset:256
	global_load_b128 v[84:87], v[3:4], off offset:512
	;; [unrolled: 1-line block ×5, first 2 shown]
	v_cndmask_b32_e32 v1, v1, v65, vcc_lo
	v_mov_b32_e32 v105, s9
	s_cselect_b32 s4, s30, s3
	v_lshl_or_b32 v2, v66, 8, v2
	s_ashr_i32 s5, s4, 31
	v_lshlrev_b32_e32 v70, 6, v1
	s_lshl_b64 s[4:5], s[4:5], 2
	s_load_b32 s3, s[36:37], 0x0
	s_add_u32 s4, s26, s4
	s_addc_u32 s5, s25, s5
	ds_load_b128 v[108:111], v70
	ds_load_b128 v[112:115], v70 offset:1024
	s_load_b32 s4, s[4:5], 0x0
	s_add_u32 s6, s22, s27
	s_addc_u32 s7, s23, s28
	v_add_co_u32 v9, s6, s6, v2
	s_delay_alu instid0(VALU_DEP_1) | instskip(SKIP_1) | instid1(VALU_DEP_1)
	v_add_co_ci_u32_e64 v10, null, s7, 0, s6
	s_waitcnt lgkmcnt(0)
	v_mad_i64_i32 v[1:2], null, s21, s17, v[9:10]
	v_mad_i64_i32 v[3:4], null, s13, s17, v[9:10]
	;; [unrolled: 1-line block ×7, first 2 shown]
	s_clause 0x9
	global_load_b128 v[57:60], v[1:2], off
	global_load_b128 v[61:64], v[1:2], off offset:16
	global_load_b128 v[41:44], v[3:4], off
	global_load_b128 v[45:48], v[3:4], off offset:16
	;; [unrolled: 2-line block ×5, first 2 shown]
	v_mad_i64_i32 v[68:69], null, s4, s17, v[9:10]
	s_clause 0x3
	global_load_b128 v[9:12], v[13:14], off
	global_load_b128 v[13:16], v[13:14], off offset:16
	global_load_b128 v[17:20], v[21:22], off
	global_load_b128 v[21:24], v[21:22], off offset:16
	s_waitcnt vmcnt(20)
	v_wmma_f32_16x16x16_bf16 v[116:123], v[49:56], v[108:115], v[100:107]
	s_clause 0x1
	global_load_b128 v[49:52], v[68:69], off
	global_load_b128 v[53:56], v[68:69], off offset:16
	v_and_b32_e32 v68, 0xe0, v0
	v_mbcnt_lo_u32_b32 v69, -1, 0
	s_delay_alu instid0(VALU_DEP_2)
	v_add_nc_u32_e32 v68, s12, v68
	s_waitcnt vmcnt(20)
	v_wmma_f32_16x16x16_bf16 v[100:107], v[76:83], v[108:115], v[100:107]
	ds_load_b128 v[76:79], v70 offset:2048
	ds_load_b128 v[80:83], v70 offset:3072
	v_xor_b32_e32 v70, 16, v69
	s_waitcnt vmcnt(0) lgkmcnt(0)
	v_or_b32_e32 v68, v68, v74
	s_barrier
	buffer_gl0_inv
	v_cmp_gt_i32_e32 vcc_lo, 32, v70
	v_or_b32_e32 v71, 4, v68
	v_or_b32_e32 v72, 6, v68
	v_cmp_gt_i32_e64 s3, s24, v68
	v_or_b32_e32 v108, 8, v68
	v_or_b32_e32 v109, 10, v68
	v_cmp_gt_i32_e64 s4, s24, v71
	v_cmp_gt_i32_e64 s5, s24, v72
	s_delay_alu instid0(VALU_DEP_4) | instskip(NEXT) | instid1(VALU_DEP_4)
	v_cmp_gt_i32_e64 s6, s24, v108
	v_cmp_gt_i32_e64 s7, s24, v109
	v_wmma_f32_16x16x16_bf16 v[116:123], v[84:91], v[76:83], v[116:123]
	v_cndmask_b32_e32 v69, v69, v70, vcc_lo
	v_or_b32_e32 v70, 2, v68
	v_wmma_f32_16x16x16_bf16 v[100:107], v[92:99], v[76:83], v[100:107]
	v_or_b32_e32 v89, 22, v68
	v_dual_mul_f32 v82, s19, v119 :: v_dual_mul_f32 v79, s19, v122
	v_dual_mul_f32 v92, s19, v117 :: v_dual_mul_f32 v93, s19, v116
	s_delay_alu instid0(VALU_DEP_4) | instskip(SKIP_2) | instid1(VALU_DEP_4)
	v_mul_f32_e32 v98, s19, v103
	v_cmp_gt_i32_e32 vcc_lo, s24, v70
	v_dual_mul_f32 v83, s19, v118 :: v_dual_mul_f32 v96, s19, v105
	v_cndmask_b32_e64 v93, 0xff7fffff, v93, s3
	v_or_b32_e32 v84, 12, v68
	v_cndmask_b32_e32 v92, 0xff7fffff, v92, vcc_lo
	v_or_b32_e32 v85, 14, v68
	v_dual_mul_f32 v80, s19, v121 :: v_dual_mul_f32 v81, s19, v120
	v_mul_f32_e32 v94, s19, v107
	v_cndmask_b32_e64 v71, 0xff7fffff, v83, s4
	v_cndmask_b32_e64 v72, 0xff7fffff, v82, s5
	v_cmp_gt_i32_e64 s13, s24, v89
	v_lshlrev_b32_e32 v89, 2, v69
	v_max3_f32 v82, v93, 0xff7fffff, v92
	v_or_b32_e32 v86, 16, v68
	v_or_b32_e32 v87, 18, v68
	v_mul_f32_e32 v78, s19, v123
	v_cndmask_b32_e64 v81, 0xff7fffff, v81, s6
	v_cndmask_b32_e64 v80, 0xff7fffff, v80, s7
	v_max3_f32 v71, v82, v71, v72
	v_cmp_gt_i32_e64 s8, s24, v84
	v_cmp_gt_i32_e64 s9, s24, v85
	v_or_b32_e32 v88, 20, v68
	v_or_b32_e32 v90, 24, v68
	;; [unrolled: 1-line block ×5, first 2 shown]
	v_dual_mul_f32 v95, s19, v106 :: v_dual_mul_f32 v70, s19, v101
	v_dual_mul_f32 v99, s19, v102 :: v_dual_mul_f32 v68, s19, v100
	v_cndmask_b32_e64 v72, 0xff7fffff, v79, s8
	v_cndmask_b32_e64 v78, 0xff7fffff, v78, s9
	v_max3_f32 v71, v71, v81, v80
	v_cmp_gt_i32_e64 s10, s24, v86
	v_cmp_gt_i32_e64 s11, s24, v87
	v_cmp_gt_i32_e64 s12, s24, v88
	v_mul_f32_e32 v97, s19, v104
	v_max3_f32 v71, v71, v72, v78
	v_cndmask_b32_e64 v68, 0xff7fffff, v68, s10
	v_cndmask_b32_e64 v70, 0xff7fffff, v70, s11
	;; [unrolled: 1-line block ×4, first 2 shown]
	v_cmp_gt_i32_e64 s15, s24, v90
	v_cmp_gt_i32_e64 s16, s24, v91
	v_max3_f32 v68, v71, v68, v70
	v_cmp_gt_i32_e64 s17, s24, v76
	v_cmp_gt_i32_e64 s18, s24, v77
	v_cndmask_b32_e64 v70, 0xff7fffff, v97, s15
	v_cndmask_b32_e64 v71, 0xff7fffff, v96, s16
	v_max3_f32 v68, v68, v72, v78
	v_cndmask_b32_e64 v72, 0xff7fffff, v95, s17
	v_cndmask_b32_e64 v76, 0xff7fffff, v94, s18
	s_delay_alu instid0(VALU_DEP_3) | instskip(NEXT) | instid1(VALU_DEP_1)
	v_max3_f32 v68, v68, v70, v71
	v_max3_f32 v68, v68, v72, v76
	ds_bpermute_b32 v69, v89, v68
	s_waitcnt lgkmcnt(0)
	v_max_f32_e32 v69, v69, v69
	s_delay_alu instid0(VALU_DEP_1) | instskip(NEXT) | instid1(VALU_DEP_1)
	v_max_f32_e32 v68, v68, v69
	v_fma_f32 v69, s19, v116, -v68
	v_fma_f32 v70, s19, v117, -v68
	;; [unrolled: 1-line block ×5, first 2 shown]
	s_delay_alu instid0(VALU_DEP_4) | instskip(NEXT) | instid1(VALU_DEP_4)
	v_dual_mul_f32 v69, 0x3fb8aa3b, v69 :: v_dual_mul_f32 v70, 0x3fb8aa3b, v70
	v_mul_f32_e32 v72, 0x3fb8aa3b, v72
	v_fma_f32 v78, s19, v122, -v68
	s_delay_alu instid0(VALU_DEP_4) | instskip(NEXT) | instid1(VALU_DEP_4)
	v_mul_f32_e32 v77, 0x3fb8aa3b, v76
	v_exp_f32_e32 v69, v69
	v_exp_f32_e32 v70, v70
	v_mul_f32_e32 v71, 0x3fb8aa3b, v71
	v_exp_f32_e32 v72, v72
	v_mul_f32_e32 v78, 0x3fb8aa3b, v78
	v_exp_f32_e32 v77, v77
	v_fma_f32 v81, s19, v105, -v68
	s_delay_alu instid0(VALU_DEP_2)
	v_exp_f32_e32 v78, v78
	v_cndmask_b32_e64 v80, 0, v69, s3
	v_cndmask_b32_e32 v76, 0, v70, vcc_lo
	v_exp_f32_e32 v71, v71
	v_fma_f32 v69, s19, v121, -v68
	v_cndmask_b32_e64 v85, 0, v72, s5
	v_add_f32_e32 v70, 0, v80
	s_delay_alu instid0(TRANS32_DEP_3)
	v_cndmask_b32_e64 v86, 0, v77, s6
	v_fma_f32 v77, s19, v101, -v68
	v_mul_f32_e32 v69, 0x3fb8aa3b, v69
	v_fma_f32 v72, s19, v100, -v68
	v_cndmask_b32_e64 v84, 0, v78, s8
	v_fma_f32 v78, s19, v103, -v68
	v_cndmask_b32_e64 v83, 0, v71, s4
	v_fma_f32 v71, s19, v123, -v68
	v_add_f32_e32 v70, v70, v76
	v_exp_f32_e32 v69, v69
	v_mul_f32_e32 v77, 0x3fb8aa3b, v77
	v_mul_f32_e32 v81, 0x3fb8aa3b, v81
	;; [unrolled: 1-line block ×3, first 2 shown]
	v_add_f32_e32 v70, v70, v83
	v_cmp_gt_u32_e64 s3, 16, v67
	v_exp_f32_e32 v77, v77
	v_exp_f32_e32 v81, v81
	;; [unrolled: 1-line block ×3, first 2 shown]
	v_cndmask_b32_e64 v87, 0, v69, s7
	v_add_f32_e32 v70, v70, v85
	s_delay_alu instid0(VALU_DEP_1) | instskip(SKIP_1) | instid1(VALU_DEP_2)
	v_dual_mul_f32 v72, 0x3fb8aa3b, v72 :: v_dual_add_f32 v69, v70, v86
	v_fma_f32 v70, s19, v102, -v68
	v_exp_f32_e32 v72, v72
	s_waitcnt_depctr 0xfff
	v_cndmask_b32_e64 v88, 0, v71, s9
	v_fma_f32 v71, s19, v104, -v68
	v_dual_add_f32 v69, v69, v87 :: v_dual_mul_f32 v70, 0x3fb8aa3b, v70
	s_delay_alu instid0(VALU_DEP_2) | instskip(NEXT) | instid1(VALU_DEP_2)
	v_dual_mul_f32 v78, 0x3fb8aa3b, v78 :: v_dual_mul_f32 v71, 0x3fb8aa3b, v71
	v_add_f32_e32 v69, v69, v84
	s_delay_alu instid0(VALU_DEP_3) | instskip(SKIP_1) | instid1(VALU_DEP_3)
	v_exp_f32_e32 v79, v70
	v_cndmask_b32_e64 v70, 0, v72, s10
	v_exp_f32_e32 v78, v78
	v_exp_f32_e32 v82, v71
	v_add_f32_e32 v72, v69, v88
	v_cndmask_b32_e64 v69, 0, v77, s11
	v_fma_f32 v77, s19, v106, -v68
	s_delay_alu instid0(VALU_DEP_3) | instskip(NEXT) | instid1(TRANS32_DEP_3)
	v_add_f32_e32 v72, v72, v70
	v_cndmask_b32_e64 v71, 0, v79, s12
	s_delay_alu instid0(VALU_DEP_3) | instskip(NEXT) | instid1(VALU_DEP_3)
	v_mul_f32_e32 v77, 0x3fb8aa3b, v77
	v_add_f32_e32 v79, v72, v69
	s_delay_alu instid0(TRANS32_DEP_2) | instskip(NEXT) | instid1(VALU_DEP_3)
	v_cndmask_b32_e64 v72, 0, v78, s13
	v_exp_f32_e32 v90, v77
	v_cndmask_b32_e64 v77, 0, v82, s15
	s_delay_alu instid0(VALU_DEP_3) | instskip(SKIP_1) | instid1(VALU_DEP_1)
	v_add_f32_e32 v78, v79, v71
	v_fma_f32 v79, s19, v107, -v68
	v_dual_add_f32 v82, v78, v72 :: v_dual_mul_f32 v79, 0x3fb8aa3b, v79
	v_cndmask_b32_e64 v78, 0, v81, s16
	s_delay_alu instid0(VALU_DEP_2) | instskip(NEXT) | instid1(VALU_DEP_3)
	v_add_f32_e32 v81, v82, v77
	v_exp_f32_e32 v82, v79
	s_delay_alu instid0(TRANS32_DEP_2) | instskip(NEXT) | instid1(VALU_DEP_2)
	v_cndmask_b32_e64 v79, 0, v90, s17
	v_add_f32_e32 v81, v81, v78
	s_delay_alu instid0(VALU_DEP_1) | instskip(SKIP_2) | instid1(VALU_DEP_1)
	v_add_f32_e32 v90, v81, v79
	s_waitcnt_depctr 0xfff
	v_cndmask_b32_e64 v81, 0, v82, s18
	v_add_f32_e32 v82, v90, v81
	ds_bpermute_b32 v89, v89, v82
	s_and_saveexec_b32 s4, s3
	s_cbranch_execz .LBB1686_12
; %bb.11:
	v_mul_u32_u24_e32 v67, 0x44, v66
	s_delay_alu instid0(VALU_DEP_1) | instskip(SKIP_1) | instid1(VALU_DEP_1)
	v_lshl_add_u32 v67, v65, 2, v67
	s_waitcnt lgkmcnt(0)
	v_dual_add_f32 v82, v82, v89 :: v_dual_add_nc_u32 v67, 0x4000, v67
	ds_store_2addr_b32 v67, v68, v82 offset1:136
.LBB1686_12:
	s_or_b32 exec_lo, exec_lo, s4
	v_lshlrev_b32_e32 v67, 2, v65
	s_waitcnt lgkmcnt(0)
	s_barrier
	buffer_gl0_inv
	v_cmp_eq_u32_e32 vcc_lo, 1, v66
	v_add_nc_u32_e32 v82, 0x4000, v67
	v_cmp_eq_u32_e64 s4, 2, v66
	v_cmp_eq_u32_e64 s6, 7, v66
	ds_load_2addr_b32 v[89:90], v82 offset1:17
	ds_load_2addr_b32 v[91:92], v82 offset0:34 offset1:51
	ds_load_2addr_b32 v[93:94], v82 offset0:68 offset1:85
	ds_load_2addr_b32 v[95:96], v82 offset0:102 offset1:119
	ds_load_2addr_b32 v[97:98], v82 offset0:136 offset1:153
	s_waitcnt lgkmcnt(4)
	v_max3_f32 v67, v89, 0xff7fffff, v90
	s_waitcnt lgkmcnt(3)
	s_delay_alu instid0(VALU_DEP_1) | instskip(SKIP_1) | instid1(VALU_DEP_1)
	v_max3_f32 v67, v67, v91, v92
	s_waitcnt lgkmcnt(2)
	v_max3_f32 v67, v67, v93, v94
	s_waitcnt lgkmcnt(1)
	s_delay_alu instid0(VALU_DEP_1) | instskip(NEXT) | instid1(VALU_DEP_1)
	v_max3_f32 v67, v67, v95, v96
	v_sub_f32_e32 v93, v93, v67
	s_delay_alu instid0(VALU_DEP_1) | instskip(NEXT) | instid1(VALU_DEP_1)
	v_dual_sub_f32 v68, v89, v67 :: v_dual_mul_f32 v103, 0x3fb8aa3b, v93
	v_mul_f32_e32 v68, 0x3fb8aa3b, v68
	s_delay_alu instid0(VALU_DEP_1)
	v_exp_f32_e32 v100, v68
	v_sub_f32_e32 v68, v92, v67
	v_sub_f32_e32 v99, v90, v67
	ds_load_2addr_b32 v[89:90], v82 offset0:170 offset1:187
	v_dual_mul_f32 v102, 0x3fb8aa3b, v68 :: v_dual_mul_f32 v99, 0x3fb8aa3b, v99
	s_waitcnt lgkmcnt(1)
	v_fma_f32 v68, v100, v97, 0
	s_delay_alu instid0(VALU_DEP_2) | instskip(NEXT) | instid1(VALU_DEP_2)
	v_exp_f32_e32 v102, v102
	v_exp_f32_e32 v99, v99
	s_waitcnt_depctr 0xfff
	v_fmac_f32_e32 v68, v99, v98
	v_sub_f32_e32 v91, v91, v67
	s_delay_alu instid0(VALU_DEP_1)
	v_mul_f32_e32 v101, 0x3fb8aa3b, v91
	ds_load_2addr_b32 v[91:92], v82 offset0:204 offset1:221
	v_sub_f32_e32 v97, v94, v67
	ds_load_2addr_b32 v[93:94], v82 offset0:238 offset1:255
	s_waitcnt lgkmcnt(0)
	v_exp_f32_e32 v101, v101
	s_barrier
	buffer_gl0_inv
	v_dual_fmac_f32 v68, v101, v89 :: v_dual_sub_f32 v89, v96, v67
	v_dual_sub_f32 v82, v95, v67 :: v_dual_mul_f32 v95, 0x3fb8aa3b, v97
	v_exp_f32_e32 v97, v103
	s_delay_alu instid0(VALU_DEP_2) | instskip(NEXT) | instid1(VALU_DEP_2)
	v_dual_fmac_f32 v68, v102, v90 :: v_dual_mul_f32 v89, 0x3fb8aa3b, v89
	v_mul_f32_e32 v82, 0x3fb8aa3b, v82
	s_delay_alu instid0(VALU_DEP_3) | instskip(NEXT) | instid1(VALU_DEP_2)
	v_exp_f32_e32 v95, v95
	v_exp_f32_e32 v89, v89
	s_delay_alu instid0(VALU_DEP_1)
	v_exp_f32_e32 v82, v82
	v_fmac_f32_e32 v68, v97, v91
	s_delay_alu instid0(TRANS32_DEP_3) | instid1(VALU_DEP_1)
	v_fmac_f32_e32 v68, v95, v92
	s_waitcnt_depctr 0xfff
	v_fmac_f32_e32 v68, v82, v93
	s_delay_alu instid0(VALU_DEP_1) | instskip(NEXT) | instid1(VALU_DEP_1)
	v_fmac_f32_e32 v68, v89, v94
	v_add_f32_e32 v90, 0x358637bd, v68
	s_delay_alu instid0(VALU_DEP_1) | instskip(NEXT) | instid1(VALU_DEP_1)
	v_div_scale_f32 v91, null, v90, v90, 1.0
	v_rcp_f32_e32 v92, v91
	s_waitcnt_depctr 0xfff
	v_fma_f32 v93, -v91, v92, 1.0
	s_delay_alu instid0(VALU_DEP_1) | instskip(SKIP_1) | instid1(VALU_DEP_2)
	v_dual_fmac_f32 v92, v93, v92 :: v_dual_cndmask_b32 v93, v100, v99
	v_cmp_eq_u32_e32 vcc_lo, 3, v66
	v_cndmask_b32_e64 v93, v93, v101, s4
	v_cmp_eq_u32_e64 s4, 4, v66
	s_delay_alu instid0(VALU_DEP_2) | instskip(SKIP_1) | instid1(VALU_DEP_2)
	v_cndmask_b32_e32 v93, v93, v102, vcc_lo
	v_cmp_eq_u32_e32 vcc_lo, 5, v66
	v_cndmask_b32_e64 v93, v93, v97, s4
	v_cmp_eq_u32_e64 s4, 6, v66
	s_delay_alu instid0(VALU_DEP_2) | instskip(SKIP_1) | instid1(VALU_DEP_1)
	v_cndmask_b32_e32 v93, v93, v95, vcc_lo
	v_div_scale_f32 v94, s5, 1.0, v90, 1.0
	s_mov_b32 vcc_lo, s5
	s_delay_alu instid0(VALU_DEP_2) | instskip(NEXT) | instid1(VALU_DEP_2)
	v_cndmask_b32_e64 v82, v93, v82, s4
	v_mul_f32_e32 v96, v94, v92
	s_mov_b32 s4, exec_lo
	s_delay_alu instid0(VALU_DEP_2) | instskip(NEXT) | instid1(VALU_DEP_2)
	v_cndmask_b32_e64 v82, v82, v89, s6
	v_fma_f32 v98, -v91, v96, v94
	s_delay_alu instid0(VALU_DEP_1) | instskip(NEXT) | instid1(VALU_DEP_1)
	v_fmac_f32_e32 v96, v98, v92
	v_fma_f32 v91, -v91, v96, v94
	s_delay_alu instid0(VALU_DEP_1) | instskip(NEXT) | instid1(VALU_DEP_1)
	v_div_fmas_f32 v91, v91, v92, v96
	v_div_fixup_f32 v90, v91, v90, 1.0
	s_delay_alu instid0(VALU_DEP_1) | instskip(NEXT) | instid1(VALU_DEP_1)
	v_mul_f32_e32 v82, v82, v90
	v_mul_f32_e32 v87, v82, v87
	;; [unrolled: 1-line block ×7, first 2 shown]
	v_dual_mul_f32 v86, v82, v83 :: v_dual_and_b32 v91, 0x7f800000, v90
	v_mul_f32_e32 v85, v82, v76
                                        ; implicit-def: $vgpr76
	s_delay_alu instid0(VALU_DEP_2)
	v_cmpx_ne_u32_e32 0x7f800000, v91
	s_xor_b32 s4, exec_lo, s4
; %bb.13:
	v_bfe_u32 v76, v90, 16, 1
	s_delay_alu instid0(VALU_DEP_1)
	v_add3_u32 v76, v90, v76, 0x7fff
                                        ; implicit-def: $vgpr90
; %bb.14:
	s_and_not1_saveexec_b32 s4, s4
; %bb.15:
	v_and_b32_e32 v76, 0xffff, v90
	v_or_b32_e32 v83, 0x10000, v90
	s_delay_alu instid0(VALU_DEP_2) | instskip(NEXT) | instid1(VALU_DEP_2)
	v_cmp_eq_u32_e32 vcc_lo, 0, v76
	v_cndmask_b32_e32 v76, v83, v90, vcc_lo
; %bb.16:
	s_or_b32 exec_lo, exec_lo, s4
	v_and_b32_e32 v83, 0x7f800000, v85
	s_delay_alu instid0(VALU_DEP_1) | instskip(SKIP_1) | instid1(SALU_CYCLE_1)
	v_cmp_ne_u32_e32 vcc_lo, 0x7f800000, v83
                                        ; implicit-def: $vgpr83
	s_and_saveexec_b32 s4, vcc_lo
	s_xor_b32 s4, exec_lo, s4
; %bb.17:
	v_bfe_u32 v83, v85, 16, 1
	s_delay_alu instid0(VALU_DEP_1)
	v_add3_u32 v83, v85, v83, 0x7fff
                                        ; implicit-def: $vgpr85
; %bb.18:
	s_and_not1_saveexec_b32 s4, s4
; %bb.19:
	v_and_b32_e32 v83, 0xffff, v85
	v_or_b32_e32 v90, 0x10000, v85
	s_delay_alu instid0(VALU_DEP_2) | instskip(NEXT) | instid1(VALU_DEP_2)
	v_cmp_eq_u32_e32 vcc_lo, 0, v83
	v_cndmask_b32_e32 v83, v90, v85, vcc_lo
; %bb.20:
	s_or_b32 exec_lo, exec_lo, s4
	v_and_b32_e32 v85, 0x7f800000, v86
	s_delay_alu instid0(VALU_DEP_1) | instskip(SKIP_1) | instid1(SALU_CYCLE_1)
	v_cmp_ne_u32_e32 vcc_lo, 0x7f800000, v85
                                        ; implicit-def: $vgpr85
	s_and_saveexec_b32 s4, vcc_lo
	s_xor_b32 s4, exec_lo, s4
; %bb.21:
	v_bfe_u32 v85, v86, 16, 1
	s_delay_alu instid0(VALU_DEP_1)
	v_add3_u32 v85, v86, v85, 0x7fff
                                        ; implicit-def: $vgpr86
; %bb.22:
	s_and_not1_saveexec_b32 s4, s4
; %bb.23:
	v_and_b32_e32 v85, 0xffff, v86
	v_or_b32_e32 v90, 0x10000, v86
	s_delay_alu instid0(VALU_DEP_2) | instskip(NEXT) | instid1(VALU_DEP_2)
	v_cmp_eq_u32_e32 vcc_lo, 0, v85
	v_cndmask_b32_e32 v85, v90, v86, vcc_lo
; %bb.24:
	s_or_b32 exec_lo, exec_lo, s4
	v_and_b32_e32 v86, 0x7f800000, v89
	s_delay_alu instid0(VALU_DEP_1) | instskip(SKIP_1) | instid1(SALU_CYCLE_1)
	v_cmp_ne_u32_e32 vcc_lo, 0x7f800000, v86
                                        ; implicit-def: $vgpr86
	s_and_saveexec_b32 s4, vcc_lo
	s_xor_b32 s4, exec_lo, s4
; %bb.25:
	v_bfe_u32 v86, v89, 16, 1
	s_delay_alu instid0(VALU_DEP_1)
	v_add3_u32 v86, v89, v86, 0x7fff
                                        ; implicit-def: $vgpr89
; %bb.26:
	s_and_not1_saveexec_b32 s4, s4
; %bb.27:
	v_and_b32_e32 v86, 0xffff, v89
	v_or_b32_e32 v90, 0x10000, v89
	s_delay_alu instid0(VALU_DEP_2) | instskip(NEXT) | instid1(VALU_DEP_2)
	v_cmp_eq_u32_e32 vcc_lo, 0, v86
	v_cndmask_b32_e32 v86, v90, v89, vcc_lo
; %bb.28:
	s_or_b32 exec_lo, exec_lo, s4
	v_and_b32_e32 v89, 0x7f800000, v88
	s_delay_alu instid0(VALU_DEP_1) | instskip(SKIP_1) | instid1(SALU_CYCLE_1)
	v_cmp_ne_u32_e32 vcc_lo, 0x7f800000, v89
                                        ; implicit-def: $vgpr89
	s_and_saveexec_b32 s4, vcc_lo
	s_xor_b32 s4, exec_lo, s4
; %bb.29:
	v_bfe_u32 v89, v88, 16, 1
	s_delay_alu instid0(VALU_DEP_1)
	v_add3_u32 v89, v88, v89, 0x7fff
                                        ; implicit-def: $vgpr88
; %bb.30:
	s_and_not1_saveexec_b32 s4, s4
; %bb.31:
	v_and_b32_e32 v89, 0xffff, v88
	v_or_b32_e32 v90, 0x10000, v88
	s_delay_alu instid0(VALU_DEP_2) | instskip(NEXT) | instid1(VALU_DEP_2)
	v_cmp_eq_u32_e32 vcc_lo, 0, v89
	v_cndmask_b32_e32 v89, v90, v88, vcc_lo
; %bb.32:
	s_or_b32 exec_lo, exec_lo, s4
	v_and_b32_e32 v88, 0x7f800000, v87
	s_delay_alu instid0(VALU_DEP_1) | instskip(SKIP_1) | instid1(SALU_CYCLE_1)
	v_cmp_ne_u32_e32 vcc_lo, 0x7f800000, v88
                                        ; implicit-def: $vgpr88
	s_and_saveexec_b32 s4, vcc_lo
	s_xor_b32 s4, exec_lo, s4
; %bb.33:
	v_bfe_u32 v88, v87, 16, 1
	s_delay_alu instid0(VALU_DEP_1)
	v_add3_u32 v88, v87, v88, 0x7fff
                                        ; implicit-def: $vgpr87
; %bb.34:
	s_and_not1_saveexec_b32 s4, s4
; %bb.35:
	v_and_b32_e32 v88, 0xffff, v87
	v_or_b32_e32 v90, 0x10000, v87
	s_delay_alu instid0(VALU_DEP_2) | instskip(NEXT) | instid1(VALU_DEP_2)
	v_cmp_eq_u32_e32 vcc_lo, 0, v88
	v_cndmask_b32_e32 v88, v90, v87, vcc_lo
; %bb.36:
	s_or_b32 exec_lo, exec_lo, s4
	v_and_b32_e32 v87, 0x7f800000, v84
	s_delay_alu instid0(VALU_DEP_1) | instskip(SKIP_1) | instid1(SALU_CYCLE_1)
	v_cmp_ne_u32_e32 vcc_lo, 0x7f800000, v87
                                        ; implicit-def: $vgpr87
	s_and_saveexec_b32 s4, vcc_lo
	s_xor_b32 s4, exec_lo, s4
; %bb.37:
	v_bfe_u32 v87, v84, 16, 1
	s_delay_alu instid0(VALU_DEP_1)
	v_add3_u32 v87, v84, v87, 0x7fff
                                        ; implicit-def: $vgpr84
; %bb.38:
	s_and_not1_saveexec_b32 s4, s4
; %bb.39:
	v_and_b32_e32 v87, 0xffff, v84
	v_or_b32_e32 v90, 0x10000, v84
	s_delay_alu instid0(VALU_DEP_2) | instskip(NEXT) | instid1(VALU_DEP_2)
	v_cmp_eq_u32_e32 vcc_lo, 0, v87
	v_cndmask_b32_e32 v87, v90, v84, vcc_lo
; %bb.40:
	s_or_b32 exec_lo, exec_lo, s4
	v_and_b32_e32 v84, 0x7f800000, v80
	s_delay_alu instid0(VALU_DEP_1) | instskip(SKIP_1) | instid1(SALU_CYCLE_1)
	v_cmp_ne_u32_e32 vcc_lo, 0x7f800000, v84
                                        ; implicit-def: $vgpr84
	s_and_saveexec_b32 s4, vcc_lo
	s_xor_b32 s4, exec_lo, s4
; %bb.41:
	v_bfe_u32 v84, v80, 16, 1
	s_delay_alu instid0(VALU_DEP_1)
	v_add3_u32 v84, v80, v84, 0x7fff
                                        ; implicit-def: $vgpr80
; %bb.42:
	s_and_not1_saveexec_b32 s4, s4
; %bb.43:
	v_and_b32_e32 v84, 0xffff, v80
	v_or_b32_e32 v90, 0x10000, v80
	s_delay_alu instid0(VALU_DEP_2) | instskip(NEXT) | instid1(VALU_DEP_2)
	v_cmp_eq_u32_e32 vcc_lo, 0, v84
	v_cndmask_b32_e32 v84, v90, v80, vcc_lo
; %bb.44:
	s_or_b32 exec_lo, exec_lo, s4
	s_load_b64 s[36:37], s[0:1], 0x94
	v_lshlrev_b32_e32 v91, 4, v74
	s_delay_alu instid0(VALU_DEP_2)
	v_perm_b32 v90, v84, v87, 0x7060302
	v_dual_mul_f32 v79, v82, v79 :: v_dual_lshlrev_b32 v80, 6, v65
	v_dual_mul_f32 v77, v82, v77 :: v_dual_lshlrev_b32 v92, 11, v66
	v_mul_f32_e32 v84, v82, v70
	v_perm_b32 v89, v88, v89, 0x7060302
	v_perm_b32 v88, v86, v85, 0x7060302
	;; [unrolled: 1-line block ×3, first 2 shown]
	v_mul_f32_e32 v70, v82, v81
	v_or3_b32 v76, v91, v92, v80
	v_dual_mul_f32 v78, v82, v78 :: v_dual_and_b32 v85, 0x7f800000, v84
	v_mul_f32_e32 v83, v82, v72
	v_mul_f32_e32 v81, v82, v71
	;; [unrolled: 1-line block ×3, first 2 shown]
	s_mov_b32 s4, exec_lo
	ds_store_b128 v76, v[87:90]
                                        ; implicit-def: $vgpr69
	v_cmpx_ne_u32_e32 0x7f800000, v85
	s_xor_b32 s4, exec_lo, s4
; %bb.45:
	v_bfe_u32 v69, v84, 16, 1
	s_delay_alu instid0(VALU_DEP_1)
	v_add3_u32 v69, v84, v69, 0x7fff
                                        ; implicit-def: $vgpr84
; %bb.46:
	s_and_not1_saveexec_b32 s4, s4
; %bb.47:
	v_and_b32_e32 v69, 0xffff, v84
	v_or_b32_e32 v71, 0x10000, v84
	s_delay_alu instid0(VALU_DEP_2) | instskip(NEXT) | instid1(VALU_DEP_2)
	v_cmp_eq_u32_e32 vcc_lo, 0, v69
	v_cndmask_b32_e32 v69, v71, v84, vcc_lo
; %bb.48:
	s_or_b32 exec_lo, exec_lo, s4
	v_and_b32_e32 v71, 0x7f800000, v72
	s_delay_alu instid0(VALU_DEP_1) | instskip(SKIP_1) | instid1(SALU_CYCLE_1)
	v_cmp_ne_u32_e32 vcc_lo, 0x7f800000, v71
                                        ; implicit-def: $vgpr71
	s_and_saveexec_b32 s4, vcc_lo
	s_xor_b32 s4, exec_lo, s4
; %bb.49:
	v_bfe_u32 v71, v72, 16, 1
	s_delay_alu instid0(VALU_DEP_1)
	v_add3_u32 v71, v72, v71, 0x7fff
                                        ; implicit-def: $vgpr72
; %bb.50:
	s_and_not1_saveexec_b32 s4, s4
; %bb.51:
	v_and_b32_e32 v71, 0xffff, v72
	v_or_b32_e32 v82, 0x10000, v72
	s_delay_alu instid0(VALU_DEP_2) | instskip(NEXT) | instid1(VALU_DEP_2)
	v_cmp_eq_u32_e32 vcc_lo, 0, v71
	v_cndmask_b32_e32 v71, v82, v72, vcc_lo
; %bb.52:
	s_or_b32 exec_lo, exec_lo, s4
	v_and_b32_e32 v72, 0x7f800000, v81
	s_delay_alu instid0(VALU_DEP_1) | instskip(SKIP_1) | instid1(SALU_CYCLE_1)
	v_cmp_ne_u32_e32 vcc_lo, 0x7f800000, v72
                                        ; implicit-def: $vgpr72
	s_and_saveexec_b32 s4, vcc_lo
	s_xor_b32 s4, exec_lo, s4
; %bb.53:
	v_bfe_u32 v72, v81, 16, 1
	s_delay_alu instid0(VALU_DEP_1)
	v_add3_u32 v72, v81, v72, 0x7fff
                                        ; implicit-def: $vgpr81
; %bb.54:
	s_and_not1_saveexec_b32 s4, s4
; %bb.55:
	v_and_b32_e32 v72, 0xffff, v81
	v_or_b32_e32 v82, 0x10000, v81
	s_delay_alu instid0(VALU_DEP_2) | instskip(NEXT) | instid1(VALU_DEP_2)
	v_cmp_eq_u32_e32 vcc_lo, 0, v72
	v_cndmask_b32_e32 v72, v82, v81, vcc_lo
; %bb.56:
	s_or_b32 exec_lo, exec_lo, s4
	v_and_b32_e32 v81, 0x7f800000, v83
	s_delay_alu instid0(VALU_DEP_1) | instskip(SKIP_1) | instid1(SALU_CYCLE_1)
	v_cmp_ne_u32_e32 vcc_lo, 0x7f800000, v81
                                        ; implicit-def: $vgpr81
	s_and_saveexec_b32 s4, vcc_lo
	s_xor_b32 s4, exec_lo, s4
; %bb.57:
	v_bfe_u32 v81, v83, 16, 1
	s_delay_alu instid0(VALU_DEP_1)
	v_add3_u32 v81, v83, v81, 0x7fff
                                        ; implicit-def: $vgpr83
; %bb.58:
	s_and_not1_saveexec_b32 s4, s4
; %bb.59:
	v_and_b32_e32 v81, 0xffff, v83
	v_or_b32_e32 v82, 0x10000, v83
	s_delay_alu instid0(VALU_DEP_2) | instskip(NEXT) | instid1(VALU_DEP_2)
	v_cmp_eq_u32_e32 vcc_lo, 0, v81
	v_cndmask_b32_e32 v81, v82, v83, vcc_lo
; %bb.60:
	s_or_b32 exec_lo, exec_lo, s4
	v_and_b32_e32 v82, 0x7f800000, v77
	s_delay_alu instid0(VALU_DEP_1) | instskip(SKIP_1) | instid1(SALU_CYCLE_1)
	v_cmp_ne_u32_e32 vcc_lo, 0x7f800000, v82
                                        ; implicit-def: $vgpr82
	s_and_saveexec_b32 s4, vcc_lo
	s_xor_b32 s4, exec_lo, s4
; %bb.61:
	v_bfe_u32 v82, v77, 16, 1
	s_delay_alu instid0(VALU_DEP_1)
	v_add3_u32 v82, v77, v82, 0x7fff
                                        ; implicit-def: $vgpr77
; %bb.62:
	s_and_not1_saveexec_b32 s4, s4
; %bb.63:
	v_and_b32_e32 v82, 0xffff, v77
	v_or_b32_e32 v83, 0x10000, v77
	s_delay_alu instid0(VALU_DEP_2) | instskip(NEXT) | instid1(VALU_DEP_2)
	v_cmp_eq_u32_e32 vcc_lo, 0, v82
	v_cndmask_b32_e32 v82, v83, v77, vcc_lo
; %bb.64:
	s_or_b32 exec_lo, exec_lo, s4
	v_and_b32_e32 v77, 0x7f800000, v78
	s_delay_alu instid0(VALU_DEP_1) | instskip(SKIP_1) | instid1(SALU_CYCLE_1)
	v_cmp_ne_u32_e32 vcc_lo, 0x7f800000, v77
                                        ; implicit-def: $vgpr77
	s_and_saveexec_b32 s4, vcc_lo
	s_xor_b32 s4, exec_lo, s4
; %bb.65:
	v_bfe_u32 v77, v78, 16, 1
	s_delay_alu instid0(VALU_DEP_1)
	v_add3_u32 v77, v78, v77, 0x7fff
                                        ; implicit-def: $vgpr78
; %bb.66:
	s_and_not1_saveexec_b32 s4, s4
; %bb.67:
	v_and_b32_e32 v77, 0xffff, v78
	v_or_b32_e32 v83, 0x10000, v78
	s_delay_alu instid0(VALU_DEP_2) | instskip(NEXT) | instid1(VALU_DEP_2)
	v_cmp_eq_u32_e32 vcc_lo, 0, v77
	v_cndmask_b32_e32 v77, v83, v78, vcc_lo
; %bb.68:
	s_or_b32 exec_lo, exec_lo, s4
	v_and_b32_e32 v78, 0x7f800000, v79
	s_delay_alu instid0(VALU_DEP_1) | instskip(SKIP_1) | instid1(SALU_CYCLE_1)
	v_cmp_ne_u32_e32 vcc_lo, 0x7f800000, v78
                                        ; implicit-def: $vgpr78
	s_and_saveexec_b32 s4, vcc_lo
	s_xor_b32 s4, exec_lo, s4
; %bb.69:
	v_bfe_u32 v78, v79, 16, 1
	s_delay_alu instid0(VALU_DEP_1)
	v_add3_u32 v78, v79, v78, 0x7fff
                                        ; implicit-def: $vgpr79
; %bb.70:
	s_and_not1_saveexec_b32 s4, s4
; %bb.71:
	v_and_b32_e32 v78, 0xffff, v79
	v_or_b32_e32 v83, 0x10000, v79
	s_delay_alu instid0(VALU_DEP_2) | instskip(NEXT) | instid1(VALU_DEP_2)
	v_cmp_eq_u32_e32 vcc_lo, 0, v78
	v_cndmask_b32_e32 v78, v83, v79, vcc_lo
; %bb.72:
	s_or_b32 exec_lo, exec_lo, s4
	v_and_b32_e32 v79, 0x7f800000, v70
	s_delay_alu instid0(VALU_DEP_1) | instskip(SKIP_1) | instid1(SALU_CYCLE_1)
	v_cmp_ne_u32_e32 vcc_lo, 0x7f800000, v79
                                        ; implicit-def: $vgpr79
	s_and_saveexec_b32 s4, vcc_lo
	s_xor_b32 s4, exec_lo, s4
; %bb.73:
	v_bfe_u32 v79, v70, 16, 1
	s_delay_alu instid0(VALU_DEP_1)
	v_add3_u32 v79, v70, v79, 0x7fff
                                        ; implicit-def: $vgpr70
; %bb.74:
	s_and_not1_saveexec_b32 s4, s4
; %bb.75:
	v_and_b32_e32 v79, 0xffff, v70
	v_or_b32_e32 v83, 0x10000, v70
	s_delay_alu instid0(VALU_DEP_2) | instskip(NEXT) | instid1(VALU_DEP_2)
	v_cmp_eq_u32_e32 vcc_lo, 0, v79
	v_cndmask_b32_e32 v79, v83, v70, vcc_lo
; %bb.76:
	s_or_b32 exec_lo, exec_lo, s4
	s_delay_alu instid0(VALU_DEP_1)
	v_perm_b32 v86, v79, v78, 0x7060302
	v_perm_b32 v85, v77, v82, 0x7060302
	;; [unrolled: 1-line block ×4, first 2 shown]
	v_lshl_or_b32 v82, v66, 11, v80
	ds_store_b128 v76, v[83:86] offset:1024
	s_waitcnt lgkmcnt(0)
	s_barrier
	buffer_gl0_inv
	ds_load_b128 v[69:72], v82
	ds_load_b128 v[83:86], v82 offset:16
	s_waitcnt lgkmcnt(1)
	v_lshrrev_b32_e32 v66, 16, v69
	s_waitcnt lgkmcnt(0)
	v_lshrrev_b32_e32 v91, 16, v83
	v_lshlrev_b32_e32 v78, 2, v74
	v_lshrrev_b32_e32 v95, 16, v70
	v_lshrrev_b32_e32 v98, 16, v84
	;; [unrolled: 1-line block ×4, first 2 shown]
	v_cmp_eq_u32_e32 vcc_lo, 1, v78
	v_lshrrev_b32_e32 v97, 16, v72
	v_lshrrev_b32_e32 v100, 16, v86
	v_cndmask_b32_e32 v87, v83, v91, vcc_lo
	v_or_b32_e32 v79, 1, v78
	v_cndmask_b32_e32 v81, v69, v66, vcc_lo
	v_cmp_eq_u32_e64 s5, 2, v78
	v_cmp_eq_u32_e64 s8, 3, v78
	;; [unrolled: 1-line block ×5, first 2 shown]
	v_cndmask_b32_e64 v81, v81, v70, s5
	v_cndmask_b32_e64 v87, v87, v84, s5
	v_cmp_eq_u32_e64 s9, 3, v79
	v_cndmask_b32_e64 v88, v69, v66, s4
	v_or_b32_e32 v77, 2, v78
	v_cndmask_b32_e64 v81, v81, v95, s8
	v_cndmask_b32_e64 v87, v87, v98, s8
	;; [unrolled: 1-line block ×4, first 2 shown]
	v_cmp_eq_u32_e64 s11, 5, v78
	v_cndmask_b32_e64 v81, v81, v71, s10
	v_cndmask_b32_e64 v87, v87, v85, s10
	v_cmp_eq_u32_e64 s12, 4, v79
	v_cndmask_b32_e64 v88, v88, v95, s9
	v_cmp_eq_u32_e64 s6, 1, v77
	v_cndmask_b32_e64 v89, v89, v84, s7
	v_cndmask_b32_e64 v81, v81, v96, s11
	v_cmp_eq_u32_e64 s13, 6, v78
	v_cndmask_b32_e64 v88, v88, v71, s12
	;; [unrolled: 3-line block ×3, first 2 shown]
	v_cndmask_b32_e64 v89, v89, v98, s9
	v_cndmask_b32_e64 v81, v81, v72, s13
	v_cmp_eq_u32_e64 s16, 7, v78
	v_cndmask_b32_e64 v88, v88, v96, s15
	v_cndmask_b32_e64 v87, v87, v86, s13
	v_cmp_eq_u32_e64 s17, 6, v79
	v_cmp_eq_u32_e64 s18, 2, v77
	v_cndmask_b32_e64 v89, v89, v85, s12
	v_cndmask_b32_e64 v101, v81, v97, s16
	;; [unrolled: 1-line block ×6, first 2 shown]
	v_cmp_eq_u32_e64 s19, 7, v79
	v_cmp_eq_u32_e64 s20, 3, v77
	v_cmp_eq_u32_e64 s21, 4, v77
	v_cmp_eq_u32_e64 s23, 5, v77
	v_cndmask_b32_e64 v87, v87, v84, s18
	v_cndmask_b32_e64 v103, v88, v97, s19
	;; [unrolled: 1-line block ×4, first 2 shown]
	v_or_b32_e32 v81, 3, v78
	v_cndmask_b32_e64 v93, v87, v98, s20
	v_cmp_eq_u32_e64 s25, 6, v77
	v_cndmask_b32_e64 v104, v88, v86, s17
	v_cndmask_b32_e64 v92, v89, v71, s21
	v_cmp_eq_u32_e64 s22, 1, v81
	ds_load_b128 v[87:90], v82 offset:1024
	v_cmp_eq_u32_e64 s24, 2, v81
	v_cmp_eq_u32_e64 s26, 3, v81
	v_cndmask_b32_e64 v105, v92, v96, s23
	v_cndmask_b32_e64 v66, v69, v66, s22
	;; [unrolled: 1-line block ×4, first 2 shown]
	ds_load_b128 v[91:94], v82 offset:1040
	v_cmp_eq_u32_e64 s27, 4, v81
	v_cndmask_b32_e64 v66, v66, v70, s24
	v_cmp_eq_u32_e64 s28, 7, v77
	v_cndmask_b32_e64 v70, v83, v84, s24
	v_cndmask_b32_e64 v84, v105, v72, s25
	v_cmp_eq_u32_e64 s29, 5, v81
	v_cndmask_b32_e64 v66, v66, v95, s26
	v_cmp_eq_u32_e64 s30, 6, v81
	v_cndmask_b32_e64 v70, v70, v98, s26
	v_cndmask_b32_e64 v69, v69, v99, s23
	;; [unrolled: 1-line block ×4, first 2 shown]
	s_waitcnt lgkmcnt(1)
	v_lshrrev_b32_e32 v95, 16, v87
	v_cndmask_b32_e64 v70, v70, v85, s27
	v_cndmask_b32_e64 v71, v84, v97, s28
	;; [unrolled: 1-line block ×4, first 2 shown]
	v_cndmask_b32_e32 v84, v87, v95, vcc_lo
	v_cndmask_b32_e64 v70, v70, v99, s29
	s_waitcnt lgkmcnt(0)
	v_lshrrev_b32_e32 v85, 16, v91
	v_lshrrev_b32_e32 v96, 16, v88
	v_cndmask_b32_e64 v98, v87, v95, s4
	v_cndmask_b32_e64 v84, v84, v88, s5
	;; [unrolled: 1-line block ×3, first 2 shown]
	v_cndmask_b32_e32 v99, v91, v85, vcc_lo
	v_cmp_eq_u32_e32 vcc_lo, 7, v81
	v_cndmask_b32_e64 v66, v66, v72, s30
	v_cndmask_b32_e64 v72, v84, v96, s8
	;; [unrolled: 1-line block ×3, first 2 shown]
	v_lshrrev_b32_e32 v98, 16, v92
	v_cndmask_b32_e32 v70, v70, v100, vcc_lo
	v_cndmask_b32_e64 v86, v99, v92, s5
	v_cndmask_b32_e64 v69, v69, v100, s28
	v_lshrrev_b32_e32 v100, 16, v93
	v_cndmask_b32_e64 v72, v72, v89, s10
	v_lshrrev_b32_e32 v99, 16, v89
	v_cndmask_b32_e64 v86, v86, v98, s8
	v_perm_b32 v71, v69, v71, 0x5040100
	v_cndmask_b32_e64 v84, v84, v96, s9
	s_delay_alu instid0(VALU_DEP_3) | instskip(NEXT) | instid1(VALU_DEP_2)
	v_cndmask_b32_e64 v86, v86, v93, s10
	v_cndmask_b32_e64 v84, v84, v89, s12
	s_delay_alu instid0(VALU_DEP_2) | instskip(NEXT) | instid1(VALU_DEP_1)
	v_cndmask_b32_e64 v86, v86, v100, s11
	v_cndmask_b32_e64 v69, v86, v94, s13
	;; [unrolled: 1-line block ×5, first 2 shown]
	s_delay_alu instid0(VALU_DEP_3) | instskip(NEXT) | instid1(VALU_DEP_3)
	v_cndmask_b32_e64 v86, v86, v88, s18
	v_cndmask_b32_e64 v87, v87, v88, s24
	s_delay_alu instid0(VALU_DEP_3) | instskip(NEXT) | instid1(VALU_DEP_3)
	v_cndmask_b32_e64 v88, v95, v92, s24
	v_cndmask_b32_e64 v86, v86, v96, s20
	;; [unrolled: 3-line block ×7, first 2 shown]
	s_delay_alu instid0(VALU_DEP_3) | instskip(SKIP_2) | instid1(VALU_DEP_2)
	v_cndmask_b32_e64 v88, v88, v94, s30
	v_cndmask_b32_e32 v66, v66, v97, vcc_lo
	v_cndmask_b32_e64 v97, v72, v99, s11
	v_perm_b32 v72, v70, v66, 0x5040100
	v_perm_b32 v70, v83, v103, 0x5040100
	v_cndmask_b32_e64 v103, v91, v85, s6
	v_cndmask_b32_e64 v85, v91, v85, s4
	;; [unrolled: 1-line block ×4, first 2 shown]
	v_lshrrev_b32_e32 v97, 16, v90
	v_cndmask_b32_e64 v91, v103, v92, s18
	v_cndmask_b32_e64 v85, v85, v92, s7
	;; [unrolled: 1-line block ×3, first 2 shown]
	s_mov_b32 s4, exec_lo
	v_cndmask_b32_e64 v83, v84, v97, s16
	v_cndmask_b32_e64 v91, v91, v98, s20
	;; [unrolled: 1-line block ×3, first 2 shown]
	v_lshrrev_b32_e32 v84, 16, v94
	v_cndmask_b32_e64 v66, v66, v97, s19
	v_cndmask_b32_e64 v90, v86, v97, s28
	;; [unrolled: 1-line block ×4, first 2 shown]
	v_dual_cndmask_b32 v86, v87, v97 :: v_dual_cndmask_b32 v87, v88, v84
	v_cndmask_b32_e64 v91, v69, v84, s16
	s_delay_alu instid0(VALU_DEP_4) | instskip(NEXT) | instid1(VALU_DEP_4)
	v_cndmask_b32_e64 v89, v89, v100, s23
	v_cndmask_b32_e64 v85, v85, v100, s15
	v_perm_b32 v69, v102, v101, 0x5040100
	v_perm_b32 v86, v87, v86, 0x5040100
	v_perm_b32 v83, v91, v83, 0x5040100
	v_cndmask_b32_e64 v89, v89, v94, s25
	v_cndmask_b32_e64 v85, v85, v94, s17
	s_mul_i32 s9, s37, 9
	s_delay_alu instid0(VALU_DEP_2) | instskip(NEXT) | instid1(VALU_DEP_2)
	v_cndmask_b32_e64 v88, v89, v84, s28
	v_cndmask_b32_e64 v89, v85, v84, s19
	s_delay_alu instid0(VALU_DEP_2) | instskip(NEXT) | instid1(VALU_DEP_2)
	v_perm_b32 v85, v88, v90, 0x5040100
	v_perm_b32 v84, v89, v66, 0x5040100
	ds_store_b128 v76, v[69:72]
	ds_store_b128 v76, v[83:86] offset:1024
	v_cmpx_gt_u32_e32 9, v0
	s_cbranch_execz .LBB1686_78
; %bb.77:
	s_mul_i32 s5, s9, s34
	s_load_b128 s[16:19], s[0:1], 0x58
	v_add3_u32 v69, s5, s31, v65
	s_delay_alu instid0(VALU_DEP_1) | instskip(NEXT) | instid1(VALU_DEP_1)
	v_mad_u64_u32 v[65:66], null, v69, s36, s[14:15]
	v_ashrrev_i32_e32 v66, 31, v65
	s_delay_alu instid0(VALU_DEP_1) | instskip(SKIP_1) | instid1(VALU_DEP_1)
	v_lshlrev_b64 v[65:66], 2, v[65:66]
	s_waitcnt lgkmcnt(0)
	v_add_co_u32 v69, vcc_lo, s18, v65
	s_delay_alu instid0(VALU_DEP_2)
	v_add_co_ci_u32_e32 v70, vcc_lo, s19, v66, vcc_lo
	v_add_co_u32 v65, vcc_lo, s16, v65
	v_add_co_ci_u32_e32 v66, vcc_lo, s17, v66, vcc_lo
	global_store_b32 v[69:70], v67, off
	global_store_b32 v[65:66], v68, off
.LBB1686_78:
	s_or_b32 exec_lo, exec_lo, s4
	s_waitcnt lgkmcnt(0)
	s_waitcnt_vscnt null, 0x0
	s_barrier
	buffer_gl0_inv
	ds_load_b128 v[83:86], v80
	ds_load_b128 v[87:90], v80 offset:16
	ds_load_b128 v[95:98], v80 offset:2064
	;; [unrolled: 1-line block ×3, first 2 shown]
	v_mov_b32_e32 v65, 0
	ds_load_b128 v[103:106], v80 offset:4112
	ds_load_b128 v[99:102], v80 offset:4096
	;; [unrolled: 1-line block ×4, first 2 shown]
	v_mov_b32_e32 v66, v65
	v_mov_b32_e32 v67, v65
	v_mov_b32_e32 v68, v65
	v_mov_b32_e32 v69, v65
	v_mov_b32_e32 v70, v65
	v_mov_b32_e32 v71, v65
	v_mov_b32_e32 v72, v65
	s_waitcnt lgkmcnt(6)
	s_delay_alu instid0(VALU_DEP_1)
	v_wmma_f32_16x16x16_bf16 v[65:72], v[57:64], v[83:90], v[65:72]
	ds_load_b128 v[61:64], v80 offset:8208
	ds_load_b128 v[57:60], v80 offset:8192
	s_waitcnt lgkmcnt(6)
	v_wmma_f32_16x16x16_bf16 v[65:72], v[41:48], v[91:98], v[65:72]
	ds_load_b128 v[45:48], v80 offset:10256
	ds_load_b128 v[41:44], v80 offset:10240
	s_waitcnt lgkmcnt(6)
	;; [unrolled: 4-line block ×4, first 2 shown]
	v_wmma_f32_16x16x16_bf16 v[65:72], v[1:8], v[57:64], v[65:72]
	s_waitcnt lgkmcnt(4)
	s_delay_alu instid0(VALU_DEP_1) | instskip(SKIP_1) | instid1(VALU_DEP_1)
	v_wmma_f32_16x16x16_bf16 v[65:72], v[9:16], v[41:48], v[65:72]
	s_waitcnt lgkmcnt(2)
	v_wmma_f32_16x16x16_bf16 v[65:72], v[17:24], v[33:40], v[65:72]
	s_waitcnt lgkmcnt(0)
	s_delay_alu instid0(VALU_DEP_1) | instskip(NEXT) | instid1(VALU_DEP_1)
	v_wmma_f32_16x16x16_bf16 v[65:72], v[49:56], v[25:32], v[65:72]
	v_and_b32_e32 v1, 0x7f800000, v65
	s_delay_alu instid0(VALU_DEP_1) | instskip(SKIP_1) | instid1(SALU_CYCLE_1)
	v_cmp_ne_u32_e32 vcc_lo, 0x7f800000, v1
                                        ; implicit-def: $vgpr1
	s_and_saveexec_b32 s4, vcc_lo
	s_xor_b32 s4, exec_lo, s4
; %bb.79:
	v_bfe_u32 v1, v65, 16, 1
	s_delay_alu instid0(VALU_DEP_1)
	v_add3_u32 v1, v65, v1, 0x7fff
; %bb.80:
	s_and_not1_saveexec_b32 s4, s4
; %bb.81:
	v_and_b32_e32 v1, 0xffff, v65
	v_or_b32_e32 v2, 0x10000, v65
	s_delay_alu instid0(VALU_DEP_2) | instskip(NEXT) | instid1(VALU_DEP_2)
	v_cmp_eq_u32_e32 vcc_lo, 0, v1
	v_cndmask_b32_e32 v1, v2, v65, vcc_lo
; %bb.82:
	s_or_b32 exec_lo, exec_lo, s4
	v_and_b32_e32 v2, 0x7f800000, v66
	s_delay_alu instid0(VALU_DEP_1) | instskip(SKIP_1) | instid1(SALU_CYCLE_1)
	v_cmp_ne_u32_e32 vcc_lo, 0x7f800000, v2
                                        ; implicit-def: $vgpr2
	s_and_saveexec_b32 s4, vcc_lo
	s_xor_b32 s4, exec_lo, s4
; %bb.83:
	v_bfe_u32 v2, v66, 16, 1
	s_delay_alu instid0(VALU_DEP_1)
	v_add3_u32 v2, v66, v2, 0x7fff
; %bb.84:
	s_and_not1_saveexec_b32 s4, s4
; %bb.85:
	v_and_b32_e32 v2, 0xffff, v66
	v_or_b32_e32 v3, 0x10000, v66
	s_delay_alu instid0(VALU_DEP_2) | instskip(NEXT) | instid1(VALU_DEP_2)
	v_cmp_eq_u32_e32 vcc_lo, 0, v2
	v_cndmask_b32_e32 v2, v3, v66, vcc_lo
; %bb.86:
	s_or_b32 exec_lo, exec_lo, s4
	v_and_b32_e32 v3, 0x7f800000, v67
	s_delay_alu instid0(VALU_DEP_1) | instskip(SKIP_1) | instid1(SALU_CYCLE_1)
	v_cmp_ne_u32_e32 vcc_lo, 0x7f800000, v3
                                        ; implicit-def: $vgpr3
	s_and_saveexec_b32 s4, vcc_lo
	s_xor_b32 s4, exec_lo, s4
; %bb.87:
	v_bfe_u32 v3, v67, 16, 1
	s_delay_alu instid0(VALU_DEP_1)
	v_add3_u32 v3, v67, v3, 0x7fff
; %bb.88:
	s_and_not1_saveexec_b32 s4, s4
; %bb.89:
	v_and_b32_e32 v3, 0xffff, v67
	v_or_b32_e32 v4, 0x10000, v67
	s_delay_alu instid0(VALU_DEP_2) | instskip(NEXT) | instid1(VALU_DEP_2)
	v_cmp_eq_u32_e32 vcc_lo, 0, v3
	v_cndmask_b32_e32 v3, v4, v67, vcc_lo
; %bb.90:
	s_or_b32 exec_lo, exec_lo, s4
	v_and_b32_e32 v4, 0x7f800000, v68
	s_delay_alu instid0(VALU_DEP_1) | instskip(SKIP_1) | instid1(SALU_CYCLE_1)
	v_cmp_ne_u32_e32 vcc_lo, 0x7f800000, v4
                                        ; implicit-def: $vgpr4
	s_and_saveexec_b32 s4, vcc_lo
	s_xor_b32 s4, exec_lo, s4
; %bb.91:
	v_bfe_u32 v4, v68, 16, 1
	s_delay_alu instid0(VALU_DEP_1)
	v_add3_u32 v4, v68, v4, 0x7fff
; %bb.92:
	s_and_not1_saveexec_b32 s4, s4
; %bb.93:
	v_and_b32_e32 v4, 0xffff, v68
	v_or_b32_e32 v5, 0x10000, v68
	s_delay_alu instid0(VALU_DEP_2) | instskip(NEXT) | instid1(VALU_DEP_2)
	v_cmp_eq_u32_e32 vcc_lo, 0, v4
	v_cndmask_b32_e32 v4, v5, v68, vcc_lo
; %bb.94:
	s_or_b32 exec_lo, exec_lo, s4
	v_and_b32_e32 v5, 0x7f800000, v69
	s_delay_alu instid0(VALU_DEP_1) | instskip(SKIP_1) | instid1(SALU_CYCLE_1)
	v_cmp_ne_u32_e32 vcc_lo, 0x7f800000, v5
                                        ; implicit-def: $vgpr5
	s_and_saveexec_b32 s4, vcc_lo
	s_xor_b32 s4, exec_lo, s4
; %bb.95:
	v_bfe_u32 v5, v69, 16, 1
	s_delay_alu instid0(VALU_DEP_1)
	v_add3_u32 v5, v69, v5, 0x7fff
; %bb.96:
	s_and_not1_saveexec_b32 s4, s4
; %bb.97:
	v_and_b32_e32 v5, 0xffff, v69
	v_or_b32_e32 v6, 0x10000, v69
	s_delay_alu instid0(VALU_DEP_2) | instskip(NEXT) | instid1(VALU_DEP_2)
	v_cmp_eq_u32_e32 vcc_lo, 0, v5
	v_cndmask_b32_e32 v5, v6, v69, vcc_lo
; %bb.98:
	s_or_b32 exec_lo, exec_lo, s4
	v_and_b32_e32 v6, 0x7f800000, v70
	s_delay_alu instid0(VALU_DEP_1) | instskip(SKIP_1) | instid1(SALU_CYCLE_1)
	v_cmp_ne_u32_e32 vcc_lo, 0x7f800000, v6
                                        ; implicit-def: $vgpr6
	s_and_saveexec_b32 s4, vcc_lo
	s_xor_b32 s4, exec_lo, s4
; %bb.99:
	v_bfe_u32 v6, v70, 16, 1
	s_delay_alu instid0(VALU_DEP_1)
	v_add3_u32 v6, v70, v6, 0x7fff
; %bb.100:
	s_and_not1_saveexec_b32 s4, s4
; %bb.101:
	v_and_b32_e32 v6, 0xffff, v70
	v_or_b32_e32 v7, 0x10000, v70
	s_delay_alu instid0(VALU_DEP_2) | instskip(NEXT) | instid1(VALU_DEP_2)
	v_cmp_eq_u32_e32 vcc_lo, 0, v6
	v_cndmask_b32_e32 v6, v7, v70, vcc_lo
; %bb.102:
	s_or_b32 exec_lo, exec_lo, s4
	v_and_b32_e32 v7, 0x7f800000, v71
	s_delay_alu instid0(VALU_DEP_1) | instskip(SKIP_1) | instid1(SALU_CYCLE_1)
	v_cmp_ne_u32_e32 vcc_lo, 0x7f800000, v7
                                        ; implicit-def: $vgpr7
	s_and_saveexec_b32 s4, vcc_lo
	s_xor_b32 s4, exec_lo, s4
; %bb.103:
	v_bfe_u32 v7, v71, 16, 1
	s_delay_alu instid0(VALU_DEP_1)
	v_add3_u32 v7, v71, v7, 0x7fff
; %bb.104:
	s_and_not1_saveexec_b32 s4, s4
; %bb.105:
	v_and_b32_e32 v7, 0xffff, v71
	v_or_b32_e32 v8, 0x10000, v71
	s_delay_alu instid0(VALU_DEP_2) | instskip(NEXT) | instid1(VALU_DEP_2)
	v_cmp_eq_u32_e32 vcc_lo, 0, v7
	v_cndmask_b32_e32 v7, v8, v71, vcc_lo
; %bb.106:
	s_or_b32 exec_lo, exec_lo, s4
	v_and_b32_e32 v8, 0x7f800000, v72
	s_delay_alu instid0(VALU_DEP_1) | instskip(SKIP_1) | instid1(SALU_CYCLE_1)
	v_cmp_ne_u32_e32 vcc_lo, 0x7f800000, v8
                                        ; implicit-def: $vgpr8
	s_and_saveexec_b32 s4, vcc_lo
	s_xor_b32 s4, exec_lo, s4
; %bb.107:
	v_bfe_u32 v8, v72, 16, 1
	s_delay_alu instid0(VALU_DEP_1)
	v_add3_u32 v8, v72, v8, 0x7fff
                                        ; implicit-def: $vgpr65_vgpr66_vgpr67_vgpr68_vgpr69_vgpr70_vgpr71_vgpr72
; %bb.108:
	s_and_not1_saveexec_b32 s4, s4
; %bb.109:
	v_and_b32_e32 v8, 0xffff, v72
	v_or_b32_e32 v9, 0x10000, v72
	s_delay_alu instid0(VALU_DEP_2) | instskip(NEXT) | instid1(VALU_DEP_2)
	v_cmp_eq_u32_e32 vcc_lo, 0, v8
	v_cndmask_b32_e32 v8, v9, v72, vcc_lo
; %bb.110:
	s_or_b32 exec_lo, exec_lo, s4
	s_delay_alu instid0(VALU_DEP_1)
	v_perm_b32 v7, v8, v7, 0x7060302
	v_perm_b32 v6, v6, v5, 0x7060302
	;; [unrolled: 1-line block ×4, first 2 shown]
	s_barrier
	buffer_gl0_inv
	v_cmp_eq_u32_e32 vcc_lo, 1, v78
	ds_store_b128 v76, v[4:7]
	s_waitcnt lgkmcnt(0)
	s_barrier
	buffer_gl0_inv
	ds_load_b128 v[1:4], v82
	ds_load_b128 v[5:8], v82 offset:16
	v_cmp_eq_u32_e64 s4, 1, v79
	v_cmp_eq_u32_e64 s5, 2, v78
	;; [unrolled: 1-line block ×5, first 2 shown]
	s_waitcnt lgkmcnt(1)
	v_lshrrev_b32_e32 v9, 16, v1
	s_waitcnt lgkmcnt(0)
	v_lshrrev_b32_e32 v13, 16, v5
	v_lshrrev_b32_e32 v10, 16, v2
	;; [unrolled: 1-line block ×4, first 2 shown]
	v_cndmask_b32_e64 v19, v1, v9, s4
	v_cndmask_b32_e32 v18, v5, v13, vcc_lo
	v_cndmask_b32_e64 v20, v5, v13, s4
	v_cndmask_b32_e32 v17, v1, v9, vcc_lo
	v_cmp_eq_u32_e32 vcc_lo, 2, v79
	v_lshrrev_b32_e32 v15, 16, v7
	v_cmp_eq_u32_e64 s4, 1, v77
	v_lshrrev_b32_e32 v12, 16, v4
	v_lshrrev_b32_e32 v16, 16, v8
	v_cndmask_b32_e32 v20, v20, v6, vcc_lo
	v_cndmask_b32_e64 v17, v17, v2, s5
	v_cndmask_b32_e32 v19, v19, v2, vcc_lo
	v_cndmask_b32_e64 v18, v18, v6, s5
	v_cmp_eq_u32_e32 vcc_lo, 4, v78
	v_cmp_eq_u32_e64 s5, 3, v79
	v_cndmask_b32_e64 v17, v17, v10, s6
	v_cndmask_b32_e64 v21, v1, v9, s4
	;; [unrolled: 1-line block ×5, first 2 shown]
	v_cndmask_b32_e32 v17, v17, v3, vcc_lo
	v_cndmask_b32_e64 v20, v20, v14, s5
	v_cndmask_b32_e32 v18, v18, v7, vcc_lo
	v_cmp_eq_u32_e32 vcc_lo, 4, v79
	v_cmp_eq_u32_e64 s5, 5, v79
	v_cmp_eq_u32_e64 s4, 2, v81
	v_cndmask_b32_e64 v21, v21, v2, s8
	v_cmp_eq_u32_e64 s6, 5, v78
	v_cndmask_b32_e32 v19, v19, v3, vcc_lo
	v_cndmask_b32_e32 v20, v20, v7, vcc_lo
	v_cmp_eq_u32_e32 vcc_lo, 6, v79
	s_delay_alu instid0(VALU_DEP_4) | instskip(NEXT) | instid1(VALU_DEP_4)
	v_cndmask_b32_e64 v17, v17, v11, s6
	v_cndmask_b32_e64 v19, v19, v11, s5
	s_delay_alu instid0(VALU_DEP_4) | instskip(SKIP_1) | instid1(VALU_DEP_3)
	v_cndmask_b32_e64 v20, v20, v15, s5
	v_cmp_eq_u32_e64 s5, 1, v81
	v_cndmask_b32_e32 v19, v19, v4, vcc_lo
	v_cndmask_b32_e64 v18, v18, v15, s6
	s_delay_alu instid0(VALU_DEP_3)
	v_cndmask_b32_e64 v1, v1, v9, s5
	v_cndmask_b32_e64 v5, v5, v13, s5
	v_cmp_eq_u32_e64 s5, 3, v77
	v_cndmask_b32_e64 v13, v22, v6, s8
	v_cmp_eq_u32_e64 s8, 3, v81
	v_cndmask_b32_e64 v1, v1, v2, s4
	v_cndmask_b32_e64 v2, v5, v6, s4
	;; [unrolled: 1-line block ×3, first 2 shown]
	v_cmp_eq_u32_e64 s4, 4, v77
	v_cndmask_b32_e64 v6, v13, v14, s5
	v_cndmask_b32_e64 v1, v1, v10, s8
	v_cmp_eq_u32_e64 s5, 4, v81
	v_cndmask_b32_e64 v2, v2, v14, s8
	v_cndmask_b32_e64 v5, v9, v3, s4
	;; [unrolled: 3-line block ×3, first 2 shown]
	v_cndmask_b32_e64 v2, v2, v7, s5
	v_cmp_eq_u32_e64 s4, 5, v81
	v_cmp_eq_u32_e64 s6, 6, v78
	v_cndmask_b32_e64 v5, v5, v11, s8
	v_cmp_eq_u32_e64 s5, 6, v77
	v_cndmask_b32_e64 v3, v6, v15, s8
	v_cndmask_b32_e64 v1, v1, v11, s4
	v_cmp_eq_u32_e64 s8, 6, v81
	v_cndmask_b32_e64 v2, v2, v15, s4
	v_cndmask_b32_e64 v17, v17, v4, s6
	v_cndmask_b32_e64 v18, v18, v8, s6
	v_cmp_eq_u32_e64 s6, 7, v78
	v_cndmask_b32_e64 v5, v5, v4, s5
	v_cndmask_b32_e64 v3, v3, v8, s5
	v_cndmask_b32_e64 v1, v1, v4, s8
	v_cmp_eq_u32_e64 s4, 7, v81
	v_cndmask_b32_e64 v2, v2, v8, s8
	v_cmp_eq_u32_e64 s5, 7, v77
	v_cndmask_b32_e32 v4, v20, v8, vcc_lo
	v_cndmask_b32_e64 v17, v17, v12, s6
	v_cndmask_b32_e64 v19, v19, v12, s7
	;; [unrolled: 1-line block ×8, first 2 shown]
	v_cmp_gt_u32_e32 vcc_lo, 32, v0
	v_perm_b32 v4, v2, v1, 0x5040100
	v_perm_b32 v3, v3, v5, 0x5040100
	;; [unrolled: 1-line block ×4, first 2 shown]
	s_and_b32 s2, vcc_lo, s2
	ds_store_b128 v76, v[1:4]
	s_waitcnt lgkmcnt(0)
	s_barrier
	buffer_gl0_inv
	s_and_saveexec_b32 s4, s2
	s_cbranch_execz .LBB1686_2
; %bb.111:
	s_load_b64 s[4:5], s[0:1], 0x68
	v_lshlrev_b32_e32 v0, 10, v0
	v_lshlrev_b32_e32 v1, 4, v75
	s_lshl_b32 s0, s36, 6
	v_add_nc_u32_e32 v2, s31, v74
	s_mul_i32 s1, s0, s34
	s_delay_alu instid0(SALU_CYCLE_1) | instskip(SKIP_1) | instid1(VALU_DEP_2)
	s_mul_i32 s6, s1, s9
	v_and_or_b32 v0, 0x3800, v0, v1
	v_mul_lo_u32 v1, v2, s0
	s_ashr_i32 s7, s6, 31
	v_add_nc_u32_e32 v3, 2, v2
	s_lshl_b64 s[6:7], s[6:7], 1
	v_add_nc_u32_e32 v4, 4, v2
	v_add_nc_u32_e32 v5, 6, v2
	v_lshl_or_b32 v15, v74, 6, v0
	v_mul_lo_u32 v3, v3, s0
	v_ashrrev_i32_e32 v2, 31, v1
	v_mul_lo_u32 v19, v4, s0
	v_mul_lo_u32 v21, v5, s0
	s_waitcnt lgkmcnt(0)
	s_add_u32 s1, s4, s6
	s_addc_u32 s2, s5, s7
	s_lshl_b32 s4, s14, 6
	v_lshlrev_b64 v[5:6], 1, v[1:2]
	s_ashr_i32 s5, s4, 31
	v_ashrrev_i32_e32 v4, 31, v3
	s_lshl_b64 s[4:5], s[4:5], 1
	v_ashrrev_i32_e32 v20, 31, v19
	s_add_u32 s1, s1, s4
	s_addc_u32 s2, s2, s5
	v_add_co_u32 v1, s1, s1, v73
	s_delay_alu instid0(VALU_DEP_1) | instskip(SKIP_1) | instid1(VALU_DEP_3)
	v_add_co_ci_u32_e64 v2, null, s2, 0, s1
	v_lshlrev_b64 v[25:26], 1, v[3:4]
	v_add_co_u32 v23, vcc_lo, v1, v5
	s_delay_alu instid0(VALU_DEP_3)
	v_add_co_ci_u32_e32 v24, vcc_lo, v2, v6, vcc_lo
	ds_load_b128 v[3:6], v15
	ds_load_b128 v[7:10], v15 offset:128
	ds_load_b128 v[11:14], v15 offset:256
	;; [unrolled: 1-line block ×3, first 2 shown]
	v_ashrrev_i32_e32 v22, 31, v21
	v_lshlrev_b64 v[19:20], 1, v[19:20]
	v_add_co_u32 v25, vcc_lo, v1, v25
	v_add_co_ci_u32_e32 v26, vcc_lo, v2, v26, vcc_lo
	s_delay_alu instid0(VALU_DEP_4) | instskip(NEXT) | instid1(VALU_DEP_4)
	v_lshlrev_b64 v[21:22], 1, v[21:22]
	v_add_co_u32 v19, vcc_lo, v1, v19
	v_add_co_ci_u32_e32 v20, vcc_lo, v2, v20, vcc_lo
	s_delay_alu instid0(VALU_DEP_3) | instskip(NEXT) | instid1(VALU_DEP_4)
	v_add_co_u32 v21, vcc_lo, v1, v21
	v_add_co_ci_u32_e32 v22, vcc_lo, v2, v22, vcc_lo
	s_waitcnt lgkmcnt(3)
	global_store_b128 v[23:24], v[3:6], off
	s_waitcnt lgkmcnt(2)
	global_store_b128 v[25:26], v[7:10], off
	;; [unrolled: 2-line block ×4, first 2 shown]
	s_and_b32 exec_lo, exec_lo, s3
	s_cbranch_execz .LBB1686_2
; %bb.112:
	ds_load_b128 v[3:6], v0 offset:512
	s_add_i32 s1, s31, 8
	s_delay_alu instid0(SALU_CYCLE_1) | instskip(NEXT) | instid1(SALU_CYCLE_1)
	s_mul_i32 s0, s1, s0
	s_ashr_i32 s1, s0, 31
	s_delay_alu instid0(SALU_CYCLE_1) | instskip(NEXT) | instid1(SALU_CYCLE_1)
	s_lshl_b64 s[0:1], s[0:1], 1
	v_add_co_u32 v0, vcc_lo, v1, s0
	v_add_co_ci_u32_e32 v1, vcc_lo, s1, v2, vcc_lo
	s_waitcnt lgkmcnt(0)
	global_store_b128 v[0:1], v[3:6], off
	s_nop 0
	s_sendmsg sendmsg(MSG_DEALLOC_VGPRS)
	s_endpgm
	.section	.rodata,"a",@progbits
	.p2align	6, 0x0
	.amdhsa_kernel _Z39paged_attention_ll4mi_QKV_mfma16_kernelI14__hip_bfloat16hLN4vllm18Fp8KVCacheDataTypeE1EhLi16ELi64ELi256ELb0ELi9EL8MFMAType0EEvPKT_PKT0_S9_ifPKiSB_SB_iPKfiiiPfSE_PS4_PT2_iSD_SD_
		.amdhsa_group_segment_fixed_size 17472
		.amdhsa_private_segment_fixed_size 0
		.amdhsa_kernarg_size 400
		.amdhsa_user_sgpr_count 13
		.amdhsa_user_sgpr_dispatch_ptr 0
		.amdhsa_user_sgpr_queue_ptr 0
		.amdhsa_user_sgpr_kernarg_segment_ptr 1
		.amdhsa_user_sgpr_dispatch_id 0
		.amdhsa_user_sgpr_private_segment_size 0
		.amdhsa_wavefront_size32 1
		.amdhsa_uses_dynamic_stack 0
		.amdhsa_enable_private_segment 0
		.amdhsa_system_sgpr_workgroup_id_x 1
		.amdhsa_system_sgpr_workgroup_id_y 1
		.amdhsa_system_sgpr_workgroup_id_z 1
		.amdhsa_system_sgpr_workgroup_info 0
		.amdhsa_system_vgpr_workitem_id 0
		.amdhsa_next_free_vgpr 124
		.amdhsa_next_free_sgpr 40
		.amdhsa_reserve_vcc 1
		.amdhsa_float_round_mode_32 0
		.amdhsa_float_round_mode_16_64 0
		.amdhsa_float_denorm_mode_32 3
		.amdhsa_float_denorm_mode_16_64 3
		.amdhsa_dx10_clamp 1
		.amdhsa_ieee_mode 1
		.amdhsa_fp16_overflow 0
		.amdhsa_workgroup_processor_mode 1
		.amdhsa_memory_ordered 1
		.amdhsa_forward_progress 0
		.amdhsa_shared_vgpr_count 0
		.amdhsa_exception_fp_ieee_invalid_op 0
		.amdhsa_exception_fp_denorm_src 0
		.amdhsa_exception_fp_ieee_div_zero 0
		.amdhsa_exception_fp_ieee_overflow 0
		.amdhsa_exception_fp_ieee_underflow 0
		.amdhsa_exception_fp_ieee_inexact 0
		.amdhsa_exception_int_div_zero 0
	.end_amdhsa_kernel
	.section	.text._Z39paged_attention_ll4mi_QKV_mfma16_kernelI14__hip_bfloat16hLN4vllm18Fp8KVCacheDataTypeE1EhLi16ELi64ELi256ELb0ELi9EL8MFMAType0EEvPKT_PKT0_S9_ifPKiSB_SB_iPKfiiiPfSE_PS4_PT2_iSD_SD_,"axG",@progbits,_Z39paged_attention_ll4mi_QKV_mfma16_kernelI14__hip_bfloat16hLN4vllm18Fp8KVCacheDataTypeE1EhLi16ELi64ELi256ELb0ELi9EL8MFMAType0EEvPKT_PKT0_S9_ifPKiSB_SB_iPKfiiiPfSE_PS4_PT2_iSD_SD_,comdat
.Lfunc_end1686:
	.size	_Z39paged_attention_ll4mi_QKV_mfma16_kernelI14__hip_bfloat16hLN4vllm18Fp8KVCacheDataTypeE1EhLi16ELi64ELi256ELb0ELi9EL8MFMAType0EEvPKT_PKT0_S9_ifPKiSB_SB_iPKfiiiPfSE_PS4_PT2_iSD_SD_, .Lfunc_end1686-_Z39paged_attention_ll4mi_QKV_mfma16_kernelI14__hip_bfloat16hLN4vllm18Fp8KVCacheDataTypeE1EhLi16ELi64ELi256ELb0ELi9EL8MFMAType0EEvPKT_PKT0_S9_ifPKiSB_SB_iPKfiiiPfSE_PS4_PT2_iSD_SD_
                                        ; -- End function
	.section	.AMDGPU.csdata,"",@progbits
; Kernel info:
; codeLenInByte = 8792
; NumSgprs: 42
; NumVgprs: 124
; ScratchSize: 0
; MemoryBound: 0
; FloatMode: 240
; IeeeMode: 1
; LDSByteSize: 17472 bytes/workgroup (compile time only)
; SGPRBlocks: 5
; VGPRBlocks: 15
; NumSGPRsForWavesPerEU: 42
; NumVGPRsForWavesPerEU: 124
; Occupancy: 10
; WaveLimiterHint : 1
; COMPUTE_PGM_RSRC2:SCRATCH_EN: 0
; COMPUTE_PGM_RSRC2:USER_SGPR: 13
; COMPUTE_PGM_RSRC2:TRAP_HANDLER: 0
; COMPUTE_PGM_RSRC2:TGID_X_EN: 1
; COMPUTE_PGM_RSRC2:TGID_Y_EN: 1
; COMPUTE_PGM_RSRC2:TGID_Z_EN: 1
; COMPUTE_PGM_RSRC2:TIDIG_COMP_CNT: 0
	.section	.text._Z39paged_attention_ll4mi_QKV_mfma16_kernelI14__hip_bfloat16hLN4vllm18Fp8KVCacheDataTypeE1EhLi16ELi64ELi256ELb0ELi10EL8MFMAType0EEvPKT_PKT0_S9_ifPKiSB_SB_iPKfiiiPfSE_PS4_PT2_iSD_SD_,"axG",@progbits,_Z39paged_attention_ll4mi_QKV_mfma16_kernelI14__hip_bfloat16hLN4vllm18Fp8KVCacheDataTypeE1EhLi16ELi64ELi256ELb0ELi10EL8MFMAType0EEvPKT_PKT0_S9_ifPKiSB_SB_iPKfiiiPfSE_PS4_PT2_iSD_SD_,comdat
	.protected	_Z39paged_attention_ll4mi_QKV_mfma16_kernelI14__hip_bfloat16hLN4vllm18Fp8KVCacheDataTypeE1EhLi16ELi64ELi256ELb0ELi10EL8MFMAType0EEvPKT_PKT0_S9_ifPKiSB_SB_iPKfiiiPfSE_PS4_PT2_iSD_SD_ ; -- Begin function _Z39paged_attention_ll4mi_QKV_mfma16_kernelI14__hip_bfloat16hLN4vllm18Fp8KVCacheDataTypeE1EhLi16ELi64ELi256ELb0ELi10EL8MFMAType0EEvPKT_PKT0_S9_ifPKiSB_SB_iPKfiiiPfSE_PS4_PT2_iSD_SD_
	.globl	_Z39paged_attention_ll4mi_QKV_mfma16_kernelI14__hip_bfloat16hLN4vllm18Fp8KVCacheDataTypeE1EhLi16ELi64ELi256ELb0ELi10EL8MFMAType0EEvPKT_PKT0_S9_ifPKiSB_SB_iPKfiiiPfSE_PS4_PT2_iSD_SD_
	.p2align	8
	.type	_Z39paged_attention_ll4mi_QKV_mfma16_kernelI14__hip_bfloat16hLN4vllm18Fp8KVCacheDataTypeE1EhLi16ELi64ELi256ELb0ELi10EL8MFMAType0EEvPKT_PKT0_S9_ifPKiSB_SB_iPKfiiiPfSE_PS4_PT2_iSD_SD_,@function
_Z39paged_attention_ll4mi_QKV_mfma16_kernelI14__hip_bfloat16hLN4vllm18Fp8KVCacheDataTypeE1EhLi16ELi64ELi256ELb0ELi10EL8MFMAType0EEvPKT_PKT0_S9_ifPKiSB_SB_iPKfiiiPfSE_PS4_PT2_iSD_SD_: ; @_Z39paged_attention_ll4mi_QKV_mfma16_kernelI14__hip_bfloat16hLN4vllm18Fp8KVCacheDataTypeE1EhLi16ELi64ELi256ELb0ELi10EL8MFMAType0EEvPKT_PKT0_S9_ifPKiSB_SB_iPKfiiiPfSE_PS4_PT2_iSD_SD_
; %bb.0:
	s_load_b64 s[2:3], s[0:1], 0x30
	s_mov_b32 s30, s13
	s_waitcnt lgkmcnt(0)
	s_cmp_lg_u64 s[2:3], 0
	s_cselect_b32 s8, -1, 0
	s_ashr_i32 s31, s13, 31
	s_cmp_eq_u64 s[2:3], 0
	s_cbranch_scc1 .LBB1687_3
; %bb.1:
	s_lshl_b64 s[4:5], s[30:31], 2
	s_delay_alu instid0(SALU_CYCLE_1) | instskip(SKIP_4) | instid1(SALU_CYCLE_1)
	s_add_u32 s4, s2, s4
	s_addc_u32 s5, s3, s5
	s_load_b64 s[4:5], s[4:5], 0x0
	s_waitcnt lgkmcnt(0)
	s_sub_i32 s4, s5, s4
	s_cmp_eq_u32 s4, 1
	s_cselect_b32 s4, -1, 0
	s_delay_alu instid0(SALU_CYCLE_1)
	s_and_not1_b32 vcc_lo, exec_lo, s4
	s_cbranch_vccz .LBB1687_4
.LBB1687_2:
	s_endpgm
.LBB1687_3:
.LBB1687_4:
	s_load_b64 s[4:5], s[0:1], 0x28
	s_lshl_b64 s[6:7], s[30:31], 2
	s_waitcnt lgkmcnt(0)
	s_add_u32 s4, s4, s6
	s_addc_u32 s5, s5, s7
	s_lshl_b32 s12, s14, 8
	s_load_b32 s24, s[4:5], 0x0
	s_waitcnt lgkmcnt(0)
	s_cmp_ge_i32 s12, s24
	s_cbranch_scc1 .LBB1687_2
; %bb.5:
	s_clause 0x1
	s_load_b128 s[20:23], s[0:1], 0x8
	s_load_b64 s[4:5], s[0:1], 0x20
	s_and_not1_b32 vcc_lo, exec_lo, s8
	s_cbranch_vccnz .LBB1687_7
; %bb.6:
	s_add_u32 s2, s2, s6
	s_addc_u32 s3, s3, s7
	s_load_b32 s3, s[2:3], 0x0
	s_branch .LBB1687_8
.LBB1687_7:
	s_mov_b32 s3, s30
.LBB1687_8:
	s_load_b128 s[16:19], s[0:1], 0x48
	v_and_b32_e32 v65, 15, v0
	v_cmp_gt_u32_e32 vcc_lo, 0xa0, v0
	v_lshrrev_b32_e32 v66, 5, v0
	v_and_b32_e32 v67, 31, v0
	v_and_b32_e32 v75, 1, v0
	v_lshlrev_b32_e32 v1, 3, v65
	v_cmp_gt_u32_e64 s2, 8, v65
	v_bfe_u32 v74, v0, 4, 1
	s_mul_i32 s31, s15, 10
	s_delay_alu instid0(VALU_DEP_3) | instskip(NEXT) | instid1(VALU_DEP_3)
	v_lshlrev_b32_e32 v73, 1, v1
	s_and_b32 s7, vcc_lo, s2
	s_delay_alu instid0(SALU_CYCLE_1)
	s_and_saveexec_b32 s6, s7
	s_cbranch_execz .LBB1687_10
; %bb.9:
	s_load_b64 s[8:9], s[0:1], 0x0
	v_lshl_or_b32 v5, v66, 1, v74
	s_waitcnt lgkmcnt(0)
	s_mul_hi_i32 s11, s3, s16
	s_mul_i32 s10, s3, s16
	v_lshlrev_b32_e32 v6, 10, v65
	s_lshl_b64 s[10:11], s[10:11], 1
	v_add_lshl_u32 v1, v5, s31, 6
	v_lshlrev_b32_e32 v5, 6, v5
	v_lshlrev_b32_e32 v7, 10, v75
	v_and_b32_e32 v6, 0x3800, v6
	s_delay_alu instid0(VALU_DEP_4) | instskip(NEXT) | instid1(VALU_DEP_2)
	v_ashrrev_i32_e32 v2, 31, v1
	v_or3_b32 v5, v6, v7, v5
	s_delay_alu instid0(VALU_DEP_2) | instskip(SKIP_2) | instid1(VALU_DEP_1)
	v_lshlrev_b64 v[1:2], 1, v[1:2]
	s_add_u32 s3, s8, s10
	s_addc_u32 s7, s9, s11
	v_add_co_u32 v1, vcc_lo, s3, v1
	s_delay_alu instid0(VALU_DEP_2) | instskip(NEXT) | instid1(VALU_DEP_2)
	v_add_co_ci_u32_e32 v2, vcc_lo, s7, v2, vcc_lo
	v_add_co_u32 v1, vcc_lo, v1, v73
	s_delay_alu instid0(VALU_DEP_2)
	v_add_co_ci_u32_e32 v2, vcc_lo, 0, v2, vcc_lo
	global_load_b128 v[1:4], v[1:2], off
	s_waitcnt vmcnt(0)
	ds_store_b128 v5, v[1:4]
.LBB1687_10:
	s_or_b32 exec_lo, exec_lo, s6
	v_and_b32_e32 v1, 0xef, v0
	s_waitcnt lgkmcnt(0)
	s_add_i32 s3, s24, 15
	s_clause 0x1
	s_load_b32 s6, s[0:1], 0x38
	s_load_b32 s19, s[0:1], 0x1c
	s_ashr_i32 s7, s3, 31
	v_add_nc_u32_e32 v1, s12, v1
	s_lshr_b32 s7, s7, 28
	s_waitcnt lgkmcnt(0)
	s_add_i32 s3, s3, s7
	s_barrier
	v_ashrrev_i32_e32 v2, 31, v1
	v_or_b32_e32 v3, 16, v1
	s_ashr_i32 s3, s3, 4
	v_cmp_gt_i32_e32 vcc_lo, s24, v1
	s_add_i32 s3, s3, -1
	v_lshrrev_b32_e32 v2, 28, v2
	buffer_gl0_inv
	s_mul_i32 s27, s15, s18
	v_add_nc_u32_e32 v4, v1, v2
	s_mul_i32 s6, s30, s6
	s_delay_alu instid0(SALU_CYCLE_1) | instskip(NEXT) | instid1(VALU_DEP_1)
	s_ashr_i32 s7, s6, 31
	v_ashrrev_i32_e32 v4, 4, v4
	v_add_nc_u32_e32 v2, v3, v2
	s_lshl_b64 s[6:7], s[6:7], 2
	s_delay_alu instid0(SALU_CYCLE_1) | instskip(NEXT) | instid1(VALU_DEP_2)
	s_add_u32 s26, s4, s6
	v_cndmask_b32_e32 v1, s3, v4, vcc_lo
	s_delay_alu instid0(VALU_DEP_2)
	v_ashrrev_i32_e32 v2, 4, v2
	v_cmp_gt_i32_e32 vcc_lo, s24, v3
	s_addc_u32 s25, s5, s7
	s_ashr_i32 s28, s27, 31
	s_add_u32 s13, s20, s27
	s_addc_u32 s15, s21, s28
	v_cndmask_b32_e32 v3, s3, v2, vcc_lo
	v_ashrrev_i32_e32 v2, 31, v1
	s_lshl_b32 s4, s14, 4
	s_delay_alu instid0(SALU_CYCLE_1) | instskip(NEXT) | instid1(VALU_DEP_2)
	s_ashr_i32 s5, s4, 31
	v_ashrrev_i32_e32 v4, 31, v3
	s_delay_alu instid0(VALU_DEP_2) | instskip(SKIP_1) | instid1(SALU_CYCLE_1)
	v_lshlrev_b64 v[1:2], 2, v[1:2]
	s_lshl_b64 s[4:5], s[4:5], 2
	s_add_u32 s4, s26, s4
	s_delay_alu instid0(VALU_DEP_2) | instskip(SKIP_1) | instid1(VALU_DEP_2)
	v_lshlrev_b64 v[3:4], 2, v[3:4]
	s_addc_u32 s5, s25, s5
	v_add_co_u32 v1, vcc_lo, s26, v1
	v_add_co_ci_u32_e32 v2, vcc_lo, s25, v2, vcc_lo
	s_delay_alu instid0(VALU_DEP_3) | instskip(NEXT) | instid1(VALU_DEP_4)
	v_add_co_u32 v3, vcc_lo, s26, v3
	v_add_co_ci_u32_e32 v4, vcc_lo, s25, v4, vcc_lo
	s_clause 0x1
	global_load_b32 v5, v[1:2], off
	global_load_b32 v7, v[3:4], off
	s_or_b32 s6, s12, 32
	v_lshlrev_b32_e32 v1, 4, v0
	s_ashr_i32 s7, s6, 4
	s_cmp_lt_i32 s6, s24
	v_cmp_gt_u32_e32 vcc_lo, 10, v65
	s_cselect_b32 s6, s7, s3
	v_and_b32_e32 v1, 0xf0, v1
	s_ashr_i32 s7, s6, 31
	s_delay_alu instid0(SALU_CYCLE_1) | instskip(NEXT) | instid1(SALU_CYCLE_1)
	s_lshl_b64 s[6:7], s[6:7], 2
	s_add_u32 s6, s26, s6
	s_addc_u32 s7, s25, s7
	s_or_b32 s8, s12, 64
	v_add_co_u32 v1, s13, s13, v1
	s_ashr_i32 s9, s8, 4
	s_cmp_lt_i32 s8, s24
	v_add_co_ci_u32_e64 v2, null, s15, 0, s13
	s_cselect_b32 s8, s9, s3
	s_delay_alu instid0(SALU_CYCLE_1) | instskip(NEXT) | instid1(SALU_CYCLE_1)
	s_ashr_i32 s9, s8, 31
	s_lshl_b64 s[8:9], s[8:9], 2
	s_delay_alu instid0(SALU_CYCLE_1) | instskip(SKIP_2) | instid1(SALU_CYCLE_1)
	s_add_u32 s8, s26, s8
	s_addc_u32 s9, s25, s9
	s_or_b32 s10, s12, 0x60
	s_ashr_i32 s11, s10, 4
	s_cmp_lt_i32 s10, s24
	s_cselect_b32 s10, s11, s3
	s_delay_alu instid0(SALU_CYCLE_1) | instskip(NEXT) | instid1(SALU_CYCLE_1)
	s_ashr_i32 s11, s10, 31
	s_lshl_b64 s[10:11], s[10:11], 2
	s_delay_alu instid0(SALU_CYCLE_1) | instskip(SKIP_2) | instid1(SALU_CYCLE_1)
	s_add_u32 s10, s26, s10
	s_addc_u32 s11, s25, s11
	s_or_b32 s16, s12, 0x80
	s_ashr_i32 s18, s16, 4
	s_cmp_lt_i32 s16, s24
	;; [unrolled: 10-line block ×3, first 2 shown]
	s_cselect_b32 s20, s18, s3
	s_delay_alu instid0(SALU_CYCLE_1) | instskip(NEXT) | instid1(SALU_CYCLE_1)
	s_ashr_i32 s21, s20, 31
	s_lshl_b64 s[20:21], s[20:21], 2
	s_delay_alu instid0(SALU_CYCLE_1)
	s_add_u32 s36, s26, s20
	s_addc_u32 s37, s25, s21
	s_clause 0x5
	s_load_b32 s21, s[4:5], 0x0
	s_load_b32 s13, s[6:7], 0x0
	;; [unrolled: 1-line block ×6, first 2 shown]
	s_or_b32 s8, s12, 0xc0
	s_mov_b32 s4, 0
	s_ashr_i32 s9, s8, 4
	s_cmp_lt_i32 s8, s24
	s_mov_b32 s11, s4
	s_cselect_b32 s34, s9, s3
	s_mov_b32 s5, s4
	s_ashr_i32 s35, s34, 31
	s_mov_b32 s6, s4
	s_lshl_b64 s[34:35], s[34:35], 2
	s_mov_b32 s7, s4
	s_add_u32 s34, s26, s34
	s_addc_u32 s35, s25, s35
	s_or_b32 s29, s12, 0xe0
	s_mov_b32 s8, s4
	s_ashr_i32 s33, s29, 4
	s_mov_b32 s9, s4
	s_mov_b32 s10, s4
	s_cmp_lt_i32 s29, s24
	v_dual_mov_b32 v107, s11 :: v_dual_mov_b32 v100, s4
	v_mov_b32_e32 v106, s10
	v_dual_mov_b32 v104, s8 :: v_dual_mov_b32 v103, s7
	v_dual_mov_b32 v102, s6 :: v_dual_mov_b32 v101, s5
	s_waitcnt vmcnt(1)
	v_mad_i64_i32 v[3:4], null, v5, s17, v[1:2]
	s_waitcnt vmcnt(0)
	v_mad_i64_i32 v[5:6], null, v7, s17, v[1:2]
	v_add_nc_u32_e32 v1, -10, v65
	v_lshlrev_b32_e32 v2, 4, v65
	s_clause 0x7
	global_load_b128 v[49:52], v[3:4], off
	global_load_b128 v[53:56], v[3:4], off offset:256
	global_load_b128 v[76:79], v[5:6], off
	global_load_b128 v[80:83], v[5:6], off offset:256
	global_load_b128 v[84:87], v[3:4], off offset:512
	;; [unrolled: 1-line block ×5, first 2 shown]
	v_cndmask_b32_e32 v1, v1, v65, vcc_lo
	v_mov_b32_e32 v105, s9
	s_cselect_b32 s4, s33, s3
	v_lshl_or_b32 v2, v66, 8, v2
	s_ashr_i32 s5, s4, 31
	v_lshlrev_b32_e32 v70, 6, v1
	s_lshl_b64 s[4:5], s[4:5], 2
	s_load_b32 s3, s[34:35], 0x0
	s_add_u32 s4, s26, s4
	s_addc_u32 s5, s25, s5
	ds_load_b128 v[108:111], v70
	ds_load_b128 v[112:115], v70 offset:1024
	s_load_b32 s4, s[4:5], 0x0
	s_add_u32 s6, s22, s27
	s_addc_u32 s7, s23, s28
	v_add_co_u32 v9, s6, s6, v2
	s_delay_alu instid0(VALU_DEP_1) | instskip(SKIP_1) | instid1(VALU_DEP_1)
	v_add_co_ci_u32_e64 v10, null, s7, 0, s6
	s_waitcnt lgkmcnt(0)
	v_mad_i64_i32 v[1:2], null, s21, s17, v[9:10]
	v_mad_i64_i32 v[3:4], null, s13, s17, v[9:10]
	;; [unrolled: 1-line block ×7, first 2 shown]
	s_clause 0x9
	global_load_b128 v[57:60], v[1:2], off
	global_load_b128 v[61:64], v[1:2], off offset:16
	global_load_b128 v[41:44], v[3:4], off
	global_load_b128 v[45:48], v[3:4], off offset:16
	;; [unrolled: 2-line block ×5, first 2 shown]
	v_mad_i64_i32 v[68:69], null, s4, s17, v[9:10]
	s_clause 0x3
	global_load_b128 v[9:12], v[13:14], off
	global_load_b128 v[13:16], v[13:14], off offset:16
	global_load_b128 v[17:20], v[21:22], off
	global_load_b128 v[21:24], v[21:22], off offset:16
	s_waitcnt vmcnt(20)
	v_wmma_f32_16x16x16_bf16 v[116:123], v[49:56], v[108:115], v[100:107]
	s_clause 0x1
	global_load_b128 v[49:52], v[68:69], off
	global_load_b128 v[53:56], v[68:69], off offset:16
	v_and_b32_e32 v68, 0xe0, v0
	v_mbcnt_lo_u32_b32 v69, -1, 0
	s_delay_alu instid0(VALU_DEP_2)
	v_add_nc_u32_e32 v68, s12, v68
	s_waitcnt vmcnt(20)
	v_wmma_f32_16x16x16_bf16 v[100:107], v[76:83], v[108:115], v[100:107]
	ds_load_b128 v[76:79], v70 offset:2048
	ds_load_b128 v[80:83], v70 offset:3072
	v_xor_b32_e32 v70, 16, v69
	s_waitcnt vmcnt(0) lgkmcnt(0)
	v_or_b32_e32 v68, v68, v74
	s_barrier
	buffer_gl0_inv
	v_cmp_gt_i32_e32 vcc_lo, 32, v70
	v_or_b32_e32 v71, 4, v68
	v_or_b32_e32 v72, 6, v68
	v_cmp_gt_i32_e64 s3, s24, v68
	v_or_b32_e32 v108, 8, v68
	v_or_b32_e32 v109, 10, v68
	v_cmp_gt_i32_e64 s4, s24, v71
	v_cmp_gt_i32_e64 s5, s24, v72
	s_delay_alu instid0(VALU_DEP_4) | instskip(NEXT) | instid1(VALU_DEP_4)
	v_cmp_gt_i32_e64 s6, s24, v108
	v_cmp_gt_i32_e64 s7, s24, v109
	v_wmma_f32_16x16x16_bf16 v[116:123], v[84:91], v[76:83], v[116:123]
	v_cndmask_b32_e32 v69, v69, v70, vcc_lo
	v_or_b32_e32 v70, 2, v68
	v_wmma_f32_16x16x16_bf16 v[100:107], v[92:99], v[76:83], v[100:107]
	v_or_b32_e32 v89, 22, v68
	v_dual_mul_f32 v82, s19, v119 :: v_dual_mul_f32 v79, s19, v122
	v_dual_mul_f32 v92, s19, v117 :: v_dual_mul_f32 v93, s19, v116
	s_delay_alu instid0(VALU_DEP_4) | instskip(SKIP_2) | instid1(VALU_DEP_4)
	v_mul_f32_e32 v98, s19, v103
	v_cmp_gt_i32_e32 vcc_lo, s24, v70
	v_dual_mul_f32 v83, s19, v118 :: v_dual_mul_f32 v96, s19, v105
	v_cndmask_b32_e64 v93, 0xff7fffff, v93, s3
	v_or_b32_e32 v84, 12, v68
	v_cndmask_b32_e32 v92, 0xff7fffff, v92, vcc_lo
	v_or_b32_e32 v85, 14, v68
	v_dual_mul_f32 v80, s19, v121 :: v_dual_mul_f32 v81, s19, v120
	v_mul_f32_e32 v94, s19, v107
	v_cndmask_b32_e64 v71, 0xff7fffff, v83, s4
	v_cndmask_b32_e64 v72, 0xff7fffff, v82, s5
	v_cmp_gt_i32_e64 s13, s24, v89
	v_lshlrev_b32_e32 v89, 2, v69
	v_max3_f32 v82, v93, 0xff7fffff, v92
	v_or_b32_e32 v86, 16, v68
	v_or_b32_e32 v87, 18, v68
	v_mul_f32_e32 v78, s19, v123
	v_cndmask_b32_e64 v81, 0xff7fffff, v81, s6
	v_cndmask_b32_e64 v80, 0xff7fffff, v80, s7
	v_max3_f32 v71, v82, v71, v72
	v_cmp_gt_i32_e64 s8, s24, v84
	v_cmp_gt_i32_e64 s9, s24, v85
	v_or_b32_e32 v88, 20, v68
	v_or_b32_e32 v90, 24, v68
	;; [unrolled: 1-line block ×5, first 2 shown]
	v_dual_mul_f32 v95, s19, v106 :: v_dual_mul_f32 v70, s19, v101
	v_dual_mul_f32 v99, s19, v102 :: v_dual_mul_f32 v68, s19, v100
	v_cndmask_b32_e64 v72, 0xff7fffff, v79, s8
	v_cndmask_b32_e64 v78, 0xff7fffff, v78, s9
	v_max3_f32 v71, v71, v81, v80
	v_cmp_gt_i32_e64 s10, s24, v86
	v_cmp_gt_i32_e64 s11, s24, v87
	;; [unrolled: 1-line block ×3, first 2 shown]
	v_mul_f32_e32 v97, s19, v104
	v_max3_f32 v71, v71, v72, v78
	v_cndmask_b32_e64 v68, 0xff7fffff, v68, s10
	v_cndmask_b32_e64 v70, 0xff7fffff, v70, s11
	;; [unrolled: 1-line block ×4, first 2 shown]
	v_cmp_gt_i32_e64 s15, s24, v90
	v_cmp_gt_i32_e64 s16, s24, v91
	v_max3_f32 v68, v71, v68, v70
	v_cmp_gt_i32_e64 s17, s24, v76
	v_cmp_gt_i32_e64 s18, s24, v77
	v_cndmask_b32_e64 v70, 0xff7fffff, v97, s15
	v_cndmask_b32_e64 v71, 0xff7fffff, v96, s16
	v_max3_f32 v68, v68, v72, v78
	v_cndmask_b32_e64 v72, 0xff7fffff, v95, s17
	v_cndmask_b32_e64 v76, 0xff7fffff, v94, s18
	s_delay_alu instid0(VALU_DEP_3) | instskip(NEXT) | instid1(VALU_DEP_1)
	v_max3_f32 v68, v68, v70, v71
	v_max3_f32 v68, v68, v72, v76
	ds_bpermute_b32 v69, v89, v68
	s_waitcnt lgkmcnt(0)
	v_max_f32_e32 v69, v69, v69
	s_delay_alu instid0(VALU_DEP_1) | instskip(NEXT) | instid1(VALU_DEP_1)
	v_max_f32_e32 v68, v68, v69
	v_fma_f32 v69, s19, v116, -v68
	v_fma_f32 v70, s19, v117, -v68
	;; [unrolled: 1-line block ×5, first 2 shown]
	s_delay_alu instid0(VALU_DEP_4) | instskip(NEXT) | instid1(VALU_DEP_4)
	v_dual_mul_f32 v69, 0x3fb8aa3b, v69 :: v_dual_mul_f32 v70, 0x3fb8aa3b, v70
	v_mul_f32_e32 v72, 0x3fb8aa3b, v72
	v_fma_f32 v78, s19, v122, -v68
	s_delay_alu instid0(VALU_DEP_4) | instskip(NEXT) | instid1(VALU_DEP_4)
	v_mul_f32_e32 v77, 0x3fb8aa3b, v76
	v_exp_f32_e32 v69, v69
	v_exp_f32_e32 v70, v70
	v_mul_f32_e32 v71, 0x3fb8aa3b, v71
	v_exp_f32_e32 v72, v72
	v_mul_f32_e32 v78, 0x3fb8aa3b, v78
	v_exp_f32_e32 v77, v77
	v_fma_f32 v81, s19, v105, -v68
	s_delay_alu instid0(VALU_DEP_2)
	v_exp_f32_e32 v78, v78
	v_cndmask_b32_e64 v80, 0, v69, s3
	v_cndmask_b32_e32 v76, 0, v70, vcc_lo
	v_exp_f32_e32 v71, v71
	v_fma_f32 v69, s19, v121, -v68
	v_cndmask_b32_e64 v85, 0, v72, s5
	v_add_f32_e32 v70, 0, v80
	s_delay_alu instid0(TRANS32_DEP_3)
	v_cndmask_b32_e64 v86, 0, v77, s6
	v_fma_f32 v77, s19, v101, -v68
	v_mul_f32_e32 v69, 0x3fb8aa3b, v69
	v_fma_f32 v72, s19, v100, -v68
	v_cndmask_b32_e64 v84, 0, v78, s8
	v_fma_f32 v78, s19, v103, -v68
	v_cndmask_b32_e64 v83, 0, v71, s4
	v_fma_f32 v71, s19, v123, -v68
	v_add_f32_e32 v70, v70, v76
	v_exp_f32_e32 v69, v69
	v_mul_f32_e32 v77, 0x3fb8aa3b, v77
	v_mul_f32_e32 v81, 0x3fb8aa3b, v81
	;; [unrolled: 1-line block ×3, first 2 shown]
	v_add_f32_e32 v70, v70, v83
	s_mov_b32 s3, exec_lo
	v_exp_f32_e32 v77, v77
	v_exp_f32_e32 v81, v81
	;; [unrolled: 1-line block ×3, first 2 shown]
	v_cndmask_b32_e64 v87, 0, v69, s7
	v_add_f32_e32 v70, v70, v85
	s_delay_alu instid0(VALU_DEP_1) | instskip(SKIP_1) | instid1(VALU_DEP_2)
	v_dual_mul_f32 v72, 0x3fb8aa3b, v72 :: v_dual_add_f32 v69, v70, v86
	v_fma_f32 v70, s19, v102, -v68
	v_exp_f32_e32 v72, v72
	s_waitcnt_depctr 0xfff
	v_cndmask_b32_e64 v88, 0, v71, s9
	v_fma_f32 v71, s19, v104, -v68
	v_dual_add_f32 v69, v69, v87 :: v_dual_mul_f32 v70, 0x3fb8aa3b, v70
	s_delay_alu instid0(VALU_DEP_2) | instskip(NEXT) | instid1(VALU_DEP_2)
	v_dual_mul_f32 v78, 0x3fb8aa3b, v78 :: v_dual_mul_f32 v71, 0x3fb8aa3b, v71
	v_add_f32_e32 v69, v69, v84
	s_delay_alu instid0(VALU_DEP_3) | instskip(SKIP_1) | instid1(VALU_DEP_3)
	v_exp_f32_e32 v79, v70
	v_cndmask_b32_e64 v70, 0, v72, s10
	v_exp_f32_e32 v78, v78
	v_exp_f32_e32 v82, v71
	v_add_f32_e32 v72, v69, v88
	v_cndmask_b32_e64 v69, 0, v77, s11
	v_fma_f32 v77, s19, v106, -v68
	s_delay_alu instid0(VALU_DEP_3) | instskip(NEXT) | instid1(TRANS32_DEP_3)
	v_add_f32_e32 v72, v72, v70
	v_cndmask_b32_e64 v71, 0, v79, s12
	s_delay_alu instid0(VALU_DEP_3) | instskip(NEXT) | instid1(VALU_DEP_3)
	v_mul_f32_e32 v77, 0x3fb8aa3b, v77
	v_add_f32_e32 v79, v72, v69
	s_delay_alu instid0(TRANS32_DEP_2) | instskip(NEXT) | instid1(VALU_DEP_3)
	v_cndmask_b32_e64 v72, 0, v78, s13
	v_exp_f32_e32 v90, v77
	v_cndmask_b32_e64 v77, 0, v82, s15
	s_delay_alu instid0(VALU_DEP_3) | instskip(SKIP_1) | instid1(VALU_DEP_1)
	v_add_f32_e32 v78, v79, v71
	v_fma_f32 v79, s19, v107, -v68
	v_dual_add_f32 v82, v78, v72 :: v_dual_mul_f32 v79, 0x3fb8aa3b, v79
	v_cndmask_b32_e64 v78, 0, v81, s16
	s_delay_alu instid0(VALU_DEP_2) | instskip(NEXT) | instid1(VALU_DEP_3)
	v_add_f32_e32 v81, v82, v77
	v_exp_f32_e32 v82, v79
	s_delay_alu instid0(TRANS32_DEP_2) | instskip(NEXT) | instid1(VALU_DEP_2)
	v_cndmask_b32_e64 v79, 0, v90, s17
	v_add_f32_e32 v81, v81, v78
	s_delay_alu instid0(VALU_DEP_1) | instskip(SKIP_2) | instid1(VALU_DEP_1)
	v_add_f32_e32 v90, v81, v79
	s_waitcnt_depctr 0xfff
	v_cndmask_b32_e64 v81, 0, v82, s18
	v_add_f32_e32 v82, v90, v81
	ds_bpermute_b32 v89, v89, v82
	v_cmpx_gt_u32_e32 16, v67
	s_cbranch_execz .LBB1687_12
; %bb.11:
	v_mul_u32_u24_e32 v67, 0x44, v66
	s_delay_alu instid0(VALU_DEP_1) | instskip(SKIP_1) | instid1(VALU_DEP_1)
	v_lshl_add_u32 v67, v65, 2, v67
	s_waitcnt lgkmcnt(0)
	v_dual_add_f32 v82, v82, v89 :: v_dual_add_nc_u32 v67, 0x4000, v67
	ds_store_2addr_b32 v67, v68, v82 offset1:136
.LBB1687_12:
	s_or_b32 exec_lo, exec_lo, s3
	v_lshlrev_b32_e32 v67, 2, v65
	s_waitcnt lgkmcnt(0)
	s_barrier
	buffer_gl0_inv
	v_cmp_eq_u32_e32 vcc_lo, 1, v66
	v_add_nc_u32_e32 v82, 0x4000, v67
	v_cmp_eq_u32_e64 s3, 2, v66
	v_cmp_eq_u32_e64 s5, 7, v66
	ds_load_2addr_b32 v[89:90], v82 offset1:17
	ds_load_2addr_b32 v[91:92], v82 offset0:34 offset1:51
	ds_load_2addr_b32 v[93:94], v82 offset0:68 offset1:85
	;; [unrolled: 1-line block ×4, first 2 shown]
	s_waitcnt lgkmcnt(4)
	v_max3_f32 v67, v89, 0xff7fffff, v90
	s_waitcnt lgkmcnt(3)
	s_delay_alu instid0(VALU_DEP_1) | instskip(SKIP_1) | instid1(VALU_DEP_1)
	v_max3_f32 v67, v67, v91, v92
	s_waitcnt lgkmcnt(2)
	v_max3_f32 v67, v67, v93, v94
	s_waitcnt lgkmcnt(1)
	s_delay_alu instid0(VALU_DEP_1) | instskip(NEXT) | instid1(VALU_DEP_1)
	v_max3_f32 v67, v67, v95, v96
	v_sub_f32_e32 v93, v93, v67
	s_delay_alu instid0(VALU_DEP_1) | instskip(NEXT) | instid1(VALU_DEP_1)
	v_dual_sub_f32 v68, v89, v67 :: v_dual_mul_f32 v103, 0x3fb8aa3b, v93
	v_mul_f32_e32 v68, 0x3fb8aa3b, v68
	s_delay_alu instid0(VALU_DEP_1)
	v_exp_f32_e32 v100, v68
	v_sub_f32_e32 v68, v92, v67
	v_sub_f32_e32 v99, v90, v67
	ds_load_2addr_b32 v[89:90], v82 offset0:170 offset1:187
	v_dual_mul_f32 v102, 0x3fb8aa3b, v68 :: v_dual_mul_f32 v99, 0x3fb8aa3b, v99
	s_waitcnt lgkmcnt(1)
	v_fma_f32 v68, v100, v97, 0
	s_delay_alu instid0(VALU_DEP_2) | instskip(NEXT) | instid1(VALU_DEP_2)
	v_exp_f32_e32 v102, v102
	v_exp_f32_e32 v99, v99
	s_waitcnt_depctr 0xfff
	v_fmac_f32_e32 v68, v99, v98
	v_sub_f32_e32 v91, v91, v67
	s_delay_alu instid0(VALU_DEP_1)
	v_mul_f32_e32 v101, 0x3fb8aa3b, v91
	ds_load_2addr_b32 v[91:92], v82 offset0:204 offset1:221
	v_sub_f32_e32 v97, v94, v67
	ds_load_2addr_b32 v[93:94], v82 offset0:238 offset1:255
	s_waitcnt lgkmcnt(0)
	v_exp_f32_e32 v101, v101
	s_barrier
	buffer_gl0_inv
	v_dual_fmac_f32 v68, v101, v89 :: v_dual_sub_f32 v89, v96, v67
	v_dual_sub_f32 v82, v95, v67 :: v_dual_mul_f32 v95, 0x3fb8aa3b, v97
	v_exp_f32_e32 v97, v103
	s_delay_alu instid0(VALU_DEP_2) | instskip(NEXT) | instid1(VALU_DEP_2)
	v_dual_fmac_f32 v68, v102, v90 :: v_dual_mul_f32 v89, 0x3fb8aa3b, v89
	v_mul_f32_e32 v82, 0x3fb8aa3b, v82
	s_delay_alu instid0(VALU_DEP_3) | instskip(NEXT) | instid1(VALU_DEP_2)
	v_exp_f32_e32 v95, v95
	v_exp_f32_e32 v89, v89
	s_delay_alu instid0(VALU_DEP_1)
	v_exp_f32_e32 v82, v82
	v_fmac_f32_e32 v68, v97, v91
	s_delay_alu instid0(TRANS32_DEP_3) | instid1(VALU_DEP_1)
	v_fmac_f32_e32 v68, v95, v92
	s_waitcnt_depctr 0xfff
	v_fmac_f32_e32 v68, v82, v93
	s_delay_alu instid0(VALU_DEP_1) | instskip(NEXT) | instid1(VALU_DEP_1)
	v_fmac_f32_e32 v68, v89, v94
	v_add_f32_e32 v90, 0x358637bd, v68
	s_delay_alu instid0(VALU_DEP_1) | instskip(NEXT) | instid1(VALU_DEP_1)
	v_div_scale_f32 v91, null, v90, v90, 1.0
	v_rcp_f32_e32 v92, v91
	s_waitcnt_depctr 0xfff
	v_fma_f32 v93, -v91, v92, 1.0
	s_delay_alu instid0(VALU_DEP_1) | instskip(SKIP_1) | instid1(VALU_DEP_2)
	v_dual_fmac_f32 v92, v93, v92 :: v_dual_cndmask_b32 v93, v100, v99
	v_cmp_eq_u32_e32 vcc_lo, 3, v66
	v_cndmask_b32_e64 v93, v93, v101, s3
	v_cmp_eq_u32_e64 s3, 4, v66
	s_delay_alu instid0(VALU_DEP_2) | instskip(SKIP_1) | instid1(VALU_DEP_2)
	v_cndmask_b32_e32 v93, v93, v102, vcc_lo
	v_cmp_eq_u32_e32 vcc_lo, 5, v66
	v_cndmask_b32_e64 v93, v93, v97, s3
	v_cmp_eq_u32_e64 s3, 6, v66
	s_delay_alu instid0(VALU_DEP_2) | instskip(SKIP_1) | instid1(VALU_DEP_1)
	v_cndmask_b32_e32 v93, v93, v95, vcc_lo
	v_div_scale_f32 v94, s4, 1.0, v90, 1.0
	s_mov_b32 vcc_lo, s4
	s_delay_alu instid0(VALU_DEP_2) | instskip(NEXT) | instid1(VALU_DEP_2)
	v_cndmask_b32_e64 v82, v93, v82, s3
	v_mul_f32_e32 v96, v94, v92
	s_mov_b32 s3, exec_lo
	s_delay_alu instid0(VALU_DEP_2) | instskip(NEXT) | instid1(VALU_DEP_2)
	v_cndmask_b32_e64 v82, v82, v89, s5
	v_fma_f32 v98, -v91, v96, v94
	s_delay_alu instid0(VALU_DEP_1) | instskip(NEXT) | instid1(VALU_DEP_1)
	v_fmac_f32_e32 v96, v98, v92
	v_fma_f32 v91, -v91, v96, v94
	s_delay_alu instid0(VALU_DEP_1) | instskip(NEXT) | instid1(VALU_DEP_1)
	v_div_fmas_f32 v91, v91, v92, v96
	v_div_fixup_f32 v90, v91, v90, 1.0
	s_delay_alu instid0(VALU_DEP_1) | instskip(NEXT) | instid1(VALU_DEP_1)
	v_mul_f32_e32 v82, v82, v90
	v_mul_f32_e32 v87, v82, v87
	;; [unrolled: 1-line block ×7, first 2 shown]
	v_dual_mul_f32 v86, v82, v83 :: v_dual_and_b32 v91, 0x7f800000, v90
	v_mul_f32_e32 v85, v82, v76
                                        ; implicit-def: $vgpr76
	s_delay_alu instid0(VALU_DEP_2)
	v_cmpx_ne_u32_e32 0x7f800000, v91
	s_xor_b32 s3, exec_lo, s3
; %bb.13:
	v_bfe_u32 v76, v90, 16, 1
	s_delay_alu instid0(VALU_DEP_1)
	v_add3_u32 v76, v90, v76, 0x7fff
                                        ; implicit-def: $vgpr90
; %bb.14:
	s_and_not1_saveexec_b32 s3, s3
; %bb.15:
	v_and_b32_e32 v76, 0xffff, v90
	v_or_b32_e32 v83, 0x10000, v90
	s_delay_alu instid0(VALU_DEP_2) | instskip(NEXT) | instid1(VALU_DEP_2)
	v_cmp_eq_u32_e32 vcc_lo, 0, v76
	v_cndmask_b32_e32 v76, v83, v90, vcc_lo
; %bb.16:
	s_or_b32 exec_lo, exec_lo, s3
	v_and_b32_e32 v83, 0x7f800000, v85
	s_delay_alu instid0(VALU_DEP_1) | instskip(SKIP_1) | instid1(SALU_CYCLE_1)
	v_cmp_ne_u32_e32 vcc_lo, 0x7f800000, v83
                                        ; implicit-def: $vgpr83
	s_and_saveexec_b32 s3, vcc_lo
	s_xor_b32 s3, exec_lo, s3
; %bb.17:
	v_bfe_u32 v83, v85, 16, 1
	s_delay_alu instid0(VALU_DEP_1)
	v_add3_u32 v83, v85, v83, 0x7fff
                                        ; implicit-def: $vgpr85
; %bb.18:
	s_and_not1_saveexec_b32 s3, s3
; %bb.19:
	v_and_b32_e32 v83, 0xffff, v85
	v_or_b32_e32 v90, 0x10000, v85
	s_delay_alu instid0(VALU_DEP_2) | instskip(NEXT) | instid1(VALU_DEP_2)
	v_cmp_eq_u32_e32 vcc_lo, 0, v83
	v_cndmask_b32_e32 v83, v90, v85, vcc_lo
; %bb.20:
	s_or_b32 exec_lo, exec_lo, s3
	v_and_b32_e32 v85, 0x7f800000, v86
	s_delay_alu instid0(VALU_DEP_1) | instskip(SKIP_1) | instid1(SALU_CYCLE_1)
	v_cmp_ne_u32_e32 vcc_lo, 0x7f800000, v85
                                        ; implicit-def: $vgpr85
	s_and_saveexec_b32 s3, vcc_lo
	s_xor_b32 s3, exec_lo, s3
; %bb.21:
	v_bfe_u32 v85, v86, 16, 1
	s_delay_alu instid0(VALU_DEP_1)
	v_add3_u32 v85, v86, v85, 0x7fff
                                        ; implicit-def: $vgpr86
; %bb.22:
	s_and_not1_saveexec_b32 s3, s3
; %bb.23:
	v_and_b32_e32 v85, 0xffff, v86
	v_or_b32_e32 v90, 0x10000, v86
	s_delay_alu instid0(VALU_DEP_2) | instskip(NEXT) | instid1(VALU_DEP_2)
	v_cmp_eq_u32_e32 vcc_lo, 0, v85
	v_cndmask_b32_e32 v85, v90, v86, vcc_lo
; %bb.24:
	s_or_b32 exec_lo, exec_lo, s3
	v_and_b32_e32 v86, 0x7f800000, v89
	s_delay_alu instid0(VALU_DEP_1) | instskip(SKIP_1) | instid1(SALU_CYCLE_1)
	v_cmp_ne_u32_e32 vcc_lo, 0x7f800000, v86
                                        ; implicit-def: $vgpr86
	s_and_saveexec_b32 s3, vcc_lo
	s_xor_b32 s3, exec_lo, s3
; %bb.25:
	v_bfe_u32 v86, v89, 16, 1
	s_delay_alu instid0(VALU_DEP_1)
	v_add3_u32 v86, v89, v86, 0x7fff
                                        ; implicit-def: $vgpr89
; %bb.26:
	s_and_not1_saveexec_b32 s3, s3
; %bb.27:
	v_and_b32_e32 v86, 0xffff, v89
	v_or_b32_e32 v90, 0x10000, v89
	s_delay_alu instid0(VALU_DEP_2) | instskip(NEXT) | instid1(VALU_DEP_2)
	v_cmp_eq_u32_e32 vcc_lo, 0, v86
	v_cndmask_b32_e32 v86, v90, v89, vcc_lo
; %bb.28:
	s_or_b32 exec_lo, exec_lo, s3
	v_and_b32_e32 v89, 0x7f800000, v88
	s_delay_alu instid0(VALU_DEP_1) | instskip(SKIP_1) | instid1(SALU_CYCLE_1)
	v_cmp_ne_u32_e32 vcc_lo, 0x7f800000, v89
                                        ; implicit-def: $vgpr89
	s_and_saveexec_b32 s3, vcc_lo
	s_xor_b32 s3, exec_lo, s3
; %bb.29:
	v_bfe_u32 v89, v88, 16, 1
	s_delay_alu instid0(VALU_DEP_1)
	v_add3_u32 v89, v88, v89, 0x7fff
                                        ; implicit-def: $vgpr88
; %bb.30:
	s_and_not1_saveexec_b32 s3, s3
; %bb.31:
	v_and_b32_e32 v89, 0xffff, v88
	v_or_b32_e32 v90, 0x10000, v88
	s_delay_alu instid0(VALU_DEP_2) | instskip(NEXT) | instid1(VALU_DEP_2)
	v_cmp_eq_u32_e32 vcc_lo, 0, v89
	v_cndmask_b32_e32 v89, v90, v88, vcc_lo
; %bb.32:
	s_or_b32 exec_lo, exec_lo, s3
	v_and_b32_e32 v88, 0x7f800000, v87
	s_delay_alu instid0(VALU_DEP_1) | instskip(SKIP_1) | instid1(SALU_CYCLE_1)
	v_cmp_ne_u32_e32 vcc_lo, 0x7f800000, v88
                                        ; implicit-def: $vgpr88
	s_and_saveexec_b32 s3, vcc_lo
	s_xor_b32 s3, exec_lo, s3
; %bb.33:
	v_bfe_u32 v88, v87, 16, 1
	s_delay_alu instid0(VALU_DEP_1)
	v_add3_u32 v88, v87, v88, 0x7fff
                                        ; implicit-def: $vgpr87
; %bb.34:
	s_and_not1_saveexec_b32 s3, s3
; %bb.35:
	v_and_b32_e32 v88, 0xffff, v87
	v_or_b32_e32 v90, 0x10000, v87
	s_delay_alu instid0(VALU_DEP_2) | instskip(NEXT) | instid1(VALU_DEP_2)
	v_cmp_eq_u32_e32 vcc_lo, 0, v88
	v_cndmask_b32_e32 v88, v90, v87, vcc_lo
; %bb.36:
	s_or_b32 exec_lo, exec_lo, s3
	v_and_b32_e32 v87, 0x7f800000, v84
	s_delay_alu instid0(VALU_DEP_1) | instskip(SKIP_1) | instid1(SALU_CYCLE_1)
	v_cmp_ne_u32_e32 vcc_lo, 0x7f800000, v87
                                        ; implicit-def: $vgpr87
	s_and_saveexec_b32 s3, vcc_lo
	s_xor_b32 s3, exec_lo, s3
; %bb.37:
	v_bfe_u32 v87, v84, 16, 1
	s_delay_alu instid0(VALU_DEP_1)
	v_add3_u32 v87, v84, v87, 0x7fff
                                        ; implicit-def: $vgpr84
; %bb.38:
	s_and_not1_saveexec_b32 s3, s3
; %bb.39:
	v_and_b32_e32 v87, 0xffff, v84
	v_or_b32_e32 v90, 0x10000, v84
	s_delay_alu instid0(VALU_DEP_2) | instskip(NEXT) | instid1(VALU_DEP_2)
	v_cmp_eq_u32_e32 vcc_lo, 0, v87
	v_cndmask_b32_e32 v87, v90, v84, vcc_lo
; %bb.40:
	s_or_b32 exec_lo, exec_lo, s3
	v_and_b32_e32 v84, 0x7f800000, v80
	s_delay_alu instid0(VALU_DEP_1) | instskip(SKIP_1) | instid1(SALU_CYCLE_1)
	v_cmp_ne_u32_e32 vcc_lo, 0x7f800000, v84
                                        ; implicit-def: $vgpr84
	s_and_saveexec_b32 s3, vcc_lo
	s_xor_b32 s3, exec_lo, s3
; %bb.41:
	v_bfe_u32 v84, v80, 16, 1
	s_delay_alu instid0(VALU_DEP_1)
	v_add3_u32 v84, v80, v84, 0x7fff
                                        ; implicit-def: $vgpr80
; %bb.42:
	s_and_not1_saveexec_b32 s3, s3
; %bb.43:
	v_and_b32_e32 v84, 0xffff, v80
	v_or_b32_e32 v90, 0x10000, v80
	s_delay_alu instid0(VALU_DEP_2) | instskip(NEXT) | instid1(VALU_DEP_2)
	v_cmp_eq_u32_e32 vcc_lo, 0, v84
	v_cndmask_b32_e32 v84, v90, v80, vcc_lo
; %bb.44:
	s_or_b32 exec_lo, exec_lo, s3
	s_load_b64 s[34:35], s[0:1], 0x94
	v_lshlrev_b32_e32 v91, 4, v74
	s_delay_alu instid0(VALU_DEP_2)
	v_perm_b32 v90, v84, v87, 0x7060302
	v_dual_mul_f32 v79, v82, v79 :: v_dual_lshlrev_b32 v80, 6, v65
	v_dual_mul_f32 v77, v82, v77 :: v_dual_lshlrev_b32 v92, 11, v66
	v_mul_f32_e32 v84, v82, v70
	v_perm_b32 v89, v88, v89, 0x7060302
	v_perm_b32 v88, v86, v85, 0x7060302
	v_perm_b32 v87, v83, v76, 0x7060302
	v_mul_f32_e32 v70, v82, v81
	v_or3_b32 v76, v91, v92, v80
	v_dual_mul_f32 v78, v82, v78 :: v_dual_and_b32 v85, 0x7f800000, v84
	v_mul_f32_e32 v83, v82, v72
	v_mul_f32_e32 v81, v82, v71
	;; [unrolled: 1-line block ×3, first 2 shown]
	s_mov_b32 s3, exec_lo
	ds_store_b128 v76, v[87:90]
                                        ; implicit-def: $vgpr69
	v_cmpx_ne_u32_e32 0x7f800000, v85
	s_xor_b32 s3, exec_lo, s3
; %bb.45:
	v_bfe_u32 v69, v84, 16, 1
	s_delay_alu instid0(VALU_DEP_1)
	v_add3_u32 v69, v84, v69, 0x7fff
                                        ; implicit-def: $vgpr84
; %bb.46:
	s_and_not1_saveexec_b32 s3, s3
; %bb.47:
	v_and_b32_e32 v69, 0xffff, v84
	v_or_b32_e32 v71, 0x10000, v84
	s_delay_alu instid0(VALU_DEP_2) | instskip(NEXT) | instid1(VALU_DEP_2)
	v_cmp_eq_u32_e32 vcc_lo, 0, v69
	v_cndmask_b32_e32 v69, v71, v84, vcc_lo
; %bb.48:
	s_or_b32 exec_lo, exec_lo, s3
	v_and_b32_e32 v71, 0x7f800000, v72
	s_delay_alu instid0(VALU_DEP_1) | instskip(SKIP_1) | instid1(SALU_CYCLE_1)
	v_cmp_ne_u32_e32 vcc_lo, 0x7f800000, v71
                                        ; implicit-def: $vgpr71
	s_and_saveexec_b32 s3, vcc_lo
	s_xor_b32 s3, exec_lo, s3
; %bb.49:
	v_bfe_u32 v71, v72, 16, 1
	s_delay_alu instid0(VALU_DEP_1)
	v_add3_u32 v71, v72, v71, 0x7fff
                                        ; implicit-def: $vgpr72
; %bb.50:
	s_and_not1_saveexec_b32 s3, s3
; %bb.51:
	v_and_b32_e32 v71, 0xffff, v72
	v_or_b32_e32 v82, 0x10000, v72
	s_delay_alu instid0(VALU_DEP_2) | instskip(NEXT) | instid1(VALU_DEP_2)
	v_cmp_eq_u32_e32 vcc_lo, 0, v71
	v_cndmask_b32_e32 v71, v82, v72, vcc_lo
; %bb.52:
	s_or_b32 exec_lo, exec_lo, s3
	v_and_b32_e32 v72, 0x7f800000, v81
	s_delay_alu instid0(VALU_DEP_1) | instskip(SKIP_1) | instid1(SALU_CYCLE_1)
	v_cmp_ne_u32_e32 vcc_lo, 0x7f800000, v72
                                        ; implicit-def: $vgpr72
	s_and_saveexec_b32 s3, vcc_lo
	s_xor_b32 s3, exec_lo, s3
; %bb.53:
	v_bfe_u32 v72, v81, 16, 1
	s_delay_alu instid0(VALU_DEP_1)
	v_add3_u32 v72, v81, v72, 0x7fff
                                        ; implicit-def: $vgpr81
; %bb.54:
	s_and_not1_saveexec_b32 s3, s3
; %bb.55:
	v_and_b32_e32 v72, 0xffff, v81
	v_or_b32_e32 v82, 0x10000, v81
	s_delay_alu instid0(VALU_DEP_2) | instskip(NEXT) | instid1(VALU_DEP_2)
	v_cmp_eq_u32_e32 vcc_lo, 0, v72
	v_cndmask_b32_e32 v72, v82, v81, vcc_lo
; %bb.56:
	s_or_b32 exec_lo, exec_lo, s3
	v_and_b32_e32 v81, 0x7f800000, v83
	s_delay_alu instid0(VALU_DEP_1) | instskip(SKIP_1) | instid1(SALU_CYCLE_1)
	v_cmp_ne_u32_e32 vcc_lo, 0x7f800000, v81
                                        ; implicit-def: $vgpr81
	s_and_saveexec_b32 s3, vcc_lo
	s_xor_b32 s3, exec_lo, s3
; %bb.57:
	v_bfe_u32 v81, v83, 16, 1
	s_delay_alu instid0(VALU_DEP_1)
	v_add3_u32 v81, v83, v81, 0x7fff
                                        ; implicit-def: $vgpr83
; %bb.58:
	s_and_not1_saveexec_b32 s3, s3
; %bb.59:
	v_and_b32_e32 v81, 0xffff, v83
	v_or_b32_e32 v82, 0x10000, v83
	s_delay_alu instid0(VALU_DEP_2) | instskip(NEXT) | instid1(VALU_DEP_2)
	v_cmp_eq_u32_e32 vcc_lo, 0, v81
	v_cndmask_b32_e32 v81, v82, v83, vcc_lo
; %bb.60:
	s_or_b32 exec_lo, exec_lo, s3
	v_and_b32_e32 v82, 0x7f800000, v77
	s_delay_alu instid0(VALU_DEP_1) | instskip(SKIP_1) | instid1(SALU_CYCLE_1)
	v_cmp_ne_u32_e32 vcc_lo, 0x7f800000, v82
                                        ; implicit-def: $vgpr82
	s_and_saveexec_b32 s3, vcc_lo
	s_xor_b32 s3, exec_lo, s3
; %bb.61:
	v_bfe_u32 v82, v77, 16, 1
	s_delay_alu instid0(VALU_DEP_1)
	v_add3_u32 v82, v77, v82, 0x7fff
                                        ; implicit-def: $vgpr77
; %bb.62:
	s_and_not1_saveexec_b32 s3, s3
; %bb.63:
	v_and_b32_e32 v82, 0xffff, v77
	v_or_b32_e32 v83, 0x10000, v77
	s_delay_alu instid0(VALU_DEP_2) | instskip(NEXT) | instid1(VALU_DEP_2)
	v_cmp_eq_u32_e32 vcc_lo, 0, v82
	v_cndmask_b32_e32 v82, v83, v77, vcc_lo
; %bb.64:
	s_or_b32 exec_lo, exec_lo, s3
	v_and_b32_e32 v77, 0x7f800000, v78
	s_delay_alu instid0(VALU_DEP_1) | instskip(SKIP_1) | instid1(SALU_CYCLE_1)
	v_cmp_ne_u32_e32 vcc_lo, 0x7f800000, v77
                                        ; implicit-def: $vgpr77
	s_and_saveexec_b32 s3, vcc_lo
	s_xor_b32 s3, exec_lo, s3
; %bb.65:
	v_bfe_u32 v77, v78, 16, 1
	s_delay_alu instid0(VALU_DEP_1)
	v_add3_u32 v77, v78, v77, 0x7fff
                                        ; implicit-def: $vgpr78
; %bb.66:
	s_and_not1_saveexec_b32 s3, s3
; %bb.67:
	v_and_b32_e32 v77, 0xffff, v78
	v_or_b32_e32 v83, 0x10000, v78
	s_delay_alu instid0(VALU_DEP_2) | instskip(NEXT) | instid1(VALU_DEP_2)
	v_cmp_eq_u32_e32 vcc_lo, 0, v77
	v_cndmask_b32_e32 v77, v83, v78, vcc_lo
; %bb.68:
	s_or_b32 exec_lo, exec_lo, s3
	v_and_b32_e32 v78, 0x7f800000, v79
	s_delay_alu instid0(VALU_DEP_1) | instskip(SKIP_1) | instid1(SALU_CYCLE_1)
	v_cmp_ne_u32_e32 vcc_lo, 0x7f800000, v78
                                        ; implicit-def: $vgpr78
	s_and_saveexec_b32 s3, vcc_lo
	s_xor_b32 s3, exec_lo, s3
; %bb.69:
	v_bfe_u32 v78, v79, 16, 1
	s_delay_alu instid0(VALU_DEP_1)
	v_add3_u32 v78, v79, v78, 0x7fff
                                        ; implicit-def: $vgpr79
; %bb.70:
	s_and_not1_saveexec_b32 s3, s3
; %bb.71:
	v_and_b32_e32 v78, 0xffff, v79
	v_or_b32_e32 v83, 0x10000, v79
	s_delay_alu instid0(VALU_DEP_2) | instskip(NEXT) | instid1(VALU_DEP_2)
	v_cmp_eq_u32_e32 vcc_lo, 0, v78
	v_cndmask_b32_e32 v78, v83, v79, vcc_lo
; %bb.72:
	s_or_b32 exec_lo, exec_lo, s3
	v_and_b32_e32 v79, 0x7f800000, v70
	s_delay_alu instid0(VALU_DEP_1) | instskip(SKIP_1) | instid1(SALU_CYCLE_1)
	v_cmp_ne_u32_e32 vcc_lo, 0x7f800000, v79
                                        ; implicit-def: $vgpr79
	s_and_saveexec_b32 s3, vcc_lo
	s_xor_b32 s3, exec_lo, s3
; %bb.73:
	v_bfe_u32 v79, v70, 16, 1
	s_delay_alu instid0(VALU_DEP_1)
	v_add3_u32 v79, v70, v79, 0x7fff
                                        ; implicit-def: $vgpr70
; %bb.74:
	s_and_not1_saveexec_b32 s3, s3
; %bb.75:
	v_and_b32_e32 v79, 0xffff, v70
	v_or_b32_e32 v83, 0x10000, v70
	s_delay_alu instid0(VALU_DEP_2) | instskip(NEXT) | instid1(VALU_DEP_2)
	v_cmp_eq_u32_e32 vcc_lo, 0, v79
	v_cndmask_b32_e32 v79, v83, v70, vcc_lo
; %bb.76:
	s_or_b32 exec_lo, exec_lo, s3
	s_delay_alu instid0(VALU_DEP_1)
	v_perm_b32 v86, v79, v78, 0x7060302
	v_perm_b32 v85, v77, v82, 0x7060302
	;; [unrolled: 1-line block ×4, first 2 shown]
	v_lshl_or_b32 v82, v66, 11, v80
	ds_store_b128 v76, v[83:86] offset:1024
	s_waitcnt lgkmcnt(0)
	s_barrier
	buffer_gl0_inv
	ds_load_b128 v[69:72], v82
	ds_load_b128 v[83:86], v82 offset:16
	s_waitcnt lgkmcnt(1)
	v_lshrrev_b32_e32 v66, 16, v69
	s_waitcnt lgkmcnt(0)
	v_lshrrev_b32_e32 v91, 16, v83
	v_lshlrev_b32_e32 v78, 2, v74
	v_lshrrev_b32_e32 v95, 16, v70
	v_lshrrev_b32_e32 v98, 16, v84
	;; [unrolled: 1-line block ×4, first 2 shown]
	v_cmp_eq_u32_e32 vcc_lo, 1, v78
	v_lshrrev_b32_e32 v97, 16, v72
	v_lshrrev_b32_e32 v100, 16, v86
	v_cndmask_b32_e32 v87, v83, v91, vcc_lo
	v_or_b32_e32 v79, 1, v78
	v_cndmask_b32_e32 v81, v69, v66, vcc_lo
	v_cmp_eq_u32_e64 s4, 2, v78
	v_cmp_eq_u32_e64 s7, 3, v78
	;; [unrolled: 1-line block ×5, first 2 shown]
	v_cndmask_b32_e64 v81, v81, v70, s4
	v_cndmask_b32_e64 v87, v87, v84, s4
	v_cmp_eq_u32_e64 s8, 3, v79
	v_cndmask_b32_e64 v88, v69, v66, s3
	v_or_b32_e32 v77, 2, v78
	v_cndmask_b32_e64 v81, v81, v95, s7
	v_cndmask_b32_e64 v87, v87, v98, s7
	;; [unrolled: 1-line block ×4, first 2 shown]
	v_cmp_eq_u32_e64 s10, 5, v78
	v_cndmask_b32_e64 v81, v81, v71, s9
	v_cndmask_b32_e64 v87, v87, v85, s9
	v_cmp_eq_u32_e64 s11, 4, v79
	v_cndmask_b32_e64 v88, v88, v95, s8
	v_cmp_eq_u32_e64 s5, 1, v77
	v_cndmask_b32_e64 v89, v89, v84, s6
	v_cndmask_b32_e64 v81, v81, v96, s10
	v_cmp_eq_u32_e64 s12, 6, v78
	v_cndmask_b32_e64 v88, v88, v71, s11
	;; [unrolled: 3-line block ×3, first 2 shown]
	v_cndmask_b32_e64 v89, v89, v98, s8
	v_cndmask_b32_e64 v81, v81, v72, s12
	v_cmp_eq_u32_e64 s15, 7, v78
	v_cndmask_b32_e64 v88, v88, v96, s13
	v_cndmask_b32_e64 v87, v87, v86, s12
	v_cmp_eq_u32_e64 s16, 6, v79
	v_cmp_eq_u32_e64 s17, 2, v77
	v_cndmask_b32_e64 v89, v89, v85, s11
	v_cndmask_b32_e64 v101, v81, v97, s15
	;; [unrolled: 1-line block ×6, first 2 shown]
	v_cmp_eq_u32_e64 s18, 7, v79
	v_cmp_eq_u32_e64 s19, 3, v77
	;; [unrolled: 1-line block ×4, first 2 shown]
	v_cndmask_b32_e64 v87, v87, v84, s17
	v_cndmask_b32_e64 v103, v88, v97, s18
	;; [unrolled: 1-line block ×4, first 2 shown]
	v_or_b32_e32 v81, 3, v78
	v_cndmask_b32_e64 v93, v87, v98, s19
	v_cmp_eq_u32_e64 s24, 6, v77
	v_cndmask_b32_e64 v104, v88, v86, s16
	v_cndmask_b32_e64 v92, v89, v71, s20
	v_cmp_eq_u32_e64 s21, 1, v81
	ds_load_b128 v[87:90], v82 offset:1024
	v_cmp_eq_u32_e64 s23, 2, v81
	v_cmp_eq_u32_e64 s25, 3, v81
	v_cndmask_b32_e64 v105, v92, v96, s22
	v_cndmask_b32_e64 v66, v69, v66, s21
	;; [unrolled: 1-line block ×4, first 2 shown]
	ds_load_b128 v[91:94], v82 offset:1040
	v_cmp_eq_u32_e64 s26, 4, v81
	v_cndmask_b32_e64 v66, v66, v70, s23
	v_cmp_eq_u32_e64 s27, 7, v77
	v_cndmask_b32_e64 v70, v83, v84, s23
	v_cndmask_b32_e64 v84, v105, v72, s24
	v_cmp_eq_u32_e64 s28, 5, v81
	v_cndmask_b32_e64 v66, v66, v95, s25
	v_cmp_eq_u32_e64 s29, 6, v81
	v_cndmask_b32_e64 v70, v70, v98, s25
	v_cndmask_b32_e64 v69, v69, v99, s22
	;; [unrolled: 1-line block ×4, first 2 shown]
	s_waitcnt lgkmcnt(1)
	v_lshrrev_b32_e32 v95, 16, v87
	v_cndmask_b32_e64 v70, v70, v85, s26
	v_cndmask_b32_e64 v71, v84, v97, s27
	;; [unrolled: 1-line block ×4, first 2 shown]
	v_cndmask_b32_e32 v84, v87, v95, vcc_lo
	v_cndmask_b32_e64 v70, v70, v99, s28
	s_waitcnt lgkmcnt(0)
	v_lshrrev_b32_e32 v85, 16, v91
	v_lshrrev_b32_e32 v96, 16, v88
	v_cndmask_b32_e64 v98, v87, v95, s3
	v_cndmask_b32_e64 v84, v84, v88, s4
	;; [unrolled: 1-line block ×3, first 2 shown]
	v_cndmask_b32_e32 v99, v91, v85, vcc_lo
	v_cmp_eq_u32_e32 vcc_lo, 7, v81
	v_cndmask_b32_e64 v66, v66, v72, s29
	v_cndmask_b32_e64 v72, v84, v96, s7
	;; [unrolled: 1-line block ×3, first 2 shown]
	v_lshrrev_b32_e32 v98, 16, v92
	v_cndmask_b32_e32 v70, v70, v100, vcc_lo
	v_cndmask_b32_e64 v86, v99, v92, s4
	v_cndmask_b32_e64 v69, v69, v100, s27
	v_lshrrev_b32_e32 v100, 16, v93
	v_cndmask_b32_e64 v72, v72, v89, s9
	v_lshrrev_b32_e32 v99, 16, v89
	v_cndmask_b32_e64 v86, v86, v98, s7
	v_perm_b32 v71, v69, v71, 0x5040100
	v_cndmask_b32_e64 v84, v84, v96, s8
	s_delay_alu instid0(VALU_DEP_3) | instskip(NEXT) | instid1(VALU_DEP_2)
	v_cndmask_b32_e64 v86, v86, v93, s9
	v_cndmask_b32_e64 v84, v84, v89, s11
	s_delay_alu instid0(VALU_DEP_2) | instskip(NEXT) | instid1(VALU_DEP_1)
	v_cndmask_b32_e64 v86, v86, v100, s10
	v_cndmask_b32_e64 v69, v86, v94, s12
	;; [unrolled: 1-line block ×5, first 2 shown]
	s_delay_alu instid0(VALU_DEP_3) | instskip(NEXT) | instid1(VALU_DEP_3)
	v_cndmask_b32_e64 v86, v86, v88, s17
	v_cndmask_b32_e64 v87, v87, v88, s23
	s_delay_alu instid0(VALU_DEP_3) | instskip(NEXT) | instid1(VALU_DEP_3)
	v_cndmask_b32_e64 v88, v95, v92, s23
	v_cndmask_b32_e64 v86, v86, v96, s19
	;; [unrolled: 3-line block ×7, first 2 shown]
	s_delay_alu instid0(VALU_DEP_3) | instskip(SKIP_2) | instid1(VALU_DEP_2)
	v_cndmask_b32_e64 v88, v88, v94, s29
	v_cndmask_b32_e32 v66, v66, v97, vcc_lo
	v_cndmask_b32_e64 v97, v72, v99, s10
	v_perm_b32 v72, v70, v66, 0x5040100
	v_perm_b32 v70, v83, v103, 0x5040100
	v_cndmask_b32_e64 v103, v91, v85, s5
	v_cndmask_b32_e64 v85, v91, v85, s3
	;; [unrolled: 1-line block ×4, first 2 shown]
	v_lshrrev_b32_e32 v97, 16, v90
	v_cndmask_b32_e64 v91, v103, v92, s17
	v_cndmask_b32_e64 v85, v85, v92, s6
	;; [unrolled: 1-line block ×3, first 2 shown]
	s_mov_b32 s3, exec_lo
	v_cndmask_b32_e64 v83, v84, v97, s15
	v_cndmask_b32_e64 v91, v91, v98, s19
	;; [unrolled: 1-line block ×3, first 2 shown]
	v_lshrrev_b32_e32 v84, 16, v94
	v_cndmask_b32_e64 v66, v66, v97, s18
	v_cndmask_b32_e64 v90, v86, v97, s27
	;; [unrolled: 1-line block ×4, first 2 shown]
	v_dual_cndmask_b32 v86, v87, v97 :: v_dual_cndmask_b32 v87, v88, v84
	v_cndmask_b32_e64 v91, v69, v84, s15
	s_delay_alu instid0(VALU_DEP_4) | instskip(NEXT) | instid1(VALU_DEP_4)
	v_cndmask_b32_e64 v89, v89, v100, s22
	v_cndmask_b32_e64 v85, v85, v100, s13
	v_perm_b32 v69, v102, v101, 0x5040100
	v_perm_b32 v86, v87, v86, 0x5040100
	;; [unrolled: 1-line block ×3, first 2 shown]
	v_cndmask_b32_e64 v89, v89, v94, s24
	v_cndmask_b32_e64 v85, v85, v94, s16
	s_mul_i32 s8, s35, 10
	s_delay_alu instid0(VALU_DEP_2) | instskip(NEXT) | instid1(VALU_DEP_2)
	v_cndmask_b32_e64 v88, v89, v84, s27
	v_cndmask_b32_e64 v89, v85, v84, s18
	s_delay_alu instid0(VALU_DEP_2) | instskip(NEXT) | instid1(VALU_DEP_2)
	v_perm_b32 v85, v88, v90, 0x5040100
	v_perm_b32 v84, v89, v66, 0x5040100
	ds_store_b128 v76, v[69:72]
	ds_store_b128 v76, v[83:86] offset:1024
	v_cmpx_gt_u32_e32 10, v0
	s_cbranch_execz .LBB1687_78
; %bb.77:
	s_mul_i32 s4, s8, s30
	s_delay_alu instid0(SALU_CYCLE_1) | instskip(SKIP_1) | instid1(VALU_DEP_1)
	v_add3_u32 v69, s4, s31, v65
	s_load_b128 s[4:7], s[0:1], 0x58
	v_mad_u64_u32 v[65:66], null, v69, s34, s[14:15]
	s_delay_alu instid0(VALU_DEP_1) | instskip(NEXT) | instid1(VALU_DEP_1)
	v_ashrrev_i32_e32 v66, 31, v65
	v_lshlrev_b64 v[65:66], 2, v[65:66]
	s_waitcnt lgkmcnt(0)
	s_delay_alu instid0(VALU_DEP_1) | instskip(NEXT) | instid1(VALU_DEP_2)
	v_add_co_u32 v69, vcc_lo, s6, v65
	v_add_co_ci_u32_e32 v70, vcc_lo, s7, v66, vcc_lo
	v_add_co_u32 v65, vcc_lo, s4, v65
	v_add_co_ci_u32_e32 v66, vcc_lo, s5, v66, vcc_lo
	global_store_b32 v[69:70], v67, off
	global_store_b32 v[65:66], v68, off
.LBB1687_78:
	s_or_b32 exec_lo, exec_lo, s3
	s_waitcnt lgkmcnt(0)
	s_waitcnt_vscnt null, 0x0
	s_barrier
	buffer_gl0_inv
	ds_load_b128 v[83:86], v80
	ds_load_b128 v[87:90], v80 offset:16
	ds_load_b128 v[95:98], v80 offset:2064
	;; [unrolled: 1-line block ×3, first 2 shown]
	v_mov_b32_e32 v65, 0
	ds_load_b128 v[103:106], v80 offset:4112
	ds_load_b128 v[99:102], v80 offset:4096
	;; [unrolled: 1-line block ×4, first 2 shown]
	v_mov_b32_e32 v66, v65
	v_mov_b32_e32 v67, v65
	;; [unrolled: 1-line block ×7, first 2 shown]
	s_waitcnt lgkmcnt(6)
	s_delay_alu instid0(VALU_DEP_1)
	v_wmma_f32_16x16x16_bf16 v[65:72], v[57:64], v[83:90], v[65:72]
	ds_load_b128 v[61:64], v80 offset:8208
	ds_load_b128 v[57:60], v80 offset:8192
	s_waitcnt lgkmcnt(6)
	v_wmma_f32_16x16x16_bf16 v[65:72], v[41:48], v[91:98], v[65:72]
	ds_load_b128 v[45:48], v80 offset:10256
	ds_load_b128 v[41:44], v80 offset:10240
	s_waitcnt lgkmcnt(6)
	;; [unrolled: 4-line block ×4, first 2 shown]
	v_wmma_f32_16x16x16_bf16 v[65:72], v[1:8], v[57:64], v[65:72]
	s_waitcnt lgkmcnt(4)
	s_delay_alu instid0(VALU_DEP_1) | instskip(SKIP_1) | instid1(VALU_DEP_1)
	v_wmma_f32_16x16x16_bf16 v[65:72], v[9:16], v[41:48], v[65:72]
	s_waitcnt lgkmcnt(2)
	v_wmma_f32_16x16x16_bf16 v[65:72], v[17:24], v[33:40], v[65:72]
	s_waitcnt lgkmcnt(0)
	s_delay_alu instid0(VALU_DEP_1) | instskip(NEXT) | instid1(VALU_DEP_1)
	v_wmma_f32_16x16x16_bf16 v[65:72], v[49:56], v[25:32], v[65:72]
	v_and_b32_e32 v1, 0x7f800000, v65
	s_delay_alu instid0(VALU_DEP_1) | instskip(SKIP_1) | instid1(SALU_CYCLE_1)
	v_cmp_ne_u32_e32 vcc_lo, 0x7f800000, v1
                                        ; implicit-def: $vgpr1
	s_and_saveexec_b32 s3, vcc_lo
	s_xor_b32 s3, exec_lo, s3
; %bb.79:
	v_bfe_u32 v1, v65, 16, 1
	s_delay_alu instid0(VALU_DEP_1)
	v_add3_u32 v1, v65, v1, 0x7fff
; %bb.80:
	s_and_not1_saveexec_b32 s3, s3
; %bb.81:
	v_and_b32_e32 v1, 0xffff, v65
	v_or_b32_e32 v2, 0x10000, v65
	s_delay_alu instid0(VALU_DEP_2) | instskip(NEXT) | instid1(VALU_DEP_2)
	v_cmp_eq_u32_e32 vcc_lo, 0, v1
	v_cndmask_b32_e32 v1, v2, v65, vcc_lo
; %bb.82:
	s_or_b32 exec_lo, exec_lo, s3
	v_and_b32_e32 v2, 0x7f800000, v66
	s_delay_alu instid0(VALU_DEP_1) | instskip(SKIP_1) | instid1(SALU_CYCLE_1)
	v_cmp_ne_u32_e32 vcc_lo, 0x7f800000, v2
                                        ; implicit-def: $vgpr2
	s_and_saveexec_b32 s3, vcc_lo
	s_xor_b32 s3, exec_lo, s3
; %bb.83:
	v_bfe_u32 v2, v66, 16, 1
	s_delay_alu instid0(VALU_DEP_1)
	v_add3_u32 v2, v66, v2, 0x7fff
; %bb.84:
	s_and_not1_saveexec_b32 s3, s3
; %bb.85:
	v_and_b32_e32 v2, 0xffff, v66
	v_or_b32_e32 v3, 0x10000, v66
	s_delay_alu instid0(VALU_DEP_2) | instskip(NEXT) | instid1(VALU_DEP_2)
	v_cmp_eq_u32_e32 vcc_lo, 0, v2
	v_cndmask_b32_e32 v2, v3, v66, vcc_lo
; %bb.86:
	s_or_b32 exec_lo, exec_lo, s3
	v_and_b32_e32 v3, 0x7f800000, v67
	s_delay_alu instid0(VALU_DEP_1) | instskip(SKIP_1) | instid1(SALU_CYCLE_1)
	v_cmp_ne_u32_e32 vcc_lo, 0x7f800000, v3
                                        ; implicit-def: $vgpr3
	s_and_saveexec_b32 s3, vcc_lo
	s_xor_b32 s3, exec_lo, s3
; %bb.87:
	v_bfe_u32 v3, v67, 16, 1
	s_delay_alu instid0(VALU_DEP_1)
	v_add3_u32 v3, v67, v3, 0x7fff
; %bb.88:
	s_and_not1_saveexec_b32 s3, s3
; %bb.89:
	v_and_b32_e32 v3, 0xffff, v67
	v_or_b32_e32 v4, 0x10000, v67
	s_delay_alu instid0(VALU_DEP_2) | instskip(NEXT) | instid1(VALU_DEP_2)
	v_cmp_eq_u32_e32 vcc_lo, 0, v3
	v_cndmask_b32_e32 v3, v4, v67, vcc_lo
; %bb.90:
	s_or_b32 exec_lo, exec_lo, s3
	v_and_b32_e32 v4, 0x7f800000, v68
	s_delay_alu instid0(VALU_DEP_1) | instskip(SKIP_1) | instid1(SALU_CYCLE_1)
	v_cmp_ne_u32_e32 vcc_lo, 0x7f800000, v4
                                        ; implicit-def: $vgpr4
	s_and_saveexec_b32 s3, vcc_lo
	s_xor_b32 s3, exec_lo, s3
; %bb.91:
	v_bfe_u32 v4, v68, 16, 1
	s_delay_alu instid0(VALU_DEP_1)
	v_add3_u32 v4, v68, v4, 0x7fff
; %bb.92:
	s_and_not1_saveexec_b32 s3, s3
; %bb.93:
	v_and_b32_e32 v4, 0xffff, v68
	v_or_b32_e32 v5, 0x10000, v68
	s_delay_alu instid0(VALU_DEP_2) | instskip(NEXT) | instid1(VALU_DEP_2)
	v_cmp_eq_u32_e32 vcc_lo, 0, v4
	v_cndmask_b32_e32 v4, v5, v68, vcc_lo
; %bb.94:
	s_or_b32 exec_lo, exec_lo, s3
	v_and_b32_e32 v5, 0x7f800000, v69
	s_delay_alu instid0(VALU_DEP_1) | instskip(SKIP_1) | instid1(SALU_CYCLE_1)
	v_cmp_ne_u32_e32 vcc_lo, 0x7f800000, v5
                                        ; implicit-def: $vgpr5
	s_and_saveexec_b32 s3, vcc_lo
	s_xor_b32 s3, exec_lo, s3
; %bb.95:
	v_bfe_u32 v5, v69, 16, 1
	s_delay_alu instid0(VALU_DEP_1)
	v_add3_u32 v5, v69, v5, 0x7fff
; %bb.96:
	s_and_not1_saveexec_b32 s3, s3
; %bb.97:
	v_and_b32_e32 v5, 0xffff, v69
	v_or_b32_e32 v6, 0x10000, v69
	s_delay_alu instid0(VALU_DEP_2) | instskip(NEXT) | instid1(VALU_DEP_2)
	v_cmp_eq_u32_e32 vcc_lo, 0, v5
	v_cndmask_b32_e32 v5, v6, v69, vcc_lo
; %bb.98:
	s_or_b32 exec_lo, exec_lo, s3
	v_and_b32_e32 v6, 0x7f800000, v70
	s_delay_alu instid0(VALU_DEP_1) | instskip(SKIP_1) | instid1(SALU_CYCLE_1)
	v_cmp_ne_u32_e32 vcc_lo, 0x7f800000, v6
                                        ; implicit-def: $vgpr6
	s_and_saveexec_b32 s3, vcc_lo
	s_xor_b32 s3, exec_lo, s3
; %bb.99:
	v_bfe_u32 v6, v70, 16, 1
	s_delay_alu instid0(VALU_DEP_1)
	v_add3_u32 v6, v70, v6, 0x7fff
; %bb.100:
	s_and_not1_saveexec_b32 s3, s3
; %bb.101:
	v_and_b32_e32 v6, 0xffff, v70
	v_or_b32_e32 v7, 0x10000, v70
	s_delay_alu instid0(VALU_DEP_2) | instskip(NEXT) | instid1(VALU_DEP_2)
	v_cmp_eq_u32_e32 vcc_lo, 0, v6
	v_cndmask_b32_e32 v6, v7, v70, vcc_lo
; %bb.102:
	s_or_b32 exec_lo, exec_lo, s3
	v_and_b32_e32 v7, 0x7f800000, v71
	s_delay_alu instid0(VALU_DEP_1) | instskip(SKIP_1) | instid1(SALU_CYCLE_1)
	v_cmp_ne_u32_e32 vcc_lo, 0x7f800000, v7
                                        ; implicit-def: $vgpr7
	s_and_saveexec_b32 s3, vcc_lo
	s_xor_b32 s3, exec_lo, s3
; %bb.103:
	v_bfe_u32 v7, v71, 16, 1
	s_delay_alu instid0(VALU_DEP_1)
	v_add3_u32 v7, v71, v7, 0x7fff
; %bb.104:
	s_and_not1_saveexec_b32 s3, s3
; %bb.105:
	v_and_b32_e32 v7, 0xffff, v71
	v_or_b32_e32 v8, 0x10000, v71
	s_delay_alu instid0(VALU_DEP_2) | instskip(NEXT) | instid1(VALU_DEP_2)
	v_cmp_eq_u32_e32 vcc_lo, 0, v7
	v_cndmask_b32_e32 v7, v8, v71, vcc_lo
; %bb.106:
	s_or_b32 exec_lo, exec_lo, s3
	v_and_b32_e32 v8, 0x7f800000, v72
	s_delay_alu instid0(VALU_DEP_1) | instskip(SKIP_1) | instid1(SALU_CYCLE_1)
	v_cmp_ne_u32_e32 vcc_lo, 0x7f800000, v8
                                        ; implicit-def: $vgpr8
	s_and_saveexec_b32 s3, vcc_lo
	s_xor_b32 s3, exec_lo, s3
; %bb.107:
	v_bfe_u32 v8, v72, 16, 1
	s_delay_alu instid0(VALU_DEP_1)
	v_add3_u32 v8, v72, v8, 0x7fff
                                        ; implicit-def: $vgpr65_vgpr66_vgpr67_vgpr68_vgpr69_vgpr70_vgpr71_vgpr72
; %bb.108:
	s_and_not1_saveexec_b32 s3, s3
; %bb.109:
	v_and_b32_e32 v8, 0xffff, v72
	v_or_b32_e32 v9, 0x10000, v72
	s_delay_alu instid0(VALU_DEP_2) | instskip(NEXT) | instid1(VALU_DEP_2)
	v_cmp_eq_u32_e32 vcc_lo, 0, v8
	v_cndmask_b32_e32 v8, v9, v72, vcc_lo
; %bb.110:
	s_or_b32 exec_lo, exec_lo, s3
	s_delay_alu instid0(VALU_DEP_1)
	v_perm_b32 v7, v8, v7, 0x7060302
	v_perm_b32 v6, v6, v5, 0x7060302
	;; [unrolled: 1-line block ×4, first 2 shown]
	s_barrier
	buffer_gl0_inv
	v_cmp_eq_u32_e32 vcc_lo, 1, v78
	ds_store_b128 v76, v[4:7]
	s_waitcnt lgkmcnt(0)
	s_barrier
	buffer_gl0_inv
	ds_load_b128 v[1:4], v82
	ds_load_b128 v[5:8], v82 offset:16
	v_cmp_eq_u32_e64 s3, 1, v79
	v_cmp_eq_u32_e64 s4, 2, v78
	;; [unrolled: 1-line block ×5, first 2 shown]
	s_waitcnt lgkmcnt(1)
	v_lshrrev_b32_e32 v9, 16, v1
	s_waitcnt lgkmcnt(0)
	v_lshrrev_b32_e32 v13, 16, v5
	v_lshrrev_b32_e32 v10, 16, v2
	;; [unrolled: 1-line block ×4, first 2 shown]
	v_cndmask_b32_e64 v19, v1, v9, s3
	v_cndmask_b32_e32 v18, v5, v13, vcc_lo
	v_cndmask_b32_e64 v20, v5, v13, s3
	v_cndmask_b32_e32 v17, v1, v9, vcc_lo
	v_cmp_eq_u32_e32 vcc_lo, 2, v79
	v_lshrrev_b32_e32 v15, 16, v7
	v_cmp_eq_u32_e64 s3, 1, v77
	v_lshrrev_b32_e32 v12, 16, v4
	v_lshrrev_b32_e32 v16, 16, v8
	v_cndmask_b32_e32 v20, v20, v6, vcc_lo
	v_cndmask_b32_e64 v17, v17, v2, s4
	v_cndmask_b32_e32 v19, v19, v2, vcc_lo
	v_cndmask_b32_e64 v18, v18, v6, s4
	v_cmp_eq_u32_e32 vcc_lo, 4, v78
	v_cmp_eq_u32_e64 s4, 3, v79
	v_cndmask_b32_e64 v17, v17, v10, s5
	v_cndmask_b32_e64 v21, v1, v9, s3
	;; [unrolled: 1-line block ×5, first 2 shown]
	v_cndmask_b32_e32 v17, v17, v3, vcc_lo
	v_cndmask_b32_e64 v20, v20, v14, s4
	v_cndmask_b32_e32 v18, v18, v7, vcc_lo
	v_cmp_eq_u32_e32 vcc_lo, 4, v79
	v_cmp_eq_u32_e64 s4, 5, v79
	v_cmp_eq_u32_e64 s3, 2, v81
	v_cndmask_b32_e64 v21, v21, v2, s7
	v_cmp_eq_u32_e64 s5, 5, v78
	v_cndmask_b32_e32 v19, v19, v3, vcc_lo
	v_cndmask_b32_e32 v20, v20, v7, vcc_lo
	v_cmp_eq_u32_e32 vcc_lo, 6, v79
	s_delay_alu instid0(VALU_DEP_4) | instskip(NEXT) | instid1(VALU_DEP_4)
	v_cndmask_b32_e64 v17, v17, v11, s5
	v_cndmask_b32_e64 v19, v19, v11, s4
	s_delay_alu instid0(VALU_DEP_4) | instskip(SKIP_1) | instid1(VALU_DEP_3)
	v_cndmask_b32_e64 v20, v20, v15, s4
	v_cmp_eq_u32_e64 s4, 1, v81
	v_cndmask_b32_e32 v19, v19, v4, vcc_lo
	v_cndmask_b32_e64 v18, v18, v15, s5
	s_delay_alu instid0(VALU_DEP_3)
	v_cndmask_b32_e64 v1, v1, v9, s4
	v_cndmask_b32_e64 v5, v5, v13, s4
	v_cmp_eq_u32_e64 s4, 3, v77
	v_cndmask_b32_e64 v13, v22, v6, s7
	v_cmp_eq_u32_e64 s7, 3, v81
	v_cndmask_b32_e64 v1, v1, v2, s3
	v_cndmask_b32_e64 v2, v5, v6, s3
	;; [unrolled: 1-line block ×3, first 2 shown]
	v_cmp_eq_u32_e64 s3, 4, v77
	v_cndmask_b32_e64 v6, v13, v14, s4
	v_cndmask_b32_e64 v1, v1, v10, s7
	v_cmp_eq_u32_e64 s4, 4, v81
	v_cndmask_b32_e64 v2, v2, v14, s7
	v_cndmask_b32_e64 v5, v9, v3, s3
	;; [unrolled: 3-line block ×3, first 2 shown]
	v_cndmask_b32_e64 v2, v2, v7, s4
	v_cmp_eq_u32_e64 s3, 5, v81
	v_cmp_eq_u32_e64 s5, 6, v78
	v_cndmask_b32_e64 v5, v5, v11, s7
	v_cmp_eq_u32_e64 s4, 6, v77
	v_cndmask_b32_e64 v3, v6, v15, s7
	v_cndmask_b32_e64 v1, v1, v11, s3
	v_cmp_eq_u32_e64 s7, 6, v81
	v_cndmask_b32_e64 v2, v2, v15, s3
	v_cndmask_b32_e64 v17, v17, v4, s5
	v_cndmask_b32_e64 v18, v18, v8, s5
	v_cmp_eq_u32_e64 s5, 7, v78
	v_cndmask_b32_e64 v5, v5, v4, s4
	;; [unrolled: 4-line block ×3, first 2 shown]
	v_cmp_eq_u32_e64 s4, 7, v77
	v_cndmask_b32_e32 v4, v20, v8, vcc_lo
	v_cndmask_b32_e64 v17, v17, v12, s5
	v_cndmask_b32_e64 v19, v19, v12, s6
	;; [unrolled: 1-line block ×8, first 2 shown]
	v_cmp_gt_u32_e32 vcc_lo, 32, v0
	v_perm_b32 v4, v2, v1, 0x5040100
	v_perm_b32 v3, v3, v5, 0x5040100
	;; [unrolled: 1-line block ×4, first 2 shown]
	s_and_b32 s2, vcc_lo, s2
	ds_store_b128 v76, v[1:4]
	s_waitcnt lgkmcnt(0)
	s_barrier
	buffer_gl0_inv
	s_and_saveexec_b32 s3, s2
	s_cbranch_execz .LBB1687_2
; %bb.111:
	s_load_b64 s[0:1], s[0:1], 0x68
	s_lshl_b32 s4, s34, 6
	v_or_b32_e32 v2, s31, v74
	s_mul_i32 s2, s4, s30
	v_lshlrev_b32_e32 v0, 10, v0
	s_mul_i32 s2, s2, s8
	v_lshlrev_b32_e32 v1, 4, v75
	s_ashr_i32 s3, s2, 31
	v_mul_lo_u32 v20, v2, s4
	s_lshl_b64 s[2:3], s[2:3], 1
	v_lshlrev_b32_e32 v3, 6, v74
	v_and_b32_e32 v0, 0x3800, v0
	s_delay_alu instid0(VALU_DEP_1) | instskip(NEXT) | instid1(VALU_DEP_4)
	v_or3_b32 v16, v0, v1, v3
	v_ashrrev_i32_e32 v21, 31, v20
	ds_load_b128 v[0:3], v16
	ds_load_b128 v[4:7], v16 offset:128
	s_waitcnt lgkmcnt(0)
	s_add_u32 s2, s0, s2
	s_addc_u32 s3, s1, s3
	s_lshl_b32 s0, s14, 6
	ds_load_b128 v[8:11], v16 offset:256
	ds_load_b128 v[12:15], v16 offset:384
	;; [unrolled: 1-line block ×3, first 2 shown]
	s_ashr_i32 s1, s0, 31
	s_delay_alu instid0(SALU_CYCLE_1) | instskip(NEXT) | instid1(SALU_CYCLE_1)
	s_lshl_b64 s[0:1], s[0:1], 1
	s_add_u32 s0, s2, s0
	s_addc_u32 s1, s3, s1
	s_lshl_b32 s2, s34, 7
	v_add_co_u32 v30, s0, s0, v73
	v_add_nc_u32_e32 v22, s2, v20
	v_lshlrev_b64 v[20:21], 1, v[20:21]
	v_add_co_ci_u32_e64 v31, null, s1, 0, s0
	s_delay_alu instid0(VALU_DEP_3) | instskip(SKIP_1) | instid1(VALU_DEP_4)
	v_add_nc_u32_e32 v24, s2, v22
	v_ashrrev_i32_e32 v23, 31, v22
	v_add_co_u32 v20, vcc_lo, v30, v20
	s_delay_alu instid0(VALU_DEP_4) | instskip(NEXT) | instid1(VALU_DEP_4)
	v_add_co_ci_u32_e32 v21, vcc_lo, v31, v21, vcc_lo
	v_add_nc_u32_e32 v26, s2, v24
	v_ashrrev_i32_e32 v25, 31, v24
	v_lshlrev_b64 v[22:23], 1, v[22:23]
	s_delay_alu instid0(VALU_DEP_3) | instskip(SKIP_1) | instid1(VALU_DEP_4)
	v_add_nc_u32_e32 v28, s2, v26
	v_ashrrev_i32_e32 v27, 31, v26
	v_lshlrev_b64 v[24:25], 1, v[24:25]
	s_delay_alu instid0(VALU_DEP_4) | instskip(NEXT) | instid1(VALU_DEP_4)
	v_add_co_u32 v22, vcc_lo, v30, v22
	v_ashrrev_i32_e32 v29, 31, v28
	s_delay_alu instid0(VALU_DEP_4) | instskip(SKIP_2) | instid1(VALU_DEP_4)
	v_lshlrev_b64 v[26:27], 1, v[26:27]
	v_add_co_ci_u32_e32 v23, vcc_lo, v31, v23, vcc_lo
	v_add_co_u32 v24, vcc_lo, v30, v24
	v_lshlrev_b64 v[28:29], 1, v[28:29]
	v_add_co_ci_u32_e32 v25, vcc_lo, v31, v25, vcc_lo
	v_add_co_u32 v26, vcc_lo, v30, v26
	v_add_co_ci_u32_e32 v27, vcc_lo, v31, v27, vcc_lo
	s_delay_alu instid0(VALU_DEP_4)
	v_add_co_u32 v28, vcc_lo, v30, v28
	v_add_co_ci_u32_e32 v29, vcc_lo, v31, v29, vcc_lo
	s_clause 0x1
	global_store_b128 v[20:21], v[0:3], off
	global_store_b128 v[22:23], v[4:7], off
	s_waitcnt lgkmcnt(2)
	global_store_b128 v[24:25], v[8:11], off
	s_waitcnt lgkmcnt(1)
	;; [unrolled: 2-line block ×3, first 2 shown]
	global_store_b128 v[28:29], v[16:19], off
	s_nop 0
	s_sendmsg sendmsg(MSG_DEALLOC_VGPRS)
	s_endpgm
	.section	.rodata,"a",@progbits
	.p2align	6, 0x0
	.amdhsa_kernel _Z39paged_attention_ll4mi_QKV_mfma16_kernelI14__hip_bfloat16hLN4vllm18Fp8KVCacheDataTypeE1EhLi16ELi64ELi256ELb0ELi10EL8MFMAType0EEvPKT_PKT0_S9_ifPKiSB_SB_iPKfiiiPfSE_PS4_PT2_iSD_SD_
		.amdhsa_group_segment_fixed_size 17472
		.amdhsa_private_segment_fixed_size 0
		.amdhsa_kernarg_size 400
		.amdhsa_user_sgpr_count 13
		.amdhsa_user_sgpr_dispatch_ptr 0
		.amdhsa_user_sgpr_queue_ptr 0
		.amdhsa_user_sgpr_kernarg_segment_ptr 1
		.amdhsa_user_sgpr_dispatch_id 0
		.amdhsa_user_sgpr_private_segment_size 0
		.amdhsa_wavefront_size32 1
		.amdhsa_uses_dynamic_stack 0
		.amdhsa_enable_private_segment 0
		.amdhsa_system_sgpr_workgroup_id_x 1
		.amdhsa_system_sgpr_workgroup_id_y 1
		.amdhsa_system_sgpr_workgroup_id_z 1
		.amdhsa_system_sgpr_workgroup_info 0
		.amdhsa_system_vgpr_workitem_id 0
		.amdhsa_next_free_vgpr 124
		.amdhsa_next_free_sgpr 38
		.amdhsa_reserve_vcc 1
		.amdhsa_float_round_mode_32 0
		.amdhsa_float_round_mode_16_64 0
		.amdhsa_float_denorm_mode_32 3
		.amdhsa_float_denorm_mode_16_64 3
		.amdhsa_dx10_clamp 1
		.amdhsa_ieee_mode 1
		.amdhsa_fp16_overflow 0
		.amdhsa_workgroup_processor_mode 1
		.amdhsa_memory_ordered 1
		.amdhsa_forward_progress 0
		.amdhsa_shared_vgpr_count 0
		.amdhsa_exception_fp_ieee_invalid_op 0
		.amdhsa_exception_fp_denorm_src 0
		.amdhsa_exception_fp_ieee_div_zero 0
		.amdhsa_exception_fp_ieee_overflow 0
		.amdhsa_exception_fp_ieee_underflow 0
		.amdhsa_exception_fp_ieee_inexact 0
		.amdhsa_exception_int_div_zero 0
	.end_amdhsa_kernel
	.section	.text._Z39paged_attention_ll4mi_QKV_mfma16_kernelI14__hip_bfloat16hLN4vllm18Fp8KVCacheDataTypeE1EhLi16ELi64ELi256ELb0ELi10EL8MFMAType0EEvPKT_PKT0_S9_ifPKiSB_SB_iPKfiiiPfSE_PS4_PT2_iSD_SD_,"axG",@progbits,_Z39paged_attention_ll4mi_QKV_mfma16_kernelI14__hip_bfloat16hLN4vllm18Fp8KVCacheDataTypeE1EhLi16ELi64ELi256ELb0ELi10EL8MFMAType0EEvPKT_PKT0_S9_ifPKiSB_SB_iPKfiiiPfSE_PS4_PT2_iSD_SD_,comdat
.Lfunc_end1687:
	.size	_Z39paged_attention_ll4mi_QKV_mfma16_kernelI14__hip_bfloat16hLN4vllm18Fp8KVCacheDataTypeE1EhLi16ELi64ELi256ELb0ELi10EL8MFMAType0EEvPKT_PKT0_S9_ifPKiSB_SB_iPKfiiiPfSE_PS4_PT2_iSD_SD_, .Lfunc_end1687-_Z39paged_attention_ll4mi_QKV_mfma16_kernelI14__hip_bfloat16hLN4vllm18Fp8KVCacheDataTypeE1EhLi16ELi64ELi256ELb0ELi10EL8MFMAType0EEvPKT_PKT0_S9_ifPKiSB_SB_iPKfiiiPfSE_PS4_PT2_iSD_SD_
                                        ; -- End function
	.section	.AMDGPU.csdata,"",@progbits
; Kernel info:
; codeLenInByte = 8760
; NumSgprs: 40
; NumVgprs: 124
; ScratchSize: 0
; MemoryBound: 0
; FloatMode: 240
; IeeeMode: 1
; LDSByteSize: 17472 bytes/workgroup (compile time only)
; SGPRBlocks: 4
; VGPRBlocks: 15
; NumSGPRsForWavesPerEU: 40
; NumVGPRsForWavesPerEU: 124
; Occupancy: 10
; WaveLimiterHint : 1
; COMPUTE_PGM_RSRC2:SCRATCH_EN: 0
; COMPUTE_PGM_RSRC2:USER_SGPR: 13
; COMPUTE_PGM_RSRC2:TRAP_HANDLER: 0
; COMPUTE_PGM_RSRC2:TGID_X_EN: 1
; COMPUTE_PGM_RSRC2:TGID_Y_EN: 1
; COMPUTE_PGM_RSRC2:TGID_Z_EN: 1
; COMPUTE_PGM_RSRC2:TIDIG_COMP_CNT: 0
	.section	.text._Z39paged_attention_ll4mi_QKV_mfma16_kernelI14__hip_bfloat16hLN4vllm18Fp8KVCacheDataTypeE1EhLi16ELi64ELi256ELb0ELi11EL8MFMAType0EEvPKT_PKT0_S9_ifPKiSB_SB_iPKfiiiPfSE_PS4_PT2_iSD_SD_,"axG",@progbits,_Z39paged_attention_ll4mi_QKV_mfma16_kernelI14__hip_bfloat16hLN4vllm18Fp8KVCacheDataTypeE1EhLi16ELi64ELi256ELb0ELi11EL8MFMAType0EEvPKT_PKT0_S9_ifPKiSB_SB_iPKfiiiPfSE_PS4_PT2_iSD_SD_,comdat
	.protected	_Z39paged_attention_ll4mi_QKV_mfma16_kernelI14__hip_bfloat16hLN4vllm18Fp8KVCacheDataTypeE1EhLi16ELi64ELi256ELb0ELi11EL8MFMAType0EEvPKT_PKT0_S9_ifPKiSB_SB_iPKfiiiPfSE_PS4_PT2_iSD_SD_ ; -- Begin function _Z39paged_attention_ll4mi_QKV_mfma16_kernelI14__hip_bfloat16hLN4vllm18Fp8KVCacheDataTypeE1EhLi16ELi64ELi256ELb0ELi11EL8MFMAType0EEvPKT_PKT0_S9_ifPKiSB_SB_iPKfiiiPfSE_PS4_PT2_iSD_SD_
	.globl	_Z39paged_attention_ll4mi_QKV_mfma16_kernelI14__hip_bfloat16hLN4vllm18Fp8KVCacheDataTypeE1EhLi16ELi64ELi256ELb0ELi11EL8MFMAType0EEvPKT_PKT0_S9_ifPKiSB_SB_iPKfiiiPfSE_PS4_PT2_iSD_SD_
	.p2align	8
	.type	_Z39paged_attention_ll4mi_QKV_mfma16_kernelI14__hip_bfloat16hLN4vllm18Fp8KVCacheDataTypeE1EhLi16ELi64ELi256ELb0ELi11EL8MFMAType0EEvPKT_PKT0_S9_ifPKiSB_SB_iPKfiiiPfSE_PS4_PT2_iSD_SD_,@function
_Z39paged_attention_ll4mi_QKV_mfma16_kernelI14__hip_bfloat16hLN4vllm18Fp8KVCacheDataTypeE1EhLi16ELi64ELi256ELb0ELi11EL8MFMAType0EEvPKT_PKT0_S9_ifPKiSB_SB_iPKfiiiPfSE_PS4_PT2_iSD_SD_: ; @_Z39paged_attention_ll4mi_QKV_mfma16_kernelI14__hip_bfloat16hLN4vllm18Fp8KVCacheDataTypeE1EhLi16ELi64ELi256ELb0ELi11EL8MFMAType0EEvPKT_PKT0_S9_ifPKiSB_SB_iPKfiiiPfSE_PS4_PT2_iSD_SD_
; %bb.0:
	s_load_b64 s[2:3], s[0:1], 0x30
	s_mov_b32 s34, s13
	s_waitcnt lgkmcnt(0)
	s_cmp_lg_u64 s[2:3], 0
	s_cselect_b32 s8, -1, 0
	s_ashr_i32 s35, s13, 31
	s_cmp_eq_u64 s[2:3], 0
	s_cbranch_scc1 .LBB1688_3
; %bb.1:
	s_lshl_b64 s[4:5], s[34:35], 2
	s_delay_alu instid0(SALU_CYCLE_1) | instskip(SKIP_4) | instid1(SALU_CYCLE_1)
	s_add_u32 s4, s2, s4
	s_addc_u32 s5, s3, s5
	s_load_b64 s[4:5], s[4:5], 0x0
	s_waitcnt lgkmcnt(0)
	s_sub_i32 s4, s5, s4
	s_cmp_eq_u32 s4, 1
	s_cselect_b32 s4, -1, 0
	s_delay_alu instid0(SALU_CYCLE_1)
	s_and_not1_b32 vcc_lo, exec_lo, s4
	s_cbranch_vccz .LBB1688_4
.LBB1688_2:
	s_nop 0
	s_sendmsg sendmsg(MSG_DEALLOC_VGPRS)
	s_endpgm
.LBB1688_3:
.LBB1688_4:
	s_load_b64 s[4:5], s[0:1], 0x28
	s_lshl_b64 s[6:7], s[34:35], 2
	s_waitcnt lgkmcnt(0)
	s_add_u32 s4, s4, s6
	s_addc_u32 s5, s5, s7
	s_lshl_b32 s12, s14, 8
	s_load_b32 s24, s[4:5], 0x0
	s_waitcnt lgkmcnt(0)
	s_cmp_ge_i32 s12, s24
	s_cbranch_scc1 .LBB1688_2
; %bb.5:
	s_clause 0x1
	s_load_b128 s[20:23], s[0:1], 0x8
	s_load_b64 s[4:5], s[0:1], 0x20
	s_and_not1_b32 vcc_lo, exec_lo, s8
	s_cbranch_vccnz .LBB1688_7
; %bb.6:
	s_add_u32 s2, s2, s6
	s_addc_u32 s3, s3, s7
	s_load_b32 s3, s[2:3], 0x0
	s_branch .LBB1688_8
.LBB1688_7:
	s_mov_b32 s3, s34
.LBB1688_8:
	s_load_b128 s[16:19], s[0:1], 0x48
	v_lshrrev_b32_e32 v66, 5, v0
	v_bfe_u32 v74, v0, 4, 1
	v_and_b32_e32 v65, 15, v0
	v_and_b32_e32 v67, 31, v0
	;; [unrolled: 1-line block ×3, first 2 shown]
	s_mul_i32 s31, s15, 11
	v_lshl_or_b32 v1, v66, 1, v74
	v_lshlrev_b32_e32 v2, 3, v65
	v_cmp_gt_u32_e64 s2, 8, v65
	s_delay_alu instid0(VALU_DEP_3) | instskip(NEXT) | instid1(VALU_DEP_3)
	v_cmp_gt_u32_e32 vcc_lo, 11, v1
	v_lshlrev_b32_e32 v73, 1, v2
	s_delay_alu instid0(VALU_DEP_3) | instskip(NEXT) | instid1(SALU_CYCLE_1)
	s_and_b32 s7, s2, vcc_lo
	s_and_saveexec_b32 s6, s7
	s_cbranch_execz .LBB1688_10
; %bb.9:
	s_load_b64 s[8:9], s[0:1], 0x0
	v_add_lshl_u32 v2, v1, s31, 6
	s_waitcnt lgkmcnt(0)
	s_mul_hi_i32 s11, s3, s16
	s_mul_i32 s10, s3, s16
	v_lshlrev_b32_e32 v6, 10, v65
	s_lshl_b64 s[10:11], s[10:11], 1
	v_ashrrev_i32_e32 v3, 31, v2
	v_lshlrev_b32_e32 v1, 6, v1
	v_lshlrev_b32_e32 v7, 10, v75
	v_and_b32_e32 v6, 0x3800, v6
	s_delay_alu instid0(VALU_DEP_4) | instskip(NEXT) | instid1(VALU_DEP_2)
	v_lshlrev_b64 v[2:3], 1, v[2:3]
	v_or3_b32 v1, v6, v7, v1
	s_add_u32 s3, s8, s10
	s_addc_u32 s7, s9, s11
	s_delay_alu instid0(VALU_DEP_2) | instskip(NEXT) | instid1(VALU_DEP_3)
	v_add_co_u32 v2, vcc_lo, s3, v2
	v_add_co_ci_u32_e32 v3, vcc_lo, s7, v3, vcc_lo
	s_delay_alu instid0(VALU_DEP_2) | instskip(NEXT) | instid1(VALU_DEP_2)
	v_add_co_u32 v2, vcc_lo, v2, v73
	v_add_co_ci_u32_e32 v3, vcc_lo, 0, v3, vcc_lo
	global_load_b128 v[2:5], v[2:3], off
	s_waitcnt vmcnt(0)
	ds_store_b128 v1, v[2:5]
.LBB1688_10:
	s_or_b32 exec_lo, exec_lo, s6
	v_and_b32_e32 v1, 0xef, v0
	s_waitcnt lgkmcnt(0)
	s_add_i32 s3, s24, 15
	s_clause 0x1
	s_load_b32 s6, s[0:1], 0x38
	s_load_b32 s19, s[0:1], 0x1c
	s_ashr_i32 s7, s3, 31
	v_add_nc_u32_e32 v1, s12, v1
	s_lshr_b32 s7, s7, 28
	s_waitcnt lgkmcnt(0)
	s_add_i32 s3, s3, s7
	s_barrier
	v_ashrrev_i32_e32 v2, 31, v1
	v_or_b32_e32 v3, 16, v1
	s_ashr_i32 s3, s3, 4
	v_cmp_gt_i32_e32 vcc_lo, s24, v1
	s_add_i32 s3, s3, -1
	v_lshrrev_b32_e32 v2, 28, v2
	buffer_gl0_inv
	s_mul_i32 s27, s15, s18
	v_add_nc_u32_e32 v4, v1, v2
	s_mul_i32 s6, s34, s6
	s_delay_alu instid0(SALU_CYCLE_1) | instskip(NEXT) | instid1(VALU_DEP_1)
	s_ashr_i32 s7, s6, 31
	v_ashrrev_i32_e32 v4, 4, v4
	v_add_nc_u32_e32 v2, v3, v2
	s_lshl_b64 s[6:7], s[6:7], 2
	s_delay_alu instid0(SALU_CYCLE_1) | instskip(NEXT) | instid1(VALU_DEP_2)
	s_add_u32 s26, s4, s6
	v_cndmask_b32_e32 v1, s3, v4, vcc_lo
	s_delay_alu instid0(VALU_DEP_2)
	v_ashrrev_i32_e32 v2, 4, v2
	v_cmp_gt_i32_e32 vcc_lo, s24, v3
	s_addc_u32 s25, s5, s7
	s_ashr_i32 s28, s27, 31
	s_add_u32 s13, s20, s27
	s_addc_u32 s15, s21, s28
	v_cndmask_b32_e32 v3, s3, v2, vcc_lo
	v_ashrrev_i32_e32 v2, 31, v1
	s_lshl_b32 s4, s14, 4
	s_delay_alu instid0(SALU_CYCLE_1) | instskip(NEXT) | instid1(VALU_DEP_2)
	s_ashr_i32 s5, s4, 31
	v_ashrrev_i32_e32 v4, 31, v3
	s_delay_alu instid0(VALU_DEP_2) | instskip(SKIP_1) | instid1(SALU_CYCLE_1)
	v_lshlrev_b64 v[1:2], 2, v[1:2]
	s_lshl_b64 s[4:5], s[4:5], 2
	s_add_u32 s4, s26, s4
	s_delay_alu instid0(VALU_DEP_2) | instskip(SKIP_1) | instid1(VALU_DEP_2)
	v_lshlrev_b64 v[3:4], 2, v[3:4]
	s_addc_u32 s5, s25, s5
	v_add_co_u32 v1, vcc_lo, s26, v1
	v_add_co_ci_u32_e32 v2, vcc_lo, s25, v2, vcc_lo
	s_delay_alu instid0(VALU_DEP_3) | instskip(NEXT) | instid1(VALU_DEP_4)
	v_add_co_u32 v3, vcc_lo, s26, v3
	v_add_co_ci_u32_e32 v4, vcc_lo, s25, v4, vcc_lo
	s_clause 0x1
	global_load_b32 v5, v[1:2], off
	global_load_b32 v7, v[3:4], off
	s_or_b32 s6, s12, 32
	v_lshlrev_b32_e32 v1, 4, v0
	s_ashr_i32 s7, s6, 4
	s_cmp_lt_i32 s6, s24
	v_cmp_gt_u32_e32 vcc_lo, 11, v65
	s_cselect_b32 s6, s7, s3
	v_and_b32_e32 v1, 0xf0, v1
	s_ashr_i32 s7, s6, 31
	s_delay_alu instid0(SALU_CYCLE_1) | instskip(NEXT) | instid1(SALU_CYCLE_1)
	s_lshl_b64 s[6:7], s[6:7], 2
	s_add_u32 s6, s26, s6
	s_addc_u32 s7, s25, s7
	s_or_b32 s8, s12, 64
	v_add_co_u32 v1, s13, s13, v1
	s_ashr_i32 s9, s8, 4
	s_cmp_lt_i32 s8, s24
	v_add_co_ci_u32_e64 v2, null, s15, 0, s13
	s_cselect_b32 s8, s9, s3
	s_delay_alu instid0(SALU_CYCLE_1) | instskip(NEXT) | instid1(SALU_CYCLE_1)
	s_ashr_i32 s9, s8, 31
	s_lshl_b64 s[8:9], s[8:9], 2
	s_delay_alu instid0(SALU_CYCLE_1) | instskip(SKIP_2) | instid1(SALU_CYCLE_1)
	s_add_u32 s8, s26, s8
	s_addc_u32 s9, s25, s9
	s_or_b32 s10, s12, 0x60
	s_ashr_i32 s11, s10, 4
	s_cmp_lt_i32 s10, s24
	s_cselect_b32 s10, s11, s3
	s_delay_alu instid0(SALU_CYCLE_1) | instskip(NEXT) | instid1(SALU_CYCLE_1)
	s_ashr_i32 s11, s10, 31
	s_lshl_b64 s[10:11], s[10:11], 2
	s_delay_alu instid0(SALU_CYCLE_1) | instskip(SKIP_2) | instid1(SALU_CYCLE_1)
	s_add_u32 s10, s26, s10
	s_addc_u32 s11, s25, s11
	s_or_b32 s16, s12, 0x80
	s_ashr_i32 s18, s16, 4
	s_cmp_lt_i32 s16, s24
	;; [unrolled: 10-line block ×3, first 2 shown]
	s_cselect_b32 s20, s18, s3
	s_delay_alu instid0(SALU_CYCLE_1) | instskip(NEXT) | instid1(SALU_CYCLE_1)
	s_ashr_i32 s21, s20, 31
	s_lshl_b64 s[20:21], s[20:21], 2
	s_delay_alu instid0(SALU_CYCLE_1)
	s_add_u32 s38, s26, s20
	s_addc_u32 s39, s25, s21
	s_clause 0x5
	s_load_b32 s21, s[4:5], 0x0
	s_load_b32 s13, s[6:7], 0x0
	s_load_b32 s15, s[8:9], 0x0
	s_load_b32 s16, s[10:11], 0x0
	s_load_b32 s18, s[36:37], 0x0
	s_load_b32 s20, s[38:39], 0x0
	s_or_b32 s8, s12, 0xc0
	s_mov_b32 s4, 0
	s_ashr_i32 s9, s8, 4
	s_cmp_lt_i32 s8, s24
	s_mov_b32 s11, s4
	s_cselect_b32 s36, s9, s3
	s_mov_b32 s5, s4
	s_ashr_i32 s37, s36, 31
	s_mov_b32 s6, s4
	s_lshl_b64 s[36:37], s[36:37], 2
	s_mov_b32 s7, s4
	s_add_u32 s36, s26, s36
	s_addc_u32 s37, s25, s37
	s_or_b32 s29, s12, 0xe0
	s_mov_b32 s8, s4
	s_ashr_i32 s30, s29, 4
	s_mov_b32 s9, s4
	s_mov_b32 s10, s4
	s_cmp_lt_i32 s29, s24
	v_dual_mov_b32 v107, s11 :: v_dual_mov_b32 v100, s4
	v_mov_b32_e32 v106, s10
	v_dual_mov_b32 v104, s8 :: v_dual_mov_b32 v103, s7
	v_dual_mov_b32 v102, s6 :: v_dual_mov_b32 v101, s5
	s_waitcnt vmcnt(1)
	v_mad_i64_i32 v[3:4], null, v5, s17, v[1:2]
	s_waitcnt vmcnt(0)
	v_mad_i64_i32 v[5:6], null, v7, s17, v[1:2]
	v_add_nc_u32_e32 v1, -11, v65
	v_lshlrev_b32_e32 v2, 4, v65
	s_clause 0x7
	global_load_b128 v[49:52], v[3:4], off
	global_load_b128 v[53:56], v[3:4], off offset:256
	global_load_b128 v[76:79], v[5:6], off
	global_load_b128 v[80:83], v[5:6], off offset:256
	global_load_b128 v[84:87], v[3:4], off offset:512
	;; [unrolled: 1-line block ×5, first 2 shown]
	v_cndmask_b32_e32 v1, v1, v65, vcc_lo
	v_mov_b32_e32 v105, s9
	s_cselect_b32 s4, s30, s3
	v_lshl_or_b32 v2, v66, 8, v2
	s_ashr_i32 s5, s4, 31
	v_lshlrev_b32_e32 v70, 6, v1
	s_lshl_b64 s[4:5], s[4:5], 2
	s_load_b32 s3, s[36:37], 0x0
	s_add_u32 s4, s26, s4
	s_addc_u32 s5, s25, s5
	ds_load_b128 v[108:111], v70
	ds_load_b128 v[112:115], v70 offset:1024
	s_load_b32 s4, s[4:5], 0x0
	s_add_u32 s6, s22, s27
	s_addc_u32 s7, s23, s28
	v_add_co_u32 v9, s6, s6, v2
	s_delay_alu instid0(VALU_DEP_1) | instskip(SKIP_1) | instid1(VALU_DEP_1)
	v_add_co_ci_u32_e64 v10, null, s7, 0, s6
	s_waitcnt lgkmcnt(0)
	v_mad_i64_i32 v[1:2], null, s21, s17, v[9:10]
	v_mad_i64_i32 v[3:4], null, s13, s17, v[9:10]
	;; [unrolled: 1-line block ×7, first 2 shown]
	s_clause 0x9
	global_load_b128 v[57:60], v[1:2], off
	global_load_b128 v[61:64], v[1:2], off offset:16
	global_load_b128 v[41:44], v[3:4], off
	global_load_b128 v[45:48], v[3:4], off offset:16
	;; [unrolled: 2-line block ×5, first 2 shown]
	v_mad_i64_i32 v[68:69], null, s4, s17, v[9:10]
	s_clause 0x3
	global_load_b128 v[9:12], v[13:14], off
	global_load_b128 v[13:16], v[13:14], off offset:16
	global_load_b128 v[17:20], v[21:22], off
	global_load_b128 v[21:24], v[21:22], off offset:16
	s_waitcnt vmcnt(20)
	v_wmma_f32_16x16x16_bf16 v[116:123], v[49:56], v[108:115], v[100:107]
	s_clause 0x1
	global_load_b128 v[49:52], v[68:69], off
	global_load_b128 v[53:56], v[68:69], off offset:16
	v_and_b32_e32 v68, 0xe0, v0
	v_mbcnt_lo_u32_b32 v69, -1, 0
	s_delay_alu instid0(VALU_DEP_2)
	v_add_nc_u32_e32 v68, s12, v68
	s_waitcnt vmcnt(20)
	v_wmma_f32_16x16x16_bf16 v[100:107], v[76:83], v[108:115], v[100:107]
	ds_load_b128 v[76:79], v70 offset:2048
	ds_load_b128 v[80:83], v70 offset:3072
	v_xor_b32_e32 v70, 16, v69
	s_waitcnt vmcnt(0) lgkmcnt(0)
	v_or_b32_e32 v68, v68, v74
	s_barrier
	buffer_gl0_inv
	v_cmp_gt_i32_e32 vcc_lo, 32, v70
	v_or_b32_e32 v71, 4, v68
	v_or_b32_e32 v72, 6, v68
	v_cmp_gt_i32_e64 s3, s24, v68
	v_or_b32_e32 v108, 8, v68
	v_or_b32_e32 v109, 10, v68
	v_cmp_gt_i32_e64 s4, s24, v71
	v_cmp_gt_i32_e64 s5, s24, v72
	s_delay_alu instid0(VALU_DEP_4) | instskip(NEXT) | instid1(VALU_DEP_4)
	v_cmp_gt_i32_e64 s6, s24, v108
	v_cmp_gt_i32_e64 s7, s24, v109
	v_wmma_f32_16x16x16_bf16 v[116:123], v[84:91], v[76:83], v[116:123]
	v_cndmask_b32_e32 v69, v69, v70, vcc_lo
	v_or_b32_e32 v70, 2, v68
	v_wmma_f32_16x16x16_bf16 v[100:107], v[92:99], v[76:83], v[100:107]
	v_or_b32_e32 v89, 22, v68
	v_dual_mul_f32 v82, s19, v119 :: v_dual_mul_f32 v79, s19, v122
	v_dual_mul_f32 v92, s19, v117 :: v_dual_mul_f32 v93, s19, v116
	s_delay_alu instid0(VALU_DEP_4) | instskip(SKIP_2) | instid1(VALU_DEP_4)
	v_mul_f32_e32 v98, s19, v103
	v_cmp_gt_i32_e32 vcc_lo, s24, v70
	v_dual_mul_f32 v83, s19, v118 :: v_dual_mul_f32 v96, s19, v105
	v_cndmask_b32_e64 v93, 0xff7fffff, v93, s3
	v_or_b32_e32 v84, 12, v68
	v_cndmask_b32_e32 v92, 0xff7fffff, v92, vcc_lo
	v_or_b32_e32 v85, 14, v68
	v_dual_mul_f32 v80, s19, v121 :: v_dual_mul_f32 v81, s19, v120
	v_mul_f32_e32 v94, s19, v107
	v_cndmask_b32_e64 v71, 0xff7fffff, v83, s4
	v_cndmask_b32_e64 v72, 0xff7fffff, v82, s5
	v_cmp_gt_i32_e64 s13, s24, v89
	v_lshlrev_b32_e32 v89, 2, v69
	v_max3_f32 v82, v93, 0xff7fffff, v92
	v_or_b32_e32 v86, 16, v68
	v_or_b32_e32 v87, 18, v68
	v_mul_f32_e32 v78, s19, v123
	v_cndmask_b32_e64 v81, 0xff7fffff, v81, s6
	v_cndmask_b32_e64 v80, 0xff7fffff, v80, s7
	v_max3_f32 v71, v82, v71, v72
	v_cmp_gt_i32_e64 s8, s24, v84
	v_cmp_gt_i32_e64 s9, s24, v85
	v_or_b32_e32 v88, 20, v68
	v_or_b32_e32 v90, 24, v68
	;; [unrolled: 1-line block ×5, first 2 shown]
	v_dual_mul_f32 v95, s19, v106 :: v_dual_mul_f32 v70, s19, v101
	v_dual_mul_f32 v99, s19, v102 :: v_dual_mul_f32 v68, s19, v100
	v_cndmask_b32_e64 v72, 0xff7fffff, v79, s8
	v_cndmask_b32_e64 v78, 0xff7fffff, v78, s9
	v_max3_f32 v71, v71, v81, v80
	v_cmp_gt_i32_e64 s10, s24, v86
	v_cmp_gt_i32_e64 s11, s24, v87
	;; [unrolled: 1-line block ×3, first 2 shown]
	v_mul_f32_e32 v97, s19, v104
	v_max3_f32 v71, v71, v72, v78
	v_cndmask_b32_e64 v68, 0xff7fffff, v68, s10
	v_cndmask_b32_e64 v70, 0xff7fffff, v70, s11
	;; [unrolled: 1-line block ×4, first 2 shown]
	v_cmp_gt_i32_e64 s15, s24, v90
	v_cmp_gt_i32_e64 s16, s24, v91
	v_max3_f32 v68, v71, v68, v70
	v_cmp_gt_i32_e64 s17, s24, v76
	v_cmp_gt_i32_e64 s18, s24, v77
	v_cndmask_b32_e64 v70, 0xff7fffff, v97, s15
	v_cndmask_b32_e64 v71, 0xff7fffff, v96, s16
	v_max3_f32 v68, v68, v72, v78
	v_cndmask_b32_e64 v72, 0xff7fffff, v95, s17
	v_cndmask_b32_e64 v76, 0xff7fffff, v94, s18
	s_delay_alu instid0(VALU_DEP_3) | instskip(NEXT) | instid1(VALU_DEP_1)
	v_max3_f32 v68, v68, v70, v71
	v_max3_f32 v68, v68, v72, v76
	ds_bpermute_b32 v69, v89, v68
	s_waitcnt lgkmcnt(0)
	v_max_f32_e32 v69, v69, v69
	s_delay_alu instid0(VALU_DEP_1) | instskip(NEXT) | instid1(VALU_DEP_1)
	v_max_f32_e32 v68, v68, v69
	v_fma_f32 v69, s19, v116, -v68
	v_fma_f32 v70, s19, v117, -v68
	;; [unrolled: 1-line block ×5, first 2 shown]
	s_delay_alu instid0(VALU_DEP_4) | instskip(NEXT) | instid1(VALU_DEP_4)
	v_dual_mul_f32 v69, 0x3fb8aa3b, v69 :: v_dual_mul_f32 v70, 0x3fb8aa3b, v70
	v_mul_f32_e32 v72, 0x3fb8aa3b, v72
	v_fma_f32 v78, s19, v122, -v68
	s_delay_alu instid0(VALU_DEP_4) | instskip(NEXT) | instid1(VALU_DEP_4)
	v_mul_f32_e32 v77, 0x3fb8aa3b, v76
	v_exp_f32_e32 v69, v69
	v_exp_f32_e32 v70, v70
	v_mul_f32_e32 v71, 0x3fb8aa3b, v71
	v_exp_f32_e32 v72, v72
	v_mul_f32_e32 v78, 0x3fb8aa3b, v78
	v_exp_f32_e32 v77, v77
	v_fma_f32 v81, s19, v105, -v68
	s_delay_alu instid0(VALU_DEP_2)
	v_exp_f32_e32 v78, v78
	v_cndmask_b32_e64 v80, 0, v69, s3
	v_cndmask_b32_e32 v76, 0, v70, vcc_lo
	v_exp_f32_e32 v71, v71
	v_fma_f32 v69, s19, v121, -v68
	v_cndmask_b32_e64 v85, 0, v72, s5
	v_add_f32_e32 v70, 0, v80
	s_delay_alu instid0(TRANS32_DEP_3)
	v_cndmask_b32_e64 v86, 0, v77, s6
	v_fma_f32 v77, s19, v101, -v68
	v_mul_f32_e32 v69, 0x3fb8aa3b, v69
	v_fma_f32 v72, s19, v100, -v68
	v_cndmask_b32_e64 v84, 0, v78, s8
	v_fma_f32 v78, s19, v103, -v68
	v_cndmask_b32_e64 v83, 0, v71, s4
	v_fma_f32 v71, s19, v123, -v68
	v_add_f32_e32 v70, v70, v76
	v_exp_f32_e32 v69, v69
	v_mul_f32_e32 v77, 0x3fb8aa3b, v77
	v_mul_f32_e32 v81, 0x3fb8aa3b, v81
	;; [unrolled: 1-line block ×3, first 2 shown]
	v_add_f32_e32 v70, v70, v83
	v_cmp_gt_u32_e64 s3, 16, v67
	v_exp_f32_e32 v77, v77
	v_exp_f32_e32 v81, v81
	;; [unrolled: 1-line block ×3, first 2 shown]
	v_cndmask_b32_e64 v87, 0, v69, s7
	v_add_f32_e32 v70, v70, v85
	s_delay_alu instid0(VALU_DEP_1) | instskip(SKIP_1) | instid1(VALU_DEP_2)
	v_dual_mul_f32 v72, 0x3fb8aa3b, v72 :: v_dual_add_f32 v69, v70, v86
	v_fma_f32 v70, s19, v102, -v68
	v_exp_f32_e32 v72, v72
	s_waitcnt_depctr 0xfff
	v_cndmask_b32_e64 v88, 0, v71, s9
	v_fma_f32 v71, s19, v104, -v68
	v_dual_add_f32 v69, v69, v87 :: v_dual_mul_f32 v70, 0x3fb8aa3b, v70
	s_delay_alu instid0(VALU_DEP_2) | instskip(NEXT) | instid1(VALU_DEP_2)
	v_dual_mul_f32 v78, 0x3fb8aa3b, v78 :: v_dual_mul_f32 v71, 0x3fb8aa3b, v71
	v_add_f32_e32 v69, v69, v84
	s_delay_alu instid0(VALU_DEP_3) | instskip(SKIP_1) | instid1(VALU_DEP_3)
	v_exp_f32_e32 v79, v70
	v_cndmask_b32_e64 v70, 0, v72, s10
	v_exp_f32_e32 v78, v78
	v_exp_f32_e32 v82, v71
	v_add_f32_e32 v72, v69, v88
	v_cndmask_b32_e64 v69, 0, v77, s11
	v_fma_f32 v77, s19, v106, -v68
	s_delay_alu instid0(VALU_DEP_3) | instskip(NEXT) | instid1(TRANS32_DEP_3)
	v_add_f32_e32 v72, v72, v70
	v_cndmask_b32_e64 v71, 0, v79, s12
	s_delay_alu instid0(VALU_DEP_3) | instskip(NEXT) | instid1(VALU_DEP_3)
	v_mul_f32_e32 v77, 0x3fb8aa3b, v77
	v_add_f32_e32 v79, v72, v69
	s_delay_alu instid0(TRANS32_DEP_2) | instskip(NEXT) | instid1(VALU_DEP_3)
	v_cndmask_b32_e64 v72, 0, v78, s13
	v_exp_f32_e32 v90, v77
	v_cndmask_b32_e64 v77, 0, v82, s15
	s_delay_alu instid0(VALU_DEP_3) | instskip(SKIP_1) | instid1(VALU_DEP_1)
	v_add_f32_e32 v78, v79, v71
	v_fma_f32 v79, s19, v107, -v68
	v_dual_add_f32 v82, v78, v72 :: v_dual_mul_f32 v79, 0x3fb8aa3b, v79
	v_cndmask_b32_e64 v78, 0, v81, s16
	s_delay_alu instid0(VALU_DEP_2) | instskip(NEXT) | instid1(VALU_DEP_3)
	v_add_f32_e32 v81, v82, v77
	v_exp_f32_e32 v82, v79
	s_delay_alu instid0(TRANS32_DEP_2) | instskip(NEXT) | instid1(VALU_DEP_2)
	v_cndmask_b32_e64 v79, 0, v90, s17
	v_add_f32_e32 v81, v81, v78
	s_delay_alu instid0(VALU_DEP_1) | instskip(SKIP_2) | instid1(VALU_DEP_1)
	v_add_f32_e32 v90, v81, v79
	s_waitcnt_depctr 0xfff
	v_cndmask_b32_e64 v81, 0, v82, s18
	v_add_f32_e32 v82, v90, v81
	ds_bpermute_b32 v89, v89, v82
	s_and_saveexec_b32 s4, s3
	s_cbranch_execz .LBB1688_12
; %bb.11:
	v_mul_u32_u24_e32 v67, 0x44, v66
	s_delay_alu instid0(VALU_DEP_1) | instskip(SKIP_1) | instid1(VALU_DEP_1)
	v_lshl_add_u32 v67, v65, 2, v67
	s_waitcnt lgkmcnt(0)
	v_dual_add_f32 v82, v82, v89 :: v_dual_add_nc_u32 v67, 0x4000, v67
	ds_store_2addr_b32 v67, v68, v82 offset1:136
.LBB1688_12:
	s_or_b32 exec_lo, exec_lo, s4
	v_lshlrev_b32_e32 v67, 2, v65
	s_waitcnt lgkmcnt(0)
	s_barrier
	buffer_gl0_inv
	v_cmp_eq_u32_e32 vcc_lo, 1, v66
	v_add_nc_u32_e32 v82, 0x4000, v67
	v_cmp_eq_u32_e64 s4, 2, v66
	v_cmp_eq_u32_e64 s6, 7, v66
	ds_load_2addr_b32 v[89:90], v82 offset1:17
	ds_load_2addr_b32 v[91:92], v82 offset0:34 offset1:51
	ds_load_2addr_b32 v[93:94], v82 offset0:68 offset1:85
	;; [unrolled: 1-line block ×4, first 2 shown]
	s_waitcnt lgkmcnt(4)
	v_max3_f32 v67, v89, 0xff7fffff, v90
	s_waitcnt lgkmcnt(3)
	s_delay_alu instid0(VALU_DEP_1) | instskip(SKIP_1) | instid1(VALU_DEP_1)
	v_max3_f32 v67, v67, v91, v92
	s_waitcnt lgkmcnt(2)
	v_max3_f32 v67, v67, v93, v94
	s_waitcnt lgkmcnt(1)
	s_delay_alu instid0(VALU_DEP_1) | instskip(NEXT) | instid1(VALU_DEP_1)
	v_max3_f32 v67, v67, v95, v96
	v_sub_f32_e32 v93, v93, v67
	s_delay_alu instid0(VALU_DEP_1) | instskip(NEXT) | instid1(VALU_DEP_1)
	v_dual_sub_f32 v68, v89, v67 :: v_dual_mul_f32 v103, 0x3fb8aa3b, v93
	v_mul_f32_e32 v68, 0x3fb8aa3b, v68
	s_delay_alu instid0(VALU_DEP_1)
	v_exp_f32_e32 v100, v68
	v_sub_f32_e32 v68, v92, v67
	v_sub_f32_e32 v99, v90, v67
	ds_load_2addr_b32 v[89:90], v82 offset0:170 offset1:187
	v_dual_mul_f32 v102, 0x3fb8aa3b, v68 :: v_dual_mul_f32 v99, 0x3fb8aa3b, v99
	s_waitcnt lgkmcnt(1)
	v_fma_f32 v68, v100, v97, 0
	s_delay_alu instid0(VALU_DEP_2) | instskip(NEXT) | instid1(VALU_DEP_2)
	v_exp_f32_e32 v102, v102
	v_exp_f32_e32 v99, v99
	s_waitcnt_depctr 0xfff
	v_fmac_f32_e32 v68, v99, v98
	v_sub_f32_e32 v91, v91, v67
	s_delay_alu instid0(VALU_DEP_1)
	v_mul_f32_e32 v101, 0x3fb8aa3b, v91
	ds_load_2addr_b32 v[91:92], v82 offset0:204 offset1:221
	v_sub_f32_e32 v97, v94, v67
	ds_load_2addr_b32 v[93:94], v82 offset0:238 offset1:255
	s_waitcnt lgkmcnt(0)
	v_exp_f32_e32 v101, v101
	s_barrier
	buffer_gl0_inv
	v_dual_fmac_f32 v68, v101, v89 :: v_dual_sub_f32 v89, v96, v67
	v_dual_sub_f32 v82, v95, v67 :: v_dual_mul_f32 v95, 0x3fb8aa3b, v97
	v_exp_f32_e32 v97, v103
	s_delay_alu instid0(VALU_DEP_2) | instskip(NEXT) | instid1(VALU_DEP_2)
	v_dual_fmac_f32 v68, v102, v90 :: v_dual_mul_f32 v89, 0x3fb8aa3b, v89
	v_mul_f32_e32 v82, 0x3fb8aa3b, v82
	s_delay_alu instid0(VALU_DEP_3) | instskip(NEXT) | instid1(VALU_DEP_2)
	v_exp_f32_e32 v95, v95
	v_exp_f32_e32 v89, v89
	s_delay_alu instid0(VALU_DEP_1)
	v_exp_f32_e32 v82, v82
	v_fmac_f32_e32 v68, v97, v91
	s_delay_alu instid0(TRANS32_DEP_3) | instid1(VALU_DEP_1)
	v_fmac_f32_e32 v68, v95, v92
	s_waitcnt_depctr 0xfff
	v_fmac_f32_e32 v68, v82, v93
	s_delay_alu instid0(VALU_DEP_1) | instskip(NEXT) | instid1(VALU_DEP_1)
	v_fmac_f32_e32 v68, v89, v94
	v_add_f32_e32 v90, 0x358637bd, v68
	s_delay_alu instid0(VALU_DEP_1) | instskip(NEXT) | instid1(VALU_DEP_1)
	v_div_scale_f32 v91, null, v90, v90, 1.0
	v_rcp_f32_e32 v92, v91
	s_waitcnt_depctr 0xfff
	v_fma_f32 v93, -v91, v92, 1.0
	s_delay_alu instid0(VALU_DEP_1) | instskip(SKIP_1) | instid1(VALU_DEP_2)
	v_dual_fmac_f32 v92, v93, v92 :: v_dual_cndmask_b32 v93, v100, v99
	v_cmp_eq_u32_e32 vcc_lo, 3, v66
	v_cndmask_b32_e64 v93, v93, v101, s4
	v_cmp_eq_u32_e64 s4, 4, v66
	s_delay_alu instid0(VALU_DEP_2) | instskip(SKIP_1) | instid1(VALU_DEP_2)
	v_cndmask_b32_e32 v93, v93, v102, vcc_lo
	v_cmp_eq_u32_e32 vcc_lo, 5, v66
	v_cndmask_b32_e64 v93, v93, v97, s4
	v_cmp_eq_u32_e64 s4, 6, v66
	s_delay_alu instid0(VALU_DEP_2) | instskip(SKIP_1) | instid1(VALU_DEP_1)
	v_cndmask_b32_e32 v93, v93, v95, vcc_lo
	v_div_scale_f32 v94, s5, 1.0, v90, 1.0
	s_mov_b32 vcc_lo, s5
	s_delay_alu instid0(VALU_DEP_2) | instskip(NEXT) | instid1(VALU_DEP_2)
	v_cndmask_b32_e64 v82, v93, v82, s4
	v_mul_f32_e32 v96, v94, v92
	s_mov_b32 s4, exec_lo
	s_delay_alu instid0(VALU_DEP_2) | instskip(NEXT) | instid1(VALU_DEP_2)
	v_cndmask_b32_e64 v82, v82, v89, s6
	v_fma_f32 v98, -v91, v96, v94
	s_delay_alu instid0(VALU_DEP_1) | instskip(NEXT) | instid1(VALU_DEP_1)
	v_fmac_f32_e32 v96, v98, v92
	v_fma_f32 v91, -v91, v96, v94
	s_delay_alu instid0(VALU_DEP_1) | instskip(NEXT) | instid1(VALU_DEP_1)
	v_div_fmas_f32 v91, v91, v92, v96
	v_div_fixup_f32 v90, v91, v90, 1.0
	s_delay_alu instid0(VALU_DEP_1) | instskip(NEXT) | instid1(VALU_DEP_1)
	v_mul_f32_e32 v82, v82, v90
	v_mul_f32_e32 v87, v82, v87
	;; [unrolled: 1-line block ×7, first 2 shown]
	v_dual_mul_f32 v86, v82, v83 :: v_dual_and_b32 v91, 0x7f800000, v90
	v_mul_f32_e32 v85, v82, v76
                                        ; implicit-def: $vgpr76
	s_delay_alu instid0(VALU_DEP_2)
	v_cmpx_ne_u32_e32 0x7f800000, v91
	s_xor_b32 s4, exec_lo, s4
; %bb.13:
	v_bfe_u32 v76, v90, 16, 1
	s_delay_alu instid0(VALU_DEP_1)
	v_add3_u32 v76, v90, v76, 0x7fff
                                        ; implicit-def: $vgpr90
; %bb.14:
	s_and_not1_saveexec_b32 s4, s4
; %bb.15:
	v_and_b32_e32 v76, 0xffff, v90
	v_or_b32_e32 v83, 0x10000, v90
	s_delay_alu instid0(VALU_DEP_2) | instskip(NEXT) | instid1(VALU_DEP_2)
	v_cmp_eq_u32_e32 vcc_lo, 0, v76
	v_cndmask_b32_e32 v76, v83, v90, vcc_lo
; %bb.16:
	s_or_b32 exec_lo, exec_lo, s4
	v_and_b32_e32 v83, 0x7f800000, v85
	s_delay_alu instid0(VALU_DEP_1) | instskip(SKIP_1) | instid1(SALU_CYCLE_1)
	v_cmp_ne_u32_e32 vcc_lo, 0x7f800000, v83
                                        ; implicit-def: $vgpr83
	s_and_saveexec_b32 s4, vcc_lo
	s_xor_b32 s4, exec_lo, s4
; %bb.17:
	v_bfe_u32 v83, v85, 16, 1
	s_delay_alu instid0(VALU_DEP_1)
	v_add3_u32 v83, v85, v83, 0x7fff
                                        ; implicit-def: $vgpr85
; %bb.18:
	s_and_not1_saveexec_b32 s4, s4
; %bb.19:
	v_and_b32_e32 v83, 0xffff, v85
	v_or_b32_e32 v90, 0x10000, v85
	s_delay_alu instid0(VALU_DEP_2) | instskip(NEXT) | instid1(VALU_DEP_2)
	v_cmp_eq_u32_e32 vcc_lo, 0, v83
	v_cndmask_b32_e32 v83, v90, v85, vcc_lo
; %bb.20:
	s_or_b32 exec_lo, exec_lo, s4
	v_and_b32_e32 v85, 0x7f800000, v86
	s_delay_alu instid0(VALU_DEP_1) | instskip(SKIP_1) | instid1(SALU_CYCLE_1)
	v_cmp_ne_u32_e32 vcc_lo, 0x7f800000, v85
                                        ; implicit-def: $vgpr85
	s_and_saveexec_b32 s4, vcc_lo
	s_xor_b32 s4, exec_lo, s4
; %bb.21:
	v_bfe_u32 v85, v86, 16, 1
	s_delay_alu instid0(VALU_DEP_1)
	v_add3_u32 v85, v86, v85, 0x7fff
                                        ; implicit-def: $vgpr86
; %bb.22:
	s_and_not1_saveexec_b32 s4, s4
; %bb.23:
	v_and_b32_e32 v85, 0xffff, v86
	v_or_b32_e32 v90, 0x10000, v86
	s_delay_alu instid0(VALU_DEP_2) | instskip(NEXT) | instid1(VALU_DEP_2)
	v_cmp_eq_u32_e32 vcc_lo, 0, v85
	v_cndmask_b32_e32 v85, v90, v86, vcc_lo
; %bb.24:
	s_or_b32 exec_lo, exec_lo, s4
	v_and_b32_e32 v86, 0x7f800000, v89
	s_delay_alu instid0(VALU_DEP_1) | instskip(SKIP_1) | instid1(SALU_CYCLE_1)
	v_cmp_ne_u32_e32 vcc_lo, 0x7f800000, v86
                                        ; implicit-def: $vgpr86
	s_and_saveexec_b32 s4, vcc_lo
	s_xor_b32 s4, exec_lo, s4
; %bb.25:
	v_bfe_u32 v86, v89, 16, 1
	s_delay_alu instid0(VALU_DEP_1)
	v_add3_u32 v86, v89, v86, 0x7fff
                                        ; implicit-def: $vgpr89
; %bb.26:
	s_and_not1_saveexec_b32 s4, s4
; %bb.27:
	v_and_b32_e32 v86, 0xffff, v89
	v_or_b32_e32 v90, 0x10000, v89
	s_delay_alu instid0(VALU_DEP_2) | instskip(NEXT) | instid1(VALU_DEP_2)
	v_cmp_eq_u32_e32 vcc_lo, 0, v86
	v_cndmask_b32_e32 v86, v90, v89, vcc_lo
; %bb.28:
	s_or_b32 exec_lo, exec_lo, s4
	v_and_b32_e32 v89, 0x7f800000, v88
	s_delay_alu instid0(VALU_DEP_1) | instskip(SKIP_1) | instid1(SALU_CYCLE_1)
	v_cmp_ne_u32_e32 vcc_lo, 0x7f800000, v89
                                        ; implicit-def: $vgpr89
	s_and_saveexec_b32 s4, vcc_lo
	s_xor_b32 s4, exec_lo, s4
; %bb.29:
	v_bfe_u32 v89, v88, 16, 1
	s_delay_alu instid0(VALU_DEP_1)
	v_add3_u32 v89, v88, v89, 0x7fff
                                        ; implicit-def: $vgpr88
; %bb.30:
	s_and_not1_saveexec_b32 s4, s4
; %bb.31:
	v_and_b32_e32 v89, 0xffff, v88
	v_or_b32_e32 v90, 0x10000, v88
	s_delay_alu instid0(VALU_DEP_2) | instskip(NEXT) | instid1(VALU_DEP_2)
	v_cmp_eq_u32_e32 vcc_lo, 0, v89
	v_cndmask_b32_e32 v89, v90, v88, vcc_lo
; %bb.32:
	s_or_b32 exec_lo, exec_lo, s4
	v_and_b32_e32 v88, 0x7f800000, v87
	s_delay_alu instid0(VALU_DEP_1) | instskip(SKIP_1) | instid1(SALU_CYCLE_1)
	v_cmp_ne_u32_e32 vcc_lo, 0x7f800000, v88
                                        ; implicit-def: $vgpr88
	s_and_saveexec_b32 s4, vcc_lo
	s_xor_b32 s4, exec_lo, s4
; %bb.33:
	v_bfe_u32 v88, v87, 16, 1
	s_delay_alu instid0(VALU_DEP_1)
	v_add3_u32 v88, v87, v88, 0x7fff
                                        ; implicit-def: $vgpr87
; %bb.34:
	s_and_not1_saveexec_b32 s4, s4
; %bb.35:
	v_and_b32_e32 v88, 0xffff, v87
	v_or_b32_e32 v90, 0x10000, v87
	s_delay_alu instid0(VALU_DEP_2) | instskip(NEXT) | instid1(VALU_DEP_2)
	v_cmp_eq_u32_e32 vcc_lo, 0, v88
	v_cndmask_b32_e32 v88, v90, v87, vcc_lo
; %bb.36:
	s_or_b32 exec_lo, exec_lo, s4
	v_and_b32_e32 v87, 0x7f800000, v84
	s_delay_alu instid0(VALU_DEP_1) | instskip(SKIP_1) | instid1(SALU_CYCLE_1)
	v_cmp_ne_u32_e32 vcc_lo, 0x7f800000, v87
                                        ; implicit-def: $vgpr87
	s_and_saveexec_b32 s4, vcc_lo
	s_xor_b32 s4, exec_lo, s4
; %bb.37:
	v_bfe_u32 v87, v84, 16, 1
	s_delay_alu instid0(VALU_DEP_1)
	v_add3_u32 v87, v84, v87, 0x7fff
                                        ; implicit-def: $vgpr84
; %bb.38:
	s_and_not1_saveexec_b32 s4, s4
; %bb.39:
	v_and_b32_e32 v87, 0xffff, v84
	v_or_b32_e32 v90, 0x10000, v84
	s_delay_alu instid0(VALU_DEP_2) | instskip(NEXT) | instid1(VALU_DEP_2)
	v_cmp_eq_u32_e32 vcc_lo, 0, v87
	v_cndmask_b32_e32 v87, v90, v84, vcc_lo
; %bb.40:
	s_or_b32 exec_lo, exec_lo, s4
	v_and_b32_e32 v84, 0x7f800000, v80
	s_delay_alu instid0(VALU_DEP_1) | instskip(SKIP_1) | instid1(SALU_CYCLE_1)
	v_cmp_ne_u32_e32 vcc_lo, 0x7f800000, v84
                                        ; implicit-def: $vgpr84
	s_and_saveexec_b32 s4, vcc_lo
	s_xor_b32 s4, exec_lo, s4
; %bb.41:
	v_bfe_u32 v84, v80, 16, 1
	s_delay_alu instid0(VALU_DEP_1)
	v_add3_u32 v84, v80, v84, 0x7fff
                                        ; implicit-def: $vgpr80
; %bb.42:
	s_and_not1_saveexec_b32 s4, s4
; %bb.43:
	v_and_b32_e32 v84, 0xffff, v80
	v_or_b32_e32 v90, 0x10000, v80
	s_delay_alu instid0(VALU_DEP_2) | instskip(NEXT) | instid1(VALU_DEP_2)
	v_cmp_eq_u32_e32 vcc_lo, 0, v84
	v_cndmask_b32_e32 v84, v90, v80, vcc_lo
; %bb.44:
	s_or_b32 exec_lo, exec_lo, s4
	s_load_b64 s[36:37], s[0:1], 0x94
	v_lshlrev_b32_e32 v91, 4, v74
	s_delay_alu instid0(VALU_DEP_2)
	v_perm_b32 v90, v84, v87, 0x7060302
	v_dual_mul_f32 v79, v82, v79 :: v_dual_lshlrev_b32 v80, 6, v65
	v_dual_mul_f32 v77, v82, v77 :: v_dual_lshlrev_b32 v92, 11, v66
	v_mul_f32_e32 v84, v82, v70
	v_perm_b32 v89, v88, v89, 0x7060302
	v_perm_b32 v88, v86, v85, 0x7060302
	;; [unrolled: 1-line block ×3, first 2 shown]
	v_mul_f32_e32 v70, v82, v81
	v_or3_b32 v76, v91, v92, v80
	v_dual_mul_f32 v78, v82, v78 :: v_dual_and_b32 v85, 0x7f800000, v84
	v_mul_f32_e32 v83, v82, v72
	v_mul_f32_e32 v81, v82, v71
	;; [unrolled: 1-line block ×3, first 2 shown]
	s_mov_b32 s4, exec_lo
	ds_store_b128 v76, v[87:90]
                                        ; implicit-def: $vgpr69
	v_cmpx_ne_u32_e32 0x7f800000, v85
	s_xor_b32 s4, exec_lo, s4
; %bb.45:
	v_bfe_u32 v69, v84, 16, 1
	s_delay_alu instid0(VALU_DEP_1)
	v_add3_u32 v69, v84, v69, 0x7fff
                                        ; implicit-def: $vgpr84
; %bb.46:
	s_and_not1_saveexec_b32 s4, s4
; %bb.47:
	v_and_b32_e32 v69, 0xffff, v84
	v_or_b32_e32 v71, 0x10000, v84
	s_delay_alu instid0(VALU_DEP_2) | instskip(NEXT) | instid1(VALU_DEP_2)
	v_cmp_eq_u32_e32 vcc_lo, 0, v69
	v_cndmask_b32_e32 v69, v71, v84, vcc_lo
; %bb.48:
	s_or_b32 exec_lo, exec_lo, s4
	v_and_b32_e32 v71, 0x7f800000, v72
	s_delay_alu instid0(VALU_DEP_1) | instskip(SKIP_1) | instid1(SALU_CYCLE_1)
	v_cmp_ne_u32_e32 vcc_lo, 0x7f800000, v71
                                        ; implicit-def: $vgpr71
	s_and_saveexec_b32 s4, vcc_lo
	s_xor_b32 s4, exec_lo, s4
; %bb.49:
	v_bfe_u32 v71, v72, 16, 1
	s_delay_alu instid0(VALU_DEP_1)
	v_add3_u32 v71, v72, v71, 0x7fff
                                        ; implicit-def: $vgpr72
; %bb.50:
	s_and_not1_saveexec_b32 s4, s4
; %bb.51:
	v_and_b32_e32 v71, 0xffff, v72
	v_or_b32_e32 v82, 0x10000, v72
	s_delay_alu instid0(VALU_DEP_2) | instskip(NEXT) | instid1(VALU_DEP_2)
	v_cmp_eq_u32_e32 vcc_lo, 0, v71
	v_cndmask_b32_e32 v71, v82, v72, vcc_lo
; %bb.52:
	s_or_b32 exec_lo, exec_lo, s4
	v_and_b32_e32 v72, 0x7f800000, v81
	s_delay_alu instid0(VALU_DEP_1) | instskip(SKIP_1) | instid1(SALU_CYCLE_1)
	v_cmp_ne_u32_e32 vcc_lo, 0x7f800000, v72
                                        ; implicit-def: $vgpr72
	s_and_saveexec_b32 s4, vcc_lo
	s_xor_b32 s4, exec_lo, s4
; %bb.53:
	v_bfe_u32 v72, v81, 16, 1
	s_delay_alu instid0(VALU_DEP_1)
	v_add3_u32 v72, v81, v72, 0x7fff
                                        ; implicit-def: $vgpr81
; %bb.54:
	s_and_not1_saveexec_b32 s4, s4
; %bb.55:
	v_and_b32_e32 v72, 0xffff, v81
	v_or_b32_e32 v82, 0x10000, v81
	s_delay_alu instid0(VALU_DEP_2) | instskip(NEXT) | instid1(VALU_DEP_2)
	v_cmp_eq_u32_e32 vcc_lo, 0, v72
	v_cndmask_b32_e32 v72, v82, v81, vcc_lo
; %bb.56:
	s_or_b32 exec_lo, exec_lo, s4
	v_and_b32_e32 v81, 0x7f800000, v83
	s_delay_alu instid0(VALU_DEP_1) | instskip(SKIP_1) | instid1(SALU_CYCLE_1)
	v_cmp_ne_u32_e32 vcc_lo, 0x7f800000, v81
                                        ; implicit-def: $vgpr81
	s_and_saveexec_b32 s4, vcc_lo
	s_xor_b32 s4, exec_lo, s4
; %bb.57:
	v_bfe_u32 v81, v83, 16, 1
	s_delay_alu instid0(VALU_DEP_1)
	v_add3_u32 v81, v83, v81, 0x7fff
                                        ; implicit-def: $vgpr83
; %bb.58:
	s_and_not1_saveexec_b32 s4, s4
; %bb.59:
	v_and_b32_e32 v81, 0xffff, v83
	v_or_b32_e32 v82, 0x10000, v83
	s_delay_alu instid0(VALU_DEP_2) | instskip(NEXT) | instid1(VALU_DEP_2)
	v_cmp_eq_u32_e32 vcc_lo, 0, v81
	v_cndmask_b32_e32 v81, v82, v83, vcc_lo
; %bb.60:
	s_or_b32 exec_lo, exec_lo, s4
	v_and_b32_e32 v82, 0x7f800000, v77
	s_delay_alu instid0(VALU_DEP_1) | instskip(SKIP_1) | instid1(SALU_CYCLE_1)
	v_cmp_ne_u32_e32 vcc_lo, 0x7f800000, v82
                                        ; implicit-def: $vgpr82
	s_and_saveexec_b32 s4, vcc_lo
	s_xor_b32 s4, exec_lo, s4
; %bb.61:
	v_bfe_u32 v82, v77, 16, 1
	s_delay_alu instid0(VALU_DEP_1)
	v_add3_u32 v82, v77, v82, 0x7fff
                                        ; implicit-def: $vgpr77
; %bb.62:
	s_and_not1_saveexec_b32 s4, s4
; %bb.63:
	v_and_b32_e32 v82, 0xffff, v77
	v_or_b32_e32 v83, 0x10000, v77
	s_delay_alu instid0(VALU_DEP_2) | instskip(NEXT) | instid1(VALU_DEP_2)
	v_cmp_eq_u32_e32 vcc_lo, 0, v82
	v_cndmask_b32_e32 v82, v83, v77, vcc_lo
; %bb.64:
	s_or_b32 exec_lo, exec_lo, s4
	v_and_b32_e32 v77, 0x7f800000, v78
	s_delay_alu instid0(VALU_DEP_1) | instskip(SKIP_1) | instid1(SALU_CYCLE_1)
	v_cmp_ne_u32_e32 vcc_lo, 0x7f800000, v77
                                        ; implicit-def: $vgpr77
	s_and_saveexec_b32 s4, vcc_lo
	s_xor_b32 s4, exec_lo, s4
; %bb.65:
	v_bfe_u32 v77, v78, 16, 1
	s_delay_alu instid0(VALU_DEP_1)
	v_add3_u32 v77, v78, v77, 0x7fff
                                        ; implicit-def: $vgpr78
; %bb.66:
	s_and_not1_saveexec_b32 s4, s4
; %bb.67:
	v_and_b32_e32 v77, 0xffff, v78
	v_or_b32_e32 v83, 0x10000, v78
	s_delay_alu instid0(VALU_DEP_2) | instskip(NEXT) | instid1(VALU_DEP_2)
	v_cmp_eq_u32_e32 vcc_lo, 0, v77
	v_cndmask_b32_e32 v77, v83, v78, vcc_lo
; %bb.68:
	s_or_b32 exec_lo, exec_lo, s4
	v_and_b32_e32 v78, 0x7f800000, v79
	s_delay_alu instid0(VALU_DEP_1) | instskip(SKIP_1) | instid1(SALU_CYCLE_1)
	v_cmp_ne_u32_e32 vcc_lo, 0x7f800000, v78
                                        ; implicit-def: $vgpr78
	s_and_saveexec_b32 s4, vcc_lo
	s_xor_b32 s4, exec_lo, s4
; %bb.69:
	v_bfe_u32 v78, v79, 16, 1
	s_delay_alu instid0(VALU_DEP_1)
	v_add3_u32 v78, v79, v78, 0x7fff
                                        ; implicit-def: $vgpr79
; %bb.70:
	s_and_not1_saveexec_b32 s4, s4
; %bb.71:
	v_and_b32_e32 v78, 0xffff, v79
	v_or_b32_e32 v83, 0x10000, v79
	s_delay_alu instid0(VALU_DEP_2) | instskip(NEXT) | instid1(VALU_DEP_2)
	v_cmp_eq_u32_e32 vcc_lo, 0, v78
	v_cndmask_b32_e32 v78, v83, v79, vcc_lo
; %bb.72:
	s_or_b32 exec_lo, exec_lo, s4
	v_and_b32_e32 v79, 0x7f800000, v70
	s_delay_alu instid0(VALU_DEP_1) | instskip(SKIP_1) | instid1(SALU_CYCLE_1)
	v_cmp_ne_u32_e32 vcc_lo, 0x7f800000, v79
                                        ; implicit-def: $vgpr79
	s_and_saveexec_b32 s4, vcc_lo
	s_xor_b32 s4, exec_lo, s4
; %bb.73:
	v_bfe_u32 v79, v70, 16, 1
	s_delay_alu instid0(VALU_DEP_1)
	v_add3_u32 v79, v70, v79, 0x7fff
                                        ; implicit-def: $vgpr70
; %bb.74:
	s_and_not1_saveexec_b32 s4, s4
; %bb.75:
	v_and_b32_e32 v79, 0xffff, v70
	v_or_b32_e32 v83, 0x10000, v70
	s_delay_alu instid0(VALU_DEP_2) | instskip(NEXT) | instid1(VALU_DEP_2)
	v_cmp_eq_u32_e32 vcc_lo, 0, v79
	v_cndmask_b32_e32 v79, v83, v70, vcc_lo
; %bb.76:
	s_or_b32 exec_lo, exec_lo, s4
	s_delay_alu instid0(VALU_DEP_1)
	v_perm_b32 v86, v79, v78, 0x7060302
	v_perm_b32 v85, v77, v82, 0x7060302
	;; [unrolled: 1-line block ×4, first 2 shown]
	v_lshl_or_b32 v82, v66, 11, v80
	ds_store_b128 v76, v[83:86] offset:1024
	s_waitcnt lgkmcnt(0)
	s_barrier
	buffer_gl0_inv
	ds_load_b128 v[69:72], v82
	ds_load_b128 v[83:86], v82 offset:16
	s_waitcnt lgkmcnt(1)
	v_lshrrev_b32_e32 v66, 16, v69
	s_waitcnt lgkmcnt(0)
	v_lshrrev_b32_e32 v91, 16, v83
	v_lshlrev_b32_e32 v78, 2, v74
	v_lshrrev_b32_e32 v95, 16, v70
	v_lshrrev_b32_e32 v98, 16, v84
	;; [unrolled: 1-line block ×4, first 2 shown]
	v_cmp_eq_u32_e32 vcc_lo, 1, v78
	v_lshrrev_b32_e32 v97, 16, v72
	v_lshrrev_b32_e32 v100, 16, v86
	v_cndmask_b32_e32 v87, v83, v91, vcc_lo
	v_or_b32_e32 v79, 1, v78
	v_cndmask_b32_e32 v81, v69, v66, vcc_lo
	v_cmp_eq_u32_e64 s5, 2, v78
	v_cmp_eq_u32_e64 s8, 3, v78
	;; [unrolled: 1-line block ×5, first 2 shown]
	v_cndmask_b32_e64 v81, v81, v70, s5
	v_cndmask_b32_e64 v87, v87, v84, s5
	v_cmp_eq_u32_e64 s9, 3, v79
	v_cndmask_b32_e64 v88, v69, v66, s4
	v_or_b32_e32 v77, 2, v78
	v_cndmask_b32_e64 v81, v81, v95, s8
	v_cndmask_b32_e64 v87, v87, v98, s8
	v_cndmask_b32_e64 v89, v83, v91, s4
	v_cndmask_b32_e64 v88, v88, v70, s7
	v_cmp_eq_u32_e64 s11, 5, v78
	v_cndmask_b32_e64 v81, v81, v71, s10
	v_cndmask_b32_e64 v87, v87, v85, s10
	v_cmp_eq_u32_e64 s12, 4, v79
	v_cndmask_b32_e64 v88, v88, v95, s9
	v_cmp_eq_u32_e64 s6, 1, v77
	v_cndmask_b32_e64 v89, v89, v84, s7
	v_cndmask_b32_e64 v81, v81, v96, s11
	v_cmp_eq_u32_e64 s13, 6, v78
	v_cndmask_b32_e64 v88, v88, v71, s12
	;; [unrolled: 3-line block ×3, first 2 shown]
	v_cndmask_b32_e64 v89, v89, v98, s9
	v_cndmask_b32_e64 v81, v81, v72, s13
	v_cmp_eq_u32_e64 s16, 7, v78
	v_cndmask_b32_e64 v88, v88, v96, s15
	v_cndmask_b32_e64 v87, v87, v86, s13
	v_cmp_eq_u32_e64 s17, 6, v79
	v_cmp_eq_u32_e64 s18, 2, v77
	v_cndmask_b32_e64 v89, v89, v85, s12
	v_cndmask_b32_e64 v101, v81, v97, s16
	;; [unrolled: 1-line block ×6, first 2 shown]
	v_cmp_eq_u32_e64 s19, 7, v79
	v_cmp_eq_u32_e64 s20, 3, v77
	;; [unrolled: 1-line block ×4, first 2 shown]
	v_cndmask_b32_e64 v87, v87, v84, s18
	v_cndmask_b32_e64 v103, v88, v97, s19
	;; [unrolled: 1-line block ×4, first 2 shown]
	v_or_b32_e32 v81, 3, v78
	v_cndmask_b32_e64 v93, v87, v98, s20
	v_cmp_eq_u32_e64 s25, 6, v77
	v_cndmask_b32_e64 v104, v88, v86, s17
	v_cndmask_b32_e64 v92, v89, v71, s21
	v_cmp_eq_u32_e64 s22, 1, v81
	ds_load_b128 v[87:90], v82 offset:1024
	v_cmp_eq_u32_e64 s24, 2, v81
	v_cmp_eq_u32_e64 s26, 3, v81
	v_cndmask_b32_e64 v105, v92, v96, s23
	v_cndmask_b32_e64 v66, v69, v66, s22
	;; [unrolled: 1-line block ×4, first 2 shown]
	ds_load_b128 v[91:94], v82 offset:1040
	v_cmp_eq_u32_e64 s27, 4, v81
	v_cndmask_b32_e64 v66, v66, v70, s24
	v_cmp_eq_u32_e64 s28, 7, v77
	v_cndmask_b32_e64 v70, v83, v84, s24
	v_cndmask_b32_e64 v84, v105, v72, s25
	v_cmp_eq_u32_e64 s29, 5, v81
	v_cndmask_b32_e64 v66, v66, v95, s26
	v_cmp_eq_u32_e64 s30, 6, v81
	v_cndmask_b32_e64 v70, v70, v98, s26
	v_cndmask_b32_e64 v69, v69, v99, s23
	;; [unrolled: 1-line block ×4, first 2 shown]
	s_waitcnt lgkmcnt(1)
	v_lshrrev_b32_e32 v95, 16, v87
	v_cndmask_b32_e64 v70, v70, v85, s27
	v_cndmask_b32_e64 v71, v84, v97, s28
	;; [unrolled: 1-line block ×4, first 2 shown]
	v_cndmask_b32_e32 v84, v87, v95, vcc_lo
	v_cndmask_b32_e64 v70, v70, v99, s29
	s_waitcnt lgkmcnt(0)
	v_lshrrev_b32_e32 v85, 16, v91
	v_lshrrev_b32_e32 v96, 16, v88
	v_cndmask_b32_e64 v98, v87, v95, s4
	v_cndmask_b32_e64 v84, v84, v88, s5
	;; [unrolled: 1-line block ×3, first 2 shown]
	v_cndmask_b32_e32 v99, v91, v85, vcc_lo
	v_cmp_eq_u32_e32 vcc_lo, 7, v81
	v_cndmask_b32_e64 v66, v66, v72, s30
	v_cndmask_b32_e64 v72, v84, v96, s8
	v_cndmask_b32_e64 v84, v98, v88, s7
	v_lshrrev_b32_e32 v98, 16, v92
	v_cndmask_b32_e32 v70, v70, v100, vcc_lo
	v_cndmask_b32_e64 v86, v99, v92, s5
	v_cndmask_b32_e64 v69, v69, v100, s28
	v_lshrrev_b32_e32 v100, 16, v93
	v_cndmask_b32_e64 v72, v72, v89, s10
	v_lshrrev_b32_e32 v99, 16, v89
	v_cndmask_b32_e64 v86, v86, v98, s8
	v_perm_b32 v71, v69, v71, 0x5040100
	v_cndmask_b32_e64 v84, v84, v96, s9
	s_delay_alu instid0(VALU_DEP_3) | instskip(NEXT) | instid1(VALU_DEP_2)
	v_cndmask_b32_e64 v86, v86, v93, s10
	v_cndmask_b32_e64 v84, v84, v89, s12
	s_delay_alu instid0(VALU_DEP_2) | instskip(NEXT) | instid1(VALU_DEP_1)
	v_cndmask_b32_e64 v86, v86, v100, s11
	v_cndmask_b32_e64 v69, v86, v94, s13
	;; [unrolled: 1-line block ×5, first 2 shown]
	s_delay_alu instid0(VALU_DEP_3) | instskip(NEXT) | instid1(VALU_DEP_3)
	v_cndmask_b32_e64 v86, v86, v88, s18
	v_cndmask_b32_e64 v87, v87, v88, s24
	s_delay_alu instid0(VALU_DEP_3) | instskip(NEXT) | instid1(VALU_DEP_3)
	v_cndmask_b32_e64 v88, v95, v92, s24
	v_cndmask_b32_e64 v86, v86, v96, s20
	;; [unrolled: 3-line block ×7, first 2 shown]
	s_delay_alu instid0(VALU_DEP_3) | instskip(SKIP_2) | instid1(VALU_DEP_2)
	v_cndmask_b32_e64 v88, v88, v94, s30
	v_cndmask_b32_e32 v66, v66, v97, vcc_lo
	v_cndmask_b32_e64 v97, v72, v99, s11
	v_perm_b32 v72, v70, v66, 0x5040100
	v_perm_b32 v70, v83, v103, 0x5040100
	v_cndmask_b32_e64 v103, v91, v85, s6
	v_cndmask_b32_e64 v85, v91, v85, s4
	;; [unrolled: 1-line block ×4, first 2 shown]
	v_lshrrev_b32_e32 v97, 16, v90
	v_cndmask_b32_e64 v91, v103, v92, s18
	v_cndmask_b32_e64 v85, v85, v92, s7
	;; [unrolled: 1-line block ×3, first 2 shown]
	s_mov_b32 s4, exec_lo
	v_cndmask_b32_e64 v83, v84, v97, s16
	v_cndmask_b32_e64 v91, v91, v98, s20
	;; [unrolled: 1-line block ×3, first 2 shown]
	v_lshrrev_b32_e32 v84, 16, v94
	v_cndmask_b32_e64 v66, v66, v97, s19
	v_cndmask_b32_e64 v90, v86, v97, s28
	;; [unrolled: 1-line block ×4, first 2 shown]
	v_dual_cndmask_b32 v86, v87, v97 :: v_dual_cndmask_b32 v87, v88, v84
	v_cndmask_b32_e64 v91, v69, v84, s16
	s_delay_alu instid0(VALU_DEP_4) | instskip(NEXT) | instid1(VALU_DEP_4)
	v_cndmask_b32_e64 v89, v89, v100, s23
	v_cndmask_b32_e64 v85, v85, v100, s15
	v_perm_b32 v69, v102, v101, 0x5040100
	v_perm_b32 v86, v87, v86, 0x5040100
	;; [unrolled: 1-line block ×3, first 2 shown]
	v_cndmask_b32_e64 v89, v89, v94, s25
	v_cndmask_b32_e64 v85, v85, v94, s17
	s_mul_i32 s9, s37, 11
	s_delay_alu instid0(VALU_DEP_2) | instskip(NEXT) | instid1(VALU_DEP_2)
	v_cndmask_b32_e64 v88, v89, v84, s28
	v_cndmask_b32_e64 v89, v85, v84, s19
	s_delay_alu instid0(VALU_DEP_2) | instskip(NEXT) | instid1(VALU_DEP_2)
	v_perm_b32 v85, v88, v90, 0x5040100
	v_perm_b32 v84, v89, v66, 0x5040100
	ds_store_b128 v76, v[69:72]
	ds_store_b128 v76, v[83:86] offset:1024
	v_cmpx_gt_u32_e32 11, v0
	s_cbranch_execz .LBB1688_78
; %bb.77:
	s_mul_i32 s5, s9, s34
	s_load_b128 s[16:19], s[0:1], 0x58
	v_add3_u32 v69, s5, s31, v65
	s_delay_alu instid0(VALU_DEP_1) | instskip(NEXT) | instid1(VALU_DEP_1)
	v_mad_u64_u32 v[65:66], null, v69, s36, s[14:15]
	v_ashrrev_i32_e32 v66, 31, v65
	s_delay_alu instid0(VALU_DEP_1) | instskip(SKIP_1) | instid1(VALU_DEP_1)
	v_lshlrev_b64 v[65:66], 2, v[65:66]
	s_waitcnt lgkmcnt(0)
	v_add_co_u32 v69, vcc_lo, s18, v65
	s_delay_alu instid0(VALU_DEP_2)
	v_add_co_ci_u32_e32 v70, vcc_lo, s19, v66, vcc_lo
	v_add_co_u32 v65, vcc_lo, s16, v65
	v_add_co_ci_u32_e32 v66, vcc_lo, s17, v66, vcc_lo
	global_store_b32 v[69:70], v67, off
	global_store_b32 v[65:66], v68, off
.LBB1688_78:
	s_or_b32 exec_lo, exec_lo, s4
	s_waitcnt lgkmcnt(0)
	s_waitcnt_vscnt null, 0x0
	s_barrier
	buffer_gl0_inv
	ds_load_b128 v[83:86], v80
	ds_load_b128 v[87:90], v80 offset:16
	ds_load_b128 v[95:98], v80 offset:2064
	;; [unrolled: 1-line block ×3, first 2 shown]
	v_mov_b32_e32 v65, 0
	ds_load_b128 v[103:106], v80 offset:4112
	ds_load_b128 v[99:102], v80 offset:4096
	;; [unrolled: 1-line block ×4, first 2 shown]
	v_mov_b32_e32 v66, v65
	v_mov_b32_e32 v67, v65
	;; [unrolled: 1-line block ×7, first 2 shown]
	s_waitcnt lgkmcnt(6)
	s_delay_alu instid0(VALU_DEP_1)
	v_wmma_f32_16x16x16_bf16 v[65:72], v[57:64], v[83:90], v[65:72]
	ds_load_b128 v[61:64], v80 offset:8208
	ds_load_b128 v[57:60], v80 offset:8192
	s_waitcnt lgkmcnt(6)
	v_wmma_f32_16x16x16_bf16 v[65:72], v[41:48], v[91:98], v[65:72]
	ds_load_b128 v[45:48], v80 offset:10256
	ds_load_b128 v[41:44], v80 offset:10240
	s_waitcnt lgkmcnt(6)
	v_wmma_f32_16x16x16_bf16 v[65:72], v[33:40], v[99:106], v[65:72]
	ds_load_b128 v[37:40], v80 offset:12304
	ds_load_b128 v[33:36], v80 offset:12288
	s_waitcnt lgkmcnt(6)
	v_wmma_f32_16x16x16_bf16 v[65:72], v[25:32], v[107:114], v[65:72]
	ds_load_b128 v[29:32], v80 offset:14352
	ds_load_b128 v[25:28], v80 offset:14336
	s_waitcnt lgkmcnt(6)
	v_wmma_f32_16x16x16_bf16 v[65:72], v[1:8], v[57:64], v[65:72]
	s_waitcnt lgkmcnt(4)
	s_delay_alu instid0(VALU_DEP_1) | instskip(SKIP_1) | instid1(VALU_DEP_1)
	v_wmma_f32_16x16x16_bf16 v[65:72], v[9:16], v[41:48], v[65:72]
	s_waitcnt lgkmcnt(2)
	v_wmma_f32_16x16x16_bf16 v[65:72], v[17:24], v[33:40], v[65:72]
	s_waitcnt lgkmcnt(0)
	s_delay_alu instid0(VALU_DEP_1) | instskip(NEXT) | instid1(VALU_DEP_1)
	v_wmma_f32_16x16x16_bf16 v[65:72], v[49:56], v[25:32], v[65:72]
	v_and_b32_e32 v1, 0x7f800000, v65
	s_delay_alu instid0(VALU_DEP_1) | instskip(SKIP_1) | instid1(SALU_CYCLE_1)
	v_cmp_ne_u32_e32 vcc_lo, 0x7f800000, v1
                                        ; implicit-def: $vgpr1
	s_and_saveexec_b32 s4, vcc_lo
	s_xor_b32 s4, exec_lo, s4
; %bb.79:
	v_bfe_u32 v1, v65, 16, 1
	s_delay_alu instid0(VALU_DEP_1)
	v_add3_u32 v1, v65, v1, 0x7fff
; %bb.80:
	s_and_not1_saveexec_b32 s4, s4
; %bb.81:
	v_and_b32_e32 v1, 0xffff, v65
	v_or_b32_e32 v2, 0x10000, v65
	s_delay_alu instid0(VALU_DEP_2) | instskip(NEXT) | instid1(VALU_DEP_2)
	v_cmp_eq_u32_e32 vcc_lo, 0, v1
	v_cndmask_b32_e32 v1, v2, v65, vcc_lo
; %bb.82:
	s_or_b32 exec_lo, exec_lo, s4
	v_and_b32_e32 v2, 0x7f800000, v66
	s_delay_alu instid0(VALU_DEP_1) | instskip(SKIP_1) | instid1(SALU_CYCLE_1)
	v_cmp_ne_u32_e32 vcc_lo, 0x7f800000, v2
                                        ; implicit-def: $vgpr2
	s_and_saveexec_b32 s4, vcc_lo
	s_xor_b32 s4, exec_lo, s4
; %bb.83:
	v_bfe_u32 v2, v66, 16, 1
	s_delay_alu instid0(VALU_DEP_1)
	v_add3_u32 v2, v66, v2, 0x7fff
; %bb.84:
	s_and_not1_saveexec_b32 s4, s4
; %bb.85:
	v_and_b32_e32 v2, 0xffff, v66
	v_or_b32_e32 v3, 0x10000, v66
	s_delay_alu instid0(VALU_DEP_2) | instskip(NEXT) | instid1(VALU_DEP_2)
	v_cmp_eq_u32_e32 vcc_lo, 0, v2
	v_cndmask_b32_e32 v2, v3, v66, vcc_lo
; %bb.86:
	s_or_b32 exec_lo, exec_lo, s4
	v_and_b32_e32 v3, 0x7f800000, v67
	s_delay_alu instid0(VALU_DEP_1) | instskip(SKIP_1) | instid1(SALU_CYCLE_1)
	v_cmp_ne_u32_e32 vcc_lo, 0x7f800000, v3
                                        ; implicit-def: $vgpr3
	s_and_saveexec_b32 s4, vcc_lo
	s_xor_b32 s4, exec_lo, s4
; %bb.87:
	v_bfe_u32 v3, v67, 16, 1
	s_delay_alu instid0(VALU_DEP_1)
	v_add3_u32 v3, v67, v3, 0x7fff
; %bb.88:
	s_and_not1_saveexec_b32 s4, s4
; %bb.89:
	v_and_b32_e32 v3, 0xffff, v67
	v_or_b32_e32 v4, 0x10000, v67
	s_delay_alu instid0(VALU_DEP_2) | instskip(NEXT) | instid1(VALU_DEP_2)
	v_cmp_eq_u32_e32 vcc_lo, 0, v3
	v_cndmask_b32_e32 v3, v4, v67, vcc_lo
; %bb.90:
	s_or_b32 exec_lo, exec_lo, s4
	v_and_b32_e32 v4, 0x7f800000, v68
	s_delay_alu instid0(VALU_DEP_1) | instskip(SKIP_1) | instid1(SALU_CYCLE_1)
	v_cmp_ne_u32_e32 vcc_lo, 0x7f800000, v4
                                        ; implicit-def: $vgpr4
	s_and_saveexec_b32 s4, vcc_lo
	s_xor_b32 s4, exec_lo, s4
; %bb.91:
	v_bfe_u32 v4, v68, 16, 1
	s_delay_alu instid0(VALU_DEP_1)
	v_add3_u32 v4, v68, v4, 0x7fff
; %bb.92:
	s_and_not1_saveexec_b32 s4, s4
; %bb.93:
	v_and_b32_e32 v4, 0xffff, v68
	v_or_b32_e32 v5, 0x10000, v68
	s_delay_alu instid0(VALU_DEP_2) | instskip(NEXT) | instid1(VALU_DEP_2)
	v_cmp_eq_u32_e32 vcc_lo, 0, v4
	v_cndmask_b32_e32 v4, v5, v68, vcc_lo
; %bb.94:
	s_or_b32 exec_lo, exec_lo, s4
	v_and_b32_e32 v5, 0x7f800000, v69
	s_delay_alu instid0(VALU_DEP_1) | instskip(SKIP_1) | instid1(SALU_CYCLE_1)
	v_cmp_ne_u32_e32 vcc_lo, 0x7f800000, v5
                                        ; implicit-def: $vgpr5
	s_and_saveexec_b32 s4, vcc_lo
	s_xor_b32 s4, exec_lo, s4
; %bb.95:
	v_bfe_u32 v5, v69, 16, 1
	s_delay_alu instid0(VALU_DEP_1)
	v_add3_u32 v5, v69, v5, 0x7fff
; %bb.96:
	s_and_not1_saveexec_b32 s4, s4
; %bb.97:
	v_and_b32_e32 v5, 0xffff, v69
	v_or_b32_e32 v6, 0x10000, v69
	s_delay_alu instid0(VALU_DEP_2) | instskip(NEXT) | instid1(VALU_DEP_2)
	v_cmp_eq_u32_e32 vcc_lo, 0, v5
	v_cndmask_b32_e32 v5, v6, v69, vcc_lo
; %bb.98:
	s_or_b32 exec_lo, exec_lo, s4
	v_and_b32_e32 v6, 0x7f800000, v70
	s_delay_alu instid0(VALU_DEP_1) | instskip(SKIP_1) | instid1(SALU_CYCLE_1)
	v_cmp_ne_u32_e32 vcc_lo, 0x7f800000, v6
                                        ; implicit-def: $vgpr6
	s_and_saveexec_b32 s4, vcc_lo
	s_xor_b32 s4, exec_lo, s4
; %bb.99:
	v_bfe_u32 v6, v70, 16, 1
	s_delay_alu instid0(VALU_DEP_1)
	v_add3_u32 v6, v70, v6, 0x7fff
; %bb.100:
	s_and_not1_saveexec_b32 s4, s4
; %bb.101:
	v_and_b32_e32 v6, 0xffff, v70
	v_or_b32_e32 v7, 0x10000, v70
	s_delay_alu instid0(VALU_DEP_2) | instskip(NEXT) | instid1(VALU_DEP_2)
	v_cmp_eq_u32_e32 vcc_lo, 0, v6
	v_cndmask_b32_e32 v6, v7, v70, vcc_lo
; %bb.102:
	s_or_b32 exec_lo, exec_lo, s4
	v_and_b32_e32 v7, 0x7f800000, v71
	s_delay_alu instid0(VALU_DEP_1) | instskip(SKIP_1) | instid1(SALU_CYCLE_1)
	v_cmp_ne_u32_e32 vcc_lo, 0x7f800000, v7
                                        ; implicit-def: $vgpr7
	s_and_saveexec_b32 s4, vcc_lo
	s_xor_b32 s4, exec_lo, s4
; %bb.103:
	v_bfe_u32 v7, v71, 16, 1
	s_delay_alu instid0(VALU_DEP_1)
	v_add3_u32 v7, v71, v7, 0x7fff
; %bb.104:
	s_and_not1_saveexec_b32 s4, s4
; %bb.105:
	v_and_b32_e32 v7, 0xffff, v71
	v_or_b32_e32 v8, 0x10000, v71
	s_delay_alu instid0(VALU_DEP_2) | instskip(NEXT) | instid1(VALU_DEP_2)
	v_cmp_eq_u32_e32 vcc_lo, 0, v7
	v_cndmask_b32_e32 v7, v8, v71, vcc_lo
; %bb.106:
	s_or_b32 exec_lo, exec_lo, s4
	v_and_b32_e32 v8, 0x7f800000, v72
	s_delay_alu instid0(VALU_DEP_1) | instskip(SKIP_1) | instid1(SALU_CYCLE_1)
	v_cmp_ne_u32_e32 vcc_lo, 0x7f800000, v8
                                        ; implicit-def: $vgpr8
	s_and_saveexec_b32 s4, vcc_lo
	s_xor_b32 s4, exec_lo, s4
; %bb.107:
	v_bfe_u32 v8, v72, 16, 1
	s_delay_alu instid0(VALU_DEP_1)
	v_add3_u32 v8, v72, v8, 0x7fff
                                        ; implicit-def: $vgpr65_vgpr66_vgpr67_vgpr68_vgpr69_vgpr70_vgpr71_vgpr72
; %bb.108:
	s_and_not1_saveexec_b32 s4, s4
; %bb.109:
	v_and_b32_e32 v8, 0xffff, v72
	v_or_b32_e32 v9, 0x10000, v72
	s_delay_alu instid0(VALU_DEP_2) | instskip(NEXT) | instid1(VALU_DEP_2)
	v_cmp_eq_u32_e32 vcc_lo, 0, v8
	v_cndmask_b32_e32 v8, v9, v72, vcc_lo
; %bb.110:
	s_or_b32 exec_lo, exec_lo, s4
	s_delay_alu instid0(VALU_DEP_1)
	v_perm_b32 v7, v8, v7, 0x7060302
	v_perm_b32 v6, v6, v5, 0x7060302
	;; [unrolled: 1-line block ×4, first 2 shown]
	s_barrier
	buffer_gl0_inv
	v_cmp_eq_u32_e32 vcc_lo, 1, v78
	ds_store_b128 v76, v[4:7]
	s_waitcnt lgkmcnt(0)
	s_barrier
	buffer_gl0_inv
	ds_load_b128 v[1:4], v82
	ds_load_b128 v[5:8], v82 offset:16
	v_cmp_eq_u32_e64 s4, 1, v79
	v_cmp_eq_u32_e64 s5, 2, v78
	;; [unrolled: 1-line block ×5, first 2 shown]
	s_waitcnt lgkmcnt(1)
	v_lshrrev_b32_e32 v9, 16, v1
	s_waitcnt lgkmcnt(0)
	v_lshrrev_b32_e32 v13, 16, v5
	v_lshrrev_b32_e32 v10, 16, v2
	;; [unrolled: 1-line block ×4, first 2 shown]
	v_cndmask_b32_e64 v19, v1, v9, s4
	v_cndmask_b32_e32 v18, v5, v13, vcc_lo
	v_cndmask_b32_e64 v20, v5, v13, s4
	v_cndmask_b32_e32 v17, v1, v9, vcc_lo
	v_cmp_eq_u32_e32 vcc_lo, 2, v79
	v_lshrrev_b32_e32 v15, 16, v7
	v_cmp_eq_u32_e64 s4, 1, v77
	v_lshrrev_b32_e32 v12, 16, v4
	v_lshrrev_b32_e32 v16, 16, v8
	v_cndmask_b32_e32 v20, v20, v6, vcc_lo
	v_cndmask_b32_e64 v17, v17, v2, s5
	v_cndmask_b32_e32 v19, v19, v2, vcc_lo
	v_cndmask_b32_e64 v18, v18, v6, s5
	v_cmp_eq_u32_e32 vcc_lo, 4, v78
	v_cmp_eq_u32_e64 s5, 3, v79
	v_cndmask_b32_e64 v17, v17, v10, s6
	v_cndmask_b32_e64 v21, v1, v9, s4
	;; [unrolled: 1-line block ×5, first 2 shown]
	v_cndmask_b32_e32 v17, v17, v3, vcc_lo
	v_cndmask_b32_e64 v20, v20, v14, s5
	v_cndmask_b32_e32 v18, v18, v7, vcc_lo
	v_cmp_eq_u32_e32 vcc_lo, 4, v79
	v_cmp_eq_u32_e64 s5, 5, v79
	v_cmp_eq_u32_e64 s4, 2, v81
	v_cndmask_b32_e64 v21, v21, v2, s8
	v_cmp_eq_u32_e64 s6, 5, v78
	v_cndmask_b32_e32 v19, v19, v3, vcc_lo
	v_cndmask_b32_e32 v20, v20, v7, vcc_lo
	v_cmp_eq_u32_e32 vcc_lo, 6, v79
	s_delay_alu instid0(VALU_DEP_4) | instskip(NEXT) | instid1(VALU_DEP_4)
	v_cndmask_b32_e64 v17, v17, v11, s6
	v_cndmask_b32_e64 v19, v19, v11, s5
	s_delay_alu instid0(VALU_DEP_4) | instskip(SKIP_1) | instid1(VALU_DEP_3)
	v_cndmask_b32_e64 v20, v20, v15, s5
	v_cmp_eq_u32_e64 s5, 1, v81
	v_cndmask_b32_e32 v19, v19, v4, vcc_lo
	v_cndmask_b32_e64 v18, v18, v15, s6
	s_delay_alu instid0(VALU_DEP_3)
	v_cndmask_b32_e64 v1, v1, v9, s5
	v_cndmask_b32_e64 v5, v5, v13, s5
	v_cmp_eq_u32_e64 s5, 3, v77
	v_cndmask_b32_e64 v13, v22, v6, s8
	v_cmp_eq_u32_e64 s8, 3, v81
	v_cndmask_b32_e64 v1, v1, v2, s4
	v_cndmask_b32_e64 v2, v5, v6, s4
	v_cndmask_b32_e64 v9, v21, v10, s5
	v_cmp_eq_u32_e64 s4, 4, v77
	v_cndmask_b32_e64 v6, v13, v14, s5
	v_cndmask_b32_e64 v1, v1, v10, s8
	v_cmp_eq_u32_e64 s5, 4, v81
	v_cndmask_b32_e64 v2, v2, v14, s8
	v_cndmask_b32_e64 v5, v9, v3, s4
	;; [unrolled: 3-line block ×3, first 2 shown]
	v_cndmask_b32_e64 v2, v2, v7, s5
	v_cmp_eq_u32_e64 s4, 5, v81
	v_cmp_eq_u32_e64 s6, 6, v78
	v_cndmask_b32_e64 v5, v5, v11, s8
	v_cmp_eq_u32_e64 s5, 6, v77
	v_cndmask_b32_e64 v3, v6, v15, s8
	v_cndmask_b32_e64 v1, v1, v11, s4
	v_cmp_eq_u32_e64 s8, 6, v81
	v_cndmask_b32_e64 v2, v2, v15, s4
	v_cndmask_b32_e64 v17, v17, v4, s6
	v_cndmask_b32_e64 v18, v18, v8, s6
	v_cmp_eq_u32_e64 s6, 7, v78
	v_cndmask_b32_e64 v5, v5, v4, s5
	;; [unrolled: 4-line block ×3, first 2 shown]
	v_cmp_eq_u32_e64 s5, 7, v77
	v_cndmask_b32_e32 v4, v20, v8, vcc_lo
	v_cndmask_b32_e64 v17, v17, v12, s6
	v_cndmask_b32_e64 v19, v19, v12, s7
	;; [unrolled: 1-line block ×8, first 2 shown]
	v_cmp_gt_u32_e32 vcc_lo, 32, v0
	v_perm_b32 v4, v2, v1, 0x5040100
	v_perm_b32 v3, v3, v5, 0x5040100
	;; [unrolled: 1-line block ×4, first 2 shown]
	s_and_b32 s2, vcc_lo, s2
	ds_store_b128 v76, v[1:4]
	s_waitcnt lgkmcnt(0)
	s_barrier
	buffer_gl0_inv
	s_and_saveexec_b32 s4, s2
	s_cbranch_execz .LBB1688_2
; %bb.111:
	s_load_b64 s[4:5], s[0:1], 0x68
	v_lshlrev_b32_e32 v0, 10, v0
	v_lshlrev_b32_e32 v1, 4, v75
	s_lshl_b32 s0, s36, 6
	v_add_nc_u32_e32 v7, s31, v74
	s_mul_i32 s1, s0, s34
	s_delay_alu instid0(SALU_CYCLE_1) | instskip(SKIP_1) | instid1(VALU_DEP_2)
	s_mul_i32 s6, s1, s9
	v_and_or_b32 v0, 0x3800, v0, v1
	v_mul_lo_u32 v1, v7, s0
	v_add_nc_u32_e32 v2, 2, v7
	s_ashr_i32 s7, s6, 31
	v_add_nc_u32_e32 v4, 4, v7
	s_lshl_b64 s[6:7], s[6:7], 1
	v_add_nc_u32_e32 v8, 6, v7
	v_mul_lo_u32 v3, v2, s0
	v_lshl_or_b32 v19, v74, 6, v0
	v_ashrrev_i32_e32 v2, 31, v1
	v_mul_lo_u32 v11, v4, s0
	v_mul_lo_u32 v25, v8, s0
	s_waitcnt lgkmcnt(0)
	s_add_u32 s1, s4, s6
	s_addc_u32 s2, s5, s7
	s_lshl_b32 s4, s14, 6
	v_lshlrev_b64 v[5:6], 1, v[1:2]
	s_ashr_i32 s5, s4, 31
	v_ashrrev_i32_e32 v4, 31, v3
	s_lshl_b64 s[4:5], s[4:5], 1
	v_ashrrev_i32_e32 v12, 31, v11
	s_add_u32 s1, s1, s4
	s_addc_u32 s2, s2, s5
	v_add_co_u32 v1, s1, s1, v73
	s_delay_alu instid0(VALU_DEP_1) | instskip(SKIP_1) | instid1(VALU_DEP_3)
	v_add_co_ci_u32_e64 v2, null, s2, 0, s1
	v_lshlrev_b64 v[3:4], 1, v[3:4]
	v_add_co_u32 v23, vcc_lo, v1, v5
	v_add_nc_u32_e32 v5, 8, v7
	s_delay_alu instid0(VALU_DEP_4) | instskip(NEXT) | instid1(VALU_DEP_4)
	v_add_co_ci_u32_e32 v24, vcc_lo, v2, v6, vcc_lo
	v_add_co_u32 v27, vcc_lo, v1, v3
	s_delay_alu instid0(VALU_DEP_3)
	v_mul_lo_u32 v29, v5, s0
	v_add_co_ci_u32_e32 v28, vcc_lo, v2, v4, vcc_lo
	ds_load_b128 v[3:6], v19
	ds_load_b128 v[7:10], v19 offset:128
	v_lshlrev_b64 v[31:32], 1, v[11:12]
	ds_load_b128 v[11:14], v19 offset:256
	ds_load_b128 v[15:18], v19 offset:384
	;; [unrolled: 1-line block ×3, first 2 shown]
	v_ashrrev_i32_e32 v26, 31, v25
	v_ashrrev_i32_e32 v30, 31, v29
	v_add_co_u32 v31, vcc_lo, v1, v31
	s_delay_alu instid0(VALU_DEP_3) | instskip(NEXT) | instid1(VALU_DEP_3)
	v_lshlrev_b64 v[25:26], 1, v[25:26]
	v_lshlrev_b64 v[29:30], 1, v[29:30]
	v_add_co_ci_u32_e32 v32, vcc_lo, v2, v32, vcc_lo
	s_delay_alu instid0(VALU_DEP_3) | instskip(NEXT) | instid1(VALU_DEP_4)
	v_add_co_u32 v25, vcc_lo, v1, v25
	v_add_co_ci_u32_e32 v26, vcc_lo, v2, v26, vcc_lo
	s_delay_alu instid0(VALU_DEP_4)
	v_add_co_u32 v29, vcc_lo, v1, v29
	v_add_co_ci_u32_e32 v30, vcc_lo, v2, v30, vcc_lo
	s_waitcnt lgkmcnt(4)
	global_store_b128 v[23:24], v[3:6], off
	s_waitcnt lgkmcnt(3)
	global_store_b128 v[27:28], v[7:10], off
	;; [unrolled: 2-line block ×5, first 2 shown]
	s_and_b32 exec_lo, exec_lo, s3
	s_cbranch_execz .LBB1688_2
; %bb.112:
	ds_load_b128 v[3:6], v0 offset:640
	s_add_i32 s1, s31, 10
	s_delay_alu instid0(SALU_CYCLE_1) | instskip(NEXT) | instid1(SALU_CYCLE_1)
	s_mul_i32 s0, s1, s0
	s_ashr_i32 s1, s0, 31
	s_delay_alu instid0(SALU_CYCLE_1) | instskip(NEXT) | instid1(SALU_CYCLE_1)
	s_lshl_b64 s[0:1], s[0:1], 1
	v_add_co_u32 v0, vcc_lo, v1, s0
	v_add_co_ci_u32_e32 v1, vcc_lo, s1, v2, vcc_lo
	s_waitcnt lgkmcnt(0)
	global_store_b128 v[0:1], v[3:6], off
	s_nop 0
	s_sendmsg sendmsg(MSG_DEALLOC_VGPRS)
	s_endpgm
	.section	.rodata,"a",@progbits
	.p2align	6, 0x0
	.amdhsa_kernel _Z39paged_attention_ll4mi_QKV_mfma16_kernelI14__hip_bfloat16hLN4vllm18Fp8KVCacheDataTypeE1EhLi16ELi64ELi256ELb0ELi11EL8MFMAType0EEvPKT_PKT0_S9_ifPKiSB_SB_iPKfiiiPfSE_PS4_PT2_iSD_SD_
		.amdhsa_group_segment_fixed_size 17472
		.amdhsa_private_segment_fixed_size 0
		.amdhsa_kernarg_size 400
		.amdhsa_user_sgpr_count 13
		.amdhsa_user_sgpr_dispatch_ptr 0
		.amdhsa_user_sgpr_queue_ptr 0
		.amdhsa_user_sgpr_kernarg_segment_ptr 1
		.amdhsa_user_sgpr_dispatch_id 0
		.amdhsa_user_sgpr_private_segment_size 0
		.amdhsa_wavefront_size32 1
		.amdhsa_uses_dynamic_stack 0
		.amdhsa_enable_private_segment 0
		.amdhsa_system_sgpr_workgroup_id_x 1
		.amdhsa_system_sgpr_workgroup_id_y 1
		.amdhsa_system_sgpr_workgroup_id_z 1
		.amdhsa_system_sgpr_workgroup_info 0
		.amdhsa_system_vgpr_workitem_id 0
		.amdhsa_next_free_vgpr 124
		.amdhsa_next_free_sgpr 40
		.amdhsa_reserve_vcc 1
		.amdhsa_float_round_mode_32 0
		.amdhsa_float_round_mode_16_64 0
		.amdhsa_float_denorm_mode_32 3
		.amdhsa_float_denorm_mode_16_64 3
		.amdhsa_dx10_clamp 1
		.amdhsa_ieee_mode 1
		.amdhsa_fp16_overflow 0
		.amdhsa_workgroup_processor_mode 1
		.amdhsa_memory_ordered 1
		.amdhsa_forward_progress 0
		.amdhsa_shared_vgpr_count 0
		.amdhsa_exception_fp_ieee_invalid_op 0
		.amdhsa_exception_fp_denorm_src 0
		.amdhsa_exception_fp_ieee_div_zero 0
		.amdhsa_exception_fp_ieee_overflow 0
		.amdhsa_exception_fp_ieee_underflow 0
		.amdhsa_exception_fp_ieee_inexact 0
		.amdhsa_exception_int_div_zero 0
	.end_amdhsa_kernel
	.section	.text._Z39paged_attention_ll4mi_QKV_mfma16_kernelI14__hip_bfloat16hLN4vllm18Fp8KVCacheDataTypeE1EhLi16ELi64ELi256ELb0ELi11EL8MFMAType0EEvPKT_PKT0_S9_ifPKiSB_SB_iPKfiiiPfSE_PS4_PT2_iSD_SD_,"axG",@progbits,_Z39paged_attention_ll4mi_QKV_mfma16_kernelI14__hip_bfloat16hLN4vllm18Fp8KVCacheDataTypeE1EhLi16ELi64ELi256ELb0ELi11EL8MFMAType0EEvPKT_PKT0_S9_ifPKiSB_SB_iPKfiiiPfSE_PS4_PT2_iSD_SD_,comdat
.Lfunc_end1688:
	.size	_Z39paged_attention_ll4mi_QKV_mfma16_kernelI14__hip_bfloat16hLN4vllm18Fp8KVCacheDataTypeE1EhLi16ELi64ELi256ELb0ELi11EL8MFMAType0EEvPKT_PKT0_S9_ifPKiSB_SB_iPKfiiiPfSE_PS4_PT2_iSD_SD_, .Lfunc_end1688-_Z39paged_attention_ll4mi_QKV_mfma16_kernelI14__hip_bfloat16hLN4vllm18Fp8KVCacheDataTypeE1EhLi16ELi64ELi256ELb0ELi11EL8MFMAType0EEvPKT_PKT0_S9_ifPKiSB_SB_iPKfiiiPfSE_PS4_PT2_iSD_SD_
                                        ; -- End function
	.section	.AMDGPU.csdata,"",@progbits
; Kernel info:
; codeLenInByte = 8856
; NumSgprs: 42
; NumVgprs: 124
; ScratchSize: 0
; MemoryBound: 0
; FloatMode: 240
; IeeeMode: 1
; LDSByteSize: 17472 bytes/workgroup (compile time only)
; SGPRBlocks: 5
; VGPRBlocks: 15
; NumSGPRsForWavesPerEU: 42
; NumVGPRsForWavesPerEU: 124
; Occupancy: 10
; WaveLimiterHint : 1
; COMPUTE_PGM_RSRC2:SCRATCH_EN: 0
; COMPUTE_PGM_RSRC2:USER_SGPR: 13
; COMPUTE_PGM_RSRC2:TRAP_HANDLER: 0
; COMPUTE_PGM_RSRC2:TGID_X_EN: 1
; COMPUTE_PGM_RSRC2:TGID_Y_EN: 1
; COMPUTE_PGM_RSRC2:TGID_Z_EN: 1
; COMPUTE_PGM_RSRC2:TIDIG_COMP_CNT: 0
	.section	.text._Z39paged_attention_ll4mi_QKV_mfma16_kernelI14__hip_bfloat16hLN4vllm18Fp8KVCacheDataTypeE1EhLi16ELi64ELi256ELb0ELi12EL8MFMAType0EEvPKT_PKT0_S9_ifPKiSB_SB_iPKfiiiPfSE_PS4_PT2_iSD_SD_,"axG",@progbits,_Z39paged_attention_ll4mi_QKV_mfma16_kernelI14__hip_bfloat16hLN4vllm18Fp8KVCacheDataTypeE1EhLi16ELi64ELi256ELb0ELi12EL8MFMAType0EEvPKT_PKT0_S9_ifPKiSB_SB_iPKfiiiPfSE_PS4_PT2_iSD_SD_,comdat
	.protected	_Z39paged_attention_ll4mi_QKV_mfma16_kernelI14__hip_bfloat16hLN4vllm18Fp8KVCacheDataTypeE1EhLi16ELi64ELi256ELb0ELi12EL8MFMAType0EEvPKT_PKT0_S9_ifPKiSB_SB_iPKfiiiPfSE_PS4_PT2_iSD_SD_ ; -- Begin function _Z39paged_attention_ll4mi_QKV_mfma16_kernelI14__hip_bfloat16hLN4vllm18Fp8KVCacheDataTypeE1EhLi16ELi64ELi256ELb0ELi12EL8MFMAType0EEvPKT_PKT0_S9_ifPKiSB_SB_iPKfiiiPfSE_PS4_PT2_iSD_SD_
	.globl	_Z39paged_attention_ll4mi_QKV_mfma16_kernelI14__hip_bfloat16hLN4vllm18Fp8KVCacheDataTypeE1EhLi16ELi64ELi256ELb0ELi12EL8MFMAType0EEvPKT_PKT0_S9_ifPKiSB_SB_iPKfiiiPfSE_PS4_PT2_iSD_SD_
	.p2align	8
	.type	_Z39paged_attention_ll4mi_QKV_mfma16_kernelI14__hip_bfloat16hLN4vllm18Fp8KVCacheDataTypeE1EhLi16ELi64ELi256ELb0ELi12EL8MFMAType0EEvPKT_PKT0_S9_ifPKiSB_SB_iPKfiiiPfSE_PS4_PT2_iSD_SD_,@function
_Z39paged_attention_ll4mi_QKV_mfma16_kernelI14__hip_bfloat16hLN4vllm18Fp8KVCacheDataTypeE1EhLi16ELi64ELi256ELb0ELi12EL8MFMAType0EEvPKT_PKT0_S9_ifPKiSB_SB_iPKfiiiPfSE_PS4_PT2_iSD_SD_: ; @_Z39paged_attention_ll4mi_QKV_mfma16_kernelI14__hip_bfloat16hLN4vllm18Fp8KVCacheDataTypeE1EhLi16ELi64ELi256ELb0ELi12EL8MFMAType0EEvPKT_PKT0_S9_ifPKiSB_SB_iPKfiiiPfSE_PS4_PT2_iSD_SD_
; %bb.0:
	s_load_b64 s[2:3], s[0:1], 0x30
	s_mov_b32 s30, s13
	s_waitcnt lgkmcnt(0)
	s_cmp_lg_u64 s[2:3], 0
	s_cselect_b32 s8, -1, 0
	s_ashr_i32 s31, s13, 31
	s_cmp_eq_u64 s[2:3], 0
	s_cbranch_scc1 .LBB1689_3
; %bb.1:
	s_lshl_b64 s[4:5], s[30:31], 2
	s_delay_alu instid0(SALU_CYCLE_1) | instskip(SKIP_4) | instid1(SALU_CYCLE_1)
	s_add_u32 s4, s2, s4
	s_addc_u32 s5, s3, s5
	s_load_b64 s[4:5], s[4:5], 0x0
	s_waitcnt lgkmcnt(0)
	s_sub_i32 s4, s5, s4
	s_cmp_eq_u32 s4, 1
	s_cselect_b32 s4, -1, 0
	s_delay_alu instid0(SALU_CYCLE_1)
	s_and_not1_b32 vcc_lo, exec_lo, s4
	s_cbranch_vccz .LBB1689_4
.LBB1689_2:
	s_endpgm
.LBB1689_3:
.LBB1689_4:
	s_load_b64 s[4:5], s[0:1], 0x28
	s_lshl_b64 s[6:7], s[30:31], 2
	s_waitcnt lgkmcnt(0)
	s_add_u32 s4, s4, s6
	s_addc_u32 s5, s5, s7
	s_lshl_b32 s12, s14, 8
	s_load_b32 s24, s[4:5], 0x0
	s_waitcnt lgkmcnt(0)
	s_cmp_ge_i32 s12, s24
	s_cbranch_scc1 .LBB1689_2
; %bb.5:
	s_clause 0x1
	s_load_b128 s[20:23], s[0:1], 0x8
	s_load_b64 s[4:5], s[0:1], 0x20
	s_and_not1_b32 vcc_lo, exec_lo, s8
	s_cbranch_vccnz .LBB1689_7
; %bb.6:
	s_add_u32 s2, s2, s6
	s_addc_u32 s3, s3, s7
	s_load_b32 s3, s[2:3], 0x0
	s_branch .LBB1689_8
.LBB1689_7:
	s_mov_b32 s3, s30
.LBB1689_8:
	s_load_b128 s[16:19], s[0:1], 0x48
	v_and_b32_e32 v65, 15, v0
	v_cmp_gt_u32_e32 vcc_lo, 0xc0, v0
	v_lshrrev_b32_e32 v66, 5, v0
	v_and_b32_e32 v67, 31, v0
	v_and_b32_e32 v75, 1, v0
	v_lshlrev_b32_e32 v1, 3, v65
	v_cmp_gt_u32_e64 s2, 8, v65
	v_bfe_u32 v74, v0, 4, 1
	s_mul_i32 s31, s15, 12
	s_delay_alu instid0(VALU_DEP_3) | instskip(NEXT) | instid1(VALU_DEP_3)
	v_lshlrev_b32_e32 v73, 1, v1
	s_and_b32 s7, vcc_lo, s2
	s_delay_alu instid0(SALU_CYCLE_1)
	s_and_saveexec_b32 s6, s7
	s_cbranch_execz .LBB1689_10
; %bb.9:
	s_load_b64 s[8:9], s[0:1], 0x0
	v_lshl_or_b32 v5, v66, 1, v74
	s_waitcnt lgkmcnt(0)
	s_mul_hi_i32 s11, s3, s16
	s_mul_i32 s10, s3, s16
	v_lshlrev_b32_e32 v6, 10, v65
	s_lshl_b64 s[10:11], s[10:11], 1
	v_add_lshl_u32 v1, v5, s31, 6
	v_lshlrev_b32_e32 v5, 6, v5
	v_lshlrev_b32_e32 v7, 10, v75
	v_and_b32_e32 v6, 0x3800, v6
	s_delay_alu instid0(VALU_DEP_4) | instskip(NEXT) | instid1(VALU_DEP_2)
	v_ashrrev_i32_e32 v2, 31, v1
	v_or3_b32 v5, v6, v7, v5
	s_delay_alu instid0(VALU_DEP_2) | instskip(SKIP_2) | instid1(VALU_DEP_1)
	v_lshlrev_b64 v[1:2], 1, v[1:2]
	s_add_u32 s3, s8, s10
	s_addc_u32 s7, s9, s11
	v_add_co_u32 v1, vcc_lo, s3, v1
	s_delay_alu instid0(VALU_DEP_2) | instskip(NEXT) | instid1(VALU_DEP_2)
	v_add_co_ci_u32_e32 v2, vcc_lo, s7, v2, vcc_lo
	v_add_co_u32 v1, vcc_lo, v1, v73
	s_delay_alu instid0(VALU_DEP_2)
	v_add_co_ci_u32_e32 v2, vcc_lo, 0, v2, vcc_lo
	global_load_b128 v[1:4], v[1:2], off
	s_waitcnt vmcnt(0)
	ds_store_b128 v5, v[1:4]
.LBB1689_10:
	s_or_b32 exec_lo, exec_lo, s6
	v_and_b32_e32 v1, 0xef, v0
	s_waitcnt lgkmcnt(0)
	s_add_i32 s3, s24, 15
	s_clause 0x1
	s_load_b32 s6, s[0:1], 0x38
	s_load_b32 s19, s[0:1], 0x1c
	s_ashr_i32 s7, s3, 31
	v_add_nc_u32_e32 v1, s12, v1
	s_lshr_b32 s7, s7, 28
	s_waitcnt lgkmcnt(0)
	s_add_i32 s3, s3, s7
	s_barrier
	v_ashrrev_i32_e32 v2, 31, v1
	v_or_b32_e32 v3, 16, v1
	s_ashr_i32 s3, s3, 4
	v_cmp_gt_i32_e32 vcc_lo, s24, v1
	s_add_i32 s3, s3, -1
	v_lshrrev_b32_e32 v2, 28, v2
	buffer_gl0_inv
	s_mul_i32 s27, s15, s18
	v_add_nc_u32_e32 v4, v1, v2
	s_mul_i32 s6, s30, s6
	s_delay_alu instid0(SALU_CYCLE_1) | instskip(NEXT) | instid1(VALU_DEP_1)
	s_ashr_i32 s7, s6, 31
	v_ashrrev_i32_e32 v4, 4, v4
	v_add_nc_u32_e32 v2, v3, v2
	s_lshl_b64 s[6:7], s[6:7], 2
	s_delay_alu instid0(SALU_CYCLE_1) | instskip(NEXT) | instid1(VALU_DEP_2)
	s_add_u32 s26, s4, s6
	v_cndmask_b32_e32 v1, s3, v4, vcc_lo
	s_delay_alu instid0(VALU_DEP_2)
	v_ashrrev_i32_e32 v2, 4, v2
	v_cmp_gt_i32_e32 vcc_lo, s24, v3
	s_addc_u32 s25, s5, s7
	s_ashr_i32 s28, s27, 31
	s_add_u32 s13, s20, s27
	s_addc_u32 s15, s21, s28
	v_cndmask_b32_e32 v3, s3, v2, vcc_lo
	v_ashrrev_i32_e32 v2, 31, v1
	s_lshl_b32 s4, s14, 4
	s_delay_alu instid0(SALU_CYCLE_1) | instskip(NEXT) | instid1(VALU_DEP_2)
	s_ashr_i32 s5, s4, 31
	v_ashrrev_i32_e32 v4, 31, v3
	s_delay_alu instid0(VALU_DEP_2) | instskip(SKIP_1) | instid1(SALU_CYCLE_1)
	v_lshlrev_b64 v[1:2], 2, v[1:2]
	s_lshl_b64 s[4:5], s[4:5], 2
	s_add_u32 s4, s26, s4
	s_delay_alu instid0(VALU_DEP_2) | instskip(SKIP_1) | instid1(VALU_DEP_2)
	v_lshlrev_b64 v[3:4], 2, v[3:4]
	s_addc_u32 s5, s25, s5
	v_add_co_u32 v1, vcc_lo, s26, v1
	v_add_co_ci_u32_e32 v2, vcc_lo, s25, v2, vcc_lo
	s_delay_alu instid0(VALU_DEP_3) | instskip(NEXT) | instid1(VALU_DEP_4)
	v_add_co_u32 v3, vcc_lo, s26, v3
	v_add_co_ci_u32_e32 v4, vcc_lo, s25, v4, vcc_lo
	s_clause 0x1
	global_load_b32 v5, v[1:2], off
	global_load_b32 v7, v[3:4], off
	s_or_b32 s6, s12, 32
	v_lshlrev_b32_e32 v1, 4, v0
	s_ashr_i32 s7, s6, 4
	s_cmp_lt_i32 s6, s24
	v_cmp_gt_u32_e32 vcc_lo, 12, v65
	s_cselect_b32 s6, s7, s3
	v_and_b32_e32 v1, 0xf0, v1
	s_ashr_i32 s7, s6, 31
	s_delay_alu instid0(SALU_CYCLE_1) | instskip(NEXT) | instid1(SALU_CYCLE_1)
	s_lshl_b64 s[6:7], s[6:7], 2
	s_add_u32 s6, s26, s6
	s_addc_u32 s7, s25, s7
	s_or_b32 s8, s12, 64
	v_add_co_u32 v1, s13, s13, v1
	s_ashr_i32 s9, s8, 4
	s_cmp_lt_i32 s8, s24
	v_add_co_ci_u32_e64 v2, null, s15, 0, s13
	s_cselect_b32 s8, s9, s3
	s_delay_alu instid0(SALU_CYCLE_1) | instskip(NEXT) | instid1(SALU_CYCLE_1)
	s_ashr_i32 s9, s8, 31
	s_lshl_b64 s[8:9], s[8:9], 2
	s_delay_alu instid0(SALU_CYCLE_1) | instskip(SKIP_2) | instid1(SALU_CYCLE_1)
	s_add_u32 s8, s26, s8
	s_addc_u32 s9, s25, s9
	s_or_b32 s10, s12, 0x60
	s_ashr_i32 s11, s10, 4
	s_cmp_lt_i32 s10, s24
	s_cselect_b32 s10, s11, s3
	s_delay_alu instid0(SALU_CYCLE_1) | instskip(NEXT) | instid1(SALU_CYCLE_1)
	s_ashr_i32 s11, s10, 31
	s_lshl_b64 s[10:11], s[10:11], 2
	s_delay_alu instid0(SALU_CYCLE_1) | instskip(SKIP_2) | instid1(SALU_CYCLE_1)
	s_add_u32 s10, s26, s10
	s_addc_u32 s11, s25, s11
	s_or_b32 s16, s12, 0x80
	s_ashr_i32 s18, s16, 4
	s_cmp_lt_i32 s16, s24
	;; [unrolled: 10-line block ×3, first 2 shown]
	s_cselect_b32 s20, s18, s3
	s_delay_alu instid0(SALU_CYCLE_1) | instskip(NEXT) | instid1(SALU_CYCLE_1)
	s_ashr_i32 s21, s20, 31
	s_lshl_b64 s[20:21], s[20:21], 2
	s_delay_alu instid0(SALU_CYCLE_1)
	s_add_u32 s36, s26, s20
	s_addc_u32 s37, s25, s21
	s_clause 0x5
	s_load_b32 s21, s[4:5], 0x0
	s_load_b32 s13, s[6:7], 0x0
	;; [unrolled: 1-line block ×6, first 2 shown]
	s_or_b32 s8, s12, 0xc0
	s_mov_b32 s4, 0
	s_ashr_i32 s9, s8, 4
	s_cmp_lt_i32 s8, s24
	s_mov_b32 s11, s4
	s_cselect_b32 s34, s9, s3
	s_mov_b32 s5, s4
	s_ashr_i32 s35, s34, 31
	s_mov_b32 s6, s4
	s_lshl_b64 s[34:35], s[34:35], 2
	s_mov_b32 s7, s4
	s_add_u32 s34, s26, s34
	s_addc_u32 s35, s25, s35
	s_or_b32 s29, s12, 0xe0
	s_mov_b32 s8, s4
	s_ashr_i32 s33, s29, 4
	s_mov_b32 s9, s4
	s_mov_b32 s10, s4
	s_cmp_lt_i32 s29, s24
	v_dual_mov_b32 v107, s11 :: v_dual_mov_b32 v100, s4
	v_mov_b32_e32 v106, s10
	v_dual_mov_b32 v104, s8 :: v_dual_mov_b32 v103, s7
	v_dual_mov_b32 v102, s6 :: v_dual_mov_b32 v101, s5
	s_waitcnt vmcnt(1)
	v_mad_i64_i32 v[3:4], null, v5, s17, v[1:2]
	s_waitcnt vmcnt(0)
	v_mad_i64_i32 v[5:6], null, v7, s17, v[1:2]
	v_add_nc_u32_e32 v1, -12, v65
	v_lshlrev_b32_e32 v2, 4, v65
	s_clause 0x7
	global_load_b128 v[49:52], v[3:4], off
	global_load_b128 v[53:56], v[3:4], off offset:256
	global_load_b128 v[76:79], v[5:6], off
	global_load_b128 v[80:83], v[5:6], off offset:256
	global_load_b128 v[84:87], v[3:4], off offset:512
	;; [unrolled: 1-line block ×5, first 2 shown]
	v_cndmask_b32_e32 v1, v1, v65, vcc_lo
	v_mov_b32_e32 v105, s9
	s_cselect_b32 s4, s33, s3
	v_lshl_or_b32 v2, v66, 8, v2
	s_ashr_i32 s5, s4, 31
	v_lshlrev_b32_e32 v70, 6, v1
	s_lshl_b64 s[4:5], s[4:5], 2
	s_load_b32 s3, s[34:35], 0x0
	s_add_u32 s4, s26, s4
	s_addc_u32 s5, s25, s5
	ds_load_b128 v[108:111], v70
	ds_load_b128 v[112:115], v70 offset:1024
	s_load_b32 s4, s[4:5], 0x0
	s_add_u32 s6, s22, s27
	s_addc_u32 s7, s23, s28
	v_add_co_u32 v9, s6, s6, v2
	s_delay_alu instid0(VALU_DEP_1) | instskip(SKIP_1) | instid1(VALU_DEP_1)
	v_add_co_ci_u32_e64 v10, null, s7, 0, s6
	s_waitcnt lgkmcnt(0)
	v_mad_i64_i32 v[1:2], null, s21, s17, v[9:10]
	v_mad_i64_i32 v[3:4], null, s13, s17, v[9:10]
	;; [unrolled: 1-line block ×7, first 2 shown]
	s_clause 0x9
	global_load_b128 v[57:60], v[1:2], off
	global_load_b128 v[61:64], v[1:2], off offset:16
	global_load_b128 v[41:44], v[3:4], off
	global_load_b128 v[45:48], v[3:4], off offset:16
	;; [unrolled: 2-line block ×5, first 2 shown]
	v_mad_i64_i32 v[68:69], null, s4, s17, v[9:10]
	s_clause 0x3
	global_load_b128 v[9:12], v[13:14], off
	global_load_b128 v[13:16], v[13:14], off offset:16
	global_load_b128 v[17:20], v[21:22], off
	global_load_b128 v[21:24], v[21:22], off offset:16
	s_waitcnt vmcnt(20)
	v_wmma_f32_16x16x16_bf16 v[116:123], v[49:56], v[108:115], v[100:107]
	s_clause 0x1
	global_load_b128 v[49:52], v[68:69], off
	global_load_b128 v[53:56], v[68:69], off offset:16
	v_and_b32_e32 v68, 0xe0, v0
	v_mbcnt_lo_u32_b32 v69, -1, 0
	s_delay_alu instid0(VALU_DEP_2)
	v_add_nc_u32_e32 v68, s12, v68
	s_waitcnt vmcnt(20)
	v_wmma_f32_16x16x16_bf16 v[100:107], v[76:83], v[108:115], v[100:107]
	ds_load_b128 v[76:79], v70 offset:2048
	ds_load_b128 v[80:83], v70 offset:3072
	v_xor_b32_e32 v70, 16, v69
	s_waitcnt vmcnt(0) lgkmcnt(0)
	v_or_b32_e32 v68, v68, v74
	s_barrier
	buffer_gl0_inv
	v_cmp_gt_i32_e32 vcc_lo, 32, v70
	v_or_b32_e32 v71, 4, v68
	v_or_b32_e32 v72, 6, v68
	v_cmp_gt_i32_e64 s3, s24, v68
	v_or_b32_e32 v108, 8, v68
	v_or_b32_e32 v109, 10, v68
	v_cmp_gt_i32_e64 s4, s24, v71
	v_cmp_gt_i32_e64 s5, s24, v72
	s_delay_alu instid0(VALU_DEP_4) | instskip(NEXT) | instid1(VALU_DEP_4)
	v_cmp_gt_i32_e64 s6, s24, v108
	v_cmp_gt_i32_e64 s7, s24, v109
	v_wmma_f32_16x16x16_bf16 v[116:123], v[84:91], v[76:83], v[116:123]
	v_cndmask_b32_e32 v69, v69, v70, vcc_lo
	v_or_b32_e32 v70, 2, v68
	v_wmma_f32_16x16x16_bf16 v[100:107], v[92:99], v[76:83], v[100:107]
	v_or_b32_e32 v89, 22, v68
	v_dual_mul_f32 v82, s19, v119 :: v_dual_mul_f32 v79, s19, v122
	v_dual_mul_f32 v92, s19, v117 :: v_dual_mul_f32 v93, s19, v116
	s_delay_alu instid0(VALU_DEP_4) | instskip(SKIP_2) | instid1(VALU_DEP_4)
	v_mul_f32_e32 v98, s19, v103
	v_cmp_gt_i32_e32 vcc_lo, s24, v70
	v_dual_mul_f32 v83, s19, v118 :: v_dual_mul_f32 v96, s19, v105
	v_cndmask_b32_e64 v93, 0xff7fffff, v93, s3
	v_or_b32_e32 v84, 12, v68
	v_cndmask_b32_e32 v92, 0xff7fffff, v92, vcc_lo
	v_or_b32_e32 v85, 14, v68
	v_dual_mul_f32 v80, s19, v121 :: v_dual_mul_f32 v81, s19, v120
	v_mul_f32_e32 v94, s19, v107
	v_cndmask_b32_e64 v71, 0xff7fffff, v83, s4
	v_cndmask_b32_e64 v72, 0xff7fffff, v82, s5
	v_cmp_gt_i32_e64 s13, s24, v89
	v_lshlrev_b32_e32 v89, 2, v69
	v_max3_f32 v82, v93, 0xff7fffff, v92
	v_or_b32_e32 v86, 16, v68
	v_or_b32_e32 v87, 18, v68
	v_mul_f32_e32 v78, s19, v123
	v_cndmask_b32_e64 v81, 0xff7fffff, v81, s6
	v_cndmask_b32_e64 v80, 0xff7fffff, v80, s7
	v_max3_f32 v71, v82, v71, v72
	v_cmp_gt_i32_e64 s8, s24, v84
	v_cmp_gt_i32_e64 s9, s24, v85
	v_or_b32_e32 v88, 20, v68
	v_or_b32_e32 v90, 24, v68
	;; [unrolled: 1-line block ×5, first 2 shown]
	v_dual_mul_f32 v95, s19, v106 :: v_dual_mul_f32 v70, s19, v101
	v_dual_mul_f32 v99, s19, v102 :: v_dual_mul_f32 v68, s19, v100
	v_cndmask_b32_e64 v72, 0xff7fffff, v79, s8
	v_cndmask_b32_e64 v78, 0xff7fffff, v78, s9
	v_max3_f32 v71, v71, v81, v80
	v_cmp_gt_i32_e64 s10, s24, v86
	v_cmp_gt_i32_e64 s11, s24, v87
	;; [unrolled: 1-line block ×3, first 2 shown]
	v_mul_f32_e32 v97, s19, v104
	v_max3_f32 v71, v71, v72, v78
	v_cndmask_b32_e64 v68, 0xff7fffff, v68, s10
	v_cndmask_b32_e64 v70, 0xff7fffff, v70, s11
	;; [unrolled: 1-line block ×4, first 2 shown]
	v_cmp_gt_i32_e64 s15, s24, v90
	v_cmp_gt_i32_e64 s16, s24, v91
	v_max3_f32 v68, v71, v68, v70
	v_cmp_gt_i32_e64 s17, s24, v76
	v_cmp_gt_i32_e64 s18, s24, v77
	v_cndmask_b32_e64 v70, 0xff7fffff, v97, s15
	v_cndmask_b32_e64 v71, 0xff7fffff, v96, s16
	v_max3_f32 v68, v68, v72, v78
	v_cndmask_b32_e64 v72, 0xff7fffff, v95, s17
	v_cndmask_b32_e64 v76, 0xff7fffff, v94, s18
	s_delay_alu instid0(VALU_DEP_3) | instskip(NEXT) | instid1(VALU_DEP_1)
	v_max3_f32 v68, v68, v70, v71
	v_max3_f32 v68, v68, v72, v76
	ds_bpermute_b32 v69, v89, v68
	s_waitcnt lgkmcnt(0)
	v_max_f32_e32 v69, v69, v69
	s_delay_alu instid0(VALU_DEP_1) | instskip(NEXT) | instid1(VALU_DEP_1)
	v_max_f32_e32 v68, v68, v69
	v_fma_f32 v69, s19, v116, -v68
	v_fma_f32 v70, s19, v117, -v68
	;; [unrolled: 1-line block ×5, first 2 shown]
	s_delay_alu instid0(VALU_DEP_4) | instskip(NEXT) | instid1(VALU_DEP_4)
	v_dual_mul_f32 v69, 0x3fb8aa3b, v69 :: v_dual_mul_f32 v70, 0x3fb8aa3b, v70
	v_mul_f32_e32 v72, 0x3fb8aa3b, v72
	v_fma_f32 v78, s19, v122, -v68
	s_delay_alu instid0(VALU_DEP_4) | instskip(NEXT) | instid1(VALU_DEP_4)
	v_mul_f32_e32 v77, 0x3fb8aa3b, v76
	v_exp_f32_e32 v69, v69
	v_exp_f32_e32 v70, v70
	v_mul_f32_e32 v71, 0x3fb8aa3b, v71
	v_exp_f32_e32 v72, v72
	v_mul_f32_e32 v78, 0x3fb8aa3b, v78
	v_exp_f32_e32 v77, v77
	v_fma_f32 v81, s19, v105, -v68
	s_delay_alu instid0(VALU_DEP_2)
	v_exp_f32_e32 v78, v78
	v_cndmask_b32_e64 v80, 0, v69, s3
	v_cndmask_b32_e32 v76, 0, v70, vcc_lo
	v_exp_f32_e32 v71, v71
	v_fma_f32 v69, s19, v121, -v68
	v_cndmask_b32_e64 v85, 0, v72, s5
	v_add_f32_e32 v70, 0, v80
	s_delay_alu instid0(TRANS32_DEP_3)
	v_cndmask_b32_e64 v86, 0, v77, s6
	v_fma_f32 v77, s19, v101, -v68
	v_mul_f32_e32 v69, 0x3fb8aa3b, v69
	v_fma_f32 v72, s19, v100, -v68
	v_cndmask_b32_e64 v84, 0, v78, s8
	v_fma_f32 v78, s19, v103, -v68
	v_cndmask_b32_e64 v83, 0, v71, s4
	v_fma_f32 v71, s19, v123, -v68
	v_add_f32_e32 v70, v70, v76
	v_exp_f32_e32 v69, v69
	v_mul_f32_e32 v77, 0x3fb8aa3b, v77
	v_mul_f32_e32 v81, 0x3fb8aa3b, v81
	;; [unrolled: 1-line block ×3, first 2 shown]
	v_add_f32_e32 v70, v70, v83
	s_mov_b32 s3, exec_lo
	v_exp_f32_e32 v77, v77
	v_exp_f32_e32 v81, v81
	;; [unrolled: 1-line block ×3, first 2 shown]
	v_cndmask_b32_e64 v87, 0, v69, s7
	v_add_f32_e32 v70, v70, v85
	s_delay_alu instid0(VALU_DEP_1) | instskip(SKIP_1) | instid1(VALU_DEP_2)
	v_dual_mul_f32 v72, 0x3fb8aa3b, v72 :: v_dual_add_f32 v69, v70, v86
	v_fma_f32 v70, s19, v102, -v68
	v_exp_f32_e32 v72, v72
	s_waitcnt_depctr 0xfff
	v_cndmask_b32_e64 v88, 0, v71, s9
	v_fma_f32 v71, s19, v104, -v68
	v_dual_add_f32 v69, v69, v87 :: v_dual_mul_f32 v70, 0x3fb8aa3b, v70
	s_delay_alu instid0(VALU_DEP_2) | instskip(NEXT) | instid1(VALU_DEP_2)
	v_dual_mul_f32 v78, 0x3fb8aa3b, v78 :: v_dual_mul_f32 v71, 0x3fb8aa3b, v71
	v_add_f32_e32 v69, v69, v84
	s_delay_alu instid0(VALU_DEP_3) | instskip(SKIP_1) | instid1(VALU_DEP_3)
	v_exp_f32_e32 v79, v70
	v_cndmask_b32_e64 v70, 0, v72, s10
	v_exp_f32_e32 v78, v78
	v_exp_f32_e32 v82, v71
	v_add_f32_e32 v72, v69, v88
	v_cndmask_b32_e64 v69, 0, v77, s11
	v_fma_f32 v77, s19, v106, -v68
	s_delay_alu instid0(VALU_DEP_3) | instskip(NEXT) | instid1(TRANS32_DEP_3)
	v_add_f32_e32 v72, v72, v70
	v_cndmask_b32_e64 v71, 0, v79, s12
	s_delay_alu instid0(VALU_DEP_3) | instskip(NEXT) | instid1(VALU_DEP_3)
	v_mul_f32_e32 v77, 0x3fb8aa3b, v77
	v_add_f32_e32 v79, v72, v69
	s_delay_alu instid0(TRANS32_DEP_2) | instskip(NEXT) | instid1(VALU_DEP_3)
	v_cndmask_b32_e64 v72, 0, v78, s13
	v_exp_f32_e32 v90, v77
	v_cndmask_b32_e64 v77, 0, v82, s15
	s_delay_alu instid0(VALU_DEP_3) | instskip(SKIP_1) | instid1(VALU_DEP_1)
	v_add_f32_e32 v78, v79, v71
	v_fma_f32 v79, s19, v107, -v68
	v_dual_add_f32 v82, v78, v72 :: v_dual_mul_f32 v79, 0x3fb8aa3b, v79
	v_cndmask_b32_e64 v78, 0, v81, s16
	s_delay_alu instid0(VALU_DEP_2) | instskip(NEXT) | instid1(VALU_DEP_3)
	v_add_f32_e32 v81, v82, v77
	v_exp_f32_e32 v82, v79
	s_delay_alu instid0(TRANS32_DEP_2) | instskip(NEXT) | instid1(VALU_DEP_2)
	v_cndmask_b32_e64 v79, 0, v90, s17
	v_add_f32_e32 v81, v81, v78
	s_delay_alu instid0(VALU_DEP_1) | instskip(SKIP_2) | instid1(VALU_DEP_1)
	v_add_f32_e32 v90, v81, v79
	s_waitcnt_depctr 0xfff
	v_cndmask_b32_e64 v81, 0, v82, s18
	v_add_f32_e32 v82, v90, v81
	ds_bpermute_b32 v89, v89, v82
	v_cmpx_gt_u32_e32 16, v67
	s_cbranch_execz .LBB1689_12
; %bb.11:
	v_mul_u32_u24_e32 v67, 0x44, v66
	s_delay_alu instid0(VALU_DEP_1) | instskip(SKIP_1) | instid1(VALU_DEP_1)
	v_lshl_add_u32 v67, v65, 2, v67
	s_waitcnt lgkmcnt(0)
	v_dual_add_f32 v82, v82, v89 :: v_dual_add_nc_u32 v67, 0x4000, v67
	ds_store_2addr_b32 v67, v68, v82 offset1:136
.LBB1689_12:
	s_or_b32 exec_lo, exec_lo, s3
	v_lshlrev_b32_e32 v67, 2, v65
	s_waitcnt lgkmcnt(0)
	s_barrier
	buffer_gl0_inv
	v_cmp_eq_u32_e32 vcc_lo, 1, v66
	v_add_nc_u32_e32 v82, 0x4000, v67
	v_cmp_eq_u32_e64 s3, 2, v66
	v_cmp_eq_u32_e64 s5, 7, v66
	ds_load_2addr_b32 v[89:90], v82 offset1:17
	ds_load_2addr_b32 v[91:92], v82 offset0:34 offset1:51
	ds_load_2addr_b32 v[93:94], v82 offset0:68 offset1:85
	;; [unrolled: 1-line block ×4, first 2 shown]
	s_waitcnt lgkmcnt(4)
	v_max3_f32 v67, v89, 0xff7fffff, v90
	s_waitcnt lgkmcnt(3)
	s_delay_alu instid0(VALU_DEP_1) | instskip(SKIP_1) | instid1(VALU_DEP_1)
	v_max3_f32 v67, v67, v91, v92
	s_waitcnt lgkmcnt(2)
	v_max3_f32 v67, v67, v93, v94
	s_waitcnt lgkmcnt(1)
	s_delay_alu instid0(VALU_DEP_1) | instskip(NEXT) | instid1(VALU_DEP_1)
	v_max3_f32 v67, v67, v95, v96
	v_sub_f32_e32 v93, v93, v67
	s_delay_alu instid0(VALU_DEP_1) | instskip(NEXT) | instid1(VALU_DEP_1)
	v_dual_sub_f32 v68, v89, v67 :: v_dual_mul_f32 v103, 0x3fb8aa3b, v93
	v_mul_f32_e32 v68, 0x3fb8aa3b, v68
	s_delay_alu instid0(VALU_DEP_1)
	v_exp_f32_e32 v100, v68
	v_sub_f32_e32 v68, v92, v67
	v_sub_f32_e32 v99, v90, v67
	ds_load_2addr_b32 v[89:90], v82 offset0:170 offset1:187
	v_dual_mul_f32 v102, 0x3fb8aa3b, v68 :: v_dual_mul_f32 v99, 0x3fb8aa3b, v99
	s_waitcnt lgkmcnt(1)
	v_fma_f32 v68, v100, v97, 0
	s_delay_alu instid0(VALU_DEP_2) | instskip(NEXT) | instid1(VALU_DEP_2)
	v_exp_f32_e32 v102, v102
	v_exp_f32_e32 v99, v99
	s_waitcnt_depctr 0xfff
	v_fmac_f32_e32 v68, v99, v98
	v_sub_f32_e32 v91, v91, v67
	s_delay_alu instid0(VALU_DEP_1)
	v_mul_f32_e32 v101, 0x3fb8aa3b, v91
	ds_load_2addr_b32 v[91:92], v82 offset0:204 offset1:221
	v_sub_f32_e32 v97, v94, v67
	ds_load_2addr_b32 v[93:94], v82 offset0:238 offset1:255
	s_waitcnt lgkmcnt(0)
	v_exp_f32_e32 v101, v101
	s_barrier
	buffer_gl0_inv
	v_dual_fmac_f32 v68, v101, v89 :: v_dual_sub_f32 v89, v96, v67
	v_dual_sub_f32 v82, v95, v67 :: v_dual_mul_f32 v95, 0x3fb8aa3b, v97
	v_exp_f32_e32 v97, v103
	s_delay_alu instid0(VALU_DEP_2) | instskip(NEXT) | instid1(VALU_DEP_2)
	v_dual_fmac_f32 v68, v102, v90 :: v_dual_mul_f32 v89, 0x3fb8aa3b, v89
	v_mul_f32_e32 v82, 0x3fb8aa3b, v82
	s_delay_alu instid0(VALU_DEP_3) | instskip(NEXT) | instid1(VALU_DEP_2)
	v_exp_f32_e32 v95, v95
	v_exp_f32_e32 v89, v89
	s_delay_alu instid0(VALU_DEP_1)
	v_exp_f32_e32 v82, v82
	v_fmac_f32_e32 v68, v97, v91
	s_delay_alu instid0(TRANS32_DEP_3) | instid1(VALU_DEP_1)
	v_fmac_f32_e32 v68, v95, v92
	s_waitcnt_depctr 0xfff
	v_fmac_f32_e32 v68, v82, v93
	s_delay_alu instid0(VALU_DEP_1) | instskip(NEXT) | instid1(VALU_DEP_1)
	v_fmac_f32_e32 v68, v89, v94
	v_add_f32_e32 v90, 0x358637bd, v68
	s_delay_alu instid0(VALU_DEP_1) | instskip(NEXT) | instid1(VALU_DEP_1)
	v_div_scale_f32 v91, null, v90, v90, 1.0
	v_rcp_f32_e32 v92, v91
	s_waitcnt_depctr 0xfff
	v_fma_f32 v93, -v91, v92, 1.0
	s_delay_alu instid0(VALU_DEP_1) | instskip(SKIP_1) | instid1(VALU_DEP_2)
	v_dual_fmac_f32 v92, v93, v92 :: v_dual_cndmask_b32 v93, v100, v99
	v_cmp_eq_u32_e32 vcc_lo, 3, v66
	v_cndmask_b32_e64 v93, v93, v101, s3
	v_cmp_eq_u32_e64 s3, 4, v66
	s_delay_alu instid0(VALU_DEP_2) | instskip(SKIP_1) | instid1(VALU_DEP_2)
	v_cndmask_b32_e32 v93, v93, v102, vcc_lo
	v_cmp_eq_u32_e32 vcc_lo, 5, v66
	v_cndmask_b32_e64 v93, v93, v97, s3
	v_cmp_eq_u32_e64 s3, 6, v66
	s_delay_alu instid0(VALU_DEP_2) | instskip(SKIP_1) | instid1(VALU_DEP_1)
	v_cndmask_b32_e32 v93, v93, v95, vcc_lo
	v_div_scale_f32 v94, s4, 1.0, v90, 1.0
	s_mov_b32 vcc_lo, s4
	s_delay_alu instid0(VALU_DEP_2) | instskip(NEXT) | instid1(VALU_DEP_2)
	v_cndmask_b32_e64 v82, v93, v82, s3
	v_mul_f32_e32 v96, v94, v92
	s_mov_b32 s3, exec_lo
	s_delay_alu instid0(VALU_DEP_2) | instskip(NEXT) | instid1(VALU_DEP_2)
	v_cndmask_b32_e64 v82, v82, v89, s5
	v_fma_f32 v98, -v91, v96, v94
	s_delay_alu instid0(VALU_DEP_1) | instskip(NEXT) | instid1(VALU_DEP_1)
	v_fmac_f32_e32 v96, v98, v92
	v_fma_f32 v91, -v91, v96, v94
	s_delay_alu instid0(VALU_DEP_1) | instskip(NEXT) | instid1(VALU_DEP_1)
	v_div_fmas_f32 v91, v91, v92, v96
	v_div_fixup_f32 v90, v91, v90, 1.0
	s_delay_alu instid0(VALU_DEP_1) | instskip(NEXT) | instid1(VALU_DEP_1)
	v_mul_f32_e32 v82, v82, v90
	v_mul_f32_e32 v87, v82, v87
	;; [unrolled: 1-line block ×7, first 2 shown]
	v_dual_mul_f32 v86, v82, v83 :: v_dual_and_b32 v91, 0x7f800000, v90
	v_mul_f32_e32 v85, v82, v76
                                        ; implicit-def: $vgpr76
	s_delay_alu instid0(VALU_DEP_2)
	v_cmpx_ne_u32_e32 0x7f800000, v91
	s_xor_b32 s3, exec_lo, s3
; %bb.13:
	v_bfe_u32 v76, v90, 16, 1
	s_delay_alu instid0(VALU_DEP_1)
	v_add3_u32 v76, v90, v76, 0x7fff
                                        ; implicit-def: $vgpr90
; %bb.14:
	s_and_not1_saveexec_b32 s3, s3
; %bb.15:
	v_and_b32_e32 v76, 0xffff, v90
	v_or_b32_e32 v83, 0x10000, v90
	s_delay_alu instid0(VALU_DEP_2) | instskip(NEXT) | instid1(VALU_DEP_2)
	v_cmp_eq_u32_e32 vcc_lo, 0, v76
	v_cndmask_b32_e32 v76, v83, v90, vcc_lo
; %bb.16:
	s_or_b32 exec_lo, exec_lo, s3
	v_and_b32_e32 v83, 0x7f800000, v85
	s_delay_alu instid0(VALU_DEP_1) | instskip(SKIP_1) | instid1(SALU_CYCLE_1)
	v_cmp_ne_u32_e32 vcc_lo, 0x7f800000, v83
                                        ; implicit-def: $vgpr83
	s_and_saveexec_b32 s3, vcc_lo
	s_xor_b32 s3, exec_lo, s3
; %bb.17:
	v_bfe_u32 v83, v85, 16, 1
	s_delay_alu instid0(VALU_DEP_1)
	v_add3_u32 v83, v85, v83, 0x7fff
                                        ; implicit-def: $vgpr85
; %bb.18:
	s_and_not1_saveexec_b32 s3, s3
; %bb.19:
	v_and_b32_e32 v83, 0xffff, v85
	v_or_b32_e32 v90, 0x10000, v85
	s_delay_alu instid0(VALU_DEP_2) | instskip(NEXT) | instid1(VALU_DEP_2)
	v_cmp_eq_u32_e32 vcc_lo, 0, v83
	v_cndmask_b32_e32 v83, v90, v85, vcc_lo
; %bb.20:
	s_or_b32 exec_lo, exec_lo, s3
	v_and_b32_e32 v85, 0x7f800000, v86
	s_delay_alu instid0(VALU_DEP_1) | instskip(SKIP_1) | instid1(SALU_CYCLE_1)
	v_cmp_ne_u32_e32 vcc_lo, 0x7f800000, v85
                                        ; implicit-def: $vgpr85
	s_and_saveexec_b32 s3, vcc_lo
	s_xor_b32 s3, exec_lo, s3
; %bb.21:
	v_bfe_u32 v85, v86, 16, 1
	s_delay_alu instid0(VALU_DEP_1)
	v_add3_u32 v85, v86, v85, 0x7fff
                                        ; implicit-def: $vgpr86
; %bb.22:
	s_and_not1_saveexec_b32 s3, s3
; %bb.23:
	v_and_b32_e32 v85, 0xffff, v86
	v_or_b32_e32 v90, 0x10000, v86
	s_delay_alu instid0(VALU_DEP_2) | instskip(NEXT) | instid1(VALU_DEP_2)
	v_cmp_eq_u32_e32 vcc_lo, 0, v85
	v_cndmask_b32_e32 v85, v90, v86, vcc_lo
; %bb.24:
	s_or_b32 exec_lo, exec_lo, s3
	v_and_b32_e32 v86, 0x7f800000, v89
	s_delay_alu instid0(VALU_DEP_1) | instskip(SKIP_1) | instid1(SALU_CYCLE_1)
	v_cmp_ne_u32_e32 vcc_lo, 0x7f800000, v86
                                        ; implicit-def: $vgpr86
	s_and_saveexec_b32 s3, vcc_lo
	s_xor_b32 s3, exec_lo, s3
; %bb.25:
	v_bfe_u32 v86, v89, 16, 1
	s_delay_alu instid0(VALU_DEP_1)
	v_add3_u32 v86, v89, v86, 0x7fff
                                        ; implicit-def: $vgpr89
; %bb.26:
	s_and_not1_saveexec_b32 s3, s3
; %bb.27:
	v_and_b32_e32 v86, 0xffff, v89
	v_or_b32_e32 v90, 0x10000, v89
	s_delay_alu instid0(VALU_DEP_2) | instskip(NEXT) | instid1(VALU_DEP_2)
	v_cmp_eq_u32_e32 vcc_lo, 0, v86
	v_cndmask_b32_e32 v86, v90, v89, vcc_lo
; %bb.28:
	s_or_b32 exec_lo, exec_lo, s3
	v_and_b32_e32 v89, 0x7f800000, v88
	s_delay_alu instid0(VALU_DEP_1) | instskip(SKIP_1) | instid1(SALU_CYCLE_1)
	v_cmp_ne_u32_e32 vcc_lo, 0x7f800000, v89
                                        ; implicit-def: $vgpr89
	s_and_saveexec_b32 s3, vcc_lo
	s_xor_b32 s3, exec_lo, s3
; %bb.29:
	v_bfe_u32 v89, v88, 16, 1
	s_delay_alu instid0(VALU_DEP_1)
	v_add3_u32 v89, v88, v89, 0x7fff
                                        ; implicit-def: $vgpr88
; %bb.30:
	s_and_not1_saveexec_b32 s3, s3
; %bb.31:
	v_and_b32_e32 v89, 0xffff, v88
	v_or_b32_e32 v90, 0x10000, v88
	s_delay_alu instid0(VALU_DEP_2) | instskip(NEXT) | instid1(VALU_DEP_2)
	v_cmp_eq_u32_e32 vcc_lo, 0, v89
	v_cndmask_b32_e32 v89, v90, v88, vcc_lo
; %bb.32:
	s_or_b32 exec_lo, exec_lo, s3
	v_and_b32_e32 v88, 0x7f800000, v87
	s_delay_alu instid0(VALU_DEP_1) | instskip(SKIP_1) | instid1(SALU_CYCLE_1)
	v_cmp_ne_u32_e32 vcc_lo, 0x7f800000, v88
                                        ; implicit-def: $vgpr88
	s_and_saveexec_b32 s3, vcc_lo
	s_xor_b32 s3, exec_lo, s3
; %bb.33:
	v_bfe_u32 v88, v87, 16, 1
	s_delay_alu instid0(VALU_DEP_1)
	v_add3_u32 v88, v87, v88, 0x7fff
                                        ; implicit-def: $vgpr87
; %bb.34:
	s_and_not1_saveexec_b32 s3, s3
; %bb.35:
	v_and_b32_e32 v88, 0xffff, v87
	v_or_b32_e32 v90, 0x10000, v87
	s_delay_alu instid0(VALU_DEP_2) | instskip(NEXT) | instid1(VALU_DEP_2)
	v_cmp_eq_u32_e32 vcc_lo, 0, v88
	v_cndmask_b32_e32 v88, v90, v87, vcc_lo
; %bb.36:
	s_or_b32 exec_lo, exec_lo, s3
	v_and_b32_e32 v87, 0x7f800000, v84
	s_delay_alu instid0(VALU_DEP_1) | instskip(SKIP_1) | instid1(SALU_CYCLE_1)
	v_cmp_ne_u32_e32 vcc_lo, 0x7f800000, v87
                                        ; implicit-def: $vgpr87
	s_and_saveexec_b32 s3, vcc_lo
	s_xor_b32 s3, exec_lo, s3
; %bb.37:
	v_bfe_u32 v87, v84, 16, 1
	s_delay_alu instid0(VALU_DEP_1)
	v_add3_u32 v87, v84, v87, 0x7fff
                                        ; implicit-def: $vgpr84
; %bb.38:
	s_and_not1_saveexec_b32 s3, s3
; %bb.39:
	v_and_b32_e32 v87, 0xffff, v84
	v_or_b32_e32 v90, 0x10000, v84
	s_delay_alu instid0(VALU_DEP_2) | instskip(NEXT) | instid1(VALU_DEP_2)
	v_cmp_eq_u32_e32 vcc_lo, 0, v87
	v_cndmask_b32_e32 v87, v90, v84, vcc_lo
; %bb.40:
	s_or_b32 exec_lo, exec_lo, s3
	v_and_b32_e32 v84, 0x7f800000, v80
	s_delay_alu instid0(VALU_DEP_1) | instskip(SKIP_1) | instid1(SALU_CYCLE_1)
	v_cmp_ne_u32_e32 vcc_lo, 0x7f800000, v84
                                        ; implicit-def: $vgpr84
	s_and_saveexec_b32 s3, vcc_lo
	s_xor_b32 s3, exec_lo, s3
; %bb.41:
	v_bfe_u32 v84, v80, 16, 1
	s_delay_alu instid0(VALU_DEP_1)
	v_add3_u32 v84, v80, v84, 0x7fff
                                        ; implicit-def: $vgpr80
; %bb.42:
	s_and_not1_saveexec_b32 s3, s3
; %bb.43:
	v_and_b32_e32 v84, 0xffff, v80
	v_or_b32_e32 v90, 0x10000, v80
	s_delay_alu instid0(VALU_DEP_2) | instskip(NEXT) | instid1(VALU_DEP_2)
	v_cmp_eq_u32_e32 vcc_lo, 0, v84
	v_cndmask_b32_e32 v84, v90, v80, vcc_lo
; %bb.44:
	s_or_b32 exec_lo, exec_lo, s3
	s_load_b64 s[34:35], s[0:1], 0x94
	v_lshlrev_b32_e32 v91, 4, v74
	s_delay_alu instid0(VALU_DEP_2)
	v_perm_b32 v90, v84, v87, 0x7060302
	v_dual_mul_f32 v79, v82, v79 :: v_dual_lshlrev_b32 v80, 6, v65
	v_dual_mul_f32 v77, v82, v77 :: v_dual_lshlrev_b32 v92, 11, v66
	v_mul_f32_e32 v84, v82, v70
	v_perm_b32 v89, v88, v89, 0x7060302
	v_perm_b32 v88, v86, v85, 0x7060302
	;; [unrolled: 1-line block ×3, first 2 shown]
	v_mul_f32_e32 v70, v82, v81
	v_or3_b32 v76, v91, v92, v80
	v_dual_mul_f32 v78, v82, v78 :: v_dual_and_b32 v85, 0x7f800000, v84
	v_mul_f32_e32 v83, v82, v72
	v_mul_f32_e32 v81, v82, v71
	;; [unrolled: 1-line block ×3, first 2 shown]
	s_mov_b32 s3, exec_lo
	ds_store_b128 v76, v[87:90]
                                        ; implicit-def: $vgpr69
	v_cmpx_ne_u32_e32 0x7f800000, v85
	s_xor_b32 s3, exec_lo, s3
; %bb.45:
	v_bfe_u32 v69, v84, 16, 1
	s_delay_alu instid0(VALU_DEP_1)
	v_add3_u32 v69, v84, v69, 0x7fff
                                        ; implicit-def: $vgpr84
; %bb.46:
	s_and_not1_saveexec_b32 s3, s3
; %bb.47:
	v_and_b32_e32 v69, 0xffff, v84
	v_or_b32_e32 v71, 0x10000, v84
	s_delay_alu instid0(VALU_DEP_2) | instskip(NEXT) | instid1(VALU_DEP_2)
	v_cmp_eq_u32_e32 vcc_lo, 0, v69
	v_cndmask_b32_e32 v69, v71, v84, vcc_lo
; %bb.48:
	s_or_b32 exec_lo, exec_lo, s3
	v_and_b32_e32 v71, 0x7f800000, v72
	s_delay_alu instid0(VALU_DEP_1) | instskip(SKIP_1) | instid1(SALU_CYCLE_1)
	v_cmp_ne_u32_e32 vcc_lo, 0x7f800000, v71
                                        ; implicit-def: $vgpr71
	s_and_saveexec_b32 s3, vcc_lo
	s_xor_b32 s3, exec_lo, s3
; %bb.49:
	v_bfe_u32 v71, v72, 16, 1
	s_delay_alu instid0(VALU_DEP_1)
	v_add3_u32 v71, v72, v71, 0x7fff
                                        ; implicit-def: $vgpr72
; %bb.50:
	s_and_not1_saveexec_b32 s3, s3
; %bb.51:
	v_and_b32_e32 v71, 0xffff, v72
	v_or_b32_e32 v82, 0x10000, v72
	s_delay_alu instid0(VALU_DEP_2) | instskip(NEXT) | instid1(VALU_DEP_2)
	v_cmp_eq_u32_e32 vcc_lo, 0, v71
	v_cndmask_b32_e32 v71, v82, v72, vcc_lo
; %bb.52:
	s_or_b32 exec_lo, exec_lo, s3
	v_and_b32_e32 v72, 0x7f800000, v81
	s_delay_alu instid0(VALU_DEP_1) | instskip(SKIP_1) | instid1(SALU_CYCLE_1)
	v_cmp_ne_u32_e32 vcc_lo, 0x7f800000, v72
                                        ; implicit-def: $vgpr72
	s_and_saveexec_b32 s3, vcc_lo
	s_xor_b32 s3, exec_lo, s3
; %bb.53:
	v_bfe_u32 v72, v81, 16, 1
	s_delay_alu instid0(VALU_DEP_1)
	v_add3_u32 v72, v81, v72, 0x7fff
                                        ; implicit-def: $vgpr81
; %bb.54:
	s_and_not1_saveexec_b32 s3, s3
; %bb.55:
	v_and_b32_e32 v72, 0xffff, v81
	v_or_b32_e32 v82, 0x10000, v81
	s_delay_alu instid0(VALU_DEP_2) | instskip(NEXT) | instid1(VALU_DEP_2)
	v_cmp_eq_u32_e32 vcc_lo, 0, v72
	v_cndmask_b32_e32 v72, v82, v81, vcc_lo
; %bb.56:
	s_or_b32 exec_lo, exec_lo, s3
	v_and_b32_e32 v81, 0x7f800000, v83
	s_delay_alu instid0(VALU_DEP_1) | instskip(SKIP_1) | instid1(SALU_CYCLE_1)
	v_cmp_ne_u32_e32 vcc_lo, 0x7f800000, v81
                                        ; implicit-def: $vgpr81
	s_and_saveexec_b32 s3, vcc_lo
	s_xor_b32 s3, exec_lo, s3
; %bb.57:
	v_bfe_u32 v81, v83, 16, 1
	s_delay_alu instid0(VALU_DEP_1)
	v_add3_u32 v81, v83, v81, 0x7fff
                                        ; implicit-def: $vgpr83
; %bb.58:
	s_and_not1_saveexec_b32 s3, s3
; %bb.59:
	v_and_b32_e32 v81, 0xffff, v83
	v_or_b32_e32 v82, 0x10000, v83
	s_delay_alu instid0(VALU_DEP_2) | instskip(NEXT) | instid1(VALU_DEP_2)
	v_cmp_eq_u32_e32 vcc_lo, 0, v81
	v_cndmask_b32_e32 v81, v82, v83, vcc_lo
; %bb.60:
	s_or_b32 exec_lo, exec_lo, s3
	v_and_b32_e32 v82, 0x7f800000, v77
	s_delay_alu instid0(VALU_DEP_1) | instskip(SKIP_1) | instid1(SALU_CYCLE_1)
	v_cmp_ne_u32_e32 vcc_lo, 0x7f800000, v82
                                        ; implicit-def: $vgpr82
	s_and_saveexec_b32 s3, vcc_lo
	s_xor_b32 s3, exec_lo, s3
; %bb.61:
	v_bfe_u32 v82, v77, 16, 1
	s_delay_alu instid0(VALU_DEP_1)
	v_add3_u32 v82, v77, v82, 0x7fff
                                        ; implicit-def: $vgpr77
; %bb.62:
	s_and_not1_saveexec_b32 s3, s3
; %bb.63:
	v_and_b32_e32 v82, 0xffff, v77
	v_or_b32_e32 v83, 0x10000, v77
	s_delay_alu instid0(VALU_DEP_2) | instskip(NEXT) | instid1(VALU_DEP_2)
	v_cmp_eq_u32_e32 vcc_lo, 0, v82
	v_cndmask_b32_e32 v82, v83, v77, vcc_lo
; %bb.64:
	s_or_b32 exec_lo, exec_lo, s3
	v_and_b32_e32 v77, 0x7f800000, v78
	s_delay_alu instid0(VALU_DEP_1) | instskip(SKIP_1) | instid1(SALU_CYCLE_1)
	v_cmp_ne_u32_e32 vcc_lo, 0x7f800000, v77
                                        ; implicit-def: $vgpr77
	s_and_saveexec_b32 s3, vcc_lo
	s_xor_b32 s3, exec_lo, s3
; %bb.65:
	v_bfe_u32 v77, v78, 16, 1
	s_delay_alu instid0(VALU_DEP_1)
	v_add3_u32 v77, v78, v77, 0x7fff
                                        ; implicit-def: $vgpr78
; %bb.66:
	s_and_not1_saveexec_b32 s3, s3
; %bb.67:
	v_and_b32_e32 v77, 0xffff, v78
	v_or_b32_e32 v83, 0x10000, v78
	s_delay_alu instid0(VALU_DEP_2) | instskip(NEXT) | instid1(VALU_DEP_2)
	v_cmp_eq_u32_e32 vcc_lo, 0, v77
	v_cndmask_b32_e32 v77, v83, v78, vcc_lo
; %bb.68:
	s_or_b32 exec_lo, exec_lo, s3
	v_and_b32_e32 v78, 0x7f800000, v79
	s_delay_alu instid0(VALU_DEP_1) | instskip(SKIP_1) | instid1(SALU_CYCLE_1)
	v_cmp_ne_u32_e32 vcc_lo, 0x7f800000, v78
                                        ; implicit-def: $vgpr78
	s_and_saveexec_b32 s3, vcc_lo
	s_xor_b32 s3, exec_lo, s3
; %bb.69:
	v_bfe_u32 v78, v79, 16, 1
	s_delay_alu instid0(VALU_DEP_1)
	v_add3_u32 v78, v79, v78, 0x7fff
                                        ; implicit-def: $vgpr79
; %bb.70:
	s_and_not1_saveexec_b32 s3, s3
; %bb.71:
	v_and_b32_e32 v78, 0xffff, v79
	v_or_b32_e32 v83, 0x10000, v79
	s_delay_alu instid0(VALU_DEP_2) | instskip(NEXT) | instid1(VALU_DEP_2)
	v_cmp_eq_u32_e32 vcc_lo, 0, v78
	v_cndmask_b32_e32 v78, v83, v79, vcc_lo
; %bb.72:
	s_or_b32 exec_lo, exec_lo, s3
	v_and_b32_e32 v79, 0x7f800000, v70
	s_delay_alu instid0(VALU_DEP_1) | instskip(SKIP_1) | instid1(SALU_CYCLE_1)
	v_cmp_ne_u32_e32 vcc_lo, 0x7f800000, v79
                                        ; implicit-def: $vgpr79
	s_and_saveexec_b32 s3, vcc_lo
	s_xor_b32 s3, exec_lo, s3
; %bb.73:
	v_bfe_u32 v79, v70, 16, 1
	s_delay_alu instid0(VALU_DEP_1)
	v_add3_u32 v79, v70, v79, 0x7fff
                                        ; implicit-def: $vgpr70
; %bb.74:
	s_and_not1_saveexec_b32 s3, s3
; %bb.75:
	v_and_b32_e32 v79, 0xffff, v70
	v_or_b32_e32 v83, 0x10000, v70
	s_delay_alu instid0(VALU_DEP_2) | instskip(NEXT) | instid1(VALU_DEP_2)
	v_cmp_eq_u32_e32 vcc_lo, 0, v79
	v_cndmask_b32_e32 v79, v83, v70, vcc_lo
; %bb.76:
	s_or_b32 exec_lo, exec_lo, s3
	s_delay_alu instid0(VALU_DEP_1)
	v_perm_b32 v86, v79, v78, 0x7060302
	v_perm_b32 v85, v77, v82, 0x7060302
	;; [unrolled: 1-line block ×4, first 2 shown]
	v_lshl_or_b32 v82, v66, 11, v80
	ds_store_b128 v76, v[83:86] offset:1024
	s_waitcnt lgkmcnt(0)
	s_barrier
	buffer_gl0_inv
	ds_load_b128 v[69:72], v82
	ds_load_b128 v[83:86], v82 offset:16
	s_waitcnt lgkmcnt(1)
	v_lshrrev_b32_e32 v66, 16, v69
	s_waitcnt lgkmcnt(0)
	v_lshrrev_b32_e32 v91, 16, v83
	v_lshlrev_b32_e32 v78, 2, v74
	v_lshrrev_b32_e32 v95, 16, v70
	v_lshrrev_b32_e32 v98, 16, v84
	;; [unrolled: 1-line block ×4, first 2 shown]
	v_cmp_eq_u32_e32 vcc_lo, 1, v78
	v_lshrrev_b32_e32 v97, 16, v72
	v_lshrrev_b32_e32 v100, 16, v86
	v_cndmask_b32_e32 v87, v83, v91, vcc_lo
	v_or_b32_e32 v79, 1, v78
	v_cndmask_b32_e32 v81, v69, v66, vcc_lo
	v_cmp_eq_u32_e64 s4, 2, v78
	v_cmp_eq_u32_e64 s7, 3, v78
	;; [unrolled: 1-line block ×5, first 2 shown]
	v_cndmask_b32_e64 v81, v81, v70, s4
	v_cndmask_b32_e64 v87, v87, v84, s4
	v_cmp_eq_u32_e64 s8, 3, v79
	v_cndmask_b32_e64 v88, v69, v66, s3
	v_or_b32_e32 v77, 2, v78
	v_cndmask_b32_e64 v81, v81, v95, s7
	v_cndmask_b32_e64 v87, v87, v98, s7
	;; [unrolled: 1-line block ×4, first 2 shown]
	v_cmp_eq_u32_e64 s10, 5, v78
	v_cndmask_b32_e64 v81, v81, v71, s9
	v_cndmask_b32_e64 v87, v87, v85, s9
	v_cmp_eq_u32_e64 s11, 4, v79
	v_cndmask_b32_e64 v88, v88, v95, s8
	v_cmp_eq_u32_e64 s5, 1, v77
	v_cndmask_b32_e64 v89, v89, v84, s6
	v_cndmask_b32_e64 v81, v81, v96, s10
	v_cmp_eq_u32_e64 s12, 6, v78
	v_cndmask_b32_e64 v88, v88, v71, s11
	v_cndmask_b32_e64 v87, v87, v99, s10
	v_cmp_eq_u32_e64 s13, 5, v79
	v_cndmask_b32_e64 v90, v69, v66, s5
	v_cndmask_b32_e64 v89, v89, v98, s8
	v_cndmask_b32_e64 v81, v81, v72, s12
	v_cmp_eq_u32_e64 s15, 7, v78
	v_cndmask_b32_e64 v88, v88, v96, s13
	v_cndmask_b32_e64 v87, v87, v86, s12
	v_cmp_eq_u32_e64 s16, 6, v79
	v_cmp_eq_u32_e64 s17, 2, v77
	v_cndmask_b32_e64 v89, v89, v85, s11
	v_cndmask_b32_e64 v101, v81, v97, s15
	;; [unrolled: 1-line block ×6, first 2 shown]
	v_cmp_eq_u32_e64 s18, 7, v79
	v_cmp_eq_u32_e64 s19, 3, v77
	;; [unrolled: 1-line block ×4, first 2 shown]
	v_cndmask_b32_e64 v87, v87, v84, s17
	v_cndmask_b32_e64 v103, v88, v97, s18
	;; [unrolled: 1-line block ×4, first 2 shown]
	v_or_b32_e32 v81, 3, v78
	v_cndmask_b32_e64 v93, v87, v98, s19
	v_cmp_eq_u32_e64 s24, 6, v77
	v_cndmask_b32_e64 v104, v88, v86, s16
	v_cndmask_b32_e64 v92, v89, v71, s20
	v_cmp_eq_u32_e64 s21, 1, v81
	ds_load_b128 v[87:90], v82 offset:1024
	v_cmp_eq_u32_e64 s23, 2, v81
	v_cmp_eq_u32_e64 s25, 3, v81
	v_cndmask_b32_e64 v105, v92, v96, s22
	v_cndmask_b32_e64 v66, v69, v66, s21
	;; [unrolled: 1-line block ×4, first 2 shown]
	ds_load_b128 v[91:94], v82 offset:1040
	v_cmp_eq_u32_e64 s26, 4, v81
	v_cndmask_b32_e64 v66, v66, v70, s23
	v_cmp_eq_u32_e64 s27, 7, v77
	v_cndmask_b32_e64 v70, v83, v84, s23
	v_cndmask_b32_e64 v84, v105, v72, s24
	v_cmp_eq_u32_e64 s28, 5, v81
	v_cndmask_b32_e64 v66, v66, v95, s25
	v_cmp_eq_u32_e64 s29, 6, v81
	v_cndmask_b32_e64 v70, v70, v98, s25
	v_cndmask_b32_e64 v69, v69, v99, s22
	;; [unrolled: 1-line block ×4, first 2 shown]
	s_waitcnt lgkmcnt(1)
	v_lshrrev_b32_e32 v95, 16, v87
	v_cndmask_b32_e64 v70, v70, v85, s26
	v_cndmask_b32_e64 v71, v84, v97, s27
	;; [unrolled: 1-line block ×4, first 2 shown]
	v_cndmask_b32_e32 v84, v87, v95, vcc_lo
	v_cndmask_b32_e64 v70, v70, v99, s28
	s_waitcnt lgkmcnt(0)
	v_lshrrev_b32_e32 v85, 16, v91
	v_lshrrev_b32_e32 v96, 16, v88
	v_cndmask_b32_e64 v98, v87, v95, s3
	v_cndmask_b32_e64 v84, v84, v88, s4
	v_cndmask_b32_e64 v70, v70, v86, s29
	v_cndmask_b32_e32 v99, v91, v85, vcc_lo
	v_cmp_eq_u32_e32 vcc_lo, 7, v81
	v_cndmask_b32_e64 v66, v66, v72, s29
	v_cndmask_b32_e64 v72, v84, v96, s7
	v_cndmask_b32_e64 v84, v98, v88, s6
	v_lshrrev_b32_e32 v98, 16, v92
	v_cndmask_b32_e32 v70, v70, v100, vcc_lo
	v_cndmask_b32_e64 v86, v99, v92, s4
	v_cndmask_b32_e64 v69, v69, v100, s27
	v_lshrrev_b32_e32 v100, 16, v93
	v_cndmask_b32_e64 v72, v72, v89, s9
	v_lshrrev_b32_e32 v99, 16, v89
	v_cndmask_b32_e64 v86, v86, v98, s7
	v_perm_b32 v71, v69, v71, 0x5040100
	v_cndmask_b32_e64 v84, v84, v96, s8
	s_delay_alu instid0(VALU_DEP_3) | instskip(NEXT) | instid1(VALU_DEP_2)
	v_cndmask_b32_e64 v86, v86, v93, s9
	v_cndmask_b32_e64 v84, v84, v89, s11
	s_delay_alu instid0(VALU_DEP_2) | instskip(NEXT) | instid1(VALU_DEP_1)
	v_cndmask_b32_e64 v86, v86, v100, s10
	v_cndmask_b32_e64 v69, v86, v94, s12
	;; [unrolled: 1-line block ×5, first 2 shown]
	s_delay_alu instid0(VALU_DEP_3) | instskip(NEXT) | instid1(VALU_DEP_3)
	v_cndmask_b32_e64 v86, v86, v88, s17
	v_cndmask_b32_e64 v87, v87, v88, s23
	s_delay_alu instid0(VALU_DEP_3) | instskip(NEXT) | instid1(VALU_DEP_3)
	v_cndmask_b32_e64 v88, v95, v92, s23
	v_cndmask_b32_e64 v86, v86, v96, s19
	;; [unrolled: 3-line block ×7, first 2 shown]
	s_delay_alu instid0(VALU_DEP_3) | instskip(SKIP_2) | instid1(VALU_DEP_2)
	v_cndmask_b32_e64 v88, v88, v94, s29
	v_cndmask_b32_e32 v66, v66, v97, vcc_lo
	v_cndmask_b32_e64 v97, v72, v99, s10
	v_perm_b32 v72, v70, v66, 0x5040100
	v_perm_b32 v70, v83, v103, 0x5040100
	v_cndmask_b32_e64 v103, v91, v85, s5
	v_cndmask_b32_e64 v85, v91, v85, s3
	;; [unrolled: 1-line block ×4, first 2 shown]
	v_lshrrev_b32_e32 v97, 16, v90
	v_cndmask_b32_e64 v91, v103, v92, s17
	v_cndmask_b32_e64 v85, v85, v92, s6
	;; [unrolled: 1-line block ×3, first 2 shown]
	s_mov_b32 s3, exec_lo
	v_cndmask_b32_e64 v83, v84, v97, s15
	v_cndmask_b32_e64 v91, v91, v98, s19
	;; [unrolled: 1-line block ×3, first 2 shown]
	v_lshrrev_b32_e32 v84, 16, v94
	v_cndmask_b32_e64 v66, v66, v97, s18
	v_cndmask_b32_e64 v90, v86, v97, s27
	;; [unrolled: 1-line block ×4, first 2 shown]
	v_dual_cndmask_b32 v86, v87, v97 :: v_dual_cndmask_b32 v87, v88, v84
	v_cndmask_b32_e64 v91, v69, v84, s15
	s_delay_alu instid0(VALU_DEP_4) | instskip(NEXT) | instid1(VALU_DEP_4)
	v_cndmask_b32_e64 v89, v89, v100, s22
	v_cndmask_b32_e64 v85, v85, v100, s13
	v_perm_b32 v69, v102, v101, 0x5040100
	v_perm_b32 v86, v87, v86, 0x5040100
	;; [unrolled: 1-line block ×3, first 2 shown]
	v_cndmask_b32_e64 v89, v89, v94, s24
	v_cndmask_b32_e64 v85, v85, v94, s16
	s_mul_i32 s8, s35, 12
	s_delay_alu instid0(VALU_DEP_2) | instskip(NEXT) | instid1(VALU_DEP_2)
	v_cndmask_b32_e64 v88, v89, v84, s27
	v_cndmask_b32_e64 v89, v85, v84, s18
	s_delay_alu instid0(VALU_DEP_2) | instskip(NEXT) | instid1(VALU_DEP_2)
	v_perm_b32 v85, v88, v90, 0x5040100
	v_perm_b32 v84, v89, v66, 0x5040100
	ds_store_b128 v76, v[69:72]
	ds_store_b128 v76, v[83:86] offset:1024
	v_cmpx_gt_u32_e32 12, v0
	s_cbranch_execz .LBB1689_78
; %bb.77:
	s_mul_i32 s4, s8, s30
	s_delay_alu instid0(SALU_CYCLE_1) | instskip(SKIP_1) | instid1(VALU_DEP_1)
	v_add3_u32 v69, s4, s31, v65
	s_load_b128 s[4:7], s[0:1], 0x58
	v_mad_u64_u32 v[65:66], null, v69, s34, s[14:15]
	s_delay_alu instid0(VALU_DEP_1) | instskip(NEXT) | instid1(VALU_DEP_1)
	v_ashrrev_i32_e32 v66, 31, v65
	v_lshlrev_b64 v[65:66], 2, v[65:66]
	s_waitcnt lgkmcnt(0)
	s_delay_alu instid0(VALU_DEP_1) | instskip(NEXT) | instid1(VALU_DEP_2)
	v_add_co_u32 v69, vcc_lo, s6, v65
	v_add_co_ci_u32_e32 v70, vcc_lo, s7, v66, vcc_lo
	v_add_co_u32 v65, vcc_lo, s4, v65
	v_add_co_ci_u32_e32 v66, vcc_lo, s5, v66, vcc_lo
	global_store_b32 v[69:70], v67, off
	global_store_b32 v[65:66], v68, off
.LBB1689_78:
	s_or_b32 exec_lo, exec_lo, s3
	s_waitcnt lgkmcnt(0)
	s_waitcnt_vscnt null, 0x0
	s_barrier
	buffer_gl0_inv
	ds_load_b128 v[83:86], v80
	ds_load_b128 v[87:90], v80 offset:16
	ds_load_b128 v[95:98], v80 offset:2064
	;; [unrolled: 1-line block ×3, first 2 shown]
	v_mov_b32_e32 v65, 0
	ds_load_b128 v[103:106], v80 offset:4112
	ds_load_b128 v[99:102], v80 offset:4096
	;; [unrolled: 1-line block ×4, first 2 shown]
	v_mov_b32_e32 v66, v65
	v_mov_b32_e32 v67, v65
	;; [unrolled: 1-line block ×7, first 2 shown]
	s_waitcnt lgkmcnt(6)
	s_delay_alu instid0(VALU_DEP_1)
	v_wmma_f32_16x16x16_bf16 v[65:72], v[57:64], v[83:90], v[65:72]
	ds_load_b128 v[61:64], v80 offset:8208
	ds_load_b128 v[57:60], v80 offset:8192
	s_waitcnt lgkmcnt(6)
	v_wmma_f32_16x16x16_bf16 v[65:72], v[41:48], v[91:98], v[65:72]
	ds_load_b128 v[45:48], v80 offset:10256
	ds_load_b128 v[41:44], v80 offset:10240
	s_waitcnt lgkmcnt(6)
	;; [unrolled: 4-line block ×4, first 2 shown]
	v_wmma_f32_16x16x16_bf16 v[65:72], v[1:8], v[57:64], v[65:72]
	s_waitcnt lgkmcnt(4)
	s_delay_alu instid0(VALU_DEP_1) | instskip(SKIP_1) | instid1(VALU_DEP_1)
	v_wmma_f32_16x16x16_bf16 v[65:72], v[9:16], v[41:48], v[65:72]
	s_waitcnt lgkmcnt(2)
	v_wmma_f32_16x16x16_bf16 v[65:72], v[17:24], v[33:40], v[65:72]
	s_waitcnt lgkmcnt(0)
	s_delay_alu instid0(VALU_DEP_1) | instskip(NEXT) | instid1(VALU_DEP_1)
	v_wmma_f32_16x16x16_bf16 v[65:72], v[49:56], v[25:32], v[65:72]
	v_and_b32_e32 v1, 0x7f800000, v65
	s_delay_alu instid0(VALU_DEP_1) | instskip(SKIP_1) | instid1(SALU_CYCLE_1)
	v_cmp_ne_u32_e32 vcc_lo, 0x7f800000, v1
                                        ; implicit-def: $vgpr1
	s_and_saveexec_b32 s3, vcc_lo
	s_xor_b32 s3, exec_lo, s3
; %bb.79:
	v_bfe_u32 v1, v65, 16, 1
	s_delay_alu instid0(VALU_DEP_1)
	v_add3_u32 v1, v65, v1, 0x7fff
; %bb.80:
	s_and_not1_saveexec_b32 s3, s3
; %bb.81:
	v_and_b32_e32 v1, 0xffff, v65
	v_or_b32_e32 v2, 0x10000, v65
	s_delay_alu instid0(VALU_DEP_2) | instskip(NEXT) | instid1(VALU_DEP_2)
	v_cmp_eq_u32_e32 vcc_lo, 0, v1
	v_cndmask_b32_e32 v1, v2, v65, vcc_lo
; %bb.82:
	s_or_b32 exec_lo, exec_lo, s3
	v_and_b32_e32 v2, 0x7f800000, v66
	s_delay_alu instid0(VALU_DEP_1) | instskip(SKIP_1) | instid1(SALU_CYCLE_1)
	v_cmp_ne_u32_e32 vcc_lo, 0x7f800000, v2
                                        ; implicit-def: $vgpr2
	s_and_saveexec_b32 s3, vcc_lo
	s_xor_b32 s3, exec_lo, s3
; %bb.83:
	v_bfe_u32 v2, v66, 16, 1
	s_delay_alu instid0(VALU_DEP_1)
	v_add3_u32 v2, v66, v2, 0x7fff
; %bb.84:
	s_and_not1_saveexec_b32 s3, s3
; %bb.85:
	v_and_b32_e32 v2, 0xffff, v66
	v_or_b32_e32 v3, 0x10000, v66
	s_delay_alu instid0(VALU_DEP_2) | instskip(NEXT) | instid1(VALU_DEP_2)
	v_cmp_eq_u32_e32 vcc_lo, 0, v2
	v_cndmask_b32_e32 v2, v3, v66, vcc_lo
; %bb.86:
	s_or_b32 exec_lo, exec_lo, s3
	v_and_b32_e32 v3, 0x7f800000, v67
	s_delay_alu instid0(VALU_DEP_1) | instskip(SKIP_1) | instid1(SALU_CYCLE_1)
	v_cmp_ne_u32_e32 vcc_lo, 0x7f800000, v3
                                        ; implicit-def: $vgpr3
	s_and_saveexec_b32 s3, vcc_lo
	s_xor_b32 s3, exec_lo, s3
; %bb.87:
	v_bfe_u32 v3, v67, 16, 1
	s_delay_alu instid0(VALU_DEP_1)
	v_add3_u32 v3, v67, v3, 0x7fff
; %bb.88:
	s_and_not1_saveexec_b32 s3, s3
; %bb.89:
	v_and_b32_e32 v3, 0xffff, v67
	v_or_b32_e32 v4, 0x10000, v67
	s_delay_alu instid0(VALU_DEP_2) | instskip(NEXT) | instid1(VALU_DEP_2)
	v_cmp_eq_u32_e32 vcc_lo, 0, v3
	v_cndmask_b32_e32 v3, v4, v67, vcc_lo
; %bb.90:
	s_or_b32 exec_lo, exec_lo, s3
	v_and_b32_e32 v4, 0x7f800000, v68
	s_delay_alu instid0(VALU_DEP_1) | instskip(SKIP_1) | instid1(SALU_CYCLE_1)
	v_cmp_ne_u32_e32 vcc_lo, 0x7f800000, v4
                                        ; implicit-def: $vgpr4
	s_and_saveexec_b32 s3, vcc_lo
	s_xor_b32 s3, exec_lo, s3
; %bb.91:
	v_bfe_u32 v4, v68, 16, 1
	s_delay_alu instid0(VALU_DEP_1)
	v_add3_u32 v4, v68, v4, 0x7fff
; %bb.92:
	s_and_not1_saveexec_b32 s3, s3
; %bb.93:
	v_and_b32_e32 v4, 0xffff, v68
	v_or_b32_e32 v5, 0x10000, v68
	s_delay_alu instid0(VALU_DEP_2) | instskip(NEXT) | instid1(VALU_DEP_2)
	v_cmp_eq_u32_e32 vcc_lo, 0, v4
	v_cndmask_b32_e32 v4, v5, v68, vcc_lo
; %bb.94:
	s_or_b32 exec_lo, exec_lo, s3
	v_and_b32_e32 v5, 0x7f800000, v69
	s_delay_alu instid0(VALU_DEP_1) | instskip(SKIP_1) | instid1(SALU_CYCLE_1)
	v_cmp_ne_u32_e32 vcc_lo, 0x7f800000, v5
                                        ; implicit-def: $vgpr5
	s_and_saveexec_b32 s3, vcc_lo
	s_xor_b32 s3, exec_lo, s3
; %bb.95:
	v_bfe_u32 v5, v69, 16, 1
	s_delay_alu instid0(VALU_DEP_1)
	v_add3_u32 v5, v69, v5, 0x7fff
; %bb.96:
	s_and_not1_saveexec_b32 s3, s3
; %bb.97:
	v_and_b32_e32 v5, 0xffff, v69
	v_or_b32_e32 v6, 0x10000, v69
	s_delay_alu instid0(VALU_DEP_2) | instskip(NEXT) | instid1(VALU_DEP_2)
	v_cmp_eq_u32_e32 vcc_lo, 0, v5
	v_cndmask_b32_e32 v5, v6, v69, vcc_lo
; %bb.98:
	s_or_b32 exec_lo, exec_lo, s3
	v_and_b32_e32 v6, 0x7f800000, v70
	s_delay_alu instid0(VALU_DEP_1) | instskip(SKIP_1) | instid1(SALU_CYCLE_1)
	v_cmp_ne_u32_e32 vcc_lo, 0x7f800000, v6
                                        ; implicit-def: $vgpr6
	s_and_saveexec_b32 s3, vcc_lo
	s_xor_b32 s3, exec_lo, s3
; %bb.99:
	v_bfe_u32 v6, v70, 16, 1
	s_delay_alu instid0(VALU_DEP_1)
	v_add3_u32 v6, v70, v6, 0x7fff
; %bb.100:
	s_and_not1_saveexec_b32 s3, s3
; %bb.101:
	v_and_b32_e32 v6, 0xffff, v70
	v_or_b32_e32 v7, 0x10000, v70
	s_delay_alu instid0(VALU_DEP_2) | instskip(NEXT) | instid1(VALU_DEP_2)
	v_cmp_eq_u32_e32 vcc_lo, 0, v6
	v_cndmask_b32_e32 v6, v7, v70, vcc_lo
; %bb.102:
	s_or_b32 exec_lo, exec_lo, s3
	v_and_b32_e32 v7, 0x7f800000, v71
	s_delay_alu instid0(VALU_DEP_1) | instskip(SKIP_1) | instid1(SALU_CYCLE_1)
	v_cmp_ne_u32_e32 vcc_lo, 0x7f800000, v7
                                        ; implicit-def: $vgpr7
	s_and_saveexec_b32 s3, vcc_lo
	s_xor_b32 s3, exec_lo, s3
; %bb.103:
	v_bfe_u32 v7, v71, 16, 1
	s_delay_alu instid0(VALU_DEP_1)
	v_add3_u32 v7, v71, v7, 0x7fff
; %bb.104:
	s_and_not1_saveexec_b32 s3, s3
; %bb.105:
	v_and_b32_e32 v7, 0xffff, v71
	v_or_b32_e32 v8, 0x10000, v71
	s_delay_alu instid0(VALU_DEP_2) | instskip(NEXT) | instid1(VALU_DEP_2)
	v_cmp_eq_u32_e32 vcc_lo, 0, v7
	v_cndmask_b32_e32 v7, v8, v71, vcc_lo
; %bb.106:
	s_or_b32 exec_lo, exec_lo, s3
	v_and_b32_e32 v8, 0x7f800000, v72
	s_delay_alu instid0(VALU_DEP_1) | instskip(SKIP_1) | instid1(SALU_CYCLE_1)
	v_cmp_ne_u32_e32 vcc_lo, 0x7f800000, v8
                                        ; implicit-def: $vgpr8
	s_and_saveexec_b32 s3, vcc_lo
	s_xor_b32 s3, exec_lo, s3
; %bb.107:
	v_bfe_u32 v8, v72, 16, 1
	s_delay_alu instid0(VALU_DEP_1)
	v_add3_u32 v8, v72, v8, 0x7fff
                                        ; implicit-def: $vgpr65_vgpr66_vgpr67_vgpr68_vgpr69_vgpr70_vgpr71_vgpr72
; %bb.108:
	s_and_not1_saveexec_b32 s3, s3
; %bb.109:
	v_and_b32_e32 v8, 0xffff, v72
	v_or_b32_e32 v9, 0x10000, v72
	s_delay_alu instid0(VALU_DEP_2) | instskip(NEXT) | instid1(VALU_DEP_2)
	v_cmp_eq_u32_e32 vcc_lo, 0, v8
	v_cndmask_b32_e32 v8, v9, v72, vcc_lo
; %bb.110:
	s_or_b32 exec_lo, exec_lo, s3
	s_delay_alu instid0(VALU_DEP_1)
	v_perm_b32 v7, v8, v7, 0x7060302
	v_perm_b32 v6, v6, v5, 0x7060302
	;; [unrolled: 1-line block ×4, first 2 shown]
	s_barrier
	buffer_gl0_inv
	v_cmp_eq_u32_e32 vcc_lo, 1, v78
	ds_store_b128 v76, v[4:7]
	s_waitcnt lgkmcnt(0)
	s_barrier
	buffer_gl0_inv
	ds_load_b128 v[1:4], v82
	ds_load_b128 v[5:8], v82 offset:16
	v_cmp_eq_u32_e64 s3, 1, v79
	v_cmp_eq_u32_e64 s4, 2, v78
	;; [unrolled: 1-line block ×5, first 2 shown]
	s_waitcnt lgkmcnt(1)
	v_lshrrev_b32_e32 v9, 16, v1
	s_waitcnt lgkmcnt(0)
	v_lshrrev_b32_e32 v13, 16, v5
	v_lshrrev_b32_e32 v10, 16, v2
	;; [unrolled: 1-line block ×4, first 2 shown]
	v_cndmask_b32_e64 v19, v1, v9, s3
	v_cndmask_b32_e32 v18, v5, v13, vcc_lo
	v_cndmask_b32_e64 v20, v5, v13, s3
	v_cndmask_b32_e32 v17, v1, v9, vcc_lo
	v_cmp_eq_u32_e32 vcc_lo, 2, v79
	v_lshrrev_b32_e32 v15, 16, v7
	v_cmp_eq_u32_e64 s3, 1, v77
	v_lshrrev_b32_e32 v12, 16, v4
	v_lshrrev_b32_e32 v16, 16, v8
	v_cndmask_b32_e32 v20, v20, v6, vcc_lo
	v_cndmask_b32_e64 v17, v17, v2, s4
	v_cndmask_b32_e32 v19, v19, v2, vcc_lo
	v_cndmask_b32_e64 v18, v18, v6, s4
	v_cmp_eq_u32_e32 vcc_lo, 4, v78
	v_cmp_eq_u32_e64 s4, 3, v79
	v_cndmask_b32_e64 v17, v17, v10, s5
	v_cndmask_b32_e64 v21, v1, v9, s3
	;; [unrolled: 1-line block ×5, first 2 shown]
	v_cndmask_b32_e32 v17, v17, v3, vcc_lo
	v_cndmask_b32_e64 v20, v20, v14, s4
	v_cndmask_b32_e32 v18, v18, v7, vcc_lo
	v_cmp_eq_u32_e32 vcc_lo, 4, v79
	v_cmp_eq_u32_e64 s4, 5, v79
	v_cmp_eq_u32_e64 s3, 2, v81
	v_cndmask_b32_e64 v21, v21, v2, s7
	v_cmp_eq_u32_e64 s5, 5, v78
	v_cndmask_b32_e32 v19, v19, v3, vcc_lo
	v_cndmask_b32_e32 v20, v20, v7, vcc_lo
	v_cmp_eq_u32_e32 vcc_lo, 6, v79
	s_delay_alu instid0(VALU_DEP_4) | instskip(NEXT) | instid1(VALU_DEP_4)
	v_cndmask_b32_e64 v17, v17, v11, s5
	v_cndmask_b32_e64 v19, v19, v11, s4
	s_delay_alu instid0(VALU_DEP_4) | instskip(SKIP_1) | instid1(VALU_DEP_3)
	v_cndmask_b32_e64 v20, v20, v15, s4
	v_cmp_eq_u32_e64 s4, 1, v81
	v_cndmask_b32_e32 v19, v19, v4, vcc_lo
	v_cndmask_b32_e64 v18, v18, v15, s5
	s_delay_alu instid0(VALU_DEP_3)
	v_cndmask_b32_e64 v1, v1, v9, s4
	v_cndmask_b32_e64 v5, v5, v13, s4
	v_cmp_eq_u32_e64 s4, 3, v77
	v_cndmask_b32_e64 v13, v22, v6, s7
	v_cmp_eq_u32_e64 s7, 3, v81
	v_cndmask_b32_e64 v1, v1, v2, s3
	v_cndmask_b32_e64 v2, v5, v6, s3
	;; [unrolled: 1-line block ×3, first 2 shown]
	v_cmp_eq_u32_e64 s3, 4, v77
	v_cndmask_b32_e64 v6, v13, v14, s4
	v_cndmask_b32_e64 v1, v1, v10, s7
	v_cmp_eq_u32_e64 s4, 4, v81
	v_cndmask_b32_e64 v2, v2, v14, s7
	v_cndmask_b32_e64 v5, v9, v3, s3
	;; [unrolled: 3-line block ×3, first 2 shown]
	v_cndmask_b32_e64 v2, v2, v7, s4
	v_cmp_eq_u32_e64 s3, 5, v81
	v_cmp_eq_u32_e64 s5, 6, v78
	v_cndmask_b32_e64 v5, v5, v11, s7
	v_cmp_eq_u32_e64 s4, 6, v77
	v_cndmask_b32_e64 v3, v6, v15, s7
	v_cndmask_b32_e64 v1, v1, v11, s3
	v_cmp_eq_u32_e64 s7, 6, v81
	v_cndmask_b32_e64 v2, v2, v15, s3
	v_cndmask_b32_e64 v17, v17, v4, s5
	v_cndmask_b32_e64 v18, v18, v8, s5
	v_cmp_eq_u32_e64 s5, 7, v78
	v_cndmask_b32_e64 v5, v5, v4, s4
	;; [unrolled: 4-line block ×3, first 2 shown]
	v_cmp_eq_u32_e64 s4, 7, v77
	v_cndmask_b32_e32 v4, v20, v8, vcc_lo
	v_cndmask_b32_e64 v17, v17, v12, s5
	v_cndmask_b32_e64 v19, v19, v12, s6
	;; [unrolled: 1-line block ×8, first 2 shown]
	v_cmp_gt_u32_e32 vcc_lo, 32, v0
	v_perm_b32 v4, v2, v1, 0x5040100
	v_perm_b32 v3, v3, v5, 0x5040100
	;; [unrolled: 1-line block ×4, first 2 shown]
	s_and_b32 s2, vcc_lo, s2
	ds_store_b128 v76, v[1:4]
	s_waitcnt lgkmcnt(0)
	s_barrier
	buffer_gl0_inv
	s_and_saveexec_b32 s3, s2
	s_cbranch_execz .LBB1689_2
; %bb.111:
	s_load_b64 s[0:1], s[0:1], 0x68
	v_lshlrev_b32_e32 v0, 10, v0
	s_lshl_b32 s4, s34, 6
	v_or_b32_e32 v3, s31, v74
	s_mul_i32 s2, s4, s30
	v_lshlrev_b32_e32 v1, 4, v75
	s_mul_i32 s2, s2, s8
	v_lshlrev_b32_e32 v2, 6, v74
	v_and_b32_e32 v0, 0x3800, v0
	s_ashr_i32 s3, s2, 31
	v_mul_lo_u32 v4, v3, s4
	s_lshl_b64 s[2:3], s[2:3], 1
	s_delay_alu instid0(VALU_DEP_2) | instskip(NEXT) | instid1(VALU_DEP_2)
	v_or3_b32 v16, v0, v1, v2
	v_ashrrev_i32_e32 v5, 31, v4
	ds_load_b128 v[0:3], v16
	s_waitcnt lgkmcnt(0)
	s_add_u32 s2, s0, s2
	s_addc_u32 s3, s1, s3
	s_lshl_b32 s0, s14, 6
	v_lshlrev_b64 v[5:6], 1, v[4:5]
	s_ashr_i32 s1, s0, 31
	s_delay_alu instid0(SALU_CYCLE_1) | instskip(NEXT) | instid1(SALU_CYCLE_1)
	s_lshl_b64 s[0:1], s[0:1], 1
	s_add_u32 s0, s2, s0
	s_addc_u32 s1, s3, s1
	s_lshl_b32 s2, s34, 7
	v_add_co_u32 v30, s0, s0, v73
	v_add_nc_u32_e32 v8, s2, v4
	v_add_co_ci_u32_e64 v31, null, s1, 0, s0
	s_delay_alu instid0(VALU_DEP_3) | instskip(NEXT) | instid1(VALU_DEP_3)
	v_add_co_u32 v12, vcc_lo, v30, v5
	v_add_nc_u32_e32 v10, s2, v8
	v_ashrrev_i32_e32 v9, 31, v8
	s_delay_alu instid0(VALU_DEP_4)
	v_add_co_ci_u32_e32 v13, vcc_lo, v31, v6, vcc_lo
	ds_load_b128 v[4:7], v16 offset:128
	v_ashrrev_i32_e32 v11, 31, v10
	v_lshlrev_b64 v[8:9], 1, v[8:9]
	v_add_nc_u32_e32 v14, s2, v10
	global_store_b128 v[12:13], v[0:3], off
	v_lshlrev_b64 v[0:1], 1, v[10:11]
	v_ashrrev_i32_e32 v15, 31, v14
	v_add_co_u32 v22, vcc_lo, v30, v8
	v_add_nc_u32_e32 v20, s2, v14
	v_add_co_ci_u32_e32 v23, vcc_lo, v31, v9, vcc_lo
	v_add_co_u32 v26, vcc_lo, v30, v0
	v_lshlrev_b64 v[24:25], 1, v[14:15]
	v_add_co_ci_u32_e32 v27, vcc_lo, v31, v1, vcc_lo
	ds_load_b128 v[0:3], v16 offset:256
	ds_load_b128 v[8:11], v16 offset:384
	;; [unrolled: 1-line block ×4, first 2 shown]
	v_add_nc_u32_e32 v28, s2, v20
	v_ashrrev_i32_e32 v21, 31, v20
	v_add_co_u32 v24, vcc_lo, v30, v24
	v_add_co_ci_u32_e32 v25, vcc_lo, v31, v25, vcc_lo
	s_delay_alu instid0(VALU_DEP_4) | instskip(NEXT) | instid1(VALU_DEP_4)
	v_ashrrev_i32_e32 v29, 31, v28
	v_lshlrev_b64 v[20:21], 1, v[20:21]
	s_delay_alu instid0(VALU_DEP_2) | instskip(NEXT) | instid1(VALU_DEP_2)
	v_lshlrev_b64 v[28:29], 1, v[28:29]
	v_add_co_u32 v20, vcc_lo, v30, v20
	s_delay_alu instid0(VALU_DEP_3) | instskip(NEXT) | instid1(VALU_DEP_3)
	v_add_co_ci_u32_e32 v21, vcc_lo, v31, v21, vcc_lo
	v_add_co_u32 v28, vcc_lo, v30, v28
	s_delay_alu instid0(VALU_DEP_4)
	v_add_co_ci_u32_e32 v29, vcc_lo, v31, v29, vcc_lo
	s_waitcnt lgkmcnt(4)
	global_store_b128 v[22:23], v[4:7], off
	s_waitcnt lgkmcnt(3)
	global_store_b128 v[26:27], v[0:3], off
	;; [unrolled: 2-line block ×5, first 2 shown]
	s_nop 0
	s_sendmsg sendmsg(MSG_DEALLOC_VGPRS)
	s_endpgm
	.section	.rodata,"a",@progbits
	.p2align	6, 0x0
	.amdhsa_kernel _Z39paged_attention_ll4mi_QKV_mfma16_kernelI14__hip_bfloat16hLN4vllm18Fp8KVCacheDataTypeE1EhLi16ELi64ELi256ELb0ELi12EL8MFMAType0EEvPKT_PKT0_S9_ifPKiSB_SB_iPKfiiiPfSE_PS4_PT2_iSD_SD_
		.amdhsa_group_segment_fixed_size 17472
		.amdhsa_private_segment_fixed_size 0
		.amdhsa_kernarg_size 400
		.amdhsa_user_sgpr_count 13
		.amdhsa_user_sgpr_dispatch_ptr 0
		.amdhsa_user_sgpr_queue_ptr 0
		.amdhsa_user_sgpr_kernarg_segment_ptr 1
		.amdhsa_user_sgpr_dispatch_id 0
		.amdhsa_user_sgpr_private_segment_size 0
		.amdhsa_wavefront_size32 1
		.amdhsa_uses_dynamic_stack 0
		.amdhsa_enable_private_segment 0
		.amdhsa_system_sgpr_workgroup_id_x 1
		.amdhsa_system_sgpr_workgroup_id_y 1
		.amdhsa_system_sgpr_workgroup_id_z 1
		.amdhsa_system_sgpr_workgroup_info 0
		.amdhsa_system_vgpr_workitem_id 0
		.amdhsa_next_free_vgpr 124
		.amdhsa_next_free_sgpr 38
		.amdhsa_reserve_vcc 1
		.amdhsa_float_round_mode_32 0
		.amdhsa_float_round_mode_16_64 0
		.amdhsa_float_denorm_mode_32 3
		.amdhsa_float_denorm_mode_16_64 3
		.amdhsa_dx10_clamp 1
		.amdhsa_ieee_mode 1
		.amdhsa_fp16_overflow 0
		.amdhsa_workgroup_processor_mode 1
		.amdhsa_memory_ordered 1
		.amdhsa_forward_progress 0
		.amdhsa_shared_vgpr_count 0
		.amdhsa_exception_fp_ieee_invalid_op 0
		.amdhsa_exception_fp_denorm_src 0
		.amdhsa_exception_fp_ieee_div_zero 0
		.amdhsa_exception_fp_ieee_overflow 0
		.amdhsa_exception_fp_ieee_underflow 0
		.amdhsa_exception_fp_ieee_inexact 0
		.amdhsa_exception_int_div_zero 0
	.end_amdhsa_kernel
	.section	.text._Z39paged_attention_ll4mi_QKV_mfma16_kernelI14__hip_bfloat16hLN4vllm18Fp8KVCacheDataTypeE1EhLi16ELi64ELi256ELb0ELi12EL8MFMAType0EEvPKT_PKT0_S9_ifPKiSB_SB_iPKfiiiPfSE_PS4_PT2_iSD_SD_,"axG",@progbits,_Z39paged_attention_ll4mi_QKV_mfma16_kernelI14__hip_bfloat16hLN4vllm18Fp8KVCacheDataTypeE1EhLi16ELi64ELi256ELb0ELi12EL8MFMAType0EEvPKT_PKT0_S9_ifPKiSB_SB_iPKfiiiPfSE_PS4_PT2_iSD_SD_,comdat
.Lfunc_end1689:
	.size	_Z39paged_attention_ll4mi_QKV_mfma16_kernelI14__hip_bfloat16hLN4vllm18Fp8KVCacheDataTypeE1EhLi16ELi64ELi256ELb0ELi12EL8MFMAType0EEvPKT_PKT0_S9_ifPKiSB_SB_iPKfiiiPfSE_PS4_PT2_iSD_SD_, .Lfunc_end1689-_Z39paged_attention_ll4mi_QKV_mfma16_kernelI14__hip_bfloat16hLN4vllm18Fp8KVCacheDataTypeE1EhLi16ELi64ELi256ELb0ELi12EL8MFMAType0EEvPKT_PKT0_S9_ifPKiSB_SB_iPKfiiiPfSE_PS4_PT2_iSD_SD_
                                        ; -- End function
	.section	.AMDGPU.csdata,"",@progbits
; Kernel info:
; codeLenInByte = 8808
; NumSgprs: 40
; NumVgprs: 124
; ScratchSize: 0
; MemoryBound: 0
; FloatMode: 240
; IeeeMode: 1
; LDSByteSize: 17472 bytes/workgroup (compile time only)
; SGPRBlocks: 4
; VGPRBlocks: 15
; NumSGPRsForWavesPerEU: 40
; NumVGPRsForWavesPerEU: 124
; Occupancy: 10
; WaveLimiterHint : 1
; COMPUTE_PGM_RSRC2:SCRATCH_EN: 0
; COMPUTE_PGM_RSRC2:USER_SGPR: 13
; COMPUTE_PGM_RSRC2:TRAP_HANDLER: 0
; COMPUTE_PGM_RSRC2:TGID_X_EN: 1
; COMPUTE_PGM_RSRC2:TGID_Y_EN: 1
; COMPUTE_PGM_RSRC2:TGID_Z_EN: 1
; COMPUTE_PGM_RSRC2:TIDIG_COMP_CNT: 0
	.section	.text._Z39paged_attention_ll4mi_QKV_mfma16_kernelI14__hip_bfloat16hLN4vllm18Fp8KVCacheDataTypeE1EhLi16ELi64ELi256ELb0ELi13EL8MFMAType0EEvPKT_PKT0_S9_ifPKiSB_SB_iPKfiiiPfSE_PS4_PT2_iSD_SD_,"axG",@progbits,_Z39paged_attention_ll4mi_QKV_mfma16_kernelI14__hip_bfloat16hLN4vllm18Fp8KVCacheDataTypeE1EhLi16ELi64ELi256ELb0ELi13EL8MFMAType0EEvPKT_PKT0_S9_ifPKiSB_SB_iPKfiiiPfSE_PS4_PT2_iSD_SD_,comdat
	.protected	_Z39paged_attention_ll4mi_QKV_mfma16_kernelI14__hip_bfloat16hLN4vllm18Fp8KVCacheDataTypeE1EhLi16ELi64ELi256ELb0ELi13EL8MFMAType0EEvPKT_PKT0_S9_ifPKiSB_SB_iPKfiiiPfSE_PS4_PT2_iSD_SD_ ; -- Begin function _Z39paged_attention_ll4mi_QKV_mfma16_kernelI14__hip_bfloat16hLN4vllm18Fp8KVCacheDataTypeE1EhLi16ELi64ELi256ELb0ELi13EL8MFMAType0EEvPKT_PKT0_S9_ifPKiSB_SB_iPKfiiiPfSE_PS4_PT2_iSD_SD_
	.globl	_Z39paged_attention_ll4mi_QKV_mfma16_kernelI14__hip_bfloat16hLN4vllm18Fp8KVCacheDataTypeE1EhLi16ELi64ELi256ELb0ELi13EL8MFMAType0EEvPKT_PKT0_S9_ifPKiSB_SB_iPKfiiiPfSE_PS4_PT2_iSD_SD_
	.p2align	8
	.type	_Z39paged_attention_ll4mi_QKV_mfma16_kernelI14__hip_bfloat16hLN4vllm18Fp8KVCacheDataTypeE1EhLi16ELi64ELi256ELb0ELi13EL8MFMAType0EEvPKT_PKT0_S9_ifPKiSB_SB_iPKfiiiPfSE_PS4_PT2_iSD_SD_,@function
_Z39paged_attention_ll4mi_QKV_mfma16_kernelI14__hip_bfloat16hLN4vllm18Fp8KVCacheDataTypeE1EhLi16ELi64ELi256ELb0ELi13EL8MFMAType0EEvPKT_PKT0_S9_ifPKiSB_SB_iPKfiiiPfSE_PS4_PT2_iSD_SD_: ; @_Z39paged_attention_ll4mi_QKV_mfma16_kernelI14__hip_bfloat16hLN4vllm18Fp8KVCacheDataTypeE1EhLi16ELi64ELi256ELb0ELi13EL8MFMAType0EEvPKT_PKT0_S9_ifPKiSB_SB_iPKfiiiPfSE_PS4_PT2_iSD_SD_
; %bb.0:
	s_load_b64 s[2:3], s[0:1], 0x30
	s_mov_b32 s34, s13
	s_waitcnt lgkmcnt(0)
	s_cmp_lg_u64 s[2:3], 0
	s_cselect_b32 s8, -1, 0
	s_ashr_i32 s35, s13, 31
	s_cmp_eq_u64 s[2:3], 0
	s_cbranch_scc1 .LBB1690_3
; %bb.1:
	s_lshl_b64 s[4:5], s[34:35], 2
	s_delay_alu instid0(SALU_CYCLE_1) | instskip(SKIP_4) | instid1(SALU_CYCLE_1)
	s_add_u32 s4, s2, s4
	s_addc_u32 s5, s3, s5
	s_load_b64 s[4:5], s[4:5], 0x0
	s_waitcnt lgkmcnt(0)
	s_sub_i32 s4, s5, s4
	s_cmp_eq_u32 s4, 1
	s_cselect_b32 s4, -1, 0
	s_delay_alu instid0(SALU_CYCLE_1)
	s_and_not1_b32 vcc_lo, exec_lo, s4
	s_cbranch_vccz .LBB1690_4
.LBB1690_2:
	s_nop 0
	s_sendmsg sendmsg(MSG_DEALLOC_VGPRS)
	s_endpgm
.LBB1690_3:
.LBB1690_4:
	s_load_b64 s[4:5], s[0:1], 0x28
	s_lshl_b64 s[6:7], s[34:35], 2
	s_waitcnt lgkmcnt(0)
	s_add_u32 s4, s4, s6
	s_addc_u32 s5, s5, s7
	s_lshl_b32 s12, s14, 8
	s_load_b32 s24, s[4:5], 0x0
	s_waitcnt lgkmcnt(0)
	s_cmp_ge_i32 s12, s24
	s_cbranch_scc1 .LBB1690_2
; %bb.5:
	s_clause 0x1
	s_load_b128 s[20:23], s[0:1], 0x8
	s_load_b64 s[4:5], s[0:1], 0x20
	s_and_not1_b32 vcc_lo, exec_lo, s8
	s_cbranch_vccnz .LBB1690_7
; %bb.6:
	s_add_u32 s2, s2, s6
	s_addc_u32 s3, s3, s7
	s_load_b32 s3, s[2:3], 0x0
	s_branch .LBB1690_8
.LBB1690_7:
	s_mov_b32 s3, s34
.LBB1690_8:
	s_load_b128 s[16:19], s[0:1], 0x48
	v_lshrrev_b32_e32 v66, 5, v0
	v_bfe_u32 v74, v0, 4, 1
	v_and_b32_e32 v65, 15, v0
	v_and_b32_e32 v67, 31, v0
	;; [unrolled: 1-line block ×3, first 2 shown]
	s_mul_i32 s31, s15, 13
	v_lshl_or_b32 v1, v66, 1, v74
	v_lshlrev_b32_e32 v2, 3, v65
	v_cmp_gt_u32_e64 s2, 8, v65
	s_delay_alu instid0(VALU_DEP_3) | instskip(NEXT) | instid1(VALU_DEP_3)
	v_cmp_gt_u32_e32 vcc_lo, 13, v1
	v_lshlrev_b32_e32 v73, 1, v2
	s_delay_alu instid0(VALU_DEP_3) | instskip(NEXT) | instid1(SALU_CYCLE_1)
	s_and_b32 s7, s2, vcc_lo
	s_and_saveexec_b32 s6, s7
	s_cbranch_execz .LBB1690_10
; %bb.9:
	s_load_b64 s[8:9], s[0:1], 0x0
	v_add_lshl_u32 v2, v1, s31, 6
	s_waitcnt lgkmcnt(0)
	s_mul_hi_i32 s11, s3, s16
	s_mul_i32 s10, s3, s16
	v_lshlrev_b32_e32 v6, 10, v65
	s_lshl_b64 s[10:11], s[10:11], 1
	v_ashrrev_i32_e32 v3, 31, v2
	v_lshlrev_b32_e32 v1, 6, v1
	v_lshlrev_b32_e32 v7, 10, v75
	v_and_b32_e32 v6, 0x3800, v6
	s_delay_alu instid0(VALU_DEP_4) | instskip(NEXT) | instid1(VALU_DEP_2)
	v_lshlrev_b64 v[2:3], 1, v[2:3]
	v_or3_b32 v1, v6, v7, v1
	s_add_u32 s3, s8, s10
	s_addc_u32 s7, s9, s11
	s_delay_alu instid0(VALU_DEP_2) | instskip(NEXT) | instid1(VALU_DEP_3)
	v_add_co_u32 v2, vcc_lo, s3, v2
	v_add_co_ci_u32_e32 v3, vcc_lo, s7, v3, vcc_lo
	s_delay_alu instid0(VALU_DEP_2) | instskip(NEXT) | instid1(VALU_DEP_2)
	v_add_co_u32 v2, vcc_lo, v2, v73
	v_add_co_ci_u32_e32 v3, vcc_lo, 0, v3, vcc_lo
	global_load_b128 v[2:5], v[2:3], off
	s_waitcnt vmcnt(0)
	ds_store_b128 v1, v[2:5]
.LBB1690_10:
	s_or_b32 exec_lo, exec_lo, s6
	v_and_b32_e32 v1, 0xef, v0
	s_waitcnt lgkmcnt(0)
	s_add_i32 s3, s24, 15
	s_clause 0x1
	s_load_b32 s6, s[0:1], 0x38
	s_load_b32 s19, s[0:1], 0x1c
	s_ashr_i32 s7, s3, 31
	v_add_nc_u32_e32 v1, s12, v1
	s_lshr_b32 s7, s7, 28
	s_waitcnt lgkmcnt(0)
	s_add_i32 s3, s3, s7
	s_barrier
	v_ashrrev_i32_e32 v2, 31, v1
	v_or_b32_e32 v3, 16, v1
	s_ashr_i32 s3, s3, 4
	v_cmp_gt_i32_e32 vcc_lo, s24, v1
	s_add_i32 s3, s3, -1
	v_lshrrev_b32_e32 v2, 28, v2
	buffer_gl0_inv
	s_mul_i32 s27, s15, s18
	v_add_nc_u32_e32 v4, v1, v2
	s_mul_i32 s6, s34, s6
	s_delay_alu instid0(SALU_CYCLE_1) | instskip(NEXT) | instid1(VALU_DEP_1)
	s_ashr_i32 s7, s6, 31
	v_ashrrev_i32_e32 v4, 4, v4
	v_add_nc_u32_e32 v2, v3, v2
	s_lshl_b64 s[6:7], s[6:7], 2
	s_delay_alu instid0(SALU_CYCLE_1) | instskip(NEXT) | instid1(VALU_DEP_2)
	s_add_u32 s26, s4, s6
	v_cndmask_b32_e32 v1, s3, v4, vcc_lo
	s_delay_alu instid0(VALU_DEP_2)
	v_ashrrev_i32_e32 v2, 4, v2
	v_cmp_gt_i32_e32 vcc_lo, s24, v3
	s_addc_u32 s25, s5, s7
	s_ashr_i32 s28, s27, 31
	s_add_u32 s13, s20, s27
	s_addc_u32 s15, s21, s28
	v_cndmask_b32_e32 v3, s3, v2, vcc_lo
	v_ashrrev_i32_e32 v2, 31, v1
	s_lshl_b32 s4, s14, 4
	s_delay_alu instid0(SALU_CYCLE_1) | instskip(NEXT) | instid1(VALU_DEP_2)
	s_ashr_i32 s5, s4, 31
	v_ashrrev_i32_e32 v4, 31, v3
	s_delay_alu instid0(VALU_DEP_2) | instskip(SKIP_1) | instid1(SALU_CYCLE_1)
	v_lshlrev_b64 v[1:2], 2, v[1:2]
	s_lshl_b64 s[4:5], s[4:5], 2
	s_add_u32 s4, s26, s4
	s_delay_alu instid0(VALU_DEP_2) | instskip(SKIP_1) | instid1(VALU_DEP_2)
	v_lshlrev_b64 v[3:4], 2, v[3:4]
	s_addc_u32 s5, s25, s5
	v_add_co_u32 v1, vcc_lo, s26, v1
	v_add_co_ci_u32_e32 v2, vcc_lo, s25, v2, vcc_lo
	s_delay_alu instid0(VALU_DEP_3) | instskip(NEXT) | instid1(VALU_DEP_4)
	v_add_co_u32 v3, vcc_lo, s26, v3
	v_add_co_ci_u32_e32 v4, vcc_lo, s25, v4, vcc_lo
	s_clause 0x1
	global_load_b32 v5, v[1:2], off
	global_load_b32 v7, v[3:4], off
	s_or_b32 s6, s12, 32
	v_lshlrev_b32_e32 v1, 4, v0
	s_ashr_i32 s7, s6, 4
	s_cmp_lt_i32 s6, s24
	v_cmp_gt_u32_e32 vcc_lo, 13, v65
	s_cselect_b32 s6, s7, s3
	v_and_b32_e32 v1, 0xf0, v1
	s_ashr_i32 s7, s6, 31
	s_delay_alu instid0(SALU_CYCLE_1) | instskip(NEXT) | instid1(SALU_CYCLE_1)
	s_lshl_b64 s[6:7], s[6:7], 2
	s_add_u32 s6, s26, s6
	s_addc_u32 s7, s25, s7
	s_or_b32 s8, s12, 64
	v_add_co_u32 v1, s13, s13, v1
	s_ashr_i32 s9, s8, 4
	s_cmp_lt_i32 s8, s24
	v_add_co_ci_u32_e64 v2, null, s15, 0, s13
	s_cselect_b32 s8, s9, s3
	s_delay_alu instid0(SALU_CYCLE_1) | instskip(NEXT) | instid1(SALU_CYCLE_1)
	s_ashr_i32 s9, s8, 31
	s_lshl_b64 s[8:9], s[8:9], 2
	s_delay_alu instid0(SALU_CYCLE_1) | instskip(SKIP_2) | instid1(SALU_CYCLE_1)
	s_add_u32 s8, s26, s8
	s_addc_u32 s9, s25, s9
	s_or_b32 s10, s12, 0x60
	s_ashr_i32 s11, s10, 4
	s_cmp_lt_i32 s10, s24
	s_cselect_b32 s10, s11, s3
	s_delay_alu instid0(SALU_CYCLE_1) | instskip(NEXT) | instid1(SALU_CYCLE_1)
	s_ashr_i32 s11, s10, 31
	s_lshl_b64 s[10:11], s[10:11], 2
	s_delay_alu instid0(SALU_CYCLE_1) | instskip(SKIP_2) | instid1(SALU_CYCLE_1)
	s_add_u32 s10, s26, s10
	s_addc_u32 s11, s25, s11
	s_or_b32 s16, s12, 0x80
	s_ashr_i32 s18, s16, 4
	s_cmp_lt_i32 s16, s24
	;; [unrolled: 10-line block ×3, first 2 shown]
	s_cselect_b32 s20, s18, s3
	s_delay_alu instid0(SALU_CYCLE_1) | instskip(NEXT) | instid1(SALU_CYCLE_1)
	s_ashr_i32 s21, s20, 31
	s_lshl_b64 s[20:21], s[20:21], 2
	s_delay_alu instid0(SALU_CYCLE_1)
	s_add_u32 s38, s26, s20
	s_addc_u32 s39, s25, s21
	s_clause 0x5
	s_load_b32 s21, s[4:5], 0x0
	s_load_b32 s13, s[6:7], 0x0
	;; [unrolled: 1-line block ×6, first 2 shown]
	s_or_b32 s8, s12, 0xc0
	s_mov_b32 s4, 0
	s_ashr_i32 s9, s8, 4
	s_cmp_lt_i32 s8, s24
	s_mov_b32 s11, s4
	s_cselect_b32 s36, s9, s3
	s_mov_b32 s5, s4
	s_ashr_i32 s37, s36, 31
	s_mov_b32 s6, s4
	s_lshl_b64 s[36:37], s[36:37], 2
	s_mov_b32 s7, s4
	s_add_u32 s36, s26, s36
	s_addc_u32 s37, s25, s37
	s_or_b32 s29, s12, 0xe0
	s_mov_b32 s8, s4
	s_ashr_i32 s30, s29, 4
	s_mov_b32 s9, s4
	s_mov_b32 s10, s4
	s_cmp_lt_i32 s29, s24
	v_dual_mov_b32 v107, s11 :: v_dual_mov_b32 v100, s4
	v_mov_b32_e32 v106, s10
	v_dual_mov_b32 v104, s8 :: v_dual_mov_b32 v103, s7
	v_dual_mov_b32 v102, s6 :: v_dual_mov_b32 v101, s5
	s_waitcnt vmcnt(1)
	v_mad_i64_i32 v[3:4], null, v5, s17, v[1:2]
	s_waitcnt vmcnt(0)
	v_mad_i64_i32 v[5:6], null, v7, s17, v[1:2]
	v_add_nc_u32_e32 v1, -13, v65
	v_lshlrev_b32_e32 v2, 4, v65
	s_clause 0x7
	global_load_b128 v[49:52], v[3:4], off
	global_load_b128 v[53:56], v[3:4], off offset:256
	global_load_b128 v[76:79], v[5:6], off
	global_load_b128 v[80:83], v[5:6], off offset:256
	global_load_b128 v[84:87], v[3:4], off offset:512
	;; [unrolled: 1-line block ×5, first 2 shown]
	v_cndmask_b32_e32 v1, v1, v65, vcc_lo
	v_mov_b32_e32 v105, s9
	s_cselect_b32 s4, s30, s3
	v_lshl_or_b32 v2, v66, 8, v2
	s_ashr_i32 s5, s4, 31
	v_lshlrev_b32_e32 v70, 6, v1
	s_lshl_b64 s[4:5], s[4:5], 2
	s_load_b32 s3, s[36:37], 0x0
	s_add_u32 s4, s26, s4
	s_addc_u32 s5, s25, s5
	ds_load_b128 v[108:111], v70
	ds_load_b128 v[112:115], v70 offset:1024
	s_load_b32 s4, s[4:5], 0x0
	s_add_u32 s6, s22, s27
	s_addc_u32 s7, s23, s28
	v_add_co_u32 v9, s6, s6, v2
	s_delay_alu instid0(VALU_DEP_1) | instskip(SKIP_1) | instid1(VALU_DEP_1)
	v_add_co_ci_u32_e64 v10, null, s7, 0, s6
	s_waitcnt lgkmcnt(0)
	v_mad_i64_i32 v[1:2], null, s21, s17, v[9:10]
	v_mad_i64_i32 v[3:4], null, s13, s17, v[9:10]
	;; [unrolled: 1-line block ×7, first 2 shown]
	s_clause 0x9
	global_load_b128 v[57:60], v[1:2], off
	global_load_b128 v[61:64], v[1:2], off offset:16
	global_load_b128 v[41:44], v[3:4], off
	global_load_b128 v[45:48], v[3:4], off offset:16
	;; [unrolled: 2-line block ×5, first 2 shown]
	v_mad_i64_i32 v[68:69], null, s4, s17, v[9:10]
	s_clause 0x3
	global_load_b128 v[9:12], v[13:14], off
	global_load_b128 v[13:16], v[13:14], off offset:16
	global_load_b128 v[17:20], v[21:22], off
	global_load_b128 v[21:24], v[21:22], off offset:16
	s_waitcnt vmcnt(20)
	v_wmma_f32_16x16x16_bf16 v[116:123], v[49:56], v[108:115], v[100:107]
	s_clause 0x1
	global_load_b128 v[49:52], v[68:69], off
	global_load_b128 v[53:56], v[68:69], off offset:16
	v_and_b32_e32 v68, 0xe0, v0
	v_mbcnt_lo_u32_b32 v69, -1, 0
	s_delay_alu instid0(VALU_DEP_2)
	v_add_nc_u32_e32 v68, s12, v68
	s_waitcnt vmcnt(20)
	v_wmma_f32_16x16x16_bf16 v[100:107], v[76:83], v[108:115], v[100:107]
	ds_load_b128 v[76:79], v70 offset:2048
	ds_load_b128 v[80:83], v70 offset:3072
	v_xor_b32_e32 v70, 16, v69
	s_waitcnt vmcnt(0) lgkmcnt(0)
	v_or_b32_e32 v68, v68, v74
	s_barrier
	buffer_gl0_inv
	v_cmp_gt_i32_e32 vcc_lo, 32, v70
	v_or_b32_e32 v71, 4, v68
	v_or_b32_e32 v72, 6, v68
	v_cmp_gt_i32_e64 s3, s24, v68
	v_or_b32_e32 v108, 8, v68
	v_or_b32_e32 v109, 10, v68
	v_cmp_gt_i32_e64 s4, s24, v71
	v_cmp_gt_i32_e64 s5, s24, v72
	s_delay_alu instid0(VALU_DEP_4) | instskip(NEXT) | instid1(VALU_DEP_4)
	v_cmp_gt_i32_e64 s6, s24, v108
	v_cmp_gt_i32_e64 s7, s24, v109
	v_wmma_f32_16x16x16_bf16 v[116:123], v[84:91], v[76:83], v[116:123]
	v_cndmask_b32_e32 v69, v69, v70, vcc_lo
	v_or_b32_e32 v70, 2, v68
	v_wmma_f32_16x16x16_bf16 v[100:107], v[92:99], v[76:83], v[100:107]
	v_or_b32_e32 v89, 22, v68
	v_dual_mul_f32 v82, s19, v119 :: v_dual_mul_f32 v79, s19, v122
	v_dual_mul_f32 v92, s19, v117 :: v_dual_mul_f32 v93, s19, v116
	s_delay_alu instid0(VALU_DEP_4) | instskip(SKIP_2) | instid1(VALU_DEP_4)
	v_mul_f32_e32 v98, s19, v103
	v_cmp_gt_i32_e32 vcc_lo, s24, v70
	v_dual_mul_f32 v83, s19, v118 :: v_dual_mul_f32 v96, s19, v105
	v_cndmask_b32_e64 v93, 0xff7fffff, v93, s3
	v_or_b32_e32 v84, 12, v68
	v_cndmask_b32_e32 v92, 0xff7fffff, v92, vcc_lo
	v_or_b32_e32 v85, 14, v68
	v_dual_mul_f32 v80, s19, v121 :: v_dual_mul_f32 v81, s19, v120
	v_mul_f32_e32 v94, s19, v107
	v_cndmask_b32_e64 v71, 0xff7fffff, v83, s4
	v_cndmask_b32_e64 v72, 0xff7fffff, v82, s5
	v_cmp_gt_i32_e64 s13, s24, v89
	v_lshlrev_b32_e32 v89, 2, v69
	v_max3_f32 v82, v93, 0xff7fffff, v92
	v_or_b32_e32 v86, 16, v68
	v_or_b32_e32 v87, 18, v68
	v_mul_f32_e32 v78, s19, v123
	v_cndmask_b32_e64 v81, 0xff7fffff, v81, s6
	v_cndmask_b32_e64 v80, 0xff7fffff, v80, s7
	v_max3_f32 v71, v82, v71, v72
	v_cmp_gt_i32_e64 s8, s24, v84
	v_cmp_gt_i32_e64 s9, s24, v85
	v_or_b32_e32 v88, 20, v68
	v_or_b32_e32 v90, 24, v68
	;; [unrolled: 1-line block ×5, first 2 shown]
	v_dual_mul_f32 v95, s19, v106 :: v_dual_mul_f32 v70, s19, v101
	v_dual_mul_f32 v99, s19, v102 :: v_dual_mul_f32 v68, s19, v100
	v_cndmask_b32_e64 v72, 0xff7fffff, v79, s8
	v_cndmask_b32_e64 v78, 0xff7fffff, v78, s9
	v_max3_f32 v71, v71, v81, v80
	v_cmp_gt_i32_e64 s10, s24, v86
	v_cmp_gt_i32_e64 s11, s24, v87
	;; [unrolled: 1-line block ×3, first 2 shown]
	v_mul_f32_e32 v97, s19, v104
	v_max3_f32 v71, v71, v72, v78
	v_cndmask_b32_e64 v68, 0xff7fffff, v68, s10
	v_cndmask_b32_e64 v70, 0xff7fffff, v70, s11
	;; [unrolled: 1-line block ×4, first 2 shown]
	v_cmp_gt_i32_e64 s15, s24, v90
	v_cmp_gt_i32_e64 s16, s24, v91
	v_max3_f32 v68, v71, v68, v70
	v_cmp_gt_i32_e64 s17, s24, v76
	v_cmp_gt_i32_e64 s18, s24, v77
	v_cndmask_b32_e64 v70, 0xff7fffff, v97, s15
	v_cndmask_b32_e64 v71, 0xff7fffff, v96, s16
	v_max3_f32 v68, v68, v72, v78
	v_cndmask_b32_e64 v72, 0xff7fffff, v95, s17
	v_cndmask_b32_e64 v76, 0xff7fffff, v94, s18
	s_delay_alu instid0(VALU_DEP_3) | instskip(NEXT) | instid1(VALU_DEP_1)
	v_max3_f32 v68, v68, v70, v71
	v_max3_f32 v68, v68, v72, v76
	ds_bpermute_b32 v69, v89, v68
	s_waitcnt lgkmcnt(0)
	v_max_f32_e32 v69, v69, v69
	s_delay_alu instid0(VALU_DEP_1) | instskip(NEXT) | instid1(VALU_DEP_1)
	v_max_f32_e32 v68, v68, v69
	v_fma_f32 v69, s19, v116, -v68
	v_fma_f32 v70, s19, v117, -v68
	;; [unrolled: 1-line block ×5, first 2 shown]
	s_delay_alu instid0(VALU_DEP_4) | instskip(NEXT) | instid1(VALU_DEP_4)
	v_dual_mul_f32 v69, 0x3fb8aa3b, v69 :: v_dual_mul_f32 v70, 0x3fb8aa3b, v70
	v_mul_f32_e32 v72, 0x3fb8aa3b, v72
	v_fma_f32 v78, s19, v122, -v68
	s_delay_alu instid0(VALU_DEP_4) | instskip(NEXT) | instid1(VALU_DEP_4)
	v_mul_f32_e32 v77, 0x3fb8aa3b, v76
	v_exp_f32_e32 v69, v69
	v_exp_f32_e32 v70, v70
	v_mul_f32_e32 v71, 0x3fb8aa3b, v71
	v_exp_f32_e32 v72, v72
	v_mul_f32_e32 v78, 0x3fb8aa3b, v78
	v_exp_f32_e32 v77, v77
	v_fma_f32 v81, s19, v105, -v68
	s_delay_alu instid0(VALU_DEP_2)
	v_exp_f32_e32 v78, v78
	v_cndmask_b32_e64 v80, 0, v69, s3
	v_cndmask_b32_e32 v76, 0, v70, vcc_lo
	v_exp_f32_e32 v71, v71
	v_fma_f32 v69, s19, v121, -v68
	v_cndmask_b32_e64 v85, 0, v72, s5
	v_add_f32_e32 v70, 0, v80
	s_delay_alu instid0(TRANS32_DEP_3)
	v_cndmask_b32_e64 v86, 0, v77, s6
	v_fma_f32 v77, s19, v101, -v68
	v_mul_f32_e32 v69, 0x3fb8aa3b, v69
	v_fma_f32 v72, s19, v100, -v68
	v_cndmask_b32_e64 v84, 0, v78, s8
	v_fma_f32 v78, s19, v103, -v68
	v_cndmask_b32_e64 v83, 0, v71, s4
	v_fma_f32 v71, s19, v123, -v68
	v_add_f32_e32 v70, v70, v76
	v_exp_f32_e32 v69, v69
	v_mul_f32_e32 v77, 0x3fb8aa3b, v77
	v_mul_f32_e32 v81, 0x3fb8aa3b, v81
	v_mul_f32_e32 v71, 0x3fb8aa3b, v71
	v_add_f32_e32 v70, v70, v83
	v_cmp_gt_u32_e64 s3, 16, v67
	v_exp_f32_e32 v77, v77
	v_exp_f32_e32 v81, v81
	;; [unrolled: 1-line block ×3, first 2 shown]
	v_cndmask_b32_e64 v87, 0, v69, s7
	v_add_f32_e32 v70, v70, v85
	s_delay_alu instid0(VALU_DEP_1) | instskip(SKIP_1) | instid1(VALU_DEP_2)
	v_dual_mul_f32 v72, 0x3fb8aa3b, v72 :: v_dual_add_f32 v69, v70, v86
	v_fma_f32 v70, s19, v102, -v68
	v_exp_f32_e32 v72, v72
	s_waitcnt_depctr 0xfff
	v_cndmask_b32_e64 v88, 0, v71, s9
	v_fma_f32 v71, s19, v104, -v68
	v_dual_add_f32 v69, v69, v87 :: v_dual_mul_f32 v70, 0x3fb8aa3b, v70
	s_delay_alu instid0(VALU_DEP_2) | instskip(NEXT) | instid1(VALU_DEP_2)
	v_dual_mul_f32 v78, 0x3fb8aa3b, v78 :: v_dual_mul_f32 v71, 0x3fb8aa3b, v71
	v_add_f32_e32 v69, v69, v84
	s_delay_alu instid0(VALU_DEP_3) | instskip(SKIP_1) | instid1(VALU_DEP_3)
	v_exp_f32_e32 v79, v70
	v_cndmask_b32_e64 v70, 0, v72, s10
	v_exp_f32_e32 v78, v78
	v_exp_f32_e32 v82, v71
	v_add_f32_e32 v72, v69, v88
	v_cndmask_b32_e64 v69, 0, v77, s11
	v_fma_f32 v77, s19, v106, -v68
	s_delay_alu instid0(VALU_DEP_3) | instskip(NEXT) | instid1(TRANS32_DEP_3)
	v_add_f32_e32 v72, v72, v70
	v_cndmask_b32_e64 v71, 0, v79, s12
	s_delay_alu instid0(VALU_DEP_3) | instskip(NEXT) | instid1(VALU_DEP_3)
	v_mul_f32_e32 v77, 0x3fb8aa3b, v77
	v_add_f32_e32 v79, v72, v69
	s_delay_alu instid0(TRANS32_DEP_2) | instskip(NEXT) | instid1(VALU_DEP_3)
	v_cndmask_b32_e64 v72, 0, v78, s13
	v_exp_f32_e32 v90, v77
	v_cndmask_b32_e64 v77, 0, v82, s15
	s_delay_alu instid0(VALU_DEP_3) | instskip(SKIP_1) | instid1(VALU_DEP_1)
	v_add_f32_e32 v78, v79, v71
	v_fma_f32 v79, s19, v107, -v68
	v_dual_add_f32 v82, v78, v72 :: v_dual_mul_f32 v79, 0x3fb8aa3b, v79
	v_cndmask_b32_e64 v78, 0, v81, s16
	s_delay_alu instid0(VALU_DEP_2) | instskip(NEXT) | instid1(VALU_DEP_3)
	v_add_f32_e32 v81, v82, v77
	v_exp_f32_e32 v82, v79
	s_delay_alu instid0(TRANS32_DEP_2) | instskip(NEXT) | instid1(VALU_DEP_2)
	v_cndmask_b32_e64 v79, 0, v90, s17
	v_add_f32_e32 v81, v81, v78
	s_delay_alu instid0(VALU_DEP_1) | instskip(SKIP_2) | instid1(VALU_DEP_1)
	v_add_f32_e32 v90, v81, v79
	s_waitcnt_depctr 0xfff
	v_cndmask_b32_e64 v81, 0, v82, s18
	v_add_f32_e32 v82, v90, v81
	ds_bpermute_b32 v89, v89, v82
	s_and_saveexec_b32 s4, s3
	s_cbranch_execz .LBB1690_12
; %bb.11:
	v_mul_u32_u24_e32 v67, 0x44, v66
	s_delay_alu instid0(VALU_DEP_1) | instskip(SKIP_1) | instid1(VALU_DEP_1)
	v_lshl_add_u32 v67, v65, 2, v67
	s_waitcnt lgkmcnt(0)
	v_dual_add_f32 v82, v82, v89 :: v_dual_add_nc_u32 v67, 0x4000, v67
	ds_store_2addr_b32 v67, v68, v82 offset1:136
.LBB1690_12:
	s_or_b32 exec_lo, exec_lo, s4
	v_lshlrev_b32_e32 v67, 2, v65
	s_waitcnt lgkmcnt(0)
	s_barrier
	buffer_gl0_inv
	v_cmp_eq_u32_e32 vcc_lo, 1, v66
	v_add_nc_u32_e32 v82, 0x4000, v67
	v_cmp_eq_u32_e64 s4, 2, v66
	v_cmp_eq_u32_e64 s6, 7, v66
	ds_load_2addr_b32 v[89:90], v82 offset1:17
	ds_load_2addr_b32 v[91:92], v82 offset0:34 offset1:51
	ds_load_2addr_b32 v[93:94], v82 offset0:68 offset1:85
	;; [unrolled: 1-line block ×4, first 2 shown]
	s_waitcnt lgkmcnt(4)
	v_max3_f32 v67, v89, 0xff7fffff, v90
	s_waitcnt lgkmcnt(3)
	s_delay_alu instid0(VALU_DEP_1) | instskip(SKIP_1) | instid1(VALU_DEP_1)
	v_max3_f32 v67, v67, v91, v92
	s_waitcnt lgkmcnt(2)
	v_max3_f32 v67, v67, v93, v94
	s_waitcnt lgkmcnt(1)
	s_delay_alu instid0(VALU_DEP_1) | instskip(NEXT) | instid1(VALU_DEP_1)
	v_max3_f32 v67, v67, v95, v96
	v_sub_f32_e32 v93, v93, v67
	s_delay_alu instid0(VALU_DEP_1) | instskip(NEXT) | instid1(VALU_DEP_1)
	v_dual_sub_f32 v68, v89, v67 :: v_dual_mul_f32 v103, 0x3fb8aa3b, v93
	v_mul_f32_e32 v68, 0x3fb8aa3b, v68
	s_delay_alu instid0(VALU_DEP_1)
	v_exp_f32_e32 v100, v68
	v_sub_f32_e32 v68, v92, v67
	v_sub_f32_e32 v99, v90, v67
	ds_load_2addr_b32 v[89:90], v82 offset0:170 offset1:187
	v_dual_mul_f32 v102, 0x3fb8aa3b, v68 :: v_dual_mul_f32 v99, 0x3fb8aa3b, v99
	s_waitcnt lgkmcnt(1)
	v_fma_f32 v68, v100, v97, 0
	s_delay_alu instid0(VALU_DEP_2) | instskip(NEXT) | instid1(VALU_DEP_2)
	v_exp_f32_e32 v102, v102
	v_exp_f32_e32 v99, v99
	s_waitcnt_depctr 0xfff
	v_fmac_f32_e32 v68, v99, v98
	v_sub_f32_e32 v91, v91, v67
	s_delay_alu instid0(VALU_DEP_1)
	v_mul_f32_e32 v101, 0x3fb8aa3b, v91
	ds_load_2addr_b32 v[91:92], v82 offset0:204 offset1:221
	v_sub_f32_e32 v97, v94, v67
	ds_load_2addr_b32 v[93:94], v82 offset0:238 offset1:255
	s_waitcnt lgkmcnt(0)
	v_exp_f32_e32 v101, v101
	s_barrier
	buffer_gl0_inv
	v_dual_fmac_f32 v68, v101, v89 :: v_dual_sub_f32 v89, v96, v67
	v_dual_sub_f32 v82, v95, v67 :: v_dual_mul_f32 v95, 0x3fb8aa3b, v97
	v_exp_f32_e32 v97, v103
	s_delay_alu instid0(VALU_DEP_2) | instskip(NEXT) | instid1(VALU_DEP_2)
	v_dual_fmac_f32 v68, v102, v90 :: v_dual_mul_f32 v89, 0x3fb8aa3b, v89
	v_mul_f32_e32 v82, 0x3fb8aa3b, v82
	s_delay_alu instid0(VALU_DEP_3) | instskip(NEXT) | instid1(VALU_DEP_2)
	v_exp_f32_e32 v95, v95
	v_exp_f32_e32 v89, v89
	s_delay_alu instid0(VALU_DEP_1)
	v_exp_f32_e32 v82, v82
	v_fmac_f32_e32 v68, v97, v91
	s_delay_alu instid0(TRANS32_DEP_3) | instid1(VALU_DEP_1)
	v_fmac_f32_e32 v68, v95, v92
	s_waitcnt_depctr 0xfff
	v_fmac_f32_e32 v68, v82, v93
	s_delay_alu instid0(VALU_DEP_1) | instskip(NEXT) | instid1(VALU_DEP_1)
	v_fmac_f32_e32 v68, v89, v94
	v_add_f32_e32 v90, 0x358637bd, v68
	s_delay_alu instid0(VALU_DEP_1) | instskip(NEXT) | instid1(VALU_DEP_1)
	v_div_scale_f32 v91, null, v90, v90, 1.0
	v_rcp_f32_e32 v92, v91
	s_waitcnt_depctr 0xfff
	v_fma_f32 v93, -v91, v92, 1.0
	s_delay_alu instid0(VALU_DEP_1) | instskip(SKIP_1) | instid1(VALU_DEP_2)
	v_dual_fmac_f32 v92, v93, v92 :: v_dual_cndmask_b32 v93, v100, v99
	v_cmp_eq_u32_e32 vcc_lo, 3, v66
	v_cndmask_b32_e64 v93, v93, v101, s4
	v_cmp_eq_u32_e64 s4, 4, v66
	s_delay_alu instid0(VALU_DEP_2) | instskip(SKIP_1) | instid1(VALU_DEP_2)
	v_cndmask_b32_e32 v93, v93, v102, vcc_lo
	v_cmp_eq_u32_e32 vcc_lo, 5, v66
	v_cndmask_b32_e64 v93, v93, v97, s4
	v_cmp_eq_u32_e64 s4, 6, v66
	s_delay_alu instid0(VALU_DEP_2) | instskip(SKIP_1) | instid1(VALU_DEP_1)
	v_cndmask_b32_e32 v93, v93, v95, vcc_lo
	v_div_scale_f32 v94, s5, 1.0, v90, 1.0
	s_mov_b32 vcc_lo, s5
	s_delay_alu instid0(VALU_DEP_2) | instskip(NEXT) | instid1(VALU_DEP_2)
	v_cndmask_b32_e64 v82, v93, v82, s4
	v_mul_f32_e32 v96, v94, v92
	s_mov_b32 s4, exec_lo
	s_delay_alu instid0(VALU_DEP_2) | instskip(NEXT) | instid1(VALU_DEP_2)
	v_cndmask_b32_e64 v82, v82, v89, s6
	v_fma_f32 v98, -v91, v96, v94
	s_delay_alu instid0(VALU_DEP_1) | instskip(NEXT) | instid1(VALU_DEP_1)
	v_fmac_f32_e32 v96, v98, v92
	v_fma_f32 v91, -v91, v96, v94
	s_delay_alu instid0(VALU_DEP_1) | instskip(NEXT) | instid1(VALU_DEP_1)
	v_div_fmas_f32 v91, v91, v92, v96
	v_div_fixup_f32 v90, v91, v90, 1.0
	s_delay_alu instid0(VALU_DEP_1) | instskip(NEXT) | instid1(VALU_DEP_1)
	v_mul_f32_e32 v82, v82, v90
	v_mul_f32_e32 v87, v82, v87
	;; [unrolled: 1-line block ×7, first 2 shown]
	v_dual_mul_f32 v86, v82, v83 :: v_dual_and_b32 v91, 0x7f800000, v90
	v_mul_f32_e32 v85, v82, v76
                                        ; implicit-def: $vgpr76
	s_delay_alu instid0(VALU_DEP_2)
	v_cmpx_ne_u32_e32 0x7f800000, v91
	s_xor_b32 s4, exec_lo, s4
; %bb.13:
	v_bfe_u32 v76, v90, 16, 1
	s_delay_alu instid0(VALU_DEP_1)
	v_add3_u32 v76, v90, v76, 0x7fff
                                        ; implicit-def: $vgpr90
; %bb.14:
	s_and_not1_saveexec_b32 s4, s4
; %bb.15:
	v_and_b32_e32 v76, 0xffff, v90
	v_or_b32_e32 v83, 0x10000, v90
	s_delay_alu instid0(VALU_DEP_2) | instskip(NEXT) | instid1(VALU_DEP_2)
	v_cmp_eq_u32_e32 vcc_lo, 0, v76
	v_cndmask_b32_e32 v76, v83, v90, vcc_lo
; %bb.16:
	s_or_b32 exec_lo, exec_lo, s4
	v_and_b32_e32 v83, 0x7f800000, v85
	s_delay_alu instid0(VALU_DEP_1) | instskip(SKIP_1) | instid1(SALU_CYCLE_1)
	v_cmp_ne_u32_e32 vcc_lo, 0x7f800000, v83
                                        ; implicit-def: $vgpr83
	s_and_saveexec_b32 s4, vcc_lo
	s_xor_b32 s4, exec_lo, s4
; %bb.17:
	v_bfe_u32 v83, v85, 16, 1
	s_delay_alu instid0(VALU_DEP_1)
	v_add3_u32 v83, v85, v83, 0x7fff
                                        ; implicit-def: $vgpr85
; %bb.18:
	s_and_not1_saveexec_b32 s4, s4
; %bb.19:
	v_and_b32_e32 v83, 0xffff, v85
	v_or_b32_e32 v90, 0x10000, v85
	s_delay_alu instid0(VALU_DEP_2) | instskip(NEXT) | instid1(VALU_DEP_2)
	v_cmp_eq_u32_e32 vcc_lo, 0, v83
	v_cndmask_b32_e32 v83, v90, v85, vcc_lo
; %bb.20:
	s_or_b32 exec_lo, exec_lo, s4
	v_and_b32_e32 v85, 0x7f800000, v86
	s_delay_alu instid0(VALU_DEP_1) | instskip(SKIP_1) | instid1(SALU_CYCLE_1)
	v_cmp_ne_u32_e32 vcc_lo, 0x7f800000, v85
                                        ; implicit-def: $vgpr85
	s_and_saveexec_b32 s4, vcc_lo
	s_xor_b32 s4, exec_lo, s4
; %bb.21:
	v_bfe_u32 v85, v86, 16, 1
	s_delay_alu instid0(VALU_DEP_1)
	v_add3_u32 v85, v86, v85, 0x7fff
                                        ; implicit-def: $vgpr86
; %bb.22:
	s_and_not1_saveexec_b32 s4, s4
; %bb.23:
	v_and_b32_e32 v85, 0xffff, v86
	v_or_b32_e32 v90, 0x10000, v86
	s_delay_alu instid0(VALU_DEP_2) | instskip(NEXT) | instid1(VALU_DEP_2)
	v_cmp_eq_u32_e32 vcc_lo, 0, v85
	v_cndmask_b32_e32 v85, v90, v86, vcc_lo
; %bb.24:
	s_or_b32 exec_lo, exec_lo, s4
	v_and_b32_e32 v86, 0x7f800000, v89
	s_delay_alu instid0(VALU_DEP_1) | instskip(SKIP_1) | instid1(SALU_CYCLE_1)
	v_cmp_ne_u32_e32 vcc_lo, 0x7f800000, v86
                                        ; implicit-def: $vgpr86
	s_and_saveexec_b32 s4, vcc_lo
	s_xor_b32 s4, exec_lo, s4
; %bb.25:
	v_bfe_u32 v86, v89, 16, 1
	s_delay_alu instid0(VALU_DEP_1)
	v_add3_u32 v86, v89, v86, 0x7fff
                                        ; implicit-def: $vgpr89
; %bb.26:
	s_and_not1_saveexec_b32 s4, s4
; %bb.27:
	v_and_b32_e32 v86, 0xffff, v89
	v_or_b32_e32 v90, 0x10000, v89
	s_delay_alu instid0(VALU_DEP_2) | instskip(NEXT) | instid1(VALU_DEP_2)
	v_cmp_eq_u32_e32 vcc_lo, 0, v86
	v_cndmask_b32_e32 v86, v90, v89, vcc_lo
; %bb.28:
	s_or_b32 exec_lo, exec_lo, s4
	v_and_b32_e32 v89, 0x7f800000, v88
	s_delay_alu instid0(VALU_DEP_1) | instskip(SKIP_1) | instid1(SALU_CYCLE_1)
	v_cmp_ne_u32_e32 vcc_lo, 0x7f800000, v89
                                        ; implicit-def: $vgpr89
	s_and_saveexec_b32 s4, vcc_lo
	s_xor_b32 s4, exec_lo, s4
; %bb.29:
	v_bfe_u32 v89, v88, 16, 1
	s_delay_alu instid0(VALU_DEP_1)
	v_add3_u32 v89, v88, v89, 0x7fff
                                        ; implicit-def: $vgpr88
; %bb.30:
	s_and_not1_saveexec_b32 s4, s4
; %bb.31:
	v_and_b32_e32 v89, 0xffff, v88
	v_or_b32_e32 v90, 0x10000, v88
	s_delay_alu instid0(VALU_DEP_2) | instskip(NEXT) | instid1(VALU_DEP_2)
	v_cmp_eq_u32_e32 vcc_lo, 0, v89
	v_cndmask_b32_e32 v89, v90, v88, vcc_lo
; %bb.32:
	s_or_b32 exec_lo, exec_lo, s4
	v_and_b32_e32 v88, 0x7f800000, v87
	s_delay_alu instid0(VALU_DEP_1) | instskip(SKIP_1) | instid1(SALU_CYCLE_1)
	v_cmp_ne_u32_e32 vcc_lo, 0x7f800000, v88
                                        ; implicit-def: $vgpr88
	s_and_saveexec_b32 s4, vcc_lo
	s_xor_b32 s4, exec_lo, s4
; %bb.33:
	v_bfe_u32 v88, v87, 16, 1
	s_delay_alu instid0(VALU_DEP_1)
	v_add3_u32 v88, v87, v88, 0x7fff
                                        ; implicit-def: $vgpr87
; %bb.34:
	s_and_not1_saveexec_b32 s4, s4
; %bb.35:
	v_and_b32_e32 v88, 0xffff, v87
	v_or_b32_e32 v90, 0x10000, v87
	s_delay_alu instid0(VALU_DEP_2) | instskip(NEXT) | instid1(VALU_DEP_2)
	v_cmp_eq_u32_e32 vcc_lo, 0, v88
	v_cndmask_b32_e32 v88, v90, v87, vcc_lo
; %bb.36:
	s_or_b32 exec_lo, exec_lo, s4
	v_and_b32_e32 v87, 0x7f800000, v84
	s_delay_alu instid0(VALU_DEP_1) | instskip(SKIP_1) | instid1(SALU_CYCLE_1)
	v_cmp_ne_u32_e32 vcc_lo, 0x7f800000, v87
                                        ; implicit-def: $vgpr87
	s_and_saveexec_b32 s4, vcc_lo
	s_xor_b32 s4, exec_lo, s4
; %bb.37:
	v_bfe_u32 v87, v84, 16, 1
	s_delay_alu instid0(VALU_DEP_1)
	v_add3_u32 v87, v84, v87, 0x7fff
                                        ; implicit-def: $vgpr84
; %bb.38:
	s_and_not1_saveexec_b32 s4, s4
; %bb.39:
	v_and_b32_e32 v87, 0xffff, v84
	v_or_b32_e32 v90, 0x10000, v84
	s_delay_alu instid0(VALU_DEP_2) | instskip(NEXT) | instid1(VALU_DEP_2)
	v_cmp_eq_u32_e32 vcc_lo, 0, v87
	v_cndmask_b32_e32 v87, v90, v84, vcc_lo
; %bb.40:
	s_or_b32 exec_lo, exec_lo, s4
	v_and_b32_e32 v84, 0x7f800000, v80
	s_delay_alu instid0(VALU_DEP_1) | instskip(SKIP_1) | instid1(SALU_CYCLE_1)
	v_cmp_ne_u32_e32 vcc_lo, 0x7f800000, v84
                                        ; implicit-def: $vgpr84
	s_and_saveexec_b32 s4, vcc_lo
	s_xor_b32 s4, exec_lo, s4
; %bb.41:
	v_bfe_u32 v84, v80, 16, 1
	s_delay_alu instid0(VALU_DEP_1)
	v_add3_u32 v84, v80, v84, 0x7fff
                                        ; implicit-def: $vgpr80
; %bb.42:
	s_and_not1_saveexec_b32 s4, s4
; %bb.43:
	v_and_b32_e32 v84, 0xffff, v80
	v_or_b32_e32 v90, 0x10000, v80
	s_delay_alu instid0(VALU_DEP_2) | instskip(NEXT) | instid1(VALU_DEP_2)
	v_cmp_eq_u32_e32 vcc_lo, 0, v84
	v_cndmask_b32_e32 v84, v90, v80, vcc_lo
; %bb.44:
	s_or_b32 exec_lo, exec_lo, s4
	s_load_b64 s[36:37], s[0:1], 0x94
	v_lshlrev_b32_e32 v91, 4, v74
	s_delay_alu instid0(VALU_DEP_2)
	v_perm_b32 v90, v84, v87, 0x7060302
	v_dual_mul_f32 v79, v82, v79 :: v_dual_lshlrev_b32 v80, 6, v65
	v_dual_mul_f32 v77, v82, v77 :: v_dual_lshlrev_b32 v92, 11, v66
	v_mul_f32_e32 v84, v82, v70
	v_perm_b32 v89, v88, v89, 0x7060302
	v_perm_b32 v88, v86, v85, 0x7060302
	;; [unrolled: 1-line block ×3, first 2 shown]
	v_mul_f32_e32 v70, v82, v81
	v_or3_b32 v76, v91, v92, v80
	v_dual_mul_f32 v78, v82, v78 :: v_dual_and_b32 v85, 0x7f800000, v84
	v_mul_f32_e32 v83, v82, v72
	v_mul_f32_e32 v81, v82, v71
	;; [unrolled: 1-line block ×3, first 2 shown]
	s_mov_b32 s4, exec_lo
	ds_store_b128 v76, v[87:90]
                                        ; implicit-def: $vgpr69
	v_cmpx_ne_u32_e32 0x7f800000, v85
	s_xor_b32 s4, exec_lo, s4
; %bb.45:
	v_bfe_u32 v69, v84, 16, 1
	s_delay_alu instid0(VALU_DEP_1)
	v_add3_u32 v69, v84, v69, 0x7fff
                                        ; implicit-def: $vgpr84
; %bb.46:
	s_and_not1_saveexec_b32 s4, s4
; %bb.47:
	v_and_b32_e32 v69, 0xffff, v84
	v_or_b32_e32 v71, 0x10000, v84
	s_delay_alu instid0(VALU_DEP_2) | instskip(NEXT) | instid1(VALU_DEP_2)
	v_cmp_eq_u32_e32 vcc_lo, 0, v69
	v_cndmask_b32_e32 v69, v71, v84, vcc_lo
; %bb.48:
	s_or_b32 exec_lo, exec_lo, s4
	v_and_b32_e32 v71, 0x7f800000, v72
	s_delay_alu instid0(VALU_DEP_1) | instskip(SKIP_1) | instid1(SALU_CYCLE_1)
	v_cmp_ne_u32_e32 vcc_lo, 0x7f800000, v71
                                        ; implicit-def: $vgpr71
	s_and_saveexec_b32 s4, vcc_lo
	s_xor_b32 s4, exec_lo, s4
; %bb.49:
	v_bfe_u32 v71, v72, 16, 1
	s_delay_alu instid0(VALU_DEP_1)
	v_add3_u32 v71, v72, v71, 0x7fff
                                        ; implicit-def: $vgpr72
; %bb.50:
	s_and_not1_saveexec_b32 s4, s4
; %bb.51:
	v_and_b32_e32 v71, 0xffff, v72
	v_or_b32_e32 v82, 0x10000, v72
	s_delay_alu instid0(VALU_DEP_2) | instskip(NEXT) | instid1(VALU_DEP_2)
	v_cmp_eq_u32_e32 vcc_lo, 0, v71
	v_cndmask_b32_e32 v71, v82, v72, vcc_lo
; %bb.52:
	s_or_b32 exec_lo, exec_lo, s4
	v_and_b32_e32 v72, 0x7f800000, v81
	s_delay_alu instid0(VALU_DEP_1) | instskip(SKIP_1) | instid1(SALU_CYCLE_1)
	v_cmp_ne_u32_e32 vcc_lo, 0x7f800000, v72
                                        ; implicit-def: $vgpr72
	s_and_saveexec_b32 s4, vcc_lo
	s_xor_b32 s4, exec_lo, s4
; %bb.53:
	v_bfe_u32 v72, v81, 16, 1
	s_delay_alu instid0(VALU_DEP_1)
	v_add3_u32 v72, v81, v72, 0x7fff
                                        ; implicit-def: $vgpr81
; %bb.54:
	s_and_not1_saveexec_b32 s4, s4
; %bb.55:
	v_and_b32_e32 v72, 0xffff, v81
	v_or_b32_e32 v82, 0x10000, v81
	s_delay_alu instid0(VALU_DEP_2) | instskip(NEXT) | instid1(VALU_DEP_2)
	v_cmp_eq_u32_e32 vcc_lo, 0, v72
	v_cndmask_b32_e32 v72, v82, v81, vcc_lo
; %bb.56:
	s_or_b32 exec_lo, exec_lo, s4
	v_and_b32_e32 v81, 0x7f800000, v83
	s_delay_alu instid0(VALU_DEP_1) | instskip(SKIP_1) | instid1(SALU_CYCLE_1)
	v_cmp_ne_u32_e32 vcc_lo, 0x7f800000, v81
                                        ; implicit-def: $vgpr81
	s_and_saveexec_b32 s4, vcc_lo
	s_xor_b32 s4, exec_lo, s4
; %bb.57:
	v_bfe_u32 v81, v83, 16, 1
	s_delay_alu instid0(VALU_DEP_1)
	v_add3_u32 v81, v83, v81, 0x7fff
                                        ; implicit-def: $vgpr83
; %bb.58:
	s_and_not1_saveexec_b32 s4, s4
; %bb.59:
	v_and_b32_e32 v81, 0xffff, v83
	v_or_b32_e32 v82, 0x10000, v83
	s_delay_alu instid0(VALU_DEP_2) | instskip(NEXT) | instid1(VALU_DEP_2)
	v_cmp_eq_u32_e32 vcc_lo, 0, v81
	v_cndmask_b32_e32 v81, v82, v83, vcc_lo
; %bb.60:
	s_or_b32 exec_lo, exec_lo, s4
	v_and_b32_e32 v82, 0x7f800000, v77
	s_delay_alu instid0(VALU_DEP_1) | instskip(SKIP_1) | instid1(SALU_CYCLE_1)
	v_cmp_ne_u32_e32 vcc_lo, 0x7f800000, v82
                                        ; implicit-def: $vgpr82
	s_and_saveexec_b32 s4, vcc_lo
	s_xor_b32 s4, exec_lo, s4
; %bb.61:
	v_bfe_u32 v82, v77, 16, 1
	s_delay_alu instid0(VALU_DEP_1)
	v_add3_u32 v82, v77, v82, 0x7fff
                                        ; implicit-def: $vgpr77
; %bb.62:
	s_and_not1_saveexec_b32 s4, s4
; %bb.63:
	v_and_b32_e32 v82, 0xffff, v77
	v_or_b32_e32 v83, 0x10000, v77
	s_delay_alu instid0(VALU_DEP_2) | instskip(NEXT) | instid1(VALU_DEP_2)
	v_cmp_eq_u32_e32 vcc_lo, 0, v82
	v_cndmask_b32_e32 v82, v83, v77, vcc_lo
; %bb.64:
	s_or_b32 exec_lo, exec_lo, s4
	v_and_b32_e32 v77, 0x7f800000, v78
	s_delay_alu instid0(VALU_DEP_1) | instskip(SKIP_1) | instid1(SALU_CYCLE_1)
	v_cmp_ne_u32_e32 vcc_lo, 0x7f800000, v77
                                        ; implicit-def: $vgpr77
	s_and_saveexec_b32 s4, vcc_lo
	s_xor_b32 s4, exec_lo, s4
; %bb.65:
	v_bfe_u32 v77, v78, 16, 1
	s_delay_alu instid0(VALU_DEP_1)
	v_add3_u32 v77, v78, v77, 0x7fff
                                        ; implicit-def: $vgpr78
; %bb.66:
	s_and_not1_saveexec_b32 s4, s4
; %bb.67:
	v_and_b32_e32 v77, 0xffff, v78
	v_or_b32_e32 v83, 0x10000, v78
	s_delay_alu instid0(VALU_DEP_2) | instskip(NEXT) | instid1(VALU_DEP_2)
	v_cmp_eq_u32_e32 vcc_lo, 0, v77
	v_cndmask_b32_e32 v77, v83, v78, vcc_lo
; %bb.68:
	s_or_b32 exec_lo, exec_lo, s4
	v_and_b32_e32 v78, 0x7f800000, v79
	s_delay_alu instid0(VALU_DEP_1) | instskip(SKIP_1) | instid1(SALU_CYCLE_1)
	v_cmp_ne_u32_e32 vcc_lo, 0x7f800000, v78
                                        ; implicit-def: $vgpr78
	s_and_saveexec_b32 s4, vcc_lo
	s_xor_b32 s4, exec_lo, s4
; %bb.69:
	v_bfe_u32 v78, v79, 16, 1
	s_delay_alu instid0(VALU_DEP_1)
	v_add3_u32 v78, v79, v78, 0x7fff
                                        ; implicit-def: $vgpr79
; %bb.70:
	s_and_not1_saveexec_b32 s4, s4
; %bb.71:
	v_and_b32_e32 v78, 0xffff, v79
	v_or_b32_e32 v83, 0x10000, v79
	s_delay_alu instid0(VALU_DEP_2) | instskip(NEXT) | instid1(VALU_DEP_2)
	v_cmp_eq_u32_e32 vcc_lo, 0, v78
	v_cndmask_b32_e32 v78, v83, v79, vcc_lo
; %bb.72:
	s_or_b32 exec_lo, exec_lo, s4
	v_and_b32_e32 v79, 0x7f800000, v70
	s_delay_alu instid0(VALU_DEP_1) | instskip(SKIP_1) | instid1(SALU_CYCLE_1)
	v_cmp_ne_u32_e32 vcc_lo, 0x7f800000, v79
                                        ; implicit-def: $vgpr79
	s_and_saveexec_b32 s4, vcc_lo
	s_xor_b32 s4, exec_lo, s4
; %bb.73:
	v_bfe_u32 v79, v70, 16, 1
	s_delay_alu instid0(VALU_DEP_1)
	v_add3_u32 v79, v70, v79, 0x7fff
                                        ; implicit-def: $vgpr70
; %bb.74:
	s_and_not1_saveexec_b32 s4, s4
; %bb.75:
	v_and_b32_e32 v79, 0xffff, v70
	v_or_b32_e32 v83, 0x10000, v70
	s_delay_alu instid0(VALU_DEP_2) | instskip(NEXT) | instid1(VALU_DEP_2)
	v_cmp_eq_u32_e32 vcc_lo, 0, v79
	v_cndmask_b32_e32 v79, v83, v70, vcc_lo
; %bb.76:
	s_or_b32 exec_lo, exec_lo, s4
	s_delay_alu instid0(VALU_DEP_1)
	v_perm_b32 v86, v79, v78, 0x7060302
	v_perm_b32 v85, v77, v82, 0x7060302
	;; [unrolled: 1-line block ×4, first 2 shown]
	v_lshl_or_b32 v82, v66, 11, v80
	ds_store_b128 v76, v[83:86] offset:1024
	s_waitcnt lgkmcnt(0)
	s_barrier
	buffer_gl0_inv
	ds_load_b128 v[69:72], v82
	ds_load_b128 v[83:86], v82 offset:16
	s_waitcnt lgkmcnt(1)
	v_lshrrev_b32_e32 v66, 16, v69
	s_waitcnt lgkmcnt(0)
	v_lshrrev_b32_e32 v91, 16, v83
	v_lshlrev_b32_e32 v78, 2, v74
	v_lshrrev_b32_e32 v95, 16, v70
	v_lshrrev_b32_e32 v98, 16, v84
	;; [unrolled: 1-line block ×4, first 2 shown]
	v_cmp_eq_u32_e32 vcc_lo, 1, v78
	v_lshrrev_b32_e32 v97, 16, v72
	v_lshrrev_b32_e32 v100, 16, v86
	v_cndmask_b32_e32 v87, v83, v91, vcc_lo
	v_or_b32_e32 v79, 1, v78
	v_cndmask_b32_e32 v81, v69, v66, vcc_lo
	v_cmp_eq_u32_e64 s5, 2, v78
	v_cmp_eq_u32_e64 s8, 3, v78
	;; [unrolled: 1-line block ×5, first 2 shown]
	v_cndmask_b32_e64 v81, v81, v70, s5
	v_cndmask_b32_e64 v87, v87, v84, s5
	v_cmp_eq_u32_e64 s9, 3, v79
	v_cndmask_b32_e64 v88, v69, v66, s4
	v_or_b32_e32 v77, 2, v78
	v_cndmask_b32_e64 v81, v81, v95, s8
	v_cndmask_b32_e64 v87, v87, v98, s8
	;; [unrolled: 1-line block ×4, first 2 shown]
	v_cmp_eq_u32_e64 s11, 5, v78
	v_cndmask_b32_e64 v81, v81, v71, s10
	v_cndmask_b32_e64 v87, v87, v85, s10
	v_cmp_eq_u32_e64 s12, 4, v79
	v_cndmask_b32_e64 v88, v88, v95, s9
	v_cmp_eq_u32_e64 s6, 1, v77
	v_cndmask_b32_e64 v89, v89, v84, s7
	v_cndmask_b32_e64 v81, v81, v96, s11
	v_cmp_eq_u32_e64 s13, 6, v78
	v_cndmask_b32_e64 v88, v88, v71, s12
	;; [unrolled: 3-line block ×3, first 2 shown]
	v_cndmask_b32_e64 v89, v89, v98, s9
	v_cndmask_b32_e64 v81, v81, v72, s13
	v_cmp_eq_u32_e64 s16, 7, v78
	v_cndmask_b32_e64 v88, v88, v96, s15
	v_cndmask_b32_e64 v87, v87, v86, s13
	v_cmp_eq_u32_e64 s17, 6, v79
	v_cmp_eq_u32_e64 s18, 2, v77
	v_cndmask_b32_e64 v89, v89, v85, s12
	v_cndmask_b32_e64 v101, v81, v97, s16
	v_cndmask_b32_e64 v102, v87, v100, s16
	v_cndmask_b32_e64 v88, v88, v72, s17
	v_cndmask_b32_e64 v81, v90, v70, s18
	v_cndmask_b32_e64 v87, v83, v91, s6
	v_cmp_eq_u32_e64 s19, 7, v79
	v_cmp_eq_u32_e64 s20, 3, v77
	;; [unrolled: 1-line block ×4, first 2 shown]
	v_cndmask_b32_e64 v87, v87, v84, s18
	v_cndmask_b32_e64 v103, v88, v97, s19
	v_cndmask_b32_e64 v88, v89, v99, s15
	v_cndmask_b32_e64 v89, v81, v95, s20
	v_or_b32_e32 v81, 3, v78
	v_cndmask_b32_e64 v93, v87, v98, s20
	v_cmp_eq_u32_e64 s25, 6, v77
	v_cndmask_b32_e64 v104, v88, v86, s17
	v_cndmask_b32_e64 v92, v89, v71, s21
	v_cmp_eq_u32_e64 s22, 1, v81
	ds_load_b128 v[87:90], v82 offset:1024
	v_cmp_eq_u32_e64 s24, 2, v81
	v_cmp_eq_u32_e64 s26, 3, v81
	v_cndmask_b32_e64 v105, v92, v96, s23
	v_cndmask_b32_e64 v66, v69, v66, s22
	;; [unrolled: 1-line block ×4, first 2 shown]
	ds_load_b128 v[91:94], v82 offset:1040
	v_cmp_eq_u32_e64 s27, 4, v81
	v_cndmask_b32_e64 v66, v66, v70, s24
	v_cmp_eq_u32_e64 s28, 7, v77
	v_cndmask_b32_e64 v70, v83, v84, s24
	v_cndmask_b32_e64 v84, v105, v72, s25
	v_cmp_eq_u32_e64 s29, 5, v81
	v_cndmask_b32_e64 v66, v66, v95, s26
	v_cmp_eq_u32_e64 s30, 6, v81
	v_cndmask_b32_e64 v70, v70, v98, s26
	v_cndmask_b32_e64 v69, v69, v99, s23
	;; [unrolled: 1-line block ×4, first 2 shown]
	s_waitcnt lgkmcnt(1)
	v_lshrrev_b32_e32 v95, 16, v87
	v_cndmask_b32_e64 v70, v70, v85, s27
	v_cndmask_b32_e64 v71, v84, v97, s28
	;; [unrolled: 1-line block ×4, first 2 shown]
	v_cndmask_b32_e32 v84, v87, v95, vcc_lo
	v_cndmask_b32_e64 v70, v70, v99, s29
	s_waitcnt lgkmcnt(0)
	v_lshrrev_b32_e32 v85, 16, v91
	v_lshrrev_b32_e32 v96, 16, v88
	v_cndmask_b32_e64 v98, v87, v95, s4
	v_cndmask_b32_e64 v84, v84, v88, s5
	;; [unrolled: 1-line block ×3, first 2 shown]
	v_cndmask_b32_e32 v99, v91, v85, vcc_lo
	v_cmp_eq_u32_e32 vcc_lo, 7, v81
	v_cndmask_b32_e64 v66, v66, v72, s30
	v_cndmask_b32_e64 v72, v84, v96, s8
	;; [unrolled: 1-line block ×3, first 2 shown]
	v_lshrrev_b32_e32 v98, 16, v92
	v_cndmask_b32_e32 v70, v70, v100, vcc_lo
	v_cndmask_b32_e64 v86, v99, v92, s5
	v_cndmask_b32_e64 v69, v69, v100, s28
	v_lshrrev_b32_e32 v100, 16, v93
	v_cndmask_b32_e64 v72, v72, v89, s10
	v_lshrrev_b32_e32 v99, 16, v89
	v_cndmask_b32_e64 v86, v86, v98, s8
	v_perm_b32 v71, v69, v71, 0x5040100
	v_cndmask_b32_e64 v84, v84, v96, s9
	s_delay_alu instid0(VALU_DEP_3) | instskip(NEXT) | instid1(VALU_DEP_2)
	v_cndmask_b32_e64 v86, v86, v93, s10
	v_cndmask_b32_e64 v84, v84, v89, s12
	s_delay_alu instid0(VALU_DEP_2) | instskip(NEXT) | instid1(VALU_DEP_1)
	v_cndmask_b32_e64 v86, v86, v100, s11
	v_cndmask_b32_e64 v69, v86, v94, s13
	;; [unrolled: 1-line block ×5, first 2 shown]
	s_delay_alu instid0(VALU_DEP_3) | instskip(NEXT) | instid1(VALU_DEP_3)
	v_cndmask_b32_e64 v86, v86, v88, s18
	v_cndmask_b32_e64 v87, v87, v88, s24
	s_delay_alu instid0(VALU_DEP_3) | instskip(NEXT) | instid1(VALU_DEP_3)
	v_cndmask_b32_e64 v88, v95, v92, s24
	v_cndmask_b32_e64 v86, v86, v96, s20
	;; [unrolled: 3-line block ×7, first 2 shown]
	s_delay_alu instid0(VALU_DEP_3) | instskip(SKIP_2) | instid1(VALU_DEP_2)
	v_cndmask_b32_e64 v88, v88, v94, s30
	v_cndmask_b32_e32 v66, v66, v97, vcc_lo
	v_cndmask_b32_e64 v97, v72, v99, s11
	v_perm_b32 v72, v70, v66, 0x5040100
	v_perm_b32 v70, v83, v103, 0x5040100
	v_cndmask_b32_e64 v103, v91, v85, s6
	v_cndmask_b32_e64 v85, v91, v85, s4
	;; [unrolled: 1-line block ×4, first 2 shown]
	v_lshrrev_b32_e32 v97, 16, v90
	v_cndmask_b32_e64 v91, v103, v92, s18
	v_cndmask_b32_e64 v85, v85, v92, s7
	;; [unrolled: 1-line block ×3, first 2 shown]
	s_mov_b32 s4, exec_lo
	v_cndmask_b32_e64 v83, v84, v97, s16
	v_cndmask_b32_e64 v91, v91, v98, s20
	;; [unrolled: 1-line block ×3, first 2 shown]
	v_lshrrev_b32_e32 v84, 16, v94
	v_cndmask_b32_e64 v66, v66, v97, s19
	v_cndmask_b32_e64 v90, v86, v97, s28
	;; [unrolled: 1-line block ×4, first 2 shown]
	v_dual_cndmask_b32 v86, v87, v97 :: v_dual_cndmask_b32 v87, v88, v84
	v_cndmask_b32_e64 v91, v69, v84, s16
	s_delay_alu instid0(VALU_DEP_4) | instskip(NEXT) | instid1(VALU_DEP_4)
	v_cndmask_b32_e64 v89, v89, v100, s23
	v_cndmask_b32_e64 v85, v85, v100, s15
	v_perm_b32 v69, v102, v101, 0x5040100
	v_perm_b32 v86, v87, v86, 0x5040100
	;; [unrolled: 1-line block ×3, first 2 shown]
	v_cndmask_b32_e64 v89, v89, v94, s25
	v_cndmask_b32_e64 v85, v85, v94, s17
	s_mul_i32 s9, s37, 13
	s_delay_alu instid0(VALU_DEP_2) | instskip(NEXT) | instid1(VALU_DEP_2)
	v_cndmask_b32_e64 v88, v89, v84, s28
	v_cndmask_b32_e64 v89, v85, v84, s19
	s_delay_alu instid0(VALU_DEP_2) | instskip(NEXT) | instid1(VALU_DEP_2)
	v_perm_b32 v85, v88, v90, 0x5040100
	v_perm_b32 v84, v89, v66, 0x5040100
	ds_store_b128 v76, v[69:72]
	ds_store_b128 v76, v[83:86] offset:1024
	v_cmpx_gt_u32_e32 13, v0
	s_cbranch_execz .LBB1690_78
; %bb.77:
	s_mul_i32 s5, s9, s34
	s_load_b128 s[16:19], s[0:1], 0x58
	v_add3_u32 v69, s5, s31, v65
	s_delay_alu instid0(VALU_DEP_1) | instskip(NEXT) | instid1(VALU_DEP_1)
	v_mad_u64_u32 v[65:66], null, v69, s36, s[14:15]
	v_ashrrev_i32_e32 v66, 31, v65
	s_delay_alu instid0(VALU_DEP_1) | instskip(SKIP_1) | instid1(VALU_DEP_1)
	v_lshlrev_b64 v[65:66], 2, v[65:66]
	s_waitcnt lgkmcnt(0)
	v_add_co_u32 v69, vcc_lo, s18, v65
	s_delay_alu instid0(VALU_DEP_2)
	v_add_co_ci_u32_e32 v70, vcc_lo, s19, v66, vcc_lo
	v_add_co_u32 v65, vcc_lo, s16, v65
	v_add_co_ci_u32_e32 v66, vcc_lo, s17, v66, vcc_lo
	global_store_b32 v[69:70], v67, off
	global_store_b32 v[65:66], v68, off
.LBB1690_78:
	s_or_b32 exec_lo, exec_lo, s4
	s_waitcnt lgkmcnt(0)
	s_waitcnt_vscnt null, 0x0
	s_barrier
	buffer_gl0_inv
	ds_load_b128 v[83:86], v80
	ds_load_b128 v[87:90], v80 offset:16
	ds_load_b128 v[95:98], v80 offset:2064
	;; [unrolled: 1-line block ×3, first 2 shown]
	v_mov_b32_e32 v65, 0
	ds_load_b128 v[103:106], v80 offset:4112
	ds_load_b128 v[99:102], v80 offset:4096
	;; [unrolled: 1-line block ×4, first 2 shown]
	v_mov_b32_e32 v66, v65
	v_mov_b32_e32 v67, v65
	;; [unrolled: 1-line block ×7, first 2 shown]
	s_waitcnt lgkmcnt(6)
	s_delay_alu instid0(VALU_DEP_1)
	v_wmma_f32_16x16x16_bf16 v[65:72], v[57:64], v[83:90], v[65:72]
	ds_load_b128 v[61:64], v80 offset:8208
	ds_load_b128 v[57:60], v80 offset:8192
	s_waitcnt lgkmcnt(6)
	v_wmma_f32_16x16x16_bf16 v[65:72], v[41:48], v[91:98], v[65:72]
	ds_load_b128 v[45:48], v80 offset:10256
	ds_load_b128 v[41:44], v80 offset:10240
	s_waitcnt lgkmcnt(6)
	;; [unrolled: 4-line block ×4, first 2 shown]
	v_wmma_f32_16x16x16_bf16 v[65:72], v[1:8], v[57:64], v[65:72]
	s_waitcnt lgkmcnt(4)
	s_delay_alu instid0(VALU_DEP_1) | instskip(SKIP_1) | instid1(VALU_DEP_1)
	v_wmma_f32_16x16x16_bf16 v[65:72], v[9:16], v[41:48], v[65:72]
	s_waitcnt lgkmcnt(2)
	v_wmma_f32_16x16x16_bf16 v[65:72], v[17:24], v[33:40], v[65:72]
	s_waitcnt lgkmcnt(0)
	s_delay_alu instid0(VALU_DEP_1) | instskip(NEXT) | instid1(VALU_DEP_1)
	v_wmma_f32_16x16x16_bf16 v[65:72], v[49:56], v[25:32], v[65:72]
	v_and_b32_e32 v1, 0x7f800000, v65
	s_delay_alu instid0(VALU_DEP_1) | instskip(SKIP_1) | instid1(SALU_CYCLE_1)
	v_cmp_ne_u32_e32 vcc_lo, 0x7f800000, v1
                                        ; implicit-def: $vgpr1
	s_and_saveexec_b32 s4, vcc_lo
	s_xor_b32 s4, exec_lo, s4
; %bb.79:
	v_bfe_u32 v1, v65, 16, 1
	s_delay_alu instid0(VALU_DEP_1)
	v_add3_u32 v1, v65, v1, 0x7fff
; %bb.80:
	s_and_not1_saveexec_b32 s4, s4
; %bb.81:
	v_and_b32_e32 v1, 0xffff, v65
	v_or_b32_e32 v2, 0x10000, v65
	s_delay_alu instid0(VALU_DEP_2) | instskip(NEXT) | instid1(VALU_DEP_2)
	v_cmp_eq_u32_e32 vcc_lo, 0, v1
	v_cndmask_b32_e32 v1, v2, v65, vcc_lo
; %bb.82:
	s_or_b32 exec_lo, exec_lo, s4
	v_and_b32_e32 v2, 0x7f800000, v66
	s_delay_alu instid0(VALU_DEP_1) | instskip(SKIP_1) | instid1(SALU_CYCLE_1)
	v_cmp_ne_u32_e32 vcc_lo, 0x7f800000, v2
                                        ; implicit-def: $vgpr2
	s_and_saveexec_b32 s4, vcc_lo
	s_xor_b32 s4, exec_lo, s4
; %bb.83:
	v_bfe_u32 v2, v66, 16, 1
	s_delay_alu instid0(VALU_DEP_1)
	v_add3_u32 v2, v66, v2, 0x7fff
; %bb.84:
	s_and_not1_saveexec_b32 s4, s4
; %bb.85:
	v_and_b32_e32 v2, 0xffff, v66
	v_or_b32_e32 v3, 0x10000, v66
	s_delay_alu instid0(VALU_DEP_2) | instskip(NEXT) | instid1(VALU_DEP_2)
	v_cmp_eq_u32_e32 vcc_lo, 0, v2
	v_cndmask_b32_e32 v2, v3, v66, vcc_lo
; %bb.86:
	s_or_b32 exec_lo, exec_lo, s4
	v_and_b32_e32 v3, 0x7f800000, v67
	s_delay_alu instid0(VALU_DEP_1) | instskip(SKIP_1) | instid1(SALU_CYCLE_1)
	v_cmp_ne_u32_e32 vcc_lo, 0x7f800000, v3
                                        ; implicit-def: $vgpr3
	s_and_saveexec_b32 s4, vcc_lo
	s_xor_b32 s4, exec_lo, s4
; %bb.87:
	v_bfe_u32 v3, v67, 16, 1
	s_delay_alu instid0(VALU_DEP_1)
	v_add3_u32 v3, v67, v3, 0x7fff
; %bb.88:
	s_and_not1_saveexec_b32 s4, s4
; %bb.89:
	v_and_b32_e32 v3, 0xffff, v67
	v_or_b32_e32 v4, 0x10000, v67
	s_delay_alu instid0(VALU_DEP_2) | instskip(NEXT) | instid1(VALU_DEP_2)
	v_cmp_eq_u32_e32 vcc_lo, 0, v3
	v_cndmask_b32_e32 v3, v4, v67, vcc_lo
; %bb.90:
	s_or_b32 exec_lo, exec_lo, s4
	v_and_b32_e32 v4, 0x7f800000, v68
	s_delay_alu instid0(VALU_DEP_1) | instskip(SKIP_1) | instid1(SALU_CYCLE_1)
	v_cmp_ne_u32_e32 vcc_lo, 0x7f800000, v4
                                        ; implicit-def: $vgpr4
	s_and_saveexec_b32 s4, vcc_lo
	s_xor_b32 s4, exec_lo, s4
; %bb.91:
	v_bfe_u32 v4, v68, 16, 1
	s_delay_alu instid0(VALU_DEP_1)
	v_add3_u32 v4, v68, v4, 0x7fff
; %bb.92:
	s_and_not1_saveexec_b32 s4, s4
; %bb.93:
	v_and_b32_e32 v4, 0xffff, v68
	v_or_b32_e32 v5, 0x10000, v68
	s_delay_alu instid0(VALU_DEP_2) | instskip(NEXT) | instid1(VALU_DEP_2)
	v_cmp_eq_u32_e32 vcc_lo, 0, v4
	v_cndmask_b32_e32 v4, v5, v68, vcc_lo
; %bb.94:
	s_or_b32 exec_lo, exec_lo, s4
	v_and_b32_e32 v5, 0x7f800000, v69
	s_delay_alu instid0(VALU_DEP_1) | instskip(SKIP_1) | instid1(SALU_CYCLE_1)
	v_cmp_ne_u32_e32 vcc_lo, 0x7f800000, v5
                                        ; implicit-def: $vgpr5
	s_and_saveexec_b32 s4, vcc_lo
	s_xor_b32 s4, exec_lo, s4
; %bb.95:
	v_bfe_u32 v5, v69, 16, 1
	s_delay_alu instid0(VALU_DEP_1)
	v_add3_u32 v5, v69, v5, 0x7fff
; %bb.96:
	s_and_not1_saveexec_b32 s4, s4
; %bb.97:
	v_and_b32_e32 v5, 0xffff, v69
	v_or_b32_e32 v6, 0x10000, v69
	s_delay_alu instid0(VALU_DEP_2) | instskip(NEXT) | instid1(VALU_DEP_2)
	v_cmp_eq_u32_e32 vcc_lo, 0, v5
	v_cndmask_b32_e32 v5, v6, v69, vcc_lo
; %bb.98:
	s_or_b32 exec_lo, exec_lo, s4
	v_and_b32_e32 v6, 0x7f800000, v70
	s_delay_alu instid0(VALU_DEP_1) | instskip(SKIP_1) | instid1(SALU_CYCLE_1)
	v_cmp_ne_u32_e32 vcc_lo, 0x7f800000, v6
                                        ; implicit-def: $vgpr6
	s_and_saveexec_b32 s4, vcc_lo
	s_xor_b32 s4, exec_lo, s4
; %bb.99:
	v_bfe_u32 v6, v70, 16, 1
	s_delay_alu instid0(VALU_DEP_1)
	v_add3_u32 v6, v70, v6, 0x7fff
; %bb.100:
	s_and_not1_saveexec_b32 s4, s4
; %bb.101:
	v_and_b32_e32 v6, 0xffff, v70
	v_or_b32_e32 v7, 0x10000, v70
	s_delay_alu instid0(VALU_DEP_2) | instskip(NEXT) | instid1(VALU_DEP_2)
	v_cmp_eq_u32_e32 vcc_lo, 0, v6
	v_cndmask_b32_e32 v6, v7, v70, vcc_lo
; %bb.102:
	s_or_b32 exec_lo, exec_lo, s4
	v_and_b32_e32 v7, 0x7f800000, v71
	s_delay_alu instid0(VALU_DEP_1) | instskip(SKIP_1) | instid1(SALU_CYCLE_1)
	v_cmp_ne_u32_e32 vcc_lo, 0x7f800000, v7
                                        ; implicit-def: $vgpr7
	s_and_saveexec_b32 s4, vcc_lo
	s_xor_b32 s4, exec_lo, s4
; %bb.103:
	v_bfe_u32 v7, v71, 16, 1
	s_delay_alu instid0(VALU_DEP_1)
	v_add3_u32 v7, v71, v7, 0x7fff
; %bb.104:
	s_and_not1_saveexec_b32 s4, s4
; %bb.105:
	v_and_b32_e32 v7, 0xffff, v71
	v_or_b32_e32 v8, 0x10000, v71
	s_delay_alu instid0(VALU_DEP_2) | instskip(NEXT) | instid1(VALU_DEP_2)
	v_cmp_eq_u32_e32 vcc_lo, 0, v7
	v_cndmask_b32_e32 v7, v8, v71, vcc_lo
; %bb.106:
	s_or_b32 exec_lo, exec_lo, s4
	v_and_b32_e32 v8, 0x7f800000, v72
	s_delay_alu instid0(VALU_DEP_1) | instskip(SKIP_1) | instid1(SALU_CYCLE_1)
	v_cmp_ne_u32_e32 vcc_lo, 0x7f800000, v8
                                        ; implicit-def: $vgpr8
	s_and_saveexec_b32 s4, vcc_lo
	s_xor_b32 s4, exec_lo, s4
; %bb.107:
	v_bfe_u32 v8, v72, 16, 1
	s_delay_alu instid0(VALU_DEP_1)
	v_add3_u32 v8, v72, v8, 0x7fff
                                        ; implicit-def: $vgpr65_vgpr66_vgpr67_vgpr68_vgpr69_vgpr70_vgpr71_vgpr72
; %bb.108:
	s_and_not1_saveexec_b32 s4, s4
; %bb.109:
	v_and_b32_e32 v8, 0xffff, v72
	v_or_b32_e32 v9, 0x10000, v72
	s_delay_alu instid0(VALU_DEP_2) | instskip(NEXT) | instid1(VALU_DEP_2)
	v_cmp_eq_u32_e32 vcc_lo, 0, v8
	v_cndmask_b32_e32 v8, v9, v72, vcc_lo
; %bb.110:
	s_or_b32 exec_lo, exec_lo, s4
	s_delay_alu instid0(VALU_DEP_1)
	v_perm_b32 v7, v8, v7, 0x7060302
	v_perm_b32 v6, v6, v5, 0x7060302
	;; [unrolled: 1-line block ×4, first 2 shown]
	s_barrier
	buffer_gl0_inv
	v_cmp_eq_u32_e32 vcc_lo, 1, v78
	ds_store_b128 v76, v[4:7]
	s_waitcnt lgkmcnt(0)
	s_barrier
	buffer_gl0_inv
	ds_load_b128 v[1:4], v82
	ds_load_b128 v[5:8], v82 offset:16
	v_cmp_eq_u32_e64 s4, 1, v79
	v_cmp_eq_u32_e64 s5, 2, v78
	;; [unrolled: 1-line block ×5, first 2 shown]
	s_waitcnt lgkmcnt(1)
	v_lshrrev_b32_e32 v9, 16, v1
	s_waitcnt lgkmcnt(0)
	v_lshrrev_b32_e32 v13, 16, v5
	v_lshrrev_b32_e32 v10, 16, v2
	;; [unrolled: 1-line block ×4, first 2 shown]
	v_cndmask_b32_e64 v19, v1, v9, s4
	v_cndmask_b32_e32 v18, v5, v13, vcc_lo
	v_cndmask_b32_e64 v20, v5, v13, s4
	v_cndmask_b32_e32 v17, v1, v9, vcc_lo
	v_cmp_eq_u32_e32 vcc_lo, 2, v79
	v_lshrrev_b32_e32 v15, 16, v7
	v_cmp_eq_u32_e64 s4, 1, v77
	v_lshrrev_b32_e32 v12, 16, v4
	v_lshrrev_b32_e32 v16, 16, v8
	v_cndmask_b32_e32 v20, v20, v6, vcc_lo
	v_cndmask_b32_e64 v17, v17, v2, s5
	v_cndmask_b32_e32 v19, v19, v2, vcc_lo
	v_cndmask_b32_e64 v18, v18, v6, s5
	v_cmp_eq_u32_e32 vcc_lo, 4, v78
	v_cmp_eq_u32_e64 s5, 3, v79
	v_cndmask_b32_e64 v17, v17, v10, s6
	v_cndmask_b32_e64 v21, v1, v9, s4
	;; [unrolled: 1-line block ×5, first 2 shown]
	v_cndmask_b32_e32 v17, v17, v3, vcc_lo
	v_cndmask_b32_e64 v20, v20, v14, s5
	v_cndmask_b32_e32 v18, v18, v7, vcc_lo
	v_cmp_eq_u32_e32 vcc_lo, 4, v79
	v_cmp_eq_u32_e64 s5, 5, v79
	v_cmp_eq_u32_e64 s4, 2, v81
	v_cndmask_b32_e64 v21, v21, v2, s8
	v_cmp_eq_u32_e64 s6, 5, v78
	v_cndmask_b32_e32 v19, v19, v3, vcc_lo
	v_cndmask_b32_e32 v20, v20, v7, vcc_lo
	v_cmp_eq_u32_e32 vcc_lo, 6, v79
	s_delay_alu instid0(VALU_DEP_4) | instskip(NEXT) | instid1(VALU_DEP_4)
	v_cndmask_b32_e64 v17, v17, v11, s6
	v_cndmask_b32_e64 v19, v19, v11, s5
	s_delay_alu instid0(VALU_DEP_4) | instskip(SKIP_1) | instid1(VALU_DEP_3)
	v_cndmask_b32_e64 v20, v20, v15, s5
	v_cmp_eq_u32_e64 s5, 1, v81
	v_cndmask_b32_e32 v19, v19, v4, vcc_lo
	v_cndmask_b32_e64 v18, v18, v15, s6
	s_delay_alu instid0(VALU_DEP_3)
	v_cndmask_b32_e64 v1, v1, v9, s5
	v_cndmask_b32_e64 v5, v5, v13, s5
	v_cmp_eq_u32_e64 s5, 3, v77
	v_cndmask_b32_e64 v13, v22, v6, s8
	v_cmp_eq_u32_e64 s8, 3, v81
	v_cndmask_b32_e64 v1, v1, v2, s4
	v_cndmask_b32_e64 v2, v5, v6, s4
	;; [unrolled: 1-line block ×3, first 2 shown]
	v_cmp_eq_u32_e64 s4, 4, v77
	v_cndmask_b32_e64 v6, v13, v14, s5
	v_cndmask_b32_e64 v1, v1, v10, s8
	v_cmp_eq_u32_e64 s5, 4, v81
	v_cndmask_b32_e64 v2, v2, v14, s8
	v_cndmask_b32_e64 v5, v9, v3, s4
	;; [unrolled: 3-line block ×3, first 2 shown]
	v_cndmask_b32_e64 v2, v2, v7, s5
	v_cmp_eq_u32_e64 s4, 5, v81
	v_cmp_eq_u32_e64 s6, 6, v78
	v_cndmask_b32_e64 v5, v5, v11, s8
	v_cmp_eq_u32_e64 s5, 6, v77
	v_cndmask_b32_e64 v3, v6, v15, s8
	v_cndmask_b32_e64 v1, v1, v11, s4
	v_cmp_eq_u32_e64 s8, 6, v81
	v_cndmask_b32_e64 v2, v2, v15, s4
	v_cndmask_b32_e64 v17, v17, v4, s6
	v_cndmask_b32_e64 v18, v18, v8, s6
	v_cmp_eq_u32_e64 s6, 7, v78
	v_cndmask_b32_e64 v5, v5, v4, s5
	;; [unrolled: 4-line block ×3, first 2 shown]
	v_cmp_eq_u32_e64 s5, 7, v77
	v_cndmask_b32_e32 v4, v20, v8, vcc_lo
	v_cndmask_b32_e64 v17, v17, v12, s6
	v_cndmask_b32_e64 v19, v19, v12, s7
	;; [unrolled: 1-line block ×8, first 2 shown]
	v_cmp_gt_u32_e32 vcc_lo, 32, v0
	v_perm_b32 v4, v2, v1, 0x5040100
	v_perm_b32 v3, v3, v5, 0x5040100
	;; [unrolled: 1-line block ×4, first 2 shown]
	s_and_b32 s2, vcc_lo, s2
	ds_store_b128 v76, v[1:4]
	s_waitcnt lgkmcnt(0)
	s_barrier
	buffer_gl0_inv
	s_and_saveexec_b32 s4, s2
	s_cbranch_execz .LBB1690_2
; %bb.111:
	s_load_b64 s[4:5], s[0:1], 0x68
	v_lshlrev_b32_e32 v0, 10, v0
	v_lshlrev_b32_e32 v1, 4, v75
	s_lshl_b32 s0, s36, 6
	v_add_nc_u32_e32 v18, s31, v74
	s_mul_i32 s1, s0, s34
	s_delay_alu instid0(VALU_DEP_2) | instskip(SKIP_1) | instid1(VALU_DEP_2)
	v_and_or_b32 v0, 0x3800, v0, v1
	s_mul_i32 s6, s1, s9
	v_mul_lo_u32 v1, v18, s0
	s_ashr_i32 s7, s6, 31
	v_add_nc_u32_e32 v2, 2, v18
	v_lshl_or_b32 v19, v74, 6, v0
	s_lshl_b64 s[6:7], s[6:7], 1
	v_add_nc_u32_e32 v8, 4, v18
	v_add_nc_u32_e32 v15, 6, v18
	v_mul_lo_u32 v7, v2, s0
	ds_load_b128 v[3:6], v19
	v_ashrrev_i32_e32 v2, 31, v1
	v_mul_lo_u32 v11, v8, s0
	s_waitcnt lgkmcnt(0)
	s_add_u32 s1, s4, s6
	s_addc_u32 s2, s5, s7
	s_lshl_b32 s4, s14, 6
	v_lshlrev_b64 v[9:10], 1, v[1:2]
	s_ashr_i32 s5, s4, 31
	v_ashrrev_i32_e32 v8, 31, v7
	s_lshl_b64 s[4:5], s[4:5], 1
	v_ashrrev_i32_e32 v12, 31, v11
	s_add_u32 s1, s1, s4
	s_addc_u32 s2, s2, s5
	v_add_co_u32 v1, s1, s1, v73
	s_delay_alu instid0(VALU_DEP_1) | instskip(SKIP_1) | instid1(VALU_DEP_3)
	v_add_co_ci_u32_e64 v2, null, s2, 0, s1
	v_mul_lo_u32 v15, v15, s0
	v_add_co_u32 v13, vcc_lo, v1, v9
	s_delay_alu instid0(VALU_DEP_3)
	v_add_co_ci_u32_e32 v14, vcc_lo, v2, v10, vcc_lo
	v_lshlrev_b64 v[16:17], 1, v[7:8]
	ds_load_b128 v[7:10], v19 offset:128
	global_store_b128 v[13:14], v[3:6], off
	v_add_nc_u32_e32 v5, 8, v18
	v_lshlrev_b64 v[3:4], 1, v[11:12]
	v_add_co_u32 v23, vcc_lo, v1, v16
	v_ashrrev_i32_e32 v16, 31, v15
	s_delay_alu instid0(VALU_DEP_4) | instskip(SKIP_3) | instid1(VALU_DEP_3)
	v_mul_lo_u32 v25, v5, s0
	v_add_nc_u32_e32 v5, 10, v18
	v_add_co_ci_u32_e32 v24, vcc_lo, v2, v17, vcc_lo
	v_add_co_u32 v27, vcc_lo, v1, v3
	v_mul_lo_u32 v29, v5, s0
	v_add_co_ci_u32_e32 v28, vcc_lo, v2, v4, vcc_lo
	v_lshlrev_b64 v[31:32], 1, v[15:16]
	ds_load_b128 v[3:6], v19 offset:256
	ds_load_b128 v[11:14], v19 offset:384
	;; [unrolled: 1-line block ×4, first 2 shown]
	v_ashrrev_i32_e32 v26, 31, v25
	v_ashrrev_i32_e32 v30, 31, v29
	v_add_co_u32 v31, vcc_lo, v1, v31
	s_delay_alu instid0(VALU_DEP_3) | instskip(SKIP_1) | instid1(VALU_DEP_4)
	v_lshlrev_b64 v[25:26], 1, v[25:26]
	v_add_co_ci_u32_e32 v32, vcc_lo, v2, v32, vcc_lo
	v_lshlrev_b64 v[29:30], 1, v[29:30]
	s_delay_alu instid0(VALU_DEP_3) | instskip(NEXT) | instid1(VALU_DEP_4)
	v_add_co_u32 v25, vcc_lo, v1, v25
	v_add_co_ci_u32_e32 v26, vcc_lo, v2, v26, vcc_lo
	s_delay_alu instid0(VALU_DEP_3) | instskip(NEXT) | instid1(VALU_DEP_4)
	v_add_co_u32 v29, vcc_lo, v1, v29
	v_add_co_ci_u32_e32 v30, vcc_lo, v2, v30, vcc_lo
	s_waitcnt lgkmcnt(4)
	global_store_b128 v[23:24], v[7:10], off
	s_waitcnt lgkmcnt(3)
	global_store_b128 v[27:28], v[3:6], off
	;; [unrolled: 2-line block ×5, first 2 shown]
	s_and_b32 exec_lo, exec_lo, s3
	s_cbranch_execz .LBB1690_2
; %bb.112:
	ds_load_b128 v[3:6], v0 offset:768
	s_add_i32 s1, s31, 12
	s_delay_alu instid0(SALU_CYCLE_1) | instskip(NEXT) | instid1(SALU_CYCLE_1)
	s_mul_i32 s0, s1, s0
	s_ashr_i32 s1, s0, 31
	s_delay_alu instid0(SALU_CYCLE_1) | instskip(NEXT) | instid1(SALU_CYCLE_1)
	s_lshl_b64 s[0:1], s[0:1], 1
	v_add_co_u32 v0, vcc_lo, v1, s0
	v_add_co_ci_u32_e32 v1, vcc_lo, s1, v2, vcc_lo
	s_waitcnt lgkmcnt(0)
	global_store_b128 v[0:1], v[3:6], off
	s_nop 0
	s_sendmsg sendmsg(MSG_DEALLOC_VGPRS)
	s_endpgm
	.section	.rodata,"a",@progbits
	.p2align	6, 0x0
	.amdhsa_kernel _Z39paged_attention_ll4mi_QKV_mfma16_kernelI14__hip_bfloat16hLN4vllm18Fp8KVCacheDataTypeE1EhLi16ELi64ELi256ELb0ELi13EL8MFMAType0EEvPKT_PKT0_S9_ifPKiSB_SB_iPKfiiiPfSE_PS4_PT2_iSD_SD_
		.amdhsa_group_segment_fixed_size 17472
		.amdhsa_private_segment_fixed_size 0
		.amdhsa_kernarg_size 400
		.amdhsa_user_sgpr_count 13
		.amdhsa_user_sgpr_dispatch_ptr 0
		.amdhsa_user_sgpr_queue_ptr 0
		.amdhsa_user_sgpr_kernarg_segment_ptr 1
		.amdhsa_user_sgpr_dispatch_id 0
		.amdhsa_user_sgpr_private_segment_size 0
		.amdhsa_wavefront_size32 1
		.amdhsa_uses_dynamic_stack 0
		.amdhsa_enable_private_segment 0
		.amdhsa_system_sgpr_workgroup_id_x 1
		.amdhsa_system_sgpr_workgroup_id_y 1
		.amdhsa_system_sgpr_workgroup_id_z 1
		.amdhsa_system_sgpr_workgroup_info 0
		.amdhsa_system_vgpr_workitem_id 0
		.amdhsa_next_free_vgpr 124
		.amdhsa_next_free_sgpr 40
		.amdhsa_reserve_vcc 1
		.amdhsa_float_round_mode_32 0
		.amdhsa_float_round_mode_16_64 0
		.amdhsa_float_denorm_mode_32 3
		.amdhsa_float_denorm_mode_16_64 3
		.amdhsa_dx10_clamp 1
		.amdhsa_ieee_mode 1
		.amdhsa_fp16_overflow 0
		.amdhsa_workgroup_processor_mode 1
		.amdhsa_memory_ordered 1
		.amdhsa_forward_progress 0
		.amdhsa_shared_vgpr_count 0
		.amdhsa_exception_fp_ieee_invalid_op 0
		.amdhsa_exception_fp_denorm_src 0
		.amdhsa_exception_fp_ieee_div_zero 0
		.amdhsa_exception_fp_ieee_overflow 0
		.amdhsa_exception_fp_ieee_underflow 0
		.amdhsa_exception_fp_ieee_inexact 0
		.amdhsa_exception_int_div_zero 0
	.end_amdhsa_kernel
	.section	.text._Z39paged_attention_ll4mi_QKV_mfma16_kernelI14__hip_bfloat16hLN4vllm18Fp8KVCacheDataTypeE1EhLi16ELi64ELi256ELb0ELi13EL8MFMAType0EEvPKT_PKT0_S9_ifPKiSB_SB_iPKfiiiPfSE_PS4_PT2_iSD_SD_,"axG",@progbits,_Z39paged_attention_ll4mi_QKV_mfma16_kernelI14__hip_bfloat16hLN4vllm18Fp8KVCacheDataTypeE1EhLi16ELi64ELi256ELb0ELi13EL8MFMAType0EEvPKT_PKT0_S9_ifPKiSB_SB_iPKfiiiPfSE_PS4_PT2_iSD_SD_,comdat
.Lfunc_end1690:
	.size	_Z39paged_attention_ll4mi_QKV_mfma16_kernelI14__hip_bfloat16hLN4vllm18Fp8KVCacheDataTypeE1EhLi16ELi64ELi256ELb0ELi13EL8MFMAType0EEvPKT_PKT0_S9_ifPKiSB_SB_iPKfiiiPfSE_PS4_PT2_iSD_SD_, .Lfunc_end1690-_Z39paged_attention_ll4mi_QKV_mfma16_kernelI14__hip_bfloat16hLN4vllm18Fp8KVCacheDataTypeE1EhLi16ELi64ELi256ELb0ELi13EL8MFMAType0EEvPKT_PKT0_S9_ifPKiSB_SB_iPKfiiiPfSE_PS4_PT2_iSD_SD_
                                        ; -- End function
	.section	.AMDGPU.csdata,"",@progbits
; Kernel info:
; codeLenInByte = 8908
; NumSgprs: 42
; NumVgprs: 124
; ScratchSize: 0
; MemoryBound: 0
; FloatMode: 240
; IeeeMode: 1
; LDSByteSize: 17472 bytes/workgroup (compile time only)
; SGPRBlocks: 5
; VGPRBlocks: 15
; NumSGPRsForWavesPerEU: 42
; NumVGPRsForWavesPerEU: 124
; Occupancy: 10
; WaveLimiterHint : 1
; COMPUTE_PGM_RSRC2:SCRATCH_EN: 0
; COMPUTE_PGM_RSRC2:USER_SGPR: 13
; COMPUTE_PGM_RSRC2:TRAP_HANDLER: 0
; COMPUTE_PGM_RSRC2:TGID_X_EN: 1
; COMPUTE_PGM_RSRC2:TGID_Y_EN: 1
; COMPUTE_PGM_RSRC2:TGID_Z_EN: 1
; COMPUTE_PGM_RSRC2:TIDIG_COMP_CNT: 0
	.section	.text._Z39paged_attention_ll4mi_QKV_mfma16_kernelI14__hip_bfloat16hLN4vllm18Fp8KVCacheDataTypeE1EhLi16ELi64ELi256ELb0ELi14EL8MFMAType0EEvPKT_PKT0_S9_ifPKiSB_SB_iPKfiiiPfSE_PS4_PT2_iSD_SD_,"axG",@progbits,_Z39paged_attention_ll4mi_QKV_mfma16_kernelI14__hip_bfloat16hLN4vllm18Fp8KVCacheDataTypeE1EhLi16ELi64ELi256ELb0ELi14EL8MFMAType0EEvPKT_PKT0_S9_ifPKiSB_SB_iPKfiiiPfSE_PS4_PT2_iSD_SD_,comdat
	.protected	_Z39paged_attention_ll4mi_QKV_mfma16_kernelI14__hip_bfloat16hLN4vllm18Fp8KVCacheDataTypeE1EhLi16ELi64ELi256ELb0ELi14EL8MFMAType0EEvPKT_PKT0_S9_ifPKiSB_SB_iPKfiiiPfSE_PS4_PT2_iSD_SD_ ; -- Begin function _Z39paged_attention_ll4mi_QKV_mfma16_kernelI14__hip_bfloat16hLN4vllm18Fp8KVCacheDataTypeE1EhLi16ELi64ELi256ELb0ELi14EL8MFMAType0EEvPKT_PKT0_S9_ifPKiSB_SB_iPKfiiiPfSE_PS4_PT2_iSD_SD_
	.globl	_Z39paged_attention_ll4mi_QKV_mfma16_kernelI14__hip_bfloat16hLN4vllm18Fp8KVCacheDataTypeE1EhLi16ELi64ELi256ELb0ELi14EL8MFMAType0EEvPKT_PKT0_S9_ifPKiSB_SB_iPKfiiiPfSE_PS4_PT2_iSD_SD_
	.p2align	8
	.type	_Z39paged_attention_ll4mi_QKV_mfma16_kernelI14__hip_bfloat16hLN4vllm18Fp8KVCacheDataTypeE1EhLi16ELi64ELi256ELb0ELi14EL8MFMAType0EEvPKT_PKT0_S9_ifPKiSB_SB_iPKfiiiPfSE_PS4_PT2_iSD_SD_,@function
_Z39paged_attention_ll4mi_QKV_mfma16_kernelI14__hip_bfloat16hLN4vllm18Fp8KVCacheDataTypeE1EhLi16ELi64ELi256ELb0ELi14EL8MFMAType0EEvPKT_PKT0_S9_ifPKiSB_SB_iPKfiiiPfSE_PS4_PT2_iSD_SD_: ; @_Z39paged_attention_ll4mi_QKV_mfma16_kernelI14__hip_bfloat16hLN4vllm18Fp8KVCacheDataTypeE1EhLi16ELi64ELi256ELb0ELi14EL8MFMAType0EEvPKT_PKT0_S9_ifPKiSB_SB_iPKfiiiPfSE_PS4_PT2_iSD_SD_
; %bb.0:
	s_load_b64 s[2:3], s[0:1], 0x30
	s_mov_b32 s30, s13
	s_waitcnt lgkmcnt(0)
	s_cmp_lg_u64 s[2:3], 0
	s_cselect_b32 s8, -1, 0
	s_ashr_i32 s31, s13, 31
	s_cmp_eq_u64 s[2:3], 0
	s_cbranch_scc1 .LBB1691_3
; %bb.1:
	s_lshl_b64 s[4:5], s[30:31], 2
	s_delay_alu instid0(SALU_CYCLE_1) | instskip(SKIP_4) | instid1(SALU_CYCLE_1)
	s_add_u32 s4, s2, s4
	s_addc_u32 s5, s3, s5
	s_load_b64 s[4:5], s[4:5], 0x0
	s_waitcnt lgkmcnt(0)
	s_sub_i32 s4, s5, s4
	s_cmp_eq_u32 s4, 1
	s_cselect_b32 s4, -1, 0
	s_delay_alu instid0(SALU_CYCLE_1)
	s_and_not1_b32 vcc_lo, exec_lo, s4
	s_cbranch_vccz .LBB1691_4
.LBB1691_2:
	s_endpgm
.LBB1691_3:
.LBB1691_4:
	s_load_b64 s[4:5], s[0:1], 0x28
	s_lshl_b64 s[6:7], s[30:31], 2
	s_waitcnt lgkmcnt(0)
	s_add_u32 s4, s4, s6
	s_addc_u32 s5, s5, s7
	s_lshl_b32 s12, s14, 8
	s_load_b32 s24, s[4:5], 0x0
	s_waitcnt lgkmcnt(0)
	s_cmp_ge_i32 s12, s24
	s_cbranch_scc1 .LBB1691_2
; %bb.5:
	s_clause 0x1
	s_load_b128 s[20:23], s[0:1], 0x8
	s_load_b64 s[4:5], s[0:1], 0x20
	s_and_not1_b32 vcc_lo, exec_lo, s8
	s_cbranch_vccnz .LBB1691_7
; %bb.6:
	s_add_u32 s2, s2, s6
	s_addc_u32 s3, s3, s7
	s_load_b32 s3, s[2:3], 0x0
	s_branch .LBB1691_8
.LBB1691_7:
	s_mov_b32 s3, s30
.LBB1691_8:
	s_load_b128 s[16:19], s[0:1], 0x48
	v_and_b32_e32 v65, 15, v0
	v_cmp_gt_u32_e32 vcc_lo, 0xe0, v0
	v_lshrrev_b32_e32 v66, 5, v0
	v_and_b32_e32 v67, 31, v0
	v_and_b32_e32 v75, 1, v0
	v_lshlrev_b32_e32 v1, 3, v65
	v_cmp_gt_u32_e64 s2, 8, v65
	v_bfe_u32 v74, v0, 4, 1
	s_mul_i32 s31, s15, 14
	s_delay_alu instid0(VALU_DEP_3) | instskip(NEXT) | instid1(VALU_DEP_3)
	v_lshlrev_b32_e32 v73, 1, v1
	s_and_b32 s7, vcc_lo, s2
	s_delay_alu instid0(SALU_CYCLE_1)
	s_and_saveexec_b32 s6, s7
	s_cbranch_execz .LBB1691_10
; %bb.9:
	s_load_b64 s[8:9], s[0:1], 0x0
	v_lshl_or_b32 v5, v66, 1, v74
	s_waitcnt lgkmcnt(0)
	s_mul_hi_i32 s11, s3, s16
	s_mul_i32 s10, s3, s16
	v_lshlrev_b32_e32 v6, 10, v65
	s_lshl_b64 s[10:11], s[10:11], 1
	v_add_lshl_u32 v1, v5, s31, 6
	v_lshlrev_b32_e32 v5, 6, v5
	v_lshlrev_b32_e32 v7, 10, v75
	v_and_b32_e32 v6, 0x3800, v6
	s_delay_alu instid0(VALU_DEP_4) | instskip(NEXT) | instid1(VALU_DEP_2)
	v_ashrrev_i32_e32 v2, 31, v1
	v_or3_b32 v5, v6, v7, v5
	s_delay_alu instid0(VALU_DEP_2) | instskip(SKIP_2) | instid1(VALU_DEP_1)
	v_lshlrev_b64 v[1:2], 1, v[1:2]
	s_add_u32 s3, s8, s10
	s_addc_u32 s7, s9, s11
	v_add_co_u32 v1, vcc_lo, s3, v1
	s_delay_alu instid0(VALU_DEP_2) | instskip(NEXT) | instid1(VALU_DEP_2)
	v_add_co_ci_u32_e32 v2, vcc_lo, s7, v2, vcc_lo
	v_add_co_u32 v1, vcc_lo, v1, v73
	s_delay_alu instid0(VALU_DEP_2)
	v_add_co_ci_u32_e32 v2, vcc_lo, 0, v2, vcc_lo
	global_load_b128 v[1:4], v[1:2], off
	s_waitcnt vmcnt(0)
	ds_store_b128 v5, v[1:4]
.LBB1691_10:
	s_or_b32 exec_lo, exec_lo, s6
	v_and_b32_e32 v1, 0xef, v0
	s_waitcnt lgkmcnt(0)
	s_add_i32 s3, s24, 15
	s_clause 0x1
	s_load_b32 s6, s[0:1], 0x38
	s_load_b32 s19, s[0:1], 0x1c
	s_ashr_i32 s7, s3, 31
	v_add_nc_u32_e32 v1, s12, v1
	s_lshr_b32 s7, s7, 28
	s_waitcnt lgkmcnt(0)
	s_add_i32 s3, s3, s7
	s_barrier
	v_ashrrev_i32_e32 v2, 31, v1
	v_or_b32_e32 v3, 16, v1
	s_ashr_i32 s3, s3, 4
	v_cmp_gt_i32_e32 vcc_lo, s24, v1
	s_add_i32 s3, s3, -1
	v_lshrrev_b32_e32 v2, 28, v2
	buffer_gl0_inv
	s_mul_i32 s27, s15, s18
	v_add_nc_u32_e32 v4, v1, v2
	s_mul_i32 s6, s30, s6
	s_delay_alu instid0(SALU_CYCLE_1) | instskip(NEXT) | instid1(VALU_DEP_1)
	s_ashr_i32 s7, s6, 31
	v_ashrrev_i32_e32 v4, 4, v4
	v_add_nc_u32_e32 v2, v3, v2
	s_lshl_b64 s[6:7], s[6:7], 2
	s_delay_alu instid0(SALU_CYCLE_1) | instskip(NEXT) | instid1(VALU_DEP_2)
	s_add_u32 s26, s4, s6
	v_cndmask_b32_e32 v1, s3, v4, vcc_lo
	s_delay_alu instid0(VALU_DEP_2)
	v_ashrrev_i32_e32 v2, 4, v2
	v_cmp_gt_i32_e32 vcc_lo, s24, v3
	s_addc_u32 s25, s5, s7
	s_ashr_i32 s28, s27, 31
	s_add_u32 s13, s20, s27
	s_addc_u32 s15, s21, s28
	v_cndmask_b32_e32 v3, s3, v2, vcc_lo
	v_ashrrev_i32_e32 v2, 31, v1
	s_lshl_b32 s4, s14, 4
	s_delay_alu instid0(SALU_CYCLE_1) | instskip(NEXT) | instid1(VALU_DEP_2)
	s_ashr_i32 s5, s4, 31
	v_ashrrev_i32_e32 v4, 31, v3
	s_delay_alu instid0(VALU_DEP_2) | instskip(SKIP_1) | instid1(SALU_CYCLE_1)
	v_lshlrev_b64 v[1:2], 2, v[1:2]
	s_lshl_b64 s[4:5], s[4:5], 2
	s_add_u32 s4, s26, s4
	s_delay_alu instid0(VALU_DEP_2) | instskip(SKIP_1) | instid1(VALU_DEP_2)
	v_lshlrev_b64 v[3:4], 2, v[3:4]
	s_addc_u32 s5, s25, s5
	v_add_co_u32 v1, vcc_lo, s26, v1
	v_add_co_ci_u32_e32 v2, vcc_lo, s25, v2, vcc_lo
	s_delay_alu instid0(VALU_DEP_3) | instskip(NEXT) | instid1(VALU_DEP_4)
	v_add_co_u32 v3, vcc_lo, s26, v3
	v_add_co_ci_u32_e32 v4, vcc_lo, s25, v4, vcc_lo
	s_clause 0x1
	global_load_b32 v5, v[1:2], off
	global_load_b32 v7, v[3:4], off
	s_or_b32 s6, s12, 32
	v_lshlrev_b32_e32 v1, 4, v0
	s_ashr_i32 s7, s6, 4
	s_cmp_lt_i32 s6, s24
	v_cmp_gt_u32_e32 vcc_lo, 14, v65
	s_cselect_b32 s6, s7, s3
	v_and_b32_e32 v1, 0xf0, v1
	s_ashr_i32 s7, s6, 31
	s_delay_alu instid0(SALU_CYCLE_1) | instskip(NEXT) | instid1(SALU_CYCLE_1)
	s_lshl_b64 s[6:7], s[6:7], 2
	s_add_u32 s6, s26, s6
	s_addc_u32 s7, s25, s7
	s_or_b32 s8, s12, 64
	v_add_co_u32 v1, s13, s13, v1
	s_ashr_i32 s9, s8, 4
	s_cmp_lt_i32 s8, s24
	v_add_co_ci_u32_e64 v2, null, s15, 0, s13
	s_cselect_b32 s8, s9, s3
	s_delay_alu instid0(SALU_CYCLE_1) | instskip(NEXT) | instid1(SALU_CYCLE_1)
	s_ashr_i32 s9, s8, 31
	s_lshl_b64 s[8:9], s[8:9], 2
	s_delay_alu instid0(SALU_CYCLE_1) | instskip(SKIP_2) | instid1(SALU_CYCLE_1)
	s_add_u32 s8, s26, s8
	s_addc_u32 s9, s25, s9
	s_or_b32 s10, s12, 0x60
	s_ashr_i32 s11, s10, 4
	s_cmp_lt_i32 s10, s24
	s_cselect_b32 s10, s11, s3
	s_delay_alu instid0(SALU_CYCLE_1) | instskip(NEXT) | instid1(SALU_CYCLE_1)
	s_ashr_i32 s11, s10, 31
	s_lshl_b64 s[10:11], s[10:11], 2
	s_delay_alu instid0(SALU_CYCLE_1) | instskip(SKIP_2) | instid1(SALU_CYCLE_1)
	s_add_u32 s10, s26, s10
	s_addc_u32 s11, s25, s11
	s_or_b32 s16, s12, 0x80
	s_ashr_i32 s18, s16, 4
	s_cmp_lt_i32 s16, s24
	;; [unrolled: 10-line block ×3, first 2 shown]
	s_cselect_b32 s20, s18, s3
	s_delay_alu instid0(SALU_CYCLE_1) | instskip(NEXT) | instid1(SALU_CYCLE_1)
	s_ashr_i32 s21, s20, 31
	s_lshl_b64 s[20:21], s[20:21], 2
	s_delay_alu instid0(SALU_CYCLE_1)
	s_add_u32 s36, s26, s20
	s_addc_u32 s37, s25, s21
	s_clause 0x5
	s_load_b32 s21, s[4:5], 0x0
	s_load_b32 s13, s[6:7], 0x0
	;; [unrolled: 1-line block ×6, first 2 shown]
	s_or_b32 s8, s12, 0xc0
	s_mov_b32 s4, 0
	s_ashr_i32 s9, s8, 4
	s_cmp_lt_i32 s8, s24
	s_mov_b32 s11, s4
	s_cselect_b32 s34, s9, s3
	s_mov_b32 s5, s4
	s_ashr_i32 s35, s34, 31
	s_mov_b32 s6, s4
	s_lshl_b64 s[34:35], s[34:35], 2
	s_mov_b32 s7, s4
	s_add_u32 s34, s26, s34
	s_addc_u32 s35, s25, s35
	s_or_b32 s29, s12, 0xe0
	s_mov_b32 s8, s4
	s_ashr_i32 s33, s29, 4
	s_mov_b32 s9, s4
	s_mov_b32 s10, s4
	s_cmp_lt_i32 s29, s24
	v_dual_mov_b32 v107, s11 :: v_dual_mov_b32 v100, s4
	v_mov_b32_e32 v106, s10
	v_dual_mov_b32 v104, s8 :: v_dual_mov_b32 v103, s7
	v_dual_mov_b32 v102, s6 :: v_dual_mov_b32 v101, s5
	s_waitcnt vmcnt(1)
	v_mad_i64_i32 v[3:4], null, v5, s17, v[1:2]
	s_waitcnt vmcnt(0)
	v_mad_i64_i32 v[5:6], null, v7, s17, v[1:2]
	v_add_nc_u32_e32 v1, -14, v65
	v_lshlrev_b32_e32 v2, 4, v65
	s_clause 0x7
	global_load_b128 v[49:52], v[3:4], off
	global_load_b128 v[53:56], v[3:4], off offset:256
	global_load_b128 v[76:79], v[5:6], off
	global_load_b128 v[80:83], v[5:6], off offset:256
	global_load_b128 v[84:87], v[3:4], off offset:512
	;; [unrolled: 1-line block ×5, first 2 shown]
	v_cndmask_b32_e32 v1, v1, v65, vcc_lo
	v_mov_b32_e32 v105, s9
	s_cselect_b32 s4, s33, s3
	v_lshl_or_b32 v2, v66, 8, v2
	s_ashr_i32 s5, s4, 31
	v_lshlrev_b32_e32 v70, 6, v1
	s_lshl_b64 s[4:5], s[4:5], 2
	s_load_b32 s3, s[34:35], 0x0
	s_add_u32 s4, s26, s4
	s_addc_u32 s5, s25, s5
	ds_load_b128 v[108:111], v70
	ds_load_b128 v[112:115], v70 offset:1024
	s_load_b32 s4, s[4:5], 0x0
	s_add_u32 s6, s22, s27
	s_addc_u32 s7, s23, s28
	v_add_co_u32 v9, s6, s6, v2
	s_delay_alu instid0(VALU_DEP_1) | instskip(SKIP_1) | instid1(VALU_DEP_1)
	v_add_co_ci_u32_e64 v10, null, s7, 0, s6
	s_waitcnt lgkmcnt(0)
	v_mad_i64_i32 v[1:2], null, s21, s17, v[9:10]
	v_mad_i64_i32 v[3:4], null, s13, s17, v[9:10]
	;; [unrolled: 1-line block ×7, first 2 shown]
	s_clause 0x9
	global_load_b128 v[57:60], v[1:2], off
	global_load_b128 v[61:64], v[1:2], off offset:16
	global_load_b128 v[41:44], v[3:4], off
	global_load_b128 v[45:48], v[3:4], off offset:16
	global_load_b128 v[33:36], v[5:6], off
	global_load_b128 v[37:40], v[5:6], off offset:16
	global_load_b128 v[25:28], v[7:8], off
	global_load_b128 v[29:32], v[7:8], off offset:16
	global_load_b128 v[1:4], v[11:12], off
	global_load_b128 v[5:8], v[11:12], off offset:16
	v_mad_i64_i32 v[68:69], null, s4, s17, v[9:10]
	s_clause 0x3
	global_load_b128 v[9:12], v[13:14], off
	global_load_b128 v[13:16], v[13:14], off offset:16
	global_load_b128 v[17:20], v[21:22], off
	global_load_b128 v[21:24], v[21:22], off offset:16
	s_waitcnt vmcnt(20)
	v_wmma_f32_16x16x16_bf16 v[116:123], v[49:56], v[108:115], v[100:107]
	s_clause 0x1
	global_load_b128 v[49:52], v[68:69], off
	global_load_b128 v[53:56], v[68:69], off offset:16
	v_and_b32_e32 v68, 0xe0, v0
	v_mbcnt_lo_u32_b32 v69, -1, 0
	s_delay_alu instid0(VALU_DEP_2)
	v_add_nc_u32_e32 v68, s12, v68
	s_waitcnt vmcnt(20)
	v_wmma_f32_16x16x16_bf16 v[100:107], v[76:83], v[108:115], v[100:107]
	ds_load_b128 v[76:79], v70 offset:2048
	ds_load_b128 v[80:83], v70 offset:3072
	v_xor_b32_e32 v70, 16, v69
	s_waitcnt vmcnt(0) lgkmcnt(0)
	v_or_b32_e32 v68, v68, v74
	s_barrier
	buffer_gl0_inv
	v_cmp_gt_i32_e32 vcc_lo, 32, v70
	v_or_b32_e32 v71, 4, v68
	v_or_b32_e32 v72, 6, v68
	v_cmp_gt_i32_e64 s3, s24, v68
	v_or_b32_e32 v108, 8, v68
	v_or_b32_e32 v109, 10, v68
	v_cmp_gt_i32_e64 s4, s24, v71
	v_cmp_gt_i32_e64 s5, s24, v72
	s_delay_alu instid0(VALU_DEP_4) | instskip(NEXT) | instid1(VALU_DEP_4)
	v_cmp_gt_i32_e64 s6, s24, v108
	v_cmp_gt_i32_e64 s7, s24, v109
	v_wmma_f32_16x16x16_bf16 v[116:123], v[84:91], v[76:83], v[116:123]
	v_cndmask_b32_e32 v69, v69, v70, vcc_lo
	v_or_b32_e32 v70, 2, v68
	v_wmma_f32_16x16x16_bf16 v[100:107], v[92:99], v[76:83], v[100:107]
	v_or_b32_e32 v89, 22, v68
	v_dual_mul_f32 v82, s19, v119 :: v_dual_mul_f32 v79, s19, v122
	v_dual_mul_f32 v92, s19, v117 :: v_dual_mul_f32 v93, s19, v116
	s_delay_alu instid0(VALU_DEP_4) | instskip(SKIP_2) | instid1(VALU_DEP_4)
	v_mul_f32_e32 v98, s19, v103
	v_cmp_gt_i32_e32 vcc_lo, s24, v70
	v_dual_mul_f32 v83, s19, v118 :: v_dual_mul_f32 v96, s19, v105
	v_cndmask_b32_e64 v93, 0xff7fffff, v93, s3
	v_or_b32_e32 v84, 12, v68
	v_cndmask_b32_e32 v92, 0xff7fffff, v92, vcc_lo
	v_or_b32_e32 v85, 14, v68
	v_dual_mul_f32 v80, s19, v121 :: v_dual_mul_f32 v81, s19, v120
	v_mul_f32_e32 v94, s19, v107
	v_cndmask_b32_e64 v71, 0xff7fffff, v83, s4
	v_cndmask_b32_e64 v72, 0xff7fffff, v82, s5
	v_cmp_gt_i32_e64 s13, s24, v89
	v_lshlrev_b32_e32 v89, 2, v69
	v_max3_f32 v82, v93, 0xff7fffff, v92
	v_or_b32_e32 v86, 16, v68
	v_or_b32_e32 v87, 18, v68
	v_mul_f32_e32 v78, s19, v123
	v_cndmask_b32_e64 v81, 0xff7fffff, v81, s6
	v_cndmask_b32_e64 v80, 0xff7fffff, v80, s7
	v_max3_f32 v71, v82, v71, v72
	v_cmp_gt_i32_e64 s8, s24, v84
	v_cmp_gt_i32_e64 s9, s24, v85
	v_or_b32_e32 v88, 20, v68
	v_or_b32_e32 v90, 24, v68
	;; [unrolled: 1-line block ×5, first 2 shown]
	v_dual_mul_f32 v95, s19, v106 :: v_dual_mul_f32 v70, s19, v101
	v_dual_mul_f32 v99, s19, v102 :: v_dual_mul_f32 v68, s19, v100
	v_cndmask_b32_e64 v72, 0xff7fffff, v79, s8
	v_cndmask_b32_e64 v78, 0xff7fffff, v78, s9
	v_max3_f32 v71, v71, v81, v80
	v_cmp_gt_i32_e64 s10, s24, v86
	v_cmp_gt_i32_e64 s11, s24, v87
	;; [unrolled: 1-line block ×3, first 2 shown]
	v_mul_f32_e32 v97, s19, v104
	v_max3_f32 v71, v71, v72, v78
	v_cndmask_b32_e64 v68, 0xff7fffff, v68, s10
	v_cndmask_b32_e64 v70, 0xff7fffff, v70, s11
	;; [unrolled: 1-line block ×4, first 2 shown]
	v_cmp_gt_i32_e64 s15, s24, v90
	v_cmp_gt_i32_e64 s16, s24, v91
	v_max3_f32 v68, v71, v68, v70
	v_cmp_gt_i32_e64 s17, s24, v76
	v_cmp_gt_i32_e64 s18, s24, v77
	v_cndmask_b32_e64 v70, 0xff7fffff, v97, s15
	v_cndmask_b32_e64 v71, 0xff7fffff, v96, s16
	v_max3_f32 v68, v68, v72, v78
	v_cndmask_b32_e64 v72, 0xff7fffff, v95, s17
	v_cndmask_b32_e64 v76, 0xff7fffff, v94, s18
	s_delay_alu instid0(VALU_DEP_3) | instskip(NEXT) | instid1(VALU_DEP_1)
	v_max3_f32 v68, v68, v70, v71
	v_max3_f32 v68, v68, v72, v76
	ds_bpermute_b32 v69, v89, v68
	s_waitcnt lgkmcnt(0)
	v_max_f32_e32 v69, v69, v69
	s_delay_alu instid0(VALU_DEP_1) | instskip(NEXT) | instid1(VALU_DEP_1)
	v_max_f32_e32 v68, v68, v69
	v_fma_f32 v69, s19, v116, -v68
	v_fma_f32 v70, s19, v117, -v68
	;; [unrolled: 1-line block ×5, first 2 shown]
	s_delay_alu instid0(VALU_DEP_4) | instskip(NEXT) | instid1(VALU_DEP_4)
	v_dual_mul_f32 v69, 0x3fb8aa3b, v69 :: v_dual_mul_f32 v70, 0x3fb8aa3b, v70
	v_mul_f32_e32 v72, 0x3fb8aa3b, v72
	v_fma_f32 v78, s19, v122, -v68
	s_delay_alu instid0(VALU_DEP_4) | instskip(NEXT) | instid1(VALU_DEP_4)
	v_mul_f32_e32 v77, 0x3fb8aa3b, v76
	v_exp_f32_e32 v69, v69
	v_exp_f32_e32 v70, v70
	v_mul_f32_e32 v71, 0x3fb8aa3b, v71
	v_exp_f32_e32 v72, v72
	v_mul_f32_e32 v78, 0x3fb8aa3b, v78
	v_exp_f32_e32 v77, v77
	v_fma_f32 v81, s19, v105, -v68
	s_delay_alu instid0(VALU_DEP_2)
	v_exp_f32_e32 v78, v78
	v_cndmask_b32_e64 v80, 0, v69, s3
	v_cndmask_b32_e32 v76, 0, v70, vcc_lo
	v_exp_f32_e32 v71, v71
	v_fma_f32 v69, s19, v121, -v68
	v_cndmask_b32_e64 v85, 0, v72, s5
	v_add_f32_e32 v70, 0, v80
	s_delay_alu instid0(TRANS32_DEP_3)
	v_cndmask_b32_e64 v86, 0, v77, s6
	v_fma_f32 v77, s19, v101, -v68
	v_mul_f32_e32 v69, 0x3fb8aa3b, v69
	v_fma_f32 v72, s19, v100, -v68
	v_cndmask_b32_e64 v84, 0, v78, s8
	v_fma_f32 v78, s19, v103, -v68
	v_cndmask_b32_e64 v83, 0, v71, s4
	v_fma_f32 v71, s19, v123, -v68
	v_add_f32_e32 v70, v70, v76
	v_exp_f32_e32 v69, v69
	v_mul_f32_e32 v77, 0x3fb8aa3b, v77
	v_mul_f32_e32 v81, 0x3fb8aa3b, v81
	;; [unrolled: 1-line block ×3, first 2 shown]
	v_add_f32_e32 v70, v70, v83
	s_mov_b32 s3, exec_lo
	v_exp_f32_e32 v77, v77
	v_exp_f32_e32 v81, v81
	v_exp_f32_e32 v71, v71
	v_cndmask_b32_e64 v87, 0, v69, s7
	v_add_f32_e32 v70, v70, v85
	s_delay_alu instid0(VALU_DEP_1) | instskip(SKIP_1) | instid1(VALU_DEP_2)
	v_dual_mul_f32 v72, 0x3fb8aa3b, v72 :: v_dual_add_f32 v69, v70, v86
	v_fma_f32 v70, s19, v102, -v68
	v_exp_f32_e32 v72, v72
	s_waitcnt_depctr 0xfff
	v_cndmask_b32_e64 v88, 0, v71, s9
	v_fma_f32 v71, s19, v104, -v68
	v_dual_add_f32 v69, v69, v87 :: v_dual_mul_f32 v70, 0x3fb8aa3b, v70
	s_delay_alu instid0(VALU_DEP_2) | instskip(NEXT) | instid1(VALU_DEP_2)
	v_dual_mul_f32 v78, 0x3fb8aa3b, v78 :: v_dual_mul_f32 v71, 0x3fb8aa3b, v71
	v_add_f32_e32 v69, v69, v84
	s_delay_alu instid0(VALU_DEP_3) | instskip(SKIP_1) | instid1(VALU_DEP_3)
	v_exp_f32_e32 v79, v70
	v_cndmask_b32_e64 v70, 0, v72, s10
	v_exp_f32_e32 v78, v78
	v_exp_f32_e32 v82, v71
	v_add_f32_e32 v72, v69, v88
	v_cndmask_b32_e64 v69, 0, v77, s11
	v_fma_f32 v77, s19, v106, -v68
	s_delay_alu instid0(VALU_DEP_3) | instskip(NEXT) | instid1(TRANS32_DEP_3)
	v_add_f32_e32 v72, v72, v70
	v_cndmask_b32_e64 v71, 0, v79, s12
	s_delay_alu instid0(VALU_DEP_3) | instskip(NEXT) | instid1(VALU_DEP_3)
	v_mul_f32_e32 v77, 0x3fb8aa3b, v77
	v_add_f32_e32 v79, v72, v69
	s_delay_alu instid0(TRANS32_DEP_2) | instskip(NEXT) | instid1(VALU_DEP_3)
	v_cndmask_b32_e64 v72, 0, v78, s13
	v_exp_f32_e32 v90, v77
	v_cndmask_b32_e64 v77, 0, v82, s15
	s_delay_alu instid0(VALU_DEP_3) | instskip(SKIP_1) | instid1(VALU_DEP_1)
	v_add_f32_e32 v78, v79, v71
	v_fma_f32 v79, s19, v107, -v68
	v_dual_add_f32 v82, v78, v72 :: v_dual_mul_f32 v79, 0x3fb8aa3b, v79
	v_cndmask_b32_e64 v78, 0, v81, s16
	s_delay_alu instid0(VALU_DEP_2) | instskip(NEXT) | instid1(VALU_DEP_3)
	v_add_f32_e32 v81, v82, v77
	v_exp_f32_e32 v82, v79
	s_delay_alu instid0(TRANS32_DEP_2) | instskip(NEXT) | instid1(VALU_DEP_2)
	v_cndmask_b32_e64 v79, 0, v90, s17
	v_add_f32_e32 v81, v81, v78
	s_delay_alu instid0(VALU_DEP_1) | instskip(SKIP_2) | instid1(VALU_DEP_1)
	v_add_f32_e32 v90, v81, v79
	s_waitcnt_depctr 0xfff
	v_cndmask_b32_e64 v81, 0, v82, s18
	v_add_f32_e32 v82, v90, v81
	ds_bpermute_b32 v89, v89, v82
	v_cmpx_gt_u32_e32 16, v67
	s_cbranch_execz .LBB1691_12
; %bb.11:
	v_mul_u32_u24_e32 v67, 0x44, v66
	s_delay_alu instid0(VALU_DEP_1) | instskip(SKIP_1) | instid1(VALU_DEP_1)
	v_lshl_add_u32 v67, v65, 2, v67
	s_waitcnt lgkmcnt(0)
	v_dual_add_f32 v82, v82, v89 :: v_dual_add_nc_u32 v67, 0x4000, v67
	ds_store_2addr_b32 v67, v68, v82 offset1:136
.LBB1691_12:
	s_or_b32 exec_lo, exec_lo, s3
	v_lshlrev_b32_e32 v67, 2, v65
	s_waitcnt lgkmcnt(0)
	s_barrier
	buffer_gl0_inv
	v_cmp_eq_u32_e32 vcc_lo, 1, v66
	v_add_nc_u32_e32 v82, 0x4000, v67
	v_cmp_eq_u32_e64 s3, 2, v66
	v_cmp_eq_u32_e64 s5, 7, v66
	ds_load_2addr_b32 v[89:90], v82 offset1:17
	ds_load_2addr_b32 v[91:92], v82 offset0:34 offset1:51
	ds_load_2addr_b32 v[93:94], v82 offset0:68 offset1:85
	;; [unrolled: 1-line block ×4, first 2 shown]
	s_waitcnt lgkmcnt(4)
	v_max3_f32 v67, v89, 0xff7fffff, v90
	s_waitcnt lgkmcnt(3)
	s_delay_alu instid0(VALU_DEP_1) | instskip(SKIP_1) | instid1(VALU_DEP_1)
	v_max3_f32 v67, v67, v91, v92
	s_waitcnt lgkmcnt(2)
	v_max3_f32 v67, v67, v93, v94
	s_waitcnt lgkmcnt(1)
	s_delay_alu instid0(VALU_DEP_1) | instskip(NEXT) | instid1(VALU_DEP_1)
	v_max3_f32 v67, v67, v95, v96
	v_sub_f32_e32 v93, v93, v67
	s_delay_alu instid0(VALU_DEP_1) | instskip(NEXT) | instid1(VALU_DEP_1)
	v_dual_sub_f32 v68, v89, v67 :: v_dual_mul_f32 v103, 0x3fb8aa3b, v93
	v_mul_f32_e32 v68, 0x3fb8aa3b, v68
	s_delay_alu instid0(VALU_DEP_1)
	v_exp_f32_e32 v100, v68
	v_sub_f32_e32 v68, v92, v67
	v_sub_f32_e32 v99, v90, v67
	ds_load_2addr_b32 v[89:90], v82 offset0:170 offset1:187
	v_dual_mul_f32 v102, 0x3fb8aa3b, v68 :: v_dual_mul_f32 v99, 0x3fb8aa3b, v99
	s_waitcnt lgkmcnt(1)
	v_fma_f32 v68, v100, v97, 0
	s_delay_alu instid0(VALU_DEP_2) | instskip(NEXT) | instid1(VALU_DEP_2)
	v_exp_f32_e32 v102, v102
	v_exp_f32_e32 v99, v99
	s_waitcnt_depctr 0xfff
	v_fmac_f32_e32 v68, v99, v98
	v_sub_f32_e32 v91, v91, v67
	s_delay_alu instid0(VALU_DEP_1)
	v_mul_f32_e32 v101, 0x3fb8aa3b, v91
	ds_load_2addr_b32 v[91:92], v82 offset0:204 offset1:221
	v_sub_f32_e32 v97, v94, v67
	ds_load_2addr_b32 v[93:94], v82 offset0:238 offset1:255
	s_waitcnt lgkmcnt(0)
	v_exp_f32_e32 v101, v101
	s_barrier
	buffer_gl0_inv
	v_dual_fmac_f32 v68, v101, v89 :: v_dual_sub_f32 v89, v96, v67
	v_dual_sub_f32 v82, v95, v67 :: v_dual_mul_f32 v95, 0x3fb8aa3b, v97
	v_exp_f32_e32 v97, v103
	s_delay_alu instid0(VALU_DEP_2) | instskip(NEXT) | instid1(VALU_DEP_2)
	v_dual_fmac_f32 v68, v102, v90 :: v_dual_mul_f32 v89, 0x3fb8aa3b, v89
	v_mul_f32_e32 v82, 0x3fb8aa3b, v82
	s_delay_alu instid0(VALU_DEP_3) | instskip(NEXT) | instid1(VALU_DEP_2)
	v_exp_f32_e32 v95, v95
	v_exp_f32_e32 v89, v89
	s_delay_alu instid0(VALU_DEP_1)
	v_exp_f32_e32 v82, v82
	v_fmac_f32_e32 v68, v97, v91
	s_delay_alu instid0(TRANS32_DEP_3) | instid1(VALU_DEP_1)
	v_fmac_f32_e32 v68, v95, v92
	s_waitcnt_depctr 0xfff
	v_fmac_f32_e32 v68, v82, v93
	s_delay_alu instid0(VALU_DEP_1) | instskip(NEXT) | instid1(VALU_DEP_1)
	v_fmac_f32_e32 v68, v89, v94
	v_add_f32_e32 v90, 0x358637bd, v68
	s_delay_alu instid0(VALU_DEP_1) | instskip(NEXT) | instid1(VALU_DEP_1)
	v_div_scale_f32 v91, null, v90, v90, 1.0
	v_rcp_f32_e32 v92, v91
	s_waitcnt_depctr 0xfff
	v_fma_f32 v93, -v91, v92, 1.0
	s_delay_alu instid0(VALU_DEP_1) | instskip(SKIP_1) | instid1(VALU_DEP_2)
	v_dual_fmac_f32 v92, v93, v92 :: v_dual_cndmask_b32 v93, v100, v99
	v_cmp_eq_u32_e32 vcc_lo, 3, v66
	v_cndmask_b32_e64 v93, v93, v101, s3
	v_cmp_eq_u32_e64 s3, 4, v66
	s_delay_alu instid0(VALU_DEP_2) | instskip(SKIP_1) | instid1(VALU_DEP_2)
	v_cndmask_b32_e32 v93, v93, v102, vcc_lo
	v_cmp_eq_u32_e32 vcc_lo, 5, v66
	v_cndmask_b32_e64 v93, v93, v97, s3
	v_cmp_eq_u32_e64 s3, 6, v66
	s_delay_alu instid0(VALU_DEP_2) | instskip(SKIP_1) | instid1(VALU_DEP_1)
	v_cndmask_b32_e32 v93, v93, v95, vcc_lo
	v_div_scale_f32 v94, s4, 1.0, v90, 1.0
	s_mov_b32 vcc_lo, s4
	s_delay_alu instid0(VALU_DEP_2) | instskip(NEXT) | instid1(VALU_DEP_2)
	v_cndmask_b32_e64 v82, v93, v82, s3
	v_mul_f32_e32 v96, v94, v92
	s_mov_b32 s3, exec_lo
	s_delay_alu instid0(VALU_DEP_2) | instskip(NEXT) | instid1(VALU_DEP_2)
	v_cndmask_b32_e64 v82, v82, v89, s5
	v_fma_f32 v98, -v91, v96, v94
	s_delay_alu instid0(VALU_DEP_1) | instskip(NEXT) | instid1(VALU_DEP_1)
	v_fmac_f32_e32 v96, v98, v92
	v_fma_f32 v91, -v91, v96, v94
	s_delay_alu instid0(VALU_DEP_1) | instskip(NEXT) | instid1(VALU_DEP_1)
	v_div_fmas_f32 v91, v91, v92, v96
	v_div_fixup_f32 v90, v91, v90, 1.0
	s_delay_alu instid0(VALU_DEP_1) | instskip(NEXT) | instid1(VALU_DEP_1)
	v_mul_f32_e32 v82, v82, v90
	v_mul_f32_e32 v87, v82, v87
	;; [unrolled: 1-line block ×7, first 2 shown]
	v_dual_mul_f32 v86, v82, v83 :: v_dual_and_b32 v91, 0x7f800000, v90
	v_mul_f32_e32 v85, v82, v76
                                        ; implicit-def: $vgpr76
	s_delay_alu instid0(VALU_DEP_2)
	v_cmpx_ne_u32_e32 0x7f800000, v91
	s_xor_b32 s3, exec_lo, s3
; %bb.13:
	v_bfe_u32 v76, v90, 16, 1
	s_delay_alu instid0(VALU_DEP_1)
	v_add3_u32 v76, v90, v76, 0x7fff
                                        ; implicit-def: $vgpr90
; %bb.14:
	s_and_not1_saveexec_b32 s3, s3
; %bb.15:
	v_and_b32_e32 v76, 0xffff, v90
	v_or_b32_e32 v83, 0x10000, v90
	s_delay_alu instid0(VALU_DEP_2) | instskip(NEXT) | instid1(VALU_DEP_2)
	v_cmp_eq_u32_e32 vcc_lo, 0, v76
	v_cndmask_b32_e32 v76, v83, v90, vcc_lo
; %bb.16:
	s_or_b32 exec_lo, exec_lo, s3
	v_and_b32_e32 v83, 0x7f800000, v85
	s_delay_alu instid0(VALU_DEP_1) | instskip(SKIP_1) | instid1(SALU_CYCLE_1)
	v_cmp_ne_u32_e32 vcc_lo, 0x7f800000, v83
                                        ; implicit-def: $vgpr83
	s_and_saveexec_b32 s3, vcc_lo
	s_xor_b32 s3, exec_lo, s3
; %bb.17:
	v_bfe_u32 v83, v85, 16, 1
	s_delay_alu instid0(VALU_DEP_1)
	v_add3_u32 v83, v85, v83, 0x7fff
                                        ; implicit-def: $vgpr85
; %bb.18:
	s_and_not1_saveexec_b32 s3, s3
; %bb.19:
	v_and_b32_e32 v83, 0xffff, v85
	v_or_b32_e32 v90, 0x10000, v85
	s_delay_alu instid0(VALU_DEP_2) | instskip(NEXT) | instid1(VALU_DEP_2)
	v_cmp_eq_u32_e32 vcc_lo, 0, v83
	v_cndmask_b32_e32 v83, v90, v85, vcc_lo
; %bb.20:
	s_or_b32 exec_lo, exec_lo, s3
	v_and_b32_e32 v85, 0x7f800000, v86
	s_delay_alu instid0(VALU_DEP_1) | instskip(SKIP_1) | instid1(SALU_CYCLE_1)
	v_cmp_ne_u32_e32 vcc_lo, 0x7f800000, v85
                                        ; implicit-def: $vgpr85
	s_and_saveexec_b32 s3, vcc_lo
	s_xor_b32 s3, exec_lo, s3
; %bb.21:
	v_bfe_u32 v85, v86, 16, 1
	s_delay_alu instid0(VALU_DEP_1)
	v_add3_u32 v85, v86, v85, 0x7fff
                                        ; implicit-def: $vgpr86
; %bb.22:
	s_and_not1_saveexec_b32 s3, s3
; %bb.23:
	v_and_b32_e32 v85, 0xffff, v86
	v_or_b32_e32 v90, 0x10000, v86
	s_delay_alu instid0(VALU_DEP_2) | instskip(NEXT) | instid1(VALU_DEP_2)
	v_cmp_eq_u32_e32 vcc_lo, 0, v85
	v_cndmask_b32_e32 v85, v90, v86, vcc_lo
; %bb.24:
	s_or_b32 exec_lo, exec_lo, s3
	v_and_b32_e32 v86, 0x7f800000, v89
	s_delay_alu instid0(VALU_DEP_1) | instskip(SKIP_1) | instid1(SALU_CYCLE_1)
	v_cmp_ne_u32_e32 vcc_lo, 0x7f800000, v86
                                        ; implicit-def: $vgpr86
	s_and_saveexec_b32 s3, vcc_lo
	s_xor_b32 s3, exec_lo, s3
; %bb.25:
	v_bfe_u32 v86, v89, 16, 1
	s_delay_alu instid0(VALU_DEP_1)
	v_add3_u32 v86, v89, v86, 0x7fff
                                        ; implicit-def: $vgpr89
; %bb.26:
	s_and_not1_saveexec_b32 s3, s3
; %bb.27:
	v_and_b32_e32 v86, 0xffff, v89
	v_or_b32_e32 v90, 0x10000, v89
	s_delay_alu instid0(VALU_DEP_2) | instskip(NEXT) | instid1(VALU_DEP_2)
	v_cmp_eq_u32_e32 vcc_lo, 0, v86
	v_cndmask_b32_e32 v86, v90, v89, vcc_lo
; %bb.28:
	s_or_b32 exec_lo, exec_lo, s3
	v_and_b32_e32 v89, 0x7f800000, v88
	s_delay_alu instid0(VALU_DEP_1) | instskip(SKIP_1) | instid1(SALU_CYCLE_1)
	v_cmp_ne_u32_e32 vcc_lo, 0x7f800000, v89
                                        ; implicit-def: $vgpr89
	s_and_saveexec_b32 s3, vcc_lo
	s_xor_b32 s3, exec_lo, s3
; %bb.29:
	v_bfe_u32 v89, v88, 16, 1
	s_delay_alu instid0(VALU_DEP_1)
	v_add3_u32 v89, v88, v89, 0x7fff
                                        ; implicit-def: $vgpr88
; %bb.30:
	s_and_not1_saveexec_b32 s3, s3
; %bb.31:
	v_and_b32_e32 v89, 0xffff, v88
	v_or_b32_e32 v90, 0x10000, v88
	s_delay_alu instid0(VALU_DEP_2) | instskip(NEXT) | instid1(VALU_DEP_2)
	v_cmp_eq_u32_e32 vcc_lo, 0, v89
	v_cndmask_b32_e32 v89, v90, v88, vcc_lo
; %bb.32:
	s_or_b32 exec_lo, exec_lo, s3
	v_and_b32_e32 v88, 0x7f800000, v87
	s_delay_alu instid0(VALU_DEP_1) | instskip(SKIP_1) | instid1(SALU_CYCLE_1)
	v_cmp_ne_u32_e32 vcc_lo, 0x7f800000, v88
                                        ; implicit-def: $vgpr88
	s_and_saveexec_b32 s3, vcc_lo
	s_xor_b32 s3, exec_lo, s3
; %bb.33:
	v_bfe_u32 v88, v87, 16, 1
	s_delay_alu instid0(VALU_DEP_1)
	v_add3_u32 v88, v87, v88, 0x7fff
                                        ; implicit-def: $vgpr87
; %bb.34:
	s_and_not1_saveexec_b32 s3, s3
; %bb.35:
	v_and_b32_e32 v88, 0xffff, v87
	v_or_b32_e32 v90, 0x10000, v87
	s_delay_alu instid0(VALU_DEP_2) | instskip(NEXT) | instid1(VALU_DEP_2)
	v_cmp_eq_u32_e32 vcc_lo, 0, v88
	v_cndmask_b32_e32 v88, v90, v87, vcc_lo
; %bb.36:
	s_or_b32 exec_lo, exec_lo, s3
	v_and_b32_e32 v87, 0x7f800000, v84
	s_delay_alu instid0(VALU_DEP_1) | instskip(SKIP_1) | instid1(SALU_CYCLE_1)
	v_cmp_ne_u32_e32 vcc_lo, 0x7f800000, v87
                                        ; implicit-def: $vgpr87
	s_and_saveexec_b32 s3, vcc_lo
	s_xor_b32 s3, exec_lo, s3
; %bb.37:
	v_bfe_u32 v87, v84, 16, 1
	s_delay_alu instid0(VALU_DEP_1)
	v_add3_u32 v87, v84, v87, 0x7fff
                                        ; implicit-def: $vgpr84
; %bb.38:
	s_and_not1_saveexec_b32 s3, s3
; %bb.39:
	v_and_b32_e32 v87, 0xffff, v84
	v_or_b32_e32 v90, 0x10000, v84
	s_delay_alu instid0(VALU_DEP_2) | instskip(NEXT) | instid1(VALU_DEP_2)
	v_cmp_eq_u32_e32 vcc_lo, 0, v87
	v_cndmask_b32_e32 v87, v90, v84, vcc_lo
; %bb.40:
	s_or_b32 exec_lo, exec_lo, s3
	v_and_b32_e32 v84, 0x7f800000, v80
	s_delay_alu instid0(VALU_DEP_1) | instskip(SKIP_1) | instid1(SALU_CYCLE_1)
	v_cmp_ne_u32_e32 vcc_lo, 0x7f800000, v84
                                        ; implicit-def: $vgpr84
	s_and_saveexec_b32 s3, vcc_lo
	s_xor_b32 s3, exec_lo, s3
; %bb.41:
	v_bfe_u32 v84, v80, 16, 1
	s_delay_alu instid0(VALU_DEP_1)
	v_add3_u32 v84, v80, v84, 0x7fff
                                        ; implicit-def: $vgpr80
; %bb.42:
	s_and_not1_saveexec_b32 s3, s3
; %bb.43:
	v_and_b32_e32 v84, 0xffff, v80
	v_or_b32_e32 v90, 0x10000, v80
	s_delay_alu instid0(VALU_DEP_2) | instskip(NEXT) | instid1(VALU_DEP_2)
	v_cmp_eq_u32_e32 vcc_lo, 0, v84
	v_cndmask_b32_e32 v84, v90, v80, vcc_lo
; %bb.44:
	s_or_b32 exec_lo, exec_lo, s3
	s_load_b64 s[34:35], s[0:1], 0x94
	v_lshlrev_b32_e32 v91, 4, v74
	s_delay_alu instid0(VALU_DEP_2)
	v_perm_b32 v90, v84, v87, 0x7060302
	v_dual_mul_f32 v79, v82, v79 :: v_dual_lshlrev_b32 v80, 6, v65
	v_dual_mul_f32 v77, v82, v77 :: v_dual_lshlrev_b32 v92, 11, v66
	v_mul_f32_e32 v84, v82, v70
	v_perm_b32 v89, v88, v89, 0x7060302
	v_perm_b32 v88, v86, v85, 0x7060302
	;; [unrolled: 1-line block ×3, first 2 shown]
	v_mul_f32_e32 v70, v82, v81
	v_or3_b32 v76, v91, v92, v80
	v_dual_mul_f32 v78, v82, v78 :: v_dual_and_b32 v85, 0x7f800000, v84
	v_mul_f32_e32 v83, v82, v72
	v_mul_f32_e32 v81, v82, v71
	;; [unrolled: 1-line block ×3, first 2 shown]
	s_mov_b32 s3, exec_lo
	ds_store_b128 v76, v[87:90]
                                        ; implicit-def: $vgpr69
	v_cmpx_ne_u32_e32 0x7f800000, v85
	s_xor_b32 s3, exec_lo, s3
; %bb.45:
	v_bfe_u32 v69, v84, 16, 1
	s_delay_alu instid0(VALU_DEP_1)
	v_add3_u32 v69, v84, v69, 0x7fff
                                        ; implicit-def: $vgpr84
; %bb.46:
	s_and_not1_saveexec_b32 s3, s3
; %bb.47:
	v_and_b32_e32 v69, 0xffff, v84
	v_or_b32_e32 v71, 0x10000, v84
	s_delay_alu instid0(VALU_DEP_2) | instskip(NEXT) | instid1(VALU_DEP_2)
	v_cmp_eq_u32_e32 vcc_lo, 0, v69
	v_cndmask_b32_e32 v69, v71, v84, vcc_lo
; %bb.48:
	s_or_b32 exec_lo, exec_lo, s3
	v_and_b32_e32 v71, 0x7f800000, v72
	s_delay_alu instid0(VALU_DEP_1) | instskip(SKIP_1) | instid1(SALU_CYCLE_1)
	v_cmp_ne_u32_e32 vcc_lo, 0x7f800000, v71
                                        ; implicit-def: $vgpr71
	s_and_saveexec_b32 s3, vcc_lo
	s_xor_b32 s3, exec_lo, s3
; %bb.49:
	v_bfe_u32 v71, v72, 16, 1
	s_delay_alu instid0(VALU_DEP_1)
	v_add3_u32 v71, v72, v71, 0x7fff
                                        ; implicit-def: $vgpr72
; %bb.50:
	s_and_not1_saveexec_b32 s3, s3
; %bb.51:
	v_and_b32_e32 v71, 0xffff, v72
	v_or_b32_e32 v82, 0x10000, v72
	s_delay_alu instid0(VALU_DEP_2) | instskip(NEXT) | instid1(VALU_DEP_2)
	v_cmp_eq_u32_e32 vcc_lo, 0, v71
	v_cndmask_b32_e32 v71, v82, v72, vcc_lo
; %bb.52:
	s_or_b32 exec_lo, exec_lo, s3
	v_and_b32_e32 v72, 0x7f800000, v81
	s_delay_alu instid0(VALU_DEP_1) | instskip(SKIP_1) | instid1(SALU_CYCLE_1)
	v_cmp_ne_u32_e32 vcc_lo, 0x7f800000, v72
                                        ; implicit-def: $vgpr72
	s_and_saveexec_b32 s3, vcc_lo
	s_xor_b32 s3, exec_lo, s3
; %bb.53:
	v_bfe_u32 v72, v81, 16, 1
	s_delay_alu instid0(VALU_DEP_1)
	v_add3_u32 v72, v81, v72, 0x7fff
                                        ; implicit-def: $vgpr81
; %bb.54:
	s_and_not1_saveexec_b32 s3, s3
; %bb.55:
	v_and_b32_e32 v72, 0xffff, v81
	v_or_b32_e32 v82, 0x10000, v81
	s_delay_alu instid0(VALU_DEP_2) | instskip(NEXT) | instid1(VALU_DEP_2)
	v_cmp_eq_u32_e32 vcc_lo, 0, v72
	v_cndmask_b32_e32 v72, v82, v81, vcc_lo
; %bb.56:
	s_or_b32 exec_lo, exec_lo, s3
	v_and_b32_e32 v81, 0x7f800000, v83
	s_delay_alu instid0(VALU_DEP_1) | instskip(SKIP_1) | instid1(SALU_CYCLE_1)
	v_cmp_ne_u32_e32 vcc_lo, 0x7f800000, v81
                                        ; implicit-def: $vgpr81
	s_and_saveexec_b32 s3, vcc_lo
	s_xor_b32 s3, exec_lo, s3
; %bb.57:
	v_bfe_u32 v81, v83, 16, 1
	s_delay_alu instid0(VALU_DEP_1)
	v_add3_u32 v81, v83, v81, 0x7fff
                                        ; implicit-def: $vgpr83
; %bb.58:
	s_and_not1_saveexec_b32 s3, s3
; %bb.59:
	v_and_b32_e32 v81, 0xffff, v83
	v_or_b32_e32 v82, 0x10000, v83
	s_delay_alu instid0(VALU_DEP_2) | instskip(NEXT) | instid1(VALU_DEP_2)
	v_cmp_eq_u32_e32 vcc_lo, 0, v81
	v_cndmask_b32_e32 v81, v82, v83, vcc_lo
; %bb.60:
	s_or_b32 exec_lo, exec_lo, s3
	v_and_b32_e32 v82, 0x7f800000, v77
	s_delay_alu instid0(VALU_DEP_1) | instskip(SKIP_1) | instid1(SALU_CYCLE_1)
	v_cmp_ne_u32_e32 vcc_lo, 0x7f800000, v82
                                        ; implicit-def: $vgpr82
	s_and_saveexec_b32 s3, vcc_lo
	s_xor_b32 s3, exec_lo, s3
; %bb.61:
	v_bfe_u32 v82, v77, 16, 1
	s_delay_alu instid0(VALU_DEP_1)
	v_add3_u32 v82, v77, v82, 0x7fff
                                        ; implicit-def: $vgpr77
; %bb.62:
	s_and_not1_saveexec_b32 s3, s3
; %bb.63:
	v_and_b32_e32 v82, 0xffff, v77
	v_or_b32_e32 v83, 0x10000, v77
	s_delay_alu instid0(VALU_DEP_2) | instskip(NEXT) | instid1(VALU_DEP_2)
	v_cmp_eq_u32_e32 vcc_lo, 0, v82
	v_cndmask_b32_e32 v82, v83, v77, vcc_lo
; %bb.64:
	s_or_b32 exec_lo, exec_lo, s3
	v_and_b32_e32 v77, 0x7f800000, v78
	s_delay_alu instid0(VALU_DEP_1) | instskip(SKIP_1) | instid1(SALU_CYCLE_1)
	v_cmp_ne_u32_e32 vcc_lo, 0x7f800000, v77
                                        ; implicit-def: $vgpr77
	s_and_saveexec_b32 s3, vcc_lo
	s_xor_b32 s3, exec_lo, s3
; %bb.65:
	v_bfe_u32 v77, v78, 16, 1
	s_delay_alu instid0(VALU_DEP_1)
	v_add3_u32 v77, v78, v77, 0x7fff
                                        ; implicit-def: $vgpr78
; %bb.66:
	s_and_not1_saveexec_b32 s3, s3
; %bb.67:
	v_and_b32_e32 v77, 0xffff, v78
	v_or_b32_e32 v83, 0x10000, v78
	s_delay_alu instid0(VALU_DEP_2) | instskip(NEXT) | instid1(VALU_DEP_2)
	v_cmp_eq_u32_e32 vcc_lo, 0, v77
	v_cndmask_b32_e32 v77, v83, v78, vcc_lo
; %bb.68:
	s_or_b32 exec_lo, exec_lo, s3
	v_and_b32_e32 v78, 0x7f800000, v79
	s_delay_alu instid0(VALU_DEP_1) | instskip(SKIP_1) | instid1(SALU_CYCLE_1)
	v_cmp_ne_u32_e32 vcc_lo, 0x7f800000, v78
                                        ; implicit-def: $vgpr78
	s_and_saveexec_b32 s3, vcc_lo
	s_xor_b32 s3, exec_lo, s3
; %bb.69:
	v_bfe_u32 v78, v79, 16, 1
	s_delay_alu instid0(VALU_DEP_1)
	v_add3_u32 v78, v79, v78, 0x7fff
                                        ; implicit-def: $vgpr79
; %bb.70:
	s_and_not1_saveexec_b32 s3, s3
; %bb.71:
	v_and_b32_e32 v78, 0xffff, v79
	v_or_b32_e32 v83, 0x10000, v79
	s_delay_alu instid0(VALU_DEP_2) | instskip(NEXT) | instid1(VALU_DEP_2)
	v_cmp_eq_u32_e32 vcc_lo, 0, v78
	v_cndmask_b32_e32 v78, v83, v79, vcc_lo
; %bb.72:
	s_or_b32 exec_lo, exec_lo, s3
	v_and_b32_e32 v79, 0x7f800000, v70
	s_delay_alu instid0(VALU_DEP_1) | instskip(SKIP_1) | instid1(SALU_CYCLE_1)
	v_cmp_ne_u32_e32 vcc_lo, 0x7f800000, v79
                                        ; implicit-def: $vgpr79
	s_and_saveexec_b32 s3, vcc_lo
	s_xor_b32 s3, exec_lo, s3
; %bb.73:
	v_bfe_u32 v79, v70, 16, 1
	s_delay_alu instid0(VALU_DEP_1)
	v_add3_u32 v79, v70, v79, 0x7fff
                                        ; implicit-def: $vgpr70
; %bb.74:
	s_and_not1_saveexec_b32 s3, s3
; %bb.75:
	v_and_b32_e32 v79, 0xffff, v70
	v_or_b32_e32 v83, 0x10000, v70
	s_delay_alu instid0(VALU_DEP_2) | instskip(NEXT) | instid1(VALU_DEP_2)
	v_cmp_eq_u32_e32 vcc_lo, 0, v79
	v_cndmask_b32_e32 v79, v83, v70, vcc_lo
; %bb.76:
	s_or_b32 exec_lo, exec_lo, s3
	s_delay_alu instid0(VALU_DEP_1)
	v_perm_b32 v86, v79, v78, 0x7060302
	v_perm_b32 v85, v77, v82, 0x7060302
	;; [unrolled: 1-line block ×4, first 2 shown]
	v_lshl_or_b32 v82, v66, 11, v80
	ds_store_b128 v76, v[83:86] offset:1024
	s_waitcnt lgkmcnt(0)
	s_barrier
	buffer_gl0_inv
	ds_load_b128 v[69:72], v82
	ds_load_b128 v[83:86], v82 offset:16
	s_waitcnt lgkmcnt(1)
	v_lshrrev_b32_e32 v66, 16, v69
	s_waitcnt lgkmcnt(0)
	v_lshrrev_b32_e32 v91, 16, v83
	v_lshlrev_b32_e32 v78, 2, v74
	v_lshrrev_b32_e32 v95, 16, v70
	v_lshrrev_b32_e32 v98, 16, v84
	v_lshrrev_b32_e32 v96, 16, v71
	v_lshrrev_b32_e32 v99, 16, v85
	v_cmp_eq_u32_e32 vcc_lo, 1, v78
	v_lshrrev_b32_e32 v97, 16, v72
	v_lshrrev_b32_e32 v100, 16, v86
	v_cndmask_b32_e32 v87, v83, v91, vcc_lo
	v_or_b32_e32 v79, 1, v78
	v_cndmask_b32_e32 v81, v69, v66, vcc_lo
	v_cmp_eq_u32_e64 s4, 2, v78
	v_cmp_eq_u32_e64 s7, 3, v78
	;; [unrolled: 1-line block ×5, first 2 shown]
	v_cndmask_b32_e64 v81, v81, v70, s4
	v_cndmask_b32_e64 v87, v87, v84, s4
	v_cmp_eq_u32_e64 s8, 3, v79
	v_cndmask_b32_e64 v88, v69, v66, s3
	v_or_b32_e32 v77, 2, v78
	v_cndmask_b32_e64 v81, v81, v95, s7
	v_cndmask_b32_e64 v87, v87, v98, s7
	;; [unrolled: 1-line block ×4, first 2 shown]
	v_cmp_eq_u32_e64 s10, 5, v78
	v_cndmask_b32_e64 v81, v81, v71, s9
	v_cndmask_b32_e64 v87, v87, v85, s9
	v_cmp_eq_u32_e64 s11, 4, v79
	v_cndmask_b32_e64 v88, v88, v95, s8
	v_cmp_eq_u32_e64 s5, 1, v77
	v_cndmask_b32_e64 v89, v89, v84, s6
	v_cndmask_b32_e64 v81, v81, v96, s10
	v_cmp_eq_u32_e64 s12, 6, v78
	v_cndmask_b32_e64 v88, v88, v71, s11
	;; [unrolled: 3-line block ×3, first 2 shown]
	v_cndmask_b32_e64 v89, v89, v98, s8
	v_cndmask_b32_e64 v81, v81, v72, s12
	v_cmp_eq_u32_e64 s15, 7, v78
	v_cndmask_b32_e64 v88, v88, v96, s13
	v_cndmask_b32_e64 v87, v87, v86, s12
	v_cmp_eq_u32_e64 s16, 6, v79
	v_cmp_eq_u32_e64 s17, 2, v77
	v_cndmask_b32_e64 v89, v89, v85, s11
	v_cndmask_b32_e64 v101, v81, v97, s15
	;; [unrolled: 1-line block ×6, first 2 shown]
	v_cmp_eq_u32_e64 s18, 7, v79
	v_cmp_eq_u32_e64 s19, 3, v77
	;; [unrolled: 1-line block ×4, first 2 shown]
	v_cndmask_b32_e64 v87, v87, v84, s17
	v_cndmask_b32_e64 v103, v88, v97, s18
	;; [unrolled: 1-line block ×4, first 2 shown]
	v_or_b32_e32 v81, 3, v78
	v_cndmask_b32_e64 v93, v87, v98, s19
	v_cmp_eq_u32_e64 s24, 6, v77
	v_cndmask_b32_e64 v104, v88, v86, s16
	v_cndmask_b32_e64 v92, v89, v71, s20
	v_cmp_eq_u32_e64 s21, 1, v81
	ds_load_b128 v[87:90], v82 offset:1024
	v_cmp_eq_u32_e64 s23, 2, v81
	v_cmp_eq_u32_e64 s25, 3, v81
	v_cndmask_b32_e64 v105, v92, v96, s22
	v_cndmask_b32_e64 v66, v69, v66, s21
	;; [unrolled: 1-line block ×4, first 2 shown]
	ds_load_b128 v[91:94], v82 offset:1040
	v_cmp_eq_u32_e64 s26, 4, v81
	v_cndmask_b32_e64 v66, v66, v70, s23
	v_cmp_eq_u32_e64 s27, 7, v77
	v_cndmask_b32_e64 v70, v83, v84, s23
	v_cndmask_b32_e64 v84, v105, v72, s24
	v_cmp_eq_u32_e64 s28, 5, v81
	v_cndmask_b32_e64 v66, v66, v95, s25
	v_cmp_eq_u32_e64 s29, 6, v81
	v_cndmask_b32_e64 v70, v70, v98, s25
	v_cndmask_b32_e64 v69, v69, v99, s22
	;; [unrolled: 1-line block ×4, first 2 shown]
	s_waitcnt lgkmcnt(1)
	v_lshrrev_b32_e32 v95, 16, v87
	v_cndmask_b32_e64 v70, v70, v85, s26
	v_cndmask_b32_e64 v71, v84, v97, s27
	;; [unrolled: 1-line block ×4, first 2 shown]
	v_cndmask_b32_e32 v84, v87, v95, vcc_lo
	v_cndmask_b32_e64 v70, v70, v99, s28
	s_waitcnt lgkmcnt(0)
	v_lshrrev_b32_e32 v85, 16, v91
	v_lshrrev_b32_e32 v96, 16, v88
	v_cndmask_b32_e64 v98, v87, v95, s3
	v_cndmask_b32_e64 v84, v84, v88, s4
	;; [unrolled: 1-line block ×3, first 2 shown]
	v_cndmask_b32_e32 v99, v91, v85, vcc_lo
	v_cmp_eq_u32_e32 vcc_lo, 7, v81
	v_cndmask_b32_e64 v66, v66, v72, s29
	v_cndmask_b32_e64 v72, v84, v96, s7
	;; [unrolled: 1-line block ×3, first 2 shown]
	v_lshrrev_b32_e32 v98, 16, v92
	v_cndmask_b32_e32 v70, v70, v100, vcc_lo
	v_cndmask_b32_e64 v86, v99, v92, s4
	v_cndmask_b32_e64 v69, v69, v100, s27
	v_lshrrev_b32_e32 v100, 16, v93
	v_cndmask_b32_e64 v72, v72, v89, s9
	v_lshrrev_b32_e32 v99, 16, v89
	v_cndmask_b32_e64 v86, v86, v98, s7
	v_perm_b32 v71, v69, v71, 0x5040100
	v_cndmask_b32_e64 v84, v84, v96, s8
	s_delay_alu instid0(VALU_DEP_3) | instskip(NEXT) | instid1(VALU_DEP_2)
	v_cndmask_b32_e64 v86, v86, v93, s9
	v_cndmask_b32_e64 v84, v84, v89, s11
	s_delay_alu instid0(VALU_DEP_2) | instskip(NEXT) | instid1(VALU_DEP_1)
	v_cndmask_b32_e64 v86, v86, v100, s10
	v_cndmask_b32_e64 v69, v86, v94, s12
	;; [unrolled: 1-line block ×5, first 2 shown]
	s_delay_alu instid0(VALU_DEP_3) | instskip(NEXT) | instid1(VALU_DEP_3)
	v_cndmask_b32_e64 v86, v86, v88, s17
	v_cndmask_b32_e64 v87, v87, v88, s23
	s_delay_alu instid0(VALU_DEP_3) | instskip(NEXT) | instid1(VALU_DEP_3)
	v_cndmask_b32_e64 v88, v95, v92, s23
	v_cndmask_b32_e64 v86, v86, v96, s19
	;; [unrolled: 3-line block ×7, first 2 shown]
	s_delay_alu instid0(VALU_DEP_3) | instskip(SKIP_2) | instid1(VALU_DEP_2)
	v_cndmask_b32_e64 v88, v88, v94, s29
	v_cndmask_b32_e32 v66, v66, v97, vcc_lo
	v_cndmask_b32_e64 v97, v72, v99, s10
	v_perm_b32 v72, v70, v66, 0x5040100
	v_perm_b32 v70, v83, v103, 0x5040100
	v_cndmask_b32_e64 v103, v91, v85, s5
	v_cndmask_b32_e64 v85, v91, v85, s3
	;; [unrolled: 1-line block ×4, first 2 shown]
	v_lshrrev_b32_e32 v97, 16, v90
	v_cndmask_b32_e64 v91, v103, v92, s17
	v_cndmask_b32_e64 v85, v85, v92, s6
	;; [unrolled: 1-line block ×3, first 2 shown]
	s_mov_b32 s3, exec_lo
	v_cndmask_b32_e64 v83, v84, v97, s15
	v_cndmask_b32_e64 v91, v91, v98, s19
	;; [unrolled: 1-line block ×3, first 2 shown]
	v_lshrrev_b32_e32 v84, 16, v94
	v_cndmask_b32_e64 v66, v66, v97, s18
	v_cndmask_b32_e64 v90, v86, v97, s27
	;; [unrolled: 1-line block ×4, first 2 shown]
	v_dual_cndmask_b32 v86, v87, v97 :: v_dual_cndmask_b32 v87, v88, v84
	v_cndmask_b32_e64 v91, v69, v84, s15
	s_delay_alu instid0(VALU_DEP_4) | instskip(NEXT) | instid1(VALU_DEP_4)
	v_cndmask_b32_e64 v89, v89, v100, s22
	v_cndmask_b32_e64 v85, v85, v100, s13
	v_perm_b32 v69, v102, v101, 0x5040100
	v_perm_b32 v86, v87, v86, 0x5040100
	;; [unrolled: 1-line block ×3, first 2 shown]
	v_cndmask_b32_e64 v89, v89, v94, s24
	v_cndmask_b32_e64 v85, v85, v94, s16
	s_mul_i32 s8, s35, 14
	s_delay_alu instid0(VALU_DEP_2) | instskip(NEXT) | instid1(VALU_DEP_2)
	v_cndmask_b32_e64 v88, v89, v84, s27
	v_cndmask_b32_e64 v89, v85, v84, s18
	s_delay_alu instid0(VALU_DEP_2) | instskip(NEXT) | instid1(VALU_DEP_2)
	v_perm_b32 v85, v88, v90, 0x5040100
	v_perm_b32 v84, v89, v66, 0x5040100
	ds_store_b128 v76, v[69:72]
	ds_store_b128 v76, v[83:86] offset:1024
	v_cmpx_gt_u32_e32 14, v0
	s_cbranch_execz .LBB1691_78
; %bb.77:
	s_mul_i32 s4, s8, s30
	s_delay_alu instid0(SALU_CYCLE_1) | instskip(SKIP_1) | instid1(VALU_DEP_1)
	v_add3_u32 v69, s4, s31, v65
	s_load_b128 s[4:7], s[0:1], 0x58
	v_mad_u64_u32 v[65:66], null, v69, s34, s[14:15]
	s_delay_alu instid0(VALU_DEP_1) | instskip(NEXT) | instid1(VALU_DEP_1)
	v_ashrrev_i32_e32 v66, 31, v65
	v_lshlrev_b64 v[65:66], 2, v[65:66]
	s_waitcnt lgkmcnt(0)
	s_delay_alu instid0(VALU_DEP_1) | instskip(NEXT) | instid1(VALU_DEP_2)
	v_add_co_u32 v69, vcc_lo, s6, v65
	v_add_co_ci_u32_e32 v70, vcc_lo, s7, v66, vcc_lo
	v_add_co_u32 v65, vcc_lo, s4, v65
	v_add_co_ci_u32_e32 v66, vcc_lo, s5, v66, vcc_lo
	global_store_b32 v[69:70], v67, off
	global_store_b32 v[65:66], v68, off
.LBB1691_78:
	s_or_b32 exec_lo, exec_lo, s3
	s_waitcnt lgkmcnt(0)
	s_waitcnt_vscnt null, 0x0
	s_barrier
	buffer_gl0_inv
	ds_load_b128 v[83:86], v80
	ds_load_b128 v[87:90], v80 offset:16
	ds_load_b128 v[95:98], v80 offset:2064
	ds_load_b128 v[91:94], v80 offset:2048
	v_mov_b32_e32 v65, 0
	ds_load_b128 v[103:106], v80 offset:4112
	ds_load_b128 v[99:102], v80 offset:4096
	;; [unrolled: 1-line block ×4, first 2 shown]
	v_mov_b32_e32 v66, v65
	v_mov_b32_e32 v67, v65
	;; [unrolled: 1-line block ×7, first 2 shown]
	s_waitcnt lgkmcnt(6)
	s_delay_alu instid0(VALU_DEP_1)
	v_wmma_f32_16x16x16_bf16 v[65:72], v[57:64], v[83:90], v[65:72]
	ds_load_b128 v[61:64], v80 offset:8208
	ds_load_b128 v[57:60], v80 offset:8192
	s_waitcnt lgkmcnt(6)
	v_wmma_f32_16x16x16_bf16 v[65:72], v[41:48], v[91:98], v[65:72]
	ds_load_b128 v[45:48], v80 offset:10256
	ds_load_b128 v[41:44], v80 offset:10240
	s_waitcnt lgkmcnt(6)
	;; [unrolled: 4-line block ×4, first 2 shown]
	v_wmma_f32_16x16x16_bf16 v[65:72], v[1:8], v[57:64], v[65:72]
	s_waitcnt lgkmcnt(4)
	s_delay_alu instid0(VALU_DEP_1) | instskip(SKIP_1) | instid1(VALU_DEP_1)
	v_wmma_f32_16x16x16_bf16 v[65:72], v[9:16], v[41:48], v[65:72]
	s_waitcnt lgkmcnt(2)
	v_wmma_f32_16x16x16_bf16 v[65:72], v[17:24], v[33:40], v[65:72]
	s_waitcnt lgkmcnt(0)
	s_delay_alu instid0(VALU_DEP_1) | instskip(NEXT) | instid1(VALU_DEP_1)
	v_wmma_f32_16x16x16_bf16 v[65:72], v[49:56], v[25:32], v[65:72]
	v_and_b32_e32 v1, 0x7f800000, v65
	s_delay_alu instid0(VALU_DEP_1) | instskip(SKIP_1) | instid1(SALU_CYCLE_1)
	v_cmp_ne_u32_e32 vcc_lo, 0x7f800000, v1
                                        ; implicit-def: $vgpr1
	s_and_saveexec_b32 s3, vcc_lo
	s_xor_b32 s3, exec_lo, s3
; %bb.79:
	v_bfe_u32 v1, v65, 16, 1
	s_delay_alu instid0(VALU_DEP_1)
	v_add3_u32 v1, v65, v1, 0x7fff
; %bb.80:
	s_and_not1_saveexec_b32 s3, s3
; %bb.81:
	v_and_b32_e32 v1, 0xffff, v65
	v_or_b32_e32 v2, 0x10000, v65
	s_delay_alu instid0(VALU_DEP_2) | instskip(NEXT) | instid1(VALU_DEP_2)
	v_cmp_eq_u32_e32 vcc_lo, 0, v1
	v_cndmask_b32_e32 v1, v2, v65, vcc_lo
; %bb.82:
	s_or_b32 exec_lo, exec_lo, s3
	v_and_b32_e32 v2, 0x7f800000, v66
	s_delay_alu instid0(VALU_DEP_1) | instskip(SKIP_1) | instid1(SALU_CYCLE_1)
	v_cmp_ne_u32_e32 vcc_lo, 0x7f800000, v2
                                        ; implicit-def: $vgpr2
	s_and_saveexec_b32 s3, vcc_lo
	s_xor_b32 s3, exec_lo, s3
; %bb.83:
	v_bfe_u32 v2, v66, 16, 1
	s_delay_alu instid0(VALU_DEP_1)
	v_add3_u32 v2, v66, v2, 0x7fff
; %bb.84:
	s_and_not1_saveexec_b32 s3, s3
; %bb.85:
	v_and_b32_e32 v2, 0xffff, v66
	v_or_b32_e32 v3, 0x10000, v66
	s_delay_alu instid0(VALU_DEP_2) | instskip(NEXT) | instid1(VALU_DEP_2)
	v_cmp_eq_u32_e32 vcc_lo, 0, v2
	v_cndmask_b32_e32 v2, v3, v66, vcc_lo
; %bb.86:
	s_or_b32 exec_lo, exec_lo, s3
	v_and_b32_e32 v3, 0x7f800000, v67
	s_delay_alu instid0(VALU_DEP_1) | instskip(SKIP_1) | instid1(SALU_CYCLE_1)
	v_cmp_ne_u32_e32 vcc_lo, 0x7f800000, v3
                                        ; implicit-def: $vgpr3
	s_and_saveexec_b32 s3, vcc_lo
	s_xor_b32 s3, exec_lo, s3
; %bb.87:
	v_bfe_u32 v3, v67, 16, 1
	s_delay_alu instid0(VALU_DEP_1)
	v_add3_u32 v3, v67, v3, 0x7fff
; %bb.88:
	s_and_not1_saveexec_b32 s3, s3
; %bb.89:
	v_and_b32_e32 v3, 0xffff, v67
	v_or_b32_e32 v4, 0x10000, v67
	s_delay_alu instid0(VALU_DEP_2) | instskip(NEXT) | instid1(VALU_DEP_2)
	v_cmp_eq_u32_e32 vcc_lo, 0, v3
	v_cndmask_b32_e32 v3, v4, v67, vcc_lo
; %bb.90:
	s_or_b32 exec_lo, exec_lo, s3
	v_and_b32_e32 v4, 0x7f800000, v68
	s_delay_alu instid0(VALU_DEP_1) | instskip(SKIP_1) | instid1(SALU_CYCLE_1)
	v_cmp_ne_u32_e32 vcc_lo, 0x7f800000, v4
                                        ; implicit-def: $vgpr4
	s_and_saveexec_b32 s3, vcc_lo
	s_xor_b32 s3, exec_lo, s3
; %bb.91:
	v_bfe_u32 v4, v68, 16, 1
	s_delay_alu instid0(VALU_DEP_1)
	v_add3_u32 v4, v68, v4, 0x7fff
; %bb.92:
	s_and_not1_saveexec_b32 s3, s3
; %bb.93:
	v_and_b32_e32 v4, 0xffff, v68
	v_or_b32_e32 v5, 0x10000, v68
	s_delay_alu instid0(VALU_DEP_2) | instskip(NEXT) | instid1(VALU_DEP_2)
	v_cmp_eq_u32_e32 vcc_lo, 0, v4
	v_cndmask_b32_e32 v4, v5, v68, vcc_lo
; %bb.94:
	s_or_b32 exec_lo, exec_lo, s3
	v_and_b32_e32 v5, 0x7f800000, v69
	s_delay_alu instid0(VALU_DEP_1) | instskip(SKIP_1) | instid1(SALU_CYCLE_1)
	v_cmp_ne_u32_e32 vcc_lo, 0x7f800000, v5
                                        ; implicit-def: $vgpr5
	s_and_saveexec_b32 s3, vcc_lo
	s_xor_b32 s3, exec_lo, s3
; %bb.95:
	v_bfe_u32 v5, v69, 16, 1
	s_delay_alu instid0(VALU_DEP_1)
	v_add3_u32 v5, v69, v5, 0x7fff
; %bb.96:
	s_and_not1_saveexec_b32 s3, s3
; %bb.97:
	v_and_b32_e32 v5, 0xffff, v69
	v_or_b32_e32 v6, 0x10000, v69
	s_delay_alu instid0(VALU_DEP_2) | instskip(NEXT) | instid1(VALU_DEP_2)
	v_cmp_eq_u32_e32 vcc_lo, 0, v5
	v_cndmask_b32_e32 v5, v6, v69, vcc_lo
; %bb.98:
	s_or_b32 exec_lo, exec_lo, s3
	v_and_b32_e32 v6, 0x7f800000, v70
	s_delay_alu instid0(VALU_DEP_1) | instskip(SKIP_1) | instid1(SALU_CYCLE_1)
	v_cmp_ne_u32_e32 vcc_lo, 0x7f800000, v6
                                        ; implicit-def: $vgpr6
	s_and_saveexec_b32 s3, vcc_lo
	s_xor_b32 s3, exec_lo, s3
; %bb.99:
	v_bfe_u32 v6, v70, 16, 1
	s_delay_alu instid0(VALU_DEP_1)
	v_add3_u32 v6, v70, v6, 0x7fff
; %bb.100:
	s_and_not1_saveexec_b32 s3, s3
; %bb.101:
	v_and_b32_e32 v6, 0xffff, v70
	v_or_b32_e32 v7, 0x10000, v70
	s_delay_alu instid0(VALU_DEP_2) | instskip(NEXT) | instid1(VALU_DEP_2)
	v_cmp_eq_u32_e32 vcc_lo, 0, v6
	v_cndmask_b32_e32 v6, v7, v70, vcc_lo
; %bb.102:
	s_or_b32 exec_lo, exec_lo, s3
	v_and_b32_e32 v7, 0x7f800000, v71
	s_delay_alu instid0(VALU_DEP_1) | instskip(SKIP_1) | instid1(SALU_CYCLE_1)
	v_cmp_ne_u32_e32 vcc_lo, 0x7f800000, v7
                                        ; implicit-def: $vgpr7
	s_and_saveexec_b32 s3, vcc_lo
	s_xor_b32 s3, exec_lo, s3
; %bb.103:
	v_bfe_u32 v7, v71, 16, 1
	s_delay_alu instid0(VALU_DEP_1)
	v_add3_u32 v7, v71, v7, 0x7fff
; %bb.104:
	s_and_not1_saveexec_b32 s3, s3
; %bb.105:
	v_and_b32_e32 v7, 0xffff, v71
	v_or_b32_e32 v8, 0x10000, v71
	s_delay_alu instid0(VALU_DEP_2) | instskip(NEXT) | instid1(VALU_DEP_2)
	v_cmp_eq_u32_e32 vcc_lo, 0, v7
	v_cndmask_b32_e32 v7, v8, v71, vcc_lo
; %bb.106:
	s_or_b32 exec_lo, exec_lo, s3
	v_and_b32_e32 v8, 0x7f800000, v72
	s_delay_alu instid0(VALU_DEP_1) | instskip(SKIP_1) | instid1(SALU_CYCLE_1)
	v_cmp_ne_u32_e32 vcc_lo, 0x7f800000, v8
                                        ; implicit-def: $vgpr8
	s_and_saveexec_b32 s3, vcc_lo
	s_xor_b32 s3, exec_lo, s3
; %bb.107:
	v_bfe_u32 v8, v72, 16, 1
	s_delay_alu instid0(VALU_DEP_1)
	v_add3_u32 v8, v72, v8, 0x7fff
                                        ; implicit-def: $vgpr65_vgpr66_vgpr67_vgpr68_vgpr69_vgpr70_vgpr71_vgpr72
; %bb.108:
	s_and_not1_saveexec_b32 s3, s3
; %bb.109:
	v_and_b32_e32 v8, 0xffff, v72
	v_or_b32_e32 v9, 0x10000, v72
	s_delay_alu instid0(VALU_DEP_2) | instskip(NEXT) | instid1(VALU_DEP_2)
	v_cmp_eq_u32_e32 vcc_lo, 0, v8
	v_cndmask_b32_e32 v8, v9, v72, vcc_lo
; %bb.110:
	s_or_b32 exec_lo, exec_lo, s3
	s_delay_alu instid0(VALU_DEP_1)
	v_perm_b32 v7, v8, v7, 0x7060302
	v_perm_b32 v6, v6, v5, 0x7060302
	;; [unrolled: 1-line block ×4, first 2 shown]
	s_barrier
	buffer_gl0_inv
	v_cmp_eq_u32_e32 vcc_lo, 1, v78
	ds_store_b128 v76, v[4:7]
	s_waitcnt lgkmcnt(0)
	s_barrier
	buffer_gl0_inv
	ds_load_b128 v[1:4], v82
	ds_load_b128 v[5:8], v82 offset:16
	v_cmp_eq_u32_e64 s3, 1, v79
	v_cmp_eq_u32_e64 s4, 2, v78
	;; [unrolled: 1-line block ×5, first 2 shown]
	s_waitcnt lgkmcnt(1)
	v_lshrrev_b32_e32 v9, 16, v1
	s_waitcnt lgkmcnt(0)
	v_lshrrev_b32_e32 v13, 16, v5
	v_lshrrev_b32_e32 v10, 16, v2
	v_lshrrev_b32_e32 v14, 16, v6
	v_lshrrev_b32_e32 v11, 16, v3
	v_cndmask_b32_e64 v19, v1, v9, s3
	v_cndmask_b32_e32 v18, v5, v13, vcc_lo
	v_cndmask_b32_e64 v20, v5, v13, s3
	v_cndmask_b32_e32 v17, v1, v9, vcc_lo
	v_cmp_eq_u32_e32 vcc_lo, 2, v79
	v_lshrrev_b32_e32 v15, 16, v7
	v_cmp_eq_u32_e64 s3, 1, v77
	v_lshrrev_b32_e32 v12, 16, v4
	v_lshrrev_b32_e32 v16, 16, v8
	v_cndmask_b32_e32 v20, v20, v6, vcc_lo
	v_cndmask_b32_e64 v17, v17, v2, s4
	v_cndmask_b32_e32 v19, v19, v2, vcc_lo
	v_cndmask_b32_e64 v18, v18, v6, s4
	v_cmp_eq_u32_e32 vcc_lo, 4, v78
	v_cmp_eq_u32_e64 s4, 3, v79
	v_cndmask_b32_e64 v17, v17, v10, s5
	v_cndmask_b32_e64 v21, v1, v9, s3
	;; [unrolled: 1-line block ×5, first 2 shown]
	v_cndmask_b32_e32 v17, v17, v3, vcc_lo
	v_cndmask_b32_e64 v20, v20, v14, s4
	v_cndmask_b32_e32 v18, v18, v7, vcc_lo
	v_cmp_eq_u32_e32 vcc_lo, 4, v79
	v_cmp_eq_u32_e64 s4, 5, v79
	v_cmp_eq_u32_e64 s3, 2, v81
	v_cndmask_b32_e64 v21, v21, v2, s7
	v_cmp_eq_u32_e64 s5, 5, v78
	v_cndmask_b32_e32 v19, v19, v3, vcc_lo
	v_cndmask_b32_e32 v20, v20, v7, vcc_lo
	v_cmp_eq_u32_e32 vcc_lo, 6, v79
	s_delay_alu instid0(VALU_DEP_4) | instskip(NEXT) | instid1(VALU_DEP_4)
	v_cndmask_b32_e64 v17, v17, v11, s5
	v_cndmask_b32_e64 v19, v19, v11, s4
	s_delay_alu instid0(VALU_DEP_4) | instskip(SKIP_1) | instid1(VALU_DEP_3)
	v_cndmask_b32_e64 v20, v20, v15, s4
	v_cmp_eq_u32_e64 s4, 1, v81
	v_cndmask_b32_e32 v19, v19, v4, vcc_lo
	v_cndmask_b32_e64 v18, v18, v15, s5
	s_delay_alu instid0(VALU_DEP_3)
	v_cndmask_b32_e64 v1, v1, v9, s4
	v_cndmask_b32_e64 v5, v5, v13, s4
	v_cmp_eq_u32_e64 s4, 3, v77
	v_cndmask_b32_e64 v13, v22, v6, s7
	v_cmp_eq_u32_e64 s7, 3, v81
	v_cndmask_b32_e64 v1, v1, v2, s3
	v_cndmask_b32_e64 v2, v5, v6, s3
	;; [unrolled: 1-line block ×3, first 2 shown]
	v_cmp_eq_u32_e64 s3, 4, v77
	v_cndmask_b32_e64 v6, v13, v14, s4
	v_cndmask_b32_e64 v1, v1, v10, s7
	v_cmp_eq_u32_e64 s4, 4, v81
	v_cndmask_b32_e64 v2, v2, v14, s7
	v_cndmask_b32_e64 v5, v9, v3, s3
	;; [unrolled: 3-line block ×3, first 2 shown]
	v_cndmask_b32_e64 v2, v2, v7, s4
	v_cmp_eq_u32_e64 s3, 5, v81
	v_cmp_eq_u32_e64 s5, 6, v78
	v_cndmask_b32_e64 v5, v5, v11, s7
	v_cmp_eq_u32_e64 s4, 6, v77
	v_cndmask_b32_e64 v3, v6, v15, s7
	v_cndmask_b32_e64 v1, v1, v11, s3
	v_cmp_eq_u32_e64 s7, 6, v81
	v_cndmask_b32_e64 v2, v2, v15, s3
	v_cndmask_b32_e64 v17, v17, v4, s5
	v_cndmask_b32_e64 v18, v18, v8, s5
	v_cmp_eq_u32_e64 s5, 7, v78
	v_cndmask_b32_e64 v5, v5, v4, s4
	;; [unrolled: 4-line block ×3, first 2 shown]
	v_cmp_eq_u32_e64 s4, 7, v77
	v_cndmask_b32_e32 v4, v20, v8, vcc_lo
	v_cndmask_b32_e64 v17, v17, v12, s5
	v_cndmask_b32_e64 v19, v19, v12, s6
	;; [unrolled: 1-line block ×8, first 2 shown]
	v_cmp_gt_u32_e32 vcc_lo, 32, v0
	v_perm_b32 v4, v2, v1, 0x5040100
	v_perm_b32 v3, v3, v5, 0x5040100
	;; [unrolled: 1-line block ×4, first 2 shown]
	s_and_b32 s2, vcc_lo, s2
	ds_store_b128 v76, v[1:4]
	s_waitcnt lgkmcnt(0)
	s_barrier
	buffer_gl0_inv
	s_and_saveexec_b32 s3, s2
	s_cbranch_execz .LBB1691_2
; %bb.111:
	s_load_b64 s[0:1], s[0:1], 0x68
	v_lshlrev_b32_e32 v0, 10, v0
	s_lshl_b32 s4, s34, 6
	v_or_b32_e32 v3, s31, v74
	s_mul_i32 s2, s4, s30
	v_lshlrev_b32_e32 v1, 4, v75
	v_lshlrev_b32_e32 v2, 6, v74
	v_and_b32_e32 v0, 0x3800, v0
	s_mul_i32 s2, s2, s8
	v_mul_lo_u32 v8, v3, s4
	s_ashr_i32 s3, s2, 31
	s_delay_alu instid0(SALU_CYCLE_1)
	s_lshl_b64 s[2:3], s[2:3], 1
	v_or3_b32 v16, v0, v1, v2
	ds_load_b128 v[0:3], v16
	ds_load_b128 v[4:7], v16 offset:128
	v_ashrrev_i32_e32 v9, 31, v8
	s_waitcnt lgkmcnt(0)
	s_add_u32 s2, s0, s2
	s_addc_u32 s3, s1, s3
	s_lshl_b32 s0, s14, 6
	s_delay_alu instid0(SALU_CYCLE_1) | instskip(SKIP_2) | instid1(SALU_CYCLE_1)
	s_ashr_i32 s1, s0, 31
	v_lshlrev_b64 v[9:10], 1, v[8:9]
	s_lshl_b64 s[0:1], s[0:1], 1
	s_add_u32 s0, s2, s0
	s_addc_u32 s1, s3, s1
	s_lshl_b32 s2, s34, 7
	v_add_co_u32 v30, s0, s0, v73
	v_add_nc_u32_e32 v11, s2, v8
	v_add_co_ci_u32_e64 v31, null, s1, 0, s0
	s_delay_alu instid0(VALU_DEP_3) | instskip(NEXT) | instid1(VALU_DEP_3)
	v_add_co_u32 v9, vcc_lo, v30, v9
	v_add_nc_u32_e32 v8, s2, v11
	s_delay_alu instid0(VALU_DEP_3) | instskip(SKIP_1) | instid1(VALU_DEP_3)
	v_add_co_ci_u32_e32 v10, vcc_lo, v31, v10, vcc_lo
	v_ashrrev_i32_e32 v12, 31, v11
	v_add_nc_u32_e32 v13, s2, v8
	global_store_b128 v[9:10], v[0:3], off
	v_ashrrev_i32_e32 v9, 31, v8
	v_lshlrev_b64 v[11:12], 1, v[11:12]
	v_ashrrev_i32_e32 v14, 31, v13
	v_add_nc_u32_e32 v10, s2, v13
	s_delay_alu instid0(VALU_DEP_4) | instskip(NEXT) | instid1(VALU_DEP_4)
	v_lshlrev_b64 v[2:3], 1, v[8:9]
	v_add_co_u32 v0, vcc_lo, v30, v11
	s_delay_alu instid0(VALU_DEP_4)
	v_lshlrev_b64 v[8:9], 1, v[13:14]
	v_add_co_ci_u32_e32 v1, vcc_lo, v31, v12, vcc_lo
	v_ashrrev_i32_e32 v11, 31, v10
	v_add_co_u32 v22, vcc_lo, v30, v2
	v_add_nc_u32_e32 v20, s2, v10
	v_add_co_ci_u32_e32 v23, vcc_lo, v31, v3, vcc_lo
	v_add_co_u32 v24, vcc_lo, v30, v8
	global_store_b128 v[0:1], v[4:7], off
	v_add_co_ci_u32_e32 v25, vcc_lo, v31, v9, vcc_lo
	ds_load_b128 v[0:3], v16 offset:256
	ds_load_b128 v[4:7], v16 offset:384
	v_lshlrev_b64 v[26:27], 1, v[10:11]
	ds_load_b128 v[8:11], v16 offset:512
	ds_load_b128 v[12:15], v16 offset:640
	;; [unrolled: 1-line block ×3, first 2 shown]
	v_add_nc_u32_e32 v28, s2, v20
	v_ashrrev_i32_e32 v21, 31, v20
	v_add_co_u32 v26, vcc_lo, v30, v26
	s_delay_alu instid0(VALU_DEP_3) | instskip(NEXT) | instid1(VALU_DEP_3)
	v_ashrrev_i32_e32 v29, 31, v28
	v_lshlrev_b64 v[20:21], 1, v[20:21]
	v_add_co_ci_u32_e32 v27, vcc_lo, v31, v27, vcc_lo
	s_delay_alu instid0(VALU_DEP_3) | instskip(NEXT) | instid1(VALU_DEP_3)
	v_lshlrev_b64 v[28:29], 1, v[28:29]
	v_add_co_u32 v20, vcc_lo, v30, v20
	s_delay_alu instid0(VALU_DEP_4) | instskip(NEXT) | instid1(VALU_DEP_3)
	v_add_co_ci_u32_e32 v21, vcc_lo, v31, v21, vcc_lo
	v_add_co_u32 v28, vcc_lo, v30, v28
	s_delay_alu instid0(VALU_DEP_4)
	v_add_co_ci_u32_e32 v29, vcc_lo, v31, v29, vcc_lo
	s_waitcnt lgkmcnt(4)
	global_store_b128 v[22:23], v[0:3], off
	s_waitcnt lgkmcnt(3)
	global_store_b128 v[24:25], v[4:7], off
	;; [unrolled: 2-line block ×5, first 2 shown]
	s_nop 0
	s_sendmsg sendmsg(MSG_DEALLOC_VGPRS)
	s_endpgm
	.section	.rodata,"a",@progbits
	.p2align	6, 0x0
	.amdhsa_kernel _Z39paged_attention_ll4mi_QKV_mfma16_kernelI14__hip_bfloat16hLN4vllm18Fp8KVCacheDataTypeE1EhLi16ELi64ELi256ELb0ELi14EL8MFMAType0EEvPKT_PKT0_S9_ifPKiSB_SB_iPKfiiiPfSE_PS4_PT2_iSD_SD_
		.amdhsa_group_segment_fixed_size 17472
		.amdhsa_private_segment_fixed_size 0
		.amdhsa_kernarg_size 400
		.amdhsa_user_sgpr_count 13
		.amdhsa_user_sgpr_dispatch_ptr 0
		.amdhsa_user_sgpr_queue_ptr 0
		.amdhsa_user_sgpr_kernarg_segment_ptr 1
		.amdhsa_user_sgpr_dispatch_id 0
		.amdhsa_user_sgpr_private_segment_size 0
		.amdhsa_wavefront_size32 1
		.amdhsa_uses_dynamic_stack 0
		.amdhsa_enable_private_segment 0
		.amdhsa_system_sgpr_workgroup_id_x 1
		.amdhsa_system_sgpr_workgroup_id_y 1
		.amdhsa_system_sgpr_workgroup_id_z 1
		.amdhsa_system_sgpr_workgroup_info 0
		.amdhsa_system_vgpr_workitem_id 0
		.amdhsa_next_free_vgpr 124
		.amdhsa_next_free_sgpr 38
		.amdhsa_reserve_vcc 1
		.amdhsa_float_round_mode_32 0
		.amdhsa_float_round_mode_16_64 0
		.amdhsa_float_denorm_mode_32 3
		.amdhsa_float_denorm_mode_16_64 3
		.amdhsa_dx10_clamp 1
		.amdhsa_ieee_mode 1
		.amdhsa_fp16_overflow 0
		.amdhsa_workgroup_processor_mode 1
		.amdhsa_memory_ordered 1
		.amdhsa_forward_progress 0
		.amdhsa_shared_vgpr_count 0
		.amdhsa_exception_fp_ieee_invalid_op 0
		.amdhsa_exception_fp_denorm_src 0
		.amdhsa_exception_fp_ieee_div_zero 0
		.amdhsa_exception_fp_ieee_overflow 0
		.amdhsa_exception_fp_ieee_underflow 0
		.amdhsa_exception_fp_ieee_inexact 0
		.amdhsa_exception_int_div_zero 0
	.end_amdhsa_kernel
	.section	.text._Z39paged_attention_ll4mi_QKV_mfma16_kernelI14__hip_bfloat16hLN4vllm18Fp8KVCacheDataTypeE1EhLi16ELi64ELi256ELb0ELi14EL8MFMAType0EEvPKT_PKT0_S9_ifPKiSB_SB_iPKfiiiPfSE_PS4_PT2_iSD_SD_,"axG",@progbits,_Z39paged_attention_ll4mi_QKV_mfma16_kernelI14__hip_bfloat16hLN4vllm18Fp8KVCacheDataTypeE1EhLi16ELi64ELi256ELb0ELi14EL8MFMAType0EEvPKT_PKT0_S9_ifPKiSB_SB_iPKfiiiPfSE_PS4_PT2_iSD_SD_,comdat
.Lfunc_end1691:
	.size	_Z39paged_attention_ll4mi_QKV_mfma16_kernelI14__hip_bfloat16hLN4vllm18Fp8KVCacheDataTypeE1EhLi16ELi64ELi256ELb0ELi14EL8MFMAType0EEvPKT_PKT0_S9_ifPKiSB_SB_iPKfiiiPfSE_PS4_PT2_iSD_SD_, .Lfunc_end1691-_Z39paged_attention_ll4mi_QKV_mfma16_kernelI14__hip_bfloat16hLN4vllm18Fp8KVCacheDataTypeE1EhLi16ELi64ELi256ELb0ELi14EL8MFMAType0EEvPKT_PKT0_S9_ifPKiSB_SB_iPKfiiiPfSE_PS4_PT2_iSD_SD_
                                        ; -- End function
	.section	.AMDGPU.csdata,"",@progbits
; Kernel info:
; codeLenInByte = 8860
; NumSgprs: 40
; NumVgprs: 124
; ScratchSize: 0
; MemoryBound: 0
; FloatMode: 240
; IeeeMode: 1
; LDSByteSize: 17472 bytes/workgroup (compile time only)
; SGPRBlocks: 4
; VGPRBlocks: 15
; NumSGPRsForWavesPerEU: 40
; NumVGPRsForWavesPerEU: 124
; Occupancy: 10
; WaveLimiterHint : 1
; COMPUTE_PGM_RSRC2:SCRATCH_EN: 0
; COMPUTE_PGM_RSRC2:USER_SGPR: 13
; COMPUTE_PGM_RSRC2:TRAP_HANDLER: 0
; COMPUTE_PGM_RSRC2:TGID_X_EN: 1
; COMPUTE_PGM_RSRC2:TGID_Y_EN: 1
; COMPUTE_PGM_RSRC2:TGID_Z_EN: 1
; COMPUTE_PGM_RSRC2:TIDIG_COMP_CNT: 0
	.section	.text._Z39paged_attention_ll4mi_QKV_mfma16_kernelI14__hip_bfloat16hLN4vllm18Fp8KVCacheDataTypeE1EhLi16ELi64ELi256ELb0ELi15EL8MFMAType0EEvPKT_PKT0_S9_ifPKiSB_SB_iPKfiiiPfSE_PS4_PT2_iSD_SD_,"axG",@progbits,_Z39paged_attention_ll4mi_QKV_mfma16_kernelI14__hip_bfloat16hLN4vllm18Fp8KVCacheDataTypeE1EhLi16ELi64ELi256ELb0ELi15EL8MFMAType0EEvPKT_PKT0_S9_ifPKiSB_SB_iPKfiiiPfSE_PS4_PT2_iSD_SD_,comdat
	.protected	_Z39paged_attention_ll4mi_QKV_mfma16_kernelI14__hip_bfloat16hLN4vllm18Fp8KVCacheDataTypeE1EhLi16ELi64ELi256ELb0ELi15EL8MFMAType0EEvPKT_PKT0_S9_ifPKiSB_SB_iPKfiiiPfSE_PS4_PT2_iSD_SD_ ; -- Begin function _Z39paged_attention_ll4mi_QKV_mfma16_kernelI14__hip_bfloat16hLN4vllm18Fp8KVCacheDataTypeE1EhLi16ELi64ELi256ELb0ELi15EL8MFMAType0EEvPKT_PKT0_S9_ifPKiSB_SB_iPKfiiiPfSE_PS4_PT2_iSD_SD_
	.globl	_Z39paged_attention_ll4mi_QKV_mfma16_kernelI14__hip_bfloat16hLN4vllm18Fp8KVCacheDataTypeE1EhLi16ELi64ELi256ELb0ELi15EL8MFMAType0EEvPKT_PKT0_S9_ifPKiSB_SB_iPKfiiiPfSE_PS4_PT2_iSD_SD_
	.p2align	8
	.type	_Z39paged_attention_ll4mi_QKV_mfma16_kernelI14__hip_bfloat16hLN4vllm18Fp8KVCacheDataTypeE1EhLi16ELi64ELi256ELb0ELi15EL8MFMAType0EEvPKT_PKT0_S9_ifPKiSB_SB_iPKfiiiPfSE_PS4_PT2_iSD_SD_,@function
_Z39paged_attention_ll4mi_QKV_mfma16_kernelI14__hip_bfloat16hLN4vllm18Fp8KVCacheDataTypeE1EhLi16ELi64ELi256ELb0ELi15EL8MFMAType0EEvPKT_PKT0_S9_ifPKiSB_SB_iPKfiiiPfSE_PS4_PT2_iSD_SD_: ; @_Z39paged_attention_ll4mi_QKV_mfma16_kernelI14__hip_bfloat16hLN4vllm18Fp8KVCacheDataTypeE1EhLi16ELi64ELi256ELb0ELi15EL8MFMAType0EEvPKT_PKT0_S9_ifPKiSB_SB_iPKfiiiPfSE_PS4_PT2_iSD_SD_
; %bb.0:
	s_load_b64 s[2:3], s[0:1], 0x30
	s_mov_b32 s34, s13
	s_waitcnt lgkmcnt(0)
	s_cmp_lg_u64 s[2:3], 0
	s_cselect_b32 s8, -1, 0
	s_ashr_i32 s35, s13, 31
	s_cmp_eq_u64 s[2:3], 0
	s_cbranch_scc1 .LBB1692_3
; %bb.1:
	s_lshl_b64 s[4:5], s[34:35], 2
	s_delay_alu instid0(SALU_CYCLE_1) | instskip(SKIP_4) | instid1(SALU_CYCLE_1)
	s_add_u32 s4, s2, s4
	s_addc_u32 s5, s3, s5
	s_load_b64 s[4:5], s[4:5], 0x0
	s_waitcnt lgkmcnt(0)
	s_sub_i32 s4, s5, s4
	s_cmp_eq_u32 s4, 1
	s_cselect_b32 s4, -1, 0
	s_delay_alu instid0(SALU_CYCLE_1)
	s_and_not1_b32 vcc_lo, exec_lo, s4
	s_cbranch_vccz .LBB1692_4
.LBB1692_2:
	s_nop 0
	s_sendmsg sendmsg(MSG_DEALLOC_VGPRS)
	s_endpgm
.LBB1692_3:
.LBB1692_4:
	s_load_b64 s[4:5], s[0:1], 0x28
	s_lshl_b64 s[6:7], s[34:35], 2
	s_waitcnt lgkmcnt(0)
	s_add_u32 s4, s4, s6
	s_addc_u32 s5, s5, s7
	s_lshl_b32 s12, s14, 8
	s_load_b32 s24, s[4:5], 0x0
	s_waitcnt lgkmcnt(0)
	s_cmp_ge_i32 s12, s24
	s_cbranch_scc1 .LBB1692_2
; %bb.5:
	s_clause 0x1
	s_load_b128 s[20:23], s[0:1], 0x8
	s_load_b64 s[4:5], s[0:1], 0x20
	s_and_not1_b32 vcc_lo, exec_lo, s8
	s_cbranch_vccnz .LBB1692_7
; %bb.6:
	s_add_u32 s2, s2, s6
	s_addc_u32 s3, s3, s7
	s_load_b32 s3, s[2:3], 0x0
	s_branch .LBB1692_8
.LBB1692_7:
	s_mov_b32 s3, s34
.LBB1692_8:
	s_load_b128 s[16:19], s[0:1], 0x48
	v_lshrrev_b32_e32 v66, 5, v0
	v_bfe_u32 v74, v0, 4, 1
	v_and_b32_e32 v65, 15, v0
	v_and_b32_e32 v67, 31, v0
	;; [unrolled: 1-line block ×3, first 2 shown]
	s_mul_i32 s31, s15, 15
	v_lshl_or_b32 v1, v66, 1, v74
	v_lshlrev_b32_e32 v2, 3, v65
	v_cmp_gt_u32_e64 s2, 8, v65
	s_delay_alu instid0(VALU_DEP_3) | instskip(NEXT) | instid1(VALU_DEP_3)
	v_cmp_gt_u32_e32 vcc_lo, 15, v1
	v_lshlrev_b32_e32 v73, 1, v2
	s_delay_alu instid0(VALU_DEP_3) | instskip(NEXT) | instid1(SALU_CYCLE_1)
	s_and_b32 s7, s2, vcc_lo
	s_and_saveexec_b32 s6, s7
	s_cbranch_execz .LBB1692_10
; %bb.9:
	s_load_b64 s[8:9], s[0:1], 0x0
	v_add_lshl_u32 v2, v1, s31, 6
	s_waitcnt lgkmcnt(0)
	s_mul_hi_i32 s11, s3, s16
	s_mul_i32 s10, s3, s16
	v_lshlrev_b32_e32 v6, 10, v65
	s_lshl_b64 s[10:11], s[10:11], 1
	v_ashrrev_i32_e32 v3, 31, v2
	v_lshlrev_b32_e32 v1, 6, v1
	v_lshlrev_b32_e32 v7, 10, v75
	v_and_b32_e32 v6, 0x3800, v6
	s_delay_alu instid0(VALU_DEP_4) | instskip(NEXT) | instid1(VALU_DEP_2)
	v_lshlrev_b64 v[2:3], 1, v[2:3]
	v_or3_b32 v1, v6, v7, v1
	s_add_u32 s3, s8, s10
	s_addc_u32 s7, s9, s11
	s_delay_alu instid0(VALU_DEP_2) | instskip(NEXT) | instid1(VALU_DEP_3)
	v_add_co_u32 v2, vcc_lo, s3, v2
	v_add_co_ci_u32_e32 v3, vcc_lo, s7, v3, vcc_lo
	s_delay_alu instid0(VALU_DEP_2) | instskip(NEXT) | instid1(VALU_DEP_2)
	v_add_co_u32 v2, vcc_lo, v2, v73
	v_add_co_ci_u32_e32 v3, vcc_lo, 0, v3, vcc_lo
	global_load_b128 v[2:5], v[2:3], off
	s_waitcnt vmcnt(0)
	ds_store_b128 v1, v[2:5]
.LBB1692_10:
	s_or_b32 exec_lo, exec_lo, s6
	v_and_b32_e32 v1, 0xef, v0
	s_waitcnt lgkmcnt(0)
	s_add_i32 s3, s24, 15
	s_clause 0x1
	s_load_b32 s6, s[0:1], 0x38
	s_load_b32 s19, s[0:1], 0x1c
	s_ashr_i32 s7, s3, 31
	v_add_nc_u32_e32 v1, s12, v1
	s_lshr_b32 s7, s7, 28
	s_waitcnt lgkmcnt(0)
	s_add_i32 s3, s3, s7
	s_barrier
	v_ashrrev_i32_e32 v2, 31, v1
	v_or_b32_e32 v3, 16, v1
	s_ashr_i32 s3, s3, 4
	v_cmp_gt_i32_e32 vcc_lo, s24, v1
	s_add_i32 s3, s3, -1
	v_lshrrev_b32_e32 v2, 28, v2
	buffer_gl0_inv
	s_mul_i32 s27, s15, s18
	v_add_nc_u32_e32 v4, v1, v2
	s_mul_i32 s6, s34, s6
	s_delay_alu instid0(SALU_CYCLE_1) | instskip(NEXT) | instid1(VALU_DEP_1)
	s_ashr_i32 s7, s6, 31
	v_ashrrev_i32_e32 v4, 4, v4
	v_add_nc_u32_e32 v2, v3, v2
	s_lshl_b64 s[6:7], s[6:7], 2
	s_delay_alu instid0(SALU_CYCLE_1) | instskip(NEXT) | instid1(VALU_DEP_2)
	s_add_u32 s26, s4, s6
	v_cndmask_b32_e32 v1, s3, v4, vcc_lo
	s_delay_alu instid0(VALU_DEP_2)
	v_ashrrev_i32_e32 v2, 4, v2
	v_cmp_gt_i32_e32 vcc_lo, s24, v3
	s_addc_u32 s25, s5, s7
	s_ashr_i32 s28, s27, 31
	s_add_u32 s13, s20, s27
	s_addc_u32 s15, s21, s28
	v_cndmask_b32_e32 v3, s3, v2, vcc_lo
	v_ashrrev_i32_e32 v2, 31, v1
	s_lshl_b32 s4, s14, 4
	s_delay_alu instid0(SALU_CYCLE_1) | instskip(NEXT) | instid1(VALU_DEP_2)
	s_ashr_i32 s5, s4, 31
	v_ashrrev_i32_e32 v4, 31, v3
	s_delay_alu instid0(VALU_DEP_2) | instskip(SKIP_1) | instid1(SALU_CYCLE_1)
	v_lshlrev_b64 v[1:2], 2, v[1:2]
	s_lshl_b64 s[4:5], s[4:5], 2
	s_add_u32 s4, s26, s4
	s_delay_alu instid0(VALU_DEP_2) | instskip(SKIP_1) | instid1(VALU_DEP_2)
	v_lshlrev_b64 v[3:4], 2, v[3:4]
	s_addc_u32 s5, s25, s5
	v_add_co_u32 v1, vcc_lo, s26, v1
	v_add_co_ci_u32_e32 v2, vcc_lo, s25, v2, vcc_lo
	s_delay_alu instid0(VALU_DEP_3) | instskip(NEXT) | instid1(VALU_DEP_4)
	v_add_co_u32 v3, vcc_lo, s26, v3
	v_add_co_ci_u32_e32 v4, vcc_lo, s25, v4, vcc_lo
	s_clause 0x1
	global_load_b32 v5, v[1:2], off
	global_load_b32 v7, v[3:4], off
	s_or_b32 s6, s12, 32
	v_lshlrev_b32_e32 v1, 4, v0
	s_ashr_i32 s7, s6, 4
	s_cmp_lt_i32 s6, s24
	v_cmp_ne_u32_e32 vcc_lo, 15, v65
	s_cselect_b32 s6, s7, s3
	v_and_b32_e32 v1, 0xf0, v1
	s_ashr_i32 s7, s6, 31
	s_delay_alu instid0(SALU_CYCLE_1) | instskip(NEXT) | instid1(SALU_CYCLE_1)
	s_lshl_b64 s[6:7], s[6:7], 2
	s_add_u32 s6, s26, s6
	s_addc_u32 s7, s25, s7
	s_or_b32 s8, s12, 64
	v_add_co_u32 v1, s13, s13, v1
	s_ashr_i32 s9, s8, 4
	s_cmp_lt_i32 s8, s24
	v_add_co_ci_u32_e64 v2, null, s15, 0, s13
	s_cselect_b32 s8, s9, s3
	s_delay_alu instid0(SALU_CYCLE_1) | instskip(NEXT) | instid1(SALU_CYCLE_1)
	s_ashr_i32 s9, s8, 31
	s_lshl_b64 s[8:9], s[8:9], 2
	s_delay_alu instid0(SALU_CYCLE_1) | instskip(SKIP_2) | instid1(SALU_CYCLE_1)
	s_add_u32 s8, s26, s8
	s_addc_u32 s9, s25, s9
	s_or_b32 s10, s12, 0x60
	s_ashr_i32 s11, s10, 4
	s_cmp_lt_i32 s10, s24
	s_cselect_b32 s10, s11, s3
	s_delay_alu instid0(SALU_CYCLE_1) | instskip(NEXT) | instid1(SALU_CYCLE_1)
	s_ashr_i32 s11, s10, 31
	s_lshl_b64 s[10:11], s[10:11], 2
	s_delay_alu instid0(SALU_CYCLE_1) | instskip(SKIP_2) | instid1(SALU_CYCLE_1)
	s_add_u32 s10, s26, s10
	s_addc_u32 s11, s25, s11
	s_or_b32 s16, s12, 0x80
	s_ashr_i32 s18, s16, 4
	s_cmp_lt_i32 s16, s24
	;; [unrolled: 10-line block ×3, first 2 shown]
	s_cselect_b32 s20, s18, s3
	s_delay_alu instid0(SALU_CYCLE_1) | instskip(NEXT) | instid1(SALU_CYCLE_1)
	s_ashr_i32 s21, s20, 31
	s_lshl_b64 s[20:21], s[20:21], 2
	s_delay_alu instid0(SALU_CYCLE_1)
	s_add_u32 s38, s26, s20
	s_addc_u32 s39, s25, s21
	s_clause 0x5
	s_load_b32 s21, s[4:5], 0x0
	s_load_b32 s13, s[6:7], 0x0
	;; [unrolled: 1-line block ×6, first 2 shown]
	s_or_b32 s7, s12, 0xc0
	s_mov_b32 s4, 0
	s_ashr_i32 s8, s7, 4
	s_cmp_lt_i32 s7, s24
	s_mov_b32 s5, s4
	s_cselect_b32 s10, s8, s3
	s_mov_b32 s6, s4
	s_ashr_i32 s11, s10, 31
	s_mov_b32 s7, s4
	s_lshl_b64 s[36:37], s[10:11], 2
	s_mov_b32 s11, s4
	s_add_u32 s36, s26, s36
	s_addc_u32 s37, s25, s37
	s_or_b32 s29, s12, 0xe0
	s_mov_b32 s8, s4
	s_ashr_i32 s30, s29, 4
	s_mov_b32 s9, s4
	s_mov_b32 s10, s4
	s_cmp_lt_i32 s29, s24
	s_waitcnt vmcnt(1)
	v_mad_i64_i32 v[3:4], null, v5, s17, v[1:2]
	s_waitcnt vmcnt(0)
	v_mad_i64_i32 v[5:6], null, v7, s17, v[1:2]
	v_cndmask_b32_e32 v1, 0, v65, vcc_lo
	v_mov_b32_e32 v107, s11
	s_clause 0x7
	global_load_b128 v[49:52], v[3:4], off
	global_load_b128 v[53:56], v[3:4], off offset:256
	global_load_b128 v[76:79], v[5:6], off
	global_load_b128 v[80:83], v[5:6], off offset:256
	global_load_b128 v[84:87], v[3:4], off offset:512
	;; [unrolled: 1-line block ×5, first 2 shown]
	v_lshlrev_b32_e32 v70, 6, v1
	v_dual_mov_b32 v106, s10 :: v_dual_mov_b32 v105, s9
	v_dual_mov_b32 v104, s8 :: v_dual_mov_b32 v103, s7
	;; [unrolled: 1-line block ×3, first 2 shown]
	v_mov_b32_e32 v100, s4
	s_cselect_b32 s4, s30, s3
	v_lshlrev_b32_e32 v2, 4, v65
	s_ashr_i32 s5, s4, 31
	s_load_b32 s3, s[36:37], 0x0
	s_lshl_b64 s[4:5], s[4:5], 2
	ds_load_b128 v[108:111], v70
	ds_load_b128 v[112:115], v70 offset:1024
	s_add_u32 s4, s26, s4
	s_addc_u32 s5, s25, s5
	v_lshl_or_b32 v1, v66, 8, v2
	s_load_b32 s4, s[4:5], 0x0
	s_add_u32 s6, s22, s27
	s_addc_u32 s7, s23, s28
	s_delay_alu instid0(VALU_DEP_1) | instskip(NEXT) | instid1(VALU_DEP_1)
	v_add_co_u32 v9, s6, s6, v1
	v_add_co_ci_u32_e64 v10, null, s7, 0, s6
	s_waitcnt lgkmcnt(0)
	s_delay_alu instid0(VALU_DEP_1)
	v_mad_i64_i32 v[1:2], null, s21, s17, v[9:10]
	v_mad_i64_i32 v[3:4], null, s13, s17, v[9:10]
	;; [unrolled: 1-line block ×7, first 2 shown]
	s_clause 0x9
	global_load_b128 v[57:60], v[1:2], off
	global_load_b128 v[61:64], v[1:2], off offset:16
	global_load_b128 v[41:44], v[3:4], off
	global_load_b128 v[45:48], v[3:4], off offset:16
	global_load_b128 v[33:36], v[5:6], off
	global_load_b128 v[37:40], v[5:6], off offset:16
	global_load_b128 v[25:28], v[7:8], off
	global_load_b128 v[29:32], v[7:8], off offset:16
	global_load_b128 v[1:4], v[11:12], off
	global_load_b128 v[5:8], v[11:12], off offset:16
	v_mad_i64_i32 v[68:69], null, s4, s17, v[9:10]
	s_clause 0x3
	global_load_b128 v[9:12], v[13:14], off
	global_load_b128 v[13:16], v[13:14], off offset:16
	global_load_b128 v[17:20], v[21:22], off
	global_load_b128 v[21:24], v[21:22], off offset:16
	s_waitcnt vmcnt(20)
	v_wmma_f32_16x16x16_bf16 v[116:123], v[49:56], v[108:115], v[100:107]
	s_clause 0x1
	global_load_b128 v[49:52], v[68:69], off
	global_load_b128 v[53:56], v[68:69], off offset:16
	v_and_b32_e32 v68, 0xe0, v0
	v_mbcnt_lo_u32_b32 v69, -1, 0
	s_delay_alu instid0(VALU_DEP_2)
	v_add_nc_u32_e32 v68, s12, v68
	s_waitcnt vmcnt(20)
	v_wmma_f32_16x16x16_bf16 v[100:107], v[76:83], v[108:115], v[100:107]
	ds_load_b128 v[76:79], v70 offset:2048
	ds_load_b128 v[80:83], v70 offset:3072
	v_xor_b32_e32 v70, 16, v69
	s_waitcnt vmcnt(0) lgkmcnt(0)
	v_or_b32_e32 v68, v68, v74
	s_barrier
	buffer_gl0_inv
	v_cmp_gt_i32_e32 vcc_lo, 32, v70
	v_or_b32_e32 v71, 4, v68
	v_or_b32_e32 v72, 6, v68
	v_cmp_gt_i32_e64 s3, s24, v68
	v_or_b32_e32 v108, 8, v68
	v_or_b32_e32 v109, 10, v68
	v_cmp_gt_i32_e64 s4, s24, v71
	v_cmp_gt_i32_e64 s5, s24, v72
	s_delay_alu instid0(VALU_DEP_4) | instskip(NEXT) | instid1(VALU_DEP_4)
	v_cmp_gt_i32_e64 s6, s24, v108
	v_cmp_gt_i32_e64 s7, s24, v109
	v_wmma_f32_16x16x16_bf16 v[116:123], v[84:91], v[76:83], v[116:123]
	v_cndmask_b32_e32 v69, v69, v70, vcc_lo
	v_or_b32_e32 v70, 2, v68
	v_wmma_f32_16x16x16_bf16 v[100:107], v[92:99], v[76:83], v[100:107]
	v_or_b32_e32 v89, 22, v68
	v_dual_mul_f32 v80, s19, v121 :: v_dual_mul_f32 v81, s19, v120
	v_dual_mul_f32 v92, s19, v117 :: v_dual_mul_f32 v93, s19, v116
	s_delay_alu instid0(VALU_DEP_4)
	v_mul_f32_e32 v96, s19, v105
	v_cmp_gt_i32_e32 vcc_lo, s24, v70
	v_dual_mul_f32 v79, s19, v122 :: v_dual_mul_f32 v82, s19, v119
	v_dual_mul_f32 v83, s19, v118 :: v_dual_mul_f32 v94, s19, v107
	v_cndmask_b32_e64 v93, 0xff7fffff, v93, s3
	v_cndmask_b32_e32 v92, 0xff7fffff, v92, vcc_lo
	v_or_b32_e32 v84, 12, v68
	v_or_b32_e32 v85, 14, v68
	v_cndmask_b32_e64 v71, 0xff7fffff, v83, s4
	v_cndmask_b32_e64 v72, 0xff7fffff, v82, s5
	v_cmp_gt_i32_e64 s13, s24, v89
	v_lshlrev_b32_e32 v89, 2, v69
	v_max3_f32 v82, v93, 0xff7fffff, v92
	v_or_b32_e32 v86, 16, v68
	v_or_b32_e32 v87, 18, v68
	v_mul_f32_e32 v78, s19, v123
	v_cndmask_b32_e64 v81, 0xff7fffff, v81, s6
	v_cndmask_b32_e64 v80, 0xff7fffff, v80, s7
	v_max3_f32 v71, v82, v71, v72
	v_cmp_gt_i32_e64 s8, s24, v84
	v_cmp_gt_i32_e64 s9, s24, v85
	v_or_b32_e32 v88, 20, v68
	v_or_b32_e32 v90, 24, v68
	;; [unrolled: 1-line block ×5, first 2 shown]
	v_dual_mul_f32 v97, s19, v104 :: v_dual_mul_f32 v70, s19, v101
	v_dual_mul_f32 v99, s19, v102 :: v_dual_mul_f32 v68, s19, v100
	v_cndmask_b32_e64 v72, 0xff7fffff, v79, s8
	v_cndmask_b32_e64 v78, 0xff7fffff, v78, s9
	v_max3_f32 v71, v71, v81, v80
	v_cmp_gt_i32_e64 s10, s24, v86
	v_cmp_gt_i32_e64 s11, s24, v87
	v_dual_mul_f32 v95, s19, v106 :: v_dual_mul_f32 v98, s19, v103
	s_delay_alu instid0(VALU_DEP_4) | instskip(NEXT) | instid1(VALU_DEP_4)
	v_max3_f32 v71, v71, v72, v78
	v_cndmask_b32_e64 v68, 0xff7fffff, v68, s10
	s_delay_alu instid0(VALU_DEP_4)
	v_cndmask_b32_e64 v70, 0xff7fffff, v70, s11
	v_cmp_gt_i32_e64 s12, s24, v88
	v_cndmask_b32_e64 v78, 0xff7fffff, v98, s13
	v_cmp_gt_i32_e64 s15, s24, v90
	v_cmp_gt_i32_e64 s16, s24, v91
	v_max3_f32 v68, v71, v68, v70
	v_cndmask_b32_e64 v72, 0xff7fffff, v99, s12
	v_cmp_gt_i32_e64 s17, s24, v76
	v_cndmask_b32_e64 v70, 0xff7fffff, v97, s15
	v_cndmask_b32_e64 v71, 0xff7fffff, v96, s16
	v_cmp_gt_i32_e64 s18, s24, v77
	v_max3_f32 v68, v68, v72, v78
	v_cndmask_b32_e64 v72, 0xff7fffff, v95, s17
	s_delay_alu instid0(VALU_DEP_3) | instskip(NEXT) | instid1(VALU_DEP_3)
	v_cndmask_b32_e64 v76, 0xff7fffff, v94, s18
	v_max3_f32 v68, v68, v70, v71
	s_delay_alu instid0(VALU_DEP_1) | instskip(SKIP_3) | instid1(VALU_DEP_1)
	v_max3_f32 v68, v68, v72, v76
	ds_bpermute_b32 v69, v89, v68
	s_waitcnt lgkmcnt(0)
	v_max_f32_e32 v69, v69, v69
	v_max_f32_e32 v68, v68, v69
	s_delay_alu instid0(VALU_DEP_1) | instskip(NEXT) | instid1(VALU_DEP_1)
	v_fma_f32 v71, s19, v118, -v68
	v_mul_f32_e32 v71, 0x3fb8aa3b, v71
	v_fma_f32 v70, s19, v117, -v68
	v_fma_f32 v69, s19, v116, -v68
	;; [unrolled: 1-line block ×5, first 2 shown]
	s_delay_alu instid0(VALU_DEP_4) | instskip(SKIP_1) | instid1(VALU_DEP_3)
	v_dual_mul_f32 v70, 0x3fb8aa3b, v70 :: v_dual_mul_f32 v69, 0x3fb8aa3b, v69
	v_exp_f32_e32 v71, v71
	v_mul_f32_e32 v72, 0x3fb8aa3b, v72
	v_fma_f32 v81, s19, v105, -v68
	s_delay_alu instid0(VALU_DEP_3)
	v_exp_f32_e32 v70, v70
	v_mul_f32_e32 v77, 0x3fb8aa3b, v76
	v_exp_f32_e32 v69, v69
	v_exp_f32_e32 v72, v72
	v_mul_f32_e32 v81, 0x3fb8aa3b, v81
	v_cndmask_b32_e64 v83, 0, v71, s4
	v_fma_f32 v71, s19, v123, -v68
	s_delay_alu instid0(VALU_DEP_3) | instskip(SKIP_4) | instid1(TRANS32_DEP_3)
	v_exp_f32_e32 v81, v81
	v_cndmask_b32_e32 v76, 0, v70, vcc_lo
	v_exp_f32_e32 v77, v77
	v_cndmask_b32_e64 v80, 0, v69, s3
	v_fma_f32 v69, s19, v121, -v68
	v_cndmask_b32_e64 v85, 0, v72, s5
	v_mul_f32_e32 v71, 0x3fb8aa3b, v71
	v_fma_f32 v72, s19, v100, -v68
	s_delay_alu instid0(VALU_DEP_4) | instskip(SKIP_1) | instid1(VALU_DEP_4)
	v_dual_add_f32 v70, 0, v80 :: v_dual_mul_f32 v69, 0x3fb8aa3b, v69
	v_cmp_gt_u32_e64 s3, 16, v67
	v_exp_f32_e32 v71, v71
	s_delay_alu instid0(TRANS32_DEP_2) | instskip(SKIP_4) | instid1(VALU_DEP_3)
	v_cndmask_b32_e64 v86, 0, v77, s6
	v_fma_f32 v77, s19, v101, -v68
	v_mul_f32_e32 v78, 0x3fb8aa3b, v78
	v_add_f32_e32 v70, v70, v76
	v_exp_f32_e32 v69, v69
	v_mul_f32_e32 v77, 0x3fb8aa3b, v77
	s_delay_alu instid0(VALU_DEP_3) | instskip(NEXT) | instid1(TRANS32_DEP_3)
	v_exp_f32_e32 v78, v78
	v_cndmask_b32_e64 v88, 0, v71, s9
	v_fma_f32 v71, s19, v104, -v68
	s_delay_alu instid0(VALU_DEP_3) | instskip(NEXT) | instid1(TRANS32_DEP_3)
	v_exp_f32_e32 v77, v77
	v_cndmask_b32_e64 v87, 0, v69, s7
	s_delay_alu instid0(VALU_DEP_2)
	v_mul_f32_e32 v71, 0x3fb8aa3b, v71
	s_waitcnt_depctr 0xfff
	v_cndmask_b32_e64 v84, 0, v78, s8
	v_add_f32_e32 v70, v70, v83
	v_fma_f32 v78, s19, v103, -v68
	v_exp_f32_e32 v82, v71
	s_delay_alu instid0(VALU_DEP_2) | instskip(SKIP_1) | instid1(VALU_DEP_3)
	v_add_f32_e32 v70, v70, v85
	v_mul_f32_e32 v72, 0x3fb8aa3b, v72
	v_mul_f32_e32 v78, 0x3fb8aa3b, v78
	s_delay_alu instid0(VALU_DEP_3) | instskip(SKIP_1) | instid1(VALU_DEP_4)
	v_add_f32_e32 v69, v70, v86
	v_fma_f32 v70, s19, v102, -v68
	v_exp_f32_e32 v72, v72
	s_delay_alu instid0(VALU_DEP_3) | instskip(NEXT) | instid1(VALU_DEP_1)
	v_exp_f32_e32 v78, v78
	v_dual_add_f32 v69, v69, v87 :: v_dual_mul_f32 v70, 0x3fb8aa3b, v70
	s_delay_alu instid0(VALU_DEP_1) | instskip(NEXT) | instid1(VALU_DEP_2)
	v_add_f32_e32 v69, v69, v84
	v_exp_f32_e32 v79, v70
	s_delay_alu instid0(TRANS32_DEP_3) | instskip(NEXT) | instid1(VALU_DEP_2)
	v_cndmask_b32_e64 v70, 0, v72, s10
	v_add_f32_e32 v72, v69, v88
	v_cndmask_b32_e64 v69, 0, v77, s11
	v_fma_f32 v77, s19, v106, -v68
	s_waitcnt_depctr 0xfff
	v_cndmask_b32_e64 v71, 0, v79, s12
	v_dual_mul_f32 v77, 0x3fb8aa3b, v77 :: v_dual_add_f32 v72, v72, v70
	s_delay_alu instid0(VALU_DEP_1) | instskip(NEXT) | instid1(VALU_DEP_1)
	v_exp_f32_e32 v90, v77
	v_add_f32_e32 v79, v72, v69
	v_cndmask_b32_e64 v72, 0, v78, s13
	v_cndmask_b32_e64 v77, 0, v82, s15
	s_delay_alu instid0(VALU_DEP_3) | instskip(SKIP_1) | instid1(VALU_DEP_1)
	v_add_f32_e32 v78, v79, v71
	v_fma_f32 v79, s19, v107, -v68
	v_dual_add_f32 v82, v78, v72 :: v_dual_mul_f32 v79, 0x3fb8aa3b, v79
	v_cndmask_b32_e64 v78, 0, v81, s16
	s_delay_alu instid0(VALU_DEP_2) | instskip(NEXT) | instid1(VALU_DEP_3)
	v_add_f32_e32 v81, v82, v77
	v_exp_f32_e32 v82, v79
	v_cndmask_b32_e64 v79, 0, v90, s17
	s_delay_alu instid0(VALU_DEP_2) | instskip(NEXT) | instid1(VALU_DEP_1)
	v_add_f32_e32 v81, v81, v78
	v_add_f32_e32 v90, v81, v79
	s_waitcnt_depctr 0xfff
	v_cndmask_b32_e64 v81, 0, v82, s18
	s_delay_alu instid0(VALU_DEP_1)
	v_add_f32_e32 v82, v90, v81
	ds_bpermute_b32 v89, v89, v82
	s_and_saveexec_b32 s4, s3
	s_cbranch_execz .LBB1692_12
; %bb.11:
	v_mul_u32_u24_e32 v67, 0x44, v66
	s_delay_alu instid0(VALU_DEP_1) | instskip(SKIP_1) | instid1(VALU_DEP_1)
	v_lshl_add_u32 v67, v65, 2, v67
	s_waitcnt lgkmcnt(0)
	v_dual_add_f32 v82, v82, v89 :: v_dual_add_nc_u32 v67, 0x4000, v67
	ds_store_2addr_b32 v67, v68, v82 offset1:136
.LBB1692_12:
	s_or_b32 exec_lo, exec_lo, s4
	v_lshlrev_b32_e32 v67, 2, v65
	s_waitcnt lgkmcnt(0)
	s_barrier
	buffer_gl0_inv
	v_cmp_eq_u32_e32 vcc_lo, 1, v66
	v_add_nc_u32_e32 v82, 0x4000, v67
	v_cmp_eq_u32_e64 s4, 2, v66
	v_cmp_eq_u32_e64 s6, 7, v66
	ds_load_2addr_b32 v[89:90], v82 offset1:17
	ds_load_2addr_b32 v[91:92], v82 offset0:34 offset1:51
	ds_load_2addr_b32 v[93:94], v82 offset0:68 offset1:85
	;; [unrolled: 1-line block ×4, first 2 shown]
	s_waitcnt lgkmcnt(4)
	v_max3_f32 v67, v89, 0xff7fffff, v90
	s_waitcnt lgkmcnt(3)
	s_delay_alu instid0(VALU_DEP_1) | instskip(SKIP_1) | instid1(VALU_DEP_1)
	v_max3_f32 v67, v67, v91, v92
	s_waitcnt lgkmcnt(2)
	v_max3_f32 v67, v67, v93, v94
	s_waitcnt lgkmcnt(1)
	s_delay_alu instid0(VALU_DEP_1) | instskip(NEXT) | instid1(VALU_DEP_1)
	v_max3_f32 v67, v67, v95, v96
	v_sub_f32_e32 v93, v93, v67
	s_delay_alu instid0(VALU_DEP_1) | instskip(NEXT) | instid1(VALU_DEP_1)
	v_dual_sub_f32 v68, v89, v67 :: v_dual_mul_f32 v103, 0x3fb8aa3b, v93
	v_mul_f32_e32 v68, 0x3fb8aa3b, v68
	s_delay_alu instid0(VALU_DEP_1)
	v_exp_f32_e32 v100, v68
	v_sub_f32_e32 v68, v92, v67
	v_sub_f32_e32 v99, v90, v67
	ds_load_2addr_b32 v[89:90], v82 offset0:170 offset1:187
	v_dual_mul_f32 v102, 0x3fb8aa3b, v68 :: v_dual_mul_f32 v99, 0x3fb8aa3b, v99
	s_waitcnt lgkmcnt(1)
	v_fma_f32 v68, v100, v97, 0
	s_delay_alu instid0(VALU_DEP_2) | instskip(NEXT) | instid1(VALU_DEP_2)
	v_exp_f32_e32 v102, v102
	v_exp_f32_e32 v99, v99
	s_waitcnt_depctr 0xfff
	v_fmac_f32_e32 v68, v99, v98
	v_sub_f32_e32 v91, v91, v67
	s_delay_alu instid0(VALU_DEP_1)
	v_mul_f32_e32 v101, 0x3fb8aa3b, v91
	ds_load_2addr_b32 v[91:92], v82 offset0:204 offset1:221
	v_sub_f32_e32 v97, v94, v67
	ds_load_2addr_b32 v[93:94], v82 offset0:238 offset1:255
	s_waitcnt lgkmcnt(0)
	v_exp_f32_e32 v101, v101
	s_barrier
	buffer_gl0_inv
	v_dual_fmac_f32 v68, v101, v89 :: v_dual_sub_f32 v89, v96, v67
	v_dual_sub_f32 v82, v95, v67 :: v_dual_mul_f32 v95, 0x3fb8aa3b, v97
	v_exp_f32_e32 v97, v103
	s_delay_alu instid0(VALU_DEP_2) | instskip(NEXT) | instid1(VALU_DEP_2)
	v_dual_fmac_f32 v68, v102, v90 :: v_dual_mul_f32 v89, 0x3fb8aa3b, v89
	v_mul_f32_e32 v82, 0x3fb8aa3b, v82
	s_delay_alu instid0(VALU_DEP_3) | instskip(NEXT) | instid1(VALU_DEP_2)
	v_exp_f32_e32 v95, v95
	v_exp_f32_e32 v89, v89
	s_delay_alu instid0(VALU_DEP_1)
	v_exp_f32_e32 v82, v82
	v_fmac_f32_e32 v68, v97, v91
	s_delay_alu instid0(TRANS32_DEP_3) | instid1(VALU_DEP_1)
	v_fmac_f32_e32 v68, v95, v92
	s_waitcnt_depctr 0xfff
	v_fmac_f32_e32 v68, v82, v93
	s_delay_alu instid0(VALU_DEP_1) | instskip(NEXT) | instid1(VALU_DEP_1)
	v_fmac_f32_e32 v68, v89, v94
	v_add_f32_e32 v90, 0x358637bd, v68
	s_delay_alu instid0(VALU_DEP_1) | instskip(NEXT) | instid1(VALU_DEP_1)
	v_div_scale_f32 v91, null, v90, v90, 1.0
	v_rcp_f32_e32 v92, v91
	s_waitcnt_depctr 0xfff
	v_fma_f32 v93, -v91, v92, 1.0
	s_delay_alu instid0(VALU_DEP_1) | instskip(SKIP_1) | instid1(VALU_DEP_2)
	v_dual_fmac_f32 v92, v93, v92 :: v_dual_cndmask_b32 v93, v100, v99
	v_cmp_eq_u32_e32 vcc_lo, 3, v66
	v_cndmask_b32_e64 v93, v93, v101, s4
	v_cmp_eq_u32_e64 s4, 4, v66
	s_delay_alu instid0(VALU_DEP_2) | instskip(SKIP_1) | instid1(VALU_DEP_2)
	v_cndmask_b32_e32 v93, v93, v102, vcc_lo
	v_cmp_eq_u32_e32 vcc_lo, 5, v66
	v_cndmask_b32_e64 v93, v93, v97, s4
	v_cmp_eq_u32_e64 s4, 6, v66
	s_delay_alu instid0(VALU_DEP_2) | instskip(SKIP_1) | instid1(VALU_DEP_1)
	v_cndmask_b32_e32 v93, v93, v95, vcc_lo
	v_div_scale_f32 v94, s5, 1.0, v90, 1.0
	s_mov_b32 vcc_lo, s5
	s_delay_alu instid0(VALU_DEP_2) | instskip(NEXT) | instid1(VALU_DEP_2)
	v_cndmask_b32_e64 v82, v93, v82, s4
	v_mul_f32_e32 v96, v94, v92
	s_mov_b32 s4, exec_lo
	s_delay_alu instid0(VALU_DEP_2) | instskip(NEXT) | instid1(VALU_DEP_2)
	v_cndmask_b32_e64 v82, v82, v89, s6
	v_fma_f32 v98, -v91, v96, v94
	s_delay_alu instid0(VALU_DEP_1) | instskip(NEXT) | instid1(VALU_DEP_1)
	v_fmac_f32_e32 v96, v98, v92
	v_fma_f32 v91, -v91, v96, v94
	s_delay_alu instid0(VALU_DEP_1) | instskip(NEXT) | instid1(VALU_DEP_1)
	v_div_fmas_f32 v91, v91, v92, v96
	v_div_fixup_f32 v90, v91, v90, 1.0
	s_delay_alu instid0(VALU_DEP_1) | instskip(NEXT) | instid1(VALU_DEP_1)
	v_mul_f32_e32 v82, v82, v90
	v_mul_f32_e32 v87, v82, v87
	v_mul_f32_e32 v90, v82, v80
	v_mul_f32_e32 v80, v82, v88
	v_mul_f32_e32 v84, v82, v84
	v_mul_f32_e32 v88, v82, v86
	v_mul_f32_e32 v89, v82, v85
	v_dual_mul_f32 v86, v82, v83 :: v_dual_and_b32 v91, 0x7f800000, v90
	v_mul_f32_e32 v85, v82, v76
                                        ; implicit-def: $vgpr76
	s_delay_alu instid0(VALU_DEP_2)
	v_cmpx_ne_u32_e32 0x7f800000, v91
	s_xor_b32 s4, exec_lo, s4
; %bb.13:
	v_bfe_u32 v76, v90, 16, 1
	s_delay_alu instid0(VALU_DEP_1)
	v_add3_u32 v76, v90, v76, 0x7fff
                                        ; implicit-def: $vgpr90
; %bb.14:
	s_and_not1_saveexec_b32 s4, s4
; %bb.15:
	v_and_b32_e32 v76, 0xffff, v90
	v_or_b32_e32 v83, 0x10000, v90
	s_delay_alu instid0(VALU_DEP_2) | instskip(NEXT) | instid1(VALU_DEP_2)
	v_cmp_eq_u32_e32 vcc_lo, 0, v76
	v_cndmask_b32_e32 v76, v83, v90, vcc_lo
; %bb.16:
	s_or_b32 exec_lo, exec_lo, s4
	v_and_b32_e32 v83, 0x7f800000, v85
	s_delay_alu instid0(VALU_DEP_1) | instskip(SKIP_1) | instid1(SALU_CYCLE_1)
	v_cmp_ne_u32_e32 vcc_lo, 0x7f800000, v83
                                        ; implicit-def: $vgpr83
	s_and_saveexec_b32 s4, vcc_lo
	s_xor_b32 s4, exec_lo, s4
; %bb.17:
	v_bfe_u32 v83, v85, 16, 1
	s_delay_alu instid0(VALU_DEP_1)
	v_add3_u32 v83, v85, v83, 0x7fff
                                        ; implicit-def: $vgpr85
; %bb.18:
	s_and_not1_saveexec_b32 s4, s4
; %bb.19:
	v_and_b32_e32 v83, 0xffff, v85
	v_or_b32_e32 v90, 0x10000, v85
	s_delay_alu instid0(VALU_DEP_2) | instskip(NEXT) | instid1(VALU_DEP_2)
	v_cmp_eq_u32_e32 vcc_lo, 0, v83
	v_cndmask_b32_e32 v83, v90, v85, vcc_lo
; %bb.20:
	s_or_b32 exec_lo, exec_lo, s4
	v_and_b32_e32 v85, 0x7f800000, v86
	s_delay_alu instid0(VALU_DEP_1) | instskip(SKIP_1) | instid1(SALU_CYCLE_1)
	v_cmp_ne_u32_e32 vcc_lo, 0x7f800000, v85
                                        ; implicit-def: $vgpr85
	s_and_saveexec_b32 s4, vcc_lo
	s_xor_b32 s4, exec_lo, s4
; %bb.21:
	v_bfe_u32 v85, v86, 16, 1
	s_delay_alu instid0(VALU_DEP_1)
	v_add3_u32 v85, v86, v85, 0x7fff
                                        ; implicit-def: $vgpr86
; %bb.22:
	s_and_not1_saveexec_b32 s4, s4
; %bb.23:
	v_and_b32_e32 v85, 0xffff, v86
	v_or_b32_e32 v90, 0x10000, v86
	s_delay_alu instid0(VALU_DEP_2) | instskip(NEXT) | instid1(VALU_DEP_2)
	v_cmp_eq_u32_e32 vcc_lo, 0, v85
	v_cndmask_b32_e32 v85, v90, v86, vcc_lo
; %bb.24:
	s_or_b32 exec_lo, exec_lo, s4
	v_and_b32_e32 v86, 0x7f800000, v89
	s_delay_alu instid0(VALU_DEP_1) | instskip(SKIP_1) | instid1(SALU_CYCLE_1)
	v_cmp_ne_u32_e32 vcc_lo, 0x7f800000, v86
                                        ; implicit-def: $vgpr86
	s_and_saveexec_b32 s4, vcc_lo
	s_xor_b32 s4, exec_lo, s4
; %bb.25:
	v_bfe_u32 v86, v89, 16, 1
	s_delay_alu instid0(VALU_DEP_1)
	v_add3_u32 v86, v89, v86, 0x7fff
                                        ; implicit-def: $vgpr89
; %bb.26:
	s_and_not1_saveexec_b32 s4, s4
; %bb.27:
	v_and_b32_e32 v86, 0xffff, v89
	v_or_b32_e32 v90, 0x10000, v89
	s_delay_alu instid0(VALU_DEP_2) | instskip(NEXT) | instid1(VALU_DEP_2)
	v_cmp_eq_u32_e32 vcc_lo, 0, v86
	v_cndmask_b32_e32 v86, v90, v89, vcc_lo
; %bb.28:
	s_or_b32 exec_lo, exec_lo, s4
	v_and_b32_e32 v89, 0x7f800000, v88
	s_delay_alu instid0(VALU_DEP_1) | instskip(SKIP_1) | instid1(SALU_CYCLE_1)
	v_cmp_ne_u32_e32 vcc_lo, 0x7f800000, v89
                                        ; implicit-def: $vgpr89
	s_and_saveexec_b32 s4, vcc_lo
	s_xor_b32 s4, exec_lo, s4
; %bb.29:
	v_bfe_u32 v89, v88, 16, 1
	s_delay_alu instid0(VALU_DEP_1)
	v_add3_u32 v89, v88, v89, 0x7fff
                                        ; implicit-def: $vgpr88
; %bb.30:
	s_and_not1_saveexec_b32 s4, s4
; %bb.31:
	v_and_b32_e32 v89, 0xffff, v88
	v_or_b32_e32 v90, 0x10000, v88
	s_delay_alu instid0(VALU_DEP_2) | instskip(NEXT) | instid1(VALU_DEP_2)
	v_cmp_eq_u32_e32 vcc_lo, 0, v89
	v_cndmask_b32_e32 v89, v90, v88, vcc_lo
; %bb.32:
	s_or_b32 exec_lo, exec_lo, s4
	v_and_b32_e32 v88, 0x7f800000, v87
	s_delay_alu instid0(VALU_DEP_1) | instskip(SKIP_1) | instid1(SALU_CYCLE_1)
	v_cmp_ne_u32_e32 vcc_lo, 0x7f800000, v88
                                        ; implicit-def: $vgpr88
	s_and_saveexec_b32 s4, vcc_lo
	s_xor_b32 s4, exec_lo, s4
; %bb.33:
	v_bfe_u32 v88, v87, 16, 1
	s_delay_alu instid0(VALU_DEP_1)
	v_add3_u32 v88, v87, v88, 0x7fff
                                        ; implicit-def: $vgpr87
; %bb.34:
	s_and_not1_saveexec_b32 s4, s4
; %bb.35:
	v_and_b32_e32 v88, 0xffff, v87
	v_or_b32_e32 v90, 0x10000, v87
	s_delay_alu instid0(VALU_DEP_2) | instskip(NEXT) | instid1(VALU_DEP_2)
	v_cmp_eq_u32_e32 vcc_lo, 0, v88
	v_cndmask_b32_e32 v88, v90, v87, vcc_lo
; %bb.36:
	s_or_b32 exec_lo, exec_lo, s4
	v_and_b32_e32 v87, 0x7f800000, v84
	s_delay_alu instid0(VALU_DEP_1) | instskip(SKIP_1) | instid1(SALU_CYCLE_1)
	v_cmp_ne_u32_e32 vcc_lo, 0x7f800000, v87
                                        ; implicit-def: $vgpr87
	s_and_saveexec_b32 s4, vcc_lo
	s_xor_b32 s4, exec_lo, s4
; %bb.37:
	v_bfe_u32 v87, v84, 16, 1
	s_delay_alu instid0(VALU_DEP_1)
	v_add3_u32 v87, v84, v87, 0x7fff
                                        ; implicit-def: $vgpr84
; %bb.38:
	s_and_not1_saveexec_b32 s4, s4
; %bb.39:
	v_and_b32_e32 v87, 0xffff, v84
	v_or_b32_e32 v90, 0x10000, v84
	s_delay_alu instid0(VALU_DEP_2) | instskip(NEXT) | instid1(VALU_DEP_2)
	v_cmp_eq_u32_e32 vcc_lo, 0, v87
	v_cndmask_b32_e32 v87, v90, v84, vcc_lo
; %bb.40:
	s_or_b32 exec_lo, exec_lo, s4
	v_and_b32_e32 v84, 0x7f800000, v80
	s_delay_alu instid0(VALU_DEP_1) | instskip(SKIP_1) | instid1(SALU_CYCLE_1)
	v_cmp_ne_u32_e32 vcc_lo, 0x7f800000, v84
                                        ; implicit-def: $vgpr84
	s_and_saveexec_b32 s4, vcc_lo
	s_xor_b32 s4, exec_lo, s4
; %bb.41:
	v_bfe_u32 v84, v80, 16, 1
	s_delay_alu instid0(VALU_DEP_1)
	v_add3_u32 v84, v80, v84, 0x7fff
                                        ; implicit-def: $vgpr80
; %bb.42:
	s_and_not1_saveexec_b32 s4, s4
; %bb.43:
	v_and_b32_e32 v84, 0xffff, v80
	v_or_b32_e32 v90, 0x10000, v80
	s_delay_alu instid0(VALU_DEP_2) | instskip(NEXT) | instid1(VALU_DEP_2)
	v_cmp_eq_u32_e32 vcc_lo, 0, v84
	v_cndmask_b32_e32 v84, v90, v80, vcc_lo
; %bb.44:
	s_or_b32 exec_lo, exec_lo, s4
	s_load_b64 s[36:37], s[0:1], 0x94
	v_lshlrev_b32_e32 v91, 4, v74
	s_delay_alu instid0(VALU_DEP_2)
	v_perm_b32 v90, v84, v87, 0x7060302
	v_dual_mul_f32 v79, v82, v79 :: v_dual_lshlrev_b32 v80, 6, v65
	v_dual_mul_f32 v77, v82, v77 :: v_dual_lshlrev_b32 v92, 11, v66
	v_mul_f32_e32 v84, v82, v70
	v_perm_b32 v89, v88, v89, 0x7060302
	v_perm_b32 v88, v86, v85, 0x7060302
	;; [unrolled: 1-line block ×3, first 2 shown]
	v_mul_f32_e32 v70, v82, v81
	v_or3_b32 v76, v91, v92, v80
	v_dual_mul_f32 v78, v82, v78 :: v_dual_and_b32 v85, 0x7f800000, v84
	v_mul_f32_e32 v83, v82, v72
	v_mul_f32_e32 v81, v82, v71
	;; [unrolled: 1-line block ×3, first 2 shown]
	s_mov_b32 s4, exec_lo
	ds_store_b128 v76, v[87:90]
                                        ; implicit-def: $vgpr69
	v_cmpx_ne_u32_e32 0x7f800000, v85
	s_xor_b32 s4, exec_lo, s4
; %bb.45:
	v_bfe_u32 v69, v84, 16, 1
	s_delay_alu instid0(VALU_DEP_1)
	v_add3_u32 v69, v84, v69, 0x7fff
                                        ; implicit-def: $vgpr84
; %bb.46:
	s_and_not1_saveexec_b32 s4, s4
; %bb.47:
	v_and_b32_e32 v69, 0xffff, v84
	v_or_b32_e32 v71, 0x10000, v84
	s_delay_alu instid0(VALU_DEP_2) | instskip(NEXT) | instid1(VALU_DEP_2)
	v_cmp_eq_u32_e32 vcc_lo, 0, v69
	v_cndmask_b32_e32 v69, v71, v84, vcc_lo
; %bb.48:
	s_or_b32 exec_lo, exec_lo, s4
	v_and_b32_e32 v71, 0x7f800000, v72
	s_delay_alu instid0(VALU_DEP_1) | instskip(SKIP_1) | instid1(SALU_CYCLE_1)
	v_cmp_ne_u32_e32 vcc_lo, 0x7f800000, v71
                                        ; implicit-def: $vgpr71
	s_and_saveexec_b32 s4, vcc_lo
	s_xor_b32 s4, exec_lo, s4
; %bb.49:
	v_bfe_u32 v71, v72, 16, 1
	s_delay_alu instid0(VALU_DEP_1)
	v_add3_u32 v71, v72, v71, 0x7fff
                                        ; implicit-def: $vgpr72
; %bb.50:
	s_and_not1_saveexec_b32 s4, s4
; %bb.51:
	v_and_b32_e32 v71, 0xffff, v72
	v_or_b32_e32 v82, 0x10000, v72
	s_delay_alu instid0(VALU_DEP_2) | instskip(NEXT) | instid1(VALU_DEP_2)
	v_cmp_eq_u32_e32 vcc_lo, 0, v71
	v_cndmask_b32_e32 v71, v82, v72, vcc_lo
; %bb.52:
	s_or_b32 exec_lo, exec_lo, s4
	v_and_b32_e32 v72, 0x7f800000, v81
	s_delay_alu instid0(VALU_DEP_1) | instskip(SKIP_1) | instid1(SALU_CYCLE_1)
	v_cmp_ne_u32_e32 vcc_lo, 0x7f800000, v72
                                        ; implicit-def: $vgpr72
	s_and_saveexec_b32 s4, vcc_lo
	s_xor_b32 s4, exec_lo, s4
; %bb.53:
	v_bfe_u32 v72, v81, 16, 1
	s_delay_alu instid0(VALU_DEP_1)
	v_add3_u32 v72, v81, v72, 0x7fff
                                        ; implicit-def: $vgpr81
; %bb.54:
	s_and_not1_saveexec_b32 s4, s4
; %bb.55:
	v_and_b32_e32 v72, 0xffff, v81
	v_or_b32_e32 v82, 0x10000, v81
	s_delay_alu instid0(VALU_DEP_2) | instskip(NEXT) | instid1(VALU_DEP_2)
	v_cmp_eq_u32_e32 vcc_lo, 0, v72
	v_cndmask_b32_e32 v72, v82, v81, vcc_lo
; %bb.56:
	s_or_b32 exec_lo, exec_lo, s4
	v_and_b32_e32 v81, 0x7f800000, v83
	s_delay_alu instid0(VALU_DEP_1) | instskip(SKIP_1) | instid1(SALU_CYCLE_1)
	v_cmp_ne_u32_e32 vcc_lo, 0x7f800000, v81
                                        ; implicit-def: $vgpr81
	s_and_saveexec_b32 s4, vcc_lo
	s_xor_b32 s4, exec_lo, s4
; %bb.57:
	v_bfe_u32 v81, v83, 16, 1
	s_delay_alu instid0(VALU_DEP_1)
	v_add3_u32 v81, v83, v81, 0x7fff
                                        ; implicit-def: $vgpr83
; %bb.58:
	s_and_not1_saveexec_b32 s4, s4
; %bb.59:
	v_and_b32_e32 v81, 0xffff, v83
	v_or_b32_e32 v82, 0x10000, v83
	s_delay_alu instid0(VALU_DEP_2) | instskip(NEXT) | instid1(VALU_DEP_2)
	v_cmp_eq_u32_e32 vcc_lo, 0, v81
	v_cndmask_b32_e32 v81, v82, v83, vcc_lo
; %bb.60:
	s_or_b32 exec_lo, exec_lo, s4
	v_and_b32_e32 v82, 0x7f800000, v77
	s_delay_alu instid0(VALU_DEP_1) | instskip(SKIP_1) | instid1(SALU_CYCLE_1)
	v_cmp_ne_u32_e32 vcc_lo, 0x7f800000, v82
                                        ; implicit-def: $vgpr82
	s_and_saveexec_b32 s4, vcc_lo
	s_xor_b32 s4, exec_lo, s4
; %bb.61:
	v_bfe_u32 v82, v77, 16, 1
	s_delay_alu instid0(VALU_DEP_1)
	v_add3_u32 v82, v77, v82, 0x7fff
                                        ; implicit-def: $vgpr77
; %bb.62:
	s_and_not1_saveexec_b32 s4, s4
; %bb.63:
	v_and_b32_e32 v82, 0xffff, v77
	v_or_b32_e32 v83, 0x10000, v77
	s_delay_alu instid0(VALU_DEP_2) | instskip(NEXT) | instid1(VALU_DEP_2)
	v_cmp_eq_u32_e32 vcc_lo, 0, v82
	v_cndmask_b32_e32 v82, v83, v77, vcc_lo
; %bb.64:
	s_or_b32 exec_lo, exec_lo, s4
	v_and_b32_e32 v77, 0x7f800000, v78
	s_delay_alu instid0(VALU_DEP_1) | instskip(SKIP_1) | instid1(SALU_CYCLE_1)
	v_cmp_ne_u32_e32 vcc_lo, 0x7f800000, v77
                                        ; implicit-def: $vgpr77
	s_and_saveexec_b32 s4, vcc_lo
	s_xor_b32 s4, exec_lo, s4
; %bb.65:
	v_bfe_u32 v77, v78, 16, 1
	s_delay_alu instid0(VALU_DEP_1)
	v_add3_u32 v77, v78, v77, 0x7fff
                                        ; implicit-def: $vgpr78
; %bb.66:
	s_and_not1_saveexec_b32 s4, s4
; %bb.67:
	v_and_b32_e32 v77, 0xffff, v78
	v_or_b32_e32 v83, 0x10000, v78
	s_delay_alu instid0(VALU_DEP_2) | instskip(NEXT) | instid1(VALU_DEP_2)
	v_cmp_eq_u32_e32 vcc_lo, 0, v77
	v_cndmask_b32_e32 v77, v83, v78, vcc_lo
; %bb.68:
	s_or_b32 exec_lo, exec_lo, s4
	v_and_b32_e32 v78, 0x7f800000, v79
	s_delay_alu instid0(VALU_DEP_1) | instskip(SKIP_1) | instid1(SALU_CYCLE_1)
	v_cmp_ne_u32_e32 vcc_lo, 0x7f800000, v78
                                        ; implicit-def: $vgpr78
	s_and_saveexec_b32 s4, vcc_lo
	s_xor_b32 s4, exec_lo, s4
; %bb.69:
	v_bfe_u32 v78, v79, 16, 1
	s_delay_alu instid0(VALU_DEP_1)
	v_add3_u32 v78, v79, v78, 0x7fff
                                        ; implicit-def: $vgpr79
; %bb.70:
	s_and_not1_saveexec_b32 s4, s4
; %bb.71:
	v_and_b32_e32 v78, 0xffff, v79
	v_or_b32_e32 v83, 0x10000, v79
	s_delay_alu instid0(VALU_DEP_2) | instskip(NEXT) | instid1(VALU_DEP_2)
	v_cmp_eq_u32_e32 vcc_lo, 0, v78
	v_cndmask_b32_e32 v78, v83, v79, vcc_lo
; %bb.72:
	s_or_b32 exec_lo, exec_lo, s4
	v_and_b32_e32 v79, 0x7f800000, v70
	s_delay_alu instid0(VALU_DEP_1) | instskip(SKIP_1) | instid1(SALU_CYCLE_1)
	v_cmp_ne_u32_e32 vcc_lo, 0x7f800000, v79
                                        ; implicit-def: $vgpr79
	s_and_saveexec_b32 s4, vcc_lo
	s_xor_b32 s4, exec_lo, s4
; %bb.73:
	v_bfe_u32 v79, v70, 16, 1
	s_delay_alu instid0(VALU_DEP_1)
	v_add3_u32 v79, v70, v79, 0x7fff
                                        ; implicit-def: $vgpr70
; %bb.74:
	s_and_not1_saveexec_b32 s4, s4
; %bb.75:
	v_and_b32_e32 v79, 0xffff, v70
	v_or_b32_e32 v83, 0x10000, v70
	s_delay_alu instid0(VALU_DEP_2) | instskip(NEXT) | instid1(VALU_DEP_2)
	v_cmp_eq_u32_e32 vcc_lo, 0, v79
	v_cndmask_b32_e32 v79, v83, v70, vcc_lo
; %bb.76:
	s_or_b32 exec_lo, exec_lo, s4
	s_delay_alu instid0(VALU_DEP_1)
	v_perm_b32 v86, v79, v78, 0x7060302
	v_perm_b32 v85, v77, v82, 0x7060302
	;; [unrolled: 1-line block ×4, first 2 shown]
	v_lshl_or_b32 v82, v66, 11, v80
	ds_store_b128 v76, v[83:86] offset:1024
	s_waitcnt lgkmcnt(0)
	s_barrier
	buffer_gl0_inv
	ds_load_b128 v[69:72], v82
	ds_load_b128 v[83:86], v82 offset:16
	s_waitcnt lgkmcnt(1)
	v_lshrrev_b32_e32 v66, 16, v69
	s_waitcnt lgkmcnt(0)
	v_lshrrev_b32_e32 v91, 16, v83
	v_lshlrev_b32_e32 v78, 2, v74
	v_lshrrev_b32_e32 v95, 16, v70
	v_lshrrev_b32_e32 v98, 16, v84
	;; [unrolled: 1-line block ×4, first 2 shown]
	v_cmp_eq_u32_e32 vcc_lo, 1, v78
	v_lshrrev_b32_e32 v97, 16, v72
	v_lshrrev_b32_e32 v100, 16, v86
	v_cndmask_b32_e32 v87, v83, v91, vcc_lo
	v_or_b32_e32 v79, 1, v78
	v_cndmask_b32_e32 v81, v69, v66, vcc_lo
	v_cmp_eq_u32_e64 s5, 2, v78
	v_cmp_eq_u32_e64 s8, 3, v78
	;; [unrolled: 1-line block ×5, first 2 shown]
	v_cndmask_b32_e64 v81, v81, v70, s5
	v_cndmask_b32_e64 v87, v87, v84, s5
	v_cmp_eq_u32_e64 s9, 3, v79
	v_cndmask_b32_e64 v88, v69, v66, s4
	v_or_b32_e32 v77, 2, v78
	v_cndmask_b32_e64 v81, v81, v95, s8
	v_cndmask_b32_e64 v87, v87, v98, s8
	;; [unrolled: 1-line block ×4, first 2 shown]
	v_cmp_eq_u32_e64 s11, 5, v78
	v_cndmask_b32_e64 v81, v81, v71, s10
	v_cndmask_b32_e64 v87, v87, v85, s10
	v_cmp_eq_u32_e64 s12, 4, v79
	v_cndmask_b32_e64 v88, v88, v95, s9
	v_cmp_eq_u32_e64 s6, 1, v77
	v_cndmask_b32_e64 v89, v89, v84, s7
	v_cndmask_b32_e64 v81, v81, v96, s11
	v_cmp_eq_u32_e64 s13, 6, v78
	v_cndmask_b32_e64 v88, v88, v71, s12
	;; [unrolled: 3-line block ×3, first 2 shown]
	v_cndmask_b32_e64 v89, v89, v98, s9
	v_cndmask_b32_e64 v81, v81, v72, s13
	v_cmp_eq_u32_e64 s16, 7, v78
	v_cndmask_b32_e64 v88, v88, v96, s15
	v_cndmask_b32_e64 v87, v87, v86, s13
	v_cmp_eq_u32_e64 s17, 6, v79
	v_cmp_eq_u32_e64 s18, 2, v77
	v_cndmask_b32_e64 v89, v89, v85, s12
	v_cndmask_b32_e64 v101, v81, v97, s16
	;; [unrolled: 1-line block ×6, first 2 shown]
	v_cmp_eq_u32_e64 s19, 7, v79
	v_cmp_eq_u32_e64 s20, 3, v77
	;; [unrolled: 1-line block ×4, first 2 shown]
	v_cndmask_b32_e64 v87, v87, v84, s18
	v_cndmask_b32_e64 v103, v88, v97, s19
	;; [unrolled: 1-line block ×4, first 2 shown]
	v_or_b32_e32 v81, 3, v78
	v_cndmask_b32_e64 v93, v87, v98, s20
	v_cmp_eq_u32_e64 s25, 6, v77
	v_cndmask_b32_e64 v104, v88, v86, s17
	v_cndmask_b32_e64 v92, v89, v71, s21
	v_cmp_eq_u32_e64 s22, 1, v81
	ds_load_b128 v[87:90], v82 offset:1024
	v_cmp_eq_u32_e64 s24, 2, v81
	v_cmp_eq_u32_e64 s26, 3, v81
	v_cndmask_b32_e64 v105, v92, v96, s23
	v_cndmask_b32_e64 v66, v69, v66, s22
	v_cndmask_b32_e64 v69, v93, v85, s21
	v_cndmask_b32_e64 v83, v83, v91, s22
	ds_load_b128 v[91:94], v82 offset:1040
	v_cmp_eq_u32_e64 s27, 4, v81
	v_cndmask_b32_e64 v66, v66, v70, s24
	v_cmp_eq_u32_e64 s28, 7, v77
	v_cndmask_b32_e64 v70, v83, v84, s24
	v_cndmask_b32_e64 v84, v105, v72, s25
	v_cmp_eq_u32_e64 s29, 5, v81
	v_cndmask_b32_e64 v66, v66, v95, s26
	v_cmp_eq_u32_e64 s30, 6, v81
	v_cndmask_b32_e64 v70, v70, v98, s26
	v_cndmask_b32_e64 v69, v69, v99, s23
	;; [unrolled: 1-line block ×4, first 2 shown]
	s_waitcnt lgkmcnt(1)
	v_lshrrev_b32_e32 v95, 16, v87
	v_cndmask_b32_e64 v70, v70, v85, s27
	v_cndmask_b32_e64 v71, v84, v97, s28
	;; [unrolled: 1-line block ×4, first 2 shown]
	v_cndmask_b32_e32 v84, v87, v95, vcc_lo
	v_cndmask_b32_e64 v70, v70, v99, s29
	s_waitcnt lgkmcnt(0)
	v_lshrrev_b32_e32 v85, 16, v91
	v_lshrrev_b32_e32 v96, 16, v88
	v_cndmask_b32_e64 v98, v87, v95, s4
	v_cndmask_b32_e64 v84, v84, v88, s5
	;; [unrolled: 1-line block ×3, first 2 shown]
	v_cndmask_b32_e32 v99, v91, v85, vcc_lo
	v_cmp_eq_u32_e32 vcc_lo, 7, v81
	v_cndmask_b32_e64 v66, v66, v72, s30
	v_cndmask_b32_e64 v72, v84, v96, s8
	;; [unrolled: 1-line block ×3, first 2 shown]
	v_lshrrev_b32_e32 v98, 16, v92
	v_cndmask_b32_e32 v70, v70, v100, vcc_lo
	v_cndmask_b32_e64 v86, v99, v92, s5
	v_cndmask_b32_e64 v69, v69, v100, s28
	v_lshrrev_b32_e32 v100, 16, v93
	v_cndmask_b32_e64 v72, v72, v89, s10
	v_lshrrev_b32_e32 v99, 16, v89
	v_cndmask_b32_e64 v86, v86, v98, s8
	v_perm_b32 v71, v69, v71, 0x5040100
	v_cndmask_b32_e64 v84, v84, v96, s9
	s_delay_alu instid0(VALU_DEP_3) | instskip(NEXT) | instid1(VALU_DEP_2)
	v_cndmask_b32_e64 v86, v86, v93, s10
	v_cndmask_b32_e64 v84, v84, v89, s12
	s_delay_alu instid0(VALU_DEP_2) | instskip(NEXT) | instid1(VALU_DEP_1)
	v_cndmask_b32_e64 v86, v86, v100, s11
	v_cndmask_b32_e64 v69, v86, v94, s13
	;; [unrolled: 1-line block ×5, first 2 shown]
	s_delay_alu instid0(VALU_DEP_3) | instskip(NEXT) | instid1(VALU_DEP_3)
	v_cndmask_b32_e64 v86, v86, v88, s18
	v_cndmask_b32_e64 v87, v87, v88, s24
	s_delay_alu instid0(VALU_DEP_3) | instskip(NEXT) | instid1(VALU_DEP_3)
	v_cndmask_b32_e64 v88, v95, v92, s24
	v_cndmask_b32_e64 v86, v86, v96, s20
	;; [unrolled: 3-line block ×7, first 2 shown]
	s_delay_alu instid0(VALU_DEP_3) | instskip(SKIP_2) | instid1(VALU_DEP_2)
	v_cndmask_b32_e64 v88, v88, v94, s30
	v_cndmask_b32_e32 v66, v66, v97, vcc_lo
	v_cndmask_b32_e64 v97, v72, v99, s11
	v_perm_b32 v72, v70, v66, 0x5040100
	v_perm_b32 v70, v83, v103, 0x5040100
	v_cndmask_b32_e64 v103, v91, v85, s6
	v_cndmask_b32_e64 v85, v91, v85, s4
	;; [unrolled: 1-line block ×4, first 2 shown]
	v_lshrrev_b32_e32 v97, 16, v90
	v_cndmask_b32_e64 v91, v103, v92, s18
	v_cndmask_b32_e64 v85, v85, v92, s7
	;; [unrolled: 1-line block ×3, first 2 shown]
	s_mov_b32 s4, exec_lo
	v_cndmask_b32_e64 v83, v84, v97, s16
	v_cndmask_b32_e64 v91, v91, v98, s20
	;; [unrolled: 1-line block ×3, first 2 shown]
	v_lshrrev_b32_e32 v84, 16, v94
	v_cndmask_b32_e64 v66, v66, v97, s19
	v_cndmask_b32_e64 v90, v86, v97, s28
	;; [unrolled: 1-line block ×4, first 2 shown]
	v_dual_cndmask_b32 v86, v87, v97 :: v_dual_cndmask_b32 v87, v88, v84
	v_cndmask_b32_e64 v91, v69, v84, s16
	s_delay_alu instid0(VALU_DEP_4) | instskip(NEXT) | instid1(VALU_DEP_4)
	v_cndmask_b32_e64 v89, v89, v100, s23
	v_cndmask_b32_e64 v85, v85, v100, s15
	v_perm_b32 v69, v102, v101, 0x5040100
	v_perm_b32 v86, v87, v86, 0x5040100
	;; [unrolled: 1-line block ×3, first 2 shown]
	v_cndmask_b32_e64 v89, v89, v94, s25
	v_cndmask_b32_e64 v85, v85, v94, s17
	s_mul_i32 s9, s37, 15
	s_delay_alu instid0(VALU_DEP_2) | instskip(NEXT) | instid1(VALU_DEP_2)
	v_cndmask_b32_e64 v88, v89, v84, s28
	v_cndmask_b32_e64 v89, v85, v84, s19
	s_delay_alu instid0(VALU_DEP_2) | instskip(NEXT) | instid1(VALU_DEP_2)
	v_perm_b32 v85, v88, v90, 0x5040100
	v_perm_b32 v84, v89, v66, 0x5040100
	ds_store_b128 v76, v[69:72]
	ds_store_b128 v76, v[83:86] offset:1024
	v_cmpx_gt_u32_e32 15, v0
	s_cbranch_execz .LBB1692_78
; %bb.77:
	s_mul_i32 s5, s9, s34
	s_load_b128 s[16:19], s[0:1], 0x58
	v_add3_u32 v69, s5, s31, v65
	s_delay_alu instid0(VALU_DEP_1) | instskip(NEXT) | instid1(VALU_DEP_1)
	v_mad_u64_u32 v[65:66], null, v69, s36, s[14:15]
	v_ashrrev_i32_e32 v66, 31, v65
	s_delay_alu instid0(VALU_DEP_1) | instskip(SKIP_1) | instid1(VALU_DEP_1)
	v_lshlrev_b64 v[65:66], 2, v[65:66]
	s_waitcnt lgkmcnt(0)
	v_add_co_u32 v69, vcc_lo, s18, v65
	s_delay_alu instid0(VALU_DEP_2)
	v_add_co_ci_u32_e32 v70, vcc_lo, s19, v66, vcc_lo
	v_add_co_u32 v65, vcc_lo, s16, v65
	v_add_co_ci_u32_e32 v66, vcc_lo, s17, v66, vcc_lo
	global_store_b32 v[69:70], v67, off
	global_store_b32 v[65:66], v68, off
.LBB1692_78:
	s_or_b32 exec_lo, exec_lo, s4
	s_waitcnt lgkmcnt(0)
	s_waitcnt_vscnt null, 0x0
	s_barrier
	buffer_gl0_inv
	ds_load_b128 v[83:86], v80
	ds_load_b128 v[87:90], v80 offset:16
	ds_load_b128 v[95:98], v80 offset:2064
	;; [unrolled: 1-line block ×3, first 2 shown]
	v_mov_b32_e32 v65, 0
	ds_load_b128 v[103:106], v80 offset:4112
	ds_load_b128 v[99:102], v80 offset:4096
	;; [unrolled: 1-line block ×4, first 2 shown]
	v_mov_b32_e32 v66, v65
	v_mov_b32_e32 v67, v65
	;; [unrolled: 1-line block ×7, first 2 shown]
	s_waitcnt lgkmcnt(6)
	s_delay_alu instid0(VALU_DEP_1)
	v_wmma_f32_16x16x16_bf16 v[65:72], v[57:64], v[83:90], v[65:72]
	ds_load_b128 v[61:64], v80 offset:8208
	ds_load_b128 v[57:60], v80 offset:8192
	s_waitcnt lgkmcnt(6)
	v_wmma_f32_16x16x16_bf16 v[65:72], v[41:48], v[91:98], v[65:72]
	ds_load_b128 v[45:48], v80 offset:10256
	ds_load_b128 v[41:44], v80 offset:10240
	s_waitcnt lgkmcnt(6)
	;; [unrolled: 4-line block ×4, first 2 shown]
	v_wmma_f32_16x16x16_bf16 v[65:72], v[1:8], v[57:64], v[65:72]
	s_waitcnt lgkmcnt(4)
	s_delay_alu instid0(VALU_DEP_1) | instskip(SKIP_1) | instid1(VALU_DEP_1)
	v_wmma_f32_16x16x16_bf16 v[65:72], v[9:16], v[41:48], v[65:72]
	s_waitcnt lgkmcnt(2)
	v_wmma_f32_16x16x16_bf16 v[65:72], v[17:24], v[33:40], v[65:72]
	s_waitcnt lgkmcnt(0)
	s_delay_alu instid0(VALU_DEP_1) | instskip(NEXT) | instid1(VALU_DEP_1)
	v_wmma_f32_16x16x16_bf16 v[65:72], v[49:56], v[25:32], v[65:72]
	v_and_b32_e32 v1, 0x7f800000, v65
	s_delay_alu instid0(VALU_DEP_1) | instskip(SKIP_1) | instid1(SALU_CYCLE_1)
	v_cmp_ne_u32_e32 vcc_lo, 0x7f800000, v1
                                        ; implicit-def: $vgpr1
	s_and_saveexec_b32 s4, vcc_lo
	s_xor_b32 s4, exec_lo, s4
; %bb.79:
	v_bfe_u32 v1, v65, 16, 1
	s_delay_alu instid0(VALU_DEP_1)
	v_add3_u32 v1, v65, v1, 0x7fff
; %bb.80:
	s_and_not1_saveexec_b32 s4, s4
; %bb.81:
	v_and_b32_e32 v1, 0xffff, v65
	v_or_b32_e32 v2, 0x10000, v65
	s_delay_alu instid0(VALU_DEP_2) | instskip(NEXT) | instid1(VALU_DEP_2)
	v_cmp_eq_u32_e32 vcc_lo, 0, v1
	v_cndmask_b32_e32 v1, v2, v65, vcc_lo
; %bb.82:
	s_or_b32 exec_lo, exec_lo, s4
	v_and_b32_e32 v2, 0x7f800000, v66
	s_delay_alu instid0(VALU_DEP_1) | instskip(SKIP_1) | instid1(SALU_CYCLE_1)
	v_cmp_ne_u32_e32 vcc_lo, 0x7f800000, v2
                                        ; implicit-def: $vgpr2
	s_and_saveexec_b32 s4, vcc_lo
	s_xor_b32 s4, exec_lo, s4
; %bb.83:
	v_bfe_u32 v2, v66, 16, 1
	s_delay_alu instid0(VALU_DEP_1)
	v_add3_u32 v2, v66, v2, 0x7fff
; %bb.84:
	s_and_not1_saveexec_b32 s4, s4
; %bb.85:
	v_and_b32_e32 v2, 0xffff, v66
	v_or_b32_e32 v3, 0x10000, v66
	s_delay_alu instid0(VALU_DEP_2) | instskip(NEXT) | instid1(VALU_DEP_2)
	v_cmp_eq_u32_e32 vcc_lo, 0, v2
	v_cndmask_b32_e32 v2, v3, v66, vcc_lo
; %bb.86:
	s_or_b32 exec_lo, exec_lo, s4
	v_and_b32_e32 v3, 0x7f800000, v67
	s_delay_alu instid0(VALU_DEP_1) | instskip(SKIP_1) | instid1(SALU_CYCLE_1)
	v_cmp_ne_u32_e32 vcc_lo, 0x7f800000, v3
                                        ; implicit-def: $vgpr3
	s_and_saveexec_b32 s4, vcc_lo
	s_xor_b32 s4, exec_lo, s4
; %bb.87:
	v_bfe_u32 v3, v67, 16, 1
	s_delay_alu instid0(VALU_DEP_1)
	v_add3_u32 v3, v67, v3, 0x7fff
; %bb.88:
	s_and_not1_saveexec_b32 s4, s4
; %bb.89:
	v_and_b32_e32 v3, 0xffff, v67
	v_or_b32_e32 v4, 0x10000, v67
	s_delay_alu instid0(VALU_DEP_2) | instskip(NEXT) | instid1(VALU_DEP_2)
	v_cmp_eq_u32_e32 vcc_lo, 0, v3
	v_cndmask_b32_e32 v3, v4, v67, vcc_lo
; %bb.90:
	s_or_b32 exec_lo, exec_lo, s4
	v_and_b32_e32 v4, 0x7f800000, v68
	s_delay_alu instid0(VALU_DEP_1) | instskip(SKIP_1) | instid1(SALU_CYCLE_1)
	v_cmp_ne_u32_e32 vcc_lo, 0x7f800000, v4
                                        ; implicit-def: $vgpr4
	s_and_saveexec_b32 s4, vcc_lo
	s_xor_b32 s4, exec_lo, s4
; %bb.91:
	v_bfe_u32 v4, v68, 16, 1
	s_delay_alu instid0(VALU_DEP_1)
	v_add3_u32 v4, v68, v4, 0x7fff
; %bb.92:
	s_and_not1_saveexec_b32 s4, s4
; %bb.93:
	v_and_b32_e32 v4, 0xffff, v68
	v_or_b32_e32 v5, 0x10000, v68
	s_delay_alu instid0(VALU_DEP_2) | instskip(NEXT) | instid1(VALU_DEP_2)
	v_cmp_eq_u32_e32 vcc_lo, 0, v4
	v_cndmask_b32_e32 v4, v5, v68, vcc_lo
; %bb.94:
	s_or_b32 exec_lo, exec_lo, s4
	v_and_b32_e32 v5, 0x7f800000, v69
	s_delay_alu instid0(VALU_DEP_1) | instskip(SKIP_1) | instid1(SALU_CYCLE_1)
	v_cmp_ne_u32_e32 vcc_lo, 0x7f800000, v5
                                        ; implicit-def: $vgpr5
	s_and_saveexec_b32 s4, vcc_lo
	s_xor_b32 s4, exec_lo, s4
; %bb.95:
	v_bfe_u32 v5, v69, 16, 1
	s_delay_alu instid0(VALU_DEP_1)
	v_add3_u32 v5, v69, v5, 0x7fff
; %bb.96:
	s_and_not1_saveexec_b32 s4, s4
; %bb.97:
	v_and_b32_e32 v5, 0xffff, v69
	v_or_b32_e32 v6, 0x10000, v69
	s_delay_alu instid0(VALU_DEP_2) | instskip(NEXT) | instid1(VALU_DEP_2)
	v_cmp_eq_u32_e32 vcc_lo, 0, v5
	v_cndmask_b32_e32 v5, v6, v69, vcc_lo
; %bb.98:
	s_or_b32 exec_lo, exec_lo, s4
	v_and_b32_e32 v6, 0x7f800000, v70
	s_delay_alu instid0(VALU_DEP_1) | instskip(SKIP_1) | instid1(SALU_CYCLE_1)
	v_cmp_ne_u32_e32 vcc_lo, 0x7f800000, v6
                                        ; implicit-def: $vgpr6
	s_and_saveexec_b32 s4, vcc_lo
	s_xor_b32 s4, exec_lo, s4
; %bb.99:
	v_bfe_u32 v6, v70, 16, 1
	s_delay_alu instid0(VALU_DEP_1)
	v_add3_u32 v6, v70, v6, 0x7fff
; %bb.100:
	s_and_not1_saveexec_b32 s4, s4
; %bb.101:
	v_and_b32_e32 v6, 0xffff, v70
	v_or_b32_e32 v7, 0x10000, v70
	s_delay_alu instid0(VALU_DEP_2) | instskip(NEXT) | instid1(VALU_DEP_2)
	v_cmp_eq_u32_e32 vcc_lo, 0, v6
	v_cndmask_b32_e32 v6, v7, v70, vcc_lo
; %bb.102:
	s_or_b32 exec_lo, exec_lo, s4
	v_and_b32_e32 v7, 0x7f800000, v71
	s_delay_alu instid0(VALU_DEP_1) | instskip(SKIP_1) | instid1(SALU_CYCLE_1)
	v_cmp_ne_u32_e32 vcc_lo, 0x7f800000, v7
                                        ; implicit-def: $vgpr7
	s_and_saveexec_b32 s4, vcc_lo
	s_xor_b32 s4, exec_lo, s4
; %bb.103:
	v_bfe_u32 v7, v71, 16, 1
	s_delay_alu instid0(VALU_DEP_1)
	v_add3_u32 v7, v71, v7, 0x7fff
; %bb.104:
	s_and_not1_saveexec_b32 s4, s4
; %bb.105:
	v_and_b32_e32 v7, 0xffff, v71
	v_or_b32_e32 v8, 0x10000, v71
	s_delay_alu instid0(VALU_DEP_2) | instskip(NEXT) | instid1(VALU_DEP_2)
	v_cmp_eq_u32_e32 vcc_lo, 0, v7
	v_cndmask_b32_e32 v7, v8, v71, vcc_lo
; %bb.106:
	s_or_b32 exec_lo, exec_lo, s4
	v_and_b32_e32 v8, 0x7f800000, v72
	s_delay_alu instid0(VALU_DEP_1) | instskip(SKIP_1) | instid1(SALU_CYCLE_1)
	v_cmp_ne_u32_e32 vcc_lo, 0x7f800000, v8
                                        ; implicit-def: $vgpr8
	s_and_saveexec_b32 s4, vcc_lo
	s_xor_b32 s4, exec_lo, s4
; %bb.107:
	v_bfe_u32 v8, v72, 16, 1
	s_delay_alu instid0(VALU_DEP_1)
	v_add3_u32 v8, v72, v8, 0x7fff
                                        ; implicit-def: $vgpr65_vgpr66_vgpr67_vgpr68_vgpr69_vgpr70_vgpr71_vgpr72
; %bb.108:
	s_and_not1_saveexec_b32 s4, s4
; %bb.109:
	v_and_b32_e32 v8, 0xffff, v72
	v_or_b32_e32 v9, 0x10000, v72
	s_delay_alu instid0(VALU_DEP_2) | instskip(NEXT) | instid1(VALU_DEP_2)
	v_cmp_eq_u32_e32 vcc_lo, 0, v8
	v_cndmask_b32_e32 v8, v9, v72, vcc_lo
; %bb.110:
	s_or_b32 exec_lo, exec_lo, s4
	s_delay_alu instid0(VALU_DEP_1)
	v_perm_b32 v7, v8, v7, 0x7060302
	v_perm_b32 v6, v6, v5, 0x7060302
	;; [unrolled: 1-line block ×4, first 2 shown]
	s_barrier
	buffer_gl0_inv
	v_cmp_eq_u32_e32 vcc_lo, 1, v78
	ds_store_b128 v76, v[4:7]
	s_waitcnt lgkmcnt(0)
	s_barrier
	buffer_gl0_inv
	ds_load_b128 v[1:4], v82
	ds_load_b128 v[5:8], v82 offset:16
	v_cmp_eq_u32_e64 s4, 1, v79
	v_cmp_eq_u32_e64 s5, 2, v78
	;; [unrolled: 1-line block ×5, first 2 shown]
	s_waitcnt lgkmcnt(1)
	v_lshrrev_b32_e32 v9, 16, v1
	s_waitcnt lgkmcnt(0)
	v_lshrrev_b32_e32 v13, 16, v5
	v_lshrrev_b32_e32 v10, 16, v2
	;; [unrolled: 1-line block ×4, first 2 shown]
	v_cndmask_b32_e64 v19, v1, v9, s4
	v_cndmask_b32_e32 v18, v5, v13, vcc_lo
	v_cndmask_b32_e64 v20, v5, v13, s4
	v_cndmask_b32_e32 v17, v1, v9, vcc_lo
	v_cmp_eq_u32_e32 vcc_lo, 2, v79
	v_lshrrev_b32_e32 v15, 16, v7
	v_cmp_eq_u32_e64 s4, 1, v77
	v_lshrrev_b32_e32 v12, 16, v4
	v_lshrrev_b32_e32 v16, 16, v8
	v_cndmask_b32_e32 v20, v20, v6, vcc_lo
	v_cndmask_b32_e64 v17, v17, v2, s5
	v_cndmask_b32_e32 v19, v19, v2, vcc_lo
	v_cndmask_b32_e64 v18, v18, v6, s5
	v_cmp_eq_u32_e32 vcc_lo, 4, v78
	v_cmp_eq_u32_e64 s5, 3, v79
	v_cndmask_b32_e64 v17, v17, v10, s6
	v_cndmask_b32_e64 v21, v1, v9, s4
	;; [unrolled: 1-line block ×5, first 2 shown]
	v_cndmask_b32_e32 v17, v17, v3, vcc_lo
	v_cndmask_b32_e64 v20, v20, v14, s5
	v_cndmask_b32_e32 v18, v18, v7, vcc_lo
	v_cmp_eq_u32_e32 vcc_lo, 4, v79
	v_cmp_eq_u32_e64 s5, 5, v79
	v_cmp_eq_u32_e64 s4, 2, v81
	v_cndmask_b32_e64 v21, v21, v2, s8
	v_cmp_eq_u32_e64 s6, 5, v78
	v_cndmask_b32_e32 v19, v19, v3, vcc_lo
	v_cndmask_b32_e32 v20, v20, v7, vcc_lo
	v_cmp_eq_u32_e32 vcc_lo, 6, v79
	s_delay_alu instid0(VALU_DEP_4) | instskip(NEXT) | instid1(VALU_DEP_4)
	v_cndmask_b32_e64 v17, v17, v11, s6
	v_cndmask_b32_e64 v19, v19, v11, s5
	s_delay_alu instid0(VALU_DEP_4) | instskip(SKIP_1) | instid1(VALU_DEP_3)
	v_cndmask_b32_e64 v20, v20, v15, s5
	v_cmp_eq_u32_e64 s5, 1, v81
	v_cndmask_b32_e32 v19, v19, v4, vcc_lo
	v_cndmask_b32_e64 v18, v18, v15, s6
	s_delay_alu instid0(VALU_DEP_3)
	v_cndmask_b32_e64 v1, v1, v9, s5
	v_cndmask_b32_e64 v5, v5, v13, s5
	v_cmp_eq_u32_e64 s5, 3, v77
	v_cndmask_b32_e64 v13, v22, v6, s8
	v_cmp_eq_u32_e64 s8, 3, v81
	v_cndmask_b32_e64 v1, v1, v2, s4
	v_cndmask_b32_e64 v2, v5, v6, s4
	v_cndmask_b32_e64 v9, v21, v10, s5
	v_cmp_eq_u32_e64 s4, 4, v77
	v_cndmask_b32_e64 v6, v13, v14, s5
	v_cndmask_b32_e64 v1, v1, v10, s8
	v_cmp_eq_u32_e64 s5, 4, v81
	v_cndmask_b32_e64 v2, v2, v14, s8
	v_cndmask_b32_e64 v5, v9, v3, s4
	v_cmp_eq_u32_e64 s8, 5, v77
	v_cndmask_b32_e64 v6, v6, v7, s4
	v_cndmask_b32_e64 v1, v1, v3, s5
	v_cndmask_b32_e64 v2, v2, v7, s5
	v_cmp_eq_u32_e64 s4, 5, v81
	v_cmp_eq_u32_e64 s6, 6, v78
	v_cndmask_b32_e64 v5, v5, v11, s8
	v_cmp_eq_u32_e64 s5, 6, v77
	v_cndmask_b32_e64 v3, v6, v15, s8
	v_cndmask_b32_e64 v1, v1, v11, s4
	v_cmp_eq_u32_e64 s8, 6, v81
	v_cndmask_b32_e64 v2, v2, v15, s4
	v_cndmask_b32_e64 v17, v17, v4, s6
	v_cndmask_b32_e64 v18, v18, v8, s6
	v_cmp_eq_u32_e64 s6, 7, v78
	v_cndmask_b32_e64 v5, v5, v4, s5
	v_cndmask_b32_e64 v3, v3, v8, s5
	v_cndmask_b32_e64 v1, v1, v4, s8
	v_cmp_eq_u32_e64 s4, 7, v81
	v_cndmask_b32_e64 v2, v2, v8, s8
	v_cmp_eq_u32_e64 s5, 7, v77
	v_cndmask_b32_e32 v4, v20, v8, vcc_lo
	v_cndmask_b32_e64 v17, v17, v12, s6
	v_cndmask_b32_e64 v19, v19, v12, s7
	;; [unrolled: 1-line block ×8, first 2 shown]
	v_cmp_gt_u32_e32 vcc_lo, 32, v0
	v_perm_b32 v4, v2, v1, 0x5040100
	v_perm_b32 v3, v3, v5, 0x5040100
	;; [unrolled: 1-line block ×4, first 2 shown]
	s_and_b32 s2, vcc_lo, s2
	ds_store_b128 v76, v[1:4]
	s_waitcnt lgkmcnt(0)
	s_barrier
	buffer_gl0_inv
	s_and_saveexec_b32 s4, s2
	s_cbranch_execz .LBB1692_2
; %bb.111:
	s_load_b64 s[4:5], s[0:1], 0x68
	v_add_nc_u32_e32 v20, s31, v74
	v_lshlrev_b32_e32 v0, 10, v0
	v_lshlrev_b32_e32 v1, 4, v75
	s_lshl_b32 s0, s36, 6
	s_delay_alu instid0(SALU_CYCLE_1)
	s_mul_i32 s1, s0, s34
	v_add_nc_u32_e32 v2, 2, v20
	s_mul_i32 s6, s1, s9
	v_and_or_b32 v0, 0x3800, v0, v1
	v_mul_lo_u32 v1, v20, s0
	s_ashr_i32 s7, s6, 31
	v_mul_lo_u32 v11, v2, s0
	s_lshl_b64 s[6:7], s[6:7], 1
	v_add_nc_u32_e32 v3, 4, v20
	v_lshl_or_b32 v21, v74, 6, v0
	v_add_nc_u32_e32 v16, 6, v20
	v_ashrrev_i32_e32 v2, 31, v1
	s_delay_alu instid0(VALU_DEP_4)
	v_mul_lo_u32 v13, v3, s0
	s_waitcnt lgkmcnt(0)
	s_add_u32 s1, s4, s6
	s_addc_u32 s2, s5, s7
	s_lshl_b32 s4, s14, 6
	ds_load_b128 v[3:6], v21
	ds_load_b128 v[7:10], v21 offset:128
	s_ashr_i32 s5, s4, 31
	v_ashrrev_i32_e32 v12, 31, v11
	s_lshl_b64 s[4:5], s[4:5], 1
	v_lshlrev_b64 v[14:15], 1, v[1:2]
	s_add_u32 s1, s1, s4
	s_addc_u32 s2, s2, s5
	v_add_co_u32 v1, s1, s1, v73
	s_delay_alu instid0(VALU_DEP_1) | instskip(SKIP_1) | instid1(VALU_DEP_3)
	v_add_co_ci_u32_e64 v2, null, s2, 0, s1
	v_lshlrev_b64 v[11:12], 1, v[11:12]
	v_add_co_u32 v18, vcc_lo, v1, v14
	v_mul_lo_u32 v16, v16, s0
	s_delay_alu instid0(VALU_DEP_4) | instskip(NEXT) | instid1(VALU_DEP_4)
	v_add_co_ci_u32_e32 v19, vcc_lo, v2, v15, vcc_lo
	v_add_co_u32 v11, vcc_lo, v1, v11
	v_ashrrev_i32_e32 v14, 31, v13
	v_add_co_ci_u32_e32 v12, vcc_lo, v2, v12, vcc_lo
	v_add_nc_u32_e32 v15, 8, v20
	v_ashrrev_i32_e32 v17, 31, v16
	s_waitcnt lgkmcnt(1)
	global_store_b128 v[18:19], v[3:6], off
	v_lshlrev_b64 v[3:4], 1, v[13:14]
	s_waitcnt lgkmcnt(0)
	global_store_b128 v[11:12], v[7:10], off
	v_mul_lo_u32 v11, v15, s0
	v_add_nc_u32_e32 v7, 10, v20
	v_lshlrev_b64 v[5:6], 1, v[16:17]
	v_add_co_u32 v23, vcc_lo, v1, v3
	v_add_nc_u32_e32 v3, 12, v20
	s_delay_alu instid0(VALU_DEP_4)
	v_mul_lo_u32 v25, v7, s0
	v_ashrrev_i32_e32 v12, 31, v11
	v_add_co_ci_u32_e32 v24, vcc_lo, v2, v4, vcc_lo
	v_add_co_u32 v27, vcc_lo, v1, v5
	v_mul_lo_u32 v29, v3, s0
	v_add_co_ci_u32_e32 v28, vcc_lo, v2, v6, vcc_lo
	ds_load_b128 v[3:6], v21 offset:256
	ds_load_b128 v[7:10], v21 offset:384
	v_lshlrev_b64 v[31:32], 1, v[11:12]
	ds_load_b128 v[11:14], v21 offset:512
	ds_load_b128 v[15:18], v21 offset:640
	;; [unrolled: 1-line block ×3, first 2 shown]
	v_ashrrev_i32_e32 v26, 31, v25
	v_ashrrev_i32_e32 v30, 31, v29
	v_add_co_u32 v31, vcc_lo, v1, v31
	s_delay_alu instid0(VALU_DEP_3) | instskip(NEXT) | instid1(VALU_DEP_3)
	v_lshlrev_b64 v[25:26], 1, v[25:26]
	v_lshlrev_b64 v[29:30], 1, v[29:30]
	v_add_co_ci_u32_e32 v32, vcc_lo, v2, v32, vcc_lo
	s_delay_alu instid0(VALU_DEP_3) | instskip(NEXT) | instid1(VALU_DEP_4)
	v_add_co_u32 v25, vcc_lo, v1, v25
	v_add_co_ci_u32_e32 v26, vcc_lo, v2, v26, vcc_lo
	s_delay_alu instid0(VALU_DEP_4)
	v_add_co_u32 v29, vcc_lo, v1, v29
	v_add_co_ci_u32_e32 v30, vcc_lo, v2, v30, vcc_lo
	s_waitcnt lgkmcnt(4)
	global_store_b128 v[23:24], v[3:6], off
	s_waitcnt lgkmcnt(3)
	global_store_b128 v[27:28], v[7:10], off
	s_waitcnt lgkmcnt(2)
	global_store_b128 v[31:32], v[11:14], off
	s_waitcnt lgkmcnt(1)
	global_store_b128 v[25:26], v[15:18], off
	s_waitcnt lgkmcnt(0)
	global_store_b128 v[29:30], v[19:22], off
	s_and_b32 exec_lo, exec_lo, s3
	s_cbranch_execz .LBB1692_2
; %bb.112:
	ds_load_b128 v[3:6], v0 offset:896
	s_add_i32 s1, s31, 14
	s_delay_alu instid0(SALU_CYCLE_1) | instskip(NEXT) | instid1(SALU_CYCLE_1)
	s_mul_i32 s0, s1, s0
	s_ashr_i32 s1, s0, 31
	s_delay_alu instid0(SALU_CYCLE_1) | instskip(NEXT) | instid1(SALU_CYCLE_1)
	s_lshl_b64 s[0:1], s[0:1], 1
	v_add_co_u32 v0, vcc_lo, v1, s0
	v_add_co_ci_u32_e32 v1, vcc_lo, s1, v2, vcc_lo
	s_waitcnt lgkmcnt(0)
	global_store_b128 v[0:1], v[3:6], off
	s_nop 0
	s_sendmsg sendmsg(MSG_DEALLOC_VGPRS)
	s_endpgm
	.section	.rodata,"a",@progbits
	.p2align	6, 0x0
	.amdhsa_kernel _Z39paged_attention_ll4mi_QKV_mfma16_kernelI14__hip_bfloat16hLN4vllm18Fp8KVCacheDataTypeE1EhLi16ELi64ELi256ELb0ELi15EL8MFMAType0EEvPKT_PKT0_S9_ifPKiSB_SB_iPKfiiiPfSE_PS4_PT2_iSD_SD_
		.amdhsa_group_segment_fixed_size 17472
		.amdhsa_private_segment_fixed_size 0
		.amdhsa_kernarg_size 400
		.amdhsa_user_sgpr_count 13
		.amdhsa_user_sgpr_dispatch_ptr 0
		.amdhsa_user_sgpr_queue_ptr 0
		.amdhsa_user_sgpr_kernarg_segment_ptr 1
		.amdhsa_user_sgpr_dispatch_id 0
		.amdhsa_user_sgpr_private_segment_size 0
		.amdhsa_wavefront_size32 1
		.amdhsa_uses_dynamic_stack 0
		.amdhsa_enable_private_segment 0
		.amdhsa_system_sgpr_workgroup_id_x 1
		.amdhsa_system_sgpr_workgroup_id_y 1
		.amdhsa_system_sgpr_workgroup_id_z 1
		.amdhsa_system_sgpr_workgroup_info 0
		.amdhsa_system_vgpr_workitem_id 0
		.amdhsa_next_free_vgpr 124
		.amdhsa_next_free_sgpr 40
		.amdhsa_reserve_vcc 1
		.amdhsa_float_round_mode_32 0
		.amdhsa_float_round_mode_16_64 0
		.amdhsa_float_denorm_mode_32 3
		.amdhsa_float_denorm_mode_16_64 3
		.amdhsa_dx10_clamp 1
		.amdhsa_ieee_mode 1
		.amdhsa_fp16_overflow 0
		.amdhsa_workgroup_processor_mode 1
		.amdhsa_memory_ordered 1
		.amdhsa_forward_progress 0
		.amdhsa_shared_vgpr_count 0
		.amdhsa_exception_fp_ieee_invalid_op 0
		.amdhsa_exception_fp_denorm_src 0
		.amdhsa_exception_fp_ieee_div_zero 0
		.amdhsa_exception_fp_ieee_overflow 0
		.amdhsa_exception_fp_ieee_underflow 0
		.amdhsa_exception_fp_ieee_inexact 0
		.amdhsa_exception_int_div_zero 0
	.end_amdhsa_kernel
	.section	.text._Z39paged_attention_ll4mi_QKV_mfma16_kernelI14__hip_bfloat16hLN4vllm18Fp8KVCacheDataTypeE1EhLi16ELi64ELi256ELb0ELi15EL8MFMAType0EEvPKT_PKT0_S9_ifPKiSB_SB_iPKfiiiPfSE_PS4_PT2_iSD_SD_,"axG",@progbits,_Z39paged_attention_ll4mi_QKV_mfma16_kernelI14__hip_bfloat16hLN4vllm18Fp8KVCacheDataTypeE1EhLi16ELi64ELi256ELb0ELi15EL8MFMAType0EEvPKT_PKT0_S9_ifPKiSB_SB_iPKfiiiPfSE_PS4_PT2_iSD_SD_,comdat
.Lfunc_end1692:
	.size	_Z39paged_attention_ll4mi_QKV_mfma16_kernelI14__hip_bfloat16hLN4vllm18Fp8KVCacheDataTypeE1EhLi16ELi64ELi256ELb0ELi15EL8MFMAType0EEvPKT_PKT0_S9_ifPKiSB_SB_iPKfiiiPfSE_PS4_PT2_iSD_SD_, .Lfunc_end1692-_Z39paged_attention_ll4mi_QKV_mfma16_kernelI14__hip_bfloat16hLN4vllm18Fp8KVCacheDataTypeE1EhLi16ELi64ELi256ELb0ELi15EL8MFMAType0EEvPKT_PKT0_S9_ifPKiSB_SB_iPKfiiiPfSE_PS4_PT2_iSD_SD_
                                        ; -- End function
	.section	.AMDGPU.csdata,"",@progbits
; Kernel info:
; codeLenInByte = 9008
; NumSgprs: 42
; NumVgprs: 124
; ScratchSize: 0
; MemoryBound: 0
; FloatMode: 240
; IeeeMode: 1
; LDSByteSize: 17472 bytes/workgroup (compile time only)
; SGPRBlocks: 5
; VGPRBlocks: 15
; NumSGPRsForWavesPerEU: 42
; NumVGPRsForWavesPerEU: 124
; Occupancy: 10
; WaveLimiterHint : 1
; COMPUTE_PGM_RSRC2:SCRATCH_EN: 0
; COMPUTE_PGM_RSRC2:USER_SGPR: 13
; COMPUTE_PGM_RSRC2:TRAP_HANDLER: 0
; COMPUTE_PGM_RSRC2:TGID_X_EN: 1
; COMPUTE_PGM_RSRC2:TGID_Y_EN: 1
; COMPUTE_PGM_RSRC2:TGID_Z_EN: 1
; COMPUTE_PGM_RSRC2:TIDIG_COMP_CNT: 0
	.section	.text._Z39paged_attention_ll4mi_QKV_mfma16_kernelI14__hip_bfloat16hLN4vllm18Fp8KVCacheDataTypeE1EhLi16ELi64ELi256ELb0ELi16EL8MFMAType0EEvPKT_PKT0_S9_ifPKiSB_SB_iPKfiiiPfSE_PS4_PT2_iSD_SD_,"axG",@progbits,_Z39paged_attention_ll4mi_QKV_mfma16_kernelI14__hip_bfloat16hLN4vllm18Fp8KVCacheDataTypeE1EhLi16ELi64ELi256ELb0ELi16EL8MFMAType0EEvPKT_PKT0_S9_ifPKiSB_SB_iPKfiiiPfSE_PS4_PT2_iSD_SD_,comdat
	.protected	_Z39paged_attention_ll4mi_QKV_mfma16_kernelI14__hip_bfloat16hLN4vllm18Fp8KVCacheDataTypeE1EhLi16ELi64ELi256ELb0ELi16EL8MFMAType0EEvPKT_PKT0_S9_ifPKiSB_SB_iPKfiiiPfSE_PS4_PT2_iSD_SD_ ; -- Begin function _Z39paged_attention_ll4mi_QKV_mfma16_kernelI14__hip_bfloat16hLN4vllm18Fp8KVCacheDataTypeE1EhLi16ELi64ELi256ELb0ELi16EL8MFMAType0EEvPKT_PKT0_S9_ifPKiSB_SB_iPKfiiiPfSE_PS4_PT2_iSD_SD_
	.globl	_Z39paged_attention_ll4mi_QKV_mfma16_kernelI14__hip_bfloat16hLN4vllm18Fp8KVCacheDataTypeE1EhLi16ELi64ELi256ELb0ELi16EL8MFMAType0EEvPKT_PKT0_S9_ifPKiSB_SB_iPKfiiiPfSE_PS4_PT2_iSD_SD_
	.p2align	8
	.type	_Z39paged_attention_ll4mi_QKV_mfma16_kernelI14__hip_bfloat16hLN4vllm18Fp8KVCacheDataTypeE1EhLi16ELi64ELi256ELb0ELi16EL8MFMAType0EEvPKT_PKT0_S9_ifPKiSB_SB_iPKfiiiPfSE_PS4_PT2_iSD_SD_,@function
_Z39paged_attention_ll4mi_QKV_mfma16_kernelI14__hip_bfloat16hLN4vllm18Fp8KVCacheDataTypeE1EhLi16ELi64ELi256ELb0ELi16EL8MFMAType0EEvPKT_PKT0_S9_ifPKiSB_SB_iPKfiiiPfSE_PS4_PT2_iSD_SD_: ; @_Z39paged_attention_ll4mi_QKV_mfma16_kernelI14__hip_bfloat16hLN4vllm18Fp8KVCacheDataTypeE1EhLi16ELi64ELi256ELb0ELi16EL8MFMAType0EEvPKT_PKT0_S9_ifPKiSB_SB_iPKfiiiPfSE_PS4_PT2_iSD_SD_
; %bb.0:
	s_load_b64 s[2:3], s[0:1], 0x30
	s_mov_b32 s30, s13
	s_waitcnt lgkmcnt(0)
	s_cmp_lg_u64 s[2:3], 0
	s_cselect_b32 s8, -1, 0
	s_ashr_i32 s31, s13, 31
	s_cmp_eq_u64 s[2:3], 0
	s_cbranch_scc1 .LBB1693_3
; %bb.1:
	s_lshl_b64 s[4:5], s[30:31], 2
	s_delay_alu instid0(SALU_CYCLE_1) | instskip(SKIP_4) | instid1(SALU_CYCLE_1)
	s_add_u32 s4, s2, s4
	s_addc_u32 s5, s3, s5
	s_load_b64 s[4:5], s[4:5], 0x0
	s_waitcnt lgkmcnt(0)
	s_sub_i32 s4, s5, s4
	s_cmp_eq_u32 s4, 1
	s_cselect_b32 s4, -1, 0
	s_delay_alu instid0(SALU_CYCLE_1)
	s_and_not1_b32 vcc_lo, exec_lo, s4
	s_cbranch_vccz .LBB1693_4
.LBB1693_2:
	s_endpgm
.LBB1693_3:
.LBB1693_4:
	s_load_b64 s[4:5], s[0:1], 0x28
	s_lshl_b64 s[6:7], s[30:31], 2
	s_waitcnt lgkmcnt(0)
	s_add_u32 s4, s4, s6
	s_addc_u32 s5, s5, s7
	s_lshl_b32 s12, s14, 8
	s_load_b32 s24, s[4:5], 0x0
	s_waitcnt lgkmcnt(0)
	s_cmp_ge_i32 s12, s24
	s_cbranch_scc1 .LBB1693_2
; %bb.5:
	s_clause 0x1
	s_load_b128 s[20:23], s[0:1], 0x8
	s_load_b64 s[4:5], s[0:1], 0x20
	s_and_not1_b32 vcc_lo, exec_lo, s8
	s_cbranch_vccnz .LBB1693_7
; %bb.6:
	s_add_u32 s2, s2, s6
	s_addc_u32 s3, s3, s7
	s_load_b32 s3, s[2:3], 0x0
	s_branch .LBB1693_8
.LBB1693_7:
	s_mov_b32 s3, s30
.LBB1693_8:
	s_load_b128 s[16:19], s[0:1], 0x48
	v_and_b32_e32 v66, 15, v0
	v_cmp_gt_u32_e32 vcc_lo, 0x100, v0
	v_lshrrev_b32_e32 v65, 5, v0
	v_and_b32_e32 v67, 31, v0
	v_and_b32_e32 v75, 1, v0
	v_lshlrev_b32_e32 v1, 3, v66
	v_cmp_gt_u32_e64 s2, 8, v66
	v_bfe_u32 v74, v0, 4, 1
	s_lshl_b32 s31, s15, 4
	s_delay_alu instid0(VALU_DEP_3) | instskip(NEXT) | instid1(VALU_DEP_3)
	v_lshlrev_b32_e32 v73, 1, v1
	s_and_b32 s7, vcc_lo, s2
	s_delay_alu instid0(SALU_CYCLE_1)
	s_and_saveexec_b32 s6, s7
	s_cbranch_execz .LBB1693_10
; %bb.9:
	v_lshl_or_b32 v5, v65, 1, v74
	s_load_b64 s[8:9], s[0:1], 0x0
	s_waitcnt lgkmcnt(0)
	s_mul_hi_i32 s11, s3, s16
	s_mul_i32 s10, s3, s16
	v_lshlrev_b32_e32 v6, 10, v66
	v_or_b32_e32 v1, s31, v5
	s_lshl_b64 s[10:11], s[10:11], 1
	v_lshlrev_b32_e32 v5, 6, v5
	v_lshlrev_b32_e32 v7, 10, v75
	v_and_b32_e32 v6, 0x3800, v6
	v_lshlrev_b32_e32 v1, 6, v1
	s_delay_alu instid0(VALU_DEP_2) | instskip(NEXT) | instid1(VALU_DEP_2)
	v_or3_b32 v5, v6, v7, v5
	v_ashrrev_i32_e32 v2, 31, v1
	s_delay_alu instid0(VALU_DEP_1) | instskip(SKIP_2) | instid1(VALU_DEP_1)
	v_lshlrev_b64 v[1:2], 1, v[1:2]
	s_add_u32 s3, s8, s10
	s_addc_u32 s7, s9, s11
	v_add_co_u32 v1, vcc_lo, s3, v1
	s_delay_alu instid0(VALU_DEP_2) | instskip(NEXT) | instid1(VALU_DEP_2)
	v_add_co_ci_u32_e32 v2, vcc_lo, s7, v2, vcc_lo
	v_add_co_u32 v1, vcc_lo, v1, v73
	s_delay_alu instid0(VALU_DEP_2)
	v_add_co_ci_u32_e32 v2, vcc_lo, 0, v2, vcc_lo
	global_load_b128 v[1:4], v[1:2], off
	s_waitcnt vmcnt(0)
	ds_store_b128 v5, v[1:4]
.LBB1693_10:
	s_or_b32 exec_lo, exec_lo, s6
	v_and_b32_e32 v1, 0xef, v0
	s_waitcnt lgkmcnt(0)
	s_add_i32 s3, s24, 15
	s_clause 0x1
	s_load_b32 s6, s[0:1], 0x38
	s_load_b32 s19, s[0:1], 0x1c
	s_ashr_i32 s7, s3, 31
	v_add_nc_u32_e32 v1, s12, v1
	s_lshr_b32 s7, s7, 28
	s_waitcnt lgkmcnt(0)
	s_add_i32 s3, s3, s7
	s_barrier
	v_ashrrev_i32_e32 v2, 31, v1
	v_or_b32_e32 v3, 16, v1
	s_ashr_i32 s3, s3, 4
	v_cmp_gt_i32_e32 vcc_lo, s24, v1
	s_add_i32 s3, s3, -1
	v_lshrrev_b32_e32 v2, 28, v2
	buffer_gl0_inv
	s_mul_i32 s27, s15, s18
	v_add_nc_u32_e32 v4, v1, v2
	s_mul_i32 s6, s30, s6
	s_delay_alu instid0(SALU_CYCLE_1) | instskip(NEXT) | instid1(VALU_DEP_1)
	s_ashr_i32 s7, s6, 31
	v_ashrrev_i32_e32 v4, 4, v4
	v_add_nc_u32_e32 v2, v3, v2
	s_lshl_b64 s[6:7], s[6:7], 2
	s_delay_alu instid0(SALU_CYCLE_1) | instskip(NEXT) | instid1(VALU_DEP_2)
	s_add_u32 s26, s4, s6
	v_cndmask_b32_e32 v1, s3, v4, vcc_lo
	s_delay_alu instid0(VALU_DEP_2)
	v_ashrrev_i32_e32 v2, 4, v2
	v_cmp_gt_i32_e32 vcc_lo, s24, v3
	s_addc_u32 s25, s5, s7
	s_ashr_i32 s28, s27, 31
	s_add_u32 s13, s20, s27
	s_addc_u32 s15, s21, s28
	v_cndmask_b32_e32 v3, s3, v2, vcc_lo
	v_ashrrev_i32_e32 v2, 31, v1
	s_lshl_b32 s4, s14, 4
	s_delay_alu instid0(SALU_CYCLE_1) | instskip(NEXT) | instid1(VALU_DEP_2)
	s_ashr_i32 s5, s4, 31
	v_ashrrev_i32_e32 v4, 31, v3
	s_delay_alu instid0(VALU_DEP_2) | instskip(SKIP_1) | instid1(SALU_CYCLE_1)
	v_lshlrev_b64 v[1:2], 2, v[1:2]
	s_lshl_b64 s[4:5], s[4:5], 2
	s_add_u32 s4, s26, s4
	s_delay_alu instid0(VALU_DEP_2) | instskip(SKIP_1) | instid1(VALU_DEP_2)
	v_lshlrev_b64 v[3:4], 2, v[3:4]
	s_addc_u32 s5, s25, s5
	v_add_co_u32 v1, vcc_lo, s26, v1
	v_add_co_ci_u32_e32 v2, vcc_lo, s25, v2, vcc_lo
	s_delay_alu instid0(VALU_DEP_3) | instskip(NEXT) | instid1(VALU_DEP_4)
	v_add_co_u32 v3, vcc_lo, s26, v3
	v_add_co_ci_u32_e32 v4, vcc_lo, s25, v4, vcc_lo
	s_clause 0x1
	global_load_b32 v5, v[1:2], off
	global_load_b32 v7, v[3:4], off
	s_or_b32 s6, s12, 32
	v_lshlrev_b32_e32 v1, 4, v0
	s_ashr_i32 s7, s6, 4
	s_cmp_lt_i32 s6, s24
	s_cselect_b32 s6, s7, s3
	s_delay_alu instid0(VALU_DEP_1) | instskip(SKIP_1) | instid1(SALU_CYCLE_1)
	v_and_b32_e32 v1, 0xf0, v1
	s_ashr_i32 s7, s6, 31
	s_lshl_b64 s[6:7], s[6:7], 2
	s_delay_alu instid0(SALU_CYCLE_1)
	s_add_u32 s6, s26, s6
	s_addc_u32 s7, s25, s7
	s_or_b32 s8, s12, 64
	v_add_co_u32 v1, s13, s13, v1
	s_ashr_i32 s9, s8, 4
	s_cmp_lt_i32 s8, s24
	v_add_co_ci_u32_e64 v2, null, s15, 0, s13
	s_cselect_b32 s8, s9, s3
	s_delay_alu instid0(SALU_CYCLE_1) | instskip(NEXT) | instid1(SALU_CYCLE_1)
	s_ashr_i32 s9, s8, 31
	s_lshl_b64 s[8:9], s[8:9], 2
	s_delay_alu instid0(SALU_CYCLE_1) | instskip(SKIP_2) | instid1(SALU_CYCLE_1)
	s_add_u32 s8, s26, s8
	s_addc_u32 s9, s25, s9
	s_or_b32 s10, s12, 0x60
	s_ashr_i32 s11, s10, 4
	s_cmp_lt_i32 s10, s24
	s_cselect_b32 s10, s11, s3
	s_delay_alu instid0(SALU_CYCLE_1) | instskip(NEXT) | instid1(SALU_CYCLE_1)
	s_ashr_i32 s11, s10, 31
	s_lshl_b64 s[10:11], s[10:11], 2
	s_delay_alu instid0(SALU_CYCLE_1) | instskip(SKIP_2) | instid1(SALU_CYCLE_1)
	s_add_u32 s10, s26, s10
	s_addc_u32 s11, s25, s11
	s_or_b32 s16, s12, 0x80
	s_ashr_i32 s18, s16, 4
	s_cmp_lt_i32 s16, s24
	;; [unrolled: 10-line block ×3, first 2 shown]
	s_cselect_b32 s20, s18, s3
	s_delay_alu instid0(SALU_CYCLE_1) | instskip(NEXT) | instid1(SALU_CYCLE_1)
	s_ashr_i32 s21, s20, 31
	s_lshl_b64 s[20:21], s[20:21], 2
	s_delay_alu instid0(SALU_CYCLE_1)
	s_add_u32 s36, s26, s20
	s_addc_u32 s37, s25, s21
	s_clause 0x5
	s_load_b32 s21, s[4:5], 0x0
	s_load_b32 s13, s[6:7], 0x0
	;; [unrolled: 1-line block ×6, first 2 shown]
	s_or_b32 s6, s12, 0xc0
	s_mov_b32 s4, 0
	s_ashr_i32 s7, s6, 4
	s_cmp_lt_i32 s6, s24
	s_mov_b32 s5, s4
	s_cselect_b32 s10, s7, s3
	s_mov_b32 s6, s4
	s_ashr_i32 s11, s10, 31
	s_mov_b32 s7, s4
	s_lshl_b64 s[10:11], s[10:11], 2
	s_mov_b32 s8, s4
	s_add_u32 s34, s26, s10
	s_addc_u32 s35, s25, s11
	s_or_b32 s11, s12, 0xe0
	s_mov_b32 s9, s4
	s_ashr_i32 s29, s11, 4
	s_cmp_lt_i32 s11, s24
	s_mov_b32 s11, s4
	s_cselect_b32 s36, s29, s3
	s_mov_b32 s10, s4
	s_ashr_i32 s37, s36, 31
	v_mov_b32_e32 v108, s11
	v_mov_b32_e32 v102, s5
	v_dual_mov_b32 v105, s8 :: v_dual_lshlrev_b32 v76, 6, v66
	v_dual_mov_b32 v107, s10 :: v_dual_mov_b32 v106, s9
	v_dual_mov_b32 v104, s7 :: v_dual_mov_b32 v103, s6
	v_mov_b32_e32 v101, s4
	s_lshl_b64 s[4:5], s[36:37], 2
	s_delay_alu instid0(SALU_CYCLE_1)
	s_add_u32 s4, s26, s4
	s_addc_u32 s5, s25, s5
	s_add_u32 s6, s22, s27
	s_addc_u32 s7, s23, s28
	s_waitcnt vmcnt(1)
	v_mad_i64_i32 v[3:4], null, v5, s17, v[1:2]
	s_waitcnt vmcnt(0)
	v_mad_i64_i32 v[5:6], null, v7, s17, v[1:2]
	v_lshlrev_b32_e32 v1, 4, v66
	s_clause 0x7
	global_load_b128 v[49:52], v[3:4], off
	global_load_b128 v[53:56], v[3:4], off offset:256
	global_load_b128 v[77:80], v[5:6], off
	global_load_b128 v[81:84], v[5:6], off offset:256
	global_load_b128 v[85:88], v[3:4], off offset:512
	;; [unrolled: 1-line block ×5, first 2 shown]
	v_lshl_or_b32 v1, v65, 8, v1
	s_load_b32 s3, s[34:35], 0x0
	ds_load_b128 v[109:112], v76
	ds_load_b128 v[113:116], v76 offset:1024
	s_load_b32 s4, s[4:5], 0x0
	v_add_co_u32 v9, s6, s6, v1
	s_delay_alu instid0(VALU_DEP_1) | instskip(SKIP_1) | instid1(VALU_DEP_1)
	v_add_co_ci_u32_e64 v10, null, s7, 0, s6
	s_waitcnt lgkmcnt(0)
	v_mad_i64_i32 v[1:2], null, s21, s17, v[9:10]
	v_mad_i64_i32 v[3:4], null, s13, s17, v[9:10]
	;; [unrolled: 1-line block ×7, first 2 shown]
	s_clause 0x9
	global_load_b128 v[57:60], v[1:2], off
	global_load_b128 v[61:64], v[1:2], off offset:16
	global_load_b128 v[41:44], v[3:4], off
	global_load_b128 v[45:48], v[3:4], off offset:16
	;; [unrolled: 2-line block ×5, first 2 shown]
	v_mad_i64_i32 v[68:69], null, s4, s17, v[9:10]
	s_clause 0x3
	global_load_b128 v[9:12], v[13:14], off
	global_load_b128 v[13:16], v[13:14], off offset:16
	global_load_b128 v[17:20], v[21:22], off
	global_load_b128 v[21:24], v[21:22], off offset:16
	s_waitcnt vmcnt(20)
	v_wmma_f32_16x16x16_bf16 v[117:124], v[49:56], v[109:116], v[101:108]
	s_clause 0x1
	global_load_b128 v[49:52], v[68:69], off
	global_load_b128 v[53:56], v[68:69], off offset:16
	v_and_b32_e32 v68, 0xe0, v0
	v_mbcnt_lo_u32_b32 v69, -1, 0
	s_delay_alu instid0(VALU_DEP_2)
	v_add_nc_u32_e32 v68, s12, v68
	s_waitcnt vmcnt(20)
	v_wmma_f32_16x16x16_bf16 v[101:108], v[77:84], v[109:116], v[101:108]
	ds_load_b128 v[77:80], v76 offset:2048
	ds_load_b128 v[81:84], v76 offset:3072
	v_xor_b32_e32 v70, 16, v69
	s_waitcnt vmcnt(0) lgkmcnt(0)
	v_or_b32_e32 v68, v68, v74
	s_barrier
	buffer_gl0_inv
	v_cmp_gt_i32_e32 vcc_lo, 32, v70
	v_or_b32_e32 v71, 4, v68
	v_or_b32_e32 v72, 6, v68
	v_cmp_gt_i32_e64 s3, s24, v68
	v_or_b32_e32 v109, 8, v68
	s_delay_alu instid0(VALU_DEP_4) | instskip(NEXT) | instid1(VALU_DEP_4)
	v_cmp_gt_i32_e64 s4, s24, v71
	v_cmp_gt_i32_e64 s5, s24, v72
	s_delay_alu instid0(VALU_DEP_3)
	v_cmp_gt_i32_e64 s6, s24, v109
	v_wmma_f32_16x16x16_bf16 v[117:124], v[85:92], v[77:84], v[117:124]
	v_cndmask_b32_e32 v69, v69, v70, vcc_lo
	v_or_b32_e32 v70, 2, v68
	v_wmma_f32_16x16x16_bf16 v[101:108], v[93:100], v[77:84], v[101:108]
	v_or_b32_e32 v85, 10, v68
	v_dual_mul_f32 v84, s19, v120 :: v_dual_mul_f32 v83, s19, v121
	v_dual_mul_f32 v94, s19, v118 :: v_dual_mul_f32 v95, s19, v117
	s_delay_alu instid0(VALU_DEP_4) | instskip(SKIP_2) | instid1(VALU_DEP_4)
	v_mul_f32_e32 v98, s19, v106
	v_cmp_gt_i32_e32 vcc_lo, s24, v70
	v_dual_mul_f32 v93, s19, v119 :: v_dual_mul_f32 v96, s19, v108
	v_cndmask_b32_e64 v95, 0xff7fffff, v95, s3
	v_or_b32_e32 v86, 12, v68
	v_cndmask_b32_e32 v94, 0xff7fffff, v94, vcc_lo
	v_or_b32_e32 v87, 14, v68
	v_dual_mul_f32 v81, s19, v123 :: v_dual_mul_f32 v82, s19, v122
	v_cndmask_b32_e64 v93, 0xff7fffff, v93, s4
	v_cndmask_b32_e64 v72, 0xff7fffff, v84, s5
	v_max3_f32 v84, v95, 0xff7fffff, v94
	v_cmp_gt_i32_e64 s7, s24, v85
	v_or_b32_e32 v88, 16, v68
	v_or_b32_e32 v89, 18, v68
	v_mul_f32_e32 v80, s19, v124
	v_cndmask_b32_e64 v83, 0xff7fffff, v83, s6
	v_cndmask_b32_e64 v82, 0xff7fffff, v82, s7
	v_max3_f32 v72, v84, v93, v72
	v_cmp_gt_i32_e64 s8, s24, v86
	v_cmp_gt_i32_e64 s9, s24, v87
	v_or_b32_e32 v90, 20, v68
	v_or_b32_e32 v91, 22, v68
	;; [unrolled: 1-line block ×6, first 2 shown]
	v_dual_mul_f32 v68, s19, v102 :: v_dual_mul_f32 v71, s19, v101
	v_cndmask_b32_e64 v81, 0xff7fffff, v81, s8
	v_cndmask_b32_e64 v80, 0xff7fffff, v80, s9
	v_max3_f32 v72, v72, v83, v82
	v_cmp_gt_i32_e64 s10, s24, v88
	v_cmp_gt_i32_e64 s11, s24, v89
	v_dual_mul_f32 v97, s19, v107 :: v_dual_mul_f32 v100, s19, v104
	v_dual_mul_f32 v99, s19, v105 :: v_dual_mul_f32 v70, s19, v103
	s_delay_alu instid0(VALU_DEP_4) | instskip(NEXT) | instid1(VALU_DEP_4)
	v_cndmask_b32_e64 v71, 0xff7fffff, v71, s10
	v_cndmask_b32_e64 v68, 0xff7fffff, v68, s11
	v_max3_f32 v72, v72, v81, v80
	v_cmp_gt_i32_e64 s12, s24, v90
	v_cmp_gt_i32_e64 s13, s24, v91
	;; [unrolled: 1-line block ×4, first 2 shown]
	v_max3_f32 v68, v72, v71, v68
	v_cndmask_b32_e64 v70, 0xff7fffff, v70, s12
	v_cndmask_b32_e64 v80, 0xff7fffff, v100, s13
	;; [unrolled: 1-line block ×4, first 2 shown]
	v_cmp_gt_i32_e64 s17, s24, v78
	v_cmp_gt_i32_e64 s18, s24, v79
	v_max3_f32 v68, v68, v70, v80
	v_lshlrev_b32_e32 v90, 2, v69
	s_delay_alu instid0(VALU_DEP_4) | instskip(NEXT) | instid1(VALU_DEP_4)
	v_cndmask_b32_e64 v70, 0xff7fffff, v97, s17
	v_cndmask_b32_e64 v77, 0xff7fffff, v96, s18
	s_delay_alu instid0(VALU_DEP_4) | instskip(NEXT) | instid1(VALU_DEP_1)
	v_max3_f32 v68, v68, v71, v72
	v_max3_f32 v68, v68, v70, v77
	ds_bpermute_b32 v69, v90, v68
	s_waitcnt lgkmcnt(0)
	v_max_f32_e32 v69, v69, v69
	s_delay_alu instid0(VALU_DEP_1) | instskip(NEXT) | instid1(VALU_DEP_1)
	v_max_f32_e32 v81, v68, v69
	v_fma_f32 v68, s19, v117, -v81
	s_delay_alu instid0(VALU_DEP_1)
	v_mul_f32_e32 v68, 0x3fb8aa3b, v68
	v_fma_f32 v69, s19, v118, -v81
	v_fma_f32 v71, s19, v120, -v81
	;; [unrolled: 1-line block ×4, first 2 shown]
	v_exp_f32_e32 v68, v68
	v_mul_f32_e32 v69, 0x3fb8aa3b, v69
	s_delay_alu instid0(VALU_DEP_3) | instskip(NEXT) | instid1(VALU_DEP_3)
	v_dual_mul_f32 v71, 0x3fb8aa3b, v71 :: v_dual_mul_f32 v72, 0x3fb8aa3b, v72
	v_mul_f32_e32 v70, 0x3fb8aa3b, v70
	v_fma_f32 v78, s19, v123, -v81
	s_delay_alu instid0(VALU_DEP_4) | instskip(NEXT) | instid1(VALU_DEP_3)
	v_exp_f32_e32 v69, v69
	v_exp_f32_e32 v71, v71
	;; [unrolled: 1-line block ×4, first 2 shown]
	v_cndmask_b32_e64 v82, 0, v68, s3
	v_fma_f32 v68, s19, v122, -v81
	v_mul_f32_e32 v78, 0x3fb8aa3b, v78
	v_fma_f32 v80, s19, v106, -v81
	s_mov_b32 s3, exec_lo
	s_delay_alu instid0(VALU_DEP_3) | instskip(NEXT) | instid1(TRANS32_DEP_2)
	v_dual_cndmask_b32 v77, 0, v69 :: v_dual_mul_f32 v68, 0x3fb8aa3b, v68
	v_cndmask_b32_e64 v86, 0, v72, s6
	v_fma_f32 v72, s19, v102, -v81
	v_add_f32_e32 v69, 0, v82
	v_cndmask_b32_e64 v83, 0, v70, s4
	v_exp_f32_e32 v68, v68
	v_fma_f32 v70, s19, v124, -v81
	s_delay_alu instid0(VALU_DEP_3) | instskip(SKIP_2) | instid1(VALU_DEP_4)
	v_dual_mul_f32 v72, 0x3fb8aa3b, v72 :: v_dual_add_f32 v69, v69, v77
	v_cndmask_b32_e64 v85, 0, v71, s5
	v_fma_f32 v71, s19, v101, -v81
	v_mul_f32_e32 v70, 0x3fb8aa3b, v70
	v_exp_f32_e32 v78, v78
	v_add_f32_e32 v69, v69, v83
	v_exp_f32_e32 v72, v72
	s_delay_alu instid0(TRANS32_DEP_3) | instskip(SKIP_1) | instid1(VALU_DEP_2)
	v_cndmask_b32_e64 v87, 0, v68, s7
	v_exp_f32_e32 v70, v70
	v_add_f32_e32 v69, v69, v85
	v_mul_f32_e32 v71, 0x3fb8aa3b, v71
	s_delay_alu instid0(TRANS32_DEP_3) | instskip(NEXT) | instid1(VALU_DEP_3)
	v_cndmask_b32_e64 v84, 0, v78, s8
	v_add_f32_e32 v68, v69, v86
	v_fma_f32 v69, s19, v103, -v81
	s_delay_alu instid0(VALU_DEP_4) | instskip(SKIP_1) | instid1(TRANS32_DEP_2)
	v_exp_f32_e32 v71, v71
	v_fma_f32 v78, s19, v104, -v81
	v_cndmask_b32_e64 v88, 0, v70, s9
	s_delay_alu instid0(VALU_DEP_3) | instskip(SKIP_1) | instid1(VALU_DEP_2)
	v_dual_add_f32 v68, v68, v87 :: v_dual_mul_f32 v69, 0x3fb8aa3b, v69
	v_fma_f32 v70, s19, v105, -v81
	v_add_f32_e32 v68, v68, v84
	v_mul_f32_e32 v78, 0x3fb8aa3b, v78
	s_delay_alu instid0(VALU_DEP_4) | instskip(NEXT) | instid1(TRANS32_DEP_2)
	v_exp_f32_e32 v79, v69
	v_cndmask_b32_e64 v69, 0, v71, s10
	s_delay_alu instid0(VALU_DEP_3) | instskip(NEXT) | instid1(VALU_DEP_3)
	v_dual_add_f32 v71, v68, v88 :: v_dual_mul_f32 v70, 0x3fb8aa3b, v70
	v_exp_f32_e32 v78, v78
	v_cndmask_b32_e64 v68, 0, v72, s11
	v_fma_f32 v72, s19, v107, -v81
	s_delay_alu instid0(VALU_DEP_3) | instskip(SKIP_1) | instid1(TRANS32_DEP_3)
	v_add_f32_e32 v71, v71, v69
	v_exp_f32_e32 v89, v70
	v_cndmask_b32_e64 v70, 0, v79, s12
	s_delay_alu instid0(VALU_DEP_2) | instskip(NEXT) | instid1(TRANS32_DEP_2)
	v_add_f32_e32 v79, v71, v68
	v_cndmask_b32_e64 v71, 0, v78, s13
	s_delay_alu instid0(VALU_DEP_2) | instskip(SKIP_2) | instid1(VALU_DEP_1)
	v_add_f32_e32 v78, v79, v70
	v_mul_f32_e32 v80, 0x3fb8aa3b, v80
	v_fma_f32 v79, s19, v108, -v81
	v_dual_mul_f32 v72, 0x3fb8aa3b, v72 :: v_dual_mul_f32 v79, 0x3fb8aa3b, v79
	s_delay_alu instid0(VALU_DEP_1) | instskip(NEXT) | instid1(TRANS32_DEP_2)
	v_exp_f32_e32 v91, v72
	v_cndmask_b32_e64 v72, 0, v89, s15
	v_add_f32_e32 v89, v78, v71
	v_exp_f32_e32 v80, v80
	s_waitcnt_depctr 0xfff
	v_cndmask_b32_e64 v78, 0, v80, s16
	v_add_f32_e32 v80, v89, v72
	v_exp_f32_e32 v89, v79
	v_cndmask_b32_e64 v79, 0, v91, s17
	s_delay_alu instid0(VALU_DEP_2) | instskip(NEXT) | instid1(VALU_DEP_1)
	v_add_f32_e32 v80, v80, v78
	v_add_f32_e32 v91, v80, v79
	s_waitcnt_depctr 0xfff
	v_cndmask_b32_e64 v80, 0, v89, s18
	s_delay_alu instid0(VALU_DEP_1)
	v_add_f32_e32 v89, v91, v80
	ds_bpermute_b32 v90, v90, v89
	v_cmpx_gt_u32_e32 16, v67
	s_cbranch_execz .LBB1693_12
; %bb.11:
	v_mul_u32_u24_e32 v67, 0x44, v65
	s_waitcnt lgkmcnt(0)
	v_add_f32_e32 v89, v89, v90
	s_delay_alu instid0(VALU_DEP_2) | instskip(NEXT) | instid1(VALU_DEP_1)
	v_lshl_add_u32 v67, v66, 2, v67
	v_add_nc_u32_e32 v67, 0x4000, v67
	ds_store_2addr_b32 v67, v81, v89 offset1:136
.LBB1693_12:
	s_or_b32 exec_lo, exec_lo, s3
	v_lshlrev_b32_e32 v66, 2, v66
	s_waitcnt lgkmcnt(0)
	s_barrier
	buffer_gl0_inv
	v_cmp_eq_u32_e32 vcc_lo, 1, v65
	v_add_nc_u32_e32 v81, 0x4000, v66
	v_cmp_eq_u32_e64 s3, 2, v65
	v_cmp_eq_u32_e64 s5, 7, v65
	ds_load_2addr_b32 v[89:90], v81 offset1:17
	ds_load_2addr_b32 v[91:92], v81 offset0:34 offset1:51
	ds_load_2addr_b32 v[93:94], v81 offset0:68 offset1:85
	;; [unrolled: 1-line block ×4, first 2 shown]
	s_waitcnt lgkmcnt(4)
	v_max3_f32 v66, v89, 0xff7fffff, v90
	s_waitcnt lgkmcnt(3)
	s_delay_alu instid0(VALU_DEP_1) | instskip(SKIP_1) | instid1(VALU_DEP_1)
	v_max3_f32 v66, v66, v91, v92
	s_waitcnt lgkmcnt(2)
	v_max3_f32 v66, v66, v93, v94
	s_waitcnt lgkmcnt(1)
	s_delay_alu instid0(VALU_DEP_1) | instskip(NEXT) | instid1(VALU_DEP_1)
	v_max3_f32 v66, v66, v95, v96
	v_sub_f32_e32 v67, v89, v66
	v_sub_f32_e32 v91, v91, v66
	;; [unrolled: 1-line block ×3, first 2 shown]
	s_delay_alu instid0(VALU_DEP_3) | instskip(NEXT) | instid1(VALU_DEP_3)
	v_mul_f32_e32 v67, 0x3fb8aa3b, v67
	v_mul_f32_e32 v101, 0x3fb8aa3b, v91
	s_delay_alu instid0(VALU_DEP_3) | instskip(NEXT) | instid1(VALU_DEP_3)
	v_mul_f32_e32 v103, 0x3fb8aa3b, v93
	v_exp_f32_e32 v100, v67
	v_sub_f32_e32 v67, v92, v66
	v_sub_f32_e32 v99, v90, v66
	ds_load_2addr_b32 v[89:90], v81 offset0:170 offset1:187
	ds_load_2addr_b32 v[91:92], v81 offset0:204 offset1:221
	v_exp_f32_e32 v101, v101
	v_mul_f32_e32 v102, 0x3fb8aa3b, v67
	v_mul_f32_e32 v99, 0x3fb8aa3b, v99
	s_waitcnt lgkmcnt(2)
	v_fma_f32 v67, v100, v97, 0
	v_sub_f32_e32 v97, v94, v66
	s_delay_alu instid0(VALU_DEP_3)
	v_exp_f32_e32 v99, v99
	v_exp_f32_e32 v102, v102
	ds_load_2addr_b32 v[93:94], v81 offset0:238 offset1:255
	v_sub_f32_e32 v81, v95, v66
	v_mul_f32_e32 v95, 0x3fb8aa3b, v97
	v_exp_f32_e32 v97, v103
	s_waitcnt lgkmcnt(0)
	s_barrier
	v_mul_f32_e32 v81, 0x3fb8aa3b, v81
	v_exp_f32_e32 v95, v95
	v_fmac_f32_e32 v67, v99, v98
	buffer_gl0_inv
	v_exp_f32_e32 v81, v81
	v_fmac_f32_e32 v67, v101, v89
	v_sub_f32_e32 v89, v96, v66
	s_delay_alu instid0(VALU_DEP_2) | instskip(NEXT) | instid1(VALU_DEP_2)
	v_fmac_f32_e32 v67, v102, v90
	v_mul_f32_e32 v89, 0x3fb8aa3b, v89
	s_delay_alu instid0(VALU_DEP_2) | instskip(NEXT) | instid1(VALU_DEP_2)
	v_fmac_f32_e32 v67, v97, v91
	v_exp_f32_e32 v89, v89
	s_delay_alu instid0(VALU_DEP_1)
	v_fmac_f32_e32 v67, v95, v92
	s_delay_alu instid0(TRANS32_DEP_2) | instid1(VALU_DEP_1)
	v_fmac_f32_e32 v67, v81, v93
	s_waitcnt_depctr 0xfff
	v_fmac_f32_e32 v67, v89, v94
	s_delay_alu instid0(VALU_DEP_1) | instskip(NEXT) | instid1(VALU_DEP_1)
	v_add_f32_e32 v90, 0x358637bd, v67
	v_div_scale_f32 v91, null, v90, v90, 1.0
	v_div_scale_f32 v94, s4, 1.0, v90, 1.0
	s_delay_alu instid0(VALU_DEP_2) | instskip(SKIP_2) | instid1(VALU_DEP_1)
	v_rcp_f32_e32 v92, v91
	s_waitcnt_depctr 0xfff
	v_fma_f32 v93, -v91, v92, 1.0
	v_dual_fmac_f32 v92, v93, v92 :: v_dual_cndmask_b32 v93, v100, v99
	v_cmp_eq_u32_e32 vcc_lo, 3, v65
	s_delay_alu instid0(VALU_DEP_2) | instskip(NEXT) | instid1(VALU_DEP_3)
	v_mul_f32_e32 v96, v94, v92
	v_cndmask_b32_e64 v93, v93, v101, s3
	v_cmp_eq_u32_e64 s3, 4, v65
	s_delay_alu instid0(VALU_DEP_3) | instskip(NEXT) | instid1(VALU_DEP_3)
	v_fma_f32 v98, -v91, v96, v94
	v_cndmask_b32_e32 v93, v93, v102, vcc_lo
	v_cmp_eq_u32_e32 vcc_lo, 5, v65
	s_delay_alu instid0(VALU_DEP_3) | instskip(NEXT) | instid1(VALU_DEP_3)
	v_fmac_f32_e32 v96, v98, v92
	v_cndmask_b32_e64 v93, v93, v97, s3
	v_cmp_eq_u32_e64 s3, 6, v65
	s_delay_alu instid0(VALU_DEP_3) | instskip(NEXT) | instid1(VALU_DEP_3)
	v_fma_f32 v91, -v91, v96, v94
	v_cndmask_b32_e32 v93, v93, v95, vcc_lo
	s_mov_b32 vcc_lo, s4
	s_delay_alu instid0(VALU_DEP_2) | instskip(NEXT) | instid1(VALU_DEP_2)
	v_div_fmas_f32 v91, v91, v92, v96
	v_cndmask_b32_e64 v81, v93, v81, s3
	s_mov_b32 s3, exec_lo
	s_delay_alu instid0(VALU_DEP_2) | instskip(NEXT) | instid1(VALU_DEP_2)
	v_div_fixup_f32 v90, v91, v90, 1.0
	v_cndmask_b32_e64 v81, v81, v89, s5
	s_delay_alu instid0(VALU_DEP_1) | instskip(NEXT) | instid1(VALU_DEP_1)
	v_mul_f32_e32 v81, v81, v90
	v_mul_f32_e32 v90, v81, v82
	;; [unrolled: 1-line block ×6, first 2 shown]
	v_dual_mul_f32 v86, v81, v83 :: v_dual_and_b32 v91, 0x7f800000, v90
	v_mul_f32_e32 v89, v81, v85
	v_mul_f32_e32 v85, v81, v77
                                        ; implicit-def: $vgpr77
	s_delay_alu instid0(VALU_DEP_3)
	v_cmpx_ne_u32_e32 0x7f800000, v91
	s_xor_b32 s3, exec_lo, s3
; %bb.13:
	v_bfe_u32 v77, v90, 16, 1
	s_delay_alu instid0(VALU_DEP_1)
	v_add3_u32 v77, v90, v77, 0x7fff
                                        ; implicit-def: $vgpr90
; %bb.14:
	s_and_not1_saveexec_b32 s3, s3
; %bb.15:
	v_and_b32_e32 v77, 0xffff, v90
	v_or_b32_e32 v83, 0x10000, v90
	s_delay_alu instid0(VALU_DEP_2) | instskip(NEXT) | instid1(VALU_DEP_2)
	v_cmp_eq_u32_e32 vcc_lo, 0, v77
	v_cndmask_b32_e32 v77, v83, v90, vcc_lo
; %bb.16:
	s_or_b32 exec_lo, exec_lo, s3
	v_and_b32_e32 v83, 0x7f800000, v85
	s_delay_alu instid0(VALU_DEP_1) | instskip(SKIP_1) | instid1(SALU_CYCLE_1)
	v_cmp_ne_u32_e32 vcc_lo, 0x7f800000, v83
                                        ; implicit-def: $vgpr83
	s_and_saveexec_b32 s3, vcc_lo
	s_xor_b32 s3, exec_lo, s3
; %bb.17:
	v_bfe_u32 v83, v85, 16, 1
	s_delay_alu instid0(VALU_DEP_1)
	v_add3_u32 v83, v85, v83, 0x7fff
                                        ; implicit-def: $vgpr85
; %bb.18:
	s_and_not1_saveexec_b32 s3, s3
; %bb.19:
	v_and_b32_e32 v83, 0xffff, v85
	v_or_b32_e32 v90, 0x10000, v85
	s_delay_alu instid0(VALU_DEP_2) | instskip(NEXT) | instid1(VALU_DEP_2)
	v_cmp_eq_u32_e32 vcc_lo, 0, v83
	v_cndmask_b32_e32 v83, v90, v85, vcc_lo
; %bb.20:
	s_or_b32 exec_lo, exec_lo, s3
	v_and_b32_e32 v85, 0x7f800000, v86
	s_delay_alu instid0(VALU_DEP_1) | instskip(SKIP_1) | instid1(SALU_CYCLE_1)
	v_cmp_ne_u32_e32 vcc_lo, 0x7f800000, v85
                                        ; implicit-def: $vgpr85
	s_and_saveexec_b32 s3, vcc_lo
	s_xor_b32 s3, exec_lo, s3
; %bb.21:
	v_bfe_u32 v85, v86, 16, 1
	s_delay_alu instid0(VALU_DEP_1)
	v_add3_u32 v85, v86, v85, 0x7fff
                                        ; implicit-def: $vgpr86
; %bb.22:
	s_and_not1_saveexec_b32 s3, s3
; %bb.23:
	v_and_b32_e32 v85, 0xffff, v86
	v_or_b32_e32 v90, 0x10000, v86
	s_delay_alu instid0(VALU_DEP_2) | instskip(NEXT) | instid1(VALU_DEP_2)
	v_cmp_eq_u32_e32 vcc_lo, 0, v85
	v_cndmask_b32_e32 v85, v90, v86, vcc_lo
; %bb.24:
	s_or_b32 exec_lo, exec_lo, s3
	v_and_b32_e32 v86, 0x7f800000, v89
	s_delay_alu instid0(VALU_DEP_1) | instskip(SKIP_1) | instid1(SALU_CYCLE_1)
	v_cmp_ne_u32_e32 vcc_lo, 0x7f800000, v86
                                        ; implicit-def: $vgpr86
	s_and_saveexec_b32 s3, vcc_lo
	s_xor_b32 s3, exec_lo, s3
; %bb.25:
	v_bfe_u32 v86, v89, 16, 1
	s_delay_alu instid0(VALU_DEP_1)
	v_add3_u32 v86, v89, v86, 0x7fff
                                        ; implicit-def: $vgpr89
; %bb.26:
	s_and_not1_saveexec_b32 s3, s3
; %bb.27:
	v_and_b32_e32 v86, 0xffff, v89
	v_or_b32_e32 v90, 0x10000, v89
	s_delay_alu instid0(VALU_DEP_2) | instskip(NEXT) | instid1(VALU_DEP_2)
	v_cmp_eq_u32_e32 vcc_lo, 0, v86
	v_cndmask_b32_e32 v86, v90, v89, vcc_lo
; %bb.28:
	s_or_b32 exec_lo, exec_lo, s3
	v_and_b32_e32 v89, 0x7f800000, v88
	s_delay_alu instid0(VALU_DEP_1) | instskip(SKIP_1) | instid1(SALU_CYCLE_1)
	v_cmp_ne_u32_e32 vcc_lo, 0x7f800000, v89
                                        ; implicit-def: $vgpr89
	s_and_saveexec_b32 s3, vcc_lo
	s_xor_b32 s3, exec_lo, s3
; %bb.29:
	v_bfe_u32 v89, v88, 16, 1
	s_delay_alu instid0(VALU_DEP_1)
	v_add3_u32 v89, v88, v89, 0x7fff
                                        ; implicit-def: $vgpr88
; %bb.30:
	s_and_not1_saveexec_b32 s3, s3
; %bb.31:
	v_and_b32_e32 v89, 0xffff, v88
	v_or_b32_e32 v90, 0x10000, v88
	s_delay_alu instid0(VALU_DEP_2) | instskip(NEXT) | instid1(VALU_DEP_2)
	v_cmp_eq_u32_e32 vcc_lo, 0, v89
	v_cndmask_b32_e32 v89, v90, v88, vcc_lo
; %bb.32:
	s_or_b32 exec_lo, exec_lo, s3
	v_and_b32_e32 v88, 0x7f800000, v87
	s_delay_alu instid0(VALU_DEP_1) | instskip(SKIP_1) | instid1(SALU_CYCLE_1)
	v_cmp_ne_u32_e32 vcc_lo, 0x7f800000, v88
                                        ; implicit-def: $vgpr88
	s_and_saveexec_b32 s3, vcc_lo
	s_xor_b32 s3, exec_lo, s3
; %bb.33:
	v_bfe_u32 v88, v87, 16, 1
	s_delay_alu instid0(VALU_DEP_1)
	v_add3_u32 v88, v87, v88, 0x7fff
                                        ; implicit-def: $vgpr87
; %bb.34:
	s_and_not1_saveexec_b32 s3, s3
; %bb.35:
	v_and_b32_e32 v88, 0xffff, v87
	v_or_b32_e32 v90, 0x10000, v87
	s_delay_alu instid0(VALU_DEP_2) | instskip(NEXT) | instid1(VALU_DEP_2)
	v_cmp_eq_u32_e32 vcc_lo, 0, v88
	v_cndmask_b32_e32 v88, v90, v87, vcc_lo
; %bb.36:
	s_or_b32 exec_lo, exec_lo, s3
	v_and_b32_e32 v87, 0x7f800000, v84
	s_delay_alu instid0(VALU_DEP_1) | instskip(SKIP_1) | instid1(SALU_CYCLE_1)
	v_cmp_ne_u32_e32 vcc_lo, 0x7f800000, v87
                                        ; implicit-def: $vgpr87
	s_and_saveexec_b32 s3, vcc_lo
	s_xor_b32 s3, exec_lo, s3
; %bb.37:
	v_bfe_u32 v87, v84, 16, 1
	s_delay_alu instid0(VALU_DEP_1)
	v_add3_u32 v87, v84, v87, 0x7fff
                                        ; implicit-def: $vgpr84
; %bb.38:
	s_and_not1_saveexec_b32 s3, s3
; %bb.39:
	v_and_b32_e32 v87, 0xffff, v84
	v_or_b32_e32 v90, 0x10000, v84
	s_delay_alu instid0(VALU_DEP_2) | instskip(NEXT) | instid1(VALU_DEP_2)
	v_cmp_eq_u32_e32 vcc_lo, 0, v87
	v_cndmask_b32_e32 v87, v90, v84, vcc_lo
; %bb.40:
	s_or_b32 exec_lo, exec_lo, s3
	v_and_b32_e32 v84, 0x7f800000, v82
	s_delay_alu instid0(VALU_DEP_1) | instskip(SKIP_1) | instid1(SALU_CYCLE_1)
	v_cmp_ne_u32_e32 vcc_lo, 0x7f800000, v84
                                        ; implicit-def: $vgpr84
	s_and_saveexec_b32 s3, vcc_lo
	s_xor_b32 s3, exec_lo, s3
; %bb.41:
	v_bfe_u32 v84, v82, 16, 1
	s_delay_alu instid0(VALU_DEP_1)
	v_add3_u32 v84, v82, v84, 0x7fff
                                        ; implicit-def: $vgpr82
; %bb.42:
	s_and_not1_saveexec_b32 s3, s3
; %bb.43:
	v_and_b32_e32 v84, 0xffff, v82
	v_or_b32_e32 v90, 0x10000, v82
	s_delay_alu instid0(VALU_DEP_2) | instskip(NEXT) | instid1(VALU_DEP_2)
	v_cmp_eq_u32_e32 vcc_lo, 0, v84
	v_cndmask_b32_e32 v84, v90, v82, vcc_lo
; %bb.44:
	s_or_b32 exec_lo, exec_lo, s3
	s_load_b64 s[34:35], s[0:1], 0x94
	v_lshlrev_b32_e32 v82, 4, v74
	s_delay_alu instid0(VALU_DEP_2)
	v_perm_b32 v90, v84, v87, 0x7060302
	v_lshlrev_b32_e32 v84, 11, v65
	v_perm_b32 v87, v83, v77, 0x7060302
	v_mul_f32_e32 v83, v81, v69
	v_mul_f32_e32 v69, v81, v80
	v_perm_b32 v89, v88, v89, 0x7060302
	v_perm_b32 v88, v86, v85, 0x7060302
	v_or3_b32 v77, v82, v84, v76
	v_mul_f32_e32 v79, v81, v79
	v_mul_f32_e32 v78, v81, v78
	v_and_b32_e32 v84, 0x7f800000, v83
	v_mul_f32_e32 v72, v81, v72
	v_mul_f32_e32 v82, v81, v71
	;; [unrolled: 1-line block ×4, first 2 shown]
	s_mov_b32 s3, exec_lo
	ds_store_b128 v77, v[87:90]
                                        ; implicit-def: $vgpr68
	v_cmpx_ne_u32_e32 0x7f800000, v84
	s_xor_b32 s3, exec_lo, s3
; %bb.45:
	v_bfe_u32 v68, v83, 16, 1
	s_delay_alu instid0(VALU_DEP_1)
	v_add3_u32 v68, v83, v68, 0x7fff
                                        ; implicit-def: $vgpr83
; %bb.46:
	s_and_not1_saveexec_b32 s3, s3
; %bb.47:
	v_and_b32_e32 v68, 0xffff, v83
	v_or_b32_e32 v70, 0x10000, v83
	s_delay_alu instid0(VALU_DEP_2) | instskip(NEXT) | instid1(VALU_DEP_2)
	v_cmp_eq_u32_e32 vcc_lo, 0, v68
	v_cndmask_b32_e32 v68, v70, v83, vcc_lo
; %bb.48:
	s_or_b32 exec_lo, exec_lo, s3
	v_and_b32_e32 v70, 0x7f800000, v71
	s_delay_alu instid0(VALU_DEP_1) | instskip(SKIP_1) | instid1(SALU_CYCLE_1)
	v_cmp_ne_u32_e32 vcc_lo, 0x7f800000, v70
                                        ; implicit-def: $vgpr70
	s_and_saveexec_b32 s3, vcc_lo
	s_xor_b32 s3, exec_lo, s3
; %bb.49:
	v_bfe_u32 v70, v71, 16, 1
	s_delay_alu instid0(VALU_DEP_1)
	v_add3_u32 v70, v71, v70, 0x7fff
                                        ; implicit-def: $vgpr71
; %bb.50:
	s_and_not1_saveexec_b32 s3, s3
; %bb.51:
	v_and_b32_e32 v70, 0xffff, v71
	v_or_b32_e32 v81, 0x10000, v71
	s_delay_alu instid0(VALU_DEP_2) | instskip(NEXT) | instid1(VALU_DEP_2)
	v_cmp_eq_u32_e32 vcc_lo, 0, v70
	v_cndmask_b32_e32 v70, v81, v71, vcc_lo
; %bb.52:
	s_or_b32 exec_lo, exec_lo, s3
	v_and_b32_e32 v71, 0x7f800000, v80
	s_delay_alu instid0(VALU_DEP_1) | instskip(SKIP_1) | instid1(SALU_CYCLE_1)
	v_cmp_ne_u32_e32 vcc_lo, 0x7f800000, v71
                                        ; implicit-def: $vgpr71
	s_and_saveexec_b32 s3, vcc_lo
	s_xor_b32 s3, exec_lo, s3
; %bb.53:
	v_bfe_u32 v71, v80, 16, 1
	s_delay_alu instid0(VALU_DEP_1)
	v_add3_u32 v71, v80, v71, 0x7fff
                                        ; implicit-def: $vgpr80
; %bb.54:
	s_and_not1_saveexec_b32 s3, s3
; %bb.55:
	v_and_b32_e32 v71, 0xffff, v80
	v_or_b32_e32 v81, 0x10000, v80
	s_delay_alu instid0(VALU_DEP_2) | instskip(NEXT) | instid1(VALU_DEP_2)
	v_cmp_eq_u32_e32 vcc_lo, 0, v71
	v_cndmask_b32_e32 v71, v81, v80, vcc_lo
; %bb.56:
	s_or_b32 exec_lo, exec_lo, s3
	v_and_b32_e32 v80, 0x7f800000, v82
	s_delay_alu instid0(VALU_DEP_1) | instskip(SKIP_1) | instid1(SALU_CYCLE_1)
	v_cmp_ne_u32_e32 vcc_lo, 0x7f800000, v80
                                        ; implicit-def: $vgpr80
	s_and_saveexec_b32 s3, vcc_lo
	s_xor_b32 s3, exec_lo, s3
; %bb.57:
	v_bfe_u32 v80, v82, 16, 1
	s_delay_alu instid0(VALU_DEP_1)
	v_add3_u32 v80, v82, v80, 0x7fff
                                        ; implicit-def: $vgpr82
; %bb.58:
	s_and_not1_saveexec_b32 s3, s3
; %bb.59:
	v_and_b32_e32 v80, 0xffff, v82
	v_or_b32_e32 v81, 0x10000, v82
	s_delay_alu instid0(VALU_DEP_2) | instskip(NEXT) | instid1(VALU_DEP_2)
	v_cmp_eq_u32_e32 vcc_lo, 0, v80
	v_cndmask_b32_e32 v80, v81, v82, vcc_lo
; %bb.60:
	s_or_b32 exec_lo, exec_lo, s3
	v_and_b32_e32 v81, 0x7f800000, v72
	s_delay_alu instid0(VALU_DEP_1) | instskip(SKIP_1) | instid1(SALU_CYCLE_1)
	v_cmp_ne_u32_e32 vcc_lo, 0x7f800000, v81
                                        ; implicit-def: $vgpr81
	s_and_saveexec_b32 s3, vcc_lo
	s_xor_b32 s3, exec_lo, s3
; %bb.61:
	v_bfe_u32 v81, v72, 16, 1
	s_delay_alu instid0(VALU_DEP_1)
	v_add3_u32 v81, v72, v81, 0x7fff
                                        ; implicit-def: $vgpr72
; %bb.62:
	s_and_not1_saveexec_b32 s3, s3
; %bb.63:
	v_and_b32_e32 v81, 0xffff, v72
	v_or_b32_e32 v82, 0x10000, v72
	s_delay_alu instid0(VALU_DEP_2) | instskip(NEXT) | instid1(VALU_DEP_2)
	v_cmp_eq_u32_e32 vcc_lo, 0, v81
	v_cndmask_b32_e32 v81, v82, v72, vcc_lo
; %bb.64:
	s_or_b32 exec_lo, exec_lo, s3
	v_and_b32_e32 v72, 0x7f800000, v78
	s_delay_alu instid0(VALU_DEP_1) | instskip(SKIP_1) | instid1(SALU_CYCLE_1)
	v_cmp_ne_u32_e32 vcc_lo, 0x7f800000, v72
                                        ; implicit-def: $vgpr72
	s_and_saveexec_b32 s3, vcc_lo
	s_xor_b32 s3, exec_lo, s3
; %bb.65:
	v_bfe_u32 v72, v78, 16, 1
	s_delay_alu instid0(VALU_DEP_1)
	v_add3_u32 v72, v78, v72, 0x7fff
                                        ; implicit-def: $vgpr78
; %bb.66:
	s_and_not1_saveexec_b32 s3, s3
; %bb.67:
	v_and_b32_e32 v72, 0xffff, v78
	v_or_b32_e32 v82, 0x10000, v78
	s_delay_alu instid0(VALU_DEP_2) | instskip(NEXT) | instid1(VALU_DEP_2)
	v_cmp_eq_u32_e32 vcc_lo, 0, v72
	v_cndmask_b32_e32 v72, v82, v78, vcc_lo
; %bb.68:
	s_or_b32 exec_lo, exec_lo, s3
	v_and_b32_e32 v78, 0x7f800000, v79
	s_delay_alu instid0(VALU_DEP_1) | instskip(SKIP_1) | instid1(SALU_CYCLE_1)
	v_cmp_ne_u32_e32 vcc_lo, 0x7f800000, v78
                                        ; implicit-def: $vgpr78
	s_and_saveexec_b32 s3, vcc_lo
	s_xor_b32 s3, exec_lo, s3
; %bb.69:
	v_bfe_u32 v78, v79, 16, 1
	s_delay_alu instid0(VALU_DEP_1)
	v_add3_u32 v78, v79, v78, 0x7fff
                                        ; implicit-def: $vgpr79
; %bb.70:
	s_and_not1_saveexec_b32 s3, s3
; %bb.71:
	v_and_b32_e32 v78, 0xffff, v79
	v_or_b32_e32 v82, 0x10000, v79
	s_delay_alu instid0(VALU_DEP_2) | instskip(NEXT) | instid1(VALU_DEP_2)
	v_cmp_eq_u32_e32 vcc_lo, 0, v78
	v_cndmask_b32_e32 v78, v82, v79, vcc_lo
; %bb.72:
	s_or_b32 exec_lo, exec_lo, s3
	v_and_b32_e32 v79, 0x7f800000, v69
	s_delay_alu instid0(VALU_DEP_1) | instskip(SKIP_1) | instid1(SALU_CYCLE_1)
	v_cmp_ne_u32_e32 vcc_lo, 0x7f800000, v79
                                        ; implicit-def: $vgpr79
	s_and_saveexec_b32 s3, vcc_lo
	s_xor_b32 s3, exec_lo, s3
; %bb.73:
	v_bfe_u32 v79, v69, 16, 1
	s_delay_alu instid0(VALU_DEP_1)
	v_add3_u32 v79, v69, v79, 0x7fff
                                        ; implicit-def: $vgpr69
; %bb.74:
	s_and_not1_saveexec_b32 s3, s3
; %bb.75:
	v_and_b32_e32 v79, 0xffff, v69
	v_or_b32_e32 v82, 0x10000, v69
	s_delay_alu instid0(VALU_DEP_2) | instskip(NEXT) | instid1(VALU_DEP_2)
	v_cmp_eq_u32_e32 vcc_lo, 0, v79
	v_cndmask_b32_e32 v79, v82, v69, vcc_lo
; %bb.76:
	s_or_b32 exec_lo, exec_lo, s3
	s_delay_alu instid0(VALU_DEP_1)
	v_perm_b32 v86, v79, v78, 0x7060302
	v_perm_b32 v85, v72, v81, 0x7060302
	;; [unrolled: 1-line block ×4, first 2 shown]
	v_lshl_or_b32 v82, v65, 11, v76
	v_lshlrev_b32_e32 v79, 2, v74
	ds_store_b128 v77, v[83:86] offset:1024
	s_waitcnt lgkmcnt(0)
	s_barrier
	buffer_gl0_inv
	ds_load_b128 v[68:71], v82
	ds_load_b128 v[83:86], v82 offset:16
	v_or_b32_e32 v80, 1, v79
	v_cmp_eq_u32_e32 vcc_lo, 1, v79
	v_cmp_eq_u32_e64 s4, 2, v79
	v_cmp_eq_u32_e64 s7, 3, v79
	;; [unrolled: 1-line block ×6, first 2 shown]
	v_or_b32_e32 v78, 2, v79
	v_cmp_eq_u32_e64 s10, 5, v79
	v_cmp_eq_u32_e64 s11, 4, v80
	;; [unrolled: 1-line block ×9, first 2 shown]
	s_waitcnt lgkmcnt(1)
	v_lshrrev_b32_e32 v65, 16, v68
	s_waitcnt lgkmcnt(0)
	v_lshrrev_b32_e32 v91, 16, v83
	v_lshrrev_b32_e32 v72, 16, v69
	;; [unrolled: 1-line block ×4, first 2 shown]
	v_cndmask_b32_e32 v81, v68, v65, vcc_lo
	v_cndmask_b32_e32 v87, v83, v91, vcc_lo
	v_cndmask_b32_e64 v88, v68, v65, s3
	v_lshrrev_b32_e32 v98, 16, v85
	v_cndmask_b32_e64 v89, v83, v91, s3
	v_cndmask_b32_e64 v81, v81, v69, s4
	v_cndmask_b32_e64 v87, v87, v84, s4
	v_cndmask_b32_e64 v88, v88, v69, s6
	v_lshrrev_b32_e32 v96, 16, v71
	v_cndmask_b32_e64 v89, v89, v84, s6
	v_cndmask_b32_e64 v81, v81, v72, s7
	v_cndmask_b32_e64 v87, v87, v97, s7
	;; [unrolled: 5-line block ×3, first 2 shown]
	v_cndmask_b32_e64 v88, v88, v70, s11
	v_cndmask_b32_e64 v89, v89, v97, s8
	v_cmp_eq_u32_e64 s19, 3, v78
	v_cndmask_b32_e64 v81, v81, v95, s10
	v_cndmask_b32_e64 v87, v87, v98, s10
	;; [unrolled: 1-line block ×4, first 2 shown]
	v_cmp_eq_u32_e64 s20, 4, v78
	v_cndmask_b32_e64 v81, v81, v71, s12
	v_cndmask_b32_e64 v87, v87, v86, s12
	;; [unrolled: 1-line block ×3, first 2 shown]
	v_cmp_eq_u32_e64 s22, 5, v78
	v_cmp_eq_u32_e64 s24, 6, v78
	v_cndmask_b32_e64 v100, v81, v96, s15
	v_cndmask_b32_e64 v101, v87, v99, s15
	v_cndmask_b32_e64 v81, v90, v69, s17
	v_cndmask_b32_e64 v87, v83, v91, s5
	v_cndmask_b32_e64 v102, v88, v96, s18
	v_cndmask_b32_e64 v88, v89, v98, s13
	v_cmp_eq_u32_e64 s27, 7, v78
	v_cndmask_b32_e64 v89, v81, v72, s19
	v_cndmask_b32_e64 v87, v87, v84, s17
	v_or_b32_e32 v81, 3, v79
	v_cndmask_b32_e64 v103, v88, v86, s16
	s_delay_alu instid0(VALU_DEP_4) | instskip(NEXT) | instid1(VALU_DEP_4)
	v_cndmask_b32_e64 v92, v89, v70, s20
	v_cndmask_b32_e64 v93, v87, v97, s19
	s_delay_alu instid0(VALU_DEP_4)
	v_cmp_eq_u32_e64 s21, 1, v81
	ds_load_b128 v[87:90], v82 offset:1024
	v_cmp_eq_u32_e64 s23, 2, v81
	v_cndmask_b32_e64 v104, v92, v95, s22
	v_cmp_eq_u32_e64 s25, 3, v81
	v_cndmask_b32_e64 v65, v68, v65, s21
	v_cndmask_b32_e64 v68, v93, v85, s20
	;; [unrolled: 1-line block ×3, first 2 shown]
	ds_load_b128 v[91:94], v82 offset:1040
	v_cmp_eq_u32_e64 s26, 4, v81
	v_cndmask_b32_e64 v65, v65, v69, s23
	v_cmp_eq_u32_e64 s28, 5, v81
	v_cndmask_b32_e64 v69, v83, v84, s23
	;; [unrolled: 2-line block ×3, first 2 shown]
	v_cndmask_b32_e64 v65, v65, v72, s25
	v_cndmask_b32_e64 v72, v104, v71, s24
	;; [unrolled: 1-line block ×6, first 2 shown]
	s_waitcnt lgkmcnt(1)
	v_lshrrev_b32_e32 v84, 16, v87
	v_cndmask_b32_e64 v69, v69, v85, s26
	v_cndmask_b32_e64 v70, v72, v96, s27
	;; [unrolled: 1-line block ×4, first 2 shown]
	v_cndmask_b32_e32 v72, v87, v84, vcc_lo
	v_cndmask_b32_e64 v69, v69, v98, s28
	s_waitcnt lgkmcnt(0)
	v_lshrrev_b32_e32 v85, 16, v91
	v_lshrrev_b32_e32 v95, 16, v88
	v_cndmask_b32_e64 v97, v87, v84, s3
	v_cndmask_b32_e64 v72, v72, v88, s4
	;; [unrolled: 1-line block ×3, first 2 shown]
	v_cndmask_b32_e32 v98, v91, v85, vcc_lo
	v_cmp_eq_u32_e32 vcc_lo, 7, v81
	v_cndmask_b32_e64 v69, v69, v86, s29
	v_cndmask_b32_e64 v71, v72, v95, s7
	;; [unrolled: 1-line block ×3, first 2 shown]
	v_lshrrev_b32_e32 v97, 16, v92
	v_cndmask_b32_e32 v65, v65, v96, vcc_lo
	v_cndmask_b32_e64 v86, v98, v92, s4
	v_cndmask_b32_e32 v69, v69, v99, vcc_lo
	v_lshrrev_b32_e32 v99, 16, v93
	v_cndmask_b32_e64 v71, v71, v89, s9
	v_lshrrev_b32_e32 v98, 16, v89
	v_cndmask_b32_e64 v86, v86, v97, s7
	v_perm_b32 v70, v68, v70, 0x5040100
	v_cndmask_b32_e64 v72, v72, v95, s8
	s_delay_alu instid0(VALU_DEP_4) | instskip(NEXT) | instid1(VALU_DEP_4)
	v_cndmask_b32_e64 v96, v71, v98, s10
	v_cndmask_b32_e64 v86, v86, v93, s9
	v_perm_b32 v71, v69, v65, 0x5040100
	v_perm_b32 v69, v83, v102, 0x5040100
	v_cndmask_b32_e64 v102, v91, v85, s5
	v_cndmask_b32_e64 v72, v72, v89, s11
	;; [unrolled: 1-line block ×3, first 2 shown]
	v_lshrrev_b32_e32 v83, 16, v94
	s_delay_alu instid0(VALU_DEP_3) | instskip(NEXT) | instid1(VALU_DEP_3)
	v_cndmask_b32_e64 v65, v72, v98, s13
	v_cndmask_b32_e64 v68, v86, v94, s12
	v_cndmask_b32_e64 v86, v87, v84, s5
	v_cndmask_b32_e64 v84, v87, v84, s21
	v_cndmask_b32_e64 v87, v91, v85, s21
	v_cndmask_b32_e64 v85, v91, v85, s3
	v_cndmask_b32_e64 v72, v96, v90, s12
	v_cndmask_b32_e64 v86, v86, v88, s17
	v_cndmask_b32_e64 v84, v84, v88, s23
	v_cndmask_b32_e64 v87, v87, v92, s23
	v_cndmask_b32_e64 v88, v102, v92, s17
	v_cndmask_b32_e64 v85, v85, v92, s6
	v_cndmask_b32_e64 v86, v86, v95, s19
	v_cndmask_b32_e64 v84, v84, v95, s25
	v_cndmask_b32_e64 v87, v87, v97, s25
	v_cndmask_b32_e64 v88, v88, v97, s19
	v_cndmask_b32_e64 v85, v85, v97, s8
	v_cndmask_b32_e64 v86, v86, v89, s20
	v_cndmask_b32_e64 v84, v84, v89, s26
	v_cndmask_b32_e64 v87, v87, v93, s26
	v_cndmask_b32_e64 v88, v88, v93, s20
	v_cndmask_b32_e64 v85, v85, v93, s11
	v_cndmask_b32_e64 v86, v86, v98, s22
	v_cndmask_b32_e64 v84, v84, v98, s28
	v_cndmask_b32_e64 v87, v87, v99, s28
	v_cndmask_b32_e64 v88, v88, v99, s22
	v_cndmask_b32_e64 v85, v85, v99, s13
	v_lshrrev_b32_e32 v96, 16, v90
	v_cndmask_b32_e64 v65, v65, v90, s16
	v_cndmask_b32_e64 v86, v86, v90, s24
	v_cndmask_b32_e64 v84, v84, v90, s29
	v_cndmask_b32_e64 v87, v87, v94, s29
	v_cndmask_b32_e64 v88, v88, v94, s24
	v_cndmask_b32_e64 v85, v85, v94, s16
	v_cndmask_b32_e64 v72, v72, v96, s15
	v_cndmask_b32_e64 v65, v65, v96, s18
	v_cndmask_b32_e64 v89, v86, v96, s27
	v_cndmask_b32_e32 v84, v84, v96, vcc_lo
	v_cndmask_b32_e32 v86, v87, v83, vcc_lo
	v_cndmask_b32_e64 v87, v88, v83, s27
	v_cndmask_b32_e64 v88, v85, v83, s18
	;; [unrolled: 1-line block ×3, first 2 shown]
	v_perm_b32 v68, v101, v100, 0x5040100
	v_perm_b32 v86, v86, v84, 0x5040100
	;; [unrolled: 1-line block ×5, first 2 shown]
	s_lshl_b32 s8, s35, 4
	s_mov_b32 s3, exec_lo
	ds_store_b128 v77, v[68:71]
	ds_store_b128 v77, v[83:86] offset:1024
	v_cmpx_gt_u32_e32 16, v0
	s_cbranch_execz .LBB1693_78
; %bb.77:
	v_or_b32_e32 v65, s31, v0
	s_load_b128 s[4:7], s[0:1], 0x58
	s_delay_alu instid0(VALU_DEP_1) | instskip(NEXT) | instid1(VALU_DEP_1)
	v_mad_u64_u32 v[68:69], null, s8, s30, v[65:66]
	v_mad_u64_u32 v[69:70], null, v68, s34, s[14:15]
	s_delay_alu instid0(VALU_DEP_1) | instskip(NEXT) | instid1(VALU_DEP_1)
	v_ashrrev_i32_e32 v70, 31, v69
	v_lshlrev_b64 v[68:69], 2, v[69:70]
	s_waitcnt lgkmcnt(0)
	s_delay_alu instid0(VALU_DEP_1) | instskip(NEXT) | instid1(VALU_DEP_2)
	v_add_co_u32 v70, vcc_lo, s6, v68
	v_add_co_ci_u32_e32 v71, vcc_lo, s7, v69, vcc_lo
	v_add_co_u32 v68, vcc_lo, s4, v68
	v_add_co_ci_u32_e32 v69, vcc_lo, s5, v69, vcc_lo
	global_store_b32 v[70:71], v66, off
	global_store_b32 v[68:69], v67, off
.LBB1693_78:
	s_or_b32 exec_lo, exec_lo, s3
	s_waitcnt lgkmcnt(0)
	s_waitcnt_vscnt null, 0x0
	s_barrier
	buffer_gl0_inv
	ds_load_b128 v[83:86], v76
	ds_load_b128 v[87:90], v76 offset:16
	ds_load_b128 v[95:98], v76 offset:2064
	;; [unrolled: 1-line block ×3, first 2 shown]
	v_mov_b32_e32 v65, 0
	ds_load_b128 v[103:106], v76 offset:4112
	ds_load_b128 v[99:102], v76 offset:4096
	;; [unrolled: 1-line block ×4, first 2 shown]
	v_mov_b32_e32 v66, v65
	v_mov_b32_e32 v67, v65
	;; [unrolled: 1-line block ×7, first 2 shown]
	s_waitcnt lgkmcnt(6)
	s_delay_alu instid0(VALU_DEP_1)
	v_wmma_f32_16x16x16_bf16 v[65:72], v[57:64], v[83:90], v[65:72]
	ds_load_b128 v[61:64], v76 offset:8208
	ds_load_b128 v[57:60], v76 offset:8192
	s_waitcnt lgkmcnt(6)
	v_wmma_f32_16x16x16_bf16 v[65:72], v[41:48], v[91:98], v[65:72]
	ds_load_b128 v[45:48], v76 offset:10256
	ds_load_b128 v[41:44], v76 offset:10240
	s_waitcnt lgkmcnt(6)
	;; [unrolled: 4-line block ×4, first 2 shown]
	v_wmma_f32_16x16x16_bf16 v[65:72], v[1:8], v[57:64], v[65:72]
	s_waitcnt lgkmcnt(4)
	s_delay_alu instid0(VALU_DEP_1) | instskip(SKIP_1) | instid1(VALU_DEP_1)
	v_wmma_f32_16x16x16_bf16 v[65:72], v[9:16], v[41:48], v[65:72]
	s_waitcnt lgkmcnt(2)
	v_wmma_f32_16x16x16_bf16 v[65:72], v[17:24], v[33:40], v[65:72]
	s_waitcnt lgkmcnt(0)
	s_delay_alu instid0(VALU_DEP_1) | instskip(NEXT) | instid1(VALU_DEP_1)
	v_wmma_f32_16x16x16_bf16 v[65:72], v[49:56], v[25:32], v[65:72]
	v_and_b32_e32 v1, 0x7f800000, v65
	s_delay_alu instid0(VALU_DEP_1) | instskip(SKIP_1) | instid1(SALU_CYCLE_1)
	v_cmp_ne_u32_e32 vcc_lo, 0x7f800000, v1
                                        ; implicit-def: $vgpr1
	s_and_saveexec_b32 s3, vcc_lo
	s_xor_b32 s3, exec_lo, s3
; %bb.79:
	v_bfe_u32 v1, v65, 16, 1
	s_delay_alu instid0(VALU_DEP_1)
	v_add3_u32 v1, v65, v1, 0x7fff
; %bb.80:
	s_and_not1_saveexec_b32 s3, s3
; %bb.81:
	v_and_b32_e32 v1, 0xffff, v65
	v_or_b32_e32 v2, 0x10000, v65
	s_delay_alu instid0(VALU_DEP_2) | instskip(NEXT) | instid1(VALU_DEP_2)
	v_cmp_eq_u32_e32 vcc_lo, 0, v1
	v_cndmask_b32_e32 v1, v2, v65, vcc_lo
; %bb.82:
	s_or_b32 exec_lo, exec_lo, s3
	v_and_b32_e32 v2, 0x7f800000, v66
	s_delay_alu instid0(VALU_DEP_1) | instskip(SKIP_1) | instid1(SALU_CYCLE_1)
	v_cmp_ne_u32_e32 vcc_lo, 0x7f800000, v2
                                        ; implicit-def: $vgpr2
	s_and_saveexec_b32 s3, vcc_lo
	s_xor_b32 s3, exec_lo, s3
; %bb.83:
	v_bfe_u32 v2, v66, 16, 1
	s_delay_alu instid0(VALU_DEP_1)
	v_add3_u32 v2, v66, v2, 0x7fff
; %bb.84:
	s_and_not1_saveexec_b32 s3, s3
; %bb.85:
	v_and_b32_e32 v2, 0xffff, v66
	v_or_b32_e32 v3, 0x10000, v66
	s_delay_alu instid0(VALU_DEP_2) | instskip(NEXT) | instid1(VALU_DEP_2)
	v_cmp_eq_u32_e32 vcc_lo, 0, v2
	v_cndmask_b32_e32 v2, v3, v66, vcc_lo
; %bb.86:
	s_or_b32 exec_lo, exec_lo, s3
	v_and_b32_e32 v3, 0x7f800000, v67
	s_delay_alu instid0(VALU_DEP_1) | instskip(SKIP_1) | instid1(SALU_CYCLE_1)
	v_cmp_ne_u32_e32 vcc_lo, 0x7f800000, v3
                                        ; implicit-def: $vgpr3
	s_and_saveexec_b32 s3, vcc_lo
	s_xor_b32 s3, exec_lo, s3
; %bb.87:
	v_bfe_u32 v3, v67, 16, 1
	s_delay_alu instid0(VALU_DEP_1)
	v_add3_u32 v3, v67, v3, 0x7fff
; %bb.88:
	s_and_not1_saveexec_b32 s3, s3
; %bb.89:
	v_and_b32_e32 v3, 0xffff, v67
	v_or_b32_e32 v4, 0x10000, v67
	s_delay_alu instid0(VALU_DEP_2) | instskip(NEXT) | instid1(VALU_DEP_2)
	v_cmp_eq_u32_e32 vcc_lo, 0, v3
	v_cndmask_b32_e32 v3, v4, v67, vcc_lo
; %bb.90:
	s_or_b32 exec_lo, exec_lo, s3
	v_and_b32_e32 v4, 0x7f800000, v68
	s_delay_alu instid0(VALU_DEP_1) | instskip(SKIP_1) | instid1(SALU_CYCLE_1)
	v_cmp_ne_u32_e32 vcc_lo, 0x7f800000, v4
                                        ; implicit-def: $vgpr4
	s_and_saveexec_b32 s3, vcc_lo
	s_xor_b32 s3, exec_lo, s3
; %bb.91:
	v_bfe_u32 v4, v68, 16, 1
	s_delay_alu instid0(VALU_DEP_1)
	v_add3_u32 v4, v68, v4, 0x7fff
; %bb.92:
	s_and_not1_saveexec_b32 s3, s3
; %bb.93:
	v_and_b32_e32 v4, 0xffff, v68
	v_or_b32_e32 v5, 0x10000, v68
	s_delay_alu instid0(VALU_DEP_2) | instskip(NEXT) | instid1(VALU_DEP_2)
	v_cmp_eq_u32_e32 vcc_lo, 0, v4
	v_cndmask_b32_e32 v4, v5, v68, vcc_lo
; %bb.94:
	s_or_b32 exec_lo, exec_lo, s3
	v_and_b32_e32 v5, 0x7f800000, v69
	s_delay_alu instid0(VALU_DEP_1) | instskip(SKIP_1) | instid1(SALU_CYCLE_1)
	v_cmp_ne_u32_e32 vcc_lo, 0x7f800000, v5
                                        ; implicit-def: $vgpr5
	s_and_saveexec_b32 s3, vcc_lo
	s_xor_b32 s3, exec_lo, s3
; %bb.95:
	v_bfe_u32 v5, v69, 16, 1
	s_delay_alu instid0(VALU_DEP_1)
	v_add3_u32 v5, v69, v5, 0x7fff
; %bb.96:
	s_and_not1_saveexec_b32 s3, s3
; %bb.97:
	v_and_b32_e32 v5, 0xffff, v69
	v_or_b32_e32 v6, 0x10000, v69
	s_delay_alu instid0(VALU_DEP_2) | instskip(NEXT) | instid1(VALU_DEP_2)
	v_cmp_eq_u32_e32 vcc_lo, 0, v5
	v_cndmask_b32_e32 v5, v6, v69, vcc_lo
; %bb.98:
	s_or_b32 exec_lo, exec_lo, s3
	v_and_b32_e32 v6, 0x7f800000, v70
	s_delay_alu instid0(VALU_DEP_1) | instskip(SKIP_1) | instid1(SALU_CYCLE_1)
	v_cmp_ne_u32_e32 vcc_lo, 0x7f800000, v6
                                        ; implicit-def: $vgpr6
	s_and_saveexec_b32 s3, vcc_lo
	s_xor_b32 s3, exec_lo, s3
; %bb.99:
	v_bfe_u32 v6, v70, 16, 1
	s_delay_alu instid0(VALU_DEP_1)
	v_add3_u32 v6, v70, v6, 0x7fff
; %bb.100:
	s_and_not1_saveexec_b32 s3, s3
; %bb.101:
	v_and_b32_e32 v6, 0xffff, v70
	v_or_b32_e32 v7, 0x10000, v70
	s_delay_alu instid0(VALU_DEP_2) | instskip(NEXT) | instid1(VALU_DEP_2)
	v_cmp_eq_u32_e32 vcc_lo, 0, v6
	v_cndmask_b32_e32 v6, v7, v70, vcc_lo
; %bb.102:
	s_or_b32 exec_lo, exec_lo, s3
	v_and_b32_e32 v7, 0x7f800000, v71
	s_delay_alu instid0(VALU_DEP_1) | instskip(SKIP_1) | instid1(SALU_CYCLE_1)
	v_cmp_ne_u32_e32 vcc_lo, 0x7f800000, v7
                                        ; implicit-def: $vgpr7
	s_and_saveexec_b32 s3, vcc_lo
	s_xor_b32 s3, exec_lo, s3
; %bb.103:
	v_bfe_u32 v7, v71, 16, 1
	s_delay_alu instid0(VALU_DEP_1)
	v_add3_u32 v7, v71, v7, 0x7fff
; %bb.104:
	s_and_not1_saveexec_b32 s3, s3
; %bb.105:
	v_and_b32_e32 v7, 0xffff, v71
	v_or_b32_e32 v8, 0x10000, v71
	s_delay_alu instid0(VALU_DEP_2) | instskip(NEXT) | instid1(VALU_DEP_2)
	v_cmp_eq_u32_e32 vcc_lo, 0, v7
	v_cndmask_b32_e32 v7, v8, v71, vcc_lo
; %bb.106:
	s_or_b32 exec_lo, exec_lo, s3
	v_and_b32_e32 v8, 0x7f800000, v72
	s_delay_alu instid0(VALU_DEP_1) | instskip(SKIP_1) | instid1(SALU_CYCLE_1)
	v_cmp_ne_u32_e32 vcc_lo, 0x7f800000, v8
                                        ; implicit-def: $vgpr8
	s_and_saveexec_b32 s3, vcc_lo
	s_xor_b32 s3, exec_lo, s3
; %bb.107:
	v_bfe_u32 v8, v72, 16, 1
	s_delay_alu instid0(VALU_DEP_1)
	v_add3_u32 v8, v72, v8, 0x7fff
                                        ; implicit-def: $vgpr65_vgpr66_vgpr67_vgpr68_vgpr69_vgpr70_vgpr71_vgpr72
; %bb.108:
	s_and_not1_saveexec_b32 s3, s3
; %bb.109:
	v_and_b32_e32 v8, 0xffff, v72
	v_or_b32_e32 v9, 0x10000, v72
	s_delay_alu instid0(VALU_DEP_2) | instskip(NEXT) | instid1(VALU_DEP_2)
	v_cmp_eq_u32_e32 vcc_lo, 0, v8
	v_cndmask_b32_e32 v8, v9, v72, vcc_lo
; %bb.110:
	s_or_b32 exec_lo, exec_lo, s3
	s_delay_alu instid0(VALU_DEP_1)
	v_perm_b32 v7, v8, v7, 0x7060302
	v_perm_b32 v6, v6, v5, 0x7060302
	v_perm_b32 v5, v4, v3, 0x7060302
	v_perm_b32 v4, v2, v1, 0x7060302
	s_barrier
	buffer_gl0_inv
	v_cmp_eq_u32_e32 vcc_lo, 1, v79
	ds_store_b128 v77, v[4:7]
	s_waitcnt lgkmcnt(0)
	s_barrier
	buffer_gl0_inv
	ds_load_b128 v[1:4], v82
	ds_load_b128 v[5:8], v82 offset:16
	v_cmp_eq_u32_e64 s3, 1, v80
	v_cmp_eq_u32_e64 s4, 2, v79
	;; [unrolled: 1-line block ×5, first 2 shown]
	s_waitcnt lgkmcnt(1)
	v_lshrrev_b32_e32 v9, 16, v1
	s_waitcnt lgkmcnt(0)
	v_lshrrev_b32_e32 v13, 16, v5
	v_lshrrev_b32_e32 v10, 16, v2
	;; [unrolled: 1-line block ×4, first 2 shown]
	v_cndmask_b32_e64 v19, v1, v9, s3
	v_cndmask_b32_e32 v18, v5, v13, vcc_lo
	v_cndmask_b32_e64 v20, v5, v13, s3
	v_cndmask_b32_e32 v17, v1, v9, vcc_lo
	v_cmp_eq_u32_e32 vcc_lo, 2, v80
	v_lshrrev_b32_e32 v15, 16, v7
	v_cmp_eq_u32_e64 s3, 1, v78
	v_lshrrev_b32_e32 v12, 16, v4
	v_lshrrev_b32_e32 v16, 16, v8
	v_cndmask_b32_e32 v20, v20, v6, vcc_lo
	v_cndmask_b32_e64 v17, v17, v2, s4
	v_cndmask_b32_e32 v19, v19, v2, vcc_lo
	v_cndmask_b32_e64 v18, v18, v6, s4
	v_cmp_eq_u32_e32 vcc_lo, 4, v79
	v_cmp_eq_u32_e64 s4, 3, v80
	v_cndmask_b32_e64 v17, v17, v10, s5
	v_cndmask_b32_e64 v21, v1, v9, s3
	;; [unrolled: 1-line block ×5, first 2 shown]
	v_cndmask_b32_e32 v17, v17, v3, vcc_lo
	v_cndmask_b32_e64 v20, v20, v14, s4
	v_cndmask_b32_e32 v18, v18, v7, vcc_lo
	v_cmp_eq_u32_e32 vcc_lo, 4, v80
	v_cmp_eq_u32_e64 s4, 5, v80
	v_cmp_eq_u32_e64 s3, 2, v81
	v_cndmask_b32_e64 v21, v21, v2, s7
	v_cmp_eq_u32_e64 s5, 5, v79
	v_cndmask_b32_e32 v19, v19, v3, vcc_lo
	v_cndmask_b32_e32 v20, v20, v7, vcc_lo
	v_cmp_eq_u32_e32 vcc_lo, 6, v80
	s_delay_alu instid0(VALU_DEP_4) | instskip(NEXT) | instid1(VALU_DEP_4)
	v_cndmask_b32_e64 v17, v17, v11, s5
	v_cndmask_b32_e64 v19, v19, v11, s4
	s_delay_alu instid0(VALU_DEP_4) | instskip(SKIP_1) | instid1(VALU_DEP_3)
	v_cndmask_b32_e64 v20, v20, v15, s4
	v_cmp_eq_u32_e64 s4, 1, v81
	v_cndmask_b32_e32 v19, v19, v4, vcc_lo
	v_cndmask_b32_e64 v18, v18, v15, s5
	s_delay_alu instid0(VALU_DEP_3)
	v_cndmask_b32_e64 v1, v1, v9, s4
	v_cndmask_b32_e64 v5, v5, v13, s4
	v_cmp_eq_u32_e64 s4, 3, v78
	v_cndmask_b32_e64 v13, v22, v6, s7
	v_cmp_eq_u32_e64 s7, 3, v81
	v_cndmask_b32_e64 v1, v1, v2, s3
	v_cndmask_b32_e64 v2, v5, v6, s3
	v_cndmask_b32_e64 v9, v21, v10, s4
	v_cmp_eq_u32_e64 s3, 4, v78
	v_cndmask_b32_e64 v6, v13, v14, s4
	v_cndmask_b32_e64 v1, v1, v10, s7
	v_cmp_eq_u32_e64 s4, 4, v81
	v_cndmask_b32_e64 v2, v2, v14, s7
	v_cndmask_b32_e64 v5, v9, v3, s3
	;; [unrolled: 3-line block ×3, first 2 shown]
	v_cndmask_b32_e64 v2, v2, v7, s4
	v_cmp_eq_u32_e64 s3, 5, v81
	v_cmp_eq_u32_e64 s5, 6, v79
	v_cndmask_b32_e64 v5, v5, v11, s7
	v_cmp_eq_u32_e64 s4, 6, v78
	v_cndmask_b32_e64 v3, v6, v15, s7
	v_cndmask_b32_e64 v1, v1, v11, s3
	v_cmp_eq_u32_e64 s7, 6, v81
	v_cndmask_b32_e64 v2, v2, v15, s3
	v_cndmask_b32_e64 v17, v17, v4, s5
	v_cndmask_b32_e64 v18, v18, v8, s5
	v_cmp_eq_u32_e64 s5, 7, v79
	v_cndmask_b32_e64 v5, v5, v4, s4
	;; [unrolled: 4-line block ×3, first 2 shown]
	v_cmp_eq_u32_e64 s4, 7, v78
	v_cndmask_b32_e32 v4, v20, v8, vcc_lo
	v_cndmask_b32_e64 v17, v17, v12, s5
	v_cndmask_b32_e64 v19, v19, v12, s6
	;; [unrolled: 1-line block ×8, first 2 shown]
	v_cmp_gt_u32_e32 vcc_lo, 32, v0
	v_perm_b32 v4, v2, v1, 0x5040100
	v_perm_b32 v3, v3, v5, 0x5040100
	v_perm_b32 v2, v6, v19, 0x5040100
	v_perm_b32 v1, v7, v17, 0x5040100
	s_and_b32 s2, vcc_lo, s2
	ds_store_b128 v77, v[1:4]
	s_waitcnt lgkmcnt(0)
	s_barrier
	buffer_gl0_inv
	s_and_saveexec_b32 s3, s2
	s_cbranch_execz .LBB1693_2
; %bb.111:
	s_load_b64 s[0:1], s[0:1], 0x68
	v_lshlrev_b32_e32 v0, 10, v0
	s_lshl_b32 s4, s34, 6
	v_or_b32_e32 v23, s31, v74
	s_mul_i32 s2, s4, s30
	v_lshlrev_b32_e32 v1, 4, v75
	v_lshlrev_b32_e32 v2, 6, v74
	s_mul_i32 s2, s2, s8
	v_and_b32_e32 v0, 0x3800, v0
	v_mul_lo_u32 v8, v23, s4
	s_ashr_i32 s3, s2, 31
	v_or_b32_e32 v3, 2, v23
	s_lshl_b64 s[2:3], s[2:3], 1
	v_or3_b32 v27, v0, v1, v2
	v_or_b32_e32 v11, 4, v23
	v_or_b32_e32 v18, 6, v23
	v_mul_lo_u32 v10, v3, s4
	v_ashrrev_i32_e32 v9, 31, v8
	ds_load_b128 v[0:3], v27
	ds_load_b128 v[4:7], v27 offset:128
	v_mul_lo_u32 v12, v11, s4
	s_waitcnt lgkmcnt(0)
	s_add_u32 s2, s0, s2
	s_addc_u32 s3, s1, s3
	s_lshl_b32 s0, s14, 6
	v_lshlrev_b64 v[8:9], 1, v[8:9]
	s_ashr_i32 s1, s0, 31
	v_ashrrev_i32_e32 v11, 31, v10
	s_lshl_b64 s[0:1], s[0:1], 1
	v_ashrrev_i32_e32 v13, 31, v12
	s_add_u32 s0, s2, s0
	s_addc_u32 s1, s3, s1
	v_add_co_u32 v30, s0, s0, v73
	s_delay_alu instid0(VALU_DEP_1) | instskip(SKIP_1) | instid1(VALU_DEP_3)
	v_add_co_ci_u32_e64 v31, null, s1, 0, s0
	v_lshlrev_b64 v[16:17], 1, v[10:11]
	v_add_co_u32 v14, vcc_lo, v30, v8
	s_delay_alu instid0(VALU_DEP_3)
	v_add_co_ci_u32_e32 v15, vcc_lo, v31, v9, vcc_lo
	ds_load_b128 v[8:11], v27 offset:256
	v_mul_lo_u32 v18, v18, s4
	v_or_b32_e32 v19, 8, v23
	v_add_co_u32 v16, vcc_lo, v30, v16
	global_store_b128 v[14:15], v[0:3], off
	v_lshlrev_b64 v[0:1], 1, v[12:13]
	v_add_co_ci_u32_e32 v17, vcc_lo, v31, v17, vcc_lo
	v_mul_lo_u32 v12, v19, s4
	v_ashrrev_i32_e32 v19, 31, v18
	v_or_b32_e32 v14, 10, v23
	global_store_b128 v[16:17], v[4:7], off
	v_add_co_u32 v4, vcc_lo, v30, v0
	v_add_co_ci_u32_e32 v5, vcc_lo, v31, v1, vcc_lo
	ds_load_b128 v[0:3], v27 offset:384
	v_ashrrev_i32_e32 v13, 31, v12
	v_lshlrev_b64 v[6:7], 1, v[18:19]
	v_mul_lo_u32 v14, v14, s4
	s_waitcnt lgkmcnt(1)
	global_store_b128 v[4:5], v[8:11], off
	v_or_b32_e32 v8, 12, v23
	v_lshlrev_b64 v[4:5], 1, v[12:13]
	v_add_co_u32 v20, vcc_lo, v30, v6
	v_or_b32_e32 v6, 14, v23
	v_ashrrev_i32_e32 v15, 31, v14
	v_mul_lo_u32 v22, v8, s4
	v_add_co_ci_u32_e32 v21, vcc_lo, v31, v7, vcc_lo
	v_add_co_u32 v24, vcc_lo, v30, v4
	v_mul_lo_u32 v26, v6, s4
	v_add_co_ci_u32_e32 v25, vcc_lo, v31, v5, vcc_lo
	v_lshlrev_b64 v[28:29], 1, v[14:15]
	ds_load_b128 v[4:7], v27 offset:512
	ds_load_b128 v[8:11], v27 offset:640
	;; [unrolled: 1-line block ×4, first 2 shown]
	v_ashrrev_i32_e32 v23, 31, v22
	v_ashrrev_i32_e32 v27, 31, v26
	v_add_co_u32 v28, vcc_lo, v30, v28
	s_delay_alu instid0(VALU_DEP_3) | instskip(SKIP_1) | instid1(VALU_DEP_4)
	v_lshlrev_b64 v[22:23], 1, v[22:23]
	v_add_co_ci_u32_e32 v29, vcc_lo, v31, v29, vcc_lo
	v_lshlrev_b64 v[26:27], 1, v[26:27]
	s_delay_alu instid0(VALU_DEP_3) | instskip(NEXT) | instid1(VALU_DEP_4)
	v_add_co_u32 v22, vcc_lo, v30, v22
	v_add_co_ci_u32_e32 v23, vcc_lo, v31, v23, vcc_lo
	s_delay_alu instid0(VALU_DEP_3) | instskip(NEXT) | instid1(VALU_DEP_4)
	v_add_co_u32 v26, vcc_lo, v30, v26
	v_add_co_ci_u32_e32 v27, vcc_lo, v31, v27, vcc_lo
	s_waitcnt lgkmcnt(4)
	global_store_b128 v[20:21], v[0:3], off
	s_waitcnt lgkmcnt(3)
	global_store_b128 v[24:25], v[4:7], off
	;; [unrolled: 2-line block ×5, first 2 shown]
	s_nop 0
	s_sendmsg sendmsg(MSG_DEALLOC_VGPRS)
	s_endpgm
	.section	.rodata,"a",@progbits
	.p2align	6, 0x0
	.amdhsa_kernel _Z39paged_attention_ll4mi_QKV_mfma16_kernelI14__hip_bfloat16hLN4vllm18Fp8KVCacheDataTypeE1EhLi16ELi64ELi256ELb0ELi16EL8MFMAType0EEvPKT_PKT0_S9_ifPKiSB_SB_iPKfiiiPfSE_PS4_PT2_iSD_SD_
		.amdhsa_group_segment_fixed_size 17472
		.amdhsa_private_segment_fixed_size 0
		.amdhsa_kernarg_size 400
		.amdhsa_user_sgpr_count 13
		.amdhsa_user_sgpr_dispatch_ptr 0
		.amdhsa_user_sgpr_queue_ptr 0
		.amdhsa_user_sgpr_kernarg_segment_ptr 1
		.amdhsa_user_sgpr_dispatch_id 0
		.amdhsa_user_sgpr_private_segment_size 0
		.amdhsa_wavefront_size32 1
		.amdhsa_uses_dynamic_stack 0
		.amdhsa_enable_private_segment 0
		.amdhsa_system_sgpr_workgroup_id_x 1
		.amdhsa_system_sgpr_workgroup_id_y 1
		.amdhsa_system_sgpr_workgroup_id_z 1
		.amdhsa_system_sgpr_workgroup_info 0
		.amdhsa_system_vgpr_workitem_id 0
		.amdhsa_next_free_vgpr 125
		.amdhsa_next_free_sgpr 38
		.amdhsa_reserve_vcc 1
		.amdhsa_float_round_mode_32 0
		.amdhsa_float_round_mode_16_64 0
		.amdhsa_float_denorm_mode_32 3
		.amdhsa_float_denorm_mode_16_64 3
		.amdhsa_dx10_clamp 1
		.amdhsa_ieee_mode 1
		.amdhsa_fp16_overflow 0
		.amdhsa_workgroup_processor_mode 1
		.amdhsa_memory_ordered 1
		.amdhsa_forward_progress 0
		.amdhsa_shared_vgpr_count 0
		.amdhsa_exception_fp_ieee_invalid_op 0
		.amdhsa_exception_fp_denorm_src 0
		.amdhsa_exception_fp_ieee_div_zero 0
		.amdhsa_exception_fp_ieee_overflow 0
		.amdhsa_exception_fp_ieee_underflow 0
		.amdhsa_exception_fp_ieee_inexact 0
		.amdhsa_exception_int_div_zero 0
	.end_amdhsa_kernel
	.section	.text._Z39paged_attention_ll4mi_QKV_mfma16_kernelI14__hip_bfloat16hLN4vllm18Fp8KVCacheDataTypeE1EhLi16ELi64ELi256ELb0ELi16EL8MFMAType0EEvPKT_PKT0_S9_ifPKiSB_SB_iPKfiiiPfSE_PS4_PT2_iSD_SD_,"axG",@progbits,_Z39paged_attention_ll4mi_QKV_mfma16_kernelI14__hip_bfloat16hLN4vllm18Fp8KVCacheDataTypeE1EhLi16ELi64ELi256ELb0ELi16EL8MFMAType0EEvPKT_PKT0_S9_ifPKiSB_SB_iPKfiiiPfSE_PS4_PT2_iSD_SD_,comdat
.Lfunc_end1693:
	.size	_Z39paged_attention_ll4mi_QKV_mfma16_kernelI14__hip_bfloat16hLN4vllm18Fp8KVCacheDataTypeE1EhLi16ELi64ELi256ELb0ELi16EL8MFMAType0EEvPKT_PKT0_S9_ifPKiSB_SB_iPKfiiiPfSE_PS4_PT2_iSD_SD_, .Lfunc_end1693-_Z39paged_attention_ll4mi_QKV_mfma16_kernelI14__hip_bfloat16hLN4vllm18Fp8KVCacheDataTypeE1EhLi16ELi64ELi256ELb0ELi16EL8MFMAType0EEvPKT_PKT0_S9_ifPKiSB_SB_iPKfiiiPfSE_PS4_PT2_iSD_SD_
                                        ; -- End function
	.section	.AMDGPU.csdata,"",@progbits
; Kernel info:
; codeLenInByte = 8912
; NumSgprs: 40
; NumVgprs: 125
; ScratchSize: 0
; MemoryBound: 0
; FloatMode: 240
; IeeeMode: 1
; LDSByteSize: 17472 bytes/workgroup (compile time only)
; SGPRBlocks: 4
; VGPRBlocks: 15
; NumSGPRsForWavesPerEU: 40
; NumVGPRsForWavesPerEU: 125
; Occupancy: 10
; WaveLimiterHint : 1
; COMPUTE_PGM_RSRC2:SCRATCH_EN: 0
; COMPUTE_PGM_RSRC2:USER_SGPR: 13
; COMPUTE_PGM_RSRC2:TRAP_HANDLER: 0
; COMPUTE_PGM_RSRC2:TGID_X_EN: 1
; COMPUTE_PGM_RSRC2:TGID_Y_EN: 1
; COMPUTE_PGM_RSRC2:TGID_Z_EN: 1
; COMPUTE_PGM_RSRC2:TIDIG_COMP_CNT: 0
	.section	.text._Z39paged_attention_ll4mi_QKV_mfma16_kernelI14__hip_bfloat16hLN4vllm18Fp8KVCacheDataTypeE1EhLi16ELi64ELi256ELb0ELi1EL8MFMAType0EEvPKT_PKT0_S9_ifPKiSB_SB_iPKfiiiPfSE_PS4_PT2_iSD_SD_,"axG",@progbits,_Z39paged_attention_ll4mi_QKV_mfma16_kernelI14__hip_bfloat16hLN4vllm18Fp8KVCacheDataTypeE1EhLi16ELi64ELi256ELb0ELi1EL8MFMAType0EEvPKT_PKT0_S9_ifPKiSB_SB_iPKfiiiPfSE_PS4_PT2_iSD_SD_,comdat
	.protected	_Z39paged_attention_ll4mi_QKV_mfma16_kernelI14__hip_bfloat16hLN4vllm18Fp8KVCacheDataTypeE1EhLi16ELi64ELi256ELb0ELi1EL8MFMAType0EEvPKT_PKT0_S9_ifPKiSB_SB_iPKfiiiPfSE_PS4_PT2_iSD_SD_ ; -- Begin function _Z39paged_attention_ll4mi_QKV_mfma16_kernelI14__hip_bfloat16hLN4vllm18Fp8KVCacheDataTypeE1EhLi16ELi64ELi256ELb0ELi1EL8MFMAType0EEvPKT_PKT0_S9_ifPKiSB_SB_iPKfiiiPfSE_PS4_PT2_iSD_SD_
	.globl	_Z39paged_attention_ll4mi_QKV_mfma16_kernelI14__hip_bfloat16hLN4vllm18Fp8KVCacheDataTypeE1EhLi16ELi64ELi256ELb0ELi1EL8MFMAType0EEvPKT_PKT0_S9_ifPKiSB_SB_iPKfiiiPfSE_PS4_PT2_iSD_SD_
	.p2align	8
	.type	_Z39paged_attention_ll4mi_QKV_mfma16_kernelI14__hip_bfloat16hLN4vllm18Fp8KVCacheDataTypeE1EhLi16ELi64ELi256ELb0ELi1EL8MFMAType0EEvPKT_PKT0_S9_ifPKiSB_SB_iPKfiiiPfSE_PS4_PT2_iSD_SD_,@function
_Z39paged_attention_ll4mi_QKV_mfma16_kernelI14__hip_bfloat16hLN4vllm18Fp8KVCacheDataTypeE1EhLi16ELi64ELi256ELb0ELi1EL8MFMAType0EEvPKT_PKT0_S9_ifPKiSB_SB_iPKfiiiPfSE_PS4_PT2_iSD_SD_: ; @_Z39paged_attention_ll4mi_QKV_mfma16_kernelI14__hip_bfloat16hLN4vllm18Fp8KVCacheDataTypeE1EhLi16ELi64ELi256ELb0ELi1EL8MFMAType0EEvPKT_PKT0_S9_ifPKiSB_SB_iPKfiiiPfSE_PS4_PT2_iSD_SD_
; %bb.0:
	s_load_b64 s[4:5], s[0:1], 0x30
	s_mov_b32 s34, s13
	s_waitcnt lgkmcnt(0)
	s_cmp_lg_u64 s[4:5], 0
	s_cselect_b32 s6, -1, 0
	s_ashr_i32 s35, s13, 31
	s_cmp_eq_u64 s[4:5], 0
	s_cbranch_scc1 .LBB1694_3
; %bb.1:
	s_lshl_b64 s[2:3], s[34:35], 2
	s_delay_alu instid0(SALU_CYCLE_1) | instskip(SKIP_4) | instid1(SALU_CYCLE_1)
	s_add_u32 s2, s4, s2
	s_addc_u32 s3, s5, s3
	s_load_b64 s[2:3], s[2:3], 0x0
	s_waitcnt lgkmcnt(0)
	s_sub_i32 s2, s3, s2
	s_cmp_eq_u32 s2, 1
	s_cselect_b32 s2, -1, 0
	s_delay_alu instid0(SALU_CYCLE_1)
	s_and_not1_b32 vcc_lo, exec_lo, s2
	s_cbranch_vccz .LBB1694_4
.LBB1694_2:
	s_endpgm
.LBB1694_3:
.LBB1694_4:
	s_load_b64 s[2:3], s[0:1], 0x28
	s_lshl_b64 s[8:9], s[34:35], 2
	s_waitcnt lgkmcnt(0)
	s_add_u32 s2, s2, s8
	s_addc_u32 s3, s3, s9
	s_lshl_b32 s12, s14, 8
	s_load_b32 s33, s[2:3], 0x0
	s_waitcnt lgkmcnt(0)
	s_cmp_ge_i32 s12, s33
	s_cbranch_scc1 .LBB1694_2
; %bb.5:
	s_clause 0x1
	s_load_b128 s[28:31], s[0:1], 0x8
	s_load_b64 s[2:3], s[0:1], 0x20
	s_and_not1_b32 vcc_lo, exec_lo, s6
	s_mov_b64 s[6:7], s[34:35]
	s_cbranch_vccnz .LBB1694_7
; %bb.6:
	s_add_u32 s4, s4, s8
	s_addc_u32 s5, s5, s9
	s_load_b32 s6, s[4:5], 0x0
.LBB1694_7:
	s_load_b128 s[24:27], s[0:1], 0x48
	v_and_b32_e32 v73, 15, v0
	s_mov_b32 s13, exec_lo
                                        ; implicit-def: $sgpr16
                                        ; implicit-def: $sgpr4
	s_delay_alu instid0(VALU_DEP_1)
	v_cmpx_eq_u32_e32 0, v73
	s_cbranch_execz .LBB1694_9
; %bb.8:
	s_load_b64 s[4:5], s[0:1], 0x0
	s_waitcnt lgkmcnt(0)
	s_mul_hi_i32 s7, s6, s24
	s_mul_i32 s6, s6, s24
	s_delay_alu instid0(SALU_CYCLE_1) | instskip(NEXT) | instid1(SALU_CYCLE_1)
	s_lshl_b64 s[6:7], s[6:7], 1
	s_add_u32 s6, s4, s6
	s_addc_u32 s7, s5, s7
	s_lshl_b32 s4, s15, 6
	s_delay_alu instid0(SALU_CYCLE_1) | instskip(NEXT) | instid1(SALU_CYCLE_1)
	s_ashr_i32 s5, s4, 31
	s_lshl_b64 s[4:5], s[4:5], 1
	s_delay_alu instid0(SALU_CYCLE_1)
	s_add_u32 s4, s6, s4
	s_addc_u32 s5, s7, s5
	s_clause 0x1
	s_load_b256 s[16:23], s[4:5], 0x0
	s_load_b256 s[4:11], s[4:5], 0x40
.LBB1694_9:
	s_or_b32 exec_lo, exec_lo, s13
	s_waitcnt lgkmcnt(0)
	v_dual_mov_b32 v114, s23 :: v_dual_and_b32 v1, 0xef, v0
	s_add_i32 s13, s33, 15
	s_load_b32 s27, s[0:1], 0x38
	s_ashr_i32 s24, s13, 31
	s_delay_alu instid0(VALU_DEP_1) | instskip(SKIP_3) | instid1(VALU_DEP_2)
	v_dual_mov_b32 v112, s21 :: v_dual_add_nc_u32 v1, s12, v1
	s_lshr_b32 s24, s24, 28
	v_lshrrev_b32_e32 v65, 5, v0
	s_add_i32 s13, s13, s24
	v_ashrrev_i32_e32 v2, 31, v1
	v_or_b32_e32 v3, 16, v1
	s_ashr_i32 s13, s13, 4
	v_cmp_gt_i32_e32 vcc_lo, s33, v1
	s_add_i32 s13, s13, -1
	v_lshrrev_b32_e32 v2, 28, v2
	s_load_b32 s24, s[0:1], 0x1c
	v_mbcnt_lo_u32_b32 v67, -1, 0
	v_dual_mov_b32 v113, s22 :: v_dual_lshlrev_b32 v74, 4, v73
	s_delay_alu instid0(VALU_DEP_3) | instskip(SKIP_1) | instid1(VALU_DEP_4)
	v_add_nc_u32_e32 v4, v1, v2
	v_mov_b32_e32 v110, s19
	v_xor_b32_e32 v68, 16, v67
	s_waitcnt lgkmcnt(0)
	s_mul_i32 s36, s34, s27
	v_mov_b32_e32 v108, s17
	v_ashrrev_i32_e32 v4, 4, v4
	v_add_nc_u32_e32 v2, v3, v2
	s_ashr_i32 s37, s36, 31
	v_and_b32_e32 v66, 0xe0, v0
	s_lshl_b64 s[36:37], s[36:37], 2
	v_cndmask_b32_e32 v1, s13, v4, vcc_lo
	v_ashrrev_i32_e32 v2, 4, v2
	v_cmp_gt_i32_e32 vcc_lo, s33, v3
	s_add_u32 s36, s2, s36
	s_addc_u32 s35, s3, s37
	s_mul_i32 s37, s15, s26
	v_add_nc_u32_e32 v66, s12, v66
	v_cndmask_b32_e32 v3, s13, v2, vcc_lo
	v_ashrrev_i32_e32 v2, 31, v1
	s_ashr_i32 s38, s37, 31
	s_add_u32 s39, s28, s37
	s_addc_u32 s46, s29, s38
	v_ashrrev_i32_e32 v4, 31, v3
	v_lshlrev_b64 v[1:2], 2, v[1:2]
	s_lshl_b32 s2, s14, 4
	s_delay_alu instid0(SALU_CYCLE_1) | instskip(NEXT) | instid1(VALU_DEP_2)
	s_ashr_i32 s3, s2, 31
	v_lshlrev_b64 v[3:4], 2, v[3:4]
	s_lshl_b64 s[2:3], s[2:3], 2
	s_delay_alu instid0(VALU_DEP_2) | instskip(SKIP_1) | instid1(VALU_DEP_3)
	v_add_co_u32 v1, vcc_lo, s36, v1
	v_add_co_ci_u32_e32 v2, vcc_lo, s35, v2, vcc_lo
	v_add_co_u32 v3, vcc_lo, s36, v3
	s_delay_alu instid0(VALU_DEP_4)
	v_add_co_ci_u32_e32 v4, vcc_lo, s35, v4, vcc_lo
	s_clause 0x1
	global_load_b32 v5, v[1:2], off
	global_load_b32 v7, v[3:4], off
	s_add_u32 s2, s36, s2
	s_addc_u32 s3, s35, s3
	s_or_b32 s26, s12, 32
	v_lshlrev_b32_e32 v1, 4, v0
	s_ashr_i32 s27, s26, 4
	s_cmp_lt_i32 s26, s33
	v_cmp_gt_i32_e32 vcc_lo, 32, v68
	s_cselect_b32 s26, s27, s13
	v_and_b32_e32 v1, 0xf0, v1
	s_ashr_i32 s27, s26, 31
	s_delay_alu instid0(SALU_CYCLE_1) | instskip(NEXT) | instid1(SALU_CYCLE_1)
	s_lshl_b64 s[26:27], s[26:27], 2
	s_add_u32 s26, s36, s26
	s_addc_u32 s27, s35, s27
	s_or_b32 s28, s12, 64
	v_add_co_u32 v1, s39, s39, v1
	s_ashr_i32 s29, s28, 4
	s_cmp_lt_i32 s28, s33
	v_add_co_ci_u32_e64 v2, null, s46, 0, s39
	s_cselect_b32 s28, s29, s13
	s_delay_alu instid0(SALU_CYCLE_1) | instskip(NEXT) | instid1(SALU_CYCLE_1)
	s_ashr_i32 s29, s28, 31
	s_lshl_b64 s[28:29], s[28:29], 2
	s_delay_alu instid0(SALU_CYCLE_1) | instskip(SKIP_2) | instid1(SALU_CYCLE_1)
	s_add_u32 s40, s36, s28
	s_addc_u32 s41, s35, s29
	s_or_b32 s28, s12, 0x60
	s_ashr_i32 s29, s28, 4
	s_cmp_lt_i32 s28, s33
	s_cselect_b32 s28, s29, s13
	s_delay_alu instid0(SALU_CYCLE_1) | instskip(NEXT) | instid1(SALU_CYCLE_1)
	s_ashr_i32 s29, s28, 31
	s_lshl_b64 s[28:29], s[28:29], 2
	s_delay_alu instid0(SALU_CYCLE_1) | instskip(SKIP_2) | instid1(SALU_CYCLE_1)
	s_add_u32 s42, s36, s28
	s_addc_u32 s43, s35, s29
	s_or_b32 s28, s12, 0x80
	s_ashr_i32 s29, s28, 4
	s_cmp_lt_i32 s28, s33
	;; [unrolled: 10-line block ×3, first 2 shown]
	s_cselect_b32 s28, s29, s13
	s_delay_alu instid0(SALU_CYCLE_1) | instskip(NEXT) | instid1(SALU_CYCLE_1)
	s_ashr_i32 s29, s28, 31
	s_lshl_b64 s[28:29], s[28:29], 2
	s_delay_alu instid0(SALU_CYCLE_1)
	s_add_u32 s46, s36, s28
	s_addc_u32 s47, s35, s29
	s_clause 0x5
	s_load_b32 s29, s[2:3], 0x0
	s_load_b32 s2, s[26:27], 0x0
	;; [unrolled: 1-line block ×6, first 2 shown]
	s_or_b32 s39, s12, 0xc0
	s_delay_alu instid0(SALU_CYCLE_1) | instskip(SKIP_2) | instid1(SALU_CYCLE_1)
	s_ashr_i32 s40, s39, 4
	s_cmp_lt_i32 s39, s33
	s_cselect_b32 s40, s40, s13
	s_ashr_i32 s41, s40, 31
	s_delay_alu instid0(SALU_CYCLE_1) | instskip(NEXT) | instid1(SALU_CYCLE_1)
	s_lshl_b64 s[40:41], s[40:41], 2
	s_add_u32 s40, s36, s40
	s_addc_u32 s41, s35, s41
	s_or_b32 s39, s12, 0xe0
	s_delay_alu instid0(SALU_CYCLE_1) | instskip(SKIP_2) | instid1(SALU_CYCLE_1)
	s_ashr_i32 s42, s39, 4
	s_cmp_lt_i32 s39, s33
	s_cselect_b32 s42, s42, s13
	s_ashr_i32 s43, s42, 31
	s_delay_alu instid0(SALU_CYCLE_1)
	s_lshl_b64 s[42:43], s[42:43], 2
	s_waitcnt vmcnt(1)
	v_mad_i64_i32 v[3:4], null, v5, s25, v[1:2]
	s_waitcnt vmcnt(0)
	v_mad_i64_i32 v[5:6], null, v7, s25, v[1:2]
	s_clause 0x7
	global_load_b128 v[75:78], v[3:4], off
	global_load_b128 v[79:82], v[3:4], off offset:256
	global_load_b128 v[83:86], v[5:6], off
	global_load_b128 v[87:90], v[5:6], off offset:256
	global_load_b128 v[91:94], v[3:4], off offset:512
	global_load_b128 v[95:98], v[3:4], off offset:768
	global_load_b128 v[99:102], v[5:6], off offset:512
	global_load_b128 v[103:106], v[5:6], off offset:768
	v_lshl_or_b32 v1, v65, 8, v74
	s_load_b32 s13, s[40:41], 0x0
	s_add_u32 s40, s36, s42
	s_addc_u32 s41, s35, s43
	s_add_u32 s30, s30, s37
	s_addc_u32 s31, s31, s38
	v_add_co_u32 v1, s30, s30, v1
	s_delay_alu instid0(VALU_DEP_1) | instskip(SKIP_3) | instid1(VALU_DEP_1)
	v_add_co_ci_u32_e64 v2, null, s31, 0, s30
	s_load_b32 s30, s[40:41], 0x0
	s_mov_b32 s36, 0
	s_waitcnt lgkmcnt(0)
	v_mad_i64_i32 v[3:4], null, s29, s25, v[1:2]
	v_mad_i64_i32 v[9:10], null, s26, s25, v[1:2]
	;; [unrolled: 1-line block ×7, first 2 shown]
	s_clause 0x5
	global_load_b128 v[49:52], v[3:4], off
	global_load_b128 v[53:56], v[3:4], off offset:16
	global_load_b128 v[41:44], v[5:6], off
	global_load_b128 v[45:48], v[5:6], off offset:16
	;; [unrolled: 2-line block ×3, first 2 shown]
	s_mov_b32 s43, s36
	s_mov_b32 s37, s36
	v_mad_i64_i32 v[61:62], null, s30, s25, v[1:2]
	s_clause 0x9
	global_load_b128 v[25:28], v[9:10], off
	global_load_b128 v[29:32], v[9:10], off offset:16
	global_load_b128 v[1:4], v[11:12], off
	global_load_b128 v[5:8], v[11:12], off offset:16
	global_load_b128 v[9:12], v[13:14], off
	global_load_b128 v[13:16], v[13:14], off offset:16
	global_load_b128 v[17:20], v[21:22], off
	global_load_b128 v[21:24], v[21:22], off offset:16
	global_load_b128 v[57:60], v[61:62], off
	global_load_b128 v[61:64], v[61:62], off offset:16
	s_mov_b32 s38, s36
	s_mov_b32 s39, s36
	;; [unrolled: 1-line block ×5, first 2 shown]
	v_dual_mov_b32 v111, s20 :: v_dual_mov_b32 v122, s43
	v_dual_mov_b32 v109, s18 :: v_dual_mov_b32 v120, s41
	;; [unrolled: 1-line block ×4, first 2 shown]
	v_mov_b32_e32 v119, s40
	v_mov_b32_e32 v117, s38
	;; [unrolled: 1-line block ×3, first 2 shown]
	s_waitcnt vmcnt(0)
	s_barrier
	buffer_gl0_inv
	v_wmma_f32_16x16x16_bf16 v[123:130], v[75:82], v[107:114], v[115:122]
	v_bfe_u32 v75, v0, 4, 1
	v_wmma_f32_16x16x16_bf16 v[115:122], v[83:90], v[107:114], v[115:122]
	v_dual_mov_b32 v83, s11 :: v_dual_mov_b32 v80, s8
	v_mov_b32_e32 v82, s10
	s_delay_alu instid0(VALU_DEP_4) | instskip(SKIP_3) | instid1(VALU_DEP_4)
	v_or_b32_e32 v66, v66, v75
	v_dual_mov_b32 v81, s9 :: v_dual_mov_b32 v78, s6
	v_dual_mov_b32 v79, s7 :: v_dual_mov_b32 v76, s4
	v_mov_b32_e32 v77, s5
	v_or_b32_e32 v69, 4, v66
	v_or_b32_e32 v70, 6, v66
	;; [unrolled: 1-line block ×3, first 2 shown]
	v_cmp_gt_i32_e64 s2, s33, v66
	v_wmma_f32_16x16x16_bf16 v[123:130], v[91:98], v[76:83], v[123:130]
	v_cndmask_b32_e32 v67, v67, v68, vcc_lo
	v_or_b32_e32 v68, 2, v66
	v_wmma_f32_16x16x16_bf16 v[115:122], v[99:106], v[76:83], v[115:122]
	v_or_b32_e32 v72, 10, v66
	v_dual_mul_f32 v82, s24, v126 :: v_dual_mul_f32 v81, s24, v127
	v_dual_mul_f32 v92, s24, v124 :: v_dual_mul_f32 v93, s24, v123
	s_delay_alu instid0(VALU_DEP_4) | instskip(SKIP_2) | instid1(VALU_DEP_4)
	v_mul_f32_e32 v96, s24, v120
	v_cmp_gt_i32_e32 vcc_lo, s33, v68
	v_dual_mul_f32 v83, s24, v125 :: v_dual_mul_f32 v94, s24, v122
	v_cndmask_b32_e64 v93, 0xff7fffff, v93, s2
	v_cmp_gt_i32_e64 s3, s33, v69
	v_cndmask_b32_e32 v92, 0xff7fffff, v92, vcc_lo
	v_cmp_gt_i32_e64 s4, s33, v70
	v_cmp_gt_i32_e64 s5, s33, v71
	v_or_b32_e32 v84, 12, v66
	v_or_b32_e32 v85, 14, v66
	v_dual_mul_f32 v79, s24, v129 :: v_dual_mul_f32 v80, s24, v128
	v_cndmask_b32_e64 v69, 0xff7fffff, v83, s3
	v_cndmask_b32_e64 v70, 0xff7fffff, v82, s4
	;; [unrolled: 1-line block ×3, first 2 shown]
	v_cmp_gt_i32_e64 s6, s33, v72
	v_lshlrev_b32_e32 v81, 2, v67
	v_max3_f32 v82, v93, 0xff7fffff, v92
	v_or_b32_e32 v86, 16, v66
	v_or_b32_e32 v87, 18, v66
	v_mul_f32_e32 v78, s24, v130
	v_cndmask_b32_e64 v72, 0xff7fffff, v80, s6
	v_max3_f32 v69, v82, v69, v70
	v_cmp_gt_i32_e64 s7, s33, v84
	v_cmp_gt_i32_e64 s8, s33, v85
	v_or_b32_e32 v88, 20, v66
	v_or_b32_e32 v89, 22, v66
	;; [unrolled: 1-line block ×6, first 2 shown]
	v_dual_mul_f32 v97, s24, v119 :: v_dual_mul_f32 v68, s24, v116
	v_dual_mul_f32 v99, s24, v117 :: v_dual_mul_f32 v66, s24, v115
	v_cndmask_b32_e64 v70, 0xff7fffff, v79, s7
	v_cndmask_b32_e64 v78, 0xff7fffff, v78, s8
	v_max3_f32 v69, v69, v71, v72
	v_cmp_gt_i32_e64 s9, s33, v86
	v_cmp_gt_i32_e64 s10, s33, v87
	v_dual_mul_f32 v95, s24, v121 :: v_dual_mul_f32 v98, s24, v118
	s_delay_alu instid0(VALU_DEP_4) | instskip(NEXT) | instid1(VALU_DEP_4)
	v_max3_f32 v69, v69, v70, v78
	v_cndmask_b32_e64 v66, 0xff7fffff, v66, s9
	s_delay_alu instid0(VALU_DEP_4)
	v_cndmask_b32_e64 v68, 0xff7fffff, v68, s10
	v_cmp_gt_i32_e64 s11, s33, v88
	v_cmp_gt_i32_e64 s12, s33, v89
	;; [unrolled: 1-line block ×4, first 2 shown]
	v_max3_f32 v66, v69, v66, v68
	v_cndmask_b32_e64 v70, 0xff7fffff, v99, s11
	v_cndmask_b32_e64 v71, 0xff7fffff, v98, s12
	;; [unrolled: 1-line block ×4, first 2 shown]
	v_cmp_gt_i32_e64 s17, s33, v76
	v_cmp_gt_i32_e64 s18, s33, v77
	v_max3_f32 v66, v66, v70, v71
	s_delay_alu instid0(VALU_DEP_3) | instskip(NEXT) | instid1(VALU_DEP_3)
	v_cndmask_b32_e64 v70, 0xff7fffff, v95, s17
	v_cndmask_b32_e64 v71, 0xff7fffff, v94, s18
	s_delay_alu instid0(VALU_DEP_3) | instskip(NEXT) | instid1(VALU_DEP_1)
	v_max3_f32 v66, v66, v68, v69
	v_max3_f32 v66, v66, v70, v71
	ds_bpermute_b32 v67, v81, v66
	s_waitcnt lgkmcnt(0)
	v_max_f32_e32 v67, v67, v67
	s_delay_alu instid0(VALU_DEP_1) | instskip(NEXT) | instid1(VALU_DEP_1)
	v_max_f32_e32 v66, v66, v67
	v_fma_f32 v69, s24, v125, -v66
	s_delay_alu instid0(VALU_DEP_1)
	v_mul_f32_e32 v69, 0x3fb8aa3b, v69
	v_fma_f32 v67, s24, v123, -v66
	v_fma_f32 v68, s24, v124, -v66
	v_fma_f32 v70, s24, v126, -v66
	v_fma_f32 v71, s24, v127, -v66
	v_exp_f32_e32 v69, v69
	s_delay_alu instid0(VALU_DEP_3) | instskip(NEXT) | instid1(VALU_DEP_3)
	v_dual_mul_f32 v67, 0x3fb8aa3b, v67 :: v_dual_mul_f32 v68, 0x3fb8aa3b, v68
	v_mul_f32_e32 v70, 0x3fb8aa3b, v70
	v_fma_f32 v72, s24, v129, -v66
	v_fma_f32 v77, s24, v119, -v66
	s_delay_alu instid0(VALU_DEP_4)
	v_exp_f32_e32 v67, v67
	v_exp_f32_e32 v68, v68
	v_mul_f32_e32 v71, 0x3fb8aa3b, v71
	v_exp_f32_e32 v70, v70
	v_cndmask_b32_e64 v82, 0, v69, s3
	v_fma_f32 v69, s24, v130, -v66
	v_fma_f32 v88, s24, v122, -v66
	s_mov_b32 s3, exec_lo
	v_mul_f32_e32 v77, 0x3fb8aa3b, v77
	s_delay_alu instid0(TRANS32_DEP_3) | instskip(NEXT) | instid1(TRANS32_DEP_2)
	v_cndmask_b32_e64 v80, 0, v67, s2
	v_cndmask_b32_e32 v76, 0, v68, vcc_lo
	v_fma_f32 v67, s24, v128, -v66
	v_exp_f32_e32 v71, v71
	v_cndmask_b32_e64 v84, 0, v70, s4
	v_dual_add_f32 v68, 0, v80 :: v_dual_mul_f32 v69, 0x3fb8aa3b, v69
	s_delay_alu instid0(VALU_DEP_3) | instskip(SKIP_2) | instid1(VALU_DEP_3)
	v_mul_f32_e32 v67, 0x3fb8aa3b, v67
	v_fma_f32 v70, s24, v115, -v66
	v_exp_f32_e32 v77, v77
	v_add_f32_e32 v68, v68, v76
	v_exp_f32_e32 v69, v69
	v_exp_f32_e32 v67, v67
	v_cndmask_b32_e64 v85, 0, v71, s5
	v_fma_f32 v71, s24, v116, -v66
	v_add_f32_e32 v68, v68, v82
	s_delay_alu instid0(VALU_DEP_2)
	v_dual_mul_f32 v88, 0x3fb8aa3b, v88 :: v_dual_mul_f32 v71, 0x3fb8aa3b, v71
	s_waitcnt_depctr 0xfff
	v_cndmask_b32_e64 v87, 0, v69, s8
	v_cndmask_b32_e64 v86, 0, v67, s6
	v_add_f32_e32 v68, v68, v84
	v_mul_f32_e32 v72, 0x3fb8aa3b, v72
	v_exp_f32_e32 v71, v71
	s_delay_alu instid0(VALU_DEP_2) | instskip(NEXT) | instid1(VALU_DEP_2)
	v_add_f32_e32 v67, v68, v85
	v_exp_f32_e32 v72, v72
	v_fma_f32 v68, s24, v117, -v66
	s_delay_alu instid0(VALU_DEP_2) | instskip(SKIP_4) | instid1(VALU_DEP_3)
	v_add_f32_e32 v67, v67, v86
	s_waitcnt_depctr 0xfff
	v_cndmask_b32_e64 v83, 0, v72, s7
	v_mul_f32_e32 v70, 0x3fb8aa3b, v70
	v_fma_f32 v72, s24, v118, -v66
	v_add_f32_e32 v67, v67, v83
	s_delay_alu instid0(VALU_DEP_3) | instskip(SKIP_1) | instid1(VALU_DEP_2)
	v_exp_f32_e32 v70, v70
	v_mul_f32_e32 v68, 0x3fb8aa3b, v68
	v_dual_mul_f32 v72, 0x3fb8aa3b, v72 :: v_dual_add_f32 v67, v67, v87
	s_delay_alu instid0(VALU_DEP_2) | instskip(NEXT) | instid1(VALU_DEP_1)
	v_exp_f32_e32 v78, v68
	v_exp_f32_e32 v72, v72
	v_cndmask_b32_e64 v68, 0, v71, s10
	v_fma_f32 v71, s24, v121, -v66
	s_delay_alu instid0(TRANS32_DEP_3) | instskip(SKIP_1) | instid1(VALU_DEP_2)
	v_cndmask_b32_e64 v69, 0, v70, s9
	v_fma_f32 v70, s24, v120, -v66
	v_add_f32_e32 v67, v67, v69
	s_delay_alu instid0(VALU_DEP_2) | instskip(NEXT) | instid1(TRANS32_DEP_2)
	v_mul_f32_e32 v79, 0x3fb8aa3b, v70
	v_cndmask_b32_e64 v70, 0, v78, s11
	v_mul_f32_e32 v78, 0x3fb8aa3b, v71
	s_delay_alu instid0(TRANS32_DEP_1) | instskip(SKIP_4) | instid1(VALU_DEP_2)
	v_cndmask_b32_e64 v71, 0, v72, s12
	v_add_f32_e32 v67, v67, v68
	v_exp_f32_e32 v79, v79
	v_cndmask_b32_e64 v72, 0, v77, s13
	v_exp_f32_e32 v78, v78
	v_add_f32_e32 v67, v67, v70
	s_waitcnt_depctr 0xfff
	v_cndmask_b32_e64 v77, 0, v79, s16
	v_exp_f32_e32 v79, v88
	v_dual_add_f32 v67, v67, v71 :: v_dual_and_b32 v88, 31, v0
	v_cndmask_b32_e64 v78, 0, v78, s17
	s_delay_alu instid0(VALU_DEP_2) | instskip(NEXT) | instid1(VALU_DEP_3)
	v_cmp_lt_u32_e64 s2, 15, v88
	v_add_f32_e32 v67, v67, v72
	s_waitcnt_depctr 0xfff
	v_cndmask_b32_e64 v79, 0, v79, s18
	v_add_f32_e32 v67, v67, v77
	s_delay_alu instid0(VALU_DEP_1) | instskip(NEXT) | instid1(VALU_DEP_1)
	v_add_f32_e32 v67, v67, v78
	v_add_f32_e32 v67, v67, v79
	ds_bpermute_b32 v81, v81, v67
	v_cmpx_gt_u32_e32 16, v88
	s_cbranch_execz .LBB1694_11
; %bb.10:
	v_mul_u32_u24_e32 v88, 0x44, v65
	s_waitcnt lgkmcnt(0)
	v_add_f32_e32 v67, v67, v81
	s_delay_alu instid0(VALU_DEP_2) | instskip(NEXT) | instid1(VALU_DEP_1)
	v_lshl_add_u32 v88, v73, 2, v88
	v_add_nc_u32_e32 v81, 0x4000, v88
	ds_store_2addr_b32 v81, v66, v67 offset1:136
.LBB1694_11:
	s_or_b32 exec_lo, exec_lo, s3
	v_lshlrev_b32_e32 v66, 2, v73
	s_waitcnt lgkmcnt(0)
	s_barrier
	buffer_gl0_inv
	v_cmp_eq_u32_e32 vcc_lo, 1, v65
	v_add_nc_u32_e32 v81, 0x4000, v66
	v_cmp_eq_u32_e64 s3, 2, v65
	v_cmp_eq_u32_e64 s5, 7, v65
	ds_load_2addr_b32 v[88:89], v81 offset1:17
	ds_load_2addr_b32 v[90:91], v81 offset0:34 offset1:51
	ds_load_2addr_b32 v[92:93], v81 offset0:68 offset1:85
	;; [unrolled: 1-line block ×4, first 2 shown]
	s_waitcnt lgkmcnt(4)
	v_max3_f32 v66, v88, 0xff7fffff, v89
	s_waitcnt lgkmcnt(3)
	s_delay_alu instid0(VALU_DEP_1) | instskip(SKIP_1) | instid1(VALU_DEP_1)
	v_max3_f32 v66, v66, v90, v91
	s_waitcnt lgkmcnt(2)
	v_max3_f32 v66, v66, v92, v93
	s_waitcnt lgkmcnt(1)
	s_delay_alu instid0(VALU_DEP_1) | instskip(NEXT) | instid1(VALU_DEP_1)
	v_max3_f32 v66, v66, v94, v95
	v_sub_f32_e32 v92, v92, v66
	s_delay_alu instid0(VALU_DEP_1) | instskip(NEXT) | instid1(VALU_DEP_1)
	v_dual_sub_f32 v67, v88, v66 :: v_dual_mul_f32 v102, 0x3fb8aa3b, v92
	v_mul_f32_e32 v67, 0x3fb8aa3b, v67
	s_delay_alu instid0(VALU_DEP_1)
	v_exp_f32_e32 v99, v67
	v_sub_f32_e32 v67, v91, v66
	v_sub_f32_e32 v98, v89, v66
	ds_load_2addr_b32 v[88:89], v81 offset0:170 offset1:187
	v_dual_mul_f32 v101, 0x3fb8aa3b, v67 :: v_dual_mul_f32 v98, 0x3fb8aa3b, v98
	s_waitcnt lgkmcnt(1)
	v_fma_f32 v67, v99, v96, 0
	s_delay_alu instid0(VALU_DEP_2) | instskip(NEXT) | instid1(VALU_DEP_2)
	v_exp_f32_e32 v101, v101
	v_exp_f32_e32 v98, v98
	s_waitcnt_depctr 0xfff
	v_fmac_f32_e32 v67, v98, v97
	v_sub_f32_e32 v90, v90, v66
	s_delay_alu instid0(VALU_DEP_1)
	v_mul_f32_e32 v100, 0x3fb8aa3b, v90
	ds_load_2addr_b32 v[90:91], v81 offset0:204 offset1:221
	v_sub_f32_e32 v96, v93, v66
	ds_load_2addr_b32 v[92:93], v81 offset0:238 offset1:255
	s_waitcnt lgkmcnt(0)
	v_exp_f32_e32 v100, v100
	s_barrier
	buffer_gl0_inv
	v_dual_fmac_f32 v67, v100, v88 :: v_dual_sub_f32 v88, v95, v66
	v_dual_sub_f32 v81, v94, v66 :: v_dual_mul_f32 v94, 0x3fb8aa3b, v96
	v_exp_f32_e32 v96, v102
	s_delay_alu instid0(VALU_DEP_2) | instskip(NEXT) | instid1(VALU_DEP_2)
	v_dual_fmac_f32 v67, v101, v89 :: v_dual_mul_f32 v88, 0x3fb8aa3b, v88
	v_mul_f32_e32 v81, 0x3fb8aa3b, v81
	s_delay_alu instid0(VALU_DEP_3) | instskip(NEXT) | instid1(VALU_DEP_2)
	v_exp_f32_e32 v94, v94
	v_exp_f32_e32 v88, v88
	s_delay_alu instid0(VALU_DEP_1)
	v_exp_f32_e32 v81, v81
	v_fmac_f32_e32 v67, v96, v90
	s_delay_alu instid0(TRANS32_DEP_3) | instid1(VALU_DEP_1)
	v_fmac_f32_e32 v67, v94, v91
	s_waitcnt_depctr 0xfff
	v_fmac_f32_e32 v67, v81, v92
	s_delay_alu instid0(VALU_DEP_1) | instskip(NEXT) | instid1(VALU_DEP_1)
	v_fmac_f32_e32 v67, v88, v93
	v_add_f32_e32 v89, 0x358637bd, v67
	s_delay_alu instid0(VALU_DEP_1) | instskip(NEXT) | instid1(VALU_DEP_1)
	v_div_scale_f32 v90, null, v89, v89, 1.0
	v_rcp_f32_e32 v91, v90
	s_waitcnt_depctr 0xfff
	v_fma_f32 v92, -v90, v91, 1.0
	s_delay_alu instid0(VALU_DEP_1) | instskip(SKIP_1) | instid1(VALU_DEP_2)
	v_dual_fmac_f32 v91, v92, v91 :: v_dual_cndmask_b32 v92, v99, v98
	v_cmp_eq_u32_e32 vcc_lo, 3, v65
	v_cndmask_b32_e64 v92, v92, v100, s3
	v_cmp_eq_u32_e64 s3, 4, v65
	s_delay_alu instid0(VALU_DEP_2) | instskip(SKIP_1) | instid1(VALU_DEP_2)
	v_cndmask_b32_e32 v92, v92, v101, vcc_lo
	v_cmp_eq_u32_e32 vcc_lo, 5, v65
	v_cndmask_b32_e64 v92, v92, v96, s3
	v_cmp_eq_u32_e64 s3, 6, v65
	s_delay_alu instid0(VALU_DEP_2) | instskip(SKIP_1) | instid1(VALU_DEP_1)
	v_cndmask_b32_e32 v92, v92, v94, vcc_lo
	v_div_scale_f32 v93, s4, 1.0, v89, 1.0
	s_mov_b32 vcc_lo, s4
	s_delay_alu instid0(VALU_DEP_2) | instskip(NEXT) | instid1(VALU_DEP_2)
	v_cndmask_b32_e64 v81, v92, v81, s3
	v_mul_f32_e32 v95, v93, v91
	s_mov_b32 s3, exec_lo
	s_delay_alu instid0(VALU_DEP_2) | instskip(NEXT) | instid1(VALU_DEP_2)
	v_cndmask_b32_e64 v81, v81, v88, s5
	v_fma_f32 v97, -v90, v95, v93
	s_delay_alu instid0(VALU_DEP_1) | instskip(NEXT) | instid1(VALU_DEP_1)
	v_fmac_f32_e32 v95, v97, v91
	v_fma_f32 v90, -v90, v95, v93
	s_delay_alu instid0(VALU_DEP_1) | instskip(NEXT) | instid1(VALU_DEP_1)
	v_div_fmas_f32 v90, v90, v91, v95
	v_div_fixup_f32 v89, v90, v89, 1.0
	s_delay_alu instid0(VALU_DEP_1) | instskip(NEXT) | instid1(VALU_DEP_1)
	v_mul_f32_e32 v81, v81, v89
	v_mul_f32_e32 v89, v81, v80
	;; [unrolled: 1-line block ×6, first 2 shown]
	v_and_b32_e32 v90, 0x7f800000, v89
	v_mul_f32_e32 v88, v81, v84
	v_mul_f32_e32 v85, v81, v82
	;; [unrolled: 1-line block ×3, first 2 shown]
                                        ; implicit-def: $vgpr76
	s_delay_alu instid0(VALU_DEP_4)
	v_cmpx_ne_u32_e32 0x7f800000, v90
	s_xor_b32 s3, exec_lo, s3
; %bb.12:
	v_bfe_u32 v76, v89, 16, 1
	s_delay_alu instid0(VALU_DEP_1)
	v_add3_u32 v76, v89, v76, 0x7fff
                                        ; implicit-def: $vgpr89
; %bb.13:
	s_and_not1_saveexec_b32 s3, s3
; %bb.14:
	v_and_b32_e32 v76, 0xffff, v89
	v_or_b32_e32 v82, 0x10000, v89
	s_delay_alu instid0(VALU_DEP_2) | instskip(NEXT) | instid1(VALU_DEP_2)
	v_cmp_eq_u32_e32 vcc_lo, 0, v76
	v_cndmask_b32_e32 v76, v82, v89, vcc_lo
; %bb.15:
	s_or_b32 exec_lo, exec_lo, s3
	v_and_b32_e32 v82, 0x7f800000, v84
	s_delay_alu instid0(VALU_DEP_1) | instskip(SKIP_1) | instid1(SALU_CYCLE_1)
	v_cmp_ne_u32_e32 vcc_lo, 0x7f800000, v82
                                        ; implicit-def: $vgpr82
	s_and_saveexec_b32 s3, vcc_lo
	s_xor_b32 s3, exec_lo, s3
; %bb.16:
	v_bfe_u32 v82, v84, 16, 1
	s_delay_alu instid0(VALU_DEP_1)
	v_add3_u32 v82, v84, v82, 0x7fff
                                        ; implicit-def: $vgpr84
; %bb.17:
	s_and_not1_saveexec_b32 s3, s3
; %bb.18:
	v_and_b32_e32 v82, 0xffff, v84
	v_or_b32_e32 v89, 0x10000, v84
	s_delay_alu instid0(VALU_DEP_2) | instskip(NEXT) | instid1(VALU_DEP_2)
	v_cmp_eq_u32_e32 vcc_lo, 0, v82
	v_cndmask_b32_e32 v82, v89, v84, vcc_lo
; %bb.19:
	s_or_b32 exec_lo, exec_lo, s3
	v_and_b32_e32 v84, 0x7f800000, v85
	s_delay_alu instid0(VALU_DEP_1) | instskip(SKIP_1) | instid1(SALU_CYCLE_1)
	v_cmp_ne_u32_e32 vcc_lo, 0x7f800000, v84
                                        ; implicit-def: $vgpr84
	s_and_saveexec_b32 s3, vcc_lo
	s_xor_b32 s3, exec_lo, s3
; %bb.20:
	v_bfe_u32 v84, v85, 16, 1
	s_delay_alu instid0(VALU_DEP_1)
	v_add3_u32 v84, v85, v84, 0x7fff
                                        ; implicit-def: $vgpr85
; %bb.21:
	s_and_not1_saveexec_b32 s3, s3
; %bb.22:
	v_and_b32_e32 v84, 0xffff, v85
	v_or_b32_e32 v89, 0x10000, v85
	s_delay_alu instid0(VALU_DEP_2) | instskip(NEXT) | instid1(VALU_DEP_2)
	v_cmp_eq_u32_e32 vcc_lo, 0, v84
	v_cndmask_b32_e32 v84, v89, v85, vcc_lo
; %bb.23:
	s_or_b32 exec_lo, exec_lo, s3
	v_and_b32_e32 v85, 0x7f800000, v88
	s_delay_alu instid0(VALU_DEP_1) | instskip(SKIP_1) | instid1(SALU_CYCLE_1)
	v_cmp_ne_u32_e32 vcc_lo, 0x7f800000, v85
                                        ; implicit-def: $vgpr85
	s_and_saveexec_b32 s3, vcc_lo
	s_xor_b32 s3, exec_lo, s3
; %bb.24:
	v_bfe_u32 v85, v88, 16, 1
	s_delay_alu instid0(VALU_DEP_1)
	v_add3_u32 v85, v88, v85, 0x7fff
                                        ; implicit-def: $vgpr88
; %bb.25:
	s_and_not1_saveexec_b32 s3, s3
; %bb.26:
	v_and_b32_e32 v85, 0xffff, v88
	v_or_b32_e32 v89, 0x10000, v88
	s_delay_alu instid0(VALU_DEP_2) | instskip(NEXT) | instid1(VALU_DEP_2)
	v_cmp_eq_u32_e32 vcc_lo, 0, v85
	v_cndmask_b32_e32 v85, v89, v88, vcc_lo
; %bb.27:
	s_or_b32 exec_lo, exec_lo, s3
	v_and_b32_e32 v88, 0x7f800000, v87
	s_delay_alu instid0(VALU_DEP_1) | instskip(SKIP_1) | instid1(SALU_CYCLE_1)
	v_cmp_ne_u32_e32 vcc_lo, 0x7f800000, v88
                                        ; implicit-def: $vgpr88
	s_and_saveexec_b32 s3, vcc_lo
	s_xor_b32 s3, exec_lo, s3
; %bb.28:
	v_bfe_u32 v88, v87, 16, 1
	s_delay_alu instid0(VALU_DEP_1)
	v_add3_u32 v88, v87, v88, 0x7fff
                                        ; implicit-def: $vgpr87
; %bb.29:
	s_and_not1_saveexec_b32 s3, s3
; %bb.30:
	v_and_b32_e32 v88, 0xffff, v87
	v_or_b32_e32 v89, 0x10000, v87
	s_delay_alu instid0(VALU_DEP_2) | instskip(NEXT) | instid1(VALU_DEP_2)
	v_cmp_eq_u32_e32 vcc_lo, 0, v88
	v_cndmask_b32_e32 v88, v89, v87, vcc_lo
; %bb.31:
	s_or_b32 exec_lo, exec_lo, s3
	v_and_b32_e32 v87, 0x7f800000, v86
	s_delay_alu instid0(VALU_DEP_1) | instskip(SKIP_1) | instid1(SALU_CYCLE_1)
	v_cmp_ne_u32_e32 vcc_lo, 0x7f800000, v87
                                        ; implicit-def: $vgpr87
	s_and_saveexec_b32 s3, vcc_lo
	s_xor_b32 s3, exec_lo, s3
; %bb.32:
	v_bfe_u32 v87, v86, 16, 1
	s_delay_alu instid0(VALU_DEP_1)
	v_add3_u32 v87, v86, v87, 0x7fff
                                        ; implicit-def: $vgpr86
; %bb.33:
	s_and_not1_saveexec_b32 s3, s3
; %bb.34:
	v_and_b32_e32 v87, 0xffff, v86
	v_or_b32_e32 v89, 0x10000, v86
	s_delay_alu instid0(VALU_DEP_2) | instskip(NEXT) | instid1(VALU_DEP_2)
	v_cmp_eq_u32_e32 vcc_lo, 0, v87
	v_cndmask_b32_e32 v87, v89, v86, vcc_lo
; %bb.35:
	s_or_b32 exec_lo, exec_lo, s3
	v_and_b32_e32 v86, 0x7f800000, v83
	s_delay_alu instid0(VALU_DEP_1) | instskip(SKIP_1) | instid1(SALU_CYCLE_1)
	v_cmp_ne_u32_e32 vcc_lo, 0x7f800000, v86
                                        ; implicit-def: $vgpr86
	s_and_saveexec_b32 s3, vcc_lo
	s_xor_b32 s3, exec_lo, s3
; %bb.36:
	v_bfe_u32 v86, v83, 16, 1
	s_delay_alu instid0(VALU_DEP_1)
	v_add3_u32 v86, v83, v86, 0x7fff
                                        ; implicit-def: $vgpr83
; %bb.37:
	s_and_not1_saveexec_b32 s3, s3
; %bb.38:
	v_and_b32_e32 v86, 0xffff, v83
	v_or_b32_e32 v89, 0x10000, v83
	s_delay_alu instid0(VALU_DEP_2) | instskip(NEXT) | instid1(VALU_DEP_2)
	v_cmp_eq_u32_e32 vcc_lo, 0, v86
	v_cndmask_b32_e32 v86, v89, v83, vcc_lo
; %bb.39:
	s_or_b32 exec_lo, exec_lo, s3
	v_and_b32_e32 v83, 0x7f800000, v80
	s_delay_alu instid0(VALU_DEP_1) | instskip(SKIP_1) | instid1(SALU_CYCLE_1)
	v_cmp_ne_u32_e32 vcc_lo, 0x7f800000, v83
                                        ; implicit-def: $vgpr83
	s_and_saveexec_b32 s3, vcc_lo
	s_xor_b32 s3, exec_lo, s3
; %bb.40:
	v_bfe_u32 v83, v80, 16, 1
	s_delay_alu instid0(VALU_DEP_1)
	v_add3_u32 v83, v80, v83, 0x7fff
                                        ; implicit-def: $vgpr80
; %bb.41:
	s_and_not1_saveexec_b32 s3, s3
; %bb.42:
	v_and_b32_e32 v83, 0xffff, v80
	v_or_b32_e32 v89, 0x10000, v80
	s_delay_alu instid0(VALU_DEP_2) | instskip(NEXT) | instid1(VALU_DEP_2)
	v_cmp_eq_u32_e32 vcc_lo, 0, v83
	v_cndmask_b32_e32 v83, v89, v80, vcc_lo
; %bb.43:
	s_or_b32 exec_lo, exec_lo, s3
	s_load_b64 s[36:37], s[0:1], 0x94
	v_lshlrev_b32_e32 v90, 4, v75
	s_delay_alu instid0(VALU_DEP_2)
	v_perm_b32 v89, v83, v86, 0x7060302
	v_mul_f32_e32 v83, v81, v69
	v_dual_mul_f32 v69, v81, v79 :: v_dual_lshlrev_b32 v80, 6, v73
	v_dual_mul_f32 v78, v81, v78 :: v_dual_lshlrev_b32 v91, 11, v65
	v_perm_b32 v88, v87, v88, 0x7060302
	v_perm_b32 v87, v85, v84, 0x7060302
	;; [unrolled: 1-line block ×3, first 2 shown]
	s_delay_alu instid0(VALU_DEP_4)
	v_or3_b32 v76, v90, v91, v80
	v_dual_mul_f32 v77, v81, v77 :: v_dual_and_b32 v84, 0x7f800000, v83
	v_mul_f32_e32 v72, v81, v72
	v_mul_f32_e32 v82, v81, v71
	;; [unrolled: 1-line block ×4, first 2 shown]
	s_mov_b32 s3, exec_lo
	ds_store_b128 v76, v[86:89]
                                        ; implicit-def: $vgpr68
	v_cmpx_ne_u32_e32 0x7f800000, v84
	s_xor_b32 s3, exec_lo, s3
; %bb.44:
	v_bfe_u32 v68, v83, 16, 1
	s_delay_alu instid0(VALU_DEP_1)
	v_add3_u32 v68, v83, v68, 0x7fff
                                        ; implicit-def: $vgpr83
; %bb.45:
	s_and_not1_saveexec_b32 s3, s3
; %bb.46:
	v_and_b32_e32 v68, 0xffff, v83
	v_or_b32_e32 v70, 0x10000, v83
	s_delay_alu instid0(VALU_DEP_2) | instskip(NEXT) | instid1(VALU_DEP_2)
	v_cmp_eq_u32_e32 vcc_lo, 0, v68
	v_cndmask_b32_e32 v68, v70, v83, vcc_lo
; %bb.47:
	s_or_b32 exec_lo, exec_lo, s3
	v_and_b32_e32 v70, 0x7f800000, v71
	s_delay_alu instid0(VALU_DEP_1) | instskip(SKIP_1) | instid1(SALU_CYCLE_1)
	v_cmp_ne_u32_e32 vcc_lo, 0x7f800000, v70
                                        ; implicit-def: $vgpr70
	s_and_saveexec_b32 s3, vcc_lo
	s_xor_b32 s3, exec_lo, s3
; %bb.48:
	v_bfe_u32 v70, v71, 16, 1
	s_delay_alu instid0(VALU_DEP_1)
	v_add3_u32 v70, v71, v70, 0x7fff
                                        ; implicit-def: $vgpr71
; %bb.49:
	s_and_not1_saveexec_b32 s3, s3
; %bb.50:
	v_and_b32_e32 v70, 0xffff, v71
	v_or_b32_e32 v81, 0x10000, v71
	s_delay_alu instid0(VALU_DEP_2) | instskip(NEXT) | instid1(VALU_DEP_2)
	v_cmp_eq_u32_e32 vcc_lo, 0, v70
	v_cndmask_b32_e32 v70, v81, v71, vcc_lo
; %bb.51:
	s_or_b32 exec_lo, exec_lo, s3
	v_and_b32_e32 v71, 0x7f800000, v79
	s_delay_alu instid0(VALU_DEP_1) | instskip(SKIP_1) | instid1(SALU_CYCLE_1)
	v_cmp_ne_u32_e32 vcc_lo, 0x7f800000, v71
                                        ; implicit-def: $vgpr71
	s_and_saveexec_b32 s3, vcc_lo
	s_xor_b32 s3, exec_lo, s3
; %bb.52:
	v_bfe_u32 v71, v79, 16, 1
	s_delay_alu instid0(VALU_DEP_1)
	v_add3_u32 v71, v79, v71, 0x7fff
                                        ; implicit-def: $vgpr79
; %bb.53:
	s_and_not1_saveexec_b32 s3, s3
; %bb.54:
	v_and_b32_e32 v71, 0xffff, v79
	v_or_b32_e32 v81, 0x10000, v79
	s_delay_alu instid0(VALU_DEP_2) | instskip(NEXT) | instid1(VALU_DEP_2)
	v_cmp_eq_u32_e32 vcc_lo, 0, v71
	v_cndmask_b32_e32 v71, v81, v79, vcc_lo
; %bb.55:
	s_or_b32 exec_lo, exec_lo, s3
	v_and_b32_e32 v79, 0x7f800000, v82
	s_delay_alu instid0(VALU_DEP_1) | instskip(SKIP_1) | instid1(SALU_CYCLE_1)
	v_cmp_ne_u32_e32 vcc_lo, 0x7f800000, v79
                                        ; implicit-def: $vgpr79
	s_and_saveexec_b32 s3, vcc_lo
	s_xor_b32 s3, exec_lo, s3
; %bb.56:
	v_bfe_u32 v79, v82, 16, 1
	s_delay_alu instid0(VALU_DEP_1)
	v_add3_u32 v79, v82, v79, 0x7fff
                                        ; implicit-def: $vgpr82
; %bb.57:
	s_and_not1_saveexec_b32 s3, s3
; %bb.58:
	v_and_b32_e32 v79, 0xffff, v82
	v_or_b32_e32 v81, 0x10000, v82
	s_delay_alu instid0(VALU_DEP_2) | instskip(NEXT) | instid1(VALU_DEP_2)
	v_cmp_eq_u32_e32 vcc_lo, 0, v79
	v_cndmask_b32_e32 v79, v81, v82, vcc_lo
; %bb.59:
	s_or_b32 exec_lo, exec_lo, s3
	v_and_b32_e32 v81, 0x7f800000, v72
	s_delay_alu instid0(VALU_DEP_1) | instskip(SKIP_1) | instid1(SALU_CYCLE_1)
	v_cmp_ne_u32_e32 vcc_lo, 0x7f800000, v81
                                        ; implicit-def: $vgpr81
	s_and_saveexec_b32 s3, vcc_lo
	s_xor_b32 s3, exec_lo, s3
; %bb.60:
	v_bfe_u32 v81, v72, 16, 1
	s_delay_alu instid0(VALU_DEP_1)
	v_add3_u32 v81, v72, v81, 0x7fff
                                        ; implicit-def: $vgpr72
; %bb.61:
	s_and_not1_saveexec_b32 s3, s3
; %bb.62:
	v_and_b32_e32 v81, 0xffff, v72
	v_or_b32_e32 v82, 0x10000, v72
	s_delay_alu instid0(VALU_DEP_2) | instskip(NEXT) | instid1(VALU_DEP_2)
	v_cmp_eq_u32_e32 vcc_lo, 0, v81
	v_cndmask_b32_e32 v81, v82, v72, vcc_lo
; %bb.63:
	s_or_b32 exec_lo, exec_lo, s3
	v_and_b32_e32 v72, 0x7f800000, v77
	s_delay_alu instid0(VALU_DEP_1) | instskip(SKIP_1) | instid1(SALU_CYCLE_1)
	v_cmp_ne_u32_e32 vcc_lo, 0x7f800000, v72
                                        ; implicit-def: $vgpr72
	s_and_saveexec_b32 s3, vcc_lo
	s_xor_b32 s3, exec_lo, s3
; %bb.64:
	v_bfe_u32 v72, v77, 16, 1
	s_delay_alu instid0(VALU_DEP_1)
	v_add3_u32 v72, v77, v72, 0x7fff
                                        ; implicit-def: $vgpr77
; %bb.65:
	s_and_not1_saveexec_b32 s3, s3
; %bb.66:
	v_and_b32_e32 v72, 0xffff, v77
	v_or_b32_e32 v82, 0x10000, v77
	s_delay_alu instid0(VALU_DEP_2) | instskip(NEXT) | instid1(VALU_DEP_2)
	v_cmp_eq_u32_e32 vcc_lo, 0, v72
	v_cndmask_b32_e32 v72, v82, v77, vcc_lo
; %bb.67:
	s_or_b32 exec_lo, exec_lo, s3
	v_and_b32_e32 v77, 0x7f800000, v78
	s_delay_alu instid0(VALU_DEP_1) | instskip(SKIP_1) | instid1(SALU_CYCLE_1)
	v_cmp_ne_u32_e32 vcc_lo, 0x7f800000, v77
                                        ; implicit-def: $vgpr77
	s_and_saveexec_b32 s3, vcc_lo
	s_xor_b32 s3, exec_lo, s3
; %bb.68:
	v_bfe_u32 v77, v78, 16, 1
	s_delay_alu instid0(VALU_DEP_1)
	v_add3_u32 v77, v78, v77, 0x7fff
                                        ; implicit-def: $vgpr78
; %bb.69:
	s_and_not1_saveexec_b32 s3, s3
; %bb.70:
	v_and_b32_e32 v77, 0xffff, v78
	v_or_b32_e32 v82, 0x10000, v78
	s_delay_alu instid0(VALU_DEP_2) | instskip(NEXT) | instid1(VALU_DEP_2)
	v_cmp_eq_u32_e32 vcc_lo, 0, v77
	v_cndmask_b32_e32 v77, v82, v78, vcc_lo
; %bb.71:
	s_or_b32 exec_lo, exec_lo, s3
	v_and_b32_e32 v78, 0x7f800000, v69
	s_delay_alu instid0(VALU_DEP_1) | instskip(SKIP_1) | instid1(SALU_CYCLE_1)
	v_cmp_ne_u32_e32 vcc_lo, 0x7f800000, v78
                                        ; implicit-def: $vgpr78
	s_and_saveexec_b32 s3, vcc_lo
	s_xor_b32 s3, exec_lo, s3
; %bb.72:
	v_bfe_u32 v78, v69, 16, 1
	s_delay_alu instid0(VALU_DEP_1)
	v_add3_u32 v78, v69, v78, 0x7fff
                                        ; implicit-def: $vgpr69
; %bb.73:
	s_and_not1_saveexec_b32 s3, s3
; %bb.74:
	v_and_b32_e32 v78, 0xffff, v69
	v_or_b32_e32 v82, 0x10000, v69
	s_delay_alu instid0(VALU_DEP_2) | instskip(NEXT) | instid1(VALU_DEP_2)
	v_cmp_eq_u32_e32 vcc_lo, 0, v78
	v_cndmask_b32_e32 v78, v82, v69, vcc_lo
; %bb.75:
	s_or_b32 exec_lo, exec_lo, s3
	s_delay_alu instid0(VALU_DEP_1)
	v_perm_b32 v86, v78, v77, 0x7060302
	v_perm_b32 v85, v72, v81, 0x7060302
	;; [unrolled: 1-line block ×4, first 2 shown]
	v_lshl_or_b32 v82, v65, 11, v80
	ds_store_b128 v76, v[83:86] offset:1024
	s_waitcnt lgkmcnt(0)
	s_barrier
	buffer_gl0_inv
	ds_load_b128 v[68:71], v82
	ds_load_b128 v[83:86], v82 offset:16
	s_waitcnt lgkmcnt(1)
	v_lshrrev_b32_e32 v65, 16, v68
	v_lshlrev_b32_e32 v78, 2, v75
	s_waitcnt lgkmcnt(0)
	v_lshrrev_b32_e32 v91, 16, v83
	v_lshrrev_b32_e32 v72, 16, v69
	;; [unrolled: 1-line block ×4, first 2 shown]
	v_cmp_eq_u32_e32 vcc_lo, 1, v78
	v_lshrrev_b32_e32 v98, 16, v85
	v_lshrrev_b32_e32 v96, 16, v71
	;; [unrolled: 1-line block ×3, first 2 shown]
	v_cndmask_b32_e32 v81, v68, v65, vcc_lo
	v_or_b32_e32 v79, 1, v78
	v_cmp_eq_u32_e64 s4, 2, v78
	v_cndmask_b32_e32 v87, v83, v91, vcc_lo
	v_cmp_eq_u32_e64 s7, 3, v78
	v_cmp_eq_u32_e64 s9, 4, v78
	v_cmp_eq_u32_e64 s3, 1, v79
	v_cndmask_b32_e64 v81, v81, v69, s4
	v_cmp_eq_u32_e64 s6, 2, v79
	v_cndmask_b32_e64 v87, v87, v84, s4
	v_cmp_eq_u32_e64 s8, 3, v79
	v_cndmask_b32_e64 v88, v68, v65, s3
	v_cndmask_b32_e64 v81, v81, v72, s7
	v_or_b32_e32 v77, 2, v78
	v_cndmask_b32_e64 v87, v87, v97, s7
	v_cndmask_b32_e64 v89, v83, v91, s3
	v_cndmask_b32_e64 v88, v88, v69, s6
	v_cndmask_b32_e64 v81, v81, v70, s9
	v_cmp_eq_u32_e64 s10, 5, v78
	v_cndmask_b32_e64 v87, v87, v85, s9
	v_cmp_eq_u32_e64 s11, 4, v79
	v_cndmask_b32_e64 v88, v88, v72, s8
	;; [unrolled: 2-line block ×3, first 2 shown]
	v_cndmask_b32_e64 v81, v81, v95, s10
	v_cmp_eq_u32_e64 s12, 6, v78
	v_cndmask_b32_e64 v88, v88, v70, s11
	v_cndmask_b32_e64 v87, v87, v98, s10
	v_cmp_eq_u32_e64 s13, 5, v79
	v_cndmask_b32_e64 v90, v68, v65, s5
	v_cndmask_b32_e64 v89, v89, v97, s8
	v_cndmask_b32_e64 v81, v81, v71, s12
	v_cmp_eq_u32_e64 s16, 7, v78
	v_cndmask_b32_e64 v88, v88, v95, s13
	v_cndmask_b32_e64 v87, v87, v86, s12
	v_cmp_eq_u32_e64 s17, 6, v79
	v_cmp_eq_u32_e64 s18, 2, v77
	v_cndmask_b32_e64 v89, v89, v85, s11
	v_cndmask_b32_e64 v100, v81, v96, s16
	;; [unrolled: 1-line block ×6, first 2 shown]
	v_cmp_eq_u32_e64 s19, 7, v79
	v_cmp_eq_u32_e64 s20, 3, v77
	;; [unrolled: 1-line block ×4, first 2 shown]
	v_cndmask_b32_e64 v87, v87, v84, s18
	v_cndmask_b32_e64 v102, v88, v96, s19
	v_cndmask_b32_e64 v88, v89, v98, s13
	v_cndmask_b32_e64 v89, v81, v72, s20
	v_or_b32_e32 v81, 3, v78
	v_cndmask_b32_e64 v93, v87, v97, s20
	v_cmp_eq_u32_e64 s25, 6, v77
	v_cndmask_b32_e64 v103, v88, v86, s17
	v_cndmask_b32_e64 v92, v89, v70, s21
	v_cmp_eq_u32_e64 s22, 1, v81
	ds_load_b128 v[87:90], v82 offset:1024
	v_cmp_eq_u32_e64 s24, 2, v81
	v_cmp_eq_u32_e64 s26, 3, v81
	v_cndmask_b32_e64 v104, v92, v95, s23
	v_cndmask_b32_e64 v65, v68, v65, s22
	;; [unrolled: 1-line block ×4, first 2 shown]
	ds_load_b128 v[91:94], v82 offset:1040
	v_cmp_eq_u32_e64 s27, 4, v81
	v_cndmask_b32_e64 v65, v65, v69, s24
	v_cmp_eq_u32_e64 s29, 5, v81
	v_cndmask_b32_e64 v69, v83, v84, s24
	v_cmp_eq_u32_e64 s28, 7, v77
	v_cmp_eq_u32_e64 s30, 6, v81
	v_cndmask_b32_e64 v65, v65, v72, s26
	v_cndmask_b32_e64 v72, v104, v71, s25
	;; [unrolled: 1-line block ×6, first 2 shown]
	s_waitcnt lgkmcnt(1)
	v_lshrrev_b32_e32 v84, 16, v87
	v_cndmask_b32_e64 v69, v69, v85, s27
	v_cndmask_b32_e64 v70, v72, v96, s28
	;; [unrolled: 1-line block ×4, first 2 shown]
	v_lshrrev_b32_e32 v95, 16, v88
	v_cndmask_b32_e64 v69, v69, v98, s29
	s_waitcnt lgkmcnt(0)
	v_lshrrev_b32_e32 v85, 16, v91
	v_cndmask_b32_e64 v97, v87, v84, s3
	v_cndmask_b32_e64 v65, v65, v71, s30
	;; [unrolled: 1-line block ×4, first 2 shown]
	v_cndmask_b32_e32 v72, v87, v84, vcc_lo
	v_cndmask_b32_e32 v98, v91, v85, vcc_lo
	v_cmp_eq_u32_e32 vcc_lo, 7, v81
	v_perm_b32 v70, v68, v70, 0x5040100
	v_cndmask_b32_e32 v65, v65, v96, vcc_lo
	v_cndmask_b32_e32 v69, v69, v99, vcc_lo
	v_cndmask_b32_e64 v72, v72, v88, s4
	v_cndmask_b32_e64 v86, v98, v92, s4
	v_lshrrev_b32_e32 v99, 16, v93
	v_lshrrev_b32_e32 v98, 16, v89
	s_delay_alu instid0(VALU_DEP_4) | instskip(SKIP_2) | instid1(VALU_DEP_3)
	v_cndmask_b32_e64 v71, v72, v95, s7
	v_cndmask_b32_e64 v72, v97, v88, s6
	v_lshrrev_b32_e32 v97, 16, v92
	v_cndmask_b32_e64 v71, v71, v89, s9
	s_delay_alu instid0(VALU_DEP_3) | instskip(NEXT) | instid1(VALU_DEP_3)
	v_cndmask_b32_e64 v72, v72, v95, s8
	v_cndmask_b32_e64 v86, v86, v97, s7
	s_delay_alu instid0(VALU_DEP_3) | instskip(SKIP_1) | instid1(VALU_DEP_3)
	v_cndmask_b32_e64 v96, v71, v98, s10
	v_perm_b32 v71, v69, v65, 0x5040100
	v_cndmask_b32_e64 v86, v86, v93, s9
	v_perm_b32 v69, v83, v102, 0x5040100
	v_cndmask_b32_e64 v102, v91, v85, s5
	v_cndmask_b32_e64 v72, v72, v89, s11
	v_lshrrev_b32_e32 v83, 16, v94
	v_cndmask_b32_e64 v86, v86, v99, s10
	s_delay_alu instid0(VALU_DEP_3) | instskip(SKIP_1) | instid1(VALU_DEP_3)
	v_cndmask_b32_e64 v65, v72, v98, s13
	v_cndmask_b32_e64 v72, v96, v90, s12
	;; [unrolled: 1-line block ×7, first 2 shown]
	v_lshrrev_b32_e32 v96, 16, v90
	v_cndmask_b32_e64 v86, v86, v88, s18
	v_cndmask_b32_e64 v84, v84, v88, s24
	v_cndmask_b32_e64 v87, v87, v92, s24
	v_cndmask_b32_e64 v88, v102, v92, s18
	v_cndmask_b32_e64 v85, v85, v92, s6
	v_cndmask_b32_e64 v86, v86, v95, s20
	v_cndmask_b32_e64 v84, v84, v95, s26
	v_cndmask_b32_e64 v87, v87, v97, s26
	v_cndmask_b32_e64 v88, v88, v97, s20
	v_cndmask_b32_e64 v85, v85, v97, s8
	v_cndmask_b32_e64 v86, v86, v89, s21
	v_cndmask_b32_e64 v84, v84, v89, s27
	v_cndmask_b32_e64 v87, v87, v93, s27
	v_cndmask_b32_e64 v88, v88, v93, s21
	v_cndmask_b32_e64 v85, v85, v93, s11
	v_cndmask_b32_e64 v86, v86, v98, s23
	v_cndmask_b32_e64 v84, v84, v98, s29
	v_cndmask_b32_e64 v87, v87, v99, s29
	v_cndmask_b32_e64 v88, v88, v99, s23
	v_cndmask_b32_e64 v85, v85, v99, s13
	v_cndmask_b32_e64 v65, v65, v90, s17
	v_cndmask_b32_e64 v86, v86, v90, s25
	v_cndmask_b32_e64 v84, v84, v90, s30
	v_cndmask_b32_e64 v87, v87, v94, s30
	v_cndmask_b32_e64 v88, v88, v94, s25
	v_cndmask_b32_e64 v85, v85, v94, s17
	v_cndmask_b32_e64 v72, v72, v96, s16
	v_cndmask_b32_e64 v65, v65, v96, s19
	v_cndmask_b32_e64 v89, v86, v96, s28
	v_cndmask_b32_e32 v84, v84, v96, vcc_lo
	v_cndmask_b32_e32 v86, v87, v83, vcc_lo
	v_cndmask_b32_e64 v87, v88, v83, s28
	v_cndmask_b32_e64 v88, v85, v83, s19
	;; [unrolled: 1-line block ×3, first 2 shown]
	v_perm_b32 v68, v101, v100, 0x5040100
	v_perm_b32 v86, v86, v84, 0x5040100
	;; [unrolled: 1-line block ×5, first 2 shown]
	s_mov_b32 s3, exec_lo
	ds_store_b128 v76, v[68:71]
	ds_store_b128 v76, v[83:86] offset:1024
	v_cmpx_eq_u32_e32 0, v0
	s_cbranch_execz .LBB1694_77
; %bb.76:
	s_load_b128 s[4:7], s[0:1], 0x58
	s_mul_i32 s8, s37, s34
	v_mov_b32_e32 v65, 0
	s_add_i32 s8, s8, s15
	s_delay_alu instid0(SALU_CYCLE_1) | instskip(NEXT) | instid1(SALU_CYCLE_1)
	s_mul_i32 s8, s8, s36
	s_add_i32 s8, s8, s14
	s_delay_alu instid0(SALU_CYCLE_1) | instskip(NEXT) | instid1(SALU_CYCLE_1)
	s_ashr_i32 s9, s8, 31
	s_lshl_b64 s[8:9], s[8:9], 2
	s_waitcnt lgkmcnt(0)
	s_add_u32 s6, s6, s8
	s_addc_u32 s7, s7, s9
	s_add_u32 s4, s4, s8
	s_addc_u32 s5, s5, s9
	s_clause 0x1
	global_store_b32 v65, v66, s[6:7]
	global_store_b32 v65, v67, s[4:5]
.LBB1694_77:
	s_or_b32 exec_lo, exec_lo, s3
	s_waitcnt lgkmcnt(0)
	s_waitcnt_vscnt null, 0x0
	s_barrier
	buffer_gl0_inv
	ds_load_b128 v[83:86], v80
	ds_load_b128 v[87:90], v80 offset:16
	ds_load_b128 v[95:98], v80 offset:2064
	;; [unrolled: 1-line block ×3, first 2 shown]
	v_mov_b32_e32 v65, 0
	ds_load_b128 v[103:106], v80 offset:4112
	ds_load_b128 v[99:102], v80 offset:4096
	;; [unrolled: 1-line block ×4, first 2 shown]
	v_mov_b32_e32 v66, v65
	v_mov_b32_e32 v67, v65
	;; [unrolled: 1-line block ×7, first 2 shown]
	s_waitcnt lgkmcnt(6)
	s_delay_alu instid0(VALU_DEP_1)
	v_wmma_f32_16x16x16_bf16 v[65:72], v[49:56], v[83:90], v[65:72]
	ds_load_b128 v[53:56], v80 offset:8208
	ds_load_b128 v[49:52], v80 offset:8192
	s_waitcnt lgkmcnt(6)
	v_wmma_f32_16x16x16_bf16 v[65:72], v[41:48], v[91:98], v[65:72]
	ds_load_b128 v[45:48], v80 offset:10256
	ds_load_b128 v[41:44], v80 offset:10240
	s_waitcnt lgkmcnt(6)
	;; [unrolled: 4-line block ×4, first 2 shown]
	v_wmma_f32_16x16x16_bf16 v[65:72], v[1:8], v[49:56], v[65:72]
	s_waitcnt lgkmcnt(4)
	s_delay_alu instid0(VALU_DEP_1) | instskip(SKIP_1) | instid1(VALU_DEP_1)
	v_wmma_f32_16x16x16_bf16 v[65:72], v[9:16], v[41:48], v[65:72]
	s_waitcnt lgkmcnt(2)
	v_wmma_f32_16x16x16_bf16 v[65:72], v[17:24], v[33:40], v[65:72]
	s_waitcnt lgkmcnt(0)
	s_delay_alu instid0(VALU_DEP_1) | instskip(NEXT) | instid1(VALU_DEP_1)
	v_wmma_f32_16x16x16_bf16 v[65:72], v[57:64], v[25:32], v[65:72]
	v_and_b32_e32 v1, 0x7f800000, v65
	s_delay_alu instid0(VALU_DEP_1) | instskip(SKIP_1) | instid1(SALU_CYCLE_1)
	v_cmp_ne_u32_e32 vcc_lo, 0x7f800000, v1
                                        ; implicit-def: $vgpr1
	s_and_saveexec_b32 s3, vcc_lo
	s_xor_b32 s3, exec_lo, s3
; %bb.78:
	v_bfe_u32 v1, v65, 16, 1
	s_delay_alu instid0(VALU_DEP_1)
	v_add3_u32 v1, v65, v1, 0x7fff
; %bb.79:
	s_and_not1_saveexec_b32 s3, s3
; %bb.80:
	v_and_b32_e32 v1, 0xffff, v65
	v_or_b32_e32 v2, 0x10000, v65
	s_delay_alu instid0(VALU_DEP_2) | instskip(NEXT) | instid1(VALU_DEP_2)
	v_cmp_eq_u32_e32 vcc_lo, 0, v1
	v_cndmask_b32_e32 v1, v2, v65, vcc_lo
; %bb.81:
	s_or_b32 exec_lo, exec_lo, s3
	v_and_b32_e32 v2, 0x7f800000, v66
	s_delay_alu instid0(VALU_DEP_1) | instskip(SKIP_1) | instid1(SALU_CYCLE_1)
	v_cmp_ne_u32_e32 vcc_lo, 0x7f800000, v2
                                        ; implicit-def: $vgpr2
	s_and_saveexec_b32 s3, vcc_lo
	s_xor_b32 s3, exec_lo, s3
; %bb.82:
	v_bfe_u32 v2, v66, 16, 1
	s_delay_alu instid0(VALU_DEP_1)
	v_add3_u32 v2, v66, v2, 0x7fff
; %bb.83:
	s_and_not1_saveexec_b32 s3, s3
; %bb.84:
	v_and_b32_e32 v2, 0xffff, v66
	v_or_b32_e32 v3, 0x10000, v66
	s_delay_alu instid0(VALU_DEP_2) | instskip(NEXT) | instid1(VALU_DEP_2)
	v_cmp_eq_u32_e32 vcc_lo, 0, v2
	v_cndmask_b32_e32 v2, v3, v66, vcc_lo
; %bb.85:
	s_or_b32 exec_lo, exec_lo, s3
	v_and_b32_e32 v3, 0x7f800000, v67
	s_delay_alu instid0(VALU_DEP_1) | instskip(SKIP_1) | instid1(SALU_CYCLE_1)
	v_cmp_ne_u32_e32 vcc_lo, 0x7f800000, v3
                                        ; implicit-def: $vgpr3
	s_and_saveexec_b32 s3, vcc_lo
	s_xor_b32 s3, exec_lo, s3
; %bb.86:
	v_bfe_u32 v3, v67, 16, 1
	s_delay_alu instid0(VALU_DEP_1)
	v_add3_u32 v3, v67, v3, 0x7fff
; %bb.87:
	s_and_not1_saveexec_b32 s3, s3
; %bb.88:
	v_and_b32_e32 v3, 0xffff, v67
	v_or_b32_e32 v4, 0x10000, v67
	s_delay_alu instid0(VALU_DEP_2) | instskip(NEXT) | instid1(VALU_DEP_2)
	v_cmp_eq_u32_e32 vcc_lo, 0, v3
	v_cndmask_b32_e32 v3, v4, v67, vcc_lo
; %bb.89:
	s_or_b32 exec_lo, exec_lo, s3
	v_and_b32_e32 v4, 0x7f800000, v68
	s_delay_alu instid0(VALU_DEP_1) | instskip(SKIP_1) | instid1(SALU_CYCLE_1)
	v_cmp_ne_u32_e32 vcc_lo, 0x7f800000, v4
                                        ; implicit-def: $vgpr4
	s_and_saveexec_b32 s3, vcc_lo
	s_xor_b32 s3, exec_lo, s3
; %bb.90:
	v_bfe_u32 v4, v68, 16, 1
	s_delay_alu instid0(VALU_DEP_1)
	v_add3_u32 v4, v68, v4, 0x7fff
; %bb.91:
	s_and_not1_saveexec_b32 s3, s3
; %bb.92:
	v_and_b32_e32 v4, 0xffff, v68
	v_or_b32_e32 v5, 0x10000, v68
	s_delay_alu instid0(VALU_DEP_2) | instskip(NEXT) | instid1(VALU_DEP_2)
	v_cmp_eq_u32_e32 vcc_lo, 0, v4
	v_cndmask_b32_e32 v4, v5, v68, vcc_lo
; %bb.93:
	s_or_b32 exec_lo, exec_lo, s3
	v_and_b32_e32 v5, 0x7f800000, v69
	s_delay_alu instid0(VALU_DEP_1) | instskip(SKIP_1) | instid1(SALU_CYCLE_1)
	v_cmp_ne_u32_e32 vcc_lo, 0x7f800000, v5
                                        ; implicit-def: $vgpr5
	s_and_saveexec_b32 s3, vcc_lo
	s_xor_b32 s3, exec_lo, s3
; %bb.94:
	v_bfe_u32 v5, v69, 16, 1
	s_delay_alu instid0(VALU_DEP_1)
	v_add3_u32 v5, v69, v5, 0x7fff
; %bb.95:
	s_and_not1_saveexec_b32 s3, s3
; %bb.96:
	v_and_b32_e32 v5, 0xffff, v69
	v_or_b32_e32 v6, 0x10000, v69
	s_delay_alu instid0(VALU_DEP_2) | instskip(NEXT) | instid1(VALU_DEP_2)
	v_cmp_eq_u32_e32 vcc_lo, 0, v5
	v_cndmask_b32_e32 v5, v6, v69, vcc_lo
; %bb.97:
	s_or_b32 exec_lo, exec_lo, s3
	v_and_b32_e32 v6, 0x7f800000, v70
	s_delay_alu instid0(VALU_DEP_1) | instskip(SKIP_1) | instid1(SALU_CYCLE_1)
	v_cmp_ne_u32_e32 vcc_lo, 0x7f800000, v6
                                        ; implicit-def: $vgpr6
	s_and_saveexec_b32 s3, vcc_lo
	s_xor_b32 s3, exec_lo, s3
; %bb.98:
	v_bfe_u32 v6, v70, 16, 1
	s_delay_alu instid0(VALU_DEP_1)
	v_add3_u32 v6, v70, v6, 0x7fff
; %bb.99:
	s_and_not1_saveexec_b32 s3, s3
; %bb.100:
	v_and_b32_e32 v6, 0xffff, v70
	v_or_b32_e32 v7, 0x10000, v70
	s_delay_alu instid0(VALU_DEP_2) | instskip(NEXT) | instid1(VALU_DEP_2)
	v_cmp_eq_u32_e32 vcc_lo, 0, v6
	v_cndmask_b32_e32 v6, v7, v70, vcc_lo
; %bb.101:
	s_or_b32 exec_lo, exec_lo, s3
	v_and_b32_e32 v7, 0x7f800000, v71
	s_delay_alu instid0(VALU_DEP_1) | instskip(SKIP_1) | instid1(SALU_CYCLE_1)
	v_cmp_ne_u32_e32 vcc_lo, 0x7f800000, v7
                                        ; implicit-def: $vgpr7
	s_and_saveexec_b32 s3, vcc_lo
	s_xor_b32 s3, exec_lo, s3
; %bb.102:
	v_bfe_u32 v7, v71, 16, 1
	s_delay_alu instid0(VALU_DEP_1)
	v_add3_u32 v7, v71, v7, 0x7fff
; %bb.103:
	s_and_not1_saveexec_b32 s3, s3
; %bb.104:
	v_and_b32_e32 v7, 0xffff, v71
	v_or_b32_e32 v8, 0x10000, v71
	s_delay_alu instid0(VALU_DEP_2) | instskip(NEXT) | instid1(VALU_DEP_2)
	v_cmp_eq_u32_e32 vcc_lo, 0, v7
	v_cndmask_b32_e32 v7, v8, v71, vcc_lo
; %bb.105:
	s_or_b32 exec_lo, exec_lo, s3
	v_and_b32_e32 v8, 0x7f800000, v72
	s_delay_alu instid0(VALU_DEP_1) | instskip(SKIP_1) | instid1(SALU_CYCLE_1)
	v_cmp_ne_u32_e32 vcc_lo, 0x7f800000, v8
                                        ; implicit-def: $vgpr8
	s_and_saveexec_b32 s3, vcc_lo
	s_xor_b32 s3, exec_lo, s3
; %bb.106:
	v_bfe_u32 v8, v72, 16, 1
	s_delay_alu instid0(VALU_DEP_1)
	v_add3_u32 v8, v72, v8, 0x7fff
                                        ; implicit-def: $vgpr65_vgpr66_vgpr67_vgpr68_vgpr69_vgpr70_vgpr71_vgpr72
; %bb.107:
	s_and_not1_saveexec_b32 s3, s3
; %bb.108:
	v_and_b32_e32 v8, 0xffff, v72
	v_or_b32_e32 v9, 0x10000, v72
	s_delay_alu instid0(VALU_DEP_2) | instskip(NEXT) | instid1(VALU_DEP_2)
	v_cmp_eq_u32_e32 vcc_lo, 0, v8
	v_cndmask_b32_e32 v8, v9, v72, vcc_lo
; %bb.109:
	s_or_b32 exec_lo, exec_lo, s3
	s_delay_alu instid0(VALU_DEP_1)
	v_perm_b32 v7, v8, v7, 0x7060302
	v_perm_b32 v6, v6, v5, 0x7060302
	;; [unrolled: 1-line block ×4, first 2 shown]
	s_barrier
	buffer_gl0_inv
	v_cmp_eq_u32_e32 vcc_lo, 1, v78
	ds_store_b128 v76, v[4:7]
	s_waitcnt lgkmcnt(0)
	s_barrier
	buffer_gl0_inv
	ds_load_b128 v[1:4], v82
	ds_load_b128 v[5:8], v82 offset:16
	v_cmp_eq_u32_e64 s3, 1, v79
	v_cmp_eq_u32_e64 s4, 2, v78
	;; [unrolled: 1-line block ×5, first 2 shown]
	s_waitcnt lgkmcnt(1)
	v_lshrrev_b32_e32 v9, 16, v1
	s_waitcnt lgkmcnt(0)
	v_lshrrev_b32_e32 v13, 16, v5
	v_lshrrev_b32_e32 v10, 16, v2
	;; [unrolled: 1-line block ×4, first 2 shown]
	v_cndmask_b32_e64 v19, v1, v9, s3
	v_cndmask_b32_e32 v18, v5, v13, vcc_lo
	v_cndmask_b32_e64 v20, v5, v13, s3
	v_cndmask_b32_e32 v17, v1, v9, vcc_lo
	v_cmp_eq_u32_e32 vcc_lo, 2, v79
	v_lshrrev_b32_e32 v15, 16, v7
	v_cmp_eq_u32_e64 s3, 1, v77
	v_lshrrev_b32_e32 v12, 16, v4
	v_lshrrev_b32_e32 v16, 16, v8
	v_cndmask_b32_e32 v20, v20, v6, vcc_lo
	v_cndmask_b32_e64 v17, v17, v2, s4
	v_cndmask_b32_e32 v19, v19, v2, vcc_lo
	v_cndmask_b32_e64 v18, v18, v6, s4
	v_cmp_eq_u32_e32 vcc_lo, 4, v78
	v_cmp_eq_u32_e64 s4, 3, v79
	v_cndmask_b32_e64 v17, v17, v10, s5
	v_cndmask_b32_e64 v21, v1, v9, s3
	;; [unrolled: 1-line block ×5, first 2 shown]
	v_cndmask_b32_e32 v17, v17, v3, vcc_lo
	v_cndmask_b32_e64 v20, v20, v14, s4
	v_cndmask_b32_e32 v18, v18, v7, vcc_lo
	v_cmp_eq_u32_e32 vcc_lo, 4, v79
	v_cmp_eq_u32_e64 s4, 5, v79
	v_cmp_eq_u32_e64 s3, 2, v81
	v_cndmask_b32_e64 v21, v21, v2, s7
	v_cmp_eq_u32_e64 s5, 5, v78
	v_cndmask_b32_e32 v19, v19, v3, vcc_lo
	v_cndmask_b32_e32 v20, v20, v7, vcc_lo
	v_cmp_eq_u32_e32 vcc_lo, 6, v79
	s_delay_alu instid0(VALU_DEP_4) | instskip(NEXT) | instid1(VALU_DEP_4)
	v_cndmask_b32_e64 v17, v17, v11, s5
	v_cndmask_b32_e64 v19, v19, v11, s4
	s_delay_alu instid0(VALU_DEP_4) | instskip(SKIP_1) | instid1(VALU_DEP_3)
	v_cndmask_b32_e64 v20, v20, v15, s4
	v_cmp_eq_u32_e64 s4, 1, v81
	v_cndmask_b32_e32 v19, v19, v4, vcc_lo
	v_cndmask_b32_e64 v18, v18, v15, s5
	s_delay_alu instid0(VALU_DEP_3)
	v_cndmask_b32_e64 v1, v1, v9, s4
	v_cndmask_b32_e64 v5, v5, v13, s4
	v_cmp_eq_u32_e64 s4, 3, v77
	v_cndmask_b32_e64 v13, v22, v6, s7
	v_cmp_eq_u32_e64 s7, 3, v81
	v_cndmask_b32_e64 v1, v1, v2, s3
	v_cndmask_b32_e64 v2, v5, v6, s3
	;; [unrolled: 1-line block ×3, first 2 shown]
	v_cmp_eq_u32_e64 s3, 4, v77
	v_cndmask_b32_e64 v6, v13, v14, s4
	v_cndmask_b32_e64 v1, v1, v10, s7
	v_cmp_eq_u32_e64 s4, 4, v81
	v_cndmask_b32_e64 v2, v2, v14, s7
	v_cndmask_b32_e64 v5, v9, v3, s3
	;; [unrolled: 3-line block ×3, first 2 shown]
	v_cndmask_b32_e64 v2, v2, v7, s4
	v_cmp_eq_u32_e64 s3, 5, v81
	v_cndmask_b32_e64 v5, v5, v11, s7
	v_cndmask_b32_e64 v3, v6, v15, s7
	v_cmp_eq_u32_e64 s7, 6, v81
	v_cmp_eq_u32_e64 s5, 6, v78
	v_cndmask_b32_e64 v1, v1, v11, s3
	v_cndmask_b32_e64 v2, v2, v15, s3
	v_cmp_eq_u32_e64 s4, 6, v77
	v_cmp_eq_u32_e64 s3, 7, v81
	v_cndmask_b32_e64 v17, v17, v4, s5
	v_cndmask_b32_e64 v1, v1, v4, s7
	;; [unrolled: 1-line block ×4, first 2 shown]
	v_cmp_eq_u32_e64 s5, 7, v78
	v_cndmask_b32_e64 v5, v5, v4, s4
	v_cndmask_b32_e64 v3, v3, v8, s4
	v_cmp_eq_u32_e64 s4, 7, v77
	v_cndmask_b32_e32 v4, v20, v8, vcc_lo
	v_cndmask_b32_e64 v1, v1, v12, s3
	v_cndmask_b32_e64 v2, v2, v16, s3
	v_cmp_lt_u32_e32 vcc_lo, 31, v0
	v_cmp_lt_u32_e64 s3, 7, v73
	v_cndmask_b32_e64 v17, v17, v12, s5
	v_cndmask_b32_e64 v19, v19, v12, s6
	;; [unrolled: 1-line block ×6, first 2 shown]
	s_or_b32 s3, vcc_lo, s3
	v_perm_b32 v4, v2, v1, 0x5040100
	v_perm_b32 v3, v3, v5, 0x5040100
	;; [unrolled: 1-line block ×4, first 2 shown]
	s_or_b32 s2, s2, s3
	s_delay_alu instid0(SALU_CYCLE_1)
	s_xor_b32 s2, s2, -1
	ds_store_b128 v76, v[1:4]
	s_waitcnt lgkmcnt(0)
	s_barrier
	buffer_gl0_inv
	s_and_saveexec_b32 s3, s2
	s_cbranch_execz .LBB1694_2
; %bb.110:
	s_load_b64 s[0:1], s[0:1], 0x68
	v_lshlrev_b32_e32 v1, 10, v0
	v_and_b32_e32 v0, 1, v0
	v_lshlrev_b32_e32 v2, 6, v75
	s_lshl_b32 s4, s36, 6
	s_delay_alu instid0(VALU_DEP_3) | instskip(NEXT) | instid1(VALU_DEP_3)
	v_and_b32_e32 v1, 0x3800, v1
	v_lshlrev_b32_e32 v0, 4, v0
	s_mul_i32 s2, s4, s34
	s_delay_alu instid0(SALU_CYCLE_1) | instskip(NEXT) | instid1(VALU_DEP_1)
	s_mul_i32 s2, s2, s37
	v_or3_b32 v0, v1, v2, v0
	s_ashr_i32 s3, s2, 31
	s_delay_alu instid0(SALU_CYCLE_1)
	s_lshl_b64 s[2:3], s[2:3], 1
	ds_load_b128 v[0:3], v0
	s_waitcnt lgkmcnt(0)
	s_add_u32 s5, s0, s2
	s_addc_u32 s3, s1, s3
	s_lshl_b32 s0, s14, 6
	s_mul_i32 s2, s4, s15
	s_ashr_i32 s1, s0, 31
	s_delay_alu instid0(SALU_CYCLE_1) | instskip(NEXT) | instid1(SALU_CYCLE_1)
	s_lshl_b64 s[0:1], s[0:1], 1
	s_add_u32 s4, s5, s0
	s_addc_u32 s5, s3, s1
	s_ashr_i32 s3, s2, 31
	s_delay_alu instid0(SALU_CYCLE_1) | instskip(NEXT) | instid1(SALU_CYCLE_1)
	s_lshl_b64 s[0:1], s[2:3], 1
	s_add_u32 s0, s4, s0
	s_addc_u32 s1, s5, s1
	global_store_b128 v74, v[0:3], s[0:1]
	s_nop 0
	s_sendmsg sendmsg(MSG_DEALLOC_VGPRS)
	s_endpgm
	.section	.rodata,"a",@progbits
	.p2align	6, 0x0
	.amdhsa_kernel _Z39paged_attention_ll4mi_QKV_mfma16_kernelI14__hip_bfloat16hLN4vllm18Fp8KVCacheDataTypeE1EhLi16ELi64ELi256ELb0ELi1EL8MFMAType0EEvPKT_PKT0_S9_ifPKiSB_SB_iPKfiiiPfSE_PS4_PT2_iSD_SD_
		.amdhsa_group_segment_fixed_size 17472
		.amdhsa_private_segment_fixed_size 0
		.amdhsa_kernarg_size 400
		.amdhsa_user_sgpr_count 13
		.amdhsa_user_sgpr_dispatch_ptr 0
		.amdhsa_user_sgpr_queue_ptr 0
		.amdhsa_user_sgpr_kernarg_segment_ptr 1
		.amdhsa_user_sgpr_dispatch_id 0
		.amdhsa_user_sgpr_private_segment_size 0
		.amdhsa_wavefront_size32 1
		.amdhsa_uses_dynamic_stack 0
		.amdhsa_enable_private_segment 0
		.amdhsa_system_sgpr_workgroup_id_x 1
		.amdhsa_system_sgpr_workgroup_id_y 1
		.amdhsa_system_sgpr_workgroup_id_z 1
		.amdhsa_system_sgpr_workgroup_info 0
		.amdhsa_system_vgpr_workitem_id 0
		.amdhsa_next_free_vgpr 131
		.amdhsa_next_free_sgpr 48
		.amdhsa_reserve_vcc 1
		.amdhsa_float_round_mode_32 0
		.amdhsa_float_round_mode_16_64 0
		.amdhsa_float_denorm_mode_32 3
		.amdhsa_float_denorm_mode_16_64 3
		.amdhsa_dx10_clamp 1
		.amdhsa_ieee_mode 1
		.amdhsa_fp16_overflow 0
		.amdhsa_workgroup_processor_mode 1
		.amdhsa_memory_ordered 1
		.amdhsa_forward_progress 0
		.amdhsa_shared_vgpr_count 0
		.amdhsa_exception_fp_ieee_invalid_op 0
		.amdhsa_exception_fp_denorm_src 0
		.amdhsa_exception_fp_ieee_div_zero 0
		.amdhsa_exception_fp_ieee_overflow 0
		.amdhsa_exception_fp_ieee_underflow 0
		.amdhsa_exception_fp_ieee_inexact 0
		.amdhsa_exception_int_div_zero 0
	.end_amdhsa_kernel
	.section	.text._Z39paged_attention_ll4mi_QKV_mfma16_kernelI14__hip_bfloat16hLN4vllm18Fp8KVCacheDataTypeE1EhLi16ELi64ELi256ELb0ELi1EL8MFMAType0EEvPKT_PKT0_S9_ifPKiSB_SB_iPKfiiiPfSE_PS4_PT2_iSD_SD_,"axG",@progbits,_Z39paged_attention_ll4mi_QKV_mfma16_kernelI14__hip_bfloat16hLN4vllm18Fp8KVCacheDataTypeE1EhLi16ELi64ELi256ELb0ELi1EL8MFMAType0EEvPKT_PKT0_S9_ifPKiSB_SB_iPKfiiiPfSE_PS4_PT2_iSD_SD_,comdat
.Lfunc_end1694:
	.size	_Z39paged_attention_ll4mi_QKV_mfma16_kernelI14__hip_bfloat16hLN4vllm18Fp8KVCacheDataTypeE1EhLi16ELi64ELi256ELb0ELi1EL8MFMAType0EEvPKT_PKT0_S9_ifPKiSB_SB_iPKfiiiPfSE_PS4_PT2_iSD_SD_, .Lfunc_end1694-_Z39paged_attention_ll4mi_QKV_mfma16_kernelI14__hip_bfloat16hLN4vllm18Fp8KVCacheDataTypeE1EhLi16ELi64ELi256ELb0ELi1EL8MFMAType0EEvPKT_PKT0_S9_ifPKiSB_SB_iPKfiiiPfSE_PS4_PT2_iSD_SD_
                                        ; -- End function
	.section	.AMDGPU.csdata,"",@progbits
; Kernel info:
; codeLenInByte = 8416
; NumSgprs: 50
; NumVgprs: 131
; ScratchSize: 0
; MemoryBound: 1
; FloatMode: 240
; IeeeMode: 1
; LDSByteSize: 17472 bytes/workgroup (compile time only)
; SGPRBlocks: 6
; VGPRBlocks: 16
; NumSGPRsForWavesPerEU: 50
; NumVGPRsForWavesPerEU: 131
; Occupancy: 10
; WaveLimiterHint : 1
; COMPUTE_PGM_RSRC2:SCRATCH_EN: 0
; COMPUTE_PGM_RSRC2:USER_SGPR: 13
; COMPUTE_PGM_RSRC2:TRAP_HANDLER: 0
; COMPUTE_PGM_RSRC2:TGID_X_EN: 1
; COMPUTE_PGM_RSRC2:TGID_Y_EN: 1
; COMPUTE_PGM_RSRC2:TGID_Z_EN: 1
; COMPUTE_PGM_RSRC2:TIDIG_COMP_CNT: 0
	.section	.text._Z39paged_attention_ll4mi_QKV_mfma16_kernelI14__hip_bfloat16hLN4vllm18Fp8KVCacheDataTypeE1EhLi16ELi64ELi256ELb0ELi2EL8MFMAType0EEvPKT_PKT0_S9_ifPKiSB_SB_iPKfiiiPfSE_PS4_PT2_iSD_SD_,"axG",@progbits,_Z39paged_attention_ll4mi_QKV_mfma16_kernelI14__hip_bfloat16hLN4vllm18Fp8KVCacheDataTypeE1EhLi16ELi64ELi256ELb0ELi2EL8MFMAType0EEvPKT_PKT0_S9_ifPKiSB_SB_iPKfiiiPfSE_PS4_PT2_iSD_SD_,comdat
	.protected	_Z39paged_attention_ll4mi_QKV_mfma16_kernelI14__hip_bfloat16hLN4vllm18Fp8KVCacheDataTypeE1EhLi16ELi64ELi256ELb0ELi2EL8MFMAType0EEvPKT_PKT0_S9_ifPKiSB_SB_iPKfiiiPfSE_PS4_PT2_iSD_SD_ ; -- Begin function _Z39paged_attention_ll4mi_QKV_mfma16_kernelI14__hip_bfloat16hLN4vllm18Fp8KVCacheDataTypeE1EhLi16ELi64ELi256ELb0ELi2EL8MFMAType0EEvPKT_PKT0_S9_ifPKiSB_SB_iPKfiiiPfSE_PS4_PT2_iSD_SD_
	.globl	_Z39paged_attention_ll4mi_QKV_mfma16_kernelI14__hip_bfloat16hLN4vllm18Fp8KVCacheDataTypeE1EhLi16ELi64ELi256ELb0ELi2EL8MFMAType0EEvPKT_PKT0_S9_ifPKiSB_SB_iPKfiiiPfSE_PS4_PT2_iSD_SD_
	.p2align	8
	.type	_Z39paged_attention_ll4mi_QKV_mfma16_kernelI14__hip_bfloat16hLN4vllm18Fp8KVCacheDataTypeE1EhLi16ELi64ELi256ELb0ELi2EL8MFMAType0EEvPKT_PKT0_S9_ifPKiSB_SB_iPKfiiiPfSE_PS4_PT2_iSD_SD_,@function
_Z39paged_attention_ll4mi_QKV_mfma16_kernelI14__hip_bfloat16hLN4vllm18Fp8KVCacheDataTypeE1EhLi16ELi64ELi256ELb0ELi2EL8MFMAType0EEvPKT_PKT0_S9_ifPKiSB_SB_iPKfiiiPfSE_PS4_PT2_iSD_SD_: ; @_Z39paged_attention_ll4mi_QKV_mfma16_kernelI14__hip_bfloat16hLN4vllm18Fp8KVCacheDataTypeE1EhLi16ELi64ELi256ELb0ELi2EL8MFMAType0EEvPKT_PKT0_S9_ifPKiSB_SB_iPKfiiiPfSE_PS4_PT2_iSD_SD_
; %bb.0:
	s_load_b64 s[2:3], s[0:1], 0x30
	s_mov_b32 s30, s13
	s_waitcnt lgkmcnt(0)
	s_cmp_lg_u64 s[2:3], 0
	s_cselect_b32 s8, -1, 0
	s_ashr_i32 s31, s13, 31
	s_cmp_eq_u64 s[2:3], 0
	s_cbranch_scc1 .LBB1695_3
; %bb.1:
	s_lshl_b64 s[4:5], s[30:31], 2
	s_delay_alu instid0(SALU_CYCLE_1) | instskip(SKIP_4) | instid1(SALU_CYCLE_1)
	s_add_u32 s4, s2, s4
	s_addc_u32 s5, s3, s5
	s_load_b64 s[4:5], s[4:5], 0x0
	s_waitcnt lgkmcnt(0)
	s_sub_i32 s4, s5, s4
	s_cmp_eq_u32 s4, 1
	s_cselect_b32 s4, -1, 0
	s_delay_alu instid0(SALU_CYCLE_1)
	s_and_not1_b32 vcc_lo, exec_lo, s4
	s_cbranch_vccz .LBB1695_4
.LBB1695_2:
	s_endpgm
.LBB1695_3:
.LBB1695_4:
	s_load_b64 s[4:5], s[0:1], 0x28
	s_lshl_b64 s[6:7], s[30:31], 2
	s_waitcnt lgkmcnt(0)
	s_add_u32 s4, s4, s6
	s_addc_u32 s5, s5, s7
	s_lshl_b32 s12, s14, 8
	s_load_b32 s24, s[4:5], 0x0
	s_waitcnt lgkmcnt(0)
	s_cmp_ge_i32 s12, s24
	s_cbranch_scc1 .LBB1695_2
; %bb.5:
	s_clause 0x1
	s_load_b128 s[20:23], s[0:1], 0x8
	s_load_b64 s[4:5], s[0:1], 0x20
	s_and_not1_b32 vcc_lo, exec_lo, s8
	s_cbranch_vccnz .LBB1695_7
; %bb.6:
	s_add_u32 s2, s2, s6
	s_addc_u32 s3, s3, s7
	s_load_b32 s3, s[2:3], 0x0
	s_branch .LBB1695_8
.LBB1695_7:
	s_mov_b32 s3, s30
.LBB1695_8:
	s_load_b128 s[16:19], s[0:1], 0x48
	v_and_b32_e32 v66, 15, v0
	v_bfe_u32 v65, v0, 4, 1
	s_lshl_b32 s31, s15, 1
	v_cmp_gt_u32_e32 vcc_lo, 32, v0
	v_and_b32_e32 v68, 31, v0
	v_lshlrev_b32_e32 v1, 3, v66
	v_cmp_gt_u32_e64 s2, 8, v66
	v_and_b32_e32 v76, 1, v0
	v_or_b32_e32 v75, s31, v65
	v_lshlrev_b32_e32 v74, 6, v65
	v_lshlrev_b32_e32 v73, 1, v1
	s_and_b32 s29, vcc_lo, s2
	s_delay_alu instid0(SALU_CYCLE_1)
	s_and_saveexec_b32 s2, s29
	s_cbranch_execz .LBB1695_10
; %bb.9:
	s_load_b64 s[6:7], s[0:1], 0x0
	v_lshlrev_b32_e32 v1, 6, v75
	s_waitcnt lgkmcnt(0)
	s_mul_hi_i32 s9, s3, s16
	s_mul_i32 s8, s3, s16
	v_lshlrev_b32_e32 v5, 10, v66
	s_lshl_b64 s[8:9], s[8:9], 1
	v_ashrrev_i32_e32 v2, 31, v1
	v_lshlrev_b32_e32 v6, 10, v76
	s_delay_alu instid0(VALU_DEP_3) | instskip(NEXT) | instid1(VALU_DEP_3)
	v_and_b32_e32 v5, 0x3800, v5
	v_lshlrev_b64 v[1:2], 1, v[1:2]
	s_delay_alu instid0(VALU_DEP_2) | instskip(SKIP_2) | instid1(VALU_DEP_2)
	v_or3_b32 v5, v5, v6, v74
	s_add_u32 s3, s6, s8
	s_addc_u32 s6, s7, s9
	v_add_co_u32 v1, vcc_lo, s3, v1
	s_delay_alu instid0(VALU_DEP_3) | instskip(NEXT) | instid1(VALU_DEP_2)
	v_add_co_ci_u32_e32 v2, vcc_lo, s6, v2, vcc_lo
	v_add_co_u32 v1, vcc_lo, v1, v73
	s_delay_alu instid0(VALU_DEP_2)
	v_add_co_ci_u32_e32 v2, vcc_lo, 0, v2, vcc_lo
	global_load_b128 v[1:4], v[1:2], off
	s_waitcnt vmcnt(0)
	ds_store_b128 v5, v[1:4]
.LBB1695_10:
	s_or_b32 exec_lo, exec_lo, s2
	v_and_b32_e32 v1, 0xef, v0
	s_add_i32 s2, s24, 15
	s_waitcnt lgkmcnt(0)
	s_clause 0x1
	s_load_b32 s3, s[0:1], 0x38
	s_load_b32 s19, s[0:1], 0x1c
	s_ashr_i32 s6, s2, 31
	v_add_nc_u32_e32 v1, s12, v1
	s_lshr_b32 s6, s6, 28
	s_waitcnt lgkmcnt(0)
	s_add_i32 s2, s2, s6
	s_barrier
	v_ashrrev_i32_e32 v2, 31, v1
	v_or_b32_e32 v3, 16, v1
	s_ashr_i32 s2, s2, 4
	v_cmp_gt_i32_e32 vcc_lo, s24, v1
	s_add_i32 s2, s2, -1
	v_lshrrev_b32_e32 v2, 28, v2
	buffer_gl0_inv
	s_mul_i32 s27, s15, s18
	v_lshrrev_b32_e32 v67, 5, v0
	v_lshlrev_b32_e32 v71, 6, v76
	v_add_nc_u32_e32 v4, v1, v2
	s_mul_i32 s6, s30, s3
	s_delay_alu instid0(SALU_CYCLE_1) | instskip(NEXT) | instid1(VALU_DEP_1)
	s_ashr_i32 s7, s6, 31
	v_ashrrev_i32_e32 v4, 4, v4
	v_add_nc_u32_e32 v2, v3, v2
	s_lshl_b64 s[6:7], s[6:7], 2
	s_delay_alu instid0(SALU_CYCLE_1) | instskip(NEXT) | instid1(VALU_DEP_2)
	s_add_u32 s26, s4, s6
	v_cndmask_b32_e32 v1, s2, v4, vcc_lo
	s_delay_alu instid0(VALU_DEP_2)
	v_ashrrev_i32_e32 v2, 4, v2
	v_cmp_gt_i32_e32 vcc_lo, s24, v3
	s_addc_u32 s25, s5, s7
	s_ashr_i32 s28, s27, 31
	s_add_u32 s3, s20, s27
	s_addc_u32 s13, s21, s28
	v_cndmask_b32_e32 v3, s2, v2, vcc_lo
	v_ashrrev_i32_e32 v2, 31, v1
	s_lshl_b32 s4, s14, 4
	s_delay_alu instid0(SALU_CYCLE_1) | instskip(NEXT) | instid1(VALU_DEP_2)
	s_ashr_i32 s5, s4, 31
	v_ashrrev_i32_e32 v4, 31, v3
	s_delay_alu instid0(VALU_DEP_2) | instskip(SKIP_1) | instid1(SALU_CYCLE_1)
	v_lshlrev_b64 v[1:2], 2, v[1:2]
	s_lshl_b64 s[4:5], s[4:5], 2
	s_add_u32 s4, s26, s4
	s_delay_alu instid0(VALU_DEP_2) | instskip(SKIP_1) | instid1(VALU_DEP_2)
	v_lshlrev_b64 v[3:4], 2, v[3:4]
	s_addc_u32 s5, s25, s5
	v_add_co_u32 v1, vcc_lo, s26, v1
	v_add_co_ci_u32_e32 v2, vcc_lo, s25, v2, vcc_lo
	s_delay_alu instid0(VALU_DEP_3) | instskip(NEXT) | instid1(VALU_DEP_4)
	v_add_co_u32 v3, vcc_lo, s26, v3
	v_add_co_ci_u32_e32 v4, vcc_lo, s25, v4, vcc_lo
	s_clause 0x1
	global_load_b32 v5, v[1:2], off
	global_load_b32 v7, v[3:4], off
	s_or_b32 s6, s12, 32
	v_lshlrev_b32_e32 v1, 4, v0
	s_ashr_i32 s7, s6, 4
	s_cmp_lt_i32 s6, s24
	s_cselect_b32 s6, s7, s2
	s_delay_alu instid0(VALU_DEP_1) | instskip(SKIP_1) | instid1(SALU_CYCLE_1)
	v_and_b32_e32 v1, 0xf0, v1
	s_ashr_i32 s7, s6, 31
	s_lshl_b64 s[6:7], s[6:7], 2
	s_delay_alu instid0(SALU_CYCLE_1)
	s_add_u32 s6, s26, s6
	s_addc_u32 s7, s25, s7
	s_or_b32 s8, s12, 64
	v_add_co_u32 v1, s3, s3, v1
	s_ashr_i32 s9, s8, 4
	s_cmp_lt_i32 s8, s24
	v_add_co_ci_u32_e64 v2, null, s13, 0, s3
	s_cselect_b32 s8, s9, s2
	s_delay_alu instid0(SALU_CYCLE_1) | instskip(NEXT) | instid1(SALU_CYCLE_1)
	s_ashr_i32 s9, s8, 31
	s_lshl_b64 s[8:9], s[8:9], 2
	s_delay_alu instid0(SALU_CYCLE_1) | instskip(SKIP_2) | instid1(SALU_CYCLE_1)
	s_add_u32 s8, s26, s8
	s_addc_u32 s9, s25, s9
	s_or_b32 s10, s12, 0x60
	s_ashr_i32 s11, s10, 4
	s_cmp_lt_i32 s10, s24
	s_cselect_b32 s10, s11, s2
	s_delay_alu instid0(SALU_CYCLE_1) | instskip(NEXT) | instid1(SALU_CYCLE_1)
	s_ashr_i32 s11, s10, 31
	s_lshl_b64 s[10:11], s[10:11], 2
	s_delay_alu instid0(SALU_CYCLE_1) | instskip(SKIP_2) | instid1(SALU_CYCLE_1)
	s_add_u32 s10, s26, s10
	s_addc_u32 s11, s25, s11
	s_or_b32 s15, s12, 0x80
	s_ashr_i32 s16, s15, 4
	s_cmp_lt_i32 s15, s24
	s_cselect_b32 s20, s16, s2
	s_delay_alu instid0(SALU_CYCLE_1) | instskip(NEXT) | instid1(SALU_CYCLE_1)
	s_ashr_i32 s21, s20, 31
	s_lshl_b64 s[20:21], s[20:21], 2
	s_delay_alu instid0(SALU_CYCLE_1) | instskip(SKIP_2) | instid1(SALU_CYCLE_1)
	s_add_u32 s34, s26, s20
	s_addc_u32 s35, s25, s21
	s_or_b32 s15, s12, 0xa0
	s_ashr_i32 s16, s15, 4
	s_cmp_lt_i32 s15, s24
	s_cselect_b32 s20, s16, s2
	s_delay_alu instid0(SALU_CYCLE_1) | instskip(NEXT) | instid1(SALU_CYCLE_1)
	s_ashr_i32 s21, s20, 31
	s_lshl_b64 s[20:21], s[20:21], 2
	s_delay_alu instid0(SALU_CYCLE_1)
	s_add_u32 s36, s26, s20
	s_addc_u32 s37, s25, s21
	s_clause 0x5
	s_load_b32 s20, s[4:5], 0x0
	s_load_b32 s3, s[6:7], 0x0
	;; [unrolled: 1-line block ×6, first 2 shown]
	s_or_b32 s6, s12, 0xc0
	s_mov_b32 s4, 0
	s_ashr_i32 s7, s6, 4
	s_cmp_lt_i32 s6, s24
	s_mov_b32 s5, s4
	s_cselect_b32 s10, s7, s2
	s_mov_b32 s6, s4
	s_ashr_i32 s11, s10, 31
	s_mov_b32 s7, s4
	s_lshl_b64 s[10:11], s[10:11], 2
	s_mov_b32 s8, s4
	s_add_u32 s34, s26, s10
	s_addc_u32 s35, s25, s11
	s_or_b32 s11, s12, 0xe0
	s_mov_b32 s9, s4
	s_ashr_i32 s21, s11, 4
	s_cmp_lt_i32 s11, s24
	s_mov_b32 s11, s4
	s_cselect_b32 s36, s21, s2
	s_mov_b32 s10, s4
	s_ashr_i32 s37, s36, 31
	v_mov_b32_e32 v108, s11
	v_dual_mov_b32 v102, s5 :: v_dual_mov_b32 v107, s10
	v_dual_mov_b32 v106, s9 :: v_dual_mov_b32 v105, s8
	;; [unrolled: 1-line block ×3, first 2 shown]
	v_mov_b32_e32 v101, s4
	s_lshl_b64 s[4:5], s[36:37], 2
	s_delay_alu instid0(SALU_CYCLE_1)
	s_add_u32 s4, s26, s4
	s_addc_u32 s5, s25, s5
	s_add_u32 s6, s22, s27
	s_addc_u32 s7, s23, s28
	s_waitcnt vmcnt(1)
	v_mad_i64_i32 v[3:4], null, v5, s17, v[1:2]
	s_waitcnt vmcnt(0)
	v_mad_i64_i32 v[5:6], null, v7, s17, v[1:2]
	v_lshlrev_b32_e32 v1, 4, v66
	s_clause 0x7
	global_load_b128 v[49:52], v[3:4], off
	global_load_b128 v[53:56], v[3:4], off offset:256
	global_load_b128 v[77:80], v[5:6], off
	global_load_b128 v[81:84], v[5:6], off offset:256
	global_load_b128 v[85:88], v[3:4], off offset:512
	;; [unrolled: 1-line block ×5, first 2 shown]
	v_lshl_or_b32 v1, v67, 8, v1
	s_load_b32 s2, s[34:35], 0x0
	ds_load_b128 v[109:112], v71
	ds_load_b128 v[113:116], v71 offset:1024
	s_load_b32 s4, s[4:5], 0x0
	v_add_co_u32 v9, s6, s6, v1
	s_delay_alu instid0(VALU_DEP_1) | instskip(SKIP_1) | instid1(VALU_DEP_1)
	v_add_co_ci_u32_e64 v10, null, s7, 0, s6
	s_waitcnt lgkmcnt(0)
	v_mad_i64_i32 v[1:2], null, s20, s17, v[9:10]
	v_mad_i64_i32 v[3:4], null, s3, s17, v[9:10]
	;; [unrolled: 1-line block ×7, first 2 shown]
	s_clause 0x9
	global_load_b128 v[57:60], v[1:2], off
	global_load_b128 v[61:64], v[1:2], off offset:16
	global_load_b128 v[41:44], v[3:4], off
	global_load_b128 v[45:48], v[3:4], off offset:16
	;; [unrolled: 2-line block ×5, first 2 shown]
	v_mad_i64_i32 v[69:70], null, s4, s17, v[9:10]
	s_clause 0x3
	global_load_b128 v[9:12], v[13:14], off
	global_load_b128 v[13:16], v[13:14], off offset:16
	global_load_b128 v[17:20], v[21:22], off
	global_load_b128 v[21:24], v[21:22], off offset:16
	s_waitcnt vmcnt(20)
	v_wmma_f32_16x16x16_bf16 v[117:124], v[49:56], v[109:116], v[101:108]
	s_clause 0x1
	global_load_b128 v[49:52], v[69:70], off
	global_load_b128 v[53:56], v[69:70], off offset:16
	s_waitcnt vmcnt(20)
	v_wmma_f32_16x16x16_bf16 v[101:108], v[77:84], v[109:116], v[101:108]
	ds_load_b128 v[77:80], v71 offset:2048
	ds_load_b128 v[81:84], v71 offset:3072
	v_mbcnt_lo_u32_b32 v70, -1, 0
	s_waitcnt vmcnt(0) lgkmcnt(0)
	s_barrier
	buffer_gl0_inv
	v_xor_b32_e32 v71, 16, v70
	s_delay_alu instid0(VALU_DEP_1) | instskip(SKIP_4) | instid1(VALU_DEP_2)
	v_cmp_gt_i32_e32 vcc_lo, 32, v71
	v_cndmask_b32_e32 v70, v70, v71, vcc_lo
	v_wmma_f32_16x16x16_bf16 v[101:108], v[93:100], v[77:84], v[101:108]
	v_and_b32_e32 v69, 0xe0, v0
	v_wmma_f32_16x16x16_bf16 v[117:124], v[85:92], v[77:84], v[117:124]
	v_dual_mul_f32 v98, s19, v106 :: v_dual_add_nc_u32 v69, s12, v69
	s_delay_alu instid0(VALU_DEP_4) | instskip(NEXT) | instid1(VALU_DEP_3)
	v_mul_f32_e32 v96, s19, v108
	v_dual_mul_f32 v94, s19, v118 :: v_dual_mul_f32 v95, s19, v117
	s_delay_alu instid0(VALU_DEP_4) | instskip(NEXT) | instid1(VALU_DEP_4)
	v_mul_f32_e32 v84, s19, v120
	v_or_b32_e32 v69, v69, v65
	v_dual_mul_f32 v93, s19, v119 :: v_dual_mul_f32 v82, s19, v122
	v_dual_mul_f32 v83, s19, v121 :: v_dual_mul_f32 v80, s19, v124
	s_delay_alu instid0(VALU_DEP_3)
	v_or_b32_e32 v71, 2, v69
	v_or_b32_e32 v72, 4, v69
	;; [unrolled: 1-line block ×3, first 2 shown]
	v_cmp_gt_i32_e64 s2, s24, v69
	v_or_b32_e32 v110, 8, v69
	v_cmp_gt_i32_e32 vcc_lo, s24, v71
	v_or_b32_e32 v85, 10, v69
	v_cmp_gt_i32_e64 s3, s24, v72
	v_cndmask_b32_e64 v95, 0xff7fffff, v95, s2
	v_cmp_gt_i32_e64 s4, s24, v109
	v_cndmask_b32_e32 v94, 0xff7fffff, v94, vcc_lo
	v_or_b32_e32 v86, 12, v69
	v_or_b32_e32 v87, 14, v69
	v_mul_f32_e32 v72, s19, v101
	v_cndmask_b32_e64 v93, 0xff7fffff, v93, s3
	v_cndmask_b32_e64 v84, 0xff7fffff, v84, s4
	v_max3_f32 v94, v95, 0xff7fffff, v94
	v_cmp_gt_i32_e64 s5, s24, v110
	v_cmp_gt_i32_e64 s6, s24, v85
	v_or_b32_e32 v88, 16, v69
	v_or_b32_e32 v89, 18, v69
	v_dual_mul_f32 v81, s19, v123 :: v_dual_mul_f32 v100, s19, v104
	v_cndmask_b32_e64 v83, 0xff7fffff, v83, s5
	v_cndmask_b32_e64 v82, 0xff7fffff, v82, s6
	v_max3_f32 v84, v94, v93, v84
	v_cmp_gt_i32_e64 s7, s24, v86
	v_cmp_gt_i32_e64 s8, s24, v87
	v_or_b32_e32 v90, 20, v69
	v_or_b32_e32 v91, 22, v69
	;; [unrolled: 1-line block ×6, first 2 shown]
	v_mul_f32_e32 v69, s19, v102
	v_cndmask_b32_e64 v81, 0xff7fffff, v81, s7
	v_cndmask_b32_e64 v80, 0xff7fffff, v80, s8
	v_max3_f32 v82, v84, v83, v82
	v_cmp_gt_i32_e64 s9, s24, v88
	v_cmp_gt_i32_e64 s10, s24, v89
	v_mul_f32_e32 v71, s19, v103
	v_cmp_gt_i32_e64 s11, s24, v90
	v_max3_f32 v80, v82, v81, v80
	v_cndmask_b32_e64 v72, 0xff7fffff, v72, s9
	v_cndmask_b32_e64 v69, 0xff7fffff, v69, s10
	v_cmp_gt_i32_e64 s12, s24, v91
	v_mul_f32_e32 v99, s19, v105
	v_cndmask_b32_e64 v71, 0xff7fffff, v71, s11
	v_cmp_gt_i32_e64 s13, s24, v92
	v_max3_f32 v69, v80, v72, v69
	v_cndmask_b32_e64 v81, 0xff7fffff, v100, s12
	v_cmp_gt_i32_e64 s15, s24, v77
	v_mul_f32_e32 v97, s19, v107
	v_cndmask_b32_e64 v72, 0xff7fffff, v99, s13
	v_cmp_gt_i32_e64 s16, s24, v78
	v_max3_f32 v69, v69, v71, v81
	v_cndmask_b32_e64 v77, 0xff7fffff, v98, s15
	v_cmp_gt_i32_e64 s17, s24, v79
	v_lshlrev_b32_e32 v91, 2, v70
	v_cndmask_b32_e64 v71, 0xff7fffff, v97, s16
	s_delay_alu instid0(VALU_DEP_4) | instskip(NEXT) | instid1(VALU_DEP_4)
	v_max3_f32 v69, v69, v72, v77
	v_cndmask_b32_e64 v78, 0xff7fffff, v96, s17
	s_delay_alu instid0(VALU_DEP_1) | instskip(SKIP_3) | instid1(VALU_DEP_1)
	v_max3_f32 v69, v69, v71, v78
	ds_bpermute_b32 v70, v91, v69
	s_waitcnt lgkmcnt(0)
	v_max_f32_e32 v70, v70, v70
	v_max_f32_e32 v69, v69, v70
	s_delay_alu instid0(VALU_DEP_1) | instskip(SKIP_4) | instid1(VALU_DEP_4)
	v_fma_f32 v70, s19, v117, -v69
	v_fma_f32 v71, s19, v118, -v69
	;; [unrolled: 1-line block ×5, first 2 shown]
	v_dual_mul_f32 v70, 0x3fb8aa3b, v70 :: v_dual_mul_f32 v71, 0x3fb8aa3b, v71
	s_delay_alu instid0(VALU_DEP_3) | instskip(NEXT) | instid1(VALU_DEP_3)
	v_dual_mul_f32 v72, 0x3fb8aa3b, v72 :: v_dual_mul_f32 v77, 0x3fb8aa3b, v77
	v_mul_f32_e32 v78, 0x3fb8aa3b, v78
	s_delay_alu instid0(VALU_DEP_3) | instskip(NEXT) | instid1(VALU_DEP_3)
	v_exp_f32_e32 v70, v70
	v_exp_f32_e32 v71, v71
	s_delay_alu instid0(VALU_DEP_2)
	v_exp_f32_e32 v72, v72
	v_exp_f32_e32 v79, v77
	v_exp_f32_e32 v78, v78
	v_cndmask_b32_e64 v81, 0, v70, s2
	v_fma_f32 v70, s19, v122, -v69
	v_cndmask_b32_e32 v77, 0, v71, vcc_lo
	s_delay_alu instid0(TRANS32_DEP_3)
	v_cndmask_b32_e64 v85, 0, v72, s3
	s_waitcnt_depctr 0xfff
	v_cndmask_b32_e64 v87, 0, v79, s4
	v_dual_add_f32 v71, 0, v81 :: v_dual_mul_f32 v70, 0x3fb8aa3b, v70
	v_cndmask_b32_e64 v88, 0, v78, s5
	s_mov_b32 s2, exec_lo
	s_delay_alu instid0(VALU_DEP_2) | instskip(NEXT) | instid1(VALU_DEP_3)
	v_add_f32_e32 v71, v71, v77
	v_exp_f32_e32 v70, v70
	s_delay_alu instid0(VALU_DEP_1) | instskip(NEXT) | instid1(VALU_DEP_1)
	v_add_f32_e32 v71, v71, v85
	v_add_f32_e32 v71, v71, v87
	s_waitcnt_depctr 0xfff
	v_cndmask_b32_e64 v89, 0, v70, s6
	v_add_f32_e32 v70, v71, v88
	s_delay_alu instid0(VALU_DEP_1)
	v_add_f32_e32 v70, v70, v89
	v_fma_f32 v80, s19, v123, -v69
	v_fma_f32 v72, s19, v124, -v69
	;; [unrolled: 1-line block ×5, first 2 shown]
	v_mul_f32_e32 v80, 0x3fb8aa3b, v80
	s_delay_alu instid0(VALU_DEP_4) | instskip(NEXT) | instid1(VALU_DEP_3)
	v_dual_mul_f32 v72, 0x3fb8aa3b, v72 :: v_dual_mul_f32 v79, 0x3fb8aa3b, v79
	v_dual_mul_f32 v78, 0x3fb8aa3b, v78 :: v_dual_mul_f32 v71, 0x3fb8aa3b, v71
	s_delay_alu instid0(VALU_DEP_3) | instskip(NEXT) | instid1(VALU_DEP_2)
	v_exp_f32_e32 v80, v80
	v_exp_f32_e32 v72, v72
	s_delay_alu instid0(VALU_DEP_2) | instskip(NEXT) | instid1(VALU_DEP_1)
	v_exp_f32_e32 v79, v79
	v_exp_f32_e32 v78, v78
	;; [unrolled: 1-line block ×3, first 2 shown]
	v_fma_f32 v83, s19, v106, -v69
	v_cndmask_b32_e64 v86, 0, v80, s7
	v_fma_f32 v80, s19, v104, -v69
	v_cndmask_b32_e64 v90, 0, v72, s8
	v_fma_f32 v72, s19, v105, -v69
	s_delay_alu instid0(TRANS32_DEP_3) | instskip(SKIP_2) | instid1(VALU_DEP_2)
	v_cndmask_b32_e64 v71, 0, v79, s9
	v_add_f32_e32 v70, v70, v86
	v_dual_mul_f32 v80, 0x3fb8aa3b, v80 :: v_dual_mul_f32 v83, 0x3fb8aa3b, v83
	v_dual_mul_f32 v72, 0x3fb8aa3b, v72 :: v_dual_add_f32 v79, v70, v90
	s_delay_alu instid0(VALU_DEP_2) | instskip(SKIP_1) | instid1(VALU_DEP_2)
	v_exp_f32_e32 v80, v80
	v_cndmask_b32_e64 v70, 0, v78, s10
	v_exp_f32_e32 v84, v72
	v_cndmask_b32_e64 v72, 0, v82, s11
	v_add_f32_e32 v78, v79, v71
	v_fma_f32 v79, s19, v107, -v69
	v_exp_f32_e32 v83, v83
	s_delay_alu instid0(VALU_DEP_1) | instskip(NEXT) | instid1(TRANS32_DEP_3)
	v_dual_add_f32 v82, v78, v70 :: v_dual_mul_f32 v79, 0x3fb8aa3b, v79
	v_cndmask_b32_e64 v78, 0, v80, s12
	s_delay_alu instid0(VALU_DEP_2) | instskip(SKIP_1) | instid1(VALU_DEP_4)
	v_add_f32_e32 v80, v82, v72
	v_fma_f32 v82, s19, v108, -v69
	v_exp_f32_e32 v92, v79
	v_cndmask_b32_e64 v79, 0, v84, s13
	s_delay_alu instid0(VALU_DEP_3) | instskip(NEXT) | instid1(VALU_DEP_3)
	v_add_f32_e32 v84, v80, v78
	v_mul_f32_e32 v82, 0x3fb8aa3b, v82
	s_delay_alu instid0(TRANS32_DEP_2) | instskip(NEXT) | instid1(VALU_DEP_3)
	v_cndmask_b32_e64 v80, 0, v83, s15
	v_add_f32_e32 v83, v84, v79
	s_delay_alu instid0(VALU_DEP_3) | instskip(NEXT) | instid1(TRANS32_DEP_2)
	v_exp_f32_e32 v84, v82
	v_cndmask_b32_e64 v82, 0, v92, s16
	s_delay_alu instid0(VALU_DEP_2) | instskip(NEXT) | instid1(VALU_DEP_1)
	v_add_f32_e32 v83, v83, v80
	v_add_f32_e32 v92, v83, v82
	s_waitcnt_depctr 0xfff
	v_cndmask_b32_e64 v83, 0, v84, s17
	s_delay_alu instid0(VALU_DEP_1)
	v_add_f32_e32 v84, v92, v83
	ds_bpermute_b32 v91, v91, v84
	v_cmpx_gt_u32_e32 16, v68
	s_cbranch_execz .LBB1695_12
; %bb.11:
	v_mul_u32_u24_e32 v68, 0x44, v67
	s_waitcnt lgkmcnt(0)
	v_add_f32_e32 v84, v84, v91
	s_delay_alu instid0(VALU_DEP_2) | instskip(NEXT) | instid1(VALU_DEP_1)
	v_lshl_add_u32 v68, v66, 2, v68
	v_add_nc_u32_e32 v68, 0x4000, v68
	ds_store_2addr_b32 v68, v69, v84 offset1:136
.LBB1695_12:
	s_or_b32 exec_lo, exec_lo, s2
	v_lshlrev_b32_e32 v68, 2, v66
	s_waitcnt lgkmcnt(0)
	s_barrier
	buffer_gl0_inv
	v_cmp_eq_u32_e32 vcc_lo, 1, v67
	v_add_nc_u32_e32 v84, 0x4000, v68
	v_cmp_eq_u32_e64 s2, 2, v67
	v_cmp_eq_u32_e64 s4, 7, v67
	ds_load_2addr_b32 v[91:92], v84 offset1:17
	ds_load_2addr_b32 v[93:94], v84 offset0:34 offset1:51
	ds_load_2addr_b32 v[95:96], v84 offset0:68 offset1:85
	;; [unrolled: 1-line block ×4, first 2 shown]
	s_waitcnt lgkmcnt(4)
	v_max3_f32 v68, v91, 0xff7fffff, v92
	s_waitcnt lgkmcnt(3)
	s_delay_alu instid0(VALU_DEP_1) | instskip(SKIP_1) | instid1(VALU_DEP_1)
	v_max3_f32 v68, v68, v93, v94
	s_waitcnt lgkmcnt(2)
	v_max3_f32 v68, v68, v95, v96
	s_waitcnt lgkmcnt(1)
	s_delay_alu instid0(VALU_DEP_1) | instskip(NEXT) | instid1(VALU_DEP_1)
	v_max3_f32 v68, v68, v97, v98
	v_sub_f32_e32 v69, v91, v68
	v_sub_f32_e32 v93, v93, v68
	;; [unrolled: 1-line block ×3, first 2 shown]
	s_delay_alu instid0(VALU_DEP_3) | instskip(NEXT) | instid1(VALU_DEP_3)
	v_mul_f32_e32 v69, 0x3fb8aa3b, v69
	v_mul_f32_e32 v103, 0x3fb8aa3b, v93
	s_delay_alu instid0(VALU_DEP_3) | instskip(NEXT) | instid1(VALU_DEP_3)
	v_mul_f32_e32 v105, 0x3fb8aa3b, v95
	v_exp_f32_e32 v102, v69
	v_sub_f32_e32 v69, v94, v68
	v_sub_f32_e32 v101, v92, v68
	ds_load_2addr_b32 v[91:92], v84 offset0:170 offset1:187
	v_exp_f32_e32 v103, v103
	v_mul_f32_e32 v104, 0x3fb8aa3b, v69
	v_mul_f32_e32 v101, 0x3fb8aa3b, v101
	s_waitcnt lgkmcnt(1)
	v_fma_f32 v69, v102, v99, 0
	v_sub_f32_e32 v99, v96, v68
	s_delay_alu instid0(VALU_DEP_3) | instskip(SKIP_4) | instid1(VALU_DEP_1)
	v_exp_f32_e32 v101, v101
	v_exp_f32_e32 v104, v104
	s_waitcnt_depctr 0xfff
	v_fmac_f32_e32 v69, v101, v100
	s_waitcnt lgkmcnt(0)
	v_fmac_f32_e32 v69, v103, v91
	ds_load_2addr_b32 v[93:94], v84 offset0:204 offset1:221
	ds_load_2addr_b32 v[95:96], v84 offset0:238 offset1:255
	v_dual_sub_f32 v84, v97, v68 :: v_dual_mul_f32 v97, 0x3fb8aa3b, v99
	v_exp_f32_e32 v99, v105
	v_sub_f32_e32 v91, v98, v68
	v_fmac_f32_e32 v69, v104, v92
	s_delay_alu instid0(VALU_DEP_3)
	v_mul_f32_e32 v84, 0x3fb8aa3b, v84
	v_exp_f32_e32 v97, v97
	s_waitcnt lgkmcnt(0)
	v_mul_f32_e32 v91, 0x3fb8aa3b, v91
	s_barrier
	v_exp_f32_e32 v84, v84
	buffer_gl0_inv
	v_exp_f32_e32 v91, v91
	v_fmac_f32_e32 v69, v99, v93
	s_delay_alu instid0(VALU_DEP_1) | instskip(NEXT) | instid1(VALU_DEP_1)
	v_fmac_f32_e32 v69, v97, v94
	v_fmac_f32_e32 v69, v84, v95
	s_waitcnt_depctr 0xfff
	v_fmac_f32_e32 v69, v91, v96
	s_delay_alu instid0(VALU_DEP_1) | instskip(NEXT) | instid1(VALU_DEP_1)
	v_add_f32_e32 v92, 0x358637bd, v69
	v_div_scale_f32 v93, null, v92, v92, 1.0
	v_div_scale_f32 v96, s3, 1.0, v92, 1.0
	s_delay_alu instid0(VALU_DEP_2) | instskip(SKIP_2) | instid1(VALU_DEP_1)
	v_rcp_f32_e32 v94, v93
	s_waitcnt_depctr 0xfff
	v_fma_f32 v95, -v93, v94, 1.0
	v_dual_fmac_f32 v94, v95, v94 :: v_dual_cndmask_b32 v95, v102, v101
	v_cmp_eq_u32_e32 vcc_lo, 3, v67
	s_delay_alu instid0(VALU_DEP_2) | instskip(NEXT) | instid1(VALU_DEP_3)
	v_mul_f32_e32 v98, v96, v94
	v_cndmask_b32_e64 v95, v95, v103, s2
	v_cmp_eq_u32_e64 s2, 4, v67
	s_delay_alu instid0(VALU_DEP_3) | instskip(NEXT) | instid1(VALU_DEP_3)
	v_fma_f32 v100, -v93, v98, v96
	v_cndmask_b32_e32 v95, v95, v104, vcc_lo
	v_cmp_eq_u32_e32 vcc_lo, 5, v67
	s_delay_alu instid0(VALU_DEP_3) | instskip(NEXT) | instid1(VALU_DEP_3)
	v_fmac_f32_e32 v98, v100, v94
	v_cndmask_b32_e64 v95, v95, v99, s2
	v_cmp_eq_u32_e64 s2, 6, v67
	s_delay_alu instid0(VALU_DEP_3) | instskip(NEXT) | instid1(VALU_DEP_3)
	v_fma_f32 v93, -v93, v98, v96
	v_cndmask_b32_e32 v95, v95, v97, vcc_lo
	s_mov_b32 vcc_lo, s3
	s_delay_alu instid0(VALU_DEP_2) | instskip(NEXT) | instid1(VALU_DEP_2)
	v_div_fmas_f32 v93, v93, v94, v98
	v_cndmask_b32_e64 v84, v95, v84, s2
	s_mov_b32 s2, exec_lo
	s_delay_alu instid0(VALU_DEP_2) | instskip(NEXT) | instid1(VALU_DEP_2)
	v_div_fixup_f32 v92, v93, v92, 1.0
	v_cndmask_b32_e64 v84, v84, v91, s4
	s_delay_alu instid0(VALU_DEP_1) | instskip(NEXT) | instid1(VALU_DEP_1)
	v_mul_f32_e32 v84, v84, v92
	v_mul_f32_e32 v92, v84, v81
	;; [unrolled: 1-line block ×6, first 2 shown]
	v_and_b32_e32 v93, 0x7f800000, v92
	v_mul_f32_e32 v91, v84, v87
	v_mul_f32_e32 v88, v84, v85
	;; [unrolled: 1-line block ×3, first 2 shown]
                                        ; implicit-def: $vgpr77
	s_delay_alu instid0(VALU_DEP_4)
	v_cmpx_ne_u32_e32 0x7f800000, v93
	s_xor_b32 s2, exec_lo, s2
; %bb.13:
	v_bfe_u32 v77, v92, 16, 1
	s_delay_alu instid0(VALU_DEP_1)
	v_add3_u32 v77, v92, v77, 0x7fff
                                        ; implicit-def: $vgpr92
; %bb.14:
	s_and_not1_saveexec_b32 s2, s2
; %bb.15:
	v_and_b32_e32 v77, 0xffff, v92
	v_or_b32_e32 v85, 0x10000, v92
	s_delay_alu instid0(VALU_DEP_2) | instskip(NEXT) | instid1(VALU_DEP_2)
	v_cmp_eq_u32_e32 vcc_lo, 0, v77
	v_cndmask_b32_e32 v77, v85, v92, vcc_lo
; %bb.16:
	s_or_b32 exec_lo, exec_lo, s2
	v_and_b32_e32 v85, 0x7f800000, v87
	s_delay_alu instid0(VALU_DEP_1) | instskip(SKIP_1) | instid1(SALU_CYCLE_1)
	v_cmp_ne_u32_e32 vcc_lo, 0x7f800000, v85
                                        ; implicit-def: $vgpr85
	s_and_saveexec_b32 s2, vcc_lo
	s_xor_b32 s2, exec_lo, s2
; %bb.17:
	v_bfe_u32 v85, v87, 16, 1
	s_delay_alu instid0(VALU_DEP_1)
	v_add3_u32 v85, v87, v85, 0x7fff
                                        ; implicit-def: $vgpr87
; %bb.18:
	s_and_not1_saveexec_b32 s2, s2
; %bb.19:
	v_and_b32_e32 v85, 0xffff, v87
	v_or_b32_e32 v92, 0x10000, v87
	s_delay_alu instid0(VALU_DEP_2) | instskip(NEXT) | instid1(VALU_DEP_2)
	v_cmp_eq_u32_e32 vcc_lo, 0, v85
	v_cndmask_b32_e32 v85, v92, v87, vcc_lo
; %bb.20:
	s_or_b32 exec_lo, exec_lo, s2
	v_and_b32_e32 v87, 0x7f800000, v88
	s_delay_alu instid0(VALU_DEP_1) | instskip(SKIP_1) | instid1(SALU_CYCLE_1)
	v_cmp_ne_u32_e32 vcc_lo, 0x7f800000, v87
                                        ; implicit-def: $vgpr87
	s_and_saveexec_b32 s2, vcc_lo
	s_xor_b32 s2, exec_lo, s2
; %bb.21:
	v_bfe_u32 v87, v88, 16, 1
	s_delay_alu instid0(VALU_DEP_1)
	v_add3_u32 v87, v88, v87, 0x7fff
                                        ; implicit-def: $vgpr88
; %bb.22:
	s_and_not1_saveexec_b32 s2, s2
; %bb.23:
	v_and_b32_e32 v87, 0xffff, v88
	v_or_b32_e32 v92, 0x10000, v88
	s_delay_alu instid0(VALU_DEP_2) | instskip(NEXT) | instid1(VALU_DEP_2)
	v_cmp_eq_u32_e32 vcc_lo, 0, v87
	v_cndmask_b32_e32 v87, v92, v88, vcc_lo
; %bb.24:
	s_or_b32 exec_lo, exec_lo, s2
	v_and_b32_e32 v88, 0x7f800000, v91
	s_delay_alu instid0(VALU_DEP_1) | instskip(SKIP_1) | instid1(SALU_CYCLE_1)
	v_cmp_ne_u32_e32 vcc_lo, 0x7f800000, v88
                                        ; implicit-def: $vgpr88
	s_and_saveexec_b32 s2, vcc_lo
	s_xor_b32 s2, exec_lo, s2
; %bb.25:
	v_bfe_u32 v88, v91, 16, 1
	s_delay_alu instid0(VALU_DEP_1)
	v_add3_u32 v88, v91, v88, 0x7fff
                                        ; implicit-def: $vgpr91
; %bb.26:
	s_and_not1_saveexec_b32 s2, s2
; %bb.27:
	v_and_b32_e32 v88, 0xffff, v91
	v_or_b32_e32 v92, 0x10000, v91
	s_delay_alu instid0(VALU_DEP_2) | instskip(NEXT) | instid1(VALU_DEP_2)
	v_cmp_eq_u32_e32 vcc_lo, 0, v88
	v_cndmask_b32_e32 v88, v92, v91, vcc_lo
; %bb.28:
	s_or_b32 exec_lo, exec_lo, s2
	v_and_b32_e32 v91, 0x7f800000, v90
	s_delay_alu instid0(VALU_DEP_1) | instskip(SKIP_1) | instid1(SALU_CYCLE_1)
	v_cmp_ne_u32_e32 vcc_lo, 0x7f800000, v91
                                        ; implicit-def: $vgpr91
	s_and_saveexec_b32 s2, vcc_lo
	s_xor_b32 s2, exec_lo, s2
; %bb.29:
	v_bfe_u32 v91, v90, 16, 1
	s_delay_alu instid0(VALU_DEP_1)
	v_add3_u32 v91, v90, v91, 0x7fff
                                        ; implicit-def: $vgpr90
; %bb.30:
	s_and_not1_saveexec_b32 s2, s2
; %bb.31:
	v_and_b32_e32 v91, 0xffff, v90
	v_or_b32_e32 v92, 0x10000, v90
	s_delay_alu instid0(VALU_DEP_2) | instskip(NEXT) | instid1(VALU_DEP_2)
	v_cmp_eq_u32_e32 vcc_lo, 0, v91
	v_cndmask_b32_e32 v91, v92, v90, vcc_lo
; %bb.32:
	s_or_b32 exec_lo, exec_lo, s2
	v_and_b32_e32 v90, 0x7f800000, v89
	s_delay_alu instid0(VALU_DEP_1) | instskip(SKIP_1) | instid1(SALU_CYCLE_1)
	v_cmp_ne_u32_e32 vcc_lo, 0x7f800000, v90
                                        ; implicit-def: $vgpr90
	s_and_saveexec_b32 s2, vcc_lo
	s_xor_b32 s2, exec_lo, s2
; %bb.33:
	v_bfe_u32 v90, v89, 16, 1
	s_delay_alu instid0(VALU_DEP_1)
	v_add3_u32 v90, v89, v90, 0x7fff
                                        ; implicit-def: $vgpr89
; %bb.34:
	s_and_not1_saveexec_b32 s2, s2
; %bb.35:
	v_and_b32_e32 v90, 0xffff, v89
	v_or_b32_e32 v92, 0x10000, v89
	s_delay_alu instid0(VALU_DEP_2) | instskip(NEXT) | instid1(VALU_DEP_2)
	v_cmp_eq_u32_e32 vcc_lo, 0, v90
	v_cndmask_b32_e32 v90, v92, v89, vcc_lo
; %bb.36:
	s_or_b32 exec_lo, exec_lo, s2
	v_and_b32_e32 v89, 0x7f800000, v86
	s_delay_alu instid0(VALU_DEP_1) | instskip(SKIP_1) | instid1(SALU_CYCLE_1)
	v_cmp_ne_u32_e32 vcc_lo, 0x7f800000, v89
                                        ; implicit-def: $vgpr89
	s_and_saveexec_b32 s2, vcc_lo
	s_xor_b32 s2, exec_lo, s2
; %bb.37:
	v_bfe_u32 v89, v86, 16, 1
	s_delay_alu instid0(VALU_DEP_1)
	v_add3_u32 v89, v86, v89, 0x7fff
                                        ; implicit-def: $vgpr86
; %bb.38:
	s_and_not1_saveexec_b32 s2, s2
; %bb.39:
	v_and_b32_e32 v89, 0xffff, v86
	v_or_b32_e32 v92, 0x10000, v86
	s_delay_alu instid0(VALU_DEP_2) | instskip(NEXT) | instid1(VALU_DEP_2)
	v_cmp_eq_u32_e32 vcc_lo, 0, v89
	v_cndmask_b32_e32 v89, v92, v86, vcc_lo
; %bb.40:
	s_or_b32 exec_lo, exec_lo, s2
	v_and_b32_e32 v86, 0x7f800000, v81
	s_delay_alu instid0(VALU_DEP_1) | instskip(SKIP_1) | instid1(SALU_CYCLE_1)
	v_cmp_ne_u32_e32 vcc_lo, 0x7f800000, v86
                                        ; implicit-def: $vgpr86
	s_and_saveexec_b32 s2, vcc_lo
	s_xor_b32 s2, exec_lo, s2
; %bb.41:
	v_bfe_u32 v86, v81, 16, 1
	s_delay_alu instid0(VALU_DEP_1)
	v_add3_u32 v86, v81, v86, 0x7fff
                                        ; implicit-def: $vgpr81
; %bb.42:
	s_and_not1_saveexec_b32 s2, s2
; %bb.43:
	v_and_b32_e32 v86, 0xffff, v81
	v_or_b32_e32 v92, 0x10000, v81
	s_delay_alu instid0(VALU_DEP_2) | instskip(NEXT) | instid1(VALU_DEP_2)
	v_cmp_eq_u32_e32 vcc_lo, 0, v86
	v_cndmask_b32_e32 v86, v92, v81, vcc_lo
; %bb.44:
	s_or_b32 exec_lo, exec_lo, s2
	s_load_b64 s[34:35], s[0:1], 0x94
	v_lshlrev_b32_e32 v93, 4, v65
	s_delay_alu instid0(VALU_DEP_2)
	v_perm_b32 v92, v86, v89, 0x7060302
	v_dual_mul_f32 v80, v84, v80 :: v_dual_lshlrev_b32 v81, 6, v66
	v_lshlrev_b32_e32 v66, 11, v67
	v_perm_b32 v89, v85, v77, 0x7060302
	v_mul_f32_e32 v85, v84, v71
	v_mul_f32_e32 v71, v84, v82
	v_perm_b32 v91, v90, v91, 0x7060302
	v_perm_b32 v90, v88, v87, 0x7060302
	v_or3_b32 v77, v93, v66, v81
	v_mul_f32_e32 v66, v84, v83
	v_dual_mul_f32 v79, v84, v79 :: v_dual_and_b32 v86, 0x7f800000, v85
	v_mul_f32_e32 v83, v84, v78
	v_mul_f32_e32 v82, v84, v72
	;; [unrolled: 1-line block ×3, first 2 shown]
	s_mov_b32 s2, exec_lo
	ds_store_b128 v77, v[89:92]
                                        ; implicit-def: $vgpr70
	v_cmpx_ne_u32_e32 0x7f800000, v86
	s_xor_b32 s2, exec_lo, s2
; %bb.45:
	v_bfe_u32 v70, v85, 16, 1
	s_delay_alu instid0(VALU_DEP_1)
	v_add3_u32 v70, v85, v70, 0x7fff
                                        ; implicit-def: $vgpr85
; %bb.46:
	s_and_not1_saveexec_b32 s2, s2
; %bb.47:
	v_and_b32_e32 v70, 0xffff, v85
	v_or_b32_e32 v72, 0x10000, v85
	s_delay_alu instid0(VALU_DEP_2) | instskip(NEXT) | instid1(VALU_DEP_2)
	v_cmp_eq_u32_e32 vcc_lo, 0, v70
	v_cndmask_b32_e32 v70, v72, v85, vcc_lo
; %bb.48:
	s_or_b32 exec_lo, exec_lo, s2
	v_and_b32_e32 v72, 0x7f800000, v78
	s_delay_alu instid0(VALU_DEP_1) | instskip(SKIP_1) | instid1(SALU_CYCLE_1)
	v_cmp_ne_u32_e32 vcc_lo, 0x7f800000, v72
                                        ; implicit-def: $vgpr72
	s_and_saveexec_b32 s2, vcc_lo
	s_xor_b32 s2, exec_lo, s2
; %bb.49:
	v_bfe_u32 v72, v78, 16, 1
	s_delay_alu instid0(VALU_DEP_1)
	v_add3_u32 v72, v78, v72, 0x7fff
                                        ; implicit-def: $vgpr78
; %bb.50:
	s_and_not1_saveexec_b32 s2, s2
; %bb.51:
	v_and_b32_e32 v72, 0xffff, v78
	v_or_b32_e32 v84, 0x10000, v78
	s_delay_alu instid0(VALU_DEP_2) | instskip(NEXT) | instid1(VALU_DEP_2)
	v_cmp_eq_u32_e32 vcc_lo, 0, v72
	v_cndmask_b32_e32 v72, v84, v78, vcc_lo
; %bb.52:
	s_or_b32 exec_lo, exec_lo, s2
	v_and_b32_e32 v78, 0x7f800000, v82
	s_delay_alu instid0(VALU_DEP_1) | instskip(SKIP_1) | instid1(SALU_CYCLE_1)
	v_cmp_ne_u32_e32 vcc_lo, 0x7f800000, v78
                                        ; implicit-def: $vgpr78
	s_and_saveexec_b32 s2, vcc_lo
	s_xor_b32 s2, exec_lo, s2
; %bb.53:
	v_bfe_u32 v78, v82, 16, 1
	s_delay_alu instid0(VALU_DEP_1)
	v_add3_u32 v78, v82, v78, 0x7fff
                                        ; implicit-def: $vgpr82
; %bb.54:
	s_and_not1_saveexec_b32 s2, s2
; %bb.55:
	v_and_b32_e32 v78, 0xffff, v82
	v_or_b32_e32 v84, 0x10000, v82
	s_delay_alu instid0(VALU_DEP_2) | instskip(NEXT) | instid1(VALU_DEP_2)
	v_cmp_eq_u32_e32 vcc_lo, 0, v78
	v_cndmask_b32_e32 v78, v84, v82, vcc_lo
; %bb.56:
	s_or_b32 exec_lo, exec_lo, s2
	v_and_b32_e32 v82, 0x7f800000, v83
	s_delay_alu instid0(VALU_DEP_1) | instskip(SKIP_1) | instid1(SALU_CYCLE_1)
	v_cmp_ne_u32_e32 vcc_lo, 0x7f800000, v82
                                        ; implicit-def: $vgpr82
	s_and_saveexec_b32 s2, vcc_lo
	s_xor_b32 s2, exec_lo, s2
; %bb.57:
	v_bfe_u32 v82, v83, 16, 1
	s_delay_alu instid0(VALU_DEP_1)
	v_add3_u32 v82, v83, v82, 0x7fff
                                        ; implicit-def: $vgpr83
; %bb.58:
	s_and_not1_saveexec_b32 s2, s2
; %bb.59:
	v_and_b32_e32 v82, 0xffff, v83
	v_or_b32_e32 v84, 0x10000, v83
	s_delay_alu instid0(VALU_DEP_2) | instskip(NEXT) | instid1(VALU_DEP_2)
	v_cmp_eq_u32_e32 vcc_lo, 0, v82
	v_cndmask_b32_e32 v82, v84, v83, vcc_lo
; %bb.60:
	s_or_b32 exec_lo, exec_lo, s2
	v_and_b32_e32 v83, 0x7f800000, v79
	s_delay_alu instid0(VALU_DEP_1) | instskip(SKIP_1) | instid1(SALU_CYCLE_1)
	v_cmp_ne_u32_e32 vcc_lo, 0x7f800000, v83
                                        ; implicit-def: $vgpr83
	s_and_saveexec_b32 s2, vcc_lo
	s_xor_b32 s2, exec_lo, s2
; %bb.61:
	v_bfe_u32 v83, v79, 16, 1
	s_delay_alu instid0(VALU_DEP_1)
	v_add3_u32 v83, v79, v83, 0x7fff
                                        ; implicit-def: $vgpr79
; %bb.62:
	s_and_not1_saveexec_b32 s2, s2
; %bb.63:
	v_and_b32_e32 v83, 0xffff, v79
	v_or_b32_e32 v84, 0x10000, v79
	s_delay_alu instid0(VALU_DEP_2) | instskip(NEXT) | instid1(VALU_DEP_2)
	v_cmp_eq_u32_e32 vcc_lo, 0, v83
	v_cndmask_b32_e32 v83, v84, v79, vcc_lo
; %bb.64:
	s_or_b32 exec_lo, exec_lo, s2
	v_and_b32_e32 v79, 0x7f800000, v80
	s_delay_alu instid0(VALU_DEP_1) | instskip(SKIP_1) | instid1(SALU_CYCLE_1)
	v_cmp_ne_u32_e32 vcc_lo, 0x7f800000, v79
                                        ; implicit-def: $vgpr79
	s_and_saveexec_b32 s2, vcc_lo
	s_xor_b32 s2, exec_lo, s2
; %bb.65:
	v_bfe_u32 v79, v80, 16, 1
	s_delay_alu instid0(VALU_DEP_1)
	v_add3_u32 v79, v80, v79, 0x7fff
                                        ; implicit-def: $vgpr80
; %bb.66:
	s_and_not1_saveexec_b32 s2, s2
; %bb.67:
	v_and_b32_e32 v79, 0xffff, v80
	v_or_b32_e32 v84, 0x10000, v80
	s_delay_alu instid0(VALU_DEP_2) | instskip(NEXT) | instid1(VALU_DEP_2)
	v_cmp_eq_u32_e32 vcc_lo, 0, v79
	v_cndmask_b32_e32 v79, v84, v80, vcc_lo
; %bb.68:
	s_or_b32 exec_lo, exec_lo, s2
	v_and_b32_e32 v80, 0x7f800000, v71
	s_delay_alu instid0(VALU_DEP_1) | instskip(SKIP_1) | instid1(SALU_CYCLE_1)
	v_cmp_ne_u32_e32 vcc_lo, 0x7f800000, v80
                                        ; implicit-def: $vgpr80
	s_and_saveexec_b32 s2, vcc_lo
	s_xor_b32 s2, exec_lo, s2
; %bb.69:
	v_bfe_u32 v80, v71, 16, 1
	s_delay_alu instid0(VALU_DEP_1)
	v_add3_u32 v80, v71, v80, 0x7fff
                                        ; implicit-def: $vgpr71
; %bb.70:
	s_and_not1_saveexec_b32 s2, s2
; %bb.71:
	v_and_b32_e32 v80, 0xffff, v71
	v_or_b32_e32 v84, 0x10000, v71
	s_delay_alu instid0(VALU_DEP_2) | instskip(NEXT) | instid1(VALU_DEP_2)
	v_cmp_eq_u32_e32 vcc_lo, 0, v80
	v_cndmask_b32_e32 v80, v84, v71, vcc_lo
; %bb.72:
	s_or_b32 exec_lo, exec_lo, s2
	v_and_b32_e32 v71, 0x7f800000, v66
	s_delay_alu instid0(VALU_DEP_1) | instskip(SKIP_1) | instid1(SALU_CYCLE_1)
	v_cmp_ne_u32_e32 vcc_lo, 0x7f800000, v71
                                        ; implicit-def: $vgpr71
	s_and_saveexec_b32 s2, vcc_lo
	s_xor_b32 s2, exec_lo, s2
; %bb.73:
	v_bfe_u32 v71, v66, 16, 1
	s_delay_alu instid0(VALU_DEP_1)
	v_add3_u32 v71, v66, v71, 0x7fff
                                        ; implicit-def: $vgpr66
; %bb.74:
	s_and_not1_saveexec_b32 s2, s2
; %bb.75:
	v_and_b32_e32 v71, 0xffff, v66
	v_or_b32_e32 v84, 0x10000, v66
	s_delay_alu instid0(VALU_DEP_2) | instskip(NEXT) | instid1(VALU_DEP_2)
	v_cmp_eq_u32_e32 vcc_lo, 0, v71
	v_cndmask_b32_e32 v71, v84, v66, vcc_lo
; %bb.76:
	s_or_b32 exec_lo, exec_lo, s2
	s_delay_alu instid0(VALU_DEP_1)
	v_perm_b32 v87, v71, v80, 0x7060302
	v_perm_b32 v86, v79, v83, 0x7060302
	;; [unrolled: 1-line block ×4, first 2 shown]
	v_lshl_or_b32 v83, v67, 11, v81
	ds_store_b128 v77, v[84:87] offset:1024
	s_waitcnt lgkmcnt(0)
	s_barrier
	buffer_gl0_inv
	ds_load_b128 v[84:87], v83
	ds_load_b128 v[88:91], v83 offset:16
	s_waitcnt lgkmcnt(1)
	v_lshrrev_b32_e32 v70, 16, v87
	s_waitcnt lgkmcnt(0)
	v_lshrrev_b32_e32 v71, 16, v88
	v_lshlrev_b32_e32 v79, 2, v65
	v_lshrrev_b32_e32 v65, 16, v84
	v_lshrrev_b32_e32 v66, 16, v85
	v_lshrrev_b32_e32 v72, 16, v89
	v_lshrrev_b32_e32 v67, 16, v86
	v_cmp_eq_u32_e32 vcc_lo, 1, v79
	v_lshrrev_b32_e32 v100, 16, v90
	v_lshrrev_b32_e32 v101, 16, v91
	v_cndmask_b32_e32 v92, v88, v71, vcc_lo
	v_or_b32_e32 v80, 1, v79
	v_cndmask_b32_e32 v82, v84, v65, vcc_lo
	v_cmp_eq_u32_e64 s3, 2, v79
	v_cmp_eq_u32_e64 s6, 3, v79
	;; [unrolled: 1-line block ×5, first 2 shown]
	v_cndmask_b32_e64 v82, v82, v85, s3
	v_cndmask_b32_e64 v92, v92, v89, s3
	v_cmp_eq_u32_e64 s7, 3, v80
	v_cndmask_b32_e64 v93, v84, v65, s2
	v_or_b32_e32 v78, 2, v79
	v_cndmask_b32_e64 v82, v82, v66, s6
	v_cndmask_b32_e64 v92, v92, v72, s6
	;; [unrolled: 1-line block ×4, first 2 shown]
	v_cmp_eq_u32_e64 s9, 5, v79
	v_cndmask_b32_e64 v82, v82, v86, s8
	v_cndmask_b32_e64 v92, v92, v90, s8
	v_cmp_eq_u32_e64 s10, 4, v80
	v_cndmask_b32_e64 v93, v93, v66, s7
	v_cmp_eq_u32_e64 s4, 1, v78
	v_cndmask_b32_e64 v94, v94, v89, s5
	v_cndmask_b32_e64 v82, v82, v67, s9
	v_cmp_eq_u32_e64 s11, 6, v79
	v_cndmask_b32_e64 v93, v93, v86, s10
	;; [unrolled: 3-line block ×3, first 2 shown]
	v_cndmask_b32_e64 v94, v94, v72, s7
	v_cndmask_b32_e64 v82, v82, v87, s11
	v_cmp_eq_u32_e64 s13, 7, v79
	v_cndmask_b32_e64 v93, v93, v67, s12
	v_cndmask_b32_e64 v92, v92, v91, s11
	v_cmp_eq_u32_e64 s15, 6, v80
	v_cmp_eq_u32_e64 s16, 2, v78
	v_cndmask_b32_e64 v94, v94, v90, s10
	v_cndmask_b32_e64 v102, v82, v70, s13
	;; [unrolled: 1-line block ×6, first 2 shown]
	v_cmp_eq_u32_e64 s17, 7, v80
	v_cmp_eq_u32_e64 s18, 3, v78
	;; [unrolled: 1-line block ×4, first 2 shown]
	v_cndmask_b32_e64 v92, v92, v89, s16
	v_cndmask_b32_e64 v104, v93, v70, s17
	;; [unrolled: 1-line block ×4, first 2 shown]
	v_or_b32_e32 v82, 3, v79
	v_cndmask_b32_e64 v97, v92, v72, s18
	v_cmp_eq_u32_e64 s23, 6, v78
	v_cndmask_b32_e64 v105, v93, v91, s15
	v_cndmask_b32_e64 v96, v94, v86, s19
	v_cmp_eq_u32_e64 s20, 1, v82
	ds_load_b128 v[92:95], v83 offset:1024
	v_cmp_eq_u32_e64 s22, 2, v82
	v_cmp_eq_u32_e64 s24, 3, v82
	v_cndmask_b32_e64 v106, v96, v67, s21
	v_cndmask_b32_e64 v65, v84, v65, s20
	;; [unrolled: 1-line block ×3, first 2 shown]
	ds_load_b128 v[96:99], v83 offset:1040
	v_cndmask_b32_e64 v71, v88, v71, s20
	v_cmp_eq_u32_e64 s25, 4, v82
	v_cndmask_b32_e64 v65, v65, v85, s22
	v_cmp_eq_u32_e64 s27, 5, v82
	v_cmp_eq_u32_e64 s28, 6, v82
	v_cndmask_b32_e64 v71, v71, v89, s22
	v_cndmask_b32_e64 v84, v84, v100, s21
	;; [unrolled: 1-line block ×4, first 2 shown]
	v_cmp_eq_u32_e64 s26, 7, v78
	v_cndmask_b32_e64 v71, v71, v72, s24
	v_cndmask_b32_e64 v84, v84, v91, s23
	;; [unrolled: 1-line block ×3, first 2 shown]
	s_waitcnt lgkmcnt(1)
	v_lshrrev_b32_e32 v72, 16, v92
	v_lshrrev_b32_e32 v88, 16, v93
	v_cndmask_b32_e64 v71, v71, v90, s25
	v_cndmask_b32_e64 v66, v66, v70, s26
	;; [unrolled: 1-line block ×6, first 2 shown]
	s_waitcnt lgkmcnt(0)
	v_lshrrev_b32_e32 v71, 16, v96
	v_cndmask_b32_e64 v65, v65, v87, s28
	v_cndmask_b32_e64 v87, v89, v93, s5
	v_lshrrev_b32_e32 v100, 16, v98
	v_cndmask_b32_e64 v67, v67, v91, s28
	v_cndmask_b32_e32 v86, v92, v72, vcc_lo
	v_cndmask_b32_e32 v90, v96, v71, vcc_lo
	v_cmp_eq_u32_e32 vcc_lo, 7, v82
	v_cndmask_b32_e64 v87, v87, v88, s7
	v_lshrrev_b32_e32 v91, 16, v94
	v_cndmask_b32_e64 v85, v105, v101, s17
	v_cndmask_b32_e64 v89, v90, v97, s3
	v_cndmask_b32_e32 v67, v67, v101, vcc_lo
	v_cndmask_b32_e64 v86, v86, v93, s3
	v_lshrrev_b32_e32 v90, 16, v97
	v_cndmask_b32_e32 v65, v65, v70, vcc_lo
	v_cndmask_b32_e64 v70, v87, v94, s10
	v_cndmask_b32_e64 v101, v96, v71, s4
	;; [unrolled: 1-line block ×4, first 2 shown]
	v_perm_b32 v87, v67, v65, 0x5040100
	v_cndmask_b32_e64 v65, v70, v91, s12
	v_lshrrev_b32_e32 v70, 16, v95
	v_cndmask_b32_e64 v86, v86, v94, s8
	v_cndmask_b32_e64 v89, v89, v98, s8
	v_perm_b32 v85, v85, v104, 0x5040100
	v_cndmask_b32_e64 v65, v65, v95, s15
	s_delay_alu instid0(VALU_DEP_4) | instskip(NEXT) | instid1(VALU_DEP_4)
	v_cndmask_b32_e64 v86, v86, v91, s9
	v_cndmask_b32_e64 v89, v89, v100, s9
	s_delay_alu instid0(VALU_DEP_3) | instskip(NEXT) | instid1(VALU_DEP_3)
	v_cndmask_b32_e64 v65, v65, v70, s17
	v_cndmask_b32_e64 v67, v86, v95, s11
	v_perm_b32 v86, v84, v66, 0x5040100
	v_lshrrev_b32_e32 v84, 16, v99
	s_delay_alu instid0(VALU_DEP_3)
	v_cndmask_b32_e64 v66, v67, v70, s13
	v_cndmask_b32_e64 v67, v89, v99, s11
	;; [unrolled: 1-line block ×33, first 2 shown]
	v_cndmask_b32_e32 v70, v72, v70, vcc_lo
	v_cndmask_b32_e32 v72, v88, v84, vcc_lo
	v_cndmask_b32_e64 v88, v90, v84, s26
	v_cndmask_b32_e64 v71, v71, v84, s17
	v_perm_b32 v84, v103, v102, 0x5040100
	s_lshl_b32 s7, s35, 1
	v_perm_b32 v91, v72, v70, 0x5040100
	v_perm_b32 v90, v88, v89, 0x5040100
	;; [unrolled: 1-line block ×4, first 2 shown]
	s_mov_b32 s2, exec_lo
	ds_store_b128 v77, v[84:87]
	ds_store_b128 v77, v[88:91] offset:1024
	v_cmpx_gt_u32_e32 2, v0
	s_cbranch_execz .LBB1695_78
; %bb.77:
	v_or_b32_e32 v65, s31, v0
	s_load_b128 s[8:11], s[0:1], 0x58
	s_delay_alu instid0(VALU_DEP_1) | instskip(NEXT) | instid1(VALU_DEP_1)
	v_mad_u64_u32 v[66:67], null, s7, s30, v[65:66]
	v_mad_u64_u32 v[70:71], null, v66, s34, s[14:15]
	s_delay_alu instid0(VALU_DEP_1) | instskip(NEXT) | instid1(VALU_DEP_1)
	v_ashrrev_i32_e32 v71, 31, v70
	v_lshlrev_b64 v[65:66], 2, v[70:71]
	s_waitcnt lgkmcnt(0)
	s_delay_alu instid0(VALU_DEP_1) | instskip(NEXT) | instid1(VALU_DEP_2)
	v_add_co_u32 v70, vcc_lo, s10, v65
	v_add_co_ci_u32_e32 v71, vcc_lo, s11, v66, vcc_lo
	v_add_co_u32 v65, vcc_lo, s8, v65
	v_add_co_ci_u32_e32 v66, vcc_lo, s9, v66, vcc_lo
	global_store_b32 v[70:71], v68, off
	global_store_b32 v[65:66], v69, off
.LBB1695_78:
	s_or_b32 exec_lo, exec_lo, s2
	s_waitcnt lgkmcnt(0)
	s_waitcnt_vscnt null, 0x0
	s_barrier
	buffer_gl0_inv
	ds_load_b128 v[84:87], v81
	ds_load_b128 v[88:91], v81 offset:16
	ds_load_b128 v[96:99], v81 offset:2064
	;; [unrolled: 1-line block ×3, first 2 shown]
	v_mov_b32_e32 v65, 0
	ds_load_b128 v[104:107], v81 offset:4112
	ds_load_b128 v[100:103], v81 offset:4096
	;; [unrolled: 1-line block ×4, first 2 shown]
	v_mov_b32_e32 v66, v65
	v_mov_b32_e32 v67, v65
	;; [unrolled: 1-line block ×7, first 2 shown]
	s_waitcnt lgkmcnt(6)
	s_delay_alu instid0(VALU_DEP_1)
	v_wmma_f32_16x16x16_bf16 v[65:72], v[57:64], v[84:91], v[65:72]
	ds_load_b128 v[61:64], v81 offset:8208
	ds_load_b128 v[57:60], v81 offset:8192
	s_waitcnt lgkmcnt(6)
	v_wmma_f32_16x16x16_bf16 v[65:72], v[41:48], v[92:99], v[65:72]
	ds_load_b128 v[45:48], v81 offset:10256
	ds_load_b128 v[41:44], v81 offset:10240
	s_waitcnt lgkmcnt(6)
	;; [unrolled: 4-line block ×4, first 2 shown]
	v_wmma_f32_16x16x16_bf16 v[65:72], v[1:8], v[57:64], v[65:72]
	s_waitcnt lgkmcnt(4)
	s_delay_alu instid0(VALU_DEP_1) | instskip(SKIP_1) | instid1(VALU_DEP_1)
	v_wmma_f32_16x16x16_bf16 v[65:72], v[9:16], v[41:48], v[65:72]
	s_waitcnt lgkmcnt(2)
	v_wmma_f32_16x16x16_bf16 v[65:72], v[17:24], v[33:40], v[65:72]
	s_waitcnt lgkmcnt(0)
	s_delay_alu instid0(VALU_DEP_1) | instskip(NEXT) | instid1(VALU_DEP_1)
	v_wmma_f32_16x16x16_bf16 v[65:72], v[49:56], v[25:32], v[65:72]
	v_and_b32_e32 v1, 0x7f800000, v65
	s_delay_alu instid0(VALU_DEP_1) | instskip(SKIP_1) | instid1(SALU_CYCLE_1)
	v_cmp_ne_u32_e32 vcc_lo, 0x7f800000, v1
                                        ; implicit-def: $vgpr1
	s_and_saveexec_b32 s2, vcc_lo
	s_xor_b32 s2, exec_lo, s2
; %bb.79:
	v_bfe_u32 v1, v65, 16, 1
	s_delay_alu instid0(VALU_DEP_1)
	v_add3_u32 v1, v65, v1, 0x7fff
; %bb.80:
	s_and_not1_saveexec_b32 s2, s2
; %bb.81:
	v_and_b32_e32 v1, 0xffff, v65
	v_or_b32_e32 v2, 0x10000, v65
	s_delay_alu instid0(VALU_DEP_2) | instskip(NEXT) | instid1(VALU_DEP_2)
	v_cmp_eq_u32_e32 vcc_lo, 0, v1
	v_cndmask_b32_e32 v1, v2, v65, vcc_lo
; %bb.82:
	s_or_b32 exec_lo, exec_lo, s2
	v_and_b32_e32 v2, 0x7f800000, v66
	s_delay_alu instid0(VALU_DEP_1) | instskip(SKIP_1) | instid1(SALU_CYCLE_1)
	v_cmp_ne_u32_e32 vcc_lo, 0x7f800000, v2
                                        ; implicit-def: $vgpr2
	s_and_saveexec_b32 s2, vcc_lo
	s_xor_b32 s2, exec_lo, s2
; %bb.83:
	v_bfe_u32 v2, v66, 16, 1
	s_delay_alu instid0(VALU_DEP_1)
	v_add3_u32 v2, v66, v2, 0x7fff
; %bb.84:
	s_and_not1_saveexec_b32 s2, s2
; %bb.85:
	v_and_b32_e32 v2, 0xffff, v66
	v_or_b32_e32 v3, 0x10000, v66
	s_delay_alu instid0(VALU_DEP_2) | instskip(NEXT) | instid1(VALU_DEP_2)
	v_cmp_eq_u32_e32 vcc_lo, 0, v2
	v_cndmask_b32_e32 v2, v3, v66, vcc_lo
; %bb.86:
	s_or_b32 exec_lo, exec_lo, s2
	v_and_b32_e32 v3, 0x7f800000, v67
	s_delay_alu instid0(VALU_DEP_1) | instskip(SKIP_1) | instid1(SALU_CYCLE_1)
	v_cmp_ne_u32_e32 vcc_lo, 0x7f800000, v3
                                        ; implicit-def: $vgpr3
	s_and_saveexec_b32 s2, vcc_lo
	s_xor_b32 s2, exec_lo, s2
; %bb.87:
	v_bfe_u32 v3, v67, 16, 1
	s_delay_alu instid0(VALU_DEP_1)
	v_add3_u32 v3, v67, v3, 0x7fff
; %bb.88:
	s_and_not1_saveexec_b32 s2, s2
; %bb.89:
	v_and_b32_e32 v3, 0xffff, v67
	v_or_b32_e32 v4, 0x10000, v67
	s_delay_alu instid0(VALU_DEP_2) | instskip(NEXT) | instid1(VALU_DEP_2)
	v_cmp_eq_u32_e32 vcc_lo, 0, v3
	v_cndmask_b32_e32 v3, v4, v67, vcc_lo
; %bb.90:
	s_or_b32 exec_lo, exec_lo, s2
	v_and_b32_e32 v4, 0x7f800000, v68
	s_delay_alu instid0(VALU_DEP_1) | instskip(SKIP_1) | instid1(SALU_CYCLE_1)
	v_cmp_ne_u32_e32 vcc_lo, 0x7f800000, v4
                                        ; implicit-def: $vgpr4
	s_and_saveexec_b32 s2, vcc_lo
	s_xor_b32 s2, exec_lo, s2
; %bb.91:
	v_bfe_u32 v4, v68, 16, 1
	s_delay_alu instid0(VALU_DEP_1)
	v_add3_u32 v4, v68, v4, 0x7fff
; %bb.92:
	s_and_not1_saveexec_b32 s2, s2
; %bb.93:
	v_and_b32_e32 v4, 0xffff, v68
	v_or_b32_e32 v5, 0x10000, v68
	s_delay_alu instid0(VALU_DEP_2) | instskip(NEXT) | instid1(VALU_DEP_2)
	v_cmp_eq_u32_e32 vcc_lo, 0, v4
	v_cndmask_b32_e32 v4, v5, v68, vcc_lo
; %bb.94:
	s_or_b32 exec_lo, exec_lo, s2
	v_and_b32_e32 v5, 0x7f800000, v69
	s_delay_alu instid0(VALU_DEP_1) | instskip(SKIP_1) | instid1(SALU_CYCLE_1)
	v_cmp_ne_u32_e32 vcc_lo, 0x7f800000, v5
                                        ; implicit-def: $vgpr5
	s_and_saveexec_b32 s2, vcc_lo
	s_xor_b32 s2, exec_lo, s2
; %bb.95:
	v_bfe_u32 v5, v69, 16, 1
	s_delay_alu instid0(VALU_DEP_1)
	v_add3_u32 v5, v69, v5, 0x7fff
; %bb.96:
	s_and_not1_saveexec_b32 s2, s2
; %bb.97:
	v_and_b32_e32 v5, 0xffff, v69
	v_or_b32_e32 v6, 0x10000, v69
	s_delay_alu instid0(VALU_DEP_2) | instskip(NEXT) | instid1(VALU_DEP_2)
	v_cmp_eq_u32_e32 vcc_lo, 0, v5
	v_cndmask_b32_e32 v5, v6, v69, vcc_lo
; %bb.98:
	s_or_b32 exec_lo, exec_lo, s2
	v_and_b32_e32 v6, 0x7f800000, v70
	s_delay_alu instid0(VALU_DEP_1) | instskip(SKIP_1) | instid1(SALU_CYCLE_1)
	v_cmp_ne_u32_e32 vcc_lo, 0x7f800000, v6
                                        ; implicit-def: $vgpr6
	s_and_saveexec_b32 s2, vcc_lo
	s_xor_b32 s2, exec_lo, s2
; %bb.99:
	v_bfe_u32 v6, v70, 16, 1
	s_delay_alu instid0(VALU_DEP_1)
	v_add3_u32 v6, v70, v6, 0x7fff
; %bb.100:
	s_and_not1_saveexec_b32 s2, s2
; %bb.101:
	v_and_b32_e32 v6, 0xffff, v70
	v_or_b32_e32 v7, 0x10000, v70
	s_delay_alu instid0(VALU_DEP_2) | instskip(NEXT) | instid1(VALU_DEP_2)
	v_cmp_eq_u32_e32 vcc_lo, 0, v6
	v_cndmask_b32_e32 v6, v7, v70, vcc_lo
; %bb.102:
	s_or_b32 exec_lo, exec_lo, s2
	v_and_b32_e32 v7, 0x7f800000, v71
	s_delay_alu instid0(VALU_DEP_1) | instskip(SKIP_1) | instid1(SALU_CYCLE_1)
	v_cmp_ne_u32_e32 vcc_lo, 0x7f800000, v7
                                        ; implicit-def: $vgpr7
	s_and_saveexec_b32 s2, vcc_lo
	s_xor_b32 s2, exec_lo, s2
; %bb.103:
	v_bfe_u32 v7, v71, 16, 1
	s_delay_alu instid0(VALU_DEP_1)
	v_add3_u32 v7, v71, v7, 0x7fff
; %bb.104:
	s_and_not1_saveexec_b32 s2, s2
; %bb.105:
	v_and_b32_e32 v7, 0xffff, v71
	v_or_b32_e32 v8, 0x10000, v71
	s_delay_alu instid0(VALU_DEP_2) | instskip(NEXT) | instid1(VALU_DEP_2)
	v_cmp_eq_u32_e32 vcc_lo, 0, v7
	v_cndmask_b32_e32 v7, v8, v71, vcc_lo
; %bb.106:
	s_or_b32 exec_lo, exec_lo, s2
	v_and_b32_e32 v8, 0x7f800000, v72
	s_delay_alu instid0(VALU_DEP_1) | instskip(SKIP_1) | instid1(SALU_CYCLE_1)
	v_cmp_ne_u32_e32 vcc_lo, 0x7f800000, v8
                                        ; implicit-def: $vgpr8
	s_and_saveexec_b32 s2, vcc_lo
	s_xor_b32 s2, exec_lo, s2
; %bb.107:
	v_bfe_u32 v8, v72, 16, 1
	s_delay_alu instid0(VALU_DEP_1)
	v_add3_u32 v8, v72, v8, 0x7fff
                                        ; implicit-def: $vgpr65_vgpr66_vgpr67_vgpr68_vgpr69_vgpr70_vgpr71_vgpr72
; %bb.108:
	s_and_not1_saveexec_b32 s2, s2
; %bb.109:
	v_and_b32_e32 v8, 0xffff, v72
	v_or_b32_e32 v9, 0x10000, v72
	s_delay_alu instid0(VALU_DEP_2) | instskip(NEXT) | instid1(VALU_DEP_2)
	v_cmp_eq_u32_e32 vcc_lo, 0, v8
	v_cndmask_b32_e32 v8, v9, v72, vcc_lo
; %bb.110:
	s_or_b32 exec_lo, exec_lo, s2
	s_delay_alu instid0(VALU_DEP_1)
	v_perm_b32 v7, v8, v7, 0x7060302
	v_perm_b32 v6, v6, v5, 0x7060302
	;; [unrolled: 1-line block ×4, first 2 shown]
	s_barrier
	buffer_gl0_inv
	v_cmp_eq_u32_e32 vcc_lo, 1, v79
	ds_store_b128 v77, v[4:7]
	s_waitcnt lgkmcnt(0)
	s_barrier
	buffer_gl0_inv
	ds_load_b128 v[1:4], v83
	ds_load_b128 v[5:8], v83 offset:16
	v_cmp_eq_u32_e64 s2, 1, v80
	v_cmp_eq_u32_e64 s3, 2, v79
	;; [unrolled: 1-line block ×5, first 2 shown]
	s_waitcnt lgkmcnt(1)
	v_lshrrev_b32_e32 v9, 16, v1
	s_waitcnt lgkmcnt(0)
	v_lshrrev_b32_e32 v13, 16, v5
	v_lshrrev_b32_e32 v10, 16, v2
	;; [unrolled: 1-line block ×4, first 2 shown]
	v_cndmask_b32_e64 v19, v1, v9, s2
	v_cndmask_b32_e32 v18, v5, v13, vcc_lo
	v_cndmask_b32_e64 v20, v5, v13, s2
	v_cndmask_b32_e32 v17, v1, v9, vcc_lo
	v_cmp_eq_u32_e32 vcc_lo, 2, v80
	v_lshrrev_b32_e32 v15, 16, v7
	v_cmp_eq_u32_e64 s2, 1, v78
	v_lshrrev_b32_e32 v12, 16, v4
	v_lshrrev_b32_e32 v16, 16, v8
	v_cndmask_b32_e32 v20, v20, v6, vcc_lo
	v_cndmask_b32_e64 v17, v17, v2, s3
	v_cndmask_b32_e32 v19, v19, v2, vcc_lo
	v_cndmask_b32_e64 v18, v18, v6, s3
	v_cmp_eq_u32_e32 vcc_lo, 4, v79
	v_cmp_eq_u32_e64 s3, 3, v80
	v_cndmask_b32_e64 v17, v17, v10, s4
	v_cndmask_b32_e64 v21, v1, v9, s2
	v_cndmask_b32_e64 v18, v18, v14, s4
	v_cndmask_b32_e64 v22, v5, v13, s2
	v_cndmask_b32_e64 v19, v19, v10, s3
	v_cndmask_b32_e32 v17, v17, v3, vcc_lo
	v_cndmask_b32_e64 v20, v20, v14, s3
	v_cndmask_b32_e32 v18, v18, v7, vcc_lo
	v_cmp_eq_u32_e32 vcc_lo, 4, v80
	v_cmp_eq_u32_e64 s3, 5, v80
	v_cmp_eq_u32_e64 s2, 2, v82
	v_cndmask_b32_e64 v21, v21, v2, s6
	v_cmp_eq_u32_e64 s4, 5, v79
	v_cndmask_b32_e32 v19, v19, v3, vcc_lo
	v_cndmask_b32_e32 v20, v20, v7, vcc_lo
	v_cmp_eq_u32_e32 vcc_lo, 6, v80
	s_delay_alu instid0(VALU_DEP_4) | instskip(NEXT) | instid1(VALU_DEP_4)
	v_cndmask_b32_e64 v17, v17, v11, s4
	v_cndmask_b32_e64 v19, v19, v11, s3
	s_delay_alu instid0(VALU_DEP_4) | instskip(SKIP_1) | instid1(VALU_DEP_3)
	v_cndmask_b32_e64 v20, v20, v15, s3
	v_cmp_eq_u32_e64 s3, 1, v82
	v_cndmask_b32_e32 v19, v19, v4, vcc_lo
	v_cndmask_b32_e64 v18, v18, v15, s4
	s_delay_alu instid0(VALU_DEP_3)
	v_cndmask_b32_e64 v1, v1, v9, s3
	v_cndmask_b32_e64 v5, v5, v13, s3
	v_cmp_eq_u32_e64 s3, 3, v78
	v_cndmask_b32_e64 v13, v22, v6, s6
	v_cmp_eq_u32_e64 s6, 3, v82
	v_cndmask_b32_e64 v1, v1, v2, s2
	v_cndmask_b32_e64 v2, v5, v6, s2
	;; [unrolled: 1-line block ×3, first 2 shown]
	v_cmp_eq_u32_e64 s2, 4, v78
	v_cndmask_b32_e64 v6, v13, v14, s3
	v_cndmask_b32_e64 v1, v1, v10, s6
	v_cmp_eq_u32_e64 s3, 4, v82
	v_cndmask_b32_e64 v2, v2, v14, s6
	v_cndmask_b32_e64 v5, v9, v3, s2
	;; [unrolled: 3-line block ×3, first 2 shown]
	v_cndmask_b32_e64 v2, v2, v7, s3
	v_cmp_eq_u32_e64 s2, 5, v82
	v_cmp_eq_u32_e64 s4, 6, v79
	v_cndmask_b32_e64 v5, v5, v11, s6
	v_cmp_eq_u32_e64 s3, 6, v78
	v_cndmask_b32_e64 v3, v6, v15, s6
	v_cndmask_b32_e64 v1, v1, v11, s2
	v_cmp_eq_u32_e64 s6, 6, v82
	v_cndmask_b32_e64 v2, v2, v15, s2
	v_cndmask_b32_e64 v17, v17, v4, s4
	v_cndmask_b32_e64 v18, v18, v8, s4
	v_cmp_eq_u32_e64 s4, 7, v79
	v_cndmask_b32_e64 v5, v5, v4, s3
	;; [unrolled: 4-line block ×3, first 2 shown]
	v_cmp_eq_u32_e64 s3, 7, v78
	v_cndmask_b32_e32 v4, v20, v8, vcc_lo
	v_cndmask_b32_e64 v17, v17, v12, s4
	v_cndmask_b32_e64 v19, v19, v12, s5
	;; [unrolled: 1-line block ×8, first 2 shown]
	s_delay_alu instid0(VALU_DEP_4) | instskip(NEXT) | instid1(VALU_DEP_4)
	v_perm_b32 v4, v2, v1, 0x5040100
	v_perm_b32 v3, v3, v5, 0x5040100
	s_delay_alu instid0(VALU_DEP_4) | instskip(NEXT) | instid1(VALU_DEP_4)
	v_perm_b32 v2, v6, v19, 0x5040100
	v_perm_b32 v1, v7, v17, 0x5040100
	ds_store_b128 v77, v[1:4]
	s_waitcnt lgkmcnt(0)
	s_barrier
	buffer_gl0_inv
	s_and_saveexec_b32 s2, s29
	s_cbranch_execz .LBB1695_2
; %bb.111:
	s_load_b64 s[0:1], s[0:1], 0x68
	v_lshlrev_b32_e32 v0, 10, v0
	s_lshl_b32 s2, s34, 6
	v_lshlrev_b32_e32 v1, 4, v76
	v_mul_lo_u32 v4, s2, v75
	s_mul_i32 s3, s2, s30
	v_and_b32_e32 v0, 0x3800, v0
	s_mul_i32 s2, s3, s7
	s_delay_alu instid0(SALU_CYCLE_1) | instskip(NEXT) | instid1(VALU_DEP_1)
	s_ashr_i32 s3, s2, 31
	v_or3_b32 v0, v0, v74, v1
	s_lshl_b64 s[2:3], s[2:3], 1
	s_delay_alu instid0(VALU_DEP_3)
	v_ashrrev_i32_e32 v5, 31, v4
	ds_load_b128 v[0:3], v0
	v_lshlrev_b64 v[4:5], 1, v[4:5]
	s_waitcnt lgkmcnt(0)
	s_add_u32 s2, s0, s2
	s_addc_u32 s3, s1, s3
	s_lshl_b32 s0, s14, 6
	s_delay_alu instid0(SALU_CYCLE_1) | instskip(NEXT) | instid1(SALU_CYCLE_1)
	s_ashr_i32 s1, s0, 31
	s_lshl_b64 s[0:1], s[0:1], 1
	s_delay_alu instid0(SALU_CYCLE_1) | instskip(SKIP_3) | instid1(VALU_DEP_2)
	s_add_u32 s0, s2, s0
	s_addc_u32 s1, s3, s1
	v_add_co_u32 v4, vcc_lo, s0, v4
	v_add_co_ci_u32_e32 v5, vcc_lo, s1, v5, vcc_lo
	v_add_co_u32 v4, vcc_lo, v4, v73
	s_delay_alu instid0(VALU_DEP_2)
	v_add_co_ci_u32_e32 v5, vcc_lo, 0, v5, vcc_lo
	global_store_b128 v[4:5], v[0:3], off
	s_nop 0
	s_sendmsg sendmsg(MSG_DEALLOC_VGPRS)
	s_endpgm
	.section	.rodata,"a",@progbits
	.p2align	6, 0x0
	.amdhsa_kernel _Z39paged_attention_ll4mi_QKV_mfma16_kernelI14__hip_bfloat16hLN4vllm18Fp8KVCacheDataTypeE1EhLi16ELi64ELi256ELb0ELi2EL8MFMAType0EEvPKT_PKT0_S9_ifPKiSB_SB_iPKfiiiPfSE_PS4_PT2_iSD_SD_
		.amdhsa_group_segment_fixed_size 17472
		.amdhsa_private_segment_fixed_size 0
		.amdhsa_kernarg_size 400
		.amdhsa_user_sgpr_count 13
		.amdhsa_user_sgpr_dispatch_ptr 0
		.amdhsa_user_sgpr_queue_ptr 0
		.amdhsa_user_sgpr_kernarg_segment_ptr 1
		.amdhsa_user_sgpr_dispatch_id 0
		.amdhsa_user_sgpr_private_segment_size 0
		.amdhsa_wavefront_size32 1
		.amdhsa_uses_dynamic_stack 0
		.amdhsa_enable_private_segment 0
		.amdhsa_system_sgpr_workgroup_id_x 1
		.amdhsa_system_sgpr_workgroup_id_y 1
		.amdhsa_system_sgpr_workgroup_id_z 1
		.amdhsa_system_sgpr_workgroup_info 0
		.amdhsa_system_vgpr_workitem_id 0
		.amdhsa_next_free_vgpr 125
		.amdhsa_next_free_sgpr 38
		.amdhsa_reserve_vcc 1
		.amdhsa_float_round_mode_32 0
		.amdhsa_float_round_mode_16_64 0
		.amdhsa_float_denorm_mode_32 3
		.amdhsa_float_denorm_mode_16_64 3
		.amdhsa_dx10_clamp 1
		.amdhsa_ieee_mode 1
		.amdhsa_fp16_overflow 0
		.amdhsa_workgroup_processor_mode 1
		.amdhsa_memory_ordered 1
		.amdhsa_forward_progress 0
		.amdhsa_shared_vgpr_count 0
		.amdhsa_exception_fp_ieee_invalid_op 0
		.amdhsa_exception_fp_denorm_src 0
		.amdhsa_exception_fp_ieee_div_zero 0
		.amdhsa_exception_fp_ieee_overflow 0
		.amdhsa_exception_fp_ieee_underflow 0
		.amdhsa_exception_fp_ieee_inexact 0
		.amdhsa_exception_int_div_zero 0
	.end_amdhsa_kernel
	.section	.text._Z39paged_attention_ll4mi_QKV_mfma16_kernelI14__hip_bfloat16hLN4vllm18Fp8KVCacheDataTypeE1EhLi16ELi64ELi256ELb0ELi2EL8MFMAType0EEvPKT_PKT0_S9_ifPKiSB_SB_iPKfiiiPfSE_PS4_PT2_iSD_SD_,"axG",@progbits,_Z39paged_attention_ll4mi_QKV_mfma16_kernelI14__hip_bfloat16hLN4vllm18Fp8KVCacheDataTypeE1EhLi16ELi64ELi256ELb0ELi2EL8MFMAType0EEvPKT_PKT0_S9_ifPKiSB_SB_iPKfiiiPfSE_PS4_PT2_iSD_SD_,comdat
.Lfunc_end1695:
	.size	_Z39paged_attention_ll4mi_QKV_mfma16_kernelI14__hip_bfloat16hLN4vllm18Fp8KVCacheDataTypeE1EhLi16ELi64ELi256ELb0ELi2EL8MFMAType0EEvPKT_PKT0_S9_ifPKiSB_SB_iPKfiiiPfSE_PS4_PT2_iSD_SD_, .Lfunc_end1695-_Z39paged_attention_ll4mi_QKV_mfma16_kernelI14__hip_bfloat16hLN4vllm18Fp8KVCacheDataTypeE1EhLi16ELi64ELi256ELb0ELi2EL8MFMAType0EEvPKT_PKT0_S9_ifPKiSB_SB_iPKfiiiPfSE_PS4_PT2_iSD_SD_
                                        ; -- End function
	.section	.AMDGPU.csdata,"",@progbits
; Kernel info:
; codeLenInByte = 8492
; NumSgprs: 40
; NumVgprs: 125
; ScratchSize: 0
; MemoryBound: 0
; FloatMode: 240
; IeeeMode: 1
; LDSByteSize: 17472 bytes/workgroup (compile time only)
; SGPRBlocks: 4
; VGPRBlocks: 15
; NumSGPRsForWavesPerEU: 40
; NumVGPRsForWavesPerEU: 125
; Occupancy: 10
; WaveLimiterHint : 1
; COMPUTE_PGM_RSRC2:SCRATCH_EN: 0
; COMPUTE_PGM_RSRC2:USER_SGPR: 13
; COMPUTE_PGM_RSRC2:TRAP_HANDLER: 0
; COMPUTE_PGM_RSRC2:TGID_X_EN: 1
; COMPUTE_PGM_RSRC2:TGID_Y_EN: 1
; COMPUTE_PGM_RSRC2:TGID_Z_EN: 1
; COMPUTE_PGM_RSRC2:TIDIG_COMP_CNT: 0
	.section	.text._Z39paged_attention_ll4mi_QKV_mfma16_kernelI14__hip_bfloat16hLN4vllm18Fp8KVCacheDataTypeE1EhLi16ELi64ELi256ELb0ELi3EL8MFMAType0EEvPKT_PKT0_S9_ifPKiSB_SB_iPKfiiiPfSE_PS4_PT2_iSD_SD_,"axG",@progbits,_Z39paged_attention_ll4mi_QKV_mfma16_kernelI14__hip_bfloat16hLN4vllm18Fp8KVCacheDataTypeE1EhLi16ELi64ELi256ELb0ELi3EL8MFMAType0EEvPKT_PKT0_S9_ifPKiSB_SB_iPKfiiiPfSE_PS4_PT2_iSD_SD_,comdat
	.protected	_Z39paged_attention_ll4mi_QKV_mfma16_kernelI14__hip_bfloat16hLN4vllm18Fp8KVCacheDataTypeE1EhLi16ELi64ELi256ELb0ELi3EL8MFMAType0EEvPKT_PKT0_S9_ifPKiSB_SB_iPKfiiiPfSE_PS4_PT2_iSD_SD_ ; -- Begin function _Z39paged_attention_ll4mi_QKV_mfma16_kernelI14__hip_bfloat16hLN4vllm18Fp8KVCacheDataTypeE1EhLi16ELi64ELi256ELb0ELi3EL8MFMAType0EEvPKT_PKT0_S9_ifPKiSB_SB_iPKfiiiPfSE_PS4_PT2_iSD_SD_
	.globl	_Z39paged_attention_ll4mi_QKV_mfma16_kernelI14__hip_bfloat16hLN4vllm18Fp8KVCacheDataTypeE1EhLi16ELi64ELi256ELb0ELi3EL8MFMAType0EEvPKT_PKT0_S9_ifPKiSB_SB_iPKfiiiPfSE_PS4_PT2_iSD_SD_
	.p2align	8
	.type	_Z39paged_attention_ll4mi_QKV_mfma16_kernelI14__hip_bfloat16hLN4vllm18Fp8KVCacheDataTypeE1EhLi16ELi64ELi256ELb0ELi3EL8MFMAType0EEvPKT_PKT0_S9_ifPKiSB_SB_iPKfiiiPfSE_PS4_PT2_iSD_SD_,@function
_Z39paged_attention_ll4mi_QKV_mfma16_kernelI14__hip_bfloat16hLN4vllm18Fp8KVCacheDataTypeE1EhLi16ELi64ELi256ELb0ELi3EL8MFMAType0EEvPKT_PKT0_S9_ifPKiSB_SB_iPKfiiiPfSE_PS4_PT2_iSD_SD_: ; @_Z39paged_attention_ll4mi_QKV_mfma16_kernelI14__hip_bfloat16hLN4vllm18Fp8KVCacheDataTypeE1EhLi16ELi64ELi256ELb0ELi3EL8MFMAType0EEvPKT_PKT0_S9_ifPKiSB_SB_iPKfiiiPfSE_PS4_PT2_iSD_SD_
; %bb.0:
	s_load_b64 s[2:3], s[0:1], 0x30
	s_mov_b32 s34, s13
	s_waitcnt lgkmcnt(0)
	s_cmp_lg_u64 s[2:3], 0
	s_cselect_b32 s8, -1, 0
	s_ashr_i32 s35, s13, 31
	s_cmp_eq_u64 s[2:3], 0
	s_cbranch_scc1 .LBB1696_3
; %bb.1:
	s_lshl_b64 s[4:5], s[34:35], 2
	s_delay_alu instid0(SALU_CYCLE_1) | instskip(SKIP_4) | instid1(SALU_CYCLE_1)
	s_add_u32 s4, s2, s4
	s_addc_u32 s5, s3, s5
	s_load_b64 s[4:5], s[4:5], 0x0
	s_waitcnt lgkmcnt(0)
	s_sub_i32 s4, s5, s4
	s_cmp_eq_u32 s4, 1
	s_cselect_b32 s4, -1, 0
	s_delay_alu instid0(SALU_CYCLE_1)
	s_and_not1_b32 vcc_lo, exec_lo, s4
	s_cbranch_vccz .LBB1696_4
.LBB1696_2:
	s_nop 0
	s_sendmsg sendmsg(MSG_DEALLOC_VGPRS)
	s_endpgm
.LBB1696_3:
.LBB1696_4:
	s_load_b64 s[4:5], s[0:1], 0x28
	s_lshl_b64 s[6:7], s[34:35], 2
	s_waitcnt lgkmcnt(0)
	s_add_u32 s4, s4, s6
	s_addc_u32 s5, s5, s7
	s_lshl_b32 s12, s14, 8
	s_load_b32 s24, s[4:5], 0x0
	s_waitcnt lgkmcnt(0)
	s_cmp_ge_i32 s12, s24
	s_cbranch_scc1 .LBB1696_2
; %bb.5:
	s_clause 0x1
	s_load_b128 s[20:23], s[0:1], 0x8
	s_load_b64 s[4:5], s[0:1], 0x20
	s_and_not1_b32 vcc_lo, exec_lo, s8
	s_cbranch_vccnz .LBB1696_7
; %bb.6:
	s_add_u32 s2, s2, s6
	s_addc_u32 s3, s3, s7
	s_load_b32 s3, s[2:3], 0x0
	s_branch .LBB1696_8
.LBB1696_7:
	s_mov_b32 s3, s34
.LBB1696_8:
	s_load_b128 s[16:19], s[0:1], 0x48
	v_lshrrev_b32_e32 v66, 5, v0
	v_bfe_u32 v74, v0, 4, 1
	v_and_b32_e32 v65, 15, v0
	v_and_b32_e32 v67, 31, v0
	;; [unrolled: 1-line block ×3, first 2 shown]
	s_mul_i32 s31, s15, 3
	v_lshl_or_b32 v1, v66, 1, v74
	v_lshlrev_b32_e32 v2, 3, v65
	v_cmp_gt_u32_e64 s2, 8, v65
	s_delay_alu instid0(VALU_DEP_3) | instskip(NEXT) | instid1(VALU_DEP_3)
	v_cmp_gt_u32_e32 vcc_lo, 3, v1
	v_lshlrev_b32_e32 v73, 1, v2
	s_delay_alu instid0(VALU_DEP_3) | instskip(NEXT) | instid1(SALU_CYCLE_1)
	s_and_b32 s7, s2, vcc_lo
	s_and_saveexec_b32 s6, s7
	s_cbranch_execz .LBB1696_10
; %bb.9:
	s_load_b64 s[8:9], s[0:1], 0x0
	v_add_lshl_u32 v2, v1, s31, 6
	s_waitcnt lgkmcnt(0)
	s_mul_hi_i32 s11, s3, s16
	s_mul_i32 s10, s3, s16
	v_lshlrev_b32_e32 v6, 10, v65
	s_lshl_b64 s[10:11], s[10:11], 1
	v_ashrrev_i32_e32 v3, 31, v2
	v_lshlrev_b32_e32 v1, 6, v1
	v_lshlrev_b32_e32 v7, 10, v75
	v_and_b32_e32 v6, 0x3800, v6
	s_delay_alu instid0(VALU_DEP_4) | instskip(NEXT) | instid1(VALU_DEP_2)
	v_lshlrev_b64 v[2:3], 1, v[2:3]
	v_or3_b32 v1, v6, v7, v1
	s_add_u32 s3, s8, s10
	s_addc_u32 s7, s9, s11
	s_delay_alu instid0(VALU_DEP_2) | instskip(NEXT) | instid1(VALU_DEP_3)
	v_add_co_u32 v2, vcc_lo, s3, v2
	v_add_co_ci_u32_e32 v3, vcc_lo, s7, v3, vcc_lo
	s_delay_alu instid0(VALU_DEP_2) | instskip(NEXT) | instid1(VALU_DEP_2)
	v_add_co_u32 v2, vcc_lo, v2, v73
	v_add_co_ci_u32_e32 v3, vcc_lo, 0, v3, vcc_lo
	global_load_b128 v[2:5], v[2:3], off
	s_waitcnt vmcnt(0)
	ds_store_b128 v1, v[2:5]
.LBB1696_10:
	s_or_b32 exec_lo, exec_lo, s6
	v_and_b32_e32 v1, 0xef, v0
	s_waitcnt lgkmcnt(0)
	s_add_i32 s3, s24, 15
	s_clause 0x1
	s_load_b32 s6, s[0:1], 0x38
	s_load_b32 s19, s[0:1], 0x1c
	s_ashr_i32 s7, s3, 31
	v_add_nc_u32_e32 v1, s12, v1
	s_lshr_b32 s7, s7, 28
	s_waitcnt lgkmcnt(0)
	s_add_i32 s3, s3, s7
	s_barrier
	v_ashrrev_i32_e32 v2, 31, v1
	v_or_b32_e32 v3, 16, v1
	s_ashr_i32 s3, s3, 4
	v_cmp_gt_i32_e32 vcc_lo, s24, v1
	s_add_i32 s3, s3, -1
	v_lshrrev_b32_e32 v2, 28, v2
	buffer_gl0_inv
	s_mul_i32 s27, s15, s18
	v_add_nc_u32_e32 v4, v1, v2
	s_mul_i32 s6, s34, s6
	s_delay_alu instid0(SALU_CYCLE_1) | instskip(NEXT) | instid1(VALU_DEP_1)
	s_ashr_i32 s7, s6, 31
	v_ashrrev_i32_e32 v4, 4, v4
	v_add_nc_u32_e32 v2, v3, v2
	s_lshl_b64 s[6:7], s[6:7], 2
	s_delay_alu instid0(SALU_CYCLE_1) | instskip(NEXT) | instid1(VALU_DEP_2)
	s_add_u32 s26, s4, s6
	v_cndmask_b32_e32 v1, s3, v4, vcc_lo
	s_delay_alu instid0(VALU_DEP_2)
	v_ashrrev_i32_e32 v2, 4, v2
	v_cmp_gt_i32_e32 vcc_lo, s24, v3
	s_addc_u32 s25, s5, s7
	s_ashr_i32 s28, s27, 31
	s_add_u32 s13, s20, s27
	s_addc_u32 s15, s21, s28
	v_cndmask_b32_e32 v3, s3, v2, vcc_lo
	v_ashrrev_i32_e32 v2, 31, v1
	s_lshl_b32 s4, s14, 4
	s_delay_alu instid0(SALU_CYCLE_1) | instskip(NEXT) | instid1(VALU_DEP_2)
	s_ashr_i32 s5, s4, 31
	v_ashrrev_i32_e32 v4, 31, v3
	s_delay_alu instid0(VALU_DEP_2) | instskip(SKIP_1) | instid1(SALU_CYCLE_1)
	v_lshlrev_b64 v[1:2], 2, v[1:2]
	s_lshl_b64 s[4:5], s[4:5], 2
	s_add_u32 s4, s26, s4
	s_delay_alu instid0(VALU_DEP_2) | instskip(SKIP_1) | instid1(VALU_DEP_2)
	v_lshlrev_b64 v[3:4], 2, v[3:4]
	s_addc_u32 s5, s25, s5
	v_add_co_u32 v1, vcc_lo, s26, v1
	v_add_co_ci_u32_e32 v2, vcc_lo, s25, v2, vcc_lo
	s_delay_alu instid0(VALU_DEP_3) | instskip(NEXT) | instid1(VALU_DEP_4)
	v_add_co_u32 v3, vcc_lo, s26, v3
	v_add_co_ci_u32_e32 v4, vcc_lo, s25, v4, vcc_lo
	s_clause 0x1
	global_load_b32 v5, v[1:2], off
	global_load_b32 v7, v[3:4], off
	s_or_b32 s6, s12, 32
	v_lshlrev_b32_e32 v1, 4, v0
	s_ashr_i32 s7, s6, 4
	s_cmp_lt_i32 s6, s24
	s_cselect_b32 s6, s7, s3
	s_delay_alu instid0(VALU_DEP_1) | instskip(SKIP_1) | instid1(SALU_CYCLE_1)
	v_and_b32_e32 v1, 0xf0, v1
	s_ashr_i32 s7, s6, 31
	s_lshl_b64 s[6:7], s[6:7], 2
	s_delay_alu instid0(SALU_CYCLE_1)
	s_add_u32 s6, s26, s6
	s_addc_u32 s7, s25, s7
	s_or_b32 s8, s12, 64
	v_add_co_u32 v1, s13, s13, v1
	s_ashr_i32 s9, s8, 4
	s_cmp_lt_i32 s8, s24
	v_add_co_ci_u32_e64 v2, null, s15, 0, s13
	s_cselect_b32 s8, s9, s3
	s_delay_alu instid0(SALU_CYCLE_1) | instskip(NEXT) | instid1(SALU_CYCLE_1)
	s_ashr_i32 s9, s8, 31
	s_lshl_b64 s[8:9], s[8:9], 2
	s_delay_alu instid0(SALU_CYCLE_1) | instskip(SKIP_2) | instid1(SALU_CYCLE_1)
	s_add_u32 s8, s26, s8
	s_addc_u32 s9, s25, s9
	s_or_b32 s10, s12, 0x60
	s_ashr_i32 s11, s10, 4
	s_cmp_lt_i32 s10, s24
	s_cselect_b32 s10, s11, s3
	s_delay_alu instid0(SALU_CYCLE_1) | instskip(NEXT) | instid1(SALU_CYCLE_1)
	s_ashr_i32 s11, s10, 31
	s_lshl_b64 s[10:11], s[10:11], 2
	s_delay_alu instid0(SALU_CYCLE_1) | instskip(SKIP_2) | instid1(SALU_CYCLE_1)
	s_add_u32 s10, s26, s10
	s_addc_u32 s11, s25, s11
	s_or_b32 s16, s12, 0x80
	s_ashr_i32 s18, s16, 4
	s_cmp_lt_i32 s16, s24
	;; [unrolled: 10-line block ×3, first 2 shown]
	s_cselect_b32 s20, s18, s3
	s_delay_alu instid0(SALU_CYCLE_1) | instskip(NEXT) | instid1(SALU_CYCLE_1)
	s_ashr_i32 s21, s20, 31
	s_lshl_b64 s[20:21], s[20:21], 2
	s_delay_alu instid0(SALU_CYCLE_1)
	s_add_u32 s38, s26, s20
	s_addc_u32 s39, s25, s21
	s_clause 0x5
	s_load_b32 s21, s[4:5], 0x0
	s_load_b32 s13, s[6:7], 0x0
	;; [unrolled: 1-line block ×6, first 2 shown]
	s_or_b32 s9, s12, 0xc0
	s_mov_b32 s4, 0
	s_ashr_i32 s10, s9, 4
	s_cmp_lt_i32 s9, s24
	s_mov_b32 s11, s4
	s_cselect_b32 s36, s10, s3
	s_mov_b32 s5, s4
	s_ashr_i32 s37, s36, 31
	s_mov_b32 s6, s4
	s_lshl_b64 s[36:37], s[36:37], 2
	s_mov_b32 s7, s4
	s_add_u32 s36, s26, s36
	s_addc_u32 s37, s25, s37
	s_or_b32 s29, s12, 0xe0
	s_mov_b32 s8, s4
	s_ashr_i32 s30, s29, 4
	s_mov_b32 s9, s4
	s_mov_b32 s10, s4
	s_cmp_lt_i32 s29, s24
	v_dual_mov_b32 v107, s11 :: v_dual_mov_b32 v100, s4
	v_mov_b32_e32 v106, s10
	v_dual_mov_b32 v104, s8 :: v_dual_mov_b32 v103, s7
	v_dual_mov_b32 v102, s6 :: v_dual_mov_b32 v101, s5
	s_waitcnt vmcnt(1)
	v_mad_i64_i32 v[3:4], null, v5, s17, v[1:2]
	s_waitcnt vmcnt(0)
	v_mad_i64_i32 v[5:6], null, v7, s17, v[1:2]
	v_mul_lo_u16 v1, 0x56, v65
	v_lshlrev_b32_e32 v2, 4, v65
	s_clause 0x7
	global_load_b128 v[49:52], v[3:4], off
	global_load_b128 v[53:56], v[3:4], off offset:256
	global_load_b128 v[76:79], v[5:6], off
	global_load_b128 v[80:83], v[5:6], off offset:256
	global_load_b128 v[84:87], v[3:4], off offset:512
	;; [unrolled: 1-line block ×5, first 2 shown]
	v_lshrrev_b16 v1, 8, v1
	v_lshl_or_b32 v2, v66, 8, v2
	s_delay_alu instid0(VALU_DEP_2) | instskip(NEXT) | instid1(VALU_DEP_1)
	v_mul_lo_u16 v1, v1, 3
	v_sub_nc_u16 v1, v65, v1
	s_delay_alu instid0(VALU_DEP_1)
	v_and_b32_e32 v1, 0xff, v1
	v_mov_b32_e32 v105, s9
	s_cselect_b32 s4, s30, s3
	s_load_b32 s3, s[36:37], 0x0
	s_ashr_i32 s5, s4, 31
	v_lshlrev_b32_e32 v70, 6, v1
	s_lshl_b64 s[4:5], s[4:5], 2
	ds_load_b128 v[108:111], v70
	ds_load_b128 v[112:115], v70 offset:1024
	s_add_u32 s4, s26, s4
	s_addc_u32 s5, s25, s5
	s_add_u32 s6, s22, s27
	s_load_b32 s4, s[4:5], 0x0
	s_addc_u32 s7, s23, s28
	v_add_co_u32 v9, s6, s6, v2
	s_delay_alu instid0(VALU_DEP_1) | instskip(SKIP_1) | instid1(VALU_DEP_1)
	v_add_co_ci_u32_e64 v10, null, s7, 0, s6
	s_waitcnt lgkmcnt(0)
	v_mad_i64_i32 v[1:2], null, s21, s17, v[9:10]
	v_mad_i64_i32 v[3:4], null, s13, s17, v[9:10]
	;; [unrolled: 1-line block ×7, first 2 shown]
	s_clause 0x9
	global_load_b128 v[57:60], v[1:2], off
	global_load_b128 v[61:64], v[1:2], off offset:16
	global_load_b128 v[41:44], v[3:4], off
	global_load_b128 v[45:48], v[3:4], off offset:16
	;; [unrolled: 2-line block ×5, first 2 shown]
	v_mad_i64_i32 v[68:69], null, s4, s17, v[9:10]
	s_clause 0x3
	global_load_b128 v[9:12], v[13:14], off
	global_load_b128 v[13:16], v[13:14], off offset:16
	global_load_b128 v[17:20], v[21:22], off
	global_load_b128 v[21:24], v[21:22], off offset:16
	s_waitcnt vmcnt(20)
	v_wmma_f32_16x16x16_bf16 v[116:123], v[49:56], v[108:115], v[100:107]
	s_clause 0x1
	global_load_b128 v[49:52], v[68:69], off
	global_load_b128 v[53:56], v[68:69], off offset:16
	v_and_b32_e32 v68, 0xe0, v0
	v_mbcnt_lo_u32_b32 v69, -1, 0
	s_delay_alu instid0(VALU_DEP_2)
	v_add_nc_u32_e32 v68, s12, v68
	s_waitcnt vmcnt(20)
	v_wmma_f32_16x16x16_bf16 v[100:107], v[76:83], v[108:115], v[100:107]
	ds_load_b128 v[76:79], v70 offset:2048
	ds_load_b128 v[80:83], v70 offset:3072
	v_xor_b32_e32 v70, 16, v69
	s_waitcnt vmcnt(0) lgkmcnt(0)
	v_or_b32_e32 v68, v68, v74
	s_barrier
	buffer_gl0_inv
	v_cmp_gt_i32_e32 vcc_lo, 32, v70
	v_or_b32_e32 v71, 4, v68
	v_or_b32_e32 v72, 6, v68
	v_cmp_gt_i32_e64 s3, s24, v68
	v_or_b32_e32 v108, 8, v68
	v_or_b32_e32 v109, 10, v68
	v_cmp_gt_i32_e64 s4, s24, v71
	v_cmp_gt_i32_e64 s5, s24, v72
	s_delay_alu instid0(VALU_DEP_4) | instskip(NEXT) | instid1(VALU_DEP_4)
	v_cmp_gt_i32_e64 s6, s24, v108
	v_cmp_gt_i32_e64 s7, s24, v109
	v_wmma_f32_16x16x16_bf16 v[116:123], v[84:91], v[76:83], v[116:123]
	v_cndmask_b32_e32 v69, v69, v70, vcc_lo
	v_or_b32_e32 v70, 2, v68
	v_wmma_f32_16x16x16_bf16 v[100:107], v[92:99], v[76:83], v[100:107]
	v_or_b32_e32 v89, 22, v68
	v_dual_mul_f32 v80, s19, v121 :: v_dual_mul_f32 v81, s19, v120
	v_dual_mul_f32 v92, s19, v117 :: v_dual_mul_f32 v93, s19, v116
	s_delay_alu instid0(VALU_DEP_4)
	v_mul_f32_e32 v96, s19, v105
	v_cmp_gt_i32_e32 vcc_lo, s24, v70
	v_dual_mul_f32 v79, s19, v122 :: v_dual_mul_f32 v82, s19, v119
	v_dual_mul_f32 v83, s19, v118 :: v_dual_mul_f32 v94, s19, v107
	v_cndmask_b32_e64 v93, 0xff7fffff, v93, s3
	v_cndmask_b32_e32 v92, 0xff7fffff, v92, vcc_lo
	v_or_b32_e32 v84, 12, v68
	v_or_b32_e32 v85, 14, v68
	v_cndmask_b32_e64 v71, 0xff7fffff, v83, s4
	v_cndmask_b32_e64 v72, 0xff7fffff, v82, s5
	v_cmp_gt_i32_e64 s13, s24, v89
	v_lshlrev_b32_e32 v89, 2, v69
	v_max3_f32 v82, v93, 0xff7fffff, v92
	v_or_b32_e32 v86, 16, v68
	v_or_b32_e32 v87, 18, v68
	v_mul_f32_e32 v78, s19, v123
	v_cndmask_b32_e64 v81, 0xff7fffff, v81, s6
	v_cndmask_b32_e64 v80, 0xff7fffff, v80, s7
	v_max3_f32 v71, v82, v71, v72
	v_cmp_gt_i32_e64 s8, s24, v84
	v_cmp_gt_i32_e64 s9, s24, v85
	v_or_b32_e32 v88, 20, v68
	v_or_b32_e32 v90, 24, v68
	;; [unrolled: 1-line block ×5, first 2 shown]
	v_dual_mul_f32 v97, s19, v104 :: v_dual_mul_f32 v70, s19, v101
	v_dual_mul_f32 v99, s19, v102 :: v_dual_mul_f32 v68, s19, v100
	v_cndmask_b32_e64 v72, 0xff7fffff, v79, s8
	v_cndmask_b32_e64 v78, 0xff7fffff, v78, s9
	v_max3_f32 v71, v71, v81, v80
	v_cmp_gt_i32_e64 s10, s24, v86
	v_cmp_gt_i32_e64 s11, s24, v87
	v_dual_mul_f32 v95, s19, v106 :: v_dual_mul_f32 v98, s19, v103
	s_delay_alu instid0(VALU_DEP_4) | instskip(NEXT) | instid1(VALU_DEP_4)
	v_max3_f32 v71, v71, v72, v78
	v_cndmask_b32_e64 v68, 0xff7fffff, v68, s10
	s_delay_alu instid0(VALU_DEP_4)
	v_cndmask_b32_e64 v70, 0xff7fffff, v70, s11
	v_cmp_gt_i32_e64 s12, s24, v88
	v_cndmask_b32_e64 v78, 0xff7fffff, v98, s13
	v_cmp_gt_i32_e64 s15, s24, v90
	v_cmp_gt_i32_e64 s16, s24, v91
	v_max3_f32 v68, v71, v68, v70
	v_cndmask_b32_e64 v72, 0xff7fffff, v99, s12
	v_cmp_gt_i32_e64 s17, s24, v76
	v_cndmask_b32_e64 v70, 0xff7fffff, v97, s15
	v_cndmask_b32_e64 v71, 0xff7fffff, v96, s16
	v_cmp_gt_i32_e64 s18, s24, v77
	v_max3_f32 v68, v68, v72, v78
	v_cndmask_b32_e64 v72, 0xff7fffff, v95, s17
	s_delay_alu instid0(VALU_DEP_3) | instskip(NEXT) | instid1(VALU_DEP_3)
	v_cndmask_b32_e64 v76, 0xff7fffff, v94, s18
	v_max3_f32 v68, v68, v70, v71
	s_delay_alu instid0(VALU_DEP_1) | instskip(SKIP_3) | instid1(VALU_DEP_1)
	v_max3_f32 v68, v68, v72, v76
	ds_bpermute_b32 v69, v89, v68
	s_waitcnt lgkmcnt(0)
	v_max_f32_e32 v69, v69, v69
	v_max_f32_e32 v68, v68, v69
	s_delay_alu instid0(VALU_DEP_1) | instskip(NEXT) | instid1(VALU_DEP_1)
	v_fma_f32 v71, s19, v118, -v68
	v_mul_f32_e32 v71, 0x3fb8aa3b, v71
	v_fma_f32 v70, s19, v117, -v68
	v_fma_f32 v69, s19, v116, -v68
	;; [unrolled: 1-line block ×5, first 2 shown]
	s_delay_alu instid0(VALU_DEP_4) | instskip(SKIP_1) | instid1(VALU_DEP_3)
	v_dual_mul_f32 v70, 0x3fb8aa3b, v70 :: v_dual_mul_f32 v69, 0x3fb8aa3b, v69
	v_exp_f32_e32 v71, v71
	v_mul_f32_e32 v72, 0x3fb8aa3b, v72
	v_fma_f32 v81, s19, v105, -v68
	s_delay_alu instid0(VALU_DEP_3)
	v_exp_f32_e32 v70, v70
	v_mul_f32_e32 v77, 0x3fb8aa3b, v76
	v_exp_f32_e32 v69, v69
	v_exp_f32_e32 v72, v72
	v_mul_f32_e32 v81, 0x3fb8aa3b, v81
	v_cndmask_b32_e64 v83, 0, v71, s4
	v_fma_f32 v71, s19, v123, -v68
	s_delay_alu instid0(VALU_DEP_3) | instskip(SKIP_4) | instid1(TRANS32_DEP_3)
	v_exp_f32_e32 v81, v81
	v_cndmask_b32_e32 v76, 0, v70, vcc_lo
	v_exp_f32_e32 v77, v77
	v_cndmask_b32_e64 v80, 0, v69, s3
	v_fma_f32 v69, s19, v121, -v68
	v_cndmask_b32_e64 v85, 0, v72, s5
	v_mul_f32_e32 v71, 0x3fb8aa3b, v71
	v_fma_f32 v72, s19, v100, -v68
	s_delay_alu instid0(VALU_DEP_4) | instskip(SKIP_1) | instid1(VALU_DEP_4)
	v_dual_add_f32 v70, 0, v80 :: v_dual_mul_f32 v69, 0x3fb8aa3b, v69
	v_cmp_gt_u32_e64 s3, 16, v67
	v_exp_f32_e32 v71, v71
	s_delay_alu instid0(TRANS32_DEP_2) | instskip(SKIP_4) | instid1(VALU_DEP_3)
	v_cndmask_b32_e64 v86, 0, v77, s6
	v_fma_f32 v77, s19, v101, -v68
	v_mul_f32_e32 v78, 0x3fb8aa3b, v78
	v_add_f32_e32 v70, v70, v76
	v_exp_f32_e32 v69, v69
	v_mul_f32_e32 v77, 0x3fb8aa3b, v77
	s_delay_alu instid0(VALU_DEP_3) | instskip(NEXT) | instid1(TRANS32_DEP_3)
	v_exp_f32_e32 v78, v78
	v_cndmask_b32_e64 v88, 0, v71, s9
	v_fma_f32 v71, s19, v104, -v68
	s_delay_alu instid0(VALU_DEP_3) | instskip(NEXT) | instid1(TRANS32_DEP_3)
	v_exp_f32_e32 v77, v77
	v_cndmask_b32_e64 v87, 0, v69, s7
	s_delay_alu instid0(VALU_DEP_2)
	v_mul_f32_e32 v71, 0x3fb8aa3b, v71
	s_waitcnt_depctr 0xfff
	v_cndmask_b32_e64 v84, 0, v78, s8
	v_add_f32_e32 v70, v70, v83
	v_fma_f32 v78, s19, v103, -v68
	v_exp_f32_e32 v82, v71
	s_delay_alu instid0(VALU_DEP_2) | instskip(SKIP_1) | instid1(VALU_DEP_3)
	v_add_f32_e32 v70, v70, v85
	v_mul_f32_e32 v72, 0x3fb8aa3b, v72
	v_mul_f32_e32 v78, 0x3fb8aa3b, v78
	s_delay_alu instid0(VALU_DEP_3) | instskip(SKIP_1) | instid1(VALU_DEP_4)
	v_add_f32_e32 v69, v70, v86
	v_fma_f32 v70, s19, v102, -v68
	v_exp_f32_e32 v72, v72
	s_delay_alu instid0(VALU_DEP_3) | instskip(NEXT) | instid1(VALU_DEP_1)
	v_exp_f32_e32 v78, v78
	v_dual_add_f32 v69, v69, v87 :: v_dual_mul_f32 v70, 0x3fb8aa3b, v70
	s_delay_alu instid0(VALU_DEP_1) | instskip(NEXT) | instid1(VALU_DEP_2)
	v_add_f32_e32 v69, v69, v84
	v_exp_f32_e32 v79, v70
	s_delay_alu instid0(TRANS32_DEP_3) | instskip(NEXT) | instid1(VALU_DEP_2)
	v_cndmask_b32_e64 v70, 0, v72, s10
	v_add_f32_e32 v72, v69, v88
	v_cndmask_b32_e64 v69, 0, v77, s11
	v_fma_f32 v77, s19, v106, -v68
	s_waitcnt_depctr 0xfff
	v_cndmask_b32_e64 v71, 0, v79, s12
	v_dual_mul_f32 v77, 0x3fb8aa3b, v77 :: v_dual_add_f32 v72, v72, v70
	s_delay_alu instid0(VALU_DEP_1) | instskip(NEXT) | instid1(VALU_DEP_1)
	v_exp_f32_e32 v90, v77
	v_add_f32_e32 v79, v72, v69
	v_cndmask_b32_e64 v72, 0, v78, s13
	v_cndmask_b32_e64 v77, 0, v82, s15
	s_delay_alu instid0(VALU_DEP_3) | instskip(SKIP_1) | instid1(VALU_DEP_1)
	v_add_f32_e32 v78, v79, v71
	v_fma_f32 v79, s19, v107, -v68
	v_dual_add_f32 v82, v78, v72 :: v_dual_mul_f32 v79, 0x3fb8aa3b, v79
	v_cndmask_b32_e64 v78, 0, v81, s16
	s_delay_alu instid0(VALU_DEP_2) | instskip(NEXT) | instid1(VALU_DEP_3)
	v_add_f32_e32 v81, v82, v77
	v_exp_f32_e32 v82, v79
	v_cndmask_b32_e64 v79, 0, v90, s17
	s_delay_alu instid0(VALU_DEP_2) | instskip(NEXT) | instid1(VALU_DEP_1)
	v_add_f32_e32 v81, v81, v78
	v_add_f32_e32 v90, v81, v79
	s_waitcnt_depctr 0xfff
	v_cndmask_b32_e64 v81, 0, v82, s18
	s_delay_alu instid0(VALU_DEP_1)
	v_add_f32_e32 v82, v90, v81
	ds_bpermute_b32 v89, v89, v82
	s_and_saveexec_b32 s4, s3
	s_cbranch_execz .LBB1696_12
; %bb.11:
	v_mul_u32_u24_e32 v67, 0x44, v66
	s_delay_alu instid0(VALU_DEP_1) | instskip(SKIP_1) | instid1(VALU_DEP_1)
	v_lshl_add_u32 v67, v65, 2, v67
	s_waitcnt lgkmcnt(0)
	v_dual_add_f32 v82, v82, v89 :: v_dual_add_nc_u32 v67, 0x4000, v67
	ds_store_2addr_b32 v67, v68, v82 offset1:136
.LBB1696_12:
	s_or_b32 exec_lo, exec_lo, s4
	v_lshlrev_b32_e32 v67, 2, v65
	s_waitcnt lgkmcnt(0)
	s_barrier
	buffer_gl0_inv
	v_cmp_eq_u32_e32 vcc_lo, 1, v66
	v_add_nc_u32_e32 v82, 0x4000, v67
	v_cmp_eq_u32_e64 s4, 2, v66
	v_cmp_eq_u32_e64 s6, 7, v66
	ds_load_2addr_b32 v[89:90], v82 offset1:17
	ds_load_2addr_b32 v[91:92], v82 offset0:34 offset1:51
	ds_load_2addr_b32 v[93:94], v82 offset0:68 offset1:85
	;; [unrolled: 1-line block ×4, first 2 shown]
	s_waitcnt lgkmcnt(4)
	v_max3_f32 v67, v89, 0xff7fffff, v90
	s_waitcnt lgkmcnt(3)
	s_delay_alu instid0(VALU_DEP_1) | instskip(SKIP_1) | instid1(VALU_DEP_1)
	v_max3_f32 v67, v67, v91, v92
	s_waitcnt lgkmcnt(2)
	v_max3_f32 v67, v67, v93, v94
	s_waitcnt lgkmcnt(1)
	s_delay_alu instid0(VALU_DEP_1) | instskip(NEXT) | instid1(VALU_DEP_1)
	v_max3_f32 v67, v67, v95, v96
	v_sub_f32_e32 v93, v93, v67
	s_delay_alu instid0(VALU_DEP_1) | instskip(NEXT) | instid1(VALU_DEP_1)
	v_dual_sub_f32 v68, v89, v67 :: v_dual_mul_f32 v103, 0x3fb8aa3b, v93
	v_mul_f32_e32 v68, 0x3fb8aa3b, v68
	s_delay_alu instid0(VALU_DEP_1)
	v_exp_f32_e32 v100, v68
	v_sub_f32_e32 v68, v92, v67
	v_sub_f32_e32 v99, v90, v67
	ds_load_2addr_b32 v[89:90], v82 offset0:170 offset1:187
	v_dual_mul_f32 v102, 0x3fb8aa3b, v68 :: v_dual_mul_f32 v99, 0x3fb8aa3b, v99
	s_waitcnt lgkmcnt(1)
	v_fma_f32 v68, v100, v97, 0
	s_delay_alu instid0(VALU_DEP_2) | instskip(NEXT) | instid1(VALU_DEP_2)
	v_exp_f32_e32 v102, v102
	v_exp_f32_e32 v99, v99
	s_waitcnt_depctr 0xfff
	v_fmac_f32_e32 v68, v99, v98
	v_sub_f32_e32 v91, v91, v67
	s_delay_alu instid0(VALU_DEP_1)
	v_mul_f32_e32 v101, 0x3fb8aa3b, v91
	ds_load_2addr_b32 v[91:92], v82 offset0:204 offset1:221
	v_sub_f32_e32 v97, v94, v67
	ds_load_2addr_b32 v[93:94], v82 offset0:238 offset1:255
	s_waitcnt lgkmcnt(0)
	v_exp_f32_e32 v101, v101
	s_barrier
	buffer_gl0_inv
	v_dual_fmac_f32 v68, v101, v89 :: v_dual_sub_f32 v89, v96, v67
	v_dual_sub_f32 v82, v95, v67 :: v_dual_mul_f32 v95, 0x3fb8aa3b, v97
	v_exp_f32_e32 v97, v103
	s_delay_alu instid0(VALU_DEP_2) | instskip(NEXT) | instid1(VALU_DEP_2)
	v_dual_fmac_f32 v68, v102, v90 :: v_dual_mul_f32 v89, 0x3fb8aa3b, v89
	v_mul_f32_e32 v82, 0x3fb8aa3b, v82
	s_delay_alu instid0(VALU_DEP_3) | instskip(NEXT) | instid1(VALU_DEP_2)
	v_exp_f32_e32 v95, v95
	v_exp_f32_e32 v89, v89
	s_delay_alu instid0(VALU_DEP_1)
	v_exp_f32_e32 v82, v82
	v_fmac_f32_e32 v68, v97, v91
	s_delay_alu instid0(TRANS32_DEP_3) | instid1(VALU_DEP_1)
	v_fmac_f32_e32 v68, v95, v92
	s_waitcnt_depctr 0xfff
	v_fmac_f32_e32 v68, v82, v93
	s_delay_alu instid0(VALU_DEP_1) | instskip(NEXT) | instid1(VALU_DEP_1)
	v_fmac_f32_e32 v68, v89, v94
	v_add_f32_e32 v90, 0x358637bd, v68
	s_delay_alu instid0(VALU_DEP_1) | instskip(NEXT) | instid1(VALU_DEP_1)
	v_div_scale_f32 v91, null, v90, v90, 1.0
	v_rcp_f32_e32 v92, v91
	s_waitcnt_depctr 0xfff
	v_fma_f32 v93, -v91, v92, 1.0
	s_delay_alu instid0(VALU_DEP_1) | instskip(SKIP_1) | instid1(VALU_DEP_2)
	v_dual_fmac_f32 v92, v93, v92 :: v_dual_cndmask_b32 v93, v100, v99
	v_cmp_eq_u32_e32 vcc_lo, 3, v66
	v_cndmask_b32_e64 v93, v93, v101, s4
	v_cmp_eq_u32_e64 s4, 4, v66
	s_delay_alu instid0(VALU_DEP_2) | instskip(SKIP_1) | instid1(VALU_DEP_2)
	v_cndmask_b32_e32 v93, v93, v102, vcc_lo
	v_cmp_eq_u32_e32 vcc_lo, 5, v66
	v_cndmask_b32_e64 v93, v93, v97, s4
	v_cmp_eq_u32_e64 s4, 6, v66
	s_delay_alu instid0(VALU_DEP_2) | instskip(SKIP_1) | instid1(VALU_DEP_1)
	v_cndmask_b32_e32 v93, v93, v95, vcc_lo
	v_div_scale_f32 v94, s5, 1.0, v90, 1.0
	s_mov_b32 vcc_lo, s5
	s_delay_alu instid0(VALU_DEP_2) | instskip(NEXT) | instid1(VALU_DEP_2)
	v_cndmask_b32_e64 v82, v93, v82, s4
	v_mul_f32_e32 v96, v94, v92
	s_mov_b32 s4, exec_lo
	s_delay_alu instid0(VALU_DEP_2) | instskip(NEXT) | instid1(VALU_DEP_2)
	v_cndmask_b32_e64 v82, v82, v89, s6
	v_fma_f32 v98, -v91, v96, v94
	s_delay_alu instid0(VALU_DEP_1) | instskip(NEXT) | instid1(VALU_DEP_1)
	v_fmac_f32_e32 v96, v98, v92
	v_fma_f32 v91, -v91, v96, v94
	s_delay_alu instid0(VALU_DEP_1) | instskip(NEXT) | instid1(VALU_DEP_1)
	v_div_fmas_f32 v91, v91, v92, v96
	v_div_fixup_f32 v90, v91, v90, 1.0
	s_delay_alu instid0(VALU_DEP_1) | instskip(NEXT) | instid1(VALU_DEP_1)
	v_mul_f32_e32 v82, v82, v90
	v_mul_f32_e32 v87, v82, v87
	;; [unrolled: 1-line block ×7, first 2 shown]
	v_dual_mul_f32 v86, v82, v83 :: v_dual_and_b32 v91, 0x7f800000, v90
	v_mul_f32_e32 v85, v82, v76
                                        ; implicit-def: $vgpr76
	s_delay_alu instid0(VALU_DEP_2)
	v_cmpx_ne_u32_e32 0x7f800000, v91
	s_xor_b32 s4, exec_lo, s4
; %bb.13:
	v_bfe_u32 v76, v90, 16, 1
	s_delay_alu instid0(VALU_DEP_1)
	v_add3_u32 v76, v90, v76, 0x7fff
                                        ; implicit-def: $vgpr90
; %bb.14:
	s_and_not1_saveexec_b32 s4, s4
; %bb.15:
	v_and_b32_e32 v76, 0xffff, v90
	v_or_b32_e32 v83, 0x10000, v90
	s_delay_alu instid0(VALU_DEP_2) | instskip(NEXT) | instid1(VALU_DEP_2)
	v_cmp_eq_u32_e32 vcc_lo, 0, v76
	v_cndmask_b32_e32 v76, v83, v90, vcc_lo
; %bb.16:
	s_or_b32 exec_lo, exec_lo, s4
	v_and_b32_e32 v83, 0x7f800000, v85
	s_delay_alu instid0(VALU_DEP_1) | instskip(SKIP_1) | instid1(SALU_CYCLE_1)
	v_cmp_ne_u32_e32 vcc_lo, 0x7f800000, v83
                                        ; implicit-def: $vgpr83
	s_and_saveexec_b32 s4, vcc_lo
	s_xor_b32 s4, exec_lo, s4
; %bb.17:
	v_bfe_u32 v83, v85, 16, 1
	s_delay_alu instid0(VALU_DEP_1)
	v_add3_u32 v83, v85, v83, 0x7fff
                                        ; implicit-def: $vgpr85
; %bb.18:
	s_and_not1_saveexec_b32 s4, s4
; %bb.19:
	v_and_b32_e32 v83, 0xffff, v85
	v_or_b32_e32 v90, 0x10000, v85
	s_delay_alu instid0(VALU_DEP_2) | instskip(NEXT) | instid1(VALU_DEP_2)
	v_cmp_eq_u32_e32 vcc_lo, 0, v83
	v_cndmask_b32_e32 v83, v90, v85, vcc_lo
; %bb.20:
	s_or_b32 exec_lo, exec_lo, s4
	v_and_b32_e32 v85, 0x7f800000, v86
	s_delay_alu instid0(VALU_DEP_1) | instskip(SKIP_1) | instid1(SALU_CYCLE_1)
	v_cmp_ne_u32_e32 vcc_lo, 0x7f800000, v85
                                        ; implicit-def: $vgpr85
	s_and_saveexec_b32 s4, vcc_lo
	s_xor_b32 s4, exec_lo, s4
; %bb.21:
	v_bfe_u32 v85, v86, 16, 1
	s_delay_alu instid0(VALU_DEP_1)
	v_add3_u32 v85, v86, v85, 0x7fff
                                        ; implicit-def: $vgpr86
; %bb.22:
	s_and_not1_saveexec_b32 s4, s4
; %bb.23:
	v_and_b32_e32 v85, 0xffff, v86
	v_or_b32_e32 v90, 0x10000, v86
	s_delay_alu instid0(VALU_DEP_2) | instskip(NEXT) | instid1(VALU_DEP_2)
	v_cmp_eq_u32_e32 vcc_lo, 0, v85
	v_cndmask_b32_e32 v85, v90, v86, vcc_lo
; %bb.24:
	s_or_b32 exec_lo, exec_lo, s4
	v_and_b32_e32 v86, 0x7f800000, v89
	s_delay_alu instid0(VALU_DEP_1) | instskip(SKIP_1) | instid1(SALU_CYCLE_1)
	v_cmp_ne_u32_e32 vcc_lo, 0x7f800000, v86
                                        ; implicit-def: $vgpr86
	s_and_saveexec_b32 s4, vcc_lo
	s_xor_b32 s4, exec_lo, s4
; %bb.25:
	v_bfe_u32 v86, v89, 16, 1
	s_delay_alu instid0(VALU_DEP_1)
	v_add3_u32 v86, v89, v86, 0x7fff
                                        ; implicit-def: $vgpr89
; %bb.26:
	s_and_not1_saveexec_b32 s4, s4
; %bb.27:
	v_and_b32_e32 v86, 0xffff, v89
	v_or_b32_e32 v90, 0x10000, v89
	s_delay_alu instid0(VALU_DEP_2) | instskip(NEXT) | instid1(VALU_DEP_2)
	v_cmp_eq_u32_e32 vcc_lo, 0, v86
	v_cndmask_b32_e32 v86, v90, v89, vcc_lo
; %bb.28:
	s_or_b32 exec_lo, exec_lo, s4
	v_and_b32_e32 v89, 0x7f800000, v88
	s_delay_alu instid0(VALU_DEP_1) | instskip(SKIP_1) | instid1(SALU_CYCLE_1)
	v_cmp_ne_u32_e32 vcc_lo, 0x7f800000, v89
                                        ; implicit-def: $vgpr89
	s_and_saveexec_b32 s4, vcc_lo
	s_xor_b32 s4, exec_lo, s4
; %bb.29:
	v_bfe_u32 v89, v88, 16, 1
	s_delay_alu instid0(VALU_DEP_1)
	v_add3_u32 v89, v88, v89, 0x7fff
                                        ; implicit-def: $vgpr88
; %bb.30:
	s_and_not1_saveexec_b32 s4, s4
; %bb.31:
	v_and_b32_e32 v89, 0xffff, v88
	v_or_b32_e32 v90, 0x10000, v88
	s_delay_alu instid0(VALU_DEP_2) | instskip(NEXT) | instid1(VALU_DEP_2)
	v_cmp_eq_u32_e32 vcc_lo, 0, v89
	v_cndmask_b32_e32 v89, v90, v88, vcc_lo
; %bb.32:
	s_or_b32 exec_lo, exec_lo, s4
	v_and_b32_e32 v88, 0x7f800000, v87
	s_delay_alu instid0(VALU_DEP_1) | instskip(SKIP_1) | instid1(SALU_CYCLE_1)
	v_cmp_ne_u32_e32 vcc_lo, 0x7f800000, v88
                                        ; implicit-def: $vgpr88
	s_and_saveexec_b32 s4, vcc_lo
	s_xor_b32 s4, exec_lo, s4
; %bb.33:
	v_bfe_u32 v88, v87, 16, 1
	s_delay_alu instid0(VALU_DEP_1)
	v_add3_u32 v88, v87, v88, 0x7fff
                                        ; implicit-def: $vgpr87
; %bb.34:
	s_and_not1_saveexec_b32 s4, s4
; %bb.35:
	v_and_b32_e32 v88, 0xffff, v87
	v_or_b32_e32 v90, 0x10000, v87
	s_delay_alu instid0(VALU_DEP_2) | instskip(NEXT) | instid1(VALU_DEP_2)
	v_cmp_eq_u32_e32 vcc_lo, 0, v88
	v_cndmask_b32_e32 v88, v90, v87, vcc_lo
; %bb.36:
	s_or_b32 exec_lo, exec_lo, s4
	v_and_b32_e32 v87, 0x7f800000, v84
	s_delay_alu instid0(VALU_DEP_1) | instskip(SKIP_1) | instid1(SALU_CYCLE_1)
	v_cmp_ne_u32_e32 vcc_lo, 0x7f800000, v87
                                        ; implicit-def: $vgpr87
	s_and_saveexec_b32 s4, vcc_lo
	s_xor_b32 s4, exec_lo, s4
; %bb.37:
	v_bfe_u32 v87, v84, 16, 1
	s_delay_alu instid0(VALU_DEP_1)
	v_add3_u32 v87, v84, v87, 0x7fff
                                        ; implicit-def: $vgpr84
; %bb.38:
	s_and_not1_saveexec_b32 s4, s4
; %bb.39:
	v_and_b32_e32 v87, 0xffff, v84
	v_or_b32_e32 v90, 0x10000, v84
	s_delay_alu instid0(VALU_DEP_2) | instskip(NEXT) | instid1(VALU_DEP_2)
	v_cmp_eq_u32_e32 vcc_lo, 0, v87
	v_cndmask_b32_e32 v87, v90, v84, vcc_lo
; %bb.40:
	s_or_b32 exec_lo, exec_lo, s4
	v_and_b32_e32 v84, 0x7f800000, v80
	s_delay_alu instid0(VALU_DEP_1) | instskip(SKIP_1) | instid1(SALU_CYCLE_1)
	v_cmp_ne_u32_e32 vcc_lo, 0x7f800000, v84
                                        ; implicit-def: $vgpr84
	s_and_saveexec_b32 s4, vcc_lo
	s_xor_b32 s4, exec_lo, s4
; %bb.41:
	v_bfe_u32 v84, v80, 16, 1
	s_delay_alu instid0(VALU_DEP_1)
	v_add3_u32 v84, v80, v84, 0x7fff
                                        ; implicit-def: $vgpr80
; %bb.42:
	s_and_not1_saveexec_b32 s4, s4
; %bb.43:
	v_and_b32_e32 v84, 0xffff, v80
	v_or_b32_e32 v90, 0x10000, v80
	s_delay_alu instid0(VALU_DEP_2) | instskip(NEXT) | instid1(VALU_DEP_2)
	v_cmp_eq_u32_e32 vcc_lo, 0, v84
	v_cndmask_b32_e32 v84, v90, v80, vcc_lo
; %bb.44:
	s_or_b32 exec_lo, exec_lo, s4
	s_load_b64 s[36:37], s[0:1], 0x94
	v_lshlrev_b32_e32 v91, 4, v74
	s_delay_alu instid0(VALU_DEP_2)
	v_perm_b32 v90, v84, v87, 0x7060302
	v_dual_mul_f32 v79, v82, v79 :: v_dual_lshlrev_b32 v80, 6, v65
	v_dual_mul_f32 v77, v82, v77 :: v_dual_lshlrev_b32 v92, 11, v66
	v_mul_f32_e32 v84, v82, v70
	v_perm_b32 v89, v88, v89, 0x7060302
	v_perm_b32 v88, v86, v85, 0x7060302
	;; [unrolled: 1-line block ×3, first 2 shown]
	v_mul_f32_e32 v70, v82, v81
	v_or3_b32 v76, v91, v92, v80
	v_dual_mul_f32 v78, v82, v78 :: v_dual_and_b32 v85, 0x7f800000, v84
	v_mul_f32_e32 v83, v82, v72
	v_mul_f32_e32 v81, v82, v71
	;; [unrolled: 1-line block ×3, first 2 shown]
	s_mov_b32 s4, exec_lo
	ds_store_b128 v76, v[87:90]
                                        ; implicit-def: $vgpr69
	v_cmpx_ne_u32_e32 0x7f800000, v85
	s_xor_b32 s4, exec_lo, s4
; %bb.45:
	v_bfe_u32 v69, v84, 16, 1
	s_delay_alu instid0(VALU_DEP_1)
	v_add3_u32 v69, v84, v69, 0x7fff
                                        ; implicit-def: $vgpr84
; %bb.46:
	s_and_not1_saveexec_b32 s4, s4
; %bb.47:
	v_and_b32_e32 v69, 0xffff, v84
	v_or_b32_e32 v71, 0x10000, v84
	s_delay_alu instid0(VALU_DEP_2) | instskip(NEXT) | instid1(VALU_DEP_2)
	v_cmp_eq_u32_e32 vcc_lo, 0, v69
	v_cndmask_b32_e32 v69, v71, v84, vcc_lo
; %bb.48:
	s_or_b32 exec_lo, exec_lo, s4
	v_and_b32_e32 v71, 0x7f800000, v72
	s_delay_alu instid0(VALU_DEP_1) | instskip(SKIP_1) | instid1(SALU_CYCLE_1)
	v_cmp_ne_u32_e32 vcc_lo, 0x7f800000, v71
                                        ; implicit-def: $vgpr71
	s_and_saveexec_b32 s4, vcc_lo
	s_xor_b32 s4, exec_lo, s4
; %bb.49:
	v_bfe_u32 v71, v72, 16, 1
	s_delay_alu instid0(VALU_DEP_1)
	v_add3_u32 v71, v72, v71, 0x7fff
                                        ; implicit-def: $vgpr72
; %bb.50:
	s_and_not1_saveexec_b32 s4, s4
; %bb.51:
	v_and_b32_e32 v71, 0xffff, v72
	v_or_b32_e32 v82, 0x10000, v72
	s_delay_alu instid0(VALU_DEP_2) | instskip(NEXT) | instid1(VALU_DEP_2)
	v_cmp_eq_u32_e32 vcc_lo, 0, v71
	v_cndmask_b32_e32 v71, v82, v72, vcc_lo
; %bb.52:
	s_or_b32 exec_lo, exec_lo, s4
	v_and_b32_e32 v72, 0x7f800000, v81
	s_delay_alu instid0(VALU_DEP_1) | instskip(SKIP_1) | instid1(SALU_CYCLE_1)
	v_cmp_ne_u32_e32 vcc_lo, 0x7f800000, v72
                                        ; implicit-def: $vgpr72
	s_and_saveexec_b32 s4, vcc_lo
	s_xor_b32 s4, exec_lo, s4
; %bb.53:
	v_bfe_u32 v72, v81, 16, 1
	s_delay_alu instid0(VALU_DEP_1)
	v_add3_u32 v72, v81, v72, 0x7fff
                                        ; implicit-def: $vgpr81
; %bb.54:
	s_and_not1_saveexec_b32 s4, s4
; %bb.55:
	v_and_b32_e32 v72, 0xffff, v81
	v_or_b32_e32 v82, 0x10000, v81
	s_delay_alu instid0(VALU_DEP_2) | instskip(NEXT) | instid1(VALU_DEP_2)
	v_cmp_eq_u32_e32 vcc_lo, 0, v72
	v_cndmask_b32_e32 v72, v82, v81, vcc_lo
; %bb.56:
	s_or_b32 exec_lo, exec_lo, s4
	v_and_b32_e32 v81, 0x7f800000, v83
	s_delay_alu instid0(VALU_DEP_1) | instskip(SKIP_1) | instid1(SALU_CYCLE_1)
	v_cmp_ne_u32_e32 vcc_lo, 0x7f800000, v81
                                        ; implicit-def: $vgpr81
	s_and_saveexec_b32 s4, vcc_lo
	s_xor_b32 s4, exec_lo, s4
; %bb.57:
	v_bfe_u32 v81, v83, 16, 1
	s_delay_alu instid0(VALU_DEP_1)
	v_add3_u32 v81, v83, v81, 0x7fff
                                        ; implicit-def: $vgpr83
; %bb.58:
	s_and_not1_saveexec_b32 s4, s4
; %bb.59:
	v_and_b32_e32 v81, 0xffff, v83
	v_or_b32_e32 v82, 0x10000, v83
	s_delay_alu instid0(VALU_DEP_2) | instskip(NEXT) | instid1(VALU_DEP_2)
	v_cmp_eq_u32_e32 vcc_lo, 0, v81
	v_cndmask_b32_e32 v81, v82, v83, vcc_lo
; %bb.60:
	s_or_b32 exec_lo, exec_lo, s4
	v_and_b32_e32 v82, 0x7f800000, v77
	s_delay_alu instid0(VALU_DEP_1) | instskip(SKIP_1) | instid1(SALU_CYCLE_1)
	v_cmp_ne_u32_e32 vcc_lo, 0x7f800000, v82
                                        ; implicit-def: $vgpr82
	s_and_saveexec_b32 s4, vcc_lo
	s_xor_b32 s4, exec_lo, s4
; %bb.61:
	v_bfe_u32 v82, v77, 16, 1
	s_delay_alu instid0(VALU_DEP_1)
	v_add3_u32 v82, v77, v82, 0x7fff
                                        ; implicit-def: $vgpr77
; %bb.62:
	s_and_not1_saveexec_b32 s4, s4
; %bb.63:
	v_and_b32_e32 v82, 0xffff, v77
	v_or_b32_e32 v83, 0x10000, v77
	s_delay_alu instid0(VALU_DEP_2) | instskip(NEXT) | instid1(VALU_DEP_2)
	v_cmp_eq_u32_e32 vcc_lo, 0, v82
	v_cndmask_b32_e32 v82, v83, v77, vcc_lo
; %bb.64:
	s_or_b32 exec_lo, exec_lo, s4
	v_and_b32_e32 v77, 0x7f800000, v78
	s_delay_alu instid0(VALU_DEP_1) | instskip(SKIP_1) | instid1(SALU_CYCLE_1)
	v_cmp_ne_u32_e32 vcc_lo, 0x7f800000, v77
                                        ; implicit-def: $vgpr77
	s_and_saveexec_b32 s4, vcc_lo
	s_xor_b32 s4, exec_lo, s4
; %bb.65:
	v_bfe_u32 v77, v78, 16, 1
	s_delay_alu instid0(VALU_DEP_1)
	v_add3_u32 v77, v78, v77, 0x7fff
                                        ; implicit-def: $vgpr78
; %bb.66:
	s_and_not1_saveexec_b32 s4, s4
; %bb.67:
	v_and_b32_e32 v77, 0xffff, v78
	v_or_b32_e32 v83, 0x10000, v78
	s_delay_alu instid0(VALU_DEP_2) | instskip(NEXT) | instid1(VALU_DEP_2)
	v_cmp_eq_u32_e32 vcc_lo, 0, v77
	v_cndmask_b32_e32 v77, v83, v78, vcc_lo
; %bb.68:
	s_or_b32 exec_lo, exec_lo, s4
	v_and_b32_e32 v78, 0x7f800000, v79
	s_delay_alu instid0(VALU_DEP_1) | instskip(SKIP_1) | instid1(SALU_CYCLE_1)
	v_cmp_ne_u32_e32 vcc_lo, 0x7f800000, v78
                                        ; implicit-def: $vgpr78
	s_and_saveexec_b32 s4, vcc_lo
	s_xor_b32 s4, exec_lo, s4
; %bb.69:
	v_bfe_u32 v78, v79, 16, 1
	s_delay_alu instid0(VALU_DEP_1)
	v_add3_u32 v78, v79, v78, 0x7fff
                                        ; implicit-def: $vgpr79
; %bb.70:
	s_and_not1_saveexec_b32 s4, s4
; %bb.71:
	v_and_b32_e32 v78, 0xffff, v79
	v_or_b32_e32 v83, 0x10000, v79
	s_delay_alu instid0(VALU_DEP_2) | instskip(NEXT) | instid1(VALU_DEP_2)
	v_cmp_eq_u32_e32 vcc_lo, 0, v78
	v_cndmask_b32_e32 v78, v83, v79, vcc_lo
; %bb.72:
	s_or_b32 exec_lo, exec_lo, s4
	v_and_b32_e32 v79, 0x7f800000, v70
	s_delay_alu instid0(VALU_DEP_1) | instskip(SKIP_1) | instid1(SALU_CYCLE_1)
	v_cmp_ne_u32_e32 vcc_lo, 0x7f800000, v79
                                        ; implicit-def: $vgpr79
	s_and_saveexec_b32 s4, vcc_lo
	s_xor_b32 s4, exec_lo, s4
; %bb.73:
	v_bfe_u32 v79, v70, 16, 1
	s_delay_alu instid0(VALU_DEP_1)
	v_add3_u32 v79, v70, v79, 0x7fff
                                        ; implicit-def: $vgpr70
; %bb.74:
	s_and_not1_saveexec_b32 s4, s4
; %bb.75:
	v_and_b32_e32 v79, 0xffff, v70
	v_or_b32_e32 v83, 0x10000, v70
	s_delay_alu instid0(VALU_DEP_2) | instskip(NEXT) | instid1(VALU_DEP_2)
	v_cmp_eq_u32_e32 vcc_lo, 0, v79
	v_cndmask_b32_e32 v79, v83, v70, vcc_lo
; %bb.76:
	s_or_b32 exec_lo, exec_lo, s4
	s_delay_alu instid0(VALU_DEP_1)
	v_perm_b32 v86, v79, v78, 0x7060302
	v_perm_b32 v85, v77, v82, 0x7060302
	;; [unrolled: 1-line block ×4, first 2 shown]
	v_lshl_or_b32 v82, v66, 11, v80
	ds_store_b128 v76, v[83:86] offset:1024
	s_waitcnt lgkmcnt(0)
	s_barrier
	buffer_gl0_inv
	ds_load_b128 v[69:72], v82
	ds_load_b128 v[83:86], v82 offset:16
	s_waitcnt lgkmcnt(1)
	v_lshrrev_b32_e32 v66, 16, v69
	s_waitcnt lgkmcnt(0)
	v_lshrrev_b32_e32 v91, 16, v83
	v_lshlrev_b32_e32 v78, 2, v74
	v_lshrrev_b32_e32 v95, 16, v70
	v_lshrrev_b32_e32 v98, 16, v84
	v_lshrrev_b32_e32 v96, 16, v71
	v_lshrrev_b32_e32 v99, 16, v85
	v_cmp_eq_u32_e32 vcc_lo, 1, v78
	v_lshrrev_b32_e32 v97, 16, v72
	v_lshrrev_b32_e32 v100, 16, v86
	v_cndmask_b32_e32 v87, v83, v91, vcc_lo
	v_or_b32_e32 v79, 1, v78
	v_cndmask_b32_e32 v81, v69, v66, vcc_lo
	v_cmp_eq_u32_e64 s5, 2, v78
	v_cmp_eq_u32_e64 s8, 3, v78
	v_cmp_eq_u32_e64 s10, 4, v78
	v_cmp_eq_u32_e64 s4, 1, v79
	v_cmp_eq_u32_e64 s7, 2, v79
	v_cndmask_b32_e64 v81, v81, v70, s5
	v_cndmask_b32_e64 v87, v87, v84, s5
	v_cmp_eq_u32_e64 s9, 3, v79
	v_cndmask_b32_e64 v88, v69, v66, s4
	v_or_b32_e32 v77, 2, v78
	v_cndmask_b32_e64 v81, v81, v95, s8
	v_cndmask_b32_e64 v87, v87, v98, s8
	;; [unrolled: 1-line block ×4, first 2 shown]
	v_cmp_eq_u32_e64 s11, 5, v78
	v_cndmask_b32_e64 v81, v81, v71, s10
	v_cndmask_b32_e64 v87, v87, v85, s10
	v_cmp_eq_u32_e64 s12, 4, v79
	v_cndmask_b32_e64 v88, v88, v95, s9
	v_cmp_eq_u32_e64 s6, 1, v77
	v_cndmask_b32_e64 v89, v89, v84, s7
	v_cndmask_b32_e64 v81, v81, v96, s11
	v_cmp_eq_u32_e64 s13, 6, v78
	v_cndmask_b32_e64 v88, v88, v71, s12
	;; [unrolled: 3-line block ×3, first 2 shown]
	v_cndmask_b32_e64 v89, v89, v98, s9
	v_cndmask_b32_e64 v81, v81, v72, s13
	v_cmp_eq_u32_e64 s16, 7, v78
	v_cndmask_b32_e64 v88, v88, v96, s15
	v_cndmask_b32_e64 v87, v87, v86, s13
	v_cmp_eq_u32_e64 s17, 6, v79
	v_cmp_eq_u32_e64 s18, 2, v77
	v_cndmask_b32_e64 v89, v89, v85, s12
	v_cndmask_b32_e64 v101, v81, v97, s16
	;; [unrolled: 1-line block ×6, first 2 shown]
	v_cmp_eq_u32_e64 s19, 7, v79
	v_cmp_eq_u32_e64 s20, 3, v77
	;; [unrolled: 1-line block ×4, first 2 shown]
	v_cndmask_b32_e64 v87, v87, v84, s18
	v_cndmask_b32_e64 v103, v88, v97, s19
	;; [unrolled: 1-line block ×4, first 2 shown]
	v_or_b32_e32 v81, 3, v78
	v_cndmask_b32_e64 v93, v87, v98, s20
	v_cmp_eq_u32_e64 s25, 6, v77
	v_cndmask_b32_e64 v104, v88, v86, s17
	v_cndmask_b32_e64 v92, v89, v71, s21
	v_cmp_eq_u32_e64 s22, 1, v81
	ds_load_b128 v[87:90], v82 offset:1024
	v_cmp_eq_u32_e64 s24, 2, v81
	v_cmp_eq_u32_e64 s26, 3, v81
	v_cndmask_b32_e64 v105, v92, v96, s23
	v_cndmask_b32_e64 v66, v69, v66, s22
	;; [unrolled: 1-line block ×4, first 2 shown]
	ds_load_b128 v[91:94], v82 offset:1040
	v_cmp_eq_u32_e64 s27, 4, v81
	v_cndmask_b32_e64 v66, v66, v70, s24
	v_cmp_eq_u32_e64 s28, 7, v77
	v_cndmask_b32_e64 v70, v83, v84, s24
	v_cndmask_b32_e64 v84, v105, v72, s25
	v_cmp_eq_u32_e64 s29, 5, v81
	v_cndmask_b32_e64 v66, v66, v95, s26
	v_cmp_eq_u32_e64 s30, 6, v81
	v_cndmask_b32_e64 v70, v70, v98, s26
	v_cndmask_b32_e64 v69, v69, v99, s23
	;; [unrolled: 1-line block ×4, first 2 shown]
	s_waitcnt lgkmcnt(1)
	v_lshrrev_b32_e32 v95, 16, v87
	v_cndmask_b32_e64 v70, v70, v85, s27
	v_cndmask_b32_e64 v71, v84, v97, s28
	;; [unrolled: 1-line block ×4, first 2 shown]
	v_cndmask_b32_e32 v84, v87, v95, vcc_lo
	v_cndmask_b32_e64 v70, v70, v99, s29
	s_waitcnt lgkmcnt(0)
	v_lshrrev_b32_e32 v85, 16, v91
	v_lshrrev_b32_e32 v96, 16, v88
	v_cndmask_b32_e64 v98, v87, v95, s4
	v_cndmask_b32_e64 v84, v84, v88, s5
	;; [unrolled: 1-line block ×3, first 2 shown]
	v_cndmask_b32_e32 v99, v91, v85, vcc_lo
	v_cmp_eq_u32_e32 vcc_lo, 7, v81
	v_cndmask_b32_e64 v66, v66, v72, s30
	v_cndmask_b32_e64 v72, v84, v96, s8
	v_cndmask_b32_e64 v84, v98, v88, s7
	v_lshrrev_b32_e32 v98, 16, v92
	v_cndmask_b32_e32 v70, v70, v100, vcc_lo
	v_cndmask_b32_e64 v86, v99, v92, s5
	v_cndmask_b32_e64 v69, v69, v100, s28
	v_lshrrev_b32_e32 v100, 16, v93
	v_cndmask_b32_e64 v72, v72, v89, s10
	v_lshrrev_b32_e32 v99, 16, v89
	v_cndmask_b32_e64 v86, v86, v98, s8
	v_perm_b32 v71, v69, v71, 0x5040100
	v_cndmask_b32_e64 v84, v84, v96, s9
	s_delay_alu instid0(VALU_DEP_3) | instskip(NEXT) | instid1(VALU_DEP_2)
	v_cndmask_b32_e64 v86, v86, v93, s10
	v_cndmask_b32_e64 v84, v84, v89, s12
	s_delay_alu instid0(VALU_DEP_2) | instskip(NEXT) | instid1(VALU_DEP_1)
	v_cndmask_b32_e64 v86, v86, v100, s11
	v_cndmask_b32_e64 v69, v86, v94, s13
	;; [unrolled: 1-line block ×5, first 2 shown]
	s_delay_alu instid0(VALU_DEP_3) | instskip(NEXT) | instid1(VALU_DEP_3)
	v_cndmask_b32_e64 v86, v86, v88, s18
	v_cndmask_b32_e64 v87, v87, v88, s24
	s_delay_alu instid0(VALU_DEP_3) | instskip(NEXT) | instid1(VALU_DEP_3)
	v_cndmask_b32_e64 v88, v95, v92, s24
	v_cndmask_b32_e64 v86, v86, v96, s20
	;; [unrolled: 3-line block ×7, first 2 shown]
	s_delay_alu instid0(VALU_DEP_3) | instskip(SKIP_2) | instid1(VALU_DEP_2)
	v_cndmask_b32_e64 v88, v88, v94, s30
	v_cndmask_b32_e32 v66, v66, v97, vcc_lo
	v_cndmask_b32_e64 v97, v72, v99, s11
	v_perm_b32 v72, v70, v66, 0x5040100
	v_perm_b32 v70, v83, v103, 0x5040100
	v_cndmask_b32_e64 v103, v91, v85, s6
	v_cndmask_b32_e64 v85, v91, v85, s4
	v_cndmask_b32_e64 v66, v84, v99, s15
	v_cndmask_b32_e64 v84, v97, v90, s13
	v_lshrrev_b32_e32 v97, 16, v90
	v_cndmask_b32_e64 v91, v103, v92, s18
	v_cndmask_b32_e64 v85, v85, v92, s7
	;; [unrolled: 1-line block ×3, first 2 shown]
	s_mov_b32 s4, exec_lo
	v_cndmask_b32_e64 v83, v84, v97, s16
	v_cndmask_b32_e64 v91, v91, v98, s20
	;; [unrolled: 1-line block ×3, first 2 shown]
	v_lshrrev_b32_e32 v84, 16, v94
	v_cndmask_b32_e64 v66, v66, v97, s19
	v_cndmask_b32_e64 v90, v86, v97, s28
	;; [unrolled: 1-line block ×4, first 2 shown]
	v_dual_cndmask_b32 v86, v87, v97 :: v_dual_cndmask_b32 v87, v88, v84
	v_cndmask_b32_e64 v91, v69, v84, s16
	s_delay_alu instid0(VALU_DEP_4) | instskip(NEXT) | instid1(VALU_DEP_4)
	v_cndmask_b32_e64 v89, v89, v100, s23
	v_cndmask_b32_e64 v85, v85, v100, s15
	v_perm_b32 v69, v102, v101, 0x5040100
	v_perm_b32 v86, v87, v86, 0x5040100
	;; [unrolled: 1-line block ×3, first 2 shown]
	v_cndmask_b32_e64 v89, v89, v94, s25
	v_cndmask_b32_e64 v85, v85, v94, s17
	s_mul_i32 s9, s37, 3
	s_delay_alu instid0(VALU_DEP_2) | instskip(NEXT) | instid1(VALU_DEP_2)
	v_cndmask_b32_e64 v88, v89, v84, s28
	v_cndmask_b32_e64 v89, v85, v84, s19
	s_delay_alu instid0(VALU_DEP_2) | instskip(NEXT) | instid1(VALU_DEP_2)
	v_perm_b32 v85, v88, v90, 0x5040100
	v_perm_b32 v84, v89, v66, 0x5040100
	ds_store_b128 v76, v[69:72]
	ds_store_b128 v76, v[83:86] offset:1024
	v_cmpx_gt_u32_e32 3, v0
	s_cbranch_execz .LBB1696_78
; %bb.77:
	s_mul_i32 s5, s9, s34
	s_load_b128 s[16:19], s[0:1], 0x58
	v_add3_u32 v69, s5, s31, v65
	s_delay_alu instid0(VALU_DEP_1) | instskip(NEXT) | instid1(VALU_DEP_1)
	v_mad_u64_u32 v[65:66], null, v69, s36, s[14:15]
	v_ashrrev_i32_e32 v66, 31, v65
	s_delay_alu instid0(VALU_DEP_1) | instskip(SKIP_1) | instid1(VALU_DEP_1)
	v_lshlrev_b64 v[65:66], 2, v[65:66]
	s_waitcnt lgkmcnt(0)
	v_add_co_u32 v69, vcc_lo, s18, v65
	s_delay_alu instid0(VALU_DEP_2)
	v_add_co_ci_u32_e32 v70, vcc_lo, s19, v66, vcc_lo
	v_add_co_u32 v65, vcc_lo, s16, v65
	v_add_co_ci_u32_e32 v66, vcc_lo, s17, v66, vcc_lo
	global_store_b32 v[69:70], v67, off
	global_store_b32 v[65:66], v68, off
.LBB1696_78:
	s_or_b32 exec_lo, exec_lo, s4
	s_waitcnt lgkmcnt(0)
	s_waitcnt_vscnt null, 0x0
	s_barrier
	buffer_gl0_inv
	ds_load_b128 v[83:86], v80
	ds_load_b128 v[87:90], v80 offset:16
	ds_load_b128 v[95:98], v80 offset:2064
	;; [unrolled: 1-line block ×3, first 2 shown]
	v_mov_b32_e32 v65, 0
	ds_load_b128 v[103:106], v80 offset:4112
	ds_load_b128 v[99:102], v80 offset:4096
	;; [unrolled: 1-line block ×4, first 2 shown]
	v_mov_b32_e32 v66, v65
	v_mov_b32_e32 v67, v65
	;; [unrolled: 1-line block ×7, first 2 shown]
	s_waitcnt lgkmcnt(6)
	s_delay_alu instid0(VALU_DEP_1)
	v_wmma_f32_16x16x16_bf16 v[65:72], v[57:64], v[83:90], v[65:72]
	ds_load_b128 v[61:64], v80 offset:8208
	ds_load_b128 v[57:60], v80 offset:8192
	s_waitcnt lgkmcnt(6)
	v_wmma_f32_16x16x16_bf16 v[65:72], v[41:48], v[91:98], v[65:72]
	ds_load_b128 v[45:48], v80 offset:10256
	ds_load_b128 v[41:44], v80 offset:10240
	s_waitcnt lgkmcnt(6)
	;; [unrolled: 4-line block ×4, first 2 shown]
	v_wmma_f32_16x16x16_bf16 v[65:72], v[1:8], v[57:64], v[65:72]
	s_waitcnt lgkmcnt(4)
	s_delay_alu instid0(VALU_DEP_1) | instskip(SKIP_1) | instid1(VALU_DEP_1)
	v_wmma_f32_16x16x16_bf16 v[65:72], v[9:16], v[41:48], v[65:72]
	s_waitcnt lgkmcnt(2)
	v_wmma_f32_16x16x16_bf16 v[65:72], v[17:24], v[33:40], v[65:72]
	s_waitcnt lgkmcnt(0)
	s_delay_alu instid0(VALU_DEP_1) | instskip(NEXT) | instid1(VALU_DEP_1)
	v_wmma_f32_16x16x16_bf16 v[65:72], v[49:56], v[25:32], v[65:72]
	v_and_b32_e32 v1, 0x7f800000, v65
	s_delay_alu instid0(VALU_DEP_1) | instskip(SKIP_1) | instid1(SALU_CYCLE_1)
	v_cmp_ne_u32_e32 vcc_lo, 0x7f800000, v1
                                        ; implicit-def: $vgpr1
	s_and_saveexec_b32 s4, vcc_lo
	s_xor_b32 s4, exec_lo, s4
; %bb.79:
	v_bfe_u32 v1, v65, 16, 1
	s_delay_alu instid0(VALU_DEP_1)
	v_add3_u32 v1, v65, v1, 0x7fff
; %bb.80:
	s_and_not1_saveexec_b32 s4, s4
; %bb.81:
	v_and_b32_e32 v1, 0xffff, v65
	v_or_b32_e32 v2, 0x10000, v65
	s_delay_alu instid0(VALU_DEP_2) | instskip(NEXT) | instid1(VALU_DEP_2)
	v_cmp_eq_u32_e32 vcc_lo, 0, v1
	v_cndmask_b32_e32 v1, v2, v65, vcc_lo
; %bb.82:
	s_or_b32 exec_lo, exec_lo, s4
	v_and_b32_e32 v2, 0x7f800000, v66
	s_delay_alu instid0(VALU_DEP_1) | instskip(SKIP_1) | instid1(SALU_CYCLE_1)
	v_cmp_ne_u32_e32 vcc_lo, 0x7f800000, v2
                                        ; implicit-def: $vgpr2
	s_and_saveexec_b32 s4, vcc_lo
	s_xor_b32 s4, exec_lo, s4
; %bb.83:
	v_bfe_u32 v2, v66, 16, 1
	s_delay_alu instid0(VALU_DEP_1)
	v_add3_u32 v2, v66, v2, 0x7fff
; %bb.84:
	s_and_not1_saveexec_b32 s4, s4
; %bb.85:
	v_and_b32_e32 v2, 0xffff, v66
	v_or_b32_e32 v3, 0x10000, v66
	s_delay_alu instid0(VALU_DEP_2) | instskip(NEXT) | instid1(VALU_DEP_2)
	v_cmp_eq_u32_e32 vcc_lo, 0, v2
	v_cndmask_b32_e32 v2, v3, v66, vcc_lo
; %bb.86:
	s_or_b32 exec_lo, exec_lo, s4
	v_and_b32_e32 v3, 0x7f800000, v67
	s_delay_alu instid0(VALU_DEP_1) | instskip(SKIP_1) | instid1(SALU_CYCLE_1)
	v_cmp_ne_u32_e32 vcc_lo, 0x7f800000, v3
                                        ; implicit-def: $vgpr3
	s_and_saveexec_b32 s4, vcc_lo
	s_xor_b32 s4, exec_lo, s4
; %bb.87:
	v_bfe_u32 v3, v67, 16, 1
	s_delay_alu instid0(VALU_DEP_1)
	v_add3_u32 v3, v67, v3, 0x7fff
; %bb.88:
	s_and_not1_saveexec_b32 s4, s4
; %bb.89:
	v_and_b32_e32 v3, 0xffff, v67
	v_or_b32_e32 v4, 0x10000, v67
	s_delay_alu instid0(VALU_DEP_2) | instskip(NEXT) | instid1(VALU_DEP_2)
	v_cmp_eq_u32_e32 vcc_lo, 0, v3
	v_cndmask_b32_e32 v3, v4, v67, vcc_lo
; %bb.90:
	s_or_b32 exec_lo, exec_lo, s4
	v_and_b32_e32 v4, 0x7f800000, v68
	s_delay_alu instid0(VALU_DEP_1) | instskip(SKIP_1) | instid1(SALU_CYCLE_1)
	v_cmp_ne_u32_e32 vcc_lo, 0x7f800000, v4
                                        ; implicit-def: $vgpr4
	s_and_saveexec_b32 s4, vcc_lo
	s_xor_b32 s4, exec_lo, s4
; %bb.91:
	v_bfe_u32 v4, v68, 16, 1
	s_delay_alu instid0(VALU_DEP_1)
	v_add3_u32 v4, v68, v4, 0x7fff
; %bb.92:
	s_and_not1_saveexec_b32 s4, s4
; %bb.93:
	v_and_b32_e32 v4, 0xffff, v68
	v_or_b32_e32 v5, 0x10000, v68
	s_delay_alu instid0(VALU_DEP_2) | instskip(NEXT) | instid1(VALU_DEP_2)
	v_cmp_eq_u32_e32 vcc_lo, 0, v4
	v_cndmask_b32_e32 v4, v5, v68, vcc_lo
; %bb.94:
	s_or_b32 exec_lo, exec_lo, s4
	v_and_b32_e32 v5, 0x7f800000, v69
	s_delay_alu instid0(VALU_DEP_1) | instskip(SKIP_1) | instid1(SALU_CYCLE_1)
	v_cmp_ne_u32_e32 vcc_lo, 0x7f800000, v5
                                        ; implicit-def: $vgpr5
	s_and_saveexec_b32 s4, vcc_lo
	s_xor_b32 s4, exec_lo, s4
; %bb.95:
	v_bfe_u32 v5, v69, 16, 1
	s_delay_alu instid0(VALU_DEP_1)
	v_add3_u32 v5, v69, v5, 0x7fff
; %bb.96:
	s_and_not1_saveexec_b32 s4, s4
; %bb.97:
	v_and_b32_e32 v5, 0xffff, v69
	v_or_b32_e32 v6, 0x10000, v69
	s_delay_alu instid0(VALU_DEP_2) | instskip(NEXT) | instid1(VALU_DEP_2)
	v_cmp_eq_u32_e32 vcc_lo, 0, v5
	v_cndmask_b32_e32 v5, v6, v69, vcc_lo
; %bb.98:
	s_or_b32 exec_lo, exec_lo, s4
	v_and_b32_e32 v6, 0x7f800000, v70
	s_delay_alu instid0(VALU_DEP_1) | instskip(SKIP_1) | instid1(SALU_CYCLE_1)
	v_cmp_ne_u32_e32 vcc_lo, 0x7f800000, v6
                                        ; implicit-def: $vgpr6
	s_and_saveexec_b32 s4, vcc_lo
	s_xor_b32 s4, exec_lo, s4
; %bb.99:
	v_bfe_u32 v6, v70, 16, 1
	s_delay_alu instid0(VALU_DEP_1)
	v_add3_u32 v6, v70, v6, 0x7fff
; %bb.100:
	s_and_not1_saveexec_b32 s4, s4
; %bb.101:
	v_and_b32_e32 v6, 0xffff, v70
	v_or_b32_e32 v7, 0x10000, v70
	s_delay_alu instid0(VALU_DEP_2) | instskip(NEXT) | instid1(VALU_DEP_2)
	v_cmp_eq_u32_e32 vcc_lo, 0, v6
	v_cndmask_b32_e32 v6, v7, v70, vcc_lo
; %bb.102:
	s_or_b32 exec_lo, exec_lo, s4
	v_and_b32_e32 v7, 0x7f800000, v71
	s_delay_alu instid0(VALU_DEP_1) | instskip(SKIP_1) | instid1(SALU_CYCLE_1)
	v_cmp_ne_u32_e32 vcc_lo, 0x7f800000, v7
                                        ; implicit-def: $vgpr7
	s_and_saveexec_b32 s4, vcc_lo
	s_xor_b32 s4, exec_lo, s4
; %bb.103:
	v_bfe_u32 v7, v71, 16, 1
	s_delay_alu instid0(VALU_DEP_1)
	v_add3_u32 v7, v71, v7, 0x7fff
; %bb.104:
	s_and_not1_saveexec_b32 s4, s4
; %bb.105:
	v_and_b32_e32 v7, 0xffff, v71
	v_or_b32_e32 v8, 0x10000, v71
	s_delay_alu instid0(VALU_DEP_2) | instskip(NEXT) | instid1(VALU_DEP_2)
	v_cmp_eq_u32_e32 vcc_lo, 0, v7
	v_cndmask_b32_e32 v7, v8, v71, vcc_lo
; %bb.106:
	s_or_b32 exec_lo, exec_lo, s4
	v_and_b32_e32 v8, 0x7f800000, v72
	s_delay_alu instid0(VALU_DEP_1) | instskip(SKIP_1) | instid1(SALU_CYCLE_1)
	v_cmp_ne_u32_e32 vcc_lo, 0x7f800000, v8
                                        ; implicit-def: $vgpr8
	s_and_saveexec_b32 s4, vcc_lo
	s_xor_b32 s4, exec_lo, s4
; %bb.107:
	v_bfe_u32 v8, v72, 16, 1
	s_delay_alu instid0(VALU_DEP_1)
	v_add3_u32 v8, v72, v8, 0x7fff
                                        ; implicit-def: $vgpr65_vgpr66_vgpr67_vgpr68_vgpr69_vgpr70_vgpr71_vgpr72
; %bb.108:
	s_and_not1_saveexec_b32 s4, s4
; %bb.109:
	v_and_b32_e32 v8, 0xffff, v72
	v_or_b32_e32 v9, 0x10000, v72
	s_delay_alu instid0(VALU_DEP_2) | instskip(NEXT) | instid1(VALU_DEP_2)
	v_cmp_eq_u32_e32 vcc_lo, 0, v8
	v_cndmask_b32_e32 v8, v9, v72, vcc_lo
; %bb.110:
	s_or_b32 exec_lo, exec_lo, s4
	s_delay_alu instid0(VALU_DEP_1)
	v_perm_b32 v7, v8, v7, 0x7060302
	v_perm_b32 v6, v6, v5, 0x7060302
	v_perm_b32 v5, v4, v3, 0x7060302
	v_perm_b32 v4, v2, v1, 0x7060302
	s_barrier
	buffer_gl0_inv
	v_cmp_eq_u32_e32 vcc_lo, 1, v78
	ds_store_b128 v76, v[4:7]
	s_waitcnt lgkmcnt(0)
	s_barrier
	buffer_gl0_inv
	ds_load_b128 v[1:4], v82
	ds_load_b128 v[5:8], v82 offset:16
	v_cmp_eq_u32_e64 s4, 1, v79
	v_cmp_eq_u32_e64 s5, 2, v78
	;; [unrolled: 1-line block ×5, first 2 shown]
	s_waitcnt lgkmcnt(1)
	v_lshrrev_b32_e32 v9, 16, v1
	s_waitcnt lgkmcnt(0)
	v_lshrrev_b32_e32 v13, 16, v5
	v_lshrrev_b32_e32 v10, 16, v2
	v_lshrrev_b32_e32 v14, 16, v6
	v_lshrrev_b32_e32 v11, 16, v3
	v_cndmask_b32_e64 v19, v1, v9, s4
	v_cndmask_b32_e32 v18, v5, v13, vcc_lo
	v_cndmask_b32_e64 v20, v5, v13, s4
	v_cndmask_b32_e32 v17, v1, v9, vcc_lo
	v_cmp_eq_u32_e32 vcc_lo, 2, v79
	v_lshrrev_b32_e32 v15, 16, v7
	v_cmp_eq_u32_e64 s4, 1, v77
	v_lshrrev_b32_e32 v12, 16, v4
	v_lshrrev_b32_e32 v16, 16, v8
	v_cndmask_b32_e32 v20, v20, v6, vcc_lo
	v_cndmask_b32_e64 v17, v17, v2, s5
	v_cndmask_b32_e32 v19, v19, v2, vcc_lo
	v_cndmask_b32_e64 v18, v18, v6, s5
	v_cmp_eq_u32_e32 vcc_lo, 4, v78
	v_cmp_eq_u32_e64 s5, 3, v79
	v_cndmask_b32_e64 v17, v17, v10, s6
	v_cndmask_b32_e64 v21, v1, v9, s4
	;; [unrolled: 1-line block ×5, first 2 shown]
	v_cndmask_b32_e32 v17, v17, v3, vcc_lo
	v_cndmask_b32_e64 v20, v20, v14, s5
	v_cndmask_b32_e32 v18, v18, v7, vcc_lo
	v_cmp_eq_u32_e32 vcc_lo, 4, v79
	v_cmp_eq_u32_e64 s5, 5, v79
	v_cmp_eq_u32_e64 s4, 2, v81
	v_cndmask_b32_e64 v21, v21, v2, s8
	v_cmp_eq_u32_e64 s6, 5, v78
	v_cndmask_b32_e32 v19, v19, v3, vcc_lo
	v_cndmask_b32_e32 v20, v20, v7, vcc_lo
	v_cmp_eq_u32_e32 vcc_lo, 6, v79
	s_delay_alu instid0(VALU_DEP_4) | instskip(NEXT) | instid1(VALU_DEP_4)
	v_cndmask_b32_e64 v17, v17, v11, s6
	v_cndmask_b32_e64 v19, v19, v11, s5
	s_delay_alu instid0(VALU_DEP_4) | instskip(SKIP_1) | instid1(VALU_DEP_3)
	v_cndmask_b32_e64 v20, v20, v15, s5
	v_cmp_eq_u32_e64 s5, 1, v81
	v_cndmask_b32_e32 v19, v19, v4, vcc_lo
	v_cndmask_b32_e64 v18, v18, v15, s6
	s_delay_alu instid0(VALU_DEP_3)
	v_cndmask_b32_e64 v1, v1, v9, s5
	v_cndmask_b32_e64 v5, v5, v13, s5
	v_cmp_eq_u32_e64 s5, 3, v77
	v_cndmask_b32_e64 v13, v22, v6, s8
	v_cmp_eq_u32_e64 s8, 3, v81
	v_cndmask_b32_e64 v1, v1, v2, s4
	v_cndmask_b32_e64 v2, v5, v6, s4
	;; [unrolled: 1-line block ×3, first 2 shown]
	v_cmp_eq_u32_e64 s4, 4, v77
	v_cndmask_b32_e64 v6, v13, v14, s5
	v_cndmask_b32_e64 v1, v1, v10, s8
	v_cmp_eq_u32_e64 s5, 4, v81
	v_cndmask_b32_e64 v2, v2, v14, s8
	v_cndmask_b32_e64 v5, v9, v3, s4
	;; [unrolled: 3-line block ×3, first 2 shown]
	v_cndmask_b32_e64 v2, v2, v7, s5
	v_cmp_eq_u32_e64 s4, 5, v81
	v_cmp_eq_u32_e64 s6, 6, v78
	v_cndmask_b32_e64 v5, v5, v11, s8
	v_cmp_eq_u32_e64 s5, 6, v77
	v_cndmask_b32_e64 v3, v6, v15, s8
	v_cndmask_b32_e64 v1, v1, v11, s4
	v_cmp_eq_u32_e64 s8, 6, v81
	v_cndmask_b32_e64 v2, v2, v15, s4
	v_cndmask_b32_e64 v17, v17, v4, s6
	v_cndmask_b32_e64 v18, v18, v8, s6
	v_cmp_eq_u32_e64 s6, 7, v78
	v_cndmask_b32_e64 v5, v5, v4, s5
	;; [unrolled: 4-line block ×3, first 2 shown]
	v_cmp_eq_u32_e64 s5, 7, v77
	v_cndmask_b32_e32 v4, v20, v8, vcc_lo
	v_cndmask_b32_e64 v17, v17, v12, s6
	v_cndmask_b32_e64 v19, v19, v12, s7
	;; [unrolled: 1-line block ×8, first 2 shown]
	v_cmp_gt_u32_e32 vcc_lo, 32, v0
	v_perm_b32 v4, v2, v1, 0x5040100
	v_perm_b32 v3, v3, v5, 0x5040100
	;; [unrolled: 1-line block ×4, first 2 shown]
	s_and_b32 s2, vcc_lo, s2
	ds_store_b128 v76, v[1:4]
	s_waitcnt lgkmcnt(0)
	s_barrier
	buffer_gl0_inv
	s_and_saveexec_b32 s4, s2
	s_cbranch_execz .LBB1696_2
; %bb.111:
	s_load_b64 s[4:5], s[0:1], 0x68
	v_lshlrev_b32_e32 v0, 10, v0
	v_lshlrev_b32_e32 v2, 4, v75
	v_add_nc_u32_e32 v1, s31, v74
	s_lshl_b32 s0, s36, 6
	s_delay_alu instid0(SALU_CYCLE_1) | instskip(NEXT) | instid1(VALU_DEP_2)
	s_mul_i32 s1, s0, s34
	v_and_or_b32 v0, 0x3800, v0, v2
	s_mul_i32 s6, s1, s9
	v_mul_lo_u32 v1, v1, s0
	s_ashr_i32 s7, s6, 31
	s_delay_alu instid0(VALU_DEP_2) | instskip(SKIP_1) | instid1(VALU_DEP_2)
	v_lshl_or_b32 v3, v74, 6, v0
	s_lshl_b64 s[6:7], s[6:7], 1
	v_ashrrev_i32_e32 v2, 31, v1
	ds_load_b128 v[3:6], v3
	s_waitcnt lgkmcnt(0)
	s_add_u32 s1, s4, s6
	s_addc_u32 s2, s5, s7
	s_lshl_b32 s4, s14, 6
	v_lshlrev_b64 v[7:8], 1, v[1:2]
	s_ashr_i32 s5, s4, 31
	s_delay_alu instid0(SALU_CYCLE_1) | instskip(NEXT) | instid1(SALU_CYCLE_1)
	s_lshl_b64 s[4:5], s[4:5], 1
	s_add_u32 s1, s1, s4
	s_addc_u32 s2, s2, s5
	v_add_co_u32 v1, s1, s1, v73
	s_delay_alu instid0(VALU_DEP_1) | instskip(NEXT) | instid1(VALU_DEP_2)
	v_add_co_ci_u32_e64 v2, null, s2, 0, s1
	v_add_co_u32 v7, vcc_lo, v1, v7
	s_delay_alu instid0(VALU_DEP_2)
	v_add_co_ci_u32_e32 v8, vcc_lo, v2, v8, vcc_lo
	global_store_b128 v[7:8], v[3:6], off
	s_and_b32 exec_lo, exec_lo, s3
	s_cbranch_execz .LBB1696_2
; %bb.112:
	ds_load_b128 v[3:6], v0 offset:128
	s_add_i32 s1, s31, 2
	s_delay_alu instid0(SALU_CYCLE_1) | instskip(NEXT) | instid1(SALU_CYCLE_1)
	s_mul_i32 s0, s1, s0
	s_ashr_i32 s1, s0, 31
	s_delay_alu instid0(SALU_CYCLE_1) | instskip(NEXT) | instid1(SALU_CYCLE_1)
	s_lshl_b64 s[0:1], s[0:1], 1
	v_add_co_u32 v0, vcc_lo, v1, s0
	v_add_co_ci_u32_e32 v1, vcc_lo, s1, v2, vcc_lo
	s_waitcnt lgkmcnt(0)
	global_store_b128 v[0:1], v[3:6], off
	s_nop 0
	s_sendmsg sendmsg(MSG_DEALLOC_VGPRS)
	s_endpgm
	.section	.rodata,"a",@progbits
	.p2align	6, 0x0
	.amdhsa_kernel _Z39paged_attention_ll4mi_QKV_mfma16_kernelI14__hip_bfloat16hLN4vllm18Fp8KVCacheDataTypeE1EhLi16ELi64ELi256ELb0ELi3EL8MFMAType0EEvPKT_PKT0_S9_ifPKiSB_SB_iPKfiiiPfSE_PS4_PT2_iSD_SD_
		.amdhsa_group_segment_fixed_size 17472
		.amdhsa_private_segment_fixed_size 0
		.amdhsa_kernarg_size 400
		.amdhsa_user_sgpr_count 13
		.amdhsa_user_sgpr_dispatch_ptr 0
		.amdhsa_user_sgpr_queue_ptr 0
		.amdhsa_user_sgpr_kernarg_segment_ptr 1
		.amdhsa_user_sgpr_dispatch_id 0
		.amdhsa_user_sgpr_private_segment_size 0
		.amdhsa_wavefront_size32 1
		.amdhsa_uses_dynamic_stack 0
		.amdhsa_enable_private_segment 0
		.amdhsa_system_sgpr_workgroup_id_x 1
		.amdhsa_system_sgpr_workgroup_id_y 1
		.amdhsa_system_sgpr_workgroup_id_z 1
		.amdhsa_system_sgpr_workgroup_info 0
		.amdhsa_system_vgpr_workitem_id 0
		.amdhsa_next_free_vgpr 124
		.amdhsa_next_free_sgpr 40
		.amdhsa_reserve_vcc 1
		.amdhsa_float_round_mode_32 0
		.amdhsa_float_round_mode_16_64 0
		.amdhsa_float_denorm_mode_32 3
		.amdhsa_float_denorm_mode_16_64 3
		.amdhsa_dx10_clamp 1
		.amdhsa_ieee_mode 1
		.amdhsa_fp16_overflow 0
		.amdhsa_workgroup_processor_mode 1
		.amdhsa_memory_ordered 1
		.amdhsa_forward_progress 0
		.amdhsa_shared_vgpr_count 0
		.amdhsa_exception_fp_ieee_invalid_op 0
		.amdhsa_exception_fp_denorm_src 0
		.amdhsa_exception_fp_ieee_div_zero 0
		.amdhsa_exception_fp_ieee_overflow 0
		.amdhsa_exception_fp_ieee_underflow 0
		.amdhsa_exception_fp_ieee_inexact 0
		.amdhsa_exception_int_div_zero 0
	.end_amdhsa_kernel
	.section	.text._Z39paged_attention_ll4mi_QKV_mfma16_kernelI14__hip_bfloat16hLN4vllm18Fp8KVCacheDataTypeE1EhLi16ELi64ELi256ELb0ELi3EL8MFMAType0EEvPKT_PKT0_S9_ifPKiSB_SB_iPKfiiiPfSE_PS4_PT2_iSD_SD_,"axG",@progbits,_Z39paged_attention_ll4mi_QKV_mfma16_kernelI14__hip_bfloat16hLN4vllm18Fp8KVCacheDataTypeE1EhLi16ELi64ELi256ELb0ELi3EL8MFMAType0EEvPKT_PKT0_S9_ifPKiSB_SB_iPKfiiiPfSE_PS4_PT2_iSD_SD_,comdat
.Lfunc_end1696:
	.size	_Z39paged_attention_ll4mi_QKV_mfma16_kernelI14__hip_bfloat16hLN4vllm18Fp8KVCacheDataTypeE1EhLi16ELi64ELi256ELb0ELi3EL8MFMAType0EEvPKT_PKT0_S9_ifPKiSB_SB_iPKfiiiPfSE_PS4_PT2_iSD_SD_, .Lfunc_end1696-_Z39paged_attention_ll4mi_QKV_mfma16_kernelI14__hip_bfloat16hLN4vllm18Fp8KVCacheDataTypeE1EhLi16ELi64ELi256ELb0ELi3EL8MFMAType0EEvPKT_PKT0_S9_ifPKiSB_SB_iPKfiiiPfSE_PS4_PT2_iSD_SD_
                                        ; -- End function
	.section	.AMDGPU.csdata,"",@progbits
; Kernel info:
; codeLenInByte = 8700
; NumSgprs: 42
; NumVgprs: 124
; ScratchSize: 0
; MemoryBound: 0
; FloatMode: 240
; IeeeMode: 1
; LDSByteSize: 17472 bytes/workgroup (compile time only)
; SGPRBlocks: 5
; VGPRBlocks: 15
; NumSGPRsForWavesPerEU: 42
; NumVGPRsForWavesPerEU: 124
; Occupancy: 10
; WaveLimiterHint : 1
; COMPUTE_PGM_RSRC2:SCRATCH_EN: 0
; COMPUTE_PGM_RSRC2:USER_SGPR: 13
; COMPUTE_PGM_RSRC2:TRAP_HANDLER: 0
; COMPUTE_PGM_RSRC2:TGID_X_EN: 1
; COMPUTE_PGM_RSRC2:TGID_Y_EN: 1
; COMPUTE_PGM_RSRC2:TGID_Z_EN: 1
; COMPUTE_PGM_RSRC2:TIDIG_COMP_CNT: 0
	.section	.text._Z39paged_attention_ll4mi_QKV_mfma16_kernelI14__hip_bfloat16hLN4vllm18Fp8KVCacheDataTypeE1EhLi16ELi64ELi256ELb0ELi4EL8MFMAType0EEvPKT_PKT0_S9_ifPKiSB_SB_iPKfiiiPfSE_PS4_PT2_iSD_SD_,"axG",@progbits,_Z39paged_attention_ll4mi_QKV_mfma16_kernelI14__hip_bfloat16hLN4vllm18Fp8KVCacheDataTypeE1EhLi16ELi64ELi256ELb0ELi4EL8MFMAType0EEvPKT_PKT0_S9_ifPKiSB_SB_iPKfiiiPfSE_PS4_PT2_iSD_SD_,comdat
	.protected	_Z39paged_attention_ll4mi_QKV_mfma16_kernelI14__hip_bfloat16hLN4vllm18Fp8KVCacheDataTypeE1EhLi16ELi64ELi256ELb0ELi4EL8MFMAType0EEvPKT_PKT0_S9_ifPKiSB_SB_iPKfiiiPfSE_PS4_PT2_iSD_SD_ ; -- Begin function _Z39paged_attention_ll4mi_QKV_mfma16_kernelI14__hip_bfloat16hLN4vllm18Fp8KVCacheDataTypeE1EhLi16ELi64ELi256ELb0ELi4EL8MFMAType0EEvPKT_PKT0_S9_ifPKiSB_SB_iPKfiiiPfSE_PS4_PT2_iSD_SD_
	.globl	_Z39paged_attention_ll4mi_QKV_mfma16_kernelI14__hip_bfloat16hLN4vllm18Fp8KVCacheDataTypeE1EhLi16ELi64ELi256ELb0ELi4EL8MFMAType0EEvPKT_PKT0_S9_ifPKiSB_SB_iPKfiiiPfSE_PS4_PT2_iSD_SD_
	.p2align	8
	.type	_Z39paged_attention_ll4mi_QKV_mfma16_kernelI14__hip_bfloat16hLN4vllm18Fp8KVCacheDataTypeE1EhLi16ELi64ELi256ELb0ELi4EL8MFMAType0EEvPKT_PKT0_S9_ifPKiSB_SB_iPKfiiiPfSE_PS4_PT2_iSD_SD_,@function
_Z39paged_attention_ll4mi_QKV_mfma16_kernelI14__hip_bfloat16hLN4vllm18Fp8KVCacheDataTypeE1EhLi16ELi64ELi256ELb0ELi4EL8MFMAType0EEvPKT_PKT0_S9_ifPKiSB_SB_iPKfiiiPfSE_PS4_PT2_iSD_SD_: ; @_Z39paged_attention_ll4mi_QKV_mfma16_kernelI14__hip_bfloat16hLN4vllm18Fp8KVCacheDataTypeE1EhLi16ELi64ELi256ELb0ELi4EL8MFMAType0EEvPKT_PKT0_S9_ifPKiSB_SB_iPKfiiiPfSE_PS4_PT2_iSD_SD_
; %bb.0:
	s_load_b64 s[2:3], s[0:1], 0x30
	s_mov_b32 s30, s13
	s_waitcnt lgkmcnt(0)
	s_cmp_lg_u64 s[2:3], 0
	s_cselect_b32 s8, -1, 0
	s_ashr_i32 s31, s13, 31
	s_cmp_eq_u64 s[2:3], 0
	s_cbranch_scc1 .LBB1697_3
; %bb.1:
	s_lshl_b64 s[4:5], s[30:31], 2
	s_delay_alu instid0(SALU_CYCLE_1) | instskip(SKIP_4) | instid1(SALU_CYCLE_1)
	s_add_u32 s4, s2, s4
	s_addc_u32 s5, s3, s5
	s_load_b64 s[4:5], s[4:5], 0x0
	s_waitcnt lgkmcnt(0)
	s_sub_i32 s4, s5, s4
	s_cmp_eq_u32 s4, 1
	s_cselect_b32 s4, -1, 0
	s_delay_alu instid0(SALU_CYCLE_1)
	s_and_not1_b32 vcc_lo, exec_lo, s4
	s_cbranch_vccz .LBB1697_4
.LBB1697_2:
	s_endpgm
.LBB1697_3:
.LBB1697_4:
	s_load_b64 s[4:5], s[0:1], 0x28
	s_lshl_b64 s[6:7], s[30:31], 2
	s_waitcnt lgkmcnt(0)
	s_add_u32 s4, s4, s6
	s_addc_u32 s5, s5, s7
	s_lshl_b32 s12, s14, 8
	s_load_b32 s24, s[4:5], 0x0
	s_waitcnt lgkmcnt(0)
	s_cmp_ge_i32 s12, s24
	s_cbranch_scc1 .LBB1697_2
; %bb.5:
	s_clause 0x1
	s_load_b128 s[20:23], s[0:1], 0x8
	s_load_b64 s[4:5], s[0:1], 0x20
	s_and_not1_b32 vcc_lo, exec_lo, s8
	s_cbranch_vccnz .LBB1697_7
; %bb.6:
	s_add_u32 s2, s2, s6
	s_addc_u32 s3, s3, s7
	s_load_b32 s3, s[2:3], 0x0
	s_branch .LBB1697_8
.LBB1697_7:
	s_mov_b32 s3, s30
.LBB1697_8:
	s_load_b128 s[16:19], s[0:1], 0x48
	v_and_b32_e32 v66, 15, v0
	v_cmp_gt_u32_e32 vcc_lo, 64, v0
	v_lshrrev_b32_e32 v65, 5, v0
	v_and_b32_e32 v67, 31, v0
	v_and_b32_e32 v74, 1, v0
	v_lshlrev_b32_e32 v1, 3, v66
	v_cmp_gt_u32_e64 s2, 8, v66
	v_bfe_u32 v75, v0, 4, 1
	s_lshl_b32 s31, s15, 2
	s_delay_alu instid0(VALU_DEP_3) | instskip(NEXT) | instid1(VALU_DEP_3)
	v_lshlrev_b32_e32 v73, 1, v1
	s_and_b32 s7, vcc_lo, s2
	s_delay_alu instid0(SALU_CYCLE_1)
	s_and_saveexec_b32 s6, s7
	s_cbranch_execz .LBB1697_10
; %bb.9:
	v_lshl_or_b32 v5, v65, 1, v75
	s_load_b64 s[8:9], s[0:1], 0x0
	s_waitcnt lgkmcnt(0)
	s_mul_hi_i32 s11, s3, s16
	s_mul_i32 s10, s3, s16
	v_lshlrev_b32_e32 v6, 10, v66
	v_or_b32_e32 v1, s31, v5
	s_lshl_b64 s[10:11], s[10:11], 1
	v_lshlrev_b32_e32 v5, 6, v5
	v_lshlrev_b32_e32 v7, 10, v74
	v_and_b32_e32 v6, 0x3800, v6
	v_lshlrev_b32_e32 v1, 6, v1
	s_delay_alu instid0(VALU_DEP_2) | instskip(NEXT) | instid1(VALU_DEP_2)
	v_or3_b32 v5, v6, v7, v5
	v_ashrrev_i32_e32 v2, 31, v1
	s_delay_alu instid0(VALU_DEP_1) | instskip(SKIP_2) | instid1(VALU_DEP_1)
	v_lshlrev_b64 v[1:2], 1, v[1:2]
	s_add_u32 s3, s8, s10
	s_addc_u32 s7, s9, s11
	v_add_co_u32 v1, vcc_lo, s3, v1
	s_delay_alu instid0(VALU_DEP_2) | instskip(NEXT) | instid1(VALU_DEP_2)
	v_add_co_ci_u32_e32 v2, vcc_lo, s7, v2, vcc_lo
	v_add_co_u32 v1, vcc_lo, v1, v73
	s_delay_alu instid0(VALU_DEP_2)
	v_add_co_ci_u32_e32 v2, vcc_lo, 0, v2, vcc_lo
	global_load_b128 v[1:4], v[1:2], off
	s_waitcnt vmcnt(0)
	ds_store_b128 v5, v[1:4]
.LBB1697_10:
	s_or_b32 exec_lo, exec_lo, s6
	v_and_b32_e32 v1, 0xef, v0
	s_waitcnt lgkmcnt(0)
	s_add_i32 s3, s24, 15
	s_clause 0x1
	s_load_b32 s6, s[0:1], 0x38
	s_load_b32 s19, s[0:1], 0x1c
	s_ashr_i32 s7, s3, 31
	v_add_nc_u32_e32 v1, s12, v1
	s_lshr_b32 s7, s7, 28
	s_waitcnt lgkmcnt(0)
	s_add_i32 s3, s3, s7
	s_barrier
	v_ashrrev_i32_e32 v2, 31, v1
	v_or_b32_e32 v3, 16, v1
	s_ashr_i32 s3, s3, 4
	v_cmp_gt_i32_e32 vcc_lo, s24, v1
	s_add_i32 s3, s3, -1
	v_lshrrev_b32_e32 v2, 28, v2
	buffer_gl0_inv
	s_mul_i32 s27, s15, s18
	v_add_nc_u32_e32 v4, v1, v2
	s_mul_i32 s6, s30, s6
	s_delay_alu instid0(SALU_CYCLE_1) | instskip(NEXT) | instid1(VALU_DEP_1)
	s_ashr_i32 s7, s6, 31
	v_ashrrev_i32_e32 v4, 4, v4
	v_add_nc_u32_e32 v2, v3, v2
	s_lshl_b64 s[6:7], s[6:7], 2
	s_delay_alu instid0(SALU_CYCLE_1) | instskip(NEXT) | instid1(VALU_DEP_2)
	s_add_u32 s26, s4, s6
	v_cndmask_b32_e32 v1, s3, v4, vcc_lo
	s_delay_alu instid0(VALU_DEP_2)
	v_ashrrev_i32_e32 v2, 4, v2
	v_cmp_gt_i32_e32 vcc_lo, s24, v3
	s_addc_u32 s25, s5, s7
	s_ashr_i32 s28, s27, 31
	s_add_u32 s13, s20, s27
	s_addc_u32 s15, s21, s28
	v_cndmask_b32_e32 v3, s3, v2, vcc_lo
	v_ashrrev_i32_e32 v2, 31, v1
	s_lshl_b32 s4, s14, 4
	s_delay_alu instid0(SALU_CYCLE_1) | instskip(NEXT) | instid1(VALU_DEP_2)
	s_ashr_i32 s5, s4, 31
	v_ashrrev_i32_e32 v4, 31, v3
	s_delay_alu instid0(VALU_DEP_2) | instskip(SKIP_1) | instid1(SALU_CYCLE_1)
	v_lshlrev_b64 v[1:2], 2, v[1:2]
	s_lshl_b64 s[4:5], s[4:5], 2
	s_add_u32 s4, s26, s4
	s_delay_alu instid0(VALU_DEP_2) | instskip(SKIP_1) | instid1(VALU_DEP_2)
	v_lshlrev_b64 v[3:4], 2, v[3:4]
	s_addc_u32 s5, s25, s5
	v_add_co_u32 v1, vcc_lo, s26, v1
	v_add_co_ci_u32_e32 v2, vcc_lo, s25, v2, vcc_lo
	s_delay_alu instid0(VALU_DEP_3) | instskip(NEXT) | instid1(VALU_DEP_4)
	v_add_co_u32 v3, vcc_lo, s26, v3
	v_add_co_ci_u32_e32 v4, vcc_lo, s25, v4, vcc_lo
	s_clause 0x1
	global_load_b32 v5, v[1:2], off
	global_load_b32 v7, v[3:4], off
	s_or_b32 s6, s12, 32
	v_lshlrev_b32_e32 v1, 4, v0
	s_ashr_i32 s7, s6, 4
	s_cmp_lt_i32 s6, s24
	s_cselect_b32 s6, s7, s3
	s_delay_alu instid0(VALU_DEP_1) | instskip(SKIP_1) | instid1(SALU_CYCLE_1)
	v_and_b32_e32 v1, 0xf0, v1
	s_ashr_i32 s7, s6, 31
	s_lshl_b64 s[6:7], s[6:7], 2
	s_delay_alu instid0(SALU_CYCLE_1)
	s_add_u32 s6, s26, s6
	s_addc_u32 s7, s25, s7
	s_or_b32 s8, s12, 64
	v_add_co_u32 v1, s13, s13, v1
	s_ashr_i32 s9, s8, 4
	s_cmp_lt_i32 s8, s24
	v_add_co_ci_u32_e64 v2, null, s15, 0, s13
	s_cselect_b32 s8, s9, s3
	s_delay_alu instid0(SALU_CYCLE_1) | instskip(NEXT) | instid1(SALU_CYCLE_1)
	s_ashr_i32 s9, s8, 31
	s_lshl_b64 s[8:9], s[8:9], 2
	s_delay_alu instid0(SALU_CYCLE_1) | instskip(SKIP_2) | instid1(SALU_CYCLE_1)
	s_add_u32 s8, s26, s8
	s_addc_u32 s9, s25, s9
	s_or_b32 s10, s12, 0x60
	s_ashr_i32 s11, s10, 4
	s_cmp_lt_i32 s10, s24
	s_cselect_b32 s10, s11, s3
	s_delay_alu instid0(SALU_CYCLE_1) | instskip(NEXT) | instid1(SALU_CYCLE_1)
	s_ashr_i32 s11, s10, 31
	s_lshl_b64 s[10:11], s[10:11], 2
	s_delay_alu instid0(SALU_CYCLE_1) | instskip(SKIP_2) | instid1(SALU_CYCLE_1)
	s_add_u32 s10, s26, s10
	s_addc_u32 s11, s25, s11
	s_or_b32 s16, s12, 0x80
	s_ashr_i32 s18, s16, 4
	s_cmp_lt_i32 s16, s24
	s_cselect_b32 s20, s18, s3
	s_delay_alu instid0(SALU_CYCLE_1) | instskip(NEXT) | instid1(SALU_CYCLE_1)
	s_ashr_i32 s21, s20, 31
	s_lshl_b64 s[20:21], s[20:21], 2
	s_delay_alu instid0(SALU_CYCLE_1) | instskip(SKIP_2) | instid1(SALU_CYCLE_1)
	s_add_u32 s34, s26, s20
	s_addc_u32 s35, s25, s21
	s_or_b32 s16, s12, 0xa0
	s_ashr_i32 s18, s16, 4
	s_cmp_lt_i32 s16, s24
	s_cselect_b32 s20, s18, s3
	s_delay_alu instid0(SALU_CYCLE_1) | instskip(NEXT) | instid1(SALU_CYCLE_1)
	s_ashr_i32 s21, s20, 31
	s_lshl_b64 s[20:21], s[20:21], 2
	s_delay_alu instid0(SALU_CYCLE_1)
	s_add_u32 s36, s26, s20
	s_addc_u32 s37, s25, s21
	s_clause 0x5
	s_load_b32 s21, s[4:5], 0x0
	s_load_b32 s13, s[6:7], 0x0
	;; [unrolled: 1-line block ×6, first 2 shown]
	s_or_b32 s7, s12, 0xc0
	s_mov_b32 s4, 0
	s_ashr_i32 s8, s7, 4
	s_cmp_lt_i32 s7, s24
	s_mov_b32 s5, s4
	s_cselect_b32 s10, s8, s3
	s_mov_b32 s6, s4
	s_ashr_i32 s11, s10, 31
	s_mov_b32 s7, s4
	s_lshl_b64 s[34:35], s[10:11], 2
	s_mov_b32 s11, s4
	s_add_u32 s34, s26, s34
	s_addc_u32 s35, s25, s35
	s_or_b32 s29, s12, 0xe0
	s_mov_b32 s8, s4
	s_ashr_i32 s33, s29, 4
	s_mov_b32 s9, s4
	s_mov_b32 s10, s4
	s_cmp_lt_i32 s29, s24
	v_dual_mov_b32 v107, s11 :: v_dual_mov_b32 v100, s4
	v_mov_b32_e32 v106, s10
	v_dual_mov_b32 v104, s8 :: v_dual_mov_b32 v103, s7
	v_dual_mov_b32 v102, s6 :: v_dual_mov_b32 v101, s5
	v_mov_b32_e32 v105, s9
	s_cselect_b32 s4, s33, s3
	s_delay_alu instid0(SALU_CYCLE_1) | instskip(NEXT) | instid1(SALU_CYCLE_1)
	s_ashr_i32 s5, s4, 31
	s_lshl_b64 s[4:5], s[4:5], 2
	s_delay_alu instid0(SALU_CYCLE_1)
	s_add_u32 s4, s26, s4
	s_addc_u32 s5, s25, s5
	s_add_u32 s6, s22, s27
	s_addc_u32 s7, s23, s28
	s_waitcnt vmcnt(1)
	v_mad_i64_i32 v[3:4], null, v5, s17, v[1:2]
	s_waitcnt vmcnt(0)
	v_mad_i64_i32 v[5:6], null, v7, s17, v[1:2]
	s_clause 0x7
	global_load_b128 v[49:52], v[3:4], off
	global_load_b128 v[53:56], v[3:4], off offset:256
	global_load_b128 v[76:79], v[5:6], off
	global_load_b128 v[80:83], v[5:6], off offset:256
	global_load_b128 v[84:87], v[3:4], off offset:512
	;; [unrolled: 1-line block ×5, first 2 shown]
	v_and_b32_e32 v1, 3, v0
	v_lshlrev_b32_e32 v2, 4, v66
	s_load_b32 s3, s[34:35], 0x0
	s_delay_alu instid0(VALU_DEP_2) | instskip(NEXT) | instid1(VALU_DEP_2)
	v_lshlrev_b32_e32 v70, 6, v1
	v_lshl_or_b32 v1, v65, 8, v2
	ds_load_b128 v[108:111], v70
	ds_load_b128 v[112:115], v70 offset:1024
	s_load_b32 s4, s[4:5], 0x0
	v_add_co_u32 v9, s6, s6, v1
	s_delay_alu instid0(VALU_DEP_1) | instskip(SKIP_1) | instid1(VALU_DEP_1)
	v_add_co_ci_u32_e64 v10, null, s7, 0, s6
	s_waitcnt lgkmcnt(0)
	v_mad_i64_i32 v[1:2], null, s21, s17, v[9:10]
	v_mad_i64_i32 v[3:4], null, s13, s17, v[9:10]
	;; [unrolled: 1-line block ×7, first 2 shown]
	s_clause 0x9
	global_load_b128 v[57:60], v[1:2], off
	global_load_b128 v[61:64], v[1:2], off offset:16
	global_load_b128 v[41:44], v[3:4], off
	global_load_b128 v[45:48], v[3:4], off offset:16
	;; [unrolled: 2-line block ×5, first 2 shown]
	v_mad_i64_i32 v[68:69], null, s4, s17, v[9:10]
	s_clause 0x3
	global_load_b128 v[9:12], v[13:14], off
	global_load_b128 v[13:16], v[13:14], off offset:16
	global_load_b128 v[17:20], v[21:22], off
	global_load_b128 v[21:24], v[21:22], off offset:16
	s_waitcnt vmcnt(20)
	v_wmma_f32_16x16x16_bf16 v[116:123], v[49:56], v[108:115], v[100:107]
	s_clause 0x1
	global_load_b128 v[49:52], v[68:69], off
	global_load_b128 v[53:56], v[68:69], off offset:16
	v_and_b32_e32 v68, 0xe0, v0
	v_mbcnt_lo_u32_b32 v69, -1, 0
	s_delay_alu instid0(VALU_DEP_2)
	v_add_nc_u32_e32 v68, s12, v68
	s_waitcnt vmcnt(20)
	v_wmma_f32_16x16x16_bf16 v[100:107], v[76:83], v[108:115], v[100:107]
	ds_load_b128 v[76:79], v70 offset:2048
	ds_load_b128 v[80:83], v70 offset:3072
	v_xor_b32_e32 v70, 16, v69
	s_waitcnt vmcnt(0) lgkmcnt(0)
	v_or_b32_e32 v68, v68, v75
	s_barrier
	buffer_gl0_inv
	v_cmp_gt_i32_e32 vcc_lo, 32, v70
	v_or_b32_e32 v71, 4, v68
	v_or_b32_e32 v72, 6, v68
	v_cmp_gt_i32_e64 s3, s24, v68
	v_or_b32_e32 v108, 8, v68
	v_or_b32_e32 v109, 10, v68
	v_cmp_gt_i32_e64 s4, s24, v71
	v_cmp_gt_i32_e64 s5, s24, v72
	s_delay_alu instid0(VALU_DEP_4) | instskip(NEXT) | instid1(VALU_DEP_4)
	v_cmp_gt_i32_e64 s6, s24, v108
	v_cmp_gt_i32_e64 s7, s24, v109
	v_wmma_f32_16x16x16_bf16 v[116:123], v[84:91], v[76:83], v[116:123]
	v_cndmask_b32_e32 v69, v69, v70, vcc_lo
	v_or_b32_e32 v70, 2, v68
	v_wmma_f32_16x16x16_bf16 v[100:107], v[92:99], v[76:83], v[100:107]
	v_or_b32_e32 v89, 22, v68
	v_dual_mul_f32 v80, s19, v121 :: v_dual_mul_f32 v81, s19, v120
	v_dual_mul_f32 v92, s19, v117 :: v_dual_mul_f32 v93, s19, v116
	s_delay_alu instid0(VALU_DEP_4)
	v_mul_f32_e32 v96, s19, v105
	v_cmp_gt_i32_e32 vcc_lo, s24, v70
	v_dual_mul_f32 v79, s19, v122 :: v_dual_mul_f32 v82, s19, v119
	v_dual_mul_f32 v83, s19, v118 :: v_dual_mul_f32 v94, s19, v107
	v_cndmask_b32_e64 v93, 0xff7fffff, v93, s3
	v_cndmask_b32_e32 v92, 0xff7fffff, v92, vcc_lo
	v_or_b32_e32 v84, 12, v68
	v_or_b32_e32 v85, 14, v68
	v_cndmask_b32_e64 v71, 0xff7fffff, v83, s4
	v_cndmask_b32_e64 v72, 0xff7fffff, v82, s5
	v_cmp_gt_i32_e64 s13, s24, v89
	v_lshlrev_b32_e32 v89, 2, v69
	v_max3_f32 v82, v93, 0xff7fffff, v92
	v_or_b32_e32 v86, 16, v68
	v_or_b32_e32 v87, 18, v68
	v_mul_f32_e32 v78, s19, v123
	v_cndmask_b32_e64 v81, 0xff7fffff, v81, s6
	v_cndmask_b32_e64 v80, 0xff7fffff, v80, s7
	v_max3_f32 v71, v82, v71, v72
	v_cmp_gt_i32_e64 s8, s24, v84
	v_cmp_gt_i32_e64 s9, s24, v85
	v_or_b32_e32 v88, 20, v68
	v_or_b32_e32 v90, 24, v68
	;; [unrolled: 1-line block ×5, first 2 shown]
	v_dual_mul_f32 v97, s19, v104 :: v_dual_mul_f32 v70, s19, v101
	v_dual_mul_f32 v99, s19, v102 :: v_dual_mul_f32 v68, s19, v100
	v_cndmask_b32_e64 v72, 0xff7fffff, v79, s8
	v_cndmask_b32_e64 v78, 0xff7fffff, v78, s9
	v_max3_f32 v71, v71, v81, v80
	v_cmp_gt_i32_e64 s10, s24, v86
	v_cmp_gt_i32_e64 s11, s24, v87
	v_dual_mul_f32 v95, s19, v106 :: v_dual_mul_f32 v98, s19, v103
	s_delay_alu instid0(VALU_DEP_4) | instskip(NEXT) | instid1(VALU_DEP_4)
	v_max3_f32 v71, v71, v72, v78
	v_cndmask_b32_e64 v68, 0xff7fffff, v68, s10
	s_delay_alu instid0(VALU_DEP_4)
	v_cndmask_b32_e64 v70, 0xff7fffff, v70, s11
	v_cmp_gt_i32_e64 s12, s24, v88
	v_cndmask_b32_e64 v78, 0xff7fffff, v98, s13
	v_cmp_gt_i32_e64 s15, s24, v90
	v_cmp_gt_i32_e64 s16, s24, v91
	v_max3_f32 v68, v71, v68, v70
	v_cndmask_b32_e64 v72, 0xff7fffff, v99, s12
	v_cmp_gt_i32_e64 s17, s24, v76
	v_cndmask_b32_e64 v70, 0xff7fffff, v97, s15
	v_cndmask_b32_e64 v71, 0xff7fffff, v96, s16
	v_cmp_gt_i32_e64 s18, s24, v77
	v_max3_f32 v68, v68, v72, v78
	v_cndmask_b32_e64 v72, 0xff7fffff, v95, s17
	s_delay_alu instid0(VALU_DEP_3) | instskip(NEXT) | instid1(VALU_DEP_3)
	v_cndmask_b32_e64 v76, 0xff7fffff, v94, s18
	v_max3_f32 v68, v68, v70, v71
	s_delay_alu instid0(VALU_DEP_1) | instskip(SKIP_3) | instid1(VALU_DEP_1)
	v_max3_f32 v68, v68, v72, v76
	ds_bpermute_b32 v69, v89, v68
	s_waitcnt lgkmcnt(0)
	v_max_f32_e32 v69, v69, v69
	v_max_f32_e32 v68, v68, v69
	s_delay_alu instid0(VALU_DEP_1) | instskip(NEXT) | instid1(VALU_DEP_1)
	v_fma_f32 v71, s19, v118, -v68
	v_mul_f32_e32 v71, 0x3fb8aa3b, v71
	v_fma_f32 v70, s19, v117, -v68
	v_fma_f32 v69, s19, v116, -v68
	;; [unrolled: 1-line block ×5, first 2 shown]
	s_delay_alu instid0(VALU_DEP_4) | instskip(SKIP_1) | instid1(VALU_DEP_3)
	v_dual_mul_f32 v70, 0x3fb8aa3b, v70 :: v_dual_mul_f32 v69, 0x3fb8aa3b, v69
	v_exp_f32_e32 v71, v71
	v_mul_f32_e32 v72, 0x3fb8aa3b, v72
	v_fma_f32 v81, s19, v105, -v68
	s_delay_alu instid0(VALU_DEP_3)
	v_exp_f32_e32 v70, v70
	v_mul_f32_e32 v77, 0x3fb8aa3b, v76
	v_exp_f32_e32 v69, v69
	v_exp_f32_e32 v72, v72
	v_mul_f32_e32 v81, 0x3fb8aa3b, v81
	v_cndmask_b32_e64 v83, 0, v71, s4
	v_fma_f32 v71, s19, v123, -v68
	s_delay_alu instid0(VALU_DEP_3) | instskip(SKIP_4) | instid1(TRANS32_DEP_3)
	v_exp_f32_e32 v81, v81
	v_cndmask_b32_e32 v76, 0, v70, vcc_lo
	v_exp_f32_e32 v77, v77
	v_cndmask_b32_e64 v80, 0, v69, s3
	v_fma_f32 v69, s19, v121, -v68
	v_cndmask_b32_e64 v85, 0, v72, s5
	v_mul_f32_e32 v71, 0x3fb8aa3b, v71
	v_fma_f32 v72, s19, v100, -v68
	s_delay_alu instid0(VALU_DEP_4) | instskip(SKIP_1) | instid1(VALU_DEP_3)
	v_dual_add_f32 v70, 0, v80 :: v_dual_mul_f32 v69, 0x3fb8aa3b, v69
	s_mov_b32 s3, exec_lo
	v_exp_f32_e32 v71, v71
	s_delay_alu instid0(TRANS32_DEP_2) | instskip(SKIP_4) | instid1(VALU_DEP_3)
	v_cndmask_b32_e64 v86, 0, v77, s6
	v_fma_f32 v77, s19, v101, -v68
	v_mul_f32_e32 v78, 0x3fb8aa3b, v78
	v_add_f32_e32 v70, v70, v76
	v_exp_f32_e32 v69, v69
	v_mul_f32_e32 v77, 0x3fb8aa3b, v77
	s_delay_alu instid0(VALU_DEP_3) | instskip(NEXT) | instid1(TRANS32_DEP_3)
	v_exp_f32_e32 v78, v78
	v_cndmask_b32_e64 v88, 0, v71, s9
	v_fma_f32 v71, s19, v104, -v68
	s_delay_alu instid0(VALU_DEP_3) | instskip(NEXT) | instid1(TRANS32_DEP_3)
	v_exp_f32_e32 v77, v77
	v_cndmask_b32_e64 v87, 0, v69, s7
	s_delay_alu instid0(VALU_DEP_2)
	v_mul_f32_e32 v71, 0x3fb8aa3b, v71
	s_waitcnt_depctr 0xfff
	v_cndmask_b32_e64 v84, 0, v78, s8
	v_add_f32_e32 v70, v70, v83
	v_fma_f32 v78, s19, v103, -v68
	v_exp_f32_e32 v82, v71
	s_delay_alu instid0(VALU_DEP_2) | instskip(SKIP_1) | instid1(VALU_DEP_3)
	v_add_f32_e32 v70, v70, v85
	v_mul_f32_e32 v72, 0x3fb8aa3b, v72
	v_mul_f32_e32 v78, 0x3fb8aa3b, v78
	s_delay_alu instid0(VALU_DEP_3) | instskip(SKIP_1) | instid1(VALU_DEP_4)
	v_add_f32_e32 v69, v70, v86
	v_fma_f32 v70, s19, v102, -v68
	v_exp_f32_e32 v72, v72
	s_delay_alu instid0(VALU_DEP_3) | instskip(NEXT) | instid1(VALU_DEP_1)
	v_exp_f32_e32 v78, v78
	v_dual_add_f32 v69, v69, v87 :: v_dual_mul_f32 v70, 0x3fb8aa3b, v70
	s_delay_alu instid0(VALU_DEP_1) | instskip(NEXT) | instid1(VALU_DEP_2)
	v_add_f32_e32 v69, v69, v84
	v_exp_f32_e32 v79, v70
	s_delay_alu instid0(TRANS32_DEP_3) | instskip(NEXT) | instid1(VALU_DEP_2)
	v_cndmask_b32_e64 v70, 0, v72, s10
	v_add_f32_e32 v72, v69, v88
	v_cndmask_b32_e64 v69, 0, v77, s11
	v_fma_f32 v77, s19, v106, -v68
	s_waitcnt_depctr 0xfff
	v_cndmask_b32_e64 v71, 0, v79, s12
	v_dual_mul_f32 v77, 0x3fb8aa3b, v77 :: v_dual_add_f32 v72, v72, v70
	s_delay_alu instid0(VALU_DEP_1) | instskip(NEXT) | instid1(VALU_DEP_1)
	v_exp_f32_e32 v90, v77
	v_add_f32_e32 v79, v72, v69
	v_cndmask_b32_e64 v72, 0, v78, s13
	v_cndmask_b32_e64 v77, 0, v82, s15
	s_delay_alu instid0(VALU_DEP_3) | instskip(SKIP_1) | instid1(VALU_DEP_1)
	v_add_f32_e32 v78, v79, v71
	v_fma_f32 v79, s19, v107, -v68
	v_dual_add_f32 v82, v78, v72 :: v_dual_mul_f32 v79, 0x3fb8aa3b, v79
	v_cndmask_b32_e64 v78, 0, v81, s16
	s_delay_alu instid0(VALU_DEP_2) | instskip(NEXT) | instid1(VALU_DEP_3)
	v_add_f32_e32 v81, v82, v77
	v_exp_f32_e32 v82, v79
	v_cndmask_b32_e64 v79, 0, v90, s17
	s_delay_alu instid0(VALU_DEP_2) | instskip(NEXT) | instid1(VALU_DEP_1)
	v_add_f32_e32 v81, v81, v78
	v_add_f32_e32 v90, v81, v79
	s_waitcnt_depctr 0xfff
	v_cndmask_b32_e64 v81, 0, v82, s18
	s_delay_alu instid0(VALU_DEP_1)
	v_add_f32_e32 v82, v90, v81
	ds_bpermute_b32 v89, v89, v82
	v_cmpx_gt_u32_e32 16, v67
	s_cbranch_execz .LBB1697_12
; %bb.11:
	v_mul_u32_u24_e32 v67, 0x44, v65
	s_delay_alu instid0(VALU_DEP_1) | instskip(SKIP_1) | instid1(VALU_DEP_1)
	v_lshl_add_u32 v67, v66, 2, v67
	s_waitcnt lgkmcnt(0)
	v_dual_add_f32 v82, v82, v89 :: v_dual_add_nc_u32 v67, 0x4000, v67
	ds_store_2addr_b32 v67, v68, v82 offset1:136
.LBB1697_12:
	s_or_b32 exec_lo, exec_lo, s3
	v_lshlrev_b32_e32 v67, 2, v66
	s_waitcnt lgkmcnt(0)
	s_barrier
	buffer_gl0_inv
	v_cmp_eq_u32_e32 vcc_lo, 1, v65
	v_add_nc_u32_e32 v82, 0x4000, v67
	v_cmp_eq_u32_e64 s3, 2, v65
	v_cmp_eq_u32_e64 s5, 7, v65
	ds_load_2addr_b32 v[89:90], v82 offset1:17
	ds_load_2addr_b32 v[91:92], v82 offset0:34 offset1:51
	ds_load_2addr_b32 v[93:94], v82 offset0:68 offset1:85
	;; [unrolled: 1-line block ×4, first 2 shown]
	s_waitcnt lgkmcnt(4)
	v_max3_f32 v67, v89, 0xff7fffff, v90
	s_waitcnt lgkmcnt(3)
	s_delay_alu instid0(VALU_DEP_1) | instskip(SKIP_1) | instid1(VALU_DEP_1)
	v_max3_f32 v67, v67, v91, v92
	s_waitcnt lgkmcnt(2)
	v_max3_f32 v67, v67, v93, v94
	s_waitcnt lgkmcnt(1)
	s_delay_alu instid0(VALU_DEP_1) | instskip(NEXT) | instid1(VALU_DEP_1)
	v_max3_f32 v67, v67, v95, v96
	v_sub_f32_e32 v93, v93, v67
	s_delay_alu instid0(VALU_DEP_1) | instskip(NEXT) | instid1(VALU_DEP_1)
	v_dual_sub_f32 v68, v89, v67 :: v_dual_mul_f32 v103, 0x3fb8aa3b, v93
	v_mul_f32_e32 v68, 0x3fb8aa3b, v68
	s_delay_alu instid0(VALU_DEP_1)
	v_exp_f32_e32 v100, v68
	v_sub_f32_e32 v68, v92, v67
	v_sub_f32_e32 v99, v90, v67
	ds_load_2addr_b32 v[89:90], v82 offset0:170 offset1:187
	v_dual_mul_f32 v102, 0x3fb8aa3b, v68 :: v_dual_mul_f32 v99, 0x3fb8aa3b, v99
	s_waitcnt lgkmcnt(1)
	v_fma_f32 v68, v100, v97, 0
	s_delay_alu instid0(VALU_DEP_2) | instskip(NEXT) | instid1(VALU_DEP_2)
	v_exp_f32_e32 v102, v102
	v_exp_f32_e32 v99, v99
	s_waitcnt_depctr 0xfff
	v_fmac_f32_e32 v68, v99, v98
	v_sub_f32_e32 v91, v91, v67
	s_delay_alu instid0(VALU_DEP_1)
	v_mul_f32_e32 v101, 0x3fb8aa3b, v91
	ds_load_2addr_b32 v[91:92], v82 offset0:204 offset1:221
	v_sub_f32_e32 v97, v94, v67
	ds_load_2addr_b32 v[93:94], v82 offset0:238 offset1:255
	s_waitcnt lgkmcnt(0)
	v_exp_f32_e32 v101, v101
	s_barrier
	buffer_gl0_inv
	v_dual_fmac_f32 v68, v101, v89 :: v_dual_sub_f32 v89, v96, v67
	v_dual_sub_f32 v82, v95, v67 :: v_dual_mul_f32 v95, 0x3fb8aa3b, v97
	v_exp_f32_e32 v97, v103
	s_delay_alu instid0(VALU_DEP_2) | instskip(NEXT) | instid1(VALU_DEP_2)
	v_dual_fmac_f32 v68, v102, v90 :: v_dual_mul_f32 v89, 0x3fb8aa3b, v89
	v_mul_f32_e32 v82, 0x3fb8aa3b, v82
	s_delay_alu instid0(VALU_DEP_3) | instskip(NEXT) | instid1(VALU_DEP_2)
	v_exp_f32_e32 v95, v95
	v_exp_f32_e32 v89, v89
	s_delay_alu instid0(VALU_DEP_1)
	v_exp_f32_e32 v82, v82
	v_fmac_f32_e32 v68, v97, v91
	s_delay_alu instid0(TRANS32_DEP_3) | instid1(VALU_DEP_1)
	v_fmac_f32_e32 v68, v95, v92
	s_waitcnt_depctr 0xfff
	v_fmac_f32_e32 v68, v82, v93
	s_delay_alu instid0(VALU_DEP_1) | instskip(NEXT) | instid1(VALU_DEP_1)
	v_fmac_f32_e32 v68, v89, v94
	v_add_f32_e32 v90, 0x358637bd, v68
	s_delay_alu instid0(VALU_DEP_1) | instskip(NEXT) | instid1(VALU_DEP_1)
	v_div_scale_f32 v91, null, v90, v90, 1.0
	v_rcp_f32_e32 v92, v91
	s_waitcnt_depctr 0xfff
	v_fma_f32 v93, -v91, v92, 1.0
	s_delay_alu instid0(VALU_DEP_1) | instskip(SKIP_1) | instid1(VALU_DEP_2)
	v_dual_fmac_f32 v92, v93, v92 :: v_dual_cndmask_b32 v93, v100, v99
	v_cmp_eq_u32_e32 vcc_lo, 3, v65
	v_cndmask_b32_e64 v93, v93, v101, s3
	v_cmp_eq_u32_e64 s3, 4, v65
	s_delay_alu instid0(VALU_DEP_2) | instskip(SKIP_1) | instid1(VALU_DEP_2)
	v_cndmask_b32_e32 v93, v93, v102, vcc_lo
	v_cmp_eq_u32_e32 vcc_lo, 5, v65
	v_cndmask_b32_e64 v93, v93, v97, s3
	v_cmp_eq_u32_e64 s3, 6, v65
	s_delay_alu instid0(VALU_DEP_2) | instskip(SKIP_1) | instid1(VALU_DEP_1)
	v_cndmask_b32_e32 v93, v93, v95, vcc_lo
	v_div_scale_f32 v94, s4, 1.0, v90, 1.0
	s_mov_b32 vcc_lo, s4
	s_delay_alu instid0(VALU_DEP_2) | instskip(NEXT) | instid1(VALU_DEP_2)
	v_cndmask_b32_e64 v82, v93, v82, s3
	v_mul_f32_e32 v96, v94, v92
	s_mov_b32 s3, exec_lo
	s_delay_alu instid0(VALU_DEP_2) | instskip(NEXT) | instid1(VALU_DEP_2)
	v_cndmask_b32_e64 v82, v82, v89, s5
	v_fma_f32 v98, -v91, v96, v94
	s_delay_alu instid0(VALU_DEP_1) | instskip(NEXT) | instid1(VALU_DEP_1)
	v_fmac_f32_e32 v96, v98, v92
	v_fma_f32 v91, -v91, v96, v94
	s_delay_alu instid0(VALU_DEP_1) | instskip(NEXT) | instid1(VALU_DEP_1)
	v_div_fmas_f32 v91, v91, v92, v96
	v_div_fixup_f32 v90, v91, v90, 1.0
	s_delay_alu instid0(VALU_DEP_1) | instskip(NEXT) | instid1(VALU_DEP_1)
	v_mul_f32_e32 v82, v82, v90
	v_mul_f32_e32 v87, v82, v87
	v_mul_f32_e32 v90, v82, v80
	v_mul_f32_e32 v80, v82, v88
	v_mul_f32_e32 v84, v82, v84
	v_mul_f32_e32 v88, v82, v86
	v_mul_f32_e32 v89, v82, v85
	v_dual_mul_f32 v86, v82, v83 :: v_dual_and_b32 v91, 0x7f800000, v90
	v_mul_f32_e32 v85, v82, v76
                                        ; implicit-def: $vgpr76
	s_delay_alu instid0(VALU_DEP_2)
	v_cmpx_ne_u32_e32 0x7f800000, v91
	s_xor_b32 s3, exec_lo, s3
; %bb.13:
	v_bfe_u32 v76, v90, 16, 1
	s_delay_alu instid0(VALU_DEP_1)
	v_add3_u32 v76, v90, v76, 0x7fff
                                        ; implicit-def: $vgpr90
; %bb.14:
	s_and_not1_saveexec_b32 s3, s3
; %bb.15:
	v_and_b32_e32 v76, 0xffff, v90
	v_or_b32_e32 v83, 0x10000, v90
	s_delay_alu instid0(VALU_DEP_2) | instskip(NEXT) | instid1(VALU_DEP_2)
	v_cmp_eq_u32_e32 vcc_lo, 0, v76
	v_cndmask_b32_e32 v76, v83, v90, vcc_lo
; %bb.16:
	s_or_b32 exec_lo, exec_lo, s3
	v_and_b32_e32 v83, 0x7f800000, v85
	s_delay_alu instid0(VALU_DEP_1) | instskip(SKIP_1) | instid1(SALU_CYCLE_1)
	v_cmp_ne_u32_e32 vcc_lo, 0x7f800000, v83
                                        ; implicit-def: $vgpr83
	s_and_saveexec_b32 s3, vcc_lo
	s_xor_b32 s3, exec_lo, s3
; %bb.17:
	v_bfe_u32 v83, v85, 16, 1
	s_delay_alu instid0(VALU_DEP_1)
	v_add3_u32 v83, v85, v83, 0x7fff
                                        ; implicit-def: $vgpr85
; %bb.18:
	s_and_not1_saveexec_b32 s3, s3
; %bb.19:
	v_and_b32_e32 v83, 0xffff, v85
	v_or_b32_e32 v90, 0x10000, v85
	s_delay_alu instid0(VALU_DEP_2) | instskip(NEXT) | instid1(VALU_DEP_2)
	v_cmp_eq_u32_e32 vcc_lo, 0, v83
	v_cndmask_b32_e32 v83, v90, v85, vcc_lo
; %bb.20:
	s_or_b32 exec_lo, exec_lo, s3
	v_and_b32_e32 v85, 0x7f800000, v86
	s_delay_alu instid0(VALU_DEP_1) | instskip(SKIP_1) | instid1(SALU_CYCLE_1)
	v_cmp_ne_u32_e32 vcc_lo, 0x7f800000, v85
                                        ; implicit-def: $vgpr85
	s_and_saveexec_b32 s3, vcc_lo
	s_xor_b32 s3, exec_lo, s3
; %bb.21:
	v_bfe_u32 v85, v86, 16, 1
	s_delay_alu instid0(VALU_DEP_1)
	v_add3_u32 v85, v86, v85, 0x7fff
                                        ; implicit-def: $vgpr86
; %bb.22:
	s_and_not1_saveexec_b32 s3, s3
; %bb.23:
	v_and_b32_e32 v85, 0xffff, v86
	v_or_b32_e32 v90, 0x10000, v86
	s_delay_alu instid0(VALU_DEP_2) | instskip(NEXT) | instid1(VALU_DEP_2)
	v_cmp_eq_u32_e32 vcc_lo, 0, v85
	v_cndmask_b32_e32 v85, v90, v86, vcc_lo
; %bb.24:
	s_or_b32 exec_lo, exec_lo, s3
	v_and_b32_e32 v86, 0x7f800000, v89
	s_delay_alu instid0(VALU_DEP_1) | instskip(SKIP_1) | instid1(SALU_CYCLE_1)
	v_cmp_ne_u32_e32 vcc_lo, 0x7f800000, v86
                                        ; implicit-def: $vgpr86
	s_and_saveexec_b32 s3, vcc_lo
	s_xor_b32 s3, exec_lo, s3
; %bb.25:
	v_bfe_u32 v86, v89, 16, 1
	s_delay_alu instid0(VALU_DEP_1)
	v_add3_u32 v86, v89, v86, 0x7fff
                                        ; implicit-def: $vgpr89
; %bb.26:
	s_and_not1_saveexec_b32 s3, s3
; %bb.27:
	v_and_b32_e32 v86, 0xffff, v89
	v_or_b32_e32 v90, 0x10000, v89
	s_delay_alu instid0(VALU_DEP_2) | instskip(NEXT) | instid1(VALU_DEP_2)
	v_cmp_eq_u32_e32 vcc_lo, 0, v86
	v_cndmask_b32_e32 v86, v90, v89, vcc_lo
; %bb.28:
	s_or_b32 exec_lo, exec_lo, s3
	v_and_b32_e32 v89, 0x7f800000, v88
	s_delay_alu instid0(VALU_DEP_1) | instskip(SKIP_1) | instid1(SALU_CYCLE_1)
	v_cmp_ne_u32_e32 vcc_lo, 0x7f800000, v89
                                        ; implicit-def: $vgpr89
	s_and_saveexec_b32 s3, vcc_lo
	s_xor_b32 s3, exec_lo, s3
; %bb.29:
	v_bfe_u32 v89, v88, 16, 1
	s_delay_alu instid0(VALU_DEP_1)
	v_add3_u32 v89, v88, v89, 0x7fff
                                        ; implicit-def: $vgpr88
; %bb.30:
	s_and_not1_saveexec_b32 s3, s3
; %bb.31:
	v_and_b32_e32 v89, 0xffff, v88
	v_or_b32_e32 v90, 0x10000, v88
	s_delay_alu instid0(VALU_DEP_2) | instskip(NEXT) | instid1(VALU_DEP_2)
	v_cmp_eq_u32_e32 vcc_lo, 0, v89
	v_cndmask_b32_e32 v89, v90, v88, vcc_lo
; %bb.32:
	s_or_b32 exec_lo, exec_lo, s3
	v_and_b32_e32 v88, 0x7f800000, v87
	s_delay_alu instid0(VALU_DEP_1) | instskip(SKIP_1) | instid1(SALU_CYCLE_1)
	v_cmp_ne_u32_e32 vcc_lo, 0x7f800000, v88
                                        ; implicit-def: $vgpr88
	s_and_saveexec_b32 s3, vcc_lo
	s_xor_b32 s3, exec_lo, s3
; %bb.33:
	v_bfe_u32 v88, v87, 16, 1
	s_delay_alu instid0(VALU_DEP_1)
	v_add3_u32 v88, v87, v88, 0x7fff
                                        ; implicit-def: $vgpr87
; %bb.34:
	s_and_not1_saveexec_b32 s3, s3
; %bb.35:
	v_and_b32_e32 v88, 0xffff, v87
	v_or_b32_e32 v90, 0x10000, v87
	s_delay_alu instid0(VALU_DEP_2) | instskip(NEXT) | instid1(VALU_DEP_2)
	v_cmp_eq_u32_e32 vcc_lo, 0, v88
	v_cndmask_b32_e32 v88, v90, v87, vcc_lo
; %bb.36:
	s_or_b32 exec_lo, exec_lo, s3
	v_and_b32_e32 v87, 0x7f800000, v84
	s_delay_alu instid0(VALU_DEP_1) | instskip(SKIP_1) | instid1(SALU_CYCLE_1)
	v_cmp_ne_u32_e32 vcc_lo, 0x7f800000, v87
                                        ; implicit-def: $vgpr87
	s_and_saveexec_b32 s3, vcc_lo
	s_xor_b32 s3, exec_lo, s3
; %bb.37:
	v_bfe_u32 v87, v84, 16, 1
	s_delay_alu instid0(VALU_DEP_1)
	v_add3_u32 v87, v84, v87, 0x7fff
                                        ; implicit-def: $vgpr84
; %bb.38:
	s_and_not1_saveexec_b32 s3, s3
; %bb.39:
	v_and_b32_e32 v87, 0xffff, v84
	v_or_b32_e32 v90, 0x10000, v84
	s_delay_alu instid0(VALU_DEP_2) | instskip(NEXT) | instid1(VALU_DEP_2)
	v_cmp_eq_u32_e32 vcc_lo, 0, v87
	v_cndmask_b32_e32 v87, v90, v84, vcc_lo
; %bb.40:
	s_or_b32 exec_lo, exec_lo, s3
	v_and_b32_e32 v84, 0x7f800000, v80
	s_delay_alu instid0(VALU_DEP_1) | instskip(SKIP_1) | instid1(SALU_CYCLE_1)
	v_cmp_ne_u32_e32 vcc_lo, 0x7f800000, v84
                                        ; implicit-def: $vgpr84
	s_and_saveexec_b32 s3, vcc_lo
	s_xor_b32 s3, exec_lo, s3
; %bb.41:
	v_bfe_u32 v84, v80, 16, 1
	s_delay_alu instid0(VALU_DEP_1)
	v_add3_u32 v84, v80, v84, 0x7fff
                                        ; implicit-def: $vgpr80
; %bb.42:
	s_and_not1_saveexec_b32 s3, s3
; %bb.43:
	v_and_b32_e32 v84, 0xffff, v80
	v_or_b32_e32 v90, 0x10000, v80
	s_delay_alu instid0(VALU_DEP_2) | instskip(NEXT) | instid1(VALU_DEP_2)
	v_cmp_eq_u32_e32 vcc_lo, 0, v84
	v_cndmask_b32_e32 v84, v90, v80, vcc_lo
; %bb.44:
	s_or_b32 exec_lo, exec_lo, s3
	s_load_b64 s[34:35], s[0:1], 0x94
	v_lshlrev_b32_e32 v91, 4, v75
	s_delay_alu instid0(VALU_DEP_2)
	v_perm_b32 v90, v84, v87, 0x7060302
	v_dual_mul_f32 v77, v82, v77 :: v_dual_lshlrev_b32 v80, 6, v66
	v_lshlrev_b32_e32 v66, 11, v65
	v_perm_b32 v87, v83, v76, 0x7060302
	v_mul_f32_e32 v83, v82, v70
	v_perm_b32 v89, v88, v89, 0x7060302
	v_perm_b32 v88, v86, v85, 0x7060302
	v_or3_b32 v76, v91, v66, v80
	v_mul_f32_e32 v66, v82, v81
	v_mul_f32_e32 v70, v82, v79
	;; [unrolled: 1-line block ×3, first 2 shown]
	v_dual_mul_f32 v81, v82, v72 :: v_dual_and_b32 v84, 0x7f800000, v83
	v_mul_f32_e32 v79, v82, v71
	v_mul_f32_e32 v72, v82, v69
	s_mov_b32 s3, exec_lo
	ds_store_b128 v76, v[87:90]
                                        ; implicit-def: $vgpr69
	v_cmpx_ne_u32_e32 0x7f800000, v84
	s_xor_b32 s3, exec_lo, s3
; %bb.45:
	v_bfe_u32 v69, v83, 16, 1
	s_delay_alu instid0(VALU_DEP_1)
	v_add3_u32 v69, v83, v69, 0x7fff
                                        ; implicit-def: $vgpr83
; %bb.46:
	s_and_not1_saveexec_b32 s3, s3
; %bb.47:
	v_and_b32_e32 v69, 0xffff, v83
	v_or_b32_e32 v71, 0x10000, v83
	s_delay_alu instid0(VALU_DEP_2) | instskip(NEXT) | instid1(VALU_DEP_2)
	v_cmp_eq_u32_e32 vcc_lo, 0, v69
	v_cndmask_b32_e32 v69, v71, v83, vcc_lo
; %bb.48:
	s_or_b32 exec_lo, exec_lo, s3
	v_and_b32_e32 v71, 0x7f800000, v72
	s_delay_alu instid0(VALU_DEP_1) | instskip(SKIP_1) | instid1(SALU_CYCLE_1)
	v_cmp_ne_u32_e32 vcc_lo, 0x7f800000, v71
                                        ; implicit-def: $vgpr71
	s_and_saveexec_b32 s3, vcc_lo
	s_xor_b32 s3, exec_lo, s3
; %bb.49:
	v_bfe_u32 v71, v72, 16, 1
	s_delay_alu instid0(VALU_DEP_1)
	v_add3_u32 v71, v72, v71, 0x7fff
                                        ; implicit-def: $vgpr72
; %bb.50:
	s_and_not1_saveexec_b32 s3, s3
; %bb.51:
	v_and_b32_e32 v71, 0xffff, v72
	v_or_b32_e32 v82, 0x10000, v72
	s_delay_alu instid0(VALU_DEP_2) | instskip(NEXT) | instid1(VALU_DEP_2)
	v_cmp_eq_u32_e32 vcc_lo, 0, v71
	v_cndmask_b32_e32 v71, v82, v72, vcc_lo
; %bb.52:
	s_or_b32 exec_lo, exec_lo, s3
	v_and_b32_e32 v72, 0x7f800000, v79
	s_delay_alu instid0(VALU_DEP_1) | instskip(SKIP_1) | instid1(SALU_CYCLE_1)
	v_cmp_ne_u32_e32 vcc_lo, 0x7f800000, v72
                                        ; implicit-def: $vgpr72
	s_and_saveexec_b32 s3, vcc_lo
	s_xor_b32 s3, exec_lo, s3
; %bb.53:
	v_bfe_u32 v72, v79, 16, 1
	s_delay_alu instid0(VALU_DEP_1)
	v_add3_u32 v72, v79, v72, 0x7fff
                                        ; implicit-def: $vgpr79
; %bb.54:
	s_and_not1_saveexec_b32 s3, s3
; %bb.55:
	v_and_b32_e32 v72, 0xffff, v79
	v_or_b32_e32 v82, 0x10000, v79
	s_delay_alu instid0(VALU_DEP_2) | instskip(NEXT) | instid1(VALU_DEP_2)
	v_cmp_eq_u32_e32 vcc_lo, 0, v72
	v_cndmask_b32_e32 v72, v82, v79, vcc_lo
; %bb.56:
	s_or_b32 exec_lo, exec_lo, s3
	v_and_b32_e32 v79, 0x7f800000, v81
	s_delay_alu instid0(VALU_DEP_1) | instskip(SKIP_1) | instid1(SALU_CYCLE_1)
	v_cmp_ne_u32_e32 vcc_lo, 0x7f800000, v79
                                        ; implicit-def: $vgpr79
	s_and_saveexec_b32 s3, vcc_lo
	s_xor_b32 s3, exec_lo, s3
; %bb.57:
	v_bfe_u32 v79, v81, 16, 1
	s_delay_alu instid0(VALU_DEP_1)
	v_add3_u32 v79, v81, v79, 0x7fff
                                        ; implicit-def: $vgpr81
; %bb.58:
	s_and_not1_saveexec_b32 s3, s3
; %bb.59:
	v_and_b32_e32 v79, 0xffff, v81
	v_or_b32_e32 v82, 0x10000, v81
	s_delay_alu instid0(VALU_DEP_2) | instskip(NEXT) | instid1(VALU_DEP_2)
	v_cmp_eq_u32_e32 vcc_lo, 0, v79
	v_cndmask_b32_e32 v79, v82, v81, vcc_lo
; %bb.60:
	s_or_b32 exec_lo, exec_lo, s3
	v_and_b32_e32 v81, 0x7f800000, v77
	s_delay_alu instid0(VALU_DEP_1) | instskip(SKIP_1) | instid1(SALU_CYCLE_1)
	v_cmp_ne_u32_e32 vcc_lo, 0x7f800000, v81
                                        ; implicit-def: $vgpr81
	s_and_saveexec_b32 s3, vcc_lo
	s_xor_b32 s3, exec_lo, s3
; %bb.61:
	v_bfe_u32 v81, v77, 16, 1
	s_delay_alu instid0(VALU_DEP_1)
	v_add3_u32 v81, v77, v81, 0x7fff
                                        ; implicit-def: $vgpr77
; %bb.62:
	s_and_not1_saveexec_b32 s3, s3
; %bb.63:
	v_and_b32_e32 v81, 0xffff, v77
	v_or_b32_e32 v82, 0x10000, v77
	s_delay_alu instid0(VALU_DEP_2) | instskip(NEXT) | instid1(VALU_DEP_2)
	v_cmp_eq_u32_e32 vcc_lo, 0, v81
	v_cndmask_b32_e32 v81, v82, v77, vcc_lo
; %bb.64:
	s_or_b32 exec_lo, exec_lo, s3
	v_and_b32_e32 v77, 0x7f800000, v78
	s_delay_alu instid0(VALU_DEP_1) | instskip(SKIP_1) | instid1(SALU_CYCLE_1)
	v_cmp_ne_u32_e32 vcc_lo, 0x7f800000, v77
                                        ; implicit-def: $vgpr77
	s_and_saveexec_b32 s3, vcc_lo
	s_xor_b32 s3, exec_lo, s3
; %bb.65:
	v_bfe_u32 v77, v78, 16, 1
	s_delay_alu instid0(VALU_DEP_1)
	v_add3_u32 v77, v78, v77, 0x7fff
                                        ; implicit-def: $vgpr78
; %bb.66:
	s_and_not1_saveexec_b32 s3, s3
; %bb.67:
	v_and_b32_e32 v77, 0xffff, v78
	v_or_b32_e32 v82, 0x10000, v78
	s_delay_alu instid0(VALU_DEP_2) | instskip(NEXT) | instid1(VALU_DEP_2)
	v_cmp_eq_u32_e32 vcc_lo, 0, v77
	v_cndmask_b32_e32 v77, v82, v78, vcc_lo
; %bb.68:
	s_or_b32 exec_lo, exec_lo, s3
	v_and_b32_e32 v78, 0x7f800000, v70
	s_delay_alu instid0(VALU_DEP_1) | instskip(SKIP_1) | instid1(SALU_CYCLE_1)
	v_cmp_ne_u32_e32 vcc_lo, 0x7f800000, v78
                                        ; implicit-def: $vgpr78
	s_and_saveexec_b32 s3, vcc_lo
	s_xor_b32 s3, exec_lo, s3
; %bb.69:
	v_bfe_u32 v78, v70, 16, 1
	s_delay_alu instid0(VALU_DEP_1)
	v_add3_u32 v78, v70, v78, 0x7fff
                                        ; implicit-def: $vgpr70
; %bb.70:
	s_and_not1_saveexec_b32 s3, s3
; %bb.71:
	v_and_b32_e32 v78, 0xffff, v70
	v_or_b32_e32 v82, 0x10000, v70
	s_delay_alu instid0(VALU_DEP_2) | instskip(NEXT) | instid1(VALU_DEP_2)
	v_cmp_eq_u32_e32 vcc_lo, 0, v78
	v_cndmask_b32_e32 v78, v82, v70, vcc_lo
; %bb.72:
	s_or_b32 exec_lo, exec_lo, s3
	v_and_b32_e32 v70, 0x7f800000, v66
	s_delay_alu instid0(VALU_DEP_1) | instskip(SKIP_1) | instid1(SALU_CYCLE_1)
	v_cmp_ne_u32_e32 vcc_lo, 0x7f800000, v70
                                        ; implicit-def: $vgpr70
	s_and_saveexec_b32 s3, vcc_lo
	s_xor_b32 s3, exec_lo, s3
; %bb.73:
	v_bfe_u32 v70, v66, 16, 1
	s_delay_alu instid0(VALU_DEP_1)
	v_add3_u32 v70, v66, v70, 0x7fff
                                        ; implicit-def: $vgpr66
; %bb.74:
	s_and_not1_saveexec_b32 s3, s3
; %bb.75:
	v_and_b32_e32 v70, 0xffff, v66
	v_or_b32_e32 v82, 0x10000, v66
	s_delay_alu instid0(VALU_DEP_2) | instskip(NEXT) | instid1(VALU_DEP_2)
	v_cmp_eq_u32_e32 vcc_lo, 0, v70
	v_cndmask_b32_e32 v70, v82, v66, vcc_lo
; %bb.76:
	s_or_b32 exec_lo, exec_lo, s3
	s_delay_alu instid0(VALU_DEP_1)
	v_perm_b32 v86, v70, v78, 0x7060302
	v_perm_b32 v85, v77, v81, 0x7060302
	;; [unrolled: 1-line block ×4, first 2 shown]
	v_lshl_or_b32 v82, v65, 11, v80
	ds_store_b128 v76, v[83:86] offset:1024
	s_waitcnt lgkmcnt(0)
	s_barrier
	buffer_gl0_inv
	ds_load_b128 v[69:72], v82
	ds_load_b128 v[83:86], v82 offset:16
	s_waitcnt lgkmcnt(1)
	v_lshrrev_b32_e32 v65, 16, v69
	v_lshlrev_b32_e32 v78, 2, v75
	s_waitcnt lgkmcnt(0)
	v_lshrrev_b32_e32 v91, 16, v83
	v_lshrrev_b32_e32 v66, 16, v70
	;; [unrolled: 1-line block ×4, first 2 shown]
	v_cmp_eq_u32_e32 vcc_lo, 1, v78
	v_lshrrev_b32_e32 v98, 16, v85
	v_lshrrev_b32_e32 v96, 16, v72
	;; [unrolled: 1-line block ×3, first 2 shown]
	v_cndmask_b32_e32 v81, v69, v65, vcc_lo
	v_or_b32_e32 v79, 1, v78
	v_cmp_eq_u32_e64 s4, 2, v78
	v_cndmask_b32_e32 v87, v83, v91, vcc_lo
	v_cmp_eq_u32_e64 s7, 3, v78
	v_cmp_eq_u32_e64 s9, 4, v78
	;; [unrolled: 1-line block ×3, first 2 shown]
	v_cndmask_b32_e64 v81, v81, v70, s4
	v_cmp_eq_u32_e64 s6, 2, v79
	v_cndmask_b32_e64 v87, v87, v84, s4
	v_cmp_eq_u32_e64 s8, 3, v79
	v_cndmask_b32_e64 v88, v69, v65, s3
	v_cndmask_b32_e64 v81, v81, v66, s7
	v_or_b32_e32 v77, 2, v78
	v_cndmask_b32_e64 v87, v87, v97, s7
	v_cndmask_b32_e64 v89, v83, v91, s3
	v_cndmask_b32_e64 v88, v88, v70, s6
	v_cndmask_b32_e64 v81, v81, v71, s9
	v_cmp_eq_u32_e64 s10, 5, v78
	v_cndmask_b32_e64 v87, v87, v85, s9
	v_cmp_eq_u32_e64 s11, 4, v79
	v_cndmask_b32_e64 v88, v88, v66, s8
	;; [unrolled: 2-line block ×3, first 2 shown]
	v_cndmask_b32_e64 v81, v81, v95, s10
	v_cmp_eq_u32_e64 s12, 6, v78
	v_cndmask_b32_e64 v88, v88, v71, s11
	v_cndmask_b32_e64 v87, v87, v98, s10
	v_cmp_eq_u32_e64 s13, 5, v79
	v_cndmask_b32_e64 v90, v69, v65, s5
	v_cndmask_b32_e64 v89, v89, v97, s8
	v_cndmask_b32_e64 v81, v81, v72, s12
	v_cmp_eq_u32_e64 s15, 7, v78
	v_cndmask_b32_e64 v88, v88, v95, s13
	v_cndmask_b32_e64 v87, v87, v86, s12
	v_cmp_eq_u32_e64 s16, 6, v79
	v_cmp_eq_u32_e64 s17, 2, v77
	v_cndmask_b32_e64 v89, v89, v85, s11
	v_cndmask_b32_e64 v100, v81, v96, s15
	;; [unrolled: 1-line block ×6, first 2 shown]
	v_cmp_eq_u32_e64 s18, 7, v79
	v_cmp_eq_u32_e64 s19, 3, v77
	;; [unrolled: 1-line block ×4, first 2 shown]
	v_cndmask_b32_e64 v87, v87, v84, s17
	v_cndmask_b32_e64 v102, v88, v96, s18
	;; [unrolled: 1-line block ×4, first 2 shown]
	v_or_b32_e32 v81, 3, v78
	v_cndmask_b32_e64 v93, v87, v97, s19
	v_cmp_eq_u32_e64 s24, 6, v77
	v_cndmask_b32_e64 v103, v88, v86, s16
	v_cndmask_b32_e64 v92, v89, v71, s20
	v_cmp_eq_u32_e64 s21, 1, v81
	ds_load_b128 v[87:90], v82 offset:1024
	v_cmp_eq_u32_e64 s23, 2, v81
	v_cmp_eq_u32_e64 s25, 3, v81
	v_cndmask_b32_e64 v104, v92, v95, s22
	v_cndmask_b32_e64 v65, v69, v65, s21
	;; [unrolled: 1-line block ×4, first 2 shown]
	ds_load_b128 v[91:94], v82 offset:1040
	v_cmp_eq_u32_e64 s26, 4, v81
	v_cndmask_b32_e64 v65, v65, v70, s23
	v_cmp_eq_u32_e64 s28, 5, v81
	v_cndmask_b32_e64 v70, v83, v84, s23
	;; [unrolled: 2-line block ×3, first 2 shown]
	v_cndmask_b32_e64 v65, v65, v66, s25
	v_cndmask_b32_e64 v66, v104, v72, s24
	;; [unrolled: 1-line block ×3, first 2 shown]
	v_cmp_eq_u32_e64 s27, 7, v77
	v_cndmask_b32_e64 v69, v69, v86, s24
	v_cndmask_b32_e64 v65, v65, v71, s26
	s_waitcnt lgkmcnt(1)
	v_lshrrev_b32_e32 v84, 16, v87
	v_cndmask_b32_e64 v70, v70, v85, s26
	v_cndmask_b32_e64 v83, v103, v99, s18
	;; [unrolled: 1-line block ×4, first 2 shown]
	v_lshrrev_b32_e32 v95, 16, v88
	v_cndmask_b32_e64 v70, v70, v98, s28
	s_waitcnt lgkmcnt(0)
	v_lshrrev_b32_e32 v85, 16, v91
	v_cndmask_b32_e64 v97, v87, v84, s3
	v_cndmask_b32_e64 v65, v65, v72, s29
	;; [unrolled: 1-line block ×4, first 2 shown]
	v_cndmask_b32_e32 v71, v87, v84, vcc_lo
	v_cndmask_b32_e32 v98, v91, v85, vcc_lo
	v_cmp_eq_u32_e32 vcc_lo, 7, v81
	v_cndmask_b32_e64 v72, v97, v88, s6
	v_lshrrev_b32_e32 v97, 16, v92
	v_lshrrev_b32_e32 v103, 16, v90
	v_dual_cndmask_b32 v65, v65, v96 :: v_dual_cndmask_b32 v70, v70, v99
	v_cndmask_b32_e64 v71, v71, v88, s4
	v_cndmask_b32_e64 v86, v98, v92, s4
	;; [unrolled: 1-line block ×3, first 2 shown]
	v_lshrrev_b32_e32 v98, 16, v89
	v_lshrrev_b32_e32 v99, 16, v93
	v_cndmask_b32_e64 v71, v71, v95, s7
	v_cndmask_b32_e64 v86, v86, v97, s7
	;; [unrolled: 1-line block ×3, first 2 shown]
	v_perm_b32 v72, v70, v65, 0x5040100
	v_perm_b32 v70, v83, v102, 0x5040100
	v_cndmask_b32_e64 v71, v71, v89, s9
	v_cndmask_b32_e64 v86, v86, v93, s9
	;; [unrolled: 1-line block ×3, first 2 shown]
	v_lshrrev_b32_e32 v83, 16, v94
	s_delay_alu instid0(VALU_DEP_4) | instskip(NEXT) | instid1(VALU_DEP_4)
	v_cndmask_b32_e64 v71, v71, v98, s10
	v_cndmask_b32_e64 v86, v86, v99, s10
	s_delay_alu instid0(VALU_DEP_4) | instskip(NEXT) | instid1(VALU_DEP_3)
	v_cndmask_b32_e64 v65, v65, v90, s16
	v_cndmask_b32_e64 v96, v71, v90, s12
	v_perm_b32 v71, v69, v66, 0x5040100
	s_delay_alu instid0(VALU_DEP_4)
	v_cndmask_b32_e64 v69, v86, v94, s12
	v_cndmask_b32_e64 v86, v87, v84, s5
	;; [unrolled: 1-line block ×34, first 2 shown]
	v_cndmask_b32_e32 v84, v84, v103, vcc_lo
	v_cndmask_b32_e32 v86, v87, v83, vcc_lo
	v_cndmask_b32_e64 v87, v88, v83, s27
	v_cndmask_b32_e64 v88, v85, v83, s18
	;; [unrolled: 1-line block ×3, first 2 shown]
	v_perm_b32 v69, v101, v100, 0x5040100
	v_perm_b32 v86, v86, v84, 0x5040100
	;; [unrolled: 1-line block ×5, first 2 shown]
	s_lshl_b32 s8, s35, 2
	s_mov_b32 s3, exec_lo
	ds_store_b128 v76, v[69:72]
	ds_store_b128 v76, v[83:86] offset:1024
	v_cmpx_gt_u32_e32 4, v0
	s_cbranch_execz .LBB1697_78
; %bb.77:
	v_or_b32_e32 v65, s31, v0
	s_load_b128 s[4:7], s[0:1], 0x58
	s_delay_alu instid0(VALU_DEP_1) | instskip(NEXT) | instid1(VALU_DEP_1)
	v_mad_u64_u32 v[69:70], null, s8, s30, v[65:66]
	v_mad_u64_u32 v[65:66], null, v69, s34, s[14:15]
	s_delay_alu instid0(VALU_DEP_1) | instskip(NEXT) | instid1(VALU_DEP_1)
	v_ashrrev_i32_e32 v66, 31, v65
	v_lshlrev_b64 v[65:66], 2, v[65:66]
	s_waitcnt lgkmcnt(0)
	s_delay_alu instid0(VALU_DEP_1) | instskip(NEXT) | instid1(VALU_DEP_2)
	v_add_co_u32 v69, vcc_lo, s6, v65
	v_add_co_ci_u32_e32 v70, vcc_lo, s7, v66, vcc_lo
	v_add_co_u32 v65, vcc_lo, s4, v65
	v_add_co_ci_u32_e32 v66, vcc_lo, s5, v66, vcc_lo
	global_store_b32 v[69:70], v67, off
	global_store_b32 v[65:66], v68, off
.LBB1697_78:
	s_or_b32 exec_lo, exec_lo, s3
	s_waitcnt lgkmcnt(0)
	s_waitcnt_vscnt null, 0x0
	s_barrier
	buffer_gl0_inv
	ds_load_b128 v[83:86], v80
	ds_load_b128 v[87:90], v80 offset:16
	ds_load_b128 v[95:98], v80 offset:2064
	;; [unrolled: 1-line block ×3, first 2 shown]
	v_mov_b32_e32 v65, 0
	ds_load_b128 v[103:106], v80 offset:4112
	ds_load_b128 v[99:102], v80 offset:4096
	;; [unrolled: 1-line block ×4, first 2 shown]
	v_mov_b32_e32 v66, v65
	v_mov_b32_e32 v67, v65
	;; [unrolled: 1-line block ×7, first 2 shown]
	s_waitcnt lgkmcnt(6)
	s_delay_alu instid0(VALU_DEP_1)
	v_wmma_f32_16x16x16_bf16 v[65:72], v[57:64], v[83:90], v[65:72]
	ds_load_b128 v[61:64], v80 offset:8208
	ds_load_b128 v[57:60], v80 offset:8192
	s_waitcnt lgkmcnt(6)
	v_wmma_f32_16x16x16_bf16 v[65:72], v[41:48], v[91:98], v[65:72]
	ds_load_b128 v[45:48], v80 offset:10256
	ds_load_b128 v[41:44], v80 offset:10240
	s_waitcnt lgkmcnt(6)
	;; [unrolled: 4-line block ×4, first 2 shown]
	v_wmma_f32_16x16x16_bf16 v[65:72], v[1:8], v[57:64], v[65:72]
	s_waitcnt lgkmcnt(4)
	s_delay_alu instid0(VALU_DEP_1) | instskip(SKIP_1) | instid1(VALU_DEP_1)
	v_wmma_f32_16x16x16_bf16 v[65:72], v[9:16], v[41:48], v[65:72]
	s_waitcnt lgkmcnt(2)
	v_wmma_f32_16x16x16_bf16 v[65:72], v[17:24], v[33:40], v[65:72]
	s_waitcnt lgkmcnt(0)
	s_delay_alu instid0(VALU_DEP_1) | instskip(NEXT) | instid1(VALU_DEP_1)
	v_wmma_f32_16x16x16_bf16 v[65:72], v[49:56], v[25:32], v[65:72]
	v_and_b32_e32 v1, 0x7f800000, v65
	s_delay_alu instid0(VALU_DEP_1) | instskip(SKIP_1) | instid1(SALU_CYCLE_1)
	v_cmp_ne_u32_e32 vcc_lo, 0x7f800000, v1
                                        ; implicit-def: $vgpr1
	s_and_saveexec_b32 s3, vcc_lo
	s_xor_b32 s3, exec_lo, s3
; %bb.79:
	v_bfe_u32 v1, v65, 16, 1
	s_delay_alu instid0(VALU_DEP_1)
	v_add3_u32 v1, v65, v1, 0x7fff
; %bb.80:
	s_and_not1_saveexec_b32 s3, s3
; %bb.81:
	v_and_b32_e32 v1, 0xffff, v65
	v_or_b32_e32 v2, 0x10000, v65
	s_delay_alu instid0(VALU_DEP_2) | instskip(NEXT) | instid1(VALU_DEP_2)
	v_cmp_eq_u32_e32 vcc_lo, 0, v1
	v_cndmask_b32_e32 v1, v2, v65, vcc_lo
; %bb.82:
	s_or_b32 exec_lo, exec_lo, s3
	v_and_b32_e32 v2, 0x7f800000, v66
	s_delay_alu instid0(VALU_DEP_1) | instskip(SKIP_1) | instid1(SALU_CYCLE_1)
	v_cmp_ne_u32_e32 vcc_lo, 0x7f800000, v2
                                        ; implicit-def: $vgpr2
	s_and_saveexec_b32 s3, vcc_lo
	s_xor_b32 s3, exec_lo, s3
; %bb.83:
	v_bfe_u32 v2, v66, 16, 1
	s_delay_alu instid0(VALU_DEP_1)
	v_add3_u32 v2, v66, v2, 0x7fff
; %bb.84:
	s_and_not1_saveexec_b32 s3, s3
; %bb.85:
	v_and_b32_e32 v2, 0xffff, v66
	v_or_b32_e32 v3, 0x10000, v66
	s_delay_alu instid0(VALU_DEP_2) | instskip(NEXT) | instid1(VALU_DEP_2)
	v_cmp_eq_u32_e32 vcc_lo, 0, v2
	v_cndmask_b32_e32 v2, v3, v66, vcc_lo
; %bb.86:
	s_or_b32 exec_lo, exec_lo, s3
	v_and_b32_e32 v3, 0x7f800000, v67
	s_delay_alu instid0(VALU_DEP_1) | instskip(SKIP_1) | instid1(SALU_CYCLE_1)
	v_cmp_ne_u32_e32 vcc_lo, 0x7f800000, v3
                                        ; implicit-def: $vgpr3
	s_and_saveexec_b32 s3, vcc_lo
	s_xor_b32 s3, exec_lo, s3
; %bb.87:
	v_bfe_u32 v3, v67, 16, 1
	s_delay_alu instid0(VALU_DEP_1)
	v_add3_u32 v3, v67, v3, 0x7fff
; %bb.88:
	s_and_not1_saveexec_b32 s3, s3
; %bb.89:
	v_and_b32_e32 v3, 0xffff, v67
	v_or_b32_e32 v4, 0x10000, v67
	s_delay_alu instid0(VALU_DEP_2) | instskip(NEXT) | instid1(VALU_DEP_2)
	v_cmp_eq_u32_e32 vcc_lo, 0, v3
	v_cndmask_b32_e32 v3, v4, v67, vcc_lo
; %bb.90:
	s_or_b32 exec_lo, exec_lo, s3
	v_and_b32_e32 v4, 0x7f800000, v68
	s_delay_alu instid0(VALU_DEP_1) | instskip(SKIP_1) | instid1(SALU_CYCLE_1)
	v_cmp_ne_u32_e32 vcc_lo, 0x7f800000, v4
                                        ; implicit-def: $vgpr4
	s_and_saveexec_b32 s3, vcc_lo
	s_xor_b32 s3, exec_lo, s3
; %bb.91:
	v_bfe_u32 v4, v68, 16, 1
	s_delay_alu instid0(VALU_DEP_1)
	v_add3_u32 v4, v68, v4, 0x7fff
; %bb.92:
	s_and_not1_saveexec_b32 s3, s3
; %bb.93:
	v_and_b32_e32 v4, 0xffff, v68
	v_or_b32_e32 v5, 0x10000, v68
	s_delay_alu instid0(VALU_DEP_2) | instskip(NEXT) | instid1(VALU_DEP_2)
	v_cmp_eq_u32_e32 vcc_lo, 0, v4
	v_cndmask_b32_e32 v4, v5, v68, vcc_lo
; %bb.94:
	s_or_b32 exec_lo, exec_lo, s3
	v_and_b32_e32 v5, 0x7f800000, v69
	s_delay_alu instid0(VALU_DEP_1) | instskip(SKIP_1) | instid1(SALU_CYCLE_1)
	v_cmp_ne_u32_e32 vcc_lo, 0x7f800000, v5
                                        ; implicit-def: $vgpr5
	s_and_saveexec_b32 s3, vcc_lo
	s_xor_b32 s3, exec_lo, s3
; %bb.95:
	v_bfe_u32 v5, v69, 16, 1
	s_delay_alu instid0(VALU_DEP_1)
	v_add3_u32 v5, v69, v5, 0x7fff
; %bb.96:
	s_and_not1_saveexec_b32 s3, s3
; %bb.97:
	v_and_b32_e32 v5, 0xffff, v69
	v_or_b32_e32 v6, 0x10000, v69
	s_delay_alu instid0(VALU_DEP_2) | instskip(NEXT) | instid1(VALU_DEP_2)
	v_cmp_eq_u32_e32 vcc_lo, 0, v5
	v_cndmask_b32_e32 v5, v6, v69, vcc_lo
; %bb.98:
	s_or_b32 exec_lo, exec_lo, s3
	v_and_b32_e32 v6, 0x7f800000, v70
	s_delay_alu instid0(VALU_DEP_1) | instskip(SKIP_1) | instid1(SALU_CYCLE_1)
	v_cmp_ne_u32_e32 vcc_lo, 0x7f800000, v6
                                        ; implicit-def: $vgpr6
	s_and_saveexec_b32 s3, vcc_lo
	s_xor_b32 s3, exec_lo, s3
; %bb.99:
	v_bfe_u32 v6, v70, 16, 1
	s_delay_alu instid0(VALU_DEP_1)
	v_add3_u32 v6, v70, v6, 0x7fff
; %bb.100:
	s_and_not1_saveexec_b32 s3, s3
; %bb.101:
	v_and_b32_e32 v6, 0xffff, v70
	v_or_b32_e32 v7, 0x10000, v70
	s_delay_alu instid0(VALU_DEP_2) | instskip(NEXT) | instid1(VALU_DEP_2)
	v_cmp_eq_u32_e32 vcc_lo, 0, v6
	v_cndmask_b32_e32 v6, v7, v70, vcc_lo
; %bb.102:
	s_or_b32 exec_lo, exec_lo, s3
	v_and_b32_e32 v7, 0x7f800000, v71
	s_delay_alu instid0(VALU_DEP_1) | instskip(SKIP_1) | instid1(SALU_CYCLE_1)
	v_cmp_ne_u32_e32 vcc_lo, 0x7f800000, v7
                                        ; implicit-def: $vgpr7
	s_and_saveexec_b32 s3, vcc_lo
	s_xor_b32 s3, exec_lo, s3
; %bb.103:
	v_bfe_u32 v7, v71, 16, 1
	s_delay_alu instid0(VALU_DEP_1)
	v_add3_u32 v7, v71, v7, 0x7fff
; %bb.104:
	s_and_not1_saveexec_b32 s3, s3
; %bb.105:
	v_and_b32_e32 v7, 0xffff, v71
	v_or_b32_e32 v8, 0x10000, v71
	s_delay_alu instid0(VALU_DEP_2) | instskip(NEXT) | instid1(VALU_DEP_2)
	v_cmp_eq_u32_e32 vcc_lo, 0, v7
	v_cndmask_b32_e32 v7, v8, v71, vcc_lo
; %bb.106:
	s_or_b32 exec_lo, exec_lo, s3
	v_and_b32_e32 v8, 0x7f800000, v72
	s_delay_alu instid0(VALU_DEP_1) | instskip(SKIP_1) | instid1(SALU_CYCLE_1)
	v_cmp_ne_u32_e32 vcc_lo, 0x7f800000, v8
                                        ; implicit-def: $vgpr8
	s_and_saveexec_b32 s3, vcc_lo
	s_xor_b32 s3, exec_lo, s3
; %bb.107:
	v_bfe_u32 v8, v72, 16, 1
	s_delay_alu instid0(VALU_DEP_1)
	v_add3_u32 v8, v72, v8, 0x7fff
                                        ; implicit-def: $vgpr65_vgpr66_vgpr67_vgpr68_vgpr69_vgpr70_vgpr71_vgpr72
; %bb.108:
	s_and_not1_saveexec_b32 s3, s3
; %bb.109:
	v_and_b32_e32 v8, 0xffff, v72
	v_or_b32_e32 v9, 0x10000, v72
	s_delay_alu instid0(VALU_DEP_2) | instskip(NEXT) | instid1(VALU_DEP_2)
	v_cmp_eq_u32_e32 vcc_lo, 0, v8
	v_cndmask_b32_e32 v8, v9, v72, vcc_lo
; %bb.110:
	s_or_b32 exec_lo, exec_lo, s3
	s_delay_alu instid0(VALU_DEP_1)
	v_perm_b32 v7, v8, v7, 0x7060302
	v_perm_b32 v6, v6, v5, 0x7060302
	;; [unrolled: 1-line block ×4, first 2 shown]
	s_barrier
	buffer_gl0_inv
	v_cmp_eq_u32_e32 vcc_lo, 1, v78
	ds_store_b128 v76, v[4:7]
	s_waitcnt lgkmcnt(0)
	s_barrier
	buffer_gl0_inv
	ds_load_b128 v[1:4], v82
	ds_load_b128 v[5:8], v82 offset:16
	v_cmp_eq_u32_e64 s3, 1, v79
	v_cmp_eq_u32_e64 s4, 2, v78
	v_cmp_eq_u32_e64 s5, 3, v78
	v_cmp_eq_u32_e64 s7, 2, v77
	v_cmp_eq_u32_e64 s6, 7, v79
	s_waitcnt lgkmcnt(1)
	v_lshrrev_b32_e32 v9, 16, v1
	s_waitcnt lgkmcnt(0)
	v_lshrrev_b32_e32 v13, 16, v5
	v_lshrrev_b32_e32 v10, 16, v2
	;; [unrolled: 1-line block ×4, first 2 shown]
	v_cndmask_b32_e64 v19, v1, v9, s3
	v_cndmask_b32_e32 v18, v5, v13, vcc_lo
	v_cndmask_b32_e64 v20, v5, v13, s3
	v_cndmask_b32_e32 v17, v1, v9, vcc_lo
	v_cmp_eq_u32_e32 vcc_lo, 2, v79
	v_lshrrev_b32_e32 v15, 16, v7
	v_cmp_eq_u32_e64 s3, 1, v77
	v_lshrrev_b32_e32 v12, 16, v4
	v_lshrrev_b32_e32 v16, 16, v8
	v_cndmask_b32_e32 v20, v20, v6, vcc_lo
	v_cndmask_b32_e64 v17, v17, v2, s4
	v_cndmask_b32_e32 v19, v19, v2, vcc_lo
	v_cndmask_b32_e64 v18, v18, v6, s4
	v_cmp_eq_u32_e32 vcc_lo, 4, v78
	v_cmp_eq_u32_e64 s4, 3, v79
	v_cndmask_b32_e64 v17, v17, v10, s5
	v_cndmask_b32_e64 v21, v1, v9, s3
	;; [unrolled: 1-line block ×5, first 2 shown]
	v_cndmask_b32_e32 v17, v17, v3, vcc_lo
	v_cndmask_b32_e64 v20, v20, v14, s4
	v_cndmask_b32_e32 v18, v18, v7, vcc_lo
	v_cmp_eq_u32_e32 vcc_lo, 4, v79
	v_cmp_eq_u32_e64 s4, 5, v79
	v_cmp_eq_u32_e64 s3, 2, v81
	v_cndmask_b32_e64 v21, v21, v2, s7
	v_cmp_eq_u32_e64 s5, 5, v78
	v_cndmask_b32_e32 v19, v19, v3, vcc_lo
	v_cndmask_b32_e32 v20, v20, v7, vcc_lo
	v_cmp_eq_u32_e32 vcc_lo, 6, v79
	s_delay_alu instid0(VALU_DEP_4) | instskip(NEXT) | instid1(VALU_DEP_4)
	v_cndmask_b32_e64 v17, v17, v11, s5
	v_cndmask_b32_e64 v19, v19, v11, s4
	s_delay_alu instid0(VALU_DEP_4) | instskip(SKIP_1) | instid1(VALU_DEP_3)
	v_cndmask_b32_e64 v20, v20, v15, s4
	v_cmp_eq_u32_e64 s4, 1, v81
	v_cndmask_b32_e32 v19, v19, v4, vcc_lo
	v_cndmask_b32_e64 v18, v18, v15, s5
	s_delay_alu instid0(VALU_DEP_3)
	v_cndmask_b32_e64 v1, v1, v9, s4
	v_cndmask_b32_e64 v5, v5, v13, s4
	v_cmp_eq_u32_e64 s4, 3, v77
	v_cndmask_b32_e64 v13, v22, v6, s7
	v_cmp_eq_u32_e64 s7, 3, v81
	v_cndmask_b32_e64 v1, v1, v2, s3
	v_cndmask_b32_e64 v2, v5, v6, s3
	;; [unrolled: 1-line block ×3, first 2 shown]
	v_cmp_eq_u32_e64 s3, 4, v77
	v_cndmask_b32_e64 v6, v13, v14, s4
	v_cndmask_b32_e64 v1, v1, v10, s7
	v_cmp_eq_u32_e64 s4, 4, v81
	v_cndmask_b32_e64 v2, v2, v14, s7
	v_cndmask_b32_e64 v5, v9, v3, s3
	;; [unrolled: 3-line block ×3, first 2 shown]
	v_cndmask_b32_e64 v2, v2, v7, s4
	v_cmp_eq_u32_e64 s3, 5, v81
	v_cmp_eq_u32_e64 s5, 6, v78
	v_cndmask_b32_e64 v5, v5, v11, s7
	v_cmp_eq_u32_e64 s4, 6, v77
	v_cndmask_b32_e64 v3, v6, v15, s7
	v_cndmask_b32_e64 v1, v1, v11, s3
	v_cmp_eq_u32_e64 s7, 6, v81
	v_cndmask_b32_e64 v2, v2, v15, s3
	v_cndmask_b32_e64 v17, v17, v4, s5
	v_cndmask_b32_e64 v18, v18, v8, s5
	v_cmp_eq_u32_e64 s5, 7, v78
	v_cndmask_b32_e64 v5, v5, v4, s4
	;; [unrolled: 4-line block ×3, first 2 shown]
	v_cmp_eq_u32_e64 s4, 7, v77
	v_cndmask_b32_e32 v4, v20, v8, vcc_lo
	v_cndmask_b32_e64 v17, v17, v12, s5
	v_cndmask_b32_e64 v19, v19, v12, s6
	;; [unrolled: 1-line block ×8, first 2 shown]
	v_cmp_gt_u32_e32 vcc_lo, 32, v0
	v_perm_b32 v4, v2, v1, 0x5040100
	v_perm_b32 v3, v3, v5, 0x5040100
	;; [unrolled: 1-line block ×4, first 2 shown]
	s_and_b32 s2, vcc_lo, s2
	ds_store_b128 v76, v[1:4]
	s_waitcnt lgkmcnt(0)
	s_barrier
	buffer_gl0_inv
	s_and_saveexec_b32 s3, s2
	s_cbranch_execz .LBB1697_2
; %bb.111:
	s_load_b64 s[0:1], s[0:1], 0x68
	v_lshlrev_b32_e32 v0, 10, v0
	v_or_b32_e32 v1, s31, v75
	s_lshl_b32 s4, s34, 6
	v_lshlrev_b32_e32 v2, 4, v74
	s_mul_i32 s2, s4, s30
	v_lshlrev_b32_e32 v3, 6, v75
	v_mul_lo_u32 v8, v1, s4
	v_and_b32_e32 v0, 0x3800, v0
	v_or_b32_e32 v1, 2, v1
	s_mul_i32 s2, s2, s8
	s_delay_alu instid0(SALU_CYCLE_1) | instskip(NEXT) | instid1(VALU_DEP_2)
	s_ashr_i32 s3, s2, 31
	v_or3_b32 v4, v0, v2, v3
	s_lshl_b64 s[2:3], s[2:3], 1
	v_mul_lo_u32 v10, v1, s4
	v_ashrrev_i32_e32 v9, 31, v8
	ds_load_b128 v[0:3], v4
	ds_load_b128 v[4:7], v4 offset:128
	s_waitcnt lgkmcnt(0)
	s_add_u32 s2, s0, s2
	s_addc_u32 s3, s1, s3
	s_lshl_b32 s0, s14, 6
	v_ashrrev_i32_e32 v11, 31, v10
	s_ashr_i32 s1, s0, 31
	v_lshlrev_b64 v[8:9], 1, v[8:9]
	s_lshl_b64 s[0:1], s[0:1], 1
	s_delay_alu instid0(SALU_CYCLE_1) | instskip(SKIP_2) | instid1(VALU_DEP_1)
	s_add_u32 s0, s2, s0
	s_addc_u32 s1, s3, s1
	v_add_co_u32 v12, s0, s0, v73
	v_add_co_ci_u32_e64 v13, null, s1, 0, s0
	v_lshlrev_b64 v[10:11], 1, v[10:11]
	s_delay_alu instid0(VALU_DEP_3) | instskip(NEXT) | instid1(VALU_DEP_3)
	v_add_co_u32 v8, vcc_lo, v12, v8
	v_add_co_ci_u32_e32 v9, vcc_lo, v13, v9, vcc_lo
	s_delay_alu instid0(VALU_DEP_3) | instskip(NEXT) | instid1(VALU_DEP_4)
	v_add_co_u32 v10, vcc_lo, v12, v10
	v_add_co_ci_u32_e32 v11, vcc_lo, v13, v11, vcc_lo
	s_clause 0x1
	global_store_b128 v[8:9], v[0:3], off
	global_store_b128 v[10:11], v[4:7], off
	s_nop 0
	s_sendmsg sendmsg(MSG_DEALLOC_VGPRS)
	s_endpgm
	.section	.rodata,"a",@progbits
	.p2align	6, 0x0
	.amdhsa_kernel _Z39paged_attention_ll4mi_QKV_mfma16_kernelI14__hip_bfloat16hLN4vllm18Fp8KVCacheDataTypeE1EhLi16ELi64ELi256ELb0ELi4EL8MFMAType0EEvPKT_PKT0_S9_ifPKiSB_SB_iPKfiiiPfSE_PS4_PT2_iSD_SD_
		.amdhsa_group_segment_fixed_size 17472
		.amdhsa_private_segment_fixed_size 0
		.amdhsa_kernarg_size 400
		.amdhsa_user_sgpr_count 13
		.amdhsa_user_sgpr_dispatch_ptr 0
		.amdhsa_user_sgpr_queue_ptr 0
		.amdhsa_user_sgpr_kernarg_segment_ptr 1
		.amdhsa_user_sgpr_dispatch_id 0
		.amdhsa_user_sgpr_private_segment_size 0
		.amdhsa_wavefront_size32 1
		.amdhsa_uses_dynamic_stack 0
		.amdhsa_enable_private_segment 0
		.amdhsa_system_sgpr_workgroup_id_x 1
		.amdhsa_system_sgpr_workgroup_id_y 1
		.amdhsa_system_sgpr_workgroup_id_z 1
		.amdhsa_system_sgpr_workgroup_info 0
		.amdhsa_system_vgpr_workitem_id 0
		.amdhsa_next_free_vgpr 124
		.amdhsa_next_free_sgpr 38
		.amdhsa_reserve_vcc 1
		.amdhsa_float_round_mode_32 0
		.amdhsa_float_round_mode_16_64 0
		.amdhsa_float_denorm_mode_32 3
		.amdhsa_float_denorm_mode_16_64 3
		.amdhsa_dx10_clamp 1
		.amdhsa_ieee_mode 1
		.amdhsa_fp16_overflow 0
		.amdhsa_workgroup_processor_mode 1
		.amdhsa_memory_ordered 1
		.amdhsa_forward_progress 0
		.amdhsa_shared_vgpr_count 0
		.amdhsa_exception_fp_ieee_invalid_op 0
		.amdhsa_exception_fp_denorm_src 0
		.amdhsa_exception_fp_ieee_div_zero 0
		.amdhsa_exception_fp_ieee_overflow 0
		.amdhsa_exception_fp_ieee_underflow 0
		.amdhsa_exception_fp_ieee_inexact 0
		.amdhsa_exception_int_div_zero 0
	.end_amdhsa_kernel
	.section	.text._Z39paged_attention_ll4mi_QKV_mfma16_kernelI14__hip_bfloat16hLN4vllm18Fp8KVCacheDataTypeE1EhLi16ELi64ELi256ELb0ELi4EL8MFMAType0EEvPKT_PKT0_S9_ifPKiSB_SB_iPKfiiiPfSE_PS4_PT2_iSD_SD_,"axG",@progbits,_Z39paged_attention_ll4mi_QKV_mfma16_kernelI14__hip_bfloat16hLN4vllm18Fp8KVCacheDataTypeE1EhLi16ELi64ELi256ELb0ELi4EL8MFMAType0EEvPKT_PKT0_S9_ifPKiSB_SB_iPKfiiiPfSE_PS4_PT2_iSD_SD_,comdat
.Lfunc_end1697:
	.size	_Z39paged_attention_ll4mi_QKV_mfma16_kernelI14__hip_bfloat16hLN4vllm18Fp8KVCacheDataTypeE1EhLi16ELi64ELi256ELb0ELi4EL8MFMAType0EEvPKT_PKT0_S9_ifPKiSB_SB_iPKfiiiPfSE_PS4_PT2_iSD_SD_, .Lfunc_end1697-_Z39paged_attention_ll4mi_QKV_mfma16_kernelI14__hip_bfloat16hLN4vllm18Fp8KVCacheDataTypeE1EhLi16ELi64ELi256ELb0ELi4EL8MFMAType0EEvPKT_PKT0_S9_ifPKiSB_SB_iPKfiiiPfSE_PS4_PT2_iSD_SD_
                                        ; -- End function
	.section	.AMDGPU.csdata,"",@progbits
; Kernel info:
; codeLenInByte = 8604
; NumSgprs: 40
; NumVgprs: 124
; ScratchSize: 0
; MemoryBound: 0
; FloatMode: 240
; IeeeMode: 1
; LDSByteSize: 17472 bytes/workgroup (compile time only)
; SGPRBlocks: 4
; VGPRBlocks: 15
; NumSGPRsForWavesPerEU: 40
; NumVGPRsForWavesPerEU: 124
; Occupancy: 10
; WaveLimiterHint : 1
; COMPUTE_PGM_RSRC2:SCRATCH_EN: 0
; COMPUTE_PGM_RSRC2:USER_SGPR: 13
; COMPUTE_PGM_RSRC2:TRAP_HANDLER: 0
; COMPUTE_PGM_RSRC2:TGID_X_EN: 1
; COMPUTE_PGM_RSRC2:TGID_Y_EN: 1
; COMPUTE_PGM_RSRC2:TGID_Z_EN: 1
; COMPUTE_PGM_RSRC2:TIDIG_COMP_CNT: 0
	.section	.text._Z39paged_attention_ll4mi_QKV_mfma16_kernelI14__hip_bfloat16hLN4vllm18Fp8KVCacheDataTypeE1ES0_Li16ELi64ELi256ELb1ELi5EL8MFMAType0EEvPKT_PKT0_S9_ifPKiSB_SB_iPKfiiiPfSE_PS4_PT2_iSD_SD_,"axG",@progbits,_Z39paged_attention_ll4mi_QKV_mfma16_kernelI14__hip_bfloat16hLN4vllm18Fp8KVCacheDataTypeE1ES0_Li16ELi64ELi256ELb1ELi5EL8MFMAType0EEvPKT_PKT0_S9_ifPKiSB_SB_iPKfiiiPfSE_PS4_PT2_iSD_SD_,comdat
	.protected	_Z39paged_attention_ll4mi_QKV_mfma16_kernelI14__hip_bfloat16hLN4vllm18Fp8KVCacheDataTypeE1ES0_Li16ELi64ELi256ELb1ELi5EL8MFMAType0EEvPKT_PKT0_S9_ifPKiSB_SB_iPKfiiiPfSE_PS4_PT2_iSD_SD_ ; -- Begin function _Z39paged_attention_ll4mi_QKV_mfma16_kernelI14__hip_bfloat16hLN4vllm18Fp8KVCacheDataTypeE1ES0_Li16ELi64ELi256ELb1ELi5EL8MFMAType0EEvPKT_PKT0_S9_ifPKiSB_SB_iPKfiiiPfSE_PS4_PT2_iSD_SD_
	.globl	_Z39paged_attention_ll4mi_QKV_mfma16_kernelI14__hip_bfloat16hLN4vllm18Fp8KVCacheDataTypeE1ES0_Li16ELi64ELi256ELb1ELi5EL8MFMAType0EEvPKT_PKT0_S9_ifPKiSB_SB_iPKfiiiPfSE_PS4_PT2_iSD_SD_
	.p2align	8
	.type	_Z39paged_attention_ll4mi_QKV_mfma16_kernelI14__hip_bfloat16hLN4vllm18Fp8KVCacheDataTypeE1ES0_Li16ELi64ELi256ELb1ELi5EL8MFMAType0EEvPKT_PKT0_S9_ifPKiSB_SB_iPKfiiiPfSE_PS4_PT2_iSD_SD_,@function
_Z39paged_attention_ll4mi_QKV_mfma16_kernelI14__hip_bfloat16hLN4vllm18Fp8KVCacheDataTypeE1ES0_Li16ELi64ELi256ELb1ELi5EL8MFMAType0EEvPKT_PKT0_S9_ifPKiSB_SB_iPKfiiiPfSE_PS4_PT2_iSD_SD_: ; @_Z39paged_attention_ll4mi_QKV_mfma16_kernelI14__hip_bfloat16hLN4vllm18Fp8KVCacheDataTypeE1ES0_Li16ELi64ELi256ELb1ELi5EL8MFMAType0EEvPKT_PKT0_S9_ifPKiSB_SB_iPKfiiiPfSE_PS4_PT2_iSD_SD_
; %bb.0:
	s_load_b64 s[2:3], s[0:1], 0x30
	s_mov_b32 s34, s13
	s_waitcnt lgkmcnt(0)
	s_cmp_lg_u64 s[2:3], 0
	s_cselect_b32 s8, -1, 0
	s_ashr_i32 s35, s13, 31
	s_cmp_eq_u64 s[2:3], 0
	s_cbranch_scc1 .LBB1698_3
; %bb.1:
	s_lshl_b64 s[4:5], s[34:35], 2
	s_delay_alu instid0(SALU_CYCLE_1) | instskip(SKIP_4) | instid1(SALU_CYCLE_1)
	s_add_u32 s4, s2, s4
	s_addc_u32 s5, s3, s5
	s_load_b64 s[4:5], s[4:5], 0x0
	s_waitcnt lgkmcnt(0)
	s_sub_i32 s4, s5, s4
	s_cmp_eq_u32 s4, 1
	s_cselect_b32 s4, -1, 0
	s_delay_alu instid0(SALU_CYCLE_1)
	s_and_not1_b32 vcc_lo, exec_lo, s4
	s_cbranch_vccz .LBB1698_4
.LBB1698_2:
	s_nop 0
	s_sendmsg sendmsg(MSG_DEALLOC_VGPRS)
	s_endpgm
.LBB1698_3:
.LBB1698_4:
	s_load_b64 s[4:5], s[0:1], 0x28
	s_lshl_b64 s[6:7], s[34:35], 2
	s_waitcnt lgkmcnt(0)
	s_add_u32 s4, s4, s6
	s_addc_u32 s5, s5, s7
	s_lshl_b32 s12, s14, 8
	s_load_b32 s24, s[4:5], 0x0
	s_waitcnt lgkmcnt(0)
	s_cmp_ge_i32 s12, s24
	s_cbranch_scc1 .LBB1698_2
; %bb.5:
	s_clause 0x1
	s_load_b128 s[20:23], s[0:1], 0x8
	s_load_b64 s[4:5], s[0:1], 0x20
	s_and_not1_b32 vcc_lo, exec_lo, s8
	s_cbranch_vccnz .LBB1698_7
; %bb.6:
	s_add_u32 s2, s2, s6
	s_addc_u32 s3, s3, s7
	s_load_b32 s3, s[2:3], 0x0
	s_branch .LBB1698_8
.LBB1698_7:
	s_mov_b32 s3, s34
.LBB1698_8:
	s_load_b128 s[16:19], s[0:1], 0x48
	v_lshrrev_b32_e32 v66, 5, v0
	v_bfe_u32 v74, v0, 4, 1
	v_and_b32_e32 v65, 15, v0
	v_and_b32_e32 v67, 31, v0
	;; [unrolled: 1-line block ×3, first 2 shown]
	s_mul_i32 s31, s15, 5
	v_lshl_or_b32 v1, v66, 1, v74
	v_lshlrev_b32_e32 v2, 3, v65
	v_cmp_gt_u32_e64 s2, 8, v65
	s_delay_alu instid0(VALU_DEP_3) | instskip(NEXT) | instid1(VALU_DEP_3)
	v_cmp_gt_u32_e32 vcc_lo, 5, v1
	v_lshlrev_b32_e32 v73, 1, v2
	s_delay_alu instid0(VALU_DEP_3) | instskip(NEXT) | instid1(SALU_CYCLE_1)
	s_and_b32 s7, s2, vcc_lo
	s_and_saveexec_b32 s6, s7
	s_cbranch_execz .LBB1698_10
; %bb.9:
	s_load_b64 s[8:9], s[0:1], 0x0
	v_add_lshl_u32 v2, v1, s31, 6
	s_waitcnt lgkmcnt(0)
	s_mul_hi_i32 s11, s3, s16
	s_mul_i32 s10, s3, s16
	v_lshlrev_b32_e32 v6, 10, v65
	s_lshl_b64 s[10:11], s[10:11], 1
	v_ashrrev_i32_e32 v3, 31, v2
	v_lshlrev_b32_e32 v1, 6, v1
	v_lshlrev_b32_e32 v7, 10, v75
	v_and_b32_e32 v6, 0x3800, v6
	s_delay_alu instid0(VALU_DEP_4) | instskip(NEXT) | instid1(VALU_DEP_2)
	v_lshlrev_b64 v[2:3], 1, v[2:3]
	v_or3_b32 v1, v6, v7, v1
	s_add_u32 s3, s8, s10
	s_addc_u32 s7, s9, s11
	s_delay_alu instid0(VALU_DEP_2) | instskip(NEXT) | instid1(VALU_DEP_3)
	v_add_co_u32 v2, vcc_lo, s3, v2
	v_add_co_ci_u32_e32 v3, vcc_lo, s7, v3, vcc_lo
	s_delay_alu instid0(VALU_DEP_2) | instskip(NEXT) | instid1(VALU_DEP_2)
	v_add_co_u32 v2, vcc_lo, v2, v73
	v_add_co_ci_u32_e32 v3, vcc_lo, 0, v3, vcc_lo
	global_load_b128 v[2:5], v[2:3], off
	s_waitcnt vmcnt(0)
	ds_store_b128 v1, v[2:5]
.LBB1698_10:
	s_or_b32 exec_lo, exec_lo, s6
	v_and_b32_e32 v1, 0xef, v0
	s_waitcnt lgkmcnt(0)
	s_add_i32 s3, s24, 15
	s_clause 0x1
	s_load_b32 s6, s[0:1], 0x38
	s_load_b32 s19, s[0:1], 0x1c
	s_ashr_i32 s7, s3, 31
	v_add_nc_u32_e32 v1, s12, v1
	s_lshr_b32 s7, s7, 28
	s_waitcnt lgkmcnt(0)
	s_add_i32 s3, s3, s7
	s_barrier
	v_ashrrev_i32_e32 v2, 31, v1
	v_or_b32_e32 v3, 16, v1
	s_ashr_i32 s3, s3, 4
	v_cmp_gt_i32_e32 vcc_lo, s24, v1
	s_add_i32 s3, s3, -1
	v_lshrrev_b32_e32 v2, 28, v2
	buffer_gl0_inv
	s_mul_i32 s27, s15, s18
	v_add_nc_u32_e32 v4, v1, v2
	s_mul_i32 s6, s34, s6
	s_delay_alu instid0(SALU_CYCLE_1) | instskip(NEXT) | instid1(VALU_DEP_1)
	s_ashr_i32 s7, s6, 31
	v_ashrrev_i32_e32 v4, 4, v4
	v_add_nc_u32_e32 v2, v3, v2
	s_lshl_b64 s[6:7], s[6:7], 2
	s_delay_alu instid0(SALU_CYCLE_1) | instskip(NEXT) | instid1(VALU_DEP_2)
	s_add_u32 s26, s4, s6
	v_cndmask_b32_e32 v1, s3, v4, vcc_lo
	s_delay_alu instid0(VALU_DEP_2)
	v_ashrrev_i32_e32 v2, 4, v2
	v_cmp_gt_i32_e32 vcc_lo, s24, v3
	s_addc_u32 s25, s5, s7
	s_ashr_i32 s28, s27, 31
	s_add_u32 s13, s20, s27
	s_addc_u32 s15, s21, s28
	v_cndmask_b32_e32 v3, s3, v2, vcc_lo
	v_ashrrev_i32_e32 v2, 31, v1
	s_lshl_b32 s4, s14, 4
	s_delay_alu instid0(SALU_CYCLE_1) | instskip(NEXT) | instid1(VALU_DEP_2)
	s_ashr_i32 s5, s4, 31
	v_ashrrev_i32_e32 v4, 31, v3
	s_delay_alu instid0(VALU_DEP_2) | instskip(SKIP_1) | instid1(SALU_CYCLE_1)
	v_lshlrev_b64 v[1:2], 2, v[1:2]
	s_lshl_b64 s[4:5], s[4:5], 2
	s_add_u32 s4, s26, s4
	s_delay_alu instid0(VALU_DEP_2) | instskip(SKIP_1) | instid1(VALU_DEP_2)
	v_lshlrev_b64 v[3:4], 2, v[3:4]
	s_addc_u32 s5, s25, s5
	v_add_co_u32 v1, vcc_lo, s26, v1
	v_add_co_ci_u32_e32 v2, vcc_lo, s25, v2, vcc_lo
	s_delay_alu instid0(VALU_DEP_3) | instskip(NEXT) | instid1(VALU_DEP_4)
	v_add_co_u32 v3, vcc_lo, s26, v3
	v_add_co_ci_u32_e32 v4, vcc_lo, s25, v4, vcc_lo
	s_clause 0x1
	global_load_b32 v5, v[1:2], off
	global_load_b32 v7, v[3:4], off
	s_or_b32 s6, s12, 32
	v_lshlrev_b32_e32 v1, 4, v0
	s_ashr_i32 s7, s6, 4
	s_cmp_lt_i32 s6, s24
	s_cselect_b32 s6, s7, s3
	s_delay_alu instid0(VALU_DEP_1) | instskip(SKIP_1) | instid1(SALU_CYCLE_1)
	v_and_b32_e32 v1, 0xf0, v1
	s_ashr_i32 s7, s6, 31
	s_lshl_b64 s[6:7], s[6:7], 2
	s_delay_alu instid0(SALU_CYCLE_1)
	s_add_u32 s6, s26, s6
	s_addc_u32 s7, s25, s7
	s_or_b32 s8, s12, 64
	v_add_co_u32 v1, s13, s13, v1
	s_ashr_i32 s9, s8, 4
	s_cmp_lt_i32 s8, s24
	v_add_co_ci_u32_e64 v2, null, s15, 0, s13
	s_cselect_b32 s8, s9, s3
	s_delay_alu instid0(SALU_CYCLE_1) | instskip(NEXT) | instid1(SALU_CYCLE_1)
	s_ashr_i32 s9, s8, 31
	s_lshl_b64 s[8:9], s[8:9], 2
	s_delay_alu instid0(SALU_CYCLE_1) | instskip(SKIP_2) | instid1(SALU_CYCLE_1)
	s_add_u32 s8, s26, s8
	s_addc_u32 s9, s25, s9
	s_or_b32 s10, s12, 0x60
	s_ashr_i32 s11, s10, 4
	s_cmp_lt_i32 s10, s24
	s_cselect_b32 s10, s11, s3
	s_delay_alu instid0(SALU_CYCLE_1) | instskip(NEXT) | instid1(SALU_CYCLE_1)
	s_ashr_i32 s11, s10, 31
	s_lshl_b64 s[10:11], s[10:11], 2
	s_delay_alu instid0(SALU_CYCLE_1) | instskip(SKIP_2) | instid1(SALU_CYCLE_1)
	s_add_u32 s10, s26, s10
	s_addc_u32 s11, s25, s11
	s_or_b32 s16, s12, 0x80
	s_ashr_i32 s18, s16, 4
	s_cmp_lt_i32 s16, s24
	s_cselect_b32 s20, s18, s3
	s_delay_alu instid0(SALU_CYCLE_1) | instskip(NEXT) | instid1(SALU_CYCLE_1)
	s_ashr_i32 s21, s20, 31
	s_lshl_b64 s[20:21], s[20:21], 2
	s_delay_alu instid0(SALU_CYCLE_1) | instskip(SKIP_2) | instid1(SALU_CYCLE_1)
	s_add_u32 s36, s26, s20
	s_addc_u32 s37, s25, s21
	s_or_b32 s16, s12, 0xa0
	s_ashr_i32 s18, s16, 4
	s_cmp_lt_i32 s16, s24
	s_cselect_b32 s20, s18, s3
	s_delay_alu instid0(SALU_CYCLE_1) | instskip(NEXT) | instid1(SALU_CYCLE_1)
	s_ashr_i32 s21, s20, 31
	s_lshl_b64 s[20:21], s[20:21], 2
	s_delay_alu instid0(SALU_CYCLE_1)
	s_add_u32 s38, s26, s20
	s_addc_u32 s39, s25, s21
	s_clause 0x5
	s_load_b32 s21, s[4:5], 0x0
	s_load_b32 s13, s[6:7], 0x0
	;; [unrolled: 1-line block ×6, first 2 shown]
	s_or_b32 s9, s12, 0xc0
	s_mov_b32 s4, 0
	s_ashr_i32 s10, s9, 4
	s_cmp_lt_i32 s9, s24
	s_mov_b32 s11, s4
	s_cselect_b32 s36, s10, s3
	s_mov_b32 s5, s4
	s_ashr_i32 s37, s36, 31
	s_mov_b32 s6, s4
	s_lshl_b64 s[36:37], s[36:37], 2
	s_mov_b32 s7, s4
	s_add_u32 s36, s26, s36
	s_addc_u32 s37, s25, s37
	s_or_b32 s29, s12, 0xe0
	s_mov_b32 s8, s4
	s_ashr_i32 s30, s29, 4
	s_mov_b32 s9, s4
	s_mov_b32 s10, s4
	s_cmp_lt_i32 s29, s24
	v_dual_mov_b32 v107, s11 :: v_dual_mov_b32 v100, s4
	v_mov_b32_e32 v106, s10
	v_dual_mov_b32 v104, s8 :: v_dual_mov_b32 v103, s7
	v_dual_mov_b32 v102, s6 :: v_dual_mov_b32 v101, s5
	s_waitcnt vmcnt(1)
	v_mad_i64_i32 v[3:4], null, v5, s17, v[1:2]
	s_waitcnt vmcnt(0)
	v_mad_i64_i32 v[5:6], null, v7, s17, v[1:2]
	v_mul_lo_u16 v1, v65, 52
	v_lshlrev_b32_e32 v2, 4, v65
	s_clause 0x7
	global_load_b128 v[49:52], v[3:4], off
	global_load_b128 v[53:56], v[3:4], off offset:256
	global_load_b128 v[76:79], v[5:6], off
	global_load_b128 v[80:83], v[5:6], off offset:256
	global_load_b128 v[84:87], v[3:4], off offset:512
	;; [unrolled: 1-line block ×5, first 2 shown]
	v_lshrrev_b16 v1, 8, v1
	v_lshl_or_b32 v2, v66, 8, v2
	s_delay_alu instid0(VALU_DEP_2) | instskip(NEXT) | instid1(VALU_DEP_1)
	v_mul_lo_u16 v1, v1, 5
	v_sub_nc_u16 v1, v65, v1
	s_delay_alu instid0(VALU_DEP_1)
	v_and_b32_e32 v1, 0xff, v1
	v_mov_b32_e32 v105, s9
	s_cselect_b32 s4, s30, s3
	s_load_b32 s3, s[36:37], 0x0
	s_ashr_i32 s5, s4, 31
	v_lshlrev_b32_e32 v70, 6, v1
	s_lshl_b64 s[4:5], s[4:5], 2
	ds_load_b128 v[108:111], v70
	ds_load_b128 v[112:115], v70 offset:1024
	s_add_u32 s4, s26, s4
	s_addc_u32 s5, s25, s5
	s_add_u32 s6, s22, s27
	s_load_b32 s4, s[4:5], 0x0
	s_addc_u32 s7, s23, s28
	v_add_co_u32 v9, s6, s6, v2
	s_delay_alu instid0(VALU_DEP_1) | instskip(SKIP_1) | instid1(VALU_DEP_1)
	v_add_co_ci_u32_e64 v10, null, s7, 0, s6
	s_waitcnt lgkmcnt(0)
	v_mad_i64_i32 v[1:2], null, s21, s17, v[9:10]
	v_mad_i64_i32 v[3:4], null, s13, s17, v[9:10]
	;; [unrolled: 1-line block ×7, first 2 shown]
	s_clause 0x9
	global_load_b128 v[57:60], v[1:2], off
	global_load_b128 v[61:64], v[1:2], off offset:16
	global_load_b128 v[41:44], v[3:4], off
	global_load_b128 v[45:48], v[3:4], off offset:16
	;; [unrolled: 2-line block ×5, first 2 shown]
	v_mad_i64_i32 v[68:69], null, s4, s17, v[9:10]
	s_clause 0x3
	global_load_b128 v[9:12], v[13:14], off
	global_load_b128 v[13:16], v[13:14], off offset:16
	global_load_b128 v[17:20], v[21:22], off
	global_load_b128 v[21:24], v[21:22], off offset:16
	s_waitcnt vmcnt(20)
	v_wmma_f32_16x16x16_bf16 v[116:123], v[49:56], v[108:115], v[100:107]
	s_clause 0x1
	global_load_b128 v[49:52], v[68:69], off
	global_load_b128 v[53:56], v[68:69], off offset:16
	v_and_b32_e32 v68, 0xe0, v0
	v_mbcnt_lo_u32_b32 v69, -1, 0
	s_delay_alu instid0(VALU_DEP_2)
	v_add_nc_u32_e32 v68, s12, v68
	s_waitcnt vmcnt(20)
	v_wmma_f32_16x16x16_bf16 v[100:107], v[76:83], v[108:115], v[100:107]
	ds_load_b128 v[76:79], v70 offset:2048
	ds_load_b128 v[80:83], v70 offset:3072
	v_xor_b32_e32 v70, 16, v69
	s_waitcnt vmcnt(0) lgkmcnt(0)
	v_or_b32_e32 v68, v68, v74
	s_barrier
	buffer_gl0_inv
	v_cmp_gt_i32_e32 vcc_lo, 32, v70
	v_or_b32_e32 v71, 4, v68
	v_or_b32_e32 v72, 6, v68
	v_cmp_gt_i32_e64 s3, s24, v68
	v_or_b32_e32 v108, 8, v68
	v_or_b32_e32 v109, 10, v68
	v_cmp_gt_i32_e64 s4, s24, v71
	v_cmp_gt_i32_e64 s5, s24, v72
	s_delay_alu instid0(VALU_DEP_4) | instskip(NEXT) | instid1(VALU_DEP_4)
	v_cmp_gt_i32_e64 s6, s24, v108
	v_cmp_gt_i32_e64 s7, s24, v109
	v_wmma_f32_16x16x16_bf16 v[116:123], v[84:91], v[76:83], v[116:123]
	v_cndmask_b32_e32 v69, v69, v70, vcc_lo
	v_or_b32_e32 v70, 2, v68
	v_wmma_f32_16x16x16_bf16 v[100:107], v[92:99], v[76:83], v[100:107]
	v_or_b32_e32 v89, 22, v68
	v_dual_mul_f32 v80, s19, v121 :: v_dual_mul_f32 v81, s19, v120
	v_dual_mul_f32 v92, s19, v117 :: v_dual_mul_f32 v93, s19, v116
	s_delay_alu instid0(VALU_DEP_4)
	v_mul_f32_e32 v96, s19, v105
	v_cmp_gt_i32_e32 vcc_lo, s24, v70
	v_dual_mul_f32 v79, s19, v122 :: v_dual_mul_f32 v82, s19, v119
	v_dual_mul_f32 v83, s19, v118 :: v_dual_mul_f32 v94, s19, v107
	v_cndmask_b32_e64 v93, 0xff7fffff, v93, s3
	v_cndmask_b32_e32 v92, 0xff7fffff, v92, vcc_lo
	v_or_b32_e32 v84, 12, v68
	v_or_b32_e32 v85, 14, v68
	v_cndmask_b32_e64 v71, 0xff7fffff, v83, s4
	v_cndmask_b32_e64 v72, 0xff7fffff, v82, s5
	v_cmp_gt_i32_e64 s13, s24, v89
	v_lshlrev_b32_e32 v89, 2, v69
	v_max3_f32 v82, v93, 0xff7fffff, v92
	v_or_b32_e32 v86, 16, v68
	v_or_b32_e32 v87, 18, v68
	v_mul_f32_e32 v78, s19, v123
	v_cndmask_b32_e64 v81, 0xff7fffff, v81, s6
	v_cndmask_b32_e64 v80, 0xff7fffff, v80, s7
	v_max3_f32 v71, v82, v71, v72
	v_cmp_gt_i32_e64 s8, s24, v84
	v_cmp_gt_i32_e64 s9, s24, v85
	v_or_b32_e32 v88, 20, v68
	v_or_b32_e32 v90, 24, v68
	;; [unrolled: 1-line block ×5, first 2 shown]
	v_dual_mul_f32 v97, s19, v104 :: v_dual_mul_f32 v70, s19, v101
	v_dual_mul_f32 v99, s19, v102 :: v_dual_mul_f32 v68, s19, v100
	v_cndmask_b32_e64 v72, 0xff7fffff, v79, s8
	v_cndmask_b32_e64 v78, 0xff7fffff, v78, s9
	v_max3_f32 v71, v71, v81, v80
	v_cmp_gt_i32_e64 s10, s24, v86
	v_cmp_gt_i32_e64 s11, s24, v87
	v_dual_mul_f32 v95, s19, v106 :: v_dual_mul_f32 v98, s19, v103
	s_delay_alu instid0(VALU_DEP_4) | instskip(NEXT) | instid1(VALU_DEP_4)
	v_max3_f32 v71, v71, v72, v78
	v_cndmask_b32_e64 v68, 0xff7fffff, v68, s10
	s_delay_alu instid0(VALU_DEP_4)
	v_cndmask_b32_e64 v70, 0xff7fffff, v70, s11
	v_cmp_gt_i32_e64 s12, s24, v88
	v_cndmask_b32_e64 v78, 0xff7fffff, v98, s13
	v_cmp_gt_i32_e64 s15, s24, v90
	v_cmp_gt_i32_e64 s16, s24, v91
	v_max3_f32 v68, v71, v68, v70
	v_cndmask_b32_e64 v72, 0xff7fffff, v99, s12
	v_cmp_gt_i32_e64 s17, s24, v76
	v_cndmask_b32_e64 v70, 0xff7fffff, v97, s15
	v_cndmask_b32_e64 v71, 0xff7fffff, v96, s16
	v_cmp_gt_i32_e64 s18, s24, v77
	v_max3_f32 v68, v68, v72, v78
	v_cndmask_b32_e64 v72, 0xff7fffff, v95, s17
	s_delay_alu instid0(VALU_DEP_3) | instskip(NEXT) | instid1(VALU_DEP_3)
	v_cndmask_b32_e64 v76, 0xff7fffff, v94, s18
	v_max3_f32 v68, v68, v70, v71
	s_delay_alu instid0(VALU_DEP_1) | instskip(SKIP_3) | instid1(VALU_DEP_1)
	v_max3_f32 v68, v68, v72, v76
	ds_bpermute_b32 v69, v89, v68
	s_waitcnt lgkmcnt(0)
	v_max_f32_e32 v69, v69, v69
	v_max_f32_e32 v68, v68, v69
	s_delay_alu instid0(VALU_DEP_1) | instskip(NEXT) | instid1(VALU_DEP_1)
	v_fma_f32 v71, s19, v118, -v68
	v_mul_f32_e32 v71, 0x3fb8aa3b, v71
	v_fma_f32 v70, s19, v117, -v68
	v_fma_f32 v69, s19, v116, -v68
	;; [unrolled: 1-line block ×5, first 2 shown]
	s_delay_alu instid0(VALU_DEP_4) | instskip(SKIP_1) | instid1(VALU_DEP_3)
	v_dual_mul_f32 v70, 0x3fb8aa3b, v70 :: v_dual_mul_f32 v69, 0x3fb8aa3b, v69
	v_exp_f32_e32 v71, v71
	v_mul_f32_e32 v72, 0x3fb8aa3b, v72
	v_fma_f32 v81, s19, v105, -v68
	s_delay_alu instid0(VALU_DEP_3)
	v_exp_f32_e32 v70, v70
	v_mul_f32_e32 v77, 0x3fb8aa3b, v76
	v_exp_f32_e32 v69, v69
	v_exp_f32_e32 v72, v72
	v_mul_f32_e32 v81, 0x3fb8aa3b, v81
	v_cndmask_b32_e64 v83, 0, v71, s4
	v_fma_f32 v71, s19, v123, -v68
	s_delay_alu instid0(VALU_DEP_3) | instskip(SKIP_4) | instid1(TRANS32_DEP_3)
	v_exp_f32_e32 v81, v81
	v_cndmask_b32_e32 v76, 0, v70, vcc_lo
	v_exp_f32_e32 v77, v77
	v_cndmask_b32_e64 v80, 0, v69, s3
	v_fma_f32 v69, s19, v121, -v68
	v_cndmask_b32_e64 v85, 0, v72, s5
	v_mul_f32_e32 v71, 0x3fb8aa3b, v71
	v_fma_f32 v72, s19, v100, -v68
	s_delay_alu instid0(VALU_DEP_4) | instskip(SKIP_1) | instid1(VALU_DEP_4)
	v_dual_add_f32 v70, 0, v80 :: v_dual_mul_f32 v69, 0x3fb8aa3b, v69
	v_cmp_gt_u32_e64 s3, 16, v67
	v_exp_f32_e32 v71, v71
	s_delay_alu instid0(TRANS32_DEP_2) | instskip(SKIP_4) | instid1(VALU_DEP_3)
	v_cndmask_b32_e64 v86, 0, v77, s6
	v_fma_f32 v77, s19, v101, -v68
	v_mul_f32_e32 v78, 0x3fb8aa3b, v78
	v_add_f32_e32 v70, v70, v76
	v_exp_f32_e32 v69, v69
	v_mul_f32_e32 v77, 0x3fb8aa3b, v77
	s_delay_alu instid0(VALU_DEP_3) | instskip(NEXT) | instid1(TRANS32_DEP_3)
	v_exp_f32_e32 v78, v78
	v_cndmask_b32_e64 v88, 0, v71, s9
	v_fma_f32 v71, s19, v104, -v68
	s_delay_alu instid0(VALU_DEP_3) | instskip(NEXT) | instid1(TRANS32_DEP_3)
	v_exp_f32_e32 v77, v77
	v_cndmask_b32_e64 v87, 0, v69, s7
	s_delay_alu instid0(VALU_DEP_2)
	v_mul_f32_e32 v71, 0x3fb8aa3b, v71
	s_waitcnt_depctr 0xfff
	v_cndmask_b32_e64 v84, 0, v78, s8
	v_add_f32_e32 v70, v70, v83
	v_fma_f32 v78, s19, v103, -v68
	v_exp_f32_e32 v82, v71
	s_delay_alu instid0(VALU_DEP_2) | instskip(SKIP_1) | instid1(VALU_DEP_3)
	v_add_f32_e32 v70, v70, v85
	v_mul_f32_e32 v72, 0x3fb8aa3b, v72
	v_mul_f32_e32 v78, 0x3fb8aa3b, v78
	s_delay_alu instid0(VALU_DEP_3) | instskip(SKIP_1) | instid1(VALU_DEP_4)
	v_add_f32_e32 v69, v70, v86
	v_fma_f32 v70, s19, v102, -v68
	v_exp_f32_e32 v72, v72
	s_delay_alu instid0(VALU_DEP_3) | instskip(NEXT) | instid1(VALU_DEP_1)
	v_exp_f32_e32 v78, v78
	v_dual_add_f32 v69, v69, v87 :: v_dual_mul_f32 v70, 0x3fb8aa3b, v70
	s_delay_alu instid0(VALU_DEP_1) | instskip(NEXT) | instid1(VALU_DEP_2)
	v_add_f32_e32 v69, v69, v84
	v_exp_f32_e32 v79, v70
	s_delay_alu instid0(TRANS32_DEP_3) | instskip(NEXT) | instid1(VALU_DEP_2)
	v_cndmask_b32_e64 v70, 0, v72, s10
	v_add_f32_e32 v72, v69, v88
	v_cndmask_b32_e64 v69, 0, v77, s11
	v_fma_f32 v77, s19, v106, -v68
	s_waitcnt_depctr 0xfff
	v_cndmask_b32_e64 v71, 0, v79, s12
	v_dual_mul_f32 v77, 0x3fb8aa3b, v77 :: v_dual_add_f32 v72, v72, v70
	s_delay_alu instid0(VALU_DEP_1) | instskip(NEXT) | instid1(VALU_DEP_1)
	v_exp_f32_e32 v90, v77
	v_add_f32_e32 v79, v72, v69
	v_cndmask_b32_e64 v72, 0, v78, s13
	v_cndmask_b32_e64 v77, 0, v82, s15
	s_delay_alu instid0(VALU_DEP_3) | instskip(SKIP_1) | instid1(VALU_DEP_1)
	v_add_f32_e32 v78, v79, v71
	v_fma_f32 v79, s19, v107, -v68
	v_dual_add_f32 v82, v78, v72 :: v_dual_mul_f32 v79, 0x3fb8aa3b, v79
	v_cndmask_b32_e64 v78, 0, v81, s16
	s_delay_alu instid0(VALU_DEP_2) | instskip(NEXT) | instid1(VALU_DEP_3)
	v_add_f32_e32 v81, v82, v77
	v_exp_f32_e32 v82, v79
	v_cndmask_b32_e64 v79, 0, v90, s17
	s_delay_alu instid0(VALU_DEP_2) | instskip(NEXT) | instid1(VALU_DEP_1)
	v_add_f32_e32 v81, v81, v78
	v_add_f32_e32 v90, v81, v79
	s_waitcnt_depctr 0xfff
	v_cndmask_b32_e64 v81, 0, v82, s18
	s_delay_alu instid0(VALU_DEP_1)
	v_add_f32_e32 v82, v90, v81
	ds_bpermute_b32 v89, v89, v82
	s_and_saveexec_b32 s4, s3
	s_cbranch_execz .LBB1698_12
; %bb.11:
	v_mul_u32_u24_e32 v67, 0x44, v66
	s_delay_alu instid0(VALU_DEP_1) | instskip(SKIP_1) | instid1(VALU_DEP_1)
	v_lshl_add_u32 v67, v65, 2, v67
	s_waitcnt lgkmcnt(0)
	v_dual_add_f32 v82, v82, v89 :: v_dual_add_nc_u32 v67, 0x4000, v67
	ds_store_2addr_b32 v67, v68, v82 offset1:136
.LBB1698_12:
	s_or_b32 exec_lo, exec_lo, s4
	v_lshlrev_b32_e32 v67, 2, v65
	s_waitcnt lgkmcnt(0)
	s_barrier
	buffer_gl0_inv
	v_cmp_eq_u32_e32 vcc_lo, 1, v66
	v_add_nc_u32_e32 v82, 0x4000, v67
	v_cmp_eq_u32_e64 s4, 2, v66
	v_cmp_eq_u32_e64 s6, 7, v66
	ds_load_2addr_b32 v[89:90], v82 offset1:17
	ds_load_2addr_b32 v[91:92], v82 offset0:34 offset1:51
	ds_load_2addr_b32 v[93:94], v82 offset0:68 offset1:85
	;; [unrolled: 1-line block ×4, first 2 shown]
	s_waitcnt lgkmcnt(4)
	v_max3_f32 v67, v89, 0xff7fffff, v90
	s_waitcnt lgkmcnt(3)
	s_delay_alu instid0(VALU_DEP_1) | instskip(SKIP_1) | instid1(VALU_DEP_1)
	v_max3_f32 v67, v67, v91, v92
	s_waitcnt lgkmcnt(2)
	v_max3_f32 v67, v67, v93, v94
	s_waitcnt lgkmcnt(1)
	s_delay_alu instid0(VALU_DEP_1) | instskip(NEXT) | instid1(VALU_DEP_1)
	v_max3_f32 v67, v67, v95, v96
	v_sub_f32_e32 v93, v93, v67
	s_delay_alu instid0(VALU_DEP_1) | instskip(NEXT) | instid1(VALU_DEP_1)
	v_dual_sub_f32 v68, v89, v67 :: v_dual_mul_f32 v103, 0x3fb8aa3b, v93
	v_mul_f32_e32 v68, 0x3fb8aa3b, v68
	s_delay_alu instid0(VALU_DEP_1)
	v_exp_f32_e32 v100, v68
	v_sub_f32_e32 v68, v92, v67
	v_sub_f32_e32 v99, v90, v67
	ds_load_2addr_b32 v[89:90], v82 offset0:170 offset1:187
	v_dual_mul_f32 v102, 0x3fb8aa3b, v68 :: v_dual_mul_f32 v99, 0x3fb8aa3b, v99
	s_waitcnt lgkmcnt(1)
	v_fma_f32 v68, v100, v97, 0
	s_delay_alu instid0(VALU_DEP_2) | instskip(NEXT) | instid1(VALU_DEP_2)
	v_exp_f32_e32 v102, v102
	v_exp_f32_e32 v99, v99
	s_waitcnt_depctr 0xfff
	v_fmac_f32_e32 v68, v99, v98
	v_sub_f32_e32 v91, v91, v67
	s_delay_alu instid0(VALU_DEP_1)
	v_mul_f32_e32 v101, 0x3fb8aa3b, v91
	ds_load_2addr_b32 v[91:92], v82 offset0:204 offset1:221
	v_sub_f32_e32 v97, v94, v67
	ds_load_2addr_b32 v[93:94], v82 offset0:238 offset1:255
	s_waitcnt lgkmcnt(0)
	v_exp_f32_e32 v101, v101
	s_barrier
	buffer_gl0_inv
	v_dual_fmac_f32 v68, v101, v89 :: v_dual_sub_f32 v89, v96, v67
	v_dual_sub_f32 v82, v95, v67 :: v_dual_mul_f32 v95, 0x3fb8aa3b, v97
	v_exp_f32_e32 v97, v103
	s_delay_alu instid0(VALU_DEP_2) | instskip(NEXT) | instid1(VALU_DEP_2)
	v_dual_fmac_f32 v68, v102, v90 :: v_dual_mul_f32 v89, 0x3fb8aa3b, v89
	v_mul_f32_e32 v82, 0x3fb8aa3b, v82
	s_delay_alu instid0(VALU_DEP_3) | instskip(NEXT) | instid1(VALU_DEP_2)
	v_exp_f32_e32 v95, v95
	v_exp_f32_e32 v89, v89
	s_delay_alu instid0(VALU_DEP_1)
	v_exp_f32_e32 v82, v82
	v_fmac_f32_e32 v68, v97, v91
	s_delay_alu instid0(TRANS32_DEP_3) | instid1(VALU_DEP_1)
	v_fmac_f32_e32 v68, v95, v92
	s_waitcnt_depctr 0xfff
	v_fmac_f32_e32 v68, v82, v93
	s_delay_alu instid0(VALU_DEP_1) | instskip(NEXT) | instid1(VALU_DEP_1)
	v_fmac_f32_e32 v68, v89, v94
	v_add_f32_e32 v90, 0x358637bd, v68
	s_delay_alu instid0(VALU_DEP_1) | instskip(NEXT) | instid1(VALU_DEP_1)
	v_div_scale_f32 v91, null, v90, v90, 1.0
	v_rcp_f32_e32 v92, v91
	s_waitcnt_depctr 0xfff
	v_fma_f32 v93, -v91, v92, 1.0
	s_delay_alu instid0(VALU_DEP_1) | instskip(SKIP_1) | instid1(VALU_DEP_2)
	v_dual_fmac_f32 v92, v93, v92 :: v_dual_cndmask_b32 v93, v100, v99
	v_cmp_eq_u32_e32 vcc_lo, 3, v66
	v_cndmask_b32_e64 v93, v93, v101, s4
	v_cmp_eq_u32_e64 s4, 4, v66
	s_delay_alu instid0(VALU_DEP_2) | instskip(SKIP_1) | instid1(VALU_DEP_2)
	v_cndmask_b32_e32 v93, v93, v102, vcc_lo
	v_cmp_eq_u32_e32 vcc_lo, 5, v66
	v_cndmask_b32_e64 v93, v93, v97, s4
	v_cmp_eq_u32_e64 s4, 6, v66
	s_delay_alu instid0(VALU_DEP_2) | instskip(SKIP_1) | instid1(VALU_DEP_1)
	v_cndmask_b32_e32 v93, v93, v95, vcc_lo
	v_div_scale_f32 v94, s5, 1.0, v90, 1.0
	s_mov_b32 vcc_lo, s5
	s_delay_alu instid0(VALU_DEP_2) | instskip(NEXT) | instid1(VALU_DEP_2)
	v_cndmask_b32_e64 v82, v93, v82, s4
	v_mul_f32_e32 v96, v94, v92
	s_mov_b32 s4, exec_lo
	s_delay_alu instid0(VALU_DEP_2) | instskip(NEXT) | instid1(VALU_DEP_2)
	v_cndmask_b32_e64 v82, v82, v89, s6
	v_fma_f32 v98, -v91, v96, v94
	s_delay_alu instid0(VALU_DEP_1) | instskip(NEXT) | instid1(VALU_DEP_1)
	v_fmac_f32_e32 v96, v98, v92
	v_fma_f32 v91, -v91, v96, v94
	s_delay_alu instid0(VALU_DEP_1) | instskip(NEXT) | instid1(VALU_DEP_1)
	v_div_fmas_f32 v91, v91, v92, v96
	v_div_fixup_f32 v90, v91, v90, 1.0
	s_delay_alu instid0(VALU_DEP_1) | instskip(NEXT) | instid1(VALU_DEP_1)
	v_mul_f32_e32 v82, v82, v90
	v_mul_f32_e32 v87, v82, v87
	;; [unrolled: 1-line block ×7, first 2 shown]
	v_dual_mul_f32 v86, v82, v83 :: v_dual_and_b32 v91, 0x7f800000, v90
	v_mul_f32_e32 v85, v82, v76
                                        ; implicit-def: $vgpr76
	s_delay_alu instid0(VALU_DEP_2)
	v_cmpx_ne_u32_e32 0x7f800000, v91
	s_xor_b32 s4, exec_lo, s4
; %bb.13:
	v_bfe_u32 v76, v90, 16, 1
	s_delay_alu instid0(VALU_DEP_1)
	v_add3_u32 v76, v90, v76, 0x7fff
                                        ; implicit-def: $vgpr90
; %bb.14:
	s_and_not1_saveexec_b32 s4, s4
; %bb.15:
	v_and_b32_e32 v76, 0xffff, v90
	v_or_b32_e32 v83, 0x10000, v90
	s_delay_alu instid0(VALU_DEP_2) | instskip(NEXT) | instid1(VALU_DEP_2)
	v_cmp_eq_u32_e32 vcc_lo, 0, v76
	v_cndmask_b32_e32 v76, v83, v90, vcc_lo
; %bb.16:
	s_or_b32 exec_lo, exec_lo, s4
	v_and_b32_e32 v83, 0x7f800000, v85
	s_delay_alu instid0(VALU_DEP_1) | instskip(SKIP_1) | instid1(SALU_CYCLE_1)
	v_cmp_ne_u32_e32 vcc_lo, 0x7f800000, v83
                                        ; implicit-def: $vgpr83
	s_and_saveexec_b32 s4, vcc_lo
	s_xor_b32 s4, exec_lo, s4
; %bb.17:
	v_bfe_u32 v83, v85, 16, 1
	s_delay_alu instid0(VALU_DEP_1)
	v_add3_u32 v83, v85, v83, 0x7fff
                                        ; implicit-def: $vgpr85
; %bb.18:
	s_and_not1_saveexec_b32 s4, s4
; %bb.19:
	v_and_b32_e32 v83, 0xffff, v85
	v_or_b32_e32 v90, 0x10000, v85
	s_delay_alu instid0(VALU_DEP_2) | instskip(NEXT) | instid1(VALU_DEP_2)
	v_cmp_eq_u32_e32 vcc_lo, 0, v83
	v_cndmask_b32_e32 v83, v90, v85, vcc_lo
; %bb.20:
	s_or_b32 exec_lo, exec_lo, s4
	v_and_b32_e32 v85, 0x7f800000, v86
	s_delay_alu instid0(VALU_DEP_1) | instskip(SKIP_1) | instid1(SALU_CYCLE_1)
	v_cmp_ne_u32_e32 vcc_lo, 0x7f800000, v85
                                        ; implicit-def: $vgpr85
	s_and_saveexec_b32 s4, vcc_lo
	s_xor_b32 s4, exec_lo, s4
; %bb.21:
	v_bfe_u32 v85, v86, 16, 1
	s_delay_alu instid0(VALU_DEP_1)
	v_add3_u32 v85, v86, v85, 0x7fff
                                        ; implicit-def: $vgpr86
; %bb.22:
	s_and_not1_saveexec_b32 s4, s4
; %bb.23:
	v_and_b32_e32 v85, 0xffff, v86
	v_or_b32_e32 v90, 0x10000, v86
	s_delay_alu instid0(VALU_DEP_2) | instskip(NEXT) | instid1(VALU_DEP_2)
	v_cmp_eq_u32_e32 vcc_lo, 0, v85
	v_cndmask_b32_e32 v85, v90, v86, vcc_lo
; %bb.24:
	s_or_b32 exec_lo, exec_lo, s4
	v_and_b32_e32 v86, 0x7f800000, v89
	s_delay_alu instid0(VALU_DEP_1) | instskip(SKIP_1) | instid1(SALU_CYCLE_1)
	v_cmp_ne_u32_e32 vcc_lo, 0x7f800000, v86
                                        ; implicit-def: $vgpr86
	s_and_saveexec_b32 s4, vcc_lo
	s_xor_b32 s4, exec_lo, s4
; %bb.25:
	v_bfe_u32 v86, v89, 16, 1
	s_delay_alu instid0(VALU_DEP_1)
	v_add3_u32 v86, v89, v86, 0x7fff
                                        ; implicit-def: $vgpr89
; %bb.26:
	s_and_not1_saveexec_b32 s4, s4
; %bb.27:
	v_and_b32_e32 v86, 0xffff, v89
	v_or_b32_e32 v90, 0x10000, v89
	s_delay_alu instid0(VALU_DEP_2) | instskip(NEXT) | instid1(VALU_DEP_2)
	v_cmp_eq_u32_e32 vcc_lo, 0, v86
	v_cndmask_b32_e32 v86, v90, v89, vcc_lo
; %bb.28:
	s_or_b32 exec_lo, exec_lo, s4
	v_and_b32_e32 v89, 0x7f800000, v88
	s_delay_alu instid0(VALU_DEP_1) | instskip(SKIP_1) | instid1(SALU_CYCLE_1)
	v_cmp_ne_u32_e32 vcc_lo, 0x7f800000, v89
                                        ; implicit-def: $vgpr89
	s_and_saveexec_b32 s4, vcc_lo
	s_xor_b32 s4, exec_lo, s4
; %bb.29:
	v_bfe_u32 v89, v88, 16, 1
	s_delay_alu instid0(VALU_DEP_1)
	v_add3_u32 v89, v88, v89, 0x7fff
                                        ; implicit-def: $vgpr88
; %bb.30:
	s_and_not1_saveexec_b32 s4, s4
; %bb.31:
	v_and_b32_e32 v89, 0xffff, v88
	v_or_b32_e32 v90, 0x10000, v88
	s_delay_alu instid0(VALU_DEP_2) | instskip(NEXT) | instid1(VALU_DEP_2)
	v_cmp_eq_u32_e32 vcc_lo, 0, v89
	v_cndmask_b32_e32 v89, v90, v88, vcc_lo
; %bb.32:
	s_or_b32 exec_lo, exec_lo, s4
	v_and_b32_e32 v88, 0x7f800000, v87
	s_delay_alu instid0(VALU_DEP_1) | instskip(SKIP_1) | instid1(SALU_CYCLE_1)
	v_cmp_ne_u32_e32 vcc_lo, 0x7f800000, v88
                                        ; implicit-def: $vgpr88
	s_and_saveexec_b32 s4, vcc_lo
	s_xor_b32 s4, exec_lo, s4
; %bb.33:
	v_bfe_u32 v88, v87, 16, 1
	s_delay_alu instid0(VALU_DEP_1)
	v_add3_u32 v88, v87, v88, 0x7fff
                                        ; implicit-def: $vgpr87
; %bb.34:
	s_and_not1_saveexec_b32 s4, s4
; %bb.35:
	v_and_b32_e32 v88, 0xffff, v87
	v_or_b32_e32 v90, 0x10000, v87
	s_delay_alu instid0(VALU_DEP_2) | instskip(NEXT) | instid1(VALU_DEP_2)
	v_cmp_eq_u32_e32 vcc_lo, 0, v88
	v_cndmask_b32_e32 v88, v90, v87, vcc_lo
; %bb.36:
	s_or_b32 exec_lo, exec_lo, s4
	v_and_b32_e32 v87, 0x7f800000, v84
	s_delay_alu instid0(VALU_DEP_1) | instskip(SKIP_1) | instid1(SALU_CYCLE_1)
	v_cmp_ne_u32_e32 vcc_lo, 0x7f800000, v87
                                        ; implicit-def: $vgpr87
	s_and_saveexec_b32 s4, vcc_lo
	s_xor_b32 s4, exec_lo, s4
; %bb.37:
	v_bfe_u32 v87, v84, 16, 1
	s_delay_alu instid0(VALU_DEP_1)
	v_add3_u32 v87, v84, v87, 0x7fff
                                        ; implicit-def: $vgpr84
; %bb.38:
	s_and_not1_saveexec_b32 s4, s4
; %bb.39:
	v_and_b32_e32 v87, 0xffff, v84
	v_or_b32_e32 v90, 0x10000, v84
	s_delay_alu instid0(VALU_DEP_2) | instskip(NEXT) | instid1(VALU_DEP_2)
	v_cmp_eq_u32_e32 vcc_lo, 0, v87
	v_cndmask_b32_e32 v87, v90, v84, vcc_lo
; %bb.40:
	s_or_b32 exec_lo, exec_lo, s4
	v_and_b32_e32 v84, 0x7f800000, v80
	s_delay_alu instid0(VALU_DEP_1) | instskip(SKIP_1) | instid1(SALU_CYCLE_1)
	v_cmp_ne_u32_e32 vcc_lo, 0x7f800000, v84
                                        ; implicit-def: $vgpr84
	s_and_saveexec_b32 s4, vcc_lo
	s_xor_b32 s4, exec_lo, s4
; %bb.41:
	v_bfe_u32 v84, v80, 16, 1
	s_delay_alu instid0(VALU_DEP_1)
	v_add3_u32 v84, v80, v84, 0x7fff
                                        ; implicit-def: $vgpr80
; %bb.42:
	s_and_not1_saveexec_b32 s4, s4
; %bb.43:
	v_and_b32_e32 v84, 0xffff, v80
	v_or_b32_e32 v90, 0x10000, v80
	s_delay_alu instid0(VALU_DEP_2) | instskip(NEXT) | instid1(VALU_DEP_2)
	v_cmp_eq_u32_e32 vcc_lo, 0, v84
	v_cndmask_b32_e32 v84, v90, v80, vcc_lo
; %bb.44:
	s_or_b32 exec_lo, exec_lo, s4
	s_load_b64 s[36:37], s[0:1], 0x94
	v_lshlrev_b32_e32 v91, 4, v74
	s_delay_alu instid0(VALU_DEP_2)
	v_perm_b32 v90, v84, v87, 0x7060302
	v_dual_mul_f32 v79, v82, v79 :: v_dual_lshlrev_b32 v80, 6, v65
	v_dual_mul_f32 v77, v82, v77 :: v_dual_lshlrev_b32 v92, 11, v66
	v_mul_f32_e32 v84, v82, v70
	v_perm_b32 v89, v88, v89, 0x7060302
	v_perm_b32 v88, v86, v85, 0x7060302
	;; [unrolled: 1-line block ×3, first 2 shown]
	v_mul_f32_e32 v70, v82, v81
	v_or3_b32 v76, v91, v92, v80
	v_dual_mul_f32 v78, v82, v78 :: v_dual_and_b32 v85, 0x7f800000, v84
	v_mul_f32_e32 v83, v82, v72
	v_mul_f32_e32 v81, v82, v71
	;; [unrolled: 1-line block ×3, first 2 shown]
	s_mov_b32 s4, exec_lo
	ds_store_b128 v76, v[87:90]
                                        ; implicit-def: $vgpr69
	v_cmpx_ne_u32_e32 0x7f800000, v85
	s_xor_b32 s4, exec_lo, s4
; %bb.45:
	v_bfe_u32 v69, v84, 16, 1
	s_delay_alu instid0(VALU_DEP_1)
	v_add3_u32 v69, v84, v69, 0x7fff
                                        ; implicit-def: $vgpr84
; %bb.46:
	s_and_not1_saveexec_b32 s4, s4
; %bb.47:
	v_and_b32_e32 v69, 0xffff, v84
	v_or_b32_e32 v71, 0x10000, v84
	s_delay_alu instid0(VALU_DEP_2) | instskip(NEXT) | instid1(VALU_DEP_2)
	v_cmp_eq_u32_e32 vcc_lo, 0, v69
	v_cndmask_b32_e32 v69, v71, v84, vcc_lo
; %bb.48:
	s_or_b32 exec_lo, exec_lo, s4
	v_and_b32_e32 v71, 0x7f800000, v72
	s_delay_alu instid0(VALU_DEP_1) | instskip(SKIP_1) | instid1(SALU_CYCLE_1)
	v_cmp_ne_u32_e32 vcc_lo, 0x7f800000, v71
                                        ; implicit-def: $vgpr71
	s_and_saveexec_b32 s4, vcc_lo
	s_xor_b32 s4, exec_lo, s4
; %bb.49:
	v_bfe_u32 v71, v72, 16, 1
	s_delay_alu instid0(VALU_DEP_1)
	v_add3_u32 v71, v72, v71, 0x7fff
                                        ; implicit-def: $vgpr72
; %bb.50:
	s_and_not1_saveexec_b32 s4, s4
; %bb.51:
	v_and_b32_e32 v71, 0xffff, v72
	v_or_b32_e32 v82, 0x10000, v72
	s_delay_alu instid0(VALU_DEP_2) | instskip(NEXT) | instid1(VALU_DEP_2)
	v_cmp_eq_u32_e32 vcc_lo, 0, v71
	v_cndmask_b32_e32 v71, v82, v72, vcc_lo
; %bb.52:
	s_or_b32 exec_lo, exec_lo, s4
	v_and_b32_e32 v72, 0x7f800000, v81
	s_delay_alu instid0(VALU_DEP_1) | instskip(SKIP_1) | instid1(SALU_CYCLE_1)
	v_cmp_ne_u32_e32 vcc_lo, 0x7f800000, v72
                                        ; implicit-def: $vgpr72
	s_and_saveexec_b32 s4, vcc_lo
	s_xor_b32 s4, exec_lo, s4
; %bb.53:
	v_bfe_u32 v72, v81, 16, 1
	s_delay_alu instid0(VALU_DEP_1)
	v_add3_u32 v72, v81, v72, 0x7fff
                                        ; implicit-def: $vgpr81
; %bb.54:
	s_and_not1_saveexec_b32 s4, s4
; %bb.55:
	v_and_b32_e32 v72, 0xffff, v81
	v_or_b32_e32 v82, 0x10000, v81
	s_delay_alu instid0(VALU_DEP_2) | instskip(NEXT) | instid1(VALU_DEP_2)
	v_cmp_eq_u32_e32 vcc_lo, 0, v72
	v_cndmask_b32_e32 v72, v82, v81, vcc_lo
; %bb.56:
	s_or_b32 exec_lo, exec_lo, s4
	v_and_b32_e32 v81, 0x7f800000, v83
	s_delay_alu instid0(VALU_DEP_1) | instskip(SKIP_1) | instid1(SALU_CYCLE_1)
	v_cmp_ne_u32_e32 vcc_lo, 0x7f800000, v81
                                        ; implicit-def: $vgpr81
	s_and_saveexec_b32 s4, vcc_lo
	s_xor_b32 s4, exec_lo, s4
; %bb.57:
	v_bfe_u32 v81, v83, 16, 1
	s_delay_alu instid0(VALU_DEP_1)
	v_add3_u32 v81, v83, v81, 0x7fff
                                        ; implicit-def: $vgpr83
; %bb.58:
	s_and_not1_saveexec_b32 s4, s4
; %bb.59:
	v_and_b32_e32 v81, 0xffff, v83
	v_or_b32_e32 v82, 0x10000, v83
	s_delay_alu instid0(VALU_DEP_2) | instskip(NEXT) | instid1(VALU_DEP_2)
	v_cmp_eq_u32_e32 vcc_lo, 0, v81
	v_cndmask_b32_e32 v81, v82, v83, vcc_lo
; %bb.60:
	s_or_b32 exec_lo, exec_lo, s4
	v_and_b32_e32 v82, 0x7f800000, v77
	s_delay_alu instid0(VALU_DEP_1) | instskip(SKIP_1) | instid1(SALU_CYCLE_1)
	v_cmp_ne_u32_e32 vcc_lo, 0x7f800000, v82
                                        ; implicit-def: $vgpr82
	s_and_saveexec_b32 s4, vcc_lo
	s_xor_b32 s4, exec_lo, s4
; %bb.61:
	v_bfe_u32 v82, v77, 16, 1
	s_delay_alu instid0(VALU_DEP_1)
	v_add3_u32 v82, v77, v82, 0x7fff
                                        ; implicit-def: $vgpr77
; %bb.62:
	s_and_not1_saveexec_b32 s4, s4
; %bb.63:
	v_and_b32_e32 v82, 0xffff, v77
	v_or_b32_e32 v83, 0x10000, v77
	s_delay_alu instid0(VALU_DEP_2) | instskip(NEXT) | instid1(VALU_DEP_2)
	v_cmp_eq_u32_e32 vcc_lo, 0, v82
	v_cndmask_b32_e32 v82, v83, v77, vcc_lo
; %bb.64:
	s_or_b32 exec_lo, exec_lo, s4
	v_and_b32_e32 v77, 0x7f800000, v78
	s_delay_alu instid0(VALU_DEP_1) | instskip(SKIP_1) | instid1(SALU_CYCLE_1)
	v_cmp_ne_u32_e32 vcc_lo, 0x7f800000, v77
                                        ; implicit-def: $vgpr77
	s_and_saveexec_b32 s4, vcc_lo
	s_xor_b32 s4, exec_lo, s4
; %bb.65:
	v_bfe_u32 v77, v78, 16, 1
	s_delay_alu instid0(VALU_DEP_1)
	v_add3_u32 v77, v78, v77, 0x7fff
                                        ; implicit-def: $vgpr78
; %bb.66:
	s_and_not1_saveexec_b32 s4, s4
; %bb.67:
	v_and_b32_e32 v77, 0xffff, v78
	v_or_b32_e32 v83, 0x10000, v78
	s_delay_alu instid0(VALU_DEP_2) | instskip(NEXT) | instid1(VALU_DEP_2)
	v_cmp_eq_u32_e32 vcc_lo, 0, v77
	v_cndmask_b32_e32 v77, v83, v78, vcc_lo
; %bb.68:
	s_or_b32 exec_lo, exec_lo, s4
	v_and_b32_e32 v78, 0x7f800000, v79
	s_delay_alu instid0(VALU_DEP_1) | instskip(SKIP_1) | instid1(SALU_CYCLE_1)
	v_cmp_ne_u32_e32 vcc_lo, 0x7f800000, v78
                                        ; implicit-def: $vgpr78
	s_and_saveexec_b32 s4, vcc_lo
	s_xor_b32 s4, exec_lo, s4
; %bb.69:
	v_bfe_u32 v78, v79, 16, 1
	s_delay_alu instid0(VALU_DEP_1)
	v_add3_u32 v78, v79, v78, 0x7fff
                                        ; implicit-def: $vgpr79
; %bb.70:
	s_and_not1_saveexec_b32 s4, s4
; %bb.71:
	v_and_b32_e32 v78, 0xffff, v79
	v_or_b32_e32 v83, 0x10000, v79
	s_delay_alu instid0(VALU_DEP_2) | instskip(NEXT) | instid1(VALU_DEP_2)
	v_cmp_eq_u32_e32 vcc_lo, 0, v78
	v_cndmask_b32_e32 v78, v83, v79, vcc_lo
; %bb.72:
	s_or_b32 exec_lo, exec_lo, s4
	v_and_b32_e32 v79, 0x7f800000, v70
	s_delay_alu instid0(VALU_DEP_1) | instskip(SKIP_1) | instid1(SALU_CYCLE_1)
	v_cmp_ne_u32_e32 vcc_lo, 0x7f800000, v79
                                        ; implicit-def: $vgpr79
	s_and_saveexec_b32 s4, vcc_lo
	s_xor_b32 s4, exec_lo, s4
; %bb.73:
	v_bfe_u32 v79, v70, 16, 1
	s_delay_alu instid0(VALU_DEP_1)
	v_add3_u32 v79, v70, v79, 0x7fff
                                        ; implicit-def: $vgpr70
; %bb.74:
	s_and_not1_saveexec_b32 s4, s4
; %bb.75:
	v_and_b32_e32 v79, 0xffff, v70
	v_or_b32_e32 v83, 0x10000, v70
	s_delay_alu instid0(VALU_DEP_2) | instskip(NEXT) | instid1(VALU_DEP_2)
	v_cmp_eq_u32_e32 vcc_lo, 0, v79
	v_cndmask_b32_e32 v79, v83, v70, vcc_lo
; %bb.76:
	s_or_b32 exec_lo, exec_lo, s4
	s_delay_alu instid0(VALU_DEP_1)
	v_perm_b32 v86, v79, v78, 0x7060302
	v_perm_b32 v85, v77, v82, 0x7060302
	;; [unrolled: 1-line block ×4, first 2 shown]
	v_lshl_or_b32 v82, v66, 11, v80
	ds_store_b128 v76, v[83:86] offset:1024
	s_waitcnt lgkmcnt(0)
	s_barrier
	buffer_gl0_inv
	ds_load_b128 v[69:72], v82
	ds_load_b128 v[83:86], v82 offset:16
	s_waitcnt lgkmcnt(1)
	v_lshrrev_b32_e32 v66, 16, v69
	s_waitcnt lgkmcnt(0)
	v_lshrrev_b32_e32 v91, 16, v83
	v_lshlrev_b32_e32 v78, 2, v74
	v_lshrrev_b32_e32 v95, 16, v70
	v_lshrrev_b32_e32 v98, 16, v84
	;; [unrolled: 1-line block ×4, first 2 shown]
	v_cmp_eq_u32_e32 vcc_lo, 1, v78
	v_lshrrev_b32_e32 v97, 16, v72
	v_lshrrev_b32_e32 v100, 16, v86
	v_cndmask_b32_e32 v87, v83, v91, vcc_lo
	v_or_b32_e32 v79, 1, v78
	v_cndmask_b32_e32 v81, v69, v66, vcc_lo
	v_cmp_eq_u32_e64 s5, 2, v78
	v_cmp_eq_u32_e64 s8, 3, v78
	;; [unrolled: 1-line block ×5, first 2 shown]
	v_cndmask_b32_e64 v81, v81, v70, s5
	v_cndmask_b32_e64 v87, v87, v84, s5
	v_cmp_eq_u32_e64 s9, 3, v79
	v_cndmask_b32_e64 v88, v69, v66, s4
	v_or_b32_e32 v77, 2, v78
	v_cndmask_b32_e64 v81, v81, v95, s8
	v_cndmask_b32_e64 v87, v87, v98, s8
	;; [unrolled: 1-line block ×4, first 2 shown]
	v_cmp_eq_u32_e64 s11, 5, v78
	v_cndmask_b32_e64 v81, v81, v71, s10
	v_cndmask_b32_e64 v87, v87, v85, s10
	v_cmp_eq_u32_e64 s12, 4, v79
	v_cndmask_b32_e64 v88, v88, v95, s9
	v_cmp_eq_u32_e64 s6, 1, v77
	v_cndmask_b32_e64 v89, v89, v84, s7
	v_cndmask_b32_e64 v81, v81, v96, s11
	v_cmp_eq_u32_e64 s13, 6, v78
	v_cndmask_b32_e64 v88, v88, v71, s12
	;; [unrolled: 3-line block ×3, first 2 shown]
	v_cndmask_b32_e64 v89, v89, v98, s9
	v_cndmask_b32_e64 v81, v81, v72, s13
	v_cmp_eq_u32_e64 s16, 7, v78
	v_cndmask_b32_e64 v88, v88, v96, s15
	v_cndmask_b32_e64 v87, v87, v86, s13
	v_cmp_eq_u32_e64 s17, 6, v79
	v_cmp_eq_u32_e64 s18, 2, v77
	v_cndmask_b32_e64 v89, v89, v85, s12
	v_cndmask_b32_e64 v101, v81, v97, s16
	;; [unrolled: 1-line block ×6, first 2 shown]
	v_cmp_eq_u32_e64 s19, 7, v79
	v_cmp_eq_u32_e64 s20, 3, v77
	;; [unrolled: 1-line block ×4, first 2 shown]
	v_cndmask_b32_e64 v87, v87, v84, s18
	v_cndmask_b32_e64 v103, v88, v97, s19
	;; [unrolled: 1-line block ×4, first 2 shown]
	v_or_b32_e32 v81, 3, v78
	v_cndmask_b32_e64 v93, v87, v98, s20
	v_cmp_eq_u32_e64 s25, 6, v77
	v_cndmask_b32_e64 v104, v88, v86, s17
	v_cndmask_b32_e64 v92, v89, v71, s21
	v_cmp_eq_u32_e64 s22, 1, v81
	ds_load_b128 v[87:90], v82 offset:1024
	v_cmp_eq_u32_e64 s24, 2, v81
	v_cmp_eq_u32_e64 s26, 3, v81
	v_cndmask_b32_e64 v105, v92, v96, s23
	v_cndmask_b32_e64 v66, v69, v66, s22
	;; [unrolled: 1-line block ×4, first 2 shown]
	ds_load_b128 v[91:94], v82 offset:1040
	v_cmp_eq_u32_e64 s27, 4, v81
	v_cndmask_b32_e64 v66, v66, v70, s24
	v_cmp_eq_u32_e64 s28, 7, v77
	v_cndmask_b32_e64 v70, v83, v84, s24
	v_cndmask_b32_e64 v84, v105, v72, s25
	v_cmp_eq_u32_e64 s29, 5, v81
	v_cndmask_b32_e64 v66, v66, v95, s26
	v_cmp_eq_u32_e64 s30, 6, v81
	v_cndmask_b32_e64 v70, v70, v98, s26
	v_cndmask_b32_e64 v69, v69, v99, s23
	;; [unrolled: 1-line block ×4, first 2 shown]
	s_waitcnt lgkmcnt(1)
	v_lshrrev_b32_e32 v95, 16, v87
	v_cndmask_b32_e64 v70, v70, v85, s27
	v_cndmask_b32_e64 v71, v84, v97, s28
	;; [unrolled: 1-line block ×4, first 2 shown]
	v_cndmask_b32_e32 v84, v87, v95, vcc_lo
	v_cndmask_b32_e64 v70, v70, v99, s29
	s_waitcnt lgkmcnt(0)
	v_lshrrev_b32_e32 v85, 16, v91
	v_lshrrev_b32_e32 v96, 16, v88
	v_cndmask_b32_e64 v98, v87, v95, s4
	v_cndmask_b32_e64 v84, v84, v88, s5
	;; [unrolled: 1-line block ×3, first 2 shown]
	v_cndmask_b32_e32 v99, v91, v85, vcc_lo
	v_cmp_eq_u32_e32 vcc_lo, 7, v81
	v_cndmask_b32_e64 v66, v66, v72, s30
	v_cndmask_b32_e64 v72, v84, v96, s8
	;; [unrolled: 1-line block ×3, first 2 shown]
	v_lshrrev_b32_e32 v98, 16, v92
	v_cndmask_b32_e32 v70, v70, v100, vcc_lo
	v_cndmask_b32_e64 v86, v99, v92, s5
	v_cndmask_b32_e64 v69, v69, v100, s28
	v_lshrrev_b32_e32 v100, 16, v93
	v_cndmask_b32_e64 v72, v72, v89, s10
	v_lshrrev_b32_e32 v99, 16, v89
	v_cndmask_b32_e64 v86, v86, v98, s8
	v_perm_b32 v71, v69, v71, 0x5040100
	v_cndmask_b32_e64 v84, v84, v96, s9
	s_delay_alu instid0(VALU_DEP_3) | instskip(NEXT) | instid1(VALU_DEP_2)
	v_cndmask_b32_e64 v86, v86, v93, s10
	v_cndmask_b32_e64 v84, v84, v89, s12
	s_delay_alu instid0(VALU_DEP_2) | instskip(NEXT) | instid1(VALU_DEP_1)
	v_cndmask_b32_e64 v86, v86, v100, s11
	v_cndmask_b32_e64 v69, v86, v94, s13
	;; [unrolled: 1-line block ×5, first 2 shown]
	s_delay_alu instid0(VALU_DEP_3) | instskip(NEXT) | instid1(VALU_DEP_3)
	v_cndmask_b32_e64 v86, v86, v88, s18
	v_cndmask_b32_e64 v87, v87, v88, s24
	s_delay_alu instid0(VALU_DEP_3) | instskip(NEXT) | instid1(VALU_DEP_3)
	v_cndmask_b32_e64 v88, v95, v92, s24
	v_cndmask_b32_e64 v86, v86, v96, s20
	;; [unrolled: 3-line block ×7, first 2 shown]
	s_delay_alu instid0(VALU_DEP_3) | instskip(SKIP_2) | instid1(VALU_DEP_2)
	v_cndmask_b32_e64 v88, v88, v94, s30
	v_cndmask_b32_e32 v66, v66, v97, vcc_lo
	v_cndmask_b32_e64 v97, v72, v99, s11
	v_perm_b32 v72, v70, v66, 0x5040100
	v_perm_b32 v70, v83, v103, 0x5040100
	v_cndmask_b32_e64 v103, v91, v85, s6
	v_cndmask_b32_e64 v85, v91, v85, s4
	;; [unrolled: 1-line block ×4, first 2 shown]
	v_lshrrev_b32_e32 v97, 16, v90
	v_cndmask_b32_e64 v91, v103, v92, s18
	v_cndmask_b32_e64 v85, v85, v92, s7
	;; [unrolled: 1-line block ×3, first 2 shown]
	s_mov_b32 s4, exec_lo
	v_cndmask_b32_e64 v83, v84, v97, s16
	v_cndmask_b32_e64 v91, v91, v98, s20
	;; [unrolled: 1-line block ×3, first 2 shown]
	v_lshrrev_b32_e32 v84, 16, v94
	v_cndmask_b32_e64 v66, v66, v97, s19
	v_cndmask_b32_e64 v90, v86, v97, s28
	;; [unrolled: 1-line block ×4, first 2 shown]
	v_dual_cndmask_b32 v86, v87, v97 :: v_dual_cndmask_b32 v87, v88, v84
	v_cndmask_b32_e64 v91, v69, v84, s16
	s_delay_alu instid0(VALU_DEP_4) | instskip(NEXT) | instid1(VALU_DEP_4)
	v_cndmask_b32_e64 v89, v89, v100, s23
	v_cndmask_b32_e64 v85, v85, v100, s15
	v_perm_b32 v69, v102, v101, 0x5040100
	v_perm_b32 v86, v87, v86, 0x5040100
	;; [unrolled: 1-line block ×3, first 2 shown]
	v_cndmask_b32_e64 v89, v89, v94, s25
	v_cndmask_b32_e64 v85, v85, v94, s17
	s_mul_i32 s9, s37, 5
	s_delay_alu instid0(VALU_DEP_2) | instskip(NEXT) | instid1(VALU_DEP_2)
	v_cndmask_b32_e64 v88, v89, v84, s28
	v_cndmask_b32_e64 v89, v85, v84, s19
	s_delay_alu instid0(VALU_DEP_2) | instskip(NEXT) | instid1(VALU_DEP_2)
	v_perm_b32 v85, v88, v90, 0x5040100
	v_perm_b32 v84, v89, v66, 0x5040100
	ds_store_b128 v76, v[69:72]
	ds_store_b128 v76, v[83:86] offset:1024
	v_cmpx_gt_u32_e32 5, v0
	s_cbranch_execz .LBB1698_78
; %bb.77:
	s_mul_i32 s5, s9, s34
	s_load_b128 s[16:19], s[0:1], 0x58
	v_add3_u32 v69, s5, s31, v65
	s_delay_alu instid0(VALU_DEP_1) | instskip(NEXT) | instid1(VALU_DEP_1)
	v_mad_u64_u32 v[65:66], null, v69, s36, s[14:15]
	v_ashrrev_i32_e32 v66, 31, v65
	s_delay_alu instid0(VALU_DEP_1) | instskip(SKIP_1) | instid1(VALU_DEP_1)
	v_lshlrev_b64 v[65:66], 2, v[65:66]
	s_waitcnt lgkmcnt(0)
	v_add_co_u32 v69, vcc_lo, s18, v65
	s_delay_alu instid0(VALU_DEP_2)
	v_add_co_ci_u32_e32 v70, vcc_lo, s19, v66, vcc_lo
	v_add_co_u32 v65, vcc_lo, s16, v65
	v_add_co_ci_u32_e32 v66, vcc_lo, s17, v66, vcc_lo
	global_store_b32 v[69:70], v67, off
	global_store_b32 v[65:66], v68, off
.LBB1698_78:
	s_or_b32 exec_lo, exec_lo, s4
	s_waitcnt lgkmcnt(0)
	s_waitcnt_vscnt null, 0x0
	s_barrier
	buffer_gl0_inv
	ds_load_b128 v[83:86], v80
	ds_load_b128 v[87:90], v80 offset:16
	ds_load_b128 v[95:98], v80 offset:2064
	;; [unrolled: 1-line block ×3, first 2 shown]
	v_mov_b32_e32 v65, 0
	ds_load_b128 v[103:106], v80 offset:4112
	ds_load_b128 v[99:102], v80 offset:4096
	;; [unrolled: 1-line block ×4, first 2 shown]
	v_mov_b32_e32 v66, v65
	v_mov_b32_e32 v67, v65
	;; [unrolled: 1-line block ×7, first 2 shown]
	s_waitcnt lgkmcnt(6)
	s_delay_alu instid0(VALU_DEP_1)
	v_wmma_f32_16x16x16_bf16 v[65:72], v[57:64], v[83:90], v[65:72]
	ds_load_b128 v[61:64], v80 offset:8208
	ds_load_b128 v[57:60], v80 offset:8192
	s_waitcnt lgkmcnt(6)
	v_wmma_f32_16x16x16_bf16 v[65:72], v[41:48], v[91:98], v[65:72]
	ds_load_b128 v[45:48], v80 offset:10256
	ds_load_b128 v[41:44], v80 offset:10240
	s_waitcnt lgkmcnt(6)
	;; [unrolled: 4-line block ×4, first 2 shown]
	v_wmma_f32_16x16x16_bf16 v[65:72], v[1:8], v[57:64], v[65:72]
	s_waitcnt lgkmcnt(4)
	s_delay_alu instid0(VALU_DEP_1) | instskip(SKIP_1) | instid1(VALU_DEP_1)
	v_wmma_f32_16x16x16_bf16 v[65:72], v[9:16], v[41:48], v[65:72]
	s_waitcnt lgkmcnt(2)
	v_wmma_f32_16x16x16_bf16 v[65:72], v[17:24], v[33:40], v[65:72]
	s_waitcnt lgkmcnt(0)
	s_delay_alu instid0(VALU_DEP_1) | instskip(NEXT) | instid1(VALU_DEP_1)
	v_wmma_f32_16x16x16_bf16 v[65:72], v[49:56], v[25:32], v[65:72]
	v_and_b32_e32 v1, 0x7f800000, v65
	s_delay_alu instid0(VALU_DEP_1) | instskip(SKIP_1) | instid1(SALU_CYCLE_1)
	v_cmp_ne_u32_e32 vcc_lo, 0x7f800000, v1
                                        ; implicit-def: $vgpr1
	s_and_saveexec_b32 s4, vcc_lo
	s_xor_b32 s4, exec_lo, s4
; %bb.79:
	v_bfe_u32 v1, v65, 16, 1
	s_delay_alu instid0(VALU_DEP_1)
	v_add3_u32 v1, v65, v1, 0x7fff
; %bb.80:
	s_and_not1_saveexec_b32 s4, s4
; %bb.81:
	v_and_b32_e32 v1, 0xffff, v65
	v_or_b32_e32 v2, 0x10000, v65
	s_delay_alu instid0(VALU_DEP_2) | instskip(NEXT) | instid1(VALU_DEP_2)
	v_cmp_eq_u32_e32 vcc_lo, 0, v1
	v_cndmask_b32_e32 v1, v2, v65, vcc_lo
; %bb.82:
	s_or_b32 exec_lo, exec_lo, s4
	v_and_b32_e32 v2, 0x7f800000, v66
	s_delay_alu instid0(VALU_DEP_1) | instskip(SKIP_1) | instid1(SALU_CYCLE_1)
	v_cmp_ne_u32_e32 vcc_lo, 0x7f800000, v2
                                        ; implicit-def: $vgpr2
	s_and_saveexec_b32 s4, vcc_lo
	s_xor_b32 s4, exec_lo, s4
; %bb.83:
	v_bfe_u32 v2, v66, 16, 1
	s_delay_alu instid0(VALU_DEP_1)
	v_add3_u32 v2, v66, v2, 0x7fff
; %bb.84:
	s_and_not1_saveexec_b32 s4, s4
; %bb.85:
	v_and_b32_e32 v2, 0xffff, v66
	v_or_b32_e32 v3, 0x10000, v66
	s_delay_alu instid0(VALU_DEP_2) | instskip(NEXT) | instid1(VALU_DEP_2)
	v_cmp_eq_u32_e32 vcc_lo, 0, v2
	v_cndmask_b32_e32 v2, v3, v66, vcc_lo
; %bb.86:
	s_or_b32 exec_lo, exec_lo, s4
	v_and_b32_e32 v3, 0x7f800000, v67
	s_delay_alu instid0(VALU_DEP_1) | instskip(SKIP_1) | instid1(SALU_CYCLE_1)
	v_cmp_ne_u32_e32 vcc_lo, 0x7f800000, v3
                                        ; implicit-def: $vgpr3
	s_and_saveexec_b32 s4, vcc_lo
	s_xor_b32 s4, exec_lo, s4
; %bb.87:
	v_bfe_u32 v3, v67, 16, 1
	s_delay_alu instid0(VALU_DEP_1)
	v_add3_u32 v3, v67, v3, 0x7fff
; %bb.88:
	s_and_not1_saveexec_b32 s4, s4
; %bb.89:
	v_and_b32_e32 v3, 0xffff, v67
	v_or_b32_e32 v4, 0x10000, v67
	s_delay_alu instid0(VALU_DEP_2) | instskip(NEXT) | instid1(VALU_DEP_2)
	v_cmp_eq_u32_e32 vcc_lo, 0, v3
	v_cndmask_b32_e32 v3, v4, v67, vcc_lo
; %bb.90:
	s_or_b32 exec_lo, exec_lo, s4
	v_and_b32_e32 v4, 0x7f800000, v68
	s_delay_alu instid0(VALU_DEP_1) | instskip(SKIP_1) | instid1(SALU_CYCLE_1)
	v_cmp_ne_u32_e32 vcc_lo, 0x7f800000, v4
                                        ; implicit-def: $vgpr4
	s_and_saveexec_b32 s4, vcc_lo
	s_xor_b32 s4, exec_lo, s4
; %bb.91:
	v_bfe_u32 v4, v68, 16, 1
	s_delay_alu instid0(VALU_DEP_1)
	v_add3_u32 v4, v68, v4, 0x7fff
; %bb.92:
	s_and_not1_saveexec_b32 s4, s4
; %bb.93:
	v_and_b32_e32 v4, 0xffff, v68
	v_or_b32_e32 v5, 0x10000, v68
	s_delay_alu instid0(VALU_DEP_2) | instskip(NEXT) | instid1(VALU_DEP_2)
	v_cmp_eq_u32_e32 vcc_lo, 0, v4
	v_cndmask_b32_e32 v4, v5, v68, vcc_lo
; %bb.94:
	s_or_b32 exec_lo, exec_lo, s4
	v_and_b32_e32 v5, 0x7f800000, v69
	s_delay_alu instid0(VALU_DEP_1) | instskip(SKIP_1) | instid1(SALU_CYCLE_1)
	v_cmp_ne_u32_e32 vcc_lo, 0x7f800000, v5
                                        ; implicit-def: $vgpr5
	s_and_saveexec_b32 s4, vcc_lo
	s_xor_b32 s4, exec_lo, s4
; %bb.95:
	v_bfe_u32 v5, v69, 16, 1
	s_delay_alu instid0(VALU_DEP_1)
	v_add3_u32 v5, v69, v5, 0x7fff
; %bb.96:
	s_and_not1_saveexec_b32 s4, s4
; %bb.97:
	v_and_b32_e32 v5, 0xffff, v69
	v_or_b32_e32 v6, 0x10000, v69
	s_delay_alu instid0(VALU_DEP_2) | instskip(NEXT) | instid1(VALU_DEP_2)
	v_cmp_eq_u32_e32 vcc_lo, 0, v5
	v_cndmask_b32_e32 v5, v6, v69, vcc_lo
; %bb.98:
	s_or_b32 exec_lo, exec_lo, s4
	v_and_b32_e32 v6, 0x7f800000, v70
	s_delay_alu instid0(VALU_DEP_1) | instskip(SKIP_1) | instid1(SALU_CYCLE_1)
	v_cmp_ne_u32_e32 vcc_lo, 0x7f800000, v6
                                        ; implicit-def: $vgpr6
	s_and_saveexec_b32 s4, vcc_lo
	s_xor_b32 s4, exec_lo, s4
; %bb.99:
	v_bfe_u32 v6, v70, 16, 1
	s_delay_alu instid0(VALU_DEP_1)
	v_add3_u32 v6, v70, v6, 0x7fff
; %bb.100:
	s_and_not1_saveexec_b32 s4, s4
; %bb.101:
	v_and_b32_e32 v6, 0xffff, v70
	v_or_b32_e32 v7, 0x10000, v70
	s_delay_alu instid0(VALU_DEP_2) | instskip(NEXT) | instid1(VALU_DEP_2)
	v_cmp_eq_u32_e32 vcc_lo, 0, v6
	v_cndmask_b32_e32 v6, v7, v70, vcc_lo
; %bb.102:
	s_or_b32 exec_lo, exec_lo, s4
	v_and_b32_e32 v7, 0x7f800000, v71
	s_delay_alu instid0(VALU_DEP_1) | instskip(SKIP_1) | instid1(SALU_CYCLE_1)
	v_cmp_ne_u32_e32 vcc_lo, 0x7f800000, v7
                                        ; implicit-def: $vgpr7
	s_and_saveexec_b32 s4, vcc_lo
	s_xor_b32 s4, exec_lo, s4
; %bb.103:
	v_bfe_u32 v7, v71, 16, 1
	s_delay_alu instid0(VALU_DEP_1)
	v_add3_u32 v7, v71, v7, 0x7fff
; %bb.104:
	s_and_not1_saveexec_b32 s4, s4
; %bb.105:
	v_and_b32_e32 v7, 0xffff, v71
	v_or_b32_e32 v8, 0x10000, v71
	s_delay_alu instid0(VALU_DEP_2) | instskip(NEXT) | instid1(VALU_DEP_2)
	v_cmp_eq_u32_e32 vcc_lo, 0, v7
	v_cndmask_b32_e32 v7, v8, v71, vcc_lo
; %bb.106:
	s_or_b32 exec_lo, exec_lo, s4
	v_and_b32_e32 v8, 0x7f800000, v72
	s_delay_alu instid0(VALU_DEP_1) | instskip(SKIP_1) | instid1(SALU_CYCLE_1)
	v_cmp_ne_u32_e32 vcc_lo, 0x7f800000, v8
                                        ; implicit-def: $vgpr8
	s_and_saveexec_b32 s4, vcc_lo
	s_xor_b32 s4, exec_lo, s4
; %bb.107:
	v_bfe_u32 v8, v72, 16, 1
	s_delay_alu instid0(VALU_DEP_1)
	v_add3_u32 v8, v72, v8, 0x7fff
                                        ; implicit-def: $vgpr65_vgpr66_vgpr67_vgpr68_vgpr69_vgpr70_vgpr71_vgpr72
; %bb.108:
	s_and_not1_saveexec_b32 s4, s4
; %bb.109:
	v_and_b32_e32 v8, 0xffff, v72
	v_or_b32_e32 v9, 0x10000, v72
	s_delay_alu instid0(VALU_DEP_2) | instskip(NEXT) | instid1(VALU_DEP_2)
	v_cmp_eq_u32_e32 vcc_lo, 0, v8
	v_cndmask_b32_e32 v8, v9, v72, vcc_lo
; %bb.110:
	s_or_b32 exec_lo, exec_lo, s4
	s_delay_alu instid0(VALU_DEP_1)
	v_perm_b32 v7, v8, v7, 0x7060302
	v_perm_b32 v6, v6, v5, 0x7060302
	;; [unrolled: 1-line block ×4, first 2 shown]
	s_barrier
	buffer_gl0_inv
	v_cmp_eq_u32_e32 vcc_lo, 1, v78
	ds_store_b128 v76, v[4:7]
	s_waitcnt lgkmcnt(0)
	s_barrier
	buffer_gl0_inv
	ds_load_b128 v[1:4], v82
	ds_load_b128 v[5:8], v82 offset:16
	v_cmp_eq_u32_e64 s4, 1, v79
	v_cmp_eq_u32_e64 s5, 2, v78
	;; [unrolled: 1-line block ×5, first 2 shown]
	s_waitcnt lgkmcnt(1)
	v_lshrrev_b32_e32 v9, 16, v1
	s_waitcnt lgkmcnt(0)
	v_lshrrev_b32_e32 v13, 16, v5
	v_lshrrev_b32_e32 v10, 16, v2
	;; [unrolled: 1-line block ×4, first 2 shown]
	v_cndmask_b32_e64 v19, v1, v9, s4
	v_cndmask_b32_e32 v18, v5, v13, vcc_lo
	v_cndmask_b32_e64 v20, v5, v13, s4
	v_cndmask_b32_e32 v17, v1, v9, vcc_lo
	v_cmp_eq_u32_e32 vcc_lo, 2, v79
	v_lshrrev_b32_e32 v15, 16, v7
	v_cmp_eq_u32_e64 s4, 1, v77
	v_lshrrev_b32_e32 v12, 16, v4
	v_lshrrev_b32_e32 v16, 16, v8
	v_cndmask_b32_e32 v20, v20, v6, vcc_lo
	v_cndmask_b32_e64 v17, v17, v2, s5
	v_cndmask_b32_e32 v19, v19, v2, vcc_lo
	v_cndmask_b32_e64 v18, v18, v6, s5
	v_cmp_eq_u32_e32 vcc_lo, 4, v78
	v_cmp_eq_u32_e64 s5, 3, v79
	v_cndmask_b32_e64 v17, v17, v10, s6
	v_cndmask_b32_e64 v21, v1, v9, s4
	;; [unrolled: 1-line block ×5, first 2 shown]
	v_cndmask_b32_e32 v17, v17, v3, vcc_lo
	v_cndmask_b32_e64 v20, v20, v14, s5
	v_cndmask_b32_e32 v18, v18, v7, vcc_lo
	v_cmp_eq_u32_e32 vcc_lo, 4, v79
	v_cmp_eq_u32_e64 s5, 5, v79
	v_cmp_eq_u32_e64 s4, 2, v81
	v_cndmask_b32_e64 v21, v21, v2, s8
	v_cmp_eq_u32_e64 s6, 5, v78
	v_cndmask_b32_e32 v19, v19, v3, vcc_lo
	v_cndmask_b32_e32 v20, v20, v7, vcc_lo
	v_cmp_eq_u32_e32 vcc_lo, 6, v79
	s_delay_alu instid0(VALU_DEP_4) | instskip(NEXT) | instid1(VALU_DEP_4)
	v_cndmask_b32_e64 v17, v17, v11, s6
	v_cndmask_b32_e64 v19, v19, v11, s5
	s_delay_alu instid0(VALU_DEP_4) | instskip(SKIP_1) | instid1(VALU_DEP_3)
	v_cndmask_b32_e64 v20, v20, v15, s5
	v_cmp_eq_u32_e64 s5, 1, v81
	v_cndmask_b32_e32 v19, v19, v4, vcc_lo
	v_cndmask_b32_e64 v18, v18, v15, s6
	s_delay_alu instid0(VALU_DEP_3)
	v_cndmask_b32_e64 v1, v1, v9, s5
	v_cndmask_b32_e64 v5, v5, v13, s5
	v_cmp_eq_u32_e64 s5, 3, v77
	v_cndmask_b32_e64 v13, v22, v6, s8
	v_cmp_eq_u32_e64 s8, 3, v81
	v_cndmask_b32_e64 v1, v1, v2, s4
	v_cndmask_b32_e64 v2, v5, v6, s4
	v_cndmask_b32_e64 v9, v21, v10, s5
	v_cmp_eq_u32_e64 s4, 4, v77
	v_cndmask_b32_e64 v6, v13, v14, s5
	v_cndmask_b32_e64 v1, v1, v10, s8
	v_cmp_eq_u32_e64 s5, 4, v81
	v_cndmask_b32_e64 v2, v2, v14, s8
	v_cndmask_b32_e64 v5, v9, v3, s4
	;; [unrolled: 3-line block ×3, first 2 shown]
	v_cndmask_b32_e64 v2, v2, v7, s5
	v_cmp_eq_u32_e64 s4, 5, v81
	v_cmp_eq_u32_e64 s6, 6, v78
	v_cndmask_b32_e64 v5, v5, v11, s8
	v_cmp_eq_u32_e64 s5, 6, v77
	v_cndmask_b32_e64 v3, v6, v15, s8
	v_cndmask_b32_e64 v1, v1, v11, s4
	v_cmp_eq_u32_e64 s8, 6, v81
	v_cndmask_b32_e64 v2, v2, v15, s4
	v_cndmask_b32_e64 v17, v17, v4, s6
	v_cndmask_b32_e64 v18, v18, v8, s6
	v_cmp_eq_u32_e64 s6, 7, v78
	v_cndmask_b32_e64 v5, v5, v4, s5
	;; [unrolled: 4-line block ×3, first 2 shown]
	v_cmp_eq_u32_e64 s5, 7, v77
	v_cndmask_b32_e32 v4, v20, v8, vcc_lo
	v_cndmask_b32_e64 v17, v17, v12, s6
	v_cndmask_b32_e64 v19, v19, v12, s7
	;; [unrolled: 1-line block ×8, first 2 shown]
	v_cmp_gt_u32_e32 vcc_lo, 32, v0
	v_perm_b32 v4, v2, v1, 0x5040100
	v_perm_b32 v3, v3, v5, 0x5040100
	;; [unrolled: 1-line block ×4, first 2 shown]
	s_and_b32 s2, vcc_lo, s2
	ds_store_b128 v76, v[1:4]
	s_waitcnt lgkmcnt(0)
	s_barrier
	buffer_gl0_inv
	s_and_saveexec_b32 s4, s2
	s_cbranch_execz .LBB1698_2
; %bb.111:
	s_load_b64 s[4:5], s[0:1], 0x68
	v_lshlrev_b32_e32 v0, 10, v0
	v_add_nc_u32_e32 v2, s31, v74
	v_lshlrev_b32_e32 v3, 4, v75
	s_lshl_b32 s0, s36, 6
	s_delay_alu instid0(SALU_CYCLE_1) | instskip(NEXT) | instid1(VALU_DEP_2)
	s_mul_i32 s1, s0, s34
	v_mul_lo_u32 v1, v2, s0
	s_delay_alu instid0(VALU_DEP_2) | instskip(SKIP_2) | instid1(SALU_CYCLE_1)
	v_and_or_b32 v0, 0x3800, v0, v3
	v_add_nc_u32_e32 v2, 2, v2
	s_mul_i32 s6, s1, s9
	s_ashr_i32 s7, s6, 31
	s_delay_alu instid0(VALU_DEP_2)
	v_lshl_or_b32 v7, v74, 6, v0
	s_lshl_b64 s[6:7], s[6:7], 1
	v_mul_lo_u32 v11, v2, s0
	v_ashrrev_i32_e32 v2, 31, v1
	ds_load_b128 v[3:6], v7
	ds_load_b128 v[7:10], v7 offset:128
	s_waitcnt lgkmcnt(0)
	s_add_u32 s1, s4, s6
	s_addc_u32 s2, s5, s7
	s_lshl_b32 s4, s14, 6
	v_ashrrev_i32_e32 v12, 31, v11
	s_ashr_i32 s5, s4, 31
	v_lshlrev_b64 v[13:14], 1, v[1:2]
	s_lshl_b64 s[4:5], s[4:5], 1
	s_delay_alu instid0(SALU_CYCLE_1) | instskip(SKIP_2) | instid1(VALU_DEP_1)
	s_add_u32 s1, s1, s4
	s_addc_u32 s2, s2, s5
	v_add_co_u32 v1, s1, s1, v73
	v_add_co_ci_u32_e64 v2, null, s2, 0, s1
	v_lshlrev_b64 v[11:12], 1, v[11:12]
	s_delay_alu instid0(VALU_DEP_3) | instskip(NEXT) | instid1(VALU_DEP_3)
	v_add_co_u32 v13, vcc_lo, v1, v13
	v_add_co_ci_u32_e32 v14, vcc_lo, v2, v14, vcc_lo
	s_delay_alu instid0(VALU_DEP_3) | instskip(NEXT) | instid1(VALU_DEP_4)
	v_add_co_u32 v11, vcc_lo, v1, v11
	v_add_co_ci_u32_e32 v12, vcc_lo, v2, v12, vcc_lo
	s_clause 0x1
	global_store_b128 v[13:14], v[3:6], off
	global_store_b128 v[11:12], v[7:10], off
	s_and_b32 exec_lo, exec_lo, s3
	s_cbranch_execz .LBB1698_2
; %bb.112:
	ds_load_b128 v[3:6], v0 offset:256
	s_add_i32 s1, s31, 4
	s_delay_alu instid0(SALU_CYCLE_1) | instskip(NEXT) | instid1(SALU_CYCLE_1)
	s_mul_i32 s0, s1, s0
	s_ashr_i32 s1, s0, 31
	s_delay_alu instid0(SALU_CYCLE_1) | instskip(NEXT) | instid1(SALU_CYCLE_1)
	s_lshl_b64 s[0:1], s[0:1], 1
	v_add_co_u32 v0, vcc_lo, v1, s0
	v_add_co_ci_u32_e32 v1, vcc_lo, s1, v2, vcc_lo
	s_waitcnt lgkmcnt(0)
	global_store_b128 v[0:1], v[3:6], off
	s_nop 0
	s_sendmsg sendmsg(MSG_DEALLOC_VGPRS)
	s_endpgm
	.section	.rodata,"a",@progbits
	.p2align	6, 0x0
	.amdhsa_kernel _Z39paged_attention_ll4mi_QKV_mfma16_kernelI14__hip_bfloat16hLN4vllm18Fp8KVCacheDataTypeE1ES0_Li16ELi64ELi256ELb1ELi5EL8MFMAType0EEvPKT_PKT0_S9_ifPKiSB_SB_iPKfiiiPfSE_PS4_PT2_iSD_SD_
		.amdhsa_group_segment_fixed_size 17472
		.amdhsa_private_segment_fixed_size 0
		.amdhsa_kernarg_size 400
		.amdhsa_user_sgpr_count 13
		.amdhsa_user_sgpr_dispatch_ptr 0
		.amdhsa_user_sgpr_queue_ptr 0
		.amdhsa_user_sgpr_kernarg_segment_ptr 1
		.amdhsa_user_sgpr_dispatch_id 0
		.amdhsa_user_sgpr_private_segment_size 0
		.amdhsa_wavefront_size32 1
		.amdhsa_uses_dynamic_stack 0
		.amdhsa_enable_private_segment 0
		.amdhsa_system_sgpr_workgroup_id_x 1
		.amdhsa_system_sgpr_workgroup_id_y 1
		.amdhsa_system_sgpr_workgroup_id_z 1
		.amdhsa_system_sgpr_workgroup_info 0
		.amdhsa_system_vgpr_workitem_id 0
		.amdhsa_next_free_vgpr 124
		.amdhsa_next_free_sgpr 40
		.amdhsa_reserve_vcc 1
		.amdhsa_float_round_mode_32 0
		.amdhsa_float_round_mode_16_64 0
		.amdhsa_float_denorm_mode_32 3
		.amdhsa_float_denorm_mode_16_64 3
		.amdhsa_dx10_clamp 1
		.amdhsa_ieee_mode 1
		.amdhsa_fp16_overflow 0
		.amdhsa_workgroup_processor_mode 1
		.amdhsa_memory_ordered 1
		.amdhsa_forward_progress 0
		.amdhsa_shared_vgpr_count 0
		.amdhsa_exception_fp_ieee_invalid_op 0
		.amdhsa_exception_fp_denorm_src 0
		.amdhsa_exception_fp_ieee_div_zero 0
		.amdhsa_exception_fp_ieee_overflow 0
		.amdhsa_exception_fp_ieee_underflow 0
		.amdhsa_exception_fp_ieee_inexact 0
		.amdhsa_exception_int_div_zero 0
	.end_amdhsa_kernel
	.section	.text._Z39paged_attention_ll4mi_QKV_mfma16_kernelI14__hip_bfloat16hLN4vllm18Fp8KVCacheDataTypeE1ES0_Li16ELi64ELi256ELb1ELi5EL8MFMAType0EEvPKT_PKT0_S9_ifPKiSB_SB_iPKfiiiPfSE_PS4_PT2_iSD_SD_,"axG",@progbits,_Z39paged_attention_ll4mi_QKV_mfma16_kernelI14__hip_bfloat16hLN4vllm18Fp8KVCacheDataTypeE1ES0_Li16ELi64ELi256ELb1ELi5EL8MFMAType0EEvPKT_PKT0_S9_ifPKiSB_SB_iPKfiiiPfSE_PS4_PT2_iSD_SD_,comdat
.Lfunc_end1698:
	.size	_Z39paged_attention_ll4mi_QKV_mfma16_kernelI14__hip_bfloat16hLN4vllm18Fp8KVCacheDataTypeE1ES0_Li16ELi64ELi256ELb1ELi5EL8MFMAType0EEvPKT_PKT0_S9_ifPKiSB_SB_iPKfiiiPfSE_PS4_PT2_iSD_SD_, .Lfunc_end1698-_Z39paged_attention_ll4mi_QKV_mfma16_kernelI14__hip_bfloat16hLN4vllm18Fp8KVCacheDataTypeE1ES0_Li16ELi64ELi256ELb1ELi5EL8MFMAType0EEvPKT_PKT0_S9_ifPKiSB_SB_iPKfiiiPfSE_PS4_PT2_iSD_SD_
                                        ; -- End function
	.section	.AMDGPU.csdata,"",@progbits
; Kernel info:
; codeLenInByte = 8756
; NumSgprs: 42
; NumVgprs: 124
; ScratchSize: 0
; MemoryBound: 0
; FloatMode: 240
; IeeeMode: 1
; LDSByteSize: 17472 bytes/workgroup (compile time only)
; SGPRBlocks: 5
; VGPRBlocks: 15
; NumSGPRsForWavesPerEU: 42
; NumVGPRsForWavesPerEU: 124
; Occupancy: 10
; WaveLimiterHint : 1
; COMPUTE_PGM_RSRC2:SCRATCH_EN: 0
; COMPUTE_PGM_RSRC2:USER_SGPR: 13
; COMPUTE_PGM_RSRC2:TRAP_HANDLER: 0
; COMPUTE_PGM_RSRC2:TGID_X_EN: 1
; COMPUTE_PGM_RSRC2:TGID_Y_EN: 1
; COMPUTE_PGM_RSRC2:TGID_Z_EN: 1
; COMPUTE_PGM_RSRC2:TIDIG_COMP_CNT: 0
	.section	.text._Z39paged_attention_ll4mi_QKV_mfma16_kernelI14__hip_bfloat16hLN4vllm18Fp8KVCacheDataTypeE1ES0_Li16ELi64ELi256ELb1ELi6EL8MFMAType0EEvPKT_PKT0_S9_ifPKiSB_SB_iPKfiiiPfSE_PS4_PT2_iSD_SD_,"axG",@progbits,_Z39paged_attention_ll4mi_QKV_mfma16_kernelI14__hip_bfloat16hLN4vllm18Fp8KVCacheDataTypeE1ES0_Li16ELi64ELi256ELb1ELi6EL8MFMAType0EEvPKT_PKT0_S9_ifPKiSB_SB_iPKfiiiPfSE_PS4_PT2_iSD_SD_,comdat
	.protected	_Z39paged_attention_ll4mi_QKV_mfma16_kernelI14__hip_bfloat16hLN4vllm18Fp8KVCacheDataTypeE1ES0_Li16ELi64ELi256ELb1ELi6EL8MFMAType0EEvPKT_PKT0_S9_ifPKiSB_SB_iPKfiiiPfSE_PS4_PT2_iSD_SD_ ; -- Begin function _Z39paged_attention_ll4mi_QKV_mfma16_kernelI14__hip_bfloat16hLN4vllm18Fp8KVCacheDataTypeE1ES0_Li16ELi64ELi256ELb1ELi6EL8MFMAType0EEvPKT_PKT0_S9_ifPKiSB_SB_iPKfiiiPfSE_PS4_PT2_iSD_SD_
	.globl	_Z39paged_attention_ll4mi_QKV_mfma16_kernelI14__hip_bfloat16hLN4vllm18Fp8KVCacheDataTypeE1ES0_Li16ELi64ELi256ELb1ELi6EL8MFMAType0EEvPKT_PKT0_S9_ifPKiSB_SB_iPKfiiiPfSE_PS4_PT2_iSD_SD_
	.p2align	8
	.type	_Z39paged_attention_ll4mi_QKV_mfma16_kernelI14__hip_bfloat16hLN4vllm18Fp8KVCacheDataTypeE1ES0_Li16ELi64ELi256ELb1ELi6EL8MFMAType0EEvPKT_PKT0_S9_ifPKiSB_SB_iPKfiiiPfSE_PS4_PT2_iSD_SD_,@function
_Z39paged_attention_ll4mi_QKV_mfma16_kernelI14__hip_bfloat16hLN4vllm18Fp8KVCacheDataTypeE1ES0_Li16ELi64ELi256ELb1ELi6EL8MFMAType0EEvPKT_PKT0_S9_ifPKiSB_SB_iPKfiiiPfSE_PS4_PT2_iSD_SD_: ; @_Z39paged_attention_ll4mi_QKV_mfma16_kernelI14__hip_bfloat16hLN4vllm18Fp8KVCacheDataTypeE1ES0_Li16ELi64ELi256ELb1ELi6EL8MFMAType0EEvPKT_PKT0_S9_ifPKiSB_SB_iPKfiiiPfSE_PS4_PT2_iSD_SD_
; %bb.0:
	s_load_b64 s[2:3], s[0:1], 0x30
	s_mov_b32 s30, s13
	s_waitcnt lgkmcnt(0)
	s_cmp_lg_u64 s[2:3], 0
	s_cselect_b32 s8, -1, 0
	s_ashr_i32 s31, s13, 31
	s_cmp_eq_u64 s[2:3], 0
	s_cbranch_scc1 .LBB1699_3
; %bb.1:
	s_lshl_b64 s[4:5], s[30:31], 2
	s_delay_alu instid0(SALU_CYCLE_1) | instskip(SKIP_4) | instid1(SALU_CYCLE_1)
	s_add_u32 s4, s2, s4
	s_addc_u32 s5, s3, s5
	s_load_b64 s[4:5], s[4:5], 0x0
	s_waitcnt lgkmcnt(0)
	s_sub_i32 s4, s5, s4
	s_cmp_eq_u32 s4, 1
	s_cselect_b32 s4, -1, 0
	s_delay_alu instid0(SALU_CYCLE_1)
	s_and_not1_b32 vcc_lo, exec_lo, s4
	s_cbranch_vccz .LBB1699_4
.LBB1699_2:
	s_endpgm
.LBB1699_3:
.LBB1699_4:
	s_load_b64 s[4:5], s[0:1], 0x28
	s_lshl_b64 s[6:7], s[30:31], 2
	s_waitcnt lgkmcnt(0)
	s_add_u32 s4, s4, s6
	s_addc_u32 s5, s5, s7
	s_lshl_b32 s12, s14, 8
	s_load_b32 s24, s[4:5], 0x0
	s_waitcnt lgkmcnt(0)
	s_cmp_ge_i32 s12, s24
	s_cbranch_scc1 .LBB1699_2
; %bb.5:
	s_clause 0x1
	s_load_b128 s[20:23], s[0:1], 0x8
	s_load_b64 s[4:5], s[0:1], 0x20
	s_and_not1_b32 vcc_lo, exec_lo, s8
	s_cbranch_vccnz .LBB1699_7
; %bb.6:
	s_add_u32 s2, s2, s6
	s_addc_u32 s3, s3, s7
	s_load_b32 s3, s[2:3], 0x0
	s_branch .LBB1699_8
.LBB1699_7:
	s_mov_b32 s3, s30
.LBB1699_8:
	s_load_b128 s[16:19], s[0:1], 0x48
	v_and_b32_e32 v65, 15, v0
	v_cmp_gt_u32_e32 vcc_lo, 0x60, v0
	v_lshrrev_b32_e32 v66, 5, v0
	v_and_b32_e32 v67, 31, v0
	v_and_b32_e32 v75, 1, v0
	v_lshlrev_b32_e32 v1, 3, v65
	v_cmp_gt_u32_e64 s2, 8, v65
	v_bfe_u32 v74, v0, 4, 1
	s_mul_i32 s31, s15, 6
	s_delay_alu instid0(VALU_DEP_3) | instskip(NEXT) | instid1(VALU_DEP_3)
	v_lshlrev_b32_e32 v73, 1, v1
	s_and_b32 s7, vcc_lo, s2
	s_delay_alu instid0(SALU_CYCLE_1)
	s_and_saveexec_b32 s6, s7
	s_cbranch_execz .LBB1699_10
; %bb.9:
	s_load_b64 s[8:9], s[0:1], 0x0
	v_lshl_or_b32 v5, v66, 1, v74
	s_waitcnt lgkmcnt(0)
	s_mul_hi_i32 s11, s3, s16
	s_mul_i32 s10, s3, s16
	v_lshlrev_b32_e32 v6, 10, v65
	s_lshl_b64 s[10:11], s[10:11], 1
	v_add_lshl_u32 v1, v5, s31, 6
	v_lshlrev_b32_e32 v5, 6, v5
	v_lshlrev_b32_e32 v7, 10, v75
	v_and_b32_e32 v6, 0x3800, v6
	s_delay_alu instid0(VALU_DEP_4) | instskip(NEXT) | instid1(VALU_DEP_2)
	v_ashrrev_i32_e32 v2, 31, v1
	v_or3_b32 v5, v6, v7, v5
	s_delay_alu instid0(VALU_DEP_2) | instskip(SKIP_2) | instid1(VALU_DEP_1)
	v_lshlrev_b64 v[1:2], 1, v[1:2]
	s_add_u32 s3, s8, s10
	s_addc_u32 s7, s9, s11
	v_add_co_u32 v1, vcc_lo, s3, v1
	s_delay_alu instid0(VALU_DEP_2) | instskip(NEXT) | instid1(VALU_DEP_2)
	v_add_co_ci_u32_e32 v2, vcc_lo, s7, v2, vcc_lo
	v_add_co_u32 v1, vcc_lo, v1, v73
	s_delay_alu instid0(VALU_DEP_2)
	v_add_co_ci_u32_e32 v2, vcc_lo, 0, v2, vcc_lo
	global_load_b128 v[1:4], v[1:2], off
	s_waitcnt vmcnt(0)
	ds_store_b128 v5, v[1:4]
.LBB1699_10:
	s_or_b32 exec_lo, exec_lo, s6
	v_and_b32_e32 v1, 0xef, v0
	s_waitcnt lgkmcnt(0)
	s_add_i32 s3, s24, 15
	s_clause 0x1
	s_load_b32 s6, s[0:1], 0x38
	s_load_b32 s19, s[0:1], 0x1c
	s_ashr_i32 s7, s3, 31
	v_add_nc_u32_e32 v1, s12, v1
	s_lshr_b32 s7, s7, 28
	s_waitcnt lgkmcnt(0)
	s_add_i32 s3, s3, s7
	s_barrier
	v_ashrrev_i32_e32 v2, 31, v1
	v_or_b32_e32 v3, 16, v1
	s_ashr_i32 s3, s3, 4
	v_cmp_gt_i32_e32 vcc_lo, s24, v1
	s_add_i32 s3, s3, -1
	v_lshrrev_b32_e32 v2, 28, v2
	buffer_gl0_inv
	s_mul_i32 s27, s15, s18
	v_add_nc_u32_e32 v4, v1, v2
	s_mul_i32 s6, s30, s6
	s_delay_alu instid0(SALU_CYCLE_1) | instskip(NEXT) | instid1(VALU_DEP_1)
	s_ashr_i32 s7, s6, 31
	v_ashrrev_i32_e32 v4, 4, v4
	v_add_nc_u32_e32 v2, v3, v2
	s_lshl_b64 s[6:7], s[6:7], 2
	s_delay_alu instid0(SALU_CYCLE_1) | instskip(NEXT) | instid1(VALU_DEP_2)
	s_add_u32 s26, s4, s6
	v_cndmask_b32_e32 v1, s3, v4, vcc_lo
	s_delay_alu instid0(VALU_DEP_2)
	v_ashrrev_i32_e32 v2, 4, v2
	v_cmp_gt_i32_e32 vcc_lo, s24, v3
	s_addc_u32 s25, s5, s7
	s_ashr_i32 s28, s27, 31
	s_add_u32 s13, s20, s27
	s_addc_u32 s15, s21, s28
	v_cndmask_b32_e32 v3, s3, v2, vcc_lo
	v_ashrrev_i32_e32 v2, 31, v1
	s_lshl_b32 s4, s14, 4
	s_delay_alu instid0(SALU_CYCLE_1) | instskip(NEXT) | instid1(VALU_DEP_2)
	s_ashr_i32 s5, s4, 31
	v_ashrrev_i32_e32 v4, 31, v3
	s_delay_alu instid0(VALU_DEP_2) | instskip(SKIP_1) | instid1(SALU_CYCLE_1)
	v_lshlrev_b64 v[1:2], 2, v[1:2]
	s_lshl_b64 s[4:5], s[4:5], 2
	s_add_u32 s4, s26, s4
	s_delay_alu instid0(VALU_DEP_2) | instskip(SKIP_1) | instid1(VALU_DEP_2)
	v_lshlrev_b64 v[3:4], 2, v[3:4]
	s_addc_u32 s5, s25, s5
	v_add_co_u32 v1, vcc_lo, s26, v1
	v_add_co_ci_u32_e32 v2, vcc_lo, s25, v2, vcc_lo
	s_delay_alu instid0(VALU_DEP_3) | instskip(NEXT) | instid1(VALU_DEP_4)
	v_add_co_u32 v3, vcc_lo, s26, v3
	v_add_co_ci_u32_e32 v4, vcc_lo, s25, v4, vcc_lo
	s_clause 0x1
	global_load_b32 v5, v[1:2], off
	global_load_b32 v7, v[3:4], off
	s_or_b32 s6, s12, 32
	v_lshlrev_b32_e32 v1, 4, v0
	s_ashr_i32 s7, s6, 4
	s_cmp_lt_i32 s6, s24
	s_cselect_b32 s6, s7, s3
	s_delay_alu instid0(VALU_DEP_1) | instskip(SKIP_1) | instid1(SALU_CYCLE_1)
	v_and_b32_e32 v1, 0xf0, v1
	s_ashr_i32 s7, s6, 31
	s_lshl_b64 s[6:7], s[6:7], 2
	s_delay_alu instid0(SALU_CYCLE_1)
	s_add_u32 s6, s26, s6
	s_addc_u32 s7, s25, s7
	s_or_b32 s8, s12, 64
	v_add_co_u32 v1, s13, s13, v1
	s_ashr_i32 s9, s8, 4
	s_cmp_lt_i32 s8, s24
	v_add_co_ci_u32_e64 v2, null, s15, 0, s13
	s_cselect_b32 s8, s9, s3
	s_delay_alu instid0(SALU_CYCLE_1) | instskip(NEXT) | instid1(SALU_CYCLE_1)
	s_ashr_i32 s9, s8, 31
	s_lshl_b64 s[8:9], s[8:9], 2
	s_delay_alu instid0(SALU_CYCLE_1) | instskip(SKIP_2) | instid1(SALU_CYCLE_1)
	s_add_u32 s8, s26, s8
	s_addc_u32 s9, s25, s9
	s_or_b32 s10, s12, 0x60
	s_ashr_i32 s11, s10, 4
	s_cmp_lt_i32 s10, s24
	s_cselect_b32 s10, s11, s3
	s_delay_alu instid0(SALU_CYCLE_1) | instskip(NEXT) | instid1(SALU_CYCLE_1)
	s_ashr_i32 s11, s10, 31
	s_lshl_b64 s[10:11], s[10:11], 2
	s_delay_alu instid0(SALU_CYCLE_1) | instskip(SKIP_2) | instid1(SALU_CYCLE_1)
	s_add_u32 s10, s26, s10
	s_addc_u32 s11, s25, s11
	s_or_b32 s16, s12, 0x80
	s_ashr_i32 s18, s16, 4
	s_cmp_lt_i32 s16, s24
	;; [unrolled: 10-line block ×3, first 2 shown]
	s_cselect_b32 s20, s18, s3
	s_delay_alu instid0(SALU_CYCLE_1) | instskip(NEXT) | instid1(SALU_CYCLE_1)
	s_ashr_i32 s21, s20, 31
	s_lshl_b64 s[20:21], s[20:21], 2
	s_delay_alu instid0(SALU_CYCLE_1)
	s_add_u32 s36, s26, s20
	s_addc_u32 s37, s25, s21
	s_clause 0x5
	s_load_b32 s21, s[4:5], 0x0
	s_load_b32 s13, s[6:7], 0x0
	;; [unrolled: 1-line block ×6, first 2 shown]
	s_or_b32 s9, s12, 0xc0
	s_mov_b32 s4, 0
	s_ashr_i32 s10, s9, 4
	s_cmp_lt_i32 s9, s24
	s_mov_b32 s11, s4
	s_cselect_b32 s34, s10, s3
	s_mov_b32 s5, s4
	s_ashr_i32 s35, s34, 31
	s_mov_b32 s6, s4
	s_lshl_b64 s[34:35], s[34:35], 2
	s_mov_b32 s7, s4
	s_add_u32 s34, s26, s34
	s_addc_u32 s35, s25, s35
	s_or_b32 s29, s12, 0xe0
	s_mov_b32 s8, s4
	s_ashr_i32 s33, s29, 4
	s_mov_b32 s9, s4
	s_mov_b32 s10, s4
	s_cmp_lt_i32 s29, s24
	v_dual_mov_b32 v107, s11 :: v_dual_mov_b32 v100, s4
	v_mov_b32_e32 v106, s10
	v_dual_mov_b32 v104, s8 :: v_dual_mov_b32 v103, s7
	v_dual_mov_b32 v102, s6 :: v_dual_mov_b32 v101, s5
	s_waitcnt vmcnt(1)
	v_mad_i64_i32 v[3:4], null, v5, s17, v[1:2]
	s_waitcnt vmcnt(0)
	v_mad_i64_i32 v[5:6], null, v7, s17, v[1:2]
	v_mul_lo_u16 v1, v65, 43
	v_lshlrev_b32_e32 v2, 4, v65
	s_clause 0x7
	global_load_b128 v[49:52], v[3:4], off
	global_load_b128 v[53:56], v[3:4], off offset:256
	global_load_b128 v[76:79], v[5:6], off
	global_load_b128 v[80:83], v[5:6], off offset:256
	global_load_b128 v[84:87], v[3:4], off offset:512
	;; [unrolled: 1-line block ×5, first 2 shown]
	v_lshrrev_b16 v1, 8, v1
	v_lshl_or_b32 v2, v66, 8, v2
	s_delay_alu instid0(VALU_DEP_2) | instskip(NEXT) | instid1(VALU_DEP_1)
	v_mul_lo_u16 v1, v1, 6
	v_sub_nc_u16 v1, v65, v1
	s_delay_alu instid0(VALU_DEP_1)
	v_and_b32_e32 v1, 0xff, v1
	v_mov_b32_e32 v105, s9
	s_cselect_b32 s4, s33, s3
	s_load_b32 s3, s[34:35], 0x0
	s_ashr_i32 s5, s4, 31
	v_lshlrev_b32_e32 v70, 6, v1
	s_lshl_b64 s[4:5], s[4:5], 2
	ds_load_b128 v[108:111], v70
	ds_load_b128 v[112:115], v70 offset:1024
	s_add_u32 s4, s26, s4
	s_addc_u32 s5, s25, s5
	s_add_u32 s6, s22, s27
	s_load_b32 s4, s[4:5], 0x0
	s_addc_u32 s7, s23, s28
	v_add_co_u32 v9, s6, s6, v2
	s_delay_alu instid0(VALU_DEP_1) | instskip(SKIP_1) | instid1(VALU_DEP_1)
	v_add_co_ci_u32_e64 v10, null, s7, 0, s6
	s_waitcnt lgkmcnt(0)
	v_mad_i64_i32 v[1:2], null, s21, s17, v[9:10]
	v_mad_i64_i32 v[3:4], null, s13, s17, v[9:10]
	;; [unrolled: 1-line block ×7, first 2 shown]
	s_clause 0x9
	global_load_b128 v[57:60], v[1:2], off
	global_load_b128 v[61:64], v[1:2], off offset:16
	global_load_b128 v[41:44], v[3:4], off
	global_load_b128 v[45:48], v[3:4], off offset:16
	;; [unrolled: 2-line block ×5, first 2 shown]
	v_mad_i64_i32 v[68:69], null, s4, s17, v[9:10]
	s_clause 0x3
	global_load_b128 v[9:12], v[13:14], off
	global_load_b128 v[13:16], v[13:14], off offset:16
	global_load_b128 v[17:20], v[21:22], off
	global_load_b128 v[21:24], v[21:22], off offset:16
	s_waitcnt vmcnt(20)
	v_wmma_f32_16x16x16_bf16 v[116:123], v[49:56], v[108:115], v[100:107]
	s_clause 0x1
	global_load_b128 v[49:52], v[68:69], off
	global_load_b128 v[53:56], v[68:69], off offset:16
	v_and_b32_e32 v68, 0xe0, v0
	v_mbcnt_lo_u32_b32 v69, -1, 0
	s_delay_alu instid0(VALU_DEP_2)
	v_add_nc_u32_e32 v68, s12, v68
	s_waitcnt vmcnt(20)
	v_wmma_f32_16x16x16_bf16 v[100:107], v[76:83], v[108:115], v[100:107]
	ds_load_b128 v[76:79], v70 offset:2048
	ds_load_b128 v[80:83], v70 offset:3072
	v_xor_b32_e32 v70, 16, v69
	s_waitcnt vmcnt(0) lgkmcnt(0)
	v_or_b32_e32 v68, v68, v74
	s_barrier
	buffer_gl0_inv
	v_cmp_gt_i32_e32 vcc_lo, 32, v70
	v_or_b32_e32 v71, 4, v68
	v_or_b32_e32 v72, 6, v68
	v_cmp_gt_i32_e64 s3, s24, v68
	v_or_b32_e32 v108, 8, v68
	v_or_b32_e32 v109, 10, v68
	v_cmp_gt_i32_e64 s4, s24, v71
	v_cmp_gt_i32_e64 s5, s24, v72
	s_delay_alu instid0(VALU_DEP_4) | instskip(NEXT) | instid1(VALU_DEP_4)
	v_cmp_gt_i32_e64 s6, s24, v108
	v_cmp_gt_i32_e64 s7, s24, v109
	v_wmma_f32_16x16x16_bf16 v[116:123], v[84:91], v[76:83], v[116:123]
	v_cndmask_b32_e32 v69, v69, v70, vcc_lo
	v_or_b32_e32 v70, 2, v68
	v_wmma_f32_16x16x16_bf16 v[100:107], v[92:99], v[76:83], v[100:107]
	v_or_b32_e32 v89, 22, v68
	v_dual_mul_f32 v80, s19, v121 :: v_dual_mul_f32 v81, s19, v120
	v_dual_mul_f32 v92, s19, v117 :: v_dual_mul_f32 v93, s19, v116
	s_delay_alu instid0(VALU_DEP_4)
	v_mul_f32_e32 v96, s19, v105
	v_cmp_gt_i32_e32 vcc_lo, s24, v70
	v_dual_mul_f32 v79, s19, v122 :: v_dual_mul_f32 v82, s19, v119
	v_dual_mul_f32 v83, s19, v118 :: v_dual_mul_f32 v94, s19, v107
	v_cndmask_b32_e64 v93, 0xff7fffff, v93, s3
	v_cndmask_b32_e32 v92, 0xff7fffff, v92, vcc_lo
	v_or_b32_e32 v84, 12, v68
	v_or_b32_e32 v85, 14, v68
	v_cndmask_b32_e64 v71, 0xff7fffff, v83, s4
	v_cndmask_b32_e64 v72, 0xff7fffff, v82, s5
	v_cmp_gt_i32_e64 s13, s24, v89
	v_lshlrev_b32_e32 v89, 2, v69
	v_max3_f32 v82, v93, 0xff7fffff, v92
	v_or_b32_e32 v86, 16, v68
	v_or_b32_e32 v87, 18, v68
	v_mul_f32_e32 v78, s19, v123
	v_cndmask_b32_e64 v81, 0xff7fffff, v81, s6
	v_cndmask_b32_e64 v80, 0xff7fffff, v80, s7
	v_max3_f32 v71, v82, v71, v72
	v_cmp_gt_i32_e64 s8, s24, v84
	v_cmp_gt_i32_e64 s9, s24, v85
	v_or_b32_e32 v88, 20, v68
	v_or_b32_e32 v90, 24, v68
	v_or_b32_e32 v91, 26, v68
	v_or_b32_e32 v76, 28, v68
	v_or_b32_e32 v77, 30, v68
	v_dual_mul_f32 v97, s19, v104 :: v_dual_mul_f32 v70, s19, v101
	v_dual_mul_f32 v99, s19, v102 :: v_dual_mul_f32 v68, s19, v100
	v_cndmask_b32_e64 v72, 0xff7fffff, v79, s8
	v_cndmask_b32_e64 v78, 0xff7fffff, v78, s9
	v_max3_f32 v71, v71, v81, v80
	v_cmp_gt_i32_e64 s10, s24, v86
	v_cmp_gt_i32_e64 s11, s24, v87
	v_dual_mul_f32 v95, s19, v106 :: v_dual_mul_f32 v98, s19, v103
	s_delay_alu instid0(VALU_DEP_4) | instskip(NEXT) | instid1(VALU_DEP_4)
	v_max3_f32 v71, v71, v72, v78
	v_cndmask_b32_e64 v68, 0xff7fffff, v68, s10
	s_delay_alu instid0(VALU_DEP_4)
	v_cndmask_b32_e64 v70, 0xff7fffff, v70, s11
	v_cmp_gt_i32_e64 s12, s24, v88
	v_cndmask_b32_e64 v78, 0xff7fffff, v98, s13
	v_cmp_gt_i32_e64 s15, s24, v90
	v_cmp_gt_i32_e64 s16, s24, v91
	v_max3_f32 v68, v71, v68, v70
	v_cndmask_b32_e64 v72, 0xff7fffff, v99, s12
	v_cmp_gt_i32_e64 s17, s24, v76
	v_cndmask_b32_e64 v70, 0xff7fffff, v97, s15
	v_cndmask_b32_e64 v71, 0xff7fffff, v96, s16
	v_cmp_gt_i32_e64 s18, s24, v77
	v_max3_f32 v68, v68, v72, v78
	v_cndmask_b32_e64 v72, 0xff7fffff, v95, s17
	s_delay_alu instid0(VALU_DEP_3) | instskip(NEXT) | instid1(VALU_DEP_3)
	v_cndmask_b32_e64 v76, 0xff7fffff, v94, s18
	v_max3_f32 v68, v68, v70, v71
	s_delay_alu instid0(VALU_DEP_1) | instskip(SKIP_3) | instid1(VALU_DEP_1)
	v_max3_f32 v68, v68, v72, v76
	ds_bpermute_b32 v69, v89, v68
	s_waitcnt lgkmcnt(0)
	v_max_f32_e32 v69, v69, v69
	v_max_f32_e32 v68, v68, v69
	s_delay_alu instid0(VALU_DEP_1) | instskip(NEXT) | instid1(VALU_DEP_1)
	v_fma_f32 v71, s19, v118, -v68
	v_mul_f32_e32 v71, 0x3fb8aa3b, v71
	v_fma_f32 v70, s19, v117, -v68
	v_fma_f32 v69, s19, v116, -v68
	;; [unrolled: 1-line block ×5, first 2 shown]
	s_delay_alu instid0(VALU_DEP_4) | instskip(SKIP_1) | instid1(VALU_DEP_3)
	v_dual_mul_f32 v70, 0x3fb8aa3b, v70 :: v_dual_mul_f32 v69, 0x3fb8aa3b, v69
	v_exp_f32_e32 v71, v71
	v_mul_f32_e32 v72, 0x3fb8aa3b, v72
	v_fma_f32 v81, s19, v105, -v68
	s_delay_alu instid0(VALU_DEP_3)
	v_exp_f32_e32 v70, v70
	v_mul_f32_e32 v77, 0x3fb8aa3b, v76
	v_exp_f32_e32 v69, v69
	v_exp_f32_e32 v72, v72
	v_mul_f32_e32 v81, 0x3fb8aa3b, v81
	v_cndmask_b32_e64 v83, 0, v71, s4
	v_fma_f32 v71, s19, v123, -v68
	s_delay_alu instid0(VALU_DEP_3) | instskip(SKIP_4) | instid1(TRANS32_DEP_3)
	v_exp_f32_e32 v81, v81
	v_cndmask_b32_e32 v76, 0, v70, vcc_lo
	v_exp_f32_e32 v77, v77
	v_cndmask_b32_e64 v80, 0, v69, s3
	v_fma_f32 v69, s19, v121, -v68
	v_cndmask_b32_e64 v85, 0, v72, s5
	v_mul_f32_e32 v71, 0x3fb8aa3b, v71
	v_fma_f32 v72, s19, v100, -v68
	s_delay_alu instid0(VALU_DEP_4) | instskip(SKIP_1) | instid1(VALU_DEP_3)
	v_dual_add_f32 v70, 0, v80 :: v_dual_mul_f32 v69, 0x3fb8aa3b, v69
	s_mov_b32 s3, exec_lo
	v_exp_f32_e32 v71, v71
	s_delay_alu instid0(TRANS32_DEP_2) | instskip(SKIP_4) | instid1(VALU_DEP_3)
	v_cndmask_b32_e64 v86, 0, v77, s6
	v_fma_f32 v77, s19, v101, -v68
	v_mul_f32_e32 v78, 0x3fb8aa3b, v78
	v_add_f32_e32 v70, v70, v76
	v_exp_f32_e32 v69, v69
	v_mul_f32_e32 v77, 0x3fb8aa3b, v77
	s_delay_alu instid0(VALU_DEP_3) | instskip(NEXT) | instid1(TRANS32_DEP_3)
	v_exp_f32_e32 v78, v78
	v_cndmask_b32_e64 v88, 0, v71, s9
	v_fma_f32 v71, s19, v104, -v68
	s_delay_alu instid0(VALU_DEP_3) | instskip(NEXT) | instid1(TRANS32_DEP_3)
	v_exp_f32_e32 v77, v77
	v_cndmask_b32_e64 v87, 0, v69, s7
	s_delay_alu instid0(VALU_DEP_2)
	v_mul_f32_e32 v71, 0x3fb8aa3b, v71
	s_waitcnt_depctr 0xfff
	v_cndmask_b32_e64 v84, 0, v78, s8
	v_add_f32_e32 v70, v70, v83
	v_fma_f32 v78, s19, v103, -v68
	v_exp_f32_e32 v82, v71
	s_delay_alu instid0(VALU_DEP_2) | instskip(SKIP_1) | instid1(VALU_DEP_3)
	v_add_f32_e32 v70, v70, v85
	v_mul_f32_e32 v72, 0x3fb8aa3b, v72
	v_mul_f32_e32 v78, 0x3fb8aa3b, v78
	s_delay_alu instid0(VALU_DEP_3) | instskip(SKIP_1) | instid1(VALU_DEP_4)
	v_add_f32_e32 v69, v70, v86
	v_fma_f32 v70, s19, v102, -v68
	v_exp_f32_e32 v72, v72
	s_delay_alu instid0(VALU_DEP_3) | instskip(NEXT) | instid1(VALU_DEP_1)
	v_exp_f32_e32 v78, v78
	v_dual_add_f32 v69, v69, v87 :: v_dual_mul_f32 v70, 0x3fb8aa3b, v70
	s_delay_alu instid0(VALU_DEP_1) | instskip(NEXT) | instid1(VALU_DEP_2)
	v_add_f32_e32 v69, v69, v84
	v_exp_f32_e32 v79, v70
	s_delay_alu instid0(TRANS32_DEP_3) | instskip(NEXT) | instid1(VALU_DEP_2)
	v_cndmask_b32_e64 v70, 0, v72, s10
	v_add_f32_e32 v72, v69, v88
	v_cndmask_b32_e64 v69, 0, v77, s11
	v_fma_f32 v77, s19, v106, -v68
	s_waitcnt_depctr 0xfff
	v_cndmask_b32_e64 v71, 0, v79, s12
	v_dual_mul_f32 v77, 0x3fb8aa3b, v77 :: v_dual_add_f32 v72, v72, v70
	s_delay_alu instid0(VALU_DEP_1) | instskip(NEXT) | instid1(VALU_DEP_1)
	v_exp_f32_e32 v90, v77
	v_add_f32_e32 v79, v72, v69
	v_cndmask_b32_e64 v72, 0, v78, s13
	v_cndmask_b32_e64 v77, 0, v82, s15
	s_delay_alu instid0(VALU_DEP_3) | instskip(SKIP_1) | instid1(VALU_DEP_1)
	v_add_f32_e32 v78, v79, v71
	v_fma_f32 v79, s19, v107, -v68
	v_dual_add_f32 v82, v78, v72 :: v_dual_mul_f32 v79, 0x3fb8aa3b, v79
	v_cndmask_b32_e64 v78, 0, v81, s16
	s_delay_alu instid0(VALU_DEP_2) | instskip(NEXT) | instid1(VALU_DEP_3)
	v_add_f32_e32 v81, v82, v77
	v_exp_f32_e32 v82, v79
	v_cndmask_b32_e64 v79, 0, v90, s17
	s_delay_alu instid0(VALU_DEP_2) | instskip(NEXT) | instid1(VALU_DEP_1)
	v_add_f32_e32 v81, v81, v78
	v_add_f32_e32 v90, v81, v79
	s_waitcnt_depctr 0xfff
	v_cndmask_b32_e64 v81, 0, v82, s18
	s_delay_alu instid0(VALU_DEP_1)
	v_add_f32_e32 v82, v90, v81
	ds_bpermute_b32 v89, v89, v82
	v_cmpx_gt_u32_e32 16, v67
	s_cbranch_execz .LBB1699_12
; %bb.11:
	v_mul_u32_u24_e32 v67, 0x44, v66
	s_delay_alu instid0(VALU_DEP_1) | instskip(SKIP_1) | instid1(VALU_DEP_1)
	v_lshl_add_u32 v67, v65, 2, v67
	s_waitcnt lgkmcnt(0)
	v_dual_add_f32 v82, v82, v89 :: v_dual_add_nc_u32 v67, 0x4000, v67
	ds_store_2addr_b32 v67, v68, v82 offset1:136
.LBB1699_12:
	s_or_b32 exec_lo, exec_lo, s3
	v_lshlrev_b32_e32 v67, 2, v65
	s_waitcnt lgkmcnt(0)
	s_barrier
	buffer_gl0_inv
	v_cmp_eq_u32_e32 vcc_lo, 1, v66
	v_add_nc_u32_e32 v82, 0x4000, v67
	v_cmp_eq_u32_e64 s3, 2, v66
	v_cmp_eq_u32_e64 s5, 7, v66
	ds_load_2addr_b32 v[89:90], v82 offset1:17
	ds_load_2addr_b32 v[91:92], v82 offset0:34 offset1:51
	ds_load_2addr_b32 v[93:94], v82 offset0:68 offset1:85
	;; [unrolled: 1-line block ×4, first 2 shown]
	s_waitcnt lgkmcnt(4)
	v_max3_f32 v67, v89, 0xff7fffff, v90
	s_waitcnt lgkmcnt(3)
	s_delay_alu instid0(VALU_DEP_1) | instskip(SKIP_1) | instid1(VALU_DEP_1)
	v_max3_f32 v67, v67, v91, v92
	s_waitcnt lgkmcnt(2)
	v_max3_f32 v67, v67, v93, v94
	s_waitcnt lgkmcnt(1)
	s_delay_alu instid0(VALU_DEP_1) | instskip(NEXT) | instid1(VALU_DEP_1)
	v_max3_f32 v67, v67, v95, v96
	v_sub_f32_e32 v93, v93, v67
	s_delay_alu instid0(VALU_DEP_1) | instskip(NEXT) | instid1(VALU_DEP_1)
	v_dual_sub_f32 v68, v89, v67 :: v_dual_mul_f32 v103, 0x3fb8aa3b, v93
	v_mul_f32_e32 v68, 0x3fb8aa3b, v68
	s_delay_alu instid0(VALU_DEP_1)
	v_exp_f32_e32 v100, v68
	v_sub_f32_e32 v68, v92, v67
	v_sub_f32_e32 v99, v90, v67
	ds_load_2addr_b32 v[89:90], v82 offset0:170 offset1:187
	v_dual_mul_f32 v102, 0x3fb8aa3b, v68 :: v_dual_mul_f32 v99, 0x3fb8aa3b, v99
	s_waitcnt lgkmcnt(1)
	v_fma_f32 v68, v100, v97, 0
	s_delay_alu instid0(VALU_DEP_2) | instskip(NEXT) | instid1(VALU_DEP_2)
	v_exp_f32_e32 v102, v102
	v_exp_f32_e32 v99, v99
	s_waitcnt_depctr 0xfff
	v_fmac_f32_e32 v68, v99, v98
	v_sub_f32_e32 v91, v91, v67
	s_delay_alu instid0(VALU_DEP_1)
	v_mul_f32_e32 v101, 0x3fb8aa3b, v91
	ds_load_2addr_b32 v[91:92], v82 offset0:204 offset1:221
	v_sub_f32_e32 v97, v94, v67
	ds_load_2addr_b32 v[93:94], v82 offset0:238 offset1:255
	s_waitcnt lgkmcnt(0)
	v_exp_f32_e32 v101, v101
	s_barrier
	buffer_gl0_inv
	v_dual_fmac_f32 v68, v101, v89 :: v_dual_sub_f32 v89, v96, v67
	v_dual_sub_f32 v82, v95, v67 :: v_dual_mul_f32 v95, 0x3fb8aa3b, v97
	v_exp_f32_e32 v97, v103
	s_delay_alu instid0(VALU_DEP_2) | instskip(NEXT) | instid1(VALU_DEP_2)
	v_dual_fmac_f32 v68, v102, v90 :: v_dual_mul_f32 v89, 0x3fb8aa3b, v89
	v_mul_f32_e32 v82, 0x3fb8aa3b, v82
	s_delay_alu instid0(VALU_DEP_3) | instskip(NEXT) | instid1(VALU_DEP_2)
	v_exp_f32_e32 v95, v95
	v_exp_f32_e32 v89, v89
	s_delay_alu instid0(VALU_DEP_1)
	v_exp_f32_e32 v82, v82
	v_fmac_f32_e32 v68, v97, v91
	s_delay_alu instid0(TRANS32_DEP_3) | instid1(VALU_DEP_1)
	v_fmac_f32_e32 v68, v95, v92
	s_waitcnt_depctr 0xfff
	v_fmac_f32_e32 v68, v82, v93
	s_delay_alu instid0(VALU_DEP_1) | instskip(NEXT) | instid1(VALU_DEP_1)
	v_fmac_f32_e32 v68, v89, v94
	v_add_f32_e32 v90, 0x358637bd, v68
	s_delay_alu instid0(VALU_DEP_1) | instskip(NEXT) | instid1(VALU_DEP_1)
	v_div_scale_f32 v91, null, v90, v90, 1.0
	v_rcp_f32_e32 v92, v91
	s_waitcnt_depctr 0xfff
	v_fma_f32 v93, -v91, v92, 1.0
	s_delay_alu instid0(VALU_DEP_1) | instskip(SKIP_1) | instid1(VALU_DEP_2)
	v_dual_fmac_f32 v92, v93, v92 :: v_dual_cndmask_b32 v93, v100, v99
	v_cmp_eq_u32_e32 vcc_lo, 3, v66
	v_cndmask_b32_e64 v93, v93, v101, s3
	v_cmp_eq_u32_e64 s3, 4, v66
	s_delay_alu instid0(VALU_DEP_2) | instskip(SKIP_1) | instid1(VALU_DEP_2)
	v_cndmask_b32_e32 v93, v93, v102, vcc_lo
	v_cmp_eq_u32_e32 vcc_lo, 5, v66
	v_cndmask_b32_e64 v93, v93, v97, s3
	v_cmp_eq_u32_e64 s3, 6, v66
	s_delay_alu instid0(VALU_DEP_2) | instskip(SKIP_1) | instid1(VALU_DEP_1)
	v_cndmask_b32_e32 v93, v93, v95, vcc_lo
	v_div_scale_f32 v94, s4, 1.0, v90, 1.0
	s_mov_b32 vcc_lo, s4
	s_delay_alu instid0(VALU_DEP_2) | instskip(NEXT) | instid1(VALU_DEP_2)
	v_cndmask_b32_e64 v82, v93, v82, s3
	v_mul_f32_e32 v96, v94, v92
	s_mov_b32 s3, exec_lo
	s_delay_alu instid0(VALU_DEP_2) | instskip(NEXT) | instid1(VALU_DEP_2)
	v_cndmask_b32_e64 v82, v82, v89, s5
	v_fma_f32 v98, -v91, v96, v94
	s_delay_alu instid0(VALU_DEP_1) | instskip(NEXT) | instid1(VALU_DEP_1)
	v_fmac_f32_e32 v96, v98, v92
	v_fma_f32 v91, -v91, v96, v94
	s_delay_alu instid0(VALU_DEP_1) | instskip(NEXT) | instid1(VALU_DEP_1)
	v_div_fmas_f32 v91, v91, v92, v96
	v_div_fixup_f32 v90, v91, v90, 1.0
	s_delay_alu instid0(VALU_DEP_1) | instskip(NEXT) | instid1(VALU_DEP_1)
	v_mul_f32_e32 v82, v82, v90
	v_mul_f32_e32 v87, v82, v87
	;; [unrolled: 1-line block ×7, first 2 shown]
	v_dual_mul_f32 v86, v82, v83 :: v_dual_and_b32 v91, 0x7f800000, v90
	v_mul_f32_e32 v85, v82, v76
                                        ; implicit-def: $vgpr76
	s_delay_alu instid0(VALU_DEP_2)
	v_cmpx_ne_u32_e32 0x7f800000, v91
	s_xor_b32 s3, exec_lo, s3
; %bb.13:
	v_bfe_u32 v76, v90, 16, 1
	s_delay_alu instid0(VALU_DEP_1)
	v_add3_u32 v76, v90, v76, 0x7fff
                                        ; implicit-def: $vgpr90
; %bb.14:
	s_and_not1_saveexec_b32 s3, s3
; %bb.15:
	v_and_b32_e32 v76, 0xffff, v90
	v_or_b32_e32 v83, 0x10000, v90
	s_delay_alu instid0(VALU_DEP_2) | instskip(NEXT) | instid1(VALU_DEP_2)
	v_cmp_eq_u32_e32 vcc_lo, 0, v76
	v_cndmask_b32_e32 v76, v83, v90, vcc_lo
; %bb.16:
	s_or_b32 exec_lo, exec_lo, s3
	v_and_b32_e32 v83, 0x7f800000, v85
	s_delay_alu instid0(VALU_DEP_1) | instskip(SKIP_1) | instid1(SALU_CYCLE_1)
	v_cmp_ne_u32_e32 vcc_lo, 0x7f800000, v83
                                        ; implicit-def: $vgpr83
	s_and_saveexec_b32 s3, vcc_lo
	s_xor_b32 s3, exec_lo, s3
; %bb.17:
	v_bfe_u32 v83, v85, 16, 1
	s_delay_alu instid0(VALU_DEP_1)
	v_add3_u32 v83, v85, v83, 0x7fff
                                        ; implicit-def: $vgpr85
; %bb.18:
	s_and_not1_saveexec_b32 s3, s3
; %bb.19:
	v_and_b32_e32 v83, 0xffff, v85
	v_or_b32_e32 v90, 0x10000, v85
	s_delay_alu instid0(VALU_DEP_2) | instskip(NEXT) | instid1(VALU_DEP_2)
	v_cmp_eq_u32_e32 vcc_lo, 0, v83
	v_cndmask_b32_e32 v83, v90, v85, vcc_lo
; %bb.20:
	s_or_b32 exec_lo, exec_lo, s3
	v_and_b32_e32 v85, 0x7f800000, v86
	s_delay_alu instid0(VALU_DEP_1) | instskip(SKIP_1) | instid1(SALU_CYCLE_1)
	v_cmp_ne_u32_e32 vcc_lo, 0x7f800000, v85
                                        ; implicit-def: $vgpr85
	s_and_saveexec_b32 s3, vcc_lo
	s_xor_b32 s3, exec_lo, s3
; %bb.21:
	v_bfe_u32 v85, v86, 16, 1
	s_delay_alu instid0(VALU_DEP_1)
	v_add3_u32 v85, v86, v85, 0x7fff
                                        ; implicit-def: $vgpr86
; %bb.22:
	s_and_not1_saveexec_b32 s3, s3
; %bb.23:
	v_and_b32_e32 v85, 0xffff, v86
	v_or_b32_e32 v90, 0x10000, v86
	s_delay_alu instid0(VALU_DEP_2) | instskip(NEXT) | instid1(VALU_DEP_2)
	v_cmp_eq_u32_e32 vcc_lo, 0, v85
	v_cndmask_b32_e32 v85, v90, v86, vcc_lo
; %bb.24:
	s_or_b32 exec_lo, exec_lo, s3
	v_and_b32_e32 v86, 0x7f800000, v89
	s_delay_alu instid0(VALU_DEP_1) | instskip(SKIP_1) | instid1(SALU_CYCLE_1)
	v_cmp_ne_u32_e32 vcc_lo, 0x7f800000, v86
                                        ; implicit-def: $vgpr86
	s_and_saveexec_b32 s3, vcc_lo
	s_xor_b32 s3, exec_lo, s3
; %bb.25:
	v_bfe_u32 v86, v89, 16, 1
	s_delay_alu instid0(VALU_DEP_1)
	v_add3_u32 v86, v89, v86, 0x7fff
                                        ; implicit-def: $vgpr89
; %bb.26:
	s_and_not1_saveexec_b32 s3, s3
; %bb.27:
	v_and_b32_e32 v86, 0xffff, v89
	v_or_b32_e32 v90, 0x10000, v89
	s_delay_alu instid0(VALU_DEP_2) | instskip(NEXT) | instid1(VALU_DEP_2)
	v_cmp_eq_u32_e32 vcc_lo, 0, v86
	v_cndmask_b32_e32 v86, v90, v89, vcc_lo
; %bb.28:
	s_or_b32 exec_lo, exec_lo, s3
	v_and_b32_e32 v89, 0x7f800000, v88
	s_delay_alu instid0(VALU_DEP_1) | instskip(SKIP_1) | instid1(SALU_CYCLE_1)
	v_cmp_ne_u32_e32 vcc_lo, 0x7f800000, v89
                                        ; implicit-def: $vgpr89
	s_and_saveexec_b32 s3, vcc_lo
	s_xor_b32 s3, exec_lo, s3
; %bb.29:
	v_bfe_u32 v89, v88, 16, 1
	s_delay_alu instid0(VALU_DEP_1)
	v_add3_u32 v89, v88, v89, 0x7fff
                                        ; implicit-def: $vgpr88
; %bb.30:
	s_and_not1_saveexec_b32 s3, s3
; %bb.31:
	v_and_b32_e32 v89, 0xffff, v88
	v_or_b32_e32 v90, 0x10000, v88
	s_delay_alu instid0(VALU_DEP_2) | instskip(NEXT) | instid1(VALU_DEP_2)
	v_cmp_eq_u32_e32 vcc_lo, 0, v89
	v_cndmask_b32_e32 v89, v90, v88, vcc_lo
; %bb.32:
	s_or_b32 exec_lo, exec_lo, s3
	v_and_b32_e32 v88, 0x7f800000, v87
	s_delay_alu instid0(VALU_DEP_1) | instskip(SKIP_1) | instid1(SALU_CYCLE_1)
	v_cmp_ne_u32_e32 vcc_lo, 0x7f800000, v88
                                        ; implicit-def: $vgpr88
	s_and_saveexec_b32 s3, vcc_lo
	s_xor_b32 s3, exec_lo, s3
; %bb.33:
	v_bfe_u32 v88, v87, 16, 1
	s_delay_alu instid0(VALU_DEP_1)
	v_add3_u32 v88, v87, v88, 0x7fff
                                        ; implicit-def: $vgpr87
; %bb.34:
	s_and_not1_saveexec_b32 s3, s3
; %bb.35:
	v_and_b32_e32 v88, 0xffff, v87
	v_or_b32_e32 v90, 0x10000, v87
	s_delay_alu instid0(VALU_DEP_2) | instskip(NEXT) | instid1(VALU_DEP_2)
	v_cmp_eq_u32_e32 vcc_lo, 0, v88
	v_cndmask_b32_e32 v88, v90, v87, vcc_lo
; %bb.36:
	s_or_b32 exec_lo, exec_lo, s3
	v_and_b32_e32 v87, 0x7f800000, v84
	s_delay_alu instid0(VALU_DEP_1) | instskip(SKIP_1) | instid1(SALU_CYCLE_1)
	v_cmp_ne_u32_e32 vcc_lo, 0x7f800000, v87
                                        ; implicit-def: $vgpr87
	s_and_saveexec_b32 s3, vcc_lo
	s_xor_b32 s3, exec_lo, s3
; %bb.37:
	v_bfe_u32 v87, v84, 16, 1
	s_delay_alu instid0(VALU_DEP_1)
	v_add3_u32 v87, v84, v87, 0x7fff
                                        ; implicit-def: $vgpr84
; %bb.38:
	s_and_not1_saveexec_b32 s3, s3
; %bb.39:
	v_and_b32_e32 v87, 0xffff, v84
	v_or_b32_e32 v90, 0x10000, v84
	s_delay_alu instid0(VALU_DEP_2) | instskip(NEXT) | instid1(VALU_DEP_2)
	v_cmp_eq_u32_e32 vcc_lo, 0, v87
	v_cndmask_b32_e32 v87, v90, v84, vcc_lo
; %bb.40:
	s_or_b32 exec_lo, exec_lo, s3
	v_and_b32_e32 v84, 0x7f800000, v80
	s_delay_alu instid0(VALU_DEP_1) | instskip(SKIP_1) | instid1(SALU_CYCLE_1)
	v_cmp_ne_u32_e32 vcc_lo, 0x7f800000, v84
                                        ; implicit-def: $vgpr84
	s_and_saveexec_b32 s3, vcc_lo
	s_xor_b32 s3, exec_lo, s3
; %bb.41:
	v_bfe_u32 v84, v80, 16, 1
	s_delay_alu instid0(VALU_DEP_1)
	v_add3_u32 v84, v80, v84, 0x7fff
                                        ; implicit-def: $vgpr80
; %bb.42:
	s_and_not1_saveexec_b32 s3, s3
; %bb.43:
	v_and_b32_e32 v84, 0xffff, v80
	v_or_b32_e32 v90, 0x10000, v80
	s_delay_alu instid0(VALU_DEP_2) | instskip(NEXT) | instid1(VALU_DEP_2)
	v_cmp_eq_u32_e32 vcc_lo, 0, v84
	v_cndmask_b32_e32 v84, v90, v80, vcc_lo
; %bb.44:
	s_or_b32 exec_lo, exec_lo, s3
	s_load_b64 s[34:35], s[0:1], 0x94
	v_lshlrev_b32_e32 v91, 4, v74
	s_delay_alu instid0(VALU_DEP_2)
	v_perm_b32 v90, v84, v87, 0x7060302
	v_dual_mul_f32 v79, v82, v79 :: v_dual_lshlrev_b32 v80, 6, v65
	v_dual_mul_f32 v77, v82, v77 :: v_dual_lshlrev_b32 v92, 11, v66
	v_mul_f32_e32 v84, v82, v70
	v_perm_b32 v89, v88, v89, 0x7060302
	v_perm_b32 v88, v86, v85, 0x7060302
	;; [unrolled: 1-line block ×3, first 2 shown]
	v_mul_f32_e32 v70, v82, v81
	v_or3_b32 v76, v91, v92, v80
	v_dual_mul_f32 v78, v82, v78 :: v_dual_and_b32 v85, 0x7f800000, v84
	v_mul_f32_e32 v83, v82, v72
	v_mul_f32_e32 v81, v82, v71
	;; [unrolled: 1-line block ×3, first 2 shown]
	s_mov_b32 s3, exec_lo
	ds_store_b128 v76, v[87:90]
                                        ; implicit-def: $vgpr69
	v_cmpx_ne_u32_e32 0x7f800000, v85
	s_xor_b32 s3, exec_lo, s3
; %bb.45:
	v_bfe_u32 v69, v84, 16, 1
	s_delay_alu instid0(VALU_DEP_1)
	v_add3_u32 v69, v84, v69, 0x7fff
                                        ; implicit-def: $vgpr84
; %bb.46:
	s_and_not1_saveexec_b32 s3, s3
; %bb.47:
	v_and_b32_e32 v69, 0xffff, v84
	v_or_b32_e32 v71, 0x10000, v84
	s_delay_alu instid0(VALU_DEP_2) | instskip(NEXT) | instid1(VALU_DEP_2)
	v_cmp_eq_u32_e32 vcc_lo, 0, v69
	v_cndmask_b32_e32 v69, v71, v84, vcc_lo
; %bb.48:
	s_or_b32 exec_lo, exec_lo, s3
	v_and_b32_e32 v71, 0x7f800000, v72
	s_delay_alu instid0(VALU_DEP_1) | instskip(SKIP_1) | instid1(SALU_CYCLE_1)
	v_cmp_ne_u32_e32 vcc_lo, 0x7f800000, v71
                                        ; implicit-def: $vgpr71
	s_and_saveexec_b32 s3, vcc_lo
	s_xor_b32 s3, exec_lo, s3
; %bb.49:
	v_bfe_u32 v71, v72, 16, 1
	s_delay_alu instid0(VALU_DEP_1)
	v_add3_u32 v71, v72, v71, 0x7fff
                                        ; implicit-def: $vgpr72
; %bb.50:
	s_and_not1_saveexec_b32 s3, s3
; %bb.51:
	v_and_b32_e32 v71, 0xffff, v72
	v_or_b32_e32 v82, 0x10000, v72
	s_delay_alu instid0(VALU_DEP_2) | instskip(NEXT) | instid1(VALU_DEP_2)
	v_cmp_eq_u32_e32 vcc_lo, 0, v71
	v_cndmask_b32_e32 v71, v82, v72, vcc_lo
; %bb.52:
	s_or_b32 exec_lo, exec_lo, s3
	v_and_b32_e32 v72, 0x7f800000, v81
	s_delay_alu instid0(VALU_DEP_1) | instskip(SKIP_1) | instid1(SALU_CYCLE_1)
	v_cmp_ne_u32_e32 vcc_lo, 0x7f800000, v72
                                        ; implicit-def: $vgpr72
	s_and_saveexec_b32 s3, vcc_lo
	s_xor_b32 s3, exec_lo, s3
; %bb.53:
	v_bfe_u32 v72, v81, 16, 1
	s_delay_alu instid0(VALU_DEP_1)
	v_add3_u32 v72, v81, v72, 0x7fff
                                        ; implicit-def: $vgpr81
; %bb.54:
	s_and_not1_saveexec_b32 s3, s3
; %bb.55:
	v_and_b32_e32 v72, 0xffff, v81
	v_or_b32_e32 v82, 0x10000, v81
	s_delay_alu instid0(VALU_DEP_2) | instskip(NEXT) | instid1(VALU_DEP_2)
	v_cmp_eq_u32_e32 vcc_lo, 0, v72
	v_cndmask_b32_e32 v72, v82, v81, vcc_lo
; %bb.56:
	s_or_b32 exec_lo, exec_lo, s3
	v_and_b32_e32 v81, 0x7f800000, v83
	s_delay_alu instid0(VALU_DEP_1) | instskip(SKIP_1) | instid1(SALU_CYCLE_1)
	v_cmp_ne_u32_e32 vcc_lo, 0x7f800000, v81
                                        ; implicit-def: $vgpr81
	s_and_saveexec_b32 s3, vcc_lo
	s_xor_b32 s3, exec_lo, s3
; %bb.57:
	v_bfe_u32 v81, v83, 16, 1
	s_delay_alu instid0(VALU_DEP_1)
	v_add3_u32 v81, v83, v81, 0x7fff
                                        ; implicit-def: $vgpr83
; %bb.58:
	s_and_not1_saveexec_b32 s3, s3
; %bb.59:
	v_and_b32_e32 v81, 0xffff, v83
	v_or_b32_e32 v82, 0x10000, v83
	s_delay_alu instid0(VALU_DEP_2) | instskip(NEXT) | instid1(VALU_DEP_2)
	v_cmp_eq_u32_e32 vcc_lo, 0, v81
	v_cndmask_b32_e32 v81, v82, v83, vcc_lo
; %bb.60:
	s_or_b32 exec_lo, exec_lo, s3
	v_and_b32_e32 v82, 0x7f800000, v77
	s_delay_alu instid0(VALU_DEP_1) | instskip(SKIP_1) | instid1(SALU_CYCLE_1)
	v_cmp_ne_u32_e32 vcc_lo, 0x7f800000, v82
                                        ; implicit-def: $vgpr82
	s_and_saveexec_b32 s3, vcc_lo
	s_xor_b32 s3, exec_lo, s3
; %bb.61:
	v_bfe_u32 v82, v77, 16, 1
	s_delay_alu instid0(VALU_DEP_1)
	v_add3_u32 v82, v77, v82, 0x7fff
                                        ; implicit-def: $vgpr77
; %bb.62:
	s_and_not1_saveexec_b32 s3, s3
; %bb.63:
	v_and_b32_e32 v82, 0xffff, v77
	v_or_b32_e32 v83, 0x10000, v77
	s_delay_alu instid0(VALU_DEP_2) | instskip(NEXT) | instid1(VALU_DEP_2)
	v_cmp_eq_u32_e32 vcc_lo, 0, v82
	v_cndmask_b32_e32 v82, v83, v77, vcc_lo
; %bb.64:
	s_or_b32 exec_lo, exec_lo, s3
	v_and_b32_e32 v77, 0x7f800000, v78
	s_delay_alu instid0(VALU_DEP_1) | instskip(SKIP_1) | instid1(SALU_CYCLE_1)
	v_cmp_ne_u32_e32 vcc_lo, 0x7f800000, v77
                                        ; implicit-def: $vgpr77
	s_and_saveexec_b32 s3, vcc_lo
	s_xor_b32 s3, exec_lo, s3
; %bb.65:
	v_bfe_u32 v77, v78, 16, 1
	s_delay_alu instid0(VALU_DEP_1)
	v_add3_u32 v77, v78, v77, 0x7fff
                                        ; implicit-def: $vgpr78
; %bb.66:
	s_and_not1_saveexec_b32 s3, s3
; %bb.67:
	v_and_b32_e32 v77, 0xffff, v78
	v_or_b32_e32 v83, 0x10000, v78
	s_delay_alu instid0(VALU_DEP_2) | instskip(NEXT) | instid1(VALU_DEP_2)
	v_cmp_eq_u32_e32 vcc_lo, 0, v77
	v_cndmask_b32_e32 v77, v83, v78, vcc_lo
; %bb.68:
	s_or_b32 exec_lo, exec_lo, s3
	v_and_b32_e32 v78, 0x7f800000, v79
	s_delay_alu instid0(VALU_DEP_1) | instskip(SKIP_1) | instid1(SALU_CYCLE_1)
	v_cmp_ne_u32_e32 vcc_lo, 0x7f800000, v78
                                        ; implicit-def: $vgpr78
	s_and_saveexec_b32 s3, vcc_lo
	s_xor_b32 s3, exec_lo, s3
; %bb.69:
	v_bfe_u32 v78, v79, 16, 1
	s_delay_alu instid0(VALU_DEP_1)
	v_add3_u32 v78, v79, v78, 0x7fff
                                        ; implicit-def: $vgpr79
; %bb.70:
	s_and_not1_saveexec_b32 s3, s3
; %bb.71:
	v_and_b32_e32 v78, 0xffff, v79
	v_or_b32_e32 v83, 0x10000, v79
	s_delay_alu instid0(VALU_DEP_2) | instskip(NEXT) | instid1(VALU_DEP_2)
	v_cmp_eq_u32_e32 vcc_lo, 0, v78
	v_cndmask_b32_e32 v78, v83, v79, vcc_lo
; %bb.72:
	s_or_b32 exec_lo, exec_lo, s3
	v_and_b32_e32 v79, 0x7f800000, v70
	s_delay_alu instid0(VALU_DEP_1) | instskip(SKIP_1) | instid1(SALU_CYCLE_1)
	v_cmp_ne_u32_e32 vcc_lo, 0x7f800000, v79
                                        ; implicit-def: $vgpr79
	s_and_saveexec_b32 s3, vcc_lo
	s_xor_b32 s3, exec_lo, s3
; %bb.73:
	v_bfe_u32 v79, v70, 16, 1
	s_delay_alu instid0(VALU_DEP_1)
	v_add3_u32 v79, v70, v79, 0x7fff
                                        ; implicit-def: $vgpr70
; %bb.74:
	s_and_not1_saveexec_b32 s3, s3
; %bb.75:
	v_and_b32_e32 v79, 0xffff, v70
	v_or_b32_e32 v83, 0x10000, v70
	s_delay_alu instid0(VALU_DEP_2) | instskip(NEXT) | instid1(VALU_DEP_2)
	v_cmp_eq_u32_e32 vcc_lo, 0, v79
	v_cndmask_b32_e32 v79, v83, v70, vcc_lo
; %bb.76:
	s_or_b32 exec_lo, exec_lo, s3
	s_delay_alu instid0(VALU_DEP_1)
	v_perm_b32 v86, v79, v78, 0x7060302
	v_perm_b32 v85, v77, v82, 0x7060302
	;; [unrolled: 1-line block ×4, first 2 shown]
	v_lshl_or_b32 v82, v66, 11, v80
	ds_store_b128 v76, v[83:86] offset:1024
	s_waitcnt lgkmcnt(0)
	s_barrier
	buffer_gl0_inv
	ds_load_b128 v[69:72], v82
	ds_load_b128 v[83:86], v82 offset:16
	s_waitcnt lgkmcnt(1)
	v_lshrrev_b32_e32 v66, 16, v69
	s_waitcnt lgkmcnt(0)
	v_lshrrev_b32_e32 v91, 16, v83
	v_lshlrev_b32_e32 v78, 2, v74
	v_lshrrev_b32_e32 v95, 16, v70
	v_lshrrev_b32_e32 v98, 16, v84
	v_lshrrev_b32_e32 v96, 16, v71
	v_lshrrev_b32_e32 v99, 16, v85
	v_cmp_eq_u32_e32 vcc_lo, 1, v78
	v_lshrrev_b32_e32 v97, 16, v72
	v_lshrrev_b32_e32 v100, 16, v86
	v_cndmask_b32_e32 v87, v83, v91, vcc_lo
	v_or_b32_e32 v79, 1, v78
	v_cndmask_b32_e32 v81, v69, v66, vcc_lo
	v_cmp_eq_u32_e64 s4, 2, v78
	v_cmp_eq_u32_e64 s7, 3, v78
	;; [unrolled: 1-line block ×5, first 2 shown]
	v_cndmask_b32_e64 v81, v81, v70, s4
	v_cndmask_b32_e64 v87, v87, v84, s4
	v_cmp_eq_u32_e64 s8, 3, v79
	v_cndmask_b32_e64 v88, v69, v66, s3
	v_or_b32_e32 v77, 2, v78
	v_cndmask_b32_e64 v81, v81, v95, s7
	v_cndmask_b32_e64 v87, v87, v98, s7
	;; [unrolled: 1-line block ×4, first 2 shown]
	v_cmp_eq_u32_e64 s10, 5, v78
	v_cndmask_b32_e64 v81, v81, v71, s9
	v_cndmask_b32_e64 v87, v87, v85, s9
	v_cmp_eq_u32_e64 s11, 4, v79
	v_cndmask_b32_e64 v88, v88, v95, s8
	v_cmp_eq_u32_e64 s5, 1, v77
	v_cndmask_b32_e64 v89, v89, v84, s6
	v_cndmask_b32_e64 v81, v81, v96, s10
	v_cmp_eq_u32_e64 s12, 6, v78
	v_cndmask_b32_e64 v88, v88, v71, s11
	;; [unrolled: 3-line block ×3, first 2 shown]
	v_cndmask_b32_e64 v89, v89, v98, s8
	v_cndmask_b32_e64 v81, v81, v72, s12
	v_cmp_eq_u32_e64 s15, 7, v78
	v_cndmask_b32_e64 v88, v88, v96, s13
	v_cndmask_b32_e64 v87, v87, v86, s12
	v_cmp_eq_u32_e64 s16, 6, v79
	v_cmp_eq_u32_e64 s17, 2, v77
	v_cndmask_b32_e64 v89, v89, v85, s11
	v_cndmask_b32_e64 v101, v81, v97, s15
	;; [unrolled: 1-line block ×6, first 2 shown]
	v_cmp_eq_u32_e64 s18, 7, v79
	v_cmp_eq_u32_e64 s19, 3, v77
	;; [unrolled: 1-line block ×4, first 2 shown]
	v_cndmask_b32_e64 v87, v87, v84, s17
	v_cndmask_b32_e64 v103, v88, v97, s18
	;; [unrolled: 1-line block ×4, first 2 shown]
	v_or_b32_e32 v81, 3, v78
	v_cndmask_b32_e64 v93, v87, v98, s19
	v_cmp_eq_u32_e64 s24, 6, v77
	v_cndmask_b32_e64 v104, v88, v86, s16
	v_cndmask_b32_e64 v92, v89, v71, s20
	v_cmp_eq_u32_e64 s21, 1, v81
	ds_load_b128 v[87:90], v82 offset:1024
	v_cmp_eq_u32_e64 s23, 2, v81
	v_cmp_eq_u32_e64 s25, 3, v81
	v_cndmask_b32_e64 v105, v92, v96, s22
	v_cndmask_b32_e64 v66, v69, v66, s21
	;; [unrolled: 1-line block ×4, first 2 shown]
	ds_load_b128 v[91:94], v82 offset:1040
	v_cmp_eq_u32_e64 s26, 4, v81
	v_cndmask_b32_e64 v66, v66, v70, s23
	v_cmp_eq_u32_e64 s27, 7, v77
	v_cndmask_b32_e64 v70, v83, v84, s23
	v_cndmask_b32_e64 v84, v105, v72, s24
	v_cmp_eq_u32_e64 s28, 5, v81
	v_cndmask_b32_e64 v66, v66, v95, s25
	v_cmp_eq_u32_e64 s29, 6, v81
	v_cndmask_b32_e64 v70, v70, v98, s25
	v_cndmask_b32_e64 v69, v69, v99, s22
	;; [unrolled: 1-line block ×4, first 2 shown]
	s_waitcnt lgkmcnt(1)
	v_lshrrev_b32_e32 v95, 16, v87
	v_cndmask_b32_e64 v70, v70, v85, s26
	v_cndmask_b32_e64 v71, v84, v97, s27
	;; [unrolled: 1-line block ×4, first 2 shown]
	v_cndmask_b32_e32 v84, v87, v95, vcc_lo
	v_cndmask_b32_e64 v70, v70, v99, s28
	s_waitcnt lgkmcnt(0)
	v_lshrrev_b32_e32 v85, 16, v91
	v_lshrrev_b32_e32 v96, 16, v88
	v_cndmask_b32_e64 v98, v87, v95, s3
	v_cndmask_b32_e64 v84, v84, v88, s4
	;; [unrolled: 1-line block ×3, first 2 shown]
	v_cndmask_b32_e32 v99, v91, v85, vcc_lo
	v_cmp_eq_u32_e32 vcc_lo, 7, v81
	v_cndmask_b32_e64 v66, v66, v72, s29
	v_cndmask_b32_e64 v72, v84, v96, s7
	;; [unrolled: 1-line block ×3, first 2 shown]
	v_lshrrev_b32_e32 v98, 16, v92
	v_cndmask_b32_e32 v70, v70, v100, vcc_lo
	v_cndmask_b32_e64 v86, v99, v92, s4
	v_cndmask_b32_e64 v69, v69, v100, s27
	v_lshrrev_b32_e32 v100, 16, v93
	v_cndmask_b32_e64 v72, v72, v89, s9
	v_lshrrev_b32_e32 v99, 16, v89
	v_cndmask_b32_e64 v86, v86, v98, s7
	v_perm_b32 v71, v69, v71, 0x5040100
	v_cndmask_b32_e64 v84, v84, v96, s8
	s_delay_alu instid0(VALU_DEP_3) | instskip(NEXT) | instid1(VALU_DEP_2)
	v_cndmask_b32_e64 v86, v86, v93, s9
	v_cndmask_b32_e64 v84, v84, v89, s11
	s_delay_alu instid0(VALU_DEP_2) | instskip(NEXT) | instid1(VALU_DEP_1)
	v_cndmask_b32_e64 v86, v86, v100, s10
	v_cndmask_b32_e64 v69, v86, v94, s12
	;; [unrolled: 1-line block ×5, first 2 shown]
	s_delay_alu instid0(VALU_DEP_3) | instskip(NEXT) | instid1(VALU_DEP_3)
	v_cndmask_b32_e64 v86, v86, v88, s17
	v_cndmask_b32_e64 v87, v87, v88, s23
	s_delay_alu instid0(VALU_DEP_3) | instskip(NEXT) | instid1(VALU_DEP_3)
	v_cndmask_b32_e64 v88, v95, v92, s23
	v_cndmask_b32_e64 v86, v86, v96, s19
	;; [unrolled: 3-line block ×7, first 2 shown]
	s_delay_alu instid0(VALU_DEP_3) | instskip(SKIP_2) | instid1(VALU_DEP_2)
	v_cndmask_b32_e64 v88, v88, v94, s29
	v_cndmask_b32_e32 v66, v66, v97, vcc_lo
	v_cndmask_b32_e64 v97, v72, v99, s10
	v_perm_b32 v72, v70, v66, 0x5040100
	v_perm_b32 v70, v83, v103, 0x5040100
	v_cndmask_b32_e64 v103, v91, v85, s5
	v_cndmask_b32_e64 v85, v91, v85, s3
	v_cndmask_b32_e64 v66, v84, v99, s13
	v_cndmask_b32_e64 v84, v97, v90, s12
	v_lshrrev_b32_e32 v97, 16, v90
	v_cndmask_b32_e64 v91, v103, v92, s17
	v_cndmask_b32_e64 v85, v85, v92, s6
	;; [unrolled: 1-line block ×3, first 2 shown]
	s_mov_b32 s3, exec_lo
	v_cndmask_b32_e64 v83, v84, v97, s15
	v_cndmask_b32_e64 v91, v91, v98, s19
	;; [unrolled: 1-line block ×3, first 2 shown]
	v_lshrrev_b32_e32 v84, 16, v94
	v_cndmask_b32_e64 v66, v66, v97, s18
	v_cndmask_b32_e64 v90, v86, v97, s27
	v_cndmask_b32_e64 v89, v91, v93, s20
	v_cndmask_b32_e64 v85, v85, v93, s11
	v_dual_cndmask_b32 v86, v87, v97 :: v_dual_cndmask_b32 v87, v88, v84
	v_cndmask_b32_e64 v91, v69, v84, s15
	s_delay_alu instid0(VALU_DEP_4) | instskip(NEXT) | instid1(VALU_DEP_4)
	v_cndmask_b32_e64 v89, v89, v100, s22
	v_cndmask_b32_e64 v85, v85, v100, s13
	v_perm_b32 v69, v102, v101, 0x5040100
	v_perm_b32 v86, v87, v86, 0x5040100
	;; [unrolled: 1-line block ×3, first 2 shown]
	v_cndmask_b32_e64 v89, v89, v94, s24
	v_cndmask_b32_e64 v85, v85, v94, s16
	s_mul_i32 s8, s35, 6
	s_delay_alu instid0(VALU_DEP_2) | instskip(NEXT) | instid1(VALU_DEP_2)
	v_cndmask_b32_e64 v88, v89, v84, s27
	v_cndmask_b32_e64 v89, v85, v84, s18
	s_delay_alu instid0(VALU_DEP_2) | instskip(NEXT) | instid1(VALU_DEP_2)
	v_perm_b32 v85, v88, v90, 0x5040100
	v_perm_b32 v84, v89, v66, 0x5040100
	ds_store_b128 v76, v[69:72]
	ds_store_b128 v76, v[83:86] offset:1024
	v_cmpx_gt_u32_e32 6, v0
	s_cbranch_execz .LBB1699_78
; %bb.77:
	s_mul_i32 s4, s8, s30
	s_delay_alu instid0(SALU_CYCLE_1) | instskip(SKIP_1) | instid1(VALU_DEP_1)
	v_add3_u32 v69, s4, s31, v65
	s_load_b128 s[4:7], s[0:1], 0x58
	v_mad_u64_u32 v[65:66], null, v69, s34, s[14:15]
	s_delay_alu instid0(VALU_DEP_1) | instskip(NEXT) | instid1(VALU_DEP_1)
	v_ashrrev_i32_e32 v66, 31, v65
	v_lshlrev_b64 v[65:66], 2, v[65:66]
	s_waitcnt lgkmcnt(0)
	s_delay_alu instid0(VALU_DEP_1) | instskip(NEXT) | instid1(VALU_DEP_2)
	v_add_co_u32 v69, vcc_lo, s6, v65
	v_add_co_ci_u32_e32 v70, vcc_lo, s7, v66, vcc_lo
	v_add_co_u32 v65, vcc_lo, s4, v65
	v_add_co_ci_u32_e32 v66, vcc_lo, s5, v66, vcc_lo
	global_store_b32 v[69:70], v67, off
	global_store_b32 v[65:66], v68, off
.LBB1699_78:
	s_or_b32 exec_lo, exec_lo, s3
	s_waitcnt lgkmcnt(0)
	s_waitcnt_vscnt null, 0x0
	s_barrier
	buffer_gl0_inv
	ds_load_b128 v[83:86], v80
	ds_load_b128 v[87:90], v80 offset:16
	ds_load_b128 v[95:98], v80 offset:2064
	;; [unrolled: 1-line block ×3, first 2 shown]
	v_mov_b32_e32 v65, 0
	ds_load_b128 v[103:106], v80 offset:4112
	ds_load_b128 v[99:102], v80 offset:4096
	;; [unrolled: 1-line block ×4, first 2 shown]
	v_mov_b32_e32 v66, v65
	v_mov_b32_e32 v67, v65
	;; [unrolled: 1-line block ×7, first 2 shown]
	s_waitcnt lgkmcnt(6)
	s_delay_alu instid0(VALU_DEP_1)
	v_wmma_f32_16x16x16_bf16 v[65:72], v[57:64], v[83:90], v[65:72]
	ds_load_b128 v[61:64], v80 offset:8208
	ds_load_b128 v[57:60], v80 offset:8192
	s_waitcnt lgkmcnt(6)
	v_wmma_f32_16x16x16_bf16 v[65:72], v[41:48], v[91:98], v[65:72]
	ds_load_b128 v[45:48], v80 offset:10256
	ds_load_b128 v[41:44], v80 offset:10240
	s_waitcnt lgkmcnt(6)
	;; [unrolled: 4-line block ×4, first 2 shown]
	v_wmma_f32_16x16x16_bf16 v[65:72], v[1:8], v[57:64], v[65:72]
	s_waitcnt lgkmcnt(4)
	s_delay_alu instid0(VALU_DEP_1) | instskip(SKIP_1) | instid1(VALU_DEP_1)
	v_wmma_f32_16x16x16_bf16 v[65:72], v[9:16], v[41:48], v[65:72]
	s_waitcnt lgkmcnt(2)
	v_wmma_f32_16x16x16_bf16 v[65:72], v[17:24], v[33:40], v[65:72]
	s_waitcnt lgkmcnt(0)
	s_delay_alu instid0(VALU_DEP_1) | instskip(NEXT) | instid1(VALU_DEP_1)
	v_wmma_f32_16x16x16_bf16 v[65:72], v[49:56], v[25:32], v[65:72]
	v_and_b32_e32 v1, 0x7f800000, v65
	s_delay_alu instid0(VALU_DEP_1) | instskip(SKIP_1) | instid1(SALU_CYCLE_1)
	v_cmp_ne_u32_e32 vcc_lo, 0x7f800000, v1
                                        ; implicit-def: $vgpr1
	s_and_saveexec_b32 s3, vcc_lo
	s_xor_b32 s3, exec_lo, s3
; %bb.79:
	v_bfe_u32 v1, v65, 16, 1
	s_delay_alu instid0(VALU_DEP_1)
	v_add3_u32 v1, v65, v1, 0x7fff
; %bb.80:
	s_and_not1_saveexec_b32 s3, s3
; %bb.81:
	v_and_b32_e32 v1, 0xffff, v65
	v_or_b32_e32 v2, 0x10000, v65
	s_delay_alu instid0(VALU_DEP_2) | instskip(NEXT) | instid1(VALU_DEP_2)
	v_cmp_eq_u32_e32 vcc_lo, 0, v1
	v_cndmask_b32_e32 v1, v2, v65, vcc_lo
; %bb.82:
	s_or_b32 exec_lo, exec_lo, s3
	v_and_b32_e32 v2, 0x7f800000, v66
	s_delay_alu instid0(VALU_DEP_1) | instskip(SKIP_1) | instid1(SALU_CYCLE_1)
	v_cmp_ne_u32_e32 vcc_lo, 0x7f800000, v2
                                        ; implicit-def: $vgpr2
	s_and_saveexec_b32 s3, vcc_lo
	s_xor_b32 s3, exec_lo, s3
; %bb.83:
	v_bfe_u32 v2, v66, 16, 1
	s_delay_alu instid0(VALU_DEP_1)
	v_add3_u32 v2, v66, v2, 0x7fff
; %bb.84:
	s_and_not1_saveexec_b32 s3, s3
; %bb.85:
	v_and_b32_e32 v2, 0xffff, v66
	v_or_b32_e32 v3, 0x10000, v66
	s_delay_alu instid0(VALU_DEP_2) | instskip(NEXT) | instid1(VALU_DEP_2)
	v_cmp_eq_u32_e32 vcc_lo, 0, v2
	v_cndmask_b32_e32 v2, v3, v66, vcc_lo
; %bb.86:
	s_or_b32 exec_lo, exec_lo, s3
	v_and_b32_e32 v3, 0x7f800000, v67
	s_delay_alu instid0(VALU_DEP_1) | instskip(SKIP_1) | instid1(SALU_CYCLE_1)
	v_cmp_ne_u32_e32 vcc_lo, 0x7f800000, v3
                                        ; implicit-def: $vgpr3
	s_and_saveexec_b32 s3, vcc_lo
	s_xor_b32 s3, exec_lo, s3
; %bb.87:
	v_bfe_u32 v3, v67, 16, 1
	s_delay_alu instid0(VALU_DEP_1)
	v_add3_u32 v3, v67, v3, 0x7fff
; %bb.88:
	s_and_not1_saveexec_b32 s3, s3
; %bb.89:
	v_and_b32_e32 v3, 0xffff, v67
	v_or_b32_e32 v4, 0x10000, v67
	s_delay_alu instid0(VALU_DEP_2) | instskip(NEXT) | instid1(VALU_DEP_2)
	v_cmp_eq_u32_e32 vcc_lo, 0, v3
	v_cndmask_b32_e32 v3, v4, v67, vcc_lo
; %bb.90:
	s_or_b32 exec_lo, exec_lo, s3
	v_and_b32_e32 v4, 0x7f800000, v68
	s_delay_alu instid0(VALU_DEP_1) | instskip(SKIP_1) | instid1(SALU_CYCLE_1)
	v_cmp_ne_u32_e32 vcc_lo, 0x7f800000, v4
                                        ; implicit-def: $vgpr4
	s_and_saveexec_b32 s3, vcc_lo
	s_xor_b32 s3, exec_lo, s3
; %bb.91:
	v_bfe_u32 v4, v68, 16, 1
	s_delay_alu instid0(VALU_DEP_1)
	v_add3_u32 v4, v68, v4, 0x7fff
; %bb.92:
	s_and_not1_saveexec_b32 s3, s3
; %bb.93:
	v_and_b32_e32 v4, 0xffff, v68
	v_or_b32_e32 v5, 0x10000, v68
	s_delay_alu instid0(VALU_DEP_2) | instskip(NEXT) | instid1(VALU_DEP_2)
	v_cmp_eq_u32_e32 vcc_lo, 0, v4
	v_cndmask_b32_e32 v4, v5, v68, vcc_lo
; %bb.94:
	s_or_b32 exec_lo, exec_lo, s3
	v_and_b32_e32 v5, 0x7f800000, v69
	s_delay_alu instid0(VALU_DEP_1) | instskip(SKIP_1) | instid1(SALU_CYCLE_1)
	v_cmp_ne_u32_e32 vcc_lo, 0x7f800000, v5
                                        ; implicit-def: $vgpr5
	s_and_saveexec_b32 s3, vcc_lo
	s_xor_b32 s3, exec_lo, s3
; %bb.95:
	v_bfe_u32 v5, v69, 16, 1
	s_delay_alu instid0(VALU_DEP_1)
	v_add3_u32 v5, v69, v5, 0x7fff
; %bb.96:
	s_and_not1_saveexec_b32 s3, s3
; %bb.97:
	v_and_b32_e32 v5, 0xffff, v69
	v_or_b32_e32 v6, 0x10000, v69
	s_delay_alu instid0(VALU_DEP_2) | instskip(NEXT) | instid1(VALU_DEP_2)
	v_cmp_eq_u32_e32 vcc_lo, 0, v5
	v_cndmask_b32_e32 v5, v6, v69, vcc_lo
; %bb.98:
	s_or_b32 exec_lo, exec_lo, s3
	v_and_b32_e32 v6, 0x7f800000, v70
	s_delay_alu instid0(VALU_DEP_1) | instskip(SKIP_1) | instid1(SALU_CYCLE_1)
	v_cmp_ne_u32_e32 vcc_lo, 0x7f800000, v6
                                        ; implicit-def: $vgpr6
	s_and_saveexec_b32 s3, vcc_lo
	s_xor_b32 s3, exec_lo, s3
; %bb.99:
	v_bfe_u32 v6, v70, 16, 1
	s_delay_alu instid0(VALU_DEP_1)
	v_add3_u32 v6, v70, v6, 0x7fff
; %bb.100:
	s_and_not1_saveexec_b32 s3, s3
; %bb.101:
	v_and_b32_e32 v6, 0xffff, v70
	v_or_b32_e32 v7, 0x10000, v70
	s_delay_alu instid0(VALU_DEP_2) | instskip(NEXT) | instid1(VALU_DEP_2)
	v_cmp_eq_u32_e32 vcc_lo, 0, v6
	v_cndmask_b32_e32 v6, v7, v70, vcc_lo
; %bb.102:
	s_or_b32 exec_lo, exec_lo, s3
	v_and_b32_e32 v7, 0x7f800000, v71
	s_delay_alu instid0(VALU_DEP_1) | instskip(SKIP_1) | instid1(SALU_CYCLE_1)
	v_cmp_ne_u32_e32 vcc_lo, 0x7f800000, v7
                                        ; implicit-def: $vgpr7
	s_and_saveexec_b32 s3, vcc_lo
	s_xor_b32 s3, exec_lo, s3
; %bb.103:
	v_bfe_u32 v7, v71, 16, 1
	s_delay_alu instid0(VALU_DEP_1)
	v_add3_u32 v7, v71, v7, 0x7fff
; %bb.104:
	s_and_not1_saveexec_b32 s3, s3
; %bb.105:
	v_and_b32_e32 v7, 0xffff, v71
	v_or_b32_e32 v8, 0x10000, v71
	s_delay_alu instid0(VALU_DEP_2) | instskip(NEXT) | instid1(VALU_DEP_2)
	v_cmp_eq_u32_e32 vcc_lo, 0, v7
	v_cndmask_b32_e32 v7, v8, v71, vcc_lo
; %bb.106:
	s_or_b32 exec_lo, exec_lo, s3
	v_and_b32_e32 v8, 0x7f800000, v72
	s_delay_alu instid0(VALU_DEP_1) | instskip(SKIP_1) | instid1(SALU_CYCLE_1)
	v_cmp_ne_u32_e32 vcc_lo, 0x7f800000, v8
                                        ; implicit-def: $vgpr8
	s_and_saveexec_b32 s3, vcc_lo
	s_xor_b32 s3, exec_lo, s3
; %bb.107:
	v_bfe_u32 v8, v72, 16, 1
	s_delay_alu instid0(VALU_DEP_1)
	v_add3_u32 v8, v72, v8, 0x7fff
                                        ; implicit-def: $vgpr65_vgpr66_vgpr67_vgpr68_vgpr69_vgpr70_vgpr71_vgpr72
; %bb.108:
	s_and_not1_saveexec_b32 s3, s3
; %bb.109:
	v_and_b32_e32 v8, 0xffff, v72
	v_or_b32_e32 v9, 0x10000, v72
	s_delay_alu instid0(VALU_DEP_2) | instskip(NEXT) | instid1(VALU_DEP_2)
	v_cmp_eq_u32_e32 vcc_lo, 0, v8
	v_cndmask_b32_e32 v8, v9, v72, vcc_lo
; %bb.110:
	s_or_b32 exec_lo, exec_lo, s3
	s_delay_alu instid0(VALU_DEP_1)
	v_perm_b32 v7, v8, v7, 0x7060302
	v_perm_b32 v6, v6, v5, 0x7060302
	;; [unrolled: 1-line block ×4, first 2 shown]
	s_barrier
	buffer_gl0_inv
	v_cmp_eq_u32_e32 vcc_lo, 1, v78
	ds_store_b128 v76, v[4:7]
	s_waitcnt lgkmcnt(0)
	s_barrier
	buffer_gl0_inv
	ds_load_b128 v[1:4], v82
	ds_load_b128 v[5:8], v82 offset:16
	v_cmp_eq_u32_e64 s3, 1, v79
	v_cmp_eq_u32_e64 s4, 2, v78
	v_cmp_eq_u32_e64 s5, 3, v78
	v_cmp_eq_u32_e64 s7, 2, v77
	v_cmp_eq_u32_e64 s6, 7, v79
	s_waitcnt lgkmcnt(1)
	v_lshrrev_b32_e32 v9, 16, v1
	s_waitcnt lgkmcnt(0)
	v_lshrrev_b32_e32 v13, 16, v5
	v_lshrrev_b32_e32 v10, 16, v2
	;; [unrolled: 1-line block ×4, first 2 shown]
	v_cndmask_b32_e64 v19, v1, v9, s3
	v_cndmask_b32_e32 v18, v5, v13, vcc_lo
	v_cndmask_b32_e64 v20, v5, v13, s3
	v_cndmask_b32_e32 v17, v1, v9, vcc_lo
	v_cmp_eq_u32_e32 vcc_lo, 2, v79
	v_lshrrev_b32_e32 v15, 16, v7
	v_cmp_eq_u32_e64 s3, 1, v77
	v_lshrrev_b32_e32 v12, 16, v4
	v_lshrrev_b32_e32 v16, 16, v8
	v_cndmask_b32_e32 v20, v20, v6, vcc_lo
	v_cndmask_b32_e64 v17, v17, v2, s4
	v_cndmask_b32_e32 v19, v19, v2, vcc_lo
	v_cndmask_b32_e64 v18, v18, v6, s4
	v_cmp_eq_u32_e32 vcc_lo, 4, v78
	v_cmp_eq_u32_e64 s4, 3, v79
	v_cndmask_b32_e64 v17, v17, v10, s5
	v_cndmask_b32_e64 v21, v1, v9, s3
	;; [unrolled: 1-line block ×5, first 2 shown]
	v_cndmask_b32_e32 v17, v17, v3, vcc_lo
	v_cndmask_b32_e64 v20, v20, v14, s4
	v_cndmask_b32_e32 v18, v18, v7, vcc_lo
	v_cmp_eq_u32_e32 vcc_lo, 4, v79
	v_cmp_eq_u32_e64 s4, 5, v79
	v_cmp_eq_u32_e64 s3, 2, v81
	v_cndmask_b32_e64 v21, v21, v2, s7
	v_cmp_eq_u32_e64 s5, 5, v78
	v_cndmask_b32_e32 v19, v19, v3, vcc_lo
	v_cndmask_b32_e32 v20, v20, v7, vcc_lo
	v_cmp_eq_u32_e32 vcc_lo, 6, v79
	s_delay_alu instid0(VALU_DEP_4) | instskip(NEXT) | instid1(VALU_DEP_4)
	v_cndmask_b32_e64 v17, v17, v11, s5
	v_cndmask_b32_e64 v19, v19, v11, s4
	s_delay_alu instid0(VALU_DEP_4) | instskip(SKIP_1) | instid1(VALU_DEP_3)
	v_cndmask_b32_e64 v20, v20, v15, s4
	v_cmp_eq_u32_e64 s4, 1, v81
	v_cndmask_b32_e32 v19, v19, v4, vcc_lo
	v_cndmask_b32_e64 v18, v18, v15, s5
	s_delay_alu instid0(VALU_DEP_3)
	v_cndmask_b32_e64 v1, v1, v9, s4
	v_cndmask_b32_e64 v5, v5, v13, s4
	v_cmp_eq_u32_e64 s4, 3, v77
	v_cndmask_b32_e64 v13, v22, v6, s7
	v_cmp_eq_u32_e64 s7, 3, v81
	v_cndmask_b32_e64 v1, v1, v2, s3
	v_cndmask_b32_e64 v2, v5, v6, s3
	;; [unrolled: 1-line block ×3, first 2 shown]
	v_cmp_eq_u32_e64 s3, 4, v77
	v_cndmask_b32_e64 v6, v13, v14, s4
	v_cndmask_b32_e64 v1, v1, v10, s7
	v_cmp_eq_u32_e64 s4, 4, v81
	v_cndmask_b32_e64 v2, v2, v14, s7
	v_cndmask_b32_e64 v5, v9, v3, s3
	;; [unrolled: 3-line block ×3, first 2 shown]
	v_cndmask_b32_e64 v2, v2, v7, s4
	v_cmp_eq_u32_e64 s3, 5, v81
	v_cmp_eq_u32_e64 s5, 6, v78
	v_cndmask_b32_e64 v5, v5, v11, s7
	v_cmp_eq_u32_e64 s4, 6, v77
	v_cndmask_b32_e64 v3, v6, v15, s7
	v_cndmask_b32_e64 v1, v1, v11, s3
	v_cmp_eq_u32_e64 s7, 6, v81
	v_cndmask_b32_e64 v2, v2, v15, s3
	v_cndmask_b32_e64 v17, v17, v4, s5
	v_cndmask_b32_e64 v18, v18, v8, s5
	v_cmp_eq_u32_e64 s5, 7, v78
	v_cndmask_b32_e64 v5, v5, v4, s4
	;; [unrolled: 4-line block ×3, first 2 shown]
	v_cmp_eq_u32_e64 s4, 7, v77
	v_cndmask_b32_e32 v4, v20, v8, vcc_lo
	v_cndmask_b32_e64 v17, v17, v12, s5
	v_cndmask_b32_e64 v19, v19, v12, s6
	;; [unrolled: 1-line block ×8, first 2 shown]
	v_cmp_gt_u32_e32 vcc_lo, 32, v0
	v_perm_b32 v4, v2, v1, 0x5040100
	v_perm_b32 v3, v3, v5, 0x5040100
	;; [unrolled: 1-line block ×4, first 2 shown]
	s_and_b32 s2, vcc_lo, s2
	ds_store_b128 v76, v[1:4]
	s_waitcnt lgkmcnt(0)
	s_barrier
	buffer_gl0_inv
	s_and_saveexec_b32 s3, s2
	s_cbranch_execz .LBB1699_2
; %bb.111:
	s_load_b64 s[0:1], s[0:1], 0x68
	s_lshl_b32 s4, s34, 6
	v_or_b32_e32 v3, s31, v74
	s_mul_i32 s2, s4, s30
	v_lshlrev_b32_e32 v0, 10, v0
	s_mul_i32 s2, s2, s8
	v_lshlrev_b32_e32 v1, 4, v75
	s_ashr_i32 s3, s2, 31
	v_mul_lo_u32 v12, v3, s4
	s_lshl_b64 s[2:3], s[2:3], 1
	v_lshlrev_b32_e32 v2, 6, v74
	v_and_b32_e32 v0, 0x3800, v0
	s_delay_alu instid0(VALU_DEP_1) | instskip(NEXT) | instid1(VALU_DEP_4)
	v_or3_b32 v8, v0, v1, v2
	v_ashrrev_i32_e32 v13, 31, v12
	ds_load_b128 v[0:3], v8
	ds_load_b128 v[4:7], v8 offset:128
	ds_load_b128 v[8:11], v8 offset:256
	s_waitcnt lgkmcnt(0)
	s_add_u32 s2, s0, s2
	s_addc_u32 s3, s1, s3
	s_lshl_b32 s0, s14, 6
	s_delay_alu instid0(SALU_CYCLE_1) | instskip(NEXT) | instid1(SALU_CYCLE_1)
	s_ashr_i32 s1, s0, 31
	s_lshl_b64 s[0:1], s[0:1], 1
	s_delay_alu instid0(SALU_CYCLE_1)
	s_add_u32 s0, s2, s0
	s_addc_u32 s1, s3, s1
	s_lshl_b32 s2, s34, 7
	v_add_co_u32 v18, s0, s0, v73
	v_add_nc_u32_e32 v14, s2, v12
	v_lshlrev_b64 v[12:13], 1, v[12:13]
	v_add_co_ci_u32_e64 v19, null, s1, 0, s0
	s_delay_alu instid0(VALU_DEP_3) | instskip(SKIP_1) | instid1(VALU_DEP_4)
	v_add_nc_u32_e32 v16, s2, v14
	v_ashrrev_i32_e32 v15, 31, v14
	v_add_co_u32 v12, vcc_lo, v18, v12
	s_delay_alu instid0(VALU_DEP_4) | instskip(NEXT) | instid1(VALU_DEP_4)
	v_add_co_ci_u32_e32 v13, vcc_lo, v19, v13, vcc_lo
	v_ashrrev_i32_e32 v17, 31, v16
	s_delay_alu instid0(VALU_DEP_4) | instskip(NEXT) | instid1(VALU_DEP_2)
	v_lshlrev_b64 v[14:15], 1, v[14:15]
	v_lshlrev_b64 v[16:17], 1, v[16:17]
	s_delay_alu instid0(VALU_DEP_2) | instskip(NEXT) | instid1(VALU_DEP_3)
	v_add_co_u32 v14, vcc_lo, v18, v14
	v_add_co_ci_u32_e32 v15, vcc_lo, v19, v15, vcc_lo
	s_delay_alu instid0(VALU_DEP_3) | instskip(NEXT) | instid1(VALU_DEP_4)
	v_add_co_u32 v16, vcc_lo, v18, v16
	v_add_co_ci_u32_e32 v17, vcc_lo, v19, v17, vcc_lo
	s_clause 0x2
	global_store_b128 v[12:13], v[0:3], off
	global_store_b128 v[14:15], v[4:7], off
	;; [unrolled: 1-line block ×3, first 2 shown]
	s_nop 0
	s_sendmsg sendmsg(MSG_DEALLOC_VGPRS)
	s_endpgm
	.section	.rodata,"a",@progbits
	.p2align	6, 0x0
	.amdhsa_kernel _Z39paged_attention_ll4mi_QKV_mfma16_kernelI14__hip_bfloat16hLN4vllm18Fp8KVCacheDataTypeE1ES0_Li16ELi64ELi256ELb1ELi6EL8MFMAType0EEvPKT_PKT0_S9_ifPKiSB_SB_iPKfiiiPfSE_PS4_PT2_iSD_SD_
		.amdhsa_group_segment_fixed_size 17472
		.amdhsa_private_segment_fixed_size 0
		.amdhsa_kernarg_size 400
		.amdhsa_user_sgpr_count 13
		.amdhsa_user_sgpr_dispatch_ptr 0
		.amdhsa_user_sgpr_queue_ptr 0
		.amdhsa_user_sgpr_kernarg_segment_ptr 1
		.amdhsa_user_sgpr_dispatch_id 0
		.amdhsa_user_sgpr_private_segment_size 0
		.amdhsa_wavefront_size32 1
		.amdhsa_uses_dynamic_stack 0
		.amdhsa_enable_private_segment 0
		.amdhsa_system_sgpr_workgroup_id_x 1
		.amdhsa_system_sgpr_workgroup_id_y 1
		.amdhsa_system_sgpr_workgroup_id_z 1
		.amdhsa_system_sgpr_workgroup_info 0
		.amdhsa_system_vgpr_workitem_id 0
		.amdhsa_next_free_vgpr 124
		.amdhsa_next_free_sgpr 38
		.amdhsa_reserve_vcc 1
		.amdhsa_float_round_mode_32 0
		.amdhsa_float_round_mode_16_64 0
		.amdhsa_float_denorm_mode_32 3
		.amdhsa_float_denorm_mode_16_64 3
		.amdhsa_dx10_clamp 1
		.amdhsa_ieee_mode 1
		.amdhsa_fp16_overflow 0
		.amdhsa_workgroup_processor_mode 1
		.amdhsa_memory_ordered 1
		.amdhsa_forward_progress 0
		.amdhsa_shared_vgpr_count 0
		.amdhsa_exception_fp_ieee_invalid_op 0
		.amdhsa_exception_fp_denorm_src 0
		.amdhsa_exception_fp_ieee_div_zero 0
		.amdhsa_exception_fp_ieee_overflow 0
		.amdhsa_exception_fp_ieee_underflow 0
		.amdhsa_exception_fp_ieee_inexact 0
		.amdhsa_exception_int_div_zero 0
	.end_amdhsa_kernel
	.section	.text._Z39paged_attention_ll4mi_QKV_mfma16_kernelI14__hip_bfloat16hLN4vllm18Fp8KVCacheDataTypeE1ES0_Li16ELi64ELi256ELb1ELi6EL8MFMAType0EEvPKT_PKT0_S9_ifPKiSB_SB_iPKfiiiPfSE_PS4_PT2_iSD_SD_,"axG",@progbits,_Z39paged_attention_ll4mi_QKV_mfma16_kernelI14__hip_bfloat16hLN4vllm18Fp8KVCacheDataTypeE1ES0_Li16ELi64ELi256ELb1ELi6EL8MFMAType0EEvPKT_PKT0_S9_ifPKiSB_SB_iPKfiiiPfSE_PS4_PT2_iSD_SD_,comdat
.Lfunc_end1699:
	.size	_Z39paged_attention_ll4mi_QKV_mfma16_kernelI14__hip_bfloat16hLN4vllm18Fp8KVCacheDataTypeE1ES0_Li16ELi64ELi256ELb1ELi6EL8MFMAType0EEvPKT_PKT0_S9_ifPKiSB_SB_iPKfiiiPfSE_PS4_PT2_iSD_SD_, .Lfunc_end1699-_Z39paged_attention_ll4mi_QKV_mfma16_kernelI14__hip_bfloat16hLN4vllm18Fp8KVCacheDataTypeE1ES0_Li16ELi64ELi256ELb1ELi6EL8MFMAType0EEvPKT_PKT0_S9_ifPKiSB_SB_iPKfiiiPfSE_PS4_PT2_iSD_SD_
                                        ; -- End function
	.section	.AMDGPU.csdata,"",@progbits
; Kernel info:
; codeLenInByte = 8736
; NumSgprs: 40
; NumVgprs: 124
; ScratchSize: 0
; MemoryBound: 0
; FloatMode: 240
; IeeeMode: 1
; LDSByteSize: 17472 bytes/workgroup (compile time only)
; SGPRBlocks: 4
; VGPRBlocks: 15
; NumSGPRsForWavesPerEU: 40
; NumVGPRsForWavesPerEU: 124
; Occupancy: 10
; WaveLimiterHint : 1
; COMPUTE_PGM_RSRC2:SCRATCH_EN: 0
; COMPUTE_PGM_RSRC2:USER_SGPR: 13
; COMPUTE_PGM_RSRC2:TRAP_HANDLER: 0
; COMPUTE_PGM_RSRC2:TGID_X_EN: 1
; COMPUTE_PGM_RSRC2:TGID_Y_EN: 1
; COMPUTE_PGM_RSRC2:TGID_Z_EN: 1
; COMPUTE_PGM_RSRC2:TIDIG_COMP_CNT: 0
	.section	.text._Z39paged_attention_ll4mi_QKV_mfma16_kernelI14__hip_bfloat16hLN4vllm18Fp8KVCacheDataTypeE1ES0_Li16ELi64ELi256ELb1ELi7EL8MFMAType0EEvPKT_PKT0_S9_ifPKiSB_SB_iPKfiiiPfSE_PS4_PT2_iSD_SD_,"axG",@progbits,_Z39paged_attention_ll4mi_QKV_mfma16_kernelI14__hip_bfloat16hLN4vllm18Fp8KVCacheDataTypeE1ES0_Li16ELi64ELi256ELb1ELi7EL8MFMAType0EEvPKT_PKT0_S9_ifPKiSB_SB_iPKfiiiPfSE_PS4_PT2_iSD_SD_,comdat
	.protected	_Z39paged_attention_ll4mi_QKV_mfma16_kernelI14__hip_bfloat16hLN4vllm18Fp8KVCacheDataTypeE1ES0_Li16ELi64ELi256ELb1ELi7EL8MFMAType0EEvPKT_PKT0_S9_ifPKiSB_SB_iPKfiiiPfSE_PS4_PT2_iSD_SD_ ; -- Begin function _Z39paged_attention_ll4mi_QKV_mfma16_kernelI14__hip_bfloat16hLN4vllm18Fp8KVCacheDataTypeE1ES0_Li16ELi64ELi256ELb1ELi7EL8MFMAType0EEvPKT_PKT0_S9_ifPKiSB_SB_iPKfiiiPfSE_PS4_PT2_iSD_SD_
	.globl	_Z39paged_attention_ll4mi_QKV_mfma16_kernelI14__hip_bfloat16hLN4vllm18Fp8KVCacheDataTypeE1ES0_Li16ELi64ELi256ELb1ELi7EL8MFMAType0EEvPKT_PKT0_S9_ifPKiSB_SB_iPKfiiiPfSE_PS4_PT2_iSD_SD_
	.p2align	8
	.type	_Z39paged_attention_ll4mi_QKV_mfma16_kernelI14__hip_bfloat16hLN4vllm18Fp8KVCacheDataTypeE1ES0_Li16ELi64ELi256ELb1ELi7EL8MFMAType0EEvPKT_PKT0_S9_ifPKiSB_SB_iPKfiiiPfSE_PS4_PT2_iSD_SD_,@function
_Z39paged_attention_ll4mi_QKV_mfma16_kernelI14__hip_bfloat16hLN4vllm18Fp8KVCacheDataTypeE1ES0_Li16ELi64ELi256ELb1ELi7EL8MFMAType0EEvPKT_PKT0_S9_ifPKiSB_SB_iPKfiiiPfSE_PS4_PT2_iSD_SD_: ; @_Z39paged_attention_ll4mi_QKV_mfma16_kernelI14__hip_bfloat16hLN4vllm18Fp8KVCacheDataTypeE1ES0_Li16ELi64ELi256ELb1ELi7EL8MFMAType0EEvPKT_PKT0_S9_ifPKiSB_SB_iPKfiiiPfSE_PS4_PT2_iSD_SD_
; %bb.0:
	s_load_b64 s[2:3], s[0:1], 0x30
	s_mov_b32 s34, s13
	s_waitcnt lgkmcnt(0)
	s_cmp_lg_u64 s[2:3], 0
	s_cselect_b32 s8, -1, 0
	s_ashr_i32 s35, s13, 31
	s_cmp_eq_u64 s[2:3], 0
	s_cbranch_scc1 .LBB1700_3
; %bb.1:
	s_lshl_b64 s[4:5], s[34:35], 2
	s_delay_alu instid0(SALU_CYCLE_1) | instskip(SKIP_4) | instid1(SALU_CYCLE_1)
	s_add_u32 s4, s2, s4
	s_addc_u32 s5, s3, s5
	s_load_b64 s[4:5], s[4:5], 0x0
	s_waitcnt lgkmcnt(0)
	s_sub_i32 s4, s5, s4
	s_cmp_eq_u32 s4, 1
	s_cselect_b32 s4, -1, 0
	s_delay_alu instid0(SALU_CYCLE_1)
	s_and_not1_b32 vcc_lo, exec_lo, s4
	s_cbranch_vccz .LBB1700_4
.LBB1700_2:
	s_nop 0
	s_sendmsg sendmsg(MSG_DEALLOC_VGPRS)
	s_endpgm
.LBB1700_3:
.LBB1700_4:
	s_load_b64 s[4:5], s[0:1], 0x28
	s_lshl_b64 s[6:7], s[34:35], 2
	s_waitcnt lgkmcnt(0)
	s_add_u32 s4, s4, s6
	s_addc_u32 s5, s5, s7
	s_lshl_b32 s12, s14, 8
	s_load_b32 s24, s[4:5], 0x0
	s_waitcnt lgkmcnt(0)
	s_cmp_ge_i32 s12, s24
	s_cbranch_scc1 .LBB1700_2
; %bb.5:
	s_clause 0x1
	s_load_b128 s[20:23], s[0:1], 0x8
	s_load_b64 s[4:5], s[0:1], 0x20
	s_and_not1_b32 vcc_lo, exec_lo, s8
	s_cbranch_vccnz .LBB1700_7
; %bb.6:
	s_add_u32 s2, s2, s6
	s_addc_u32 s3, s3, s7
	s_load_b32 s3, s[2:3], 0x0
	s_branch .LBB1700_8
.LBB1700_7:
	s_mov_b32 s3, s34
.LBB1700_8:
	s_load_b128 s[16:19], s[0:1], 0x48
	v_lshrrev_b32_e32 v66, 5, v0
	v_bfe_u32 v74, v0, 4, 1
	v_and_b32_e32 v65, 15, v0
	v_and_b32_e32 v67, 31, v0
	;; [unrolled: 1-line block ×3, first 2 shown]
	s_mul_i32 s31, s15, 7
	v_lshl_or_b32 v1, v66, 1, v74
	v_lshlrev_b32_e32 v2, 3, v65
	v_cmp_gt_u32_e64 s2, 8, v65
	s_delay_alu instid0(VALU_DEP_3) | instskip(NEXT) | instid1(VALU_DEP_3)
	v_cmp_gt_u32_e32 vcc_lo, 7, v1
	v_lshlrev_b32_e32 v73, 1, v2
	s_delay_alu instid0(VALU_DEP_3) | instskip(NEXT) | instid1(SALU_CYCLE_1)
	s_and_b32 s7, s2, vcc_lo
	s_and_saveexec_b32 s6, s7
	s_cbranch_execz .LBB1700_10
; %bb.9:
	s_load_b64 s[8:9], s[0:1], 0x0
	v_add_lshl_u32 v2, v1, s31, 6
	s_waitcnt lgkmcnt(0)
	s_mul_hi_i32 s11, s3, s16
	s_mul_i32 s10, s3, s16
	v_lshlrev_b32_e32 v6, 10, v65
	s_lshl_b64 s[10:11], s[10:11], 1
	v_ashrrev_i32_e32 v3, 31, v2
	v_lshlrev_b32_e32 v1, 6, v1
	v_lshlrev_b32_e32 v7, 10, v75
	v_and_b32_e32 v6, 0x3800, v6
	s_delay_alu instid0(VALU_DEP_4) | instskip(NEXT) | instid1(VALU_DEP_2)
	v_lshlrev_b64 v[2:3], 1, v[2:3]
	v_or3_b32 v1, v6, v7, v1
	s_add_u32 s3, s8, s10
	s_addc_u32 s7, s9, s11
	s_delay_alu instid0(VALU_DEP_2) | instskip(NEXT) | instid1(VALU_DEP_3)
	v_add_co_u32 v2, vcc_lo, s3, v2
	v_add_co_ci_u32_e32 v3, vcc_lo, s7, v3, vcc_lo
	s_delay_alu instid0(VALU_DEP_2) | instskip(NEXT) | instid1(VALU_DEP_2)
	v_add_co_u32 v2, vcc_lo, v2, v73
	v_add_co_ci_u32_e32 v3, vcc_lo, 0, v3, vcc_lo
	global_load_b128 v[2:5], v[2:3], off
	s_waitcnt vmcnt(0)
	ds_store_b128 v1, v[2:5]
.LBB1700_10:
	s_or_b32 exec_lo, exec_lo, s6
	v_and_b32_e32 v1, 0xef, v0
	s_waitcnt lgkmcnt(0)
	s_add_i32 s3, s24, 15
	s_clause 0x1
	s_load_b32 s6, s[0:1], 0x38
	s_load_b32 s19, s[0:1], 0x1c
	s_ashr_i32 s7, s3, 31
	v_add_nc_u32_e32 v1, s12, v1
	s_lshr_b32 s7, s7, 28
	s_waitcnt lgkmcnt(0)
	s_add_i32 s3, s3, s7
	s_barrier
	v_ashrrev_i32_e32 v2, 31, v1
	v_or_b32_e32 v3, 16, v1
	s_ashr_i32 s3, s3, 4
	v_cmp_gt_i32_e32 vcc_lo, s24, v1
	s_add_i32 s3, s3, -1
	v_lshrrev_b32_e32 v2, 28, v2
	buffer_gl0_inv
	s_mul_i32 s27, s15, s18
	v_add_nc_u32_e32 v4, v1, v2
	s_mul_i32 s6, s34, s6
	s_delay_alu instid0(SALU_CYCLE_1) | instskip(NEXT) | instid1(VALU_DEP_1)
	s_ashr_i32 s7, s6, 31
	v_ashrrev_i32_e32 v4, 4, v4
	v_add_nc_u32_e32 v2, v3, v2
	s_lshl_b64 s[6:7], s[6:7], 2
	s_delay_alu instid0(SALU_CYCLE_1) | instskip(NEXT) | instid1(VALU_DEP_2)
	s_add_u32 s26, s4, s6
	v_cndmask_b32_e32 v1, s3, v4, vcc_lo
	s_delay_alu instid0(VALU_DEP_2)
	v_ashrrev_i32_e32 v2, 4, v2
	v_cmp_gt_i32_e32 vcc_lo, s24, v3
	s_addc_u32 s25, s5, s7
	s_ashr_i32 s28, s27, 31
	s_add_u32 s13, s20, s27
	s_addc_u32 s15, s21, s28
	v_cndmask_b32_e32 v3, s3, v2, vcc_lo
	v_ashrrev_i32_e32 v2, 31, v1
	s_lshl_b32 s4, s14, 4
	s_delay_alu instid0(SALU_CYCLE_1) | instskip(NEXT) | instid1(VALU_DEP_2)
	s_ashr_i32 s5, s4, 31
	v_ashrrev_i32_e32 v4, 31, v3
	s_delay_alu instid0(VALU_DEP_2) | instskip(SKIP_1) | instid1(SALU_CYCLE_1)
	v_lshlrev_b64 v[1:2], 2, v[1:2]
	s_lshl_b64 s[4:5], s[4:5], 2
	s_add_u32 s4, s26, s4
	s_delay_alu instid0(VALU_DEP_2) | instskip(SKIP_1) | instid1(VALU_DEP_2)
	v_lshlrev_b64 v[3:4], 2, v[3:4]
	s_addc_u32 s5, s25, s5
	v_add_co_u32 v1, vcc_lo, s26, v1
	v_add_co_ci_u32_e32 v2, vcc_lo, s25, v2, vcc_lo
	s_delay_alu instid0(VALU_DEP_3) | instskip(NEXT) | instid1(VALU_DEP_4)
	v_add_co_u32 v3, vcc_lo, s26, v3
	v_add_co_ci_u32_e32 v4, vcc_lo, s25, v4, vcc_lo
	s_clause 0x1
	global_load_b32 v5, v[1:2], off
	global_load_b32 v7, v[3:4], off
	s_or_b32 s6, s12, 32
	v_lshlrev_b32_e32 v1, 4, v0
	s_ashr_i32 s7, s6, 4
	s_cmp_lt_i32 s6, s24
	s_cselect_b32 s6, s7, s3
	s_delay_alu instid0(VALU_DEP_1) | instskip(SKIP_1) | instid1(SALU_CYCLE_1)
	v_and_b32_e32 v1, 0xf0, v1
	s_ashr_i32 s7, s6, 31
	s_lshl_b64 s[6:7], s[6:7], 2
	s_delay_alu instid0(SALU_CYCLE_1)
	s_add_u32 s6, s26, s6
	s_addc_u32 s7, s25, s7
	s_or_b32 s8, s12, 64
	v_add_co_u32 v1, s13, s13, v1
	s_ashr_i32 s9, s8, 4
	s_cmp_lt_i32 s8, s24
	v_add_co_ci_u32_e64 v2, null, s15, 0, s13
	s_cselect_b32 s8, s9, s3
	s_delay_alu instid0(SALU_CYCLE_1) | instskip(NEXT) | instid1(SALU_CYCLE_1)
	s_ashr_i32 s9, s8, 31
	s_lshl_b64 s[8:9], s[8:9], 2
	s_delay_alu instid0(SALU_CYCLE_1) | instskip(SKIP_2) | instid1(SALU_CYCLE_1)
	s_add_u32 s8, s26, s8
	s_addc_u32 s9, s25, s9
	s_or_b32 s10, s12, 0x60
	s_ashr_i32 s11, s10, 4
	s_cmp_lt_i32 s10, s24
	s_cselect_b32 s10, s11, s3
	s_delay_alu instid0(SALU_CYCLE_1) | instskip(NEXT) | instid1(SALU_CYCLE_1)
	s_ashr_i32 s11, s10, 31
	s_lshl_b64 s[10:11], s[10:11], 2
	s_delay_alu instid0(SALU_CYCLE_1) | instskip(SKIP_2) | instid1(SALU_CYCLE_1)
	s_add_u32 s10, s26, s10
	s_addc_u32 s11, s25, s11
	s_or_b32 s16, s12, 0x80
	s_ashr_i32 s18, s16, 4
	s_cmp_lt_i32 s16, s24
	;; [unrolled: 10-line block ×3, first 2 shown]
	s_cselect_b32 s20, s18, s3
	s_delay_alu instid0(SALU_CYCLE_1) | instskip(NEXT) | instid1(SALU_CYCLE_1)
	s_ashr_i32 s21, s20, 31
	s_lshl_b64 s[20:21], s[20:21], 2
	s_delay_alu instid0(SALU_CYCLE_1)
	s_add_u32 s38, s26, s20
	s_addc_u32 s39, s25, s21
	s_clause 0x5
	s_load_b32 s21, s[4:5], 0x0
	s_load_b32 s13, s[6:7], 0x0
	;; [unrolled: 1-line block ×6, first 2 shown]
	s_or_b32 s9, s12, 0xc0
	s_mov_b32 s4, 0
	s_ashr_i32 s10, s9, 4
	s_cmp_lt_i32 s9, s24
	s_mov_b32 s11, s4
	s_cselect_b32 s36, s10, s3
	s_mov_b32 s5, s4
	s_ashr_i32 s37, s36, 31
	s_mov_b32 s6, s4
	s_lshl_b64 s[36:37], s[36:37], 2
	s_mov_b32 s7, s4
	s_add_u32 s36, s26, s36
	s_addc_u32 s37, s25, s37
	s_or_b32 s29, s12, 0xe0
	s_mov_b32 s8, s4
	s_ashr_i32 s30, s29, 4
	s_mov_b32 s9, s4
	s_mov_b32 s10, s4
	s_cmp_lt_i32 s29, s24
	v_dual_mov_b32 v107, s11 :: v_dual_mov_b32 v100, s4
	v_mov_b32_e32 v106, s10
	v_dual_mov_b32 v104, s8 :: v_dual_mov_b32 v103, s7
	v_dual_mov_b32 v102, s6 :: v_dual_mov_b32 v101, s5
	s_waitcnt vmcnt(1)
	v_mad_i64_i32 v[3:4], null, v5, s17, v[1:2]
	s_waitcnt vmcnt(0)
	v_mad_i64_i32 v[5:6], null, v7, s17, v[1:2]
	v_mul_lo_u16 v1, v65, 37
	v_lshlrev_b32_e32 v2, 4, v65
	s_clause 0x7
	global_load_b128 v[49:52], v[3:4], off
	global_load_b128 v[53:56], v[3:4], off offset:256
	global_load_b128 v[76:79], v[5:6], off
	global_load_b128 v[80:83], v[5:6], off offset:256
	global_load_b128 v[84:87], v[3:4], off offset:512
	;; [unrolled: 1-line block ×5, first 2 shown]
	v_lshrrev_b16 v1, 8, v1
	v_lshl_or_b32 v2, v66, 8, v2
	s_delay_alu instid0(VALU_DEP_2) | instskip(NEXT) | instid1(VALU_DEP_1)
	v_mul_lo_u16 v1, v1, 7
	v_sub_nc_u16 v1, v65, v1
	s_delay_alu instid0(VALU_DEP_1)
	v_and_b32_e32 v1, 0xff, v1
	v_mov_b32_e32 v105, s9
	s_cselect_b32 s4, s30, s3
	s_load_b32 s3, s[36:37], 0x0
	s_ashr_i32 s5, s4, 31
	v_lshlrev_b32_e32 v70, 6, v1
	s_lshl_b64 s[4:5], s[4:5], 2
	ds_load_b128 v[108:111], v70
	ds_load_b128 v[112:115], v70 offset:1024
	s_add_u32 s4, s26, s4
	s_addc_u32 s5, s25, s5
	s_add_u32 s6, s22, s27
	s_load_b32 s4, s[4:5], 0x0
	s_addc_u32 s7, s23, s28
	v_add_co_u32 v9, s6, s6, v2
	s_delay_alu instid0(VALU_DEP_1) | instskip(SKIP_1) | instid1(VALU_DEP_1)
	v_add_co_ci_u32_e64 v10, null, s7, 0, s6
	s_waitcnt lgkmcnt(0)
	v_mad_i64_i32 v[1:2], null, s21, s17, v[9:10]
	v_mad_i64_i32 v[3:4], null, s13, s17, v[9:10]
	;; [unrolled: 1-line block ×7, first 2 shown]
	s_clause 0x9
	global_load_b128 v[57:60], v[1:2], off
	global_load_b128 v[61:64], v[1:2], off offset:16
	global_load_b128 v[41:44], v[3:4], off
	global_load_b128 v[45:48], v[3:4], off offset:16
	;; [unrolled: 2-line block ×5, first 2 shown]
	v_mad_i64_i32 v[68:69], null, s4, s17, v[9:10]
	s_clause 0x3
	global_load_b128 v[9:12], v[13:14], off
	global_load_b128 v[13:16], v[13:14], off offset:16
	global_load_b128 v[17:20], v[21:22], off
	global_load_b128 v[21:24], v[21:22], off offset:16
	s_waitcnt vmcnt(20)
	v_wmma_f32_16x16x16_bf16 v[116:123], v[49:56], v[108:115], v[100:107]
	s_clause 0x1
	global_load_b128 v[49:52], v[68:69], off
	global_load_b128 v[53:56], v[68:69], off offset:16
	v_and_b32_e32 v68, 0xe0, v0
	v_mbcnt_lo_u32_b32 v69, -1, 0
	s_delay_alu instid0(VALU_DEP_2)
	v_add_nc_u32_e32 v68, s12, v68
	s_waitcnt vmcnt(20)
	v_wmma_f32_16x16x16_bf16 v[100:107], v[76:83], v[108:115], v[100:107]
	ds_load_b128 v[76:79], v70 offset:2048
	ds_load_b128 v[80:83], v70 offset:3072
	v_xor_b32_e32 v70, 16, v69
	s_waitcnt vmcnt(0) lgkmcnt(0)
	v_or_b32_e32 v68, v68, v74
	s_barrier
	buffer_gl0_inv
	v_cmp_gt_i32_e32 vcc_lo, 32, v70
	v_or_b32_e32 v71, 4, v68
	v_or_b32_e32 v72, 6, v68
	v_cmp_gt_i32_e64 s3, s24, v68
	v_or_b32_e32 v108, 8, v68
	v_or_b32_e32 v109, 10, v68
	v_cmp_gt_i32_e64 s4, s24, v71
	v_cmp_gt_i32_e64 s5, s24, v72
	s_delay_alu instid0(VALU_DEP_4) | instskip(NEXT) | instid1(VALU_DEP_4)
	v_cmp_gt_i32_e64 s6, s24, v108
	v_cmp_gt_i32_e64 s7, s24, v109
	v_wmma_f32_16x16x16_bf16 v[116:123], v[84:91], v[76:83], v[116:123]
	v_cndmask_b32_e32 v69, v69, v70, vcc_lo
	v_or_b32_e32 v70, 2, v68
	v_wmma_f32_16x16x16_bf16 v[100:107], v[92:99], v[76:83], v[100:107]
	v_or_b32_e32 v89, 22, v68
	v_dual_mul_f32 v80, s19, v121 :: v_dual_mul_f32 v81, s19, v120
	v_dual_mul_f32 v92, s19, v117 :: v_dual_mul_f32 v93, s19, v116
	s_delay_alu instid0(VALU_DEP_4)
	v_mul_f32_e32 v96, s19, v105
	v_cmp_gt_i32_e32 vcc_lo, s24, v70
	v_dual_mul_f32 v79, s19, v122 :: v_dual_mul_f32 v82, s19, v119
	v_dual_mul_f32 v83, s19, v118 :: v_dual_mul_f32 v94, s19, v107
	v_cndmask_b32_e64 v93, 0xff7fffff, v93, s3
	v_cndmask_b32_e32 v92, 0xff7fffff, v92, vcc_lo
	v_or_b32_e32 v84, 12, v68
	v_or_b32_e32 v85, 14, v68
	v_cndmask_b32_e64 v71, 0xff7fffff, v83, s4
	v_cndmask_b32_e64 v72, 0xff7fffff, v82, s5
	v_cmp_gt_i32_e64 s13, s24, v89
	v_lshlrev_b32_e32 v89, 2, v69
	v_max3_f32 v82, v93, 0xff7fffff, v92
	v_or_b32_e32 v86, 16, v68
	v_or_b32_e32 v87, 18, v68
	v_mul_f32_e32 v78, s19, v123
	v_cndmask_b32_e64 v81, 0xff7fffff, v81, s6
	v_cndmask_b32_e64 v80, 0xff7fffff, v80, s7
	v_max3_f32 v71, v82, v71, v72
	v_cmp_gt_i32_e64 s8, s24, v84
	v_cmp_gt_i32_e64 s9, s24, v85
	v_or_b32_e32 v88, 20, v68
	v_or_b32_e32 v90, 24, v68
	;; [unrolled: 1-line block ×5, first 2 shown]
	v_dual_mul_f32 v97, s19, v104 :: v_dual_mul_f32 v70, s19, v101
	v_dual_mul_f32 v99, s19, v102 :: v_dual_mul_f32 v68, s19, v100
	v_cndmask_b32_e64 v72, 0xff7fffff, v79, s8
	v_cndmask_b32_e64 v78, 0xff7fffff, v78, s9
	v_max3_f32 v71, v71, v81, v80
	v_cmp_gt_i32_e64 s10, s24, v86
	v_cmp_gt_i32_e64 s11, s24, v87
	v_dual_mul_f32 v95, s19, v106 :: v_dual_mul_f32 v98, s19, v103
	s_delay_alu instid0(VALU_DEP_4) | instskip(NEXT) | instid1(VALU_DEP_4)
	v_max3_f32 v71, v71, v72, v78
	v_cndmask_b32_e64 v68, 0xff7fffff, v68, s10
	s_delay_alu instid0(VALU_DEP_4)
	v_cndmask_b32_e64 v70, 0xff7fffff, v70, s11
	v_cmp_gt_i32_e64 s12, s24, v88
	v_cndmask_b32_e64 v78, 0xff7fffff, v98, s13
	v_cmp_gt_i32_e64 s15, s24, v90
	v_cmp_gt_i32_e64 s16, s24, v91
	v_max3_f32 v68, v71, v68, v70
	v_cndmask_b32_e64 v72, 0xff7fffff, v99, s12
	v_cmp_gt_i32_e64 s17, s24, v76
	v_cndmask_b32_e64 v70, 0xff7fffff, v97, s15
	v_cndmask_b32_e64 v71, 0xff7fffff, v96, s16
	v_cmp_gt_i32_e64 s18, s24, v77
	v_max3_f32 v68, v68, v72, v78
	v_cndmask_b32_e64 v72, 0xff7fffff, v95, s17
	s_delay_alu instid0(VALU_DEP_3) | instskip(NEXT) | instid1(VALU_DEP_3)
	v_cndmask_b32_e64 v76, 0xff7fffff, v94, s18
	v_max3_f32 v68, v68, v70, v71
	s_delay_alu instid0(VALU_DEP_1) | instskip(SKIP_3) | instid1(VALU_DEP_1)
	v_max3_f32 v68, v68, v72, v76
	ds_bpermute_b32 v69, v89, v68
	s_waitcnt lgkmcnt(0)
	v_max_f32_e32 v69, v69, v69
	v_max_f32_e32 v68, v68, v69
	s_delay_alu instid0(VALU_DEP_1) | instskip(NEXT) | instid1(VALU_DEP_1)
	v_fma_f32 v71, s19, v118, -v68
	v_mul_f32_e32 v71, 0x3fb8aa3b, v71
	v_fma_f32 v70, s19, v117, -v68
	v_fma_f32 v69, s19, v116, -v68
	;; [unrolled: 1-line block ×5, first 2 shown]
	s_delay_alu instid0(VALU_DEP_4) | instskip(SKIP_1) | instid1(VALU_DEP_3)
	v_dual_mul_f32 v70, 0x3fb8aa3b, v70 :: v_dual_mul_f32 v69, 0x3fb8aa3b, v69
	v_exp_f32_e32 v71, v71
	v_mul_f32_e32 v72, 0x3fb8aa3b, v72
	v_fma_f32 v81, s19, v105, -v68
	s_delay_alu instid0(VALU_DEP_3)
	v_exp_f32_e32 v70, v70
	v_mul_f32_e32 v77, 0x3fb8aa3b, v76
	v_exp_f32_e32 v69, v69
	v_exp_f32_e32 v72, v72
	v_mul_f32_e32 v81, 0x3fb8aa3b, v81
	v_cndmask_b32_e64 v83, 0, v71, s4
	v_fma_f32 v71, s19, v123, -v68
	s_delay_alu instid0(VALU_DEP_3) | instskip(SKIP_4) | instid1(TRANS32_DEP_3)
	v_exp_f32_e32 v81, v81
	v_cndmask_b32_e32 v76, 0, v70, vcc_lo
	v_exp_f32_e32 v77, v77
	v_cndmask_b32_e64 v80, 0, v69, s3
	v_fma_f32 v69, s19, v121, -v68
	v_cndmask_b32_e64 v85, 0, v72, s5
	v_mul_f32_e32 v71, 0x3fb8aa3b, v71
	v_fma_f32 v72, s19, v100, -v68
	s_delay_alu instid0(VALU_DEP_4) | instskip(SKIP_1) | instid1(VALU_DEP_4)
	v_dual_add_f32 v70, 0, v80 :: v_dual_mul_f32 v69, 0x3fb8aa3b, v69
	v_cmp_gt_u32_e64 s3, 16, v67
	v_exp_f32_e32 v71, v71
	s_delay_alu instid0(TRANS32_DEP_2) | instskip(SKIP_4) | instid1(VALU_DEP_3)
	v_cndmask_b32_e64 v86, 0, v77, s6
	v_fma_f32 v77, s19, v101, -v68
	v_mul_f32_e32 v78, 0x3fb8aa3b, v78
	v_add_f32_e32 v70, v70, v76
	v_exp_f32_e32 v69, v69
	v_mul_f32_e32 v77, 0x3fb8aa3b, v77
	s_delay_alu instid0(VALU_DEP_3) | instskip(NEXT) | instid1(TRANS32_DEP_3)
	v_exp_f32_e32 v78, v78
	v_cndmask_b32_e64 v88, 0, v71, s9
	v_fma_f32 v71, s19, v104, -v68
	s_delay_alu instid0(VALU_DEP_3) | instskip(NEXT) | instid1(TRANS32_DEP_3)
	v_exp_f32_e32 v77, v77
	v_cndmask_b32_e64 v87, 0, v69, s7
	s_delay_alu instid0(VALU_DEP_2)
	v_mul_f32_e32 v71, 0x3fb8aa3b, v71
	s_waitcnt_depctr 0xfff
	v_cndmask_b32_e64 v84, 0, v78, s8
	v_add_f32_e32 v70, v70, v83
	v_fma_f32 v78, s19, v103, -v68
	v_exp_f32_e32 v82, v71
	s_delay_alu instid0(VALU_DEP_2) | instskip(SKIP_1) | instid1(VALU_DEP_3)
	v_add_f32_e32 v70, v70, v85
	v_mul_f32_e32 v72, 0x3fb8aa3b, v72
	v_mul_f32_e32 v78, 0x3fb8aa3b, v78
	s_delay_alu instid0(VALU_DEP_3) | instskip(SKIP_1) | instid1(VALU_DEP_4)
	v_add_f32_e32 v69, v70, v86
	v_fma_f32 v70, s19, v102, -v68
	v_exp_f32_e32 v72, v72
	s_delay_alu instid0(VALU_DEP_3) | instskip(NEXT) | instid1(VALU_DEP_1)
	v_exp_f32_e32 v78, v78
	v_dual_add_f32 v69, v69, v87 :: v_dual_mul_f32 v70, 0x3fb8aa3b, v70
	s_delay_alu instid0(VALU_DEP_1) | instskip(NEXT) | instid1(VALU_DEP_2)
	v_add_f32_e32 v69, v69, v84
	v_exp_f32_e32 v79, v70
	s_delay_alu instid0(TRANS32_DEP_3) | instskip(NEXT) | instid1(VALU_DEP_2)
	v_cndmask_b32_e64 v70, 0, v72, s10
	v_add_f32_e32 v72, v69, v88
	v_cndmask_b32_e64 v69, 0, v77, s11
	v_fma_f32 v77, s19, v106, -v68
	s_waitcnt_depctr 0xfff
	v_cndmask_b32_e64 v71, 0, v79, s12
	v_dual_mul_f32 v77, 0x3fb8aa3b, v77 :: v_dual_add_f32 v72, v72, v70
	s_delay_alu instid0(VALU_DEP_1) | instskip(NEXT) | instid1(VALU_DEP_1)
	v_exp_f32_e32 v90, v77
	v_add_f32_e32 v79, v72, v69
	v_cndmask_b32_e64 v72, 0, v78, s13
	v_cndmask_b32_e64 v77, 0, v82, s15
	s_delay_alu instid0(VALU_DEP_3) | instskip(SKIP_1) | instid1(VALU_DEP_1)
	v_add_f32_e32 v78, v79, v71
	v_fma_f32 v79, s19, v107, -v68
	v_dual_add_f32 v82, v78, v72 :: v_dual_mul_f32 v79, 0x3fb8aa3b, v79
	v_cndmask_b32_e64 v78, 0, v81, s16
	s_delay_alu instid0(VALU_DEP_2) | instskip(NEXT) | instid1(VALU_DEP_3)
	v_add_f32_e32 v81, v82, v77
	v_exp_f32_e32 v82, v79
	v_cndmask_b32_e64 v79, 0, v90, s17
	s_delay_alu instid0(VALU_DEP_2) | instskip(NEXT) | instid1(VALU_DEP_1)
	v_add_f32_e32 v81, v81, v78
	v_add_f32_e32 v90, v81, v79
	s_waitcnt_depctr 0xfff
	v_cndmask_b32_e64 v81, 0, v82, s18
	s_delay_alu instid0(VALU_DEP_1)
	v_add_f32_e32 v82, v90, v81
	ds_bpermute_b32 v89, v89, v82
	s_and_saveexec_b32 s4, s3
	s_cbranch_execz .LBB1700_12
; %bb.11:
	v_mul_u32_u24_e32 v67, 0x44, v66
	s_delay_alu instid0(VALU_DEP_1) | instskip(SKIP_1) | instid1(VALU_DEP_1)
	v_lshl_add_u32 v67, v65, 2, v67
	s_waitcnt lgkmcnt(0)
	v_dual_add_f32 v82, v82, v89 :: v_dual_add_nc_u32 v67, 0x4000, v67
	ds_store_2addr_b32 v67, v68, v82 offset1:136
.LBB1700_12:
	s_or_b32 exec_lo, exec_lo, s4
	v_lshlrev_b32_e32 v67, 2, v65
	s_waitcnt lgkmcnt(0)
	s_barrier
	buffer_gl0_inv
	v_cmp_eq_u32_e32 vcc_lo, 1, v66
	v_add_nc_u32_e32 v82, 0x4000, v67
	v_cmp_eq_u32_e64 s4, 2, v66
	v_cmp_eq_u32_e64 s6, 7, v66
	ds_load_2addr_b32 v[89:90], v82 offset1:17
	ds_load_2addr_b32 v[91:92], v82 offset0:34 offset1:51
	ds_load_2addr_b32 v[93:94], v82 offset0:68 offset1:85
	;; [unrolled: 1-line block ×4, first 2 shown]
	s_waitcnt lgkmcnt(4)
	v_max3_f32 v67, v89, 0xff7fffff, v90
	s_waitcnt lgkmcnt(3)
	s_delay_alu instid0(VALU_DEP_1) | instskip(SKIP_1) | instid1(VALU_DEP_1)
	v_max3_f32 v67, v67, v91, v92
	s_waitcnt lgkmcnt(2)
	v_max3_f32 v67, v67, v93, v94
	s_waitcnt lgkmcnt(1)
	s_delay_alu instid0(VALU_DEP_1) | instskip(NEXT) | instid1(VALU_DEP_1)
	v_max3_f32 v67, v67, v95, v96
	v_sub_f32_e32 v93, v93, v67
	s_delay_alu instid0(VALU_DEP_1) | instskip(NEXT) | instid1(VALU_DEP_1)
	v_dual_sub_f32 v68, v89, v67 :: v_dual_mul_f32 v103, 0x3fb8aa3b, v93
	v_mul_f32_e32 v68, 0x3fb8aa3b, v68
	s_delay_alu instid0(VALU_DEP_1)
	v_exp_f32_e32 v100, v68
	v_sub_f32_e32 v68, v92, v67
	v_sub_f32_e32 v99, v90, v67
	ds_load_2addr_b32 v[89:90], v82 offset0:170 offset1:187
	v_dual_mul_f32 v102, 0x3fb8aa3b, v68 :: v_dual_mul_f32 v99, 0x3fb8aa3b, v99
	s_waitcnt lgkmcnt(1)
	v_fma_f32 v68, v100, v97, 0
	s_delay_alu instid0(VALU_DEP_2) | instskip(NEXT) | instid1(VALU_DEP_2)
	v_exp_f32_e32 v102, v102
	v_exp_f32_e32 v99, v99
	s_waitcnt_depctr 0xfff
	v_fmac_f32_e32 v68, v99, v98
	v_sub_f32_e32 v91, v91, v67
	s_delay_alu instid0(VALU_DEP_1)
	v_mul_f32_e32 v101, 0x3fb8aa3b, v91
	ds_load_2addr_b32 v[91:92], v82 offset0:204 offset1:221
	v_sub_f32_e32 v97, v94, v67
	ds_load_2addr_b32 v[93:94], v82 offset0:238 offset1:255
	s_waitcnt lgkmcnt(0)
	v_exp_f32_e32 v101, v101
	s_barrier
	buffer_gl0_inv
	v_dual_fmac_f32 v68, v101, v89 :: v_dual_sub_f32 v89, v96, v67
	v_dual_sub_f32 v82, v95, v67 :: v_dual_mul_f32 v95, 0x3fb8aa3b, v97
	v_exp_f32_e32 v97, v103
	s_delay_alu instid0(VALU_DEP_2) | instskip(NEXT) | instid1(VALU_DEP_2)
	v_dual_fmac_f32 v68, v102, v90 :: v_dual_mul_f32 v89, 0x3fb8aa3b, v89
	v_mul_f32_e32 v82, 0x3fb8aa3b, v82
	s_delay_alu instid0(VALU_DEP_3) | instskip(NEXT) | instid1(VALU_DEP_2)
	v_exp_f32_e32 v95, v95
	v_exp_f32_e32 v89, v89
	s_delay_alu instid0(VALU_DEP_1)
	v_exp_f32_e32 v82, v82
	v_fmac_f32_e32 v68, v97, v91
	s_delay_alu instid0(TRANS32_DEP_3) | instid1(VALU_DEP_1)
	v_fmac_f32_e32 v68, v95, v92
	s_waitcnt_depctr 0xfff
	v_fmac_f32_e32 v68, v82, v93
	s_delay_alu instid0(VALU_DEP_1) | instskip(NEXT) | instid1(VALU_DEP_1)
	v_fmac_f32_e32 v68, v89, v94
	v_add_f32_e32 v90, 0x358637bd, v68
	s_delay_alu instid0(VALU_DEP_1) | instskip(NEXT) | instid1(VALU_DEP_1)
	v_div_scale_f32 v91, null, v90, v90, 1.0
	v_rcp_f32_e32 v92, v91
	s_waitcnt_depctr 0xfff
	v_fma_f32 v93, -v91, v92, 1.0
	s_delay_alu instid0(VALU_DEP_1) | instskip(SKIP_1) | instid1(VALU_DEP_2)
	v_dual_fmac_f32 v92, v93, v92 :: v_dual_cndmask_b32 v93, v100, v99
	v_cmp_eq_u32_e32 vcc_lo, 3, v66
	v_cndmask_b32_e64 v93, v93, v101, s4
	v_cmp_eq_u32_e64 s4, 4, v66
	s_delay_alu instid0(VALU_DEP_2) | instskip(SKIP_1) | instid1(VALU_DEP_2)
	v_cndmask_b32_e32 v93, v93, v102, vcc_lo
	v_cmp_eq_u32_e32 vcc_lo, 5, v66
	v_cndmask_b32_e64 v93, v93, v97, s4
	v_cmp_eq_u32_e64 s4, 6, v66
	s_delay_alu instid0(VALU_DEP_2) | instskip(SKIP_1) | instid1(VALU_DEP_1)
	v_cndmask_b32_e32 v93, v93, v95, vcc_lo
	v_div_scale_f32 v94, s5, 1.0, v90, 1.0
	s_mov_b32 vcc_lo, s5
	s_delay_alu instid0(VALU_DEP_2) | instskip(NEXT) | instid1(VALU_DEP_2)
	v_cndmask_b32_e64 v82, v93, v82, s4
	v_mul_f32_e32 v96, v94, v92
	s_mov_b32 s4, exec_lo
	s_delay_alu instid0(VALU_DEP_2) | instskip(NEXT) | instid1(VALU_DEP_2)
	v_cndmask_b32_e64 v82, v82, v89, s6
	v_fma_f32 v98, -v91, v96, v94
	s_delay_alu instid0(VALU_DEP_1) | instskip(NEXT) | instid1(VALU_DEP_1)
	v_fmac_f32_e32 v96, v98, v92
	v_fma_f32 v91, -v91, v96, v94
	s_delay_alu instid0(VALU_DEP_1) | instskip(NEXT) | instid1(VALU_DEP_1)
	v_div_fmas_f32 v91, v91, v92, v96
	v_div_fixup_f32 v90, v91, v90, 1.0
	s_delay_alu instid0(VALU_DEP_1) | instskip(NEXT) | instid1(VALU_DEP_1)
	v_mul_f32_e32 v82, v82, v90
	v_mul_f32_e32 v87, v82, v87
	;; [unrolled: 1-line block ×7, first 2 shown]
	v_dual_mul_f32 v86, v82, v83 :: v_dual_and_b32 v91, 0x7f800000, v90
	v_mul_f32_e32 v85, v82, v76
                                        ; implicit-def: $vgpr76
	s_delay_alu instid0(VALU_DEP_2)
	v_cmpx_ne_u32_e32 0x7f800000, v91
	s_xor_b32 s4, exec_lo, s4
; %bb.13:
	v_bfe_u32 v76, v90, 16, 1
	s_delay_alu instid0(VALU_DEP_1)
	v_add3_u32 v76, v90, v76, 0x7fff
                                        ; implicit-def: $vgpr90
; %bb.14:
	s_and_not1_saveexec_b32 s4, s4
; %bb.15:
	v_and_b32_e32 v76, 0xffff, v90
	v_or_b32_e32 v83, 0x10000, v90
	s_delay_alu instid0(VALU_DEP_2) | instskip(NEXT) | instid1(VALU_DEP_2)
	v_cmp_eq_u32_e32 vcc_lo, 0, v76
	v_cndmask_b32_e32 v76, v83, v90, vcc_lo
; %bb.16:
	s_or_b32 exec_lo, exec_lo, s4
	v_and_b32_e32 v83, 0x7f800000, v85
	s_delay_alu instid0(VALU_DEP_1) | instskip(SKIP_1) | instid1(SALU_CYCLE_1)
	v_cmp_ne_u32_e32 vcc_lo, 0x7f800000, v83
                                        ; implicit-def: $vgpr83
	s_and_saveexec_b32 s4, vcc_lo
	s_xor_b32 s4, exec_lo, s4
; %bb.17:
	v_bfe_u32 v83, v85, 16, 1
	s_delay_alu instid0(VALU_DEP_1)
	v_add3_u32 v83, v85, v83, 0x7fff
                                        ; implicit-def: $vgpr85
; %bb.18:
	s_and_not1_saveexec_b32 s4, s4
; %bb.19:
	v_and_b32_e32 v83, 0xffff, v85
	v_or_b32_e32 v90, 0x10000, v85
	s_delay_alu instid0(VALU_DEP_2) | instskip(NEXT) | instid1(VALU_DEP_2)
	v_cmp_eq_u32_e32 vcc_lo, 0, v83
	v_cndmask_b32_e32 v83, v90, v85, vcc_lo
; %bb.20:
	s_or_b32 exec_lo, exec_lo, s4
	v_and_b32_e32 v85, 0x7f800000, v86
	s_delay_alu instid0(VALU_DEP_1) | instskip(SKIP_1) | instid1(SALU_CYCLE_1)
	v_cmp_ne_u32_e32 vcc_lo, 0x7f800000, v85
                                        ; implicit-def: $vgpr85
	s_and_saveexec_b32 s4, vcc_lo
	s_xor_b32 s4, exec_lo, s4
; %bb.21:
	v_bfe_u32 v85, v86, 16, 1
	s_delay_alu instid0(VALU_DEP_1)
	v_add3_u32 v85, v86, v85, 0x7fff
                                        ; implicit-def: $vgpr86
; %bb.22:
	s_and_not1_saveexec_b32 s4, s4
; %bb.23:
	v_and_b32_e32 v85, 0xffff, v86
	v_or_b32_e32 v90, 0x10000, v86
	s_delay_alu instid0(VALU_DEP_2) | instskip(NEXT) | instid1(VALU_DEP_2)
	v_cmp_eq_u32_e32 vcc_lo, 0, v85
	v_cndmask_b32_e32 v85, v90, v86, vcc_lo
; %bb.24:
	s_or_b32 exec_lo, exec_lo, s4
	v_and_b32_e32 v86, 0x7f800000, v89
	s_delay_alu instid0(VALU_DEP_1) | instskip(SKIP_1) | instid1(SALU_CYCLE_1)
	v_cmp_ne_u32_e32 vcc_lo, 0x7f800000, v86
                                        ; implicit-def: $vgpr86
	s_and_saveexec_b32 s4, vcc_lo
	s_xor_b32 s4, exec_lo, s4
; %bb.25:
	v_bfe_u32 v86, v89, 16, 1
	s_delay_alu instid0(VALU_DEP_1)
	v_add3_u32 v86, v89, v86, 0x7fff
                                        ; implicit-def: $vgpr89
; %bb.26:
	s_and_not1_saveexec_b32 s4, s4
; %bb.27:
	v_and_b32_e32 v86, 0xffff, v89
	v_or_b32_e32 v90, 0x10000, v89
	s_delay_alu instid0(VALU_DEP_2) | instskip(NEXT) | instid1(VALU_DEP_2)
	v_cmp_eq_u32_e32 vcc_lo, 0, v86
	v_cndmask_b32_e32 v86, v90, v89, vcc_lo
; %bb.28:
	s_or_b32 exec_lo, exec_lo, s4
	v_and_b32_e32 v89, 0x7f800000, v88
	s_delay_alu instid0(VALU_DEP_1) | instskip(SKIP_1) | instid1(SALU_CYCLE_1)
	v_cmp_ne_u32_e32 vcc_lo, 0x7f800000, v89
                                        ; implicit-def: $vgpr89
	s_and_saveexec_b32 s4, vcc_lo
	s_xor_b32 s4, exec_lo, s4
; %bb.29:
	v_bfe_u32 v89, v88, 16, 1
	s_delay_alu instid0(VALU_DEP_1)
	v_add3_u32 v89, v88, v89, 0x7fff
                                        ; implicit-def: $vgpr88
; %bb.30:
	s_and_not1_saveexec_b32 s4, s4
; %bb.31:
	v_and_b32_e32 v89, 0xffff, v88
	v_or_b32_e32 v90, 0x10000, v88
	s_delay_alu instid0(VALU_DEP_2) | instskip(NEXT) | instid1(VALU_DEP_2)
	v_cmp_eq_u32_e32 vcc_lo, 0, v89
	v_cndmask_b32_e32 v89, v90, v88, vcc_lo
; %bb.32:
	s_or_b32 exec_lo, exec_lo, s4
	v_and_b32_e32 v88, 0x7f800000, v87
	s_delay_alu instid0(VALU_DEP_1) | instskip(SKIP_1) | instid1(SALU_CYCLE_1)
	v_cmp_ne_u32_e32 vcc_lo, 0x7f800000, v88
                                        ; implicit-def: $vgpr88
	s_and_saveexec_b32 s4, vcc_lo
	s_xor_b32 s4, exec_lo, s4
; %bb.33:
	v_bfe_u32 v88, v87, 16, 1
	s_delay_alu instid0(VALU_DEP_1)
	v_add3_u32 v88, v87, v88, 0x7fff
                                        ; implicit-def: $vgpr87
; %bb.34:
	s_and_not1_saveexec_b32 s4, s4
; %bb.35:
	v_and_b32_e32 v88, 0xffff, v87
	v_or_b32_e32 v90, 0x10000, v87
	s_delay_alu instid0(VALU_DEP_2) | instskip(NEXT) | instid1(VALU_DEP_2)
	v_cmp_eq_u32_e32 vcc_lo, 0, v88
	v_cndmask_b32_e32 v88, v90, v87, vcc_lo
; %bb.36:
	s_or_b32 exec_lo, exec_lo, s4
	v_and_b32_e32 v87, 0x7f800000, v84
	s_delay_alu instid0(VALU_DEP_1) | instskip(SKIP_1) | instid1(SALU_CYCLE_1)
	v_cmp_ne_u32_e32 vcc_lo, 0x7f800000, v87
                                        ; implicit-def: $vgpr87
	s_and_saveexec_b32 s4, vcc_lo
	s_xor_b32 s4, exec_lo, s4
; %bb.37:
	v_bfe_u32 v87, v84, 16, 1
	s_delay_alu instid0(VALU_DEP_1)
	v_add3_u32 v87, v84, v87, 0x7fff
                                        ; implicit-def: $vgpr84
; %bb.38:
	s_and_not1_saveexec_b32 s4, s4
; %bb.39:
	v_and_b32_e32 v87, 0xffff, v84
	v_or_b32_e32 v90, 0x10000, v84
	s_delay_alu instid0(VALU_DEP_2) | instskip(NEXT) | instid1(VALU_DEP_2)
	v_cmp_eq_u32_e32 vcc_lo, 0, v87
	v_cndmask_b32_e32 v87, v90, v84, vcc_lo
; %bb.40:
	s_or_b32 exec_lo, exec_lo, s4
	v_and_b32_e32 v84, 0x7f800000, v80
	s_delay_alu instid0(VALU_DEP_1) | instskip(SKIP_1) | instid1(SALU_CYCLE_1)
	v_cmp_ne_u32_e32 vcc_lo, 0x7f800000, v84
                                        ; implicit-def: $vgpr84
	s_and_saveexec_b32 s4, vcc_lo
	s_xor_b32 s4, exec_lo, s4
; %bb.41:
	v_bfe_u32 v84, v80, 16, 1
	s_delay_alu instid0(VALU_DEP_1)
	v_add3_u32 v84, v80, v84, 0x7fff
                                        ; implicit-def: $vgpr80
; %bb.42:
	s_and_not1_saveexec_b32 s4, s4
; %bb.43:
	v_and_b32_e32 v84, 0xffff, v80
	v_or_b32_e32 v90, 0x10000, v80
	s_delay_alu instid0(VALU_DEP_2) | instskip(NEXT) | instid1(VALU_DEP_2)
	v_cmp_eq_u32_e32 vcc_lo, 0, v84
	v_cndmask_b32_e32 v84, v90, v80, vcc_lo
; %bb.44:
	s_or_b32 exec_lo, exec_lo, s4
	s_load_b64 s[36:37], s[0:1], 0x94
	v_lshlrev_b32_e32 v91, 4, v74
	s_delay_alu instid0(VALU_DEP_2)
	v_perm_b32 v90, v84, v87, 0x7060302
	v_dual_mul_f32 v79, v82, v79 :: v_dual_lshlrev_b32 v80, 6, v65
	v_dual_mul_f32 v77, v82, v77 :: v_dual_lshlrev_b32 v92, 11, v66
	v_mul_f32_e32 v84, v82, v70
	v_perm_b32 v89, v88, v89, 0x7060302
	v_perm_b32 v88, v86, v85, 0x7060302
	v_perm_b32 v87, v83, v76, 0x7060302
	v_mul_f32_e32 v70, v82, v81
	v_or3_b32 v76, v91, v92, v80
	v_dual_mul_f32 v78, v82, v78 :: v_dual_and_b32 v85, 0x7f800000, v84
	v_mul_f32_e32 v83, v82, v72
	v_mul_f32_e32 v81, v82, v71
	;; [unrolled: 1-line block ×3, first 2 shown]
	s_mov_b32 s4, exec_lo
	ds_store_b128 v76, v[87:90]
                                        ; implicit-def: $vgpr69
	v_cmpx_ne_u32_e32 0x7f800000, v85
	s_xor_b32 s4, exec_lo, s4
; %bb.45:
	v_bfe_u32 v69, v84, 16, 1
	s_delay_alu instid0(VALU_DEP_1)
	v_add3_u32 v69, v84, v69, 0x7fff
                                        ; implicit-def: $vgpr84
; %bb.46:
	s_and_not1_saveexec_b32 s4, s4
; %bb.47:
	v_and_b32_e32 v69, 0xffff, v84
	v_or_b32_e32 v71, 0x10000, v84
	s_delay_alu instid0(VALU_DEP_2) | instskip(NEXT) | instid1(VALU_DEP_2)
	v_cmp_eq_u32_e32 vcc_lo, 0, v69
	v_cndmask_b32_e32 v69, v71, v84, vcc_lo
; %bb.48:
	s_or_b32 exec_lo, exec_lo, s4
	v_and_b32_e32 v71, 0x7f800000, v72
	s_delay_alu instid0(VALU_DEP_1) | instskip(SKIP_1) | instid1(SALU_CYCLE_1)
	v_cmp_ne_u32_e32 vcc_lo, 0x7f800000, v71
                                        ; implicit-def: $vgpr71
	s_and_saveexec_b32 s4, vcc_lo
	s_xor_b32 s4, exec_lo, s4
; %bb.49:
	v_bfe_u32 v71, v72, 16, 1
	s_delay_alu instid0(VALU_DEP_1)
	v_add3_u32 v71, v72, v71, 0x7fff
                                        ; implicit-def: $vgpr72
; %bb.50:
	s_and_not1_saveexec_b32 s4, s4
; %bb.51:
	v_and_b32_e32 v71, 0xffff, v72
	v_or_b32_e32 v82, 0x10000, v72
	s_delay_alu instid0(VALU_DEP_2) | instskip(NEXT) | instid1(VALU_DEP_2)
	v_cmp_eq_u32_e32 vcc_lo, 0, v71
	v_cndmask_b32_e32 v71, v82, v72, vcc_lo
; %bb.52:
	s_or_b32 exec_lo, exec_lo, s4
	v_and_b32_e32 v72, 0x7f800000, v81
	s_delay_alu instid0(VALU_DEP_1) | instskip(SKIP_1) | instid1(SALU_CYCLE_1)
	v_cmp_ne_u32_e32 vcc_lo, 0x7f800000, v72
                                        ; implicit-def: $vgpr72
	s_and_saveexec_b32 s4, vcc_lo
	s_xor_b32 s4, exec_lo, s4
; %bb.53:
	v_bfe_u32 v72, v81, 16, 1
	s_delay_alu instid0(VALU_DEP_1)
	v_add3_u32 v72, v81, v72, 0x7fff
                                        ; implicit-def: $vgpr81
; %bb.54:
	s_and_not1_saveexec_b32 s4, s4
; %bb.55:
	v_and_b32_e32 v72, 0xffff, v81
	v_or_b32_e32 v82, 0x10000, v81
	s_delay_alu instid0(VALU_DEP_2) | instskip(NEXT) | instid1(VALU_DEP_2)
	v_cmp_eq_u32_e32 vcc_lo, 0, v72
	v_cndmask_b32_e32 v72, v82, v81, vcc_lo
; %bb.56:
	s_or_b32 exec_lo, exec_lo, s4
	v_and_b32_e32 v81, 0x7f800000, v83
	s_delay_alu instid0(VALU_DEP_1) | instskip(SKIP_1) | instid1(SALU_CYCLE_1)
	v_cmp_ne_u32_e32 vcc_lo, 0x7f800000, v81
                                        ; implicit-def: $vgpr81
	s_and_saveexec_b32 s4, vcc_lo
	s_xor_b32 s4, exec_lo, s4
; %bb.57:
	v_bfe_u32 v81, v83, 16, 1
	s_delay_alu instid0(VALU_DEP_1)
	v_add3_u32 v81, v83, v81, 0x7fff
                                        ; implicit-def: $vgpr83
; %bb.58:
	s_and_not1_saveexec_b32 s4, s4
; %bb.59:
	v_and_b32_e32 v81, 0xffff, v83
	v_or_b32_e32 v82, 0x10000, v83
	s_delay_alu instid0(VALU_DEP_2) | instskip(NEXT) | instid1(VALU_DEP_2)
	v_cmp_eq_u32_e32 vcc_lo, 0, v81
	v_cndmask_b32_e32 v81, v82, v83, vcc_lo
; %bb.60:
	s_or_b32 exec_lo, exec_lo, s4
	v_and_b32_e32 v82, 0x7f800000, v77
	s_delay_alu instid0(VALU_DEP_1) | instskip(SKIP_1) | instid1(SALU_CYCLE_1)
	v_cmp_ne_u32_e32 vcc_lo, 0x7f800000, v82
                                        ; implicit-def: $vgpr82
	s_and_saveexec_b32 s4, vcc_lo
	s_xor_b32 s4, exec_lo, s4
; %bb.61:
	v_bfe_u32 v82, v77, 16, 1
	s_delay_alu instid0(VALU_DEP_1)
	v_add3_u32 v82, v77, v82, 0x7fff
                                        ; implicit-def: $vgpr77
; %bb.62:
	s_and_not1_saveexec_b32 s4, s4
; %bb.63:
	v_and_b32_e32 v82, 0xffff, v77
	v_or_b32_e32 v83, 0x10000, v77
	s_delay_alu instid0(VALU_DEP_2) | instskip(NEXT) | instid1(VALU_DEP_2)
	v_cmp_eq_u32_e32 vcc_lo, 0, v82
	v_cndmask_b32_e32 v82, v83, v77, vcc_lo
; %bb.64:
	s_or_b32 exec_lo, exec_lo, s4
	v_and_b32_e32 v77, 0x7f800000, v78
	s_delay_alu instid0(VALU_DEP_1) | instskip(SKIP_1) | instid1(SALU_CYCLE_1)
	v_cmp_ne_u32_e32 vcc_lo, 0x7f800000, v77
                                        ; implicit-def: $vgpr77
	s_and_saveexec_b32 s4, vcc_lo
	s_xor_b32 s4, exec_lo, s4
; %bb.65:
	v_bfe_u32 v77, v78, 16, 1
	s_delay_alu instid0(VALU_DEP_1)
	v_add3_u32 v77, v78, v77, 0x7fff
                                        ; implicit-def: $vgpr78
; %bb.66:
	s_and_not1_saveexec_b32 s4, s4
; %bb.67:
	v_and_b32_e32 v77, 0xffff, v78
	v_or_b32_e32 v83, 0x10000, v78
	s_delay_alu instid0(VALU_DEP_2) | instskip(NEXT) | instid1(VALU_DEP_2)
	v_cmp_eq_u32_e32 vcc_lo, 0, v77
	v_cndmask_b32_e32 v77, v83, v78, vcc_lo
; %bb.68:
	s_or_b32 exec_lo, exec_lo, s4
	v_and_b32_e32 v78, 0x7f800000, v79
	s_delay_alu instid0(VALU_DEP_1) | instskip(SKIP_1) | instid1(SALU_CYCLE_1)
	v_cmp_ne_u32_e32 vcc_lo, 0x7f800000, v78
                                        ; implicit-def: $vgpr78
	s_and_saveexec_b32 s4, vcc_lo
	s_xor_b32 s4, exec_lo, s4
; %bb.69:
	v_bfe_u32 v78, v79, 16, 1
	s_delay_alu instid0(VALU_DEP_1)
	v_add3_u32 v78, v79, v78, 0x7fff
                                        ; implicit-def: $vgpr79
; %bb.70:
	s_and_not1_saveexec_b32 s4, s4
; %bb.71:
	v_and_b32_e32 v78, 0xffff, v79
	v_or_b32_e32 v83, 0x10000, v79
	s_delay_alu instid0(VALU_DEP_2) | instskip(NEXT) | instid1(VALU_DEP_2)
	v_cmp_eq_u32_e32 vcc_lo, 0, v78
	v_cndmask_b32_e32 v78, v83, v79, vcc_lo
; %bb.72:
	s_or_b32 exec_lo, exec_lo, s4
	v_and_b32_e32 v79, 0x7f800000, v70
	s_delay_alu instid0(VALU_DEP_1) | instskip(SKIP_1) | instid1(SALU_CYCLE_1)
	v_cmp_ne_u32_e32 vcc_lo, 0x7f800000, v79
                                        ; implicit-def: $vgpr79
	s_and_saveexec_b32 s4, vcc_lo
	s_xor_b32 s4, exec_lo, s4
; %bb.73:
	v_bfe_u32 v79, v70, 16, 1
	s_delay_alu instid0(VALU_DEP_1)
	v_add3_u32 v79, v70, v79, 0x7fff
                                        ; implicit-def: $vgpr70
; %bb.74:
	s_and_not1_saveexec_b32 s4, s4
; %bb.75:
	v_and_b32_e32 v79, 0xffff, v70
	v_or_b32_e32 v83, 0x10000, v70
	s_delay_alu instid0(VALU_DEP_2) | instskip(NEXT) | instid1(VALU_DEP_2)
	v_cmp_eq_u32_e32 vcc_lo, 0, v79
	v_cndmask_b32_e32 v79, v83, v70, vcc_lo
; %bb.76:
	s_or_b32 exec_lo, exec_lo, s4
	s_delay_alu instid0(VALU_DEP_1)
	v_perm_b32 v86, v79, v78, 0x7060302
	v_perm_b32 v85, v77, v82, 0x7060302
	;; [unrolled: 1-line block ×4, first 2 shown]
	v_lshl_or_b32 v82, v66, 11, v80
	ds_store_b128 v76, v[83:86] offset:1024
	s_waitcnt lgkmcnt(0)
	s_barrier
	buffer_gl0_inv
	ds_load_b128 v[69:72], v82
	ds_load_b128 v[83:86], v82 offset:16
	s_waitcnt lgkmcnt(1)
	v_lshrrev_b32_e32 v66, 16, v69
	s_waitcnt lgkmcnt(0)
	v_lshrrev_b32_e32 v91, 16, v83
	v_lshlrev_b32_e32 v78, 2, v74
	v_lshrrev_b32_e32 v95, 16, v70
	v_lshrrev_b32_e32 v98, 16, v84
	v_lshrrev_b32_e32 v96, 16, v71
	v_lshrrev_b32_e32 v99, 16, v85
	v_cmp_eq_u32_e32 vcc_lo, 1, v78
	v_lshrrev_b32_e32 v97, 16, v72
	v_lshrrev_b32_e32 v100, 16, v86
	v_cndmask_b32_e32 v87, v83, v91, vcc_lo
	v_or_b32_e32 v79, 1, v78
	v_cndmask_b32_e32 v81, v69, v66, vcc_lo
	v_cmp_eq_u32_e64 s5, 2, v78
	v_cmp_eq_u32_e64 s8, 3, v78
	;; [unrolled: 1-line block ×5, first 2 shown]
	v_cndmask_b32_e64 v81, v81, v70, s5
	v_cndmask_b32_e64 v87, v87, v84, s5
	v_cmp_eq_u32_e64 s9, 3, v79
	v_cndmask_b32_e64 v88, v69, v66, s4
	v_or_b32_e32 v77, 2, v78
	v_cndmask_b32_e64 v81, v81, v95, s8
	v_cndmask_b32_e64 v87, v87, v98, s8
	;; [unrolled: 1-line block ×4, first 2 shown]
	v_cmp_eq_u32_e64 s11, 5, v78
	v_cndmask_b32_e64 v81, v81, v71, s10
	v_cndmask_b32_e64 v87, v87, v85, s10
	v_cmp_eq_u32_e64 s12, 4, v79
	v_cndmask_b32_e64 v88, v88, v95, s9
	v_cmp_eq_u32_e64 s6, 1, v77
	v_cndmask_b32_e64 v89, v89, v84, s7
	v_cndmask_b32_e64 v81, v81, v96, s11
	v_cmp_eq_u32_e64 s13, 6, v78
	v_cndmask_b32_e64 v88, v88, v71, s12
	;; [unrolled: 3-line block ×3, first 2 shown]
	v_cndmask_b32_e64 v89, v89, v98, s9
	v_cndmask_b32_e64 v81, v81, v72, s13
	v_cmp_eq_u32_e64 s16, 7, v78
	v_cndmask_b32_e64 v88, v88, v96, s15
	v_cndmask_b32_e64 v87, v87, v86, s13
	v_cmp_eq_u32_e64 s17, 6, v79
	v_cmp_eq_u32_e64 s18, 2, v77
	v_cndmask_b32_e64 v89, v89, v85, s12
	v_cndmask_b32_e64 v101, v81, v97, s16
	;; [unrolled: 1-line block ×6, first 2 shown]
	v_cmp_eq_u32_e64 s19, 7, v79
	v_cmp_eq_u32_e64 s20, 3, v77
	;; [unrolled: 1-line block ×4, first 2 shown]
	v_cndmask_b32_e64 v87, v87, v84, s18
	v_cndmask_b32_e64 v103, v88, v97, s19
	;; [unrolled: 1-line block ×4, first 2 shown]
	v_or_b32_e32 v81, 3, v78
	v_cndmask_b32_e64 v93, v87, v98, s20
	v_cmp_eq_u32_e64 s25, 6, v77
	v_cndmask_b32_e64 v104, v88, v86, s17
	v_cndmask_b32_e64 v92, v89, v71, s21
	v_cmp_eq_u32_e64 s22, 1, v81
	ds_load_b128 v[87:90], v82 offset:1024
	v_cmp_eq_u32_e64 s24, 2, v81
	v_cmp_eq_u32_e64 s26, 3, v81
	v_cndmask_b32_e64 v105, v92, v96, s23
	v_cndmask_b32_e64 v66, v69, v66, s22
	;; [unrolled: 1-line block ×4, first 2 shown]
	ds_load_b128 v[91:94], v82 offset:1040
	v_cmp_eq_u32_e64 s27, 4, v81
	v_cndmask_b32_e64 v66, v66, v70, s24
	v_cmp_eq_u32_e64 s28, 7, v77
	v_cndmask_b32_e64 v70, v83, v84, s24
	v_cndmask_b32_e64 v84, v105, v72, s25
	v_cmp_eq_u32_e64 s29, 5, v81
	v_cndmask_b32_e64 v66, v66, v95, s26
	v_cmp_eq_u32_e64 s30, 6, v81
	v_cndmask_b32_e64 v70, v70, v98, s26
	v_cndmask_b32_e64 v69, v69, v99, s23
	;; [unrolled: 1-line block ×4, first 2 shown]
	s_waitcnt lgkmcnt(1)
	v_lshrrev_b32_e32 v95, 16, v87
	v_cndmask_b32_e64 v70, v70, v85, s27
	v_cndmask_b32_e64 v71, v84, v97, s28
	;; [unrolled: 1-line block ×4, first 2 shown]
	v_cndmask_b32_e32 v84, v87, v95, vcc_lo
	v_cndmask_b32_e64 v70, v70, v99, s29
	s_waitcnt lgkmcnt(0)
	v_lshrrev_b32_e32 v85, 16, v91
	v_lshrrev_b32_e32 v96, 16, v88
	v_cndmask_b32_e64 v98, v87, v95, s4
	v_cndmask_b32_e64 v84, v84, v88, s5
	;; [unrolled: 1-line block ×3, first 2 shown]
	v_cndmask_b32_e32 v99, v91, v85, vcc_lo
	v_cmp_eq_u32_e32 vcc_lo, 7, v81
	v_cndmask_b32_e64 v66, v66, v72, s30
	v_cndmask_b32_e64 v72, v84, v96, s8
	;; [unrolled: 1-line block ×3, first 2 shown]
	v_lshrrev_b32_e32 v98, 16, v92
	v_cndmask_b32_e32 v70, v70, v100, vcc_lo
	v_cndmask_b32_e64 v86, v99, v92, s5
	v_cndmask_b32_e64 v69, v69, v100, s28
	v_lshrrev_b32_e32 v100, 16, v93
	v_cndmask_b32_e64 v72, v72, v89, s10
	v_lshrrev_b32_e32 v99, 16, v89
	v_cndmask_b32_e64 v86, v86, v98, s8
	v_perm_b32 v71, v69, v71, 0x5040100
	v_cndmask_b32_e64 v84, v84, v96, s9
	s_delay_alu instid0(VALU_DEP_3) | instskip(NEXT) | instid1(VALU_DEP_2)
	v_cndmask_b32_e64 v86, v86, v93, s10
	v_cndmask_b32_e64 v84, v84, v89, s12
	s_delay_alu instid0(VALU_DEP_2) | instskip(NEXT) | instid1(VALU_DEP_1)
	v_cndmask_b32_e64 v86, v86, v100, s11
	v_cndmask_b32_e64 v69, v86, v94, s13
	;; [unrolled: 1-line block ×5, first 2 shown]
	s_delay_alu instid0(VALU_DEP_3) | instskip(NEXT) | instid1(VALU_DEP_3)
	v_cndmask_b32_e64 v86, v86, v88, s18
	v_cndmask_b32_e64 v87, v87, v88, s24
	s_delay_alu instid0(VALU_DEP_3) | instskip(NEXT) | instid1(VALU_DEP_3)
	v_cndmask_b32_e64 v88, v95, v92, s24
	v_cndmask_b32_e64 v86, v86, v96, s20
	;; [unrolled: 3-line block ×7, first 2 shown]
	s_delay_alu instid0(VALU_DEP_3) | instskip(SKIP_2) | instid1(VALU_DEP_2)
	v_cndmask_b32_e64 v88, v88, v94, s30
	v_cndmask_b32_e32 v66, v66, v97, vcc_lo
	v_cndmask_b32_e64 v97, v72, v99, s11
	v_perm_b32 v72, v70, v66, 0x5040100
	v_perm_b32 v70, v83, v103, 0x5040100
	v_cndmask_b32_e64 v103, v91, v85, s6
	v_cndmask_b32_e64 v85, v91, v85, s4
	;; [unrolled: 1-line block ×4, first 2 shown]
	v_lshrrev_b32_e32 v97, 16, v90
	v_cndmask_b32_e64 v91, v103, v92, s18
	v_cndmask_b32_e64 v85, v85, v92, s7
	;; [unrolled: 1-line block ×3, first 2 shown]
	s_mov_b32 s4, exec_lo
	v_cndmask_b32_e64 v83, v84, v97, s16
	v_cndmask_b32_e64 v91, v91, v98, s20
	;; [unrolled: 1-line block ×3, first 2 shown]
	v_lshrrev_b32_e32 v84, 16, v94
	v_cndmask_b32_e64 v66, v66, v97, s19
	v_cndmask_b32_e64 v90, v86, v97, s28
	;; [unrolled: 1-line block ×4, first 2 shown]
	v_dual_cndmask_b32 v86, v87, v97 :: v_dual_cndmask_b32 v87, v88, v84
	v_cndmask_b32_e64 v91, v69, v84, s16
	s_delay_alu instid0(VALU_DEP_4) | instskip(NEXT) | instid1(VALU_DEP_4)
	v_cndmask_b32_e64 v89, v89, v100, s23
	v_cndmask_b32_e64 v85, v85, v100, s15
	v_perm_b32 v69, v102, v101, 0x5040100
	v_perm_b32 v86, v87, v86, 0x5040100
	;; [unrolled: 1-line block ×3, first 2 shown]
	v_cndmask_b32_e64 v89, v89, v94, s25
	v_cndmask_b32_e64 v85, v85, v94, s17
	s_mul_i32 s9, s37, 7
	s_delay_alu instid0(VALU_DEP_2) | instskip(NEXT) | instid1(VALU_DEP_2)
	v_cndmask_b32_e64 v88, v89, v84, s28
	v_cndmask_b32_e64 v89, v85, v84, s19
	s_delay_alu instid0(VALU_DEP_2) | instskip(NEXT) | instid1(VALU_DEP_2)
	v_perm_b32 v85, v88, v90, 0x5040100
	v_perm_b32 v84, v89, v66, 0x5040100
	ds_store_b128 v76, v[69:72]
	ds_store_b128 v76, v[83:86] offset:1024
	v_cmpx_gt_u32_e32 7, v0
	s_cbranch_execz .LBB1700_78
; %bb.77:
	s_mul_i32 s5, s9, s34
	s_load_b128 s[16:19], s[0:1], 0x58
	v_add3_u32 v69, s5, s31, v65
	s_delay_alu instid0(VALU_DEP_1) | instskip(NEXT) | instid1(VALU_DEP_1)
	v_mad_u64_u32 v[65:66], null, v69, s36, s[14:15]
	v_ashrrev_i32_e32 v66, 31, v65
	s_delay_alu instid0(VALU_DEP_1) | instskip(SKIP_1) | instid1(VALU_DEP_1)
	v_lshlrev_b64 v[65:66], 2, v[65:66]
	s_waitcnt lgkmcnt(0)
	v_add_co_u32 v69, vcc_lo, s18, v65
	s_delay_alu instid0(VALU_DEP_2)
	v_add_co_ci_u32_e32 v70, vcc_lo, s19, v66, vcc_lo
	v_add_co_u32 v65, vcc_lo, s16, v65
	v_add_co_ci_u32_e32 v66, vcc_lo, s17, v66, vcc_lo
	global_store_b32 v[69:70], v67, off
	global_store_b32 v[65:66], v68, off
.LBB1700_78:
	s_or_b32 exec_lo, exec_lo, s4
	s_waitcnt lgkmcnt(0)
	s_waitcnt_vscnt null, 0x0
	s_barrier
	buffer_gl0_inv
	ds_load_b128 v[83:86], v80
	ds_load_b128 v[87:90], v80 offset:16
	ds_load_b128 v[95:98], v80 offset:2064
	ds_load_b128 v[91:94], v80 offset:2048
	v_mov_b32_e32 v65, 0
	ds_load_b128 v[103:106], v80 offset:4112
	ds_load_b128 v[99:102], v80 offset:4096
	;; [unrolled: 1-line block ×4, first 2 shown]
	v_mov_b32_e32 v66, v65
	v_mov_b32_e32 v67, v65
	;; [unrolled: 1-line block ×7, first 2 shown]
	s_waitcnt lgkmcnt(6)
	s_delay_alu instid0(VALU_DEP_1)
	v_wmma_f32_16x16x16_bf16 v[65:72], v[57:64], v[83:90], v[65:72]
	ds_load_b128 v[61:64], v80 offset:8208
	ds_load_b128 v[57:60], v80 offset:8192
	s_waitcnt lgkmcnt(6)
	v_wmma_f32_16x16x16_bf16 v[65:72], v[41:48], v[91:98], v[65:72]
	ds_load_b128 v[45:48], v80 offset:10256
	ds_load_b128 v[41:44], v80 offset:10240
	s_waitcnt lgkmcnt(6)
	;; [unrolled: 4-line block ×4, first 2 shown]
	v_wmma_f32_16x16x16_bf16 v[65:72], v[1:8], v[57:64], v[65:72]
	s_waitcnt lgkmcnt(4)
	s_delay_alu instid0(VALU_DEP_1) | instskip(SKIP_1) | instid1(VALU_DEP_1)
	v_wmma_f32_16x16x16_bf16 v[65:72], v[9:16], v[41:48], v[65:72]
	s_waitcnt lgkmcnt(2)
	v_wmma_f32_16x16x16_bf16 v[65:72], v[17:24], v[33:40], v[65:72]
	s_waitcnt lgkmcnt(0)
	s_delay_alu instid0(VALU_DEP_1) | instskip(NEXT) | instid1(VALU_DEP_1)
	v_wmma_f32_16x16x16_bf16 v[65:72], v[49:56], v[25:32], v[65:72]
	v_and_b32_e32 v1, 0x7f800000, v65
	s_delay_alu instid0(VALU_DEP_1) | instskip(SKIP_1) | instid1(SALU_CYCLE_1)
	v_cmp_ne_u32_e32 vcc_lo, 0x7f800000, v1
                                        ; implicit-def: $vgpr1
	s_and_saveexec_b32 s4, vcc_lo
	s_xor_b32 s4, exec_lo, s4
; %bb.79:
	v_bfe_u32 v1, v65, 16, 1
	s_delay_alu instid0(VALU_DEP_1)
	v_add3_u32 v1, v65, v1, 0x7fff
; %bb.80:
	s_and_not1_saveexec_b32 s4, s4
; %bb.81:
	v_and_b32_e32 v1, 0xffff, v65
	v_or_b32_e32 v2, 0x10000, v65
	s_delay_alu instid0(VALU_DEP_2) | instskip(NEXT) | instid1(VALU_DEP_2)
	v_cmp_eq_u32_e32 vcc_lo, 0, v1
	v_cndmask_b32_e32 v1, v2, v65, vcc_lo
; %bb.82:
	s_or_b32 exec_lo, exec_lo, s4
	v_and_b32_e32 v2, 0x7f800000, v66
	s_delay_alu instid0(VALU_DEP_1) | instskip(SKIP_1) | instid1(SALU_CYCLE_1)
	v_cmp_ne_u32_e32 vcc_lo, 0x7f800000, v2
                                        ; implicit-def: $vgpr2
	s_and_saveexec_b32 s4, vcc_lo
	s_xor_b32 s4, exec_lo, s4
; %bb.83:
	v_bfe_u32 v2, v66, 16, 1
	s_delay_alu instid0(VALU_DEP_1)
	v_add3_u32 v2, v66, v2, 0x7fff
; %bb.84:
	s_and_not1_saveexec_b32 s4, s4
; %bb.85:
	v_and_b32_e32 v2, 0xffff, v66
	v_or_b32_e32 v3, 0x10000, v66
	s_delay_alu instid0(VALU_DEP_2) | instskip(NEXT) | instid1(VALU_DEP_2)
	v_cmp_eq_u32_e32 vcc_lo, 0, v2
	v_cndmask_b32_e32 v2, v3, v66, vcc_lo
; %bb.86:
	s_or_b32 exec_lo, exec_lo, s4
	v_and_b32_e32 v3, 0x7f800000, v67
	s_delay_alu instid0(VALU_DEP_1) | instskip(SKIP_1) | instid1(SALU_CYCLE_1)
	v_cmp_ne_u32_e32 vcc_lo, 0x7f800000, v3
                                        ; implicit-def: $vgpr3
	s_and_saveexec_b32 s4, vcc_lo
	s_xor_b32 s4, exec_lo, s4
; %bb.87:
	v_bfe_u32 v3, v67, 16, 1
	s_delay_alu instid0(VALU_DEP_1)
	v_add3_u32 v3, v67, v3, 0x7fff
; %bb.88:
	s_and_not1_saveexec_b32 s4, s4
; %bb.89:
	v_and_b32_e32 v3, 0xffff, v67
	v_or_b32_e32 v4, 0x10000, v67
	s_delay_alu instid0(VALU_DEP_2) | instskip(NEXT) | instid1(VALU_DEP_2)
	v_cmp_eq_u32_e32 vcc_lo, 0, v3
	v_cndmask_b32_e32 v3, v4, v67, vcc_lo
; %bb.90:
	s_or_b32 exec_lo, exec_lo, s4
	v_and_b32_e32 v4, 0x7f800000, v68
	s_delay_alu instid0(VALU_DEP_1) | instskip(SKIP_1) | instid1(SALU_CYCLE_1)
	v_cmp_ne_u32_e32 vcc_lo, 0x7f800000, v4
                                        ; implicit-def: $vgpr4
	s_and_saveexec_b32 s4, vcc_lo
	s_xor_b32 s4, exec_lo, s4
; %bb.91:
	v_bfe_u32 v4, v68, 16, 1
	s_delay_alu instid0(VALU_DEP_1)
	v_add3_u32 v4, v68, v4, 0x7fff
; %bb.92:
	s_and_not1_saveexec_b32 s4, s4
; %bb.93:
	v_and_b32_e32 v4, 0xffff, v68
	v_or_b32_e32 v5, 0x10000, v68
	s_delay_alu instid0(VALU_DEP_2) | instskip(NEXT) | instid1(VALU_DEP_2)
	v_cmp_eq_u32_e32 vcc_lo, 0, v4
	v_cndmask_b32_e32 v4, v5, v68, vcc_lo
; %bb.94:
	s_or_b32 exec_lo, exec_lo, s4
	v_and_b32_e32 v5, 0x7f800000, v69
	s_delay_alu instid0(VALU_DEP_1) | instskip(SKIP_1) | instid1(SALU_CYCLE_1)
	v_cmp_ne_u32_e32 vcc_lo, 0x7f800000, v5
                                        ; implicit-def: $vgpr5
	s_and_saveexec_b32 s4, vcc_lo
	s_xor_b32 s4, exec_lo, s4
; %bb.95:
	v_bfe_u32 v5, v69, 16, 1
	s_delay_alu instid0(VALU_DEP_1)
	v_add3_u32 v5, v69, v5, 0x7fff
; %bb.96:
	s_and_not1_saveexec_b32 s4, s4
; %bb.97:
	v_and_b32_e32 v5, 0xffff, v69
	v_or_b32_e32 v6, 0x10000, v69
	s_delay_alu instid0(VALU_DEP_2) | instskip(NEXT) | instid1(VALU_DEP_2)
	v_cmp_eq_u32_e32 vcc_lo, 0, v5
	v_cndmask_b32_e32 v5, v6, v69, vcc_lo
; %bb.98:
	s_or_b32 exec_lo, exec_lo, s4
	v_and_b32_e32 v6, 0x7f800000, v70
	s_delay_alu instid0(VALU_DEP_1) | instskip(SKIP_1) | instid1(SALU_CYCLE_1)
	v_cmp_ne_u32_e32 vcc_lo, 0x7f800000, v6
                                        ; implicit-def: $vgpr6
	s_and_saveexec_b32 s4, vcc_lo
	s_xor_b32 s4, exec_lo, s4
; %bb.99:
	v_bfe_u32 v6, v70, 16, 1
	s_delay_alu instid0(VALU_DEP_1)
	v_add3_u32 v6, v70, v6, 0x7fff
; %bb.100:
	s_and_not1_saveexec_b32 s4, s4
; %bb.101:
	v_and_b32_e32 v6, 0xffff, v70
	v_or_b32_e32 v7, 0x10000, v70
	s_delay_alu instid0(VALU_DEP_2) | instskip(NEXT) | instid1(VALU_DEP_2)
	v_cmp_eq_u32_e32 vcc_lo, 0, v6
	v_cndmask_b32_e32 v6, v7, v70, vcc_lo
; %bb.102:
	s_or_b32 exec_lo, exec_lo, s4
	v_and_b32_e32 v7, 0x7f800000, v71
	s_delay_alu instid0(VALU_DEP_1) | instskip(SKIP_1) | instid1(SALU_CYCLE_1)
	v_cmp_ne_u32_e32 vcc_lo, 0x7f800000, v7
                                        ; implicit-def: $vgpr7
	s_and_saveexec_b32 s4, vcc_lo
	s_xor_b32 s4, exec_lo, s4
; %bb.103:
	v_bfe_u32 v7, v71, 16, 1
	s_delay_alu instid0(VALU_DEP_1)
	v_add3_u32 v7, v71, v7, 0x7fff
; %bb.104:
	s_and_not1_saveexec_b32 s4, s4
; %bb.105:
	v_and_b32_e32 v7, 0xffff, v71
	v_or_b32_e32 v8, 0x10000, v71
	s_delay_alu instid0(VALU_DEP_2) | instskip(NEXT) | instid1(VALU_DEP_2)
	v_cmp_eq_u32_e32 vcc_lo, 0, v7
	v_cndmask_b32_e32 v7, v8, v71, vcc_lo
; %bb.106:
	s_or_b32 exec_lo, exec_lo, s4
	v_and_b32_e32 v8, 0x7f800000, v72
	s_delay_alu instid0(VALU_DEP_1) | instskip(SKIP_1) | instid1(SALU_CYCLE_1)
	v_cmp_ne_u32_e32 vcc_lo, 0x7f800000, v8
                                        ; implicit-def: $vgpr8
	s_and_saveexec_b32 s4, vcc_lo
	s_xor_b32 s4, exec_lo, s4
; %bb.107:
	v_bfe_u32 v8, v72, 16, 1
	s_delay_alu instid0(VALU_DEP_1)
	v_add3_u32 v8, v72, v8, 0x7fff
                                        ; implicit-def: $vgpr65_vgpr66_vgpr67_vgpr68_vgpr69_vgpr70_vgpr71_vgpr72
; %bb.108:
	s_and_not1_saveexec_b32 s4, s4
; %bb.109:
	v_and_b32_e32 v8, 0xffff, v72
	v_or_b32_e32 v9, 0x10000, v72
	s_delay_alu instid0(VALU_DEP_2) | instskip(NEXT) | instid1(VALU_DEP_2)
	v_cmp_eq_u32_e32 vcc_lo, 0, v8
	v_cndmask_b32_e32 v8, v9, v72, vcc_lo
; %bb.110:
	s_or_b32 exec_lo, exec_lo, s4
	s_delay_alu instid0(VALU_DEP_1)
	v_perm_b32 v7, v8, v7, 0x7060302
	v_perm_b32 v6, v6, v5, 0x7060302
	;; [unrolled: 1-line block ×4, first 2 shown]
	s_barrier
	buffer_gl0_inv
	v_cmp_eq_u32_e32 vcc_lo, 1, v78
	ds_store_b128 v76, v[4:7]
	s_waitcnt lgkmcnt(0)
	s_barrier
	buffer_gl0_inv
	ds_load_b128 v[1:4], v82
	ds_load_b128 v[5:8], v82 offset:16
	v_cmp_eq_u32_e64 s4, 1, v79
	v_cmp_eq_u32_e64 s5, 2, v78
	;; [unrolled: 1-line block ×5, first 2 shown]
	s_waitcnt lgkmcnt(1)
	v_lshrrev_b32_e32 v9, 16, v1
	s_waitcnt lgkmcnt(0)
	v_lshrrev_b32_e32 v13, 16, v5
	v_lshrrev_b32_e32 v10, 16, v2
	;; [unrolled: 1-line block ×4, first 2 shown]
	v_cndmask_b32_e64 v19, v1, v9, s4
	v_cndmask_b32_e32 v18, v5, v13, vcc_lo
	v_cndmask_b32_e64 v20, v5, v13, s4
	v_cndmask_b32_e32 v17, v1, v9, vcc_lo
	v_cmp_eq_u32_e32 vcc_lo, 2, v79
	v_lshrrev_b32_e32 v15, 16, v7
	v_cmp_eq_u32_e64 s4, 1, v77
	v_lshrrev_b32_e32 v12, 16, v4
	v_lshrrev_b32_e32 v16, 16, v8
	v_cndmask_b32_e32 v20, v20, v6, vcc_lo
	v_cndmask_b32_e64 v17, v17, v2, s5
	v_cndmask_b32_e32 v19, v19, v2, vcc_lo
	v_cndmask_b32_e64 v18, v18, v6, s5
	v_cmp_eq_u32_e32 vcc_lo, 4, v78
	v_cmp_eq_u32_e64 s5, 3, v79
	v_cndmask_b32_e64 v17, v17, v10, s6
	v_cndmask_b32_e64 v21, v1, v9, s4
	;; [unrolled: 1-line block ×5, first 2 shown]
	v_cndmask_b32_e32 v17, v17, v3, vcc_lo
	v_cndmask_b32_e64 v20, v20, v14, s5
	v_cndmask_b32_e32 v18, v18, v7, vcc_lo
	v_cmp_eq_u32_e32 vcc_lo, 4, v79
	v_cmp_eq_u32_e64 s5, 5, v79
	v_cmp_eq_u32_e64 s4, 2, v81
	v_cndmask_b32_e64 v21, v21, v2, s8
	v_cmp_eq_u32_e64 s6, 5, v78
	v_cndmask_b32_e32 v19, v19, v3, vcc_lo
	v_cndmask_b32_e32 v20, v20, v7, vcc_lo
	v_cmp_eq_u32_e32 vcc_lo, 6, v79
	s_delay_alu instid0(VALU_DEP_4) | instskip(NEXT) | instid1(VALU_DEP_4)
	v_cndmask_b32_e64 v17, v17, v11, s6
	v_cndmask_b32_e64 v19, v19, v11, s5
	s_delay_alu instid0(VALU_DEP_4) | instskip(SKIP_1) | instid1(VALU_DEP_3)
	v_cndmask_b32_e64 v20, v20, v15, s5
	v_cmp_eq_u32_e64 s5, 1, v81
	v_cndmask_b32_e32 v19, v19, v4, vcc_lo
	v_cndmask_b32_e64 v18, v18, v15, s6
	s_delay_alu instid0(VALU_DEP_3)
	v_cndmask_b32_e64 v1, v1, v9, s5
	v_cndmask_b32_e64 v5, v5, v13, s5
	v_cmp_eq_u32_e64 s5, 3, v77
	v_cndmask_b32_e64 v13, v22, v6, s8
	v_cmp_eq_u32_e64 s8, 3, v81
	v_cndmask_b32_e64 v1, v1, v2, s4
	v_cndmask_b32_e64 v2, v5, v6, s4
	;; [unrolled: 1-line block ×3, first 2 shown]
	v_cmp_eq_u32_e64 s4, 4, v77
	v_cndmask_b32_e64 v6, v13, v14, s5
	v_cndmask_b32_e64 v1, v1, v10, s8
	v_cmp_eq_u32_e64 s5, 4, v81
	v_cndmask_b32_e64 v2, v2, v14, s8
	v_cndmask_b32_e64 v5, v9, v3, s4
	;; [unrolled: 3-line block ×3, first 2 shown]
	v_cndmask_b32_e64 v2, v2, v7, s5
	v_cmp_eq_u32_e64 s4, 5, v81
	v_cmp_eq_u32_e64 s6, 6, v78
	v_cndmask_b32_e64 v5, v5, v11, s8
	v_cmp_eq_u32_e64 s5, 6, v77
	v_cndmask_b32_e64 v3, v6, v15, s8
	v_cndmask_b32_e64 v1, v1, v11, s4
	v_cmp_eq_u32_e64 s8, 6, v81
	v_cndmask_b32_e64 v2, v2, v15, s4
	v_cndmask_b32_e64 v17, v17, v4, s6
	v_cndmask_b32_e64 v18, v18, v8, s6
	v_cmp_eq_u32_e64 s6, 7, v78
	v_cndmask_b32_e64 v5, v5, v4, s5
	;; [unrolled: 4-line block ×3, first 2 shown]
	v_cmp_eq_u32_e64 s5, 7, v77
	v_cndmask_b32_e32 v4, v20, v8, vcc_lo
	v_cndmask_b32_e64 v17, v17, v12, s6
	v_cndmask_b32_e64 v19, v19, v12, s7
	;; [unrolled: 1-line block ×8, first 2 shown]
	v_cmp_gt_u32_e32 vcc_lo, 32, v0
	v_perm_b32 v4, v2, v1, 0x5040100
	v_perm_b32 v3, v3, v5, 0x5040100
	;; [unrolled: 1-line block ×4, first 2 shown]
	s_and_b32 s2, vcc_lo, s2
	ds_store_b128 v76, v[1:4]
	s_waitcnt lgkmcnt(0)
	s_barrier
	buffer_gl0_inv
	s_and_saveexec_b32 s4, s2
	s_cbranch_execz .LBB1700_2
; %bb.111:
	s_load_b64 s[4:5], s[0:1], 0x68
	v_lshlrev_b32_e32 v0, 10, v0
	v_add_nc_u32_e32 v2, s31, v74
	v_lshlrev_b32_e32 v3, 4, v75
	s_lshl_b32 s0, s36, 6
	s_delay_alu instid0(SALU_CYCLE_1) | instskip(NEXT) | instid1(VALU_DEP_2)
	s_mul_i32 s1, s0, s34
	v_mul_lo_u32 v1, v2, s0
	s_delay_alu instid0(VALU_DEP_2)
	v_and_or_b32 v0, 0x3800, v0, v3
	v_add_nc_u32_e32 v3, 2, v2
	s_mul_i32 s6, s1, s9
	v_add_nc_u32_e32 v4, 4, v2
	s_ashr_i32 s7, s6, 31
	v_lshl_or_b32 v11, v74, 6, v0
	s_lshl_b64 s[6:7], s[6:7], 1
	v_mul_lo_u32 v15, v3, s0
	v_mul_lo_u32 v17, v4, s0
	v_ashrrev_i32_e32 v2, 31, v1
	ds_load_b128 v[3:6], v11
	ds_load_b128 v[7:10], v11 offset:128
	ds_load_b128 v[11:14], v11 offset:256
	s_waitcnt lgkmcnt(0)
	s_add_u32 s1, s4, s6
	s_addc_u32 s2, s5, s7
	s_lshl_b32 s4, s14, 6
	v_ashrrev_i32_e32 v16, 31, v15
	s_ashr_i32 s5, s4, 31
	v_lshlrev_b64 v[19:20], 1, v[1:2]
	s_lshl_b64 s[4:5], s[4:5], 1
	v_ashrrev_i32_e32 v18, 31, v17
	s_add_u32 s1, s1, s4
	s_addc_u32 s2, s2, s5
	v_add_co_u32 v1, s1, s1, v73
	s_delay_alu instid0(VALU_DEP_1) | instskip(SKIP_1) | instid1(VALU_DEP_3)
	v_add_co_ci_u32_e64 v2, null, s2, 0, s1
	v_lshlrev_b64 v[15:16], 1, v[15:16]
	v_add_co_u32 v19, vcc_lo, v1, v19
	v_lshlrev_b64 v[17:18], 1, v[17:18]
	s_delay_alu instid0(VALU_DEP_4) | instskip(NEXT) | instid1(VALU_DEP_4)
	v_add_co_ci_u32_e32 v20, vcc_lo, v2, v20, vcc_lo
	v_add_co_u32 v15, vcc_lo, v1, v15
	v_add_co_ci_u32_e32 v16, vcc_lo, v2, v16, vcc_lo
	s_delay_alu instid0(VALU_DEP_4)
	v_add_co_u32 v17, vcc_lo, v1, v17
	v_add_co_ci_u32_e32 v18, vcc_lo, v2, v18, vcc_lo
	s_clause 0x2
	global_store_b128 v[19:20], v[3:6], off
	global_store_b128 v[15:16], v[7:10], off
	;; [unrolled: 1-line block ×3, first 2 shown]
	s_and_b32 exec_lo, exec_lo, s3
	s_cbranch_execz .LBB1700_2
; %bb.112:
	ds_load_b128 v[3:6], v0 offset:384
	s_add_i32 s1, s31, 6
	s_delay_alu instid0(SALU_CYCLE_1) | instskip(NEXT) | instid1(SALU_CYCLE_1)
	s_mul_i32 s0, s1, s0
	s_ashr_i32 s1, s0, 31
	s_delay_alu instid0(SALU_CYCLE_1) | instskip(NEXT) | instid1(SALU_CYCLE_1)
	s_lshl_b64 s[0:1], s[0:1], 1
	v_add_co_u32 v0, vcc_lo, v1, s0
	v_add_co_ci_u32_e32 v1, vcc_lo, s1, v2, vcc_lo
	s_waitcnt lgkmcnt(0)
	global_store_b128 v[0:1], v[3:6], off
	s_nop 0
	s_sendmsg sendmsg(MSG_DEALLOC_VGPRS)
	s_endpgm
	.section	.rodata,"a",@progbits
	.p2align	6, 0x0
	.amdhsa_kernel _Z39paged_attention_ll4mi_QKV_mfma16_kernelI14__hip_bfloat16hLN4vllm18Fp8KVCacheDataTypeE1ES0_Li16ELi64ELi256ELb1ELi7EL8MFMAType0EEvPKT_PKT0_S9_ifPKiSB_SB_iPKfiiiPfSE_PS4_PT2_iSD_SD_
		.amdhsa_group_segment_fixed_size 17472
		.amdhsa_private_segment_fixed_size 0
		.amdhsa_kernarg_size 400
		.amdhsa_user_sgpr_count 13
		.amdhsa_user_sgpr_dispatch_ptr 0
		.amdhsa_user_sgpr_queue_ptr 0
		.amdhsa_user_sgpr_kernarg_segment_ptr 1
		.amdhsa_user_sgpr_dispatch_id 0
		.amdhsa_user_sgpr_private_segment_size 0
		.amdhsa_wavefront_size32 1
		.amdhsa_uses_dynamic_stack 0
		.amdhsa_enable_private_segment 0
		.amdhsa_system_sgpr_workgroup_id_x 1
		.amdhsa_system_sgpr_workgroup_id_y 1
		.amdhsa_system_sgpr_workgroup_id_z 1
		.amdhsa_system_sgpr_workgroup_info 0
		.amdhsa_system_vgpr_workitem_id 0
		.amdhsa_next_free_vgpr 124
		.amdhsa_next_free_sgpr 40
		.amdhsa_reserve_vcc 1
		.amdhsa_float_round_mode_32 0
		.amdhsa_float_round_mode_16_64 0
		.amdhsa_float_denorm_mode_32 3
		.amdhsa_float_denorm_mode_16_64 3
		.amdhsa_dx10_clamp 1
		.amdhsa_ieee_mode 1
		.amdhsa_fp16_overflow 0
		.amdhsa_workgroup_processor_mode 1
		.amdhsa_memory_ordered 1
		.amdhsa_forward_progress 0
		.amdhsa_shared_vgpr_count 0
		.amdhsa_exception_fp_ieee_invalid_op 0
		.amdhsa_exception_fp_denorm_src 0
		.amdhsa_exception_fp_ieee_div_zero 0
		.amdhsa_exception_fp_ieee_overflow 0
		.amdhsa_exception_fp_ieee_underflow 0
		.amdhsa_exception_fp_ieee_inexact 0
		.amdhsa_exception_int_div_zero 0
	.end_amdhsa_kernel
	.section	.text._Z39paged_attention_ll4mi_QKV_mfma16_kernelI14__hip_bfloat16hLN4vllm18Fp8KVCacheDataTypeE1ES0_Li16ELi64ELi256ELb1ELi7EL8MFMAType0EEvPKT_PKT0_S9_ifPKiSB_SB_iPKfiiiPfSE_PS4_PT2_iSD_SD_,"axG",@progbits,_Z39paged_attention_ll4mi_QKV_mfma16_kernelI14__hip_bfloat16hLN4vllm18Fp8KVCacheDataTypeE1ES0_Li16ELi64ELi256ELb1ELi7EL8MFMAType0EEvPKT_PKT0_S9_ifPKiSB_SB_iPKfiiiPfSE_PS4_PT2_iSD_SD_,comdat
.Lfunc_end1700:
	.size	_Z39paged_attention_ll4mi_QKV_mfma16_kernelI14__hip_bfloat16hLN4vllm18Fp8KVCacheDataTypeE1ES0_Li16ELi64ELi256ELb1ELi7EL8MFMAType0EEvPKT_PKT0_S9_ifPKiSB_SB_iPKfiiiPfSE_PS4_PT2_iSD_SD_, .Lfunc_end1700-_Z39paged_attention_ll4mi_QKV_mfma16_kernelI14__hip_bfloat16hLN4vllm18Fp8KVCacheDataTypeE1ES0_Li16ELi64ELi256ELb1ELi7EL8MFMAType0EEvPKT_PKT0_S9_ifPKiSB_SB_iPKfiiiPfSE_PS4_PT2_iSD_SD_
                                        ; -- End function
	.section	.AMDGPU.csdata,"",@progbits
; Kernel info:
; codeLenInByte = 8804
; NumSgprs: 42
; NumVgprs: 124
; ScratchSize: 0
; MemoryBound: 0
; FloatMode: 240
; IeeeMode: 1
; LDSByteSize: 17472 bytes/workgroup (compile time only)
; SGPRBlocks: 5
; VGPRBlocks: 15
; NumSGPRsForWavesPerEU: 42
; NumVGPRsForWavesPerEU: 124
; Occupancy: 10
; WaveLimiterHint : 1
; COMPUTE_PGM_RSRC2:SCRATCH_EN: 0
; COMPUTE_PGM_RSRC2:USER_SGPR: 13
; COMPUTE_PGM_RSRC2:TRAP_HANDLER: 0
; COMPUTE_PGM_RSRC2:TGID_X_EN: 1
; COMPUTE_PGM_RSRC2:TGID_Y_EN: 1
; COMPUTE_PGM_RSRC2:TGID_Z_EN: 1
; COMPUTE_PGM_RSRC2:TIDIG_COMP_CNT: 0
	.section	.text._Z39paged_attention_ll4mi_QKV_mfma16_kernelI14__hip_bfloat16hLN4vllm18Fp8KVCacheDataTypeE1ES0_Li16ELi64ELi256ELb1ELi8EL8MFMAType0EEvPKT_PKT0_S9_ifPKiSB_SB_iPKfiiiPfSE_PS4_PT2_iSD_SD_,"axG",@progbits,_Z39paged_attention_ll4mi_QKV_mfma16_kernelI14__hip_bfloat16hLN4vllm18Fp8KVCacheDataTypeE1ES0_Li16ELi64ELi256ELb1ELi8EL8MFMAType0EEvPKT_PKT0_S9_ifPKiSB_SB_iPKfiiiPfSE_PS4_PT2_iSD_SD_,comdat
	.protected	_Z39paged_attention_ll4mi_QKV_mfma16_kernelI14__hip_bfloat16hLN4vllm18Fp8KVCacheDataTypeE1ES0_Li16ELi64ELi256ELb1ELi8EL8MFMAType0EEvPKT_PKT0_S9_ifPKiSB_SB_iPKfiiiPfSE_PS4_PT2_iSD_SD_ ; -- Begin function _Z39paged_attention_ll4mi_QKV_mfma16_kernelI14__hip_bfloat16hLN4vllm18Fp8KVCacheDataTypeE1ES0_Li16ELi64ELi256ELb1ELi8EL8MFMAType0EEvPKT_PKT0_S9_ifPKiSB_SB_iPKfiiiPfSE_PS4_PT2_iSD_SD_
	.globl	_Z39paged_attention_ll4mi_QKV_mfma16_kernelI14__hip_bfloat16hLN4vllm18Fp8KVCacheDataTypeE1ES0_Li16ELi64ELi256ELb1ELi8EL8MFMAType0EEvPKT_PKT0_S9_ifPKiSB_SB_iPKfiiiPfSE_PS4_PT2_iSD_SD_
	.p2align	8
	.type	_Z39paged_attention_ll4mi_QKV_mfma16_kernelI14__hip_bfloat16hLN4vllm18Fp8KVCacheDataTypeE1ES0_Li16ELi64ELi256ELb1ELi8EL8MFMAType0EEvPKT_PKT0_S9_ifPKiSB_SB_iPKfiiiPfSE_PS4_PT2_iSD_SD_,@function
_Z39paged_attention_ll4mi_QKV_mfma16_kernelI14__hip_bfloat16hLN4vllm18Fp8KVCacheDataTypeE1ES0_Li16ELi64ELi256ELb1ELi8EL8MFMAType0EEvPKT_PKT0_S9_ifPKiSB_SB_iPKfiiiPfSE_PS4_PT2_iSD_SD_: ; @_Z39paged_attention_ll4mi_QKV_mfma16_kernelI14__hip_bfloat16hLN4vllm18Fp8KVCacheDataTypeE1ES0_Li16ELi64ELi256ELb1ELi8EL8MFMAType0EEvPKT_PKT0_S9_ifPKiSB_SB_iPKfiiiPfSE_PS4_PT2_iSD_SD_
; %bb.0:
	s_load_b64 s[2:3], s[0:1], 0x30
	s_mov_b32 s30, s13
	s_waitcnt lgkmcnt(0)
	s_cmp_lg_u64 s[2:3], 0
	s_cselect_b32 s8, -1, 0
	s_ashr_i32 s31, s13, 31
	s_cmp_eq_u64 s[2:3], 0
	s_cbranch_scc1 .LBB1701_3
; %bb.1:
	s_lshl_b64 s[4:5], s[30:31], 2
	s_delay_alu instid0(SALU_CYCLE_1) | instskip(SKIP_4) | instid1(SALU_CYCLE_1)
	s_add_u32 s4, s2, s4
	s_addc_u32 s5, s3, s5
	s_load_b64 s[4:5], s[4:5], 0x0
	s_waitcnt lgkmcnt(0)
	s_sub_i32 s4, s5, s4
	s_cmp_eq_u32 s4, 1
	s_cselect_b32 s4, -1, 0
	s_delay_alu instid0(SALU_CYCLE_1)
	s_and_not1_b32 vcc_lo, exec_lo, s4
	s_cbranch_vccz .LBB1701_4
.LBB1701_2:
	s_endpgm
.LBB1701_3:
.LBB1701_4:
	s_load_b64 s[4:5], s[0:1], 0x28
	s_lshl_b64 s[6:7], s[30:31], 2
	s_waitcnt lgkmcnt(0)
	s_add_u32 s4, s4, s6
	s_addc_u32 s5, s5, s7
	s_lshl_b32 s12, s14, 8
	s_load_b32 s24, s[4:5], 0x0
	s_waitcnt lgkmcnt(0)
	s_cmp_ge_i32 s12, s24
	s_cbranch_scc1 .LBB1701_2
; %bb.5:
	s_clause 0x1
	s_load_b128 s[20:23], s[0:1], 0x8
	s_load_b64 s[4:5], s[0:1], 0x20
	s_and_not1_b32 vcc_lo, exec_lo, s8
	s_cbranch_vccnz .LBB1701_7
; %bb.6:
	s_add_u32 s2, s2, s6
	s_addc_u32 s3, s3, s7
	s_load_b32 s3, s[2:3], 0x0
	s_branch .LBB1701_8
.LBB1701_7:
	s_mov_b32 s3, s30
.LBB1701_8:
	s_load_b128 s[16:19], s[0:1], 0x48
	v_and_b32_e32 v66, 15, v0
	v_cmp_gt_u32_e32 vcc_lo, 0x80, v0
	v_lshrrev_b32_e32 v65, 5, v0
	v_and_b32_e32 v67, 31, v0
	v_and_b32_e32 v74, 1, v0
	v_lshlrev_b32_e32 v1, 3, v66
	v_cmp_gt_u32_e64 s2, 8, v66
	v_bfe_u32 v75, v0, 4, 1
	s_lshl_b32 s31, s15, 3
	s_delay_alu instid0(VALU_DEP_3) | instskip(NEXT) | instid1(VALU_DEP_3)
	v_lshlrev_b32_e32 v73, 1, v1
	s_and_b32 s7, vcc_lo, s2
	s_delay_alu instid0(SALU_CYCLE_1)
	s_and_saveexec_b32 s6, s7
	s_cbranch_execz .LBB1701_10
; %bb.9:
	v_lshl_or_b32 v5, v65, 1, v75
	s_load_b64 s[8:9], s[0:1], 0x0
	s_waitcnt lgkmcnt(0)
	s_mul_hi_i32 s11, s3, s16
	s_mul_i32 s10, s3, s16
	v_lshlrev_b32_e32 v6, 10, v66
	v_or_b32_e32 v1, s31, v5
	s_lshl_b64 s[10:11], s[10:11], 1
	v_lshlrev_b32_e32 v5, 6, v5
	v_lshlrev_b32_e32 v7, 10, v74
	v_and_b32_e32 v6, 0x3800, v6
	v_lshlrev_b32_e32 v1, 6, v1
	s_delay_alu instid0(VALU_DEP_2) | instskip(NEXT) | instid1(VALU_DEP_2)
	v_or3_b32 v5, v6, v7, v5
	v_ashrrev_i32_e32 v2, 31, v1
	s_delay_alu instid0(VALU_DEP_1) | instskip(SKIP_2) | instid1(VALU_DEP_1)
	v_lshlrev_b64 v[1:2], 1, v[1:2]
	s_add_u32 s3, s8, s10
	s_addc_u32 s7, s9, s11
	v_add_co_u32 v1, vcc_lo, s3, v1
	s_delay_alu instid0(VALU_DEP_2) | instskip(NEXT) | instid1(VALU_DEP_2)
	v_add_co_ci_u32_e32 v2, vcc_lo, s7, v2, vcc_lo
	v_add_co_u32 v1, vcc_lo, v1, v73
	s_delay_alu instid0(VALU_DEP_2)
	v_add_co_ci_u32_e32 v2, vcc_lo, 0, v2, vcc_lo
	global_load_b128 v[1:4], v[1:2], off
	s_waitcnt vmcnt(0)
	ds_store_b128 v5, v[1:4]
.LBB1701_10:
	s_or_b32 exec_lo, exec_lo, s6
	v_and_b32_e32 v1, 0xef, v0
	s_waitcnt lgkmcnt(0)
	s_add_i32 s3, s24, 15
	s_clause 0x1
	s_load_b32 s6, s[0:1], 0x38
	s_load_b32 s19, s[0:1], 0x1c
	s_ashr_i32 s7, s3, 31
	v_add_nc_u32_e32 v1, s12, v1
	s_lshr_b32 s7, s7, 28
	s_waitcnt lgkmcnt(0)
	s_add_i32 s3, s3, s7
	s_barrier
	v_ashrrev_i32_e32 v2, 31, v1
	v_or_b32_e32 v3, 16, v1
	s_ashr_i32 s3, s3, 4
	v_cmp_gt_i32_e32 vcc_lo, s24, v1
	s_add_i32 s3, s3, -1
	v_lshrrev_b32_e32 v2, 28, v2
	buffer_gl0_inv
	s_mul_i32 s27, s15, s18
	v_add_nc_u32_e32 v4, v1, v2
	s_mul_i32 s6, s30, s6
	s_delay_alu instid0(SALU_CYCLE_1) | instskip(NEXT) | instid1(VALU_DEP_1)
	s_ashr_i32 s7, s6, 31
	v_ashrrev_i32_e32 v4, 4, v4
	v_add_nc_u32_e32 v2, v3, v2
	s_lshl_b64 s[6:7], s[6:7], 2
	s_delay_alu instid0(SALU_CYCLE_1) | instskip(NEXT) | instid1(VALU_DEP_2)
	s_add_u32 s26, s4, s6
	v_cndmask_b32_e32 v1, s3, v4, vcc_lo
	s_delay_alu instid0(VALU_DEP_2)
	v_ashrrev_i32_e32 v2, 4, v2
	v_cmp_gt_i32_e32 vcc_lo, s24, v3
	s_addc_u32 s25, s5, s7
	s_ashr_i32 s28, s27, 31
	s_add_u32 s13, s20, s27
	s_addc_u32 s15, s21, s28
	v_cndmask_b32_e32 v3, s3, v2, vcc_lo
	v_ashrrev_i32_e32 v2, 31, v1
	s_lshl_b32 s4, s14, 4
	s_delay_alu instid0(SALU_CYCLE_1) | instskip(NEXT) | instid1(VALU_DEP_2)
	s_ashr_i32 s5, s4, 31
	v_ashrrev_i32_e32 v4, 31, v3
	s_delay_alu instid0(VALU_DEP_2) | instskip(SKIP_1) | instid1(SALU_CYCLE_1)
	v_lshlrev_b64 v[1:2], 2, v[1:2]
	s_lshl_b64 s[4:5], s[4:5], 2
	s_add_u32 s4, s26, s4
	s_delay_alu instid0(VALU_DEP_2) | instskip(SKIP_1) | instid1(VALU_DEP_2)
	v_lshlrev_b64 v[3:4], 2, v[3:4]
	s_addc_u32 s5, s25, s5
	v_add_co_u32 v1, vcc_lo, s26, v1
	v_add_co_ci_u32_e32 v2, vcc_lo, s25, v2, vcc_lo
	s_delay_alu instid0(VALU_DEP_3) | instskip(NEXT) | instid1(VALU_DEP_4)
	v_add_co_u32 v3, vcc_lo, s26, v3
	v_add_co_ci_u32_e32 v4, vcc_lo, s25, v4, vcc_lo
	s_clause 0x1
	global_load_b32 v5, v[1:2], off
	global_load_b32 v7, v[3:4], off
	s_or_b32 s6, s12, 32
	v_lshlrev_b32_e32 v1, 4, v0
	s_ashr_i32 s7, s6, 4
	s_cmp_lt_i32 s6, s24
	s_cselect_b32 s6, s7, s3
	s_delay_alu instid0(VALU_DEP_1) | instskip(SKIP_1) | instid1(SALU_CYCLE_1)
	v_and_b32_e32 v1, 0xf0, v1
	s_ashr_i32 s7, s6, 31
	s_lshl_b64 s[6:7], s[6:7], 2
	s_delay_alu instid0(SALU_CYCLE_1)
	s_add_u32 s6, s26, s6
	s_addc_u32 s7, s25, s7
	s_or_b32 s8, s12, 64
	v_add_co_u32 v1, s13, s13, v1
	s_ashr_i32 s9, s8, 4
	s_cmp_lt_i32 s8, s24
	v_add_co_ci_u32_e64 v2, null, s15, 0, s13
	s_cselect_b32 s8, s9, s3
	s_delay_alu instid0(SALU_CYCLE_1) | instskip(NEXT) | instid1(SALU_CYCLE_1)
	s_ashr_i32 s9, s8, 31
	s_lshl_b64 s[8:9], s[8:9], 2
	s_delay_alu instid0(SALU_CYCLE_1) | instskip(SKIP_2) | instid1(SALU_CYCLE_1)
	s_add_u32 s8, s26, s8
	s_addc_u32 s9, s25, s9
	s_or_b32 s10, s12, 0x60
	s_ashr_i32 s11, s10, 4
	s_cmp_lt_i32 s10, s24
	s_cselect_b32 s10, s11, s3
	s_delay_alu instid0(SALU_CYCLE_1) | instskip(NEXT) | instid1(SALU_CYCLE_1)
	s_ashr_i32 s11, s10, 31
	s_lshl_b64 s[10:11], s[10:11], 2
	s_delay_alu instid0(SALU_CYCLE_1) | instskip(SKIP_2) | instid1(SALU_CYCLE_1)
	s_add_u32 s10, s26, s10
	s_addc_u32 s11, s25, s11
	s_or_b32 s16, s12, 0x80
	s_ashr_i32 s18, s16, 4
	s_cmp_lt_i32 s16, s24
	;; [unrolled: 10-line block ×3, first 2 shown]
	s_cselect_b32 s20, s18, s3
	s_delay_alu instid0(SALU_CYCLE_1) | instskip(NEXT) | instid1(SALU_CYCLE_1)
	s_ashr_i32 s21, s20, 31
	s_lshl_b64 s[20:21], s[20:21], 2
	s_delay_alu instid0(SALU_CYCLE_1)
	s_add_u32 s36, s26, s20
	s_addc_u32 s37, s25, s21
	s_clause 0x5
	s_load_b32 s21, s[4:5], 0x0
	s_load_b32 s13, s[6:7], 0x0
	;; [unrolled: 1-line block ×6, first 2 shown]
	s_or_b32 s7, s12, 0xc0
	s_mov_b32 s4, 0
	s_ashr_i32 s8, s7, 4
	s_cmp_lt_i32 s7, s24
	s_mov_b32 s5, s4
	s_cselect_b32 s10, s8, s3
	s_mov_b32 s6, s4
	s_ashr_i32 s11, s10, 31
	s_mov_b32 s7, s4
	s_lshl_b64 s[34:35], s[10:11], 2
	s_mov_b32 s11, s4
	s_add_u32 s34, s26, s34
	s_addc_u32 s35, s25, s35
	s_or_b32 s29, s12, 0xe0
	s_mov_b32 s8, s4
	s_ashr_i32 s33, s29, 4
	s_mov_b32 s9, s4
	s_mov_b32 s10, s4
	s_cmp_lt_i32 s29, s24
	v_dual_mov_b32 v107, s11 :: v_dual_mov_b32 v100, s4
	v_mov_b32_e32 v106, s10
	v_dual_mov_b32 v104, s8 :: v_dual_mov_b32 v103, s7
	v_dual_mov_b32 v102, s6 :: v_dual_mov_b32 v101, s5
	v_mov_b32_e32 v105, s9
	s_cselect_b32 s4, s33, s3
	s_delay_alu instid0(SALU_CYCLE_1) | instskip(NEXT) | instid1(SALU_CYCLE_1)
	s_ashr_i32 s5, s4, 31
	s_lshl_b64 s[4:5], s[4:5], 2
	s_delay_alu instid0(SALU_CYCLE_1)
	s_add_u32 s4, s26, s4
	s_addc_u32 s5, s25, s5
	s_add_u32 s6, s22, s27
	s_addc_u32 s7, s23, s28
	s_waitcnt vmcnt(1)
	v_mad_i64_i32 v[3:4], null, v5, s17, v[1:2]
	s_waitcnt vmcnt(0)
	v_mad_i64_i32 v[5:6], null, v7, s17, v[1:2]
	s_clause 0x7
	global_load_b128 v[49:52], v[3:4], off
	global_load_b128 v[53:56], v[3:4], off offset:256
	global_load_b128 v[76:79], v[5:6], off
	global_load_b128 v[80:83], v[5:6], off offset:256
	global_load_b128 v[84:87], v[3:4], off offset:512
	;; [unrolled: 1-line block ×5, first 2 shown]
	v_and_b32_e32 v1, 7, v0
	v_lshlrev_b32_e32 v2, 4, v66
	s_load_b32 s3, s[34:35], 0x0
	s_delay_alu instid0(VALU_DEP_2) | instskip(NEXT) | instid1(VALU_DEP_2)
	v_lshlrev_b32_e32 v70, 6, v1
	v_lshl_or_b32 v1, v65, 8, v2
	ds_load_b128 v[108:111], v70
	ds_load_b128 v[112:115], v70 offset:1024
	s_load_b32 s4, s[4:5], 0x0
	v_add_co_u32 v9, s6, s6, v1
	s_delay_alu instid0(VALU_DEP_1) | instskip(SKIP_1) | instid1(VALU_DEP_1)
	v_add_co_ci_u32_e64 v10, null, s7, 0, s6
	s_waitcnt lgkmcnt(0)
	v_mad_i64_i32 v[1:2], null, s21, s17, v[9:10]
	v_mad_i64_i32 v[3:4], null, s13, s17, v[9:10]
	;; [unrolled: 1-line block ×7, first 2 shown]
	s_clause 0x9
	global_load_b128 v[57:60], v[1:2], off
	global_load_b128 v[61:64], v[1:2], off offset:16
	global_load_b128 v[41:44], v[3:4], off
	global_load_b128 v[45:48], v[3:4], off offset:16
	global_load_b128 v[33:36], v[5:6], off
	global_load_b128 v[37:40], v[5:6], off offset:16
	global_load_b128 v[25:28], v[7:8], off
	global_load_b128 v[29:32], v[7:8], off offset:16
	global_load_b128 v[1:4], v[11:12], off
	global_load_b128 v[5:8], v[11:12], off offset:16
	v_mad_i64_i32 v[68:69], null, s4, s17, v[9:10]
	s_clause 0x3
	global_load_b128 v[9:12], v[13:14], off
	global_load_b128 v[13:16], v[13:14], off offset:16
	global_load_b128 v[17:20], v[21:22], off
	global_load_b128 v[21:24], v[21:22], off offset:16
	s_waitcnt vmcnt(20)
	v_wmma_f32_16x16x16_bf16 v[116:123], v[49:56], v[108:115], v[100:107]
	s_clause 0x1
	global_load_b128 v[49:52], v[68:69], off
	global_load_b128 v[53:56], v[68:69], off offset:16
	v_and_b32_e32 v68, 0xe0, v0
	v_mbcnt_lo_u32_b32 v69, -1, 0
	s_delay_alu instid0(VALU_DEP_2)
	v_add_nc_u32_e32 v68, s12, v68
	s_waitcnt vmcnt(20)
	v_wmma_f32_16x16x16_bf16 v[100:107], v[76:83], v[108:115], v[100:107]
	ds_load_b128 v[76:79], v70 offset:2048
	ds_load_b128 v[80:83], v70 offset:3072
	v_xor_b32_e32 v70, 16, v69
	s_waitcnt vmcnt(0) lgkmcnt(0)
	v_or_b32_e32 v68, v68, v75
	s_barrier
	buffer_gl0_inv
	v_cmp_gt_i32_e32 vcc_lo, 32, v70
	v_or_b32_e32 v71, 4, v68
	v_or_b32_e32 v72, 6, v68
	v_cmp_gt_i32_e64 s3, s24, v68
	v_or_b32_e32 v108, 8, v68
	v_or_b32_e32 v109, 10, v68
	v_cmp_gt_i32_e64 s4, s24, v71
	v_cmp_gt_i32_e64 s5, s24, v72
	s_delay_alu instid0(VALU_DEP_4) | instskip(NEXT) | instid1(VALU_DEP_4)
	v_cmp_gt_i32_e64 s6, s24, v108
	v_cmp_gt_i32_e64 s7, s24, v109
	v_wmma_f32_16x16x16_bf16 v[116:123], v[84:91], v[76:83], v[116:123]
	v_cndmask_b32_e32 v69, v69, v70, vcc_lo
	v_or_b32_e32 v70, 2, v68
	v_wmma_f32_16x16x16_bf16 v[100:107], v[92:99], v[76:83], v[100:107]
	v_or_b32_e32 v89, 22, v68
	v_dual_mul_f32 v80, s19, v121 :: v_dual_mul_f32 v81, s19, v120
	v_dual_mul_f32 v92, s19, v117 :: v_dual_mul_f32 v93, s19, v116
	s_delay_alu instid0(VALU_DEP_4)
	v_mul_f32_e32 v96, s19, v105
	v_cmp_gt_i32_e32 vcc_lo, s24, v70
	v_dual_mul_f32 v79, s19, v122 :: v_dual_mul_f32 v82, s19, v119
	v_dual_mul_f32 v83, s19, v118 :: v_dual_mul_f32 v94, s19, v107
	v_cndmask_b32_e64 v93, 0xff7fffff, v93, s3
	v_cndmask_b32_e32 v92, 0xff7fffff, v92, vcc_lo
	v_or_b32_e32 v84, 12, v68
	v_or_b32_e32 v85, 14, v68
	v_cndmask_b32_e64 v71, 0xff7fffff, v83, s4
	v_cndmask_b32_e64 v72, 0xff7fffff, v82, s5
	v_cmp_gt_i32_e64 s13, s24, v89
	v_lshlrev_b32_e32 v89, 2, v69
	v_max3_f32 v82, v93, 0xff7fffff, v92
	v_or_b32_e32 v86, 16, v68
	v_or_b32_e32 v87, 18, v68
	v_mul_f32_e32 v78, s19, v123
	v_cndmask_b32_e64 v81, 0xff7fffff, v81, s6
	v_cndmask_b32_e64 v80, 0xff7fffff, v80, s7
	v_max3_f32 v71, v82, v71, v72
	v_cmp_gt_i32_e64 s8, s24, v84
	v_cmp_gt_i32_e64 s9, s24, v85
	v_or_b32_e32 v88, 20, v68
	v_or_b32_e32 v90, 24, v68
	v_or_b32_e32 v91, 26, v68
	v_or_b32_e32 v76, 28, v68
	v_or_b32_e32 v77, 30, v68
	v_dual_mul_f32 v97, s19, v104 :: v_dual_mul_f32 v70, s19, v101
	v_dual_mul_f32 v99, s19, v102 :: v_dual_mul_f32 v68, s19, v100
	v_cndmask_b32_e64 v72, 0xff7fffff, v79, s8
	v_cndmask_b32_e64 v78, 0xff7fffff, v78, s9
	v_max3_f32 v71, v71, v81, v80
	v_cmp_gt_i32_e64 s10, s24, v86
	v_cmp_gt_i32_e64 s11, s24, v87
	v_dual_mul_f32 v95, s19, v106 :: v_dual_mul_f32 v98, s19, v103
	s_delay_alu instid0(VALU_DEP_4) | instskip(NEXT) | instid1(VALU_DEP_4)
	v_max3_f32 v71, v71, v72, v78
	v_cndmask_b32_e64 v68, 0xff7fffff, v68, s10
	s_delay_alu instid0(VALU_DEP_4)
	v_cndmask_b32_e64 v70, 0xff7fffff, v70, s11
	v_cmp_gt_i32_e64 s12, s24, v88
	v_cndmask_b32_e64 v78, 0xff7fffff, v98, s13
	v_cmp_gt_i32_e64 s15, s24, v90
	v_cmp_gt_i32_e64 s16, s24, v91
	v_max3_f32 v68, v71, v68, v70
	v_cndmask_b32_e64 v72, 0xff7fffff, v99, s12
	v_cmp_gt_i32_e64 s17, s24, v76
	v_cndmask_b32_e64 v70, 0xff7fffff, v97, s15
	v_cndmask_b32_e64 v71, 0xff7fffff, v96, s16
	v_cmp_gt_i32_e64 s18, s24, v77
	v_max3_f32 v68, v68, v72, v78
	v_cndmask_b32_e64 v72, 0xff7fffff, v95, s17
	s_delay_alu instid0(VALU_DEP_3) | instskip(NEXT) | instid1(VALU_DEP_3)
	v_cndmask_b32_e64 v76, 0xff7fffff, v94, s18
	v_max3_f32 v68, v68, v70, v71
	s_delay_alu instid0(VALU_DEP_1) | instskip(SKIP_3) | instid1(VALU_DEP_1)
	v_max3_f32 v68, v68, v72, v76
	ds_bpermute_b32 v69, v89, v68
	s_waitcnt lgkmcnt(0)
	v_max_f32_e32 v69, v69, v69
	v_max_f32_e32 v68, v68, v69
	s_delay_alu instid0(VALU_DEP_1) | instskip(NEXT) | instid1(VALU_DEP_1)
	v_fma_f32 v71, s19, v118, -v68
	v_mul_f32_e32 v71, 0x3fb8aa3b, v71
	v_fma_f32 v70, s19, v117, -v68
	v_fma_f32 v69, s19, v116, -v68
	v_fma_f32 v76, s19, v120, -v68
	v_fma_f32 v72, s19, v119, -v68
	v_fma_f32 v78, s19, v122, -v68
	s_delay_alu instid0(VALU_DEP_4) | instskip(SKIP_1) | instid1(VALU_DEP_3)
	v_dual_mul_f32 v70, 0x3fb8aa3b, v70 :: v_dual_mul_f32 v69, 0x3fb8aa3b, v69
	v_exp_f32_e32 v71, v71
	v_mul_f32_e32 v72, 0x3fb8aa3b, v72
	v_fma_f32 v81, s19, v105, -v68
	s_delay_alu instid0(VALU_DEP_3)
	v_exp_f32_e32 v70, v70
	v_mul_f32_e32 v77, 0x3fb8aa3b, v76
	v_exp_f32_e32 v69, v69
	v_exp_f32_e32 v72, v72
	v_mul_f32_e32 v81, 0x3fb8aa3b, v81
	v_cndmask_b32_e64 v83, 0, v71, s4
	v_fma_f32 v71, s19, v123, -v68
	s_delay_alu instid0(VALU_DEP_3) | instskip(SKIP_4) | instid1(TRANS32_DEP_3)
	v_exp_f32_e32 v81, v81
	v_cndmask_b32_e32 v76, 0, v70, vcc_lo
	v_exp_f32_e32 v77, v77
	v_cndmask_b32_e64 v80, 0, v69, s3
	v_fma_f32 v69, s19, v121, -v68
	v_cndmask_b32_e64 v85, 0, v72, s5
	v_mul_f32_e32 v71, 0x3fb8aa3b, v71
	v_fma_f32 v72, s19, v100, -v68
	s_delay_alu instid0(VALU_DEP_4) | instskip(SKIP_1) | instid1(VALU_DEP_3)
	v_dual_add_f32 v70, 0, v80 :: v_dual_mul_f32 v69, 0x3fb8aa3b, v69
	s_mov_b32 s3, exec_lo
	v_exp_f32_e32 v71, v71
	s_delay_alu instid0(TRANS32_DEP_2) | instskip(SKIP_4) | instid1(VALU_DEP_3)
	v_cndmask_b32_e64 v86, 0, v77, s6
	v_fma_f32 v77, s19, v101, -v68
	v_mul_f32_e32 v78, 0x3fb8aa3b, v78
	v_add_f32_e32 v70, v70, v76
	v_exp_f32_e32 v69, v69
	v_mul_f32_e32 v77, 0x3fb8aa3b, v77
	s_delay_alu instid0(VALU_DEP_3) | instskip(NEXT) | instid1(TRANS32_DEP_3)
	v_exp_f32_e32 v78, v78
	v_cndmask_b32_e64 v88, 0, v71, s9
	v_fma_f32 v71, s19, v104, -v68
	s_delay_alu instid0(VALU_DEP_3) | instskip(NEXT) | instid1(TRANS32_DEP_3)
	v_exp_f32_e32 v77, v77
	v_cndmask_b32_e64 v87, 0, v69, s7
	s_delay_alu instid0(VALU_DEP_2)
	v_mul_f32_e32 v71, 0x3fb8aa3b, v71
	s_waitcnt_depctr 0xfff
	v_cndmask_b32_e64 v84, 0, v78, s8
	v_add_f32_e32 v70, v70, v83
	v_fma_f32 v78, s19, v103, -v68
	v_exp_f32_e32 v82, v71
	s_delay_alu instid0(VALU_DEP_2) | instskip(SKIP_1) | instid1(VALU_DEP_3)
	v_add_f32_e32 v70, v70, v85
	v_mul_f32_e32 v72, 0x3fb8aa3b, v72
	v_mul_f32_e32 v78, 0x3fb8aa3b, v78
	s_delay_alu instid0(VALU_DEP_3) | instskip(SKIP_1) | instid1(VALU_DEP_4)
	v_add_f32_e32 v69, v70, v86
	v_fma_f32 v70, s19, v102, -v68
	v_exp_f32_e32 v72, v72
	s_delay_alu instid0(VALU_DEP_3) | instskip(NEXT) | instid1(VALU_DEP_1)
	v_exp_f32_e32 v78, v78
	v_dual_add_f32 v69, v69, v87 :: v_dual_mul_f32 v70, 0x3fb8aa3b, v70
	s_delay_alu instid0(VALU_DEP_1) | instskip(NEXT) | instid1(VALU_DEP_2)
	v_add_f32_e32 v69, v69, v84
	v_exp_f32_e32 v79, v70
	s_delay_alu instid0(TRANS32_DEP_3) | instskip(NEXT) | instid1(VALU_DEP_2)
	v_cndmask_b32_e64 v70, 0, v72, s10
	v_add_f32_e32 v72, v69, v88
	v_cndmask_b32_e64 v69, 0, v77, s11
	v_fma_f32 v77, s19, v106, -v68
	s_waitcnt_depctr 0xfff
	v_cndmask_b32_e64 v71, 0, v79, s12
	v_dual_mul_f32 v77, 0x3fb8aa3b, v77 :: v_dual_add_f32 v72, v72, v70
	s_delay_alu instid0(VALU_DEP_1) | instskip(NEXT) | instid1(VALU_DEP_1)
	v_exp_f32_e32 v90, v77
	v_add_f32_e32 v79, v72, v69
	v_cndmask_b32_e64 v72, 0, v78, s13
	v_cndmask_b32_e64 v77, 0, v82, s15
	s_delay_alu instid0(VALU_DEP_3) | instskip(SKIP_1) | instid1(VALU_DEP_1)
	v_add_f32_e32 v78, v79, v71
	v_fma_f32 v79, s19, v107, -v68
	v_dual_add_f32 v82, v78, v72 :: v_dual_mul_f32 v79, 0x3fb8aa3b, v79
	v_cndmask_b32_e64 v78, 0, v81, s16
	s_delay_alu instid0(VALU_DEP_2) | instskip(NEXT) | instid1(VALU_DEP_3)
	v_add_f32_e32 v81, v82, v77
	v_exp_f32_e32 v82, v79
	v_cndmask_b32_e64 v79, 0, v90, s17
	s_delay_alu instid0(VALU_DEP_2) | instskip(NEXT) | instid1(VALU_DEP_1)
	v_add_f32_e32 v81, v81, v78
	v_add_f32_e32 v90, v81, v79
	s_waitcnt_depctr 0xfff
	v_cndmask_b32_e64 v81, 0, v82, s18
	s_delay_alu instid0(VALU_DEP_1)
	v_add_f32_e32 v82, v90, v81
	ds_bpermute_b32 v89, v89, v82
	v_cmpx_gt_u32_e32 16, v67
	s_cbranch_execz .LBB1701_12
; %bb.11:
	v_mul_u32_u24_e32 v67, 0x44, v65
	s_delay_alu instid0(VALU_DEP_1) | instskip(SKIP_1) | instid1(VALU_DEP_1)
	v_lshl_add_u32 v67, v66, 2, v67
	s_waitcnt lgkmcnt(0)
	v_dual_add_f32 v82, v82, v89 :: v_dual_add_nc_u32 v67, 0x4000, v67
	ds_store_2addr_b32 v67, v68, v82 offset1:136
.LBB1701_12:
	s_or_b32 exec_lo, exec_lo, s3
	v_lshlrev_b32_e32 v67, 2, v66
	s_waitcnt lgkmcnt(0)
	s_barrier
	buffer_gl0_inv
	v_cmp_eq_u32_e32 vcc_lo, 1, v65
	v_add_nc_u32_e32 v82, 0x4000, v67
	v_cmp_eq_u32_e64 s3, 2, v65
	v_cmp_eq_u32_e64 s5, 7, v65
	ds_load_2addr_b32 v[89:90], v82 offset1:17
	ds_load_2addr_b32 v[91:92], v82 offset0:34 offset1:51
	ds_load_2addr_b32 v[93:94], v82 offset0:68 offset1:85
	;; [unrolled: 1-line block ×4, first 2 shown]
	s_waitcnt lgkmcnt(4)
	v_max3_f32 v67, v89, 0xff7fffff, v90
	s_waitcnt lgkmcnt(3)
	s_delay_alu instid0(VALU_DEP_1) | instskip(SKIP_1) | instid1(VALU_DEP_1)
	v_max3_f32 v67, v67, v91, v92
	s_waitcnt lgkmcnt(2)
	v_max3_f32 v67, v67, v93, v94
	s_waitcnt lgkmcnt(1)
	s_delay_alu instid0(VALU_DEP_1) | instskip(NEXT) | instid1(VALU_DEP_1)
	v_max3_f32 v67, v67, v95, v96
	v_sub_f32_e32 v93, v93, v67
	s_delay_alu instid0(VALU_DEP_1) | instskip(NEXT) | instid1(VALU_DEP_1)
	v_dual_sub_f32 v68, v89, v67 :: v_dual_mul_f32 v103, 0x3fb8aa3b, v93
	v_mul_f32_e32 v68, 0x3fb8aa3b, v68
	s_delay_alu instid0(VALU_DEP_1)
	v_exp_f32_e32 v100, v68
	v_sub_f32_e32 v68, v92, v67
	v_sub_f32_e32 v99, v90, v67
	ds_load_2addr_b32 v[89:90], v82 offset0:170 offset1:187
	v_dual_mul_f32 v102, 0x3fb8aa3b, v68 :: v_dual_mul_f32 v99, 0x3fb8aa3b, v99
	s_waitcnt lgkmcnt(1)
	v_fma_f32 v68, v100, v97, 0
	s_delay_alu instid0(VALU_DEP_2) | instskip(NEXT) | instid1(VALU_DEP_2)
	v_exp_f32_e32 v102, v102
	v_exp_f32_e32 v99, v99
	s_waitcnt_depctr 0xfff
	v_fmac_f32_e32 v68, v99, v98
	v_sub_f32_e32 v91, v91, v67
	s_delay_alu instid0(VALU_DEP_1)
	v_mul_f32_e32 v101, 0x3fb8aa3b, v91
	ds_load_2addr_b32 v[91:92], v82 offset0:204 offset1:221
	v_sub_f32_e32 v97, v94, v67
	ds_load_2addr_b32 v[93:94], v82 offset0:238 offset1:255
	s_waitcnt lgkmcnt(0)
	v_exp_f32_e32 v101, v101
	s_barrier
	buffer_gl0_inv
	v_dual_fmac_f32 v68, v101, v89 :: v_dual_sub_f32 v89, v96, v67
	v_dual_sub_f32 v82, v95, v67 :: v_dual_mul_f32 v95, 0x3fb8aa3b, v97
	v_exp_f32_e32 v97, v103
	s_delay_alu instid0(VALU_DEP_2) | instskip(NEXT) | instid1(VALU_DEP_2)
	v_dual_fmac_f32 v68, v102, v90 :: v_dual_mul_f32 v89, 0x3fb8aa3b, v89
	v_mul_f32_e32 v82, 0x3fb8aa3b, v82
	s_delay_alu instid0(VALU_DEP_3) | instskip(NEXT) | instid1(VALU_DEP_2)
	v_exp_f32_e32 v95, v95
	v_exp_f32_e32 v89, v89
	s_delay_alu instid0(VALU_DEP_1)
	v_exp_f32_e32 v82, v82
	v_fmac_f32_e32 v68, v97, v91
	s_delay_alu instid0(TRANS32_DEP_3) | instid1(VALU_DEP_1)
	v_fmac_f32_e32 v68, v95, v92
	s_waitcnt_depctr 0xfff
	v_fmac_f32_e32 v68, v82, v93
	s_delay_alu instid0(VALU_DEP_1) | instskip(NEXT) | instid1(VALU_DEP_1)
	v_fmac_f32_e32 v68, v89, v94
	v_add_f32_e32 v90, 0x358637bd, v68
	s_delay_alu instid0(VALU_DEP_1) | instskip(NEXT) | instid1(VALU_DEP_1)
	v_div_scale_f32 v91, null, v90, v90, 1.0
	v_rcp_f32_e32 v92, v91
	s_waitcnt_depctr 0xfff
	v_fma_f32 v93, -v91, v92, 1.0
	s_delay_alu instid0(VALU_DEP_1) | instskip(SKIP_1) | instid1(VALU_DEP_2)
	v_dual_fmac_f32 v92, v93, v92 :: v_dual_cndmask_b32 v93, v100, v99
	v_cmp_eq_u32_e32 vcc_lo, 3, v65
	v_cndmask_b32_e64 v93, v93, v101, s3
	v_cmp_eq_u32_e64 s3, 4, v65
	s_delay_alu instid0(VALU_DEP_2) | instskip(SKIP_1) | instid1(VALU_DEP_2)
	v_cndmask_b32_e32 v93, v93, v102, vcc_lo
	v_cmp_eq_u32_e32 vcc_lo, 5, v65
	v_cndmask_b32_e64 v93, v93, v97, s3
	v_cmp_eq_u32_e64 s3, 6, v65
	s_delay_alu instid0(VALU_DEP_2) | instskip(SKIP_1) | instid1(VALU_DEP_1)
	v_cndmask_b32_e32 v93, v93, v95, vcc_lo
	v_div_scale_f32 v94, s4, 1.0, v90, 1.0
	s_mov_b32 vcc_lo, s4
	s_delay_alu instid0(VALU_DEP_2) | instskip(NEXT) | instid1(VALU_DEP_2)
	v_cndmask_b32_e64 v82, v93, v82, s3
	v_mul_f32_e32 v96, v94, v92
	s_mov_b32 s3, exec_lo
	s_delay_alu instid0(VALU_DEP_2) | instskip(NEXT) | instid1(VALU_DEP_2)
	v_cndmask_b32_e64 v82, v82, v89, s5
	v_fma_f32 v98, -v91, v96, v94
	s_delay_alu instid0(VALU_DEP_1) | instskip(NEXT) | instid1(VALU_DEP_1)
	v_fmac_f32_e32 v96, v98, v92
	v_fma_f32 v91, -v91, v96, v94
	s_delay_alu instid0(VALU_DEP_1) | instskip(NEXT) | instid1(VALU_DEP_1)
	v_div_fmas_f32 v91, v91, v92, v96
	v_div_fixup_f32 v90, v91, v90, 1.0
	s_delay_alu instid0(VALU_DEP_1) | instskip(NEXT) | instid1(VALU_DEP_1)
	v_mul_f32_e32 v82, v82, v90
	v_mul_f32_e32 v87, v82, v87
	;; [unrolled: 1-line block ×7, first 2 shown]
	v_dual_mul_f32 v86, v82, v83 :: v_dual_and_b32 v91, 0x7f800000, v90
	v_mul_f32_e32 v85, v82, v76
                                        ; implicit-def: $vgpr76
	s_delay_alu instid0(VALU_DEP_2)
	v_cmpx_ne_u32_e32 0x7f800000, v91
	s_xor_b32 s3, exec_lo, s3
; %bb.13:
	v_bfe_u32 v76, v90, 16, 1
	s_delay_alu instid0(VALU_DEP_1)
	v_add3_u32 v76, v90, v76, 0x7fff
                                        ; implicit-def: $vgpr90
; %bb.14:
	s_and_not1_saveexec_b32 s3, s3
; %bb.15:
	v_and_b32_e32 v76, 0xffff, v90
	v_or_b32_e32 v83, 0x10000, v90
	s_delay_alu instid0(VALU_DEP_2) | instskip(NEXT) | instid1(VALU_DEP_2)
	v_cmp_eq_u32_e32 vcc_lo, 0, v76
	v_cndmask_b32_e32 v76, v83, v90, vcc_lo
; %bb.16:
	s_or_b32 exec_lo, exec_lo, s3
	v_and_b32_e32 v83, 0x7f800000, v85
	s_delay_alu instid0(VALU_DEP_1) | instskip(SKIP_1) | instid1(SALU_CYCLE_1)
	v_cmp_ne_u32_e32 vcc_lo, 0x7f800000, v83
                                        ; implicit-def: $vgpr83
	s_and_saveexec_b32 s3, vcc_lo
	s_xor_b32 s3, exec_lo, s3
; %bb.17:
	v_bfe_u32 v83, v85, 16, 1
	s_delay_alu instid0(VALU_DEP_1)
	v_add3_u32 v83, v85, v83, 0x7fff
                                        ; implicit-def: $vgpr85
; %bb.18:
	s_and_not1_saveexec_b32 s3, s3
; %bb.19:
	v_and_b32_e32 v83, 0xffff, v85
	v_or_b32_e32 v90, 0x10000, v85
	s_delay_alu instid0(VALU_DEP_2) | instskip(NEXT) | instid1(VALU_DEP_2)
	v_cmp_eq_u32_e32 vcc_lo, 0, v83
	v_cndmask_b32_e32 v83, v90, v85, vcc_lo
; %bb.20:
	s_or_b32 exec_lo, exec_lo, s3
	v_and_b32_e32 v85, 0x7f800000, v86
	s_delay_alu instid0(VALU_DEP_1) | instskip(SKIP_1) | instid1(SALU_CYCLE_1)
	v_cmp_ne_u32_e32 vcc_lo, 0x7f800000, v85
                                        ; implicit-def: $vgpr85
	s_and_saveexec_b32 s3, vcc_lo
	s_xor_b32 s3, exec_lo, s3
; %bb.21:
	v_bfe_u32 v85, v86, 16, 1
	s_delay_alu instid0(VALU_DEP_1)
	v_add3_u32 v85, v86, v85, 0x7fff
                                        ; implicit-def: $vgpr86
; %bb.22:
	s_and_not1_saveexec_b32 s3, s3
; %bb.23:
	v_and_b32_e32 v85, 0xffff, v86
	v_or_b32_e32 v90, 0x10000, v86
	s_delay_alu instid0(VALU_DEP_2) | instskip(NEXT) | instid1(VALU_DEP_2)
	v_cmp_eq_u32_e32 vcc_lo, 0, v85
	v_cndmask_b32_e32 v85, v90, v86, vcc_lo
; %bb.24:
	s_or_b32 exec_lo, exec_lo, s3
	v_and_b32_e32 v86, 0x7f800000, v89
	s_delay_alu instid0(VALU_DEP_1) | instskip(SKIP_1) | instid1(SALU_CYCLE_1)
	v_cmp_ne_u32_e32 vcc_lo, 0x7f800000, v86
                                        ; implicit-def: $vgpr86
	s_and_saveexec_b32 s3, vcc_lo
	s_xor_b32 s3, exec_lo, s3
; %bb.25:
	v_bfe_u32 v86, v89, 16, 1
	s_delay_alu instid0(VALU_DEP_1)
	v_add3_u32 v86, v89, v86, 0x7fff
                                        ; implicit-def: $vgpr89
; %bb.26:
	s_and_not1_saveexec_b32 s3, s3
; %bb.27:
	v_and_b32_e32 v86, 0xffff, v89
	v_or_b32_e32 v90, 0x10000, v89
	s_delay_alu instid0(VALU_DEP_2) | instskip(NEXT) | instid1(VALU_DEP_2)
	v_cmp_eq_u32_e32 vcc_lo, 0, v86
	v_cndmask_b32_e32 v86, v90, v89, vcc_lo
; %bb.28:
	s_or_b32 exec_lo, exec_lo, s3
	v_and_b32_e32 v89, 0x7f800000, v88
	s_delay_alu instid0(VALU_DEP_1) | instskip(SKIP_1) | instid1(SALU_CYCLE_1)
	v_cmp_ne_u32_e32 vcc_lo, 0x7f800000, v89
                                        ; implicit-def: $vgpr89
	s_and_saveexec_b32 s3, vcc_lo
	s_xor_b32 s3, exec_lo, s3
; %bb.29:
	v_bfe_u32 v89, v88, 16, 1
	s_delay_alu instid0(VALU_DEP_1)
	v_add3_u32 v89, v88, v89, 0x7fff
                                        ; implicit-def: $vgpr88
; %bb.30:
	s_and_not1_saveexec_b32 s3, s3
; %bb.31:
	v_and_b32_e32 v89, 0xffff, v88
	v_or_b32_e32 v90, 0x10000, v88
	s_delay_alu instid0(VALU_DEP_2) | instskip(NEXT) | instid1(VALU_DEP_2)
	v_cmp_eq_u32_e32 vcc_lo, 0, v89
	v_cndmask_b32_e32 v89, v90, v88, vcc_lo
; %bb.32:
	s_or_b32 exec_lo, exec_lo, s3
	v_and_b32_e32 v88, 0x7f800000, v87
	s_delay_alu instid0(VALU_DEP_1) | instskip(SKIP_1) | instid1(SALU_CYCLE_1)
	v_cmp_ne_u32_e32 vcc_lo, 0x7f800000, v88
                                        ; implicit-def: $vgpr88
	s_and_saveexec_b32 s3, vcc_lo
	s_xor_b32 s3, exec_lo, s3
; %bb.33:
	v_bfe_u32 v88, v87, 16, 1
	s_delay_alu instid0(VALU_DEP_1)
	v_add3_u32 v88, v87, v88, 0x7fff
                                        ; implicit-def: $vgpr87
; %bb.34:
	s_and_not1_saveexec_b32 s3, s3
; %bb.35:
	v_and_b32_e32 v88, 0xffff, v87
	v_or_b32_e32 v90, 0x10000, v87
	s_delay_alu instid0(VALU_DEP_2) | instskip(NEXT) | instid1(VALU_DEP_2)
	v_cmp_eq_u32_e32 vcc_lo, 0, v88
	v_cndmask_b32_e32 v88, v90, v87, vcc_lo
; %bb.36:
	s_or_b32 exec_lo, exec_lo, s3
	v_and_b32_e32 v87, 0x7f800000, v84
	s_delay_alu instid0(VALU_DEP_1) | instskip(SKIP_1) | instid1(SALU_CYCLE_1)
	v_cmp_ne_u32_e32 vcc_lo, 0x7f800000, v87
                                        ; implicit-def: $vgpr87
	s_and_saveexec_b32 s3, vcc_lo
	s_xor_b32 s3, exec_lo, s3
; %bb.37:
	v_bfe_u32 v87, v84, 16, 1
	s_delay_alu instid0(VALU_DEP_1)
	v_add3_u32 v87, v84, v87, 0x7fff
                                        ; implicit-def: $vgpr84
; %bb.38:
	s_and_not1_saveexec_b32 s3, s3
; %bb.39:
	v_and_b32_e32 v87, 0xffff, v84
	v_or_b32_e32 v90, 0x10000, v84
	s_delay_alu instid0(VALU_DEP_2) | instskip(NEXT) | instid1(VALU_DEP_2)
	v_cmp_eq_u32_e32 vcc_lo, 0, v87
	v_cndmask_b32_e32 v87, v90, v84, vcc_lo
; %bb.40:
	s_or_b32 exec_lo, exec_lo, s3
	v_and_b32_e32 v84, 0x7f800000, v80
	s_delay_alu instid0(VALU_DEP_1) | instskip(SKIP_1) | instid1(SALU_CYCLE_1)
	v_cmp_ne_u32_e32 vcc_lo, 0x7f800000, v84
                                        ; implicit-def: $vgpr84
	s_and_saveexec_b32 s3, vcc_lo
	s_xor_b32 s3, exec_lo, s3
; %bb.41:
	v_bfe_u32 v84, v80, 16, 1
	s_delay_alu instid0(VALU_DEP_1)
	v_add3_u32 v84, v80, v84, 0x7fff
                                        ; implicit-def: $vgpr80
; %bb.42:
	s_and_not1_saveexec_b32 s3, s3
; %bb.43:
	v_and_b32_e32 v84, 0xffff, v80
	v_or_b32_e32 v90, 0x10000, v80
	s_delay_alu instid0(VALU_DEP_2) | instskip(NEXT) | instid1(VALU_DEP_2)
	v_cmp_eq_u32_e32 vcc_lo, 0, v84
	v_cndmask_b32_e32 v84, v90, v80, vcc_lo
; %bb.44:
	s_or_b32 exec_lo, exec_lo, s3
	s_load_b64 s[34:35], s[0:1], 0x94
	v_lshlrev_b32_e32 v91, 4, v75
	s_delay_alu instid0(VALU_DEP_2)
	v_perm_b32 v90, v84, v87, 0x7060302
	v_dual_mul_f32 v77, v82, v77 :: v_dual_lshlrev_b32 v80, 6, v66
	v_lshlrev_b32_e32 v66, 11, v65
	v_perm_b32 v87, v83, v76, 0x7060302
	v_mul_f32_e32 v83, v82, v70
	v_perm_b32 v89, v88, v89, 0x7060302
	v_perm_b32 v88, v86, v85, 0x7060302
	v_or3_b32 v76, v91, v66, v80
	v_mul_f32_e32 v66, v82, v81
	v_mul_f32_e32 v70, v82, v79
	;; [unrolled: 1-line block ×3, first 2 shown]
	v_dual_mul_f32 v81, v82, v72 :: v_dual_and_b32 v84, 0x7f800000, v83
	v_mul_f32_e32 v79, v82, v71
	v_mul_f32_e32 v72, v82, v69
	s_mov_b32 s3, exec_lo
	ds_store_b128 v76, v[87:90]
                                        ; implicit-def: $vgpr69
	v_cmpx_ne_u32_e32 0x7f800000, v84
	s_xor_b32 s3, exec_lo, s3
; %bb.45:
	v_bfe_u32 v69, v83, 16, 1
	s_delay_alu instid0(VALU_DEP_1)
	v_add3_u32 v69, v83, v69, 0x7fff
                                        ; implicit-def: $vgpr83
; %bb.46:
	s_and_not1_saveexec_b32 s3, s3
; %bb.47:
	v_and_b32_e32 v69, 0xffff, v83
	v_or_b32_e32 v71, 0x10000, v83
	s_delay_alu instid0(VALU_DEP_2) | instskip(NEXT) | instid1(VALU_DEP_2)
	v_cmp_eq_u32_e32 vcc_lo, 0, v69
	v_cndmask_b32_e32 v69, v71, v83, vcc_lo
; %bb.48:
	s_or_b32 exec_lo, exec_lo, s3
	v_and_b32_e32 v71, 0x7f800000, v72
	s_delay_alu instid0(VALU_DEP_1) | instskip(SKIP_1) | instid1(SALU_CYCLE_1)
	v_cmp_ne_u32_e32 vcc_lo, 0x7f800000, v71
                                        ; implicit-def: $vgpr71
	s_and_saveexec_b32 s3, vcc_lo
	s_xor_b32 s3, exec_lo, s3
; %bb.49:
	v_bfe_u32 v71, v72, 16, 1
	s_delay_alu instid0(VALU_DEP_1)
	v_add3_u32 v71, v72, v71, 0x7fff
                                        ; implicit-def: $vgpr72
; %bb.50:
	s_and_not1_saveexec_b32 s3, s3
; %bb.51:
	v_and_b32_e32 v71, 0xffff, v72
	v_or_b32_e32 v82, 0x10000, v72
	s_delay_alu instid0(VALU_DEP_2) | instskip(NEXT) | instid1(VALU_DEP_2)
	v_cmp_eq_u32_e32 vcc_lo, 0, v71
	v_cndmask_b32_e32 v71, v82, v72, vcc_lo
; %bb.52:
	s_or_b32 exec_lo, exec_lo, s3
	v_and_b32_e32 v72, 0x7f800000, v79
	s_delay_alu instid0(VALU_DEP_1) | instskip(SKIP_1) | instid1(SALU_CYCLE_1)
	v_cmp_ne_u32_e32 vcc_lo, 0x7f800000, v72
                                        ; implicit-def: $vgpr72
	s_and_saveexec_b32 s3, vcc_lo
	s_xor_b32 s3, exec_lo, s3
; %bb.53:
	v_bfe_u32 v72, v79, 16, 1
	s_delay_alu instid0(VALU_DEP_1)
	v_add3_u32 v72, v79, v72, 0x7fff
                                        ; implicit-def: $vgpr79
; %bb.54:
	s_and_not1_saveexec_b32 s3, s3
; %bb.55:
	v_and_b32_e32 v72, 0xffff, v79
	v_or_b32_e32 v82, 0x10000, v79
	s_delay_alu instid0(VALU_DEP_2) | instskip(NEXT) | instid1(VALU_DEP_2)
	v_cmp_eq_u32_e32 vcc_lo, 0, v72
	v_cndmask_b32_e32 v72, v82, v79, vcc_lo
; %bb.56:
	s_or_b32 exec_lo, exec_lo, s3
	v_and_b32_e32 v79, 0x7f800000, v81
	s_delay_alu instid0(VALU_DEP_1) | instskip(SKIP_1) | instid1(SALU_CYCLE_1)
	v_cmp_ne_u32_e32 vcc_lo, 0x7f800000, v79
                                        ; implicit-def: $vgpr79
	s_and_saveexec_b32 s3, vcc_lo
	s_xor_b32 s3, exec_lo, s3
; %bb.57:
	v_bfe_u32 v79, v81, 16, 1
	s_delay_alu instid0(VALU_DEP_1)
	v_add3_u32 v79, v81, v79, 0x7fff
                                        ; implicit-def: $vgpr81
; %bb.58:
	s_and_not1_saveexec_b32 s3, s3
; %bb.59:
	v_and_b32_e32 v79, 0xffff, v81
	v_or_b32_e32 v82, 0x10000, v81
	s_delay_alu instid0(VALU_DEP_2) | instskip(NEXT) | instid1(VALU_DEP_2)
	v_cmp_eq_u32_e32 vcc_lo, 0, v79
	v_cndmask_b32_e32 v79, v82, v81, vcc_lo
; %bb.60:
	s_or_b32 exec_lo, exec_lo, s3
	v_and_b32_e32 v81, 0x7f800000, v77
	s_delay_alu instid0(VALU_DEP_1) | instskip(SKIP_1) | instid1(SALU_CYCLE_1)
	v_cmp_ne_u32_e32 vcc_lo, 0x7f800000, v81
                                        ; implicit-def: $vgpr81
	s_and_saveexec_b32 s3, vcc_lo
	s_xor_b32 s3, exec_lo, s3
; %bb.61:
	v_bfe_u32 v81, v77, 16, 1
	s_delay_alu instid0(VALU_DEP_1)
	v_add3_u32 v81, v77, v81, 0x7fff
                                        ; implicit-def: $vgpr77
; %bb.62:
	s_and_not1_saveexec_b32 s3, s3
; %bb.63:
	v_and_b32_e32 v81, 0xffff, v77
	v_or_b32_e32 v82, 0x10000, v77
	s_delay_alu instid0(VALU_DEP_2) | instskip(NEXT) | instid1(VALU_DEP_2)
	v_cmp_eq_u32_e32 vcc_lo, 0, v81
	v_cndmask_b32_e32 v81, v82, v77, vcc_lo
; %bb.64:
	s_or_b32 exec_lo, exec_lo, s3
	v_and_b32_e32 v77, 0x7f800000, v78
	s_delay_alu instid0(VALU_DEP_1) | instskip(SKIP_1) | instid1(SALU_CYCLE_1)
	v_cmp_ne_u32_e32 vcc_lo, 0x7f800000, v77
                                        ; implicit-def: $vgpr77
	s_and_saveexec_b32 s3, vcc_lo
	s_xor_b32 s3, exec_lo, s3
; %bb.65:
	v_bfe_u32 v77, v78, 16, 1
	s_delay_alu instid0(VALU_DEP_1)
	v_add3_u32 v77, v78, v77, 0x7fff
                                        ; implicit-def: $vgpr78
; %bb.66:
	s_and_not1_saveexec_b32 s3, s3
; %bb.67:
	v_and_b32_e32 v77, 0xffff, v78
	v_or_b32_e32 v82, 0x10000, v78
	s_delay_alu instid0(VALU_DEP_2) | instskip(NEXT) | instid1(VALU_DEP_2)
	v_cmp_eq_u32_e32 vcc_lo, 0, v77
	v_cndmask_b32_e32 v77, v82, v78, vcc_lo
; %bb.68:
	s_or_b32 exec_lo, exec_lo, s3
	v_and_b32_e32 v78, 0x7f800000, v70
	s_delay_alu instid0(VALU_DEP_1) | instskip(SKIP_1) | instid1(SALU_CYCLE_1)
	v_cmp_ne_u32_e32 vcc_lo, 0x7f800000, v78
                                        ; implicit-def: $vgpr78
	s_and_saveexec_b32 s3, vcc_lo
	s_xor_b32 s3, exec_lo, s3
; %bb.69:
	v_bfe_u32 v78, v70, 16, 1
	s_delay_alu instid0(VALU_DEP_1)
	v_add3_u32 v78, v70, v78, 0x7fff
                                        ; implicit-def: $vgpr70
; %bb.70:
	s_and_not1_saveexec_b32 s3, s3
; %bb.71:
	v_and_b32_e32 v78, 0xffff, v70
	v_or_b32_e32 v82, 0x10000, v70
	s_delay_alu instid0(VALU_DEP_2) | instskip(NEXT) | instid1(VALU_DEP_2)
	v_cmp_eq_u32_e32 vcc_lo, 0, v78
	v_cndmask_b32_e32 v78, v82, v70, vcc_lo
; %bb.72:
	s_or_b32 exec_lo, exec_lo, s3
	v_and_b32_e32 v70, 0x7f800000, v66
	s_delay_alu instid0(VALU_DEP_1) | instskip(SKIP_1) | instid1(SALU_CYCLE_1)
	v_cmp_ne_u32_e32 vcc_lo, 0x7f800000, v70
                                        ; implicit-def: $vgpr70
	s_and_saveexec_b32 s3, vcc_lo
	s_xor_b32 s3, exec_lo, s3
; %bb.73:
	v_bfe_u32 v70, v66, 16, 1
	s_delay_alu instid0(VALU_DEP_1)
	v_add3_u32 v70, v66, v70, 0x7fff
                                        ; implicit-def: $vgpr66
; %bb.74:
	s_and_not1_saveexec_b32 s3, s3
; %bb.75:
	v_and_b32_e32 v70, 0xffff, v66
	v_or_b32_e32 v82, 0x10000, v66
	s_delay_alu instid0(VALU_DEP_2) | instskip(NEXT) | instid1(VALU_DEP_2)
	v_cmp_eq_u32_e32 vcc_lo, 0, v70
	v_cndmask_b32_e32 v70, v82, v66, vcc_lo
; %bb.76:
	s_or_b32 exec_lo, exec_lo, s3
	s_delay_alu instid0(VALU_DEP_1)
	v_perm_b32 v86, v70, v78, 0x7060302
	v_perm_b32 v85, v77, v81, 0x7060302
	;; [unrolled: 1-line block ×4, first 2 shown]
	v_lshl_or_b32 v82, v65, 11, v80
	ds_store_b128 v76, v[83:86] offset:1024
	s_waitcnt lgkmcnt(0)
	s_barrier
	buffer_gl0_inv
	ds_load_b128 v[69:72], v82
	ds_load_b128 v[83:86], v82 offset:16
	s_waitcnt lgkmcnt(1)
	v_lshrrev_b32_e32 v65, 16, v69
	v_lshlrev_b32_e32 v78, 2, v75
	s_waitcnt lgkmcnt(0)
	v_lshrrev_b32_e32 v91, 16, v83
	v_lshrrev_b32_e32 v66, 16, v70
	;; [unrolled: 1-line block ×4, first 2 shown]
	v_cmp_eq_u32_e32 vcc_lo, 1, v78
	v_lshrrev_b32_e32 v98, 16, v85
	v_lshrrev_b32_e32 v96, 16, v72
	;; [unrolled: 1-line block ×3, first 2 shown]
	v_cndmask_b32_e32 v81, v69, v65, vcc_lo
	v_or_b32_e32 v79, 1, v78
	v_cmp_eq_u32_e64 s4, 2, v78
	v_cndmask_b32_e32 v87, v83, v91, vcc_lo
	v_cmp_eq_u32_e64 s7, 3, v78
	v_cmp_eq_u32_e64 s9, 4, v78
	;; [unrolled: 1-line block ×3, first 2 shown]
	v_cndmask_b32_e64 v81, v81, v70, s4
	v_cmp_eq_u32_e64 s6, 2, v79
	v_cndmask_b32_e64 v87, v87, v84, s4
	v_cmp_eq_u32_e64 s8, 3, v79
	v_cndmask_b32_e64 v88, v69, v65, s3
	v_cndmask_b32_e64 v81, v81, v66, s7
	v_or_b32_e32 v77, 2, v78
	v_cndmask_b32_e64 v87, v87, v97, s7
	v_cndmask_b32_e64 v89, v83, v91, s3
	;; [unrolled: 1-line block ×4, first 2 shown]
	v_cmp_eq_u32_e64 s10, 5, v78
	v_cndmask_b32_e64 v87, v87, v85, s9
	v_cmp_eq_u32_e64 s11, 4, v79
	v_cndmask_b32_e64 v88, v88, v66, s8
	;; [unrolled: 2-line block ×3, first 2 shown]
	v_cndmask_b32_e64 v81, v81, v95, s10
	v_cmp_eq_u32_e64 s12, 6, v78
	v_cndmask_b32_e64 v88, v88, v71, s11
	v_cndmask_b32_e64 v87, v87, v98, s10
	v_cmp_eq_u32_e64 s13, 5, v79
	v_cndmask_b32_e64 v90, v69, v65, s5
	v_cndmask_b32_e64 v89, v89, v97, s8
	v_cndmask_b32_e64 v81, v81, v72, s12
	v_cmp_eq_u32_e64 s15, 7, v78
	v_cndmask_b32_e64 v88, v88, v95, s13
	v_cndmask_b32_e64 v87, v87, v86, s12
	v_cmp_eq_u32_e64 s16, 6, v79
	v_cmp_eq_u32_e64 s17, 2, v77
	v_cndmask_b32_e64 v89, v89, v85, s11
	v_cndmask_b32_e64 v100, v81, v96, s15
	;; [unrolled: 1-line block ×6, first 2 shown]
	v_cmp_eq_u32_e64 s18, 7, v79
	v_cmp_eq_u32_e64 s19, 3, v77
	;; [unrolled: 1-line block ×4, first 2 shown]
	v_cndmask_b32_e64 v87, v87, v84, s17
	v_cndmask_b32_e64 v102, v88, v96, s18
	;; [unrolled: 1-line block ×4, first 2 shown]
	v_or_b32_e32 v81, 3, v78
	v_cndmask_b32_e64 v93, v87, v97, s19
	v_cmp_eq_u32_e64 s24, 6, v77
	v_cndmask_b32_e64 v103, v88, v86, s16
	v_cndmask_b32_e64 v92, v89, v71, s20
	v_cmp_eq_u32_e64 s21, 1, v81
	ds_load_b128 v[87:90], v82 offset:1024
	v_cmp_eq_u32_e64 s23, 2, v81
	v_cmp_eq_u32_e64 s25, 3, v81
	v_cndmask_b32_e64 v104, v92, v95, s22
	v_cndmask_b32_e64 v65, v69, v65, s21
	;; [unrolled: 1-line block ×4, first 2 shown]
	ds_load_b128 v[91:94], v82 offset:1040
	v_cmp_eq_u32_e64 s26, 4, v81
	v_cndmask_b32_e64 v65, v65, v70, s23
	v_cmp_eq_u32_e64 s28, 5, v81
	v_cndmask_b32_e64 v70, v83, v84, s23
	;; [unrolled: 2-line block ×3, first 2 shown]
	v_cndmask_b32_e64 v65, v65, v66, s25
	v_cndmask_b32_e64 v66, v104, v72, s24
	;; [unrolled: 1-line block ×3, first 2 shown]
	v_cmp_eq_u32_e64 s27, 7, v77
	v_cndmask_b32_e64 v69, v69, v86, s24
	v_cndmask_b32_e64 v65, v65, v71, s26
	s_waitcnt lgkmcnt(1)
	v_lshrrev_b32_e32 v84, 16, v87
	v_cndmask_b32_e64 v70, v70, v85, s26
	v_cndmask_b32_e64 v83, v103, v99, s18
	;; [unrolled: 1-line block ×4, first 2 shown]
	v_lshrrev_b32_e32 v95, 16, v88
	v_cndmask_b32_e64 v70, v70, v98, s28
	s_waitcnt lgkmcnt(0)
	v_lshrrev_b32_e32 v85, 16, v91
	v_cndmask_b32_e64 v97, v87, v84, s3
	v_cndmask_b32_e64 v65, v65, v72, s29
	;; [unrolled: 1-line block ×4, first 2 shown]
	v_cndmask_b32_e32 v71, v87, v84, vcc_lo
	v_cndmask_b32_e32 v98, v91, v85, vcc_lo
	v_cmp_eq_u32_e32 vcc_lo, 7, v81
	v_cndmask_b32_e64 v72, v97, v88, s6
	v_lshrrev_b32_e32 v97, 16, v92
	v_lshrrev_b32_e32 v103, 16, v90
	v_dual_cndmask_b32 v65, v65, v96 :: v_dual_cndmask_b32 v70, v70, v99
	v_cndmask_b32_e64 v71, v71, v88, s4
	v_cndmask_b32_e64 v86, v98, v92, s4
	;; [unrolled: 1-line block ×3, first 2 shown]
	v_lshrrev_b32_e32 v98, 16, v89
	v_lshrrev_b32_e32 v99, 16, v93
	v_cndmask_b32_e64 v71, v71, v95, s7
	v_cndmask_b32_e64 v86, v86, v97, s7
	;; [unrolled: 1-line block ×3, first 2 shown]
	v_perm_b32 v72, v70, v65, 0x5040100
	v_perm_b32 v70, v83, v102, 0x5040100
	v_cndmask_b32_e64 v71, v71, v89, s9
	v_cndmask_b32_e64 v86, v86, v93, s9
	;; [unrolled: 1-line block ×3, first 2 shown]
	v_lshrrev_b32_e32 v83, 16, v94
	s_delay_alu instid0(VALU_DEP_4) | instskip(NEXT) | instid1(VALU_DEP_4)
	v_cndmask_b32_e64 v71, v71, v98, s10
	v_cndmask_b32_e64 v86, v86, v99, s10
	s_delay_alu instid0(VALU_DEP_4) | instskip(NEXT) | instid1(VALU_DEP_3)
	v_cndmask_b32_e64 v65, v65, v90, s16
	v_cndmask_b32_e64 v96, v71, v90, s12
	v_perm_b32 v71, v69, v66, 0x5040100
	s_delay_alu instid0(VALU_DEP_4)
	v_cndmask_b32_e64 v69, v86, v94, s12
	v_cndmask_b32_e64 v86, v87, v84, s5
	;; [unrolled: 1-line block ×34, first 2 shown]
	v_cndmask_b32_e32 v84, v84, v103, vcc_lo
	v_cndmask_b32_e32 v86, v87, v83, vcc_lo
	v_cndmask_b32_e64 v87, v88, v83, s27
	v_cndmask_b32_e64 v88, v85, v83, s18
	;; [unrolled: 1-line block ×3, first 2 shown]
	v_perm_b32 v69, v101, v100, 0x5040100
	v_perm_b32 v86, v86, v84, 0x5040100
	;; [unrolled: 1-line block ×5, first 2 shown]
	s_lshl_b32 s8, s35, 3
	s_mov_b32 s3, exec_lo
	ds_store_b128 v76, v[69:72]
	ds_store_b128 v76, v[83:86] offset:1024
	v_cmpx_gt_u32_e32 8, v0
	s_cbranch_execz .LBB1701_78
; %bb.77:
	v_or_b32_e32 v65, s31, v0
	s_load_b128 s[4:7], s[0:1], 0x58
	s_delay_alu instid0(VALU_DEP_1) | instskip(NEXT) | instid1(VALU_DEP_1)
	v_mad_u64_u32 v[69:70], null, s8, s30, v[65:66]
	v_mad_u64_u32 v[65:66], null, v69, s34, s[14:15]
	s_delay_alu instid0(VALU_DEP_1) | instskip(NEXT) | instid1(VALU_DEP_1)
	v_ashrrev_i32_e32 v66, 31, v65
	v_lshlrev_b64 v[65:66], 2, v[65:66]
	s_waitcnt lgkmcnt(0)
	s_delay_alu instid0(VALU_DEP_1) | instskip(NEXT) | instid1(VALU_DEP_2)
	v_add_co_u32 v69, vcc_lo, s6, v65
	v_add_co_ci_u32_e32 v70, vcc_lo, s7, v66, vcc_lo
	v_add_co_u32 v65, vcc_lo, s4, v65
	v_add_co_ci_u32_e32 v66, vcc_lo, s5, v66, vcc_lo
	global_store_b32 v[69:70], v67, off
	global_store_b32 v[65:66], v68, off
.LBB1701_78:
	s_or_b32 exec_lo, exec_lo, s3
	s_waitcnt lgkmcnt(0)
	s_waitcnt_vscnt null, 0x0
	s_barrier
	buffer_gl0_inv
	ds_load_b128 v[83:86], v80
	ds_load_b128 v[87:90], v80 offset:16
	ds_load_b128 v[95:98], v80 offset:2064
	;; [unrolled: 1-line block ×3, first 2 shown]
	v_mov_b32_e32 v65, 0
	ds_load_b128 v[103:106], v80 offset:4112
	ds_load_b128 v[99:102], v80 offset:4096
	;; [unrolled: 1-line block ×4, first 2 shown]
	v_mov_b32_e32 v66, v65
	v_mov_b32_e32 v67, v65
	v_mov_b32_e32 v68, v65
	v_mov_b32_e32 v69, v65
	v_mov_b32_e32 v70, v65
	v_mov_b32_e32 v71, v65
	v_mov_b32_e32 v72, v65
	s_waitcnt lgkmcnt(6)
	s_delay_alu instid0(VALU_DEP_1)
	v_wmma_f32_16x16x16_bf16 v[65:72], v[57:64], v[83:90], v[65:72]
	ds_load_b128 v[61:64], v80 offset:8208
	ds_load_b128 v[57:60], v80 offset:8192
	s_waitcnt lgkmcnt(6)
	v_wmma_f32_16x16x16_bf16 v[65:72], v[41:48], v[91:98], v[65:72]
	ds_load_b128 v[45:48], v80 offset:10256
	ds_load_b128 v[41:44], v80 offset:10240
	s_waitcnt lgkmcnt(6)
	v_wmma_f32_16x16x16_bf16 v[65:72], v[33:40], v[99:106], v[65:72]
	ds_load_b128 v[37:40], v80 offset:12304
	ds_load_b128 v[33:36], v80 offset:12288
	s_waitcnt lgkmcnt(6)
	v_wmma_f32_16x16x16_bf16 v[65:72], v[25:32], v[107:114], v[65:72]
	ds_load_b128 v[29:32], v80 offset:14352
	ds_load_b128 v[25:28], v80 offset:14336
	s_waitcnt lgkmcnt(6)
	v_wmma_f32_16x16x16_bf16 v[65:72], v[1:8], v[57:64], v[65:72]
	s_waitcnt lgkmcnt(4)
	s_delay_alu instid0(VALU_DEP_1) | instskip(SKIP_1) | instid1(VALU_DEP_1)
	v_wmma_f32_16x16x16_bf16 v[65:72], v[9:16], v[41:48], v[65:72]
	s_waitcnt lgkmcnt(2)
	v_wmma_f32_16x16x16_bf16 v[65:72], v[17:24], v[33:40], v[65:72]
	s_waitcnt lgkmcnt(0)
	s_delay_alu instid0(VALU_DEP_1) | instskip(NEXT) | instid1(VALU_DEP_1)
	v_wmma_f32_16x16x16_bf16 v[65:72], v[49:56], v[25:32], v[65:72]
	v_and_b32_e32 v1, 0x7f800000, v65
	s_delay_alu instid0(VALU_DEP_1) | instskip(SKIP_1) | instid1(SALU_CYCLE_1)
	v_cmp_ne_u32_e32 vcc_lo, 0x7f800000, v1
                                        ; implicit-def: $vgpr1
	s_and_saveexec_b32 s3, vcc_lo
	s_xor_b32 s3, exec_lo, s3
; %bb.79:
	v_bfe_u32 v1, v65, 16, 1
	s_delay_alu instid0(VALU_DEP_1)
	v_add3_u32 v1, v65, v1, 0x7fff
; %bb.80:
	s_and_not1_saveexec_b32 s3, s3
; %bb.81:
	v_and_b32_e32 v1, 0xffff, v65
	v_or_b32_e32 v2, 0x10000, v65
	s_delay_alu instid0(VALU_DEP_2) | instskip(NEXT) | instid1(VALU_DEP_2)
	v_cmp_eq_u32_e32 vcc_lo, 0, v1
	v_cndmask_b32_e32 v1, v2, v65, vcc_lo
; %bb.82:
	s_or_b32 exec_lo, exec_lo, s3
	v_and_b32_e32 v2, 0x7f800000, v66
	s_delay_alu instid0(VALU_DEP_1) | instskip(SKIP_1) | instid1(SALU_CYCLE_1)
	v_cmp_ne_u32_e32 vcc_lo, 0x7f800000, v2
                                        ; implicit-def: $vgpr2
	s_and_saveexec_b32 s3, vcc_lo
	s_xor_b32 s3, exec_lo, s3
; %bb.83:
	v_bfe_u32 v2, v66, 16, 1
	s_delay_alu instid0(VALU_DEP_1)
	v_add3_u32 v2, v66, v2, 0x7fff
; %bb.84:
	s_and_not1_saveexec_b32 s3, s3
; %bb.85:
	v_and_b32_e32 v2, 0xffff, v66
	v_or_b32_e32 v3, 0x10000, v66
	s_delay_alu instid0(VALU_DEP_2) | instskip(NEXT) | instid1(VALU_DEP_2)
	v_cmp_eq_u32_e32 vcc_lo, 0, v2
	v_cndmask_b32_e32 v2, v3, v66, vcc_lo
; %bb.86:
	s_or_b32 exec_lo, exec_lo, s3
	v_and_b32_e32 v3, 0x7f800000, v67
	s_delay_alu instid0(VALU_DEP_1) | instskip(SKIP_1) | instid1(SALU_CYCLE_1)
	v_cmp_ne_u32_e32 vcc_lo, 0x7f800000, v3
                                        ; implicit-def: $vgpr3
	s_and_saveexec_b32 s3, vcc_lo
	s_xor_b32 s3, exec_lo, s3
; %bb.87:
	v_bfe_u32 v3, v67, 16, 1
	s_delay_alu instid0(VALU_DEP_1)
	v_add3_u32 v3, v67, v3, 0x7fff
; %bb.88:
	s_and_not1_saveexec_b32 s3, s3
; %bb.89:
	v_and_b32_e32 v3, 0xffff, v67
	v_or_b32_e32 v4, 0x10000, v67
	s_delay_alu instid0(VALU_DEP_2) | instskip(NEXT) | instid1(VALU_DEP_2)
	v_cmp_eq_u32_e32 vcc_lo, 0, v3
	v_cndmask_b32_e32 v3, v4, v67, vcc_lo
; %bb.90:
	s_or_b32 exec_lo, exec_lo, s3
	v_and_b32_e32 v4, 0x7f800000, v68
	s_delay_alu instid0(VALU_DEP_1) | instskip(SKIP_1) | instid1(SALU_CYCLE_1)
	v_cmp_ne_u32_e32 vcc_lo, 0x7f800000, v4
                                        ; implicit-def: $vgpr4
	s_and_saveexec_b32 s3, vcc_lo
	s_xor_b32 s3, exec_lo, s3
; %bb.91:
	v_bfe_u32 v4, v68, 16, 1
	s_delay_alu instid0(VALU_DEP_1)
	v_add3_u32 v4, v68, v4, 0x7fff
; %bb.92:
	s_and_not1_saveexec_b32 s3, s3
; %bb.93:
	v_and_b32_e32 v4, 0xffff, v68
	v_or_b32_e32 v5, 0x10000, v68
	s_delay_alu instid0(VALU_DEP_2) | instskip(NEXT) | instid1(VALU_DEP_2)
	v_cmp_eq_u32_e32 vcc_lo, 0, v4
	v_cndmask_b32_e32 v4, v5, v68, vcc_lo
; %bb.94:
	s_or_b32 exec_lo, exec_lo, s3
	v_and_b32_e32 v5, 0x7f800000, v69
	s_delay_alu instid0(VALU_DEP_1) | instskip(SKIP_1) | instid1(SALU_CYCLE_1)
	v_cmp_ne_u32_e32 vcc_lo, 0x7f800000, v5
                                        ; implicit-def: $vgpr5
	s_and_saveexec_b32 s3, vcc_lo
	s_xor_b32 s3, exec_lo, s3
; %bb.95:
	v_bfe_u32 v5, v69, 16, 1
	s_delay_alu instid0(VALU_DEP_1)
	v_add3_u32 v5, v69, v5, 0x7fff
; %bb.96:
	s_and_not1_saveexec_b32 s3, s3
; %bb.97:
	v_and_b32_e32 v5, 0xffff, v69
	v_or_b32_e32 v6, 0x10000, v69
	s_delay_alu instid0(VALU_DEP_2) | instskip(NEXT) | instid1(VALU_DEP_2)
	v_cmp_eq_u32_e32 vcc_lo, 0, v5
	v_cndmask_b32_e32 v5, v6, v69, vcc_lo
; %bb.98:
	s_or_b32 exec_lo, exec_lo, s3
	v_and_b32_e32 v6, 0x7f800000, v70
	s_delay_alu instid0(VALU_DEP_1) | instskip(SKIP_1) | instid1(SALU_CYCLE_1)
	v_cmp_ne_u32_e32 vcc_lo, 0x7f800000, v6
                                        ; implicit-def: $vgpr6
	s_and_saveexec_b32 s3, vcc_lo
	s_xor_b32 s3, exec_lo, s3
; %bb.99:
	v_bfe_u32 v6, v70, 16, 1
	s_delay_alu instid0(VALU_DEP_1)
	v_add3_u32 v6, v70, v6, 0x7fff
; %bb.100:
	s_and_not1_saveexec_b32 s3, s3
; %bb.101:
	v_and_b32_e32 v6, 0xffff, v70
	v_or_b32_e32 v7, 0x10000, v70
	s_delay_alu instid0(VALU_DEP_2) | instskip(NEXT) | instid1(VALU_DEP_2)
	v_cmp_eq_u32_e32 vcc_lo, 0, v6
	v_cndmask_b32_e32 v6, v7, v70, vcc_lo
; %bb.102:
	s_or_b32 exec_lo, exec_lo, s3
	v_and_b32_e32 v7, 0x7f800000, v71
	s_delay_alu instid0(VALU_DEP_1) | instskip(SKIP_1) | instid1(SALU_CYCLE_1)
	v_cmp_ne_u32_e32 vcc_lo, 0x7f800000, v7
                                        ; implicit-def: $vgpr7
	s_and_saveexec_b32 s3, vcc_lo
	s_xor_b32 s3, exec_lo, s3
; %bb.103:
	v_bfe_u32 v7, v71, 16, 1
	s_delay_alu instid0(VALU_DEP_1)
	v_add3_u32 v7, v71, v7, 0x7fff
; %bb.104:
	s_and_not1_saveexec_b32 s3, s3
; %bb.105:
	v_and_b32_e32 v7, 0xffff, v71
	v_or_b32_e32 v8, 0x10000, v71
	s_delay_alu instid0(VALU_DEP_2) | instskip(NEXT) | instid1(VALU_DEP_2)
	v_cmp_eq_u32_e32 vcc_lo, 0, v7
	v_cndmask_b32_e32 v7, v8, v71, vcc_lo
; %bb.106:
	s_or_b32 exec_lo, exec_lo, s3
	v_and_b32_e32 v8, 0x7f800000, v72
	s_delay_alu instid0(VALU_DEP_1) | instskip(SKIP_1) | instid1(SALU_CYCLE_1)
	v_cmp_ne_u32_e32 vcc_lo, 0x7f800000, v8
                                        ; implicit-def: $vgpr8
	s_and_saveexec_b32 s3, vcc_lo
	s_xor_b32 s3, exec_lo, s3
; %bb.107:
	v_bfe_u32 v8, v72, 16, 1
	s_delay_alu instid0(VALU_DEP_1)
	v_add3_u32 v8, v72, v8, 0x7fff
                                        ; implicit-def: $vgpr65_vgpr66_vgpr67_vgpr68_vgpr69_vgpr70_vgpr71_vgpr72
; %bb.108:
	s_and_not1_saveexec_b32 s3, s3
; %bb.109:
	v_and_b32_e32 v8, 0xffff, v72
	v_or_b32_e32 v9, 0x10000, v72
	s_delay_alu instid0(VALU_DEP_2) | instskip(NEXT) | instid1(VALU_DEP_2)
	v_cmp_eq_u32_e32 vcc_lo, 0, v8
	v_cndmask_b32_e32 v8, v9, v72, vcc_lo
; %bb.110:
	s_or_b32 exec_lo, exec_lo, s3
	s_delay_alu instid0(VALU_DEP_1)
	v_perm_b32 v7, v8, v7, 0x7060302
	v_perm_b32 v6, v6, v5, 0x7060302
	;; [unrolled: 1-line block ×4, first 2 shown]
	s_barrier
	buffer_gl0_inv
	v_cmp_eq_u32_e32 vcc_lo, 1, v78
	ds_store_b128 v76, v[4:7]
	s_waitcnt lgkmcnt(0)
	s_barrier
	buffer_gl0_inv
	ds_load_b128 v[1:4], v82
	ds_load_b128 v[5:8], v82 offset:16
	v_cmp_eq_u32_e64 s3, 1, v79
	v_cmp_eq_u32_e64 s4, 2, v78
	;; [unrolled: 1-line block ×5, first 2 shown]
	s_waitcnt lgkmcnt(1)
	v_lshrrev_b32_e32 v9, 16, v1
	s_waitcnt lgkmcnt(0)
	v_lshrrev_b32_e32 v13, 16, v5
	v_lshrrev_b32_e32 v10, 16, v2
	v_lshrrev_b32_e32 v14, 16, v6
	v_lshrrev_b32_e32 v11, 16, v3
	v_cndmask_b32_e64 v19, v1, v9, s3
	v_cndmask_b32_e32 v18, v5, v13, vcc_lo
	v_cndmask_b32_e64 v20, v5, v13, s3
	v_cndmask_b32_e32 v17, v1, v9, vcc_lo
	v_cmp_eq_u32_e32 vcc_lo, 2, v79
	v_lshrrev_b32_e32 v15, 16, v7
	v_cmp_eq_u32_e64 s3, 1, v77
	v_lshrrev_b32_e32 v12, 16, v4
	v_lshrrev_b32_e32 v16, 16, v8
	v_cndmask_b32_e32 v20, v20, v6, vcc_lo
	v_cndmask_b32_e64 v17, v17, v2, s4
	v_cndmask_b32_e32 v19, v19, v2, vcc_lo
	v_cndmask_b32_e64 v18, v18, v6, s4
	v_cmp_eq_u32_e32 vcc_lo, 4, v78
	v_cmp_eq_u32_e64 s4, 3, v79
	v_cndmask_b32_e64 v17, v17, v10, s5
	v_cndmask_b32_e64 v21, v1, v9, s3
	;; [unrolled: 1-line block ×5, first 2 shown]
	v_cndmask_b32_e32 v17, v17, v3, vcc_lo
	v_cndmask_b32_e64 v20, v20, v14, s4
	v_cndmask_b32_e32 v18, v18, v7, vcc_lo
	v_cmp_eq_u32_e32 vcc_lo, 4, v79
	v_cmp_eq_u32_e64 s4, 5, v79
	v_cmp_eq_u32_e64 s3, 2, v81
	v_cndmask_b32_e64 v21, v21, v2, s7
	v_cmp_eq_u32_e64 s5, 5, v78
	v_cndmask_b32_e32 v19, v19, v3, vcc_lo
	v_cndmask_b32_e32 v20, v20, v7, vcc_lo
	v_cmp_eq_u32_e32 vcc_lo, 6, v79
	s_delay_alu instid0(VALU_DEP_4) | instskip(NEXT) | instid1(VALU_DEP_4)
	v_cndmask_b32_e64 v17, v17, v11, s5
	v_cndmask_b32_e64 v19, v19, v11, s4
	s_delay_alu instid0(VALU_DEP_4) | instskip(SKIP_1) | instid1(VALU_DEP_3)
	v_cndmask_b32_e64 v20, v20, v15, s4
	v_cmp_eq_u32_e64 s4, 1, v81
	v_cndmask_b32_e32 v19, v19, v4, vcc_lo
	v_cndmask_b32_e64 v18, v18, v15, s5
	s_delay_alu instid0(VALU_DEP_3)
	v_cndmask_b32_e64 v1, v1, v9, s4
	v_cndmask_b32_e64 v5, v5, v13, s4
	v_cmp_eq_u32_e64 s4, 3, v77
	v_cndmask_b32_e64 v13, v22, v6, s7
	v_cmp_eq_u32_e64 s7, 3, v81
	v_cndmask_b32_e64 v1, v1, v2, s3
	v_cndmask_b32_e64 v2, v5, v6, s3
	;; [unrolled: 1-line block ×3, first 2 shown]
	v_cmp_eq_u32_e64 s3, 4, v77
	v_cndmask_b32_e64 v6, v13, v14, s4
	v_cndmask_b32_e64 v1, v1, v10, s7
	v_cmp_eq_u32_e64 s4, 4, v81
	v_cndmask_b32_e64 v2, v2, v14, s7
	v_cndmask_b32_e64 v5, v9, v3, s3
	;; [unrolled: 3-line block ×3, first 2 shown]
	v_cndmask_b32_e64 v2, v2, v7, s4
	v_cmp_eq_u32_e64 s3, 5, v81
	v_cmp_eq_u32_e64 s5, 6, v78
	v_cndmask_b32_e64 v5, v5, v11, s7
	v_cmp_eq_u32_e64 s4, 6, v77
	v_cndmask_b32_e64 v3, v6, v15, s7
	v_cndmask_b32_e64 v1, v1, v11, s3
	v_cmp_eq_u32_e64 s7, 6, v81
	v_cndmask_b32_e64 v2, v2, v15, s3
	v_cndmask_b32_e64 v17, v17, v4, s5
	v_cndmask_b32_e64 v18, v18, v8, s5
	v_cmp_eq_u32_e64 s5, 7, v78
	v_cndmask_b32_e64 v5, v5, v4, s4
	;; [unrolled: 4-line block ×3, first 2 shown]
	v_cmp_eq_u32_e64 s4, 7, v77
	v_cndmask_b32_e32 v4, v20, v8, vcc_lo
	v_cndmask_b32_e64 v17, v17, v12, s5
	v_cndmask_b32_e64 v19, v19, v12, s6
	;; [unrolled: 1-line block ×8, first 2 shown]
	v_cmp_gt_u32_e32 vcc_lo, 32, v0
	v_perm_b32 v4, v2, v1, 0x5040100
	v_perm_b32 v3, v3, v5, 0x5040100
	;; [unrolled: 1-line block ×4, first 2 shown]
	s_and_b32 s2, vcc_lo, s2
	ds_store_b128 v76, v[1:4]
	s_waitcnt lgkmcnt(0)
	s_barrier
	buffer_gl0_inv
	s_and_saveexec_b32 s3, s2
	s_cbranch_execz .LBB1701_2
; %bb.111:
	s_load_b64 s[0:1], s[0:1], 0x68
	s_lshl_b32 s4, s34, 6
	v_or_b32_e32 v2, s31, v75
	s_mul_i32 s2, s4, s30
	v_lshlrev_b32_e32 v1, 10, v0
	s_mul_i32 s2, s2, s8
	v_lshlrev_b32_e32 v3, 4, v74
	v_mul_lo_u32 v0, v2, s4
	s_ashr_i32 s3, s2, 31
	v_lshlrev_b32_e32 v4, 6, v75
	v_and_b32_e32 v1, 0x3800, v1
	v_or_b32_e32 v5, 2, v2
	s_lshl_b64 s[2:3], s[2:3], 1
	v_or_b32_e32 v6, 4, v2
	v_or_b32_e32 v7, 6, v2
	v_or3_b32 v12, v1, v3, v4
	v_ashrrev_i32_e32 v1, 31, v0
	v_mul_lo_u32 v2, v5, s4
	v_mul_lo_u32 v16, v6, s4
	;; [unrolled: 1-line block ×3, first 2 shown]
	s_waitcnt lgkmcnt(0)
	s_add_u32 s2, s0, s2
	s_addc_u32 s3, s1, s3
	s_lshl_b32 s0, s14, 6
	v_lshlrev_b64 v[0:1], 1, v[0:1]
	s_ashr_i32 s1, s0, 31
	v_ashrrev_i32_e32 v3, 31, v2
	s_lshl_b64 s[0:1], s[0:1], 1
	v_ashrrev_i32_e32 v17, 31, v16
	s_add_u32 s0, s2, s0
	s_addc_u32 s1, s3, s1
	v_add_co_u32 v24, s0, s0, v73
	s_delay_alu instid0(VALU_DEP_1) | instskip(SKIP_1) | instid1(VALU_DEP_3)
	v_add_co_ci_u32_e64 v25, null, s1, 0, s0
	v_lshlrev_b64 v[22:23], 1, v[2:3]
	v_add_co_u32 v18, vcc_lo, v24, v0
	s_delay_alu instid0(VALU_DEP_3)
	v_add_co_ci_u32_e32 v19, vcc_lo, v25, v1, vcc_lo
	ds_load_b128 v[0:3], v12
	ds_load_b128 v[4:7], v12 offset:128
	ds_load_b128 v[8:11], v12 offset:256
	;; [unrolled: 1-line block ×3, first 2 shown]
	v_ashrrev_i32_e32 v21, 31, v20
	v_lshlrev_b64 v[16:17], 1, v[16:17]
	v_add_co_u32 v22, vcc_lo, v24, v22
	v_add_co_ci_u32_e32 v23, vcc_lo, v25, v23, vcc_lo
	s_delay_alu instid0(VALU_DEP_4) | instskip(NEXT) | instid1(VALU_DEP_4)
	v_lshlrev_b64 v[20:21], 1, v[20:21]
	v_add_co_u32 v16, vcc_lo, v24, v16
	v_add_co_ci_u32_e32 v17, vcc_lo, v25, v17, vcc_lo
	s_delay_alu instid0(VALU_DEP_3) | instskip(NEXT) | instid1(VALU_DEP_4)
	v_add_co_u32 v20, vcc_lo, v24, v20
	v_add_co_ci_u32_e32 v21, vcc_lo, v25, v21, vcc_lo
	s_waitcnt lgkmcnt(3)
	global_store_b128 v[18:19], v[0:3], off
	s_waitcnt lgkmcnt(2)
	global_store_b128 v[22:23], v[4:7], off
	;; [unrolled: 2-line block ×4, first 2 shown]
	s_nop 0
	s_sendmsg sendmsg(MSG_DEALLOC_VGPRS)
	s_endpgm
	.section	.rodata,"a",@progbits
	.p2align	6, 0x0
	.amdhsa_kernel _Z39paged_attention_ll4mi_QKV_mfma16_kernelI14__hip_bfloat16hLN4vllm18Fp8KVCacheDataTypeE1ES0_Li16ELi64ELi256ELb1ELi8EL8MFMAType0EEvPKT_PKT0_S9_ifPKiSB_SB_iPKfiiiPfSE_PS4_PT2_iSD_SD_
		.amdhsa_group_segment_fixed_size 17472
		.amdhsa_private_segment_fixed_size 0
		.amdhsa_kernarg_size 400
		.amdhsa_user_sgpr_count 13
		.amdhsa_user_sgpr_dispatch_ptr 0
		.amdhsa_user_sgpr_queue_ptr 0
		.amdhsa_user_sgpr_kernarg_segment_ptr 1
		.amdhsa_user_sgpr_dispatch_id 0
		.amdhsa_user_sgpr_private_segment_size 0
		.amdhsa_wavefront_size32 1
		.amdhsa_uses_dynamic_stack 0
		.amdhsa_enable_private_segment 0
		.amdhsa_system_sgpr_workgroup_id_x 1
		.amdhsa_system_sgpr_workgroup_id_y 1
		.amdhsa_system_sgpr_workgroup_id_z 1
		.amdhsa_system_sgpr_workgroup_info 0
		.amdhsa_system_vgpr_workitem_id 0
		.amdhsa_next_free_vgpr 124
		.amdhsa_next_free_sgpr 38
		.amdhsa_reserve_vcc 1
		.amdhsa_float_round_mode_32 0
		.amdhsa_float_round_mode_16_64 0
		.amdhsa_float_denorm_mode_32 3
		.amdhsa_float_denorm_mode_16_64 3
		.amdhsa_dx10_clamp 1
		.amdhsa_ieee_mode 1
		.amdhsa_fp16_overflow 0
		.amdhsa_workgroup_processor_mode 1
		.amdhsa_memory_ordered 1
		.amdhsa_forward_progress 0
		.amdhsa_shared_vgpr_count 0
		.amdhsa_exception_fp_ieee_invalid_op 0
		.amdhsa_exception_fp_denorm_src 0
		.amdhsa_exception_fp_ieee_div_zero 0
		.amdhsa_exception_fp_ieee_overflow 0
		.amdhsa_exception_fp_ieee_underflow 0
		.amdhsa_exception_fp_ieee_inexact 0
		.amdhsa_exception_int_div_zero 0
	.end_amdhsa_kernel
	.section	.text._Z39paged_attention_ll4mi_QKV_mfma16_kernelI14__hip_bfloat16hLN4vllm18Fp8KVCacheDataTypeE1ES0_Li16ELi64ELi256ELb1ELi8EL8MFMAType0EEvPKT_PKT0_S9_ifPKiSB_SB_iPKfiiiPfSE_PS4_PT2_iSD_SD_,"axG",@progbits,_Z39paged_attention_ll4mi_QKV_mfma16_kernelI14__hip_bfloat16hLN4vllm18Fp8KVCacheDataTypeE1ES0_Li16ELi64ELi256ELb1ELi8EL8MFMAType0EEvPKT_PKT0_S9_ifPKiSB_SB_iPKfiiiPfSE_PS4_PT2_iSD_SD_,comdat
.Lfunc_end1701:
	.size	_Z39paged_attention_ll4mi_QKV_mfma16_kernelI14__hip_bfloat16hLN4vllm18Fp8KVCacheDataTypeE1ES0_Li16ELi64ELi256ELb1ELi8EL8MFMAType0EEvPKT_PKT0_S9_ifPKiSB_SB_iPKfiiiPfSE_PS4_PT2_iSD_SD_, .Lfunc_end1701-_Z39paged_attention_ll4mi_QKV_mfma16_kernelI14__hip_bfloat16hLN4vllm18Fp8KVCacheDataTypeE1ES0_Li16ELi64ELi256ELb1ELi8EL8MFMAType0EEvPKT_PKT0_S9_ifPKiSB_SB_iPKfiiiPfSE_PS4_PT2_iSD_SD_
                                        ; -- End function
	.section	.AMDGPU.csdata,"",@progbits
; Kernel info:
; codeLenInByte = 8724
; NumSgprs: 40
; NumVgprs: 124
; ScratchSize: 0
; MemoryBound: 0
; FloatMode: 240
; IeeeMode: 1
; LDSByteSize: 17472 bytes/workgroup (compile time only)
; SGPRBlocks: 4
; VGPRBlocks: 15
; NumSGPRsForWavesPerEU: 40
; NumVGPRsForWavesPerEU: 124
; Occupancy: 10
; WaveLimiterHint : 1
; COMPUTE_PGM_RSRC2:SCRATCH_EN: 0
; COMPUTE_PGM_RSRC2:USER_SGPR: 13
; COMPUTE_PGM_RSRC2:TRAP_HANDLER: 0
; COMPUTE_PGM_RSRC2:TGID_X_EN: 1
; COMPUTE_PGM_RSRC2:TGID_Y_EN: 1
; COMPUTE_PGM_RSRC2:TGID_Z_EN: 1
; COMPUTE_PGM_RSRC2:TIDIG_COMP_CNT: 0
	.section	.text._Z39paged_attention_ll4mi_QKV_mfma16_kernelI14__hip_bfloat16hLN4vllm18Fp8KVCacheDataTypeE1ES0_Li16ELi64ELi256ELb1ELi9EL8MFMAType0EEvPKT_PKT0_S9_ifPKiSB_SB_iPKfiiiPfSE_PS4_PT2_iSD_SD_,"axG",@progbits,_Z39paged_attention_ll4mi_QKV_mfma16_kernelI14__hip_bfloat16hLN4vllm18Fp8KVCacheDataTypeE1ES0_Li16ELi64ELi256ELb1ELi9EL8MFMAType0EEvPKT_PKT0_S9_ifPKiSB_SB_iPKfiiiPfSE_PS4_PT2_iSD_SD_,comdat
	.protected	_Z39paged_attention_ll4mi_QKV_mfma16_kernelI14__hip_bfloat16hLN4vllm18Fp8KVCacheDataTypeE1ES0_Li16ELi64ELi256ELb1ELi9EL8MFMAType0EEvPKT_PKT0_S9_ifPKiSB_SB_iPKfiiiPfSE_PS4_PT2_iSD_SD_ ; -- Begin function _Z39paged_attention_ll4mi_QKV_mfma16_kernelI14__hip_bfloat16hLN4vllm18Fp8KVCacheDataTypeE1ES0_Li16ELi64ELi256ELb1ELi9EL8MFMAType0EEvPKT_PKT0_S9_ifPKiSB_SB_iPKfiiiPfSE_PS4_PT2_iSD_SD_
	.globl	_Z39paged_attention_ll4mi_QKV_mfma16_kernelI14__hip_bfloat16hLN4vllm18Fp8KVCacheDataTypeE1ES0_Li16ELi64ELi256ELb1ELi9EL8MFMAType0EEvPKT_PKT0_S9_ifPKiSB_SB_iPKfiiiPfSE_PS4_PT2_iSD_SD_
	.p2align	8
	.type	_Z39paged_attention_ll4mi_QKV_mfma16_kernelI14__hip_bfloat16hLN4vllm18Fp8KVCacheDataTypeE1ES0_Li16ELi64ELi256ELb1ELi9EL8MFMAType0EEvPKT_PKT0_S9_ifPKiSB_SB_iPKfiiiPfSE_PS4_PT2_iSD_SD_,@function
_Z39paged_attention_ll4mi_QKV_mfma16_kernelI14__hip_bfloat16hLN4vllm18Fp8KVCacheDataTypeE1ES0_Li16ELi64ELi256ELb1ELi9EL8MFMAType0EEvPKT_PKT0_S9_ifPKiSB_SB_iPKfiiiPfSE_PS4_PT2_iSD_SD_: ; @_Z39paged_attention_ll4mi_QKV_mfma16_kernelI14__hip_bfloat16hLN4vllm18Fp8KVCacheDataTypeE1ES0_Li16ELi64ELi256ELb1ELi9EL8MFMAType0EEvPKT_PKT0_S9_ifPKiSB_SB_iPKfiiiPfSE_PS4_PT2_iSD_SD_
; %bb.0:
	s_load_b64 s[2:3], s[0:1], 0x30
	s_mov_b32 s34, s13
	s_waitcnt lgkmcnt(0)
	s_cmp_lg_u64 s[2:3], 0
	s_cselect_b32 s8, -1, 0
	s_ashr_i32 s35, s13, 31
	s_cmp_eq_u64 s[2:3], 0
	s_cbranch_scc1 .LBB1702_3
; %bb.1:
	s_lshl_b64 s[4:5], s[34:35], 2
	s_delay_alu instid0(SALU_CYCLE_1) | instskip(SKIP_4) | instid1(SALU_CYCLE_1)
	s_add_u32 s4, s2, s4
	s_addc_u32 s5, s3, s5
	s_load_b64 s[4:5], s[4:5], 0x0
	s_waitcnt lgkmcnt(0)
	s_sub_i32 s4, s5, s4
	s_cmp_eq_u32 s4, 1
	s_cselect_b32 s4, -1, 0
	s_delay_alu instid0(SALU_CYCLE_1)
	s_and_not1_b32 vcc_lo, exec_lo, s4
	s_cbranch_vccz .LBB1702_4
.LBB1702_2:
	s_nop 0
	s_sendmsg sendmsg(MSG_DEALLOC_VGPRS)
	s_endpgm
.LBB1702_3:
.LBB1702_4:
	s_load_b64 s[4:5], s[0:1], 0x28
	s_lshl_b64 s[6:7], s[34:35], 2
	s_waitcnt lgkmcnt(0)
	s_add_u32 s4, s4, s6
	s_addc_u32 s5, s5, s7
	s_lshl_b32 s12, s14, 8
	s_load_b32 s24, s[4:5], 0x0
	s_waitcnt lgkmcnt(0)
	s_cmp_ge_i32 s12, s24
	s_cbranch_scc1 .LBB1702_2
; %bb.5:
	s_clause 0x1
	s_load_b128 s[20:23], s[0:1], 0x8
	s_load_b64 s[4:5], s[0:1], 0x20
	s_and_not1_b32 vcc_lo, exec_lo, s8
	s_cbranch_vccnz .LBB1702_7
; %bb.6:
	s_add_u32 s2, s2, s6
	s_addc_u32 s3, s3, s7
	s_load_b32 s3, s[2:3], 0x0
	s_branch .LBB1702_8
.LBB1702_7:
	s_mov_b32 s3, s34
.LBB1702_8:
	s_load_b128 s[16:19], s[0:1], 0x48
	v_lshrrev_b32_e32 v66, 5, v0
	v_bfe_u32 v74, v0, 4, 1
	v_and_b32_e32 v65, 15, v0
	v_and_b32_e32 v67, 31, v0
	;; [unrolled: 1-line block ×3, first 2 shown]
	s_mul_i32 s31, s15, 9
	v_lshl_or_b32 v1, v66, 1, v74
	v_lshlrev_b32_e32 v2, 3, v65
	v_cmp_gt_u32_e64 s2, 8, v65
	s_delay_alu instid0(VALU_DEP_3) | instskip(NEXT) | instid1(VALU_DEP_3)
	v_cmp_gt_u32_e32 vcc_lo, 9, v1
	v_lshlrev_b32_e32 v73, 1, v2
	s_delay_alu instid0(VALU_DEP_3) | instskip(NEXT) | instid1(SALU_CYCLE_1)
	s_and_b32 s7, s2, vcc_lo
	s_and_saveexec_b32 s6, s7
	s_cbranch_execz .LBB1702_10
; %bb.9:
	s_load_b64 s[8:9], s[0:1], 0x0
	v_add_lshl_u32 v2, v1, s31, 6
	s_waitcnt lgkmcnt(0)
	s_mul_hi_i32 s11, s3, s16
	s_mul_i32 s10, s3, s16
	v_lshlrev_b32_e32 v6, 10, v65
	s_lshl_b64 s[10:11], s[10:11], 1
	v_ashrrev_i32_e32 v3, 31, v2
	v_lshlrev_b32_e32 v1, 6, v1
	v_lshlrev_b32_e32 v7, 10, v75
	v_and_b32_e32 v6, 0x3800, v6
	s_delay_alu instid0(VALU_DEP_4) | instskip(NEXT) | instid1(VALU_DEP_2)
	v_lshlrev_b64 v[2:3], 1, v[2:3]
	v_or3_b32 v1, v6, v7, v1
	s_add_u32 s3, s8, s10
	s_addc_u32 s7, s9, s11
	s_delay_alu instid0(VALU_DEP_2) | instskip(NEXT) | instid1(VALU_DEP_3)
	v_add_co_u32 v2, vcc_lo, s3, v2
	v_add_co_ci_u32_e32 v3, vcc_lo, s7, v3, vcc_lo
	s_delay_alu instid0(VALU_DEP_2) | instskip(NEXT) | instid1(VALU_DEP_2)
	v_add_co_u32 v2, vcc_lo, v2, v73
	v_add_co_ci_u32_e32 v3, vcc_lo, 0, v3, vcc_lo
	global_load_b128 v[2:5], v[2:3], off
	s_waitcnt vmcnt(0)
	ds_store_b128 v1, v[2:5]
.LBB1702_10:
	s_or_b32 exec_lo, exec_lo, s6
	v_and_b32_e32 v1, 0xef, v0
	s_waitcnt lgkmcnt(0)
	s_add_i32 s3, s24, 15
	s_clause 0x1
	s_load_b32 s6, s[0:1], 0x38
	s_load_b32 s19, s[0:1], 0x1c
	s_ashr_i32 s7, s3, 31
	v_add_nc_u32_e32 v1, s12, v1
	s_lshr_b32 s7, s7, 28
	s_waitcnt lgkmcnt(0)
	s_add_i32 s3, s3, s7
	s_barrier
	v_ashrrev_i32_e32 v2, 31, v1
	v_or_b32_e32 v3, 16, v1
	s_ashr_i32 s3, s3, 4
	v_cmp_gt_i32_e32 vcc_lo, s24, v1
	s_add_i32 s3, s3, -1
	v_lshrrev_b32_e32 v2, 28, v2
	buffer_gl0_inv
	s_mul_i32 s27, s15, s18
	v_add_nc_u32_e32 v4, v1, v2
	s_mul_i32 s6, s34, s6
	s_delay_alu instid0(SALU_CYCLE_1) | instskip(NEXT) | instid1(VALU_DEP_1)
	s_ashr_i32 s7, s6, 31
	v_ashrrev_i32_e32 v4, 4, v4
	v_add_nc_u32_e32 v2, v3, v2
	s_lshl_b64 s[6:7], s[6:7], 2
	s_delay_alu instid0(SALU_CYCLE_1) | instskip(NEXT) | instid1(VALU_DEP_2)
	s_add_u32 s26, s4, s6
	v_cndmask_b32_e32 v1, s3, v4, vcc_lo
	s_delay_alu instid0(VALU_DEP_2)
	v_ashrrev_i32_e32 v2, 4, v2
	v_cmp_gt_i32_e32 vcc_lo, s24, v3
	s_addc_u32 s25, s5, s7
	s_ashr_i32 s28, s27, 31
	s_add_u32 s13, s20, s27
	s_addc_u32 s15, s21, s28
	v_cndmask_b32_e32 v3, s3, v2, vcc_lo
	v_ashrrev_i32_e32 v2, 31, v1
	s_lshl_b32 s4, s14, 4
	s_delay_alu instid0(SALU_CYCLE_1) | instskip(NEXT) | instid1(VALU_DEP_2)
	s_ashr_i32 s5, s4, 31
	v_ashrrev_i32_e32 v4, 31, v3
	s_delay_alu instid0(VALU_DEP_2) | instskip(SKIP_1) | instid1(SALU_CYCLE_1)
	v_lshlrev_b64 v[1:2], 2, v[1:2]
	s_lshl_b64 s[4:5], s[4:5], 2
	s_add_u32 s4, s26, s4
	s_delay_alu instid0(VALU_DEP_2) | instskip(SKIP_1) | instid1(VALU_DEP_2)
	v_lshlrev_b64 v[3:4], 2, v[3:4]
	s_addc_u32 s5, s25, s5
	v_add_co_u32 v1, vcc_lo, s26, v1
	v_add_co_ci_u32_e32 v2, vcc_lo, s25, v2, vcc_lo
	s_delay_alu instid0(VALU_DEP_3) | instskip(NEXT) | instid1(VALU_DEP_4)
	v_add_co_u32 v3, vcc_lo, s26, v3
	v_add_co_ci_u32_e32 v4, vcc_lo, s25, v4, vcc_lo
	s_clause 0x1
	global_load_b32 v5, v[1:2], off
	global_load_b32 v7, v[3:4], off
	s_or_b32 s6, s12, 32
	v_lshlrev_b32_e32 v1, 4, v0
	s_ashr_i32 s7, s6, 4
	s_cmp_lt_i32 s6, s24
	v_cmp_gt_u32_e32 vcc_lo, 9, v65
	s_cselect_b32 s6, s7, s3
	v_and_b32_e32 v1, 0xf0, v1
	s_ashr_i32 s7, s6, 31
	s_delay_alu instid0(SALU_CYCLE_1) | instskip(NEXT) | instid1(SALU_CYCLE_1)
	s_lshl_b64 s[6:7], s[6:7], 2
	s_add_u32 s6, s26, s6
	s_addc_u32 s7, s25, s7
	s_or_b32 s8, s12, 64
	v_add_co_u32 v1, s13, s13, v1
	s_ashr_i32 s9, s8, 4
	s_cmp_lt_i32 s8, s24
	v_add_co_ci_u32_e64 v2, null, s15, 0, s13
	s_cselect_b32 s8, s9, s3
	s_delay_alu instid0(SALU_CYCLE_1) | instskip(NEXT) | instid1(SALU_CYCLE_1)
	s_ashr_i32 s9, s8, 31
	s_lshl_b64 s[8:9], s[8:9], 2
	s_delay_alu instid0(SALU_CYCLE_1) | instskip(SKIP_2) | instid1(SALU_CYCLE_1)
	s_add_u32 s8, s26, s8
	s_addc_u32 s9, s25, s9
	s_or_b32 s10, s12, 0x60
	s_ashr_i32 s11, s10, 4
	s_cmp_lt_i32 s10, s24
	s_cselect_b32 s10, s11, s3
	s_delay_alu instid0(SALU_CYCLE_1) | instskip(NEXT) | instid1(SALU_CYCLE_1)
	s_ashr_i32 s11, s10, 31
	s_lshl_b64 s[10:11], s[10:11], 2
	s_delay_alu instid0(SALU_CYCLE_1) | instskip(SKIP_2) | instid1(SALU_CYCLE_1)
	s_add_u32 s10, s26, s10
	s_addc_u32 s11, s25, s11
	s_or_b32 s16, s12, 0x80
	s_ashr_i32 s18, s16, 4
	s_cmp_lt_i32 s16, s24
	;; [unrolled: 10-line block ×3, first 2 shown]
	s_cselect_b32 s20, s18, s3
	s_delay_alu instid0(SALU_CYCLE_1) | instskip(NEXT) | instid1(SALU_CYCLE_1)
	s_ashr_i32 s21, s20, 31
	s_lshl_b64 s[20:21], s[20:21], 2
	s_delay_alu instid0(SALU_CYCLE_1)
	s_add_u32 s38, s26, s20
	s_addc_u32 s39, s25, s21
	s_clause 0x5
	s_load_b32 s21, s[4:5], 0x0
	s_load_b32 s13, s[6:7], 0x0
	;; [unrolled: 1-line block ×6, first 2 shown]
	s_or_b32 s8, s12, 0xc0
	s_mov_b32 s4, 0
	s_ashr_i32 s9, s8, 4
	s_cmp_lt_i32 s8, s24
	s_mov_b32 s11, s4
	s_cselect_b32 s36, s9, s3
	s_mov_b32 s5, s4
	s_ashr_i32 s37, s36, 31
	s_mov_b32 s6, s4
	s_lshl_b64 s[36:37], s[36:37], 2
	s_mov_b32 s7, s4
	s_add_u32 s36, s26, s36
	s_addc_u32 s37, s25, s37
	s_or_b32 s29, s12, 0xe0
	s_mov_b32 s8, s4
	s_ashr_i32 s30, s29, 4
	s_mov_b32 s9, s4
	s_mov_b32 s10, s4
	s_cmp_lt_i32 s29, s24
	v_dual_mov_b32 v107, s11 :: v_dual_mov_b32 v100, s4
	v_mov_b32_e32 v106, s10
	v_dual_mov_b32 v104, s8 :: v_dual_mov_b32 v103, s7
	v_dual_mov_b32 v102, s6 :: v_dual_mov_b32 v101, s5
	s_waitcnt vmcnt(1)
	v_mad_i64_i32 v[3:4], null, v5, s17, v[1:2]
	s_waitcnt vmcnt(0)
	v_mad_i64_i32 v[5:6], null, v7, s17, v[1:2]
	v_add_nc_u32_e32 v1, -9, v65
	v_lshlrev_b32_e32 v2, 4, v65
	s_clause 0x7
	global_load_b128 v[49:52], v[3:4], off
	global_load_b128 v[53:56], v[3:4], off offset:256
	global_load_b128 v[76:79], v[5:6], off
	global_load_b128 v[80:83], v[5:6], off offset:256
	global_load_b128 v[84:87], v[3:4], off offset:512
	;; [unrolled: 1-line block ×5, first 2 shown]
	v_cndmask_b32_e32 v1, v1, v65, vcc_lo
	v_mov_b32_e32 v105, s9
	s_cselect_b32 s4, s30, s3
	v_lshl_or_b32 v2, v66, 8, v2
	s_ashr_i32 s5, s4, 31
	v_lshlrev_b32_e32 v70, 6, v1
	s_lshl_b64 s[4:5], s[4:5], 2
	s_load_b32 s3, s[36:37], 0x0
	s_add_u32 s4, s26, s4
	s_addc_u32 s5, s25, s5
	ds_load_b128 v[108:111], v70
	ds_load_b128 v[112:115], v70 offset:1024
	s_load_b32 s4, s[4:5], 0x0
	s_add_u32 s6, s22, s27
	s_addc_u32 s7, s23, s28
	v_add_co_u32 v9, s6, s6, v2
	s_delay_alu instid0(VALU_DEP_1) | instskip(SKIP_1) | instid1(VALU_DEP_1)
	v_add_co_ci_u32_e64 v10, null, s7, 0, s6
	s_waitcnt lgkmcnt(0)
	v_mad_i64_i32 v[1:2], null, s21, s17, v[9:10]
	v_mad_i64_i32 v[3:4], null, s13, s17, v[9:10]
	;; [unrolled: 1-line block ×7, first 2 shown]
	s_clause 0x9
	global_load_b128 v[57:60], v[1:2], off
	global_load_b128 v[61:64], v[1:2], off offset:16
	global_load_b128 v[41:44], v[3:4], off
	global_load_b128 v[45:48], v[3:4], off offset:16
	;; [unrolled: 2-line block ×5, first 2 shown]
	v_mad_i64_i32 v[68:69], null, s4, s17, v[9:10]
	s_clause 0x3
	global_load_b128 v[9:12], v[13:14], off
	global_load_b128 v[13:16], v[13:14], off offset:16
	global_load_b128 v[17:20], v[21:22], off
	global_load_b128 v[21:24], v[21:22], off offset:16
	s_waitcnt vmcnt(20)
	v_wmma_f32_16x16x16_bf16 v[116:123], v[49:56], v[108:115], v[100:107]
	s_clause 0x1
	global_load_b128 v[49:52], v[68:69], off
	global_load_b128 v[53:56], v[68:69], off offset:16
	v_and_b32_e32 v68, 0xe0, v0
	v_mbcnt_lo_u32_b32 v69, -1, 0
	s_delay_alu instid0(VALU_DEP_2)
	v_add_nc_u32_e32 v68, s12, v68
	s_waitcnt vmcnt(20)
	v_wmma_f32_16x16x16_bf16 v[100:107], v[76:83], v[108:115], v[100:107]
	ds_load_b128 v[76:79], v70 offset:2048
	ds_load_b128 v[80:83], v70 offset:3072
	v_xor_b32_e32 v70, 16, v69
	s_waitcnt vmcnt(0) lgkmcnt(0)
	v_or_b32_e32 v68, v68, v74
	s_barrier
	buffer_gl0_inv
	v_cmp_gt_i32_e32 vcc_lo, 32, v70
	v_or_b32_e32 v71, 4, v68
	v_or_b32_e32 v72, 6, v68
	v_cmp_gt_i32_e64 s3, s24, v68
	v_or_b32_e32 v108, 8, v68
	v_or_b32_e32 v109, 10, v68
	v_cmp_gt_i32_e64 s4, s24, v71
	v_cmp_gt_i32_e64 s5, s24, v72
	s_delay_alu instid0(VALU_DEP_4) | instskip(NEXT) | instid1(VALU_DEP_4)
	v_cmp_gt_i32_e64 s6, s24, v108
	v_cmp_gt_i32_e64 s7, s24, v109
	v_wmma_f32_16x16x16_bf16 v[116:123], v[84:91], v[76:83], v[116:123]
	v_cndmask_b32_e32 v69, v69, v70, vcc_lo
	v_or_b32_e32 v70, 2, v68
	v_wmma_f32_16x16x16_bf16 v[100:107], v[92:99], v[76:83], v[100:107]
	v_or_b32_e32 v89, 22, v68
	v_dual_mul_f32 v82, s19, v119 :: v_dual_mul_f32 v79, s19, v122
	v_dual_mul_f32 v92, s19, v117 :: v_dual_mul_f32 v93, s19, v116
	s_delay_alu instid0(VALU_DEP_4) | instskip(SKIP_2) | instid1(VALU_DEP_4)
	v_mul_f32_e32 v98, s19, v103
	v_cmp_gt_i32_e32 vcc_lo, s24, v70
	v_dual_mul_f32 v83, s19, v118 :: v_dual_mul_f32 v96, s19, v105
	v_cndmask_b32_e64 v93, 0xff7fffff, v93, s3
	v_or_b32_e32 v84, 12, v68
	v_cndmask_b32_e32 v92, 0xff7fffff, v92, vcc_lo
	v_or_b32_e32 v85, 14, v68
	v_dual_mul_f32 v80, s19, v121 :: v_dual_mul_f32 v81, s19, v120
	v_mul_f32_e32 v94, s19, v107
	v_cndmask_b32_e64 v71, 0xff7fffff, v83, s4
	v_cndmask_b32_e64 v72, 0xff7fffff, v82, s5
	v_cmp_gt_i32_e64 s13, s24, v89
	v_lshlrev_b32_e32 v89, 2, v69
	v_max3_f32 v82, v93, 0xff7fffff, v92
	v_or_b32_e32 v86, 16, v68
	v_or_b32_e32 v87, 18, v68
	v_mul_f32_e32 v78, s19, v123
	v_cndmask_b32_e64 v81, 0xff7fffff, v81, s6
	v_cndmask_b32_e64 v80, 0xff7fffff, v80, s7
	v_max3_f32 v71, v82, v71, v72
	v_cmp_gt_i32_e64 s8, s24, v84
	v_cmp_gt_i32_e64 s9, s24, v85
	v_or_b32_e32 v88, 20, v68
	v_or_b32_e32 v90, 24, v68
	;; [unrolled: 1-line block ×5, first 2 shown]
	v_dual_mul_f32 v95, s19, v106 :: v_dual_mul_f32 v70, s19, v101
	v_dual_mul_f32 v99, s19, v102 :: v_dual_mul_f32 v68, s19, v100
	v_cndmask_b32_e64 v72, 0xff7fffff, v79, s8
	v_cndmask_b32_e64 v78, 0xff7fffff, v78, s9
	v_max3_f32 v71, v71, v81, v80
	v_cmp_gt_i32_e64 s10, s24, v86
	v_cmp_gt_i32_e64 s11, s24, v87
	;; [unrolled: 1-line block ×3, first 2 shown]
	v_mul_f32_e32 v97, s19, v104
	v_max3_f32 v71, v71, v72, v78
	v_cndmask_b32_e64 v68, 0xff7fffff, v68, s10
	v_cndmask_b32_e64 v70, 0xff7fffff, v70, s11
	;; [unrolled: 1-line block ×4, first 2 shown]
	v_cmp_gt_i32_e64 s15, s24, v90
	v_cmp_gt_i32_e64 s16, s24, v91
	v_max3_f32 v68, v71, v68, v70
	v_cmp_gt_i32_e64 s17, s24, v76
	v_cmp_gt_i32_e64 s18, s24, v77
	v_cndmask_b32_e64 v70, 0xff7fffff, v97, s15
	v_cndmask_b32_e64 v71, 0xff7fffff, v96, s16
	v_max3_f32 v68, v68, v72, v78
	v_cndmask_b32_e64 v72, 0xff7fffff, v95, s17
	v_cndmask_b32_e64 v76, 0xff7fffff, v94, s18
	s_delay_alu instid0(VALU_DEP_3) | instskip(NEXT) | instid1(VALU_DEP_1)
	v_max3_f32 v68, v68, v70, v71
	v_max3_f32 v68, v68, v72, v76
	ds_bpermute_b32 v69, v89, v68
	s_waitcnt lgkmcnt(0)
	v_max_f32_e32 v69, v69, v69
	s_delay_alu instid0(VALU_DEP_1) | instskip(NEXT) | instid1(VALU_DEP_1)
	v_max_f32_e32 v68, v68, v69
	v_fma_f32 v69, s19, v116, -v68
	v_fma_f32 v70, s19, v117, -v68
	;; [unrolled: 1-line block ×5, first 2 shown]
	s_delay_alu instid0(VALU_DEP_4) | instskip(NEXT) | instid1(VALU_DEP_4)
	v_dual_mul_f32 v69, 0x3fb8aa3b, v69 :: v_dual_mul_f32 v70, 0x3fb8aa3b, v70
	v_mul_f32_e32 v72, 0x3fb8aa3b, v72
	v_fma_f32 v78, s19, v122, -v68
	s_delay_alu instid0(VALU_DEP_4) | instskip(NEXT) | instid1(VALU_DEP_4)
	v_mul_f32_e32 v77, 0x3fb8aa3b, v76
	v_exp_f32_e32 v69, v69
	v_exp_f32_e32 v70, v70
	v_mul_f32_e32 v71, 0x3fb8aa3b, v71
	v_exp_f32_e32 v72, v72
	v_mul_f32_e32 v78, 0x3fb8aa3b, v78
	v_exp_f32_e32 v77, v77
	v_fma_f32 v81, s19, v105, -v68
	s_delay_alu instid0(VALU_DEP_2)
	v_exp_f32_e32 v78, v78
	v_cndmask_b32_e64 v80, 0, v69, s3
	v_cndmask_b32_e32 v76, 0, v70, vcc_lo
	v_exp_f32_e32 v71, v71
	v_fma_f32 v69, s19, v121, -v68
	v_cndmask_b32_e64 v85, 0, v72, s5
	v_add_f32_e32 v70, 0, v80
	s_delay_alu instid0(TRANS32_DEP_3)
	v_cndmask_b32_e64 v86, 0, v77, s6
	v_fma_f32 v77, s19, v101, -v68
	v_mul_f32_e32 v69, 0x3fb8aa3b, v69
	v_fma_f32 v72, s19, v100, -v68
	v_cndmask_b32_e64 v84, 0, v78, s8
	v_fma_f32 v78, s19, v103, -v68
	v_cndmask_b32_e64 v83, 0, v71, s4
	v_fma_f32 v71, s19, v123, -v68
	v_add_f32_e32 v70, v70, v76
	v_exp_f32_e32 v69, v69
	v_mul_f32_e32 v77, 0x3fb8aa3b, v77
	v_mul_f32_e32 v81, 0x3fb8aa3b, v81
	;; [unrolled: 1-line block ×3, first 2 shown]
	v_add_f32_e32 v70, v70, v83
	v_cmp_gt_u32_e64 s3, 16, v67
	v_exp_f32_e32 v77, v77
	v_exp_f32_e32 v81, v81
	v_exp_f32_e32 v71, v71
	v_cndmask_b32_e64 v87, 0, v69, s7
	v_add_f32_e32 v70, v70, v85
	s_delay_alu instid0(VALU_DEP_1) | instskip(SKIP_1) | instid1(VALU_DEP_2)
	v_dual_mul_f32 v72, 0x3fb8aa3b, v72 :: v_dual_add_f32 v69, v70, v86
	v_fma_f32 v70, s19, v102, -v68
	v_exp_f32_e32 v72, v72
	s_waitcnt_depctr 0xfff
	v_cndmask_b32_e64 v88, 0, v71, s9
	v_fma_f32 v71, s19, v104, -v68
	v_dual_add_f32 v69, v69, v87 :: v_dual_mul_f32 v70, 0x3fb8aa3b, v70
	s_delay_alu instid0(VALU_DEP_2) | instskip(NEXT) | instid1(VALU_DEP_2)
	v_dual_mul_f32 v78, 0x3fb8aa3b, v78 :: v_dual_mul_f32 v71, 0x3fb8aa3b, v71
	v_add_f32_e32 v69, v69, v84
	s_delay_alu instid0(VALU_DEP_3) | instskip(SKIP_1) | instid1(VALU_DEP_3)
	v_exp_f32_e32 v79, v70
	v_cndmask_b32_e64 v70, 0, v72, s10
	v_exp_f32_e32 v78, v78
	v_exp_f32_e32 v82, v71
	v_add_f32_e32 v72, v69, v88
	v_cndmask_b32_e64 v69, 0, v77, s11
	v_fma_f32 v77, s19, v106, -v68
	s_delay_alu instid0(VALU_DEP_3) | instskip(NEXT) | instid1(TRANS32_DEP_3)
	v_add_f32_e32 v72, v72, v70
	v_cndmask_b32_e64 v71, 0, v79, s12
	s_delay_alu instid0(VALU_DEP_3) | instskip(NEXT) | instid1(VALU_DEP_3)
	v_mul_f32_e32 v77, 0x3fb8aa3b, v77
	v_add_f32_e32 v79, v72, v69
	s_delay_alu instid0(TRANS32_DEP_2) | instskip(NEXT) | instid1(VALU_DEP_3)
	v_cndmask_b32_e64 v72, 0, v78, s13
	v_exp_f32_e32 v90, v77
	v_cndmask_b32_e64 v77, 0, v82, s15
	s_delay_alu instid0(VALU_DEP_3) | instskip(SKIP_1) | instid1(VALU_DEP_1)
	v_add_f32_e32 v78, v79, v71
	v_fma_f32 v79, s19, v107, -v68
	v_dual_add_f32 v82, v78, v72 :: v_dual_mul_f32 v79, 0x3fb8aa3b, v79
	v_cndmask_b32_e64 v78, 0, v81, s16
	s_delay_alu instid0(VALU_DEP_2) | instskip(NEXT) | instid1(VALU_DEP_3)
	v_add_f32_e32 v81, v82, v77
	v_exp_f32_e32 v82, v79
	s_delay_alu instid0(TRANS32_DEP_2) | instskip(NEXT) | instid1(VALU_DEP_2)
	v_cndmask_b32_e64 v79, 0, v90, s17
	v_add_f32_e32 v81, v81, v78
	s_delay_alu instid0(VALU_DEP_1) | instskip(SKIP_2) | instid1(VALU_DEP_1)
	v_add_f32_e32 v90, v81, v79
	s_waitcnt_depctr 0xfff
	v_cndmask_b32_e64 v81, 0, v82, s18
	v_add_f32_e32 v82, v90, v81
	ds_bpermute_b32 v89, v89, v82
	s_and_saveexec_b32 s4, s3
	s_cbranch_execz .LBB1702_12
; %bb.11:
	v_mul_u32_u24_e32 v67, 0x44, v66
	s_delay_alu instid0(VALU_DEP_1) | instskip(SKIP_1) | instid1(VALU_DEP_1)
	v_lshl_add_u32 v67, v65, 2, v67
	s_waitcnt lgkmcnt(0)
	v_dual_add_f32 v82, v82, v89 :: v_dual_add_nc_u32 v67, 0x4000, v67
	ds_store_2addr_b32 v67, v68, v82 offset1:136
.LBB1702_12:
	s_or_b32 exec_lo, exec_lo, s4
	v_lshlrev_b32_e32 v67, 2, v65
	s_waitcnt lgkmcnt(0)
	s_barrier
	buffer_gl0_inv
	v_cmp_eq_u32_e32 vcc_lo, 1, v66
	v_add_nc_u32_e32 v82, 0x4000, v67
	v_cmp_eq_u32_e64 s4, 2, v66
	v_cmp_eq_u32_e64 s6, 7, v66
	ds_load_2addr_b32 v[89:90], v82 offset1:17
	ds_load_2addr_b32 v[91:92], v82 offset0:34 offset1:51
	ds_load_2addr_b32 v[93:94], v82 offset0:68 offset1:85
	;; [unrolled: 1-line block ×4, first 2 shown]
	s_waitcnt lgkmcnt(4)
	v_max3_f32 v67, v89, 0xff7fffff, v90
	s_waitcnt lgkmcnt(3)
	s_delay_alu instid0(VALU_DEP_1) | instskip(SKIP_1) | instid1(VALU_DEP_1)
	v_max3_f32 v67, v67, v91, v92
	s_waitcnt lgkmcnt(2)
	v_max3_f32 v67, v67, v93, v94
	s_waitcnt lgkmcnt(1)
	s_delay_alu instid0(VALU_DEP_1) | instskip(NEXT) | instid1(VALU_DEP_1)
	v_max3_f32 v67, v67, v95, v96
	v_sub_f32_e32 v93, v93, v67
	s_delay_alu instid0(VALU_DEP_1) | instskip(NEXT) | instid1(VALU_DEP_1)
	v_dual_sub_f32 v68, v89, v67 :: v_dual_mul_f32 v103, 0x3fb8aa3b, v93
	v_mul_f32_e32 v68, 0x3fb8aa3b, v68
	s_delay_alu instid0(VALU_DEP_1)
	v_exp_f32_e32 v100, v68
	v_sub_f32_e32 v68, v92, v67
	v_sub_f32_e32 v99, v90, v67
	ds_load_2addr_b32 v[89:90], v82 offset0:170 offset1:187
	v_dual_mul_f32 v102, 0x3fb8aa3b, v68 :: v_dual_mul_f32 v99, 0x3fb8aa3b, v99
	s_waitcnt lgkmcnt(1)
	v_fma_f32 v68, v100, v97, 0
	s_delay_alu instid0(VALU_DEP_2) | instskip(NEXT) | instid1(VALU_DEP_2)
	v_exp_f32_e32 v102, v102
	v_exp_f32_e32 v99, v99
	s_waitcnt_depctr 0xfff
	v_fmac_f32_e32 v68, v99, v98
	v_sub_f32_e32 v91, v91, v67
	s_delay_alu instid0(VALU_DEP_1)
	v_mul_f32_e32 v101, 0x3fb8aa3b, v91
	ds_load_2addr_b32 v[91:92], v82 offset0:204 offset1:221
	v_sub_f32_e32 v97, v94, v67
	ds_load_2addr_b32 v[93:94], v82 offset0:238 offset1:255
	s_waitcnt lgkmcnt(0)
	v_exp_f32_e32 v101, v101
	s_barrier
	buffer_gl0_inv
	v_dual_fmac_f32 v68, v101, v89 :: v_dual_sub_f32 v89, v96, v67
	v_dual_sub_f32 v82, v95, v67 :: v_dual_mul_f32 v95, 0x3fb8aa3b, v97
	v_exp_f32_e32 v97, v103
	s_delay_alu instid0(VALU_DEP_2) | instskip(NEXT) | instid1(VALU_DEP_2)
	v_dual_fmac_f32 v68, v102, v90 :: v_dual_mul_f32 v89, 0x3fb8aa3b, v89
	v_mul_f32_e32 v82, 0x3fb8aa3b, v82
	s_delay_alu instid0(VALU_DEP_3) | instskip(NEXT) | instid1(VALU_DEP_2)
	v_exp_f32_e32 v95, v95
	v_exp_f32_e32 v89, v89
	s_delay_alu instid0(VALU_DEP_1)
	v_exp_f32_e32 v82, v82
	v_fmac_f32_e32 v68, v97, v91
	s_delay_alu instid0(TRANS32_DEP_3) | instid1(VALU_DEP_1)
	v_fmac_f32_e32 v68, v95, v92
	s_waitcnt_depctr 0xfff
	v_fmac_f32_e32 v68, v82, v93
	s_delay_alu instid0(VALU_DEP_1) | instskip(NEXT) | instid1(VALU_DEP_1)
	v_fmac_f32_e32 v68, v89, v94
	v_add_f32_e32 v90, 0x358637bd, v68
	s_delay_alu instid0(VALU_DEP_1) | instskip(NEXT) | instid1(VALU_DEP_1)
	v_div_scale_f32 v91, null, v90, v90, 1.0
	v_rcp_f32_e32 v92, v91
	s_waitcnt_depctr 0xfff
	v_fma_f32 v93, -v91, v92, 1.0
	s_delay_alu instid0(VALU_DEP_1) | instskip(SKIP_1) | instid1(VALU_DEP_2)
	v_dual_fmac_f32 v92, v93, v92 :: v_dual_cndmask_b32 v93, v100, v99
	v_cmp_eq_u32_e32 vcc_lo, 3, v66
	v_cndmask_b32_e64 v93, v93, v101, s4
	v_cmp_eq_u32_e64 s4, 4, v66
	s_delay_alu instid0(VALU_DEP_2) | instskip(SKIP_1) | instid1(VALU_DEP_2)
	v_cndmask_b32_e32 v93, v93, v102, vcc_lo
	v_cmp_eq_u32_e32 vcc_lo, 5, v66
	v_cndmask_b32_e64 v93, v93, v97, s4
	v_cmp_eq_u32_e64 s4, 6, v66
	s_delay_alu instid0(VALU_DEP_2) | instskip(SKIP_1) | instid1(VALU_DEP_1)
	v_cndmask_b32_e32 v93, v93, v95, vcc_lo
	v_div_scale_f32 v94, s5, 1.0, v90, 1.0
	s_mov_b32 vcc_lo, s5
	s_delay_alu instid0(VALU_DEP_2) | instskip(NEXT) | instid1(VALU_DEP_2)
	v_cndmask_b32_e64 v82, v93, v82, s4
	v_mul_f32_e32 v96, v94, v92
	s_mov_b32 s4, exec_lo
	s_delay_alu instid0(VALU_DEP_2) | instskip(NEXT) | instid1(VALU_DEP_2)
	v_cndmask_b32_e64 v82, v82, v89, s6
	v_fma_f32 v98, -v91, v96, v94
	s_delay_alu instid0(VALU_DEP_1) | instskip(NEXT) | instid1(VALU_DEP_1)
	v_fmac_f32_e32 v96, v98, v92
	v_fma_f32 v91, -v91, v96, v94
	s_delay_alu instid0(VALU_DEP_1) | instskip(NEXT) | instid1(VALU_DEP_1)
	v_div_fmas_f32 v91, v91, v92, v96
	v_div_fixup_f32 v90, v91, v90, 1.0
	s_delay_alu instid0(VALU_DEP_1) | instskip(NEXT) | instid1(VALU_DEP_1)
	v_mul_f32_e32 v82, v82, v90
	v_mul_f32_e32 v87, v82, v87
	v_mul_f32_e32 v90, v82, v80
	v_mul_f32_e32 v80, v82, v88
	v_mul_f32_e32 v84, v82, v84
	v_mul_f32_e32 v88, v82, v86
	v_mul_f32_e32 v89, v82, v85
	v_dual_mul_f32 v86, v82, v83 :: v_dual_and_b32 v91, 0x7f800000, v90
	v_mul_f32_e32 v85, v82, v76
                                        ; implicit-def: $vgpr76
	s_delay_alu instid0(VALU_DEP_2)
	v_cmpx_ne_u32_e32 0x7f800000, v91
	s_xor_b32 s4, exec_lo, s4
; %bb.13:
	v_bfe_u32 v76, v90, 16, 1
	s_delay_alu instid0(VALU_DEP_1)
	v_add3_u32 v76, v90, v76, 0x7fff
                                        ; implicit-def: $vgpr90
; %bb.14:
	s_and_not1_saveexec_b32 s4, s4
; %bb.15:
	v_and_b32_e32 v76, 0xffff, v90
	v_or_b32_e32 v83, 0x10000, v90
	s_delay_alu instid0(VALU_DEP_2) | instskip(NEXT) | instid1(VALU_DEP_2)
	v_cmp_eq_u32_e32 vcc_lo, 0, v76
	v_cndmask_b32_e32 v76, v83, v90, vcc_lo
; %bb.16:
	s_or_b32 exec_lo, exec_lo, s4
	v_and_b32_e32 v83, 0x7f800000, v85
	s_delay_alu instid0(VALU_DEP_1) | instskip(SKIP_1) | instid1(SALU_CYCLE_1)
	v_cmp_ne_u32_e32 vcc_lo, 0x7f800000, v83
                                        ; implicit-def: $vgpr83
	s_and_saveexec_b32 s4, vcc_lo
	s_xor_b32 s4, exec_lo, s4
; %bb.17:
	v_bfe_u32 v83, v85, 16, 1
	s_delay_alu instid0(VALU_DEP_1)
	v_add3_u32 v83, v85, v83, 0x7fff
                                        ; implicit-def: $vgpr85
; %bb.18:
	s_and_not1_saveexec_b32 s4, s4
; %bb.19:
	v_and_b32_e32 v83, 0xffff, v85
	v_or_b32_e32 v90, 0x10000, v85
	s_delay_alu instid0(VALU_DEP_2) | instskip(NEXT) | instid1(VALU_DEP_2)
	v_cmp_eq_u32_e32 vcc_lo, 0, v83
	v_cndmask_b32_e32 v83, v90, v85, vcc_lo
; %bb.20:
	s_or_b32 exec_lo, exec_lo, s4
	v_and_b32_e32 v85, 0x7f800000, v86
	s_delay_alu instid0(VALU_DEP_1) | instskip(SKIP_1) | instid1(SALU_CYCLE_1)
	v_cmp_ne_u32_e32 vcc_lo, 0x7f800000, v85
                                        ; implicit-def: $vgpr85
	s_and_saveexec_b32 s4, vcc_lo
	s_xor_b32 s4, exec_lo, s4
; %bb.21:
	v_bfe_u32 v85, v86, 16, 1
	s_delay_alu instid0(VALU_DEP_1)
	v_add3_u32 v85, v86, v85, 0x7fff
                                        ; implicit-def: $vgpr86
; %bb.22:
	s_and_not1_saveexec_b32 s4, s4
; %bb.23:
	v_and_b32_e32 v85, 0xffff, v86
	v_or_b32_e32 v90, 0x10000, v86
	s_delay_alu instid0(VALU_DEP_2) | instskip(NEXT) | instid1(VALU_DEP_2)
	v_cmp_eq_u32_e32 vcc_lo, 0, v85
	v_cndmask_b32_e32 v85, v90, v86, vcc_lo
; %bb.24:
	s_or_b32 exec_lo, exec_lo, s4
	v_and_b32_e32 v86, 0x7f800000, v89
	s_delay_alu instid0(VALU_DEP_1) | instskip(SKIP_1) | instid1(SALU_CYCLE_1)
	v_cmp_ne_u32_e32 vcc_lo, 0x7f800000, v86
                                        ; implicit-def: $vgpr86
	s_and_saveexec_b32 s4, vcc_lo
	s_xor_b32 s4, exec_lo, s4
; %bb.25:
	v_bfe_u32 v86, v89, 16, 1
	s_delay_alu instid0(VALU_DEP_1)
	v_add3_u32 v86, v89, v86, 0x7fff
                                        ; implicit-def: $vgpr89
; %bb.26:
	s_and_not1_saveexec_b32 s4, s4
; %bb.27:
	v_and_b32_e32 v86, 0xffff, v89
	v_or_b32_e32 v90, 0x10000, v89
	s_delay_alu instid0(VALU_DEP_2) | instskip(NEXT) | instid1(VALU_DEP_2)
	v_cmp_eq_u32_e32 vcc_lo, 0, v86
	v_cndmask_b32_e32 v86, v90, v89, vcc_lo
; %bb.28:
	s_or_b32 exec_lo, exec_lo, s4
	v_and_b32_e32 v89, 0x7f800000, v88
	s_delay_alu instid0(VALU_DEP_1) | instskip(SKIP_1) | instid1(SALU_CYCLE_1)
	v_cmp_ne_u32_e32 vcc_lo, 0x7f800000, v89
                                        ; implicit-def: $vgpr89
	s_and_saveexec_b32 s4, vcc_lo
	s_xor_b32 s4, exec_lo, s4
; %bb.29:
	v_bfe_u32 v89, v88, 16, 1
	s_delay_alu instid0(VALU_DEP_1)
	v_add3_u32 v89, v88, v89, 0x7fff
                                        ; implicit-def: $vgpr88
; %bb.30:
	s_and_not1_saveexec_b32 s4, s4
; %bb.31:
	v_and_b32_e32 v89, 0xffff, v88
	v_or_b32_e32 v90, 0x10000, v88
	s_delay_alu instid0(VALU_DEP_2) | instskip(NEXT) | instid1(VALU_DEP_2)
	v_cmp_eq_u32_e32 vcc_lo, 0, v89
	v_cndmask_b32_e32 v89, v90, v88, vcc_lo
; %bb.32:
	s_or_b32 exec_lo, exec_lo, s4
	v_and_b32_e32 v88, 0x7f800000, v87
	s_delay_alu instid0(VALU_DEP_1) | instskip(SKIP_1) | instid1(SALU_CYCLE_1)
	v_cmp_ne_u32_e32 vcc_lo, 0x7f800000, v88
                                        ; implicit-def: $vgpr88
	s_and_saveexec_b32 s4, vcc_lo
	s_xor_b32 s4, exec_lo, s4
; %bb.33:
	v_bfe_u32 v88, v87, 16, 1
	s_delay_alu instid0(VALU_DEP_1)
	v_add3_u32 v88, v87, v88, 0x7fff
                                        ; implicit-def: $vgpr87
; %bb.34:
	s_and_not1_saveexec_b32 s4, s4
; %bb.35:
	v_and_b32_e32 v88, 0xffff, v87
	v_or_b32_e32 v90, 0x10000, v87
	s_delay_alu instid0(VALU_DEP_2) | instskip(NEXT) | instid1(VALU_DEP_2)
	v_cmp_eq_u32_e32 vcc_lo, 0, v88
	v_cndmask_b32_e32 v88, v90, v87, vcc_lo
; %bb.36:
	s_or_b32 exec_lo, exec_lo, s4
	v_and_b32_e32 v87, 0x7f800000, v84
	s_delay_alu instid0(VALU_DEP_1) | instskip(SKIP_1) | instid1(SALU_CYCLE_1)
	v_cmp_ne_u32_e32 vcc_lo, 0x7f800000, v87
                                        ; implicit-def: $vgpr87
	s_and_saveexec_b32 s4, vcc_lo
	s_xor_b32 s4, exec_lo, s4
; %bb.37:
	v_bfe_u32 v87, v84, 16, 1
	s_delay_alu instid0(VALU_DEP_1)
	v_add3_u32 v87, v84, v87, 0x7fff
                                        ; implicit-def: $vgpr84
; %bb.38:
	s_and_not1_saveexec_b32 s4, s4
; %bb.39:
	v_and_b32_e32 v87, 0xffff, v84
	v_or_b32_e32 v90, 0x10000, v84
	s_delay_alu instid0(VALU_DEP_2) | instskip(NEXT) | instid1(VALU_DEP_2)
	v_cmp_eq_u32_e32 vcc_lo, 0, v87
	v_cndmask_b32_e32 v87, v90, v84, vcc_lo
; %bb.40:
	s_or_b32 exec_lo, exec_lo, s4
	v_and_b32_e32 v84, 0x7f800000, v80
	s_delay_alu instid0(VALU_DEP_1) | instskip(SKIP_1) | instid1(SALU_CYCLE_1)
	v_cmp_ne_u32_e32 vcc_lo, 0x7f800000, v84
                                        ; implicit-def: $vgpr84
	s_and_saveexec_b32 s4, vcc_lo
	s_xor_b32 s4, exec_lo, s4
; %bb.41:
	v_bfe_u32 v84, v80, 16, 1
	s_delay_alu instid0(VALU_DEP_1)
	v_add3_u32 v84, v80, v84, 0x7fff
                                        ; implicit-def: $vgpr80
; %bb.42:
	s_and_not1_saveexec_b32 s4, s4
; %bb.43:
	v_and_b32_e32 v84, 0xffff, v80
	v_or_b32_e32 v90, 0x10000, v80
	s_delay_alu instid0(VALU_DEP_2) | instskip(NEXT) | instid1(VALU_DEP_2)
	v_cmp_eq_u32_e32 vcc_lo, 0, v84
	v_cndmask_b32_e32 v84, v90, v80, vcc_lo
; %bb.44:
	s_or_b32 exec_lo, exec_lo, s4
	s_load_b64 s[36:37], s[0:1], 0x94
	v_lshlrev_b32_e32 v91, 4, v74
	s_delay_alu instid0(VALU_DEP_2)
	v_perm_b32 v90, v84, v87, 0x7060302
	v_dual_mul_f32 v79, v82, v79 :: v_dual_lshlrev_b32 v80, 6, v65
	v_dual_mul_f32 v77, v82, v77 :: v_dual_lshlrev_b32 v92, 11, v66
	v_mul_f32_e32 v84, v82, v70
	v_perm_b32 v89, v88, v89, 0x7060302
	v_perm_b32 v88, v86, v85, 0x7060302
	;; [unrolled: 1-line block ×3, first 2 shown]
	v_mul_f32_e32 v70, v82, v81
	v_or3_b32 v76, v91, v92, v80
	v_dual_mul_f32 v78, v82, v78 :: v_dual_and_b32 v85, 0x7f800000, v84
	v_mul_f32_e32 v83, v82, v72
	v_mul_f32_e32 v81, v82, v71
	;; [unrolled: 1-line block ×3, first 2 shown]
	s_mov_b32 s4, exec_lo
	ds_store_b128 v76, v[87:90]
                                        ; implicit-def: $vgpr69
	v_cmpx_ne_u32_e32 0x7f800000, v85
	s_xor_b32 s4, exec_lo, s4
; %bb.45:
	v_bfe_u32 v69, v84, 16, 1
	s_delay_alu instid0(VALU_DEP_1)
	v_add3_u32 v69, v84, v69, 0x7fff
                                        ; implicit-def: $vgpr84
; %bb.46:
	s_and_not1_saveexec_b32 s4, s4
; %bb.47:
	v_and_b32_e32 v69, 0xffff, v84
	v_or_b32_e32 v71, 0x10000, v84
	s_delay_alu instid0(VALU_DEP_2) | instskip(NEXT) | instid1(VALU_DEP_2)
	v_cmp_eq_u32_e32 vcc_lo, 0, v69
	v_cndmask_b32_e32 v69, v71, v84, vcc_lo
; %bb.48:
	s_or_b32 exec_lo, exec_lo, s4
	v_and_b32_e32 v71, 0x7f800000, v72
	s_delay_alu instid0(VALU_DEP_1) | instskip(SKIP_1) | instid1(SALU_CYCLE_1)
	v_cmp_ne_u32_e32 vcc_lo, 0x7f800000, v71
                                        ; implicit-def: $vgpr71
	s_and_saveexec_b32 s4, vcc_lo
	s_xor_b32 s4, exec_lo, s4
; %bb.49:
	v_bfe_u32 v71, v72, 16, 1
	s_delay_alu instid0(VALU_DEP_1)
	v_add3_u32 v71, v72, v71, 0x7fff
                                        ; implicit-def: $vgpr72
; %bb.50:
	s_and_not1_saveexec_b32 s4, s4
; %bb.51:
	v_and_b32_e32 v71, 0xffff, v72
	v_or_b32_e32 v82, 0x10000, v72
	s_delay_alu instid0(VALU_DEP_2) | instskip(NEXT) | instid1(VALU_DEP_2)
	v_cmp_eq_u32_e32 vcc_lo, 0, v71
	v_cndmask_b32_e32 v71, v82, v72, vcc_lo
; %bb.52:
	s_or_b32 exec_lo, exec_lo, s4
	v_and_b32_e32 v72, 0x7f800000, v81
	s_delay_alu instid0(VALU_DEP_1) | instskip(SKIP_1) | instid1(SALU_CYCLE_1)
	v_cmp_ne_u32_e32 vcc_lo, 0x7f800000, v72
                                        ; implicit-def: $vgpr72
	s_and_saveexec_b32 s4, vcc_lo
	s_xor_b32 s4, exec_lo, s4
; %bb.53:
	v_bfe_u32 v72, v81, 16, 1
	s_delay_alu instid0(VALU_DEP_1)
	v_add3_u32 v72, v81, v72, 0x7fff
                                        ; implicit-def: $vgpr81
; %bb.54:
	s_and_not1_saveexec_b32 s4, s4
; %bb.55:
	v_and_b32_e32 v72, 0xffff, v81
	v_or_b32_e32 v82, 0x10000, v81
	s_delay_alu instid0(VALU_DEP_2) | instskip(NEXT) | instid1(VALU_DEP_2)
	v_cmp_eq_u32_e32 vcc_lo, 0, v72
	v_cndmask_b32_e32 v72, v82, v81, vcc_lo
; %bb.56:
	s_or_b32 exec_lo, exec_lo, s4
	v_and_b32_e32 v81, 0x7f800000, v83
	s_delay_alu instid0(VALU_DEP_1) | instskip(SKIP_1) | instid1(SALU_CYCLE_1)
	v_cmp_ne_u32_e32 vcc_lo, 0x7f800000, v81
                                        ; implicit-def: $vgpr81
	s_and_saveexec_b32 s4, vcc_lo
	s_xor_b32 s4, exec_lo, s4
; %bb.57:
	v_bfe_u32 v81, v83, 16, 1
	s_delay_alu instid0(VALU_DEP_1)
	v_add3_u32 v81, v83, v81, 0x7fff
                                        ; implicit-def: $vgpr83
; %bb.58:
	s_and_not1_saveexec_b32 s4, s4
; %bb.59:
	v_and_b32_e32 v81, 0xffff, v83
	v_or_b32_e32 v82, 0x10000, v83
	s_delay_alu instid0(VALU_DEP_2) | instskip(NEXT) | instid1(VALU_DEP_2)
	v_cmp_eq_u32_e32 vcc_lo, 0, v81
	v_cndmask_b32_e32 v81, v82, v83, vcc_lo
; %bb.60:
	s_or_b32 exec_lo, exec_lo, s4
	v_and_b32_e32 v82, 0x7f800000, v77
	s_delay_alu instid0(VALU_DEP_1) | instskip(SKIP_1) | instid1(SALU_CYCLE_1)
	v_cmp_ne_u32_e32 vcc_lo, 0x7f800000, v82
                                        ; implicit-def: $vgpr82
	s_and_saveexec_b32 s4, vcc_lo
	s_xor_b32 s4, exec_lo, s4
; %bb.61:
	v_bfe_u32 v82, v77, 16, 1
	s_delay_alu instid0(VALU_DEP_1)
	v_add3_u32 v82, v77, v82, 0x7fff
                                        ; implicit-def: $vgpr77
; %bb.62:
	s_and_not1_saveexec_b32 s4, s4
; %bb.63:
	v_and_b32_e32 v82, 0xffff, v77
	v_or_b32_e32 v83, 0x10000, v77
	s_delay_alu instid0(VALU_DEP_2) | instskip(NEXT) | instid1(VALU_DEP_2)
	v_cmp_eq_u32_e32 vcc_lo, 0, v82
	v_cndmask_b32_e32 v82, v83, v77, vcc_lo
; %bb.64:
	s_or_b32 exec_lo, exec_lo, s4
	v_and_b32_e32 v77, 0x7f800000, v78
	s_delay_alu instid0(VALU_DEP_1) | instskip(SKIP_1) | instid1(SALU_CYCLE_1)
	v_cmp_ne_u32_e32 vcc_lo, 0x7f800000, v77
                                        ; implicit-def: $vgpr77
	s_and_saveexec_b32 s4, vcc_lo
	s_xor_b32 s4, exec_lo, s4
; %bb.65:
	v_bfe_u32 v77, v78, 16, 1
	s_delay_alu instid0(VALU_DEP_1)
	v_add3_u32 v77, v78, v77, 0x7fff
                                        ; implicit-def: $vgpr78
; %bb.66:
	s_and_not1_saveexec_b32 s4, s4
; %bb.67:
	v_and_b32_e32 v77, 0xffff, v78
	v_or_b32_e32 v83, 0x10000, v78
	s_delay_alu instid0(VALU_DEP_2) | instskip(NEXT) | instid1(VALU_DEP_2)
	v_cmp_eq_u32_e32 vcc_lo, 0, v77
	v_cndmask_b32_e32 v77, v83, v78, vcc_lo
; %bb.68:
	s_or_b32 exec_lo, exec_lo, s4
	v_and_b32_e32 v78, 0x7f800000, v79
	s_delay_alu instid0(VALU_DEP_1) | instskip(SKIP_1) | instid1(SALU_CYCLE_1)
	v_cmp_ne_u32_e32 vcc_lo, 0x7f800000, v78
                                        ; implicit-def: $vgpr78
	s_and_saveexec_b32 s4, vcc_lo
	s_xor_b32 s4, exec_lo, s4
; %bb.69:
	v_bfe_u32 v78, v79, 16, 1
	s_delay_alu instid0(VALU_DEP_1)
	v_add3_u32 v78, v79, v78, 0x7fff
                                        ; implicit-def: $vgpr79
; %bb.70:
	s_and_not1_saveexec_b32 s4, s4
; %bb.71:
	v_and_b32_e32 v78, 0xffff, v79
	v_or_b32_e32 v83, 0x10000, v79
	s_delay_alu instid0(VALU_DEP_2) | instskip(NEXT) | instid1(VALU_DEP_2)
	v_cmp_eq_u32_e32 vcc_lo, 0, v78
	v_cndmask_b32_e32 v78, v83, v79, vcc_lo
; %bb.72:
	s_or_b32 exec_lo, exec_lo, s4
	v_and_b32_e32 v79, 0x7f800000, v70
	s_delay_alu instid0(VALU_DEP_1) | instskip(SKIP_1) | instid1(SALU_CYCLE_1)
	v_cmp_ne_u32_e32 vcc_lo, 0x7f800000, v79
                                        ; implicit-def: $vgpr79
	s_and_saveexec_b32 s4, vcc_lo
	s_xor_b32 s4, exec_lo, s4
; %bb.73:
	v_bfe_u32 v79, v70, 16, 1
	s_delay_alu instid0(VALU_DEP_1)
	v_add3_u32 v79, v70, v79, 0x7fff
                                        ; implicit-def: $vgpr70
; %bb.74:
	s_and_not1_saveexec_b32 s4, s4
; %bb.75:
	v_and_b32_e32 v79, 0xffff, v70
	v_or_b32_e32 v83, 0x10000, v70
	s_delay_alu instid0(VALU_DEP_2) | instskip(NEXT) | instid1(VALU_DEP_2)
	v_cmp_eq_u32_e32 vcc_lo, 0, v79
	v_cndmask_b32_e32 v79, v83, v70, vcc_lo
; %bb.76:
	s_or_b32 exec_lo, exec_lo, s4
	s_delay_alu instid0(VALU_DEP_1)
	v_perm_b32 v86, v79, v78, 0x7060302
	v_perm_b32 v85, v77, v82, 0x7060302
	;; [unrolled: 1-line block ×4, first 2 shown]
	v_lshl_or_b32 v82, v66, 11, v80
	ds_store_b128 v76, v[83:86] offset:1024
	s_waitcnt lgkmcnt(0)
	s_barrier
	buffer_gl0_inv
	ds_load_b128 v[69:72], v82
	ds_load_b128 v[83:86], v82 offset:16
	s_waitcnt lgkmcnt(1)
	v_lshrrev_b32_e32 v66, 16, v69
	s_waitcnt lgkmcnt(0)
	v_lshrrev_b32_e32 v91, 16, v83
	v_lshlrev_b32_e32 v78, 2, v74
	v_lshrrev_b32_e32 v95, 16, v70
	v_lshrrev_b32_e32 v98, 16, v84
	;; [unrolled: 1-line block ×4, first 2 shown]
	v_cmp_eq_u32_e32 vcc_lo, 1, v78
	v_lshrrev_b32_e32 v97, 16, v72
	v_lshrrev_b32_e32 v100, 16, v86
	v_cndmask_b32_e32 v87, v83, v91, vcc_lo
	v_or_b32_e32 v79, 1, v78
	v_cndmask_b32_e32 v81, v69, v66, vcc_lo
	v_cmp_eq_u32_e64 s5, 2, v78
	v_cmp_eq_u32_e64 s8, 3, v78
	;; [unrolled: 1-line block ×5, first 2 shown]
	v_cndmask_b32_e64 v81, v81, v70, s5
	v_cndmask_b32_e64 v87, v87, v84, s5
	v_cmp_eq_u32_e64 s9, 3, v79
	v_cndmask_b32_e64 v88, v69, v66, s4
	v_or_b32_e32 v77, 2, v78
	v_cndmask_b32_e64 v81, v81, v95, s8
	v_cndmask_b32_e64 v87, v87, v98, s8
	;; [unrolled: 1-line block ×4, first 2 shown]
	v_cmp_eq_u32_e64 s11, 5, v78
	v_cndmask_b32_e64 v81, v81, v71, s10
	v_cndmask_b32_e64 v87, v87, v85, s10
	v_cmp_eq_u32_e64 s12, 4, v79
	v_cndmask_b32_e64 v88, v88, v95, s9
	v_cmp_eq_u32_e64 s6, 1, v77
	v_cndmask_b32_e64 v89, v89, v84, s7
	v_cndmask_b32_e64 v81, v81, v96, s11
	v_cmp_eq_u32_e64 s13, 6, v78
	v_cndmask_b32_e64 v88, v88, v71, s12
	;; [unrolled: 3-line block ×3, first 2 shown]
	v_cndmask_b32_e64 v89, v89, v98, s9
	v_cndmask_b32_e64 v81, v81, v72, s13
	v_cmp_eq_u32_e64 s16, 7, v78
	v_cndmask_b32_e64 v88, v88, v96, s15
	v_cndmask_b32_e64 v87, v87, v86, s13
	v_cmp_eq_u32_e64 s17, 6, v79
	v_cmp_eq_u32_e64 s18, 2, v77
	v_cndmask_b32_e64 v89, v89, v85, s12
	v_cndmask_b32_e64 v101, v81, v97, s16
	;; [unrolled: 1-line block ×6, first 2 shown]
	v_cmp_eq_u32_e64 s19, 7, v79
	v_cmp_eq_u32_e64 s20, 3, v77
	;; [unrolled: 1-line block ×4, first 2 shown]
	v_cndmask_b32_e64 v87, v87, v84, s18
	v_cndmask_b32_e64 v103, v88, v97, s19
	v_cndmask_b32_e64 v88, v89, v99, s15
	v_cndmask_b32_e64 v89, v81, v95, s20
	v_or_b32_e32 v81, 3, v78
	v_cndmask_b32_e64 v93, v87, v98, s20
	v_cmp_eq_u32_e64 s25, 6, v77
	v_cndmask_b32_e64 v104, v88, v86, s17
	v_cndmask_b32_e64 v92, v89, v71, s21
	v_cmp_eq_u32_e64 s22, 1, v81
	ds_load_b128 v[87:90], v82 offset:1024
	v_cmp_eq_u32_e64 s24, 2, v81
	v_cmp_eq_u32_e64 s26, 3, v81
	v_cndmask_b32_e64 v105, v92, v96, s23
	v_cndmask_b32_e64 v66, v69, v66, s22
	v_cndmask_b32_e64 v69, v93, v85, s21
	v_cndmask_b32_e64 v83, v83, v91, s22
	ds_load_b128 v[91:94], v82 offset:1040
	v_cmp_eq_u32_e64 s27, 4, v81
	v_cndmask_b32_e64 v66, v66, v70, s24
	v_cmp_eq_u32_e64 s28, 7, v77
	v_cndmask_b32_e64 v70, v83, v84, s24
	v_cndmask_b32_e64 v84, v105, v72, s25
	v_cmp_eq_u32_e64 s29, 5, v81
	v_cndmask_b32_e64 v66, v66, v95, s26
	v_cmp_eq_u32_e64 s30, 6, v81
	v_cndmask_b32_e64 v70, v70, v98, s26
	v_cndmask_b32_e64 v69, v69, v99, s23
	;; [unrolled: 1-line block ×4, first 2 shown]
	s_waitcnt lgkmcnt(1)
	v_lshrrev_b32_e32 v95, 16, v87
	v_cndmask_b32_e64 v70, v70, v85, s27
	v_cndmask_b32_e64 v71, v84, v97, s28
	v_cndmask_b32_e64 v69, v69, v86, s25
	v_cndmask_b32_e64 v66, v66, v96, s29
	v_cndmask_b32_e32 v84, v87, v95, vcc_lo
	v_cndmask_b32_e64 v70, v70, v99, s29
	s_waitcnt lgkmcnt(0)
	v_lshrrev_b32_e32 v85, 16, v91
	v_lshrrev_b32_e32 v96, 16, v88
	v_cndmask_b32_e64 v98, v87, v95, s4
	v_cndmask_b32_e64 v84, v84, v88, s5
	;; [unrolled: 1-line block ×3, first 2 shown]
	v_cndmask_b32_e32 v99, v91, v85, vcc_lo
	v_cmp_eq_u32_e32 vcc_lo, 7, v81
	v_cndmask_b32_e64 v66, v66, v72, s30
	v_cndmask_b32_e64 v72, v84, v96, s8
	;; [unrolled: 1-line block ×3, first 2 shown]
	v_lshrrev_b32_e32 v98, 16, v92
	v_cndmask_b32_e32 v70, v70, v100, vcc_lo
	v_cndmask_b32_e64 v86, v99, v92, s5
	v_cndmask_b32_e64 v69, v69, v100, s28
	v_lshrrev_b32_e32 v100, 16, v93
	v_cndmask_b32_e64 v72, v72, v89, s10
	v_lshrrev_b32_e32 v99, 16, v89
	v_cndmask_b32_e64 v86, v86, v98, s8
	v_perm_b32 v71, v69, v71, 0x5040100
	v_cndmask_b32_e64 v84, v84, v96, s9
	s_delay_alu instid0(VALU_DEP_3) | instskip(NEXT) | instid1(VALU_DEP_2)
	v_cndmask_b32_e64 v86, v86, v93, s10
	v_cndmask_b32_e64 v84, v84, v89, s12
	s_delay_alu instid0(VALU_DEP_2) | instskip(NEXT) | instid1(VALU_DEP_1)
	v_cndmask_b32_e64 v86, v86, v100, s11
	v_cndmask_b32_e64 v69, v86, v94, s13
	;; [unrolled: 1-line block ×5, first 2 shown]
	s_delay_alu instid0(VALU_DEP_3) | instskip(NEXT) | instid1(VALU_DEP_3)
	v_cndmask_b32_e64 v86, v86, v88, s18
	v_cndmask_b32_e64 v87, v87, v88, s24
	s_delay_alu instid0(VALU_DEP_3) | instskip(NEXT) | instid1(VALU_DEP_3)
	v_cndmask_b32_e64 v88, v95, v92, s24
	v_cndmask_b32_e64 v86, v86, v96, s20
	;; [unrolled: 3-line block ×7, first 2 shown]
	s_delay_alu instid0(VALU_DEP_3) | instskip(SKIP_2) | instid1(VALU_DEP_2)
	v_cndmask_b32_e64 v88, v88, v94, s30
	v_cndmask_b32_e32 v66, v66, v97, vcc_lo
	v_cndmask_b32_e64 v97, v72, v99, s11
	v_perm_b32 v72, v70, v66, 0x5040100
	v_perm_b32 v70, v83, v103, 0x5040100
	v_cndmask_b32_e64 v103, v91, v85, s6
	v_cndmask_b32_e64 v85, v91, v85, s4
	;; [unrolled: 1-line block ×4, first 2 shown]
	v_lshrrev_b32_e32 v97, 16, v90
	v_cndmask_b32_e64 v91, v103, v92, s18
	v_cndmask_b32_e64 v85, v85, v92, s7
	;; [unrolled: 1-line block ×3, first 2 shown]
	s_mov_b32 s4, exec_lo
	v_cndmask_b32_e64 v83, v84, v97, s16
	v_cndmask_b32_e64 v91, v91, v98, s20
	;; [unrolled: 1-line block ×3, first 2 shown]
	v_lshrrev_b32_e32 v84, 16, v94
	v_cndmask_b32_e64 v66, v66, v97, s19
	v_cndmask_b32_e64 v90, v86, v97, s28
	;; [unrolled: 1-line block ×4, first 2 shown]
	v_dual_cndmask_b32 v86, v87, v97 :: v_dual_cndmask_b32 v87, v88, v84
	v_cndmask_b32_e64 v91, v69, v84, s16
	s_delay_alu instid0(VALU_DEP_4) | instskip(NEXT) | instid1(VALU_DEP_4)
	v_cndmask_b32_e64 v89, v89, v100, s23
	v_cndmask_b32_e64 v85, v85, v100, s15
	v_perm_b32 v69, v102, v101, 0x5040100
	v_perm_b32 v86, v87, v86, 0x5040100
	;; [unrolled: 1-line block ×3, first 2 shown]
	v_cndmask_b32_e64 v89, v89, v94, s25
	v_cndmask_b32_e64 v85, v85, v94, s17
	s_mul_i32 s9, s37, 9
	s_delay_alu instid0(VALU_DEP_2) | instskip(NEXT) | instid1(VALU_DEP_2)
	v_cndmask_b32_e64 v88, v89, v84, s28
	v_cndmask_b32_e64 v89, v85, v84, s19
	s_delay_alu instid0(VALU_DEP_2) | instskip(NEXT) | instid1(VALU_DEP_2)
	v_perm_b32 v85, v88, v90, 0x5040100
	v_perm_b32 v84, v89, v66, 0x5040100
	ds_store_b128 v76, v[69:72]
	ds_store_b128 v76, v[83:86] offset:1024
	v_cmpx_gt_u32_e32 9, v0
	s_cbranch_execz .LBB1702_78
; %bb.77:
	s_mul_i32 s5, s9, s34
	s_load_b128 s[16:19], s[0:1], 0x58
	v_add3_u32 v69, s5, s31, v65
	s_delay_alu instid0(VALU_DEP_1) | instskip(NEXT) | instid1(VALU_DEP_1)
	v_mad_u64_u32 v[65:66], null, v69, s36, s[14:15]
	v_ashrrev_i32_e32 v66, 31, v65
	s_delay_alu instid0(VALU_DEP_1) | instskip(SKIP_1) | instid1(VALU_DEP_1)
	v_lshlrev_b64 v[65:66], 2, v[65:66]
	s_waitcnt lgkmcnt(0)
	v_add_co_u32 v69, vcc_lo, s18, v65
	s_delay_alu instid0(VALU_DEP_2)
	v_add_co_ci_u32_e32 v70, vcc_lo, s19, v66, vcc_lo
	v_add_co_u32 v65, vcc_lo, s16, v65
	v_add_co_ci_u32_e32 v66, vcc_lo, s17, v66, vcc_lo
	global_store_b32 v[69:70], v67, off
	global_store_b32 v[65:66], v68, off
.LBB1702_78:
	s_or_b32 exec_lo, exec_lo, s4
	s_waitcnt lgkmcnt(0)
	s_waitcnt_vscnt null, 0x0
	s_barrier
	buffer_gl0_inv
	ds_load_b128 v[83:86], v80
	ds_load_b128 v[87:90], v80 offset:16
	ds_load_b128 v[95:98], v80 offset:2064
	;; [unrolled: 1-line block ×3, first 2 shown]
	v_mov_b32_e32 v65, 0
	ds_load_b128 v[103:106], v80 offset:4112
	ds_load_b128 v[99:102], v80 offset:4096
	ds_load_b128 v[111:114], v80 offset:6160
	ds_load_b128 v[107:110], v80 offset:6144
	v_mov_b32_e32 v66, v65
	v_mov_b32_e32 v67, v65
	;; [unrolled: 1-line block ×7, first 2 shown]
	s_waitcnt lgkmcnt(6)
	s_delay_alu instid0(VALU_DEP_1)
	v_wmma_f32_16x16x16_bf16 v[65:72], v[57:64], v[83:90], v[65:72]
	ds_load_b128 v[61:64], v80 offset:8208
	ds_load_b128 v[57:60], v80 offset:8192
	s_waitcnt lgkmcnt(6)
	v_wmma_f32_16x16x16_bf16 v[65:72], v[41:48], v[91:98], v[65:72]
	ds_load_b128 v[45:48], v80 offset:10256
	ds_load_b128 v[41:44], v80 offset:10240
	s_waitcnt lgkmcnt(6)
	;; [unrolled: 4-line block ×4, first 2 shown]
	v_wmma_f32_16x16x16_bf16 v[65:72], v[1:8], v[57:64], v[65:72]
	s_waitcnt lgkmcnt(4)
	s_delay_alu instid0(VALU_DEP_1) | instskip(SKIP_1) | instid1(VALU_DEP_1)
	v_wmma_f32_16x16x16_bf16 v[65:72], v[9:16], v[41:48], v[65:72]
	s_waitcnt lgkmcnt(2)
	v_wmma_f32_16x16x16_bf16 v[65:72], v[17:24], v[33:40], v[65:72]
	s_waitcnt lgkmcnt(0)
	s_delay_alu instid0(VALU_DEP_1) | instskip(NEXT) | instid1(VALU_DEP_1)
	v_wmma_f32_16x16x16_bf16 v[65:72], v[49:56], v[25:32], v[65:72]
	v_and_b32_e32 v1, 0x7f800000, v65
	s_delay_alu instid0(VALU_DEP_1) | instskip(SKIP_1) | instid1(SALU_CYCLE_1)
	v_cmp_ne_u32_e32 vcc_lo, 0x7f800000, v1
                                        ; implicit-def: $vgpr1
	s_and_saveexec_b32 s4, vcc_lo
	s_xor_b32 s4, exec_lo, s4
; %bb.79:
	v_bfe_u32 v1, v65, 16, 1
	s_delay_alu instid0(VALU_DEP_1)
	v_add3_u32 v1, v65, v1, 0x7fff
; %bb.80:
	s_and_not1_saveexec_b32 s4, s4
; %bb.81:
	v_and_b32_e32 v1, 0xffff, v65
	v_or_b32_e32 v2, 0x10000, v65
	s_delay_alu instid0(VALU_DEP_2) | instskip(NEXT) | instid1(VALU_DEP_2)
	v_cmp_eq_u32_e32 vcc_lo, 0, v1
	v_cndmask_b32_e32 v1, v2, v65, vcc_lo
; %bb.82:
	s_or_b32 exec_lo, exec_lo, s4
	v_and_b32_e32 v2, 0x7f800000, v66
	s_delay_alu instid0(VALU_DEP_1) | instskip(SKIP_1) | instid1(SALU_CYCLE_1)
	v_cmp_ne_u32_e32 vcc_lo, 0x7f800000, v2
                                        ; implicit-def: $vgpr2
	s_and_saveexec_b32 s4, vcc_lo
	s_xor_b32 s4, exec_lo, s4
; %bb.83:
	v_bfe_u32 v2, v66, 16, 1
	s_delay_alu instid0(VALU_DEP_1)
	v_add3_u32 v2, v66, v2, 0x7fff
; %bb.84:
	s_and_not1_saveexec_b32 s4, s4
; %bb.85:
	v_and_b32_e32 v2, 0xffff, v66
	v_or_b32_e32 v3, 0x10000, v66
	s_delay_alu instid0(VALU_DEP_2) | instskip(NEXT) | instid1(VALU_DEP_2)
	v_cmp_eq_u32_e32 vcc_lo, 0, v2
	v_cndmask_b32_e32 v2, v3, v66, vcc_lo
; %bb.86:
	s_or_b32 exec_lo, exec_lo, s4
	v_and_b32_e32 v3, 0x7f800000, v67
	s_delay_alu instid0(VALU_DEP_1) | instskip(SKIP_1) | instid1(SALU_CYCLE_1)
	v_cmp_ne_u32_e32 vcc_lo, 0x7f800000, v3
                                        ; implicit-def: $vgpr3
	s_and_saveexec_b32 s4, vcc_lo
	s_xor_b32 s4, exec_lo, s4
; %bb.87:
	v_bfe_u32 v3, v67, 16, 1
	s_delay_alu instid0(VALU_DEP_1)
	v_add3_u32 v3, v67, v3, 0x7fff
; %bb.88:
	s_and_not1_saveexec_b32 s4, s4
; %bb.89:
	v_and_b32_e32 v3, 0xffff, v67
	v_or_b32_e32 v4, 0x10000, v67
	s_delay_alu instid0(VALU_DEP_2) | instskip(NEXT) | instid1(VALU_DEP_2)
	v_cmp_eq_u32_e32 vcc_lo, 0, v3
	v_cndmask_b32_e32 v3, v4, v67, vcc_lo
; %bb.90:
	s_or_b32 exec_lo, exec_lo, s4
	v_and_b32_e32 v4, 0x7f800000, v68
	s_delay_alu instid0(VALU_DEP_1) | instskip(SKIP_1) | instid1(SALU_CYCLE_1)
	v_cmp_ne_u32_e32 vcc_lo, 0x7f800000, v4
                                        ; implicit-def: $vgpr4
	s_and_saveexec_b32 s4, vcc_lo
	s_xor_b32 s4, exec_lo, s4
; %bb.91:
	v_bfe_u32 v4, v68, 16, 1
	s_delay_alu instid0(VALU_DEP_1)
	v_add3_u32 v4, v68, v4, 0x7fff
; %bb.92:
	s_and_not1_saveexec_b32 s4, s4
; %bb.93:
	v_and_b32_e32 v4, 0xffff, v68
	v_or_b32_e32 v5, 0x10000, v68
	s_delay_alu instid0(VALU_DEP_2) | instskip(NEXT) | instid1(VALU_DEP_2)
	v_cmp_eq_u32_e32 vcc_lo, 0, v4
	v_cndmask_b32_e32 v4, v5, v68, vcc_lo
; %bb.94:
	s_or_b32 exec_lo, exec_lo, s4
	v_and_b32_e32 v5, 0x7f800000, v69
	s_delay_alu instid0(VALU_DEP_1) | instskip(SKIP_1) | instid1(SALU_CYCLE_1)
	v_cmp_ne_u32_e32 vcc_lo, 0x7f800000, v5
                                        ; implicit-def: $vgpr5
	s_and_saveexec_b32 s4, vcc_lo
	s_xor_b32 s4, exec_lo, s4
; %bb.95:
	v_bfe_u32 v5, v69, 16, 1
	s_delay_alu instid0(VALU_DEP_1)
	v_add3_u32 v5, v69, v5, 0x7fff
; %bb.96:
	s_and_not1_saveexec_b32 s4, s4
; %bb.97:
	v_and_b32_e32 v5, 0xffff, v69
	v_or_b32_e32 v6, 0x10000, v69
	s_delay_alu instid0(VALU_DEP_2) | instskip(NEXT) | instid1(VALU_DEP_2)
	v_cmp_eq_u32_e32 vcc_lo, 0, v5
	v_cndmask_b32_e32 v5, v6, v69, vcc_lo
; %bb.98:
	s_or_b32 exec_lo, exec_lo, s4
	v_and_b32_e32 v6, 0x7f800000, v70
	s_delay_alu instid0(VALU_DEP_1) | instskip(SKIP_1) | instid1(SALU_CYCLE_1)
	v_cmp_ne_u32_e32 vcc_lo, 0x7f800000, v6
                                        ; implicit-def: $vgpr6
	s_and_saveexec_b32 s4, vcc_lo
	s_xor_b32 s4, exec_lo, s4
; %bb.99:
	v_bfe_u32 v6, v70, 16, 1
	s_delay_alu instid0(VALU_DEP_1)
	v_add3_u32 v6, v70, v6, 0x7fff
; %bb.100:
	s_and_not1_saveexec_b32 s4, s4
; %bb.101:
	v_and_b32_e32 v6, 0xffff, v70
	v_or_b32_e32 v7, 0x10000, v70
	s_delay_alu instid0(VALU_DEP_2) | instskip(NEXT) | instid1(VALU_DEP_2)
	v_cmp_eq_u32_e32 vcc_lo, 0, v6
	v_cndmask_b32_e32 v6, v7, v70, vcc_lo
; %bb.102:
	s_or_b32 exec_lo, exec_lo, s4
	v_and_b32_e32 v7, 0x7f800000, v71
	s_delay_alu instid0(VALU_DEP_1) | instskip(SKIP_1) | instid1(SALU_CYCLE_1)
	v_cmp_ne_u32_e32 vcc_lo, 0x7f800000, v7
                                        ; implicit-def: $vgpr7
	s_and_saveexec_b32 s4, vcc_lo
	s_xor_b32 s4, exec_lo, s4
; %bb.103:
	v_bfe_u32 v7, v71, 16, 1
	s_delay_alu instid0(VALU_DEP_1)
	v_add3_u32 v7, v71, v7, 0x7fff
; %bb.104:
	s_and_not1_saveexec_b32 s4, s4
; %bb.105:
	v_and_b32_e32 v7, 0xffff, v71
	v_or_b32_e32 v8, 0x10000, v71
	s_delay_alu instid0(VALU_DEP_2) | instskip(NEXT) | instid1(VALU_DEP_2)
	v_cmp_eq_u32_e32 vcc_lo, 0, v7
	v_cndmask_b32_e32 v7, v8, v71, vcc_lo
; %bb.106:
	s_or_b32 exec_lo, exec_lo, s4
	v_and_b32_e32 v8, 0x7f800000, v72
	s_delay_alu instid0(VALU_DEP_1) | instskip(SKIP_1) | instid1(SALU_CYCLE_1)
	v_cmp_ne_u32_e32 vcc_lo, 0x7f800000, v8
                                        ; implicit-def: $vgpr8
	s_and_saveexec_b32 s4, vcc_lo
	s_xor_b32 s4, exec_lo, s4
; %bb.107:
	v_bfe_u32 v8, v72, 16, 1
	s_delay_alu instid0(VALU_DEP_1)
	v_add3_u32 v8, v72, v8, 0x7fff
                                        ; implicit-def: $vgpr65_vgpr66_vgpr67_vgpr68_vgpr69_vgpr70_vgpr71_vgpr72
; %bb.108:
	s_and_not1_saveexec_b32 s4, s4
; %bb.109:
	v_and_b32_e32 v8, 0xffff, v72
	v_or_b32_e32 v9, 0x10000, v72
	s_delay_alu instid0(VALU_DEP_2) | instskip(NEXT) | instid1(VALU_DEP_2)
	v_cmp_eq_u32_e32 vcc_lo, 0, v8
	v_cndmask_b32_e32 v8, v9, v72, vcc_lo
; %bb.110:
	s_or_b32 exec_lo, exec_lo, s4
	s_delay_alu instid0(VALU_DEP_1)
	v_perm_b32 v7, v8, v7, 0x7060302
	v_perm_b32 v6, v6, v5, 0x7060302
	;; [unrolled: 1-line block ×4, first 2 shown]
	s_barrier
	buffer_gl0_inv
	v_cmp_eq_u32_e32 vcc_lo, 1, v78
	ds_store_b128 v76, v[4:7]
	s_waitcnt lgkmcnt(0)
	s_barrier
	buffer_gl0_inv
	ds_load_b128 v[1:4], v82
	ds_load_b128 v[5:8], v82 offset:16
	v_cmp_eq_u32_e64 s4, 1, v79
	v_cmp_eq_u32_e64 s5, 2, v78
	v_cmp_eq_u32_e64 s6, 3, v78
	v_cmp_eq_u32_e64 s8, 2, v77
	v_cmp_eq_u32_e64 s7, 7, v79
	s_waitcnt lgkmcnt(1)
	v_lshrrev_b32_e32 v9, 16, v1
	s_waitcnt lgkmcnt(0)
	v_lshrrev_b32_e32 v13, 16, v5
	v_lshrrev_b32_e32 v10, 16, v2
	v_lshrrev_b32_e32 v14, 16, v6
	v_lshrrev_b32_e32 v11, 16, v3
	v_cndmask_b32_e64 v19, v1, v9, s4
	v_cndmask_b32_e32 v18, v5, v13, vcc_lo
	v_cndmask_b32_e64 v20, v5, v13, s4
	v_cndmask_b32_e32 v17, v1, v9, vcc_lo
	v_cmp_eq_u32_e32 vcc_lo, 2, v79
	v_lshrrev_b32_e32 v15, 16, v7
	v_cmp_eq_u32_e64 s4, 1, v77
	v_lshrrev_b32_e32 v12, 16, v4
	v_lshrrev_b32_e32 v16, 16, v8
	v_cndmask_b32_e32 v20, v20, v6, vcc_lo
	v_cndmask_b32_e64 v17, v17, v2, s5
	v_cndmask_b32_e32 v19, v19, v2, vcc_lo
	v_cndmask_b32_e64 v18, v18, v6, s5
	v_cmp_eq_u32_e32 vcc_lo, 4, v78
	v_cmp_eq_u32_e64 s5, 3, v79
	v_cndmask_b32_e64 v17, v17, v10, s6
	v_cndmask_b32_e64 v21, v1, v9, s4
	;; [unrolled: 1-line block ×5, first 2 shown]
	v_cndmask_b32_e32 v17, v17, v3, vcc_lo
	v_cndmask_b32_e64 v20, v20, v14, s5
	v_cndmask_b32_e32 v18, v18, v7, vcc_lo
	v_cmp_eq_u32_e32 vcc_lo, 4, v79
	v_cmp_eq_u32_e64 s5, 5, v79
	v_cmp_eq_u32_e64 s4, 2, v81
	v_cndmask_b32_e64 v21, v21, v2, s8
	v_cmp_eq_u32_e64 s6, 5, v78
	v_cndmask_b32_e32 v19, v19, v3, vcc_lo
	v_cndmask_b32_e32 v20, v20, v7, vcc_lo
	v_cmp_eq_u32_e32 vcc_lo, 6, v79
	s_delay_alu instid0(VALU_DEP_4) | instskip(NEXT) | instid1(VALU_DEP_4)
	v_cndmask_b32_e64 v17, v17, v11, s6
	v_cndmask_b32_e64 v19, v19, v11, s5
	s_delay_alu instid0(VALU_DEP_4) | instskip(SKIP_1) | instid1(VALU_DEP_3)
	v_cndmask_b32_e64 v20, v20, v15, s5
	v_cmp_eq_u32_e64 s5, 1, v81
	v_cndmask_b32_e32 v19, v19, v4, vcc_lo
	v_cndmask_b32_e64 v18, v18, v15, s6
	s_delay_alu instid0(VALU_DEP_3)
	v_cndmask_b32_e64 v1, v1, v9, s5
	v_cndmask_b32_e64 v5, v5, v13, s5
	v_cmp_eq_u32_e64 s5, 3, v77
	v_cndmask_b32_e64 v13, v22, v6, s8
	v_cmp_eq_u32_e64 s8, 3, v81
	v_cndmask_b32_e64 v1, v1, v2, s4
	v_cndmask_b32_e64 v2, v5, v6, s4
	;; [unrolled: 1-line block ×3, first 2 shown]
	v_cmp_eq_u32_e64 s4, 4, v77
	v_cndmask_b32_e64 v6, v13, v14, s5
	v_cndmask_b32_e64 v1, v1, v10, s8
	v_cmp_eq_u32_e64 s5, 4, v81
	v_cndmask_b32_e64 v2, v2, v14, s8
	v_cndmask_b32_e64 v5, v9, v3, s4
	;; [unrolled: 3-line block ×3, first 2 shown]
	v_cndmask_b32_e64 v2, v2, v7, s5
	v_cmp_eq_u32_e64 s4, 5, v81
	v_cmp_eq_u32_e64 s6, 6, v78
	v_cndmask_b32_e64 v5, v5, v11, s8
	v_cmp_eq_u32_e64 s5, 6, v77
	v_cndmask_b32_e64 v3, v6, v15, s8
	v_cndmask_b32_e64 v1, v1, v11, s4
	v_cmp_eq_u32_e64 s8, 6, v81
	v_cndmask_b32_e64 v2, v2, v15, s4
	v_cndmask_b32_e64 v17, v17, v4, s6
	v_cndmask_b32_e64 v18, v18, v8, s6
	v_cmp_eq_u32_e64 s6, 7, v78
	v_cndmask_b32_e64 v5, v5, v4, s5
	;; [unrolled: 4-line block ×3, first 2 shown]
	v_cmp_eq_u32_e64 s5, 7, v77
	v_cndmask_b32_e32 v4, v20, v8, vcc_lo
	v_cndmask_b32_e64 v17, v17, v12, s6
	v_cndmask_b32_e64 v19, v19, v12, s7
	v_cndmask_b32_e64 v1, v1, v12, s4
	v_cndmask_b32_e64 v5, v5, v12, s5
	v_cndmask_b32_e64 v2, v2, v16, s4
	v_cndmask_b32_e64 v3, v3, v16, s5
	v_cndmask_b32_e64 v6, v4, v16, s7
	v_cndmask_b32_e64 v7, v18, v16, s6
	v_cmp_gt_u32_e32 vcc_lo, 32, v0
	v_perm_b32 v4, v2, v1, 0x5040100
	v_perm_b32 v3, v3, v5, 0x5040100
	;; [unrolled: 1-line block ×4, first 2 shown]
	s_and_b32 s2, vcc_lo, s2
	ds_store_b128 v76, v[1:4]
	s_waitcnt lgkmcnt(0)
	s_barrier
	buffer_gl0_inv
	s_and_saveexec_b32 s4, s2
	s_cbranch_execz .LBB1702_2
; %bb.111:
	s_load_b64 s[4:5], s[0:1], 0x68
	v_lshlrev_b32_e32 v0, 10, v0
	v_lshlrev_b32_e32 v1, 4, v75
	s_lshl_b32 s0, s36, 6
	v_add_nc_u32_e32 v2, s31, v74
	s_mul_i32 s1, s0, s34
	s_delay_alu instid0(SALU_CYCLE_1) | instskip(SKIP_1) | instid1(VALU_DEP_2)
	s_mul_i32 s6, s1, s9
	v_and_or_b32 v0, 0x3800, v0, v1
	v_mul_lo_u32 v1, v2, s0
	s_ashr_i32 s7, s6, 31
	v_add_nc_u32_e32 v3, 2, v2
	s_lshl_b64 s[6:7], s[6:7], 1
	v_add_nc_u32_e32 v4, 4, v2
	v_add_nc_u32_e32 v5, 6, v2
	v_lshl_or_b32 v15, v74, 6, v0
	v_mul_lo_u32 v3, v3, s0
	v_ashrrev_i32_e32 v2, 31, v1
	v_mul_lo_u32 v19, v4, s0
	v_mul_lo_u32 v21, v5, s0
	s_waitcnt lgkmcnt(0)
	s_add_u32 s1, s4, s6
	s_addc_u32 s2, s5, s7
	s_lshl_b32 s4, s14, 6
	v_lshlrev_b64 v[5:6], 1, v[1:2]
	s_ashr_i32 s5, s4, 31
	v_ashrrev_i32_e32 v4, 31, v3
	s_lshl_b64 s[4:5], s[4:5], 1
	v_ashrrev_i32_e32 v20, 31, v19
	s_add_u32 s1, s1, s4
	s_addc_u32 s2, s2, s5
	v_add_co_u32 v1, s1, s1, v73
	s_delay_alu instid0(VALU_DEP_1) | instskip(SKIP_1) | instid1(VALU_DEP_3)
	v_add_co_ci_u32_e64 v2, null, s2, 0, s1
	v_lshlrev_b64 v[25:26], 1, v[3:4]
	v_add_co_u32 v23, vcc_lo, v1, v5
	s_delay_alu instid0(VALU_DEP_3)
	v_add_co_ci_u32_e32 v24, vcc_lo, v2, v6, vcc_lo
	ds_load_b128 v[3:6], v15
	ds_load_b128 v[7:10], v15 offset:128
	ds_load_b128 v[11:14], v15 offset:256
	;; [unrolled: 1-line block ×3, first 2 shown]
	v_ashrrev_i32_e32 v22, 31, v21
	v_lshlrev_b64 v[19:20], 1, v[19:20]
	v_add_co_u32 v25, vcc_lo, v1, v25
	v_add_co_ci_u32_e32 v26, vcc_lo, v2, v26, vcc_lo
	s_delay_alu instid0(VALU_DEP_4) | instskip(NEXT) | instid1(VALU_DEP_4)
	v_lshlrev_b64 v[21:22], 1, v[21:22]
	v_add_co_u32 v19, vcc_lo, v1, v19
	v_add_co_ci_u32_e32 v20, vcc_lo, v2, v20, vcc_lo
	s_delay_alu instid0(VALU_DEP_3) | instskip(NEXT) | instid1(VALU_DEP_4)
	v_add_co_u32 v21, vcc_lo, v1, v21
	v_add_co_ci_u32_e32 v22, vcc_lo, v2, v22, vcc_lo
	s_waitcnt lgkmcnt(3)
	global_store_b128 v[23:24], v[3:6], off
	s_waitcnt lgkmcnt(2)
	global_store_b128 v[25:26], v[7:10], off
	;; [unrolled: 2-line block ×4, first 2 shown]
	s_and_b32 exec_lo, exec_lo, s3
	s_cbranch_execz .LBB1702_2
; %bb.112:
	ds_load_b128 v[3:6], v0 offset:512
	s_add_i32 s1, s31, 8
	s_delay_alu instid0(SALU_CYCLE_1) | instskip(NEXT) | instid1(SALU_CYCLE_1)
	s_mul_i32 s0, s1, s0
	s_ashr_i32 s1, s0, 31
	s_delay_alu instid0(SALU_CYCLE_1) | instskip(NEXT) | instid1(SALU_CYCLE_1)
	s_lshl_b64 s[0:1], s[0:1], 1
	v_add_co_u32 v0, vcc_lo, v1, s0
	v_add_co_ci_u32_e32 v1, vcc_lo, s1, v2, vcc_lo
	s_waitcnt lgkmcnt(0)
	global_store_b128 v[0:1], v[3:6], off
	s_nop 0
	s_sendmsg sendmsg(MSG_DEALLOC_VGPRS)
	s_endpgm
	.section	.rodata,"a",@progbits
	.p2align	6, 0x0
	.amdhsa_kernel _Z39paged_attention_ll4mi_QKV_mfma16_kernelI14__hip_bfloat16hLN4vllm18Fp8KVCacheDataTypeE1ES0_Li16ELi64ELi256ELb1ELi9EL8MFMAType0EEvPKT_PKT0_S9_ifPKiSB_SB_iPKfiiiPfSE_PS4_PT2_iSD_SD_
		.amdhsa_group_segment_fixed_size 17472
		.amdhsa_private_segment_fixed_size 0
		.amdhsa_kernarg_size 400
		.amdhsa_user_sgpr_count 13
		.amdhsa_user_sgpr_dispatch_ptr 0
		.amdhsa_user_sgpr_queue_ptr 0
		.amdhsa_user_sgpr_kernarg_segment_ptr 1
		.amdhsa_user_sgpr_dispatch_id 0
		.amdhsa_user_sgpr_private_segment_size 0
		.amdhsa_wavefront_size32 1
		.amdhsa_uses_dynamic_stack 0
		.amdhsa_enable_private_segment 0
		.amdhsa_system_sgpr_workgroup_id_x 1
		.amdhsa_system_sgpr_workgroup_id_y 1
		.amdhsa_system_sgpr_workgroup_id_z 1
		.amdhsa_system_sgpr_workgroup_info 0
		.amdhsa_system_vgpr_workitem_id 0
		.amdhsa_next_free_vgpr 124
		.amdhsa_next_free_sgpr 40
		.amdhsa_reserve_vcc 1
		.amdhsa_float_round_mode_32 0
		.amdhsa_float_round_mode_16_64 0
		.amdhsa_float_denorm_mode_32 3
		.amdhsa_float_denorm_mode_16_64 3
		.amdhsa_dx10_clamp 1
		.amdhsa_ieee_mode 1
		.amdhsa_fp16_overflow 0
		.amdhsa_workgroup_processor_mode 1
		.amdhsa_memory_ordered 1
		.amdhsa_forward_progress 0
		.amdhsa_shared_vgpr_count 0
		.amdhsa_exception_fp_ieee_invalid_op 0
		.amdhsa_exception_fp_denorm_src 0
		.amdhsa_exception_fp_ieee_div_zero 0
		.amdhsa_exception_fp_ieee_overflow 0
		.amdhsa_exception_fp_ieee_underflow 0
		.amdhsa_exception_fp_ieee_inexact 0
		.amdhsa_exception_int_div_zero 0
	.end_amdhsa_kernel
	.section	.text._Z39paged_attention_ll4mi_QKV_mfma16_kernelI14__hip_bfloat16hLN4vllm18Fp8KVCacheDataTypeE1ES0_Li16ELi64ELi256ELb1ELi9EL8MFMAType0EEvPKT_PKT0_S9_ifPKiSB_SB_iPKfiiiPfSE_PS4_PT2_iSD_SD_,"axG",@progbits,_Z39paged_attention_ll4mi_QKV_mfma16_kernelI14__hip_bfloat16hLN4vllm18Fp8KVCacheDataTypeE1ES0_Li16ELi64ELi256ELb1ELi9EL8MFMAType0EEvPKT_PKT0_S9_ifPKiSB_SB_iPKfiiiPfSE_PS4_PT2_iSD_SD_,comdat
.Lfunc_end1702:
	.size	_Z39paged_attention_ll4mi_QKV_mfma16_kernelI14__hip_bfloat16hLN4vllm18Fp8KVCacheDataTypeE1ES0_Li16ELi64ELi256ELb1ELi9EL8MFMAType0EEvPKT_PKT0_S9_ifPKiSB_SB_iPKfiiiPfSE_PS4_PT2_iSD_SD_, .Lfunc_end1702-_Z39paged_attention_ll4mi_QKV_mfma16_kernelI14__hip_bfloat16hLN4vllm18Fp8KVCacheDataTypeE1ES0_Li16ELi64ELi256ELb1ELi9EL8MFMAType0EEvPKT_PKT0_S9_ifPKiSB_SB_iPKfiiiPfSE_PS4_PT2_iSD_SD_
                                        ; -- End function
	.section	.AMDGPU.csdata,"",@progbits
; Kernel info:
; codeLenInByte = 8792
; NumSgprs: 42
; NumVgprs: 124
; ScratchSize: 0
; MemoryBound: 0
; FloatMode: 240
; IeeeMode: 1
; LDSByteSize: 17472 bytes/workgroup (compile time only)
; SGPRBlocks: 5
; VGPRBlocks: 15
; NumSGPRsForWavesPerEU: 42
; NumVGPRsForWavesPerEU: 124
; Occupancy: 10
; WaveLimiterHint : 1
; COMPUTE_PGM_RSRC2:SCRATCH_EN: 0
; COMPUTE_PGM_RSRC2:USER_SGPR: 13
; COMPUTE_PGM_RSRC2:TRAP_HANDLER: 0
; COMPUTE_PGM_RSRC2:TGID_X_EN: 1
; COMPUTE_PGM_RSRC2:TGID_Y_EN: 1
; COMPUTE_PGM_RSRC2:TGID_Z_EN: 1
; COMPUTE_PGM_RSRC2:TIDIG_COMP_CNT: 0
	.section	.text._Z39paged_attention_ll4mi_QKV_mfma16_kernelI14__hip_bfloat16hLN4vllm18Fp8KVCacheDataTypeE1ES0_Li16ELi64ELi256ELb1ELi10EL8MFMAType0EEvPKT_PKT0_S9_ifPKiSB_SB_iPKfiiiPfSE_PS4_PT2_iSD_SD_,"axG",@progbits,_Z39paged_attention_ll4mi_QKV_mfma16_kernelI14__hip_bfloat16hLN4vllm18Fp8KVCacheDataTypeE1ES0_Li16ELi64ELi256ELb1ELi10EL8MFMAType0EEvPKT_PKT0_S9_ifPKiSB_SB_iPKfiiiPfSE_PS4_PT2_iSD_SD_,comdat
	.protected	_Z39paged_attention_ll4mi_QKV_mfma16_kernelI14__hip_bfloat16hLN4vllm18Fp8KVCacheDataTypeE1ES0_Li16ELi64ELi256ELb1ELi10EL8MFMAType0EEvPKT_PKT0_S9_ifPKiSB_SB_iPKfiiiPfSE_PS4_PT2_iSD_SD_ ; -- Begin function _Z39paged_attention_ll4mi_QKV_mfma16_kernelI14__hip_bfloat16hLN4vllm18Fp8KVCacheDataTypeE1ES0_Li16ELi64ELi256ELb1ELi10EL8MFMAType0EEvPKT_PKT0_S9_ifPKiSB_SB_iPKfiiiPfSE_PS4_PT2_iSD_SD_
	.globl	_Z39paged_attention_ll4mi_QKV_mfma16_kernelI14__hip_bfloat16hLN4vllm18Fp8KVCacheDataTypeE1ES0_Li16ELi64ELi256ELb1ELi10EL8MFMAType0EEvPKT_PKT0_S9_ifPKiSB_SB_iPKfiiiPfSE_PS4_PT2_iSD_SD_
	.p2align	8
	.type	_Z39paged_attention_ll4mi_QKV_mfma16_kernelI14__hip_bfloat16hLN4vllm18Fp8KVCacheDataTypeE1ES0_Li16ELi64ELi256ELb1ELi10EL8MFMAType0EEvPKT_PKT0_S9_ifPKiSB_SB_iPKfiiiPfSE_PS4_PT2_iSD_SD_,@function
_Z39paged_attention_ll4mi_QKV_mfma16_kernelI14__hip_bfloat16hLN4vllm18Fp8KVCacheDataTypeE1ES0_Li16ELi64ELi256ELb1ELi10EL8MFMAType0EEvPKT_PKT0_S9_ifPKiSB_SB_iPKfiiiPfSE_PS4_PT2_iSD_SD_: ; @_Z39paged_attention_ll4mi_QKV_mfma16_kernelI14__hip_bfloat16hLN4vllm18Fp8KVCacheDataTypeE1ES0_Li16ELi64ELi256ELb1ELi10EL8MFMAType0EEvPKT_PKT0_S9_ifPKiSB_SB_iPKfiiiPfSE_PS4_PT2_iSD_SD_
; %bb.0:
	s_load_b64 s[2:3], s[0:1], 0x30
	s_mov_b32 s30, s13
	s_waitcnt lgkmcnt(0)
	s_cmp_lg_u64 s[2:3], 0
	s_cselect_b32 s8, -1, 0
	s_ashr_i32 s31, s13, 31
	s_cmp_eq_u64 s[2:3], 0
	s_cbranch_scc1 .LBB1703_3
; %bb.1:
	s_lshl_b64 s[4:5], s[30:31], 2
	s_delay_alu instid0(SALU_CYCLE_1) | instskip(SKIP_4) | instid1(SALU_CYCLE_1)
	s_add_u32 s4, s2, s4
	s_addc_u32 s5, s3, s5
	s_load_b64 s[4:5], s[4:5], 0x0
	s_waitcnt lgkmcnt(0)
	s_sub_i32 s4, s5, s4
	s_cmp_eq_u32 s4, 1
	s_cselect_b32 s4, -1, 0
	s_delay_alu instid0(SALU_CYCLE_1)
	s_and_not1_b32 vcc_lo, exec_lo, s4
	s_cbranch_vccz .LBB1703_4
.LBB1703_2:
	s_endpgm
.LBB1703_3:
.LBB1703_4:
	s_load_b64 s[4:5], s[0:1], 0x28
	s_lshl_b64 s[6:7], s[30:31], 2
	s_waitcnt lgkmcnt(0)
	s_add_u32 s4, s4, s6
	s_addc_u32 s5, s5, s7
	s_lshl_b32 s12, s14, 8
	s_load_b32 s24, s[4:5], 0x0
	s_waitcnt lgkmcnt(0)
	s_cmp_ge_i32 s12, s24
	s_cbranch_scc1 .LBB1703_2
; %bb.5:
	s_clause 0x1
	s_load_b128 s[20:23], s[0:1], 0x8
	s_load_b64 s[4:5], s[0:1], 0x20
	s_and_not1_b32 vcc_lo, exec_lo, s8
	s_cbranch_vccnz .LBB1703_7
; %bb.6:
	s_add_u32 s2, s2, s6
	s_addc_u32 s3, s3, s7
	s_load_b32 s3, s[2:3], 0x0
	s_branch .LBB1703_8
.LBB1703_7:
	s_mov_b32 s3, s30
.LBB1703_8:
	s_load_b128 s[16:19], s[0:1], 0x48
	v_and_b32_e32 v65, 15, v0
	v_cmp_gt_u32_e32 vcc_lo, 0xa0, v0
	v_lshrrev_b32_e32 v66, 5, v0
	v_and_b32_e32 v67, 31, v0
	v_and_b32_e32 v75, 1, v0
	v_lshlrev_b32_e32 v1, 3, v65
	v_cmp_gt_u32_e64 s2, 8, v65
	v_bfe_u32 v74, v0, 4, 1
	s_mul_i32 s31, s15, 10
	s_delay_alu instid0(VALU_DEP_3) | instskip(NEXT) | instid1(VALU_DEP_3)
	v_lshlrev_b32_e32 v73, 1, v1
	s_and_b32 s7, vcc_lo, s2
	s_delay_alu instid0(SALU_CYCLE_1)
	s_and_saveexec_b32 s6, s7
	s_cbranch_execz .LBB1703_10
; %bb.9:
	s_load_b64 s[8:9], s[0:1], 0x0
	v_lshl_or_b32 v5, v66, 1, v74
	s_waitcnt lgkmcnt(0)
	s_mul_hi_i32 s11, s3, s16
	s_mul_i32 s10, s3, s16
	v_lshlrev_b32_e32 v6, 10, v65
	s_lshl_b64 s[10:11], s[10:11], 1
	v_add_lshl_u32 v1, v5, s31, 6
	v_lshlrev_b32_e32 v5, 6, v5
	v_lshlrev_b32_e32 v7, 10, v75
	v_and_b32_e32 v6, 0x3800, v6
	s_delay_alu instid0(VALU_DEP_4) | instskip(NEXT) | instid1(VALU_DEP_2)
	v_ashrrev_i32_e32 v2, 31, v1
	v_or3_b32 v5, v6, v7, v5
	s_delay_alu instid0(VALU_DEP_2) | instskip(SKIP_2) | instid1(VALU_DEP_1)
	v_lshlrev_b64 v[1:2], 1, v[1:2]
	s_add_u32 s3, s8, s10
	s_addc_u32 s7, s9, s11
	v_add_co_u32 v1, vcc_lo, s3, v1
	s_delay_alu instid0(VALU_DEP_2) | instskip(NEXT) | instid1(VALU_DEP_2)
	v_add_co_ci_u32_e32 v2, vcc_lo, s7, v2, vcc_lo
	v_add_co_u32 v1, vcc_lo, v1, v73
	s_delay_alu instid0(VALU_DEP_2)
	v_add_co_ci_u32_e32 v2, vcc_lo, 0, v2, vcc_lo
	global_load_b128 v[1:4], v[1:2], off
	s_waitcnt vmcnt(0)
	ds_store_b128 v5, v[1:4]
.LBB1703_10:
	s_or_b32 exec_lo, exec_lo, s6
	v_and_b32_e32 v1, 0xef, v0
	s_waitcnt lgkmcnt(0)
	s_add_i32 s3, s24, 15
	s_clause 0x1
	s_load_b32 s6, s[0:1], 0x38
	s_load_b32 s19, s[0:1], 0x1c
	s_ashr_i32 s7, s3, 31
	v_add_nc_u32_e32 v1, s12, v1
	s_lshr_b32 s7, s7, 28
	s_waitcnt lgkmcnt(0)
	s_add_i32 s3, s3, s7
	s_barrier
	v_ashrrev_i32_e32 v2, 31, v1
	v_or_b32_e32 v3, 16, v1
	s_ashr_i32 s3, s3, 4
	v_cmp_gt_i32_e32 vcc_lo, s24, v1
	s_add_i32 s3, s3, -1
	v_lshrrev_b32_e32 v2, 28, v2
	buffer_gl0_inv
	s_mul_i32 s27, s15, s18
	v_add_nc_u32_e32 v4, v1, v2
	s_mul_i32 s6, s30, s6
	s_delay_alu instid0(SALU_CYCLE_1) | instskip(NEXT) | instid1(VALU_DEP_1)
	s_ashr_i32 s7, s6, 31
	v_ashrrev_i32_e32 v4, 4, v4
	v_add_nc_u32_e32 v2, v3, v2
	s_lshl_b64 s[6:7], s[6:7], 2
	s_delay_alu instid0(SALU_CYCLE_1) | instskip(NEXT) | instid1(VALU_DEP_2)
	s_add_u32 s26, s4, s6
	v_cndmask_b32_e32 v1, s3, v4, vcc_lo
	s_delay_alu instid0(VALU_DEP_2)
	v_ashrrev_i32_e32 v2, 4, v2
	v_cmp_gt_i32_e32 vcc_lo, s24, v3
	s_addc_u32 s25, s5, s7
	s_ashr_i32 s28, s27, 31
	s_add_u32 s13, s20, s27
	s_addc_u32 s15, s21, s28
	v_cndmask_b32_e32 v3, s3, v2, vcc_lo
	v_ashrrev_i32_e32 v2, 31, v1
	s_lshl_b32 s4, s14, 4
	s_delay_alu instid0(SALU_CYCLE_1) | instskip(NEXT) | instid1(VALU_DEP_2)
	s_ashr_i32 s5, s4, 31
	v_ashrrev_i32_e32 v4, 31, v3
	s_delay_alu instid0(VALU_DEP_2) | instskip(SKIP_1) | instid1(SALU_CYCLE_1)
	v_lshlrev_b64 v[1:2], 2, v[1:2]
	s_lshl_b64 s[4:5], s[4:5], 2
	s_add_u32 s4, s26, s4
	s_delay_alu instid0(VALU_DEP_2) | instskip(SKIP_1) | instid1(VALU_DEP_2)
	v_lshlrev_b64 v[3:4], 2, v[3:4]
	s_addc_u32 s5, s25, s5
	v_add_co_u32 v1, vcc_lo, s26, v1
	v_add_co_ci_u32_e32 v2, vcc_lo, s25, v2, vcc_lo
	s_delay_alu instid0(VALU_DEP_3) | instskip(NEXT) | instid1(VALU_DEP_4)
	v_add_co_u32 v3, vcc_lo, s26, v3
	v_add_co_ci_u32_e32 v4, vcc_lo, s25, v4, vcc_lo
	s_clause 0x1
	global_load_b32 v5, v[1:2], off
	global_load_b32 v7, v[3:4], off
	s_or_b32 s6, s12, 32
	v_lshlrev_b32_e32 v1, 4, v0
	s_ashr_i32 s7, s6, 4
	s_cmp_lt_i32 s6, s24
	v_cmp_gt_u32_e32 vcc_lo, 10, v65
	s_cselect_b32 s6, s7, s3
	v_and_b32_e32 v1, 0xf0, v1
	s_ashr_i32 s7, s6, 31
	s_delay_alu instid0(SALU_CYCLE_1) | instskip(NEXT) | instid1(SALU_CYCLE_1)
	s_lshl_b64 s[6:7], s[6:7], 2
	s_add_u32 s6, s26, s6
	s_addc_u32 s7, s25, s7
	s_or_b32 s8, s12, 64
	v_add_co_u32 v1, s13, s13, v1
	s_ashr_i32 s9, s8, 4
	s_cmp_lt_i32 s8, s24
	v_add_co_ci_u32_e64 v2, null, s15, 0, s13
	s_cselect_b32 s8, s9, s3
	s_delay_alu instid0(SALU_CYCLE_1) | instskip(NEXT) | instid1(SALU_CYCLE_1)
	s_ashr_i32 s9, s8, 31
	s_lshl_b64 s[8:9], s[8:9], 2
	s_delay_alu instid0(SALU_CYCLE_1) | instskip(SKIP_2) | instid1(SALU_CYCLE_1)
	s_add_u32 s8, s26, s8
	s_addc_u32 s9, s25, s9
	s_or_b32 s10, s12, 0x60
	s_ashr_i32 s11, s10, 4
	s_cmp_lt_i32 s10, s24
	s_cselect_b32 s10, s11, s3
	s_delay_alu instid0(SALU_CYCLE_1) | instskip(NEXT) | instid1(SALU_CYCLE_1)
	s_ashr_i32 s11, s10, 31
	s_lshl_b64 s[10:11], s[10:11], 2
	s_delay_alu instid0(SALU_CYCLE_1) | instskip(SKIP_2) | instid1(SALU_CYCLE_1)
	s_add_u32 s10, s26, s10
	s_addc_u32 s11, s25, s11
	s_or_b32 s16, s12, 0x80
	s_ashr_i32 s18, s16, 4
	s_cmp_lt_i32 s16, s24
	;; [unrolled: 10-line block ×3, first 2 shown]
	s_cselect_b32 s20, s18, s3
	s_delay_alu instid0(SALU_CYCLE_1) | instskip(NEXT) | instid1(SALU_CYCLE_1)
	s_ashr_i32 s21, s20, 31
	s_lshl_b64 s[20:21], s[20:21], 2
	s_delay_alu instid0(SALU_CYCLE_1)
	s_add_u32 s36, s26, s20
	s_addc_u32 s37, s25, s21
	s_clause 0x5
	s_load_b32 s21, s[4:5], 0x0
	s_load_b32 s13, s[6:7], 0x0
	;; [unrolled: 1-line block ×6, first 2 shown]
	s_or_b32 s8, s12, 0xc0
	s_mov_b32 s4, 0
	s_ashr_i32 s9, s8, 4
	s_cmp_lt_i32 s8, s24
	s_mov_b32 s11, s4
	s_cselect_b32 s34, s9, s3
	s_mov_b32 s5, s4
	s_ashr_i32 s35, s34, 31
	s_mov_b32 s6, s4
	s_lshl_b64 s[34:35], s[34:35], 2
	s_mov_b32 s7, s4
	s_add_u32 s34, s26, s34
	s_addc_u32 s35, s25, s35
	s_or_b32 s29, s12, 0xe0
	s_mov_b32 s8, s4
	s_ashr_i32 s33, s29, 4
	s_mov_b32 s9, s4
	s_mov_b32 s10, s4
	s_cmp_lt_i32 s29, s24
	v_dual_mov_b32 v107, s11 :: v_dual_mov_b32 v100, s4
	v_mov_b32_e32 v106, s10
	v_dual_mov_b32 v104, s8 :: v_dual_mov_b32 v103, s7
	v_dual_mov_b32 v102, s6 :: v_dual_mov_b32 v101, s5
	s_waitcnt vmcnt(1)
	v_mad_i64_i32 v[3:4], null, v5, s17, v[1:2]
	s_waitcnt vmcnt(0)
	v_mad_i64_i32 v[5:6], null, v7, s17, v[1:2]
	v_add_nc_u32_e32 v1, -10, v65
	v_lshlrev_b32_e32 v2, 4, v65
	s_clause 0x7
	global_load_b128 v[49:52], v[3:4], off
	global_load_b128 v[53:56], v[3:4], off offset:256
	global_load_b128 v[76:79], v[5:6], off
	global_load_b128 v[80:83], v[5:6], off offset:256
	global_load_b128 v[84:87], v[3:4], off offset:512
	;; [unrolled: 1-line block ×5, first 2 shown]
	v_cndmask_b32_e32 v1, v1, v65, vcc_lo
	v_mov_b32_e32 v105, s9
	s_cselect_b32 s4, s33, s3
	v_lshl_or_b32 v2, v66, 8, v2
	s_ashr_i32 s5, s4, 31
	v_lshlrev_b32_e32 v70, 6, v1
	s_lshl_b64 s[4:5], s[4:5], 2
	s_load_b32 s3, s[34:35], 0x0
	s_add_u32 s4, s26, s4
	s_addc_u32 s5, s25, s5
	ds_load_b128 v[108:111], v70
	ds_load_b128 v[112:115], v70 offset:1024
	s_load_b32 s4, s[4:5], 0x0
	s_add_u32 s6, s22, s27
	s_addc_u32 s7, s23, s28
	v_add_co_u32 v9, s6, s6, v2
	s_delay_alu instid0(VALU_DEP_1) | instskip(SKIP_1) | instid1(VALU_DEP_1)
	v_add_co_ci_u32_e64 v10, null, s7, 0, s6
	s_waitcnt lgkmcnt(0)
	v_mad_i64_i32 v[1:2], null, s21, s17, v[9:10]
	v_mad_i64_i32 v[3:4], null, s13, s17, v[9:10]
	;; [unrolled: 1-line block ×7, first 2 shown]
	s_clause 0x9
	global_load_b128 v[57:60], v[1:2], off
	global_load_b128 v[61:64], v[1:2], off offset:16
	global_load_b128 v[41:44], v[3:4], off
	global_load_b128 v[45:48], v[3:4], off offset:16
	;; [unrolled: 2-line block ×5, first 2 shown]
	v_mad_i64_i32 v[68:69], null, s4, s17, v[9:10]
	s_clause 0x3
	global_load_b128 v[9:12], v[13:14], off
	global_load_b128 v[13:16], v[13:14], off offset:16
	global_load_b128 v[17:20], v[21:22], off
	global_load_b128 v[21:24], v[21:22], off offset:16
	s_waitcnt vmcnt(20)
	v_wmma_f32_16x16x16_bf16 v[116:123], v[49:56], v[108:115], v[100:107]
	s_clause 0x1
	global_load_b128 v[49:52], v[68:69], off
	global_load_b128 v[53:56], v[68:69], off offset:16
	v_and_b32_e32 v68, 0xe0, v0
	v_mbcnt_lo_u32_b32 v69, -1, 0
	s_delay_alu instid0(VALU_DEP_2)
	v_add_nc_u32_e32 v68, s12, v68
	s_waitcnt vmcnt(20)
	v_wmma_f32_16x16x16_bf16 v[100:107], v[76:83], v[108:115], v[100:107]
	ds_load_b128 v[76:79], v70 offset:2048
	ds_load_b128 v[80:83], v70 offset:3072
	v_xor_b32_e32 v70, 16, v69
	s_waitcnt vmcnt(0) lgkmcnt(0)
	v_or_b32_e32 v68, v68, v74
	s_barrier
	buffer_gl0_inv
	v_cmp_gt_i32_e32 vcc_lo, 32, v70
	v_or_b32_e32 v71, 4, v68
	v_or_b32_e32 v72, 6, v68
	v_cmp_gt_i32_e64 s3, s24, v68
	v_or_b32_e32 v108, 8, v68
	v_or_b32_e32 v109, 10, v68
	v_cmp_gt_i32_e64 s4, s24, v71
	v_cmp_gt_i32_e64 s5, s24, v72
	s_delay_alu instid0(VALU_DEP_4) | instskip(NEXT) | instid1(VALU_DEP_4)
	v_cmp_gt_i32_e64 s6, s24, v108
	v_cmp_gt_i32_e64 s7, s24, v109
	v_wmma_f32_16x16x16_bf16 v[116:123], v[84:91], v[76:83], v[116:123]
	v_cndmask_b32_e32 v69, v69, v70, vcc_lo
	v_or_b32_e32 v70, 2, v68
	v_wmma_f32_16x16x16_bf16 v[100:107], v[92:99], v[76:83], v[100:107]
	v_or_b32_e32 v89, 22, v68
	v_dual_mul_f32 v82, s19, v119 :: v_dual_mul_f32 v79, s19, v122
	v_dual_mul_f32 v92, s19, v117 :: v_dual_mul_f32 v93, s19, v116
	s_delay_alu instid0(VALU_DEP_4) | instskip(SKIP_2) | instid1(VALU_DEP_4)
	v_mul_f32_e32 v98, s19, v103
	v_cmp_gt_i32_e32 vcc_lo, s24, v70
	v_dual_mul_f32 v83, s19, v118 :: v_dual_mul_f32 v96, s19, v105
	v_cndmask_b32_e64 v93, 0xff7fffff, v93, s3
	v_or_b32_e32 v84, 12, v68
	v_cndmask_b32_e32 v92, 0xff7fffff, v92, vcc_lo
	v_or_b32_e32 v85, 14, v68
	v_dual_mul_f32 v80, s19, v121 :: v_dual_mul_f32 v81, s19, v120
	v_mul_f32_e32 v94, s19, v107
	v_cndmask_b32_e64 v71, 0xff7fffff, v83, s4
	v_cndmask_b32_e64 v72, 0xff7fffff, v82, s5
	v_cmp_gt_i32_e64 s13, s24, v89
	v_lshlrev_b32_e32 v89, 2, v69
	v_max3_f32 v82, v93, 0xff7fffff, v92
	v_or_b32_e32 v86, 16, v68
	v_or_b32_e32 v87, 18, v68
	v_mul_f32_e32 v78, s19, v123
	v_cndmask_b32_e64 v81, 0xff7fffff, v81, s6
	v_cndmask_b32_e64 v80, 0xff7fffff, v80, s7
	v_max3_f32 v71, v82, v71, v72
	v_cmp_gt_i32_e64 s8, s24, v84
	v_cmp_gt_i32_e64 s9, s24, v85
	v_or_b32_e32 v88, 20, v68
	v_or_b32_e32 v90, 24, v68
	;; [unrolled: 1-line block ×5, first 2 shown]
	v_dual_mul_f32 v95, s19, v106 :: v_dual_mul_f32 v70, s19, v101
	v_dual_mul_f32 v99, s19, v102 :: v_dual_mul_f32 v68, s19, v100
	v_cndmask_b32_e64 v72, 0xff7fffff, v79, s8
	v_cndmask_b32_e64 v78, 0xff7fffff, v78, s9
	v_max3_f32 v71, v71, v81, v80
	v_cmp_gt_i32_e64 s10, s24, v86
	v_cmp_gt_i32_e64 s11, s24, v87
	;; [unrolled: 1-line block ×3, first 2 shown]
	v_mul_f32_e32 v97, s19, v104
	v_max3_f32 v71, v71, v72, v78
	v_cndmask_b32_e64 v68, 0xff7fffff, v68, s10
	v_cndmask_b32_e64 v70, 0xff7fffff, v70, s11
	;; [unrolled: 1-line block ×4, first 2 shown]
	v_cmp_gt_i32_e64 s15, s24, v90
	v_cmp_gt_i32_e64 s16, s24, v91
	v_max3_f32 v68, v71, v68, v70
	v_cmp_gt_i32_e64 s17, s24, v76
	v_cmp_gt_i32_e64 s18, s24, v77
	v_cndmask_b32_e64 v70, 0xff7fffff, v97, s15
	v_cndmask_b32_e64 v71, 0xff7fffff, v96, s16
	v_max3_f32 v68, v68, v72, v78
	v_cndmask_b32_e64 v72, 0xff7fffff, v95, s17
	v_cndmask_b32_e64 v76, 0xff7fffff, v94, s18
	s_delay_alu instid0(VALU_DEP_3) | instskip(NEXT) | instid1(VALU_DEP_1)
	v_max3_f32 v68, v68, v70, v71
	v_max3_f32 v68, v68, v72, v76
	ds_bpermute_b32 v69, v89, v68
	s_waitcnt lgkmcnt(0)
	v_max_f32_e32 v69, v69, v69
	s_delay_alu instid0(VALU_DEP_1) | instskip(NEXT) | instid1(VALU_DEP_1)
	v_max_f32_e32 v68, v68, v69
	v_fma_f32 v69, s19, v116, -v68
	v_fma_f32 v70, s19, v117, -v68
	;; [unrolled: 1-line block ×5, first 2 shown]
	s_delay_alu instid0(VALU_DEP_4) | instskip(NEXT) | instid1(VALU_DEP_4)
	v_dual_mul_f32 v69, 0x3fb8aa3b, v69 :: v_dual_mul_f32 v70, 0x3fb8aa3b, v70
	v_mul_f32_e32 v72, 0x3fb8aa3b, v72
	v_fma_f32 v78, s19, v122, -v68
	s_delay_alu instid0(VALU_DEP_4) | instskip(NEXT) | instid1(VALU_DEP_4)
	v_mul_f32_e32 v77, 0x3fb8aa3b, v76
	v_exp_f32_e32 v69, v69
	v_exp_f32_e32 v70, v70
	v_mul_f32_e32 v71, 0x3fb8aa3b, v71
	v_exp_f32_e32 v72, v72
	v_mul_f32_e32 v78, 0x3fb8aa3b, v78
	v_exp_f32_e32 v77, v77
	v_fma_f32 v81, s19, v105, -v68
	s_delay_alu instid0(VALU_DEP_2)
	v_exp_f32_e32 v78, v78
	v_cndmask_b32_e64 v80, 0, v69, s3
	v_cndmask_b32_e32 v76, 0, v70, vcc_lo
	v_exp_f32_e32 v71, v71
	v_fma_f32 v69, s19, v121, -v68
	v_cndmask_b32_e64 v85, 0, v72, s5
	v_add_f32_e32 v70, 0, v80
	s_delay_alu instid0(TRANS32_DEP_3)
	v_cndmask_b32_e64 v86, 0, v77, s6
	v_fma_f32 v77, s19, v101, -v68
	v_mul_f32_e32 v69, 0x3fb8aa3b, v69
	v_fma_f32 v72, s19, v100, -v68
	v_cndmask_b32_e64 v84, 0, v78, s8
	v_fma_f32 v78, s19, v103, -v68
	v_cndmask_b32_e64 v83, 0, v71, s4
	v_fma_f32 v71, s19, v123, -v68
	v_add_f32_e32 v70, v70, v76
	v_exp_f32_e32 v69, v69
	v_mul_f32_e32 v77, 0x3fb8aa3b, v77
	v_mul_f32_e32 v81, 0x3fb8aa3b, v81
	;; [unrolled: 1-line block ×3, first 2 shown]
	v_add_f32_e32 v70, v70, v83
	s_mov_b32 s3, exec_lo
	v_exp_f32_e32 v77, v77
	v_exp_f32_e32 v81, v81
	;; [unrolled: 1-line block ×3, first 2 shown]
	v_cndmask_b32_e64 v87, 0, v69, s7
	v_add_f32_e32 v70, v70, v85
	s_delay_alu instid0(VALU_DEP_1) | instskip(SKIP_1) | instid1(VALU_DEP_2)
	v_dual_mul_f32 v72, 0x3fb8aa3b, v72 :: v_dual_add_f32 v69, v70, v86
	v_fma_f32 v70, s19, v102, -v68
	v_exp_f32_e32 v72, v72
	s_waitcnt_depctr 0xfff
	v_cndmask_b32_e64 v88, 0, v71, s9
	v_fma_f32 v71, s19, v104, -v68
	v_dual_add_f32 v69, v69, v87 :: v_dual_mul_f32 v70, 0x3fb8aa3b, v70
	s_delay_alu instid0(VALU_DEP_2) | instskip(NEXT) | instid1(VALU_DEP_2)
	v_dual_mul_f32 v78, 0x3fb8aa3b, v78 :: v_dual_mul_f32 v71, 0x3fb8aa3b, v71
	v_add_f32_e32 v69, v69, v84
	s_delay_alu instid0(VALU_DEP_3) | instskip(SKIP_1) | instid1(VALU_DEP_3)
	v_exp_f32_e32 v79, v70
	v_cndmask_b32_e64 v70, 0, v72, s10
	v_exp_f32_e32 v78, v78
	v_exp_f32_e32 v82, v71
	v_add_f32_e32 v72, v69, v88
	v_cndmask_b32_e64 v69, 0, v77, s11
	v_fma_f32 v77, s19, v106, -v68
	s_delay_alu instid0(VALU_DEP_3) | instskip(NEXT) | instid1(TRANS32_DEP_3)
	v_add_f32_e32 v72, v72, v70
	v_cndmask_b32_e64 v71, 0, v79, s12
	s_delay_alu instid0(VALU_DEP_3) | instskip(NEXT) | instid1(VALU_DEP_3)
	v_mul_f32_e32 v77, 0x3fb8aa3b, v77
	v_add_f32_e32 v79, v72, v69
	s_delay_alu instid0(TRANS32_DEP_2) | instskip(NEXT) | instid1(VALU_DEP_3)
	v_cndmask_b32_e64 v72, 0, v78, s13
	v_exp_f32_e32 v90, v77
	v_cndmask_b32_e64 v77, 0, v82, s15
	s_delay_alu instid0(VALU_DEP_3) | instskip(SKIP_1) | instid1(VALU_DEP_1)
	v_add_f32_e32 v78, v79, v71
	v_fma_f32 v79, s19, v107, -v68
	v_dual_add_f32 v82, v78, v72 :: v_dual_mul_f32 v79, 0x3fb8aa3b, v79
	v_cndmask_b32_e64 v78, 0, v81, s16
	s_delay_alu instid0(VALU_DEP_2) | instskip(NEXT) | instid1(VALU_DEP_3)
	v_add_f32_e32 v81, v82, v77
	v_exp_f32_e32 v82, v79
	s_delay_alu instid0(TRANS32_DEP_2) | instskip(NEXT) | instid1(VALU_DEP_2)
	v_cndmask_b32_e64 v79, 0, v90, s17
	v_add_f32_e32 v81, v81, v78
	s_delay_alu instid0(VALU_DEP_1) | instskip(SKIP_2) | instid1(VALU_DEP_1)
	v_add_f32_e32 v90, v81, v79
	s_waitcnt_depctr 0xfff
	v_cndmask_b32_e64 v81, 0, v82, s18
	v_add_f32_e32 v82, v90, v81
	ds_bpermute_b32 v89, v89, v82
	v_cmpx_gt_u32_e32 16, v67
	s_cbranch_execz .LBB1703_12
; %bb.11:
	v_mul_u32_u24_e32 v67, 0x44, v66
	s_delay_alu instid0(VALU_DEP_1) | instskip(SKIP_1) | instid1(VALU_DEP_1)
	v_lshl_add_u32 v67, v65, 2, v67
	s_waitcnt lgkmcnt(0)
	v_dual_add_f32 v82, v82, v89 :: v_dual_add_nc_u32 v67, 0x4000, v67
	ds_store_2addr_b32 v67, v68, v82 offset1:136
.LBB1703_12:
	s_or_b32 exec_lo, exec_lo, s3
	v_lshlrev_b32_e32 v67, 2, v65
	s_waitcnt lgkmcnt(0)
	s_barrier
	buffer_gl0_inv
	v_cmp_eq_u32_e32 vcc_lo, 1, v66
	v_add_nc_u32_e32 v82, 0x4000, v67
	v_cmp_eq_u32_e64 s3, 2, v66
	v_cmp_eq_u32_e64 s5, 7, v66
	ds_load_2addr_b32 v[89:90], v82 offset1:17
	ds_load_2addr_b32 v[91:92], v82 offset0:34 offset1:51
	ds_load_2addr_b32 v[93:94], v82 offset0:68 offset1:85
	;; [unrolled: 1-line block ×4, first 2 shown]
	s_waitcnt lgkmcnt(4)
	v_max3_f32 v67, v89, 0xff7fffff, v90
	s_waitcnt lgkmcnt(3)
	s_delay_alu instid0(VALU_DEP_1) | instskip(SKIP_1) | instid1(VALU_DEP_1)
	v_max3_f32 v67, v67, v91, v92
	s_waitcnt lgkmcnt(2)
	v_max3_f32 v67, v67, v93, v94
	s_waitcnt lgkmcnt(1)
	s_delay_alu instid0(VALU_DEP_1) | instskip(NEXT) | instid1(VALU_DEP_1)
	v_max3_f32 v67, v67, v95, v96
	v_sub_f32_e32 v93, v93, v67
	s_delay_alu instid0(VALU_DEP_1) | instskip(NEXT) | instid1(VALU_DEP_1)
	v_dual_sub_f32 v68, v89, v67 :: v_dual_mul_f32 v103, 0x3fb8aa3b, v93
	v_mul_f32_e32 v68, 0x3fb8aa3b, v68
	s_delay_alu instid0(VALU_DEP_1)
	v_exp_f32_e32 v100, v68
	v_sub_f32_e32 v68, v92, v67
	v_sub_f32_e32 v99, v90, v67
	ds_load_2addr_b32 v[89:90], v82 offset0:170 offset1:187
	v_dual_mul_f32 v102, 0x3fb8aa3b, v68 :: v_dual_mul_f32 v99, 0x3fb8aa3b, v99
	s_waitcnt lgkmcnt(1)
	v_fma_f32 v68, v100, v97, 0
	s_delay_alu instid0(VALU_DEP_2) | instskip(NEXT) | instid1(VALU_DEP_2)
	v_exp_f32_e32 v102, v102
	v_exp_f32_e32 v99, v99
	s_waitcnt_depctr 0xfff
	v_fmac_f32_e32 v68, v99, v98
	v_sub_f32_e32 v91, v91, v67
	s_delay_alu instid0(VALU_DEP_1)
	v_mul_f32_e32 v101, 0x3fb8aa3b, v91
	ds_load_2addr_b32 v[91:92], v82 offset0:204 offset1:221
	v_sub_f32_e32 v97, v94, v67
	ds_load_2addr_b32 v[93:94], v82 offset0:238 offset1:255
	s_waitcnt lgkmcnt(0)
	v_exp_f32_e32 v101, v101
	s_barrier
	buffer_gl0_inv
	v_dual_fmac_f32 v68, v101, v89 :: v_dual_sub_f32 v89, v96, v67
	v_dual_sub_f32 v82, v95, v67 :: v_dual_mul_f32 v95, 0x3fb8aa3b, v97
	v_exp_f32_e32 v97, v103
	s_delay_alu instid0(VALU_DEP_2) | instskip(NEXT) | instid1(VALU_DEP_2)
	v_dual_fmac_f32 v68, v102, v90 :: v_dual_mul_f32 v89, 0x3fb8aa3b, v89
	v_mul_f32_e32 v82, 0x3fb8aa3b, v82
	s_delay_alu instid0(VALU_DEP_3) | instskip(NEXT) | instid1(VALU_DEP_2)
	v_exp_f32_e32 v95, v95
	v_exp_f32_e32 v89, v89
	s_delay_alu instid0(VALU_DEP_1)
	v_exp_f32_e32 v82, v82
	v_fmac_f32_e32 v68, v97, v91
	s_delay_alu instid0(TRANS32_DEP_3) | instid1(VALU_DEP_1)
	v_fmac_f32_e32 v68, v95, v92
	s_waitcnt_depctr 0xfff
	v_fmac_f32_e32 v68, v82, v93
	s_delay_alu instid0(VALU_DEP_1) | instskip(NEXT) | instid1(VALU_DEP_1)
	v_fmac_f32_e32 v68, v89, v94
	v_add_f32_e32 v90, 0x358637bd, v68
	s_delay_alu instid0(VALU_DEP_1) | instskip(NEXT) | instid1(VALU_DEP_1)
	v_div_scale_f32 v91, null, v90, v90, 1.0
	v_rcp_f32_e32 v92, v91
	s_waitcnt_depctr 0xfff
	v_fma_f32 v93, -v91, v92, 1.0
	s_delay_alu instid0(VALU_DEP_1) | instskip(SKIP_1) | instid1(VALU_DEP_2)
	v_dual_fmac_f32 v92, v93, v92 :: v_dual_cndmask_b32 v93, v100, v99
	v_cmp_eq_u32_e32 vcc_lo, 3, v66
	v_cndmask_b32_e64 v93, v93, v101, s3
	v_cmp_eq_u32_e64 s3, 4, v66
	s_delay_alu instid0(VALU_DEP_2) | instskip(SKIP_1) | instid1(VALU_DEP_2)
	v_cndmask_b32_e32 v93, v93, v102, vcc_lo
	v_cmp_eq_u32_e32 vcc_lo, 5, v66
	v_cndmask_b32_e64 v93, v93, v97, s3
	v_cmp_eq_u32_e64 s3, 6, v66
	s_delay_alu instid0(VALU_DEP_2) | instskip(SKIP_1) | instid1(VALU_DEP_1)
	v_cndmask_b32_e32 v93, v93, v95, vcc_lo
	v_div_scale_f32 v94, s4, 1.0, v90, 1.0
	s_mov_b32 vcc_lo, s4
	s_delay_alu instid0(VALU_DEP_2) | instskip(NEXT) | instid1(VALU_DEP_2)
	v_cndmask_b32_e64 v82, v93, v82, s3
	v_mul_f32_e32 v96, v94, v92
	s_mov_b32 s3, exec_lo
	s_delay_alu instid0(VALU_DEP_2) | instskip(NEXT) | instid1(VALU_DEP_2)
	v_cndmask_b32_e64 v82, v82, v89, s5
	v_fma_f32 v98, -v91, v96, v94
	s_delay_alu instid0(VALU_DEP_1) | instskip(NEXT) | instid1(VALU_DEP_1)
	v_fmac_f32_e32 v96, v98, v92
	v_fma_f32 v91, -v91, v96, v94
	s_delay_alu instid0(VALU_DEP_1) | instskip(NEXT) | instid1(VALU_DEP_1)
	v_div_fmas_f32 v91, v91, v92, v96
	v_div_fixup_f32 v90, v91, v90, 1.0
	s_delay_alu instid0(VALU_DEP_1) | instskip(NEXT) | instid1(VALU_DEP_1)
	v_mul_f32_e32 v82, v82, v90
	v_mul_f32_e32 v87, v82, v87
	;; [unrolled: 1-line block ×7, first 2 shown]
	v_dual_mul_f32 v86, v82, v83 :: v_dual_and_b32 v91, 0x7f800000, v90
	v_mul_f32_e32 v85, v82, v76
                                        ; implicit-def: $vgpr76
	s_delay_alu instid0(VALU_DEP_2)
	v_cmpx_ne_u32_e32 0x7f800000, v91
	s_xor_b32 s3, exec_lo, s3
; %bb.13:
	v_bfe_u32 v76, v90, 16, 1
	s_delay_alu instid0(VALU_DEP_1)
	v_add3_u32 v76, v90, v76, 0x7fff
                                        ; implicit-def: $vgpr90
; %bb.14:
	s_and_not1_saveexec_b32 s3, s3
; %bb.15:
	v_and_b32_e32 v76, 0xffff, v90
	v_or_b32_e32 v83, 0x10000, v90
	s_delay_alu instid0(VALU_DEP_2) | instskip(NEXT) | instid1(VALU_DEP_2)
	v_cmp_eq_u32_e32 vcc_lo, 0, v76
	v_cndmask_b32_e32 v76, v83, v90, vcc_lo
; %bb.16:
	s_or_b32 exec_lo, exec_lo, s3
	v_and_b32_e32 v83, 0x7f800000, v85
	s_delay_alu instid0(VALU_DEP_1) | instskip(SKIP_1) | instid1(SALU_CYCLE_1)
	v_cmp_ne_u32_e32 vcc_lo, 0x7f800000, v83
                                        ; implicit-def: $vgpr83
	s_and_saveexec_b32 s3, vcc_lo
	s_xor_b32 s3, exec_lo, s3
; %bb.17:
	v_bfe_u32 v83, v85, 16, 1
	s_delay_alu instid0(VALU_DEP_1)
	v_add3_u32 v83, v85, v83, 0x7fff
                                        ; implicit-def: $vgpr85
; %bb.18:
	s_and_not1_saveexec_b32 s3, s3
; %bb.19:
	v_and_b32_e32 v83, 0xffff, v85
	v_or_b32_e32 v90, 0x10000, v85
	s_delay_alu instid0(VALU_DEP_2) | instskip(NEXT) | instid1(VALU_DEP_2)
	v_cmp_eq_u32_e32 vcc_lo, 0, v83
	v_cndmask_b32_e32 v83, v90, v85, vcc_lo
; %bb.20:
	s_or_b32 exec_lo, exec_lo, s3
	v_and_b32_e32 v85, 0x7f800000, v86
	s_delay_alu instid0(VALU_DEP_1) | instskip(SKIP_1) | instid1(SALU_CYCLE_1)
	v_cmp_ne_u32_e32 vcc_lo, 0x7f800000, v85
                                        ; implicit-def: $vgpr85
	s_and_saveexec_b32 s3, vcc_lo
	s_xor_b32 s3, exec_lo, s3
; %bb.21:
	v_bfe_u32 v85, v86, 16, 1
	s_delay_alu instid0(VALU_DEP_1)
	v_add3_u32 v85, v86, v85, 0x7fff
                                        ; implicit-def: $vgpr86
; %bb.22:
	s_and_not1_saveexec_b32 s3, s3
; %bb.23:
	v_and_b32_e32 v85, 0xffff, v86
	v_or_b32_e32 v90, 0x10000, v86
	s_delay_alu instid0(VALU_DEP_2) | instskip(NEXT) | instid1(VALU_DEP_2)
	v_cmp_eq_u32_e32 vcc_lo, 0, v85
	v_cndmask_b32_e32 v85, v90, v86, vcc_lo
; %bb.24:
	s_or_b32 exec_lo, exec_lo, s3
	v_and_b32_e32 v86, 0x7f800000, v89
	s_delay_alu instid0(VALU_DEP_1) | instskip(SKIP_1) | instid1(SALU_CYCLE_1)
	v_cmp_ne_u32_e32 vcc_lo, 0x7f800000, v86
                                        ; implicit-def: $vgpr86
	s_and_saveexec_b32 s3, vcc_lo
	s_xor_b32 s3, exec_lo, s3
; %bb.25:
	v_bfe_u32 v86, v89, 16, 1
	s_delay_alu instid0(VALU_DEP_1)
	v_add3_u32 v86, v89, v86, 0x7fff
                                        ; implicit-def: $vgpr89
; %bb.26:
	s_and_not1_saveexec_b32 s3, s3
; %bb.27:
	v_and_b32_e32 v86, 0xffff, v89
	v_or_b32_e32 v90, 0x10000, v89
	s_delay_alu instid0(VALU_DEP_2) | instskip(NEXT) | instid1(VALU_DEP_2)
	v_cmp_eq_u32_e32 vcc_lo, 0, v86
	v_cndmask_b32_e32 v86, v90, v89, vcc_lo
; %bb.28:
	s_or_b32 exec_lo, exec_lo, s3
	v_and_b32_e32 v89, 0x7f800000, v88
	s_delay_alu instid0(VALU_DEP_1) | instskip(SKIP_1) | instid1(SALU_CYCLE_1)
	v_cmp_ne_u32_e32 vcc_lo, 0x7f800000, v89
                                        ; implicit-def: $vgpr89
	s_and_saveexec_b32 s3, vcc_lo
	s_xor_b32 s3, exec_lo, s3
; %bb.29:
	v_bfe_u32 v89, v88, 16, 1
	s_delay_alu instid0(VALU_DEP_1)
	v_add3_u32 v89, v88, v89, 0x7fff
                                        ; implicit-def: $vgpr88
; %bb.30:
	s_and_not1_saveexec_b32 s3, s3
; %bb.31:
	v_and_b32_e32 v89, 0xffff, v88
	v_or_b32_e32 v90, 0x10000, v88
	s_delay_alu instid0(VALU_DEP_2) | instskip(NEXT) | instid1(VALU_DEP_2)
	v_cmp_eq_u32_e32 vcc_lo, 0, v89
	v_cndmask_b32_e32 v89, v90, v88, vcc_lo
; %bb.32:
	s_or_b32 exec_lo, exec_lo, s3
	v_and_b32_e32 v88, 0x7f800000, v87
	s_delay_alu instid0(VALU_DEP_1) | instskip(SKIP_1) | instid1(SALU_CYCLE_1)
	v_cmp_ne_u32_e32 vcc_lo, 0x7f800000, v88
                                        ; implicit-def: $vgpr88
	s_and_saveexec_b32 s3, vcc_lo
	s_xor_b32 s3, exec_lo, s3
; %bb.33:
	v_bfe_u32 v88, v87, 16, 1
	s_delay_alu instid0(VALU_DEP_1)
	v_add3_u32 v88, v87, v88, 0x7fff
                                        ; implicit-def: $vgpr87
; %bb.34:
	s_and_not1_saveexec_b32 s3, s3
; %bb.35:
	v_and_b32_e32 v88, 0xffff, v87
	v_or_b32_e32 v90, 0x10000, v87
	s_delay_alu instid0(VALU_DEP_2) | instskip(NEXT) | instid1(VALU_DEP_2)
	v_cmp_eq_u32_e32 vcc_lo, 0, v88
	v_cndmask_b32_e32 v88, v90, v87, vcc_lo
; %bb.36:
	s_or_b32 exec_lo, exec_lo, s3
	v_and_b32_e32 v87, 0x7f800000, v84
	s_delay_alu instid0(VALU_DEP_1) | instskip(SKIP_1) | instid1(SALU_CYCLE_1)
	v_cmp_ne_u32_e32 vcc_lo, 0x7f800000, v87
                                        ; implicit-def: $vgpr87
	s_and_saveexec_b32 s3, vcc_lo
	s_xor_b32 s3, exec_lo, s3
; %bb.37:
	v_bfe_u32 v87, v84, 16, 1
	s_delay_alu instid0(VALU_DEP_1)
	v_add3_u32 v87, v84, v87, 0x7fff
                                        ; implicit-def: $vgpr84
; %bb.38:
	s_and_not1_saveexec_b32 s3, s3
; %bb.39:
	v_and_b32_e32 v87, 0xffff, v84
	v_or_b32_e32 v90, 0x10000, v84
	s_delay_alu instid0(VALU_DEP_2) | instskip(NEXT) | instid1(VALU_DEP_2)
	v_cmp_eq_u32_e32 vcc_lo, 0, v87
	v_cndmask_b32_e32 v87, v90, v84, vcc_lo
; %bb.40:
	s_or_b32 exec_lo, exec_lo, s3
	v_and_b32_e32 v84, 0x7f800000, v80
	s_delay_alu instid0(VALU_DEP_1) | instskip(SKIP_1) | instid1(SALU_CYCLE_1)
	v_cmp_ne_u32_e32 vcc_lo, 0x7f800000, v84
                                        ; implicit-def: $vgpr84
	s_and_saveexec_b32 s3, vcc_lo
	s_xor_b32 s3, exec_lo, s3
; %bb.41:
	v_bfe_u32 v84, v80, 16, 1
	s_delay_alu instid0(VALU_DEP_1)
	v_add3_u32 v84, v80, v84, 0x7fff
                                        ; implicit-def: $vgpr80
; %bb.42:
	s_and_not1_saveexec_b32 s3, s3
; %bb.43:
	v_and_b32_e32 v84, 0xffff, v80
	v_or_b32_e32 v90, 0x10000, v80
	s_delay_alu instid0(VALU_DEP_2) | instskip(NEXT) | instid1(VALU_DEP_2)
	v_cmp_eq_u32_e32 vcc_lo, 0, v84
	v_cndmask_b32_e32 v84, v90, v80, vcc_lo
; %bb.44:
	s_or_b32 exec_lo, exec_lo, s3
	s_load_b64 s[34:35], s[0:1], 0x94
	v_lshlrev_b32_e32 v91, 4, v74
	s_delay_alu instid0(VALU_DEP_2)
	v_perm_b32 v90, v84, v87, 0x7060302
	v_dual_mul_f32 v79, v82, v79 :: v_dual_lshlrev_b32 v80, 6, v65
	v_dual_mul_f32 v77, v82, v77 :: v_dual_lshlrev_b32 v92, 11, v66
	v_mul_f32_e32 v84, v82, v70
	v_perm_b32 v89, v88, v89, 0x7060302
	v_perm_b32 v88, v86, v85, 0x7060302
	;; [unrolled: 1-line block ×3, first 2 shown]
	v_mul_f32_e32 v70, v82, v81
	v_or3_b32 v76, v91, v92, v80
	v_dual_mul_f32 v78, v82, v78 :: v_dual_and_b32 v85, 0x7f800000, v84
	v_mul_f32_e32 v83, v82, v72
	v_mul_f32_e32 v81, v82, v71
	v_mul_f32_e32 v72, v82, v69
	s_mov_b32 s3, exec_lo
	ds_store_b128 v76, v[87:90]
                                        ; implicit-def: $vgpr69
	v_cmpx_ne_u32_e32 0x7f800000, v85
	s_xor_b32 s3, exec_lo, s3
; %bb.45:
	v_bfe_u32 v69, v84, 16, 1
	s_delay_alu instid0(VALU_DEP_1)
	v_add3_u32 v69, v84, v69, 0x7fff
                                        ; implicit-def: $vgpr84
; %bb.46:
	s_and_not1_saveexec_b32 s3, s3
; %bb.47:
	v_and_b32_e32 v69, 0xffff, v84
	v_or_b32_e32 v71, 0x10000, v84
	s_delay_alu instid0(VALU_DEP_2) | instskip(NEXT) | instid1(VALU_DEP_2)
	v_cmp_eq_u32_e32 vcc_lo, 0, v69
	v_cndmask_b32_e32 v69, v71, v84, vcc_lo
; %bb.48:
	s_or_b32 exec_lo, exec_lo, s3
	v_and_b32_e32 v71, 0x7f800000, v72
	s_delay_alu instid0(VALU_DEP_1) | instskip(SKIP_1) | instid1(SALU_CYCLE_1)
	v_cmp_ne_u32_e32 vcc_lo, 0x7f800000, v71
                                        ; implicit-def: $vgpr71
	s_and_saveexec_b32 s3, vcc_lo
	s_xor_b32 s3, exec_lo, s3
; %bb.49:
	v_bfe_u32 v71, v72, 16, 1
	s_delay_alu instid0(VALU_DEP_1)
	v_add3_u32 v71, v72, v71, 0x7fff
                                        ; implicit-def: $vgpr72
; %bb.50:
	s_and_not1_saveexec_b32 s3, s3
; %bb.51:
	v_and_b32_e32 v71, 0xffff, v72
	v_or_b32_e32 v82, 0x10000, v72
	s_delay_alu instid0(VALU_DEP_2) | instskip(NEXT) | instid1(VALU_DEP_2)
	v_cmp_eq_u32_e32 vcc_lo, 0, v71
	v_cndmask_b32_e32 v71, v82, v72, vcc_lo
; %bb.52:
	s_or_b32 exec_lo, exec_lo, s3
	v_and_b32_e32 v72, 0x7f800000, v81
	s_delay_alu instid0(VALU_DEP_1) | instskip(SKIP_1) | instid1(SALU_CYCLE_1)
	v_cmp_ne_u32_e32 vcc_lo, 0x7f800000, v72
                                        ; implicit-def: $vgpr72
	s_and_saveexec_b32 s3, vcc_lo
	s_xor_b32 s3, exec_lo, s3
; %bb.53:
	v_bfe_u32 v72, v81, 16, 1
	s_delay_alu instid0(VALU_DEP_1)
	v_add3_u32 v72, v81, v72, 0x7fff
                                        ; implicit-def: $vgpr81
; %bb.54:
	s_and_not1_saveexec_b32 s3, s3
; %bb.55:
	v_and_b32_e32 v72, 0xffff, v81
	v_or_b32_e32 v82, 0x10000, v81
	s_delay_alu instid0(VALU_DEP_2) | instskip(NEXT) | instid1(VALU_DEP_2)
	v_cmp_eq_u32_e32 vcc_lo, 0, v72
	v_cndmask_b32_e32 v72, v82, v81, vcc_lo
; %bb.56:
	s_or_b32 exec_lo, exec_lo, s3
	v_and_b32_e32 v81, 0x7f800000, v83
	s_delay_alu instid0(VALU_DEP_1) | instskip(SKIP_1) | instid1(SALU_CYCLE_1)
	v_cmp_ne_u32_e32 vcc_lo, 0x7f800000, v81
                                        ; implicit-def: $vgpr81
	s_and_saveexec_b32 s3, vcc_lo
	s_xor_b32 s3, exec_lo, s3
; %bb.57:
	v_bfe_u32 v81, v83, 16, 1
	s_delay_alu instid0(VALU_DEP_1)
	v_add3_u32 v81, v83, v81, 0x7fff
                                        ; implicit-def: $vgpr83
; %bb.58:
	s_and_not1_saveexec_b32 s3, s3
; %bb.59:
	v_and_b32_e32 v81, 0xffff, v83
	v_or_b32_e32 v82, 0x10000, v83
	s_delay_alu instid0(VALU_DEP_2) | instskip(NEXT) | instid1(VALU_DEP_2)
	v_cmp_eq_u32_e32 vcc_lo, 0, v81
	v_cndmask_b32_e32 v81, v82, v83, vcc_lo
; %bb.60:
	s_or_b32 exec_lo, exec_lo, s3
	v_and_b32_e32 v82, 0x7f800000, v77
	s_delay_alu instid0(VALU_DEP_1) | instskip(SKIP_1) | instid1(SALU_CYCLE_1)
	v_cmp_ne_u32_e32 vcc_lo, 0x7f800000, v82
                                        ; implicit-def: $vgpr82
	s_and_saveexec_b32 s3, vcc_lo
	s_xor_b32 s3, exec_lo, s3
; %bb.61:
	v_bfe_u32 v82, v77, 16, 1
	s_delay_alu instid0(VALU_DEP_1)
	v_add3_u32 v82, v77, v82, 0x7fff
                                        ; implicit-def: $vgpr77
; %bb.62:
	s_and_not1_saveexec_b32 s3, s3
; %bb.63:
	v_and_b32_e32 v82, 0xffff, v77
	v_or_b32_e32 v83, 0x10000, v77
	s_delay_alu instid0(VALU_DEP_2) | instskip(NEXT) | instid1(VALU_DEP_2)
	v_cmp_eq_u32_e32 vcc_lo, 0, v82
	v_cndmask_b32_e32 v82, v83, v77, vcc_lo
; %bb.64:
	s_or_b32 exec_lo, exec_lo, s3
	v_and_b32_e32 v77, 0x7f800000, v78
	s_delay_alu instid0(VALU_DEP_1) | instskip(SKIP_1) | instid1(SALU_CYCLE_1)
	v_cmp_ne_u32_e32 vcc_lo, 0x7f800000, v77
                                        ; implicit-def: $vgpr77
	s_and_saveexec_b32 s3, vcc_lo
	s_xor_b32 s3, exec_lo, s3
; %bb.65:
	v_bfe_u32 v77, v78, 16, 1
	s_delay_alu instid0(VALU_DEP_1)
	v_add3_u32 v77, v78, v77, 0x7fff
                                        ; implicit-def: $vgpr78
; %bb.66:
	s_and_not1_saveexec_b32 s3, s3
; %bb.67:
	v_and_b32_e32 v77, 0xffff, v78
	v_or_b32_e32 v83, 0x10000, v78
	s_delay_alu instid0(VALU_DEP_2) | instskip(NEXT) | instid1(VALU_DEP_2)
	v_cmp_eq_u32_e32 vcc_lo, 0, v77
	v_cndmask_b32_e32 v77, v83, v78, vcc_lo
; %bb.68:
	s_or_b32 exec_lo, exec_lo, s3
	v_and_b32_e32 v78, 0x7f800000, v79
	s_delay_alu instid0(VALU_DEP_1) | instskip(SKIP_1) | instid1(SALU_CYCLE_1)
	v_cmp_ne_u32_e32 vcc_lo, 0x7f800000, v78
                                        ; implicit-def: $vgpr78
	s_and_saveexec_b32 s3, vcc_lo
	s_xor_b32 s3, exec_lo, s3
; %bb.69:
	v_bfe_u32 v78, v79, 16, 1
	s_delay_alu instid0(VALU_DEP_1)
	v_add3_u32 v78, v79, v78, 0x7fff
                                        ; implicit-def: $vgpr79
; %bb.70:
	s_and_not1_saveexec_b32 s3, s3
; %bb.71:
	v_and_b32_e32 v78, 0xffff, v79
	v_or_b32_e32 v83, 0x10000, v79
	s_delay_alu instid0(VALU_DEP_2) | instskip(NEXT) | instid1(VALU_DEP_2)
	v_cmp_eq_u32_e32 vcc_lo, 0, v78
	v_cndmask_b32_e32 v78, v83, v79, vcc_lo
; %bb.72:
	s_or_b32 exec_lo, exec_lo, s3
	v_and_b32_e32 v79, 0x7f800000, v70
	s_delay_alu instid0(VALU_DEP_1) | instskip(SKIP_1) | instid1(SALU_CYCLE_1)
	v_cmp_ne_u32_e32 vcc_lo, 0x7f800000, v79
                                        ; implicit-def: $vgpr79
	s_and_saveexec_b32 s3, vcc_lo
	s_xor_b32 s3, exec_lo, s3
; %bb.73:
	v_bfe_u32 v79, v70, 16, 1
	s_delay_alu instid0(VALU_DEP_1)
	v_add3_u32 v79, v70, v79, 0x7fff
                                        ; implicit-def: $vgpr70
; %bb.74:
	s_and_not1_saveexec_b32 s3, s3
; %bb.75:
	v_and_b32_e32 v79, 0xffff, v70
	v_or_b32_e32 v83, 0x10000, v70
	s_delay_alu instid0(VALU_DEP_2) | instskip(NEXT) | instid1(VALU_DEP_2)
	v_cmp_eq_u32_e32 vcc_lo, 0, v79
	v_cndmask_b32_e32 v79, v83, v70, vcc_lo
; %bb.76:
	s_or_b32 exec_lo, exec_lo, s3
	s_delay_alu instid0(VALU_DEP_1)
	v_perm_b32 v86, v79, v78, 0x7060302
	v_perm_b32 v85, v77, v82, 0x7060302
	;; [unrolled: 1-line block ×4, first 2 shown]
	v_lshl_or_b32 v82, v66, 11, v80
	ds_store_b128 v76, v[83:86] offset:1024
	s_waitcnt lgkmcnt(0)
	s_barrier
	buffer_gl0_inv
	ds_load_b128 v[69:72], v82
	ds_load_b128 v[83:86], v82 offset:16
	s_waitcnt lgkmcnt(1)
	v_lshrrev_b32_e32 v66, 16, v69
	s_waitcnt lgkmcnt(0)
	v_lshrrev_b32_e32 v91, 16, v83
	v_lshlrev_b32_e32 v78, 2, v74
	v_lshrrev_b32_e32 v95, 16, v70
	v_lshrrev_b32_e32 v98, 16, v84
	;; [unrolled: 1-line block ×4, first 2 shown]
	v_cmp_eq_u32_e32 vcc_lo, 1, v78
	v_lshrrev_b32_e32 v97, 16, v72
	v_lshrrev_b32_e32 v100, 16, v86
	v_cndmask_b32_e32 v87, v83, v91, vcc_lo
	v_or_b32_e32 v79, 1, v78
	v_cndmask_b32_e32 v81, v69, v66, vcc_lo
	v_cmp_eq_u32_e64 s4, 2, v78
	v_cmp_eq_u32_e64 s7, 3, v78
	;; [unrolled: 1-line block ×5, first 2 shown]
	v_cndmask_b32_e64 v81, v81, v70, s4
	v_cndmask_b32_e64 v87, v87, v84, s4
	v_cmp_eq_u32_e64 s8, 3, v79
	v_cndmask_b32_e64 v88, v69, v66, s3
	v_or_b32_e32 v77, 2, v78
	v_cndmask_b32_e64 v81, v81, v95, s7
	v_cndmask_b32_e64 v87, v87, v98, s7
	;; [unrolled: 1-line block ×4, first 2 shown]
	v_cmp_eq_u32_e64 s10, 5, v78
	v_cndmask_b32_e64 v81, v81, v71, s9
	v_cndmask_b32_e64 v87, v87, v85, s9
	v_cmp_eq_u32_e64 s11, 4, v79
	v_cndmask_b32_e64 v88, v88, v95, s8
	v_cmp_eq_u32_e64 s5, 1, v77
	v_cndmask_b32_e64 v89, v89, v84, s6
	v_cndmask_b32_e64 v81, v81, v96, s10
	v_cmp_eq_u32_e64 s12, 6, v78
	v_cndmask_b32_e64 v88, v88, v71, s11
	;; [unrolled: 3-line block ×3, first 2 shown]
	v_cndmask_b32_e64 v89, v89, v98, s8
	v_cndmask_b32_e64 v81, v81, v72, s12
	v_cmp_eq_u32_e64 s15, 7, v78
	v_cndmask_b32_e64 v88, v88, v96, s13
	v_cndmask_b32_e64 v87, v87, v86, s12
	v_cmp_eq_u32_e64 s16, 6, v79
	v_cmp_eq_u32_e64 s17, 2, v77
	v_cndmask_b32_e64 v89, v89, v85, s11
	v_cndmask_b32_e64 v101, v81, v97, s15
	;; [unrolled: 1-line block ×6, first 2 shown]
	v_cmp_eq_u32_e64 s18, 7, v79
	v_cmp_eq_u32_e64 s19, 3, v77
	;; [unrolled: 1-line block ×4, first 2 shown]
	v_cndmask_b32_e64 v87, v87, v84, s17
	v_cndmask_b32_e64 v103, v88, v97, s18
	;; [unrolled: 1-line block ×4, first 2 shown]
	v_or_b32_e32 v81, 3, v78
	v_cndmask_b32_e64 v93, v87, v98, s19
	v_cmp_eq_u32_e64 s24, 6, v77
	v_cndmask_b32_e64 v104, v88, v86, s16
	v_cndmask_b32_e64 v92, v89, v71, s20
	v_cmp_eq_u32_e64 s21, 1, v81
	ds_load_b128 v[87:90], v82 offset:1024
	v_cmp_eq_u32_e64 s23, 2, v81
	v_cmp_eq_u32_e64 s25, 3, v81
	v_cndmask_b32_e64 v105, v92, v96, s22
	v_cndmask_b32_e64 v66, v69, v66, s21
	;; [unrolled: 1-line block ×4, first 2 shown]
	ds_load_b128 v[91:94], v82 offset:1040
	v_cmp_eq_u32_e64 s26, 4, v81
	v_cndmask_b32_e64 v66, v66, v70, s23
	v_cmp_eq_u32_e64 s27, 7, v77
	v_cndmask_b32_e64 v70, v83, v84, s23
	v_cndmask_b32_e64 v84, v105, v72, s24
	v_cmp_eq_u32_e64 s28, 5, v81
	v_cndmask_b32_e64 v66, v66, v95, s25
	v_cmp_eq_u32_e64 s29, 6, v81
	v_cndmask_b32_e64 v70, v70, v98, s25
	v_cndmask_b32_e64 v69, v69, v99, s22
	;; [unrolled: 1-line block ×4, first 2 shown]
	s_waitcnt lgkmcnt(1)
	v_lshrrev_b32_e32 v95, 16, v87
	v_cndmask_b32_e64 v70, v70, v85, s26
	v_cndmask_b32_e64 v71, v84, v97, s27
	;; [unrolled: 1-line block ×4, first 2 shown]
	v_cndmask_b32_e32 v84, v87, v95, vcc_lo
	v_cndmask_b32_e64 v70, v70, v99, s28
	s_waitcnt lgkmcnt(0)
	v_lshrrev_b32_e32 v85, 16, v91
	v_lshrrev_b32_e32 v96, 16, v88
	v_cndmask_b32_e64 v98, v87, v95, s3
	v_cndmask_b32_e64 v84, v84, v88, s4
	v_cndmask_b32_e64 v70, v70, v86, s29
	v_cndmask_b32_e32 v99, v91, v85, vcc_lo
	v_cmp_eq_u32_e32 vcc_lo, 7, v81
	v_cndmask_b32_e64 v66, v66, v72, s29
	v_cndmask_b32_e64 v72, v84, v96, s7
	;; [unrolled: 1-line block ×3, first 2 shown]
	v_lshrrev_b32_e32 v98, 16, v92
	v_cndmask_b32_e32 v70, v70, v100, vcc_lo
	v_cndmask_b32_e64 v86, v99, v92, s4
	v_cndmask_b32_e64 v69, v69, v100, s27
	v_lshrrev_b32_e32 v100, 16, v93
	v_cndmask_b32_e64 v72, v72, v89, s9
	v_lshrrev_b32_e32 v99, 16, v89
	v_cndmask_b32_e64 v86, v86, v98, s7
	v_perm_b32 v71, v69, v71, 0x5040100
	v_cndmask_b32_e64 v84, v84, v96, s8
	s_delay_alu instid0(VALU_DEP_3) | instskip(NEXT) | instid1(VALU_DEP_2)
	v_cndmask_b32_e64 v86, v86, v93, s9
	v_cndmask_b32_e64 v84, v84, v89, s11
	s_delay_alu instid0(VALU_DEP_2) | instskip(NEXT) | instid1(VALU_DEP_1)
	v_cndmask_b32_e64 v86, v86, v100, s10
	v_cndmask_b32_e64 v69, v86, v94, s12
	;; [unrolled: 1-line block ×5, first 2 shown]
	s_delay_alu instid0(VALU_DEP_3) | instskip(NEXT) | instid1(VALU_DEP_3)
	v_cndmask_b32_e64 v86, v86, v88, s17
	v_cndmask_b32_e64 v87, v87, v88, s23
	s_delay_alu instid0(VALU_DEP_3) | instskip(NEXT) | instid1(VALU_DEP_3)
	v_cndmask_b32_e64 v88, v95, v92, s23
	v_cndmask_b32_e64 v86, v86, v96, s19
	;; [unrolled: 3-line block ×7, first 2 shown]
	s_delay_alu instid0(VALU_DEP_3) | instskip(SKIP_2) | instid1(VALU_DEP_2)
	v_cndmask_b32_e64 v88, v88, v94, s29
	v_cndmask_b32_e32 v66, v66, v97, vcc_lo
	v_cndmask_b32_e64 v97, v72, v99, s10
	v_perm_b32 v72, v70, v66, 0x5040100
	v_perm_b32 v70, v83, v103, 0x5040100
	v_cndmask_b32_e64 v103, v91, v85, s5
	v_cndmask_b32_e64 v85, v91, v85, s3
	;; [unrolled: 1-line block ×4, first 2 shown]
	v_lshrrev_b32_e32 v97, 16, v90
	v_cndmask_b32_e64 v91, v103, v92, s17
	v_cndmask_b32_e64 v85, v85, v92, s6
	;; [unrolled: 1-line block ×3, first 2 shown]
	s_mov_b32 s3, exec_lo
	v_cndmask_b32_e64 v83, v84, v97, s15
	v_cndmask_b32_e64 v91, v91, v98, s19
	;; [unrolled: 1-line block ×3, first 2 shown]
	v_lshrrev_b32_e32 v84, 16, v94
	v_cndmask_b32_e64 v66, v66, v97, s18
	v_cndmask_b32_e64 v90, v86, v97, s27
	;; [unrolled: 1-line block ×4, first 2 shown]
	v_dual_cndmask_b32 v86, v87, v97 :: v_dual_cndmask_b32 v87, v88, v84
	v_cndmask_b32_e64 v91, v69, v84, s15
	s_delay_alu instid0(VALU_DEP_4) | instskip(NEXT) | instid1(VALU_DEP_4)
	v_cndmask_b32_e64 v89, v89, v100, s22
	v_cndmask_b32_e64 v85, v85, v100, s13
	v_perm_b32 v69, v102, v101, 0x5040100
	v_perm_b32 v86, v87, v86, 0x5040100
	;; [unrolled: 1-line block ×3, first 2 shown]
	v_cndmask_b32_e64 v89, v89, v94, s24
	v_cndmask_b32_e64 v85, v85, v94, s16
	s_mul_i32 s8, s35, 10
	s_delay_alu instid0(VALU_DEP_2) | instskip(NEXT) | instid1(VALU_DEP_2)
	v_cndmask_b32_e64 v88, v89, v84, s27
	v_cndmask_b32_e64 v89, v85, v84, s18
	s_delay_alu instid0(VALU_DEP_2) | instskip(NEXT) | instid1(VALU_DEP_2)
	v_perm_b32 v85, v88, v90, 0x5040100
	v_perm_b32 v84, v89, v66, 0x5040100
	ds_store_b128 v76, v[69:72]
	ds_store_b128 v76, v[83:86] offset:1024
	v_cmpx_gt_u32_e32 10, v0
	s_cbranch_execz .LBB1703_78
; %bb.77:
	s_mul_i32 s4, s8, s30
	s_delay_alu instid0(SALU_CYCLE_1) | instskip(SKIP_1) | instid1(VALU_DEP_1)
	v_add3_u32 v69, s4, s31, v65
	s_load_b128 s[4:7], s[0:1], 0x58
	v_mad_u64_u32 v[65:66], null, v69, s34, s[14:15]
	s_delay_alu instid0(VALU_DEP_1) | instskip(NEXT) | instid1(VALU_DEP_1)
	v_ashrrev_i32_e32 v66, 31, v65
	v_lshlrev_b64 v[65:66], 2, v[65:66]
	s_waitcnt lgkmcnt(0)
	s_delay_alu instid0(VALU_DEP_1) | instskip(NEXT) | instid1(VALU_DEP_2)
	v_add_co_u32 v69, vcc_lo, s6, v65
	v_add_co_ci_u32_e32 v70, vcc_lo, s7, v66, vcc_lo
	v_add_co_u32 v65, vcc_lo, s4, v65
	v_add_co_ci_u32_e32 v66, vcc_lo, s5, v66, vcc_lo
	global_store_b32 v[69:70], v67, off
	global_store_b32 v[65:66], v68, off
.LBB1703_78:
	s_or_b32 exec_lo, exec_lo, s3
	s_waitcnt lgkmcnt(0)
	s_waitcnt_vscnt null, 0x0
	s_barrier
	buffer_gl0_inv
	ds_load_b128 v[83:86], v80
	ds_load_b128 v[87:90], v80 offset:16
	ds_load_b128 v[95:98], v80 offset:2064
	;; [unrolled: 1-line block ×3, first 2 shown]
	v_mov_b32_e32 v65, 0
	ds_load_b128 v[103:106], v80 offset:4112
	ds_load_b128 v[99:102], v80 offset:4096
	;; [unrolled: 1-line block ×4, first 2 shown]
	v_mov_b32_e32 v66, v65
	v_mov_b32_e32 v67, v65
	;; [unrolled: 1-line block ×7, first 2 shown]
	s_waitcnt lgkmcnt(6)
	s_delay_alu instid0(VALU_DEP_1)
	v_wmma_f32_16x16x16_bf16 v[65:72], v[57:64], v[83:90], v[65:72]
	ds_load_b128 v[61:64], v80 offset:8208
	ds_load_b128 v[57:60], v80 offset:8192
	s_waitcnt lgkmcnt(6)
	v_wmma_f32_16x16x16_bf16 v[65:72], v[41:48], v[91:98], v[65:72]
	ds_load_b128 v[45:48], v80 offset:10256
	ds_load_b128 v[41:44], v80 offset:10240
	s_waitcnt lgkmcnt(6)
	;; [unrolled: 4-line block ×4, first 2 shown]
	v_wmma_f32_16x16x16_bf16 v[65:72], v[1:8], v[57:64], v[65:72]
	s_waitcnt lgkmcnt(4)
	s_delay_alu instid0(VALU_DEP_1) | instskip(SKIP_1) | instid1(VALU_DEP_1)
	v_wmma_f32_16x16x16_bf16 v[65:72], v[9:16], v[41:48], v[65:72]
	s_waitcnt lgkmcnt(2)
	v_wmma_f32_16x16x16_bf16 v[65:72], v[17:24], v[33:40], v[65:72]
	s_waitcnt lgkmcnt(0)
	s_delay_alu instid0(VALU_DEP_1) | instskip(NEXT) | instid1(VALU_DEP_1)
	v_wmma_f32_16x16x16_bf16 v[65:72], v[49:56], v[25:32], v[65:72]
	v_and_b32_e32 v1, 0x7f800000, v65
	s_delay_alu instid0(VALU_DEP_1) | instskip(SKIP_1) | instid1(SALU_CYCLE_1)
	v_cmp_ne_u32_e32 vcc_lo, 0x7f800000, v1
                                        ; implicit-def: $vgpr1
	s_and_saveexec_b32 s3, vcc_lo
	s_xor_b32 s3, exec_lo, s3
; %bb.79:
	v_bfe_u32 v1, v65, 16, 1
	s_delay_alu instid0(VALU_DEP_1)
	v_add3_u32 v1, v65, v1, 0x7fff
; %bb.80:
	s_and_not1_saveexec_b32 s3, s3
; %bb.81:
	v_and_b32_e32 v1, 0xffff, v65
	v_or_b32_e32 v2, 0x10000, v65
	s_delay_alu instid0(VALU_DEP_2) | instskip(NEXT) | instid1(VALU_DEP_2)
	v_cmp_eq_u32_e32 vcc_lo, 0, v1
	v_cndmask_b32_e32 v1, v2, v65, vcc_lo
; %bb.82:
	s_or_b32 exec_lo, exec_lo, s3
	v_and_b32_e32 v2, 0x7f800000, v66
	s_delay_alu instid0(VALU_DEP_1) | instskip(SKIP_1) | instid1(SALU_CYCLE_1)
	v_cmp_ne_u32_e32 vcc_lo, 0x7f800000, v2
                                        ; implicit-def: $vgpr2
	s_and_saveexec_b32 s3, vcc_lo
	s_xor_b32 s3, exec_lo, s3
; %bb.83:
	v_bfe_u32 v2, v66, 16, 1
	s_delay_alu instid0(VALU_DEP_1)
	v_add3_u32 v2, v66, v2, 0x7fff
; %bb.84:
	s_and_not1_saveexec_b32 s3, s3
; %bb.85:
	v_and_b32_e32 v2, 0xffff, v66
	v_or_b32_e32 v3, 0x10000, v66
	s_delay_alu instid0(VALU_DEP_2) | instskip(NEXT) | instid1(VALU_DEP_2)
	v_cmp_eq_u32_e32 vcc_lo, 0, v2
	v_cndmask_b32_e32 v2, v3, v66, vcc_lo
; %bb.86:
	s_or_b32 exec_lo, exec_lo, s3
	v_and_b32_e32 v3, 0x7f800000, v67
	s_delay_alu instid0(VALU_DEP_1) | instskip(SKIP_1) | instid1(SALU_CYCLE_1)
	v_cmp_ne_u32_e32 vcc_lo, 0x7f800000, v3
                                        ; implicit-def: $vgpr3
	s_and_saveexec_b32 s3, vcc_lo
	s_xor_b32 s3, exec_lo, s3
; %bb.87:
	v_bfe_u32 v3, v67, 16, 1
	s_delay_alu instid0(VALU_DEP_1)
	v_add3_u32 v3, v67, v3, 0x7fff
; %bb.88:
	s_and_not1_saveexec_b32 s3, s3
; %bb.89:
	v_and_b32_e32 v3, 0xffff, v67
	v_or_b32_e32 v4, 0x10000, v67
	s_delay_alu instid0(VALU_DEP_2) | instskip(NEXT) | instid1(VALU_DEP_2)
	v_cmp_eq_u32_e32 vcc_lo, 0, v3
	v_cndmask_b32_e32 v3, v4, v67, vcc_lo
; %bb.90:
	s_or_b32 exec_lo, exec_lo, s3
	v_and_b32_e32 v4, 0x7f800000, v68
	s_delay_alu instid0(VALU_DEP_1) | instskip(SKIP_1) | instid1(SALU_CYCLE_1)
	v_cmp_ne_u32_e32 vcc_lo, 0x7f800000, v4
                                        ; implicit-def: $vgpr4
	s_and_saveexec_b32 s3, vcc_lo
	s_xor_b32 s3, exec_lo, s3
; %bb.91:
	v_bfe_u32 v4, v68, 16, 1
	s_delay_alu instid0(VALU_DEP_1)
	v_add3_u32 v4, v68, v4, 0x7fff
; %bb.92:
	s_and_not1_saveexec_b32 s3, s3
; %bb.93:
	v_and_b32_e32 v4, 0xffff, v68
	v_or_b32_e32 v5, 0x10000, v68
	s_delay_alu instid0(VALU_DEP_2) | instskip(NEXT) | instid1(VALU_DEP_2)
	v_cmp_eq_u32_e32 vcc_lo, 0, v4
	v_cndmask_b32_e32 v4, v5, v68, vcc_lo
; %bb.94:
	s_or_b32 exec_lo, exec_lo, s3
	v_and_b32_e32 v5, 0x7f800000, v69
	s_delay_alu instid0(VALU_DEP_1) | instskip(SKIP_1) | instid1(SALU_CYCLE_1)
	v_cmp_ne_u32_e32 vcc_lo, 0x7f800000, v5
                                        ; implicit-def: $vgpr5
	s_and_saveexec_b32 s3, vcc_lo
	s_xor_b32 s3, exec_lo, s3
; %bb.95:
	v_bfe_u32 v5, v69, 16, 1
	s_delay_alu instid0(VALU_DEP_1)
	v_add3_u32 v5, v69, v5, 0x7fff
; %bb.96:
	s_and_not1_saveexec_b32 s3, s3
; %bb.97:
	v_and_b32_e32 v5, 0xffff, v69
	v_or_b32_e32 v6, 0x10000, v69
	s_delay_alu instid0(VALU_DEP_2) | instskip(NEXT) | instid1(VALU_DEP_2)
	v_cmp_eq_u32_e32 vcc_lo, 0, v5
	v_cndmask_b32_e32 v5, v6, v69, vcc_lo
; %bb.98:
	s_or_b32 exec_lo, exec_lo, s3
	v_and_b32_e32 v6, 0x7f800000, v70
	s_delay_alu instid0(VALU_DEP_1) | instskip(SKIP_1) | instid1(SALU_CYCLE_1)
	v_cmp_ne_u32_e32 vcc_lo, 0x7f800000, v6
                                        ; implicit-def: $vgpr6
	s_and_saveexec_b32 s3, vcc_lo
	s_xor_b32 s3, exec_lo, s3
; %bb.99:
	v_bfe_u32 v6, v70, 16, 1
	s_delay_alu instid0(VALU_DEP_1)
	v_add3_u32 v6, v70, v6, 0x7fff
; %bb.100:
	s_and_not1_saveexec_b32 s3, s3
; %bb.101:
	v_and_b32_e32 v6, 0xffff, v70
	v_or_b32_e32 v7, 0x10000, v70
	s_delay_alu instid0(VALU_DEP_2) | instskip(NEXT) | instid1(VALU_DEP_2)
	v_cmp_eq_u32_e32 vcc_lo, 0, v6
	v_cndmask_b32_e32 v6, v7, v70, vcc_lo
; %bb.102:
	s_or_b32 exec_lo, exec_lo, s3
	v_and_b32_e32 v7, 0x7f800000, v71
	s_delay_alu instid0(VALU_DEP_1) | instskip(SKIP_1) | instid1(SALU_CYCLE_1)
	v_cmp_ne_u32_e32 vcc_lo, 0x7f800000, v7
                                        ; implicit-def: $vgpr7
	s_and_saveexec_b32 s3, vcc_lo
	s_xor_b32 s3, exec_lo, s3
; %bb.103:
	v_bfe_u32 v7, v71, 16, 1
	s_delay_alu instid0(VALU_DEP_1)
	v_add3_u32 v7, v71, v7, 0x7fff
; %bb.104:
	s_and_not1_saveexec_b32 s3, s3
; %bb.105:
	v_and_b32_e32 v7, 0xffff, v71
	v_or_b32_e32 v8, 0x10000, v71
	s_delay_alu instid0(VALU_DEP_2) | instskip(NEXT) | instid1(VALU_DEP_2)
	v_cmp_eq_u32_e32 vcc_lo, 0, v7
	v_cndmask_b32_e32 v7, v8, v71, vcc_lo
; %bb.106:
	s_or_b32 exec_lo, exec_lo, s3
	v_and_b32_e32 v8, 0x7f800000, v72
	s_delay_alu instid0(VALU_DEP_1) | instskip(SKIP_1) | instid1(SALU_CYCLE_1)
	v_cmp_ne_u32_e32 vcc_lo, 0x7f800000, v8
                                        ; implicit-def: $vgpr8
	s_and_saveexec_b32 s3, vcc_lo
	s_xor_b32 s3, exec_lo, s3
; %bb.107:
	v_bfe_u32 v8, v72, 16, 1
	s_delay_alu instid0(VALU_DEP_1)
	v_add3_u32 v8, v72, v8, 0x7fff
                                        ; implicit-def: $vgpr65_vgpr66_vgpr67_vgpr68_vgpr69_vgpr70_vgpr71_vgpr72
; %bb.108:
	s_and_not1_saveexec_b32 s3, s3
; %bb.109:
	v_and_b32_e32 v8, 0xffff, v72
	v_or_b32_e32 v9, 0x10000, v72
	s_delay_alu instid0(VALU_DEP_2) | instskip(NEXT) | instid1(VALU_DEP_2)
	v_cmp_eq_u32_e32 vcc_lo, 0, v8
	v_cndmask_b32_e32 v8, v9, v72, vcc_lo
; %bb.110:
	s_or_b32 exec_lo, exec_lo, s3
	s_delay_alu instid0(VALU_DEP_1)
	v_perm_b32 v7, v8, v7, 0x7060302
	v_perm_b32 v6, v6, v5, 0x7060302
	;; [unrolled: 1-line block ×4, first 2 shown]
	s_barrier
	buffer_gl0_inv
	v_cmp_eq_u32_e32 vcc_lo, 1, v78
	ds_store_b128 v76, v[4:7]
	s_waitcnt lgkmcnt(0)
	s_barrier
	buffer_gl0_inv
	ds_load_b128 v[1:4], v82
	ds_load_b128 v[5:8], v82 offset:16
	v_cmp_eq_u32_e64 s3, 1, v79
	v_cmp_eq_u32_e64 s4, 2, v78
	;; [unrolled: 1-line block ×5, first 2 shown]
	s_waitcnt lgkmcnt(1)
	v_lshrrev_b32_e32 v9, 16, v1
	s_waitcnt lgkmcnt(0)
	v_lshrrev_b32_e32 v13, 16, v5
	v_lshrrev_b32_e32 v10, 16, v2
	;; [unrolled: 1-line block ×4, first 2 shown]
	v_cndmask_b32_e64 v19, v1, v9, s3
	v_cndmask_b32_e32 v18, v5, v13, vcc_lo
	v_cndmask_b32_e64 v20, v5, v13, s3
	v_cndmask_b32_e32 v17, v1, v9, vcc_lo
	v_cmp_eq_u32_e32 vcc_lo, 2, v79
	v_lshrrev_b32_e32 v15, 16, v7
	v_cmp_eq_u32_e64 s3, 1, v77
	v_lshrrev_b32_e32 v12, 16, v4
	v_lshrrev_b32_e32 v16, 16, v8
	v_cndmask_b32_e32 v20, v20, v6, vcc_lo
	v_cndmask_b32_e64 v17, v17, v2, s4
	v_cndmask_b32_e32 v19, v19, v2, vcc_lo
	v_cndmask_b32_e64 v18, v18, v6, s4
	v_cmp_eq_u32_e32 vcc_lo, 4, v78
	v_cmp_eq_u32_e64 s4, 3, v79
	v_cndmask_b32_e64 v17, v17, v10, s5
	v_cndmask_b32_e64 v21, v1, v9, s3
	;; [unrolled: 1-line block ×5, first 2 shown]
	v_cndmask_b32_e32 v17, v17, v3, vcc_lo
	v_cndmask_b32_e64 v20, v20, v14, s4
	v_cndmask_b32_e32 v18, v18, v7, vcc_lo
	v_cmp_eq_u32_e32 vcc_lo, 4, v79
	v_cmp_eq_u32_e64 s4, 5, v79
	v_cmp_eq_u32_e64 s3, 2, v81
	v_cndmask_b32_e64 v21, v21, v2, s7
	v_cmp_eq_u32_e64 s5, 5, v78
	v_cndmask_b32_e32 v19, v19, v3, vcc_lo
	v_cndmask_b32_e32 v20, v20, v7, vcc_lo
	v_cmp_eq_u32_e32 vcc_lo, 6, v79
	s_delay_alu instid0(VALU_DEP_4) | instskip(NEXT) | instid1(VALU_DEP_4)
	v_cndmask_b32_e64 v17, v17, v11, s5
	v_cndmask_b32_e64 v19, v19, v11, s4
	s_delay_alu instid0(VALU_DEP_4) | instskip(SKIP_1) | instid1(VALU_DEP_3)
	v_cndmask_b32_e64 v20, v20, v15, s4
	v_cmp_eq_u32_e64 s4, 1, v81
	v_cndmask_b32_e32 v19, v19, v4, vcc_lo
	v_cndmask_b32_e64 v18, v18, v15, s5
	s_delay_alu instid0(VALU_DEP_3)
	v_cndmask_b32_e64 v1, v1, v9, s4
	v_cndmask_b32_e64 v5, v5, v13, s4
	v_cmp_eq_u32_e64 s4, 3, v77
	v_cndmask_b32_e64 v13, v22, v6, s7
	v_cmp_eq_u32_e64 s7, 3, v81
	v_cndmask_b32_e64 v1, v1, v2, s3
	v_cndmask_b32_e64 v2, v5, v6, s3
	;; [unrolled: 1-line block ×3, first 2 shown]
	v_cmp_eq_u32_e64 s3, 4, v77
	v_cndmask_b32_e64 v6, v13, v14, s4
	v_cndmask_b32_e64 v1, v1, v10, s7
	v_cmp_eq_u32_e64 s4, 4, v81
	v_cndmask_b32_e64 v2, v2, v14, s7
	v_cndmask_b32_e64 v5, v9, v3, s3
	;; [unrolled: 3-line block ×3, first 2 shown]
	v_cndmask_b32_e64 v2, v2, v7, s4
	v_cmp_eq_u32_e64 s3, 5, v81
	v_cmp_eq_u32_e64 s5, 6, v78
	v_cndmask_b32_e64 v5, v5, v11, s7
	v_cmp_eq_u32_e64 s4, 6, v77
	v_cndmask_b32_e64 v3, v6, v15, s7
	v_cndmask_b32_e64 v1, v1, v11, s3
	v_cmp_eq_u32_e64 s7, 6, v81
	v_cndmask_b32_e64 v2, v2, v15, s3
	v_cndmask_b32_e64 v17, v17, v4, s5
	v_cndmask_b32_e64 v18, v18, v8, s5
	v_cmp_eq_u32_e64 s5, 7, v78
	v_cndmask_b32_e64 v5, v5, v4, s4
	;; [unrolled: 4-line block ×3, first 2 shown]
	v_cmp_eq_u32_e64 s4, 7, v77
	v_cndmask_b32_e32 v4, v20, v8, vcc_lo
	v_cndmask_b32_e64 v17, v17, v12, s5
	v_cndmask_b32_e64 v19, v19, v12, s6
	;; [unrolled: 1-line block ×8, first 2 shown]
	v_cmp_gt_u32_e32 vcc_lo, 32, v0
	v_perm_b32 v4, v2, v1, 0x5040100
	v_perm_b32 v3, v3, v5, 0x5040100
	;; [unrolled: 1-line block ×4, first 2 shown]
	s_and_b32 s2, vcc_lo, s2
	ds_store_b128 v76, v[1:4]
	s_waitcnt lgkmcnt(0)
	s_barrier
	buffer_gl0_inv
	s_and_saveexec_b32 s3, s2
	s_cbranch_execz .LBB1703_2
; %bb.111:
	s_load_b64 s[0:1], s[0:1], 0x68
	s_lshl_b32 s4, s34, 6
	v_or_b32_e32 v2, s31, v74
	s_mul_i32 s2, s4, s30
	v_lshlrev_b32_e32 v0, 10, v0
	s_mul_i32 s2, s2, s8
	v_lshlrev_b32_e32 v1, 4, v75
	s_ashr_i32 s3, s2, 31
	v_mul_lo_u32 v20, v2, s4
	s_lshl_b64 s[2:3], s[2:3], 1
	v_lshlrev_b32_e32 v3, 6, v74
	v_and_b32_e32 v0, 0x3800, v0
	s_delay_alu instid0(VALU_DEP_1) | instskip(NEXT) | instid1(VALU_DEP_4)
	v_or3_b32 v16, v0, v1, v3
	v_ashrrev_i32_e32 v21, 31, v20
	ds_load_b128 v[0:3], v16
	ds_load_b128 v[4:7], v16 offset:128
	s_waitcnt lgkmcnt(0)
	s_add_u32 s2, s0, s2
	s_addc_u32 s3, s1, s3
	s_lshl_b32 s0, s14, 6
	ds_load_b128 v[8:11], v16 offset:256
	ds_load_b128 v[12:15], v16 offset:384
	ds_load_b128 v[16:19], v16 offset:512
	s_ashr_i32 s1, s0, 31
	s_delay_alu instid0(SALU_CYCLE_1) | instskip(NEXT) | instid1(SALU_CYCLE_1)
	s_lshl_b64 s[0:1], s[0:1], 1
	s_add_u32 s0, s2, s0
	s_addc_u32 s1, s3, s1
	s_lshl_b32 s2, s34, 7
	v_add_co_u32 v30, s0, s0, v73
	v_add_nc_u32_e32 v22, s2, v20
	v_lshlrev_b64 v[20:21], 1, v[20:21]
	v_add_co_ci_u32_e64 v31, null, s1, 0, s0
	s_delay_alu instid0(VALU_DEP_3) | instskip(SKIP_1) | instid1(VALU_DEP_4)
	v_add_nc_u32_e32 v24, s2, v22
	v_ashrrev_i32_e32 v23, 31, v22
	v_add_co_u32 v20, vcc_lo, v30, v20
	s_delay_alu instid0(VALU_DEP_4) | instskip(NEXT) | instid1(VALU_DEP_4)
	v_add_co_ci_u32_e32 v21, vcc_lo, v31, v21, vcc_lo
	v_add_nc_u32_e32 v26, s2, v24
	v_ashrrev_i32_e32 v25, 31, v24
	v_lshlrev_b64 v[22:23], 1, v[22:23]
	s_delay_alu instid0(VALU_DEP_3) | instskip(SKIP_1) | instid1(VALU_DEP_4)
	v_add_nc_u32_e32 v28, s2, v26
	v_ashrrev_i32_e32 v27, 31, v26
	v_lshlrev_b64 v[24:25], 1, v[24:25]
	s_delay_alu instid0(VALU_DEP_4) | instskip(NEXT) | instid1(VALU_DEP_4)
	v_add_co_u32 v22, vcc_lo, v30, v22
	v_ashrrev_i32_e32 v29, 31, v28
	s_delay_alu instid0(VALU_DEP_4) | instskip(SKIP_2) | instid1(VALU_DEP_4)
	v_lshlrev_b64 v[26:27], 1, v[26:27]
	v_add_co_ci_u32_e32 v23, vcc_lo, v31, v23, vcc_lo
	v_add_co_u32 v24, vcc_lo, v30, v24
	v_lshlrev_b64 v[28:29], 1, v[28:29]
	v_add_co_ci_u32_e32 v25, vcc_lo, v31, v25, vcc_lo
	v_add_co_u32 v26, vcc_lo, v30, v26
	v_add_co_ci_u32_e32 v27, vcc_lo, v31, v27, vcc_lo
	s_delay_alu instid0(VALU_DEP_4)
	v_add_co_u32 v28, vcc_lo, v30, v28
	v_add_co_ci_u32_e32 v29, vcc_lo, v31, v29, vcc_lo
	s_clause 0x1
	global_store_b128 v[20:21], v[0:3], off
	global_store_b128 v[22:23], v[4:7], off
	s_waitcnt lgkmcnt(2)
	global_store_b128 v[24:25], v[8:11], off
	s_waitcnt lgkmcnt(1)
	;; [unrolled: 2-line block ×3, first 2 shown]
	global_store_b128 v[28:29], v[16:19], off
	s_nop 0
	s_sendmsg sendmsg(MSG_DEALLOC_VGPRS)
	s_endpgm
	.section	.rodata,"a",@progbits
	.p2align	6, 0x0
	.amdhsa_kernel _Z39paged_attention_ll4mi_QKV_mfma16_kernelI14__hip_bfloat16hLN4vllm18Fp8KVCacheDataTypeE1ES0_Li16ELi64ELi256ELb1ELi10EL8MFMAType0EEvPKT_PKT0_S9_ifPKiSB_SB_iPKfiiiPfSE_PS4_PT2_iSD_SD_
		.amdhsa_group_segment_fixed_size 17472
		.amdhsa_private_segment_fixed_size 0
		.amdhsa_kernarg_size 400
		.amdhsa_user_sgpr_count 13
		.amdhsa_user_sgpr_dispatch_ptr 0
		.amdhsa_user_sgpr_queue_ptr 0
		.amdhsa_user_sgpr_kernarg_segment_ptr 1
		.amdhsa_user_sgpr_dispatch_id 0
		.amdhsa_user_sgpr_private_segment_size 0
		.amdhsa_wavefront_size32 1
		.amdhsa_uses_dynamic_stack 0
		.amdhsa_enable_private_segment 0
		.amdhsa_system_sgpr_workgroup_id_x 1
		.amdhsa_system_sgpr_workgroup_id_y 1
		.amdhsa_system_sgpr_workgroup_id_z 1
		.amdhsa_system_sgpr_workgroup_info 0
		.amdhsa_system_vgpr_workitem_id 0
		.amdhsa_next_free_vgpr 124
		.amdhsa_next_free_sgpr 38
		.amdhsa_reserve_vcc 1
		.amdhsa_float_round_mode_32 0
		.amdhsa_float_round_mode_16_64 0
		.amdhsa_float_denorm_mode_32 3
		.amdhsa_float_denorm_mode_16_64 3
		.amdhsa_dx10_clamp 1
		.amdhsa_ieee_mode 1
		.amdhsa_fp16_overflow 0
		.amdhsa_workgroup_processor_mode 1
		.amdhsa_memory_ordered 1
		.amdhsa_forward_progress 0
		.amdhsa_shared_vgpr_count 0
		.amdhsa_exception_fp_ieee_invalid_op 0
		.amdhsa_exception_fp_denorm_src 0
		.amdhsa_exception_fp_ieee_div_zero 0
		.amdhsa_exception_fp_ieee_overflow 0
		.amdhsa_exception_fp_ieee_underflow 0
		.amdhsa_exception_fp_ieee_inexact 0
		.amdhsa_exception_int_div_zero 0
	.end_amdhsa_kernel
	.section	.text._Z39paged_attention_ll4mi_QKV_mfma16_kernelI14__hip_bfloat16hLN4vllm18Fp8KVCacheDataTypeE1ES0_Li16ELi64ELi256ELb1ELi10EL8MFMAType0EEvPKT_PKT0_S9_ifPKiSB_SB_iPKfiiiPfSE_PS4_PT2_iSD_SD_,"axG",@progbits,_Z39paged_attention_ll4mi_QKV_mfma16_kernelI14__hip_bfloat16hLN4vllm18Fp8KVCacheDataTypeE1ES0_Li16ELi64ELi256ELb1ELi10EL8MFMAType0EEvPKT_PKT0_S9_ifPKiSB_SB_iPKfiiiPfSE_PS4_PT2_iSD_SD_,comdat
.Lfunc_end1703:
	.size	_Z39paged_attention_ll4mi_QKV_mfma16_kernelI14__hip_bfloat16hLN4vllm18Fp8KVCacheDataTypeE1ES0_Li16ELi64ELi256ELb1ELi10EL8MFMAType0EEvPKT_PKT0_S9_ifPKiSB_SB_iPKfiiiPfSE_PS4_PT2_iSD_SD_, .Lfunc_end1703-_Z39paged_attention_ll4mi_QKV_mfma16_kernelI14__hip_bfloat16hLN4vllm18Fp8KVCacheDataTypeE1ES0_Li16ELi64ELi256ELb1ELi10EL8MFMAType0EEvPKT_PKT0_S9_ifPKiSB_SB_iPKfiiiPfSE_PS4_PT2_iSD_SD_
                                        ; -- End function
	.section	.AMDGPU.csdata,"",@progbits
; Kernel info:
; codeLenInByte = 8760
; NumSgprs: 40
; NumVgprs: 124
; ScratchSize: 0
; MemoryBound: 0
; FloatMode: 240
; IeeeMode: 1
; LDSByteSize: 17472 bytes/workgroup (compile time only)
; SGPRBlocks: 4
; VGPRBlocks: 15
; NumSGPRsForWavesPerEU: 40
; NumVGPRsForWavesPerEU: 124
; Occupancy: 10
; WaveLimiterHint : 1
; COMPUTE_PGM_RSRC2:SCRATCH_EN: 0
; COMPUTE_PGM_RSRC2:USER_SGPR: 13
; COMPUTE_PGM_RSRC2:TRAP_HANDLER: 0
; COMPUTE_PGM_RSRC2:TGID_X_EN: 1
; COMPUTE_PGM_RSRC2:TGID_Y_EN: 1
; COMPUTE_PGM_RSRC2:TGID_Z_EN: 1
; COMPUTE_PGM_RSRC2:TIDIG_COMP_CNT: 0
	.section	.text._Z39paged_attention_ll4mi_QKV_mfma16_kernelI14__hip_bfloat16hLN4vllm18Fp8KVCacheDataTypeE1ES0_Li16ELi64ELi256ELb1ELi11EL8MFMAType0EEvPKT_PKT0_S9_ifPKiSB_SB_iPKfiiiPfSE_PS4_PT2_iSD_SD_,"axG",@progbits,_Z39paged_attention_ll4mi_QKV_mfma16_kernelI14__hip_bfloat16hLN4vllm18Fp8KVCacheDataTypeE1ES0_Li16ELi64ELi256ELb1ELi11EL8MFMAType0EEvPKT_PKT0_S9_ifPKiSB_SB_iPKfiiiPfSE_PS4_PT2_iSD_SD_,comdat
	.protected	_Z39paged_attention_ll4mi_QKV_mfma16_kernelI14__hip_bfloat16hLN4vllm18Fp8KVCacheDataTypeE1ES0_Li16ELi64ELi256ELb1ELi11EL8MFMAType0EEvPKT_PKT0_S9_ifPKiSB_SB_iPKfiiiPfSE_PS4_PT2_iSD_SD_ ; -- Begin function _Z39paged_attention_ll4mi_QKV_mfma16_kernelI14__hip_bfloat16hLN4vllm18Fp8KVCacheDataTypeE1ES0_Li16ELi64ELi256ELb1ELi11EL8MFMAType0EEvPKT_PKT0_S9_ifPKiSB_SB_iPKfiiiPfSE_PS4_PT2_iSD_SD_
	.globl	_Z39paged_attention_ll4mi_QKV_mfma16_kernelI14__hip_bfloat16hLN4vllm18Fp8KVCacheDataTypeE1ES0_Li16ELi64ELi256ELb1ELi11EL8MFMAType0EEvPKT_PKT0_S9_ifPKiSB_SB_iPKfiiiPfSE_PS4_PT2_iSD_SD_
	.p2align	8
	.type	_Z39paged_attention_ll4mi_QKV_mfma16_kernelI14__hip_bfloat16hLN4vllm18Fp8KVCacheDataTypeE1ES0_Li16ELi64ELi256ELb1ELi11EL8MFMAType0EEvPKT_PKT0_S9_ifPKiSB_SB_iPKfiiiPfSE_PS4_PT2_iSD_SD_,@function
_Z39paged_attention_ll4mi_QKV_mfma16_kernelI14__hip_bfloat16hLN4vllm18Fp8KVCacheDataTypeE1ES0_Li16ELi64ELi256ELb1ELi11EL8MFMAType0EEvPKT_PKT0_S9_ifPKiSB_SB_iPKfiiiPfSE_PS4_PT2_iSD_SD_: ; @_Z39paged_attention_ll4mi_QKV_mfma16_kernelI14__hip_bfloat16hLN4vllm18Fp8KVCacheDataTypeE1ES0_Li16ELi64ELi256ELb1ELi11EL8MFMAType0EEvPKT_PKT0_S9_ifPKiSB_SB_iPKfiiiPfSE_PS4_PT2_iSD_SD_
; %bb.0:
	s_load_b64 s[2:3], s[0:1], 0x30
	s_mov_b32 s34, s13
	s_waitcnt lgkmcnt(0)
	s_cmp_lg_u64 s[2:3], 0
	s_cselect_b32 s8, -1, 0
	s_ashr_i32 s35, s13, 31
	s_cmp_eq_u64 s[2:3], 0
	s_cbranch_scc1 .LBB1704_3
; %bb.1:
	s_lshl_b64 s[4:5], s[34:35], 2
	s_delay_alu instid0(SALU_CYCLE_1) | instskip(SKIP_4) | instid1(SALU_CYCLE_1)
	s_add_u32 s4, s2, s4
	s_addc_u32 s5, s3, s5
	s_load_b64 s[4:5], s[4:5], 0x0
	s_waitcnt lgkmcnt(0)
	s_sub_i32 s4, s5, s4
	s_cmp_eq_u32 s4, 1
	s_cselect_b32 s4, -1, 0
	s_delay_alu instid0(SALU_CYCLE_1)
	s_and_not1_b32 vcc_lo, exec_lo, s4
	s_cbranch_vccz .LBB1704_4
.LBB1704_2:
	s_nop 0
	s_sendmsg sendmsg(MSG_DEALLOC_VGPRS)
	s_endpgm
.LBB1704_3:
.LBB1704_4:
	s_load_b64 s[4:5], s[0:1], 0x28
	s_lshl_b64 s[6:7], s[34:35], 2
	s_waitcnt lgkmcnt(0)
	s_add_u32 s4, s4, s6
	s_addc_u32 s5, s5, s7
	s_lshl_b32 s12, s14, 8
	s_load_b32 s24, s[4:5], 0x0
	s_waitcnt lgkmcnt(0)
	s_cmp_ge_i32 s12, s24
	s_cbranch_scc1 .LBB1704_2
; %bb.5:
	s_clause 0x1
	s_load_b128 s[20:23], s[0:1], 0x8
	s_load_b64 s[4:5], s[0:1], 0x20
	s_and_not1_b32 vcc_lo, exec_lo, s8
	s_cbranch_vccnz .LBB1704_7
; %bb.6:
	s_add_u32 s2, s2, s6
	s_addc_u32 s3, s3, s7
	s_load_b32 s3, s[2:3], 0x0
	s_branch .LBB1704_8
.LBB1704_7:
	s_mov_b32 s3, s34
.LBB1704_8:
	s_load_b128 s[16:19], s[0:1], 0x48
	v_lshrrev_b32_e32 v66, 5, v0
	v_bfe_u32 v74, v0, 4, 1
	v_and_b32_e32 v65, 15, v0
	v_and_b32_e32 v67, 31, v0
	;; [unrolled: 1-line block ×3, first 2 shown]
	s_mul_i32 s31, s15, 11
	v_lshl_or_b32 v1, v66, 1, v74
	v_lshlrev_b32_e32 v2, 3, v65
	v_cmp_gt_u32_e64 s2, 8, v65
	s_delay_alu instid0(VALU_DEP_3) | instskip(NEXT) | instid1(VALU_DEP_3)
	v_cmp_gt_u32_e32 vcc_lo, 11, v1
	v_lshlrev_b32_e32 v73, 1, v2
	s_delay_alu instid0(VALU_DEP_3) | instskip(NEXT) | instid1(SALU_CYCLE_1)
	s_and_b32 s7, s2, vcc_lo
	s_and_saveexec_b32 s6, s7
	s_cbranch_execz .LBB1704_10
; %bb.9:
	s_load_b64 s[8:9], s[0:1], 0x0
	v_add_lshl_u32 v2, v1, s31, 6
	s_waitcnt lgkmcnt(0)
	s_mul_hi_i32 s11, s3, s16
	s_mul_i32 s10, s3, s16
	v_lshlrev_b32_e32 v6, 10, v65
	s_lshl_b64 s[10:11], s[10:11], 1
	v_ashrrev_i32_e32 v3, 31, v2
	v_lshlrev_b32_e32 v1, 6, v1
	v_lshlrev_b32_e32 v7, 10, v75
	v_and_b32_e32 v6, 0x3800, v6
	s_delay_alu instid0(VALU_DEP_4) | instskip(NEXT) | instid1(VALU_DEP_2)
	v_lshlrev_b64 v[2:3], 1, v[2:3]
	v_or3_b32 v1, v6, v7, v1
	s_add_u32 s3, s8, s10
	s_addc_u32 s7, s9, s11
	s_delay_alu instid0(VALU_DEP_2) | instskip(NEXT) | instid1(VALU_DEP_3)
	v_add_co_u32 v2, vcc_lo, s3, v2
	v_add_co_ci_u32_e32 v3, vcc_lo, s7, v3, vcc_lo
	s_delay_alu instid0(VALU_DEP_2) | instskip(NEXT) | instid1(VALU_DEP_2)
	v_add_co_u32 v2, vcc_lo, v2, v73
	v_add_co_ci_u32_e32 v3, vcc_lo, 0, v3, vcc_lo
	global_load_b128 v[2:5], v[2:3], off
	s_waitcnt vmcnt(0)
	ds_store_b128 v1, v[2:5]
.LBB1704_10:
	s_or_b32 exec_lo, exec_lo, s6
	v_and_b32_e32 v1, 0xef, v0
	s_waitcnt lgkmcnt(0)
	s_add_i32 s3, s24, 15
	s_clause 0x1
	s_load_b32 s6, s[0:1], 0x38
	s_load_b32 s19, s[0:1], 0x1c
	s_ashr_i32 s7, s3, 31
	v_add_nc_u32_e32 v1, s12, v1
	s_lshr_b32 s7, s7, 28
	s_waitcnt lgkmcnt(0)
	s_add_i32 s3, s3, s7
	s_barrier
	v_ashrrev_i32_e32 v2, 31, v1
	v_or_b32_e32 v3, 16, v1
	s_ashr_i32 s3, s3, 4
	v_cmp_gt_i32_e32 vcc_lo, s24, v1
	s_add_i32 s3, s3, -1
	v_lshrrev_b32_e32 v2, 28, v2
	buffer_gl0_inv
	s_mul_i32 s27, s15, s18
	v_add_nc_u32_e32 v4, v1, v2
	s_mul_i32 s6, s34, s6
	s_delay_alu instid0(SALU_CYCLE_1) | instskip(NEXT) | instid1(VALU_DEP_1)
	s_ashr_i32 s7, s6, 31
	v_ashrrev_i32_e32 v4, 4, v4
	v_add_nc_u32_e32 v2, v3, v2
	s_lshl_b64 s[6:7], s[6:7], 2
	s_delay_alu instid0(SALU_CYCLE_1) | instskip(NEXT) | instid1(VALU_DEP_2)
	s_add_u32 s26, s4, s6
	v_cndmask_b32_e32 v1, s3, v4, vcc_lo
	s_delay_alu instid0(VALU_DEP_2)
	v_ashrrev_i32_e32 v2, 4, v2
	v_cmp_gt_i32_e32 vcc_lo, s24, v3
	s_addc_u32 s25, s5, s7
	s_ashr_i32 s28, s27, 31
	s_add_u32 s13, s20, s27
	s_addc_u32 s15, s21, s28
	v_cndmask_b32_e32 v3, s3, v2, vcc_lo
	v_ashrrev_i32_e32 v2, 31, v1
	s_lshl_b32 s4, s14, 4
	s_delay_alu instid0(SALU_CYCLE_1) | instskip(NEXT) | instid1(VALU_DEP_2)
	s_ashr_i32 s5, s4, 31
	v_ashrrev_i32_e32 v4, 31, v3
	s_delay_alu instid0(VALU_DEP_2) | instskip(SKIP_1) | instid1(SALU_CYCLE_1)
	v_lshlrev_b64 v[1:2], 2, v[1:2]
	s_lshl_b64 s[4:5], s[4:5], 2
	s_add_u32 s4, s26, s4
	s_delay_alu instid0(VALU_DEP_2) | instskip(SKIP_1) | instid1(VALU_DEP_2)
	v_lshlrev_b64 v[3:4], 2, v[3:4]
	s_addc_u32 s5, s25, s5
	v_add_co_u32 v1, vcc_lo, s26, v1
	v_add_co_ci_u32_e32 v2, vcc_lo, s25, v2, vcc_lo
	s_delay_alu instid0(VALU_DEP_3) | instskip(NEXT) | instid1(VALU_DEP_4)
	v_add_co_u32 v3, vcc_lo, s26, v3
	v_add_co_ci_u32_e32 v4, vcc_lo, s25, v4, vcc_lo
	s_clause 0x1
	global_load_b32 v5, v[1:2], off
	global_load_b32 v7, v[3:4], off
	s_or_b32 s6, s12, 32
	v_lshlrev_b32_e32 v1, 4, v0
	s_ashr_i32 s7, s6, 4
	s_cmp_lt_i32 s6, s24
	v_cmp_gt_u32_e32 vcc_lo, 11, v65
	s_cselect_b32 s6, s7, s3
	v_and_b32_e32 v1, 0xf0, v1
	s_ashr_i32 s7, s6, 31
	s_delay_alu instid0(SALU_CYCLE_1) | instskip(NEXT) | instid1(SALU_CYCLE_1)
	s_lshl_b64 s[6:7], s[6:7], 2
	s_add_u32 s6, s26, s6
	s_addc_u32 s7, s25, s7
	s_or_b32 s8, s12, 64
	v_add_co_u32 v1, s13, s13, v1
	s_ashr_i32 s9, s8, 4
	s_cmp_lt_i32 s8, s24
	v_add_co_ci_u32_e64 v2, null, s15, 0, s13
	s_cselect_b32 s8, s9, s3
	s_delay_alu instid0(SALU_CYCLE_1) | instskip(NEXT) | instid1(SALU_CYCLE_1)
	s_ashr_i32 s9, s8, 31
	s_lshl_b64 s[8:9], s[8:9], 2
	s_delay_alu instid0(SALU_CYCLE_1) | instskip(SKIP_2) | instid1(SALU_CYCLE_1)
	s_add_u32 s8, s26, s8
	s_addc_u32 s9, s25, s9
	s_or_b32 s10, s12, 0x60
	s_ashr_i32 s11, s10, 4
	s_cmp_lt_i32 s10, s24
	s_cselect_b32 s10, s11, s3
	s_delay_alu instid0(SALU_CYCLE_1) | instskip(NEXT) | instid1(SALU_CYCLE_1)
	s_ashr_i32 s11, s10, 31
	s_lshl_b64 s[10:11], s[10:11], 2
	s_delay_alu instid0(SALU_CYCLE_1) | instskip(SKIP_2) | instid1(SALU_CYCLE_1)
	s_add_u32 s10, s26, s10
	s_addc_u32 s11, s25, s11
	s_or_b32 s16, s12, 0x80
	s_ashr_i32 s18, s16, 4
	s_cmp_lt_i32 s16, s24
	;; [unrolled: 10-line block ×3, first 2 shown]
	s_cselect_b32 s20, s18, s3
	s_delay_alu instid0(SALU_CYCLE_1) | instskip(NEXT) | instid1(SALU_CYCLE_1)
	s_ashr_i32 s21, s20, 31
	s_lshl_b64 s[20:21], s[20:21], 2
	s_delay_alu instid0(SALU_CYCLE_1)
	s_add_u32 s38, s26, s20
	s_addc_u32 s39, s25, s21
	s_clause 0x5
	s_load_b32 s21, s[4:5], 0x0
	s_load_b32 s13, s[6:7], 0x0
	;; [unrolled: 1-line block ×6, first 2 shown]
	s_or_b32 s8, s12, 0xc0
	s_mov_b32 s4, 0
	s_ashr_i32 s9, s8, 4
	s_cmp_lt_i32 s8, s24
	s_mov_b32 s11, s4
	s_cselect_b32 s36, s9, s3
	s_mov_b32 s5, s4
	s_ashr_i32 s37, s36, 31
	s_mov_b32 s6, s4
	s_lshl_b64 s[36:37], s[36:37], 2
	s_mov_b32 s7, s4
	s_add_u32 s36, s26, s36
	s_addc_u32 s37, s25, s37
	s_or_b32 s29, s12, 0xe0
	s_mov_b32 s8, s4
	s_ashr_i32 s30, s29, 4
	s_mov_b32 s9, s4
	s_mov_b32 s10, s4
	s_cmp_lt_i32 s29, s24
	v_dual_mov_b32 v107, s11 :: v_dual_mov_b32 v100, s4
	v_mov_b32_e32 v106, s10
	v_dual_mov_b32 v104, s8 :: v_dual_mov_b32 v103, s7
	v_dual_mov_b32 v102, s6 :: v_dual_mov_b32 v101, s5
	s_waitcnt vmcnt(1)
	v_mad_i64_i32 v[3:4], null, v5, s17, v[1:2]
	s_waitcnt vmcnt(0)
	v_mad_i64_i32 v[5:6], null, v7, s17, v[1:2]
	v_add_nc_u32_e32 v1, -11, v65
	v_lshlrev_b32_e32 v2, 4, v65
	s_clause 0x7
	global_load_b128 v[49:52], v[3:4], off
	global_load_b128 v[53:56], v[3:4], off offset:256
	global_load_b128 v[76:79], v[5:6], off
	global_load_b128 v[80:83], v[5:6], off offset:256
	global_load_b128 v[84:87], v[3:4], off offset:512
	;; [unrolled: 1-line block ×5, first 2 shown]
	v_cndmask_b32_e32 v1, v1, v65, vcc_lo
	v_mov_b32_e32 v105, s9
	s_cselect_b32 s4, s30, s3
	v_lshl_or_b32 v2, v66, 8, v2
	s_ashr_i32 s5, s4, 31
	v_lshlrev_b32_e32 v70, 6, v1
	s_lshl_b64 s[4:5], s[4:5], 2
	s_load_b32 s3, s[36:37], 0x0
	s_add_u32 s4, s26, s4
	s_addc_u32 s5, s25, s5
	ds_load_b128 v[108:111], v70
	ds_load_b128 v[112:115], v70 offset:1024
	s_load_b32 s4, s[4:5], 0x0
	s_add_u32 s6, s22, s27
	s_addc_u32 s7, s23, s28
	v_add_co_u32 v9, s6, s6, v2
	s_delay_alu instid0(VALU_DEP_1) | instskip(SKIP_1) | instid1(VALU_DEP_1)
	v_add_co_ci_u32_e64 v10, null, s7, 0, s6
	s_waitcnt lgkmcnt(0)
	v_mad_i64_i32 v[1:2], null, s21, s17, v[9:10]
	v_mad_i64_i32 v[3:4], null, s13, s17, v[9:10]
	;; [unrolled: 1-line block ×7, first 2 shown]
	s_clause 0x9
	global_load_b128 v[57:60], v[1:2], off
	global_load_b128 v[61:64], v[1:2], off offset:16
	global_load_b128 v[41:44], v[3:4], off
	global_load_b128 v[45:48], v[3:4], off offset:16
	;; [unrolled: 2-line block ×5, first 2 shown]
	v_mad_i64_i32 v[68:69], null, s4, s17, v[9:10]
	s_clause 0x3
	global_load_b128 v[9:12], v[13:14], off
	global_load_b128 v[13:16], v[13:14], off offset:16
	global_load_b128 v[17:20], v[21:22], off
	global_load_b128 v[21:24], v[21:22], off offset:16
	s_waitcnt vmcnt(20)
	v_wmma_f32_16x16x16_bf16 v[116:123], v[49:56], v[108:115], v[100:107]
	s_clause 0x1
	global_load_b128 v[49:52], v[68:69], off
	global_load_b128 v[53:56], v[68:69], off offset:16
	v_and_b32_e32 v68, 0xe0, v0
	v_mbcnt_lo_u32_b32 v69, -1, 0
	s_delay_alu instid0(VALU_DEP_2)
	v_add_nc_u32_e32 v68, s12, v68
	s_waitcnt vmcnt(20)
	v_wmma_f32_16x16x16_bf16 v[100:107], v[76:83], v[108:115], v[100:107]
	ds_load_b128 v[76:79], v70 offset:2048
	ds_load_b128 v[80:83], v70 offset:3072
	v_xor_b32_e32 v70, 16, v69
	s_waitcnt vmcnt(0) lgkmcnt(0)
	v_or_b32_e32 v68, v68, v74
	s_barrier
	buffer_gl0_inv
	v_cmp_gt_i32_e32 vcc_lo, 32, v70
	v_or_b32_e32 v71, 4, v68
	v_or_b32_e32 v72, 6, v68
	v_cmp_gt_i32_e64 s3, s24, v68
	v_or_b32_e32 v108, 8, v68
	v_or_b32_e32 v109, 10, v68
	v_cmp_gt_i32_e64 s4, s24, v71
	v_cmp_gt_i32_e64 s5, s24, v72
	s_delay_alu instid0(VALU_DEP_4) | instskip(NEXT) | instid1(VALU_DEP_4)
	v_cmp_gt_i32_e64 s6, s24, v108
	v_cmp_gt_i32_e64 s7, s24, v109
	v_wmma_f32_16x16x16_bf16 v[116:123], v[84:91], v[76:83], v[116:123]
	v_cndmask_b32_e32 v69, v69, v70, vcc_lo
	v_or_b32_e32 v70, 2, v68
	v_wmma_f32_16x16x16_bf16 v[100:107], v[92:99], v[76:83], v[100:107]
	v_or_b32_e32 v89, 22, v68
	v_dual_mul_f32 v82, s19, v119 :: v_dual_mul_f32 v79, s19, v122
	v_dual_mul_f32 v92, s19, v117 :: v_dual_mul_f32 v93, s19, v116
	s_delay_alu instid0(VALU_DEP_4) | instskip(SKIP_2) | instid1(VALU_DEP_4)
	v_mul_f32_e32 v98, s19, v103
	v_cmp_gt_i32_e32 vcc_lo, s24, v70
	v_dual_mul_f32 v83, s19, v118 :: v_dual_mul_f32 v96, s19, v105
	v_cndmask_b32_e64 v93, 0xff7fffff, v93, s3
	v_or_b32_e32 v84, 12, v68
	v_cndmask_b32_e32 v92, 0xff7fffff, v92, vcc_lo
	v_or_b32_e32 v85, 14, v68
	v_dual_mul_f32 v80, s19, v121 :: v_dual_mul_f32 v81, s19, v120
	v_mul_f32_e32 v94, s19, v107
	v_cndmask_b32_e64 v71, 0xff7fffff, v83, s4
	v_cndmask_b32_e64 v72, 0xff7fffff, v82, s5
	v_cmp_gt_i32_e64 s13, s24, v89
	v_lshlrev_b32_e32 v89, 2, v69
	v_max3_f32 v82, v93, 0xff7fffff, v92
	v_or_b32_e32 v86, 16, v68
	v_or_b32_e32 v87, 18, v68
	v_mul_f32_e32 v78, s19, v123
	v_cndmask_b32_e64 v81, 0xff7fffff, v81, s6
	v_cndmask_b32_e64 v80, 0xff7fffff, v80, s7
	v_max3_f32 v71, v82, v71, v72
	v_cmp_gt_i32_e64 s8, s24, v84
	v_cmp_gt_i32_e64 s9, s24, v85
	v_or_b32_e32 v88, 20, v68
	v_or_b32_e32 v90, 24, v68
	;; [unrolled: 1-line block ×5, first 2 shown]
	v_dual_mul_f32 v95, s19, v106 :: v_dual_mul_f32 v70, s19, v101
	v_dual_mul_f32 v99, s19, v102 :: v_dual_mul_f32 v68, s19, v100
	v_cndmask_b32_e64 v72, 0xff7fffff, v79, s8
	v_cndmask_b32_e64 v78, 0xff7fffff, v78, s9
	v_max3_f32 v71, v71, v81, v80
	v_cmp_gt_i32_e64 s10, s24, v86
	v_cmp_gt_i32_e64 s11, s24, v87
	;; [unrolled: 1-line block ×3, first 2 shown]
	v_mul_f32_e32 v97, s19, v104
	v_max3_f32 v71, v71, v72, v78
	v_cndmask_b32_e64 v68, 0xff7fffff, v68, s10
	v_cndmask_b32_e64 v70, 0xff7fffff, v70, s11
	;; [unrolled: 1-line block ×4, first 2 shown]
	v_cmp_gt_i32_e64 s15, s24, v90
	v_cmp_gt_i32_e64 s16, s24, v91
	v_max3_f32 v68, v71, v68, v70
	v_cmp_gt_i32_e64 s17, s24, v76
	v_cmp_gt_i32_e64 s18, s24, v77
	v_cndmask_b32_e64 v70, 0xff7fffff, v97, s15
	v_cndmask_b32_e64 v71, 0xff7fffff, v96, s16
	v_max3_f32 v68, v68, v72, v78
	v_cndmask_b32_e64 v72, 0xff7fffff, v95, s17
	v_cndmask_b32_e64 v76, 0xff7fffff, v94, s18
	s_delay_alu instid0(VALU_DEP_3) | instskip(NEXT) | instid1(VALU_DEP_1)
	v_max3_f32 v68, v68, v70, v71
	v_max3_f32 v68, v68, v72, v76
	ds_bpermute_b32 v69, v89, v68
	s_waitcnt lgkmcnt(0)
	v_max_f32_e32 v69, v69, v69
	s_delay_alu instid0(VALU_DEP_1) | instskip(NEXT) | instid1(VALU_DEP_1)
	v_max_f32_e32 v68, v68, v69
	v_fma_f32 v69, s19, v116, -v68
	v_fma_f32 v70, s19, v117, -v68
	;; [unrolled: 1-line block ×5, first 2 shown]
	s_delay_alu instid0(VALU_DEP_4) | instskip(NEXT) | instid1(VALU_DEP_4)
	v_dual_mul_f32 v69, 0x3fb8aa3b, v69 :: v_dual_mul_f32 v70, 0x3fb8aa3b, v70
	v_mul_f32_e32 v72, 0x3fb8aa3b, v72
	v_fma_f32 v78, s19, v122, -v68
	s_delay_alu instid0(VALU_DEP_4) | instskip(NEXT) | instid1(VALU_DEP_4)
	v_mul_f32_e32 v77, 0x3fb8aa3b, v76
	v_exp_f32_e32 v69, v69
	v_exp_f32_e32 v70, v70
	v_mul_f32_e32 v71, 0x3fb8aa3b, v71
	v_exp_f32_e32 v72, v72
	v_mul_f32_e32 v78, 0x3fb8aa3b, v78
	v_exp_f32_e32 v77, v77
	v_fma_f32 v81, s19, v105, -v68
	s_delay_alu instid0(VALU_DEP_2)
	v_exp_f32_e32 v78, v78
	v_cndmask_b32_e64 v80, 0, v69, s3
	v_cndmask_b32_e32 v76, 0, v70, vcc_lo
	v_exp_f32_e32 v71, v71
	v_fma_f32 v69, s19, v121, -v68
	v_cndmask_b32_e64 v85, 0, v72, s5
	v_add_f32_e32 v70, 0, v80
	s_delay_alu instid0(TRANS32_DEP_3)
	v_cndmask_b32_e64 v86, 0, v77, s6
	v_fma_f32 v77, s19, v101, -v68
	v_mul_f32_e32 v69, 0x3fb8aa3b, v69
	v_fma_f32 v72, s19, v100, -v68
	v_cndmask_b32_e64 v84, 0, v78, s8
	v_fma_f32 v78, s19, v103, -v68
	v_cndmask_b32_e64 v83, 0, v71, s4
	v_fma_f32 v71, s19, v123, -v68
	v_add_f32_e32 v70, v70, v76
	v_exp_f32_e32 v69, v69
	v_mul_f32_e32 v77, 0x3fb8aa3b, v77
	v_mul_f32_e32 v81, 0x3fb8aa3b, v81
	;; [unrolled: 1-line block ×3, first 2 shown]
	v_add_f32_e32 v70, v70, v83
	v_cmp_gt_u32_e64 s3, 16, v67
	v_exp_f32_e32 v77, v77
	v_exp_f32_e32 v81, v81
	;; [unrolled: 1-line block ×3, first 2 shown]
	v_cndmask_b32_e64 v87, 0, v69, s7
	v_add_f32_e32 v70, v70, v85
	s_delay_alu instid0(VALU_DEP_1) | instskip(SKIP_1) | instid1(VALU_DEP_2)
	v_dual_mul_f32 v72, 0x3fb8aa3b, v72 :: v_dual_add_f32 v69, v70, v86
	v_fma_f32 v70, s19, v102, -v68
	v_exp_f32_e32 v72, v72
	s_waitcnt_depctr 0xfff
	v_cndmask_b32_e64 v88, 0, v71, s9
	v_fma_f32 v71, s19, v104, -v68
	v_dual_add_f32 v69, v69, v87 :: v_dual_mul_f32 v70, 0x3fb8aa3b, v70
	s_delay_alu instid0(VALU_DEP_2) | instskip(NEXT) | instid1(VALU_DEP_2)
	v_dual_mul_f32 v78, 0x3fb8aa3b, v78 :: v_dual_mul_f32 v71, 0x3fb8aa3b, v71
	v_add_f32_e32 v69, v69, v84
	s_delay_alu instid0(VALU_DEP_3) | instskip(SKIP_1) | instid1(VALU_DEP_3)
	v_exp_f32_e32 v79, v70
	v_cndmask_b32_e64 v70, 0, v72, s10
	v_exp_f32_e32 v78, v78
	v_exp_f32_e32 v82, v71
	v_add_f32_e32 v72, v69, v88
	v_cndmask_b32_e64 v69, 0, v77, s11
	v_fma_f32 v77, s19, v106, -v68
	s_delay_alu instid0(VALU_DEP_3) | instskip(NEXT) | instid1(TRANS32_DEP_3)
	v_add_f32_e32 v72, v72, v70
	v_cndmask_b32_e64 v71, 0, v79, s12
	s_delay_alu instid0(VALU_DEP_3) | instskip(NEXT) | instid1(VALU_DEP_3)
	v_mul_f32_e32 v77, 0x3fb8aa3b, v77
	v_add_f32_e32 v79, v72, v69
	s_delay_alu instid0(TRANS32_DEP_2) | instskip(NEXT) | instid1(VALU_DEP_3)
	v_cndmask_b32_e64 v72, 0, v78, s13
	v_exp_f32_e32 v90, v77
	v_cndmask_b32_e64 v77, 0, v82, s15
	s_delay_alu instid0(VALU_DEP_3) | instskip(SKIP_1) | instid1(VALU_DEP_1)
	v_add_f32_e32 v78, v79, v71
	v_fma_f32 v79, s19, v107, -v68
	v_dual_add_f32 v82, v78, v72 :: v_dual_mul_f32 v79, 0x3fb8aa3b, v79
	v_cndmask_b32_e64 v78, 0, v81, s16
	s_delay_alu instid0(VALU_DEP_2) | instskip(NEXT) | instid1(VALU_DEP_3)
	v_add_f32_e32 v81, v82, v77
	v_exp_f32_e32 v82, v79
	s_delay_alu instid0(TRANS32_DEP_2) | instskip(NEXT) | instid1(VALU_DEP_2)
	v_cndmask_b32_e64 v79, 0, v90, s17
	v_add_f32_e32 v81, v81, v78
	s_delay_alu instid0(VALU_DEP_1) | instskip(SKIP_2) | instid1(VALU_DEP_1)
	v_add_f32_e32 v90, v81, v79
	s_waitcnt_depctr 0xfff
	v_cndmask_b32_e64 v81, 0, v82, s18
	v_add_f32_e32 v82, v90, v81
	ds_bpermute_b32 v89, v89, v82
	s_and_saveexec_b32 s4, s3
	s_cbranch_execz .LBB1704_12
; %bb.11:
	v_mul_u32_u24_e32 v67, 0x44, v66
	s_delay_alu instid0(VALU_DEP_1) | instskip(SKIP_1) | instid1(VALU_DEP_1)
	v_lshl_add_u32 v67, v65, 2, v67
	s_waitcnt lgkmcnt(0)
	v_dual_add_f32 v82, v82, v89 :: v_dual_add_nc_u32 v67, 0x4000, v67
	ds_store_2addr_b32 v67, v68, v82 offset1:136
.LBB1704_12:
	s_or_b32 exec_lo, exec_lo, s4
	v_lshlrev_b32_e32 v67, 2, v65
	s_waitcnt lgkmcnt(0)
	s_barrier
	buffer_gl0_inv
	v_cmp_eq_u32_e32 vcc_lo, 1, v66
	v_add_nc_u32_e32 v82, 0x4000, v67
	v_cmp_eq_u32_e64 s4, 2, v66
	v_cmp_eq_u32_e64 s6, 7, v66
	ds_load_2addr_b32 v[89:90], v82 offset1:17
	ds_load_2addr_b32 v[91:92], v82 offset0:34 offset1:51
	ds_load_2addr_b32 v[93:94], v82 offset0:68 offset1:85
	;; [unrolled: 1-line block ×4, first 2 shown]
	s_waitcnt lgkmcnt(4)
	v_max3_f32 v67, v89, 0xff7fffff, v90
	s_waitcnt lgkmcnt(3)
	s_delay_alu instid0(VALU_DEP_1) | instskip(SKIP_1) | instid1(VALU_DEP_1)
	v_max3_f32 v67, v67, v91, v92
	s_waitcnt lgkmcnt(2)
	v_max3_f32 v67, v67, v93, v94
	s_waitcnt lgkmcnt(1)
	s_delay_alu instid0(VALU_DEP_1) | instskip(NEXT) | instid1(VALU_DEP_1)
	v_max3_f32 v67, v67, v95, v96
	v_sub_f32_e32 v93, v93, v67
	s_delay_alu instid0(VALU_DEP_1) | instskip(NEXT) | instid1(VALU_DEP_1)
	v_dual_sub_f32 v68, v89, v67 :: v_dual_mul_f32 v103, 0x3fb8aa3b, v93
	v_mul_f32_e32 v68, 0x3fb8aa3b, v68
	s_delay_alu instid0(VALU_DEP_1)
	v_exp_f32_e32 v100, v68
	v_sub_f32_e32 v68, v92, v67
	v_sub_f32_e32 v99, v90, v67
	ds_load_2addr_b32 v[89:90], v82 offset0:170 offset1:187
	v_dual_mul_f32 v102, 0x3fb8aa3b, v68 :: v_dual_mul_f32 v99, 0x3fb8aa3b, v99
	s_waitcnt lgkmcnt(1)
	v_fma_f32 v68, v100, v97, 0
	s_delay_alu instid0(VALU_DEP_2) | instskip(NEXT) | instid1(VALU_DEP_2)
	v_exp_f32_e32 v102, v102
	v_exp_f32_e32 v99, v99
	s_waitcnt_depctr 0xfff
	v_fmac_f32_e32 v68, v99, v98
	v_sub_f32_e32 v91, v91, v67
	s_delay_alu instid0(VALU_DEP_1)
	v_mul_f32_e32 v101, 0x3fb8aa3b, v91
	ds_load_2addr_b32 v[91:92], v82 offset0:204 offset1:221
	v_sub_f32_e32 v97, v94, v67
	ds_load_2addr_b32 v[93:94], v82 offset0:238 offset1:255
	s_waitcnt lgkmcnt(0)
	v_exp_f32_e32 v101, v101
	s_barrier
	buffer_gl0_inv
	v_dual_fmac_f32 v68, v101, v89 :: v_dual_sub_f32 v89, v96, v67
	v_dual_sub_f32 v82, v95, v67 :: v_dual_mul_f32 v95, 0x3fb8aa3b, v97
	v_exp_f32_e32 v97, v103
	s_delay_alu instid0(VALU_DEP_2) | instskip(NEXT) | instid1(VALU_DEP_2)
	v_dual_fmac_f32 v68, v102, v90 :: v_dual_mul_f32 v89, 0x3fb8aa3b, v89
	v_mul_f32_e32 v82, 0x3fb8aa3b, v82
	s_delay_alu instid0(VALU_DEP_3) | instskip(NEXT) | instid1(VALU_DEP_2)
	v_exp_f32_e32 v95, v95
	v_exp_f32_e32 v89, v89
	s_delay_alu instid0(VALU_DEP_1)
	v_exp_f32_e32 v82, v82
	v_fmac_f32_e32 v68, v97, v91
	s_delay_alu instid0(TRANS32_DEP_3) | instid1(VALU_DEP_1)
	v_fmac_f32_e32 v68, v95, v92
	s_waitcnt_depctr 0xfff
	v_fmac_f32_e32 v68, v82, v93
	s_delay_alu instid0(VALU_DEP_1) | instskip(NEXT) | instid1(VALU_DEP_1)
	v_fmac_f32_e32 v68, v89, v94
	v_add_f32_e32 v90, 0x358637bd, v68
	s_delay_alu instid0(VALU_DEP_1) | instskip(NEXT) | instid1(VALU_DEP_1)
	v_div_scale_f32 v91, null, v90, v90, 1.0
	v_rcp_f32_e32 v92, v91
	s_waitcnt_depctr 0xfff
	v_fma_f32 v93, -v91, v92, 1.0
	s_delay_alu instid0(VALU_DEP_1) | instskip(SKIP_1) | instid1(VALU_DEP_2)
	v_dual_fmac_f32 v92, v93, v92 :: v_dual_cndmask_b32 v93, v100, v99
	v_cmp_eq_u32_e32 vcc_lo, 3, v66
	v_cndmask_b32_e64 v93, v93, v101, s4
	v_cmp_eq_u32_e64 s4, 4, v66
	s_delay_alu instid0(VALU_DEP_2) | instskip(SKIP_1) | instid1(VALU_DEP_2)
	v_cndmask_b32_e32 v93, v93, v102, vcc_lo
	v_cmp_eq_u32_e32 vcc_lo, 5, v66
	v_cndmask_b32_e64 v93, v93, v97, s4
	v_cmp_eq_u32_e64 s4, 6, v66
	s_delay_alu instid0(VALU_DEP_2) | instskip(SKIP_1) | instid1(VALU_DEP_1)
	v_cndmask_b32_e32 v93, v93, v95, vcc_lo
	v_div_scale_f32 v94, s5, 1.0, v90, 1.0
	s_mov_b32 vcc_lo, s5
	s_delay_alu instid0(VALU_DEP_2) | instskip(NEXT) | instid1(VALU_DEP_2)
	v_cndmask_b32_e64 v82, v93, v82, s4
	v_mul_f32_e32 v96, v94, v92
	s_mov_b32 s4, exec_lo
	s_delay_alu instid0(VALU_DEP_2) | instskip(NEXT) | instid1(VALU_DEP_2)
	v_cndmask_b32_e64 v82, v82, v89, s6
	v_fma_f32 v98, -v91, v96, v94
	s_delay_alu instid0(VALU_DEP_1) | instskip(NEXT) | instid1(VALU_DEP_1)
	v_fmac_f32_e32 v96, v98, v92
	v_fma_f32 v91, -v91, v96, v94
	s_delay_alu instid0(VALU_DEP_1) | instskip(NEXT) | instid1(VALU_DEP_1)
	v_div_fmas_f32 v91, v91, v92, v96
	v_div_fixup_f32 v90, v91, v90, 1.0
	s_delay_alu instid0(VALU_DEP_1) | instskip(NEXT) | instid1(VALU_DEP_1)
	v_mul_f32_e32 v82, v82, v90
	v_mul_f32_e32 v87, v82, v87
	;; [unrolled: 1-line block ×7, first 2 shown]
	v_dual_mul_f32 v86, v82, v83 :: v_dual_and_b32 v91, 0x7f800000, v90
	v_mul_f32_e32 v85, v82, v76
                                        ; implicit-def: $vgpr76
	s_delay_alu instid0(VALU_DEP_2)
	v_cmpx_ne_u32_e32 0x7f800000, v91
	s_xor_b32 s4, exec_lo, s4
; %bb.13:
	v_bfe_u32 v76, v90, 16, 1
	s_delay_alu instid0(VALU_DEP_1)
	v_add3_u32 v76, v90, v76, 0x7fff
                                        ; implicit-def: $vgpr90
; %bb.14:
	s_and_not1_saveexec_b32 s4, s4
; %bb.15:
	v_and_b32_e32 v76, 0xffff, v90
	v_or_b32_e32 v83, 0x10000, v90
	s_delay_alu instid0(VALU_DEP_2) | instskip(NEXT) | instid1(VALU_DEP_2)
	v_cmp_eq_u32_e32 vcc_lo, 0, v76
	v_cndmask_b32_e32 v76, v83, v90, vcc_lo
; %bb.16:
	s_or_b32 exec_lo, exec_lo, s4
	v_and_b32_e32 v83, 0x7f800000, v85
	s_delay_alu instid0(VALU_DEP_1) | instskip(SKIP_1) | instid1(SALU_CYCLE_1)
	v_cmp_ne_u32_e32 vcc_lo, 0x7f800000, v83
                                        ; implicit-def: $vgpr83
	s_and_saveexec_b32 s4, vcc_lo
	s_xor_b32 s4, exec_lo, s4
; %bb.17:
	v_bfe_u32 v83, v85, 16, 1
	s_delay_alu instid0(VALU_DEP_1)
	v_add3_u32 v83, v85, v83, 0x7fff
                                        ; implicit-def: $vgpr85
; %bb.18:
	s_and_not1_saveexec_b32 s4, s4
; %bb.19:
	v_and_b32_e32 v83, 0xffff, v85
	v_or_b32_e32 v90, 0x10000, v85
	s_delay_alu instid0(VALU_DEP_2) | instskip(NEXT) | instid1(VALU_DEP_2)
	v_cmp_eq_u32_e32 vcc_lo, 0, v83
	v_cndmask_b32_e32 v83, v90, v85, vcc_lo
; %bb.20:
	s_or_b32 exec_lo, exec_lo, s4
	v_and_b32_e32 v85, 0x7f800000, v86
	s_delay_alu instid0(VALU_DEP_1) | instskip(SKIP_1) | instid1(SALU_CYCLE_1)
	v_cmp_ne_u32_e32 vcc_lo, 0x7f800000, v85
                                        ; implicit-def: $vgpr85
	s_and_saveexec_b32 s4, vcc_lo
	s_xor_b32 s4, exec_lo, s4
; %bb.21:
	v_bfe_u32 v85, v86, 16, 1
	s_delay_alu instid0(VALU_DEP_1)
	v_add3_u32 v85, v86, v85, 0x7fff
                                        ; implicit-def: $vgpr86
; %bb.22:
	s_and_not1_saveexec_b32 s4, s4
; %bb.23:
	v_and_b32_e32 v85, 0xffff, v86
	v_or_b32_e32 v90, 0x10000, v86
	s_delay_alu instid0(VALU_DEP_2) | instskip(NEXT) | instid1(VALU_DEP_2)
	v_cmp_eq_u32_e32 vcc_lo, 0, v85
	v_cndmask_b32_e32 v85, v90, v86, vcc_lo
; %bb.24:
	s_or_b32 exec_lo, exec_lo, s4
	v_and_b32_e32 v86, 0x7f800000, v89
	s_delay_alu instid0(VALU_DEP_1) | instskip(SKIP_1) | instid1(SALU_CYCLE_1)
	v_cmp_ne_u32_e32 vcc_lo, 0x7f800000, v86
                                        ; implicit-def: $vgpr86
	s_and_saveexec_b32 s4, vcc_lo
	s_xor_b32 s4, exec_lo, s4
; %bb.25:
	v_bfe_u32 v86, v89, 16, 1
	s_delay_alu instid0(VALU_DEP_1)
	v_add3_u32 v86, v89, v86, 0x7fff
                                        ; implicit-def: $vgpr89
; %bb.26:
	s_and_not1_saveexec_b32 s4, s4
; %bb.27:
	v_and_b32_e32 v86, 0xffff, v89
	v_or_b32_e32 v90, 0x10000, v89
	s_delay_alu instid0(VALU_DEP_2) | instskip(NEXT) | instid1(VALU_DEP_2)
	v_cmp_eq_u32_e32 vcc_lo, 0, v86
	v_cndmask_b32_e32 v86, v90, v89, vcc_lo
; %bb.28:
	s_or_b32 exec_lo, exec_lo, s4
	v_and_b32_e32 v89, 0x7f800000, v88
	s_delay_alu instid0(VALU_DEP_1) | instskip(SKIP_1) | instid1(SALU_CYCLE_1)
	v_cmp_ne_u32_e32 vcc_lo, 0x7f800000, v89
                                        ; implicit-def: $vgpr89
	s_and_saveexec_b32 s4, vcc_lo
	s_xor_b32 s4, exec_lo, s4
; %bb.29:
	v_bfe_u32 v89, v88, 16, 1
	s_delay_alu instid0(VALU_DEP_1)
	v_add3_u32 v89, v88, v89, 0x7fff
                                        ; implicit-def: $vgpr88
; %bb.30:
	s_and_not1_saveexec_b32 s4, s4
; %bb.31:
	v_and_b32_e32 v89, 0xffff, v88
	v_or_b32_e32 v90, 0x10000, v88
	s_delay_alu instid0(VALU_DEP_2) | instskip(NEXT) | instid1(VALU_DEP_2)
	v_cmp_eq_u32_e32 vcc_lo, 0, v89
	v_cndmask_b32_e32 v89, v90, v88, vcc_lo
; %bb.32:
	s_or_b32 exec_lo, exec_lo, s4
	v_and_b32_e32 v88, 0x7f800000, v87
	s_delay_alu instid0(VALU_DEP_1) | instskip(SKIP_1) | instid1(SALU_CYCLE_1)
	v_cmp_ne_u32_e32 vcc_lo, 0x7f800000, v88
                                        ; implicit-def: $vgpr88
	s_and_saveexec_b32 s4, vcc_lo
	s_xor_b32 s4, exec_lo, s4
; %bb.33:
	v_bfe_u32 v88, v87, 16, 1
	s_delay_alu instid0(VALU_DEP_1)
	v_add3_u32 v88, v87, v88, 0x7fff
                                        ; implicit-def: $vgpr87
; %bb.34:
	s_and_not1_saveexec_b32 s4, s4
; %bb.35:
	v_and_b32_e32 v88, 0xffff, v87
	v_or_b32_e32 v90, 0x10000, v87
	s_delay_alu instid0(VALU_DEP_2) | instskip(NEXT) | instid1(VALU_DEP_2)
	v_cmp_eq_u32_e32 vcc_lo, 0, v88
	v_cndmask_b32_e32 v88, v90, v87, vcc_lo
; %bb.36:
	s_or_b32 exec_lo, exec_lo, s4
	v_and_b32_e32 v87, 0x7f800000, v84
	s_delay_alu instid0(VALU_DEP_1) | instskip(SKIP_1) | instid1(SALU_CYCLE_1)
	v_cmp_ne_u32_e32 vcc_lo, 0x7f800000, v87
                                        ; implicit-def: $vgpr87
	s_and_saveexec_b32 s4, vcc_lo
	s_xor_b32 s4, exec_lo, s4
; %bb.37:
	v_bfe_u32 v87, v84, 16, 1
	s_delay_alu instid0(VALU_DEP_1)
	v_add3_u32 v87, v84, v87, 0x7fff
                                        ; implicit-def: $vgpr84
; %bb.38:
	s_and_not1_saveexec_b32 s4, s4
; %bb.39:
	v_and_b32_e32 v87, 0xffff, v84
	v_or_b32_e32 v90, 0x10000, v84
	s_delay_alu instid0(VALU_DEP_2) | instskip(NEXT) | instid1(VALU_DEP_2)
	v_cmp_eq_u32_e32 vcc_lo, 0, v87
	v_cndmask_b32_e32 v87, v90, v84, vcc_lo
; %bb.40:
	s_or_b32 exec_lo, exec_lo, s4
	v_and_b32_e32 v84, 0x7f800000, v80
	s_delay_alu instid0(VALU_DEP_1) | instskip(SKIP_1) | instid1(SALU_CYCLE_1)
	v_cmp_ne_u32_e32 vcc_lo, 0x7f800000, v84
                                        ; implicit-def: $vgpr84
	s_and_saveexec_b32 s4, vcc_lo
	s_xor_b32 s4, exec_lo, s4
; %bb.41:
	v_bfe_u32 v84, v80, 16, 1
	s_delay_alu instid0(VALU_DEP_1)
	v_add3_u32 v84, v80, v84, 0x7fff
                                        ; implicit-def: $vgpr80
; %bb.42:
	s_and_not1_saveexec_b32 s4, s4
; %bb.43:
	v_and_b32_e32 v84, 0xffff, v80
	v_or_b32_e32 v90, 0x10000, v80
	s_delay_alu instid0(VALU_DEP_2) | instskip(NEXT) | instid1(VALU_DEP_2)
	v_cmp_eq_u32_e32 vcc_lo, 0, v84
	v_cndmask_b32_e32 v84, v90, v80, vcc_lo
; %bb.44:
	s_or_b32 exec_lo, exec_lo, s4
	s_load_b64 s[36:37], s[0:1], 0x94
	v_lshlrev_b32_e32 v91, 4, v74
	s_delay_alu instid0(VALU_DEP_2)
	v_perm_b32 v90, v84, v87, 0x7060302
	v_dual_mul_f32 v79, v82, v79 :: v_dual_lshlrev_b32 v80, 6, v65
	v_dual_mul_f32 v77, v82, v77 :: v_dual_lshlrev_b32 v92, 11, v66
	v_mul_f32_e32 v84, v82, v70
	v_perm_b32 v89, v88, v89, 0x7060302
	v_perm_b32 v88, v86, v85, 0x7060302
	;; [unrolled: 1-line block ×3, first 2 shown]
	v_mul_f32_e32 v70, v82, v81
	v_or3_b32 v76, v91, v92, v80
	v_dual_mul_f32 v78, v82, v78 :: v_dual_and_b32 v85, 0x7f800000, v84
	v_mul_f32_e32 v83, v82, v72
	v_mul_f32_e32 v81, v82, v71
	;; [unrolled: 1-line block ×3, first 2 shown]
	s_mov_b32 s4, exec_lo
	ds_store_b128 v76, v[87:90]
                                        ; implicit-def: $vgpr69
	v_cmpx_ne_u32_e32 0x7f800000, v85
	s_xor_b32 s4, exec_lo, s4
; %bb.45:
	v_bfe_u32 v69, v84, 16, 1
	s_delay_alu instid0(VALU_DEP_1)
	v_add3_u32 v69, v84, v69, 0x7fff
                                        ; implicit-def: $vgpr84
; %bb.46:
	s_and_not1_saveexec_b32 s4, s4
; %bb.47:
	v_and_b32_e32 v69, 0xffff, v84
	v_or_b32_e32 v71, 0x10000, v84
	s_delay_alu instid0(VALU_DEP_2) | instskip(NEXT) | instid1(VALU_DEP_2)
	v_cmp_eq_u32_e32 vcc_lo, 0, v69
	v_cndmask_b32_e32 v69, v71, v84, vcc_lo
; %bb.48:
	s_or_b32 exec_lo, exec_lo, s4
	v_and_b32_e32 v71, 0x7f800000, v72
	s_delay_alu instid0(VALU_DEP_1) | instskip(SKIP_1) | instid1(SALU_CYCLE_1)
	v_cmp_ne_u32_e32 vcc_lo, 0x7f800000, v71
                                        ; implicit-def: $vgpr71
	s_and_saveexec_b32 s4, vcc_lo
	s_xor_b32 s4, exec_lo, s4
; %bb.49:
	v_bfe_u32 v71, v72, 16, 1
	s_delay_alu instid0(VALU_DEP_1)
	v_add3_u32 v71, v72, v71, 0x7fff
                                        ; implicit-def: $vgpr72
; %bb.50:
	s_and_not1_saveexec_b32 s4, s4
; %bb.51:
	v_and_b32_e32 v71, 0xffff, v72
	v_or_b32_e32 v82, 0x10000, v72
	s_delay_alu instid0(VALU_DEP_2) | instskip(NEXT) | instid1(VALU_DEP_2)
	v_cmp_eq_u32_e32 vcc_lo, 0, v71
	v_cndmask_b32_e32 v71, v82, v72, vcc_lo
; %bb.52:
	s_or_b32 exec_lo, exec_lo, s4
	v_and_b32_e32 v72, 0x7f800000, v81
	s_delay_alu instid0(VALU_DEP_1) | instskip(SKIP_1) | instid1(SALU_CYCLE_1)
	v_cmp_ne_u32_e32 vcc_lo, 0x7f800000, v72
                                        ; implicit-def: $vgpr72
	s_and_saveexec_b32 s4, vcc_lo
	s_xor_b32 s4, exec_lo, s4
; %bb.53:
	v_bfe_u32 v72, v81, 16, 1
	s_delay_alu instid0(VALU_DEP_1)
	v_add3_u32 v72, v81, v72, 0x7fff
                                        ; implicit-def: $vgpr81
; %bb.54:
	s_and_not1_saveexec_b32 s4, s4
; %bb.55:
	v_and_b32_e32 v72, 0xffff, v81
	v_or_b32_e32 v82, 0x10000, v81
	s_delay_alu instid0(VALU_DEP_2) | instskip(NEXT) | instid1(VALU_DEP_2)
	v_cmp_eq_u32_e32 vcc_lo, 0, v72
	v_cndmask_b32_e32 v72, v82, v81, vcc_lo
; %bb.56:
	s_or_b32 exec_lo, exec_lo, s4
	v_and_b32_e32 v81, 0x7f800000, v83
	s_delay_alu instid0(VALU_DEP_1) | instskip(SKIP_1) | instid1(SALU_CYCLE_1)
	v_cmp_ne_u32_e32 vcc_lo, 0x7f800000, v81
                                        ; implicit-def: $vgpr81
	s_and_saveexec_b32 s4, vcc_lo
	s_xor_b32 s4, exec_lo, s4
; %bb.57:
	v_bfe_u32 v81, v83, 16, 1
	s_delay_alu instid0(VALU_DEP_1)
	v_add3_u32 v81, v83, v81, 0x7fff
                                        ; implicit-def: $vgpr83
; %bb.58:
	s_and_not1_saveexec_b32 s4, s4
; %bb.59:
	v_and_b32_e32 v81, 0xffff, v83
	v_or_b32_e32 v82, 0x10000, v83
	s_delay_alu instid0(VALU_DEP_2) | instskip(NEXT) | instid1(VALU_DEP_2)
	v_cmp_eq_u32_e32 vcc_lo, 0, v81
	v_cndmask_b32_e32 v81, v82, v83, vcc_lo
; %bb.60:
	s_or_b32 exec_lo, exec_lo, s4
	v_and_b32_e32 v82, 0x7f800000, v77
	s_delay_alu instid0(VALU_DEP_1) | instskip(SKIP_1) | instid1(SALU_CYCLE_1)
	v_cmp_ne_u32_e32 vcc_lo, 0x7f800000, v82
                                        ; implicit-def: $vgpr82
	s_and_saveexec_b32 s4, vcc_lo
	s_xor_b32 s4, exec_lo, s4
; %bb.61:
	v_bfe_u32 v82, v77, 16, 1
	s_delay_alu instid0(VALU_DEP_1)
	v_add3_u32 v82, v77, v82, 0x7fff
                                        ; implicit-def: $vgpr77
; %bb.62:
	s_and_not1_saveexec_b32 s4, s4
; %bb.63:
	v_and_b32_e32 v82, 0xffff, v77
	v_or_b32_e32 v83, 0x10000, v77
	s_delay_alu instid0(VALU_DEP_2) | instskip(NEXT) | instid1(VALU_DEP_2)
	v_cmp_eq_u32_e32 vcc_lo, 0, v82
	v_cndmask_b32_e32 v82, v83, v77, vcc_lo
; %bb.64:
	s_or_b32 exec_lo, exec_lo, s4
	v_and_b32_e32 v77, 0x7f800000, v78
	s_delay_alu instid0(VALU_DEP_1) | instskip(SKIP_1) | instid1(SALU_CYCLE_1)
	v_cmp_ne_u32_e32 vcc_lo, 0x7f800000, v77
                                        ; implicit-def: $vgpr77
	s_and_saveexec_b32 s4, vcc_lo
	s_xor_b32 s4, exec_lo, s4
; %bb.65:
	v_bfe_u32 v77, v78, 16, 1
	s_delay_alu instid0(VALU_DEP_1)
	v_add3_u32 v77, v78, v77, 0x7fff
                                        ; implicit-def: $vgpr78
; %bb.66:
	s_and_not1_saveexec_b32 s4, s4
; %bb.67:
	v_and_b32_e32 v77, 0xffff, v78
	v_or_b32_e32 v83, 0x10000, v78
	s_delay_alu instid0(VALU_DEP_2) | instskip(NEXT) | instid1(VALU_DEP_2)
	v_cmp_eq_u32_e32 vcc_lo, 0, v77
	v_cndmask_b32_e32 v77, v83, v78, vcc_lo
; %bb.68:
	s_or_b32 exec_lo, exec_lo, s4
	v_and_b32_e32 v78, 0x7f800000, v79
	s_delay_alu instid0(VALU_DEP_1) | instskip(SKIP_1) | instid1(SALU_CYCLE_1)
	v_cmp_ne_u32_e32 vcc_lo, 0x7f800000, v78
                                        ; implicit-def: $vgpr78
	s_and_saveexec_b32 s4, vcc_lo
	s_xor_b32 s4, exec_lo, s4
; %bb.69:
	v_bfe_u32 v78, v79, 16, 1
	s_delay_alu instid0(VALU_DEP_1)
	v_add3_u32 v78, v79, v78, 0x7fff
                                        ; implicit-def: $vgpr79
; %bb.70:
	s_and_not1_saveexec_b32 s4, s4
; %bb.71:
	v_and_b32_e32 v78, 0xffff, v79
	v_or_b32_e32 v83, 0x10000, v79
	s_delay_alu instid0(VALU_DEP_2) | instskip(NEXT) | instid1(VALU_DEP_2)
	v_cmp_eq_u32_e32 vcc_lo, 0, v78
	v_cndmask_b32_e32 v78, v83, v79, vcc_lo
; %bb.72:
	s_or_b32 exec_lo, exec_lo, s4
	v_and_b32_e32 v79, 0x7f800000, v70
	s_delay_alu instid0(VALU_DEP_1) | instskip(SKIP_1) | instid1(SALU_CYCLE_1)
	v_cmp_ne_u32_e32 vcc_lo, 0x7f800000, v79
                                        ; implicit-def: $vgpr79
	s_and_saveexec_b32 s4, vcc_lo
	s_xor_b32 s4, exec_lo, s4
; %bb.73:
	v_bfe_u32 v79, v70, 16, 1
	s_delay_alu instid0(VALU_DEP_1)
	v_add3_u32 v79, v70, v79, 0x7fff
                                        ; implicit-def: $vgpr70
; %bb.74:
	s_and_not1_saveexec_b32 s4, s4
; %bb.75:
	v_and_b32_e32 v79, 0xffff, v70
	v_or_b32_e32 v83, 0x10000, v70
	s_delay_alu instid0(VALU_DEP_2) | instskip(NEXT) | instid1(VALU_DEP_2)
	v_cmp_eq_u32_e32 vcc_lo, 0, v79
	v_cndmask_b32_e32 v79, v83, v70, vcc_lo
; %bb.76:
	s_or_b32 exec_lo, exec_lo, s4
	s_delay_alu instid0(VALU_DEP_1)
	v_perm_b32 v86, v79, v78, 0x7060302
	v_perm_b32 v85, v77, v82, 0x7060302
	;; [unrolled: 1-line block ×4, first 2 shown]
	v_lshl_or_b32 v82, v66, 11, v80
	ds_store_b128 v76, v[83:86] offset:1024
	s_waitcnt lgkmcnt(0)
	s_barrier
	buffer_gl0_inv
	ds_load_b128 v[69:72], v82
	ds_load_b128 v[83:86], v82 offset:16
	s_waitcnt lgkmcnt(1)
	v_lshrrev_b32_e32 v66, 16, v69
	s_waitcnt lgkmcnt(0)
	v_lshrrev_b32_e32 v91, 16, v83
	v_lshlrev_b32_e32 v78, 2, v74
	v_lshrrev_b32_e32 v95, 16, v70
	v_lshrrev_b32_e32 v98, 16, v84
	;; [unrolled: 1-line block ×4, first 2 shown]
	v_cmp_eq_u32_e32 vcc_lo, 1, v78
	v_lshrrev_b32_e32 v97, 16, v72
	v_lshrrev_b32_e32 v100, 16, v86
	v_cndmask_b32_e32 v87, v83, v91, vcc_lo
	v_or_b32_e32 v79, 1, v78
	v_cndmask_b32_e32 v81, v69, v66, vcc_lo
	v_cmp_eq_u32_e64 s5, 2, v78
	v_cmp_eq_u32_e64 s8, 3, v78
	;; [unrolled: 1-line block ×5, first 2 shown]
	v_cndmask_b32_e64 v81, v81, v70, s5
	v_cndmask_b32_e64 v87, v87, v84, s5
	v_cmp_eq_u32_e64 s9, 3, v79
	v_cndmask_b32_e64 v88, v69, v66, s4
	v_or_b32_e32 v77, 2, v78
	v_cndmask_b32_e64 v81, v81, v95, s8
	v_cndmask_b32_e64 v87, v87, v98, s8
	v_cndmask_b32_e64 v89, v83, v91, s4
	v_cndmask_b32_e64 v88, v88, v70, s7
	v_cmp_eq_u32_e64 s11, 5, v78
	v_cndmask_b32_e64 v81, v81, v71, s10
	v_cndmask_b32_e64 v87, v87, v85, s10
	v_cmp_eq_u32_e64 s12, 4, v79
	v_cndmask_b32_e64 v88, v88, v95, s9
	v_cmp_eq_u32_e64 s6, 1, v77
	v_cndmask_b32_e64 v89, v89, v84, s7
	v_cndmask_b32_e64 v81, v81, v96, s11
	v_cmp_eq_u32_e64 s13, 6, v78
	v_cndmask_b32_e64 v88, v88, v71, s12
	;; [unrolled: 3-line block ×3, first 2 shown]
	v_cndmask_b32_e64 v89, v89, v98, s9
	v_cndmask_b32_e64 v81, v81, v72, s13
	v_cmp_eq_u32_e64 s16, 7, v78
	v_cndmask_b32_e64 v88, v88, v96, s15
	v_cndmask_b32_e64 v87, v87, v86, s13
	v_cmp_eq_u32_e64 s17, 6, v79
	v_cmp_eq_u32_e64 s18, 2, v77
	v_cndmask_b32_e64 v89, v89, v85, s12
	v_cndmask_b32_e64 v101, v81, v97, s16
	;; [unrolled: 1-line block ×6, first 2 shown]
	v_cmp_eq_u32_e64 s19, 7, v79
	v_cmp_eq_u32_e64 s20, 3, v77
	;; [unrolled: 1-line block ×4, first 2 shown]
	v_cndmask_b32_e64 v87, v87, v84, s18
	v_cndmask_b32_e64 v103, v88, v97, s19
	;; [unrolled: 1-line block ×4, first 2 shown]
	v_or_b32_e32 v81, 3, v78
	v_cndmask_b32_e64 v93, v87, v98, s20
	v_cmp_eq_u32_e64 s25, 6, v77
	v_cndmask_b32_e64 v104, v88, v86, s17
	v_cndmask_b32_e64 v92, v89, v71, s21
	v_cmp_eq_u32_e64 s22, 1, v81
	ds_load_b128 v[87:90], v82 offset:1024
	v_cmp_eq_u32_e64 s24, 2, v81
	v_cmp_eq_u32_e64 s26, 3, v81
	v_cndmask_b32_e64 v105, v92, v96, s23
	v_cndmask_b32_e64 v66, v69, v66, s22
	;; [unrolled: 1-line block ×4, first 2 shown]
	ds_load_b128 v[91:94], v82 offset:1040
	v_cmp_eq_u32_e64 s27, 4, v81
	v_cndmask_b32_e64 v66, v66, v70, s24
	v_cmp_eq_u32_e64 s28, 7, v77
	v_cndmask_b32_e64 v70, v83, v84, s24
	v_cndmask_b32_e64 v84, v105, v72, s25
	v_cmp_eq_u32_e64 s29, 5, v81
	v_cndmask_b32_e64 v66, v66, v95, s26
	v_cmp_eq_u32_e64 s30, 6, v81
	v_cndmask_b32_e64 v70, v70, v98, s26
	v_cndmask_b32_e64 v69, v69, v99, s23
	;; [unrolled: 1-line block ×4, first 2 shown]
	s_waitcnt lgkmcnt(1)
	v_lshrrev_b32_e32 v95, 16, v87
	v_cndmask_b32_e64 v70, v70, v85, s27
	v_cndmask_b32_e64 v71, v84, v97, s28
	;; [unrolled: 1-line block ×4, first 2 shown]
	v_cndmask_b32_e32 v84, v87, v95, vcc_lo
	v_cndmask_b32_e64 v70, v70, v99, s29
	s_waitcnt lgkmcnt(0)
	v_lshrrev_b32_e32 v85, 16, v91
	v_lshrrev_b32_e32 v96, 16, v88
	v_cndmask_b32_e64 v98, v87, v95, s4
	v_cndmask_b32_e64 v84, v84, v88, s5
	;; [unrolled: 1-line block ×3, first 2 shown]
	v_cndmask_b32_e32 v99, v91, v85, vcc_lo
	v_cmp_eq_u32_e32 vcc_lo, 7, v81
	v_cndmask_b32_e64 v66, v66, v72, s30
	v_cndmask_b32_e64 v72, v84, v96, s8
	v_cndmask_b32_e64 v84, v98, v88, s7
	v_lshrrev_b32_e32 v98, 16, v92
	v_cndmask_b32_e32 v70, v70, v100, vcc_lo
	v_cndmask_b32_e64 v86, v99, v92, s5
	v_cndmask_b32_e64 v69, v69, v100, s28
	v_lshrrev_b32_e32 v100, 16, v93
	v_cndmask_b32_e64 v72, v72, v89, s10
	v_lshrrev_b32_e32 v99, 16, v89
	v_cndmask_b32_e64 v86, v86, v98, s8
	v_perm_b32 v71, v69, v71, 0x5040100
	v_cndmask_b32_e64 v84, v84, v96, s9
	s_delay_alu instid0(VALU_DEP_3) | instskip(NEXT) | instid1(VALU_DEP_2)
	v_cndmask_b32_e64 v86, v86, v93, s10
	v_cndmask_b32_e64 v84, v84, v89, s12
	s_delay_alu instid0(VALU_DEP_2) | instskip(NEXT) | instid1(VALU_DEP_1)
	v_cndmask_b32_e64 v86, v86, v100, s11
	v_cndmask_b32_e64 v69, v86, v94, s13
	;; [unrolled: 1-line block ×5, first 2 shown]
	s_delay_alu instid0(VALU_DEP_3) | instskip(NEXT) | instid1(VALU_DEP_3)
	v_cndmask_b32_e64 v86, v86, v88, s18
	v_cndmask_b32_e64 v87, v87, v88, s24
	s_delay_alu instid0(VALU_DEP_3) | instskip(NEXT) | instid1(VALU_DEP_3)
	v_cndmask_b32_e64 v88, v95, v92, s24
	v_cndmask_b32_e64 v86, v86, v96, s20
	;; [unrolled: 3-line block ×7, first 2 shown]
	s_delay_alu instid0(VALU_DEP_3) | instskip(SKIP_2) | instid1(VALU_DEP_2)
	v_cndmask_b32_e64 v88, v88, v94, s30
	v_cndmask_b32_e32 v66, v66, v97, vcc_lo
	v_cndmask_b32_e64 v97, v72, v99, s11
	v_perm_b32 v72, v70, v66, 0x5040100
	v_perm_b32 v70, v83, v103, 0x5040100
	v_cndmask_b32_e64 v103, v91, v85, s6
	v_cndmask_b32_e64 v85, v91, v85, s4
	;; [unrolled: 1-line block ×4, first 2 shown]
	v_lshrrev_b32_e32 v97, 16, v90
	v_cndmask_b32_e64 v91, v103, v92, s18
	v_cndmask_b32_e64 v85, v85, v92, s7
	;; [unrolled: 1-line block ×3, first 2 shown]
	s_mov_b32 s4, exec_lo
	v_cndmask_b32_e64 v83, v84, v97, s16
	v_cndmask_b32_e64 v91, v91, v98, s20
	;; [unrolled: 1-line block ×3, first 2 shown]
	v_lshrrev_b32_e32 v84, 16, v94
	v_cndmask_b32_e64 v66, v66, v97, s19
	v_cndmask_b32_e64 v90, v86, v97, s28
	;; [unrolled: 1-line block ×4, first 2 shown]
	v_dual_cndmask_b32 v86, v87, v97 :: v_dual_cndmask_b32 v87, v88, v84
	v_cndmask_b32_e64 v91, v69, v84, s16
	s_delay_alu instid0(VALU_DEP_4) | instskip(NEXT) | instid1(VALU_DEP_4)
	v_cndmask_b32_e64 v89, v89, v100, s23
	v_cndmask_b32_e64 v85, v85, v100, s15
	v_perm_b32 v69, v102, v101, 0x5040100
	v_perm_b32 v86, v87, v86, 0x5040100
	;; [unrolled: 1-line block ×3, first 2 shown]
	v_cndmask_b32_e64 v89, v89, v94, s25
	v_cndmask_b32_e64 v85, v85, v94, s17
	s_mul_i32 s9, s37, 11
	s_delay_alu instid0(VALU_DEP_2) | instskip(NEXT) | instid1(VALU_DEP_2)
	v_cndmask_b32_e64 v88, v89, v84, s28
	v_cndmask_b32_e64 v89, v85, v84, s19
	s_delay_alu instid0(VALU_DEP_2) | instskip(NEXT) | instid1(VALU_DEP_2)
	v_perm_b32 v85, v88, v90, 0x5040100
	v_perm_b32 v84, v89, v66, 0x5040100
	ds_store_b128 v76, v[69:72]
	ds_store_b128 v76, v[83:86] offset:1024
	v_cmpx_gt_u32_e32 11, v0
	s_cbranch_execz .LBB1704_78
; %bb.77:
	s_mul_i32 s5, s9, s34
	s_load_b128 s[16:19], s[0:1], 0x58
	v_add3_u32 v69, s5, s31, v65
	s_delay_alu instid0(VALU_DEP_1) | instskip(NEXT) | instid1(VALU_DEP_1)
	v_mad_u64_u32 v[65:66], null, v69, s36, s[14:15]
	v_ashrrev_i32_e32 v66, 31, v65
	s_delay_alu instid0(VALU_DEP_1) | instskip(SKIP_1) | instid1(VALU_DEP_1)
	v_lshlrev_b64 v[65:66], 2, v[65:66]
	s_waitcnt lgkmcnt(0)
	v_add_co_u32 v69, vcc_lo, s18, v65
	s_delay_alu instid0(VALU_DEP_2)
	v_add_co_ci_u32_e32 v70, vcc_lo, s19, v66, vcc_lo
	v_add_co_u32 v65, vcc_lo, s16, v65
	v_add_co_ci_u32_e32 v66, vcc_lo, s17, v66, vcc_lo
	global_store_b32 v[69:70], v67, off
	global_store_b32 v[65:66], v68, off
.LBB1704_78:
	s_or_b32 exec_lo, exec_lo, s4
	s_waitcnt lgkmcnt(0)
	s_waitcnt_vscnt null, 0x0
	s_barrier
	buffer_gl0_inv
	ds_load_b128 v[83:86], v80
	ds_load_b128 v[87:90], v80 offset:16
	ds_load_b128 v[95:98], v80 offset:2064
	ds_load_b128 v[91:94], v80 offset:2048
	v_mov_b32_e32 v65, 0
	ds_load_b128 v[103:106], v80 offset:4112
	ds_load_b128 v[99:102], v80 offset:4096
	;; [unrolled: 1-line block ×4, first 2 shown]
	v_mov_b32_e32 v66, v65
	v_mov_b32_e32 v67, v65
	;; [unrolled: 1-line block ×7, first 2 shown]
	s_waitcnt lgkmcnt(6)
	s_delay_alu instid0(VALU_DEP_1)
	v_wmma_f32_16x16x16_bf16 v[65:72], v[57:64], v[83:90], v[65:72]
	ds_load_b128 v[61:64], v80 offset:8208
	ds_load_b128 v[57:60], v80 offset:8192
	s_waitcnt lgkmcnt(6)
	v_wmma_f32_16x16x16_bf16 v[65:72], v[41:48], v[91:98], v[65:72]
	ds_load_b128 v[45:48], v80 offset:10256
	ds_load_b128 v[41:44], v80 offset:10240
	s_waitcnt lgkmcnt(6)
	;; [unrolled: 4-line block ×4, first 2 shown]
	v_wmma_f32_16x16x16_bf16 v[65:72], v[1:8], v[57:64], v[65:72]
	s_waitcnt lgkmcnt(4)
	s_delay_alu instid0(VALU_DEP_1) | instskip(SKIP_1) | instid1(VALU_DEP_1)
	v_wmma_f32_16x16x16_bf16 v[65:72], v[9:16], v[41:48], v[65:72]
	s_waitcnt lgkmcnt(2)
	v_wmma_f32_16x16x16_bf16 v[65:72], v[17:24], v[33:40], v[65:72]
	s_waitcnt lgkmcnt(0)
	s_delay_alu instid0(VALU_DEP_1) | instskip(NEXT) | instid1(VALU_DEP_1)
	v_wmma_f32_16x16x16_bf16 v[65:72], v[49:56], v[25:32], v[65:72]
	v_and_b32_e32 v1, 0x7f800000, v65
	s_delay_alu instid0(VALU_DEP_1) | instskip(SKIP_1) | instid1(SALU_CYCLE_1)
	v_cmp_ne_u32_e32 vcc_lo, 0x7f800000, v1
                                        ; implicit-def: $vgpr1
	s_and_saveexec_b32 s4, vcc_lo
	s_xor_b32 s4, exec_lo, s4
; %bb.79:
	v_bfe_u32 v1, v65, 16, 1
	s_delay_alu instid0(VALU_DEP_1)
	v_add3_u32 v1, v65, v1, 0x7fff
; %bb.80:
	s_and_not1_saveexec_b32 s4, s4
; %bb.81:
	v_and_b32_e32 v1, 0xffff, v65
	v_or_b32_e32 v2, 0x10000, v65
	s_delay_alu instid0(VALU_DEP_2) | instskip(NEXT) | instid1(VALU_DEP_2)
	v_cmp_eq_u32_e32 vcc_lo, 0, v1
	v_cndmask_b32_e32 v1, v2, v65, vcc_lo
; %bb.82:
	s_or_b32 exec_lo, exec_lo, s4
	v_and_b32_e32 v2, 0x7f800000, v66
	s_delay_alu instid0(VALU_DEP_1) | instskip(SKIP_1) | instid1(SALU_CYCLE_1)
	v_cmp_ne_u32_e32 vcc_lo, 0x7f800000, v2
                                        ; implicit-def: $vgpr2
	s_and_saveexec_b32 s4, vcc_lo
	s_xor_b32 s4, exec_lo, s4
; %bb.83:
	v_bfe_u32 v2, v66, 16, 1
	s_delay_alu instid0(VALU_DEP_1)
	v_add3_u32 v2, v66, v2, 0x7fff
; %bb.84:
	s_and_not1_saveexec_b32 s4, s4
; %bb.85:
	v_and_b32_e32 v2, 0xffff, v66
	v_or_b32_e32 v3, 0x10000, v66
	s_delay_alu instid0(VALU_DEP_2) | instskip(NEXT) | instid1(VALU_DEP_2)
	v_cmp_eq_u32_e32 vcc_lo, 0, v2
	v_cndmask_b32_e32 v2, v3, v66, vcc_lo
; %bb.86:
	s_or_b32 exec_lo, exec_lo, s4
	v_and_b32_e32 v3, 0x7f800000, v67
	s_delay_alu instid0(VALU_DEP_1) | instskip(SKIP_1) | instid1(SALU_CYCLE_1)
	v_cmp_ne_u32_e32 vcc_lo, 0x7f800000, v3
                                        ; implicit-def: $vgpr3
	s_and_saveexec_b32 s4, vcc_lo
	s_xor_b32 s4, exec_lo, s4
; %bb.87:
	v_bfe_u32 v3, v67, 16, 1
	s_delay_alu instid0(VALU_DEP_1)
	v_add3_u32 v3, v67, v3, 0x7fff
; %bb.88:
	s_and_not1_saveexec_b32 s4, s4
; %bb.89:
	v_and_b32_e32 v3, 0xffff, v67
	v_or_b32_e32 v4, 0x10000, v67
	s_delay_alu instid0(VALU_DEP_2) | instskip(NEXT) | instid1(VALU_DEP_2)
	v_cmp_eq_u32_e32 vcc_lo, 0, v3
	v_cndmask_b32_e32 v3, v4, v67, vcc_lo
; %bb.90:
	s_or_b32 exec_lo, exec_lo, s4
	v_and_b32_e32 v4, 0x7f800000, v68
	s_delay_alu instid0(VALU_DEP_1) | instskip(SKIP_1) | instid1(SALU_CYCLE_1)
	v_cmp_ne_u32_e32 vcc_lo, 0x7f800000, v4
                                        ; implicit-def: $vgpr4
	s_and_saveexec_b32 s4, vcc_lo
	s_xor_b32 s4, exec_lo, s4
; %bb.91:
	v_bfe_u32 v4, v68, 16, 1
	s_delay_alu instid0(VALU_DEP_1)
	v_add3_u32 v4, v68, v4, 0x7fff
; %bb.92:
	s_and_not1_saveexec_b32 s4, s4
; %bb.93:
	v_and_b32_e32 v4, 0xffff, v68
	v_or_b32_e32 v5, 0x10000, v68
	s_delay_alu instid0(VALU_DEP_2) | instskip(NEXT) | instid1(VALU_DEP_2)
	v_cmp_eq_u32_e32 vcc_lo, 0, v4
	v_cndmask_b32_e32 v4, v5, v68, vcc_lo
; %bb.94:
	s_or_b32 exec_lo, exec_lo, s4
	v_and_b32_e32 v5, 0x7f800000, v69
	s_delay_alu instid0(VALU_DEP_1) | instskip(SKIP_1) | instid1(SALU_CYCLE_1)
	v_cmp_ne_u32_e32 vcc_lo, 0x7f800000, v5
                                        ; implicit-def: $vgpr5
	s_and_saveexec_b32 s4, vcc_lo
	s_xor_b32 s4, exec_lo, s4
; %bb.95:
	v_bfe_u32 v5, v69, 16, 1
	s_delay_alu instid0(VALU_DEP_1)
	v_add3_u32 v5, v69, v5, 0x7fff
; %bb.96:
	s_and_not1_saveexec_b32 s4, s4
; %bb.97:
	v_and_b32_e32 v5, 0xffff, v69
	v_or_b32_e32 v6, 0x10000, v69
	s_delay_alu instid0(VALU_DEP_2) | instskip(NEXT) | instid1(VALU_DEP_2)
	v_cmp_eq_u32_e32 vcc_lo, 0, v5
	v_cndmask_b32_e32 v5, v6, v69, vcc_lo
; %bb.98:
	s_or_b32 exec_lo, exec_lo, s4
	v_and_b32_e32 v6, 0x7f800000, v70
	s_delay_alu instid0(VALU_DEP_1) | instskip(SKIP_1) | instid1(SALU_CYCLE_1)
	v_cmp_ne_u32_e32 vcc_lo, 0x7f800000, v6
                                        ; implicit-def: $vgpr6
	s_and_saveexec_b32 s4, vcc_lo
	s_xor_b32 s4, exec_lo, s4
; %bb.99:
	v_bfe_u32 v6, v70, 16, 1
	s_delay_alu instid0(VALU_DEP_1)
	v_add3_u32 v6, v70, v6, 0x7fff
; %bb.100:
	s_and_not1_saveexec_b32 s4, s4
; %bb.101:
	v_and_b32_e32 v6, 0xffff, v70
	v_or_b32_e32 v7, 0x10000, v70
	s_delay_alu instid0(VALU_DEP_2) | instskip(NEXT) | instid1(VALU_DEP_2)
	v_cmp_eq_u32_e32 vcc_lo, 0, v6
	v_cndmask_b32_e32 v6, v7, v70, vcc_lo
; %bb.102:
	s_or_b32 exec_lo, exec_lo, s4
	v_and_b32_e32 v7, 0x7f800000, v71
	s_delay_alu instid0(VALU_DEP_1) | instskip(SKIP_1) | instid1(SALU_CYCLE_1)
	v_cmp_ne_u32_e32 vcc_lo, 0x7f800000, v7
                                        ; implicit-def: $vgpr7
	s_and_saveexec_b32 s4, vcc_lo
	s_xor_b32 s4, exec_lo, s4
; %bb.103:
	v_bfe_u32 v7, v71, 16, 1
	s_delay_alu instid0(VALU_DEP_1)
	v_add3_u32 v7, v71, v7, 0x7fff
; %bb.104:
	s_and_not1_saveexec_b32 s4, s4
; %bb.105:
	v_and_b32_e32 v7, 0xffff, v71
	v_or_b32_e32 v8, 0x10000, v71
	s_delay_alu instid0(VALU_DEP_2) | instskip(NEXT) | instid1(VALU_DEP_2)
	v_cmp_eq_u32_e32 vcc_lo, 0, v7
	v_cndmask_b32_e32 v7, v8, v71, vcc_lo
; %bb.106:
	s_or_b32 exec_lo, exec_lo, s4
	v_and_b32_e32 v8, 0x7f800000, v72
	s_delay_alu instid0(VALU_DEP_1) | instskip(SKIP_1) | instid1(SALU_CYCLE_1)
	v_cmp_ne_u32_e32 vcc_lo, 0x7f800000, v8
                                        ; implicit-def: $vgpr8
	s_and_saveexec_b32 s4, vcc_lo
	s_xor_b32 s4, exec_lo, s4
; %bb.107:
	v_bfe_u32 v8, v72, 16, 1
	s_delay_alu instid0(VALU_DEP_1)
	v_add3_u32 v8, v72, v8, 0x7fff
                                        ; implicit-def: $vgpr65_vgpr66_vgpr67_vgpr68_vgpr69_vgpr70_vgpr71_vgpr72
; %bb.108:
	s_and_not1_saveexec_b32 s4, s4
; %bb.109:
	v_and_b32_e32 v8, 0xffff, v72
	v_or_b32_e32 v9, 0x10000, v72
	s_delay_alu instid0(VALU_DEP_2) | instskip(NEXT) | instid1(VALU_DEP_2)
	v_cmp_eq_u32_e32 vcc_lo, 0, v8
	v_cndmask_b32_e32 v8, v9, v72, vcc_lo
; %bb.110:
	s_or_b32 exec_lo, exec_lo, s4
	s_delay_alu instid0(VALU_DEP_1)
	v_perm_b32 v7, v8, v7, 0x7060302
	v_perm_b32 v6, v6, v5, 0x7060302
	;; [unrolled: 1-line block ×4, first 2 shown]
	s_barrier
	buffer_gl0_inv
	v_cmp_eq_u32_e32 vcc_lo, 1, v78
	ds_store_b128 v76, v[4:7]
	s_waitcnt lgkmcnt(0)
	s_barrier
	buffer_gl0_inv
	ds_load_b128 v[1:4], v82
	ds_load_b128 v[5:8], v82 offset:16
	v_cmp_eq_u32_e64 s4, 1, v79
	v_cmp_eq_u32_e64 s5, 2, v78
	;; [unrolled: 1-line block ×5, first 2 shown]
	s_waitcnt lgkmcnt(1)
	v_lshrrev_b32_e32 v9, 16, v1
	s_waitcnt lgkmcnt(0)
	v_lshrrev_b32_e32 v13, 16, v5
	v_lshrrev_b32_e32 v10, 16, v2
	;; [unrolled: 1-line block ×4, first 2 shown]
	v_cndmask_b32_e64 v19, v1, v9, s4
	v_cndmask_b32_e32 v18, v5, v13, vcc_lo
	v_cndmask_b32_e64 v20, v5, v13, s4
	v_cndmask_b32_e32 v17, v1, v9, vcc_lo
	v_cmp_eq_u32_e32 vcc_lo, 2, v79
	v_lshrrev_b32_e32 v15, 16, v7
	v_cmp_eq_u32_e64 s4, 1, v77
	v_lshrrev_b32_e32 v12, 16, v4
	v_lshrrev_b32_e32 v16, 16, v8
	v_cndmask_b32_e32 v20, v20, v6, vcc_lo
	v_cndmask_b32_e64 v17, v17, v2, s5
	v_cndmask_b32_e32 v19, v19, v2, vcc_lo
	v_cndmask_b32_e64 v18, v18, v6, s5
	v_cmp_eq_u32_e32 vcc_lo, 4, v78
	v_cmp_eq_u32_e64 s5, 3, v79
	v_cndmask_b32_e64 v17, v17, v10, s6
	v_cndmask_b32_e64 v21, v1, v9, s4
	;; [unrolled: 1-line block ×5, first 2 shown]
	v_cndmask_b32_e32 v17, v17, v3, vcc_lo
	v_cndmask_b32_e64 v20, v20, v14, s5
	v_cndmask_b32_e32 v18, v18, v7, vcc_lo
	v_cmp_eq_u32_e32 vcc_lo, 4, v79
	v_cmp_eq_u32_e64 s5, 5, v79
	v_cmp_eq_u32_e64 s4, 2, v81
	v_cndmask_b32_e64 v21, v21, v2, s8
	v_cmp_eq_u32_e64 s6, 5, v78
	v_cndmask_b32_e32 v19, v19, v3, vcc_lo
	v_cndmask_b32_e32 v20, v20, v7, vcc_lo
	v_cmp_eq_u32_e32 vcc_lo, 6, v79
	s_delay_alu instid0(VALU_DEP_4) | instskip(NEXT) | instid1(VALU_DEP_4)
	v_cndmask_b32_e64 v17, v17, v11, s6
	v_cndmask_b32_e64 v19, v19, v11, s5
	s_delay_alu instid0(VALU_DEP_4) | instskip(SKIP_1) | instid1(VALU_DEP_3)
	v_cndmask_b32_e64 v20, v20, v15, s5
	v_cmp_eq_u32_e64 s5, 1, v81
	v_cndmask_b32_e32 v19, v19, v4, vcc_lo
	v_cndmask_b32_e64 v18, v18, v15, s6
	s_delay_alu instid0(VALU_DEP_3)
	v_cndmask_b32_e64 v1, v1, v9, s5
	v_cndmask_b32_e64 v5, v5, v13, s5
	v_cmp_eq_u32_e64 s5, 3, v77
	v_cndmask_b32_e64 v13, v22, v6, s8
	v_cmp_eq_u32_e64 s8, 3, v81
	v_cndmask_b32_e64 v1, v1, v2, s4
	v_cndmask_b32_e64 v2, v5, v6, s4
	;; [unrolled: 1-line block ×3, first 2 shown]
	v_cmp_eq_u32_e64 s4, 4, v77
	v_cndmask_b32_e64 v6, v13, v14, s5
	v_cndmask_b32_e64 v1, v1, v10, s8
	v_cmp_eq_u32_e64 s5, 4, v81
	v_cndmask_b32_e64 v2, v2, v14, s8
	v_cndmask_b32_e64 v5, v9, v3, s4
	;; [unrolled: 3-line block ×3, first 2 shown]
	v_cndmask_b32_e64 v2, v2, v7, s5
	v_cmp_eq_u32_e64 s4, 5, v81
	v_cmp_eq_u32_e64 s6, 6, v78
	v_cndmask_b32_e64 v5, v5, v11, s8
	v_cmp_eq_u32_e64 s5, 6, v77
	v_cndmask_b32_e64 v3, v6, v15, s8
	v_cndmask_b32_e64 v1, v1, v11, s4
	v_cmp_eq_u32_e64 s8, 6, v81
	v_cndmask_b32_e64 v2, v2, v15, s4
	v_cndmask_b32_e64 v17, v17, v4, s6
	v_cndmask_b32_e64 v18, v18, v8, s6
	v_cmp_eq_u32_e64 s6, 7, v78
	v_cndmask_b32_e64 v5, v5, v4, s5
	;; [unrolled: 4-line block ×3, first 2 shown]
	v_cmp_eq_u32_e64 s5, 7, v77
	v_cndmask_b32_e32 v4, v20, v8, vcc_lo
	v_cndmask_b32_e64 v17, v17, v12, s6
	v_cndmask_b32_e64 v19, v19, v12, s7
	;; [unrolled: 1-line block ×8, first 2 shown]
	v_cmp_gt_u32_e32 vcc_lo, 32, v0
	v_perm_b32 v4, v2, v1, 0x5040100
	v_perm_b32 v3, v3, v5, 0x5040100
	;; [unrolled: 1-line block ×4, first 2 shown]
	s_and_b32 s2, vcc_lo, s2
	ds_store_b128 v76, v[1:4]
	s_waitcnt lgkmcnt(0)
	s_barrier
	buffer_gl0_inv
	s_and_saveexec_b32 s4, s2
	s_cbranch_execz .LBB1704_2
; %bb.111:
	s_load_b64 s[4:5], s[0:1], 0x68
	v_lshlrev_b32_e32 v0, 10, v0
	v_lshlrev_b32_e32 v1, 4, v75
	s_lshl_b32 s0, s36, 6
	v_add_nc_u32_e32 v7, s31, v74
	s_mul_i32 s1, s0, s34
	s_delay_alu instid0(SALU_CYCLE_1) | instskip(SKIP_1) | instid1(VALU_DEP_2)
	s_mul_i32 s6, s1, s9
	v_and_or_b32 v0, 0x3800, v0, v1
	v_mul_lo_u32 v1, v7, s0
	v_add_nc_u32_e32 v2, 2, v7
	s_ashr_i32 s7, s6, 31
	v_add_nc_u32_e32 v4, 4, v7
	s_lshl_b64 s[6:7], s[6:7], 1
	v_add_nc_u32_e32 v8, 6, v7
	v_mul_lo_u32 v3, v2, s0
	v_lshl_or_b32 v19, v74, 6, v0
	v_ashrrev_i32_e32 v2, 31, v1
	v_mul_lo_u32 v11, v4, s0
	v_mul_lo_u32 v25, v8, s0
	s_waitcnt lgkmcnt(0)
	s_add_u32 s1, s4, s6
	s_addc_u32 s2, s5, s7
	s_lshl_b32 s4, s14, 6
	v_lshlrev_b64 v[5:6], 1, v[1:2]
	s_ashr_i32 s5, s4, 31
	v_ashrrev_i32_e32 v4, 31, v3
	s_lshl_b64 s[4:5], s[4:5], 1
	v_ashrrev_i32_e32 v12, 31, v11
	s_add_u32 s1, s1, s4
	s_addc_u32 s2, s2, s5
	v_add_co_u32 v1, s1, s1, v73
	s_delay_alu instid0(VALU_DEP_1) | instskip(SKIP_1) | instid1(VALU_DEP_3)
	v_add_co_ci_u32_e64 v2, null, s2, 0, s1
	v_lshlrev_b64 v[3:4], 1, v[3:4]
	v_add_co_u32 v23, vcc_lo, v1, v5
	v_add_nc_u32_e32 v5, 8, v7
	s_delay_alu instid0(VALU_DEP_4) | instskip(NEXT) | instid1(VALU_DEP_4)
	v_add_co_ci_u32_e32 v24, vcc_lo, v2, v6, vcc_lo
	v_add_co_u32 v27, vcc_lo, v1, v3
	s_delay_alu instid0(VALU_DEP_3)
	v_mul_lo_u32 v29, v5, s0
	v_add_co_ci_u32_e32 v28, vcc_lo, v2, v4, vcc_lo
	ds_load_b128 v[3:6], v19
	ds_load_b128 v[7:10], v19 offset:128
	v_lshlrev_b64 v[31:32], 1, v[11:12]
	ds_load_b128 v[11:14], v19 offset:256
	ds_load_b128 v[15:18], v19 offset:384
	;; [unrolled: 1-line block ×3, first 2 shown]
	v_ashrrev_i32_e32 v26, 31, v25
	v_ashrrev_i32_e32 v30, 31, v29
	v_add_co_u32 v31, vcc_lo, v1, v31
	s_delay_alu instid0(VALU_DEP_3) | instskip(NEXT) | instid1(VALU_DEP_3)
	v_lshlrev_b64 v[25:26], 1, v[25:26]
	v_lshlrev_b64 v[29:30], 1, v[29:30]
	v_add_co_ci_u32_e32 v32, vcc_lo, v2, v32, vcc_lo
	s_delay_alu instid0(VALU_DEP_3) | instskip(NEXT) | instid1(VALU_DEP_4)
	v_add_co_u32 v25, vcc_lo, v1, v25
	v_add_co_ci_u32_e32 v26, vcc_lo, v2, v26, vcc_lo
	s_delay_alu instid0(VALU_DEP_4)
	v_add_co_u32 v29, vcc_lo, v1, v29
	v_add_co_ci_u32_e32 v30, vcc_lo, v2, v30, vcc_lo
	s_waitcnt lgkmcnt(4)
	global_store_b128 v[23:24], v[3:6], off
	s_waitcnt lgkmcnt(3)
	global_store_b128 v[27:28], v[7:10], off
	;; [unrolled: 2-line block ×5, first 2 shown]
	s_and_b32 exec_lo, exec_lo, s3
	s_cbranch_execz .LBB1704_2
; %bb.112:
	ds_load_b128 v[3:6], v0 offset:640
	s_add_i32 s1, s31, 10
	s_delay_alu instid0(SALU_CYCLE_1) | instskip(NEXT) | instid1(SALU_CYCLE_1)
	s_mul_i32 s0, s1, s0
	s_ashr_i32 s1, s0, 31
	s_delay_alu instid0(SALU_CYCLE_1) | instskip(NEXT) | instid1(SALU_CYCLE_1)
	s_lshl_b64 s[0:1], s[0:1], 1
	v_add_co_u32 v0, vcc_lo, v1, s0
	v_add_co_ci_u32_e32 v1, vcc_lo, s1, v2, vcc_lo
	s_waitcnt lgkmcnt(0)
	global_store_b128 v[0:1], v[3:6], off
	s_nop 0
	s_sendmsg sendmsg(MSG_DEALLOC_VGPRS)
	s_endpgm
	.section	.rodata,"a",@progbits
	.p2align	6, 0x0
	.amdhsa_kernel _Z39paged_attention_ll4mi_QKV_mfma16_kernelI14__hip_bfloat16hLN4vllm18Fp8KVCacheDataTypeE1ES0_Li16ELi64ELi256ELb1ELi11EL8MFMAType0EEvPKT_PKT0_S9_ifPKiSB_SB_iPKfiiiPfSE_PS4_PT2_iSD_SD_
		.amdhsa_group_segment_fixed_size 17472
		.amdhsa_private_segment_fixed_size 0
		.amdhsa_kernarg_size 400
		.amdhsa_user_sgpr_count 13
		.amdhsa_user_sgpr_dispatch_ptr 0
		.amdhsa_user_sgpr_queue_ptr 0
		.amdhsa_user_sgpr_kernarg_segment_ptr 1
		.amdhsa_user_sgpr_dispatch_id 0
		.amdhsa_user_sgpr_private_segment_size 0
		.amdhsa_wavefront_size32 1
		.amdhsa_uses_dynamic_stack 0
		.amdhsa_enable_private_segment 0
		.amdhsa_system_sgpr_workgroup_id_x 1
		.amdhsa_system_sgpr_workgroup_id_y 1
		.amdhsa_system_sgpr_workgroup_id_z 1
		.amdhsa_system_sgpr_workgroup_info 0
		.amdhsa_system_vgpr_workitem_id 0
		.amdhsa_next_free_vgpr 124
		.amdhsa_next_free_sgpr 40
		.amdhsa_reserve_vcc 1
		.amdhsa_float_round_mode_32 0
		.amdhsa_float_round_mode_16_64 0
		.amdhsa_float_denorm_mode_32 3
		.amdhsa_float_denorm_mode_16_64 3
		.amdhsa_dx10_clamp 1
		.amdhsa_ieee_mode 1
		.amdhsa_fp16_overflow 0
		.amdhsa_workgroup_processor_mode 1
		.amdhsa_memory_ordered 1
		.amdhsa_forward_progress 0
		.amdhsa_shared_vgpr_count 0
		.amdhsa_exception_fp_ieee_invalid_op 0
		.amdhsa_exception_fp_denorm_src 0
		.amdhsa_exception_fp_ieee_div_zero 0
		.amdhsa_exception_fp_ieee_overflow 0
		.amdhsa_exception_fp_ieee_underflow 0
		.amdhsa_exception_fp_ieee_inexact 0
		.amdhsa_exception_int_div_zero 0
	.end_amdhsa_kernel
	.section	.text._Z39paged_attention_ll4mi_QKV_mfma16_kernelI14__hip_bfloat16hLN4vllm18Fp8KVCacheDataTypeE1ES0_Li16ELi64ELi256ELb1ELi11EL8MFMAType0EEvPKT_PKT0_S9_ifPKiSB_SB_iPKfiiiPfSE_PS4_PT2_iSD_SD_,"axG",@progbits,_Z39paged_attention_ll4mi_QKV_mfma16_kernelI14__hip_bfloat16hLN4vllm18Fp8KVCacheDataTypeE1ES0_Li16ELi64ELi256ELb1ELi11EL8MFMAType0EEvPKT_PKT0_S9_ifPKiSB_SB_iPKfiiiPfSE_PS4_PT2_iSD_SD_,comdat
.Lfunc_end1704:
	.size	_Z39paged_attention_ll4mi_QKV_mfma16_kernelI14__hip_bfloat16hLN4vllm18Fp8KVCacheDataTypeE1ES0_Li16ELi64ELi256ELb1ELi11EL8MFMAType0EEvPKT_PKT0_S9_ifPKiSB_SB_iPKfiiiPfSE_PS4_PT2_iSD_SD_, .Lfunc_end1704-_Z39paged_attention_ll4mi_QKV_mfma16_kernelI14__hip_bfloat16hLN4vllm18Fp8KVCacheDataTypeE1ES0_Li16ELi64ELi256ELb1ELi11EL8MFMAType0EEvPKT_PKT0_S9_ifPKiSB_SB_iPKfiiiPfSE_PS4_PT2_iSD_SD_
                                        ; -- End function
	.section	.AMDGPU.csdata,"",@progbits
; Kernel info:
; codeLenInByte = 8856
; NumSgprs: 42
; NumVgprs: 124
; ScratchSize: 0
; MemoryBound: 0
; FloatMode: 240
; IeeeMode: 1
; LDSByteSize: 17472 bytes/workgroup (compile time only)
; SGPRBlocks: 5
; VGPRBlocks: 15
; NumSGPRsForWavesPerEU: 42
; NumVGPRsForWavesPerEU: 124
; Occupancy: 10
; WaveLimiterHint : 1
; COMPUTE_PGM_RSRC2:SCRATCH_EN: 0
; COMPUTE_PGM_RSRC2:USER_SGPR: 13
; COMPUTE_PGM_RSRC2:TRAP_HANDLER: 0
; COMPUTE_PGM_RSRC2:TGID_X_EN: 1
; COMPUTE_PGM_RSRC2:TGID_Y_EN: 1
; COMPUTE_PGM_RSRC2:TGID_Z_EN: 1
; COMPUTE_PGM_RSRC2:TIDIG_COMP_CNT: 0
	.section	.text._Z39paged_attention_ll4mi_QKV_mfma16_kernelI14__hip_bfloat16hLN4vllm18Fp8KVCacheDataTypeE1ES0_Li16ELi64ELi256ELb1ELi12EL8MFMAType0EEvPKT_PKT0_S9_ifPKiSB_SB_iPKfiiiPfSE_PS4_PT2_iSD_SD_,"axG",@progbits,_Z39paged_attention_ll4mi_QKV_mfma16_kernelI14__hip_bfloat16hLN4vllm18Fp8KVCacheDataTypeE1ES0_Li16ELi64ELi256ELb1ELi12EL8MFMAType0EEvPKT_PKT0_S9_ifPKiSB_SB_iPKfiiiPfSE_PS4_PT2_iSD_SD_,comdat
	.protected	_Z39paged_attention_ll4mi_QKV_mfma16_kernelI14__hip_bfloat16hLN4vllm18Fp8KVCacheDataTypeE1ES0_Li16ELi64ELi256ELb1ELi12EL8MFMAType0EEvPKT_PKT0_S9_ifPKiSB_SB_iPKfiiiPfSE_PS4_PT2_iSD_SD_ ; -- Begin function _Z39paged_attention_ll4mi_QKV_mfma16_kernelI14__hip_bfloat16hLN4vllm18Fp8KVCacheDataTypeE1ES0_Li16ELi64ELi256ELb1ELi12EL8MFMAType0EEvPKT_PKT0_S9_ifPKiSB_SB_iPKfiiiPfSE_PS4_PT2_iSD_SD_
	.globl	_Z39paged_attention_ll4mi_QKV_mfma16_kernelI14__hip_bfloat16hLN4vllm18Fp8KVCacheDataTypeE1ES0_Li16ELi64ELi256ELb1ELi12EL8MFMAType0EEvPKT_PKT0_S9_ifPKiSB_SB_iPKfiiiPfSE_PS4_PT2_iSD_SD_
	.p2align	8
	.type	_Z39paged_attention_ll4mi_QKV_mfma16_kernelI14__hip_bfloat16hLN4vllm18Fp8KVCacheDataTypeE1ES0_Li16ELi64ELi256ELb1ELi12EL8MFMAType0EEvPKT_PKT0_S9_ifPKiSB_SB_iPKfiiiPfSE_PS4_PT2_iSD_SD_,@function
_Z39paged_attention_ll4mi_QKV_mfma16_kernelI14__hip_bfloat16hLN4vllm18Fp8KVCacheDataTypeE1ES0_Li16ELi64ELi256ELb1ELi12EL8MFMAType0EEvPKT_PKT0_S9_ifPKiSB_SB_iPKfiiiPfSE_PS4_PT2_iSD_SD_: ; @_Z39paged_attention_ll4mi_QKV_mfma16_kernelI14__hip_bfloat16hLN4vllm18Fp8KVCacheDataTypeE1ES0_Li16ELi64ELi256ELb1ELi12EL8MFMAType0EEvPKT_PKT0_S9_ifPKiSB_SB_iPKfiiiPfSE_PS4_PT2_iSD_SD_
; %bb.0:
	s_load_b64 s[2:3], s[0:1], 0x30
	s_mov_b32 s30, s13
	s_waitcnt lgkmcnt(0)
	s_cmp_lg_u64 s[2:3], 0
	s_cselect_b32 s8, -1, 0
	s_ashr_i32 s31, s13, 31
	s_cmp_eq_u64 s[2:3], 0
	s_cbranch_scc1 .LBB1705_3
; %bb.1:
	s_lshl_b64 s[4:5], s[30:31], 2
	s_delay_alu instid0(SALU_CYCLE_1) | instskip(SKIP_4) | instid1(SALU_CYCLE_1)
	s_add_u32 s4, s2, s4
	s_addc_u32 s5, s3, s5
	s_load_b64 s[4:5], s[4:5], 0x0
	s_waitcnt lgkmcnt(0)
	s_sub_i32 s4, s5, s4
	s_cmp_eq_u32 s4, 1
	s_cselect_b32 s4, -1, 0
	s_delay_alu instid0(SALU_CYCLE_1)
	s_and_not1_b32 vcc_lo, exec_lo, s4
	s_cbranch_vccz .LBB1705_4
.LBB1705_2:
	s_endpgm
.LBB1705_3:
.LBB1705_4:
	s_load_b64 s[4:5], s[0:1], 0x28
	s_lshl_b64 s[6:7], s[30:31], 2
	s_waitcnt lgkmcnt(0)
	s_add_u32 s4, s4, s6
	s_addc_u32 s5, s5, s7
	s_lshl_b32 s12, s14, 8
	s_load_b32 s24, s[4:5], 0x0
	s_waitcnt lgkmcnt(0)
	s_cmp_ge_i32 s12, s24
	s_cbranch_scc1 .LBB1705_2
; %bb.5:
	s_clause 0x1
	s_load_b128 s[20:23], s[0:1], 0x8
	s_load_b64 s[4:5], s[0:1], 0x20
	s_and_not1_b32 vcc_lo, exec_lo, s8
	s_cbranch_vccnz .LBB1705_7
; %bb.6:
	s_add_u32 s2, s2, s6
	s_addc_u32 s3, s3, s7
	s_load_b32 s3, s[2:3], 0x0
	s_branch .LBB1705_8
.LBB1705_7:
	s_mov_b32 s3, s30
.LBB1705_8:
	s_load_b128 s[16:19], s[0:1], 0x48
	v_and_b32_e32 v65, 15, v0
	v_cmp_gt_u32_e32 vcc_lo, 0xc0, v0
	v_lshrrev_b32_e32 v66, 5, v0
	v_and_b32_e32 v67, 31, v0
	v_and_b32_e32 v75, 1, v0
	v_lshlrev_b32_e32 v1, 3, v65
	v_cmp_gt_u32_e64 s2, 8, v65
	v_bfe_u32 v74, v0, 4, 1
	s_mul_i32 s31, s15, 12
	s_delay_alu instid0(VALU_DEP_3) | instskip(NEXT) | instid1(VALU_DEP_3)
	v_lshlrev_b32_e32 v73, 1, v1
	s_and_b32 s7, vcc_lo, s2
	s_delay_alu instid0(SALU_CYCLE_1)
	s_and_saveexec_b32 s6, s7
	s_cbranch_execz .LBB1705_10
; %bb.9:
	s_load_b64 s[8:9], s[0:1], 0x0
	v_lshl_or_b32 v5, v66, 1, v74
	s_waitcnt lgkmcnt(0)
	s_mul_hi_i32 s11, s3, s16
	s_mul_i32 s10, s3, s16
	v_lshlrev_b32_e32 v6, 10, v65
	s_lshl_b64 s[10:11], s[10:11], 1
	v_add_lshl_u32 v1, v5, s31, 6
	v_lshlrev_b32_e32 v5, 6, v5
	v_lshlrev_b32_e32 v7, 10, v75
	v_and_b32_e32 v6, 0x3800, v6
	s_delay_alu instid0(VALU_DEP_4) | instskip(NEXT) | instid1(VALU_DEP_2)
	v_ashrrev_i32_e32 v2, 31, v1
	v_or3_b32 v5, v6, v7, v5
	s_delay_alu instid0(VALU_DEP_2) | instskip(SKIP_2) | instid1(VALU_DEP_1)
	v_lshlrev_b64 v[1:2], 1, v[1:2]
	s_add_u32 s3, s8, s10
	s_addc_u32 s7, s9, s11
	v_add_co_u32 v1, vcc_lo, s3, v1
	s_delay_alu instid0(VALU_DEP_2) | instskip(NEXT) | instid1(VALU_DEP_2)
	v_add_co_ci_u32_e32 v2, vcc_lo, s7, v2, vcc_lo
	v_add_co_u32 v1, vcc_lo, v1, v73
	s_delay_alu instid0(VALU_DEP_2)
	v_add_co_ci_u32_e32 v2, vcc_lo, 0, v2, vcc_lo
	global_load_b128 v[1:4], v[1:2], off
	s_waitcnt vmcnt(0)
	ds_store_b128 v5, v[1:4]
.LBB1705_10:
	s_or_b32 exec_lo, exec_lo, s6
	v_and_b32_e32 v1, 0xef, v0
	s_waitcnt lgkmcnt(0)
	s_add_i32 s3, s24, 15
	s_clause 0x1
	s_load_b32 s6, s[0:1], 0x38
	s_load_b32 s19, s[0:1], 0x1c
	s_ashr_i32 s7, s3, 31
	v_add_nc_u32_e32 v1, s12, v1
	s_lshr_b32 s7, s7, 28
	s_waitcnt lgkmcnt(0)
	s_add_i32 s3, s3, s7
	s_barrier
	v_ashrrev_i32_e32 v2, 31, v1
	v_or_b32_e32 v3, 16, v1
	s_ashr_i32 s3, s3, 4
	v_cmp_gt_i32_e32 vcc_lo, s24, v1
	s_add_i32 s3, s3, -1
	v_lshrrev_b32_e32 v2, 28, v2
	buffer_gl0_inv
	s_mul_i32 s27, s15, s18
	v_add_nc_u32_e32 v4, v1, v2
	s_mul_i32 s6, s30, s6
	s_delay_alu instid0(SALU_CYCLE_1) | instskip(NEXT) | instid1(VALU_DEP_1)
	s_ashr_i32 s7, s6, 31
	v_ashrrev_i32_e32 v4, 4, v4
	v_add_nc_u32_e32 v2, v3, v2
	s_lshl_b64 s[6:7], s[6:7], 2
	s_delay_alu instid0(SALU_CYCLE_1) | instskip(NEXT) | instid1(VALU_DEP_2)
	s_add_u32 s26, s4, s6
	v_cndmask_b32_e32 v1, s3, v4, vcc_lo
	s_delay_alu instid0(VALU_DEP_2)
	v_ashrrev_i32_e32 v2, 4, v2
	v_cmp_gt_i32_e32 vcc_lo, s24, v3
	s_addc_u32 s25, s5, s7
	s_ashr_i32 s28, s27, 31
	s_add_u32 s13, s20, s27
	s_addc_u32 s15, s21, s28
	v_cndmask_b32_e32 v3, s3, v2, vcc_lo
	v_ashrrev_i32_e32 v2, 31, v1
	s_lshl_b32 s4, s14, 4
	s_delay_alu instid0(SALU_CYCLE_1) | instskip(NEXT) | instid1(VALU_DEP_2)
	s_ashr_i32 s5, s4, 31
	v_ashrrev_i32_e32 v4, 31, v3
	s_delay_alu instid0(VALU_DEP_2) | instskip(SKIP_1) | instid1(SALU_CYCLE_1)
	v_lshlrev_b64 v[1:2], 2, v[1:2]
	s_lshl_b64 s[4:5], s[4:5], 2
	s_add_u32 s4, s26, s4
	s_delay_alu instid0(VALU_DEP_2) | instskip(SKIP_1) | instid1(VALU_DEP_2)
	v_lshlrev_b64 v[3:4], 2, v[3:4]
	s_addc_u32 s5, s25, s5
	v_add_co_u32 v1, vcc_lo, s26, v1
	v_add_co_ci_u32_e32 v2, vcc_lo, s25, v2, vcc_lo
	s_delay_alu instid0(VALU_DEP_3) | instskip(NEXT) | instid1(VALU_DEP_4)
	v_add_co_u32 v3, vcc_lo, s26, v3
	v_add_co_ci_u32_e32 v4, vcc_lo, s25, v4, vcc_lo
	s_clause 0x1
	global_load_b32 v5, v[1:2], off
	global_load_b32 v7, v[3:4], off
	s_or_b32 s6, s12, 32
	v_lshlrev_b32_e32 v1, 4, v0
	s_ashr_i32 s7, s6, 4
	s_cmp_lt_i32 s6, s24
	v_cmp_gt_u32_e32 vcc_lo, 12, v65
	s_cselect_b32 s6, s7, s3
	v_and_b32_e32 v1, 0xf0, v1
	s_ashr_i32 s7, s6, 31
	s_delay_alu instid0(SALU_CYCLE_1) | instskip(NEXT) | instid1(SALU_CYCLE_1)
	s_lshl_b64 s[6:7], s[6:7], 2
	s_add_u32 s6, s26, s6
	s_addc_u32 s7, s25, s7
	s_or_b32 s8, s12, 64
	v_add_co_u32 v1, s13, s13, v1
	s_ashr_i32 s9, s8, 4
	s_cmp_lt_i32 s8, s24
	v_add_co_ci_u32_e64 v2, null, s15, 0, s13
	s_cselect_b32 s8, s9, s3
	s_delay_alu instid0(SALU_CYCLE_1) | instskip(NEXT) | instid1(SALU_CYCLE_1)
	s_ashr_i32 s9, s8, 31
	s_lshl_b64 s[8:9], s[8:9], 2
	s_delay_alu instid0(SALU_CYCLE_1) | instskip(SKIP_2) | instid1(SALU_CYCLE_1)
	s_add_u32 s8, s26, s8
	s_addc_u32 s9, s25, s9
	s_or_b32 s10, s12, 0x60
	s_ashr_i32 s11, s10, 4
	s_cmp_lt_i32 s10, s24
	s_cselect_b32 s10, s11, s3
	s_delay_alu instid0(SALU_CYCLE_1) | instskip(NEXT) | instid1(SALU_CYCLE_1)
	s_ashr_i32 s11, s10, 31
	s_lshl_b64 s[10:11], s[10:11], 2
	s_delay_alu instid0(SALU_CYCLE_1) | instskip(SKIP_2) | instid1(SALU_CYCLE_1)
	s_add_u32 s10, s26, s10
	s_addc_u32 s11, s25, s11
	s_or_b32 s16, s12, 0x80
	s_ashr_i32 s18, s16, 4
	s_cmp_lt_i32 s16, s24
	;; [unrolled: 10-line block ×3, first 2 shown]
	s_cselect_b32 s20, s18, s3
	s_delay_alu instid0(SALU_CYCLE_1) | instskip(NEXT) | instid1(SALU_CYCLE_1)
	s_ashr_i32 s21, s20, 31
	s_lshl_b64 s[20:21], s[20:21], 2
	s_delay_alu instid0(SALU_CYCLE_1)
	s_add_u32 s36, s26, s20
	s_addc_u32 s37, s25, s21
	s_clause 0x5
	s_load_b32 s21, s[4:5], 0x0
	s_load_b32 s13, s[6:7], 0x0
	;; [unrolled: 1-line block ×6, first 2 shown]
	s_or_b32 s8, s12, 0xc0
	s_mov_b32 s4, 0
	s_ashr_i32 s9, s8, 4
	s_cmp_lt_i32 s8, s24
	s_mov_b32 s11, s4
	s_cselect_b32 s34, s9, s3
	s_mov_b32 s5, s4
	s_ashr_i32 s35, s34, 31
	s_mov_b32 s6, s4
	s_lshl_b64 s[34:35], s[34:35], 2
	s_mov_b32 s7, s4
	s_add_u32 s34, s26, s34
	s_addc_u32 s35, s25, s35
	s_or_b32 s29, s12, 0xe0
	s_mov_b32 s8, s4
	s_ashr_i32 s33, s29, 4
	s_mov_b32 s9, s4
	s_mov_b32 s10, s4
	s_cmp_lt_i32 s29, s24
	v_dual_mov_b32 v107, s11 :: v_dual_mov_b32 v100, s4
	v_mov_b32_e32 v106, s10
	v_dual_mov_b32 v104, s8 :: v_dual_mov_b32 v103, s7
	v_dual_mov_b32 v102, s6 :: v_dual_mov_b32 v101, s5
	s_waitcnt vmcnt(1)
	v_mad_i64_i32 v[3:4], null, v5, s17, v[1:2]
	s_waitcnt vmcnt(0)
	v_mad_i64_i32 v[5:6], null, v7, s17, v[1:2]
	v_add_nc_u32_e32 v1, -12, v65
	v_lshlrev_b32_e32 v2, 4, v65
	s_clause 0x7
	global_load_b128 v[49:52], v[3:4], off
	global_load_b128 v[53:56], v[3:4], off offset:256
	global_load_b128 v[76:79], v[5:6], off
	global_load_b128 v[80:83], v[5:6], off offset:256
	global_load_b128 v[84:87], v[3:4], off offset:512
	;; [unrolled: 1-line block ×5, first 2 shown]
	v_cndmask_b32_e32 v1, v1, v65, vcc_lo
	v_mov_b32_e32 v105, s9
	s_cselect_b32 s4, s33, s3
	v_lshl_or_b32 v2, v66, 8, v2
	s_ashr_i32 s5, s4, 31
	v_lshlrev_b32_e32 v70, 6, v1
	s_lshl_b64 s[4:5], s[4:5], 2
	s_load_b32 s3, s[34:35], 0x0
	s_add_u32 s4, s26, s4
	s_addc_u32 s5, s25, s5
	ds_load_b128 v[108:111], v70
	ds_load_b128 v[112:115], v70 offset:1024
	s_load_b32 s4, s[4:5], 0x0
	s_add_u32 s6, s22, s27
	s_addc_u32 s7, s23, s28
	v_add_co_u32 v9, s6, s6, v2
	s_delay_alu instid0(VALU_DEP_1) | instskip(SKIP_1) | instid1(VALU_DEP_1)
	v_add_co_ci_u32_e64 v10, null, s7, 0, s6
	s_waitcnt lgkmcnt(0)
	v_mad_i64_i32 v[1:2], null, s21, s17, v[9:10]
	v_mad_i64_i32 v[3:4], null, s13, s17, v[9:10]
	;; [unrolled: 1-line block ×7, first 2 shown]
	s_clause 0x9
	global_load_b128 v[57:60], v[1:2], off
	global_load_b128 v[61:64], v[1:2], off offset:16
	global_load_b128 v[41:44], v[3:4], off
	global_load_b128 v[45:48], v[3:4], off offset:16
	;; [unrolled: 2-line block ×5, first 2 shown]
	v_mad_i64_i32 v[68:69], null, s4, s17, v[9:10]
	s_clause 0x3
	global_load_b128 v[9:12], v[13:14], off
	global_load_b128 v[13:16], v[13:14], off offset:16
	global_load_b128 v[17:20], v[21:22], off
	global_load_b128 v[21:24], v[21:22], off offset:16
	s_waitcnt vmcnt(20)
	v_wmma_f32_16x16x16_bf16 v[116:123], v[49:56], v[108:115], v[100:107]
	s_clause 0x1
	global_load_b128 v[49:52], v[68:69], off
	global_load_b128 v[53:56], v[68:69], off offset:16
	v_and_b32_e32 v68, 0xe0, v0
	v_mbcnt_lo_u32_b32 v69, -1, 0
	s_delay_alu instid0(VALU_DEP_2)
	v_add_nc_u32_e32 v68, s12, v68
	s_waitcnt vmcnt(20)
	v_wmma_f32_16x16x16_bf16 v[100:107], v[76:83], v[108:115], v[100:107]
	ds_load_b128 v[76:79], v70 offset:2048
	ds_load_b128 v[80:83], v70 offset:3072
	v_xor_b32_e32 v70, 16, v69
	s_waitcnt vmcnt(0) lgkmcnt(0)
	v_or_b32_e32 v68, v68, v74
	s_barrier
	buffer_gl0_inv
	v_cmp_gt_i32_e32 vcc_lo, 32, v70
	v_or_b32_e32 v71, 4, v68
	v_or_b32_e32 v72, 6, v68
	v_cmp_gt_i32_e64 s3, s24, v68
	v_or_b32_e32 v108, 8, v68
	v_or_b32_e32 v109, 10, v68
	v_cmp_gt_i32_e64 s4, s24, v71
	v_cmp_gt_i32_e64 s5, s24, v72
	s_delay_alu instid0(VALU_DEP_4) | instskip(NEXT) | instid1(VALU_DEP_4)
	v_cmp_gt_i32_e64 s6, s24, v108
	v_cmp_gt_i32_e64 s7, s24, v109
	v_wmma_f32_16x16x16_bf16 v[116:123], v[84:91], v[76:83], v[116:123]
	v_cndmask_b32_e32 v69, v69, v70, vcc_lo
	v_or_b32_e32 v70, 2, v68
	v_wmma_f32_16x16x16_bf16 v[100:107], v[92:99], v[76:83], v[100:107]
	v_or_b32_e32 v89, 22, v68
	v_dual_mul_f32 v82, s19, v119 :: v_dual_mul_f32 v79, s19, v122
	v_dual_mul_f32 v92, s19, v117 :: v_dual_mul_f32 v93, s19, v116
	s_delay_alu instid0(VALU_DEP_4) | instskip(SKIP_2) | instid1(VALU_DEP_4)
	v_mul_f32_e32 v98, s19, v103
	v_cmp_gt_i32_e32 vcc_lo, s24, v70
	v_dual_mul_f32 v83, s19, v118 :: v_dual_mul_f32 v96, s19, v105
	v_cndmask_b32_e64 v93, 0xff7fffff, v93, s3
	v_or_b32_e32 v84, 12, v68
	v_cndmask_b32_e32 v92, 0xff7fffff, v92, vcc_lo
	v_or_b32_e32 v85, 14, v68
	v_dual_mul_f32 v80, s19, v121 :: v_dual_mul_f32 v81, s19, v120
	v_mul_f32_e32 v94, s19, v107
	v_cndmask_b32_e64 v71, 0xff7fffff, v83, s4
	v_cndmask_b32_e64 v72, 0xff7fffff, v82, s5
	v_cmp_gt_i32_e64 s13, s24, v89
	v_lshlrev_b32_e32 v89, 2, v69
	v_max3_f32 v82, v93, 0xff7fffff, v92
	v_or_b32_e32 v86, 16, v68
	v_or_b32_e32 v87, 18, v68
	v_mul_f32_e32 v78, s19, v123
	v_cndmask_b32_e64 v81, 0xff7fffff, v81, s6
	v_cndmask_b32_e64 v80, 0xff7fffff, v80, s7
	v_max3_f32 v71, v82, v71, v72
	v_cmp_gt_i32_e64 s8, s24, v84
	v_cmp_gt_i32_e64 s9, s24, v85
	v_or_b32_e32 v88, 20, v68
	v_or_b32_e32 v90, 24, v68
	;; [unrolled: 1-line block ×5, first 2 shown]
	v_dual_mul_f32 v95, s19, v106 :: v_dual_mul_f32 v70, s19, v101
	v_dual_mul_f32 v99, s19, v102 :: v_dual_mul_f32 v68, s19, v100
	v_cndmask_b32_e64 v72, 0xff7fffff, v79, s8
	v_cndmask_b32_e64 v78, 0xff7fffff, v78, s9
	v_max3_f32 v71, v71, v81, v80
	v_cmp_gt_i32_e64 s10, s24, v86
	v_cmp_gt_i32_e64 s11, s24, v87
	v_cmp_gt_i32_e64 s12, s24, v88
	v_mul_f32_e32 v97, s19, v104
	v_max3_f32 v71, v71, v72, v78
	v_cndmask_b32_e64 v68, 0xff7fffff, v68, s10
	v_cndmask_b32_e64 v70, 0xff7fffff, v70, s11
	;; [unrolled: 1-line block ×4, first 2 shown]
	v_cmp_gt_i32_e64 s15, s24, v90
	v_cmp_gt_i32_e64 s16, s24, v91
	v_max3_f32 v68, v71, v68, v70
	v_cmp_gt_i32_e64 s17, s24, v76
	v_cmp_gt_i32_e64 s18, s24, v77
	v_cndmask_b32_e64 v70, 0xff7fffff, v97, s15
	v_cndmask_b32_e64 v71, 0xff7fffff, v96, s16
	v_max3_f32 v68, v68, v72, v78
	v_cndmask_b32_e64 v72, 0xff7fffff, v95, s17
	v_cndmask_b32_e64 v76, 0xff7fffff, v94, s18
	s_delay_alu instid0(VALU_DEP_3) | instskip(NEXT) | instid1(VALU_DEP_1)
	v_max3_f32 v68, v68, v70, v71
	v_max3_f32 v68, v68, v72, v76
	ds_bpermute_b32 v69, v89, v68
	s_waitcnt lgkmcnt(0)
	v_max_f32_e32 v69, v69, v69
	s_delay_alu instid0(VALU_DEP_1) | instskip(NEXT) | instid1(VALU_DEP_1)
	v_max_f32_e32 v68, v68, v69
	v_fma_f32 v69, s19, v116, -v68
	v_fma_f32 v70, s19, v117, -v68
	;; [unrolled: 1-line block ×5, first 2 shown]
	s_delay_alu instid0(VALU_DEP_4) | instskip(NEXT) | instid1(VALU_DEP_4)
	v_dual_mul_f32 v69, 0x3fb8aa3b, v69 :: v_dual_mul_f32 v70, 0x3fb8aa3b, v70
	v_mul_f32_e32 v72, 0x3fb8aa3b, v72
	v_fma_f32 v78, s19, v122, -v68
	s_delay_alu instid0(VALU_DEP_4) | instskip(NEXT) | instid1(VALU_DEP_4)
	v_mul_f32_e32 v77, 0x3fb8aa3b, v76
	v_exp_f32_e32 v69, v69
	v_exp_f32_e32 v70, v70
	v_mul_f32_e32 v71, 0x3fb8aa3b, v71
	v_exp_f32_e32 v72, v72
	v_mul_f32_e32 v78, 0x3fb8aa3b, v78
	v_exp_f32_e32 v77, v77
	v_fma_f32 v81, s19, v105, -v68
	s_delay_alu instid0(VALU_DEP_2)
	v_exp_f32_e32 v78, v78
	v_cndmask_b32_e64 v80, 0, v69, s3
	v_cndmask_b32_e32 v76, 0, v70, vcc_lo
	v_exp_f32_e32 v71, v71
	v_fma_f32 v69, s19, v121, -v68
	v_cndmask_b32_e64 v85, 0, v72, s5
	v_add_f32_e32 v70, 0, v80
	s_delay_alu instid0(TRANS32_DEP_3)
	v_cndmask_b32_e64 v86, 0, v77, s6
	v_fma_f32 v77, s19, v101, -v68
	v_mul_f32_e32 v69, 0x3fb8aa3b, v69
	v_fma_f32 v72, s19, v100, -v68
	v_cndmask_b32_e64 v84, 0, v78, s8
	v_fma_f32 v78, s19, v103, -v68
	v_cndmask_b32_e64 v83, 0, v71, s4
	v_fma_f32 v71, s19, v123, -v68
	v_add_f32_e32 v70, v70, v76
	v_exp_f32_e32 v69, v69
	v_mul_f32_e32 v77, 0x3fb8aa3b, v77
	v_mul_f32_e32 v81, 0x3fb8aa3b, v81
	;; [unrolled: 1-line block ×3, first 2 shown]
	v_add_f32_e32 v70, v70, v83
	s_mov_b32 s3, exec_lo
	v_exp_f32_e32 v77, v77
	v_exp_f32_e32 v81, v81
	;; [unrolled: 1-line block ×3, first 2 shown]
	v_cndmask_b32_e64 v87, 0, v69, s7
	v_add_f32_e32 v70, v70, v85
	s_delay_alu instid0(VALU_DEP_1) | instskip(SKIP_1) | instid1(VALU_DEP_2)
	v_dual_mul_f32 v72, 0x3fb8aa3b, v72 :: v_dual_add_f32 v69, v70, v86
	v_fma_f32 v70, s19, v102, -v68
	v_exp_f32_e32 v72, v72
	s_waitcnt_depctr 0xfff
	v_cndmask_b32_e64 v88, 0, v71, s9
	v_fma_f32 v71, s19, v104, -v68
	v_dual_add_f32 v69, v69, v87 :: v_dual_mul_f32 v70, 0x3fb8aa3b, v70
	s_delay_alu instid0(VALU_DEP_2) | instskip(NEXT) | instid1(VALU_DEP_2)
	v_dual_mul_f32 v78, 0x3fb8aa3b, v78 :: v_dual_mul_f32 v71, 0x3fb8aa3b, v71
	v_add_f32_e32 v69, v69, v84
	s_delay_alu instid0(VALU_DEP_3) | instskip(SKIP_1) | instid1(VALU_DEP_3)
	v_exp_f32_e32 v79, v70
	v_cndmask_b32_e64 v70, 0, v72, s10
	v_exp_f32_e32 v78, v78
	v_exp_f32_e32 v82, v71
	v_add_f32_e32 v72, v69, v88
	v_cndmask_b32_e64 v69, 0, v77, s11
	v_fma_f32 v77, s19, v106, -v68
	s_delay_alu instid0(VALU_DEP_3) | instskip(NEXT) | instid1(TRANS32_DEP_3)
	v_add_f32_e32 v72, v72, v70
	v_cndmask_b32_e64 v71, 0, v79, s12
	s_delay_alu instid0(VALU_DEP_3) | instskip(NEXT) | instid1(VALU_DEP_3)
	v_mul_f32_e32 v77, 0x3fb8aa3b, v77
	v_add_f32_e32 v79, v72, v69
	s_delay_alu instid0(TRANS32_DEP_2) | instskip(NEXT) | instid1(VALU_DEP_3)
	v_cndmask_b32_e64 v72, 0, v78, s13
	v_exp_f32_e32 v90, v77
	v_cndmask_b32_e64 v77, 0, v82, s15
	s_delay_alu instid0(VALU_DEP_3) | instskip(SKIP_1) | instid1(VALU_DEP_1)
	v_add_f32_e32 v78, v79, v71
	v_fma_f32 v79, s19, v107, -v68
	v_dual_add_f32 v82, v78, v72 :: v_dual_mul_f32 v79, 0x3fb8aa3b, v79
	v_cndmask_b32_e64 v78, 0, v81, s16
	s_delay_alu instid0(VALU_DEP_2) | instskip(NEXT) | instid1(VALU_DEP_3)
	v_add_f32_e32 v81, v82, v77
	v_exp_f32_e32 v82, v79
	s_delay_alu instid0(TRANS32_DEP_2) | instskip(NEXT) | instid1(VALU_DEP_2)
	v_cndmask_b32_e64 v79, 0, v90, s17
	v_add_f32_e32 v81, v81, v78
	s_delay_alu instid0(VALU_DEP_1) | instskip(SKIP_2) | instid1(VALU_DEP_1)
	v_add_f32_e32 v90, v81, v79
	s_waitcnt_depctr 0xfff
	v_cndmask_b32_e64 v81, 0, v82, s18
	v_add_f32_e32 v82, v90, v81
	ds_bpermute_b32 v89, v89, v82
	v_cmpx_gt_u32_e32 16, v67
	s_cbranch_execz .LBB1705_12
; %bb.11:
	v_mul_u32_u24_e32 v67, 0x44, v66
	s_delay_alu instid0(VALU_DEP_1) | instskip(SKIP_1) | instid1(VALU_DEP_1)
	v_lshl_add_u32 v67, v65, 2, v67
	s_waitcnt lgkmcnt(0)
	v_dual_add_f32 v82, v82, v89 :: v_dual_add_nc_u32 v67, 0x4000, v67
	ds_store_2addr_b32 v67, v68, v82 offset1:136
.LBB1705_12:
	s_or_b32 exec_lo, exec_lo, s3
	v_lshlrev_b32_e32 v67, 2, v65
	s_waitcnt lgkmcnt(0)
	s_barrier
	buffer_gl0_inv
	v_cmp_eq_u32_e32 vcc_lo, 1, v66
	v_add_nc_u32_e32 v82, 0x4000, v67
	v_cmp_eq_u32_e64 s3, 2, v66
	v_cmp_eq_u32_e64 s5, 7, v66
	ds_load_2addr_b32 v[89:90], v82 offset1:17
	ds_load_2addr_b32 v[91:92], v82 offset0:34 offset1:51
	ds_load_2addr_b32 v[93:94], v82 offset0:68 offset1:85
	;; [unrolled: 1-line block ×4, first 2 shown]
	s_waitcnt lgkmcnt(4)
	v_max3_f32 v67, v89, 0xff7fffff, v90
	s_waitcnt lgkmcnt(3)
	s_delay_alu instid0(VALU_DEP_1) | instskip(SKIP_1) | instid1(VALU_DEP_1)
	v_max3_f32 v67, v67, v91, v92
	s_waitcnt lgkmcnt(2)
	v_max3_f32 v67, v67, v93, v94
	s_waitcnt lgkmcnt(1)
	s_delay_alu instid0(VALU_DEP_1) | instskip(NEXT) | instid1(VALU_DEP_1)
	v_max3_f32 v67, v67, v95, v96
	v_sub_f32_e32 v93, v93, v67
	s_delay_alu instid0(VALU_DEP_1) | instskip(NEXT) | instid1(VALU_DEP_1)
	v_dual_sub_f32 v68, v89, v67 :: v_dual_mul_f32 v103, 0x3fb8aa3b, v93
	v_mul_f32_e32 v68, 0x3fb8aa3b, v68
	s_delay_alu instid0(VALU_DEP_1)
	v_exp_f32_e32 v100, v68
	v_sub_f32_e32 v68, v92, v67
	v_sub_f32_e32 v99, v90, v67
	ds_load_2addr_b32 v[89:90], v82 offset0:170 offset1:187
	v_dual_mul_f32 v102, 0x3fb8aa3b, v68 :: v_dual_mul_f32 v99, 0x3fb8aa3b, v99
	s_waitcnt lgkmcnt(1)
	v_fma_f32 v68, v100, v97, 0
	s_delay_alu instid0(VALU_DEP_2) | instskip(NEXT) | instid1(VALU_DEP_2)
	v_exp_f32_e32 v102, v102
	v_exp_f32_e32 v99, v99
	s_waitcnt_depctr 0xfff
	v_fmac_f32_e32 v68, v99, v98
	v_sub_f32_e32 v91, v91, v67
	s_delay_alu instid0(VALU_DEP_1)
	v_mul_f32_e32 v101, 0x3fb8aa3b, v91
	ds_load_2addr_b32 v[91:92], v82 offset0:204 offset1:221
	v_sub_f32_e32 v97, v94, v67
	ds_load_2addr_b32 v[93:94], v82 offset0:238 offset1:255
	s_waitcnt lgkmcnt(0)
	v_exp_f32_e32 v101, v101
	s_barrier
	buffer_gl0_inv
	v_dual_fmac_f32 v68, v101, v89 :: v_dual_sub_f32 v89, v96, v67
	v_dual_sub_f32 v82, v95, v67 :: v_dual_mul_f32 v95, 0x3fb8aa3b, v97
	v_exp_f32_e32 v97, v103
	s_delay_alu instid0(VALU_DEP_2) | instskip(NEXT) | instid1(VALU_DEP_2)
	v_dual_fmac_f32 v68, v102, v90 :: v_dual_mul_f32 v89, 0x3fb8aa3b, v89
	v_mul_f32_e32 v82, 0x3fb8aa3b, v82
	s_delay_alu instid0(VALU_DEP_3) | instskip(NEXT) | instid1(VALU_DEP_2)
	v_exp_f32_e32 v95, v95
	v_exp_f32_e32 v89, v89
	s_delay_alu instid0(VALU_DEP_1)
	v_exp_f32_e32 v82, v82
	v_fmac_f32_e32 v68, v97, v91
	s_delay_alu instid0(TRANS32_DEP_3) | instid1(VALU_DEP_1)
	v_fmac_f32_e32 v68, v95, v92
	s_waitcnt_depctr 0xfff
	v_fmac_f32_e32 v68, v82, v93
	s_delay_alu instid0(VALU_DEP_1) | instskip(NEXT) | instid1(VALU_DEP_1)
	v_fmac_f32_e32 v68, v89, v94
	v_add_f32_e32 v90, 0x358637bd, v68
	s_delay_alu instid0(VALU_DEP_1) | instskip(NEXT) | instid1(VALU_DEP_1)
	v_div_scale_f32 v91, null, v90, v90, 1.0
	v_rcp_f32_e32 v92, v91
	s_waitcnt_depctr 0xfff
	v_fma_f32 v93, -v91, v92, 1.0
	s_delay_alu instid0(VALU_DEP_1) | instskip(SKIP_1) | instid1(VALU_DEP_2)
	v_dual_fmac_f32 v92, v93, v92 :: v_dual_cndmask_b32 v93, v100, v99
	v_cmp_eq_u32_e32 vcc_lo, 3, v66
	v_cndmask_b32_e64 v93, v93, v101, s3
	v_cmp_eq_u32_e64 s3, 4, v66
	s_delay_alu instid0(VALU_DEP_2) | instskip(SKIP_1) | instid1(VALU_DEP_2)
	v_cndmask_b32_e32 v93, v93, v102, vcc_lo
	v_cmp_eq_u32_e32 vcc_lo, 5, v66
	v_cndmask_b32_e64 v93, v93, v97, s3
	v_cmp_eq_u32_e64 s3, 6, v66
	s_delay_alu instid0(VALU_DEP_2) | instskip(SKIP_1) | instid1(VALU_DEP_1)
	v_cndmask_b32_e32 v93, v93, v95, vcc_lo
	v_div_scale_f32 v94, s4, 1.0, v90, 1.0
	s_mov_b32 vcc_lo, s4
	s_delay_alu instid0(VALU_DEP_2) | instskip(NEXT) | instid1(VALU_DEP_2)
	v_cndmask_b32_e64 v82, v93, v82, s3
	v_mul_f32_e32 v96, v94, v92
	s_mov_b32 s3, exec_lo
	s_delay_alu instid0(VALU_DEP_2) | instskip(NEXT) | instid1(VALU_DEP_2)
	v_cndmask_b32_e64 v82, v82, v89, s5
	v_fma_f32 v98, -v91, v96, v94
	s_delay_alu instid0(VALU_DEP_1) | instskip(NEXT) | instid1(VALU_DEP_1)
	v_fmac_f32_e32 v96, v98, v92
	v_fma_f32 v91, -v91, v96, v94
	s_delay_alu instid0(VALU_DEP_1) | instskip(NEXT) | instid1(VALU_DEP_1)
	v_div_fmas_f32 v91, v91, v92, v96
	v_div_fixup_f32 v90, v91, v90, 1.0
	s_delay_alu instid0(VALU_DEP_1) | instskip(NEXT) | instid1(VALU_DEP_1)
	v_mul_f32_e32 v82, v82, v90
	v_mul_f32_e32 v87, v82, v87
	;; [unrolled: 1-line block ×7, first 2 shown]
	v_dual_mul_f32 v86, v82, v83 :: v_dual_and_b32 v91, 0x7f800000, v90
	v_mul_f32_e32 v85, v82, v76
                                        ; implicit-def: $vgpr76
	s_delay_alu instid0(VALU_DEP_2)
	v_cmpx_ne_u32_e32 0x7f800000, v91
	s_xor_b32 s3, exec_lo, s3
; %bb.13:
	v_bfe_u32 v76, v90, 16, 1
	s_delay_alu instid0(VALU_DEP_1)
	v_add3_u32 v76, v90, v76, 0x7fff
                                        ; implicit-def: $vgpr90
; %bb.14:
	s_and_not1_saveexec_b32 s3, s3
; %bb.15:
	v_and_b32_e32 v76, 0xffff, v90
	v_or_b32_e32 v83, 0x10000, v90
	s_delay_alu instid0(VALU_DEP_2) | instskip(NEXT) | instid1(VALU_DEP_2)
	v_cmp_eq_u32_e32 vcc_lo, 0, v76
	v_cndmask_b32_e32 v76, v83, v90, vcc_lo
; %bb.16:
	s_or_b32 exec_lo, exec_lo, s3
	v_and_b32_e32 v83, 0x7f800000, v85
	s_delay_alu instid0(VALU_DEP_1) | instskip(SKIP_1) | instid1(SALU_CYCLE_1)
	v_cmp_ne_u32_e32 vcc_lo, 0x7f800000, v83
                                        ; implicit-def: $vgpr83
	s_and_saveexec_b32 s3, vcc_lo
	s_xor_b32 s3, exec_lo, s3
; %bb.17:
	v_bfe_u32 v83, v85, 16, 1
	s_delay_alu instid0(VALU_DEP_1)
	v_add3_u32 v83, v85, v83, 0x7fff
                                        ; implicit-def: $vgpr85
; %bb.18:
	s_and_not1_saveexec_b32 s3, s3
; %bb.19:
	v_and_b32_e32 v83, 0xffff, v85
	v_or_b32_e32 v90, 0x10000, v85
	s_delay_alu instid0(VALU_DEP_2) | instskip(NEXT) | instid1(VALU_DEP_2)
	v_cmp_eq_u32_e32 vcc_lo, 0, v83
	v_cndmask_b32_e32 v83, v90, v85, vcc_lo
; %bb.20:
	s_or_b32 exec_lo, exec_lo, s3
	v_and_b32_e32 v85, 0x7f800000, v86
	s_delay_alu instid0(VALU_DEP_1) | instskip(SKIP_1) | instid1(SALU_CYCLE_1)
	v_cmp_ne_u32_e32 vcc_lo, 0x7f800000, v85
                                        ; implicit-def: $vgpr85
	s_and_saveexec_b32 s3, vcc_lo
	s_xor_b32 s3, exec_lo, s3
; %bb.21:
	v_bfe_u32 v85, v86, 16, 1
	s_delay_alu instid0(VALU_DEP_1)
	v_add3_u32 v85, v86, v85, 0x7fff
                                        ; implicit-def: $vgpr86
; %bb.22:
	s_and_not1_saveexec_b32 s3, s3
; %bb.23:
	v_and_b32_e32 v85, 0xffff, v86
	v_or_b32_e32 v90, 0x10000, v86
	s_delay_alu instid0(VALU_DEP_2) | instskip(NEXT) | instid1(VALU_DEP_2)
	v_cmp_eq_u32_e32 vcc_lo, 0, v85
	v_cndmask_b32_e32 v85, v90, v86, vcc_lo
; %bb.24:
	s_or_b32 exec_lo, exec_lo, s3
	v_and_b32_e32 v86, 0x7f800000, v89
	s_delay_alu instid0(VALU_DEP_1) | instskip(SKIP_1) | instid1(SALU_CYCLE_1)
	v_cmp_ne_u32_e32 vcc_lo, 0x7f800000, v86
                                        ; implicit-def: $vgpr86
	s_and_saveexec_b32 s3, vcc_lo
	s_xor_b32 s3, exec_lo, s3
; %bb.25:
	v_bfe_u32 v86, v89, 16, 1
	s_delay_alu instid0(VALU_DEP_1)
	v_add3_u32 v86, v89, v86, 0x7fff
                                        ; implicit-def: $vgpr89
; %bb.26:
	s_and_not1_saveexec_b32 s3, s3
; %bb.27:
	v_and_b32_e32 v86, 0xffff, v89
	v_or_b32_e32 v90, 0x10000, v89
	s_delay_alu instid0(VALU_DEP_2) | instskip(NEXT) | instid1(VALU_DEP_2)
	v_cmp_eq_u32_e32 vcc_lo, 0, v86
	v_cndmask_b32_e32 v86, v90, v89, vcc_lo
; %bb.28:
	s_or_b32 exec_lo, exec_lo, s3
	v_and_b32_e32 v89, 0x7f800000, v88
	s_delay_alu instid0(VALU_DEP_1) | instskip(SKIP_1) | instid1(SALU_CYCLE_1)
	v_cmp_ne_u32_e32 vcc_lo, 0x7f800000, v89
                                        ; implicit-def: $vgpr89
	s_and_saveexec_b32 s3, vcc_lo
	s_xor_b32 s3, exec_lo, s3
; %bb.29:
	v_bfe_u32 v89, v88, 16, 1
	s_delay_alu instid0(VALU_DEP_1)
	v_add3_u32 v89, v88, v89, 0x7fff
                                        ; implicit-def: $vgpr88
; %bb.30:
	s_and_not1_saveexec_b32 s3, s3
; %bb.31:
	v_and_b32_e32 v89, 0xffff, v88
	v_or_b32_e32 v90, 0x10000, v88
	s_delay_alu instid0(VALU_DEP_2) | instskip(NEXT) | instid1(VALU_DEP_2)
	v_cmp_eq_u32_e32 vcc_lo, 0, v89
	v_cndmask_b32_e32 v89, v90, v88, vcc_lo
; %bb.32:
	s_or_b32 exec_lo, exec_lo, s3
	v_and_b32_e32 v88, 0x7f800000, v87
	s_delay_alu instid0(VALU_DEP_1) | instskip(SKIP_1) | instid1(SALU_CYCLE_1)
	v_cmp_ne_u32_e32 vcc_lo, 0x7f800000, v88
                                        ; implicit-def: $vgpr88
	s_and_saveexec_b32 s3, vcc_lo
	s_xor_b32 s3, exec_lo, s3
; %bb.33:
	v_bfe_u32 v88, v87, 16, 1
	s_delay_alu instid0(VALU_DEP_1)
	v_add3_u32 v88, v87, v88, 0x7fff
                                        ; implicit-def: $vgpr87
; %bb.34:
	s_and_not1_saveexec_b32 s3, s3
; %bb.35:
	v_and_b32_e32 v88, 0xffff, v87
	v_or_b32_e32 v90, 0x10000, v87
	s_delay_alu instid0(VALU_DEP_2) | instskip(NEXT) | instid1(VALU_DEP_2)
	v_cmp_eq_u32_e32 vcc_lo, 0, v88
	v_cndmask_b32_e32 v88, v90, v87, vcc_lo
; %bb.36:
	s_or_b32 exec_lo, exec_lo, s3
	v_and_b32_e32 v87, 0x7f800000, v84
	s_delay_alu instid0(VALU_DEP_1) | instskip(SKIP_1) | instid1(SALU_CYCLE_1)
	v_cmp_ne_u32_e32 vcc_lo, 0x7f800000, v87
                                        ; implicit-def: $vgpr87
	s_and_saveexec_b32 s3, vcc_lo
	s_xor_b32 s3, exec_lo, s3
; %bb.37:
	v_bfe_u32 v87, v84, 16, 1
	s_delay_alu instid0(VALU_DEP_1)
	v_add3_u32 v87, v84, v87, 0x7fff
                                        ; implicit-def: $vgpr84
; %bb.38:
	s_and_not1_saveexec_b32 s3, s3
; %bb.39:
	v_and_b32_e32 v87, 0xffff, v84
	v_or_b32_e32 v90, 0x10000, v84
	s_delay_alu instid0(VALU_DEP_2) | instskip(NEXT) | instid1(VALU_DEP_2)
	v_cmp_eq_u32_e32 vcc_lo, 0, v87
	v_cndmask_b32_e32 v87, v90, v84, vcc_lo
; %bb.40:
	s_or_b32 exec_lo, exec_lo, s3
	v_and_b32_e32 v84, 0x7f800000, v80
	s_delay_alu instid0(VALU_DEP_1) | instskip(SKIP_1) | instid1(SALU_CYCLE_1)
	v_cmp_ne_u32_e32 vcc_lo, 0x7f800000, v84
                                        ; implicit-def: $vgpr84
	s_and_saveexec_b32 s3, vcc_lo
	s_xor_b32 s3, exec_lo, s3
; %bb.41:
	v_bfe_u32 v84, v80, 16, 1
	s_delay_alu instid0(VALU_DEP_1)
	v_add3_u32 v84, v80, v84, 0x7fff
                                        ; implicit-def: $vgpr80
; %bb.42:
	s_and_not1_saveexec_b32 s3, s3
; %bb.43:
	v_and_b32_e32 v84, 0xffff, v80
	v_or_b32_e32 v90, 0x10000, v80
	s_delay_alu instid0(VALU_DEP_2) | instskip(NEXT) | instid1(VALU_DEP_2)
	v_cmp_eq_u32_e32 vcc_lo, 0, v84
	v_cndmask_b32_e32 v84, v90, v80, vcc_lo
; %bb.44:
	s_or_b32 exec_lo, exec_lo, s3
	s_load_b64 s[34:35], s[0:1], 0x94
	v_lshlrev_b32_e32 v91, 4, v74
	s_delay_alu instid0(VALU_DEP_2)
	v_perm_b32 v90, v84, v87, 0x7060302
	v_dual_mul_f32 v79, v82, v79 :: v_dual_lshlrev_b32 v80, 6, v65
	v_dual_mul_f32 v77, v82, v77 :: v_dual_lshlrev_b32 v92, 11, v66
	v_mul_f32_e32 v84, v82, v70
	v_perm_b32 v89, v88, v89, 0x7060302
	v_perm_b32 v88, v86, v85, 0x7060302
	;; [unrolled: 1-line block ×3, first 2 shown]
	v_mul_f32_e32 v70, v82, v81
	v_or3_b32 v76, v91, v92, v80
	v_dual_mul_f32 v78, v82, v78 :: v_dual_and_b32 v85, 0x7f800000, v84
	v_mul_f32_e32 v83, v82, v72
	v_mul_f32_e32 v81, v82, v71
	;; [unrolled: 1-line block ×3, first 2 shown]
	s_mov_b32 s3, exec_lo
	ds_store_b128 v76, v[87:90]
                                        ; implicit-def: $vgpr69
	v_cmpx_ne_u32_e32 0x7f800000, v85
	s_xor_b32 s3, exec_lo, s3
; %bb.45:
	v_bfe_u32 v69, v84, 16, 1
	s_delay_alu instid0(VALU_DEP_1)
	v_add3_u32 v69, v84, v69, 0x7fff
                                        ; implicit-def: $vgpr84
; %bb.46:
	s_and_not1_saveexec_b32 s3, s3
; %bb.47:
	v_and_b32_e32 v69, 0xffff, v84
	v_or_b32_e32 v71, 0x10000, v84
	s_delay_alu instid0(VALU_DEP_2) | instskip(NEXT) | instid1(VALU_DEP_2)
	v_cmp_eq_u32_e32 vcc_lo, 0, v69
	v_cndmask_b32_e32 v69, v71, v84, vcc_lo
; %bb.48:
	s_or_b32 exec_lo, exec_lo, s3
	v_and_b32_e32 v71, 0x7f800000, v72
	s_delay_alu instid0(VALU_DEP_1) | instskip(SKIP_1) | instid1(SALU_CYCLE_1)
	v_cmp_ne_u32_e32 vcc_lo, 0x7f800000, v71
                                        ; implicit-def: $vgpr71
	s_and_saveexec_b32 s3, vcc_lo
	s_xor_b32 s3, exec_lo, s3
; %bb.49:
	v_bfe_u32 v71, v72, 16, 1
	s_delay_alu instid0(VALU_DEP_1)
	v_add3_u32 v71, v72, v71, 0x7fff
                                        ; implicit-def: $vgpr72
; %bb.50:
	s_and_not1_saveexec_b32 s3, s3
; %bb.51:
	v_and_b32_e32 v71, 0xffff, v72
	v_or_b32_e32 v82, 0x10000, v72
	s_delay_alu instid0(VALU_DEP_2) | instskip(NEXT) | instid1(VALU_DEP_2)
	v_cmp_eq_u32_e32 vcc_lo, 0, v71
	v_cndmask_b32_e32 v71, v82, v72, vcc_lo
; %bb.52:
	s_or_b32 exec_lo, exec_lo, s3
	v_and_b32_e32 v72, 0x7f800000, v81
	s_delay_alu instid0(VALU_DEP_1) | instskip(SKIP_1) | instid1(SALU_CYCLE_1)
	v_cmp_ne_u32_e32 vcc_lo, 0x7f800000, v72
                                        ; implicit-def: $vgpr72
	s_and_saveexec_b32 s3, vcc_lo
	s_xor_b32 s3, exec_lo, s3
; %bb.53:
	v_bfe_u32 v72, v81, 16, 1
	s_delay_alu instid0(VALU_DEP_1)
	v_add3_u32 v72, v81, v72, 0x7fff
                                        ; implicit-def: $vgpr81
; %bb.54:
	s_and_not1_saveexec_b32 s3, s3
; %bb.55:
	v_and_b32_e32 v72, 0xffff, v81
	v_or_b32_e32 v82, 0x10000, v81
	s_delay_alu instid0(VALU_DEP_2) | instskip(NEXT) | instid1(VALU_DEP_2)
	v_cmp_eq_u32_e32 vcc_lo, 0, v72
	v_cndmask_b32_e32 v72, v82, v81, vcc_lo
; %bb.56:
	s_or_b32 exec_lo, exec_lo, s3
	v_and_b32_e32 v81, 0x7f800000, v83
	s_delay_alu instid0(VALU_DEP_1) | instskip(SKIP_1) | instid1(SALU_CYCLE_1)
	v_cmp_ne_u32_e32 vcc_lo, 0x7f800000, v81
                                        ; implicit-def: $vgpr81
	s_and_saveexec_b32 s3, vcc_lo
	s_xor_b32 s3, exec_lo, s3
; %bb.57:
	v_bfe_u32 v81, v83, 16, 1
	s_delay_alu instid0(VALU_DEP_1)
	v_add3_u32 v81, v83, v81, 0x7fff
                                        ; implicit-def: $vgpr83
; %bb.58:
	s_and_not1_saveexec_b32 s3, s3
; %bb.59:
	v_and_b32_e32 v81, 0xffff, v83
	v_or_b32_e32 v82, 0x10000, v83
	s_delay_alu instid0(VALU_DEP_2) | instskip(NEXT) | instid1(VALU_DEP_2)
	v_cmp_eq_u32_e32 vcc_lo, 0, v81
	v_cndmask_b32_e32 v81, v82, v83, vcc_lo
; %bb.60:
	s_or_b32 exec_lo, exec_lo, s3
	v_and_b32_e32 v82, 0x7f800000, v77
	s_delay_alu instid0(VALU_DEP_1) | instskip(SKIP_1) | instid1(SALU_CYCLE_1)
	v_cmp_ne_u32_e32 vcc_lo, 0x7f800000, v82
                                        ; implicit-def: $vgpr82
	s_and_saveexec_b32 s3, vcc_lo
	s_xor_b32 s3, exec_lo, s3
; %bb.61:
	v_bfe_u32 v82, v77, 16, 1
	s_delay_alu instid0(VALU_DEP_1)
	v_add3_u32 v82, v77, v82, 0x7fff
                                        ; implicit-def: $vgpr77
; %bb.62:
	s_and_not1_saveexec_b32 s3, s3
; %bb.63:
	v_and_b32_e32 v82, 0xffff, v77
	v_or_b32_e32 v83, 0x10000, v77
	s_delay_alu instid0(VALU_DEP_2) | instskip(NEXT) | instid1(VALU_DEP_2)
	v_cmp_eq_u32_e32 vcc_lo, 0, v82
	v_cndmask_b32_e32 v82, v83, v77, vcc_lo
; %bb.64:
	s_or_b32 exec_lo, exec_lo, s3
	v_and_b32_e32 v77, 0x7f800000, v78
	s_delay_alu instid0(VALU_DEP_1) | instskip(SKIP_1) | instid1(SALU_CYCLE_1)
	v_cmp_ne_u32_e32 vcc_lo, 0x7f800000, v77
                                        ; implicit-def: $vgpr77
	s_and_saveexec_b32 s3, vcc_lo
	s_xor_b32 s3, exec_lo, s3
; %bb.65:
	v_bfe_u32 v77, v78, 16, 1
	s_delay_alu instid0(VALU_DEP_1)
	v_add3_u32 v77, v78, v77, 0x7fff
                                        ; implicit-def: $vgpr78
; %bb.66:
	s_and_not1_saveexec_b32 s3, s3
; %bb.67:
	v_and_b32_e32 v77, 0xffff, v78
	v_or_b32_e32 v83, 0x10000, v78
	s_delay_alu instid0(VALU_DEP_2) | instskip(NEXT) | instid1(VALU_DEP_2)
	v_cmp_eq_u32_e32 vcc_lo, 0, v77
	v_cndmask_b32_e32 v77, v83, v78, vcc_lo
; %bb.68:
	s_or_b32 exec_lo, exec_lo, s3
	v_and_b32_e32 v78, 0x7f800000, v79
	s_delay_alu instid0(VALU_DEP_1) | instskip(SKIP_1) | instid1(SALU_CYCLE_1)
	v_cmp_ne_u32_e32 vcc_lo, 0x7f800000, v78
                                        ; implicit-def: $vgpr78
	s_and_saveexec_b32 s3, vcc_lo
	s_xor_b32 s3, exec_lo, s3
; %bb.69:
	v_bfe_u32 v78, v79, 16, 1
	s_delay_alu instid0(VALU_DEP_1)
	v_add3_u32 v78, v79, v78, 0x7fff
                                        ; implicit-def: $vgpr79
; %bb.70:
	s_and_not1_saveexec_b32 s3, s3
; %bb.71:
	v_and_b32_e32 v78, 0xffff, v79
	v_or_b32_e32 v83, 0x10000, v79
	s_delay_alu instid0(VALU_DEP_2) | instskip(NEXT) | instid1(VALU_DEP_2)
	v_cmp_eq_u32_e32 vcc_lo, 0, v78
	v_cndmask_b32_e32 v78, v83, v79, vcc_lo
; %bb.72:
	s_or_b32 exec_lo, exec_lo, s3
	v_and_b32_e32 v79, 0x7f800000, v70
	s_delay_alu instid0(VALU_DEP_1) | instskip(SKIP_1) | instid1(SALU_CYCLE_1)
	v_cmp_ne_u32_e32 vcc_lo, 0x7f800000, v79
                                        ; implicit-def: $vgpr79
	s_and_saveexec_b32 s3, vcc_lo
	s_xor_b32 s3, exec_lo, s3
; %bb.73:
	v_bfe_u32 v79, v70, 16, 1
	s_delay_alu instid0(VALU_DEP_1)
	v_add3_u32 v79, v70, v79, 0x7fff
                                        ; implicit-def: $vgpr70
; %bb.74:
	s_and_not1_saveexec_b32 s3, s3
; %bb.75:
	v_and_b32_e32 v79, 0xffff, v70
	v_or_b32_e32 v83, 0x10000, v70
	s_delay_alu instid0(VALU_DEP_2) | instskip(NEXT) | instid1(VALU_DEP_2)
	v_cmp_eq_u32_e32 vcc_lo, 0, v79
	v_cndmask_b32_e32 v79, v83, v70, vcc_lo
; %bb.76:
	s_or_b32 exec_lo, exec_lo, s3
	s_delay_alu instid0(VALU_DEP_1)
	v_perm_b32 v86, v79, v78, 0x7060302
	v_perm_b32 v85, v77, v82, 0x7060302
	;; [unrolled: 1-line block ×4, first 2 shown]
	v_lshl_or_b32 v82, v66, 11, v80
	ds_store_b128 v76, v[83:86] offset:1024
	s_waitcnt lgkmcnt(0)
	s_barrier
	buffer_gl0_inv
	ds_load_b128 v[69:72], v82
	ds_load_b128 v[83:86], v82 offset:16
	s_waitcnt lgkmcnt(1)
	v_lshrrev_b32_e32 v66, 16, v69
	s_waitcnt lgkmcnt(0)
	v_lshrrev_b32_e32 v91, 16, v83
	v_lshlrev_b32_e32 v78, 2, v74
	v_lshrrev_b32_e32 v95, 16, v70
	v_lshrrev_b32_e32 v98, 16, v84
	;; [unrolled: 1-line block ×4, first 2 shown]
	v_cmp_eq_u32_e32 vcc_lo, 1, v78
	v_lshrrev_b32_e32 v97, 16, v72
	v_lshrrev_b32_e32 v100, 16, v86
	v_cndmask_b32_e32 v87, v83, v91, vcc_lo
	v_or_b32_e32 v79, 1, v78
	v_cndmask_b32_e32 v81, v69, v66, vcc_lo
	v_cmp_eq_u32_e64 s4, 2, v78
	v_cmp_eq_u32_e64 s7, 3, v78
	;; [unrolled: 1-line block ×5, first 2 shown]
	v_cndmask_b32_e64 v81, v81, v70, s4
	v_cndmask_b32_e64 v87, v87, v84, s4
	v_cmp_eq_u32_e64 s8, 3, v79
	v_cndmask_b32_e64 v88, v69, v66, s3
	v_or_b32_e32 v77, 2, v78
	v_cndmask_b32_e64 v81, v81, v95, s7
	v_cndmask_b32_e64 v87, v87, v98, s7
	;; [unrolled: 1-line block ×4, first 2 shown]
	v_cmp_eq_u32_e64 s10, 5, v78
	v_cndmask_b32_e64 v81, v81, v71, s9
	v_cndmask_b32_e64 v87, v87, v85, s9
	v_cmp_eq_u32_e64 s11, 4, v79
	v_cndmask_b32_e64 v88, v88, v95, s8
	v_cmp_eq_u32_e64 s5, 1, v77
	v_cndmask_b32_e64 v89, v89, v84, s6
	v_cndmask_b32_e64 v81, v81, v96, s10
	v_cmp_eq_u32_e64 s12, 6, v78
	v_cndmask_b32_e64 v88, v88, v71, s11
	;; [unrolled: 3-line block ×3, first 2 shown]
	v_cndmask_b32_e64 v89, v89, v98, s8
	v_cndmask_b32_e64 v81, v81, v72, s12
	v_cmp_eq_u32_e64 s15, 7, v78
	v_cndmask_b32_e64 v88, v88, v96, s13
	v_cndmask_b32_e64 v87, v87, v86, s12
	v_cmp_eq_u32_e64 s16, 6, v79
	v_cmp_eq_u32_e64 s17, 2, v77
	v_cndmask_b32_e64 v89, v89, v85, s11
	v_cndmask_b32_e64 v101, v81, v97, s15
	v_cndmask_b32_e64 v102, v87, v100, s15
	v_cndmask_b32_e64 v88, v88, v72, s16
	v_cndmask_b32_e64 v81, v90, v70, s17
	v_cndmask_b32_e64 v87, v83, v91, s5
	v_cmp_eq_u32_e64 s18, 7, v79
	v_cmp_eq_u32_e64 s19, 3, v77
	;; [unrolled: 1-line block ×4, first 2 shown]
	v_cndmask_b32_e64 v87, v87, v84, s17
	v_cndmask_b32_e64 v103, v88, v97, s18
	;; [unrolled: 1-line block ×4, first 2 shown]
	v_or_b32_e32 v81, 3, v78
	v_cndmask_b32_e64 v93, v87, v98, s19
	v_cmp_eq_u32_e64 s24, 6, v77
	v_cndmask_b32_e64 v104, v88, v86, s16
	v_cndmask_b32_e64 v92, v89, v71, s20
	v_cmp_eq_u32_e64 s21, 1, v81
	ds_load_b128 v[87:90], v82 offset:1024
	v_cmp_eq_u32_e64 s23, 2, v81
	v_cmp_eq_u32_e64 s25, 3, v81
	v_cndmask_b32_e64 v105, v92, v96, s22
	v_cndmask_b32_e64 v66, v69, v66, s21
	;; [unrolled: 1-line block ×4, first 2 shown]
	ds_load_b128 v[91:94], v82 offset:1040
	v_cmp_eq_u32_e64 s26, 4, v81
	v_cndmask_b32_e64 v66, v66, v70, s23
	v_cmp_eq_u32_e64 s27, 7, v77
	v_cndmask_b32_e64 v70, v83, v84, s23
	v_cndmask_b32_e64 v84, v105, v72, s24
	v_cmp_eq_u32_e64 s28, 5, v81
	v_cndmask_b32_e64 v66, v66, v95, s25
	v_cmp_eq_u32_e64 s29, 6, v81
	v_cndmask_b32_e64 v70, v70, v98, s25
	v_cndmask_b32_e64 v69, v69, v99, s22
	;; [unrolled: 1-line block ×4, first 2 shown]
	s_waitcnt lgkmcnt(1)
	v_lshrrev_b32_e32 v95, 16, v87
	v_cndmask_b32_e64 v70, v70, v85, s26
	v_cndmask_b32_e64 v71, v84, v97, s27
	;; [unrolled: 1-line block ×4, first 2 shown]
	v_cndmask_b32_e32 v84, v87, v95, vcc_lo
	v_cndmask_b32_e64 v70, v70, v99, s28
	s_waitcnt lgkmcnt(0)
	v_lshrrev_b32_e32 v85, 16, v91
	v_lshrrev_b32_e32 v96, 16, v88
	v_cndmask_b32_e64 v98, v87, v95, s3
	v_cndmask_b32_e64 v84, v84, v88, s4
	;; [unrolled: 1-line block ×3, first 2 shown]
	v_cndmask_b32_e32 v99, v91, v85, vcc_lo
	v_cmp_eq_u32_e32 vcc_lo, 7, v81
	v_cndmask_b32_e64 v66, v66, v72, s29
	v_cndmask_b32_e64 v72, v84, v96, s7
	;; [unrolled: 1-line block ×3, first 2 shown]
	v_lshrrev_b32_e32 v98, 16, v92
	v_cndmask_b32_e32 v70, v70, v100, vcc_lo
	v_cndmask_b32_e64 v86, v99, v92, s4
	v_cndmask_b32_e64 v69, v69, v100, s27
	v_lshrrev_b32_e32 v100, 16, v93
	v_cndmask_b32_e64 v72, v72, v89, s9
	v_lshrrev_b32_e32 v99, 16, v89
	v_cndmask_b32_e64 v86, v86, v98, s7
	v_perm_b32 v71, v69, v71, 0x5040100
	v_cndmask_b32_e64 v84, v84, v96, s8
	s_delay_alu instid0(VALU_DEP_3) | instskip(NEXT) | instid1(VALU_DEP_2)
	v_cndmask_b32_e64 v86, v86, v93, s9
	v_cndmask_b32_e64 v84, v84, v89, s11
	s_delay_alu instid0(VALU_DEP_2) | instskip(NEXT) | instid1(VALU_DEP_1)
	v_cndmask_b32_e64 v86, v86, v100, s10
	v_cndmask_b32_e64 v69, v86, v94, s12
	;; [unrolled: 1-line block ×5, first 2 shown]
	s_delay_alu instid0(VALU_DEP_3) | instskip(NEXT) | instid1(VALU_DEP_3)
	v_cndmask_b32_e64 v86, v86, v88, s17
	v_cndmask_b32_e64 v87, v87, v88, s23
	s_delay_alu instid0(VALU_DEP_3) | instskip(NEXT) | instid1(VALU_DEP_3)
	v_cndmask_b32_e64 v88, v95, v92, s23
	v_cndmask_b32_e64 v86, v86, v96, s19
	;; [unrolled: 3-line block ×7, first 2 shown]
	s_delay_alu instid0(VALU_DEP_3) | instskip(SKIP_2) | instid1(VALU_DEP_2)
	v_cndmask_b32_e64 v88, v88, v94, s29
	v_cndmask_b32_e32 v66, v66, v97, vcc_lo
	v_cndmask_b32_e64 v97, v72, v99, s10
	v_perm_b32 v72, v70, v66, 0x5040100
	v_perm_b32 v70, v83, v103, 0x5040100
	v_cndmask_b32_e64 v103, v91, v85, s5
	v_cndmask_b32_e64 v85, v91, v85, s3
	;; [unrolled: 1-line block ×4, first 2 shown]
	v_lshrrev_b32_e32 v97, 16, v90
	v_cndmask_b32_e64 v91, v103, v92, s17
	v_cndmask_b32_e64 v85, v85, v92, s6
	;; [unrolled: 1-line block ×3, first 2 shown]
	s_mov_b32 s3, exec_lo
	v_cndmask_b32_e64 v83, v84, v97, s15
	v_cndmask_b32_e64 v91, v91, v98, s19
	;; [unrolled: 1-line block ×3, first 2 shown]
	v_lshrrev_b32_e32 v84, 16, v94
	v_cndmask_b32_e64 v66, v66, v97, s18
	v_cndmask_b32_e64 v90, v86, v97, s27
	;; [unrolled: 1-line block ×4, first 2 shown]
	v_dual_cndmask_b32 v86, v87, v97 :: v_dual_cndmask_b32 v87, v88, v84
	v_cndmask_b32_e64 v91, v69, v84, s15
	s_delay_alu instid0(VALU_DEP_4) | instskip(NEXT) | instid1(VALU_DEP_4)
	v_cndmask_b32_e64 v89, v89, v100, s22
	v_cndmask_b32_e64 v85, v85, v100, s13
	v_perm_b32 v69, v102, v101, 0x5040100
	v_perm_b32 v86, v87, v86, 0x5040100
	;; [unrolled: 1-line block ×3, first 2 shown]
	v_cndmask_b32_e64 v89, v89, v94, s24
	v_cndmask_b32_e64 v85, v85, v94, s16
	s_mul_i32 s8, s35, 12
	s_delay_alu instid0(VALU_DEP_2) | instskip(NEXT) | instid1(VALU_DEP_2)
	v_cndmask_b32_e64 v88, v89, v84, s27
	v_cndmask_b32_e64 v89, v85, v84, s18
	s_delay_alu instid0(VALU_DEP_2) | instskip(NEXT) | instid1(VALU_DEP_2)
	v_perm_b32 v85, v88, v90, 0x5040100
	v_perm_b32 v84, v89, v66, 0x5040100
	ds_store_b128 v76, v[69:72]
	ds_store_b128 v76, v[83:86] offset:1024
	v_cmpx_gt_u32_e32 12, v0
	s_cbranch_execz .LBB1705_78
; %bb.77:
	s_mul_i32 s4, s8, s30
	s_delay_alu instid0(SALU_CYCLE_1) | instskip(SKIP_1) | instid1(VALU_DEP_1)
	v_add3_u32 v69, s4, s31, v65
	s_load_b128 s[4:7], s[0:1], 0x58
	v_mad_u64_u32 v[65:66], null, v69, s34, s[14:15]
	s_delay_alu instid0(VALU_DEP_1) | instskip(NEXT) | instid1(VALU_DEP_1)
	v_ashrrev_i32_e32 v66, 31, v65
	v_lshlrev_b64 v[65:66], 2, v[65:66]
	s_waitcnt lgkmcnt(0)
	s_delay_alu instid0(VALU_DEP_1) | instskip(NEXT) | instid1(VALU_DEP_2)
	v_add_co_u32 v69, vcc_lo, s6, v65
	v_add_co_ci_u32_e32 v70, vcc_lo, s7, v66, vcc_lo
	v_add_co_u32 v65, vcc_lo, s4, v65
	v_add_co_ci_u32_e32 v66, vcc_lo, s5, v66, vcc_lo
	global_store_b32 v[69:70], v67, off
	global_store_b32 v[65:66], v68, off
.LBB1705_78:
	s_or_b32 exec_lo, exec_lo, s3
	s_waitcnt lgkmcnt(0)
	s_waitcnt_vscnt null, 0x0
	s_barrier
	buffer_gl0_inv
	ds_load_b128 v[83:86], v80
	ds_load_b128 v[87:90], v80 offset:16
	ds_load_b128 v[95:98], v80 offset:2064
	;; [unrolled: 1-line block ×3, first 2 shown]
	v_mov_b32_e32 v65, 0
	ds_load_b128 v[103:106], v80 offset:4112
	ds_load_b128 v[99:102], v80 offset:4096
	;; [unrolled: 1-line block ×4, first 2 shown]
	v_mov_b32_e32 v66, v65
	v_mov_b32_e32 v67, v65
	;; [unrolled: 1-line block ×7, first 2 shown]
	s_waitcnt lgkmcnt(6)
	s_delay_alu instid0(VALU_DEP_1)
	v_wmma_f32_16x16x16_bf16 v[65:72], v[57:64], v[83:90], v[65:72]
	ds_load_b128 v[61:64], v80 offset:8208
	ds_load_b128 v[57:60], v80 offset:8192
	s_waitcnt lgkmcnt(6)
	v_wmma_f32_16x16x16_bf16 v[65:72], v[41:48], v[91:98], v[65:72]
	ds_load_b128 v[45:48], v80 offset:10256
	ds_load_b128 v[41:44], v80 offset:10240
	s_waitcnt lgkmcnt(6)
	;; [unrolled: 4-line block ×4, first 2 shown]
	v_wmma_f32_16x16x16_bf16 v[65:72], v[1:8], v[57:64], v[65:72]
	s_waitcnt lgkmcnt(4)
	s_delay_alu instid0(VALU_DEP_1) | instskip(SKIP_1) | instid1(VALU_DEP_1)
	v_wmma_f32_16x16x16_bf16 v[65:72], v[9:16], v[41:48], v[65:72]
	s_waitcnt lgkmcnt(2)
	v_wmma_f32_16x16x16_bf16 v[65:72], v[17:24], v[33:40], v[65:72]
	s_waitcnt lgkmcnt(0)
	s_delay_alu instid0(VALU_DEP_1) | instskip(NEXT) | instid1(VALU_DEP_1)
	v_wmma_f32_16x16x16_bf16 v[65:72], v[49:56], v[25:32], v[65:72]
	v_and_b32_e32 v1, 0x7f800000, v65
	s_delay_alu instid0(VALU_DEP_1) | instskip(SKIP_1) | instid1(SALU_CYCLE_1)
	v_cmp_ne_u32_e32 vcc_lo, 0x7f800000, v1
                                        ; implicit-def: $vgpr1
	s_and_saveexec_b32 s3, vcc_lo
	s_xor_b32 s3, exec_lo, s3
; %bb.79:
	v_bfe_u32 v1, v65, 16, 1
	s_delay_alu instid0(VALU_DEP_1)
	v_add3_u32 v1, v65, v1, 0x7fff
; %bb.80:
	s_and_not1_saveexec_b32 s3, s3
; %bb.81:
	v_and_b32_e32 v1, 0xffff, v65
	v_or_b32_e32 v2, 0x10000, v65
	s_delay_alu instid0(VALU_DEP_2) | instskip(NEXT) | instid1(VALU_DEP_2)
	v_cmp_eq_u32_e32 vcc_lo, 0, v1
	v_cndmask_b32_e32 v1, v2, v65, vcc_lo
; %bb.82:
	s_or_b32 exec_lo, exec_lo, s3
	v_and_b32_e32 v2, 0x7f800000, v66
	s_delay_alu instid0(VALU_DEP_1) | instskip(SKIP_1) | instid1(SALU_CYCLE_1)
	v_cmp_ne_u32_e32 vcc_lo, 0x7f800000, v2
                                        ; implicit-def: $vgpr2
	s_and_saveexec_b32 s3, vcc_lo
	s_xor_b32 s3, exec_lo, s3
; %bb.83:
	v_bfe_u32 v2, v66, 16, 1
	s_delay_alu instid0(VALU_DEP_1)
	v_add3_u32 v2, v66, v2, 0x7fff
; %bb.84:
	s_and_not1_saveexec_b32 s3, s3
; %bb.85:
	v_and_b32_e32 v2, 0xffff, v66
	v_or_b32_e32 v3, 0x10000, v66
	s_delay_alu instid0(VALU_DEP_2) | instskip(NEXT) | instid1(VALU_DEP_2)
	v_cmp_eq_u32_e32 vcc_lo, 0, v2
	v_cndmask_b32_e32 v2, v3, v66, vcc_lo
; %bb.86:
	s_or_b32 exec_lo, exec_lo, s3
	v_and_b32_e32 v3, 0x7f800000, v67
	s_delay_alu instid0(VALU_DEP_1) | instskip(SKIP_1) | instid1(SALU_CYCLE_1)
	v_cmp_ne_u32_e32 vcc_lo, 0x7f800000, v3
                                        ; implicit-def: $vgpr3
	s_and_saveexec_b32 s3, vcc_lo
	s_xor_b32 s3, exec_lo, s3
; %bb.87:
	v_bfe_u32 v3, v67, 16, 1
	s_delay_alu instid0(VALU_DEP_1)
	v_add3_u32 v3, v67, v3, 0x7fff
; %bb.88:
	s_and_not1_saveexec_b32 s3, s3
; %bb.89:
	v_and_b32_e32 v3, 0xffff, v67
	v_or_b32_e32 v4, 0x10000, v67
	s_delay_alu instid0(VALU_DEP_2) | instskip(NEXT) | instid1(VALU_DEP_2)
	v_cmp_eq_u32_e32 vcc_lo, 0, v3
	v_cndmask_b32_e32 v3, v4, v67, vcc_lo
; %bb.90:
	s_or_b32 exec_lo, exec_lo, s3
	v_and_b32_e32 v4, 0x7f800000, v68
	s_delay_alu instid0(VALU_DEP_1) | instskip(SKIP_1) | instid1(SALU_CYCLE_1)
	v_cmp_ne_u32_e32 vcc_lo, 0x7f800000, v4
                                        ; implicit-def: $vgpr4
	s_and_saveexec_b32 s3, vcc_lo
	s_xor_b32 s3, exec_lo, s3
; %bb.91:
	v_bfe_u32 v4, v68, 16, 1
	s_delay_alu instid0(VALU_DEP_1)
	v_add3_u32 v4, v68, v4, 0x7fff
; %bb.92:
	s_and_not1_saveexec_b32 s3, s3
; %bb.93:
	v_and_b32_e32 v4, 0xffff, v68
	v_or_b32_e32 v5, 0x10000, v68
	s_delay_alu instid0(VALU_DEP_2) | instskip(NEXT) | instid1(VALU_DEP_2)
	v_cmp_eq_u32_e32 vcc_lo, 0, v4
	v_cndmask_b32_e32 v4, v5, v68, vcc_lo
; %bb.94:
	s_or_b32 exec_lo, exec_lo, s3
	v_and_b32_e32 v5, 0x7f800000, v69
	s_delay_alu instid0(VALU_DEP_1) | instskip(SKIP_1) | instid1(SALU_CYCLE_1)
	v_cmp_ne_u32_e32 vcc_lo, 0x7f800000, v5
                                        ; implicit-def: $vgpr5
	s_and_saveexec_b32 s3, vcc_lo
	s_xor_b32 s3, exec_lo, s3
; %bb.95:
	v_bfe_u32 v5, v69, 16, 1
	s_delay_alu instid0(VALU_DEP_1)
	v_add3_u32 v5, v69, v5, 0x7fff
; %bb.96:
	s_and_not1_saveexec_b32 s3, s3
; %bb.97:
	v_and_b32_e32 v5, 0xffff, v69
	v_or_b32_e32 v6, 0x10000, v69
	s_delay_alu instid0(VALU_DEP_2) | instskip(NEXT) | instid1(VALU_DEP_2)
	v_cmp_eq_u32_e32 vcc_lo, 0, v5
	v_cndmask_b32_e32 v5, v6, v69, vcc_lo
; %bb.98:
	s_or_b32 exec_lo, exec_lo, s3
	v_and_b32_e32 v6, 0x7f800000, v70
	s_delay_alu instid0(VALU_DEP_1) | instskip(SKIP_1) | instid1(SALU_CYCLE_1)
	v_cmp_ne_u32_e32 vcc_lo, 0x7f800000, v6
                                        ; implicit-def: $vgpr6
	s_and_saveexec_b32 s3, vcc_lo
	s_xor_b32 s3, exec_lo, s3
; %bb.99:
	v_bfe_u32 v6, v70, 16, 1
	s_delay_alu instid0(VALU_DEP_1)
	v_add3_u32 v6, v70, v6, 0x7fff
; %bb.100:
	s_and_not1_saveexec_b32 s3, s3
; %bb.101:
	v_and_b32_e32 v6, 0xffff, v70
	v_or_b32_e32 v7, 0x10000, v70
	s_delay_alu instid0(VALU_DEP_2) | instskip(NEXT) | instid1(VALU_DEP_2)
	v_cmp_eq_u32_e32 vcc_lo, 0, v6
	v_cndmask_b32_e32 v6, v7, v70, vcc_lo
; %bb.102:
	s_or_b32 exec_lo, exec_lo, s3
	v_and_b32_e32 v7, 0x7f800000, v71
	s_delay_alu instid0(VALU_DEP_1) | instskip(SKIP_1) | instid1(SALU_CYCLE_1)
	v_cmp_ne_u32_e32 vcc_lo, 0x7f800000, v7
                                        ; implicit-def: $vgpr7
	s_and_saveexec_b32 s3, vcc_lo
	s_xor_b32 s3, exec_lo, s3
; %bb.103:
	v_bfe_u32 v7, v71, 16, 1
	s_delay_alu instid0(VALU_DEP_1)
	v_add3_u32 v7, v71, v7, 0x7fff
; %bb.104:
	s_and_not1_saveexec_b32 s3, s3
; %bb.105:
	v_and_b32_e32 v7, 0xffff, v71
	v_or_b32_e32 v8, 0x10000, v71
	s_delay_alu instid0(VALU_DEP_2) | instskip(NEXT) | instid1(VALU_DEP_2)
	v_cmp_eq_u32_e32 vcc_lo, 0, v7
	v_cndmask_b32_e32 v7, v8, v71, vcc_lo
; %bb.106:
	s_or_b32 exec_lo, exec_lo, s3
	v_and_b32_e32 v8, 0x7f800000, v72
	s_delay_alu instid0(VALU_DEP_1) | instskip(SKIP_1) | instid1(SALU_CYCLE_1)
	v_cmp_ne_u32_e32 vcc_lo, 0x7f800000, v8
                                        ; implicit-def: $vgpr8
	s_and_saveexec_b32 s3, vcc_lo
	s_xor_b32 s3, exec_lo, s3
; %bb.107:
	v_bfe_u32 v8, v72, 16, 1
	s_delay_alu instid0(VALU_DEP_1)
	v_add3_u32 v8, v72, v8, 0x7fff
                                        ; implicit-def: $vgpr65_vgpr66_vgpr67_vgpr68_vgpr69_vgpr70_vgpr71_vgpr72
; %bb.108:
	s_and_not1_saveexec_b32 s3, s3
; %bb.109:
	v_and_b32_e32 v8, 0xffff, v72
	v_or_b32_e32 v9, 0x10000, v72
	s_delay_alu instid0(VALU_DEP_2) | instskip(NEXT) | instid1(VALU_DEP_2)
	v_cmp_eq_u32_e32 vcc_lo, 0, v8
	v_cndmask_b32_e32 v8, v9, v72, vcc_lo
; %bb.110:
	s_or_b32 exec_lo, exec_lo, s3
	s_delay_alu instid0(VALU_DEP_1)
	v_perm_b32 v7, v8, v7, 0x7060302
	v_perm_b32 v6, v6, v5, 0x7060302
	;; [unrolled: 1-line block ×4, first 2 shown]
	s_barrier
	buffer_gl0_inv
	v_cmp_eq_u32_e32 vcc_lo, 1, v78
	ds_store_b128 v76, v[4:7]
	s_waitcnt lgkmcnt(0)
	s_barrier
	buffer_gl0_inv
	ds_load_b128 v[1:4], v82
	ds_load_b128 v[5:8], v82 offset:16
	v_cmp_eq_u32_e64 s3, 1, v79
	v_cmp_eq_u32_e64 s4, 2, v78
	;; [unrolled: 1-line block ×5, first 2 shown]
	s_waitcnt lgkmcnt(1)
	v_lshrrev_b32_e32 v9, 16, v1
	s_waitcnt lgkmcnt(0)
	v_lshrrev_b32_e32 v13, 16, v5
	v_lshrrev_b32_e32 v10, 16, v2
	;; [unrolled: 1-line block ×4, first 2 shown]
	v_cndmask_b32_e64 v19, v1, v9, s3
	v_cndmask_b32_e32 v18, v5, v13, vcc_lo
	v_cndmask_b32_e64 v20, v5, v13, s3
	v_cndmask_b32_e32 v17, v1, v9, vcc_lo
	v_cmp_eq_u32_e32 vcc_lo, 2, v79
	v_lshrrev_b32_e32 v15, 16, v7
	v_cmp_eq_u32_e64 s3, 1, v77
	v_lshrrev_b32_e32 v12, 16, v4
	v_lshrrev_b32_e32 v16, 16, v8
	v_cndmask_b32_e32 v20, v20, v6, vcc_lo
	v_cndmask_b32_e64 v17, v17, v2, s4
	v_cndmask_b32_e32 v19, v19, v2, vcc_lo
	v_cndmask_b32_e64 v18, v18, v6, s4
	v_cmp_eq_u32_e32 vcc_lo, 4, v78
	v_cmp_eq_u32_e64 s4, 3, v79
	v_cndmask_b32_e64 v17, v17, v10, s5
	v_cndmask_b32_e64 v21, v1, v9, s3
	;; [unrolled: 1-line block ×5, first 2 shown]
	v_cndmask_b32_e32 v17, v17, v3, vcc_lo
	v_cndmask_b32_e64 v20, v20, v14, s4
	v_cndmask_b32_e32 v18, v18, v7, vcc_lo
	v_cmp_eq_u32_e32 vcc_lo, 4, v79
	v_cmp_eq_u32_e64 s4, 5, v79
	v_cmp_eq_u32_e64 s3, 2, v81
	v_cndmask_b32_e64 v21, v21, v2, s7
	v_cmp_eq_u32_e64 s5, 5, v78
	v_cndmask_b32_e32 v19, v19, v3, vcc_lo
	v_cndmask_b32_e32 v20, v20, v7, vcc_lo
	v_cmp_eq_u32_e32 vcc_lo, 6, v79
	s_delay_alu instid0(VALU_DEP_4) | instskip(NEXT) | instid1(VALU_DEP_4)
	v_cndmask_b32_e64 v17, v17, v11, s5
	v_cndmask_b32_e64 v19, v19, v11, s4
	s_delay_alu instid0(VALU_DEP_4) | instskip(SKIP_1) | instid1(VALU_DEP_3)
	v_cndmask_b32_e64 v20, v20, v15, s4
	v_cmp_eq_u32_e64 s4, 1, v81
	v_cndmask_b32_e32 v19, v19, v4, vcc_lo
	v_cndmask_b32_e64 v18, v18, v15, s5
	s_delay_alu instid0(VALU_DEP_3)
	v_cndmask_b32_e64 v1, v1, v9, s4
	v_cndmask_b32_e64 v5, v5, v13, s4
	v_cmp_eq_u32_e64 s4, 3, v77
	v_cndmask_b32_e64 v13, v22, v6, s7
	v_cmp_eq_u32_e64 s7, 3, v81
	v_cndmask_b32_e64 v1, v1, v2, s3
	v_cndmask_b32_e64 v2, v5, v6, s3
	;; [unrolled: 1-line block ×3, first 2 shown]
	v_cmp_eq_u32_e64 s3, 4, v77
	v_cndmask_b32_e64 v6, v13, v14, s4
	v_cndmask_b32_e64 v1, v1, v10, s7
	v_cmp_eq_u32_e64 s4, 4, v81
	v_cndmask_b32_e64 v2, v2, v14, s7
	v_cndmask_b32_e64 v5, v9, v3, s3
	;; [unrolled: 3-line block ×3, first 2 shown]
	v_cndmask_b32_e64 v2, v2, v7, s4
	v_cmp_eq_u32_e64 s3, 5, v81
	v_cmp_eq_u32_e64 s5, 6, v78
	v_cndmask_b32_e64 v5, v5, v11, s7
	v_cmp_eq_u32_e64 s4, 6, v77
	v_cndmask_b32_e64 v3, v6, v15, s7
	v_cndmask_b32_e64 v1, v1, v11, s3
	v_cmp_eq_u32_e64 s7, 6, v81
	v_cndmask_b32_e64 v2, v2, v15, s3
	v_cndmask_b32_e64 v17, v17, v4, s5
	v_cndmask_b32_e64 v18, v18, v8, s5
	v_cmp_eq_u32_e64 s5, 7, v78
	v_cndmask_b32_e64 v5, v5, v4, s4
	v_cndmask_b32_e64 v3, v3, v8, s4
	v_cndmask_b32_e64 v1, v1, v4, s7
	v_cmp_eq_u32_e64 s3, 7, v81
	v_cndmask_b32_e64 v2, v2, v8, s7
	v_cmp_eq_u32_e64 s4, 7, v77
	v_cndmask_b32_e32 v4, v20, v8, vcc_lo
	v_cndmask_b32_e64 v17, v17, v12, s5
	v_cndmask_b32_e64 v19, v19, v12, s6
	;; [unrolled: 1-line block ×8, first 2 shown]
	v_cmp_gt_u32_e32 vcc_lo, 32, v0
	v_perm_b32 v4, v2, v1, 0x5040100
	v_perm_b32 v3, v3, v5, 0x5040100
	;; [unrolled: 1-line block ×4, first 2 shown]
	s_and_b32 s2, vcc_lo, s2
	ds_store_b128 v76, v[1:4]
	s_waitcnt lgkmcnt(0)
	s_barrier
	buffer_gl0_inv
	s_and_saveexec_b32 s3, s2
	s_cbranch_execz .LBB1705_2
; %bb.111:
	s_load_b64 s[0:1], s[0:1], 0x68
	v_lshlrev_b32_e32 v0, 10, v0
	s_lshl_b32 s4, s34, 6
	v_or_b32_e32 v3, s31, v74
	s_mul_i32 s2, s4, s30
	v_lshlrev_b32_e32 v1, 4, v75
	s_mul_i32 s2, s2, s8
	v_lshlrev_b32_e32 v2, 6, v74
	v_and_b32_e32 v0, 0x3800, v0
	s_ashr_i32 s3, s2, 31
	v_mul_lo_u32 v4, v3, s4
	s_lshl_b64 s[2:3], s[2:3], 1
	s_delay_alu instid0(VALU_DEP_2) | instskip(NEXT) | instid1(VALU_DEP_2)
	v_or3_b32 v16, v0, v1, v2
	v_ashrrev_i32_e32 v5, 31, v4
	ds_load_b128 v[0:3], v16
	s_waitcnt lgkmcnt(0)
	s_add_u32 s2, s0, s2
	s_addc_u32 s3, s1, s3
	s_lshl_b32 s0, s14, 6
	v_lshlrev_b64 v[5:6], 1, v[4:5]
	s_ashr_i32 s1, s0, 31
	s_delay_alu instid0(SALU_CYCLE_1) | instskip(NEXT) | instid1(SALU_CYCLE_1)
	s_lshl_b64 s[0:1], s[0:1], 1
	s_add_u32 s0, s2, s0
	s_addc_u32 s1, s3, s1
	s_lshl_b32 s2, s34, 7
	v_add_co_u32 v30, s0, s0, v73
	v_add_nc_u32_e32 v8, s2, v4
	v_add_co_ci_u32_e64 v31, null, s1, 0, s0
	s_delay_alu instid0(VALU_DEP_3) | instskip(NEXT) | instid1(VALU_DEP_3)
	v_add_co_u32 v12, vcc_lo, v30, v5
	v_add_nc_u32_e32 v10, s2, v8
	v_ashrrev_i32_e32 v9, 31, v8
	s_delay_alu instid0(VALU_DEP_4)
	v_add_co_ci_u32_e32 v13, vcc_lo, v31, v6, vcc_lo
	ds_load_b128 v[4:7], v16 offset:128
	v_ashrrev_i32_e32 v11, 31, v10
	v_lshlrev_b64 v[8:9], 1, v[8:9]
	v_add_nc_u32_e32 v14, s2, v10
	global_store_b128 v[12:13], v[0:3], off
	v_lshlrev_b64 v[0:1], 1, v[10:11]
	v_ashrrev_i32_e32 v15, 31, v14
	v_add_co_u32 v22, vcc_lo, v30, v8
	v_add_nc_u32_e32 v20, s2, v14
	v_add_co_ci_u32_e32 v23, vcc_lo, v31, v9, vcc_lo
	v_add_co_u32 v26, vcc_lo, v30, v0
	v_lshlrev_b64 v[24:25], 1, v[14:15]
	v_add_co_ci_u32_e32 v27, vcc_lo, v31, v1, vcc_lo
	ds_load_b128 v[0:3], v16 offset:256
	ds_load_b128 v[8:11], v16 offset:384
	;; [unrolled: 1-line block ×4, first 2 shown]
	v_add_nc_u32_e32 v28, s2, v20
	v_ashrrev_i32_e32 v21, 31, v20
	v_add_co_u32 v24, vcc_lo, v30, v24
	v_add_co_ci_u32_e32 v25, vcc_lo, v31, v25, vcc_lo
	s_delay_alu instid0(VALU_DEP_4) | instskip(NEXT) | instid1(VALU_DEP_4)
	v_ashrrev_i32_e32 v29, 31, v28
	v_lshlrev_b64 v[20:21], 1, v[20:21]
	s_delay_alu instid0(VALU_DEP_2) | instskip(NEXT) | instid1(VALU_DEP_2)
	v_lshlrev_b64 v[28:29], 1, v[28:29]
	v_add_co_u32 v20, vcc_lo, v30, v20
	s_delay_alu instid0(VALU_DEP_3) | instskip(NEXT) | instid1(VALU_DEP_3)
	v_add_co_ci_u32_e32 v21, vcc_lo, v31, v21, vcc_lo
	v_add_co_u32 v28, vcc_lo, v30, v28
	s_delay_alu instid0(VALU_DEP_4)
	v_add_co_ci_u32_e32 v29, vcc_lo, v31, v29, vcc_lo
	s_waitcnt lgkmcnt(4)
	global_store_b128 v[22:23], v[4:7], off
	s_waitcnt lgkmcnt(3)
	global_store_b128 v[26:27], v[0:3], off
	s_waitcnt lgkmcnt(2)
	global_store_b128 v[24:25], v[8:11], off
	s_waitcnt lgkmcnt(1)
	global_store_b128 v[20:21], v[12:15], off
	s_waitcnt lgkmcnt(0)
	global_store_b128 v[28:29], v[16:19], off
	s_nop 0
	s_sendmsg sendmsg(MSG_DEALLOC_VGPRS)
	s_endpgm
	.section	.rodata,"a",@progbits
	.p2align	6, 0x0
	.amdhsa_kernel _Z39paged_attention_ll4mi_QKV_mfma16_kernelI14__hip_bfloat16hLN4vllm18Fp8KVCacheDataTypeE1ES0_Li16ELi64ELi256ELb1ELi12EL8MFMAType0EEvPKT_PKT0_S9_ifPKiSB_SB_iPKfiiiPfSE_PS4_PT2_iSD_SD_
		.amdhsa_group_segment_fixed_size 17472
		.amdhsa_private_segment_fixed_size 0
		.amdhsa_kernarg_size 400
		.amdhsa_user_sgpr_count 13
		.amdhsa_user_sgpr_dispatch_ptr 0
		.amdhsa_user_sgpr_queue_ptr 0
		.amdhsa_user_sgpr_kernarg_segment_ptr 1
		.amdhsa_user_sgpr_dispatch_id 0
		.amdhsa_user_sgpr_private_segment_size 0
		.amdhsa_wavefront_size32 1
		.amdhsa_uses_dynamic_stack 0
		.amdhsa_enable_private_segment 0
		.amdhsa_system_sgpr_workgroup_id_x 1
		.amdhsa_system_sgpr_workgroup_id_y 1
		.amdhsa_system_sgpr_workgroup_id_z 1
		.amdhsa_system_sgpr_workgroup_info 0
		.amdhsa_system_vgpr_workitem_id 0
		.amdhsa_next_free_vgpr 124
		.amdhsa_next_free_sgpr 38
		.amdhsa_reserve_vcc 1
		.amdhsa_float_round_mode_32 0
		.amdhsa_float_round_mode_16_64 0
		.amdhsa_float_denorm_mode_32 3
		.amdhsa_float_denorm_mode_16_64 3
		.amdhsa_dx10_clamp 1
		.amdhsa_ieee_mode 1
		.amdhsa_fp16_overflow 0
		.amdhsa_workgroup_processor_mode 1
		.amdhsa_memory_ordered 1
		.amdhsa_forward_progress 0
		.amdhsa_shared_vgpr_count 0
		.amdhsa_exception_fp_ieee_invalid_op 0
		.amdhsa_exception_fp_denorm_src 0
		.amdhsa_exception_fp_ieee_div_zero 0
		.amdhsa_exception_fp_ieee_overflow 0
		.amdhsa_exception_fp_ieee_underflow 0
		.amdhsa_exception_fp_ieee_inexact 0
		.amdhsa_exception_int_div_zero 0
	.end_amdhsa_kernel
	.section	.text._Z39paged_attention_ll4mi_QKV_mfma16_kernelI14__hip_bfloat16hLN4vllm18Fp8KVCacheDataTypeE1ES0_Li16ELi64ELi256ELb1ELi12EL8MFMAType0EEvPKT_PKT0_S9_ifPKiSB_SB_iPKfiiiPfSE_PS4_PT2_iSD_SD_,"axG",@progbits,_Z39paged_attention_ll4mi_QKV_mfma16_kernelI14__hip_bfloat16hLN4vllm18Fp8KVCacheDataTypeE1ES0_Li16ELi64ELi256ELb1ELi12EL8MFMAType0EEvPKT_PKT0_S9_ifPKiSB_SB_iPKfiiiPfSE_PS4_PT2_iSD_SD_,comdat
.Lfunc_end1705:
	.size	_Z39paged_attention_ll4mi_QKV_mfma16_kernelI14__hip_bfloat16hLN4vllm18Fp8KVCacheDataTypeE1ES0_Li16ELi64ELi256ELb1ELi12EL8MFMAType0EEvPKT_PKT0_S9_ifPKiSB_SB_iPKfiiiPfSE_PS4_PT2_iSD_SD_, .Lfunc_end1705-_Z39paged_attention_ll4mi_QKV_mfma16_kernelI14__hip_bfloat16hLN4vllm18Fp8KVCacheDataTypeE1ES0_Li16ELi64ELi256ELb1ELi12EL8MFMAType0EEvPKT_PKT0_S9_ifPKiSB_SB_iPKfiiiPfSE_PS4_PT2_iSD_SD_
                                        ; -- End function
	.section	.AMDGPU.csdata,"",@progbits
; Kernel info:
; codeLenInByte = 8808
; NumSgprs: 40
; NumVgprs: 124
; ScratchSize: 0
; MemoryBound: 0
; FloatMode: 240
; IeeeMode: 1
; LDSByteSize: 17472 bytes/workgroup (compile time only)
; SGPRBlocks: 4
; VGPRBlocks: 15
; NumSGPRsForWavesPerEU: 40
; NumVGPRsForWavesPerEU: 124
; Occupancy: 10
; WaveLimiterHint : 1
; COMPUTE_PGM_RSRC2:SCRATCH_EN: 0
; COMPUTE_PGM_RSRC2:USER_SGPR: 13
; COMPUTE_PGM_RSRC2:TRAP_HANDLER: 0
; COMPUTE_PGM_RSRC2:TGID_X_EN: 1
; COMPUTE_PGM_RSRC2:TGID_Y_EN: 1
; COMPUTE_PGM_RSRC2:TGID_Z_EN: 1
; COMPUTE_PGM_RSRC2:TIDIG_COMP_CNT: 0
	.section	.text._Z39paged_attention_ll4mi_QKV_mfma16_kernelI14__hip_bfloat16hLN4vllm18Fp8KVCacheDataTypeE1ES0_Li16ELi64ELi256ELb1ELi13EL8MFMAType0EEvPKT_PKT0_S9_ifPKiSB_SB_iPKfiiiPfSE_PS4_PT2_iSD_SD_,"axG",@progbits,_Z39paged_attention_ll4mi_QKV_mfma16_kernelI14__hip_bfloat16hLN4vllm18Fp8KVCacheDataTypeE1ES0_Li16ELi64ELi256ELb1ELi13EL8MFMAType0EEvPKT_PKT0_S9_ifPKiSB_SB_iPKfiiiPfSE_PS4_PT2_iSD_SD_,comdat
	.protected	_Z39paged_attention_ll4mi_QKV_mfma16_kernelI14__hip_bfloat16hLN4vllm18Fp8KVCacheDataTypeE1ES0_Li16ELi64ELi256ELb1ELi13EL8MFMAType0EEvPKT_PKT0_S9_ifPKiSB_SB_iPKfiiiPfSE_PS4_PT2_iSD_SD_ ; -- Begin function _Z39paged_attention_ll4mi_QKV_mfma16_kernelI14__hip_bfloat16hLN4vllm18Fp8KVCacheDataTypeE1ES0_Li16ELi64ELi256ELb1ELi13EL8MFMAType0EEvPKT_PKT0_S9_ifPKiSB_SB_iPKfiiiPfSE_PS4_PT2_iSD_SD_
	.globl	_Z39paged_attention_ll4mi_QKV_mfma16_kernelI14__hip_bfloat16hLN4vllm18Fp8KVCacheDataTypeE1ES0_Li16ELi64ELi256ELb1ELi13EL8MFMAType0EEvPKT_PKT0_S9_ifPKiSB_SB_iPKfiiiPfSE_PS4_PT2_iSD_SD_
	.p2align	8
	.type	_Z39paged_attention_ll4mi_QKV_mfma16_kernelI14__hip_bfloat16hLN4vllm18Fp8KVCacheDataTypeE1ES0_Li16ELi64ELi256ELb1ELi13EL8MFMAType0EEvPKT_PKT0_S9_ifPKiSB_SB_iPKfiiiPfSE_PS4_PT2_iSD_SD_,@function
_Z39paged_attention_ll4mi_QKV_mfma16_kernelI14__hip_bfloat16hLN4vllm18Fp8KVCacheDataTypeE1ES0_Li16ELi64ELi256ELb1ELi13EL8MFMAType0EEvPKT_PKT0_S9_ifPKiSB_SB_iPKfiiiPfSE_PS4_PT2_iSD_SD_: ; @_Z39paged_attention_ll4mi_QKV_mfma16_kernelI14__hip_bfloat16hLN4vllm18Fp8KVCacheDataTypeE1ES0_Li16ELi64ELi256ELb1ELi13EL8MFMAType0EEvPKT_PKT0_S9_ifPKiSB_SB_iPKfiiiPfSE_PS4_PT2_iSD_SD_
; %bb.0:
	s_load_b64 s[2:3], s[0:1], 0x30
	s_mov_b32 s34, s13
	s_waitcnt lgkmcnt(0)
	s_cmp_lg_u64 s[2:3], 0
	s_cselect_b32 s8, -1, 0
	s_ashr_i32 s35, s13, 31
	s_cmp_eq_u64 s[2:3], 0
	s_cbranch_scc1 .LBB1706_3
; %bb.1:
	s_lshl_b64 s[4:5], s[34:35], 2
	s_delay_alu instid0(SALU_CYCLE_1) | instskip(SKIP_4) | instid1(SALU_CYCLE_1)
	s_add_u32 s4, s2, s4
	s_addc_u32 s5, s3, s5
	s_load_b64 s[4:5], s[4:5], 0x0
	s_waitcnt lgkmcnt(0)
	s_sub_i32 s4, s5, s4
	s_cmp_eq_u32 s4, 1
	s_cselect_b32 s4, -1, 0
	s_delay_alu instid0(SALU_CYCLE_1)
	s_and_not1_b32 vcc_lo, exec_lo, s4
	s_cbranch_vccz .LBB1706_4
.LBB1706_2:
	s_nop 0
	s_sendmsg sendmsg(MSG_DEALLOC_VGPRS)
	s_endpgm
.LBB1706_3:
.LBB1706_4:
	s_load_b64 s[4:5], s[0:1], 0x28
	s_lshl_b64 s[6:7], s[34:35], 2
	s_waitcnt lgkmcnt(0)
	s_add_u32 s4, s4, s6
	s_addc_u32 s5, s5, s7
	s_lshl_b32 s12, s14, 8
	s_load_b32 s24, s[4:5], 0x0
	s_waitcnt lgkmcnt(0)
	s_cmp_ge_i32 s12, s24
	s_cbranch_scc1 .LBB1706_2
; %bb.5:
	s_clause 0x1
	s_load_b128 s[20:23], s[0:1], 0x8
	s_load_b64 s[4:5], s[0:1], 0x20
	s_and_not1_b32 vcc_lo, exec_lo, s8
	s_cbranch_vccnz .LBB1706_7
; %bb.6:
	s_add_u32 s2, s2, s6
	s_addc_u32 s3, s3, s7
	s_load_b32 s3, s[2:3], 0x0
	s_branch .LBB1706_8
.LBB1706_7:
	s_mov_b32 s3, s34
.LBB1706_8:
	s_load_b128 s[16:19], s[0:1], 0x48
	v_lshrrev_b32_e32 v66, 5, v0
	v_bfe_u32 v74, v0, 4, 1
	v_and_b32_e32 v65, 15, v0
	v_and_b32_e32 v67, 31, v0
	;; [unrolled: 1-line block ×3, first 2 shown]
	s_mul_i32 s31, s15, 13
	v_lshl_or_b32 v1, v66, 1, v74
	v_lshlrev_b32_e32 v2, 3, v65
	v_cmp_gt_u32_e64 s2, 8, v65
	s_delay_alu instid0(VALU_DEP_3) | instskip(NEXT) | instid1(VALU_DEP_3)
	v_cmp_gt_u32_e32 vcc_lo, 13, v1
	v_lshlrev_b32_e32 v73, 1, v2
	s_delay_alu instid0(VALU_DEP_3) | instskip(NEXT) | instid1(SALU_CYCLE_1)
	s_and_b32 s7, s2, vcc_lo
	s_and_saveexec_b32 s6, s7
	s_cbranch_execz .LBB1706_10
; %bb.9:
	s_load_b64 s[8:9], s[0:1], 0x0
	v_add_lshl_u32 v2, v1, s31, 6
	s_waitcnt lgkmcnt(0)
	s_mul_hi_i32 s11, s3, s16
	s_mul_i32 s10, s3, s16
	v_lshlrev_b32_e32 v6, 10, v65
	s_lshl_b64 s[10:11], s[10:11], 1
	v_ashrrev_i32_e32 v3, 31, v2
	v_lshlrev_b32_e32 v1, 6, v1
	v_lshlrev_b32_e32 v7, 10, v75
	v_and_b32_e32 v6, 0x3800, v6
	s_delay_alu instid0(VALU_DEP_4) | instskip(NEXT) | instid1(VALU_DEP_2)
	v_lshlrev_b64 v[2:3], 1, v[2:3]
	v_or3_b32 v1, v6, v7, v1
	s_add_u32 s3, s8, s10
	s_addc_u32 s7, s9, s11
	s_delay_alu instid0(VALU_DEP_2) | instskip(NEXT) | instid1(VALU_DEP_3)
	v_add_co_u32 v2, vcc_lo, s3, v2
	v_add_co_ci_u32_e32 v3, vcc_lo, s7, v3, vcc_lo
	s_delay_alu instid0(VALU_DEP_2) | instskip(NEXT) | instid1(VALU_DEP_2)
	v_add_co_u32 v2, vcc_lo, v2, v73
	v_add_co_ci_u32_e32 v3, vcc_lo, 0, v3, vcc_lo
	global_load_b128 v[2:5], v[2:3], off
	s_waitcnt vmcnt(0)
	ds_store_b128 v1, v[2:5]
.LBB1706_10:
	s_or_b32 exec_lo, exec_lo, s6
	v_and_b32_e32 v1, 0xef, v0
	s_waitcnt lgkmcnt(0)
	s_add_i32 s3, s24, 15
	s_clause 0x1
	s_load_b32 s6, s[0:1], 0x38
	s_load_b32 s19, s[0:1], 0x1c
	s_ashr_i32 s7, s3, 31
	v_add_nc_u32_e32 v1, s12, v1
	s_lshr_b32 s7, s7, 28
	s_waitcnt lgkmcnt(0)
	s_add_i32 s3, s3, s7
	s_barrier
	v_ashrrev_i32_e32 v2, 31, v1
	v_or_b32_e32 v3, 16, v1
	s_ashr_i32 s3, s3, 4
	v_cmp_gt_i32_e32 vcc_lo, s24, v1
	s_add_i32 s3, s3, -1
	v_lshrrev_b32_e32 v2, 28, v2
	buffer_gl0_inv
	s_mul_i32 s27, s15, s18
	v_add_nc_u32_e32 v4, v1, v2
	s_mul_i32 s6, s34, s6
	s_delay_alu instid0(SALU_CYCLE_1) | instskip(NEXT) | instid1(VALU_DEP_1)
	s_ashr_i32 s7, s6, 31
	v_ashrrev_i32_e32 v4, 4, v4
	v_add_nc_u32_e32 v2, v3, v2
	s_lshl_b64 s[6:7], s[6:7], 2
	s_delay_alu instid0(SALU_CYCLE_1) | instskip(NEXT) | instid1(VALU_DEP_2)
	s_add_u32 s26, s4, s6
	v_cndmask_b32_e32 v1, s3, v4, vcc_lo
	s_delay_alu instid0(VALU_DEP_2)
	v_ashrrev_i32_e32 v2, 4, v2
	v_cmp_gt_i32_e32 vcc_lo, s24, v3
	s_addc_u32 s25, s5, s7
	s_ashr_i32 s28, s27, 31
	s_add_u32 s13, s20, s27
	s_addc_u32 s15, s21, s28
	v_cndmask_b32_e32 v3, s3, v2, vcc_lo
	v_ashrrev_i32_e32 v2, 31, v1
	s_lshl_b32 s4, s14, 4
	s_delay_alu instid0(SALU_CYCLE_1) | instskip(NEXT) | instid1(VALU_DEP_2)
	s_ashr_i32 s5, s4, 31
	v_ashrrev_i32_e32 v4, 31, v3
	s_delay_alu instid0(VALU_DEP_2) | instskip(SKIP_1) | instid1(SALU_CYCLE_1)
	v_lshlrev_b64 v[1:2], 2, v[1:2]
	s_lshl_b64 s[4:5], s[4:5], 2
	s_add_u32 s4, s26, s4
	s_delay_alu instid0(VALU_DEP_2) | instskip(SKIP_1) | instid1(VALU_DEP_2)
	v_lshlrev_b64 v[3:4], 2, v[3:4]
	s_addc_u32 s5, s25, s5
	v_add_co_u32 v1, vcc_lo, s26, v1
	v_add_co_ci_u32_e32 v2, vcc_lo, s25, v2, vcc_lo
	s_delay_alu instid0(VALU_DEP_3) | instskip(NEXT) | instid1(VALU_DEP_4)
	v_add_co_u32 v3, vcc_lo, s26, v3
	v_add_co_ci_u32_e32 v4, vcc_lo, s25, v4, vcc_lo
	s_clause 0x1
	global_load_b32 v5, v[1:2], off
	global_load_b32 v7, v[3:4], off
	s_or_b32 s6, s12, 32
	v_lshlrev_b32_e32 v1, 4, v0
	s_ashr_i32 s7, s6, 4
	s_cmp_lt_i32 s6, s24
	v_cmp_gt_u32_e32 vcc_lo, 13, v65
	s_cselect_b32 s6, s7, s3
	v_and_b32_e32 v1, 0xf0, v1
	s_ashr_i32 s7, s6, 31
	s_delay_alu instid0(SALU_CYCLE_1) | instskip(NEXT) | instid1(SALU_CYCLE_1)
	s_lshl_b64 s[6:7], s[6:7], 2
	s_add_u32 s6, s26, s6
	s_addc_u32 s7, s25, s7
	s_or_b32 s8, s12, 64
	v_add_co_u32 v1, s13, s13, v1
	s_ashr_i32 s9, s8, 4
	s_cmp_lt_i32 s8, s24
	v_add_co_ci_u32_e64 v2, null, s15, 0, s13
	s_cselect_b32 s8, s9, s3
	s_delay_alu instid0(SALU_CYCLE_1) | instskip(NEXT) | instid1(SALU_CYCLE_1)
	s_ashr_i32 s9, s8, 31
	s_lshl_b64 s[8:9], s[8:9], 2
	s_delay_alu instid0(SALU_CYCLE_1) | instskip(SKIP_2) | instid1(SALU_CYCLE_1)
	s_add_u32 s8, s26, s8
	s_addc_u32 s9, s25, s9
	s_or_b32 s10, s12, 0x60
	s_ashr_i32 s11, s10, 4
	s_cmp_lt_i32 s10, s24
	s_cselect_b32 s10, s11, s3
	s_delay_alu instid0(SALU_CYCLE_1) | instskip(NEXT) | instid1(SALU_CYCLE_1)
	s_ashr_i32 s11, s10, 31
	s_lshl_b64 s[10:11], s[10:11], 2
	s_delay_alu instid0(SALU_CYCLE_1) | instskip(SKIP_2) | instid1(SALU_CYCLE_1)
	s_add_u32 s10, s26, s10
	s_addc_u32 s11, s25, s11
	s_or_b32 s16, s12, 0x80
	s_ashr_i32 s18, s16, 4
	s_cmp_lt_i32 s16, s24
	;; [unrolled: 10-line block ×3, first 2 shown]
	s_cselect_b32 s20, s18, s3
	s_delay_alu instid0(SALU_CYCLE_1) | instskip(NEXT) | instid1(SALU_CYCLE_1)
	s_ashr_i32 s21, s20, 31
	s_lshl_b64 s[20:21], s[20:21], 2
	s_delay_alu instid0(SALU_CYCLE_1)
	s_add_u32 s38, s26, s20
	s_addc_u32 s39, s25, s21
	s_clause 0x5
	s_load_b32 s21, s[4:5], 0x0
	s_load_b32 s13, s[6:7], 0x0
	;; [unrolled: 1-line block ×6, first 2 shown]
	s_or_b32 s8, s12, 0xc0
	s_mov_b32 s4, 0
	s_ashr_i32 s9, s8, 4
	s_cmp_lt_i32 s8, s24
	s_mov_b32 s11, s4
	s_cselect_b32 s36, s9, s3
	s_mov_b32 s5, s4
	s_ashr_i32 s37, s36, 31
	s_mov_b32 s6, s4
	s_lshl_b64 s[36:37], s[36:37], 2
	s_mov_b32 s7, s4
	s_add_u32 s36, s26, s36
	s_addc_u32 s37, s25, s37
	s_or_b32 s29, s12, 0xe0
	s_mov_b32 s8, s4
	s_ashr_i32 s30, s29, 4
	s_mov_b32 s9, s4
	s_mov_b32 s10, s4
	s_cmp_lt_i32 s29, s24
	v_dual_mov_b32 v107, s11 :: v_dual_mov_b32 v100, s4
	v_mov_b32_e32 v106, s10
	v_dual_mov_b32 v104, s8 :: v_dual_mov_b32 v103, s7
	v_dual_mov_b32 v102, s6 :: v_dual_mov_b32 v101, s5
	s_waitcnt vmcnt(1)
	v_mad_i64_i32 v[3:4], null, v5, s17, v[1:2]
	s_waitcnt vmcnt(0)
	v_mad_i64_i32 v[5:6], null, v7, s17, v[1:2]
	v_add_nc_u32_e32 v1, -13, v65
	v_lshlrev_b32_e32 v2, 4, v65
	s_clause 0x7
	global_load_b128 v[49:52], v[3:4], off
	global_load_b128 v[53:56], v[3:4], off offset:256
	global_load_b128 v[76:79], v[5:6], off
	global_load_b128 v[80:83], v[5:6], off offset:256
	global_load_b128 v[84:87], v[3:4], off offset:512
	global_load_b128 v[88:91], v[3:4], off offset:768
	global_load_b128 v[92:95], v[5:6], off offset:512
	global_load_b128 v[96:99], v[5:6], off offset:768
	v_cndmask_b32_e32 v1, v1, v65, vcc_lo
	v_mov_b32_e32 v105, s9
	s_cselect_b32 s4, s30, s3
	v_lshl_or_b32 v2, v66, 8, v2
	s_ashr_i32 s5, s4, 31
	v_lshlrev_b32_e32 v70, 6, v1
	s_lshl_b64 s[4:5], s[4:5], 2
	s_load_b32 s3, s[36:37], 0x0
	s_add_u32 s4, s26, s4
	s_addc_u32 s5, s25, s5
	ds_load_b128 v[108:111], v70
	ds_load_b128 v[112:115], v70 offset:1024
	s_load_b32 s4, s[4:5], 0x0
	s_add_u32 s6, s22, s27
	s_addc_u32 s7, s23, s28
	v_add_co_u32 v9, s6, s6, v2
	s_delay_alu instid0(VALU_DEP_1) | instskip(SKIP_1) | instid1(VALU_DEP_1)
	v_add_co_ci_u32_e64 v10, null, s7, 0, s6
	s_waitcnt lgkmcnt(0)
	v_mad_i64_i32 v[1:2], null, s21, s17, v[9:10]
	v_mad_i64_i32 v[3:4], null, s13, s17, v[9:10]
	v_mad_i64_i32 v[5:6], null, s15, s17, v[9:10]
	v_mad_i64_i32 v[7:8], null, s16, s17, v[9:10]
	v_mad_i64_i32 v[13:14], null, s20, s17, v[9:10]
	v_mad_i64_i32 v[11:12], null, s18, s17, v[9:10]
	v_mad_i64_i32 v[21:22], null, s3, s17, v[9:10]
	s_clause 0x9
	global_load_b128 v[57:60], v[1:2], off
	global_load_b128 v[61:64], v[1:2], off offset:16
	global_load_b128 v[41:44], v[3:4], off
	global_load_b128 v[45:48], v[3:4], off offset:16
	;; [unrolled: 2-line block ×5, first 2 shown]
	v_mad_i64_i32 v[68:69], null, s4, s17, v[9:10]
	s_clause 0x3
	global_load_b128 v[9:12], v[13:14], off
	global_load_b128 v[13:16], v[13:14], off offset:16
	global_load_b128 v[17:20], v[21:22], off
	global_load_b128 v[21:24], v[21:22], off offset:16
	s_waitcnt vmcnt(20)
	v_wmma_f32_16x16x16_bf16 v[116:123], v[49:56], v[108:115], v[100:107]
	s_clause 0x1
	global_load_b128 v[49:52], v[68:69], off
	global_load_b128 v[53:56], v[68:69], off offset:16
	v_and_b32_e32 v68, 0xe0, v0
	v_mbcnt_lo_u32_b32 v69, -1, 0
	s_delay_alu instid0(VALU_DEP_2)
	v_add_nc_u32_e32 v68, s12, v68
	s_waitcnt vmcnt(20)
	v_wmma_f32_16x16x16_bf16 v[100:107], v[76:83], v[108:115], v[100:107]
	ds_load_b128 v[76:79], v70 offset:2048
	ds_load_b128 v[80:83], v70 offset:3072
	v_xor_b32_e32 v70, 16, v69
	s_waitcnt vmcnt(0) lgkmcnt(0)
	v_or_b32_e32 v68, v68, v74
	s_barrier
	buffer_gl0_inv
	v_cmp_gt_i32_e32 vcc_lo, 32, v70
	v_or_b32_e32 v71, 4, v68
	v_or_b32_e32 v72, 6, v68
	v_cmp_gt_i32_e64 s3, s24, v68
	v_or_b32_e32 v108, 8, v68
	v_or_b32_e32 v109, 10, v68
	v_cmp_gt_i32_e64 s4, s24, v71
	v_cmp_gt_i32_e64 s5, s24, v72
	s_delay_alu instid0(VALU_DEP_4) | instskip(NEXT) | instid1(VALU_DEP_4)
	v_cmp_gt_i32_e64 s6, s24, v108
	v_cmp_gt_i32_e64 s7, s24, v109
	v_wmma_f32_16x16x16_bf16 v[116:123], v[84:91], v[76:83], v[116:123]
	v_cndmask_b32_e32 v69, v69, v70, vcc_lo
	v_or_b32_e32 v70, 2, v68
	v_wmma_f32_16x16x16_bf16 v[100:107], v[92:99], v[76:83], v[100:107]
	v_or_b32_e32 v89, 22, v68
	v_dual_mul_f32 v82, s19, v119 :: v_dual_mul_f32 v79, s19, v122
	v_dual_mul_f32 v92, s19, v117 :: v_dual_mul_f32 v93, s19, v116
	s_delay_alu instid0(VALU_DEP_4) | instskip(SKIP_2) | instid1(VALU_DEP_4)
	v_mul_f32_e32 v98, s19, v103
	v_cmp_gt_i32_e32 vcc_lo, s24, v70
	v_dual_mul_f32 v83, s19, v118 :: v_dual_mul_f32 v96, s19, v105
	v_cndmask_b32_e64 v93, 0xff7fffff, v93, s3
	v_or_b32_e32 v84, 12, v68
	v_cndmask_b32_e32 v92, 0xff7fffff, v92, vcc_lo
	v_or_b32_e32 v85, 14, v68
	v_dual_mul_f32 v80, s19, v121 :: v_dual_mul_f32 v81, s19, v120
	v_mul_f32_e32 v94, s19, v107
	v_cndmask_b32_e64 v71, 0xff7fffff, v83, s4
	v_cndmask_b32_e64 v72, 0xff7fffff, v82, s5
	v_cmp_gt_i32_e64 s13, s24, v89
	v_lshlrev_b32_e32 v89, 2, v69
	v_max3_f32 v82, v93, 0xff7fffff, v92
	v_or_b32_e32 v86, 16, v68
	v_or_b32_e32 v87, 18, v68
	v_mul_f32_e32 v78, s19, v123
	v_cndmask_b32_e64 v81, 0xff7fffff, v81, s6
	v_cndmask_b32_e64 v80, 0xff7fffff, v80, s7
	v_max3_f32 v71, v82, v71, v72
	v_cmp_gt_i32_e64 s8, s24, v84
	v_cmp_gt_i32_e64 s9, s24, v85
	v_or_b32_e32 v88, 20, v68
	v_or_b32_e32 v90, 24, v68
	;; [unrolled: 1-line block ×5, first 2 shown]
	v_dual_mul_f32 v95, s19, v106 :: v_dual_mul_f32 v70, s19, v101
	v_dual_mul_f32 v99, s19, v102 :: v_dual_mul_f32 v68, s19, v100
	v_cndmask_b32_e64 v72, 0xff7fffff, v79, s8
	v_cndmask_b32_e64 v78, 0xff7fffff, v78, s9
	v_max3_f32 v71, v71, v81, v80
	v_cmp_gt_i32_e64 s10, s24, v86
	v_cmp_gt_i32_e64 s11, s24, v87
	v_cmp_gt_i32_e64 s12, s24, v88
	v_mul_f32_e32 v97, s19, v104
	v_max3_f32 v71, v71, v72, v78
	v_cndmask_b32_e64 v68, 0xff7fffff, v68, s10
	v_cndmask_b32_e64 v70, 0xff7fffff, v70, s11
	;; [unrolled: 1-line block ×4, first 2 shown]
	v_cmp_gt_i32_e64 s15, s24, v90
	v_cmp_gt_i32_e64 s16, s24, v91
	v_max3_f32 v68, v71, v68, v70
	v_cmp_gt_i32_e64 s17, s24, v76
	v_cmp_gt_i32_e64 s18, s24, v77
	v_cndmask_b32_e64 v70, 0xff7fffff, v97, s15
	v_cndmask_b32_e64 v71, 0xff7fffff, v96, s16
	v_max3_f32 v68, v68, v72, v78
	v_cndmask_b32_e64 v72, 0xff7fffff, v95, s17
	v_cndmask_b32_e64 v76, 0xff7fffff, v94, s18
	s_delay_alu instid0(VALU_DEP_3) | instskip(NEXT) | instid1(VALU_DEP_1)
	v_max3_f32 v68, v68, v70, v71
	v_max3_f32 v68, v68, v72, v76
	ds_bpermute_b32 v69, v89, v68
	s_waitcnt lgkmcnt(0)
	v_max_f32_e32 v69, v69, v69
	s_delay_alu instid0(VALU_DEP_1) | instskip(NEXT) | instid1(VALU_DEP_1)
	v_max_f32_e32 v68, v68, v69
	v_fma_f32 v69, s19, v116, -v68
	v_fma_f32 v70, s19, v117, -v68
	;; [unrolled: 1-line block ×5, first 2 shown]
	s_delay_alu instid0(VALU_DEP_4) | instskip(NEXT) | instid1(VALU_DEP_4)
	v_dual_mul_f32 v69, 0x3fb8aa3b, v69 :: v_dual_mul_f32 v70, 0x3fb8aa3b, v70
	v_mul_f32_e32 v72, 0x3fb8aa3b, v72
	v_fma_f32 v78, s19, v122, -v68
	s_delay_alu instid0(VALU_DEP_4) | instskip(NEXT) | instid1(VALU_DEP_4)
	v_mul_f32_e32 v77, 0x3fb8aa3b, v76
	v_exp_f32_e32 v69, v69
	v_exp_f32_e32 v70, v70
	v_mul_f32_e32 v71, 0x3fb8aa3b, v71
	v_exp_f32_e32 v72, v72
	v_mul_f32_e32 v78, 0x3fb8aa3b, v78
	v_exp_f32_e32 v77, v77
	v_fma_f32 v81, s19, v105, -v68
	s_delay_alu instid0(VALU_DEP_2)
	v_exp_f32_e32 v78, v78
	v_cndmask_b32_e64 v80, 0, v69, s3
	v_cndmask_b32_e32 v76, 0, v70, vcc_lo
	v_exp_f32_e32 v71, v71
	v_fma_f32 v69, s19, v121, -v68
	v_cndmask_b32_e64 v85, 0, v72, s5
	v_add_f32_e32 v70, 0, v80
	s_delay_alu instid0(TRANS32_DEP_3)
	v_cndmask_b32_e64 v86, 0, v77, s6
	v_fma_f32 v77, s19, v101, -v68
	v_mul_f32_e32 v69, 0x3fb8aa3b, v69
	v_fma_f32 v72, s19, v100, -v68
	v_cndmask_b32_e64 v84, 0, v78, s8
	v_fma_f32 v78, s19, v103, -v68
	v_cndmask_b32_e64 v83, 0, v71, s4
	v_fma_f32 v71, s19, v123, -v68
	v_add_f32_e32 v70, v70, v76
	v_exp_f32_e32 v69, v69
	v_mul_f32_e32 v77, 0x3fb8aa3b, v77
	v_mul_f32_e32 v81, 0x3fb8aa3b, v81
	;; [unrolled: 1-line block ×3, first 2 shown]
	v_add_f32_e32 v70, v70, v83
	v_cmp_gt_u32_e64 s3, 16, v67
	v_exp_f32_e32 v77, v77
	v_exp_f32_e32 v81, v81
	;; [unrolled: 1-line block ×3, first 2 shown]
	v_cndmask_b32_e64 v87, 0, v69, s7
	v_add_f32_e32 v70, v70, v85
	s_delay_alu instid0(VALU_DEP_1) | instskip(SKIP_1) | instid1(VALU_DEP_2)
	v_dual_mul_f32 v72, 0x3fb8aa3b, v72 :: v_dual_add_f32 v69, v70, v86
	v_fma_f32 v70, s19, v102, -v68
	v_exp_f32_e32 v72, v72
	s_waitcnt_depctr 0xfff
	v_cndmask_b32_e64 v88, 0, v71, s9
	v_fma_f32 v71, s19, v104, -v68
	v_dual_add_f32 v69, v69, v87 :: v_dual_mul_f32 v70, 0x3fb8aa3b, v70
	s_delay_alu instid0(VALU_DEP_2) | instskip(NEXT) | instid1(VALU_DEP_2)
	v_dual_mul_f32 v78, 0x3fb8aa3b, v78 :: v_dual_mul_f32 v71, 0x3fb8aa3b, v71
	v_add_f32_e32 v69, v69, v84
	s_delay_alu instid0(VALU_DEP_3) | instskip(SKIP_1) | instid1(VALU_DEP_3)
	v_exp_f32_e32 v79, v70
	v_cndmask_b32_e64 v70, 0, v72, s10
	v_exp_f32_e32 v78, v78
	v_exp_f32_e32 v82, v71
	v_add_f32_e32 v72, v69, v88
	v_cndmask_b32_e64 v69, 0, v77, s11
	v_fma_f32 v77, s19, v106, -v68
	s_delay_alu instid0(VALU_DEP_3) | instskip(NEXT) | instid1(TRANS32_DEP_3)
	v_add_f32_e32 v72, v72, v70
	v_cndmask_b32_e64 v71, 0, v79, s12
	s_delay_alu instid0(VALU_DEP_3) | instskip(NEXT) | instid1(VALU_DEP_3)
	v_mul_f32_e32 v77, 0x3fb8aa3b, v77
	v_add_f32_e32 v79, v72, v69
	s_delay_alu instid0(TRANS32_DEP_2) | instskip(NEXT) | instid1(VALU_DEP_3)
	v_cndmask_b32_e64 v72, 0, v78, s13
	v_exp_f32_e32 v90, v77
	v_cndmask_b32_e64 v77, 0, v82, s15
	s_delay_alu instid0(VALU_DEP_3) | instskip(SKIP_1) | instid1(VALU_DEP_1)
	v_add_f32_e32 v78, v79, v71
	v_fma_f32 v79, s19, v107, -v68
	v_dual_add_f32 v82, v78, v72 :: v_dual_mul_f32 v79, 0x3fb8aa3b, v79
	v_cndmask_b32_e64 v78, 0, v81, s16
	s_delay_alu instid0(VALU_DEP_2) | instskip(NEXT) | instid1(VALU_DEP_3)
	v_add_f32_e32 v81, v82, v77
	v_exp_f32_e32 v82, v79
	s_delay_alu instid0(TRANS32_DEP_2) | instskip(NEXT) | instid1(VALU_DEP_2)
	v_cndmask_b32_e64 v79, 0, v90, s17
	v_add_f32_e32 v81, v81, v78
	s_delay_alu instid0(VALU_DEP_1) | instskip(SKIP_2) | instid1(VALU_DEP_1)
	v_add_f32_e32 v90, v81, v79
	s_waitcnt_depctr 0xfff
	v_cndmask_b32_e64 v81, 0, v82, s18
	v_add_f32_e32 v82, v90, v81
	ds_bpermute_b32 v89, v89, v82
	s_and_saveexec_b32 s4, s3
	s_cbranch_execz .LBB1706_12
; %bb.11:
	v_mul_u32_u24_e32 v67, 0x44, v66
	s_delay_alu instid0(VALU_DEP_1) | instskip(SKIP_1) | instid1(VALU_DEP_1)
	v_lshl_add_u32 v67, v65, 2, v67
	s_waitcnt lgkmcnt(0)
	v_dual_add_f32 v82, v82, v89 :: v_dual_add_nc_u32 v67, 0x4000, v67
	ds_store_2addr_b32 v67, v68, v82 offset1:136
.LBB1706_12:
	s_or_b32 exec_lo, exec_lo, s4
	v_lshlrev_b32_e32 v67, 2, v65
	s_waitcnt lgkmcnt(0)
	s_barrier
	buffer_gl0_inv
	v_cmp_eq_u32_e32 vcc_lo, 1, v66
	v_add_nc_u32_e32 v82, 0x4000, v67
	v_cmp_eq_u32_e64 s4, 2, v66
	v_cmp_eq_u32_e64 s6, 7, v66
	ds_load_2addr_b32 v[89:90], v82 offset1:17
	ds_load_2addr_b32 v[91:92], v82 offset0:34 offset1:51
	ds_load_2addr_b32 v[93:94], v82 offset0:68 offset1:85
	;; [unrolled: 1-line block ×4, first 2 shown]
	s_waitcnt lgkmcnt(4)
	v_max3_f32 v67, v89, 0xff7fffff, v90
	s_waitcnt lgkmcnt(3)
	s_delay_alu instid0(VALU_DEP_1) | instskip(SKIP_1) | instid1(VALU_DEP_1)
	v_max3_f32 v67, v67, v91, v92
	s_waitcnt lgkmcnt(2)
	v_max3_f32 v67, v67, v93, v94
	s_waitcnt lgkmcnt(1)
	s_delay_alu instid0(VALU_DEP_1) | instskip(NEXT) | instid1(VALU_DEP_1)
	v_max3_f32 v67, v67, v95, v96
	v_sub_f32_e32 v93, v93, v67
	s_delay_alu instid0(VALU_DEP_1) | instskip(NEXT) | instid1(VALU_DEP_1)
	v_dual_sub_f32 v68, v89, v67 :: v_dual_mul_f32 v103, 0x3fb8aa3b, v93
	v_mul_f32_e32 v68, 0x3fb8aa3b, v68
	s_delay_alu instid0(VALU_DEP_1)
	v_exp_f32_e32 v100, v68
	v_sub_f32_e32 v68, v92, v67
	v_sub_f32_e32 v99, v90, v67
	ds_load_2addr_b32 v[89:90], v82 offset0:170 offset1:187
	v_dual_mul_f32 v102, 0x3fb8aa3b, v68 :: v_dual_mul_f32 v99, 0x3fb8aa3b, v99
	s_waitcnt lgkmcnt(1)
	v_fma_f32 v68, v100, v97, 0
	s_delay_alu instid0(VALU_DEP_2) | instskip(NEXT) | instid1(VALU_DEP_2)
	v_exp_f32_e32 v102, v102
	v_exp_f32_e32 v99, v99
	s_waitcnt_depctr 0xfff
	v_fmac_f32_e32 v68, v99, v98
	v_sub_f32_e32 v91, v91, v67
	s_delay_alu instid0(VALU_DEP_1)
	v_mul_f32_e32 v101, 0x3fb8aa3b, v91
	ds_load_2addr_b32 v[91:92], v82 offset0:204 offset1:221
	v_sub_f32_e32 v97, v94, v67
	ds_load_2addr_b32 v[93:94], v82 offset0:238 offset1:255
	s_waitcnt lgkmcnt(0)
	v_exp_f32_e32 v101, v101
	s_barrier
	buffer_gl0_inv
	v_dual_fmac_f32 v68, v101, v89 :: v_dual_sub_f32 v89, v96, v67
	v_dual_sub_f32 v82, v95, v67 :: v_dual_mul_f32 v95, 0x3fb8aa3b, v97
	v_exp_f32_e32 v97, v103
	s_delay_alu instid0(VALU_DEP_2) | instskip(NEXT) | instid1(VALU_DEP_2)
	v_dual_fmac_f32 v68, v102, v90 :: v_dual_mul_f32 v89, 0x3fb8aa3b, v89
	v_mul_f32_e32 v82, 0x3fb8aa3b, v82
	s_delay_alu instid0(VALU_DEP_3) | instskip(NEXT) | instid1(VALU_DEP_2)
	v_exp_f32_e32 v95, v95
	v_exp_f32_e32 v89, v89
	s_delay_alu instid0(VALU_DEP_1)
	v_exp_f32_e32 v82, v82
	v_fmac_f32_e32 v68, v97, v91
	s_delay_alu instid0(TRANS32_DEP_3) | instid1(VALU_DEP_1)
	v_fmac_f32_e32 v68, v95, v92
	s_waitcnt_depctr 0xfff
	v_fmac_f32_e32 v68, v82, v93
	s_delay_alu instid0(VALU_DEP_1) | instskip(NEXT) | instid1(VALU_DEP_1)
	v_fmac_f32_e32 v68, v89, v94
	v_add_f32_e32 v90, 0x358637bd, v68
	s_delay_alu instid0(VALU_DEP_1) | instskip(NEXT) | instid1(VALU_DEP_1)
	v_div_scale_f32 v91, null, v90, v90, 1.0
	v_rcp_f32_e32 v92, v91
	s_waitcnt_depctr 0xfff
	v_fma_f32 v93, -v91, v92, 1.0
	s_delay_alu instid0(VALU_DEP_1) | instskip(SKIP_1) | instid1(VALU_DEP_2)
	v_dual_fmac_f32 v92, v93, v92 :: v_dual_cndmask_b32 v93, v100, v99
	v_cmp_eq_u32_e32 vcc_lo, 3, v66
	v_cndmask_b32_e64 v93, v93, v101, s4
	v_cmp_eq_u32_e64 s4, 4, v66
	s_delay_alu instid0(VALU_DEP_2) | instskip(SKIP_1) | instid1(VALU_DEP_2)
	v_cndmask_b32_e32 v93, v93, v102, vcc_lo
	v_cmp_eq_u32_e32 vcc_lo, 5, v66
	v_cndmask_b32_e64 v93, v93, v97, s4
	v_cmp_eq_u32_e64 s4, 6, v66
	s_delay_alu instid0(VALU_DEP_2) | instskip(SKIP_1) | instid1(VALU_DEP_1)
	v_cndmask_b32_e32 v93, v93, v95, vcc_lo
	v_div_scale_f32 v94, s5, 1.0, v90, 1.0
	s_mov_b32 vcc_lo, s5
	s_delay_alu instid0(VALU_DEP_2) | instskip(NEXT) | instid1(VALU_DEP_2)
	v_cndmask_b32_e64 v82, v93, v82, s4
	v_mul_f32_e32 v96, v94, v92
	s_mov_b32 s4, exec_lo
	s_delay_alu instid0(VALU_DEP_2) | instskip(NEXT) | instid1(VALU_DEP_2)
	v_cndmask_b32_e64 v82, v82, v89, s6
	v_fma_f32 v98, -v91, v96, v94
	s_delay_alu instid0(VALU_DEP_1) | instskip(NEXT) | instid1(VALU_DEP_1)
	v_fmac_f32_e32 v96, v98, v92
	v_fma_f32 v91, -v91, v96, v94
	s_delay_alu instid0(VALU_DEP_1) | instskip(NEXT) | instid1(VALU_DEP_1)
	v_div_fmas_f32 v91, v91, v92, v96
	v_div_fixup_f32 v90, v91, v90, 1.0
	s_delay_alu instid0(VALU_DEP_1) | instskip(NEXT) | instid1(VALU_DEP_1)
	v_mul_f32_e32 v82, v82, v90
	v_mul_f32_e32 v87, v82, v87
	;; [unrolled: 1-line block ×7, first 2 shown]
	v_dual_mul_f32 v86, v82, v83 :: v_dual_and_b32 v91, 0x7f800000, v90
	v_mul_f32_e32 v85, v82, v76
                                        ; implicit-def: $vgpr76
	s_delay_alu instid0(VALU_DEP_2)
	v_cmpx_ne_u32_e32 0x7f800000, v91
	s_xor_b32 s4, exec_lo, s4
; %bb.13:
	v_bfe_u32 v76, v90, 16, 1
	s_delay_alu instid0(VALU_DEP_1)
	v_add3_u32 v76, v90, v76, 0x7fff
                                        ; implicit-def: $vgpr90
; %bb.14:
	s_and_not1_saveexec_b32 s4, s4
; %bb.15:
	v_and_b32_e32 v76, 0xffff, v90
	v_or_b32_e32 v83, 0x10000, v90
	s_delay_alu instid0(VALU_DEP_2) | instskip(NEXT) | instid1(VALU_DEP_2)
	v_cmp_eq_u32_e32 vcc_lo, 0, v76
	v_cndmask_b32_e32 v76, v83, v90, vcc_lo
; %bb.16:
	s_or_b32 exec_lo, exec_lo, s4
	v_and_b32_e32 v83, 0x7f800000, v85
	s_delay_alu instid0(VALU_DEP_1) | instskip(SKIP_1) | instid1(SALU_CYCLE_1)
	v_cmp_ne_u32_e32 vcc_lo, 0x7f800000, v83
                                        ; implicit-def: $vgpr83
	s_and_saveexec_b32 s4, vcc_lo
	s_xor_b32 s4, exec_lo, s4
; %bb.17:
	v_bfe_u32 v83, v85, 16, 1
	s_delay_alu instid0(VALU_DEP_1)
	v_add3_u32 v83, v85, v83, 0x7fff
                                        ; implicit-def: $vgpr85
; %bb.18:
	s_and_not1_saveexec_b32 s4, s4
; %bb.19:
	v_and_b32_e32 v83, 0xffff, v85
	v_or_b32_e32 v90, 0x10000, v85
	s_delay_alu instid0(VALU_DEP_2) | instskip(NEXT) | instid1(VALU_DEP_2)
	v_cmp_eq_u32_e32 vcc_lo, 0, v83
	v_cndmask_b32_e32 v83, v90, v85, vcc_lo
; %bb.20:
	s_or_b32 exec_lo, exec_lo, s4
	v_and_b32_e32 v85, 0x7f800000, v86
	s_delay_alu instid0(VALU_DEP_1) | instskip(SKIP_1) | instid1(SALU_CYCLE_1)
	v_cmp_ne_u32_e32 vcc_lo, 0x7f800000, v85
                                        ; implicit-def: $vgpr85
	s_and_saveexec_b32 s4, vcc_lo
	s_xor_b32 s4, exec_lo, s4
; %bb.21:
	v_bfe_u32 v85, v86, 16, 1
	s_delay_alu instid0(VALU_DEP_1)
	v_add3_u32 v85, v86, v85, 0x7fff
                                        ; implicit-def: $vgpr86
; %bb.22:
	s_and_not1_saveexec_b32 s4, s4
; %bb.23:
	v_and_b32_e32 v85, 0xffff, v86
	v_or_b32_e32 v90, 0x10000, v86
	s_delay_alu instid0(VALU_DEP_2) | instskip(NEXT) | instid1(VALU_DEP_2)
	v_cmp_eq_u32_e32 vcc_lo, 0, v85
	v_cndmask_b32_e32 v85, v90, v86, vcc_lo
; %bb.24:
	s_or_b32 exec_lo, exec_lo, s4
	v_and_b32_e32 v86, 0x7f800000, v89
	s_delay_alu instid0(VALU_DEP_1) | instskip(SKIP_1) | instid1(SALU_CYCLE_1)
	v_cmp_ne_u32_e32 vcc_lo, 0x7f800000, v86
                                        ; implicit-def: $vgpr86
	s_and_saveexec_b32 s4, vcc_lo
	s_xor_b32 s4, exec_lo, s4
; %bb.25:
	v_bfe_u32 v86, v89, 16, 1
	s_delay_alu instid0(VALU_DEP_1)
	v_add3_u32 v86, v89, v86, 0x7fff
                                        ; implicit-def: $vgpr89
; %bb.26:
	s_and_not1_saveexec_b32 s4, s4
; %bb.27:
	v_and_b32_e32 v86, 0xffff, v89
	v_or_b32_e32 v90, 0x10000, v89
	s_delay_alu instid0(VALU_DEP_2) | instskip(NEXT) | instid1(VALU_DEP_2)
	v_cmp_eq_u32_e32 vcc_lo, 0, v86
	v_cndmask_b32_e32 v86, v90, v89, vcc_lo
; %bb.28:
	s_or_b32 exec_lo, exec_lo, s4
	v_and_b32_e32 v89, 0x7f800000, v88
	s_delay_alu instid0(VALU_DEP_1) | instskip(SKIP_1) | instid1(SALU_CYCLE_1)
	v_cmp_ne_u32_e32 vcc_lo, 0x7f800000, v89
                                        ; implicit-def: $vgpr89
	s_and_saveexec_b32 s4, vcc_lo
	s_xor_b32 s4, exec_lo, s4
; %bb.29:
	v_bfe_u32 v89, v88, 16, 1
	s_delay_alu instid0(VALU_DEP_1)
	v_add3_u32 v89, v88, v89, 0x7fff
                                        ; implicit-def: $vgpr88
; %bb.30:
	s_and_not1_saveexec_b32 s4, s4
; %bb.31:
	v_and_b32_e32 v89, 0xffff, v88
	v_or_b32_e32 v90, 0x10000, v88
	s_delay_alu instid0(VALU_DEP_2) | instskip(NEXT) | instid1(VALU_DEP_2)
	v_cmp_eq_u32_e32 vcc_lo, 0, v89
	v_cndmask_b32_e32 v89, v90, v88, vcc_lo
; %bb.32:
	s_or_b32 exec_lo, exec_lo, s4
	v_and_b32_e32 v88, 0x7f800000, v87
	s_delay_alu instid0(VALU_DEP_1) | instskip(SKIP_1) | instid1(SALU_CYCLE_1)
	v_cmp_ne_u32_e32 vcc_lo, 0x7f800000, v88
                                        ; implicit-def: $vgpr88
	s_and_saveexec_b32 s4, vcc_lo
	s_xor_b32 s4, exec_lo, s4
; %bb.33:
	v_bfe_u32 v88, v87, 16, 1
	s_delay_alu instid0(VALU_DEP_1)
	v_add3_u32 v88, v87, v88, 0x7fff
                                        ; implicit-def: $vgpr87
; %bb.34:
	s_and_not1_saveexec_b32 s4, s4
; %bb.35:
	v_and_b32_e32 v88, 0xffff, v87
	v_or_b32_e32 v90, 0x10000, v87
	s_delay_alu instid0(VALU_DEP_2) | instskip(NEXT) | instid1(VALU_DEP_2)
	v_cmp_eq_u32_e32 vcc_lo, 0, v88
	v_cndmask_b32_e32 v88, v90, v87, vcc_lo
; %bb.36:
	s_or_b32 exec_lo, exec_lo, s4
	v_and_b32_e32 v87, 0x7f800000, v84
	s_delay_alu instid0(VALU_DEP_1) | instskip(SKIP_1) | instid1(SALU_CYCLE_1)
	v_cmp_ne_u32_e32 vcc_lo, 0x7f800000, v87
                                        ; implicit-def: $vgpr87
	s_and_saveexec_b32 s4, vcc_lo
	s_xor_b32 s4, exec_lo, s4
; %bb.37:
	v_bfe_u32 v87, v84, 16, 1
	s_delay_alu instid0(VALU_DEP_1)
	v_add3_u32 v87, v84, v87, 0x7fff
                                        ; implicit-def: $vgpr84
; %bb.38:
	s_and_not1_saveexec_b32 s4, s4
; %bb.39:
	v_and_b32_e32 v87, 0xffff, v84
	v_or_b32_e32 v90, 0x10000, v84
	s_delay_alu instid0(VALU_DEP_2) | instskip(NEXT) | instid1(VALU_DEP_2)
	v_cmp_eq_u32_e32 vcc_lo, 0, v87
	v_cndmask_b32_e32 v87, v90, v84, vcc_lo
; %bb.40:
	s_or_b32 exec_lo, exec_lo, s4
	v_and_b32_e32 v84, 0x7f800000, v80
	s_delay_alu instid0(VALU_DEP_1) | instskip(SKIP_1) | instid1(SALU_CYCLE_1)
	v_cmp_ne_u32_e32 vcc_lo, 0x7f800000, v84
                                        ; implicit-def: $vgpr84
	s_and_saveexec_b32 s4, vcc_lo
	s_xor_b32 s4, exec_lo, s4
; %bb.41:
	v_bfe_u32 v84, v80, 16, 1
	s_delay_alu instid0(VALU_DEP_1)
	v_add3_u32 v84, v80, v84, 0x7fff
                                        ; implicit-def: $vgpr80
; %bb.42:
	s_and_not1_saveexec_b32 s4, s4
; %bb.43:
	v_and_b32_e32 v84, 0xffff, v80
	v_or_b32_e32 v90, 0x10000, v80
	s_delay_alu instid0(VALU_DEP_2) | instskip(NEXT) | instid1(VALU_DEP_2)
	v_cmp_eq_u32_e32 vcc_lo, 0, v84
	v_cndmask_b32_e32 v84, v90, v80, vcc_lo
; %bb.44:
	s_or_b32 exec_lo, exec_lo, s4
	s_load_b64 s[36:37], s[0:1], 0x94
	v_lshlrev_b32_e32 v91, 4, v74
	s_delay_alu instid0(VALU_DEP_2)
	v_perm_b32 v90, v84, v87, 0x7060302
	v_dual_mul_f32 v79, v82, v79 :: v_dual_lshlrev_b32 v80, 6, v65
	v_dual_mul_f32 v77, v82, v77 :: v_dual_lshlrev_b32 v92, 11, v66
	v_mul_f32_e32 v84, v82, v70
	v_perm_b32 v89, v88, v89, 0x7060302
	v_perm_b32 v88, v86, v85, 0x7060302
	;; [unrolled: 1-line block ×3, first 2 shown]
	v_mul_f32_e32 v70, v82, v81
	v_or3_b32 v76, v91, v92, v80
	v_dual_mul_f32 v78, v82, v78 :: v_dual_and_b32 v85, 0x7f800000, v84
	v_mul_f32_e32 v83, v82, v72
	v_mul_f32_e32 v81, v82, v71
	;; [unrolled: 1-line block ×3, first 2 shown]
	s_mov_b32 s4, exec_lo
	ds_store_b128 v76, v[87:90]
                                        ; implicit-def: $vgpr69
	v_cmpx_ne_u32_e32 0x7f800000, v85
	s_xor_b32 s4, exec_lo, s4
; %bb.45:
	v_bfe_u32 v69, v84, 16, 1
	s_delay_alu instid0(VALU_DEP_1)
	v_add3_u32 v69, v84, v69, 0x7fff
                                        ; implicit-def: $vgpr84
; %bb.46:
	s_and_not1_saveexec_b32 s4, s4
; %bb.47:
	v_and_b32_e32 v69, 0xffff, v84
	v_or_b32_e32 v71, 0x10000, v84
	s_delay_alu instid0(VALU_DEP_2) | instskip(NEXT) | instid1(VALU_DEP_2)
	v_cmp_eq_u32_e32 vcc_lo, 0, v69
	v_cndmask_b32_e32 v69, v71, v84, vcc_lo
; %bb.48:
	s_or_b32 exec_lo, exec_lo, s4
	v_and_b32_e32 v71, 0x7f800000, v72
	s_delay_alu instid0(VALU_DEP_1) | instskip(SKIP_1) | instid1(SALU_CYCLE_1)
	v_cmp_ne_u32_e32 vcc_lo, 0x7f800000, v71
                                        ; implicit-def: $vgpr71
	s_and_saveexec_b32 s4, vcc_lo
	s_xor_b32 s4, exec_lo, s4
; %bb.49:
	v_bfe_u32 v71, v72, 16, 1
	s_delay_alu instid0(VALU_DEP_1)
	v_add3_u32 v71, v72, v71, 0x7fff
                                        ; implicit-def: $vgpr72
; %bb.50:
	s_and_not1_saveexec_b32 s4, s4
; %bb.51:
	v_and_b32_e32 v71, 0xffff, v72
	v_or_b32_e32 v82, 0x10000, v72
	s_delay_alu instid0(VALU_DEP_2) | instskip(NEXT) | instid1(VALU_DEP_2)
	v_cmp_eq_u32_e32 vcc_lo, 0, v71
	v_cndmask_b32_e32 v71, v82, v72, vcc_lo
; %bb.52:
	s_or_b32 exec_lo, exec_lo, s4
	v_and_b32_e32 v72, 0x7f800000, v81
	s_delay_alu instid0(VALU_DEP_1) | instskip(SKIP_1) | instid1(SALU_CYCLE_1)
	v_cmp_ne_u32_e32 vcc_lo, 0x7f800000, v72
                                        ; implicit-def: $vgpr72
	s_and_saveexec_b32 s4, vcc_lo
	s_xor_b32 s4, exec_lo, s4
; %bb.53:
	v_bfe_u32 v72, v81, 16, 1
	s_delay_alu instid0(VALU_DEP_1)
	v_add3_u32 v72, v81, v72, 0x7fff
                                        ; implicit-def: $vgpr81
; %bb.54:
	s_and_not1_saveexec_b32 s4, s4
; %bb.55:
	v_and_b32_e32 v72, 0xffff, v81
	v_or_b32_e32 v82, 0x10000, v81
	s_delay_alu instid0(VALU_DEP_2) | instskip(NEXT) | instid1(VALU_DEP_2)
	v_cmp_eq_u32_e32 vcc_lo, 0, v72
	v_cndmask_b32_e32 v72, v82, v81, vcc_lo
; %bb.56:
	s_or_b32 exec_lo, exec_lo, s4
	v_and_b32_e32 v81, 0x7f800000, v83
	s_delay_alu instid0(VALU_DEP_1) | instskip(SKIP_1) | instid1(SALU_CYCLE_1)
	v_cmp_ne_u32_e32 vcc_lo, 0x7f800000, v81
                                        ; implicit-def: $vgpr81
	s_and_saveexec_b32 s4, vcc_lo
	s_xor_b32 s4, exec_lo, s4
; %bb.57:
	v_bfe_u32 v81, v83, 16, 1
	s_delay_alu instid0(VALU_DEP_1)
	v_add3_u32 v81, v83, v81, 0x7fff
                                        ; implicit-def: $vgpr83
; %bb.58:
	s_and_not1_saveexec_b32 s4, s4
; %bb.59:
	v_and_b32_e32 v81, 0xffff, v83
	v_or_b32_e32 v82, 0x10000, v83
	s_delay_alu instid0(VALU_DEP_2) | instskip(NEXT) | instid1(VALU_DEP_2)
	v_cmp_eq_u32_e32 vcc_lo, 0, v81
	v_cndmask_b32_e32 v81, v82, v83, vcc_lo
; %bb.60:
	s_or_b32 exec_lo, exec_lo, s4
	v_and_b32_e32 v82, 0x7f800000, v77
	s_delay_alu instid0(VALU_DEP_1) | instskip(SKIP_1) | instid1(SALU_CYCLE_1)
	v_cmp_ne_u32_e32 vcc_lo, 0x7f800000, v82
                                        ; implicit-def: $vgpr82
	s_and_saveexec_b32 s4, vcc_lo
	s_xor_b32 s4, exec_lo, s4
; %bb.61:
	v_bfe_u32 v82, v77, 16, 1
	s_delay_alu instid0(VALU_DEP_1)
	v_add3_u32 v82, v77, v82, 0x7fff
                                        ; implicit-def: $vgpr77
; %bb.62:
	s_and_not1_saveexec_b32 s4, s4
; %bb.63:
	v_and_b32_e32 v82, 0xffff, v77
	v_or_b32_e32 v83, 0x10000, v77
	s_delay_alu instid0(VALU_DEP_2) | instskip(NEXT) | instid1(VALU_DEP_2)
	v_cmp_eq_u32_e32 vcc_lo, 0, v82
	v_cndmask_b32_e32 v82, v83, v77, vcc_lo
; %bb.64:
	s_or_b32 exec_lo, exec_lo, s4
	v_and_b32_e32 v77, 0x7f800000, v78
	s_delay_alu instid0(VALU_DEP_1) | instskip(SKIP_1) | instid1(SALU_CYCLE_1)
	v_cmp_ne_u32_e32 vcc_lo, 0x7f800000, v77
                                        ; implicit-def: $vgpr77
	s_and_saveexec_b32 s4, vcc_lo
	s_xor_b32 s4, exec_lo, s4
; %bb.65:
	v_bfe_u32 v77, v78, 16, 1
	s_delay_alu instid0(VALU_DEP_1)
	v_add3_u32 v77, v78, v77, 0x7fff
                                        ; implicit-def: $vgpr78
; %bb.66:
	s_and_not1_saveexec_b32 s4, s4
; %bb.67:
	v_and_b32_e32 v77, 0xffff, v78
	v_or_b32_e32 v83, 0x10000, v78
	s_delay_alu instid0(VALU_DEP_2) | instskip(NEXT) | instid1(VALU_DEP_2)
	v_cmp_eq_u32_e32 vcc_lo, 0, v77
	v_cndmask_b32_e32 v77, v83, v78, vcc_lo
; %bb.68:
	s_or_b32 exec_lo, exec_lo, s4
	v_and_b32_e32 v78, 0x7f800000, v79
	s_delay_alu instid0(VALU_DEP_1) | instskip(SKIP_1) | instid1(SALU_CYCLE_1)
	v_cmp_ne_u32_e32 vcc_lo, 0x7f800000, v78
                                        ; implicit-def: $vgpr78
	s_and_saveexec_b32 s4, vcc_lo
	s_xor_b32 s4, exec_lo, s4
; %bb.69:
	v_bfe_u32 v78, v79, 16, 1
	s_delay_alu instid0(VALU_DEP_1)
	v_add3_u32 v78, v79, v78, 0x7fff
                                        ; implicit-def: $vgpr79
; %bb.70:
	s_and_not1_saveexec_b32 s4, s4
; %bb.71:
	v_and_b32_e32 v78, 0xffff, v79
	v_or_b32_e32 v83, 0x10000, v79
	s_delay_alu instid0(VALU_DEP_2) | instskip(NEXT) | instid1(VALU_DEP_2)
	v_cmp_eq_u32_e32 vcc_lo, 0, v78
	v_cndmask_b32_e32 v78, v83, v79, vcc_lo
; %bb.72:
	s_or_b32 exec_lo, exec_lo, s4
	v_and_b32_e32 v79, 0x7f800000, v70
	s_delay_alu instid0(VALU_DEP_1) | instskip(SKIP_1) | instid1(SALU_CYCLE_1)
	v_cmp_ne_u32_e32 vcc_lo, 0x7f800000, v79
                                        ; implicit-def: $vgpr79
	s_and_saveexec_b32 s4, vcc_lo
	s_xor_b32 s4, exec_lo, s4
; %bb.73:
	v_bfe_u32 v79, v70, 16, 1
	s_delay_alu instid0(VALU_DEP_1)
	v_add3_u32 v79, v70, v79, 0x7fff
                                        ; implicit-def: $vgpr70
; %bb.74:
	s_and_not1_saveexec_b32 s4, s4
; %bb.75:
	v_and_b32_e32 v79, 0xffff, v70
	v_or_b32_e32 v83, 0x10000, v70
	s_delay_alu instid0(VALU_DEP_2) | instskip(NEXT) | instid1(VALU_DEP_2)
	v_cmp_eq_u32_e32 vcc_lo, 0, v79
	v_cndmask_b32_e32 v79, v83, v70, vcc_lo
; %bb.76:
	s_or_b32 exec_lo, exec_lo, s4
	s_delay_alu instid0(VALU_DEP_1)
	v_perm_b32 v86, v79, v78, 0x7060302
	v_perm_b32 v85, v77, v82, 0x7060302
	;; [unrolled: 1-line block ×4, first 2 shown]
	v_lshl_or_b32 v82, v66, 11, v80
	ds_store_b128 v76, v[83:86] offset:1024
	s_waitcnt lgkmcnt(0)
	s_barrier
	buffer_gl0_inv
	ds_load_b128 v[69:72], v82
	ds_load_b128 v[83:86], v82 offset:16
	s_waitcnt lgkmcnt(1)
	v_lshrrev_b32_e32 v66, 16, v69
	s_waitcnt lgkmcnt(0)
	v_lshrrev_b32_e32 v91, 16, v83
	v_lshlrev_b32_e32 v78, 2, v74
	v_lshrrev_b32_e32 v95, 16, v70
	v_lshrrev_b32_e32 v98, 16, v84
	;; [unrolled: 1-line block ×4, first 2 shown]
	v_cmp_eq_u32_e32 vcc_lo, 1, v78
	v_lshrrev_b32_e32 v97, 16, v72
	v_lshrrev_b32_e32 v100, 16, v86
	v_cndmask_b32_e32 v87, v83, v91, vcc_lo
	v_or_b32_e32 v79, 1, v78
	v_cndmask_b32_e32 v81, v69, v66, vcc_lo
	v_cmp_eq_u32_e64 s5, 2, v78
	v_cmp_eq_u32_e64 s8, 3, v78
	;; [unrolled: 1-line block ×5, first 2 shown]
	v_cndmask_b32_e64 v81, v81, v70, s5
	v_cndmask_b32_e64 v87, v87, v84, s5
	v_cmp_eq_u32_e64 s9, 3, v79
	v_cndmask_b32_e64 v88, v69, v66, s4
	v_or_b32_e32 v77, 2, v78
	v_cndmask_b32_e64 v81, v81, v95, s8
	v_cndmask_b32_e64 v87, v87, v98, s8
	;; [unrolled: 1-line block ×4, first 2 shown]
	v_cmp_eq_u32_e64 s11, 5, v78
	v_cndmask_b32_e64 v81, v81, v71, s10
	v_cndmask_b32_e64 v87, v87, v85, s10
	v_cmp_eq_u32_e64 s12, 4, v79
	v_cndmask_b32_e64 v88, v88, v95, s9
	v_cmp_eq_u32_e64 s6, 1, v77
	v_cndmask_b32_e64 v89, v89, v84, s7
	v_cndmask_b32_e64 v81, v81, v96, s11
	v_cmp_eq_u32_e64 s13, 6, v78
	v_cndmask_b32_e64 v88, v88, v71, s12
	;; [unrolled: 3-line block ×3, first 2 shown]
	v_cndmask_b32_e64 v89, v89, v98, s9
	v_cndmask_b32_e64 v81, v81, v72, s13
	v_cmp_eq_u32_e64 s16, 7, v78
	v_cndmask_b32_e64 v88, v88, v96, s15
	v_cndmask_b32_e64 v87, v87, v86, s13
	v_cmp_eq_u32_e64 s17, 6, v79
	v_cmp_eq_u32_e64 s18, 2, v77
	v_cndmask_b32_e64 v89, v89, v85, s12
	v_cndmask_b32_e64 v101, v81, v97, s16
	v_cndmask_b32_e64 v102, v87, v100, s16
	v_cndmask_b32_e64 v88, v88, v72, s17
	v_cndmask_b32_e64 v81, v90, v70, s18
	v_cndmask_b32_e64 v87, v83, v91, s6
	v_cmp_eq_u32_e64 s19, 7, v79
	v_cmp_eq_u32_e64 s20, 3, v77
	;; [unrolled: 1-line block ×4, first 2 shown]
	v_cndmask_b32_e64 v87, v87, v84, s18
	v_cndmask_b32_e64 v103, v88, v97, s19
	;; [unrolled: 1-line block ×4, first 2 shown]
	v_or_b32_e32 v81, 3, v78
	v_cndmask_b32_e64 v93, v87, v98, s20
	v_cmp_eq_u32_e64 s25, 6, v77
	v_cndmask_b32_e64 v104, v88, v86, s17
	v_cndmask_b32_e64 v92, v89, v71, s21
	v_cmp_eq_u32_e64 s22, 1, v81
	ds_load_b128 v[87:90], v82 offset:1024
	v_cmp_eq_u32_e64 s24, 2, v81
	v_cmp_eq_u32_e64 s26, 3, v81
	v_cndmask_b32_e64 v105, v92, v96, s23
	v_cndmask_b32_e64 v66, v69, v66, s22
	;; [unrolled: 1-line block ×4, first 2 shown]
	ds_load_b128 v[91:94], v82 offset:1040
	v_cmp_eq_u32_e64 s27, 4, v81
	v_cndmask_b32_e64 v66, v66, v70, s24
	v_cmp_eq_u32_e64 s28, 7, v77
	v_cndmask_b32_e64 v70, v83, v84, s24
	v_cndmask_b32_e64 v84, v105, v72, s25
	v_cmp_eq_u32_e64 s29, 5, v81
	v_cndmask_b32_e64 v66, v66, v95, s26
	v_cmp_eq_u32_e64 s30, 6, v81
	v_cndmask_b32_e64 v70, v70, v98, s26
	v_cndmask_b32_e64 v69, v69, v99, s23
	;; [unrolled: 1-line block ×4, first 2 shown]
	s_waitcnt lgkmcnt(1)
	v_lshrrev_b32_e32 v95, 16, v87
	v_cndmask_b32_e64 v70, v70, v85, s27
	v_cndmask_b32_e64 v71, v84, v97, s28
	;; [unrolled: 1-line block ×4, first 2 shown]
	v_cndmask_b32_e32 v84, v87, v95, vcc_lo
	v_cndmask_b32_e64 v70, v70, v99, s29
	s_waitcnt lgkmcnt(0)
	v_lshrrev_b32_e32 v85, 16, v91
	v_lshrrev_b32_e32 v96, 16, v88
	v_cndmask_b32_e64 v98, v87, v95, s4
	v_cndmask_b32_e64 v84, v84, v88, s5
	;; [unrolled: 1-line block ×3, first 2 shown]
	v_cndmask_b32_e32 v99, v91, v85, vcc_lo
	v_cmp_eq_u32_e32 vcc_lo, 7, v81
	v_cndmask_b32_e64 v66, v66, v72, s30
	v_cndmask_b32_e64 v72, v84, v96, s8
	;; [unrolled: 1-line block ×3, first 2 shown]
	v_lshrrev_b32_e32 v98, 16, v92
	v_cndmask_b32_e32 v70, v70, v100, vcc_lo
	v_cndmask_b32_e64 v86, v99, v92, s5
	v_cndmask_b32_e64 v69, v69, v100, s28
	v_lshrrev_b32_e32 v100, 16, v93
	v_cndmask_b32_e64 v72, v72, v89, s10
	v_lshrrev_b32_e32 v99, 16, v89
	v_cndmask_b32_e64 v86, v86, v98, s8
	v_perm_b32 v71, v69, v71, 0x5040100
	v_cndmask_b32_e64 v84, v84, v96, s9
	s_delay_alu instid0(VALU_DEP_3) | instskip(NEXT) | instid1(VALU_DEP_2)
	v_cndmask_b32_e64 v86, v86, v93, s10
	v_cndmask_b32_e64 v84, v84, v89, s12
	s_delay_alu instid0(VALU_DEP_2) | instskip(NEXT) | instid1(VALU_DEP_1)
	v_cndmask_b32_e64 v86, v86, v100, s11
	v_cndmask_b32_e64 v69, v86, v94, s13
	;; [unrolled: 1-line block ×5, first 2 shown]
	s_delay_alu instid0(VALU_DEP_3) | instskip(NEXT) | instid1(VALU_DEP_3)
	v_cndmask_b32_e64 v86, v86, v88, s18
	v_cndmask_b32_e64 v87, v87, v88, s24
	s_delay_alu instid0(VALU_DEP_3) | instskip(NEXT) | instid1(VALU_DEP_3)
	v_cndmask_b32_e64 v88, v95, v92, s24
	v_cndmask_b32_e64 v86, v86, v96, s20
	;; [unrolled: 3-line block ×7, first 2 shown]
	s_delay_alu instid0(VALU_DEP_3) | instskip(SKIP_2) | instid1(VALU_DEP_2)
	v_cndmask_b32_e64 v88, v88, v94, s30
	v_cndmask_b32_e32 v66, v66, v97, vcc_lo
	v_cndmask_b32_e64 v97, v72, v99, s11
	v_perm_b32 v72, v70, v66, 0x5040100
	v_perm_b32 v70, v83, v103, 0x5040100
	v_cndmask_b32_e64 v103, v91, v85, s6
	v_cndmask_b32_e64 v85, v91, v85, s4
	;; [unrolled: 1-line block ×4, first 2 shown]
	v_lshrrev_b32_e32 v97, 16, v90
	v_cndmask_b32_e64 v91, v103, v92, s18
	v_cndmask_b32_e64 v85, v85, v92, s7
	v_cndmask_b32_e64 v66, v66, v90, s17
	s_mov_b32 s4, exec_lo
	v_cndmask_b32_e64 v83, v84, v97, s16
	v_cndmask_b32_e64 v91, v91, v98, s20
	;; [unrolled: 1-line block ×3, first 2 shown]
	v_lshrrev_b32_e32 v84, 16, v94
	v_cndmask_b32_e64 v66, v66, v97, s19
	v_cndmask_b32_e64 v90, v86, v97, s28
	;; [unrolled: 1-line block ×4, first 2 shown]
	v_dual_cndmask_b32 v86, v87, v97 :: v_dual_cndmask_b32 v87, v88, v84
	v_cndmask_b32_e64 v91, v69, v84, s16
	s_delay_alu instid0(VALU_DEP_4) | instskip(NEXT) | instid1(VALU_DEP_4)
	v_cndmask_b32_e64 v89, v89, v100, s23
	v_cndmask_b32_e64 v85, v85, v100, s15
	v_perm_b32 v69, v102, v101, 0x5040100
	v_perm_b32 v86, v87, v86, 0x5040100
	;; [unrolled: 1-line block ×3, first 2 shown]
	v_cndmask_b32_e64 v89, v89, v94, s25
	v_cndmask_b32_e64 v85, v85, v94, s17
	s_mul_i32 s9, s37, 13
	s_delay_alu instid0(VALU_DEP_2) | instskip(NEXT) | instid1(VALU_DEP_2)
	v_cndmask_b32_e64 v88, v89, v84, s28
	v_cndmask_b32_e64 v89, v85, v84, s19
	s_delay_alu instid0(VALU_DEP_2) | instskip(NEXT) | instid1(VALU_DEP_2)
	v_perm_b32 v85, v88, v90, 0x5040100
	v_perm_b32 v84, v89, v66, 0x5040100
	ds_store_b128 v76, v[69:72]
	ds_store_b128 v76, v[83:86] offset:1024
	v_cmpx_gt_u32_e32 13, v0
	s_cbranch_execz .LBB1706_78
; %bb.77:
	s_mul_i32 s5, s9, s34
	s_load_b128 s[16:19], s[0:1], 0x58
	v_add3_u32 v69, s5, s31, v65
	s_delay_alu instid0(VALU_DEP_1) | instskip(NEXT) | instid1(VALU_DEP_1)
	v_mad_u64_u32 v[65:66], null, v69, s36, s[14:15]
	v_ashrrev_i32_e32 v66, 31, v65
	s_delay_alu instid0(VALU_DEP_1) | instskip(SKIP_1) | instid1(VALU_DEP_1)
	v_lshlrev_b64 v[65:66], 2, v[65:66]
	s_waitcnt lgkmcnt(0)
	v_add_co_u32 v69, vcc_lo, s18, v65
	s_delay_alu instid0(VALU_DEP_2)
	v_add_co_ci_u32_e32 v70, vcc_lo, s19, v66, vcc_lo
	v_add_co_u32 v65, vcc_lo, s16, v65
	v_add_co_ci_u32_e32 v66, vcc_lo, s17, v66, vcc_lo
	global_store_b32 v[69:70], v67, off
	global_store_b32 v[65:66], v68, off
.LBB1706_78:
	s_or_b32 exec_lo, exec_lo, s4
	s_waitcnt lgkmcnt(0)
	s_waitcnt_vscnt null, 0x0
	s_barrier
	buffer_gl0_inv
	ds_load_b128 v[83:86], v80
	ds_load_b128 v[87:90], v80 offset:16
	ds_load_b128 v[95:98], v80 offset:2064
	;; [unrolled: 1-line block ×3, first 2 shown]
	v_mov_b32_e32 v65, 0
	ds_load_b128 v[103:106], v80 offset:4112
	ds_load_b128 v[99:102], v80 offset:4096
	;; [unrolled: 1-line block ×4, first 2 shown]
	v_mov_b32_e32 v66, v65
	v_mov_b32_e32 v67, v65
	;; [unrolled: 1-line block ×7, first 2 shown]
	s_waitcnt lgkmcnt(6)
	s_delay_alu instid0(VALU_DEP_1)
	v_wmma_f32_16x16x16_bf16 v[65:72], v[57:64], v[83:90], v[65:72]
	ds_load_b128 v[61:64], v80 offset:8208
	ds_load_b128 v[57:60], v80 offset:8192
	s_waitcnt lgkmcnt(6)
	v_wmma_f32_16x16x16_bf16 v[65:72], v[41:48], v[91:98], v[65:72]
	ds_load_b128 v[45:48], v80 offset:10256
	ds_load_b128 v[41:44], v80 offset:10240
	s_waitcnt lgkmcnt(6)
	;; [unrolled: 4-line block ×4, first 2 shown]
	v_wmma_f32_16x16x16_bf16 v[65:72], v[1:8], v[57:64], v[65:72]
	s_waitcnt lgkmcnt(4)
	s_delay_alu instid0(VALU_DEP_1) | instskip(SKIP_1) | instid1(VALU_DEP_1)
	v_wmma_f32_16x16x16_bf16 v[65:72], v[9:16], v[41:48], v[65:72]
	s_waitcnt lgkmcnt(2)
	v_wmma_f32_16x16x16_bf16 v[65:72], v[17:24], v[33:40], v[65:72]
	s_waitcnt lgkmcnt(0)
	s_delay_alu instid0(VALU_DEP_1) | instskip(NEXT) | instid1(VALU_DEP_1)
	v_wmma_f32_16x16x16_bf16 v[65:72], v[49:56], v[25:32], v[65:72]
	v_and_b32_e32 v1, 0x7f800000, v65
	s_delay_alu instid0(VALU_DEP_1) | instskip(SKIP_1) | instid1(SALU_CYCLE_1)
	v_cmp_ne_u32_e32 vcc_lo, 0x7f800000, v1
                                        ; implicit-def: $vgpr1
	s_and_saveexec_b32 s4, vcc_lo
	s_xor_b32 s4, exec_lo, s4
; %bb.79:
	v_bfe_u32 v1, v65, 16, 1
	s_delay_alu instid0(VALU_DEP_1)
	v_add3_u32 v1, v65, v1, 0x7fff
; %bb.80:
	s_and_not1_saveexec_b32 s4, s4
; %bb.81:
	v_and_b32_e32 v1, 0xffff, v65
	v_or_b32_e32 v2, 0x10000, v65
	s_delay_alu instid0(VALU_DEP_2) | instskip(NEXT) | instid1(VALU_DEP_2)
	v_cmp_eq_u32_e32 vcc_lo, 0, v1
	v_cndmask_b32_e32 v1, v2, v65, vcc_lo
; %bb.82:
	s_or_b32 exec_lo, exec_lo, s4
	v_and_b32_e32 v2, 0x7f800000, v66
	s_delay_alu instid0(VALU_DEP_1) | instskip(SKIP_1) | instid1(SALU_CYCLE_1)
	v_cmp_ne_u32_e32 vcc_lo, 0x7f800000, v2
                                        ; implicit-def: $vgpr2
	s_and_saveexec_b32 s4, vcc_lo
	s_xor_b32 s4, exec_lo, s4
; %bb.83:
	v_bfe_u32 v2, v66, 16, 1
	s_delay_alu instid0(VALU_DEP_1)
	v_add3_u32 v2, v66, v2, 0x7fff
; %bb.84:
	s_and_not1_saveexec_b32 s4, s4
; %bb.85:
	v_and_b32_e32 v2, 0xffff, v66
	v_or_b32_e32 v3, 0x10000, v66
	s_delay_alu instid0(VALU_DEP_2) | instskip(NEXT) | instid1(VALU_DEP_2)
	v_cmp_eq_u32_e32 vcc_lo, 0, v2
	v_cndmask_b32_e32 v2, v3, v66, vcc_lo
; %bb.86:
	s_or_b32 exec_lo, exec_lo, s4
	v_and_b32_e32 v3, 0x7f800000, v67
	s_delay_alu instid0(VALU_DEP_1) | instskip(SKIP_1) | instid1(SALU_CYCLE_1)
	v_cmp_ne_u32_e32 vcc_lo, 0x7f800000, v3
                                        ; implicit-def: $vgpr3
	s_and_saveexec_b32 s4, vcc_lo
	s_xor_b32 s4, exec_lo, s4
; %bb.87:
	v_bfe_u32 v3, v67, 16, 1
	s_delay_alu instid0(VALU_DEP_1)
	v_add3_u32 v3, v67, v3, 0x7fff
; %bb.88:
	s_and_not1_saveexec_b32 s4, s4
; %bb.89:
	v_and_b32_e32 v3, 0xffff, v67
	v_or_b32_e32 v4, 0x10000, v67
	s_delay_alu instid0(VALU_DEP_2) | instskip(NEXT) | instid1(VALU_DEP_2)
	v_cmp_eq_u32_e32 vcc_lo, 0, v3
	v_cndmask_b32_e32 v3, v4, v67, vcc_lo
; %bb.90:
	s_or_b32 exec_lo, exec_lo, s4
	v_and_b32_e32 v4, 0x7f800000, v68
	s_delay_alu instid0(VALU_DEP_1) | instskip(SKIP_1) | instid1(SALU_CYCLE_1)
	v_cmp_ne_u32_e32 vcc_lo, 0x7f800000, v4
                                        ; implicit-def: $vgpr4
	s_and_saveexec_b32 s4, vcc_lo
	s_xor_b32 s4, exec_lo, s4
; %bb.91:
	v_bfe_u32 v4, v68, 16, 1
	s_delay_alu instid0(VALU_DEP_1)
	v_add3_u32 v4, v68, v4, 0x7fff
; %bb.92:
	s_and_not1_saveexec_b32 s4, s4
; %bb.93:
	v_and_b32_e32 v4, 0xffff, v68
	v_or_b32_e32 v5, 0x10000, v68
	s_delay_alu instid0(VALU_DEP_2) | instskip(NEXT) | instid1(VALU_DEP_2)
	v_cmp_eq_u32_e32 vcc_lo, 0, v4
	v_cndmask_b32_e32 v4, v5, v68, vcc_lo
; %bb.94:
	s_or_b32 exec_lo, exec_lo, s4
	v_and_b32_e32 v5, 0x7f800000, v69
	s_delay_alu instid0(VALU_DEP_1) | instskip(SKIP_1) | instid1(SALU_CYCLE_1)
	v_cmp_ne_u32_e32 vcc_lo, 0x7f800000, v5
                                        ; implicit-def: $vgpr5
	s_and_saveexec_b32 s4, vcc_lo
	s_xor_b32 s4, exec_lo, s4
; %bb.95:
	v_bfe_u32 v5, v69, 16, 1
	s_delay_alu instid0(VALU_DEP_1)
	v_add3_u32 v5, v69, v5, 0x7fff
; %bb.96:
	s_and_not1_saveexec_b32 s4, s4
; %bb.97:
	v_and_b32_e32 v5, 0xffff, v69
	v_or_b32_e32 v6, 0x10000, v69
	s_delay_alu instid0(VALU_DEP_2) | instskip(NEXT) | instid1(VALU_DEP_2)
	v_cmp_eq_u32_e32 vcc_lo, 0, v5
	v_cndmask_b32_e32 v5, v6, v69, vcc_lo
; %bb.98:
	s_or_b32 exec_lo, exec_lo, s4
	v_and_b32_e32 v6, 0x7f800000, v70
	s_delay_alu instid0(VALU_DEP_1) | instskip(SKIP_1) | instid1(SALU_CYCLE_1)
	v_cmp_ne_u32_e32 vcc_lo, 0x7f800000, v6
                                        ; implicit-def: $vgpr6
	s_and_saveexec_b32 s4, vcc_lo
	s_xor_b32 s4, exec_lo, s4
; %bb.99:
	v_bfe_u32 v6, v70, 16, 1
	s_delay_alu instid0(VALU_DEP_1)
	v_add3_u32 v6, v70, v6, 0x7fff
; %bb.100:
	s_and_not1_saveexec_b32 s4, s4
; %bb.101:
	v_and_b32_e32 v6, 0xffff, v70
	v_or_b32_e32 v7, 0x10000, v70
	s_delay_alu instid0(VALU_DEP_2) | instskip(NEXT) | instid1(VALU_DEP_2)
	v_cmp_eq_u32_e32 vcc_lo, 0, v6
	v_cndmask_b32_e32 v6, v7, v70, vcc_lo
; %bb.102:
	s_or_b32 exec_lo, exec_lo, s4
	v_and_b32_e32 v7, 0x7f800000, v71
	s_delay_alu instid0(VALU_DEP_1) | instskip(SKIP_1) | instid1(SALU_CYCLE_1)
	v_cmp_ne_u32_e32 vcc_lo, 0x7f800000, v7
                                        ; implicit-def: $vgpr7
	s_and_saveexec_b32 s4, vcc_lo
	s_xor_b32 s4, exec_lo, s4
; %bb.103:
	v_bfe_u32 v7, v71, 16, 1
	s_delay_alu instid0(VALU_DEP_1)
	v_add3_u32 v7, v71, v7, 0x7fff
; %bb.104:
	s_and_not1_saveexec_b32 s4, s4
; %bb.105:
	v_and_b32_e32 v7, 0xffff, v71
	v_or_b32_e32 v8, 0x10000, v71
	s_delay_alu instid0(VALU_DEP_2) | instskip(NEXT) | instid1(VALU_DEP_2)
	v_cmp_eq_u32_e32 vcc_lo, 0, v7
	v_cndmask_b32_e32 v7, v8, v71, vcc_lo
; %bb.106:
	s_or_b32 exec_lo, exec_lo, s4
	v_and_b32_e32 v8, 0x7f800000, v72
	s_delay_alu instid0(VALU_DEP_1) | instskip(SKIP_1) | instid1(SALU_CYCLE_1)
	v_cmp_ne_u32_e32 vcc_lo, 0x7f800000, v8
                                        ; implicit-def: $vgpr8
	s_and_saveexec_b32 s4, vcc_lo
	s_xor_b32 s4, exec_lo, s4
; %bb.107:
	v_bfe_u32 v8, v72, 16, 1
	s_delay_alu instid0(VALU_DEP_1)
	v_add3_u32 v8, v72, v8, 0x7fff
                                        ; implicit-def: $vgpr65_vgpr66_vgpr67_vgpr68_vgpr69_vgpr70_vgpr71_vgpr72
; %bb.108:
	s_and_not1_saveexec_b32 s4, s4
; %bb.109:
	v_and_b32_e32 v8, 0xffff, v72
	v_or_b32_e32 v9, 0x10000, v72
	s_delay_alu instid0(VALU_DEP_2) | instskip(NEXT) | instid1(VALU_DEP_2)
	v_cmp_eq_u32_e32 vcc_lo, 0, v8
	v_cndmask_b32_e32 v8, v9, v72, vcc_lo
; %bb.110:
	s_or_b32 exec_lo, exec_lo, s4
	s_delay_alu instid0(VALU_DEP_1)
	v_perm_b32 v7, v8, v7, 0x7060302
	v_perm_b32 v6, v6, v5, 0x7060302
	;; [unrolled: 1-line block ×4, first 2 shown]
	s_barrier
	buffer_gl0_inv
	v_cmp_eq_u32_e32 vcc_lo, 1, v78
	ds_store_b128 v76, v[4:7]
	s_waitcnt lgkmcnt(0)
	s_barrier
	buffer_gl0_inv
	ds_load_b128 v[1:4], v82
	ds_load_b128 v[5:8], v82 offset:16
	v_cmp_eq_u32_e64 s4, 1, v79
	v_cmp_eq_u32_e64 s5, 2, v78
	;; [unrolled: 1-line block ×5, first 2 shown]
	s_waitcnt lgkmcnt(1)
	v_lshrrev_b32_e32 v9, 16, v1
	s_waitcnt lgkmcnt(0)
	v_lshrrev_b32_e32 v13, 16, v5
	v_lshrrev_b32_e32 v10, 16, v2
	;; [unrolled: 1-line block ×4, first 2 shown]
	v_cndmask_b32_e64 v19, v1, v9, s4
	v_cndmask_b32_e32 v18, v5, v13, vcc_lo
	v_cndmask_b32_e64 v20, v5, v13, s4
	v_cndmask_b32_e32 v17, v1, v9, vcc_lo
	v_cmp_eq_u32_e32 vcc_lo, 2, v79
	v_lshrrev_b32_e32 v15, 16, v7
	v_cmp_eq_u32_e64 s4, 1, v77
	v_lshrrev_b32_e32 v12, 16, v4
	v_lshrrev_b32_e32 v16, 16, v8
	v_cndmask_b32_e32 v20, v20, v6, vcc_lo
	v_cndmask_b32_e64 v17, v17, v2, s5
	v_cndmask_b32_e32 v19, v19, v2, vcc_lo
	v_cndmask_b32_e64 v18, v18, v6, s5
	v_cmp_eq_u32_e32 vcc_lo, 4, v78
	v_cmp_eq_u32_e64 s5, 3, v79
	v_cndmask_b32_e64 v17, v17, v10, s6
	v_cndmask_b32_e64 v21, v1, v9, s4
	;; [unrolled: 1-line block ×5, first 2 shown]
	v_cndmask_b32_e32 v17, v17, v3, vcc_lo
	v_cndmask_b32_e64 v20, v20, v14, s5
	v_cndmask_b32_e32 v18, v18, v7, vcc_lo
	v_cmp_eq_u32_e32 vcc_lo, 4, v79
	v_cmp_eq_u32_e64 s5, 5, v79
	v_cmp_eq_u32_e64 s4, 2, v81
	v_cndmask_b32_e64 v21, v21, v2, s8
	v_cmp_eq_u32_e64 s6, 5, v78
	v_cndmask_b32_e32 v19, v19, v3, vcc_lo
	v_cndmask_b32_e32 v20, v20, v7, vcc_lo
	v_cmp_eq_u32_e32 vcc_lo, 6, v79
	s_delay_alu instid0(VALU_DEP_4) | instskip(NEXT) | instid1(VALU_DEP_4)
	v_cndmask_b32_e64 v17, v17, v11, s6
	v_cndmask_b32_e64 v19, v19, v11, s5
	s_delay_alu instid0(VALU_DEP_4) | instskip(SKIP_1) | instid1(VALU_DEP_3)
	v_cndmask_b32_e64 v20, v20, v15, s5
	v_cmp_eq_u32_e64 s5, 1, v81
	v_cndmask_b32_e32 v19, v19, v4, vcc_lo
	v_cndmask_b32_e64 v18, v18, v15, s6
	s_delay_alu instid0(VALU_DEP_3)
	v_cndmask_b32_e64 v1, v1, v9, s5
	v_cndmask_b32_e64 v5, v5, v13, s5
	v_cmp_eq_u32_e64 s5, 3, v77
	v_cndmask_b32_e64 v13, v22, v6, s8
	v_cmp_eq_u32_e64 s8, 3, v81
	v_cndmask_b32_e64 v1, v1, v2, s4
	v_cndmask_b32_e64 v2, v5, v6, s4
	;; [unrolled: 1-line block ×3, first 2 shown]
	v_cmp_eq_u32_e64 s4, 4, v77
	v_cndmask_b32_e64 v6, v13, v14, s5
	v_cndmask_b32_e64 v1, v1, v10, s8
	v_cmp_eq_u32_e64 s5, 4, v81
	v_cndmask_b32_e64 v2, v2, v14, s8
	v_cndmask_b32_e64 v5, v9, v3, s4
	;; [unrolled: 3-line block ×3, first 2 shown]
	v_cndmask_b32_e64 v2, v2, v7, s5
	v_cmp_eq_u32_e64 s4, 5, v81
	v_cmp_eq_u32_e64 s6, 6, v78
	v_cndmask_b32_e64 v5, v5, v11, s8
	v_cmp_eq_u32_e64 s5, 6, v77
	v_cndmask_b32_e64 v3, v6, v15, s8
	v_cndmask_b32_e64 v1, v1, v11, s4
	v_cmp_eq_u32_e64 s8, 6, v81
	v_cndmask_b32_e64 v2, v2, v15, s4
	v_cndmask_b32_e64 v17, v17, v4, s6
	v_cndmask_b32_e64 v18, v18, v8, s6
	v_cmp_eq_u32_e64 s6, 7, v78
	v_cndmask_b32_e64 v5, v5, v4, s5
	v_cndmask_b32_e64 v3, v3, v8, s5
	v_cndmask_b32_e64 v1, v1, v4, s8
	v_cmp_eq_u32_e64 s4, 7, v81
	v_cndmask_b32_e64 v2, v2, v8, s8
	v_cmp_eq_u32_e64 s5, 7, v77
	v_cndmask_b32_e32 v4, v20, v8, vcc_lo
	v_cndmask_b32_e64 v17, v17, v12, s6
	v_cndmask_b32_e64 v19, v19, v12, s7
	;; [unrolled: 1-line block ×8, first 2 shown]
	v_cmp_gt_u32_e32 vcc_lo, 32, v0
	v_perm_b32 v4, v2, v1, 0x5040100
	v_perm_b32 v3, v3, v5, 0x5040100
	;; [unrolled: 1-line block ×4, first 2 shown]
	s_and_b32 s2, vcc_lo, s2
	ds_store_b128 v76, v[1:4]
	s_waitcnt lgkmcnt(0)
	s_barrier
	buffer_gl0_inv
	s_and_saveexec_b32 s4, s2
	s_cbranch_execz .LBB1706_2
; %bb.111:
	s_load_b64 s[4:5], s[0:1], 0x68
	v_lshlrev_b32_e32 v0, 10, v0
	v_lshlrev_b32_e32 v1, 4, v75
	s_lshl_b32 s0, s36, 6
	v_add_nc_u32_e32 v18, s31, v74
	s_mul_i32 s1, s0, s34
	s_delay_alu instid0(VALU_DEP_2) | instskip(SKIP_1) | instid1(VALU_DEP_2)
	v_and_or_b32 v0, 0x3800, v0, v1
	s_mul_i32 s6, s1, s9
	v_mul_lo_u32 v1, v18, s0
	s_ashr_i32 s7, s6, 31
	v_add_nc_u32_e32 v2, 2, v18
	v_lshl_or_b32 v19, v74, 6, v0
	s_lshl_b64 s[6:7], s[6:7], 1
	v_add_nc_u32_e32 v8, 4, v18
	v_add_nc_u32_e32 v15, 6, v18
	v_mul_lo_u32 v7, v2, s0
	ds_load_b128 v[3:6], v19
	v_ashrrev_i32_e32 v2, 31, v1
	v_mul_lo_u32 v11, v8, s0
	s_waitcnt lgkmcnt(0)
	s_add_u32 s1, s4, s6
	s_addc_u32 s2, s5, s7
	s_lshl_b32 s4, s14, 6
	v_lshlrev_b64 v[9:10], 1, v[1:2]
	s_ashr_i32 s5, s4, 31
	v_ashrrev_i32_e32 v8, 31, v7
	s_lshl_b64 s[4:5], s[4:5], 1
	v_ashrrev_i32_e32 v12, 31, v11
	s_add_u32 s1, s1, s4
	s_addc_u32 s2, s2, s5
	v_add_co_u32 v1, s1, s1, v73
	s_delay_alu instid0(VALU_DEP_1) | instskip(SKIP_1) | instid1(VALU_DEP_3)
	v_add_co_ci_u32_e64 v2, null, s2, 0, s1
	v_mul_lo_u32 v15, v15, s0
	v_add_co_u32 v13, vcc_lo, v1, v9
	s_delay_alu instid0(VALU_DEP_3)
	v_add_co_ci_u32_e32 v14, vcc_lo, v2, v10, vcc_lo
	v_lshlrev_b64 v[16:17], 1, v[7:8]
	ds_load_b128 v[7:10], v19 offset:128
	global_store_b128 v[13:14], v[3:6], off
	v_add_nc_u32_e32 v5, 8, v18
	v_lshlrev_b64 v[3:4], 1, v[11:12]
	v_add_co_u32 v23, vcc_lo, v1, v16
	v_ashrrev_i32_e32 v16, 31, v15
	s_delay_alu instid0(VALU_DEP_4) | instskip(SKIP_3) | instid1(VALU_DEP_3)
	v_mul_lo_u32 v25, v5, s0
	v_add_nc_u32_e32 v5, 10, v18
	v_add_co_ci_u32_e32 v24, vcc_lo, v2, v17, vcc_lo
	v_add_co_u32 v27, vcc_lo, v1, v3
	v_mul_lo_u32 v29, v5, s0
	v_add_co_ci_u32_e32 v28, vcc_lo, v2, v4, vcc_lo
	v_lshlrev_b64 v[31:32], 1, v[15:16]
	ds_load_b128 v[3:6], v19 offset:256
	ds_load_b128 v[11:14], v19 offset:384
	;; [unrolled: 1-line block ×4, first 2 shown]
	v_ashrrev_i32_e32 v26, 31, v25
	v_ashrrev_i32_e32 v30, 31, v29
	v_add_co_u32 v31, vcc_lo, v1, v31
	s_delay_alu instid0(VALU_DEP_3) | instskip(SKIP_1) | instid1(VALU_DEP_4)
	v_lshlrev_b64 v[25:26], 1, v[25:26]
	v_add_co_ci_u32_e32 v32, vcc_lo, v2, v32, vcc_lo
	v_lshlrev_b64 v[29:30], 1, v[29:30]
	s_delay_alu instid0(VALU_DEP_3) | instskip(NEXT) | instid1(VALU_DEP_4)
	v_add_co_u32 v25, vcc_lo, v1, v25
	v_add_co_ci_u32_e32 v26, vcc_lo, v2, v26, vcc_lo
	s_delay_alu instid0(VALU_DEP_3) | instskip(NEXT) | instid1(VALU_DEP_4)
	v_add_co_u32 v29, vcc_lo, v1, v29
	v_add_co_ci_u32_e32 v30, vcc_lo, v2, v30, vcc_lo
	s_waitcnt lgkmcnt(4)
	global_store_b128 v[23:24], v[7:10], off
	s_waitcnt lgkmcnt(3)
	global_store_b128 v[27:28], v[3:6], off
	;; [unrolled: 2-line block ×5, first 2 shown]
	s_and_b32 exec_lo, exec_lo, s3
	s_cbranch_execz .LBB1706_2
; %bb.112:
	ds_load_b128 v[3:6], v0 offset:768
	s_add_i32 s1, s31, 12
	s_delay_alu instid0(SALU_CYCLE_1) | instskip(NEXT) | instid1(SALU_CYCLE_1)
	s_mul_i32 s0, s1, s0
	s_ashr_i32 s1, s0, 31
	s_delay_alu instid0(SALU_CYCLE_1) | instskip(NEXT) | instid1(SALU_CYCLE_1)
	s_lshl_b64 s[0:1], s[0:1], 1
	v_add_co_u32 v0, vcc_lo, v1, s0
	v_add_co_ci_u32_e32 v1, vcc_lo, s1, v2, vcc_lo
	s_waitcnt lgkmcnt(0)
	global_store_b128 v[0:1], v[3:6], off
	s_nop 0
	s_sendmsg sendmsg(MSG_DEALLOC_VGPRS)
	s_endpgm
	.section	.rodata,"a",@progbits
	.p2align	6, 0x0
	.amdhsa_kernel _Z39paged_attention_ll4mi_QKV_mfma16_kernelI14__hip_bfloat16hLN4vllm18Fp8KVCacheDataTypeE1ES0_Li16ELi64ELi256ELb1ELi13EL8MFMAType0EEvPKT_PKT0_S9_ifPKiSB_SB_iPKfiiiPfSE_PS4_PT2_iSD_SD_
		.amdhsa_group_segment_fixed_size 17472
		.amdhsa_private_segment_fixed_size 0
		.amdhsa_kernarg_size 400
		.amdhsa_user_sgpr_count 13
		.amdhsa_user_sgpr_dispatch_ptr 0
		.amdhsa_user_sgpr_queue_ptr 0
		.amdhsa_user_sgpr_kernarg_segment_ptr 1
		.amdhsa_user_sgpr_dispatch_id 0
		.amdhsa_user_sgpr_private_segment_size 0
		.amdhsa_wavefront_size32 1
		.amdhsa_uses_dynamic_stack 0
		.amdhsa_enable_private_segment 0
		.amdhsa_system_sgpr_workgroup_id_x 1
		.amdhsa_system_sgpr_workgroup_id_y 1
		.amdhsa_system_sgpr_workgroup_id_z 1
		.amdhsa_system_sgpr_workgroup_info 0
		.amdhsa_system_vgpr_workitem_id 0
		.amdhsa_next_free_vgpr 124
		.amdhsa_next_free_sgpr 40
		.amdhsa_reserve_vcc 1
		.amdhsa_float_round_mode_32 0
		.amdhsa_float_round_mode_16_64 0
		.amdhsa_float_denorm_mode_32 3
		.amdhsa_float_denorm_mode_16_64 3
		.amdhsa_dx10_clamp 1
		.amdhsa_ieee_mode 1
		.amdhsa_fp16_overflow 0
		.amdhsa_workgroup_processor_mode 1
		.amdhsa_memory_ordered 1
		.amdhsa_forward_progress 0
		.amdhsa_shared_vgpr_count 0
		.amdhsa_exception_fp_ieee_invalid_op 0
		.amdhsa_exception_fp_denorm_src 0
		.amdhsa_exception_fp_ieee_div_zero 0
		.amdhsa_exception_fp_ieee_overflow 0
		.amdhsa_exception_fp_ieee_underflow 0
		.amdhsa_exception_fp_ieee_inexact 0
		.amdhsa_exception_int_div_zero 0
	.end_amdhsa_kernel
	.section	.text._Z39paged_attention_ll4mi_QKV_mfma16_kernelI14__hip_bfloat16hLN4vllm18Fp8KVCacheDataTypeE1ES0_Li16ELi64ELi256ELb1ELi13EL8MFMAType0EEvPKT_PKT0_S9_ifPKiSB_SB_iPKfiiiPfSE_PS4_PT2_iSD_SD_,"axG",@progbits,_Z39paged_attention_ll4mi_QKV_mfma16_kernelI14__hip_bfloat16hLN4vllm18Fp8KVCacheDataTypeE1ES0_Li16ELi64ELi256ELb1ELi13EL8MFMAType0EEvPKT_PKT0_S9_ifPKiSB_SB_iPKfiiiPfSE_PS4_PT2_iSD_SD_,comdat
.Lfunc_end1706:
	.size	_Z39paged_attention_ll4mi_QKV_mfma16_kernelI14__hip_bfloat16hLN4vllm18Fp8KVCacheDataTypeE1ES0_Li16ELi64ELi256ELb1ELi13EL8MFMAType0EEvPKT_PKT0_S9_ifPKiSB_SB_iPKfiiiPfSE_PS4_PT2_iSD_SD_, .Lfunc_end1706-_Z39paged_attention_ll4mi_QKV_mfma16_kernelI14__hip_bfloat16hLN4vllm18Fp8KVCacheDataTypeE1ES0_Li16ELi64ELi256ELb1ELi13EL8MFMAType0EEvPKT_PKT0_S9_ifPKiSB_SB_iPKfiiiPfSE_PS4_PT2_iSD_SD_
                                        ; -- End function
	.section	.AMDGPU.csdata,"",@progbits
; Kernel info:
; codeLenInByte = 8908
; NumSgprs: 42
; NumVgprs: 124
; ScratchSize: 0
; MemoryBound: 0
; FloatMode: 240
; IeeeMode: 1
; LDSByteSize: 17472 bytes/workgroup (compile time only)
; SGPRBlocks: 5
; VGPRBlocks: 15
; NumSGPRsForWavesPerEU: 42
; NumVGPRsForWavesPerEU: 124
; Occupancy: 10
; WaveLimiterHint : 1
; COMPUTE_PGM_RSRC2:SCRATCH_EN: 0
; COMPUTE_PGM_RSRC2:USER_SGPR: 13
; COMPUTE_PGM_RSRC2:TRAP_HANDLER: 0
; COMPUTE_PGM_RSRC2:TGID_X_EN: 1
; COMPUTE_PGM_RSRC2:TGID_Y_EN: 1
; COMPUTE_PGM_RSRC2:TGID_Z_EN: 1
; COMPUTE_PGM_RSRC2:TIDIG_COMP_CNT: 0
	.section	.text._Z39paged_attention_ll4mi_QKV_mfma16_kernelI14__hip_bfloat16hLN4vllm18Fp8KVCacheDataTypeE1ES0_Li16ELi64ELi256ELb1ELi14EL8MFMAType0EEvPKT_PKT0_S9_ifPKiSB_SB_iPKfiiiPfSE_PS4_PT2_iSD_SD_,"axG",@progbits,_Z39paged_attention_ll4mi_QKV_mfma16_kernelI14__hip_bfloat16hLN4vllm18Fp8KVCacheDataTypeE1ES0_Li16ELi64ELi256ELb1ELi14EL8MFMAType0EEvPKT_PKT0_S9_ifPKiSB_SB_iPKfiiiPfSE_PS4_PT2_iSD_SD_,comdat
	.protected	_Z39paged_attention_ll4mi_QKV_mfma16_kernelI14__hip_bfloat16hLN4vllm18Fp8KVCacheDataTypeE1ES0_Li16ELi64ELi256ELb1ELi14EL8MFMAType0EEvPKT_PKT0_S9_ifPKiSB_SB_iPKfiiiPfSE_PS4_PT2_iSD_SD_ ; -- Begin function _Z39paged_attention_ll4mi_QKV_mfma16_kernelI14__hip_bfloat16hLN4vllm18Fp8KVCacheDataTypeE1ES0_Li16ELi64ELi256ELb1ELi14EL8MFMAType0EEvPKT_PKT0_S9_ifPKiSB_SB_iPKfiiiPfSE_PS4_PT2_iSD_SD_
	.globl	_Z39paged_attention_ll4mi_QKV_mfma16_kernelI14__hip_bfloat16hLN4vllm18Fp8KVCacheDataTypeE1ES0_Li16ELi64ELi256ELb1ELi14EL8MFMAType0EEvPKT_PKT0_S9_ifPKiSB_SB_iPKfiiiPfSE_PS4_PT2_iSD_SD_
	.p2align	8
	.type	_Z39paged_attention_ll4mi_QKV_mfma16_kernelI14__hip_bfloat16hLN4vllm18Fp8KVCacheDataTypeE1ES0_Li16ELi64ELi256ELb1ELi14EL8MFMAType0EEvPKT_PKT0_S9_ifPKiSB_SB_iPKfiiiPfSE_PS4_PT2_iSD_SD_,@function
_Z39paged_attention_ll4mi_QKV_mfma16_kernelI14__hip_bfloat16hLN4vllm18Fp8KVCacheDataTypeE1ES0_Li16ELi64ELi256ELb1ELi14EL8MFMAType0EEvPKT_PKT0_S9_ifPKiSB_SB_iPKfiiiPfSE_PS4_PT2_iSD_SD_: ; @_Z39paged_attention_ll4mi_QKV_mfma16_kernelI14__hip_bfloat16hLN4vllm18Fp8KVCacheDataTypeE1ES0_Li16ELi64ELi256ELb1ELi14EL8MFMAType0EEvPKT_PKT0_S9_ifPKiSB_SB_iPKfiiiPfSE_PS4_PT2_iSD_SD_
; %bb.0:
	s_load_b64 s[2:3], s[0:1], 0x30
	s_mov_b32 s30, s13
	s_waitcnt lgkmcnt(0)
	s_cmp_lg_u64 s[2:3], 0
	s_cselect_b32 s8, -1, 0
	s_ashr_i32 s31, s13, 31
	s_cmp_eq_u64 s[2:3], 0
	s_cbranch_scc1 .LBB1707_3
; %bb.1:
	s_lshl_b64 s[4:5], s[30:31], 2
	s_delay_alu instid0(SALU_CYCLE_1) | instskip(SKIP_4) | instid1(SALU_CYCLE_1)
	s_add_u32 s4, s2, s4
	s_addc_u32 s5, s3, s5
	s_load_b64 s[4:5], s[4:5], 0x0
	s_waitcnt lgkmcnt(0)
	s_sub_i32 s4, s5, s4
	s_cmp_eq_u32 s4, 1
	s_cselect_b32 s4, -1, 0
	s_delay_alu instid0(SALU_CYCLE_1)
	s_and_not1_b32 vcc_lo, exec_lo, s4
	s_cbranch_vccz .LBB1707_4
.LBB1707_2:
	s_endpgm
.LBB1707_3:
.LBB1707_4:
	s_load_b64 s[4:5], s[0:1], 0x28
	s_lshl_b64 s[6:7], s[30:31], 2
	s_waitcnt lgkmcnt(0)
	s_add_u32 s4, s4, s6
	s_addc_u32 s5, s5, s7
	s_lshl_b32 s12, s14, 8
	s_load_b32 s24, s[4:5], 0x0
	s_waitcnt lgkmcnt(0)
	s_cmp_ge_i32 s12, s24
	s_cbranch_scc1 .LBB1707_2
; %bb.5:
	s_clause 0x1
	s_load_b128 s[20:23], s[0:1], 0x8
	s_load_b64 s[4:5], s[0:1], 0x20
	s_and_not1_b32 vcc_lo, exec_lo, s8
	s_cbranch_vccnz .LBB1707_7
; %bb.6:
	s_add_u32 s2, s2, s6
	s_addc_u32 s3, s3, s7
	s_load_b32 s3, s[2:3], 0x0
	s_branch .LBB1707_8
.LBB1707_7:
	s_mov_b32 s3, s30
.LBB1707_8:
	s_load_b128 s[16:19], s[0:1], 0x48
	v_and_b32_e32 v65, 15, v0
	v_cmp_gt_u32_e32 vcc_lo, 0xe0, v0
	v_lshrrev_b32_e32 v66, 5, v0
	v_and_b32_e32 v67, 31, v0
	v_and_b32_e32 v75, 1, v0
	v_lshlrev_b32_e32 v1, 3, v65
	v_cmp_gt_u32_e64 s2, 8, v65
	v_bfe_u32 v74, v0, 4, 1
	s_mul_i32 s31, s15, 14
	s_delay_alu instid0(VALU_DEP_3) | instskip(NEXT) | instid1(VALU_DEP_3)
	v_lshlrev_b32_e32 v73, 1, v1
	s_and_b32 s7, vcc_lo, s2
	s_delay_alu instid0(SALU_CYCLE_1)
	s_and_saveexec_b32 s6, s7
	s_cbranch_execz .LBB1707_10
; %bb.9:
	s_load_b64 s[8:9], s[0:1], 0x0
	v_lshl_or_b32 v5, v66, 1, v74
	s_waitcnt lgkmcnt(0)
	s_mul_hi_i32 s11, s3, s16
	s_mul_i32 s10, s3, s16
	v_lshlrev_b32_e32 v6, 10, v65
	s_lshl_b64 s[10:11], s[10:11], 1
	v_add_lshl_u32 v1, v5, s31, 6
	v_lshlrev_b32_e32 v5, 6, v5
	v_lshlrev_b32_e32 v7, 10, v75
	v_and_b32_e32 v6, 0x3800, v6
	s_delay_alu instid0(VALU_DEP_4) | instskip(NEXT) | instid1(VALU_DEP_2)
	v_ashrrev_i32_e32 v2, 31, v1
	v_or3_b32 v5, v6, v7, v5
	s_delay_alu instid0(VALU_DEP_2) | instskip(SKIP_2) | instid1(VALU_DEP_1)
	v_lshlrev_b64 v[1:2], 1, v[1:2]
	s_add_u32 s3, s8, s10
	s_addc_u32 s7, s9, s11
	v_add_co_u32 v1, vcc_lo, s3, v1
	s_delay_alu instid0(VALU_DEP_2) | instskip(NEXT) | instid1(VALU_DEP_2)
	v_add_co_ci_u32_e32 v2, vcc_lo, s7, v2, vcc_lo
	v_add_co_u32 v1, vcc_lo, v1, v73
	s_delay_alu instid0(VALU_DEP_2)
	v_add_co_ci_u32_e32 v2, vcc_lo, 0, v2, vcc_lo
	global_load_b128 v[1:4], v[1:2], off
	s_waitcnt vmcnt(0)
	ds_store_b128 v5, v[1:4]
.LBB1707_10:
	s_or_b32 exec_lo, exec_lo, s6
	v_and_b32_e32 v1, 0xef, v0
	s_waitcnt lgkmcnt(0)
	s_add_i32 s3, s24, 15
	s_clause 0x1
	s_load_b32 s6, s[0:1], 0x38
	s_load_b32 s19, s[0:1], 0x1c
	s_ashr_i32 s7, s3, 31
	v_add_nc_u32_e32 v1, s12, v1
	s_lshr_b32 s7, s7, 28
	s_waitcnt lgkmcnt(0)
	s_add_i32 s3, s3, s7
	s_barrier
	v_ashrrev_i32_e32 v2, 31, v1
	v_or_b32_e32 v3, 16, v1
	s_ashr_i32 s3, s3, 4
	v_cmp_gt_i32_e32 vcc_lo, s24, v1
	s_add_i32 s3, s3, -1
	v_lshrrev_b32_e32 v2, 28, v2
	buffer_gl0_inv
	s_mul_i32 s27, s15, s18
	v_add_nc_u32_e32 v4, v1, v2
	s_mul_i32 s6, s30, s6
	s_delay_alu instid0(SALU_CYCLE_1) | instskip(NEXT) | instid1(VALU_DEP_1)
	s_ashr_i32 s7, s6, 31
	v_ashrrev_i32_e32 v4, 4, v4
	v_add_nc_u32_e32 v2, v3, v2
	s_lshl_b64 s[6:7], s[6:7], 2
	s_delay_alu instid0(SALU_CYCLE_1) | instskip(NEXT) | instid1(VALU_DEP_2)
	s_add_u32 s26, s4, s6
	v_cndmask_b32_e32 v1, s3, v4, vcc_lo
	s_delay_alu instid0(VALU_DEP_2)
	v_ashrrev_i32_e32 v2, 4, v2
	v_cmp_gt_i32_e32 vcc_lo, s24, v3
	s_addc_u32 s25, s5, s7
	s_ashr_i32 s28, s27, 31
	s_add_u32 s13, s20, s27
	s_addc_u32 s15, s21, s28
	v_cndmask_b32_e32 v3, s3, v2, vcc_lo
	v_ashrrev_i32_e32 v2, 31, v1
	s_lshl_b32 s4, s14, 4
	s_delay_alu instid0(SALU_CYCLE_1) | instskip(NEXT) | instid1(VALU_DEP_2)
	s_ashr_i32 s5, s4, 31
	v_ashrrev_i32_e32 v4, 31, v3
	s_delay_alu instid0(VALU_DEP_2) | instskip(SKIP_1) | instid1(SALU_CYCLE_1)
	v_lshlrev_b64 v[1:2], 2, v[1:2]
	s_lshl_b64 s[4:5], s[4:5], 2
	s_add_u32 s4, s26, s4
	s_delay_alu instid0(VALU_DEP_2) | instskip(SKIP_1) | instid1(VALU_DEP_2)
	v_lshlrev_b64 v[3:4], 2, v[3:4]
	s_addc_u32 s5, s25, s5
	v_add_co_u32 v1, vcc_lo, s26, v1
	v_add_co_ci_u32_e32 v2, vcc_lo, s25, v2, vcc_lo
	s_delay_alu instid0(VALU_DEP_3) | instskip(NEXT) | instid1(VALU_DEP_4)
	v_add_co_u32 v3, vcc_lo, s26, v3
	v_add_co_ci_u32_e32 v4, vcc_lo, s25, v4, vcc_lo
	s_clause 0x1
	global_load_b32 v5, v[1:2], off
	global_load_b32 v7, v[3:4], off
	s_or_b32 s6, s12, 32
	v_lshlrev_b32_e32 v1, 4, v0
	s_ashr_i32 s7, s6, 4
	s_cmp_lt_i32 s6, s24
	v_cmp_gt_u32_e32 vcc_lo, 14, v65
	s_cselect_b32 s6, s7, s3
	v_and_b32_e32 v1, 0xf0, v1
	s_ashr_i32 s7, s6, 31
	s_delay_alu instid0(SALU_CYCLE_1) | instskip(NEXT) | instid1(SALU_CYCLE_1)
	s_lshl_b64 s[6:7], s[6:7], 2
	s_add_u32 s6, s26, s6
	s_addc_u32 s7, s25, s7
	s_or_b32 s8, s12, 64
	v_add_co_u32 v1, s13, s13, v1
	s_ashr_i32 s9, s8, 4
	s_cmp_lt_i32 s8, s24
	v_add_co_ci_u32_e64 v2, null, s15, 0, s13
	s_cselect_b32 s8, s9, s3
	s_delay_alu instid0(SALU_CYCLE_1) | instskip(NEXT) | instid1(SALU_CYCLE_1)
	s_ashr_i32 s9, s8, 31
	s_lshl_b64 s[8:9], s[8:9], 2
	s_delay_alu instid0(SALU_CYCLE_1) | instskip(SKIP_2) | instid1(SALU_CYCLE_1)
	s_add_u32 s8, s26, s8
	s_addc_u32 s9, s25, s9
	s_or_b32 s10, s12, 0x60
	s_ashr_i32 s11, s10, 4
	s_cmp_lt_i32 s10, s24
	s_cselect_b32 s10, s11, s3
	s_delay_alu instid0(SALU_CYCLE_1) | instskip(NEXT) | instid1(SALU_CYCLE_1)
	s_ashr_i32 s11, s10, 31
	s_lshl_b64 s[10:11], s[10:11], 2
	s_delay_alu instid0(SALU_CYCLE_1) | instskip(SKIP_2) | instid1(SALU_CYCLE_1)
	s_add_u32 s10, s26, s10
	s_addc_u32 s11, s25, s11
	s_or_b32 s16, s12, 0x80
	s_ashr_i32 s18, s16, 4
	s_cmp_lt_i32 s16, s24
	s_cselect_b32 s20, s18, s3
	s_delay_alu instid0(SALU_CYCLE_1) | instskip(NEXT) | instid1(SALU_CYCLE_1)
	s_ashr_i32 s21, s20, 31
	s_lshl_b64 s[20:21], s[20:21], 2
	s_delay_alu instid0(SALU_CYCLE_1) | instskip(SKIP_2) | instid1(SALU_CYCLE_1)
	s_add_u32 s34, s26, s20
	s_addc_u32 s35, s25, s21
	s_or_b32 s16, s12, 0xa0
	s_ashr_i32 s18, s16, 4
	s_cmp_lt_i32 s16, s24
	s_cselect_b32 s20, s18, s3
	s_delay_alu instid0(SALU_CYCLE_1) | instskip(NEXT) | instid1(SALU_CYCLE_1)
	s_ashr_i32 s21, s20, 31
	s_lshl_b64 s[20:21], s[20:21], 2
	s_delay_alu instid0(SALU_CYCLE_1)
	s_add_u32 s36, s26, s20
	s_addc_u32 s37, s25, s21
	s_clause 0x5
	s_load_b32 s21, s[4:5], 0x0
	s_load_b32 s13, s[6:7], 0x0
	;; [unrolled: 1-line block ×6, first 2 shown]
	s_or_b32 s8, s12, 0xc0
	s_mov_b32 s4, 0
	s_ashr_i32 s9, s8, 4
	s_cmp_lt_i32 s8, s24
	s_mov_b32 s11, s4
	s_cselect_b32 s34, s9, s3
	s_mov_b32 s5, s4
	s_ashr_i32 s35, s34, 31
	s_mov_b32 s6, s4
	s_lshl_b64 s[34:35], s[34:35], 2
	s_mov_b32 s7, s4
	s_add_u32 s34, s26, s34
	s_addc_u32 s35, s25, s35
	s_or_b32 s29, s12, 0xe0
	s_mov_b32 s8, s4
	s_ashr_i32 s33, s29, 4
	s_mov_b32 s9, s4
	s_mov_b32 s10, s4
	s_cmp_lt_i32 s29, s24
	v_dual_mov_b32 v107, s11 :: v_dual_mov_b32 v100, s4
	v_mov_b32_e32 v106, s10
	v_dual_mov_b32 v104, s8 :: v_dual_mov_b32 v103, s7
	v_dual_mov_b32 v102, s6 :: v_dual_mov_b32 v101, s5
	s_waitcnt vmcnt(1)
	v_mad_i64_i32 v[3:4], null, v5, s17, v[1:2]
	s_waitcnt vmcnt(0)
	v_mad_i64_i32 v[5:6], null, v7, s17, v[1:2]
	v_add_nc_u32_e32 v1, -14, v65
	v_lshlrev_b32_e32 v2, 4, v65
	s_clause 0x7
	global_load_b128 v[49:52], v[3:4], off
	global_load_b128 v[53:56], v[3:4], off offset:256
	global_load_b128 v[76:79], v[5:6], off
	global_load_b128 v[80:83], v[5:6], off offset:256
	global_load_b128 v[84:87], v[3:4], off offset:512
	;; [unrolled: 1-line block ×5, first 2 shown]
	v_cndmask_b32_e32 v1, v1, v65, vcc_lo
	v_mov_b32_e32 v105, s9
	s_cselect_b32 s4, s33, s3
	v_lshl_or_b32 v2, v66, 8, v2
	s_ashr_i32 s5, s4, 31
	v_lshlrev_b32_e32 v70, 6, v1
	s_lshl_b64 s[4:5], s[4:5], 2
	s_load_b32 s3, s[34:35], 0x0
	s_add_u32 s4, s26, s4
	s_addc_u32 s5, s25, s5
	ds_load_b128 v[108:111], v70
	ds_load_b128 v[112:115], v70 offset:1024
	s_load_b32 s4, s[4:5], 0x0
	s_add_u32 s6, s22, s27
	s_addc_u32 s7, s23, s28
	v_add_co_u32 v9, s6, s6, v2
	s_delay_alu instid0(VALU_DEP_1) | instskip(SKIP_1) | instid1(VALU_DEP_1)
	v_add_co_ci_u32_e64 v10, null, s7, 0, s6
	s_waitcnt lgkmcnt(0)
	v_mad_i64_i32 v[1:2], null, s21, s17, v[9:10]
	v_mad_i64_i32 v[3:4], null, s13, s17, v[9:10]
	;; [unrolled: 1-line block ×7, first 2 shown]
	s_clause 0x9
	global_load_b128 v[57:60], v[1:2], off
	global_load_b128 v[61:64], v[1:2], off offset:16
	global_load_b128 v[41:44], v[3:4], off
	global_load_b128 v[45:48], v[3:4], off offset:16
	;; [unrolled: 2-line block ×5, first 2 shown]
	v_mad_i64_i32 v[68:69], null, s4, s17, v[9:10]
	s_clause 0x3
	global_load_b128 v[9:12], v[13:14], off
	global_load_b128 v[13:16], v[13:14], off offset:16
	global_load_b128 v[17:20], v[21:22], off
	global_load_b128 v[21:24], v[21:22], off offset:16
	s_waitcnt vmcnt(20)
	v_wmma_f32_16x16x16_bf16 v[116:123], v[49:56], v[108:115], v[100:107]
	s_clause 0x1
	global_load_b128 v[49:52], v[68:69], off
	global_load_b128 v[53:56], v[68:69], off offset:16
	v_and_b32_e32 v68, 0xe0, v0
	v_mbcnt_lo_u32_b32 v69, -1, 0
	s_delay_alu instid0(VALU_DEP_2)
	v_add_nc_u32_e32 v68, s12, v68
	s_waitcnt vmcnt(20)
	v_wmma_f32_16x16x16_bf16 v[100:107], v[76:83], v[108:115], v[100:107]
	ds_load_b128 v[76:79], v70 offset:2048
	ds_load_b128 v[80:83], v70 offset:3072
	v_xor_b32_e32 v70, 16, v69
	s_waitcnt vmcnt(0) lgkmcnt(0)
	v_or_b32_e32 v68, v68, v74
	s_barrier
	buffer_gl0_inv
	v_cmp_gt_i32_e32 vcc_lo, 32, v70
	v_or_b32_e32 v71, 4, v68
	v_or_b32_e32 v72, 6, v68
	v_cmp_gt_i32_e64 s3, s24, v68
	v_or_b32_e32 v108, 8, v68
	v_or_b32_e32 v109, 10, v68
	v_cmp_gt_i32_e64 s4, s24, v71
	v_cmp_gt_i32_e64 s5, s24, v72
	s_delay_alu instid0(VALU_DEP_4) | instskip(NEXT) | instid1(VALU_DEP_4)
	v_cmp_gt_i32_e64 s6, s24, v108
	v_cmp_gt_i32_e64 s7, s24, v109
	v_wmma_f32_16x16x16_bf16 v[116:123], v[84:91], v[76:83], v[116:123]
	v_cndmask_b32_e32 v69, v69, v70, vcc_lo
	v_or_b32_e32 v70, 2, v68
	v_wmma_f32_16x16x16_bf16 v[100:107], v[92:99], v[76:83], v[100:107]
	v_or_b32_e32 v89, 22, v68
	v_dual_mul_f32 v82, s19, v119 :: v_dual_mul_f32 v79, s19, v122
	v_dual_mul_f32 v92, s19, v117 :: v_dual_mul_f32 v93, s19, v116
	s_delay_alu instid0(VALU_DEP_4) | instskip(SKIP_2) | instid1(VALU_DEP_4)
	v_mul_f32_e32 v98, s19, v103
	v_cmp_gt_i32_e32 vcc_lo, s24, v70
	v_dual_mul_f32 v83, s19, v118 :: v_dual_mul_f32 v96, s19, v105
	v_cndmask_b32_e64 v93, 0xff7fffff, v93, s3
	v_or_b32_e32 v84, 12, v68
	v_cndmask_b32_e32 v92, 0xff7fffff, v92, vcc_lo
	v_or_b32_e32 v85, 14, v68
	v_dual_mul_f32 v80, s19, v121 :: v_dual_mul_f32 v81, s19, v120
	v_mul_f32_e32 v94, s19, v107
	v_cndmask_b32_e64 v71, 0xff7fffff, v83, s4
	v_cndmask_b32_e64 v72, 0xff7fffff, v82, s5
	v_cmp_gt_i32_e64 s13, s24, v89
	v_lshlrev_b32_e32 v89, 2, v69
	v_max3_f32 v82, v93, 0xff7fffff, v92
	v_or_b32_e32 v86, 16, v68
	v_or_b32_e32 v87, 18, v68
	v_mul_f32_e32 v78, s19, v123
	v_cndmask_b32_e64 v81, 0xff7fffff, v81, s6
	v_cndmask_b32_e64 v80, 0xff7fffff, v80, s7
	v_max3_f32 v71, v82, v71, v72
	v_cmp_gt_i32_e64 s8, s24, v84
	v_cmp_gt_i32_e64 s9, s24, v85
	v_or_b32_e32 v88, 20, v68
	v_or_b32_e32 v90, 24, v68
	;; [unrolled: 1-line block ×5, first 2 shown]
	v_dual_mul_f32 v95, s19, v106 :: v_dual_mul_f32 v70, s19, v101
	v_dual_mul_f32 v99, s19, v102 :: v_dual_mul_f32 v68, s19, v100
	v_cndmask_b32_e64 v72, 0xff7fffff, v79, s8
	v_cndmask_b32_e64 v78, 0xff7fffff, v78, s9
	v_max3_f32 v71, v71, v81, v80
	v_cmp_gt_i32_e64 s10, s24, v86
	v_cmp_gt_i32_e64 s11, s24, v87
	v_cmp_gt_i32_e64 s12, s24, v88
	v_mul_f32_e32 v97, s19, v104
	v_max3_f32 v71, v71, v72, v78
	v_cndmask_b32_e64 v68, 0xff7fffff, v68, s10
	v_cndmask_b32_e64 v70, 0xff7fffff, v70, s11
	;; [unrolled: 1-line block ×4, first 2 shown]
	v_cmp_gt_i32_e64 s15, s24, v90
	v_cmp_gt_i32_e64 s16, s24, v91
	v_max3_f32 v68, v71, v68, v70
	v_cmp_gt_i32_e64 s17, s24, v76
	v_cmp_gt_i32_e64 s18, s24, v77
	v_cndmask_b32_e64 v70, 0xff7fffff, v97, s15
	v_cndmask_b32_e64 v71, 0xff7fffff, v96, s16
	v_max3_f32 v68, v68, v72, v78
	v_cndmask_b32_e64 v72, 0xff7fffff, v95, s17
	v_cndmask_b32_e64 v76, 0xff7fffff, v94, s18
	s_delay_alu instid0(VALU_DEP_3) | instskip(NEXT) | instid1(VALU_DEP_1)
	v_max3_f32 v68, v68, v70, v71
	v_max3_f32 v68, v68, v72, v76
	ds_bpermute_b32 v69, v89, v68
	s_waitcnt lgkmcnt(0)
	v_max_f32_e32 v69, v69, v69
	s_delay_alu instid0(VALU_DEP_1) | instskip(NEXT) | instid1(VALU_DEP_1)
	v_max_f32_e32 v68, v68, v69
	v_fma_f32 v69, s19, v116, -v68
	v_fma_f32 v70, s19, v117, -v68
	;; [unrolled: 1-line block ×5, first 2 shown]
	s_delay_alu instid0(VALU_DEP_4) | instskip(NEXT) | instid1(VALU_DEP_4)
	v_dual_mul_f32 v69, 0x3fb8aa3b, v69 :: v_dual_mul_f32 v70, 0x3fb8aa3b, v70
	v_mul_f32_e32 v72, 0x3fb8aa3b, v72
	v_fma_f32 v78, s19, v122, -v68
	s_delay_alu instid0(VALU_DEP_4) | instskip(NEXT) | instid1(VALU_DEP_4)
	v_mul_f32_e32 v77, 0x3fb8aa3b, v76
	v_exp_f32_e32 v69, v69
	v_exp_f32_e32 v70, v70
	v_mul_f32_e32 v71, 0x3fb8aa3b, v71
	v_exp_f32_e32 v72, v72
	v_mul_f32_e32 v78, 0x3fb8aa3b, v78
	v_exp_f32_e32 v77, v77
	v_fma_f32 v81, s19, v105, -v68
	s_delay_alu instid0(VALU_DEP_2)
	v_exp_f32_e32 v78, v78
	v_cndmask_b32_e64 v80, 0, v69, s3
	v_cndmask_b32_e32 v76, 0, v70, vcc_lo
	v_exp_f32_e32 v71, v71
	v_fma_f32 v69, s19, v121, -v68
	v_cndmask_b32_e64 v85, 0, v72, s5
	v_add_f32_e32 v70, 0, v80
	s_delay_alu instid0(TRANS32_DEP_3)
	v_cndmask_b32_e64 v86, 0, v77, s6
	v_fma_f32 v77, s19, v101, -v68
	v_mul_f32_e32 v69, 0x3fb8aa3b, v69
	v_fma_f32 v72, s19, v100, -v68
	v_cndmask_b32_e64 v84, 0, v78, s8
	v_fma_f32 v78, s19, v103, -v68
	v_cndmask_b32_e64 v83, 0, v71, s4
	v_fma_f32 v71, s19, v123, -v68
	v_add_f32_e32 v70, v70, v76
	v_exp_f32_e32 v69, v69
	v_mul_f32_e32 v77, 0x3fb8aa3b, v77
	v_mul_f32_e32 v81, 0x3fb8aa3b, v81
	v_mul_f32_e32 v71, 0x3fb8aa3b, v71
	v_add_f32_e32 v70, v70, v83
	s_mov_b32 s3, exec_lo
	v_exp_f32_e32 v77, v77
	v_exp_f32_e32 v81, v81
	v_exp_f32_e32 v71, v71
	v_cndmask_b32_e64 v87, 0, v69, s7
	v_add_f32_e32 v70, v70, v85
	s_delay_alu instid0(VALU_DEP_1) | instskip(SKIP_1) | instid1(VALU_DEP_2)
	v_dual_mul_f32 v72, 0x3fb8aa3b, v72 :: v_dual_add_f32 v69, v70, v86
	v_fma_f32 v70, s19, v102, -v68
	v_exp_f32_e32 v72, v72
	s_waitcnt_depctr 0xfff
	v_cndmask_b32_e64 v88, 0, v71, s9
	v_fma_f32 v71, s19, v104, -v68
	v_dual_add_f32 v69, v69, v87 :: v_dual_mul_f32 v70, 0x3fb8aa3b, v70
	s_delay_alu instid0(VALU_DEP_2) | instskip(NEXT) | instid1(VALU_DEP_2)
	v_dual_mul_f32 v78, 0x3fb8aa3b, v78 :: v_dual_mul_f32 v71, 0x3fb8aa3b, v71
	v_add_f32_e32 v69, v69, v84
	s_delay_alu instid0(VALU_DEP_3) | instskip(SKIP_1) | instid1(VALU_DEP_3)
	v_exp_f32_e32 v79, v70
	v_cndmask_b32_e64 v70, 0, v72, s10
	v_exp_f32_e32 v78, v78
	v_exp_f32_e32 v82, v71
	v_add_f32_e32 v72, v69, v88
	v_cndmask_b32_e64 v69, 0, v77, s11
	v_fma_f32 v77, s19, v106, -v68
	s_delay_alu instid0(VALU_DEP_3) | instskip(NEXT) | instid1(TRANS32_DEP_3)
	v_add_f32_e32 v72, v72, v70
	v_cndmask_b32_e64 v71, 0, v79, s12
	s_delay_alu instid0(VALU_DEP_3) | instskip(NEXT) | instid1(VALU_DEP_3)
	v_mul_f32_e32 v77, 0x3fb8aa3b, v77
	v_add_f32_e32 v79, v72, v69
	s_delay_alu instid0(TRANS32_DEP_2) | instskip(NEXT) | instid1(VALU_DEP_3)
	v_cndmask_b32_e64 v72, 0, v78, s13
	v_exp_f32_e32 v90, v77
	v_cndmask_b32_e64 v77, 0, v82, s15
	s_delay_alu instid0(VALU_DEP_3) | instskip(SKIP_1) | instid1(VALU_DEP_1)
	v_add_f32_e32 v78, v79, v71
	v_fma_f32 v79, s19, v107, -v68
	v_dual_add_f32 v82, v78, v72 :: v_dual_mul_f32 v79, 0x3fb8aa3b, v79
	v_cndmask_b32_e64 v78, 0, v81, s16
	s_delay_alu instid0(VALU_DEP_2) | instskip(NEXT) | instid1(VALU_DEP_3)
	v_add_f32_e32 v81, v82, v77
	v_exp_f32_e32 v82, v79
	s_delay_alu instid0(TRANS32_DEP_2) | instskip(NEXT) | instid1(VALU_DEP_2)
	v_cndmask_b32_e64 v79, 0, v90, s17
	v_add_f32_e32 v81, v81, v78
	s_delay_alu instid0(VALU_DEP_1) | instskip(SKIP_2) | instid1(VALU_DEP_1)
	v_add_f32_e32 v90, v81, v79
	s_waitcnt_depctr 0xfff
	v_cndmask_b32_e64 v81, 0, v82, s18
	v_add_f32_e32 v82, v90, v81
	ds_bpermute_b32 v89, v89, v82
	v_cmpx_gt_u32_e32 16, v67
	s_cbranch_execz .LBB1707_12
; %bb.11:
	v_mul_u32_u24_e32 v67, 0x44, v66
	s_delay_alu instid0(VALU_DEP_1) | instskip(SKIP_1) | instid1(VALU_DEP_1)
	v_lshl_add_u32 v67, v65, 2, v67
	s_waitcnt lgkmcnt(0)
	v_dual_add_f32 v82, v82, v89 :: v_dual_add_nc_u32 v67, 0x4000, v67
	ds_store_2addr_b32 v67, v68, v82 offset1:136
.LBB1707_12:
	s_or_b32 exec_lo, exec_lo, s3
	v_lshlrev_b32_e32 v67, 2, v65
	s_waitcnt lgkmcnt(0)
	s_barrier
	buffer_gl0_inv
	v_cmp_eq_u32_e32 vcc_lo, 1, v66
	v_add_nc_u32_e32 v82, 0x4000, v67
	v_cmp_eq_u32_e64 s3, 2, v66
	v_cmp_eq_u32_e64 s5, 7, v66
	ds_load_2addr_b32 v[89:90], v82 offset1:17
	ds_load_2addr_b32 v[91:92], v82 offset0:34 offset1:51
	ds_load_2addr_b32 v[93:94], v82 offset0:68 offset1:85
	;; [unrolled: 1-line block ×4, first 2 shown]
	s_waitcnt lgkmcnt(4)
	v_max3_f32 v67, v89, 0xff7fffff, v90
	s_waitcnt lgkmcnt(3)
	s_delay_alu instid0(VALU_DEP_1) | instskip(SKIP_1) | instid1(VALU_DEP_1)
	v_max3_f32 v67, v67, v91, v92
	s_waitcnt lgkmcnt(2)
	v_max3_f32 v67, v67, v93, v94
	s_waitcnt lgkmcnt(1)
	s_delay_alu instid0(VALU_DEP_1) | instskip(NEXT) | instid1(VALU_DEP_1)
	v_max3_f32 v67, v67, v95, v96
	v_sub_f32_e32 v93, v93, v67
	s_delay_alu instid0(VALU_DEP_1) | instskip(NEXT) | instid1(VALU_DEP_1)
	v_dual_sub_f32 v68, v89, v67 :: v_dual_mul_f32 v103, 0x3fb8aa3b, v93
	v_mul_f32_e32 v68, 0x3fb8aa3b, v68
	s_delay_alu instid0(VALU_DEP_1)
	v_exp_f32_e32 v100, v68
	v_sub_f32_e32 v68, v92, v67
	v_sub_f32_e32 v99, v90, v67
	ds_load_2addr_b32 v[89:90], v82 offset0:170 offset1:187
	v_dual_mul_f32 v102, 0x3fb8aa3b, v68 :: v_dual_mul_f32 v99, 0x3fb8aa3b, v99
	s_waitcnt lgkmcnt(1)
	v_fma_f32 v68, v100, v97, 0
	s_delay_alu instid0(VALU_DEP_2) | instskip(NEXT) | instid1(VALU_DEP_2)
	v_exp_f32_e32 v102, v102
	v_exp_f32_e32 v99, v99
	s_waitcnt_depctr 0xfff
	v_fmac_f32_e32 v68, v99, v98
	v_sub_f32_e32 v91, v91, v67
	s_delay_alu instid0(VALU_DEP_1)
	v_mul_f32_e32 v101, 0x3fb8aa3b, v91
	ds_load_2addr_b32 v[91:92], v82 offset0:204 offset1:221
	v_sub_f32_e32 v97, v94, v67
	ds_load_2addr_b32 v[93:94], v82 offset0:238 offset1:255
	s_waitcnt lgkmcnt(0)
	v_exp_f32_e32 v101, v101
	s_barrier
	buffer_gl0_inv
	v_dual_fmac_f32 v68, v101, v89 :: v_dual_sub_f32 v89, v96, v67
	v_dual_sub_f32 v82, v95, v67 :: v_dual_mul_f32 v95, 0x3fb8aa3b, v97
	v_exp_f32_e32 v97, v103
	s_delay_alu instid0(VALU_DEP_2) | instskip(NEXT) | instid1(VALU_DEP_2)
	v_dual_fmac_f32 v68, v102, v90 :: v_dual_mul_f32 v89, 0x3fb8aa3b, v89
	v_mul_f32_e32 v82, 0x3fb8aa3b, v82
	s_delay_alu instid0(VALU_DEP_3) | instskip(NEXT) | instid1(VALU_DEP_2)
	v_exp_f32_e32 v95, v95
	v_exp_f32_e32 v89, v89
	s_delay_alu instid0(VALU_DEP_1)
	v_exp_f32_e32 v82, v82
	v_fmac_f32_e32 v68, v97, v91
	s_delay_alu instid0(TRANS32_DEP_3) | instid1(VALU_DEP_1)
	v_fmac_f32_e32 v68, v95, v92
	s_waitcnt_depctr 0xfff
	v_fmac_f32_e32 v68, v82, v93
	s_delay_alu instid0(VALU_DEP_1) | instskip(NEXT) | instid1(VALU_DEP_1)
	v_fmac_f32_e32 v68, v89, v94
	v_add_f32_e32 v90, 0x358637bd, v68
	s_delay_alu instid0(VALU_DEP_1) | instskip(NEXT) | instid1(VALU_DEP_1)
	v_div_scale_f32 v91, null, v90, v90, 1.0
	v_rcp_f32_e32 v92, v91
	s_waitcnt_depctr 0xfff
	v_fma_f32 v93, -v91, v92, 1.0
	s_delay_alu instid0(VALU_DEP_1) | instskip(SKIP_1) | instid1(VALU_DEP_2)
	v_dual_fmac_f32 v92, v93, v92 :: v_dual_cndmask_b32 v93, v100, v99
	v_cmp_eq_u32_e32 vcc_lo, 3, v66
	v_cndmask_b32_e64 v93, v93, v101, s3
	v_cmp_eq_u32_e64 s3, 4, v66
	s_delay_alu instid0(VALU_DEP_2) | instskip(SKIP_1) | instid1(VALU_DEP_2)
	v_cndmask_b32_e32 v93, v93, v102, vcc_lo
	v_cmp_eq_u32_e32 vcc_lo, 5, v66
	v_cndmask_b32_e64 v93, v93, v97, s3
	v_cmp_eq_u32_e64 s3, 6, v66
	s_delay_alu instid0(VALU_DEP_2) | instskip(SKIP_1) | instid1(VALU_DEP_1)
	v_cndmask_b32_e32 v93, v93, v95, vcc_lo
	v_div_scale_f32 v94, s4, 1.0, v90, 1.0
	s_mov_b32 vcc_lo, s4
	s_delay_alu instid0(VALU_DEP_2) | instskip(NEXT) | instid1(VALU_DEP_2)
	v_cndmask_b32_e64 v82, v93, v82, s3
	v_mul_f32_e32 v96, v94, v92
	s_mov_b32 s3, exec_lo
	s_delay_alu instid0(VALU_DEP_2) | instskip(NEXT) | instid1(VALU_DEP_2)
	v_cndmask_b32_e64 v82, v82, v89, s5
	v_fma_f32 v98, -v91, v96, v94
	s_delay_alu instid0(VALU_DEP_1) | instskip(NEXT) | instid1(VALU_DEP_1)
	v_fmac_f32_e32 v96, v98, v92
	v_fma_f32 v91, -v91, v96, v94
	s_delay_alu instid0(VALU_DEP_1) | instskip(NEXT) | instid1(VALU_DEP_1)
	v_div_fmas_f32 v91, v91, v92, v96
	v_div_fixup_f32 v90, v91, v90, 1.0
	s_delay_alu instid0(VALU_DEP_1) | instskip(NEXT) | instid1(VALU_DEP_1)
	v_mul_f32_e32 v82, v82, v90
	v_mul_f32_e32 v87, v82, v87
	;; [unrolled: 1-line block ×7, first 2 shown]
	v_dual_mul_f32 v86, v82, v83 :: v_dual_and_b32 v91, 0x7f800000, v90
	v_mul_f32_e32 v85, v82, v76
                                        ; implicit-def: $vgpr76
	s_delay_alu instid0(VALU_DEP_2)
	v_cmpx_ne_u32_e32 0x7f800000, v91
	s_xor_b32 s3, exec_lo, s3
; %bb.13:
	v_bfe_u32 v76, v90, 16, 1
	s_delay_alu instid0(VALU_DEP_1)
	v_add3_u32 v76, v90, v76, 0x7fff
                                        ; implicit-def: $vgpr90
; %bb.14:
	s_and_not1_saveexec_b32 s3, s3
; %bb.15:
	v_and_b32_e32 v76, 0xffff, v90
	v_or_b32_e32 v83, 0x10000, v90
	s_delay_alu instid0(VALU_DEP_2) | instskip(NEXT) | instid1(VALU_DEP_2)
	v_cmp_eq_u32_e32 vcc_lo, 0, v76
	v_cndmask_b32_e32 v76, v83, v90, vcc_lo
; %bb.16:
	s_or_b32 exec_lo, exec_lo, s3
	v_and_b32_e32 v83, 0x7f800000, v85
	s_delay_alu instid0(VALU_DEP_1) | instskip(SKIP_1) | instid1(SALU_CYCLE_1)
	v_cmp_ne_u32_e32 vcc_lo, 0x7f800000, v83
                                        ; implicit-def: $vgpr83
	s_and_saveexec_b32 s3, vcc_lo
	s_xor_b32 s3, exec_lo, s3
; %bb.17:
	v_bfe_u32 v83, v85, 16, 1
	s_delay_alu instid0(VALU_DEP_1)
	v_add3_u32 v83, v85, v83, 0x7fff
                                        ; implicit-def: $vgpr85
; %bb.18:
	s_and_not1_saveexec_b32 s3, s3
; %bb.19:
	v_and_b32_e32 v83, 0xffff, v85
	v_or_b32_e32 v90, 0x10000, v85
	s_delay_alu instid0(VALU_DEP_2) | instskip(NEXT) | instid1(VALU_DEP_2)
	v_cmp_eq_u32_e32 vcc_lo, 0, v83
	v_cndmask_b32_e32 v83, v90, v85, vcc_lo
; %bb.20:
	s_or_b32 exec_lo, exec_lo, s3
	v_and_b32_e32 v85, 0x7f800000, v86
	s_delay_alu instid0(VALU_DEP_1) | instskip(SKIP_1) | instid1(SALU_CYCLE_1)
	v_cmp_ne_u32_e32 vcc_lo, 0x7f800000, v85
                                        ; implicit-def: $vgpr85
	s_and_saveexec_b32 s3, vcc_lo
	s_xor_b32 s3, exec_lo, s3
; %bb.21:
	v_bfe_u32 v85, v86, 16, 1
	s_delay_alu instid0(VALU_DEP_1)
	v_add3_u32 v85, v86, v85, 0x7fff
                                        ; implicit-def: $vgpr86
; %bb.22:
	s_and_not1_saveexec_b32 s3, s3
; %bb.23:
	v_and_b32_e32 v85, 0xffff, v86
	v_or_b32_e32 v90, 0x10000, v86
	s_delay_alu instid0(VALU_DEP_2) | instskip(NEXT) | instid1(VALU_DEP_2)
	v_cmp_eq_u32_e32 vcc_lo, 0, v85
	v_cndmask_b32_e32 v85, v90, v86, vcc_lo
; %bb.24:
	s_or_b32 exec_lo, exec_lo, s3
	v_and_b32_e32 v86, 0x7f800000, v89
	s_delay_alu instid0(VALU_DEP_1) | instskip(SKIP_1) | instid1(SALU_CYCLE_1)
	v_cmp_ne_u32_e32 vcc_lo, 0x7f800000, v86
                                        ; implicit-def: $vgpr86
	s_and_saveexec_b32 s3, vcc_lo
	s_xor_b32 s3, exec_lo, s3
; %bb.25:
	v_bfe_u32 v86, v89, 16, 1
	s_delay_alu instid0(VALU_DEP_1)
	v_add3_u32 v86, v89, v86, 0x7fff
                                        ; implicit-def: $vgpr89
; %bb.26:
	s_and_not1_saveexec_b32 s3, s3
; %bb.27:
	v_and_b32_e32 v86, 0xffff, v89
	v_or_b32_e32 v90, 0x10000, v89
	s_delay_alu instid0(VALU_DEP_2) | instskip(NEXT) | instid1(VALU_DEP_2)
	v_cmp_eq_u32_e32 vcc_lo, 0, v86
	v_cndmask_b32_e32 v86, v90, v89, vcc_lo
; %bb.28:
	s_or_b32 exec_lo, exec_lo, s3
	v_and_b32_e32 v89, 0x7f800000, v88
	s_delay_alu instid0(VALU_DEP_1) | instskip(SKIP_1) | instid1(SALU_CYCLE_1)
	v_cmp_ne_u32_e32 vcc_lo, 0x7f800000, v89
                                        ; implicit-def: $vgpr89
	s_and_saveexec_b32 s3, vcc_lo
	s_xor_b32 s3, exec_lo, s3
; %bb.29:
	v_bfe_u32 v89, v88, 16, 1
	s_delay_alu instid0(VALU_DEP_1)
	v_add3_u32 v89, v88, v89, 0x7fff
                                        ; implicit-def: $vgpr88
; %bb.30:
	s_and_not1_saveexec_b32 s3, s3
; %bb.31:
	v_and_b32_e32 v89, 0xffff, v88
	v_or_b32_e32 v90, 0x10000, v88
	s_delay_alu instid0(VALU_DEP_2) | instskip(NEXT) | instid1(VALU_DEP_2)
	v_cmp_eq_u32_e32 vcc_lo, 0, v89
	v_cndmask_b32_e32 v89, v90, v88, vcc_lo
; %bb.32:
	s_or_b32 exec_lo, exec_lo, s3
	v_and_b32_e32 v88, 0x7f800000, v87
	s_delay_alu instid0(VALU_DEP_1) | instskip(SKIP_1) | instid1(SALU_CYCLE_1)
	v_cmp_ne_u32_e32 vcc_lo, 0x7f800000, v88
                                        ; implicit-def: $vgpr88
	s_and_saveexec_b32 s3, vcc_lo
	s_xor_b32 s3, exec_lo, s3
; %bb.33:
	v_bfe_u32 v88, v87, 16, 1
	s_delay_alu instid0(VALU_DEP_1)
	v_add3_u32 v88, v87, v88, 0x7fff
                                        ; implicit-def: $vgpr87
; %bb.34:
	s_and_not1_saveexec_b32 s3, s3
; %bb.35:
	v_and_b32_e32 v88, 0xffff, v87
	v_or_b32_e32 v90, 0x10000, v87
	s_delay_alu instid0(VALU_DEP_2) | instskip(NEXT) | instid1(VALU_DEP_2)
	v_cmp_eq_u32_e32 vcc_lo, 0, v88
	v_cndmask_b32_e32 v88, v90, v87, vcc_lo
; %bb.36:
	s_or_b32 exec_lo, exec_lo, s3
	v_and_b32_e32 v87, 0x7f800000, v84
	s_delay_alu instid0(VALU_DEP_1) | instskip(SKIP_1) | instid1(SALU_CYCLE_1)
	v_cmp_ne_u32_e32 vcc_lo, 0x7f800000, v87
                                        ; implicit-def: $vgpr87
	s_and_saveexec_b32 s3, vcc_lo
	s_xor_b32 s3, exec_lo, s3
; %bb.37:
	v_bfe_u32 v87, v84, 16, 1
	s_delay_alu instid0(VALU_DEP_1)
	v_add3_u32 v87, v84, v87, 0x7fff
                                        ; implicit-def: $vgpr84
; %bb.38:
	s_and_not1_saveexec_b32 s3, s3
; %bb.39:
	v_and_b32_e32 v87, 0xffff, v84
	v_or_b32_e32 v90, 0x10000, v84
	s_delay_alu instid0(VALU_DEP_2) | instskip(NEXT) | instid1(VALU_DEP_2)
	v_cmp_eq_u32_e32 vcc_lo, 0, v87
	v_cndmask_b32_e32 v87, v90, v84, vcc_lo
; %bb.40:
	s_or_b32 exec_lo, exec_lo, s3
	v_and_b32_e32 v84, 0x7f800000, v80
	s_delay_alu instid0(VALU_DEP_1) | instskip(SKIP_1) | instid1(SALU_CYCLE_1)
	v_cmp_ne_u32_e32 vcc_lo, 0x7f800000, v84
                                        ; implicit-def: $vgpr84
	s_and_saveexec_b32 s3, vcc_lo
	s_xor_b32 s3, exec_lo, s3
; %bb.41:
	v_bfe_u32 v84, v80, 16, 1
	s_delay_alu instid0(VALU_DEP_1)
	v_add3_u32 v84, v80, v84, 0x7fff
                                        ; implicit-def: $vgpr80
; %bb.42:
	s_and_not1_saveexec_b32 s3, s3
; %bb.43:
	v_and_b32_e32 v84, 0xffff, v80
	v_or_b32_e32 v90, 0x10000, v80
	s_delay_alu instid0(VALU_DEP_2) | instskip(NEXT) | instid1(VALU_DEP_2)
	v_cmp_eq_u32_e32 vcc_lo, 0, v84
	v_cndmask_b32_e32 v84, v90, v80, vcc_lo
; %bb.44:
	s_or_b32 exec_lo, exec_lo, s3
	s_load_b64 s[34:35], s[0:1], 0x94
	v_lshlrev_b32_e32 v91, 4, v74
	s_delay_alu instid0(VALU_DEP_2)
	v_perm_b32 v90, v84, v87, 0x7060302
	v_dual_mul_f32 v79, v82, v79 :: v_dual_lshlrev_b32 v80, 6, v65
	v_dual_mul_f32 v77, v82, v77 :: v_dual_lshlrev_b32 v92, 11, v66
	v_mul_f32_e32 v84, v82, v70
	v_perm_b32 v89, v88, v89, 0x7060302
	v_perm_b32 v88, v86, v85, 0x7060302
	;; [unrolled: 1-line block ×3, first 2 shown]
	v_mul_f32_e32 v70, v82, v81
	v_or3_b32 v76, v91, v92, v80
	v_dual_mul_f32 v78, v82, v78 :: v_dual_and_b32 v85, 0x7f800000, v84
	v_mul_f32_e32 v83, v82, v72
	v_mul_f32_e32 v81, v82, v71
	;; [unrolled: 1-line block ×3, first 2 shown]
	s_mov_b32 s3, exec_lo
	ds_store_b128 v76, v[87:90]
                                        ; implicit-def: $vgpr69
	v_cmpx_ne_u32_e32 0x7f800000, v85
	s_xor_b32 s3, exec_lo, s3
; %bb.45:
	v_bfe_u32 v69, v84, 16, 1
	s_delay_alu instid0(VALU_DEP_1)
	v_add3_u32 v69, v84, v69, 0x7fff
                                        ; implicit-def: $vgpr84
; %bb.46:
	s_and_not1_saveexec_b32 s3, s3
; %bb.47:
	v_and_b32_e32 v69, 0xffff, v84
	v_or_b32_e32 v71, 0x10000, v84
	s_delay_alu instid0(VALU_DEP_2) | instskip(NEXT) | instid1(VALU_DEP_2)
	v_cmp_eq_u32_e32 vcc_lo, 0, v69
	v_cndmask_b32_e32 v69, v71, v84, vcc_lo
; %bb.48:
	s_or_b32 exec_lo, exec_lo, s3
	v_and_b32_e32 v71, 0x7f800000, v72
	s_delay_alu instid0(VALU_DEP_1) | instskip(SKIP_1) | instid1(SALU_CYCLE_1)
	v_cmp_ne_u32_e32 vcc_lo, 0x7f800000, v71
                                        ; implicit-def: $vgpr71
	s_and_saveexec_b32 s3, vcc_lo
	s_xor_b32 s3, exec_lo, s3
; %bb.49:
	v_bfe_u32 v71, v72, 16, 1
	s_delay_alu instid0(VALU_DEP_1)
	v_add3_u32 v71, v72, v71, 0x7fff
                                        ; implicit-def: $vgpr72
; %bb.50:
	s_and_not1_saveexec_b32 s3, s3
; %bb.51:
	v_and_b32_e32 v71, 0xffff, v72
	v_or_b32_e32 v82, 0x10000, v72
	s_delay_alu instid0(VALU_DEP_2) | instskip(NEXT) | instid1(VALU_DEP_2)
	v_cmp_eq_u32_e32 vcc_lo, 0, v71
	v_cndmask_b32_e32 v71, v82, v72, vcc_lo
; %bb.52:
	s_or_b32 exec_lo, exec_lo, s3
	v_and_b32_e32 v72, 0x7f800000, v81
	s_delay_alu instid0(VALU_DEP_1) | instskip(SKIP_1) | instid1(SALU_CYCLE_1)
	v_cmp_ne_u32_e32 vcc_lo, 0x7f800000, v72
                                        ; implicit-def: $vgpr72
	s_and_saveexec_b32 s3, vcc_lo
	s_xor_b32 s3, exec_lo, s3
; %bb.53:
	v_bfe_u32 v72, v81, 16, 1
	s_delay_alu instid0(VALU_DEP_1)
	v_add3_u32 v72, v81, v72, 0x7fff
                                        ; implicit-def: $vgpr81
; %bb.54:
	s_and_not1_saveexec_b32 s3, s3
; %bb.55:
	v_and_b32_e32 v72, 0xffff, v81
	v_or_b32_e32 v82, 0x10000, v81
	s_delay_alu instid0(VALU_DEP_2) | instskip(NEXT) | instid1(VALU_DEP_2)
	v_cmp_eq_u32_e32 vcc_lo, 0, v72
	v_cndmask_b32_e32 v72, v82, v81, vcc_lo
; %bb.56:
	s_or_b32 exec_lo, exec_lo, s3
	v_and_b32_e32 v81, 0x7f800000, v83
	s_delay_alu instid0(VALU_DEP_1) | instskip(SKIP_1) | instid1(SALU_CYCLE_1)
	v_cmp_ne_u32_e32 vcc_lo, 0x7f800000, v81
                                        ; implicit-def: $vgpr81
	s_and_saveexec_b32 s3, vcc_lo
	s_xor_b32 s3, exec_lo, s3
; %bb.57:
	v_bfe_u32 v81, v83, 16, 1
	s_delay_alu instid0(VALU_DEP_1)
	v_add3_u32 v81, v83, v81, 0x7fff
                                        ; implicit-def: $vgpr83
; %bb.58:
	s_and_not1_saveexec_b32 s3, s3
; %bb.59:
	v_and_b32_e32 v81, 0xffff, v83
	v_or_b32_e32 v82, 0x10000, v83
	s_delay_alu instid0(VALU_DEP_2) | instskip(NEXT) | instid1(VALU_DEP_2)
	v_cmp_eq_u32_e32 vcc_lo, 0, v81
	v_cndmask_b32_e32 v81, v82, v83, vcc_lo
; %bb.60:
	s_or_b32 exec_lo, exec_lo, s3
	v_and_b32_e32 v82, 0x7f800000, v77
	s_delay_alu instid0(VALU_DEP_1) | instskip(SKIP_1) | instid1(SALU_CYCLE_1)
	v_cmp_ne_u32_e32 vcc_lo, 0x7f800000, v82
                                        ; implicit-def: $vgpr82
	s_and_saveexec_b32 s3, vcc_lo
	s_xor_b32 s3, exec_lo, s3
; %bb.61:
	v_bfe_u32 v82, v77, 16, 1
	s_delay_alu instid0(VALU_DEP_1)
	v_add3_u32 v82, v77, v82, 0x7fff
                                        ; implicit-def: $vgpr77
; %bb.62:
	s_and_not1_saveexec_b32 s3, s3
; %bb.63:
	v_and_b32_e32 v82, 0xffff, v77
	v_or_b32_e32 v83, 0x10000, v77
	s_delay_alu instid0(VALU_DEP_2) | instskip(NEXT) | instid1(VALU_DEP_2)
	v_cmp_eq_u32_e32 vcc_lo, 0, v82
	v_cndmask_b32_e32 v82, v83, v77, vcc_lo
; %bb.64:
	s_or_b32 exec_lo, exec_lo, s3
	v_and_b32_e32 v77, 0x7f800000, v78
	s_delay_alu instid0(VALU_DEP_1) | instskip(SKIP_1) | instid1(SALU_CYCLE_1)
	v_cmp_ne_u32_e32 vcc_lo, 0x7f800000, v77
                                        ; implicit-def: $vgpr77
	s_and_saveexec_b32 s3, vcc_lo
	s_xor_b32 s3, exec_lo, s3
; %bb.65:
	v_bfe_u32 v77, v78, 16, 1
	s_delay_alu instid0(VALU_DEP_1)
	v_add3_u32 v77, v78, v77, 0x7fff
                                        ; implicit-def: $vgpr78
; %bb.66:
	s_and_not1_saveexec_b32 s3, s3
; %bb.67:
	v_and_b32_e32 v77, 0xffff, v78
	v_or_b32_e32 v83, 0x10000, v78
	s_delay_alu instid0(VALU_DEP_2) | instskip(NEXT) | instid1(VALU_DEP_2)
	v_cmp_eq_u32_e32 vcc_lo, 0, v77
	v_cndmask_b32_e32 v77, v83, v78, vcc_lo
; %bb.68:
	s_or_b32 exec_lo, exec_lo, s3
	v_and_b32_e32 v78, 0x7f800000, v79
	s_delay_alu instid0(VALU_DEP_1) | instskip(SKIP_1) | instid1(SALU_CYCLE_1)
	v_cmp_ne_u32_e32 vcc_lo, 0x7f800000, v78
                                        ; implicit-def: $vgpr78
	s_and_saveexec_b32 s3, vcc_lo
	s_xor_b32 s3, exec_lo, s3
; %bb.69:
	v_bfe_u32 v78, v79, 16, 1
	s_delay_alu instid0(VALU_DEP_1)
	v_add3_u32 v78, v79, v78, 0x7fff
                                        ; implicit-def: $vgpr79
; %bb.70:
	s_and_not1_saveexec_b32 s3, s3
; %bb.71:
	v_and_b32_e32 v78, 0xffff, v79
	v_or_b32_e32 v83, 0x10000, v79
	s_delay_alu instid0(VALU_DEP_2) | instskip(NEXT) | instid1(VALU_DEP_2)
	v_cmp_eq_u32_e32 vcc_lo, 0, v78
	v_cndmask_b32_e32 v78, v83, v79, vcc_lo
; %bb.72:
	s_or_b32 exec_lo, exec_lo, s3
	v_and_b32_e32 v79, 0x7f800000, v70
	s_delay_alu instid0(VALU_DEP_1) | instskip(SKIP_1) | instid1(SALU_CYCLE_1)
	v_cmp_ne_u32_e32 vcc_lo, 0x7f800000, v79
                                        ; implicit-def: $vgpr79
	s_and_saveexec_b32 s3, vcc_lo
	s_xor_b32 s3, exec_lo, s3
; %bb.73:
	v_bfe_u32 v79, v70, 16, 1
	s_delay_alu instid0(VALU_DEP_1)
	v_add3_u32 v79, v70, v79, 0x7fff
                                        ; implicit-def: $vgpr70
; %bb.74:
	s_and_not1_saveexec_b32 s3, s3
; %bb.75:
	v_and_b32_e32 v79, 0xffff, v70
	v_or_b32_e32 v83, 0x10000, v70
	s_delay_alu instid0(VALU_DEP_2) | instskip(NEXT) | instid1(VALU_DEP_2)
	v_cmp_eq_u32_e32 vcc_lo, 0, v79
	v_cndmask_b32_e32 v79, v83, v70, vcc_lo
; %bb.76:
	s_or_b32 exec_lo, exec_lo, s3
	s_delay_alu instid0(VALU_DEP_1)
	v_perm_b32 v86, v79, v78, 0x7060302
	v_perm_b32 v85, v77, v82, 0x7060302
	;; [unrolled: 1-line block ×4, first 2 shown]
	v_lshl_or_b32 v82, v66, 11, v80
	ds_store_b128 v76, v[83:86] offset:1024
	s_waitcnt lgkmcnt(0)
	s_barrier
	buffer_gl0_inv
	ds_load_b128 v[69:72], v82
	ds_load_b128 v[83:86], v82 offset:16
	s_waitcnt lgkmcnt(1)
	v_lshrrev_b32_e32 v66, 16, v69
	s_waitcnt lgkmcnt(0)
	v_lshrrev_b32_e32 v91, 16, v83
	v_lshlrev_b32_e32 v78, 2, v74
	v_lshrrev_b32_e32 v95, 16, v70
	v_lshrrev_b32_e32 v98, 16, v84
	;; [unrolled: 1-line block ×4, first 2 shown]
	v_cmp_eq_u32_e32 vcc_lo, 1, v78
	v_lshrrev_b32_e32 v97, 16, v72
	v_lshrrev_b32_e32 v100, 16, v86
	v_cndmask_b32_e32 v87, v83, v91, vcc_lo
	v_or_b32_e32 v79, 1, v78
	v_cndmask_b32_e32 v81, v69, v66, vcc_lo
	v_cmp_eq_u32_e64 s4, 2, v78
	v_cmp_eq_u32_e64 s7, 3, v78
	;; [unrolled: 1-line block ×5, first 2 shown]
	v_cndmask_b32_e64 v81, v81, v70, s4
	v_cndmask_b32_e64 v87, v87, v84, s4
	v_cmp_eq_u32_e64 s8, 3, v79
	v_cndmask_b32_e64 v88, v69, v66, s3
	v_or_b32_e32 v77, 2, v78
	v_cndmask_b32_e64 v81, v81, v95, s7
	v_cndmask_b32_e64 v87, v87, v98, s7
	;; [unrolled: 1-line block ×4, first 2 shown]
	v_cmp_eq_u32_e64 s10, 5, v78
	v_cndmask_b32_e64 v81, v81, v71, s9
	v_cndmask_b32_e64 v87, v87, v85, s9
	v_cmp_eq_u32_e64 s11, 4, v79
	v_cndmask_b32_e64 v88, v88, v95, s8
	v_cmp_eq_u32_e64 s5, 1, v77
	v_cndmask_b32_e64 v89, v89, v84, s6
	v_cndmask_b32_e64 v81, v81, v96, s10
	v_cmp_eq_u32_e64 s12, 6, v78
	v_cndmask_b32_e64 v88, v88, v71, s11
	;; [unrolled: 3-line block ×3, first 2 shown]
	v_cndmask_b32_e64 v89, v89, v98, s8
	v_cndmask_b32_e64 v81, v81, v72, s12
	v_cmp_eq_u32_e64 s15, 7, v78
	v_cndmask_b32_e64 v88, v88, v96, s13
	v_cndmask_b32_e64 v87, v87, v86, s12
	v_cmp_eq_u32_e64 s16, 6, v79
	v_cmp_eq_u32_e64 s17, 2, v77
	v_cndmask_b32_e64 v89, v89, v85, s11
	v_cndmask_b32_e64 v101, v81, v97, s15
	;; [unrolled: 1-line block ×6, first 2 shown]
	v_cmp_eq_u32_e64 s18, 7, v79
	v_cmp_eq_u32_e64 s19, 3, v77
	v_cmp_eq_u32_e64 s20, 4, v77
	v_cmp_eq_u32_e64 s22, 5, v77
	v_cndmask_b32_e64 v87, v87, v84, s17
	v_cndmask_b32_e64 v103, v88, v97, s18
	;; [unrolled: 1-line block ×4, first 2 shown]
	v_or_b32_e32 v81, 3, v78
	v_cndmask_b32_e64 v93, v87, v98, s19
	v_cmp_eq_u32_e64 s24, 6, v77
	v_cndmask_b32_e64 v104, v88, v86, s16
	v_cndmask_b32_e64 v92, v89, v71, s20
	v_cmp_eq_u32_e64 s21, 1, v81
	ds_load_b128 v[87:90], v82 offset:1024
	v_cmp_eq_u32_e64 s23, 2, v81
	v_cmp_eq_u32_e64 s25, 3, v81
	v_cndmask_b32_e64 v105, v92, v96, s22
	v_cndmask_b32_e64 v66, v69, v66, s21
	;; [unrolled: 1-line block ×4, first 2 shown]
	ds_load_b128 v[91:94], v82 offset:1040
	v_cmp_eq_u32_e64 s26, 4, v81
	v_cndmask_b32_e64 v66, v66, v70, s23
	v_cmp_eq_u32_e64 s27, 7, v77
	v_cndmask_b32_e64 v70, v83, v84, s23
	v_cndmask_b32_e64 v84, v105, v72, s24
	v_cmp_eq_u32_e64 s28, 5, v81
	v_cndmask_b32_e64 v66, v66, v95, s25
	v_cmp_eq_u32_e64 s29, 6, v81
	v_cndmask_b32_e64 v70, v70, v98, s25
	v_cndmask_b32_e64 v69, v69, v99, s22
	;; [unrolled: 1-line block ×4, first 2 shown]
	s_waitcnt lgkmcnt(1)
	v_lshrrev_b32_e32 v95, 16, v87
	v_cndmask_b32_e64 v70, v70, v85, s26
	v_cndmask_b32_e64 v71, v84, v97, s27
	;; [unrolled: 1-line block ×4, first 2 shown]
	v_cndmask_b32_e32 v84, v87, v95, vcc_lo
	v_cndmask_b32_e64 v70, v70, v99, s28
	s_waitcnt lgkmcnt(0)
	v_lshrrev_b32_e32 v85, 16, v91
	v_lshrrev_b32_e32 v96, 16, v88
	v_cndmask_b32_e64 v98, v87, v95, s3
	v_cndmask_b32_e64 v84, v84, v88, s4
	;; [unrolled: 1-line block ×3, first 2 shown]
	v_cndmask_b32_e32 v99, v91, v85, vcc_lo
	v_cmp_eq_u32_e32 vcc_lo, 7, v81
	v_cndmask_b32_e64 v66, v66, v72, s29
	v_cndmask_b32_e64 v72, v84, v96, s7
	;; [unrolled: 1-line block ×3, first 2 shown]
	v_lshrrev_b32_e32 v98, 16, v92
	v_cndmask_b32_e32 v70, v70, v100, vcc_lo
	v_cndmask_b32_e64 v86, v99, v92, s4
	v_cndmask_b32_e64 v69, v69, v100, s27
	v_lshrrev_b32_e32 v100, 16, v93
	v_cndmask_b32_e64 v72, v72, v89, s9
	v_lshrrev_b32_e32 v99, 16, v89
	v_cndmask_b32_e64 v86, v86, v98, s7
	v_perm_b32 v71, v69, v71, 0x5040100
	v_cndmask_b32_e64 v84, v84, v96, s8
	s_delay_alu instid0(VALU_DEP_3) | instskip(NEXT) | instid1(VALU_DEP_2)
	v_cndmask_b32_e64 v86, v86, v93, s9
	v_cndmask_b32_e64 v84, v84, v89, s11
	s_delay_alu instid0(VALU_DEP_2) | instskip(NEXT) | instid1(VALU_DEP_1)
	v_cndmask_b32_e64 v86, v86, v100, s10
	v_cndmask_b32_e64 v69, v86, v94, s12
	;; [unrolled: 1-line block ×5, first 2 shown]
	s_delay_alu instid0(VALU_DEP_3) | instskip(NEXT) | instid1(VALU_DEP_3)
	v_cndmask_b32_e64 v86, v86, v88, s17
	v_cndmask_b32_e64 v87, v87, v88, s23
	s_delay_alu instid0(VALU_DEP_3) | instskip(NEXT) | instid1(VALU_DEP_3)
	v_cndmask_b32_e64 v88, v95, v92, s23
	v_cndmask_b32_e64 v86, v86, v96, s19
	;; [unrolled: 3-line block ×7, first 2 shown]
	s_delay_alu instid0(VALU_DEP_3) | instskip(SKIP_2) | instid1(VALU_DEP_2)
	v_cndmask_b32_e64 v88, v88, v94, s29
	v_cndmask_b32_e32 v66, v66, v97, vcc_lo
	v_cndmask_b32_e64 v97, v72, v99, s10
	v_perm_b32 v72, v70, v66, 0x5040100
	v_perm_b32 v70, v83, v103, 0x5040100
	v_cndmask_b32_e64 v103, v91, v85, s5
	v_cndmask_b32_e64 v85, v91, v85, s3
	;; [unrolled: 1-line block ×4, first 2 shown]
	v_lshrrev_b32_e32 v97, 16, v90
	v_cndmask_b32_e64 v91, v103, v92, s17
	v_cndmask_b32_e64 v85, v85, v92, s6
	;; [unrolled: 1-line block ×3, first 2 shown]
	s_mov_b32 s3, exec_lo
	v_cndmask_b32_e64 v83, v84, v97, s15
	v_cndmask_b32_e64 v91, v91, v98, s19
	;; [unrolled: 1-line block ×3, first 2 shown]
	v_lshrrev_b32_e32 v84, 16, v94
	v_cndmask_b32_e64 v66, v66, v97, s18
	v_cndmask_b32_e64 v90, v86, v97, s27
	;; [unrolled: 1-line block ×4, first 2 shown]
	v_dual_cndmask_b32 v86, v87, v97 :: v_dual_cndmask_b32 v87, v88, v84
	v_cndmask_b32_e64 v91, v69, v84, s15
	s_delay_alu instid0(VALU_DEP_4) | instskip(NEXT) | instid1(VALU_DEP_4)
	v_cndmask_b32_e64 v89, v89, v100, s22
	v_cndmask_b32_e64 v85, v85, v100, s13
	v_perm_b32 v69, v102, v101, 0x5040100
	v_perm_b32 v86, v87, v86, 0x5040100
	;; [unrolled: 1-line block ×3, first 2 shown]
	v_cndmask_b32_e64 v89, v89, v94, s24
	v_cndmask_b32_e64 v85, v85, v94, s16
	s_mul_i32 s8, s35, 14
	s_delay_alu instid0(VALU_DEP_2) | instskip(NEXT) | instid1(VALU_DEP_2)
	v_cndmask_b32_e64 v88, v89, v84, s27
	v_cndmask_b32_e64 v89, v85, v84, s18
	s_delay_alu instid0(VALU_DEP_2) | instskip(NEXT) | instid1(VALU_DEP_2)
	v_perm_b32 v85, v88, v90, 0x5040100
	v_perm_b32 v84, v89, v66, 0x5040100
	ds_store_b128 v76, v[69:72]
	ds_store_b128 v76, v[83:86] offset:1024
	v_cmpx_gt_u32_e32 14, v0
	s_cbranch_execz .LBB1707_78
; %bb.77:
	s_mul_i32 s4, s8, s30
	s_delay_alu instid0(SALU_CYCLE_1) | instskip(SKIP_1) | instid1(VALU_DEP_1)
	v_add3_u32 v69, s4, s31, v65
	s_load_b128 s[4:7], s[0:1], 0x58
	v_mad_u64_u32 v[65:66], null, v69, s34, s[14:15]
	s_delay_alu instid0(VALU_DEP_1) | instskip(NEXT) | instid1(VALU_DEP_1)
	v_ashrrev_i32_e32 v66, 31, v65
	v_lshlrev_b64 v[65:66], 2, v[65:66]
	s_waitcnt lgkmcnt(0)
	s_delay_alu instid0(VALU_DEP_1) | instskip(NEXT) | instid1(VALU_DEP_2)
	v_add_co_u32 v69, vcc_lo, s6, v65
	v_add_co_ci_u32_e32 v70, vcc_lo, s7, v66, vcc_lo
	v_add_co_u32 v65, vcc_lo, s4, v65
	v_add_co_ci_u32_e32 v66, vcc_lo, s5, v66, vcc_lo
	global_store_b32 v[69:70], v67, off
	global_store_b32 v[65:66], v68, off
.LBB1707_78:
	s_or_b32 exec_lo, exec_lo, s3
	s_waitcnt lgkmcnt(0)
	s_waitcnt_vscnt null, 0x0
	s_barrier
	buffer_gl0_inv
	ds_load_b128 v[83:86], v80
	ds_load_b128 v[87:90], v80 offset:16
	ds_load_b128 v[95:98], v80 offset:2064
	;; [unrolled: 1-line block ×3, first 2 shown]
	v_mov_b32_e32 v65, 0
	ds_load_b128 v[103:106], v80 offset:4112
	ds_load_b128 v[99:102], v80 offset:4096
	;; [unrolled: 1-line block ×4, first 2 shown]
	v_mov_b32_e32 v66, v65
	v_mov_b32_e32 v67, v65
	;; [unrolled: 1-line block ×7, first 2 shown]
	s_waitcnt lgkmcnt(6)
	s_delay_alu instid0(VALU_DEP_1)
	v_wmma_f32_16x16x16_bf16 v[65:72], v[57:64], v[83:90], v[65:72]
	ds_load_b128 v[61:64], v80 offset:8208
	ds_load_b128 v[57:60], v80 offset:8192
	s_waitcnt lgkmcnt(6)
	v_wmma_f32_16x16x16_bf16 v[65:72], v[41:48], v[91:98], v[65:72]
	ds_load_b128 v[45:48], v80 offset:10256
	ds_load_b128 v[41:44], v80 offset:10240
	s_waitcnt lgkmcnt(6)
	;; [unrolled: 4-line block ×4, first 2 shown]
	v_wmma_f32_16x16x16_bf16 v[65:72], v[1:8], v[57:64], v[65:72]
	s_waitcnt lgkmcnt(4)
	s_delay_alu instid0(VALU_DEP_1) | instskip(SKIP_1) | instid1(VALU_DEP_1)
	v_wmma_f32_16x16x16_bf16 v[65:72], v[9:16], v[41:48], v[65:72]
	s_waitcnt lgkmcnt(2)
	v_wmma_f32_16x16x16_bf16 v[65:72], v[17:24], v[33:40], v[65:72]
	s_waitcnt lgkmcnt(0)
	s_delay_alu instid0(VALU_DEP_1) | instskip(NEXT) | instid1(VALU_DEP_1)
	v_wmma_f32_16x16x16_bf16 v[65:72], v[49:56], v[25:32], v[65:72]
	v_and_b32_e32 v1, 0x7f800000, v65
	s_delay_alu instid0(VALU_DEP_1) | instskip(SKIP_1) | instid1(SALU_CYCLE_1)
	v_cmp_ne_u32_e32 vcc_lo, 0x7f800000, v1
                                        ; implicit-def: $vgpr1
	s_and_saveexec_b32 s3, vcc_lo
	s_xor_b32 s3, exec_lo, s3
; %bb.79:
	v_bfe_u32 v1, v65, 16, 1
	s_delay_alu instid0(VALU_DEP_1)
	v_add3_u32 v1, v65, v1, 0x7fff
; %bb.80:
	s_and_not1_saveexec_b32 s3, s3
; %bb.81:
	v_and_b32_e32 v1, 0xffff, v65
	v_or_b32_e32 v2, 0x10000, v65
	s_delay_alu instid0(VALU_DEP_2) | instskip(NEXT) | instid1(VALU_DEP_2)
	v_cmp_eq_u32_e32 vcc_lo, 0, v1
	v_cndmask_b32_e32 v1, v2, v65, vcc_lo
; %bb.82:
	s_or_b32 exec_lo, exec_lo, s3
	v_and_b32_e32 v2, 0x7f800000, v66
	s_delay_alu instid0(VALU_DEP_1) | instskip(SKIP_1) | instid1(SALU_CYCLE_1)
	v_cmp_ne_u32_e32 vcc_lo, 0x7f800000, v2
                                        ; implicit-def: $vgpr2
	s_and_saveexec_b32 s3, vcc_lo
	s_xor_b32 s3, exec_lo, s3
; %bb.83:
	v_bfe_u32 v2, v66, 16, 1
	s_delay_alu instid0(VALU_DEP_1)
	v_add3_u32 v2, v66, v2, 0x7fff
; %bb.84:
	s_and_not1_saveexec_b32 s3, s3
; %bb.85:
	v_and_b32_e32 v2, 0xffff, v66
	v_or_b32_e32 v3, 0x10000, v66
	s_delay_alu instid0(VALU_DEP_2) | instskip(NEXT) | instid1(VALU_DEP_2)
	v_cmp_eq_u32_e32 vcc_lo, 0, v2
	v_cndmask_b32_e32 v2, v3, v66, vcc_lo
; %bb.86:
	s_or_b32 exec_lo, exec_lo, s3
	v_and_b32_e32 v3, 0x7f800000, v67
	s_delay_alu instid0(VALU_DEP_1) | instskip(SKIP_1) | instid1(SALU_CYCLE_1)
	v_cmp_ne_u32_e32 vcc_lo, 0x7f800000, v3
                                        ; implicit-def: $vgpr3
	s_and_saveexec_b32 s3, vcc_lo
	s_xor_b32 s3, exec_lo, s3
; %bb.87:
	v_bfe_u32 v3, v67, 16, 1
	s_delay_alu instid0(VALU_DEP_1)
	v_add3_u32 v3, v67, v3, 0x7fff
; %bb.88:
	s_and_not1_saveexec_b32 s3, s3
; %bb.89:
	v_and_b32_e32 v3, 0xffff, v67
	v_or_b32_e32 v4, 0x10000, v67
	s_delay_alu instid0(VALU_DEP_2) | instskip(NEXT) | instid1(VALU_DEP_2)
	v_cmp_eq_u32_e32 vcc_lo, 0, v3
	v_cndmask_b32_e32 v3, v4, v67, vcc_lo
; %bb.90:
	s_or_b32 exec_lo, exec_lo, s3
	v_and_b32_e32 v4, 0x7f800000, v68
	s_delay_alu instid0(VALU_DEP_1) | instskip(SKIP_1) | instid1(SALU_CYCLE_1)
	v_cmp_ne_u32_e32 vcc_lo, 0x7f800000, v4
                                        ; implicit-def: $vgpr4
	s_and_saveexec_b32 s3, vcc_lo
	s_xor_b32 s3, exec_lo, s3
; %bb.91:
	v_bfe_u32 v4, v68, 16, 1
	s_delay_alu instid0(VALU_DEP_1)
	v_add3_u32 v4, v68, v4, 0x7fff
; %bb.92:
	s_and_not1_saveexec_b32 s3, s3
; %bb.93:
	v_and_b32_e32 v4, 0xffff, v68
	v_or_b32_e32 v5, 0x10000, v68
	s_delay_alu instid0(VALU_DEP_2) | instskip(NEXT) | instid1(VALU_DEP_2)
	v_cmp_eq_u32_e32 vcc_lo, 0, v4
	v_cndmask_b32_e32 v4, v5, v68, vcc_lo
; %bb.94:
	s_or_b32 exec_lo, exec_lo, s3
	v_and_b32_e32 v5, 0x7f800000, v69
	s_delay_alu instid0(VALU_DEP_1) | instskip(SKIP_1) | instid1(SALU_CYCLE_1)
	v_cmp_ne_u32_e32 vcc_lo, 0x7f800000, v5
                                        ; implicit-def: $vgpr5
	s_and_saveexec_b32 s3, vcc_lo
	s_xor_b32 s3, exec_lo, s3
; %bb.95:
	v_bfe_u32 v5, v69, 16, 1
	s_delay_alu instid0(VALU_DEP_1)
	v_add3_u32 v5, v69, v5, 0x7fff
; %bb.96:
	s_and_not1_saveexec_b32 s3, s3
; %bb.97:
	v_and_b32_e32 v5, 0xffff, v69
	v_or_b32_e32 v6, 0x10000, v69
	s_delay_alu instid0(VALU_DEP_2) | instskip(NEXT) | instid1(VALU_DEP_2)
	v_cmp_eq_u32_e32 vcc_lo, 0, v5
	v_cndmask_b32_e32 v5, v6, v69, vcc_lo
; %bb.98:
	s_or_b32 exec_lo, exec_lo, s3
	v_and_b32_e32 v6, 0x7f800000, v70
	s_delay_alu instid0(VALU_DEP_1) | instskip(SKIP_1) | instid1(SALU_CYCLE_1)
	v_cmp_ne_u32_e32 vcc_lo, 0x7f800000, v6
                                        ; implicit-def: $vgpr6
	s_and_saveexec_b32 s3, vcc_lo
	s_xor_b32 s3, exec_lo, s3
; %bb.99:
	v_bfe_u32 v6, v70, 16, 1
	s_delay_alu instid0(VALU_DEP_1)
	v_add3_u32 v6, v70, v6, 0x7fff
; %bb.100:
	s_and_not1_saveexec_b32 s3, s3
; %bb.101:
	v_and_b32_e32 v6, 0xffff, v70
	v_or_b32_e32 v7, 0x10000, v70
	s_delay_alu instid0(VALU_DEP_2) | instskip(NEXT) | instid1(VALU_DEP_2)
	v_cmp_eq_u32_e32 vcc_lo, 0, v6
	v_cndmask_b32_e32 v6, v7, v70, vcc_lo
; %bb.102:
	s_or_b32 exec_lo, exec_lo, s3
	v_and_b32_e32 v7, 0x7f800000, v71
	s_delay_alu instid0(VALU_DEP_1) | instskip(SKIP_1) | instid1(SALU_CYCLE_1)
	v_cmp_ne_u32_e32 vcc_lo, 0x7f800000, v7
                                        ; implicit-def: $vgpr7
	s_and_saveexec_b32 s3, vcc_lo
	s_xor_b32 s3, exec_lo, s3
; %bb.103:
	v_bfe_u32 v7, v71, 16, 1
	s_delay_alu instid0(VALU_DEP_1)
	v_add3_u32 v7, v71, v7, 0x7fff
; %bb.104:
	s_and_not1_saveexec_b32 s3, s3
; %bb.105:
	v_and_b32_e32 v7, 0xffff, v71
	v_or_b32_e32 v8, 0x10000, v71
	s_delay_alu instid0(VALU_DEP_2) | instskip(NEXT) | instid1(VALU_DEP_2)
	v_cmp_eq_u32_e32 vcc_lo, 0, v7
	v_cndmask_b32_e32 v7, v8, v71, vcc_lo
; %bb.106:
	s_or_b32 exec_lo, exec_lo, s3
	v_and_b32_e32 v8, 0x7f800000, v72
	s_delay_alu instid0(VALU_DEP_1) | instskip(SKIP_1) | instid1(SALU_CYCLE_1)
	v_cmp_ne_u32_e32 vcc_lo, 0x7f800000, v8
                                        ; implicit-def: $vgpr8
	s_and_saveexec_b32 s3, vcc_lo
	s_xor_b32 s3, exec_lo, s3
; %bb.107:
	v_bfe_u32 v8, v72, 16, 1
	s_delay_alu instid0(VALU_DEP_1)
	v_add3_u32 v8, v72, v8, 0x7fff
                                        ; implicit-def: $vgpr65_vgpr66_vgpr67_vgpr68_vgpr69_vgpr70_vgpr71_vgpr72
; %bb.108:
	s_and_not1_saveexec_b32 s3, s3
; %bb.109:
	v_and_b32_e32 v8, 0xffff, v72
	v_or_b32_e32 v9, 0x10000, v72
	s_delay_alu instid0(VALU_DEP_2) | instskip(NEXT) | instid1(VALU_DEP_2)
	v_cmp_eq_u32_e32 vcc_lo, 0, v8
	v_cndmask_b32_e32 v8, v9, v72, vcc_lo
; %bb.110:
	s_or_b32 exec_lo, exec_lo, s3
	s_delay_alu instid0(VALU_DEP_1)
	v_perm_b32 v7, v8, v7, 0x7060302
	v_perm_b32 v6, v6, v5, 0x7060302
	;; [unrolled: 1-line block ×4, first 2 shown]
	s_barrier
	buffer_gl0_inv
	v_cmp_eq_u32_e32 vcc_lo, 1, v78
	ds_store_b128 v76, v[4:7]
	s_waitcnt lgkmcnt(0)
	s_barrier
	buffer_gl0_inv
	ds_load_b128 v[1:4], v82
	ds_load_b128 v[5:8], v82 offset:16
	v_cmp_eq_u32_e64 s3, 1, v79
	v_cmp_eq_u32_e64 s4, 2, v78
	;; [unrolled: 1-line block ×5, first 2 shown]
	s_waitcnt lgkmcnt(1)
	v_lshrrev_b32_e32 v9, 16, v1
	s_waitcnt lgkmcnt(0)
	v_lshrrev_b32_e32 v13, 16, v5
	v_lshrrev_b32_e32 v10, 16, v2
	;; [unrolled: 1-line block ×4, first 2 shown]
	v_cndmask_b32_e64 v19, v1, v9, s3
	v_cndmask_b32_e32 v18, v5, v13, vcc_lo
	v_cndmask_b32_e64 v20, v5, v13, s3
	v_cndmask_b32_e32 v17, v1, v9, vcc_lo
	v_cmp_eq_u32_e32 vcc_lo, 2, v79
	v_lshrrev_b32_e32 v15, 16, v7
	v_cmp_eq_u32_e64 s3, 1, v77
	v_lshrrev_b32_e32 v12, 16, v4
	v_lshrrev_b32_e32 v16, 16, v8
	v_cndmask_b32_e32 v20, v20, v6, vcc_lo
	v_cndmask_b32_e64 v17, v17, v2, s4
	v_cndmask_b32_e32 v19, v19, v2, vcc_lo
	v_cndmask_b32_e64 v18, v18, v6, s4
	v_cmp_eq_u32_e32 vcc_lo, 4, v78
	v_cmp_eq_u32_e64 s4, 3, v79
	v_cndmask_b32_e64 v17, v17, v10, s5
	v_cndmask_b32_e64 v21, v1, v9, s3
	v_cndmask_b32_e64 v18, v18, v14, s5
	v_cndmask_b32_e64 v22, v5, v13, s3
	v_cndmask_b32_e64 v19, v19, v10, s4
	v_cndmask_b32_e32 v17, v17, v3, vcc_lo
	v_cndmask_b32_e64 v20, v20, v14, s4
	v_cndmask_b32_e32 v18, v18, v7, vcc_lo
	v_cmp_eq_u32_e32 vcc_lo, 4, v79
	v_cmp_eq_u32_e64 s4, 5, v79
	v_cmp_eq_u32_e64 s3, 2, v81
	v_cndmask_b32_e64 v21, v21, v2, s7
	v_cmp_eq_u32_e64 s5, 5, v78
	v_cndmask_b32_e32 v19, v19, v3, vcc_lo
	v_cndmask_b32_e32 v20, v20, v7, vcc_lo
	v_cmp_eq_u32_e32 vcc_lo, 6, v79
	s_delay_alu instid0(VALU_DEP_4) | instskip(NEXT) | instid1(VALU_DEP_4)
	v_cndmask_b32_e64 v17, v17, v11, s5
	v_cndmask_b32_e64 v19, v19, v11, s4
	s_delay_alu instid0(VALU_DEP_4) | instskip(SKIP_1) | instid1(VALU_DEP_3)
	v_cndmask_b32_e64 v20, v20, v15, s4
	v_cmp_eq_u32_e64 s4, 1, v81
	v_cndmask_b32_e32 v19, v19, v4, vcc_lo
	v_cndmask_b32_e64 v18, v18, v15, s5
	s_delay_alu instid0(VALU_DEP_3)
	v_cndmask_b32_e64 v1, v1, v9, s4
	v_cndmask_b32_e64 v5, v5, v13, s4
	v_cmp_eq_u32_e64 s4, 3, v77
	v_cndmask_b32_e64 v13, v22, v6, s7
	v_cmp_eq_u32_e64 s7, 3, v81
	v_cndmask_b32_e64 v1, v1, v2, s3
	v_cndmask_b32_e64 v2, v5, v6, s3
	;; [unrolled: 1-line block ×3, first 2 shown]
	v_cmp_eq_u32_e64 s3, 4, v77
	v_cndmask_b32_e64 v6, v13, v14, s4
	v_cndmask_b32_e64 v1, v1, v10, s7
	v_cmp_eq_u32_e64 s4, 4, v81
	v_cndmask_b32_e64 v2, v2, v14, s7
	v_cndmask_b32_e64 v5, v9, v3, s3
	;; [unrolled: 3-line block ×3, first 2 shown]
	v_cndmask_b32_e64 v2, v2, v7, s4
	v_cmp_eq_u32_e64 s3, 5, v81
	v_cmp_eq_u32_e64 s5, 6, v78
	v_cndmask_b32_e64 v5, v5, v11, s7
	v_cmp_eq_u32_e64 s4, 6, v77
	v_cndmask_b32_e64 v3, v6, v15, s7
	v_cndmask_b32_e64 v1, v1, v11, s3
	v_cmp_eq_u32_e64 s7, 6, v81
	v_cndmask_b32_e64 v2, v2, v15, s3
	v_cndmask_b32_e64 v17, v17, v4, s5
	v_cndmask_b32_e64 v18, v18, v8, s5
	v_cmp_eq_u32_e64 s5, 7, v78
	v_cndmask_b32_e64 v5, v5, v4, s4
	;; [unrolled: 4-line block ×3, first 2 shown]
	v_cmp_eq_u32_e64 s4, 7, v77
	v_cndmask_b32_e32 v4, v20, v8, vcc_lo
	v_cndmask_b32_e64 v17, v17, v12, s5
	v_cndmask_b32_e64 v19, v19, v12, s6
	;; [unrolled: 1-line block ×8, first 2 shown]
	v_cmp_gt_u32_e32 vcc_lo, 32, v0
	v_perm_b32 v4, v2, v1, 0x5040100
	v_perm_b32 v3, v3, v5, 0x5040100
	;; [unrolled: 1-line block ×4, first 2 shown]
	s_and_b32 s2, vcc_lo, s2
	ds_store_b128 v76, v[1:4]
	s_waitcnt lgkmcnt(0)
	s_barrier
	buffer_gl0_inv
	s_and_saveexec_b32 s3, s2
	s_cbranch_execz .LBB1707_2
; %bb.111:
	s_load_b64 s[0:1], s[0:1], 0x68
	v_lshlrev_b32_e32 v0, 10, v0
	s_lshl_b32 s4, s34, 6
	v_or_b32_e32 v3, s31, v74
	s_mul_i32 s2, s4, s30
	v_lshlrev_b32_e32 v1, 4, v75
	v_lshlrev_b32_e32 v2, 6, v74
	v_and_b32_e32 v0, 0x3800, v0
	s_mul_i32 s2, s2, s8
	v_mul_lo_u32 v8, v3, s4
	s_ashr_i32 s3, s2, 31
	s_delay_alu instid0(SALU_CYCLE_1)
	s_lshl_b64 s[2:3], s[2:3], 1
	v_or3_b32 v16, v0, v1, v2
	ds_load_b128 v[0:3], v16
	ds_load_b128 v[4:7], v16 offset:128
	v_ashrrev_i32_e32 v9, 31, v8
	s_waitcnt lgkmcnt(0)
	s_add_u32 s2, s0, s2
	s_addc_u32 s3, s1, s3
	s_lshl_b32 s0, s14, 6
	s_delay_alu instid0(SALU_CYCLE_1) | instskip(SKIP_2) | instid1(SALU_CYCLE_1)
	s_ashr_i32 s1, s0, 31
	v_lshlrev_b64 v[9:10], 1, v[8:9]
	s_lshl_b64 s[0:1], s[0:1], 1
	s_add_u32 s0, s2, s0
	s_addc_u32 s1, s3, s1
	s_lshl_b32 s2, s34, 7
	v_add_co_u32 v30, s0, s0, v73
	v_add_nc_u32_e32 v11, s2, v8
	v_add_co_ci_u32_e64 v31, null, s1, 0, s0
	s_delay_alu instid0(VALU_DEP_3) | instskip(NEXT) | instid1(VALU_DEP_3)
	v_add_co_u32 v9, vcc_lo, v30, v9
	v_add_nc_u32_e32 v8, s2, v11
	s_delay_alu instid0(VALU_DEP_3) | instskip(SKIP_1) | instid1(VALU_DEP_3)
	v_add_co_ci_u32_e32 v10, vcc_lo, v31, v10, vcc_lo
	v_ashrrev_i32_e32 v12, 31, v11
	v_add_nc_u32_e32 v13, s2, v8
	global_store_b128 v[9:10], v[0:3], off
	v_ashrrev_i32_e32 v9, 31, v8
	v_lshlrev_b64 v[11:12], 1, v[11:12]
	v_ashrrev_i32_e32 v14, 31, v13
	v_add_nc_u32_e32 v10, s2, v13
	s_delay_alu instid0(VALU_DEP_4) | instskip(NEXT) | instid1(VALU_DEP_4)
	v_lshlrev_b64 v[2:3], 1, v[8:9]
	v_add_co_u32 v0, vcc_lo, v30, v11
	s_delay_alu instid0(VALU_DEP_4)
	v_lshlrev_b64 v[8:9], 1, v[13:14]
	v_add_co_ci_u32_e32 v1, vcc_lo, v31, v12, vcc_lo
	v_ashrrev_i32_e32 v11, 31, v10
	v_add_co_u32 v22, vcc_lo, v30, v2
	v_add_nc_u32_e32 v20, s2, v10
	v_add_co_ci_u32_e32 v23, vcc_lo, v31, v3, vcc_lo
	v_add_co_u32 v24, vcc_lo, v30, v8
	global_store_b128 v[0:1], v[4:7], off
	v_add_co_ci_u32_e32 v25, vcc_lo, v31, v9, vcc_lo
	ds_load_b128 v[0:3], v16 offset:256
	ds_load_b128 v[4:7], v16 offset:384
	v_lshlrev_b64 v[26:27], 1, v[10:11]
	ds_load_b128 v[8:11], v16 offset:512
	ds_load_b128 v[12:15], v16 offset:640
	;; [unrolled: 1-line block ×3, first 2 shown]
	v_add_nc_u32_e32 v28, s2, v20
	v_ashrrev_i32_e32 v21, 31, v20
	v_add_co_u32 v26, vcc_lo, v30, v26
	s_delay_alu instid0(VALU_DEP_3) | instskip(NEXT) | instid1(VALU_DEP_3)
	v_ashrrev_i32_e32 v29, 31, v28
	v_lshlrev_b64 v[20:21], 1, v[20:21]
	v_add_co_ci_u32_e32 v27, vcc_lo, v31, v27, vcc_lo
	s_delay_alu instid0(VALU_DEP_3) | instskip(NEXT) | instid1(VALU_DEP_3)
	v_lshlrev_b64 v[28:29], 1, v[28:29]
	v_add_co_u32 v20, vcc_lo, v30, v20
	s_delay_alu instid0(VALU_DEP_4) | instskip(NEXT) | instid1(VALU_DEP_3)
	v_add_co_ci_u32_e32 v21, vcc_lo, v31, v21, vcc_lo
	v_add_co_u32 v28, vcc_lo, v30, v28
	s_delay_alu instid0(VALU_DEP_4)
	v_add_co_ci_u32_e32 v29, vcc_lo, v31, v29, vcc_lo
	s_waitcnt lgkmcnt(4)
	global_store_b128 v[22:23], v[0:3], off
	s_waitcnt lgkmcnt(3)
	global_store_b128 v[24:25], v[4:7], off
	s_waitcnt lgkmcnt(2)
	global_store_b128 v[26:27], v[8:11], off
	s_waitcnt lgkmcnt(1)
	global_store_b128 v[20:21], v[12:15], off
	s_waitcnt lgkmcnt(0)
	global_store_b128 v[28:29], v[16:19], off
	s_nop 0
	s_sendmsg sendmsg(MSG_DEALLOC_VGPRS)
	s_endpgm
	.section	.rodata,"a",@progbits
	.p2align	6, 0x0
	.amdhsa_kernel _Z39paged_attention_ll4mi_QKV_mfma16_kernelI14__hip_bfloat16hLN4vllm18Fp8KVCacheDataTypeE1ES0_Li16ELi64ELi256ELb1ELi14EL8MFMAType0EEvPKT_PKT0_S9_ifPKiSB_SB_iPKfiiiPfSE_PS4_PT2_iSD_SD_
		.amdhsa_group_segment_fixed_size 17472
		.amdhsa_private_segment_fixed_size 0
		.amdhsa_kernarg_size 400
		.amdhsa_user_sgpr_count 13
		.amdhsa_user_sgpr_dispatch_ptr 0
		.amdhsa_user_sgpr_queue_ptr 0
		.amdhsa_user_sgpr_kernarg_segment_ptr 1
		.amdhsa_user_sgpr_dispatch_id 0
		.amdhsa_user_sgpr_private_segment_size 0
		.amdhsa_wavefront_size32 1
		.amdhsa_uses_dynamic_stack 0
		.amdhsa_enable_private_segment 0
		.amdhsa_system_sgpr_workgroup_id_x 1
		.amdhsa_system_sgpr_workgroup_id_y 1
		.amdhsa_system_sgpr_workgroup_id_z 1
		.amdhsa_system_sgpr_workgroup_info 0
		.amdhsa_system_vgpr_workitem_id 0
		.amdhsa_next_free_vgpr 124
		.amdhsa_next_free_sgpr 38
		.amdhsa_reserve_vcc 1
		.amdhsa_float_round_mode_32 0
		.amdhsa_float_round_mode_16_64 0
		.amdhsa_float_denorm_mode_32 3
		.amdhsa_float_denorm_mode_16_64 3
		.amdhsa_dx10_clamp 1
		.amdhsa_ieee_mode 1
		.amdhsa_fp16_overflow 0
		.amdhsa_workgroup_processor_mode 1
		.amdhsa_memory_ordered 1
		.amdhsa_forward_progress 0
		.amdhsa_shared_vgpr_count 0
		.amdhsa_exception_fp_ieee_invalid_op 0
		.amdhsa_exception_fp_denorm_src 0
		.amdhsa_exception_fp_ieee_div_zero 0
		.amdhsa_exception_fp_ieee_overflow 0
		.amdhsa_exception_fp_ieee_underflow 0
		.amdhsa_exception_fp_ieee_inexact 0
		.amdhsa_exception_int_div_zero 0
	.end_amdhsa_kernel
	.section	.text._Z39paged_attention_ll4mi_QKV_mfma16_kernelI14__hip_bfloat16hLN4vllm18Fp8KVCacheDataTypeE1ES0_Li16ELi64ELi256ELb1ELi14EL8MFMAType0EEvPKT_PKT0_S9_ifPKiSB_SB_iPKfiiiPfSE_PS4_PT2_iSD_SD_,"axG",@progbits,_Z39paged_attention_ll4mi_QKV_mfma16_kernelI14__hip_bfloat16hLN4vllm18Fp8KVCacheDataTypeE1ES0_Li16ELi64ELi256ELb1ELi14EL8MFMAType0EEvPKT_PKT0_S9_ifPKiSB_SB_iPKfiiiPfSE_PS4_PT2_iSD_SD_,comdat
.Lfunc_end1707:
	.size	_Z39paged_attention_ll4mi_QKV_mfma16_kernelI14__hip_bfloat16hLN4vllm18Fp8KVCacheDataTypeE1ES0_Li16ELi64ELi256ELb1ELi14EL8MFMAType0EEvPKT_PKT0_S9_ifPKiSB_SB_iPKfiiiPfSE_PS4_PT2_iSD_SD_, .Lfunc_end1707-_Z39paged_attention_ll4mi_QKV_mfma16_kernelI14__hip_bfloat16hLN4vllm18Fp8KVCacheDataTypeE1ES0_Li16ELi64ELi256ELb1ELi14EL8MFMAType0EEvPKT_PKT0_S9_ifPKiSB_SB_iPKfiiiPfSE_PS4_PT2_iSD_SD_
                                        ; -- End function
	.section	.AMDGPU.csdata,"",@progbits
; Kernel info:
; codeLenInByte = 8860
; NumSgprs: 40
; NumVgprs: 124
; ScratchSize: 0
; MemoryBound: 0
; FloatMode: 240
; IeeeMode: 1
; LDSByteSize: 17472 bytes/workgroup (compile time only)
; SGPRBlocks: 4
; VGPRBlocks: 15
; NumSGPRsForWavesPerEU: 40
; NumVGPRsForWavesPerEU: 124
; Occupancy: 10
; WaveLimiterHint : 1
; COMPUTE_PGM_RSRC2:SCRATCH_EN: 0
; COMPUTE_PGM_RSRC2:USER_SGPR: 13
; COMPUTE_PGM_RSRC2:TRAP_HANDLER: 0
; COMPUTE_PGM_RSRC2:TGID_X_EN: 1
; COMPUTE_PGM_RSRC2:TGID_Y_EN: 1
; COMPUTE_PGM_RSRC2:TGID_Z_EN: 1
; COMPUTE_PGM_RSRC2:TIDIG_COMP_CNT: 0
	.section	.text._Z39paged_attention_ll4mi_QKV_mfma16_kernelI14__hip_bfloat16hLN4vllm18Fp8KVCacheDataTypeE1ES0_Li16ELi64ELi256ELb1ELi15EL8MFMAType0EEvPKT_PKT0_S9_ifPKiSB_SB_iPKfiiiPfSE_PS4_PT2_iSD_SD_,"axG",@progbits,_Z39paged_attention_ll4mi_QKV_mfma16_kernelI14__hip_bfloat16hLN4vllm18Fp8KVCacheDataTypeE1ES0_Li16ELi64ELi256ELb1ELi15EL8MFMAType0EEvPKT_PKT0_S9_ifPKiSB_SB_iPKfiiiPfSE_PS4_PT2_iSD_SD_,comdat
	.protected	_Z39paged_attention_ll4mi_QKV_mfma16_kernelI14__hip_bfloat16hLN4vllm18Fp8KVCacheDataTypeE1ES0_Li16ELi64ELi256ELb1ELi15EL8MFMAType0EEvPKT_PKT0_S9_ifPKiSB_SB_iPKfiiiPfSE_PS4_PT2_iSD_SD_ ; -- Begin function _Z39paged_attention_ll4mi_QKV_mfma16_kernelI14__hip_bfloat16hLN4vllm18Fp8KVCacheDataTypeE1ES0_Li16ELi64ELi256ELb1ELi15EL8MFMAType0EEvPKT_PKT0_S9_ifPKiSB_SB_iPKfiiiPfSE_PS4_PT2_iSD_SD_
	.globl	_Z39paged_attention_ll4mi_QKV_mfma16_kernelI14__hip_bfloat16hLN4vllm18Fp8KVCacheDataTypeE1ES0_Li16ELi64ELi256ELb1ELi15EL8MFMAType0EEvPKT_PKT0_S9_ifPKiSB_SB_iPKfiiiPfSE_PS4_PT2_iSD_SD_
	.p2align	8
	.type	_Z39paged_attention_ll4mi_QKV_mfma16_kernelI14__hip_bfloat16hLN4vllm18Fp8KVCacheDataTypeE1ES0_Li16ELi64ELi256ELb1ELi15EL8MFMAType0EEvPKT_PKT0_S9_ifPKiSB_SB_iPKfiiiPfSE_PS4_PT2_iSD_SD_,@function
_Z39paged_attention_ll4mi_QKV_mfma16_kernelI14__hip_bfloat16hLN4vllm18Fp8KVCacheDataTypeE1ES0_Li16ELi64ELi256ELb1ELi15EL8MFMAType0EEvPKT_PKT0_S9_ifPKiSB_SB_iPKfiiiPfSE_PS4_PT2_iSD_SD_: ; @_Z39paged_attention_ll4mi_QKV_mfma16_kernelI14__hip_bfloat16hLN4vllm18Fp8KVCacheDataTypeE1ES0_Li16ELi64ELi256ELb1ELi15EL8MFMAType0EEvPKT_PKT0_S9_ifPKiSB_SB_iPKfiiiPfSE_PS4_PT2_iSD_SD_
; %bb.0:
	s_load_b64 s[2:3], s[0:1], 0x30
	s_mov_b32 s34, s13
	s_waitcnt lgkmcnt(0)
	s_cmp_lg_u64 s[2:3], 0
	s_cselect_b32 s8, -1, 0
	s_ashr_i32 s35, s13, 31
	s_cmp_eq_u64 s[2:3], 0
	s_cbranch_scc1 .LBB1708_3
; %bb.1:
	s_lshl_b64 s[4:5], s[34:35], 2
	s_delay_alu instid0(SALU_CYCLE_1) | instskip(SKIP_4) | instid1(SALU_CYCLE_1)
	s_add_u32 s4, s2, s4
	s_addc_u32 s5, s3, s5
	s_load_b64 s[4:5], s[4:5], 0x0
	s_waitcnt lgkmcnt(0)
	s_sub_i32 s4, s5, s4
	s_cmp_eq_u32 s4, 1
	s_cselect_b32 s4, -1, 0
	s_delay_alu instid0(SALU_CYCLE_1)
	s_and_not1_b32 vcc_lo, exec_lo, s4
	s_cbranch_vccz .LBB1708_4
.LBB1708_2:
	s_nop 0
	s_sendmsg sendmsg(MSG_DEALLOC_VGPRS)
	s_endpgm
.LBB1708_3:
.LBB1708_4:
	s_load_b64 s[4:5], s[0:1], 0x28
	s_lshl_b64 s[6:7], s[34:35], 2
	s_waitcnt lgkmcnt(0)
	s_add_u32 s4, s4, s6
	s_addc_u32 s5, s5, s7
	s_lshl_b32 s12, s14, 8
	s_load_b32 s24, s[4:5], 0x0
	s_waitcnt lgkmcnt(0)
	s_cmp_ge_i32 s12, s24
	s_cbranch_scc1 .LBB1708_2
; %bb.5:
	s_clause 0x1
	s_load_b128 s[20:23], s[0:1], 0x8
	s_load_b64 s[4:5], s[0:1], 0x20
	s_and_not1_b32 vcc_lo, exec_lo, s8
	s_cbranch_vccnz .LBB1708_7
; %bb.6:
	s_add_u32 s2, s2, s6
	s_addc_u32 s3, s3, s7
	s_load_b32 s3, s[2:3], 0x0
	s_branch .LBB1708_8
.LBB1708_7:
	s_mov_b32 s3, s34
.LBB1708_8:
	s_load_b128 s[16:19], s[0:1], 0x48
	v_lshrrev_b32_e32 v66, 5, v0
	v_bfe_u32 v74, v0, 4, 1
	v_and_b32_e32 v65, 15, v0
	v_and_b32_e32 v67, 31, v0
	;; [unrolled: 1-line block ×3, first 2 shown]
	s_mul_i32 s31, s15, 15
	v_lshl_or_b32 v1, v66, 1, v74
	v_lshlrev_b32_e32 v2, 3, v65
	v_cmp_gt_u32_e64 s2, 8, v65
	s_delay_alu instid0(VALU_DEP_3) | instskip(NEXT) | instid1(VALU_DEP_3)
	v_cmp_gt_u32_e32 vcc_lo, 15, v1
	v_lshlrev_b32_e32 v73, 1, v2
	s_delay_alu instid0(VALU_DEP_3) | instskip(NEXT) | instid1(SALU_CYCLE_1)
	s_and_b32 s7, s2, vcc_lo
	s_and_saveexec_b32 s6, s7
	s_cbranch_execz .LBB1708_10
; %bb.9:
	s_load_b64 s[8:9], s[0:1], 0x0
	v_add_lshl_u32 v2, v1, s31, 6
	s_waitcnt lgkmcnt(0)
	s_mul_hi_i32 s11, s3, s16
	s_mul_i32 s10, s3, s16
	v_lshlrev_b32_e32 v6, 10, v65
	s_lshl_b64 s[10:11], s[10:11], 1
	v_ashrrev_i32_e32 v3, 31, v2
	v_lshlrev_b32_e32 v1, 6, v1
	v_lshlrev_b32_e32 v7, 10, v75
	v_and_b32_e32 v6, 0x3800, v6
	s_delay_alu instid0(VALU_DEP_4) | instskip(NEXT) | instid1(VALU_DEP_2)
	v_lshlrev_b64 v[2:3], 1, v[2:3]
	v_or3_b32 v1, v6, v7, v1
	s_add_u32 s3, s8, s10
	s_addc_u32 s7, s9, s11
	s_delay_alu instid0(VALU_DEP_2) | instskip(NEXT) | instid1(VALU_DEP_3)
	v_add_co_u32 v2, vcc_lo, s3, v2
	v_add_co_ci_u32_e32 v3, vcc_lo, s7, v3, vcc_lo
	s_delay_alu instid0(VALU_DEP_2) | instskip(NEXT) | instid1(VALU_DEP_2)
	v_add_co_u32 v2, vcc_lo, v2, v73
	v_add_co_ci_u32_e32 v3, vcc_lo, 0, v3, vcc_lo
	global_load_b128 v[2:5], v[2:3], off
	s_waitcnt vmcnt(0)
	ds_store_b128 v1, v[2:5]
.LBB1708_10:
	s_or_b32 exec_lo, exec_lo, s6
	v_and_b32_e32 v1, 0xef, v0
	s_waitcnt lgkmcnt(0)
	s_add_i32 s3, s24, 15
	s_clause 0x1
	s_load_b32 s6, s[0:1], 0x38
	s_load_b32 s19, s[0:1], 0x1c
	s_ashr_i32 s7, s3, 31
	v_add_nc_u32_e32 v1, s12, v1
	s_lshr_b32 s7, s7, 28
	s_waitcnt lgkmcnt(0)
	s_add_i32 s3, s3, s7
	s_barrier
	v_ashrrev_i32_e32 v2, 31, v1
	v_or_b32_e32 v3, 16, v1
	s_ashr_i32 s3, s3, 4
	v_cmp_gt_i32_e32 vcc_lo, s24, v1
	s_add_i32 s3, s3, -1
	v_lshrrev_b32_e32 v2, 28, v2
	buffer_gl0_inv
	s_mul_i32 s27, s15, s18
	v_add_nc_u32_e32 v4, v1, v2
	s_mul_i32 s6, s34, s6
	s_delay_alu instid0(SALU_CYCLE_1) | instskip(NEXT) | instid1(VALU_DEP_1)
	s_ashr_i32 s7, s6, 31
	v_ashrrev_i32_e32 v4, 4, v4
	v_add_nc_u32_e32 v2, v3, v2
	s_lshl_b64 s[6:7], s[6:7], 2
	s_delay_alu instid0(SALU_CYCLE_1) | instskip(NEXT) | instid1(VALU_DEP_2)
	s_add_u32 s26, s4, s6
	v_cndmask_b32_e32 v1, s3, v4, vcc_lo
	s_delay_alu instid0(VALU_DEP_2)
	v_ashrrev_i32_e32 v2, 4, v2
	v_cmp_gt_i32_e32 vcc_lo, s24, v3
	s_addc_u32 s25, s5, s7
	s_ashr_i32 s28, s27, 31
	s_add_u32 s13, s20, s27
	s_addc_u32 s15, s21, s28
	v_cndmask_b32_e32 v3, s3, v2, vcc_lo
	v_ashrrev_i32_e32 v2, 31, v1
	s_lshl_b32 s4, s14, 4
	s_delay_alu instid0(SALU_CYCLE_1) | instskip(NEXT) | instid1(VALU_DEP_2)
	s_ashr_i32 s5, s4, 31
	v_ashrrev_i32_e32 v4, 31, v3
	s_delay_alu instid0(VALU_DEP_2) | instskip(SKIP_1) | instid1(SALU_CYCLE_1)
	v_lshlrev_b64 v[1:2], 2, v[1:2]
	s_lshl_b64 s[4:5], s[4:5], 2
	s_add_u32 s4, s26, s4
	s_delay_alu instid0(VALU_DEP_2) | instskip(SKIP_1) | instid1(VALU_DEP_2)
	v_lshlrev_b64 v[3:4], 2, v[3:4]
	s_addc_u32 s5, s25, s5
	v_add_co_u32 v1, vcc_lo, s26, v1
	v_add_co_ci_u32_e32 v2, vcc_lo, s25, v2, vcc_lo
	s_delay_alu instid0(VALU_DEP_3) | instskip(NEXT) | instid1(VALU_DEP_4)
	v_add_co_u32 v3, vcc_lo, s26, v3
	v_add_co_ci_u32_e32 v4, vcc_lo, s25, v4, vcc_lo
	s_clause 0x1
	global_load_b32 v5, v[1:2], off
	global_load_b32 v7, v[3:4], off
	s_or_b32 s6, s12, 32
	v_lshlrev_b32_e32 v1, 4, v0
	s_ashr_i32 s7, s6, 4
	s_cmp_lt_i32 s6, s24
	v_cmp_ne_u32_e32 vcc_lo, 15, v65
	s_cselect_b32 s6, s7, s3
	v_and_b32_e32 v1, 0xf0, v1
	s_ashr_i32 s7, s6, 31
	s_delay_alu instid0(SALU_CYCLE_1) | instskip(NEXT) | instid1(SALU_CYCLE_1)
	s_lshl_b64 s[6:7], s[6:7], 2
	s_add_u32 s6, s26, s6
	s_addc_u32 s7, s25, s7
	s_or_b32 s8, s12, 64
	v_add_co_u32 v1, s13, s13, v1
	s_ashr_i32 s9, s8, 4
	s_cmp_lt_i32 s8, s24
	v_add_co_ci_u32_e64 v2, null, s15, 0, s13
	s_cselect_b32 s8, s9, s3
	s_delay_alu instid0(SALU_CYCLE_1) | instskip(NEXT) | instid1(SALU_CYCLE_1)
	s_ashr_i32 s9, s8, 31
	s_lshl_b64 s[8:9], s[8:9], 2
	s_delay_alu instid0(SALU_CYCLE_1) | instskip(SKIP_2) | instid1(SALU_CYCLE_1)
	s_add_u32 s8, s26, s8
	s_addc_u32 s9, s25, s9
	s_or_b32 s10, s12, 0x60
	s_ashr_i32 s11, s10, 4
	s_cmp_lt_i32 s10, s24
	s_cselect_b32 s10, s11, s3
	s_delay_alu instid0(SALU_CYCLE_1) | instskip(NEXT) | instid1(SALU_CYCLE_1)
	s_ashr_i32 s11, s10, 31
	s_lshl_b64 s[10:11], s[10:11], 2
	s_delay_alu instid0(SALU_CYCLE_1) | instskip(SKIP_2) | instid1(SALU_CYCLE_1)
	s_add_u32 s10, s26, s10
	s_addc_u32 s11, s25, s11
	s_or_b32 s16, s12, 0x80
	s_ashr_i32 s18, s16, 4
	s_cmp_lt_i32 s16, s24
	;; [unrolled: 10-line block ×3, first 2 shown]
	s_cselect_b32 s20, s18, s3
	s_delay_alu instid0(SALU_CYCLE_1) | instskip(NEXT) | instid1(SALU_CYCLE_1)
	s_ashr_i32 s21, s20, 31
	s_lshl_b64 s[20:21], s[20:21], 2
	s_delay_alu instid0(SALU_CYCLE_1)
	s_add_u32 s38, s26, s20
	s_addc_u32 s39, s25, s21
	s_clause 0x5
	s_load_b32 s21, s[4:5], 0x0
	s_load_b32 s13, s[6:7], 0x0
	s_load_b32 s15, s[8:9], 0x0
	s_load_b32 s16, s[10:11], 0x0
	s_load_b32 s18, s[36:37], 0x0
	s_load_b32 s20, s[38:39], 0x0
	s_or_b32 s7, s12, 0xc0
	s_mov_b32 s4, 0
	s_ashr_i32 s8, s7, 4
	s_cmp_lt_i32 s7, s24
	s_mov_b32 s5, s4
	s_cselect_b32 s10, s8, s3
	s_mov_b32 s6, s4
	s_ashr_i32 s11, s10, 31
	s_mov_b32 s7, s4
	s_lshl_b64 s[36:37], s[10:11], 2
	s_mov_b32 s11, s4
	s_add_u32 s36, s26, s36
	s_addc_u32 s37, s25, s37
	s_or_b32 s29, s12, 0xe0
	s_mov_b32 s8, s4
	s_ashr_i32 s30, s29, 4
	s_mov_b32 s9, s4
	s_mov_b32 s10, s4
	s_cmp_lt_i32 s29, s24
	s_waitcnt vmcnt(1)
	v_mad_i64_i32 v[3:4], null, v5, s17, v[1:2]
	s_waitcnt vmcnt(0)
	v_mad_i64_i32 v[5:6], null, v7, s17, v[1:2]
	v_cndmask_b32_e32 v1, 0, v65, vcc_lo
	v_mov_b32_e32 v107, s11
	s_clause 0x7
	global_load_b128 v[49:52], v[3:4], off
	global_load_b128 v[53:56], v[3:4], off offset:256
	global_load_b128 v[76:79], v[5:6], off
	global_load_b128 v[80:83], v[5:6], off offset:256
	global_load_b128 v[84:87], v[3:4], off offset:512
	;; [unrolled: 1-line block ×5, first 2 shown]
	v_lshlrev_b32_e32 v70, 6, v1
	v_dual_mov_b32 v106, s10 :: v_dual_mov_b32 v105, s9
	v_dual_mov_b32 v104, s8 :: v_dual_mov_b32 v103, s7
	;; [unrolled: 1-line block ×3, first 2 shown]
	v_mov_b32_e32 v100, s4
	s_cselect_b32 s4, s30, s3
	v_lshlrev_b32_e32 v2, 4, v65
	s_ashr_i32 s5, s4, 31
	s_load_b32 s3, s[36:37], 0x0
	s_lshl_b64 s[4:5], s[4:5], 2
	ds_load_b128 v[108:111], v70
	ds_load_b128 v[112:115], v70 offset:1024
	s_add_u32 s4, s26, s4
	s_addc_u32 s5, s25, s5
	v_lshl_or_b32 v1, v66, 8, v2
	s_load_b32 s4, s[4:5], 0x0
	s_add_u32 s6, s22, s27
	s_addc_u32 s7, s23, s28
	s_delay_alu instid0(VALU_DEP_1) | instskip(NEXT) | instid1(VALU_DEP_1)
	v_add_co_u32 v9, s6, s6, v1
	v_add_co_ci_u32_e64 v10, null, s7, 0, s6
	s_waitcnt lgkmcnt(0)
	s_delay_alu instid0(VALU_DEP_1)
	v_mad_i64_i32 v[1:2], null, s21, s17, v[9:10]
	v_mad_i64_i32 v[3:4], null, s13, s17, v[9:10]
	;; [unrolled: 1-line block ×7, first 2 shown]
	s_clause 0x9
	global_load_b128 v[57:60], v[1:2], off
	global_load_b128 v[61:64], v[1:2], off offset:16
	global_load_b128 v[41:44], v[3:4], off
	global_load_b128 v[45:48], v[3:4], off offset:16
	;; [unrolled: 2-line block ×5, first 2 shown]
	v_mad_i64_i32 v[68:69], null, s4, s17, v[9:10]
	s_clause 0x3
	global_load_b128 v[9:12], v[13:14], off
	global_load_b128 v[13:16], v[13:14], off offset:16
	global_load_b128 v[17:20], v[21:22], off
	global_load_b128 v[21:24], v[21:22], off offset:16
	s_waitcnt vmcnt(20)
	v_wmma_f32_16x16x16_bf16 v[116:123], v[49:56], v[108:115], v[100:107]
	s_clause 0x1
	global_load_b128 v[49:52], v[68:69], off
	global_load_b128 v[53:56], v[68:69], off offset:16
	v_and_b32_e32 v68, 0xe0, v0
	v_mbcnt_lo_u32_b32 v69, -1, 0
	s_delay_alu instid0(VALU_DEP_2)
	v_add_nc_u32_e32 v68, s12, v68
	s_waitcnt vmcnt(20)
	v_wmma_f32_16x16x16_bf16 v[100:107], v[76:83], v[108:115], v[100:107]
	ds_load_b128 v[76:79], v70 offset:2048
	ds_load_b128 v[80:83], v70 offset:3072
	v_xor_b32_e32 v70, 16, v69
	s_waitcnt vmcnt(0) lgkmcnt(0)
	v_or_b32_e32 v68, v68, v74
	s_barrier
	buffer_gl0_inv
	v_cmp_gt_i32_e32 vcc_lo, 32, v70
	v_or_b32_e32 v71, 4, v68
	v_or_b32_e32 v72, 6, v68
	v_cmp_gt_i32_e64 s3, s24, v68
	v_or_b32_e32 v108, 8, v68
	v_or_b32_e32 v109, 10, v68
	v_cmp_gt_i32_e64 s4, s24, v71
	v_cmp_gt_i32_e64 s5, s24, v72
	s_delay_alu instid0(VALU_DEP_4) | instskip(NEXT) | instid1(VALU_DEP_4)
	v_cmp_gt_i32_e64 s6, s24, v108
	v_cmp_gt_i32_e64 s7, s24, v109
	v_wmma_f32_16x16x16_bf16 v[116:123], v[84:91], v[76:83], v[116:123]
	v_cndmask_b32_e32 v69, v69, v70, vcc_lo
	v_or_b32_e32 v70, 2, v68
	v_wmma_f32_16x16x16_bf16 v[100:107], v[92:99], v[76:83], v[100:107]
	v_or_b32_e32 v89, 22, v68
	v_dual_mul_f32 v80, s19, v121 :: v_dual_mul_f32 v81, s19, v120
	v_dual_mul_f32 v92, s19, v117 :: v_dual_mul_f32 v93, s19, v116
	s_delay_alu instid0(VALU_DEP_4)
	v_mul_f32_e32 v96, s19, v105
	v_cmp_gt_i32_e32 vcc_lo, s24, v70
	v_dual_mul_f32 v79, s19, v122 :: v_dual_mul_f32 v82, s19, v119
	v_dual_mul_f32 v83, s19, v118 :: v_dual_mul_f32 v94, s19, v107
	v_cndmask_b32_e64 v93, 0xff7fffff, v93, s3
	v_cndmask_b32_e32 v92, 0xff7fffff, v92, vcc_lo
	v_or_b32_e32 v84, 12, v68
	v_or_b32_e32 v85, 14, v68
	v_cndmask_b32_e64 v71, 0xff7fffff, v83, s4
	v_cndmask_b32_e64 v72, 0xff7fffff, v82, s5
	v_cmp_gt_i32_e64 s13, s24, v89
	v_lshlrev_b32_e32 v89, 2, v69
	v_max3_f32 v82, v93, 0xff7fffff, v92
	v_or_b32_e32 v86, 16, v68
	v_or_b32_e32 v87, 18, v68
	v_mul_f32_e32 v78, s19, v123
	v_cndmask_b32_e64 v81, 0xff7fffff, v81, s6
	v_cndmask_b32_e64 v80, 0xff7fffff, v80, s7
	v_max3_f32 v71, v82, v71, v72
	v_cmp_gt_i32_e64 s8, s24, v84
	v_cmp_gt_i32_e64 s9, s24, v85
	v_or_b32_e32 v88, 20, v68
	v_or_b32_e32 v90, 24, v68
	;; [unrolled: 1-line block ×5, first 2 shown]
	v_dual_mul_f32 v97, s19, v104 :: v_dual_mul_f32 v70, s19, v101
	v_dual_mul_f32 v99, s19, v102 :: v_dual_mul_f32 v68, s19, v100
	v_cndmask_b32_e64 v72, 0xff7fffff, v79, s8
	v_cndmask_b32_e64 v78, 0xff7fffff, v78, s9
	v_max3_f32 v71, v71, v81, v80
	v_cmp_gt_i32_e64 s10, s24, v86
	v_cmp_gt_i32_e64 s11, s24, v87
	v_dual_mul_f32 v95, s19, v106 :: v_dual_mul_f32 v98, s19, v103
	s_delay_alu instid0(VALU_DEP_4) | instskip(NEXT) | instid1(VALU_DEP_4)
	v_max3_f32 v71, v71, v72, v78
	v_cndmask_b32_e64 v68, 0xff7fffff, v68, s10
	s_delay_alu instid0(VALU_DEP_4)
	v_cndmask_b32_e64 v70, 0xff7fffff, v70, s11
	v_cmp_gt_i32_e64 s12, s24, v88
	v_cndmask_b32_e64 v78, 0xff7fffff, v98, s13
	v_cmp_gt_i32_e64 s15, s24, v90
	v_cmp_gt_i32_e64 s16, s24, v91
	v_max3_f32 v68, v71, v68, v70
	v_cndmask_b32_e64 v72, 0xff7fffff, v99, s12
	v_cmp_gt_i32_e64 s17, s24, v76
	v_cndmask_b32_e64 v70, 0xff7fffff, v97, s15
	v_cndmask_b32_e64 v71, 0xff7fffff, v96, s16
	v_cmp_gt_i32_e64 s18, s24, v77
	v_max3_f32 v68, v68, v72, v78
	v_cndmask_b32_e64 v72, 0xff7fffff, v95, s17
	s_delay_alu instid0(VALU_DEP_3) | instskip(NEXT) | instid1(VALU_DEP_3)
	v_cndmask_b32_e64 v76, 0xff7fffff, v94, s18
	v_max3_f32 v68, v68, v70, v71
	s_delay_alu instid0(VALU_DEP_1) | instskip(SKIP_3) | instid1(VALU_DEP_1)
	v_max3_f32 v68, v68, v72, v76
	ds_bpermute_b32 v69, v89, v68
	s_waitcnt lgkmcnt(0)
	v_max_f32_e32 v69, v69, v69
	v_max_f32_e32 v68, v68, v69
	s_delay_alu instid0(VALU_DEP_1) | instskip(NEXT) | instid1(VALU_DEP_1)
	v_fma_f32 v71, s19, v118, -v68
	v_mul_f32_e32 v71, 0x3fb8aa3b, v71
	v_fma_f32 v70, s19, v117, -v68
	v_fma_f32 v69, s19, v116, -v68
	;; [unrolled: 1-line block ×5, first 2 shown]
	s_delay_alu instid0(VALU_DEP_4) | instskip(SKIP_1) | instid1(VALU_DEP_3)
	v_dual_mul_f32 v70, 0x3fb8aa3b, v70 :: v_dual_mul_f32 v69, 0x3fb8aa3b, v69
	v_exp_f32_e32 v71, v71
	v_mul_f32_e32 v72, 0x3fb8aa3b, v72
	v_fma_f32 v81, s19, v105, -v68
	s_delay_alu instid0(VALU_DEP_3)
	v_exp_f32_e32 v70, v70
	v_mul_f32_e32 v77, 0x3fb8aa3b, v76
	v_exp_f32_e32 v69, v69
	v_exp_f32_e32 v72, v72
	v_mul_f32_e32 v81, 0x3fb8aa3b, v81
	v_cndmask_b32_e64 v83, 0, v71, s4
	v_fma_f32 v71, s19, v123, -v68
	s_delay_alu instid0(VALU_DEP_3) | instskip(SKIP_4) | instid1(TRANS32_DEP_3)
	v_exp_f32_e32 v81, v81
	v_cndmask_b32_e32 v76, 0, v70, vcc_lo
	v_exp_f32_e32 v77, v77
	v_cndmask_b32_e64 v80, 0, v69, s3
	v_fma_f32 v69, s19, v121, -v68
	v_cndmask_b32_e64 v85, 0, v72, s5
	v_mul_f32_e32 v71, 0x3fb8aa3b, v71
	v_fma_f32 v72, s19, v100, -v68
	s_delay_alu instid0(VALU_DEP_4) | instskip(SKIP_1) | instid1(VALU_DEP_4)
	v_dual_add_f32 v70, 0, v80 :: v_dual_mul_f32 v69, 0x3fb8aa3b, v69
	v_cmp_gt_u32_e64 s3, 16, v67
	v_exp_f32_e32 v71, v71
	s_delay_alu instid0(TRANS32_DEP_2) | instskip(SKIP_4) | instid1(VALU_DEP_3)
	v_cndmask_b32_e64 v86, 0, v77, s6
	v_fma_f32 v77, s19, v101, -v68
	v_mul_f32_e32 v78, 0x3fb8aa3b, v78
	v_add_f32_e32 v70, v70, v76
	v_exp_f32_e32 v69, v69
	v_mul_f32_e32 v77, 0x3fb8aa3b, v77
	s_delay_alu instid0(VALU_DEP_3) | instskip(NEXT) | instid1(TRANS32_DEP_3)
	v_exp_f32_e32 v78, v78
	v_cndmask_b32_e64 v88, 0, v71, s9
	v_fma_f32 v71, s19, v104, -v68
	s_delay_alu instid0(VALU_DEP_3) | instskip(NEXT) | instid1(TRANS32_DEP_3)
	v_exp_f32_e32 v77, v77
	v_cndmask_b32_e64 v87, 0, v69, s7
	s_delay_alu instid0(VALU_DEP_2)
	v_mul_f32_e32 v71, 0x3fb8aa3b, v71
	s_waitcnt_depctr 0xfff
	v_cndmask_b32_e64 v84, 0, v78, s8
	v_add_f32_e32 v70, v70, v83
	v_fma_f32 v78, s19, v103, -v68
	v_exp_f32_e32 v82, v71
	s_delay_alu instid0(VALU_DEP_2) | instskip(SKIP_1) | instid1(VALU_DEP_3)
	v_add_f32_e32 v70, v70, v85
	v_mul_f32_e32 v72, 0x3fb8aa3b, v72
	v_mul_f32_e32 v78, 0x3fb8aa3b, v78
	s_delay_alu instid0(VALU_DEP_3) | instskip(SKIP_1) | instid1(VALU_DEP_4)
	v_add_f32_e32 v69, v70, v86
	v_fma_f32 v70, s19, v102, -v68
	v_exp_f32_e32 v72, v72
	s_delay_alu instid0(VALU_DEP_3) | instskip(NEXT) | instid1(VALU_DEP_1)
	v_exp_f32_e32 v78, v78
	v_dual_add_f32 v69, v69, v87 :: v_dual_mul_f32 v70, 0x3fb8aa3b, v70
	s_delay_alu instid0(VALU_DEP_1) | instskip(NEXT) | instid1(VALU_DEP_2)
	v_add_f32_e32 v69, v69, v84
	v_exp_f32_e32 v79, v70
	s_delay_alu instid0(TRANS32_DEP_3) | instskip(NEXT) | instid1(VALU_DEP_2)
	v_cndmask_b32_e64 v70, 0, v72, s10
	v_add_f32_e32 v72, v69, v88
	v_cndmask_b32_e64 v69, 0, v77, s11
	v_fma_f32 v77, s19, v106, -v68
	s_waitcnt_depctr 0xfff
	v_cndmask_b32_e64 v71, 0, v79, s12
	v_dual_mul_f32 v77, 0x3fb8aa3b, v77 :: v_dual_add_f32 v72, v72, v70
	s_delay_alu instid0(VALU_DEP_1) | instskip(NEXT) | instid1(VALU_DEP_1)
	v_exp_f32_e32 v90, v77
	v_add_f32_e32 v79, v72, v69
	v_cndmask_b32_e64 v72, 0, v78, s13
	v_cndmask_b32_e64 v77, 0, v82, s15
	s_delay_alu instid0(VALU_DEP_3) | instskip(SKIP_1) | instid1(VALU_DEP_1)
	v_add_f32_e32 v78, v79, v71
	v_fma_f32 v79, s19, v107, -v68
	v_dual_add_f32 v82, v78, v72 :: v_dual_mul_f32 v79, 0x3fb8aa3b, v79
	v_cndmask_b32_e64 v78, 0, v81, s16
	s_delay_alu instid0(VALU_DEP_2) | instskip(NEXT) | instid1(VALU_DEP_3)
	v_add_f32_e32 v81, v82, v77
	v_exp_f32_e32 v82, v79
	v_cndmask_b32_e64 v79, 0, v90, s17
	s_delay_alu instid0(VALU_DEP_2) | instskip(NEXT) | instid1(VALU_DEP_1)
	v_add_f32_e32 v81, v81, v78
	v_add_f32_e32 v90, v81, v79
	s_waitcnt_depctr 0xfff
	v_cndmask_b32_e64 v81, 0, v82, s18
	s_delay_alu instid0(VALU_DEP_1)
	v_add_f32_e32 v82, v90, v81
	ds_bpermute_b32 v89, v89, v82
	s_and_saveexec_b32 s4, s3
	s_cbranch_execz .LBB1708_12
; %bb.11:
	v_mul_u32_u24_e32 v67, 0x44, v66
	s_delay_alu instid0(VALU_DEP_1) | instskip(SKIP_1) | instid1(VALU_DEP_1)
	v_lshl_add_u32 v67, v65, 2, v67
	s_waitcnt lgkmcnt(0)
	v_dual_add_f32 v82, v82, v89 :: v_dual_add_nc_u32 v67, 0x4000, v67
	ds_store_2addr_b32 v67, v68, v82 offset1:136
.LBB1708_12:
	s_or_b32 exec_lo, exec_lo, s4
	v_lshlrev_b32_e32 v67, 2, v65
	s_waitcnt lgkmcnt(0)
	s_barrier
	buffer_gl0_inv
	v_cmp_eq_u32_e32 vcc_lo, 1, v66
	v_add_nc_u32_e32 v82, 0x4000, v67
	v_cmp_eq_u32_e64 s4, 2, v66
	v_cmp_eq_u32_e64 s6, 7, v66
	ds_load_2addr_b32 v[89:90], v82 offset1:17
	ds_load_2addr_b32 v[91:92], v82 offset0:34 offset1:51
	ds_load_2addr_b32 v[93:94], v82 offset0:68 offset1:85
	;; [unrolled: 1-line block ×4, first 2 shown]
	s_waitcnt lgkmcnt(4)
	v_max3_f32 v67, v89, 0xff7fffff, v90
	s_waitcnt lgkmcnt(3)
	s_delay_alu instid0(VALU_DEP_1) | instskip(SKIP_1) | instid1(VALU_DEP_1)
	v_max3_f32 v67, v67, v91, v92
	s_waitcnt lgkmcnt(2)
	v_max3_f32 v67, v67, v93, v94
	s_waitcnt lgkmcnt(1)
	s_delay_alu instid0(VALU_DEP_1) | instskip(NEXT) | instid1(VALU_DEP_1)
	v_max3_f32 v67, v67, v95, v96
	v_sub_f32_e32 v93, v93, v67
	s_delay_alu instid0(VALU_DEP_1) | instskip(NEXT) | instid1(VALU_DEP_1)
	v_dual_sub_f32 v68, v89, v67 :: v_dual_mul_f32 v103, 0x3fb8aa3b, v93
	v_mul_f32_e32 v68, 0x3fb8aa3b, v68
	s_delay_alu instid0(VALU_DEP_1)
	v_exp_f32_e32 v100, v68
	v_sub_f32_e32 v68, v92, v67
	v_sub_f32_e32 v99, v90, v67
	ds_load_2addr_b32 v[89:90], v82 offset0:170 offset1:187
	v_dual_mul_f32 v102, 0x3fb8aa3b, v68 :: v_dual_mul_f32 v99, 0x3fb8aa3b, v99
	s_waitcnt lgkmcnt(1)
	v_fma_f32 v68, v100, v97, 0
	s_delay_alu instid0(VALU_DEP_2) | instskip(NEXT) | instid1(VALU_DEP_2)
	v_exp_f32_e32 v102, v102
	v_exp_f32_e32 v99, v99
	s_waitcnt_depctr 0xfff
	v_fmac_f32_e32 v68, v99, v98
	v_sub_f32_e32 v91, v91, v67
	s_delay_alu instid0(VALU_DEP_1)
	v_mul_f32_e32 v101, 0x3fb8aa3b, v91
	ds_load_2addr_b32 v[91:92], v82 offset0:204 offset1:221
	v_sub_f32_e32 v97, v94, v67
	ds_load_2addr_b32 v[93:94], v82 offset0:238 offset1:255
	s_waitcnt lgkmcnt(0)
	v_exp_f32_e32 v101, v101
	s_barrier
	buffer_gl0_inv
	v_dual_fmac_f32 v68, v101, v89 :: v_dual_sub_f32 v89, v96, v67
	v_dual_sub_f32 v82, v95, v67 :: v_dual_mul_f32 v95, 0x3fb8aa3b, v97
	v_exp_f32_e32 v97, v103
	s_delay_alu instid0(VALU_DEP_2) | instskip(NEXT) | instid1(VALU_DEP_2)
	v_dual_fmac_f32 v68, v102, v90 :: v_dual_mul_f32 v89, 0x3fb8aa3b, v89
	v_mul_f32_e32 v82, 0x3fb8aa3b, v82
	s_delay_alu instid0(VALU_DEP_3) | instskip(NEXT) | instid1(VALU_DEP_2)
	v_exp_f32_e32 v95, v95
	v_exp_f32_e32 v89, v89
	s_delay_alu instid0(VALU_DEP_1)
	v_exp_f32_e32 v82, v82
	v_fmac_f32_e32 v68, v97, v91
	s_delay_alu instid0(TRANS32_DEP_3) | instid1(VALU_DEP_1)
	v_fmac_f32_e32 v68, v95, v92
	s_waitcnt_depctr 0xfff
	v_fmac_f32_e32 v68, v82, v93
	s_delay_alu instid0(VALU_DEP_1) | instskip(NEXT) | instid1(VALU_DEP_1)
	v_fmac_f32_e32 v68, v89, v94
	v_add_f32_e32 v90, 0x358637bd, v68
	s_delay_alu instid0(VALU_DEP_1) | instskip(NEXT) | instid1(VALU_DEP_1)
	v_div_scale_f32 v91, null, v90, v90, 1.0
	v_rcp_f32_e32 v92, v91
	s_waitcnt_depctr 0xfff
	v_fma_f32 v93, -v91, v92, 1.0
	s_delay_alu instid0(VALU_DEP_1) | instskip(SKIP_1) | instid1(VALU_DEP_2)
	v_dual_fmac_f32 v92, v93, v92 :: v_dual_cndmask_b32 v93, v100, v99
	v_cmp_eq_u32_e32 vcc_lo, 3, v66
	v_cndmask_b32_e64 v93, v93, v101, s4
	v_cmp_eq_u32_e64 s4, 4, v66
	s_delay_alu instid0(VALU_DEP_2) | instskip(SKIP_1) | instid1(VALU_DEP_2)
	v_cndmask_b32_e32 v93, v93, v102, vcc_lo
	v_cmp_eq_u32_e32 vcc_lo, 5, v66
	v_cndmask_b32_e64 v93, v93, v97, s4
	v_cmp_eq_u32_e64 s4, 6, v66
	s_delay_alu instid0(VALU_DEP_2) | instskip(SKIP_1) | instid1(VALU_DEP_1)
	v_cndmask_b32_e32 v93, v93, v95, vcc_lo
	v_div_scale_f32 v94, s5, 1.0, v90, 1.0
	s_mov_b32 vcc_lo, s5
	s_delay_alu instid0(VALU_DEP_2) | instskip(NEXT) | instid1(VALU_DEP_2)
	v_cndmask_b32_e64 v82, v93, v82, s4
	v_mul_f32_e32 v96, v94, v92
	s_mov_b32 s4, exec_lo
	s_delay_alu instid0(VALU_DEP_2) | instskip(NEXT) | instid1(VALU_DEP_2)
	v_cndmask_b32_e64 v82, v82, v89, s6
	v_fma_f32 v98, -v91, v96, v94
	s_delay_alu instid0(VALU_DEP_1) | instskip(NEXT) | instid1(VALU_DEP_1)
	v_fmac_f32_e32 v96, v98, v92
	v_fma_f32 v91, -v91, v96, v94
	s_delay_alu instid0(VALU_DEP_1) | instskip(NEXT) | instid1(VALU_DEP_1)
	v_div_fmas_f32 v91, v91, v92, v96
	v_div_fixup_f32 v90, v91, v90, 1.0
	s_delay_alu instid0(VALU_DEP_1) | instskip(NEXT) | instid1(VALU_DEP_1)
	v_mul_f32_e32 v82, v82, v90
	v_mul_f32_e32 v87, v82, v87
	;; [unrolled: 1-line block ×7, first 2 shown]
	v_dual_mul_f32 v86, v82, v83 :: v_dual_and_b32 v91, 0x7f800000, v90
	v_mul_f32_e32 v85, v82, v76
                                        ; implicit-def: $vgpr76
	s_delay_alu instid0(VALU_DEP_2)
	v_cmpx_ne_u32_e32 0x7f800000, v91
	s_xor_b32 s4, exec_lo, s4
; %bb.13:
	v_bfe_u32 v76, v90, 16, 1
	s_delay_alu instid0(VALU_DEP_1)
	v_add3_u32 v76, v90, v76, 0x7fff
                                        ; implicit-def: $vgpr90
; %bb.14:
	s_and_not1_saveexec_b32 s4, s4
; %bb.15:
	v_and_b32_e32 v76, 0xffff, v90
	v_or_b32_e32 v83, 0x10000, v90
	s_delay_alu instid0(VALU_DEP_2) | instskip(NEXT) | instid1(VALU_DEP_2)
	v_cmp_eq_u32_e32 vcc_lo, 0, v76
	v_cndmask_b32_e32 v76, v83, v90, vcc_lo
; %bb.16:
	s_or_b32 exec_lo, exec_lo, s4
	v_and_b32_e32 v83, 0x7f800000, v85
	s_delay_alu instid0(VALU_DEP_1) | instskip(SKIP_1) | instid1(SALU_CYCLE_1)
	v_cmp_ne_u32_e32 vcc_lo, 0x7f800000, v83
                                        ; implicit-def: $vgpr83
	s_and_saveexec_b32 s4, vcc_lo
	s_xor_b32 s4, exec_lo, s4
; %bb.17:
	v_bfe_u32 v83, v85, 16, 1
	s_delay_alu instid0(VALU_DEP_1)
	v_add3_u32 v83, v85, v83, 0x7fff
                                        ; implicit-def: $vgpr85
; %bb.18:
	s_and_not1_saveexec_b32 s4, s4
; %bb.19:
	v_and_b32_e32 v83, 0xffff, v85
	v_or_b32_e32 v90, 0x10000, v85
	s_delay_alu instid0(VALU_DEP_2) | instskip(NEXT) | instid1(VALU_DEP_2)
	v_cmp_eq_u32_e32 vcc_lo, 0, v83
	v_cndmask_b32_e32 v83, v90, v85, vcc_lo
; %bb.20:
	s_or_b32 exec_lo, exec_lo, s4
	v_and_b32_e32 v85, 0x7f800000, v86
	s_delay_alu instid0(VALU_DEP_1) | instskip(SKIP_1) | instid1(SALU_CYCLE_1)
	v_cmp_ne_u32_e32 vcc_lo, 0x7f800000, v85
                                        ; implicit-def: $vgpr85
	s_and_saveexec_b32 s4, vcc_lo
	s_xor_b32 s4, exec_lo, s4
; %bb.21:
	v_bfe_u32 v85, v86, 16, 1
	s_delay_alu instid0(VALU_DEP_1)
	v_add3_u32 v85, v86, v85, 0x7fff
                                        ; implicit-def: $vgpr86
; %bb.22:
	s_and_not1_saveexec_b32 s4, s4
; %bb.23:
	v_and_b32_e32 v85, 0xffff, v86
	v_or_b32_e32 v90, 0x10000, v86
	s_delay_alu instid0(VALU_DEP_2) | instskip(NEXT) | instid1(VALU_DEP_2)
	v_cmp_eq_u32_e32 vcc_lo, 0, v85
	v_cndmask_b32_e32 v85, v90, v86, vcc_lo
; %bb.24:
	s_or_b32 exec_lo, exec_lo, s4
	v_and_b32_e32 v86, 0x7f800000, v89
	s_delay_alu instid0(VALU_DEP_1) | instskip(SKIP_1) | instid1(SALU_CYCLE_1)
	v_cmp_ne_u32_e32 vcc_lo, 0x7f800000, v86
                                        ; implicit-def: $vgpr86
	s_and_saveexec_b32 s4, vcc_lo
	s_xor_b32 s4, exec_lo, s4
; %bb.25:
	v_bfe_u32 v86, v89, 16, 1
	s_delay_alu instid0(VALU_DEP_1)
	v_add3_u32 v86, v89, v86, 0x7fff
                                        ; implicit-def: $vgpr89
; %bb.26:
	s_and_not1_saveexec_b32 s4, s4
; %bb.27:
	v_and_b32_e32 v86, 0xffff, v89
	v_or_b32_e32 v90, 0x10000, v89
	s_delay_alu instid0(VALU_DEP_2) | instskip(NEXT) | instid1(VALU_DEP_2)
	v_cmp_eq_u32_e32 vcc_lo, 0, v86
	v_cndmask_b32_e32 v86, v90, v89, vcc_lo
; %bb.28:
	s_or_b32 exec_lo, exec_lo, s4
	v_and_b32_e32 v89, 0x7f800000, v88
	s_delay_alu instid0(VALU_DEP_1) | instskip(SKIP_1) | instid1(SALU_CYCLE_1)
	v_cmp_ne_u32_e32 vcc_lo, 0x7f800000, v89
                                        ; implicit-def: $vgpr89
	s_and_saveexec_b32 s4, vcc_lo
	s_xor_b32 s4, exec_lo, s4
; %bb.29:
	v_bfe_u32 v89, v88, 16, 1
	s_delay_alu instid0(VALU_DEP_1)
	v_add3_u32 v89, v88, v89, 0x7fff
                                        ; implicit-def: $vgpr88
; %bb.30:
	s_and_not1_saveexec_b32 s4, s4
; %bb.31:
	v_and_b32_e32 v89, 0xffff, v88
	v_or_b32_e32 v90, 0x10000, v88
	s_delay_alu instid0(VALU_DEP_2) | instskip(NEXT) | instid1(VALU_DEP_2)
	v_cmp_eq_u32_e32 vcc_lo, 0, v89
	v_cndmask_b32_e32 v89, v90, v88, vcc_lo
; %bb.32:
	s_or_b32 exec_lo, exec_lo, s4
	v_and_b32_e32 v88, 0x7f800000, v87
	s_delay_alu instid0(VALU_DEP_1) | instskip(SKIP_1) | instid1(SALU_CYCLE_1)
	v_cmp_ne_u32_e32 vcc_lo, 0x7f800000, v88
                                        ; implicit-def: $vgpr88
	s_and_saveexec_b32 s4, vcc_lo
	s_xor_b32 s4, exec_lo, s4
; %bb.33:
	v_bfe_u32 v88, v87, 16, 1
	s_delay_alu instid0(VALU_DEP_1)
	v_add3_u32 v88, v87, v88, 0x7fff
                                        ; implicit-def: $vgpr87
; %bb.34:
	s_and_not1_saveexec_b32 s4, s4
; %bb.35:
	v_and_b32_e32 v88, 0xffff, v87
	v_or_b32_e32 v90, 0x10000, v87
	s_delay_alu instid0(VALU_DEP_2) | instskip(NEXT) | instid1(VALU_DEP_2)
	v_cmp_eq_u32_e32 vcc_lo, 0, v88
	v_cndmask_b32_e32 v88, v90, v87, vcc_lo
; %bb.36:
	s_or_b32 exec_lo, exec_lo, s4
	v_and_b32_e32 v87, 0x7f800000, v84
	s_delay_alu instid0(VALU_DEP_1) | instskip(SKIP_1) | instid1(SALU_CYCLE_1)
	v_cmp_ne_u32_e32 vcc_lo, 0x7f800000, v87
                                        ; implicit-def: $vgpr87
	s_and_saveexec_b32 s4, vcc_lo
	s_xor_b32 s4, exec_lo, s4
; %bb.37:
	v_bfe_u32 v87, v84, 16, 1
	s_delay_alu instid0(VALU_DEP_1)
	v_add3_u32 v87, v84, v87, 0x7fff
                                        ; implicit-def: $vgpr84
; %bb.38:
	s_and_not1_saveexec_b32 s4, s4
; %bb.39:
	v_and_b32_e32 v87, 0xffff, v84
	v_or_b32_e32 v90, 0x10000, v84
	s_delay_alu instid0(VALU_DEP_2) | instskip(NEXT) | instid1(VALU_DEP_2)
	v_cmp_eq_u32_e32 vcc_lo, 0, v87
	v_cndmask_b32_e32 v87, v90, v84, vcc_lo
; %bb.40:
	s_or_b32 exec_lo, exec_lo, s4
	v_and_b32_e32 v84, 0x7f800000, v80
	s_delay_alu instid0(VALU_DEP_1) | instskip(SKIP_1) | instid1(SALU_CYCLE_1)
	v_cmp_ne_u32_e32 vcc_lo, 0x7f800000, v84
                                        ; implicit-def: $vgpr84
	s_and_saveexec_b32 s4, vcc_lo
	s_xor_b32 s4, exec_lo, s4
; %bb.41:
	v_bfe_u32 v84, v80, 16, 1
	s_delay_alu instid0(VALU_DEP_1)
	v_add3_u32 v84, v80, v84, 0x7fff
                                        ; implicit-def: $vgpr80
; %bb.42:
	s_and_not1_saveexec_b32 s4, s4
; %bb.43:
	v_and_b32_e32 v84, 0xffff, v80
	v_or_b32_e32 v90, 0x10000, v80
	s_delay_alu instid0(VALU_DEP_2) | instskip(NEXT) | instid1(VALU_DEP_2)
	v_cmp_eq_u32_e32 vcc_lo, 0, v84
	v_cndmask_b32_e32 v84, v90, v80, vcc_lo
; %bb.44:
	s_or_b32 exec_lo, exec_lo, s4
	s_load_b64 s[36:37], s[0:1], 0x94
	v_lshlrev_b32_e32 v91, 4, v74
	s_delay_alu instid0(VALU_DEP_2)
	v_perm_b32 v90, v84, v87, 0x7060302
	v_dual_mul_f32 v79, v82, v79 :: v_dual_lshlrev_b32 v80, 6, v65
	v_dual_mul_f32 v77, v82, v77 :: v_dual_lshlrev_b32 v92, 11, v66
	v_mul_f32_e32 v84, v82, v70
	v_perm_b32 v89, v88, v89, 0x7060302
	v_perm_b32 v88, v86, v85, 0x7060302
	;; [unrolled: 1-line block ×3, first 2 shown]
	v_mul_f32_e32 v70, v82, v81
	v_or3_b32 v76, v91, v92, v80
	v_dual_mul_f32 v78, v82, v78 :: v_dual_and_b32 v85, 0x7f800000, v84
	v_mul_f32_e32 v83, v82, v72
	v_mul_f32_e32 v81, v82, v71
	;; [unrolled: 1-line block ×3, first 2 shown]
	s_mov_b32 s4, exec_lo
	ds_store_b128 v76, v[87:90]
                                        ; implicit-def: $vgpr69
	v_cmpx_ne_u32_e32 0x7f800000, v85
	s_xor_b32 s4, exec_lo, s4
; %bb.45:
	v_bfe_u32 v69, v84, 16, 1
	s_delay_alu instid0(VALU_DEP_1)
	v_add3_u32 v69, v84, v69, 0x7fff
                                        ; implicit-def: $vgpr84
; %bb.46:
	s_and_not1_saveexec_b32 s4, s4
; %bb.47:
	v_and_b32_e32 v69, 0xffff, v84
	v_or_b32_e32 v71, 0x10000, v84
	s_delay_alu instid0(VALU_DEP_2) | instskip(NEXT) | instid1(VALU_DEP_2)
	v_cmp_eq_u32_e32 vcc_lo, 0, v69
	v_cndmask_b32_e32 v69, v71, v84, vcc_lo
; %bb.48:
	s_or_b32 exec_lo, exec_lo, s4
	v_and_b32_e32 v71, 0x7f800000, v72
	s_delay_alu instid0(VALU_DEP_1) | instskip(SKIP_1) | instid1(SALU_CYCLE_1)
	v_cmp_ne_u32_e32 vcc_lo, 0x7f800000, v71
                                        ; implicit-def: $vgpr71
	s_and_saveexec_b32 s4, vcc_lo
	s_xor_b32 s4, exec_lo, s4
; %bb.49:
	v_bfe_u32 v71, v72, 16, 1
	s_delay_alu instid0(VALU_DEP_1)
	v_add3_u32 v71, v72, v71, 0x7fff
                                        ; implicit-def: $vgpr72
; %bb.50:
	s_and_not1_saveexec_b32 s4, s4
; %bb.51:
	v_and_b32_e32 v71, 0xffff, v72
	v_or_b32_e32 v82, 0x10000, v72
	s_delay_alu instid0(VALU_DEP_2) | instskip(NEXT) | instid1(VALU_DEP_2)
	v_cmp_eq_u32_e32 vcc_lo, 0, v71
	v_cndmask_b32_e32 v71, v82, v72, vcc_lo
; %bb.52:
	s_or_b32 exec_lo, exec_lo, s4
	v_and_b32_e32 v72, 0x7f800000, v81
	s_delay_alu instid0(VALU_DEP_1) | instskip(SKIP_1) | instid1(SALU_CYCLE_1)
	v_cmp_ne_u32_e32 vcc_lo, 0x7f800000, v72
                                        ; implicit-def: $vgpr72
	s_and_saveexec_b32 s4, vcc_lo
	s_xor_b32 s4, exec_lo, s4
; %bb.53:
	v_bfe_u32 v72, v81, 16, 1
	s_delay_alu instid0(VALU_DEP_1)
	v_add3_u32 v72, v81, v72, 0x7fff
                                        ; implicit-def: $vgpr81
; %bb.54:
	s_and_not1_saveexec_b32 s4, s4
; %bb.55:
	v_and_b32_e32 v72, 0xffff, v81
	v_or_b32_e32 v82, 0x10000, v81
	s_delay_alu instid0(VALU_DEP_2) | instskip(NEXT) | instid1(VALU_DEP_2)
	v_cmp_eq_u32_e32 vcc_lo, 0, v72
	v_cndmask_b32_e32 v72, v82, v81, vcc_lo
; %bb.56:
	s_or_b32 exec_lo, exec_lo, s4
	v_and_b32_e32 v81, 0x7f800000, v83
	s_delay_alu instid0(VALU_DEP_1) | instskip(SKIP_1) | instid1(SALU_CYCLE_1)
	v_cmp_ne_u32_e32 vcc_lo, 0x7f800000, v81
                                        ; implicit-def: $vgpr81
	s_and_saveexec_b32 s4, vcc_lo
	s_xor_b32 s4, exec_lo, s4
; %bb.57:
	v_bfe_u32 v81, v83, 16, 1
	s_delay_alu instid0(VALU_DEP_1)
	v_add3_u32 v81, v83, v81, 0x7fff
                                        ; implicit-def: $vgpr83
; %bb.58:
	s_and_not1_saveexec_b32 s4, s4
; %bb.59:
	v_and_b32_e32 v81, 0xffff, v83
	v_or_b32_e32 v82, 0x10000, v83
	s_delay_alu instid0(VALU_DEP_2) | instskip(NEXT) | instid1(VALU_DEP_2)
	v_cmp_eq_u32_e32 vcc_lo, 0, v81
	v_cndmask_b32_e32 v81, v82, v83, vcc_lo
; %bb.60:
	s_or_b32 exec_lo, exec_lo, s4
	v_and_b32_e32 v82, 0x7f800000, v77
	s_delay_alu instid0(VALU_DEP_1) | instskip(SKIP_1) | instid1(SALU_CYCLE_1)
	v_cmp_ne_u32_e32 vcc_lo, 0x7f800000, v82
                                        ; implicit-def: $vgpr82
	s_and_saveexec_b32 s4, vcc_lo
	s_xor_b32 s4, exec_lo, s4
; %bb.61:
	v_bfe_u32 v82, v77, 16, 1
	s_delay_alu instid0(VALU_DEP_1)
	v_add3_u32 v82, v77, v82, 0x7fff
                                        ; implicit-def: $vgpr77
; %bb.62:
	s_and_not1_saveexec_b32 s4, s4
; %bb.63:
	v_and_b32_e32 v82, 0xffff, v77
	v_or_b32_e32 v83, 0x10000, v77
	s_delay_alu instid0(VALU_DEP_2) | instskip(NEXT) | instid1(VALU_DEP_2)
	v_cmp_eq_u32_e32 vcc_lo, 0, v82
	v_cndmask_b32_e32 v82, v83, v77, vcc_lo
; %bb.64:
	s_or_b32 exec_lo, exec_lo, s4
	v_and_b32_e32 v77, 0x7f800000, v78
	s_delay_alu instid0(VALU_DEP_1) | instskip(SKIP_1) | instid1(SALU_CYCLE_1)
	v_cmp_ne_u32_e32 vcc_lo, 0x7f800000, v77
                                        ; implicit-def: $vgpr77
	s_and_saveexec_b32 s4, vcc_lo
	s_xor_b32 s4, exec_lo, s4
; %bb.65:
	v_bfe_u32 v77, v78, 16, 1
	s_delay_alu instid0(VALU_DEP_1)
	v_add3_u32 v77, v78, v77, 0x7fff
                                        ; implicit-def: $vgpr78
; %bb.66:
	s_and_not1_saveexec_b32 s4, s4
; %bb.67:
	v_and_b32_e32 v77, 0xffff, v78
	v_or_b32_e32 v83, 0x10000, v78
	s_delay_alu instid0(VALU_DEP_2) | instskip(NEXT) | instid1(VALU_DEP_2)
	v_cmp_eq_u32_e32 vcc_lo, 0, v77
	v_cndmask_b32_e32 v77, v83, v78, vcc_lo
; %bb.68:
	s_or_b32 exec_lo, exec_lo, s4
	v_and_b32_e32 v78, 0x7f800000, v79
	s_delay_alu instid0(VALU_DEP_1) | instskip(SKIP_1) | instid1(SALU_CYCLE_1)
	v_cmp_ne_u32_e32 vcc_lo, 0x7f800000, v78
                                        ; implicit-def: $vgpr78
	s_and_saveexec_b32 s4, vcc_lo
	s_xor_b32 s4, exec_lo, s4
; %bb.69:
	v_bfe_u32 v78, v79, 16, 1
	s_delay_alu instid0(VALU_DEP_1)
	v_add3_u32 v78, v79, v78, 0x7fff
                                        ; implicit-def: $vgpr79
; %bb.70:
	s_and_not1_saveexec_b32 s4, s4
; %bb.71:
	v_and_b32_e32 v78, 0xffff, v79
	v_or_b32_e32 v83, 0x10000, v79
	s_delay_alu instid0(VALU_DEP_2) | instskip(NEXT) | instid1(VALU_DEP_2)
	v_cmp_eq_u32_e32 vcc_lo, 0, v78
	v_cndmask_b32_e32 v78, v83, v79, vcc_lo
; %bb.72:
	s_or_b32 exec_lo, exec_lo, s4
	v_and_b32_e32 v79, 0x7f800000, v70
	s_delay_alu instid0(VALU_DEP_1) | instskip(SKIP_1) | instid1(SALU_CYCLE_1)
	v_cmp_ne_u32_e32 vcc_lo, 0x7f800000, v79
                                        ; implicit-def: $vgpr79
	s_and_saveexec_b32 s4, vcc_lo
	s_xor_b32 s4, exec_lo, s4
; %bb.73:
	v_bfe_u32 v79, v70, 16, 1
	s_delay_alu instid0(VALU_DEP_1)
	v_add3_u32 v79, v70, v79, 0x7fff
                                        ; implicit-def: $vgpr70
; %bb.74:
	s_and_not1_saveexec_b32 s4, s4
; %bb.75:
	v_and_b32_e32 v79, 0xffff, v70
	v_or_b32_e32 v83, 0x10000, v70
	s_delay_alu instid0(VALU_DEP_2) | instskip(NEXT) | instid1(VALU_DEP_2)
	v_cmp_eq_u32_e32 vcc_lo, 0, v79
	v_cndmask_b32_e32 v79, v83, v70, vcc_lo
; %bb.76:
	s_or_b32 exec_lo, exec_lo, s4
	s_delay_alu instid0(VALU_DEP_1)
	v_perm_b32 v86, v79, v78, 0x7060302
	v_perm_b32 v85, v77, v82, 0x7060302
	;; [unrolled: 1-line block ×4, first 2 shown]
	v_lshl_or_b32 v82, v66, 11, v80
	ds_store_b128 v76, v[83:86] offset:1024
	s_waitcnt lgkmcnt(0)
	s_barrier
	buffer_gl0_inv
	ds_load_b128 v[69:72], v82
	ds_load_b128 v[83:86], v82 offset:16
	s_waitcnt lgkmcnt(1)
	v_lshrrev_b32_e32 v66, 16, v69
	s_waitcnt lgkmcnt(0)
	v_lshrrev_b32_e32 v91, 16, v83
	v_lshlrev_b32_e32 v78, 2, v74
	v_lshrrev_b32_e32 v95, 16, v70
	v_lshrrev_b32_e32 v98, 16, v84
	;; [unrolled: 1-line block ×4, first 2 shown]
	v_cmp_eq_u32_e32 vcc_lo, 1, v78
	v_lshrrev_b32_e32 v97, 16, v72
	v_lshrrev_b32_e32 v100, 16, v86
	v_cndmask_b32_e32 v87, v83, v91, vcc_lo
	v_or_b32_e32 v79, 1, v78
	v_cndmask_b32_e32 v81, v69, v66, vcc_lo
	v_cmp_eq_u32_e64 s5, 2, v78
	v_cmp_eq_u32_e64 s8, 3, v78
	;; [unrolled: 1-line block ×5, first 2 shown]
	v_cndmask_b32_e64 v81, v81, v70, s5
	v_cndmask_b32_e64 v87, v87, v84, s5
	v_cmp_eq_u32_e64 s9, 3, v79
	v_cndmask_b32_e64 v88, v69, v66, s4
	v_or_b32_e32 v77, 2, v78
	v_cndmask_b32_e64 v81, v81, v95, s8
	v_cndmask_b32_e64 v87, v87, v98, s8
	;; [unrolled: 1-line block ×4, first 2 shown]
	v_cmp_eq_u32_e64 s11, 5, v78
	v_cndmask_b32_e64 v81, v81, v71, s10
	v_cndmask_b32_e64 v87, v87, v85, s10
	v_cmp_eq_u32_e64 s12, 4, v79
	v_cndmask_b32_e64 v88, v88, v95, s9
	v_cmp_eq_u32_e64 s6, 1, v77
	v_cndmask_b32_e64 v89, v89, v84, s7
	v_cndmask_b32_e64 v81, v81, v96, s11
	v_cmp_eq_u32_e64 s13, 6, v78
	v_cndmask_b32_e64 v88, v88, v71, s12
	;; [unrolled: 3-line block ×3, first 2 shown]
	v_cndmask_b32_e64 v89, v89, v98, s9
	v_cndmask_b32_e64 v81, v81, v72, s13
	v_cmp_eq_u32_e64 s16, 7, v78
	v_cndmask_b32_e64 v88, v88, v96, s15
	v_cndmask_b32_e64 v87, v87, v86, s13
	v_cmp_eq_u32_e64 s17, 6, v79
	v_cmp_eq_u32_e64 s18, 2, v77
	v_cndmask_b32_e64 v89, v89, v85, s12
	v_cndmask_b32_e64 v101, v81, v97, s16
	;; [unrolled: 1-line block ×6, first 2 shown]
	v_cmp_eq_u32_e64 s19, 7, v79
	v_cmp_eq_u32_e64 s20, 3, v77
	;; [unrolled: 1-line block ×4, first 2 shown]
	v_cndmask_b32_e64 v87, v87, v84, s18
	v_cndmask_b32_e64 v103, v88, v97, s19
	;; [unrolled: 1-line block ×4, first 2 shown]
	v_or_b32_e32 v81, 3, v78
	v_cndmask_b32_e64 v93, v87, v98, s20
	v_cmp_eq_u32_e64 s25, 6, v77
	v_cndmask_b32_e64 v104, v88, v86, s17
	v_cndmask_b32_e64 v92, v89, v71, s21
	v_cmp_eq_u32_e64 s22, 1, v81
	ds_load_b128 v[87:90], v82 offset:1024
	v_cmp_eq_u32_e64 s24, 2, v81
	v_cmp_eq_u32_e64 s26, 3, v81
	v_cndmask_b32_e64 v105, v92, v96, s23
	v_cndmask_b32_e64 v66, v69, v66, s22
	;; [unrolled: 1-line block ×4, first 2 shown]
	ds_load_b128 v[91:94], v82 offset:1040
	v_cmp_eq_u32_e64 s27, 4, v81
	v_cndmask_b32_e64 v66, v66, v70, s24
	v_cmp_eq_u32_e64 s28, 7, v77
	v_cndmask_b32_e64 v70, v83, v84, s24
	v_cndmask_b32_e64 v84, v105, v72, s25
	v_cmp_eq_u32_e64 s29, 5, v81
	v_cndmask_b32_e64 v66, v66, v95, s26
	v_cmp_eq_u32_e64 s30, 6, v81
	v_cndmask_b32_e64 v70, v70, v98, s26
	v_cndmask_b32_e64 v69, v69, v99, s23
	;; [unrolled: 1-line block ×4, first 2 shown]
	s_waitcnt lgkmcnt(1)
	v_lshrrev_b32_e32 v95, 16, v87
	v_cndmask_b32_e64 v70, v70, v85, s27
	v_cndmask_b32_e64 v71, v84, v97, s28
	;; [unrolled: 1-line block ×4, first 2 shown]
	v_cndmask_b32_e32 v84, v87, v95, vcc_lo
	v_cndmask_b32_e64 v70, v70, v99, s29
	s_waitcnt lgkmcnt(0)
	v_lshrrev_b32_e32 v85, 16, v91
	v_lshrrev_b32_e32 v96, 16, v88
	v_cndmask_b32_e64 v98, v87, v95, s4
	v_cndmask_b32_e64 v84, v84, v88, s5
	;; [unrolled: 1-line block ×3, first 2 shown]
	v_cndmask_b32_e32 v99, v91, v85, vcc_lo
	v_cmp_eq_u32_e32 vcc_lo, 7, v81
	v_cndmask_b32_e64 v66, v66, v72, s30
	v_cndmask_b32_e64 v72, v84, v96, s8
	;; [unrolled: 1-line block ×3, first 2 shown]
	v_lshrrev_b32_e32 v98, 16, v92
	v_cndmask_b32_e32 v70, v70, v100, vcc_lo
	v_cndmask_b32_e64 v86, v99, v92, s5
	v_cndmask_b32_e64 v69, v69, v100, s28
	v_lshrrev_b32_e32 v100, 16, v93
	v_cndmask_b32_e64 v72, v72, v89, s10
	v_lshrrev_b32_e32 v99, 16, v89
	v_cndmask_b32_e64 v86, v86, v98, s8
	v_perm_b32 v71, v69, v71, 0x5040100
	v_cndmask_b32_e64 v84, v84, v96, s9
	s_delay_alu instid0(VALU_DEP_3) | instskip(NEXT) | instid1(VALU_DEP_2)
	v_cndmask_b32_e64 v86, v86, v93, s10
	v_cndmask_b32_e64 v84, v84, v89, s12
	s_delay_alu instid0(VALU_DEP_2) | instskip(NEXT) | instid1(VALU_DEP_1)
	v_cndmask_b32_e64 v86, v86, v100, s11
	v_cndmask_b32_e64 v69, v86, v94, s13
	v_cndmask_b32_e64 v86, v87, v95, s6
	v_cndmask_b32_e64 v87, v87, v95, s22
	v_cndmask_b32_e64 v95, v91, v85, s22
	s_delay_alu instid0(VALU_DEP_3) | instskip(NEXT) | instid1(VALU_DEP_3)
	v_cndmask_b32_e64 v86, v86, v88, s18
	v_cndmask_b32_e64 v87, v87, v88, s24
	s_delay_alu instid0(VALU_DEP_3) | instskip(NEXT) | instid1(VALU_DEP_3)
	v_cndmask_b32_e64 v88, v95, v92, s24
	v_cndmask_b32_e64 v86, v86, v96, s20
	s_delay_alu instid0(VALU_DEP_3) | instskip(NEXT) | instid1(VALU_DEP_3)
	v_cndmask_b32_e64 v87, v87, v96, s26
	v_cndmask_b32_e64 v88, v88, v98, s26
	s_delay_alu instid0(VALU_DEP_3) | instskip(NEXT) | instid1(VALU_DEP_3)
	v_cndmask_b32_e64 v86, v86, v89, s21
	v_cndmask_b32_e64 v87, v87, v89, s27
	s_delay_alu instid0(VALU_DEP_3) | instskip(NEXT) | instid1(VALU_DEP_3)
	v_cndmask_b32_e64 v88, v88, v93, s27
	v_cndmask_b32_e64 v86, v86, v99, s23
	s_delay_alu instid0(VALU_DEP_3) | instskip(NEXT) | instid1(VALU_DEP_3)
	v_cndmask_b32_e64 v87, v87, v99, s29
	v_cndmask_b32_e64 v88, v88, v100, s29
	s_delay_alu instid0(VALU_DEP_3) | instskip(NEXT) | instid1(VALU_DEP_3)
	v_cndmask_b32_e64 v86, v86, v90, s25
	v_cndmask_b32_e64 v87, v87, v90, s30
	s_delay_alu instid0(VALU_DEP_3) | instskip(SKIP_2) | instid1(VALU_DEP_2)
	v_cndmask_b32_e64 v88, v88, v94, s30
	v_cndmask_b32_e32 v66, v66, v97, vcc_lo
	v_cndmask_b32_e64 v97, v72, v99, s11
	v_perm_b32 v72, v70, v66, 0x5040100
	v_perm_b32 v70, v83, v103, 0x5040100
	v_cndmask_b32_e64 v103, v91, v85, s6
	v_cndmask_b32_e64 v85, v91, v85, s4
	;; [unrolled: 1-line block ×4, first 2 shown]
	v_lshrrev_b32_e32 v97, 16, v90
	v_cndmask_b32_e64 v91, v103, v92, s18
	v_cndmask_b32_e64 v85, v85, v92, s7
	v_cndmask_b32_e64 v66, v66, v90, s17
	s_mov_b32 s4, exec_lo
	v_cndmask_b32_e64 v83, v84, v97, s16
	v_cndmask_b32_e64 v91, v91, v98, s20
	;; [unrolled: 1-line block ×3, first 2 shown]
	v_lshrrev_b32_e32 v84, 16, v94
	v_cndmask_b32_e64 v66, v66, v97, s19
	v_cndmask_b32_e64 v90, v86, v97, s28
	;; [unrolled: 1-line block ×4, first 2 shown]
	v_dual_cndmask_b32 v86, v87, v97 :: v_dual_cndmask_b32 v87, v88, v84
	v_cndmask_b32_e64 v91, v69, v84, s16
	s_delay_alu instid0(VALU_DEP_4) | instskip(NEXT) | instid1(VALU_DEP_4)
	v_cndmask_b32_e64 v89, v89, v100, s23
	v_cndmask_b32_e64 v85, v85, v100, s15
	v_perm_b32 v69, v102, v101, 0x5040100
	v_perm_b32 v86, v87, v86, 0x5040100
	;; [unrolled: 1-line block ×3, first 2 shown]
	v_cndmask_b32_e64 v89, v89, v94, s25
	v_cndmask_b32_e64 v85, v85, v94, s17
	s_mul_i32 s9, s37, 15
	s_delay_alu instid0(VALU_DEP_2) | instskip(NEXT) | instid1(VALU_DEP_2)
	v_cndmask_b32_e64 v88, v89, v84, s28
	v_cndmask_b32_e64 v89, v85, v84, s19
	s_delay_alu instid0(VALU_DEP_2) | instskip(NEXT) | instid1(VALU_DEP_2)
	v_perm_b32 v85, v88, v90, 0x5040100
	v_perm_b32 v84, v89, v66, 0x5040100
	ds_store_b128 v76, v[69:72]
	ds_store_b128 v76, v[83:86] offset:1024
	v_cmpx_gt_u32_e32 15, v0
	s_cbranch_execz .LBB1708_78
; %bb.77:
	s_mul_i32 s5, s9, s34
	s_load_b128 s[16:19], s[0:1], 0x58
	v_add3_u32 v69, s5, s31, v65
	s_delay_alu instid0(VALU_DEP_1) | instskip(NEXT) | instid1(VALU_DEP_1)
	v_mad_u64_u32 v[65:66], null, v69, s36, s[14:15]
	v_ashrrev_i32_e32 v66, 31, v65
	s_delay_alu instid0(VALU_DEP_1) | instskip(SKIP_1) | instid1(VALU_DEP_1)
	v_lshlrev_b64 v[65:66], 2, v[65:66]
	s_waitcnt lgkmcnt(0)
	v_add_co_u32 v69, vcc_lo, s18, v65
	s_delay_alu instid0(VALU_DEP_2)
	v_add_co_ci_u32_e32 v70, vcc_lo, s19, v66, vcc_lo
	v_add_co_u32 v65, vcc_lo, s16, v65
	v_add_co_ci_u32_e32 v66, vcc_lo, s17, v66, vcc_lo
	global_store_b32 v[69:70], v67, off
	global_store_b32 v[65:66], v68, off
.LBB1708_78:
	s_or_b32 exec_lo, exec_lo, s4
	s_waitcnt lgkmcnt(0)
	s_waitcnt_vscnt null, 0x0
	s_barrier
	buffer_gl0_inv
	ds_load_b128 v[83:86], v80
	ds_load_b128 v[87:90], v80 offset:16
	ds_load_b128 v[95:98], v80 offset:2064
	;; [unrolled: 1-line block ×3, first 2 shown]
	v_mov_b32_e32 v65, 0
	ds_load_b128 v[103:106], v80 offset:4112
	ds_load_b128 v[99:102], v80 offset:4096
	;; [unrolled: 1-line block ×4, first 2 shown]
	v_mov_b32_e32 v66, v65
	v_mov_b32_e32 v67, v65
	;; [unrolled: 1-line block ×7, first 2 shown]
	s_waitcnt lgkmcnt(6)
	s_delay_alu instid0(VALU_DEP_1)
	v_wmma_f32_16x16x16_bf16 v[65:72], v[57:64], v[83:90], v[65:72]
	ds_load_b128 v[61:64], v80 offset:8208
	ds_load_b128 v[57:60], v80 offset:8192
	s_waitcnt lgkmcnt(6)
	v_wmma_f32_16x16x16_bf16 v[65:72], v[41:48], v[91:98], v[65:72]
	ds_load_b128 v[45:48], v80 offset:10256
	ds_load_b128 v[41:44], v80 offset:10240
	s_waitcnt lgkmcnt(6)
	;; [unrolled: 4-line block ×4, first 2 shown]
	v_wmma_f32_16x16x16_bf16 v[65:72], v[1:8], v[57:64], v[65:72]
	s_waitcnt lgkmcnt(4)
	s_delay_alu instid0(VALU_DEP_1) | instskip(SKIP_1) | instid1(VALU_DEP_1)
	v_wmma_f32_16x16x16_bf16 v[65:72], v[9:16], v[41:48], v[65:72]
	s_waitcnt lgkmcnt(2)
	v_wmma_f32_16x16x16_bf16 v[65:72], v[17:24], v[33:40], v[65:72]
	s_waitcnt lgkmcnt(0)
	s_delay_alu instid0(VALU_DEP_1) | instskip(NEXT) | instid1(VALU_DEP_1)
	v_wmma_f32_16x16x16_bf16 v[65:72], v[49:56], v[25:32], v[65:72]
	v_and_b32_e32 v1, 0x7f800000, v65
	s_delay_alu instid0(VALU_DEP_1) | instskip(SKIP_1) | instid1(SALU_CYCLE_1)
	v_cmp_ne_u32_e32 vcc_lo, 0x7f800000, v1
                                        ; implicit-def: $vgpr1
	s_and_saveexec_b32 s4, vcc_lo
	s_xor_b32 s4, exec_lo, s4
; %bb.79:
	v_bfe_u32 v1, v65, 16, 1
	s_delay_alu instid0(VALU_DEP_1)
	v_add3_u32 v1, v65, v1, 0x7fff
; %bb.80:
	s_and_not1_saveexec_b32 s4, s4
; %bb.81:
	v_and_b32_e32 v1, 0xffff, v65
	v_or_b32_e32 v2, 0x10000, v65
	s_delay_alu instid0(VALU_DEP_2) | instskip(NEXT) | instid1(VALU_DEP_2)
	v_cmp_eq_u32_e32 vcc_lo, 0, v1
	v_cndmask_b32_e32 v1, v2, v65, vcc_lo
; %bb.82:
	s_or_b32 exec_lo, exec_lo, s4
	v_and_b32_e32 v2, 0x7f800000, v66
	s_delay_alu instid0(VALU_DEP_1) | instskip(SKIP_1) | instid1(SALU_CYCLE_1)
	v_cmp_ne_u32_e32 vcc_lo, 0x7f800000, v2
                                        ; implicit-def: $vgpr2
	s_and_saveexec_b32 s4, vcc_lo
	s_xor_b32 s4, exec_lo, s4
; %bb.83:
	v_bfe_u32 v2, v66, 16, 1
	s_delay_alu instid0(VALU_DEP_1)
	v_add3_u32 v2, v66, v2, 0x7fff
; %bb.84:
	s_and_not1_saveexec_b32 s4, s4
; %bb.85:
	v_and_b32_e32 v2, 0xffff, v66
	v_or_b32_e32 v3, 0x10000, v66
	s_delay_alu instid0(VALU_DEP_2) | instskip(NEXT) | instid1(VALU_DEP_2)
	v_cmp_eq_u32_e32 vcc_lo, 0, v2
	v_cndmask_b32_e32 v2, v3, v66, vcc_lo
; %bb.86:
	s_or_b32 exec_lo, exec_lo, s4
	v_and_b32_e32 v3, 0x7f800000, v67
	s_delay_alu instid0(VALU_DEP_1) | instskip(SKIP_1) | instid1(SALU_CYCLE_1)
	v_cmp_ne_u32_e32 vcc_lo, 0x7f800000, v3
                                        ; implicit-def: $vgpr3
	s_and_saveexec_b32 s4, vcc_lo
	s_xor_b32 s4, exec_lo, s4
; %bb.87:
	v_bfe_u32 v3, v67, 16, 1
	s_delay_alu instid0(VALU_DEP_1)
	v_add3_u32 v3, v67, v3, 0x7fff
; %bb.88:
	s_and_not1_saveexec_b32 s4, s4
; %bb.89:
	v_and_b32_e32 v3, 0xffff, v67
	v_or_b32_e32 v4, 0x10000, v67
	s_delay_alu instid0(VALU_DEP_2) | instskip(NEXT) | instid1(VALU_DEP_2)
	v_cmp_eq_u32_e32 vcc_lo, 0, v3
	v_cndmask_b32_e32 v3, v4, v67, vcc_lo
; %bb.90:
	s_or_b32 exec_lo, exec_lo, s4
	v_and_b32_e32 v4, 0x7f800000, v68
	s_delay_alu instid0(VALU_DEP_1) | instskip(SKIP_1) | instid1(SALU_CYCLE_1)
	v_cmp_ne_u32_e32 vcc_lo, 0x7f800000, v4
                                        ; implicit-def: $vgpr4
	s_and_saveexec_b32 s4, vcc_lo
	s_xor_b32 s4, exec_lo, s4
; %bb.91:
	v_bfe_u32 v4, v68, 16, 1
	s_delay_alu instid0(VALU_DEP_1)
	v_add3_u32 v4, v68, v4, 0x7fff
; %bb.92:
	s_and_not1_saveexec_b32 s4, s4
; %bb.93:
	v_and_b32_e32 v4, 0xffff, v68
	v_or_b32_e32 v5, 0x10000, v68
	s_delay_alu instid0(VALU_DEP_2) | instskip(NEXT) | instid1(VALU_DEP_2)
	v_cmp_eq_u32_e32 vcc_lo, 0, v4
	v_cndmask_b32_e32 v4, v5, v68, vcc_lo
; %bb.94:
	s_or_b32 exec_lo, exec_lo, s4
	v_and_b32_e32 v5, 0x7f800000, v69
	s_delay_alu instid0(VALU_DEP_1) | instskip(SKIP_1) | instid1(SALU_CYCLE_1)
	v_cmp_ne_u32_e32 vcc_lo, 0x7f800000, v5
                                        ; implicit-def: $vgpr5
	s_and_saveexec_b32 s4, vcc_lo
	s_xor_b32 s4, exec_lo, s4
; %bb.95:
	v_bfe_u32 v5, v69, 16, 1
	s_delay_alu instid0(VALU_DEP_1)
	v_add3_u32 v5, v69, v5, 0x7fff
; %bb.96:
	s_and_not1_saveexec_b32 s4, s4
; %bb.97:
	v_and_b32_e32 v5, 0xffff, v69
	v_or_b32_e32 v6, 0x10000, v69
	s_delay_alu instid0(VALU_DEP_2) | instskip(NEXT) | instid1(VALU_DEP_2)
	v_cmp_eq_u32_e32 vcc_lo, 0, v5
	v_cndmask_b32_e32 v5, v6, v69, vcc_lo
; %bb.98:
	s_or_b32 exec_lo, exec_lo, s4
	v_and_b32_e32 v6, 0x7f800000, v70
	s_delay_alu instid0(VALU_DEP_1) | instskip(SKIP_1) | instid1(SALU_CYCLE_1)
	v_cmp_ne_u32_e32 vcc_lo, 0x7f800000, v6
                                        ; implicit-def: $vgpr6
	s_and_saveexec_b32 s4, vcc_lo
	s_xor_b32 s4, exec_lo, s4
; %bb.99:
	v_bfe_u32 v6, v70, 16, 1
	s_delay_alu instid0(VALU_DEP_1)
	v_add3_u32 v6, v70, v6, 0x7fff
; %bb.100:
	s_and_not1_saveexec_b32 s4, s4
; %bb.101:
	v_and_b32_e32 v6, 0xffff, v70
	v_or_b32_e32 v7, 0x10000, v70
	s_delay_alu instid0(VALU_DEP_2) | instskip(NEXT) | instid1(VALU_DEP_2)
	v_cmp_eq_u32_e32 vcc_lo, 0, v6
	v_cndmask_b32_e32 v6, v7, v70, vcc_lo
; %bb.102:
	s_or_b32 exec_lo, exec_lo, s4
	v_and_b32_e32 v7, 0x7f800000, v71
	s_delay_alu instid0(VALU_DEP_1) | instskip(SKIP_1) | instid1(SALU_CYCLE_1)
	v_cmp_ne_u32_e32 vcc_lo, 0x7f800000, v7
                                        ; implicit-def: $vgpr7
	s_and_saveexec_b32 s4, vcc_lo
	s_xor_b32 s4, exec_lo, s4
; %bb.103:
	v_bfe_u32 v7, v71, 16, 1
	s_delay_alu instid0(VALU_DEP_1)
	v_add3_u32 v7, v71, v7, 0x7fff
; %bb.104:
	s_and_not1_saveexec_b32 s4, s4
; %bb.105:
	v_and_b32_e32 v7, 0xffff, v71
	v_or_b32_e32 v8, 0x10000, v71
	s_delay_alu instid0(VALU_DEP_2) | instskip(NEXT) | instid1(VALU_DEP_2)
	v_cmp_eq_u32_e32 vcc_lo, 0, v7
	v_cndmask_b32_e32 v7, v8, v71, vcc_lo
; %bb.106:
	s_or_b32 exec_lo, exec_lo, s4
	v_and_b32_e32 v8, 0x7f800000, v72
	s_delay_alu instid0(VALU_DEP_1) | instskip(SKIP_1) | instid1(SALU_CYCLE_1)
	v_cmp_ne_u32_e32 vcc_lo, 0x7f800000, v8
                                        ; implicit-def: $vgpr8
	s_and_saveexec_b32 s4, vcc_lo
	s_xor_b32 s4, exec_lo, s4
; %bb.107:
	v_bfe_u32 v8, v72, 16, 1
	s_delay_alu instid0(VALU_DEP_1)
	v_add3_u32 v8, v72, v8, 0x7fff
                                        ; implicit-def: $vgpr65_vgpr66_vgpr67_vgpr68_vgpr69_vgpr70_vgpr71_vgpr72
; %bb.108:
	s_and_not1_saveexec_b32 s4, s4
; %bb.109:
	v_and_b32_e32 v8, 0xffff, v72
	v_or_b32_e32 v9, 0x10000, v72
	s_delay_alu instid0(VALU_DEP_2) | instskip(NEXT) | instid1(VALU_DEP_2)
	v_cmp_eq_u32_e32 vcc_lo, 0, v8
	v_cndmask_b32_e32 v8, v9, v72, vcc_lo
; %bb.110:
	s_or_b32 exec_lo, exec_lo, s4
	s_delay_alu instid0(VALU_DEP_1)
	v_perm_b32 v7, v8, v7, 0x7060302
	v_perm_b32 v6, v6, v5, 0x7060302
	;; [unrolled: 1-line block ×4, first 2 shown]
	s_barrier
	buffer_gl0_inv
	v_cmp_eq_u32_e32 vcc_lo, 1, v78
	ds_store_b128 v76, v[4:7]
	s_waitcnt lgkmcnt(0)
	s_barrier
	buffer_gl0_inv
	ds_load_b128 v[1:4], v82
	ds_load_b128 v[5:8], v82 offset:16
	v_cmp_eq_u32_e64 s4, 1, v79
	v_cmp_eq_u32_e64 s5, 2, v78
	;; [unrolled: 1-line block ×5, first 2 shown]
	s_waitcnt lgkmcnt(1)
	v_lshrrev_b32_e32 v9, 16, v1
	s_waitcnt lgkmcnt(0)
	v_lshrrev_b32_e32 v13, 16, v5
	v_lshrrev_b32_e32 v10, 16, v2
	;; [unrolled: 1-line block ×4, first 2 shown]
	v_cndmask_b32_e64 v19, v1, v9, s4
	v_cndmask_b32_e32 v18, v5, v13, vcc_lo
	v_cndmask_b32_e64 v20, v5, v13, s4
	v_cndmask_b32_e32 v17, v1, v9, vcc_lo
	v_cmp_eq_u32_e32 vcc_lo, 2, v79
	v_lshrrev_b32_e32 v15, 16, v7
	v_cmp_eq_u32_e64 s4, 1, v77
	v_lshrrev_b32_e32 v12, 16, v4
	v_lshrrev_b32_e32 v16, 16, v8
	v_cndmask_b32_e32 v20, v20, v6, vcc_lo
	v_cndmask_b32_e64 v17, v17, v2, s5
	v_cndmask_b32_e32 v19, v19, v2, vcc_lo
	v_cndmask_b32_e64 v18, v18, v6, s5
	v_cmp_eq_u32_e32 vcc_lo, 4, v78
	v_cmp_eq_u32_e64 s5, 3, v79
	v_cndmask_b32_e64 v17, v17, v10, s6
	v_cndmask_b32_e64 v21, v1, v9, s4
	;; [unrolled: 1-line block ×5, first 2 shown]
	v_cndmask_b32_e32 v17, v17, v3, vcc_lo
	v_cndmask_b32_e64 v20, v20, v14, s5
	v_cndmask_b32_e32 v18, v18, v7, vcc_lo
	v_cmp_eq_u32_e32 vcc_lo, 4, v79
	v_cmp_eq_u32_e64 s5, 5, v79
	v_cmp_eq_u32_e64 s4, 2, v81
	v_cndmask_b32_e64 v21, v21, v2, s8
	v_cmp_eq_u32_e64 s6, 5, v78
	v_cndmask_b32_e32 v19, v19, v3, vcc_lo
	v_cndmask_b32_e32 v20, v20, v7, vcc_lo
	v_cmp_eq_u32_e32 vcc_lo, 6, v79
	s_delay_alu instid0(VALU_DEP_4) | instskip(NEXT) | instid1(VALU_DEP_4)
	v_cndmask_b32_e64 v17, v17, v11, s6
	v_cndmask_b32_e64 v19, v19, v11, s5
	s_delay_alu instid0(VALU_DEP_4) | instskip(SKIP_1) | instid1(VALU_DEP_3)
	v_cndmask_b32_e64 v20, v20, v15, s5
	v_cmp_eq_u32_e64 s5, 1, v81
	v_cndmask_b32_e32 v19, v19, v4, vcc_lo
	v_cndmask_b32_e64 v18, v18, v15, s6
	s_delay_alu instid0(VALU_DEP_3)
	v_cndmask_b32_e64 v1, v1, v9, s5
	v_cndmask_b32_e64 v5, v5, v13, s5
	v_cmp_eq_u32_e64 s5, 3, v77
	v_cndmask_b32_e64 v13, v22, v6, s8
	v_cmp_eq_u32_e64 s8, 3, v81
	v_cndmask_b32_e64 v1, v1, v2, s4
	v_cndmask_b32_e64 v2, v5, v6, s4
	;; [unrolled: 1-line block ×3, first 2 shown]
	v_cmp_eq_u32_e64 s4, 4, v77
	v_cndmask_b32_e64 v6, v13, v14, s5
	v_cndmask_b32_e64 v1, v1, v10, s8
	v_cmp_eq_u32_e64 s5, 4, v81
	v_cndmask_b32_e64 v2, v2, v14, s8
	v_cndmask_b32_e64 v5, v9, v3, s4
	;; [unrolled: 3-line block ×3, first 2 shown]
	v_cndmask_b32_e64 v2, v2, v7, s5
	v_cmp_eq_u32_e64 s4, 5, v81
	v_cmp_eq_u32_e64 s6, 6, v78
	v_cndmask_b32_e64 v5, v5, v11, s8
	v_cmp_eq_u32_e64 s5, 6, v77
	v_cndmask_b32_e64 v3, v6, v15, s8
	v_cndmask_b32_e64 v1, v1, v11, s4
	v_cmp_eq_u32_e64 s8, 6, v81
	v_cndmask_b32_e64 v2, v2, v15, s4
	v_cndmask_b32_e64 v17, v17, v4, s6
	v_cndmask_b32_e64 v18, v18, v8, s6
	v_cmp_eq_u32_e64 s6, 7, v78
	v_cndmask_b32_e64 v5, v5, v4, s5
	;; [unrolled: 4-line block ×3, first 2 shown]
	v_cmp_eq_u32_e64 s5, 7, v77
	v_cndmask_b32_e32 v4, v20, v8, vcc_lo
	v_cndmask_b32_e64 v17, v17, v12, s6
	v_cndmask_b32_e64 v19, v19, v12, s7
	;; [unrolled: 1-line block ×8, first 2 shown]
	v_cmp_gt_u32_e32 vcc_lo, 32, v0
	v_perm_b32 v4, v2, v1, 0x5040100
	v_perm_b32 v3, v3, v5, 0x5040100
	;; [unrolled: 1-line block ×4, first 2 shown]
	s_and_b32 s2, vcc_lo, s2
	ds_store_b128 v76, v[1:4]
	s_waitcnt lgkmcnt(0)
	s_barrier
	buffer_gl0_inv
	s_and_saveexec_b32 s4, s2
	s_cbranch_execz .LBB1708_2
; %bb.111:
	s_load_b64 s[4:5], s[0:1], 0x68
	v_add_nc_u32_e32 v20, s31, v74
	v_lshlrev_b32_e32 v0, 10, v0
	v_lshlrev_b32_e32 v1, 4, v75
	s_lshl_b32 s0, s36, 6
	s_delay_alu instid0(SALU_CYCLE_1)
	s_mul_i32 s1, s0, s34
	v_add_nc_u32_e32 v2, 2, v20
	s_mul_i32 s6, s1, s9
	v_and_or_b32 v0, 0x3800, v0, v1
	v_mul_lo_u32 v1, v20, s0
	s_ashr_i32 s7, s6, 31
	v_mul_lo_u32 v11, v2, s0
	s_lshl_b64 s[6:7], s[6:7], 1
	v_add_nc_u32_e32 v3, 4, v20
	v_lshl_or_b32 v21, v74, 6, v0
	v_add_nc_u32_e32 v16, 6, v20
	v_ashrrev_i32_e32 v2, 31, v1
	s_delay_alu instid0(VALU_DEP_4)
	v_mul_lo_u32 v13, v3, s0
	s_waitcnt lgkmcnt(0)
	s_add_u32 s1, s4, s6
	s_addc_u32 s2, s5, s7
	s_lshl_b32 s4, s14, 6
	ds_load_b128 v[3:6], v21
	ds_load_b128 v[7:10], v21 offset:128
	s_ashr_i32 s5, s4, 31
	v_ashrrev_i32_e32 v12, 31, v11
	s_lshl_b64 s[4:5], s[4:5], 1
	v_lshlrev_b64 v[14:15], 1, v[1:2]
	s_add_u32 s1, s1, s4
	s_addc_u32 s2, s2, s5
	v_add_co_u32 v1, s1, s1, v73
	s_delay_alu instid0(VALU_DEP_1) | instskip(SKIP_1) | instid1(VALU_DEP_3)
	v_add_co_ci_u32_e64 v2, null, s2, 0, s1
	v_lshlrev_b64 v[11:12], 1, v[11:12]
	v_add_co_u32 v18, vcc_lo, v1, v14
	v_mul_lo_u32 v16, v16, s0
	s_delay_alu instid0(VALU_DEP_4) | instskip(NEXT) | instid1(VALU_DEP_4)
	v_add_co_ci_u32_e32 v19, vcc_lo, v2, v15, vcc_lo
	v_add_co_u32 v11, vcc_lo, v1, v11
	v_ashrrev_i32_e32 v14, 31, v13
	v_add_co_ci_u32_e32 v12, vcc_lo, v2, v12, vcc_lo
	v_add_nc_u32_e32 v15, 8, v20
	v_ashrrev_i32_e32 v17, 31, v16
	s_waitcnt lgkmcnt(1)
	global_store_b128 v[18:19], v[3:6], off
	v_lshlrev_b64 v[3:4], 1, v[13:14]
	s_waitcnt lgkmcnt(0)
	global_store_b128 v[11:12], v[7:10], off
	v_mul_lo_u32 v11, v15, s0
	v_add_nc_u32_e32 v7, 10, v20
	v_lshlrev_b64 v[5:6], 1, v[16:17]
	v_add_co_u32 v23, vcc_lo, v1, v3
	v_add_nc_u32_e32 v3, 12, v20
	s_delay_alu instid0(VALU_DEP_4)
	v_mul_lo_u32 v25, v7, s0
	v_ashrrev_i32_e32 v12, 31, v11
	v_add_co_ci_u32_e32 v24, vcc_lo, v2, v4, vcc_lo
	v_add_co_u32 v27, vcc_lo, v1, v5
	v_mul_lo_u32 v29, v3, s0
	v_add_co_ci_u32_e32 v28, vcc_lo, v2, v6, vcc_lo
	ds_load_b128 v[3:6], v21 offset:256
	ds_load_b128 v[7:10], v21 offset:384
	v_lshlrev_b64 v[31:32], 1, v[11:12]
	ds_load_b128 v[11:14], v21 offset:512
	ds_load_b128 v[15:18], v21 offset:640
	;; [unrolled: 1-line block ×3, first 2 shown]
	v_ashrrev_i32_e32 v26, 31, v25
	v_ashrrev_i32_e32 v30, 31, v29
	v_add_co_u32 v31, vcc_lo, v1, v31
	s_delay_alu instid0(VALU_DEP_3) | instskip(NEXT) | instid1(VALU_DEP_3)
	v_lshlrev_b64 v[25:26], 1, v[25:26]
	v_lshlrev_b64 v[29:30], 1, v[29:30]
	v_add_co_ci_u32_e32 v32, vcc_lo, v2, v32, vcc_lo
	s_delay_alu instid0(VALU_DEP_3) | instskip(NEXT) | instid1(VALU_DEP_4)
	v_add_co_u32 v25, vcc_lo, v1, v25
	v_add_co_ci_u32_e32 v26, vcc_lo, v2, v26, vcc_lo
	s_delay_alu instid0(VALU_DEP_4)
	v_add_co_u32 v29, vcc_lo, v1, v29
	v_add_co_ci_u32_e32 v30, vcc_lo, v2, v30, vcc_lo
	s_waitcnt lgkmcnt(4)
	global_store_b128 v[23:24], v[3:6], off
	s_waitcnt lgkmcnt(3)
	global_store_b128 v[27:28], v[7:10], off
	;; [unrolled: 2-line block ×5, first 2 shown]
	s_and_b32 exec_lo, exec_lo, s3
	s_cbranch_execz .LBB1708_2
; %bb.112:
	ds_load_b128 v[3:6], v0 offset:896
	s_add_i32 s1, s31, 14
	s_delay_alu instid0(SALU_CYCLE_1) | instskip(NEXT) | instid1(SALU_CYCLE_1)
	s_mul_i32 s0, s1, s0
	s_ashr_i32 s1, s0, 31
	s_delay_alu instid0(SALU_CYCLE_1) | instskip(NEXT) | instid1(SALU_CYCLE_1)
	s_lshl_b64 s[0:1], s[0:1], 1
	v_add_co_u32 v0, vcc_lo, v1, s0
	v_add_co_ci_u32_e32 v1, vcc_lo, s1, v2, vcc_lo
	s_waitcnt lgkmcnt(0)
	global_store_b128 v[0:1], v[3:6], off
	s_nop 0
	s_sendmsg sendmsg(MSG_DEALLOC_VGPRS)
	s_endpgm
	.section	.rodata,"a",@progbits
	.p2align	6, 0x0
	.amdhsa_kernel _Z39paged_attention_ll4mi_QKV_mfma16_kernelI14__hip_bfloat16hLN4vllm18Fp8KVCacheDataTypeE1ES0_Li16ELi64ELi256ELb1ELi15EL8MFMAType0EEvPKT_PKT0_S9_ifPKiSB_SB_iPKfiiiPfSE_PS4_PT2_iSD_SD_
		.amdhsa_group_segment_fixed_size 17472
		.amdhsa_private_segment_fixed_size 0
		.amdhsa_kernarg_size 400
		.amdhsa_user_sgpr_count 13
		.amdhsa_user_sgpr_dispatch_ptr 0
		.amdhsa_user_sgpr_queue_ptr 0
		.amdhsa_user_sgpr_kernarg_segment_ptr 1
		.amdhsa_user_sgpr_dispatch_id 0
		.amdhsa_user_sgpr_private_segment_size 0
		.amdhsa_wavefront_size32 1
		.amdhsa_uses_dynamic_stack 0
		.amdhsa_enable_private_segment 0
		.amdhsa_system_sgpr_workgroup_id_x 1
		.amdhsa_system_sgpr_workgroup_id_y 1
		.amdhsa_system_sgpr_workgroup_id_z 1
		.amdhsa_system_sgpr_workgroup_info 0
		.amdhsa_system_vgpr_workitem_id 0
		.amdhsa_next_free_vgpr 124
		.amdhsa_next_free_sgpr 40
		.amdhsa_reserve_vcc 1
		.amdhsa_float_round_mode_32 0
		.amdhsa_float_round_mode_16_64 0
		.amdhsa_float_denorm_mode_32 3
		.amdhsa_float_denorm_mode_16_64 3
		.amdhsa_dx10_clamp 1
		.amdhsa_ieee_mode 1
		.amdhsa_fp16_overflow 0
		.amdhsa_workgroup_processor_mode 1
		.amdhsa_memory_ordered 1
		.amdhsa_forward_progress 0
		.amdhsa_shared_vgpr_count 0
		.amdhsa_exception_fp_ieee_invalid_op 0
		.amdhsa_exception_fp_denorm_src 0
		.amdhsa_exception_fp_ieee_div_zero 0
		.amdhsa_exception_fp_ieee_overflow 0
		.amdhsa_exception_fp_ieee_underflow 0
		.amdhsa_exception_fp_ieee_inexact 0
		.amdhsa_exception_int_div_zero 0
	.end_amdhsa_kernel
	.section	.text._Z39paged_attention_ll4mi_QKV_mfma16_kernelI14__hip_bfloat16hLN4vllm18Fp8KVCacheDataTypeE1ES0_Li16ELi64ELi256ELb1ELi15EL8MFMAType0EEvPKT_PKT0_S9_ifPKiSB_SB_iPKfiiiPfSE_PS4_PT2_iSD_SD_,"axG",@progbits,_Z39paged_attention_ll4mi_QKV_mfma16_kernelI14__hip_bfloat16hLN4vllm18Fp8KVCacheDataTypeE1ES0_Li16ELi64ELi256ELb1ELi15EL8MFMAType0EEvPKT_PKT0_S9_ifPKiSB_SB_iPKfiiiPfSE_PS4_PT2_iSD_SD_,comdat
.Lfunc_end1708:
	.size	_Z39paged_attention_ll4mi_QKV_mfma16_kernelI14__hip_bfloat16hLN4vllm18Fp8KVCacheDataTypeE1ES0_Li16ELi64ELi256ELb1ELi15EL8MFMAType0EEvPKT_PKT0_S9_ifPKiSB_SB_iPKfiiiPfSE_PS4_PT2_iSD_SD_, .Lfunc_end1708-_Z39paged_attention_ll4mi_QKV_mfma16_kernelI14__hip_bfloat16hLN4vllm18Fp8KVCacheDataTypeE1ES0_Li16ELi64ELi256ELb1ELi15EL8MFMAType0EEvPKT_PKT0_S9_ifPKiSB_SB_iPKfiiiPfSE_PS4_PT2_iSD_SD_
                                        ; -- End function
	.section	.AMDGPU.csdata,"",@progbits
; Kernel info:
; codeLenInByte = 9008
; NumSgprs: 42
; NumVgprs: 124
; ScratchSize: 0
; MemoryBound: 0
; FloatMode: 240
; IeeeMode: 1
; LDSByteSize: 17472 bytes/workgroup (compile time only)
; SGPRBlocks: 5
; VGPRBlocks: 15
; NumSGPRsForWavesPerEU: 42
; NumVGPRsForWavesPerEU: 124
; Occupancy: 10
; WaveLimiterHint : 1
; COMPUTE_PGM_RSRC2:SCRATCH_EN: 0
; COMPUTE_PGM_RSRC2:USER_SGPR: 13
; COMPUTE_PGM_RSRC2:TRAP_HANDLER: 0
; COMPUTE_PGM_RSRC2:TGID_X_EN: 1
; COMPUTE_PGM_RSRC2:TGID_Y_EN: 1
; COMPUTE_PGM_RSRC2:TGID_Z_EN: 1
; COMPUTE_PGM_RSRC2:TIDIG_COMP_CNT: 0
	.section	.text._Z39paged_attention_ll4mi_QKV_mfma16_kernelI14__hip_bfloat16hLN4vllm18Fp8KVCacheDataTypeE1ES0_Li16ELi64ELi256ELb1ELi16EL8MFMAType0EEvPKT_PKT0_S9_ifPKiSB_SB_iPKfiiiPfSE_PS4_PT2_iSD_SD_,"axG",@progbits,_Z39paged_attention_ll4mi_QKV_mfma16_kernelI14__hip_bfloat16hLN4vllm18Fp8KVCacheDataTypeE1ES0_Li16ELi64ELi256ELb1ELi16EL8MFMAType0EEvPKT_PKT0_S9_ifPKiSB_SB_iPKfiiiPfSE_PS4_PT2_iSD_SD_,comdat
	.protected	_Z39paged_attention_ll4mi_QKV_mfma16_kernelI14__hip_bfloat16hLN4vllm18Fp8KVCacheDataTypeE1ES0_Li16ELi64ELi256ELb1ELi16EL8MFMAType0EEvPKT_PKT0_S9_ifPKiSB_SB_iPKfiiiPfSE_PS4_PT2_iSD_SD_ ; -- Begin function _Z39paged_attention_ll4mi_QKV_mfma16_kernelI14__hip_bfloat16hLN4vllm18Fp8KVCacheDataTypeE1ES0_Li16ELi64ELi256ELb1ELi16EL8MFMAType0EEvPKT_PKT0_S9_ifPKiSB_SB_iPKfiiiPfSE_PS4_PT2_iSD_SD_
	.globl	_Z39paged_attention_ll4mi_QKV_mfma16_kernelI14__hip_bfloat16hLN4vllm18Fp8KVCacheDataTypeE1ES0_Li16ELi64ELi256ELb1ELi16EL8MFMAType0EEvPKT_PKT0_S9_ifPKiSB_SB_iPKfiiiPfSE_PS4_PT2_iSD_SD_
	.p2align	8
	.type	_Z39paged_attention_ll4mi_QKV_mfma16_kernelI14__hip_bfloat16hLN4vllm18Fp8KVCacheDataTypeE1ES0_Li16ELi64ELi256ELb1ELi16EL8MFMAType0EEvPKT_PKT0_S9_ifPKiSB_SB_iPKfiiiPfSE_PS4_PT2_iSD_SD_,@function
_Z39paged_attention_ll4mi_QKV_mfma16_kernelI14__hip_bfloat16hLN4vllm18Fp8KVCacheDataTypeE1ES0_Li16ELi64ELi256ELb1ELi16EL8MFMAType0EEvPKT_PKT0_S9_ifPKiSB_SB_iPKfiiiPfSE_PS4_PT2_iSD_SD_: ; @_Z39paged_attention_ll4mi_QKV_mfma16_kernelI14__hip_bfloat16hLN4vllm18Fp8KVCacheDataTypeE1ES0_Li16ELi64ELi256ELb1ELi16EL8MFMAType0EEvPKT_PKT0_S9_ifPKiSB_SB_iPKfiiiPfSE_PS4_PT2_iSD_SD_
; %bb.0:
	s_load_b64 s[2:3], s[0:1], 0x30
	s_mov_b32 s30, s13
	s_waitcnt lgkmcnt(0)
	s_cmp_lg_u64 s[2:3], 0
	s_cselect_b32 s8, -1, 0
	s_ashr_i32 s31, s13, 31
	s_cmp_eq_u64 s[2:3], 0
	s_cbranch_scc1 .LBB1709_3
; %bb.1:
	s_lshl_b64 s[4:5], s[30:31], 2
	s_delay_alu instid0(SALU_CYCLE_1) | instskip(SKIP_4) | instid1(SALU_CYCLE_1)
	s_add_u32 s4, s2, s4
	s_addc_u32 s5, s3, s5
	s_load_b64 s[4:5], s[4:5], 0x0
	s_waitcnt lgkmcnt(0)
	s_sub_i32 s4, s5, s4
	s_cmp_eq_u32 s4, 1
	s_cselect_b32 s4, -1, 0
	s_delay_alu instid0(SALU_CYCLE_1)
	s_and_not1_b32 vcc_lo, exec_lo, s4
	s_cbranch_vccz .LBB1709_4
.LBB1709_2:
	s_endpgm
.LBB1709_3:
.LBB1709_4:
	s_load_b64 s[4:5], s[0:1], 0x28
	s_lshl_b64 s[6:7], s[30:31], 2
	s_waitcnt lgkmcnt(0)
	s_add_u32 s4, s4, s6
	s_addc_u32 s5, s5, s7
	s_lshl_b32 s12, s14, 8
	s_load_b32 s24, s[4:5], 0x0
	s_waitcnt lgkmcnt(0)
	s_cmp_ge_i32 s12, s24
	s_cbranch_scc1 .LBB1709_2
; %bb.5:
	s_clause 0x1
	s_load_b128 s[20:23], s[0:1], 0x8
	s_load_b64 s[4:5], s[0:1], 0x20
	s_and_not1_b32 vcc_lo, exec_lo, s8
	s_cbranch_vccnz .LBB1709_7
; %bb.6:
	s_add_u32 s2, s2, s6
	s_addc_u32 s3, s3, s7
	s_load_b32 s3, s[2:3], 0x0
	s_branch .LBB1709_8
.LBB1709_7:
	s_mov_b32 s3, s30
.LBB1709_8:
	s_load_b128 s[16:19], s[0:1], 0x48
	v_and_b32_e32 v66, 15, v0
	v_cmp_gt_u32_e32 vcc_lo, 0x100, v0
	v_lshrrev_b32_e32 v65, 5, v0
	v_and_b32_e32 v67, 31, v0
	v_and_b32_e32 v75, 1, v0
	v_lshlrev_b32_e32 v1, 3, v66
	v_cmp_gt_u32_e64 s2, 8, v66
	v_bfe_u32 v74, v0, 4, 1
	s_lshl_b32 s31, s15, 4
	s_delay_alu instid0(VALU_DEP_3) | instskip(NEXT) | instid1(VALU_DEP_3)
	v_lshlrev_b32_e32 v73, 1, v1
	s_and_b32 s7, vcc_lo, s2
	s_delay_alu instid0(SALU_CYCLE_1)
	s_and_saveexec_b32 s6, s7
	s_cbranch_execz .LBB1709_10
; %bb.9:
	v_lshl_or_b32 v5, v65, 1, v74
	s_load_b64 s[8:9], s[0:1], 0x0
	s_waitcnt lgkmcnt(0)
	s_mul_hi_i32 s11, s3, s16
	s_mul_i32 s10, s3, s16
	v_lshlrev_b32_e32 v6, 10, v66
	v_or_b32_e32 v1, s31, v5
	s_lshl_b64 s[10:11], s[10:11], 1
	v_lshlrev_b32_e32 v5, 6, v5
	v_lshlrev_b32_e32 v7, 10, v75
	v_and_b32_e32 v6, 0x3800, v6
	v_lshlrev_b32_e32 v1, 6, v1
	s_delay_alu instid0(VALU_DEP_2) | instskip(NEXT) | instid1(VALU_DEP_2)
	v_or3_b32 v5, v6, v7, v5
	v_ashrrev_i32_e32 v2, 31, v1
	s_delay_alu instid0(VALU_DEP_1) | instskip(SKIP_2) | instid1(VALU_DEP_1)
	v_lshlrev_b64 v[1:2], 1, v[1:2]
	s_add_u32 s3, s8, s10
	s_addc_u32 s7, s9, s11
	v_add_co_u32 v1, vcc_lo, s3, v1
	s_delay_alu instid0(VALU_DEP_2) | instskip(NEXT) | instid1(VALU_DEP_2)
	v_add_co_ci_u32_e32 v2, vcc_lo, s7, v2, vcc_lo
	v_add_co_u32 v1, vcc_lo, v1, v73
	s_delay_alu instid0(VALU_DEP_2)
	v_add_co_ci_u32_e32 v2, vcc_lo, 0, v2, vcc_lo
	global_load_b128 v[1:4], v[1:2], off
	s_waitcnt vmcnt(0)
	ds_store_b128 v5, v[1:4]
.LBB1709_10:
	s_or_b32 exec_lo, exec_lo, s6
	v_and_b32_e32 v1, 0xef, v0
	s_waitcnt lgkmcnt(0)
	s_add_i32 s3, s24, 15
	s_clause 0x1
	s_load_b32 s6, s[0:1], 0x38
	s_load_b32 s19, s[0:1], 0x1c
	s_ashr_i32 s7, s3, 31
	v_add_nc_u32_e32 v1, s12, v1
	s_lshr_b32 s7, s7, 28
	s_waitcnt lgkmcnt(0)
	s_add_i32 s3, s3, s7
	s_barrier
	v_ashrrev_i32_e32 v2, 31, v1
	v_or_b32_e32 v3, 16, v1
	s_ashr_i32 s3, s3, 4
	v_cmp_gt_i32_e32 vcc_lo, s24, v1
	s_add_i32 s3, s3, -1
	v_lshrrev_b32_e32 v2, 28, v2
	buffer_gl0_inv
	s_mul_i32 s27, s15, s18
	v_add_nc_u32_e32 v4, v1, v2
	s_mul_i32 s6, s30, s6
	s_delay_alu instid0(SALU_CYCLE_1) | instskip(NEXT) | instid1(VALU_DEP_1)
	s_ashr_i32 s7, s6, 31
	v_ashrrev_i32_e32 v4, 4, v4
	v_add_nc_u32_e32 v2, v3, v2
	s_lshl_b64 s[6:7], s[6:7], 2
	s_delay_alu instid0(SALU_CYCLE_1) | instskip(NEXT) | instid1(VALU_DEP_2)
	s_add_u32 s26, s4, s6
	v_cndmask_b32_e32 v1, s3, v4, vcc_lo
	s_delay_alu instid0(VALU_DEP_2)
	v_ashrrev_i32_e32 v2, 4, v2
	v_cmp_gt_i32_e32 vcc_lo, s24, v3
	s_addc_u32 s25, s5, s7
	s_ashr_i32 s28, s27, 31
	s_add_u32 s13, s20, s27
	s_addc_u32 s15, s21, s28
	v_cndmask_b32_e32 v3, s3, v2, vcc_lo
	v_ashrrev_i32_e32 v2, 31, v1
	s_lshl_b32 s4, s14, 4
	s_delay_alu instid0(SALU_CYCLE_1) | instskip(NEXT) | instid1(VALU_DEP_2)
	s_ashr_i32 s5, s4, 31
	v_ashrrev_i32_e32 v4, 31, v3
	s_delay_alu instid0(VALU_DEP_2) | instskip(SKIP_1) | instid1(SALU_CYCLE_1)
	v_lshlrev_b64 v[1:2], 2, v[1:2]
	s_lshl_b64 s[4:5], s[4:5], 2
	s_add_u32 s4, s26, s4
	s_delay_alu instid0(VALU_DEP_2) | instskip(SKIP_1) | instid1(VALU_DEP_2)
	v_lshlrev_b64 v[3:4], 2, v[3:4]
	s_addc_u32 s5, s25, s5
	v_add_co_u32 v1, vcc_lo, s26, v1
	v_add_co_ci_u32_e32 v2, vcc_lo, s25, v2, vcc_lo
	s_delay_alu instid0(VALU_DEP_3) | instskip(NEXT) | instid1(VALU_DEP_4)
	v_add_co_u32 v3, vcc_lo, s26, v3
	v_add_co_ci_u32_e32 v4, vcc_lo, s25, v4, vcc_lo
	s_clause 0x1
	global_load_b32 v5, v[1:2], off
	global_load_b32 v7, v[3:4], off
	s_or_b32 s6, s12, 32
	v_lshlrev_b32_e32 v1, 4, v0
	s_ashr_i32 s7, s6, 4
	s_cmp_lt_i32 s6, s24
	s_cselect_b32 s6, s7, s3
	s_delay_alu instid0(VALU_DEP_1) | instskip(SKIP_1) | instid1(SALU_CYCLE_1)
	v_and_b32_e32 v1, 0xf0, v1
	s_ashr_i32 s7, s6, 31
	s_lshl_b64 s[6:7], s[6:7], 2
	s_delay_alu instid0(SALU_CYCLE_1)
	s_add_u32 s6, s26, s6
	s_addc_u32 s7, s25, s7
	s_or_b32 s8, s12, 64
	v_add_co_u32 v1, s13, s13, v1
	s_ashr_i32 s9, s8, 4
	s_cmp_lt_i32 s8, s24
	v_add_co_ci_u32_e64 v2, null, s15, 0, s13
	s_cselect_b32 s8, s9, s3
	s_delay_alu instid0(SALU_CYCLE_1) | instskip(NEXT) | instid1(SALU_CYCLE_1)
	s_ashr_i32 s9, s8, 31
	s_lshl_b64 s[8:9], s[8:9], 2
	s_delay_alu instid0(SALU_CYCLE_1) | instskip(SKIP_2) | instid1(SALU_CYCLE_1)
	s_add_u32 s8, s26, s8
	s_addc_u32 s9, s25, s9
	s_or_b32 s10, s12, 0x60
	s_ashr_i32 s11, s10, 4
	s_cmp_lt_i32 s10, s24
	s_cselect_b32 s10, s11, s3
	s_delay_alu instid0(SALU_CYCLE_1) | instskip(NEXT) | instid1(SALU_CYCLE_1)
	s_ashr_i32 s11, s10, 31
	s_lshl_b64 s[10:11], s[10:11], 2
	s_delay_alu instid0(SALU_CYCLE_1) | instskip(SKIP_2) | instid1(SALU_CYCLE_1)
	s_add_u32 s10, s26, s10
	s_addc_u32 s11, s25, s11
	s_or_b32 s16, s12, 0x80
	s_ashr_i32 s18, s16, 4
	s_cmp_lt_i32 s16, s24
	;; [unrolled: 10-line block ×3, first 2 shown]
	s_cselect_b32 s20, s18, s3
	s_delay_alu instid0(SALU_CYCLE_1) | instskip(NEXT) | instid1(SALU_CYCLE_1)
	s_ashr_i32 s21, s20, 31
	s_lshl_b64 s[20:21], s[20:21], 2
	s_delay_alu instid0(SALU_CYCLE_1)
	s_add_u32 s36, s26, s20
	s_addc_u32 s37, s25, s21
	s_clause 0x5
	s_load_b32 s21, s[4:5], 0x0
	s_load_b32 s13, s[6:7], 0x0
	;; [unrolled: 1-line block ×6, first 2 shown]
	s_or_b32 s6, s12, 0xc0
	s_mov_b32 s4, 0
	s_ashr_i32 s7, s6, 4
	s_cmp_lt_i32 s6, s24
	s_mov_b32 s5, s4
	s_cselect_b32 s10, s7, s3
	s_mov_b32 s6, s4
	s_ashr_i32 s11, s10, 31
	s_mov_b32 s7, s4
	s_lshl_b64 s[10:11], s[10:11], 2
	s_mov_b32 s8, s4
	s_add_u32 s34, s26, s10
	s_addc_u32 s35, s25, s11
	s_or_b32 s11, s12, 0xe0
	s_mov_b32 s9, s4
	s_ashr_i32 s29, s11, 4
	s_cmp_lt_i32 s11, s24
	s_mov_b32 s11, s4
	s_cselect_b32 s36, s29, s3
	s_mov_b32 s10, s4
	s_ashr_i32 s37, s36, 31
	v_mov_b32_e32 v108, s11
	v_mov_b32_e32 v102, s5
	v_dual_mov_b32 v105, s8 :: v_dual_lshlrev_b32 v76, 6, v66
	v_dual_mov_b32 v107, s10 :: v_dual_mov_b32 v106, s9
	v_dual_mov_b32 v104, s7 :: v_dual_mov_b32 v103, s6
	v_mov_b32_e32 v101, s4
	s_lshl_b64 s[4:5], s[36:37], 2
	s_delay_alu instid0(SALU_CYCLE_1)
	s_add_u32 s4, s26, s4
	s_addc_u32 s5, s25, s5
	s_add_u32 s6, s22, s27
	s_addc_u32 s7, s23, s28
	s_waitcnt vmcnt(1)
	v_mad_i64_i32 v[3:4], null, v5, s17, v[1:2]
	s_waitcnt vmcnt(0)
	v_mad_i64_i32 v[5:6], null, v7, s17, v[1:2]
	v_lshlrev_b32_e32 v1, 4, v66
	s_clause 0x7
	global_load_b128 v[49:52], v[3:4], off
	global_load_b128 v[53:56], v[3:4], off offset:256
	global_load_b128 v[77:80], v[5:6], off
	global_load_b128 v[81:84], v[5:6], off offset:256
	global_load_b128 v[85:88], v[3:4], off offset:512
	;; [unrolled: 1-line block ×5, first 2 shown]
	v_lshl_or_b32 v1, v65, 8, v1
	s_load_b32 s3, s[34:35], 0x0
	ds_load_b128 v[109:112], v76
	ds_load_b128 v[113:116], v76 offset:1024
	s_load_b32 s4, s[4:5], 0x0
	v_add_co_u32 v9, s6, s6, v1
	s_delay_alu instid0(VALU_DEP_1) | instskip(SKIP_1) | instid1(VALU_DEP_1)
	v_add_co_ci_u32_e64 v10, null, s7, 0, s6
	s_waitcnt lgkmcnt(0)
	v_mad_i64_i32 v[1:2], null, s21, s17, v[9:10]
	v_mad_i64_i32 v[3:4], null, s13, s17, v[9:10]
	v_mad_i64_i32 v[5:6], null, s15, s17, v[9:10]
	v_mad_i64_i32 v[7:8], null, s16, s17, v[9:10]
	v_mad_i64_i32 v[13:14], null, s20, s17, v[9:10]
	v_mad_i64_i32 v[11:12], null, s18, s17, v[9:10]
	v_mad_i64_i32 v[21:22], null, s3, s17, v[9:10]
	s_clause 0x9
	global_load_b128 v[57:60], v[1:2], off
	global_load_b128 v[61:64], v[1:2], off offset:16
	global_load_b128 v[41:44], v[3:4], off
	global_load_b128 v[45:48], v[3:4], off offset:16
	;; [unrolled: 2-line block ×5, first 2 shown]
	v_mad_i64_i32 v[68:69], null, s4, s17, v[9:10]
	s_clause 0x3
	global_load_b128 v[9:12], v[13:14], off
	global_load_b128 v[13:16], v[13:14], off offset:16
	global_load_b128 v[17:20], v[21:22], off
	global_load_b128 v[21:24], v[21:22], off offset:16
	s_waitcnt vmcnt(20)
	v_wmma_f32_16x16x16_bf16 v[117:124], v[49:56], v[109:116], v[101:108]
	s_clause 0x1
	global_load_b128 v[49:52], v[68:69], off
	global_load_b128 v[53:56], v[68:69], off offset:16
	v_and_b32_e32 v68, 0xe0, v0
	v_mbcnt_lo_u32_b32 v69, -1, 0
	s_delay_alu instid0(VALU_DEP_2)
	v_add_nc_u32_e32 v68, s12, v68
	s_waitcnt vmcnt(20)
	v_wmma_f32_16x16x16_bf16 v[101:108], v[77:84], v[109:116], v[101:108]
	ds_load_b128 v[77:80], v76 offset:2048
	ds_load_b128 v[81:84], v76 offset:3072
	v_xor_b32_e32 v70, 16, v69
	s_waitcnt vmcnt(0) lgkmcnt(0)
	v_or_b32_e32 v68, v68, v74
	s_barrier
	buffer_gl0_inv
	v_cmp_gt_i32_e32 vcc_lo, 32, v70
	v_or_b32_e32 v71, 4, v68
	v_or_b32_e32 v72, 6, v68
	v_cmp_gt_i32_e64 s3, s24, v68
	v_or_b32_e32 v109, 8, v68
	s_delay_alu instid0(VALU_DEP_4) | instskip(NEXT) | instid1(VALU_DEP_4)
	v_cmp_gt_i32_e64 s4, s24, v71
	v_cmp_gt_i32_e64 s5, s24, v72
	s_delay_alu instid0(VALU_DEP_3)
	v_cmp_gt_i32_e64 s6, s24, v109
	v_wmma_f32_16x16x16_bf16 v[117:124], v[85:92], v[77:84], v[117:124]
	v_cndmask_b32_e32 v69, v69, v70, vcc_lo
	v_or_b32_e32 v70, 2, v68
	v_wmma_f32_16x16x16_bf16 v[101:108], v[93:100], v[77:84], v[101:108]
	v_or_b32_e32 v85, 10, v68
	v_dual_mul_f32 v84, s19, v120 :: v_dual_mul_f32 v83, s19, v121
	v_dual_mul_f32 v94, s19, v118 :: v_dual_mul_f32 v95, s19, v117
	s_delay_alu instid0(VALU_DEP_4) | instskip(SKIP_2) | instid1(VALU_DEP_4)
	v_mul_f32_e32 v98, s19, v106
	v_cmp_gt_i32_e32 vcc_lo, s24, v70
	v_dual_mul_f32 v93, s19, v119 :: v_dual_mul_f32 v96, s19, v108
	v_cndmask_b32_e64 v95, 0xff7fffff, v95, s3
	v_or_b32_e32 v86, 12, v68
	v_cndmask_b32_e32 v94, 0xff7fffff, v94, vcc_lo
	v_or_b32_e32 v87, 14, v68
	v_dual_mul_f32 v81, s19, v123 :: v_dual_mul_f32 v82, s19, v122
	v_cndmask_b32_e64 v93, 0xff7fffff, v93, s4
	v_cndmask_b32_e64 v72, 0xff7fffff, v84, s5
	v_max3_f32 v84, v95, 0xff7fffff, v94
	v_cmp_gt_i32_e64 s7, s24, v85
	v_or_b32_e32 v88, 16, v68
	v_or_b32_e32 v89, 18, v68
	v_mul_f32_e32 v80, s19, v124
	v_cndmask_b32_e64 v83, 0xff7fffff, v83, s6
	v_cndmask_b32_e64 v82, 0xff7fffff, v82, s7
	v_max3_f32 v72, v84, v93, v72
	v_cmp_gt_i32_e64 s8, s24, v86
	v_cmp_gt_i32_e64 s9, s24, v87
	v_or_b32_e32 v90, 20, v68
	v_or_b32_e32 v91, 22, v68
	;; [unrolled: 1-line block ×6, first 2 shown]
	v_dual_mul_f32 v68, s19, v102 :: v_dual_mul_f32 v71, s19, v101
	v_cndmask_b32_e64 v81, 0xff7fffff, v81, s8
	v_cndmask_b32_e64 v80, 0xff7fffff, v80, s9
	v_max3_f32 v72, v72, v83, v82
	v_cmp_gt_i32_e64 s10, s24, v88
	v_cmp_gt_i32_e64 s11, s24, v89
	v_dual_mul_f32 v97, s19, v107 :: v_dual_mul_f32 v100, s19, v104
	v_dual_mul_f32 v99, s19, v105 :: v_dual_mul_f32 v70, s19, v103
	s_delay_alu instid0(VALU_DEP_4) | instskip(NEXT) | instid1(VALU_DEP_4)
	v_cndmask_b32_e64 v71, 0xff7fffff, v71, s10
	v_cndmask_b32_e64 v68, 0xff7fffff, v68, s11
	v_max3_f32 v72, v72, v81, v80
	v_cmp_gt_i32_e64 s12, s24, v90
	v_cmp_gt_i32_e64 s13, s24, v91
	;; [unrolled: 1-line block ×4, first 2 shown]
	v_max3_f32 v68, v72, v71, v68
	v_cndmask_b32_e64 v70, 0xff7fffff, v70, s12
	v_cndmask_b32_e64 v80, 0xff7fffff, v100, s13
	;; [unrolled: 1-line block ×4, first 2 shown]
	v_cmp_gt_i32_e64 s17, s24, v78
	v_cmp_gt_i32_e64 s18, s24, v79
	v_max3_f32 v68, v68, v70, v80
	v_lshlrev_b32_e32 v90, 2, v69
	s_delay_alu instid0(VALU_DEP_4) | instskip(NEXT) | instid1(VALU_DEP_4)
	v_cndmask_b32_e64 v70, 0xff7fffff, v97, s17
	v_cndmask_b32_e64 v77, 0xff7fffff, v96, s18
	s_delay_alu instid0(VALU_DEP_4) | instskip(NEXT) | instid1(VALU_DEP_1)
	v_max3_f32 v68, v68, v71, v72
	v_max3_f32 v68, v68, v70, v77
	ds_bpermute_b32 v69, v90, v68
	s_waitcnt lgkmcnt(0)
	v_max_f32_e32 v69, v69, v69
	s_delay_alu instid0(VALU_DEP_1) | instskip(NEXT) | instid1(VALU_DEP_1)
	v_max_f32_e32 v81, v68, v69
	v_fma_f32 v68, s19, v117, -v81
	s_delay_alu instid0(VALU_DEP_1)
	v_mul_f32_e32 v68, 0x3fb8aa3b, v68
	v_fma_f32 v69, s19, v118, -v81
	v_fma_f32 v71, s19, v120, -v81
	;; [unrolled: 1-line block ×4, first 2 shown]
	v_exp_f32_e32 v68, v68
	v_mul_f32_e32 v69, 0x3fb8aa3b, v69
	s_delay_alu instid0(VALU_DEP_3) | instskip(NEXT) | instid1(VALU_DEP_3)
	v_dual_mul_f32 v71, 0x3fb8aa3b, v71 :: v_dual_mul_f32 v72, 0x3fb8aa3b, v72
	v_mul_f32_e32 v70, 0x3fb8aa3b, v70
	v_fma_f32 v78, s19, v123, -v81
	s_delay_alu instid0(VALU_DEP_4) | instskip(NEXT) | instid1(VALU_DEP_3)
	v_exp_f32_e32 v69, v69
	v_exp_f32_e32 v71, v71
	v_exp_f32_e32 v72, v72
	v_exp_f32_e32 v70, v70
	v_cndmask_b32_e64 v82, 0, v68, s3
	v_fma_f32 v68, s19, v122, -v81
	v_mul_f32_e32 v78, 0x3fb8aa3b, v78
	v_fma_f32 v80, s19, v106, -v81
	s_mov_b32 s3, exec_lo
	s_delay_alu instid0(VALU_DEP_3) | instskip(NEXT) | instid1(TRANS32_DEP_2)
	v_dual_cndmask_b32 v77, 0, v69 :: v_dual_mul_f32 v68, 0x3fb8aa3b, v68
	v_cndmask_b32_e64 v86, 0, v72, s6
	v_fma_f32 v72, s19, v102, -v81
	v_add_f32_e32 v69, 0, v82
	v_cndmask_b32_e64 v83, 0, v70, s4
	v_exp_f32_e32 v68, v68
	v_fma_f32 v70, s19, v124, -v81
	s_delay_alu instid0(VALU_DEP_3) | instskip(SKIP_2) | instid1(VALU_DEP_4)
	v_dual_mul_f32 v72, 0x3fb8aa3b, v72 :: v_dual_add_f32 v69, v69, v77
	v_cndmask_b32_e64 v85, 0, v71, s5
	v_fma_f32 v71, s19, v101, -v81
	v_mul_f32_e32 v70, 0x3fb8aa3b, v70
	v_exp_f32_e32 v78, v78
	v_add_f32_e32 v69, v69, v83
	v_exp_f32_e32 v72, v72
	s_delay_alu instid0(TRANS32_DEP_3) | instskip(SKIP_1) | instid1(VALU_DEP_2)
	v_cndmask_b32_e64 v87, 0, v68, s7
	v_exp_f32_e32 v70, v70
	v_add_f32_e32 v69, v69, v85
	v_mul_f32_e32 v71, 0x3fb8aa3b, v71
	s_delay_alu instid0(TRANS32_DEP_3) | instskip(NEXT) | instid1(VALU_DEP_3)
	v_cndmask_b32_e64 v84, 0, v78, s8
	v_add_f32_e32 v68, v69, v86
	v_fma_f32 v69, s19, v103, -v81
	s_delay_alu instid0(VALU_DEP_4) | instskip(SKIP_1) | instid1(TRANS32_DEP_2)
	v_exp_f32_e32 v71, v71
	v_fma_f32 v78, s19, v104, -v81
	v_cndmask_b32_e64 v88, 0, v70, s9
	s_delay_alu instid0(VALU_DEP_3) | instskip(SKIP_1) | instid1(VALU_DEP_2)
	v_dual_add_f32 v68, v68, v87 :: v_dual_mul_f32 v69, 0x3fb8aa3b, v69
	v_fma_f32 v70, s19, v105, -v81
	v_add_f32_e32 v68, v68, v84
	v_mul_f32_e32 v78, 0x3fb8aa3b, v78
	s_delay_alu instid0(VALU_DEP_4) | instskip(NEXT) | instid1(TRANS32_DEP_2)
	v_exp_f32_e32 v79, v69
	v_cndmask_b32_e64 v69, 0, v71, s10
	s_delay_alu instid0(VALU_DEP_3) | instskip(NEXT) | instid1(VALU_DEP_3)
	v_dual_add_f32 v71, v68, v88 :: v_dual_mul_f32 v70, 0x3fb8aa3b, v70
	v_exp_f32_e32 v78, v78
	v_cndmask_b32_e64 v68, 0, v72, s11
	v_fma_f32 v72, s19, v107, -v81
	s_delay_alu instid0(VALU_DEP_3) | instskip(SKIP_1) | instid1(TRANS32_DEP_3)
	v_add_f32_e32 v71, v71, v69
	v_exp_f32_e32 v89, v70
	v_cndmask_b32_e64 v70, 0, v79, s12
	s_delay_alu instid0(VALU_DEP_2) | instskip(NEXT) | instid1(TRANS32_DEP_2)
	v_add_f32_e32 v79, v71, v68
	v_cndmask_b32_e64 v71, 0, v78, s13
	s_delay_alu instid0(VALU_DEP_2) | instskip(SKIP_2) | instid1(VALU_DEP_1)
	v_add_f32_e32 v78, v79, v70
	v_mul_f32_e32 v80, 0x3fb8aa3b, v80
	v_fma_f32 v79, s19, v108, -v81
	v_dual_mul_f32 v72, 0x3fb8aa3b, v72 :: v_dual_mul_f32 v79, 0x3fb8aa3b, v79
	s_delay_alu instid0(VALU_DEP_1) | instskip(NEXT) | instid1(TRANS32_DEP_2)
	v_exp_f32_e32 v91, v72
	v_cndmask_b32_e64 v72, 0, v89, s15
	v_add_f32_e32 v89, v78, v71
	v_exp_f32_e32 v80, v80
	s_waitcnt_depctr 0xfff
	v_cndmask_b32_e64 v78, 0, v80, s16
	v_add_f32_e32 v80, v89, v72
	v_exp_f32_e32 v89, v79
	v_cndmask_b32_e64 v79, 0, v91, s17
	s_delay_alu instid0(VALU_DEP_2) | instskip(NEXT) | instid1(VALU_DEP_1)
	v_add_f32_e32 v80, v80, v78
	v_add_f32_e32 v91, v80, v79
	s_waitcnt_depctr 0xfff
	v_cndmask_b32_e64 v80, 0, v89, s18
	s_delay_alu instid0(VALU_DEP_1)
	v_add_f32_e32 v89, v91, v80
	ds_bpermute_b32 v90, v90, v89
	v_cmpx_gt_u32_e32 16, v67
	s_cbranch_execz .LBB1709_12
; %bb.11:
	v_mul_u32_u24_e32 v67, 0x44, v65
	s_waitcnt lgkmcnt(0)
	v_add_f32_e32 v89, v89, v90
	s_delay_alu instid0(VALU_DEP_2) | instskip(NEXT) | instid1(VALU_DEP_1)
	v_lshl_add_u32 v67, v66, 2, v67
	v_add_nc_u32_e32 v67, 0x4000, v67
	ds_store_2addr_b32 v67, v81, v89 offset1:136
.LBB1709_12:
	s_or_b32 exec_lo, exec_lo, s3
	v_lshlrev_b32_e32 v66, 2, v66
	s_waitcnt lgkmcnt(0)
	s_barrier
	buffer_gl0_inv
	v_cmp_eq_u32_e32 vcc_lo, 1, v65
	v_add_nc_u32_e32 v81, 0x4000, v66
	v_cmp_eq_u32_e64 s3, 2, v65
	v_cmp_eq_u32_e64 s5, 7, v65
	ds_load_2addr_b32 v[89:90], v81 offset1:17
	ds_load_2addr_b32 v[91:92], v81 offset0:34 offset1:51
	ds_load_2addr_b32 v[93:94], v81 offset0:68 offset1:85
	;; [unrolled: 1-line block ×4, first 2 shown]
	s_waitcnt lgkmcnt(4)
	v_max3_f32 v66, v89, 0xff7fffff, v90
	s_waitcnt lgkmcnt(3)
	s_delay_alu instid0(VALU_DEP_1) | instskip(SKIP_1) | instid1(VALU_DEP_1)
	v_max3_f32 v66, v66, v91, v92
	s_waitcnt lgkmcnt(2)
	v_max3_f32 v66, v66, v93, v94
	s_waitcnt lgkmcnt(1)
	s_delay_alu instid0(VALU_DEP_1) | instskip(NEXT) | instid1(VALU_DEP_1)
	v_max3_f32 v66, v66, v95, v96
	v_sub_f32_e32 v67, v89, v66
	v_sub_f32_e32 v91, v91, v66
	;; [unrolled: 1-line block ×3, first 2 shown]
	s_delay_alu instid0(VALU_DEP_3) | instskip(NEXT) | instid1(VALU_DEP_3)
	v_mul_f32_e32 v67, 0x3fb8aa3b, v67
	v_mul_f32_e32 v101, 0x3fb8aa3b, v91
	s_delay_alu instid0(VALU_DEP_3) | instskip(NEXT) | instid1(VALU_DEP_3)
	v_mul_f32_e32 v103, 0x3fb8aa3b, v93
	v_exp_f32_e32 v100, v67
	v_sub_f32_e32 v67, v92, v66
	v_sub_f32_e32 v99, v90, v66
	ds_load_2addr_b32 v[89:90], v81 offset0:170 offset1:187
	ds_load_2addr_b32 v[91:92], v81 offset0:204 offset1:221
	v_exp_f32_e32 v101, v101
	v_mul_f32_e32 v102, 0x3fb8aa3b, v67
	v_mul_f32_e32 v99, 0x3fb8aa3b, v99
	s_waitcnt lgkmcnt(2)
	v_fma_f32 v67, v100, v97, 0
	v_sub_f32_e32 v97, v94, v66
	s_delay_alu instid0(VALU_DEP_3)
	v_exp_f32_e32 v99, v99
	v_exp_f32_e32 v102, v102
	ds_load_2addr_b32 v[93:94], v81 offset0:238 offset1:255
	v_sub_f32_e32 v81, v95, v66
	v_mul_f32_e32 v95, 0x3fb8aa3b, v97
	v_exp_f32_e32 v97, v103
	s_waitcnt lgkmcnt(0)
	s_barrier
	v_mul_f32_e32 v81, 0x3fb8aa3b, v81
	v_exp_f32_e32 v95, v95
	v_fmac_f32_e32 v67, v99, v98
	buffer_gl0_inv
	v_exp_f32_e32 v81, v81
	v_fmac_f32_e32 v67, v101, v89
	v_sub_f32_e32 v89, v96, v66
	s_delay_alu instid0(VALU_DEP_2) | instskip(NEXT) | instid1(VALU_DEP_2)
	v_fmac_f32_e32 v67, v102, v90
	v_mul_f32_e32 v89, 0x3fb8aa3b, v89
	s_delay_alu instid0(VALU_DEP_2) | instskip(NEXT) | instid1(VALU_DEP_2)
	v_fmac_f32_e32 v67, v97, v91
	v_exp_f32_e32 v89, v89
	s_delay_alu instid0(VALU_DEP_1)
	v_fmac_f32_e32 v67, v95, v92
	s_delay_alu instid0(TRANS32_DEP_2) | instid1(VALU_DEP_1)
	v_fmac_f32_e32 v67, v81, v93
	s_waitcnt_depctr 0xfff
	v_fmac_f32_e32 v67, v89, v94
	s_delay_alu instid0(VALU_DEP_1) | instskip(NEXT) | instid1(VALU_DEP_1)
	v_add_f32_e32 v90, 0x358637bd, v67
	v_div_scale_f32 v91, null, v90, v90, 1.0
	v_div_scale_f32 v94, s4, 1.0, v90, 1.0
	s_delay_alu instid0(VALU_DEP_2) | instskip(SKIP_2) | instid1(VALU_DEP_1)
	v_rcp_f32_e32 v92, v91
	s_waitcnt_depctr 0xfff
	v_fma_f32 v93, -v91, v92, 1.0
	v_dual_fmac_f32 v92, v93, v92 :: v_dual_cndmask_b32 v93, v100, v99
	v_cmp_eq_u32_e32 vcc_lo, 3, v65
	s_delay_alu instid0(VALU_DEP_2) | instskip(NEXT) | instid1(VALU_DEP_3)
	v_mul_f32_e32 v96, v94, v92
	v_cndmask_b32_e64 v93, v93, v101, s3
	v_cmp_eq_u32_e64 s3, 4, v65
	s_delay_alu instid0(VALU_DEP_3) | instskip(NEXT) | instid1(VALU_DEP_3)
	v_fma_f32 v98, -v91, v96, v94
	v_cndmask_b32_e32 v93, v93, v102, vcc_lo
	v_cmp_eq_u32_e32 vcc_lo, 5, v65
	s_delay_alu instid0(VALU_DEP_3) | instskip(NEXT) | instid1(VALU_DEP_3)
	v_fmac_f32_e32 v96, v98, v92
	v_cndmask_b32_e64 v93, v93, v97, s3
	v_cmp_eq_u32_e64 s3, 6, v65
	s_delay_alu instid0(VALU_DEP_3) | instskip(NEXT) | instid1(VALU_DEP_3)
	v_fma_f32 v91, -v91, v96, v94
	v_cndmask_b32_e32 v93, v93, v95, vcc_lo
	s_mov_b32 vcc_lo, s4
	s_delay_alu instid0(VALU_DEP_2) | instskip(NEXT) | instid1(VALU_DEP_2)
	v_div_fmas_f32 v91, v91, v92, v96
	v_cndmask_b32_e64 v81, v93, v81, s3
	s_mov_b32 s3, exec_lo
	s_delay_alu instid0(VALU_DEP_2) | instskip(NEXT) | instid1(VALU_DEP_2)
	v_div_fixup_f32 v90, v91, v90, 1.0
	v_cndmask_b32_e64 v81, v81, v89, s5
	s_delay_alu instid0(VALU_DEP_1) | instskip(NEXT) | instid1(VALU_DEP_1)
	v_mul_f32_e32 v81, v81, v90
	v_mul_f32_e32 v90, v81, v82
	;; [unrolled: 1-line block ×6, first 2 shown]
	v_dual_mul_f32 v86, v81, v83 :: v_dual_and_b32 v91, 0x7f800000, v90
	v_mul_f32_e32 v89, v81, v85
	v_mul_f32_e32 v85, v81, v77
                                        ; implicit-def: $vgpr77
	s_delay_alu instid0(VALU_DEP_3)
	v_cmpx_ne_u32_e32 0x7f800000, v91
	s_xor_b32 s3, exec_lo, s3
; %bb.13:
	v_bfe_u32 v77, v90, 16, 1
	s_delay_alu instid0(VALU_DEP_1)
	v_add3_u32 v77, v90, v77, 0x7fff
                                        ; implicit-def: $vgpr90
; %bb.14:
	s_and_not1_saveexec_b32 s3, s3
; %bb.15:
	v_and_b32_e32 v77, 0xffff, v90
	v_or_b32_e32 v83, 0x10000, v90
	s_delay_alu instid0(VALU_DEP_2) | instskip(NEXT) | instid1(VALU_DEP_2)
	v_cmp_eq_u32_e32 vcc_lo, 0, v77
	v_cndmask_b32_e32 v77, v83, v90, vcc_lo
; %bb.16:
	s_or_b32 exec_lo, exec_lo, s3
	v_and_b32_e32 v83, 0x7f800000, v85
	s_delay_alu instid0(VALU_DEP_1) | instskip(SKIP_1) | instid1(SALU_CYCLE_1)
	v_cmp_ne_u32_e32 vcc_lo, 0x7f800000, v83
                                        ; implicit-def: $vgpr83
	s_and_saveexec_b32 s3, vcc_lo
	s_xor_b32 s3, exec_lo, s3
; %bb.17:
	v_bfe_u32 v83, v85, 16, 1
	s_delay_alu instid0(VALU_DEP_1)
	v_add3_u32 v83, v85, v83, 0x7fff
                                        ; implicit-def: $vgpr85
; %bb.18:
	s_and_not1_saveexec_b32 s3, s3
; %bb.19:
	v_and_b32_e32 v83, 0xffff, v85
	v_or_b32_e32 v90, 0x10000, v85
	s_delay_alu instid0(VALU_DEP_2) | instskip(NEXT) | instid1(VALU_DEP_2)
	v_cmp_eq_u32_e32 vcc_lo, 0, v83
	v_cndmask_b32_e32 v83, v90, v85, vcc_lo
; %bb.20:
	s_or_b32 exec_lo, exec_lo, s3
	v_and_b32_e32 v85, 0x7f800000, v86
	s_delay_alu instid0(VALU_DEP_1) | instskip(SKIP_1) | instid1(SALU_CYCLE_1)
	v_cmp_ne_u32_e32 vcc_lo, 0x7f800000, v85
                                        ; implicit-def: $vgpr85
	s_and_saveexec_b32 s3, vcc_lo
	s_xor_b32 s3, exec_lo, s3
; %bb.21:
	v_bfe_u32 v85, v86, 16, 1
	s_delay_alu instid0(VALU_DEP_1)
	v_add3_u32 v85, v86, v85, 0x7fff
                                        ; implicit-def: $vgpr86
; %bb.22:
	s_and_not1_saveexec_b32 s3, s3
; %bb.23:
	v_and_b32_e32 v85, 0xffff, v86
	v_or_b32_e32 v90, 0x10000, v86
	s_delay_alu instid0(VALU_DEP_2) | instskip(NEXT) | instid1(VALU_DEP_2)
	v_cmp_eq_u32_e32 vcc_lo, 0, v85
	v_cndmask_b32_e32 v85, v90, v86, vcc_lo
; %bb.24:
	s_or_b32 exec_lo, exec_lo, s3
	v_and_b32_e32 v86, 0x7f800000, v89
	s_delay_alu instid0(VALU_DEP_1) | instskip(SKIP_1) | instid1(SALU_CYCLE_1)
	v_cmp_ne_u32_e32 vcc_lo, 0x7f800000, v86
                                        ; implicit-def: $vgpr86
	s_and_saveexec_b32 s3, vcc_lo
	s_xor_b32 s3, exec_lo, s3
; %bb.25:
	v_bfe_u32 v86, v89, 16, 1
	s_delay_alu instid0(VALU_DEP_1)
	v_add3_u32 v86, v89, v86, 0x7fff
                                        ; implicit-def: $vgpr89
; %bb.26:
	s_and_not1_saveexec_b32 s3, s3
; %bb.27:
	v_and_b32_e32 v86, 0xffff, v89
	v_or_b32_e32 v90, 0x10000, v89
	s_delay_alu instid0(VALU_DEP_2) | instskip(NEXT) | instid1(VALU_DEP_2)
	v_cmp_eq_u32_e32 vcc_lo, 0, v86
	v_cndmask_b32_e32 v86, v90, v89, vcc_lo
; %bb.28:
	s_or_b32 exec_lo, exec_lo, s3
	v_and_b32_e32 v89, 0x7f800000, v88
	s_delay_alu instid0(VALU_DEP_1) | instskip(SKIP_1) | instid1(SALU_CYCLE_1)
	v_cmp_ne_u32_e32 vcc_lo, 0x7f800000, v89
                                        ; implicit-def: $vgpr89
	s_and_saveexec_b32 s3, vcc_lo
	s_xor_b32 s3, exec_lo, s3
; %bb.29:
	v_bfe_u32 v89, v88, 16, 1
	s_delay_alu instid0(VALU_DEP_1)
	v_add3_u32 v89, v88, v89, 0x7fff
                                        ; implicit-def: $vgpr88
; %bb.30:
	s_and_not1_saveexec_b32 s3, s3
; %bb.31:
	v_and_b32_e32 v89, 0xffff, v88
	v_or_b32_e32 v90, 0x10000, v88
	s_delay_alu instid0(VALU_DEP_2) | instskip(NEXT) | instid1(VALU_DEP_2)
	v_cmp_eq_u32_e32 vcc_lo, 0, v89
	v_cndmask_b32_e32 v89, v90, v88, vcc_lo
; %bb.32:
	s_or_b32 exec_lo, exec_lo, s3
	v_and_b32_e32 v88, 0x7f800000, v87
	s_delay_alu instid0(VALU_DEP_1) | instskip(SKIP_1) | instid1(SALU_CYCLE_1)
	v_cmp_ne_u32_e32 vcc_lo, 0x7f800000, v88
                                        ; implicit-def: $vgpr88
	s_and_saveexec_b32 s3, vcc_lo
	s_xor_b32 s3, exec_lo, s3
; %bb.33:
	v_bfe_u32 v88, v87, 16, 1
	s_delay_alu instid0(VALU_DEP_1)
	v_add3_u32 v88, v87, v88, 0x7fff
                                        ; implicit-def: $vgpr87
; %bb.34:
	s_and_not1_saveexec_b32 s3, s3
; %bb.35:
	v_and_b32_e32 v88, 0xffff, v87
	v_or_b32_e32 v90, 0x10000, v87
	s_delay_alu instid0(VALU_DEP_2) | instskip(NEXT) | instid1(VALU_DEP_2)
	v_cmp_eq_u32_e32 vcc_lo, 0, v88
	v_cndmask_b32_e32 v88, v90, v87, vcc_lo
; %bb.36:
	s_or_b32 exec_lo, exec_lo, s3
	v_and_b32_e32 v87, 0x7f800000, v84
	s_delay_alu instid0(VALU_DEP_1) | instskip(SKIP_1) | instid1(SALU_CYCLE_1)
	v_cmp_ne_u32_e32 vcc_lo, 0x7f800000, v87
                                        ; implicit-def: $vgpr87
	s_and_saveexec_b32 s3, vcc_lo
	s_xor_b32 s3, exec_lo, s3
; %bb.37:
	v_bfe_u32 v87, v84, 16, 1
	s_delay_alu instid0(VALU_DEP_1)
	v_add3_u32 v87, v84, v87, 0x7fff
                                        ; implicit-def: $vgpr84
; %bb.38:
	s_and_not1_saveexec_b32 s3, s3
; %bb.39:
	v_and_b32_e32 v87, 0xffff, v84
	v_or_b32_e32 v90, 0x10000, v84
	s_delay_alu instid0(VALU_DEP_2) | instskip(NEXT) | instid1(VALU_DEP_2)
	v_cmp_eq_u32_e32 vcc_lo, 0, v87
	v_cndmask_b32_e32 v87, v90, v84, vcc_lo
; %bb.40:
	s_or_b32 exec_lo, exec_lo, s3
	v_and_b32_e32 v84, 0x7f800000, v82
	s_delay_alu instid0(VALU_DEP_1) | instskip(SKIP_1) | instid1(SALU_CYCLE_1)
	v_cmp_ne_u32_e32 vcc_lo, 0x7f800000, v84
                                        ; implicit-def: $vgpr84
	s_and_saveexec_b32 s3, vcc_lo
	s_xor_b32 s3, exec_lo, s3
; %bb.41:
	v_bfe_u32 v84, v82, 16, 1
	s_delay_alu instid0(VALU_DEP_1)
	v_add3_u32 v84, v82, v84, 0x7fff
                                        ; implicit-def: $vgpr82
; %bb.42:
	s_and_not1_saveexec_b32 s3, s3
; %bb.43:
	v_and_b32_e32 v84, 0xffff, v82
	v_or_b32_e32 v90, 0x10000, v82
	s_delay_alu instid0(VALU_DEP_2) | instskip(NEXT) | instid1(VALU_DEP_2)
	v_cmp_eq_u32_e32 vcc_lo, 0, v84
	v_cndmask_b32_e32 v84, v90, v82, vcc_lo
; %bb.44:
	s_or_b32 exec_lo, exec_lo, s3
	s_load_b64 s[34:35], s[0:1], 0x94
	v_lshlrev_b32_e32 v82, 4, v74
	s_delay_alu instid0(VALU_DEP_2)
	v_perm_b32 v90, v84, v87, 0x7060302
	v_lshlrev_b32_e32 v84, 11, v65
	v_perm_b32 v87, v83, v77, 0x7060302
	v_mul_f32_e32 v83, v81, v69
	v_mul_f32_e32 v69, v81, v80
	v_perm_b32 v89, v88, v89, 0x7060302
	v_perm_b32 v88, v86, v85, 0x7060302
	v_or3_b32 v77, v82, v84, v76
	v_mul_f32_e32 v79, v81, v79
	v_mul_f32_e32 v78, v81, v78
	v_and_b32_e32 v84, 0x7f800000, v83
	v_mul_f32_e32 v72, v81, v72
	v_mul_f32_e32 v82, v81, v71
	v_mul_f32_e32 v71, v81, v68
	v_mul_f32_e32 v80, v81, v70
	s_mov_b32 s3, exec_lo
	ds_store_b128 v77, v[87:90]
                                        ; implicit-def: $vgpr68
	v_cmpx_ne_u32_e32 0x7f800000, v84
	s_xor_b32 s3, exec_lo, s3
; %bb.45:
	v_bfe_u32 v68, v83, 16, 1
	s_delay_alu instid0(VALU_DEP_1)
	v_add3_u32 v68, v83, v68, 0x7fff
                                        ; implicit-def: $vgpr83
; %bb.46:
	s_and_not1_saveexec_b32 s3, s3
; %bb.47:
	v_and_b32_e32 v68, 0xffff, v83
	v_or_b32_e32 v70, 0x10000, v83
	s_delay_alu instid0(VALU_DEP_2) | instskip(NEXT) | instid1(VALU_DEP_2)
	v_cmp_eq_u32_e32 vcc_lo, 0, v68
	v_cndmask_b32_e32 v68, v70, v83, vcc_lo
; %bb.48:
	s_or_b32 exec_lo, exec_lo, s3
	v_and_b32_e32 v70, 0x7f800000, v71
	s_delay_alu instid0(VALU_DEP_1) | instskip(SKIP_1) | instid1(SALU_CYCLE_1)
	v_cmp_ne_u32_e32 vcc_lo, 0x7f800000, v70
                                        ; implicit-def: $vgpr70
	s_and_saveexec_b32 s3, vcc_lo
	s_xor_b32 s3, exec_lo, s3
; %bb.49:
	v_bfe_u32 v70, v71, 16, 1
	s_delay_alu instid0(VALU_DEP_1)
	v_add3_u32 v70, v71, v70, 0x7fff
                                        ; implicit-def: $vgpr71
; %bb.50:
	s_and_not1_saveexec_b32 s3, s3
; %bb.51:
	v_and_b32_e32 v70, 0xffff, v71
	v_or_b32_e32 v81, 0x10000, v71
	s_delay_alu instid0(VALU_DEP_2) | instskip(NEXT) | instid1(VALU_DEP_2)
	v_cmp_eq_u32_e32 vcc_lo, 0, v70
	v_cndmask_b32_e32 v70, v81, v71, vcc_lo
; %bb.52:
	s_or_b32 exec_lo, exec_lo, s3
	v_and_b32_e32 v71, 0x7f800000, v80
	s_delay_alu instid0(VALU_DEP_1) | instskip(SKIP_1) | instid1(SALU_CYCLE_1)
	v_cmp_ne_u32_e32 vcc_lo, 0x7f800000, v71
                                        ; implicit-def: $vgpr71
	s_and_saveexec_b32 s3, vcc_lo
	s_xor_b32 s3, exec_lo, s3
; %bb.53:
	v_bfe_u32 v71, v80, 16, 1
	s_delay_alu instid0(VALU_DEP_1)
	v_add3_u32 v71, v80, v71, 0x7fff
                                        ; implicit-def: $vgpr80
; %bb.54:
	s_and_not1_saveexec_b32 s3, s3
; %bb.55:
	v_and_b32_e32 v71, 0xffff, v80
	v_or_b32_e32 v81, 0x10000, v80
	s_delay_alu instid0(VALU_DEP_2) | instskip(NEXT) | instid1(VALU_DEP_2)
	v_cmp_eq_u32_e32 vcc_lo, 0, v71
	v_cndmask_b32_e32 v71, v81, v80, vcc_lo
; %bb.56:
	s_or_b32 exec_lo, exec_lo, s3
	v_and_b32_e32 v80, 0x7f800000, v82
	s_delay_alu instid0(VALU_DEP_1) | instskip(SKIP_1) | instid1(SALU_CYCLE_1)
	v_cmp_ne_u32_e32 vcc_lo, 0x7f800000, v80
                                        ; implicit-def: $vgpr80
	s_and_saveexec_b32 s3, vcc_lo
	s_xor_b32 s3, exec_lo, s3
; %bb.57:
	v_bfe_u32 v80, v82, 16, 1
	s_delay_alu instid0(VALU_DEP_1)
	v_add3_u32 v80, v82, v80, 0x7fff
                                        ; implicit-def: $vgpr82
; %bb.58:
	s_and_not1_saveexec_b32 s3, s3
; %bb.59:
	v_and_b32_e32 v80, 0xffff, v82
	v_or_b32_e32 v81, 0x10000, v82
	s_delay_alu instid0(VALU_DEP_2) | instskip(NEXT) | instid1(VALU_DEP_2)
	v_cmp_eq_u32_e32 vcc_lo, 0, v80
	v_cndmask_b32_e32 v80, v81, v82, vcc_lo
; %bb.60:
	s_or_b32 exec_lo, exec_lo, s3
	v_and_b32_e32 v81, 0x7f800000, v72
	s_delay_alu instid0(VALU_DEP_1) | instskip(SKIP_1) | instid1(SALU_CYCLE_1)
	v_cmp_ne_u32_e32 vcc_lo, 0x7f800000, v81
                                        ; implicit-def: $vgpr81
	s_and_saveexec_b32 s3, vcc_lo
	s_xor_b32 s3, exec_lo, s3
; %bb.61:
	v_bfe_u32 v81, v72, 16, 1
	s_delay_alu instid0(VALU_DEP_1)
	v_add3_u32 v81, v72, v81, 0x7fff
                                        ; implicit-def: $vgpr72
; %bb.62:
	s_and_not1_saveexec_b32 s3, s3
; %bb.63:
	v_and_b32_e32 v81, 0xffff, v72
	v_or_b32_e32 v82, 0x10000, v72
	s_delay_alu instid0(VALU_DEP_2) | instskip(NEXT) | instid1(VALU_DEP_2)
	v_cmp_eq_u32_e32 vcc_lo, 0, v81
	v_cndmask_b32_e32 v81, v82, v72, vcc_lo
; %bb.64:
	s_or_b32 exec_lo, exec_lo, s3
	v_and_b32_e32 v72, 0x7f800000, v78
	s_delay_alu instid0(VALU_DEP_1) | instskip(SKIP_1) | instid1(SALU_CYCLE_1)
	v_cmp_ne_u32_e32 vcc_lo, 0x7f800000, v72
                                        ; implicit-def: $vgpr72
	s_and_saveexec_b32 s3, vcc_lo
	s_xor_b32 s3, exec_lo, s3
; %bb.65:
	v_bfe_u32 v72, v78, 16, 1
	s_delay_alu instid0(VALU_DEP_1)
	v_add3_u32 v72, v78, v72, 0x7fff
                                        ; implicit-def: $vgpr78
; %bb.66:
	s_and_not1_saveexec_b32 s3, s3
; %bb.67:
	v_and_b32_e32 v72, 0xffff, v78
	v_or_b32_e32 v82, 0x10000, v78
	s_delay_alu instid0(VALU_DEP_2) | instskip(NEXT) | instid1(VALU_DEP_2)
	v_cmp_eq_u32_e32 vcc_lo, 0, v72
	v_cndmask_b32_e32 v72, v82, v78, vcc_lo
; %bb.68:
	s_or_b32 exec_lo, exec_lo, s3
	v_and_b32_e32 v78, 0x7f800000, v79
	s_delay_alu instid0(VALU_DEP_1) | instskip(SKIP_1) | instid1(SALU_CYCLE_1)
	v_cmp_ne_u32_e32 vcc_lo, 0x7f800000, v78
                                        ; implicit-def: $vgpr78
	s_and_saveexec_b32 s3, vcc_lo
	s_xor_b32 s3, exec_lo, s3
; %bb.69:
	v_bfe_u32 v78, v79, 16, 1
	s_delay_alu instid0(VALU_DEP_1)
	v_add3_u32 v78, v79, v78, 0x7fff
                                        ; implicit-def: $vgpr79
; %bb.70:
	s_and_not1_saveexec_b32 s3, s3
; %bb.71:
	v_and_b32_e32 v78, 0xffff, v79
	v_or_b32_e32 v82, 0x10000, v79
	s_delay_alu instid0(VALU_DEP_2) | instskip(NEXT) | instid1(VALU_DEP_2)
	v_cmp_eq_u32_e32 vcc_lo, 0, v78
	v_cndmask_b32_e32 v78, v82, v79, vcc_lo
; %bb.72:
	s_or_b32 exec_lo, exec_lo, s3
	v_and_b32_e32 v79, 0x7f800000, v69
	s_delay_alu instid0(VALU_DEP_1) | instskip(SKIP_1) | instid1(SALU_CYCLE_1)
	v_cmp_ne_u32_e32 vcc_lo, 0x7f800000, v79
                                        ; implicit-def: $vgpr79
	s_and_saveexec_b32 s3, vcc_lo
	s_xor_b32 s3, exec_lo, s3
; %bb.73:
	v_bfe_u32 v79, v69, 16, 1
	s_delay_alu instid0(VALU_DEP_1)
	v_add3_u32 v79, v69, v79, 0x7fff
                                        ; implicit-def: $vgpr69
; %bb.74:
	s_and_not1_saveexec_b32 s3, s3
; %bb.75:
	v_and_b32_e32 v79, 0xffff, v69
	v_or_b32_e32 v82, 0x10000, v69
	s_delay_alu instid0(VALU_DEP_2) | instskip(NEXT) | instid1(VALU_DEP_2)
	v_cmp_eq_u32_e32 vcc_lo, 0, v79
	v_cndmask_b32_e32 v79, v82, v69, vcc_lo
; %bb.76:
	s_or_b32 exec_lo, exec_lo, s3
	s_delay_alu instid0(VALU_DEP_1)
	v_perm_b32 v86, v79, v78, 0x7060302
	v_perm_b32 v85, v72, v81, 0x7060302
	;; [unrolled: 1-line block ×4, first 2 shown]
	v_lshl_or_b32 v82, v65, 11, v76
	v_lshlrev_b32_e32 v79, 2, v74
	ds_store_b128 v77, v[83:86] offset:1024
	s_waitcnt lgkmcnt(0)
	s_barrier
	buffer_gl0_inv
	ds_load_b128 v[68:71], v82
	ds_load_b128 v[83:86], v82 offset:16
	v_or_b32_e32 v80, 1, v79
	v_cmp_eq_u32_e32 vcc_lo, 1, v79
	v_cmp_eq_u32_e64 s4, 2, v79
	v_cmp_eq_u32_e64 s7, 3, v79
	;; [unrolled: 1-line block ×6, first 2 shown]
	v_or_b32_e32 v78, 2, v79
	v_cmp_eq_u32_e64 s10, 5, v79
	v_cmp_eq_u32_e64 s11, 4, v80
	;; [unrolled: 1-line block ×9, first 2 shown]
	s_waitcnt lgkmcnt(1)
	v_lshrrev_b32_e32 v65, 16, v68
	s_waitcnt lgkmcnt(0)
	v_lshrrev_b32_e32 v91, 16, v83
	v_lshrrev_b32_e32 v72, 16, v69
	;; [unrolled: 1-line block ×4, first 2 shown]
	v_cndmask_b32_e32 v81, v68, v65, vcc_lo
	v_cndmask_b32_e32 v87, v83, v91, vcc_lo
	v_cndmask_b32_e64 v88, v68, v65, s3
	v_lshrrev_b32_e32 v98, 16, v85
	v_cndmask_b32_e64 v89, v83, v91, s3
	v_cndmask_b32_e64 v81, v81, v69, s4
	v_cndmask_b32_e64 v87, v87, v84, s4
	v_cndmask_b32_e64 v88, v88, v69, s6
	v_lshrrev_b32_e32 v96, 16, v71
	v_cndmask_b32_e64 v89, v89, v84, s6
	v_cndmask_b32_e64 v81, v81, v72, s7
	v_cndmask_b32_e64 v87, v87, v97, s7
	;; [unrolled: 5-line block ×3, first 2 shown]
	v_cndmask_b32_e64 v88, v88, v70, s11
	v_cndmask_b32_e64 v89, v89, v97, s8
	v_cmp_eq_u32_e64 s19, 3, v78
	v_cndmask_b32_e64 v81, v81, v95, s10
	v_cndmask_b32_e64 v87, v87, v98, s10
	;; [unrolled: 1-line block ×4, first 2 shown]
	v_cmp_eq_u32_e64 s20, 4, v78
	v_cndmask_b32_e64 v81, v81, v71, s12
	v_cndmask_b32_e64 v87, v87, v86, s12
	;; [unrolled: 1-line block ×3, first 2 shown]
	v_cmp_eq_u32_e64 s22, 5, v78
	v_cmp_eq_u32_e64 s24, 6, v78
	v_cndmask_b32_e64 v100, v81, v96, s15
	v_cndmask_b32_e64 v101, v87, v99, s15
	;; [unrolled: 1-line block ×6, first 2 shown]
	v_cmp_eq_u32_e64 s27, 7, v78
	v_cndmask_b32_e64 v89, v81, v72, s19
	v_cndmask_b32_e64 v87, v87, v84, s17
	v_or_b32_e32 v81, 3, v79
	v_cndmask_b32_e64 v103, v88, v86, s16
	s_delay_alu instid0(VALU_DEP_4) | instskip(NEXT) | instid1(VALU_DEP_4)
	v_cndmask_b32_e64 v92, v89, v70, s20
	v_cndmask_b32_e64 v93, v87, v97, s19
	s_delay_alu instid0(VALU_DEP_4)
	v_cmp_eq_u32_e64 s21, 1, v81
	ds_load_b128 v[87:90], v82 offset:1024
	v_cmp_eq_u32_e64 s23, 2, v81
	v_cndmask_b32_e64 v104, v92, v95, s22
	v_cmp_eq_u32_e64 s25, 3, v81
	v_cndmask_b32_e64 v65, v68, v65, s21
	v_cndmask_b32_e64 v68, v93, v85, s20
	;; [unrolled: 1-line block ×3, first 2 shown]
	ds_load_b128 v[91:94], v82 offset:1040
	v_cmp_eq_u32_e64 s26, 4, v81
	v_cndmask_b32_e64 v65, v65, v69, s23
	v_cmp_eq_u32_e64 s28, 5, v81
	v_cndmask_b32_e64 v69, v83, v84, s23
	;; [unrolled: 2-line block ×3, first 2 shown]
	v_cndmask_b32_e64 v65, v65, v72, s25
	v_cndmask_b32_e64 v72, v104, v71, s24
	;; [unrolled: 1-line block ×6, first 2 shown]
	s_waitcnt lgkmcnt(1)
	v_lshrrev_b32_e32 v84, 16, v87
	v_cndmask_b32_e64 v69, v69, v85, s26
	v_cndmask_b32_e64 v70, v72, v96, s27
	;; [unrolled: 1-line block ×4, first 2 shown]
	v_cndmask_b32_e32 v72, v87, v84, vcc_lo
	v_cndmask_b32_e64 v69, v69, v98, s28
	s_waitcnt lgkmcnt(0)
	v_lshrrev_b32_e32 v85, 16, v91
	v_lshrrev_b32_e32 v95, 16, v88
	v_cndmask_b32_e64 v97, v87, v84, s3
	v_cndmask_b32_e64 v72, v72, v88, s4
	;; [unrolled: 1-line block ×3, first 2 shown]
	v_cndmask_b32_e32 v98, v91, v85, vcc_lo
	v_cmp_eq_u32_e32 vcc_lo, 7, v81
	v_cndmask_b32_e64 v69, v69, v86, s29
	v_cndmask_b32_e64 v71, v72, v95, s7
	;; [unrolled: 1-line block ×3, first 2 shown]
	v_lshrrev_b32_e32 v97, 16, v92
	v_cndmask_b32_e32 v65, v65, v96, vcc_lo
	v_cndmask_b32_e64 v86, v98, v92, s4
	v_cndmask_b32_e32 v69, v69, v99, vcc_lo
	v_lshrrev_b32_e32 v99, 16, v93
	v_cndmask_b32_e64 v71, v71, v89, s9
	v_lshrrev_b32_e32 v98, 16, v89
	v_cndmask_b32_e64 v86, v86, v97, s7
	v_perm_b32 v70, v68, v70, 0x5040100
	v_cndmask_b32_e64 v72, v72, v95, s8
	s_delay_alu instid0(VALU_DEP_4) | instskip(NEXT) | instid1(VALU_DEP_4)
	v_cndmask_b32_e64 v96, v71, v98, s10
	v_cndmask_b32_e64 v86, v86, v93, s9
	v_perm_b32 v71, v69, v65, 0x5040100
	v_perm_b32 v69, v83, v102, 0x5040100
	v_cndmask_b32_e64 v102, v91, v85, s5
	v_cndmask_b32_e64 v72, v72, v89, s11
	;; [unrolled: 1-line block ×3, first 2 shown]
	v_lshrrev_b32_e32 v83, 16, v94
	s_delay_alu instid0(VALU_DEP_3) | instskip(NEXT) | instid1(VALU_DEP_3)
	v_cndmask_b32_e64 v65, v72, v98, s13
	v_cndmask_b32_e64 v68, v86, v94, s12
	;; [unrolled: 1-line block ×27, first 2 shown]
	v_lshrrev_b32_e32 v96, 16, v90
	v_cndmask_b32_e64 v65, v65, v90, s16
	v_cndmask_b32_e64 v86, v86, v90, s24
	;; [unrolled: 1-line block ×9, first 2 shown]
	v_cndmask_b32_e32 v84, v84, v96, vcc_lo
	v_cndmask_b32_e32 v86, v87, v83, vcc_lo
	v_cndmask_b32_e64 v87, v88, v83, s27
	v_cndmask_b32_e64 v88, v85, v83, s18
	;; [unrolled: 1-line block ×3, first 2 shown]
	v_perm_b32 v68, v101, v100, 0x5040100
	v_perm_b32 v86, v86, v84, 0x5040100
	;; [unrolled: 1-line block ×5, first 2 shown]
	s_lshl_b32 s8, s35, 4
	s_mov_b32 s3, exec_lo
	ds_store_b128 v77, v[68:71]
	ds_store_b128 v77, v[83:86] offset:1024
	v_cmpx_gt_u32_e32 16, v0
	s_cbranch_execz .LBB1709_78
; %bb.77:
	v_or_b32_e32 v65, s31, v0
	s_load_b128 s[4:7], s[0:1], 0x58
	s_delay_alu instid0(VALU_DEP_1) | instskip(NEXT) | instid1(VALU_DEP_1)
	v_mad_u64_u32 v[68:69], null, s8, s30, v[65:66]
	v_mad_u64_u32 v[69:70], null, v68, s34, s[14:15]
	s_delay_alu instid0(VALU_DEP_1) | instskip(NEXT) | instid1(VALU_DEP_1)
	v_ashrrev_i32_e32 v70, 31, v69
	v_lshlrev_b64 v[68:69], 2, v[69:70]
	s_waitcnt lgkmcnt(0)
	s_delay_alu instid0(VALU_DEP_1) | instskip(NEXT) | instid1(VALU_DEP_2)
	v_add_co_u32 v70, vcc_lo, s6, v68
	v_add_co_ci_u32_e32 v71, vcc_lo, s7, v69, vcc_lo
	v_add_co_u32 v68, vcc_lo, s4, v68
	v_add_co_ci_u32_e32 v69, vcc_lo, s5, v69, vcc_lo
	global_store_b32 v[70:71], v66, off
	global_store_b32 v[68:69], v67, off
.LBB1709_78:
	s_or_b32 exec_lo, exec_lo, s3
	s_waitcnt lgkmcnt(0)
	s_waitcnt_vscnt null, 0x0
	s_barrier
	buffer_gl0_inv
	ds_load_b128 v[83:86], v76
	ds_load_b128 v[87:90], v76 offset:16
	ds_load_b128 v[95:98], v76 offset:2064
	;; [unrolled: 1-line block ×3, first 2 shown]
	v_mov_b32_e32 v65, 0
	ds_load_b128 v[103:106], v76 offset:4112
	ds_load_b128 v[99:102], v76 offset:4096
	;; [unrolled: 1-line block ×4, first 2 shown]
	v_mov_b32_e32 v66, v65
	v_mov_b32_e32 v67, v65
	;; [unrolled: 1-line block ×7, first 2 shown]
	s_waitcnt lgkmcnt(6)
	s_delay_alu instid0(VALU_DEP_1)
	v_wmma_f32_16x16x16_bf16 v[65:72], v[57:64], v[83:90], v[65:72]
	ds_load_b128 v[61:64], v76 offset:8208
	ds_load_b128 v[57:60], v76 offset:8192
	s_waitcnt lgkmcnt(6)
	v_wmma_f32_16x16x16_bf16 v[65:72], v[41:48], v[91:98], v[65:72]
	ds_load_b128 v[45:48], v76 offset:10256
	ds_load_b128 v[41:44], v76 offset:10240
	s_waitcnt lgkmcnt(6)
	;; [unrolled: 4-line block ×4, first 2 shown]
	v_wmma_f32_16x16x16_bf16 v[65:72], v[1:8], v[57:64], v[65:72]
	s_waitcnt lgkmcnt(4)
	s_delay_alu instid0(VALU_DEP_1) | instskip(SKIP_1) | instid1(VALU_DEP_1)
	v_wmma_f32_16x16x16_bf16 v[65:72], v[9:16], v[41:48], v[65:72]
	s_waitcnt lgkmcnt(2)
	v_wmma_f32_16x16x16_bf16 v[65:72], v[17:24], v[33:40], v[65:72]
	s_waitcnt lgkmcnt(0)
	s_delay_alu instid0(VALU_DEP_1) | instskip(NEXT) | instid1(VALU_DEP_1)
	v_wmma_f32_16x16x16_bf16 v[65:72], v[49:56], v[25:32], v[65:72]
	v_and_b32_e32 v1, 0x7f800000, v65
	s_delay_alu instid0(VALU_DEP_1) | instskip(SKIP_1) | instid1(SALU_CYCLE_1)
	v_cmp_ne_u32_e32 vcc_lo, 0x7f800000, v1
                                        ; implicit-def: $vgpr1
	s_and_saveexec_b32 s3, vcc_lo
	s_xor_b32 s3, exec_lo, s3
; %bb.79:
	v_bfe_u32 v1, v65, 16, 1
	s_delay_alu instid0(VALU_DEP_1)
	v_add3_u32 v1, v65, v1, 0x7fff
; %bb.80:
	s_and_not1_saveexec_b32 s3, s3
; %bb.81:
	v_and_b32_e32 v1, 0xffff, v65
	v_or_b32_e32 v2, 0x10000, v65
	s_delay_alu instid0(VALU_DEP_2) | instskip(NEXT) | instid1(VALU_DEP_2)
	v_cmp_eq_u32_e32 vcc_lo, 0, v1
	v_cndmask_b32_e32 v1, v2, v65, vcc_lo
; %bb.82:
	s_or_b32 exec_lo, exec_lo, s3
	v_and_b32_e32 v2, 0x7f800000, v66
	s_delay_alu instid0(VALU_DEP_1) | instskip(SKIP_1) | instid1(SALU_CYCLE_1)
	v_cmp_ne_u32_e32 vcc_lo, 0x7f800000, v2
                                        ; implicit-def: $vgpr2
	s_and_saveexec_b32 s3, vcc_lo
	s_xor_b32 s3, exec_lo, s3
; %bb.83:
	v_bfe_u32 v2, v66, 16, 1
	s_delay_alu instid0(VALU_DEP_1)
	v_add3_u32 v2, v66, v2, 0x7fff
; %bb.84:
	s_and_not1_saveexec_b32 s3, s3
; %bb.85:
	v_and_b32_e32 v2, 0xffff, v66
	v_or_b32_e32 v3, 0x10000, v66
	s_delay_alu instid0(VALU_DEP_2) | instskip(NEXT) | instid1(VALU_DEP_2)
	v_cmp_eq_u32_e32 vcc_lo, 0, v2
	v_cndmask_b32_e32 v2, v3, v66, vcc_lo
; %bb.86:
	s_or_b32 exec_lo, exec_lo, s3
	v_and_b32_e32 v3, 0x7f800000, v67
	s_delay_alu instid0(VALU_DEP_1) | instskip(SKIP_1) | instid1(SALU_CYCLE_1)
	v_cmp_ne_u32_e32 vcc_lo, 0x7f800000, v3
                                        ; implicit-def: $vgpr3
	s_and_saveexec_b32 s3, vcc_lo
	s_xor_b32 s3, exec_lo, s3
; %bb.87:
	v_bfe_u32 v3, v67, 16, 1
	s_delay_alu instid0(VALU_DEP_1)
	v_add3_u32 v3, v67, v3, 0x7fff
; %bb.88:
	s_and_not1_saveexec_b32 s3, s3
; %bb.89:
	v_and_b32_e32 v3, 0xffff, v67
	v_or_b32_e32 v4, 0x10000, v67
	s_delay_alu instid0(VALU_DEP_2) | instskip(NEXT) | instid1(VALU_DEP_2)
	v_cmp_eq_u32_e32 vcc_lo, 0, v3
	v_cndmask_b32_e32 v3, v4, v67, vcc_lo
; %bb.90:
	s_or_b32 exec_lo, exec_lo, s3
	v_and_b32_e32 v4, 0x7f800000, v68
	s_delay_alu instid0(VALU_DEP_1) | instskip(SKIP_1) | instid1(SALU_CYCLE_1)
	v_cmp_ne_u32_e32 vcc_lo, 0x7f800000, v4
                                        ; implicit-def: $vgpr4
	s_and_saveexec_b32 s3, vcc_lo
	s_xor_b32 s3, exec_lo, s3
; %bb.91:
	v_bfe_u32 v4, v68, 16, 1
	s_delay_alu instid0(VALU_DEP_1)
	v_add3_u32 v4, v68, v4, 0x7fff
; %bb.92:
	s_and_not1_saveexec_b32 s3, s3
; %bb.93:
	v_and_b32_e32 v4, 0xffff, v68
	v_or_b32_e32 v5, 0x10000, v68
	s_delay_alu instid0(VALU_DEP_2) | instskip(NEXT) | instid1(VALU_DEP_2)
	v_cmp_eq_u32_e32 vcc_lo, 0, v4
	v_cndmask_b32_e32 v4, v5, v68, vcc_lo
; %bb.94:
	s_or_b32 exec_lo, exec_lo, s3
	v_and_b32_e32 v5, 0x7f800000, v69
	s_delay_alu instid0(VALU_DEP_1) | instskip(SKIP_1) | instid1(SALU_CYCLE_1)
	v_cmp_ne_u32_e32 vcc_lo, 0x7f800000, v5
                                        ; implicit-def: $vgpr5
	s_and_saveexec_b32 s3, vcc_lo
	s_xor_b32 s3, exec_lo, s3
; %bb.95:
	v_bfe_u32 v5, v69, 16, 1
	s_delay_alu instid0(VALU_DEP_1)
	v_add3_u32 v5, v69, v5, 0x7fff
; %bb.96:
	s_and_not1_saveexec_b32 s3, s3
; %bb.97:
	v_and_b32_e32 v5, 0xffff, v69
	v_or_b32_e32 v6, 0x10000, v69
	s_delay_alu instid0(VALU_DEP_2) | instskip(NEXT) | instid1(VALU_DEP_2)
	v_cmp_eq_u32_e32 vcc_lo, 0, v5
	v_cndmask_b32_e32 v5, v6, v69, vcc_lo
; %bb.98:
	s_or_b32 exec_lo, exec_lo, s3
	v_and_b32_e32 v6, 0x7f800000, v70
	s_delay_alu instid0(VALU_DEP_1) | instskip(SKIP_1) | instid1(SALU_CYCLE_1)
	v_cmp_ne_u32_e32 vcc_lo, 0x7f800000, v6
                                        ; implicit-def: $vgpr6
	s_and_saveexec_b32 s3, vcc_lo
	s_xor_b32 s3, exec_lo, s3
; %bb.99:
	v_bfe_u32 v6, v70, 16, 1
	s_delay_alu instid0(VALU_DEP_1)
	v_add3_u32 v6, v70, v6, 0x7fff
; %bb.100:
	s_and_not1_saveexec_b32 s3, s3
; %bb.101:
	v_and_b32_e32 v6, 0xffff, v70
	v_or_b32_e32 v7, 0x10000, v70
	s_delay_alu instid0(VALU_DEP_2) | instskip(NEXT) | instid1(VALU_DEP_2)
	v_cmp_eq_u32_e32 vcc_lo, 0, v6
	v_cndmask_b32_e32 v6, v7, v70, vcc_lo
; %bb.102:
	s_or_b32 exec_lo, exec_lo, s3
	v_and_b32_e32 v7, 0x7f800000, v71
	s_delay_alu instid0(VALU_DEP_1) | instskip(SKIP_1) | instid1(SALU_CYCLE_1)
	v_cmp_ne_u32_e32 vcc_lo, 0x7f800000, v7
                                        ; implicit-def: $vgpr7
	s_and_saveexec_b32 s3, vcc_lo
	s_xor_b32 s3, exec_lo, s3
; %bb.103:
	v_bfe_u32 v7, v71, 16, 1
	s_delay_alu instid0(VALU_DEP_1)
	v_add3_u32 v7, v71, v7, 0x7fff
; %bb.104:
	s_and_not1_saveexec_b32 s3, s3
; %bb.105:
	v_and_b32_e32 v7, 0xffff, v71
	v_or_b32_e32 v8, 0x10000, v71
	s_delay_alu instid0(VALU_DEP_2) | instskip(NEXT) | instid1(VALU_DEP_2)
	v_cmp_eq_u32_e32 vcc_lo, 0, v7
	v_cndmask_b32_e32 v7, v8, v71, vcc_lo
; %bb.106:
	s_or_b32 exec_lo, exec_lo, s3
	v_and_b32_e32 v8, 0x7f800000, v72
	s_delay_alu instid0(VALU_DEP_1) | instskip(SKIP_1) | instid1(SALU_CYCLE_1)
	v_cmp_ne_u32_e32 vcc_lo, 0x7f800000, v8
                                        ; implicit-def: $vgpr8
	s_and_saveexec_b32 s3, vcc_lo
	s_xor_b32 s3, exec_lo, s3
; %bb.107:
	v_bfe_u32 v8, v72, 16, 1
	s_delay_alu instid0(VALU_DEP_1)
	v_add3_u32 v8, v72, v8, 0x7fff
                                        ; implicit-def: $vgpr65_vgpr66_vgpr67_vgpr68_vgpr69_vgpr70_vgpr71_vgpr72
; %bb.108:
	s_and_not1_saveexec_b32 s3, s3
; %bb.109:
	v_and_b32_e32 v8, 0xffff, v72
	v_or_b32_e32 v9, 0x10000, v72
	s_delay_alu instid0(VALU_DEP_2) | instskip(NEXT) | instid1(VALU_DEP_2)
	v_cmp_eq_u32_e32 vcc_lo, 0, v8
	v_cndmask_b32_e32 v8, v9, v72, vcc_lo
; %bb.110:
	s_or_b32 exec_lo, exec_lo, s3
	s_delay_alu instid0(VALU_DEP_1)
	v_perm_b32 v7, v8, v7, 0x7060302
	v_perm_b32 v6, v6, v5, 0x7060302
	;; [unrolled: 1-line block ×4, first 2 shown]
	s_barrier
	buffer_gl0_inv
	v_cmp_eq_u32_e32 vcc_lo, 1, v79
	ds_store_b128 v77, v[4:7]
	s_waitcnt lgkmcnt(0)
	s_barrier
	buffer_gl0_inv
	ds_load_b128 v[1:4], v82
	ds_load_b128 v[5:8], v82 offset:16
	v_cmp_eq_u32_e64 s3, 1, v80
	v_cmp_eq_u32_e64 s4, 2, v79
	;; [unrolled: 1-line block ×5, first 2 shown]
	s_waitcnt lgkmcnt(1)
	v_lshrrev_b32_e32 v9, 16, v1
	s_waitcnt lgkmcnt(0)
	v_lshrrev_b32_e32 v13, 16, v5
	v_lshrrev_b32_e32 v10, 16, v2
	;; [unrolled: 1-line block ×4, first 2 shown]
	v_cndmask_b32_e64 v19, v1, v9, s3
	v_cndmask_b32_e32 v18, v5, v13, vcc_lo
	v_cndmask_b32_e64 v20, v5, v13, s3
	v_cndmask_b32_e32 v17, v1, v9, vcc_lo
	v_cmp_eq_u32_e32 vcc_lo, 2, v80
	v_lshrrev_b32_e32 v15, 16, v7
	v_cmp_eq_u32_e64 s3, 1, v78
	v_lshrrev_b32_e32 v12, 16, v4
	v_lshrrev_b32_e32 v16, 16, v8
	v_cndmask_b32_e32 v20, v20, v6, vcc_lo
	v_cndmask_b32_e64 v17, v17, v2, s4
	v_cndmask_b32_e32 v19, v19, v2, vcc_lo
	v_cndmask_b32_e64 v18, v18, v6, s4
	v_cmp_eq_u32_e32 vcc_lo, 4, v79
	v_cmp_eq_u32_e64 s4, 3, v80
	v_cndmask_b32_e64 v17, v17, v10, s5
	v_cndmask_b32_e64 v21, v1, v9, s3
	;; [unrolled: 1-line block ×5, first 2 shown]
	v_cndmask_b32_e32 v17, v17, v3, vcc_lo
	v_cndmask_b32_e64 v20, v20, v14, s4
	v_cndmask_b32_e32 v18, v18, v7, vcc_lo
	v_cmp_eq_u32_e32 vcc_lo, 4, v80
	v_cmp_eq_u32_e64 s4, 5, v80
	v_cmp_eq_u32_e64 s3, 2, v81
	v_cndmask_b32_e64 v21, v21, v2, s7
	v_cmp_eq_u32_e64 s5, 5, v79
	v_cndmask_b32_e32 v19, v19, v3, vcc_lo
	v_cndmask_b32_e32 v20, v20, v7, vcc_lo
	v_cmp_eq_u32_e32 vcc_lo, 6, v80
	s_delay_alu instid0(VALU_DEP_4) | instskip(NEXT) | instid1(VALU_DEP_4)
	v_cndmask_b32_e64 v17, v17, v11, s5
	v_cndmask_b32_e64 v19, v19, v11, s4
	s_delay_alu instid0(VALU_DEP_4) | instskip(SKIP_1) | instid1(VALU_DEP_3)
	v_cndmask_b32_e64 v20, v20, v15, s4
	v_cmp_eq_u32_e64 s4, 1, v81
	v_cndmask_b32_e32 v19, v19, v4, vcc_lo
	v_cndmask_b32_e64 v18, v18, v15, s5
	s_delay_alu instid0(VALU_DEP_3)
	v_cndmask_b32_e64 v1, v1, v9, s4
	v_cndmask_b32_e64 v5, v5, v13, s4
	v_cmp_eq_u32_e64 s4, 3, v78
	v_cndmask_b32_e64 v13, v22, v6, s7
	v_cmp_eq_u32_e64 s7, 3, v81
	v_cndmask_b32_e64 v1, v1, v2, s3
	v_cndmask_b32_e64 v2, v5, v6, s3
	;; [unrolled: 1-line block ×3, first 2 shown]
	v_cmp_eq_u32_e64 s3, 4, v78
	v_cndmask_b32_e64 v6, v13, v14, s4
	v_cndmask_b32_e64 v1, v1, v10, s7
	v_cmp_eq_u32_e64 s4, 4, v81
	v_cndmask_b32_e64 v2, v2, v14, s7
	v_cndmask_b32_e64 v5, v9, v3, s3
	;; [unrolled: 3-line block ×3, first 2 shown]
	v_cndmask_b32_e64 v2, v2, v7, s4
	v_cmp_eq_u32_e64 s3, 5, v81
	v_cmp_eq_u32_e64 s5, 6, v79
	v_cndmask_b32_e64 v5, v5, v11, s7
	v_cmp_eq_u32_e64 s4, 6, v78
	v_cndmask_b32_e64 v3, v6, v15, s7
	v_cndmask_b32_e64 v1, v1, v11, s3
	v_cmp_eq_u32_e64 s7, 6, v81
	v_cndmask_b32_e64 v2, v2, v15, s3
	v_cndmask_b32_e64 v17, v17, v4, s5
	v_cndmask_b32_e64 v18, v18, v8, s5
	v_cmp_eq_u32_e64 s5, 7, v79
	v_cndmask_b32_e64 v5, v5, v4, s4
	;; [unrolled: 4-line block ×3, first 2 shown]
	v_cmp_eq_u32_e64 s4, 7, v78
	v_cndmask_b32_e32 v4, v20, v8, vcc_lo
	v_cndmask_b32_e64 v17, v17, v12, s5
	v_cndmask_b32_e64 v19, v19, v12, s6
	;; [unrolled: 1-line block ×8, first 2 shown]
	v_cmp_gt_u32_e32 vcc_lo, 32, v0
	v_perm_b32 v4, v2, v1, 0x5040100
	v_perm_b32 v3, v3, v5, 0x5040100
	;; [unrolled: 1-line block ×4, first 2 shown]
	s_and_b32 s2, vcc_lo, s2
	ds_store_b128 v77, v[1:4]
	s_waitcnt lgkmcnt(0)
	s_barrier
	buffer_gl0_inv
	s_and_saveexec_b32 s3, s2
	s_cbranch_execz .LBB1709_2
; %bb.111:
	s_load_b64 s[0:1], s[0:1], 0x68
	v_lshlrev_b32_e32 v0, 10, v0
	s_lshl_b32 s4, s34, 6
	v_or_b32_e32 v23, s31, v74
	s_mul_i32 s2, s4, s30
	v_lshlrev_b32_e32 v1, 4, v75
	v_lshlrev_b32_e32 v2, 6, v74
	s_mul_i32 s2, s2, s8
	v_and_b32_e32 v0, 0x3800, v0
	v_mul_lo_u32 v8, v23, s4
	s_ashr_i32 s3, s2, 31
	v_or_b32_e32 v3, 2, v23
	s_lshl_b64 s[2:3], s[2:3], 1
	v_or3_b32 v27, v0, v1, v2
	v_or_b32_e32 v11, 4, v23
	v_or_b32_e32 v18, 6, v23
	v_mul_lo_u32 v10, v3, s4
	v_ashrrev_i32_e32 v9, 31, v8
	ds_load_b128 v[0:3], v27
	ds_load_b128 v[4:7], v27 offset:128
	v_mul_lo_u32 v12, v11, s4
	s_waitcnt lgkmcnt(0)
	s_add_u32 s2, s0, s2
	s_addc_u32 s3, s1, s3
	s_lshl_b32 s0, s14, 6
	v_lshlrev_b64 v[8:9], 1, v[8:9]
	s_ashr_i32 s1, s0, 31
	v_ashrrev_i32_e32 v11, 31, v10
	s_lshl_b64 s[0:1], s[0:1], 1
	v_ashrrev_i32_e32 v13, 31, v12
	s_add_u32 s0, s2, s0
	s_addc_u32 s1, s3, s1
	v_add_co_u32 v30, s0, s0, v73
	s_delay_alu instid0(VALU_DEP_1) | instskip(SKIP_1) | instid1(VALU_DEP_3)
	v_add_co_ci_u32_e64 v31, null, s1, 0, s0
	v_lshlrev_b64 v[16:17], 1, v[10:11]
	v_add_co_u32 v14, vcc_lo, v30, v8
	s_delay_alu instid0(VALU_DEP_3)
	v_add_co_ci_u32_e32 v15, vcc_lo, v31, v9, vcc_lo
	ds_load_b128 v[8:11], v27 offset:256
	v_mul_lo_u32 v18, v18, s4
	v_or_b32_e32 v19, 8, v23
	v_add_co_u32 v16, vcc_lo, v30, v16
	global_store_b128 v[14:15], v[0:3], off
	v_lshlrev_b64 v[0:1], 1, v[12:13]
	v_add_co_ci_u32_e32 v17, vcc_lo, v31, v17, vcc_lo
	v_mul_lo_u32 v12, v19, s4
	v_ashrrev_i32_e32 v19, 31, v18
	v_or_b32_e32 v14, 10, v23
	global_store_b128 v[16:17], v[4:7], off
	v_add_co_u32 v4, vcc_lo, v30, v0
	v_add_co_ci_u32_e32 v5, vcc_lo, v31, v1, vcc_lo
	ds_load_b128 v[0:3], v27 offset:384
	v_ashrrev_i32_e32 v13, 31, v12
	v_lshlrev_b64 v[6:7], 1, v[18:19]
	v_mul_lo_u32 v14, v14, s4
	s_waitcnt lgkmcnt(1)
	global_store_b128 v[4:5], v[8:11], off
	v_or_b32_e32 v8, 12, v23
	v_lshlrev_b64 v[4:5], 1, v[12:13]
	v_add_co_u32 v20, vcc_lo, v30, v6
	v_or_b32_e32 v6, 14, v23
	v_ashrrev_i32_e32 v15, 31, v14
	v_mul_lo_u32 v22, v8, s4
	v_add_co_ci_u32_e32 v21, vcc_lo, v31, v7, vcc_lo
	v_add_co_u32 v24, vcc_lo, v30, v4
	v_mul_lo_u32 v26, v6, s4
	v_add_co_ci_u32_e32 v25, vcc_lo, v31, v5, vcc_lo
	v_lshlrev_b64 v[28:29], 1, v[14:15]
	ds_load_b128 v[4:7], v27 offset:512
	ds_load_b128 v[8:11], v27 offset:640
	;; [unrolled: 1-line block ×4, first 2 shown]
	v_ashrrev_i32_e32 v23, 31, v22
	v_ashrrev_i32_e32 v27, 31, v26
	v_add_co_u32 v28, vcc_lo, v30, v28
	s_delay_alu instid0(VALU_DEP_3) | instskip(SKIP_1) | instid1(VALU_DEP_4)
	v_lshlrev_b64 v[22:23], 1, v[22:23]
	v_add_co_ci_u32_e32 v29, vcc_lo, v31, v29, vcc_lo
	v_lshlrev_b64 v[26:27], 1, v[26:27]
	s_delay_alu instid0(VALU_DEP_3) | instskip(NEXT) | instid1(VALU_DEP_4)
	v_add_co_u32 v22, vcc_lo, v30, v22
	v_add_co_ci_u32_e32 v23, vcc_lo, v31, v23, vcc_lo
	s_delay_alu instid0(VALU_DEP_3) | instskip(NEXT) | instid1(VALU_DEP_4)
	v_add_co_u32 v26, vcc_lo, v30, v26
	v_add_co_ci_u32_e32 v27, vcc_lo, v31, v27, vcc_lo
	s_waitcnt lgkmcnt(4)
	global_store_b128 v[20:21], v[0:3], off
	s_waitcnt lgkmcnt(3)
	global_store_b128 v[24:25], v[4:7], off
	;; [unrolled: 2-line block ×5, first 2 shown]
	s_nop 0
	s_sendmsg sendmsg(MSG_DEALLOC_VGPRS)
	s_endpgm
	.section	.rodata,"a",@progbits
	.p2align	6, 0x0
	.amdhsa_kernel _Z39paged_attention_ll4mi_QKV_mfma16_kernelI14__hip_bfloat16hLN4vllm18Fp8KVCacheDataTypeE1ES0_Li16ELi64ELi256ELb1ELi16EL8MFMAType0EEvPKT_PKT0_S9_ifPKiSB_SB_iPKfiiiPfSE_PS4_PT2_iSD_SD_
		.amdhsa_group_segment_fixed_size 17472
		.amdhsa_private_segment_fixed_size 0
		.amdhsa_kernarg_size 400
		.amdhsa_user_sgpr_count 13
		.amdhsa_user_sgpr_dispatch_ptr 0
		.amdhsa_user_sgpr_queue_ptr 0
		.amdhsa_user_sgpr_kernarg_segment_ptr 1
		.amdhsa_user_sgpr_dispatch_id 0
		.amdhsa_user_sgpr_private_segment_size 0
		.amdhsa_wavefront_size32 1
		.amdhsa_uses_dynamic_stack 0
		.amdhsa_enable_private_segment 0
		.amdhsa_system_sgpr_workgroup_id_x 1
		.amdhsa_system_sgpr_workgroup_id_y 1
		.amdhsa_system_sgpr_workgroup_id_z 1
		.amdhsa_system_sgpr_workgroup_info 0
		.amdhsa_system_vgpr_workitem_id 0
		.amdhsa_next_free_vgpr 125
		.amdhsa_next_free_sgpr 38
		.amdhsa_reserve_vcc 1
		.amdhsa_float_round_mode_32 0
		.amdhsa_float_round_mode_16_64 0
		.amdhsa_float_denorm_mode_32 3
		.amdhsa_float_denorm_mode_16_64 3
		.amdhsa_dx10_clamp 1
		.amdhsa_ieee_mode 1
		.amdhsa_fp16_overflow 0
		.amdhsa_workgroup_processor_mode 1
		.amdhsa_memory_ordered 1
		.amdhsa_forward_progress 0
		.amdhsa_shared_vgpr_count 0
		.amdhsa_exception_fp_ieee_invalid_op 0
		.amdhsa_exception_fp_denorm_src 0
		.amdhsa_exception_fp_ieee_div_zero 0
		.amdhsa_exception_fp_ieee_overflow 0
		.amdhsa_exception_fp_ieee_underflow 0
		.amdhsa_exception_fp_ieee_inexact 0
		.amdhsa_exception_int_div_zero 0
	.end_amdhsa_kernel
	.section	.text._Z39paged_attention_ll4mi_QKV_mfma16_kernelI14__hip_bfloat16hLN4vllm18Fp8KVCacheDataTypeE1ES0_Li16ELi64ELi256ELb1ELi16EL8MFMAType0EEvPKT_PKT0_S9_ifPKiSB_SB_iPKfiiiPfSE_PS4_PT2_iSD_SD_,"axG",@progbits,_Z39paged_attention_ll4mi_QKV_mfma16_kernelI14__hip_bfloat16hLN4vllm18Fp8KVCacheDataTypeE1ES0_Li16ELi64ELi256ELb1ELi16EL8MFMAType0EEvPKT_PKT0_S9_ifPKiSB_SB_iPKfiiiPfSE_PS4_PT2_iSD_SD_,comdat
.Lfunc_end1709:
	.size	_Z39paged_attention_ll4mi_QKV_mfma16_kernelI14__hip_bfloat16hLN4vllm18Fp8KVCacheDataTypeE1ES0_Li16ELi64ELi256ELb1ELi16EL8MFMAType0EEvPKT_PKT0_S9_ifPKiSB_SB_iPKfiiiPfSE_PS4_PT2_iSD_SD_, .Lfunc_end1709-_Z39paged_attention_ll4mi_QKV_mfma16_kernelI14__hip_bfloat16hLN4vllm18Fp8KVCacheDataTypeE1ES0_Li16ELi64ELi256ELb1ELi16EL8MFMAType0EEvPKT_PKT0_S9_ifPKiSB_SB_iPKfiiiPfSE_PS4_PT2_iSD_SD_
                                        ; -- End function
	.section	.AMDGPU.csdata,"",@progbits
; Kernel info:
; codeLenInByte = 8912
; NumSgprs: 40
; NumVgprs: 125
; ScratchSize: 0
; MemoryBound: 0
; FloatMode: 240
; IeeeMode: 1
; LDSByteSize: 17472 bytes/workgroup (compile time only)
; SGPRBlocks: 4
; VGPRBlocks: 15
; NumSGPRsForWavesPerEU: 40
; NumVGPRsForWavesPerEU: 125
; Occupancy: 10
; WaveLimiterHint : 1
; COMPUTE_PGM_RSRC2:SCRATCH_EN: 0
; COMPUTE_PGM_RSRC2:USER_SGPR: 13
; COMPUTE_PGM_RSRC2:TRAP_HANDLER: 0
; COMPUTE_PGM_RSRC2:TGID_X_EN: 1
; COMPUTE_PGM_RSRC2:TGID_Y_EN: 1
; COMPUTE_PGM_RSRC2:TGID_Z_EN: 1
; COMPUTE_PGM_RSRC2:TIDIG_COMP_CNT: 0
	.section	.text._Z39paged_attention_ll4mi_QKV_mfma16_kernelI14__hip_bfloat16hLN4vllm18Fp8KVCacheDataTypeE1ES0_Li16ELi64ELi256ELb1ELi1EL8MFMAType0EEvPKT_PKT0_S9_ifPKiSB_SB_iPKfiiiPfSE_PS4_PT2_iSD_SD_,"axG",@progbits,_Z39paged_attention_ll4mi_QKV_mfma16_kernelI14__hip_bfloat16hLN4vllm18Fp8KVCacheDataTypeE1ES0_Li16ELi64ELi256ELb1ELi1EL8MFMAType0EEvPKT_PKT0_S9_ifPKiSB_SB_iPKfiiiPfSE_PS4_PT2_iSD_SD_,comdat
	.protected	_Z39paged_attention_ll4mi_QKV_mfma16_kernelI14__hip_bfloat16hLN4vllm18Fp8KVCacheDataTypeE1ES0_Li16ELi64ELi256ELb1ELi1EL8MFMAType0EEvPKT_PKT0_S9_ifPKiSB_SB_iPKfiiiPfSE_PS4_PT2_iSD_SD_ ; -- Begin function _Z39paged_attention_ll4mi_QKV_mfma16_kernelI14__hip_bfloat16hLN4vllm18Fp8KVCacheDataTypeE1ES0_Li16ELi64ELi256ELb1ELi1EL8MFMAType0EEvPKT_PKT0_S9_ifPKiSB_SB_iPKfiiiPfSE_PS4_PT2_iSD_SD_
	.globl	_Z39paged_attention_ll4mi_QKV_mfma16_kernelI14__hip_bfloat16hLN4vllm18Fp8KVCacheDataTypeE1ES0_Li16ELi64ELi256ELb1ELi1EL8MFMAType0EEvPKT_PKT0_S9_ifPKiSB_SB_iPKfiiiPfSE_PS4_PT2_iSD_SD_
	.p2align	8
	.type	_Z39paged_attention_ll4mi_QKV_mfma16_kernelI14__hip_bfloat16hLN4vllm18Fp8KVCacheDataTypeE1ES0_Li16ELi64ELi256ELb1ELi1EL8MFMAType0EEvPKT_PKT0_S9_ifPKiSB_SB_iPKfiiiPfSE_PS4_PT2_iSD_SD_,@function
_Z39paged_attention_ll4mi_QKV_mfma16_kernelI14__hip_bfloat16hLN4vllm18Fp8KVCacheDataTypeE1ES0_Li16ELi64ELi256ELb1ELi1EL8MFMAType0EEvPKT_PKT0_S9_ifPKiSB_SB_iPKfiiiPfSE_PS4_PT2_iSD_SD_: ; @_Z39paged_attention_ll4mi_QKV_mfma16_kernelI14__hip_bfloat16hLN4vllm18Fp8KVCacheDataTypeE1ES0_Li16ELi64ELi256ELb1ELi1EL8MFMAType0EEvPKT_PKT0_S9_ifPKiSB_SB_iPKfiiiPfSE_PS4_PT2_iSD_SD_
; %bb.0:
	s_load_b64 s[4:5], s[0:1], 0x30
	s_mov_b32 s34, s13
	s_waitcnt lgkmcnt(0)
	s_cmp_lg_u64 s[4:5], 0
	s_cselect_b32 s6, -1, 0
	s_ashr_i32 s35, s13, 31
	s_cmp_eq_u64 s[4:5], 0
	s_cbranch_scc1 .LBB1710_3
; %bb.1:
	s_lshl_b64 s[2:3], s[34:35], 2
	s_delay_alu instid0(SALU_CYCLE_1) | instskip(SKIP_4) | instid1(SALU_CYCLE_1)
	s_add_u32 s2, s4, s2
	s_addc_u32 s3, s5, s3
	s_load_b64 s[2:3], s[2:3], 0x0
	s_waitcnt lgkmcnt(0)
	s_sub_i32 s2, s3, s2
	s_cmp_eq_u32 s2, 1
	s_cselect_b32 s2, -1, 0
	s_delay_alu instid0(SALU_CYCLE_1)
	s_and_not1_b32 vcc_lo, exec_lo, s2
	s_cbranch_vccz .LBB1710_4
.LBB1710_2:
	s_endpgm
.LBB1710_3:
.LBB1710_4:
	s_load_b64 s[2:3], s[0:1], 0x28
	s_lshl_b64 s[8:9], s[34:35], 2
	s_waitcnt lgkmcnt(0)
	s_add_u32 s2, s2, s8
	s_addc_u32 s3, s3, s9
	s_lshl_b32 s12, s14, 8
	s_load_b32 s33, s[2:3], 0x0
	s_waitcnt lgkmcnt(0)
	s_cmp_ge_i32 s12, s33
	s_cbranch_scc1 .LBB1710_2
; %bb.5:
	s_clause 0x1
	s_load_b128 s[28:31], s[0:1], 0x8
	s_load_b64 s[2:3], s[0:1], 0x20
	s_and_not1_b32 vcc_lo, exec_lo, s6
	s_mov_b64 s[6:7], s[34:35]
	s_cbranch_vccnz .LBB1710_7
; %bb.6:
	s_add_u32 s4, s4, s8
	s_addc_u32 s5, s5, s9
	s_load_b32 s6, s[4:5], 0x0
.LBB1710_7:
	s_load_b128 s[24:27], s[0:1], 0x48
	v_and_b32_e32 v73, 15, v0
	s_mov_b32 s13, exec_lo
                                        ; implicit-def: $sgpr16
                                        ; implicit-def: $sgpr4
	s_delay_alu instid0(VALU_DEP_1)
	v_cmpx_eq_u32_e32 0, v73
	s_cbranch_execz .LBB1710_9
; %bb.8:
	s_load_b64 s[4:5], s[0:1], 0x0
	s_waitcnt lgkmcnt(0)
	s_mul_hi_i32 s7, s6, s24
	s_mul_i32 s6, s6, s24
	s_delay_alu instid0(SALU_CYCLE_1) | instskip(NEXT) | instid1(SALU_CYCLE_1)
	s_lshl_b64 s[6:7], s[6:7], 1
	s_add_u32 s6, s4, s6
	s_addc_u32 s7, s5, s7
	s_lshl_b32 s4, s15, 6
	s_delay_alu instid0(SALU_CYCLE_1) | instskip(NEXT) | instid1(SALU_CYCLE_1)
	s_ashr_i32 s5, s4, 31
	s_lshl_b64 s[4:5], s[4:5], 1
	s_delay_alu instid0(SALU_CYCLE_1)
	s_add_u32 s4, s6, s4
	s_addc_u32 s5, s7, s5
	s_clause 0x1
	s_load_b256 s[16:23], s[4:5], 0x0
	s_load_b256 s[4:11], s[4:5], 0x40
.LBB1710_9:
	s_or_b32 exec_lo, exec_lo, s13
	s_waitcnt lgkmcnt(0)
	v_dual_mov_b32 v114, s23 :: v_dual_and_b32 v1, 0xef, v0
	s_add_i32 s13, s33, 15
	s_load_b32 s27, s[0:1], 0x38
	s_ashr_i32 s24, s13, 31
	s_delay_alu instid0(VALU_DEP_1) | instskip(SKIP_3) | instid1(VALU_DEP_2)
	v_dual_mov_b32 v112, s21 :: v_dual_add_nc_u32 v1, s12, v1
	s_lshr_b32 s24, s24, 28
	v_lshrrev_b32_e32 v65, 5, v0
	s_add_i32 s13, s13, s24
	v_ashrrev_i32_e32 v2, 31, v1
	v_or_b32_e32 v3, 16, v1
	s_ashr_i32 s13, s13, 4
	v_cmp_gt_i32_e32 vcc_lo, s33, v1
	s_add_i32 s13, s13, -1
	v_lshrrev_b32_e32 v2, 28, v2
	s_load_b32 s24, s[0:1], 0x1c
	v_mbcnt_lo_u32_b32 v67, -1, 0
	v_dual_mov_b32 v113, s22 :: v_dual_lshlrev_b32 v74, 4, v73
	s_delay_alu instid0(VALU_DEP_3) | instskip(SKIP_1) | instid1(VALU_DEP_4)
	v_add_nc_u32_e32 v4, v1, v2
	v_mov_b32_e32 v110, s19
	v_xor_b32_e32 v68, 16, v67
	s_waitcnt lgkmcnt(0)
	s_mul_i32 s36, s34, s27
	v_mov_b32_e32 v108, s17
	v_ashrrev_i32_e32 v4, 4, v4
	v_add_nc_u32_e32 v2, v3, v2
	s_ashr_i32 s37, s36, 31
	v_and_b32_e32 v66, 0xe0, v0
	s_lshl_b64 s[36:37], s[36:37], 2
	v_cndmask_b32_e32 v1, s13, v4, vcc_lo
	v_ashrrev_i32_e32 v2, 4, v2
	v_cmp_gt_i32_e32 vcc_lo, s33, v3
	s_add_u32 s36, s2, s36
	s_addc_u32 s35, s3, s37
	s_mul_i32 s37, s15, s26
	v_add_nc_u32_e32 v66, s12, v66
	v_cndmask_b32_e32 v3, s13, v2, vcc_lo
	v_ashrrev_i32_e32 v2, 31, v1
	s_ashr_i32 s38, s37, 31
	s_add_u32 s39, s28, s37
	s_addc_u32 s46, s29, s38
	v_ashrrev_i32_e32 v4, 31, v3
	v_lshlrev_b64 v[1:2], 2, v[1:2]
	s_lshl_b32 s2, s14, 4
	s_delay_alu instid0(SALU_CYCLE_1) | instskip(NEXT) | instid1(VALU_DEP_2)
	s_ashr_i32 s3, s2, 31
	v_lshlrev_b64 v[3:4], 2, v[3:4]
	s_lshl_b64 s[2:3], s[2:3], 2
	s_delay_alu instid0(VALU_DEP_2) | instskip(SKIP_1) | instid1(VALU_DEP_3)
	v_add_co_u32 v1, vcc_lo, s36, v1
	v_add_co_ci_u32_e32 v2, vcc_lo, s35, v2, vcc_lo
	v_add_co_u32 v3, vcc_lo, s36, v3
	s_delay_alu instid0(VALU_DEP_4)
	v_add_co_ci_u32_e32 v4, vcc_lo, s35, v4, vcc_lo
	s_clause 0x1
	global_load_b32 v5, v[1:2], off
	global_load_b32 v7, v[3:4], off
	s_add_u32 s2, s36, s2
	s_addc_u32 s3, s35, s3
	s_or_b32 s26, s12, 32
	v_lshlrev_b32_e32 v1, 4, v0
	s_ashr_i32 s27, s26, 4
	s_cmp_lt_i32 s26, s33
	v_cmp_gt_i32_e32 vcc_lo, 32, v68
	s_cselect_b32 s26, s27, s13
	v_and_b32_e32 v1, 0xf0, v1
	s_ashr_i32 s27, s26, 31
	s_delay_alu instid0(SALU_CYCLE_1) | instskip(NEXT) | instid1(SALU_CYCLE_1)
	s_lshl_b64 s[26:27], s[26:27], 2
	s_add_u32 s26, s36, s26
	s_addc_u32 s27, s35, s27
	s_or_b32 s28, s12, 64
	v_add_co_u32 v1, s39, s39, v1
	s_ashr_i32 s29, s28, 4
	s_cmp_lt_i32 s28, s33
	v_add_co_ci_u32_e64 v2, null, s46, 0, s39
	s_cselect_b32 s28, s29, s13
	s_delay_alu instid0(SALU_CYCLE_1) | instskip(NEXT) | instid1(SALU_CYCLE_1)
	s_ashr_i32 s29, s28, 31
	s_lshl_b64 s[28:29], s[28:29], 2
	s_delay_alu instid0(SALU_CYCLE_1) | instskip(SKIP_2) | instid1(SALU_CYCLE_1)
	s_add_u32 s40, s36, s28
	s_addc_u32 s41, s35, s29
	s_or_b32 s28, s12, 0x60
	s_ashr_i32 s29, s28, 4
	s_cmp_lt_i32 s28, s33
	s_cselect_b32 s28, s29, s13
	s_delay_alu instid0(SALU_CYCLE_1) | instskip(NEXT) | instid1(SALU_CYCLE_1)
	s_ashr_i32 s29, s28, 31
	s_lshl_b64 s[28:29], s[28:29], 2
	s_delay_alu instid0(SALU_CYCLE_1) | instskip(SKIP_2) | instid1(SALU_CYCLE_1)
	s_add_u32 s42, s36, s28
	s_addc_u32 s43, s35, s29
	s_or_b32 s28, s12, 0x80
	s_ashr_i32 s29, s28, 4
	s_cmp_lt_i32 s28, s33
	;; [unrolled: 10-line block ×3, first 2 shown]
	s_cselect_b32 s28, s29, s13
	s_delay_alu instid0(SALU_CYCLE_1) | instskip(NEXT) | instid1(SALU_CYCLE_1)
	s_ashr_i32 s29, s28, 31
	s_lshl_b64 s[28:29], s[28:29], 2
	s_delay_alu instid0(SALU_CYCLE_1)
	s_add_u32 s46, s36, s28
	s_addc_u32 s47, s35, s29
	s_clause 0x5
	s_load_b32 s29, s[2:3], 0x0
	s_load_b32 s2, s[26:27], 0x0
	;; [unrolled: 1-line block ×6, first 2 shown]
	s_or_b32 s39, s12, 0xc0
	s_delay_alu instid0(SALU_CYCLE_1) | instskip(SKIP_2) | instid1(SALU_CYCLE_1)
	s_ashr_i32 s40, s39, 4
	s_cmp_lt_i32 s39, s33
	s_cselect_b32 s40, s40, s13
	s_ashr_i32 s41, s40, 31
	s_delay_alu instid0(SALU_CYCLE_1) | instskip(NEXT) | instid1(SALU_CYCLE_1)
	s_lshl_b64 s[40:41], s[40:41], 2
	s_add_u32 s40, s36, s40
	s_addc_u32 s41, s35, s41
	s_or_b32 s39, s12, 0xe0
	s_delay_alu instid0(SALU_CYCLE_1) | instskip(SKIP_2) | instid1(SALU_CYCLE_1)
	s_ashr_i32 s42, s39, 4
	s_cmp_lt_i32 s39, s33
	s_cselect_b32 s42, s42, s13
	s_ashr_i32 s43, s42, 31
	s_delay_alu instid0(SALU_CYCLE_1)
	s_lshl_b64 s[42:43], s[42:43], 2
	s_waitcnt vmcnt(1)
	v_mad_i64_i32 v[3:4], null, v5, s25, v[1:2]
	s_waitcnt vmcnt(0)
	v_mad_i64_i32 v[5:6], null, v7, s25, v[1:2]
	s_clause 0x7
	global_load_b128 v[75:78], v[3:4], off
	global_load_b128 v[79:82], v[3:4], off offset:256
	global_load_b128 v[83:86], v[5:6], off
	global_load_b128 v[87:90], v[5:6], off offset:256
	global_load_b128 v[91:94], v[3:4], off offset:512
	;; [unrolled: 1-line block ×5, first 2 shown]
	v_lshl_or_b32 v1, v65, 8, v74
	s_load_b32 s13, s[40:41], 0x0
	s_add_u32 s40, s36, s42
	s_addc_u32 s41, s35, s43
	s_add_u32 s30, s30, s37
	s_addc_u32 s31, s31, s38
	v_add_co_u32 v1, s30, s30, v1
	s_delay_alu instid0(VALU_DEP_1) | instskip(SKIP_3) | instid1(VALU_DEP_1)
	v_add_co_ci_u32_e64 v2, null, s31, 0, s30
	s_load_b32 s30, s[40:41], 0x0
	s_mov_b32 s36, 0
	s_waitcnt lgkmcnt(0)
	v_mad_i64_i32 v[3:4], null, s29, s25, v[1:2]
	v_mad_i64_i32 v[9:10], null, s26, s25, v[1:2]
	;; [unrolled: 1-line block ×7, first 2 shown]
	s_clause 0x5
	global_load_b128 v[49:52], v[3:4], off
	global_load_b128 v[53:56], v[3:4], off offset:16
	global_load_b128 v[41:44], v[5:6], off
	global_load_b128 v[45:48], v[5:6], off offset:16
	global_load_b128 v[33:36], v[7:8], off
	global_load_b128 v[37:40], v[7:8], off offset:16
	s_mov_b32 s43, s36
	s_mov_b32 s37, s36
	v_mad_i64_i32 v[61:62], null, s30, s25, v[1:2]
	s_clause 0x9
	global_load_b128 v[25:28], v[9:10], off
	global_load_b128 v[29:32], v[9:10], off offset:16
	global_load_b128 v[1:4], v[11:12], off
	global_load_b128 v[5:8], v[11:12], off offset:16
	;; [unrolled: 2-line block ×5, first 2 shown]
	s_mov_b32 s38, s36
	s_mov_b32 s39, s36
	;; [unrolled: 1-line block ×5, first 2 shown]
	v_dual_mov_b32 v111, s20 :: v_dual_mov_b32 v122, s43
	v_dual_mov_b32 v109, s18 :: v_dual_mov_b32 v120, s41
	;; [unrolled: 1-line block ×4, first 2 shown]
	v_mov_b32_e32 v119, s40
	v_mov_b32_e32 v117, s38
	;; [unrolled: 1-line block ×3, first 2 shown]
	s_waitcnt vmcnt(0)
	s_barrier
	buffer_gl0_inv
	v_wmma_f32_16x16x16_bf16 v[123:130], v[75:82], v[107:114], v[115:122]
	v_bfe_u32 v75, v0, 4, 1
	v_wmma_f32_16x16x16_bf16 v[115:122], v[83:90], v[107:114], v[115:122]
	v_dual_mov_b32 v83, s11 :: v_dual_mov_b32 v80, s8
	v_mov_b32_e32 v82, s10
	s_delay_alu instid0(VALU_DEP_4) | instskip(SKIP_3) | instid1(VALU_DEP_4)
	v_or_b32_e32 v66, v66, v75
	v_dual_mov_b32 v81, s9 :: v_dual_mov_b32 v78, s6
	v_dual_mov_b32 v79, s7 :: v_dual_mov_b32 v76, s4
	v_mov_b32_e32 v77, s5
	v_or_b32_e32 v69, 4, v66
	v_or_b32_e32 v70, 6, v66
	;; [unrolled: 1-line block ×3, first 2 shown]
	v_cmp_gt_i32_e64 s2, s33, v66
	v_wmma_f32_16x16x16_bf16 v[123:130], v[91:98], v[76:83], v[123:130]
	v_cndmask_b32_e32 v67, v67, v68, vcc_lo
	v_or_b32_e32 v68, 2, v66
	v_wmma_f32_16x16x16_bf16 v[115:122], v[99:106], v[76:83], v[115:122]
	v_or_b32_e32 v72, 10, v66
	v_dual_mul_f32 v82, s24, v126 :: v_dual_mul_f32 v81, s24, v127
	v_dual_mul_f32 v92, s24, v124 :: v_dual_mul_f32 v93, s24, v123
	s_delay_alu instid0(VALU_DEP_4) | instskip(SKIP_2) | instid1(VALU_DEP_4)
	v_mul_f32_e32 v96, s24, v120
	v_cmp_gt_i32_e32 vcc_lo, s33, v68
	v_dual_mul_f32 v83, s24, v125 :: v_dual_mul_f32 v94, s24, v122
	v_cndmask_b32_e64 v93, 0xff7fffff, v93, s2
	v_cmp_gt_i32_e64 s3, s33, v69
	v_cndmask_b32_e32 v92, 0xff7fffff, v92, vcc_lo
	v_cmp_gt_i32_e64 s4, s33, v70
	v_cmp_gt_i32_e64 s5, s33, v71
	v_or_b32_e32 v84, 12, v66
	v_or_b32_e32 v85, 14, v66
	v_dual_mul_f32 v79, s24, v129 :: v_dual_mul_f32 v80, s24, v128
	v_cndmask_b32_e64 v69, 0xff7fffff, v83, s3
	v_cndmask_b32_e64 v70, 0xff7fffff, v82, s4
	;; [unrolled: 1-line block ×3, first 2 shown]
	v_cmp_gt_i32_e64 s6, s33, v72
	v_lshlrev_b32_e32 v81, 2, v67
	v_max3_f32 v82, v93, 0xff7fffff, v92
	v_or_b32_e32 v86, 16, v66
	v_or_b32_e32 v87, 18, v66
	v_mul_f32_e32 v78, s24, v130
	v_cndmask_b32_e64 v72, 0xff7fffff, v80, s6
	v_max3_f32 v69, v82, v69, v70
	v_cmp_gt_i32_e64 s7, s33, v84
	v_cmp_gt_i32_e64 s8, s33, v85
	v_or_b32_e32 v88, 20, v66
	v_or_b32_e32 v89, 22, v66
	;; [unrolled: 1-line block ×6, first 2 shown]
	v_dual_mul_f32 v97, s24, v119 :: v_dual_mul_f32 v68, s24, v116
	v_dual_mul_f32 v99, s24, v117 :: v_dual_mul_f32 v66, s24, v115
	v_cndmask_b32_e64 v70, 0xff7fffff, v79, s7
	v_cndmask_b32_e64 v78, 0xff7fffff, v78, s8
	v_max3_f32 v69, v69, v71, v72
	v_cmp_gt_i32_e64 s9, s33, v86
	v_cmp_gt_i32_e64 s10, s33, v87
	v_dual_mul_f32 v95, s24, v121 :: v_dual_mul_f32 v98, s24, v118
	s_delay_alu instid0(VALU_DEP_4) | instskip(NEXT) | instid1(VALU_DEP_4)
	v_max3_f32 v69, v69, v70, v78
	v_cndmask_b32_e64 v66, 0xff7fffff, v66, s9
	s_delay_alu instid0(VALU_DEP_4)
	v_cndmask_b32_e64 v68, 0xff7fffff, v68, s10
	v_cmp_gt_i32_e64 s11, s33, v88
	v_cmp_gt_i32_e64 s12, s33, v89
	;; [unrolled: 1-line block ×4, first 2 shown]
	v_max3_f32 v66, v69, v66, v68
	v_cndmask_b32_e64 v70, 0xff7fffff, v99, s11
	v_cndmask_b32_e64 v71, 0xff7fffff, v98, s12
	v_cndmask_b32_e64 v68, 0xff7fffff, v97, s13
	v_cndmask_b32_e64 v69, 0xff7fffff, v96, s16
	v_cmp_gt_i32_e64 s17, s33, v76
	v_cmp_gt_i32_e64 s18, s33, v77
	v_max3_f32 v66, v66, v70, v71
	s_delay_alu instid0(VALU_DEP_3) | instskip(NEXT) | instid1(VALU_DEP_3)
	v_cndmask_b32_e64 v70, 0xff7fffff, v95, s17
	v_cndmask_b32_e64 v71, 0xff7fffff, v94, s18
	s_delay_alu instid0(VALU_DEP_3) | instskip(NEXT) | instid1(VALU_DEP_1)
	v_max3_f32 v66, v66, v68, v69
	v_max3_f32 v66, v66, v70, v71
	ds_bpermute_b32 v67, v81, v66
	s_waitcnt lgkmcnt(0)
	v_max_f32_e32 v67, v67, v67
	s_delay_alu instid0(VALU_DEP_1) | instskip(NEXT) | instid1(VALU_DEP_1)
	v_max_f32_e32 v66, v66, v67
	v_fma_f32 v69, s24, v125, -v66
	s_delay_alu instid0(VALU_DEP_1)
	v_mul_f32_e32 v69, 0x3fb8aa3b, v69
	v_fma_f32 v67, s24, v123, -v66
	v_fma_f32 v68, s24, v124, -v66
	;; [unrolled: 1-line block ×4, first 2 shown]
	v_exp_f32_e32 v69, v69
	s_delay_alu instid0(VALU_DEP_3) | instskip(NEXT) | instid1(VALU_DEP_3)
	v_dual_mul_f32 v67, 0x3fb8aa3b, v67 :: v_dual_mul_f32 v68, 0x3fb8aa3b, v68
	v_mul_f32_e32 v70, 0x3fb8aa3b, v70
	v_fma_f32 v72, s24, v129, -v66
	v_fma_f32 v77, s24, v119, -v66
	s_delay_alu instid0(VALU_DEP_4)
	v_exp_f32_e32 v67, v67
	v_exp_f32_e32 v68, v68
	v_mul_f32_e32 v71, 0x3fb8aa3b, v71
	v_exp_f32_e32 v70, v70
	v_cndmask_b32_e64 v82, 0, v69, s3
	v_fma_f32 v69, s24, v130, -v66
	v_fma_f32 v88, s24, v122, -v66
	s_mov_b32 s3, exec_lo
	v_mul_f32_e32 v77, 0x3fb8aa3b, v77
	s_delay_alu instid0(TRANS32_DEP_3) | instskip(NEXT) | instid1(TRANS32_DEP_2)
	v_cndmask_b32_e64 v80, 0, v67, s2
	v_cndmask_b32_e32 v76, 0, v68, vcc_lo
	v_fma_f32 v67, s24, v128, -v66
	v_exp_f32_e32 v71, v71
	v_cndmask_b32_e64 v84, 0, v70, s4
	v_dual_add_f32 v68, 0, v80 :: v_dual_mul_f32 v69, 0x3fb8aa3b, v69
	s_delay_alu instid0(VALU_DEP_3) | instskip(SKIP_2) | instid1(VALU_DEP_3)
	v_mul_f32_e32 v67, 0x3fb8aa3b, v67
	v_fma_f32 v70, s24, v115, -v66
	v_exp_f32_e32 v77, v77
	v_add_f32_e32 v68, v68, v76
	v_exp_f32_e32 v69, v69
	v_exp_f32_e32 v67, v67
	v_cndmask_b32_e64 v85, 0, v71, s5
	v_fma_f32 v71, s24, v116, -v66
	v_add_f32_e32 v68, v68, v82
	s_delay_alu instid0(VALU_DEP_2)
	v_dual_mul_f32 v88, 0x3fb8aa3b, v88 :: v_dual_mul_f32 v71, 0x3fb8aa3b, v71
	s_waitcnt_depctr 0xfff
	v_cndmask_b32_e64 v87, 0, v69, s8
	v_cndmask_b32_e64 v86, 0, v67, s6
	v_add_f32_e32 v68, v68, v84
	v_mul_f32_e32 v72, 0x3fb8aa3b, v72
	v_exp_f32_e32 v71, v71
	s_delay_alu instid0(VALU_DEP_2) | instskip(NEXT) | instid1(VALU_DEP_2)
	v_add_f32_e32 v67, v68, v85
	v_exp_f32_e32 v72, v72
	v_fma_f32 v68, s24, v117, -v66
	s_delay_alu instid0(VALU_DEP_2) | instskip(SKIP_4) | instid1(VALU_DEP_3)
	v_add_f32_e32 v67, v67, v86
	s_waitcnt_depctr 0xfff
	v_cndmask_b32_e64 v83, 0, v72, s7
	v_mul_f32_e32 v70, 0x3fb8aa3b, v70
	v_fma_f32 v72, s24, v118, -v66
	v_add_f32_e32 v67, v67, v83
	s_delay_alu instid0(VALU_DEP_3) | instskip(SKIP_1) | instid1(VALU_DEP_2)
	v_exp_f32_e32 v70, v70
	v_mul_f32_e32 v68, 0x3fb8aa3b, v68
	v_dual_mul_f32 v72, 0x3fb8aa3b, v72 :: v_dual_add_f32 v67, v67, v87
	s_delay_alu instid0(VALU_DEP_2) | instskip(NEXT) | instid1(VALU_DEP_1)
	v_exp_f32_e32 v78, v68
	v_exp_f32_e32 v72, v72
	v_cndmask_b32_e64 v68, 0, v71, s10
	v_fma_f32 v71, s24, v121, -v66
	s_delay_alu instid0(TRANS32_DEP_3) | instskip(SKIP_1) | instid1(VALU_DEP_2)
	v_cndmask_b32_e64 v69, 0, v70, s9
	v_fma_f32 v70, s24, v120, -v66
	v_add_f32_e32 v67, v67, v69
	s_delay_alu instid0(VALU_DEP_2) | instskip(NEXT) | instid1(TRANS32_DEP_2)
	v_mul_f32_e32 v79, 0x3fb8aa3b, v70
	v_cndmask_b32_e64 v70, 0, v78, s11
	v_mul_f32_e32 v78, 0x3fb8aa3b, v71
	s_delay_alu instid0(TRANS32_DEP_1) | instskip(SKIP_4) | instid1(VALU_DEP_2)
	v_cndmask_b32_e64 v71, 0, v72, s12
	v_add_f32_e32 v67, v67, v68
	v_exp_f32_e32 v79, v79
	v_cndmask_b32_e64 v72, 0, v77, s13
	v_exp_f32_e32 v78, v78
	v_add_f32_e32 v67, v67, v70
	s_waitcnt_depctr 0xfff
	v_cndmask_b32_e64 v77, 0, v79, s16
	v_exp_f32_e32 v79, v88
	v_dual_add_f32 v67, v67, v71 :: v_dual_and_b32 v88, 31, v0
	v_cndmask_b32_e64 v78, 0, v78, s17
	s_delay_alu instid0(VALU_DEP_2) | instskip(NEXT) | instid1(VALU_DEP_3)
	v_cmp_lt_u32_e64 s2, 15, v88
	v_add_f32_e32 v67, v67, v72
	s_waitcnt_depctr 0xfff
	v_cndmask_b32_e64 v79, 0, v79, s18
	v_add_f32_e32 v67, v67, v77
	s_delay_alu instid0(VALU_DEP_1) | instskip(NEXT) | instid1(VALU_DEP_1)
	v_add_f32_e32 v67, v67, v78
	v_add_f32_e32 v67, v67, v79
	ds_bpermute_b32 v81, v81, v67
	v_cmpx_gt_u32_e32 16, v88
	s_cbranch_execz .LBB1710_11
; %bb.10:
	v_mul_u32_u24_e32 v88, 0x44, v65
	s_waitcnt lgkmcnt(0)
	v_add_f32_e32 v67, v67, v81
	s_delay_alu instid0(VALU_DEP_2) | instskip(NEXT) | instid1(VALU_DEP_1)
	v_lshl_add_u32 v88, v73, 2, v88
	v_add_nc_u32_e32 v81, 0x4000, v88
	ds_store_2addr_b32 v81, v66, v67 offset1:136
.LBB1710_11:
	s_or_b32 exec_lo, exec_lo, s3
	v_lshlrev_b32_e32 v66, 2, v73
	s_waitcnt lgkmcnt(0)
	s_barrier
	buffer_gl0_inv
	v_cmp_eq_u32_e32 vcc_lo, 1, v65
	v_add_nc_u32_e32 v81, 0x4000, v66
	v_cmp_eq_u32_e64 s3, 2, v65
	v_cmp_eq_u32_e64 s5, 7, v65
	ds_load_2addr_b32 v[88:89], v81 offset1:17
	ds_load_2addr_b32 v[90:91], v81 offset0:34 offset1:51
	ds_load_2addr_b32 v[92:93], v81 offset0:68 offset1:85
	;; [unrolled: 1-line block ×4, first 2 shown]
	s_waitcnt lgkmcnt(4)
	v_max3_f32 v66, v88, 0xff7fffff, v89
	s_waitcnt lgkmcnt(3)
	s_delay_alu instid0(VALU_DEP_1) | instskip(SKIP_1) | instid1(VALU_DEP_1)
	v_max3_f32 v66, v66, v90, v91
	s_waitcnt lgkmcnt(2)
	v_max3_f32 v66, v66, v92, v93
	s_waitcnt lgkmcnt(1)
	s_delay_alu instid0(VALU_DEP_1) | instskip(NEXT) | instid1(VALU_DEP_1)
	v_max3_f32 v66, v66, v94, v95
	v_sub_f32_e32 v92, v92, v66
	s_delay_alu instid0(VALU_DEP_1) | instskip(NEXT) | instid1(VALU_DEP_1)
	v_dual_sub_f32 v67, v88, v66 :: v_dual_mul_f32 v102, 0x3fb8aa3b, v92
	v_mul_f32_e32 v67, 0x3fb8aa3b, v67
	s_delay_alu instid0(VALU_DEP_1)
	v_exp_f32_e32 v99, v67
	v_sub_f32_e32 v67, v91, v66
	v_sub_f32_e32 v98, v89, v66
	ds_load_2addr_b32 v[88:89], v81 offset0:170 offset1:187
	v_dual_mul_f32 v101, 0x3fb8aa3b, v67 :: v_dual_mul_f32 v98, 0x3fb8aa3b, v98
	s_waitcnt lgkmcnt(1)
	v_fma_f32 v67, v99, v96, 0
	s_delay_alu instid0(VALU_DEP_2) | instskip(NEXT) | instid1(VALU_DEP_2)
	v_exp_f32_e32 v101, v101
	v_exp_f32_e32 v98, v98
	s_waitcnt_depctr 0xfff
	v_fmac_f32_e32 v67, v98, v97
	v_sub_f32_e32 v90, v90, v66
	s_delay_alu instid0(VALU_DEP_1)
	v_mul_f32_e32 v100, 0x3fb8aa3b, v90
	ds_load_2addr_b32 v[90:91], v81 offset0:204 offset1:221
	v_sub_f32_e32 v96, v93, v66
	ds_load_2addr_b32 v[92:93], v81 offset0:238 offset1:255
	s_waitcnt lgkmcnt(0)
	v_exp_f32_e32 v100, v100
	s_barrier
	buffer_gl0_inv
	v_dual_fmac_f32 v67, v100, v88 :: v_dual_sub_f32 v88, v95, v66
	v_dual_sub_f32 v81, v94, v66 :: v_dual_mul_f32 v94, 0x3fb8aa3b, v96
	v_exp_f32_e32 v96, v102
	s_delay_alu instid0(VALU_DEP_2) | instskip(NEXT) | instid1(VALU_DEP_2)
	v_dual_fmac_f32 v67, v101, v89 :: v_dual_mul_f32 v88, 0x3fb8aa3b, v88
	v_mul_f32_e32 v81, 0x3fb8aa3b, v81
	s_delay_alu instid0(VALU_DEP_3) | instskip(NEXT) | instid1(VALU_DEP_2)
	v_exp_f32_e32 v94, v94
	v_exp_f32_e32 v88, v88
	s_delay_alu instid0(VALU_DEP_1)
	v_exp_f32_e32 v81, v81
	v_fmac_f32_e32 v67, v96, v90
	s_delay_alu instid0(TRANS32_DEP_3) | instid1(VALU_DEP_1)
	v_fmac_f32_e32 v67, v94, v91
	s_waitcnt_depctr 0xfff
	v_fmac_f32_e32 v67, v81, v92
	s_delay_alu instid0(VALU_DEP_1) | instskip(NEXT) | instid1(VALU_DEP_1)
	v_fmac_f32_e32 v67, v88, v93
	v_add_f32_e32 v89, 0x358637bd, v67
	s_delay_alu instid0(VALU_DEP_1) | instskip(NEXT) | instid1(VALU_DEP_1)
	v_div_scale_f32 v90, null, v89, v89, 1.0
	v_rcp_f32_e32 v91, v90
	s_waitcnt_depctr 0xfff
	v_fma_f32 v92, -v90, v91, 1.0
	s_delay_alu instid0(VALU_DEP_1) | instskip(SKIP_1) | instid1(VALU_DEP_2)
	v_dual_fmac_f32 v91, v92, v91 :: v_dual_cndmask_b32 v92, v99, v98
	v_cmp_eq_u32_e32 vcc_lo, 3, v65
	v_cndmask_b32_e64 v92, v92, v100, s3
	v_cmp_eq_u32_e64 s3, 4, v65
	s_delay_alu instid0(VALU_DEP_2) | instskip(SKIP_1) | instid1(VALU_DEP_2)
	v_cndmask_b32_e32 v92, v92, v101, vcc_lo
	v_cmp_eq_u32_e32 vcc_lo, 5, v65
	v_cndmask_b32_e64 v92, v92, v96, s3
	v_cmp_eq_u32_e64 s3, 6, v65
	s_delay_alu instid0(VALU_DEP_2) | instskip(SKIP_1) | instid1(VALU_DEP_1)
	v_cndmask_b32_e32 v92, v92, v94, vcc_lo
	v_div_scale_f32 v93, s4, 1.0, v89, 1.0
	s_mov_b32 vcc_lo, s4
	s_delay_alu instid0(VALU_DEP_2) | instskip(NEXT) | instid1(VALU_DEP_2)
	v_cndmask_b32_e64 v81, v92, v81, s3
	v_mul_f32_e32 v95, v93, v91
	s_mov_b32 s3, exec_lo
	s_delay_alu instid0(VALU_DEP_2) | instskip(NEXT) | instid1(VALU_DEP_2)
	v_cndmask_b32_e64 v81, v81, v88, s5
	v_fma_f32 v97, -v90, v95, v93
	s_delay_alu instid0(VALU_DEP_1) | instskip(NEXT) | instid1(VALU_DEP_1)
	v_fmac_f32_e32 v95, v97, v91
	v_fma_f32 v90, -v90, v95, v93
	s_delay_alu instid0(VALU_DEP_1) | instskip(NEXT) | instid1(VALU_DEP_1)
	v_div_fmas_f32 v90, v90, v91, v95
	v_div_fixup_f32 v89, v90, v89, 1.0
	s_delay_alu instid0(VALU_DEP_1) | instskip(NEXT) | instid1(VALU_DEP_1)
	v_mul_f32_e32 v81, v81, v89
	v_mul_f32_e32 v89, v81, v80
	;; [unrolled: 1-line block ×6, first 2 shown]
	v_and_b32_e32 v90, 0x7f800000, v89
	v_mul_f32_e32 v88, v81, v84
	v_mul_f32_e32 v85, v81, v82
	;; [unrolled: 1-line block ×3, first 2 shown]
                                        ; implicit-def: $vgpr76
	s_delay_alu instid0(VALU_DEP_4)
	v_cmpx_ne_u32_e32 0x7f800000, v90
	s_xor_b32 s3, exec_lo, s3
; %bb.12:
	v_bfe_u32 v76, v89, 16, 1
	s_delay_alu instid0(VALU_DEP_1)
	v_add3_u32 v76, v89, v76, 0x7fff
                                        ; implicit-def: $vgpr89
; %bb.13:
	s_and_not1_saveexec_b32 s3, s3
; %bb.14:
	v_and_b32_e32 v76, 0xffff, v89
	v_or_b32_e32 v82, 0x10000, v89
	s_delay_alu instid0(VALU_DEP_2) | instskip(NEXT) | instid1(VALU_DEP_2)
	v_cmp_eq_u32_e32 vcc_lo, 0, v76
	v_cndmask_b32_e32 v76, v82, v89, vcc_lo
; %bb.15:
	s_or_b32 exec_lo, exec_lo, s3
	v_and_b32_e32 v82, 0x7f800000, v84
	s_delay_alu instid0(VALU_DEP_1) | instskip(SKIP_1) | instid1(SALU_CYCLE_1)
	v_cmp_ne_u32_e32 vcc_lo, 0x7f800000, v82
                                        ; implicit-def: $vgpr82
	s_and_saveexec_b32 s3, vcc_lo
	s_xor_b32 s3, exec_lo, s3
; %bb.16:
	v_bfe_u32 v82, v84, 16, 1
	s_delay_alu instid0(VALU_DEP_1)
	v_add3_u32 v82, v84, v82, 0x7fff
                                        ; implicit-def: $vgpr84
; %bb.17:
	s_and_not1_saveexec_b32 s3, s3
; %bb.18:
	v_and_b32_e32 v82, 0xffff, v84
	v_or_b32_e32 v89, 0x10000, v84
	s_delay_alu instid0(VALU_DEP_2) | instskip(NEXT) | instid1(VALU_DEP_2)
	v_cmp_eq_u32_e32 vcc_lo, 0, v82
	v_cndmask_b32_e32 v82, v89, v84, vcc_lo
; %bb.19:
	s_or_b32 exec_lo, exec_lo, s3
	v_and_b32_e32 v84, 0x7f800000, v85
	s_delay_alu instid0(VALU_DEP_1) | instskip(SKIP_1) | instid1(SALU_CYCLE_1)
	v_cmp_ne_u32_e32 vcc_lo, 0x7f800000, v84
                                        ; implicit-def: $vgpr84
	s_and_saveexec_b32 s3, vcc_lo
	s_xor_b32 s3, exec_lo, s3
; %bb.20:
	v_bfe_u32 v84, v85, 16, 1
	s_delay_alu instid0(VALU_DEP_1)
	v_add3_u32 v84, v85, v84, 0x7fff
                                        ; implicit-def: $vgpr85
; %bb.21:
	s_and_not1_saveexec_b32 s3, s3
; %bb.22:
	v_and_b32_e32 v84, 0xffff, v85
	v_or_b32_e32 v89, 0x10000, v85
	s_delay_alu instid0(VALU_DEP_2) | instskip(NEXT) | instid1(VALU_DEP_2)
	v_cmp_eq_u32_e32 vcc_lo, 0, v84
	v_cndmask_b32_e32 v84, v89, v85, vcc_lo
; %bb.23:
	s_or_b32 exec_lo, exec_lo, s3
	v_and_b32_e32 v85, 0x7f800000, v88
	s_delay_alu instid0(VALU_DEP_1) | instskip(SKIP_1) | instid1(SALU_CYCLE_1)
	v_cmp_ne_u32_e32 vcc_lo, 0x7f800000, v85
                                        ; implicit-def: $vgpr85
	s_and_saveexec_b32 s3, vcc_lo
	s_xor_b32 s3, exec_lo, s3
; %bb.24:
	v_bfe_u32 v85, v88, 16, 1
	s_delay_alu instid0(VALU_DEP_1)
	v_add3_u32 v85, v88, v85, 0x7fff
                                        ; implicit-def: $vgpr88
; %bb.25:
	s_and_not1_saveexec_b32 s3, s3
; %bb.26:
	v_and_b32_e32 v85, 0xffff, v88
	v_or_b32_e32 v89, 0x10000, v88
	s_delay_alu instid0(VALU_DEP_2) | instskip(NEXT) | instid1(VALU_DEP_2)
	v_cmp_eq_u32_e32 vcc_lo, 0, v85
	v_cndmask_b32_e32 v85, v89, v88, vcc_lo
; %bb.27:
	s_or_b32 exec_lo, exec_lo, s3
	v_and_b32_e32 v88, 0x7f800000, v87
	s_delay_alu instid0(VALU_DEP_1) | instskip(SKIP_1) | instid1(SALU_CYCLE_1)
	v_cmp_ne_u32_e32 vcc_lo, 0x7f800000, v88
                                        ; implicit-def: $vgpr88
	s_and_saveexec_b32 s3, vcc_lo
	s_xor_b32 s3, exec_lo, s3
; %bb.28:
	v_bfe_u32 v88, v87, 16, 1
	s_delay_alu instid0(VALU_DEP_1)
	v_add3_u32 v88, v87, v88, 0x7fff
                                        ; implicit-def: $vgpr87
; %bb.29:
	s_and_not1_saveexec_b32 s3, s3
; %bb.30:
	v_and_b32_e32 v88, 0xffff, v87
	v_or_b32_e32 v89, 0x10000, v87
	s_delay_alu instid0(VALU_DEP_2) | instskip(NEXT) | instid1(VALU_DEP_2)
	v_cmp_eq_u32_e32 vcc_lo, 0, v88
	v_cndmask_b32_e32 v88, v89, v87, vcc_lo
; %bb.31:
	s_or_b32 exec_lo, exec_lo, s3
	v_and_b32_e32 v87, 0x7f800000, v86
	s_delay_alu instid0(VALU_DEP_1) | instskip(SKIP_1) | instid1(SALU_CYCLE_1)
	v_cmp_ne_u32_e32 vcc_lo, 0x7f800000, v87
                                        ; implicit-def: $vgpr87
	s_and_saveexec_b32 s3, vcc_lo
	s_xor_b32 s3, exec_lo, s3
; %bb.32:
	v_bfe_u32 v87, v86, 16, 1
	s_delay_alu instid0(VALU_DEP_1)
	v_add3_u32 v87, v86, v87, 0x7fff
                                        ; implicit-def: $vgpr86
; %bb.33:
	s_and_not1_saveexec_b32 s3, s3
; %bb.34:
	v_and_b32_e32 v87, 0xffff, v86
	v_or_b32_e32 v89, 0x10000, v86
	s_delay_alu instid0(VALU_DEP_2) | instskip(NEXT) | instid1(VALU_DEP_2)
	v_cmp_eq_u32_e32 vcc_lo, 0, v87
	v_cndmask_b32_e32 v87, v89, v86, vcc_lo
; %bb.35:
	s_or_b32 exec_lo, exec_lo, s3
	v_and_b32_e32 v86, 0x7f800000, v83
	s_delay_alu instid0(VALU_DEP_1) | instskip(SKIP_1) | instid1(SALU_CYCLE_1)
	v_cmp_ne_u32_e32 vcc_lo, 0x7f800000, v86
                                        ; implicit-def: $vgpr86
	s_and_saveexec_b32 s3, vcc_lo
	s_xor_b32 s3, exec_lo, s3
; %bb.36:
	v_bfe_u32 v86, v83, 16, 1
	s_delay_alu instid0(VALU_DEP_1)
	v_add3_u32 v86, v83, v86, 0x7fff
                                        ; implicit-def: $vgpr83
; %bb.37:
	s_and_not1_saveexec_b32 s3, s3
; %bb.38:
	v_and_b32_e32 v86, 0xffff, v83
	v_or_b32_e32 v89, 0x10000, v83
	s_delay_alu instid0(VALU_DEP_2) | instskip(NEXT) | instid1(VALU_DEP_2)
	v_cmp_eq_u32_e32 vcc_lo, 0, v86
	v_cndmask_b32_e32 v86, v89, v83, vcc_lo
; %bb.39:
	s_or_b32 exec_lo, exec_lo, s3
	v_and_b32_e32 v83, 0x7f800000, v80
	s_delay_alu instid0(VALU_DEP_1) | instskip(SKIP_1) | instid1(SALU_CYCLE_1)
	v_cmp_ne_u32_e32 vcc_lo, 0x7f800000, v83
                                        ; implicit-def: $vgpr83
	s_and_saveexec_b32 s3, vcc_lo
	s_xor_b32 s3, exec_lo, s3
; %bb.40:
	v_bfe_u32 v83, v80, 16, 1
	s_delay_alu instid0(VALU_DEP_1)
	v_add3_u32 v83, v80, v83, 0x7fff
                                        ; implicit-def: $vgpr80
; %bb.41:
	s_and_not1_saveexec_b32 s3, s3
; %bb.42:
	v_and_b32_e32 v83, 0xffff, v80
	v_or_b32_e32 v89, 0x10000, v80
	s_delay_alu instid0(VALU_DEP_2) | instskip(NEXT) | instid1(VALU_DEP_2)
	v_cmp_eq_u32_e32 vcc_lo, 0, v83
	v_cndmask_b32_e32 v83, v89, v80, vcc_lo
; %bb.43:
	s_or_b32 exec_lo, exec_lo, s3
	s_load_b64 s[36:37], s[0:1], 0x94
	v_lshlrev_b32_e32 v90, 4, v75
	s_delay_alu instid0(VALU_DEP_2)
	v_perm_b32 v89, v83, v86, 0x7060302
	v_mul_f32_e32 v83, v81, v69
	v_dual_mul_f32 v69, v81, v79 :: v_dual_lshlrev_b32 v80, 6, v73
	v_dual_mul_f32 v78, v81, v78 :: v_dual_lshlrev_b32 v91, 11, v65
	v_perm_b32 v88, v87, v88, 0x7060302
	v_perm_b32 v87, v85, v84, 0x7060302
	;; [unrolled: 1-line block ×3, first 2 shown]
	s_delay_alu instid0(VALU_DEP_4)
	v_or3_b32 v76, v90, v91, v80
	v_dual_mul_f32 v77, v81, v77 :: v_dual_and_b32 v84, 0x7f800000, v83
	v_mul_f32_e32 v72, v81, v72
	v_mul_f32_e32 v82, v81, v71
	;; [unrolled: 1-line block ×4, first 2 shown]
	s_mov_b32 s3, exec_lo
	ds_store_b128 v76, v[86:89]
                                        ; implicit-def: $vgpr68
	v_cmpx_ne_u32_e32 0x7f800000, v84
	s_xor_b32 s3, exec_lo, s3
; %bb.44:
	v_bfe_u32 v68, v83, 16, 1
	s_delay_alu instid0(VALU_DEP_1)
	v_add3_u32 v68, v83, v68, 0x7fff
                                        ; implicit-def: $vgpr83
; %bb.45:
	s_and_not1_saveexec_b32 s3, s3
; %bb.46:
	v_and_b32_e32 v68, 0xffff, v83
	v_or_b32_e32 v70, 0x10000, v83
	s_delay_alu instid0(VALU_DEP_2) | instskip(NEXT) | instid1(VALU_DEP_2)
	v_cmp_eq_u32_e32 vcc_lo, 0, v68
	v_cndmask_b32_e32 v68, v70, v83, vcc_lo
; %bb.47:
	s_or_b32 exec_lo, exec_lo, s3
	v_and_b32_e32 v70, 0x7f800000, v71
	s_delay_alu instid0(VALU_DEP_1) | instskip(SKIP_1) | instid1(SALU_CYCLE_1)
	v_cmp_ne_u32_e32 vcc_lo, 0x7f800000, v70
                                        ; implicit-def: $vgpr70
	s_and_saveexec_b32 s3, vcc_lo
	s_xor_b32 s3, exec_lo, s3
; %bb.48:
	v_bfe_u32 v70, v71, 16, 1
	s_delay_alu instid0(VALU_DEP_1)
	v_add3_u32 v70, v71, v70, 0x7fff
                                        ; implicit-def: $vgpr71
; %bb.49:
	s_and_not1_saveexec_b32 s3, s3
; %bb.50:
	v_and_b32_e32 v70, 0xffff, v71
	v_or_b32_e32 v81, 0x10000, v71
	s_delay_alu instid0(VALU_DEP_2) | instskip(NEXT) | instid1(VALU_DEP_2)
	v_cmp_eq_u32_e32 vcc_lo, 0, v70
	v_cndmask_b32_e32 v70, v81, v71, vcc_lo
; %bb.51:
	s_or_b32 exec_lo, exec_lo, s3
	v_and_b32_e32 v71, 0x7f800000, v79
	s_delay_alu instid0(VALU_DEP_1) | instskip(SKIP_1) | instid1(SALU_CYCLE_1)
	v_cmp_ne_u32_e32 vcc_lo, 0x7f800000, v71
                                        ; implicit-def: $vgpr71
	s_and_saveexec_b32 s3, vcc_lo
	s_xor_b32 s3, exec_lo, s3
; %bb.52:
	v_bfe_u32 v71, v79, 16, 1
	s_delay_alu instid0(VALU_DEP_1)
	v_add3_u32 v71, v79, v71, 0x7fff
                                        ; implicit-def: $vgpr79
; %bb.53:
	s_and_not1_saveexec_b32 s3, s3
; %bb.54:
	v_and_b32_e32 v71, 0xffff, v79
	v_or_b32_e32 v81, 0x10000, v79
	s_delay_alu instid0(VALU_DEP_2) | instskip(NEXT) | instid1(VALU_DEP_2)
	v_cmp_eq_u32_e32 vcc_lo, 0, v71
	v_cndmask_b32_e32 v71, v81, v79, vcc_lo
; %bb.55:
	s_or_b32 exec_lo, exec_lo, s3
	v_and_b32_e32 v79, 0x7f800000, v82
	s_delay_alu instid0(VALU_DEP_1) | instskip(SKIP_1) | instid1(SALU_CYCLE_1)
	v_cmp_ne_u32_e32 vcc_lo, 0x7f800000, v79
                                        ; implicit-def: $vgpr79
	s_and_saveexec_b32 s3, vcc_lo
	s_xor_b32 s3, exec_lo, s3
; %bb.56:
	v_bfe_u32 v79, v82, 16, 1
	s_delay_alu instid0(VALU_DEP_1)
	v_add3_u32 v79, v82, v79, 0x7fff
                                        ; implicit-def: $vgpr82
; %bb.57:
	s_and_not1_saveexec_b32 s3, s3
; %bb.58:
	v_and_b32_e32 v79, 0xffff, v82
	v_or_b32_e32 v81, 0x10000, v82
	s_delay_alu instid0(VALU_DEP_2) | instskip(NEXT) | instid1(VALU_DEP_2)
	v_cmp_eq_u32_e32 vcc_lo, 0, v79
	v_cndmask_b32_e32 v79, v81, v82, vcc_lo
; %bb.59:
	s_or_b32 exec_lo, exec_lo, s3
	v_and_b32_e32 v81, 0x7f800000, v72
	s_delay_alu instid0(VALU_DEP_1) | instskip(SKIP_1) | instid1(SALU_CYCLE_1)
	v_cmp_ne_u32_e32 vcc_lo, 0x7f800000, v81
                                        ; implicit-def: $vgpr81
	s_and_saveexec_b32 s3, vcc_lo
	s_xor_b32 s3, exec_lo, s3
; %bb.60:
	v_bfe_u32 v81, v72, 16, 1
	s_delay_alu instid0(VALU_DEP_1)
	v_add3_u32 v81, v72, v81, 0x7fff
                                        ; implicit-def: $vgpr72
; %bb.61:
	s_and_not1_saveexec_b32 s3, s3
; %bb.62:
	v_and_b32_e32 v81, 0xffff, v72
	v_or_b32_e32 v82, 0x10000, v72
	s_delay_alu instid0(VALU_DEP_2) | instskip(NEXT) | instid1(VALU_DEP_2)
	v_cmp_eq_u32_e32 vcc_lo, 0, v81
	v_cndmask_b32_e32 v81, v82, v72, vcc_lo
; %bb.63:
	s_or_b32 exec_lo, exec_lo, s3
	v_and_b32_e32 v72, 0x7f800000, v77
	s_delay_alu instid0(VALU_DEP_1) | instskip(SKIP_1) | instid1(SALU_CYCLE_1)
	v_cmp_ne_u32_e32 vcc_lo, 0x7f800000, v72
                                        ; implicit-def: $vgpr72
	s_and_saveexec_b32 s3, vcc_lo
	s_xor_b32 s3, exec_lo, s3
; %bb.64:
	v_bfe_u32 v72, v77, 16, 1
	s_delay_alu instid0(VALU_DEP_1)
	v_add3_u32 v72, v77, v72, 0x7fff
                                        ; implicit-def: $vgpr77
; %bb.65:
	s_and_not1_saveexec_b32 s3, s3
; %bb.66:
	v_and_b32_e32 v72, 0xffff, v77
	v_or_b32_e32 v82, 0x10000, v77
	s_delay_alu instid0(VALU_DEP_2) | instskip(NEXT) | instid1(VALU_DEP_2)
	v_cmp_eq_u32_e32 vcc_lo, 0, v72
	v_cndmask_b32_e32 v72, v82, v77, vcc_lo
; %bb.67:
	s_or_b32 exec_lo, exec_lo, s3
	v_and_b32_e32 v77, 0x7f800000, v78
	s_delay_alu instid0(VALU_DEP_1) | instskip(SKIP_1) | instid1(SALU_CYCLE_1)
	v_cmp_ne_u32_e32 vcc_lo, 0x7f800000, v77
                                        ; implicit-def: $vgpr77
	s_and_saveexec_b32 s3, vcc_lo
	s_xor_b32 s3, exec_lo, s3
; %bb.68:
	v_bfe_u32 v77, v78, 16, 1
	s_delay_alu instid0(VALU_DEP_1)
	v_add3_u32 v77, v78, v77, 0x7fff
                                        ; implicit-def: $vgpr78
; %bb.69:
	s_and_not1_saveexec_b32 s3, s3
; %bb.70:
	v_and_b32_e32 v77, 0xffff, v78
	v_or_b32_e32 v82, 0x10000, v78
	s_delay_alu instid0(VALU_DEP_2) | instskip(NEXT) | instid1(VALU_DEP_2)
	v_cmp_eq_u32_e32 vcc_lo, 0, v77
	v_cndmask_b32_e32 v77, v82, v78, vcc_lo
; %bb.71:
	s_or_b32 exec_lo, exec_lo, s3
	v_and_b32_e32 v78, 0x7f800000, v69
	s_delay_alu instid0(VALU_DEP_1) | instskip(SKIP_1) | instid1(SALU_CYCLE_1)
	v_cmp_ne_u32_e32 vcc_lo, 0x7f800000, v78
                                        ; implicit-def: $vgpr78
	s_and_saveexec_b32 s3, vcc_lo
	s_xor_b32 s3, exec_lo, s3
; %bb.72:
	v_bfe_u32 v78, v69, 16, 1
	s_delay_alu instid0(VALU_DEP_1)
	v_add3_u32 v78, v69, v78, 0x7fff
                                        ; implicit-def: $vgpr69
; %bb.73:
	s_and_not1_saveexec_b32 s3, s3
; %bb.74:
	v_and_b32_e32 v78, 0xffff, v69
	v_or_b32_e32 v82, 0x10000, v69
	s_delay_alu instid0(VALU_DEP_2) | instskip(NEXT) | instid1(VALU_DEP_2)
	v_cmp_eq_u32_e32 vcc_lo, 0, v78
	v_cndmask_b32_e32 v78, v82, v69, vcc_lo
; %bb.75:
	s_or_b32 exec_lo, exec_lo, s3
	s_delay_alu instid0(VALU_DEP_1)
	v_perm_b32 v86, v78, v77, 0x7060302
	v_perm_b32 v85, v72, v81, 0x7060302
	;; [unrolled: 1-line block ×4, first 2 shown]
	v_lshl_or_b32 v82, v65, 11, v80
	ds_store_b128 v76, v[83:86] offset:1024
	s_waitcnt lgkmcnt(0)
	s_barrier
	buffer_gl0_inv
	ds_load_b128 v[68:71], v82
	ds_load_b128 v[83:86], v82 offset:16
	s_waitcnt lgkmcnt(1)
	v_lshrrev_b32_e32 v65, 16, v68
	v_lshlrev_b32_e32 v78, 2, v75
	s_waitcnt lgkmcnt(0)
	v_lshrrev_b32_e32 v91, 16, v83
	v_lshrrev_b32_e32 v72, 16, v69
	;; [unrolled: 1-line block ×4, first 2 shown]
	v_cmp_eq_u32_e32 vcc_lo, 1, v78
	v_lshrrev_b32_e32 v98, 16, v85
	v_lshrrev_b32_e32 v96, 16, v71
	;; [unrolled: 1-line block ×3, first 2 shown]
	v_cndmask_b32_e32 v81, v68, v65, vcc_lo
	v_or_b32_e32 v79, 1, v78
	v_cmp_eq_u32_e64 s4, 2, v78
	v_cndmask_b32_e32 v87, v83, v91, vcc_lo
	v_cmp_eq_u32_e64 s7, 3, v78
	v_cmp_eq_u32_e64 s9, 4, v78
	;; [unrolled: 1-line block ×3, first 2 shown]
	v_cndmask_b32_e64 v81, v81, v69, s4
	v_cmp_eq_u32_e64 s6, 2, v79
	v_cndmask_b32_e64 v87, v87, v84, s4
	v_cmp_eq_u32_e64 s8, 3, v79
	v_cndmask_b32_e64 v88, v68, v65, s3
	v_cndmask_b32_e64 v81, v81, v72, s7
	v_or_b32_e32 v77, 2, v78
	v_cndmask_b32_e64 v87, v87, v97, s7
	v_cndmask_b32_e64 v89, v83, v91, s3
	;; [unrolled: 1-line block ×4, first 2 shown]
	v_cmp_eq_u32_e64 s10, 5, v78
	v_cndmask_b32_e64 v87, v87, v85, s9
	v_cmp_eq_u32_e64 s11, 4, v79
	v_cndmask_b32_e64 v88, v88, v72, s8
	;; [unrolled: 2-line block ×3, first 2 shown]
	v_cndmask_b32_e64 v81, v81, v95, s10
	v_cmp_eq_u32_e64 s12, 6, v78
	v_cndmask_b32_e64 v88, v88, v70, s11
	v_cndmask_b32_e64 v87, v87, v98, s10
	v_cmp_eq_u32_e64 s13, 5, v79
	v_cndmask_b32_e64 v90, v68, v65, s5
	v_cndmask_b32_e64 v89, v89, v97, s8
	;; [unrolled: 1-line block ×3, first 2 shown]
	v_cmp_eq_u32_e64 s16, 7, v78
	v_cndmask_b32_e64 v88, v88, v95, s13
	v_cndmask_b32_e64 v87, v87, v86, s12
	v_cmp_eq_u32_e64 s17, 6, v79
	v_cmp_eq_u32_e64 s18, 2, v77
	v_cndmask_b32_e64 v89, v89, v85, s11
	v_cndmask_b32_e64 v100, v81, v96, s16
	;; [unrolled: 1-line block ×6, first 2 shown]
	v_cmp_eq_u32_e64 s19, 7, v79
	v_cmp_eq_u32_e64 s20, 3, v77
	;; [unrolled: 1-line block ×4, first 2 shown]
	v_cndmask_b32_e64 v87, v87, v84, s18
	v_cndmask_b32_e64 v102, v88, v96, s19
	;; [unrolled: 1-line block ×4, first 2 shown]
	v_or_b32_e32 v81, 3, v78
	v_cndmask_b32_e64 v93, v87, v97, s20
	v_cmp_eq_u32_e64 s25, 6, v77
	v_cndmask_b32_e64 v103, v88, v86, s17
	v_cndmask_b32_e64 v92, v89, v70, s21
	v_cmp_eq_u32_e64 s22, 1, v81
	ds_load_b128 v[87:90], v82 offset:1024
	v_cmp_eq_u32_e64 s24, 2, v81
	v_cmp_eq_u32_e64 s26, 3, v81
	v_cndmask_b32_e64 v104, v92, v95, s23
	v_cndmask_b32_e64 v65, v68, v65, s22
	;; [unrolled: 1-line block ×4, first 2 shown]
	ds_load_b128 v[91:94], v82 offset:1040
	v_cmp_eq_u32_e64 s27, 4, v81
	v_cndmask_b32_e64 v65, v65, v69, s24
	v_cmp_eq_u32_e64 s29, 5, v81
	v_cndmask_b32_e64 v69, v83, v84, s24
	v_cmp_eq_u32_e64 s28, 7, v77
	v_cmp_eq_u32_e64 s30, 6, v81
	v_cndmask_b32_e64 v65, v65, v72, s26
	v_cndmask_b32_e64 v72, v104, v71, s25
	;; [unrolled: 1-line block ×6, first 2 shown]
	s_waitcnt lgkmcnt(1)
	v_lshrrev_b32_e32 v84, 16, v87
	v_cndmask_b32_e64 v69, v69, v85, s27
	v_cndmask_b32_e64 v70, v72, v96, s28
	;; [unrolled: 1-line block ×4, first 2 shown]
	v_lshrrev_b32_e32 v95, 16, v88
	v_cndmask_b32_e64 v69, v69, v98, s29
	s_waitcnt lgkmcnt(0)
	v_lshrrev_b32_e32 v85, 16, v91
	v_cndmask_b32_e64 v97, v87, v84, s3
	v_cndmask_b32_e64 v65, v65, v71, s30
	;; [unrolled: 1-line block ×4, first 2 shown]
	v_cndmask_b32_e32 v72, v87, v84, vcc_lo
	v_cndmask_b32_e32 v98, v91, v85, vcc_lo
	v_cmp_eq_u32_e32 vcc_lo, 7, v81
	v_perm_b32 v70, v68, v70, 0x5040100
	v_cndmask_b32_e32 v65, v65, v96, vcc_lo
	v_cndmask_b32_e32 v69, v69, v99, vcc_lo
	v_cndmask_b32_e64 v72, v72, v88, s4
	v_cndmask_b32_e64 v86, v98, v92, s4
	v_lshrrev_b32_e32 v99, 16, v93
	v_lshrrev_b32_e32 v98, 16, v89
	s_delay_alu instid0(VALU_DEP_4) | instskip(SKIP_2) | instid1(VALU_DEP_3)
	v_cndmask_b32_e64 v71, v72, v95, s7
	v_cndmask_b32_e64 v72, v97, v88, s6
	v_lshrrev_b32_e32 v97, 16, v92
	v_cndmask_b32_e64 v71, v71, v89, s9
	s_delay_alu instid0(VALU_DEP_3) | instskip(NEXT) | instid1(VALU_DEP_3)
	v_cndmask_b32_e64 v72, v72, v95, s8
	v_cndmask_b32_e64 v86, v86, v97, s7
	s_delay_alu instid0(VALU_DEP_3) | instskip(SKIP_1) | instid1(VALU_DEP_3)
	v_cndmask_b32_e64 v96, v71, v98, s10
	v_perm_b32 v71, v69, v65, 0x5040100
	v_cndmask_b32_e64 v86, v86, v93, s9
	v_perm_b32 v69, v83, v102, 0x5040100
	v_cndmask_b32_e64 v102, v91, v85, s5
	v_cndmask_b32_e64 v72, v72, v89, s11
	v_lshrrev_b32_e32 v83, 16, v94
	v_cndmask_b32_e64 v86, v86, v99, s10
	s_delay_alu instid0(VALU_DEP_3) | instskip(SKIP_1) | instid1(VALU_DEP_3)
	v_cndmask_b32_e64 v65, v72, v98, s13
	v_cndmask_b32_e64 v72, v96, v90, s12
	;; [unrolled: 1-line block ×7, first 2 shown]
	v_lshrrev_b32_e32 v96, 16, v90
	v_cndmask_b32_e64 v86, v86, v88, s18
	v_cndmask_b32_e64 v84, v84, v88, s24
	;; [unrolled: 1-line block ×29, first 2 shown]
	v_cndmask_b32_e32 v84, v84, v96, vcc_lo
	v_cndmask_b32_e32 v86, v87, v83, vcc_lo
	v_cndmask_b32_e64 v87, v88, v83, s28
	v_cndmask_b32_e64 v88, v85, v83, s19
	;; [unrolled: 1-line block ×3, first 2 shown]
	v_perm_b32 v68, v101, v100, 0x5040100
	v_perm_b32 v86, v86, v84, 0x5040100
	;; [unrolled: 1-line block ×5, first 2 shown]
	s_mov_b32 s3, exec_lo
	ds_store_b128 v76, v[68:71]
	ds_store_b128 v76, v[83:86] offset:1024
	v_cmpx_eq_u32_e32 0, v0
	s_cbranch_execz .LBB1710_77
; %bb.76:
	s_load_b128 s[4:7], s[0:1], 0x58
	s_mul_i32 s8, s37, s34
	v_mov_b32_e32 v65, 0
	s_add_i32 s8, s8, s15
	s_delay_alu instid0(SALU_CYCLE_1) | instskip(NEXT) | instid1(SALU_CYCLE_1)
	s_mul_i32 s8, s8, s36
	s_add_i32 s8, s8, s14
	s_delay_alu instid0(SALU_CYCLE_1) | instskip(NEXT) | instid1(SALU_CYCLE_1)
	s_ashr_i32 s9, s8, 31
	s_lshl_b64 s[8:9], s[8:9], 2
	s_waitcnt lgkmcnt(0)
	s_add_u32 s6, s6, s8
	s_addc_u32 s7, s7, s9
	s_add_u32 s4, s4, s8
	s_addc_u32 s5, s5, s9
	s_clause 0x1
	global_store_b32 v65, v66, s[6:7]
	global_store_b32 v65, v67, s[4:5]
.LBB1710_77:
	s_or_b32 exec_lo, exec_lo, s3
	s_waitcnt lgkmcnt(0)
	s_waitcnt_vscnt null, 0x0
	s_barrier
	buffer_gl0_inv
	ds_load_b128 v[83:86], v80
	ds_load_b128 v[87:90], v80 offset:16
	ds_load_b128 v[95:98], v80 offset:2064
	;; [unrolled: 1-line block ×3, first 2 shown]
	v_mov_b32_e32 v65, 0
	ds_load_b128 v[103:106], v80 offset:4112
	ds_load_b128 v[99:102], v80 offset:4096
	;; [unrolled: 1-line block ×4, first 2 shown]
	v_mov_b32_e32 v66, v65
	v_mov_b32_e32 v67, v65
	v_mov_b32_e32 v68, v65
	v_mov_b32_e32 v69, v65
	v_mov_b32_e32 v70, v65
	v_mov_b32_e32 v71, v65
	v_mov_b32_e32 v72, v65
	s_waitcnt lgkmcnt(6)
	s_delay_alu instid0(VALU_DEP_1)
	v_wmma_f32_16x16x16_bf16 v[65:72], v[49:56], v[83:90], v[65:72]
	ds_load_b128 v[53:56], v80 offset:8208
	ds_load_b128 v[49:52], v80 offset:8192
	s_waitcnt lgkmcnt(6)
	v_wmma_f32_16x16x16_bf16 v[65:72], v[41:48], v[91:98], v[65:72]
	ds_load_b128 v[45:48], v80 offset:10256
	ds_load_b128 v[41:44], v80 offset:10240
	s_waitcnt lgkmcnt(6)
	;; [unrolled: 4-line block ×4, first 2 shown]
	v_wmma_f32_16x16x16_bf16 v[65:72], v[1:8], v[49:56], v[65:72]
	s_waitcnt lgkmcnt(4)
	s_delay_alu instid0(VALU_DEP_1) | instskip(SKIP_1) | instid1(VALU_DEP_1)
	v_wmma_f32_16x16x16_bf16 v[65:72], v[9:16], v[41:48], v[65:72]
	s_waitcnt lgkmcnt(2)
	v_wmma_f32_16x16x16_bf16 v[65:72], v[17:24], v[33:40], v[65:72]
	s_waitcnt lgkmcnt(0)
	s_delay_alu instid0(VALU_DEP_1) | instskip(NEXT) | instid1(VALU_DEP_1)
	v_wmma_f32_16x16x16_bf16 v[65:72], v[57:64], v[25:32], v[65:72]
	v_and_b32_e32 v1, 0x7f800000, v65
	s_delay_alu instid0(VALU_DEP_1) | instskip(SKIP_1) | instid1(SALU_CYCLE_1)
	v_cmp_ne_u32_e32 vcc_lo, 0x7f800000, v1
                                        ; implicit-def: $vgpr1
	s_and_saveexec_b32 s3, vcc_lo
	s_xor_b32 s3, exec_lo, s3
; %bb.78:
	v_bfe_u32 v1, v65, 16, 1
	s_delay_alu instid0(VALU_DEP_1)
	v_add3_u32 v1, v65, v1, 0x7fff
; %bb.79:
	s_and_not1_saveexec_b32 s3, s3
; %bb.80:
	v_and_b32_e32 v1, 0xffff, v65
	v_or_b32_e32 v2, 0x10000, v65
	s_delay_alu instid0(VALU_DEP_2) | instskip(NEXT) | instid1(VALU_DEP_2)
	v_cmp_eq_u32_e32 vcc_lo, 0, v1
	v_cndmask_b32_e32 v1, v2, v65, vcc_lo
; %bb.81:
	s_or_b32 exec_lo, exec_lo, s3
	v_and_b32_e32 v2, 0x7f800000, v66
	s_delay_alu instid0(VALU_DEP_1) | instskip(SKIP_1) | instid1(SALU_CYCLE_1)
	v_cmp_ne_u32_e32 vcc_lo, 0x7f800000, v2
                                        ; implicit-def: $vgpr2
	s_and_saveexec_b32 s3, vcc_lo
	s_xor_b32 s3, exec_lo, s3
; %bb.82:
	v_bfe_u32 v2, v66, 16, 1
	s_delay_alu instid0(VALU_DEP_1)
	v_add3_u32 v2, v66, v2, 0x7fff
; %bb.83:
	s_and_not1_saveexec_b32 s3, s3
; %bb.84:
	v_and_b32_e32 v2, 0xffff, v66
	v_or_b32_e32 v3, 0x10000, v66
	s_delay_alu instid0(VALU_DEP_2) | instskip(NEXT) | instid1(VALU_DEP_2)
	v_cmp_eq_u32_e32 vcc_lo, 0, v2
	v_cndmask_b32_e32 v2, v3, v66, vcc_lo
; %bb.85:
	s_or_b32 exec_lo, exec_lo, s3
	v_and_b32_e32 v3, 0x7f800000, v67
	s_delay_alu instid0(VALU_DEP_1) | instskip(SKIP_1) | instid1(SALU_CYCLE_1)
	v_cmp_ne_u32_e32 vcc_lo, 0x7f800000, v3
                                        ; implicit-def: $vgpr3
	s_and_saveexec_b32 s3, vcc_lo
	s_xor_b32 s3, exec_lo, s3
; %bb.86:
	v_bfe_u32 v3, v67, 16, 1
	s_delay_alu instid0(VALU_DEP_1)
	v_add3_u32 v3, v67, v3, 0x7fff
; %bb.87:
	s_and_not1_saveexec_b32 s3, s3
; %bb.88:
	v_and_b32_e32 v3, 0xffff, v67
	v_or_b32_e32 v4, 0x10000, v67
	s_delay_alu instid0(VALU_DEP_2) | instskip(NEXT) | instid1(VALU_DEP_2)
	v_cmp_eq_u32_e32 vcc_lo, 0, v3
	v_cndmask_b32_e32 v3, v4, v67, vcc_lo
; %bb.89:
	s_or_b32 exec_lo, exec_lo, s3
	v_and_b32_e32 v4, 0x7f800000, v68
	s_delay_alu instid0(VALU_DEP_1) | instskip(SKIP_1) | instid1(SALU_CYCLE_1)
	v_cmp_ne_u32_e32 vcc_lo, 0x7f800000, v4
                                        ; implicit-def: $vgpr4
	s_and_saveexec_b32 s3, vcc_lo
	s_xor_b32 s3, exec_lo, s3
; %bb.90:
	v_bfe_u32 v4, v68, 16, 1
	s_delay_alu instid0(VALU_DEP_1)
	v_add3_u32 v4, v68, v4, 0x7fff
; %bb.91:
	s_and_not1_saveexec_b32 s3, s3
; %bb.92:
	v_and_b32_e32 v4, 0xffff, v68
	v_or_b32_e32 v5, 0x10000, v68
	s_delay_alu instid0(VALU_DEP_2) | instskip(NEXT) | instid1(VALU_DEP_2)
	v_cmp_eq_u32_e32 vcc_lo, 0, v4
	v_cndmask_b32_e32 v4, v5, v68, vcc_lo
; %bb.93:
	s_or_b32 exec_lo, exec_lo, s3
	v_and_b32_e32 v5, 0x7f800000, v69
	s_delay_alu instid0(VALU_DEP_1) | instskip(SKIP_1) | instid1(SALU_CYCLE_1)
	v_cmp_ne_u32_e32 vcc_lo, 0x7f800000, v5
                                        ; implicit-def: $vgpr5
	s_and_saveexec_b32 s3, vcc_lo
	s_xor_b32 s3, exec_lo, s3
; %bb.94:
	v_bfe_u32 v5, v69, 16, 1
	s_delay_alu instid0(VALU_DEP_1)
	v_add3_u32 v5, v69, v5, 0x7fff
; %bb.95:
	s_and_not1_saveexec_b32 s3, s3
; %bb.96:
	v_and_b32_e32 v5, 0xffff, v69
	v_or_b32_e32 v6, 0x10000, v69
	s_delay_alu instid0(VALU_DEP_2) | instskip(NEXT) | instid1(VALU_DEP_2)
	v_cmp_eq_u32_e32 vcc_lo, 0, v5
	v_cndmask_b32_e32 v5, v6, v69, vcc_lo
; %bb.97:
	s_or_b32 exec_lo, exec_lo, s3
	v_and_b32_e32 v6, 0x7f800000, v70
	s_delay_alu instid0(VALU_DEP_1) | instskip(SKIP_1) | instid1(SALU_CYCLE_1)
	v_cmp_ne_u32_e32 vcc_lo, 0x7f800000, v6
                                        ; implicit-def: $vgpr6
	s_and_saveexec_b32 s3, vcc_lo
	s_xor_b32 s3, exec_lo, s3
; %bb.98:
	v_bfe_u32 v6, v70, 16, 1
	s_delay_alu instid0(VALU_DEP_1)
	v_add3_u32 v6, v70, v6, 0x7fff
; %bb.99:
	s_and_not1_saveexec_b32 s3, s3
; %bb.100:
	v_and_b32_e32 v6, 0xffff, v70
	v_or_b32_e32 v7, 0x10000, v70
	s_delay_alu instid0(VALU_DEP_2) | instskip(NEXT) | instid1(VALU_DEP_2)
	v_cmp_eq_u32_e32 vcc_lo, 0, v6
	v_cndmask_b32_e32 v6, v7, v70, vcc_lo
; %bb.101:
	s_or_b32 exec_lo, exec_lo, s3
	v_and_b32_e32 v7, 0x7f800000, v71
	s_delay_alu instid0(VALU_DEP_1) | instskip(SKIP_1) | instid1(SALU_CYCLE_1)
	v_cmp_ne_u32_e32 vcc_lo, 0x7f800000, v7
                                        ; implicit-def: $vgpr7
	s_and_saveexec_b32 s3, vcc_lo
	s_xor_b32 s3, exec_lo, s3
; %bb.102:
	v_bfe_u32 v7, v71, 16, 1
	s_delay_alu instid0(VALU_DEP_1)
	v_add3_u32 v7, v71, v7, 0x7fff
; %bb.103:
	s_and_not1_saveexec_b32 s3, s3
; %bb.104:
	v_and_b32_e32 v7, 0xffff, v71
	v_or_b32_e32 v8, 0x10000, v71
	s_delay_alu instid0(VALU_DEP_2) | instskip(NEXT) | instid1(VALU_DEP_2)
	v_cmp_eq_u32_e32 vcc_lo, 0, v7
	v_cndmask_b32_e32 v7, v8, v71, vcc_lo
; %bb.105:
	s_or_b32 exec_lo, exec_lo, s3
	v_and_b32_e32 v8, 0x7f800000, v72
	s_delay_alu instid0(VALU_DEP_1) | instskip(SKIP_1) | instid1(SALU_CYCLE_1)
	v_cmp_ne_u32_e32 vcc_lo, 0x7f800000, v8
                                        ; implicit-def: $vgpr8
	s_and_saveexec_b32 s3, vcc_lo
	s_xor_b32 s3, exec_lo, s3
; %bb.106:
	v_bfe_u32 v8, v72, 16, 1
	s_delay_alu instid0(VALU_DEP_1)
	v_add3_u32 v8, v72, v8, 0x7fff
                                        ; implicit-def: $vgpr65_vgpr66_vgpr67_vgpr68_vgpr69_vgpr70_vgpr71_vgpr72
; %bb.107:
	s_and_not1_saveexec_b32 s3, s3
; %bb.108:
	v_and_b32_e32 v8, 0xffff, v72
	v_or_b32_e32 v9, 0x10000, v72
	s_delay_alu instid0(VALU_DEP_2) | instskip(NEXT) | instid1(VALU_DEP_2)
	v_cmp_eq_u32_e32 vcc_lo, 0, v8
	v_cndmask_b32_e32 v8, v9, v72, vcc_lo
; %bb.109:
	s_or_b32 exec_lo, exec_lo, s3
	s_delay_alu instid0(VALU_DEP_1)
	v_perm_b32 v7, v8, v7, 0x7060302
	v_perm_b32 v6, v6, v5, 0x7060302
	;; [unrolled: 1-line block ×4, first 2 shown]
	s_barrier
	buffer_gl0_inv
	v_cmp_eq_u32_e32 vcc_lo, 1, v78
	ds_store_b128 v76, v[4:7]
	s_waitcnt lgkmcnt(0)
	s_barrier
	buffer_gl0_inv
	ds_load_b128 v[1:4], v82
	ds_load_b128 v[5:8], v82 offset:16
	v_cmp_eq_u32_e64 s3, 1, v79
	v_cmp_eq_u32_e64 s4, 2, v78
	;; [unrolled: 1-line block ×5, first 2 shown]
	s_waitcnt lgkmcnt(1)
	v_lshrrev_b32_e32 v9, 16, v1
	s_waitcnt lgkmcnt(0)
	v_lshrrev_b32_e32 v13, 16, v5
	v_lshrrev_b32_e32 v10, 16, v2
	;; [unrolled: 1-line block ×4, first 2 shown]
	v_cndmask_b32_e64 v19, v1, v9, s3
	v_cndmask_b32_e32 v18, v5, v13, vcc_lo
	v_cndmask_b32_e64 v20, v5, v13, s3
	v_cndmask_b32_e32 v17, v1, v9, vcc_lo
	v_cmp_eq_u32_e32 vcc_lo, 2, v79
	v_lshrrev_b32_e32 v15, 16, v7
	v_cmp_eq_u32_e64 s3, 1, v77
	v_lshrrev_b32_e32 v12, 16, v4
	v_lshrrev_b32_e32 v16, 16, v8
	v_cndmask_b32_e32 v20, v20, v6, vcc_lo
	v_cndmask_b32_e64 v17, v17, v2, s4
	v_cndmask_b32_e32 v19, v19, v2, vcc_lo
	v_cndmask_b32_e64 v18, v18, v6, s4
	v_cmp_eq_u32_e32 vcc_lo, 4, v78
	v_cmp_eq_u32_e64 s4, 3, v79
	v_cndmask_b32_e64 v17, v17, v10, s5
	v_cndmask_b32_e64 v21, v1, v9, s3
	;; [unrolled: 1-line block ×5, first 2 shown]
	v_cndmask_b32_e32 v17, v17, v3, vcc_lo
	v_cndmask_b32_e64 v20, v20, v14, s4
	v_cndmask_b32_e32 v18, v18, v7, vcc_lo
	v_cmp_eq_u32_e32 vcc_lo, 4, v79
	v_cmp_eq_u32_e64 s4, 5, v79
	v_cmp_eq_u32_e64 s3, 2, v81
	v_cndmask_b32_e64 v21, v21, v2, s7
	v_cmp_eq_u32_e64 s5, 5, v78
	v_cndmask_b32_e32 v19, v19, v3, vcc_lo
	v_cndmask_b32_e32 v20, v20, v7, vcc_lo
	v_cmp_eq_u32_e32 vcc_lo, 6, v79
	s_delay_alu instid0(VALU_DEP_4) | instskip(NEXT) | instid1(VALU_DEP_4)
	v_cndmask_b32_e64 v17, v17, v11, s5
	v_cndmask_b32_e64 v19, v19, v11, s4
	s_delay_alu instid0(VALU_DEP_4) | instskip(SKIP_1) | instid1(VALU_DEP_3)
	v_cndmask_b32_e64 v20, v20, v15, s4
	v_cmp_eq_u32_e64 s4, 1, v81
	v_cndmask_b32_e32 v19, v19, v4, vcc_lo
	v_cndmask_b32_e64 v18, v18, v15, s5
	s_delay_alu instid0(VALU_DEP_3)
	v_cndmask_b32_e64 v1, v1, v9, s4
	v_cndmask_b32_e64 v5, v5, v13, s4
	v_cmp_eq_u32_e64 s4, 3, v77
	v_cndmask_b32_e64 v13, v22, v6, s7
	v_cmp_eq_u32_e64 s7, 3, v81
	v_cndmask_b32_e64 v1, v1, v2, s3
	v_cndmask_b32_e64 v2, v5, v6, s3
	;; [unrolled: 1-line block ×3, first 2 shown]
	v_cmp_eq_u32_e64 s3, 4, v77
	v_cndmask_b32_e64 v6, v13, v14, s4
	v_cndmask_b32_e64 v1, v1, v10, s7
	v_cmp_eq_u32_e64 s4, 4, v81
	v_cndmask_b32_e64 v2, v2, v14, s7
	v_cndmask_b32_e64 v5, v9, v3, s3
	v_cmp_eq_u32_e64 s7, 5, v77
	v_cndmask_b32_e64 v6, v6, v7, s3
	v_cndmask_b32_e64 v1, v1, v3, s4
	v_cndmask_b32_e64 v2, v2, v7, s4
	v_cmp_eq_u32_e64 s3, 5, v81
	v_cndmask_b32_e64 v5, v5, v11, s7
	v_cndmask_b32_e64 v3, v6, v15, s7
	v_cmp_eq_u32_e64 s7, 6, v81
	v_cmp_eq_u32_e64 s5, 6, v78
	v_cndmask_b32_e64 v1, v1, v11, s3
	v_cndmask_b32_e64 v2, v2, v15, s3
	v_cmp_eq_u32_e64 s4, 6, v77
	v_cmp_eq_u32_e64 s3, 7, v81
	v_cndmask_b32_e64 v17, v17, v4, s5
	v_cndmask_b32_e64 v1, v1, v4, s7
	;; [unrolled: 1-line block ×4, first 2 shown]
	v_cmp_eq_u32_e64 s5, 7, v78
	v_cndmask_b32_e64 v5, v5, v4, s4
	v_cndmask_b32_e64 v3, v3, v8, s4
	v_cmp_eq_u32_e64 s4, 7, v77
	v_cndmask_b32_e32 v4, v20, v8, vcc_lo
	v_cndmask_b32_e64 v1, v1, v12, s3
	v_cndmask_b32_e64 v2, v2, v16, s3
	v_cmp_lt_u32_e32 vcc_lo, 31, v0
	v_cmp_lt_u32_e64 s3, 7, v73
	v_cndmask_b32_e64 v17, v17, v12, s5
	v_cndmask_b32_e64 v19, v19, v12, s6
	;; [unrolled: 1-line block ×6, first 2 shown]
	s_or_b32 s3, vcc_lo, s3
	v_perm_b32 v4, v2, v1, 0x5040100
	v_perm_b32 v3, v3, v5, 0x5040100
	v_perm_b32 v2, v6, v19, 0x5040100
	v_perm_b32 v1, v7, v17, 0x5040100
	s_or_b32 s2, s2, s3
	s_delay_alu instid0(SALU_CYCLE_1)
	s_xor_b32 s2, s2, -1
	ds_store_b128 v76, v[1:4]
	s_waitcnt lgkmcnt(0)
	s_barrier
	buffer_gl0_inv
	s_and_saveexec_b32 s3, s2
	s_cbranch_execz .LBB1710_2
; %bb.110:
	s_load_b64 s[0:1], s[0:1], 0x68
	v_lshlrev_b32_e32 v1, 10, v0
	v_and_b32_e32 v0, 1, v0
	v_lshlrev_b32_e32 v2, 6, v75
	s_lshl_b32 s4, s36, 6
	s_delay_alu instid0(VALU_DEP_3) | instskip(NEXT) | instid1(VALU_DEP_3)
	v_and_b32_e32 v1, 0x3800, v1
	v_lshlrev_b32_e32 v0, 4, v0
	s_mul_i32 s2, s4, s34
	s_delay_alu instid0(SALU_CYCLE_1) | instskip(NEXT) | instid1(VALU_DEP_1)
	s_mul_i32 s2, s2, s37
	v_or3_b32 v0, v1, v2, v0
	s_ashr_i32 s3, s2, 31
	s_delay_alu instid0(SALU_CYCLE_1)
	s_lshl_b64 s[2:3], s[2:3], 1
	ds_load_b128 v[0:3], v0
	s_waitcnt lgkmcnt(0)
	s_add_u32 s5, s0, s2
	s_addc_u32 s3, s1, s3
	s_lshl_b32 s0, s14, 6
	s_mul_i32 s2, s4, s15
	s_ashr_i32 s1, s0, 31
	s_delay_alu instid0(SALU_CYCLE_1) | instskip(NEXT) | instid1(SALU_CYCLE_1)
	s_lshl_b64 s[0:1], s[0:1], 1
	s_add_u32 s4, s5, s0
	s_addc_u32 s5, s3, s1
	s_ashr_i32 s3, s2, 31
	s_delay_alu instid0(SALU_CYCLE_1) | instskip(NEXT) | instid1(SALU_CYCLE_1)
	s_lshl_b64 s[0:1], s[2:3], 1
	s_add_u32 s0, s4, s0
	s_addc_u32 s1, s5, s1
	global_store_b128 v74, v[0:3], s[0:1]
	s_nop 0
	s_sendmsg sendmsg(MSG_DEALLOC_VGPRS)
	s_endpgm
	.section	.rodata,"a",@progbits
	.p2align	6, 0x0
	.amdhsa_kernel _Z39paged_attention_ll4mi_QKV_mfma16_kernelI14__hip_bfloat16hLN4vllm18Fp8KVCacheDataTypeE1ES0_Li16ELi64ELi256ELb1ELi1EL8MFMAType0EEvPKT_PKT0_S9_ifPKiSB_SB_iPKfiiiPfSE_PS4_PT2_iSD_SD_
		.amdhsa_group_segment_fixed_size 17472
		.amdhsa_private_segment_fixed_size 0
		.amdhsa_kernarg_size 400
		.amdhsa_user_sgpr_count 13
		.amdhsa_user_sgpr_dispatch_ptr 0
		.amdhsa_user_sgpr_queue_ptr 0
		.amdhsa_user_sgpr_kernarg_segment_ptr 1
		.amdhsa_user_sgpr_dispatch_id 0
		.amdhsa_user_sgpr_private_segment_size 0
		.amdhsa_wavefront_size32 1
		.amdhsa_uses_dynamic_stack 0
		.amdhsa_enable_private_segment 0
		.amdhsa_system_sgpr_workgroup_id_x 1
		.amdhsa_system_sgpr_workgroup_id_y 1
		.amdhsa_system_sgpr_workgroup_id_z 1
		.amdhsa_system_sgpr_workgroup_info 0
		.amdhsa_system_vgpr_workitem_id 0
		.amdhsa_next_free_vgpr 131
		.amdhsa_next_free_sgpr 48
		.amdhsa_reserve_vcc 1
		.amdhsa_float_round_mode_32 0
		.amdhsa_float_round_mode_16_64 0
		.amdhsa_float_denorm_mode_32 3
		.amdhsa_float_denorm_mode_16_64 3
		.amdhsa_dx10_clamp 1
		.amdhsa_ieee_mode 1
		.amdhsa_fp16_overflow 0
		.amdhsa_workgroup_processor_mode 1
		.amdhsa_memory_ordered 1
		.amdhsa_forward_progress 0
		.amdhsa_shared_vgpr_count 0
		.amdhsa_exception_fp_ieee_invalid_op 0
		.amdhsa_exception_fp_denorm_src 0
		.amdhsa_exception_fp_ieee_div_zero 0
		.amdhsa_exception_fp_ieee_overflow 0
		.amdhsa_exception_fp_ieee_underflow 0
		.amdhsa_exception_fp_ieee_inexact 0
		.amdhsa_exception_int_div_zero 0
	.end_amdhsa_kernel
	.section	.text._Z39paged_attention_ll4mi_QKV_mfma16_kernelI14__hip_bfloat16hLN4vllm18Fp8KVCacheDataTypeE1ES0_Li16ELi64ELi256ELb1ELi1EL8MFMAType0EEvPKT_PKT0_S9_ifPKiSB_SB_iPKfiiiPfSE_PS4_PT2_iSD_SD_,"axG",@progbits,_Z39paged_attention_ll4mi_QKV_mfma16_kernelI14__hip_bfloat16hLN4vllm18Fp8KVCacheDataTypeE1ES0_Li16ELi64ELi256ELb1ELi1EL8MFMAType0EEvPKT_PKT0_S9_ifPKiSB_SB_iPKfiiiPfSE_PS4_PT2_iSD_SD_,comdat
.Lfunc_end1710:
	.size	_Z39paged_attention_ll4mi_QKV_mfma16_kernelI14__hip_bfloat16hLN4vllm18Fp8KVCacheDataTypeE1ES0_Li16ELi64ELi256ELb1ELi1EL8MFMAType0EEvPKT_PKT0_S9_ifPKiSB_SB_iPKfiiiPfSE_PS4_PT2_iSD_SD_, .Lfunc_end1710-_Z39paged_attention_ll4mi_QKV_mfma16_kernelI14__hip_bfloat16hLN4vllm18Fp8KVCacheDataTypeE1ES0_Li16ELi64ELi256ELb1ELi1EL8MFMAType0EEvPKT_PKT0_S9_ifPKiSB_SB_iPKfiiiPfSE_PS4_PT2_iSD_SD_
                                        ; -- End function
	.section	.AMDGPU.csdata,"",@progbits
; Kernel info:
; codeLenInByte = 8416
; NumSgprs: 50
; NumVgprs: 131
; ScratchSize: 0
; MemoryBound: 1
; FloatMode: 240
; IeeeMode: 1
; LDSByteSize: 17472 bytes/workgroup (compile time only)
; SGPRBlocks: 6
; VGPRBlocks: 16
; NumSGPRsForWavesPerEU: 50
; NumVGPRsForWavesPerEU: 131
; Occupancy: 10
; WaveLimiterHint : 1
; COMPUTE_PGM_RSRC2:SCRATCH_EN: 0
; COMPUTE_PGM_RSRC2:USER_SGPR: 13
; COMPUTE_PGM_RSRC2:TRAP_HANDLER: 0
; COMPUTE_PGM_RSRC2:TGID_X_EN: 1
; COMPUTE_PGM_RSRC2:TGID_Y_EN: 1
; COMPUTE_PGM_RSRC2:TGID_Z_EN: 1
; COMPUTE_PGM_RSRC2:TIDIG_COMP_CNT: 0
	.section	.text._Z39paged_attention_ll4mi_QKV_mfma16_kernelI14__hip_bfloat16hLN4vllm18Fp8KVCacheDataTypeE1ES0_Li16ELi64ELi256ELb1ELi2EL8MFMAType0EEvPKT_PKT0_S9_ifPKiSB_SB_iPKfiiiPfSE_PS4_PT2_iSD_SD_,"axG",@progbits,_Z39paged_attention_ll4mi_QKV_mfma16_kernelI14__hip_bfloat16hLN4vllm18Fp8KVCacheDataTypeE1ES0_Li16ELi64ELi256ELb1ELi2EL8MFMAType0EEvPKT_PKT0_S9_ifPKiSB_SB_iPKfiiiPfSE_PS4_PT2_iSD_SD_,comdat
	.protected	_Z39paged_attention_ll4mi_QKV_mfma16_kernelI14__hip_bfloat16hLN4vllm18Fp8KVCacheDataTypeE1ES0_Li16ELi64ELi256ELb1ELi2EL8MFMAType0EEvPKT_PKT0_S9_ifPKiSB_SB_iPKfiiiPfSE_PS4_PT2_iSD_SD_ ; -- Begin function _Z39paged_attention_ll4mi_QKV_mfma16_kernelI14__hip_bfloat16hLN4vllm18Fp8KVCacheDataTypeE1ES0_Li16ELi64ELi256ELb1ELi2EL8MFMAType0EEvPKT_PKT0_S9_ifPKiSB_SB_iPKfiiiPfSE_PS4_PT2_iSD_SD_
	.globl	_Z39paged_attention_ll4mi_QKV_mfma16_kernelI14__hip_bfloat16hLN4vllm18Fp8KVCacheDataTypeE1ES0_Li16ELi64ELi256ELb1ELi2EL8MFMAType0EEvPKT_PKT0_S9_ifPKiSB_SB_iPKfiiiPfSE_PS4_PT2_iSD_SD_
	.p2align	8
	.type	_Z39paged_attention_ll4mi_QKV_mfma16_kernelI14__hip_bfloat16hLN4vllm18Fp8KVCacheDataTypeE1ES0_Li16ELi64ELi256ELb1ELi2EL8MFMAType0EEvPKT_PKT0_S9_ifPKiSB_SB_iPKfiiiPfSE_PS4_PT2_iSD_SD_,@function
_Z39paged_attention_ll4mi_QKV_mfma16_kernelI14__hip_bfloat16hLN4vllm18Fp8KVCacheDataTypeE1ES0_Li16ELi64ELi256ELb1ELi2EL8MFMAType0EEvPKT_PKT0_S9_ifPKiSB_SB_iPKfiiiPfSE_PS4_PT2_iSD_SD_: ; @_Z39paged_attention_ll4mi_QKV_mfma16_kernelI14__hip_bfloat16hLN4vllm18Fp8KVCacheDataTypeE1ES0_Li16ELi64ELi256ELb1ELi2EL8MFMAType0EEvPKT_PKT0_S9_ifPKiSB_SB_iPKfiiiPfSE_PS4_PT2_iSD_SD_
; %bb.0:
	s_load_b64 s[2:3], s[0:1], 0x30
	s_mov_b32 s30, s13
	s_waitcnt lgkmcnt(0)
	s_cmp_lg_u64 s[2:3], 0
	s_cselect_b32 s8, -1, 0
	s_ashr_i32 s31, s13, 31
	s_cmp_eq_u64 s[2:3], 0
	s_cbranch_scc1 .LBB1711_3
; %bb.1:
	s_lshl_b64 s[4:5], s[30:31], 2
	s_delay_alu instid0(SALU_CYCLE_1) | instskip(SKIP_4) | instid1(SALU_CYCLE_1)
	s_add_u32 s4, s2, s4
	s_addc_u32 s5, s3, s5
	s_load_b64 s[4:5], s[4:5], 0x0
	s_waitcnt lgkmcnt(0)
	s_sub_i32 s4, s5, s4
	s_cmp_eq_u32 s4, 1
	s_cselect_b32 s4, -1, 0
	s_delay_alu instid0(SALU_CYCLE_1)
	s_and_not1_b32 vcc_lo, exec_lo, s4
	s_cbranch_vccz .LBB1711_4
.LBB1711_2:
	s_endpgm
.LBB1711_3:
.LBB1711_4:
	s_load_b64 s[4:5], s[0:1], 0x28
	s_lshl_b64 s[6:7], s[30:31], 2
	s_waitcnt lgkmcnt(0)
	s_add_u32 s4, s4, s6
	s_addc_u32 s5, s5, s7
	s_lshl_b32 s12, s14, 8
	s_load_b32 s24, s[4:5], 0x0
	s_waitcnt lgkmcnt(0)
	s_cmp_ge_i32 s12, s24
	s_cbranch_scc1 .LBB1711_2
; %bb.5:
	s_clause 0x1
	s_load_b128 s[20:23], s[0:1], 0x8
	s_load_b64 s[4:5], s[0:1], 0x20
	s_and_not1_b32 vcc_lo, exec_lo, s8
	s_cbranch_vccnz .LBB1711_7
; %bb.6:
	s_add_u32 s2, s2, s6
	s_addc_u32 s3, s3, s7
	s_load_b32 s3, s[2:3], 0x0
	s_branch .LBB1711_8
.LBB1711_7:
	s_mov_b32 s3, s30
.LBB1711_8:
	s_load_b128 s[16:19], s[0:1], 0x48
	v_and_b32_e32 v66, 15, v0
	v_bfe_u32 v65, v0, 4, 1
	s_lshl_b32 s31, s15, 1
	v_cmp_gt_u32_e32 vcc_lo, 32, v0
	v_and_b32_e32 v68, 31, v0
	v_lshlrev_b32_e32 v1, 3, v66
	v_cmp_gt_u32_e64 s2, 8, v66
	v_and_b32_e32 v76, 1, v0
	v_or_b32_e32 v75, s31, v65
	v_lshlrev_b32_e32 v74, 6, v65
	v_lshlrev_b32_e32 v73, 1, v1
	s_and_b32 s29, vcc_lo, s2
	s_delay_alu instid0(SALU_CYCLE_1)
	s_and_saveexec_b32 s2, s29
	s_cbranch_execz .LBB1711_10
; %bb.9:
	s_load_b64 s[6:7], s[0:1], 0x0
	v_lshlrev_b32_e32 v1, 6, v75
	s_waitcnt lgkmcnt(0)
	s_mul_hi_i32 s9, s3, s16
	s_mul_i32 s8, s3, s16
	v_lshlrev_b32_e32 v5, 10, v66
	s_lshl_b64 s[8:9], s[8:9], 1
	v_ashrrev_i32_e32 v2, 31, v1
	v_lshlrev_b32_e32 v6, 10, v76
	s_delay_alu instid0(VALU_DEP_3) | instskip(NEXT) | instid1(VALU_DEP_3)
	v_and_b32_e32 v5, 0x3800, v5
	v_lshlrev_b64 v[1:2], 1, v[1:2]
	s_delay_alu instid0(VALU_DEP_2) | instskip(SKIP_2) | instid1(VALU_DEP_2)
	v_or3_b32 v5, v5, v6, v74
	s_add_u32 s3, s6, s8
	s_addc_u32 s6, s7, s9
	v_add_co_u32 v1, vcc_lo, s3, v1
	s_delay_alu instid0(VALU_DEP_3) | instskip(NEXT) | instid1(VALU_DEP_2)
	v_add_co_ci_u32_e32 v2, vcc_lo, s6, v2, vcc_lo
	v_add_co_u32 v1, vcc_lo, v1, v73
	s_delay_alu instid0(VALU_DEP_2)
	v_add_co_ci_u32_e32 v2, vcc_lo, 0, v2, vcc_lo
	global_load_b128 v[1:4], v[1:2], off
	s_waitcnt vmcnt(0)
	ds_store_b128 v5, v[1:4]
.LBB1711_10:
	s_or_b32 exec_lo, exec_lo, s2
	v_and_b32_e32 v1, 0xef, v0
	s_add_i32 s2, s24, 15
	s_waitcnt lgkmcnt(0)
	s_clause 0x1
	s_load_b32 s3, s[0:1], 0x38
	s_load_b32 s19, s[0:1], 0x1c
	s_ashr_i32 s6, s2, 31
	v_add_nc_u32_e32 v1, s12, v1
	s_lshr_b32 s6, s6, 28
	s_waitcnt lgkmcnt(0)
	s_add_i32 s2, s2, s6
	s_barrier
	v_ashrrev_i32_e32 v2, 31, v1
	v_or_b32_e32 v3, 16, v1
	s_ashr_i32 s2, s2, 4
	v_cmp_gt_i32_e32 vcc_lo, s24, v1
	s_add_i32 s2, s2, -1
	v_lshrrev_b32_e32 v2, 28, v2
	buffer_gl0_inv
	s_mul_i32 s27, s15, s18
	v_lshrrev_b32_e32 v67, 5, v0
	v_lshlrev_b32_e32 v71, 6, v76
	v_add_nc_u32_e32 v4, v1, v2
	s_mul_i32 s6, s30, s3
	s_delay_alu instid0(SALU_CYCLE_1) | instskip(NEXT) | instid1(VALU_DEP_1)
	s_ashr_i32 s7, s6, 31
	v_ashrrev_i32_e32 v4, 4, v4
	v_add_nc_u32_e32 v2, v3, v2
	s_lshl_b64 s[6:7], s[6:7], 2
	s_delay_alu instid0(SALU_CYCLE_1) | instskip(NEXT) | instid1(VALU_DEP_2)
	s_add_u32 s26, s4, s6
	v_cndmask_b32_e32 v1, s2, v4, vcc_lo
	s_delay_alu instid0(VALU_DEP_2)
	v_ashrrev_i32_e32 v2, 4, v2
	v_cmp_gt_i32_e32 vcc_lo, s24, v3
	s_addc_u32 s25, s5, s7
	s_ashr_i32 s28, s27, 31
	s_add_u32 s3, s20, s27
	s_addc_u32 s13, s21, s28
	v_cndmask_b32_e32 v3, s2, v2, vcc_lo
	v_ashrrev_i32_e32 v2, 31, v1
	s_lshl_b32 s4, s14, 4
	s_delay_alu instid0(SALU_CYCLE_1) | instskip(NEXT) | instid1(VALU_DEP_2)
	s_ashr_i32 s5, s4, 31
	v_ashrrev_i32_e32 v4, 31, v3
	s_delay_alu instid0(VALU_DEP_2) | instskip(SKIP_1) | instid1(SALU_CYCLE_1)
	v_lshlrev_b64 v[1:2], 2, v[1:2]
	s_lshl_b64 s[4:5], s[4:5], 2
	s_add_u32 s4, s26, s4
	s_delay_alu instid0(VALU_DEP_2) | instskip(SKIP_1) | instid1(VALU_DEP_2)
	v_lshlrev_b64 v[3:4], 2, v[3:4]
	s_addc_u32 s5, s25, s5
	v_add_co_u32 v1, vcc_lo, s26, v1
	v_add_co_ci_u32_e32 v2, vcc_lo, s25, v2, vcc_lo
	s_delay_alu instid0(VALU_DEP_3) | instskip(NEXT) | instid1(VALU_DEP_4)
	v_add_co_u32 v3, vcc_lo, s26, v3
	v_add_co_ci_u32_e32 v4, vcc_lo, s25, v4, vcc_lo
	s_clause 0x1
	global_load_b32 v5, v[1:2], off
	global_load_b32 v7, v[3:4], off
	s_or_b32 s6, s12, 32
	v_lshlrev_b32_e32 v1, 4, v0
	s_ashr_i32 s7, s6, 4
	s_cmp_lt_i32 s6, s24
	s_cselect_b32 s6, s7, s2
	s_delay_alu instid0(VALU_DEP_1) | instskip(SKIP_1) | instid1(SALU_CYCLE_1)
	v_and_b32_e32 v1, 0xf0, v1
	s_ashr_i32 s7, s6, 31
	s_lshl_b64 s[6:7], s[6:7], 2
	s_delay_alu instid0(SALU_CYCLE_1)
	s_add_u32 s6, s26, s6
	s_addc_u32 s7, s25, s7
	s_or_b32 s8, s12, 64
	v_add_co_u32 v1, s3, s3, v1
	s_ashr_i32 s9, s8, 4
	s_cmp_lt_i32 s8, s24
	v_add_co_ci_u32_e64 v2, null, s13, 0, s3
	s_cselect_b32 s8, s9, s2
	s_delay_alu instid0(SALU_CYCLE_1) | instskip(NEXT) | instid1(SALU_CYCLE_1)
	s_ashr_i32 s9, s8, 31
	s_lshl_b64 s[8:9], s[8:9], 2
	s_delay_alu instid0(SALU_CYCLE_1) | instskip(SKIP_2) | instid1(SALU_CYCLE_1)
	s_add_u32 s8, s26, s8
	s_addc_u32 s9, s25, s9
	s_or_b32 s10, s12, 0x60
	s_ashr_i32 s11, s10, 4
	s_cmp_lt_i32 s10, s24
	s_cselect_b32 s10, s11, s2
	s_delay_alu instid0(SALU_CYCLE_1) | instskip(NEXT) | instid1(SALU_CYCLE_1)
	s_ashr_i32 s11, s10, 31
	s_lshl_b64 s[10:11], s[10:11], 2
	s_delay_alu instid0(SALU_CYCLE_1) | instskip(SKIP_2) | instid1(SALU_CYCLE_1)
	s_add_u32 s10, s26, s10
	s_addc_u32 s11, s25, s11
	s_or_b32 s15, s12, 0x80
	s_ashr_i32 s16, s15, 4
	s_cmp_lt_i32 s15, s24
	;; [unrolled: 10-line block ×3, first 2 shown]
	s_cselect_b32 s20, s16, s2
	s_delay_alu instid0(SALU_CYCLE_1) | instskip(NEXT) | instid1(SALU_CYCLE_1)
	s_ashr_i32 s21, s20, 31
	s_lshl_b64 s[20:21], s[20:21], 2
	s_delay_alu instid0(SALU_CYCLE_1)
	s_add_u32 s36, s26, s20
	s_addc_u32 s37, s25, s21
	s_clause 0x5
	s_load_b32 s20, s[4:5], 0x0
	s_load_b32 s3, s[6:7], 0x0
	;; [unrolled: 1-line block ×6, first 2 shown]
	s_or_b32 s6, s12, 0xc0
	s_mov_b32 s4, 0
	s_ashr_i32 s7, s6, 4
	s_cmp_lt_i32 s6, s24
	s_mov_b32 s5, s4
	s_cselect_b32 s10, s7, s2
	s_mov_b32 s6, s4
	s_ashr_i32 s11, s10, 31
	s_mov_b32 s7, s4
	s_lshl_b64 s[10:11], s[10:11], 2
	s_mov_b32 s8, s4
	s_add_u32 s34, s26, s10
	s_addc_u32 s35, s25, s11
	s_or_b32 s11, s12, 0xe0
	s_mov_b32 s9, s4
	s_ashr_i32 s21, s11, 4
	s_cmp_lt_i32 s11, s24
	s_mov_b32 s11, s4
	s_cselect_b32 s36, s21, s2
	s_mov_b32 s10, s4
	s_ashr_i32 s37, s36, 31
	v_mov_b32_e32 v108, s11
	v_dual_mov_b32 v102, s5 :: v_dual_mov_b32 v107, s10
	v_dual_mov_b32 v106, s9 :: v_dual_mov_b32 v105, s8
	;; [unrolled: 1-line block ×3, first 2 shown]
	v_mov_b32_e32 v101, s4
	s_lshl_b64 s[4:5], s[36:37], 2
	s_delay_alu instid0(SALU_CYCLE_1)
	s_add_u32 s4, s26, s4
	s_addc_u32 s5, s25, s5
	s_add_u32 s6, s22, s27
	s_addc_u32 s7, s23, s28
	s_waitcnt vmcnt(1)
	v_mad_i64_i32 v[3:4], null, v5, s17, v[1:2]
	s_waitcnt vmcnt(0)
	v_mad_i64_i32 v[5:6], null, v7, s17, v[1:2]
	v_lshlrev_b32_e32 v1, 4, v66
	s_clause 0x7
	global_load_b128 v[49:52], v[3:4], off
	global_load_b128 v[53:56], v[3:4], off offset:256
	global_load_b128 v[77:80], v[5:6], off
	global_load_b128 v[81:84], v[5:6], off offset:256
	global_load_b128 v[85:88], v[3:4], off offset:512
	;; [unrolled: 1-line block ×5, first 2 shown]
	v_lshl_or_b32 v1, v67, 8, v1
	s_load_b32 s2, s[34:35], 0x0
	ds_load_b128 v[109:112], v71
	ds_load_b128 v[113:116], v71 offset:1024
	s_load_b32 s4, s[4:5], 0x0
	v_add_co_u32 v9, s6, s6, v1
	s_delay_alu instid0(VALU_DEP_1) | instskip(SKIP_1) | instid1(VALU_DEP_1)
	v_add_co_ci_u32_e64 v10, null, s7, 0, s6
	s_waitcnt lgkmcnt(0)
	v_mad_i64_i32 v[1:2], null, s20, s17, v[9:10]
	v_mad_i64_i32 v[3:4], null, s3, s17, v[9:10]
	;; [unrolled: 1-line block ×7, first 2 shown]
	s_clause 0x9
	global_load_b128 v[57:60], v[1:2], off
	global_load_b128 v[61:64], v[1:2], off offset:16
	global_load_b128 v[41:44], v[3:4], off
	global_load_b128 v[45:48], v[3:4], off offset:16
	;; [unrolled: 2-line block ×5, first 2 shown]
	v_mad_i64_i32 v[69:70], null, s4, s17, v[9:10]
	s_clause 0x3
	global_load_b128 v[9:12], v[13:14], off
	global_load_b128 v[13:16], v[13:14], off offset:16
	global_load_b128 v[17:20], v[21:22], off
	global_load_b128 v[21:24], v[21:22], off offset:16
	s_waitcnt vmcnt(20)
	v_wmma_f32_16x16x16_bf16 v[117:124], v[49:56], v[109:116], v[101:108]
	s_clause 0x1
	global_load_b128 v[49:52], v[69:70], off
	global_load_b128 v[53:56], v[69:70], off offset:16
	s_waitcnt vmcnt(20)
	v_wmma_f32_16x16x16_bf16 v[101:108], v[77:84], v[109:116], v[101:108]
	ds_load_b128 v[77:80], v71 offset:2048
	ds_load_b128 v[81:84], v71 offset:3072
	v_mbcnt_lo_u32_b32 v70, -1, 0
	s_waitcnt vmcnt(0) lgkmcnt(0)
	s_barrier
	buffer_gl0_inv
	v_xor_b32_e32 v71, 16, v70
	s_delay_alu instid0(VALU_DEP_1) | instskip(SKIP_4) | instid1(VALU_DEP_2)
	v_cmp_gt_i32_e32 vcc_lo, 32, v71
	v_cndmask_b32_e32 v70, v70, v71, vcc_lo
	v_wmma_f32_16x16x16_bf16 v[101:108], v[93:100], v[77:84], v[101:108]
	v_and_b32_e32 v69, 0xe0, v0
	v_wmma_f32_16x16x16_bf16 v[117:124], v[85:92], v[77:84], v[117:124]
	v_dual_mul_f32 v98, s19, v106 :: v_dual_add_nc_u32 v69, s12, v69
	s_delay_alu instid0(VALU_DEP_4) | instskip(NEXT) | instid1(VALU_DEP_3)
	v_mul_f32_e32 v96, s19, v108
	v_dual_mul_f32 v94, s19, v118 :: v_dual_mul_f32 v95, s19, v117
	s_delay_alu instid0(VALU_DEP_4) | instskip(NEXT) | instid1(VALU_DEP_4)
	v_mul_f32_e32 v84, s19, v120
	v_or_b32_e32 v69, v69, v65
	v_dual_mul_f32 v93, s19, v119 :: v_dual_mul_f32 v82, s19, v122
	v_dual_mul_f32 v83, s19, v121 :: v_dual_mul_f32 v80, s19, v124
	s_delay_alu instid0(VALU_DEP_3)
	v_or_b32_e32 v71, 2, v69
	v_or_b32_e32 v72, 4, v69
	;; [unrolled: 1-line block ×3, first 2 shown]
	v_cmp_gt_i32_e64 s2, s24, v69
	v_or_b32_e32 v110, 8, v69
	v_cmp_gt_i32_e32 vcc_lo, s24, v71
	v_or_b32_e32 v85, 10, v69
	v_cmp_gt_i32_e64 s3, s24, v72
	v_cndmask_b32_e64 v95, 0xff7fffff, v95, s2
	v_cmp_gt_i32_e64 s4, s24, v109
	v_cndmask_b32_e32 v94, 0xff7fffff, v94, vcc_lo
	v_or_b32_e32 v86, 12, v69
	v_or_b32_e32 v87, 14, v69
	v_mul_f32_e32 v72, s19, v101
	v_cndmask_b32_e64 v93, 0xff7fffff, v93, s3
	v_cndmask_b32_e64 v84, 0xff7fffff, v84, s4
	v_max3_f32 v94, v95, 0xff7fffff, v94
	v_cmp_gt_i32_e64 s5, s24, v110
	v_cmp_gt_i32_e64 s6, s24, v85
	v_or_b32_e32 v88, 16, v69
	v_or_b32_e32 v89, 18, v69
	v_dual_mul_f32 v81, s19, v123 :: v_dual_mul_f32 v100, s19, v104
	v_cndmask_b32_e64 v83, 0xff7fffff, v83, s5
	v_cndmask_b32_e64 v82, 0xff7fffff, v82, s6
	v_max3_f32 v84, v94, v93, v84
	v_cmp_gt_i32_e64 s7, s24, v86
	v_cmp_gt_i32_e64 s8, s24, v87
	v_or_b32_e32 v90, 20, v69
	v_or_b32_e32 v91, 22, v69
	;; [unrolled: 1-line block ×6, first 2 shown]
	v_mul_f32_e32 v69, s19, v102
	v_cndmask_b32_e64 v81, 0xff7fffff, v81, s7
	v_cndmask_b32_e64 v80, 0xff7fffff, v80, s8
	v_max3_f32 v82, v84, v83, v82
	v_cmp_gt_i32_e64 s9, s24, v88
	v_cmp_gt_i32_e64 s10, s24, v89
	v_mul_f32_e32 v71, s19, v103
	v_cmp_gt_i32_e64 s11, s24, v90
	v_max3_f32 v80, v82, v81, v80
	v_cndmask_b32_e64 v72, 0xff7fffff, v72, s9
	v_cndmask_b32_e64 v69, 0xff7fffff, v69, s10
	v_cmp_gt_i32_e64 s12, s24, v91
	v_mul_f32_e32 v99, s19, v105
	v_cndmask_b32_e64 v71, 0xff7fffff, v71, s11
	v_cmp_gt_i32_e64 s13, s24, v92
	v_max3_f32 v69, v80, v72, v69
	v_cndmask_b32_e64 v81, 0xff7fffff, v100, s12
	v_cmp_gt_i32_e64 s15, s24, v77
	v_mul_f32_e32 v97, s19, v107
	v_cndmask_b32_e64 v72, 0xff7fffff, v99, s13
	v_cmp_gt_i32_e64 s16, s24, v78
	v_max3_f32 v69, v69, v71, v81
	v_cndmask_b32_e64 v77, 0xff7fffff, v98, s15
	v_cmp_gt_i32_e64 s17, s24, v79
	v_lshlrev_b32_e32 v91, 2, v70
	v_cndmask_b32_e64 v71, 0xff7fffff, v97, s16
	s_delay_alu instid0(VALU_DEP_4) | instskip(NEXT) | instid1(VALU_DEP_4)
	v_max3_f32 v69, v69, v72, v77
	v_cndmask_b32_e64 v78, 0xff7fffff, v96, s17
	s_delay_alu instid0(VALU_DEP_1) | instskip(SKIP_3) | instid1(VALU_DEP_1)
	v_max3_f32 v69, v69, v71, v78
	ds_bpermute_b32 v70, v91, v69
	s_waitcnt lgkmcnt(0)
	v_max_f32_e32 v70, v70, v70
	v_max_f32_e32 v69, v69, v70
	s_delay_alu instid0(VALU_DEP_1) | instskip(SKIP_4) | instid1(VALU_DEP_4)
	v_fma_f32 v70, s19, v117, -v69
	v_fma_f32 v71, s19, v118, -v69
	;; [unrolled: 1-line block ×5, first 2 shown]
	v_dual_mul_f32 v70, 0x3fb8aa3b, v70 :: v_dual_mul_f32 v71, 0x3fb8aa3b, v71
	s_delay_alu instid0(VALU_DEP_3) | instskip(NEXT) | instid1(VALU_DEP_3)
	v_dual_mul_f32 v72, 0x3fb8aa3b, v72 :: v_dual_mul_f32 v77, 0x3fb8aa3b, v77
	v_mul_f32_e32 v78, 0x3fb8aa3b, v78
	s_delay_alu instid0(VALU_DEP_3) | instskip(NEXT) | instid1(VALU_DEP_3)
	v_exp_f32_e32 v70, v70
	v_exp_f32_e32 v71, v71
	s_delay_alu instid0(VALU_DEP_2)
	v_exp_f32_e32 v72, v72
	v_exp_f32_e32 v79, v77
	v_exp_f32_e32 v78, v78
	v_cndmask_b32_e64 v81, 0, v70, s2
	v_fma_f32 v70, s19, v122, -v69
	v_cndmask_b32_e32 v77, 0, v71, vcc_lo
	s_delay_alu instid0(TRANS32_DEP_3)
	v_cndmask_b32_e64 v85, 0, v72, s3
	s_waitcnt_depctr 0xfff
	v_cndmask_b32_e64 v87, 0, v79, s4
	v_dual_add_f32 v71, 0, v81 :: v_dual_mul_f32 v70, 0x3fb8aa3b, v70
	v_cndmask_b32_e64 v88, 0, v78, s5
	s_mov_b32 s2, exec_lo
	s_delay_alu instid0(VALU_DEP_2) | instskip(NEXT) | instid1(VALU_DEP_3)
	v_add_f32_e32 v71, v71, v77
	v_exp_f32_e32 v70, v70
	s_delay_alu instid0(VALU_DEP_1) | instskip(NEXT) | instid1(VALU_DEP_1)
	v_add_f32_e32 v71, v71, v85
	v_add_f32_e32 v71, v71, v87
	s_waitcnt_depctr 0xfff
	v_cndmask_b32_e64 v89, 0, v70, s6
	v_add_f32_e32 v70, v71, v88
	s_delay_alu instid0(VALU_DEP_1)
	v_add_f32_e32 v70, v70, v89
	v_fma_f32 v80, s19, v123, -v69
	v_fma_f32 v72, s19, v124, -v69
	;; [unrolled: 1-line block ×5, first 2 shown]
	v_mul_f32_e32 v80, 0x3fb8aa3b, v80
	s_delay_alu instid0(VALU_DEP_4) | instskip(NEXT) | instid1(VALU_DEP_3)
	v_dual_mul_f32 v72, 0x3fb8aa3b, v72 :: v_dual_mul_f32 v79, 0x3fb8aa3b, v79
	v_dual_mul_f32 v78, 0x3fb8aa3b, v78 :: v_dual_mul_f32 v71, 0x3fb8aa3b, v71
	s_delay_alu instid0(VALU_DEP_3) | instskip(NEXT) | instid1(VALU_DEP_2)
	v_exp_f32_e32 v80, v80
	v_exp_f32_e32 v72, v72
	s_delay_alu instid0(VALU_DEP_2) | instskip(NEXT) | instid1(VALU_DEP_1)
	v_exp_f32_e32 v79, v79
	v_exp_f32_e32 v78, v78
	;; [unrolled: 1-line block ×3, first 2 shown]
	v_fma_f32 v83, s19, v106, -v69
	v_cndmask_b32_e64 v86, 0, v80, s7
	v_fma_f32 v80, s19, v104, -v69
	v_cndmask_b32_e64 v90, 0, v72, s8
	v_fma_f32 v72, s19, v105, -v69
	s_delay_alu instid0(TRANS32_DEP_3) | instskip(SKIP_2) | instid1(VALU_DEP_2)
	v_cndmask_b32_e64 v71, 0, v79, s9
	v_add_f32_e32 v70, v70, v86
	v_dual_mul_f32 v80, 0x3fb8aa3b, v80 :: v_dual_mul_f32 v83, 0x3fb8aa3b, v83
	v_dual_mul_f32 v72, 0x3fb8aa3b, v72 :: v_dual_add_f32 v79, v70, v90
	s_delay_alu instid0(VALU_DEP_2) | instskip(SKIP_1) | instid1(VALU_DEP_2)
	v_exp_f32_e32 v80, v80
	v_cndmask_b32_e64 v70, 0, v78, s10
	v_exp_f32_e32 v84, v72
	v_cndmask_b32_e64 v72, 0, v82, s11
	v_add_f32_e32 v78, v79, v71
	v_fma_f32 v79, s19, v107, -v69
	v_exp_f32_e32 v83, v83
	s_delay_alu instid0(VALU_DEP_1) | instskip(NEXT) | instid1(TRANS32_DEP_3)
	v_dual_add_f32 v82, v78, v70 :: v_dual_mul_f32 v79, 0x3fb8aa3b, v79
	v_cndmask_b32_e64 v78, 0, v80, s12
	s_delay_alu instid0(VALU_DEP_2) | instskip(SKIP_1) | instid1(VALU_DEP_4)
	v_add_f32_e32 v80, v82, v72
	v_fma_f32 v82, s19, v108, -v69
	v_exp_f32_e32 v92, v79
	v_cndmask_b32_e64 v79, 0, v84, s13
	s_delay_alu instid0(VALU_DEP_3) | instskip(NEXT) | instid1(VALU_DEP_3)
	v_add_f32_e32 v84, v80, v78
	v_mul_f32_e32 v82, 0x3fb8aa3b, v82
	s_delay_alu instid0(TRANS32_DEP_2) | instskip(NEXT) | instid1(VALU_DEP_3)
	v_cndmask_b32_e64 v80, 0, v83, s15
	v_add_f32_e32 v83, v84, v79
	s_delay_alu instid0(VALU_DEP_3) | instskip(NEXT) | instid1(TRANS32_DEP_2)
	v_exp_f32_e32 v84, v82
	v_cndmask_b32_e64 v82, 0, v92, s16
	s_delay_alu instid0(VALU_DEP_2) | instskip(NEXT) | instid1(VALU_DEP_1)
	v_add_f32_e32 v83, v83, v80
	v_add_f32_e32 v92, v83, v82
	s_waitcnt_depctr 0xfff
	v_cndmask_b32_e64 v83, 0, v84, s17
	s_delay_alu instid0(VALU_DEP_1)
	v_add_f32_e32 v84, v92, v83
	ds_bpermute_b32 v91, v91, v84
	v_cmpx_gt_u32_e32 16, v68
	s_cbranch_execz .LBB1711_12
; %bb.11:
	v_mul_u32_u24_e32 v68, 0x44, v67
	s_waitcnt lgkmcnt(0)
	v_add_f32_e32 v84, v84, v91
	s_delay_alu instid0(VALU_DEP_2) | instskip(NEXT) | instid1(VALU_DEP_1)
	v_lshl_add_u32 v68, v66, 2, v68
	v_add_nc_u32_e32 v68, 0x4000, v68
	ds_store_2addr_b32 v68, v69, v84 offset1:136
.LBB1711_12:
	s_or_b32 exec_lo, exec_lo, s2
	v_lshlrev_b32_e32 v68, 2, v66
	s_waitcnt lgkmcnt(0)
	s_barrier
	buffer_gl0_inv
	v_cmp_eq_u32_e32 vcc_lo, 1, v67
	v_add_nc_u32_e32 v84, 0x4000, v68
	v_cmp_eq_u32_e64 s2, 2, v67
	v_cmp_eq_u32_e64 s4, 7, v67
	ds_load_2addr_b32 v[91:92], v84 offset1:17
	ds_load_2addr_b32 v[93:94], v84 offset0:34 offset1:51
	ds_load_2addr_b32 v[95:96], v84 offset0:68 offset1:85
	;; [unrolled: 1-line block ×4, first 2 shown]
	s_waitcnt lgkmcnt(4)
	v_max3_f32 v68, v91, 0xff7fffff, v92
	s_waitcnt lgkmcnt(3)
	s_delay_alu instid0(VALU_DEP_1) | instskip(SKIP_1) | instid1(VALU_DEP_1)
	v_max3_f32 v68, v68, v93, v94
	s_waitcnt lgkmcnt(2)
	v_max3_f32 v68, v68, v95, v96
	s_waitcnt lgkmcnt(1)
	s_delay_alu instid0(VALU_DEP_1) | instskip(NEXT) | instid1(VALU_DEP_1)
	v_max3_f32 v68, v68, v97, v98
	v_sub_f32_e32 v69, v91, v68
	v_sub_f32_e32 v93, v93, v68
	;; [unrolled: 1-line block ×3, first 2 shown]
	s_delay_alu instid0(VALU_DEP_3) | instskip(NEXT) | instid1(VALU_DEP_3)
	v_mul_f32_e32 v69, 0x3fb8aa3b, v69
	v_mul_f32_e32 v103, 0x3fb8aa3b, v93
	s_delay_alu instid0(VALU_DEP_3) | instskip(NEXT) | instid1(VALU_DEP_3)
	v_mul_f32_e32 v105, 0x3fb8aa3b, v95
	v_exp_f32_e32 v102, v69
	v_sub_f32_e32 v69, v94, v68
	v_sub_f32_e32 v101, v92, v68
	ds_load_2addr_b32 v[91:92], v84 offset0:170 offset1:187
	v_exp_f32_e32 v103, v103
	v_mul_f32_e32 v104, 0x3fb8aa3b, v69
	v_mul_f32_e32 v101, 0x3fb8aa3b, v101
	s_waitcnt lgkmcnt(1)
	v_fma_f32 v69, v102, v99, 0
	v_sub_f32_e32 v99, v96, v68
	s_delay_alu instid0(VALU_DEP_3) | instskip(SKIP_4) | instid1(VALU_DEP_1)
	v_exp_f32_e32 v101, v101
	v_exp_f32_e32 v104, v104
	s_waitcnt_depctr 0xfff
	v_fmac_f32_e32 v69, v101, v100
	s_waitcnt lgkmcnt(0)
	v_fmac_f32_e32 v69, v103, v91
	ds_load_2addr_b32 v[93:94], v84 offset0:204 offset1:221
	ds_load_2addr_b32 v[95:96], v84 offset0:238 offset1:255
	v_dual_sub_f32 v84, v97, v68 :: v_dual_mul_f32 v97, 0x3fb8aa3b, v99
	v_exp_f32_e32 v99, v105
	v_sub_f32_e32 v91, v98, v68
	v_fmac_f32_e32 v69, v104, v92
	s_delay_alu instid0(VALU_DEP_3)
	v_mul_f32_e32 v84, 0x3fb8aa3b, v84
	v_exp_f32_e32 v97, v97
	s_waitcnt lgkmcnt(0)
	v_mul_f32_e32 v91, 0x3fb8aa3b, v91
	s_barrier
	v_exp_f32_e32 v84, v84
	buffer_gl0_inv
	v_exp_f32_e32 v91, v91
	v_fmac_f32_e32 v69, v99, v93
	s_delay_alu instid0(VALU_DEP_1) | instskip(NEXT) | instid1(VALU_DEP_1)
	v_fmac_f32_e32 v69, v97, v94
	v_fmac_f32_e32 v69, v84, v95
	s_waitcnt_depctr 0xfff
	v_fmac_f32_e32 v69, v91, v96
	s_delay_alu instid0(VALU_DEP_1) | instskip(NEXT) | instid1(VALU_DEP_1)
	v_add_f32_e32 v92, 0x358637bd, v69
	v_div_scale_f32 v93, null, v92, v92, 1.0
	v_div_scale_f32 v96, s3, 1.0, v92, 1.0
	s_delay_alu instid0(VALU_DEP_2) | instskip(SKIP_2) | instid1(VALU_DEP_1)
	v_rcp_f32_e32 v94, v93
	s_waitcnt_depctr 0xfff
	v_fma_f32 v95, -v93, v94, 1.0
	v_dual_fmac_f32 v94, v95, v94 :: v_dual_cndmask_b32 v95, v102, v101
	v_cmp_eq_u32_e32 vcc_lo, 3, v67
	s_delay_alu instid0(VALU_DEP_2) | instskip(NEXT) | instid1(VALU_DEP_3)
	v_mul_f32_e32 v98, v96, v94
	v_cndmask_b32_e64 v95, v95, v103, s2
	v_cmp_eq_u32_e64 s2, 4, v67
	s_delay_alu instid0(VALU_DEP_3) | instskip(NEXT) | instid1(VALU_DEP_3)
	v_fma_f32 v100, -v93, v98, v96
	v_cndmask_b32_e32 v95, v95, v104, vcc_lo
	v_cmp_eq_u32_e32 vcc_lo, 5, v67
	s_delay_alu instid0(VALU_DEP_3) | instskip(NEXT) | instid1(VALU_DEP_3)
	v_fmac_f32_e32 v98, v100, v94
	v_cndmask_b32_e64 v95, v95, v99, s2
	v_cmp_eq_u32_e64 s2, 6, v67
	s_delay_alu instid0(VALU_DEP_3) | instskip(NEXT) | instid1(VALU_DEP_3)
	v_fma_f32 v93, -v93, v98, v96
	v_cndmask_b32_e32 v95, v95, v97, vcc_lo
	s_mov_b32 vcc_lo, s3
	s_delay_alu instid0(VALU_DEP_2) | instskip(NEXT) | instid1(VALU_DEP_2)
	v_div_fmas_f32 v93, v93, v94, v98
	v_cndmask_b32_e64 v84, v95, v84, s2
	s_mov_b32 s2, exec_lo
	s_delay_alu instid0(VALU_DEP_2) | instskip(NEXT) | instid1(VALU_DEP_2)
	v_div_fixup_f32 v92, v93, v92, 1.0
	v_cndmask_b32_e64 v84, v84, v91, s4
	s_delay_alu instid0(VALU_DEP_1) | instskip(NEXT) | instid1(VALU_DEP_1)
	v_mul_f32_e32 v84, v84, v92
	v_mul_f32_e32 v92, v84, v81
	;; [unrolled: 1-line block ×6, first 2 shown]
	v_and_b32_e32 v93, 0x7f800000, v92
	v_mul_f32_e32 v91, v84, v87
	v_mul_f32_e32 v88, v84, v85
	;; [unrolled: 1-line block ×3, first 2 shown]
                                        ; implicit-def: $vgpr77
	s_delay_alu instid0(VALU_DEP_4)
	v_cmpx_ne_u32_e32 0x7f800000, v93
	s_xor_b32 s2, exec_lo, s2
; %bb.13:
	v_bfe_u32 v77, v92, 16, 1
	s_delay_alu instid0(VALU_DEP_1)
	v_add3_u32 v77, v92, v77, 0x7fff
                                        ; implicit-def: $vgpr92
; %bb.14:
	s_and_not1_saveexec_b32 s2, s2
; %bb.15:
	v_and_b32_e32 v77, 0xffff, v92
	v_or_b32_e32 v85, 0x10000, v92
	s_delay_alu instid0(VALU_DEP_2) | instskip(NEXT) | instid1(VALU_DEP_2)
	v_cmp_eq_u32_e32 vcc_lo, 0, v77
	v_cndmask_b32_e32 v77, v85, v92, vcc_lo
; %bb.16:
	s_or_b32 exec_lo, exec_lo, s2
	v_and_b32_e32 v85, 0x7f800000, v87
	s_delay_alu instid0(VALU_DEP_1) | instskip(SKIP_1) | instid1(SALU_CYCLE_1)
	v_cmp_ne_u32_e32 vcc_lo, 0x7f800000, v85
                                        ; implicit-def: $vgpr85
	s_and_saveexec_b32 s2, vcc_lo
	s_xor_b32 s2, exec_lo, s2
; %bb.17:
	v_bfe_u32 v85, v87, 16, 1
	s_delay_alu instid0(VALU_DEP_1)
	v_add3_u32 v85, v87, v85, 0x7fff
                                        ; implicit-def: $vgpr87
; %bb.18:
	s_and_not1_saveexec_b32 s2, s2
; %bb.19:
	v_and_b32_e32 v85, 0xffff, v87
	v_or_b32_e32 v92, 0x10000, v87
	s_delay_alu instid0(VALU_DEP_2) | instskip(NEXT) | instid1(VALU_DEP_2)
	v_cmp_eq_u32_e32 vcc_lo, 0, v85
	v_cndmask_b32_e32 v85, v92, v87, vcc_lo
; %bb.20:
	s_or_b32 exec_lo, exec_lo, s2
	v_and_b32_e32 v87, 0x7f800000, v88
	s_delay_alu instid0(VALU_DEP_1) | instskip(SKIP_1) | instid1(SALU_CYCLE_1)
	v_cmp_ne_u32_e32 vcc_lo, 0x7f800000, v87
                                        ; implicit-def: $vgpr87
	s_and_saveexec_b32 s2, vcc_lo
	s_xor_b32 s2, exec_lo, s2
; %bb.21:
	v_bfe_u32 v87, v88, 16, 1
	s_delay_alu instid0(VALU_DEP_1)
	v_add3_u32 v87, v88, v87, 0x7fff
                                        ; implicit-def: $vgpr88
; %bb.22:
	s_and_not1_saveexec_b32 s2, s2
; %bb.23:
	v_and_b32_e32 v87, 0xffff, v88
	v_or_b32_e32 v92, 0x10000, v88
	s_delay_alu instid0(VALU_DEP_2) | instskip(NEXT) | instid1(VALU_DEP_2)
	v_cmp_eq_u32_e32 vcc_lo, 0, v87
	v_cndmask_b32_e32 v87, v92, v88, vcc_lo
; %bb.24:
	s_or_b32 exec_lo, exec_lo, s2
	v_and_b32_e32 v88, 0x7f800000, v91
	s_delay_alu instid0(VALU_DEP_1) | instskip(SKIP_1) | instid1(SALU_CYCLE_1)
	v_cmp_ne_u32_e32 vcc_lo, 0x7f800000, v88
                                        ; implicit-def: $vgpr88
	s_and_saveexec_b32 s2, vcc_lo
	s_xor_b32 s2, exec_lo, s2
; %bb.25:
	v_bfe_u32 v88, v91, 16, 1
	s_delay_alu instid0(VALU_DEP_1)
	v_add3_u32 v88, v91, v88, 0x7fff
                                        ; implicit-def: $vgpr91
; %bb.26:
	s_and_not1_saveexec_b32 s2, s2
; %bb.27:
	v_and_b32_e32 v88, 0xffff, v91
	v_or_b32_e32 v92, 0x10000, v91
	s_delay_alu instid0(VALU_DEP_2) | instskip(NEXT) | instid1(VALU_DEP_2)
	v_cmp_eq_u32_e32 vcc_lo, 0, v88
	v_cndmask_b32_e32 v88, v92, v91, vcc_lo
; %bb.28:
	s_or_b32 exec_lo, exec_lo, s2
	v_and_b32_e32 v91, 0x7f800000, v90
	s_delay_alu instid0(VALU_DEP_1) | instskip(SKIP_1) | instid1(SALU_CYCLE_1)
	v_cmp_ne_u32_e32 vcc_lo, 0x7f800000, v91
                                        ; implicit-def: $vgpr91
	s_and_saveexec_b32 s2, vcc_lo
	s_xor_b32 s2, exec_lo, s2
; %bb.29:
	v_bfe_u32 v91, v90, 16, 1
	s_delay_alu instid0(VALU_DEP_1)
	v_add3_u32 v91, v90, v91, 0x7fff
                                        ; implicit-def: $vgpr90
; %bb.30:
	s_and_not1_saveexec_b32 s2, s2
; %bb.31:
	v_and_b32_e32 v91, 0xffff, v90
	v_or_b32_e32 v92, 0x10000, v90
	s_delay_alu instid0(VALU_DEP_2) | instskip(NEXT) | instid1(VALU_DEP_2)
	v_cmp_eq_u32_e32 vcc_lo, 0, v91
	v_cndmask_b32_e32 v91, v92, v90, vcc_lo
; %bb.32:
	s_or_b32 exec_lo, exec_lo, s2
	v_and_b32_e32 v90, 0x7f800000, v89
	s_delay_alu instid0(VALU_DEP_1) | instskip(SKIP_1) | instid1(SALU_CYCLE_1)
	v_cmp_ne_u32_e32 vcc_lo, 0x7f800000, v90
                                        ; implicit-def: $vgpr90
	s_and_saveexec_b32 s2, vcc_lo
	s_xor_b32 s2, exec_lo, s2
; %bb.33:
	v_bfe_u32 v90, v89, 16, 1
	s_delay_alu instid0(VALU_DEP_1)
	v_add3_u32 v90, v89, v90, 0x7fff
                                        ; implicit-def: $vgpr89
; %bb.34:
	s_and_not1_saveexec_b32 s2, s2
; %bb.35:
	v_and_b32_e32 v90, 0xffff, v89
	v_or_b32_e32 v92, 0x10000, v89
	s_delay_alu instid0(VALU_DEP_2) | instskip(NEXT) | instid1(VALU_DEP_2)
	v_cmp_eq_u32_e32 vcc_lo, 0, v90
	v_cndmask_b32_e32 v90, v92, v89, vcc_lo
; %bb.36:
	s_or_b32 exec_lo, exec_lo, s2
	v_and_b32_e32 v89, 0x7f800000, v86
	s_delay_alu instid0(VALU_DEP_1) | instskip(SKIP_1) | instid1(SALU_CYCLE_1)
	v_cmp_ne_u32_e32 vcc_lo, 0x7f800000, v89
                                        ; implicit-def: $vgpr89
	s_and_saveexec_b32 s2, vcc_lo
	s_xor_b32 s2, exec_lo, s2
; %bb.37:
	v_bfe_u32 v89, v86, 16, 1
	s_delay_alu instid0(VALU_DEP_1)
	v_add3_u32 v89, v86, v89, 0x7fff
                                        ; implicit-def: $vgpr86
; %bb.38:
	s_and_not1_saveexec_b32 s2, s2
; %bb.39:
	v_and_b32_e32 v89, 0xffff, v86
	v_or_b32_e32 v92, 0x10000, v86
	s_delay_alu instid0(VALU_DEP_2) | instskip(NEXT) | instid1(VALU_DEP_2)
	v_cmp_eq_u32_e32 vcc_lo, 0, v89
	v_cndmask_b32_e32 v89, v92, v86, vcc_lo
; %bb.40:
	s_or_b32 exec_lo, exec_lo, s2
	v_and_b32_e32 v86, 0x7f800000, v81
	s_delay_alu instid0(VALU_DEP_1) | instskip(SKIP_1) | instid1(SALU_CYCLE_1)
	v_cmp_ne_u32_e32 vcc_lo, 0x7f800000, v86
                                        ; implicit-def: $vgpr86
	s_and_saveexec_b32 s2, vcc_lo
	s_xor_b32 s2, exec_lo, s2
; %bb.41:
	v_bfe_u32 v86, v81, 16, 1
	s_delay_alu instid0(VALU_DEP_1)
	v_add3_u32 v86, v81, v86, 0x7fff
                                        ; implicit-def: $vgpr81
; %bb.42:
	s_and_not1_saveexec_b32 s2, s2
; %bb.43:
	v_and_b32_e32 v86, 0xffff, v81
	v_or_b32_e32 v92, 0x10000, v81
	s_delay_alu instid0(VALU_DEP_2) | instskip(NEXT) | instid1(VALU_DEP_2)
	v_cmp_eq_u32_e32 vcc_lo, 0, v86
	v_cndmask_b32_e32 v86, v92, v81, vcc_lo
; %bb.44:
	s_or_b32 exec_lo, exec_lo, s2
	s_load_b64 s[34:35], s[0:1], 0x94
	v_lshlrev_b32_e32 v93, 4, v65
	s_delay_alu instid0(VALU_DEP_2)
	v_perm_b32 v92, v86, v89, 0x7060302
	v_dual_mul_f32 v80, v84, v80 :: v_dual_lshlrev_b32 v81, 6, v66
	v_lshlrev_b32_e32 v66, 11, v67
	v_perm_b32 v89, v85, v77, 0x7060302
	v_mul_f32_e32 v85, v84, v71
	v_mul_f32_e32 v71, v84, v82
	v_perm_b32 v91, v90, v91, 0x7060302
	v_perm_b32 v90, v88, v87, 0x7060302
	v_or3_b32 v77, v93, v66, v81
	v_mul_f32_e32 v66, v84, v83
	v_dual_mul_f32 v79, v84, v79 :: v_dual_and_b32 v86, 0x7f800000, v85
	v_mul_f32_e32 v83, v84, v78
	v_mul_f32_e32 v82, v84, v72
	;; [unrolled: 1-line block ×3, first 2 shown]
	s_mov_b32 s2, exec_lo
	ds_store_b128 v77, v[89:92]
                                        ; implicit-def: $vgpr70
	v_cmpx_ne_u32_e32 0x7f800000, v86
	s_xor_b32 s2, exec_lo, s2
; %bb.45:
	v_bfe_u32 v70, v85, 16, 1
	s_delay_alu instid0(VALU_DEP_1)
	v_add3_u32 v70, v85, v70, 0x7fff
                                        ; implicit-def: $vgpr85
; %bb.46:
	s_and_not1_saveexec_b32 s2, s2
; %bb.47:
	v_and_b32_e32 v70, 0xffff, v85
	v_or_b32_e32 v72, 0x10000, v85
	s_delay_alu instid0(VALU_DEP_2) | instskip(NEXT) | instid1(VALU_DEP_2)
	v_cmp_eq_u32_e32 vcc_lo, 0, v70
	v_cndmask_b32_e32 v70, v72, v85, vcc_lo
; %bb.48:
	s_or_b32 exec_lo, exec_lo, s2
	v_and_b32_e32 v72, 0x7f800000, v78
	s_delay_alu instid0(VALU_DEP_1) | instskip(SKIP_1) | instid1(SALU_CYCLE_1)
	v_cmp_ne_u32_e32 vcc_lo, 0x7f800000, v72
                                        ; implicit-def: $vgpr72
	s_and_saveexec_b32 s2, vcc_lo
	s_xor_b32 s2, exec_lo, s2
; %bb.49:
	v_bfe_u32 v72, v78, 16, 1
	s_delay_alu instid0(VALU_DEP_1)
	v_add3_u32 v72, v78, v72, 0x7fff
                                        ; implicit-def: $vgpr78
; %bb.50:
	s_and_not1_saveexec_b32 s2, s2
; %bb.51:
	v_and_b32_e32 v72, 0xffff, v78
	v_or_b32_e32 v84, 0x10000, v78
	s_delay_alu instid0(VALU_DEP_2) | instskip(NEXT) | instid1(VALU_DEP_2)
	v_cmp_eq_u32_e32 vcc_lo, 0, v72
	v_cndmask_b32_e32 v72, v84, v78, vcc_lo
; %bb.52:
	s_or_b32 exec_lo, exec_lo, s2
	v_and_b32_e32 v78, 0x7f800000, v82
	s_delay_alu instid0(VALU_DEP_1) | instskip(SKIP_1) | instid1(SALU_CYCLE_1)
	v_cmp_ne_u32_e32 vcc_lo, 0x7f800000, v78
                                        ; implicit-def: $vgpr78
	s_and_saveexec_b32 s2, vcc_lo
	s_xor_b32 s2, exec_lo, s2
; %bb.53:
	v_bfe_u32 v78, v82, 16, 1
	s_delay_alu instid0(VALU_DEP_1)
	v_add3_u32 v78, v82, v78, 0x7fff
                                        ; implicit-def: $vgpr82
; %bb.54:
	s_and_not1_saveexec_b32 s2, s2
; %bb.55:
	v_and_b32_e32 v78, 0xffff, v82
	v_or_b32_e32 v84, 0x10000, v82
	s_delay_alu instid0(VALU_DEP_2) | instskip(NEXT) | instid1(VALU_DEP_2)
	v_cmp_eq_u32_e32 vcc_lo, 0, v78
	v_cndmask_b32_e32 v78, v84, v82, vcc_lo
; %bb.56:
	s_or_b32 exec_lo, exec_lo, s2
	v_and_b32_e32 v82, 0x7f800000, v83
	s_delay_alu instid0(VALU_DEP_1) | instskip(SKIP_1) | instid1(SALU_CYCLE_1)
	v_cmp_ne_u32_e32 vcc_lo, 0x7f800000, v82
                                        ; implicit-def: $vgpr82
	s_and_saveexec_b32 s2, vcc_lo
	s_xor_b32 s2, exec_lo, s2
; %bb.57:
	v_bfe_u32 v82, v83, 16, 1
	s_delay_alu instid0(VALU_DEP_1)
	v_add3_u32 v82, v83, v82, 0x7fff
                                        ; implicit-def: $vgpr83
; %bb.58:
	s_and_not1_saveexec_b32 s2, s2
; %bb.59:
	v_and_b32_e32 v82, 0xffff, v83
	v_or_b32_e32 v84, 0x10000, v83
	s_delay_alu instid0(VALU_DEP_2) | instskip(NEXT) | instid1(VALU_DEP_2)
	v_cmp_eq_u32_e32 vcc_lo, 0, v82
	v_cndmask_b32_e32 v82, v84, v83, vcc_lo
; %bb.60:
	s_or_b32 exec_lo, exec_lo, s2
	v_and_b32_e32 v83, 0x7f800000, v79
	s_delay_alu instid0(VALU_DEP_1) | instskip(SKIP_1) | instid1(SALU_CYCLE_1)
	v_cmp_ne_u32_e32 vcc_lo, 0x7f800000, v83
                                        ; implicit-def: $vgpr83
	s_and_saveexec_b32 s2, vcc_lo
	s_xor_b32 s2, exec_lo, s2
; %bb.61:
	v_bfe_u32 v83, v79, 16, 1
	s_delay_alu instid0(VALU_DEP_1)
	v_add3_u32 v83, v79, v83, 0x7fff
                                        ; implicit-def: $vgpr79
; %bb.62:
	s_and_not1_saveexec_b32 s2, s2
; %bb.63:
	v_and_b32_e32 v83, 0xffff, v79
	v_or_b32_e32 v84, 0x10000, v79
	s_delay_alu instid0(VALU_DEP_2) | instskip(NEXT) | instid1(VALU_DEP_2)
	v_cmp_eq_u32_e32 vcc_lo, 0, v83
	v_cndmask_b32_e32 v83, v84, v79, vcc_lo
; %bb.64:
	s_or_b32 exec_lo, exec_lo, s2
	v_and_b32_e32 v79, 0x7f800000, v80
	s_delay_alu instid0(VALU_DEP_1) | instskip(SKIP_1) | instid1(SALU_CYCLE_1)
	v_cmp_ne_u32_e32 vcc_lo, 0x7f800000, v79
                                        ; implicit-def: $vgpr79
	s_and_saveexec_b32 s2, vcc_lo
	s_xor_b32 s2, exec_lo, s2
; %bb.65:
	v_bfe_u32 v79, v80, 16, 1
	s_delay_alu instid0(VALU_DEP_1)
	v_add3_u32 v79, v80, v79, 0x7fff
                                        ; implicit-def: $vgpr80
; %bb.66:
	s_and_not1_saveexec_b32 s2, s2
; %bb.67:
	v_and_b32_e32 v79, 0xffff, v80
	v_or_b32_e32 v84, 0x10000, v80
	s_delay_alu instid0(VALU_DEP_2) | instskip(NEXT) | instid1(VALU_DEP_2)
	v_cmp_eq_u32_e32 vcc_lo, 0, v79
	v_cndmask_b32_e32 v79, v84, v80, vcc_lo
; %bb.68:
	s_or_b32 exec_lo, exec_lo, s2
	v_and_b32_e32 v80, 0x7f800000, v71
	s_delay_alu instid0(VALU_DEP_1) | instskip(SKIP_1) | instid1(SALU_CYCLE_1)
	v_cmp_ne_u32_e32 vcc_lo, 0x7f800000, v80
                                        ; implicit-def: $vgpr80
	s_and_saveexec_b32 s2, vcc_lo
	s_xor_b32 s2, exec_lo, s2
; %bb.69:
	v_bfe_u32 v80, v71, 16, 1
	s_delay_alu instid0(VALU_DEP_1)
	v_add3_u32 v80, v71, v80, 0x7fff
                                        ; implicit-def: $vgpr71
; %bb.70:
	s_and_not1_saveexec_b32 s2, s2
; %bb.71:
	v_and_b32_e32 v80, 0xffff, v71
	v_or_b32_e32 v84, 0x10000, v71
	s_delay_alu instid0(VALU_DEP_2) | instskip(NEXT) | instid1(VALU_DEP_2)
	v_cmp_eq_u32_e32 vcc_lo, 0, v80
	v_cndmask_b32_e32 v80, v84, v71, vcc_lo
; %bb.72:
	s_or_b32 exec_lo, exec_lo, s2
	v_and_b32_e32 v71, 0x7f800000, v66
	s_delay_alu instid0(VALU_DEP_1) | instskip(SKIP_1) | instid1(SALU_CYCLE_1)
	v_cmp_ne_u32_e32 vcc_lo, 0x7f800000, v71
                                        ; implicit-def: $vgpr71
	s_and_saveexec_b32 s2, vcc_lo
	s_xor_b32 s2, exec_lo, s2
; %bb.73:
	v_bfe_u32 v71, v66, 16, 1
	s_delay_alu instid0(VALU_DEP_1)
	v_add3_u32 v71, v66, v71, 0x7fff
                                        ; implicit-def: $vgpr66
; %bb.74:
	s_and_not1_saveexec_b32 s2, s2
; %bb.75:
	v_and_b32_e32 v71, 0xffff, v66
	v_or_b32_e32 v84, 0x10000, v66
	s_delay_alu instid0(VALU_DEP_2) | instskip(NEXT) | instid1(VALU_DEP_2)
	v_cmp_eq_u32_e32 vcc_lo, 0, v71
	v_cndmask_b32_e32 v71, v84, v66, vcc_lo
; %bb.76:
	s_or_b32 exec_lo, exec_lo, s2
	s_delay_alu instid0(VALU_DEP_1)
	v_perm_b32 v87, v71, v80, 0x7060302
	v_perm_b32 v86, v79, v83, 0x7060302
	;; [unrolled: 1-line block ×4, first 2 shown]
	v_lshl_or_b32 v83, v67, 11, v81
	ds_store_b128 v77, v[84:87] offset:1024
	s_waitcnt lgkmcnt(0)
	s_barrier
	buffer_gl0_inv
	ds_load_b128 v[84:87], v83
	ds_load_b128 v[88:91], v83 offset:16
	s_waitcnt lgkmcnt(1)
	v_lshrrev_b32_e32 v70, 16, v87
	s_waitcnt lgkmcnt(0)
	v_lshrrev_b32_e32 v71, 16, v88
	v_lshlrev_b32_e32 v79, 2, v65
	v_lshrrev_b32_e32 v65, 16, v84
	v_lshrrev_b32_e32 v66, 16, v85
	;; [unrolled: 1-line block ×4, first 2 shown]
	v_cmp_eq_u32_e32 vcc_lo, 1, v79
	v_lshrrev_b32_e32 v100, 16, v90
	v_lshrrev_b32_e32 v101, 16, v91
	v_cndmask_b32_e32 v92, v88, v71, vcc_lo
	v_or_b32_e32 v80, 1, v79
	v_cndmask_b32_e32 v82, v84, v65, vcc_lo
	v_cmp_eq_u32_e64 s3, 2, v79
	v_cmp_eq_u32_e64 s6, 3, v79
	v_cmp_eq_u32_e64 s8, 4, v79
	v_cmp_eq_u32_e64 s2, 1, v80
	v_cmp_eq_u32_e64 s5, 2, v80
	v_cndmask_b32_e64 v82, v82, v85, s3
	v_cndmask_b32_e64 v92, v92, v89, s3
	v_cmp_eq_u32_e64 s7, 3, v80
	v_cndmask_b32_e64 v93, v84, v65, s2
	v_or_b32_e32 v78, 2, v79
	v_cndmask_b32_e64 v82, v82, v66, s6
	v_cndmask_b32_e64 v92, v92, v72, s6
	;; [unrolled: 1-line block ×4, first 2 shown]
	v_cmp_eq_u32_e64 s9, 5, v79
	v_cndmask_b32_e64 v82, v82, v86, s8
	v_cndmask_b32_e64 v92, v92, v90, s8
	v_cmp_eq_u32_e64 s10, 4, v80
	v_cndmask_b32_e64 v93, v93, v66, s7
	v_cmp_eq_u32_e64 s4, 1, v78
	v_cndmask_b32_e64 v94, v94, v89, s5
	v_cndmask_b32_e64 v82, v82, v67, s9
	v_cmp_eq_u32_e64 s11, 6, v79
	v_cndmask_b32_e64 v93, v93, v86, s10
	;; [unrolled: 3-line block ×3, first 2 shown]
	v_cndmask_b32_e64 v94, v94, v72, s7
	v_cndmask_b32_e64 v82, v82, v87, s11
	v_cmp_eq_u32_e64 s13, 7, v79
	v_cndmask_b32_e64 v93, v93, v67, s12
	v_cndmask_b32_e64 v92, v92, v91, s11
	v_cmp_eq_u32_e64 s15, 6, v80
	v_cmp_eq_u32_e64 s16, 2, v78
	v_cndmask_b32_e64 v94, v94, v90, s10
	v_cndmask_b32_e64 v102, v82, v70, s13
	;; [unrolled: 1-line block ×6, first 2 shown]
	v_cmp_eq_u32_e64 s17, 7, v80
	v_cmp_eq_u32_e64 s18, 3, v78
	;; [unrolled: 1-line block ×4, first 2 shown]
	v_cndmask_b32_e64 v92, v92, v89, s16
	v_cndmask_b32_e64 v104, v93, v70, s17
	;; [unrolled: 1-line block ×4, first 2 shown]
	v_or_b32_e32 v82, 3, v79
	v_cndmask_b32_e64 v97, v92, v72, s18
	v_cmp_eq_u32_e64 s23, 6, v78
	v_cndmask_b32_e64 v105, v93, v91, s15
	v_cndmask_b32_e64 v96, v94, v86, s19
	v_cmp_eq_u32_e64 s20, 1, v82
	ds_load_b128 v[92:95], v83 offset:1024
	v_cmp_eq_u32_e64 s22, 2, v82
	v_cmp_eq_u32_e64 s24, 3, v82
	v_cndmask_b32_e64 v106, v96, v67, s21
	v_cndmask_b32_e64 v65, v84, v65, s20
	;; [unrolled: 1-line block ×3, first 2 shown]
	ds_load_b128 v[96:99], v83 offset:1040
	v_cndmask_b32_e64 v71, v88, v71, s20
	v_cmp_eq_u32_e64 s25, 4, v82
	v_cndmask_b32_e64 v65, v65, v85, s22
	v_cmp_eq_u32_e64 s27, 5, v82
	v_cmp_eq_u32_e64 s28, 6, v82
	v_cndmask_b32_e64 v71, v71, v89, s22
	v_cndmask_b32_e64 v84, v84, v100, s21
	;; [unrolled: 1-line block ×4, first 2 shown]
	v_cmp_eq_u32_e64 s26, 7, v78
	v_cndmask_b32_e64 v71, v71, v72, s24
	v_cndmask_b32_e64 v84, v84, v91, s23
	;; [unrolled: 1-line block ×3, first 2 shown]
	s_waitcnt lgkmcnt(1)
	v_lshrrev_b32_e32 v72, 16, v92
	v_lshrrev_b32_e32 v88, 16, v93
	v_cndmask_b32_e64 v71, v71, v90, s25
	v_cndmask_b32_e64 v66, v66, v70, s26
	;; [unrolled: 1-line block ×6, first 2 shown]
	s_waitcnt lgkmcnt(0)
	v_lshrrev_b32_e32 v71, 16, v96
	v_cndmask_b32_e64 v65, v65, v87, s28
	v_cndmask_b32_e64 v87, v89, v93, s5
	v_lshrrev_b32_e32 v100, 16, v98
	v_cndmask_b32_e64 v67, v67, v91, s28
	v_cndmask_b32_e32 v86, v92, v72, vcc_lo
	v_cndmask_b32_e32 v90, v96, v71, vcc_lo
	v_cmp_eq_u32_e32 vcc_lo, 7, v82
	v_cndmask_b32_e64 v87, v87, v88, s7
	v_lshrrev_b32_e32 v91, 16, v94
	v_cndmask_b32_e64 v85, v105, v101, s17
	v_cndmask_b32_e64 v89, v90, v97, s3
	v_cndmask_b32_e32 v67, v67, v101, vcc_lo
	v_cndmask_b32_e64 v86, v86, v93, s3
	v_lshrrev_b32_e32 v90, 16, v97
	v_cndmask_b32_e32 v65, v65, v70, vcc_lo
	v_cndmask_b32_e64 v70, v87, v94, s10
	v_cndmask_b32_e64 v101, v96, v71, s4
	;; [unrolled: 1-line block ×4, first 2 shown]
	v_perm_b32 v87, v67, v65, 0x5040100
	v_cndmask_b32_e64 v65, v70, v91, s12
	v_lshrrev_b32_e32 v70, 16, v95
	v_cndmask_b32_e64 v86, v86, v94, s8
	v_cndmask_b32_e64 v89, v89, v98, s8
	v_perm_b32 v85, v85, v104, 0x5040100
	v_cndmask_b32_e64 v65, v65, v95, s15
	s_delay_alu instid0(VALU_DEP_4) | instskip(NEXT) | instid1(VALU_DEP_4)
	v_cndmask_b32_e64 v86, v86, v91, s9
	v_cndmask_b32_e64 v89, v89, v100, s9
	s_delay_alu instid0(VALU_DEP_3) | instskip(NEXT) | instid1(VALU_DEP_3)
	v_cndmask_b32_e64 v65, v65, v70, s17
	v_cndmask_b32_e64 v67, v86, v95, s11
	v_perm_b32 v86, v84, v66, 0x5040100
	v_lshrrev_b32_e32 v84, 16, v99
	s_delay_alu instid0(VALU_DEP_3)
	v_cndmask_b32_e64 v66, v67, v70, s13
	v_cndmask_b32_e64 v67, v89, v99, s11
	;; [unrolled: 1-line block ×33, first 2 shown]
	v_cndmask_b32_e32 v70, v72, v70, vcc_lo
	v_cndmask_b32_e32 v72, v88, v84, vcc_lo
	v_cndmask_b32_e64 v88, v90, v84, s26
	v_cndmask_b32_e64 v71, v71, v84, s17
	v_perm_b32 v84, v103, v102, 0x5040100
	s_lshl_b32 s7, s35, 1
	v_perm_b32 v91, v72, v70, 0x5040100
	v_perm_b32 v90, v88, v89, 0x5040100
	;; [unrolled: 1-line block ×4, first 2 shown]
	s_mov_b32 s2, exec_lo
	ds_store_b128 v77, v[84:87]
	ds_store_b128 v77, v[88:91] offset:1024
	v_cmpx_gt_u32_e32 2, v0
	s_cbranch_execz .LBB1711_78
; %bb.77:
	v_or_b32_e32 v65, s31, v0
	s_load_b128 s[8:11], s[0:1], 0x58
	s_delay_alu instid0(VALU_DEP_1) | instskip(NEXT) | instid1(VALU_DEP_1)
	v_mad_u64_u32 v[66:67], null, s7, s30, v[65:66]
	v_mad_u64_u32 v[70:71], null, v66, s34, s[14:15]
	s_delay_alu instid0(VALU_DEP_1) | instskip(NEXT) | instid1(VALU_DEP_1)
	v_ashrrev_i32_e32 v71, 31, v70
	v_lshlrev_b64 v[65:66], 2, v[70:71]
	s_waitcnt lgkmcnt(0)
	s_delay_alu instid0(VALU_DEP_1) | instskip(NEXT) | instid1(VALU_DEP_2)
	v_add_co_u32 v70, vcc_lo, s10, v65
	v_add_co_ci_u32_e32 v71, vcc_lo, s11, v66, vcc_lo
	v_add_co_u32 v65, vcc_lo, s8, v65
	v_add_co_ci_u32_e32 v66, vcc_lo, s9, v66, vcc_lo
	global_store_b32 v[70:71], v68, off
	global_store_b32 v[65:66], v69, off
.LBB1711_78:
	s_or_b32 exec_lo, exec_lo, s2
	s_waitcnt lgkmcnt(0)
	s_waitcnt_vscnt null, 0x0
	s_barrier
	buffer_gl0_inv
	ds_load_b128 v[84:87], v81
	ds_load_b128 v[88:91], v81 offset:16
	ds_load_b128 v[96:99], v81 offset:2064
	;; [unrolled: 1-line block ×3, first 2 shown]
	v_mov_b32_e32 v65, 0
	ds_load_b128 v[104:107], v81 offset:4112
	ds_load_b128 v[100:103], v81 offset:4096
	;; [unrolled: 1-line block ×4, first 2 shown]
	v_mov_b32_e32 v66, v65
	v_mov_b32_e32 v67, v65
	v_mov_b32_e32 v68, v65
	v_mov_b32_e32 v69, v65
	v_mov_b32_e32 v70, v65
	v_mov_b32_e32 v71, v65
	v_mov_b32_e32 v72, v65
	s_waitcnt lgkmcnt(6)
	s_delay_alu instid0(VALU_DEP_1)
	v_wmma_f32_16x16x16_bf16 v[65:72], v[57:64], v[84:91], v[65:72]
	ds_load_b128 v[61:64], v81 offset:8208
	ds_load_b128 v[57:60], v81 offset:8192
	s_waitcnt lgkmcnt(6)
	v_wmma_f32_16x16x16_bf16 v[65:72], v[41:48], v[92:99], v[65:72]
	ds_load_b128 v[45:48], v81 offset:10256
	ds_load_b128 v[41:44], v81 offset:10240
	s_waitcnt lgkmcnt(6)
	;; [unrolled: 4-line block ×4, first 2 shown]
	v_wmma_f32_16x16x16_bf16 v[65:72], v[1:8], v[57:64], v[65:72]
	s_waitcnt lgkmcnt(4)
	s_delay_alu instid0(VALU_DEP_1) | instskip(SKIP_1) | instid1(VALU_DEP_1)
	v_wmma_f32_16x16x16_bf16 v[65:72], v[9:16], v[41:48], v[65:72]
	s_waitcnt lgkmcnt(2)
	v_wmma_f32_16x16x16_bf16 v[65:72], v[17:24], v[33:40], v[65:72]
	s_waitcnt lgkmcnt(0)
	s_delay_alu instid0(VALU_DEP_1) | instskip(NEXT) | instid1(VALU_DEP_1)
	v_wmma_f32_16x16x16_bf16 v[65:72], v[49:56], v[25:32], v[65:72]
	v_and_b32_e32 v1, 0x7f800000, v65
	s_delay_alu instid0(VALU_DEP_1) | instskip(SKIP_1) | instid1(SALU_CYCLE_1)
	v_cmp_ne_u32_e32 vcc_lo, 0x7f800000, v1
                                        ; implicit-def: $vgpr1
	s_and_saveexec_b32 s2, vcc_lo
	s_xor_b32 s2, exec_lo, s2
; %bb.79:
	v_bfe_u32 v1, v65, 16, 1
	s_delay_alu instid0(VALU_DEP_1)
	v_add3_u32 v1, v65, v1, 0x7fff
; %bb.80:
	s_and_not1_saveexec_b32 s2, s2
; %bb.81:
	v_and_b32_e32 v1, 0xffff, v65
	v_or_b32_e32 v2, 0x10000, v65
	s_delay_alu instid0(VALU_DEP_2) | instskip(NEXT) | instid1(VALU_DEP_2)
	v_cmp_eq_u32_e32 vcc_lo, 0, v1
	v_cndmask_b32_e32 v1, v2, v65, vcc_lo
; %bb.82:
	s_or_b32 exec_lo, exec_lo, s2
	v_and_b32_e32 v2, 0x7f800000, v66
	s_delay_alu instid0(VALU_DEP_1) | instskip(SKIP_1) | instid1(SALU_CYCLE_1)
	v_cmp_ne_u32_e32 vcc_lo, 0x7f800000, v2
                                        ; implicit-def: $vgpr2
	s_and_saveexec_b32 s2, vcc_lo
	s_xor_b32 s2, exec_lo, s2
; %bb.83:
	v_bfe_u32 v2, v66, 16, 1
	s_delay_alu instid0(VALU_DEP_1)
	v_add3_u32 v2, v66, v2, 0x7fff
; %bb.84:
	s_and_not1_saveexec_b32 s2, s2
; %bb.85:
	v_and_b32_e32 v2, 0xffff, v66
	v_or_b32_e32 v3, 0x10000, v66
	s_delay_alu instid0(VALU_DEP_2) | instskip(NEXT) | instid1(VALU_DEP_2)
	v_cmp_eq_u32_e32 vcc_lo, 0, v2
	v_cndmask_b32_e32 v2, v3, v66, vcc_lo
; %bb.86:
	s_or_b32 exec_lo, exec_lo, s2
	v_and_b32_e32 v3, 0x7f800000, v67
	s_delay_alu instid0(VALU_DEP_1) | instskip(SKIP_1) | instid1(SALU_CYCLE_1)
	v_cmp_ne_u32_e32 vcc_lo, 0x7f800000, v3
                                        ; implicit-def: $vgpr3
	s_and_saveexec_b32 s2, vcc_lo
	s_xor_b32 s2, exec_lo, s2
; %bb.87:
	v_bfe_u32 v3, v67, 16, 1
	s_delay_alu instid0(VALU_DEP_1)
	v_add3_u32 v3, v67, v3, 0x7fff
; %bb.88:
	s_and_not1_saveexec_b32 s2, s2
; %bb.89:
	v_and_b32_e32 v3, 0xffff, v67
	v_or_b32_e32 v4, 0x10000, v67
	s_delay_alu instid0(VALU_DEP_2) | instskip(NEXT) | instid1(VALU_DEP_2)
	v_cmp_eq_u32_e32 vcc_lo, 0, v3
	v_cndmask_b32_e32 v3, v4, v67, vcc_lo
; %bb.90:
	s_or_b32 exec_lo, exec_lo, s2
	v_and_b32_e32 v4, 0x7f800000, v68
	s_delay_alu instid0(VALU_DEP_1) | instskip(SKIP_1) | instid1(SALU_CYCLE_1)
	v_cmp_ne_u32_e32 vcc_lo, 0x7f800000, v4
                                        ; implicit-def: $vgpr4
	s_and_saveexec_b32 s2, vcc_lo
	s_xor_b32 s2, exec_lo, s2
; %bb.91:
	v_bfe_u32 v4, v68, 16, 1
	s_delay_alu instid0(VALU_DEP_1)
	v_add3_u32 v4, v68, v4, 0x7fff
; %bb.92:
	s_and_not1_saveexec_b32 s2, s2
; %bb.93:
	v_and_b32_e32 v4, 0xffff, v68
	v_or_b32_e32 v5, 0x10000, v68
	s_delay_alu instid0(VALU_DEP_2) | instskip(NEXT) | instid1(VALU_DEP_2)
	v_cmp_eq_u32_e32 vcc_lo, 0, v4
	v_cndmask_b32_e32 v4, v5, v68, vcc_lo
; %bb.94:
	s_or_b32 exec_lo, exec_lo, s2
	v_and_b32_e32 v5, 0x7f800000, v69
	s_delay_alu instid0(VALU_DEP_1) | instskip(SKIP_1) | instid1(SALU_CYCLE_1)
	v_cmp_ne_u32_e32 vcc_lo, 0x7f800000, v5
                                        ; implicit-def: $vgpr5
	s_and_saveexec_b32 s2, vcc_lo
	s_xor_b32 s2, exec_lo, s2
; %bb.95:
	v_bfe_u32 v5, v69, 16, 1
	s_delay_alu instid0(VALU_DEP_1)
	v_add3_u32 v5, v69, v5, 0x7fff
; %bb.96:
	s_and_not1_saveexec_b32 s2, s2
; %bb.97:
	v_and_b32_e32 v5, 0xffff, v69
	v_or_b32_e32 v6, 0x10000, v69
	s_delay_alu instid0(VALU_DEP_2) | instskip(NEXT) | instid1(VALU_DEP_2)
	v_cmp_eq_u32_e32 vcc_lo, 0, v5
	v_cndmask_b32_e32 v5, v6, v69, vcc_lo
; %bb.98:
	s_or_b32 exec_lo, exec_lo, s2
	v_and_b32_e32 v6, 0x7f800000, v70
	s_delay_alu instid0(VALU_DEP_1) | instskip(SKIP_1) | instid1(SALU_CYCLE_1)
	v_cmp_ne_u32_e32 vcc_lo, 0x7f800000, v6
                                        ; implicit-def: $vgpr6
	s_and_saveexec_b32 s2, vcc_lo
	s_xor_b32 s2, exec_lo, s2
; %bb.99:
	v_bfe_u32 v6, v70, 16, 1
	s_delay_alu instid0(VALU_DEP_1)
	v_add3_u32 v6, v70, v6, 0x7fff
; %bb.100:
	s_and_not1_saveexec_b32 s2, s2
; %bb.101:
	v_and_b32_e32 v6, 0xffff, v70
	v_or_b32_e32 v7, 0x10000, v70
	s_delay_alu instid0(VALU_DEP_2) | instskip(NEXT) | instid1(VALU_DEP_2)
	v_cmp_eq_u32_e32 vcc_lo, 0, v6
	v_cndmask_b32_e32 v6, v7, v70, vcc_lo
; %bb.102:
	s_or_b32 exec_lo, exec_lo, s2
	v_and_b32_e32 v7, 0x7f800000, v71
	s_delay_alu instid0(VALU_DEP_1) | instskip(SKIP_1) | instid1(SALU_CYCLE_1)
	v_cmp_ne_u32_e32 vcc_lo, 0x7f800000, v7
                                        ; implicit-def: $vgpr7
	s_and_saveexec_b32 s2, vcc_lo
	s_xor_b32 s2, exec_lo, s2
; %bb.103:
	v_bfe_u32 v7, v71, 16, 1
	s_delay_alu instid0(VALU_DEP_1)
	v_add3_u32 v7, v71, v7, 0x7fff
; %bb.104:
	s_and_not1_saveexec_b32 s2, s2
; %bb.105:
	v_and_b32_e32 v7, 0xffff, v71
	v_or_b32_e32 v8, 0x10000, v71
	s_delay_alu instid0(VALU_DEP_2) | instskip(NEXT) | instid1(VALU_DEP_2)
	v_cmp_eq_u32_e32 vcc_lo, 0, v7
	v_cndmask_b32_e32 v7, v8, v71, vcc_lo
; %bb.106:
	s_or_b32 exec_lo, exec_lo, s2
	v_and_b32_e32 v8, 0x7f800000, v72
	s_delay_alu instid0(VALU_DEP_1) | instskip(SKIP_1) | instid1(SALU_CYCLE_1)
	v_cmp_ne_u32_e32 vcc_lo, 0x7f800000, v8
                                        ; implicit-def: $vgpr8
	s_and_saveexec_b32 s2, vcc_lo
	s_xor_b32 s2, exec_lo, s2
; %bb.107:
	v_bfe_u32 v8, v72, 16, 1
	s_delay_alu instid0(VALU_DEP_1)
	v_add3_u32 v8, v72, v8, 0x7fff
                                        ; implicit-def: $vgpr65_vgpr66_vgpr67_vgpr68_vgpr69_vgpr70_vgpr71_vgpr72
; %bb.108:
	s_and_not1_saveexec_b32 s2, s2
; %bb.109:
	v_and_b32_e32 v8, 0xffff, v72
	v_or_b32_e32 v9, 0x10000, v72
	s_delay_alu instid0(VALU_DEP_2) | instskip(NEXT) | instid1(VALU_DEP_2)
	v_cmp_eq_u32_e32 vcc_lo, 0, v8
	v_cndmask_b32_e32 v8, v9, v72, vcc_lo
; %bb.110:
	s_or_b32 exec_lo, exec_lo, s2
	s_delay_alu instid0(VALU_DEP_1)
	v_perm_b32 v7, v8, v7, 0x7060302
	v_perm_b32 v6, v6, v5, 0x7060302
	;; [unrolled: 1-line block ×4, first 2 shown]
	s_barrier
	buffer_gl0_inv
	v_cmp_eq_u32_e32 vcc_lo, 1, v79
	ds_store_b128 v77, v[4:7]
	s_waitcnt lgkmcnt(0)
	s_barrier
	buffer_gl0_inv
	ds_load_b128 v[1:4], v83
	ds_load_b128 v[5:8], v83 offset:16
	v_cmp_eq_u32_e64 s2, 1, v80
	v_cmp_eq_u32_e64 s3, 2, v79
	v_cmp_eq_u32_e64 s4, 3, v79
	v_cmp_eq_u32_e64 s6, 2, v78
	v_cmp_eq_u32_e64 s5, 7, v80
	s_waitcnt lgkmcnt(1)
	v_lshrrev_b32_e32 v9, 16, v1
	s_waitcnt lgkmcnt(0)
	v_lshrrev_b32_e32 v13, 16, v5
	v_lshrrev_b32_e32 v10, 16, v2
	;; [unrolled: 1-line block ×4, first 2 shown]
	v_cndmask_b32_e64 v19, v1, v9, s2
	v_cndmask_b32_e32 v18, v5, v13, vcc_lo
	v_cndmask_b32_e64 v20, v5, v13, s2
	v_cndmask_b32_e32 v17, v1, v9, vcc_lo
	v_cmp_eq_u32_e32 vcc_lo, 2, v80
	v_lshrrev_b32_e32 v15, 16, v7
	v_cmp_eq_u32_e64 s2, 1, v78
	v_lshrrev_b32_e32 v12, 16, v4
	v_lshrrev_b32_e32 v16, 16, v8
	v_cndmask_b32_e32 v20, v20, v6, vcc_lo
	v_cndmask_b32_e64 v17, v17, v2, s3
	v_cndmask_b32_e32 v19, v19, v2, vcc_lo
	v_cndmask_b32_e64 v18, v18, v6, s3
	v_cmp_eq_u32_e32 vcc_lo, 4, v79
	v_cmp_eq_u32_e64 s3, 3, v80
	v_cndmask_b32_e64 v17, v17, v10, s4
	v_cndmask_b32_e64 v21, v1, v9, s2
	v_cndmask_b32_e64 v18, v18, v14, s4
	v_cndmask_b32_e64 v22, v5, v13, s2
	v_cndmask_b32_e64 v19, v19, v10, s3
	v_cndmask_b32_e32 v17, v17, v3, vcc_lo
	v_cndmask_b32_e64 v20, v20, v14, s3
	v_cndmask_b32_e32 v18, v18, v7, vcc_lo
	v_cmp_eq_u32_e32 vcc_lo, 4, v80
	v_cmp_eq_u32_e64 s3, 5, v80
	v_cmp_eq_u32_e64 s2, 2, v82
	v_cndmask_b32_e64 v21, v21, v2, s6
	v_cmp_eq_u32_e64 s4, 5, v79
	v_cndmask_b32_e32 v19, v19, v3, vcc_lo
	v_cndmask_b32_e32 v20, v20, v7, vcc_lo
	v_cmp_eq_u32_e32 vcc_lo, 6, v80
	s_delay_alu instid0(VALU_DEP_4) | instskip(NEXT) | instid1(VALU_DEP_4)
	v_cndmask_b32_e64 v17, v17, v11, s4
	v_cndmask_b32_e64 v19, v19, v11, s3
	s_delay_alu instid0(VALU_DEP_4) | instskip(SKIP_1) | instid1(VALU_DEP_3)
	v_cndmask_b32_e64 v20, v20, v15, s3
	v_cmp_eq_u32_e64 s3, 1, v82
	v_cndmask_b32_e32 v19, v19, v4, vcc_lo
	v_cndmask_b32_e64 v18, v18, v15, s4
	s_delay_alu instid0(VALU_DEP_3)
	v_cndmask_b32_e64 v1, v1, v9, s3
	v_cndmask_b32_e64 v5, v5, v13, s3
	v_cmp_eq_u32_e64 s3, 3, v78
	v_cndmask_b32_e64 v13, v22, v6, s6
	v_cmp_eq_u32_e64 s6, 3, v82
	v_cndmask_b32_e64 v1, v1, v2, s2
	v_cndmask_b32_e64 v2, v5, v6, s2
	;; [unrolled: 1-line block ×3, first 2 shown]
	v_cmp_eq_u32_e64 s2, 4, v78
	v_cndmask_b32_e64 v6, v13, v14, s3
	v_cndmask_b32_e64 v1, v1, v10, s6
	v_cmp_eq_u32_e64 s3, 4, v82
	v_cndmask_b32_e64 v2, v2, v14, s6
	v_cndmask_b32_e64 v5, v9, v3, s2
	;; [unrolled: 3-line block ×3, first 2 shown]
	v_cndmask_b32_e64 v2, v2, v7, s3
	v_cmp_eq_u32_e64 s2, 5, v82
	v_cmp_eq_u32_e64 s4, 6, v79
	v_cndmask_b32_e64 v5, v5, v11, s6
	v_cmp_eq_u32_e64 s3, 6, v78
	v_cndmask_b32_e64 v3, v6, v15, s6
	v_cndmask_b32_e64 v1, v1, v11, s2
	v_cmp_eq_u32_e64 s6, 6, v82
	v_cndmask_b32_e64 v2, v2, v15, s2
	v_cndmask_b32_e64 v17, v17, v4, s4
	v_cndmask_b32_e64 v18, v18, v8, s4
	v_cmp_eq_u32_e64 s4, 7, v79
	v_cndmask_b32_e64 v5, v5, v4, s3
	;; [unrolled: 4-line block ×3, first 2 shown]
	v_cmp_eq_u32_e64 s3, 7, v78
	v_cndmask_b32_e32 v4, v20, v8, vcc_lo
	v_cndmask_b32_e64 v17, v17, v12, s4
	v_cndmask_b32_e64 v19, v19, v12, s5
	v_cndmask_b32_e64 v1, v1, v12, s2
	v_cndmask_b32_e64 v5, v5, v12, s3
	v_cndmask_b32_e64 v2, v2, v16, s2
	v_cndmask_b32_e64 v3, v3, v16, s3
	v_cndmask_b32_e64 v6, v4, v16, s5
	v_cndmask_b32_e64 v7, v18, v16, s4
	s_delay_alu instid0(VALU_DEP_4) | instskip(NEXT) | instid1(VALU_DEP_4)
	v_perm_b32 v4, v2, v1, 0x5040100
	v_perm_b32 v3, v3, v5, 0x5040100
	s_delay_alu instid0(VALU_DEP_4) | instskip(NEXT) | instid1(VALU_DEP_4)
	v_perm_b32 v2, v6, v19, 0x5040100
	v_perm_b32 v1, v7, v17, 0x5040100
	ds_store_b128 v77, v[1:4]
	s_waitcnt lgkmcnt(0)
	s_barrier
	buffer_gl0_inv
	s_and_saveexec_b32 s2, s29
	s_cbranch_execz .LBB1711_2
; %bb.111:
	s_load_b64 s[0:1], s[0:1], 0x68
	v_lshlrev_b32_e32 v0, 10, v0
	s_lshl_b32 s2, s34, 6
	v_lshlrev_b32_e32 v1, 4, v76
	v_mul_lo_u32 v4, s2, v75
	s_mul_i32 s3, s2, s30
	v_and_b32_e32 v0, 0x3800, v0
	s_mul_i32 s2, s3, s7
	s_delay_alu instid0(SALU_CYCLE_1) | instskip(NEXT) | instid1(VALU_DEP_1)
	s_ashr_i32 s3, s2, 31
	v_or3_b32 v0, v0, v74, v1
	s_lshl_b64 s[2:3], s[2:3], 1
	s_delay_alu instid0(VALU_DEP_3)
	v_ashrrev_i32_e32 v5, 31, v4
	ds_load_b128 v[0:3], v0
	v_lshlrev_b64 v[4:5], 1, v[4:5]
	s_waitcnt lgkmcnt(0)
	s_add_u32 s2, s0, s2
	s_addc_u32 s3, s1, s3
	s_lshl_b32 s0, s14, 6
	s_delay_alu instid0(SALU_CYCLE_1) | instskip(NEXT) | instid1(SALU_CYCLE_1)
	s_ashr_i32 s1, s0, 31
	s_lshl_b64 s[0:1], s[0:1], 1
	s_delay_alu instid0(SALU_CYCLE_1) | instskip(SKIP_3) | instid1(VALU_DEP_2)
	s_add_u32 s0, s2, s0
	s_addc_u32 s1, s3, s1
	v_add_co_u32 v4, vcc_lo, s0, v4
	v_add_co_ci_u32_e32 v5, vcc_lo, s1, v5, vcc_lo
	v_add_co_u32 v4, vcc_lo, v4, v73
	s_delay_alu instid0(VALU_DEP_2)
	v_add_co_ci_u32_e32 v5, vcc_lo, 0, v5, vcc_lo
	global_store_b128 v[4:5], v[0:3], off
	s_nop 0
	s_sendmsg sendmsg(MSG_DEALLOC_VGPRS)
	s_endpgm
	.section	.rodata,"a",@progbits
	.p2align	6, 0x0
	.amdhsa_kernel _Z39paged_attention_ll4mi_QKV_mfma16_kernelI14__hip_bfloat16hLN4vllm18Fp8KVCacheDataTypeE1ES0_Li16ELi64ELi256ELb1ELi2EL8MFMAType0EEvPKT_PKT0_S9_ifPKiSB_SB_iPKfiiiPfSE_PS4_PT2_iSD_SD_
		.amdhsa_group_segment_fixed_size 17472
		.amdhsa_private_segment_fixed_size 0
		.amdhsa_kernarg_size 400
		.amdhsa_user_sgpr_count 13
		.amdhsa_user_sgpr_dispatch_ptr 0
		.amdhsa_user_sgpr_queue_ptr 0
		.amdhsa_user_sgpr_kernarg_segment_ptr 1
		.amdhsa_user_sgpr_dispatch_id 0
		.amdhsa_user_sgpr_private_segment_size 0
		.amdhsa_wavefront_size32 1
		.amdhsa_uses_dynamic_stack 0
		.amdhsa_enable_private_segment 0
		.amdhsa_system_sgpr_workgroup_id_x 1
		.amdhsa_system_sgpr_workgroup_id_y 1
		.amdhsa_system_sgpr_workgroup_id_z 1
		.amdhsa_system_sgpr_workgroup_info 0
		.amdhsa_system_vgpr_workitem_id 0
		.amdhsa_next_free_vgpr 125
		.amdhsa_next_free_sgpr 38
		.amdhsa_reserve_vcc 1
		.amdhsa_float_round_mode_32 0
		.amdhsa_float_round_mode_16_64 0
		.amdhsa_float_denorm_mode_32 3
		.amdhsa_float_denorm_mode_16_64 3
		.amdhsa_dx10_clamp 1
		.amdhsa_ieee_mode 1
		.amdhsa_fp16_overflow 0
		.amdhsa_workgroup_processor_mode 1
		.amdhsa_memory_ordered 1
		.amdhsa_forward_progress 0
		.amdhsa_shared_vgpr_count 0
		.amdhsa_exception_fp_ieee_invalid_op 0
		.amdhsa_exception_fp_denorm_src 0
		.amdhsa_exception_fp_ieee_div_zero 0
		.amdhsa_exception_fp_ieee_overflow 0
		.amdhsa_exception_fp_ieee_underflow 0
		.amdhsa_exception_fp_ieee_inexact 0
		.amdhsa_exception_int_div_zero 0
	.end_amdhsa_kernel
	.section	.text._Z39paged_attention_ll4mi_QKV_mfma16_kernelI14__hip_bfloat16hLN4vllm18Fp8KVCacheDataTypeE1ES0_Li16ELi64ELi256ELb1ELi2EL8MFMAType0EEvPKT_PKT0_S9_ifPKiSB_SB_iPKfiiiPfSE_PS4_PT2_iSD_SD_,"axG",@progbits,_Z39paged_attention_ll4mi_QKV_mfma16_kernelI14__hip_bfloat16hLN4vllm18Fp8KVCacheDataTypeE1ES0_Li16ELi64ELi256ELb1ELi2EL8MFMAType0EEvPKT_PKT0_S9_ifPKiSB_SB_iPKfiiiPfSE_PS4_PT2_iSD_SD_,comdat
.Lfunc_end1711:
	.size	_Z39paged_attention_ll4mi_QKV_mfma16_kernelI14__hip_bfloat16hLN4vllm18Fp8KVCacheDataTypeE1ES0_Li16ELi64ELi256ELb1ELi2EL8MFMAType0EEvPKT_PKT0_S9_ifPKiSB_SB_iPKfiiiPfSE_PS4_PT2_iSD_SD_, .Lfunc_end1711-_Z39paged_attention_ll4mi_QKV_mfma16_kernelI14__hip_bfloat16hLN4vllm18Fp8KVCacheDataTypeE1ES0_Li16ELi64ELi256ELb1ELi2EL8MFMAType0EEvPKT_PKT0_S9_ifPKiSB_SB_iPKfiiiPfSE_PS4_PT2_iSD_SD_
                                        ; -- End function
	.section	.AMDGPU.csdata,"",@progbits
; Kernel info:
; codeLenInByte = 8492
; NumSgprs: 40
; NumVgprs: 125
; ScratchSize: 0
; MemoryBound: 0
; FloatMode: 240
; IeeeMode: 1
; LDSByteSize: 17472 bytes/workgroup (compile time only)
; SGPRBlocks: 4
; VGPRBlocks: 15
; NumSGPRsForWavesPerEU: 40
; NumVGPRsForWavesPerEU: 125
; Occupancy: 10
; WaveLimiterHint : 1
; COMPUTE_PGM_RSRC2:SCRATCH_EN: 0
; COMPUTE_PGM_RSRC2:USER_SGPR: 13
; COMPUTE_PGM_RSRC2:TRAP_HANDLER: 0
; COMPUTE_PGM_RSRC2:TGID_X_EN: 1
; COMPUTE_PGM_RSRC2:TGID_Y_EN: 1
; COMPUTE_PGM_RSRC2:TGID_Z_EN: 1
; COMPUTE_PGM_RSRC2:TIDIG_COMP_CNT: 0
	.section	.text._Z39paged_attention_ll4mi_QKV_mfma16_kernelI14__hip_bfloat16hLN4vllm18Fp8KVCacheDataTypeE1ES0_Li16ELi64ELi256ELb1ELi3EL8MFMAType0EEvPKT_PKT0_S9_ifPKiSB_SB_iPKfiiiPfSE_PS4_PT2_iSD_SD_,"axG",@progbits,_Z39paged_attention_ll4mi_QKV_mfma16_kernelI14__hip_bfloat16hLN4vllm18Fp8KVCacheDataTypeE1ES0_Li16ELi64ELi256ELb1ELi3EL8MFMAType0EEvPKT_PKT0_S9_ifPKiSB_SB_iPKfiiiPfSE_PS4_PT2_iSD_SD_,comdat
	.protected	_Z39paged_attention_ll4mi_QKV_mfma16_kernelI14__hip_bfloat16hLN4vllm18Fp8KVCacheDataTypeE1ES0_Li16ELi64ELi256ELb1ELi3EL8MFMAType0EEvPKT_PKT0_S9_ifPKiSB_SB_iPKfiiiPfSE_PS4_PT2_iSD_SD_ ; -- Begin function _Z39paged_attention_ll4mi_QKV_mfma16_kernelI14__hip_bfloat16hLN4vllm18Fp8KVCacheDataTypeE1ES0_Li16ELi64ELi256ELb1ELi3EL8MFMAType0EEvPKT_PKT0_S9_ifPKiSB_SB_iPKfiiiPfSE_PS4_PT2_iSD_SD_
	.globl	_Z39paged_attention_ll4mi_QKV_mfma16_kernelI14__hip_bfloat16hLN4vllm18Fp8KVCacheDataTypeE1ES0_Li16ELi64ELi256ELb1ELi3EL8MFMAType0EEvPKT_PKT0_S9_ifPKiSB_SB_iPKfiiiPfSE_PS4_PT2_iSD_SD_
	.p2align	8
	.type	_Z39paged_attention_ll4mi_QKV_mfma16_kernelI14__hip_bfloat16hLN4vllm18Fp8KVCacheDataTypeE1ES0_Li16ELi64ELi256ELb1ELi3EL8MFMAType0EEvPKT_PKT0_S9_ifPKiSB_SB_iPKfiiiPfSE_PS4_PT2_iSD_SD_,@function
_Z39paged_attention_ll4mi_QKV_mfma16_kernelI14__hip_bfloat16hLN4vllm18Fp8KVCacheDataTypeE1ES0_Li16ELi64ELi256ELb1ELi3EL8MFMAType0EEvPKT_PKT0_S9_ifPKiSB_SB_iPKfiiiPfSE_PS4_PT2_iSD_SD_: ; @_Z39paged_attention_ll4mi_QKV_mfma16_kernelI14__hip_bfloat16hLN4vllm18Fp8KVCacheDataTypeE1ES0_Li16ELi64ELi256ELb1ELi3EL8MFMAType0EEvPKT_PKT0_S9_ifPKiSB_SB_iPKfiiiPfSE_PS4_PT2_iSD_SD_
; %bb.0:
	s_load_b64 s[2:3], s[0:1], 0x30
	s_mov_b32 s34, s13
	s_waitcnt lgkmcnt(0)
	s_cmp_lg_u64 s[2:3], 0
	s_cselect_b32 s8, -1, 0
	s_ashr_i32 s35, s13, 31
	s_cmp_eq_u64 s[2:3], 0
	s_cbranch_scc1 .LBB1712_3
; %bb.1:
	s_lshl_b64 s[4:5], s[34:35], 2
	s_delay_alu instid0(SALU_CYCLE_1) | instskip(SKIP_4) | instid1(SALU_CYCLE_1)
	s_add_u32 s4, s2, s4
	s_addc_u32 s5, s3, s5
	s_load_b64 s[4:5], s[4:5], 0x0
	s_waitcnt lgkmcnt(0)
	s_sub_i32 s4, s5, s4
	s_cmp_eq_u32 s4, 1
	s_cselect_b32 s4, -1, 0
	s_delay_alu instid0(SALU_CYCLE_1)
	s_and_not1_b32 vcc_lo, exec_lo, s4
	s_cbranch_vccz .LBB1712_4
.LBB1712_2:
	s_nop 0
	s_sendmsg sendmsg(MSG_DEALLOC_VGPRS)
	s_endpgm
.LBB1712_3:
.LBB1712_4:
	s_load_b64 s[4:5], s[0:1], 0x28
	s_lshl_b64 s[6:7], s[34:35], 2
	s_waitcnt lgkmcnt(0)
	s_add_u32 s4, s4, s6
	s_addc_u32 s5, s5, s7
	s_lshl_b32 s12, s14, 8
	s_load_b32 s24, s[4:5], 0x0
	s_waitcnt lgkmcnt(0)
	s_cmp_ge_i32 s12, s24
	s_cbranch_scc1 .LBB1712_2
; %bb.5:
	s_clause 0x1
	s_load_b128 s[20:23], s[0:1], 0x8
	s_load_b64 s[4:5], s[0:1], 0x20
	s_and_not1_b32 vcc_lo, exec_lo, s8
	s_cbranch_vccnz .LBB1712_7
; %bb.6:
	s_add_u32 s2, s2, s6
	s_addc_u32 s3, s3, s7
	s_load_b32 s3, s[2:3], 0x0
	s_branch .LBB1712_8
.LBB1712_7:
	s_mov_b32 s3, s34
.LBB1712_8:
	s_load_b128 s[16:19], s[0:1], 0x48
	v_lshrrev_b32_e32 v66, 5, v0
	v_bfe_u32 v74, v0, 4, 1
	v_and_b32_e32 v65, 15, v0
	v_and_b32_e32 v67, 31, v0
	;; [unrolled: 1-line block ×3, first 2 shown]
	s_mul_i32 s31, s15, 3
	v_lshl_or_b32 v1, v66, 1, v74
	v_lshlrev_b32_e32 v2, 3, v65
	v_cmp_gt_u32_e64 s2, 8, v65
	s_delay_alu instid0(VALU_DEP_3) | instskip(NEXT) | instid1(VALU_DEP_3)
	v_cmp_gt_u32_e32 vcc_lo, 3, v1
	v_lshlrev_b32_e32 v73, 1, v2
	s_delay_alu instid0(VALU_DEP_3) | instskip(NEXT) | instid1(SALU_CYCLE_1)
	s_and_b32 s7, s2, vcc_lo
	s_and_saveexec_b32 s6, s7
	s_cbranch_execz .LBB1712_10
; %bb.9:
	s_load_b64 s[8:9], s[0:1], 0x0
	v_add_lshl_u32 v2, v1, s31, 6
	s_waitcnt lgkmcnt(0)
	s_mul_hi_i32 s11, s3, s16
	s_mul_i32 s10, s3, s16
	v_lshlrev_b32_e32 v6, 10, v65
	s_lshl_b64 s[10:11], s[10:11], 1
	v_ashrrev_i32_e32 v3, 31, v2
	v_lshlrev_b32_e32 v1, 6, v1
	v_lshlrev_b32_e32 v7, 10, v75
	v_and_b32_e32 v6, 0x3800, v6
	s_delay_alu instid0(VALU_DEP_4) | instskip(NEXT) | instid1(VALU_DEP_2)
	v_lshlrev_b64 v[2:3], 1, v[2:3]
	v_or3_b32 v1, v6, v7, v1
	s_add_u32 s3, s8, s10
	s_addc_u32 s7, s9, s11
	s_delay_alu instid0(VALU_DEP_2) | instskip(NEXT) | instid1(VALU_DEP_3)
	v_add_co_u32 v2, vcc_lo, s3, v2
	v_add_co_ci_u32_e32 v3, vcc_lo, s7, v3, vcc_lo
	s_delay_alu instid0(VALU_DEP_2) | instskip(NEXT) | instid1(VALU_DEP_2)
	v_add_co_u32 v2, vcc_lo, v2, v73
	v_add_co_ci_u32_e32 v3, vcc_lo, 0, v3, vcc_lo
	global_load_b128 v[2:5], v[2:3], off
	s_waitcnt vmcnt(0)
	ds_store_b128 v1, v[2:5]
.LBB1712_10:
	s_or_b32 exec_lo, exec_lo, s6
	v_and_b32_e32 v1, 0xef, v0
	s_waitcnt lgkmcnt(0)
	s_add_i32 s3, s24, 15
	s_clause 0x1
	s_load_b32 s6, s[0:1], 0x38
	s_load_b32 s19, s[0:1], 0x1c
	s_ashr_i32 s7, s3, 31
	v_add_nc_u32_e32 v1, s12, v1
	s_lshr_b32 s7, s7, 28
	s_waitcnt lgkmcnt(0)
	s_add_i32 s3, s3, s7
	s_barrier
	v_ashrrev_i32_e32 v2, 31, v1
	v_or_b32_e32 v3, 16, v1
	s_ashr_i32 s3, s3, 4
	v_cmp_gt_i32_e32 vcc_lo, s24, v1
	s_add_i32 s3, s3, -1
	v_lshrrev_b32_e32 v2, 28, v2
	buffer_gl0_inv
	s_mul_i32 s27, s15, s18
	v_add_nc_u32_e32 v4, v1, v2
	s_mul_i32 s6, s34, s6
	s_delay_alu instid0(SALU_CYCLE_1) | instskip(NEXT) | instid1(VALU_DEP_1)
	s_ashr_i32 s7, s6, 31
	v_ashrrev_i32_e32 v4, 4, v4
	v_add_nc_u32_e32 v2, v3, v2
	s_lshl_b64 s[6:7], s[6:7], 2
	s_delay_alu instid0(SALU_CYCLE_1) | instskip(NEXT) | instid1(VALU_DEP_2)
	s_add_u32 s26, s4, s6
	v_cndmask_b32_e32 v1, s3, v4, vcc_lo
	s_delay_alu instid0(VALU_DEP_2)
	v_ashrrev_i32_e32 v2, 4, v2
	v_cmp_gt_i32_e32 vcc_lo, s24, v3
	s_addc_u32 s25, s5, s7
	s_ashr_i32 s28, s27, 31
	s_add_u32 s13, s20, s27
	s_addc_u32 s15, s21, s28
	v_cndmask_b32_e32 v3, s3, v2, vcc_lo
	v_ashrrev_i32_e32 v2, 31, v1
	s_lshl_b32 s4, s14, 4
	s_delay_alu instid0(SALU_CYCLE_1) | instskip(NEXT) | instid1(VALU_DEP_2)
	s_ashr_i32 s5, s4, 31
	v_ashrrev_i32_e32 v4, 31, v3
	s_delay_alu instid0(VALU_DEP_2) | instskip(SKIP_1) | instid1(SALU_CYCLE_1)
	v_lshlrev_b64 v[1:2], 2, v[1:2]
	s_lshl_b64 s[4:5], s[4:5], 2
	s_add_u32 s4, s26, s4
	s_delay_alu instid0(VALU_DEP_2) | instskip(SKIP_1) | instid1(VALU_DEP_2)
	v_lshlrev_b64 v[3:4], 2, v[3:4]
	s_addc_u32 s5, s25, s5
	v_add_co_u32 v1, vcc_lo, s26, v1
	v_add_co_ci_u32_e32 v2, vcc_lo, s25, v2, vcc_lo
	s_delay_alu instid0(VALU_DEP_3) | instskip(NEXT) | instid1(VALU_DEP_4)
	v_add_co_u32 v3, vcc_lo, s26, v3
	v_add_co_ci_u32_e32 v4, vcc_lo, s25, v4, vcc_lo
	s_clause 0x1
	global_load_b32 v5, v[1:2], off
	global_load_b32 v7, v[3:4], off
	s_or_b32 s6, s12, 32
	v_lshlrev_b32_e32 v1, 4, v0
	s_ashr_i32 s7, s6, 4
	s_cmp_lt_i32 s6, s24
	s_cselect_b32 s6, s7, s3
	s_delay_alu instid0(VALU_DEP_1) | instskip(SKIP_1) | instid1(SALU_CYCLE_1)
	v_and_b32_e32 v1, 0xf0, v1
	s_ashr_i32 s7, s6, 31
	s_lshl_b64 s[6:7], s[6:7], 2
	s_delay_alu instid0(SALU_CYCLE_1)
	s_add_u32 s6, s26, s6
	s_addc_u32 s7, s25, s7
	s_or_b32 s8, s12, 64
	v_add_co_u32 v1, s13, s13, v1
	s_ashr_i32 s9, s8, 4
	s_cmp_lt_i32 s8, s24
	v_add_co_ci_u32_e64 v2, null, s15, 0, s13
	s_cselect_b32 s8, s9, s3
	s_delay_alu instid0(SALU_CYCLE_1) | instskip(NEXT) | instid1(SALU_CYCLE_1)
	s_ashr_i32 s9, s8, 31
	s_lshl_b64 s[8:9], s[8:9], 2
	s_delay_alu instid0(SALU_CYCLE_1) | instskip(SKIP_2) | instid1(SALU_CYCLE_1)
	s_add_u32 s8, s26, s8
	s_addc_u32 s9, s25, s9
	s_or_b32 s10, s12, 0x60
	s_ashr_i32 s11, s10, 4
	s_cmp_lt_i32 s10, s24
	s_cselect_b32 s10, s11, s3
	s_delay_alu instid0(SALU_CYCLE_1) | instskip(NEXT) | instid1(SALU_CYCLE_1)
	s_ashr_i32 s11, s10, 31
	s_lshl_b64 s[10:11], s[10:11], 2
	s_delay_alu instid0(SALU_CYCLE_1) | instskip(SKIP_2) | instid1(SALU_CYCLE_1)
	s_add_u32 s10, s26, s10
	s_addc_u32 s11, s25, s11
	s_or_b32 s16, s12, 0x80
	s_ashr_i32 s18, s16, 4
	s_cmp_lt_i32 s16, s24
	;; [unrolled: 10-line block ×3, first 2 shown]
	s_cselect_b32 s20, s18, s3
	s_delay_alu instid0(SALU_CYCLE_1) | instskip(NEXT) | instid1(SALU_CYCLE_1)
	s_ashr_i32 s21, s20, 31
	s_lshl_b64 s[20:21], s[20:21], 2
	s_delay_alu instid0(SALU_CYCLE_1)
	s_add_u32 s38, s26, s20
	s_addc_u32 s39, s25, s21
	s_clause 0x5
	s_load_b32 s21, s[4:5], 0x0
	s_load_b32 s13, s[6:7], 0x0
	;; [unrolled: 1-line block ×6, first 2 shown]
	s_or_b32 s9, s12, 0xc0
	s_mov_b32 s4, 0
	s_ashr_i32 s10, s9, 4
	s_cmp_lt_i32 s9, s24
	s_mov_b32 s11, s4
	s_cselect_b32 s36, s10, s3
	s_mov_b32 s5, s4
	s_ashr_i32 s37, s36, 31
	s_mov_b32 s6, s4
	s_lshl_b64 s[36:37], s[36:37], 2
	s_mov_b32 s7, s4
	s_add_u32 s36, s26, s36
	s_addc_u32 s37, s25, s37
	s_or_b32 s29, s12, 0xe0
	s_mov_b32 s8, s4
	s_ashr_i32 s30, s29, 4
	s_mov_b32 s9, s4
	s_mov_b32 s10, s4
	s_cmp_lt_i32 s29, s24
	v_dual_mov_b32 v107, s11 :: v_dual_mov_b32 v100, s4
	v_mov_b32_e32 v106, s10
	v_dual_mov_b32 v104, s8 :: v_dual_mov_b32 v103, s7
	v_dual_mov_b32 v102, s6 :: v_dual_mov_b32 v101, s5
	s_waitcnt vmcnt(1)
	v_mad_i64_i32 v[3:4], null, v5, s17, v[1:2]
	s_waitcnt vmcnt(0)
	v_mad_i64_i32 v[5:6], null, v7, s17, v[1:2]
	v_mul_lo_u16 v1, 0x56, v65
	v_lshlrev_b32_e32 v2, 4, v65
	s_clause 0x7
	global_load_b128 v[49:52], v[3:4], off
	global_load_b128 v[53:56], v[3:4], off offset:256
	global_load_b128 v[76:79], v[5:6], off
	global_load_b128 v[80:83], v[5:6], off offset:256
	global_load_b128 v[84:87], v[3:4], off offset:512
	;; [unrolled: 1-line block ×5, first 2 shown]
	v_lshrrev_b16 v1, 8, v1
	v_lshl_or_b32 v2, v66, 8, v2
	s_delay_alu instid0(VALU_DEP_2) | instskip(NEXT) | instid1(VALU_DEP_1)
	v_mul_lo_u16 v1, v1, 3
	v_sub_nc_u16 v1, v65, v1
	s_delay_alu instid0(VALU_DEP_1)
	v_and_b32_e32 v1, 0xff, v1
	v_mov_b32_e32 v105, s9
	s_cselect_b32 s4, s30, s3
	s_load_b32 s3, s[36:37], 0x0
	s_ashr_i32 s5, s4, 31
	v_lshlrev_b32_e32 v70, 6, v1
	s_lshl_b64 s[4:5], s[4:5], 2
	ds_load_b128 v[108:111], v70
	ds_load_b128 v[112:115], v70 offset:1024
	s_add_u32 s4, s26, s4
	s_addc_u32 s5, s25, s5
	s_add_u32 s6, s22, s27
	s_load_b32 s4, s[4:5], 0x0
	s_addc_u32 s7, s23, s28
	v_add_co_u32 v9, s6, s6, v2
	s_delay_alu instid0(VALU_DEP_1) | instskip(SKIP_1) | instid1(VALU_DEP_1)
	v_add_co_ci_u32_e64 v10, null, s7, 0, s6
	s_waitcnt lgkmcnt(0)
	v_mad_i64_i32 v[1:2], null, s21, s17, v[9:10]
	v_mad_i64_i32 v[3:4], null, s13, s17, v[9:10]
	;; [unrolled: 1-line block ×7, first 2 shown]
	s_clause 0x9
	global_load_b128 v[57:60], v[1:2], off
	global_load_b128 v[61:64], v[1:2], off offset:16
	global_load_b128 v[41:44], v[3:4], off
	global_load_b128 v[45:48], v[3:4], off offset:16
	;; [unrolled: 2-line block ×5, first 2 shown]
	v_mad_i64_i32 v[68:69], null, s4, s17, v[9:10]
	s_clause 0x3
	global_load_b128 v[9:12], v[13:14], off
	global_load_b128 v[13:16], v[13:14], off offset:16
	global_load_b128 v[17:20], v[21:22], off
	global_load_b128 v[21:24], v[21:22], off offset:16
	s_waitcnt vmcnt(20)
	v_wmma_f32_16x16x16_bf16 v[116:123], v[49:56], v[108:115], v[100:107]
	s_clause 0x1
	global_load_b128 v[49:52], v[68:69], off
	global_load_b128 v[53:56], v[68:69], off offset:16
	v_and_b32_e32 v68, 0xe0, v0
	v_mbcnt_lo_u32_b32 v69, -1, 0
	s_delay_alu instid0(VALU_DEP_2)
	v_add_nc_u32_e32 v68, s12, v68
	s_waitcnt vmcnt(20)
	v_wmma_f32_16x16x16_bf16 v[100:107], v[76:83], v[108:115], v[100:107]
	ds_load_b128 v[76:79], v70 offset:2048
	ds_load_b128 v[80:83], v70 offset:3072
	v_xor_b32_e32 v70, 16, v69
	s_waitcnt vmcnt(0) lgkmcnt(0)
	v_or_b32_e32 v68, v68, v74
	s_barrier
	buffer_gl0_inv
	v_cmp_gt_i32_e32 vcc_lo, 32, v70
	v_or_b32_e32 v71, 4, v68
	v_or_b32_e32 v72, 6, v68
	v_cmp_gt_i32_e64 s3, s24, v68
	v_or_b32_e32 v108, 8, v68
	v_or_b32_e32 v109, 10, v68
	v_cmp_gt_i32_e64 s4, s24, v71
	v_cmp_gt_i32_e64 s5, s24, v72
	s_delay_alu instid0(VALU_DEP_4) | instskip(NEXT) | instid1(VALU_DEP_4)
	v_cmp_gt_i32_e64 s6, s24, v108
	v_cmp_gt_i32_e64 s7, s24, v109
	v_wmma_f32_16x16x16_bf16 v[116:123], v[84:91], v[76:83], v[116:123]
	v_cndmask_b32_e32 v69, v69, v70, vcc_lo
	v_or_b32_e32 v70, 2, v68
	v_wmma_f32_16x16x16_bf16 v[100:107], v[92:99], v[76:83], v[100:107]
	v_or_b32_e32 v89, 22, v68
	v_dual_mul_f32 v80, s19, v121 :: v_dual_mul_f32 v81, s19, v120
	v_dual_mul_f32 v92, s19, v117 :: v_dual_mul_f32 v93, s19, v116
	s_delay_alu instid0(VALU_DEP_4)
	v_mul_f32_e32 v96, s19, v105
	v_cmp_gt_i32_e32 vcc_lo, s24, v70
	v_dual_mul_f32 v79, s19, v122 :: v_dual_mul_f32 v82, s19, v119
	v_dual_mul_f32 v83, s19, v118 :: v_dual_mul_f32 v94, s19, v107
	v_cndmask_b32_e64 v93, 0xff7fffff, v93, s3
	v_cndmask_b32_e32 v92, 0xff7fffff, v92, vcc_lo
	v_or_b32_e32 v84, 12, v68
	v_or_b32_e32 v85, 14, v68
	v_cndmask_b32_e64 v71, 0xff7fffff, v83, s4
	v_cndmask_b32_e64 v72, 0xff7fffff, v82, s5
	v_cmp_gt_i32_e64 s13, s24, v89
	v_lshlrev_b32_e32 v89, 2, v69
	v_max3_f32 v82, v93, 0xff7fffff, v92
	v_or_b32_e32 v86, 16, v68
	v_or_b32_e32 v87, 18, v68
	v_mul_f32_e32 v78, s19, v123
	v_cndmask_b32_e64 v81, 0xff7fffff, v81, s6
	v_cndmask_b32_e64 v80, 0xff7fffff, v80, s7
	v_max3_f32 v71, v82, v71, v72
	v_cmp_gt_i32_e64 s8, s24, v84
	v_cmp_gt_i32_e64 s9, s24, v85
	v_or_b32_e32 v88, 20, v68
	v_or_b32_e32 v90, 24, v68
	;; [unrolled: 1-line block ×5, first 2 shown]
	v_dual_mul_f32 v97, s19, v104 :: v_dual_mul_f32 v70, s19, v101
	v_dual_mul_f32 v99, s19, v102 :: v_dual_mul_f32 v68, s19, v100
	v_cndmask_b32_e64 v72, 0xff7fffff, v79, s8
	v_cndmask_b32_e64 v78, 0xff7fffff, v78, s9
	v_max3_f32 v71, v71, v81, v80
	v_cmp_gt_i32_e64 s10, s24, v86
	v_cmp_gt_i32_e64 s11, s24, v87
	v_dual_mul_f32 v95, s19, v106 :: v_dual_mul_f32 v98, s19, v103
	s_delay_alu instid0(VALU_DEP_4) | instskip(NEXT) | instid1(VALU_DEP_4)
	v_max3_f32 v71, v71, v72, v78
	v_cndmask_b32_e64 v68, 0xff7fffff, v68, s10
	s_delay_alu instid0(VALU_DEP_4)
	v_cndmask_b32_e64 v70, 0xff7fffff, v70, s11
	v_cmp_gt_i32_e64 s12, s24, v88
	v_cndmask_b32_e64 v78, 0xff7fffff, v98, s13
	v_cmp_gt_i32_e64 s15, s24, v90
	v_cmp_gt_i32_e64 s16, s24, v91
	v_max3_f32 v68, v71, v68, v70
	v_cndmask_b32_e64 v72, 0xff7fffff, v99, s12
	v_cmp_gt_i32_e64 s17, s24, v76
	v_cndmask_b32_e64 v70, 0xff7fffff, v97, s15
	v_cndmask_b32_e64 v71, 0xff7fffff, v96, s16
	v_cmp_gt_i32_e64 s18, s24, v77
	v_max3_f32 v68, v68, v72, v78
	v_cndmask_b32_e64 v72, 0xff7fffff, v95, s17
	s_delay_alu instid0(VALU_DEP_3) | instskip(NEXT) | instid1(VALU_DEP_3)
	v_cndmask_b32_e64 v76, 0xff7fffff, v94, s18
	v_max3_f32 v68, v68, v70, v71
	s_delay_alu instid0(VALU_DEP_1) | instskip(SKIP_3) | instid1(VALU_DEP_1)
	v_max3_f32 v68, v68, v72, v76
	ds_bpermute_b32 v69, v89, v68
	s_waitcnt lgkmcnt(0)
	v_max_f32_e32 v69, v69, v69
	v_max_f32_e32 v68, v68, v69
	s_delay_alu instid0(VALU_DEP_1) | instskip(NEXT) | instid1(VALU_DEP_1)
	v_fma_f32 v71, s19, v118, -v68
	v_mul_f32_e32 v71, 0x3fb8aa3b, v71
	v_fma_f32 v70, s19, v117, -v68
	v_fma_f32 v69, s19, v116, -v68
	;; [unrolled: 1-line block ×5, first 2 shown]
	s_delay_alu instid0(VALU_DEP_4) | instskip(SKIP_1) | instid1(VALU_DEP_3)
	v_dual_mul_f32 v70, 0x3fb8aa3b, v70 :: v_dual_mul_f32 v69, 0x3fb8aa3b, v69
	v_exp_f32_e32 v71, v71
	v_mul_f32_e32 v72, 0x3fb8aa3b, v72
	v_fma_f32 v81, s19, v105, -v68
	s_delay_alu instid0(VALU_DEP_3)
	v_exp_f32_e32 v70, v70
	v_mul_f32_e32 v77, 0x3fb8aa3b, v76
	v_exp_f32_e32 v69, v69
	v_exp_f32_e32 v72, v72
	v_mul_f32_e32 v81, 0x3fb8aa3b, v81
	v_cndmask_b32_e64 v83, 0, v71, s4
	v_fma_f32 v71, s19, v123, -v68
	s_delay_alu instid0(VALU_DEP_3) | instskip(SKIP_4) | instid1(TRANS32_DEP_3)
	v_exp_f32_e32 v81, v81
	v_cndmask_b32_e32 v76, 0, v70, vcc_lo
	v_exp_f32_e32 v77, v77
	v_cndmask_b32_e64 v80, 0, v69, s3
	v_fma_f32 v69, s19, v121, -v68
	v_cndmask_b32_e64 v85, 0, v72, s5
	v_mul_f32_e32 v71, 0x3fb8aa3b, v71
	v_fma_f32 v72, s19, v100, -v68
	s_delay_alu instid0(VALU_DEP_4) | instskip(SKIP_1) | instid1(VALU_DEP_4)
	v_dual_add_f32 v70, 0, v80 :: v_dual_mul_f32 v69, 0x3fb8aa3b, v69
	v_cmp_gt_u32_e64 s3, 16, v67
	v_exp_f32_e32 v71, v71
	s_delay_alu instid0(TRANS32_DEP_2) | instskip(SKIP_4) | instid1(VALU_DEP_3)
	v_cndmask_b32_e64 v86, 0, v77, s6
	v_fma_f32 v77, s19, v101, -v68
	v_mul_f32_e32 v78, 0x3fb8aa3b, v78
	v_add_f32_e32 v70, v70, v76
	v_exp_f32_e32 v69, v69
	v_mul_f32_e32 v77, 0x3fb8aa3b, v77
	s_delay_alu instid0(VALU_DEP_3) | instskip(NEXT) | instid1(TRANS32_DEP_3)
	v_exp_f32_e32 v78, v78
	v_cndmask_b32_e64 v88, 0, v71, s9
	v_fma_f32 v71, s19, v104, -v68
	s_delay_alu instid0(VALU_DEP_3) | instskip(NEXT) | instid1(TRANS32_DEP_3)
	v_exp_f32_e32 v77, v77
	v_cndmask_b32_e64 v87, 0, v69, s7
	s_delay_alu instid0(VALU_DEP_2)
	v_mul_f32_e32 v71, 0x3fb8aa3b, v71
	s_waitcnt_depctr 0xfff
	v_cndmask_b32_e64 v84, 0, v78, s8
	v_add_f32_e32 v70, v70, v83
	v_fma_f32 v78, s19, v103, -v68
	v_exp_f32_e32 v82, v71
	s_delay_alu instid0(VALU_DEP_2) | instskip(SKIP_1) | instid1(VALU_DEP_3)
	v_add_f32_e32 v70, v70, v85
	v_mul_f32_e32 v72, 0x3fb8aa3b, v72
	v_mul_f32_e32 v78, 0x3fb8aa3b, v78
	s_delay_alu instid0(VALU_DEP_3) | instskip(SKIP_1) | instid1(VALU_DEP_4)
	v_add_f32_e32 v69, v70, v86
	v_fma_f32 v70, s19, v102, -v68
	v_exp_f32_e32 v72, v72
	s_delay_alu instid0(VALU_DEP_3) | instskip(NEXT) | instid1(VALU_DEP_1)
	v_exp_f32_e32 v78, v78
	v_dual_add_f32 v69, v69, v87 :: v_dual_mul_f32 v70, 0x3fb8aa3b, v70
	s_delay_alu instid0(VALU_DEP_1) | instskip(NEXT) | instid1(VALU_DEP_2)
	v_add_f32_e32 v69, v69, v84
	v_exp_f32_e32 v79, v70
	s_delay_alu instid0(TRANS32_DEP_3) | instskip(NEXT) | instid1(VALU_DEP_2)
	v_cndmask_b32_e64 v70, 0, v72, s10
	v_add_f32_e32 v72, v69, v88
	v_cndmask_b32_e64 v69, 0, v77, s11
	v_fma_f32 v77, s19, v106, -v68
	s_waitcnt_depctr 0xfff
	v_cndmask_b32_e64 v71, 0, v79, s12
	v_dual_mul_f32 v77, 0x3fb8aa3b, v77 :: v_dual_add_f32 v72, v72, v70
	s_delay_alu instid0(VALU_DEP_1) | instskip(NEXT) | instid1(VALU_DEP_1)
	v_exp_f32_e32 v90, v77
	v_add_f32_e32 v79, v72, v69
	v_cndmask_b32_e64 v72, 0, v78, s13
	v_cndmask_b32_e64 v77, 0, v82, s15
	s_delay_alu instid0(VALU_DEP_3) | instskip(SKIP_1) | instid1(VALU_DEP_1)
	v_add_f32_e32 v78, v79, v71
	v_fma_f32 v79, s19, v107, -v68
	v_dual_add_f32 v82, v78, v72 :: v_dual_mul_f32 v79, 0x3fb8aa3b, v79
	v_cndmask_b32_e64 v78, 0, v81, s16
	s_delay_alu instid0(VALU_DEP_2) | instskip(NEXT) | instid1(VALU_DEP_3)
	v_add_f32_e32 v81, v82, v77
	v_exp_f32_e32 v82, v79
	v_cndmask_b32_e64 v79, 0, v90, s17
	s_delay_alu instid0(VALU_DEP_2) | instskip(NEXT) | instid1(VALU_DEP_1)
	v_add_f32_e32 v81, v81, v78
	v_add_f32_e32 v90, v81, v79
	s_waitcnt_depctr 0xfff
	v_cndmask_b32_e64 v81, 0, v82, s18
	s_delay_alu instid0(VALU_DEP_1)
	v_add_f32_e32 v82, v90, v81
	ds_bpermute_b32 v89, v89, v82
	s_and_saveexec_b32 s4, s3
	s_cbranch_execz .LBB1712_12
; %bb.11:
	v_mul_u32_u24_e32 v67, 0x44, v66
	s_delay_alu instid0(VALU_DEP_1) | instskip(SKIP_1) | instid1(VALU_DEP_1)
	v_lshl_add_u32 v67, v65, 2, v67
	s_waitcnt lgkmcnt(0)
	v_dual_add_f32 v82, v82, v89 :: v_dual_add_nc_u32 v67, 0x4000, v67
	ds_store_2addr_b32 v67, v68, v82 offset1:136
.LBB1712_12:
	s_or_b32 exec_lo, exec_lo, s4
	v_lshlrev_b32_e32 v67, 2, v65
	s_waitcnt lgkmcnt(0)
	s_barrier
	buffer_gl0_inv
	v_cmp_eq_u32_e32 vcc_lo, 1, v66
	v_add_nc_u32_e32 v82, 0x4000, v67
	v_cmp_eq_u32_e64 s4, 2, v66
	v_cmp_eq_u32_e64 s6, 7, v66
	ds_load_2addr_b32 v[89:90], v82 offset1:17
	ds_load_2addr_b32 v[91:92], v82 offset0:34 offset1:51
	ds_load_2addr_b32 v[93:94], v82 offset0:68 offset1:85
	;; [unrolled: 1-line block ×4, first 2 shown]
	s_waitcnt lgkmcnt(4)
	v_max3_f32 v67, v89, 0xff7fffff, v90
	s_waitcnt lgkmcnt(3)
	s_delay_alu instid0(VALU_DEP_1) | instskip(SKIP_1) | instid1(VALU_DEP_1)
	v_max3_f32 v67, v67, v91, v92
	s_waitcnt lgkmcnt(2)
	v_max3_f32 v67, v67, v93, v94
	s_waitcnt lgkmcnt(1)
	s_delay_alu instid0(VALU_DEP_1) | instskip(NEXT) | instid1(VALU_DEP_1)
	v_max3_f32 v67, v67, v95, v96
	v_sub_f32_e32 v93, v93, v67
	s_delay_alu instid0(VALU_DEP_1) | instskip(NEXT) | instid1(VALU_DEP_1)
	v_dual_sub_f32 v68, v89, v67 :: v_dual_mul_f32 v103, 0x3fb8aa3b, v93
	v_mul_f32_e32 v68, 0x3fb8aa3b, v68
	s_delay_alu instid0(VALU_DEP_1)
	v_exp_f32_e32 v100, v68
	v_sub_f32_e32 v68, v92, v67
	v_sub_f32_e32 v99, v90, v67
	ds_load_2addr_b32 v[89:90], v82 offset0:170 offset1:187
	v_dual_mul_f32 v102, 0x3fb8aa3b, v68 :: v_dual_mul_f32 v99, 0x3fb8aa3b, v99
	s_waitcnt lgkmcnt(1)
	v_fma_f32 v68, v100, v97, 0
	s_delay_alu instid0(VALU_DEP_2) | instskip(NEXT) | instid1(VALU_DEP_2)
	v_exp_f32_e32 v102, v102
	v_exp_f32_e32 v99, v99
	s_waitcnt_depctr 0xfff
	v_fmac_f32_e32 v68, v99, v98
	v_sub_f32_e32 v91, v91, v67
	s_delay_alu instid0(VALU_DEP_1)
	v_mul_f32_e32 v101, 0x3fb8aa3b, v91
	ds_load_2addr_b32 v[91:92], v82 offset0:204 offset1:221
	v_sub_f32_e32 v97, v94, v67
	ds_load_2addr_b32 v[93:94], v82 offset0:238 offset1:255
	s_waitcnt lgkmcnt(0)
	v_exp_f32_e32 v101, v101
	s_barrier
	buffer_gl0_inv
	v_dual_fmac_f32 v68, v101, v89 :: v_dual_sub_f32 v89, v96, v67
	v_dual_sub_f32 v82, v95, v67 :: v_dual_mul_f32 v95, 0x3fb8aa3b, v97
	v_exp_f32_e32 v97, v103
	s_delay_alu instid0(VALU_DEP_2) | instskip(NEXT) | instid1(VALU_DEP_2)
	v_dual_fmac_f32 v68, v102, v90 :: v_dual_mul_f32 v89, 0x3fb8aa3b, v89
	v_mul_f32_e32 v82, 0x3fb8aa3b, v82
	s_delay_alu instid0(VALU_DEP_3) | instskip(NEXT) | instid1(VALU_DEP_2)
	v_exp_f32_e32 v95, v95
	v_exp_f32_e32 v89, v89
	s_delay_alu instid0(VALU_DEP_1)
	v_exp_f32_e32 v82, v82
	v_fmac_f32_e32 v68, v97, v91
	s_delay_alu instid0(TRANS32_DEP_3) | instid1(VALU_DEP_1)
	v_fmac_f32_e32 v68, v95, v92
	s_waitcnt_depctr 0xfff
	v_fmac_f32_e32 v68, v82, v93
	s_delay_alu instid0(VALU_DEP_1) | instskip(NEXT) | instid1(VALU_DEP_1)
	v_fmac_f32_e32 v68, v89, v94
	v_add_f32_e32 v90, 0x358637bd, v68
	s_delay_alu instid0(VALU_DEP_1) | instskip(NEXT) | instid1(VALU_DEP_1)
	v_div_scale_f32 v91, null, v90, v90, 1.0
	v_rcp_f32_e32 v92, v91
	s_waitcnt_depctr 0xfff
	v_fma_f32 v93, -v91, v92, 1.0
	s_delay_alu instid0(VALU_DEP_1) | instskip(SKIP_1) | instid1(VALU_DEP_2)
	v_dual_fmac_f32 v92, v93, v92 :: v_dual_cndmask_b32 v93, v100, v99
	v_cmp_eq_u32_e32 vcc_lo, 3, v66
	v_cndmask_b32_e64 v93, v93, v101, s4
	v_cmp_eq_u32_e64 s4, 4, v66
	s_delay_alu instid0(VALU_DEP_2) | instskip(SKIP_1) | instid1(VALU_DEP_2)
	v_cndmask_b32_e32 v93, v93, v102, vcc_lo
	v_cmp_eq_u32_e32 vcc_lo, 5, v66
	v_cndmask_b32_e64 v93, v93, v97, s4
	v_cmp_eq_u32_e64 s4, 6, v66
	s_delay_alu instid0(VALU_DEP_2) | instskip(SKIP_1) | instid1(VALU_DEP_1)
	v_cndmask_b32_e32 v93, v93, v95, vcc_lo
	v_div_scale_f32 v94, s5, 1.0, v90, 1.0
	s_mov_b32 vcc_lo, s5
	s_delay_alu instid0(VALU_DEP_2) | instskip(NEXT) | instid1(VALU_DEP_2)
	v_cndmask_b32_e64 v82, v93, v82, s4
	v_mul_f32_e32 v96, v94, v92
	s_mov_b32 s4, exec_lo
	s_delay_alu instid0(VALU_DEP_2) | instskip(NEXT) | instid1(VALU_DEP_2)
	v_cndmask_b32_e64 v82, v82, v89, s6
	v_fma_f32 v98, -v91, v96, v94
	s_delay_alu instid0(VALU_DEP_1) | instskip(NEXT) | instid1(VALU_DEP_1)
	v_fmac_f32_e32 v96, v98, v92
	v_fma_f32 v91, -v91, v96, v94
	s_delay_alu instid0(VALU_DEP_1) | instskip(NEXT) | instid1(VALU_DEP_1)
	v_div_fmas_f32 v91, v91, v92, v96
	v_div_fixup_f32 v90, v91, v90, 1.0
	s_delay_alu instid0(VALU_DEP_1) | instskip(NEXT) | instid1(VALU_DEP_1)
	v_mul_f32_e32 v82, v82, v90
	v_mul_f32_e32 v87, v82, v87
	;; [unrolled: 1-line block ×7, first 2 shown]
	v_dual_mul_f32 v86, v82, v83 :: v_dual_and_b32 v91, 0x7f800000, v90
	v_mul_f32_e32 v85, v82, v76
                                        ; implicit-def: $vgpr76
	s_delay_alu instid0(VALU_DEP_2)
	v_cmpx_ne_u32_e32 0x7f800000, v91
	s_xor_b32 s4, exec_lo, s4
; %bb.13:
	v_bfe_u32 v76, v90, 16, 1
	s_delay_alu instid0(VALU_DEP_1)
	v_add3_u32 v76, v90, v76, 0x7fff
                                        ; implicit-def: $vgpr90
; %bb.14:
	s_and_not1_saveexec_b32 s4, s4
; %bb.15:
	v_and_b32_e32 v76, 0xffff, v90
	v_or_b32_e32 v83, 0x10000, v90
	s_delay_alu instid0(VALU_DEP_2) | instskip(NEXT) | instid1(VALU_DEP_2)
	v_cmp_eq_u32_e32 vcc_lo, 0, v76
	v_cndmask_b32_e32 v76, v83, v90, vcc_lo
; %bb.16:
	s_or_b32 exec_lo, exec_lo, s4
	v_and_b32_e32 v83, 0x7f800000, v85
	s_delay_alu instid0(VALU_DEP_1) | instskip(SKIP_1) | instid1(SALU_CYCLE_1)
	v_cmp_ne_u32_e32 vcc_lo, 0x7f800000, v83
                                        ; implicit-def: $vgpr83
	s_and_saveexec_b32 s4, vcc_lo
	s_xor_b32 s4, exec_lo, s4
; %bb.17:
	v_bfe_u32 v83, v85, 16, 1
	s_delay_alu instid0(VALU_DEP_1)
	v_add3_u32 v83, v85, v83, 0x7fff
                                        ; implicit-def: $vgpr85
; %bb.18:
	s_and_not1_saveexec_b32 s4, s4
; %bb.19:
	v_and_b32_e32 v83, 0xffff, v85
	v_or_b32_e32 v90, 0x10000, v85
	s_delay_alu instid0(VALU_DEP_2) | instskip(NEXT) | instid1(VALU_DEP_2)
	v_cmp_eq_u32_e32 vcc_lo, 0, v83
	v_cndmask_b32_e32 v83, v90, v85, vcc_lo
; %bb.20:
	s_or_b32 exec_lo, exec_lo, s4
	v_and_b32_e32 v85, 0x7f800000, v86
	s_delay_alu instid0(VALU_DEP_1) | instskip(SKIP_1) | instid1(SALU_CYCLE_1)
	v_cmp_ne_u32_e32 vcc_lo, 0x7f800000, v85
                                        ; implicit-def: $vgpr85
	s_and_saveexec_b32 s4, vcc_lo
	s_xor_b32 s4, exec_lo, s4
; %bb.21:
	v_bfe_u32 v85, v86, 16, 1
	s_delay_alu instid0(VALU_DEP_1)
	v_add3_u32 v85, v86, v85, 0x7fff
                                        ; implicit-def: $vgpr86
; %bb.22:
	s_and_not1_saveexec_b32 s4, s4
; %bb.23:
	v_and_b32_e32 v85, 0xffff, v86
	v_or_b32_e32 v90, 0x10000, v86
	s_delay_alu instid0(VALU_DEP_2) | instskip(NEXT) | instid1(VALU_DEP_2)
	v_cmp_eq_u32_e32 vcc_lo, 0, v85
	v_cndmask_b32_e32 v85, v90, v86, vcc_lo
; %bb.24:
	s_or_b32 exec_lo, exec_lo, s4
	v_and_b32_e32 v86, 0x7f800000, v89
	s_delay_alu instid0(VALU_DEP_1) | instskip(SKIP_1) | instid1(SALU_CYCLE_1)
	v_cmp_ne_u32_e32 vcc_lo, 0x7f800000, v86
                                        ; implicit-def: $vgpr86
	s_and_saveexec_b32 s4, vcc_lo
	s_xor_b32 s4, exec_lo, s4
; %bb.25:
	v_bfe_u32 v86, v89, 16, 1
	s_delay_alu instid0(VALU_DEP_1)
	v_add3_u32 v86, v89, v86, 0x7fff
                                        ; implicit-def: $vgpr89
; %bb.26:
	s_and_not1_saveexec_b32 s4, s4
; %bb.27:
	v_and_b32_e32 v86, 0xffff, v89
	v_or_b32_e32 v90, 0x10000, v89
	s_delay_alu instid0(VALU_DEP_2) | instskip(NEXT) | instid1(VALU_DEP_2)
	v_cmp_eq_u32_e32 vcc_lo, 0, v86
	v_cndmask_b32_e32 v86, v90, v89, vcc_lo
; %bb.28:
	s_or_b32 exec_lo, exec_lo, s4
	v_and_b32_e32 v89, 0x7f800000, v88
	s_delay_alu instid0(VALU_DEP_1) | instskip(SKIP_1) | instid1(SALU_CYCLE_1)
	v_cmp_ne_u32_e32 vcc_lo, 0x7f800000, v89
                                        ; implicit-def: $vgpr89
	s_and_saveexec_b32 s4, vcc_lo
	s_xor_b32 s4, exec_lo, s4
; %bb.29:
	v_bfe_u32 v89, v88, 16, 1
	s_delay_alu instid0(VALU_DEP_1)
	v_add3_u32 v89, v88, v89, 0x7fff
                                        ; implicit-def: $vgpr88
; %bb.30:
	s_and_not1_saveexec_b32 s4, s4
; %bb.31:
	v_and_b32_e32 v89, 0xffff, v88
	v_or_b32_e32 v90, 0x10000, v88
	s_delay_alu instid0(VALU_DEP_2) | instskip(NEXT) | instid1(VALU_DEP_2)
	v_cmp_eq_u32_e32 vcc_lo, 0, v89
	v_cndmask_b32_e32 v89, v90, v88, vcc_lo
; %bb.32:
	s_or_b32 exec_lo, exec_lo, s4
	v_and_b32_e32 v88, 0x7f800000, v87
	s_delay_alu instid0(VALU_DEP_1) | instskip(SKIP_1) | instid1(SALU_CYCLE_1)
	v_cmp_ne_u32_e32 vcc_lo, 0x7f800000, v88
                                        ; implicit-def: $vgpr88
	s_and_saveexec_b32 s4, vcc_lo
	s_xor_b32 s4, exec_lo, s4
; %bb.33:
	v_bfe_u32 v88, v87, 16, 1
	s_delay_alu instid0(VALU_DEP_1)
	v_add3_u32 v88, v87, v88, 0x7fff
                                        ; implicit-def: $vgpr87
; %bb.34:
	s_and_not1_saveexec_b32 s4, s4
; %bb.35:
	v_and_b32_e32 v88, 0xffff, v87
	v_or_b32_e32 v90, 0x10000, v87
	s_delay_alu instid0(VALU_DEP_2) | instskip(NEXT) | instid1(VALU_DEP_2)
	v_cmp_eq_u32_e32 vcc_lo, 0, v88
	v_cndmask_b32_e32 v88, v90, v87, vcc_lo
; %bb.36:
	s_or_b32 exec_lo, exec_lo, s4
	v_and_b32_e32 v87, 0x7f800000, v84
	s_delay_alu instid0(VALU_DEP_1) | instskip(SKIP_1) | instid1(SALU_CYCLE_1)
	v_cmp_ne_u32_e32 vcc_lo, 0x7f800000, v87
                                        ; implicit-def: $vgpr87
	s_and_saveexec_b32 s4, vcc_lo
	s_xor_b32 s4, exec_lo, s4
; %bb.37:
	v_bfe_u32 v87, v84, 16, 1
	s_delay_alu instid0(VALU_DEP_1)
	v_add3_u32 v87, v84, v87, 0x7fff
                                        ; implicit-def: $vgpr84
; %bb.38:
	s_and_not1_saveexec_b32 s4, s4
; %bb.39:
	v_and_b32_e32 v87, 0xffff, v84
	v_or_b32_e32 v90, 0x10000, v84
	s_delay_alu instid0(VALU_DEP_2) | instskip(NEXT) | instid1(VALU_DEP_2)
	v_cmp_eq_u32_e32 vcc_lo, 0, v87
	v_cndmask_b32_e32 v87, v90, v84, vcc_lo
; %bb.40:
	s_or_b32 exec_lo, exec_lo, s4
	v_and_b32_e32 v84, 0x7f800000, v80
	s_delay_alu instid0(VALU_DEP_1) | instskip(SKIP_1) | instid1(SALU_CYCLE_1)
	v_cmp_ne_u32_e32 vcc_lo, 0x7f800000, v84
                                        ; implicit-def: $vgpr84
	s_and_saveexec_b32 s4, vcc_lo
	s_xor_b32 s4, exec_lo, s4
; %bb.41:
	v_bfe_u32 v84, v80, 16, 1
	s_delay_alu instid0(VALU_DEP_1)
	v_add3_u32 v84, v80, v84, 0x7fff
                                        ; implicit-def: $vgpr80
; %bb.42:
	s_and_not1_saveexec_b32 s4, s4
; %bb.43:
	v_and_b32_e32 v84, 0xffff, v80
	v_or_b32_e32 v90, 0x10000, v80
	s_delay_alu instid0(VALU_DEP_2) | instskip(NEXT) | instid1(VALU_DEP_2)
	v_cmp_eq_u32_e32 vcc_lo, 0, v84
	v_cndmask_b32_e32 v84, v90, v80, vcc_lo
; %bb.44:
	s_or_b32 exec_lo, exec_lo, s4
	s_load_b64 s[36:37], s[0:1], 0x94
	v_lshlrev_b32_e32 v91, 4, v74
	s_delay_alu instid0(VALU_DEP_2)
	v_perm_b32 v90, v84, v87, 0x7060302
	v_dual_mul_f32 v79, v82, v79 :: v_dual_lshlrev_b32 v80, 6, v65
	v_dual_mul_f32 v77, v82, v77 :: v_dual_lshlrev_b32 v92, 11, v66
	v_mul_f32_e32 v84, v82, v70
	v_perm_b32 v89, v88, v89, 0x7060302
	v_perm_b32 v88, v86, v85, 0x7060302
	;; [unrolled: 1-line block ×3, first 2 shown]
	v_mul_f32_e32 v70, v82, v81
	v_or3_b32 v76, v91, v92, v80
	v_dual_mul_f32 v78, v82, v78 :: v_dual_and_b32 v85, 0x7f800000, v84
	v_mul_f32_e32 v83, v82, v72
	v_mul_f32_e32 v81, v82, v71
	;; [unrolled: 1-line block ×3, first 2 shown]
	s_mov_b32 s4, exec_lo
	ds_store_b128 v76, v[87:90]
                                        ; implicit-def: $vgpr69
	v_cmpx_ne_u32_e32 0x7f800000, v85
	s_xor_b32 s4, exec_lo, s4
; %bb.45:
	v_bfe_u32 v69, v84, 16, 1
	s_delay_alu instid0(VALU_DEP_1)
	v_add3_u32 v69, v84, v69, 0x7fff
                                        ; implicit-def: $vgpr84
; %bb.46:
	s_and_not1_saveexec_b32 s4, s4
; %bb.47:
	v_and_b32_e32 v69, 0xffff, v84
	v_or_b32_e32 v71, 0x10000, v84
	s_delay_alu instid0(VALU_DEP_2) | instskip(NEXT) | instid1(VALU_DEP_2)
	v_cmp_eq_u32_e32 vcc_lo, 0, v69
	v_cndmask_b32_e32 v69, v71, v84, vcc_lo
; %bb.48:
	s_or_b32 exec_lo, exec_lo, s4
	v_and_b32_e32 v71, 0x7f800000, v72
	s_delay_alu instid0(VALU_DEP_1) | instskip(SKIP_1) | instid1(SALU_CYCLE_1)
	v_cmp_ne_u32_e32 vcc_lo, 0x7f800000, v71
                                        ; implicit-def: $vgpr71
	s_and_saveexec_b32 s4, vcc_lo
	s_xor_b32 s4, exec_lo, s4
; %bb.49:
	v_bfe_u32 v71, v72, 16, 1
	s_delay_alu instid0(VALU_DEP_1)
	v_add3_u32 v71, v72, v71, 0x7fff
                                        ; implicit-def: $vgpr72
; %bb.50:
	s_and_not1_saveexec_b32 s4, s4
; %bb.51:
	v_and_b32_e32 v71, 0xffff, v72
	v_or_b32_e32 v82, 0x10000, v72
	s_delay_alu instid0(VALU_DEP_2) | instskip(NEXT) | instid1(VALU_DEP_2)
	v_cmp_eq_u32_e32 vcc_lo, 0, v71
	v_cndmask_b32_e32 v71, v82, v72, vcc_lo
; %bb.52:
	s_or_b32 exec_lo, exec_lo, s4
	v_and_b32_e32 v72, 0x7f800000, v81
	s_delay_alu instid0(VALU_DEP_1) | instskip(SKIP_1) | instid1(SALU_CYCLE_1)
	v_cmp_ne_u32_e32 vcc_lo, 0x7f800000, v72
                                        ; implicit-def: $vgpr72
	s_and_saveexec_b32 s4, vcc_lo
	s_xor_b32 s4, exec_lo, s4
; %bb.53:
	v_bfe_u32 v72, v81, 16, 1
	s_delay_alu instid0(VALU_DEP_1)
	v_add3_u32 v72, v81, v72, 0x7fff
                                        ; implicit-def: $vgpr81
; %bb.54:
	s_and_not1_saveexec_b32 s4, s4
; %bb.55:
	v_and_b32_e32 v72, 0xffff, v81
	v_or_b32_e32 v82, 0x10000, v81
	s_delay_alu instid0(VALU_DEP_2) | instskip(NEXT) | instid1(VALU_DEP_2)
	v_cmp_eq_u32_e32 vcc_lo, 0, v72
	v_cndmask_b32_e32 v72, v82, v81, vcc_lo
; %bb.56:
	s_or_b32 exec_lo, exec_lo, s4
	v_and_b32_e32 v81, 0x7f800000, v83
	s_delay_alu instid0(VALU_DEP_1) | instskip(SKIP_1) | instid1(SALU_CYCLE_1)
	v_cmp_ne_u32_e32 vcc_lo, 0x7f800000, v81
                                        ; implicit-def: $vgpr81
	s_and_saveexec_b32 s4, vcc_lo
	s_xor_b32 s4, exec_lo, s4
; %bb.57:
	v_bfe_u32 v81, v83, 16, 1
	s_delay_alu instid0(VALU_DEP_1)
	v_add3_u32 v81, v83, v81, 0x7fff
                                        ; implicit-def: $vgpr83
; %bb.58:
	s_and_not1_saveexec_b32 s4, s4
; %bb.59:
	v_and_b32_e32 v81, 0xffff, v83
	v_or_b32_e32 v82, 0x10000, v83
	s_delay_alu instid0(VALU_DEP_2) | instskip(NEXT) | instid1(VALU_DEP_2)
	v_cmp_eq_u32_e32 vcc_lo, 0, v81
	v_cndmask_b32_e32 v81, v82, v83, vcc_lo
; %bb.60:
	s_or_b32 exec_lo, exec_lo, s4
	v_and_b32_e32 v82, 0x7f800000, v77
	s_delay_alu instid0(VALU_DEP_1) | instskip(SKIP_1) | instid1(SALU_CYCLE_1)
	v_cmp_ne_u32_e32 vcc_lo, 0x7f800000, v82
                                        ; implicit-def: $vgpr82
	s_and_saveexec_b32 s4, vcc_lo
	s_xor_b32 s4, exec_lo, s4
; %bb.61:
	v_bfe_u32 v82, v77, 16, 1
	s_delay_alu instid0(VALU_DEP_1)
	v_add3_u32 v82, v77, v82, 0x7fff
                                        ; implicit-def: $vgpr77
; %bb.62:
	s_and_not1_saveexec_b32 s4, s4
; %bb.63:
	v_and_b32_e32 v82, 0xffff, v77
	v_or_b32_e32 v83, 0x10000, v77
	s_delay_alu instid0(VALU_DEP_2) | instskip(NEXT) | instid1(VALU_DEP_2)
	v_cmp_eq_u32_e32 vcc_lo, 0, v82
	v_cndmask_b32_e32 v82, v83, v77, vcc_lo
; %bb.64:
	s_or_b32 exec_lo, exec_lo, s4
	v_and_b32_e32 v77, 0x7f800000, v78
	s_delay_alu instid0(VALU_DEP_1) | instskip(SKIP_1) | instid1(SALU_CYCLE_1)
	v_cmp_ne_u32_e32 vcc_lo, 0x7f800000, v77
                                        ; implicit-def: $vgpr77
	s_and_saveexec_b32 s4, vcc_lo
	s_xor_b32 s4, exec_lo, s4
; %bb.65:
	v_bfe_u32 v77, v78, 16, 1
	s_delay_alu instid0(VALU_DEP_1)
	v_add3_u32 v77, v78, v77, 0x7fff
                                        ; implicit-def: $vgpr78
; %bb.66:
	s_and_not1_saveexec_b32 s4, s4
; %bb.67:
	v_and_b32_e32 v77, 0xffff, v78
	v_or_b32_e32 v83, 0x10000, v78
	s_delay_alu instid0(VALU_DEP_2) | instskip(NEXT) | instid1(VALU_DEP_2)
	v_cmp_eq_u32_e32 vcc_lo, 0, v77
	v_cndmask_b32_e32 v77, v83, v78, vcc_lo
; %bb.68:
	s_or_b32 exec_lo, exec_lo, s4
	v_and_b32_e32 v78, 0x7f800000, v79
	s_delay_alu instid0(VALU_DEP_1) | instskip(SKIP_1) | instid1(SALU_CYCLE_1)
	v_cmp_ne_u32_e32 vcc_lo, 0x7f800000, v78
                                        ; implicit-def: $vgpr78
	s_and_saveexec_b32 s4, vcc_lo
	s_xor_b32 s4, exec_lo, s4
; %bb.69:
	v_bfe_u32 v78, v79, 16, 1
	s_delay_alu instid0(VALU_DEP_1)
	v_add3_u32 v78, v79, v78, 0x7fff
                                        ; implicit-def: $vgpr79
; %bb.70:
	s_and_not1_saveexec_b32 s4, s4
; %bb.71:
	v_and_b32_e32 v78, 0xffff, v79
	v_or_b32_e32 v83, 0x10000, v79
	s_delay_alu instid0(VALU_DEP_2) | instskip(NEXT) | instid1(VALU_DEP_2)
	v_cmp_eq_u32_e32 vcc_lo, 0, v78
	v_cndmask_b32_e32 v78, v83, v79, vcc_lo
; %bb.72:
	s_or_b32 exec_lo, exec_lo, s4
	v_and_b32_e32 v79, 0x7f800000, v70
	s_delay_alu instid0(VALU_DEP_1) | instskip(SKIP_1) | instid1(SALU_CYCLE_1)
	v_cmp_ne_u32_e32 vcc_lo, 0x7f800000, v79
                                        ; implicit-def: $vgpr79
	s_and_saveexec_b32 s4, vcc_lo
	s_xor_b32 s4, exec_lo, s4
; %bb.73:
	v_bfe_u32 v79, v70, 16, 1
	s_delay_alu instid0(VALU_DEP_1)
	v_add3_u32 v79, v70, v79, 0x7fff
                                        ; implicit-def: $vgpr70
; %bb.74:
	s_and_not1_saveexec_b32 s4, s4
; %bb.75:
	v_and_b32_e32 v79, 0xffff, v70
	v_or_b32_e32 v83, 0x10000, v70
	s_delay_alu instid0(VALU_DEP_2) | instskip(NEXT) | instid1(VALU_DEP_2)
	v_cmp_eq_u32_e32 vcc_lo, 0, v79
	v_cndmask_b32_e32 v79, v83, v70, vcc_lo
; %bb.76:
	s_or_b32 exec_lo, exec_lo, s4
	s_delay_alu instid0(VALU_DEP_1)
	v_perm_b32 v86, v79, v78, 0x7060302
	v_perm_b32 v85, v77, v82, 0x7060302
	;; [unrolled: 1-line block ×4, first 2 shown]
	v_lshl_or_b32 v82, v66, 11, v80
	ds_store_b128 v76, v[83:86] offset:1024
	s_waitcnt lgkmcnt(0)
	s_barrier
	buffer_gl0_inv
	ds_load_b128 v[69:72], v82
	ds_load_b128 v[83:86], v82 offset:16
	s_waitcnt lgkmcnt(1)
	v_lshrrev_b32_e32 v66, 16, v69
	s_waitcnt lgkmcnt(0)
	v_lshrrev_b32_e32 v91, 16, v83
	v_lshlrev_b32_e32 v78, 2, v74
	v_lshrrev_b32_e32 v95, 16, v70
	v_lshrrev_b32_e32 v98, 16, v84
	;; [unrolled: 1-line block ×4, first 2 shown]
	v_cmp_eq_u32_e32 vcc_lo, 1, v78
	v_lshrrev_b32_e32 v97, 16, v72
	v_lshrrev_b32_e32 v100, 16, v86
	v_cndmask_b32_e32 v87, v83, v91, vcc_lo
	v_or_b32_e32 v79, 1, v78
	v_cndmask_b32_e32 v81, v69, v66, vcc_lo
	v_cmp_eq_u32_e64 s5, 2, v78
	v_cmp_eq_u32_e64 s8, 3, v78
	;; [unrolled: 1-line block ×5, first 2 shown]
	v_cndmask_b32_e64 v81, v81, v70, s5
	v_cndmask_b32_e64 v87, v87, v84, s5
	v_cmp_eq_u32_e64 s9, 3, v79
	v_cndmask_b32_e64 v88, v69, v66, s4
	v_or_b32_e32 v77, 2, v78
	v_cndmask_b32_e64 v81, v81, v95, s8
	v_cndmask_b32_e64 v87, v87, v98, s8
	;; [unrolled: 1-line block ×4, first 2 shown]
	v_cmp_eq_u32_e64 s11, 5, v78
	v_cndmask_b32_e64 v81, v81, v71, s10
	v_cndmask_b32_e64 v87, v87, v85, s10
	v_cmp_eq_u32_e64 s12, 4, v79
	v_cndmask_b32_e64 v88, v88, v95, s9
	v_cmp_eq_u32_e64 s6, 1, v77
	v_cndmask_b32_e64 v89, v89, v84, s7
	v_cndmask_b32_e64 v81, v81, v96, s11
	v_cmp_eq_u32_e64 s13, 6, v78
	v_cndmask_b32_e64 v88, v88, v71, s12
	;; [unrolled: 3-line block ×3, first 2 shown]
	v_cndmask_b32_e64 v89, v89, v98, s9
	v_cndmask_b32_e64 v81, v81, v72, s13
	v_cmp_eq_u32_e64 s16, 7, v78
	v_cndmask_b32_e64 v88, v88, v96, s15
	v_cndmask_b32_e64 v87, v87, v86, s13
	v_cmp_eq_u32_e64 s17, 6, v79
	v_cmp_eq_u32_e64 s18, 2, v77
	v_cndmask_b32_e64 v89, v89, v85, s12
	v_cndmask_b32_e64 v101, v81, v97, s16
	;; [unrolled: 1-line block ×6, first 2 shown]
	v_cmp_eq_u32_e64 s19, 7, v79
	v_cmp_eq_u32_e64 s20, 3, v77
	v_cmp_eq_u32_e64 s21, 4, v77
	v_cmp_eq_u32_e64 s23, 5, v77
	v_cndmask_b32_e64 v87, v87, v84, s18
	v_cndmask_b32_e64 v103, v88, v97, s19
	;; [unrolled: 1-line block ×4, first 2 shown]
	v_or_b32_e32 v81, 3, v78
	v_cndmask_b32_e64 v93, v87, v98, s20
	v_cmp_eq_u32_e64 s25, 6, v77
	v_cndmask_b32_e64 v104, v88, v86, s17
	v_cndmask_b32_e64 v92, v89, v71, s21
	v_cmp_eq_u32_e64 s22, 1, v81
	ds_load_b128 v[87:90], v82 offset:1024
	v_cmp_eq_u32_e64 s24, 2, v81
	v_cmp_eq_u32_e64 s26, 3, v81
	v_cndmask_b32_e64 v105, v92, v96, s23
	v_cndmask_b32_e64 v66, v69, v66, s22
	;; [unrolled: 1-line block ×4, first 2 shown]
	ds_load_b128 v[91:94], v82 offset:1040
	v_cmp_eq_u32_e64 s27, 4, v81
	v_cndmask_b32_e64 v66, v66, v70, s24
	v_cmp_eq_u32_e64 s28, 7, v77
	v_cndmask_b32_e64 v70, v83, v84, s24
	v_cndmask_b32_e64 v84, v105, v72, s25
	v_cmp_eq_u32_e64 s29, 5, v81
	v_cndmask_b32_e64 v66, v66, v95, s26
	v_cmp_eq_u32_e64 s30, 6, v81
	v_cndmask_b32_e64 v70, v70, v98, s26
	v_cndmask_b32_e64 v69, v69, v99, s23
	;; [unrolled: 1-line block ×4, first 2 shown]
	s_waitcnt lgkmcnt(1)
	v_lshrrev_b32_e32 v95, 16, v87
	v_cndmask_b32_e64 v70, v70, v85, s27
	v_cndmask_b32_e64 v71, v84, v97, s28
	;; [unrolled: 1-line block ×4, first 2 shown]
	v_cndmask_b32_e32 v84, v87, v95, vcc_lo
	v_cndmask_b32_e64 v70, v70, v99, s29
	s_waitcnt lgkmcnt(0)
	v_lshrrev_b32_e32 v85, 16, v91
	v_lshrrev_b32_e32 v96, 16, v88
	v_cndmask_b32_e64 v98, v87, v95, s4
	v_cndmask_b32_e64 v84, v84, v88, s5
	v_cndmask_b32_e64 v70, v70, v86, s30
	v_cndmask_b32_e32 v99, v91, v85, vcc_lo
	v_cmp_eq_u32_e32 vcc_lo, 7, v81
	v_cndmask_b32_e64 v66, v66, v72, s30
	v_cndmask_b32_e64 v72, v84, v96, s8
	;; [unrolled: 1-line block ×3, first 2 shown]
	v_lshrrev_b32_e32 v98, 16, v92
	v_cndmask_b32_e32 v70, v70, v100, vcc_lo
	v_cndmask_b32_e64 v86, v99, v92, s5
	v_cndmask_b32_e64 v69, v69, v100, s28
	v_lshrrev_b32_e32 v100, 16, v93
	v_cndmask_b32_e64 v72, v72, v89, s10
	v_lshrrev_b32_e32 v99, 16, v89
	v_cndmask_b32_e64 v86, v86, v98, s8
	v_perm_b32 v71, v69, v71, 0x5040100
	v_cndmask_b32_e64 v84, v84, v96, s9
	s_delay_alu instid0(VALU_DEP_3) | instskip(NEXT) | instid1(VALU_DEP_2)
	v_cndmask_b32_e64 v86, v86, v93, s10
	v_cndmask_b32_e64 v84, v84, v89, s12
	s_delay_alu instid0(VALU_DEP_2) | instskip(NEXT) | instid1(VALU_DEP_1)
	v_cndmask_b32_e64 v86, v86, v100, s11
	v_cndmask_b32_e64 v69, v86, v94, s13
	;; [unrolled: 1-line block ×5, first 2 shown]
	s_delay_alu instid0(VALU_DEP_3) | instskip(NEXT) | instid1(VALU_DEP_3)
	v_cndmask_b32_e64 v86, v86, v88, s18
	v_cndmask_b32_e64 v87, v87, v88, s24
	s_delay_alu instid0(VALU_DEP_3) | instskip(NEXT) | instid1(VALU_DEP_3)
	v_cndmask_b32_e64 v88, v95, v92, s24
	v_cndmask_b32_e64 v86, v86, v96, s20
	;; [unrolled: 3-line block ×7, first 2 shown]
	s_delay_alu instid0(VALU_DEP_3) | instskip(SKIP_2) | instid1(VALU_DEP_2)
	v_cndmask_b32_e64 v88, v88, v94, s30
	v_cndmask_b32_e32 v66, v66, v97, vcc_lo
	v_cndmask_b32_e64 v97, v72, v99, s11
	v_perm_b32 v72, v70, v66, 0x5040100
	v_perm_b32 v70, v83, v103, 0x5040100
	v_cndmask_b32_e64 v103, v91, v85, s6
	v_cndmask_b32_e64 v85, v91, v85, s4
	v_cndmask_b32_e64 v66, v84, v99, s15
	v_cndmask_b32_e64 v84, v97, v90, s13
	v_lshrrev_b32_e32 v97, 16, v90
	v_cndmask_b32_e64 v91, v103, v92, s18
	v_cndmask_b32_e64 v85, v85, v92, s7
	;; [unrolled: 1-line block ×3, first 2 shown]
	s_mov_b32 s4, exec_lo
	v_cndmask_b32_e64 v83, v84, v97, s16
	v_cndmask_b32_e64 v91, v91, v98, s20
	;; [unrolled: 1-line block ×3, first 2 shown]
	v_lshrrev_b32_e32 v84, 16, v94
	v_cndmask_b32_e64 v66, v66, v97, s19
	v_cndmask_b32_e64 v90, v86, v97, s28
	;; [unrolled: 1-line block ×4, first 2 shown]
	v_dual_cndmask_b32 v86, v87, v97 :: v_dual_cndmask_b32 v87, v88, v84
	v_cndmask_b32_e64 v91, v69, v84, s16
	s_delay_alu instid0(VALU_DEP_4) | instskip(NEXT) | instid1(VALU_DEP_4)
	v_cndmask_b32_e64 v89, v89, v100, s23
	v_cndmask_b32_e64 v85, v85, v100, s15
	v_perm_b32 v69, v102, v101, 0x5040100
	v_perm_b32 v86, v87, v86, 0x5040100
	;; [unrolled: 1-line block ×3, first 2 shown]
	v_cndmask_b32_e64 v89, v89, v94, s25
	v_cndmask_b32_e64 v85, v85, v94, s17
	s_mul_i32 s9, s37, 3
	s_delay_alu instid0(VALU_DEP_2) | instskip(NEXT) | instid1(VALU_DEP_2)
	v_cndmask_b32_e64 v88, v89, v84, s28
	v_cndmask_b32_e64 v89, v85, v84, s19
	s_delay_alu instid0(VALU_DEP_2) | instskip(NEXT) | instid1(VALU_DEP_2)
	v_perm_b32 v85, v88, v90, 0x5040100
	v_perm_b32 v84, v89, v66, 0x5040100
	ds_store_b128 v76, v[69:72]
	ds_store_b128 v76, v[83:86] offset:1024
	v_cmpx_gt_u32_e32 3, v0
	s_cbranch_execz .LBB1712_78
; %bb.77:
	s_mul_i32 s5, s9, s34
	s_load_b128 s[16:19], s[0:1], 0x58
	v_add3_u32 v69, s5, s31, v65
	s_delay_alu instid0(VALU_DEP_1) | instskip(NEXT) | instid1(VALU_DEP_1)
	v_mad_u64_u32 v[65:66], null, v69, s36, s[14:15]
	v_ashrrev_i32_e32 v66, 31, v65
	s_delay_alu instid0(VALU_DEP_1) | instskip(SKIP_1) | instid1(VALU_DEP_1)
	v_lshlrev_b64 v[65:66], 2, v[65:66]
	s_waitcnt lgkmcnt(0)
	v_add_co_u32 v69, vcc_lo, s18, v65
	s_delay_alu instid0(VALU_DEP_2)
	v_add_co_ci_u32_e32 v70, vcc_lo, s19, v66, vcc_lo
	v_add_co_u32 v65, vcc_lo, s16, v65
	v_add_co_ci_u32_e32 v66, vcc_lo, s17, v66, vcc_lo
	global_store_b32 v[69:70], v67, off
	global_store_b32 v[65:66], v68, off
.LBB1712_78:
	s_or_b32 exec_lo, exec_lo, s4
	s_waitcnt lgkmcnt(0)
	s_waitcnt_vscnt null, 0x0
	s_barrier
	buffer_gl0_inv
	ds_load_b128 v[83:86], v80
	ds_load_b128 v[87:90], v80 offset:16
	ds_load_b128 v[95:98], v80 offset:2064
	;; [unrolled: 1-line block ×3, first 2 shown]
	v_mov_b32_e32 v65, 0
	ds_load_b128 v[103:106], v80 offset:4112
	ds_load_b128 v[99:102], v80 offset:4096
	;; [unrolled: 1-line block ×4, first 2 shown]
	v_mov_b32_e32 v66, v65
	v_mov_b32_e32 v67, v65
	v_mov_b32_e32 v68, v65
	v_mov_b32_e32 v69, v65
	v_mov_b32_e32 v70, v65
	v_mov_b32_e32 v71, v65
	v_mov_b32_e32 v72, v65
	s_waitcnt lgkmcnt(6)
	s_delay_alu instid0(VALU_DEP_1)
	v_wmma_f32_16x16x16_bf16 v[65:72], v[57:64], v[83:90], v[65:72]
	ds_load_b128 v[61:64], v80 offset:8208
	ds_load_b128 v[57:60], v80 offset:8192
	s_waitcnt lgkmcnt(6)
	v_wmma_f32_16x16x16_bf16 v[65:72], v[41:48], v[91:98], v[65:72]
	ds_load_b128 v[45:48], v80 offset:10256
	ds_load_b128 v[41:44], v80 offset:10240
	s_waitcnt lgkmcnt(6)
	;; [unrolled: 4-line block ×4, first 2 shown]
	v_wmma_f32_16x16x16_bf16 v[65:72], v[1:8], v[57:64], v[65:72]
	s_waitcnt lgkmcnt(4)
	s_delay_alu instid0(VALU_DEP_1) | instskip(SKIP_1) | instid1(VALU_DEP_1)
	v_wmma_f32_16x16x16_bf16 v[65:72], v[9:16], v[41:48], v[65:72]
	s_waitcnt lgkmcnt(2)
	v_wmma_f32_16x16x16_bf16 v[65:72], v[17:24], v[33:40], v[65:72]
	s_waitcnt lgkmcnt(0)
	s_delay_alu instid0(VALU_DEP_1) | instskip(NEXT) | instid1(VALU_DEP_1)
	v_wmma_f32_16x16x16_bf16 v[65:72], v[49:56], v[25:32], v[65:72]
	v_and_b32_e32 v1, 0x7f800000, v65
	s_delay_alu instid0(VALU_DEP_1) | instskip(SKIP_1) | instid1(SALU_CYCLE_1)
	v_cmp_ne_u32_e32 vcc_lo, 0x7f800000, v1
                                        ; implicit-def: $vgpr1
	s_and_saveexec_b32 s4, vcc_lo
	s_xor_b32 s4, exec_lo, s4
; %bb.79:
	v_bfe_u32 v1, v65, 16, 1
	s_delay_alu instid0(VALU_DEP_1)
	v_add3_u32 v1, v65, v1, 0x7fff
; %bb.80:
	s_and_not1_saveexec_b32 s4, s4
; %bb.81:
	v_and_b32_e32 v1, 0xffff, v65
	v_or_b32_e32 v2, 0x10000, v65
	s_delay_alu instid0(VALU_DEP_2) | instskip(NEXT) | instid1(VALU_DEP_2)
	v_cmp_eq_u32_e32 vcc_lo, 0, v1
	v_cndmask_b32_e32 v1, v2, v65, vcc_lo
; %bb.82:
	s_or_b32 exec_lo, exec_lo, s4
	v_and_b32_e32 v2, 0x7f800000, v66
	s_delay_alu instid0(VALU_DEP_1) | instskip(SKIP_1) | instid1(SALU_CYCLE_1)
	v_cmp_ne_u32_e32 vcc_lo, 0x7f800000, v2
                                        ; implicit-def: $vgpr2
	s_and_saveexec_b32 s4, vcc_lo
	s_xor_b32 s4, exec_lo, s4
; %bb.83:
	v_bfe_u32 v2, v66, 16, 1
	s_delay_alu instid0(VALU_DEP_1)
	v_add3_u32 v2, v66, v2, 0x7fff
; %bb.84:
	s_and_not1_saveexec_b32 s4, s4
; %bb.85:
	v_and_b32_e32 v2, 0xffff, v66
	v_or_b32_e32 v3, 0x10000, v66
	s_delay_alu instid0(VALU_DEP_2) | instskip(NEXT) | instid1(VALU_DEP_2)
	v_cmp_eq_u32_e32 vcc_lo, 0, v2
	v_cndmask_b32_e32 v2, v3, v66, vcc_lo
; %bb.86:
	s_or_b32 exec_lo, exec_lo, s4
	v_and_b32_e32 v3, 0x7f800000, v67
	s_delay_alu instid0(VALU_DEP_1) | instskip(SKIP_1) | instid1(SALU_CYCLE_1)
	v_cmp_ne_u32_e32 vcc_lo, 0x7f800000, v3
                                        ; implicit-def: $vgpr3
	s_and_saveexec_b32 s4, vcc_lo
	s_xor_b32 s4, exec_lo, s4
; %bb.87:
	v_bfe_u32 v3, v67, 16, 1
	s_delay_alu instid0(VALU_DEP_1)
	v_add3_u32 v3, v67, v3, 0x7fff
; %bb.88:
	s_and_not1_saveexec_b32 s4, s4
; %bb.89:
	v_and_b32_e32 v3, 0xffff, v67
	v_or_b32_e32 v4, 0x10000, v67
	s_delay_alu instid0(VALU_DEP_2) | instskip(NEXT) | instid1(VALU_DEP_2)
	v_cmp_eq_u32_e32 vcc_lo, 0, v3
	v_cndmask_b32_e32 v3, v4, v67, vcc_lo
; %bb.90:
	s_or_b32 exec_lo, exec_lo, s4
	v_and_b32_e32 v4, 0x7f800000, v68
	s_delay_alu instid0(VALU_DEP_1) | instskip(SKIP_1) | instid1(SALU_CYCLE_1)
	v_cmp_ne_u32_e32 vcc_lo, 0x7f800000, v4
                                        ; implicit-def: $vgpr4
	s_and_saveexec_b32 s4, vcc_lo
	s_xor_b32 s4, exec_lo, s4
; %bb.91:
	v_bfe_u32 v4, v68, 16, 1
	s_delay_alu instid0(VALU_DEP_1)
	v_add3_u32 v4, v68, v4, 0x7fff
; %bb.92:
	s_and_not1_saveexec_b32 s4, s4
; %bb.93:
	v_and_b32_e32 v4, 0xffff, v68
	v_or_b32_e32 v5, 0x10000, v68
	s_delay_alu instid0(VALU_DEP_2) | instskip(NEXT) | instid1(VALU_DEP_2)
	v_cmp_eq_u32_e32 vcc_lo, 0, v4
	v_cndmask_b32_e32 v4, v5, v68, vcc_lo
; %bb.94:
	s_or_b32 exec_lo, exec_lo, s4
	v_and_b32_e32 v5, 0x7f800000, v69
	s_delay_alu instid0(VALU_DEP_1) | instskip(SKIP_1) | instid1(SALU_CYCLE_1)
	v_cmp_ne_u32_e32 vcc_lo, 0x7f800000, v5
                                        ; implicit-def: $vgpr5
	s_and_saveexec_b32 s4, vcc_lo
	s_xor_b32 s4, exec_lo, s4
; %bb.95:
	v_bfe_u32 v5, v69, 16, 1
	s_delay_alu instid0(VALU_DEP_1)
	v_add3_u32 v5, v69, v5, 0x7fff
; %bb.96:
	s_and_not1_saveexec_b32 s4, s4
; %bb.97:
	v_and_b32_e32 v5, 0xffff, v69
	v_or_b32_e32 v6, 0x10000, v69
	s_delay_alu instid0(VALU_DEP_2) | instskip(NEXT) | instid1(VALU_DEP_2)
	v_cmp_eq_u32_e32 vcc_lo, 0, v5
	v_cndmask_b32_e32 v5, v6, v69, vcc_lo
; %bb.98:
	s_or_b32 exec_lo, exec_lo, s4
	v_and_b32_e32 v6, 0x7f800000, v70
	s_delay_alu instid0(VALU_DEP_1) | instskip(SKIP_1) | instid1(SALU_CYCLE_1)
	v_cmp_ne_u32_e32 vcc_lo, 0x7f800000, v6
                                        ; implicit-def: $vgpr6
	s_and_saveexec_b32 s4, vcc_lo
	s_xor_b32 s4, exec_lo, s4
; %bb.99:
	v_bfe_u32 v6, v70, 16, 1
	s_delay_alu instid0(VALU_DEP_1)
	v_add3_u32 v6, v70, v6, 0x7fff
; %bb.100:
	s_and_not1_saveexec_b32 s4, s4
; %bb.101:
	v_and_b32_e32 v6, 0xffff, v70
	v_or_b32_e32 v7, 0x10000, v70
	s_delay_alu instid0(VALU_DEP_2) | instskip(NEXT) | instid1(VALU_DEP_2)
	v_cmp_eq_u32_e32 vcc_lo, 0, v6
	v_cndmask_b32_e32 v6, v7, v70, vcc_lo
; %bb.102:
	s_or_b32 exec_lo, exec_lo, s4
	v_and_b32_e32 v7, 0x7f800000, v71
	s_delay_alu instid0(VALU_DEP_1) | instskip(SKIP_1) | instid1(SALU_CYCLE_1)
	v_cmp_ne_u32_e32 vcc_lo, 0x7f800000, v7
                                        ; implicit-def: $vgpr7
	s_and_saveexec_b32 s4, vcc_lo
	s_xor_b32 s4, exec_lo, s4
; %bb.103:
	v_bfe_u32 v7, v71, 16, 1
	s_delay_alu instid0(VALU_DEP_1)
	v_add3_u32 v7, v71, v7, 0x7fff
; %bb.104:
	s_and_not1_saveexec_b32 s4, s4
; %bb.105:
	v_and_b32_e32 v7, 0xffff, v71
	v_or_b32_e32 v8, 0x10000, v71
	s_delay_alu instid0(VALU_DEP_2) | instskip(NEXT) | instid1(VALU_DEP_2)
	v_cmp_eq_u32_e32 vcc_lo, 0, v7
	v_cndmask_b32_e32 v7, v8, v71, vcc_lo
; %bb.106:
	s_or_b32 exec_lo, exec_lo, s4
	v_and_b32_e32 v8, 0x7f800000, v72
	s_delay_alu instid0(VALU_DEP_1) | instskip(SKIP_1) | instid1(SALU_CYCLE_1)
	v_cmp_ne_u32_e32 vcc_lo, 0x7f800000, v8
                                        ; implicit-def: $vgpr8
	s_and_saveexec_b32 s4, vcc_lo
	s_xor_b32 s4, exec_lo, s4
; %bb.107:
	v_bfe_u32 v8, v72, 16, 1
	s_delay_alu instid0(VALU_DEP_1)
	v_add3_u32 v8, v72, v8, 0x7fff
                                        ; implicit-def: $vgpr65_vgpr66_vgpr67_vgpr68_vgpr69_vgpr70_vgpr71_vgpr72
; %bb.108:
	s_and_not1_saveexec_b32 s4, s4
; %bb.109:
	v_and_b32_e32 v8, 0xffff, v72
	v_or_b32_e32 v9, 0x10000, v72
	s_delay_alu instid0(VALU_DEP_2) | instskip(NEXT) | instid1(VALU_DEP_2)
	v_cmp_eq_u32_e32 vcc_lo, 0, v8
	v_cndmask_b32_e32 v8, v9, v72, vcc_lo
; %bb.110:
	s_or_b32 exec_lo, exec_lo, s4
	s_delay_alu instid0(VALU_DEP_1)
	v_perm_b32 v7, v8, v7, 0x7060302
	v_perm_b32 v6, v6, v5, 0x7060302
	;; [unrolled: 1-line block ×4, first 2 shown]
	s_barrier
	buffer_gl0_inv
	v_cmp_eq_u32_e32 vcc_lo, 1, v78
	ds_store_b128 v76, v[4:7]
	s_waitcnt lgkmcnt(0)
	s_barrier
	buffer_gl0_inv
	ds_load_b128 v[1:4], v82
	ds_load_b128 v[5:8], v82 offset:16
	v_cmp_eq_u32_e64 s4, 1, v79
	v_cmp_eq_u32_e64 s5, 2, v78
	;; [unrolled: 1-line block ×5, first 2 shown]
	s_waitcnt lgkmcnt(1)
	v_lshrrev_b32_e32 v9, 16, v1
	s_waitcnt lgkmcnt(0)
	v_lshrrev_b32_e32 v13, 16, v5
	v_lshrrev_b32_e32 v10, 16, v2
	;; [unrolled: 1-line block ×4, first 2 shown]
	v_cndmask_b32_e64 v19, v1, v9, s4
	v_cndmask_b32_e32 v18, v5, v13, vcc_lo
	v_cndmask_b32_e64 v20, v5, v13, s4
	v_cndmask_b32_e32 v17, v1, v9, vcc_lo
	v_cmp_eq_u32_e32 vcc_lo, 2, v79
	v_lshrrev_b32_e32 v15, 16, v7
	v_cmp_eq_u32_e64 s4, 1, v77
	v_lshrrev_b32_e32 v12, 16, v4
	v_lshrrev_b32_e32 v16, 16, v8
	v_cndmask_b32_e32 v20, v20, v6, vcc_lo
	v_cndmask_b32_e64 v17, v17, v2, s5
	v_cndmask_b32_e32 v19, v19, v2, vcc_lo
	v_cndmask_b32_e64 v18, v18, v6, s5
	v_cmp_eq_u32_e32 vcc_lo, 4, v78
	v_cmp_eq_u32_e64 s5, 3, v79
	v_cndmask_b32_e64 v17, v17, v10, s6
	v_cndmask_b32_e64 v21, v1, v9, s4
	;; [unrolled: 1-line block ×5, first 2 shown]
	v_cndmask_b32_e32 v17, v17, v3, vcc_lo
	v_cndmask_b32_e64 v20, v20, v14, s5
	v_cndmask_b32_e32 v18, v18, v7, vcc_lo
	v_cmp_eq_u32_e32 vcc_lo, 4, v79
	v_cmp_eq_u32_e64 s5, 5, v79
	v_cmp_eq_u32_e64 s4, 2, v81
	v_cndmask_b32_e64 v21, v21, v2, s8
	v_cmp_eq_u32_e64 s6, 5, v78
	v_cndmask_b32_e32 v19, v19, v3, vcc_lo
	v_cndmask_b32_e32 v20, v20, v7, vcc_lo
	v_cmp_eq_u32_e32 vcc_lo, 6, v79
	s_delay_alu instid0(VALU_DEP_4) | instskip(NEXT) | instid1(VALU_DEP_4)
	v_cndmask_b32_e64 v17, v17, v11, s6
	v_cndmask_b32_e64 v19, v19, v11, s5
	s_delay_alu instid0(VALU_DEP_4) | instskip(SKIP_1) | instid1(VALU_DEP_3)
	v_cndmask_b32_e64 v20, v20, v15, s5
	v_cmp_eq_u32_e64 s5, 1, v81
	v_cndmask_b32_e32 v19, v19, v4, vcc_lo
	v_cndmask_b32_e64 v18, v18, v15, s6
	s_delay_alu instid0(VALU_DEP_3)
	v_cndmask_b32_e64 v1, v1, v9, s5
	v_cndmask_b32_e64 v5, v5, v13, s5
	v_cmp_eq_u32_e64 s5, 3, v77
	v_cndmask_b32_e64 v13, v22, v6, s8
	v_cmp_eq_u32_e64 s8, 3, v81
	v_cndmask_b32_e64 v1, v1, v2, s4
	v_cndmask_b32_e64 v2, v5, v6, s4
	;; [unrolled: 1-line block ×3, first 2 shown]
	v_cmp_eq_u32_e64 s4, 4, v77
	v_cndmask_b32_e64 v6, v13, v14, s5
	v_cndmask_b32_e64 v1, v1, v10, s8
	v_cmp_eq_u32_e64 s5, 4, v81
	v_cndmask_b32_e64 v2, v2, v14, s8
	v_cndmask_b32_e64 v5, v9, v3, s4
	;; [unrolled: 3-line block ×3, first 2 shown]
	v_cndmask_b32_e64 v2, v2, v7, s5
	v_cmp_eq_u32_e64 s4, 5, v81
	v_cmp_eq_u32_e64 s6, 6, v78
	v_cndmask_b32_e64 v5, v5, v11, s8
	v_cmp_eq_u32_e64 s5, 6, v77
	v_cndmask_b32_e64 v3, v6, v15, s8
	v_cndmask_b32_e64 v1, v1, v11, s4
	v_cmp_eq_u32_e64 s8, 6, v81
	v_cndmask_b32_e64 v2, v2, v15, s4
	v_cndmask_b32_e64 v17, v17, v4, s6
	v_cndmask_b32_e64 v18, v18, v8, s6
	v_cmp_eq_u32_e64 s6, 7, v78
	v_cndmask_b32_e64 v5, v5, v4, s5
	;; [unrolled: 4-line block ×3, first 2 shown]
	v_cmp_eq_u32_e64 s5, 7, v77
	v_cndmask_b32_e32 v4, v20, v8, vcc_lo
	v_cndmask_b32_e64 v17, v17, v12, s6
	v_cndmask_b32_e64 v19, v19, v12, s7
	;; [unrolled: 1-line block ×8, first 2 shown]
	v_cmp_gt_u32_e32 vcc_lo, 32, v0
	v_perm_b32 v4, v2, v1, 0x5040100
	v_perm_b32 v3, v3, v5, 0x5040100
	;; [unrolled: 1-line block ×4, first 2 shown]
	s_and_b32 s2, vcc_lo, s2
	ds_store_b128 v76, v[1:4]
	s_waitcnt lgkmcnt(0)
	s_barrier
	buffer_gl0_inv
	s_and_saveexec_b32 s4, s2
	s_cbranch_execz .LBB1712_2
; %bb.111:
	s_load_b64 s[4:5], s[0:1], 0x68
	v_lshlrev_b32_e32 v0, 10, v0
	v_lshlrev_b32_e32 v2, 4, v75
	v_add_nc_u32_e32 v1, s31, v74
	s_lshl_b32 s0, s36, 6
	s_delay_alu instid0(SALU_CYCLE_1) | instskip(NEXT) | instid1(VALU_DEP_2)
	s_mul_i32 s1, s0, s34
	v_and_or_b32 v0, 0x3800, v0, v2
	s_mul_i32 s6, s1, s9
	v_mul_lo_u32 v1, v1, s0
	s_ashr_i32 s7, s6, 31
	s_delay_alu instid0(VALU_DEP_2) | instskip(SKIP_1) | instid1(VALU_DEP_2)
	v_lshl_or_b32 v3, v74, 6, v0
	s_lshl_b64 s[6:7], s[6:7], 1
	v_ashrrev_i32_e32 v2, 31, v1
	ds_load_b128 v[3:6], v3
	s_waitcnt lgkmcnt(0)
	s_add_u32 s1, s4, s6
	s_addc_u32 s2, s5, s7
	s_lshl_b32 s4, s14, 6
	v_lshlrev_b64 v[7:8], 1, v[1:2]
	s_ashr_i32 s5, s4, 31
	s_delay_alu instid0(SALU_CYCLE_1) | instskip(NEXT) | instid1(SALU_CYCLE_1)
	s_lshl_b64 s[4:5], s[4:5], 1
	s_add_u32 s1, s1, s4
	s_addc_u32 s2, s2, s5
	v_add_co_u32 v1, s1, s1, v73
	s_delay_alu instid0(VALU_DEP_1) | instskip(NEXT) | instid1(VALU_DEP_2)
	v_add_co_ci_u32_e64 v2, null, s2, 0, s1
	v_add_co_u32 v7, vcc_lo, v1, v7
	s_delay_alu instid0(VALU_DEP_2)
	v_add_co_ci_u32_e32 v8, vcc_lo, v2, v8, vcc_lo
	global_store_b128 v[7:8], v[3:6], off
	s_and_b32 exec_lo, exec_lo, s3
	s_cbranch_execz .LBB1712_2
; %bb.112:
	ds_load_b128 v[3:6], v0 offset:128
	s_add_i32 s1, s31, 2
	s_delay_alu instid0(SALU_CYCLE_1) | instskip(NEXT) | instid1(SALU_CYCLE_1)
	s_mul_i32 s0, s1, s0
	s_ashr_i32 s1, s0, 31
	s_delay_alu instid0(SALU_CYCLE_1) | instskip(NEXT) | instid1(SALU_CYCLE_1)
	s_lshl_b64 s[0:1], s[0:1], 1
	v_add_co_u32 v0, vcc_lo, v1, s0
	v_add_co_ci_u32_e32 v1, vcc_lo, s1, v2, vcc_lo
	s_waitcnt lgkmcnt(0)
	global_store_b128 v[0:1], v[3:6], off
	s_nop 0
	s_sendmsg sendmsg(MSG_DEALLOC_VGPRS)
	s_endpgm
	.section	.rodata,"a",@progbits
	.p2align	6, 0x0
	.amdhsa_kernel _Z39paged_attention_ll4mi_QKV_mfma16_kernelI14__hip_bfloat16hLN4vllm18Fp8KVCacheDataTypeE1ES0_Li16ELi64ELi256ELb1ELi3EL8MFMAType0EEvPKT_PKT0_S9_ifPKiSB_SB_iPKfiiiPfSE_PS4_PT2_iSD_SD_
		.amdhsa_group_segment_fixed_size 17472
		.amdhsa_private_segment_fixed_size 0
		.amdhsa_kernarg_size 400
		.amdhsa_user_sgpr_count 13
		.amdhsa_user_sgpr_dispatch_ptr 0
		.amdhsa_user_sgpr_queue_ptr 0
		.amdhsa_user_sgpr_kernarg_segment_ptr 1
		.amdhsa_user_sgpr_dispatch_id 0
		.amdhsa_user_sgpr_private_segment_size 0
		.amdhsa_wavefront_size32 1
		.amdhsa_uses_dynamic_stack 0
		.amdhsa_enable_private_segment 0
		.amdhsa_system_sgpr_workgroup_id_x 1
		.amdhsa_system_sgpr_workgroup_id_y 1
		.amdhsa_system_sgpr_workgroup_id_z 1
		.amdhsa_system_sgpr_workgroup_info 0
		.amdhsa_system_vgpr_workitem_id 0
		.amdhsa_next_free_vgpr 124
		.amdhsa_next_free_sgpr 40
		.amdhsa_reserve_vcc 1
		.amdhsa_float_round_mode_32 0
		.amdhsa_float_round_mode_16_64 0
		.amdhsa_float_denorm_mode_32 3
		.amdhsa_float_denorm_mode_16_64 3
		.amdhsa_dx10_clamp 1
		.amdhsa_ieee_mode 1
		.amdhsa_fp16_overflow 0
		.amdhsa_workgroup_processor_mode 1
		.amdhsa_memory_ordered 1
		.amdhsa_forward_progress 0
		.amdhsa_shared_vgpr_count 0
		.amdhsa_exception_fp_ieee_invalid_op 0
		.amdhsa_exception_fp_denorm_src 0
		.amdhsa_exception_fp_ieee_div_zero 0
		.amdhsa_exception_fp_ieee_overflow 0
		.amdhsa_exception_fp_ieee_underflow 0
		.amdhsa_exception_fp_ieee_inexact 0
		.amdhsa_exception_int_div_zero 0
	.end_amdhsa_kernel
	.section	.text._Z39paged_attention_ll4mi_QKV_mfma16_kernelI14__hip_bfloat16hLN4vllm18Fp8KVCacheDataTypeE1ES0_Li16ELi64ELi256ELb1ELi3EL8MFMAType0EEvPKT_PKT0_S9_ifPKiSB_SB_iPKfiiiPfSE_PS4_PT2_iSD_SD_,"axG",@progbits,_Z39paged_attention_ll4mi_QKV_mfma16_kernelI14__hip_bfloat16hLN4vllm18Fp8KVCacheDataTypeE1ES0_Li16ELi64ELi256ELb1ELi3EL8MFMAType0EEvPKT_PKT0_S9_ifPKiSB_SB_iPKfiiiPfSE_PS4_PT2_iSD_SD_,comdat
.Lfunc_end1712:
	.size	_Z39paged_attention_ll4mi_QKV_mfma16_kernelI14__hip_bfloat16hLN4vllm18Fp8KVCacheDataTypeE1ES0_Li16ELi64ELi256ELb1ELi3EL8MFMAType0EEvPKT_PKT0_S9_ifPKiSB_SB_iPKfiiiPfSE_PS4_PT2_iSD_SD_, .Lfunc_end1712-_Z39paged_attention_ll4mi_QKV_mfma16_kernelI14__hip_bfloat16hLN4vllm18Fp8KVCacheDataTypeE1ES0_Li16ELi64ELi256ELb1ELi3EL8MFMAType0EEvPKT_PKT0_S9_ifPKiSB_SB_iPKfiiiPfSE_PS4_PT2_iSD_SD_
                                        ; -- End function
	.section	.AMDGPU.csdata,"",@progbits
; Kernel info:
; codeLenInByte = 8700
; NumSgprs: 42
; NumVgprs: 124
; ScratchSize: 0
; MemoryBound: 0
; FloatMode: 240
; IeeeMode: 1
; LDSByteSize: 17472 bytes/workgroup (compile time only)
; SGPRBlocks: 5
; VGPRBlocks: 15
; NumSGPRsForWavesPerEU: 42
; NumVGPRsForWavesPerEU: 124
; Occupancy: 10
; WaveLimiterHint : 1
; COMPUTE_PGM_RSRC2:SCRATCH_EN: 0
; COMPUTE_PGM_RSRC2:USER_SGPR: 13
; COMPUTE_PGM_RSRC2:TRAP_HANDLER: 0
; COMPUTE_PGM_RSRC2:TGID_X_EN: 1
; COMPUTE_PGM_RSRC2:TGID_Y_EN: 1
; COMPUTE_PGM_RSRC2:TGID_Z_EN: 1
; COMPUTE_PGM_RSRC2:TIDIG_COMP_CNT: 0
	.section	.text._Z39paged_attention_ll4mi_QKV_mfma16_kernelI14__hip_bfloat16hLN4vllm18Fp8KVCacheDataTypeE1ES0_Li16ELi64ELi256ELb1ELi4EL8MFMAType0EEvPKT_PKT0_S9_ifPKiSB_SB_iPKfiiiPfSE_PS4_PT2_iSD_SD_,"axG",@progbits,_Z39paged_attention_ll4mi_QKV_mfma16_kernelI14__hip_bfloat16hLN4vllm18Fp8KVCacheDataTypeE1ES0_Li16ELi64ELi256ELb1ELi4EL8MFMAType0EEvPKT_PKT0_S9_ifPKiSB_SB_iPKfiiiPfSE_PS4_PT2_iSD_SD_,comdat
	.protected	_Z39paged_attention_ll4mi_QKV_mfma16_kernelI14__hip_bfloat16hLN4vllm18Fp8KVCacheDataTypeE1ES0_Li16ELi64ELi256ELb1ELi4EL8MFMAType0EEvPKT_PKT0_S9_ifPKiSB_SB_iPKfiiiPfSE_PS4_PT2_iSD_SD_ ; -- Begin function _Z39paged_attention_ll4mi_QKV_mfma16_kernelI14__hip_bfloat16hLN4vllm18Fp8KVCacheDataTypeE1ES0_Li16ELi64ELi256ELb1ELi4EL8MFMAType0EEvPKT_PKT0_S9_ifPKiSB_SB_iPKfiiiPfSE_PS4_PT2_iSD_SD_
	.globl	_Z39paged_attention_ll4mi_QKV_mfma16_kernelI14__hip_bfloat16hLN4vllm18Fp8KVCacheDataTypeE1ES0_Li16ELi64ELi256ELb1ELi4EL8MFMAType0EEvPKT_PKT0_S9_ifPKiSB_SB_iPKfiiiPfSE_PS4_PT2_iSD_SD_
	.p2align	8
	.type	_Z39paged_attention_ll4mi_QKV_mfma16_kernelI14__hip_bfloat16hLN4vllm18Fp8KVCacheDataTypeE1ES0_Li16ELi64ELi256ELb1ELi4EL8MFMAType0EEvPKT_PKT0_S9_ifPKiSB_SB_iPKfiiiPfSE_PS4_PT2_iSD_SD_,@function
_Z39paged_attention_ll4mi_QKV_mfma16_kernelI14__hip_bfloat16hLN4vllm18Fp8KVCacheDataTypeE1ES0_Li16ELi64ELi256ELb1ELi4EL8MFMAType0EEvPKT_PKT0_S9_ifPKiSB_SB_iPKfiiiPfSE_PS4_PT2_iSD_SD_: ; @_Z39paged_attention_ll4mi_QKV_mfma16_kernelI14__hip_bfloat16hLN4vllm18Fp8KVCacheDataTypeE1ES0_Li16ELi64ELi256ELb1ELi4EL8MFMAType0EEvPKT_PKT0_S9_ifPKiSB_SB_iPKfiiiPfSE_PS4_PT2_iSD_SD_
; %bb.0:
	s_load_b64 s[2:3], s[0:1], 0x30
	s_mov_b32 s30, s13
	s_waitcnt lgkmcnt(0)
	s_cmp_lg_u64 s[2:3], 0
	s_cselect_b32 s8, -1, 0
	s_ashr_i32 s31, s13, 31
	s_cmp_eq_u64 s[2:3], 0
	s_cbranch_scc1 .LBB1713_3
; %bb.1:
	s_lshl_b64 s[4:5], s[30:31], 2
	s_delay_alu instid0(SALU_CYCLE_1) | instskip(SKIP_4) | instid1(SALU_CYCLE_1)
	s_add_u32 s4, s2, s4
	s_addc_u32 s5, s3, s5
	s_load_b64 s[4:5], s[4:5], 0x0
	s_waitcnt lgkmcnt(0)
	s_sub_i32 s4, s5, s4
	s_cmp_eq_u32 s4, 1
	s_cselect_b32 s4, -1, 0
	s_delay_alu instid0(SALU_CYCLE_1)
	s_and_not1_b32 vcc_lo, exec_lo, s4
	s_cbranch_vccz .LBB1713_4
.LBB1713_2:
	s_endpgm
.LBB1713_3:
.LBB1713_4:
	s_load_b64 s[4:5], s[0:1], 0x28
	s_lshl_b64 s[6:7], s[30:31], 2
	s_waitcnt lgkmcnt(0)
	s_add_u32 s4, s4, s6
	s_addc_u32 s5, s5, s7
	s_lshl_b32 s12, s14, 8
	s_load_b32 s24, s[4:5], 0x0
	s_waitcnt lgkmcnt(0)
	s_cmp_ge_i32 s12, s24
	s_cbranch_scc1 .LBB1713_2
; %bb.5:
	s_clause 0x1
	s_load_b128 s[20:23], s[0:1], 0x8
	s_load_b64 s[4:5], s[0:1], 0x20
	s_and_not1_b32 vcc_lo, exec_lo, s8
	s_cbranch_vccnz .LBB1713_7
; %bb.6:
	s_add_u32 s2, s2, s6
	s_addc_u32 s3, s3, s7
	s_load_b32 s3, s[2:3], 0x0
	s_branch .LBB1713_8
.LBB1713_7:
	s_mov_b32 s3, s30
.LBB1713_8:
	s_load_b128 s[16:19], s[0:1], 0x48
	v_and_b32_e32 v66, 15, v0
	v_cmp_gt_u32_e32 vcc_lo, 64, v0
	v_lshrrev_b32_e32 v65, 5, v0
	v_and_b32_e32 v67, 31, v0
	v_and_b32_e32 v74, 1, v0
	v_lshlrev_b32_e32 v1, 3, v66
	v_cmp_gt_u32_e64 s2, 8, v66
	v_bfe_u32 v75, v0, 4, 1
	s_lshl_b32 s31, s15, 2
	s_delay_alu instid0(VALU_DEP_3) | instskip(NEXT) | instid1(VALU_DEP_3)
	v_lshlrev_b32_e32 v73, 1, v1
	s_and_b32 s7, vcc_lo, s2
	s_delay_alu instid0(SALU_CYCLE_1)
	s_and_saveexec_b32 s6, s7
	s_cbranch_execz .LBB1713_10
; %bb.9:
	v_lshl_or_b32 v5, v65, 1, v75
	s_load_b64 s[8:9], s[0:1], 0x0
	s_waitcnt lgkmcnt(0)
	s_mul_hi_i32 s11, s3, s16
	s_mul_i32 s10, s3, s16
	v_lshlrev_b32_e32 v6, 10, v66
	v_or_b32_e32 v1, s31, v5
	s_lshl_b64 s[10:11], s[10:11], 1
	v_lshlrev_b32_e32 v5, 6, v5
	v_lshlrev_b32_e32 v7, 10, v74
	v_and_b32_e32 v6, 0x3800, v6
	v_lshlrev_b32_e32 v1, 6, v1
	s_delay_alu instid0(VALU_DEP_2) | instskip(NEXT) | instid1(VALU_DEP_2)
	v_or3_b32 v5, v6, v7, v5
	v_ashrrev_i32_e32 v2, 31, v1
	s_delay_alu instid0(VALU_DEP_1) | instskip(SKIP_2) | instid1(VALU_DEP_1)
	v_lshlrev_b64 v[1:2], 1, v[1:2]
	s_add_u32 s3, s8, s10
	s_addc_u32 s7, s9, s11
	v_add_co_u32 v1, vcc_lo, s3, v1
	s_delay_alu instid0(VALU_DEP_2) | instskip(NEXT) | instid1(VALU_DEP_2)
	v_add_co_ci_u32_e32 v2, vcc_lo, s7, v2, vcc_lo
	v_add_co_u32 v1, vcc_lo, v1, v73
	s_delay_alu instid0(VALU_DEP_2)
	v_add_co_ci_u32_e32 v2, vcc_lo, 0, v2, vcc_lo
	global_load_b128 v[1:4], v[1:2], off
	s_waitcnt vmcnt(0)
	ds_store_b128 v5, v[1:4]
.LBB1713_10:
	s_or_b32 exec_lo, exec_lo, s6
	v_and_b32_e32 v1, 0xef, v0
	s_waitcnt lgkmcnt(0)
	s_add_i32 s3, s24, 15
	s_clause 0x1
	s_load_b32 s6, s[0:1], 0x38
	s_load_b32 s19, s[0:1], 0x1c
	s_ashr_i32 s7, s3, 31
	v_add_nc_u32_e32 v1, s12, v1
	s_lshr_b32 s7, s7, 28
	s_waitcnt lgkmcnt(0)
	s_add_i32 s3, s3, s7
	s_barrier
	v_ashrrev_i32_e32 v2, 31, v1
	v_or_b32_e32 v3, 16, v1
	s_ashr_i32 s3, s3, 4
	v_cmp_gt_i32_e32 vcc_lo, s24, v1
	s_add_i32 s3, s3, -1
	v_lshrrev_b32_e32 v2, 28, v2
	buffer_gl0_inv
	s_mul_i32 s27, s15, s18
	v_add_nc_u32_e32 v4, v1, v2
	s_mul_i32 s6, s30, s6
	s_delay_alu instid0(SALU_CYCLE_1) | instskip(NEXT) | instid1(VALU_DEP_1)
	s_ashr_i32 s7, s6, 31
	v_ashrrev_i32_e32 v4, 4, v4
	v_add_nc_u32_e32 v2, v3, v2
	s_lshl_b64 s[6:7], s[6:7], 2
	s_delay_alu instid0(SALU_CYCLE_1) | instskip(NEXT) | instid1(VALU_DEP_2)
	s_add_u32 s26, s4, s6
	v_cndmask_b32_e32 v1, s3, v4, vcc_lo
	s_delay_alu instid0(VALU_DEP_2)
	v_ashrrev_i32_e32 v2, 4, v2
	v_cmp_gt_i32_e32 vcc_lo, s24, v3
	s_addc_u32 s25, s5, s7
	s_ashr_i32 s28, s27, 31
	s_add_u32 s13, s20, s27
	s_addc_u32 s15, s21, s28
	v_cndmask_b32_e32 v3, s3, v2, vcc_lo
	v_ashrrev_i32_e32 v2, 31, v1
	s_lshl_b32 s4, s14, 4
	s_delay_alu instid0(SALU_CYCLE_1) | instskip(NEXT) | instid1(VALU_DEP_2)
	s_ashr_i32 s5, s4, 31
	v_ashrrev_i32_e32 v4, 31, v3
	s_delay_alu instid0(VALU_DEP_2) | instskip(SKIP_1) | instid1(SALU_CYCLE_1)
	v_lshlrev_b64 v[1:2], 2, v[1:2]
	s_lshl_b64 s[4:5], s[4:5], 2
	s_add_u32 s4, s26, s4
	s_delay_alu instid0(VALU_DEP_2) | instskip(SKIP_1) | instid1(VALU_DEP_2)
	v_lshlrev_b64 v[3:4], 2, v[3:4]
	s_addc_u32 s5, s25, s5
	v_add_co_u32 v1, vcc_lo, s26, v1
	v_add_co_ci_u32_e32 v2, vcc_lo, s25, v2, vcc_lo
	s_delay_alu instid0(VALU_DEP_3) | instskip(NEXT) | instid1(VALU_DEP_4)
	v_add_co_u32 v3, vcc_lo, s26, v3
	v_add_co_ci_u32_e32 v4, vcc_lo, s25, v4, vcc_lo
	s_clause 0x1
	global_load_b32 v5, v[1:2], off
	global_load_b32 v7, v[3:4], off
	s_or_b32 s6, s12, 32
	v_lshlrev_b32_e32 v1, 4, v0
	s_ashr_i32 s7, s6, 4
	s_cmp_lt_i32 s6, s24
	s_cselect_b32 s6, s7, s3
	s_delay_alu instid0(VALU_DEP_1) | instskip(SKIP_1) | instid1(SALU_CYCLE_1)
	v_and_b32_e32 v1, 0xf0, v1
	s_ashr_i32 s7, s6, 31
	s_lshl_b64 s[6:7], s[6:7], 2
	s_delay_alu instid0(SALU_CYCLE_1)
	s_add_u32 s6, s26, s6
	s_addc_u32 s7, s25, s7
	s_or_b32 s8, s12, 64
	v_add_co_u32 v1, s13, s13, v1
	s_ashr_i32 s9, s8, 4
	s_cmp_lt_i32 s8, s24
	v_add_co_ci_u32_e64 v2, null, s15, 0, s13
	s_cselect_b32 s8, s9, s3
	s_delay_alu instid0(SALU_CYCLE_1) | instskip(NEXT) | instid1(SALU_CYCLE_1)
	s_ashr_i32 s9, s8, 31
	s_lshl_b64 s[8:9], s[8:9], 2
	s_delay_alu instid0(SALU_CYCLE_1) | instskip(SKIP_2) | instid1(SALU_CYCLE_1)
	s_add_u32 s8, s26, s8
	s_addc_u32 s9, s25, s9
	s_or_b32 s10, s12, 0x60
	s_ashr_i32 s11, s10, 4
	s_cmp_lt_i32 s10, s24
	s_cselect_b32 s10, s11, s3
	s_delay_alu instid0(SALU_CYCLE_1) | instskip(NEXT) | instid1(SALU_CYCLE_1)
	s_ashr_i32 s11, s10, 31
	s_lshl_b64 s[10:11], s[10:11], 2
	s_delay_alu instid0(SALU_CYCLE_1) | instskip(SKIP_2) | instid1(SALU_CYCLE_1)
	s_add_u32 s10, s26, s10
	s_addc_u32 s11, s25, s11
	s_or_b32 s16, s12, 0x80
	s_ashr_i32 s18, s16, 4
	s_cmp_lt_i32 s16, s24
	;; [unrolled: 10-line block ×3, first 2 shown]
	s_cselect_b32 s20, s18, s3
	s_delay_alu instid0(SALU_CYCLE_1) | instskip(NEXT) | instid1(SALU_CYCLE_1)
	s_ashr_i32 s21, s20, 31
	s_lshl_b64 s[20:21], s[20:21], 2
	s_delay_alu instid0(SALU_CYCLE_1)
	s_add_u32 s36, s26, s20
	s_addc_u32 s37, s25, s21
	s_clause 0x5
	s_load_b32 s21, s[4:5], 0x0
	s_load_b32 s13, s[6:7], 0x0
	;; [unrolled: 1-line block ×6, first 2 shown]
	s_or_b32 s7, s12, 0xc0
	s_mov_b32 s4, 0
	s_ashr_i32 s8, s7, 4
	s_cmp_lt_i32 s7, s24
	s_mov_b32 s5, s4
	s_cselect_b32 s10, s8, s3
	s_mov_b32 s6, s4
	s_ashr_i32 s11, s10, 31
	s_mov_b32 s7, s4
	s_lshl_b64 s[34:35], s[10:11], 2
	s_mov_b32 s11, s4
	s_add_u32 s34, s26, s34
	s_addc_u32 s35, s25, s35
	s_or_b32 s29, s12, 0xe0
	s_mov_b32 s8, s4
	s_ashr_i32 s33, s29, 4
	s_mov_b32 s9, s4
	s_mov_b32 s10, s4
	s_cmp_lt_i32 s29, s24
	v_dual_mov_b32 v107, s11 :: v_dual_mov_b32 v100, s4
	v_mov_b32_e32 v106, s10
	v_dual_mov_b32 v104, s8 :: v_dual_mov_b32 v103, s7
	v_dual_mov_b32 v102, s6 :: v_dual_mov_b32 v101, s5
	v_mov_b32_e32 v105, s9
	s_cselect_b32 s4, s33, s3
	s_delay_alu instid0(SALU_CYCLE_1) | instskip(NEXT) | instid1(SALU_CYCLE_1)
	s_ashr_i32 s5, s4, 31
	s_lshl_b64 s[4:5], s[4:5], 2
	s_delay_alu instid0(SALU_CYCLE_1)
	s_add_u32 s4, s26, s4
	s_addc_u32 s5, s25, s5
	s_add_u32 s6, s22, s27
	s_addc_u32 s7, s23, s28
	s_waitcnt vmcnt(1)
	v_mad_i64_i32 v[3:4], null, v5, s17, v[1:2]
	s_waitcnt vmcnt(0)
	v_mad_i64_i32 v[5:6], null, v7, s17, v[1:2]
	s_clause 0x7
	global_load_b128 v[49:52], v[3:4], off
	global_load_b128 v[53:56], v[3:4], off offset:256
	global_load_b128 v[76:79], v[5:6], off
	global_load_b128 v[80:83], v[5:6], off offset:256
	global_load_b128 v[84:87], v[3:4], off offset:512
	;; [unrolled: 1-line block ×5, first 2 shown]
	v_and_b32_e32 v1, 3, v0
	v_lshlrev_b32_e32 v2, 4, v66
	s_load_b32 s3, s[34:35], 0x0
	s_delay_alu instid0(VALU_DEP_2) | instskip(NEXT) | instid1(VALU_DEP_2)
	v_lshlrev_b32_e32 v70, 6, v1
	v_lshl_or_b32 v1, v65, 8, v2
	ds_load_b128 v[108:111], v70
	ds_load_b128 v[112:115], v70 offset:1024
	s_load_b32 s4, s[4:5], 0x0
	v_add_co_u32 v9, s6, s6, v1
	s_delay_alu instid0(VALU_DEP_1) | instskip(SKIP_1) | instid1(VALU_DEP_1)
	v_add_co_ci_u32_e64 v10, null, s7, 0, s6
	s_waitcnt lgkmcnt(0)
	v_mad_i64_i32 v[1:2], null, s21, s17, v[9:10]
	v_mad_i64_i32 v[3:4], null, s13, s17, v[9:10]
	;; [unrolled: 1-line block ×7, first 2 shown]
	s_clause 0x9
	global_load_b128 v[57:60], v[1:2], off
	global_load_b128 v[61:64], v[1:2], off offset:16
	global_load_b128 v[41:44], v[3:4], off
	global_load_b128 v[45:48], v[3:4], off offset:16
	;; [unrolled: 2-line block ×5, first 2 shown]
	v_mad_i64_i32 v[68:69], null, s4, s17, v[9:10]
	s_clause 0x3
	global_load_b128 v[9:12], v[13:14], off
	global_load_b128 v[13:16], v[13:14], off offset:16
	global_load_b128 v[17:20], v[21:22], off
	global_load_b128 v[21:24], v[21:22], off offset:16
	s_waitcnt vmcnt(20)
	v_wmma_f32_16x16x16_bf16 v[116:123], v[49:56], v[108:115], v[100:107]
	s_clause 0x1
	global_load_b128 v[49:52], v[68:69], off
	global_load_b128 v[53:56], v[68:69], off offset:16
	v_and_b32_e32 v68, 0xe0, v0
	v_mbcnt_lo_u32_b32 v69, -1, 0
	s_delay_alu instid0(VALU_DEP_2)
	v_add_nc_u32_e32 v68, s12, v68
	s_waitcnt vmcnt(20)
	v_wmma_f32_16x16x16_bf16 v[100:107], v[76:83], v[108:115], v[100:107]
	ds_load_b128 v[76:79], v70 offset:2048
	ds_load_b128 v[80:83], v70 offset:3072
	v_xor_b32_e32 v70, 16, v69
	s_waitcnt vmcnt(0) lgkmcnt(0)
	v_or_b32_e32 v68, v68, v75
	s_barrier
	buffer_gl0_inv
	v_cmp_gt_i32_e32 vcc_lo, 32, v70
	v_or_b32_e32 v71, 4, v68
	v_or_b32_e32 v72, 6, v68
	v_cmp_gt_i32_e64 s3, s24, v68
	v_or_b32_e32 v108, 8, v68
	v_or_b32_e32 v109, 10, v68
	v_cmp_gt_i32_e64 s4, s24, v71
	v_cmp_gt_i32_e64 s5, s24, v72
	s_delay_alu instid0(VALU_DEP_4) | instskip(NEXT) | instid1(VALU_DEP_4)
	v_cmp_gt_i32_e64 s6, s24, v108
	v_cmp_gt_i32_e64 s7, s24, v109
	v_wmma_f32_16x16x16_bf16 v[116:123], v[84:91], v[76:83], v[116:123]
	v_cndmask_b32_e32 v69, v69, v70, vcc_lo
	v_or_b32_e32 v70, 2, v68
	v_wmma_f32_16x16x16_bf16 v[100:107], v[92:99], v[76:83], v[100:107]
	v_or_b32_e32 v89, 22, v68
	v_dual_mul_f32 v80, s19, v121 :: v_dual_mul_f32 v81, s19, v120
	v_dual_mul_f32 v92, s19, v117 :: v_dual_mul_f32 v93, s19, v116
	s_delay_alu instid0(VALU_DEP_4)
	v_mul_f32_e32 v96, s19, v105
	v_cmp_gt_i32_e32 vcc_lo, s24, v70
	v_dual_mul_f32 v79, s19, v122 :: v_dual_mul_f32 v82, s19, v119
	v_dual_mul_f32 v83, s19, v118 :: v_dual_mul_f32 v94, s19, v107
	v_cndmask_b32_e64 v93, 0xff7fffff, v93, s3
	v_cndmask_b32_e32 v92, 0xff7fffff, v92, vcc_lo
	v_or_b32_e32 v84, 12, v68
	v_or_b32_e32 v85, 14, v68
	v_cndmask_b32_e64 v71, 0xff7fffff, v83, s4
	v_cndmask_b32_e64 v72, 0xff7fffff, v82, s5
	v_cmp_gt_i32_e64 s13, s24, v89
	v_lshlrev_b32_e32 v89, 2, v69
	v_max3_f32 v82, v93, 0xff7fffff, v92
	v_or_b32_e32 v86, 16, v68
	v_or_b32_e32 v87, 18, v68
	v_mul_f32_e32 v78, s19, v123
	v_cndmask_b32_e64 v81, 0xff7fffff, v81, s6
	v_cndmask_b32_e64 v80, 0xff7fffff, v80, s7
	v_max3_f32 v71, v82, v71, v72
	v_cmp_gt_i32_e64 s8, s24, v84
	v_cmp_gt_i32_e64 s9, s24, v85
	v_or_b32_e32 v88, 20, v68
	v_or_b32_e32 v90, 24, v68
	v_or_b32_e32 v91, 26, v68
	v_or_b32_e32 v76, 28, v68
	v_or_b32_e32 v77, 30, v68
	v_dual_mul_f32 v97, s19, v104 :: v_dual_mul_f32 v70, s19, v101
	v_dual_mul_f32 v99, s19, v102 :: v_dual_mul_f32 v68, s19, v100
	v_cndmask_b32_e64 v72, 0xff7fffff, v79, s8
	v_cndmask_b32_e64 v78, 0xff7fffff, v78, s9
	v_max3_f32 v71, v71, v81, v80
	v_cmp_gt_i32_e64 s10, s24, v86
	v_cmp_gt_i32_e64 s11, s24, v87
	v_dual_mul_f32 v95, s19, v106 :: v_dual_mul_f32 v98, s19, v103
	s_delay_alu instid0(VALU_DEP_4) | instskip(NEXT) | instid1(VALU_DEP_4)
	v_max3_f32 v71, v71, v72, v78
	v_cndmask_b32_e64 v68, 0xff7fffff, v68, s10
	s_delay_alu instid0(VALU_DEP_4)
	v_cndmask_b32_e64 v70, 0xff7fffff, v70, s11
	v_cmp_gt_i32_e64 s12, s24, v88
	v_cndmask_b32_e64 v78, 0xff7fffff, v98, s13
	v_cmp_gt_i32_e64 s15, s24, v90
	v_cmp_gt_i32_e64 s16, s24, v91
	v_max3_f32 v68, v71, v68, v70
	v_cndmask_b32_e64 v72, 0xff7fffff, v99, s12
	v_cmp_gt_i32_e64 s17, s24, v76
	v_cndmask_b32_e64 v70, 0xff7fffff, v97, s15
	v_cndmask_b32_e64 v71, 0xff7fffff, v96, s16
	v_cmp_gt_i32_e64 s18, s24, v77
	v_max3_f32 v68, v68, v72, v78
	v_cndmask_b32_e64 v72, 0xff7fffff, v95, s17
	s_delay_alu instid0(VALU_DEP_3) | instskip(NEXT) | instid1(VALU_DEP_3)
	v_cndmask_b32_e64 v76, 0xff7fffff, v94, s18
	v_max3_f32 v68, v68, v70, v71
	s_delay_alu instid0(VALU_DEP_1) | instskip(SKIP_3) | instid1(VALU_DEP_1)
	v_max3_f32 v68, v68, v72, v76
	ds_bpermute_b32 v69, v89, v68
	s_waitcnt lgkmcnt(0)
	v_max_f32_e32 v69, v69, v69
	v_max_f32_e32 v68, v68, v69
	s_delay_alu instid0(VALU_DEP_1) | instskip(NEXT) | instid1(VALU_DEP_1)
	v_fma_f32 v71, s19, v118, -v68
	v_mul_f32_e32 v71, 0x3fb8aa3b, v71
	v_fma_f32 v70, s19, v117, -v68
	v_fma_f32 v69, s19, v116, -v68
	;; [unrolled: 1-line block ×5, first 2 shown]
	s_delay_alu instid0(VALU_DEP_4) | instskip(SKIP_1) | instid1(VALU_DEP_3)
	v_dual_mul_f32 v70, 0x3fb8aa3b, v70 :: v_dual_mul_f32 v69, 0x3fb8aa3b, v69
	v_exp_f32_e32 v71, v71
	v_mul_f32_e32 v72, 0x3fb8aa3b, v72
	v_fma_f32 v81, s19, v105, -v68
	s_delay_alu instid0(VALU_DEP_3)
	v_exp_f32_e32 v70, v70
	v_mul_f32_e32 v77, 0x3fb8aa3b, v76
	v_exp_f32_e32 v69, v69
	v_exp_f32_e32 v72, v72
	v_mul_f32_e32 v81, 0x3fb8aa3b, v81
	v_cndmask_b32_e64 v83, 0, v71, s4
	v_fma_f32 v71, s19, v123, -v68
	s_delay_alu instid0(VALU_DEP_3) | instskip(SKIP_4) | instid1(TRANS32_DEP_3)
	v_exp_f32_e32 v81, v81
	v_cndmask_b32_e32 v76, 0, v70, vcc_lo
	v_exp_f32_e32 v77, v77
	v_cndmask_b32_e64 v80, 0, v69, s3
	v_fma_f32 v69, s19, v121, -v68
	v_cndmask_b32_e64 v85, 0, v72, s5
	v_mul_f32_e32 v71, 0x3fb8aa3b, v71
	v_fma_f32 v72, s19, v100, -v68
	s_delay_alu instid0(VALU_DEP_4) | instskip(SKIP_1) | instid1(VALU_DEP_3)
	v_dual_add_f32 v70, 0, v80 :: v_dual_mul_f32 v69, 0x3fb8aa3b, v69
	s_mov_b32 s3, exec_lo
	v_exp_f32_e32 v71, v71
	s_delay_alu instid0(TRANS32_DEP_2) | instskip(SKIP_4) | instid1(VALU_DEP_3)
	v_cndmask_b32_e64 v86, 0, v77, s6
	v_fma_f32 v77, s19, v101, -v68
	v_mul_f32_e32 v78, 0x3fb8aa3b, v78
	v_add_f32_e32 v70, v70, v76
	v_exp_f32_e32 v69, v69
	v_mul_f32_e32 v77, 0x3fb8aa3b, v77
	s_delay_alu instid0(VALU_DEP_3) | instskip(NEXT) | instid1(TRANS32_DEP_3)
	v_exp_f32_e32 v78, v78
	v_cndmask_b32_e64 v88, 0, v71, s9
	v_fma_f32 v71, s19, v104, -v68
	s_delay_alu instid0(VALU_DEP_3) | instskip(NEXT) | instid1(TRANS32_DEP_3)
	v_exp_f32_e32 v77, v77
	v_cndmask_b32_e64 v87, 0, v69, s7
	s_delay_alu instid0(VALU_DEP_2)
	v_mul_f32_e32 v71, 0x3fb8aa3b, v71
	s_waitcnt_depctr 0xfff
	v_cndmask_b32_e64 v84, 0, v78, s8
	v_add_f32_e32 v70, v70, v83
	v_fma_f32 v78, s19, v103, -v68
	v_exp_f32_e32 v82, v71
	s_delay_alu instid0(VALU_DEP_2) | instskip(SKIP_1) | instid1(VALU_DEP_3)
	v_add_f32_e32 v70, v70, v85
	v_mul_f32_e32 v72, 0x3fb8aa3b, v72
	v_mul_f32_e32 v78, 0x3fb8aa3b, v78
	s_delay_alu instid0(VALU_DEP_3) | instskip(SKIP_1) | instid1(VALU_DEP_4)
	v_add_f32_e32 v69, v70, v86
	v_fma_f32 v70, s19, v102, -v68
	v_exp_f32_e32 v72, v72
	s_delay_alu instid0(VALU_DEP_3) | instskip(NEXT) | instid1(VALU_DEP_1)
	v_exp_f32_e32 v78, v78
	v_dual_add_f32 v69, v69, v87 :: v_dual_mul_f32 v70, 0x3fb8aa3b, v70
	s_delay_alu instid0(VALU_DEP_1) | instskip(NEXT) | instid1(VALU_DEP_2)
	v_add_f32_e32 v69, v69, v84
	v_exp_f32_e32 v79, v70
	s_delay_alu instid0(TRANS32_DEP_3) | instskip(NEXT) | instid1(VALU_DEP_2)
	v_cndmask_b32_e64 v70, 0, v72, s10
	v_add_f32_e32 v72, v69, v88
	v_cndmask_b32_e64 v69, 0, v77, s11
	v_fma_f32 v77, s19, v106, -v68
	s_waitcnt_depctr 0xfff
	v_cndmask_b32_e64 v71, 0, v79, s12
	v_dual_mul_f32 v77, 0x3fb8aa3b, v77 :: v_dual_add_f32 v72, v72, v70
	s_delay_alu instid0(VALU_DEP_1) | instskip(NEXT) | instid1(VALU_DEP_1)
	v_exp_f32_e32 v90, v77
	v_add_f32_e32 v79, v72, v69
	v_cndmask_b32_e64 v72, 0, v78, s13
	v_cndmask_b32_e64 v77, 0, v82, s15
	s_delay_alu instid0(VALU_DEP_3) | instskip(SKIP_1) | instid1(VALU_DEP_1)
	v_add_f32_e32 v78, v79, v71
	v_fma_f32 v79, s19, v107, -v68
	v_dual_add_f32 v82, v78, v72 :: v_dual_mul_f32 v79, 0x3fb8aa3b, v79
	v_cndmask_b32_e64 v78, 0, v81, s16
	s_delay_alu instid0(VALU_DEP_2) | instskip(NEXT) | instid1(VALU_DEP_3)
	v_add_f32_e32 v81, v82, v77
	v_exp_f32_e32 v82, v79
	v_cndmask_b32_e64 v79, 0, v90, s17
	s_delay_alu instid0(VALU_DEP_2) | instskip(NEXT) | instid1(VALU_DEP_1)
	v_add_f32_e32 v81, v81, v78
	v_add_f32_e32 v90, v81, v79
	s_waitcnt_depctr 0xfff
	v_cndmask_b32_e64 v81, 0, v82, s18
	s_delay_alu instid0(VALU_DEP_1)
	v_add_f32_e32 v82, v90, v81
	ds_bpermute_b32 v89, v89, v82
	v_cmpx_gt_u32_e32 16, v67
	s_cbranch_execz .LBB1713_12
; %bb.11:
	v_mul_u32_u24_e32 v67, 0x44, v65
	s_delay_alu instid0(VALU_DEP_1) | instskip(SKIP_1) | instid1(VALU_DEP_1)
	v_lshl_add_u32 v67, v66, 2, v67
	s_waitcnt lgkmcnt(0)
	v_dual_add_f32 v82, v82, v89 :: v_dual_add_nc_u32 v67, 0x4000, v67
	ds_store_2addr_b32 v67, v68, v82 offset1:136
.LBB1713_12:
	s_or_b32 exec_lo, exec_lo, s3
	v_lshlrev_b32_e32 v67, 2, v66
	s_waitcnt lgkmcnt(0)
	s_barrier
	buffer_gl0_inv
	v_cmp_eq_u32_e32 vcc_lo, 1, v65
	v_add_nc_u32_e32 v82, 0x4000, v67
	v_cmp_eq_u32_e64 s3, 2, v65
	v_cmp_eq_u32_e64 s5, 7, v65
	ds_load_2addr_b32 v[89:90], v82 offset1:17
	ds_load_2addr_b32 v[91:92], v82 offset0:34 offset1:51
	ds_load_2addr_b32 v[93:94], v82 offset0:68 offset1:85
	;; [unrolled: 1-line block ×4, first 2 shown]
	s_waitcnt lgkmcnt(4)
	v_max3_f32 v67, v89, 0xff7fffff, v90
	s_waitcnt lgkmcnt(3)
	s_delay_alu instid0(VALU_DEP_1) | instskip(SKIP_1) | instid1(VALU_DEP_1)
	v_max3_f32 v67, v67, v91, v92
	s_waitcnt lgkmcnt(2)
	v_max3_f32 v67, v67, v93, v94
	s_waitcnt lgkmcnt(1)
	s_delay_alu instid0(VALU_DEP_1) | instskip(NEXT) | instid1(VALU_DEP_1)
	v_max3_f32 v67, v67, v95, v96
	v_sub_f32_e32 v93, v93, v67
	s_delay_alu instid0(VALU_DEP_1) | instskip(NEXT) | instid1(VALU_DEP_1)
	v_dual_sub_f32 v68, v89, v67 :: v_dual_mul_f32 v103, 0x3fb8aa3b, v93
	v_mul_f32_e32 v68, 0x3fb8aa3b, v68
	s_delay_alu instid0(VALU_DEP_1)
	v_exp_f32_e32 v100, v68
	v_sub_f32_e32 v68, v92, v67
	v_sub_f32_e32 v99, v90, v67
	ds_load_2addr_b32 v[89:90], v82 offset0:170 offset1:187
	v_dual_mul_f32 v102, 0x3fb8aa3b, v68 :: v_dual_mul_f32 v99, 0x3fb8aa3b, v99
	s_waitcnt lgkmcnt(1)
	v_fma_f32 v68, v100, v97, 0
	s_delay_alu instid0(VALU_DEP_2) | instskip(NEXT) | instid1(VALU_DEP_2)
	v_exp_f32_e32 v102, v102
	v_exp_f32_e32 v99, v99
	s_waitcnt_depctr 0xfff
	v_fmac_f32_e32 v68, v99, v98
	v_sub_f32_e32 v91, v91, v67
	s_delay_alu instid0(VALU_DEP_1)
	v_mul_f32_e32 v101, 0x3fb8aa3b, v91
	ds_load_2addr_b32 v[91:92], v82 offset0:204 offset1:221
	v_sub_f32_e32 v97, v94, v67
	ds_load_2addr_b32 v[93:94], v82 offset0:238 offset1:255
	s_waitcnt lgkmcnt(0)
	v_exp_f32_e32 v101, v101
	s_barrier
	buffer_gl0_inv
	v_dual_fmac_f32 v68, v101, v89 :: v_dual_sub_f32 v89, v96, v67
	v_dual_sub_f32 v82, v95, v67 :: v_dual_mul_f32 v95, 0x3fb8aa3b, v97
	v_exp_f32_e32 v97, v103
	s_delay_alu instid0(VALU_DEP_2) | instskip(NEXT) | instid1(VALU_DEP_2)
	v_dual_fmac_f32 v68, v102, v90 :: v_dual_mul_f32 v89, 0x3fb8aa3b, v89
	v_mul_f32_e32 v82, 0x3fb8aa3b, v82
	s_delay_alu instid0(VALU_DEP_3) | instskip(NEXT) | instid1(VALU_DEP_2)
	v_exp_f32_e32 v95, v95
	v_exp_f32_e32 v89, v89
	s_delay_alu instid0(VALU_DEP_1)
	v_exp_f32_e32 v82, v82
	v_fmac_f32_e32 v68, v97, v91
	s_delay_alu instid0(TRANS32_DEP_3) | instid1(VALU_DEP_1)
	v_fmac_f32_e32 v68, v95, v92
	s_waitcnt_depctr 0xfff
	v_fmac_f32_e32 v68, v82, v93
	s_delay_alu instid0(VALU_DEP_1) | instskip(NEXT) | instid1(VALU_DEP_1)
	v_fmac_f32_e32 v68, v89, v94
	v_add_f32_e32 v90, 0x358637bd, v68
	s_delay_alu instid0(VALU_DEP_1) | instskip(NEXT) | instid1(VALU_DEP_1)
	v_div_scale_f32 v91, null, v90, v90, 1.0
	v_rcp_f32_e32 v92, v91
	s_waitcnt_depctr 0xfff
	v_fma_f32 v93, -v91, v92, 1.0
	s_delay_alu instid0(VALU_DEP_1) | instskip(SKIP_1) | instid1(VALU_DEP_2)
	v_dual_fmac_f32 v92, v93, v92 :: v_dual_cndmask_b32 v93, v100, v99
	v_cmp_eq_u32_e32 vcc_lo, 3, v65
	v_cndmask_b32_e64 v93, v93, v101, s3
	v_cmp_eq_u32_e64 s3, 4, v65
	s_delay_alu instid0(VALU_DEP_2) | instskip(SKIP_1) | instid1(VALU_DEP_2)
	v_cndmask_b32_e32 v93, v93, v102, vcc_lo
	v_cmp_eq_u32_e32 vcc_lo, 5, v65
	v_cndmask_b32_e64 v93, v93, v97, s3
	v_cmp_eq_u32_e64 s3, 6, v65
	s_delay_alu instid0(VALU_DEP_2) | instskip(SKIP_1) | instid1(VALU_DEP_1)
	v_cndmask_b32_e32 v93, v93, v95, vcc_lo
	v_div_scale_f32 v94, s4, 1.0, v90, 1.0
	s_mov_b32 vcc_lo, s4
	s_delay_alu instid0(VALU_DEP_2) | instskip(NEXT) | instid1(VALU_DEP_2)
	v_cndmask_b32_e64 v82, v93, v82, s3
	v_mul_f32_e32 v96, v94, v92
	s_mov_b32 s3, exec_lo
	s_delay_alu instid0(VALU_DEP_2) | instskip(NEXT) | instid1(VALU_DEP_2)
	v_cndmask_b32_e64 v82, v82, v89, s5
	v_fma_f32 v98, -v91, v96, v94
	s_delay_alu instid0(VALU_DEP_1) | instskip(NEXT) | instid1(VALU_DEP_1)
	v_fmac_f32_e32 v96, v98, v92
	v_fma_f32 v91, -v91, v96, v94
	s_delay_alu instid0(VALU_DEP_1) | instskip(NEXT) | instid1(VALU_DEP_1)
	v_div_fmas_f32 v91, v91, v92, v96
	v_div_fixup_f32 v90, v91, v90, 1.0
	s_delay_alu instid0(VALU_DEP_1) | instskip(NEXT) | instid1(VALU_DEP_1)
	v_mul_f32_e32 v82, v82, v90
	v_mul_f32_e32 v87, v82, v87
	v_mul_f32_e32 v90, v82, v80
	v_mul_f32_e32 v80, v82, v88
	v_mul_f32_e32 v84, v82, v84
	v_mul_f32_e32 v88, v82, v86
	v_mul_f32_e32 v89, v82, v85
	v_dual_mul_f32 v86, v82, v83 :: v_dual_and_b32 v91, 0x7f800000, v90
	v_mul_f32_e32 v85, v82, v76
                                        ; implicit-def: $vgpr76
	s_delay_alu instid0(VALU_DEP_2)
	v_cmpx_ne_u32_e32 0x7f800000, v91
	s_xor_b32 s3, exec_lo, s3
; %bb.13:
	v_bfe_u32 v76, v90, 16, 1
	s_delay_alu instid0(VALU_DEP_1)
	v_add3_u32 v76, v90, v76, 0x7fff
                                        ; implicit-def: $vgpr90
; %bb.14:
	s_and_not1_saveexec_b32 s3, s3
; %bb.15:
	v_and_b32_e32 v76, 0xffff, v90
	v_or_b32_e32 v83, 0x10000, v90
	s_delay_alu instid0(VALU_DEP_2) | instskip(NEXT) | instid1(VALU_DEP_2)
	v_cmp_eq_u32_e32 vcc_lo, 0, v76
	v_cndmask_b32_e32 v76, v83, v90, vcc_lo
; %bb.16:
	s_or_b32 exec_lo, exec_lo, s3
	v_and_b32_e32 v83, 0x7f800000, v85
	s_delay_alu instid0(VALU_DEP_1) | instskip(SKIP_1) | instid1(SALU_CYCLE_1)
	v_cmp_ne_u32_e32 vcc_lo, 0x7f800000, v83
                                        ; implicit-def: $vgpr83
	s_and_saveexec_b32 s3, vcc_lo
	s_xor_b32 s3, exec_lo, s3
; %bb.17:
	v_bfe_u32 v83, v85, 16, 1
	s_delay_alu instid0(VALU_DEP_1)
	v_add3_u32 v83, v85, v83, 0x7fff
                                        ; implicit-def: $vgpr85
; %bb.18:
	s_and_not1_saveexec_b32 s3, s3
; %bb.19:
	v_and_b32_e32 v83, 0xffff, v85
	v_or_b32_e32 v90, 0x10000, v85
	s_delay_alu instid0(VALU_DEP_2) | instskip(NEXT) | instid1(VALU_DEP_2)
	v_cmp_eq_u32_e32 vcc_lo, 0, v83
	v_cndmask_b32_e32 v83, v90, v85, vcc_lo
; %bb.20:
	s_or_b32 exec_lo, exec_lo, s3
	v_and_b32_e32 v85, 0x7f800000, v86
	s_delay_alu instid0(VALU_DEP_1) | instskip(SKIP_1) | instid1(SALU_CYCLE_1)
	v_cmp_ne_u32_e32 vcc_lo, 0x7f800000, v85
                                        ; implicit-def: $vgpr85
	s_and_saveexec_b32 s3, vcc_lo
	s_xor_b32 s3, exec_lo, s3
; %bb.21:
	v_bfe_u32 v85, v86, 16, 1
	s_delay_alu instid0(VALU_DEP_1)
	v_add3_u32 v85, v86, v85, 0x7fff
                                        ; implicit-def: $vgpr86
; %bb.22:
	s_and_not1_saveexec_b32 s3, s3
; %bb.23:
	v_and_b32_e32 v85, 0xffff, v86
	v_or_b32_e32 v90, 0x10000, v86
	s_delay_alu instid0(VALU_DEP_2) | instskip(NEXT) | instid1(VALU_DEP_2)
	v_cmp_eq_u32_e32 vcc_lo, 0, v85
	v_cndmask_b32_e32 v85, v90, v86, vcc_lo
; %bb.24:
	s_or_b32 exec_lo, exec_lo, s3
	v_and_b32_e32 v86, 0x7f800000, v89
	s_delay_alu instid0(VALU_DEP_1) | instskip(SKIP_1) | instid1(SALU_CYCLE_1)
	v_cmp_ne_u32_e32 vcc_lo, 0x7f800000, v86
                                        ; implicit-def: $vgpr86
	s_and_saveexec_b32 s3, vcc_lo
	s_xor_b32 s3, exec_lo, s3
; %bb.25:
	v_bfe_u32 v86, v89, 16, 1
	s_delay_alu instid0(VALU_DEP_1)
	v_add3_u32 v86, v89, v86, 0x7fff
                                        ; implicit-def: $vgpr89
; %bb.26:
	s_and_not1_saveexec_b32 s3, s3
; %bb.27:
	v_and_b32_e32 v86, 0xffff, v89
	v_or_b32_e32 v90, 0x10000, v89
	s_delay_alu instid0(VALU_DEP_2) | instskip(NEXT) | instid1(VALU_DEP_2)
	v_cmp_eq_u32_e32 vcc_lo, 0, v86
	v_cndmask_b32_e32 v86, v90, v89, vcc_lo
; %bb.28:
	s_or_b32 exec_lo, exec_lo, s3
	v_and_b32_e32 v89, 0x7f800000, v88
	s_delay_alu instid0(VALU_DEP_1) | instskip(SKIP_1) | instid1(SALU_CYCLE_1)
	v_cmp_ne_u32_e32 vcc_lo, 0x7f800000, v89
                                        ; implicit-def: $vgpr89
	s_and_saveexec_b32 s3, vcc_lo
	s_xor_b32 s3, exec_lo, s3
; %bb.29:
	v_bfe_u32 v89, v88, 16, 1
	s_delay_alu instid0(VALU_DEP_1)
	v_add3_u32 v89, v88, v89, 0x7fff
                                        ; implicit-def: $vgpr88
; %bb.30:
	s_and_not1_saveexec_b32 s3, s3
; %bb.31:
	v_and_b32_e32 v89, 0xffff, v88
	v_or_b32_e32 v90, 0x10000, v88
	s_delay_alu instid0(VALU_DEP_2) | instskip(NEXT) | instid1(VALU_DEP_2)
	v_cmp_eq_u32_e32 vcc_lo, 0, v89
	v_cndmask_b32_e32 v89, v90, v88, vcc_lo
; %bb.32:
	s_or_b32 exec_lo, exec_lo, s3
	v_and_b32_e32 v88, 0x7f800000, v87
	s_delay_alu instid0(VALU_DEP_1) | instskip(SKIP_1) | instid1(SALU_CYCLE_1)
	v_cmp_ne_u32_e32 vcc_lo, 0x7f800000, v88
                                        ; implicit-def: $vgpr88
	s_and_saveexec_b32 s3, vcc_lo
	s_xor_b32 s3, exec_lo, s3
; %bb.33:
	v_bfe_u32 v88, v87, 16, 1
	s_delay_alu instid0(VALU_DEP_1)
	v_add3_u32 v88, v87, v88, 0x7fff
                                        ; implicit-def: $vgpr87
; %bb.34:
	s_and_not1_saveexec_b32 s3, s3
; %bb.35:
	v_and_b32_e32 v88, 0xffff, v87
	v_or_b32_e32 v90, 0x10000, v87
	s_delay_alu instid0(VALU_DEP_2) | instskip(NEXT) | instid1(VALU_DEP_2)
	v_cmp_eq_u32_e32 vcc_lo, 0, v88
	v_cndmask_b32_e32 v88, v90, v87, vcc_lo
; %bb.36:
	s_or_b32 exec_lo, exec_lo, s3
	v_and_b32_e32 v87, 0x7f800000, v84
	s_delay_alu instid0(VALU_DEP_1) | instskip(SKIP_1) | instid1(SALU_CYCLE_1)
	v_cmp_ne_u32_e32 vcc_lo, 0x7f800000, v87
                                        ; implicit-def: $vgpr87
	s_and_saveexec_b32 s3, vcc_lo
	s_xor_b32 s3, exec_lo, s3
; %bb.37:
	v_bfe_u32 v87, v84, 16, 1
	s_delay_alu instid0(VALU_DEP_1)
	v_add3_u32 v87, v84, v87, 0x7fff
                                        ; implicit-def: $vgpr84
; %bb.38:
	s_and_not1_saveexec_b32 s3, s3
; %bb.39:
	v_and_b32_e32 v87, 0xffff, v84
	v_or_b32_e32 v90, 0x10000, v84
	s_delay_alu instid0(VALU_DEP_2) | instskip(NEXT) | instid1(VALU_DEP_2)
	v_cmp_eq_u32_e32 vcc_lo, 0, v87
	v_cndmask_b32_e32 v87, v90, v84, vcc_lo
; %bb.40:
	s_or_b32 exec_lo, exec_lo, s3
	v_and_b32_e32 v84, 0x7f800000, v80
	s_delay_alu instid0(VALU_DEP_1) | instskip(SKIP_1) | instid1(SALU_CYCLE_1)
	v_cmp_ne_u32_e32 vcc_lo, 0x7f800000, v84
                                        ; implicit-def: $vgpr84
	s_and_saveexec_b32 s3, vcc_lo
	s_xor_b32 s3, exec_lo, s3
; %bb.41:
	v_bfe_u32 v84, v80, 16, 1
	s_delay_alu instid0(VALU_DEP_1)
	v_add3_u32 v84, v80, v84, 0x7fff
                                        ; implicit-def: $vgpr80
; %bb.42:
	s_and_not1_saveexec_b32 s3, s3
; %bb.43:
	v_and_b32_e32 v84, 0xffff, v80
	v_or_b32_e32 v90, 0x10000, v80
	s_delay_alu instid0(VALU_DEP_2) | instskip(NEXT) | instid1(VALU_DEP_2)
	v_cmp_eq_u32_e32 vcc_lo, 0, v84
	v_cndmask_b32_e32 v84, v90, v80, vcc_lo
; %bb.44:
	s_or_b32 exec_lo, exec_lo, s3
	s_load_b64 s[34:35], s[0:1], 0x94
	v_lshlrev_b32_e32 v91, 4, v75
	s_delay_alu instid0(VALU_DEP_2)
	v_perm_b32 v90, v84, v87, 0x7060302
	v_dual_mul_f32 v77, v82, v77 :: v_dual_lshlrev_b32 v80, 6, v66
	v_lshlrev_b32_e32 v66, 11, v65
	v_perm_b32 v87, v83, v76, 0x7060302
	v_mul_f32_e32 v83, v82, v70
	v_perm_b32 v89, v88, v89, 0x7060302
	v_perm_b32 v88, v86, v85, 0x7060302
	v_or3_b32 v76, v91, v66, v80
	v_mul_f32_e32 v66, v82, v81
	v_mul_f32_e32 v70, v82, v79
	;; [unrolled: 1-line block ×3, first 2 shown]
	v_dual_mul_f32 v81, v82, v72 :: v_dual_and_b32 v84, 0x7f800000, v83
	v_mul_f32_e32 v79, v82, v71
	v_mul_f32_e32 v72, v82, v69
	s_mov_b32 s3, exec_lo
	ds_store_b128 v76, v[87:90]
                                        ; implicit-def: $vgpr69
	v_cmpx_ne_u32_e32 0x7f800000, v84
	s_xor_b32 s3, exec_lo, s3
; %bb.45:
	v_bfe_u32 v69, v83, 16, 1
	s_delay_alu instid0(VALU_DEP_1)
	v_add3_u32 v69, v83, v69, 0x7fff
                                        ; implicit-def: $vgpr83
; %bb.46:
	s_and_not1_saveexec_b32 s3, s3
; %bb.47:
	v_and_b32_e32 v69, 0xffff, v83
	v_or_b32_e32 v71, 0x10000, v83
	s_delay_alu instid0(VALU_DEP_2) | instskip(NEXT) | instid1(VALU_DEP_2)
	v_cmp_eq_u32_e32 vcc_lo, 0, v69
	v_cndmask_b32_e32 v69, v71, v83, vcc_lo
; %bb.48:
	s_or_b32 exec_lo, exec_lo, s3
	v_and_b32_e32 v71, 0x7f800000, v72
	s_delay_alu instid0(VALU_DEP_1) | instskip(SKIP_1) | instid1(SALU_CYCLE_1)
	v_cmp_ne_u32_e32 vcc_lo, 0x7f800000, v71
                                        ; implicit-def: $vgpr71
	s_and_saveexec_b32 s3, vcc_lo
	s_xor_b32 s3, exec_lo, s3
; %bb.49:
	v_bfe_u32 v71, v72, 16, 1
	s_delay_alu instid0(VALU_DEP_1)
	v_add3_u32 v71, v72, v71, 0x7fff
                                        ; implicit-def: $vgpr72
; %bb.50:
	s_and_not1_saveexec_b32 s3, s3
; %bb.51:
	v_and_b32_e32 v71, 0xffff, v72
	v_or_b32_e32 v82, 0x10000, v72
	s_delay_alu instid0(VALU_DEP_2) | instskip(NEXT) | instid1(VALU_DEP_2)
	v_cmp_eq_u32_e32 vcc_lo, 0, v71
	v_cndmask_b32_e32 v71, v82, v72, vcc_lo
; %bb.52:
	s_or_b32 exec_lo, exec_lo, s3
	v_and_b32_e32 v72, 0x7f800000, v79
	s_delay_alu instid0(VALU_DEP_1) | instskip(SKIP_1) | instid1(SALU_CYCLE_1)
	v_cmp_ne_u32_e32 vcc_lo, 0x7f800000, v72
                                        ; implicit-def: $vgpr72
	s_and_saveexec_b32 s3, vcc_lo
	s_xor_b32 s3, exec_lo, s3
; %bb.53:
	v_bfe_u32 v72, v79, 16, 1
	s_delay_alu instid0(VALU_DEP_1)
	v_add3_u32 v72, v79, v72, 0x7fff
                                        ; implicit-def: $vgpr79
; %bb.54:
	s_and_not1_saveexec_b32 s3, s3
; %bb.55:
	v_and_b32_e32 v72, 0xffff, v79
	v_or_b32_e32 v82, 0x10000, v79
	s_delay_alu instid0(VALU_DEP_2) | instskip(NEXT) | instid1(VALU_DEP_2)
	v_cmp_eq_u32_e32 vcc_lo, 0, v72
	v_cndmask_b32_e32 v72, v82, v79, vcc_lo
; %bb.56:
	s_or_b32 exec_lo, exec_lo, s3
	v_and_b32_e32 v79, 0x7f800000, v81
	s_delay_alu instid0(VALU_DEP_1) | instskip(SKIP_1) | instid1(SALU_CYCLE_1)
	v_cmp_ne_u32_e32 vcc_lo, 0x7f800000, v79
                                        ; implicit-def: $vgpr79
	s_and_saveexec_b32 s3, vcc_lo
	s_xor_b32 s3, exec_lo, s3
; %bb.57:
	v_bfe_u32 v79, v81, 16, 1
	s_delay_alu instid0(VALU_DEP_1)
	v_add3_u32 v79, v81, v79, 0x7fff
                                        ; implicit-def: $vgpr81
; %bb.58:
	s_and_not1_saveexec_b32 s3, s3
; %bb.59:
	v_and_b32_e32 v79, 0xffff, v81
	v_or_b32_e32 v82, 0x10000, v81
	s_delay_alu instid0(VALU_DEP_2) | instskip(NEXT) | instid1(VALU_DEP_2)
	v_cmp_eq_u32_e32 vcc_lo, 0, v79
	v_cndmask_b32_e32 v79, v82, v81, vcc_lo
; %bb.60:
	s_or_b32 exec_lo, exec_lo, s3
	v_and_b32_e32 v81, 0x7f800000, v77
	s_delay_alu instid0(VALU_DEP_1) | instskip(SKIP_1) | instid1(SALU_CYCLE_1)
	v_cmp_ne_u32_e32 vcc_lo, 0x7f800000, v81
                                        ; implicit-def: $vgpr81
	s_and_saveexec_b32 s3, vcc_lo
	s_xor_b32 s3, exec_lo, s3
; %bb.61:
	v_bfe_u32 v81, v77, 16, 1
	s_delay_alu instid0(VALU_DEP_1)
	v_add3_u32 v81, v77, v81, 0x7fff
                                        ; implicit-def: $vgpr77
; %bb.62:
	s_and_not1_saveexec_b32 s3, s3
; %bb.63:
	v_and_b32_e32 v81, 0xffff, v77
	v_or_b32_e32 v82, 0x10000, v77
	s_delay_alu instid0(VALU_DEP_2) | instskip(NEXT) | instid1(VALU_DEP_2)
	v_cmp_eq_u32_e32 vcc_lo, 0, v81
	v_cndmask_b32_e32 v81, v82, v77, vcc_lo
; %bb.64:
	s_or_b32 exec_lo, exec_lo, s3
	v_and_b32_e32 v77, 0x7f800000, v78
	s_delay_alu instid0(VALU_DEP_1) | instskip(SKIP_1) | instid1(SALU_CYCLE_1)
	v_cmp_ne_u32_e32 vcc_lo, 0x7f800000, v77
                                        ; implicit-def: $vgpr77
	s_and_saveexec_b32 s3, vcc_lo
	s_xor_b32 s3, exec_lo, s3
; %bb.65:
	v_bfe_u32 v77, v78, 16, 1
	s_delay_alu instid0(VALU_DEP_1)
	v_add3_u32 v77, v78, v77, 0x7fff
                                        ; implicit-def: $vgpr78
; %bb.66:
	s_and_not1_saveexec_b32 s3, s3
; %bb.67:
	v_and_b32_e32 v77, 0xffff, v78
	v_or_b32_e32 v82, 0x10000, v78
	s_delay_alu instid0(VALU_DEP_2) | instskip(NEXT) | instid1(VALU_DEP_2)
	v_cmp_eq_u32_e32 vcc_lo, 0, v77
	v_cndmask_b32_e32 v77, v82, v78, vcc_lo
; %bb.68:
	s_or_b32 exec_lo, exec_lo, s3
	v_and_b32_e32 v78, 0x7f800000, v70
	s_delay_alu instid0(VALU_DEP_1) | instskip(SKIP_1) | instid1(SALU_CYCLE_1)
	v_cmp_ne_u32_e32 vcc_lo, 0x7f800000, v78
                                        ; implicit-def: $vgpr78
	s_and_saveexec_b32 s3, vcc_lo
	s_xor_b32 s3, exec_lo, s3
; %bb.69:
	v_bfe_u32 v78, v70, 16, 1
	s_delay_alu instid0(VALU_DEP_1)
	v_add3_u32 v78, v70, v78, 0x7fff
                                        ; implicit-def: $vgpr70
; %bb.70:
	s_and_not1_saveexec_b32 s3, s3
; %bb.71:
	v_and_b32_e32 v78, 0xffff, v70
	v_or_b32_e32 v82, 0x10000, v70
	s_delay_alu instid0(VALU_DEP_2) | instskip(NEXT) | instid1(VALU_DEP_2)
	v_cmp_eq_u32_e32 vcc_lo, 0, v78
	v_cndmask_b32_e32 v78, v82, v70, vcc_lo
; %bb.72:
	s_or_b32 exec_lo, exec_lo, s3
	v_and_b32_e32 v70, 0x7f800000, v66
	s_delay_alu instid0(VALU_DEP_1) | instskip(SKIP_1) | instid1(SALU_CYCLE_1)
	v_cmp_ne_u32_e32 vcc_lo, 0x7f800000, v70
                                        ; implicit-def: $vgpr70
	s_and_saveexec_b32 s3, vcc_lo
	s_xor_b32 s3, exec_lo, s3
; %bb.73:
	v_bfe_u32 v70, v66, 16, 1
	s_delay_alu instid0(VALU_DEP_1)
	v_add3_u32 v70, v66, v70, 0x7fff
                                        ; implicit-def: $vgpr66
; %bb.74:
	s_and_not1_saveexec_b32 s3, s3
; %bb.75:
	v_and_b32_e32 v70, 0xffff, v66
	v_or_b32_e32 v82, 0x10000, v66
	s_delay_alu instid0(VALU_DEP_2) | instskip(NEXT) | instid1(VALU_DEP_2)
	v_cmp_eq_u32_e32 vcc_lo, 0, v70
	v_cndmask_b32_e32 v70, v82, v66, vcc_lo
; %bb.76:
	s_or_b32 exec_lo, exec_lo, s3
	s_delay_alu instid0(VALU_DEP_1)
	v_perm_b32 v86, v70, v78, 0x7060302
	v_perm_b32 v85, v77, v81, 0x7060302
	;; [unrolled: 1-line block ×4, first 2 shown]
	v_lshl_or_b32 v82, v65, 11, v80
	ds_store_b128 v76, v[83:86] offset:1024
	s_waitcnt lgkmcnt(0)
	s_barrier
	buffer_gl0_inv
	ds_load_b128 v[69:72], v82
	ds_load_b128 v[83:86], v82 offset:16
	s_waitcnt lgkmcnt(1)
	v_lshrrev_b32_e32 v65, 16, v69
	v_lshlrev_b32_e32 v78, 2, v75
	s_waitcnt lgkmcnt(0)
	v_lshrrev_b32_e32 v91, 16, v83
	v_lshrrev_b32_e32 v66, 16, v70
	;; [unrolled: 1-line block ×4, first 2 shown]
	v_cmp_eq_u32_e32 vcc_lo, 1, v78
	v_lshrrev_b32_e32 v98, 16, v85
	v_lshrrev_b32_e32 v96, 16, v72
	;; [unrolled: 1-line block ×3, first 2 shown]
	v_cndmask_b32_e32 v81, v69, v65, vcc_lo
	v_or_b32_e32 v79, 1, v78
	v_cmp_eq_u32_e64 s4, 2, v78
	v_cndmask_b32_e32 v87, v83, v91, vcc_lo
	v_cmp_eq_u32_e64 s7, 3, v78
	v_cmp_eq_u32_e64 s9, 4, v78
	v_cmp_eq_u32_e64 s3, 1, v79
	v_cndmask_b32_e64 v81, v81, v70, s4
	v_cmp_eq_u32_e64 s6, 2, v79
	v_cndmask_b32_e64 v87, v87, v84, s4
	v_cmp_eq_u32_e64 s8, 3, v79
	v_cndmask_b32_e64 v88, v69, v65, s3
	v_cndmask_b32_e64 v81, v81, v66, s7
	v_or_b32_e32 v77, 2, v78
	v_cndmask_b32_e64 v87, v87, v97, s7
	v_cndmask_b32_e64 v89, v83, v91, s3
	;; [unrolled: 1-line block ×4, first 2 shown]
	v_cmp_eq_u32_e64 s10, 5, v78
	v_cndmask_b32_e64 v87, v87, v85, s9
	v_cmp_eq_u32_e64 s11, 4, v79
	v_cndmask_b32_e64 v88, v88, v66, s8
	;; [unrolled: 2-line block ×3, first 2 shown]
	v_cndmask_b32_e64 v81, v81, v95, s10
	v_cmp_eq_u32_e64 s12, 6, v78
	v_cndmask_b32_e64 v88, v88, v71, s11
	v_cndmask_b32_e64 v87, v87, v98, s10
	v_cmp_eq_u32_e64 s13, 5, v79
	v_cndmask_b32_e64 v90, v69, v65, s5
	v_cndmask_b32_e64 v89, v89, v97, s8
	v_cndmask_b32_e64 v81, v81, v72, s12
	v_cmp_eq_u32_e64 s15, 7, v78
	v_cndmask_b32_e64 v88, v88, v95, s13
	v_cndmask_b32_e64 v87, v87, v86, s12
	v_cmp_eq_u32_e64 s16, 6, v79
	v_cmp_eq_u32_e64 s17, 2, v77
	v_cndmask_b32_e64 v89, v89, v85, s11
	v_cndmask_b32_e64 v100, v81, v96, s15
	;; [unrolled: 1-line block ×6, first 2 shown]
	v_cmp_eq_u32_e64 s18, 7, v79
	v_cmp_eq_u32_e64 s19, 3, v77
	;; [unrolled: 1-line block ×4, first 2 shown]
	v_cndmask_b32_e64 v87, v87, v84, s17
	v_cndmask_b32_e64 v102, v88, v96, s18
	;; [unrolled: 1-line block ×4, first 2 shown]
	v_or_b32_e32 v81, 3, v78
	v_cndmask_b32_e64 v93, v87, v97, s19
	v_cmp_eq_u32_e64 s24, 6, v77
	v_cndmask_b32_e64 v103, v88, v86, s16
	v_cndmask_b32_e64 v92, v89, v71, s20
	v_cmp_eq_u32_e64 s21, 1, v81
	ds_load_b128 v[87:90], v82 offset:1024
	v_cmp_eq_u32_e64 s23, 2, v81
	v_cmp_eq_u32_e64 s25, 3, v81
	v_cndmask_b32_e64 v104, v92, v95, s22
	v_cndmask_b32_e64 v65, v69, v65, s21
	;; [unrolled: 1-line block ×4, first 2 shown]
	ds_load_b128 v[91:94], v82 offset:1040
	v_cmp_eq_u32_e64 s26, 4, v81
	v_cndmask_b32_e64 v65, v65, v70, s23
	v_cmp_eq_u32_e64 s28, 5, v81
	v_cndmask_b32_e64 v70, v83, v84, s23
	;; [unrolled: 2-line block ×3, first 2 shown]
	v_cndmask_b32_e64 v65, v65, v66, s25
	v_cndmask_b32_e64 v66, v104, v72, s24
	;; [unrolled: 1-line block ×3, first 2 shown]
	v_cmp_eq_u32_e64 s27, 7, v77
	v_cndmask_b32_e64 v69, v69, v86, s24
	v_cndmask_b32_e64 v65, v65, v71, s26
	s_waitcnt lgkmcnt(1)
	v_lshrrev_b32_e32 v84, 16, v87
	v_cndmask_b32_e64 v70, v70, v85, s26
	v_cndmask_b32_e64 v83, v103, v99, s18
	;; [unrolled: 1-line block ×4, first 2 shown]
	v_lshrrev_b32_e32 v95, 16, v88
	v_cndmask_b32_e64 v70, v70, v98, s28
	s_waitcnt lgkmcnt(0)
	v_lshrrev_b32_e32 v85, 16, v91
	v_cndmask_b32_e64 v97, v87, v84, s3
	v_cndmask_b32_e64 v65, v65, v72, s29
	;; [unrolled: 1-line block ×4, first 2 shown]
	v_cndmask_b32_e32 v71, v87, v84, vcc_lo
	v_cndmask_b32_e32 v98, v91, v85, vcc_lo
	v_cmp_eq_u32_e32 vcc_lo, 7, v81
	v_cndmask_b32_e64 v72, v97, v88, s6
	v_lshrrev_b32_e32 v97, 16, v92
	v_lshrrev_b32_e32 v103, 16, v90
	v_dual_cndmask_b32 v65, v65, v96 :: v_dual_cndmask_b32 v70, v70, v99
	v_cndmask_b32_e64 v71, v71, v88, s4
	v_cndmask_b32_e64 v86, v98, v92, s4
	;; [unrolled: 1-line block ×3, first 2 shown]
	v_lshrrev_b32_e32 v98, 16, v89
	v_lshrrev_b32_e32 v99, 16, v93
	v_cndmask_b32_e64 v71, v71, v95, s7
	v_cndmask_b32_e64 v86, v86, v97, s7
	;; [unrolled: 1-line block ×3, first 2 shown]
	v_perm_b32 v72, v70, v65, 0x5040100
	v_perm_b32 v70, v83, v102, 0x5040100
	v_cndmask_b32_e64 v71, v71, v89, s9
	v_cndmask_b32_e64 v86, v86, v93, s9
	;; [unrolled: 1-line block ×3, first 2 shown]
	v_lshrrev_b32_e32 v83, 16, v94
	s_delay_alu instid0(VALU_DEP_4) | instskip(NEXT) | instid1(VALU_DEP_4)
	v_cndmask_b32_e64 v71, v71, v98, s10
	v_cndmask_b32_e64 v86, v86, v99, s10
	s_delay_alu instid0(VALU_DEP_4) | instskip(NEXT) | instid1(VALU_DEP_3)
	v_cndmask_b32_e64 v65, v65, v90, s16
	v_cndmask_b32_e64 v96, v71, v90, s12
	v_perm_b32 v71, v69, v66, 0x5040100
	s_delay_alu instid0(VALU_DEP_4)
	v_cndmask_b32_e64 v69, v86, v94, s12
	v_cndmask_b32_e64 v86, v87, v84, s5
	;; [unrolled: 1-line block ×34, first 2 shown]
	v_cndmask_b32_e32 v84, v84, v103, vcc_lo
	v_cndmask_b32_e32 v86, v87, v83, vcc_lo
	v_cndmask_b32_e64 v87, v88, v83, s27
	v_cndmask_b32_e64 v88, v85, v83, s18
	;; [unrolled: 1-line block ×3, first 2 shown]
	v_perm_b32 v69, v101, v100, 0x5040100
	v_perm_b32 v86, v86, v84, 0x5040100
	;; [unrolled: 1-line block ×5, first 2 shown]
	s_lshl_b32 s8, s35, 2
	s_mov_b32 s3, exec_lo
	ds_store_b128 v76, v[69:72]
	ds_store_b128 v76, v[83:86] offset:1024
	v_cmpx_gt_u32_e32 4, v0
	s_cbranch_execz .LBB1713_78
; %bb.77:
	v_or_b32_e32 v65, s31, v0
	s_load_b128 s[4:7], s[0:1], 0x58
	s_delay_alu instid0(VALU_DEP_1) | instskip(NEXT) | instid1(VALU_DEP_1)
	v_mad_u64_u32 v[69:70], null, s8, s30, v[65:66]
	v_mad_u64_u32 v[65:66], null, v69, s34, s[14:15]
	s_delay_alu instid0(VALU_DEP_1) | instskip(NEXT) | instid1(VALU_DEP_1)
	v_ashrrev_i32_e32 v66, 31, v65
	v_lshlrev_b64 v[65:66], 2, v[65:66]
	s_waitcnt lgkmcnt(0)
	s_delay_alu instid0(VALU_DEP_1) | instskip(NEXT) | instid1(VALU_DEP_2)
	v_add_co_u32 v69, vcc_lo, s6, v65
	v_add_co_ci_u32_e32 v70, vcc_lo, s7, v66, vcc_lo
	v_add_co_u32 v65, vcc_lo, s4, v65
	v_add_co_ci_u32_e32 v66, vcc_lo, s5, v66, vcc_lo
	global_store_b32 v[69:70], v67, off
	global_store_b32 v[65:66], v68, off
.LBB1713_78:
	s_or_b32 exec_lo, exec_lo, s3
	s_waitcnt lgkmcnt(0)
	s_waitcnt_vscnt null, 0x0
	s_barrier
	buffer_gl0_inv
	ds_load_b128 v[83:86], v80
	ds_load_b128 v[87:90], v80 offset:16
	ds_load_b128 v[95:98], v80 offset:2064
	;; [unrolled: 1-line block ×3, first 2 shown]
	v_mov_b32_e32 v65, 0
	ds_load_b128 v[103:106], v80 offset:4112
	ds_load_b128 v[99:102], v80 offset:4096
	;; [unrolled: 1-line block ×4, first 2 shown]
	v_mov_b32_e32 v66, v65
	v_mov_b32_e32 v67, v65
	;; [unrolled: 1-line block ×7, first 2 shown]
	s_waitcnt lgkmcnt(6)
	s_delay_alu instid0(VALU_DEP_1)
	v_wmma_f32_16x16x16_bf16 v[65:72], v[57:64], v[83:90], v[65:72]
	ds_load_b128 v[61:64], v80 offset:8208
	ds_load_b128 v[57:60], v80 offset:8192
	s_waitcnt lgkmcnt(6)
	v_wmma_f32_16x16x16_bf16 v[65:72], v[41:48], v[91:98], v[65:72]
	ds_load_b128 v[45:48], v80 offset:10256
	ds_load_b128 v[41:44], v80 offset:10240
	s_waitcnt lgkmcnt(6)
	;; [unrolled: 4-line block ×4, first 2 shown]
	v_wmma_f32_16x16x16_bf16 v[65:72], v[1:8], v[57:64], v[65:72]
	s_waitcnt lgkmcnt(4)
	s_delay_alu instid0(VALU_DEP_1) | instskip(SKIP_1) | instid1(VALU_DEP_1)
	v_wmma_f32_16x16x16_bf16 v[65:72], v[9:16], v[41:48], v[65:72]
	s_waitcnt lgkmcnt(2)
	v_wmma_f32_16x16x16_bf16 v[65:72], v[17:24], v[33:40], v[65:72]
	s_waitcnt lgkmcnt(0)
	s_delay_alu instid0(VALU_DEP_1) | instskip(NEXT) | instid1(VALU_DEP_1)
	v_wmma_f32_16x16x16_bf16 v[65:72], v[49:56], v[25:32], v[65:72]
	v_and_b32_e32 v1, 0x7f800000, v65
	s_delay_alu instid0(VALU_DEP_1) | instskip(SKIP_1) | instid1(SALU_CYCLE_1)
	v_cmp_ne_u32_e32 vcc_lo, 0x7f800000, v1
                                        ; implicit-def: $vgpr1
	s_and_saveexec_b32 s3, vcc_lo
	s_xor_b32 s3, exec_lo, s3
; %bb.79:
	v_bfe_u32 v1, v65, 16, 1
	s_delay_alu instid0(VALU_DEP_1)
	v_add3_u32 v1, v65, v1, 0x7fff
; %bb.80:
	s_and_not1_saveexec_b32 s3, s3
; %bb.81:
	v_and_b32_e32 v1, 0xffff, v65
	v_or_b32_e32 v2, 0x10000, v65
	s_delay_alu instid0(VALU_DEP_2) | instskip(NEXT) | instid1(VALU_DEP_2)
	v_cmp_eq_u32_e32 vcc_lo, 0, v1
	v_cndmask_b32_e32 v1, v2, v65, vcc_lo
; %bb.82:
	s_or_b32 exec_lo, exec_lo, s3
	v_and_b32_e32 v2, 0x7f800000, v66
	s_delay_alu instid0(VALU_DEP_1) | instskip(SKIP_1) | instid1(SALU_CYCLE_1)
	v_cmp_ne_u32_e32 vcc_lo, 0x7f800000, v2
                                        ; implicit-def: $vgpr2
	s_and_saveexec_b32 s3, vcc_lo
	s_xor_b32 s3, exec_lo, s3
; %bb.83:
	v_bfe_u32 v2, v66, 16, 1
	s_delay_alu instid0(VALU_DEP_1)
	v_add3_u32 v2, v66, v2, 0x7fff
; %bb.84:
	s_and_not1_saveexec_b32 s3, s3
; %bb.85:
	v_and_b32_e32 v2, 0xffff, v66
	v_or_b32_e32 v3, 0x10000, v66
	s_delay_alu instid0(VALU_DEP_2) | instskip(NEXT) | instid1(VALU_DEP_2)
	v_cmp_eq_u32_e32 vcc_lo, 0, v2
	v_cndmask_b32_e32 v2, v3, v66, vcc_lo
; %bb.86:
	s_or_b32 exec_lo, exec_lo, s3
	v_and_b32_e32 v3, 0x7f800000, v67
	s_delay_alu instid0(VALU_DEP_1) | instskip(SKIP_1) | instid1(SALU_CYCLE_1)
	v_cmp_ne_u32_e32 vcc_lo, 0x7f800000, v3
                                        ; implicit-def: $vgpr3
	s_and_saveexec_b32 s3, vcc_lo
	s_xor_b32 s3, exec_lo, s3
; %bb.87:
	v_bfe_u32 v3, v67, 16, 1
	s_delay_alu instid0(VALU_DEP_1)
	v_add3_u32 v3, v67, v3, 0x7fff
; %bb.88:
	s_and_not1_saveexec_b32 s3, s3
; %bb.89:
	v_and_b32_e32 v3, 0xffff, v67
	v_or_b32_e32 v4, 0x10000, v67
	s_delay_alu instid0(VALU_DEP_2) | instskip(NEXT) | instid1(VALU_DEP_2)
	v_cmp_eq_u32_e32 vcc_lo, 0, v3
	v_cndmask_b32_e32 v3, v4, v67, vcc_lo
; %bb.90:
	s_or_b32 exec_lo, exec_lo, s3
	v_and_b32_e32 v4, 0x7f800000, v68
	s_delay_alu instid0(VALU_DEP_1) | instskip(SKIP_1) | instid1(SALU_CYCLE_1)
	v_cmp_ne_u32_e32 vcc_lo, 0x7f800000, v4
                                        ; implicit-def: $vgpr4
	s_and_saveexec_b32 s3, vcc_lo
	s_xor_b32 s3, exec_lo, s3
; %bb.91:
	v_bfe_u32 v4, v68, 16, 1
	s_delay_alu instid0(VALU_DEP_1)
	v_add3_u32 v4, v68, v4, 0x7fff
; %bb.92:
	s_and_not1_saveexec_b32 s3, s3
; %bb.93:
	v_and_b32_e32 v4, 0xffff, v68
	v_or_b32_e32 v5, 0x10000, v68
	s_delay_alu instid0(VALU_DEP_2) | instskip(NEXT) | instid1(VALU_DEP_2)
	v_cmp_eq_u32_e32 vcc_lo, 0, v4
	v_cndmask_b32_e32 v4, v5, v68, vcc_lo
; %bb.94:
	s_or_b32 exec_lo, exec_lo, s3
	v_and_b32_e32 v5, 0x7f800000, v69
	s_delay_alu instid0(VALU_DEP_1) | instskip(SKIP_1) | instid1(SALU_CYCLE_1)
	v_cmp_ne_u32_e32 vcc_lo, 0x7f800000, v5
                                        ; implicit-def: $vgpr5
	s_and_saveexec_b32 s3, vcc_lo
	s_xor_b32 s3, exec_lo, s3
; %bb.95:
	v_bfe_u32 v5, v69, 16, 1
	s_delay_alu instid0(VALU_DEP_1)
	v_add3_u32 v5, v69, v5, 0x7fff
; %bb.96:
	s_and_not1_saveexec_b32 s3, s3
; %bb.97:
	v_and_b32_e32 v5, 0xffff, v69
	v_or_b32_e32 v6, 0x10000, v69
	s_delay_alu instid0(VALU_DEP_2) | instskip(NEXT) | instid1(VALU_DEP_2)
	v_cmp_eq_u32_e32 vcc_lo, 0, v5
	v_cndmask_b32_e32 v5, v6, v69, vcc_lo
; %bb.98:
	s_or_b32 exec_lo, exec_lo, s3
	v_and_b32_e32 v6, 0x7f800000, v70
	s_delay_alu instid0(VALU_DEP_1) | instskip(SKIP_1) | instid1(SALU_CYCLE_1)
	v_cmp_ne_u32_e32 vcc_lo, 0x7f800000, v6
                                        ; implicit-def: $vgpr6
	s_and_saveexec_b32 s3, vcc_lo
	s_xor_b32 s3, exec_lo, s3
; %bb.99:
	v_bfe_u32 v6, v70, 16, 1
	s_delay_alu instid0(VALU_DEP_1)
	v_add3_u32 v6, v70, v6, 0x7fff
; %bb.100:
	s_and_not1_saveexec_b32 s3, s3
; %bb.101:
	v_and_b32_e32 v6, 0xffff, v70
	v_or_b32_e32 v7, 0x10000, v70
	s_delay_alu instid0(VALU_DEP_2) | instskip(NEXT) | instid1(VALU_DEP_2)
	v_cmp_eq_u32_e32 vcc_lo, 0, v6
	v_cndmask_b32_e32 v6, v7, v70, vcc_lo
; %bb.102:
	s_or_b32 exec_lo, exec_lo, s3
	v_and_b32_e32 v7, 0x7f800000, v71
	s_delay_alu instid0(VALU_DEP_1) | instskip(SKIP_1) | instid1(SALU_CYCLE_1)
	v_cmp_ne_u32_e32 vcc_lo, 0x7f800000, v7
                                        ; implicit-def: $vgpr7
	s_and_saveexec_b32 s3, vcc_lo
	s_xor_b32 s3, exec_lo, s3
; %bb.103:
	v_bfe_u32 v7, v71, 16, 1
	s_delay_alu instid0(VALU_DEP_1)
	v_add3_u32 v7, v71, v7, 0x7fff
; %bb.104:
	s_and_not1_saveexec_b32 s3, s3
; %bb.105:
	v_and_b32_e32 v7, 0xffff, v71
	v_or_b32_e32 v8, 0x10000, v71
	s_delay_alu instid0(VALU_DEP_2) | instskip(NEXT) | instid1(VALU_DEP_2)
	v_cmp_eq_u32_e32 vcc_lo, 0, v7
	v_cndmask_b32_e32 v7, v8, v71, vcc_lo
; %bb.106:
	s_or_b32 exec_lo, exec_lo, s3
	v_and_b32_e32 v8, 0x7f800000, v72
	s_delay_alu instid0(VALU_DEP_1) | instskip(SKIP_1) | instid1(SALU_CYCLE_1)
	v_cmp_ne_u32_e32 vcc_lo, 0x7f800000, v8
                                        ; implicit-def: $vgpr8
	s_and_saveexec_b32 s3, vcc_lo
	s_xor_b32 s3, exec_lo, s3
; %bb.107:
	v_bfe_u32 v8, v72, 16, 1
	s_delay_alu instid0(VALU_DEP_1)
	v_add3_u32 v8, v72, v8, 0x7fff
                                        ; implicit-def: $vgpr65_vgpr66_vgpr67_vgpr68_vgpr69_vgpr70_vgpr71_vgpr72
; %bb.108:
	s_and_not1_saveexec_b32 s3, s3
; %bb.109:
	v_and_b32_e32 v8, 0xffff, v72
	v_or_b32_e32 v9, 0x10000, v72
	s_delay_alu instid0(VALU_DEP_2) | instskip(NEXT) | instid1(VALU_DEP_2)
	v_cmp_eq_u32_e32 vcc_lo, 0, v8
	v_cndmask_b32_e32 v8, v9, v72, vcc_lo
; %bb.110:
	s_or_b32 exec_lo, exec_lo, s3
	s_delay_alu instid0(VALU_DEP_1)
	v_perm_b32 v7, v8, v7, 0x7060302
	v_perm_b32 v6, v6, v5, 0x7060302
	;; [unrolled: 1-line block ×4, first 2 shown]
	s_barrier
	buffer_gl0_inv
	v_cmp_eq_u32_e32 vcc_lo, 1, v78
	ds_store_b128 v76, v[4:7]
	s_waitcnt lgkmcnt(0)
	s_barrier
	buffer_gl0_inv
	ds_load_b128 v[1:4], v82
	ds_load_b128 v[5:8], v82 offset:16
	v_cmp_eq_u32_e64 s3, 1, v79
	v_cmp_eq_u32_e64 s4, 2, v78
	v_cmp_eq_u32_e64 s5, 3, v78
	v_cmp_eq_u32_e64 s7, 2, v77
	v_cmp_eq_u32_e64 s6, 7, v79
	s_waitcnt lgkmcnt(1)
	v_lshrrev_b32_e32 v9, 16, v1
	s_waitcnt lgkmcnt(0)
	v_lshrrev_b32_e32 v13, 16, v5
	v_lshrrev_b32_e32 v10, 16, v2
	;; [unrolled: 1-line block ×4, first 2 shown]
	v_cndmask_b32_e64 v19, v1, v9, s3
	v_cndmask_b32_e32 v18, v5, v13, vcc_lo
	v_cndmask_b32_e64 v20, v5, v13, s3
	v_cndmask_b32_e32 v17, v1, v9, vcc_lo
	v_cmp_eq_u32_e32 vcc_lo, 2, v79
	v_lshrrev_b32_e32 v15, 16, v7
	v_cmp_eq_u32_e64 s3, 1, v77
	v_lshrrev_b32_e32 v12, 16, v4
	v_lshrrev_b32_e32 v16, 16, v8
	v_cndmask_b32_e32 v20, v20, v6, vcc_lo
	v_cndmask_b32_e64 v17, v17, v2, s4
	v_cndmask_b32_e32 v19, v19, v2, vcc_lo
	v_cndmask_b32_e64 v18, v18, v6, s4
	v_cmp_eq_u32_e32 vcc_lo, 4, v78
	v_cmp_eq_u32_e64 s4, 3, v79
	v_cndmask_b32_e64 v17, v17, v10, s5
	v_cndmask_b32_e64 v21, v1, v9, s3
	;; [unrolled: 1-line block ×5, first 2 shown]
	v_cndmask_b32_e32 v17, v17, v3, vcc_lo
	v_cndmask_b32_e64 v20, v20, v14, s4
	v_cndmask_b32_e32 v18, v18, v7, vcc_lo
	v_cmp_eq_u32_e32 vcc_lo, 4, v79
	v_cmp_eq_u32_e64 s4, 5, v79
	v_cmp_eq_u32_e64 s3, 2, v81
	v_cndmask_b32_e64 v21, v21, v2, s7
	v_cmp_eq_u32_e64 s5, 5, v78
	v_cndmask_b32_e32 v19, v19, v3, vcc_lo
	v_cndmask_b32_e32 v20, v20, v7, vcc_lo
	v_cmp_eq_u32_e32 vcc_lo, 6, v79
	s_delay_alu instid0(VALU_DEP_4) | instskip(NEXT) | instid1(VALU_DEP_4)
	v_cndmask_b32_e64 v17, v17, v11, s5
	v_cndmask_b32_e64 v19, v19, v11, s4
	s_delay_alu instid0(VALU_DEP_4) | instskip(SKIP_1) | instid1(VALU_DEP_3)
	v_cndmask_b32_e64 v20, v20, v15, s4
	v_cmp_eq_u32_e64 s4, 1, v81
	v_cndmask_b32_e32 v19, v19, v4, vcc_lo
	v_cndmask_b32_e64 v18, v18, v15, s5
	s_delay_alu instid0(VALU_DEP_3)
	v_cndmask_b32_e64 v1, v1, v9, s4
	v_cndmask_b32_e64 v5, v5, v13, s4
	v_cmp_eq_u32_e64 s4, 3, v77
	v_cndmask_b32_e64 v13, v22, v6, s7
	v_cmp_eq_u32_e64 s7, 3, v81
	v_cndmask_b32_e64 v1, v1, v2, s3
	v_cndmask_b32_e64 v2, v5, v6, s3
	;; [unrolled: 1-line block ×3, first 2 shown]
	v_cmp_eq_u32_e64 s3, 4, v77
	v_cndmask_b32_e64 v6, v13, v14, s4
	v_cndmask_b32_e64 v1, v1, v10, s7
	v_cmp_eq_u32_e64 s4, 4, v81
	v_cndmask_b32_e64 v2, v2, v14, s7
	v_cndmask_b32_e64 v5, v9, v3, s3
	;; [unrolled: 3-line block ×3, first 2 shown]
	v_cndmask_b32_e64 v2, v2, v7, s4
	v_cmp_eq_u32_e64 s3, 5, v81
	v_cmp_eq_u32_e64 s5, 6, v78
	v_cndmask_b32_e64 v5, v5, v11, s7
	v_cmp_eq_u32_e64 s4, 6, v77
	v_cndmask_b32_e64 v3, v6, v15, s7
	v_cndmask_b32_e64 v1, v1, v11, s3
	v_cmp_eq_u32_e64 s7, 6, v81
	v_cndmask_b32_e64 v2, v2, v15, s3
	v_cndmask_b32_e64 v17, v17, v4, s5
	v_cndmask_b32_e64 v18, v18, v8, s5
	v_cmp_eq_u32_e64 s5, 7, v78
	v_cndmask_b32_e64 v5, v5, v4, s4
	;; [unrolled: 4-line block ×3, first 2 shown]
	v_cmp_eq_u32_e64 s4, 7, v77
	v_cndmask_b32_e32 v4, v20, v8, vcc_lo
	v_cndmask_b32_e64 v17, v17, v12, s5
	v_cndmask_b32_e64 v19, v19, v12, s6
	;; [unrolled: 1-line block ×8, first 2 shown]
	v_cmp_gt_u32_e32 vcc_lo, 32, v0
	v_perm_b32 v4, v2, v1, 0x5040100
	v_perm_b32 v3, v3, v5, 0x5040100
	;; [unrolled: 1-line block ×4, first 2 shown]
	s_and_b32 s2, vcc_lo, s2
	ds_store_b128 v76, v[1:4]
	s_waitcnt lgkmcnt(0)
	s_barrier
	buffer_gl0_inv
	s_and_saveexec_b32 s3, s2
	s_cbranch_execz .LBB1713_2
; %bb.111:
	s_load_b64 s[0:1], s[0:1], 0x68
	v_lshlrev_b32_e32 v0, 10, v0
	v_or_b32_e32 v1, s31, v75
	s_lshl_b32 s4, s34, 6
	v_lshlrev_b32_e32 v2, 4, v74
	s_mul_i32 s2, s4, s30
	v_lshlrev_b32_e32 v3, 6, v75
	v_mul_lo_u32 v8, v1, s4
	v_and_b32_e32 v0, 0x3800, v0
	v_or_b32_e32 v1, 2, v1
	s_mul_i32 s2, s2, s8
	s_delay_alu instid0(SALU_CYCLE_1) | instskip(NEXT) | instid1(VALU_DEP_2)
	s_ashr_i32 s3, s2, 31
	v_or3_b32 v4, v0, v2, v3
	s_lshl_b64 s[2:3], s[2:3], 1
	v_mul_lo_u32 v10, v1, s4
	v_ashrrev_i32_e32 v9, 31, v8
	ds_load_b128 v[0:3], v4
	ds_load_b128 v[4:7], v4 offset:128
	s_waitcnt lgkmcnt(0)
	s_add_u32 s2, s0, s2
	s_addc_u32 s3, s1, s3
	s_lshl_b32 s0, s14, 6
	v_ashrrev_i32_e32 v11, 31, v10
	s_ashr_i32 s1, s0, 31
	v_lshlrev_b64 v[8:9], 1, v[8:9]
	s_lshl_b64 s[0:1], s[0:1], 1
	s_delay_alu instid0(SALU_CYCLE_1) | instskip(SKIP_2) | instid1(VALU_DEP_1)
	s_add_u32 s0, s2, s0
	s_addc_u32 s1, s3, s1
	v_add_co_u32 v12, s0, s0, v73
	v_add_co_ci_u32_e64 v13, null, s1, 0, s0
	v_lshlrev_b64 v[10:11], 1, v[10:11]
	s_delay_alu instid0(VALU_DEP_3) | instskip(NEXT) | instid1(VALU_DEP_3)
	v_add_co_u32 v8, vcc_lo, v12, v8
	v_add_co_ci_u32_e32 v9, vcc_lo, v13, v9, vcc_lo
	s_delay_alu instid0(VALU_DEP_3) | instskip(NEXT) | instid1(VALU_DEP_4)
	v_add_co_u32 v10, vcc_lo, v12, v10
	v_add_co_ci_u32_e32 v11, vcc_lo, v13, v11, vcc_lo
	s_clause 0x1
	global_store_b128 v[8:9], v[0:3], off
	global_store_b128 v[10:11], v[4:7], off
	s_nop 0
	s_sendmsg sendmsg(MSG_DEALLOC_VGPRS)
	s_endpgm
	.section	.rodata,"a",@progbits
	.p2align	6, 0x0
	.amdhsa_kernel _Z39paged_attention_ll4mi_QKV_mfma16_kernelI14__hip_bfloat16hLN4vllm18Fp8KVCacheDataTypeE1ES0_Li16ELi64ELi256ELb1ELi4EL8MFMAType0EEvPKT_PKT0_S9_ifPKiSB_SB_iPKfiiiPfSE_PS4_PT2_iSD_SD_
		.amdhsa_group_segment_fixed_size 17472
		.amdhsa_private_segment_fixed_size 0
		.amdhsa_kernarg_size 400
		.amdhsa_user_sgpr_count 13
		.amdhsa_user_sgpr_dispatch_ptr 0
		.amdhsa_user_sgpr_queue_ptr 0
		.amdhsa_user_sgpr_kernarg_segment_ptr 1
		.amdhsa_user_sgpr_dispatch_id 0
		.amdhsa_user_sgpr_private_segment_size 0
		.amdhsa_wavefront_size32 1
		.amdhsa_uses_dynamic_stack 0
		.amdhsa_enable_private_segment 0
		.amdhsa_system_sgpr_workgroup_id_x 1
		.amdhsa_system_sgpr_workgroup_id_y 1
		.amdhsa_system_sgpr_workgroup_id_z 1
		.amdhsa_system_sgpr_workgroup_info 0
		.amdhsa_system_vgpr_workitem_id 0
		.amdhsa_next_free_vgpr 124
		.amdhsa_next_free_sgpr 38
		.amdhsa_reserve_vcc 1
		.amdhsa_float_round_mode_32 0
		.amdhsa_float_round_mode_16_64 0
		.amdhsa_float_denorm_mode_32 3
		.amdhsa_float_denorm_mode_16_64 3
		.amdhsa_dx10_clamp 1
		.amdhsa_ieee_mode 1
		.amdhsa_fp16_overflow 0
		.amdhsa_workgroup_processor_mode 1
		.amdhsa_memory_ordered 1
		.amdhsa_forward_progress 0
		.amdhsa_shared_vgpr_count 0
		.amdhsa_exception_fp_ieee_invalid_op 0
		.amdhsa_exception_fp_denorm_src 0
		.amdhsa_exception_fp_ieee_div_zero 0
		.amdhsa_exception_fp_ieee_overflow 0
		.amdhsa_exception_fp_ieee_underflow 0
		.amdhsa_exception_fp_ieee_inexact 0
		.amdhsa_exception_int_div_zero 0
	.end_amdhsa_kernel
	.section	.text._Z39paged_attention_ll4mi_QKV_mfma16_kernelI14__hip_bfloat16hLN4vllm18Fp8KVCacheDataTypeE1ES0_Li16ELi64ELi256ELb1ELi4EL8MFMAType0EEvPKT_PKT0_S9_ifPKiSB_SB_iPKfiiiPfSE_PS4_PT2_iSD_SD_,"axG",@progbits,_Z39paged_attention_ll4mi_QKV_mfma16_kernelI14__hip_bfloat16hLN4vllm18Fp8KVCacheDataTypeE1ES0_Li16ELi64ELi256ELb1ELi4EL8MFMAType0EEvPKT_PKT0_S9_ifPKiSB_SB_iPKfiiiPfSE_PS4_PT2_iSD_SD_,comdat
.Lfunc_end1713:
	.size	_Z39paged_attention_ll4mi_QKV_mfma16_kernelI14__hip_bfloat16hLN4vllm18Fp8KVCacheDataTypeE1ES0_Li16ELi64ELi256ELb1ELi4EL8MFMAType0EEvPKT_PKT0_S9_ifPKiSB_SB_iPKfiiiPfSE_PS4_PT2_iSD_SD_, .Lfunc_end1713-_Z39paged_attention_ll4mi_QKV_mfma16_kernelI14__hip_bfloat16hLN4vllm18Fp8KVCacheDataTypeE1ES0_Li16ELi64ELi256ELb1ELi4EL8MFMAType0EEvPKT_PKT0_S9_ifPKiSB_SB_iPKfiiiPfSE_PS4_PT2_iSD_SD_
                                        ; -- End function
	.section	.AMDGPU.csdata,"",@progbits
; Kernel info:
; codeLenInByte = 8604
; NumSgprs: 40
; NumVgprs: 124
; ScratchSize: 0
; MemoryBound: 0
; FloatMode: 240
; IeeeMode: 1
; LDSByteSize: 17472 bytes/workgroup (compile time only)
; SGPRBlocks: 4
; VGPRBlocks: 15
; NumSGPRsForWavesPerEU: 40
; NumVGPRsForWavesPerEU: 124
; Occupancy: 10
; WaveLimiterHint : 1
; COMPUTE_PGM_RSRC2:SCRATCH_EN: 0
; COMPUTE_PGM_RSRC2:USER_SGPR: 13
; COMPUTE_PGM_RSRC2:TRAP_HANDLER: 0
; COMPUTE_PGM_RSRC2:TGID_X_EN: 1
; COMPUTE_PGM_RSRC2:TGID_Y_EN: 1
; COMPUTE_PGM_RSRC2:TGID_Z_EN: 1
; COMPUTE_PGM_RSRC2:TIDIG_COMP_CNT: 0
	.section	.text._Z39paged_attention_ll4mi_QKV_mfma16_kernelI14__hip_bfloat16hLN4vllm18Fp8KVCacheDataTypeE1ES0_Li16ELi64ELi256ELb0ELi5EL8MFMAType0EEvPKT_PKT0_S9_ifPKiSB_SB_iPKfiiiPfSE_PS4_PT2_iSD_SD_,"axG",@progbits,_Z39paged_attention_ll4mi_QKV_mfma16_kernelI14__hip_bfloat16hLN4vllm18Fp8KVCacheDataTypeE1ES0_Li16ELi64ELi256ELb0ELi5EL8MFMAType0EEvPKT_PKT0_S9_ifPKiSB_SB_iPKfiiiPfSE_PS4_PT2_iSD_SD_,comdat
	.protected	_Z39paged_attention_ll4mi_QKV_mfma16_kernelI14__hip_bfloat16hLN4vllm18Fp8KVCacheDataTypeE1ES0_Li16ELi64ELi256ELb0ELi5EL8MFMAType0EEvPKT_PKT0_S9_ifPKiSB_SB_iPKfiiiPfSE_PS4_PT2_iSD_SD_ ; -- Begin function _Z39paged_attention_ll4mi_QKV_mfma16_kernelI14__hip_bfloat16hLN4vllm18Fp8KVCacheDataTypeE1ES0_Li16ELi64ELi256ELb0ELi5EL8MFMAType0EEvPKT_PKT0_S9_ifPKiSB_SB_iPKfiiiPfSE_PS4_PT2_iSD_SD_
	.globl	_Z39paged_attention_ll4mi_QKV_mfma16_kernelI14__hip_bfloat16hLN4vllm18Fp8KVCacheDataTypeE1ES0_Li16ELi64ELi256ELb0ELi5EL8MFMAType0EEvPKT_PKT0_S9_ifPKiSB_SB_iPKfiiiPfSE_PS4_PT2_iSD_SD_
	.p2align	8
	.type	_Z39paged_attention_ll4mi_QKV_mfma16_kernelI14__hip_bfloat16hLN4vllm18Fp8KVCacheDataTypeE1ES0_Li16ELi64ELi256ELb0ELi5EL8MFMAType0EEvPKT_PKT0_S9_ifPKiSB_SB_iPKfiiiPfSE_PS4_PT2_iSD_SD_,@function
_Z39paged_attention_ll4mi_QKV_mfma16_kernelI14__hip_bfloat16hLN4vllm18Fp8KVCacheDataTypeE1ES0_Li16ELi64ELi256ELb0ELi5EL8MFMAType0EEvPKT_PKT0_S9_ifPKiSB_SB_iPKfiiiPfSE_PS4_PT2_iSD_SD_: ; @_Z39paged_attention_ll4mi_QKV_mfma16_kernelI14__hip_bfloat16hLN4vllm18Fp8KVCacheDataTypeE1ES0_Li16ELi64ELi256ELb0ELi5EL8MFMAType0EEvPKT_PKT0_S9_ifPKiSB_SB_iPKfiiiPfSE_PS4_PT2_iSD_SD_
; %bb.0:
	s_load_b64 s[2:3], s[0:1], 0x30
	s_mov_b32 s34, s13
	s_waitcnt lgkmcnt(0)
	s_cmp_lg_u64 s[2:3], 0
	s_cselect_b32 s8, -1, 0
	s_ashr_i32 s35, s13, 31
	s_cmp_eq_u64 s[2:3], 0
	s_cbranch_scc1 .LBB1714_3
; %bb.1:
	s_lshl_b64 s[4:5], s[34:35], 2
	s_delay_alu instid0(SALU_CYCLE_1) | instskip(SKIP_4) | instid1(SALU_CYCLE_1)
	s_add_u32 s4, s2, s4
	s_addc_u32 s5, s3, s5
	s_load_b64 s[4:5], s[4:5], 0x0
	s_waitcnt lgkmcnt(0)
	s_sub_i32 s4, s5, s4
	s_cmp_eq_u32 s4, 1
	s_cselect_b32 s4, -1, 0
	s_delay_alu instid0(SALU_CYCLE_1)
	s_and_not1_b32 vcc_lo, exec_lo, s4
	s_cbranch_vccz .LBB1714_4
.LBB1714_2:
	s_nop 0
	s_sendmsg sendmsg(MSG_DEALLOC_VGPRS)
	s_endpgm
.LBB1714_3:
.LBB1714_4:
	s_load_b64 s[4:5], s[0:1], 0x28
	s_lshl_b64 s[6:7], s[34:35], 2
	s_waitcnt lgkmcnt(0)
	s_add_u32 s4, s4, s6
	s_addc_u32 s5, s5, s7
	s_lshl_b32 s12, s14, 8
	s_load_b32 s24, s[4:5], 0x0
	s_waitcnt lgkmcnt(0)
	s_cmp_ge_i32 s12, s24
	s_cbranch_scc1 .LBB1714_2
; %bb.5:
	s_clause 0x1
	s_load_b128 s[20:23], s[0:1], 0x8
	s_load_b64 s[4:5], s[0:1], 0x20
	s_and_not1_b32 vcc_lo, exec_lo, s8
	s_cbranch_vccnz .LBB1714_7
; %bb.6:
	s_add_u32 s2, s2, s6
	s_addc_u32 s3, s3, s7
	s_load_b32 s3, s[2:3], 0x0
	s_branch .LBB1714_8
.LBB1714_7:
	s_mov_b32 s3, s34
.LBB1714_8:
	s_load_b128 s[16:19], s[0:1], 0x48
	v_lshrrev_b32_e32 v66, 5, v0
	v_bfe_u32 v74, v0, 4, 1
	v_and_b32_e32 v65, 15, v0
	v_and_b32_e32 v67, 31, v0
	;; [unrolled: 1-line block ×3, first 2 shown]
	s_mul_i32 s31, s15, 5
	v_lshl_or_b32 v1, v66, 1, v74
	v_lshlrev_b32_e32 v2, 3, v65
	v_cmp_gt_u32_e64 s2, 8, v65
	s_delay_alu instid0(VALU_DEP_3) | instskip(NEXT) | instid1(VALU_DEP_3)
	v_cmp_gt_u32_e32 vcc_lo, 5, v1
	v_lshlrev_b32_e32 v73, 1, v2
	s_delay_alu instid0(VALU_DEP_3) | instskip(NEXT) | instid1(SALU_CYCLE_1)
	s_and_b32 s7, s2, vcc_lo
	s_and_saveexec_b32 s6, s7
	s_cbranch_execz .LBB1714_10
; %bb.9:
	s_load_b64 s[8:9], s[0:1], 0x0
	v_add_lshl_u32 v2, v1, s31, 6
	s_waitcnt lgkmcnt(0)
	s_mul_hi_i32 s11, s3, s16
	s_mul_i32 s10, s3, s16
	v_lshlrev_b32_e32 v6, 10, v65
	s_lshl_b64 s[10:11], s[10:11], 1
	v_ashrrev_i32_e32 v3, 31, v2
	v_lshlrev_b32_e32 v1, 6, v1
	v_lshlrev_b32_e32 v7, 10, v75
	v_and_b32_e32 v6, 0x3800, v6
	s_delay_alu instid0(VALU_DEP_4) | instskip(NEXT) | instid1(VALU_DEP_2)
	v_lshlrev_b64 v[2:3], 1, v[2:3]
	v_or3_b32 v1, v6, v7, v1
	s_add_u32 s3, s8, s10
	s_addc_u32 s7, s9, s11
	s_delay_alu instid0(VALU_DEP_2) | instskip(NEXT) | instid1(VALU_DEP_3)
	v_add_co_u32 v2, vcc_lo, s3, v2
	v_add_co_ci_u32_e32 v3, vcc_lo, s7, v3, vcc_lo
	s_delay_alu instid0(VALU_DEP_2) | instskip(NEXT) | instid1(VALU_DEP_2)
	v_add_co_u32 v2, vcc_lo, v2, v73
	v_add_co_ci_u32_e32 v3, vcc_lo, 0, v3, vcc_lo
	global_load_b128 v[2:5], v[2:3], off
	s_waitcnt vmcnt(0)
	ds_store_b128 v1, v[2:5]
.LBB1714_10:
	s_or_b32 exec_lo, exec_lo, s6
	v_and_b32_e32 v1, 0xef, v0
	s_waitcnt lgkmcnt(0)
	s_add_i32 s3, s24, 15
	s_clause 0x1
	s_load_b32 s6, s[0:1], 0x38
	s_load_b32 s19, s[0:1], 0x1c
	s_ashr_i32 s7, s3, 31
	v_add_nc_u32_e32 v1, s12, v1
	s_lshr_b32 s7, s7, 28
	s_waitcnt lgkmcnt(0)
	s_add_i32 s3, s3, s7
	s_barrier
	v_ashrrev_i32_e32 v2, 31, v1
	v_or_b32_e32 v3, 16, v1
	s_ashr_i32 s3, s3, 4
	v_cmp_gt_i32_e32 vcc_lo, s24, v1
	s_add_i32 s3, s3, -1
	v_lshrrev_b32_e32 v2, 28, v2
	buffer_gl0_inv
	s_mul_i32 s27, s15, s18
	v_add_nc_u32_e32 v4, v1, v2
	s_mul_i32 s6, s34, s6
	s_delay_alu instid0(SALU_CYCLE_1) | instskip(NEXT) | instid1(VALU_DEP_1)
	s_ashr_i32 s7, s6, 31
	v_ashrrev_i32_e32 v4, 4, v4
	v_add_nc_u32_e32 v2, v3, v2
	s_lshl_b64 s[6:7], s[6:7], 2
	s_delay_alu instid0(SALU_CYCLE_1) | instskip(NEXT) | instid1(VALU_DEP_2)
	s_add_u32 s26, s4, s6
	v_cndmask_b32_e32 v1, s3, v4, vcc_lo
	s_delay_alu instid0(VALU_DEP_2)
	v_ashrrev_i32_e32 v2, 4, v2
	v_cmp_gt_i32_e32 vcc_lo, s24, v3
	s_addc_u32 s25, s5, s7
	s_ashr_i32 s28, s27, 31
	s_add_u32 s13, s20, s27
	s_addc_u32 s15, s21, s28
	v_cndmask_b32_e32 v3, s3, v2, vcc_lo
	v_ashrrev_i32_e32 v2, 31, v1
	s_lshl_b32 s4, s14, 4
	s_delay_alu instid0(SALU_CYCLE_1) | instskip(NEXT) | instid1(VALU_DEP_2)
	s_ashr_i32 s5, s4, 31
	v_ashrrev_i32_e32 v4, 31, v3
	s_delay_alu instid0(VALU_DEP_2) | instskip(SKIP_1) | instid1(SALU_CYCLE_1)
	v_lshlrev_b64 v[1:2], 2, v[1:2]
	s_lshl_b64 s[4:5], s[4:5], 2
	s_add_u32 s4, s26, s4
	s_delay_alu instid0(VALU_DEP_2) | instskip(SKIP_1) | instid1(VALU_DEP_2)
	v_lshlrev_b64 v[3:4], 2, v[3:4]
	s_addc_u32 s5, s25, s5
	v_add_co_u32 v1, vcc_lo, s26, v1
	v_add_co_ci_u32_e32 v2, vcc_lo, s25, v2, vcc_lo
	s_delay_alu instid0(VALU_DEP_3) | instskip(NEXT) | instid1(VALU_DEP_4)
	v_add_co_u32 v3, vcc_lo, s26, v3
	v_add_co_ci_u32_e32 v4, vcc_lo, s25, v4, vcc_lo
	s_clause 0x1
	global_load_b32 v5, v[1:2], off
	global_load_b32 v7, v[3:4], off
	s_or_b32 s6, s12, 32
	v_lshlrev_b32_e32 v1, 4, v0
	s_ashr_i32 s7, s6, 4
	s_cmp_lt_i32 s6, s24
	s_cselect_b32 s6, s7, s3
	s_delay_alu instid0(VALU_DEP_1) | instskip(SKIP_1) | instid1(SALU_CYCLE_1)
	v_and_b32_e32 v1, 0xf0, v1
	s_ashr_i32 s7, s6, 31
	s_lshl_b64 s[6:7], s[6:7], 2
	s_delay_alu instid0(SALU_CYCLE_1)
	s_add_u32 s6, s26, s6
	s_addc_u32 s7, s25, s7
	s_or_b32 s8, s12, 64
	v_add_co_u32 v1, s13, s13, v1
	s_ashr_i32 s9, s8, 4
	s_cmp_lt_i32 s8, s24
	v_add_co_ci_u32_e64 v2, null, s15, 0, s13
	s_cselect_b32 s8, s9, s3
	s_delay_alu instid0(SALU_CYCLE_1) | instskip(NEXT) | instid1(SALU_CYCLE_1)
	s_ashr_i32 s9, s8, 31
	s_lshl_b64 s[8:9], s[8:9], 2
	s_delay_alu instid0(SALU_CYCLE_1) | instskip(SKIP_2) | instid1(SALU_CYCLE_1)
	s_add_u32 s8, s26, s8
	s_addc_u32 s9, s25, s9
	s_or_b32 s10, s12, 0x60
	s_ashr_i32 s11, s10, 4
	s_cmp_lt_i32 s10, s24
	s_cselect_b32 s10, s11, s3
	s_delay_alu instid0(SALU_CYCLE_1) | instskip(NEXT) | instid1(SALU_CYCLE_1)
	s_ashr_i32 s11, s10, 31
	s_lshl_b64 s[10:11], s[10:11], 2
	s_delay_alu instid0(SALU_CYCLE_1) | instskip(SKIP_2) | instid1(SALU_CYCLE_1)
	s_add_u32 s10, s26, s10
	s_addc_u32 s11, s25, s11
	s_or_b32 s16, s12, 0x80
	s_ashr_i32 s18, s16, 4
	s_cmp_lt_i32 s16, s24
	s_cselect_b32 s20, s18, s3
	s_delay_alu instid0(SALU_CYCLE_1) | instskip(NEXT) | instid1(SALU_CYCLE_1)
	s_ashr_i32 s21, s20, 31
	s_lshl_b64 s[20:21], s[20:21], 2
	s_delay_alu instid0(SALU_CYCLE_1) | instskip(SKIP_2) | instid1(SALU_CYCLE_1)
	s_add_u32 s36, s26, s20
	s_addc_u32 s37, s25, s21
	s_or_b32 s16, s12, 0xa0
	s_ashr_i32 s18, s16, 4
	s_cmp_lt_i32 s16, s24
	s_cselect_b32 s20, s18, s3
	s_delay_alu instid0(SALU_CYCLE_1) | instskip(NEXT) | instid1(SALU_CYCLE_1)
	s_ashr_i32 s21, s20, 31
	s_lshl_b64 s[20:21], s[20:21], 2
	s_delay_alu instid0(SALU_CYCLE_1)
	s_add_u32 s38, s26, s20
	s_addc_u32 s39, s25, s21
	s_clause 0x5
	s_load_b32 s21, s[4:5], 0x0
	s_load_b32 s13, s[6:7], 0x0
	;; [unrolled: 1-line block ×6, first 2 shown]
	s_or_b32 s9, s12, 0xc0
	s_mov_b32 s4, 0
	s_ashr_i32 s10, s9, 4
	s_cmp_lt_i32 s9, s24
	s_mov_b32 s11, s4
	s_cselect_b32 s36, s10, s3
	s_mov_b32 s5, s4
	s_ashr_i32 s37, s36, 31
	s_mov_b32 s6, s4
	s_lshl_b64 s[36:37], s[36:37], 2
	s_mov_b32 s7, s4
	s_add_u32 s36, s26, s36
	s_addc_u32 s37, s25, s37
	s_or_b32 s29, s12, 0xe0
	s_mov_b32 s8, s4
	s_ashr_i32 s30, s29, 4
	s_mov_b32 s9, s4
	s_mov_b32 s10, s4
	s_cmp_lt_i32 s29, s24
	v_dual_mov_b32 v107, s11 :: v_dual_mov_b32 v100, s4
	v_mov_b32_e32 v106, s10
	v_dual_mov_b32 v104, s8 :: v_dual_mov_b32 v103, s7
	v_dual_mov_b32 v102, s6 :: v_dual_mov_b32 v101, s5
	s_waitcnt vmcnt(1)
	v_mad_i64_i32 v[3:4], null, v5, s17, v[1:2]
	s_waitcnt vmcnt(0)
	v_mad_i64_i32 v[5:6], null, v7, s17, v[1:2]
	v_mul_lo_u16 v1, v65, 52
	v_lshlrev_b32_e32 v2, 4, v65
	s_clause 0x7
	global_load_b128 v[49:52], v[3:4], off
	global_load_b128 v[53:56], v[3:4], off offset:256
	global_load_b128 v[76:79], v[5:6], off
	global_load_b128 v[80:83], v[5:6], off offset:256
	global_load_b128 v[84:87], v[3:4], off offset:512
	;; [unrolled: 1-line block ×5, first 2 shown]
	v_lshrrev_b16 v1, 8, v1
	v_lshl_or_b32 v2, v66, 8, v2
	s_delay_alu instid0(VALU_DEP_2) | instskip(NEXT) | instid1(VALU_DEP_1)
	v_mul_lo_u16 v1, v1, 5
	v_sub_nc_u16 v1, v65, v1
	s_delay_alu instid0(VALU_DEP_1)
	v_and_b32_e32 v1, 0xff, v1
	v_mov_b32_e32 v105, s9
	s_cselect_b32 s4, s30, s3
	s_load_b32 s3, s[36:37], 0x0
	s_ashr_i32 s5, s4, 31
	v_lshlrev_b32_e32 v70, 6, v1
	s_lshl_b64 s[4:5], s[4:5], 2
	ds_load_b128 v[108:111], v70
	ds_load_b128 v[112:115], v70 offset:1024
	s_add_u32 s4, s26, s4
	s_addc_u32 s5, s25, s5
	s_add_u32 s6, s22, s27
	s_load_b32 s4, s[4:5], 0x0
	s_addc_u32 s7, s23, s28
	v_add_co_u32 v9, s6, s6, v2
	s_delay_alu instid0(VALU_DEP_1) | instskip(SKIP_1) | instid1(VALU_DEP_1)
	v_add_co_ci_u32_e64 v10, null, s7, 0, s6
	s_waitcnt lgkmcnt(0)
	v_mad_i64_i32 v[1:2], null, s21, s17, v[9:10]
	v_mad_i64_i32 v[3:4], null, s13, s17, v[9:10]
	;; [unrolled: 1-line block ×7, first 2 shown]
	s_clause 0x9
	global_load_b128 v[57:60], v[1:2], off
	global_load_b128 v[61:64], v[1:2], off offset:16
	global_load_b128 v[41:44], v[3:4], off
	global_load_b128 v[45:48], v[3:4], off offset:16
	;; [unrolled: 2-line block ×5, first 2 shown]
	v_mad_i64_i32 v[68:69], null, s4, s17, v[9:10]
	s_clause 0x3
	global_load_b128 v[9:12], v[13:14], off
	global_load_b128 v[13:16], v[13:14], off offset:16
	global_load_b128 v[17:20], v[21:22], off
	global_load_b128 v[21:24], v[21:22], off offset:16
	s_waitcnt vmcnt(20)
	v_wmma_f32_16x16x16_bf16 v[116:123], v[49:56], v[108:115], v[100:107]
	s_clause 0x1
	global_load_b128 v[49:52], v[68:69], off
	global_load_b128 v[53:56], v[68:69], off offset:16
	v_and_b32_e32 v68, 0xe0, v0
	v_mbcnt_lo_u32_b32 v69, -1, 0
	s_delay_alu instid0(VALU_DEP_2)
	v_add_nc_u32_e32 v68, s12, v68
	s_waitcnt vmcnt(20)
	v_wmma_f32_16x16x16_bf16 v[100:107], v[76:83], v[108:115], v[100:107]
	ds_load_b128 v[76:79], v70 offset:2048
	ds_load_b128 v[80:83], v70 offset:3072
	v_xor_b32_e32 v70, 16, v69
	s_waitcnt vmcnt(0) lgkmcnt(0)
	v_or_b32_e32 v68, v68, v74
	s_barrier
	buffer_gl0_inv
	v_cmp_gt_i32_e32 vcc_lo, 32, v70
	v_or_b32_e32 v71, 4, v68
	v_or_b32_e32 v72, 6, v68
	v_cmp_gt_i32_e64 s3, s24, v68
	v_or_b32_e32 v108, 8, v68
	v_or_b32_e32 v109, 10, v68
	v_cmp_gt_i32_e64 s4, s24, v71
	v_cmp_gt_i32_e64 s5, s24, v72
	s_delay_alu instid0(VALU_DEP_4) | instskip(NEXT) | instid1(VALU_DEP_4)
	v_cmp_gt_i32_e64 s6, s24, v108
	v_cmp_gt_i32_e64 s7, s24, v109
	v_wmma_f32_16x16x16_bf16 v[116:123], v[84:91], v[76:83], v[116:123]
	v_cndmask_b32_e32 v69, v69, v70, vcc_lo
	v_or_b32_e32 v70, 2, v68
	v_wmma_f32_16x16x16_bf16 v[100:107], v[92:99], v[76:83], v[100:107]
	v_or_b32_e32 v89, 22, v68
	v_dual_mul_f32 v80, s19, v121 :: v_dual_mul_f32 v81, s19, v120
	v_dual_mul_f32 v92, s19, v117 :: v_dual_mul_f32 v93, s19, v116
	s_delay_alu instid0(VALU_DEP_4)
	v_mul_f32_e32 v96, s19, v105
	v_cmp_gt_i32_e32 vcc_lo, s24, v70
	v_dual_mul_f32 v79, s19, v122 :: v_dual_mul_f32 v82, s19, v119
	v_dual_mul_f32 v83, s19, v118 :: v_dual_mul_f32 v94, s19, v107
	v_cndmask_b32_e64 v93, 0xff7fffff, v93, s3
	v_cndmask_b32_e32 v92, 0xff7fffff, v92, vcc_lo
	v_or_b32_e32 v84, 12, v68
	v_or_b32_e32 v85, 14, v68
	v_cndmask_b32_e64 v71, 0xff7fffff, v83, s4
	v_cndmask_b32_e64 v72, 0xff7fffff, v82, s5
	v_cmp_gt_i32_e64 s13, s24, v89
	v_lshlrev_b32_e32 v89, 2, v69
	v_max3_f32 v82, v93, 0xff7fffff, v92
	v_or_b32_e32 v86, 16, v68
	v_or_b32_e32 v87, 18, v68
	v_mul_f32_e32 v78, s19, v123
	v_cndmask_b32_e64 v81, 0xff7fffff, v81, s6
	v_cndmask_b32_e64 v80, 0xff7fffff, v80, s7
	v_max3_f32 v71, v82, v71, v72
	v_cmp_gt_i32_e64 s8, s24, v84
	v_cmp_gt_i32_e64 s9, s24, v85
	v_or_b32_e32 v88, 20, v68
	v_or_b32_e32 v90, 24, v68
	;; [unrolled: 1-line block ×5, first 2 shown]
	v_dual_mul_f32 v97, s19, v104 :: v_dual_mul_f32 v70, s19, v101
	v_dual_mul_f32 v99, s19, v102 :: v_dual_mul_f32 v68, s19, v100
	v_cndmask_b32_e64 v72, 0xff7fffff, v79, s8
	v_cndmask_b32_e64 v78, 0xff7fffff, v78, s9
	v_max3_f32 v71, v71, v81, v80
	v_cmp_gt_i32_e64 s10, s24, v86
	v_cmp_gt_i32_e64 s11, s24, v87
	v_dual_mul_f32 v95, s19, v106 :: v_dual_mul_f32 v98, s19, v103
	s_delay_alu instid0(VALU_DEP_4) | instskip(NEXT) | instid1(VALU_DEP_4)
	v_max3_f32 v71, v71, v72, v78
	v_cndmask_b32_e64 v68, 0xff7fffff, v68, s10
	s_delay_alu instid0(VALU_DEP_4)
	v_cndmask_b32_e64 v70, 0xff7fffff, v70, s11
	v_cmp_gt_i32_e64 s12, s24, v88
	v_cndmask_b32_e64 v78, 0xff7fffff, v98, s13
	v_cmp_gt_i32_e64 s15, s24, v90
	v_cmp_gt_i32_e64 s16, s24, v91
	v_max3_f32 v68, v71, v68, v70
	v_cndmask_b32_e64 v72, 0xff7fffff, v99, s12
	v_cmp_gt_i32_e64 s17, s24, v76
	v_cndmask_b32_e64 v70, 0xff7fffff, v97, s15
	v_cndmask_b32_e64 v71, 0xff7fffff, v96, s16
	v_cmp_gt_i32_e64 s18, s24, v77
	v_max3_f32 v68, v68, v72, v78
	v_cndmask_b32_e64 v72, 0xff7fffff, v95, s17
	s_delay_alu instid0(VALU_DEP_3) | instskip(NEXT) | instid1(VALU_DEP_3)
	v_cndmask_b32_e64 v76, 0xff7fffff, v94, s18
	v_max3_f32 v68, v68, v70, v71
	s_delay_alu instid0(VALU_DEP_1) | instskip(SKIP_3) | instid1(VALU_DEP_1)
	v_max3_f32 v68, v68, v72, v76
	ds_bpermute_b32 v69, v89, v68
	s_waitcnt lgkmcnt(0)
	v_max_f32_e32 v69, v69, v69
	v_max_f32_e32 v68, v68, v69
	s_delay_alu instid0(VALU_DEP_1) | instskip(NEXT) | instid1(VALU_DEP_1)
	v_fma_f32 v71, s19, v118, -v68
	v_mul_f32_e32 v71, 0x3fb8aa3b, v71
	v_fma_f32 v70, s19, v117, -v68
	v_fma_f32 v69, s19, v116, -v68
	;; [unrolled: 1-line block ×5, first 2 shown]
	s_delay_alu instid0(VALU_DEP_4) | instskip(SKIP_1) | instid1(VALU_DEP_3)
	v_dual_mul_f32 v70, 0x3fb8aa3b, v70 :: v_dual_mul_f32 v69, 0x3fb8aa3b, v69
	v_exp_f32_e32 v71, v71
	v_mul_f32_e32 v72, 0x3fb8aa3b, v72
	v_fma_f32 v81, s19, v105, -v68
	s_delay_alu instid0(VALU_DEP_3)
	v_exp_f32_e32 v70, v70
	v_mul_f32_e32 v77, 0x3fb8aa3b, v76
	v_exp_f32_e32 v69, v69
	v_exp_f32_e32 v72, v72
	v_mul_f32_e32 v81, 0x3fb8aa3b, v81
	v_cndmask_b32_e64 v83, 0, v71, s4
	v_fma_f32 v71, s19, v123, -v68
	s_delay_alu instid0(VALU_DEP_3) | instskip(SKIP_4) | instid1(TRANS32_DEP_3)
	v_exp_f32_e32 v81, v81
	v_cndmask_b32_e32 v76, 0, v70, vcc_lo
	v_exp_f32_e32 v77, v77
	v_cndmask_b32_e64 v80, 0, v69, s3
	v_fma_f32 v69, s19, v121, -v68
	v_cndmask_b32_e64 v85, 0, v72, s5
	v_mul_f32_e32 v71, 0x3fb8aa3b, v71
	v_fma_f32 v72, s19, v100, -v68
	s_delay_alu instid0(VALU_DEP_4) | instskip(SKIP_1) | instid1(VALU_DEP_4)
	v_dual_add_f32 v70, 0, v80 :: v_dual_mul_f32 v69, 0x3fb8aa3b, v69
	v_cmp_gt_u32_e64 s3, 16, v67
	v_exp_f32_e32 v71, v71
	s_delay_alu instid0(TRANS32_DEP_2) | instskip(SKIP_4) | instid1(VALU_DEP_3)
	v_cndmask_b32_e64 v86, 0, v77, s6
	v_fma_f32 v77, s19, v101, -v68
	v_mul_f32_e32 v78, 0x3fb8aa3b, v78
	v_add_f32_e32 v70, v70, v76
	v_exp_f32_e32 v69, v69
	v_mul_f32_e32 v77, 0x3fb8aa3b, v77
	s_delay_alu instid0(VALU_DEP_3) | instskip(NEXT) | instid1(TRANS32_DEP_3)
	v_exp_f32_e32 v78, v78
	v_cndmask_b32_e64 v88, 0, v71, s9
	v_fma_f32 v71, s19, v104, -v68
	s_delay_alu instid0(VALU_DEP_3) | instskip(NEXT) | instid1(TRANS32_DEP_3)
	v_exp_f32_e32 v77, v77
	v_cndmask_b32_e64 v87, 0, v69, s7
	s_delay_alu instid0(VALU_DEP_2)
	v_mul_f32_e32 v71, 0x3fb8aa3b, v71
	s_waitcnt_depctr 0xfff
	v_cndmask_b32_e64 v84, 0, v78, s8
	v_add_f32_e32 v70, v70, v83
	v_fma_f32 v78, s19, v103, -v68
	v_exp_f32_e32 v82, v71
	s_delay_alu instid0(VALU_DEP_2) | instskip(SKIP_1) | instid1(VALU_DEP_3)
	v_add_f32_e32 v70, v70, v85
	v_mul_f32_e32 v72, 0x3fb8aa3b, v72
	v_mul_f32_e32 v78, 0x3fb8aa3b, v78
	s_delay_alu instid0(VALU_DEP_3) | instskip(SKIP_1) | instid1(VALU_DEP_4)
	v_add_f32_e32 v69, v70, v86
	v_fma_f32 v70, s19, v102, -v68
	v_exp_f32_e32 v72, v72
	s_delay_alu instid0(VALU_DEP_3) | instskip(NEXT) | instid1(VALU_DEP_1)
	v_exp_f32_e32 v78, v78
	v_dual_add_f32 v69, v69, v87 :: v_dual_mul_f32 v70, 0x3fb8aa3b, v70
	s_delay_alu instid0(VALU_DEP_1) | instskip(NEXT) | instid1(VALU_DEP_2)
	v_add_f32_e32 v69, v69, v84
	v_exp_f32_e32 v79, v70
	s_delay_alu instid0(TRANS32_DEP_3) | instskip(NEXT) | instid1(VALU_DEP_2)
	v_cndmask_b32_e64 v70, 0, v72, s10
	v_add_f32_e32 v72, v69, v88
	v_cndmask_b32_e64 v69, 0, v77, s11
	v_fma_f32 v77, s19, v106, -v68
	s_waitcnt_depctr 0xfff
	v_cndmask_b32_e64 v71, 0, v79, s12
	v_dual_mul_f32 v77, 0x3fb8aa3b, v77 :: v_dual_add_f32 v72, v72, v70
	s_delay_alu instid0(VALU_DEP_1) | instskip(NEXT) | instid1(VALU_DEP_1)
	v_exp_f32_e32 v90, v77
	v_add_f32_e32 v79, v72, v69
	v_cndmask_b32_e64 v72, 0, v78, s13
	v_cndmask_b32_e64 v77, 0, v82, s15
	s_delay_alu instid0(VALU_DEP_3) | instskip(SKIP_1) | instid1(VALU_DEP_1)
	v_add_f32_e32 v78, v79, v71
	v_fma_f32 v79, s19, v107, -v68
	v_dual_add_f32 v82, v78, v72 :: v_dual_mul_f32 v79, 0x3fb8aa3b, v79
	v_cndmask_b32_e64 v78, 0, v81, s16
	s_delay_alu instid0(VALU_DEP_2) | instskip(NEXT) | instid1(VALU_DEP_3)
	v_add_f32_e32 v81, v82, v77
	v_exp_f32_e32 v82, v79
	v_cndmask_b32_e64 v79, 0, v90, s17
	s_delay_alu instid0(VALU_DEP_2) | instskip(NEXT) | instid1(VALU_DEP_1)
	v_add_f32_e32 v81, v81, v78
	v_add_f32_e32 v90, v81, v79
	s_waitcnt_depctr 0xfff
	v_cndmask_b32_e64 v81, 0, v82, s18
	s_delay_alu instid0(VALU_DEP_1)
	v_add_f32_e32 v82, v90, v81
	ds_bpermute_b32 v89, v89, v82
	s_and_saveexec_b32 s4, s3
	s_cbranch_execz .LBB1714_12
; %bb.11:
	v_mul_u32_u24_e32 v67, 0x44, v66
	s_delay_alu instid0(VALU_DEP_1) | instskip(SKIP_1) | instid1(VALU_DEP_1)
	v_lshl_add_u32 v67, v65, 2, v67
	s_waitcnt lgkmcnt(0)
	v_dual_add_f32 v82, v82, v89 :: v_dual_add_nc_u32 v67, 0x4000, v67
	ds_store_2addr_b32 v67, v68, v82 offset1:136
.LBB1714_12:
	s_or_b32 exec_lo, exec_lo, s4
	v_lshlrev_b32_e32 v67, 2, v65
	s_waitcnt lgkmcnt(0)
	s_barrier
	buffer_gl0_inv
	v_cmp_eq_u32_e32 vcc_lo, 1, v66
	v_add_nc_u32_e32 v82, 0x4000, v67
	v_cmp_eq_u32_e64 s4, 2, v66
	v_cmp_eq_u32_e64 s6, 7, v66
	ds_load_2addr_b32 v[89:90], v82 offset1:17
	ds_load_2addr_b32 v[91:92], v82 offset0:34 offset1:51
	ds_load_2addr_b32 v[93:94], v82 offset0:68 offset1:85
	;; [unrolled: 1-line block ×4, first 2 shown]
	s_waitcnt lgkmcnt(4)
	v_max3_f32 v67, v89, 0xff7fffff, v90
	s_waitcnt lgkmcnt(3)
	s_delay_alu instid0(VALU_DEP_1) | instskip(SKIP_1) | instid1(VALU_DEP_1)
	v_max3_f32 v67, v67, v91, v92
	s_waitcnt lgkmcnt(2)
	v_max3_f32 v67, v67, v93, v94
	s_waitcnt lgkmcnt(1)
	s_delay_alu instid0(VALU_DEP_1) | instskip(NEXT) | instid1(VALU_DEP_1)
	v_max3_f32 v67, v67, v95, v96
	v_sub_f32_e32 v93, v93, v67
	s_delay_alu instid0(VALU_DEP_1) | instskip(NEXT) | instid1(VALU_DEP_1)
	v_dual_sub_f32 v68, v89, v67 :: v_dual_mul_f32 v103, 0x3fb8aa3b, v93
	v_mul_f32_e32 v68, 0x3fb8aa3b, v68
	s_delay_alu instid0(VALU_DEP_1)
	v_exp_f32_e32 v100, v68
	v_sub_f32_e32 v68, v92, v67
	v_sub_f32_e32 v99, v90, v67
	ds_load_2addr_b32 v[89:90], v82 offset0:170 offset1:187
	v_dual_mul_f32 v102, 0x3fb8aa3b, v68 :: v_dual_mul_f32 v99, 0x3fb8aa3b, v99
	s_waitcnt lgkmcnt(1)
	v_fma_f32 v68, v100, v97, 0
	s_delay_alu instid0(VALU_DEP_2) | instskip(NEXT) | instid1(VALU_DEP_2)
	v_exp_f32_e32 v102, v102
	v_exp_f32_e32 v99, v99
	s_waitcnt_depctr 0xfff
	v_fmac_f32_e32 v68, v99, v98
	v_sub_f32_e32 v91, v91, v67
	s_delay_alu instid0(VALU_DEP_1)
	v_mul_f32_e32 v101, 0x3fb8aa3b, v91
	ds_load_2addr_b32 v[91:92], v82 offset0:204 offset1:221
	v_sub_f32_e32 v97, v94, v67
	ds_load_2addr_b32 v[93:94], v82 offset0:238 offset1:255
	s_waitcnt lgkmcnt(0)
	v_exp_f32_e32 v101, v101
	s_barrier
	buffer_gl0_inv
	v_dual_fmac_f32 v68, v101, v89 :: v_dual_sub_f32 v89, v96, v67
	v_dual_sub_f32 v82, v95, v67 :: v_dual_mul_f32 v95, 0x3fb8aa3b, v97
	v_exp_f32_e32 v97, v103
	s_delay_alu instid0(VALU_DEP_2) | instskip(NEXT) | instid1(VALU_DEP_2)
	v_dual_fmac_f32 v68, v102, v90 :: v_dual_mul_f32 v89, 0x3fb8aa3b, v89
	v_mul_f32_e32 v82, 0x3fb8aa3b, v82
	s_delay_alu instid0(VALU_DEP_3) | instskip(NEXT) | instid1(VALU_DEP_2)
	v_exp_f32_e32 v95, v95
	v_exp_f32_e32 v89, v89
	s_delay_alu instid0(VALU_DEP_1)
	v_exp_f32_e32 v82, v82
	v_fmac_f32_e32 v68, v97, v91
	s_delay_alu instid0(TRANS32_DEP_3) | instid1(VALU_DEP_1)
	v_fmac_f32_e32 v68, v95, v92
	s_waitcnt_depctr 0xfff
	v_fmac_f32_e32 v68, v82, v93
	s_delay_alu instid0(VALU_DEP_1) | instskip(NEXT) | instid1(VALU_DEP_1)
	v_fmac_f32_e32 v68, v89, v94
	v_add_f32_e32 v90, 0x358637bd, v68
	s_delay_alu instid0(VALU_DEP_1) | instskip(NEXT) | instid1(VALU_DEP_1)
	v_div_scale_f32 v91, null, v90, v90, 1.0
	v_rcp_f32_e32 v92, v91
	s_waitcnt_depctr 0xfff
	v_fma_f32 v93, -v91, v92, 1.0
	s_delay_alu instid0(VALU_DEP_1) | instskip(SKIP_1) | instid1(VALU_DEP_2)
	v_dual_fmac_f32 v92, v93, v92 :: v_dual_cndmask_b32 v93, v100, v99
	v_cmp_eq_u32_e32 vcc_lo, 3, v66
	v_cndmask_b32_e64 v93, v93, v101, s4
	v_cmp_eq_u32_e64 s4, 4, v66
	s_delay_alu instid0(VALU_DEP_2) | instskip(SKIP_1) | instid1(VALU_DEP_2)
	v_cndmask_b32_e32 v93, v93, v102, vcc_lo
	v_cmp_eq_u32_e32 vcc_lo, 5, v66
	v_cndmask_b32_e64 v93, v93, v97, s4
	v_cmp_eq_u32_e64 s4, 6, v66
	s_delay_alu instid0(VALU_DEP_2) | instskip(SKIP_1) | instid1(VALU_DEP_1)
	v_cndmask_b32_e32 v93, v93, v95, vcc_lo
	v_div_scale_f32 v94, s5, 1.0, v90, 1.0
	s_mov_b32 vcc_lo, s5
	s_delay_alu instid0(VALU_DEP_2) | instskip(NEXT) | instid1(VALU_DEP_2)
	v_cndmask_b32_e64 v82, v93, v82, s4
	v_mul_f32_e32 v96, v94, v92
	s_mov_b32 s4, exec_lo
	s_delay_alu instid0(VALU_DEP_2) | instskip(NEXT) | instid1(VALU_DEP_2)
	v_cndmask_b32_e64 v82, v82, v89, s6
	v_fma_f32 v98, -v91, v96, v94
	s_delay_alu instid0(VALU_DEP_1) | instskip(NEXT) | instid1(VALU_DEP_1)
	v_fmac_f32_e32 v96, v98, v92
	v_fma_f32 v91, -v91, v96, v94
	s_delay_alu instid0(VALU_DEP_1) | instskip(NEXT) | instid1(VALU_DEP_1)
	v_div_fmas_f32 v91, v91, v92, v96
	v_div_fixup_f32 v90, v91, v90, 1.0
	s_delay_alu instid0(VALU_DEP_1) | instskip(NEXT) | instid1(VALU_DEP_1)
	v_mul_f32_e32 v82, v82, v90
	v_mul_f32_e32 v87, v82, v87
	;; [unrolled: 1-line block ×7, first 2 shown]
	v_dual_mul_f32 v86, v82, v83 :: v_dual_and_b32 v91, 0x7f800000, v90
	v_mul_f32_e32 v85, v82, v76
                                        ; implicit-def: $vgpr76
	s_delay_alu instid0(VALU_DEP_2)
	v_cmpx_ne_u32_e32 0x7f800000, v91
	s_xor_b32 s4, exec_lo, s4
; %bb.13:
	v_bfe_u32 v76, v90, 16, 1
	s_delay_alu instid0(VALU_DEP_1)
	v_add3_u32 v76, v90, v76, 0x7fff
                                        ; implicit-def: $vgpr90
; %bb.14:
	s_and_not1_saveexec_b32 s4, s4
; %bb.15:
	v_and_b32_e32 v76, 0xffff, v90
	v_or_b32_e32 v83, 0x10000, v90
	s_delay_alu instid0(VALU_DEP_2) | instskip(NEXT) | instid1(VALU_DEP_2)
	v_cmp_eq_u32_e32 vcc_lo, 0, v76
	v_cndmask_b32_e32 v76, v83, v90, vcc_lo
; %bb.16:
	s_or_b32 exec_lo, exec_lo, s4
	v_and_b32_e32 v83, 0x7f800000, v85
	s_delay_alu instid0(VALU_DEP_1) | instskip(SKIP_1) | instid1(SALU_CYCLE_1)
	v_cmp_ne_u32_e32 vcc_lo, 0x7f800000, v83
                                        ; implicit-def: $vgpr83
	s_and_saveexec_b32 s4, vcc_lo
	s_xor_b32 s4, exec_lo, s4
; %bb.17:
	v_bfe_u32 v83, v85, 16, 1
	s_delay_alu instid0(VALU_DEP_1)
	v_add3_u32 v83, v85, v83, 0x7fff
                                        ; implicit-def: $vgpr85
; %bb.18:
	s_and_not1_saveexec_b32 s4, s4
; %bb.19:
	v_and_b32_e32 v83, 0xffff, v85
	v_or_b32_e32 v90, 0x10000, v85
	s_delay_alu instid0(VALU_DEP_2) | instskip(NEXT) | instid1(VALU_DEP_2)
	v_cmp_eq_u32_e32 vcc_lo, 0, v83
	v_cndmask_b32_e32 v83, v90, v85, vcc_lo
; %bb.20:
	s_or_b32 exec_lo, exec_lo, s4
	v_and_b32_e32 v85, 0x7f800000, v86
	s_delay_alu instid0(VALU_DEP_1) | instskip(SKIP_1) | instid1(SALU_CYCLE_1)
	v_cmp_ne_u32_e32 vcc_lo, 0x7f800000, v85
                                        ; implicit-def: $vgpr85
	s_and_saveexec_b32 s4, vcc_lo
	s_xor_b32 s4, exec_lo, s4
; %bb.21:
	v_bfe_u32 v85, v86, 16, 1
	s_delay_alu instid0(VALU_DEP_1)
	v_add3_u32 v85, v86, v85, 0x7fff
                                        ; implicit-def: $vgpr86
; %bb.22:
	s_and_not1_saveexec_b32 s4, s4
; %bb.23:
	v_and_b32_e32 v85, 0xffff, v86
	v_or_b32_e32 v90, 0x10000, v86
	s_delay_alu instid0(VALU_DEP_2) | instskip(NEXT) | instid1(VALU_DEP_2)
	v_cmp_eq_u32_e32 vcc_lo, 0, v85
	v_cndmask_b32_e32 v85, v90, v86, vcc_lo
; %bb.24:
	s_or_b32 exec_lo, exec_lo, s4
	v_and_b32_e32 v86, 0x7f800000, v89
	s_delay_alu instid0(VALU_DEP_1) | instskip(SKIP_1) | instid1(SALU_CYCLE_1)
	v_cmp_ne_u32_e32 vcc_lo, 0x7f800000, v86
                                        ; implicit-def: $vgpr86
	s_and_saveexec_b32 s4, vcc_lo
	s_xor_b32 s4, exec_lo, s4
; %bb.25:
	v_bfe_u32 v86, v89, 16, 1
	s_delay_alu instid0(VALU_DEP_1)
	v_add3_u32 v86, v89, v86, 0x7fff
                                        ; implicit-def: $vgpr89
; %bb.26:
	s_and_not1_saveexec_b32 s4, s4
; %bb.27:
	v_and_b32_e32 v86, 0xffff, v89
	v_or_b32_e32 v90, 0x10000, v89
	s_delay_alu instid0(VALU_DEP_2) | instskip(NEXT) | instid1(VALU_DEP_2)
	v_cmp_eq_u32_e32 vcc_lo, 0, v86
	v_cndmask_b32_e32 v86, v90, v89, vcc_lo
; %bb.28:
	s_or_b32 exec_lo, exec_lo, s4
	v_and_b32_e32 v89, 0x7f800000, v88
	s_delay_alu instid0(VALU_DEP_1) | instskip(SKIP_1) | instid1(SALU_CYCLE_1)
	v_cmp_ne_u32_e32 vcc_lo, 0x7f800000, v89
                                        ; implicit-def: $vgpr89
	s_and_saveexec_b32 s4, vcc_lo
	s_xor_b32 s4, exec_lo, s4
; %bb.29:
	v_bfe_u32 v89, v88, 16, 1
	s_delay_alu instid0(VALU_DEP_1)
	v_add3_u32 v89, v88, v89, 0x7fff
                                        ; implicit-def: $vgpr88
; %bb.30:
	s_and_not1_saveexec_b32 s4, s4
; %bb.31:
	v_and_b32_e32 v89, 0xffff, v88
	v_or_b32_e32 v90, 0x10000, v88
	s_delay_alu instid0(VALU_DEP_2) | instskip(NEXT) | instid1(VALU_DEP_2)
	v_cmp_eq_u32_e32 vcc_lo, 0, v89
	v_cndmask_b32_e32 v89, v90, v88, vcc_lo
; %bb.32:
	s_or_b32 exec_lo, exec_lo, s4
	v_and_b32_e32 v88, 0x7f800000, v87
	s_delay_alu instid0(VALU_DEP_1) | instskip(SKIP_1) | instid1(SALU_CYCLE_1)
	v_cmp_ne_u32_e32 vcc_lo, 0x7f800000, v88
                                        ; implicit-def: $vgpr88
	s_and_saveexec_b32 s4, vcc_lo
	s_xor_b32 s4, exec_lo, s4
; %bb.33:
	v_bfe_u32 v88, v87, 16, 1
	s_delay_alu instid0(VALU_DEP_1)
	v_add3_u32 v88, v87, v88, 0x7fff
                                        ; implicit-def: $vgpr87
; %bb.34:
	s_and_not1_saveexec_b32 s4, s4
; %bb.35:
	v_and_b32_e32 v88, 0xffff, v87
	v_or_b32_e32 v90, 0x10000, v87
	s_delay_alu instid0(VALU_DEP_2) | instskip(NEXT) | instid1(VALU_DEP_2)
	v_cmp_eq_u32_e32 vcc_lo, 0, v88
	v_cndmask_b32_e32 v88, v90, v87, vcc_lo
; %bb.36:
	s_or_b32 exec_lo, exec_lo, s4
	v_and_b32_e32 v87, 0x7f800000, v84
	s_delay_alu instid0(VALU_DEP_1) | instskip(SKIP_1) | instid1(SALU_CYCLE_1)
	v_cmp_ne_u32_e32 vcc_lo, 0x7f800000, v87
                                        ; implicit-def: $vgpr87
	s_and_saveexec_b32 s4, vcc_lo
	s_xor_b32 s4, exec_lo, s4
; %bb.37:
	v_bfe_u32 v87, v84, 16, 1
	s_delay_alu instid0(VALU_DEP_1)
	v_add3_u32 v87, v84, v87, 0x7fff
                                        ; implicit-def: $vgpr84
; %bb.38:
	s_and_not1_saveexec_b32 s4, s4
; %bb.39:
	v_and_b32_e32 v87, 0xffff, v84
	v_or_b32_e32 v90, 0x10000, v84
	s_delay_alu instid0(VALU_DEP_2) | instskip(NEXT) | instid1(VALU_DEP_2)
	v_cmp_eq_u32_e32 vcc_lo, 0, v87
	v_cndmask_b32_e32 v87, v90, v84, vcc_lo
; %bb.40:
	s_or_b32 exec_lo, exec_lo, s4
	v_and_b32_e32 v84, 0x7f800000, v80
	s_delay_alu instid0(VALU_DEP_1) | instskip(SKIP_1) | instid1(SALU_CYCLE_1)
	v_cmp_ne_u32_e32 vcc_lo, 0x7f800000, v84
                                        ; implicit-def: $vgpr84
	s_and_saveexec_b32 s4, vcc_lo
	s_xor_b32 s4, exec_lo, s4
; %bb.41:
	v_bfe_u32 v84, v80, 16, 1
	s_delay_alu instid0(VALU_DEP_1)
	v_add3_u32 v84, v80, v84, 0x7fff
                                        ; implicit-def: $vgpr80
; %bb.42:
	s_and_not1_saveexec_b32 s4, s4
; %bb.43:
	v_and_b32_e32 v84, 0xffff, v80
	v_or_b32_e32 v90, 0x10000, v80
	s_delay_alu instid0(VALU_DEP_2) | instskip(NEXT) | instid1(VALU_DEP_2)
	v_cmp_eq_u32_e32 vcc_lo, 0, v84
	v_cndmask_b32_e32 v84, v90, v80, vcc_lo
; %bb.44:
	s_or_b32 exec_lo, exec_lo, s4
	s_load_b64 s[36:37], s[0:1], 0x94
	v_lshlrev_b32_e32 v91, 4, v74
	s_delay_alu instid0(VALU_DEP_2)
	v_perm_b32 v90, v84, v87, 0x7060302
	v_dual_mul_f32 v79, v82, v79 :: v_dual_lshlrev_b32 v80, 6, v65
	v_dual_mul_f32 v77, v82, v77 :: v_dual_lshlrev_b32 v92, 11, v66
	v_mul_f32_e32 v84, v82, v70
	v_perm_b32 v89, v88, v89, 0x7060302
	v_perm_b32 v88, v86, v85, 0x7060302
	;; [unrolled: 1-line block ×3, first 2 shown]
	v_mul_f32_e32 v70, v82, v81
	v_or3_b32 v76, v91, v92, v80
	v_dual_mul_f32 v78, v82, v78 :: v_dual_and_b32 v85, 0x7f800000, v84
	v_mul_f32_e32 v83, v82, v72
	v_mul_f32_e32 v81, v82, v71
	;; [unrolled: 1-line block ×3, first 2 shown]
	s_mov_b32 s4, exec_lo
	ds_store_b128 v76, v[87:90]
                                        ; implicit-def: $vgpr69
	v_cmpx_ne_u32_e32 0x7f800000, v85
	s_xor_b32 s4, exec_lo, s4
; %bb.45:
	v_bfe_u32 v69, v84, 16, 1
	s_delay_alu instid0(VALU_DEP_1)
	v_add3_u32 v69, v84, v69, 0x7fff
                                        ; implicit-def: $vgpr84
; %bb.46:
	s_and_not1_saveexec_b32 s4, s4
; %bb.47:
	v_and_b32_e32 v69, 0xffff, v84
	v_or_b32_e32 v71, 0x10000, v84
	s_delay_alu instid0(VALU_DEP_2) | instskip(NEXT) | instid1(VALU_DEP_2)
	v_cmp_eq_u32_e32 vcc_lo, 0, v69
	v_cndmask_b32_e32 v69, v71, v84, vcc_lo
; %bb.48:
	s_or_b32 exec_lo, exec_lo, s4
	v_and_b32_e32 v71, 0x7f800000, v72
	s_delay_alu instid0(VALU_DEP_1) | instskip(SKIP_1) | instid1(SALU_CYCLE_1)
	v_cmp_ne_u32_e32 vcc_lo, 0x7f800000, v71
                                        ; implicit-def: $vgpr71
	s_and_saveexec_b32 s4, vcc_lo
	s_xor_b32 s4, exec_lo, s4
; %bb.49:
	v_bfe_u32 v71, v72, 16, 1
	s_delay_alu instid0(VALU_DEP_1)
	v_add3_u32 v71, v72, v71, 0x7fff
                                        ; implicit-def: $vgpr72
; %bb.50:
	s_and_not1_saveexec_b32 s4, s4
; %bb.51:
	v_and_b32_e32 v71, 0xffff, v72
	v_or_b32_e32 v82, 0x10000, v72
	s_delay_alu instid0(VALU_DEP_2) | instskip(NEXT) | instid1(VALU_DEP_2)
	v_cmp_eq_u32_e32 vcc_lo, 0, v71
	v_cndmask_b32_e32 v71, v82, v72, vcc_lo
; %bb.52:
	s_or_b32 exec_lo, exec_lo, s4
	v_and_b32_e32 v72, 0x7f800000, v81
	s_delay_alu instid0(VALU_DEP_1) | instskip(SKIP_1) | instid1(SALU_CYCLE_1)
	v_cmp_ne_u32_e32 vcc_lo, 0x7f800000, v72
                                        ; implicit-def: $vgpr72
	s_and_saveexec_b32 s4, vcc_lo
	s_xor_b32 s4, exec_lo, s4
; %bb.53:
	v_bfe_u32 v72, v81, 16, 1
	s_delay_alu instid0(VALU_DEP_1)
	v_add3_u32 v72, v81, v72, 0x7fff
                                        ; implicit-def: $vgpr81
; %bb.54:
	s_and_not1_saveexec_b32 s4, s4
; %bb.55:
	v_and_b32_e32 v72, 0xffff, v81
	v_or_b32_e32 v82, 0x10000, v81
	s_delay_alu instid0(VALU_DEP_2) | instskip(NEXT) | instid1(VALU_DEP_2)
	v_cmp_eq_u32_e32 vcc_lo, 0, v72
	v_cndmask_b32_e32 v72, v82, v81, vcc_lo
; %bb.56:
	s_or_b32 exec_lo, exec_lo, s4
	v_and_b32_e32 v81, 0x7f800000, v83
	s_delay_alu instid0(VALU_DEP_1) | instskip(SKIP_1) | instid1(SALU_CYCLE_1)
	v_cmp_ne_u32_e32 vcc_lo, 0x7f800000, v81
                                        ; implicit-def: $vgpr81
	s_and_saveexec_b32 s4, vcc_lo
	s_xor_b32 s4, exec_lo, s4
; %bb.57:
	v_bfe_u32 v81, v83, 16, 1
	s_delay_alu instid0(VALU_DEP_1)
	v_add3_u32 v81, v83, v81, 0x7fff
                                        ; implicit-def: $vgpr83
; %bb.58:
	s_and_not1_saveexec_b32 s4, s4
; %bb.59:
	v_and_b32_e32 v81, 0xffff, v83
	v_or_b32_e32 v82, 0x10000, v83
	s_delay_alu instid0(VALU_DEP_2) | instskip(NEXT) | instid1(VALU_DEP_2)
	v_cmp_eq_u32_e32 vcc_lo, 0, v81
	v_cndmask_b32_e32 v81, v82, v83, vcc_lo
; %bb.60:
	s_or_b32 exec_lo, exec_lo, s4
	v_and_b32_e32 v82, 0x7f800000, v77
	s_delay_alu instid0(VALU_DEP_1) | instskip(SKIP_1) | instid1(SALU_CYCLE_1)
	v_cmp_ne_u32_e32 vcc_lo, 0x7f800000, v82
                                        ; implicit-def: $vgpr82
	s_and_saveexec_b32 s4, vcc_lo
	s_xor_b32 s4, exec_lo, s4
; %bb.61:
	v_bfe_u32 v82, v77, 16, 1
	s_delay_alu instid0(VALU_DEP_1)
	v_add3_u32 v82, v77, v82, 0x7fff
                                        ; implicit-def: $vgpr77
; %bb.62:
	s_and_not1_saveexec_b32 s4, s4
; %bb.63:
	v_and_b32_e32 v82, 0xffff, v77
	v_or_b32_e32 v83, 0x10000, v77
	s_delay_alu instid0(VALU_DEP_2) | instskip(NEXT) | instid1(VALU_DEP_2)
	v_cmp_eq_u32_e32 vcc_lo, 0, v82
	v_cndmask_b32_e32 v82, v83, v77, vcc_lo
; %bb.64:
	s_or_b32 exec_lo, exec_lo, s4
	v_and_b32_e32 v77, 0x7f800000, v78
	s_delay_alu instid0(VALU_DEP_1) | instskip(SKIP_1) | instid1(SALU_CYCLE_1)
	v_cmp_ne_u32_e32 vcc_lo, 0x7f800000, v77
                                        ; implicit-def: $vgpr77
	s_and_saveexec_b32 s4, vcc_lo
	s_xor_b32 s4, exec_lo, s4
; %bb.65:
	v_bfe_u32 v77, v78, 16, 1
	s_delay_alu instid0(VALU_DEP_1)
	v_add3_u32 v77, v78, v77, 0x7fff
                                        ; implicit-def: $vgpr78
; %bb.66:
	s_and_not1_saveexec_b32 s4, s4
; %bb.67:
	v_and_b32_e32 v77, 0xffff, v78
	v_or_b32_e32 v83, 0x10000, v78
	s_delay_alu instid0(VALU_DEP_2) | instskip(NEXT) | instid1(VALU_DEP_2)
	v_cmp_eq_u32_e32 vcc_lo, 0, v77
	v_cndmask_b32_e32 v77, v83, v78, vcc_lo
; %bb.68:
	s_or_b32 exec_lo, exec_lo, s4
	v_and_b32_e32 v78, 0x7f800000, v79
	s_delay_alu instid0(VALU_DEP_1) | instskip(SKIP_1) | instid1(SALU_CYCLE_1)
	v_cmp_ne_u32_e32 vcc_lo, 0x7f800000, v78
                                        ; implicit-def: $vgpr78
	s_and_saveexec_b32 s4, vcc_lo
	s_xor_b32 s4, exec_lo, s4
; %bb.69:
	v_bfe_u32 v78, v79, 16, 1
	s_delay_alu instid0(VALU_DEP_1)
	v_add3_u32 v78, v79, v78, 0x7fff
                                        ; implicit-def: $vgpr79
; %bb.70:
	s_and_not1_saveexec_b32 s4, s4
; %bb.71:
	v_and_b32_e32 v78, 0xffff, v79
	v_or_b32_e32 v83, 0x10000, v79
	s_delay_alu instid0(VALU_DEP_2) | instskip(NEXT) | instid1(VALU_DEP_2)
	v_cmp_eq_u32_e32 vcc_lo, 0, v78
	v_cndmask_b32_e32 v78, v83, v79, vcc_lo
; %bb.72:
	s_or_b32 exec_lo, exec_lo, s4
	v_and_b32_e32 v79, 0x7f800000, v70
	s_delay_alu instid0(VALU_DEP_1) | instskip(SKIP_1) | instid1(SALU_CYCLE_1)
	v_cmp_ne_u32_e32 vcc_lo, 0x7f800000, v79
                                        ; implicit-def: $vgpr79
	s_and_saveexec_b32 s4, vcc_lo
	s_xor_b32 s4, exec_lo, s4
; %bb.73:
	v_bfe_u32 v79, v70, 16, 1
	s_delay_alu instid0(VALU_DEP_1)
	v_add3_u32 v79, v70, v79, 0x7fff
                                        ; implicit-def: $vgpr70
; %bb.74:
	s_and_not1_saveexec_b32 s4, s4
; %bb.75:
	v_and_b32_e32 v79, 0xffff, v70
	v_or_b32_e32 v83, 0x10000, v70
	s_delay_alu instid0(VALU_DEP_2) | instskip(NEXT) | instid1(VALU_DEP_2)
	v_cmp_eq_u32_e32 vcc_lo, 0, v79
	v_cndmask_b32_e32 v79, v83, v70, vcc_lo
; %bb.76:
	s_or_b32 exec_lo, exec_lo, s4
	s_delay_alu instid0(VALU_DEP_1)
	v_perm_b32 v86, v79, v78, 0x7060302
	v_perm_b32 v85, v77, v82, 0x7060302
	;; [unrolled: 1-line block ×4, first 2 shown]
	v_lshl_or_b32 v82, v66, 11, v80
	ds_store_b128 v76, v[83:86] offset:1024
	s_waitcnt lgkmcnt(0)
	s_barrier
	buffer_gl0_inv
	ds_load_b128 v[69:72], v82
	ds_load_b128 v[83:86], v82 offset:16
	s_waitcnt lgkmcnt(1)
	v_lshrrev_b32_e32 v66, 16, v69
	s_waitcnt lgkmcnt(0)
	v_lshrrev_b32_e32 v91, 16, v83
	v_lshlrev_b32_e32 v78, 2, v74
	v_lshrrev_b32_e32 v95, 16, v70
	v_lshrrev_b32_e32 v98, 16, v84
	;; [unrolled: 1-line block ×4, first 2 shown]
	v_cmp_eq_u32_e32 vcc_lo, 1, v78
	v_lshrrev_b32_e32 v97, 16, v72
	v_lshrrev_b32_e32 v100, 16, v86
	v_cndmask_b32_e32 v87, v83, v91, vcc_lo
	v_or_b32_e32 v79, 1, v78
	v_cndmask_b32_e32 v81, v69, v66, vcc_lo
	v_cmp_eq_u32_e64 s5, 2, v78
	v_cmp_eq_u32_e64 s8, 3, v78
	;; [unrolled: 1-line block ×5, first 2 shown]
	v_cndmask_b32_e64 v81, v81, v70, s5
	v_cndmask_b32_e64 v87, v87, v84, s5
	v_cmp_eq_u32_e64 s9, 3, v79
	v_cndmask_b32_e64 v88, v69, v66, s4
	v_or_b32_e32 v77, 2, v78
	v_cndmask_b32_e64 v81, v81, v95, s8
	v_cndmask_b32_e64 v87, v87, v98, s8
	;; [unrolled: 1-line block ×4, first 2 shown]
	v_cmp_eq_u32_e64 s11, 5, v78
	v_cndmask_b32_e64 v81, v81, v71, s10
	v_cndmask_b32_e64 v87, v87, v85, s10
	v_cmp_eq_u32_e64 s12, 4, v79
	v_cndmask_b32_e64 v88, v88, v95, s9
	v_cmp_eq_u32_e64 s6, 1, v77
	v_cndmask_b32_e64 v89, v89, v84, s7
	v_cndmask_b32_e64 v81, v81, v96, s11
	v_cmp_eq_u32_e64 s13, 6, v78
	v_cndmask_b32_e64 v88, v88, v71, s12
	;; [unrolled: 3-line block ×3, first 2 shown]
	v_cndmask_b32_e64 v89, v89, v98, s9
	v_cndmask_b32_e64 v81, v81, v72, s13
	v_cmp_eq_u32_e64 s16, 7, v78
	v_cndmask_b32_e64 v88, v88, v96, s15
	v_cndmask_b32_e64 v87, v87, v86, s13
	v_cmp_eq_u32_e64 s17, 6, v79
	v_cmp_eq_u32_e64 s18, 2, v77
	v_cndmask_b32_e64 v89, v89, v85, s12
	v_cndmask_b32_e64 v101, v81, v97, s16
	;; [unrolled: 1-line block ×6, first 2 shown]
	v_cmp_eq_u32_e64 s19, 7, v79
	v_cmp_eq_u32_e64 s20, 3, v77
	;; [unrolled: 1-line block ×4, first 2 shown]
	v_cndmask_b32_e64 v87, v87, v84, s18
	v_cndmask_b32_e64 v103, v88, v97, s19
	;; [unrolled: 1-line block ×4, first 2 shown]
	v_or_b32_e32 v81, 3, v78
	v_cndmask_b32_e64 v93, v87, v98, s20
	v_cmp_eq_u32_e64 s25, 6, v77
	v_cndmask_b32_e64 v104, v88, v86, s17
	v_cndmask_b32_e64 v92, v89, v71, s21
	v_cmp_eq_u32_e64 s22, 1, v81
	ds_load_b128 v[87:90], v82 offset:1024
	v_cmp_eq_u32_e64 s24, 2, v81
	v_cmp_eq_u32_e64 s26, 3, v81
	v_cndmask_b32_e64 v105, v92, v96, s23
	v_cndmask_b32_e64 v66, v69, v66, s22
	;; [unrolled: 1-line block ×4, first 2 shown]
	ds_load_b128 v[91:94], v82 offset:1040
	v_cmp_eq_u32_e64 s27, 4, v81
	v_cndmask_b32_e64 v66, v66, v70, s24
	v_cmp_eq_u32_e64 s28, 7, v77
	v_cndmask_b32_e64 v70, v83, v84, s24
	v_cndmask_b32_e64 v84, v105, v72, s25
	v_cmp_eq_u32_e64 s29, 5, v81
	v_cndmask_b32_e64 v66, v66, v95, s26
	v_cmp_eq_u32_e64 s30, 6, v81
	v_cndmask_b32_e64 v70, v70, v98, s26
	v_cndmask_b32_e64 v69, v69, v99, s23
	;; [unrolled: 1-line block ×4, first 2 shown]
	s_waitcnt lgkmcnt(1)
	v_lshrrev_b32_e32 v95, 16, v87
	v_cndmask_b32_e64 v70, v70, v85, s27
	v_cndmask_b32_e64 v71, v84, v97, s28
	;; [unrolled: 1-line block ×4, first 2 shown]
	v_cndmask_b32_e32 v84, v87, v95, vcc_lo
	v_cndmask_b32_e64 v70, v70, v99, s29
	s_waitcnt lgkmcnt(0)
	v_lshrrev_b32_e32 v85, 16, v91
	v_lshrrev_b32_e32 v96, 16, v88
	v_cndmask_b32_e64 v98, v87, v95, s4
	v_cndmask_b32_e64 v84, v84, v88, s5
	;; [unrolled: 1-line block ×3, first 2 shown]
	v_cndmask_b32_e32 v99, v91, v85, vcc_lo
	v_cmp_eq_u32_e32 vcc_lo, 7, v81
	v_cndmask_b32_e64 v66, v66, v72, s30
	v_cndmask_b32_e64 v72, v84, v96, s8
	v_cndmask_b32_e64 v84, v98, v88, s7
	v_lshrrev_b32_e32 v98, 16, v92
	v_cndmask_b32_e32 v70, v70, v100, vcc_lo
	v_cndmask_b32_e64 v86, v99, v92, s5
	v_cndmask_b32_e64 v69, v69, v100, s28
	v_lshrrev_b32_e32 v100, 16, v93
	v_cndmask_b32_e64 v72, v72, v89, s10
	v_lshrrev_b32_e32 v99, 16, v89
	v_cndmask_b32_e64 v86, v86, v98, s8
	v_perm_b32 v71, v69, v71, 0x5040100
	v_cndmask_b32_e64 v84, v84, v96, s9
	s_delay_alu instid0(VALU_DEP_3) | instskip(NEXT) | instid1(VALU_DEP_2)
	v_cndmask_b32_e64 v86, v86, v93, s10
	v_cndmask_b32_e64 v84, v84, v89, s12
	s_delay_alu instid0(VALU_DEP_2) | instskip(NEXT) | instid1(VALU_DEP_1)
	v_cndmask_b32_e64 v86, v86, v100, s11
	v_cndmask_b32_e64 v69, v86, v94, s13
	;; [unrolled: 1-line block ×5, first 2 shown]
	s_delay_alu instid0(VALU_DEP_3) | instskip(NEXT) | instid1(VALU_DEP_3)
	v_cndmask_b32_e64 v86, v86, v88, s18
	v_cndmask_b32_e64 v87, v87, v88, s24
	s_delay_alu instid0(VALU_DEP_3) | instskip(NEXT) | instid1(VALU_DEP_3)
	v_cndmask_b32_e64 v88, v95, v92, s24
	v_cndmask_b32_e64 v86, v86, v96, s20
	;; [unrolled: 3-line block ×7, first 2 shown]
	s_delay_alu instid0(VALU_DEP_3) | instskip(SKIP_2) | instid1(VALU_DEP_2)
	v_cndmask_b32_e64 v88, v88, v94, s30
	v_cndmask_b32_e32 v66, v66, v97, vcc_lo
	v_cndmask_b32_e64 v97, v72, v99, s11
	v_perm_b32 v72, v70, v66, 0x5040100
	v_perm_b32 v70, v83, v103, 0x5040100
	v_cndmask_b32_e64 v103, v91, v85, s6
	v_cndmask_b32_e64 v85, v91, v85, s4
	;; [unrolled: 1-line block ×4, first 2 shown]
	v_lshrrev_b32_e32 v97, 16, v90
	v_cndmask_b32_e64 v91, v103, v92, s18
	v_cndmask_b32_e64 v85, v85, v92, s7
	;; [unrolled: 1-line block ×3, first 2 shown]
	s_mov_b32 s4, exec_lo
	v_cndmask_b32_e64 v83, v84, v97, s16
	v_cndmask_b32_e64 v91, v91, v98, s20
	;; [unrolled: 1-line block ×3, first 2 shown]
	v_lshrrev_b32_e32 v84, 16, v94
	v_cndmask_b32_e64 v66, v66, v97, s19
	v_cndmask_b32_e64 v90, v86, v97, s28
	;; [unrolled: 1-line block ×4, first 2 shown]
	v_dual_cndmask_b32 v86, v87, v97 :: v_dual_cndmask_b32 v87, v88, v84
	v_cndmask_b32_e64 v91, v69, v84, s16
	s_delay_alu instid0(VALU_DEP_4) | instskip(NEXT) | instid1(VALU_DEP_4)
	v_cndmask_b32_e64 v89, v89, v100, s23
	v_cndmask_b32_e64 v85, v85, v100, s15
	v_perm_b32 v69, v102, v101, 0x5040100
	v_perm_b32 v86, v87, v86, 0x5040100
	;; [unrolled: 1-line block ×3, first 2 shown]
	v_cndmask_b32_e64 v89, v89, v94, s25
	v_cndmask_b32_e64 v85, v85, v94, s17
	s_mul_i32 s9, s37, 5
	s_delay_alu instid0(VALU_DEP_2) | instskip(NEXT) | instid1(VALU_DEP_2)
	v_cndmask_b32_e64 v88, v89, v84, s28
	v_cndmask_b32_e64 v89, v85, v84, s19
	s_delay_alu instid0(VALU_DEP_2) | instskip(NEXT) | instid1(VALU_DEP_2)
	v_perm_b32 v85, v88, v90, 0x5040100
	v_perm_b32 v84, v89, v66, 0x5040100
	ds_store_b128 v76, v[69:72]
	ds_store_b128 v76, v[83:86] offset:1024
	v_cmpx_gt_u32_e32 5, v0
	s_cbranch_execz .LBB1714_78
; %bb.77:
	s_mul_i32 s5, s9, s34
	s_load_b128 s[16:19], s[0:1], 0x58
	v_add3_u32 v69, s5, s31, v65
	s_delay_alu instid0(VALU_DEP_1) | instskip(NEXT) | instid1(VALU_DEP_1)
	v_mad_u64_u32 v[65:66], null, v69, s36, s[14:15]
	v_ashrrev_i32_e32 v66, 31, v65
	s_delay_alu instid0(VALU_DEP_1) | instskip(SKIP_1) | instid1(VALU_DEP_1)
	v_lshlrev_b64 v[65:66], 2, v[65:66]
	s_waitcnt lgkmcnt(0)
	v_add_co_u32 v69, vcc_lo, s18, v65
	s_delay_alu instid0(VALU_DEP_2)
	v_add_co_ci_u32_e32 v70, vcc_lo, s19, v66, vcc_lo
	v_add_co_u32 v65, vcc_lo, s16, v65
	v_add_co_ci_u32_e32 v66, vcc_lo, s17, v66, vcc_lo
	global_store_b32 v[69:70], v67, off
	global_store_b32 v[65:66], v68, off
.LBB1714_78:
	s_or_b32 exec_lo, exec_lo, s4
	s_waitcnt lgkmcnt(0)
	s_waitcnt_vscnt null, 0x0
	s_barrier
	buffer_gl0_inv
	ds_load_b128 v[83:86], v80
	ds_load_b128 v[87:90], v80 offset:16
	ds_load_b128 v[95:98], v80 offset:2064
	;; [unrolled: 1-line block ×3, first 2 shown]
	v_mov_b32_e32 v65, 0
	ds_load_b128 v[103:106], v80 offset:4112
	ds_load_b128 v[99:102], v80 offset:4096
	;; [unrolled: 1-line block ×4, first 2 shown]
	v_mov_b32_e32 v66, v65
	v_mov_b32_e32 v67, v65
	;; [unrolled: 1-line block ×7, first 2 shown]
	s_waitcnt lgkmcnt(6)
	s_delay_alu instid0(VALU_DEP_1)
	v_wmma_f32_16x16x16_bf16 v[65:72], v[57:64], v[83:90], v[65:72]
	ds_load_b128 v[61:64], v80 offset:8208
	ds_load_b128 v[57:60], v80 offset:8192
	s_waitcnt lgkmcnt(6)
	v_wmma_f32_16x16x16_bf16 v[65:72], v[41:48], v[91:98], v[65:72]
	ds_load_b128 v[45:48], v80 offset:10256
	ds_load_b128 v[41:44], v80 offset:10240
	s_waitcnt lgkmcnt(6)
	;; [unrolled: 4-line block ×4, first 2 shown]
	v_wmma_f32_16x16x16_bf16 v[65:72], v[1:8], v[57:64], v[65:72]
	s_waitcnt lgkmcnt(4)
	s_delay_alu instid0(VALU_DEP_1) | instskip(SKIP_1) | instid1(VALU_DEP_1)
	v_wmma_f32_16x16x16_bf16 v[65:72], v[9:16], v[41:48], v[65:72]
	s_waitcnt lgkmcnt(2)
	v_wmma_f32_16x16x16_bf16 v[65:72], v[17:24], v[33:40], v[65:72]
	s_waitcnt lgkmcnt(0)
	s_delay_alu instid0(VALU_DEP_1) | instskip(NEXT) | instid1(VALU_DEP_1)
	v_wmma_f32_16x16x16_bf16 v[65:72], v[49:56], v[25:32], v[65:72]
	v_and_b32_e32 v1, 0x7f800000, v65
	s_delay_alu instid0(VALU_DEP_1) | instskip(SKIP_1) | instid1(SALU_CYCLE_1)
	v_cmp_ne_u32_e32 vcc_lo, 0x7f800000, v1
                                        ; implicit-def: $vgpr1
	s_and_saveexec_b32 s4, vcc_lo
	s_xor_b32 s4, exec_lo, s4
; %bb.79:
	v_bfe_u32 v1, v65, 16, 1
	s_delay_alu instid0(VALU_DEP_1)
	v_add3_u32 v1, v65, v1, 0x7fff
; %bb.80:
	s_and_not1_saveexec_b32 s4, s4
; %bb.81:
	v_and_b32_e32 v1, 0xffff, v65
	v_or_b32_e32 v2, 0x10000, v65
	s_delay_alu instid0(VALU_DEP_2) | instskip(NEXT) | instid1(VALU_DEP_2)
	v_cmp_eq_u32_e32 vcc_lo, 0, v1
	v_cndmask_b32_e32 v1, v2, v65, vcc_lo
; %bb.82:
	s_or_b32 exec_lo, exec_lo, s4
	v_and_b32_e32 v2, 0x7f800000, v66
	s_delay_alu instid0(VALU_DEP_1) | instskip(SKIP_1) | instid1(SALU_CYCLE_1)
	v_cmp_ne_u32_e32 vcc_lo, 0x7f800000, v2
                                        ; implicit-def: $vgpr2
	s_and_saveexec_b32 s4, vcc_lo
	s_xor_b32 s4, exec_lo, s4
; %bb.83:
	v_bfe_u32 v2, v66, 16, 1
	s_delay_alu instid0(VALU_DEP_1)
	v_add3_u32 v2, v66, v2, 0x7fff
; %bb.84:
	s_and_not1_saveexec_b32 s4, s4
; %bb.85:
	v_and_b32_e32 v2, 0xffff, v66
	v_or_b32_e32 v3, 0x10000, v66
	s_delay_alu instid0(VALU_DEP_2) | instskip(NEXT) | instid1(VALU_DEP_2)
	v_cmp_eq_u32_e32 vcc_lo, 0, v2
	v_cndmask_b32_e32 v2, v3, v66, vcc_lo
; %bb.86:
	s_or_b32 exec_lo, exec_lo, s4
	v_and_b32_e32 v3, 0x7f800000, v67
	s_delay_alu instid0(VALU_DEP_1) | instskip(SKIP_1) | instid1(SALU_CYCLE_1)
	v_cmp_ne_u32_e32 vcc_lo, 0x7f800000, v3
                                        ; implicit-def: $vgpr3
	s_and_saveexec_b32 s4, vcc_lo
	s_xor_b32 s4, exec_lo, s4
; %bb.87:
	v_bfe_u32 v3, v67, 16, 1
	s_delay_alu instid0(VALU_DEP_1)
	v_add3_u32 v3, v67, v3, 0x7fff
; %bb.88:
	s_and_not1_saveexec_b32 s4, s4
; %bb.89:
	v_and_b32_e32 v3, 0xffff, v67
	v_or_b32_e32 v4, 0x10000, v67
	s_delay_alu instid0(VALU_DEP_2) | instskip(NEXT) | instid1(VALU_DEP_2)
	v_cmp_eq_u32_e32 vcc_lo, 0, v3
	v_cndmask_b32_e32 v3, v4, v67, vcc_lo
; %bb.90:
	s_or_b32 exec_lo, exec_lo, s4
	v_and_b32_e32 v4, 0x7f800000, v68
	s_delay_alu instid0(VALU_DEP_1) | instskip(SKIP_1) | instid1(SALU_CYCLE_1)
	v_cmp_ne_u32_e32 vcc_lo, 0x7f800000, v4
                                        ; implicit-def: $vgpr4
	s_and_saveexec_b32 s4, vcc_lo
	s_xor_b32 s4, exec_lo, s4
; %bb.91:
	v_bfe_u32 v4, v68, 16, 1
	s_delay_alu instid0(VALU_DEP_1)
	v_add3_u32 v4, v68, v4, 0x7fff
; %bb.92:
	s_and_not1_saveexec_b32 s4, s4
; %bb.93:
	v_and_b32_e32 v4, 0xffff, v68
	v_or_b32_e32 v5, 0x10000, v68
	s_delay_alu instid0(VALU_DEP_2) | instskip(NEXT) | instid1(VALU_DEP_2)
	v_cmp_eq_u32_e32 vcc_lo, 0, v4
	v_cndmask_b32_e32 v4, v5, v68, vcc_lo
; %bb.94:
	s_or_b32 exec_lo, exec_lo, s4
	v_and_b32_e32 v5, 0x7f800000, v69
	s_delay_alu instid0(VALU_DEP_1) | instskip(SKIP_1) | instid1(SALU_CYCLE_1)
	v_cmp_ne_u32_e32 vcc_lo, 0x7f800000, v5
                                        ; implicit-def: $vgpr5
	s_and_saveexec_b32 s4, vcc_lo
	s_xor_b32 s4, exec_lo, s4
; %bb.95:
	v_bfe_u32 v5, v69, 16, 1
	s_delay_alu instid0(VALU_DEP_1)
	v_add3_u32 v5, v69, v5, 0x7fff
; %bb.96:
	s_and_not1_saveexec_b32 s4, s4
; %bb.97:
	v_and_b32_e32 v5, 0xffff, v69
	v_or_b32_e32 v6, 0x10000, v69
	s_delay_alu instid0(VALU_DEP_2) | instskip(NEXT) | instid1(VALU_DEP_2)
	v_cmp_eq_u32_e32 vcc_lo, 0, v5
	v_cndmask_b32_e32 v5, v6, v69, vcc_lo
; %bb.98:
	s_or_b32 exec_lo, exec_lo, s4
	v_and_b32_e32 v6, 0x7f800000, v70
	s_delay_alu instid0(VALU_DEP_1) | instskip(SKIP_1) | instid1(SALU_CYCLE_1)
	v_cmp_ne_u32_e32 vcc_lo, 0x7f800000, v6
                                        ; implicit-def: $vgpr6
	s_and_saveexec_b32 s4, vcc_lo
	s_xor_b32 s4, exec_lo, s4
; %bb.99:
	v_bfe_u32 v6, v70, 16, 1
	s_delay_alu instid0(VALU_DEP_1)
	v_add3_u32 v6, v70, v6, 0x7fff
; %bb.100:
	s_and_not1_saveexec_b32 s4, s4
; %bb.101:
	v_and_b32_e32 v6, 0xffff, v70
	v_or_b32_e32 v7, 0x10000, v70
	s_delay_alu instid0(VALU_DEP_2) | instskip(NEXT) | instid1(VALU_DEP_2)
	v_cmp_eq_u32_e32 vcc_lo, 0, v6
	v_cndmask_b32_e32 v6, v7, v70, vcc_lo
; %bb.102:
	s_or_b32 exec_lo, exec_lo, s4
	v_and_b32_e32 v7, 0x7f800000, v71
	s_delay_alu instid0(VALU_DEP_1) | instskip(SKIP_1) | instid1(SALU_CYCLE_1)
	v_cmp_ne_u32_e32 vcc_lo, 0x7f800000, v7
                                        ; implicit-def: $vgpr7
	s_and_saveexec_b32 s4, vcc_lo
	s_xor_b32 s4, exec_lo, s4
; %bb.103:
	v_bfe_u32 v7, v71, 16, 1
	s_delay_alu instid0(VALU_DEP_1)
	v_add3_u32 v7, v71, v7, 0x7fff
; %bb.104:
	s_and_not1_saveexec_b32 s4, s4
; %bb.105:
	v_and_b32_e32 v7, 0xffff, v71
	v_or_b32_e32 v8, 0x10000, v71
	s_delay_alu instid0(VALU_DEP_2) | instskip(NEXT) | instid1(VALU_DEP_2)
	v_cmp_eq_u32_e32 vcc_lo, 0, v7
	v_cndmask_b32_e32 v7, v8, v71, vcc_lo
; %bb.106:
	s_or_b32 exec_lo, exec_lo, s4
	v_and_b32_e32 v8, 0x7f800000, v72
	s_delay_alu instid0(VALU_DEP_1) | instskip(SKIP_1) | instid1(SALU_CYCLE_1)
	v_cmp_ne_u32_e32 vcc_lo, 0x7f800000, v8
                                        ; implicit-def: $vgpr8
	s_and_saveexec_b32 s4, vcc_lo
	s_xor_b32 s4, exec_lo, s4
; %bb.107:
	v_bfe_u32 v8, v72, 16, 1
	s_delay_alu instid0(VALU_DEP_1)
	v_add3_u32 v8, v72, v8, 0x7fff
                                        ; implicit-def: $vgpr65_vgpr66_vgpr67_vgpr68_vgpr69_vgpr70_vgpr71_vgpr72
; %bb.108:
	s_and_not1_saveexec_b32 s4, s4
; %bb.109:
	v_and_b32_e32 v8, 0xffff, v72
	v_or_b32_e32 v9, 0x10000, v72
	s_delay_alu instid0(VALU_DEP_2) | instskip(NEXT) | instid1(VALU_DEP_2)
	v_cmp_eq_u32_e32 vcc_lo, 0, v8
	v_cndmask_b32_e32 v8, v9, v72, vcc_lo
; %bb.110:
	s_or_b32 exec_lo, exec_lo, s4
	s_delay_alu instid0(VALU_DEP_1)
	v_perm_b32 v7, v8, v7, 0x7060302
	v_perm_b32 v6, v6, v5, 0x7060302
	;; [unrolled: 1-line block ×4, first 2 shown]
	s_barrier
	buffer_gl0_inv
	v_cmp_eq_u32_e32 vcc_lo, 1, v78
	ds_store_b128 v76, v[4:7]
	s_waitcnt lgkmcnt(0)
	s_barrier
	buffer_gl0_inv
	ds_load_b128 v[1:4], v82
	ds_load_b128 v[5:8], v82 offset:16
	v_cmp_eq_u32_e64 s4, 1, v79
	v_cmp_eq_u32_e64 s5, 2, v78
	;; [unrolled: 1-line block ×5, first 2 shown]
	s_waitcnt lgkmcnt(1)
	v_lshrrev_b32_e32 v9, 16, v1
	s_waitcnt lgkmcnt(0)
	v_lshrrev_b32_e32 v13, 16, v5
	v_lshrrev_b32_e32 v10, 16, v2
	;; [unrolled: 1-line block ×4, first 2 shown]
	v_cndmask_b32_e64 v19, v1, v9, s4
	v_cndmask_b32_e32 v18, v5, v13, vcc_lo
	v_cndmask_b32_e64 v20, v5, v13, s4
	v_cndmask_b32_e32 v17, v1, v9, vcc_lo
	v_cmp_eq_u32_e32 vcc_lo, 2, v79
	v_lshrrev_b32_e32 v15, 16, v7
	v_cmp_eq_u32_e64 s4, 1, v77
	v_lshrrev_b32_e32 v12, 16, v4
	v_lshrrev_b32_e32 v16, 16, v8
	v_cndmask_b32_e32 v20, v20, v6, vcc_lo
	v_cndmask_b32_e64 v17, v17, v2, s5
	v_cndmask_b32_e32 v19, v19, v2, vcc_lo
	v_cndmask_b32_e64 v18, v18, v6, s5
	v_cmp_eq_u32_e32 vcc_lo, 4, v78
	v_cmp_eq_u32_e64 s5, 3, v79
	v_cndmask_b32_e64 v17, v17, v10, s6
	v_cndmask_b32_e64 v21, v1, v9, s4
	;; [unrolled: 1-line block ×5, first 2 shown]
	v_cndmask_b32_e32 v17, v17, v3, vcc_lo
	v_cndmask_b32_e64 v20, v20, v14, s5
	v_cndmask_b32_e32 v18, v18, v7, vcc_lo
	v_cmp_eq_u32_e32 vcc_lo, 4, v79
	v_cmp_eq_u32_e64 s5, 5, v79
	v_cmp_eq_u32_e64 s4, 2, v81
	v_cndmask_b32_e64 v21, v21, v2, s8
	v_cmp_eq_u32_e64 s6, 5, v78
	v_cndmask_b32_e32 v19, v19, v3, vcc_lo
	v_cndmask_b32_e32 v20, v20, v7, vcc_lo
	v_cmp_eq_u32_e32 vcc_lo, 6, v79
	s_delay_alu instid0(VALU_DEP_4) | instskip(NEXT) | instid1(VALU_DEP_4)
	v_cndmask_b32_e64 v17, v17, v11, s6
	v_cndmask_b32_e64 v19, v19, v11, s5
	s_delay_alu instid0(VALU_DEP_4) | instskip(SKIP_1) | instid1(VALU_DEP_3)
	v_cndmask_b32_e64 v20, v20, v15, s5
	v_cmp_eq_u32_e64 s5, 1, v81
	v_cndmask_b32_e32 v19, v19, v4, vcc_lo
	v_cndmask_b32_e64 v18, v18, v15, s6
	s_delay_alu instid0(VALU_DEP_3)
	v_cndmask_b32_e64 v1, v1, v9, s5
	v_cndmask_b32_e64 v5, v5, v13, s5
	v_cmp_eq_u32_e64 s5, 3, v77
	v_cndmask_b32_e64 v13, v22, v6, s8
	v_cmp_eq_u32_e64 s8, 3, v81
	v_cndmask_b32_e64 v1, v1, v2, s4
	v_cndmask_b32_e64 v2, v5, v6, s4
	v_cndmask_b32_e64 v9, v21, v10, s5
	v_cmp_eq_u32_e64 s4, 4, v77
	v_cndmask_b32_e64 v6, v13, v14, s5
	v_cndmask_b32_e64 v1, v1, v10, s8
	v_cmp_eq_u32_e64 s5, 4, v81
	v_cndmask_b32_e64 v2, v2, v14, s8
	v_cndmask_b32_e64 v5, v9, v3, s4
	v_cmp_eq_u32_e64 s8, 5, v77
	v_cndmask_b32_e64 v6, v6, v7, s4
	v_cndmask_b32_e64 v1, v1, v3, s5
	v_cndmask_b32_e64 v2, v2, v7, s5
	v_cmp_eq_u32_e64 s4, 5, v81
	v_cmp_eq_u32_e64 s6, 6, v78
	v_cndmask_b32_e64 v5, v5, v11, s8
	v_cmp_eq_u32_e64 s5, 6, v77
	v_cndmask_b32_e64 v3, v6, v15, s8
	v_cndmask_b32_e64 v1, v1, v11, s4
	v_cmp_eq_u32_e64 s8, 6, v81
	v_cndmask_b32_e64 v2, v2, v15, s4
	v_cndmask_b32_e64 v17, v17, v4, s6
	v_cndmask_b32_e64 v18, v18, v8, s6
	v_cmp_eq_u32_e64 s6, 7, v78
	v_cndmask_b32_e64 v5, v5, v4, s5
	;; [unrolled: 4-line block ×3, first 2 shown]
	v_cmp_eq_u32_e64 s5, 7, v77
	v_cndmask_b32_e32 v4, v20, v8, vcc_lo
	v_cndmask_b32_e64 v17, v17, v12, s6
	v_cndmask_b32_e64 v19, v19, v12, s7
	;; [unrolled: 1-line block ×8, first 2 shown]
	v_cmp_gt_u32_e32 vcc_lo, 32, v0
	v_perm_b32 v4, v2, v1, 0x5040100
	v_perm_b32 v3, v3, v5, 0x5040100
	;; [unrolled: 1-line block ×4, first 2 shown]
	s_and_b32 s2, vcc_lo, s2
	ds_store_b128 v76, v[1:4]
	s_waitcnt lgkmcnt(0)
	s_barrier
	buffer_gl0_inv
	s_and_saveexec_b32 s4, s2
	s_cbranch_execz .LBB1714_2
; %bb.111:
	s_load_b64 s[4:5], s[0:1], 0x68
	v_lshlrev_b32_e32 v0, 10, v0
	v_add_nc_u32_e32 v2, s31, v74
	v_lshlrev_b32_e32 v3, 4, v75
	s_lshl_b32 s0, s36, 6
	s_delay_alu instid0(SALU_CYCLE_1) | instskip(NEXT) | instid1(VALU_DEP_2)
	s_mul_i32 s1, s0, s34
	v_mul_lo_u32 v1, v2, s0
	s_delay_alu instid0(VALU_DEP_2) | instskip(SKIP_2) | instid1(SALU_CYCLE_1)
	v_and_or_b32 v0, 0x3800, v0, v3
	v_add_nc_u32_e32 v2, 2, v2
	s_mul_i32 s6, s1, s9
	s_ashr_i32 s7, s6, 31
	s_delay_alu instid0(VALU_DEP_2)
	v_lshl_or_b32 v7, v74, 6, v0
	s_lshl_b64 s[6:7], s[6:7], 1
	v_mul_lo_u32 v11, v2, s0
	v_ashrrev_i32_e32 v2, 31, v1
	ds_load_b128 v[3:6], v7
	ds_load_b128 v[7:10], v7 offset:128
	s_waitcnt lgkmcnt(0)
	s_add_u32 s1, s4, s6
	s_addc_u32 s2, s5, s7
	s_lshl_b32 s4, s14, 6
	v_ashrrev_i32_e32 v12, 31, v11
	s_ashr_i32 s5, s4, 31
	v_lshlrev_b64 v[13:14], 1, v[1:2]
	s_lshl_b64 s[4:5], s[4:5], 1
	s_delay_alu instid0(SALU_CYCLE_1) | instskip(SKIP_2) | instid1(VALU_DEP_1)
	s_add_u32 s1, s1, s4
	s_addc_u32 s2, s2, s5
	v_add_co_u32 v1, s1, s1, v73
	v_add_co_ci_u32_e64 v2, null, s2, 0, s1
	v_lshlrev_b64 v[11:12], 1, v[11:12]
	s_delay_alu instid0(VALU_DEP_3) | instskip(NEXT) | instid1(VALU_DEP_3)
	v_add_co_u32 v13, vcc_lo, v1, v13
	v_add_co_ci_u32_e32 v14, vcc_lo, v2, v14, vcc_lo
	s_delay_alu instid0(VALU_DEP_3) | instskip(NEXT) | instid1(VALU_DEP_4)
	v_add_co_u32 v11, vcc_lo, v1, v11
	v_add_co_ci_u32_e32 v12, vcc_lo, v2, v12, vcc_lo
	s_clause 0x1
	global_store_b128 v[13:14], v[3:6], off
	global_store_b128 v[11:12], v[7:10], off
	s_and_b32 exec_lo, exec_lo, s3
	s_cbranch_execz .LBB1714_2
; %bb.112:
	ds_load_b128 v[3:6], v0 offset:256
	s_add_i32 s1, s31, 4
	s_delay_alu instid0(SALU_CYCLE_1) | instskip(NEXT) | instid1(SALU_CYCLE_1)
	s_mul_i32 s0, s1, s0
	s_ashr_i32 s1, s0, 31
	s_delay_alu instid0(SALU_CYCLE_1) | instskip(NEXT) | instid1(SALU_CYCLE_1)
	s_lshl_b64 s[0:1], s[0:1], 1
	v_add_co_u32 v0, vcc_lo, v1, s0
	v_add_co_ci_u32_e32 v1, vcc_lo, s1, v2, vcc_lo
	s_waitcnt lgkmcnt(0)
	global_store_b128 v[0:1], v[3:6], off
	s_nop 0
	s_sendmsg sendmsg(MSG_DEALLOC_VGPRS)
	s_endpgm
	.section	.rodata,"a",@progbits
	.p2align	6, 0x0
	.amdhsa_kernel _Z39paged_attention_ll4mi_QKV_mfma16_kernelI14__hip_bfloat16hLN4vllm18Fp8KVCacheDataTypeE1ES0_Li16ELi64ELi256ELb0ELi5EL8MFMAType0EEvPKT_PKT0_S9_ifPKiSB_SB_iPKfiiiPfSE_PS4_PT2_iSD_SD_
		.amdhsa_group_segment_fixed_size 17472
		.amdhsa_private_segment_fixed_size 0
		.amdhsa_kernarg_size 400
		.amdhsa_user_sgpr_count 13
		.amdhsa_user_sgpr_dispatch_ptr 0
		.amdhsa_user_sgpr_queue_ptr 0
		.amdhsa_user_sgpr_kernarg_segment_ptr 1
		.amdhsa_user_sgpr_dispatch_id 0
		.amdhsa_user_sgpr_private_segment_size 0
		.amdhsa_wavefront_size32 1
		.amdhsa_uses_dynamic_stack 0
		.amdhsa_enable_private_segment 0
		.amdhsa_system_sgpr_workgroup_id_x 1
		.amdhsa_system_sgpr_workgroup_id_y 1
		.amdhsa_system_sgpr_workgroup_id_z 1
		.amdhsa_system_sgpr_workgroup_info 0
		.amdhsa_system_vgpr_workitem_id 0
		.amdhsa_next_free_vgpr 124
		.amdhsa_next_free_sgpr 40
		.amdhsa_reserve_vcc 1
		.amdhsa_float_round_mode_32 0
		.amdhsa_float_round_mode_16_64 0
		.amdhsa_float_denorm_mode_32 3
		.amdhsa_float_denorm_mode_16_64 3
		.amdhsa_dx10_clamp 1
		.amdhsa_ieee_mode 1
		.amdhsa_fp16_overflow 0
		.amdhsa_workgroup_processor_mode 1
		.amdhsa_memory_ordered 1
		.amdhsa_forward_progress 0
		.amdhsa_shared_vgpr_count 0
		.amdhsa_exception_fp_ieee_invalid_op 0
		.amdhsa_exception_fp_denorm_src 0
		.amdhsa_exception_fp_ieee_div_zero 0
		.amdhsa_exception_fp_ieee_overflow 0
		.amdhsa_exception_fp_ieee_underflow 0
		.amdhsa_exception_fp_ieee_inexact 0
		.amdhsa_exception_int_div_zero 0
	.end_amdhsa_kernel
	.section	.text._Z39paged_attention_ll4mi_QKV_mfma16_kernelI14__hip_bfloat16hLN4vllm18Fp8KVCacheDataTypeE1ES0_Li16ELi64ELi256ELb0ELi5EL8MFMAType0EEvPKT_PKT0_S9_ifPKiSB_SB_iPKfiiiPfSE_PS4_PT2_iSD_SD_,"axG",@progbits,_Z39paged_attention_ll4mi_QKV_mfma16_kernelI14__hip_bfloat16hLN4vllm18Fp8KVCacheDataTypeE1ES0_Li16ELi64ELi256ELb0ELi5EL8MFMAType0EEvPKT_PKT0_S9_ifPKiSB_SB_iPKfiiiPfSE_PS4_PT2_iSD_SD_,comdat
.Lfunc_end1714:
	.size	_Z39paged_attention_ll4mi_QKV_mfma16_kernelI14__hip_bfloat16hLN4vllm18Fp8KVCacheDataTypeE1ES0_Li16ELi64ELi256ELb0ELi5EL8MFMAType0EEvPKT_PKT0_S9_ifPKiSB_SB_iPKfiiiPfSE_PS4_PT2_iSD_SD_, .Lfunc_end1714-_Z39paged_attention_ll4mi_QKV_mfma16_kernelI14__hip_bfloat16hLN4vllm18Fp8KVCacheDataTypeE1ES0_Li16ELi64ELi256ELb0ELi5EL8MFMAType0EEvPKT_PKT0_S9_ifPKiSB_SB_iPKfiiiPfSE_PS4_PT2_iSD_SD_
                                        ; -- End function
	.section	.AMDGPU.csdata,"",@progbits
; Kernel info:
; codeLenInByte = 8756
; NumSgprs: 42
; NumVgprs: 124
; ScratchSize: 0
; MemoryBound: 0
; FloatMode: 240
; IeeeMode: 1
; LDSByteSize: 17472 bytes/workgroup (compile time only)
; SGPRBlocks: 5
; VGPRBlocks: 15
; NumSGPRsForWavesPerEU: 42
; NumVGPRsForWavesPerEU: 124
; Occupancy: 10
; WaveLimiterHint : 1
; COMPUTE_PGM_RSRC2:SCRATCH_EN: 0
; COMPUTE_PGM_RSRC2:USER_SGPR: 13
; COMPUTE_PGM_RSRC2:TRAP_HANDLER: 0
; COMPUTE_PGM_RSRC2:TGID_X_EN: 1
; COMPUTE_PGM_RSRC2:TGID_Y_EN: 1
; COMPUTE_PGM_RSRC2:TGID_Z_EN: 1
; COMPUTE_PGM_RSRC2:TIDIG_COMP_CNT: 0
	.section	.text._Z39paged_attention_ll4mi_QKV_mfma16_kernelI14__hip_bfloat16hLN4vllm18Fp8KVCacheDataTypeE1ES0_Li16ELi64ELi256ELb0ELi6EL8MFMAType0EEvPKT_PKT0_S9_ifPKiSB_SB_iPKfiiiPfSE_PS4_PT2_iSD_SD_,"axG",@progbits,_Z39paged_attention_ll4mi_QKV_mfma16_kernelI14__hip_bfloat16hLN4vllm18Fp8KVCacheDataTypeE1ES0_Li16ELi64ELi256ELb0ELi6EL8MFMAType0EEvPKT_PKT0_S9_ifPKiSB_SB_iPKfiiiPfSE_PS4_PT2_iSD_SD_,comdat
	.protected	_Z39paged_attention_ll4mi_QKV_mfma16_kernelI14__hip_bfloat16hLN4vllm18Fp8KVCacheDataTypeE1ES0_Li16ELi64ELi256ELb0ELi6EL8MFMAType0EEvPKT_PKT0_S9_ifPKiSB_SB_iPKfiiiPfSE_PS4_PT2_iSD_SD_ ; -- Begin function _Z39paged_attention_ll4mi_QKV_mfma16_kernelI14__hip_bfloat16hLN4vllm18Fp8KVCacheDataTypeE1ES0_Li16ELi64ELi256ELb0ELi6EL8MFMAType0EEvPKT_PKT0_S9_ifPKiSB_SB_iPKfiiiPfSE_PS4_PT2_iSD_SD_
	.globl	_Z39paged_attention_ll4mi_QKV_mfma16_kernelI14__hip_bfloat16hLN4vllm18Fp8KVCacheDataTypeE1ES0_Li16ELi64ELi256ELb0ELi6EL8MFMAType0EEvPKT_PKT0_S9_ifPKiSB_SB_iPKfiiiPfSE_PS4_PT2_iSD_SD_
	.p2align	8
	.type	_Z39paged_attention_ll4mi_QKV_mfma16_kernelI14__hip_bfloat16hLN4vllm18Fp8KVCacheDataTypeE1ES0_Li16ELi64ELi256ELb0ELi6EL8MFMAType0EEvPKT_PKT0_S9_ifPKiSB_SB_iPKfiiiPfSE_PS4_PT2_iSD_SD_,@function
_Z39paged_attention_ll4mi_QKV_mfma16_kernelI14__hip_bfloat16hLN4vllm18Fp8KVCacheDataTypeE1ES0_Li16ELi64ELi256ELb0ELi6EL8MFMAType0EEvPKT_PKT0_S9_ifPKiSB_SB_iPKfiiiPfSE_PS4_PT2_iSD_SD_: ; @_Z39paged_attention_ll4mi_QKV_mfma16_kernelI14__hip_bfloat16hLN4vllm18Fp8KVCacheDataTypeE1ES0_Li16ELi64ELi256ELb0ELi6EL8MFMAType0EEvPKT_PKT0_S9_ifPKiSB_SB_iPKfiiiPfSE_PS4_PT2_iSD_SD_
; %bb.0:
	s_load_b64 s[2:3], s[0:1], 0x30
	s_mov_b32 s30, s13
	s_waitcnt lgkmcnt(0)
	s_cmp_lg_u64 s[2:3], 0
	s_cselect_b32 s8, -1, 0
	s_ashr_i32 s31, s13, 31
	s_cmp_eq_u64 s[2:3], 0
	s_cbranch_scc1 .LBB1715_3
; %bb.1:
	s_lshl_b64 s[4:5], s[30:31], 2
	s_delay_alu instid0(SALU_CYCLE_1) | instskip(SKIP_4) | instid1(SALU_CYCLE_1)
	s_add_u32 s4, s2, s4
	s_addc_u32 s5, s3, s5
	s_load_b64 s[4:5], s[4:5], 0x0
	s_waitcnt lgkmcnt(0)
	s_sub_i32 s4, s5, s4
	s_cmp_eq_u32 s4, 1
	s_cselect_b32 s4, -1, 0
	s_delay_alu instid0(SALU_CYCLE_1)
	s_and_not1_b32 vcc_lo, exec_lo, s4
	s_cbranch_vccz .LBB1715_4
.LBB1715_2:
	s_endpgm
.LBB1715_3:
.LBB1715_4:
	s_load_b64 s[4:5], s[0:1], 0x28
	s_lshl_b64 s[6:7], s[30:31], 2
	s_waitcnt lgkmcnt(0)
	s_add_u32 s4, s4, s6
	s_addc_u32 s5, s5, s7
	s_lshl_b32 s12, s14, 8
	s_load_b32 s24, s[4:5], 0x0
	s_waitcnt lgkmcnt(0)
	s_cmp_ge_i32 s12, s24
	s_cbranch_scc1 .LBB1715_2
; %bb.5:
	s_clause 0x1
	s_load_b128 s[20:23], s[0:1], 0x8
	s_load_b64 s[4:5], s[0:1], 0x20
	s_and_not1_b32 vcc_lo, exec_lo, s8
	s_cbranch_vccnz .LBB1715_7
; %bb.6:
	s_add_u32 s2, s2, s6
	s_addc_u32 s3, s3, s7
	s_load_b32 s3, s[2:3], 0x0
	s_branch .LBB1715_8
.LBB1715_7:
	s_mov_b32 s3, s30
.LBB1715_8:
	s_load_b128 s[16:19], s[0:1], 0x48
	v_and_b32_e32 v65, 15, v0
	v_cmp_gt_u32_e32 vcc_lo, 0x60, v0
	v_lshrrev_b32_e32 v66, 5, v0
	v_and_b32_e32 v67, 31, v0
	v_and_b32_e32 v75, 1, v0
	v_lshlrev_b32_e32 v1, 3, v65
	v_cmp_gt_u32_e64 s2, 8, v65
	v_bfe_u32 v74, v0, 4, 1
	s_mul_i32 s31, s15, 6
	s_delay_alu instid0(VALU_DEP_3) | instskip(NEXT) | instid1(VALU_DEP_3)
	v_lshlrev_b32_e32 v73, 1, v1
	s_and_b32 s7, vcc_lo, s2
	s_delay_alu instid0(SALU_CYCLE_1)
	s_and_saveexec_b32 s6, s7
	s_cbranch_execz .LBB1715_10
; %bb.9:
	s_load_b64 s[8:9], s[0:1], 0x0
	v_lshl_or_b32 v5, v66, 1, v74
	s_waitcnt lgkmcnt(0)
	s_mul_hi_i32 s11, s3, s16
	s_mul_i32 s10, s3, s16
	v_lshlrev_b32_e32 v6, 10, v65
	s_lshl_b64 s[10:11], s[10:11], 1
	v_add_lshl_u32 v1, v5, s31, 6
	v_lshlrev_b32_e32 v5, 6, v5
	v_lshlrev_b32_e32 v7, 10, v75
	v_and_b32_e32 v6, 0x3800, v6
	s_delay_alu instid0(VALU_DEP_4) | instskip(NEXT) | instid1(VALU_DEP_2)
	v_ashrrev_i32_e32 v2, 31, v1
	v_or3_b32 v5, v6, v7, v5
	s_delay_alu instid0(VALU_DEP_2) | instskip(SKIP_2) | instid1(VALU_DEP_1)
	v_lshlrev_b64 v[1:2], 1, v[1:2]
	s_add_u32 s3, s8, s10
	s_addc_u32 s7, s9, s11
	v_add_co_u32 v1, vcc_lo, s3, v1
	s_delay_alu instid0(VALU_DEP_2) | instskip(NEXT) | instid1(VALU_DEP_2)
	v_add_co_ci_u32_e32 v2, vcc_lo, s7, v2, vcc_lo
	v_add_co_u32 v1, vcc_lo, v1, v73
	s_delay_alu instid0(VALU_DEP_2)
	v_add_co_ci_u32_e32 v2, vcc_lo, 0, v2, vcc_lo
	global_load_b128 v[1:4], v[1:2], off
	s_waitcnt vmcnt(0)
	ds_store_b128 v5, v[1:4]
.LBB1715_10:
	s_or_b32 exec_lo, exec_lo, s6
	v_and_b32_e32 v1, 0xef, v0
	s_waitcnt lgkmcnt(0)
	s_add_i32 s3, s24, 15
	s_clause 0x1
	s_load_b32 s6, s[0:1], 0x38
	s_load_b32 s19, s[0:1], 0x1c
	s_ashr_i32 s7, s3, 31
	v_add_nc_u32_e32 v1, s12, v1
	s_lshr_b32 s7, s7, 28
	s_waitcnt lgkmcnt(0)
	s_add_i32 s3, s3, s7
	s_barrier
	v_ashrrev_i32_e32 v2, 31, v1
	v_or_b32_e32 v3, 16, v1
	s_ashr_i32 s3, s3, 4
	v_cmp_gt_i32_e32 vcc_lo, s24, v1
	s_add_i32 s3, s3, -1
	v_lshrrev_b32_e32 v2, 28, v2
	buffer_gl0_inv
	s_mul_i32 s27, s15, s18
	v_add_nc_u32_e32 v4, v1, v2
	s_mul_i32 s6, s30, s6
	s_delay_alu instid0(SALU_CYCLE_1) | instskip(NEXT) | instid1(VALU_DEP_1)
	s_ashr_i32 s7, s6, 31
	v_ashrrev_i32_e32 v4, 4, v4
	v_add_nc_u32_e32 v2, v3, v2
	s_lshl_b64 s[6:7], s[6:7], 2
	s_delay_alu instid0(SALU_CYCLE_1) | instskip(NEXT) | instid1(VALU_DEP_2)
	s_add_u32 s26, s4, s6
	v_cndmask_b32_e32 v1, s3, v4, vcc_lo
	s_delay_alu instid0(VALU_DEP_2)
	v_ashrrev_i32_e32 v2, 4, v2
	v_cmp_gt_i32_e32 vcc_lo, s24, v3
	s_addc_u32 s25, s5, s7
	s_ashr_i32 s28, s27, 31
	s_add_u32 s13, s20, s27
	s_addc_u32 s15, s21, s28
	v_cndmask_b32_e32 v3, s3, v2, vcc_lo
	v_ashrrev_i32_e32 v2, 31, v1
	s_lshl_b32 s4, s14, 4
	s_delay_alu instid0(SALU_CYCLE_1) | instskip(NEXT) | instid1(VALU_DEP_2)
	s_ashr_i32 s5, s4, 31
	v_ashrrev_i32_e32 v4, 31, v3
	s_delay_alu instid0(VALU_DEP_2) | instskip(SKIP_1) | instid1(SALU_CYCLE_1)
	v_lshlrev_b64 v[1:2], 2, v[1:2]
	s_lshl_b64 s[4:5], s[4:5], 2
	s_add_u32 s4, s26, s4
	s_delay_alu instid0(VALU_DEP_2) | instskip(SKIP_1) | instid1(VALU_DEP_2)
	v_lshlrev_b64 v[3:4], 2, v[3:4]
	s_addc_u32 s5, s25, s5
	v_add_co_u32 v1, vcc_lo, s26, v1
	v_add_co_ci_u32_e32 v2, vcc_lo, s25, v2, vcc_lo
	s_delay_alu instid0(VALU_DEP_3) | instskip(NEXT) | instid1(VALU_DEP_4)
	v_add_co_u32 v3, vcc_lo, s26, v3
	v_add_co_ci_u32_e32 v4, vcc_lo, s25, v4, vcc_lo
	s_clause 0x1
	global_load_b32 v5, v[1:2], off
	global_load_b32 v7, v[3:4], off
	s_or_b32 s6, s12, 32
	v_lshlrev_b32_e32 v1, 4, v0
	s_ashr_i32 s7, s6, 4
	s_cmp_lt_i32 s6, s24
	s_cselect_b32 s6, s7, s3
	s_delay_alu instid0(VALU_DEP_1) | instskip(SKIP_1) | instid1(SALU_CYCLE_1)
	v_and_b32_e32 v1, 0xf0, v1
	s_ashr_i32 s7, s6, 31
	s_lshl_b64 s[6:7], s[6:7], 2
	s_delay_alu instid0(SALU_CYCLE_1)
	s_add_u32 s6, s26, s6
	s_addc_u32 s7, s25, s7
	s_or_b32 s8, s12, 64
	v_add_co_u32 v1, s13, s13, v1
	s_ashr_i32 s9, s8, 4
	s_cmp_lt_i32 s8, s24
	v_add_co_ci_u32_e64 v2, null, s15, 0, s13
	s_cselect_b32 s8, s9, s3
	s_delay_alu instid0(SALU_CYCLE_1) | instskip(NEXT) | instid1(SALU_CYCLE_1)
	s_ashr_i32 s9, s8, 31
	s_lshl_b64 s[8:9], s[8:9], 2
	s_delay_alu instid0(SALU_CYCLE_1) | instskip(SKIP_2) | instid1(SALU_CYCLE_1)
	s_add_u32 s8, s26, s8
	s_addc_u32 s9, s25, s9
	s_or_b32 s10, s12, 0x60
	s_ashr_i32 s11, s10, 4
	s_cmp_lt_i32 s10, s24
	s_cselect_b32 s10, s11, s3
	s_delay_alu instid0(SALU_CYCLE_1) | instskip(NEXT) | instid1(SALU_CYCLE_1)
	s_ashr_i32 s11, s10, 31
	s_lshl_b64 s[10:11], s[10:11], 2
	s_delay_alu instid0(SALU_CYCLE_1) | instskip(SKIP_2) | instid1(SALU_CYCLE_1)
	s_add_u32 s10, s26, s10
	s_addc_u32 s11, s25, s11
	s_or_b32 s16, s12, 0x80
	s_ashr_i32 s18, s16, 4
	s_cmp_lt_i32 s16, s24
	;; [unrolled: 10-line block ×3, first 2 shown]
	s_cselect_b32 s20, s18, s3
	s_delay_alu instid0(SALU_CYCLE_1) | instskip(NEXT) | instid1(SALU_CYCLE_1)
	s_ashr_i32 s21, s20, 31
	s_lshl_b64 s[20:21], s[20:21], 2
	s_delay_alu instid0(SALU_CYCLE_1)
	s_add_u32 s36, s26, s20
	s_addc_u32 s37, s25, s21
	s_clause 0x5
	s_load_b32 s21, s[4:5], 0x0
	s_load_b32 s13, s[6:7], 0x0
	;; [unrolled: 1-line block ×6, first 2 shown]
	s_or_b32 s9, s12, 0xc0
	s_mov_b32 s4, 0
	s_ashr_i32 s10, s9, 4
	s_cmp_lt_i32 s9, s24
	s_mov_b32 s11, s4
	s_cselect_b32 s34, s10, s3
	s_mov_b32 s5, s4
	s_ashr_i32 s35, s34, 31
	s_mov_b32 s6, s4
	s_lshl_b64 s[34:35], s[34:35], 2
	s_mov_b32 s7, s4
	s_add_u32 s34, s26, s34
	s_addc_u32 s35, s25, s35
	s_or_b32 s29, s12, 0xe0
	s_mov_b32 s8, s4
	s_ashr_i32 s33, s29, 4
	s_mov_b32 s9, s4
	s_mov_b32 s10, s4
	s_cmp_lt_i32 s29, s24
	v_dual_mov_b32 v107, s11 :: v_dual_mov_b32 v100, s4
	v_mov_b32_e32 v106, s10
	v_dual_mov_b32 v104, s8 :: v_dual_mov_b32 v103, s7
	v_dual_mov_b32 v102, s6 :: v_dual_mov_b32 v101, s5
	s_waitcnt vmcnt(1)
	v_mad_i64_i32 v[3:4], null, v5, s17, v[1:2]
	s_waitcnt vmcnt(0)
	v_mad_i64_i32 v[5:6], null, v7, s17, v[1:2]
	v_mul_lo_u16 v1, v65, 43
	v_lshlrev_b32_e32 v2, 4, v65
	s_clause 0x7
	global_load_b128 v[49:52], v[3:4], off
	global_load_b128 v[53:56], v[3:4], off offset:256
	global_load_b128 v[76:79], v[5:6], off
	global_load_b128 v[80:83], v[5:6], off offset:256
	global_load_b128 v[84:87], v[3:4], off offset:512
	;; [unrolled: 1-line block ×5, first 2 shown]
	v_lshrrev_b16 v1, 8, v1
	v_lshl_or_b32 v2, v66, 8, v2
	s_delay_alu instid0(VALU_DEP_2) | instskip(NEXT) | instid1(VALU_DEP_1)
	v_mul_lo_u16 v1, v1, 6
	v_sub_nc_u16 v1, v65, v1
	s_delay_alu instid0(VALU_DEP_1)
	v_and_b32_e32 v1, 0xff, v1
	v_mov_b32_e32 v105, s9
	s_cselect_b32 s4, s33, s3
	s_load_b32 s3, s[34:35], 0x0
	s_ashr_i32 s5, s4, 31
	v_lshlrev_b32_e32 v70, 6, v1
	s_lshl_b64 s[4:5], s[4:5], 2
	ds_load_b128 v[108:111], v70
	ds_load_b128 v[112:115], v70 offset:1024
	s_add_u32 s4, s26, s4
	s_addc_u32 s5, s25, s5
	s_add_u32 s6, s22, s27
	s_load_b32 s4, s[4:5], 0x0
	s_addc_u32 s7, s23, s28
	v_add_co_u32 v9, s6, s6, v2
	s_delay_alu instid0(VALU_DEP_1) | instskip(SKIP_1) | instid1(VALU_DEP_1)
	v_add_co_ci_u32_e64 v10, null, s7, 0, s6
	s_waitcnt lgkmcnt(0)
	v_mad_i64_i32 v[1:2], null, s21, s17, v[9:10]
	v_mad_i64_i32 v[3:4], null, s13, s17, v[9:10]
	;; [unrolled: 1-line block ×7, first 2 shown]
	s_clause 0x9
	global_load_b128 v[57:60], v[1:2], off
	global_load_b128 v[61:64], v[1:2], off offset:16
	global_load_b128 v[41:44], v[3:4], off
	global_load_b128 v[45:48], v[3:4], off offset:16
	;; [unrolled: 2-line block ×5, first 2 shown]
	v_mad_i64_i32 v[68:69], null, s4, s17, v[9:10]
	s_clause 0x3
	global_load_b128 v[9:12], v[13:14], off
	global_load_b128 v[13:16], v[13:14], off offset:16
	global_load_b128 v[17:20], v[21:22], off
	global_load_b128 v[21:24], v[21:22], off offset:16
	s_waitcnt vmcnt(20)
	v_wmma_f32_16x16x16_bf16 v[116:123], v[49:56], v[108:115], v[100:107]
	s_clause 0x1
	global_load_b128 v[49:52], v[68:69], off
	global_load_b128 v[53:56], v[68:69], off offset:16
	v_and_b32_e32 v68, 0xe0, v0
	v_mbcnt_lo_u32_b32 v69, -1, 0
	s_delay_alu instid0(VALU_DEP_2)
	v_add_nc_u32_e32 v68, s12, v68
	s_waitcnt vmcnt(20)
	v_wmma_f32_16x16x16_bf16 v[100:107], v[76:83], v[108:115], v[100:107]
	ds_load_b128 v[76:79], v70 offset:2048
	ds_load_b128 v[80:83], v70 offset:3072
	v_xor_b32_e32 v70, 16, v69
	s_waitcnt vmcnt(0) lgkmcnt(0)
	v_or_b32_e32 v68, v68, v74
	s_barrier
	buffer_gl0_inv
	v_cmp_gt_i32_e32 vcc_lo, 32, v70
	v_or_b32_e32 v71, 4, v68
	v_or_b32_e32 v72, 6, v68
	v_cmp_gt_i32_e64 s3, s24, v68
	v_or_b32_e32 v108, 8, v68
	v_or_b32_e32 v109, 10, v68
	v_cmp_gt_i32_e64 s4, s24, v71
	v_cmp_gt_i32_e64 s5, s24, v72
	s_delay_alu instid0(VALU_DEP_4) | instskip(NEXT) | instid1(VALU_DEP_4)
	v_cmp_gt_i32_e64 s6, s24, v108
	v_cmp_gt_i32_e64 s7, s24, v109
	v_wmma_f32_16x16x16_bf16 v[116:123], v[84:91], v[76:83], v[116:123]
	v_cndmask_b32_e32 v69, v69, v70, vcc_lo
	v_or_b32_e32 v70, 2, v68
	v_wmma_f32_16x16x16_bf16 v[100:107], v[92:99], v[76:83], v[100:107]
	v_or_b32_e32 v89, 22, v68
	v_dual_mul_f32 v80, s19, v121 :: v_dual_mul_f32 v81, s19, v120
	v_dual_mul_f32 v92, s19, v117 :: v_dual_mul_f32 v93, s19, v116
	s_delay_alu instid0(VALU_DEP_4)
	v_mul_f32_e32 v96, s19, v105
	v_cmp_gt_i32_e32 vcc_lo, s24, v70
	v_dual_mul_f32 v79, s19, v122 :: v_dual_mul_f32 v82, s19, v119
	v_dual_mul_f32 v83, s19, v118 :: v_dual_mul_f32 v94, s19, v107
	v_cndmask_b32_e64 v93, 0xff7fffff, v93, s3
	v_cndmask_b32_e32 v92, 0xff7fffff, v92, vcc_lo
	v_or_b32_e32 v84, 12, v68
	v_or_b32_e32 v85, 14, v68
	v_cndmask_b32_e64 v71, 0xff7fffff, v83, s4
	v_cndmask_b32_e64 v72, 0xff7fffff, v82, s5
	v_cmp_gt_i32_e64 s13, s24, v89
	v_lshlrev_b32_e32 v89, 2, v69
	v_max3_f32 v82, v93, 0xff7fffff, v92
	v_or_b32_e32 v86, 16, v68
	v_or_b32_e32 v87, 18, v68
	v_mul_f32_e32 v78, s19, v123
	v_cndmask_b32_e64 v81, 0xff7fffff, v81, s6
	v_cndmask_b32_e64 v80, 0xff7fffff, v80, s7
	v_max3_f32 v71, v82, v71, v72
	v_cmp_gt_i32_e64 s8, s24, v84
	v_cmp_gt_i32_e64 s9, s24, v85
	v_or_b32_e32 v88, 20, v68
	v_or_b32_e32 v90, 24, v68
	v_or_b32_e32 v91, 26, v68
	v_or_b32_e32 v76, 28, v68
	v_or_b32_e32 v77, 30, v68
	v_dual_mul_f32 v97, s19, v104 :: v_dual_mul_f32 v70, s19, v101
	v_dual_mul_f32 v99, s19, v102 :: v_dual_mul_f32 v68, s19, v100
	v_cndmask_b32_e64 v72, 0xff7fffff, v79, s8
	v_cndmask_b32_e64 v78, 0xff7fffff, v78, s9
	v_max3_f32 v71, v71, v81, v80
	v_cmp_gt_i32_e64 s10, s24, v86
	v_cmp_gt_i32_e64 s11, s24, v87
	v_dual_mul_f32 v95, s19, v106 :: v_dual_mul_f32 v98, s19, v103
	s_delay_alu instid0(VALU_DEP_4) | instskip(NEXT) | instid1(VALU_DEP_4)
	v_max3_f32 v71, v71, v72, v78
	v_cndmask_b32_e64 v68, 0xff7fffff, v68, s10
	s_delay_alu instid0(VALU_DEP_4)
	v_cndmask_b32_e64 v70, 0xff7fffff, v70, s11
	v_cmp_gt_i32_e64 s12, s24, v88
	v_cndmask_b32_e64 v78, 0xff7fffff, v98, s13
	v_cmp_gt_i32_e64 s15, s24, v90
	v_cmp_gt_i32_e64 s16, s24, v91
	v_max3_f32 v68, v71, v68, v70
	v_cndmask_b32_e64 v72, 0xff7fffff, v99, s12
	v_cmp_gt_i32_e64 s17, s24, v76
	v_cndmask_b32_e64 v70, 0xff7fffff, v97, s15
	v_cndmask_b32_e64 v71, 0xff7fffff, v96, s16
	v_cmp_gt_i32_e64 s18, s24, v77
	v_max3_f32 v68, v68, v72, v78
	v_cndmask_b32_e64 v72, 0xff7fffff, v95, s17
	s_delay_alu instid0(VALU_DEP_3) | instskip(NEXT) | instid1(VALU_DEP_3)
	v_cndmask_b32_e64 v76, 0xff7fffff, v94, s18
	v_max3_f32 v68, v68, v70, v71
	s_delay_alu instid0(VALU_DEP_1) | instskip(SKIP_3) | instid1(VALU_DEP_1)
	v_max3_f32 v68, v68, v72, v76
	ds_bpermute_b32 v69, v89, v68
	s_waitcnt lgkmcnt(0)
	v_max_f32_e32 v69, v69, v69
	v_max_f32_e32 v68, v68, v69
	s_delay_alu instid0(VALU_DEP_1) | instskip(NEXT) | instid1(VALU_DEP_1)
	v_fma_f32 v71, s19, v118, -v68
	v_mul_f32_e32 v71, 0x3fb8aa3b, v71
	v_fma_f32 v70, s19, v117, -v68
	v_fma_f32 v69, s19, v116, -v68
	;; [unrolled: 1-line block ×5, first 2 shown]
	s_delay_alu instid0(VALU_DEP_4) | instskip(SKIP_1) | instid1(VALU_DEP_3)
	v_dual_mul_f32 v70, 0x3fb8aa3b, v70 :: v_dual_mul_f32 v69, 0x3fb8aa3b, v69
	v_exp_f32_e32 v71, v71
	v_mul_f32_e32 v72, 0x3fb8aa3b, v72
	v_fma_f32 v81, s19, v105, -v68
	s_delay_alu instid0(VALU_DEP_3)
	v_exp_f32_e32 v70, v70
	v_mul_f32_e32 v77, 0x3fb8aa3b, v76
	v_exp_f32_e32 v69, v69
	v_exp_f32_e32 v72, v72
	v_mul_f32_e32 v81, 0x3fb8aa3b, v81
	v_cndmask_b32_e64 v83, 0, v71, s4
	v_fma_f32 v71, s19, v123, -v68
	s_delay_alu instid0(VALU_DEP_3) | instskip(SKIP_4) | instid1(TRANS32_DEP_3)
	v_exp_f32_e32 v81, v81
	v_cndmask_b32_e32 v76, 0, v70, vcc_lo
	v_exp_f32_e32 v77, v77
	v_cndmask_b32_e64 v80, 0, v69, s3
	v_fma_f32 v69, s19, v121, -v68
	v_cndmask_b32_e64 v85, 0, v72, s5
	v_mul_f32_e32 v71, 0x3fb8aa3b, v71
	v_fma_f32 v72, s19, v100, -v68
	s_delay_alu instid0(VALU_DEP_4) | instskip(SKIP_1) | instid1(VALU_DEP_3)
	v_dual_add_f32 v70, 0, v80 :: v_dual_mul_f32 v69, 0x3fb8aa3b, v69
	s_mov_b32 s3, exec_lo
	v_exp_f32_e32 v71, v71
	s_delay_alu instid0(TRANS32_DEP_2) | instskip(SKIP_4) | instid1(VALU_DEP_3)
	v_cndmask_b32_e64 v86, 0, v77, s6
	v_fma_f32 v77, s19, v101, -v68
	v_mul_f32_e32 v78, 0x3fb8aa3b, v78
	v_add_f32_e32 v70, v70, v76
	v_exp_f32_e32 v69, v69
	v_mul_f32_e32 v77, 0x3fb8aa3b, v77
	s_delay_alu instid0(VALU_DEP_3) | instskip(NEXT) | instid1(TRANS32_DEP_3)
	v_exp_f32_e32 v78, v78
	v_cndmask_b32_e64 v88, 0, v71, s9
	v_fma_f32 v71, s19, v104, -v68
	s_delay_alu instid0(VALU_DEP_3) | instskip(NEXT) | instid1(TRANS32_DEP_3)
	v_exp_f32_e32 v77, v77
	v_cndmask_b32_e64 v87, 0, v69, s7
	s_delay_alu instid0(VALU_DEP_2)
	v_mul_f32_e32 v71, 0x3fb8aa3b, v71
	s_waitcnt_depctr 0xfff
	v_cndmask_b32_e64 v84, 0, v78, s8
	v_add_f32_e32 v70, v70, v83
	v_fma_f32 v78, s19, v103, -v68
	v_exp_f32_e32 v82, v71
	s_delay_alu instid0(VALU_DEP_2) | instskip(SKIP_1) | instid1(VALU_DEP_3)
	v_add_f32_e32 v70, v70, v85
	v_mul_f32_e32 v72, 0x3fb8aa3b, v72
	v_mul_f32_e32 v78, 0x3fb8aa3b, v78
	s_delay_alu instid0(VALU_DEP_3) | instskip(SKIP_1) | instid1(VALU_DEP_4)
	v_add_f32_e32 v69, v70, v86
	v_fma_f32 v70, s19, v102, -v68
	v_exp_f32_e32 v72, v72
	s_delay_alu instid0(VALU_DEP_3) | instskip(NEXT) | instid1(VALU_DEP_1)
	v_exp_f32_e32 v78, v78
	v_dual_add_f32 v69, v69, v87 :: v_dual_mul_f32 v70, 0x3fb8aa3b, v70
	s_delay_alu instid0(VALU_DEP_1) | instskip(NEXT) | instid1(VALU_DEP_2)
	v_add_f32_e32 v69, v69, v84
	v_exp_f32_e32 v79, v70
	s_delay_alu instid0(TRANS32_DEP_3) | instskip(NEXT) | instid1(VALU_DEP_2)
	v_cndmask_b32_e64 v70, 0, v72, s10
	v_add_f32_e32 v72, v69, v88
	v_cndmask_b32_e64 v69, 0, v77, s11
	v_fma_f32 v77, s19, v106, -v68
	s_waitcnt_depctr 0xfff
	v_cndmask_b32_e64 v71, 0, v79, s12
	v_dual_mul_f32 v77, 0x3fb8aa3b, v77 :: v_dual_add_f32 v72, v72, v70
	s_delay_alu instid0(VALU_DEP_1) | instskip(NEXT) | instid1(VALU_DEP_1)
	v_exp_f32_e32 v90, v77
	v_add_f32_e32 v79, v72, v69
	v_cndmask_b32_e64 v72, 0, v78, s13
	v_cndmask_b32_e64 v77, 0, v82, s15
	s_delay_alu instid0(VALU_DEP_3) | instskip(SKIP_1) | instid1(VALU_DEP_1)
	v_add_f32_e32 v78, v79, v71
	v_fma_f32 v79, s19, v107, -v68
	v_dual_add_f32 v82, v78, v72 :: v_dual_mul_f32 v79, 0x3fb8aa3b, v79
	v_cndmask_b32_e64 v78, 0, v81, s16
	s_delay_alu instid0(VALU_DEP_2) | instskip(NEXT) | instid1(VALU_DEP_3)
	v_add_f32_e32 v81, v82, v77
	v_exp_f32_e32 v82, v79
	v_cndmask_b32_e64 v79, 0, v90, s17
	s_delay_alu instid0(VALU_DEP_2) | instskip(NEXT) | instid1(VALU_DEP_1)
	v_add_f32_e32 v81, v81, v78
	v_add_f32_e32 v90, v81, v79
	s_waitcnt_depctr 0xfff
	v_cndmask_b32_e64 v81, 0, v82, s18
	s_delay_alu instid0(VALU_DEP_1)
	v_add_f32_e32 v82, v90, v81
	ds_bpermute_b32 v89, v89, v82
	v_cmpx_gt_u32_e32 16, v67
	s_cbranch_execz .LBB1715_12
; %bb.11:
	v_mul_u32_u24_e32 v67, 0x44, v66
	s_delay_alu instid0(VALU_DEP_1) | instskip(SKIP_1) | instid1(VALU_DEP_1)
	v_lshl_add_u32 v67, v65, 2, v67
	s_waitcnt lgkmcnt(0)
	v_dual_add_f32 v82, v82, v89 :: v_dual_add_nc_u32 v67, 0x4000, v67
	ds_store_2addr_b32 v67, v68, v82 offset1:136
.LBB1715_12:
	s_or_b32 exec_lo, exec_lo, s3
	v_lshlrev_b32_e32 v67, 2, v65
	s_waitcnt lgkmcnt(0)
	s_barrier
	buffer_gl0_inv
	v_cmp_eq_u32_e32 vcc_lo, 1, v66
	v_add_nc_u32_e32 v82, 0x4000, v67
	v_cmp_eq_u32_e64 s3, 2, v66
	v_cmp_eq_u32_e64 s5, 7, v66
	ds_load_2addr_b32 v[89:90], v82 offset1:17
	ds_load_2addr_b32 v[91:92], v82 offset0:34 offset1:51
	ds_load_2addr_b32 v[93:94], v82 offset0:68 offset1:85
	;; [unrolled: 1-line block ×4, first 2 shown]
	s_waitcnt lgkmcnt(4)
	v_max3_f32 v67, v89, 0xff7fffff, v90
	s_waitcnt lgkmcnt(3)
	s_delay_alu instid0(VALU_DEP_1) | instskip(SKIP_1) | instid1(VALU_DEP_1)
	v_max3_f32 v67, v67, v91, v92
	s_waitcnt lgkmcnt(2)
	v_max3_f32 v67, v67, v93, v94
	s_waitcnt lgkmcnt(1)
	s_delay_alu instid0(VALU_DEP_1) | instskip(NEXT) | instid1(VALU_DEP_1)
	v_max3_f32 v67, v67, v95, v96
	v_sub_f32_e32 v93, v93, v67
	s_delay_alu instid0(VALU_DEP_1) | instskip(NEXT) | instid1(VALU_DEP_1)
	v_dual_sub_f32 v68, v89, v67 :: v_dual_mul_f32 v103, 0x3fb8aa3b, v93
	v_mul_f32_e32 v68, 0x3fb8aa3b, v68
	s_delay_alu instid0(VALU_DEP_1)
	v_exp_f32_e32 v100, v68
	v_sub_f32_e32 v68, v92, v67
	v_sub_f32_e32 v99, v90, v67
	ds_load_2addr_b32 v[89:90], v82 offset0:170 offset1:187
	v_dual_mul_f32 v102, 0x3fb8aa3b, v68 :: v_dual_mul_f32 v99, 0x3fb8aa3b, v99
	s_waitcnt lgkmcnt(1)
	v_fma_f32 v68, v100, v97, 0
	s_delay_alu instid0(VALU_DEP_2) | instskip(NEXT) | instid1(VALU_DEP_2)
	v_exp_f32_e32 v102, v102
	v_exp_f32_e32 v99, v99
	s_waitcnt_depctr 0xfff
	v_fmac_f32_e32 v68, v99, v98
	v_sub_f32_e32 v91, v91, v67
	s_delay_alu instid0(VALU_DEP_1)
	v_mul_f32_e32 v101, 0x3fb8aa3b, v91
	ds_load_2addr_b32 v[91:92], v82 offset0:204 offset1:221
	v_sub_f32_e32 v97, v94, v67
	ds_load_2addr_b32 v[93:94], v82 offset0:238 offset1:255
	s_waitcnt lgkmcnt(0)
	v_exp_f32_e32 v101, v101
	s_barrier
	buffer_gl0_inv
	v_dual_fmac_f32 v68, v101, v89 :: v_dual_sub_f32 v89, v96, v67
	v_dual_sub_f32 v82, v95, v67 :: v_dual_mul_f32 v95, 0x3fb8aa3b, v97
	v_exp_f32_e32 v97, v103
	s_delay_alu instid0(VALU_DEP_2) | instskip(NEXT) | instid1(VALU_DEP_2)
	v_dual_fmac_f32 v68, v102, v90 :: v_dual_mul_f32 v89, 0x3fb8aa3b, v89
	v_mul_f32_e32 v82, 0x3fb8aa3b, v82
	s_delay_alu instid0(VALU_DEP_3) | instskip(NEXT) | instid1(VALU_DEP_2)
	v_exp_f32_e32 v95, v95
	v_exp_f32_e32 v89, v89
	s_delay_alu instid0(VALU_DEP_1)
	v_exp_f32_e32 v82, v82
	v_fmac_f32_e32 v68, v97, v91
	s_delay_alu instid0(TRANS32_DEP_3) | instid1(VALU_DEP_1)
	v_fmac_f32_e32 v68, v95, v92
	s_waitcnt_depctr 0xfff
	v_fmac_f32_e32 v68, v82, v93
	s_delay_alu instid0(VALU_DEP_1) | instskip(NEXT) | instid1(VALU_DEP_1)
	v_fmac_f32_e32 v68, v89, v94
	v_add_f32_e32 v90, 0x358637bd, v68
	s_delay_alu instid0(VALU_DEP_1) | instskip(NEXT) | instid1(VALU_DEP_1)
	v_div_scale_f32 v91, null, v90, v90, 1.0
	v_rcp_f32_e32 v92, v91
	s_waitcnt_depctr 0xfff
	v_fma_f32 v93, -v91, v92, 1.0
	s_delay_alu instid0(VALU_DEP_1) | instskip(SKIP_1) | instid1(VALU_DEP_2)
	v_dual_fmac_f32 v92, v93, v92 :: v_dual_cndmask_b32 v93, v100, v99
	v_cmp_eq_u32_e32 vcc_lo, 3, v66
	v_cndmask_b32_e64 v93, v93, v101, s3
	v_cmp_eq_u32_e64 s3, 4, v66
	s_delay_alu instid0(VALU_DEP_2) | instskip(SKIP_1) | instid1(VALU_DEP_2)
	v_cndmask_b32_e32 v93, v93, v102, vcc_lo
	v_cmp_eq_u32_e32 vcc_lo, 5, v66
	v_cndmask_b32_e64 v93, v93, v97, s3
	v_cmp_eq_u32_e64 s3, 6, v66
	s_delay_alu instid0(VALU_DEP_2) | instskip(SKIP_1) | instid1(VALU_DEP_1)
	v_cndmask_b32_e32 v93, v93, v95, vcc_lo
	v_div_scale_f32 v94, s4, 1.0, v90, 1.0
	s_mov_b32 vcc_lo, s4
	s_delay_alu instid0(VALU_DEP_2) | instskip(NEXT) | instid1(VALU_DEP_2)
	v_cndmask_b32_e64 v82, v93, v82, s3
	v_mul_f32_e32 v96, v94, v92
	s_mov_b32 s3, exec_lo
	s_delay_alu instid0(VALU_DEP_2) | instskip(NEXT) | instid1(VALU_DEP_2)
	v_cndmask_b32_e64 v82, v82, v89, s5
	v_fma_f32 v98, -v91, v96, v94
	s_delay_alu instid0(VALU_DEP_1) | instskip(NEXT) | instid1(VALU_DEP_1)
	v_fmac_f32_e32 v96, v98, v92
	v_fma_f32 v91, -v91, v96, v94
	s_delay_alu instid0(VALU_DEP_1) | instskip(NEXT) | instid1(VALU_DEP_1)
	v_div_fmas_f32 v91, v91, v92, v96
	v_div_fixup_f32 v90, v91, v90, 1.0
	s_delay_alu instid0(VALU_DEP_1) | instskip(NEXT) | instid1(VALU_DEP_1)
	v_mul_f32_e32 v82, v82, v90
	v_mul_f32_e32 v87, v82, v87
	;; [unrolled: 1-line block ×7, first 2 shown]
	v_dual_mul_f32 v86, v82, v83 :: v_dual_and_b32 v91, 0x7f800000, v90
	v_mul_f32_e32 v85, v82, v76
                                        ; implicit-def: $vgpr76
	s_delay_alu instid0(VALU_DEP_2)
	v_cmpx_ne_u32_e32 0x7f800000, v91
	s_xor_b32 s3, exec_lo, s3
; %bb.13:
	v_bfe_u32 v76, v90, 16, 1
	s_delay_alu instid0(VALU_DEP_1)
	v_add3_u32 v76, v90, v76, 0x7fff
                                        ; implicit-def: $vgpr90
; %bb.14:
	s_and_not1_saveexec_b32 s3, s3
; %bb.15:
	v_and_b32_e32 v76, 0xffff, v90
	v_or_b32_e32 v83, 0x10000, v90
	s_delay_alu instid0(VALU_DEP_2) | instskip(NEXT) | instid1(VALU_DEP_2)
	v_cmp_eq_u32_e32 vcc_lo, 0, v76
	v_cndmask_b32_e32 v76, v83, v90, vcc_lo
; %bb.16:
	s_or_b32 exec_lo, exec_lo, s3
	v_and_b32_e32 v83, 0x7f800000, v85
	s_delay_alu instid0(VALU_DEP_1) | instskip(SKIP_1) | instid1(SALU_CYCLE_1)
	v_cmp_ne_u32_e32 vcc_lo, 0x7f800000, v83
                                        ; implicit-def: $vgpr83
	s_and_saveexec_b32 s3, vcc_lo
	s_xor_b32 s3, exec_lo, s3
; %bb.17:
	v_bfe_u32 v83, v85, 16, 1
	s_delay_alu instid0(VALU_DEP_1)
	v_add3_u32 v83, v85, v83, 0x7fff
                                        ; implicit-def: $vgpr85
; %bb.18:
	s_and_not1_saveexec_b32 s3, s3
; %bb.19:
	v_and_b32_e32 v83, 0xffff, v85
	v_or_b32_e32 v90, 0x10000, v85
	s_delay_alu instid0(VALU_DEP_2) | instskip(NEXT) | instid1(VALU_DEP_2)
	v_cmp_eq_u32_e32 vcc_lo, 0, v83
	v_cndmask_b32_e32 v83, v90, v85, vcc_lo
; %bb.20:
	s_or_b32 exec_lo, exec_lo, s3
	v_and_b32_e32 v85, 0x7f800000, v86
	s_delay_alu instid0(VALU_DEP_1) | instskip(SKIP_1) | instid1(SALU_CYCLE_1)
	v_cmp_ne_u32_e32 vcc_lo, 0x7f800000, v85
                                        ; implicit-def: $vgpr85
	s_and_saveexec_b32 s3, vcc_lo
	s_xor_b32 s3, exec_lo, s3
; %bb.21:
	v_bfe_u32 v85, v86, 16, 1
	s_delay_alu instid0(VALU_DEP_1)
	v_add3_u32 v85, v86, v85, 0x7fff
                                        ; implicit-def: $vgpr86
; %bb.22:
	s_and_not1_saveexec_b32 s3, s3
; %bb.23:
	v_and_b32_e32 v85, 0xffff, v86
	v_or_b32_e32 v90, 0x10000, v86
	s_delay_alu instid0(VALU_DEP_2) | instskip(NEXT) | instid1(VALU_DEP_2)
	v_cmp_eq_u32_e32 vcc_lo, 0, v85
	v_cndmask_b32_e32 v85, v90, v86, vcc_lo
; %bb.24:
	s_or_b32 exec_lo, exec_lo, s3
	v_and_b32_e32 v86, 0x7f800000, v89
	s_delay_alu instid0(VALU_DEP_1) | instskip(SKIP_1) | instid1(SALU_CYCLE_1)
	v_cmp_ne_u32_e32 vcc_lo, 0x7f800000, v86
                                        ; implicit-def: $vgpr86
	s_and_saveexec_b32 s3, vcc_lo
	s_xor_b32 s3, exec_lo, s3
; %bb.25:
	v_bfe_u32 v86, v89, 16, 1
	s_delay_alu instid0(VALU_DEP_1)
	v_add3_u32 v86, v89, v86, 0x7fff
                                        ; implicit-def: $vgpr89
; %bb.26:
	s_and_not1_saveexec_b32 s3, s3
; %bb.27:
	v_and_b32_e32 v86, 0xffff, v89
	v_or_b32_e32 v90, 0x10000, v89
	s_delay_alu instid0(VALU_DEP_2) | instskip(NEXT) | instid1(VALU_DEP_2)
	v_cmp_eq_u32_e32 vcc_lo, 0, v86
	v_cndmask_b32_e32 v86, v90, v89, vcc_lo
; %bb.28:
	s_or_b32 exec_lo, exec_lo, s3
	v_and_b32_e32 v89, 0x7f800000, v88
	s_delay_alu instid0(VALU_DEP_1) | instskip(SKIP_1) | instid1(SALU_CYCLE_1)
	v_cmp_ne_u32_e32 vcc_lo, 0x7f800000, v89
                                        ; implicit-def: $vgpr89
	s_and_saveexec_b32 s3, vcc_lo
	s_xor_b32 s3, exec_lo, s3
; %bb.29:
	v_bfe_u32 v89, v88, 16, 1
	s_delay_alu instid0(VALU_DEP_1)
	v_add3_u32 v89, v88, v89, 0x7fff
                                        ; implicit-def: $vgpr88
; %bb.30:
	s_and_not1_saveexec_b32 s3, s3
; %bb.31:
	v_and_b32_e32 v89, 0xffff, v88
	v_or_b32_e32 v90, 0x10000, v88
	s_delay_alu instid0(VALU_DEP_2) | instskip(NEXT) | instid1(VALU_DEP_2)
	v_cmp_eq_u32_e32 vcc_lo, 0, v89
	v_cndmask_b32_e32 v89, v90, v88, vcc_lo
; %bb.32:
	s_or_b32 exec_lo, exec_lo, s3
	v_and_b32_e32 v88, 0x7f800000, v87
	s_delay_alu instid0(VALU_DEP_1) | instskip(SKIP_1) | instid1(SALU_CYCLE_1)
	v_cmp_ne_u32_e32 vcc_lo, 0x7f800000, v88
                                        ; implicit-def: $vgpr88
	s_and_saveexec_b32 s3, vcc_lo
	s_xor_b32 s3, exec_lo, s3
; %bb.33:
	v_bfe_u32 v88, v87, 16, 1
	s_delay_alu instid0(VALU_DEP_1)
	v_add3_u32 v88, v87, v88, 0x7fff
                                        ; implicit-def: $vgpr87
; %bb.34:
	s_and_not1_saveexec_b32 s3, s3
; %bb.35:
	v_and_b32_e32 v88, 0xffff, v87
	v_or_b32_e32 v90, 0x10000, v87
	s_delay_alu instid0(VALU_DEP_2) | instskip(NEXT) | instid1(VALU_DEP_2)
	v_cmp_eq_u32_e32 vcc_lo, 0, v88
	v_cndmask_b32_e32 v88, v90, v87, vcc_lo
; %bb.36:
	s_or_b32 exec_lo, exec_lo, s3
	v_and_b32_e32 v87, 0x7f800000, v84
	s_delay_alu instid0(VALU_DEP_1) | instskip(SKIP_1) | instid1(SALU_CYCLE_1)
	v_cmp_ne_u32_e32 vcc_lo, 0x7f800000, v87
                                        ; implicit-def: $vgpr87
	s_and_saveexec_b32 s3, vcc_lo
	s_xor_b32 s3, exec_lo, s3
; %bb.37:
	v_bfe_u32 v87, v84, 16, 1
	s_delay_alu instid0(VALU_DEP_1)
	v_add3_u32 v87, v84, v87, 0x7fff
                                        ; implicit-def: $vgpr84
; %bb.38:
	s_and_not1_saveexec_b32 s3, s3
; %bb.39:
	v_and_b32_e32 v87, 0xffff, v84
	v_or_b32_e32 v90, 0x10000, v84
	s_delay_alu instid0(VALU_DEP_2) | instskip(NEXT) | instid1(VALU_DEP_2)
	v_cmp_eq_u32_e32 vcc_lo, 0, v87
	v_cndmask_b32_e32 v87, v90, v84, vcc_lo
; %bb.40:
	s_or_b32 exec_lo, exec_lo, s3
	v_and_b32_e32 v84, 0x7f800000, v80
	s_delay_alu instid0(VALU_DEP_1) | instskip(SKIP_1) | instid1(SALU_CYCLE_1)
	v_cmp_ne_u32_e32 vcc_lo, 0x7f800000, v84
                                        ; implicit-def: $vgpr84
	s_and_saveexec_b32 s3, vcc_lo
	s_xor_b32 s3, exec_lo, s3
; %bb.41:
	v_bfe_u32 v84, v80, 16, 1
	s_delay_alu instid0(VALU_DEP_1)
	v_add3_u32 v84, v80, v84, 0x7fff
                                        ; implicit-def: $vgpr80
; %bb.42:
	s_and_not1_saveexec_b32 s3, s3
; %bb.43:
	v_and_b32_e32 v84, 0xffff, v80
	v_or_b32_e32 v90, 0x10000, v80
	s_delay_alu instid0(VALU_DEP_2) | instskip(NEXT) | instid1(VALU_DEP_2)
	v_cmp_eq_u32_e32 vcc_lo, 0, v84
	v_cndmask_b32_e32 v84, v90, v80, vcc_lo
; %bb.44:
	s_or_b32 exec_lo, exec_lo, s3
	s_load_b64 s[34:35], s[0:1], 0x94
	v_lshlrev_b32_e32 v91, 4, v74
	s_delay_alu instid0(VALU_DEP_2)
	v_perm_b32 v90, v84, v87, 0x7060302
	v_dual_mul_f32 v79, v82, v79 :: v_dual_lshlrev_b32 v80, 6, v65
	v_dual_mul_f32 v77, v82, v77 :: v_dual_lshlrev_b32 v92, 11, v66
	v_mul_f32_e32 v84, v82, v70
	v_perm_b32 v89, v88, v89, 0x7060302
	v_perm_b32 v88, v86, v85, 0x7060302
	;; [unrolled: 1-line block ×3, first 2 shown]
	v_mul_f32_e32 v70, v82, v81
	v_or3_b32 v76, v91, v92, v80
	v_dual_mul_f32 v78, v82, v78 :: v_dual_and_b32 v85, 0x7f800000, v84
	v_mul_f32_e32 v83, v82, v72
	v_mul_f32_e32 v81, v82, v71
	;; [unrolled: 1-line block ×3, first 2 shown]
	s_mov_b32 s3, exec_lo
	ds_store_b128 v76, v[87:90]
                                        ; implicit-def: $vgpr69
	v_cmpx_ne_u32_e32 0x7f800000, v85
	s_xor_b32 s3, exec_lo, s3
; %bb.45:
	v_bfe_u32 v69, v84, 16, 1
	s_delay_alu instid0(VALU_DEP_1)
	v_add3_u32 v69, v84, v69, 0x7fff
                                        ; implicit-def: $vgpr84
; %bb.46:
	s_and_not1_saveexec_b32 s3, s3
; %bb.47:
	v_and_b32_e32 v69, 0xffff, v84
	v_or_b32_e32 v71, 0x10000, v84
	s_delay_alu instid0(VALU_DEP_2) | instskip(NEXT) | instid1(VALU_DEP_2)
	v_cmp_eq_u32_e32 vcc_lo, 0, v69
	v_cndmask_b32_e32 v69, v71, v84, vcc_lo
; %bb.48:
	s_or_b32 exec_lo, exec_lo, s3
	v_and_b32_e32 v71, 0x7f800000, v72
	s_delay_alu instid0(VALU_DEP_1) | instskip(SKIP_1) | instid1(SALU_CYCLE_1)
	v_cmp_ne_u32_e32 vcc_lo, 0x7f800000, v71
                                        ; implicit-def: $vgpr71
	s_and_saveexec_b32 s3, vcc_lo
	s_xor_b32 s3, exec_lo, s3
; %bb.49:
	v_bfe_u32 v71, v72, 16, 1
	s_delay_alu instid0(VALU_DEP_1)
	v_add3_u32 v71, v72, v71, 0x7fff
                                        ; implicit-def: $vgpr72
; %bb.50:
	s_and_not1_saveexec_b32 s3, s3
; %bb.51:
	v_and_b32_e32 v71, 0xffff, v72
	v_or_b32_e32 v82, 0x10000, v72
	s_delay_alu instid0(VALU_DEP_2) | instskip(NEXT) | instid1(VALU_DEP_2)
	v_cmp_eq_u32_e32 vcc_lo, 0, v71
	v_cndmask_b32_e32 v71, v82, v72, vcc_lo
; %bb.52:
	s_or_b32 exec_lo, exec_lo, s3
	v_and_b32_e32 v72, 0x7f800000, v81
	s_delay_alu instid0(VALU_DEP_1) | instskip(SKIP_1) | instid1(SALU_CYCLE_1)
	v_cmp_ne_u32_e32 vcc_lo, 0x7f800000, v72
                                        ; implicit-def: $vgpr72
	s_and_saveexec_b32 s3, vcc_lo
	s_xor_b32 s3, exec_lo, s3
; %bb.53:
	v_bfe_u32 v72, v81, 16, 1
	s_delay_alu instid0(VALU_DEP_1)
	v_add3_u32 v72, v81, v72, 0x7fff
                                        ; implicit-def: $vgpr81
; %bb.54:
	s_and_not1_saveexec_b32 s3, s3
; %bb.55:
	v_and_b32_e32 v72, 0xffff, v81
	v_or_b32_e32 v82, 0x10000, v81
	s_delay_alu instid0(VALU_DEP_2) | instskip(NEXT) | instid1(VALU_DEP_2)
	v_cmp_eq_u32_e32 vcc_lo, 0, v72
	v_cndmask_b32_e32 v72, v82, v81, vcc_lo
; %bb.56:
	s_or_b32 exec_lo, exec_lo, s3
	v_and_b32_e32 v81, 0x7f800000, v83
	s_delay_alu instid0(VALU_DEP_1) | instskip(SKIP_1) | instid1(SALU_CYCLE_1)
	v_cmp_ne_u32_e32 vcc_lo, 0x7f800000, v81
                                        ; implicit-def: $vgpr81
	s_and_saveexec_b32 s3, vcc_lo
	s_xor_b32 s3, exec_lo, s3
; %bb.57:
	v_bfe_u32 v81, v83, 16, 1
	s_delay_alu instid0(VALU_DEP_1)
	v_add3_u32 v81, v83, v81, 0x7fff
                                        ; implicit-def: $vgpr83
; %bb.58:
	s_and_not1_saveexec_b32 s3, s3
; %bb.59:
	v_and_b32_e32 v81, 0xffff, v83
	v_or_b32_e32 v82, 0x10000, v83
	s_delay_alu instid0(VALU_DEP_2) | instskip(NEXT) | instid1(VALU_DEP_2)
	v_cmp_eq_u32_e32 vcc_lo, 0, v81
	v_cndmask_b32_e32 v81, v82, v83, vcc_lo
; %bb.60:
	s_or_b32 exec_lo, exec_lo, s3
	v_and_b32_e32 v82, 0x7f800000, v77
	s_delay_alu instid0(VALU_DEP_1) | instskip(SKIP_1) | instid1(SALU_CYCLE_1)
	v_cmp_ne_u32_e32 vcc_lo, 0x7f800000, v82
                                        ; implicit-def: $vgpr82
	s_and_saveexec_b32 s3, vcc_lo
	s_xor_b32 s3, exec_lo, s3
; %bb.61:
	v_bfe_u32 v82, v77, 16, 1
	s_delay_alu instid0(VALU_DEP_1)
	v_add3_u32 v82, v77, v82, 0x7fff
                                        ; implicit-def: $vgpr77
; %bb.62:
	s_and_not1_saveexec_b32 s3, s3
; %bb.63:
	v_and_b32_e32 v82, 0xffff, v77
	v_or_b32_e32 v83, 0x10000, v77
	s_delay_alu instid0(VALU_DEP_2) | instskip(NEXT) | instid1(VALU_DEP_2)
	v_cmp_eq_u32_e32 vcc_lo, 0, v82
	v_cndmask_b32_e32 v82, v83, v77, vcc_lo
; %bb.64:
	s_or_b32 exec_lo, exec_lo, s3
	v_and_b32_e32 v77, 0x7f800000, v78
	s_delay_alu instid0(VALU_DEP_1) | instskip(SKIP_1) | instid1(SALU_CYCLE_1)
	v_cmp_ne_u32_e32 vcc_lo, 0x7f800000, v77
                                        ; implicit-def: $vgpr77
	s_and_saveexec_b32 s3, vcc_lo
	s_xor_b32 s3, exec_lo, s3
; %bb.65:
	v_bfe_u32 v77, v78, 16, 1
	s_delay_alu instid0(VALU_DEP_1)
	v_add3_u32 v77, v78, v77, 0x7fff
                                        ; implicit-def: $vgpr78
; %bb.66:
	s_and_not1_saveexec_b32 s3, s3
; %bb.67:
	v_and_b32_e32 v77, 0xffff, v78
	v_or_b32_e32 v83, 0x10000, v78
	s_delay_alu instid0(VALU_DEP_2) | instskip(NEXT) | instid1(VALU_DEP_2)
	v_cmp_eq_u32_e32 vcc_lo, 0, v77
	v_cndmask_b32_e32 v77, v83, v78, vcc_lo
; %bb.68:
	s_or_b32 exec_lo, exec_lo, s3
	v_and_b32_e32 v78, 0x7f800000, v79
	s_delay_alu instid0(VALU_DEP_1) | instskip(SKIP_1) | instid1(SALU_CYCLE_1)
	v_cmp_ne_u32_e32 vcc_lo, 0x7f800000, v78
                                        ; implicit-def: $vgpr78
	s_and_saveexec_b32 s3, vcc_lo
	s_xor_b32 s3, exec_lo, s3
; %bb.69:
	v_bfe_u32 v78, v79, 16, 1
	s_delay_alu instid0(VALU_DEP_1)
	v_add3_u32 v78, v79, v78, 0x7fff
                                        ; implicit-def: $vgpr79
; %bb.70:
	s_and_not1_saveexec_b32 s3, s3
; %bb.71:
	v_and_b32_e32 v78, 0xffff, v79
	v_or_b32_e32 v83, 0x10000, v79
	s_delay_alu instid0(VALU_DEP_2) | instskip(NEXT) | instid1(VALU_DEP_2)
	v_cmp_eq_u32_e32 vcc_lo, 0, v78
	v_cndmask_b32_e32 v78, v83, v79, vcc_lo
; %bb.72:
	s_or_b32 exec_lo, exec_lo, s3
	v_and_b32_e32 v79, 0x7f800000, v70
	s_delay_alu instid0(VALU_DEP_1) | instskip(SKIP_1) | instid1(SALU_CYCLE_1)
	v_cmp_ne_u32_e32 vcc_lo, 0x7f800000, v79
                                        ; implicit-def: $vgpr79
	s_and_saveexec_b32 s3, vcc_lo
	s_xor_b32 s3, exec_lo, s3
; %bb.73:
	v_bfe_u32 v79, v70, 16, 1
	s_delay_alu instid0(VALU_DEP_1)
	v_add3_u32 v79, v70, v79, 0x7fff
                                        ; implicit-def: $vgpr70
; %bb.74:
	s_and_not1_saveexec_b32 s3, s3
; %bb.75:
	v_and_b32_e32 v79, 0xffff, v70
	v_or_b32_e32 v83, 0x10000, v70
	s_delay_alu instid0(VALU_DEP_2) | instskip(NEXT) | instid1(VALU_DEP_2)
	v_cmp_eq_u32_e32 vcc_lo, 0, v79
	v_cndmask_b32_e32 v79, v83, v70, vcc_lo
; %bb.76:
	s_or_b32 exec_lo, exec_lo, s3
	s_delay_alu instid0(VALU_DEP_1)
	v_perm_b32 v86, v79, v78, 0x7060302
	v_perm_b32 v85, v77, v82, 0x7060302
	;; [unrolled: 1-line block ×4, first 2 shown]
	v_lshl_or_b32 v82, v66, 11, v80
	ds_store_b128 v76, v[83:86] offset:1024
	s_waitcnt lgkmcnt(0)
	s_barrier
	buffer_gl0_inv
	ds_load_b128 v[69:72], v82
	ds_load_b128 v[83:86], v82 offset:16
	s_waitcnt lgkmcnt(1)
	v_lshrrev_b32_e32 v66, 16, v69
	s_waitcnt lgkmcnt(0)
	v_lshrrev_b32_e32 v91, 16, v83
	v_lshlrev_b32_e32 v78, 2, v74
	v_lshrrev_b32_e32 v95, 16, v70
	v_lshrrev_b32_e32 v98, 16, v84
	;; [unrolled: 1-line block ×4, first 2 shown]
	v_cmp_eq_u32_e32 vcc_lo, 1, v78
	v_lshrrev_b32_e32 v97, 16, v72
	v_lshrrev_b32_e32 v100, 16, v86
	v_cndmask_b32_e32 v87, v83, v91, vcc_lo
	v_or_b32_e32 v79, 1, v78
	v_cndmask_b32_e32 v81, v69, v66, vcc_lo
	v_cmp_eq_u32_e64 s4, 2, v78
	v_cmp_eq_u32_e64 s7, 3, v78
	;; [unrolled: 1-line block ×5, first 2 shown]
	v_cndmask_b32_e64 v81, v81, v70, s4
	v_cndmask_b32_e64 v87, v87, v84, s4
	v_cmp_eq_u32_e64 s8, 3, v79
	v_cndmask_b32_e64 v88, v69, v66, s3
	v_or_b32_e32 v77, 2, v78
	v_cndmask_b32_e64 v81, v81, v95, s7
	v_cndmask_b32_e64 v87, v87, v98, s7
	;; [unrolled: 1-line block ×4, first 2 shown]
	v_cmp_eq_u32_e64 s10, 5, v78
	v_cndmask_b32_e64 v81, v81, v71, s9
	v_cndmask_b32_e64 v87, v87, v85, s9
	v_cmp_eq_u32_e64 s11, 4, v79
	v_cndmask_b32_e64 v88, v88, v95, s8
	v_cmp_eq_u32_e64 s5, 1, v77
	v_cndmask_b32_e64 v89, v89, v84, s6
	v_cndmask_b32_e64 v81, v81, v96, s10
	v_cmp_eq_u32_e64 s12, 6, v78
	v_cndmask_b32_e64 v88, v88, v71, s11
	;; [unrolled: 3-line block ×3, first 2 shown]
	v_cndmask_b32_e64 v89, v89, v98, s8
	v_cndmask_b32_e64 v81, v81, v72, s12
	v_cmp_eq_u32_e64 s15, 7, v78
	v_cndmask_b32_e64 v88, v88, v96, s13
	v_cndmask_b32_e64 v87, v87, v86, s12
	v_cmp_eq_u32_e64 s16, 6, v79
	v_cmp_eq_u32_e64 s17, 2, v77
	v_cndmask_b32_e64 v89, v89, v85, s11
	v_cndmask_b32_e64 v101, v81, v97, s15
	;; [unrolled: 1-line block ×6, first 2 shown]
	v_cmp_eq_u32_e64 s18, 7, v79
	v_cmp_eq_u32_e64 s19, 3, v77
	;; [unrolled: 1-line block ×4, first 2 shown]
	v_cndmask_b32_e64 v87, v87, v84, s17
	v_cndmask_b32_e64 v103, v88, v97, s18
	;; [unrolled: 1-line block ×4, first 2 shown]
	v_or_b32_e32 v81, 3, v78
	v_cndmask_b32_e64 v93, v87, v98, s19
	v_cmp_eq_u32_e64 s24, 6, v77
	v_cndmask_b32_e64 v104, v88, v86, s16
	v_cndmask_b32_e64 v92, v89, v71, s20
	v_cmp_eq_u32_e64 s21, 1, v81
	ds_load_b128 v[87:90], v82 offset:1024
	v_cmp_eq_u32_e64 s23, 2, v81
	v_cmp_eq_u32_e64 s25, 3, v81
	v_cndmask_b32_e64 v105, v92, v96, s22
	v_cndmask_b32_e64 v66, v69, v66, s21
	;; [unrolled: 1-line block ×4, first 2 shown]
	ds_load_b128 v[91:94], v82 offset:1040
	v_cmp_eq_u32_e64 s26, 4, v81
	v_cndmask_b32_e64 v66, v66, v70, s23
	v_cmp_eq_u32_e64 s27, 7, v77
	v_cndmask_b32_e64 v70, v83, v84, s23
	v_cndmask_b32_e64 v84, v105, v72, s24
	v_cmp_eq_u32_e64 s28, 5, v81
	v_cndmask_b32_e64 v66, v66, v95, s25
	v_cmp_eq_u32_e64 s29, 6, v81
	v_cndmask_b32_e64 v70, v70, v98, s25
	v_cndmask_b32_e64 v69, v69, v99, s22
	;; [unrolled: 1-line block ×4, first 2 shown]
	s_waitcnt lgkmcnt(1)
	v_lshrrev_b32_e32 v95, 16, v87
	v_cndmask_b32_e64 v70, v70, v85, s26
	v_cndmask_b32_e64 v71, v84, v97, s27
	;; [unrolled: 1-line block ×4, first 2 shown]
	v_cndmask_b32_e32 v84, v87, v95, vcc_lo
	v_cndmask_b32_e64 v70, v70, v99, s28
	s_waitcnt lgkmcnt(0)
	v_lshrrev_b32_e32 v85, 16, v91
	v_lshrrev_b32_e32 v96, 16, v88
	v_cndmask_b32_e64 v98, v87, v95, s3
	v_cndmask_b32_e64 v84, v84, v88, s4
	;; [unrolled: 1-line block ×3, first 2 shown]
	v_cndmask_b32_e32 v99, v91, v85, vcc_lo
	v_cmp_eq_u32_e32 vcc_lo, 7, v81
	v_cndmask_b32_e64 v66, v66, v72, s29
	v_cndmask_b32_e64 v72, v84, v96, s7
	;; [unrolled: 1-line block ×3, first 2 shown]
	v_lshrrev_b32_e32 v98, 16, v92
	v_cndmask_b32_e32 v70, v70, v100, vcc_lo
	v_cndmask_b32_e64 v86, v99, v92, s4
	v_cndmask_b32_e64 v69, v69, v100, s27
	v_lshrrev_b32_e32 v100, 16, v93
	v_cndmask_b32_e64 v72, v72, v89, s9
	v_lshrrev_b32_e32 v99, 16, v89
	v_cndmask_b32_e64 v86, v86, v98, s7
	v_perm_b32 v71, v69, v71, 0x5040100
	v_cndmask_b32_e64 v84, v84, v96, s8
	s_delay_alu instid0(VALU_DEP_3) | instskip(NEXT) | instid1(VALU_DEP_2)
	v_cndmask_b32_e64 v86, v86, v93, s9
	v_cndmask_b32_e64 v84, v84, v89, s11
	s_delay_alu instid0(VALU_DEP_2) | instskip(NEXT) | instid1(VALU_DEP_1)
	v_cndmask_b32_e64 v86, v86, v100, s10
	v_cndmask_b32_e64 v69, v86, v94, s12
	;; [unrolled: 1-line block ×5, first 2 shown]
	s_delay_alu instid0(VALU_DEP_3) | instskip(NEXT) | instid1(VALU_DEP_3)
	v_cndmask_b32_e64 v86, v86, v88, s17
	v_cndmask_b32_e64 v87, v87, v88, s23
	s_delay_alu instid0(VALU_DEP_3) | instskip(NEXT) | instid1(VALU_DEP_3)
	v_cndmask_b32_e64 v88, v95, v92, s23
	v_cndmask_b32_e64 v86, v86, v96, s19
	;; [unrolled: 3-line block ×7, first 2 shown]
	s_delay_alu instid0(VALU_DEP_3) | instskip(SKIP_2) | instid1(VALU_DEP_2)
	v_cndmask_b32_e64 v88, v88, v94, s29
	v_cndmask_b32_e32 v66, v66, v97, vcc_lo
	v_cndmask_b32_e64 v97, v72, v99, s10
	v_perm_b32 v72, v70, v66, 0x5040100
	v_perm_b32 v70, v83, v103, 0x5040100
	v_cndmask_b32_e64 v103, v91, v85, s5
	v_cndmask_b32_e64 v85, v91, v85, s3
	;; [unrolled: 1-line block ×4, first 2 shown]
	v_lshrrev_b32_e32 v97, 16, v90
	v_cndmask_b32_e64 v91, v103, v92, s17
	v_cndmask_b32_e64 v85, v85, v92, s6
	;; [unrolled: 1-line block ×3, first 2 shown]
	s_mov_b32 s3, exec_lo
	v_cndmask_b32_e64 v83, v84, v97, s15
	v_cndmask_b32_e64 v91, v91, v98, s19
	;; [unrolled: 1-line block ×3, first 2 shown]
	v_lshrrev_b32_e32 v84, 16, v94
	v_cndmask_b32_e64 v66, v66, v97, s18
	v_cndmask_b32_e64 v90, v86, v97, s27
	;; [unrolled: 1-line block ×4, first 2 shown]
	v_dual_cndmask_b32 v86, v87, v97 :: v_dual_cndmask_b32 v87, v88, v84
	v_cndmask_b32_e64 v91, v69, v84, s15
	s_delay_alu instid0(VALU_DEP_4) | instskip(NEXT) | instid1(VALU_DEP_4)
	v_cndmask_b32_e64 v89, v89, v100, s22
	v_cndmask_b32_e64 v85, v85, v100, s13
	v_perm_b32 v69, v102, v101, 0x5040100
	v_perm_b32 v86, v87, v86, 0x5040100
	;; [unrolled: 1-line block ×3, first 2 shown]
	v_cndmask_b32_e64 v89, v89, v94, s24
	v_cndmask_b32_e64 v85, v85, v94, s16
	s_mul_i32 s8, s35, 6
	s_delay_alu instid0(VALU_DEP_2) | instskip(NEXT) | instid1(VALU_DEP_2)
	v_cndmask_b32_e64 v88, v89, v84, s27
	v_cndmask_b32_e64 v89, v85, v84, s18
	s_delay_alu instid0(VALU_DEP_2) | instskip(NEXT) | instid1(VALU_DEP_2)
	v_perm_b32 v85, v88, v90, 0x5040100
	v_perm_b32 v84, v89, v66, 0x5040100
	ds_store_b128 v76, v[69:72]
	ds_store_b128 v76, v[83:86] offset:1024
	v_cmpx_gt_u32_e32 6, v0
	s_cbranch_execz .LBB1715_78
; %bb.77:
	s_mul_i32 s4, s8, s30
	s_delay_alu instid0(SALU_CYCLE_1) | instskip(SKIP_1) | instid1(VALU_DEP_1)
	v_add3_u32 v69, s4, s31, v65
	s_load_b128 s[4:7], s[0:1], 0x58
	v_mad_u64_u32 v[65:66], null, v69, s34, s[14:15]
	s_delay_alu instid0(VALU_DEP_1) | instskip(NEXT) | instid1(VALU_DEP_1)
	v_ashrrev_i32_e32 v66, 31, v65
	v_lshlrev_b64 v[65:66], 2, v[65:66]
	s_waitcnt lgkmcnt(0)
	s_delay_alu instid0(VALU_DEP_1) | instskip(NEXT) | instid1(VALU_DEP_2)
	v_add_co_u32 v69, vcc_lo, s6, v65
	v_add_co_ci_u32_e32 v70, vcc_lo, s7, v66, vcc_lo
	v_add_co_u32 v65, vcc_lo, s4, v65
	v_add_co_ci_u32_e32 v66, vcc_lo, s5, v66, vcc_lo
	global_store_b32 v[69:70], v67, off
	global_store_b32 v[65:66], v68, off
.LBB1715_78:
	s_or_b32 exec_lo, exec_lo, s3
	s_waitcnt lgkmcnt(0)
	s_waitcnt_vscnt null, 0x0
	s_barrier
	buffer_gl0_inv
	ds_load_b128 v[83:86], v80
	ds_load_b128 v[87:90], v80 offset:16
	ds_load_b128 v[95:98], v80 offset:2064
	;; [unrolled: 1-line block ×3, first 2 shown]
	v_mov_b32_e32 v65, 0
	ds_load_b128 v[103:106], v80 offset:4112
	ds_load_b128 v[99:102], v80 offset:4096
	;; [unrolled: 1-line block ×4, first 2 shown]
	v_mov_b32_e32 v66, v65
	v_mov_b32_e32 v67, v65
	;; [unrolled: 1-line block ×7, first 2 shown]
	s_waitcnt lgkmcnt(6)
	s_delay_alu instid0(VALU_DEP_1)
	v_wmma_f32_16x16x16_bf16 v[65:72], v[57:64], v[83:90], v[65:72]
	ds_load_b128 v[61:64], v80 offset:8208
	ds_load_b128 v[57:60], v80 offset:8192
	s_waitcnt lgkmcnt(6)
	v_wmma_f32_16x16x16_bf16 v[65:72], v[41:48], v[91:98], v[65:72]
	ds_load_b128 v[45:48], v80 offset:10256
	ds_load_b128 v[41:44], v80 offset:10240
	s_waitcnt lgkmcnt(6)
	v_wmma_f32_16x16x16_bf16 v[65:72], v[33:40], v[99:106], v[65:72]
	ds_load_b128 v[37:40], v80 offset:12304
	ds_load_b128 v[33:36], v80 offset:12288
	s_waitcnt lgkmcnt(6)
	v_wmma_f32_16x16x16_bf16 v[65:72], v[25:32], v[107:114], v[65:72]
	ds_load_b128 v[29:32], v80 offset:14352
	ds_load_b128 v[25:28], v80 offset:14336
	s_waitcnt lgkmcnt(6)
	v_wmma_f32_16x16x16_bf16 v[65:72], v[1:8], v[57:64], v[65:72]
	s_waitcnt lgkmcnt(4)
	s_delay_alu instid0(VALU_DEP_1) | instskip(SKIP_1) | instid1(VALU_DEP_1)
	v_wmma_f32_16x16x16_bf16 v[65:72], v[9:16], v[41:48], v[65:72]
	s_waitcnt lgkmcnt(2)
	v_wmma_f32_16x16x16_bf16 v[65:72], v[17:24], v[33:40], v[65:72]
	s_waitcnt lgkmcnt(0)
	s_delay_alu instid0(VALU_DEP_1) | instskip(NEXT) | instid1(VALU_DEP_1)
	v_wmma_f32_16x16x16_bf16 v[65:72], v[49:56], v[25:32], v[65:72]
	v_and_b32_e32 v1, 0x7f800000, v65
	s_delay_alu instid0(VALU_DEP_1) | instskip(SKIP_1) | instid1(SALU_CYCLE_1)
	v_cmp_ne_u32_e32 vcc_lo, 0x7f800000, v1
                                        ; implicit-def: $vgpr1
	s_and_saveexec_b32 s3, vcc_lo
	s_xor_b32 s3, exec_lo, s3
; %bb.79:
	v_bfe_u32 v1, v65, 16, 1
	s_delay_alu instid0(VALU_DEP_1)
	v_add3_u32 v1, v65, v1, 0x7fff
; %bb.80:
	s_and_not1_saveexec_b32 s3, s3
; %bb.81:
	v_and_b32_e32 v1, 0xffff, v65
	v_or_b32_e32 v2, 0x10000, v65
	s_delay_alu instid0(VALU_DEP_2) | instskip(NEXT) | instid1(VALU_DEP_2)
	v_cmp_eq_u32_e32 vcc_lo, 0, v1
	v_cndmask_b32_e32 v1, v2, v65, vcc_lo
; %bb.82:
	s_or_b32 exec_lo, exec_lo, s3
	v_and_b32_e32 v2, 0x7f800000, v66
	s_delay_alu instid0(VALU_DEP_1) | instskip(SKIP_1) | instid1(SALU_CYCLE_1)
	v_cmp_ne_u32_e32 vcc_lo, 0x7f800000, v2
                                        ; implicit-def: $vgpr2
	s_and_saveexec_b32 s3, vcc_lo
	s_xor_b32 s3, exec_lo, s3
; %bb.83:
	v_bfe_u32 v2, v66, 16, 1
	s_delay_alu instid0(VALU_DEP_1)
	v_add3_u32 v2, v66, v2, 0x7fff
; %bb.84:
	s_and_not1_saveexec_b32 s3, s3
; %bb.85:
	v_and_b32_e32 v2, 0xffff, v66
	v_or_b32_e32 v3, 0x10000, v66
	s_delay_alu instid0(VALU_DEP_2) | instskip(NEXT) | instid1(VALU_DEP_2)
	v_cmp_eq_u32_e32 vcc_lo, 0, v2
	v_cndmask_b32_e32 v2, v3, v66, vcc_lo
; %bb.86:
	s_or_b32 exec_lo, exec_lo, s3
	v_and_b32_e32 v3, 0x7f800000, v67
	s_delay_alu instid0(VALU_DEP_1) | instskip(SKIP_1) | instid1(SALU_CYCLE_1)
	v_cmp_ne_u32_e32 vcc_lo, 0x7f800000, v3
                                        ; implicit-def: $vgpr3
	s_and_saveexec_b32 s3, vcc_lo
	s_xor_b32 s3, exec_lo, s3
; %bb.87:
	v_bfe_u32 v3, v67, 16, 1
	s_delay_alu instid0(VALU_DEP_1)
	v_add3_u32 v3, v67, v3, 0x7fff
; %bb.88:
	s_and_not1_saveexec_b32 s3, s3
; %bb.89:
	v_and_b32_e32 v3, 0xffff, v67
	v_or_b32_e32 v4, 0x10000, v67
	s_delay_alu instid0(VALU_DEP_2) | instskip(NEXT) | instid1(VALU_DEP_2)
	v_cmp_eq_u32_e32 vcc_lo, 0, v3
	v_cndmask_b32_e32 v3, v4, v67, vcc_lo
; %bb.90:
	s_or_b32 exec_lo, exec_lo, s3
	v_and_b32_e32 v4, 0x7f800000, v68
	s_delay_alu instid0(VALU_DEP_1) | instskip(SKIP_1) | instid1(SALU_CYCLE_1)
	v_cmp_ne_u32_e32 vcc_lo, 0x7f800000, v4
                                        ; implicit-def: $vgpr4
	s_and_saveexec_b32 s3, vcc_lo
	s_xor_b32 s3, exec_lo, s3
; %bb.91:
	v_bfe_u32 v4, v68, 16, 1
	s_delay_alu instid0(VALU_DEP_1)
	v_add3_u32 v4, v68, v4, 0x7fff
; %bb.92:
	s_and_not1_saveexec_b32 s3, s3
; %bb.93:
	v_and_b32_e32 v4, 0xffff, v68
	v_or_b32_e32 v5, 0x10000, v68
	s_delay_alu instid0(VALU_DEP_2) | instskip(NEXT) | instid1(VALU_DEP_2)
	v_cmp_eq_u32_e32 vcc_lo, 0, v4
	v_cndmask_b32_e32 v4, v5, v68, vcc_lo
; %bb.94:
	s_or_b32 exec_lo, exec_lo, s3
	v_and_b32_e32 v5, 0x7f800000, v69
	s_delay_alu instid0(VALU_DEP_1) | instskip(SKIP_1) | instid1(SALU_CYCLE_1)
	v_cmp_ne_u32_e32 vcc_lo, 0x7f800000, v5
                                        ; implicit-def: $vgpr5
	s_and_saveexec_b32 s3, vcc_lo
	s_xor_b32 s3, exec_lo, s3
; %bb.95:
	v_bfe_u32 v5, v69, 16, 1
	s_delay_alu instid0(VALU_DEP_1)
	v_add3_u32 v5, v69, v5, 0x7fff
; %bb.96:
	s_and_not1_saveexec_b32 s3, s3
; %bb.97:
	v_and_b32_e32 v5, 0xffff, v69
	v_or_b32_e32 v6, 0x10000, v69
	s_delay_alu instid0(VALU_DEP_2) | instskip(NEXT) | instid1(VALU_DEP_2)
	v_cmp_eq_u32_e32 vcc_lo, 0, v5
	v_cndmask_b32_e32 v5, v6, v69, vcc_lo
; %bb.98:
	s_or_b32 exec_lo, exec_lo, s3
	v_and_b32_e32 v6, 0x7f800000, v70
	s_delay_alu instid0(VALU_DEP_1) | instskip(SKIP_1) | instid1(SALU_CYCLE_1)
	v_cmp_ne_u32_e32 vcc_lo, 0x7f800000, v6
                                        ; implicit-def: $vgpr6
	s_and_saveexec_b32 s3, vcc_lo
	s_xor_b32 s3, exec_lo, s3
; %bb.99:
	v_bfe_u32 v6, v70, 16, 1
	s_delay_alu instid0(VALU_DEP_1)
	v_add3_u32 v6, v70, v6, 0x7fff
; %bb.100:
	s_and_not1_saveexec_b32 s3, s3
; %bb.101:
	v_and_b32_e32 v6, 0xffff, v70
	v_or_b32_e32 v7, 0x10000, v70
	s_delay_alu instid0(VALU_DEP_2) | instskip(NEXT) | instid1(VALU_DEP_2)
	v_cmp_eq_u32_e32 vcc_lo, 0, v6
	v_cndmask_b32_e32 v6, v7, v70, vcc_lo
; %bb.102:
	s_or_b32 exec_lo, exec_lo, s3
	v_and_b32_e32 v7, 0x7f800000, v71
	s_delay_alu instid0(VALU_DEP_1) | instskip(SKIP_1) | instid1(SALU_CYCLE_1)
	v_cmp_ne_u32_e32 vcc_lo, 0x7f800000, v7
                                        ; implicit-def: $vgpr7
	s_and_saveexec_b32 s3, vcc_lo
	s_xor_b32 s3, exec_lo, s3
; %bb.103:
	v_bfe_u32 v7, v71, 16, 1
	s_delay_alu instid0(VALU_DEP_1)
	v_add3_u32 v7, v71, v7, 0x7fff
; %bb.104:
	s_and_not1_saveexec_b32 s3, s3
; %bb.105:
	v_and_b32_e32 v7, 0xffff, v71
	v_or_b32_e32 v8, 0x10000, v71
	s_delay_alu instid0(VALU_DEP_2) | instskip(NEXT) | instid1(VALU_DEP_2)
	v_cmp_eq_u32_e32 vcc_lo, 0, v7
	v_cndmask_b32_e32 v7, v8, v71, vcc_lo
; %bb.106:
	s_or_b32 exec_lo, exec_lo, s3
	v_and_b32_e32 v8, 0x7f800000, v72
	s_delay_alu instid0(VALU_DEP_1) | instskip(SKIP_1) | instid1(SALU_CYCLE_1)
	v_cmp_ne_u32_e32 vcc_lo, 0x7f800000, v8
                                        ; implicit-def: $vgpr8
	s_and_saveexec_b32 s3, vcc_lo
	s_xor_b32 s3, exec_lo, s3
; %bb.107:
	v_bfe_u32 v8, v72, 16, 1
	s_delay_alu instid0(VALU_DEP_1)
	v_add3_u32 v8, v72, v8, 0x7fff
                                        ; implicit-def: $vgpr65_vgpr66_vgpr67_vgpr68_vgpr69_vgpr70_vgpr71_vgpr72
; %bb.108:
	s_and_not1_saveexec_b32 s3, s3
; %bb.109:
	v_and_b32_e32 v8, 0xffff, v72
	v_or_b32_e32 v9, 0x10000, v72
	s_delay_alu instid0(VALU_DEP_2) | instskip(NEXT) | instid1(VALU_DEP_2)
	v_cmp_eq_u32_e32 vcc_lo, 0, v8
	v_cndmask_b32_e32 v8, v9, v72, vcc_lo
; %bb.110:
	s_or_b32 exec_lo, exec_lo, s3
	s_delay_alu instid0(VALU_DEP_1)
	v_perm_b32 v7, v8, v7, 0x7060302
	v_perm_b32 v6, v6, v5, 0x7060302
	;; [unrolled: 1-line block ×4, first 2 shown]
	s_barrier
	buffer_gl0_inv
	v_cmp_eq_u32_e32 vcc_lo, 1, v78
	ds_store_b128 v76, v[4:7]
	s_waitcnt lgkmcnt(0)
	s_barrier
	buffer_gl0_inv
	ds_load_b128 v[1:4], v82
	ds_load_b128 v[5:8], v82 offset:16
	v_cmp_eq_u32_e64 s3, 1, v79
	v_cmp_eq_u32_e64 s4, 2, v78
	;; [unrolled: 1-line block ×5, first 2 shown]
	s_waitcnt lgkmcnt(1)
	v_lshrrev_b32_e32 v9, 16, v1
	s_waitcnt lgkmcnt(0)
	v_lshrrev_b32_e32 v13, 16, v5
	v_lshrrev_b32_e32 v10, 16, v2
	;; [unrolled: 1-line block ×4, first 2 shown]
	v_cndmask_b32_e64 v19, v1, v9, s3
	v_cndmask_b32_e32 v18, v5, v13, vcc_lo
	v_cndmask_b32_e64 v20, v5, v13, s3
	v_cndmask_b32_e32 v17, v1, v9, vcc_lo
	v_cmp_eq_u32_e32 vcc_lo, 2, v79
	v_lshrrev_b32_e32 v15, 16, v7
	v_cmp_eq_u32_e64 s3, 1, v77
	v_lshrrev_b32_e32 v12, 16, v4
	v_lshrrev_b32_e32 v16, 16, v8
	v_cndmask_b32_e32 v20, v20, v6, vcc_lo
	v_cndmask_b32_e64 v17, v17, v2, s4
	v_cndmask_b32_e32 v19, v19, v2, vcc_lo
	v_cndmask_b32_e64 v18, v18, v6, s4
	v_cmp_eq_u32_e32 vcc_lo, 4, v78
	v_cmp_eq_u32_e64 s4, 3, v79
	v_cndmask_b32_e64 v17, v17, v10, s5
	v_cndmask_b32_e64 v21, v1, v9, s3
	;; [unrolled: 1-line block ×5, first 2 shown]
	v_cndmask_b32_e32 v17, v17, v3, vcc_lo
	v_cndmask_b32_e64 v20, v20, v14, s4
	v_cndmask_b32_e32 v18, v18, v7, vcc_lo
	v_cmp_eq_u32_e32 vcc_lo, 4, v79
	v_cmp_eq_u32_e64 s4, 5, v79
	v_cmp_eq_u32_e64 s3, 2, v81
	v_cndmask_b32_e64 v21, v21, v2, s7
	v_cmp_eq_u32_e64 s5, 5, v78
	v_cndmask_b32_e32 v19, v19, v3, vcc_lo
	v_cndmask_b32_e32 v20, v20, v7, vcc_lo
	v_cmp_eq_u32_e32 vcc_lo, 6, v79
	s_delay_alu instid0(VALU_DEP_4) | instskip(NEXT) | instid1(VALU_DEP_4)
	v_cndmask_b32_e64 v17, v17, v11, s5
	v_cndmask_b32_e64 v19, v19, v11, s4
	s_delay_alu instid0(VALU_DEP_4) | instskip(SKIP_1) | instid1(VALU_DEP_3)
	v_cndmask_b32_e64 v20, v20, v15, s4
	v_cmp_eq_u32_e64 s4, 1, v81
	v_cndmask_b32_e32 v19, v19, v4, vcc_lo
	v_cndmask_b32_e64 v18, v18, v15, s5
	s_delay_alu instid0(VALU_DEP_3)
	v_cndmask_b32_e64 v1, v1, v9, s4
	v_cndmask_b32_e64 v5, v5, v13, s4
	v_cmp_eq_u32_e64 s4, 3, v77
	v_cndmask_b32_e64 v13, v22, v6, s7
	v_cmp_eq_u32_e64 s7, 3, v81
	v_cndmask_b32_e64 v1, v1, v2, s3
	v_cndmask_b32_e64 v2, v5, v6, s3
	;; [unrolled: 1-line block ×3, first 2 shown]
	v_cmp_eq_u32_e64 s3, 4, v77
	v_cndmask_b32_e64 v6, v13, v14, s4
	v_cndmask_b32_e64 v1, v1, v10, s7
	v_cmp_eq_u32_e64 s4, 4, v81
	v_cndmask_b32_e64 v2, v2, v14, s7
	v_cndmask_b32_e64 v5, v9, v3, s3
	;; [unrolled: 3-line block ×3, first 2 shown]
	v_cndmask_b32_e64 v2, v2, v7, s4
	v_cmp_eq_u32_e64 s3, 5, v81
	v_cmp_eq_u32_e64 s5, 6, v78
	v_cndmask_b32_e64 v5, v5, v11, s7
	v_cmp_eq_u32_e64 s4, 6, v77
	v_cndmask_b32_e64 v3, v6, v15, s7
	v_cndmask_b32_e64 v1, v1, v11, s3
	v_cmp_eq_u32_e64 s7, 6, v81
	v_cndmask_b32_e64 v2, v2, v15, s3
	v_cndmask_b32_e64 v17, v17, v4, s5
	v_cndmask_b32_e64 v18, v18, v8, s5
	v_cmp_eq_u32_e64 s5, 7, v78
	v_cndmask_b32_e64 v5, v5, v4, s4
	;; [unrolled: 4-line block ×3, first 2 shown]
	v_cmp_eq_u32_e64 s4, 7, v77
	v_cndmask_b32_e32 v4, v20, v8, vcc_lo
	v_cndmask_b32_e64 v17, v17, v12, s5
	v_cndmask_b32_e64 v19, v19, v12, s6
	;; [unrolled: 1-line block ×8, first 2 shown]
	v_cmp_gt_u32_e32 vcc_lo, 32, v0
	v_perm_b32 v4, v2, v1, 0x5040100
	v_perm_b32 v3, v3, v5, 0x5040100
	v_perm_b32 v2, v6, v19, 0x5040100
	v_perm_b32 v1, v7, v17, 0x5040100
	s_and_b32 s2, vcc_lo, s2
	ds_store_b128 v76, v[1:4]
	s_waitcnt lgkmcnt(0)
	s_barrier
	buffer_gl0_inv
	s_and_saveexec_b32 s3, s2
	s_cbranch_execz .LBB1715_2
; %bb.111:
	s_load_b64 s[0:1], s[0:1], 0x68
	s_lshl_b32 s4, s34, 6
	v_or_b32_e32 v3, s31, v74
	s_mul_i32 s2, s4, s30
	v_lshlrev_b32_e32 v0, 10, v0
	s_mul_i32 s2, s2, s8
	v_lshlrev_b32_e32 v1, 4, v75
	s_ashr_i32 s3, s2, 31
	v_mul_lo_u32 v12, v3, s4
	s_lshl_b64 s[2:3], s[2:3], 1
	v_lshlrev_b32_e32 v2, 6, v74
	v_and_b32_e32 v0, 0x3800, v0
	s_delay_alu instid0(VALU_DEP_1) | instskip(NEXT) | instid1(VALU_DEP_4)
	v_or3_b32 v8, v0, v1, v2
	v_ashrrev_i32_e32 v13, 31, v12
	ds_load_b128 v[0:3], v8
	ds_load_b128 v[4:7], v8 offset:128
	ds_load_b128 v[8:11], v8 offset:256
	s_waitcnt lgkmcnt(0)
	s_add_u32 s2, s0, s2
	s_addc_u32 s3, s1, s3
	s_lshl_b32 s0, s14, 6
	s_delay_alu instid0(SALU_CYCLE_1) | instskip(NEXT) | instid1(SALU_CYCLE_1)
	s_ashr_i32 s1, s0, 31
	s_lshl_b64 s[0:1], s[0:1], 1
	s_delay_alu instid0(SALU_CYCLE_1)
	s_add_u32 s0, s2, s0
	s_addc_u32 s1, s3, s1
	s_lshl_b32 s2, s34, 7
	v_add_co_u32 v18, s0, s0, v73
	v_add_nc_u32_e32 v14, s2, v12
	v_lshlrev_b64 v[12:13], 1, v[12:13]
	v_add_co_ci_u32_e64 v19, null, s1, 0, s0
	s_delay_alu instid0(VALU_DEP_3) | instskip(SKIP_1) | instid1(VALU_DEP_4)
	v_add_nc_u32_e32 v16, s2, v14
	v_ashrrev_i32_e32 v15, 31, v14
	v_add_co_u32 v12, vcc_lo, v18, v12
	s_delay_alu instid0(VALU_DEP_4) | instskip(NEXT) | instid1(VALU_DEP_4)
	v_add_co_ci_u32_e32 v13, vcc_lo, v19, v13, vcc_lo
	v_ashrrev_i32_e32 v17, 31, v16
	s_delay_alu instid0(VALU_DEP_4) | instskip(NEXT) | instid1(VALU_DEP_2)
	v_lshlrev_b64 v[14:15], 1, v[14:15]
	v_lshlrev_b64 v[16:17], 1, v[16:17]
	s_delay_alu instid0(VALU_DEP_2) | instskip(NEXT) | instid1(VALU_DEP_3)
	v_add_co_u32 v14, vcc_lo, v18, v14
	v_add_co_ci_u32_e32 v15, vcc_lo, v19, v15, vcc_lo
	s_delay_alu instid0(VALU_DEP_3) | instskip(NEXT) | instid1(VALU_DEP_4)
	v_add_co_u32 v16, vcc_lo, v18, v16
	v_add_co_ci_u32_e32 v17, vcc_lo, v19, v17, vcc_lo
	s_clause 0x2
	global_store_b128 v[12:13], v[0:3], off
	global_store_b128 v[14:15], v[4:7], off
	;; [unrolled: 1-line block ×3, first 2 shown]
	s_nop 0
	s_sendmsg sendmsg(MSG_DEALLOC_VGPRS)
	s_endpgm
	.section	.rodata,"a",@progbits
	.p2align	6, 0x0
	.amdhsa_kernel _Z39paged_attention_ll4mi_QKV_mfma16_kernelI14__hip_bfloat16hLN4vllm18Fp8KVCacheDataTypeE1ES0_Li16ELi64ELi256ELb0ELi6EL8MFMAType0EEvPKT_PKT0_S9_ifPKiSB_SB_iPKfiiiPfSE_PS4_PT2_iSD_SD_
		.amdhsa_group_segment_fixed_size 17472
		.amdhsa_private_segment_fixed_size 0
		.amdhsa_kernarg_size 400
		.amdhsa_user_sgpr_count 13
		.amdhsa_user_sgpr_dispatch_ptr 0
		.amdhsa_user_sgpr_queue_ptr 0
		.amdhsa_user_sgpr_kernarg_segment_ptr 1
		.amdhsa_user_sgpr_dispatch_id 0
		.amdhsa_user_sgpr_private_segment_size 0
		.amdhsa_wavefront_size32 1
		.amdhsa_uses_dynamic_stack 0
		.amdhsa_enable_private_segment 0
		.amdhsa_system_sgpr_workgroup_id_x 1
		.amdhsa_system_sgpr_workgroup_id_y 1
		.amdhsa_system_sgpr_workgroup_id_z 1
		.amdhsa_system_sgpr_workgroup_info 0
		.amdhsa_system_vgpr_workitem_id 0
		.amdhsa_next_free_vgpr 124
		.amdhsa_next_free_sgpr 38
		.amdhsa_reserve_vcc 1
		.amdhsa_float_round_mode_32 0
		.amdhsa_float_round_mode_16_64 0
		.amdhsa_float_denorm_mode_32 3
		.amdhsa_float_denorm_mode_16_64 3
		.amdhsa_dx10_clamp 1
		.amdhsa_ieee_mode 1
		.amdhsa_fp16_overflow 0
		.amdhsa_workgroup_processor_mode 1
		.amdhsa_memory_ordered 1
		.amdhsa_forward_progress 0
		.amdhsa_shared_vgpr_count 0
		.amdhsa_exception_fp_ieee_invalid_op 0
		.amdhsa_exception_fp_denorm_src 0
		.amdhsa_exception_fp_ieee_div_zero 0
		.amdhsa_exception_fp_ieee_overflow 0
		.amdhsa_exception_fp_ieee_underflow 0
		.amdhsa_exception_fp_ieee_inexact 0
		.amdhsa_exception_int_div_zero 0
	.end_amdhsa_kernel
	.section	.text._Z39paged_attention_ll4mi_QKV_mfma16_kernelI14__hip_bfloat16hLN4vllm18Fp8KVCacheDataTypeE1ES0_Li16ELi64ELi256ELb0ELi6EL8MFMAType0EEvPKT_PKT0_S9_ifPKiSB_SB_iPKfiiiPfSE_PS4_PT2_iSD_SD_,"axG",@progbits,_Z39paged_attention_ll4mi_QKV_mfma16_kernelI14__hip_bfloat16hLN4vllm18Fp8KVCacheDataTypeE1ES0_Li16ELi64ELi256ELb0ELi6EL8MFMAType0EEvPKT_PKT0_S9_ifPKiSB_SB_iPKfiiiPfSE_PS4_PT2_iSD_SD_,comdat
.Lfunc_end1715:
	.size	_Z39paged_attention_ll4mi_QKV_mfma16_kernelI14__hip_bfloat16hLN4vllm18Fp8KVCacheDataTypeE1ES0_Li16ELi64ELi256ELb0ELi6EL8MFMAType0EEvPKT_PKT0_S9_ifPKiSB_SB_iPKfiiiPfSE_PS4_PT2_iSD_SD_, .Lfunc_end1715-_Z39paged_attention_ll4mi_QKV_mfma16_kernelI14__hip_bfloat16hLN4vllm18Fp8KVCacheDataTypeE1ES0_Li16ELi64ELi256ELb0ELi6EL8MFMAType0EEvPKT_PKT0_S9_ifPKiSB_SB_iPKfiiiPfSE_PS4_PT2_iSD_SD_
                                        ; -- End function
	.section	.AMDGPU.csdata,"",@progbits
; Kernel info:
; codeLenInByte = 8736
; NumSgprs: 40
; NumVgprs: 124
; ScratchSize: 0
; MemoryBound: 0
; FloatMode: 240
; IeeeMode: 1
; LDSByteSize: 17472 bytes/workgroup (compile time only)
; SGPRBlocks: 4
; VGPRBlocks: 15
; NumSGPRsForWavesPerEU: 40
; NumVGPRsForWavesPerEU: 124
; Occupancy: 10
; WaveLimiterHint : 1
; COMPUTE_PGM_RSRC2:SCRATCH_EN: 0
; COMPUTE_PGM_RSRC2:USER_SGPR: 13
; COMPUTE_PGM_RSRC2:TRAP_HANDLER: 0
; COMPUTE_PGM_RSRC2:TGID_X_EN: 1
; COMPUTE_PGM_RSRC2:TGID_Y_EN: 1
; COMPUTE_PGM_RSRC2:TGID_Z_EN: 1
; COMPUTE_PGM_RSRC2:TIDIG_COMP_CNT: 0
	.section	.text._Z39paged_attention_ll4mi_QKV_mfma16_kernelI14__hip_bfloat16hLN4vllm18Fp8KVCacheDataTypeE1ES0_Li16ELi64ELi256ELb0ELi7EL8MFMAType0EEvPKT_PKT0_S9_ifPKiSB_SB_iPKfiiiPfSE_PS4_PT2_iSD_SD_,"axG",@progbits,_Z39paged_attention_ll4mi_QKV_mfma16_kernelI14__hip_bfloat16hLN4vllm18Fp8KVCacheDataTypeE1ES0_Li16ELi64ELi256ELb0ELi7EL8MFMAType0EEvPKT_PKT0_S9_ifPKiSB_SB_iPKfiiiPfSE_PS4_PT2_iSD_SD_,comdat
	.protected	_Z39paged_attention_ll4mi_QKV_mfma16_kernelI14__hip_bfloat16hLN4vllm18Fp8KVCacheDataTypeE1ES0_Li16ELi64ELi256ELb0ELi7EL8MFMAType0EEvPKT_PKT0_S9_ifPKiSB_SB_iPKfiiiPfSE_PS4_PT2_iSD_SD_ ; -- Begin function _Z39paged_attention_ll4mi_QKV_mfma16_kernelI14__hip_bfloat16hLN4vllm18Fp8KVCacheDataTypeE1ES0_Li16ELi64ELi256ELb0ELi7EL8MFMAType0EEvPKT_PKT0_S9_ifPKiSB_SB_iPKfiiiPfSE_PS4_PT2_iSD_SD_
	.globl	_Z39paged_attention_ll4mi_QKV_mfma16_kernelI14__hip_bfloat16hLN4vllm18Fp8KVCacheDataTypeE1ES0_Li16ELi64ELi256ELb0ELi7EL8MFMAType0EEvPKT_PKT0_S9_ifPKiSB_SB_iPKfiiiPfSE_PS4_PT2_iSD_SD_
	.p2align	8
	.type	_Z39paged_attention_ll4mi_QKV_mfma16_kernelI14__hip_bfloat16hLN4vllm18Fp8KVCacheDataTypeE1ES0_Li16ELi64ELi256ELb0ELi7EL8MFMAType0EEvPKT_PKT0_S9_ifPKiSB_SB_iPKfiiiPfSE_PS4_PT2_iSD_SD_,@function
_Z39paged_attention_ll4mi_QKV_mfma16_kernelI14__hip_bfloat16hLN4vllm18Fp8KVCacheDataTypeE1ES0_Li16ELi64ELi256ELb0ELi7EL8MFMAType0EEvPKT_PKT0_S9_ifPKiSB_SB_iPKfiiiPfSE_PS4_PT2_iSD_SD_: ; @_Z39paged_attention_ll4mi_QKV_mfma16_kernelI14__hip_bfloat16hLN4vllm18Fp8KVCacheDataTypeE1ES0_Li16ELi64ELi256ELb0ELi7EL8MFMAType0EEvPKT_PKT0_S9_ifPKiSB_SB_iPKfiiiPfSE_PS4_PT2_iSD_SD_
; %bb.0:
	s_load_b64 s[2:3], s[0:1], 0x30
	s_mov_b32 s34, s13
	s_waitcnt lgkmcnt(0)
	s_cmp_lg_u64 s[2:3], 0
	s_cselect_b32 s8, -1, 0
	s_ashr_i32 s35, s13, 31
	s_cmp_eq_u64 s[2:3], 0
	s_cbranch_scc1 .LBB1716_3
; %bb.1:
	s_lshl_b64 s[4:5], s[34:35], 2
	s_delay_alu instid0(SALU_CYCLE_1) | instskip(SKIP_4) | instid1(SALU_CYCLE_1)
	s_add_u32 s4, s2, s4
	s_addc_u32 s5, s3, s5
	s_load_b64 s[4:5], s[4:5], 0x0
	s_waitcnt lgkmcnt(0)
	s_sub_i32 s4, s5, s4
	s_cmp_eq_u32 s4, 1
	s_cselect_b32 s4, -1, 0
	s_delay_alu instid0(SALU_CYCLE_1)
	s_and_not1_b32 vcc_lo, exec_lo, s4
	s_cbranch_vccz .LBB1716_4
.LBB1716_2:
	s_nop 0
	s_sendmsg sendmsg(MSG_DEALLOC_VGPRS)
	s_endpgm
.LBB1716_3:
.LBB1716_4:
	s_load_b64 s[4:5], s[0:1], 0x28
	s_lshl_b64 s[6:7], s[34:35], 2
	s_waitcnt lgkmcnt(0)
	s_add_u32 s4, s4, s6
	s_addc_u32 s5, s5, s7
	s_lshl_b32 s12, s14, 8
	s_load_b32 s24, s[4:5], 0x0
	s_waitcnt lgkmcnt(0)
	s_cmp_ge_i32 s12, s24
	s_cbranch_scc1 .LBB1716_2
; %bb.5:
	s_clause 0x1
	s_load_b128 s[20:23], s[0:1], 0x8
	s_load_b64 s[4:5], s[0:1], 0x20
	s_and_not1_b32 vcc_lo, exec_lo, s8
	s_cbranch_vccnz .LBB1716_7
; %bb.6:
	s_add_u32 s2, s2, s6
	s_addc_u32 s3, s3, s7
	s_load_b32 s3, s[2:3], 0x0
	s_branch .LBB1716_8
.LBB1716_7:
	s_mov_b32 s3, s34
.LBB1716_8:
	s_load_b128 s[16:19], s[0:1], 0x48
	v_lshrrev_b32_e32 v66, 5, v0
	v_bfe_u32 v74, v0, 4, 1
	v_and_b32_e32 v65, 15, v0
	v_and_b32_e32 v67, 31, v0
	;; [unrolled: 1-line block ×3, first 2 shown]
	s_mul_i32 s31, s15, 7
	v_lshl_or_b32 v1, v66, 1, v74
	v_lshlrev_b32_e32 v2, 3, v65
	v_cmp_gt_u32_e64 s2, 8, v65
	s_delay_alu instid0(VALU_DEP_3) | instskip(NEXT) | instid1(VALU_DEP_3)
	v_cmp_gt_u32_e32 vcc_lo, 7, v1
	v_lshlrev_b32_e32 v73, 1, v2
	s_delay_alu instid0(VALU_DEP_3) | instskip(NEXT) | instid1(SALU_CYCLE_1)
	s_and_b32 s7, s2, vcc_lo
	s_and_saveexec_b32 s6, s7
	s_cbranch_execz .LBB1716_10
; %bb.9:
	s_load_b64 s[8:9], s[0:1], 0x0
	v_add_lshl_u32 v2, v1, s31, 6
	s_waitcnt lgkmcnt(0)
	s_mul_hi_i32 s11, s3, s16
	s_mul_i32 s10, s3, s16
	v_lshlrev_b32_e32 v6, 10, v65
	s_lshl_b64 s[10:11], s[10:11], 1
	v_ashrrev_i32_e32 v3, 31, v2
	v_lshlrev_b32_e32 v1, 6, v1
	v_lshlrev_b32_e32 v7, 10, v75
	v_and_b32_e32 v6, 0x3800, v6
	s_delay_alu instid0(VALU_DEP_4) | instskip(NEXT) | instid1(VALU_DEP_2)
	v_lshlrev_b64 v[2:3], 1, v[2:3]
	v_or3_b32 v1, v6, v7, v1
	s_add_u32 s3, s8, s10
	s_addc_u32 s7, s9, s11
	s_delay_alu instid0(VALU_DEP_2) | instskip(NEXT) | instid1(VALU_DEP_3)
	v_add_co_u32 v2, vcc_lo, s3, v2
	v_add_co_ci_u32_e32 v3, vcc_lo, s7, v3, vcc_lo
	s_delay_alu instid0(VALU_DEP_2) | instskip(NEXT) | instid1(VALU_DEP_2)
	v_add_co_u32 v2, vcc_lo, v2, v73
	v_add_co_ci_u32_e32 v3, vcc_lo, 0, v3, vcc_lo
	global_load_b128 v[2:5], v[2:3], off
	s_waitcnt vmcnt(0)
	ds_store_b128 v1, v[2:5]
.LBB1716_10:
	s_or_b32 exec_lo, exec_lo, s6
	v_and_b32_e32 v1, 0xef, v0
	s_waitcnt lgkmcnt(0)
	s_add_i32 s3, s24, 15
	s_clause 0x1
	s_load_b32 s6, s[0:1], 0x38
	s_load_b32 s19, s[0:1], 0x1c
	s_ashr_i32 s7, s3, 31
	v_add_nc_u32_e32 v1, s12, v1
	s_lshr_b32 s7, s7, 28
	s_waitcnt lgkmcnt(0)
	s_add_i32 s3, s3, s7
	s_barrier
	v_ashrrev_i32_e32 v2, 31, v1
	v_or_b32_e32 v3, 16, v1
	s_ashr_i32 s3, s3, 4
	v_cmp_gt_i32_e32 vcc_lo, s24, v1
	s_add_i32 s3, s3, -1
	v_lshrrev_b32_e32 v2, 28, v2
	buffer_gl0_inv
	s_mul_i32 s27, s15, s18
	v_add_nc_u32_e32 v4, v1, v2
	s_mul_i32 s6, s34, s6
	s_delay_alu instid0(SALU_CYCLE_1) | instskip(NEXT) | instid1(VALU_DEP_1)
	s_ashr_i32 s7, s6, 31
	v_ashrrev_i32_e32 v4, 4, v4
	v_add_nc_u32_e32 v2, v3, v2
	s_lshl_b64 s[6:7], s[6:7], 2
	s_delay_alu instid0(SALU_CYCLE_1) | instskip(NEXT) | instid1(VALU_DEP_2)
	s_add_u32 s26, s4, s6
	v_cndmask_b32_e32 v1, s3, v4, vcc_lo
	s_delay_alu instid0(VALU_DEP_2)
	v_ashrrev_i32_e32 v2, 4, v2
	v_cmp_gt_i32_e32 vcc_lo, s24, v3
	s_addc_u32 s25, s5, s7
	s_ashr_i32 s28, s27, 31
	s_add_u32 s13, s20, s27
	s_addc_u32 s15, s21, s28
	v_cndmask_b32_e32 v3, s3, v2, vcc_lo
	v_ashrrev_i32_e32 v2, 31, v1
	s_lshl_b32 s4, s14, 4
	s_delay_alu instid0(SALU_CYCLE_1) | instskip(NEXT) | instid1(VALU_DEP_2)
	s_ashr_i32 s5, s4, 31
	v_ashrrev_i32_e32 v4, 31, v3
	s_delay_alu instid0(VALU_DEP_2) | instskip(SKIP_1) | instid1(SALU_CYCLE_1)
	v_lshlrev_b64 v[1:2], 2, v[1:2]
	s_lshl_b64 s[4:5], s[4:5], 2
	s_add_u32 s4, s26, s4
	s_delay_alu instid0(VALU_DEP_2) | instskip(SKIP_1) | instid1(VALU_DEP_2)
	v_lshlrev_b64 v[3:4], 2, v[3:4]
	s_addc_u32 s5, s25, s5
	v_add_co_u32 v1, vcc_lo, s26, v1
	v_add_co_ci_u32_e32 v2, vcc_lo, s25, v2, vcc_lo
	s_delay_alu instid0(VALU_DEP_3) | instskip(NEXT) | instid1(VALU_DEP_4)
	v_add_co_u32 v3, vcc_lo, s26, v3
	v_add_co_ci_u32_e32 v4, vcc_lo, s25, v4, vcc_lo
	s_clause 0x1
	global_load_b32 v5, v[1:2], off
	global_load_b32 v7, v[3:4], off
	s_or_b32 s6, s12, 32
	v_lshlrev_b32_e32 v1, 4, v0
	s_ashr_i32 s7, s6, 4
	s_cmp_lt_i32 s6, s24
	s_cselect_b32 s6, s7, s3
	s_delay_alu instid0(VALU_DEP_1) | instskip(SKIP_1) | instid1(SALU_CYCLE_1)
	v_and_b32_e32 v1, 0xf0, v1
	s_ashr_i32 s7, s6, 31
	s_lshl_b64 s[6:7], s[6:7], 2
	s_delay_alu instid0(SALU_CYCLE_1)
	s_add_u32 s6, s26, s6
	s_addc_u32 s7, s25, s7
	s_or_b32 s8, s12, 64
	v_add_co_u32 v1, s13, s13, v1
	s_ashr_i32 s9, s8, 4
	s_cmp_lt_i32 s8, s24
	v_add_co_ci_u32_e64 v2, null, s15, 0, s13
	s_cselect_b32 s8, s9, s3
	s_delay_alu instid0(SALU_CYCLE_1) | instskip(NEXT) | instid1(SALU_CYCLE_1)
	s_ashr_i32 s9, s8, 31
	s_lshl_b64 s[8:9], s[8:9], 2
	s_delay_alu instid0(SALU_CYCLE_1) | instskip(SKIP_2) | instid1(SALU_CYCLE_1)
	s_add_u32 s8, s26, s8
	s_addc_u32 s9, s25, s9
	s_or_b32 s10, s12, 0x60
	s_ashr_i32 s11, s10, 4
	s_cmp_lt_i32 s10, s24
	s_cselect_b32 s10, s11, s3
	s_delay_alu instid0(SALU_CYCLE_1) | instskip(NEXT) | instid1(SALU_CYCLE_1)
	s_ashr_i32 s11, s10, 31
	s_lshl_b64 s[10:11], s[10:11], 2
	s_delay_alu instid0(SALU_CYCLE_1) | instskip(SKIP_2) | instid1(SALU_CYCLE_1)
	s_add_u32 s10, s26, s10
	s_addc_u32 s11, s25, s11
	s_or_b32 s16, s12, 0x80
	s_ashr_i32 s18, s16, 4
	s_cmp_lt_i32 s16, s24
	;; [unrolled: 10-line block ×3, first 2 shown]
	s_cselect_b32 s20, s18, s3
	s_delay_alu instid0(SALU_CYCLE_1) | instskip(NEXT) | instid1(SALU_CYCLE_1)
	s_ashr_i32 s21, s20, 31
	s_lshl_b64 s[20:21], s[20:21], 2
	s_delay_alu instid0(SALU_CYCLE_1)
	s_add_u32 s38, s26, s20
	s_addc_u32 s39, s25, s21
	s_clause 0x5
	s_load_b32 s21, s[4:5], 0x0
	s_load_b32 s13, s[6:7], 0x0
	;; [unrolled: 1-line block ×6, first 2 shown]
	s_or_b32 s9, s12, 0xc0
	s_mov_b32 s4, 0
	s_ashr_i32 s10, s9, 4
	s_cmp_lt_i32 s9, s24
	s_mov_b32 s11, s4
	s_cselect_b32 s36, s10, s3
	s_mov_b32 s5, s4
	s_ashr_i32 s37, s36, 31
	s_mov_b32 s6, s4
	s_lshl_b64 s[36:37], s[36:37], 2
	s_mov_b32 s7, s4
	s_add_u32 s36, s26, s36
	s_addc_u32 s37, s25, s37
	s_or_b32 s29, s12, 0xe0
	s_mov_b32 s8, s4
	s_ashr_i32 s30, s29, 4
	s_mov_b32 s9, s4
	s_mov_b32 s10, s4
	s_cmp_lt_i32 s29, s24
	v_dual_mov_b32 v107, s11 :: v_dual_mov_b32 v100, s4
	v_mov_b32_e32 v106, s10
	v_dual_mov_b32 v104, s8 :: v_dual_mov_b32 v103, s7
	v_dual_mov_b32 v102, s6 :: v_dual_mov_b32 v101, s5
	s_waitcnt vmcnt(1)
	v_mad_i64_i32 v[3:4], null, v5, s17, v[1:2]
	s_waitcnt vmcnt(0)
	v_mad_i64_i32 v[5:6], null, v7, s17, v[1:2]
	v_mul_lo_u16 v1, v65, 37
	v_lshlrev_b32_e32 v2, 4, v65
	s_clause 0x7
	global_load_b128 v[49:52], v[3:4], off
	global_load_b128 v[53:56], v[3:4], off offset:256
	global_load_b128 v[76:79], v[5:6], off
	global_load_b128 v[80:83], v[5:6], off offset:256
	global_load_b128 v[84:87], v[3:4], off offset:512
	global_load_b128 v[88:91], v[3:4], off offset:768
	global_load_b128 v[92:95], v[5:6], off offset:512
	global_load_b128 v[96:99], v[5:6], off offset:768
	v_lshrrev_b16 v1, 8, v1
	v_lshl_or_b32 v2, v66, 8, v2
	s_delay_alu instid0(VALU_DEP_2) | instskip(NEXT) | instid1(VALU_DEP_1)
	v_mul_lo_u16 v1, v1, 7
	v_sub_nc_u16 v1, v65, v1
	s_delay_alu instid0(VALU_DEP_1)
	v_and_b32_e32 v1, 0xff, v1
	v_mov_b32_e32 v105, s9
	s_cselect_b32 s4, s30, s3
	s_load_b32 s3, s[36:37], 0x0
	s_ashr_i32 s5, s4, 31
	v_lshlrev_b32_e32 v70, 6, v1
	s_lshl_b64 s[4:5], s[4:5], 2
	ds_load_b128 v[108:111], v70
	ds_load_b128 v[112:115], v70 offset:1024
	s_add_u32 s4, s26, s4
	s_addc_u32 s5, s25, s5
	s_add_u32 s6, s22, s27
	s_load_b32 s4, s[4:5], 0x0
	s_addc_u32 s7, s23, s28
	v_add_co_u32 v9, s6, s6, v2
	s_delay_alu instid0(VALU_DEP_1) | instskip(SKIP_1) | instid1(VALU_DEP_1)
	v_add_co_ci_u32_e64 v10, null, s7, 0, s6
	s_waitcnt lgkmcnt(0)
	v_mad_i64_i32 v[1:2], null, s21, s17, v[9:10]
	v_mad_i64_i32 v[3:4], null, s13, s17, v[9:10]
	;; [unrolled: 1-line block ×7, first 2 shown]
	s_clause 0x9
	global_load_b128 v[57:60], v[1:2], off
	global_load_b128 v[61:64], v[1:2], off offset:16
	global_load_b128 v[41:44], v[3:4], off
	global_load_b128 v[45:48], v[3:4], off offset:16
	;; [unrolled: 2-line block ×5, first 2 shown]
	v_mad_i64_i32 v[68:69], null, s4, s17, v[9:10]
	s_clause 0x3
	global_load_b128 v[9:12], v[13:14], off
	global_load_b128 v[13:16], v[13:14], off offset:16
	global_load_b128 v[17:20], v[21:22], off
	global_load_b128 v[21:24], v[21:22], off offset:16
	s_waitcnt vmcnt(20)
	v_wmma_f32_16x16x16_bf16 v[116:123], v[49:56], v[108:115], v[100:107]
	s_clause 0x1
	global_load_b128 v[49:52], v[68:69], off
	global_load_b128 v[53:56], v[68:69], off offset:16
	v_and_b32_e32 v68, 0xe0, v0
	v_mbcnt_lo_u32_b32 v69, -1, 0
	s_delay_alu instid0(VALU_DEP_2)
	v_add_nc_u32_e32 v68, s12, v68
	s_waitcnt vmcnt(20)
	v_wmma_f32_16x16x16_bf16 v[100:107], v[76:83], v[108:115], v[100:107]
	ds_load_b128 v[76:79], v70 offset:2048
	ds_load_b128 v[80:83], v70 offset:3072
	v_xor_b32_e32 v70, 16, v69
	s_waitcnt vmcnt(0) lgkmcnt(0)
	v_or_b32_e32 v68, v68, v74
	s_barrier
	buffer_gl0_inv
	v_cmp_gt_i32_e32 vcc_lo, 32, v70
	v_or_b32_e32 v71, 4, v68
	v_or_b32_e32 v72, 6, v68
	v_cmp_gt_i32_e64 s3, s24, v68
	v_or_b32_e32 v108, 8, v68
	v_or_b32_e32 v109, 10, v68
	v_cmp_gt_i32_e64 s4, s24, v71
	v_cmp_gt_i32_e64 s5, s24, v72
	s_delay_alu instid0(VALU_DEP_4) | instskip(NEXT) | instid1(VALU_DEP_4)
	v_cmp_gt_i32_e64 s6, s24, v108
	v_cmp_gt_i32_e64 s7, s24, v109
	v_wmma_f32_16x16x16_bf16 v[116:123], v[84:91], v[76:83], v[116:123]
	v_cndmask_b32_e32 v69, v69, v70, vcc_lo
	v_or_b32_e32 v70, 2, v68
	v_wmma_f32_16x16x16_bf16 v[100:107], v[92:99], v[76:83], v[100:107]
	v_or_b32_e32 v89, 22, v68
	v_dual_mul_f32 v80, s19, v121 :: v_dual_mul_f32 v81, s19, v120
	v_dual_mul_f32 v92, s19, v117 :: v_dual_mul_f32 v93, s19, v116
	s_delay_alu instid0(VALU_DEP_4)
	v_mul_f32_e32 v96, s19, v105
	v_cmp_gt_i32_e32 vcc_lo, s24, v70
	v_dual_mul_f32 v79, s19, v122 :: v_dual_mul_f32 v82, s19, v119
	v_dual_mul_f32 v83, s19, v118 :: v_dual_mul_f32 v94, s19, v107
	v_cndmask_b32_e64 v93, 0xff7fffff, v93, s3
	v_cndmask_b32_e32 v92, 0xff7fffff, v92, vcc_lo
	v_or_b32_e32 v84, 12, v68
	v_or_b32_e32 v85, 14, v68
	v_cndmask_b32_e64 v71, 0xff7fffff, v83, s4
	v_cndmask_b32_e64 v72, 0xff7fffff, v82, s5
	v_cmp_gt_i32_e64 s13, s24, v89
	v_lshlrev_b32_e32 v89, 2, v69
	v_max3_f32 v82, v93, 0xff7fffff, v92
	v_or_b32_e32 v86, 16, v68
	v_or_b32_e32 v87, 18, v68
	v_mul_f32_e32 v78, s19, v123
	v_cndmask_b32_e64 v81, 0xff7fffff, v81, s6
	v_cndmask_b32_e64 v80, 0xff7fffff, v80, s7
	v_max3_f32 v71, v82, v71, v72
	v_cmp_gt_i32_e64 s8, s24, v84
	v_cmp_gt_i32_e64 s9, s24, v85
	v_or_b32_e32 v88, 20, v68
	v_or_b32_e32 v90, 24, v68
	;; [unrolled: 1-line block ×5, first 2 shown]
	v_dual_mul_f32 v97, s19, v104 :: v_dual_mul_f32 v70, s19, v101
	v_dual_mul_f32 v99, s19, v102 :: v_dual_mul_f32 v68, s19, v100
	v_cndmask_b32_e64 v72, 0xff7fffff, v79, s8
	v_cndmask_b32_e64 v78, 0xff7fffff, v78, s9
	v_max3_f32 v71, v71, v81, v80
	v_cmp_gt_i32_e64 s10, s24, v86
	v_cmp_gt_i32_e64 s11, s24, v87
	v_dual_mul_f32 v95, s19, v106 :: v_dual_mul_f32 v98, s19, v103
	s_delay_alu instid0(VALU_DEP_4) | instskip(NEXT) | instid1(VALU_DEP_4)
	v_max3_f32 v71, v71, v72, v78
	v_cndmask_b32_e64 v68, 0xff7fffff, v68, s10
	s_delay_alu instid0(VALU_DEP_4)
	v_cndmask_b32_e64 v70, 0xff7fffff, v70, s11
	v_cmp_gt_i32_e64 s12, s24, v88
	v_cndmask_b32_e64 v78, 0xff7fffff, v98, s13
	v_cmp_gt_i32_e64 s15, s24, v90
	v_cmp_gt_i32_e64 s16, s24, v91
	v_max3_f32 v68, v71, v68, v70
	v_cndmask_b32_e64 v72, 0xff7fffff, v99, s12
	v_cmp_gt_i32_e64 s17, s24, v76
	v_cndmask_b32_e64 v70, 0xff7fffff, v97, s15
	v_cndmask_b32_e64 v71, 0xff7fffff, v96, s16
	v_cmp_gt_i32_e64 s18, s24, v77
	v_max3_f32 v68, v68, v72, v78
	v_cndmask_b32_e64 v72, 0xff7fffff, v95, s17
	s_delay_alu instid0(VALU_DEP_3) | instskip(NEXT) | instid1(VALU_DEP_3)
	v_cndmask_b32_e64 v76, 0xff7fffff, v94, s18
	v_max3_f32 v68, v68, v70, v71
	s_delay_alu instid0(VALU_DEP_1) | instskip(SKIP_3) | instid1(VALU_DEP_1)
	v_max3_f32 v68, v68, v72, v76
	ds_bpermute_b32 v69, v89, v68
	s_waitcnt lgkmcnt(0)
	v_max_f32_e32 v69, v69, v69
	v_max_f32_e32 v68, v68, v69
	s_delay_alu instid0(VALU_DEP_1) | instskip(NEXT) | instid1(VALU_DEP_1)
	v_fma_f32 v71, s19, v118, -v68
	v_mul_f32_e32 v71, 0x3fb8aa3b, v71
	v_fma_f32 v70, s19, v117, -v68
	v_fma_f32 v69, s19, v116, -v68
	;; [unrolled: 1-line block ×5, first 2 shown]
	s_delay_alu instid0(VALU_DEP_4) | instskip(SKIP_1) | instid1(VALU_DEP_3)
	v_dual_mul_f32 v70, 0x3fb8aa3b, v70 :: v_dual_mul_f32 v69, 0x3fb8aa3b, v69
	v_exp_f32_e32 v71, v71
	v_mul_f32_e32 v72, 0x3fb8aa3b, v72
	v_fma_f32 v81, s19, v105, -v68
	s_delay_alu instid0(VALU_DEP_3)
	v_exp_f32_e32 v70, v70
	v_mul_f32_e32 v77, 0x3fb8aa3b, v76
	v_exp_f32_e32 v69, v69
	v_exp_f32_e32 v72, v72
	v_mul_f32_e32 v81, 0x3fb8aa3b, v81
	v_cndmask_b32_e64 v83, 0, v71, s4
	v_fma_f32 v71, s19, v123, -v68
	s_delay_alu instid0(VALU_DEP_3) | instskip(SKIP_4) | instid1(TRANS32_DEP_3)
	v_exp_f32_e32 v81, v81
	v_cndmask_b32_e32 v76, 0, v70, vcc_lo
	v_exp_f32_e32 v77, v77
	v_cndmask_b32_e64 v80, 0, v69, s3
	v_fma_f32 v69, s19, v121, -v68
	v_cndmask_b32_e64 v85, 0, v72, s5
	v_mul_f32_e32 v71, 0x3fb8aa3b, v71
	v_fma_f32 v72, s19, v100, -v68
	s_delay_alu instid0(VALU_DEP_4) | instskip(SKIP_1) | instid1(VALU_DEP_4)
	v_dual_add_f32 v70, 0, v80 :: v_dual_mul_f32 v69, 0x3fb8aa3b, v69
	v_cmp_gt_u32_e64 s3, 16, v67
	v_exp_f32_e32 v71, v71
	s_delay_alu instid0(TRANS32_DEP_2) | instskip(SKIP_4) | instid1(VALU_DEP_3)
	v_cndmask_b32_e64 v86, 0, v77, s6
	v_fma_f32 v77, s19, v101, -v68
	v_mul_f32_e32 v78, 0x3fb8aa3b, v78
	v_add_f32_e32 v70, v70, v76
	v_exp_f32_e32 v69, v69
	v_mul_f32_e32 v77, 0x3fb8aa3b, v77
	s_delay_alu instid0(VALU_DEP_3) | instskip(NEXT) | instid1(TRANS32_DEP_3)
	v_exp_f32_e32 v78, v78
	v_cndmask_b32_e64 v88, 0, v71, s9
	v_fma_f32 v71, s19, v104, -v68
	s_delay_alu instid0(VALU_DEP_3) | instskip(NEXT) | instid1(TRANS32_DEP_3)
	v_exp_f32_e32 v77, v77
	v_cndmask_b32_e64 v87, 0, v69, s7
	s_delay_alu instid0(VALU_DEP_2)
	v_mul_f32_e32 v71, 0x3fb8aa3b, v71
	s_waitcnt_depctr 0xfff
	v_cndmask_b32_e64 v84, 0, v78, s8
	v_add_f32_e32 v70, v70, v83
	v_fma_f32 v78, s19, v103, -v68
	v_exp_f32_e32 v82, v71
	s_delay_alu instid0(VALU_DEP_2) | instskip(SKIP_1) | instid1(VALU_DEP_3)
	v_add_f32_e32 v70, v70, v85
	v_mul_f32_e32 v72, 0x3fb8aa3b, v72
	v_mul_f32_e32 v78, 0x3fb8aa3b, v78
	s_delay_alu instid0(VALU_DEP_3) | instskip(SKIP_1) | instid1(VALU_DEP_4)
	v_add_f32_e32 v69, v70, v86
	v_fma_f32 v70, s19, v102, -v68
	v_exp_f32_e32 v72, v72
	s_delay_alu instid0(VALU_DEP_3) | instskip(NEXT) | instid1(VALU_DEP_1)
	v_exp_f32_e32 v78, v78
	v_dual_add_f32 v69, v69, v87 :: v_dual_mul_f32 v70, 0x3fb8aa3b, v70
	s_delay_alu instid0(VALU_DEP_1) | instskip(NEXT) | instid1(VALU_DEP_2)
	v_add_f32_e32 v69, v69, v84
	v_exp_f32_e32 v79, v70
	s_delay_alu instid0(TRANS32_DEP_3) | instskip(NEXT) | instid1(VALU_DEP_2)
	v_cndmask_b32_e64 v70, 0, v72, s10
	v_add_f32_e32 v72, v69, v88
	v_cndmask_b32_e64 v69, 0, v77, s11
	v_fma_f32 v77, s19, v106, -v68
	s_waitcnt_depctr 0xfff
	v_cndmask_b32_e64 v71, 0, v79, s12
	v_dual_mul_f32 v77, 0x3fb8aa3b, v77 :: v_dual_add_f32 v72, v72, v70
	s_delay_alu instid0(VALU_DEP_1) | instskip(NEXT) | instid1(VALU_DEP_1)
	v_exp_f32_e32 v90, v77
	v_add_f32_e32 v79, v72, v69
	v_cndmask_b32_e64 v72, 0, v78, s13
	v_cndmask_b32_e64 v77, 0, v82, s15
	s_delay_alu instid0(VALU_DEP_3) | instskip(SKIP_1) | instid1(VALU_DEP_1)
	v_add_f32_e32 v78, v79, v71
	v_fma_f32 v79, s19, v107, -v68
	v_dual_add_f32 v82, v78, v72 :: v_dual_mul_f32 v79, 0x3fb8aa3b, v79
	v_cndmask_b32_e64 v78, 0, v81, s16
	s_delay_alu instid0(VALU_DEP_2) | instskip(NEXT) | instid1(VALU_DEP_3)
	v_add_f32_e32 v81, v82, v77
	v_exp_f32_e32 v82, v79
	v_cndmask_b32_e64 v79, 0, v90, s17
	s_delay_alu instid0(VALU_DEP_2) | instskip(NEXT) | instid1(VALU_DEP_1)
	v_add_f32_e32 v81, v81, v78
	v_add_f32_e32 v90, v81, v79
	s_waitcnt_depctr 0xfff
	v_cndmask_b32_e64 v81, 0, v82, s18
	s_delay_alu instid0(VALU_DEP_1)
	v_add_f32_e32 v82, v90, v81
	ds_bpermute_b32 v89, v89, v82
	s_and_saveexec_b32 s4, s3
	s_cbranch_execz .LBB1716_12
; %bb.11:
	v_mul_u32_u24_e32 v67, 0x44, v66
	s_delay_alu instid0(VALU_DEP_1) | instskip(SKIP_1) | instid1(VALU_DEP_1)
	v_lshl_add_u32 v67, v65, 2, v67
	s_waitcnt lgkmcnt(0)
	v_dual_add_f32 v82, v82, v89 :: v_dual_add_nc_u32 v67, 0x4000, v67
	ds_store_2addr_b32 v67, v68, v82 offset1:136
.LBB1716_12:
	s_or_b32 exec_lo, exec_lo, s4
	v_lshlrev_b32_e32 v67, 2, v65
	s_waitcnt lgkmcnt(0)
	s_barrier
	buffer_gl0_inv
	v_cmp_eq_u32_e32 vcc_lo, 1, v66
	v_add_nc_u32_e32 v82, 0x4000, v67
	v_cmp_eq_u32_e64 s4, 2, v66
	v_cmp_eq_u32_e64 s6, 7, v66
	ds_load_2addr_b32 v[89:90], v82 offset1:17
	ds_load_2addr_b32 v[91:92], v82 offset0:34 offset1:51
	ds_load_2addr_b32 v[93:94], v82 offset0:68 offset1:85
	;; [unrolled: 1-line block ×4, first 2 shown]
	s_waitcnt lgkmcnt(4)
	v_max3_f32 v67, v89, 0xff7fffff, v90
	s_waitcnt lgkmcnt(3)
	s_delay_alu instid0(VALU_DEP_1) | instskip(SKIP_1) | instid1(VALU_DEP_1)
	v_max3_f32 v67, v67, v91, v92
	s_waitcnt lgkmcnt(2)
	v_max3_f32 v67, v67, v93, v94
	s_waitcnt lgkmcnt(1)
	s_delay_alu instid0(VALU_DEP_1) | instskip(NEXT) | instid1(VALU_DEP_1)
	v_max3_f32 v67, v67, v95, v96
	v_sub_f32_e32 v93, v93, v67
	s_delay_alu instid0(VALU_DEP_1) | instskip(NEXT) | instid1(VALU_DEP_1)
	v_dual_sub_f32 v68, v89, v67 :: v_dual_mul_f32 v103, 0x3fb8aa3b, v93
	v_mul_f32_e32 v68, 0x3fb8aa3b, v68
	s_delay_alu instid0(VALU_DEP_1)
	v_exp_f32_e32 v100, v68
	v_sub_f32_e32 v68, v92, v67
	v_sub_f32_e32 v99, v90, v67
	ds_load_2addr_b32 v[89:90], v82 offset0:170 offset1:187
	v_dual_mul_f32 v102, 0x3fb8aa3b, v68 :: v_dual_mul_f32 v99, 0x3fb8aa3b, v99
	s_waitcnt lgkmcnt(1)
	v_fma_f32 v68, v100, v97, 0
	s_delay_alu instid0(VALU_DEP_2) | instskip(NEXT) | instid1(VALU_DEP_2)
	v_exp_f32_e32 v102, v102
	v_exp_f32_e32 v99, v99
	s_waitcnt_depctr 0xfff
	v_fmac_f32_e32 v68, v99, v98
	v_sub_f32_e32 v91, v91, v67
	s_delay_alu instid0(VALU_DEP_1)
	v_mul_f32_e32 v101, 0x3fb8aa3b, v91
	ds_load_2addr_b32 v[91:92], v82 offset0:204 offset1:221
	v_sub_f32_e32 v97, v94, v67
	ds_load_2addr_b32 v[93:94], v82 offset0:238 offset1:255
	s_waitcnt lgkmcnt(0)
	v_exp_f32_e32 v101, v101
	s_barrier
	buffer_gl0_inv
	v_dual_fmac_f32 v68, v101, v89 :: v_dual_sub_f32 v89, v96, v67
	v_dual_sub_f32 v82, v95, v67 :: v_dual_mul_f32 v95, 0x3fb8aa3b, v97
	v_exp_f32_e32 v97, v103
	s_delay_alu instid0(VALU_DEP_2) | instskip(NEXT) | instid1(VALU_DEP_2)
	v_dual_fmac_f32 v68, v102, v90 :: v_dual_mul_f32 v89, 0x3fb8aa3b, v89
	v_mul_f32_e32 v82, 0x3fb8aa3b, v82
	s_delay_alu instid0(VALU_DEP_3) | instskip(NEXT) | instid1(VALU_DEP_2)
	v_exp_f32_e32 v95, v95
	v_exp_f32_e32 v89, v89
	s_delay_alu instid0(VALU_DEP_1)
	v_exp_f32_e32 v82, v82
	v_fmac_f32_e32 v68, v97, v91
	s_delay_alu instid0(TRANS32_DEP_3) | instid1(VALU_DEP_1)
	v_fmac_f32_e32 v68, v95, v92
	s_waitcnt_depctr 0xfff
	v_fmac_f32_e32 v68, v82, v93
	s_delay_alu instid0(VALU_DEP_1) | instskip(NEXT) | instid1(VALU_DEP_1)
	v_fmac_f32_e32 v68, v89, v94
	v_add_f32_e32 v90, 0x358637bd, v68
	s_delay_alu instid0(VALU_DEP_1) | instskip(NEXT) | instid1(VALU_DEP_1)
	v_div_scale_f32 v91, null, v90, v90, 1.0
	v_rcp_f32_e32 v92, v91
	s_waitcnt_depctr 0xfff
	v_fma_f32 v93, -v91, v92, 1.0
	s_delay_alu instid0(VALU_DEP_1) | instskip(SKIP_1) | instid1(VALU_DEP_2)
	v_dual_fmac_f32 v92, v93, v92 :: v_dual_cndmask_b32 v93, v100, v99
	v_cmp_eq_u32_e32 vcc_lo, 3, v66
	v_cndmask_b32_e64 v93, v93, v101, s4
	v_cmp_eq_u32_e64 s4, 4, v66
	s_delay_alu instid0(VALU_DEP_2) | instskip(SKIP_1) | instid1(VALU_DEP_2)
	v_cndmask_b32_e32 v93, v93, v102, vcc_lo
	v_cmp_eq_u32_e32 vcc_lo, 5, v66
	v_cndmask_b32_e64 v93, v93, v97, s4
	v_cmp_eq_u32_e64 s4, 6, v66
	s_delay_alu instid0(VALU_DEP_2) | instskip(SKIP_1) | instid1(VALU_DEP_1)
	v_cndmask_b32_e32 v93, v93, v95, vcc_lo
	v_div_scale_f32 v94, s5, 1.0, v90, 1.0
	s_mov_b32 vcc_lo, s5
	s_delay_alu instid0(VALU_DEP_2) | instskip(NEXT) | instid1(VALU_DEP_2)
	v_cndmask_b32_e64 v82, v93, v82, s4
	v_mul_f32_e32 v96, v94, v92
	s_mov_b32 s4, exec_lo
	s_delay_alu instid0(VALU_DEP_2) | instskip(NEXT) | instid1(VALU_DEP_2)
	v_cndmask_b32_e64 v82, v82, v89, s6
	v_fma_f32 v98, -v91, v96, v94
	s_delay_alu instid0(VALU_DEP_1) | instskip(NEXT) | instid1(VALU_DEP_1)
	v_fmac_f32_e32 v96, v98, v92
	v_fma_f32 v91, -v91, v96, v94
	s_delay_alu instid0(VALU_DEP_1) | instskip(NEXT) | instid1(VALU_DEP_1)
	v_div_fmas_f32 v91, v91, v92, v96
	v_div_fixup_f32 v90, v91, v90, 1.0
	s_delay_alu instid0(VALU_DEP_1) | instskip(NEXT) | instid1(VALU_DEP_1)
	v_mul_f32_e32 v82, v82, v90
	v_mul_f32_e32 v87, v82, v87
	;; [unrolled: 1-line block ×7, first 2 shown]
	v_dual_mul_f32 v86, v82, v83 :: v_dual_and_b32 v91, 0x7f800000, v90
	v_mul_f32_e32 v85, v82, v76
                                        ; implicit-def: $vgpr76
	s_delay_alu instid0(VALU_DEP_2)
	v_cmpx_ne_u32_e32 0x7f800000, v91
	s_xor_b32 s4, exec_lo, s4
; %bb.13:
	v_bfe_u32 v76, v90, 16, 1
	s_delay_alu instid0(VALU_DEP_1)
	v_add3_u32 v76, v90, v76, 0x7fff
                                        ; implicit-def: $vgpr90
; %bb.14:
	s_and_not1_saveexec_b32 s4, s4
; %bb.15:
	v_and_b32_e32 v76, 0xffff, v90
	v_or_b32_e32 v83, 0x10000, v90
	s_delay_alu instid0(VALU_DEP_2) | instskip(NEXT) | instid1(VALU_DEP_2)
	v_cmp_eq_u32_e32 vcc_lo, 0, v76
	v_cndmask_b32_e32 v76, v83, v90, vcc_lo
; %bb.16:
	s_or_b32 exec_lo, exec_lo, s4
	v_and_b32_e32 v83, 0x7f800000, v85
	s_delay_alu instid0(VALU_DEP_1) | instskip(SKIP_1) | instid1(SALU_CYCLE_1)
	v_cmp_ne_u32_e32 vcc_lo, 0x7f800000, v83
                                        ; implicit-def: $vgpr83
	s_and_saveexec_b32 s4, vcc_lo
	s_xor_b32 s4, exec_lo, s4
; %bb.17:
	v_bfe_u32 v83, v85, 16, 1
	s_delay_alu instid0(VALU_DEP_1)
	v_add3_u32 v83, v85, v83, 0x7fff
                                        ; implicit-def: $vgpr85
; %bb.18:
	s_and_not1_saveexec_b32 s4, s4
; %bb.19:
	v_and_b32_e32 v83, 0xffff, v85
	v_or_b32_e32 v90, 0x10000, v85
	s_delay_alu instid0(VALU_DEP_2) | instskip(NEXT) | instid1(VALU_DEP_2)
	v_cmp_eq_u32_e32 vcc_lo, 0, v83
	v_cndmask_b32_e32 v83, v90, v85, vcc_lo
; %bb.20:
	s_or_b32 exec_lo, exec_lo, s4
	v_and_b32_e32 v85, 0x7f800000, v86
	s_delay_alu instid0(VALU_DEP_1) | instskip(SKIP_1) | instid1(SALU_CYCLE_1)
	v_cmp_ne_u32_e32 vcc_lo, 0x7f800000, v85
                                        ; implicit-def: $vgpr85
	s_and_saveexec_b32 s4, vcc_lo
	s_xor_b32 s4, exec_lo, s4
; %bb.21:
	v_bfe_u32 v85, v86, 16, 1
	s_delay_alu instid0(VALU_DEP_1)
	v_add3_u32 v85, v86, v85, 0x7fff
                                        ; implicit-def: $vgpr86
; %bb.22:
	s_and_not1_saveexec_b32 s4, s4
; %bb.23:
	v_and_b32_e32 v85, 0xffff, v86
	v_or_b32_e32 v90, 0x10000, v86
	s_delay_alu instid0(VALU_DEP_2) | instskip(NEXT) | instid1(VALU_DEP_2)
	v_cmp_eq_u32_e32 vcc_lo, 0, v85
	v_cndmask_b32_e32 v85, v90, v86, vcc_lo
; %bb.24:
	s_or_b32 exec_lo, exec_lo, s4
	v_and_b32_e32 v86, 0x7f800000, v89
	s_delay_alu instid0(VALU_DEP_1) | instskip(SKIP_1) | instid1(SALU_CYCLE_1)
	v_cmp_ne_u32_e32 vcc_lo, 0x7f800000, v86
                                        ; implicit-def: $vgpr86
	s_and_saveexec_b32 s4, vcc_lo
	s_xor_b32 s4, exec_lo, s4
; %bb.25:
	v_bfe_u32 v86, v89, 16, 1
	s_delay_alu instid0(VALU_DEP_1)
	v_add3_u32 v86, v89, v86, 0x7fff
                                        ; implicit-def: $vgpr89
; %bb.26:
	s_and_not1_saveexec_b32 s4, s4
; %bb.27:
	v_and_b32_e32 v86, 0xffff, v89
	v_or_b32_e32 v90, 0x10000, v89
	s_delay_alu instid0(VALU_DEP_2) | instskip(NEXT) | instid1(VALU_DEP_2)
	v_cmp_eq_u32_e32 vcc_lo, 0, v86
	v_cndmask_b32_e32 v86, v90, v89, vcc_lo
; %bb.28:
	s_or_b32 exec_lo, exec_lo, s4
	v_and_b32_e32 v89, 0x7f800000, v88
	s_delay_alu instid0(VALU_DEP_1) | instskip(SKIP_1) | instid1(SALU_CYCLE_1)
	v_cmp_ne_u32_e32 vcc_lo, 0x7f800000, v89
                                        ; implicit-def: $vgpr89
	s_and_saveexec_b32 s4, vcc_lo
	s_xor_b32 s4, exec_lo, s4
; %bb.29:
	v_bfe_u32 v89, v88, 16, 1
	s_delay_alu instid0(VALU_DEP_1)
	v_add3_u32 v89, v88, v89, 0x7fff
                                        ; implicit-def: $vgpr88
; %bb.30:
	s_and_not1_saveexec_b32 s4, s4
; %bb.31:
	v_and_b32_e32 v89, 0xffff, v88
	v_or_b32_e32 v90, 0x10000, v88
	s_delay_alu instid0(VALU_DEP_2) | instskip(NEXT) | instid1(VALU_DEP_2)
	v_cmp_eq_u32_e32 vcc_lo, 0, v89
	v_cndmask_b32_e32 v89, v90, v88, vcc_lo
; %bb.32:
	s_or_b32 exec_lo, exec_lo, s4
	v_and_b32_e32 v88, 0x7f800000, v87
	s_delay_alu instid0(VALU_DEP_1) | instskip(SKIP_1) | instid1(SALU_CYCLE_1)
	v_cmp_ne_u32_e32 vcc_lo, 0x7f800000, v88
                                        ; implicit-def: $vgpr88
	s_and_saveexec_b32 s4, vcc_lo
	s_xor_b32 s4, exec_lo, s4
; %bb.33:
	v_bfe_u32 v88, v87, 16, 1
	s_delay_alu instid0(VALU_DEP_1)
	v_add3_u32 v88, v87, v88, 0x7fff
                                        ; implicit-def: $vgpr87
; %bb.34:
	s_and_not1_saveexec_b32 s4, s4
; %bb.35:
	v_and_b32_e32 v88, 0xffff, v87
	v_or_b32_e32 v90, 0x10000, v87
	s_delay_alu instid0(VALU_DEP_2) | instskip(NEXT) | instid1(VALU_DEP_2)
	v_cmp_eq_u32_e32 vcc_lo, 0, v88
	v_cndmask_b32_e32 v88, v90, v87, vcc_lo
; %bb.36:
	s_or_b32 exec_lo, exec_lo, s4
	v_and_b32_e32 v87, 0x7f800000, v84
	s_delay_alu instid0(VALU_DEP_1) | instskip(SKIP_1) | instid1(SALU_CYCLE_1)
	v_cmp_ne_u32_e32 vcc_lo, 0x7f800000, v87
                                        ; implicit-def: $vgpr87
	s_and_saveexec_b32 s4, vcc_lo
	s_xor_b32 s4, exec_lo, s4
; %bb.37:
	v_bfe_u32 v87, v84, 16, 1
	s_delay_alu instid0(VALU_DEP_1)
	v_add3_u32 v87, v84, v87, 0x7fff
                                        ; implicit-def: $vgpr84
; %bb.38:
	s_and_not1_saveexec_b32 s4, s4
; %bb.39:
	v_and_b32_e32 v87, 0xffff, v84
	v_or_b32_e32 v90, 0x10000, v84
	s_delay_alu instid0(VALU_DEP_2) | instskip(NEXT) | instid1(VALU_DEP_2)
	v_cmp_eq_u32_e32 vcc_lo, 0, v87
	v_cndmask_b32_e32 v87, v90, v84, vcc_lo
; %bb.40:
	s_or_b32 exec_lo, exec_lo, s4
	v_and_b32_e32 v84, 0x7f800000, v80
	s_delay_alu instid0(VALU_DEP_1) | instskip(SKIP_1) | instid1(SALU_CYCLE_1)
	v_cmp_ne_u32_e32 vcc_lo, 0x7f800000, v84
                                        ; implicit-def: $vgpr84
	s_and_saveexec_b32 s4, vcc_lo
	s_xor_b32 s4, exec_lo, s4
; %bb.41:
	v_bfe_u32 v84, v80, 16, 1
	s_delay_alu instid0(VALU_DEP_1)
	v_add3_u32 v84, v80, v84, 0x7fff
                                        ; implicit-def: $vgpr80
; %bb.42:
	s_and_not1_saveexec_b32 s4, s4
; %bb.43:
	v_and_b32_e32 v84, 0xffff, v80
	v_or_b32_e32 v90, 0x10000, v80
	s_delay_alu instid0(VALU_DEP_2) | instskip(NEXT) | instid1(VALU_DEP_2)
	v_cmp_eq_u32_e32 vcc_lo, 0, v84
	v_cndmask_b32_e32 v84, v90, v80, vcc_lo
; %bb.44:
	s_or_b32 exec_lo, exec_lo, s4
	s_load_b64 s[36:37], s[0:1], 0x94
	v_lshlrev_b32_e32 v91, 4, v74
	s_delay_alu instid0(VALU_DEP_2)
	v_perm_b32 v90, v84, v87, 0x7060302
	v_dual_mul_f32 v79, v82, v79 :: v_dual_lshlrev_b32 v80, 6, v65
	v_dual_mul_f32 v77, v82, v77 :: v_dual_lshlrev_b32 v92, 11, v66
	v_mul_f32_e32 v84, v82, v70
	v_perm_b32 v89, v88, v89, 0x7060302
	v_perm_b32 v88, v86, v85, 0x7060302
	;; [unrolled: 1-line block ×3, first 2 shown]
	v_mul_f32_e32 v70, v82, v81
	v_or3_b32 v76, v91, v92, v80
	v_dual_mul_f32 v78, v82, v78 :: v_dual_and_b32 v85, 0x7f800000, v84
	v_mul_f32_e32 v83, v82, v72
	v_mul_f32_e32 v81, v82, v71
	;; [unrolled: 1-line block ×3, first 2 shown]
	s_mov_b32 s4, exec_lo
	ds_store_b128 v76, v[87:90]
                                        ; implicit-def: $vgpr69
	v_cmpx_ne_u32_e32 0x7f800000, v85
	s_xor_b32 s4, exec_lo, s4
; %bb.45:
	v_bfe_u32 v69, v84, 16, 1
	s_delay_alu instid0(VALU_DEP_1)
	v_add3_u32 v69, v84, v69, 0x7fff
                                        ; implicit-def: $vgpr84
; %bb.46:
	s_and_not1_saveexec_b32 s4, s4
; %bb.47:
	v_and_b32_e32 v69, 0xffff, v84
	v_or_b32_e32 v71, 0x10000, v84
	s_delay_alu instid0(VALU_DEP_2) | instskip(NEXT) | instid1(VALU_DEP_2)
	v_cmp_eq_u32_e32 vcc_lo, 0, v69
	v_cndmask_b32_e32 v69, v71, v84, vcc_lo
; %bb.48:
	s_or_b32 exec_lo, exec_lo, s4
	v_and_b32_e32 v71, 0x7f800000, v72
	s_delay_alu instid0(VALU_DEP_1) | instskip(SKIP_1) | instid1(SALU_CYCLE_1)
	v_cmp_ne_u32_e32 vcc_lo, 0x7f800000, v71
                                        ; implicit-def: $vgpr71
	s_and_saveexec_b32 s4, vcc_lo
	s_xor_b32 s4, exec_lo, s4
; %bb.49:
	v_bfe_u32 v71, v72, 16, 1
	s_delay_alu instid0(VALU_DEP_1)
	v_add3_u32 v71, v72, v71, 0x7fff
                                        ; implicit-def: $vgpr72
; %bb.50:
	s_and_not1_saveexec_b32 s4, s4
; %bb.51:
	v_and_b32_e32 v71, 0xffff, v72
	v_or_b32_e32 v82, 0x10000, v72
	s_delay_alu instid0(VALU_DEP_2) | instskip(NEXT) | instid1(VALU_DEP_2)
	v_cmp_eq_u32_e32 vcc_lo, 0, v71
	v_cndmask_b32_e32 v71, v82, v72, vcc_lo
; %bb.52:
	s_or_b32 exec_lo, exec_lo, s4
	v_and_b32_e32 v72, 0x7f800000, v81
	s_delay_alu instid0(VALU_DEP_1) | instskip(SKIP_1) | instid1(SALU_CYCLE_1)
	v_cmp_ne_u32_e32 vcc_lo, 0x7f800000, v72
                                        ; implicit-def: $vgpr72
	s_and_saveexec_b32 s4, vcc_lo
	s_xor_b32 s4, exec_lo, s4
; %bb.53:
	v_bfe_u32 v72, v81, 16, 1
	s_delay_alu instid0(VALU_DEP_1)
	v_add3_u32 v72, v81, v72, 0x7fff
                                        ; implicit-def: $vgpr81
; %bb.54:
	s_and_not1_saveexec_b32 s4, s4
; %bb.55:
	v_and_b32_e32 v72, 0xffff, v81
	v_or_b32_e32 v82, 0x10000, v81
	s_delay_alu instid0(VALU_DEP_2) | instskip(NEXT) | instid1(VALU_DEP_2)
	v_cmp_eq_u32_e32 vcc_lo, 0, v72
	v_cndmask_b32_e32 v72, v82, v81, vcc_lo
; %bb.56:
	s_or_b32 exec_lo, exec_lo, s4
	v_and_b32_e32 v81, 0x7f800000, v83
	s_delay_alu instid0(VALU_DEP_1) | instskip(SKIP_1) | instid1(SALU_CYCLE_1)
	v_cmp_ne_u32_e32 vcc_lo, 0x7f800000, v81
                                        ; implicit-def: $vgpr81
	s_and_saveexec_b32 s4, vcc_lo
	s_xor_b32 s4, exec_lo, s4
; %bb.57:
	v_bfe_u32 v81, v83, 16, 1
	s_delay_alu instid0(VALU_DEP_1)
	v_add3_u32 v81, v83, v81, 0x7fff
                                        ; implicit-def: $vgpr83
; %bb.58:
	s_and_not1_saveexec_b32 s4, s4
; %bb.59:
	v_and_b32_e32 v81, 0xffff, v83
	v_or_b32_e32 v82, 0x10000, v83
	s_delay_alu instid0(VALU_DEP_2) | instskip(NEXT) | instid1(VALU_DEP_2)
	v_cmp_eq_u32_e32 vcc_lo, 0, v81
	v_cndmask_b32_e32 v81, v82, v83, vcc_lo
; %bb.60:
	s_or_b32 exec_lo, exec_lo, s4
	v_and_b32_e32 v82, 0x7f800000, v77
	s_delay_alu instid0(VALU_DEP_1) | instskip(SKIP_1) | instid1(SALU_CYCLE_1)
	v_cmp_ne_u32_e32 vcc_lo, 0x7f800000, v82
                                        ; implicit-def: $vgpr82
	s_and_saveexec_b32 s4, vcc_lo
	s_xor_b32 s4, exec_lo, s4
; %bb.61:
	v_bfe_u32 v82, v77, 16, 1
	s_delay_alu instid0(VALU_DEP_1)
	v_add3_u32 v82, v77, v82, 0x7fff
                                        ; implicit-def: $vgpr77
; %bb.62:
	s_and_not1_saveexec_b32 s4, s4
; %bb.63:
	v_and_b32_e32 v82, 0xffff, v77
	v_or_b32_e32 v83, 0x10000, v77
	s_delay_alu instid0(VALU_DEP_2) | instskip(NEXT) | instid1(VALU_DEP_2)
	v_cmp_eq_u32_e32 vcc_lo, 0, v82
	v_cndmask_b32_e32 v82, v83, v77, vcc_lo
; %bb.64:
	s_or_b32 exec_lo, exec_lo, s4
	v_and_b32_e32 v77, 0x7f800000, v78
	s_delay_alu instid0(VALU_DEP_1) | instskip(SKIP_1) | instid1(SALU_CYCLE_1)
	v_cmp_ne_u32_e32 vcc_lo, 0x7f800000, v77
                                        ; implicit-def: $vgpr77
	s_and_saveexec_b32 s4, vcc_lo
	s_xor_b32 s4, exec_lo, s4
; %bb.65:
	v_bfe_u32 v77, v78, 16, 1
	s_delay_alu instid0(VALU_DEP_1)
	v_add3_u32 v77, v78, v77, 0x7fff
                                        ; implicit-def: $vgpr78
; %bb.66:
	s_and_not1_saveexec_b32 s4, s4
; %bb.67:
	v_and_b32_e32 v77, 0xffff, v78
	v_or_b32_e32 v83, 0x10000, v78
	s_delay_alu instid0(VALU_DEP_2) | instskip(NEXT) | instid1(VALU_DEP_2)
	v_cmp_eq_u32_e32 vcc_lo, 0, v77
	v_cndmask_b32_e32 v77, v83, v78, vcc_lo
; %bb.68:
	s_or_b32 exec_lo, exec_lo, s4
	v_and_b32_e32 v78, 0x7f800000, v79
	s_delay_alu instid0(VALU_DEP_1) | instskip(SKIP_1) | instid1(SALU_CYCLE_1)
	v_cmp_ne_u32_e32 vcc_lo, 0x7f800000, v78
                                        ; implicit-def: $vgpr78
	s_and_saveexec_b32 s4, vcc_lo
	s_xor_b32 s4, exec_lo, s4
; %bb.69:
	v_bfe_u32 v78, v79, 16, 1
	s_delay_alu instid0(VALU_DEP_1)
	v_add3_u32 v78, v79, v78, 0x7fff
                                        ; implicit-def: $vgpr79
; %bb.70:
	s_and_not1_saveexec_b32 s4, s4
; %bb.71:
	v_and_b32_e32 v78, 0xffff, v79
	v_or_b32_e32 v83, 0x10000, v79
	s_delay_alu instid0(VALU_DEP_2) | instskip(NEXT) | instid1(VALU_DEP_2)
	v_cmp_eq_u32_e32 vcc_lo, 0, v78
	v_cndmask_b32_e32 v78, v83, v79, vcc_lo
; %bb.72:
	s_or_b32 exec_lo, exec_lo, s4
	v_and_b32_e32 v79, 0x7f800000, v70
	s_delay_alu instid0(VALU_DEP_1) | instskip(SKIP_1) | instid1(SALU_CYCLE_1)
	v_cmp_ne_u32_e32 vcc_lo, 0x7f800000, v79
                                        ; implicit-def: $vgpr79
	s_and_saveexec_b32 s4, vcc_lo
	s_xor_b32 s4, exec_lo, s4
; %bb.73:
	v_bfe_u32 v79, v70, 16, 1
	s_delay_alu instid0(VALU_DEP_1)
	v_add3_u32 v79, v70, v79, 0x7fff
                                        ; implicit-def: $vgpr70
; %bb.74:
	s_and_not1_saveexec_b32 s4, s4
; %bb.75:
	v_and_b32_e32 v79, 0xffff, v70
	v_or_b32_e32 v83, 0x10000, v70
	s_delay_alu instid0(VALU_DEP_2) | instskip(NEXT) | instid1(VALU_DEP_2)
	v_cmp_eq_u32_e32 vcc_lo, 0, v79
	v_cndmask_b32_e32 v79, v83, v70, vcc_lo
; %bb.76:
	s_or_b32 exec_lo, exec_lo, s4
	s_delay_alu instid0(VALU_DEP_1)
	v_perm_b32 v86, v79, v78, 0x7060302
	v_perm_b32 v85, v77, v82, 0x7060302
	;; [unrolled: 1-line block ×4, first 2 shown]
	v_lshl_or_b32 v82, v66, 11, v80
	ds_store_b128 v76, v[83:86] offset:1024
	s_waitcnt lgkmcnt(0)
	s_barrier
	buffer_gl0_inv
	ds_load_b128 v[69:72], v82
	ds_load_b128 v[83:86], v82 offset:16
	s_waitcnt lgkmcnt(1)
	v_lshrrev_b32_e32 v66, 16, v69
	s_waitcnt lgkmcnt(0)
	v_lshrrev_b32_e32 v91, 16, v83
	v_lshlrev_b32_e32 v78, 2, v74
	v_lshrrev_b32_e32 v95, 16, v70
	v_lshrrev_b32_e32 v98, 16, v84
	;; [unrolled: 1-line block ×4, first 2 shown]
	v_cmp_eq_u32_e32 vcc_lo, 1, v78
	v_lshrrev_b32_e32 v97, 16, v72
	v_lshrrev_b32_e32 v100, 16, v86
	v_cndmask_b32_e32 v87, v83, v91, vcc_lo
	v_or_b32_e32 v79, 1, v78
	v_cndmask_b32_e32 v81, v69, v66, vcc_lo
	v_cmp_eq_u32_e64 s5, 2, v78
	v_cmp_eq_u32_e64 s8, 3, v78
	;; [unrolled: 1-line block ×5, first 2 shown]
	v_cndmask_b32_e64 v81, v81, v70, s5
	v_cndmask_b32_e64 v87, v87, v84, s5
	v_cmp_eq_u32_e64 s9, 3, v79
	v_cndmask_b32_e64 v88, v69, v66, s4
	v_or_b32_e32 v77, 2, v78
	v_cndmask_b32_e64 v81, v81, v95, s8
	v_cndmask_b32_e64 v87, v87, v98, s8
	;; [unrolled: 1-line block ×4, first 2 shown]
	v_cmp_eq_u32_e64 s11, 5, v78
	v_cndmask_b32_e64 v81, v81, v71, s10
	v_cndmask_b32_e64 v87, v87, v85, s10
	v_cmp_eq_u32_e64 s12, 4, v79
	v_cndmask_b32_e64 v88, v88, v95, s9
	v_cmp_eq_u32_e64 s6, 1, v77
	v_cndmask_b32_e64 v89, v89, v84, s7
	v_cndmask_b32_e64 v81, v81, v96, s11
	v_cmp_eq_u32_e64 s13, 6, v78
	v_cndmask_b32_e64 v88, v88, v71, s12
	;; [unrolled: 3-line block ×3, first 2 shown]
	v_cndmask_b32_e64 v89, v89, v98, s9
	v_cndmask_b32_e64 v81, v81, v72, s13
	v_cmp_eq_u32_e64 s16, 7, v78
	v_cndmask_b32_e64 v88, v88, v96, s15
	v_cndmask_b32_e64 v87, v87, v86, s13
	v_cmp_eq_u32_e64 s17, 6, v79
	v_cmp_eq_u32_e64 s18, 2, v77
	v_cndmask_b32_e64 v89, v89, v85, s12
	v_cndmask_b32_e64 v101, v81, v97, s16
	;; [unrolled: 1-line block ×6, first 2 shown]
	v_cmp_eq_u32_e64 s19, 7, v79
	v_cmp_eq_u32_e64 s20, 3, v77
	;; [unrolled: 1-line block ×4, first 2 shown]
	v_cndmask_b32_e64 v87, v87, v84, s18
	v_cndmask_b32_e64 v103, v88, v97, s19
	;; [unrolled: 1-line block ×4, first 2 shown]
	v_or_b32_e32 v81, 3, v78
	v_cndmask_b32_e64 v93, v87, v98, s20
	v_cmp_eq_u32_e64 s25, 6, v77
	v_cndmask_b32_e64 v104, v88, v86, s17
	v_cndmask_b32_e64 v92, v89, v71, s21
	v_cmp_eq_u32_e64 s22, 1, v81
	ds_load_b128 v[87:90], v82 offset:1024
	v_cmp_eq_u32_e64 s24, 2, v81
	v_cmp_eq_u32_e64 s26, 3, v81
	v_cndmask_b32_e64 v105, v92, v96, s23
	v_cndmask_b32_e64 v66, v69, v66, s22
	;; [unrolled: 1-line block ×4, first 2 shown]
	ds_load_b128 v[91:94], v82 offset:1040
	v_cmp_eq_u32_e64 s27, 4, v81
	v_cndmask_b32_e64 v66, v66, v70, s24
	v_cmp_eq_u32_e64 s28, 7, v77
	v_cndmask_b32_e64 v70, v83, v84, s24
	v_cndmask_b32_e64 v84, v105, v72, s25
	v_cmp_eq_u32_e64 s29, 5, v81
	v_cndmask_b32_e64 v66, v66, v95, s26
	v_cmp_eq_u32_e64 s30, 6, v81
	v_cndmask_b32_e64 v70, v70, v98, s26
	v_cndmask_b32_e64 v69, v69, v99, s23
	;; [unrolled: 1-line block ×4, first 2 shown]
	s_waitcnt lgkmcnt(1)
	v_lshrrev_b32_e32 v95, 16, v87
	v_cndmask_b32_e64 v70, v70, v85, s27
	v_cndmask_b32_e64 v71, v84, v97, s28
	;; [unrolled: 1-line block ×4, first 2 shown]
	v_cndmask_b32_e32 v84, v87, v95, vcc_lo
	v_cndmask_b32_e64 v70, v70, v99, s29
	s_waitcnt lgkmcnt(0)
	v_lshrrev_b32_e32 v85, 16, v91
	v_lshrrev_b32_e32 v96, 16, v88
	v_cndmask_b32_e64 v98, v87, v95, s4
	v_cndmask_b32_e64 v84, v84, v88, s5
	;; [unrolled: 1-line block ×3, first 2 shown]
	v_cndmask_b32_e32 v99, v91, v85, vcc_lo
	v_cmp_eq_u32_e32 vcc_lo, 7, v81
	v_cndmask_b32_e64 v66, v66, v72, s30
	v_cndmask_b32_e64 v72, v84, v96, s8
	v_cndmask_b32_e64 v84, v98, v88, s7
	v_lshrrev_b32_e32 v98, 16, v92
	v_cndmask_b32_e32 v70, v70, v100, vcc_lo
	v_cndmask_b32_e64 v86, v99, v92, s5
	v_cndmask_b32_e64 v69, v69, v100, s28
	v_lshrrev_b32_e32 v100, 16, v93
	v_cndmask_b32_e64 v72, v72, v89, s10
	v_lshrrev_b32_e32 v99, 16, v89
	v_cndmask_b32_e64 v86, v86, v98, s8
	v_perm_b32 v71, v69, v71, 0x5040100
	v_cndmask_b32_e64 v84, v84, v96, s9
	s_delay_alu instid0(VALU_DEP_3) | instskip(NEXT) | instid1(VALU_DEP_2)
	v_cndmask_b32_e64 v86, v86, v93, s10
	v_cndmask_b32_e64 v84, v84, v89, s12
	s_delay_alu instid0(VALU_DEP_2) | instskip(NEXT) | instid1(VALU_DEP_1)
	v_cndmask_b32_e64 v86, v86, v100, s11
	v_cndmask_b32_e64 v69, v86, v94, s13
	;; [unrolled: 1-line block ×5, first 2 shown]
	s_delay_alu instid0(VALU_DEP_3) | instskip(NEXT) | instid1(VALU_DEP_3)
	v_cndmask_b32_e64 v86, v86, v88, s18
	v_cndmask_b32_e64 v87, v87, v88, s24
	s_delay_alu instid0(VALU_DEP_3) | instskip(NEXT) | instid1(VALU_DEP_3)
	v_cndmask_b32_e64 v88, v95, v92, s24
	v_cndmask_b32_e64 v86, v86, v96, s20
	s_delay_alu instid0(VALU_DEP_3) | instskip(NEXT) | instid1(VALU_DEP_3)
	v_cndmask_b32_e64 v87, v87, v96, s26
	v_cndmask_b32_e64 v88, v88, v98, s26
	s_delay_alu instid0(VALU_DEP_3) | instskip(NEXT) | instid1(VALU_DEP_3)
	v_cndmask_b32_e64 v86, v86, v89, s21
	v_cndmask_b32_e64 v87, v87, v89, s27
	s_delay_alu instid0(VALU_DEP_3) | instskip(NEXT) | instid1(VALU_DEP_3)
	v_cndmask_b32_e64 v88, v88, v93, s27
	v_cndmask_b32_e64 v86, v86, v99, s23
	s_delay_alu instid0(VALU_DEP_3) | instskip(NEXT) | instid1(VALU_DEP_3)
	v_cndmask_b32_e64 v87, v87, v99, s29
	v_cndmask_b32_e64 v88, v88, v100, s29
	s_delay_alu instid0(VALU_DEP_3) | instskip(NEXT) | instid1(VALU_DEP_3)
	v_cndmask_b32_e64 v86, v86, v90, s25
	v_cndmask_b32_e64 v87, v87, v90, s30
	s_delay_alu instid0(VALU_DEP_3) | instskip(SKIP_2) | instid1(VALU_DEP_2)
	v_cndmask_b32_e64 v88, v88, v94, s30
	v_cndmask_b32_e32 v66, v66, v97, vcc_lo
	v_cndmask_b32_e64 v97, v72, v99, s11
	v_perm_b32 v72, v70, v66, 0x5040100
	v_perm_b32 v70, v83, v103, 0x5040100
	v_cndmask_b32_e64 v103, v91, v85, s6
	v_cndmask_b32_e64 v85, v91, v85, s4
	;; [unrolled: 1-line block ×4, first 2 shown]
	v_lshrrev_b32_e32 v97, 16, v90
	v_cndmask_b32_e64 v91, v103, v92, s18
	v_cndmask_b32_e64 v85, v85, v92, s7
	;; [unrolled: 1-line block ×3, first 2 shown]
	s_mov_b32 s4, exec_lo
	v_cndmask_b32_e64 v83, v84, v97, s16
	v_cndmask_b32_e64 v91, v91, v98, s20
	;; [unrolled: 1-line block ×3, first 2 shown]
	v_lshrrev_b32_e32 v84, 16, v94
	v_cndmask_b32_e64 v66, v66, v97, s19
	v_cndmask_b32_e64 v90, v86, v97, s28
	;; [unrolled: 1-line block ×4, first 2 shown]
	v_dual_cndmask_b32 v86, v87, v97 :: v_dual_cndmask_b32 v87, v88, v84
	v_cndmask_b32_e64 v91, v69, v84, s16
	s_delay_alu instid0(VALU_DEP_4) | instskip(NEXT) | instid1(VALU_DEP_4)
	v_cndmask_b32_e64 v89, v89, v100, s23
	v_cndmask_b32_e64 v85, v85, v100, s15
	v_perm_b32 v69, v102, v101, 0x5040100
	v_perm_b32 v86, v87, v86, 0x5040100
	;; [unrolled: 1-line block ×3, first 2 shown]
	v_cndmask_b32_e64 v89, v89, v94, s25
	v_cndmask_b32_e64 v85, v85, v94, s17
	s_mul_i32 s9, s37, 7
	s_delay_alu instid0(VALU_DEP_2) | instskip(NEXT) | instid1(VALU_DEP_2)
	v_cndmask_b32_e64 v88, v89, v84, s28
	v_cndmask_b32_e64 v89, v85, v84, s19
	s_delay_alu instid0(VALU_DEP_2) | instskip(NEXT) | instid1(VALU_DEP_2)
	v_perm_b32 v85, v88, v90, 0x5040100
	v_perm_b32 v84, v89, v66, 0x5040100
	ds_store_b128 v76, v[69:72]
	ds_store_b128 v76, v[83:86] offset:1024
	v_cmpx_gt_u32_e32 7, v0
	s_cbranch_execz .LBB1716_78
; %bb.77:
	s_mul_i32 s5, s9, s34
	s_load_b128 s[16:19], s[0:1], 0x58
	v_add3_u32 v69, s5, s31, v65
	s_delay_alu instid0(VALU_DEP_1) | instskip(NEXT) | instid1(VALU_DEP_1)
	v_mad_u64_u32 v[65:66], null, v69, s36, s[14:15]
	v_ashrrev_i32_e32 v66, 31, v65
	s_delay_alu instid0(VALU_DEP_1) | instskip(SKIP_1) | instid1(VALU_DEP_1)
	v_lshlrev_b64 v[65:66], 2, v[65:66]
	s_waitcnt lgkmcnt(0)
	v_add_co_u32 v69, vcc_lo, s18, v65
	s_delay_alu instid0(VALU_DEP_2)
	v_add_co_ci_u32_e32 v70, vcc_lo, s19, v66, vcc_lo
	v_add_co_u32 v65, vcc_lo, s16, v65
	v_add_co_ci_u32_e32 v66, vcc_lo, s17, v66, vcc_lo
	global_store_b32 v[69:70], v67, off
	global_store_b32 v[65:66], v68, off
.LBB1716_78:
	s_or_b32 exec_lo, exec_lo, s4
	s_waitcnt lgkmcnt(0)
	s_waitcnt_vscnt null, 0x0
	s_barrier
	buffer_gl0_inv
	ds_load_b128 v[83:86], v80
	ds_load_b128 v[87:90], v80 offset:16
	ds_load_b128 v[95:98], v80 offset:2064
	;; [unrolled: 1-line block ×3, first 2 shown]
	v_mov_b32_e32 v65, 0
	ds_load_b128 v[103:106], v80 offset:4112
	ds_load_b128 v[99:102], v80 offset:4096
	;; [unrolled: 1-line block ×4, first 2 shown]
	v_mov_b32_e32 v66, v65
	v_mov_b32_e32 v67, v65
	;; [unrolled: 1-line block ×7, first 2 shown]
	s_waitcnt lgkmcnt(6)
	s_delay_alu instid0(VALU_DEP_1)
	v_wmma_f32_16x16x16_bf16 v[65:72], v[57:64], v[83:90], v[65:72]
	ds_load_b128 v[61:64], v80 offset:8208
	ds_load_b128 v[57:60], v80 offset:8192
	s_waitcnt lgkmcnt(6)
	v_wmma_f32_16x16x16_bf16 v[65:72], v[41:48], v[91:98], v[65:72]
	ds_load_b128 v[45:48], v80 offset:10256
	ds_load_b128 v[41:44], v80 offset:10240
	s_waitcnt lgkmcnt(6)
	;; [unrolled: 4-line block ×4, first 2 shown]
	v_wmma_f32_16x16x16_bf16 v[65:72], v[1:8], v[57:64], v[65:72]
	s_waitcnt lgkmcnt(4)
	s_delay_alu instid0(VALU_DEP_1) | instskip(SKIP_1) | instid1(VALU_DEP_1)
	v_wmma_f32_16x16x16_bf16 v[65:72], v[9:16], v[41:48], v[65:72]
	s_waitcnt lgkmcnt(2)
	v_wmma_f32_16x16x16_bf16 v[65:72], v[17:24], v[33:40], v[65:72]
	s_waitcnt lgkmcnt(0)
	s_delay_alu instid0(VALU_DEP_1) | instskip(NEXT) | instid1(VALU_DEP_1)
	v_wmma_f32_16x16x16_bf16 v[65:72], v[49:56], v[25:32], v[65:72]
	v_and_b32_e32 v1, 0x7f800000, v65
	s_delay_alu instid0(VALU_DEP_1) | instskip(SKIP_1) | instid1(SALU_CYCLE_1)
	v_cmp_ne_u32_e32 vcc_lo, 0x7f800000, v1
                                        ; implicit-def: $vgpr1
	s_and_saveexec_b32 s4, vcc_lo
	s_xor_b32 s4, exec_lo, s4
; %bb.79:
	v_bfe_u32 v1, v65, 16, 1
	s_delay_alu instid0(VALU_DEP_1)
	v_add3_u32 v1, v65, v1, 0x7fff
; %bb.80:
	s_and_not1_saveexec_b32 s4, s4
; %bb.81:
	v_and_b32_e32 v1, 0xffff, v65
	v_or_b32_e32 v2, 0x10000, v65
	s_delay_alu instid0(VALU_DEP_2) | instskip(NEXT) | instid1(VALU_DEP_2)
	v_cmp_eq_u32_e32 vcc_lo, 0, v1
	v_cndmask_b32_e32 v1, v2, v65, vcc_lo
; %bb.82:
	s_or_b32 exec_lo, exec_lo, s4
	v_and_b32_e32 v2, 0x7f800000, v66
	s_delay_alu instid0(VALU_DEP_1) | instskip(SKIP_1) | instid1(SALU_CYCLE_1)
	v_cmp_ne_u32_e32 vcc_lo, 0x7f800000, v2
                                        ; implicit-def: $vgpr2
	s_and_saveexec_b32 s4, vcc_lo
	s_xor_b32 s4, exec_lo, s4
; %bb.83:
	v_bfe_u32 v2, v66, 16, 1
	s_delay_alu instid0(VALU_DEP_1)
	v_add3_u32 v2, v66, v2, 0x7fff
; %bb.84:
	s_and_not1_saveexec_b32 s4, s4
; %bb.85:
	v_and_b32_e32 v2, 0xffff, v66
	v_or_b32_e32 v3, 0x10000, v66
	s_delay_alu instid0(VALU_DEP_2) | instskip(NEXT) | instid1(VALU_DEP_2)
	v_cmp_eq_u32_e32 vcc_lo, 0, v2
	v_cndmask_b32_e32 v2, v3, v66, vcc_lo
; %bb.86:
	s_or_b32 exec_lo, exec_lo, s4
	v_and_b32_e32 v3, 0x7f800000, v67
	s_delay_alu instid0(VALU_DEP_1) | instskip(SKIP_1) | instid1(SALU_CYCLE_1)
	v_cmp_ne_u32_e32 vcc_lo, 0x7f800000, v3
                                        ; implicit-def: $vgpr3
	s_and_saveexec_b32 s4, vcc_lo
	s_xor_b32 s4, exec_lo, s4
; %bb.87:
	v_bfe_u32 v3, v67, 16, 1
	s_delay_alu instid0(VALU_DEP_1)
	v_add3_u32 v3, v67, v3, 0x7fff
; %bb.88:
	s_and_not1_saveexec_b32 s4, s4
; %bb.89:
	v_and_b32_e32 v3, 0xffff, v67
	v_or_b32_e32 v4, 0x10000, v67
	s_delay_alu instid0(VALU_DEP_2) | instskip(NEXT) | instid1(VALU_DEP_2)
	v_cmp_eq_u32_e32 vcc_lo, 0, v3
	v_cndmask_b32_e32 v3, v4, v67, vcc_lo
; %bb.90:
	s_or_b32 exec_lo, exec_lo, s4
	v_and_b32_e32 v4, 0x7f800000, v68
	s_delay_alu instid0(VALU_DEP_1) | instskip(SKIP_1) | instid1(SALU_CYCLE_1)
	v_cmp_ne_u32_e32 vcc_lo, 0x7f800000, v4
                                        ; implicit-def: $vgpr4
	s_and_saveexec_b32 s4, vcc_lo
	s_xor_b32 s4, exec_lo, s4
; %bb.91:
	v_bfe_u32 v4, v68, 16, 1
	s_delay_alu instid0(VALU_DEP_1)
	v_add3_u32 v4, v68, v4, 0x7fff
; %bb.92:
	s_and_not1_saveexec_b32 s4, s4
; %bb.93:
	v_and_b32_e32 v4, 0xffff, v68
	v_or_b32_e32 v5, 0x10000, v68
	s_delay_alu instid0(VALU_DEP_2) | instskip(NEXT) | instid1(VALU_DEP_2)
	v_cmp_eq_u32_e32 vcc_lo, 0, v4
	v_cndmask_b32_e32 v4, v5, v68, vcc_lo
; %bb.94:
	s_or_b32 exec_lo, exec_lo, s4
	v_and_b32_e32 v5, 0x7f800000, v69
	s_delay_alu instid0(VALU_DEP_1) | instskip(SKIP_1) | instid1(SALU_CYCLE_1)
	v_cmp_ne_u32_e32 vcc_lo, 0x7f800000, v5
                                        ; implicit-def: $vgpr5
	s_and_saveexec_b32 s4, vcc_lo
	s_xor_b32 s4, exec_lo, s4
; %bb.95:
	v_bfe_u32 v5, v69, 16, 1
	s_delay_alu instid0(VALU_DEP_1)
	v_add3_u32 v5, v69, v5, 0x7fff
; %bb.96:
	s_and_not1_saveexec_b32 s4, s4
; %bb.97:
	v_and_b32_e32 v5, 0xffff, v69
	v_or_b32_e32 v6, 0x10000, v69
	s_delay_alu instid0(VALU_DEP_2) | instskip(NEXT) | instid1(VALU_DEP_2)
	v_cmp_eq_u32_e32 vcc_lo, 0, v5
	v_cndmask_b32_e32 v5, v6, v69, vcc_lo
; %bb.98:
	s_or_b32 exec_lo, exec_lo, s4
	v_and_b32_e32 v6, 0x7f800000, v70
	s_delay_alu instid0(VALU_DEP_1) | instskip(SKIP_1) | instid1(SALU_CYCLE_1)
	v_cmp_ne_u32_e32 vcc_lo, 0x7f800000, v6
                                        ; implicit-def: $vgpr6
	s_and_saveexec_b32 s4, vcc_lo
	s_xor_b32 s4, exec_lo, s4
; %bb.99:
	v_bfe_u32 v6, v70, 16, 1
	s_delay_alu instid0(VALU_DEP_1)
	v_add3_u32 v6, v70, v6, 0x7fff
; %bb.100:
	s_and_not1_saveexec_b32 s4, s4
; %bb.101:
	v_and_b32_e32 v6, 0xffff, v70
	v_or_b32_e32 v7, 0x10000, v70
	s_delay_alu instid0(VALU_DEP_2) | instskip(NEXT) | instid1(VALU_DEP_2)
	v_cmp_eq_u32_e32 vcc_lo, 0, v6
	v_cndmask_b32_e32 v6, v7, v70, vcc_lo
; %bb.102:
	s_or_b32 exec_lo, exec_lo, s4
	v_and_b32_e32 v7, 0x7f800000, v71
	s_delay_alu instid0(VALU_DEP_1) | instskip(SKIP_1) | instid1(SALU_CYCLE_1)
	v_cmp_ne_u32_e32 vcc_lo, 0x7f800000, v7
                                        ; implicit-def: $vgpr7
	s_and_saveexec_b32 s4, vcc_lo
	s_xor_b32 s4, exec_lo, s4
; %bb.103:
	v_bfe_u32 v7, v71, 16, 1
	s_delay_alu instid0(VALU_DEP_1)
	v_add3_u32 v7, v71, v7, 0x7fff
; %bb.104:
	s_and_not1_saveexec_b32 s4, s4
; %bb.105:
	v_and_b32_e32 v7, 0xffff, v71
	v_or_b32_e32 v8, 0x10000, v71
	s_delay_alu instid0(VALU_DEP_2) | instskip(NEXT) | instid1(VALU_DEP_2)
	v_cmp_eq_u32_e32 vcc_lo, 0, v7
	v_cndmask_b32_e32 v7, v8, v71, vcc_lo
; %bb.106:
	s_or_b32 exec_lo, exec_lo, s4
	v_and_b32_e32 v8, 0x7f800000, v72
	s_delay_alu instid0(VALU_DEP_1) | instskip(SKIP_1) | instid1(SALU_CYCLE_1)
	v_cmp_ne_u32_e32 vcc_lo, 0x7f800000, v8
                                        ; implicit-def: $vgpr8
	s_and_saveexec_b32 s4, vcc_lo
	s_xor_b32 s4, exec_lo, s4
; %bb.107:
	v_bfe_u32 v8, v72, 16, 1
	s_delay_alu instid0(VALU_DEP_1)
	v_add3_u32 v8, v72, v8, 0x7fff
                                        ; implicit-def: $vgpr65_vgpr66_vgpr67_vgpr68_vgpr69_vgpr70_vgpr71_vgpr72
; %bb.108:
	s_and_not1_saveexec_b32 s4, s4
; %bb.109:
	v_and_b32_e32 v8, 0xffff, v72
	v_or_b32_e32 v9, 0x10000, v72
	s_delay_alu instid0(VALU_DEP_2) | instskip(NEXT) | instid1(VALU_DEP_2)
	v_cmp_eq_u32_e32 vcc_lo, 0, v8
	v_cndmask_b32_e32 v8, v9, v72, vcc_lo
; %bb.110:
	s_or_b32 exec_lo, exec_lo, s4
	s_delay_alu instid0(VALU_DEP_1)
	v_perm_b32 v7, v8, v7, 0x7060302
	v_perm_b32 v6, v6, v5, 0x7060302
	;; [unrolled: 1-line block ×4, first 2 shown]
	s_barrier
	buffer_gl0_inv
	v_cmp_eq_u32_e32 vcc_lo, 1, v78
	ds_store_b128 v76, v[4:7]
	s_waitcnt lgkmcnt(0)
	s_barrier
	buffer_gl0_inv
	ds_load_b128 v[1:4], v82
	ds_load_b128 v[5:8], v82 offset:16
	v_cmp_eq_u32_e64 s4, 1, v79
	v_cmp_eq_u32_e64 s5, 2, v78
	v_cmp_eq_u32_e64 s6, 3, v78
	v_cmp_eq_u32_e64 s8, 2, v77
	v_cmp_eq_u32_e64 s7, 7, v79
	s_waitcnt lgkmcnt(1)
	v_lshrrev_b32_e32 v9, 16, v1
	s_waitcnt lgkmcnt(0)
	v_lshrrev_b32_e32 v13, 16, v5
	v_lshrrev_b32_e32 v10, 16, v2
	;; [unrolled: 1-line block ×4, first 2 shown]
	v_cndmask_b32_e64 v19, v1, v9, s4
	v_cndmask_b32_e32 v18, v5, v13, vcc_lo
	v_cndmask_b32_e64 v20, v5, v13, s4
	v_cndmask_b32_e32 v17, v1, v9, vcc_lo
	v_cmp_eq_u32_e32 vcc_lo, 2, v79
	v_lshrrev_b32_e32 v15, 16, v7
	v_cmp_eq_u32_e64 s4, 1, v77
	v_lshrrev_b32_e32 v12, 16, v4
	v_lshrrev_b32_e32 v16, 16, v8
	v_cndmask_b32_e32 v20, v20, v6, vcc_lo
	v_cndmask_b32_e64 v17, v17, v2, s5
	v_cndmask_b32_e32 v19, v19, v2, vcc_lo
	v_cndmask_b32_e64 v18, v18, v6, s5
	v_cmp_eq_u32_e32 vcc_lo, 4, v78
	v_cmp_eq_u32_e64 s5, 3, v79
	v_cndmask_b32_e64 v17, v17, v10, s6
	v_cndmask_b32_e64 v21, v1, v9, s4
	;; [unrolled: 1-line block ×5, first 2 shown]
	v_cndmask_b32_e32 v17, v17, v3, vcc_lo
	v_cndmask_b32_e64 v20, v20, v14, s5
	v_cndmask_b32_e32 v18, v18, v7, vcc_lo
	v_cmp_eq_u32_e32 vcc_lo, 4, v79
	v_cmp_eq_u32_e64 s5, 5, v79
	v_cmp_eq_u32_e64 s4, 2, v81
	v_cndmask_b32_e64 v21, v21, v2, s8
	v_cmp_eq_u32_e64 s6, 5, v78
	v_cndmask_b32_e32 v19, v19, v3, vcc_lo
	v_cndmask_b32_e32 v20, v20, v7, vcc_lo
	v_cmp_eq_u32_e32 vcc_lo, 6, v79
	s_delay_alu instid0(VALU_DEP_4) | instskip(NEXT) | instid1(VALU_DEP_4)
	v_cndmask_b32_e64 v17, v17, v11, s6
	v_cndmask_b32_e64 v19, v19, v11, s5
	s_delay_alu instid0(VALU_DEP_4) | instskip(SKIP_1) | instid1(VALU_DEP_3)
	v_cndmask_b32_e64 v20, v20, v15, s5
	v_cmp_eq_u32_e64 s5, 1, v81
	v_cndmask_b32_e32 v19, v19, v4, vcc_lo
	v_cndmask_b32_e64 v18, v18, v15, s6
	s_delay_alu instid0(VALU_DEP_3)
	v_cndmask_b32_e64 v1, v1, v9, s5
	v_cndmask_b32_e64 v5, v5, v13, s5
	v_cmp_eq_u32_e64 s5, 3, v77
	v_cndmask_b32_e64 v13, v22, v6, s8
	v_cmp_eq_u32_e64 s8, 3, v81
	v_cndmask_b32_e64 v1, v1, v2, s4
	v_cndmask_b32_e64 v2, v5, v6, s4
	;; [unrolled: 1-line block ×3, first 2 shown]
	v_cmp_eq_u32_e64 s4, 4, v77
	v_cndmask_b32_e64 v6, v13, v14, s5
	v_cndmask_b32_e64 v1, v1, v10, s8
	v_cmp_eq_u32_e64 s5, 4, v81
	v_cndmask_b32_e64 v2, v2, v14, s8
	v_cndmask_b32_e64 v5, v9, v3, s4
	;; [unrolled: 3-line block ×3, first 2 shown]
	v_cndmask_b32_e64 v2, v2, v7, s5
	v_cmp_eq_u32_e64 s4, 5, v81
	v_cmp_eq_u32_e64 s6, 6, v78
	v_cndmask_b32_e64 v5, v5, v11, s8
	v_cmp_eq_u32_e64 s5, 6, v77
	v_cndmask_b32_e64 v3, v6, v15, s8
	v_cndmask_b32_e64 v1, v1, v11, s4
	v_cmp_eq_u32_e64 s8, 6, v81
	v_cndmask_b32_e64 v2, v2, v15, s4
	v_cndmask_b32_e64 v17, v17, v4, s6
	v_cndmask_b32_e64 v18, v18, v8, s6
	v_cmp_eq_u32_e64 s6, 7, v78
	v_cndmask_b32_e64 v5, v5, v4, s5
	;; [unrolled: 4-line block ×3, first 2 shown]
	v_cmp_eq_u32_e64 s5, 7, v77
	v_cndmask_b32_e32 v4, v20, v8, vcc_lo
	v_cndmask_b32_e64 v17, v17, v12, s6
	v_cndmask_b32_e64 v19, v19, v12, s7
	;; [unrolled: 1-line block ×8, first 2 shown]
	v_cmp_gt_u32_e32 vcc_lo, 32, v0
	v_perm_b32 v4, v2, v1, 0x5040100
	v_perm_b32 v3, v3, v5, 0x5040100
	;; [unrolled: 1-line block ×4, first 2 shown]
	s_and_b32 s2, vcc_lo, s2
	ds_store_b128 v76, v[1:4]
	s_waitcnt lgkmcnt(0)
	s_barrier
	buffer_gl0_inv
	s_and_saveexec_b32 s4, s2
	s_cbranch_execz .LBB1716_2
; %bb.111:
	s_load_b64 s[4:5], s[0:1], 0x68
	v_lshlrev_b32_e32 v0, 10, v0
	v_add_nc_u32_e32 v2, s31, v74
	v_lshlrev_b32_e32 v3, 4, v75
	s_lshl_b32 s0, s36, 6
	s_delay_alu instid0(SALU_CYCLE_1) | instskip(NEXT) | instid1(VALU_DEP_2)
	s_mul_i32 s1, s0, s34
	v_mul_lo_u32 v1, v2, s0
	s_delay_alu instid0(VALU_DEP_2)
	v_and_or_b32 v0, 0x3800, v0, v3
	v_add_nc_u32_e32 v3, 2, v2
	s_mul_i32 s6, s1, s9
	v_add_nc_u32_e32 v4, 4, v2
	s_ashr_i32 s7, s6, 31
	v_lshl_or_b32 v11, v74, 6, v0
	s_lshl_b64 s[6:7], s[6:7], 1
	v_mul_lo_u32 v15, v3, s0
	v_mul_lo_u32 v17, v4, s0
	v_ashrrev_i32_e32 v2, 31, v1
	ds_load_b128 v[3:6], v11
	ds_load_b128 v[7:10], v11 offset:128
	ds_load_b128 v[11:14], v11 offset:256
	s_waitcnt lgkmcnt(0)
	s_add_u32 s1, s4, s6
	s_addc_u32 s2, s5, s7
	s_lshl_b32 s4, s14, 6
	v_ashrrev_i32_e32 v16, 31, v15
	s_ashr_i32 s5, s4, 31
	v_lshlrev_b64 v[19:20], 1, v[1:2]
	s_lshl_b64 s[4:5], s[4:5], 1
	v_ashrrev_i32_e32 v18, 31, v17
	s_add_u32 s1, s1, s4
	s_addc_u32 s2, s2, s5
	v_add_co_u32 v1, s1, s1, v73
	s_delay_alu instid0(VALU_DEP_1) | instskip(SKIP_1) | instid1(VALU_DEP_3)
	v_add_co_ci_u32_e64 v2, null, s2, 0, s1
	v_lshlrev_b64 v[15:16], 1, v[15:16]
	v_add_co_u32 v19, vcc_lo, v1, v19
	v_lshlrev_b64 v[17:18], 1, v[17:18]
	s_delay_alu instid0(VALU_DEP_4) | instskip(NEXT) | instid1(VALU_DEP_4)
	v_add_co_ci_u32_e32 v20, vcc_lo, v2, v20, vcc_lo
	v_add_co_u32 v15, vcc_lo, v1, v15
	v_add_co_ci_u32_e32 v16, vcc_lo, v2, v16, vcc_lo
	s_delay_alu instid0(VALU_DEP_4)
	v_add_co_u32 v17, vcc_lo, v1, v17
	v_add_co_ci_u32_e32 v18, vcc_lo, v2, v18, vcc_lo
	s_clause 0x2
	global_store_b128 v[19:20], v[3:6], off
	global_store_b128 v[15:16], v[7:10], off
	;; [unrolled: 1-line block ×3, first 2 shown]
	s_and_b32 exec_lo, exec_lo, s3
	s_cbranch_execz .LBB1716_2
; %bb.112:
	ds_load_b128 v[3:6], v0 offset:384
	s_add_i32 s1, s31, 6
	s_delay_alu instid0(SALU_CYCLE_1) | instskip(NEXT) | instid1(SALU_CYCLE_1)
	s_mul_i32 s0, s1, s0
	s_ashr_i32 s1, s0, 31
	s_delay_alu instid0(SALU_CYCLE_1) | instskip(NEXT) | instid1(SALU_CYCLE_1)
	s_lshl_b64 s[0:1], s[0:1], 1
	v_add_co_u32 v0, vcc_lo, v1, s0
	v_add_co_ci_u32_e32 v1, vcc_lo, s1, v2, vcc_lo
	s_waitcnt lgkmcnt(0)
	global_store_b128 v[0:1], v[3:6], off
	s_nop 0
	s_sendmsg sendmsg(MSG_DEALLOC_VGPRS)
	s_endpgm
	.section	.rodata,"a",@progbits
	.p2align	6, 0x0
	.amdhsa_kernel _Z39paged_attention_ll4mi_QKV_mfma16_kernelI14__hip_bfloat16hLN4vllm18Fp8KVCacheDataTypeE1ES0_Li16ELi64ELi256ELb0ELi7EL8MFMAType0EEvPKT_PKT0_S9_ifPKiSB_SB_iPKfiiiPfSE_PS4_PT2_iSD_SD_
		.amdhsa_group_segment_fixed_size 17472
		.amdhsa_private_segment_fixed_size 0
		.amdhsa_kernarg_size 400
		.amdhsa_user_sgpr_count 13
		.amdhsa_user_sgpr_dispatch_ptr 0
		.amdhsa_user_sgpr_queue_ptr 0
		.amdhsa_user_sgpr_kernarg_segment_ptr 1
		.amdhsa_user_sgpr_dispatch_id 0
		.amdhsa_user_sgpr_private_segment_size 0
		.amdhsa_wavefront_size32 1
		.amdhsa_uses_dynamic_stack 0
		.amdhsa_enable_private_segment 0
		.amdhsa_system_sgpr_workgroup_id_x 1
		.amdhsa_system_sgpr_workgroup_id_y 1
		.amdhsa_system_sgpr_workgroup_id_z 1
		.amdhsa_system_sgpr_workgroup_info 0
		.amdhsa_system_vgpr_workitem_id 0
		.amdhsa_next_free_vgpr 124
		.amdhsa_next_free_sgpr 40
		.amdhsa_reserve_vcc 1
		.amdhsa_float_round_mode_32 0
		.amdhsa_float_round_mode_16_64 0
		.amdhsa_float_denorm_mode_32 3
		.amdhsa_float_denorm_mode_16_64 3
		.amdhsa_dx10_clamp 1
		.amdhsa_ieee_mode 1
		.amdhsa_fp16_overflow 0
		.amdhsa_workgroup_processor_mode 1
		.amdhsa_memory_ordered 1
		.amdhsa_forward_progress 0
		.amdhsa_shared_vgpr_count 0
		.amdhsa_exception_fp_ieee_invalid_op 0
		.amdhsa_exception_fp_denorm_src 0
		.amdhsa_exception_fp_ieee_div_zero 0
		.amdhsa_exception_fp_ieee_overflow 0
		.amdhsa_exception_fp_ieee_underflow 0
		.amdhsa_exception_fp_ieee_inexact 0
		.amdhsa_exception_int_div_zero 0
	.end_amdhsa_kernel
	.section	.text._Z39paged_attention_ll4mi_QKV_mfma16_kernelI14__hip_bfloat16hLN4vllm18Fp8KVCacheDataTypeE1ES0_Li16ELi64ELi256ELb0ELi7EL8MFMAType0EEvPKT_PKT0_S9_ifPKiSB_SB_iPKfiiiPfSE_PS4_PT2_iSD_SD_,"axG",@progbits,_Z39paged_attention_ll4mi_QKV_mfma16_kernelI14__hip_bfloat16hLN4vllm18Fp8KVCacheDataTypeE1ES0_Li16ELi64ELi256ELb0ELi7EL8MFMAType0EEvPKT_PKT0_S9_ifPKiSB_SB_iPKfiiiPfSE_PS4_PT2_iSD_SD_,comdat
.Lfunc_end1716:
	.size	_Z39paged_attention_ll4mi_QKV_mfma16_kernelI14__hip_bfloat16hLN4vllm18Fp8KVCacheDataTypeE1ES0_Li16ELi64ELi256ELb0ELi7EL8MFMAType0EEvPKT_PKT0_S9_ifPKiSB_SB_iPKfiiiPfSE_PS4_PT2_iSD_SD_, .Lfunc_end1716-_Z39paged_attention_ll4mi_QKV_mfma16_kernelI14__hip_bfloat16hLN4vllm18Fp8KVCacheDataTypeE1ES0_Li16ELi64ELi256ELb0ELi7EL8MFMAType0EEvPKT_PKT0_S9_ifPKiSB_SB_iPKfiiiPfSE_PS4_PT2_iSD_SD_
                                        ; -- End function
	.section	.AMDGPU.csdata,"",@progbits
; Kernel info:
; codeLenInByte = 8804
; NumSgprs: 42
; NumVgprs: 124
; ScratchSize: 0
; MemoryBound: 0
; FloatMode: 240
; IeeeMode: 1
; LDSByteSize: 17472 bytes/workgroup (compile time only)
; SGPRBlocks: 5
; VGPRBlocks: 15
; NumSGPRsForWavesPerEU: 42
; NumVGPRsForWavesPerEU: 124
; Occupancy: 10
; WaveLimiterHint : 1
; COMPUTE_PGM_RSRC2:SCRATCH_EN: 0
; COMPUTE_PGM_RSRC2:USER_SGPR: 13
; COMPUTE_PGM_RSRC2:TRAP_HANDLER: 0
; COMPUTE_PGM_RSRC2:TGID_X_EN: 1
; COMPUTE_PGM_RSRC2:TGID_Y_EN: 1
; COMPUTE_PGM_RSRC2:TGID_Z_EN: 1
; COMPUTE_PGM_RSRC2:TIDIG_COMP_CNT: 0
	.section	.text._Z39paged_attention_ll4mi_QKV_mfma16_kernelI14__hip_bfloat16hLN4vllm18Fp8KVCacheDataTypeE1ES0_Li16ELi64ELi256ELb0ELi8EL8MFMAType0EEvPKT_PKT0_S9_ifPKiSB_SB_iPKfiiiPfSE_PS4_PT2_iSD_SD_,"axG",@progbits,_Z39paged_attention_ll4mi_QKV_mfma16_kernelI14__hip_bfloat16hLN4vllm18Fp8KVCacheDataTypeE1ES0_Li16ELi64ELi256ELb0ELi8EL8MFMAType0EEvPKT_PKT0_S9_ifPKiSB_SB_iPKfiiiPfSE_PS4_PT2_iSD_SD_,comdat
	.protected	_Z39paged_attention_ll4mi_QKV_mfma16_kernelI14__hip_bfloat16hLN4vllm18Fp8KVCacheDataTypeE1ES0_Li16ELi64ELi256ELb0ELi8EL8MFMAType0EEvPKT_PKT0_S9_ifPKiSB_SB_iPKfiiiPfSE_PS4_PT2_iSD_SD_ ; -- Begin function _Z39paged_attention_ll4mi_QKV_mfma16_kernelI14__hip_bfloat16hLN4vllm18Fp8KVCacheDataTypeE1ES0_Li16ELi64ELi256ELb0ELi8EL8MFMAType0EEvPKT_PKT0_S9_ifPKiSB_SB_iPKfiiiPfSE_PS4_PT2_iSD_SD_
	.globl	_Z39paged_attention_ll4mi_QKV_mfma16_kernelI14__hip_bfloat16hLN4vllm18Fp8KVCacheDataTypeE1ES0_Li16ELi64ELi256ELb0ELi8EL8MFMAType0EEvPKT_PKT0_S9_ifPKiSB_SB_iPKfiiiPfSE_PS4_PT2_iSD_SD_
	.p2align	8
	.type	_Z39paged_attention_ll4mi_QKV_mfma16_kernelI14__hip_bfloat16hLN4vllm18Fp8KVCacheDataTypeE1ES0_Li16ELi64ELi256ELb0ELi8EL8MFMAType0EEvPKT_PKT0_S9_ifPKiSB_SB_iPKfiiiPfSE_PS4_PT2_iSD_SD_,@function
_Z39paged_attention_ll4mi_QKV_mfma16_kernelI14__hip_bfloat16hLN4vllm18Fp8KVCacheDataTypeE1ES0_Li16ELi64ELi256ELb0ELi8EL8MFMAType0EEvPKT_PKT0_S9_ifPKiSB_SB_iPKfiiiPfSE_PS4_PT2_iSD_SD_: ; @_Z39paged_attention_ll4mi_QKV_mfma16_kernelI14__hip_bfloat16hLN4vllm18Fp8KVCacheDataTypeE1ES0_Li16ELi64ELi256ELb0ELi8EL8MFMAType0EEvPKT_PKT0_S9_ifPKiSB_SB_iPKfiiiPfSE_PS4_PT2_iSD_SD_
; %bb.0:
	s_load_b64 s[2:3], s[0:1], 0x30
	s_mov_b32 s30, s13
	s_waitcnt lgkmcnt(0)
	s_cmp_lg_u64 s[2:3], 0
	s_cselect_b32 s8, -1, 0
	s_ashr_i32 s31, s13, 31
	s_cmp_eq_u64 s[2:3], 0
	s_cbranch_scc1 .LBB1717_3
; %bb.1:
	s_lshl_b64 s[4:5], s[30:31], 2
	s_delay_alu instid0(SALU_CYCLE_1) | instskip(SKIP_4) | instid1(SALU_CYCLE_1)
	s_add_u32 s4, s2, s4
	s_addc_u32 s5, s3, s5
	s_load_b64 s[4:5], s[4:5], 0x0
	s_waitcnt lgkmcnt(0)
	s_sub_i32 s4, s5, s4
	s_cmp_eq_u32 s4, 1
	s_cselect_b32 s4, -1, 0
	s_delay_alu instid0(SALU_CYCLE_1)
	s_and_not1_b32 vcc_lo, exec_lo, s4
	s_cbranch_vccz .LBB1717_4
.LBB1717_2:
	s_endpgm
.LBB1717_3:
.LBB1717_4:
	s_load_b64 s[4:5], s[0:1], 0x28
	s_lshl_b64 s[6:7], s[30:31], 2
	s_waitcnt lgkmcnt(0)
	s_add_u32 s4, s4, s6
	s_addc_u32 s5, s5, s7
	s_lshl_b32 s12, s14, 8
	s_load_b32 s24, s[4:5], 0x0
	s_waitcnt lgkmcnt(0)
	s_cmp_ge_i32 s12, s24
	s_cbranch_scc1 .LBB1717_2
; %bb.5:
	s_clause 0x1
	s_load_b128 s[20:23], s[0:1], 0x8
	s_load_b64 s[4:5], s[0:1], 0x20
	s_and_not1_b32 vcc_lo, exec_lo, s8
	s_cbranch_vccnz .LBB1717_7
; %bb.6:
	s_add_u32 s2, s2, s6
	s_addc_u32 s3, s3, s7
	s_load_b32 s3, s[2:3], 0x0
	s_branch .LBB1717_8
.LBB1717_7:
	s_mov_b32 s3, s30
.LBB1717_8:
	s_load_b128 s[16:19], s[0:1], 0x48
	v_and_b32_e32 v66, 15, v0
	v_cmp_gt_u32_e32 vcc_lo, 0x80, v0
	v_lshrrev_b32_e32 v65, 5, v0
	v_and_b32_e32 v67, 31, v0
	v_and_b32_e32 v74, 1, v0
	v_lshlrev_b32_e32 v1, 3, v66
	v_cmp_gt_u32_e64 s2, 8, v66
	v_bfe_u32 v75, v0, 4, 1
	s_lshl_b32 s31, s15, 3
	s_delay_alu instid0(VALU_DEP_3) | instskip(NEXT) | instid1(VALU_DEP_3)
	v_lshlrev_b32_e32 v73, 1, v1
	s_and_b32 s7, vcc_lo, s2
	s_delay_alu instid0(SALU_CYCLE_1)
	s_and_saveexec_b32 s6, s7
	s_cbranch_execz .LBB1717_10
; %bb.9:
	v_lshl_or_b32 v5, v65, 1, v75
	s_load_b64 s[8:9], s[0:1], 0x0
	s_waitcnt lgkmcnt(0)
	s_mul_hi_i32 s11, s3, s16
	s_mul_i32 s10, s3, s16
	v_lshlrev_b32_e32 v6, 10, v66
	v_or_b32_e32 v1, s31, v5
	s_lshl_b64 s[10:11], s[10:11], 1
	v_lshlrev_b32_e32 v5, 6, v5
	v_lshlrev_b32_e32 v7, 10, v74
	v_and_b32_e32 v6, 0x3800, v6
	v_lshlrev_b32_e32 v1, 6, v1
	s_delay_alu instid0(VALU_DEP_2) | instskip(NEXT) | instid1(VALU_DEP_2)
	v_or3_b32 v5, v6, v7, v5
	v_ashrrev_i32_e32 v2, 31, v1
	s_delay_alu instid0(VALU_DEP_1) | instskip(SKIP_2) | instid1(VALU_DEP_1)
	v_lshlrev_b64 v[1:2], 1, v[1:2]
	s_add_u32 s3, s8, s10
	s_addc_u32 s7, s9, s11
	v_add_co_u32 v1, vcc_lo, s3, v1
	s_delay_alu instid0(VALU_DEP_2) | instskip(NEXT) | instid1(VALU_DEP_2)
	v_add_co_ci_u32_e32 v2, vcc_lo, s7, v2, vcc_lo
	v_add_co_u32 v1, vcc_lo, v1, v73
	s_delay_alu instid0(VALU_DEP_2)
	v_add_co_ci_u32_e32 v2, vcc_lo, 0, v2, vcc_lo
	global_load_b128 v[1:4], v[1:2], off
	s_waitcnt vmcnt(0)
	ds_store_b128 v5, v[1:4]
.LBB1717_10:
	s_or_b32 exec_lo, exec_lo, s6
	v_and_b32_e32 v1, 0xef, v0
	s_waitcnt lgkmcnt(0)
	s_add_i32 s3, s24, 15
	s_clause 0x1
	s_load_b32 s6, s[0:1], 0x38
	s_load_b32 s19, s[0:1], 0x1c
	s_ashr_i32 s7, s3, 31
	v_add_nc_u32_e32 v1, s12, v1
	s_lshr_b32 s7, s7, 28
	s_waitcnt lgkmcnt(0)
	s_add_i32 s3, s3, s7
	s_barrier
	v_ashrrev_i32_e32 v2, 31, v1
	v_or_b32_e32 v3, 16, v1
	s_ashr_i32 s3, s3, 4
	v_cmp_gt_i32_e32 vcc_lo, s24, v1
	s_add_i32 s3, s3, -1
	v_lshrrev_b32_e32 v2, 28, v2
	buffer_gl0_inv
	s_mul_i32 s27, s15, s18
	v_add_nc_u32_e32 v4, v1, v2
	s_mul_i32 s6, s30, s6
	s_delay_alu instid0(SALU_CYCLE_1) | instskip(NEXT) | instid1(VALU_DEP_1)
	s_ashr_i32 s7, s6, 31
	v_ashrrev_i32_e32 v4, 4, v4
	v_add_nc_u32_e32 v2, v3, v2
	s_lshl_b64 s[6:7], s[6:7], 2
	s_delay_alu instid0(SALU_CYCLE_1) | instskip(NEXT) | instid1(VALU_DEP_2)
	s_add_u32 s26, s4, s6
	v_cndmask_b32_e32 v1, s3, v4, vcc_lo
	s_delay_alu instid0(VALU_DEP_2)
	v_ashrrev_i32_e32 v2, 4, v2
	v_cmp_gt_i32_e32 vcc_lo, s24, v3
	s_addc_u32 s25, s5, s7
	s_ashr_i32 s28, s27, 31
	s_add_u32 s13, s20, s27
	s_addc_u32 s15, s21, s28
	v_cndmask_b32_e32 v3, s3, v2, vcc_lo
	v_ashrrev_i32_e32 v2, 31, v1
	s_lshl_b32 s4, s14, 4
	s_delay_alu instid0(SALU_CYCLE_1) | instskip(NEXT) | instid1(VALU_DEP_2)
	s_ashr_i32 s5, s4, 31
	v_ashrrev_i32_e32 v4, 31, v3
	s_delay_alu instid0(VALU_DEP_2) | instskip(SKIP_1) | instid1(SALU_CYCLE_1)
	v_lshlrev_b64 v[1:2], 2, v[1:2]
	s_lshl_b64 s[4:5], s[4:5], 2
	s_add_u32 s4, s26, s4
	s_delay_alu instid0(VALU_DEP_2) | instskip(SKIP_1) | instid1(VALU_DEP_2)
	v_lshlrev_b64 v[3:4], 2, v[3:4]
	s_addc_u32 s5, s25, s5
	v_add_co_u32 v1, vcc_lo, s26, v1
	v_add_co_ci_u32_e32 v2, vcc_lo, s25, v2, vcc_lo
	s_delay_alu instid0(VALU_DEP_3) | instskip(NEXT) | instid1(VALU_DEP_4)
	v_add_co_u32 v3, vcc_lo, s26, v3
	v_add_co_ci_u32_e32 v4, vcc_lo, s25, v4, vcc_lo
	s_clause 0x1
	global_load_b32 v5, v[1:2], off
	global_load_b32 v7, v[3:4], off
	s_or_b32 s6, s12, 32
	v_lshlrev_b32_e32 v1, 4, v0
	s_ashr_i32 s7, s6, 4
	s_cmp_lt_i32 s6, s24
	s_cselect_b32 s6, s7, s3
	s_delay_alu instid0(VALU_DEP_1) | instskip(SKIP_1) | instid1(SALU_CYCLE_1)
	v_and_b32_e32 v1, 0xf0, v1
	s_ashr_i32 s7, s6, 31
	s_lshl_b64 s[6:7], s[6:7], 2
	s_delay_alu instid0(SALU_CYCLE_1)
	s_add_u32 s6, s26, s6
	s_addc_u32 s7, s25, s7
	s_or_b32 s8, s12, 64
	v_add_co_u32 v1, s13, s13, v1
	s_ashr_i32 s9, s8, 4
	s_cmp_lt_i32 s8, s24
	v_add_co_ci_u32_e64 v2, null, s15, 0, s13
	s_cselect_b32 s8, s9, s3
	s_delay_alu instid0(SALU_CYCLE_1) | instskip(NEXT) | instid1(SALU_CYCLE_1)
	s_ashr_i32 s9, s8, 31
	s_lshl_b64 s[8:9], s[8:9], 2
	s_delay_alu instid0(SALU_CYCLE_1) | instskip(SKIP_2) | instid1(SALU_CYCLE_1)
	s_add_u32 s8, s26, s8
	s_addc_u32 s9, s25, s9
	s_or_b32 s10, s12, 0x60
	s_ashr_i32 s11, s10, 4
	s_cmp_lt_i32 s10, s24
	s_cselect_b32 s10, s11, s3
	s_delay_alu instid0(SALU_CYCLE_1) | instskip(NEXT) | instid1(SALU_CYCLE_1)
	s_ashr_i32 s11, s10, 31
	s_lshl_b64 s[10:11], s[10:11], 2
	s_delay_alu instid0(SALU_CYCLE_1) | instskip(SKIP_2) | instid1(SALU_CYCLE_1)
	s_add_u32 s10, s26, s10
	s_addc_u32 s11, s25, s11
	s_or_b32 s16, s12, 0x80
	s_ashr_i32 s18, s16, 4
	s_cmp_lt_i32 s16, s24
	;; [unrolled: 10-line block ×3, first 2 shown]
	s_cselect_b32 s20, s18, s3
	s_delay_alu instid0(SALU_CYCLE_1) | instskip(NEXT) | instid1(SALU_CYCLE_1)
	s_ashr_i32 s21, s20, 31
	s_lshl_b64 s[20:21], s[20:21], 2
	s_delay_alu instid0(SALU_CYCLE_1)
	s_add_u32 s36, s26, s20
	s_addc_u32 s37, s25, s21
	s_clause 0x5
	s_load_b32 s21, s[4:5], 0x0
	s_load_b32 s13, s[6:7], 0x0
	;; [unrolled: 1-line block ×6, first 2 shown]
	s_or_b32 s7, s12, 0xc0
	s_mov_b32 s4, 0
	s_ashr_i32 s8, s7, 4
	s_cmp_lt_i32 s7, s24
	s_mov_b32 s5, s4
	s_cselect_b32 s10, s8, s3
	s_mov_b32 s6, s4
	s_ashr_i32 s11, s10, 31
	s_mov_b32 s7, s4
	s_lshl_b64 s[34:35], s[10:11], 2
	s_mov_b32 s11, s4
	s_add_u32 s34, s26, s34
	s_addc_u32 s35, s25, s35
	s_or_b32 s29, s12, 0xe0
	s_mov_b32 s8, s4
	s_ashr_i32 s33, s29, 4
	s_mov_b32 s9, s4
	s_mov_b32 s10, s4
	s_cmp_lt_i32 s29, s24
	v_dual_mov_b32 v107, s11 :: v_dual_mov_b32 v100, s4
	v_mov_b32_e32 v106, s10
	v_dual_mov_b32 v104, s8 :: v_dual_mov_b32 v103, s7
	v_dual_mov_b32 v102, s6 :: v_dual_mov_b32 v101, s5
	v_mov_b32_e32 v105, s9
	s_cselect_b32 s4, s33, s3
	s_delay_alu instid0(SALU_CYCLE_1) | instskip(NEXT) | instid1(SALU_CYCLE_1)
	s_ashr_i32 s5, s4, 31
	s_lshl_b64 s[4:5], s[4:5], 2
	s_delay_alu instid0(SALU_CYCLE_1)
	s_add_u32 s4, s26, s4
	s_addc_u32 s5, s25, s5
	s_add_u32 s6, s22, s27
	s_addc_u32 s7, s23, s28
	s_waitcnt vmcnt(1)
	v_mad_i64_i32 v[3:4], null, v5, s17, v[1:2]
	s_waitcnt vmcnt(0)
	v_mad_i64_i32 v[5:6], null, v7, s17, v[1:2]
	s_clause 0x7
	global_load_b128 v[49:52], v[3:4], off
	global_load_b128 v[53:56], v[3:4], off offset:256
	global_load_b128 v[76:79], v[5:6], off
	global_load_b128 v[80:83], v[5:6], off offset:256
	global_load_b128 v[84:87], v[3:4], off offset:512
	;; [unrolled: 1-line block ×5, first 2 shown]
	v_and_b32_e32 v1, 7, v0
	v_lshlrev_b32_e32 v2, 4, v66
	s_load_b32 s3, s[34:35], 0x0
	s_delay_alu instid0(VALU_DEP_2) | instskip(NEXT) | instid1(VALU_DEP_2)
	v_lshlrev_b32_e32 v70, 6, v1
	v_lshl_or_b32 v1, v65, 8, v2
	ds_load_b128 v[108:111], v70
	ds_load_b128 v[112:115], v70 offset:1024
	s_load_b32 s4, s[4:5], 0x0
	v_add_co_u32 v9, s6, s6, v1
	s_delay_alu instid0(VALU_DEP_1) | instskip(SKIP_1) | instid1(VALU_DEP_1)
	v_add_co_ci_u32_e64 v10, null, s7, 0, s6
	s_waitcnt lgkmcnt(0)
	v_mad_i64_i32 v[1:2], null, s21, s17, v[9:10]
	v_mad_i64_i32 v[3:4], null, s13, s17, v[9:10]
	v_mad_i64_i32 v[5:6], null, s15, s17, v[9:10]
	v_mad_i64_i32 v[7:8], null, s16, s17, v[9:10]
	v_mad_i64_i32 v[13:14], null, s20, s17, v[9:10]
	v_mad_i64_i32 v[11:12], null, s18, s17, v[9:10]
	v_mad_i64_i32 v[21:22], null, s3, s17, v[9:10]
	s_clause 0x9
	global_load_b128 v[57:60], v[1:2], off
	global_load_b128 v[61:64], v[1:2], off offset:16
	global_load_b128 v[41:44], v[3:4], off
	global_load_b128 v[45:48], v[3:4], off offset:16
	;; [unrolled: 2-line block ×5, first 2 shown]
	v_mad_i64_i32 v[68:69], null, s4, s17, v[9:10]
	s_clause 0x3
	global_load_b128 v[9:12], v[13:14], off
	global_load_b128 v[13:16], v[13:14], off offset:16
	global_load_b128 v[17:20], v[21:22], off
	global_load_b128 v[21:24], v[21:22], off offset:16
	s_waitcnt vmcnt(20)
	v_wmma_f32_16x16x16_bf16 v[116:123], v[49:56], v[108:115], v[100:107]
	s_clause 0x1
	global_load_b128 v[49:52], v[68:69], off
	global_load_b128 v[53:56], v[68:69], off offset:16
	v_and_b32_e32 v68, 0xe0, v0
	v_mbcnt_lo_u32_b32 v69, -1, 0
	s_delay_alu instid0(VALU_DEP_2)
	v_add_nc_u32_e32 v68, s12, v68
	s_waitcnt vmcnt(20)
	v_wmma_f32_16x16x16_bf16 v[100:107], v[76:83], v[108:115], v[100:107]
	ds_load_b128 v[76:79], v70 offset:2048
	ds_load_b128 v[80:83], v70 offset:3072
	v_xor_b32_e32 v70, 16, v69
	s_waitcnt vmcnt(0) lgkmcnt(0)
	v_or_b32_e32 v68, v68, v75
	s_barrier
	buffer_gl0_inv
	v_cmp_gt_i32_e32 vcc_lo, 32, v70
	v_or_b32_e32 v71, 4, v68
	v_or_b32_e32 v72, 6, v68
	v_cmp_gt_i32_e64 s3, s24, v68
	v_or_b32_e32 v108, 8, v68
	v_or_b32_e32 v109, 10, v68
	v_cmp_gt_i32_e64 s4, s24, v71
	v_cmp_gt_i32_e64 s5, s24, v72
	s_delay_alu instid0(VALU_DEP_4) | instskip(NEXT) | instid1(VALU_DEP_4)
	v_cmp_gt_i32_e64 s6, s24, v108
	v_cmp_gt_i32_e64 s7, s24, v109
	v_wmma_f32_16x16x16_bf16 v[116:123], v[84:91], v[76:83], v[116:123]
	v_cndmask_b32_e32 v69, v69, v70, vcc_lo
	v_or_b32_e32 v70, 2, v68
	v_wmma_f32_16x16x16_bf16 v[100:107], v[92:99], v[76:83], v[100:107]
	v_or_b32_e32 v89, 22, v68
	v_dual_mul_f32 v80, s19, v121 :: v_dual_mul_f32 v81, s19, v120
	v_dual_mul_f32 v92, s19, v117 :: v_dual_mul_f32 v93, s19, v116
	s_delay_alu instid0(VALU_DEP_4)
	v_mul_f32_e32 v96, s19, v105
	v_cmp_gt_i32_e32 vcc_lo, s24, v70
	v_dual_mul_f32 v79, s19, v122 :: v_dual_mul_f32 v82, s19, v119
	v_dual_mul_f32 v83, s19, v118 :: v_dual_mul_f32 v94, s19, v107
	v_cndmask_b32_e64 v93, 0xff7fffff, v93, s3
	v_cndmask_b32_e32 v92, 0xff7fffff, v92, vcc_lo
	v_or_b32_e32 v84, 12, v68
	v_or_b32_e32 v85, 14, v68
	v_cndmask_b32_e64 v71, 0xff7fffff, v83, s4
	v_cndmask_b32_e64 v72, 0xff7fffff, v82, s5
	v_cmp_gt_i32_e64 s13, s24, v89
	v_lshlrev_b32_e32 v89, 2, v69
	v_max3_f32 v82, v93, 0xff7fffff, v92
	v_or_b32_e32 v86, 16, v68
	v_or_b32_e32 v87, 18, v68
	v_mul_f32_e32 v78, s19, v123
	v_cndmask_b32_e64 v81, 0xff7fffff, v81, s6
	v_cndmask_b32_e64 v80, 0xff7fffff, v80, s7
	v_max3_f32 v71, v82, v71, v72
	v_cmp_gt_i32_e64 s8, s24, v84
	v_cmp_gt_i32_e64 s9, s24, v85
	v_or_b32_e32 v88, 20, v68
	v_or_b32_e32 v90, 24, v68
	;; [unrolled: 1-line block ×5, first 2 shown]
	v_dual_mul_f32 v97, s19, v104 :: v_dual_mul_f32 v70, s19, v101
	v_dual_mul_f32 v99, s19, v102 :: v_dual_mul_f32 v68, s19, v100
	v_cndmask_b32_e64 v72, 0xff7fffff, v79, s8
	v_cndmask_b32_e64 v78, 0xff7fffff, v78, s9
	v_max3_f32 v71, v71, v81, v80
	v_cmp_gt_i32_e64 s10, s24, v86
	v_cmp_gt_i32_e64 s11, s24, v87
	v_dual_mul_f32 v95, s19, v106 :: v_dual_mul_f32 v98, s19, v103
	s_delay_alu instid0(VALU_DEP_4) | instskip(NEXT) | instid1(VALU_DEP_4)
	v_max3_f32 v71, v71, v72, v78
	v_cndmask_b32_e64 v68, 0xff7fffff, v68, s10
	s_delay_alu instid0(VALU_DEP_4)
	v_cndmask_b32_e64 v70, 0xff7fffff, v70, s11
	v_cmp_gt_i32_e64 s12, s24, v88
	v_cndmask_b32_e64 v78, 0xff7fffff, v98, s13
	v_cmp_gt_i32_e64 s15, s24, v90
	v_cmp_gt_i32_e64 s16, s24, v91
	v_max3_f32 v68, v71, v68, v70
	v_cndmask_b32_e64 v72, 0xff7fffff, v99, s12
	v_cmp_gt_i32_e64 s17, s24, v76
	v_cndmask_b32_e64 v70, 0xff7fffff, v97, s15
	v_cndmask_b32_e64 v71, 0xff7fffff, v96, s16
	v_cmp_gt_i32_e64 s18, s24, v77
	v_max3_f32 v68, v68, v72, v78
	v_cndmask_b32_e64 v72, 0xff7fffff, v95, s17
	s_delay_alu instid0(VALU_DEP_3) | instskip(NEXT) | instid1(VALU_DEP_3)
	v_cndmask_b32_e64 v76, 0xff7fffff, v94, s18
	v_max3_f32 v68, v68, v70, v71
	s_delay_alu instid0(VALU_DEP_1) | instskip(SKIP_3) | instid1(VALU_DEP_1)
	v_max3_f32 v68, v68, v72, v76
	ds_bpermute_b32 v69, v89, v68
	s_waitcnt lgkmcnt(0)
	v_max_f32_e32 v69, v69, v69
	v_max_f32_e32 v68, v68, v69
	s_delay_alu instid0(VALU_DEP_1) | instskip(NEXT) | instid1(VALU_DEP_1)
	v_fma_f32 v71, s19, v118, -v68
	v_mul_f32_e32 v71, 0x3fb8aa3b, v71
	v_fma_f32 v70, s19, v117, -v68
	v_fma_f32 v69, s19, v116, -v68
	v_fma_f32 v76, s19, v120, -v68
	v_fma_f32 v72, s19, v119, -v68
	v_fma_f32 v78, s19, v122, -v68
	s_delay_alu instid0(VALU_DEP_4) | instskip(SKIP_1) | instid1(VALU_DEP_3)
	v_dual_mul_f32 v70, 0x3fb8aa3b, v70 :: v_dual_mul_f32 v69, 0x3fb8aa3b, v69
	v_exp_f32_e32 v71, v71
	v_mul_f32_e32 v72, 0x3fb8aa3b, v72
	v_fma_f32 v81, s19, v105, -v68
	s_delay_alu instid0(VALU_DEP_3)
	v_exp_f32_e32 v70, v70
	v_mul_f32_e32 v77, 0x3fb8aa3b, v76
	v_exp_f32_e32 v69, v69
	v_exp_f32_e32 v72, v72
	v_mul_f32_e32 v81, 0x3fb8aa3b, v81
	v_cndmask_b32_e64 v83, 0, v71, s4
	v_fma_f32 v71, s19, v123, -v68
	s_delay_alu instid0(VALU_DEP_3) | instskip(SKIP_4) | instid1(TRANS32_DEP_3)
	v_exp_f32_e32 v81, v81
	v_cndmask_b32_e32 v76, 0, v70, vcc_lo
	v_exp_f32_e32 v77, v77
	v_cndmask_b32_e64 v80, 0, v69, s3
	v_fma_f32 v69, s19, v121, -v68
	v_cndmask_b32_e64 v85, 0, v72, s5
	v_mul_f32_e32 v71, 0x3fb8aa3b, v71
	v_fma_f32 v72, s19, v100, -v68
	s_delay_alu instid0(VALU_DEP_4) | instskip(SKIP_1) | instid1(VALU_DEP_3)
	v_dual_add_f32 v70, 0, v80 :: v_dual_mul_f32 v69, 0x3fb8aa3b, v69
	s_mov_b32 s3, exec_lo
	v_exp_f32_e32 v71, v71
	s_delay_alu instid0(TRANS32_DEP_2) | instskip(SKIP_4) | instid1(VALU_DEP_3)
	v_cndmask_b32_e64 v86, 0, v77, s6
	v_fma_f32 v77, s19, v101, -v68
	v_mul_f32_e32 v78, 0x3fb8aa3b, v78
	v_add_f32_e32 v70, v70, v76
	v_exp_f32_e32 v69, v69
	v_mul_f32_e32 v77, 0x3fb8aa3b, v77
	s_delay_alu instid0(VALU_DEP_3) | instskip(NEXT) | instid1(TRANS32_DEP_3)
	v_exp_f32_e32 v78, v78
	v_cndmask_b32_e64 v88, 0, v71, s9
	v_fma_f32 v71, s19, v104, -v68
	s_delay_alu instid0(VALU_DEP_3) | instskip(NEXT) | instid1(TRANS32_DEP_3)
	v_exp_f32_e32 v77, v77
	v_cndmask_b32_e64 v87, 0, v69, s7
	s_delay_alu instid0(VALU_DEP_2)
	v_mul_f32_e32 v71, 0x3fb8aa3b, v71
	s_waitcnt_depctr 0xfff
	v_cndmask_b32_e64 v84, 0, v78, s8
	v_add_f32_e32 v70, v70, v83
	v_fma_f32 v78, s19, v103, -v68
	v_exp_f32_e32 v82, v71
	s_delay_alu instid0(VALU_DEP_2) | instskip(SKIP_1) | instid1(VALU_DEP_3)
	v_add_f32_e32 v70, v70, v85
	v_mul_f32_e32 v72, 0x3fb8aa3b, v72
	v_mul_f32_e32 v78, 0x3fb8aa3b, v78
	s_delay_alu instid0(VALU_DEP_3) | instskip(SKIP_1) | instid1(VALU_DEP_4)
	v_add_f32_e32 v69, v70, v86
	v_fma_f32 v70, s19, v102, -v68
	v_exp_f32_e32 v72, v72
	s_delay_alu instid0(VALU_DEP_3) | instskip(NEXT) | instid1(VALU_DEP_1)
	v_exp_f32_e32 v78, v78
	v_dual_add_f32 v69, v69, v87 :: v_dual_mul_f32 v70, 0x3fb8aa3b, v70
	s_delay_alu instid0(VALU_DEP_1) | instskip(NEXT) | instid1(VALU_DEP_2)
	v_add_f32_e32 v69, v69, v84
	v_exp_f32_e32 v79, v70
	s_delay_alu instid0(TRANS32_DEP_3) | instskip(NEXT) | instid1(VALU_DEP_2)
	v_cndmask_b32_e64 v70, 0, v72, s10
	v_add_f32_e32 v72, v69, v88
	v_cndmask_b32_e64 v69, 0, v77, s11
	v_fma_f32 v77, s19, v106, -v68
	s_waitcnt_depctr 0xfff
	v_cndmask_b32_e64 v71, 0, v79, s12
	v_dual_mul_f32 v77, 0x3fb8aa3b, v77 :: v_dual_add_f32 v72, v72, v70
	s_delay_alu instid0(VALU_DEP_1) | instskip(NEXT) | instid1(VALU_DEP_1)
	v_exp_f32_e32 v90, v77
	v_add_f32_e32 v79, v72, v69
	v_cndmask_b32_e64 v72, 0, v78, s13
	v_cndmask_b32_e64 v77, 0, v82, s15
	s_delay_alu instid0(VALU_DEP_3) | instskip(SKIP_1) | instid1(VALU_DEP_1)
	v_add_f32_e32 v78, v79, v71
	v_fma_f32 v79, s19, v107, -v68
	v_dual_add_f32 v82, v78, v72 :: v_dual_mul_f32 v79, 0x3fb8aa3b, v79
	v_cndmask_b32_e64 v78, 0, v81, s16
	s_delay_alu instid0(VALU_DEP_2) | instskip(NEXT) | instid1(VALU_DEP_3)
	v_add_f32_e32 v81, v82, v77
	v_exp_f32_e32 v82, v79
	v_cndmask_b32_e64 v79, 0, v90, s17
	s_delay_alu instid0(VALU_DEP_2) | instskip(NEXT) | instid1(VALU_DEP_1)
	v_add_f32_e32 v81, v81, v78
	v_add_f32_e32 v90, v81, v79
	s_waitcnt_depctr 0xfff
	v_cndmask_b32_e64 v81, 0, v82, s18
	s_delay_alu instid0(VALU_DEP_1)
	v_add_f32_e32 v82, v90, v81
	ds_bpermute_b32 v89, v89, v82
	v_cmpx_gt_u32_e32 16, v67
	s_cbranch_execz .LBB1717_12
; %bb.11:
	v_mul_u32_u24_e32 v67, 0x44, v65
	s_delay_alu instid0(VALU_DEP_1) | instskip(SKIP_1) | instid1(VALU_DEP_1)
	v_lshl_add_u32 v67, v66, 2, v67
	s_waitcnt lgkmcnt(0)
	v_dual_add_f32 v82, v82, v89 :: v_dual_add_nc_u32 v67, 0x4000, v67
	ds_store_2addr_b32 v67, v68, v82 offset1:136
.LBB1717_12:
	s_or_b32 exec_lo, exec_lo, s3
	v_lshlrev_b32_e32 v67, 2, v66
	s_waitcnt lgkmcnt(0)
	s_barrier
	buffer_gl0_inv
	v_cmp_eq_u32_e32 vcc_lo, 1, v65
	v_add_nc_u32_e32 v82, 0x4000, v67
	v_cmp_eq_u32_e64 s3, 2, v65
	v_cmp_eq_u32_e64 s5, 7, v65
	ds_load_2addr_b32 v[89:90], v82 offset1:17
	ds_load_2addr_b32 v[91:92], v82 offset0:34 offset1:51
	ds_load_2addr_b32 v[93:94], v82 offset0:68 offset1:85
	;; [unrolled: 1-line block ×4, first 2 shown]
	s_waitcnt lgkmcnt(4)
	v_max3_f32 v67, v89, 0xff7fffff, v90
	s_waitcnt lgkmcnt(3)
	s_delay_alu instid0(VALU_DEP_1) | instskip(SKIP_1) | instid1(VALU_DEP_1)
	v_max3_f32 v67, v67, v91, v92
	s_waitcnt lgkmcnt(2)
	v_max3_f32 v67, v67, v93, v94
	s_waitcnt lgkmcnt(1)
	s_delay_alu instid0(VALU_DEP_1) | instskip(NEXT) | instid1(VALU_DEP_1)
	v_max3_f32 v67, v67, v95, v96
	v_sub_f32_e32 v93, v93, v67
	s_delay_alu instid0(VALU_DEP_1) | instskip(NEXT) | instid1(VALU_DEP_1)
	v_dual_sub_f32 v68, v89, v67 :: v_dual_mul_f32 v103, 0x3fb8aa3b, v93
	v_mul_f32_e32 v68, 0x3fb8aa3b, v68
	s_delay_alu instid0(VALU_DEP_1)
	v_exp_f32_e32 v100, v68
	v_sub_f32_e32 v68, v92, v67
	v_sub_f32_e32 v99, v90, v67
	ds_load_2addr_b32 v[89:90], v82 offset0:170 offset1:187
	v_dual_mul_f32 v102, 0x3fb8aa3b, v68 :: v_dual_mul_f32 v99, 0x3fb8aa3b, v99
	s_waitcnt lgkmcnt(1)
	v_fma_f32 v68, v100, v97, 0
	s_delay_alu instid0(VALU_DEP_2) | instskip(NEXT) | instid1(VALU_DEP_2)
	v_exp_f32_e32 v102, v102
	v_exp_f32_e32 v99, v99
	s_waitcnt_depctr 0xfff
	v_fmac_f32_e32 v68, v99, v98
	v_sub_f32_e32 v91, v91, v67
	s_delay_alu instid0(VALU_DEP_1)
	v_mul_f32_e32 v101, 0x3fb8aa3b, v91
	ds_load_2addr_b32 v[91:92], v82 offset0:204 offset1:221
	v_sub_f32_e32 v97, v94, v67
	ds_load_2addr_b32 v[93:94], v82 offset0:238 offset1:255
	s_waitcnt lgkmcnt(0)
	v_exp_f32_e32 v101, v101
	s_barrier
	buffer_gl0_inv
	v_dual_fmac_f32 v68, v101, v89 :: v_dual_sub_f32 v89, v96, v67
	v_dual_sub_f32 v82, v95, v67 :: v_dual_mul_f32 v95, 0x3fb8aa3b, v97
	v_exp_f32_e32 v97, v103
	s_delay_alu instid0(VALU_DEP_2) | instskip(NEXT) | instid1(VALU_DEP_2)
	v_dual_fmac_f32 v68, v102, v90 :: v_dual_mul_f32 v89, 0x3fb8aa3b, v89
	v_mul_f32_e32 v82, 0x3fb8aa3b, v82
	s_delay_alu instid0(VALU_DEP_3) | instskip(NEXT) | instid1(VALU_DEP_2)
	v_exp_f32_e32 v95, v95
	v_exp_f32_e32 v89, v89
	s_delay_alu instid0(VALU_DEP_1)
	v_exp_f32_e32 v82, v82
	v_fmac_f32_e32 v68, v97, v91
	s_delay_alu instid0(TRANS32_DEP_3) | instid1(VALU_DEP_1)
	v_fmac_f32_e32 v68, v95, v92
	s_waitcnt_depctr 0xfff
	v_fmac_f32_e32 v68, v82, v93
	s_delay_alu instid0(VALU_DEP_1) | instskip(NEXT) | instid1(VALU_DEP_1)
	v_fmac_f32_e32 v68, v89, v94
	v_add_f32_e32 v90, 0x358637bd, v68
	s_delay_alu instid0(VALU_DEP_1) | instskip(NEXT) | instid1(VALU_DEP_1)
	v_div_scale_f32 v91, null, v90, v90, 1.0
	v_rcp_f32_e32 v92, v91
	s_waitcnt_depctr 0xfff
	v_fma_f32 v93, -v91, v92, 1.0
	s_delay_alu instid0(VALU_DEP_1) | instskip(SKIP_1) | instid1(VALU_DEP_2)
	v_dual_fmac_f32 v92, v93, v92 :: v_dual_cndmask_b32 v93, v100, v99
	v_cmp_eq_u32_e32 vcc_lo, 3, v65
	v_cndmask_b32_e64 v93, v93, v101, s3
	v_cmp_eq_u32_e64 s3, 4, v65
	s_delay_alu instid0(VALU_DEP_2) | instskip(SKIP_1) | instid1(VALU_DEP_2)
	v_cndmask_b32_e32 v93, v93, v102, vcc_lo
	v_cmp_eq_u32_e32 vcc_lo, 5, v65
	v_cndmask_b32_e64 v93, v93, v97, s3
	v_cmp_eq_u32_e64 s3, 6, v65
	s_delay_alu instid0(VALU_DEP_2) | instskip(SKIP_1) | instid1(VALU_DEP_1)
	v_cndmask_b32_e32 v93, v93, v95, vcc_lo
	v_div_scale_f32 v94, s4, 1.0, v90, 1.0
	s_mov_b32 vcc_lo, s4
	s_delay_alu instid0(VALU_DEP_2) | instskip(NEXT) | instid1(VALU_DEP_2)
	v_cndmask_b32_e64 v82, v93, v82, s3
	v_mul_f32_e32 v96, v94, v92
	s_mov_b32 s3, exec_lo
	s_delay_alu instid0(VALU_DEP_2) | instskip(NEXT) | instid1(VALU_DEP_2)
	v_cndmask_b32_e64 v82, v82, v89, s5
	v_fma_f32 v98, -v91, v96, v94
	s_delay_alu instid0(VALU_DEP_1) | instskip(NEXT) | instid1(VALU_DEP_1)
	v_fmac_f32_e32 v96, v98, v92
	v_fma_f32 v91, -v91, v96, v94
	s_delay_alu instid0(VALU_DEP_1) | instskip(NEXT) | instid1(VALU_DEP_1)
	v_div_fmas_f32 v91, v91, v92, v96
	v_div_fixup_f32 v90, v91, v90, 1.0
	s_delay_alu instid0(VALU_DEP_1) | instskip(NEXT) | instid1(VALU_DEP_1)
	v_mul_f32_e32 v82, v82, v90
	v_mul_f32_e32 v87, v82, v87
	;; [unrolled: 1-line block ×7, first 2 shown]
	v_dual_mul_f32 v86, v82, v83 :: v_dual_and_b32 v91, 0x7f800000, v90
	v_mul_f32_e32 v85, v82, v76
                                        ; implicit-def: $vgpr76
	s_delay_alu instid0(VALU_DEP_2)
	v_cmpx_ne_u32_e32 0x7f800000, v91
	s_xor_b32 s3, exec_lo, s3
; %bb.13:
	v_bfe_u32 v76, v90, 16, 1
	s_delay_alu instid0(VALU_DEP_1)
	v_add3_u32 v76, v90, v76, 0x7fff
                                        ; implicit-def: $vgpr90
; %bb.14:
	s_and_not1_saveexec_b32 s3, s3
; %bb.15:
	v_and_b32_e32 v76, 0xffff, v90
	v_or_b32_e32 v83, 0x10000, v90
	s_delay_alu instid0(VALU_DEP_2) | instskip(NEXT) | instid1(VALU_DEP_2)
	v_cmp_eq_u32_e32 vcc_lo, 0, v76
	v_cndmask_b32_e32 v76, v83, v90, vcc_lo
; %bb.16:
	s_or_b32 exec_lo, exec_lo, s3
	v_and_b32_e32 v83, 0x7f800000, v85
	s_delay_alu instid0(VALU_DEP_1) | instskip(SKIP_1) | instid1(SALU_CYCLE_1)
	v_cmp_ne_u32_e32 vcc_lo, 0x7f800000, v83
                                        ; implicit-def: $vgpr83
	s_and_saveexec_b32 s3, vcc_lo
	s_xor_b32 s3, exec_lo, s3
; %bb.17:
	v_bfe_u32 v83, v85, 16, 1
	s_delay_alu instid0(VALU_DEP_1)
	v_add3_u32 v83, v85, v83, 0x7fff
                                        ; implicit-def: $vgpr85
; %bb.18:
	s_and_not1_saveexec_b32 s3, s3
; %bb.19:
	v_and_b32_e32 v83, 0xffff, v85
	v_or_b32_e32 v90, 0x10000, v85
	s_delay_alu instid0(VALU_DEP_2) | instskip(NEXT) | instid1(VALU_DEP_2)
	v_cmp_eq_u32_e32 vcc_lo, 0, v83
	v_cndmask_b32_e32 v83, v90, v85, vcc_lo
; %bb.20:
	s_or_b32 exec_lo, exec_lo, s3
	v_and_b32_e32 v85, 0x7f800000, v86
	s_delay_alu instid0(VALU_DEP_1) | instskip(SKIP_1) | instid1(SALU_CYCLE_1)
	v_cmp_ne_u32_e32 vcc_lo, 0x7f800000, v85
                                        ; implicit-def: $vgpr85
	s_and_saveexec_b32 s3, vcc_lo
	s_xor_b32 s3, exec_lo, s3
; %bb.21:
	v_bfe_u32 v85, v86, 16, 1
	s_delay_alu instid0(VALU_DEP_1)
	v_add3_u32 v85, v86, v85, 0x7fff
                                        ; implicit-def: $vgpr86
; %bb.22:
	s_and_not1_saveexec_b32 s3, s3
; %bb.23:
	v_and_b32_e32 v85, 0xffff, v86
	v_or_b32_e32 v90, 0x10000, v86
	s_delay_alu instid0(VALU_DEP_2) | instskip(NEXT) | instid1(VALU_DEP_2)
	v_cmp_eq_u32_e32 vcc_lo, 0, v85
	v_cndmask_b32_e32 v85, v90, v86, vcc_lo
; %bb.24:
	s_or_b32 exec_lo, exec_lo, s3
	v_and_b32_e32 v86, 0x7f800000, v89
	s_delay_alu instid0(VALU_DEP_1) | instskip(SKIP_1) | instid1(SALU_CYCLE_1)
	v_cmp_ne_u32_e32 vcc_lo, 0x7f800000, v86
                                        ; implicit-def: $vgpr86
	s_and_saveexec_b32 s3, vcc_lo
	s_xor_b32 s3, exec_lo, s3
; %bb.25:
	v_bfe_u32 v86, v89, 16, 1
	s_delay_alu instid0(VALU_DEP_1)
	v_add3_u32 v86, v89, v86, 0x7fff
                                        ; implicit-def: $vgpr89
; %bb.26:
	s_and_not1_saveexec_b32 s3, s3
; %bb.27:
	v_and_b32_e32 v86, 0xffff, v89
	v_or_b32_e32 v90, 0x10000, v89
	s_delay_alu instid0(VALU_DEP_2) | instskip(NEXT) | instid1(VALU_DEP_2)
	v_cmp_eq_u32_e32 vcc_lo, 0, v86
	v_cndmask_b32_e32 v86, v90, v89, vcc_lo
; %bb.28:
	s_or_b32 exec_lo, exec_lo, s3
	v_and_b32_e32 v89, 0x7f800000, v88
	s_delay_alu instid0(VALU_DEP_1) | instskip(SKIP_1) | instid1(SALU_CYCLE_1)
	v_cmp_ne_u32_e32 vcc_lo, 0x7f800000, v89
                                        ; implicit-def: $vgpr89
	s_and_saveexec_b32 s3, vcc_lo
	s_xor_b32 s3, exec_lo, s3
; %bb.29:
	v_bfe_u32 v89, v88, 16, 1
	s_delay_alu instid0(VALU_DEP_1)
	v_add3_u32 v89, v88, v89, 0x7fff
                                        ; implicit-def: $vgpr88
; %bb.30:
	s_and_not1_saveexec_b32 s3, s3
; %bb.31:
	v_and_b32_e32 v89, 0xffff, v88
	v_or_b32_e32 v90, 0x10000, v88
	s_delay_alu instid0(VALU_DEP_2) | instskip(NEXT) | instid1(VALU_DEP_2)
	v_cmp_eq_u32_e32 vcc_lo, 0, v89
	v_cndmask_b32_e32 v89, v90, v88, vcc_lo
; %bb.32:
	s_or_b32 exec_lo, exec_lo, s3
	v_and_b32_e32 v88, 0x7f800000, v87
	s_delay_alu instid0(VALU_DEP_1) | instskip(SKIP_1) | instid1(SALU_CYCLE_1)
	v_cmp_ne_u32_e32 vcc_lo, 0x7f800000, v88
                                        ; implicit-def: $vgpr88
	s_and_saveexec_b32 s3, vcc_lo
	s_xor_b32 s3, exec_lo, s3
; %bb.33:
	v_bfe_u32 v88, v87, 16, 1
	s_delay_alu instid0(VALU_DEP_1)
	v_add3_u32 v88, v87, v88, 0x7fff
                                        ; implicit-def: $vgpr87
; %bb.34:
	s_and_not1_saveexec_b32 s3, s3
; %bb.35:
	v_and_b32_e32 v88, 0xffff, v87
	v_or_b32_e32 v90, 0x10000, v87
	s_delay_alu instid0(VALU_DEP_2) | instskip(NEXT) | instid1(VALU_DEP_2)
	v_cmp_eq_u32_e32 vcc_lo, 0, v88
	v_cndmask_b32_e32 v88, v90, v87, vcc_lo
; %bb.36:
	s_or_b32 exec_lo, exec_lo, s3
	v_and_b32_e32 v87, 0x7f800000, v84
	s_delay_alu instid0(VALU_DEP_1) | instskip(SKIP_1) | instid1(SALU_CYCLE_1)
	v_cmp_ne_u32_e32 vcc_lo, 0x7f800000, v87
                                        ; implicit-def: $vgpr87
	s_and_saveexec_b32 s3, vcc_lo
	s_xor_b32 s3, exec_lo, s3
; %bb.37:
	v_bfe_u32 v87, v84, 16, 1
	s_delay_alu instid0(VALU_DEP_1)
	v_add3_u32 v87, v84, v87, 0x7fff
                                        ; implicit-def: $vgpr84
; %bb.38:
	s_and_not1_saveexec_b32 s3, s3
; %bb.39:
	v_and_b32_e32 v87, 0xffff, v84
	v_or_b32_e32 v90, 0x10000, v84
	s_delay_alu instid0(VALU_DEP_2) | instskip(NEXT) | instid1(VALU_DEP_2)
	v_cmp_eq_u32_e32 vcc_lo, 0, v87
	v_cndmask_b32_e32 v87, v90, v84, vcc_lo
; %bb.40:
	s_or_b32 exec_lo, exec_lo, s3
	v_and_b32_e32 v84, 0x7f800000, v80
	s_delay_alu instid0(VALU_DEP_1) | instskip(SKIP_1) | instid1(SALU_CYCLE_1)
	v_cmp_ne_u32_e32 vcc_lo, 0x7f800000, v84
                                        ; implicit-def: $vgpr84
	s_and_saveexec_b32 s3, vcc_lo
	s_xor_b32 s3, exec_lo, s3
; %bb.41:
	v_bfe_u32 v84, v80, 16, 1
	s_delay_alu instid0(VALU_DEP_1)
	v_add3_u32 v84, v80, v84, 0x7fff
                                        ; implicit-def: $vgpr80
; %bb.42:
	s_and_not1_saveexec_b32 s3, s3
; %bb.43:
	v_and_b32_e32 v84, 0xffff, v80
	v_or_b32_e32 v90, 0x10000, v80
	s_delay_alu instid0(VALU_DEP_2) | instskip(NEXT) | instid1(VALU_DEP_2)
	v_cmp_eq_u32_e32 vcc_lo, 0, v84
	v_cndmask_b32_e32 v84, v90, v80, vcc_lo
; %bb.44:
	s_or_b32 exec_lo, exec_lo, s3
	s_load_b64 s[34:35], s[0:1], 0x94
	v_lshlrev_b32_e32 v91, 4, v75
	s_delay_alu instid0(VALU_DEP_2)
	v_perm_b32 v90, v84, v87, 0x7060302
	v_dual_mul_f32 v77, v82, v77 :: v_dual_lshlrev_b32 v80, 6, v66
	v_lshlrev_b32_e32 v66, 11, v65
	v_perm_b32 v87, v83, v76, 0x7060302
	v_mul_f32_e32 v83, v82, v70
	v_perm_b32 v89, v88, v89, 0x7060302
	v_perm_b32 v88, v86, v85, 0x7060302
	v_or3_b32 v76, v91, v66, v80
	v_mul_f32_e32 v66, v82, v81
	v_mul_f32_e32 v70, v82, v79
	;; [unrolled: 1-line block ×3, first 2 shown]
	v_dual_mul_f32 v81, v82, v72 :: v_dual_and_b32 v84, 0x7f800000, v83
	v_mul_f32_e32 v79, v82, v71
	v_mul_f32_e32 v72, v82, v69
	s_mov_b32 s3, exec_lo
	ds_store_b128 v76, v[87:90]
                                        ; implicit-def: $vgpr69
	v_cmpx_ne_u32_e32 0x7f800000, v84
	s_xor_b32 s3, exec_lo, s3
; %bb.45:
	v_bfe_u32 v69, v83, 16, 1
	s_delay_alu instid0(VALU_DEP_1)
	v_add3_u32 v69, v83, v69, 0x7fff
                                        ; implicit-def: $vgpr83
; %bb.46:
	s_and_not1_saveexec_b32 s3, s3
; %bb.47:
	v_and_b32_e32 v69, 0xffff, v83
	v_or_b32_e32 v71, 0x10000, v83
	s_delay_alu instid0(VALU_DEP_2) | instskip(NEXT) | instid1(VALU_DEP_2)
	v_cmp_eq_u32_e32 vcc_lo, 0, v69
	v_cndmask_b32_e32 v69, v71, v83, vcc_lo
; %bb.48:
	s_or_b32 exec_lo, exec_lo, s3
	v_and_b32_e32 v71, 0x7f800000, v72
	s_delay_alu instid0(VALU_DEP_1) | instskip(SKIP_1) | instid1(SALU_CYCLE_1)
	v_cmp_ne_u32_e32 vcc_lo, 0x7f800000, v71
                                        ; implicit-def: $vgpr71
	s_and_saveexec_b32 s3, vcc_lo
	s_xor_b32 s3, exec_lo, s3
; %bb.49:
	v_bfe_u32 v71, v72, 16, 1
	s_delay_alu instid0(VALU_DEP_1)
	v_add3_u32 v71, v72, v71, 0x7fff
                                        ; implicit-def: $vgpr72
; %bb.50:
	s_and_not1_saveexec_b32 s3, s3
; %bb.51:
	v_and_b32_e32 v71, 0xffff, v72
	v_or_b32_e32 v82, 0x10000, v72
	s_delay_alu instid0(VALU_DEP_2) | instskip(NEXT) | instid1(VALU_DEP_2)
	v_cmp_eq_u32_e32 vcc_lo, 0, v71
	v_cndmask_b32_e32 v71, v82, v72, vcc_lo
; %bb.52:
	s_or_b32 exec_lo, exec_lo, s3
	v_and_b32_e32 v72, 0x7f800000, v79
	s_delay_alu instid0(VALU_DEP_1) | instskip(SKIP_1) | instid1(SALU_CYCLE_1)
	v_cmp_ne_u32_e32 vcc_lo, 0x7f800000, v72
                                        ; implicit-def: $vgpr72
	s_and_saveexec_b32 s3, vcc_lo
	s_xor_b32 s3, exec_lo, s3
; %bb.53:
	v_bfe_u32 v72, v79, 16, 1
	s_delay_alu instid0(VALU_DEP_1)
	v_add3_u32 v72, v79, v72, 0x7fff
                                        ; implicit-def: $vgpr79
; %bb.54:
	s_and_not1_saveexec_b32 s3, s3
; %bb.55:
	v_and_b32_e32 v72, 0xffff, v79
	v_or_b32_e32 v82, 0x10000, v79
	s_delay_alu instid0(VALU_DEP_2) | instskip(NEXT) | instid1(VALU_DEP_2)
	v_cmp_eq_u32_e32 vcc_lo, 0, v72
	v_cndmask_b32_e32 v72, v82, v79, vcc_lo
; %bb.56:
	s_or_b32 exec_lo, exec_lo, s3
	v_and_b32_e32 v79, 0x7f800000, v81
	s_delay_alu instid0(VALU_DEP_1) | instskip(SKIP_1) | instid1(SALU_CYCLE_1)
	v_cmp_ne_u32_e32 vcc_lo, 0x7f800000, v79
                                        ; implicit-def: $vgpr79
	s_and_saveexec_b32 s3, vcc_lo
	s_xor_b32 s3, exec_lo, s3
; %bb.57:
	v_bfe_u32 v79, v81, 16, 1
	s_delay_alu instid0(VALU_DEP_1)
	v_add3_u32 v79, v81, v79, 0x7fff
                                        ; implicit-def: $vgpr81
; %bb.58:
	s_and_not1_saveexec_b32 s3, s3
; %bb.59:
	v_and_b32_e32 v79, 0xffff, v81
	v_or_b32_e32 v82, 0x10000, v81
	s_delay_alu instid0(VALU_DEP_2) | instskip(NEXT) | instid1(VALU_DEP_2)
	v_cmp_eq_u32_e32 vcc_lo, 0, v79
	v_cndmask_b32_e32 v79, v82, v81, vcc_lo
; %bb.60:
	s_or_b32 exec_lo, exec_lo, s3
	v_and_b32_e32 v81, 0x7f800000, v77
	s_delay_alu instid0(VALU_DEP_1) | instskip(SKIP_1) | instid1(SALU_CYCLE_1)
	v_cmp_ne_u32_e32 vcc_lo, 0x7f800000, v81
                                        ; implicit-def: $vgpr81
	s_and_saveexec_b32 s3, vcc_lo
	s_xor_b32 s3, exec_lo, s3
; %bb.61:
	v_bfe_u32 v81, v77, 16, 1
	s_delay_alu instid0(VALU_DEP_1)
	v_add3_u32 v81, v77, v81, 0x7fff
                                        ; implicit-def: $vgpr77
; %bb.62:
	s_and_not1_saveexec_b32 s3, s3
; %bb.63:
	v_and_b32_e32 v81, 0xffff, v77
	v_or_b32_e32 v82, 0x10000, v77
	s_delay_alu instid0(VALU_DEP_2) | instskip(NEXT) | instid1(VALU_DEP_2)
	v_cmp_eq_u32_e32 vcc_lo, 0, v81
	v_cndmask_b32_e32 v81, v82, v77, vcc_lo
; %bb.64:
	s_or_b32 exec_lo, exec_lo, s3
	v_and_b32_e32 v77, 0x7f800000, v78
	s_delay_alu instid0(VALU_DEP_1) | instskip(SKIP_1) | instid1(SALU_CYCLE_1)
	v_cmp_ne_u32_e32 vcc_lo, 0x7f800000, v77
                                        ; implicit-def: $vgpr77
	s_and_saveexec_b32 s3, vcc_lo
	s_xor_b32 s3, exec_lo, s3
; %bb.65:
	v_bfe_u32 v77, v78, 16, 1
	s_delay_alu instid0(VALU_DEP_1)
	v_add3_u32 v77, v78, v77, 0x7fff
                                        ; implicit-def: $vgpr78
; %bb.66:
	s_and_not1_saveexec_b32 s3, s3
; %bb.67:
	v_and_b32_e32 v77, 0xffff, v78
	v_or_b32_e32 v82, 0x10000, v78
	s_delay_alu instid0(VALU_DEP_2) | instskip(NEXT) | instid1(VALU_DEP_2)
	v_cmp_eq_u32_e32 vcc_lo, 0, v77
	v_cndmask_b32_e32 v77, v82, v78, vcc_lo
; %bb.68:
	s_or_b32 exec_lo, exec_lo, s3
	v_and_b32_e32 v78, 0x7f800000, v70
	s_delay_alu instid0(VALU_DEP_1) | instskip(SKIP_1) | instid1(SALU_CYCLE_1)
	v_cmp_ne_u32_e32 vcc_lo, 0x7f800000, v78
                                        ; implicit-def: $vgpr78
	s_and_saveexec_b32 s3, vcc_lo
	s_xor_b32 s3, exec_lo, s3
; %bb.69:
	v_bfe_u32 v78, v70, 16, 1
	s_delay_alu instid0(VALU_DEP_1)
	v_add3_u32 v78, v70, v78, 0x7fff
                                        ; implicit-def: $vgpr70
; %bb.70:
	s_and_not1_saveexec_b32 s3, s3
; %bb.71:
	v_and_b32_e32 v78, 0xffff, v70
	v_or_b32_e32 v82, 0x10000, v70
	s_delay_alu instid0(VALU_DEP_2) | instskip(NEXT) | instid1(VALU_DEP_2)
	v_cmp_eq_u32_e32 vcc_lo, 0, v78
	v_cndmask_b32_e32 v78, v82, v70, vcc_lo
; %bb.72:
	s_or_b32 exec_lo, exec_lo, s3
	v_and_b32_e32 v70, 0x7f800000, v66
	s_delay_alu instid0(VALU_DEP_1) | instskip(SKIP_1) | instid1(SALU_CYCLE_1)
	v_cmp_ne_u32_e32 vcc_lo, 0x7f800000, v70
                                        ; implicit-def: $vgpr70
	s_and_saveexec_b32 s3, vcc_lo
	s_xor_b32 s3, exec_lo, s3
; %bb.73:
	v_bfe_u32 v70, v66, 16, 1
	s_delay_alu instid0(VALU_DEP_1)
	v_add3_u32 v70, v66, v70, 0x7fff
                                        ; implicit-def: $vgpr66
; %bb.74:
	s_and_not1_saveexec_b32 s3, s3
; %bb.75:
	v_and_b32_e32 v70, 0xffff, v66
	v_or_b32_e32 v82, 0x10000, v66
	s_delay_alu instid0(VALU_DEP_2) | instskip(NEXT) | instid1(VALU_DEP_2)
	v_cmp_eq_u32_e32 vcc_lo, 0, v70
	v_cndmask_b32_e32 v70, v82, v66, vcc_lo
; %bb.76:
	s_or_b32 exec_lo, exec_lo, s3
	s_delay_alu instid0(VALU_DEP_1)
	v_perm_b32 v86, v70, v78, 0x7060302
	v_perm_b32 v85, v77, v81, 0x7060302
	v_perm_b32 v84, v79, v72, 0x7060302
	v_perm_b32 v83, v71, v69, 0x7060302
	v_lshl_or_b32 v82, v65, 11, v80
	ds_store_b128 v76, v[83:86] offset:1024
	s_waitcnt lgkmcnt(0)
	s_barrier
	buffer_gl0_inv
	ds_load_b128 v[69:72], v82
	ds_load_b128 v[83:86], v82 offset:16
	s_waitcnt lgkmcnt(1)
	v_lshrrev_b32_e32 v65, 16, v69
	v_lshlrev_b32_e32 v78, 2, v75
	s_waitcnt lgkmcnt(0)
	v_lshrrev_b32_e32 v91, 16, v83
	v_lshrrev_b32_e32 v66, 16, v70
	;; [unrolled: 1-line block ×4, first 2 shown]
	v_cmp_eq_u32_e32 vcc_lo, 1, v78
	v_lshrrev_b32_e32 v98, 16, v85
	v_lshrrev_b32_e32 v96, 16, v72
	;; [unrolled: 1-line block ×3, first 2 shown]
	v_cndmask_b32_e32 v81, v69, v65, vcc_lo
	v_or_b32_e32 v79, 1, v78
	v_cmp_eq_u32_e64 s4, 2, v78
	v_cndmask_b32_e32 v87, v83, v91, vcc_lo
	v_cmp_eq_u32_e64 s7, 3, v78
	v_cmp_eq_u32_e64 s9, 4, v78
	;; [unrolled: 1-line block ×3, first 2 shown]
	v_cndmask_b32_e64 v81, v81, v70, s4
	v_cmp_eq_u32_e64 s6, 2, v79
	v_cndmask_b32_e64 v87, v87, v84, s4
	v_cmp_eq_u32_e64 s8, 3, v79
	v_cndmask_b32_e64 v88, v69, v65, s3
	v_cndmask_b32_e64 v81, v81, v66, s7
	v_or_b32_e32 v77, 2, v78
	v_cndmask_b32_e64 v87, v87, v97, s7
	v_cndmask_b32_e64 v89, v83, v91, s3
	v_cndmask_b32_e64 v88, v88, v70, s6
	v_cndmask_b32_e64 v81, v81, v71, s9
	v_cmp_eq_u32_e64 s10, 5, v78
	v_cndmask_b32_e64 v87, v87, v85, s9
	v_cmp_eq_u32_e64 s11, 4, v79
	v_cndmask_b32_e64 v88, v88, v66, s8
	;; [unrolled: 2-line block ×3, first 2 shown]
	v_cndmask_b32_e64 v81, v81, v95, s10
	v_cmp_eq_u32_e64 s12, 6, v78
	v_cndmask_b32_e64 v88, v88, v71, s11
	v_cndmask_b32_e64 v87, v87, v98, s10
	v_cmp_eq_u32_e64 s13, 5, v79
	v_cndmask_b32_e64 v90, v69, v65, s5
	v_cndmask_b32_e64 v89, v89, v97, s8
	;; [unrolled: 1-line block ×3, first 2 shown]
	v_cmp_eq_u32_e64 s15, 7, v78
	v_cndmask_b32_e64 v88, v88, v95, s13
	v_cndmask_b32_e64 v87, v87, v86, s12
	v_cmp_eq_u32_e64 s16, 6, v79
	v_cmp_eq_u32_e64 s17, 2, v77
	v_cndmask_b32_e64 v89, v89, v85, s11
	v_cndmask_b32_e64 v100, v81, v96, s15
	;; [unrolled: 1-line block ×6, first 2 shown]
	v_cmp_eq_u32_e64 s18, 7, v79
	v_cmp_eq_u32_e64 s19, 3, v77
	;; [unrolled: 1-line block ×4, first 2 shown]
	v_cndmask_b32_e64 v87, v87, v84, s17
	v_cndmask_b32_e64 v102, v88, v96, s18
	;; [unrolled: 1-line block ×4, first 2 shown]
	v_or_b32_e32 v81, 3, v78
	v_cndmask_b32_e64 v93, v87, v97, s19
	v_cmp_eq_u32_e64 s24, 6, v77
	v_cndmask_b32_e64 v103, v88, v86, s16
	v_cndmask_b32_e64 v92, v89, v71, s20
	v_cmp_eq_u32_e64 s21, 1, v81
	ds_load_b128 v[87:90], v82 offset:1024
	v_cmp_eq_u32_e64 s23, 2, v81
	v_cmp_eq_u32_e64 s25, 3, v81
	v_cndmask_b32_e64 v104, v92, v95, s22
	v_cndmask_b32_e64 v65, v69, v65, s21
	;; [unrolled: 1-line block ×4, first 2 shown]
	ds_load_b128 v[91:94], v82 offset:1040
	v_cmp_eq_u32_e64 s26, 4, v81
	v_cndmask_b32_e64 v65, v65, v70, s23
	v_cmp_eq_u32_e64 s28, 5, v81
	v_cndmask_b32_e64 v70, v83, v84, s23
	;; [unrolled: 2-line block ×3, first 2 shown]
	v_cndmask_b32_e64 v65, v65, v66, s25
	v_cndmask_b32_e64 v66, v104, v72, s24
	;; [unrolled: 1-line block ×3, first 2 shown]
	v_cmp_eq_u32_e64 s27, 7, v77
	v_cndmask_b32_e64 v69, v69, v86, s24
	v_cndmask_b32_e64 v65, v65, v71, s26
	s_waitcnt lgkmcnt(1)
	v_lshrrev_b32_e32 v84, 16, v87
	v_cndmask_b32_e64 v70, v70, v85, s26
	v_cndmask_b32_e64 v83, v103, v99, s18
	;; [unrolled: 1-line block ×4, first 2 shown]
	v_lshrrev_b32_e32 v95, 16, v88
	v_cndmask_b32_e64 v70, v70, v98, s28
	s_waitcnt lgkmcnt(0)
	v_lshrrev_b32_e32 v85, 16, v91
	v_cndmask_b32_e64 v97, v87, v84, s3
	v_cndmask_b32_e64 v65, v65, v72, s29
	;; [unrolled: 1-line block ×4, first 2 shown]
	v_cndmask_b32_e32 v71, v87, v84, vcc_lo
	v_cndmask_b32_e32 v98, v91, v85, vcc_lo
	v_cmp_eq_u32_e32 vcc_lo, 7, v81
	v_cndmask_b32_e64 v72, v97, v88, s6
	v_lshrrev_b32_e32 v97, 16, v92
	v_lshrrev_b32_e32 v103, 16, v90
	v_dual_cndmask_b32 v65, v65, v96 :: v_dual_cndmask_b32 v70, v70, v99
	v_cndmask_b32_e64 v71, v71, v88, s4
	v_cndmask_b32_e64 v86, v98, v92, s4
	;; [unrolled: 1-line block ×3, first 2 shown]
	v_lshrrev_b32_e32 v98, 16, v89
	v_lshrrev_b32_e32 v99, 16, v93
	v_cndmask_b32_e64 v71, v71, v95, s7
	v_cndmask_b32_e64 v86, v86, v97, s7
	;; [unrolled: 1-line block ×3, first 2 shown]
	v_perm_b32 v72, v70, v65, 0x5040100
	v_perm_b32 v70, v83, v102, 0x5040100
	v_cndmask_b32_e64 v71, v71, v89, s9
	v_cndmask_b32_e64 v86, v86, v93, s9
	;; [unrolled: 1-line block ×3, first 2 shown]
	v_lshrrev_b32_e32 v83, 16, v94
	s_delay_alu instid0(VALU_DEP_4) | instskip(NEXT) | instid1(VALU_DEP_4)
	v_cndmask_b32_e64 v71, v71, v98, s10
	v_cndmask_b32_e64 v86, v86, v99, s10
	s_delay_alu instid0(VALU_DEP_4) | instskip(NEXT) | instid1(VALU_DEP_3)
	v_cndmask_b32_e64 v65, v65, v90, s16
	v_cndmask_b32_e64 v96, v71, v90, s12
	v_perm_b32 v71, v69, v66, 0x5040100
	s_delay_alu instid0(VALU_DEP_4)
	v_cndmask_b32_e64 v69, v86, v94, s12
	v_cndmask_b32_e64 v86, v87, v84, s5
	;; [unrolled: 1-line block ×34, first 2 shown]
	v_cndmask_b32_e32 v84, v84, v103, vcc_lo
	v_cndmask_b32_e32 v86, v87, v83, vcc_lo
	v_cndmask_b32_e64 v87, v88, v83, s27
	v_cndmask_b32_e64 v88, v85, v83, s18
	;; [unrolled: 1-line block ×3, first 2 shown]
	v_perm_b32 v69, v101, v100, 0x5040100
	v_perm_b32 v86, v86, v84, 0x5040100
	;; [unrolled: 1-line block ×5, first 2 shown]
	s_lshl_b32 s8, s35, 3
	s_mov_b32 s3, exec_lo
	ds_store_b128 v76, v[69:72]
	ds_store_b128 v76, v[83:86] offset:1024
	v_cmpx_gt_u32_e32 8, v0
	s_cbranch_execz .LBB1717_78
; %bb.77:
	v_or_b32_e32 v65, s31, v0
	s_load_b128 s[4:7], s[0:1], 0x58
	s_delay_alu instid0(VALU_DEP_1) | instskip(NEXT) | instid1(VALU_DEP_1)
	v_mad_u64_u32 v[69:70], null, s8, s30, v[65:66]
	v_mad_u64_u32 v[65:66], null, v69, s34, s[14:15]
	s_delay_alu instid0(VALU_DEP_1) | instskip(NEXT) | instid1(VALU_DEP_1)
	v_ashrrev_i32_e32 v66, 31, v65
	v_lshlrev_b64 v[65:66], 2, v[65:66]
	s_waitcnt lgkmcnt(0)
	s_delay_alu instid0(VALU_DEP_1) | instskip(NEXT) | instid1(VALU_DEP_2)
	v_add_co_u32 v69, vcc_lo, s6, v65
	v_add_co_ci_u32_e32 v70, vcc_lo, s7, v66, vcc_lo
	v_add_co_u32 v65, vcc_lo, s4, v65
	v_add_co_ci_u32_e32 v66, vcc_lo, s5, v66, vcc_lo
	global_store_b32 v[69:70], v67, off
	global_store_b32 v[65:66], v68, off
.LBB1717_78:
	s_or_b32 exec_lo, exec_lo, s3
	s_waitcnt lgkmcnt(0)
	s_waitcnt_vscnt null, 0x0
	s_barrier
	buffer_gl0_inv
	ds_load_b128 v[83:86], v80
	ds_load_b128 v[87:90], v80 offset:16
	ds_load_b128 v[95:98], v80 offset:2064
	;; [unrolled: 1-line block ×3, first 2 shown]
	v_mov_b32_e32 v65, 0
	ds_load_b128 v[103:106], v80 offset:4112
	ds_load_b128 v[99:102], v80 offset:4096
	;; [unrolled: 1-line block ×4, first 2 shown]
	v_mov_b32_e32 v66, v65
	v_mov_b32_e32 v67, v65
	;; [unrolled: 1-line block ×7, first 2 shown]
	s_waitcnt lgkmcnt(6)
	s_delay_alu instid0(VALU_DEP_1)
	v_wmma_f32_16x16x16_bf16 v[65:72], v[57:64], v[83:90], v[65:72]
	ds_load_b128 v[61:64], v80 offset:8208
	ds_load_b128 v[57:60], v80 offset:8192
	s_waitcnt lgkmcnt(6)
	v_wmma_f32_16x16x16_bf16 v[65:72], v[41:48], v[91:98], v[65:72]
	ds_load_b128 v[45:48], v80 offset:10256
	ds_load_b128 v[41:44], v80 offset:10240
	s_waitcnt lgkmcnt(6)
	;; [unrolled: 4-line block ×4, first 2 shown]
	v_wmma_f32_16x16x16_bf16 v[65:72], v[1:8], v[57:64], v[65:72]
	s_waitcnt lgkmcnt(4)
	s_delay_alu instid0(VALU_DEP_1) | instskip(SKIP_1) | instid1(VALU_DEP_1)
	v_wmma_f32_16x16x16_bf16 v[65:72], v[9:16], v[41:48], v[65:72]
	s_waitcnt lgkmcnt(2)
	v_wmma_f32_16x16x16_bf16 v[65:72], v[17:24], v[33:40], v[65:72]
	s_waitcnt lgkmcnt(0)
	s_delay_alu instid0(VALU_DEP_1) | instskip(NEXT) | instid1(VALU_DEP_1)
	v_wmma_f32_16x16x16_bf16 v[65:72], v[49:56], v[25:32], v[65:72]
	v_and_b32_e32 v1, 0x7f800000, v65
	s_delay_alu instid0(VALU_DEP_1) | instskip(SKIP_1) | instid1(SALU_CYCLE_1)
	v_cmp_ne_u32_e32 vcc_lo, 0x7f800000, v1
                                        ; implicit-def: $vgpr1
	s_and_saveexec_b32 s3, vcc_lo
	s_xor_b32 s3, exec_lo, s3
; %bb.79:
	v_bfe_u32 v1, v65, 16, 1
	s_delay_alu instid0(VALU_DEP_1)
	v_add3_u32 v1, v65, v1, 0x7fff
; %bb.80:
	s_and_not1_saveexec_b32 s3, s3
; %bb.81:
	v_and_b32_e32 v1, 0xffff, v65
	v_or_b32_e32 v2, 0x10000, v65
	s_delay_alu instid0(VALU_DEP_2) | instskip(NEXT) | instid1(VALU_DEP_2)
	v_cmp_eq_u32_e32 vcc_lo, 0, v1
	v_cndmask_b32_e32 v1, v2, v65, vcc_lo
; %bb.82:
	s_or_b32 exec_lo, exec_lo, s3
	v_and_b32_e32 v2, 0x7f800000, v66
	s_delay_alu instid0(VALU_DEP_1) | instskip(SKIP_1) | instid1(SALU_CYCLE_1)
	v_cmp_ne_u32_e32 vcc_lo, 0x7f800000, v2
                                        ; implicit-def: $vgpr2
	s_and_saveexec_b32 s3, vcc_lo
	s_xor_b32 s3, exec_lo, s3
; %bb.83:
	v_bfe_u32 v2, v66, 16, 1
	s_delay_alu instid0(VALU_DEP_1)
	v_add3_u32 v2, v66, v2, 0x7fff
; %bb.84:
	s_and_not1_saveexec_b32 s3, s3
; %bb.85:
	v_and_b32_e32 v2, 0xffff, v66
	v_or_b32_e32 v3, 0x10000, v66
	s_delay_alu instid0(VALU_DEP_2) | instskip(NEXT) | instid1(VALU_DEP_2)
	v_cmp_eq_u32_e32 vcc_lo, 0, v2
	v_cndmask_b32_e32 v2, v3, v66, vcc_lo
; %bb.86:
	s_or_b32 exec_lo, exec_lo, s3
	v_and_b32_e32 v3, 0x7f800000, v67
	s_delay_alu instid0(VALU_DEP_1) | instskip(SKIP_1) | instid1(SALU_CYCLE_1)
	v_cmp_ne_u32_e32 vcc_lo, 0x7f800000, v3
                                        ; implicit-def: $vgpr3
	s_and_saveexec_b32 s3, vcc_lo
	s_xor_b32 s3, exec_lo, s3
; %bb.87:
	v_bfe_u32 v3, v67, 16, 1
	s_delay_alu instid0(VALU_DEP_1)
	v_add3_u32 v3, v67, v3, 0x7fff
; %bb.88:
	s_and_not1_saveexec_b32 s3, s3
; %bb.89:
	v_and_b32_e32 v3, 0xffff, v67
	v_or_b32_e32 v4, 0x10000, v67
	s_delay_alu instid0(VALU_DEP_2) | instskip(NEXT) | instid1(VALU_DEP_2)
	v_cmp_eq_u32_e32 vcc_lo, 0, v3
	v_cndmask_b32_e32 v3, v4, v67, vcc_lo
; %bb.90:
	s_or_b32 exec_lo, exec_lo, s3
	v_and_b32_e32 v4, 0x7f800000, v68
	s_delay_alu instid0(VALU_DEP_1) | instskip(SKIP_1) | instid1(SALU_CYCLE_1)
	v_cmp_ne_u32_e32 vcc_lo, 0x7f800000, v4
                                        ; implicit-def: $vgpr4
	s_and_saveexec_b32 s3, vcc_lo
	s_xor_b32 s3, exec_lo, s3
; %bb.91:
	v_bfe_u32 v4, v68, 16, 1
	s_delay_alu instid0(VALU_DEP_1)
	v_add3_u32 v4, v68, v4, 0x7fff
; %bb.92:
	s_and_not1_saveexec_b32 s3, s3
; %bb.93:
	v_and_b32_e32 v4, 0xffff, v68
	v_or_b32_e32 v5, 0x10000, v68
	s_delay_alu instid0(VALU_DEP_2) | instskip(NEXT) | instid1(VALU_DEP_2)
	v_cmp_eq_u32_e32 vcc_lo, 0, v4
	v_cndmask_b32_e32 v4, v5, v68, vcc_lo
; %bb.94:
	s_or_b32 exec_lo, exec_lo, s3
	v_and_b32_e32 v5, 0x7f800000, v69
	s_delay_alu instid0(VALU_DEP_1) | instskip(SKIP_1) | instid1(SALU_CYCLE_1)
	v_cmp_ne_u32_e32 vcc_lo, 0x7f800000, v5
                                        ; implicit-def: $vgpr5
	s_and_saveexec_b32 s3, vcc_lo
	s_xor_b32 s3, exec_lo, s3
; %bb.95:
	v_bfe_u32 v5, v69, 16, 1
	s_delay_alu instid0(VALU_DEP_1)
	v_add3_u32 v5, v69, v5, 0x7fff
; %bb.96:
	s_and_not1_saveexec_b32 s3, s3
; %bb.97:
	v_and_b32_e32 v5, 0xffff, v69
	v_or_b32_e32 v6, 0x10000, v69
	s_delay_alu instid0(VALU_DEP_2) | instskip(NEXT) | instid1(VALU_DEP_2)
	v_cmp_eq_u32_e32 vcc_lo, 0, v5
	v_cndmask_b32_e32 v5, v6, v69, vcc_lo
; %bb.98:
	s_or_b32 exec_lo, exec_lo, s3
	v_and_b32_e32 v6, 0x7f800000, v70
	s_delay_alu instid0(VALU_DEP_1) | instskip(SKIP_1) | instid1(SALU_CYCLE_1)
	v_cmp_ne_u32_e32 vcc_lo, 0x7f800000, v6
                                        ; implicit-def: $vgpr6
	s_and_saveexec_b32 s3, vcc_lo
	s_xor_b32 s3, exec_lo, s3
; %bb.99:
	v_bfe_u32 v6, v70, 16, 1
	s_delay_alu instid0(VALU_DEP_1)
	v_add3_u32 v6, v70, v6, 0x7fff
; %bb.100:
	s_and_not1_saveexec_b32 s3, s3
; %bb.101:
	v_and_b32_e32 v6, 0xffff, v70
	v_or_b32_e32 v7, 0x10000, v70
	s_delay_alu instid0(VALU_DEP_2) | instskip(NEXT) | instid1(VALU_DEP_2)
	v_cmp_eq_u32_e32 vcc_lo, 0, v6
	v_cndmask_b32_e32 v6, v7, v70, vcc_lo
; %bb.102:
	s_or_b32 exec_lo, exec_lo, s3
	v_and_b32_e32 v7, 0x7f800000, v71
	s_delay_alu instid0(VALU_DEP_1) | instskip(SKIP_1) | instid1(SALU_CYCLE_1)
	v_cmp_ne_u32_e32 vcc_lo, 0x7f800000, v7
                                        ; implicit-def: $vgpr7
	s_and_saveexec_b32 s3, vcc_lo
	s_xor_b32 s3, exec_lo, s3
; %bb.103:
	v_bfe_u32 v7, v71, 16, 1
	s_delay_alu instid0(VALU_DEP_1)
	v_add3_u32 v7, v71, v7, 0x7fff
; %bb.104:
	s_and_not1_saveexec_b32 s3, s3
; %bb.105:
	v_and_b32_e32 v7, 0xffff, v71
	v_or_b32_e32 v8, 0x10000, v71
	s_delay_alu instid0(VALU_DEP_2) | instskip(NEXT) | instid1(VALU_DEP_2)
	v_cmp_eq_u32_e32 vcc_lo, 0, v7
	v_cndmask_b32_e32 v7, v8, v71, vcc_lo
; %bb.106:
	s_or_b32 exec_lo, exec_lo, s3
	v_and_b32_e32 v8, 0x7f800000, v72
	s_delay_alu instid0(VALU_DEP_1) | instskip(SKIP_1) | instid1(SALU_CYCLE_1)
	v_cmp_ne_u32_e32 vcc_lo, 0x7f800000, v8
                                        ; implicit-def: $vgpr8
	s_and_saveexec_b32 s3, vcc_lo
	s_xor_b32 s3, exec_lo, s3
; %bb.107:
	v_bfe_u32 v8, v72, 16, 1
	s_delay_alu instid0(VALU_DEP_1)
	v_add3_u32 v8, v72, v8, 0x7fff
                                        ; implicit-def: $vgpr65_vgpr66_vgpr67_vgpr68_vgpr69_vgpr70_vgpr71_vgpr72
; %bb.108:
	s_and_not1_saveexec_b32 s3, s3
; %bb.109:
	v_and_b32_e32 v8, 0xffff, v72
	v_or_b32_e32 v9, 0x10000, v72
	s_delay_alu instid0(VALU_DEP_2) | instskip(NEXT) | instid1(VALU_DEP_2)
	v_cmp_eq_u32_e32 vcc_lo, 0, v8
	v_cndmask_b32_e32 v8, v9, v72, vcc_lo
; %bb.110:
	s_or_b32 exec_lo, exec_lo, s3
	s_delay_alu instid0(VALU_DEP_1)
	v_perm_b32 v7, v8, v7, 0x7060302
	v_perm_b32 v6, v6, v5, 0x7060302
	;; [unrolled: 1-line block ×4, first 2 shown]
	s_barrier
	buffer_gl0_inv
	v_cmp_eq_u32_e32 vcc_lo, 1, v78
	ds_store_b128 v76, v[4:7]
	s_waitcnt lgkmcnt(0)
	s_barrier
	buffer_gl0_inv
	ds_load_b128 v[1:4], v82
	ds_load_b128 v[5:8], v82 offset:16
	v_cmp_eq_u32_e64 s3, 1, v79
	v_cmp_eq_u32_e64 s4, 2, v78
	;; [unrolled: 1-line block ×5, first 2 shown]
	s_waitcnt lgkmcnt(1)
	v_lshrrev_b32_e32 v9, 16, v1
	s_waitcnt lgkmcnt(0)
	v_lshrrev_b32_e32 v13, 16, v5
	v_lshrrev_b32_e32 v10, 16, v2
	v_lshrrev_b32_e32 v14, 16, v6
	v_lshrrev_b32_e32 v11, 16, v3
	v_cndmask_b32_e64 v19, v1, v9, s3
	v_cndmask_b32_e32 v18, v5, v13, vcc_lo
	v_cndmask_b32_e64 v20, v5, v13, s3
	v_cndmask_b32_e32 v17, v1, v9, vcc_lo
	v_cmp_eq_u32_e32 vcc_lo, 2, v79
	v_lshrrev_b32_e32 v15, 16, v7
	v_cmp_eq_u32_e64 s3, 1, v77
	v_lshrrev_b32_e32 v12, 16, v4
	v_lshrrev_b32_e32 v16, 16, v8
	v_cndmask_b32_e32 v20, v20, v6, vcc_lo
	v_cndmask_b32_e64 v17, v17, v2, s4
	v_cndmask_b32_e32 v19, v19, v2, vcc_lo
	v_cndmask_b32_e64 v18, v18, v6, s4
	v_cmp_eq_u32_e32 vcc_lo, 4, v78
	v_cmp_eq_u32_e64 s4, 3, v79
	v_cndmask_b32_e64 v17, v17, v10, s5
	v_cndmask_b32_e64 v21, v1, v9, s3
	v_cndmask_b32_e64 v18, v18, v14, s5
	v_cndmask_b32_e64 v22, v5, v13, s3
	v_cndmask_b32_e64 v19, v19, v10, s4
	v_cndmask_b32_e32 v17, v17, v3, vcc_lo
	v_cndmask_b32_e64 v20, v20, v14, s4
	v_cndmask_b32_e32 v18, v18, v7, vcc_lo
	v_cmp_eq_u32_e32 vcc_lo, 4, v79
	v_cmp_eq_u32_e64 s4, 5, v79
	v_cmp_eq_u32_e64 s3, 2, v81
	v_cndmask_b32_e64 v21, v21, v2, s7
	v_cmp_eq_u32_e64 s5, 5, v78
	v_cndmask_b32_e32 v19, v19, v3, vcc_lo
	v_cndmask_b32_e32 v20, v20, v7, vcc_lo
	v_cmp_eq_u32_e32 vcc_lo, 6, v79
	s_delay_alu instid0(VALU_DEP_4) | instskip(NEXT) | instid1(VALU_DEP_4)
	v_cndmask_b32_e64 v17, v17, v11, s5
	v_cndmask_b32_e64 v19, v19, v11, s4
	s_delay_alu instid0(VALU_DEP_4) | instskip(SKIP_1) | instid1(VALU_DEP_3)
	v_cndmask_b32_e64 v20, v20, v15, s4
	v_cmp_eq_u32_e64 s4, 1, v81
	v_cndmask_b32_e32 v19, v19, v4, vcc_lo
	v_cndmask_b32_e64 v18, v18, v15, s5
	s_delay_alu instid0(VALU_DEP_3)
	v_cndmask_b32_e64 v1, v1, v9, s4
	v_cndmask_b32_e64 v5, v5, v13, s4
	v_cmp_eq_u32_e64 s4, 3, v77
	v_cndmask_b32_e64 v13, v22, v6, s7
	v_cmp_eq_u32_e64 s7, 3, v81
	v_cndmask_b32_e64 v1, v1, v2, s3
	v_cndmask_b32_e64 v2, v5, v6, s3
	;; [unrolled: 1-line block ×3, first 2 shown]
	v_cmp_eq_u32_e64 s3, 4, v77
	v_cndmask_b32_e64 v6, v13, v14, s4
	v_cndmask_b32_e64 v1, v1, v10, s7
	v_cmp_eq_u32_e64 s4, 4, v81
	v_cndmask_b32_e64 v2, v2, v14, s7
	v_cndmask_b32_e64 v5, v9, v3, s3
	;; [unrolled: 3-line block ×3, first 2 shown]
	v_cndmask_b32_e64 v2, v2, v7, s4
	v_cmp_eq_u32_e64 s3, 5, v81
	v_cmp_eq_u32_e64 s5, 6, v78
	v_cndmask_b32_e64 v5, v5, v11, s7
	v_cmp_eq_u32_e64 s4, 6, v77
	v_cndmask_b32_e64 v3, v6, v15, s7
	v_cndmask_b32_e64 v1, v1, v11, s3
	v_cmp_eq_u32_e64 s7, 6, v81
	v_cndmask_b32_e64 v2, v2, v15, s3
	v_cndmask_b32_e64 v17, v17, v4, s5
	v_cndmask_b32_e64 v18, v18, v8, s5
	v_cmp_eq_u32_e64 s5, 7, v78
	v_cndmask_b32_e64 v5, v5, v4, s4
	;; [unrolled: 4-line block ×3, first 2 shown]
	v_cmp_eq_u32_e64 s4, 7, v77
	v_cndmask_b32_e32 v4, v20, v8, vcc_lo
	v_cndmask_b32_e64 v17, v17, v12, s5
	v_cndmask_b32_e64 v19, v19, v12, s6
	;; [unrolled: 1-line block ×8, first 2 shown]
	v_cmp_gt_u32_e32 vcc_lo, 32, v0
	v_perm_b32 v4, v2, v1, 0x5040100
	v_perm_b32 v3, v3, v5, 0x5040100
	;; [unrolled: 1-line block ×4, first 2 shown]
	s_and_b32 s2, vcc_lo, s2
	ds_store_b128 v76, v[1:4]
	s_waitcnt lgkmcnt(0)
	s_barrier
	buffer_gl0_inv
	s_and_saveexec_b32 s3, s2
	s_cbranch_execz .LBB1717_2
; %bb.111:
	s_load_b64 s[0:1], s[0:1], 0x68
	s_lshl_b32 s4, s34, 6
	v_or_b32_e32 v2, s31, v75
	s_mul_i32 s2, s4, s30
	v_lshlrev_b32_e32 v1, 10, v0
	s_mul_i32 s2, s2, s8
	v_lshlrev_b32_e32 v3, 4, v74
	v_mul_lo_u32 v0, v2, s4
	s_ashr_i32 s3, s2, 31
	v_lshlrev_b32_e32 v4, 6, v75
	v_and_b32_e32 v1, 0x3800, v1
	v_or_b32_e32 v5, 2, v2
	s_lshl_b64 s[2:3], s[2:3], 1
	v_or_b32_e32 v6, 4, v2
	v_or_b32_e32 v7, 6, v2
	v_or3_b32 v12, v1, v3, v4
	v_ashrrev_i32_e32 v1, 31, v0
	v_mul_lo_u32 v2, v5, s4
	v_mul_lo_u32 v16, v6, s4
	;; [unrolled: 1-line block ×3, first 2 shown]
	s_waitcnt lgkmcnt(0)
	s_add_u32 s2, s0, s2
	s_addc_u32 s3, s1, s3
	s_lshl_b32 s0, s14, 6
	v_lshlrev_b64 v[0:1], 1, v[0:1]
	s_ashr_i32 s1, s0, 31
	v_ashrrev_i32_e32 v3, 31, v2
	s_lshl_b64 s[0:1], s[0:1], 1
	v_ashrrev_i32_e32 v17, 31, v16
	s_add_u32 s0, s2, s0
	s_addc_u32 s1, s3, s1
	v_add_co_u32 v24, s0, s0, v73
	s_delay_alu instid0(VALU_DEP_1) | instskip(SKIP_1) | instid1(VALU_DEP_3)
	v_add_co_ci_u32_e64 v25, null, s1, 0, s0
	v_lshlrev_b64 v[22:23], 1, v[2:3]
	v_add_co_u32 v18, vcc_lo, v24, v0
	s_delay_alu instid0(VALU_DEP_3)
	v_add_co_ci_u32_e32 v19, vcc_lo, v25, v1, vcc_lo
	ds_load_b128 v[0:3], v12
	ds_load_b128 v[4:7], v12 offset:128
	ds_load_b128 v[8:11], v12 offset:256
	;; [unrolled: 1-line block ×3, first 2 shown]
	v_ashrrev_i32_e32 v21, 31, v20
	v_lshlrev_b64 v[16:17], 1, v[16:17]
	v_add_co_u32 v22, vcc_lo, v24, v22
	v_add_co_ci_u32_e32 v23, vcc_lo, v25, v23, vcc_lo
	s_delay_alu instid0(VALU_DEP_4) | instskip(NEXT) | instid1(VALU_DEP_4)
	v_lshlrev_b64 v[20:21], 1, v[20:21]
	v_add_co_u32 v16, vcc_lo, v24, v16
	v_add_co_ci_u32_e32 v17, vcc_lo, v25, v17, vcc_lo
	s_delay_alu instid0(VALU_DEP_3) | instskip(NEXT) | instid1(VALU_DEP_4)
	v_add_co_u32 v20, vcc_lo, v24, v20
	v_add_co_ci_u32_e32 v21, vcc_lo, v25, v21, vcc_lo
	s_waitcnt lgkmcnt(3)
	global_store_b128 v[18:19], v[0:3], off
	s_waitcnt lgkmcnt(2)
	global_store_b128 v[22:23], v[4:7], off
	;; [unrolled: 2-line block ×4, first 2 shown]
	s_nop 0
	s_sendmsg sendmsg(MSG_DEALLOC_VGPRS)
	s_endpgm
	.section	.rodata,"a",@progbits
	.p2align	6, 0x0
	.amdhsa_kernel _Z39paged_attention_ll4mi_QKV_mfma16_kernelI14__hip_bfloat16hLN4vllm18Fp8KVCacheDataTypeE1ES0_Li16ELi64ELi256ELb0ELi8EL8MFMAType0EEvPKT_PKT0_S9_ifPKiSB_SB_iPKfiiiPfSE_PS4_PT2_iSD_SD_
		.amdhsa_group_segment_fixed_size 17472
		.amdhsa_private_segment_fixed_size 0
		.amdhsa_kernarg_size 400
		.amdhsa_user_sgpr_count 13
		.amdhsa_user_sgpr_dispatch_ptr 0
		.amdhsa_user_sgpr_queue_ptr 0
		.amdhsa_user_sgpr_kernarg_segment_ptr 1
		.amdhsa_user_sgpr_dispatch_id 0
		.amdhsa_user_sgpr_private_segment_size 0
		.amdhsa_wavefront_size32 1
		.amdhsa_uses_dynamic_stack 0
		.amdhsa_enable_private_segment 0
		.amdhsa_system_sgpr_workgroup_id_x 1
		.amdhsa_system_sgpr_workgroup_id_y 1
		.amdhsa_system_sgpr_workgroup_id_z 1
		.amdhsa_system_sgpr_workgroup_info 0
		.amdhsa_system_vgpr_workitem_id 0
		.amdhsa_next_free_vgpr 124
		.amdhsa_next_free_sgpr 38
		.amdhsa_reserve_vcc 1
		.amdhsa_float_round_mode_32 0
		.amdhsa_float_round_mode_16_64 0
		.amdhsa_float_denorm_mode_32 3
		.amdhsa_float_denorm_mode_16_64 3
		.amdhsa_dx10_clamp 1
		.amdhsa_ieee_mode 1
		.amdhsa_fp16_overflow 0
		.amdhsa_workgroup_processor_mode 1
		.amdhsa_memory_ordered 1
		.amdhsa_forward_progress 0
		.amdhsa_shared_vgpr_count 0
		.amdhsa_exception_fp_ieee_invalid_op 0
		.amdhsa_exception_fp_denorm_src 0
		.amdhsa_exception_fp_ieee_div_zero 0
		.amdhsa_exception_fp_ieee_overflow 0
		.amdhsa_exception_fp_ieee_underflow 0
		.amdhsa_exception_fp_ieee_inexact 0
		.amdhsa_exception_int_div_zero 0
	.end_amdhsa_kernel
	.section	.text._Z39paged_attention_ll4mi_QKV_mfma16_kernelI14__hip_bfloat16hLN4vllm18Fp8KVCacheDataTypeE1ES0_Li16ELi64ELi256ELb0ELi8EL8MFMAType0EEvPKT_PKT0_S9_ifPKiSB_SB_iPKfiiiPfSE_PS4_PT2_iSD_SD_,"axG",@progbits,_Z39paged_attention_ll4mi_QKV_mfma16_kernelI14__hip_bfloat16hLN4vllm18Fp8KVCacheDataTypeE1ES0_Li16ELi64ELi256ELb0ELi8EL8MFMAType0EEvPKT_PKT0_S9_ifPKiSB_SB_iPKfiiiPfSE_PS4_PT2_iSD_SD_,comdat
.Lfunc_end1717:
	.size	_Z39paged_attention_ll4mi_QKV_mfma16_kernelI14__hip_bfloat16hLN4vllm18Fp8KVCacheDataTypeE1ES0_Li16ELi64ELi256ELb0ELi8EL8MFMAType0EEvPKT_PKT0_S9_ifPKiSB_SB_iPKfiiiPfSE_PS4_PT2_iSD_SD_, .Lfunc_end1717-_Z39paged_attention_ll4mi_QKV_mfma16_kernelI14__hip_bfloat16hLN4vllm18Fp8KVCacheDataTypeE1ES0_Li16ELi64ELi256ELb0ELi8EL8MFMAType0EEvPKT_PKT0_S9_ifPKiSB_SB_iPKfiiiPfSE_PS4_PT2_iSD_SD_
                                        ; -- End function
	.section	.AMDGPU.csdata,"",@progbits
; Kernel info:
; codeLenInByte = 8724
; NumSgprs: 40
; NumVgprs: 124
; ScratchSize: 0
; MemoryBound: 0
; FloatMode: 240
; IeeeMode: 1
; LDSByteSize: 17472 bytes/workgroup (compile time only)
; SGPRBlocks: 4
; VGPRBlocks: 15
; NumSGPRsForWavesPerEU: 40
; NumVGPRsForWavesPerEU: 124
; Occupancy: 10
; WaveLimiterHint : 1
; COMPUTE_PGM_RSRC2:SCRATCH_EN: 0
; COMPUTE_PGM_RSRC2:USER_SGPR: 13
; COMPUTE_PGM_RSRC2:TRAP_HANDLER: 0
; COMPUTE_PGM_RSRC2:TGID_X_EN: 1
; COMPUTE_PGM_RSRC2:TGID_Y_EN: 1
; COMPUTE_PGM_RSRC2:TGID_Z_EN: 1
; COMPUTE_PGM_RSRC2:TIDIG_COMP_CNT: 0
	.section	.text._Z39paged_attention_ll4mi_QKV_mfma16_kernelI14__hip_bfloat16hLN4vllm18Fp8KVCacheDataTypeE1ES0_Li16ELi64ELi256ELb0ELi9EL8MFMAType0EEvPKT_PKT0_S9_ifPKiSB_SB_iPKfiiiPfSE_PS4_PT2_iSD_SD_,"axG",@progbits,_Z39paged_attention_ll4mi_QKV_mfma16_kernelI14__hip_bfloat16hLN4vllm18Fp8KVCacheDataTypeE1ES0_Li16ELi64ELi256ELb0ELi9EL8MFMAType0EEvPKT_PKT0_S9_ifPKiSB_SB_iPKfiiiPfSE_PS4_PT2_iSD_SD_,comdat
	.protected	_Z39paged_attention_ll4mi_QKV_mfma16_kernelI14__hip_bfloat16hLN4vllm18Fp8KVCacheDataTypeE1ES0_Li16ELi64ELi256ELb0ELi9EL8MFMAType0EEvPKT_PKT0_S9_ifPKiSB_SB_iPKfiiiPfSE_PS4_PT2_iSD_SD_ ; -- Begin function _Z39paged_attention_ll4mi_QKV_mfma16_kernelI14__hip_bfloat16hLN4vllm18Fp8KVCacheDataTypeE1ES0_Li16ELi64ELi256ELb0ELi9EL8MFMAType0EEvPKT_PKT0_S9_ifPKiSB_SB_iPKfiiiPfSE_PS4_PT2_iSD_SD_
	.globl	_Z39paged_attention_ll4mi_QKV_mfma16_kernelI14__hip_bfloat16hLN4vllm18Fp8KVCacheDataTypeE1ES0_Li16ELi64ELi256ELb0ELi9EL8MFMAType0EEvPKT_PKT0_S9_ifPKiSB_SB_iPKfiiiPfSE_PS4_PT2_iSD_SD_
	.p2align	8
	.type	_Z39paged_attention_ll4mi_QKV_mfma16_kernelI14__hip_bfloat16hLN4vllm18Fp8KVCacheDataTypeE1ES0_Li16ELi64ELi256ELb0ELi9EL8MFMAType0EEvPKT_PKT0_S9_ifPKiSB_SB_iPKfiiiPfSE_PS4_PT2_iSD_SD_,@function
_Z39paged_attention_ll4mi_QKV_mfma16_kernelI14__hip_bfloat16hLN4vllm18Fp8KVCacheDataTypeE1ES0_Li16ELi64ELi256ELb0ELi9EL8MFMAType0EEvPKT_PKT0_S9_ifPKiSB_SB_iPKfiiiPfSE_PS4_PT2_iSD_SD_: ; @_Z39paged_attention_ll4mi_QKV_mfma16_kernelI14__hip_bfloat16hLN4vllm18Fp8KVCacheDataTypeE1ES0_Li16ELi64ELi256ELb0ELi9EL8MFMAType0EEvPKT_PKT0_S9_ifPKiSB_SB_iPKfiiiPfSE_PS4_PT2_iSD_SD_
; %bb.0:
	s_load_b64 s[2:3], s[0:1], 0x30
	s_mov_b32 s34, s13
	s_waitcnt lgkmcnt(0)
	s_cmp_lg_u64 s[2:3], 0
	s_cselect_b32 s8, -1, 0
	s_ashr_i32 s35, s13, 31
	s_cmp_eq_u64 s[2:3], 0
	s_cbranch_scc1 .LBB1718_3
; %bb.1:
	s_lshl_b64 s[4:5], s[34:35], 2
	s_delay_alu instid0(SALU_CYCLE_1) | instskip(SKIP_4) | instid1(SALU_CYCLE_1)
	s_add_u32 s4, s2, s4
	s_addc_u32 s5, s3, s5
	s_load_b64 s[4:5], s[4:5], 0x0
	s_waitcnt lgkmcnt(0)
	s_sub_i32 s4, s5, s4
	s_cmp_eq_u32 s4, 1
	s_cselect_b32 s4, -1, 0
	s_delay_alu instid0(SALU_CYCLE_1)
	s_and_not1_b32 vcc_lo, exec_lo, s4
	s_cbranch_vccz .LBB1718_4
.LBB1718_2:
	s_nop 0
	s_sendmsg sendmsg(MSG_DEALLOC_VGPRS)
	s_endpgm
.LBB1718_3:
.LBB1718_4:
	s_load_b64 s[4:5], s[0:1], 0x28
	s_lshl_b64 s[6:7], s[34:35], 2
	s_waitcnt lgkmcnt(0)
	s_add_u32 s4, s4, s6
	s_addc_u32 s5, s5, s7
	s_lshl_b32 s12, s14, 8
	s_load_b32 s24, s[4:5], 0x0
	s_waitcnt lgkmcnt(0)
	s_cmp_ge_i32 s12, s24
	s_cbranch_scc1 .LBB1718_2
; %bb.5:
	s_clause 0x1
	s_load_b128 s[20:23], s[0:1], 0x8
	s_load_b64 s[4:5], s[0:1], 0x20
	s_and_not1_b32 vcc_lo, exec_lo, s8
	s_cbranch_vccnz .LBB1718_7
; %bb.6:
	s_add_u32 s2, s2, s6
	s_addc_u32 s3, s3, s7
	s_load_b32 s3, s[2:3], 0x0
	s_branch .LBB1718_8
.LBB1718_7:
	s_mov_b32 s3, s34
.LBB1718_8:
	s_load_b128 s[16:19], s[0:1], 0x48
	v_lshrrev_b32_e32 v66, 5, v0
	v_bfe_u32 v74, v0, 4, 1
	v_and_b32_e32 v65, 15, v0
	v_and_b32_e32 v67, 31, v0
	;; [unrolled: 1-line block ×3, first 2 shown]
	s_mul_i32 s31, s15, 9
	v_lshl_or_b32 v1, v66, 1, v74
	v_lshlrev_b32_e32 v2, 3, v65
	v_cmp_gt_u32_e64 s2, 8, v65
	s_delay_alu instid0(VALU_DEP_3) | instskip(NEXT) | instid1(VALU_DEP_3)
	v_cmp_gt_u32_e32 vcc_lo, 9, v1
	v_lshlrev_b32_e32 v73, 1, v2
	s_delay_alu instid0(VALU_DEP_3) | instskip(NEXT) | instid1(SALU_CYCLE_1)
	s_and_b32 s7, s2, vcc_lo
	s_and_saveexec_b32 s6, s7
	s_cbranch_execz .LBB1718_10
; %bb.9:
	s_load_b64 s[8:9], s[0:1], 0x0
	v_add_lshl_u32 v2, v1, s31, 6
	s_waitcnt lgkmcnt(0)
	s_mul_hi_i32 s11, s3, s16
	s_mul_i32 s10, s3, s16
	v_lshlrev_b32_e32 v6, 10, v65
	s_lshl_b64 s[10:11], s[10:11], 1
	v_ashrrev_i32_e32 v3, 31, v2
	v_lshlrev_b32_e32 v1, 6, v1
	v_lshlrev_b32_e32 v7, 10, v75
	v_and_b32_e32 v6, 0x3800, v6
	s_delay_alu instid0(VALU_DEP_4) | instskip(NEXT) | instid1(VALU_DEP_2)
	v_lshlrev_b64 v[2:3], 1, v[2:3]
	v_or3_b32 v1, v6, v7, v1
	s_add_u32 s3, s8, s10
	s_addc_u32 s7, s9, s11
	s_delay_alu instid0(VALU_DEP_2) | instskip(NEXT) | instid1(VALU_DEP_3)
	v_add_co_u32 v2, vcc_lo, s3, v2
	v_add_co_ci_u32_e32 v3, vcc_lo, s7, v3, vcc_lo
	s_delay_alu instid0(VALU_DEP_2) | instskip(NEXT) | instid1(VALU_DEP_2)
	v_add_co_u32 v2, vcc_lo, v2, v73
	v_add_co_ci_u32_e32 v3, vcc_lo, 0, v3, vcc_lo
	global_load_b128 v[2:5], v[2:3], off
	s_waitcnt vmcnt(0)
	ds_store_b128 v1, v[2:5]
.LBB1718_10:
	s_or_b32 exec_lo, exec_lo, s6
	v_and_b32_e32 v1, 0xef, v0
	s_waitcnt lgkmcnt(0)
	s_add_i32 s3, s24, 15
	s_clause 0x1
	s_load_b32 s6, s[0:1], 0x38
	s_load_b32 s19, s[0:1], 0x1c
	s_ashr_i32 s7, s3, 31
	v_add_nc_u32_e32 v1, s12, v1
	s_lshr_b32 s7, s7, 28
	s_waitcnt lgkmcnt(0)
	s_add_i32 s3, s3, s7
	s_barrier
	v_ashrrev_i32_e32 v2, 31, v1
	v_or_b32_e32 v3, 16, v1
	s_ashr_i32 s3, s3, 4
	v_cmp_gt_i32_e32 vcc_lo, s24, v1
	s_add_i32 s3, s3, -1
	v_lshrrev_b32_e32 v2, 28, v2
	buffer_gl0_inv
	s_mul_i32 s27, s15, s18
	v_add_nc_u32_e32 v4, v1, v2
	s_mul_i32 s6, s34, s6
	s_delay_alu instid0(SALU_CYCLE_1) | instskip(NEXT) | instid1(VALU_DEP_1)
	s_ashr_i32 s7, s6, 31
	v_ashrrev_i32_e32 v4, 4, v4
	v_add_nc_u32_e32 v2, v3, v2
	s_lshl_b64 s[6:7], s[6:7], 2
	s_delay_alu instid0(SALU_CYCLE_1) | instskip(NEXT) | instid1(VALU_DEP_2)
	s_add_u32 s26, s4, s6
	v_cndmask_b32_e32 v1, s3, v4, vcc_lo
	s_delay_alu instid0(VALU_DEP_2)
	v_ashrrev_i32_e32 v2, 4, v2
	v_cmp_gt_i32_e32 vcc_lo, s24, v3
	s_addc_u32 s25, s5, s7
	s_ashr_i32 s28, s27, 31
	s_add_u32 s13, s20, s27
	s_addc_u32 s15, s21, s28
	v_cndmask_b32_e32 v3, s3, v2, vcc_lo
	v_ashrrev_i32_e32 v2, 31, v1
	s_lshl_b32 s4, s14, 4
	s_delay_alu instid0(SALU_CYCLE_1) | instskip(NEXT) | instid1(VALU_DEP_2)
	s_ashr_i32 s5, s4, 31
	v_ashrrev_i32_e32 v4, 31, v3
	s_delay_alu instid0(VALU_DEP_2) | instskip(SKIP_1) | instid1(SALU_CYCLE_1)
	v_lshlrev_b64 v[1:2], 2, v[1:2]
	s_lshl_b64 s[4:5], s[4:5], 2
	s_add_u32 s4, s26, s4
	s_delay_alu instid0(VALU_DEP_2) | instskip(SKIP_1) | instid1(VALU_DEP_2)
	v_lshlrev_b64 v[3:4], 2, v[3:4]
	s_addc_u32 s5, s25, s5
	v_add_co_u32 v1, vcc_lo, s26, v1
	v_add_co_ci_u32_e32 v2, vcc_lo, s25, v2, vcc_lo
	s_delay_alu instid0(VALU_DEP_3) | instskip(NEXT) | instid1(VALU_DEP_4)
	v_add_co_u32 v3, vcc_lo, s26, v3
	v_add_co_ci_u32_e32 v4, vcc_lo, s25, v4, vcc_lo
	s_clause 0x1
	global_load_b32 v5, v[1:2], off
	global_load_b32 v7, v[3:4], off
	s_or_b32 s6, s12, 32
	v_lshlrev_b32_e32 v1, 4, v0
	s_ashr_i32 s7, s6, 4
	s_cmp_lt_i32 s6, s24
	v_cmp_gt_u32_e32 vcc_lo, 9, v65
	s_cselect_b32 s6, s7, s3
	v_and_b32_e32 v1, 0xf0, v1
	s_ashr_i32 s7, s6, 31
	s_delay_alu instid0(SALU_CYCLE_1) | instskip(NEXT) | instid1(SALU_CYCLE_1)
	s_lshl_b64 s[6:7], s[6:7], 2
	s_add_u32 s6, s26, s6
	s_addc_u32 s7, s25, s7
	s_or_b32 s8, s12, 64
	v_add_co_u32 v1, s13, s13, v1
	s_ashr_i32 s9, s8, 4
	s_cmp_lt_i32 s8, s24
	v_add_co_ci_u32_e64 v2, null, s15, 0, s13
	s_cselect_b32 s8, s9, s3
	s_delay_alu instid0(SALU_CYCLE_1) | instskip(NEXT) | instid1(SALU_CYCLE_1)
	s_ashr_i32 s9, s8, 31
	s_lshl_b64 s[8:9], s[8:9], 2
	s_delay_alu instid0(SALU_CYCLE_1) | instskip(SKIP_2) | instid1(SALU_CYCLE_1)
	s_add_u32 s8, s26, s8
	s_addc_u32 s9, s25, s9
	s_or_b32 s10, s12, 0x60
	s_ashr_i32 s11, s10, 4
	s_cmp_lt_i32 s10, s24
	s_cselect_b32 s10, s11, s3
	s_delay_alu instid0(SALU_CYCLE_1) | instskip(NEXT) | instid1(SALU_CYCLE_1)
	s_ashr_i32 s11, s10, 31
	s_lshl_b64 s[10:11], s[10:11], 2
	s_delay_alu instid0(SALU_CYCLE_1) | instskip(SKIP_2) | instid1(SALU_CYCLE_1)
	s_add_u32 s10, s26, s10
	s_addc_u32 s11, s25, s11
	s_or_b32 s16, s12, 0x80
	s_ashr_i32 s18, s16, 4
	s_cmp_lt_i32 s16, s24
	;; [unrolled: 10-line block ×3, first 2 shown]
	s_cselect_b32 s20, s18, s3
	s_delay_alu instid0(SALU_CYCLE_1) | instskip(NEXT) | instid1(SALU_CYCLE_1)
	s_ashr_i32 s21, s20, 31
	s_lshl_b64 s[20:21], s[20:21], 2
	s_delay_alu instid0(SALU_CYCLE_1)
	s_add_u32 s38, s26, s20
	s_addc_u32 s39, s25, s21
	s_clause 0x5
	s_load_b32 s21, s[4:5], 0x0
	s_load_b32 s13, s[6:7], 0x0
	;; [unrolled: 1-line block ×6, first 2 shown]
	s_or_b32 s8, s12, 0xc0
	s_mov_b32 s4, 0
	s_ashr_i32 s9, s8, 4
	s_cmp_lt_i32 s8, s24
	s_mov_b32 s11, s4
	s_cselect_b32 s36, s9, s3
	s_mov_b32 s5, s4
	s_ashr_i32 s37, s36, 31
	s_mov_b32 s6, s4
	s_lshl_b64 s[36:37], s[36:37], 2
	s_mov_b32 s7, s4
	s_add_u32 s36, s26, s36
	s_addc_u32 s37, s25, s37
	s_or_b32 s29, s12, 0xe0
	s_mov_b32 s8, s4
	s_ashr_i32 s30, s29, 4
	s_mov_b32 s9, s4
	s_mov_b32 s10, s4
	s_cmp_lt_i32 s29, s24
	v_dual_mov_b32 v107, s11 :: v_dual_mov_b32 v100, s4
	v_mov_b32_e32 v106, s10
	v_dual_mov_b32 v104, s8 :: v_dual_mov_b32 v103, s7
	v_dual_mov_b32 v102, s6 :: v_dual_mov_b32 v101, s5
	s_waitcnt vmcnt(1)
	v_mad_i64_i32 v[3:4], null, v5, s17, v[1:2]
	s_waitcnt vmcnt(0)
	v_mad_i64_i32 v[5:6], null, v7, s17, v[1:2]
	v_add_nc_u32_e32 v1, -9, v65
	v_lshlrev_b32_e32 v2, 4, v65
	s_clause 0x7
	global_load_b128 v[49:52], v[3:4], off
	global_load_b128 v[53:56], v[3:4], off offset:256
	global_load_b128 v[76:79], v[5:6], off
	global_load_b128 v[80:83], v[5:6], off offset:256
	global_load_b128 v[84:87], v[3:4], off offset:512
	;; [unrolled: 1-line block ×5, first 2 shown]
	v_cndmask_b32_e32 v1, v1, v65, vcc_lo
	v_mov_b32_e32 v105, s9
	s_cselect_b32 s4, s30, s3
	v_lshl_or_b32 v2, v66, 8, v2
	s_ashr_i32 s5, s4, 31
	v_lshlrev_b32_e32 v70, 6, v1
	s_lshl_b64 s[4:5], s[4:5], 2
	s_load_b32 s3, s[36:37], 0x0
	s_add_u32 s4, s26, s4
	s_addc_u32 s5, s25, s5
	ds_load_b128 v[108:111], v70
	ds_load_b128 v[112:115], v70 offset:1024
	s_load_b32 s4, s[4:5], 0x0
	s_add_u32 s6, s22, s27
	s_addc_u32 s7, s23, s28
	v_add_co_u32 v9, s6, s6, v2
	s_delay_alu instid0(VALU_DEP_1) | instskip(SKIP_1) | instid1(VALU_DEP_1)
	v_add_co_ci_u32_e64 v10, null, s7, 0, s6
	s_waitcnt lgkmcnt(0)
	v_mad_i64_i32 v[1:2], null, s21, s17, v[9:10]
	v_mad_i64_i32 v[3:4], null, s13, s17, v[9:10]
	;; [unrolled: 1-line block ×7, first 2 shown]
	s_clause 0x9
	global_load_b128 v[57:60], v[1:2], off
	global_load_b128 v[61:64], v[1:2], off offset:16
	global_load_b128 v[41:44], v[3:4], off
	global_load_b128 v[45:48], v[3:4], off offset:16
	;; [unrolled: 2-line block ×5, first 2 shown]
	v_mad_i64_i32 v[68:69], null, s4, s17, v[9:10]
	s_clause 0x3
	global_load_b128 v[9:12], v[13:14], off
	global_load_b128 v[13:16], v[13:14], off offset:16
	global_load_b128 v[17:20], v[21:22], off
	global_load_b128 v[21:24], v[21:22], off offset:16
	s_waitcnt vmcnt(20)
	v_wmma_f32_16x16x16_bf16 v[116:123], v[49:56], v[108:115], v[100:107]
	s_clause 0x1
	global_load_b128 v[49:52], v[68:69], off
	global_load_b128 v[53:56], v[68:69], off offset:16
	v_and_b32_e32 v68, 0xe0, v0
	v_mbcnt_lo_u32_b32 v69, -1, 0
	s_delay_alu instid0(VALU_DEP_2)
	v_add_nc_u32_e32 v68, s12, v68
	s_waitcnt vmcnt(20)
	v_wmma_f32_16x16x16_bf16 v[100:107], v[76:83], v[108:115], v[100:107]
	ds_load_b128 v[76:79], v70 offset:2048
	ds_load_b128 v[80:83], v70 offset:3072
	v_xor_b32_e32 v70, 16, v69
	s_waitcnt vmcnt(0) lgkmcnt(0)
	v_or_b32_e32 v68, v68, v74
	s_barrier
	buffer_gl0_inv
	v_cmp_gt_i32_e32 vcc_lo, 32, v70
	v_or_b32_e32 v71, 4, v68
	v_or_b32_e32 v72, 6, v68
	v_cmp_gt_i32_e64 s3, s24, v68
	v_or_b32_e32 v108, 8, v68
	v_or_b32_e32 v109, 10, v68
	v_cmp_gt_i32_e64 s4, s24, v71
	v_cmp_gt_i32_e64 s5, s24, v72
	s_delay_alu instid0(VALU_DEP_4) | instskip(NEXT) | instid1(VALU_DEP_4)
	v_cmp_gt_i32_e64 s6, s24, v108
	v_cmp_gt_i32_e64 s7, s24, v109
	v_wmma_f32_16x16x16_bf16 v[116:123], v[84:91], v[76:83], v[116:123]
	v_cndmask_b32_e32 v69, v69, v70, vcc_lo
	v_or_b32_e32 v70, 2, v68
	v_wmma_f32_16x16x16_bf16 v[100:107], v[92:99], v[76:83], v[100:107]
	v_or_b32_e32 v89, 22, v68
	v_dual_mul_f32 v82, s19, v119 :: v_dual_mul_f32 v79, s19, v122
	v_dual_mul_f32 v92, s19, v117 :: v_dual_mul_f32 v93, s19, v116
	s_delay_alu instid0(VALU_DEP_4) | instskip(SKIP_2) | instid1(VALU_DEP_4)
	v_mul_f32_e32 v98, s19, v103
	v_cmp_gt_i32_e32 vcc_lo, s24, v70
	v_dual_mul_f32 v83, s19, v118 :: v_dual_mul_f32 v96, s19, v105
	v_cndmask_b32_e64 v93, 0xff7fffff, v93, s3
	v_or_b32_e32 v84, 12, v68
	v_cndmask_b32_e32 v92, 0xff7fffff, v92, vcc_lo
	v_or_b32_e32 v85, 14, v68
	v_dual_mul_f32 v80, s19, v121 :: v_dual_mul_f32 v81, s19, v120
	v_mul_f32_e32 v94, s19, v107
	v_cndmask_b32_e64 v71, 0xff7fffff, v83, s4
	v_cndmask_b32_e64 v72, 0xff7fffff, v82, s5
	v_cmp_gt_i32_e64 s13, s24, v89
	v_lshlrev_b32_e32 v89, 2, v69
	v_max3_f32 v82, v93, 0xff7fffff, v92
	v_or_b32_e32 v86, 16, v68
	v_or_b32_e32 v87, 18, v68
	v_mul_f32_e32 v78, s19, v123
	v_cndmask_b32_e64 v81, 0xff7fffff, v81, s6
	v_cndmask_b32_e64 v80, 0xff7fffff, v80, s7
	v_max3_f32 v71, v82, v71, v72
	v_cmp_gt_i32_e64 s8, s24, v84
	v_cmp_gt_i32_e64 s9, s24, v85
	v_or_b32_e32 v88, 20, v68
	v_or_b32_e32 v90, 24, v68
	;; [unrolled: 1-line block ×5, first 2 shown]
	v_dual_mul_f32 v95, s19, v106 :: v_dual_mul_f32 v70, s19, v101
	v_dual_mul_f32 v99, s19, v102 :: v_dual_mul_f32 v68, s19, v100
	v_cndmask_b32_e64 v72, 0xff7fffff, v79, s8
	v_cndmask_b32_e64 v78, 0xff7fffff, v78, s9
	v_max3_f32 v71, v71, v81, v80
	v_cmp_gt_i32_e64 s10, s24, v86
	v_cmp_gt_i32_e64 s11, s24, v87
	v_cmp_gt_i32_e64 s12, s24, v88
	v_mul_f32_e32 v97, s19, v104
	v_max3_f32 v71, v71, v72, v78
	v_cndmask_b32_e64 v68, 0xff7fffff, v68, s10
	v_cndmask_b32_e64 v70, 0xff7fffff, v70, s11
	v_cndmask_b32_e64 v72, 0xff7fffff, v99, s12
	v_cndmask_b32_e64 v78, 0xff7fffff, v98, s13
	v_cmp_gt_i32_e64 s15, s24, v90
	v_cmp_gt_i32_e64 s16, s24, v91
	v_max3_f32 v68, v71, v68, v70
	v_cmp_gt_i32_e64 s17, s24, v76
	v_cmp_gt_i32_e64 s18, s24, v77
	v_cndmask_b32_e64 v70, 0xff7fffff, v97, s15
	v_cndmask_b32_e64 v71, 0xff7fffff, v96, s16
	v_max3_f32 v68, v68, v72, v78
	v_cndmask_b32_e64 v72, 0xff7fffff, v95, s17
	v_cndmask_b32_e64 v76, 0xff7fffff, v94, s18
	s_delay_alu instid0(VALU_DEP_3) | instskip(NEXT) | instid1(VALU_DEP_1)
	v_max3_f32 v68, v68, v70, v71
	v_max3_f32 v68, v68, v72, v76
	ds_bpermute_b32 v69, v89, v68
	s_waitcnt lgkmcnt(0)
	v_max_f32_e32 v69, v69, v69
	s_delay_alu instid0(VALU_DEP_1) | instskip(NEXT) | instid1(VALU_DEP_1)
	v_max_f32_e32 v68, v68, v69
	v_fma_f32 v69, s19, v116, -v68
	v_fma_f32 v70, s19, v117, -v68
	;; [unrolled: 1-line block ×5, first 2 shown]
	s_delay_alu instid0(VALU_DEP_4) | instskip(NEXT) | instid1(VALU_DEP_4)
	v_dual_mul_f32 v69, 0x3fb8aa3b, v69 :: v_dual_mul_f32 v70, 0x3fb8aa3b, v70
	v_mul_f32_e32 v72, 0x3fb8aa3b, v72
	v_fma_f32 v78, s19, v122, -v68
	s_delay_alu instid0(VALU_DEP_4) | instskip(NEXT) | instid1(VALU_DEP_4)
	v_mul_f32_e32 v77, 0x3fb8aa3b, v76
	v_exp_f32_e32 v69, v69
	v_exp_f32_e32 v70, v70
	v_mul_f32_e32 v71, 0x3fb8aa3b, v71
	v_exp_f32_e32 v72, v72
	v_mul_f32_e32 v78, 0x3fb8aa3b, v78
	v_exp_f32_e32 v77, v77
	v_fma_f32 v81, s19, v105, -v68
	s_delay_alu instid0(VALU_DEP_2)
	v_exp_f32_e32 v78, v78
	v_cndmask_b32_e64 v80, 0, v69, s3
	v_cndmask_b32_e32 v76, 0, v70, vcc_lo
	v_exp_f32_e32 v71, v71
	v_fma_f32 v69, s19, v121, -v68
	v_cndmask_b32_e64 v85, 0, v72, s5
	v_add_f32_e32 v70, 0, v80
	s_delay_alu instid0(TRANS32_DEP_3)
	v_cndmask_b32_e64 v86, 0, v77, s6
	v_fma_f32 v77, s19, v101, -v68
	v_mul_f32_e32 v69, 0x3fb8aa3b, v69
	v_fma_f32 v72, s19, v100, -v68
	v_cndmask_b32_e64 v84, 0, v78, s8
	v_fma_f32 v78, s19, v103, -v68
	v_cndmask_b32_e64 v83, 0, v71, s4
	v_fma_f32 v71, s19, v123, -v68
	v_add_f32_e32 v70, v70, v76
	v_exp_f32_e32 v69, v69
	v_mul_f32_e32 v77, 0x3fb8aa3b, v77
	v_mul_f32_e32 v81, 0x3fb8aa3b, v81
	;; [unrolled: 1-line block ×3, first 2 shown]
	v_add_f32_e32 v70, v70, v83
	v_cmp_gt_u32_e64 s3, 16, v67
	v_exp_f32_e32 v77, v77
	v_exp_f32_e32 v81, v81
	v_exp_f32_e32 v71, v71
	v_cndmask_b32_e64 v87, 0, v69, s7
	v_add_f32_e32 v70, v70, v85
	s_delay_alu instid0(VALU_DEP_1) | instskip(SKIP_1) | instid1(VALU_DEP_2)
	v_dual_mul_f32 v72, 0x3fb8aa3b, v72 :: v_dual_add_f32 v69, v70, v86
	v_fma_f32 v70, s19, v102, -v68
	v_exp_f32_e32 v72, v72
	s_waitcnt_depctr 0xfff
	v_cndmask_b32_e64 v88, 0, v71, s9
	v_fma_f32 v71, s19, v104, -v68
	v_dual_add_f32 v69, v69, v87 :: v_dual_mul_f32 v70, 0x3fb8aa3b, v70
	s_delay_alu instid0(VALU_DEP_2) | instskip(NEXT) | instid1(VALU_DEP_2)
	v_dual_mul_f32 v78, 0x3fb8aa3b, v78 :: v_dual_mul_f32 v71, 0x3fb8aa3b, v71
	v_add_f32_e32 v69, v69, v84
	s_delay_alu instid0(VALU_DEP_3) | instskip(SKIP_1) | instid1(VALU_DEP_3)
	v_exp_f32_e32 v79, v70
	v_cndmask_b32_e64 v70, 0, v72, s10
	v_exp_f32_e32 v78, v78
	v_exp_f32_e32 v82, v71
	v_add_f32_e32 v72, v69, v88
	v_cndmask_b32_e64 v69, 0, v77, s11
	v_fma_f32 v77, s19, v106, -v68
	s_delay_alu instid0(VALU_DEP_3) | instskip(NEXT) | instid1(TRANS32_DEP_3)
	v_add_f32_e32 v72, v72, v70
	v_cndmask_b32_e64 v71, 0, v79, s12
	s_delay_alu instid0(VALU_DEP_3) | instskip(NEXT) | instid1(VALU_DEP_3)
	v_mul_f32_e32 v77, 0x3fb8aa3b, v77
	v_add_f32_e32 v79, v72, v69
	s_delay_alu instid0(TRANS32_DEP_2) | instskip(NEXT) | instid1(VALU_DEP_3)
	v_cndmask_b32_e64 v72, 0, v78, s13
	v_exp_f32_e32 v90, v77
	v_cndmask_b32_e64 v77, 0, v82, s15
	s_delay_alu instid0(VALU_DEP_3) | instskip(SKIP_1) | instid1(VALU_DEP_1)
	v_add_f32_e32 v78, v79, v71
	v_fma_f32 v79, s19, v107, -v68
	v_dual_add_f32 v82, v78, v72 :: v_dual_mul_f32 v79, 0x3fb8aa3b, v79
	v_cndmask_b32_e64 v78, 0, v81, s16
	s_delay_alu instid0(VALU_DEP_2) | instskip(NEXT) | instid1(VALU_DEP_3)
	v_add_f32_e32 v81, v82, v77
	v_exp_f32_e32 v82, v79
	s_delay_alu instid0(TRANS32_DEP_2) | instskip(NEXT) | instid1(VALU_DEP_2)
	v_cndmask_b32_e64 v79, 0, v90, s17
	v_add_f32_e32 v81, v81, v78
	s_delay_alu instid0(VALU_DEP_1) | instskip(SKIP_2) | instid1(VALU_DEP_1)
	v_add_f32_e32 v90, v81, v79
	s_waitcnt_depctr 0xfff
	v_cndmask_b32_e64 v81, 0, v82, s18
	v_add_f32_e32 v82, v90, v81
	ds_bpermute_b32 v89, v89, v82
	s_and_saveexec_b32 s4, s3
	s_cbranch_execz .LBB1718_12
; %bb.11:
	v_mul_u32_u24_e32 v67, 0x44, v66
	s_delay_alu instid0(VALU_DEP_1) | instskip(SKIP_1) | instid1(VALU_DEP_1)
	v_lshl_add_u32 v67, v65, 2, v67
	s_waitcnt lgkmcnt(0)
	v_dual_add_f32 v82, v82, v89 :: v_dual_add_nc_u32 v67, 0x4000, v67
	ds_store_2addr_b32 v67, v68, v82 offset1:136
.LBB1718_12:
	s_or_b32 exec_lo, exec_lo, s4
	v_lshlrev_b32_e32 v67, 2, v65
	s_waitcnt lgkmcnt(0)
	s_barrier
	buffer_gl0_inv
	v_cmp_eq_u32_e32 vcc_lo, 1, v66
	v_add_nc_u32_e32 v82, 0x4000, v67
	v_cmp_eq_u32_e64 s4, 2, v66
	v_cmp_eq_u32_e64 s6, 7, v66
	ds_load_2addr_b32 v[89:90], v82 offset1:17
	ds_load_2addr_b32 v[91:92], v82 offset0:34 offset1:51
	ds_load_2addr_b32 v[93:94], v82 offset0:68 offset1:85
	;; [unrolled: 1-line block ×4, first 2 shown]
	s_waitcnt lgkmcnt(4)
	v_max3_f32 v67, v89, 0xff7fffff, v90
	s_waitcnt lgkmcnt(3)
	s_delay_alu instid0(VALU_DEP_1) | instskip(SKIP_1) | instid1(VALU_DEP_1)
	v_max3_f32 v67, v67, v91, v92
	s_waitcnt lgkmcnt(2)
	v_max3_f32 v67, v67, v93, v94
	s_waitcnt lgkmcnt(1)
	s_delay_alu instid0(VALU_DEP_1) | instskip(NEXT) | instid1(VALU_DEP_1)
	v_max3_f32 v67, v67, v95, v96
	v_sub_f32_e32 v93, v93, v67
	s_delay_alu instid0(VALU_DEP_1) | instskip(NEXT) | instid1(VALU_DEP_1)
	v_dual_sub_f32 v68, v89, v67 :: v_dual_mul_f32 v103, 0x3fb8aa3b, v93
	v_mul_f32_e32 v68, 0x3fb8aa3b, v68
	s_delay_alu instid0(VALU_DEP_1)
	v_exp_f32_e32 v100, v68
	v_sub_f32_e32 v68, v92, v67
	v_sub_f32_e32 v99, v90, v67
	ds_load_2addr_b32 v[89:90], v82 offset0:170 offset1:187
	v_dual_mul_f32 v102, 0x3fb8aa3b, v68 :: v_dual_mul_f32 v99, 0x3fb8aa3b, v99
	s_waitcnt lgkmcnt(1)
	v_fma_f32 v68, v100, v97, 0
	s_delay_alu instid0(VALU_DEP_2) | instskip(NEXT) | instid1(VALU_DEP_2)
	v_exp_f32_e32 v102, v102
	v_exp_f32_e32 v99, v99
	s_waitcnt_depctr 0xfff
	v_fmac_f32_e32 v68, v99, v98
	v_sub_f32_e32 v91, v91, v67
	s_delay_alu instid0(VALU_DEP_1)
	v_mul_f32_e32 v101, 0x3fb8aa3b, v91
	ds_load_2addr_b32 v[91:92], v82 offset0:204 offset1:221
	v_sub_f32_e32 v97, v94, v67
	ds_load_2addr_b32 v[93:94], v82 offset0:238 offset1:255
	s_waitcnt lgkmcnt(0)
	v_exp_f32_e32 v101, v101
	s_barrier
	buffer_gl0_inv
	v_dual_fmac_f32 v68, v101, v89 :: v_dual_sub_f32 v89, v96, v67
	v_dual_sub_f32 v82, v95, v67 :: v_dual_mul_f32 v95, 0x3fb8aa3b, v97
	v_exp_f32_e32 v97, v103
	s_delay_alu instid0(VALU_DEP_2) | instskip(NEXT) | instid1(VALU_DEP_2)
	v_dual_fmac_f32 v68, v102, v90 :: v_dual_mul_f32 v89, 0x3fb8aa3b, v89
	v_mul_f32_e32 v82, 0x3fb8aa3b, v82
	s_delay_alu instid0(VALU_DEP_3) | instskip(NEXT) | instid1(VALU_DEP_2)
	v_exp_f32_e32 v95, v95
	v_exp_f32_e32 v89, v89
	s_delay_alu instid0(VALU_DEP_1)
	v_exp_f32_e32 v82, v82
	v_fmac_f32_e32 v68, v97, v91
	s_delay_alu instid0(TRANS32_DEP_3) | instid1(VALU_DEP_1)
	v_fmac_f32_e32 v68, v95, v92
	s_waitcnt_depctr 0xfff
	v_fmac_f32_e32 v68, v82, v93
	s_delay_alu instid0(VALU_DEP_1) | instskip(NEXT) | instid1(VALU_DEP_1)
	v_fmac_f32_e32 v68, v89, v94
	v_add_f32_e32 v90, 0x358637bd, v68
	s_delay_alu instid0(VALU_DEP_1) | instskip(NEXT) | instid1(VALU_DEP_1)
	v_div_scale_f32 v91, null, v90, v90, 1.0
	v_rcp_f32_e32 v92, v91
	s_waitcnt_depctr 0xfff
	v_fma_f32 v93, -v91, v92, 1.0
	s_delay_alu instid0(VALU_DEP_1) | instskip(SKIP_1) | instid1(VALU_DEP_2)
	v_dual_fmac_f32 v92, v93, v92 :: v_dual_cndmask_b32 v93, v100, v99
	v_cmp_eq_u32_e32 vcc_lo, 3, v66
	v_cndmask_b32_e64 v93, v93, v101, s4
	v_cmp_eq_u32_e64 s4, 4, v66
	s_delay_alu instid0(VALU_DEP_2) | instskip(SKIP_1) | instid1(VALU_DEP_2)
	v_cndmask_b32_e32 v93, v93, v102, vcc_lo
	v_cmp_eq_u32_e32 vcc_lo, 5, v66
	v_cndmask_b32_e64 v93, v93, v97, s4
	v_cmp_eq_u32_e64 s4, 6, v66
	s_delay_alu instid0(VALU_DEP_2) | instskip(SKIP_1) | instid1(VALU_DEP_1)
	v_cndmask_b32_e32 v93, v93, v95, vcc_lo
	v_div_scale_f32 v94, s5, 1.0, v90, 1.0
	s_mov_b32 vcc_lo, s5
	s_delay_alu instid0(VALU_DEP_2) | instskip(NEXT) | instid1(VALU_DEP_2)
	v_cndmask_b32_e64 v82, v93, v82, s4
	v_mul_f32_e32 v96, v94, v92
	s_mov_b32 s4, exec_lo
	s_delay_alu instid0(VALU_DEP_2) | instskip(NEXT) | instid1(VALU_DEP_2)
	v_cndmask_b32_e64 v82, v82, v89, s6
	v_fma_f32 v98, -v91, v96, v94
	s_delay_alu instid0(VALU_DEP_1) | instskip(NEXT) | instid1(VALU_DEP_1)
	v_fmac_f32_e32 v96, v98, v92
	v_fma_f32 v91, -v91, v96, v94
	s_delay_alu instid0(VALU_DEP_1) | instskip(NEXT) | instid1(VALU_DEP_1)
	v_div_fmas_f32 v91, v91, v92, v96
	v_div_fixup_f32 v90, v91, v90, 1.0
	s_delay_alu instid0(VALU_DEP_1) | instskip(NEXT) | instid1(VALU_DEP_1)
	v_mul_f32_e32 v82, v82, v90
	v_mul_f32_e32 v87, v82, v87
	;; [unrolled: 1-line block ×7, first 2 shown]
	v_dual_mul_f32 v86, v82, v83 :: v_dual_and_b32 v91, 0x7f800000, v90
	v_mul_f32_e32 v85, v82, v76
                                        ; implicit-def: $vgpr76
	s_delay_alu instid0(VALU_DEP_2)
	v_cmpx_ne_u32_e32 0x7f800000, v91
	s_xor_b32 s4, exec_lo, s4
; %bb.13:
	v_bfe_u32 v76, v90, 16, 1
	s_delay_alu instid0(VALU_DEP_1)
	v_add3_u32 v76, v90, v76, 0x7fff
                                        ; implicit-def: $vgpr90
; %bb.14:
	s_and_not1_saveexec_b32 s4, s4
; %bb.15:
	v_and_b32_e32 v76, 0xffff, v90
	v_or_b32_e32 v83, 0x10000, v90
	s_delay_alu instid0(VALU_DEP_2) | instskip(NEXT) | instid1(VALU_DEP_2)
	v_cmp_eq_u32_e32 vcc_lo, 0, v76
	v_cndmask_b32_e32 v76, v83, v90, vcc_lo
; %bb.16:
	s_or_b32 exec_lo, exec_lo, s4
	v_and_b32_e32 v83, 0x7f800000, v85
	s_delay_alu instid0(VALU_DEP_1) | instskip(SKIP_1) | instid1(SALU_CYCLE_1)
	v_cmp_ne_u32_e32 vcc_lo, 0x7f800000, v83
                                        ; implicit-def: $vgpr83
	s_and_saveexec_b32 s4, vcc_lo
	s_xor_b32 s4, exec_lo, s4
; %bb.17:
	v_bfe_u32 v83, v85, 16, 1
	s_delay_alu instid0(VALU_DEP_1)
	v_add3_u32 v83, v85, v83, 0x7fff
                                        ; implicit-def: $vgpr85
; %bb.18:
	s_and_not1_saveexec_b32 s4, s4
; %bb.19:
	v_and_b32_e32 v83, 0xffff, v85
	v_or_b32_e32 v90, 0x10000, v85
	s_delay_alu instid0(VALU_DEP_2) | instskip(NEXT) | instid1(VALU_DEP_2)
	v_cmp_eq_u32_e32 vcc_lo, 0, v83
	v_cndmask_b32_e32 v83, v90, v85, vcc_lo
; %bb.20:
	s_or_b32 exec_lo, exec_lo, s4
	v_and_b32_e32 v85, 0x7f800000, v86
	s_delay_alu instid0(VALU_DEP_1) | instskip(SKIP_1) | instid1(SALU_CYCLE_1)
	v_cmp_ne_u32_e32 vcc_lo, 0x7f800000, v85
                                        ; implicit-def: $vgpr85
	s_and_saveexec_b32 s4, vcc_lo
	s_xor_b32 s4, exec_lo, s4
; %bb.21:
	v_bfe_u32 v85, v86, 16, 1
	s_delay_alu instid0(VALU_DEP_1)
	v_add3_u32 v85, v86, v85, 0x7fff
                                        ; implicit-def: $vgpr86
; %bb.22:
	s_and_not1_saveexec_b32 s4, s4
; %bb.23:
	v_and_b32_e32 v85, 0xffff, v86
	v_or_b32_e32 v90, 0x10000, v86
	s_delay_alu instid0(VALU_DEP_2) | instskip(NEXT) | instid1(VALU_DEP_2)
	v_cmp_eq_u32_e32 vcc_lo, 0, v85
	v_cndmask_b32_e32 v85, v90, v86, vcc_lo
; %bb.24:
	s_or_b32 exec_lo, exec_lo, s4
	v_and_b32_e32 v86, 0x7f800000, v89
	s_delay_alu instid0(VALU_DEP_1) | instskip(SKIP_1) | instid1(SALU_CYCLE_1)
	v_cmp_ne_u32_e32 vcc_lo, 0x7f800000, v86
                                        ; implicit-def: $vgpr86
	s_and_saveexec_b32 s4, vcc_lo
	s_xor_b32 s4, exec_lo, s4
; %bb.25:
	v_bfe_u32 v86, v89, 16, 1
	s_delay_alu instid0(VALU_DEP_1)
	v_add3_u32 v86, v89, v86, 0x7fff
                                        ; implicit-def: $vgpr89
; %bb.26:
	s_and_not1_saveexec_b32 s4, s4
; %bb.27:
	v_and_b32_e32 v86, 0xffff, v89
	v_or_b32_e32 v90, 0x10000, v89
	s_delay_alu instid0(VALU_DEP_2) | instskip(NEXT) | instid1(VALU_DEP_2)
	v_cmp_eq_u32_e32 vcc_lo, 0, v86
	v_cndmask_b32_e32 v86, v90, v89, vcc_lo
; %bb.28:
	s_or_b32 exec_lo, exec_lo, s4
	v_and_b32_e32 v89, 0x7f800000, v88
	s_delay_alu instid0(VALU_DEP_1) | instskip(SKIP_1) | instid1(SALU_CYCLE_1)
	v_cmp_ne_u32_e32 vcc_lo, 0x7f800000, v89
                                        ; implicit-def: $vgpr89
	s_and_saveexec_b32 s4, vcc_lo
	s_xor_b32 s4, exec_lo, s4
; %bb.29:
	v_bfe_u32 v89, v88, 16, 1
	s_delay_alu instid0(VALU_DEP_1)
	v_add3_u32 v89, v88, v89, 0x7fff
                                        ; implicit-def: $vgpr88
; %bb.30:
	s_and_not1_saveexec_b32 s4, s4
; %bb.31:
	v_and_b32_e32 v89, 0xffff, v88
	v_or_b32_e32 v90, 0x10000, v88
	s_delay_alu instid0(VALU_DEP_2) | instskip(NEXT) | instid1(VALU_DEP_2)
	v_cmp_eq_u32_e32 vcc_lo, 0, v89
	v_cndmask_b32_e32 v89, v90, v88, vcc_lo
; %bb.32:
	s_or_b32 exec_lo, exec_lo, s4
	v_and_b32_e32 v88, 0x7f800000, v87
	s_delay_alu instid0(VALU_DEP_1) | instskip(SKIP_1) | instid1(SALU_CYCLE_1)
	v_cmp_ne_u32_e32 vcc_lo, 0x7f800000, v88
                                        ; implicit-def: $vgpr88
	s_and_saveexec_b32 s4, vcc_lo
	s_xor_b32 s4, exec_lo, s4
; %bb.33:
	v_bfe_u32 v88, v87, 16, 1
	s_delay_alu instid0(VALU_DEP_1)
	v_add3_u32 v88, v87, v88, 0x7fff
                                        ; implicit-def: $vgpr87
; %bb.34:
	s_and_not1_saveexec_b32 s4, s4
; %bb.35:
	v_and_b32_e32 v88, 0xffff, v87
	v_or_b32_e32 v90, 0x10000, v87
	s_delay_alu instid0(VALU_DEP_2) | instskip(NEXT) | instid1(VALU_DEP_2)
	v_cmp_eq_u32_e32 vcc_lo, 0, v88
	v_cndmask_b32_e32 v88, v90, v87, vcc_lo
; %bb.36:
	s_or_b32 exec_lo, exec_lo, s4
	v_and_b32_e32 v87, 0x7f800000, v84
	s_delay_alu instid0(VALU_DEP_1) | instskip(SKIP_1) | instid1(SALU_CYCLE_1)
	v_cmp_ne_u32_e32 vcc_lo, 0x7f800000, v87
                                        ; implicit-def: $vgpr87
	s_and_saveexec_b32 s4, vcc_lo
	s_xor_b32 s4, exec_lo, s4
; %bb.37:
	v_bfe_u32 v87, v84, 16, 1
	s_delay_alu instid0(VALU_DEP_1)
	v_add3_u32 v87, v84, v87, 0x7fff
                                        ; implicit-def: $vgpr84
; %bb.38:
	s_and_not1_saveexec_b32 s4, s4
; %bb.39:
	v_and_b32_e32 v87, 0xffff, v84
	v_or_b32_e32 v90, 0x10000, v84
	s_delay_alu instid0(VALU_DEP_2) | instskip(NEXT) | instid1(VALU_DEP_2)
	v_cmp_eq_u32_e32 vcc_lo, 0, v87
	v_cndmask_b32_e32 v87, v90, v84, vcc_lo
; %bb.40:
	s_or_b32 exec_lo, exec_lo, s4
	v_and_b32_e32 v84, 0x7f800000, v80
	s_delay_alu instid0(VALU_DEP_1) | instskip(SKIP_1) | instid1(SALU_CYCLE_1)
	v_cmp_ne_u32_e32 vcc_lo, 0x7f800000, v84
                                        ; implicit-def: $vgpr84
	s_and_saveexec_b32 s4, vcc_lo
	s_xor_b32 s4, exec_lo, s4
; %bb.41:
	v_bfe_u32 v84, v80, 16, 1
	s_delay_alu instid0(VALU_DEP_1)
	v_add3_u32 v84, v80, v84, 0x7fff
                                        ; implicit-def: $vgpr80
; %bb.42:
	s_and_not1_saveexec_b32 s4, s4
; %bb.43:
	v_and_b32_e32 v84, 0xffff, v80
	v_or_b32_e32 v90, 0x10000, v80
	s_delay_alu instid0(VALU_DEP_2) | instskip(NEXT) | instid1(VALU_DEP_2)
	v_cmp_eq_u32_e32 vcc_lo, 0, v84
	v_cndmask_b32_e32 v84, v90, v80, vcc_lo
; %bb.44:
	s_or_b32 exec_lo, exec_lo, s4
	s_load_b64 s[36:37], s[0:1], 0x94
	v_lshlrev_b32_e32 v91, 4, v74
	s_delay_alu instid0(VALU_DEP_2)
	v_perm_b32 v90, v84, v87, 0x7060302
	v_dual_mul_f32 v79, v82, v79 :: v_dual_lshlrev_b32 v80, 6, v65
	v_dual_mul_f32 v77, v82, v77 :: v_dual_lshlrev_b32 v92, 11, v66
	v_mul_f32_e32 v84, v82, v70
	v_perm_b32 v89, v88, v89, 0x7060302
	v_perm_b32 v88, v86, v85, 0x7060302
	;; [unrolled: 1-line block ×3, first 2 shown]
	v_mul_f32_e32 v70, v82, v81
	v_or3_b32 v76, v91, v92, v80
	v_dual_mul_f32 v78, v82, v78 :: v_dual_and_b32 v85, 0x7f800000, v84
	v_mul_f32_e32 v83, v82, v72
	v_mul_f32_e32 v81, v82, v71
	;; [unrolled: 1-line block ×3, first 2 shown]
	s_mov_b32 s4, exec_lo
	ds_store_b128 v76, v[87:90]
                                        ; implicit-def: $vgpr69
	v_cmpx_ne_u32_e32 0x7f800000, v85
	s_xor_b32 s4, exec_lo, s4
; %bb.45:
	v_bfe_u32 v69, v84, 16, 1
	s_delay_alu instid0(VALU_DEP_1)
	v_add3_u32 v69, v84, v69, 0x7fff
                                        ; implicit-def: $vgpr84
; %bb.46:
	s_and_not1_saveexec_b32 s4, s4
; %bb.47:
	v_and_b32_e32 v69, 0xffff, v84
	v_or_b32_e32 v71, 0x10000, v84
	s_delay_alu instid0(VALU_DEP_2) | instskip(NEXT) | instid1(VALU_DEP_2)
	v_cmp_eq_u32_e32 vcc_lo, 0, v69
	v_cndmask_b32_e32 v69, v71, v84, vcc_lo
; %bb.48:
	s_or_b32 exec_lo, exec_lo, s4
	v_and_b32_e32 v71, 0x7f800000, v72
	s_delay_alu instid0(VALU_DEP_1) | instskip(SKIP_1) | instid1(SALU_CYCLE_1)
	v_cmp_ne_u32_e32 vcc_lo, 0x7f800000, v71
                                        ; implicit-def: $vgpr71
	s_and_saveexec_b32 s4, vcc_lo
	s_xor_b32 s4, exec_lo, s4
; %bb.49:
	v_bfe_u32 v71, v72, 16, 1
	s_delay_alu instid0(VALU_DEP_1)
	v_add3_u32 v71, v72, v71, 0x7fff
                                        ; implicit-def: $vgpr72
; %bb.50:
	s_and_not1_saveexec_b32 s4, s4
; %bb.51:
	v_and_b32_e32 v71, 0xffff, v72
	v_or_b32_e32 v82, 0x10000, v72
	s_delay_alu instid0(VALU_DEP_2) | instskip(NEXT) | instid1(VALU_DEP_2)
	v_cmp_eq_u32_e32 vcc_lo, 0, v71
	v_cndmask_b32_e32 v71, v82, v72, vcc_lo
; %bb.52:
	s_or_b32 exec_lo, exec_lo, s4
	v_and_b32_e32 v72, 0x7f800000, v81
	s_delay_alu instid0(VALU_DEP_1) | instskip(SKIP_1) | instid1(SALU_CYCLE_1)
	v_cmp_ne_u32_e32 vcc_lo, 0x7f800000, v72
                                        ; implicit-def: $vgpr72
	s_and_saveexec_b32 s4, vcc_lo
	s_xor_b32 s4, exec_lo, s4
; %bb.53:
	v_bfe_u32 v72, v81, 16, 1
	s_delay_alu instid0(VALU_DEP_1)
	v_add3_u32 v72, v81, v72, 0x7fff
                                        ; implicit-def: $vgpr81
; %bb.54:
	s_and_not1_saveexec_b32 s4, s4
; %bb.55:
	v_and_b32_e32 v72, 0xffff, v81
	v_or_b32_e32 v82, 0x10000, v81
	s_delay_alu instid0(VALU_DEP_2) | instskip(NEXT) | instid1(VALU_DEP_2)
	v_cmp_eq_u32_e32 vcc_lo, 0, v72
	v_cndmask_b32_e32 v72, v82, v81, vcc_lo
; %bb.56:
	s_or_b32 exec_lo, exec_lo, s4
	v_and_b32_e32 v81, 0x7f800000, v83
	s_delay_alu instid0(VALU_DEP_1) | instskip(SKIP_1) | instid1(SALU_CYCLE_1)
	v_cmp_ne_u32_e32 vcc_lo, 0x7f800000, v81
                                        ; implicit-def: $vgpr81
	s_and_saveexec_b32 s4, vcc_lo
	s_xor_b32 s4, exec_lo, s4
; %bb.57:
	v_bfe_u32 v81, v83, 16, 1
	s_delay_alu instid0(VALU_DEP_1)
	v_add3_u32 v81, v83, v81, 0x7fff
                                        ; implicit-def: $vgpr83
; %bb.58:
	s_and_not1_saveexec_b32 s4, s4
; %bb.59:
	v_and_b32_e32 v81, 0xffff, v83
	v_or_b32_e32 v82, 0x10000, v83
	s_delay_alu instid0(VALU_DEP_2) | instskip(NEXT) | instid1(VALU_DEP_2)
	v_cmp_eq_u32_e32 vcc_lo, 0, v81
	v_cndmask_b32_e32 v81, v82, v83, vcc_lo
; %bb.60:
	s_or_b32 exec_lo, exec_lo, s4
	v_and_b32_e32 v82, 0x7f800000, v77
	s_delay_alu instid0(VALU_DEP_1) | instskip(SKIP_1) | instid1(SALU_CYCLE_1)
	v_cmp_ne_u32_e32 vcc_lo, 0x7f800000, v82
                                        ; implicit-def: $vgpr82
	s_and_saveexec_b32 s4, vcc_lo
	s_xor_b32 s4, exec_lo, s4
; %bb.61:
	v_bfe_u32 v82, v77, 16, 1
	s_delay_alu instid0(VALU_DEP_1)
	v_add3_u32 v82, v77, v82, 0x7fff
                                        ; implicit-def: $vgpr77
; %bb.62:
	s_and_not1_saveexec_b32 s4, s4
; %bb.63:
	v_and_b32_e32 v82, 0xffff, v77
	v_or_b32_e32 v83, 0x10000, v77
	s_delay_alu instid0(VALU_DEP_2) | instskip(NEXT) | instid1(VALU_DEP_2)
	v_cmp_eq_u32_e32 vcc_lo, 0, v82
	v_cndmask_b32_e32 v82, v83, v77, vcc_lo
; %bb.64:
	s_or_b32 exec_lo, exec_lo, s4
	v_and_b32_e32 v77, 0x7f800000, v78
	s_delay_alu instid0(VALU_DEP_1) | instskip(SKIP_1) | instid1(SALU_CYCLE_1)
	v_cmp_ne_u32_e32 vcc_lo, 0x7f800000, v77
                                        ; implicit-def: $vgpr77
	s_and_saveexec_b32 s4, vcc_lo
	s_xor_b32 s4, exec_lo, s4
; %bb.65:
	v_bfe_u32 v77, v78, 16, 1
	s_delay_alu instid0(VALU_DEP_1)
	v_add3_u32 v77, v78, v77, 0x7fff
                                        ; implicit-def: $vgpr78
; %bb.66:
	s_and_not1_saveexec_b32 s4, s4
; %bb.67:
	v_and_b32_e32 v77, 0xffff, v78
	v_or_b32_e32 v83, 0x10000, v78
	s_delay_alu instid0(VALU_DEP_2) | instskip(NEXT) | instid1(VALU_DEP_2)
	v_cmp_eq_u32_e32 vcc_lo, 0, v77
	v_cndmask_b32_e32 v77, v83, v78, vcc_lo
; %bb.68:
	s_or_b32 exec_lo, exec_lo, s4
	v_and_b32_e32 v78, 0x7f800000, v79
	s_delay_alu instid0(VALU_DEP_1) | instskip(SKIP_1) | instid1(SALU_CYCLE_1)
	v_cmp_ne_u32_e32 vcc_lo, 0x7f800000, v78
                                        ; implicit-def: $vgpr78
	s_and_saveexec_b32 s4, vcc_lo
	s_xor_b32 s4, exec_lo, s4
; %bb.69:
	v_bfe_u32 v78, v79, 16, 1
	s_delay_alu instid0(VALU_DEP_1)
	v_add3_u32 v78, v79, v78, 0x7fff
                                        ; implicit-def: $vgpr79
; %bb.70:
	s_and_not1_saveexec_b32 s4, s4
; %bb.71:
	v_and_b32_e32 v78, 0xffff, v79
	v_or_b32_e32 v83, 0x10000, v79
	s_delay_alu instid0(VALU_DEP_2) | instskip(NEXT) | instid1(VALU_DEP_2)
	v_cmp_eq_u32_e32 vcc_lo, 0, v78
	v_cndmask_b32_e32 v78, v83, v79, vcc_lo
; %bb.72:
	s_or_b32 exec_lo, exec_lo, s4
	v_and_b32_e32 v79, 0x7f800000, v70
	s_delay_alu instid0(VALU_DEP_1) | instskip(SKIP_1) | instid1(SALU_CYCLE_1)
	v_cmp_ne_u32_e32 vcc_lo, 0x7f800000, v79
                                        ; implicit-def: $vgpr79
	s_and_saveexec_b32 s4, vcc_lo
	s_xor_b32 s4, exec_lo, s4
; %bb.73:
	v_bfe_u32 v79, v70, 16, 1
	s_delay_alu instid0(VALU_DEP_1)
	v_add3_u32 v79, v70, v79, 0x7fff
                                        ; implicit-def: $vgpr70
; %bb.74:
	s_and_not1_saveexec_b32 s4, s4
; %bb.75:
	v_and_b32_e32 v79, 0xffff, v70
	v_or_b32_e32 v83, 0x10000, v70
	s_delay_alu instid0(VALU_DEP_2) | instskip(NEXT) | instid1(VALU_DEP_2)
	v_cmp_eq_u32_e32 vcc_lo, 0, v79
	v_cndmask_b32_e32 v79, v83, v70, vcc_lo
; %bb.76:
	s_or_b32 exec_lo, exec_lo, s4
	s_delay_alu instid0(VALU_DEP_1)
	v_perm_b32 v86, v79, v78, 0x7060302
	v_perm_b32 v85, v77, v82, 0x7060302
	;; [unrolled: 1-line block ×4, first 2 shown]
	v_lshl_or_b32 v82, v66, 11, v80
	ds_store_b128 v76, v[83:86] offset:1024
	s_waitcnt lgkmcnt(0)
	s_barrier
	buffer_gl0_inv
	ds_load_b128 v[69:72], v82
	ds_load_b128 v[83:86], v82 offset:16
	s_waitcnt lgkmcnt(1)
	v_lshrrev_b32_e32 v66, 16, v69
	s_waitcnt lgkmcnt(0)
	v_lshrrev_b32_e32 v91, 16, v83
	v_lshlrev_b32_e32 v78, 2, v74
	v_lshrrev_b32_e32 v95, 16, v70
	v_lshrrev_b32_e32 v98, 16, v84
	v_lshrrev_b32_e32 v96, 16, v71
	v_lshrrev_b32_e32 v99, 16, v85
	v_cmp_eq_u32_e32 vcc_lo, 1, v78
	v_lshrrev_b32_e32 v97, 16, v72
	v_lshrrev_b32_e32 v100, 16, v86
	v_cndmask_b32_e32 v87, v83, v91, vcc_lo
	v_or_b32_e32 v79, 1, v78
	v_cndmask_b32_e32 v81, v69, v66, vcc_lo
	v_cmp_eq_u32_e64 s5, 2, v78
	v_cmp_eq_u32_e64 s8, 3, v78
	;; [unrolled: 1-line block ×5, first 2 shown]
	v_cndmask_b32_e64 v81, v81, v70, s5
	v_cndmask_b32_e64 v87, v87, v84, s5
	v_cmp_eq_u32_e64 s9, 3, v79
	v_cndmask_b32_e64 v88, v69, v66, s4
	v_or_b32_e32 v77, 2, v78
	v_cndmask_b32_e64 v81, v81, v95, s8
	v_cndmask_b32_e64 v87, v87, v98, s8
	;; [unrolled: 1-line block ×4, first 2 shown]
	v_cmp_eq_u32_e64 s11, 5, v78
	v_cndmask_b32_e64 v81, v81, v71, s10
	v_cndmask_b32_e64 v87, v87, v85, s10
	v_cmp_eq_u32_e64 s12, 4, v79
	v_cndmask_b32_e64 v88, v88, v95, s9
	v_cmp_eq_u32_e64 s6, 1, v77
	v_cndmask_b32_e64 v89, v89, v84, s7
	v_cndmask_b32_e64 v81, v81, v96, s11
	v_cmp_eq_u32_e64 s13, 6, v78
	v_cndmask_b32_e64 v88, v88, v71, s12
	;; [unrolled: 3-line block ×3, first 2 shown]
	v_cndmask_b32_e64 v89, v89, v98, s9
	v_cndmask_b32_e64 v81, v81, v72, s13
	v_cmp_eq_u32_e64 s16, 7, v78
	v_cndmask_b32_e64 v88, v88, v96, s15
	v_cndmask_b32_e64 v87, v87, v86, s13
	v_cmp_eq_u32_e64 s17, 6, v79
	v_cmp_eq_u32_e64 s18, 2, v77
	v_cndmask_b32_e64 v89, v89, v85, s12
	v_cndmask_b32_e64 v101, v81, v97, s16
	;; [unrolled: 1-line block ×6, first 2 shown]
	v_cmp_eq_u32_e64 s19, 7, v79
	v_cmp_eq_u32_e64 s20, 3, v77
	;; [unrolled: 1-line block ×4, first 2 shown]
	v_cndmask_b32_e64 v87, v87, v84, s18
	v_cndmask_b32_e64 v103, v88, v97, s19
	;; [unrolled: 1-line block ×4, first 2 shown]
	v_or_b32_e32 v81, 3, v78
	v_cndmask_b32_e64 v93, v87, v98, s20
	v_cmp_eq_u32_e64 s25, 6, v77
	v_cndmask_b32_e64 v104, v88, v86, s17
	v_cndmask_b32_e64 v92, v89, v71, s21
	v_cmp_eq_u32_e64 s22, 1, v81
	ds_load_b128 v[87:90], v82 offset:1024
	v_cmp_eq_u32_e64 s24, 2, v81
	v_cmp_eq_u32_e64 s26, 3, v81
	v_cndmask_b32_e64 v105, v92, v96, s23
	v_cndmask_b32_e64 v66, v69, v66, s22
	v_cndmask_b32_e64 v69, v93, v85, s21
	v_cndmask_b32_e64 v83, v83, v91, s22
	ds_load_b128 v[91:94], v82 offset:1040
	v_cmp_eq_u32_e64 s27, 4, v81
	v_cndmask_b32_e64 v66, v66, v70, s24
	v_cmp_eq_u32_e64 s28, 7, v77
	v_cndmask_b32_e64 v70, v83, v84, s24
	v_cndmask_b32_e64 v84, v105, v72, s25
	v_cmp_eq_u32_e64 s29, 5, v81
	v_cndmask_b32_e64 v66, v66, v95, s26
	v_cmp_eq_u32_e64 s30, 6, v81
	v_cndmask_b32_e64 v70, v70, v98, s26
	v_cndmask_b32_e64 v69, v69, v99, s23
	;; [unrolled: 1-line block ×4, first 2 shown]
	s_waitcnt lgkmcnt(1)
	v_lshrrev_b32_e32 v95, 16, v87
	v_cndmask_b32_e64 v70, v70, v85, s27
	v_cndmask_b32_e64 v71, v84, v97, s28
	;; [unrolled: 1-line block ×4, first 2 shown]
	v_cndmask_b32_e32 v84, v87, v95, vcc_lo
	v_cndmask_b32_e64 v70, v70, v99, s29
	s_waitcnt lgkmcnt(0)
	v_lshrrev_b32_e32 v85, 16, v91
	v_lshrrev_b32_e32 v96, 16, v88
	v_cndmask_b32_e64 v98, v87, v95, s4
	v_cndmask_b32_e64 v84, v84, v88, s5
	;; [unrolled: 1-line block ×3, first 2 shown]
	v_cndmask_b32_e32 v99, v91, v85, vcc_lo
	v_cmp_eq_u32_e32 vcc_lo, 7, v81
	v_cndmask_b32_e64 v66, v66, v72, s30
	v_cndmask_b32_e64 v72, v84, v96, s8
	;; [unrolled: 1-line block ×3, first 2 shown]
	v_lshrrev_b32_e32 v98, 16, v92
	v_cndmask_b32_e32 v70, v70, v100, vcc_lo
	v_cndmask_b32_e64 v86, v99, v92, s5
	v_cndmask_b32_e64 v69, v69, v100, s28
	v_lshrrev_b32_e32 v100, 16, v93
	v_cndmask_b32_e64 v72, v72, v89, s10
	v_lshrrev_b32_e32 v99, 16, v89
	v_cndmask_b32_e64 v86, v86, v98, s8
	v_perm_b32 v71, v69, v71, 0x5040100
	v_cndmask_b32_e64 v84, v84, v96, s9
	s_delay_alu instid0(VALU_DEP_3) | instskip(NEXT) | instid1(VALU_DEP_2)
	v_cndmask_b32_e64 v86, v86, v93, s10
	v_cndmask_b32_e64 v84, v84, v89, s12
	s_delay_alu instid0(VALU_DEP_2) | instskip(NEXT) | instid1(VALU_DEP_1)
	v_cndmask_b32_e64 v86, v86, v100, s11
	v_cndmask_b32_e64 v69, v86, v94, s13
	;; [unrolled: 1-line block ×5, first 2 shown]
	s_delay_alu instid0(VALU_DEP_3) | instskip(NEXT) | instid1(VALU_DEP_3)
	v_cndmask_b32_e64 v86, v86, v88, s18
	v_cndmask_b32_e64 v87, v87, v88, s24
	s_delay_alu instid0(VALU_DEP_3) | instskip(NEXT) | instid1(VALU_DEP_3)
	v_cndmask_b32_e64 v88, v95, v92, s24
	v_cndmask_b32_e64 v86, v86, v96, s20
	;; [unrolled: 3-line block ×7, first 2 shown]
	s_delay_alu instid0(VALU_DEP_3) | instskip(SKIP_2) | instid1(VALU_DEP_2)
	v_cndmask_b32_e64 v88, v88, v94, s30
	v_cndmask_b32_e32 v66, v66, v97, vcc_lo
	v_cndmask_b32_e64 v97, v72, v99, s11
	v_perm_b32 v72, v70, v66, 0x5040100
	v_perm_b32 v70, v83, v103, 0x5040100
	v_cndmask_b32_e64 v103, v91, v85, s6
	v_cndmask_b32_e64 v85, v91, v85, s4
	;; [unrolled: 1-line block ×4, first 2 shown]
	v_lshrrev_b32_e32 v97, 16, v90
	v_cndmask_b32_e64 v91, v103, v92, s18
	v_cndmask_b32_e64 v85, v85, v92, s7
	;; [unrolled: 1-line block ×3, first 2 shown]
	s_mov_b32 s4, exec_lo
	v_cndmask_b32_e64 v83, v84, v97, s16
	v_cndmask_b32_e64 v91, v91, v98, s20
	v_cndmask_b32_e64 v85, v85, v98, s9
	v_lshrrev_b32_e32 v84, 16, v94
	v_cndmask_b32_e64 v66, v66, v97, s19
	v_cndmask_b32_e64 v90, v86, v97, s28
	;; [unrolled: 1-line block ×4, first 2 shown]
	v_dual_cndmask_b32 v86, v87, v97 :: v_dual_cndmask_b32 v87, v88, v84
	v_cndmask_b32_e64 v91, v69, v84, s16
	s_delay_alu instid0(VALU_DEP_4) | instskip(NEXT) | instid1(VALU_DEP_4)
	v_cndmask_b32_e64 v89, v89, v100, s23
	v_cndmask_b32_e64 v85, v85, v100, s15
	v_perm_b32 v69, v102, v101, 0x5040100
	v_perm_b32 v86, v87, v86, 0x5040100
	;; [unrolled: 1-line block ×3, first 2 shown]
	v_cndmask_b32_e64 v89, v89, v94, s25
	v_cndmask_b32_e64 v85, v85, v94, s17
	s_mul_i32 s9, s37, 9
	s_delay_alu instid0(VALU_DEP_2) | instskip(NEXT) | instid1(VALU_DEP_2)
	v_cndmask_b32_e64 v88, v89, v84, s28
	v_cndmask_b32_e64 v89, v85, v84, s19
	s_delay_alu instid0(VALU_DEP_2) | instskip(NEXT) | instid1(VALU_DEP_2)
	v_perm_b32 v85, v88, v90, 0x5040100
	v_perm_b32 v84, v89, v66, 0x5040100
	ds_store_b128 v76, v[69:72]
	ds_store_b128 v76, v[83:86] offset:1024
	v_cmpx_gt_u32_e32 9, v0
	s_cbranch_execz .LBB1718_78
; %bb.77:
	s_mul_i32 s5, s9, s34
	s_load_b128 s[16:19], s[0:1], 0x58
	v_add3_u32 v69, s5, s31, v65
	s_delay_alu instid0(VALU_DEP_1) | instskip(NEXT) | instid1(VALU_DEP_1)
	v_mad_u64_u32 v[65:66], null, v69, s36, s[14:15]
	v_ashrrev_i32_e32 v66, 31, v65
	s_delay_alu instid0(VALU_DEP_1) | instskip(SKIP_1) | instid1(VALU_DEP_1)
	v_lshlrev_b64 v[65:66], 2, v[65:66]
	s_waitcnt lgkmcnt(0)
	v_add_co_u32 v69, vcc_lo, s18, v65
	s_delay_alu instid0(VALU_DEP_2)
	v_add_co_ci_u32_e32 v70, vcc_lo, s19, v66, vcc_lo
	v_add_co_u32 v65, vcc_lo, s16, v65
	v_add_co_ci_u32_e32 v66, vcc_lo, s17, v66, vcc_lo
	global_store_b32 v[69:70], v67, off
	global_store_b32 v[65:66], v68, off
.LBB1718_78:
	s_or_b32 exec_lo, exec_lo, s4
	s_waitcnt lgkmcnt(0)
	s_waitcnt_vscnt null, 0x0
	s_barrier
	buffer_gl0_inv
	ds_load_b128 v[83:86], v80
	ds_load_b128 v[87:90], v80 offset:16
	ds_load_b128 v[95:98], v80 offset:2064
	;; [unrolled: 1-line block ×3, first 2 shown]
	v_mov_b32_e32 v65, 0
	ds_load_b128 v[103:106], v80 offset:4112
	ds_load_b128 v[99:102], v80 offset:4096
	;; [unrolled: 1-line block ×4, first 2 shown]
	v_mov_b32_e32 v66, v65
	v_mov_b32_e32 v67, v65
	;; [unrolled: 1-line block ×7, first 2 shown]
	s_waitcnt lgkmcnt(6)
	s_delay_alu instid0(VALU_DEP_1)
	v_wmma_f32_16x16x16_bf16 v[65:72], v[57:64], v[83:90], v[65:72]
	ds_load_b128 v[61:64], v80 offset:8208
	ds_load_b128 v[57:60], v80 offset:8192
	s_waitcnt lgkmcnt(6)
	v_wmma_f32_16x16x16_bf16 v[65:72], v[41:48], v[91:98], v[65:72]
	ds_load_b128 v[45:48], v80 offset:10256
	ds_load_b128 v[41:44], v80 offset:10240
	s_waitcnt lgkmcnt(6)
	;; [unrolled: 4-line block ×4, first 2 shown]
	v_wmma_f32_16x16x16_bf16 v[65:72], v[1:8], v[57:64], v[65:72]
	s_waitcnt lgkmcnt(4)
	s_delay_alu instid0(VALU_DEP_1) | instskip(SKIP_1) | instid1(VALU_DEP_1)
	v_wmma_f32_16x16x16_bf16 v[65:72], v[9:16], v[41:48], v[65:72]
	s_waitcnt lgkmcnt(2)
	v_wmma_f32_16x16x16_bf16 v[65:72], v[17:24], v[33:40], v[65:72]
	s_waitcnt lgkmcnt(0)
	s_delay_alu instid0(VALU_DEP_1) | instskip(NEXT) | instid1(VALU_DEP_1)
	v_wmma_f32_16x16x16_bf16 v[65:72], v[49:56], v[25:32], v[65:72]
	v_and_b32_e32 v1, 0x7f800000, v65
	s_delay_alu instid0(VALU_DEP_1) | instskip(SKIP_1) | instid1(SALU_CYCLE_1)
	v_cmp_ne_u32_e32 vcc_lo, 0x7f800000, v1
                                        ; implicit-def: $vgpr1
	s_and_saveexec_b32 s4, vcc_lo
	s_xor_b32 s4, exec_lo, s4
; %bb.79:
	v_bfe_u32 v1, v65, 16, 1
	s_delay_alu instid0(VALU_DEP_1)
	v_add3_u32 v1, v65, v1, 0x7fff
; %bb.80:
	s_and_not1_saveexec_b32 s4, s4
; %bb.81:
	v_and_b32_e32 v1, 0xffff, v65
	v_or_b32_e32 v2, 0x10000, v65
	s_delay_alu instid0(VALU_DEP_2) | instskip(NEXT) | instid1(VALU_DEP_2)
	v_cmp_eq_u32_e32 vcc_lo, 0, v1
	v_cndmask_b32_e32 v1, v2, v65, vcc_lo
; %bb.82:
	s_or_b32 exec_lo, exec_lo, s4
	v_and_b32_e32 v2, 0x7f800000, v66
	s_delay_alu instid0(VALU_DEP_1) | instskip(SKIP_1) | instid1(SALU_CYCLE_1)
	v_cmp_ne_u32_e32 vcc_lo, 0x7f800000, v2
                                        ; implicit-def: $vgpr2
	s_and_saveexec_b32 s4, vcc_lo
	s_xor_b32 s4, exec_lo, s4
; %bb.83:
	v_bfe_u32 v2, v66, 16, 1
	s_delay_alu instid0(VALU_DEP_1)
	v_add3_u32 v2, v66, v2, 0x7fff
; %bb.84:
	s_and_not1_saveexec_b32 s4, s4
; %bb.85:
	v_and_b32_e32 v2, 0xffff, v66
	v_or_b32_e32 v3, 0x10000, v66
	s_delay_alu instid0(VALU_DEP_2) | instskip(NEXT) | instid1(VALU_DEP_2)
	v_cmp_eq_u32_e32 vcc_lo, 0, v2
	v_cndmask_b32_e32 v2, v3, v66, vcc_lo
; %bb.86:
	s_or_b32 exec_lo, exec_lo, s4
	v_and_b32_e32 v3, 0x7f800000, v67
	s_delay_alu instid0(VALU_DEP_1) | instskip(SKIP_1) | instid1(SALU_CYCLE_1)
	v_cmp_ne_u32_e32 vcc_lo, 0x7f800000, v3
                                        ; implicit-def: $vgpr3
	s_and_saveexec_b32 s4, vcc_lo
	s_xor_b32 s4, exec_lo, s4
; %bb.87:
	v_bfe_u32 v3, v67, 16, 1
	s_delay_alu instid0(VALU_DEP_1)
	v_add3_u32 v3, v67, v3, 0x7fff
; %bb.88:
	s_and_not1_saveexec_b32 s4, s4
; %bb.89:
	v_and_b32_e32 v3, 0xffff, v67
	v_or_b32_e32 v4, 0x10000, v67
	s_delay_alu instid0(VALU_DEP_2) | instskip(NEXT) | instid1(VALU_DEP_2)
	v_cmp_eq_u32_e32 vcc_lo, 0, v3
	v_cndmask_b32_e32 v3, v4, v67, vcc_lo
; %bb.90:
	s_or_b32 exec_lo, exec_lo, s4
	v_and_b32_e32 v4, 0x7f800000, v68
	s_delay_alu instid0(VALU_DEP_1) | instskip(SKIP_1) | instid1(SALU_CYCLE_1)
	v_cmp_ne_u32_e32 vcc_lo, 0x7f800000, v4
                                        ; implicit-def: $vgpr4
	s_and_saveexec_b32 s4, vcc_lo
	s_xor_b32 s4, exec_lo, s4
; %bb.91:
	v_bfe_u32 v4, v68, 16, 1
	s_delay_alu instid0(VALU_DEP_1)
	v_add3_u32 v4, v68, v4, 0x7fff
; %bb.92:
	s_and_not1_saveexec_b32 s4, s4
; %bb.93:
	v_and_b32_e32 v4, 0xffff, v68
	v_or_b32_e32 v5, 0x10000, v68
	s_delay_alu instid0(VALU_DEP_2) | instskip(NEXT) | instid1(VALU_DEP_2)
	v_cmp_eq_u32_e32 vcc_lo, 0, v4
	v_cndmask_b32_e32 v4, v5, v68, vcc_lo
; %bb.94:
	s_or_b32 exec_lo, exec_lo, s4
	v_and_b32_e32 v5, 0x7f800000, v69
	s_delay_alu instid0(VALU_DEP_1) | instskip(SKIP_1) | instid1(SALU_CYCLE_1)
	v_cmp_ne_u32_e32 vcc_lo, 0x7f800000, v5
                                        ; implicit-def: $vgpr5
	s_and_saveexec_b32 s4, vcc_lo
	s_xor_b32 s4, exec_lo, s4
; %bb.95:
	v_bfe_u32 v5, v69, 16, 1
	s_delay_alu instid0(VALU_DEP_1)
	v_add3_u32 v5, v69, v5, 0x7fff
; %bb.96:
	s_and_not1_saveexec_b32 s4, s4
; %bb.97:
	v_and_b32_e32 v5, 0xffff, v69
	v_or_b32_e32 v6, 0x10000, v69
	s_delay_alu instid0(VALU_DEP_2) | instskip(NEXT) | instid1(VALU_DEP_2)
	v_cmp_eq_u32_e32 vcc_lo, 0, v5
	v_cndmask_b32_e32 v5, v6, v69, vcc_lo
; %bb.98:
	s_or_b32 exec_lo, exec_lo, s4
	v_and_b32_e32 v6, 0x7f800000, v70
	s_delay_alu instid0(VALU_DEP_1) | instskip(SKIP_1) | instid1(SALU_CYCLE_1)
	v_cmp_ne_u32_e32 vcc_lo, 0x7f800000, v6
                                        ; implicit-def: $vgpr6
	s_and_saveexec_b32 s4, vcc_lo
	s_xor_b32 s4, exec_lo, s4
; %bb.99:
	v_bfe_u32 v6, v70, 16, 1
	s_delay_alu instid0(VALU_DEP_1)
	v_add3_u32 v6, v70, v6, 0x7fff
; %bb.100:
	s_and_not1_saveexec_b32 s4, s4
; %bb.101:
	v_and_b32_e32 v6, 0xffff, v70
	v_or_b32_e32 v7, 0x10000, v70
	s_delay_alu instid0(VALU_DEP_2) | instskip(NEXT) | instid1(VALU_DEP_2)
	v_cmp_eq_u32_e32 vcc_lo, 0, v6
	v_cndmask_b32_e32 v6, v7, v70, vcc_lo
; %bb.102:
	s_or_b32 exec_lo, exec_lo, s4
	v_and_b32_e32 v7, 0x7f800000, v71
	s_delay_alu instid0(VALU_DEP_1) | instskip(SKIP_1) | instid1(SALU_CYCLE_1)
	v_cmp_ne_u32_e32 vcc_lo, 0x7f800000, v7
                                        ; implicit-def: $vgpr7
	s_and_saveexec_b32 s4, vcc_lo
	s_xor_b32 s4, exec_lo, s4
; %bb.103:
	v_bfe_u32 v7, v71, 16, 1
	s_delay_alu instid0(VALU_DEP_1)
	v_add3_u32 v7, v71, v7, 0x7fff
; %bb.104:
	s_and_not1_saveexec_b32 s4, s4
; %bb.105:
	v_and_b32_e32 v7, 0xffff, v71
	v_or_b32_e32 v8, 0x10000, v71
	s_delay_alu instid0(VALU_DEP_2) | instskip(NEXT) | instid1(VALU_DEP_2)
	v_cmp_eq_u32_e32 vcc_lo, 0, v7
	v_cndmask_b32_e32 v7, v8, v71, vcc_lo
; %bb.106:
	s_or_b32 exec_lo, exec_lo, s4
	v_and_b32_e32 v8, 0x7f800000, v72
	s_delay_alu instid0(VALU_DEP_1) | instskip(SKIP_1) | instid1(SALU_CYCLE_1)
	v_cmp_ne_u32_e32 vcc_lo, 0x7f800000, v8
                                        ; implicit-def: $vgpr8
	s_and_saveexec_b32 s4, vcc_lo
	s_xor_b32 s4, exec_lo, s4
; %bb.107:
	v_bfe_u32 v8, v72, 16, 1
	s_delay_alu instid0(VALU_DEP_1)
	v_add3_u32 v8, v72, v8, 0x7fff
                                        ; implicit-def: $vgpr65_vgpr66_vgpr67_vgpr68_vgpr69_vgpr70_vgpr71_vgpr72
; %bb.108:
	s_and_not1_saveexec_b32 s4, s4
; %bb.109:
	v_and_b32_e32 v8, 0xffff, v72
	v_or_b32_e32 v9, 0x10000, v72
	s_delay_alu instid0(VALU_DEP_2) | instskip(NEXT) | instid1(VALU_DEP_2)
	v_cmp_eq_u32_e32 vcc_lo, 0, v8
	v_cndmask_b32_e32 v8, v9, v72, vcc_lo
; %bb.110:
	s_or_b32 exec_lo, exec_lo, s4
	s_delay_alu instid0(VALU_DEP_1)
	v_perm_b32 v7, v8, v7, 0x7060302
	v_perm_b32 v6, v6, v5, 0x7060302
	;; [unrolled: 1-line block ×4, first 2 shown]
	s_barrier
	buffer_gl0_inv
	v_cmp_eq_u32_e32 vcc_lo, 1, v78
	ds_store_b128 v76, v[4:7]
	s_waitcnt lgkmcnt(0)
	s_barrier
	buffer_gl0_inv
	ds_load_b128 v[1:4], v82
	ds_load_b128 v[5:8], v82 offset:16
	v_cmp_eq_u32_e64 s4, 1, v79
	v_cmp_eq_u32_e64 s5, 2, v78
	;; [unrolled: 1-line block ×5, first 2 shown]
	s_waitcnt lgkmcnt(1)
	v_lshrrev_b32_e32 v9, 16, v1
	s_waitcnt lgkmcnt(0)
	v_lshrrev_b32_e32 v13, 16, v5
	v_lshrrev_b32_e32 v10, 16, v2
	;; [unrolled: 1-line block ×4, first 2 shown]
	v_cndmask_b32_e64 v19, v1, v9, s4
	v_cndmask_b32_e32 v18, v5, v13, vcc_lo
	v_cndmask_b32_e64 v20, v5, v13, s4
	v_cndmask_b32_e32 v17, v1, v9, vcc_lo
	v_cmp_eq_u32_e32 vcc_lo, 2, v79
	v_lshrrev_b32_e32 v15, 16, v7
	v_cmp_eq_u32_e64 s4, 1, v77
	v_lshrrev_b32_e32 v12, 16, v4
	v_lshrrev_b32_e32 v16, 16, v8
	v_cndmask_b32_e32 v20, v20, v6, vcc_lo
	v_cndmask_b32_e64 v17, v17, v2, s5
	v_cndmask_b32_e32 v19, v19, v2, vcc_lo
	v_cndmask_b32_e64 v18, v18, v6, s5
	v_cmp_eq_u32_e32 vcc_lo, 4, v78
	v_cmp_eq_u32_e64 s5, 3, v79
	v_cndmask_b32_e64 v17, v17, v10, s6
	v_cndmask_b32_e64 v21, v1, v9, s4
	;; [unrolled: 1-line block ×5, first 2 shown]
	v_cndmask_b32_e32 v17, v17, v3, vcc_lo
	v_cndmask_b32_e64 v20, v20, v14, s5
	v_cndmask_b32_e32 v18, v18, v7, vcc_lo
	v_cmp_eq_u32_e32 vcc_lo, 4, v79
	v_cmp_eq_u32_e64 s5, 5, v79
	v_cmp_eq_u32_e64 s4, 2, v81
	v_cndmask_b32_e64 v21, v21, v2, s8
	v_cmp_eq_u32_e64 s6, 5, v78
	v_cndmask_b32_e32 v19, v19, v3, vcc_lo
	v_cndmask_b32_e32 v20, v20, v7, vcc_lo
	v_cmp_eq_u32_e32 vcc_lo, 6, v79
	s_delay_alu instid0(VALU_DEP_4) | instskip(NEXT) | instid1(VALU_DEP_4)
	v_cndmask_b32_e64 v17, v17, v11, s6
	v_cndmask_b32_e64 v19, v19, v11, s5
	s_delay_alu instid0(VALU_DEP_4) | instskip(SKIP_1) | instid1(VALU_DEP_3)
	v_cndmask_b32_e64 v20, v20, v15, s5
	v_cmp_eq_u32_e64 s5, 1, v81
	v_cndmask_b32_e32 v19, v19, v4, vcc_lo
	v_cndmask_b32_e64 v18, v18, v15, s6
	s_delay_alu instid0(VALU_DEP_3)
	v_cndmask_b32_e64 v1, v1, v9, s5
	v_cndmask_b32_e64 v5, v5, v13, s5
	v_cmp_eq_u32_e64 s5, 3, v77
	v_cndmask_b32_e64 v13, v22, v6, s8
	v_cmp_eq_u32_e64 s8, 3, v81
	v_cndmask_b32_e64 v1, v1, v2, s4
	v_cndmask_b32_e64 v2, v5, v6, s4
	;; [unrolled: 1-line block ×3, first 2 shown]
	v_cmp_eq_u32_e64 s4, 4, v77
	v_cndmask_b32_e64 v6, v13, v14, s5
	v_cndmask_b32_e64 v1, v1, v10, s8
	v_cmp_eq_u32_e64 s5, 4, v81
	v_cndmask_b32_e64 v2, v2, v14, s8
	v_cndmask_b32_e64 v5, v9, v3, s4
	;; [unrolled: 3-line block ×3, first 2 shown]
	v_cndmask_b32_e64 v2, v2, v7, s5
	v_cmp_eq_u32_e64 s4, 5, v81
	v_cmp_eq_u32_e64 s6, 6, v78
	v_cndmask_b32_e64 v5, v5, v11, s8
	v_cmp_eq_u32_e64 s5, 6, v77
	v_cndmask_b32_e64 v3, v6, v15, s8
	v_cndmask_b32_e64 v1, v1, v11, s4
	v_cmp_eq_u32_e64 s8, 6, v81
	v_cndmask_b32_e64 v2, v2, v15, s4
	v_cndmask_b32_e64 v17, v17, v4, s6
	v_cndmask_b32_e64 v18, v18, v8, s6
	v_cmp_eq_u32_e64 s6, 7, v78
	v_cndmask_b32_e64 v5, v5, v4, s5
	;; [unrolled: 4-line block ×3, first 2 shown]
	v_cmp_eq_u32_e64 s5, 7, v77
	v_cndmask_b32_e32 v4, v20, v8, vcc_lo
	v_cndmask_b32_e64 v17, v17, v12, s6
	v_cndmask_b32_e64 v19, v19, v12, s7
	;; [unrolled: 1-line block ×8, first 2 shown]
	v_cmp_gt_u32_e32 vcc_lo, 32, v0
	v_perm_b32 v4, v2, v1, 0x5040100
	v_perm_b32 v3, v3, v5, 0x5040100
	;; [unrolled: 1-line block ×4, first 2 shown]
	s_and_b32 s2, vcc_lo, s2
	ds_store_b128 v76, v[1:4]
	s_waitcnt lgkmcnt(0)
	s_barrier
	buffer_gl0_inv
	s_and_saveexec_b32 s4, s2
	s_cbranch_execz .LBB1718_2
; %bb.111:
	s_load_b64 s[4:5], s[0:1], 0x68
	v_lshlrev_b32_e32 v0, 10, v0
	v_lshlrev_b32_e32 v1, 4, v75
	s_lshl_b32 s0, s36, 6
	v_add_nc_u32_e32 v2, s31, v74
	s_mul_i32 s1, s0, s34
	s_delay_alu instid0(SALU_CYCLE_1) | instskip(SKIP_1) | instid1(VALU_DEP_2)
	s_mul_i32 s6, s1, s9
	v_and_or_b32 v0, 0x3800, v0, v1
	v_mul_lo_u32 v1, v2, s0
	s_ashr_i32 s7, s6, 31
	v_add_nc_u32_e32 v3, 2, v2
	s_lshl_b64 s[6:7], s[6:7], 1
	v_add_nc_u32_e32 v4, 4, v2
	v_add_nc_u32_e32 v5, 6, v2
	v_lshl_or_b32 v15, v74, 6, v0
	v_mul_lo_u32 v3, v3, s0
	v_ashrrev_i32_e32 v2, 31, v1
	v_mul_lo_u32 v19, v4, s0
	v_mul_lo_u32 v21, v5, s0
	s_waitcnt lgkmcnt(0)
	s_add_u32 s1, s4, s6
	s_addc_u32 s2, s5, s7
	s_lshl_b32 s4, s14, 6
	v_lshlrev_b64 v[5:6], 1, v[1:2]
	s_ashr_i32 s5, s4, 31
	v_ashrrev_i32_e32 v4, 31, v3
	s_lshl_b64 s[4:5], s[4:5], 1
	v_ashrrev_i32_e32 v20, 31, v19
	s_add_u32 s1, s1, s4
	s_addc_u32 s2, s2, s5
	v_add_co_u32 v1, s1, s1, v73
	s_delay_alu instid0(VALU_DEP_1) | instskip(SKIP_1) | instid1(VALU_DEP_3)
	v_add_co_ci_u32_e64 v2, null, s2, 0, s1
	v_lshlrev_b64 v[25:26], 1, v[3:4]
	v_add_co_u32 v23, vcc_lo, v1, v5
	s_delay_alu instid0(VALU_DEP_3)
	v_add_co_ci_u32_e32 v24, vcc_lo, v2, v6, vcc_lo
	ds_load_b128 v[3:6], v15
	ds_load_b128 v[7:10], v15 offset:128
	ds_load_b128 v[11:14], v15 offset:256
	;; [unrolled: 1-line block ×3, first 2 shown]
	v_ashrrev_i32_e32 v22, 31, v21
	v_lshlrev_b64 v[19:20], 1, v[19:20]
	v_add_co_u32 v25, vcc_lo, v1, v25
	v_add_co_ci_u32_e32 v26, vcc_lo, v2, v26, vcc_lo
	s_delay_alu instid0(VALU_DEP_4) | instskip(NEXT) | instid1(VALU_DEP_4)
	v_lshlrev_b64 v[21:22], 1, v[21:22]
	v_add_co_u32 v19, vcc_lo, v1, v19
	v_add_co_ci_u32_e32 v20, vcc_lo, v2, v20, vcc_lo
	s_delay_alu instid0(VALU_DEP_3) | instskip(NEXT) | instid1(VALU_DEP_4)
	v_add_co_u32 v21, vcc_lo, v1, v21
	v_add_co_ci_u32_e32 v22, vcc_lo, v2, v22, vcc_lo
	s_waitcnt lgkmcnt(3)
	global_store_b128 v[23:24], v[3:6], off
	s_waitcnt lgkmcnt(2)
	global_store_b128 v[25:26], v[7:10], off
	;; [unrolled: 2-line block ×4, first 2 shown]
	s_and_b32 exec_lo, exec_lo, s3
	s_cbranch_execz .LBB1718_2
; %bb.112:
	ds_load_b128 v[3:6], v0 offset:512
	s_add_i32 s1, s31, 8
	s_delay_alu instid0(SALU_CYCLE_1) | instskip(NEXT) | instid1(SALU_CYCLE_1)
	s_mul_i32 s0, s1, s0
	s_ashr_i32 s1, s0, 31
	s_delay_alu instid0(SALU_CYCLE_1) | instskip(NEXT) | instid1(SALU_CYCLE_1)
	s_lshl_b64 s[0:1], s[0:1], 1
	v_add_co_u32 v0, vcc_lo, v1, s0
	v_add_co_ci_u32_e32 v1, vcc_lo, s1, v2, vcc_lo
	s_waitcnt lgkmcnt(0)
	global_store_b128 v[0:1], v[3:6], off
	s_nop 0
	s_sendmsg sendmsg(MSG_DEALLOC_VGPRS)
	s_endpgm
	.section	.rodata,"a",@progbits
	.p2align	6, 0x0
	.amdhsa_kernel _Z39paged_attention_ll4mi_QKV_mfma16_kernelI14__hip_bfloat16hLN4vllm18Fp8KVCacheDataTypeE1ES0_Li16ELi64ELi256ELb0ELi9EL8MFMAType0EEvPKT_PKT0_S9_ifPKiSB_SB_iPKfiiiPfSE_PS4_PT2_iSD_SD_
		.amdhsa_group_segment_fixed_size 17472
		.amdhsa_private_segment_fixed_size 0
		.amdhsa_kernarg_size 400
		.amdhsa_user_sgpr_count 13
		.amdhsa_user_sgpr_dispatch_ptr 0
		.amdhsa_user_sgpr_queue_ptr 0
		.amdhsa_user_sgpr_kernarg_segment_ptr 1
		.amdhsa_user_sgpr_dispatch_id 0
		.amdhsa_user_sgpr_private_segment_size 0
		.amdhsa_wavefront_size32 1
		.amdhsa_uses_dynamic_stack 0
		.amdhsa_enable_private_segment 0
		.amdhsa_system_sgpr_workgroup_id_x 1
		.amdhsa_system_sgpr_workgroup_id_y 1
		.amdhsa_system_sgpr_workgroup_id_z 1
		.amdhsa_system_sgpr_workgroup_info 0
		.amdhsa_system_vgpr_workitem_id 0
		.amdhsa_next_free_vgpr 124
		.amdhsa_next_free_sgpr 40
		.amdhsa_reserve_vcc 1
		.amdhsa_float_round_mode_32 0
		.amdhsa_float_round_mode_16_64 0
		.amdhsa_float_denorm_mode_32 3
		.amdhsa_float_denorm_mode_16_64 3
		.amdhsa_dx10_clamp 1
		.amdhsa_ieee_mode 1
		.amdhsa_fp16_overflow 0
		.amdhsa_workgroup_processor_mode 1
		.amdhsa_memory_ordered 1
		.amdhsa_forward_progress 0
		.amdhsa_shared_vgpr_count 0
		.amdhsa_exception_fp_ieee_invalid_op 0
		.amdhsa_exception_fp_denorm_src 0
		.amdhsa_exception_fp_ieee_div_zero 0
		.amdhsa_exception_fp_ieee_overflow 0
		.amdhsa_exception_fp_ieee_underflow 0
		.amdhsa_exception_fp_ieee_inexact 0
		.amdhsa_exception_int_div_zero 0
	.end_amdhsa_kernel
	.section	.text._Z39paged_attention_ll4mi_QKV_mfma16_kernelI14__hip_bfloat16hLN4vllm18Fp8KVCacheDataTypeE1ES0_Li16ELi64ELi256ELb0ELi9EL8MFMAType0EEvPKT_PKT0_S9_ifPKiSB_SB_iPKfiiiPfSE_PS4_PT2_iSD_SD_,"axG",@progbits,_Z39paged_attention_ll4mi_QKV_mfma16_kernelI14__hip_bfloat16hLN4vllm18Fp8KVCacheDataTypeE1ES0_Li16ELi64ELi256ELb0ELi9EL8MFMAType0EEvPKT_PKT0_S9_ifPKiSB_SB_iPKfiiiPfSE_PS4_PT2_iSD_SD_,comdat
.Lfunc_end1718:
	.size	_Z39paged_attention_ll4mi_QKV_mfma16_kernelI14__hip_bfloat16hLN4vllm18Fp8KVCacheDataTypeE1ES0_Li16ELi64ELi256ELb0ELi9EL8MFMAType0EEvPKT_PKT0_S9_ifPKiSB_SB_iPKfiiiPfSE_PS4_PT2_iSD_SD_, .Lfunc_end1718-_Z39paged_attention_ll4mi_QKV_mfma16_kernelI14__hip_bfloat16hLN4vllm18Fp8KVCacheDataTypeE1ES0_Li16ELi64ELi256ELb0ELi9EL8MFMAType0EEvPKT_PKT0_S9_ifPKiSB_SB_iPKfiiiPfSE_PS4_PT2_iSD_SD_
                                        ; -- End function
	.section	.AMDGPU.csdata,"",@progbits
; Kernel info:
; codeLenInByte = 8792
; NumSgprs: 42
; NumVgprs: 124
; ScratchSize: 0
; MemoryBound: 0
; FloatMode: 240
; IeeeMode: 1
; LDSByteSize: 17472 bytes/workgroup (compile time only)
; SGPRBlocks: 5
; VGPRBlocks: 15
; NumSGPRsForWavesPerEU: 42
; NumVGPRsForWavesPerEU: 124
; Occupancy: 10
; WaveLimiterHint : 1
; COMPUTE_PGM_RSRC2:SCRATCH_EN: 0
; COMPUTE_PGM_RSRC2:USER_SGPR: 13
; COMPUTE_PGM_RSRC2:TRAP_HANDLER: 0
; COMPUTE_PGM_RSRC2:TGID_X_EN: 1
; COMPUTE_PGM_RSRC2:TGID_Y_EN: 1
; COMPUTE_PGM_RSRC2:TGID_Z_EN: 1
; COMPUTE_PGM_RSRC2:TIDIG_COMP_CNT: 0
	.section	.text._Z39paged_attention_ll4mi_QKV_mfma16_kernelI14__hip_bfloat16hLN4vllm18Fp8KVCacheDataTypeE1ES0_Li16ELi64ELi256ELb0ELi10EL8MFMAType0EEvPKT_PKT0_S9_ifPKiSB_SB_iPKfiiiPfSE_PS4_PT2_iSD_SD_,"axG",@progbits,_Z39paged_attention_ll4mi_QKV_mfma16_kernelI14__hip_bfloat16hLN4vllm18Fp8KVCacheDataTypeE1ES0_Li16ELi64ELi256ELb0ELi10EL8MFMAType0EEvPKT_PKT0_S9_ifPKiSB_SB_iPKfiiiPfSE_PS4_PT2_iSD_SD_,comdat
	.protected	_Z39paged_attention_ll4mi_QKV_mfma16_kernelI14__hip_bfloat16hLN4vllm18Fp8KVCacheDataTypeE1ES0_Li16ELi64ELi256ELb0ELi10EL8MFMAType0EEvPKT_PKT0_S9_ifPKiSB_SB_iPKfiiiPfSE_PS4_PT2_iSD_SD_ ; -- Begin function _Z39paged_attention_ll4mi_QKV_mfma16_kernelI14__hip_bfloat16hLN4vllm18Fp8KVCacheDataTypeE1ES0_Li16ELi64ELi256ELb0ELi10EL8MFMAType0EEvPKT_PKT0_S9_ifPKiSB_SB_iPKfiiiPfSE_PS4_PT2_iSD_SD_
	.globl	_Z39paged_attention_ll4mi_QKV_mfma16_kernelI14__hip_bfloat16hLN4vllm18Fp8KVCacheDataTypeE1ES0_Li16ELi64ELi256ELb0ELi10EL8MFMAType0EEvPKT_PKT0_S9_ifPKiSB_SB_iPKfiiiPfSE_PS4_PT2_iSD_SD_
	.p2align	8
	.type	_Z39paged_attention_ll4mi_QKV_mfma16_kernelI14__hip_bfloat16hLN4vllm18Fp8KVCacheDataTypeE1ES0_Li16ELi64ELi256ELb0ELi10EL8MFMAType0EEvPKT_PKT0_S9_ifPKiSB_SB_iPKfiiiPfSE_PS4_PT2_iSD_SD_,@function
_Z39paged_attention_ll4mi_QKV_mfma16_kernelI14__hip_bfloat16hLN4vllm18Fp8KVCacheDataTypeE1ES0_Li16ELi64ELi256ELb0ELi10EL8MFMAType0EEvPKT_PKT0_S9_ifPKiSB_SB_iPKfiiiPfSE_PS4_PT2_iSD_SD_: ; @_Z39paged_attention_ll4mi_QKV_mfma16_kernelI14__hip_bfloat16hLN4vllm18Fp8KVCacheDataTypeE1ES0_Li16ELi64ELi256ELb0ELi10EL8MFMAType0EEvPKT_PKT0_S9_ifPKiSB_SB_iPKfiiiPfSE_PS4_PT2_iSD_SD_
; %bb.0:
	s_load_b64 s[2:3], s[0:1], 0x30
	s_mov_b32 s30, s13
	s_waitcnt lgkmcnt(0)
	s_cmp_lg_u64 s[2:3], 0
	s_cselect_b32 s8, -1, 0
	s_ashr_i32 s31, s13, 31
	s_cmp_eq_u64 s[2:3], 0
	s_cbranch_scc1 .LBB1719_3
; %bb.1:
	s_lshl_b64 s[4:5], s[30:31], 2
	s_delay_alu instid0(SALU_CYCLE_1) | instskip(SKIP_4) | instid1(SALU_CYCLE_1)
	s_add_u32 s4, s2, s4
	s_addc_u32 s5, s3, s5
	s_load_b64 s[4:5], s[4:5], 0x0
	s_waitcnt lgkmcnt(0)
	s_sub_i32 s4, s5, s4
	s_cmp_eq_u32 s4, 1
	s_cselect_b32 s4, -1, 0
	s_delay_alu instid0(SALU_CYCLE_1)
	s_and_not1_b32 vcc_lo, exec_lo, s4
	s_cbranch_vccz .LBB1719_4
.LBB1719_2:
	s_endpgm
.LBB1719_3:
.LBB1719_4:
	s_load_b64 s[4:5], s[0:1], 0x28
	s_lshl_b64 s[6:7], s[30:31], 2
	s_waitcnt lgkmcnt(0)
	s_add_u32 s4, s4, s6
	s_addc_u32 s5, s5, s7
	s_lshl_b32 s12, s14, 8
	s_load_b32 s24, s[4:5], 0x0
	s_waitcnt lgkmcnt(0)
	s_cmp_ge_i32 s12, s24
	s_cbranch_scc1 .LBB1719_2
; %bb.5:
	s_clause 0x1
	s_load_b128 s[20:23], s[0:1], 0x8
	s_load_b64 s[4:5], s[0:1], 0x20
	s_and_not1_b32 vcc_lo, exec_lo, s8
	s_cbranch_vccnz .LBB1719_7
; %bb.6:
	s_add_u32 s2, s2, s6
	s_addc_u32 s3, s3, s7
	s_load_b32 s3, s[2:3], 0x0
	s_branch .LBB1719_8
.LBB1719_7:
	s_mov_b32 s3, s30
.LBB1719_8:
	s_load_b128 s[16:19], s[0:1], 0x48
	v_and_b32_e32 v65, 15, v0
	v_cmp_gt_u32_e32 vcc_lo, 0xa0, v0
	v_lshrrev_b32_e32 v66, 5, v0
	v_and_b32_e32 v67, 31, v0
	v_and_b32_e32 v75, 1, v0
	v_lshlrev_b32_e32 v1, 3, v65
	v_cmp_gt_u32_e64 s2, 8, v65
	v_bfe_u32 v74, v0, 4, 1
	s_mul_i32 s31, s15, 10
	s_delay_alu instid0(VALU_DEP_3) | instskip(NEXT) | instid1(VALU_DEP_3)
	v_lshlrev_b32_e32 v73, 1, v1
	s_and_b32 s7, vcc_lo, s2
	s_delay_alu instid0(SALU_CYCLE_1)
	s_and_saveexec_b32 s6, s7
	s_cbranch_execz .LBB1719_10
; %bb.9:
	s_load_b64 s[8:9], s[0:1], 0x0
	v_lshl_or_b32 v5, v66, 1, v74
	s_waitcnt lgkmcnt(0)
	s_mul_hi_i32 s11, s3, s16
	s_mul_i32 s10, s3, s16
	v_lshlrev_b32_e32 v6, 10, v65
	s_lshl_b64 s[10:11], s[10:11], 1
	v_add_lshl_u32 v1, v5, s31, 6
	v_lshlrev_b32_e32 v5, 6, v5
	v_lshlrev_b32_e32 v7, 10, v75
	v_and_b32_e32 v6, 0x3800, v6
	s_delay_alu instid0(VALU_DEP_4) | instskip(NEXT) | instid1(VALU_DEP_2)
	v_ashrrev_i32_e32 v2, 31, v1
	v_or3_b32 v5, v6, v7, v5
	s_delay_alu instid0(VALU_DEP_2) | instskip(SKIP_2) | instid1(VALU_DEP_1)
	v_lshlrev_b64 v[1:2], 1, v[1:2]
	s_add_u32 s3, s8, s10
	s_addc_u32 s7, s9, s11
	v_add_co_u32 v1, vcc_lo, s3, v1
	s_delay_alu instid0(VALU_DEP_2) | instskip(NEXT) | instid1(VALU_DEP_2)
	v_add_co_ci_u32_e32 v2, vcc_lo, s7, v2, vcc_lo
	v_add_co_u32 v1, vcc_lo, v1, v73
	s_delay_alu instid0(VALU_DEP_2)
	v_add_co_ci_u32_e32 v2, vcc_lo, 0, v2, vcc_lo
	global_load_b128 v[1:4], v[1:2], off
	s_waitcnt vmcnt(0)
	ds_store_b128 v5, v[1:4]
.LBB1719_10:
	s_or_b32 exec_lo, exec_lo, s6
	v_and_b32_e32 v1, 0xef, v0
	s_waitcnt lgkmcnt(0)
	s_add_i32 s3, s24, 15
	s_clause 0x1
	s_load_b32 s6, s[0:1], 0x38
	s_load_b32 s19, s[0:1], 0x1c
	s_ashr_i32 s7, s3, 31
	v_add_nc_u32_e32 v1, s12, v1
	s_lshr_b32 s7, s7, 28
	s_waitcnt lgkmcnt(0)
	s_add_i32 s3, s3, s7
	s_barrier
	v_ashrrev_i32_e32 v2, 31, v1
	v_or_b32_e32 v3, 16, v1
	s_ashr_i32 s3, s3, 4
	v_cmp_gt_i32_e32 vcc_lo, s24, v1
	s_add_i32 s3, s3, -1
	v_lshrrev_b32_e32 v2, 28, v2
	buffer_gl0_inv
	s_mul_i32 s27, s15, s18
	v_add_nc_u32_e32 v4, v1, v2
	s_mul_i32 s6, s30, s6
	s_delay_alu instid0(SALU_CYCLE_1) | instskip(NEXT) | instid1(VALU_DEP_1)
	s_ashr_i32 s7, s6, 31
	v_ashrrev_i32_e32 v4, 4, v4
	v_add_nc_u32_e32 v2, v3, v2
	s_lshl_b64 s[6:7], s[6:7], 2
	s_delay_alu instid0(SALU_CYCLE_1) | instskip(NEXT) | instid1(VALU_DEP_2)
	s_add_u32 s26, s4, s6
	v_cndmask_b32_e32 v1, s3, v4, vcc_lo
	s_delay_alu instid0(VALU_DEP_2)
	v_ashrrev_i32_e32 v2, 4, v2
	v_cmp_gt_i32_e32 vcc_lo, s24, v3
	s_addc_u32 s25, s5, s7
	s_ashr_i32 s28, s27, 31
	s_add_u32 s13, s20, s27
	s_addc_u32 s15, s21, s28
	v_cndmask_b32_e32 v3, s3, v2, vcc_lo
	v_ashrrev_i32_e32 v2, 31, v1
	s_lshl_b32 s4, s14, 4
	s_delay_alu instid0(SALU_CYCLE_1) | instskip(NEXT) | instid1(VALU_DEP_2)
	s_ashr_i32 s5, s4, 31
	v_ashrrev_i32_e32 v4, 31, v3
	s_delay_alu instid0(VALU_DEP_2) | instskip(SKIP_1) | instid1(SALU_CYCLE_1)
	v_lshlrev_b64 v[1:2], 2, v[1:2]
	s_lshl_b64 s[4:5], s[4:5], 2
	s_add_u32 s4, s26, s4
	s_delay_alu instid0(VALU_DEP_2) | instskip(SKIP_1) | instid1(VALU_DEP_2)
	v_lshlrev_b64 v[3:4], 2, v[3:4]
	s_addc_u32 s5, s25, s5
	v_add_co_u32 v1, vcc_lo, s26, v1
	v_add_co_ci_u32_e32 v2, vcc_lo, s25, v2, vcc_lo
	s_delay_alu instid0(VALU_DEP_3) | instskip(NEXT) | instid1(VALU_DEP_4)
	v_add_co_u32 v3, vcc_lo, s26, v3
	v_add_co_ci_u32_e32 v4, vcc_lo, s25, v4, vcc_lo
	s_clause 0x1
	global_load_b32 v5, v[1:2], off
	global_load_b32 v7, v[3:4], off
	s_or_b32 s6, s12, 32
	v_lshlrev_b32_e32 v1, 4, v0
	s_ashr_i32 s7, s6, 4
	s_cmp_lt_i32 s6, s24
	v_cmp_gt_u32_e32 vcc_lo, 10, v65
	s_cselect_b32 s6, s7, s3
	v_and_b32_e32 v1, 0xf0, v1
	s_ashr_i32 s7, s6, 31
	s_delay_alu instid0(SALU_CYCLE_1) | instskip(NEXT) | instid1(SALU_CYCLE_1)
	s_lshl_b64 s[6:7], s[6:7], 2
	s_add_u32 s6, s26, s6
	s_addc_u32 s7, s25, s7
	s_or_b32 s8, s12, 64
	v_add_co_u32 v1, s13, s13, v1
	s_ashr_i32 s9, s8, 4
	s_cmp_lt_i32 s8, s24
	v_add_co_ci_u32_e64 v2, null, s15, 0, s13
	s_cselect_b32 s8, s9, s3
	s_delay_alu instid0(SALU_CYCLE_1) | instskip(NEXT) | instid1(SALU_CYCLE_1)
	s_ashr_i32 s9, s8, 31
	s_lshl_b64 s[8:9], s[8:9], 2
	s_delay_alu instid0(SALU_CYCLE_1) | instskip(SKIP_2) | instid1(SALU_CYCLE_1)
	s_add_u32 s8, s26, s8
	s_addc_u32 s9, s25, s9
	s_or_b32 s10, s12, 0x60
	s_ashr_i32 s11, s10, 4
	s_cmp_lt_i32 s10, s24
	s_cselect_b32 s10, s11, s3
	s_delay_alu instid0(SALU_CYCLE_1) | instskip(NEXT) | instid1(SALU_CYCLE_1)
	s_ashr_i32 s11, s10, 31
	s_lshl_b64 s[10:11], s[10:11], 2
	s_delay_alu instid0(SALU_CYCLE_1) | instskip(SKIP_2) | instid1(SALU_CYCLE_1)
	s_add_u32 s10, s26, s10
	s_addc_u32 s11, s25, s11
	s_or_b32 s16, s12, 0x80
	s_ashr_i32 s18, s16, 4
	s_cmp_lt_i32 s16, s24
	;; [unrolled: 10-line block ×3, first 2 shown]
	s_cselect_b32 s20, s18, s3
	s_delay_alu instid0(SALU_CYCLE_1) | instskip(NEXT) | instid1(SALU_CYCLE_1)
	s_ashr_i32 s21, s20, 31
	s_lshl_b64 s[20:21], s[20:21], 2
	s_delay_alu instid0(SALU_CYCLE_1)
	s_add_u32 s36, s26, s20
	s_addc_u32 s37, s25, s21
	s_clause 0x5
	s_load_b32 s21, s[4:5], 0x0
	s_load_b32 s13, s[6:7], 0x0
	;; [unrolled: 1-line block ×6, first 2 shown]
	s_or_b32 s8, s12, 0xc0
	s_mov_b32 s4, 0
	s_ashr_i32 s9, s8, 4
	s_cmp_lt_i32 s8, s24
	s_mov_b32 s11, s4
	s_cselect_b32 s34, s9, s3
	s_mov_b32 s5, s4
	s_ashr_i32 s35, s34, 31
	s_mov_b32 s6, s4
	s_lshl_b64 s[34:35], s[34:35], 2
	s_mov_b32 s7, s4
	s_add_u32 s34, s26, s34
	s_addc_u32 s35, s25, s35
	s_or_b32 s29, s12, 0xe0
	s_mov_b32 s8, s4
	s_ashr_i32 s33, s29, 4
	s_mov_b32 s9, s4
	s_mov_b32 s10, s4
	s_cmp_lt_i32 s29, s24
	v_dual_mov_b32 v107, s11 :: v_dual_mov_b32 v100, s4
	v_mov_b32_e32 v106, s10
	v_dual_mov_b32 v104, s8 :: v_dual_mov_b32 v103, s7
	v_dual_mov_b32 v102, s6 :: v_dual_mov_b32 v101, s5
	s_waitcnt vmcnt(1)
	v_mad_i64_i32 v[3:4], null, v5, s17, v[1:2]
	s_waitcnt vmcnt(0)
	v_mad_i64_i32 v[5:6], null, v7, s17, v[1:2]
	v_add_nc_u32_e32 v1, -10, v65
	v_lshlrev_b32_e32 v2, 4, v65
	s_clause 0x7
	global_load_b128 v[49:52], v[3:4], off
	global_load_b128 v[53:56], v[3:4], off offset:256
	global_load_b128 v[76:79], v[5:6], off
	global_load_b128 v[80:83], v[5:6], off offset:256
	global_load_b128 v[84:87], v[3:4], off offset:512
	;; [unrolled: 1-line block ×5, first 2 shown]
	v_cndmask_b32_e32 v1, v1, v65, vcc_lo
	v_mov_b32_e32 v105, s9
	s_cselect_b32 s4, s33, s3
	v_lshl_or_b32 v2, v66, 8, v2
	s_ashr_i32 s5, s4, 31
	v_lshlrev_b32_e32 v70, 6, v1
	s_lshl_b64 s[4:5], s[4:5], 2
	s_load_b32 s3, s[34:35], 0x0
	s_add_u32 s4, s26, s4
	s_addc_u32 s5, s25, s5
	ds_load_b128 v[108:111], v70
	ds_load_b128 v[112:115], v70 offset:1024
	s_load_b32 s4, s[4:5], 0x0
	s_add_u32 s6, s22, s27
	s_addc_u32 s7, s23, s28
	v_add_co_u32 v9, s6, s6, v2
	s_delay_alu instid0(VALU_DEP_1) | instskip(SKIP_1) | instid1(VALU_DEP_1)
	v_add_co_ci_u32_e64 v10, null, s7, 0, s6
	s_waitcnt lgkmcnt(0)
	v_mad_i64_i32 v[1:2], null, s21, s17, v[9:10]
	v_mad_i64_i32 v[3:4], null, s13, s17, v[9:10]
	;; [unrolled: 1-line block ×7, first 2 shown]
	s_clause 0x9
	global_load_b128 v[57:60], v[1:2], off
	global_load_b128 v[61:64], v[1:2], off offset:16
	global_load_b128 v[41:44], v[3:4], off
	global_load_b128 v[45:48], v[3:4], off offset:16
	;; [unrolled: 2-line block ×5, first 2 shown]
	v_mad_i64_i32 v[68:69], null, s4, s17, v[9:10]
	s_clause 0x3
	global_load_b128 v[9:12], v[13:14], off
	global_load_b128 v[13:16], v[13:14], off offset:16
	global_load_b128 v[17:20], v[21:22], off
	global_load_b128 v[21:24], v[21:22], off offset:16
	s_waitcnt vmcnt(20)
	v_wmma_f32_16x16x16_bf16 v[116:123], v[49:56], v[108:115], v[100:107]
	s_clause 0x1
	global_load_b128 v[49:52], v[68:69], off
	global_load_b128 v[53:56], v[68:69], off offset:16
	v_and_b32_e32 v68, 0xe0, v0
	v_mbcnt_lo_u32_b32 v69, -1, 0
	s_delay_alu instid0(VALU_DEP_2)
	v_add_nc_u32_e32 v68, s12, v68
	s_waitcnt vmcnt(20)
	v_wmma_f32_16x16x16_bf16 v[100:107], v[76:83], v[108:115], v[100:107]
	ds_load_b128 v[76:79], v70 offset:2048
	ds_load_b128 v[80:83], v70 offset:3072
	v_xor_b32_e32 v70, 16, v69
	s_waitcnt vmcnt(0) lgkmcnt(0)
	v_or_b32_e32 v68, v68, v74
	s_barrier
	buffer_gl0_inv
	v_cmp_gt_i32_e32 vcc_lo, 32, v70
	v_or_b32_e32 v71, 4, v68
	v_or_b32_e32 v72, 6, v68
	v_cmp_gt_i32_e64 s3, s24, v68
	v_or_b32_e32 v108, 8, v68
	v_or_b32_e32 v109, 10, v68
	v_cmp_gt_i32_e64 s4, s24, v71
	v_cmp_gt_i32_e64 s5, s24, v72
	s_delay_alu instid0(VALU_DEP_4) | instskip(NEXT) | instid1(VALU_DEP_4)
	v_cmp_gt_i32_e64 s6, s24, v108
	v_cmp_gt_i32_e64 s7, s24, v109
	v_wmma_f32_16x16x16_bf16 v[116:123], v[84:91], v[76:83], v[116:123]
	v_cndmask_b32_e32 v69, v69, v70, vcc_lo
	v_or_b32_e32 v70, 2, v68
	v_wmma_f32_16x16x16_bf16 v[100:107], v[92:99], v[76:83], v[100:107]
	v_or_b32_e32 v89, 22, v68
	v_dual_mul_f32 v82, s19, v119 :: v_dual_mul_f32 v79, s19, v122
	v_dual_mul_f32 v92, s19, v117 :: v_dual_mul_f32 v93, s19, v116
	s_delay_alu instid0(VALU_DEP_4) | instskip(SKIP_2) | instid1(VALU_DEP_4)
	v_mul_f32_e32 v98, s19, v103
	v_cmp_gt_i32_e32 vcc_lo, s24, v70
	v_dual_mul_f32 v83, s19, v118 :: v_dual_mul_f32 v96, s19, v105
	v_cndmask_b32_e64 v93, 0xff7fffff, v93, s3
	v_or_b32_e32 v84, 12, v68
	v_cndmask_b32_e32 v92, 0xff7fffff, v92, vcc_lo
	v_or_b32_e32 v85, 14, v68
	v_dual_mul_f32 v80, s19, v121 :: v_dual_mul_f32 v81, s19, v120
	v_mul_f32_e32 v94, s19, v107
	v_cndmask_b32_e64 v71, 0xff7fffff, v83, s4
	v_cndmask_b32_e64 v72, 0xff7fffff, v82, s5
	v_cmp_gt_i32_e64 s13, s24, v89
	v_lshlrev_b32_e32 v89, 2, v69
	v_max3_f32 v82, v93, 0xff7fffff, v92
	v_or_b32_e32 v86, 16, v68
	v_or_b32_e32 v87, 18, v68
	v_mul_f32_e32 v78, s19, v123
	v_cndmask_b32_e64 v81, 0xff7fffff, v81, s6
	v_cndmask_b32_e64 v80, 0xff7fffff, v80, s7
	v_max3_f32 v71, v82, v71, v72
	v_cmp_gt_i32_e64 s8, s24, v84
	v_cmp_gt_i32_e64 s9, s24, v85
	v_or_b32_e32 v88, 20, v68
	v_or_b32_e32 v90, 24, v68
	;; [unrolled: 1-line block ×5, first 2 shown]
	v_dual_mul_f32 v95, s19, v106 :: v_dual_mul_f32 v70, s19, v101
	v_dual_mul_f32 v99, s19, v102 :: v_dual_mul_f32 v68, s19, v100
	v_cndmask_b32_e64 v72, 0xff7fffff, v79, s8
	v_cndmask_b32_e64 v78, 0xff7fffff, v78, s9
	v_max3_f32 v71, v71, v81, v80
	v_cmp_gt_i32_e64 s10, s24, v86
	v_cmp_gt_i32_e64 s11, s24, v87
	v_cmp_gt_i32_e64 s12, s24, v88
	v_mul_f32_e32 v97, s19, v104
	v_max3_f32 v71, v71, v72, v78
	v_cndmask_b32_e64 v68, 0xff7fffff, v68, s10
	v_cndmask_b32_e64 v70, 0xff7fffff, v70, s11
	;; [unrolled: 1-line block ×4, first 2 shown]
	v_cmp_gt_i32_e64 s15, s24, v90
	v_cmp_gt_i32_e64 s16, s24, v91
	v_max3_f32 v68, v71, v68, v70
	v_cmp_gt_i32_e64 s17, s24, v76
	v_cmp_gt_i32_e64 s18, s24, v77
	v_cndmask_b32_e64 v70, 0xff7fffff, v97, s15
	v_cndmask_b32_e64 v71, 0xff7fffff, v96, s16
	v_max3_f32 v68, v68, v72, v78
	v_cndmask_b32_e64 v72, 0xff7fffff, v95, s17
	v_cndmask_b32_e64 v76, 0xff7fffff, v94, s18
	s_delay_alu instid0(VALU_DEP_3) | instskip(NEXT) | instid1(VALU_DEP_1)
	v_max3_f32 v68, v68, v70, v71
	v_max3_f32 v68, v68, v72, v76
	ds_bpermute_b32 v69, v89, v68
	s_waitcnt lgkmcnt(0)
	v_max_f32_e32 v69, v69, v69
	s_delay_alu instid0(VALU_DEP_1) | instskip(NEXT) | instid1(VALU_DEP_1)
	v_max_f32_e32 v68, v68, v69
	v_fma_f32 v69, s19, v116, -v68
	v_fma_f32 v70, s19, v117, -v68
	;; [unrolled: 1-line block ×5, first 2 shown]
	s_delay_alu instid0(VALU_DEP_4) | instskip(NEXT) | instid1(VALU_DEP_4)
	v_dual_mul_f32 v69, 0x3fb8aa3b, v69 :: v_dual_mul_f32 v70, 0x3fb8aa3b, v70
	v_mul_f32_e32 v72, 0x3fb8aa3b, v72
	v_fma_f32 v78, s19, v122, -v68
	s_delay_alu instid0(VALU_DEP_4) | instskip(NEXT) | instid1(VALU_DEP_4)
	v_mul_f32_e32 v77, 0x3fb8aa3b, v76
	v_exp_f32_e32 v69, v69
	v_exp_f32_e32 v70, v70
	v_mul_f32_e32 v71, 0x3fb8aa3b, v71
	v_exp_f32_e32 v72, v72
	v_mul_f32_e32 v78, 0x3fb8aa3b, v78
	v_exp_f32_e32 v77, v77
	v_fma_f32 v81, s19, v105, -v68
	s_delay_alu instid0(VALU_DEP_2)
	v_exp_f32_e32 v78, v78
	v_cndmask_b32_e64 v80, 0, v69, s3
	v_cndmask_b32_e32 v76, 0, v70, vcc_lo
	v_exp_f32_e32 v71, v71
	v_fma_f32 v69, s19, v121, -v68
	v_cndmask_b32_e64 v85, 0, v72, s5
	v_add_f32_e32 v70, 0, v80
	s_delay_alu instid0(TRANS32_DEP_3)
	v_cndmask_b32_e64 v86, 0, v77, s6
	v_fma_f32 v77, s19, v101, -v68
	v_mul_f32_e32 v69, 0x3fb8aa3b, v69
	v_fma_f32 v72, s19, v100, -v68
	v_cndmask_b32_e64 v84, 0, v78, s8
	v_fma_f32 v78, s19, v103, -v68
	v_cndmask_b32_e64 v83, 0, v71, s4
	v_fma_f32 v71, s19, v123, -v68
	v_add_f32_e32 v70, v70, v76
	v_exp_f32_e32 v69, v69
	v_mul_f32_e32 v77, 0x3fb8aa3b, v77
	v_mul_f32_e32 v81, 0x3fb8aa3b, v81
	;; [unrolled: 1-line block ×3, first 2 shown]
	v_add_f32_e32 v70, v70, v83
	s_mov_b32 s3, exec_lo
	v_exp_f32_e32 v77, v77
	v_exp_f32_e32 v81, v81
	;; [unrolled: 1-line block ×3, first 2 shown]
	v_cndmask_b32_e64 v87, 0, v69, s7
	v_add_f32_e32 v70, v70, v85
	s_delay_alu instid0(VALU_DEP_1) | instskip(SKIP_1) | instid1(VALU_DEP_2)
	v_dual_mul_f32 v72, 0x3fb8aa3b, v72 :: v_dual_add_f32 v69, v70, v86
	v_fma_f32 v70, s19, v102, -v68
	v_exp_f32_e32 v72, v72
	s_waitcnt_depctr 0xfff
	v_cndmask_b32_e64 v88, 0, v71, s9
	v_fma_f32 v71, s19, v104, -v68
	v_dual_add_f32 v69, v69, v87 :: v_dual_mul_f32 v70, 0x3fb8aa3b, v70
	s_delay_alu instid0(VALU_DEP_2) | instskip(NEXT) | instid1(VALU_DEP_2)
	v_dual_mul_f32 v78, 0x3fb8aa3b, v78 :: v_dual_mul_f32 v71, 0x3fb8aa3b, v71
	v_add_f32_e32 v69, v69, v84
	s_delay_alu instid0(VALU_DEP_3) | instskip(SKIP_1) | instid1(VALU_DEP_3)
	v_exp_f32_e32 v79, v70
	v_cndmask_b32_e64 v70, 0, v72, s10
	v_exp_f32_e32 v78, v78
	v_exp_f32_e32 v82, v71
	v_add_f32_e32 v72, v69, v88
	v_cndmask_b32_e64 v69, 0, v77, s11
	v_fma_f32 v77, s19, v106, -v68
	s_delay_alu instid0(VALU_DEP_3) | instskip(NEXT) | instid1(TRANS32_DEP_3)
	v_add_f32_e32 v72, v72, v70
	v_cndmask_b32_e64 v71, 0, v79, s12
	s_delay_alu instid0(VALU_DEP_3) | instskip(NEXT) | instid1(VALU_DEP_3)
	v_mul_f32_e32 v77, 0x3fb8aa3b, v77
	v_add_f32_e32 v79, v72, v69
	s_delay_alu instid0(TRANS32_DEP_2) | instskip(NEXT) | instid1(VALU_DEP_3)
	v_cndmask_b32_e64 v72, 0, v78, s13
	v_exp_f32_e32 v90, v77
	v_cndmask_b32_e64 v77, 0, v82, s15
	s_delay_alu instid0(VALU_DEP_3) | instskip(SKIP_1) | instid1(VALU_DEP_1)
	v_add_f32_e32 v78, v79, v71
	v_fma_f32 v79, s19, v107, -v68
	v_dual_add_f32 v82, v78, v72 :: v_dual_mul_f32 v79, 0x3fb8aa3b, v79
	v_cndmask_b32_e64 v78, 0, v81, s16
	s_delay_alu instid0(VALU_DEP_2) | instskip(NEXT) | instid1(VALU_DEP_3)
	v_add_f32_e32 v81, v82, v77
	v_exp_f32_e32 v82, v79
	s_delay_alu instid0(TRANS32_DEP_2) | instskip(NEXT) | instid1(VALU_DEP_2)
	v_cndmask_b32_e64 v79, 0, v90, s17
	v_add_f32_e32 v81, v81, v78
	s_delay_alu instid0(VALU_DEP_1) | instskip(SKIP_2) | instid1(VALU_DEP_1)
	v_add_f32_e32 v90, v81, v79
	s_waitcnt_depctr 0xfff
	v_cndmask_b32_e64 v81, 0, v82, s18
	v_add_f32_e32 v82, v90, v81
	ds_bpermute_b32 v89, v89, v82
	v_cmpx_gt_u32_e32 16, v67
	s_cbranch_execz .LBB1719_12
; %bb.11:
	v_mul_u32_u24_e32 v67, 0x44, v66
	s_delay_alu instid0(VALU_DEP_1) | instskip(SKIP_1) | instid1(VALU_DEP_1)
	v_lshl_add_u32 v67, v65, 2, v67
	s_waitcnt lgkmcnt(0)
	v_dual_add_f32 v82, v82, v89 :: v_dual_add_nc_u32 v67, 0x4000, v67
	ds_store_2addr_b32 v67, v68, v82 offset1:136
.LBB1719_12:
	s_or_b32 exec_lo, exec_lo, s3
	v_lshlrev_b32_e32 v67, 2, v65
	s_waitcnt lgkmcnt(0)
	s_barrier
	buffer_gl0_inv
	v_cmp_eq_u32_e32 vcc_lo, 1, v66
	v_add_nc_u32_e32 v82, 0x4000, v67
	v_cmp_eq_u32_e64 s3, 2, v66
	v_cmp_eq_u32_e64 s5, 7, v66
	ds_load_2addr_b32 v[89:90], v82 offset1:17
	ds_load_2addr_b32 v[91:92], v82 offset0:34 offset1:51
	ds_load_2addr_b32 v[93:94], v82 offset0:68 offset1:85
	;; [unrolled: 1-line block ×4, first 2 shown]
	s_waitcnt lgkmcnt(4)
	v_max3_f32 v67, v89, 0xff7fffff, v90
	s_waitcnt lgkmcnt(3)
	s_delay_alu instid0(VALU_DEP_1) | instskip(SKIP_1) | instid1(VALU_DEP_1)
	v_max3_f32 v67, v67, v91, v92
	s_waitcnt lgkmcnt(2)
	v_max3_f32 v67, v67, v93, v94
	s_waitcnt lgkmcnt(1)
	s_delay_alu instid0(VALU_DEP_1) | instskip(NEXT) | instid1(VALU_DEP_1)
	v_max3_f32 v67, v67, v95, v96
	v_sub_f32_e32 v93, v93, v67
	s_delay_alu instid0(VALU_DEP_1) | instskip(NEXT) | instid1(VALU_DEP_1)
	v_dual_sub_f32 v68, v89, v67 :: v_dual_mul_f32 v103, 0x3fb8aa3b, v93
	v_mul_f32_e32 v68, 0x3fb8aa3b, v68
	s_delay_alu instid0(VALU_DEP_1)
	v_exp_f32_e32 v100, v68
	v_sub_f32_e32 v68, v92, v67
	v_sub_f32_e32 v99, v90, v67
	ds_load_2addr_b32 v[89:90], v82 offset0:170 offset1:187
	v_dual_mul_f32 v102, 0x3fb8aa3b, v68 :: v_dual_mul_f32 v99, 0x3fb8aa3b, v99
	s_waitcnt lgkmcnt(1)
	v_fma_f32 v68, v100, v97, 0
	s_delay_alu instid0(VALU_DEP_2) | instskip(NEXT) | instid1(VALU_DEP_2)
	v_exp_f32_e32 v102, v102
	v_exp_f32_e32 v99, v99
	s_waitcnt_depctr 0xfff
	v_fmac_f32_e32 v68, v99, v98
	v_sub_f32_e32 v91, v91, v67
	s_delay_alu instid0(VALU_DEP_1)
	v_mul_f32_e32 v101, 0x3fb8aa3b, v91
	ds_load_2addr_b32 v[91:92], v82 offset0:204 offset1:221
	v_sub_f32_e32 v97, v94, v67
	ds_load_2addr_b32 v[93:94], v82 offset0:238 offset1:255
	s_waitcnt lgkmcnt(0)
	v_exp_f32_e32 v101, v101
	s_barrier
	buffer_gl0_inv
	v_dual_fmac_f32 v68, v101, v89 :: v_dual_sub_f32 v89, v96, v67
	v_dual_sub_f32 v82, v95, v67 :: v_dual_mul_f32 v95, 0x3fb8aa3b, v97
	v_exp_f32_e32 v97, v103
	s_delay_alu instid0(VALU_DEP_2) | instskip(NEXT) | instid1(VALU_DEP_2)
	v_dual_fmac_f32 v68, v102, v90 :: v_dual_mul_f32 v89, 0x3fb8aa3b, v89
	v_mul_f32_e32 v82, 0x3fb8aa3b, v82
	s_delay_alu instid0(VALU_DEP_3) | instskip(NEXT) | instid1(VALU_DEP_2)
	v_exp_f32_e32 v95, v95
	v_exp_f32_e32 v89, v89
	s_delay_alu instid0(VALU_DEP_1)
	v_exp_f32_e32 v82, v82
	v_fmac_f32_e32 v68, v97, v91
	s_delay_alu instid0(TRANS32_DEP_3) | instid1(VALU_DEP_1)
	v_fmac_f32_e32 v68, v95, v92
	s_waitcnt_depctr 0xfff
	v_fmac_f32_e32 v68, v82, v93
	s_delay_alu instid0(VALU_DEP_1) | instskip(NEXT) | instid1(VALU_DEP_1)
	v_fmac_f32_e32 v68, v89, v94
	v_add_f32_e32 v90, 0x358637bd, v68
	s_delay_alu instid0(VALU_DEP_1) | instskip(NEXT) | instid1(VALU_DEP_1)
	v_div_scale_f32 v91, null, v90, v90, 1.0
	v_rcp_f32_e32 v92, v91
	s_waitcnt_depctr 0xfff
	v_fma_f32 v93, -v91, v92, 1.0
	s_delay_alu instid0(VALU_DEP_1) | instskip(SKIP_1) | instid1(VALU_DEP_2)
	v_dual_fmac_f32 v92, v93, v92 :: v_dual_cndmask_b32 v93, v100, v99
	v_cmp_eq_u32_e32 vcc_lo, 3, v66
	v_cndmask_b32_e64 v93, v93, v101, s3
	v_cmp_eq_u32_e64 s3, 4, v66
	s_delay_alu instid0(VALU_DEP_2) | instskip(SKIP_1) | instid1(VALU_DEP_2)
	v_cndmask_b32_e32 v93, v93, v102, vcc_lo
	v_cmp_eq_u32_e32 vcc_lo, 5, v66
	v_cndmask_b32_e64 v93, v93, v97, s3
	v_cmp_eq_u32_e64 s3, 6, v66
	s_delay_alu instid0(VALU_DEP_2) | instskip(SKIP_1) | instid1(VALU_DEP_1)
	v_cndmask_b32_e32 v93, v93, v95, vcc_lo
	v_div_scale_f32 v94, s4, 1.0, v90, 1.0
	s_mov_b32 vcc_lo, s4
	s_delay_alu instid0(VALU_DEP_2) | instskip(NEXT) | instid1(VALU_DEP_2)
	v_cndmask_b32_e64 v82, v93, v82, s3
	v_mul_f32_e32 v96, v94, v92
	s_mov_b32 s3, exec_lo
	s_delay_alu instid0(VALU_DEP_2) | instskip(NEXT) | instid1(VALU_DEP_2)
	v_cndmask_b32_e64 v82, v82, v89, s5
	v_fma_f32 v98, -v91, v96, v94
	s_delay_alu instid0(VALU_DEP_1) | instskip(NEXT) | instid1(VALU_DEP_1)
	v_fmac_f32_e32 v96, v98, v92
	v_fma_f32 v91, -v91, v96, v94
	s_delay_alu instid0(VALU_DEP_1) | instskip(NEXT) | instid1(VALU_DEP_1)
	v_div_fmas_f32 v91, v91, v92, v96
	v_div_fixup_f32 v90, v91, v90, 1.0
	s_delay_alu instid0(VALU_DEP_1) | instskip(NEXT) | instid1(VALU_DEP_1)
	v_mul_f32_e32 v82, v82, v90
	v_mul_f32_e32 v87, v82, v87
	v_mul_f32_e32 v90, v82, v80
	v_mul_f32_e32 v80, v82, v88
	v_mul_f32_e32 v84, v82, v84
	v_mul_f32_e32 v88, v82, v86
	v_mul_f32_e32 v89, v82, v85
	v_dual_mul_f32 v86, v82, v83 :: v_dual_and_b32 v91, 0x7f800000, v90
	v_mul_f32_e32 v85, v82, v76
                                        ; implicit-def: $vgpr76
	s_delay_alu instid0(VALU_DEP_2)
	v_cmpx_ne_u32_e32 0x7f800000, v91
	s_xor_b32 s3, exec_lo, s3
; %bb.13:
	v_bfe_u32 v76, v90, 16, 1
	s_delay_alu instid0(VALU_DEP_1)
	v_add3_u32 v76, v90, v76, 0x7fff
                                        ; implicit-def: $vgpr90
; %bb.14:
	s_and_not1_saveexec_b32 s3, s3
; %bb.15:
	v_and_b32_e32 v76, 0xffff, v90
	v_or_b32_e32 v83, 0x10000, v90
	s_delay_alu instid0(VALU_DEP_2) | instskip(NEXT) | instid1(VALU_DEP_2)
	v_cmp_eq_u32_e32 vcc_lo, 0, v76
	v_cndmask_b32_e32 v76, v83, v90, vcc_lo
; %bb.16:
	s_or_b32 exec_lo, exec_lo, s3
	v_and_b32_e32 v83, 0x7f800000, v85
	s_delay_alu instid0(VALU_DEP_1) | instskip(SKIP_1) | instid1(SALU_CYCLE_1)
	v_cmp_ne_u32_e32 vcc_lo, 0x7f800000, v83
                                        ; implicit-def: $vgpr83
	s_and_saveexec_b32 s3, vcc_lo
	s_xor_b32 s3, exec_lo, s3
; %bb.17:
	v_bfe_u32 v83, v85, 16, 1
	s_delay_alu instid0(VALU_DEP_1)
	v_add3_u32 v83, v85, v83, 0x7fff
                                        ; implicit-def: $vgpr85
; %bb.18:
	s_and_not1_saveexec_b32 s3, s3
; %bb.19:
	v_and_b32_e32 v83, 0xffff, v85
	v_or_b32_e32 v90, 0x10000, v85
	s_delay_alu instid0(VALU_DEP_2) | instskip(NEXT) | instid1(VALU_DEP_2)
	v_cmp_eq_u32_e32 vcc_lo, 0, v83
	v_cndmask_b32_e32 v83, v90, v85, vcc_lo
; %bb.20:
	s_or_b32 exec_lo, exec_lo, s3
	v_and_b32_e32 v85, 0x7f800000, v86
	s_delay_alu instid0(VALU_DEP_1) | instskip(SKIP_1) | instid1(SALU_CYCLE_1)
	v_cmp_ne_u32_e32 vcc_lo, 0x7f800000, v85
                                        ; implicit-def: $vgpr85
	s_and_saveexec_b32 s3, vcc_lo
	s_xor_b32 s3, exec_lo, s3
; %bb.21:
	v_bfe_u32 v85, v86, 16, 1
	s_delay_alu instid0(VALU_DEP_1)
	v_add3_u32 v85, v86, v85, 0x7fff
                                        ; implicit-def: $vgpr86
; %bb.22:
	s_and_not1_saveexec_b32 s3, s3
; %bb.23:
	v_and_b32_e32 v85, 0xffff, v86
	v_or_b32_e32 v90, 0x10000, v86
	s_delay_alu instid0(VALU_DEP_2) | instskip(NEXT) | instid1(VALU_DEP_2)
	v_cmp_eq_u32_e32 vcc_lo, 0, v85
	v_cndmask_b32_e32 v85, v90, v86, vcc_lo
; %bb.24:
	s_or_b32 exec_lo, exec_lo, s3
	v_and_b32_e32 v86, 0x7f800000, v89
	s_delay_alu instid0(VALU_DEP_1) | instskip(SKIP_1) | instid1(SALU_CYCLE_1)
	v_cmp_ne_u32_e32 vcc_lo, 0x7f800000, v86
                                        ; implicit-def: $vgpr86
	s_and_saveexec_b32 s3, vcc_lo
	s_xor_b32 s3, exec_lo, s3
; %bb.25:
	v_bfe_u32 v86, v89, 16, 1
	s_delay_alu instid0(VALU_DEP_1)
	v_add3_u32 v86, v89, v86, 0x7fff
                                        ; implicit-def: $vgpr89
; %bb.26:
	s_and_not1_saveexec_b32 s3, s3
; %bb.27:
	v_and_b32_e32 v86, 0xffff, v89
	v_or_b32_e32 v90, 0x10000, v89
	s_delay_alu instid0(VALU_DEP_2) | instskip(NEXT) | instid1(VALU_DEP_2)
	v_cmp_eq_u32_e32 vcc_lo, 0, v86
	v_cndmask_b32_e32 v86, v90, v89, vcc_lo
; %bb.28:
	s_or_b32 exec_lo, exec_lo, s3
	v_and_b32_e32 v89, 0x7f800000, v88
	s_delay_alu instid0(VALU_DEP_1) | instskip(SKIP_1) | instid1(SALU_CYCLE_1)
	v_cmp_ne_u32_e32 vcc_lo, 0x7f800000, v89
                                        ; implicit-def: $vgpr89
	s_and_saveexec_b32 s3, vcc_lo
	s_xor_b32 s3, exec_lo, s3
; %bb.29:
	v_bfe_u32 v89, v88, 16, 1
	s_delay_alu instid0(VALU_DEP_1)
	v_add3_u32 v89, v88, v89, 0x7fff
                                        ; implicit-def: $vgpr88
; %bb.30:
	s_and_not1_saveexec_b32 s3, s3
; %bb.31:
	v_and_b32_e32 v89, 0xffff, v88
	v_or_b32_e32 v90, 0x10000, v88
	s_delay_alu instid0(VALU_DEP_2) | instskip(NEXT) | instid1(VALU_DEP_2)
	v_cmp_eq_u32_e32 vcc_lo, 0, v89
	v_cndmask_b32_e32 v89, v90, v88, vcc_lo
; %bb.32:
	s_or_b32 exec_lo, exec_lo, s3
	v_and_b32_e32 v88, 0x7f800000, v87
	s_delay_alu instid0(VALU_DEP_1) | instskip(SKIP_1) | instid1(SALU_CYCLE_1)
	v_cmp_ne_u32_e32 vcc_lo, 0x7f800000, v88
                                        ; implicit-def: $vgpr88
	s_and_saveexec_b32 s3, vcc_lo
	s_xor_b32 s3, exec_lo, s3
; %bb.33:
	v_bfe_u32 v88, v87, 16, 1
	s_delay_alu instid0(VALU_DEP_1)
	v_add3_u32 v88, v87, v88, 0x7fff
                                        ; implicit-def: $vgpr87
; %bb.34:
	s_and_not1_saveexec_b32 s3, s3
; %bb.35:
	v_and_b32_e32 v88, 0xffff, v87
	v_or_b32_e32 v90, 0x10000, v87
	s_delay_alu instid0(VALU_DEP_2) | instskip(NEXT) | instid1(VALU_DEP_2)
	v_cmp_eq_u32_e32 vcc_lo, 0, v88
	v_cndmask_b32_e32 v88, v90, v87, vcc_lo
; %bb.36:
	s_or_b32 exec_lo, exec_lo, s3
	v_and_b32_e32 v87, 0x7f800000, v84
	s_delay_alu instid0(VALU_DEP_1) | instskip(SKIP_1) | instid1(SALU_CYCLE_1)
	v_cmp_ne_u32_e32 vcc_lo, 0x7f800000, v87
                                        ; implicit-def: $vgpr87
	s_and_saveexec_b32 s3, vcc_lo
	s_xor_b32 s3, exec_lo, s3
; %bb.37:
	v_bfe_u32 v87, v84, 16, 1
	s_delay_alu instid0(VALU_DEP_1)
	v_add3_u32 v87, v84, v87, 0x7fff
                                        ; implicit-def: $vgpr84
; %bb.38:
	s_and_not1_saveexec_b32 s3, s3
; %bb.39:
	v_and_b32_e32 v87, 0xffff, v84
	v_or_b32_e32 v90, 0x10000, v84
	s_delay_alu instid0(VALU_DEP_2) | instskip(NEXT) | instid1(VALU_DEP_2)
	v_cmp_eq_u32_e32 vcc_lo, 0, v87
	v_cndmask_b32_e32 v87, v90, v84, vcc_lo
; %bb.40:
	s_or_b32 exec_lo, exec_lo, s3
	v_and_b32_e32 v84, 0x7f800000, v80
	s_delay_alu instid0(VALU_DEP_1) | instskip(SKIP_1) | instid1(SALU_CYCLE_1)
	v_cmp_ne_u32_e32 vcc_lo, 0x7f800000, v84
                                        ; implicit-def: $vgpr84
	s_and_saveexec_b32 s3, vcc_lo
	s_xor_b32 s3, exec_lo, s3
; %bb.41:
	v_bfe_u32 v84, v80, 16, 1
	s_delay_alu instid0(VALU_DEP_1)
	v_add3_u32 v84, v80, v84, 0x7fff
                                        ; implicit-def: $vgpr80
; %bb.42:
	s_and_not1_saveexec_b32 s3, s3
; %bb.43:
	v_and_b32_e32 v84, 0xffff, v80
	v_or_b32_e32 v90, 0x10000, v80
	s_delay_alu instid0(VALU_DEP_2) | instskip(NEXT) | instid1(VALU_DEP_2)
	v_cmp_eq_u32_e32 vcc_lo, 0, v84
	v_cndmask_b32_e32 v84, v90, v80, vcc_lo
; %bb.44:
	s_or_b32 exec_lo, exec_lo, s3
	s_load_b64 s[34:35], s[0:1], 0x94
	v_lshlrev_b32_e32 v91, 4, v74
	s_delay_alu instid0(VALU_DEP_2)
	v_perm_b32 v90, v84, v87, 0x7060302
	v_dual_mul_f32 v79, v82, v79 :: v_dual_lshlrev_b32 v80, 6, v65
	v_dual_mul_f32 v77, v82, v77 :: v_dual_lshlrev_b32 v92, 11, v66
	v_mul_f32_e32 v84, v82, v70
	v_perm_b32 v89, v88, v89, 0x7060302
	v_perm_b32 v88, v86, v85, 0x7060302
	;; [unrolled: 1-line block ×3, first 2 shown]
	v_mul_f32_e32 v70, v82, v81
	v_or3_b32 v76, v91, v92, v80
	v_dual_mul_f32 v78, v82, v78 :: v_dual_and_b32 v85, 0x7f800000, v84
	v_mul_f32_e32 v83, v82, v72
	v_mul_f32_e32 v81, v82, v71
	;; [unrolled: 1-line block ×3, first 2 shown]
	s_mov_b32 s3, exec_lo
	ds_store_b128 v76, v[87:90]
                                        ; implicit-def: $vgpr69
	v_cmpx_ne_u32_e32 0x7f800000, v85
	s_xor_b32 s3, exec_lo, s3
; %bb.45:
	v_bfe_u32 v69, v84, 16, 1
	s_delay_alu instid0(VALU_DEP_1)
	v_add3_u32 v69, v84, v69, 0x7fff
                                        ; implicit-def: $vgpr84
; %bb.46:
	s_and_not1_saveexec_b32 s3, s3
; %bb.47:
	v_and_b32_e32 v69, 0xffff, v84
	v_or_b32_e32 v71, 0x10000, v84
	s_delay_alu instid0(VALU_DEP_2) | instskip(NEXT) | instid1(VALU_DEP_2)
	v_cmp_eq_u32_e32 vcc_lo, 0, v69
	v_cndmask_b32_e32 v69, v71, v84, vcc_lo
; %bb.48:
	s_or_b32 exec_lo, exec_lo, s3
	v_and_b32_e32 v71, 0x7f800000, v72
	s_delay_alu instid0(VALU_DEP_1) | instskip(SKIP_1) | instid1(SALU_CYCLE_1)
	v_cmp_ne_u32_e32 vcc_lo, 0x7f800000, v71
                                        ; implicit-def: $vgpr71
	s_and_saveexec_b32 s3, vcc_lo
	s_xor_b32 s3, exec_lo, s3
; %bb.49:
	v_bfe_u32 v71, v72, 16, 1
	s_delay_alu instid0(VALU_DEP_1)
	v_add3_u32 v71, v72, v71, 0x7fff
                                        ; implicit-def: $vgpr72
; %bb.50:
	s_and_not1_saveexec_b32 s3, s3
; %bb.51:
	v_and_b32_e32 v71, 0xffff, v72
	v_or_b32_e32 v82, 0x10000, v72
	s_delay_alu instid0(VALU_DEP_2) | instskip(NEXT) | instid1(VALU_DEP_2)
	v_cmp_eq_u32_e32 vcc_lo, 0, v71
	v_cndmask_b32_e32 v71, v82, v72, vcc_lo
; %bb.52:
	s_or_b32 exec_lo, exec_lo, s3
	v_and_b32_e32 v72, 0x7f800000, v81
	s_delay_alu instid0(VALU_DEP_1) | instskip(SKIP_1) | instid1(SALU_CYCLE_1)
	v_cmp_ne_u32_e32 vcc_lo, 0x7f800000, v72
                                        ; implicit-def: $vgpr72
	s_and_saveexec_b32 s3, vcc_lo
	s_xor_b32 s3, exec_lo, s3
; %bb.53:
	v_bfe_u32 v72, v81, 16, 1
	s_delay_alu instid0(VALU_DEP_1)
	v_add3_u32 v72, v81, v72, 0x7fff
                                        ; implicit-def: $vgpr81
; %bb.54:
	s_and_not1_saveexec_b32 s3, s3
; %bb.55:
	v_and_b32_e32 v72, 0xffff, v81
	v_or_b32_e32 v82, 0x10000, v81
	s_delay_alu instid0(VALU_DEP_2) | instskip(NEXT) | instid1(VALU_DEP_2)
	v_cmp_eq_u32_e32 vcc_lo, 0, v72
	v_cndmask_b32_e32 v72, v82, v81, vcc_lo
; %bb.56:
	s_or_b32 exec_lo, exec_lo, s3
	v_and_b32_e32 v81, 0x7f800000, v83
	s_delay_alu instid0(VALU_DEP_1) | instskip(SKIP_1) | instid1(SALU_CYCLE_1)
	v_cmp_ne_u32_e32 vcc_lo, 0x7f800000, v81
                                        ; implicit-def: $vgpr81
	s_and_saveexec_b32 s3, vcc_lo
	s_xor_b32 s3, exec_lo, s3
; %bb.57:
	v_bfe_u32 v81, v83, 16, 1
	s_delay_alu instid0(VALU_DEP_1)
	v_add3_u32 v81, v83, v81, 0x7fff
                                        ; implicit-def: $vgpr83
; %bb.58:
	s_and_not1_saveexec_b32 s3, s3
; %bb.59:
	v_and_b32_e32 v81, 0xffff, v83
	v_or_b32_e32 v82, 0x10000, v83
	s_delay_alu instid0(VALU_DEP_2) | instskip(NEXT) | instid1(VALU_DEP_2)
	v_cmp_eq_u32_e32 vcc_lo, 0, v81
	v_cndmask_b32_e32 v81, v82, v83, vcc_lo
; %bb.60:
	s_or_b32 exec_lo, exec_lo, s3
	v_and_b32_e32 v82, 0x7f800000, v77
	s_delay_alu instid0(VALU_DEP_1) | instskip(SKIP_1) | instid1(SALU_CYCLE_1)
	v_cmp_ne_u32_e32 vcc_lo, 0x7f800000, v82
                                        ; implicit-def: $vgpr82
	s_and_saveexec_b32 s3, vcc_lo
	s_xor_b32 s3, exec_lo, s3
; %bb.61:
	v_bfe_u32 v82, v77, 16, 1
	s_delay_alu instid0(VALU_DEP_1)
	v_add3_u32 v82, v77, v82, 0x7fff
                                        ; implicit-def: $vgpr77
; %bb.62:
	s_and_not1_saveexec_b32 s3, s3
; %bb.63:
	v_and_b32_e32 v82, 0xffff, v77
	v_or_b32_e32 v83, 0x10000, v77
	s_delay_alu instid0(VALU_DEP_2) | instskip(NEXT) | instid1(VALU_DEP_2)
	v_cmp_eq_u32_e32 vcc_lo, 0, v82
	v_cndmask_b32_e32 v82, v83, v77, vcc_lo
; %bb.64:
	s_or_b32 exec_lo, exec_lo, s3
	v_and_b32_e32 v77, 0x7f800000, v78
	s_delay_alu instid0(VALU_DEP_1) | instskip(SKIP_1) | instid1(SALU_CYCLE_1)
	v_cmp_ne_u32_e32 vcc_lo, 0x7f800000, v77
                                        ; implicit-def: $vgpr77
	s_and_saveexec_b32 s3, vcc_lo
	s_xor_b32 s3, exec_lo, s3
; %bb.65:
	v_bfe_u32 v77, v78, 16, 1
	s_delay_alu instid0(VALU_DEP_1)
	v_add3_u32 v77, v78, v77, 0x7fff
                                        ; implicit-def: $vgpr78
; %bb.66:
	s_and_not1_saveexec_b32 s3, s3
; %bb.67:
	v_and_b32_e32 v77, 0xffff, v78
	v_or_b32_e32 v83, 0x10000, v78
	s_delay_alu instid0(VALU_DEP_2) | instskip(NEXT) | instid1(VALU_DEP_2)
	v_cmp_eq_u32_e32 vcc_lo, 0, v77
	v_cndmask_b32_e32 v77, v83, v78, vcc_lo
; %bb.68:
	s_or_b32 exec_lo, exec_lo, s3
	v_and_b32_e32 v78, 0x7f800000, v79
	s_delay_alu instid0(VALU_DEP_1) | instskip(SKIP_1) | instid1(SALU_CYCLE_1)
	v_cmp_ne_u32_e32 vcc_lo, 0x7f800000, v78
                                        ; implicit-def: $vgpr78
	s_and_saveexec_b32 s3, vcc_lo
	s_xor_b32 s3, exec_lo, s3
; %bb.69:
	v_bfe_u32 v78, v79, 16, 1
	s_delay_alu instid0(VALU_DEP_1)
	v_add3_u32 v78, v79, v78, 0x7fff
                                        ; implicit-def: $vgpr79
; %bb.70:
	s_and_not1_saveexec_b32 s3, s3
; %bb.71:
	v_and_b32_e32 v78, 0xffff, v79
	v_or_b32_e32 v83, 0x10000, v79
	s_delay_alu instid0(VALU_DEP_2) | instskip(NEXT) | instid1(VALU_DEP_2)
	v_cmp_eq_u32_e32 vcc_lo, 0, v78
	v_cndmask_b32_e32 v78, v83, v79, vcc_lo
; %bb.72:
	s_or_b32 exec_lo, exec_lo, s3
	v_and_b32_e32 v79, 0x7f800000, v70
	s_delay_alu instid0(VALU_DEP_1) | instskip(SKIP_1) | instid1(SALU_CYCLE_1)
	v_cmp_ne_u32_e32 vcc_lo, 0x7f800000, v79
                                        ; implicit-def: $vgpr79
	s_and_saveexec_b32 s3, vcc_lo
	s_xor_b32 s3, exec_lo, s3
; %bb.73:
	v_bfe_u32 v79, v70, 16, 1
	s_delay_alu instid0(VALU_DEP_1)
	v_add3_u32 v79, v70, v79, 0x7fff
                                        ; implicit-def: $vgpr70
; %bb.74:
	s_and_not1_saveexec_b32 s3, s3
; %bb.75:
	v_and_b32_e32 v79, 0xffff, v70
	v_or_b32_e32 v83, 0x10000, v70
	s_delay_alu instid0(VALU_DEP_2) | instskip(NEXT) | instid1(VALU_DEP_2)
	v_cmp_eq_u32_e32 vcc_lo, 0, v79
	v_cndmask_b32_e32 v79, v83, v70, vcc_lo
; %bb.76:
	s_or_b32 exec_lo, exec_lo, s3
	s_delay_alu instid0(VALU_DEP_1)
	v_perm_b32 v86, v79, v78, 0x7060302
	v_perm_b32 v85, v77, v82, 0x7060302
	;; [unrolled: 1-line block ×4, first 2 shown]
	v_lshl_or_b32 v82, v66, 11, v80
	ds_store_b128 v76, v[83:86] offset:1024
	s_waitcnt lgkmcnt(0)
	s_barrier
	buffer_gl0_inv
	ds_load_b128 v[69:72], v82
	ds_load_b128 v[83:86], v82 offset:16
	s_waitcnt lgkmcnt(1)
	v_lshrrev_b32_e32 v66, 16, v69
	s_waitcnt lgkmcnt(0)
	v_lshrrev_b32_e32 v91, 16, v83
	v_lshlrev_b32_e32 v78, 2, v74
	v_lshrrev_b32_e32 v95, 16, v70
	v_lshrrev_b32_e32 v98, 16, v84
	;; [unrolled: 1-line block ×4, first 2 shown]
	v_cmp_eq_u32_e32 vcc_lo, 1, v78
	v_lshrrev_b32_e32 v97, 16, v72
	v_lshrrev_b32_e32 v100, 16, v86
	v_cndmask_b32_e32 v87, v83, v91, vcc_lo
	v_or_b32_e32 v79, 1, v78
	v_cndmask_b32_e32 v81, v69, v66, vcc_lo
	v_cmp_eq_u32_e64 s4, 2, v78
	v_cmp_eq_u32_e64 s7, 3, v78
	;; [unrolled: 1-line block ×5, first 2 shown]
	v_cndmask_b32_e64 v81, v81, v70, s4
	v_cndmask_b32_e64 v87, v87, v84, s4
	v_cmp_eq_u32_e64 s8, 3, v79
	v_cndmask_b32_e64 v88, v69, v66, s3
	v_or_b32_e32 v77, 2, v78
	v_cndmask_b32_e64 v81, v81, v95, s7
	v_cndmask_b32_e64 v87, v87, v98, s7
	v_cndmask_b32_e64 v89, v83, v91, s3
	v_cndmask_b32_e64 v88, v88, v70, s6
	v_cmp_eq_u32_e64 s10, 5, v78
	v_cndmask_b32_e64 v81, v81, v71, s9
	v_cndmask_b32_e64 v87, v87, v85, s9
	v_cmp_eq_u32_e64 s11, 4, v79
	v_cndmask_b32_e64 v88, v88, v95, s8
	v_cmp_eq_u32_e64 s5, 1, v77
	v_cndmask_b32_e64 v89, v89, v84, s6
	v_cndmask_b32_e64 v81, v81, v96, s10
	v_cmp_eq_u32_e64 s12, 6, v78
	v_cndmask_b32_e64 v88, v88, v71, s11
	;; [unrolled: 3-line block ×3, first 2 shown]
	v_cndmask_b32_e64 v89, v89, v98, s8
	v_cndmask_b32_e64 v81, v81, v72, s12
	v_cmp_eq_u32_e64 s15, 7, v78
	v_cndmask_b32_e64 v88, v88, v96, s13
	v_cndmask_b32_e64 v87, v87, v86, s12
	v_cmp_eq_u32_e64 s16, 6, v79
	v_cmp_eq_u32_e64 s17, 2, v77
	v_cndmask_b32_e64 v89, v89, v85, s11
	v_cndmask_b32_e64 v101, v81, v97, s15
	;; [unrolled: 1-line block ×6, first 2 shown]
	v_cmp_eq_u32_e64 s18, 7, v79
	v_cmp_eq_u32_e64 s19, 3, v77
	;; [unrolled: 1-line block ×4, first 2 shown]
	v_cndmask_b32_e64 v87, v87, v84, s17
	v_cndmask_b32_e64 v103, v88, v97, s18
	;; [unrolled: 1-line block ×4, first 2 shown]
	v_or_b32_e32 v81, 3, v78
	v_cndmask_b32_e64 v93, v87, v98, s19
	v_cmp_eq_u32_e64 s24, 6, v77
	v_cndmask_b32_e64 v104, v88, v86, s16
	v_cndmask_b32_e64 v92, v89, v71, s20
	v_cmp_eq_u32_e64 s21, 1, v81
	ds_load_b128 v[87:90], v82 offset:1024
	v_cmp_eq_u32_e64 s23, 2, v81
	v_cmp_eq_u32_e64 s25, 3, v81
	v_cndmask_b32_e64 v105, v92, v96, s22
	v_cndmask_b32_e64 v66, v69, v66, s21
	;; [unrolled: 1-line block ×4, first 2 shown]
	ds_load_b128 v[91:94], v82 offset:1040
	v_cmp_eq_u32_e64 s26, 4, v81
	v_cndmask_b32_e64 v66, v66, v70, s23
	v_cmp_eq_u32_e64 s27, 7, v77
	v_cndmask_b32_e64 v70, v83, v84, s23
	v_cndmask_b32_e64 v84, v105, v72, s24
	v_cmp_eq_u32_e64 s28, 5, v81
	v_cndmask_b32_e64 v66, v66, v95, s25
	v_cmp_eq_u32_e64 s29, 6, v81
	v_cndmask_b32_e64 v70, v70, v98, s25
	v_cndmask_b32_e64 v69, v69, v99, s22
	;; [unrolled: 1-line block ×4, first 2 shown]
	s_waitcnt lgkmcnt(1)
	v_lshrrev_b32_e32 v95, 16, v87
	v_cndmask_b32_e64 v70, v70, v85, s26
	v_cndmask_b32_e64 v71, v84, v97, s27
	;; [unrolled: 1-line block ×4, first 2 shown]
	v_cndmask_b32_e32 v84, v87, v95, vcc_lo
	v_cndmask_b32_e64 v70, v70, v99, s28
	s_waitcnt lgkmcnt(0)
	v_lshrrev_b32_e32 v85, 16, v91
	v_lshrrev_b32_e32 v96, 16, v88
	v_cndmask_b32_e64 v98, v87, v95, s3
	v_cndmask_b32_e64 v84, v84, v88, s4
	;; [unrolled: 1-line block ×3, first 2 shown]
	v_cndmask_b32_e32 v99, v91, v85, vcc_lo
	v_cmp_eq_u32_e32 vcc_lo, 7, v81
	v_cndmask_b32_e64 v66, v66, v72, s29
	v_cndmask_b32_e64 v72, v84, v96, s7
	;; [unrolled: 1-line block ×3, first 2 shown]
	v_lshrrev_b32_e32 v98, 16, v92
	v_cndmask_b32_e32 v70, v70, v100, vcc_lo
	v_cndmask_b32_e64 v86, v99, v92, s4
	v_cndmask_b32_e64 v69, v69, v100, s27
	v_lshrrev_b32_e32 v100, 16, v93
	v_cndmask_b32_e64 v72, v72, v89, s9
	v_lshrrev_b32_e32 v99, 16, v89
	v_cndmask_b32_e64 v86, v86, v98, s7
	v_perm_b32 v71, v69, v71, 0x5040100
	v_cndmask_b32_e64 v84, v84, v96, s8
	s_delay_alu instid0(VALU_DEP_3) | instskip(NEXT) | instid1(VALU_DEP_2)
	v_cndmask_b32_e64 v86, v86, v93, s9
	v_cndmask_b32_e64 v84, v84, v89, s11
	s_delay_alu instid0(VALU_DEP_2) | instskip(NEXT) | instid1(VALU_DEP_1)
	v_cndmask_b32_e64 v86, v86, v100, s10
	v_cndmask_b32_e64 v69, v86, v94, s12
	;; [unrolled: 1-line block ×5, first 2 shown]
	s_delay_alu instid0(VALU_DEP_3) | instskip(NEXT) | instid1(VALU_DEP_3)
	v_cndmask_b32_e64 v86, v86, v88, s17
	v_cndmask_b32_e64 v87, v87, v88, s23
	s_delay_alu instid0(VALU_DEP_3) | instskip(NEXT) | instid1(VALU_DEP_3)
	v_cndmask_b32_e64 v88, v95, v92, s23
	v_cndmask_b32_e64 v86, v86, v96, s19
	;; [unrolled: 3-line block ×7, first 2 shown]
	s_delay_alu instid0(VALU_DEP_3) | instskip(SKIP_2) | instid1(VALU_DEP_2)
	v_cndmask_b32_e64 v88, v88, v94, s29
	v_cndmask_b32_e32 v66, v66, v97, vcc_lo
	v_cndmask_b32_e64 v97, v72, v99, s10
	v_perm_b32 v72, v70, v66, 0x5040100
	v_perm_b32 v70, v83, v103, 0x5040100
	v_cndmask_b32_e64 v103, v91, v85, s5
	v_cndmask_b32_e64 v85, v91, v85, s3
	;; [unrolled: 1-line block ×4, first 2 shown]
	v_lshrrev_b32_e32 v97, 16, v90
	v_cndmask_b32_e64 v91, v103, v92, s17
	v_cndmask_b32_e64 v85, v85, v92, s6
	;; [unrolled: 1-line block ×3, first 2 shown]
	s_mov_b32 s3, exec_lo
	v_cndmask_b32_e64 v83, v84, v97, s15
	v_cndmask_b32_e64 v91, v91, v98, s19
	;; [unrolled: 1-line block ×3, first 2 shown]
	v_lshrrev_b32_e32 v84, 16, v94
	v_cndmask_b32_e64 v66, v66, v97, s18
	v_cndmask_b32_e64 v90, v86, v97, s27
	;; [unrolled: 1-line block ×4, first 2 shown]
	v_dual_cndmask_b32 v86, v87, v97 :: v_dual_cndmask_b32 v87, v88, v84
	v_cndmask_b32_e64 v91, v69, v84, s15
	s_delay_alu instid0(VALU_DEP_4) | instskip(NEXT) | instid1(VALU_DEP_4)
	v_cndmask_b32_e64 v89, v89, v100, s22
	v_cndmask_b32_e64 v85, v85, v100, s13
	v_perm_b32 v69, v102, v101, 0x5040100
	v_perm_b32 v86, v87, v86, 0x5040100
	v_perm_b32 v83, v91, v83, 0x5040100
	v_cndmask_b32_e64 v89, v89, v94, s24
	v_cndmask_b32_e64 v85, v85, v94, s16
	s_mul_i32 s8, s35, 10
	s_delay_alu instid0(VALU_DEP_2) | instskip(NEXT) | instid1(VALU_DEP_2)
	v_cndmask_b32_e64 v88, v89, v84, s27
	v_cndmask_b32_e64 v89, v85, v84, s18
	s_delay_alu instid0(VALU_DEP_2) | instskip(NEXT) | instid1(VALU_DEP_2)
	v_perm_b32 v85, v88, v90, 0x5040100
	v_perm_b32 v84, v89, v66, 0x5040100
	ds_store_b128 v76, v[69:72]
	ds_store_b128 v76, v[83:86] offset:1024
	v_cmpx_gt_u32_e32 10, v0
	s_cbranch_execz .LBB1719_78
; %bb.77:
	s_mul_i32 s4, s8, s30
	s_delay_alu instid0(SALU_CYCLE_1) | instskip(SKIP_1) | instid1(VALU_DEP_1)
	v_add3_u32 v69, s4, s31, v65
	s_load_b128 s[4:7], s[0:1], 0x58
	v_mad_u64_u32 v[65:66], null, v69, s34, s[14:15]
	s_delay_alu instid0(VALU_DEP_1) | instskip(NEXT) | instid1(VALU_DEP_1)
	v_ashrrev_i32_e32 v66, 31, v65
	v_lshlrev_b64 v[65:66], 2, v[65:66]
	s_waitcnt lgkmcnt(0)
	s_delay_alu instid0(VALU_DEP_1) | instskip(NEXT) | instid1(VALU_DEP_2)
	v_add_co_u32 v69, vcc_lo, s6, v65
	v_add_co_ci_u32_e32 v70, vcc_lo, s7, v66, vcc_lo
	v_add_co_u32 v65, vcc_lo, s4, v65
	v_add_co_ci_u32_e32 v66, vcc_lo, s5, v66, vcc_lo
	global_store_b32 v[69:70], v67, off
	global_store_b32 v[65:66], v68, off
.LBB1719_78:
	s_or_b32 exec_lo, exec_lo, s3
	s_waitcnt lgkmcnt(0)
	s_waitcnt_vscnt null, 0x0
	s_barrier
	buffer_gl0_inv
	ds_load_b128 v[83:86], v80
	ds_load_b128 v[87:90], v80 offset:16
	ds_load_b128 v[95:98], v80 offset:2064
	;; [unrolled: 1-line block ×3, first 2 shown]
	v_mov_b32_e32 v65, 0
	ds_load_b128 v[103:106], v80 offset:4112
	ds_load_b128 v[99:102], v80 offset:4096
	;; [unrolled: 1-line block ×4, first 2 shown]
	v_mov_b32_e32 v66, v65
	v_mov_b32_e32 v67, v65
	;; [unrolled: 1-line block ×7, first 2 shown]
	s_waitcnt lgkmcnt(6)
	s_delay_alu instid0(VALU_DEP_1)
	v_wmma_f32_16x16x16_bf16 v[65:72], v[57:64], v[83:90], v[65:72]
	ds_load_b128 v[61:64], v80 offset:8208
	ds_load_b128 v[57:60], v80 offset:8192
	s_waitcnt lgkmcnt(6)
	v_wmma_f32_16x16x16_bf16 v[65:72], v[41:48], v[91:98], v[65:72]
	ds_load_b128 v[45:48], v80 offset:10256
	ds_load_b128 v[41:44], v80 offset:10240
	s_waitcnt lgkmcnt(6)
	;; [unrolled: 4-line block ×4, first 2 shown]
	v_wmma_f32_16x16x16_bf16 v[65:72], v[1:8], v[57:64], v[65:72]
	s_waitcnt lgkmcnt(4)
	s_delay_alu instid0(VALU_DEP_1) | instskip(SKIP_1) | instid1(VALU_DEP_1)
	v_wmma_f32_16x16x16_bf16 v[65:72], v[9:16], v[41:48], v[65:72]
	s_waitcnt lgkmcnt(2)
	v_wmma_f32_16x16x16_bf16 v[65:72], v[17:24], v[33:40], v[65:72]
	s_waitcnt lgkmcnt(0)
	s_delay_alu instid0(VALU_DEP_1) | instskip(NEXT) | instid1(VALU_DEP_1)
	v_wmma_f32_16x16x16_bf16 v[65:72], v[49:56], v[25:32], v[65:72]
	v_and_b32_e32 v1, 0x7f800000, v65
	s_delay_alu instid0(VALU_DEP_1) | instskip(SKIP_1) | instid1(SALU_CYCLE_1)
	v_cmp_ne_u32_e32 vcc_lo, 0x7f800000, v1
                                        ; implicit-def: $vgpr1
	s_and_saveexec_b32 s3, vcc_lo
	s_xor_b32 s3, exec_lo, s3
; %bb.79:
	v_bfe_u32 v1, v65, 16, 1
	s_delay_alu instid0(VALU_DEP_1)
	v_add3_u32 v1, v65, v1, 0x7fff
; %bb.80:
	s_and_not1_saveexec_b32 s3, s3
; %bb.81:
	v_and_b32_e32 v1, 0xffff, v65
	v_or_b32_e32 v2, 0x10000, v65
	s_delay_alu instid0(VALU_DEP_2) | instskip(NEXT) | instid1(VALU_DEP_2)
	v_cmp_eq_u32_e32 vcc_lo, 0, v1
	v_cndmask_b32_e32 v1, v2, v65, vcc_lo
; %bb.82:
	s_or_b32 exec_lo, exec_lo, s3
	v_and_b32_e32 v2, 0x7f800000, v66
	s_delay_alu instid0(VALU_DEP_1) | instskip(SKIP_1) | instid1(SALU_CYCLE_1)
	v_cmp_ne_u32_e32 vcc_lo, 0x7f800000, v2
                                        ; implicit-def: $vgpr2
	s_and_saveexec_b32 s3, vcc_lo
	s_xor_b32 s3, exec_lo, s3
; %bb.83:
	v_bfe_u32 v2, v66, 16, 1
	s_delay_alu instid0(VALU_DEP_1)
	v_add3_u32 v2, v66, v2, 0x7fff
; %bb.84:
	s_and_not1_saveexec_b32 s3, s3
; %bb.85:
	v_and_b32_e32 v2, 0xffff, v66
	v_or_b32_e32 v3, 0x10000, v66
	s_delay_alu instid0(VALU_DEP_2) | instskip(NEXT) | instid1(VALU_DEP_2)
	v_cmp_eq_u32_e32 vcc_lo, 0, v2
	v_cndmask_b32_e32 v2, v3, v66, vcc_lo
; %bb.86:
	s_or_b32 exec_lo, exec_lo, s3
	v_and_b32_e32 v3, 0x7f800000, v67
	s_delay_alu instid0(VALU_DEP_1) | instskip(SKIP_1) | instid1(SALU_CYCLE_1)
	v_cmp_ne_u32_e32 vcc_lo, 0x7f800000, v3
                                        ; implicit-def: $vgpr3
	s_and_saveexec_b32 s3, vcc_lo
	s_xor_b32 s3, exec_lo, s3
; %bb.87:
	v_bfe_u32 v3, v67, 16, 1
	s_delay_alu instid0(VALU_DEP_1)
	v_add3_u32 v3, v67, v3, 0x7fff
; %bb.88:
	s_and_not1_saveexec_b32 s3, s3
; %bb.89:
	v_and_b32_e32 v3, 0xffff, v67
	v_or_b32_e32 v4, 0x10000, v67
	s_delay_alu instid0(VALU_DEP_2) | instskip(NEXT) | instid1(VALU_DEP_2)
	v_cmp_eq_u32_e32 vcc_lo, 0, v3
	v_cndmask_b32_e32 v3, v4, v67, vcc_lo
; %bb.90:
	s_or_b32 exec_lo, exec_lo, s3
	v_and_b32_e32 v4, 0x7f800000, v68
	s_delay_alu instid0(VALU_DEP_1) | instskip(SKIP_1) | instid1(SALU_CYCLE_1)
	v_cmp_ne_u32_e32 vcc_lo, 0x7f800000, v4
                                        ; implicit-def: $vgpr4
	s_and_saveexec_b32 s3, vcc_lo
	s_xor_b32 s3, exec_lo, s3
; %bb.91:
	v_bfe_u32 v4, v68, 16, 1
	s_delay_alu instid0(VALU_DEP_1)
	v_add3_u32 v4, v68, v4, 0x7fff
; %bb.92:
	s_and_not1_saveexec_b32 s3, s3
; %bb.93:
	v_and_b32_e32 v4, 0xffff, v68
	v_or_b32_e32 v5, 0x10000, v68
	s_delay_alu instid0(VALU_DEP_2) | instskip(NEXT) | instid1(VALU_DEP_2)
	v_cmp_eq_u32_e32 vcc_lo, 0, v4
	v_cndmask_b32_e32 v4, v5, v68, vcc_lo
; %bb.94:
	s_or_b32 exec_lo, exec_lo, s3
	v_and_b32_e32 v5, 0x7f800000, v69
	s_delay_alu instid0(VALU_DEP_1) | instskip(SKIP_1) | instid1(SALU_CYCLE_1)
	v_cmp_ne_u32_e32 vcc_lo, 0x7f800000, v5
                                        ; implicit-def: $vgpr5
	s_and_saveexec_b32 s3, vcc_lo
	s_xor_b32 s3, exec_lo, s3
; %bb.95:
	v_bfe_u32 v5, v69, 16, 1
	s_delay_alu instid0(VALU_DEP_1)
	v_add3_u32 v5, v69, v5, 0x7fff
; %bb.96:
	s_and_not1_saveexec_b32 s3, s3
; %bb.97:
	v_and_b32_e32 v5, 0xffff, v69
	v_or_b32_e32 v6, 0x10000, v69
	s_delay_alu instid0(VALU_DEP_2) | instskip(NEXT) | instid1(VALU_DEP_2)
	v_cmp_eq_u32_e32 vcc_lo, 0, v5
	v_cndmask_b32_e32 v5, v6, v69, vcc_lo
; %bb.98:
	s_or_b32 exec_lo, exec_lo, s3
	v_and_b32_e32 v6, 0x7f800000, v70
	s_delay_alu instid0(VALU_DEP_1) | instskip(SKIP_1) | instid1(SALU_CYCLE_1)
	v_cmp_ne_u32_e32 vcc_lo, 0x7f800000, v6
                                        ; implicit-def: $vgpr6
	s_and_saveexec_b32 s3, vcc_lo
	s_xor_b32 s3, exec_lo, s3
; %bb.99:
	v_bfe_u32 v6, v70, 16, 1
	s_delay_alu instid0(VALU_DEP_1)
	v_add3_u32 v6, v70, v6, 0x7fff
; %bb.100:
	s_and_not1_saveexec_b32 s3, s3
; %bb.101:
	v_and_b32_e32 v6, 0xffff, v70
	v_or_b32_e32 v7, 0x10000, v70
	s_delay_alu instid0(VALU_DEP_2) | instskip(NEXT) | instid1(VALU_DEP_2)
	v_cmp_eq_u32_e32 vcc_lo, 0, v6
	v_cndmask_b32_e32 v6, v7, v70, vcc_lo
; %bb.102:
	s_or_b32 exec_lo, exec_lo, s3
	v_and_b32_e32 v7, 0x7f800000, v71
	s_delay_alu instid0(VALU_DEP_1) | instskip(SKIP_1) | instid1(SALU_CYCLE_1)
	v_cmp_ne_u32_e32 vcc_lo, 0x7f800000, v7
                                        ; implicit-def: $vgpr7
	s_and_saveexec_b32 s3, vcc_lo
	s_xor_b32 s3, exec_lo, s3
; %bb.103:
	v_bfe_u32 v7, v71, 16, 1
	s_delay_alu instid0(VALU_DEP_1)
	v_add3_u32 v7, v71, v7, 0x7fff
; %bb.104:
	s_and_not1_saveexec_b32 s3, s3
; %bb.105:
	v_and_b32_e32 v7, 0xffff, v71
	v_or_b32_e32 v8, 0x10000, v71
	s_delay_alu instid0(VALU_DEP_2) | instskip(NEXT) | instid1(VALU_DEP_2)
	v_cmp_eq_u32_e32 vcc_lo, 0, v7
	v_cndmask_b32_e32 v7, v8, v71, vcc_lo
; %bb.106:
	s_or_b32 exec_lo, exec_lo, s3
	v_and_b32_e32 v8, 0x7f800000, v72
	s_delay_alu instid0(VALU_DEP_1) | instskip(SKIP_1) | instid1(SALU_CYCLE_1)
	v_cmp_ne_u32_e32 vcc_lo, 0x7f800000, v8
                                        ; implicit-def: $vgpr8
	s_and_saveexec_b32 s3, vcc_lo
	s_xor_b32 s3, exec_lo, s3
; %bb.107:
	v_bfe_u32 v8, v72, 16, 1
	s_delay_alu instid0(VALU_DEP_1)
	v_add3_u32 v8, v72, v8, 0x7fff
                                        ; implicit-def: $vgpr65_vgpr66_vgpr67_vgpr68_vgpr69_vgpr70_vgpr71_vgpr72
; %bb.108:
	s_and_not1_saveexec_b32 s3, s3
; %bb.109:
	v_and_b32_e32 v8, 0xffff, v72
	v_or_b32_e32 v9, 0x10000, v72
	s_delay_alu instid0(VALU_DEP_2) | instskip(NEXT) | instid1(VALU_DEP_2)
	v_cmp_eq_u32_e32 vcc_lo, 0, v8
	v_cndmask_b32_e32 v8, v9, v72, vcc_lo
; %bb.110:
	s_or_b32 exec_lo, exec_lo, s3
	s_delay_alu instid0(VALU_DEP_1)
	v_perm_b32 v7, v8, v7, 0x7060302
	v_perm_b32 v6, v6, v5, 0x7060302
	;; [unrolled: 1-line block ×4, first 2 shown]
	s_barrier
	buffer_gl0_inv
	v_cmp_eq_u32_e32 vcc_lo, 1, v78
	ds_store_b128 v76, v[4:7]
	s_waitcnt lgkmcnt(0)
	s_barrier
	buffer_gl0_inv
	ds_load_b128 v[1:4], v82
	ds_load_b128 v[5:8], v82 offset:16
	v_cmp_eq_u32_e64 s3, 1, v79
	v_cmp_eq_u32_e64 s4, 2, v78
	;; [unrolled: 1-line block ×5, first 2 shown]
	s_waitcnt lgkmcnt(1)
	v_lshrrev_b32_e32 v9, 16, v1
	s_waitcnt lgkmcnt(0)
	v_lshrrev_b32_e32 v13, 16, v5
	v_lshrrev_b32_e32 v10, 16, v2
	;; [unrolled: 1-line block ×4, first 2 shown]
	v_cndmask_b32_e64 v19, v1, v9, s3
	v_cndmask_b32_e32 v18, v5, v13, vcc_lo
	v_cndmask_b32_e64 v20, v5, v13, s3
	v_cndmask_b32_e32 v17, v1, v9, vcc_lo
	v_cmp_eq_u32_e32 vcc_lo, 2, v79
	v_lshrrev_b32_e32 v15, 16, v7
	v_cmp_eq_u32_e64 s3, 1, v77
	v_lshrrev_b32_e32 v12, 16, v4
	v_lshrrev_b32_e32 v16, 16, v8
	v_cndmask_b32_e32 v20, v20, v6, vcc_lo
	v_cndmask_b32_e64 v17, v17, v2, s4
	v_cndmask_b32_e32 v19, v19, v2, vcc_lo
	v_cndmask_b32_e64 v18, v18, v6, s4
	v_cmp_eq_u32_e32 vcc_lo, 4, v78
	v_cmp_eq_u32_e64 s4, 3, v79
	v_cndmask_b32_e64 v17, v17, v10, s5
	v_cndmask_b32_e64 v21, v1, v9, s3
	;; [unrolled: 1-line block ×5, first 2 shown]
	v_cndmask_b32_e32 v17, v17, v3, vcc_lo
	v_cndmask_b32_e64 v20, v20, v14, s4
	v_cndmask_b32_e32 v18, v18, v7, vcc_lo
	v_cmp_eq_u32_e32 vcc_lo, 4, v79
	v_cmp_eq_u32_e64 s4, 5, v79
	v_cmp_eq_u32_e64 s3, 2, v81
	v_cndmask_b32_e64 v21, v21, v2, s7
	v_cmp_eq_u32_e64 s5, 5, v78
	v_cndmask_b32_e32 v19, v19, v3, vcc_lo
	v_cndmask_b32_e32 v20, v20, v7, vcc_lo
	v_cmp_eq_u32_e32 vcc_lo, 6, v79
	s_delay_alu instid0(VALU_DEP_4) | instskip(NEXT) | instid1(VALU_DEP_4)
	v_cndmask_b32_e64 v17, v17, v11, s5
	v_cndmask_b32_e64 v19, v19, v11, s4
	s_delay_alu instid0(VALU_DEP_4) | instskip(SKIP_1) | instid1(VALU_DEP_3)
	v_cndmask_b32_e64 v20, v20, v15, s4
	v_cmp_eq_u32_e64 s4, 1, v81
	v_cndmask_b32_e32 v19, v19, v4, vcc_lo
	v_cndmask_b32_e64 v18, v18, v15, s5
	s_delay_alu instid0(VALU_DEP_3)
	v_cndmask_b32_e64 v1, v1, v9, s4
	v_cndmask_b32_e64 v5, v5, v13, s4
	v_cmp_eq_u32_e64 s4, 3, v77
	v_cndmask_b32_e64 v13, v22, v6, s7
	v_cmp_eq_u32_e64 s7, 3, v81
	v_cndmask_b32_e64 v1, v1, v2, s3
	v_cndmask_b32_e64 v2, v5, v6, s3
	;; [unrolled: 1-line block ×3, first 2 shown]
	v_cmp_eq_u32_e64 s3, 4, v77
	v_cndmask_b32_e64 v6, v13, v14, s4
	v_cndmask_b32_e64 v1, v1, v10, s7
	v_cmp_eq_u32_e64 s4, 4, v81
	v_cndmask_b32_e64 v2, v2, v14, s7
	v_cndmask_b32_e64 v5, v9, v3, s3
	;; [unrolled: 3-line block ×3, first 2 shown]
	v_cndmask_b32_e64 v2, v2, v7, s4
	v_cmp_eq_u32_e64 s3, 5, v81
	v_cmp_eq_u32_e64 s5, 6, v78
	v_cndmask_b32_e64 v5, v5, v11, s7
	v_cmp_eq_u32_e64 s4, 6, v77
	v_cndmask_b32_e64 v3, v6, v15, s7
	v_cndmask_b32_e64 v1, v1, v11, s3
	v_cmp_eq_u32_e64 s7, 6, v81
	v_cndmask_b32_e64 v2, v2, v15, s3
	v_cndmask_b32_e64 v17, v17, v4, s5
	v_cndmask_b32_e64 v18, v18, v8, s5
	v_cmp_eq_u32_e64 s5, 7, v78
	v_cndmask_b32_e64 v5, v5, v4, s4
	;; [unrolled: 4-line block ×3, first 2 shown]
	v_cmp_eq_u32_e64 s4, 7, v77
	v_cndmask_b32_e32 v4, v20, v8, vcc_lo
	v_cndmask_b32_e64 v17, v17, v12, s5
	v_cndmask_b32_e64 v19, v19, v12, s6
	;; [unrolled: 1-line block ×8, first 2 shown]
	v_cmp_gt_u32_e32 vcc_lo, 32, v0
	v_perm_b32 v4, v2, v1, 0x5040100
	v_perm_b32 v3, v3, v5, 0x5040100
	;; [unrolled: 1-line block ×4, first 2 shown]
	s_and_b32 s2, vcc_lo, s2
	ds_store_b128 v76, v[1:4]
	s_waitcnt lgkmcnt(0)
	s_barrier
	buffer_gl0_inv
	s_and_saveexec_b32 s3, s2
	s_cbranch_execz .LBB1719_2
; %bb.111:
	s_load_b64 s[0:1], s[0:1], 0x68
	s_lshl_b32 s4, s34, 6
	v_or_b32_e32 v2, s31, v74
	s_mul_i32 s2, s4, s30
	v_lshlrev_b32_e32 v0, 10, v0
	s_mul_i32 s2, s2, s8
	v_lshlrev_b32_e32 v1, 4, v75
	s_ashr_i32 s3, s2, 31
	v_mul_lo_u32 v20, v2, s4
	s_lshl_b64 s[2:3], s[2:3], 1
	v_lshlrev_b32_e32 v3, 6, v74
	v_and_b32_e32 v0, 0x3800, v0
	s_delay_alu instid0(VALU_DEP_1) | instskip(NEXT) | instid1(VALU_DEP_4)
	v_or3_b32 v16, v0, v1, v3
	v_ashrrev_i32_e32 v21, 31, v20
	ds_load_b128 v[0:3], v16
	ds_load_b128 v[4:7], v16 offset:128
	s_waitcnt lgkmcnt(0)
	s_add_u32 s2, s0, s2
	s_addc_u32 s3, s1, s3
	s_lshl_b32 s0, s14, 6
	ds_load_b128 v[8:11], v16 offset:256
	ds_load_b128 v[12:15], v16 offset:384
	;; [unrolled: 1-line block ×3, first 2 shown]
	s_ashr_i32 s1, s0, 31
	s_delay_alu instid0(SALU_CYCLE_1) | instskip(NEXT) | instid1(SALU_CYCLE_1)
	s_lshl_b64 s[0:1], s[0:1], 1
	s_add_u32 s0, s2, s0
	s_addc_u32 s1, s3, s1
	s_lshl_b32 s2, s34, 7
	v_add_co_u32 v30, s0, s0, v73
	v_add_nc_u32_e32 v22, s2, v20
	v_lshlrev_b64 v[20:21], 1, v[20:21]
	v_add_co_ci_u32_e64 v31, null, s1, 0, s0
	s_delay_alu instid0(VALU_DEP_3) | instskip(SKIP_1) | instid1(VALU_DEP_4)
	v_add_nc_u32_e32 v24, s2, v22
	v_ashrrev_i32_e32 v23, 31, v22
	v_add_co_u32 v20, vcc_lo, v30, v20
	s_delay_alu instid0(VALU_DEP_4) | instskip(NEXT) | instid1(VALU_DEP_4)
	v_add_co_ci_u32_e32 v21, vcc_lo, v31, v21, vcc_lo
	v_add_nc_u32_e32 v26, s2, v24
	v_ashrrev_i32_e32 v25, 31, v24
	v_lshlrev_b64 v[22:23], 1, v[22:23]
	s_delay_alu instid0(VALU_DEP_3) | instskip(SKIP_1) | instid1(VALU_DEP_4)
	v_add_nc_u32_e32 v28, s2, v26
	v_ashrrev_i32_e32 v27, 31, v26
	v_lshlrev_b64 v[24:25], 1, v[24:25]
	s_delay_alu instid0(VALU_DEP_4) | instskip(NEXT) | instid1(VALU_DEP_4)
	v_add_co_u32 v22, vcc_lo, v30, v22
	v_ashrrev_i32_e32 v29, 31, v28
	s_delay_alu instid0(VALU_DEP_4) | instskip(SKIP_2) | instid1(VALU_DEP_4)
	v_lshlrev_b64 v[26:27], 1, v[26:27]
	v_add_co_ci_u32_e32 v23, vcc_lo, v31, v23, vcc_lo
	v_add_co_u32 v24, vcc_lo, v30, v24
	v_lshlrev_b64 v[28:29], 1, v[28:29]
	v_add_co_ci_u32_e32 v25, vcc_lo, v31, v25, vcc_lo
	v_add_co_u32 v26, vcc_lo, v30, v26
	v_add_co_ci_u32_e32 v27, vcc_lo, v31, v27, vcc_lo
	s_delay_alu instid0(VALU_DEP_4)
	v_add_co_u32 v28, vcc_lo, v30, v28
	v_add_co_ci_u32_e32 v29, vcc_lo, v31, v29, vcc_lo
	s_clause 0x1
	global_store_b128 v[20:21], v[0:3], off
	global_store_b128 v[22:23], v[4:7], off
	s_waitcnt lgkmcnt(2)
	global_store_b128 v[24:25], v[8:11], off
	s_waitcnt lgkmcnt(1)
	;; [unrolled: 2-line block ×3, first 2 shown]
	global_store_b128 v[28:29], v[16:19], off
	s_nop 0
	s_sendmsg sendmsg(MSG_DEALLOC_VGPRS)
	s_endpgm
	.section	.rodata,"a",@progbits
	.p2align	6, 0x0
	.amdhsa_kernel _Z39paged_attention_ll4mi_QKV_mfma16_kernelI14__hip_bfloat16hLN4vllm18Fp8KVCacheDataTypeE1ES0_Li16ELi64ELi256ELb0ELi10EL8MFMAType0EEvPKT_PKT0_S9_ifPKiSB_SB_iPKfiiiPfSE_PS4_PT2_iSD_SD_
		.amdhsa_group_segment_fixed_size 17472
		.amdhsa_private_segment_fixed_size 0
		.amdhsa_kernarg_size 400
		.amdhsa_user_sgpr_count 13
		.amdhsa_user_sgpr_dispatch_ptr 0
		.amdhsa_user_sgpr_queue_ptr 0
		.amdhsa_user_sgpr_kernarg_segment_ptr 1
		.amdhsa_user_sgpr_dispatch_id 0
		.amdhsa_user_sgpr_private_segment_size 0
		.amdhsa_wavefront_size32 1
		.amdhsa_uses_dynamic_stack 0
		.amdhsa_enable_private_segment 0
		.amdhsa_system_sgpr_workgroup_id_x 1
		.amdhsa_system_sgpr_workgroup_id_y 1
		.amdhsa_system_sgpr_workgroup_id_z 1
		.amdhsa_system_sgpr_workgroup_info 0
		.amdhsa_system_vgpr_workitem_id 0
		.amdhsa_next_free_vgpr 124
		.amdhsa_next_free_sgpr 38
		.amdhsa_reserve_vcc 1
		.amdhsa_float_round_mode_32 0
		.amdhsa_float_round_mode_16_64 0
		.amdhsa_float_denorm_mode_32 3
		.amdhsa_float_denorm_mode_16_64 3
		.amdhsa_dx10_clamp 1
		.amdhsa_ieee_mode 1
		.amdhsa_fp16_overflow 0
		.amdhsa_workgroup_processor_mode 1
		.amdhsa_memory_ordered 1
		.amdhsa_forward_progress 0
		.amdhsa_shared_vgpr_count 0
		.amdhsa_exception_fp_ieee_invalid_op 0
		.amdhsa_exception_fp_denorm_src 0
		.amdhsa_exception_fp_ieee_div_zero 0
		.amdhsa_exception_fp_ieee_overflow 0
		.amdhsa_exception_fp_ieee_underflow 0
		.amdhsa_exception_fp_ieee_inexact 0
		.amdhsa_exception_int_div_zero 0
	.end_amdhsa_kernel
	.section	.text._Z39paged_attention_ll4mi_QKV_mfma16_kernelI14__hip_bfloat16hLN4vllm18Fp8KVCacheDataTypeE1ES0_Li16ELi64ELi256ELb0ELi10EL8MFMAType0EEvPKT_PKT0_S9_ifPKiSB_SB_iPKfiiiPfSE_PS4_PT2_iSD_SD_,"axG",@progbits,_Z39paged_attention_ll4mi_QKV_mfma16_kernelI14__hip_bfloat16hLN4vllm18Fp8KVCacheDataTypeE1ES0_Li16ELi64ELi256ELb0ELi10EL8MFMAType0EEvPKT_PKT0_S9_ifPKiSB_SB_iPKfiiiPfSE_PS4_PT2_iSD_SD_,comdat
.Lfunc_end1719:
	.size	_Z39paged_attention_ll4mi_QKV_mfma16_kernelI14__hip_bfloat16hLN4vllm18Fp8KVCacheDataTypeE1ES0_Li16ELi64ELi256ELb0ELi10EL8MFMAType0EEvPKT_PKT0_S9_ifPKiSB_SB_iPKfiiiPfSE_PS4_PT2_iSD_SD_, .Lfunc_end1719-_Z39paged_attention_ll4mi_QKV_mfma16_kernelI14__hip_bfloat16hLN4vllm18Fp8KVCacheDataTypeE1ES0_Li16ELi64ELi256ELb0ELi10EL8MFMAType0EEvPKT_PKT0_S9_ifPKiSB_SB_iPKfiiiPfSE_PS4_PT2_iSD_SD_
                                        ; -- End function
	.section	.AMDGPU.csdata,"",@progbits
; Kernel info:
; codeLenInByte = 8760
; NumSgprs: 40
; NumVgprs: 124
; ScratchSize: 0
; MemoryBound: 0
; FloatMode: 240
; IeeeMode: 1
; LDSByteSize: 17472 bytes/workgroup (compile time only)
; SGPRBlocks: 4
; VGPRBlocks: 15
; NumSGPRsForWavesPerEU: 40
; NumVGPRsForWavesPerEU: 124
; Occupancy: 10
; WaveLimiterHint : 1
; COMPUTE_PGM_RSRC2:SCRATCH_EN: 0
; COMPUTE_PGM_RSRC2:USER_SGPR: 13
; COMPUTE_PGM_RSRC2:TRAP_HANDLER: 0
; COMPUTE_PGM_RSRC2:TGID_X_EN: 1
; COMPUTE_PGM_RSRC2:TGID_Y_EN: 1
; COMPUTE_PGM_RSRC2:TGID_Z_EN: 1
; COMPUTE_PGM_RSRC2:TIDIG_COMP_CNT: 0
	.section	.text._Z39paged_attention_ll4mi_QKV_mfma16_kernelI14__hip_bfloat16hLN4vllm18Fp8KVCacheDataTypeE1ES0_Li16ELi64ELi256ELb0ELi11EL8MFMAType0EEvPKT_PKT0_S9_ifPKiSB_SB_iPKfiiiPfSE_PS4_PT2_iSD_SD_,"axG",@progbits,_Z39paged_attention_ll4mi_QKV_mfma16_kernelI14__hip_bfloat16hLN4vllm18Fp8KVCacheDataTypeE1ES0_Li16ELi64ELi256ELb0ELi11EL8MFMAType0EEvPKT_PKT0_S9_ifPKiSB_SB_iPKfiiiPfSE_PS4_PT2_iSD_SD_,comdat
	.protected	_Z39paged_attention_ll4mi_QKV_mfma16_kernelI14__hip_bfloat16hLN4vllm18Fp8KVCacheDataTypeE1ES0_Li16ELi64ELi256ELb0ELi11EL8MFMAType0EEvPKT_PKT0_S9_ifPKiSB_SB_iPKfiiiPfSE_PS4_PT2_iSD_SD_ ; -- Begin function _Z39paged_attention_ll4mi_QKV_mfma16_kernelI14__hip_bfloat16hLN4vllm18Fp8KVCacheDataTypeE1ES0_Li16ELi64ELi256ELb0ELi11EL8MFMAType0EEvPKT_PKT0_S9_ifPKiSB_SB_iPKfiiiPfSE_PS4_PT2_iSD_SD_
	.globl	_Z39paged_attention_ll4mi_QKV_mfma16_kernelI14__hip_bfloat16hLN4vllm18Fp8KVCacheDataTypeE1ES0_Li16ELi64ELi256ELb0ELi11EL8MFMAType0EEvPKT_PKT0_S9_ifPKiSB_SB_iPKfiiiPfSE_PS4_PT2_iSD_SD_
	.p2align	8
	.type	_Z39paged_attention_ll4mi_QKV_mfma16_kernelI14__hip_bfloat16hLN4vllm18Fp8KVCacheDataTypeE1ES0_Li16ELi64ELi256ELb0ELi11EL8MFMAType0EEvPKT_PKT0_S9_ifPKiSB_SB_iPKfiiiPfSE_PS4_PT2_iSD_SD_,@function
_Z39paged_attention_ll4mi_QKV_mfma16_kernelI14__hip_bfloat16hLN4vllm18Fp8KVCacheDataTypeE1ES0_Li16ELi64ELi256ELb0ELi11EL8MFMAType0EEvPKT_PKT0_S9_ifPKiSB_SB_iPKfiiiPfSE_PS4_PT2_iSD_SD_: ; @_Z39paged_attention_ll4mi_QKV_mfma16_kernelI14__hip_bfloat16hLN4vllm18Fp8KVCacheDataTypeE1ES0_Li16ELi64ELi256ELb0ELi11EL8MFMAType0EEvPKT_PKT0_S9_ifPKiSB_SB_iPKfiiiPfSE_PS4_PT2_iSD_SD_
; %bb.0:
	s_load_b64 s[2:3], s[0:1], 0x30
	s_mov_b32 s34, s13
	s_waitcnt lgkmcnt(0)
	s_cmp_lg_u64 s[2:3], 0
	s_cselect_b32 s8, -1, 0
	s_ashr_i32 s35, s13, 31
	s_cmp_eq_u64 s[2:3], 0
	s_cbranch_scc1 .LBB1720_3
; %bb.1:
	s_lshl_b64 s[4:5], s[34:35], 2
	s_delay_alu instid0(SALU_CYCLE_1) | instskip(SKIP_4) | instid1(SALU_CYCLE_1)
	s_add_u32 s4, s2, s4
	s_addc_u32 s5, s3, s5
	s_load_b64 s[4:5], s[4:5], 0x0
	s_waitcnt lgkmcnt(0)
	s_sub_i32 s4, s5, s4
	s_cmp_eq_u32 s4, 1
	s_cselect_b32 s4, -1, 0
	s_delay_alu instid0(SALU_CYCLE_1)
	s_and_not1_b32 vcc_lo, exec_lo, s4
	s_cbranch_vccz .LBB1720_4
.LBB1720_2:
	s_nop 0
	s_sendmsg sendmsg(MSG_DEALLOC_VGPRS)
	s_endpgm
.LBB1720_3:
.LBB1720_4:
	s_load_b64 s[4:5], s[0:1], 0x28
	s_lshl_b64 s[6:7], s[34:35], 2
	s_waitcnt lgkmcnt(0)
	s_add_u32 s4, s4, s6
	s_addc_u32 s5, s5, s7
	s_lshl_b32 s12, s14, 8
	s_load_b32 s24, s[4:5], 0x0
	s_waitcnt lgkmcnt(0)
	s_cmp_ge_i32 s12, s24
	s_cbranch_scc1 .LBB1720_2
; %bb.5:
	s_clause 0x1
	s_load_b128 s[20:23], s[0:1], 0x8
	s_load_b64 s[4:5], s[0:1], 0x20
	s_and_not1_b32 vcc_lo, exec_lo, s8
	s_cbranch_vccnz .LBB1720_7
; %bb.6:
	s_add_u32 s2, s2, s6
	s_addc_u32 s3, s3, s7
	s_load_b32 s3, s[2:3], 0x0
	s_branch .LBB1720_8
.LBB1720_7:
	s_mov_b32 s3, s34
.LBB1720_8:
	s_load_b128 s[16:19], s[0:1], 0x48
	v_lshrrev_b32_e32 v66, 5, v0
	v_bfe_u32 v74, v0, 4, 1
	v_and_b32_e32 v65, 15, v0
	v_and_b32_e32 v67, 31, v0
	;; [unrolled: 1-line block ×3, first 2 shown]
	s_mul_i32 s31, s15, 11
	v_lshl_or_b32 v1, v66, 1, v74
	v_lshlrev_b32_e32 v2, 3, v65
	v_cmp_gt_u32_e64 s2, 8, v65
	s_delay_alu instid0(VALU_DEP_3) | instskip(NEXT) | instid1(VALU_DEP_3)
	v_cmp_gt_u32_e32 vcc_lo, 11, v1
	v_lshlrev_b32_e32 v73, 1, v2
	s_delay_alu instid0(VALU_DEP_3) | instskip(NEXT) | instid1(SALU_CYCLE_1)
	s_and_b32 s7, s2, vcc_lo
	s_and_saveexec_b32 s6, s7
	s_cbranch_execz .LBB1720_10
; %bb.9:
	s_load_b64 s[8:9], s[0:1], 0x0
	v_add_lshl_u32 v2, v1, s31, 6
	s_waitcnt lgkmcnt(0)
	s_mul_hi_i32 s11, s3, s16
	s_mul_i32 s10, s3, s16
	v_lshlrev_b32_e32 v6, 10, v65
	s_lshl_b64 s[10:11], s[10:11], 1
	v_ashrrev_i32_e32 v3, 31, v2
	v_lshlrev_b32_e32 v1, 6, v1
	v_lshlrev_b32_e32 v7, 10, v75
	v_and_b32_e32 v6, 0x3800, v6
	s_delay_alu instid0(VALU_DEP_4) | instskip(NEXT) | instid1(VALU_DEP_2)
	v_lshlrev_b64 v[2:3], 1, v[2:3]
	v_or3_b32 v1, v6, v7, v1
	s_add_u32 s3, s8, s10
	s_addc_u32 s7, s9, s11
	s_delay_alu instid0(VALU_DEP_2) | instskip(NEXT) | instid1(VALU_DEP_3)
	v_add_co_u32 v2, vcc_lo, s3, v2
	v_add_co_ci_u32_e32 v3, vcc_lo, s7, v3, vcc_lo
	s_delay_alu instid0(VALU_DEP_2) | instskip(NEXT) | instid1(VALU_DEP_2)
	v_add_co_u32 v2, vcc_lo, v2, v73
	v_add_co_ci_u32_e32 v3, vcc_lo, 0, v3, vcc_lo
	global_load_b128 v[2:5], v[2:3], off
	s_waitcnt vmcnt(0)
	ds_store_b128 v1, v[2:5]
.LBB1720_10:
	s_or_b32 exec_lo, exec_lo, s6
	v_and_b32_e32 v1, 0xef, v0
	s_waitcnt lgkmcnt(0)
	s_add_i32 s3, s24, 15
	s_clause 0x1
	s_load_b32 s6, s[0:1], 0x38
	s_load_b32 s19, s[0:1], 0x1c
	s_ashr_i32 s7, s3, 31
	v_add_nc_u32_e32 v1, s12, v1
	s_lshr_b32 s7, s7, 28
	s_waitcnt lgkmcnt(0)
	s_add_i32 s3, s3, s7
	s_barrier
	v_ashrrev_i32_e32 v2, 31, v1
	v_or_b32_e32 v3, 16, v1
	s_ashr_i32 s3, s3, 4
	v_cmp_gt_i32_e32 vcc_lo, s24, v1
	s_add_i32 s3, s3, -1
	v_lshrrev_b32_e32 v2, 28, v2
	buffer_gl0_inv
	s_mul_i32 s27, s15, s18
	v_add_nc_u32_e32 v4, v1, v2
	s_mul_i32 s6, s34, s6
	s_delay_alu instid0(SALU_CYCLE_1) | instskip(NEXT) | instid1(VALU_DEP_1)
	s_ashr_i32 s7, s6, 31
	v_ashrrev_i32_e32 v4, 4, v4
	v_add_nc_u32_e32 v2, v3, v2
	s_lshl_b64 s[6:7], s[6:7], 2
	s_delay_alu instid0(SALU_CYCLE_1) | instskip(NEXT) | instid1(VALU_DEP_2)
	s_add_u32 s26, s4, s6
	v_cndmask_b32_e32 v1, s3, v4, vcc_lo
	s_delay_alu instid0(VALU_DEP_2)
	v_ashrrev_i32_e32 v2, 4, v2
	v_cmp_gt_i32_e32 vcc_lo, s24, v3
	s_addc_u32 s25, s5, s7
	s_ashr_i32 s28, s27, 31
	s_add_u32 s13, s20, s27
	s_addc_u32 s15, s21, s28
	v_cndmask_b32_e32 v3, s3, v2, vcc_lo
	v_ashrrev_i32_e32 v2, 31, v1
	s_lshl_b32 s4, s14, 4
	s_delay_alu instid0(SALU_CYCLE_1) | instskip(NEXT) | instid1(VALU_DEP_2)
	s_ashr_i32 s5, s4, 31
	v_ashrrev_i32_e32 v4, 31, v3
	s_delay_alu instid0(VALU_DEP_2) | instskip(SKIP_1) | instid1(SALU_CYCLE_1)
	v_lshlrev_b64 v[1:2], 2, v[1:2]
	s_lshl_b64 s[4:5], s[4:5], 2
	s_add_u32 s4, s26, s4
	s_delay_alu instid0(VALU_DEP_2) | instskip(SKIP_1) | instid1(VALU_DEP_2)
	v_lshlrev_b64 v[3:4], 2, v[3:4]
	s_addc_u32 s5, s25, s5
	v_add_co_u32 v1, vcc_lo, s26, v1
	v_add_co_ci_u32_e32 v2, vcc_lo, s25, v2, vcc_lo
	s_delay_alu instid0(VALU_DEP_3) | instskip(NEXT) | instid1(VALU_DEP_4)
	v_add_co_u32 v3, vcc_lo, s26, v3
	v_add_co_ci_u32_e32 v4, vcc_lo, s25, v4, vcc_lo
	s_clause 0x1
	global_load_b32 v5, v[1:2], off
	global_load_b32 v7, v[3:4], off
	s_or_b32 s6, s12, 32
	v_lshlrev_b32_e32 v1, 4, v0
	s_ashr_i32 s7, s6, 4
	s_cmp_lt_i32 s6, s24
	v_cmp_gt_u32_e32 vcc_lo, 11, v65
	s_cselect_b32 s6, s7, s3
	v_and_b32_e32 v1, 0xf0, v1
	s_ashr_i32 s7, s6, 31
	s_delay_alu instid0(SALU_CYCLE_1) | instskip(NEXT) | instid1(SALU_CYCLE_1)
	s_lshl_b64 s[6:7], s[6:7], 2
	s_add_u32 s6, s26, s6
	s_addc_u32 s7, s25, s7
	s_or_b32 s8, s12, 64
	v_add_co_u32 v1, s13, s13, v1
	s_ashr_i32 s9, s8, 4
	s_cmp_lt_i32 s8, s24
	v_add_co_ci_u32_e64 v2, null, s15, 0, s13
	s_cselect_b32 s8, s9, s3
	s_delay_alu instid0(SALU_CYCLE_1) | instskip(NEXT) | instid1(SALU_CYCLE_1)
	s_ashr_i32 s9, s8, 31
	s_lshl_b64 s[8:9], s[8:9], 2
	s_delay_alu instid0(SALU_CYCLE_1) | instskip(SKIP_2) | instid1(SALU_CYCLE_1)
	s_add_u32 s8, s26, s8
	s_addc_u32 s9, s25, s9
	s_or_b32 s10, s12, 0x60
	s_ashr_i32 s11, s10, 4
	s_cmp_lt_i32 s10, s24
	s_cselect_b32 s10, s11, s3
	s_delay_alu instid0(SALU_CYCLE_1) | instskip(NEXT) | instid1(SALU_CYCLE_1)
	s_ashr_i32 s11, s10, 31
	s_lshl_b64 s[10:11], s[10:11], 2
	s_delay_alu instid0(SALU_CYCLE_1) | instskip(SKIP_2) | instid1(SALU_CYCLE_1)
	s_add_u32 s10, s26, s10
	s_addc_u32 s11, s25, s11
	s_or_b32 s16, s12, 0x80
	s_ashr_i32 s18, s16, 4
	s_cmp_lt_i32 s16, s24
	;; [unrolled: 10-line block ×3, first 2 shown]
	s_cselect_b32 s20, s18, s3
	s_delay_alu instid0(SALU_CYCLE_1) | instskip(NEXT) | instid1(SALU_CYCLE_1)
	s_ashr_i32 s21, s20, 31
	s_lshl_b64 s[20:21], s[20:21], 2
	s_delay_alu instid0(SALU_CYCLE_1)
	s_add_u32 s38, s26, s20
	s_addc_u32 s39, s25, s21
	s_clause 0x5
	s_load_b32 s21, s[4:5], 0x0
	s_load_b32 s13, s[6:7], 0x0
	;; [unrolled: 1-line block ×6, first 2 shown]
	s_or_b32 s8, s12, 0xc0
	s_mov_b32 s4, 0
	s_ashr_i32 s9, s8, 4
	s_cmp_lt_i32 s8, s24
	s_mov_b32 s11, s4
	s_cselect_b32 s36, s9, s3
	s_mov_b32 s5, s4
	s_ashr_i32 s37, s36, 31
	s_mov_b32 s6, s4
	s_lshl_b64 s[36:37], s[36:37], 2
	s_mov_b32 s7, s4
	s_add_u32 s36, s26, s36
	s_addc_u32 s37, s25, s37
	s_or_b32 s29, s12, 0xe0
	s_mov_b32 s8, s4
	s_ashr_i32 s30, s29, 4
	s_mov_b32 s9, s4
	s_mov_b32 s10, s4
	s_cmp_lt_i32 s29, s24
	v_dual_mov_b32 v107, s11 :: v_dual_mov_b32 v100, s4
	v_mov_b32_e32 v106, s10
	v_dual_mov_b32 v104, s8 :: v_dual_mov_b32 v103, s7
	v_dual_mov_b32 v102, s6 :: v_dual_mov_b32 v101, s5
	s_waitcnt vmcnt(1)
	v_mad_i64_i32 v[3:4], null, v5, s17, v[1:2]
	s_waitcnt vmcnt(0)
	v_mad_i64_i32 v[5:6], null, v7, s17, v[1:2]
	v_add_nc_u32_e32 v1, -11, v65
	v_lshlrev_b32_e32 v2, 4, v65
	s_clause 0x7
	global_load_b128 v[49:52], v[3:4], off
	global_load_b128 v[53:56], v[3:4], off offset:256
	global_load_b128 v[76:79], v[5:6], off
	global_load_b128 v[80:83], v[5:6], off offset:256
	global_load_b128 v[84:87], v[3:4], off offset:512
	;; [unrolled: 1-line block ×5, first 2 shown]
	v_cndmask_b32_e32 v1, v1, v65, vcc_lo
	v_mov_b32_e32 v105, s9
	s_cselect_b32 s4, s30, s3
	v_lshl_or_b32 v2, v66, 8, v2
	s_ashr_i32 s5, s4, 31
	v_lshlrev_b32_e32 v70, 6, v1
	s_lshl_b64 s[4:5], s[4:5], 2
	s_load_b32 s3, s[36:37], 0x0
	s_add_u32 s4, s26, s4
	s_addc_u32 s5, s25, s5
	ds_load_b128 v[108:111], v70
	ds_load_b128 v[112:115], v70 offset:1024
	s_load_b32 s4, s[4:5], 0x0
	s_add_u32 s6, s22, s27
	s_addc_u32 s7, s23, s28
	v_add_co_u32 v9, s6, s6, v2
	s_delay_alu instid0(VALU_DEP_1) | instskip(SKIP_1) | instid1(VALU_DEP_1)
	v_add_co_ci_u32_e64 v10, null, s7, 0, s6
	s_waitcnt lgkmcnt(0)
	v_mad_i64_i32 v[1:2], null, s21, s17, v[9:10]
	v_mad_i64_i32 v[3:4], null, s13, s17, v[9:10]
	;; [unrolled: 1-line block ×7, first 2 shown]
	s_clause 0x9
	global_load_b128 v[57:60], v[1:2], off
	global_load_b128 v[61:64], v[1:2], off offset:16
	global_load_b128 v[41:44], v[3:4], off
	global_load_b128 v[45:48], v[3:4], off offset:16
	;; [unrolled: 2-line block ×5, first 2 shown]
	v_mad_i64_i32 v[68:69], null, s4, s17, v[9:10]
	s_clause 0x3
	global_load_b128 v[9:12], v[13:14], off
	global_load_b128 v[13:16], v[13:14], off offset:16
	global_load_b128 v[17:20], v[21:22], off
	global_load_b128 v[21:24], v[21:22], off offset:16
	s_waitcnt vmcnt(20)
	v_wmma_f32_16x16x16_bf16 v[116:123], v[49:56], v[108:115], v[100:107]
	s_clause 0x1
	global_load_b128 v[49:52], v[68:69], off
	global_load_b128 v[53:56], v[68:69], off offset:16
	v_and_b32_e32 v68, 0xe0, v0
	v_mbcnt_lo_u32_b32 v69, -1, 0
	s_delay_alu instid0(VALU_DEP_2)
	v_add_nc_u32_e32 v68, s12, v68
	s_waitcnt vmcnt(20)
	v_wmma_f32_16x16x16_bf16 v[100:107], v[76:83], v[108:115], v[100:107]
	ds_load_b128 v[76:79], v70 offset:2048
	ds_load_b128 v[80:83], v70 offset:3072
	v_xor_b32_e32 v70, 16, v69
	s_waitcnt vmcnt(0) lgkmcnt(0)
	v_or_b32_e32 v68, v68, v74
	s_barrier
	buffer_gl0_inv
	v_cmp_gt_i32_e32 vcc_lo, 32, v70
	v_or_b32_e32 v71, 4, v68
	v_or_b32_e32 v72, 6, v68
	v_cmp_gt_i32_e64 s3, s24, v68
	v_or_b32_e32 v108, 8, v68
	v_or_b32_e32 v109, 10, v68
	v_cmp_gt_i32_e64 s4, s24, v71
	v_cmp_gt_i32_e64 s5, s24, v72
	s_delay_alu instid0(VALU_DEP_4) | instskip(NEXT) | instid1(VALU_DEP_4)
	v_cmp_gt_i32_e64 s6, s24, v108
	v_cmp_gt_i32_e64 s7, s24, v109
	v_wmma_f32_16x16x16_bf16 v[116:123], v[84:91], v[76:83], v[116:123]
	v_cndmask_b32_e32 v69, v69, v70, vcc_lo
	v_or_b32_e32 v70, 2, v68
	v_wmma_f32_16x16x16_bf16 v[100:107], v[92:99], v[76:83], v[100:107]
	v_or_b32_e32 v89, 22, v68
	v_dual_mul_f32 v82, s19, v119 :: v_dual_mul_f32 v79, s19, v122
	v_dual_mul_f32 v92, s19, v117 :: v_dual_mul_f32 v93, s19, v116
	s_delay_alu instid0(VALU_DEP_4) | instskip(SKIP_2) | instid1(VALU_DEP_4)
	v_mul_f32_e32 v98, s19, v103
	v_cmp_gt_i32_e32 vcc_lo, s24, v70
	v_dual_mul_f32 v83, s19, v118 :: v_dual_mul_f32 v96, s19, v105
	v_cndmask_b32_e64 v93, 0xff7fffff, v93, s3
	v_or_b32_e32 v84, 12, v68
	v_cndmask_b32_e32 v92, 0xff7fffff, v92, vcc_lo
	v_or_b32_e32 v85, 14, v68
	v_dual_mul_f32 v80, s19, v121 :: v_dual_mul_f32 v81, s19, v120
	v_mul_f32_e32 v94, s19, v107
	v_cndmask_b32_e64 v71, 0xff7fffff, v83, s4
	v_cndmask_b32_e64 v72, 0xff7fffff, v82, s5
	v_cmp_gt_i32_e64 s13, s24, v89
	v_lshlrev_b32_e32 v89, 2, v69
	v_max3_f32 v82, v93, 0xff7fffff, v92
	v_or_b32_e32 v86, 16, v68
	v_or_b32_e32 v87, 18, v68
	v_mul_f32_e32 v78, s19, v123
	v_cndmask_b32_e64 v81, 0xff7fffff, v81, s6
	v_cndmask_b32_e64 v80, 0xff7fffff, v80, s7
	v_max3_f32 v71, v82, v71, v72
	v_cmp_gt_i32_e64 s8, s24, v84
	v_cmp_gt_i32_e64 s9, s24, v85
	v_or_b32_e32 v88, 20, v68
	v_or_b32_e32 v90, 24, v68
	;; [unrolled: 1-line block ×5, first 2 shown]
	v_dual_mul_f32 v95, s19, v106 :: v_dual_mul_f32 v70, s19, v101
	v_dual_mul_f32 v99, s19, v102 :: v_dual_mul_f32 v68, s19, v100
	v_cndmask_b32_e64 v72, 0xff7fffff, v79, s8
	v_cndmask_b32_e64 v78, 0xff7fffff, v78, s9
	v_max3_f32 v71, v71, v81, v80
	v_cmp_gt_i32_e64 s10, s24, v86
	v_cmp_gt_i32_e64 s11, s24, v87
	;; [unrolled: 1-line block ×3, first 2 shown]
	v_mul_f32_e32 v97, s19, v104
	v_max3_f32 v71, v71, v72, v78
	v_cndmask_b32_e64 v68, 0xff7fffff, v68, s10
	v_cndmask_b32_e64 v70, 0xff7fffff, v70, s11
	;; [unrolled: 1-line block ×4, first 2 shown]
	v_cmp_gt_i32_e64 s15, s24, v90
	v_cmp_gt_i32_e64 s16, s24, v91
	v_max3_f32 v68, v71, v68, v70
	v_cmp_gt_i32_e64 s17, s24, v76
	v_cmp_gt_i32_e64 s18, s24, v77
	v_cndmask_b32_e64 v70, 0xff7fffff, v97, s15
	v_cndmask_b32_e64 v71, 0xff7fffff, v96, s16
	v_max3_f32 v68, v68, v72, v78
	v_cndmask_b32_e64 v72, 0xff7fffff, v95, s17
	v_cndmask_b32_e64 v76, 0xff7fffff, v94, s18
	s_delay_alu instid0(VALU_DEP_3) | instskip(NEXT) | instid1(VALU_DEP_1)
	v_max3_f32 v68, v68, v70, v71
	v_max3_f32 v68, v68, v72, v76
	ds_bpermute_b32 v69, v89, v68
	s_waitcnt lgkmcnt(0)
	v_max_f32_e32 v69, v69, v69
	s_delay_alu instid0(VALU_DEP_1) | instskip(NEXT) | instid1(VALU_DEP_1)
	v_max_f32_e32 v68, v68, v69
	v_fma_f32 v69, s19, v116, -v68
	v_fma_f32 v70, s19, v117, -v68
	;; [unrolled: 1-line block ×5, first 2 shown]
	s_delay_alu instid0(VALU_DEP_4) | instskip(NEXT) | instid1(VALU_DEP_4)
	v_dual_mul_f32 v69, 0x3fb8aa3b, v69 :: v_dual_mul_f32 v70, 0x3fb8aa3b, v70
	v_mul_f32_e32 v72, 0x3fb8aa3b, v72
	v_fma_f32 v78, s19, v122, -v68
	s_delay_alu instid0(VALU_DEP_4) | instskip(NEXT) | instid1(VALU_DEP_4)
	v_mul_f32_e32 v77, 0x3fb8aa3b, v76
	v_exp_f32_e32 v69, v69
	v_exp_f32_e32 v70, v70
	v_mul_f32_e32 v71, 0x3fb8aa3b, v71
	v_exp_f32_e32 v72, v72
	v_mul_f32_e32 v78, 0x3fb8aa3b, v78
	v_exp_f32_e32 v77, v77
	v_fma_f32 v81, s19, v105, -v68
	s_delay_alu instid0(VALU_DEP_2)
	v_exp_f32_e32 v78, v78
	v_cndmask_b32_e64 v80, 0, v69, s3
	v_cndmask_b32_e32 v76, 0, v70, vcc_lo
	v_exp_f32_e32 v71, v71
	v_fma_f32 v69, s19, v121, -v68
	v_cndmask_b32_e64 v85, 0, v72, s5
	v_add_f32_e32 v70, 0, v80
	s_delay_alu instid0(TRANS32_DEP_3)
	v_cndmask_b32_e64 v86, 0, v77, s6
	v_fma_f32 v77, s19, v101, -v68
	v_mul_f32_e32 v69, 0x3fb8aa3b, v69
	v_fma_f32 v72, s19, v100, -v68
	v_cndmask_b32_e64 v84, 0, v78, s8
	v_fma_f32 v78, s19, v103, -v68
	v_cndmask_b32_e64 v83, 0, v71, s4
	v_fma_f32 v71, s19, v123, -v68
	v_add_f32_e32 v70, v70, v76
	v_exp_f32_e32 v69, v69
	v_mul_f32_e32 v77, 0x3fb8aa3b, v77
	v_mul_f32_e32 v81, 0x3fb8aa3b, v81
	v_mul_f32_e32 v71, 0x3fb8aa3b, v71
	v_add_f32_e32 v70, v70, v83
	v_cmp_gt_u32_e64 s3, 16, v67
	v_exp_f32_e32 v77, v77
	v_exp_f32_e32 v81, v81
	v_exp_f32_e32 v71, v71
	v_cndmask_b32_e64 v87, 0, v69, s7
	v_add_f32_e32 v70, v70, v85
	s_delay_alu instid0(VALU_DEP_1) | instskip(SKIP_1) | instid1(VALU_DEP_2)
	v_dual_mul_f32 v72, 0x3fb8aa3b, v72 :: v_dual_add_f32 v69, v70, v86
	v_fma_f32 v70, s19, v102, -v68
	v_exp_f32_e32 v72, v72
	s_waitcnt_depctr 0xfff
	v_cndmask_b32_e64 v88, 0, v71, s9
	v_fma_f32 v71, s19, v104, -v68
	v_dual_add_f32 v69, v69, v87 :: v_dual_mul_f32 v70, 0x3fb8aa3b, v70
	s_delay_alu instid0(VALU_DEP_2) | instskip(NEXT) | instid1(VALU_DEP_2)
	v_dual_mul_f32 v78, 0x3fb8aa3b, v78 :: v_dual_mul_f32 v71, 0x3fb8aa3b, v71
	v_add_f32_e32 v69, v69, v84
	s_delay_alu instid0(VALU_DEP_3) | instskip(SKIP_1) | instid1(VALU_DEP_3)
	v_exp_f32_e32 v79, v70
	v_cndmask_b32_e64 v70, 0, v72, s10
	v_exp_f32_e32 v78, v78
	v_exp_f32_e32 v82, v71
	v_add_f32_e32 v72, v69, v88
	v_cndmask_b32_e64 v69, 0, v77, s11
	v_fma_f32 v77, s19, v106, -v68
	s_delay_alu instid0(VALU_DEP_3) | instskip(NEXT) | instid1(TRANS32_DEP_3)
	v_add_f32_e32 v72, v72, v70
	v_cndmask_b32_e64 v71, 0, v79, s12
	s_delay_alu instid0(VALU_DEP_3) | instskip(NEXT) | instid1(VALU_DEP_3)
	v_mul_f32_e32 v77, 0x3fb8aa3b, v77
	v_add_f32_e32 v79, v72, v69
	s_delay_alu instid0(TRANS32_DEP_2) | instskip(NEXT) | instid1(VALU_DEP_3)
	v_cndmask_b32_e64 v72, 0, v78, s13
	v_exp_f32_e32 v90, v77
	v_cndmask_b32_e64 v77, 0, v82, s15
	s_delay_alu instid0(VALU_DEP_3) | instskip(SKIP_1) | instid1(VALU_DEP_1)
	v_add_f32_e32 v78, v79, v71
	v_fma_f32 v79, s19, v107, -v68
	v_dual_add_f32 v82, v78, v72 :: v_dual_mul_f32 v79, 0x3fb8aa3b, v79
	v_cndmask_b32_e64 v78, 0, v81, s16
	s_delay_alu instid0(VALU_DEP_2) | instskip(NEXT) | instid1(VALU_DEP_3)
	v_add_f32_e32 v81, v82, v77
	v_exp_f32_e32 v82, v79
	s_delay_alu instid0(TRANS32_DEP_2) | instskip(NEXT) | instid1(VALU_DEP_2)
	v_cndmask_b32_e64 v79, 0, v90, s17
	v_add_f32_e32 v81, v81, v78
	s_delay_alu instid0(VALU_DEP_1) | instskip(SKIP_2) | instid1(VALU_DEP_1)
	v_add_f32_e32 v90, v81, v79
	s_waitcnt_depctr 0xfff
	v_cndmask_b32_e64 v81, 0, v82, s18
	v_add_f32_e32 v82, v90, v81
	ds_bpermute_b32 v89, v89, v82
	s_and_saveexec_b32 s4, s3
	s_cbranch_execz .LBB1720_12
; %bb.11:
	v_mul_u32_u24_e32 v67, 0x44, v66
	s_delay_alu instid0(VALU_DEP_1) | instskip(SKIP_1) | instid1(VALU_DEP_1)
	v_lshl_add_u32 v67, v65, 2, v67
	s_waitcnt lgkmcnt(0)
	v_dual_add_f32 v82, v82, v89 :: v_dual_add_nc_u32 v67, 0x4000, v67
	ds_store_2addr_b32 v67, v68, v82 offset1:136
.LBB1720_12:
	s_or_b32 exec_lo, exec_lo, s4
	v_lshlrev_b32_e32 v67, 2, v65
	s_waitcnt lgkmcnt(0)
	s_barrier
	buffer_gl0_inv
	v_cmp_eq_u32_e32 vcc_lo, 1, v66
	v_add_nc_u32_e32 v82, 0x4000, v67
	v_cmp_eq_u32_e64 s4, 2, v66
	v_cmp_eq_u32_e64 s6, 7, v66
	ds_load_2addr_b32 v[89:90], v82 offset1:17
	ds_load_2addr_b32 v[91:92], v82 offset0:34 offset1:51
	ds_load_2addr_b32 v[93:94], v82 offset0:68 offset1:85
	;; [unrolled: 1-line block ×4, first 2 shown]
	s_waitcnt lgkmcnt(4)
	v_max3_f32 v67, v89, 0xff7fffff, v90
	s_waitcnt lgkmcnt(3)
	s_delay_alu instid0(VALU_DEP_1) | instskip(SKIP_1) | instid1(VALU_DEP_1)
	v_max3_f32 v67, v67, v91, v92
	s_waitcnt lgkmcnt(2)
	v_max3_f32 v67, v67, v93, v94
	s_waitcnt lgkmcnt(1)
	s_delay_alu instid0(VALU_DEP_1) | instskip(NEXT) | instid1(VALU_DEP_1)
	v_max3_f32 v67, v67, v95, v96
	v_sub_f32_e32 v93, v93, v67
	s_delay_alu instid0(VALU_DEP_1) | instskip(NEXT) | instid1(VALU_DEP_1)
	v_dual_sub_f32 v68, v89, v67 :: v_dual_mul_f32 v103, 0x3fb8aa3b, v93
	v_mul_f32_e32 v68, 0x3fb8aa3b, v68
	s_delay_alu instid0(VALU_DEP_1)
	v_exp_f32_e32 v100, v68
	v_sub_f32_e32 v68, v92, v67
	v_sub_f32_e32 v99, v90, v67
	ds_load_2addr_b32 v[89:90], v82 offset0:170 offset1:187
	v_dual_mul_f32 v102, 0x3fb8aa3b, v68 :: v_dual_mul_f32 v99, 0x3fb8aa3b, v99
	s_waitcnt lgkmcnt(1)
	v_fma_f32 v68, v100, v97, 0
	s_delay_alu instid0(VALU_DEP_2) | instskip(NEXT) | instid1(VALU_DEP_2)
	v_exp_f32_e32 v102, v102
	v_exp_f32_e32 v99, v99
	s_waitcnt_depctr 0xfff
	v_fmac_f32_e32 v68, v99, v98
	v_sub_f32_e32 v91, v91, v67
	s_delay_alu instid0(VALU_DEP_1)
	v_mul_f32_e32 v101, 0x3fb8aa3b, v91
	ds_load_2addr_b32 v[91:92], v82 offset0:204 offset1:221
	v_sub_f32_e32 v97, v94, v67
	ds_load_2addr_b32 v[93:94], v82 offset0:238 offset1:255
	s_waitcnt lgkmcnt(0)
	v_exp_f32_e32 v101, v101
	s_barrier
	buffer_gl0_inv
	v_dual_fmac_f32 v68, v101, v89 :: v_dual_sub_f32 v89, v96, v67
	v_dual_sub_f32 v82, v95, v67 :: v_dual_mul_f32 v95, 0x3fb8aa3b, v97
	v_exp_f32_e32 v97, v103
	s_delay_alu instid0(VALU_DEP_2) | instskip(NEXT) | instid1(VALU_DEP_2)
	v_dual_fmac_f32 v68, v102, v90 :: v_dual_mul_f32 v89, 0x3fb8aa3b, v89
	v_mul_f32_e32 v82, 0x3fb8aa3b, v82
	s_delay_alu instid0(VALU_DEP_3) | instskip(NEXT) | instid1(VALU_DEP_2)
	v_exp_f32_e32 v95, v95
	v_exp_f32_e32 v89, v89
	s_delay_alu instid0(VALU_DEP_1)
	v_exp_f32_e32 v82, v82
	v_fmac_f32_e32 v68, v97, v91
	s_delay_alu instid0(TRANS32_DEP_3) | instid1(VALU_DEP_1)
	v_fmac_f32_e32 v68, v95, v92
	s_waitcnt_depctr 0xfff
	v_fmac_f32_e32 v68, v82, v93
	s_delay_alu instid0(VALU_DEP_1) | instskip(NEXT) | instid1(VALU_DEP_1)
	v_fmac_f32_e32 v68, v89, v94
	v_add_f32_e32 v90, 0x358637bd, v68
	s_delay_alu instid0(VALU_DEP_1) | instskip(NEXT) | instid1(VALU_DEP_1)
	v_div_scale_f32 v91, null, v90, v90, 1.0
	v_rcp_f32_e32 v92, v91
	s_waitcnt_depctr 0xfff
	v_fma_f32 v93, -v91, v92, 1.0
	s_delay_alu instid0(VALU_DEP_1) | instskip(SKIP_1) | instid1(VALU_DEP_2)
	v_dual_fmac_f32 v92, v93, v92 :: v_dual_cndmask_b32 v93, v100, v99
	v_cmp_eq_u32_e32 vcc_lo, 3, v66
	v_cndmask_b32_e64 v93, v93, v101, s4
	v_cmp_eq_u32_e64 s4, 4, v66
	s_delay_alu instid0(VALU_DEP_2) | instskip(SKIP_1) | instid1(VALU_DEP_2)
	v_cndmask_b32_e32 v93, v93, v102, vcc_lo
	v_cmp_eq_u32_e32 vcc_lo, 5, v66
	v_cndmask_b32_e64 v93, v93, v97, s4
	v_cmp_eq_u32_e64 s4, 6, v66
	s_delay_alu instid0(VALU_DEP_2) | instskip(SKIP_1) | instid1(VALU_DEP_1)
	v_cndmask_b32_e32 v93, v93, v95, vcc_lo
	v_div_scale_f32 v94, s5, 1.0, v90, 1.0
	s_mov_b32 vcc_lo, s5
	s_delay_alu instid0(VALU_DEP_2) | instskip(NEXT) | instid1(VALU_DEP_2)
	v_cndmask_b32_e64 v82, v93, v82, s4
	v_mul_f32_e32 v96, v94, v92
	s_mov_b32 s4, exec_lo
	s_delay_alu instid0(VALU_DEP_2) | instskip(NEXT) | instid1(VALU_DEP_2)
	v_cndmask_b32_e64 v82, v82, v89, s6
	v_fma_f32 v98, -v91, v96, v94
	s_delay_alu instid0(VALU_DEP_1) | instskip(NEXT) | instid1(VALU_DEP_1)
	v_fmac_f32_e32 v96, v98, v92
	v_fma_f32 v91, -v91, v96, v94
	s_delay_alu instid0(VALU_DEP_1) | instskip(NEXT) | instid1(VALU_DEP_1)
	v_div_fmas_f32 v91, v91, v92, v96
	v_div_fixup_f32 v90, v91, v90, 1.0
	s_delay_alu instid0(VALU_DEP_1) | instskip(NEXT) | instid1(VALU_DEP_1)
	v_mul_f32_e32 v82, v82, v90
	v_mul_f32_e32 v87, v82, v87
	;; [unrolled: 1-line block ×7, first 2 shown]
	v_dual_mul_f32 v86, v82, v83 :: v_dual_and_b32 v91, 0x7f800000, v90
	v_mul_f32_e32 v85, v82, v76
                                        ; implicit-def: $vgpr76
	s_delay_alu instid0(VALU_DEP_2)
	v_cmpx_ne_u32_e32 0x7f800000, v91
	s_xor_b32 s4, exec_lo, s4
; %bb.13:
	v_bfe_u32 v76, v90, 16, 1
	s_delay_alu instid0(VALU_DEP_1)
	v_add3_u32 v76, v90, v76, 0x7fff
                                        ; implicit-def: $vgpr90
; %bb.14:
	s_and_not1_saveexec_b32 s4, s4
; %bb.15:
	v_and_b32_e32 v76, 0xffff, v90
	v_or_b32_e32 v83, 0x10000, v90
	s_delay_alu instid0(VALU_DEP_2) | instskip(NEXT) | instid1(VALU_DEP_2)
	v_cmp_eq_u32_e32 vcc_lo, 0, v76
	v_cndmask_b32_e32 v76, v83, v90, vcc_lo
; %bb.16:
	s_or_b32 exec_lo, exec_lo, s4
	v_and_b32_e32 v83, 0x7f800000, v85
	s_delay_alu instid0(VALU_DEP_1) | instskip(SKIP_1) | instid1(SALU_CYCLE_1)
	v_cmp_ne_u32_e32 vcc_lo, 0x7f800000, v83
                                        ; implicit-def: $vgpr83
	s_and_saveexec_b32 s4, vcc_lo
	s_xor_b32 s4, exec_lo, s4
; %bb.17:
	v_bfe_u32 v83, v85, 16, 1
	s_delay_alu instid0(VALU_DEP_1)
	v_add3_u32 v83, v85, v83, 0x7fff
                                        ; implicit-def: $vgpr85
; %bb.18:
	s_and_not1_saveexec_b32 s4, s4
; %bb.19:
	v_and_b32_e32 v83, 0xffff, v85
	v_or_b32_e32 v90, 0x10000, v85
	s_delay_alu instid0(VALU_DEP_2) | instskip(NEXT) | instid1(VALU_DEP_2)
	v_cmp_eq_u32_e32 vcc_lo, 0, v83
	v_cndmask_b32_e32 v83, v90, v85, vcc_lo
; %bb.20:
	s_or_b32 exec_lo, exec_lo, s4
	v_and_b32_e32 v85, 0x7f800000, v86
	s_delay_alu instid0(VALU_DEP_1) | instskip(SKIP_1) | instid1(SALU_CYCLE_1)
	v_cmp_ne_u32_e32 vcc_lo, 0x7f800000, v85
                                        ; implicit-def: $vgpr85
	s_and_saveexec_b32 s4, vcc_lo
	s_xor_b32 s4, exec_lo, s4
; %bb.21:
	v_bfe_u32 v85, v86, 16, 1
	s_delay_alu instid0(VALU_DEP_1)
	v_add3_u32 v85, v86, v85, 0x7fff
                                        ; implicit-def: $vgpr86
; %bb.22:
	s_and_not1_saveexec_b32 s4, s4
; %bb.23:
	v_and_b32_e32 v85, 0xffff, v86
	v_or_b32_e32 v90, 0x10000, v86
	s_delay_alu instid0(VALU_DEP_2) | instskip(NEXT) | instid1(VALU_DEP_2)
	v_cmp_eq_u32_e32 vcc_lo, 0, v85
	v_cndmask_b32_e32 v85, v90, v86, vcc_lo
; %bb.24:
	s_or_b32 exec_lo, exec_lo, s4
	v_and_b32_e32 v86, 0x7f800000, v89
	s_delay_alu instid0(VALU_DEP_1) | instskip(SKIP_1) | instid1(SALU_CYCLE_1)
	v_cmp_ne_u32_e32 vcc_lo, 0x7f800000, v86
                                        ; implicit-def: $vgpr86
	s_and_saveexec_b32 s4, vcc_lo
	s_xor_b32 s4, exec_lo, s4
; %bb.25:
	v_bfe_u32 v86, v89, 16, 1
	s_delay_alu instid0(VALU_DEP_1)
	v_add3_u32 v86, v89, v86, 0x7fff
                                        ; implicit-def: $vgpr89
; %bb.26:
	s_and_not1_saveexec_b32 s4, s4
; %bb.27:
	v_and_b32_e32 v86, 0xffff, v89
	v_or_b32_e32 v90, 0x10000, v89
	s_delay_alu instid0(VALU_DEP_2) | instskip(NEXT) | instid1(VALU_DEP_2)
	v_cmp_eq_u32_e32 vcc_lo, 0, v86
	v_cndmask_b32_e32 v86, v90, v89, vcc_lo
; %bb.28:
	s_or_b32 exec_lo, exec_lo, s4
	v_and_b32_e32 v89, 0x7f800000, v88
	s_delay_alu instid0(VALU_DEP_1) | instskip(SKIP_1) | instid1(SALU_CYCLE_1)
	v_cmp_ne_u32_e32 vcc_lo, 0x7f800000, v89
                                        ; implicit-def: $vgpr89
	s_and_saveexec_b32 s4, vcc_lo
	s_xor_b32 s4, exec_lo, s4
; %bb.29:
	v_bfe_u32 v89, v88, 16, 1
	s_delay_alu instid0(VALU_DEP_1)
	v_add3_u32 v89, v88, v89, 0x7fff
                                        ; implicit-def: $vgpr88
; %bb.30:
	s_and_not1_saveexec_b32 s4, s4
; %bb.31:
	v_and_b32_e32 v89, 0xffff, v88
	v_or_b32_e32 v90, 0x10000, v88
	s_delay_alu instid0(VALU_DEP_2) | instskip(NEXT) | instid1(VALU_DEP_2)
	v_cmp_eq_u32_e32 vcc_lo, 0, v89
	v_cndmask_b32_e32 v89, v90, v88, vcc_lo
; %bb.32:
	s_or_b32 exec_lo, exec_lo, s4
	v_and_b32_e32 v88, 0x7f800000, v87
	s_delay_alu instid0(VALU_DEP_1) | instskip(SKIP_1) | instid1(SALU_CYCLE_1)
	v_cmp_ne_u32_e32 vcc_lo, 0x7f800000, v88
                                        ; implicit-def: $vgpr88
	s_and_saveexec_b32 s4, vcc_lo
	s_xor_b32 s4, exec_lo, s4
; %bb.33:
	v_bfe_u32 v88, v87, 16, 1
	s_delay_alu instid0(VALU_DEP_1)
	v_add3_u32 v88, v87, v88, 0x7fff
                                        ; implicit-def: $vgpr87
; %bb.34:
	s_and_not1_saveexec_b32 s4, s4
; %bb.35:
	v_and_b32_e32 v88, 0xffff, v87
	v_or_b32_e32 v90, 0x10000, v87
	s_delay_alu instid0(VALU_DEP_2) | instskip(NEXT) | instid1(VALU_DEP_2)
	v_cmp_eq_u32_e32 vcc_lo, 0, v88
	v_cndmask_b32_e32 v88, v90, v87, vcc_lo
; %bb.36:
	s_or_b32 exec_lo, exec_lo, s4
	v_and_b32_e32 v87, 0x7f800000, v84
	s_delay_alu instid0(VALU_DEP_1) | instskip(SKIP_1) | instid1(SALU_CYCLE_1)
	v_cmp_ne_u32_e32 vcc_lo, 0x7f800000, v87
                                        ; implicit-def: $vgpr87
	s_and_saveexec_b32 s4, vcc_lo
	s_xor_b32 s4, exec_lo, s4
; %bb.37:
	v_bfe_u32 v87, v84, 16, 1
	s_delay_alu instid0(VALU_DEP_1)
	v_add3_u32 v87, v84, v87, 0x7fff
                                        ; implicit-def: $vgpr84
; %bb.38:
	s_and_not1_saveexec_b32 s4, s4
; %bb.39:
	v_and_b32_e32 v87, 0xffff, v84
	v_or_b32_e32 v90, 0x10000, v84
	s_delay_alu instid0(VALU_DEP_2) | instskip(NEXT) | instid1(VALU_DEP_2)
	v_cmp_eq_u32_e32 vcc_lo, 0, v87
	v_cndmask_b32_e32 v87, v90, v84, vcc_lo
; %bb.40:
	s_or_b32 exec_lo, exec_lo, s4
	v_and_b32_e32 v84, 0x7f800000, v80
	s_delay_alu instid0(VALU_DEP_1) | instskip(SKIP_1) | instid1(SALU_CYCLE_1)
	v_cmp_ne_u32_e32 vcc_lo, 0x7f800000, v84
                                        ; implicit-def: $vgpr84
	s_and_saveexec_b32 s4, vcc_lo
	s_xor_b32 s4, exec_lo, s4
; %bb.41:
	v_bfe_u32 v84, v80, 16, 1
	s_delay_alu instid0(VALU_DEP_1)
	v_add3_u32 v84, v80, v84, 0x7fff
                                        ; implicit-def: $vgpr80
; %bb.42:
	s_and_not1_saveexec_b32 s4, s4
; %bb.43:
	v_and_b32_e32 v84, 0xffff, v80
	v_or_b32_e32 v90, 0x10000, v80
	s_delay_alu instid0(VALU_DEP_2) | instskip(NEXT) | instid1(VALU_DEP_2)
	v_cmp_eq_u32_e32 vcc_lo, 0, v84
	v_cndmask_b32_e32 v84, v90, v80, vcc_lo
; %bb.44:
	s_or_b32 exec_lo, exec_lo, s4
	s_load_b64 s[36:37], s[0:1], 0x94
	v_lshlrev_b32_e32 v91, 4, v74
	s_delay_alu instid0(VALU_DEP_2)
	v_perm_b32 v90, v84, v87, 0x7060302
	v_dual_mul_f32 v79, v82, v79 :: v_dual_lshlrev_b32 v80, 6, v65
	v_dual_mul_f32 v77, v82, v77 :: v_dual_lshlrev_b32 v92, 11, v66
	v_mul_f32_e32 v84, v82, v70
	v_perm_b32 v89, v88, v89, 0x7060302
	v_perm_b32 v88, v86, v85, 0x7060302
	v_perm_b32 v87, v83, v76, 0x7060302
	v_mul_f32_e32 v70, v82, v81
	v_or3_b32 v76, v91, v92, v80
	v_dual_mul_f32 v78, v82, v78 :: v_dual_and_b32 v85, 0x7f800000, v84
	v_mul_f32_e32 v83, v82, v72
	v_mul_f32_e32 v81, v82, v71
	;; [unrolled: 1-line block ×3, first 2 shown]
	s_mov_b32 s4, exec_lo
	ds_store_b128 v76, v[87:90]
                                        ; implicit-def: $vgpr69
	v_cmpx_ne_u32_e32 0x7f800000, v85
	s_xor_b32 s4, exec_lo, s4
; %bb.45:
	v_bfe_u32 v69, v84, 16, 1
	s_delay_alu instid0(VALU_DEP_1)
	v_add3_u32 v69, v84, v69, 0x7fff
                                        ; implicit-def: $vgpr84
; %bb.46:
	s_and_not1_saveexec_b32 s4, s4
; %bb.47:
	v_and_b32_e32 v69, 0xffff, v84
	v_or_b32_e32 v71, 0x10000, v84
	s_delay_alu instid0(VALU_DEP_2) | instskip(NEXT) | instid1(VALU_DEP_2)
	v_cmp_eq_u32_e32 vcc_lo, 0, v69
	v_cndmask_b32_e32 v69, v71, v84, vcc_lo
; %bb.48:
	s_or_b32 exec_lo, exec_lo, s4
	v_and_b32_e32 v71, 0x7f800000, v72
	s_delay_alu instid0(VALU_DEP_1) | instskip(SKIP_1) | instid1(SALU_CYCLE_1)
	v_cmp_ne_u32_e32 vcc_lo, 0x7f800000, v71
                                        ; implicit-def: $vgpr71
	s_and_saveexec_b32 s4, vcc_lo
	s_xor_b32 s4, exec_lo, s4
; %bb.49:
	v_bfe_u32 v71, v72, 16, 1
	s_delay_alu instid0(VALU_DEP_1)
	v_add3_u32 v71, v72, v71, 0x7fff
                                        ; implicit-def: $vgpr72
; %bb.50:
	s_and_not1_saveexec_b32 s4, s4
; %bb.51:
	v_and_b32_e32 v71, 0xffff, v72
	v_or_b32_e32 v82, 0x10000, v72
	s_delay_alu instid0(VALU_DEP_2) | instskip(NEXT) | instid1(VALU_DEP_2)
	v_cmp_eq_u32_e32 vcc_lo, 0, v71
	v_cndmask_b32_e32 v71, v82, v72, vcc_lo
; %bb.52:
	s_or_b32 exec_lo, exec_lo, s4
	v_and_b32_e32 v72, 0x7f800000, v81
	s_delay_alu instid0(VALU_DEP_1) | instskip(SKIP_1) | instid1(SALU_CYCLE_1)
	v_cmp_ne_u32_e32 vcc_lo, 0x7f800000, v72
                                        ; implicit-def: $vgpr72
	s_and_saveexec_b32 s4, vcc_lo
	s_xor_b32 s4, exec_lo, s4
; %bb.53:
	v_bfe_u32 v72, v81, 16, 1
	s_delay_alu instid0(VALU_DEP_1)
	v_add3_u32 v72, v81, v72, 0x7fff
                                        ; implicit-def: $vgpr81
; %bb.54:
	s_and_not1_saveexec_b32 s4, s4
; %bb.55:
	v_and_b32_e32 v72, 0xffff, v81
	v_or_b32_e32 v82, 0x10000, v81
	s_delay_alu instid0(VALU_DEP_2) | instskip(NEXT) | instid1(VALU_DEP_2)
	v_cmp_eq_u32_e32 vcc_lo, 0, v72
	v_cndmask_b32_e32 v72, v82, v81, vcc_lo
; %bb.56:
	s_or_b32 exec_lo, exec_lo, s4
	v_and_b32_e32 v81, 0x7f800000, v83
	s_delay_alu instid0(VALU_DEP_1) | instskip(SKIP_1) | instid1(SALU_CYCLE_1)
	v_cmp_ne_u32_e32 vcc_lo, 0x7f800000, v81
                                        ; implicit-def: $vgpr81
	s_and_saveexec_b32 s4, vcc_lo
	s_xor_b32 s4, exec_lo, s4
; %bb.57:
	v_bfe_u32 v81, v83, 16, 1
	s_delay_alu instid0(VALU_DEP_1)
	v_add3_u32 v81, v83, v81, 0x7fff
                                        ; implicit-def: $vgpr83
; %bb.58:
	s_and_not1_saveexec_b32 s4, s4
; %bb.59:
	v_and_b32_e32 v81, 0xffff, v83
	v_or_b32_e32 v82, 0x10000, v83
	s_delay_alu instid0(VALU_DEP_2) | instskip(NEXT) | instid1(VALU_DEP_2)
	v_cmp_eq_u32_e32 vcc_lo, 0, v81
	v_cndmask_b32_e32 v81, v82, v83, vcc_lo
; %bb.60:
	s_or_b32 exec_lo, exec_lo, s4
	v_and_b32_e32 v82, 0x7f800000, v77
	s_delay_alu instid0(VALU_DEP_1) | instskip(SKIP_1) | instid1(SALU_CYCLE_1)
	v_cmp_ne_u32_e32 vcc_lo, 0x7f800000, v82
                                        ; implicit-def: $vgpr82
	s_and_saveexec_b32 s4, vcc_lo
	s_xor_b32 s4, exec_lo, s4
; %bb.61:
	v_bfe_u32 v82, v77, 16, 1
	s_delay_alu instid0(VALU_DEP_1)
	v_add3_u32 v82, v77, v82, 0x7fff
                                        ; implicit-def: $vgpr77
; %bb.62:
	s_and_not1_saveexec_b32 s4, s4
; %bb.63:
	v_and_b32_e32 v82, 0xffff, v77
	v_or_b32_e32 v83, 0x10000, v77
	s_delay_alu instid0(VALU_DEP_2) | instskip(NEXT) | instid1(VALU_DEP_2)
	v_cmp_eq_u32_e32 vcc_lo, 0, v82
	v_cndmask_b32_e32 v82, v83, v77, vcc_lo
; %bb.64:
	s_or_b32 exec_lo, exec_lo, s4
	v_and_b32_e32 v77, 0x7f800000, v78
	s_delay_alu instid0(VALU_DEP_1) | instskip(SKIP_1) | instid1(SALU_CYCLE_1)
	v_cmp_ne_u32_e32 vcc_lo, 0x7f800000, v77
                                        ; implicit-def: $vgpr77
	s_and_saveexec_b32 s4, vcc_lo
	s_xor_b32 s4, exec_lo, s4
; %bb.65:
	v_bfe_u32 v77, v78, 16, 1
	s_delay_alu instid0(VALU_DEP_1)
	v_add3_u32 v77, v78, v77, 0x7fff
                                        ; implicit-def: $vgpr78
; %bb.66:
	s_and_not1_saveexec_b32 s4, s4
; %bb.67:
	v_and_b32_e32 v77, 0xffff, v78
	v_or_b32_e32 v83, 0x10000, v78
	s_delay_alu instid0(VALU_DEP_2) | instskip(NEXT) | instid1(VALU_DEP_2)
	v_cmp_eq_u32_e32 vcc_lo, 0, v77
	v_cndmask_b32_e32 v77, v83, v78, vcc_lo
; %bb.68:
	s_or_b32 exec_lo, exec_lo, s4
	v_and_b32_e32 v78, 0x7f800000, v79
	s_delay_alu instid0(VALU_DEP_1) | instskip(SKIP_1) | instid1(SALU_CYCLE_1)
	v_cmp_ne_u32_e32 vcc_lo, 0x7f800000, v78
                                        ; implicit-def: $vgpr78
	s_and_saveexec_b32 s4, vcc_lo
	s_xor_b32 s4, exec_lo, s4
; %bb.69:
	v_bfe_u32 v78, v79, 16, 1
	s_delay_alu instid0(VALU_DEP_1)
	v_add3_u32 v78, v79, v78, 0x7fff
                                        ; implicit-def: $vgpr79
; %bb.70:
	s_and_not1_saveexec_b32 s4, s4
; %bb.71:
	v_and_b32_e32 v78, 0xffff, v79
	v_or_b32_e32 v83, 0x10000, v79
	s_delay_alu instid0(VALU_DEP_2) | instskip(NEXT) | instid1(VALU_DEP_2)
	v_cmp_eq_u32_e32 vcc_lo, 0, v78
	v_cndmask_b32_e32 v78, v83, v79, vcc_lo
; %bb.72:
	s_or_b32 exec_lo, exec_lo, s4
	v_and_b32_e32 v79, 0x7f800000, v70
	s_delay_alu instid0(VALU_DEP_1) | instskip(SKIP_1) | instid1(SALU_CYCLE_1)
	v_cmp_ne_u32_e32 vcc_lo, 0x7f800000, v79
                                        ; implicit-def: $vgpr79
	s_and_saveexec_b32 s4, vcc_lo
	s_xor_b32 s4, exec_lo, s4
; %bb.73:
	v_bfe_u32 v79, v70, 16, 1
	s_delay_alu instid0(VALU_DEP_1)
	v_add3_u32 v79, v70, v79, 0x7fff
                                        ; implicit-def: $vgpr70
; %bb.74:
	s_and_not1_saveexec_b32 s4, s4
; %bb.75:
	v_and_b32_e32 v79, 0xffff, v70
	v_or_b32_e32 v83, 0x10000, v70
	s_delay_alu instid0(VALU_DEP_2) | instskip(NEXT) | instid1(VALU_DEP_2)
	v_cmp_eq_u32_e32 vcc_lo, 0, v79
	v_cndmask_b32_e32 v79, v83, v70, vcc_lo
; %bb.76:
	s_or_b32 exec_lo, exec_lo, s4
	s_delay_alu instid0(VALU_DEP_1)
	v_perm_b32 v86, v79, v78, 0x7060302
	v_perm_b32 v85, v77, v82, 0x7060302
	;; [unrolled: 1-line block ×4, first 2 shown]
	v_lshl_or_b32 v82, v66, 11, v80
	ds_store_b128 v76, v[83:86] offset:1024
	s_waitcnt lgkmcnt(0)
	s_barrier
	buffer_gl0_inv
	ds_load_b128 v[69:72], v82
	ds_load_b128 v[83:86], v82 offset:16
	s_waitcnt lgkmcnt(1)
	v_lshrrev_b32_e32 v66, 16, v69
	s_waitcnt lgkmcnt(0)
	v_lshrrev_b32_e32 v91, 16, v83
	v_lshlrev_b32_e32 v78, 2, v74
	v_lshrrev_b32_e32 v95, 16, v70
	v_lshrrev_b32_e32 v98, 16, v84
	;; [unrolled: 1-line block ×4, first 2 shown]
	v_cmp_eq_u32_e32 vcc_lo, 1, v78
	v_lshrrev_b32_e32 v97, 16, v72
	v_lshrrev_b32_e32 v100, 16, v86
	v_cndmask_b32_e32 v87, v83, v91, vcc_lo
	v_or_b32_e32 v79, 1, v78
	v_cndmask_b32_e32 v81, v69, v66, vcc_lo
	v_cmp_eq_u32_e64 s5, 2, v78
	v_cmp_eq_u32_e64 s8, 3, v78
	;; [unrolled: 1-line block ×5, first 2 shown]
	v_cndmask_b32_e64 v81, v81, v70, s5
	v_cndmask_b32_e64 v87, v87, v84, s5
	v_cmp_eq_u32_e64 s9, 3, v79
	v_cndmask_b32_e64 v88, v69, v66, s4
	v_or_b32_e32 v77, 2, v78
	v_cndmask_b32_e64 v81, v81, v95, s8
	v_cndmask_b32_e64 v87, v87, v98, s8
	;; [unrolled: 1-line block ×4, first 2 shown]
	v_cmp_eq_u32_e64 s11, 5, v78
	v_cndmask_b32_e64 v81, v81, v71, s10
	v_cndmask_b32_e64 v87, v87, v85, s10
	v_cmp_eq_u32_e64 s12, 4, v79
	v_cndmask_b32_e64 v88, v88, v95, s9
	v_cmp_eq_u32_e64 s6, 1, v77
	v_cndmask_b32_e64 v89, v89, v84, s7
	v_cndmask_b32_e64 v81, v81, v96, s11
	v_cmp_eq_u32_e64 s13, 6, v78
	v_cndmask_b32_e64 v88, v88, v71, s12
	;; [unrolled: 3-line block ×3, first 2 shown]
	v_cndmask_b32_e64 v89, v89, v98, s9
	v_cndmask_b32_e64 v81, v81, v72, s13
	v_cmp_eq_u32_e64 s16, 7, v78
	v_cndmask_b32_e64 v88, v88, v96, s15
	v_cndmask_b32_e64 v87, v87, v86, s13
	v_cmp_eq_u32_e64 s17, 6, v79
	v_cmp_eq_u32_e64 s18, 2, v77
	v_cndmask_b32_e64 v89, v89, v85, s12
	v_cndmask_b32_e64 v101, v81, v97, s16
	;; [unrolled: 1-line block ×6, first 2 shown]
	v_cmp_eq_u32_e64 s19, 7, v79
	v_cmp_eq_u32_e64 s20, 3, v77
	;; [unrolled: 1-line block ×4, first 2 shown]
	v_cndmask_b32_e64 v87, v87, v84, s18
	v_cndmask_b32_e64 v103, v88, v97, s19
	;; [unrolled: 1-line block ×4, first 2 shown]
	v_or_b32_e32 v81, 3, v78
	v_cndmask_b32_e64 v93, v87, v98, s20
	v_cmp_eq_u32_e64 s25, 6, v77
	v_cndmask_b32_e64 v104, v88, v86, s17
	v_cndmask_b32_e64 v92, v89, v71, s21
	v_cmp_eq_u32_e64 s22, 1, v81
	ds_load_b128 v[87:90], v82 offset:1024
	v_cmp_eq_u32_e64 s24, 2, v81
	v_cmp_eq_u32_e64 s26, 3, v81
	v_cndmask_b32_e64 v105, v92, v96, s23
	v_cndmask_b32_e64 v66, v69, v66, s22
	;; [unrolled: 1-line block ×4, first 2 shown]
	ds_load_b128 v[91:94], v82 offset:1040
	v_cmp_eq_u32_e64 s27, 4, v81
	v_cndmask_b32_e64 v66, v66, v70, s24
	v_cmp_eq_u32_e64 s28, 7, v77
	v_cndmask_b32_e64 v70, v83, v84, s24
	v_cndmask_b32_e64 v84, v105, v72, s25
	v_cmp_eq_u32_e64 s29, 5, v81
	v_cndmask_b32_e64 v66, v66, v95, s26
	v_cmp_eq_u32_e64 s30, 6, v81
	v_cndmask_b32_e64 v70, v70, v98, s26
	v_cndmask_b32_e64 v69, v69, v99, s23
	;; [unrolled: 1-line block ×4, first 2 shown]
	s_waitcnt lgkmcnt(1)
	v_lshrrev_b32_e32 v95, 16, v87
	v_cndmask_b32_e64 v70, v70, v85, s27
	v_cndmask_b32_e64 v71, v84, v97, s28
	;; [unrolled: 1-line block ×4, first 2 shown]
	v_cndmask_b32_e32 v84, v87, v95, vcc_lo
	v_cndmask_b32_e64 v70, v70, v99, s29
	s_waitcnt lgkmcnt(0)
	v_lshrrev_b32_e32 v85, 16, v91
	v_lshrrev_b32_e32 v96, 16, v88
	v_cndmask_b32_e64 v98, v87, v95, s4
	v_cndmask_b32_e64 v84, v84, v88, s5
	;; [unrolled: 1-line block ×3, first 2 shown]
	v_cndmask_b32_e32 v99, v91, v85, vcc_lo
	v_cmp_eq_u32_e32 vcc_lo, 7, v81
	v_cndmask_b32_e64 v66, v66, v72, s30
	v_cndmask_b32_e64 v72, v84, v96, s8
	;; [unrolled: 1-line block ×3, first 2 shown]
	v_lshrrev_b32_e32 v98, 16, v92
	v_cndmask_b32_e32 v70, v70, v100, vcc_lo
	v_cndmask_b32_e64 v86, v99, v92, s5
	v_cndmask_b32_e64 v69, v69, v100, s28
	v_lshrrev_b32_e32 v100, 16, v93
	v_cndmask_b32_e64 v72, v72, v89, s10
	v_lshrrev_b32_e32 v99, 16, v89
	v_cndmask_b32_e64 v86, v86, v98, s8
	v_perm_b32 v71, v69, v71, 0x5040100
	v_cndmask_b32_e64 v84, v84, v96, s9
	s_delay_alu instid0(VALU_DEP_3) | instskip(NEXT) | instid1(VALU_DEP_2)
	v_cndmask_b32_e64 v86, v86, v93, s10
	v_cndmask_b32_e64 v84, v84, v89, s12
	s_delay_alu instid0(VALU_DEP_2) | instskip(NEXT) | instid1(VALU_DEP_1)
	v_cndmask_b32_e64 v86, v86, v100, s11
	v_cndmask_b32_e64 v69, v86, v94, s13
	;; [unrolled: 1-line block ×5, first 2 shown]
	s_delay_alu instid0(VALU_DEP_3) | instskip(NEXT) | instid1(VALU_DEP_3)
	v_cndmask_b32_e64 v86, v86, v88, s18
	v_cndmask_b32_e64 v87, v87, v88, s24
	s_delay_alu instid0(VALU_DEP_3) | instskip(NEXT) | instid1(VALU_DEP_3)
	v_cndmask_b32_e64 v88, v95, v92, s24
	v_cndmask_b32_e64 v86, v86, v96, s20
	;; [unrolled: 3-line block ×7, first 2 shown]
	s_delay_alu instid0(VALU_DEP_3) | instskip(SKIP_2) | instid1(VALU_DEP_2)
	v_cndmask_b32_e64 v88, v88, v94, s30
	v_cndmask_b32_e32 v66, v66, v97, vcc_lo
	v_cndmask_b32_e64 v97, v72, v99, s11
	v_perm_b32 v72, v70, v66, 0x5040100
	v_perm_b32 v70, v83, v103, 0x5040100
	v_cndmask_b32_e64 v103, v91, v85, s6
	v_cndmask_b32_e64 v85, v91, v85, s4
	;; [unrolled: 1-line block ×4, first 2 shown]
	v_lshrrev_b32_e32 v97, 16, v90
	v_cndmask_b32_e64 v91, v103, v92, s18
	v_cndmask_b32_e64 v85, v85, v92, s7
	;; [unrolled: 1-line block ×3, first 2 shown]
	s_mov_b32 s4, exec_lo
	v_cndmask_b32_e64 v83, v84, v97, s16
	v_cndmask_b32_e64 v91, v91, v98, s20
	;; [unrolled: 1-line block ×3, first 2 shown]
	v_lshrrev_b32_e32 v84, 16, v94
	v_cndmask_b32_e64 v66, v66, v97, s19
	v_cndmask_b32_e64 v90, v86, v97, s28
	;; [unrolled: 1-line block ×4, first 2 shown]
	v_dual_cndmask_b32 v86, v87, v97 :: v_dual_cndmask_b32 v87, v88, v84
	v_cndmask_b32_e64 v91, v69, v84, s16
	s_delay_alu instid0(VALU_DEP_4) | instskip(NEXT) | instid1(VALU_DEP_4)
	v_cndmask_b32_e64 v89, v89, v100, s23
	v_cndmask_b32_e64 v85, v85, v100, s15
	v_perm_b32 v69, v102, v101, 0x5040100
	v_perm_b32 v86, v87, v86, 0x5040100
	;; [unrolled: 1-line block ×3, first 2 shown]
	v_cndmask_b32_e64 v89, v89, v94, s25
	v_cndmask_b32_e64 v85, v85, v94, s17
	s_mul_i32 s9, s37, 11
	s_delay_alu instid0(VALU_DEP_2) | instskip(NEXT) | instid1(VALU_DEP_2)
	v_cndmask_b32_e64 v88, v89, v84, s28
	v_cndmask_b32_e64 v89, v85, v84, s19
	s_delay_alu instid0(VALU_DEP_2) | instskip(NEXT) | instid1(VALU_DEP_2)
	v_perm_b32 v85, v88, v90, 0x5040100
	v_perm_b32 v84, v89, v66, 0x5040100
	ds_store_b128 v76, v[69:72]
	ds_store_b128 v76, v[83:86] offset:1024
	v_cmpx_gt_u32_e32 11, v0
	s_cbranch_execz .LBB1720_78
; %bb.77:
	s_mul_i32 s5, s9, s34
	s_load_b128 s[16:19], s[0:1], 0x58
	v_add3_u32 v69, s5, s31, v65
	s_delay_alu instid0(VALU_DEP_1) | instskip(NEXT) | instid1(VALU_DEP_1)
	v_mad_u64_u32 v[65:66], null, v69, s36, s[14:15]
	v_ashrrev_i32_e32 v66, 31, v65
	s_delay_alu instid0(VALU_DEP_1) | instskip(SKIP_1) | instid1(VALU_DEP_1)
	v_lshlrev_b64 v[65:66], 2, v[65:66]
	s_waitcnt lgkmcnt(0)
	v_add_co_u32 v69, vcc_lo, s18, v65
	s_delay_alu instid0(VALU_DEP_2)
	v_add_co_ci_u32_e32 v70, vcc_lo, s19, v66, vcc_lo
	v_add_co_u32 v65, vcc_lo, s16, v65
	v_add_co_ci_u32_e32 v66, vcc_lo, s17, v66, vcc_lo
	global_store_b32 v[69:70], v67, off
	global_store_b32 v[65:66], v68, off
.LBB1720_78:
	s_or_b32 exec_lo, exec_lo, s4
	s_waitcnt lgkmcnt(0)
	s_waitcnt_vscnt null, 0x0
	s_barrier
	buffer_gl0_inv
	ds_load_b128 v[83:86], v80
	ds_load_b128 v[87:90], v80 offset:16
	ds_load_b128 v[95:98], v80 offset:2064
	;; [unrolled: 1-line block ×3, first 2 shown]
	v_mov_b32_e32 v65, 0
	ds_load_b128 v[103:106], v80 offset:4112
	ds_load_b128 v[99:102], v80 offset:4096
	;; [unrolled: 1-line block ×4, first 2 shown]
	v_mov_b32_e32 v66, v65
	v_mov_b32_e32 v67, v65
	;; [unrolled: 1-line block ×7, first 2 shown]
	s_waitcnt lgkmcnt(6)
	s_delay_alu instid0(VALU_DEP_1)
	v_wmma_f32_16x16x16_bf16 v[65:72], v[57:64], v[83:90], v[65:72]
	ds_load_b128 v[61:64], v80 offset:8208
	ds_load_b128 v[57:60], v80 offset:8192
	s_waitcnt lgkmcnt(6)
	v_wmma_f32_16x16x16_bf16 v[65:72], v[41:48], v[91:98], v[65:72]
	ds_load_b128 v[45:48], v80 offset:10256
	ds_load_b128 v[41:44], v80 offset:10240
	s_waitcnt lgkmcnt(6)
	;; [unrolled: 4-line block ×4, first 2 shown]
	v_wmma_f32_16x16x16_bf16 v[65:72], v[1:8], v[57:64], v[65:72]
	s_waitcnt lgkmcnt(4)
	s_delay_alu instid0(VALU_DEP_1) | instskip(SKIP_1) | instid1(VALU_DEP_1)
	v_wmma_f32_16x16x16_bf16 v[65:72], v[9:16], v[41:48], v[65:72]
	s_waitcnt lgkmcnt(2)
	v_wmma_f32_16x16x16_bf16 v[65:72], v[17:24], v[33:40], v[65:72]
	s_waitcnt lgkmcnt(0)
	s_delay_alu instid0(VALU_DEP_1) | instskip(NEXT) | instid1(VALU_DEP_1)
	v_wmma_f32_16x16x16_bf16 v[65:72], v[49:56], v[25:32], v[65:72]
	v_and_b32_e32 v1, 0x7f800000, v65
	s_delay_alu instid0(VALU_DEP_1) | instskip(SKIP_1) | instid1(SALU_CYCLE_1)
	v_cmp_ne_u32_e32 vcc_lo, 0x7f800000, v1
                                        ; implicit-def: $vgpr1
	s_and_saveexec_b32 s4, vcc_lo
	s_xor_b32 s4, exec_lo, s4
; %bb.79:
	v_bfe_u32 v1, v65, 16, 1
	s_delay_alu instid0(VALU_DEP_1)
	v_add3_u32 v1, v65, v1, 0x7fff
; %bb.80:
	s_and_not1_saveexec_b32 s4, s4
; %bb.81:
	v_and_b32_e32 v1, 0xffff, v65
	v_or_b32_e32 v2, 0x10000, v65
	s_delay_alu instid0(VALU_DEP_2) | instskip(NEXT) | instid1(VALU_DEP_2)
	v_cmp_eq_u32_e32 vcc_lo, 0, v1
	v_cndmask_b32_e32 v1, v2, v65, vcc_lo
; %bb.82:
	s_or_b32 exec_lo, exec_lo, s4
	v_and_b32_e32 v2, 0x7f800000, v66
	s_delay_alu instid0(VALU_DEP_1) | instskip(SKIP_1) | instid1(SALU_CYCLE_1)
	v_cmp_ne_u32_e32 vcc_lo, 0x7f800000, v2
                                        ; implicit-def: $vgpr2
	s_and_saveexec_b32 s4, vcc_lo
	s_xor_b32 s4, exec_lo, s4
; %bb.83:
	v_bfe_u32 v2, v66, 16, 1
	s_delay_alu instid0(VALU_DEP_1)
	v_add3_u32 v2, v66, v2, 0x7fff
; %bb.84:
	s_and_not1_saveexec_b32 s4, s4
; %bb.85:
	v_and_b32_e32 v2, 0xffff, v66
	v_or_b32_e32 v3, 0x10000, v66
	s_delay_alu instid0(VALU_DEP_2) | instskip(NEXT) | instid1(VALU_DEP_2)
	v_cmp_eq_u32_e32 vcc_lo, 0, v2
	v_cndmask_b32_e32 v2, v3, v66, vcc_lo
; %bb.86:
	s_or_b32 exec_lo, exec_lo, s4
	v_and_b32_e32 v3, 0x7f800000, v67
	s_delay_alu instid0(VALU_DEP_1) | instskip(SKIP_1) | instid1(SALU_CYCLE_1)
	v_cmp_ne_u32_e32 vcc_lo, 0x7f800000, v3
                                        ; implicit-def: $vgpr3
	s_and_saveexec_b32 s4, vcc_lo
	s_xor_b32 s4, exec_lo, s4
; %bb.87:
	v_bfe_u32 v3, v67, 16, 1
	s_delay_alu instid0(VALU_DEP_1)
	v_add3_u32 v3, v67, v3, 0x7fff
; %bb.88:
	s_and_not1_saveexec_b32 s4, s4
; %bb.89:
	v_and_b32_e32 v3, 0xffff, v67
	v_or_b32_e32 v4, 0x10000, v67
	s_delay_alu instid0(VALU_DEP_2) | instskip(NEXT) | instid1(VALU_DEP_2)
	v_cmp_eq_u32_e32 vcc_lo, 0, v3
	v_cndmask_b32_e32 v3, v4, v67, vcc_lo
; %bb.90:
	s_or_b32 exec_lo, exec_lo, s4
	v_and_b32_e32 v4, 0x7f800000, v68
	s_delay_alu instid0(VALU_DEP_1) | instskip(SKIP_1) | instid1(SALU_CYCLE_1)
	v_cmp_ne_u32_e32 vcc_lo, 0x7f800000, v4
                                        ; implicit-def: $vgpr4
	s_and_saveexec_b32 s4, vcc_lo
	s_xor_b32 s4, exec_lo, s4
; %bb.91:
	v_bfe_u32 v4, v68, 16, 1
	s_delay_alu instid0(VALU_DEP_1)
	v_add3_u32 v4, v68, v4, 0x7fff
; %bb.92:
	s_and_not1_saveexec_b32 s4, s4
; %bb.93:
	v_and_b32_e32 v4, 0xffff, v68
	v_or_b32_e32 v5, 0x10000, v68
	s_delay_alu instid0(VALU_DEP_2) | instskip(NEXT) | instid1(VALU_DEP_2)
	v_cmp_eq_u32_e32 vcc_lo, 0, v4
	v_cndmask_b32_e32 v4, v5, v68, vcc_lo
; %bb.94:
	s_or_b32 exec_lo, exec_lo, s4
	v_and_b32_e32 v5, 0x7f800000, v69
	s_delay_alu instid0(VALU_DEP_1) | instskip(SKIP_1) | instid1(SALU_CYCLE_1)
	v_cmp_ne_u32_e32 vcc_lo, 0x7f800000, v5
                                        ; implicit-def: $vgpr5
	s_and_saveexec_b32 s4, vcc_lo
	s_xor_b32 s4, exec_lo, s4
; %bb.95:
	v_bfe_u32 v5, v69, 16, 1
	s_delay_alu instid0(VALU_DEP_1)
	v_add3_u32 v5, v69, v5, 0x7fff
; %bb.96:
	s_and_not1_saveexec_b32 s4, s4
; %bb.97:
	v_and_b32_e32 v5, 0xffff, v69
	v_or_b32_e32 v6, 0x10000, v69
	s_delay_alu instid0(VALU_DEP_2) | instskip(NEXT) | instid1(VALU_DEP_2)
	v_cmp_eq_u32_e32 vcc_lo, 0, v5
	v_cndmask_b32_e32 v5, v6, v69, vcc_lo
; %bb.98:
	s_or_b32 exec_lo, exec_lo, s4
	v_and_b32_e32 v6, 0x7f800000, v70
	s_delay_alu instid0(VALU_DEP_1) | instskip(SKIP_1) | instid1(SALU_CYCLE_1)
	v_cmp_ne_u32_e32 vcc_lo, 0x7f800000, v6
                                        ; implicit-def: $vgpr6
	s_and_saveexec_b32 s4, vcc_lo
	s_xor_b32 s4, exec_lo, s4
; %bb.99:
	v_bfe_u32 v6, v70, 16, 1
	s_delay_alu instid0(VALU_DEP_1)
	v_add3_u32 v6, v70, v6, 0x7fff
; %bb.100:
	s_and_not1_saveexec_b32 s4, s4
; %bb.101:
	v_and_b32_e32 v6, 0xffff, v70
	v_or_b32_e32 v7, 0x10000, v70
	s_delay_alu instid0(VALU_DEP_2) | instskip(NEXT) | instid1(VALU_DEP_2)
	v_cmp_eq_u32_e32 vcc_lo, 0, v6
	v_cndmask_b32_e32 v6, v7, v70, vcc_lo
; %bb.102:
	s_or_b32 exec_lo, exec_lo, s4
	v_and_b32_e32 v7, 0x7f800000, v71
	s_delay_alu instid0(VALU_DEP_1) | instskip(SKIP_1) | instid1(SALU_CYCLE_1)
	v_cmp_ne_u32_e32 vcc_lo, 0x7f800000, v7
                                        ; implicit-def: $vgpr7
	s_and_saveexec_b32 s4, vcc_lo
	s_xor_b32 s4, exec_lo, s4
; %bb.103:
	v_bfe_u32 v7, v71, 16, 1
	s_delay_alu instid0(VALU_DEP_1)
	v_add3_u32 v7, v71, v7, 0x7fff
; %bb.104:
	s_and_not1_saveexec_b32 s4, s4
; %bb.105:
	v_and_b32_e32 v7, 0xffff, v71
	v_or_b32_e32 v8, 0x10000, v71
	s_delay_alu instid0(VALU_DEP_2) | instskip(NEXT) | instid1(VALU_DEP_2)
	v_cmp_eq_u32_e32 vcc_lo, 0, v7
	v_cndmask_b32_e32 v7, v8, v71, vcc_lo
; %bb.106:
	s_or_b32 exec_lo, exec_lo, s4
	v_and_b32_e32 v8, 0x7f800000, v72
	s_delay_alu instid0(VALU_DEP_1) | instskip(SKIP_1) | instid1(SALU_CYCLE_1)
	v_cmp_ne_u32_e32 vcc_lo, 0x7f800000, v8
                                        ; implicit-def: $vgpr8
	s_and_saveexec_b32 s4, vcc_lo
	s_xor_b32 s4, exec_lo, s4
; %bb.107:
	v_bfe_u32 v8, v72, 16, 1
	s_delay_alu instid0(VALU_DEP_1)
	v_add3_u32 v8, v72, v8, 0x7fff
                                        ; implicit-def: $vgpr65_vgpr66_vgpr67_vgpr68_vgpr69_vgpr70_vgpr71_vgpr72
; %bb.108:
	s_and_not1_saveexec_b32 s4, s4
; %bb.109:
	v_and_b32_e32 v8, 0xffff, v72
	v_or_b32_e32 v9, 0x10000, v72
	s_delay_alu instid0(VALU_DEP_2) | instskip(NEXT) | instid1(VALU_DEP_2)
	v_cmp_eq_u32_e32 vcc_lo, 0, v8
	v_cndmask_b32_e32 v8, v9, v72, vcc_lo
; %bb.110:
	s_or_b32 exec_lo, exec_lo, s4
	s_delay_alu instid0(VALU_DEP_1)
	v_perm_b32 v7, v8, v7, 0x7060302
	v_perm_b32 v6, v6, v5, 0x7060302
	v_perm_b32 v5, v4, v3, 0x7060302
	v_perm_b32 v4, v2, v1, 0x7060302
	s_barrier
	buffer_gl0_inv
	v_cmp_eq_u32_e32 vcc_lo, 1, v78
	ds_store_b128 v76, v[4:7]
	s_waitcnt lgkmcnt(0)
	s_barrier
	buffer_gl0_inv
	ds_load_b128 v[1:4], v82
	ds_load_b128 v[5:8], v82 offset:16
	v_cmp_eq_u32_e64 s4, 1, v79
	v_cmp_eq_u32_e64 s5, 2, v78
	;; [unrolled: 1-line block ×5, first 2 shown]
	s_waitcnt lgkmcnt(1)
	v_lshrrev_b32_e32 v9, 16, v1
	s_waitcnt lgkmcnt(0)
	v_lshrrev_b32_e32 v13, 16, v5
	v_lshrrev_b32_e32 v10, 16, v2
	;; [unrolled: 1-line block ×4, first 2 shown]
	v_cndmask_b32_e64 v19, v1, v9, s4
	v_cndmask_b32_e32 v18, v5, v13, vcc_lo
	v_cndmask_b32_e64 v20, v5, v13, s4
	v_cndmask_b32_e32 v17, v1, v9, vcc_lo
	v_cmp_eq_u32_e32 vcc_lo, 2, v79
	v_lshrrev_b32_e32 v15, 16, v7
	v_cmp_eq_u32_e64 s4, 1, v77
	v_lshrrev_b32_e32 v12, 16, v4
	v_lshrrev_b32_e32 v16, 16, v8
	v_cndmask_b32_e32 v20, v20, v6, vcc_lo
	v_cndmask_b32_e64 v17, v17, v2, s5
	v_cndmask_b32_e32 v19, v19, v2, vcc_lo
	v_cndmask_b32_e64 v18, v18, v6, s5
	v_cmp_eq_u32_e32 vcc_lo, 4, v78
	v_cmp_eq_u32_e64 s5, 3, v79
	v_cndmask_b32_e64 v17, v17, v10, s6
	v_cndmask_b32_e64 v21, v1, v9, s4
	;; [unrolled: 1-line block ×5, first 2 shown]
	v_cndmask_b32_e32 v17, v17, v3, vcc_lo
	v_cndmask_b32_e64 v20, v20, v14, s5
	v_cndmask_b32_e32 v18, v18, v7, vcc_lo
	v_cmp_eq_u32_e32 vcc_lo, 4, v79
	v_cmp_eq_u32_e64 s5, 5, v79
	v_cmp_eq_u32_e64 s4, 2, v81
	v_cndmask_b32_e64 v21, v21, v2, s8
	v_cmp_eq_u32_e64 s6, 5, v78
	v_cndmask_b32_e32 v19, v19, v3, vcc_lo
	v_cndmask_b32_e32 v20, v20, v7, vcc_lo
	v_cmp_eq_u32_e32 vcc_lo, 6, v79
	s_delay_alu instid0(VALU_DEP_4) | instskip(NEXT) | instid1(VALU_DEP_4)
	v_cndmask_b32_e64 v17, v17, v11, s6
	v_cndmask_b32_e64 v19, v19, v11, s5
	s_delay_alu instid0(VALU_DEP_4) | instskip(SKIP_1) | instid1(VALU_DEP_3)
	v_cndmask_b32_e64 v20, v20, v15, s5
	v_cmp_eq_u32_e64 s5, 1, v81
	v_cndmask_b32_e32 v19, v19, v4, vcc_lo
	v_cndmask_b32_e64 v18, v18, v15, s6
	s_delay_alu instid0(VALU_DEP_3)
	v_cndmask_b32_e64 v1, v1, v9, s5
	v_cndmask_b32_e64 v5, v5, v13, s5
	v_cmp_eq_u32_e64 s5, 3, v77
	v_cndmask_b32_e64 v13, v22, v6, s8
	v_cmp_eq_u32_e64 s8, 3, v81
	v_cndmask_b32_e64 v1, v1, v2, s4
	v_cndmask_b32_e64 v2, v5, v6, s4
	;; [unrolled: 1-line block ×3, first 2 shown]
	v_cmp_eq_u32_e64 s4, 4, v77
	v_cndmask_b32_e64 v6, v13, v14, s5
	v_cndmask_b32_e64 v1, v1, v10, s8
	v_cmp_eq_u32_e64 s5, 4, v81
	v_cndmask_b32_e64 v2, v2, v14, s8
	v_cndmask_b32_e64 v5, v9, v3, s4
	;; [unrolled: 3-line block ×3, first 2 shown]
	v_cndmask_b32_e64 v2, v2, v7, s5
	v_cmp_eq_u32_e64 s4, 5, v81
	v_cmp_eq_u32_e64 s6, 6, v78
	v_cndmask_b32_e64 v5, v5, v11, s8
	v_cmp_eq_u32_e64 s5, 6, v77
	v_cndmask_b32_e64 v3, v6, v15, s8
	v_cndmask_b32_e64 v1, v1, v11, s4
	v_cmp_eq_u32_e64 s8, 6, v81
	v_cndmask_b32_e64 v2, v2, v15, s4
	v_cndmask_b32_e64 v17, v17, v4, s6
	v_cndmask_b32_e64 v18, v18, v8, s6
	v_cmp_eq_u32_e64 s6, 7, v78
	v_cndmask_b32_e64 v5, v5, v4, s5
	;; [unrolled: 4-line block ×3, first 2 shown]
	v_cmp_eq_u32_e64 s5, 7, v77
	v_cndmask_b32_e32 v4, v20, v8, vcc_lo
	v_cndmask_b32_e64 v17, v17, v12, s6
	v_cndmask_b32_e64 v19, v19, v12, s7
	;; [unrolled: 1-line block ×8, first 2 shown]
	v_cmp_gt_u32_e32 vcc_lo, 32, v0
	v_perm_b32 v4, v2, v1, 0x5040100
	v_perm_b32 v3, v3, v5, 0x5040100
	;; [unrolled: 1-line block ×4, first 2 shown]
	s_and_b32 s2, vcc_lo, s2
	ds_store_b128 v76, v[1:4]
	s_waitcnt lgkmcnt(0)
	s_barrier
	buffer_gl0_inv
	s_and_saveexec_b32 s4, s2
	s_cbranch_execz .LBB1720_2
; %bb.111:
	s_load_b64 s[4:5], s[0:1], 0x68
	v_lshlrev_b32_e32 v0, 10, v0
	v_lshlrev_b32_e32 v1, 4, v75
	s_lshl_b32 s0, s36, 6
	v_add_nc_u32_e32 v7, s31, v74
	s_mul_i32 s1, s0, s34
	s_delay_alu instid0(SALU_CYCLE_1) | instskip(SKIP_1) | instid1(VALU_DEP_2)
	s_mul_i32 s6, s1, s9
	v_and_or_b32 v0, 0x3800, v0, v1
	v_mul_lo_u32 v1, v7, s0
	v_add_nc_u32_e32 v2, 2, v7
	s_ashr_i32 s7, s6, 31
	v_add_nc_u32_e32 v4, 4, v7
	s_lshl_b64 s[6:7], s[6:7], 1
	v_add_nc_u32_e32 v8, 6, v7
	v_mul_lo_u32 v3, v2, s0
	v_lshl_or_b32 v19, v74, 6, v0
	v_ashrrev_i32_e32 v2, 31, v1
	v_mul_lo_u32 v11, v4, s0
	v_mul_lo_u32 v25, v8, s0
	s_waitcnt lgkmcnt(0)
	s_add_u32 s1, s4, s6
	s_addc_u32 s2, s5, s7
	s_lshl_b32 s4, s14, 6
	v_lshlrev_b64 v[5:6], 1, v[1:2]
	s_ashr_i32 s5, s4, 31
	v_ashrrev_i32_e32 v4, 31, v3
	s_lshl_b64 s[4:5], s[4:5], 1
	v_ashrrev_i32_e32 v12, 31, v11
	s_add_u32 s1, s1, s4
	s_addc_u32 s2, s2, s5
	v_add_co_u32 v1, s1, s1, v73
	s_delay_alu instid0(VALU_DEP_1) | instskip(SKIP_1) | instid1(VALU_DEP_3)
	v_add_co_ci_u32_e64 v2, null, s2, 0, s1
	v_lshlrev_b64 v[3:4], 1, v[3:4]
	v_add_co_u32 v23, vcc_lo, v1, v5
	v_add_nc_u32_e32 v5, 8, v7
	s_delay_alu instid0(VALU_DEP_4) | instskip(NEXT) | instid1(VALU_DEP_4)
	v_add_co_ci_u32_e32 v24, vcc_lo, v2, v6, vcc_lo
	v_add_co_u32 v27, vcc_lo, v1, v3
	s_delay_alu instid0(VALU_DEP_3)
	v_mul_lo_u32 v29, v5, s0
	v_add_co_ci_u32_e32 v28, vcc_lo, v2, v4, vcc_lo
	ds_load_b128 v[3:6], v19
	ds_load_b128 v[7:10], v19 offset:128
	v_lshlrev_b64 v[31:32], 1, v[11:12]
	ds_load_b128 v[11:14], v19 offset:256
	ds_load_b128 v[15:18], v19 offset:384
	;; [unrolled: 1-line block ×3, first 2 shown]
	v_ashrrev_i32_e32 v26, 31, v25
	v_ashrrev_i32_e32 v30, 31, v29
	v_add_co_u32 v31, vcc_lo, v1, v31
	s_delay_alu instid0(VALU_DEP_3) | instskip(NEXT) | instid1(VALU_DEP_3)
	v_lshlrev_b64 v[25:26], 1, v[25:26]
	v_lshlrev_b64 v[29:30], 1, v[29:30]
	v_add_co_ci_u32_e32 v32, vcc_lo, v2, v32, vcc_lo
	s_delay_alu instid0(VALU_DEP_3) | instskip(NEXT) | instid1(VALU_DEP_4)
	v_add_co_u32 v25, vcc_lo, v1, v25
	v_add_co_ci_u32_e32 v26, vcc_lo, v2, v26, vcc_lo
	s_delay_alu instid0(VALU_DEP_4)
	v_add_co_u32 v29, vcc_lo, v1, v29
	v_add_co_ci_u32_e32 v30, vcc_lo, v2, v30, vcc_lo
	s_waitcnt lgkmcnt(4)
	global_store_b128 v[23:24], v[3:6], off
	s_waitcnt lgkmcnt(3)
	global_store_b128 v[27:28], v[7:10], off
	s_waitcnt lgkmcnt(2)
	global_store_b128 v[31:32], v[11:14], off
	s_waitcnt lgkmcnt(1)
	global_store_b128 v[25:26], v[15:18], off
	s_waitcnt lgkmcnt(0)
	global_store_b128 v[29:30], v[19:22], off
	s_and_b32 exec_lo, exec_lo, s3
	s_cbranch_execz .LBB1720_2
; %bb.112:
	ds_load_b128 v[3:6], v0 offset:640
	s_add_i32 s1, s31, 10
	s_delay_alu instid0(SALU_CYCLE_1) | instskip(NEXT) | instid1(SALU_CYCLE_1)
	s_mul_i32 s0, s1, s0
	s_ashr_i32 s1, s0, 31
	s_delay_alu instid0(SALU_CYCLE_1) | instskip(NEXT) | instid1(SALU_CYCLE_1)
	s_lshl_b64 s[0:1], s[0:1], 1
	v_add_co_u32 v0, vcc_lo, v1, s0
	v_add_co_ci_u32_e32 v1, vcc_lo, s1, v2, vcc_lo
	s_waitcnt lgkmcnt(0)
	global_store_b128 v[0:1], v[3:6], off
	s_nop 0
	s_sendmsg sendmsg(MSG_DEALLOC_VGPRS)
	s_endpgm
	.section	.rodata,"a",@progbits
	.p2align	6, 0x0
	.amdhsa_kernel _Z39paged_attention_ll4mi_QKV_mfma16_kernelI14__hip_bfloat16hLN4vllm18Fp8KVCacheDataTypeE1ES0_Li16ELi64ELi256ELb0ELi11EL8MFMAType0EEvPKT_PKT0_S9_ifPKiSB_SB_iPKfiiiPfSE_PS4_PT2_iSD_SD_
		.amdhsa_group_segment_fixed_size 17472
		.amdhsa_private_segment_fixed_size 0
		.amdhsa_kernarg_size 400
		.amdhsa_user_sgpr_count 13
		.amdhsa_user_sgpr_dispatch_ptr 0
		.amdhsa_user_sgpr_queue_ptr 0
		.amdhsa_user_sgpr_kernarg_segment_ptr 1
		.amdhsa_user_sgpr_dispatch_id 0
		.amdhsa_user_sgpr_private_segment_size 0
		.amdhsa_wavefront_size32 1
		.amdhsa_uses_dynamic_stack 0
		.amdhsa_enable_private_segment 0
		.amdhsa_system_sgpr_workgroup_id_x 1
		.amdhsa_system_sgpr_workgroup_id_y 1
		.amdhsa_system_sgpr_workgroup_id_z 1
		.amdhsa_system_sgpr_workgroup_info 0
		.amdhsa_system_vgpr_workitem_id 0
		.amdhsa_next_free_vgpr 124
		.amdhsa_next_free_sgpr 40
		.amdhsa_reserve_vcc 1
		.amdhsa_float_round_mode_32 0
		.amdhsa_float_round_mode_16_64 0
		.amdhsa_float_denorm_mode_32 3
		.amdhsa_float_denorm_mode_16_64 3
		.amdhsa_dx10_clamp 1
		.amdhsa_ieee_mode 1
		.amdhsa_fp16_overflow 0
		.amdhsa_workgroup_processor_mode 1
		.amdhsa_memory_ordered 1
		.amdhsa_forward_progress 0
		.amdhsa_shared_vgpr_count 0
		.amdhsa_exception_fp_ieee_invalid_op 0
		.amdhsa_exception_fp_denorm_src 0
		.amdhsa_exception_fp_ieee_div_zero 0
		.amdhsa_exception_fp_ieee_overflow 0
		.amdhsa_exception_fp_ieee_underflow 0
		.amdhsa_exception_fp_ieee_inexact 0
		.amdhsa_exception_int_div_zero 0
	.end_amdhsa_kernel
	.section	.text._Z39paged_attention_ll4mi_QKV_mfma16_kernelI14__hip_bfloat16hLN4vllm18Fp8KVCacheDataTypeE1ES0_Li16ELi64ELi256ELb0ELi11EL8MFMAType0EEvPKT_PKT0_S9_ifPKiSB_SB_iPKfiiiPfSE_PS4_PT2_iSD_SD_,"axG",@progbits,_Z39paged_attention_ll4mi_QKV_mfma16_kernelI14__hip_bfloat16hLN4vllm18Fp8KVCacheDataTypeE1ES0_Li16ELi64ELi256ELb0ELi11EL8MFMAType0EEvPKT_PKT0_S9_ifPKiSB_SB_iPKfiiiPfSE_PS4_PT2_iSD_SD_,comdat
.Lfunc_end1720:
	.size	_Z39paged_attention_ll4mi_QKV_mfma16_kernelI14__hip_bfloat16hLN4vllm18Fp8KVCacheDataTypeE1ES0_Li16ELi64ELi256ELb0ELi11EL8MFMAType0EEvPKT_PKT0_S9_ifPKiSB_SB_iPKfiiiPfSE_PS4_PT2_iSD_SD_, .Lfunc_end1720-_Z39paged_attention_ll4mi_QKV_mfma16_kernelI14__hip_bfloat16hLN4vllm18Fp8KVCacheDataTypeE1ES0_Li16ELi64ELi256ELb0ELi11EL8MFMAType0EEvPKT_PKT0_S9_ifPKiSB_SB_iPKfiiiPfSE_PS4_PT2_iSD_SD_
                                        ; -- End function
	.section	.AMDGPU.csdata,"",@progbits
; Kernel info:
; codeLenInByte = 8856
; NumSgprs: 42
; NumVgprs: 124
; ScratchSize: 0
; MemoryBound: 0
; FloatMode: 240
; IeeeMode: 1
; LDSByteSize: 17472 bytes/workgroup (compile time only)
; SGPRBlocks: 5
; VGPRBlocks: 15
; NumSGPRsForWavesPerEU: 42
; NumVGPRsForWavesPerEU: 124
; Occupancy: 10
; WaveLimiterHint : 1
; COMPUTE_PGM_RSRC2:SCRATCH_EN: 0
; COMPUTE_PGM_RSRC2:USER_SGPR: 13
; COMPUTE_PGM_RSRC2:TRAP_HANDLER: 0
; COMPUTE_PGM_RSRC2:TGID_X_EN: 1
; COMPUTE_PGM_RSRC2:TGID_Y_EN: 1
; COMPUTE_PGM_RSRC2:TGID_Z_EN: 1
; COMPUTE_PGM_RSRC2:TIDIG_COMP_CNT: 0
	.section	.text._Z39paged_attention_ll4mi_QKV_mfma16_kernelI14__hip_bfloat16hLN4vllm18Fp8KVCacheDataTypeE1ES0_Li16ELi64ELi256ELb0ELi12EL8MFMAType0EEvPKT_PKT0_S9_ifPKiSB_SB_iPKfiiiPfSE_PS4_PT2_iSD_SD_,"axG",@progbits,_Z39paged_attention_ll4mi_QKV_mfma16_kernelI14__hip_bfloat16hLN4vllm18Fp8KVCacheDataTypeE1ES0_Li16ELi64ELi256ELb0ELi12EL8MFMAType0EEvPKT_PKT0_S9_ifPKiSB_SB_iPKfiiiPfSE_PS4_PT2_iSD_SD_,comdat
	.protected	_Z39paged_attention_ll4mi_QKV_mfma16_kernelI14__hip_bfloat16hLN4vllm18Fp8KVCacheDataTypeE1ES0_Li16ELi64ELi256ELb0ELi12EL8MFMAType0EEvPKT_PKT0_S9_ifPKiSB_SB_iPKfiiiPfSE_PS4_PT2_iSD_SD_ ; -- Begin function _Z39paged_attention_ll4mi_QKV_mfma16_kernelI14__hip_bfloat16hLN4vllm18Fp8KVCacheDataTypeE1ES0_Li16ELi64ELi256ELb0ELi12EL8MFMAType0EEvPKT_PKT0_S9_ifPKiSB_SB_iPKfiiiPfSE_PS4_PT2_iSD_SD_
	.globl	_Z39paged_attention_ll4mi_QKV_mfma16_kernelI14__hip_bfloat16hLN4vllm18Fp8KVCacheDataTypeE1ES0_Li16ELi64ELi256ELb0ELi12EL8MFMAType0EEvPKT_PKT0_S9_ifPKiSB_SB_iPKfiiiPfSE_PS4_PT2_iSD_SD_
	.p2align	8
	.type	_Z39paged_attention_ll4mi_QKV_mfma16_kernelI14__hip_bfloat16hLN4vllm18Fp8KVCacheDataTypeE1ES0_Li16ELi64ELi256ELb0ELi12EL8MFMAType0EEvPKT_PKT0_S9_ifPKiSB_SB_iPKfiiiPfSE_PS4_PT2_iSD_SD_,@function
_Z39paged_attention_ll4mi_QKV_mfma16_kernelI14__hip_bfloat16hLN4vllm18Fp8KVCacheDataTypeE1ES0_Li16ELi64ELi256ELb0ELi12EL8MFMAType0EEvPKT_PKT0_S9_ifPKiSB_SB_iPKfiiiPfSE_PS4_PT2_iSD_SD_: ; @_Z39paged_attention_ll4mi_QKV_mfma16_kernelI14__hip_bfloat16hLN4vllm18Fp8KVCacheDataTypeE1ES0_Li16ELi64ELi256ELb0ELi12EL8MFMAType0EEvPKT_PKT0_S9_ifPKiSB_SB_iPKfiiiPfSE_PS4_PT2_iSD_SD_
; %bb.0:
	s_load_b64 s[2:3], s[0:1], 0x30
	s_mov_b32 s30, s13
	s_waitcnt lgkmcnt(0)
	s_cmp_lg_u64 s[2:3], 0
	s_cselect_b32 s8, -1, 0
	s_ashr_i32 s31, s13, 31
	s_cmp_eq_u64 s[2:3], 0
	s_cbranch_scc1 .LBB1721_3
; %bb.1:
	s_lshl_b64 s[4:5], s[30:31], 2
	s_delay_alu instid0(SALU_CYCLE_1) | instskip(SKIP_4) | instid1(SALU_CYCLE_1)
	s_add_u32 s4, s2, s4
	s_addc_u32 s5, s3, s5
	s_load_b64 s[4:5], s[4:5], 0x0
	s_waitcnt lgkmcnt(0)
	s_sub_i32 s4, s5, s4
	s_cmp_eq_u32 s4, 1
	s_cselect_b32 s4, -1, 0
	s_delay_alu instid0(SALU_CYCLE_1)
	s_and_not1_b32 vcc_lo, exec_lo, s4
	s_cbranch_vccz .LBB1721_4
.LBB1721_2:
	s_endpgm
.LBB1721_3:
.LBB1721_4:
	s_load_b64 s[4:5], s[0:1], 0x28
	s_lshl_b64 s[6:7], s[30:31], 2
	s_waitcnt lgkmcnt(0)
	s_add_u32 s4, s4, s6
	s_addc_u32 s5, s5, s7
	s_lshl_b32 s12, s14, 8
	s_load_b32 s24, s[4:5], 0x0
	s_waitcnt lgkmcnt(0)
	s_cmp_ge_i32 s12, s24
	s_cbranch_scc1 .LBB1721_2
; %bb.5:
	s_clause 0x1
	s_load_b128 s[20:23], s[0:1], 0x8
	s_load_b64 s[4:5], s[0:1], 0x20
	s_and_not1_b32 vcc_lo, exec_lo, s8
	s_cbranch_vccnz .LBB1721_7
; %bb.6:
	s_add_u32 s2, s2, s6
	s_addc_u32 s3, s3, s7
	s_load_b32 s3, s[2:3], 0x0
	s_branch .LBB1721_8
.LBB1721_7:
	s_mov_b32 s3, s30
.LBB1721_8:
	s_load_b128 s[16:19], s[0:1], 0x48
	v_and_b32_e32 v65, 15, v0
	v_cmp_gt_u32_e32 vcc_lo, 0xc0, v0
	v_lshrrev_b32_e32 v66, 5, v0
	v_and_b32_e32 v67, 31, v0
	v_and_b32_e32 v75, 1, v0
	v_lshlrev_b32_e32 v1, 3, v65
	v_cmp_gt_u32_e64 s2, 8, v65
	v_bfe_u32 v74, v0, 4, 1
	s_mul_i32 s31, s15, 12
	s_delay_alu instid0(VALU_DEP_3) | instskip(NEXT) | instid1(VALU_DEP_3)
	v_lshlrev_b32_e32 v73, 1, v1
	s_and_b32 s7, vcc_lo, s2
	s_delay_alu instid0(SALU_CYCLE_1)
	s_and_saveexec_b32 s6, s7
	s_cbranch_execz .LBB1721_10
; %bb.9:
	s_load_b64 s[8:9], s[0:1], 0x0
	v_lshl_or_b32 v5, v66, 1, v74
	s_waitcnt lgkmcnt(0)
	s_mul_hi_i32 s11, s3, s16
	s_mul_i32 s10, s3, s16
	v_lshlrev_b32_e32 v6, 10, v65
	s_lshl_b64 s[10:11], s[10:11], 1
	v_add_lshl_u32 v1, v5, s31, 6
	v_lshlrev_b32_e32 v5, 6, v5
	v_lshlrev_b32_e32 v7, 10, v75
	v_and_b32_e32 v6, 0x3800, v6
	s_delay_alu instid0(VALU_DEP_4) | instskip(NEXT) | instid1(VALU_DEP_2)
	v_ashrrev_i32_e32 v2, 31, v1
	v_or3_b32 v5, v6, v7, v5
	s_delay_alu instid0(VALU_DEP_2) | instskip(SKIP_2) | instid1(VALU_DEP_1)
	v_lshlrev_b64 v[1:2], 1, v[1:2]
	s_add_u32 s3, s8, s10
	s_addc_u32 s7, s9, s11
	v_add_co_u32 v1, vcc_lo, s3, v1
	s_delay_alu instid0(VALU_DEP_2) | instskip(NEXT) | instid1(VALU_DEP_2)
	v_add_co_ci_u32_e32 v2, vcc_lo, s7, v2, vcc_lo
	v_add_co_u32 v1, vcc_lo, v1, v73
	s_delay_alu instid0(VALU_DEP_2)
	v_add_co_ci_u32_e32 v2, vcc_lo, 0, v2, vcc_lo
	global_load_b128 v[1:4], v[1:2], off
	s_waitcnt vmcnt(0)
	ds_store_b128 v5, v[1:4]
.LBB1721_10:
	s_or_b32 exec_lo, exec_lo, s6
	v_and_b32_e32 v1, 0xef, v0
	s_waitcnt lgkmcnt(0)
	s_add_i32 s3, s24, 15
	s_clause 0x1
	s_load_b32 s6, s[0:1], 0x38
	s_load_b32 s19, s[0:1], 0x1c
	s_ashr_i32 s7, s3, 31
	v_add_nc_u32_e32 v1, s12, v1
	s_lshr_b32 s7, s7, 28
	s_waitcnt lgkmcnt(0)
	s_add_i32 s3, s3, s7
	s_barrier
	v_ashrrev_i32_e32 v2, 31, v1
	v_or_b32_e32 v3, 16, v1
	s_ashr_i32 s3, s3, 4
	v_cmp_gt_i32_e32 vcc_lo, s24, v1
	s_add_i32 s3, s3, -1
	v_lshrrev_b32_e32 v2, 28, v2
	buffer_gl0_inv
	s_mul_i32 s27, s15, s18
	v_add_nc_u32_e32 v4, v1, v2
	s_mul_i32 s6, s30, s6
	s_delay_alu instid0(SALU_CYCLE_1) | instskip(NEXT) | instid1(VALU_DEP_1)
	s_ashr_i32 s7, s6, 31
	v_ashrrev_i32_e32 v4, 4, v4
	v_add_nc_u32_e32 v2, v3, v2
	s_lshl_b64 s[6:7], s[6:7], 2
	s_delay_alu instid0(SALU_CYCLE_1) | instskip(NEXT) | instid1(VALU_DEP_2)
	s_add_u32 s26, s4, s6
	v_cndmask_b32_e32 v1, s3, v4, vcc_lo
	s_delay_alu instid0(VALU_DEP_2)
	v_ashrrev_i32_e32 v2, 4, v2
	v_cmp_gt_i32_e32 vcc_lo, s24, v3
	s_addc_u32 s25, s5, s7
	s_ashr_i32 s28, s27, 31
	s_add_u32 s13, s20, s27
	s_addc_u32 s15, s21, s28
	v_cndmask_b32_e32 v3, s3, v2, vcc_lo
	v_ashrrev_i32_e32 v2, 31, v1
	s_lshl_b32 s4, s14, 4
	s_delay_alu instid0(SALU_CYCLE_1) | instskip(NEXT) | instid1(VALU_DEP_2)
	s_ashr_i32 s5, s4, 31
	v_ashrrev_i32_e32 v4, 31, v3
	s_delay_alu instid0(VALU_DEP_2) | instskip(SKIP_1) | instid1(SALU_CYCLE_1)
	v_lshlrev_b64 v[1:2], 2, v[1:2]
	s_lshl_b64 s[4:5], s[4:5], 2
	s_add_u32 s4, s26, s4
	s_delay_alu instid0(VALU_DEP_2) | instskip(SKIP_1) | instid1(VALU_DEP_2)
	v_lshlrev_b64 v[3:4], 2, v[3:4]
	s_addc_u32 s5, s25, s5
	v_add_co_u32 v1, vcc_lo, s26, v1
	v_add_co_ci_u32_e32 v2, vcc_lo, s25, v2, vcc_lo
	s_delay_alu instid0(VALU_DEP_3) | instskip(NEXT) | instid1(VALU_DEP_4)
	v_add_co_u32 v3, vcc_lo, s26, v3
	v_add_co_ci_u32_e32 v4, vcc_lo, s25, v4, vcc_lo
	s_clause 0x1
	global_load_b32 v5, v[1:2], off
	global_load_b32 v7, v[3:4], off
	s_or_b32 s6, s12, 32
	v_lshlrev_b32_e32 v1, 4, v0
	s_ashr_i32 s7, s6, 4
	s_cmp_lt_i32 s6, s24
	v_cmp_gt_u32_e32 vcc_lo, 12, v65
	s_cselect_b32 s6, s7, s3
	v_and_b32_e32 v1, 0xf0, v1
	s_ashr_i32 s7, s6, 31
	s_delay_alu instid0(SALU_CYCLE_1) | instskip(NEXT) | instid1(SALU_CYCLE_1)
	s_lshl_b64 s[6:7], s[6:7], 2
	s_add_u32 s6, s26, s6
	s_addc_u32 s7, s25, s7
	s_or_b32 s8, s12, 64
	v_add_co_u32 v1, s13, s13, v1
	s_ashr_i32 s9, s8, 4
	s_cmp_lt_i32 s8, s24
	v_add_co_ci_u32_e64 v2, null, s15, 0, s13
	s_cselect_b32 s8, s9, s3
	s_delay_alu instid0(SALU_CYCLE_1) | instskip(NEXT) | instid1(SALU_CYCLE_1)
	s_ashr_i32 s9, s8, 31
	s_lshl_b64 s[8:9], s[8:9], 2
	s_delay_alu instid0(SALU_CYCLE_1) | instskip(SKIP_2) | instid1(SALU_CYCLE_1)
	s_add_u32 s8, s26, s8
	s_addc_u32 s9, s25, s9
	s_or_b32 s10, s12, 0x60
	s_ashr_i32 s11, s10, 4
	s_cmp_lt_i32 s10, s24
	s_cselect_b32 s10, s11, s3
	s_delay_alu instid0(SALU_CYCLE_1) | instskip(NEXT) | instid1(SALU_CYCLE_1)
	s_ashr_i32 s11, s10, 31
	s_lshl_b64 s[10:11], s[10:11], 2
	s_delay_alu instid0(SALU_CYCLE_1) | instskip(SKIP_2) | instid1(SALU_CYCLE_1)
	s_add_u32 s10, s26, s10
	s_addc_u32 s11, s25, s11
	s_or_b32 s16, s12, 0x80
	s_ashr_i32 s18, s16, 4
	s_cmp_lt_i32 s16, s24
	s_cselect_b32 s20, s18, s3
	s_delay_alu instid0(SALU_CYCLE_1) | instskip(NEXT) | instid1(SALU_CYCLE_1)
	s_ashr_i32 s21, s20, 31
	s_lshl_b64 s[20:21], s[20:21], 2
	s_delay_alu instid0(SALU_CYCLE_1) | instskip(SKIP_2) | instid1(SALU_CYCLE_1)
	s_add_u32 s34, s26, s20
	s_addc_u32 s35, s25, s21
	s_or_b32 s16, s12, 0xa0
	s_ashr_i32 s18, s16, 4
	s_cmp_lt_i32 s16, s24
	s_cselect_b32 s20, s18, s3
	s_delay_alu instid0(SALU_CYCLE_1) | instskip(NEXT) | instid1(SALU_CYCLE_1)
	s_ashr_i32 s21, s20, 31
	s_lshl_b64 s[20:21], s[20:21], 2
	s_delay_alu instid0(SALU_CYCLE_1)
	s_add_u32 s36, s26, s20
	s_addc_u32 s37, s25, s21
	s_clause 0x5
	s_load_b32 s21, s[4:5], 0x0
	s_load_b32 s13, s[6:7], 0x0
	s_load_b32 s15, s[8:9], 0x0
	s_load_b32 s16, s[10:11], 0x0
	s_load_b32 s18, s[34:35], 0x0
	s_load_b32 s20, s[36:37], 0x0
	s_or_b32 s8, s12, 0xc0
	s_mov_b32 s4, 0
	s_ashr_i32 s9, s8, 4
	s_cmp_lt_i32 s8, s24
	s_mov_b32 s11, s4
	s_cselect_b32 s34, s9, s3
	s_mov_b32 s5, s4
	s_ashr_i32 s35, s34, 31
	s_mov_b32 s6, s4
	s_lshl_b64 s[34:35], s[34:35], 2
	s_mov_b32 s7, s4
	s_add_u32 s34, s26, s34
	s_addc_u32 s35, s25, s35
	s_or_b32 s29, s12, 0xe0
	s_mov_b32 s8, s4
	s_ashr_i32 s33, s29, 4
	s_mov_b32 s9, s4
	s_mov_b32 s10, s4
	s_cmp_lt_i32 s29, s24
	v_dual_mov_b32 v107, s11 :: v_dual_mov_b32 v100, s4
	v_mov_b32_e32 v106, s10
	v_dual_mov_b32 v104, s8 :: v_dual_mov_b32 v103, s7
	v_dual_mov_b32 v102, s6 :: v_dual_mov_b32 v101, s5
	s_waitcnt vmcnt(1)
	v_mad_i64_i32 v[3:4], null, v5, s17, v[1:2]
	s_waitcnt vmcnt(0)
	v_mad_i64_i32 v[5:6], null, v7, s17, v[1:2]
	v_add_nc_u32_e32 v1, -12, v65
	v_lshlrev_b32_e32 v2, 4, v65
	s_clause 0x7
	global_load_b128 v[49:52], v[3:4], off
	global_load_b128 v[53:56], v[3:4], off offset:256
	global_load_b128 v[76:79], v[5:6], off
	global_load_b128 v[80:83], v[5:6], off offset:256
	global_load_b128 v[84:87], v[3:4], off offset:512
	;; [unrolled: 1-line block ×5, first 2 shown]
	v_cndmask_b32_e32 v1, v1, v65, vcc_lo
	v_mov_b32_e32 v105, s9
	s_cselect_b32 s4, s33, s3
	v_lshl_or_b32 v2, v66, 8, v2
	s_ashr_i32 s5, s4, 31
	v_lshlrev_b32_e32 v70, 6, v1
	s_lshl_b64 s[4:5], s[4:5], 2
	s_load_b32 s3, s[34:35], 0x0
	s_add_u32 s4, s26, s4
	s_addc_u32 s5, s25, s5
	ds_load_b128 v[108:111], v70
	ds_load_b128 v[112:115], v70 offset:1024
	s_load_b32 s4, s[4:5], 0x0
	s_add_u32 s6, s22, s27
	s_addc_u32 s7, s23, s28
	v_add_co_u32 v9, s6, s6, v2
	s_delay_alu instid0(VALU_DEP_1) | instskip(SKIP_1) | instid1(VALU_DEP_1)
	v_add_co_ci_u32_e64 v10, null, s7, 0, s6
	s_waitcnt lgkmcnt(0)
	v_mad_i64_i32 v[1:2], null, s21, s17, v[9:10]
	v_mad_i64_i32 v[3:4], null, s13, s17, v[9:10]
	;; [unrolled: 1-line block ×7, first 2 shown]
	s_clause 0x9
	global_load_b128 v[57:60], v[1:2], off
	global_load_b128 v[61:64], v[1:2], off offset:16
	global_load_b128 v[41:44], v[3:4], off
	global_load_b128 v[45:48], v[3:4], off offset:16
	;; [unrolled: 2-line block ×5, first 2 shown]
	v_mad_i64_i32 v[68:69], null, s4, s17, v[9:10]
	s_clause 0x3
	global_load_b128 v[9:12], v[13:14], off
	global_load_b128 v[13:16], v[13:14], off offset:16
	global_load_b128 v[17:20], v[21:22], off
	global_load_b128 v[21:24], v[21:22], off offset:16
	s_waitcnt vmcnt(20)
	v_wmma_f32_16x16x16_bf16 v[116:123], v[49:56], v[108:115], v[100:107]
	s_clause 0x1
	global_load_b128 v[49:52], v[68:69], off
	global_load_b128 v[53:56], v[68:69], off offset:16
	v_and_b32_e32 v68, 0xe0, v0
	v_mbcnt_lo_u32_b32 v69, -1, 0
	s_delay_alu instid0(VALU_DEP_2)
	v_add_nc_u32_e32 v68, s12, v68
	s_waitcnt vmcnt(20)
	v_wmma_f32_16x16x16_bf16 v[100:107], v[76:83], v[108:115], v[100:107]
	ds_load_b128 v[76:79], v70 offset:2048
	ds_load_b128 v[80:83], v70 offset:3072
	v_xor_b32_e32 v70, 16, v69
	s_waitcnt vmcnt(0) lgkmcnt(0)
	v_or_b32_e32 v68, v68, v74
	s_barrier
	buffer_gl0_inv
	v_cmp_gt_i32_e32 vcc_lo, 32, v70
	v_or_b32_e32 v71, 4, v68
	v_or_b32_e32 v72, 6, v68
	v_cmp_gt_i32_e64 s3, s24, v68
	v_or_b32_e32 v108, 8, v68
	v_or_b32_e32 v109, 10, v68
	v_cmp_gt_i32_e64 s4, s24, v71
	v_cmp_gt_i32_e64 s5, s24, v72
	s_delay_alu instid0(VALU_DEP_4) | instskip(NEXT) | instid1(VALU_DEP_4)
	v_cmp_gt_i32_e64 s6, s24, v108
	v_cmp_gt_i32_e64 s7, s24, v109
	v_wmma_f32_16x16x16_bf16 v[116:123], v[84:91], v[76:83], v[116:123]
	v_cndmask_b32_e32 v69, v69, v70, vcc_lo
	v_or_b32_e32 v70, 2, v68
	v_wmma_f32_16x16x16_bf16 v[100:107], v[92:99], v[76:83], v[100:107]
	v_or_b32_e32 v89, 22, v68
	v_dual_mul_f32 v82, s19, v119 :: v_dual_mul_f32 v79, s19, v122
	v_dual_mul_f32 v92, s19, v117 :: v_dual_mul_f32 v93, s19, v116
	s_delay_alu instid0(VALU_DEP_4) | instskip(SKIP_2) | instid1(VALU_DEP_4)
	v_mul_f32_e32 v98, s19, v103
	v_cmp_gt_i32_e32 vcc_lo, s24, v70
	v_dual_mul_f32 v83, s19, v118 :: v_dual_mul_f32 v96, s19, v105
	v_cndmask_b32_e64 v93, 0xff7fffff, v93, s3
	v_or_b32_e32 v84, 12, v68
	v_cndmask_b32_e32 v92, 0xff7fffff, v92, vcc_lo
	v_or_b32_e32 v85, 14, v68
	v_dual_mul_f32 v80, s19, v121 :: v_dual_mul_f32 v81, s19, v120
	v_mul_f32_e32 v94, s19, v107
	v_cndmask_b32_e64 v71, 0xff7fffff, v83, s4
	v_cndmask_b32_e64 v72, 0xff7fffff, v82, s5
	v_cmp_gt_i32_e64 s13, s24, v89
	v_lshlrev_b32_e32 v89, 2, v69
	v_max3_f32 v82, v93, 0xff7fffff, v92
	v_or_b32_e32 v86, 16, v68
	v_or_b32_e32 v87, 18, v68
	v_mul_f32_e32 v78, s19, v123
	v_cndmask_b32_e64 v81, 0xff7fffff, v81, s6
	v_cndmask_b32_e64 v80, 0xff7fffff, v80, s7
	v_max3_f32 v71, v82, v71, v72
	v_cmp_gt_i32_e64 s8, s24, v84
	v_cmp_gt_i32_e64 s9, s24, v85
	v_or_b32_e32 v88, 20, v68
	v_or_b32_e32 v90, 24, v68
	;; [unrolled: 1-line block ×5, first 2 shown]
	v_dual_mul_f32 v95, s19, v106 :: v_dual_mul_f32 v70, s19, v101
	v_dual_mul_f32 v99, s19, v102 :: v_dual_mul_f32 v68, s19, v100
	v_cndmask_b32_e64 v72, 0xff7fffff, v79, s8
	v_cndmask_b32_e64 v78, 0xff7fffff, v78, s9
	v_max3_f32 v71, v71, v81, v80
	v_cmp_gt_i32_e64 s10, s24, v86
	v_cmp_gt_i32_e64 s11, s24, v87
	;; [unrolled: 1-line block ×3, first 2 shown]
	v_mul_f32_e32 v97, s19, v104
	v_max3_f32 v71, v71, v72, v78
	v_cndmask_b32_e64 v68, 0xff7fffff, v68, s10
	v_cndmask_b32_e64 v70, 0xff7fffff, v70, s11
	;; [unrolled: 1-line block ×4, first 2 shown]
	v_cmp_gt_i32_e64 s15, s24, v90
	v_cmp_gt_i32_e64 s16, s24, v91
	v_max3_f32 v68, v71, v68, v70
	v_cmp_gt_i32_e64 s17, s24, v76
	v_cmp_gt_i32_e64 s18, s24, v77
	v_cndmask_b32_e64 v70, 0xff7fffff, v97, s15
	v_cndmask_b32_e64 v71, 0xff7fffff, v96, s16
	v_max3_f32 v68, v68, v72, v78
	v_cndmask_b32_e64 v72, 0xff7fffff, v95, s17
	v_cndmask_b32_e64 v76, 0xff7fffff, v94, s18
	s_delay_alu instid0(VALU_DEP_3) | instskip(NEXT) | instid1(VALU_DEP_1)
	v_max3_f32 v68, v68, v70, v71
	v_max3_f32 v68, v68, v72, v76
	ds_bpermute_b32 v69, v89, v68
	s_waitcnt lgkmcnt(0)
	v_max_f32_e32 v69, v69, v69
	s_delay_alu instid0(VALU_DEP_1) | instskip(NEXT) | instid1(VALU_DEP_1)
	v_max_f32_e32 v68, v68, v69
	v_fma_f32 v69, s19, v116, -v68
	v_fma_f32 v70, s19, v117, -v68
	;; [unrolled: 1-line block ×5, first 2 shown]
	s_delay_alu instid0(VALU_DEP_4) | instskip(NEXT) | instid1(VALU_DEP_4)
	v_dual_mul_f32 v69, 0x3fb8aa3b, v69 :: v_dual_mul_f32 v70, 0x3fb8aa3b, v70
	v_mul_f32_e32 v72, 0x3fb8aa3b, v72
	v_fma_f32 v78, s19, v122, -v68
	s_delay_alu instid0(VALU_DEP_4) | instskip(NEXT) | instid1(VALU_DEP_4)
	v_mul_f32_e32 v77, 0x3fb8aa3b, v76
	v_exp_f32_e32 v69, v69
	v_exp_f32_e32 v70, v70
	v_mul_f32_e32 v71, 0x3fb8aa3b, v71
	v_exp_f32_e32 v72, v72
	v_mul_f32_e32 v78, 0x3fb8aa3b, v78
	v_exp_f32_e32 v77, v77
	v_fma_f32 v81, s19, v105, -v68
	s_delay_alu instid0(VALU_DEP_2)
	v_exp_f32_e32 v78, v78
	v_cndmask_b32_e64 v80, 0, v69, s3
	v_cndmask_b32_e32 v76, 0, v70, vcc_lo
	v_exp_f32_e32 v71, v71
	v_fma_f32 v69, s19, v121, -v68
	v_cndmask_b32_e64 v85, 0, v72, s5
	v_add_f32_e32 v70, 0, v80
	s_delay_alu instid0(TRANS32_DEP_3)
	v_cndmask_b32_e64 v86, 0, v77, s6
	v_fma_f32 v77, s19, v101, -v68
	v_mul_f32_e32 v69, 0x3fb8aa3b, v69
	v_fma_f32 v72, s19, v100, -v68
	v_cndmask_b32_e64 v84, 0, v78, s8
	v_fma_f32 v78, s19, v103, -v68
	v_cndmask_b32_e64 v83, 0, v71, s4
	v_fma_f32 v71, s19, v123, -v68
	v_add_f32_e32 v70, v70, v76
	v_exp_f32_e32 v69, v69
	v_mul_f32_e32 v77, 0x3fb8aa3b, v77
	v_mul_f32_e32 v81, 0x3fb8aa3b, v81
	;; [unrolled: 1-line block ×3, first 2 shown]
	v_add_f32_e32 v70, v70, v83
	s_mov_b32 s3, exec_lo
	v_exp_f32_e32 v77, v77
	v_exp_f32_e32 v81, v81
	;; [unrolled: 1-line block ×3, first 2 shown]
	v_cndmask_b32_e64 v87, 0, v69, s7
	v_add_f32_e32 v70, v70, v85
	s_delay_alu instid0(VALU_DEP_1) | instskip(SKIP_1) | instid1(VALU_DEP_2)
	v_dual_mul_f32 v72, 0x3fb8aa3b, v72 :: v_dual_add_f32 v69, v70, v86
	v_fma_f32 v70, s19, v102, -v68
	v_exp_f32_e32 v72, v72
	s_waitcnt_depctr 0xfff
	v_cndmask_b32_e64 v88, 0, v71, s9
	v_fma_f32 v71, s19, v104, -v68
	v_dual_add_f32 v69, v69, v87 :: v_dual_mul_f32 v70, 0x3fb8aa3b, v70
	s_delay_alu instid0(VALU_DEP_2) | instskip(NEXT) | instid1(VALU_DEP_2)
	v_dual_mul_f32 v78, 0x3fb8aa3b, v78 :: v_dual_mul_f32 v71, 0x3fb8aa3b, v71
	v_add_f32_e32 v69, v69, v84
	s_delay_alu instid0(VALU_DEP_3) | instskip(SKIP_1) | instid1(VALU_DEP_3)
	v_exp_f32_e32 v79, v70
	v_cndmask_b32_e64 v70, 0, v72, s10
	v_exp_f32_e32 v78, v78
	v_exp_f32_e32 v82, v71
	v_add_f32_e32 v72, v69, v88
	v_cndmask_b32_e64 v69, 0, v77, s11
	v_fma_f32 v77, s19, v106, -v68
	s_delay_alu instid0(VALU_DEP_3) | instskip(NEXT) | instid1(TRANS32_DEP_3)
	v_add_f32_e32 v72, v72, v70
	v_cndmask_b32_e64 v71, 0, v79, s12
	s_delay_alu instid0(VALU_DEP_3) | instskip(NEXT) | instid1(VALU_DEP_3)
	v_mul_f32_e32 v77, 0x3fb8aa3b, v77
	v_add_f32_e32 v79, v72, v69
	s_delay_alu instid0(TRANS32_DEP_2) | instskip(NEXT) | instid1(VALU_DEP_3)
	v_cndmask_b32_e64 v72, 0, v78, s13
	v_exp_f32_e32 v90, v77
	v_cndmask_b32_e64 v77, 0, v82, s15
	s_delay_alu instid0(VALU_DEP_3) | instskip(SKIP_1) | instid1(VALU_DEP_1)
	v_add_f32_e32 v78, v79, v71
	v_fma_f32 v79, s19, v107, -v68
	v_dual_add_f32 v82, v78, v72 :: v_dual_mul_f32 v79, 0x3fb8aa3b, v79
	v_cndmask_b32_e64 v78, 0, v81, s16
	s_delay_alu instid0(VALU_DEP_2) | instskip(NEXT) | instid1(VALU_DEP_3)
	v_add_f32_e32 v81, v82, v77
	v_exp_f32_e32 v82, v79
	s_delay_alu instid0(TRANS32_DEP_2) | instskip(NEXT) | instid1(VALU_DEP_2)
	v_cndmask_b32_e64 v79, 0, v90, s17
	v_add_f32_e32 v81, v81, v78
	s_delay_alu instid0(VALU_DEP_1) | instskip(SKIP_2) | instid1(VALU_DEP_1)
	v_add_f32_e32 v90, v81, v79
	s_waitcnt_depctr 0xfff
	v_cndmask_b32_e64 v81, 0, v82, s18
	v_add_f32_e32 v82, v90, v81
	ds_bpermute_b32 v89, v89, v82
	v_cmpx_gt_u32_e32 16, v67
	s_cbranch_execz .LBB1721_12
; %bb.11:
	v_mul_u32_u24_e32 v67, 0x44, v66
	s_delay_alu instid0(VALU_DEP_1) | instskip(SKIP_1) | instid1(VALU_DEP_1)
	v_lshl_add_u32 v67, v65, 2, v67
	s_waitcnt lgkmcnt(0)
	v_dual_add_f32 v82, v82, v89 :: v_dual_add_nc_u32 v67, 0x4000, v67
	ds_store_2addr_b32 v67, v68, v82 offset1:136
.LBB1721_12:
	s_or_b32 exec_lo, exec_lo, s3
	v_lshlrev_b32_e32 v67, 2, v65
	s_waitcnt lgkmcnt(0)
	s_barrier
	buffer_gl0_inv
	v_cmp_eq_u32_e32 vcc_lo, 1, v66
	v_add_nc_u32_e32 v82, 0x4000, v67
	v_cmp_eq_u32_e64 s3, 2, v66
	v_cmp_eq_u32_e64 s5, 7, v66
	ds_load_2addr_b32 v[89:90], v82 offset1:17
	ds_load_2addr_b32 v[91:92], v82 offset0:34 offset1:51
	ds_load_2addr_b32 v[93:94], v82 offset0:68 offset1:85
	;; [unrolled: 1-line block ×4, first 2 shown]
	s_waitcnt lgkmcnt(4)
	v_max3_f32 v67, v89, 0xff7fffff, v90
	s_waitcnt lgkmcnt(3)
	s_delay_alu instid0(VALU_DEP_1) | instskip(SKIP_1) | instid1(VALU_DEP_1)
	v_max3_f32 v67, v67, v91, v92
	s_waitcnt lgkmcnt(2)
	v_max3_f32 v67, v67, v93, v94
	s_waitcnt lgkmcnt(1)
	s_delay_alu instid0(VALU_DEP_1) | instskip(NEXT) | instid1(VALU_DEP_1)
	v_max3_f32 v67, v67, v95, v96
	v_sub_f32_e32 v93, v93, v67
	s_delay_alu instid0(VALU_DEP_1) | instskip(NEXT) | instid1(VALU_DEP_1)
	v_dual_sub_f32 v68, v89, v67 :: v_dual_mul_f32 v103, 0x3fb8aa3b, v93
	v_mul_f32_e32 v68, 0x3fb8aa3b, v68
	s_delay_alu instid0(VALU_DEP_1)
	v_exp_f32_e32 v100, v68
	v_sub_f32_e32 v68, v92, v67
	v_sub_f32_e32 v99, v90, v67
	ds_load_2addr_b32 v[89:90], v82 offset0:170 offset1:187
	v_dual_mul_f32 v102, 0x3fb8aa3b, v68 :: v_dual_mul_f32 v99, 0x3fb8aa3b, v99
	s_waitcnt lgkmcnt(1)
	v_fma_f32 v68, v100, v97, 0
	s_delay_alu instid0(VALU_DEP_2) | instskip(NEXT) | instid1(VALU_DEP_2)
	v_exp_f32_e32 v102, v102
	v_exp_f32_e32 v99, v99
	s_waitcnt_depctr 0xfff
	v_fmac_f32_e32 v68, v99, v98
	v_sub_f32_e32 v91, v91, v67
	s_delay_alu instid0(VALU_DEP_1)
	v_mul_f32_e32 v101, 0x3fb8aa3b, v91
	ds_load_2addr_b32 v[91:92], v82 offset0:204 offset1:221
	v_sub_f32_e32 v97, v94, v67
	ds_load_2addr_b32 v[93:94], v82 offset0:238 offset1:255
	s_waitcnt lgkmcnt(0)
	v_exp_f32_e32 v101, v101
	s_barrier
	buffer_gl0_inv
	v_dual_fmac_f32 v68, v101, v89 :: v_dual_sub_f32 v89, v96, v67
	v_dual_sub_f32 v82, v95, v67 :: v_dual_mul_f32 v95, 0x3fb8aa3b, v97
	v_exp_f32_e32 v97, v103
	s_delay_alu instid0(VALU_DEP_2) | instskip(NEXT) | instid1(VALU_DEP_2)
	v_dual_fmac_f32 v68, v102, v90 :: v_dual_mul_f32 v89, 0x3fb8aa3b, v89
	v_mul_f32_e32 v82, 0x3fb8aa3b, v82
	s_delay_alu instid0(VALU_DEP_3) | instskip(NEXT) | instid1(VALU_DEP_2)
	v_exp_f32_e32 v95, v95
	v_exp_f32_e32 v89, v89
	s_delay_alu instid0(VALU_DEP_1)
	v_exp_f32_e32 v82, v82
	v_fmac_f32_e32 v68, v97, v91
	s_delay_alu instid0(TRANS32_DEP_3) | instid1(VALU_DEP_1)
	v_fmac_f32_e32 v68, v95, v92
	s_waitcnt_depctr 0xfff
	v_fmac_f32_e32 v68, v82, v93
	s_delay_alu instid0(VALU_DEP_1) | instskip(NEXT) | instid1(VALU_DEP_1)
	v_fmac_f32_e32 v68, v89, v94
	v_add_f32_e32 v90, 0x358637bd, v68
	s_delay_alu instid0(VALU_DEP_1) | instskip(NEXT) | instid1(VALU_DEP_1)
	v_div_scale_f32 v91, null, v90, v90, 1.0
	v_rcp_f32_e32 v92, v91
	s_waitcnt_depctr 0xfff
	v_fma_f32 v93, -v91, v92, 1.0
	s_delay_alu instid0(VALU_DEP_1) | instskip(SKIP_1) | instid1(VALU_DEP_2)
	v_dual_fmac_f32 v92, v93, v92 :: v_dual_cndmask_b32 v93, v100, v99
	v_cmp_eq_u32_e32 vcc_lo, 3, v66
	v_cndmask_b32_e64 v93, v93, v101, s3
	v_cmp_eq_u32_e64 s3, 4, v66
	s_delay_alu instid0(VALU_DEP_2) | instskip(SKIP_1) | instid1(VALU_DEP_2)
	v_cndmask_b32_e32 v93, v93, v102, vcc_lo
	v_cmp_eq_u32_e32 vcc_lo, 5, v66
	v_cndmask_b32_e64 v93, v93, v97, s3
	v_cmp_eq_u32_e64 s3, 6, v66
	s_delay_alu instid0(VALU_DEP_2) | instskip(SKIP_1) | instid1(VALU_DEP_1)
	v_cndmask_b32_e32 v93, v93, v95, vcc_lo
	v_div_scale_f32 v94, s4, 1.0, v90, 1.0
	s_mov_b32 vcc_lo, s4
	s_delay_alu instid0(VALU_DEP_2) | instskip(NEXT) | instid1(VALU_DEP_2)
	v_cndmask_b32_e64 v82, v93, v82, s3
	v_mul_f32_e32 v96, v94, v92
	s_mov_b32 s3, exec_lo
	s_delay_alu instid0(VALU_DEP_2) | instskip(NEXT) | instid1(VALU_DEP_2)
	v_cndmask_b32_e64 v82, v82, v89, s5
	v_fma_f32 v98, -v91, v96, v94
	s_delay_alu instid0(VALU_DEP_1) | instskip(NEXT) | instid1(VALU_DEP_1)
	v_fmac_f32_e32 v96, v98, v92
	v_fma_f32 v91, -v91, v96, v94
	s_delay_alu instid0(VALU_DEP_1) | instskip(NEXT) | instid1(VALU_DEP_1)
	v_div_fmas_f32 v91, v91, v92, v96
	v_div_fixup_f32 v90, v91, v90, 1.0
	s_delay_alu instid0(VALU_DEP_1) | instskip(NEXT) | instid1(VALU_DEP_1)
	v_mul_f32_e32 v82, v82, v90
	v_mul_f32_e32 v87, v82, v87
	;; [unrolled: 1-line block ×7, first 2 shown]
	v_dual_mul_f32 v86, v82, v83 :: v_dual_and_b32 v91, 0x7f800000, v90
	v_mul_f32_e32 v85, v82, v76
                                        ; implicit-def: $vgpr76
	s_delay_alu instid0(VALU_DEP_2)
	v_cmpx_ne_u32_e32 0x7f800000, v91
	s_xor_b32 s3, exec_lo, s3
; %bb.13:
	v_bfe_u32 v76, v90, 16, 1
	s_delay_alu instid0(VALU_DEP_1)
	v_add3_u32 v76, v90, v76, 0x7fff
                                        ; implicit-def: $vgpr90
; %bb.14:
	s_and_not1_saveexec_b32 s3, s3
; %bb.15:
	v_and_b32_e32 v76, 0xffff, v90
	v_or_b32_e32 v83, 0x10000, v90
	s_delay_alu instid0(VALU_DEP_2) | instskip(NEXT) | instid1(VALU_DEP_2)
	v_cmp_eq_u32_e32 vcc_lo, 0, v76
	v_cndmask_b32_e32 v76, v83, v90, vcc_lo
; %bb.16:
	s_or_b32 exec_lo, exec_lo, s3
	v_and_b32_e32 v83, 0x7f800000, v85
	s_delay_alu instid0(VALU_DEP_1) | instskip(SKIP_1) | instid1(SALU_CYCLE_1)
	v_cmp_ne_u32_e32 vcc_lo, 0x7f800000, v83
                                        ; implicit-def: $vgpr83
	s_and_saveexec_b32 s3, vcc_lo
	s_xor_b32 s3, exec_lo, s3
; %bb.17:
	v_bfe_u32 v83, v85, 16, 1
	s_delay_alu instid0(VALU_DEP_1)
	v_add3_u32 v83, v85, v83, 0x7fff
                                        ; implicit-def: $vgpr85
; %bb.18:
	s_and_not1_saveexec_b32 s3, s3
; %bb.19:
	v_and_b32_e32 v83, 0xffff, v85
	v_or_b32_e32 v90, 0x10000, v85
	s_delay_alu instid0(VALU_DEP_2) | instskip(NEXT) | instid1(VALU_DEP_2)
	v_cmp_eq_u32_e32 vcc_lo, 0, v83
	v_cndmask_b32_e32 v83, v90, v85, vcc_lo
; %bb.20:
	s_or_b32 exec_lo, exec_lo, s3
	v_and_b32_e32 v85, 0x7f800000, v86
	s_delay_alu instid0(VALU_DEP_1) | instskip(SKIP_1) | instid1(SALU_CYCLE_1)
	v_cmp_ne_u32_e32 vcc_lo, 0x7f800000, v85
                                        ; implicit-def: $vgpr85
	s_and_saveexec_b32 s3, vcc_lo
	s_xor_b32 s3, exec_lo, s3
; %bb.21:
	v_bfe_u32 v85, v86, 16, 1
	s_delay_alu instid0(VALU_DEP_1)
	v_add3_u32 v85, v86, v85, 0x7fff
                                        ; implicit-def: $vgpr86
; %bb.22:
	s_and_not1_saveexec_b32 s3, s3
; %bb.23:
	v_and_b32_e32 v85, 0xffff, v86
	v_or_b32_e32 v90, 0x10000, v86
	s_delay_alu instid0(VALU_DEP_2) | instskip(NEXT) | instid1(VALU_DEP_2)
	v_cmp_eq_u32_e32 vcc_lo, 0, v85
	v_cndmask_b32_e32 v85, v90, v86, vcc_lo
; %bb.24:
	s_or_b32 exec_lo, exec_lo, s3
	v_and_b32_e32 v86, 0x7f800000, v89
	s_delay_alu instid0(VALU_DEP_1) | instskip(SKIP_1) | instid1(SALU_CYCLE_1)
	v_cmp_ne_u32_e32 vcc_lo, 0x7f800000, v86
                                        ; implicit-def: $vgpr86
	s_and_saveexec_b32 s3, vcc_lo
	s_xor_b32 s3, exec_lo, s3
; %bb.25:
	v_bfe_u32 v86, v89, 16, 1
	s_delay_alu instid0(VALU_DEP_1)
	v_add3_u32 v86, v89, v86, 0x7fff
                                        ; implicit-def: $vgpr89
; %bb.26:
	s_and_not1_saveexec_b32 s3, s3
; %bb.27:
	v_and_b32_e32 v86, 0xffff, v89
	v_or_b32_e32 v90, 0x10000, v89
	s_delay_alu instid0(VALU_DEP_2) | instskip(NEXT) | instid1(VALU_DEP_2)
	v_cmp_eq_u32_e32 vcc_lo, 0, v86
	v_cndmask_b32_e32 v86, v90, v89, vcc_lo
; %bb.28:
	s_or_b32 exec_lo, exec_lo, s3
	v_and_b32_e32 v89, 0x7f800000, v88
	s_delay_alu instid0(VALU_DEP_1) | instskip(SKIP_1) | instid1(SALU_CYCLE_1)
	v_cmp_ne_u32_e32 vcc_lo, 0x7f800000, v89
                                        ; implicit-def: $vgpr89
	s_and_saveexec_b32 s3, vcc_lo
	s_xor_b32 s3, exec_lo, s3
; %bb.29:
	v_bfe_u32 v89, v88, 16, 1
	s_delay_alu instid0(VALU_DEP_1)
	v_add3_u32 v89, v88, v89, 0x7fff
                                        ; implicit-def: $vgpr88
; %bb.30:
	s_and_not1_saveexec_b32 s3, s3
; %bb.31:
	v_and_b32_e32 v89, 0xffff, v88
	v_or_b32_e32 v90, 0x10000, v88
	s_delay_alu instid0(VALU_DEP_2) | instskip(NEXT) | instid1(VALU_DEP_2)
	v_cmp_eq_u32_e32 vcc_lo, 0, v89
	v_cndmask_b32_e32 v89, v90, v88, vcc_lo
; %bb.32:
	s_or_b32 exec_lo, exec_lo, s3
	v_and_b32_e32 v88, 0x7f800000, v87
	s_delay_alu instid0(VALU_DEP_1) | instskip(SKIP_1) | instid1(SALU_CYCLE_1)
	v_cmp_ne_u32_e32 vcc_lo, 0x7f800000, v88
                                        ; implicit-def: $vgpr88
	s_and_saveexec_b32 s3, vcc_lo
	s_xor_b32 s3, exec_lo, s3
; %bb.33:
	v_bfe_u32 v88, v87, 16, 1
	s_delay_alu instid0(VALU_DEP_1)
	v_add3_u32 v88, v87, v88, 0x7fff
                                        ; implicit-def: $vgpr87
; %bb.34:
	s_and_not1_saveexec_b32 s3, s3
; %bb.35:
	v_and_b32_e32 v88, 0xffff, v87
	v_or_b32_e32 v90, 0x10000, v87
	s_delay_alu instid0(VALU_DEP_2) | instskip(NEXT) | instid1(VALU_DEP_2)
	v_cmp_eq_u32_e32 vcc_lo, 0, v88
	v_cndmask_b32_e32 v88, v90, v87, vcc_lo
; %bb.36:
	s_or_b32 exec_lo, exec_lo, s3
	v_and_b32_e32 v87, 0x7f800000, v84
	s_delay_alu instid0(VALU_DEP_1) | instskip(SKIP_1) | instid1(SALU_CYCLE_1)
	v_cmp_ne_u32_e32 vcc_lo, 0x7f800000, v87
                                        ; implicit-def: $vgpr87
	s_and_saveexec_b32 s3, vcc_lo
	s_xor_b32 s3, exec_lo, s3
; %bb.37:
	v_bfe_u32 v87, v84, 16, 1
	s_delay_alu instid0(VALU_DEP_1)
	v_add3_u32 v87, v84, v87, 0x7fff
                                        ; implicit-def: $vgpr84
; %bb.38:
	s_and_not1_saveexec_b32 s3, s3
; %bb.39:
	v_and_b32_e32 v87, 0xffff, v84
	v_or_b32_e32 v90, 0x10000, v84
	s_delay_alu instid0(VALU_DEP_2) | instskip(NEXT) | instid1(VALU_DEP_2)
	v_cmp_eq_u32_e32 vcc_lo, 0, v87
	v_cndmask_b32_e32 v87, v90, v84, vcc_lo
; %bb.40:
	s_or_b32 exec_lo, exec_lo, s3
	v_and_b32_e32 v84, 0x7f800000, v80
	s_delay_alu instid0(VALU_DEP_1) | instskip(SKIP_1) | instid1(SALU_CYCLE_1)
	v_cmp_ne_u32_e32 vcc_lo, 0x7f800000, v84
                                        ; implicit-def: $vgpr84
	s_and_saveexec_b32 s3, vcc_lo
	s_xor_b32 s3, exec_lo, s3
; %bb.41:
	v_bfe_u32 v84, v80, 16, 1
	s_delay_alu instid0(VALU_DEP_1)
	v_add3_u32 v84, v80, v84, 0x7fff
                                        ; implicit-def: $vgpr80
; %bb.42:
	s_and_not1_saveexec_b32 s3, s3
; %bb.43:
	v_and_b32_e32 v84, 0xffff, v80
	v_or_b32_e32 v90, 0x10000, v80
	s_delay_alu instid0(VALU_DEP_2) | instskip(NEXT) | instid1(VALU_DEP_2)
	v_cmp_eq_u32_e32 vcc_lo, 0, v84
	v_cndmask_b32_e32 v84, v90, v80, vcc_lo
; %bb.44:
	s_or_b32 exec_lo, exec_lo, s3
	s_load_b64 s[34:35], s[0:1], 0x94
	v_lshlrev_b32_e32 v91, 4, v74
	s_delay_alu instid0(VALU_DEP_2)
	v_perm_b32 v90, v84, v87, 0x7060302
	v_dual_mul_f32 v79, v82, v79 :: v_dual_lshlrev_b32 v80, 6, v65
	v_dual_mul_f32 v77, v82, v77 :: v_dual_lshlrev_b32 v92, 11, v66
	v_mul_f32_e32 v84, v82, v70
	v_perm_b32 v89, v88, v89, 0x7060302
	v_perm_b32 v88, v86, v85, 0x7060302
	;; [unrolled: 1-line block ×3, first 2 shown]
	v_mul_f32_e32 v70, v82, v81
	v_or3_b32 v76, v91, v92, v80
	v_dual_mul_f32 v78, v82, v78 :: v_dual_and_b32 v85, 0x7f800000, v84
	v_mul_f32_e32 v83, v82, v72
	v_mul_f32_e32 v81, v82, v71
	;; [unrolled: 1-line block ×3, first 2 shown]
	s_mov_b32 s3, exec_lo
	ds_store_b128 v76, v[87:90]
                                        ; implicit-def: $vgpr69
	v_cmpx_ne_u32_e32 0x7f800000, v85
	s_xor_b32 s3, exec_lo, s3
; %bb.45:
	v_bfe_u32 v69, v84, 16, 1
	s_delay_alu instid0(VALU_DEP_1)
	v_add3_u32 v69, v84, v69, 0x7fff
                                        ; implicit-def: $vgpr84
; %bb.46:
	s_and_not1_saveexec_b32 s3, s3
; %bb.47:
	v_and_b32_e32 v69, 0xffff, v84
	v_or_b32_e32 v71, 0x10000, v84
	s_delay_alu instid0(VALU_DEP_2) | instskip(NEXT) | instid1(VALU_DEP_2)
	v_cmp_eq_u32_e32 vcc_lo, 0, v69
	v_cndmask_b32_e32 v69, v71, v84, vcc_lo
; %bb.48:
	s_or_b32 exec_lo, exec_lo, s3
	v_and_b32_e32 v71, 0x7f800000, v72
	s_delay_alu instid0(VALU_DEP_1) | instskip(SKIP_1) | instid1(SALU_CYCLE_1)
	v_cmp_ne_u32_e32 vcc_lo, 0x7f800000, v71
                                        ; implicit-def: $vgpr71
	s_and_saveexec_b32 s3, vcc_lo
	s_xor_b32 s3, exec_lo, s3
; %bb.49:
	v_bfe_u32 v71, v72, 16, 1
	s_delay_alu instid0(VALU_DEP_1)
	v_add3_u32 v71, v72, v71, 0x7fff
                                        ; implicit-def: $vgpr72
; %bb.50:
	s_and_not1_saveexec_b32 s3, s3
; %bb.51:
	v_and_b32_e32 v71, 0xffff, v72
	v_or_b32_e32 v82, 0x10000, v72
	s_delay_alu instid0(VALU_DEP_2) | instskip(NEXT) | instid1(VALU_DEP_2)
	v_cmp_eq_u32_e32 vcc_lo, 0, v71
	v_cndmask_b32_e32 v71, v82, v72, vcc_lo
; %bb.52:
	s_or_b32 exec_lo, exec_lo, s3
	v_and_b32_e32 v72, 0x7f800000, v81
	s_delay_alu instid0(VALU_DEP_1) | instskip(SKIP_1) | instid1(SALU_CYCLE_1)
	v_cmp_ne_u32_e32 vcc_lo, 0x7f800000, v72
                                        ; implicit-def: $vgpr72
	s_and_saveexec_b32 s3, vcc_lo
	s_xor_b32 s3, exec_lo, s3
; %bb.53:
	v_bfe_u32 v72, v81, 16, 1
	s_delay_alu instid0(VALU_DEP_1)
	v_add3_u32 v72, v81, v72, 0x7fff
                                        ; implicit-def: $vgpr81
; %bb.54:
	s_and_not1_saveexec_b32 s3, s3
; %bb.55:
	v_and_b32_e32 v72, 0xffff, v81
	v_or_b32_e32 v82, 0x10000, v81
	s_delay_alu instid0(VALU_DEP_2) | instskip(NEXT) | instid1(VALU_DEP_2)
	v_cmp_eq_u32_e32 vcc_lo, 0, v72
	v_cndmask_b32_e32 v72, v82, v81, vcc_lo
; %bb.56:
	s_or_b32 exec_lo, exec_lo, s3
	v_and_b32_e32 v81, 0x7f800000, v83
	s_delay_alu instid0(VALU_DEP_1) | instskip(SKIP_1) | instid1(SALU_CYCLE_1)
	v_cmp_ne_u32_e32 vcc_lo, 0x7f800000, v81
                                        ; implicit-def: $vgpr81
	s_and_saveexec_b32 s3, vcc_lo
	s_xor_b32 s3, exec_lo, s3
; %bb.57:
	v_bfe_u32 v81, v83, 16, 1
	s_delay_alu instid0(VALU_DEP_1)
	v_add3_u32 v81, v83, v81, 0x7fff
                                        ; implicit-def: $vgpr83
; %bb.58:
	s_and_not1_saveexec_b32 s3, s3
; %bb.59:
	v_and_b32_e32 v81, 0xffff, v83
	v_or_b32_e32 v82, 0x10000, v83
	s_delay_alu instid0(VALU_DEP_2) | instskip(NEXT) | instid1(VALU_DEP_2)
	v_cmp_eq_u32_e32 vcc_lo, 0, v81
	v_cndmask_b32_e32 v81, v82, v83, vcc_lo
; %bb.60:
	s_or_b32 exec_lo, exec_lo, s3
	v_and_b32_e32 v82, 0x7f800000, v77
	s_delay_alu instid0(VALU_DEP_1) | instskip(SKIP_1) | instid1(SALU_CYCLE_1)
	v_cmp_ne_u32_e32 vcc_lo, 0x7f800000, v82
                                        ; implicit-def: $vgpr82
	s_and_saveexec_b32 s3, vcc_lo
	s_xor_b32 s3, exec_lo, s3
; %bb.61:
	v_bfe_u32 v82, v77, 16, 1
	s_delay_alu instid0(VALU_DEP_1)
	v_add3_u32 v82, v77, v82, 0x7fff
                                        ; implicit-def: $vgpr77
; %bb.62:
	s_and_not1_saveexec_b32 s3, s3
; %bb.63:
	v_and_b32_e32 v82, 0xffff, v77
	v_or_b32_e32 v83, 0x10000, v77
	s_delay_alu instid0(VALU_DEP_2) | instskip(NEXT) | instid1(VALU_DEP_2)
	v_cmp_eq_u32_e32 vcc_lo, 0, v82
	v_cndmask_b32_e32 v82, v83, v77, vcc_lo
; %bb.64:
	s_or_b32 exec_lo, exec_lo, s3
	v_and_b32_e32 v77, 0x7f800000, v78
	s_delay_alu instid0(VALU_DEP_1) | instskip(SKIP_1) | instid1(SALU_CYCLE_1)
	v_cmp_ne_u32_e32 vcc_lo, 0x7f800000, v77
                                        ; implicit-def: $vgpr77
	s_and_saveexec_b32 s3, vcc_lo
	s_xor_b32 s3, exec_lo, s3
; %bb.65:
	v_bfe_u32 v77, v78, 16, 1
	s_delay_alu instid0(VALU_DEP_1)
	v_add3_u32 v77, v78, v77, 0x7fff
                                        ; implicit-def: $vgpr78
; %bb.66:
	s_and_not1_saveexec_b32 s3, s3
; %bb.67:
	v_and_b32_e32 v77, 0xffff, v78
	v_or_b32_e32 v83, 0x10000, v78
	s_delay_alu instid0(VALU_DEP_2) | instskip(NEXT) | instid1(VALU_DEP_2)
	v_cmp_eq_u32_e32 vcc_lo, 0, v77
	v_cndmask_b32_e32 v77, v83, v78, vcc_lo
; %bb.68:
	s_or_b32 exec_lo, exec_lo, s3
	v_and_b32_e32 v78, 0x7f800000, v79
	s_delay_alu instid0(VALU_DEP_1) | instskip(SKIP_1) | instid1(SALU_CYCLE_1)
	v_cmp_ne_u32_e32 vcc_lo, 0x7f800000, v78
                                        ; implicit-def: $vgpr78
	s_and_saveexec_b32 s3, vcc_lo
	s_xor_b32 s3, exec_lo, s3
; %bb.69:
	v_bfe_u32 v78, v79, 16, 1
	s_delay_alu instid0(VALU_DEP_1)
	v_add3_u32 v78, v79, v78, 0x7fff
                                        ; implicit-def: $vgpr79
; %bb.70:
	s_and_not1_saveexec_b32 s3, s3
; %bb.71:
	v_and_b32_e32 v78, 0xffff, v79
	v_or_b32_e32 v83, 0x10000, v79
	s_delay_alu instid0(VALU_DEP_2) | instskip(NEXT) | instid1(VALU_DEP_2)
	v_cmp_eq_u32_e32 vcc_lo, 0, v78
	v_cndmask_b32_e32 v78, v83, v79, vcc_lo
; %bb.72:
	s_or_b32 exec_lo, exec_lo, s3
	v_and_b32_e32 v79, 0x7f800000, v70
	s_delay_alu instid0(VALU_DEP_1) | instskip(SKIP_1) | instid1(SALU_CYCLE_1)
	v_cmp_ne_u32_e32 vcc_lo, 0x7f800000, v79
                                        ; implicit-def: $vgpr79
	s_and_saveexec_b32 s3, vcc_lo
	s_xor_b32 s3, exec_lo, s3
; %bb.73:
	v_bfe_u32 v79, v70, 16, 1
	s_delay_alu instid0(VALU_DEP_1)
	v_add3_u32 v79, v70, v79, 0x7fff
                                        ; implicit-def: $vgpr70
; %bb.74:
	s_and_not1_saveexec_b32 s3, s3
; %bb.75:
	v_and_b32_e32 v79, 0xffff, v70
	v_or_b32_e32 v83, 0x10000, v70
	s_delay_alu instid0(VALU_DEP_2) | instskip(NEXT) | instid1(VALU_DEP_2)
	v_cmp_eq_u32_e32 vcc_lo, 0, v79
	v_cndmask_b32_e32 v79, v83, v70, vcc_lo
; %bb.76:
	s_or_b32 exec_lo, exec_lo, s3
	s_delay_alu instid0(VALU_DEP_1)
	v_perm_b32 v86, v79, v78, 0x7060302
	v_perm_b32 v85, v77, v82, 0x7060302
	;; [unrolled: 1-line block ×4, first 2 shown]
	v_lshl_or_b32 v82, v66, 11, v80
	ds_store_b128 v76, v[83:86] offset:1024
	s_waitcnt lgkmcnt(0)
	s_barrier
	buffer_gl0_inv
	ds_load_b128 v[69:72], v82
	ds_load_b128 v[83:86], v82 offset:16
	s_waitcnt lgkmcnt(1)
	v_lshrrev_b32_e32 v66, 16, v69
	s_waitcnt lgkmcnt(0)
	v_lshrrev_b32_e32 v91, 16, v83
	v_lshlrev_b32_e32 v78, 2, v74
	v_lshrrev_b32_e32 v95, 16, v70
	v_lshrrev_b32_e32 v98, 16, v84
	;; [unrolled: 1-line block ×4, first 2 shown]
	v_cmp_eq_u32_e32 vcc_lo, 1, v78
	v_lshrrev_b32_e32 v97, 16, v72
	v_lshrrev_b32_e32 v100, 16, v86
	v_cndmask_b32_e32 v87, v83, v91, vcc_lo
	v_or_b32_e32 v79, 1, v78
	v_cndmask_b32_e32 v81, v69, v66, vcc_lo
	v_cmp_eq_u32_e64 s4, 2, v78
	v_cmp_eq_u32_e64 s7, 3, v78
	;; [unrolled: 1-line block ×5, first 2 shown]
	v_cndmask_b32_e64 v81, v81, v70, s4
	v_cndmask_b32_e64 v87, v87, v84, s4
	v_cmp_eq_u32_e64 s8, 3, v79
	v_cndmask_b32_e64 v88, v69, v66, s3
	v_or_b32_e32 v77, 2, v78
	v_cndmask_b32_e64 v81, v81, v95, s7
	v_cndmask_b32_e64 v87, v87, v98, s7
	;; [unrolled: 1-line block ×4, first 2 shown]
	v_cmp_eq_u32_e64 s10, 5, v78
	v_cndmask_b32_e64 v81, v81, v71, s9
	v_cndmask_b32_e64 v87, v87, v85, s9
	v_cmp_eq_u32_e64 s11, 4, v79
	v_cndmask_b32_e64 v88, v88, v95, s8
	v_cmp_eq_u32_e64 s5, 1, v77
	v_cndmask_b32_e64 v89, v89, v84, s6
	v_cndmask_b32_e64 v81, v81, v96, s10
	v_cmp_eq_u32_e64 s12, 6, v78
	v_cndmask_b32_e64 v88, v88, v71, s11
	;; [unrolled: 3-line block ×3, first 2 shown]
	v_cndmask_b32_e64 v89, v89, v98, s8
	v_cndmask_b32_e64 v81, v81, v72, s12
	v_cmp_eq_u32_e64 s15, 7, v78
	v_cndmask_b32_e64 v88, v88, v96, s13
	v_cndmask_b32_e64 v87, v87, v86, s12
	v_cmp_eq_u32_e64 s16, 6, v79
	v_cmp_eq_u32_e64 s17, 2, v77
	v_cndmask_b32_e64 v89, v89, v85, s11
	v_cndmask_b32_e64 v101, v81, v97, s15
	;; [unrolled: 1-line block ×6, first 2 shown]
	v_cmp_eq_u32_e64 s18, 7, v79
	v_cmp_eq_u32_e64 s19, 3, v77
	;; [unrolled: 1-line block ×4, first 2 shown]
	v_cndmask_b32_e64 v87, v87, v84, s17
	v_cndmask_b32_e64 v103, v88, v97, s18
	;; [unrolled: 1-line block ×4, first 2 shown]
	v_or_b32_e32 v81, 3, v78
	v_cndmask_b32_e64 v93, v87, v98, s19
	v_cmp_eq_u32_e64 s24, 6, v77
	v_cndmask_b32_e64 v104, v88, v86, s16
	v_cndmask_b32_e64 v92, v89, v71, s20
	v_cmp_eq_u32_e64 s21, 1, v81
	ds_load_b128 v[87:90], v82 offset:1024
	v_cmp_eq_u32_e64 s23, 2, v81
	v_cmp_eq_u32_e64 s25, 3, v81
	v_cndmask_b32_e64 v105, v92, v96, s22
	v_cndmask_b32_e64 v66, v69, v66, s21
	;; [unrolled: 1-line block ×4, first 2 shown]
	ds_load_b128 v[91:94], v82 offset:1040
	v_cmp_eq_u32_e64 s26, 4, v81
	v_cndmask_b32_e64 v66, v66, v70, s23
	v_cmp_eq_u32_e64 s27, 7, v77
	v_cndmask_b32_e64 v70, v83, v84, s23
	v_cndmask_b32_e64 v84, v105, v72, s24
	v_cmp_eq_u32_e64 s28, 5, v81
	v_cndmask_b32_e64 v66, v66, v95, s25
	v_cmp_eq_u32_e64 s29, 6, v81
	v_cndmask_b32_e64 v70, v70, v98, s25
	v_cndmask_b32_e64 v69, v69, v99, s22
	;; [unrolled: 1-line block ×4, first 2 shown]
	s_waitcnt lgkmcnt(1)
	v_lshrrev_b32_e32 v95, 16, v87
	v_cndmask_b32_e64 v70, v70, v85, s26
	v_cndmask_b32_e64 v71, v84, v97, s27
	;; [unrolled: 1-line block ×4, first 2 shown]
	v_cndmask_b32_e32 v84, v87, v95, vcc_lo
	v_cndmask_b32_e64 v70, v70, v99, s28
	s_waitcnt lgkmcnt(0)
	v_lshrrev_b32_e32 v85, 16, v91
	v_lshrrev_b32_e32 v96, 16, v88
	v_cndmask_b32_e64 v98, v87, v95, s3
	v_cndmask_b32_e64 v84, v84, v88, s4
	v_cndmask_b32_e64 v70, v70, v86, s29
	v_cndmask_b32_e32 v99, v91, v85, vcc_lo
	v_cmp_eq_u32_e32 vcc_lo, 7, v81
	v_cndmask_b32_e64 v66, v66, v72, s29
	v_cndmask_b32_e64 v72, v84, v96, s7
	;; [unrolled: 1-line block ×3, first 2 shown]
	v_lshrrev_b32_e32 v98, 16, v92
	v_cndmask_b32_e32 v70, v70, v100, vcc_lo
	v_cndmask_b32_e64 v86, v99, v92, s4
	v_cndmask_b32_e64 v69, v69, v100, s27
	v_lshrrev_b32_e32 v100, 16, v93
	v_cndmask_b32_e64 v72, v72, v89, s9
	v_lshrrev_b32_e32 v99, 16, v89
	v_cndmask_b32_e64 v86, v86, v98, s7
	v_perm_b32 v71, v69, v71, 0x5040100
	v_cndmask_b32_e64 v84, v84, v96, s8
	s_delay_alu instid0(VALU_DEP_3) | instskip(NEXT) | instid1(VALU_DEP_2)
	v_cndmask_b32_e64 v86, v86, v93, s9
	v_cndmask_b32_e64 v84, v84, v89, s11
	s_delay_alu instid0(VALU_DEP_2) | instskip(NEXT) | instid1(VALU_DEP_1)
	v_cndmask_b32_e64 v86, v86, v100, s10
	v_cndmask_b32_e64 v69, v86, v94, s12
	v_cndmask_b32_e64 v86, v87, v95, s5
	v_cndmask_b32_e64 v87, v87, v95, s21
	v_cndmask_b32_e64 v95, v91, v85, s21
	s_delay_alu instid0(VALU_DEP_3) | instskip(NEXT) | instid1(VALU_DEP_3)
	v_cndmask_b32_e64 v86, v86, v88, s17
	v_cndmask_b32_e64 v87, v87, v88, s23
	s_delay_alu instid0(VALU_DEP_3) | instskip(NEXT) | instid1(VALU_DEP_3)
	v_cndmask_b32_e64 v88, v95, v92, s23
	v_cndmask_b32_e64 v86, v86, v96, s19
	;; [unrolled: 3-line block ×7, first 2 shown]
	s_delay_alu instid0(VALU_DEP_3) | instskip(SKIP_2) | instid1(VALU_DEP_2)
	v_cndmask_b32_e64 v88, v88, v94, s29
	v_cndmask_b32_e32 v66, v66, v97, vcc_lo
	v_cndmask_b32_e64 v97, v72, v99, s10
	v_perm_b32 v72, v70, v66, 0x5040100
	v_perm_b32 v70, v83, v103, 0x5040100
	v_cndmask_b32_e64 v103, v91, v85, s5
	v_cndmask_b32_e64 v85, v91, v85, s3
	;; [unrolled: 1-line block ×4, first 2 shown]
	v_lshrrev_b32_e32 v97, 16, v90
	v_cndmask_b32_e64 v91, v103, v92, s17
	v_cndmask_b32_e64 v85, v85, v92, s6
	;; [unrolled: 1-line block ×3, first 2 shown]
	s_mov_b32 s3, exec_lo
	v_cndmask_b32_e64 v83, v84, v97, s15
	v_cndmask_b32_e64 v91, v91, v98, s19
	;; [unrolled: 1-line block ×3, first 2 shown]
	v_lshrrev_b32_e32 v84, 16, v94
	v_cndmask_b32_e64 v66, v66, v97, s18
	v_cndmask_b32_e64 v90, v86, v97, s27
	;; [unrolled: 1-line block ×4, first 2 shown]
	v_dual_cndmask_b32 v86, v87, v97 :: v_dual_cndmask_b32 v87, v88, v84
	v_cndmask_b32_e64 v91, v69, v84, s15
	s_delay_alu instid0(VALU_DEP_4) | instskip(NEXT) | instid1(VALU_DEP_4)
	v_cndmask_b32_e64 v89, v89, v100, s22
	v_cndmask_b32_e64 v85, v85, v100, s13
	v_perm_b32 v69, v102, v101, 0x5040100
	v_perm_b32 v86, v87, v86, 0x5040100
	;; [unrolled: 1-line block ×3, first 2 shown]
	v_cndmask_b32_e64 v89, v89, v94, s24
	v_cndmask_b32_e64 v85, v85, v94, s16
	s_mul_i32 s8, s35, 12
	s_delay_alu instid0(VALU_DEP_2) | instskip(NEXT) | instid1(VALU_DEP_2)
	v_cndmask_b32_e64 v88, v89, v84, s27
	v_cndmask_b32_e64 v89, v85, v84, s18
	s_delay_alu instid0(VALU_DEP_2) | instskip(NEXT) | instid1(VALU_DEP_2)
	v_perm_b32 v85, v88, v90, 0x5040100
	v_perm_b32 v84, v89, v66, 0x5040100
	ds_store_b128 v76, v[69:72]
	ds_store_b128 v76, v[83:86] offset:1024
	v_cmpx_gt_u32_e32 12, v0
	s_cbranch_execz .LBB1721_78
; %bb.77:
	s_mul_i32 s4, s8, s30
	s_delay_alu instid0(SALU_CYCLE_1) | instskip(SKIP_1) | instid1(VALU_DEP_1)
	v_add3_u32 v69, s4, s31, v65
	s_load_b128 s[4:7], s[0:1], 0x58
	v_mad_u64_u32 v[65:66], null, v69, s34, s[14:15]
	s_delay_alu instid0(VALU_DEP_1) | instskip(NEXT) | instid1(VALU_DEP_1)
	v_ashrrev_i32_e32 v66, 31, v65
	v_lshlrev_b64 v[65:66], 2, v[65:66]
	s_waitcnt lgkmcnt(0)
	s_delay_alu instid0(VALU_DEP_1) | instskip(NEXT) | instid1(VALU_DEP_2)
	v_add_co_u32 v69, vcc_lo, s6, v65
	v_add_co_ci_u32_e32 v70, vcc_lo, s7, v66, vcc_lo
	v_add_co_u32 v65, vcc_lo, s4, v65
	v_add_co_ci_u32_e32 v66, vcc_lo, s5, v66, vcc_lo
	global_store_b32 v[69:70], v67, off
	global_store_b32 v[65:66], v68, off
.LBB1721_78:
	s_or_b32 exec_lo, exec_lo, s3
	s_waitcnt lgkmcnt(0)
	s_waitcnt_vscnt null, 0x0
	s_barrier
	buffer_gl0_inv
	ds_load_b128 v[83:86], v80
	ds_load_b128 v[87:90], v80 offset:16
	ds_load_b128 v[95:98], v80 offset:2064
	;; [unrolled: 1-line block ×3, first 2 shown]
	v_mov_b32_e32 v65, 0
	ds_load_b128 v[103:106], v80 offset:4112
	ds_load_b128 v[99:102], v80 offset:4096
	;; [unrolled: 1-line block ×4, first 2 shown]
	v_mov_b32_e32 v66, v65
	v_mov_b32_e32 v67, v65
	;; [unrolled: 1-line block ×7, first 2 shown]
	s_waitcnt lgkmcnt(6)
	s_delay_alu instid0(VALU_DEP_1)
	v_wmma_f32_16x16x16_bf16 v[65:72], v[57:64], v[83:90], v[65:72]
	ds_load_b128 v[61:64], v80 offset:8208
	ds_load_b128 v[57:60], v80 offset:8192
	s_waitcnt lgkmcnt(6)
	v_wmma_f32_16x16x16_bf16 v[65:72], v[41:48], v[91:98], v[65:72]
	ds_load_b128 v[45:48], v80 offset:10256
	ds_load_b128 v[41:44], v80 offset:10240
	s_waitcnt lgkmcnt(6)
	;; [unrolled: 4-line block ×4, first 2 shown]
	v_wmma_f32_16x16x16_bf16 v[65:72], v[1:8], v[57:64], v[65:72]
	s_waitcnt lgkmcnt(4)
	s_delay_alu instid0(VALU_DEP_1) | instskip(SKIP_1) | instid1(VALU_DEP_1)
	v_wmma_f32_16x16x16_bf16 v[65:72], v[9:16], v[41:48], v[65:72]
	s_waitcnt lgkmcnt(2)
	v_wmma_f32_16x16x16_bf16 v[65:72], v[17:24], v[33:40], v[65:72]
	s_waitcnt lgkmcnt(0)
	s_delay_alu instid0(VALU_DEP_1) | instskip(NEXT) | instid1(VALU_DEP_1)
	v_wmma_f32_16x16x16_bf16 v[65:72], v[49:56], v[25:32], v[65:72]
	v_and_b32_e32 v1, 0x7f800000, v65
	s_delay_alu instid0(VALU_DEP_1) | instskip(SKIP_1) | instid1(SALU_CYCLE_1)
	v_cmp_ne_u32_e32 vcc_lo, 0x7f800000, v1
                                        ; implicit-def: $vgpr1
	s_and_saveexec_b32 s3, vcc_lo
	s_xor_b32 s3, exec_lo, s3
; %bb.79:
	v_bfe_u32 v1, v65, 16, 1
	s_delay_alu instid0(VALU_DEP_1)
	v_add3_u32 v1, v65, v1, 0x7fff
; %bb.80:
	s_and_not1_saveexec_b32 s3, s3
; %bb.81:
	v_and_b32_e32 v1, 0xffff, v65
	v_or_b32_e32 v2, 0x10000, v65
	s_delay_alu instid0(VALU_DEP_2) | instskip(NEXT) | instid1(VALU_DEP_2)
	v_cmp_eq_u32_e32 vcc_lo, 0, v1
	v_cndmask_b32_e32 v1, v2, v65, vcc_lo
; %bb.82:
	s_or_b32 exec_lo, exec_lo, s3
	v_and_b32_e32 v2, 0x7f800000, v66
	s_delay_alu instid0(VALU_DEP_1) | instskip(SKIP_1) | instid1(SALU_CYCLE_1)
	v_cmp_ne_u32_e32 vcc_lo, 0x7f800000, v2
                                        ; implicit-def: $vgpr2
	s_and_saveexec_b32 s3, vcc_lo
	s_xor_b32 s3, exec_lo, s3
; %bb.83:
	v_bfe_u32 v2, v66, 16, 1
	s_delay_alu instid0(VALU_DEP_1)
	v_add3_u32 v2, v66, v2, 0x7fff
; %bb.84:
	s_and_not1_saveexec_b32 s3, s3
; %bb.85:
	v_and_b32_e32 v2, 0xffff, v66
	v_or_b32_e32 v3, 0x10000, v66
	s_delay_alu instid0(VALU_DEP_2) | instskip(NEXT) | instid1(VALU_DEP_2)
	v_cmp_eq_u32_e32 vcc_lo, 0, v2
	v_cndmask_b32_e32 v2, v3, v66, vcc_lo
; %bb.86:
	s_or_b32 exec_lo, exec_lo, s3
	v_and_b32_e32 v3, 0x7f800000, v67
	s_delay_alu instid0(VALU_DEP_1) | instskip(SKIP_1) | instid1(SALU_CYCLE_1)
	v_cmp_ne_u32_e32 vcc_lo, 0x7f800000, v3
                                        ; implicit-def: $vgpr3
	s_and_saveexec_b32 s3, vcc_lo
	s_xor_b32 s3, exec_lo, s3
; %bb.87:
	v_bfe_u32 v3, v67, 16, 1
	s_delay_alu instid0(VALU_DEP_1)
	v_add3_u32 v3, v67, v3, 0x7fff
; %bb.88:
	s_and_not1_saveexec_b32 s3, s3
; %bb.89:
	v_and_b32_e32 v3, 0xffff, v67
	v_or_b32_e32 v4, 0x10000, v67
	s_delay_alu instid0(VALU_DEP_2) | instskip(NEXT) | instid1(VALU_DEP_2)
	v_cmp_eq_u32_e32 vcc_lo, 0, v3
	v_cndmask_b32_e32 v3, v4, v67, vcc_lo
; %bb.90:
	s_or_b32 exec_lo, exec_lo, s3
	v_and_b32_e32 v4, 0x7f800000, v68
	s_delay_alu instid0(VALU_DEP_1) | instskip(SKIP_1) | instid1(SALU_CYCLE_1)
	v_cmp_ne_u32_e32 vcc_lo, 0x7f800000, v4
                                        ; implicit-def: $vgpr4
	s_and_saveexec_b32 s3, vcc_lo
	s_xor_b32 s3, exec_lo, s3
; %bb.91:
	v_bfe_u32 v4, v68, 16, 1
	s_delay_alu instid0(VALU_DEP_1)
	v_add3_u32 v4, v68, v4, 0x7fff
; %bb.92:
	s_and_not1_saveexec_b32 s3, s3
; %bb.93:
	v_and_b32_e32 v4, 0xffff, v68
	v_or_b32_e32 v5, 0x10000, v68
	s_delay_alu instid0(VALU_DEP_2) | instskip(NEXT) | instid1(VALU_DEP_2)
	v_cmp_eq_u32_e32 vcc_lo, 0, v4
	v_cndmask_b32_e32 v4, v5, v68, vcc_lo
; %bb.94:
	s_or_b32 exec_lo, exec_lo, s3
	v_and_b32_e32 v5, 0x7f800000, v69
	s_delay_alu instid0(VALU_DEP_1) | instskip(SKIP_1) | instid1(SALU_CYCLE_1)
	v_cmp_ne_u32_e32 vcc_lo, 0x7f800000, v5
                                        ; implicit-def: $vgpr5
	s_and_saveexec_b32 s3, vcc_lo
	s_xor_b32 s3, exec_lo, s3
; %bb.95:
	v_bfe_u32 v5, v69, 16, 1
	s_delay_alu instid0(VALU_DEP_1)
	v_add3_u32 v5, v69, v5, 0x7fff
; %bb.96:
	s_and_not1_saveexec_b32 s3, s3
; %bb.97:
	v_and_b32_e32 v5, 0xffff, v69
	v_or_b32_e32 v6, 0x10000, v69
	s_delay_alu instid0(VALU_DEP_2) | instskip(NEXT) | instid1(VALU_DEP_2)
	v_cmp_eq_u32_e32 vcc_lo, 0, v5
	v_cndmask_b32_e32 v5, v6, v69, vcc_lo
; %bb.98:
	s_or_b32 exec_lo, exec_lo, s3
	v_and_b32_e32 v6, 0x7f800000, v70
	s_delay_alu instid0(VALU_DEP_1) | instskip(SKIP_1) | instid1(SALU_CYCLE_1)
	v_cmp_ne_u32_e32 vcc_lo, 0x7f800000, v6
                                        ; implicit-def: $vgpr6
	s_and_saveexec_b32 s3, vcc_lo
	s_xor_b32 s3, exec_lo, s3
; %bb.99:
	v_bfe_u32 v6, v70, 16, 1
	s_delay_alu instid0(VALU_DEP_1)
	v_add3_u32 v6, v70, v6, 0x7fff
; %bb.100:
	s_and_not1_saveexec_b32 s3, s3
; %bb.101:
	v_and_b32_e32 v6, 0xffff, v70
	v_or_b32_e32 v7, 0x10000, v70
	s_delay_alu instid0(VALU_DEP_2) | instskip(NEXT) | instid1(VALU_DEP_2)
	v_cmp_eq_u32_e32 vcc_lo, 0, v6
	v_cndmask_b32_e32 v6, v7, v70, vcc_lo
; %bb.102:
	s_or_b32 exec_lo, exec_lo, s3
	v_and_b32_e32 v7, 0x7f800000, v71
	s_delay_alu instid0(VALU_DEP_1) | instskip(SKIP_1) | instid1(SALU_CYCLE_1)
	v_cmp_ne_u32_e32 vcc_lo, 0x7f800000, v7
                                        ; implicit-def: $vgpr7
	s_and_saveexec_b32 s3, vcc_lo
	s_xor_b32 s3, exec_lo, s3
; %bb.103:
	v_bfe_u32 v7, v71, 16, 1
	s_delay_alu instid0(VALU_DEP_1)
	v_add3_u32 v7, v71, v7, 0x7fff
; %bb.104:
	s_and_not1_saveexec_b32 s3, s3
; %bb.105:
	v_and_b32_e32 v7, 0xffff, v71
	v_or_b32_e32 v8, 0x10000, v71
	s_delay_alu instid0(VALU_DEP_2) | instskip(NEXT) | instid1(VALU_DEP_2)
	v_cmp_eq_u32_e32 vcc_lo, 0, v7
	v_cndmask_b32_e32 v7, v8, v71, vcc_lo
; %bb.106:
	s_or_b32 exec_lo, exec_lo, s3
	v_and_b32_e32 v8, 0x7f800000, v72
	s_delay_alu instid0(VALU_DEP_1) | instskip(SKIP_1) | instid1(SALU_CYCLE_1)
	v_cmp_ne_u32_e32 vcc_lo, 0x7f800000, v8
                                        ; implicit-def: $vgpr8
	s_and_saveexec_b32 s3, vcc_lo
	s_xor_b32 s3, exec_lo, s3
; %bb.107:
	v_bfe_u32 v8, v72, 16, 1
	s_delay_alu instid0(VALU_DEP_1)
	v_add3_u32 v8, v72, v8, 0x7fff
                                        ; implicit-def: $vgpr65_vgpr66_vgpr67_vgpr68_vgpr69_vgpr70_vgpr71_vgpr72
; %bb.108:
	s_and_not1_saveexec_b32 s3, s3
; %bb.109:
	v_and_b32_e32 v8, 0xffff, v72
	v_or_b32_e32 v9, 0x10000, v72
	s_delay_alu instid0(VALU_DEP_2) | instskip(NEXT) | instid1(VALU_DEP_2)
	v_cmp_eq_u32_e32 vcc_lo, 0, v8
	v_cndmask_b32_e32 v8, v9, v72, vcc_lo
; %bb.110:
	s_or_b32 exec_lo, exec_lo, s3
	s_delay_alu instid0(VALU_DEP_1)
	v_perm_b32 v7, v8, v7, 0x7060302
	v_perm_b32 v6, v6, v5, 0x7060302
	;; [unrolled: 1-line block ×4, first 2 shown]
	s_barrier
	buffer_gl0_inv
	v_cmp_eq_u32_e32 vcc_lo, 1, v78
	ds_store_b128 v76, v[4:7]
	s_waitcnt lgkmcnt(0)
	s_barrier
	buffer_gl0_inv
	ds_load_b128 v[1:4], v82
	ds_load_b128 v[5:8], v82 offset:16
	v_cmp_eq_u32_e64 s3, 1, v79
	v_cmp_eq_u32_e64 s4, 2, v78
	;; [unrolled: 1-line block ×5, first 2 shown]
	s_waitcnt lgkmcnt(1)
	v_lshrrev_b32_e32 v9, 16, v1
	s_waitcnt lgkmcnt(0)
	v_lshrrev_b32_e32 v13, 16, v5
	v_lshrrev_b32_e32 v10, 16, v2
	;; [unrolled: 1-line block ×4, first 2 shown]
	v_cndmask_b32_e64 v19, v1, v9, s3
	v_cndmask_b32_e32 v18, v5, v13, vcc_lo
	v_cndmask_b32_e64 v20, v5, v13, s3
	v_cndmask_b32_e32 v17, v1, v9, vcc_lo
	v_cmp_eq_u32_e32 vcc_lo, 2, v79
	v_lshrrev_b32_e32 v15, 16, v7
	v_cmp_eq_u32_e64 s3, 1, v77
	v_lshrrev_b32_e32 v12, 16, v4
	v_lshrrev_b32_e32 v16, 16, v8
	v_cndmask_b32_e32 v20, v20, v6, vcc_lo
	v_cndmask_b32_e64 v17, v17, v2, s4
	v_cndmask_b32_e32 v19, v19, v2, vcc_lo
	v_cndmask_b32_e64 v18, v18, v6, s4
	v_cmp_eq_u32_e32 vcc_lo, 4, v78
	v_cmp_eq_u32_e64 s4, 3, v79
	v_cndmask_b32_e64 v17, v17, v10, s5
	v_cndmask_b32_e64 v21, v1, v9, s3
	;; [unrolled: 1-line block ×5, first 2 shown]
	v_cndmask_b32_e32 v17, v17, v3, vcc_lo
	v_cndmask_b32_e64 v20, v20, v14, s4
	v_cndmask_b32_e32 v18, v18, v7, vcc_lo
	v_cmp_eq_u32_e32 vcc_lo, 4, v79
	v_cmp_eq_u32_e64 s4, 5, v79
	v_cmp_eq_u32_e64 s3, 2, v81
	v_cndmask_b32_e64 v21, v21, v2, s7
	v_cmp_eq_u32_e64 s5, 5, v78
	v_cndmask_b32_e32 v19, v19, v3, vcc_lo
	v_cndmask_b32_e32 v20, v20, v7, vcc_lo
	v_cmp_eq_u32_e32 vcc_lo, 6, v79
	s_delay_alu instid0(VALU_DEP_4) | instskip(NEXT) | instid1(VALU_DEP_4)
	v_cndmask_b32_e64 v17, v17, v11, s5
	v_cndmask_b32_e64 v19, v19, v11, s4
	s_delay_alu instid0(VALU_DEP_4) | instskip(SKIP_1) | instid1(VALU_DEP_3)
	v_cndmask_b32_e64 v20, v20, v15, s4
	v_cmp_eq_u32_e64 s4, 1, v81
	v_cndmask_b32_e32 v19, v19, v4, vcc_lo
	v_cndmask_b32_e64 v18, v18, v15, s5
	s_delay_alu instid0(VALU_DEP_3)
	v_cndmask_b32_e64 v1, v1, v9, s4
	v_cndmask_b32_e64 v5, v5, v13, s4
	v_cmp_eq_u32_e64 s4, 3, v77
	v_cndmask_b32_e64 v13, v22, v6, s7
	v_cmp_eq_u32_e64 s7, 3, v81
	v_cndmask_b32_e64 v1, v1, v2, s3
	v_cndmask_b32_e64 v2, v5, v6, s3
	;; [unrolled: 1-line block ×3, first 2 shown]
	v_cmp_eq_u32_e64 s3, 4, v77
	v_cndmask_b32_e64 v6, v13, v14, s4
	v_cndmask_b32_e64 v1, v1, v10, s7
	v_cmp_eq_u32_e64 s4, 4, v81
	v_cndmask_b32_e64 v2, v2, v14, s7
	v_cndmask_b32_e64 v5, v9, v3, s3
	;; [unrolled: 3-line block ×3, first 2 shown]
	v_cndmask_b32_e64 v2, v2, v7, s4
	v_cmp_eq_u32_e64 s3, 5, v81
	v_cmp_eq_u32_e64 s5, 6, v78
	v_cndmask_b32_e64 v5, v5, v11, s7
	v_cmp_eq_u32_e64 s4, 6, v77
	v_cndmask_b32_e64 v3, v6, v15, s7
	v_cndmask_b32_e64 v1, v1, v11, s3
	v_cmp_eq_u32_e64 s7, 6, v81
	v_cndmask_b32_e64 v2, v2, v15, s3
	v_cndmask_b32_e64 v17, v17, v4, s5
	v_cndmask_b32_e64 v18, v18, v8, s5
	v_cmp_eq_u32_e64 s5, 7, v78
	v_cndmask_b32_e64 v5, v5, v4, s4
	;; [unrolled: 4-line block ×3, first 2 shown]
	v_cmp_eq_u32_e64 s4, 7, v77
	v_cndmask_b32_e32 v4, v20, v8, vcc_lo
	v_cndmask_b32_e64 v17, v17, v12, s5
	v_cndmask_b32_e64 v19, v19, v12, s6
	;; [unrolled: 1-line block ×8, first 2 shown]
	v_cmp_gt_u32_e32 vcc_lo, 32, v0
	v_perm_b32 v4, v2, v1, 0x5040100
	v_perm_b32 v3, v3, v5, 0x5040100
	;; [unrolled: 1-line block ×4, first 2 shown]
	s_and_b32 s2, vcc_lo, s2
	ds_store_b128 v76, v[1:4]
	s_waitcnt lgkmcnt(0)
	s_barrier
	buffer_gl0_inv
	s_and_saveexec_b32 s3, s2
	s_cbranch_execz .LBB1721_2
; %bb.111:
	s_load_b64 s[0:1], s[0:1], 0x68
	v_lshlrev_b32_e32 v0, 10, v0
	s_lshl_b32 s4, s34, 6
	v_or_b32_e32 v3, s31, v74
	s_mul_i32 s2, s4, s30
	v_lshlrev_b32_e32 v1, 4, v75
	s_mul_i32 s2, s2, s8
	v_lshlrev_b32_e32 v2, 6, v74
	v_and_b32_e32 v0, 0x3800, v0
	s_ashr_i32 s3, s2, 31
	v_mul_lo_u32 v4, v3, s4
	s_lshl_b64 s[2:3], s[2:3], 1
	s_delay_alu instid0(VALU_DEP_2) | instskip(NEXT) | instid1(VALU_DEP_2)
	v_or3_b32 v16, v0, v1, v2
	v_ashrrev_i32_e32 v5, 31, v4
	ds_load_b128 v[0:3], v16
	s_waitcnt lgkmcnt(0)
	s_add_u32 s2, s0, s2
	s_addc_u32 s3, s1, s3
	s_lshl_b32 s0, s14, 6
	v_lshlrev_b64 v[5:6], 1, v[4:5]
	s_ashr_i32 s1, s0, 31
	s_delay_alu instid0(SALU_CYCLE_1) | instskip(NEXT) | instid1(SALU_CYCLE_1)
	s_lshl_b64 s[0:1], s[0:1], 1
	s_add_u32 s0, s2, s0
	s_addc_u32 s1, s3, s1
	s_lshl_b32 s2, s34, 7
	v_add_co_u32 v30, s0, s0, v73
	v_add_nc_u32_e32 v8, s2, v4
	v_add_co_ci_u32_e64 v31, null, s1, 0, s0
	s_delay_alu instid0(VALU_DEP_3) | instskip(NEXT) | instid1(VALU_DEP_3)
	v_add_co_u32 v12, vcc_lo, v30, v5
	v_add_nc_u32_e32 v10, s2, v8
	v_ashrrev_i32_e32 v9, 31, v8
	s_delay_alu instid0(VALU_DEP_4)
	v_add_co_ci_u32_e32 v13, vcc_lo, v31, v6, vcc_lo
	ds_load_b128 v[4:7], v16 offset:128
	v_ashrrev_i32_e32 v11, 31, v10
	v_lshlrev_b64 v[8:9], 1, v[8:9]
	v_add_nc_u32_e32 v14, s2, v10
	global_store_b128 v[12:13], v[0:3], off
	v_lshlrev_b64 v[0:1], 1, v[10:11]
	v_ashrrev_i32_e32 v15, 31, v14
	v_add_co_u32 v22, vcc_lo, v30, v8
	v_add_nc_u32_e32 v20, s2, v14
	v_add_co_ci_u32_e32 v23, vcc_lo, v31, v9, vcc_lo
	v_add_co_u32 v26, vcc_lo, v30, v0
	v_lshlrev_b64 v[24:25], 1, v[14:15]
	v_add_co_ci_u32_e32 v27, vcc_lo, v31, v1, vcc_lo
	ds_load_b128 v[0:3], v16 offset:256
	ds_load_b128 v[8:11], v16 offset:384
	;; [unrolled: 1-line block ×4, first 2 shown]
	v_add_nc_u32_e32 v28, s2, v20
	v_ashrrev_i32_e32 v21, 31, v20
	v_add_co_u32 v24, vcc_lo, v30, v24
	v_add_co_ci_u32_e32 v25, vcc_lo, v31, v25, vcc_lo
	s_delay_alu instid0(VALU_DEP_4) | instskip(NEXT) | instid1(VALU_DEP_4)
	v_ashrrev_i32_e32 v29, 31, v28
	v_lshlrev_b64 v[20:21], 1, v[20:21]
	s_delay_alu instid0(VALU_DEP_2) | instskip(NEXT) | instid1(VALU_DEP_2)
	v_lshlrev_b64 v[28:29], 1, v[28:29]
	v_add_co_u32 v20, vcc_lo, v30, v20
	s_delay_alu instid0(VALU_DEP_3) | instskip(NEXT) | instid1(VALU_DEP_3)
	v_add_co_ci_u32_e32 v21, vcc_lo, v31, v21, vcc_lo
	v_add_co_u32 v28, vcc_lo, v30, v28
	s_delay_alu instid0(VALU_DEP_4)
	v_add_co_ci_u32_e32 v29, vcc_lo, v31, v29, vcc_lo
	s_waitcnt lgkmcnt(4)
	global_store_b128 v[22:23], v[4:7], off
	s_waitcnt lgkmcnt(3)
	global_store_b128 v[26:27], v[0:3], off
	s_waitcnt lgkmcnt(2)
	global_store_b128 v[24:25], v[8:11], off
	s_waitcnt lgkmcnt(1)
	global_store_b128 v[20:21], v[12:15], off
	s_waitcnt lgkmcnt(0)
	global_store_b128 v[28:29], v[16:19], off
	s_nop 0
	s_sendmsg sendmsg(MSG_DEALLOC_VGPRS)
	s_endpgm
	.section	.rodata,"a",@progbits
	.p2align	6, 0x0
	.amdhsa_kernel _Z39paged_attention_ll4mi_QKV_mfma16_kernelI14__hip_bfloat16hLN4vllm18Fp8KVCacheDataTypeE1ES0_Li16ELi64ELi256ELb0ELi12EL8MFMAType0EEvPKT_PKT0_S9_ifPKiSB_SB_iPKfiiiPfSE_PS4_PT2_iSD_SD_
		.amdhsa_group_segment_fixed_size 17472
		.amdhsa_private_segment_fixed_size 0
		.amdhsa_kernarg_size 400
		.amdhsa_user_sgpr_count 13
		.amdhsa_user_sgpr_dispatch_ptr 0
		.amdhsa_user_sgpr_queue_ptr 0
		.amdhsa_user_sgpr_kernarg_segment_ptr 1
		.amdhsa_user_sgpr_dispatch_id 0
		.amdhsa_user_sgpr_private_segment_size 0
		.amdhsa_wavefront_size32 1
		.amdhsa_uses_dynamic_stack 0
		.amdhsa_enable_private_segment 0
		.amdhsa_system_sgpr_workgroup_id_x 1
		.amdhsa_system_sgpr_workgroup_id_y 1
		.amdhsa_system_sgpr_workgroup_id_z 1
		.amdhsa_system_sgpr_workgroup_info 0
		.amdhsa_system_vgpr_workitem_id 0
		.amdhsa_next_free_vgpr 124
		.amdhsa_next_free_sgpr 38
		.amdhsa_reserve_vcc 1
		.amdhsa_float_round_mode_32 0
		.amdhsa_float_round_mode_16_64 0
		.amdhsa_float_denorm_mode_32 3
		.amdhsa_float_denorm_mode_16_64 3
		.amdhsa_dx10_clamp 1
		.amdhsa_ieee_mode 1
		.amdhsa_fp16_overflow 0
		.amdhsa_workgroup_processor_mode 1
		.amdhsa_memory_ordered 1
		.amdhsa_forward_progress 0
		.amdhsa_shared_vgpr_count 0
		.amdhsa_exception_fp_ieee_invalid_op 0
		.amdhsa_exception_fp_denorm_src 0
		.amdhsa_exception_fp_ieee_div_zero 0
		.amdhsa_exception_fp_ieee_overflow 0
		.amdhsa_exception_fp_ieee_underflow 0
		.amdhsa_exception_fp_ieee_inexact 0
		.amdhsa_exception_int_div_zero 0
	.end_amdhsa_kernel
	.section	.text._Z39paged_attention_ll4mi_QKV_mfma16_kernelI14__hip_bfloat16hLN4vllm18Fp8KVCacheDataTypeE1ES0_Li16ELi64ELi256ELb0ELi12EL8MFMAType0EEvPKT_PKT0_S9_ifPKiSB_SB_iPKfiiiPfSE_PS4_PT2_iSD_SD_,"axG",@progbits,_Z39paged_attention_ll4mi_QKV_mfma16_kernelI14__hip_bfloat16hLN4vllm18Fp8KVCacheDataTypeE1ES0_Li16ELi64ELi256ELb0ELi12EL8MFMAType0EEvPKT_PKT0_S9_ifPKiSB_SB_iPKfiiiPfSE_PS4_PT2_iSD_SD_,comdat
.Lfunc_end1721:
	.size	_Z39paged_attention_ll4mi_QKV_mfma16_kernelI14__hip_bfloat16hLN4vllm18Fp8KVCacheDataTypeE1ES0_Li16ELi64ELi256ELb0ELi12EL8MFMAType0EEvPKT_PKT0_S9_ifPKiSB_SB_iPKfiiiPfSE_PS4_PT2_iSD_SD_, .Lfunc_end1721-_Z39paged_attention_ll4mi_QKV_mfma16_kernelI14__hip_bfloat16hLN4vllm18Fp8KVCacheDataTypeE1ES0_Li16ELi64ELi256ELb0ELi12EL8MFMAType0EEvPKT_PKT0_S9_ifPKiSB_SB_iPKfiiiPfSE_PS4_PT2_iSD_SD_
                                        ; -- End function
	.section	.AMDGPU.csdata,"",@progbits
; Kernel info:
; codeLenInByte = 8808
; NumSgprs: 40
; NumVgprs: 124
; ScratchSize: 0
; MemoryBound: 0
; FloatMode: 240
; IeeeMode: 1
; LDSByteSize: 17472 bytes/workgroup (compile time only)
; SGPRBlocks: 4
; VGPRBlocks: 15
; NumSGPRsForWavesPerEU: 40
; NumVGPRsForWavesPerEU: 124
; Occupancy: 10
; WaveLimiterHint : 1
; COMPUTE_PGM_RSRC2:SCRATCH_EN: 0
; COMPUTE_PGM_RSRC2:USER_SGPR: 13
; COMPUTE_PGM_RSRC2:TRAP_HANDLER: 0
; COMPUTE_PGM_RSRC2:TGID_X_EN: 1
; COMPUTE_PGM_RSRC2:TGID_Y_EN: 1
; COMPUTE_PGM_RSRC2:TGID_Z_EN: 1
; COMPUTE_PGM_RSRC2:TIDIG_COMP_CNT: 0
	.section	.text._Z39paged_attention_ll4mi_QKV_mfma16_kernelI14__hip_bfloat16hLN4vllm18Fp8KVCacheDataTypeE1ES0_Li16ELi64ELi256ELb0ELi13EL8MFMAType0EEvPKT_PKT0_S9_ifPKiSB_SB_iPKfiiiPfSE_PS4_PT2_iSD_SD_,"axG",@progbits,_Z39paged_attention_ll4mi_QKV_mfma16_kernelI14__hip_bfloat16hLN4vllm18Fp8KVCacheDataTypeE1ES0_Li16ELi64ELi256ELb0ELi13EL8MFMAType0EEvPKT_PKT0_S9_ifPKiSB_SB_iPKfiiiPfSE_PS4_PT2_iSD_SD_,comdat
	.protected	_Z39paged_attention_ll4mi_QKV_mfma16_kernelI14__hip_bfloat16hLN4vllm18Fp8KVCacheDataTypeE1ES0_Li16ELi64ELi256ELb0ELi13EL8MFMAType0EEvPKT_PKT0_S9_ifPKiSB_SB_iPKfiiiPfSE_PS4_PT2_iSD_SD_ ; -- Begin function _Z39paged_attention_ll4mi_QKV_mfma16_kernelI14__hip_bfloat16hLN4vllm18Fp8KVCacheDataTypeE1ES0_Li16ELi64ELi256ELb0ELi13EL8MFMAType0EEvPKT_PKT0_S9_ifPKiSB_SB_iPKfiiiPfSE_PS4_PT2_iSD_SD_
	.globl	_Z39paged_attention_ll4mi_QKV_mfma16_kernelI14__hip_bfloat16hLN4vllm18Fp8KVCacheDataTypeE1ES0_Li16ELi64ELi256ELb0ELi13EL8MFMAType0EEvPKT_PKT0_S9_ifPKiSB_SB_iPKfiiiPfSE_PS4_PT2_iSD_SD_
	.p2align	8
	.type	_Z39paged_attention_ll4mi_QKV_mfma16_kernelI14__hip_bfloat16hLN4vllm18Fp8KVCacheDataTypeE1ES0_Li16ELi64ELi256ELb0ELi13EL8MFMAType0EEvPKT_PKT0_S9_ifPKiSB_SB_iPKfiiiPfSE_PS4_PT2_iSD_SD_,@function
_Z39paged_attention_ll4mi_QKV_mfma16_kernelI14__hip_bfloat16hLN4vllm18Fp8KVCacheDataTypeE1ES0_Li16ELi64ELi256ELb0ELi13EL8MFMAType0EEvPKT_PKT0_S9_ifPKiSB_SB_iPKfiiiPfSE_PS4_PT2_iSD_SD_: ; @_Z39paged_attention_ll4mi_QKV_mfma16_kernelI14__hip_bfloat16hLN4vllm18Fp8KVCacheDataTypeE1ES0_Li16ELi64ELi256ELb0ELi13EL8MFMAType0EEvPKT_PKT0_S9_ifPKiSB_SB_iPKfiiiPfSE_PS4_PT2_iSD_SD_
; %bb.0:
	s_load_b64 s[2:3], s[0:1], 0x30
	s_mov_b32 s34, s13
	s_waitcnt lgkmcnt(0)
	s_cmp_lg_u64 s[2:3], 0
	s_cselect_b32 s8, -1, 0
	s_ashr_i32 s35, s13, 31
	s_cmp_eq_u64 s[2:3], 0
	s_cbranch_scc1 .LBB1722_3
; %bb.1:
	s_lshl_b64 s[4:5], s[34:35], 2
	s_delay_alu instid0(SALU_CYCLE_1) | instskip(SKIP_4) | instid1(SALU_CYCLE_1)
	s_add_u32 s4, s2, s4
	s_addc_u32 s5, s3, s5
	s_load_b64 s[4:5], s[4:5], 0x0
	s_waitcnt lgkmcnt(0)
	s_sub_i32 s4, s5, s4
	s_cmp_eq_u32 s4, 1
	s_cselect_b32 s4, -1, 0
	s_delay_alu instid0(SALU_CYCLE_1)
	s_and_not1_b32 vcc_lo, exec_lo, s4
	s_cbranch_vccz .LBB1722_4
.LBB1722_2:
	s_nop 0
	s_sendmsg sendmsg(MSG_DEALLOC_VGPRS)
	s_endpgm
.LBB1722_3:
.LBB1722_4:
	s_load_b64 s[4:5], s[0:1], 0x28
	s_lshl_b64 s[6:7], s[34:35], 2
	s_waitcnt lgkmcnt(0)
	s_add_u32 s4, s4, s6
	s_addc_u32 s5, s5, s7
	s_lshl_b32 s12, s14, 8
	s_load_b32 s24, s[4:5], 0x0
	s_waitcnt lgkmcnt(0)
	s_cmp_ge_i32 s12, s24
	s_cbranch_scc1 .LBB1722_2
; %bb.5:
	s_clause 0x1
	s_load_b128 s[20:23], s[0:1], 0x8
	s_load_b64 s[4:5], s[0:1], 0x20
	s_and_not1_b32 vcc_lo, exec_lo, s8
	s_cbranch_vccnz .LBB1722_7
; %bb.6:
	s_add_u32 s2, s2, s6
	s_addc_u32 s3, s3, s7
	s_load_b32 s3, s[2:3], 0x0
	s_branch .LBB1722_8
.LBB1722_7:
	s_mov_b32 s3, s34
.LBB1722_8:
	s_load_b128 s[16:19], s[0:1], 0x48
	v_lshrrev_b32_e32 v66, 5, v0
	v_bfe_u32 v74, v0, 4, 1
	v_and_b32_e32 v65, 15, v0
	v_and_b32_e32 v67, 31, v0
	;; [unrolled: 1-line block ×3, first 2 shown]
	s_mul_i32 s31, s15, 13
	v_lshl_or_b32 v1, v66, 1, v74
	v_lshlrev_b32_e32 v2, 3, v65
	v_cmp_gt_u32_e64 s2, 8, v65
	s_delay_alu instid0(VALU_DEP_3) | instskip(NEXT) | instid1(VALU_DEP_3)
	v_cmp_gt_u32_e32 vcc_lo, 13, v1
	v_lshlrev_b32_e32 v73, 1, v2
	s_delay_alu instid0(VALU_DEP_3) | instskip(NEXT) | instid1(SALU_CYCLE_1)
	s_and_b32 s7, s2, vcc_lo
	s_and_saveexec_b32 s6, s7
	s_cbranch_execz .LBB1722_10
; %bb.9:
	s_load_b64 s[8:9], s[0:1], 0x0
	v_add_lshl_u32 v2, v1, s31, 6
	s_waitcnt lgkmcnt(0)
	s_mul_hi_i32 s11, s3, s16
	s_mul_i32 s10, s3, s16
	v_lshlrev_b32_e32 v6, 10, v65
	s_lshl_b64 s[10:11], s[10:11], 1
	v_ashrrev_i32_e32 v3, 31, v2
	v_lshlrev_b32_e32 v1, 6, v1
	v_lshlrev_b32_e32 v7, 10, v75
	v_and_b32_e32 v6, 0x3800, v6
	s_delay_alu instid0(VALU_DEP_4) | instskip(NEXT) | instid1(VALU_DEP_2)
	v_lshlrev_b64 v[2:3], 1, v[2:3]
	v_or3_b32 v1, v6, v7, v1
	s_add_u32 s3, s8, s10
	s_addc_u32 s7, s9, s11
	s_delay_alu instid0(VALU_DEP_2) | instskip(NEXT) | instid1(VALU_DEP_3)
	v_add_co_u32 v2, vcc_lo, s3, v2
	v_add_co_ci_u32_e32 v3, vcc_lo, s7, v3, vcc_lo
	s_delay_alu instid0(VALU_DEP_2) | instskip(NEXT) | instid1(VALU_DEP_2)
	v_add_co_u32 v2, vcc_lo, v2, v73
	v_add_co_ci_u32_e32 v3, vcc_lo, 0, v3, vcc_lo
	global_load_b128 v[2:5], v[2:3], off
	s_waitcnt vmcnt(0)
	ds_store_b128 v1, v[2:5]
.LBB1722_10:
	s_or_b32 exec_lo, exec_lo, s6
	v_and_b32_e32 v1, 0xef, v0
	s_waitcnt lgkmcnt(0)
	s_add_i32 s3, s24, 15
	s_clause 0x1
	s_load_b32 s6, s[0:1], 0x38
	s_load_b32 s19, s[0:1], 0x1c
	s_ashr_i32 s7, s3, 31
	v_add_nc_u32_e32 v1, s12, v1
	s_lshr_b32 s7, s7, 28
	s_waitcnt lgkmcnt(0)
	s_add_i32 s3, s3, s7
	s_barrier
	v_ashrrev_i32_e32 v2, 31, v1
	v_or_b32_e32 v3, 16, v1
	s_ashr_i32 s3, s3, 4
	v_cmp_gt_i32_e32 vcc_lo, s24, v1
	s_add_i32 s3, s3, -1
	v_lshrrev_b32_e32 v2, 28, v2
	buffer_gl0_inv
	s_mul_i32 s27, s15, s18
	v_add_nc_u32_e32 v4, v1, v2
	s_mul_i32 s6, s34, s6
	s_delay_alu instid0(SALU_CYCLE_1) | instskip(NEXT) | instid1(VALU_DEP_1)
	s_ashr_i32 s7, s6, 31
	v_ashrrev_i32_e32 v4, 4, v4
	v_add_nc_u32_e32 v2, v3, v2
	s_lshl_b64 s[6:7], s[6:7], 2
	s_delay_alu instid0(SALU_CYCLE_1) | instskip(NEXT) | instid1(VALU_DEP_2)
	s_add_u32 s26, s4, s6
	v_cndmask_b32_e32 v1, s3, v4, vcc_lo
	s_delay_alu instid0(VALU_DEP_2)
	v_ashrrev_i32_e32 v2, 4, v2
	v_cmp_gt_i32_e32 vcc_lo, s24, v3
	s_addc_u32 s25, s5, s7
	s_ashr_i32 s28, s27, 31
	s_add_u32 s13, s20, s27
	s_addc_u32 s15, s21, s28
	v_cndmask_b32_e32 v3, s3, v2, vcc_lo
	v_ashrrev_i32_e32 v2, 31, v1
	s_lshl_b32 s4, s14, 4
	s_delay_alu instid0(SALU_CYCLE_1) | instskip(NEXT) | instid1(VALU_DEP_2)
	s_ashr_i32 s5, s4, 31
	v_ashrrev_i32_e32 v4, 31, v3
	s_delay_alu instid0(VALU_DEP_2) | instskip(SKIP_1) | instid1(SALU_CYCLE_1)
	v_lshlrev_b64 v[1:2], 2, v[1:2]
	s_lshl_b64 s[4:5], s[4:5], 2
	s_add_u32 s4, s26, s4
	s_delay_alu instid0(VALU_DEP_2) | instskip(SKIP_1) | instid1(VALU_DEP_2)
	v_lshlrev_b64 v[3:4], 2, v[3:4]
	s_addc_u32 s5, s25, s5
	v_add_co_u32 v1, vcc_lo, s26, v1
	v_add_co_ci_u32_e32 v2, vcc_lo, s25, v2, vcc_lo
	s_delay_alu instid0(VALU_DEP_3) | instskip(NEXT) | instid1(VALU_DEP_4)
	v_add_co_u32 v3, vcc_lo, s26, v3
	v_add_co_ci_u32_e32 v4, vcc_lo, s25, v4, vcc_lo
	s_clause 0x1
	global_load_b32 v5, v[1:2], off
	global_load_b32 v7, v[3:4], off
	s_or_b32 s6, s12, 32
	v_lshlrev_b32_e32 v1, 4, v0
	s_ashr_i32 s7, s6, 4
	s_cmp_lt_i32 s6, s24
	v_cmp_gt_u32_e32 vcc_lo, 13, v65
	s_cselect_b32 s6, s7, s3
	v_and_b32_e32 v1, 0xf0, v1
	s_ashr_i32 s7, s6, 31
	s_delay_alu instid0(SALU_CYCLE_1) | instskip(NEXT) | instid1(SALU_CYCLE_1)
	s_lshl_b64 s[6:7], s[6:7], 2
	s_add_u32 s6, s26, s6
	s_addc_u32 s7, s25, s7
	s_or_b32 s8, s12, 64
	v_add_co_u32 v1, s13, s13, v1
	s_ashr_i32 s9, s8, 4
	s_cmp_lt_i32 s8, s24
	v_add_co_ci_u32_e64 v2, null, s15, 0, s13
	s_cselect_b32 s8, s9, s3
	s_delay_alu instid0(SALU_CYCLE_1) | instskip(NEXT) | instid1(SALU_CYCLE_1)
	s_ashr_i32 s9, s8, 31
	s_lshl_b64 s[8:9], s[8:9], 2
	s_delay_alu instid0(SALU_CYCLE_1) | instskip(SKIP_2) | instid1(SALU_CYCLE_1)
	s_add_u32 s8, s26, s8
	s_addc_u32 s9, s25, s9
	s_or_b32 s10, s12, 0x60
	s_ashr_i32 s11, s10, 4
	s_cmp_lt_i32 s10, s24
	s_cselect_b32 s10, s11, s3
	s_delay_alu instid0(SALU_CYCLE_1) | instskip(NEXT) | instid1(SALU_CYCLE_1)
	s_ashr_i32 s11, s10, 31
	s_lshl_b64 s[10:11], s[10:11], 2
	s_delay_alu instid0(SALU_CYCLE_1) | instskip(SKIP_2) | instid1(SALU_CYCLE_1)
	s_add_u32 s10, s26, s10
	s_addc_u32 s11, s25, s11
	s_or_b32 s16, s12, 0x80
	s_ashr_i32 s18, s16, 4
	s_cmp_lt_i32 s16, s24
	;; [unrolled: 10-line block ×3, first 2 shown]
	s_cselect_b32 s20, s18, s3
	s_delay_alu instid0(SALU_CYCLE_1) | instskip(NEXT) | instid1(SALU_CYCLE_1)
	s_ashr_i32 s21, s20, 31
	s_lshl_b64 s[20:21], s[20:21], 2
	s_delay_alu instid0(SALU_CYCLE_1)
	s_add_u32 s38, s26, s20
	s_addc_u32 s39, s25, s21
	s_clause 0x5
	s_load_b32 s21, s[4:5], 0x0
	s_load_b32 s13, s[6:7], 0x0
	;; [unrolled: 1-line block ×6, first 2 shown]
	s_or_b32 s8, s12, 0xc0
	s_mov_b32 s4, 0
	s_ashr_i32 s9, s8, 4
	s_cmp_lt_i32 s8, s24
	s_mov_b32 s11, s4
	s_cselect_b32 s36, s9, s3
	s_mov_b32 s5, s4
	s_ashr_i32 s37, s36, 31
	s_mov_b32 s6, s4
	s_lshl_b64 s[36:37], s[36:37], 2
	s_mov_b32 s7, s4
	s_add_u32 s36, s26, s36
	s_addc_u32 s37, s25, s37
	s_or_b32 s29, s12, 0xe0
	s_mov_b32 s8, s4
	s_ashr_i32 s30, s29, 4
	s_mov_b32 s9, s4
	s_mov_b32 s10, s4
	s_cmp_lt_i32 s29, s24
	v_dual_mov_b32 v107, s11 :: v_dual_mov_b32 v100, s4
	v_mov_b32_e32 v106, s10
	v_dual_mov_b32 v104, s8 :: v_dual_mov_b32 v103, s7
	v_dual_mov_b32 v102, s6 :: v_dual_mov_b32 v101, s5
	s_waitcnt vmcnt(1)
	v_mad_i64_i32 v[3:4], null, v5, s17, v[1:2]
	s_waitcnt vmcnt(0)
	v_mad_i64_i32 v[5:6], null, v7, s17, v[1:2]
	v_add_nc_u32_e32 v1, -13, v65
	v_lshlrev_b32_e32 v2, 4, v65
	s_clause 0x7
	global_load_b128 v[49:52], v[3:4], off
	global_load_b128 v[53:56], v[3:4], off offset:256
	global_load_b128 v[76:79], v[5:6], off
	global_load_b128 v[80:83], v[5:6], off offset:256
	global_load_b128 v[84:87], v[3:4], off offset:512
	;; [unrolled: 1-line block ×5, first 2 shown]
	v_cndmask_b32_e32 v1, v1, v65, vcc_lo
	v_mov_b32_e32 v105, s9
	s_cselect_b32 s4, s30, s3
	v_lshl_or_b32 v2, v66, 8, v2
	s_ashr_i32 s5, s4, 31
	v_lshlrev_b32_e32 v70, 6, v1
	s_lshl_b64 s[4:5], s[4:5], 2
	s_load_b32 s3, s[36:37], 0x0
	s_add_u32 s4, s26, s4
	s_addc_u32 s5, s25, s5
	ds_load_b128 v[108:111], v70
	ds_load_b128 v[112:115], v70 offset:1024
	s_load_b32 s4, s[4:5], 0x0
	s_add_u32 s6, s22, s27
	s_addc_u32 s7, s23, s28
	v_add_co_u32 v9, s6, s6, v2
	s_delay_alu instid0(VALU_DEP_1) | instskip(SKIP_1) | instid1(VALU_DEP_1)
	v_add_co_ci_u32_e64 v10, null, s7, 0, s6
	s_waitcnt lgkmcnt(0)
	v_mad_i64_i32 v[1:2], null, s21, s17, v[9:10]
	v_mad_i64_i32 v[3:4], null, s13, s17, v[9:10]
	;; [unrolled: 1-line block ×7, first 2 shown]
	s_clause 0x9
	global_load_b128 v[57:60], v[1:2], off
	global_load_b128 v[61:64], v[1:2], off offset:16
	global_load_b128 v[41:44], v[3:4], off
	global_load_b128 v[45:48], v[3:4], off offset:16
	;; [unrolled: 2-line block ×5, first 2 shown]
	v_mad_i64_i32 v[68:69], null, s4, s17, v[9:10]
	s_clause 0x3
	global_load_b128 v[9:12], v[13:14], off
	global_load_b128 v[13:16], v[13:14], off offset:16
	global_load_b128 v[17:20], v[21:22], off
	global_load_b128 v[21:24], v[21:22], off offset:16
	s_waitcnt vmcnt(20)
	v_wmma_f32_16x16x16_bf16 v[116:123], v[49:56], v[108:115], v[100:107]
	s_clause 0x1
	global_load_b128 v[49:52], v[68:69], off
	global_load_b128 v[53:56], v[68:69], off offset:16
	v_and_b32_e32 v68, 0xe0, v0
	v_mbcnt_lo_u32_b32 v69, -1, 0
	s_delay_alu instid0(VALU_DEP_2)
	v_add_nc_u32_e32 v68, s12, v68
	s_waitcnt vmcnt(20)
	v_wmma_f32_16x16x16_bf16 v[100:107], v[76:83], v[108:115], v[100:107]
	ds_load_b128 v[76:79], v70 offset:2048
	ds_load_b128 v[80:83], v70 offset:3072
	v_xor_b32_e32 v70, 16, v69
	s_waitcnt vmcnt(0) lgkmcnt(0)
	v_or_b32_e32 v68, v68, v74
	s_barrier
	buffer_gl0_inv
	v_cmp_gt_i32_e32 vcc_lo, 32, v70
	v_or_b32_e32 v71, 4, v68
	v_or_b32_e32 v72, 6, v68
	v_cmp_gt_i32_e64 s3, s24, v68
	v_or_b32_e32 v108, 8, v68
	v_or_b32_e32 v109, 10, v68
	v_cmp_gt_i32_e64 s4, s24, v71
	v_cmp_gt_i32_e64 s5, s24, v72
	s_delay_alu instid0(VALU_DEP_4) | instskip(NEXT) | instid1(VALU_DEP_4)
	v_cmp_gt_i32_e64 s6, s24, v108
	v_cmp_gt_i32_e64 s7, s24, v109
	v_wmma_f32_16x16x16_bf16 v[116:123], v[84:91], v[76:83], v[116:123]
	v_cndmask_b32_e32 v69, v69, v70, vcc_lo
	v_or_b32_e32 v70, 2, v68
	v_wmma_f32_16x16x16_bf16 v[100:107], v[92:99], v[76:83], v[100:107]
	v_or_b32_e32 v89, 22, v68
	v_dual_mul_f32 v82, s19, v119 :: v_dual_mul_f32 v79, s19, v122
	v_dual_mul_f32 v92, s19, v117 :: v_dual_mul_f32 v93, s19, v116
	s_delay_alu instid0(VALU_DEP_4) | instskip(SKIP_2) | instid1(VALU_DEP_4)
	v_mul_f32_e32 v98, s19, v103
	v_cmp_gt_i32_e32 vcc_lo, s24, v70
	v_dual_mul_f32 v83, s19, v118 :: v_dual_mul_f32 v96, s19, v105
	v_cndmask_b32_e64 v93, 0xff7fffff, v93, s3
	v_or_b32_e32 v84, 12, v68
	v_cndmask_b32_e32 v92, 0xff7fffff, v92, vcc_lo
	v_or_b32_e32 v85, 14, v68
	v_dual_mul_f32 v80, s19, v121 :: v_dual_mul_f32 v81, s19, v120
	v_mul_f32_e32 v94, s19, v107
	v_cndmask_b32_e64 v71, 0xff7fffff, v83, s4
	v_cndmask_b32_e64 v72, 0xff7fffff, v82, s5
	v_cmp_gt_i32_e64 s13, s24, v89
	v_lshlrev_b32_e32 v89, 2, v69
	v_max3_f32 v82, v93, 0xff7fffff, v92
	v_or_b32_e32 v86, 16, v68
	v_or_b32_e32 v87, 18, v68
	v_mul_f32_e32 v78, s19, v123
	v_cndmask_b32_e64 v81, 0xff7fffff, v81, s6
	v_cndmask_b32_e64 v80, 0xff7fffff, v80, s7
	v_max3_f32 v71, v82, v71, v72
	v_cmp_gt_i32_e64 s8, s24, v84
	v_cmp_gt_i32_e64 s9, s24, v85
	v_or_b32_e32 v88, 20, v68
	v_or_b32_e32 v90, 24, v68
	;; [unrolled: 1-line block ×5, first 2 shown]
	v_dual_mul_f32 v95, s19, v106 :: v_dual_mul_f32 v70, s19, v101
	v_dual_mul_f32 v99, s19, v102 :: v_dual_mul_f32 v68, s19, v100
	v_cndmask_b32_e64 v72, 0xff7fffff, v79, s8
	v_cndmask_b32_e64 v78, 0xff7fffff, v78, s9
	v_max3_f32 v71, v71, v81, v80
	v_cmp_gt_i32_e64 s10, s24, v86
	v_cmp_gt_i32_e64 s11, s24, v87
	v_cmp_gt_i32_e64 s12, s24, v88
	v_mul_f32_e32 v97, s19, v104
	v_max3_f32 v71, v71, v72, v78
	v_cndmask_b32_e64 v68, 0xff7fffff, v68, s10
	v_cndmask_b32_e64 v70, 0xff7fffff, v70, s11
	;; [unrolled: 1-line block ×4, first 2 shown]
	v_cmp_gt_i32_e64 s15, s24, v90
	v_cmp_gt_i32_e64 s16, s24, v91
	v_max3_f32 v68, v71, v68, v70
	v_cmp_gt_i32_e64 s17, s24, v76
	v_cmp_gt_i32_e64 s18, s24, v77
	v_cndmask_b32_e64 v70, 0xff7fffff, v97, s15
	v_cndmask_b32_e64 v71, 0xff7fffff, v96, s16
	v_max3_f32 v68, v68, v72, v78
	v_cndmask_b32_e64 v72, 0xff7fffff, v95, s17
	v_cndmask_b32_e64 v76, 0xff7fffff, v94, s18
	s_delay_alu instid0(VALU_DEP_3) | instskip(NEXT) | instid1(VALU_DEP_1)
	v_max3_f32 v68, v68, v70, v71
	v_max3_f32 v68, v68, v72, v76
	ds_bpermute_b32 v69, v89, v68
	s_waitcnt lgkmcnt(0)
	v_max_f32_e32 v69, v69, v69
	s_delay_alu instid0(VALU_DEP_1) | instskip(NEXT) | instid1(VALU_DEP_1)
	v_max_f32_e32 v68, v68, v69
	v_fma_f32 v69, s19, v116, -v68
	v_fma_f32 v70, s19, v117, -v68
	;; [unrolled: 1-line block ×5, first 2 shown]
	s_delay_alu instid0(VALU_DEP_4) | instskip(NEXT) | instid1(VALU_DEP_4)
	v_dual_mul_f32 v69, 0x3fb8aa3b, v69 :: v_dual_mul_f32 v70, 0x3fb8aa3b, v70
	v_mul_f32_e32 v72, 0x3fb8aa3b, v72
	v_fma_f32 v78, s19, v122, -v68
	s_delay_alu instid0(VALU_DEP_4) | instskip(NEXT) | instid1(VALU_DEP_4)
	v_mul_f32_e32 v77, 0x3fb8aa3b, v76
	v_exp_f32_e32 v69, v69
	v_exp_f32_e32 v70, v70
	v_mul_f32_e32 v71, 0x3fb8aa3b, v71
	v_exp_f32_e32 v72, v72
	v_mul_f32_e32 v78, 0x3fb8aa3b, v78
	v_exp_f32_e32 v77, v77
	v_fma_f32 v81, s19, v105, -v68
	s_delay_alu instid0(VALU_DEP_2)
	v_exp_f32_e32 v78, v78
	v_cndmask_b32_e64 v80, 0, v69, s3
	v_cndmask_b32_e32 v76, 0, v70, vcc_lo
	v_exp_f32_e32 v71, v71
	v_fma_f32 v69, s19, v121, -v68
	v_cndmask_b32_e64 v85, 0, v72, s5
	v_add_f32_e32 v70, 0, v80
	s_delay_alu instid0(TRANS32_DEP_3)
	v_cndmask_b32_e64 v86, 0, v77, s6
	v_fma_f32 v77, s19, v101, -v68
	v_mul_f32_e32 v69, 0x3fb8aa3b, v69
	v_fma_f32 v72, s19, v100, -v68
	v_cndmask_b32_e64 v84, 0, v78, s8
	v_fma_f32 v78, s19, v103, -v68
	v_cndmask_b32_e64 v83, 0, v71, s4
	v_fma_f32 v71, s19, v123, -v68
	v_add_f32_e32 v70, v70, v76
	v_exp_f32_e32 v69, v69
	v_mul_f32_e32 v77, 0x3fb8aa3b, v77
	v_mul_f32_e32 v81, 0x3fb8aa3b, v81
	;; [unrolled: 1-line block ×3, first 2 shown]
	v_add_f32_e32 v70, v70, v83
	v_cmp_gt_u32_e64 s3, 16, v67
	v_exp_f32_e32 v77, v77
	v_exp_f32_e32 v81, v81
	;; [unrolled: 1-line block ×3, first 2 shown]
	v_cndmask_b32_e64 v87, 0, v69, s7
	v_add_f32_e32 v70, v70, v85
	s_delay_alu instid0(VALU_DEP_1) | instskip(SKIP_1) | instid1(VALU_DEP_2)
	v_dual_mul_f32 v72, 0x3fb8aa3b, v72 :: v_dual_add_f32 v69, v70, v86
	v_fma_f32 v70, s19, v102, -v68
	v_exp_f32_e32 v72, v72
	s_waitcnt_depctr 0xfff
	v_cndmask_b32_e64 v88, 0, v71, s9
	v_fma_f32 v71, s19, v104, -v68
	v_dual_add_f32 v69, v69, v87 :: v_dual_mul_f32 v70, 0x3fb8aa3b, v70
	s_delay_alu instid0(VALU_DEP_2) | instskip(NEXT) | instid1(VALU_DEP_2)
	v_dual_mul_f32 v78, 0x3fb8aa3b, v78 :: v_dual_mul_f32 v71, 0x3fb8aa3b, v71
	v_add_f32_e32 v69, v69, v84
	s_delay_alu instid0(VALU_DEP_3) | instskip(SKIP_1) | instid1(VALU_DEP_3)
	v_exp_f32_e32 v79, v70
	v_cndmask_b32_e64 v70, 0, v72, s10
	v_exp_f32_e32 v78, v78
	v_exp_f32_e32 v82, v71
	v_add_f32_e32 v72, v69, v88
	v_cndmask_b32_e64 v69, 0, v77, s11
	v_fma_f32 v77, s19, v106, -v68
	s_delay_alu instid0(VALU_DEP_3) | instskip(NEXT) | instid1(TRANS32_DEP_3)
	v_add_f32_e32 v72, v72, v70
	v_cndmask_b32_e64 v71, 0, v79, s12
	s_delay_alu instid0(VALU_DEP_3) | instskip(NEXT) | instid1(VALU_DEP_3)
	v_mul_f32_e32 v77, 0x3fb8aa3b, v77
	v_add_f32_e32 v79, v72, v69
	s_delay_alu instid0(TRANS32_DEP_2) | instskip(NEXT) | instid1(VALU_DEP_3)
	v_cndmask_b32_e64 v72, 0, v78, s13
	v_exp_f32_e32 v90, v77
	v_cndmask_b32_e64 v77, 0, v82, s15
	s_delay_alu instid0(VALU_DEP_3) | instskip(SKIP_1) | instid1(VALU_DEP_1)
	v_add_f32_e32 v78, v79, v71
	v_fma_f32 v79, s19, v107, -v68
	v_dual_add_f32 v82, v78, v72 :: v_dual_mul_f32 v79, 0x3fb8aa3b, v79
	v_cndmask_b32_e64 v78, 0, v81, s16
	s_delay_alu instid0(VALU_DEP_2) | instskip(NEXT) | instid1(VALU_DEP_3)
	v_add_f32_e32 v81, v82, v77
	v_exp_f32_e32 v82, v79
	s_delay_alu instid0(TRANS32_DEP_2) | instskip(NEXT) | instid1(VALU_DEP_2)
	v_cndmask_b32_e64 v79, 0, v90, s17
	v_add_f32_e32 v81, v81, v78
	s_delay_alu instid0(VALU_DEP_1) | instskip(SKIP_2) | instid1(VALU_DEP_1)
	v_add_f32_e32 v90, v81, v79
	s_waitcnt_depctr 0xfff
	v_cndmask_b32_e64 v81, 0, v82, s18
	v_add_f32_e32 v82, v90, v81
	ds_bpermute_b32 v89, v89, v82
	s_and_saveexec_b32 s4, s3
	s_cbranch_execz .LBB1722_12
; %bb.11:
	v_mul_u32_u24_e32 v67, 0x44, v66
	s_delay_alu instid0(VALU_DEP_1) | instskip(SKIP_1) | instid1(VALU_DEP_1)
	v_lshl_add_u32 v67, v65, 2, v67
	s_waitcnt lgkmcnt(0)
	v_dual_add_f32 v82, v82, v89 :: v_dual_add_nc_u32 v67, 0x4000, v67
	ds_store_2addr_b32 v67, v68, v82 offset1:136
.LBB1722_12:
	s_or_b32 exec_lo, exec_lo, s4
	v_lshlrev_b32_e32 v67, 2, v65
	s_waitcnt lgkmcnt(0)
	s_barrier
	buffer_gl0_inv
	v_cmp_eq_u32_e32 vcc_lo, 1, v66
	v_add_nc_u32_e32 v82, 0x4000, v67
	v_cmp_eq_u32_e64 s4, 2, v66
	v_cmp_eq_u32_e64 s6, 7, v66
	ds_load_2addr_b32 v[89:90], v82 offset1:17
	ds_load_2addr_b32 v[91:92], v82 offset0:34 offset1:51
	ds_load_2addr_b32 v[93:94], v82 offset0:68 offset1:85
	;; [unrolled: 1-line block ×4, first 2 shown]
	s_waitcnt lgkmcnt(4)
	v_max3_f32 v67, v89, 0xff7fffff, v90
	s_waitcnt lgkmcnt(3)
	s_delay_alu instid0(VALU_DEP_1) | instskip(SKIP_1) | instid1(VALU_DEP_1)
	v_max3_f32 v67, v67, v91, v92
	s_waitcnt lgkmcnt(2)
	v_max3_f32 v67, v67, v93, v94
	s_waitcnt lgkmcnt(1)
	s_delay_alu instid0(VALU_DEP_1) | instskip(NEXT) | instid1(VALU_DEP_1)
	v_max3_f32 v67, v67, v95, v96
	v_sub_f32_e32 v93, v93, v67
	s_delay_alu instid0(VALU_DEP_1) | instskip(NEXT) | instid1(VALU_DEP_1)
	v_dual_sub_f32 v68, v89, v67 :: v_dual_mul_f32 v103, 0x3fb8aa3b, v93
	v_mul_f32_e32 v68, 0x3fb8aa3b, v68
	s_delay_alu instid0(VALU_DEP_1)
	v_exp_f32_e32 v100, v68
	v_sub_f32_e32 v68, v92, v67
	v_sub_f32_e32 v99, v90, v67
	ds_load_2addr_b32 v[89:90], v82 offset0:170 offset1:187
	v_dual_mul_f32 v102, 0x3fb8aa3b, v68 :: v_dual_mul_f32 v99, 0x3fb8aa3b, v99
	s_waitcnt lgkmcnt(1)
	v_fma_f32 v68, v100, v97, 0
	s_delay_alu instid0(VALU_DEP_2) | instskip(NEXT) | instid1(VALU_DEP_2)
	v_exp_f32_e32 v102, v102
	v_exp_f32_e32 v99, v99
	s_waitcnt_depctr 0xfff
	v_fmac_f32_e32 v68, v99, v98
	v_sub_f32_e32 v91, v91, v67
	s_delay_alu instid0(VALU_DEP_1)
	v_mul_f32_e32 v101, 0x3fb8aa3b, v91
	ds_load_2addr_b32 v[91:92], v82 offset0:204 offset1:221
	v_sub_f32_e32 v97, v94, v67
	ds_load_2addr_b32 v[93:94], v82 offset0:238 offset1:255
	s_waitcnt lgkmcnt(0)
	v_exp_f32_e32 v101, v101
	s_barrier
	buffer_gl0_inv
	v_dual_fmac_f32 v68, v101, v89 :: v_dual_sub_f32 v89, v96, v67
	v_dual_sub_f32 v82, v95, v67 :: v_dual_mul_f32 v95, 0x3fb8aa3b, v97
	v_exp_f32_e32 v97, v103
	s_delay_alu instid0(VALU_DEP_2) | instskip(NEXT) | instid1(VALU_DEP_2)
	v_dual_fmac_f32 v68, v102, v90 :: v_dual_mul_f32 v89, 0x3fb8aa3b, v89
	v_mul_f32_e32 v82, 0x3fb8aa3b, v82
	s_delay_alu instid0(VALU_DEP_3) | instskip(NEXT) | instid1(VALU_DEP_2)
	v_exp_f32_e32 v95, v95
	v_exp_f32_e32 v89, v89
	s_delay_alu instid0(VALU_DEP_1)
	v_exp_f32_e32 v82, v82
	v_fmac_f32_e32 v68, v97, v91
	s_delay_alu instid0(TRANS32_DEP_3) | instid1(VALU_DEP_1)
	v_fmac_f32_e32 v68, v95, v92
	s_waitcnt_depctr 0xfff
	v_fmac_f32_e32 v68, v82, v93
	s_delay_alu instid0(VALU_DEP_1) | instskip(NEXT) | instid1(VALU_DEP_1)
	v_fmac_f32_e32 v68, v89, v94
	v_add_f32_e32 v90, 0x358637bd, v68
	s_delay_alu instid0(VALU_DEP_1) | instskip(NEXT) | instid1(VALU_DEP_1)
	v_div_scale_f32 v91, null, v90, v90, 1.0
	v_rcp_f32_e32 v92, v91
	s_waitcnt_depctr 0xfff
	v_fma_f32 v93, -v91, v92, 1.0
	s_delay_alu instid0(VALU_DEP_1) | instskip(SKIP_1) | instid1(VALU_DEP_2)
	v_dual_fmac_f32 v92, v93, v92 :: v_dual_cndmask_b32 v93, v100, v99
	v_cmp_eq_u32_e32 vcc_lo, 3, v66
	v_cndmask_b32_e64 v93, v93, v101, s4
	v_cmp_eq_u32_e64 s4, 4, v66
	s_delay_alu instid0(VALU_DEP_2) | instskip(SKIP_1) | instid1(VALU_DEP_2)
	v_cndmask_b32_e32 v93, v93, v102, vcc_lo
	v_cmp_eq_u32_e32 vcc_lo, 5, v66
	v_cndmask_b32_e64 v93, v93, v97, s4
	v_cmp_eq_u32_e64 s4, 6, v66
	s_delay_alu instid0(VALU_DEP_2) | instskip(SKIP_1) | instid1(VALU_DEP_1)
	v_cndmask_b32_e32 v93, v93, v95, vcc_lo
	v_div_scale_f32 v94, s5, 1.0, v90, 1.0
	s_mov_b32 vcc_lo, s5
	s_delay_alu instid0(VALU_DEP_2) | instskip(NEXT) | instid1(VALU_DEP_2)
	v_cndmask_b32_e64 v82, v93, v82, s4
	v_mul_f32_e32 v96, v94, v92
	s_mov_b32 s4, exec_lo
	s_delay_alu instid0(VALU_DEP_2) | instskip(NEXT) | instid1(VALU_DEP_2)
	v_cndmask_b32_e64 v82, v82, v89, s6
	v_fma_f32 v98, -v91, v96, v94
	s_delay_alu instid0(VALU_DEP_1) | instskip(NEXT) | instid1(VALU_DEP_1)
	v_fmac_f32_e32 v96, v98, v92
	v_fma_f32 v91, -v91, v96, v94
	s_delay_alu instid0(VALU_DEP_1) | instskip(NEXT) | instid1(VALU_DEP_1)
	v_div_fmas_f32 v91, v91, v92, v96
	v_div_fixup_f32 v90, v91, v90, 1.0
	s_delay_alu instid0(VALU_DEP_1) | instskip(NEXT) | instid1(VALU_DEP_1)
	v_mul_f32_e32 v82, v82, v90
	v_mul_f32_e32 v87, v82, v87
	v_mul_f32_e32 v90, v82, v80
	v_mul_f32_e32 v80, v82, v88
	v_mul_f32_e32 v84, v82, v84
	v_mul_f32_e32 v88, v82, v86
	v_mul_f32_e32 v89, v82, v85
	v_dual_mul_f32 v86, v82, v83 :: v_dual_and_b32 v91, 0x7f800000, v90
	v_mul_f32_e32 v85, v82, v76
                                        ; implicit-def: $vgpr76
	s_delay_alu instid0(VALU_DEP_2)
	v_cmpx_ne_u32_e32 0x7f800000, v91
	s_xor_b32 s4, exec_lo, s4
; %bb.13:
	v_bfe_u32 v76, v90, 16, 1
	s_delay_alu instid0(VALU_DEP_1)
	v_add3_u32 v76, v90, v76, 0x7fff
                                        ; implicit-def: $vgpr90
; %bb.14:
	s_and_not1_saveexec_b32 s4, s4
; %bb.15:
	v_and_b32_e32 v76, 0xffff, v90
	v_or_b32_e32 v83, 0x10000, v90
	s_delay_alu instid0(VALU_DEP_2) | instskip(NEXT) | instid1(VALU_DEP_2)
	v_cmp_eq_u32_e32 vcc_lo, 0, v76
	v_cndmask_b32_e32 v76, v83, v90, vcc_lo
; %bb.16:
	s_or_b32 exec_lo, exec_lo, s4
	v_and_b32_e32 v83, 0x7f800000, v85
	s_delay_alu instid0(VALU_DEP_1) | instskip(SKIP_1) | instid1(SALU_CYCLE_1)
	v_cmp_ne_u32_e32 vcc_lo, 0x7f800000, v83
                                        ; implicit-def: $vgpr83
	s_and_saveexec_b32 s4, vcc_lo
	s_xor_b32 s4, exec_lo, s4
; %bb.17:
	v_bfe_u32 v83, v85, 16, 1
	s_delay_alu instid0(VALU_DEP_1)
	v_add3_u32 v83, v85, v83, 0x7fff
                                        ; implicit-def: $vgpr85
; %bb.18:
	s_and_not1_saveexec_b32 s4, s4
; %bb.19:
	v_and_b32_e32 v83, 0xffff, v85
	v_or_b32_e32 v90, 0x10000, v85
	s_delay_alu instid0(VALU_DEP_2) | instskip(NEXT) | instid1(VALU_DEP_2)
	v_cmp_eq_u32_e32 vcc_lo, 0, v83
	v_cndmask_b32_e32 v83, v90, v85, vcc_lo
; %bb.20:
	s_or_b32 exec_lo, exec_lo, s4
	v_and_b32_e32 v85, 0x7f800000, v86
	s_delay_alu instid0(VALU_DEP_1) | instskip(SKIP_1) | instid1(SALU_CYCLE_1)
	v_cmp_ne_u32_e32 vcc_lo, 0x7f800000, v85
                                        ; implicit-def: $vgpr85
	s_and_saveexec_b32 s4, vcc_lo
	s_xor_b32 s4, exec_lo, s4
; %bb.21:
	v_bfe_u32 v85, v86, 16, 1
	s_delay_alu instid0(VALU_DEP_1)
	v_add3_u32 v85, v86, v85, 0x7fff
                                        ; implicit-def: $vgpr86
; %bb.22:
	s_and_not1_saveexec_b32 s4, s4
; %bb.23:
	v_and_b32_e32 v85, 0xffff, v86
	v_or_b32_e32 v90, 0x10000, v86
	s_delay_alu instid0(VALU_DEP_2) | instskip(NEXT) | instid1(VALU_DEP_2)
	v_cmp_eq_u32_e32 vcc_lo, 0, v85
	v_cndmask_b32_e32 v85, v90, v86, vcc_lo
; %bb.24:
	s_or_b32 exec_lo, exec_lo, s4
	v_and_b32_e32 v86, 0x7f800000, v89
	s_delay_alu instid0(VALU_DEP_1) | instskip(SKIP_1) | instid1(SALU_CYCLE_1)
	v_cmp_ne_u32_e32 vcc_lo, 0x7f800000, v86
                                        ; implicit-def: $vgpr86
	s_and_saveexec_b32 s4, vcc_lo
	s_xor_b32 s4, exec_lo, s4
; %bb.25:
	v_bfe_u32 v86, v89, 16, 1
	s_delay_alu instid0(VALU_DEP_1)
	v_add3_u32 v86, v89, v86, 0x7fff
                                        ; implicit-def: $vgpr89
; %bb.26:
	s_and_not1_saveexec_b32 s4, s4
; %bb.27:
	v_and_b32_e32 v86, 0xffff, v89
	v_or_b32_e32 v90, 0x10000, v89
	s_delay_alu instid0(VALU_DEP_2) | instskip(NEXT) | instid1(VALU_DEP_2)
	v_cmp_eq_u32_e32 vcc_lo, 0, v86
	v_cndmask_b32_e32 v86, v90, v89, vcc_lo
; %bb.28:
	s_or_b32 exec_lo, exec_lo, s4
	v_and_b32_e32 v89, 0x7f800000, v88
	s_delay_alu instid0(VALU_DEP_1) | instskip(SKIP_1) | instid1(SALU_CYCLE_1)
	v_cmp_ne_u32_e32 vcc_lo, 0x7f800000, v89
                                        ; implicit-def: $vgpr89
	s_and_saveexec_b32 s4, vcc_lo
	s_xor_b32 s4, exec_lo, s4
; %bb.29:
	v_bfe_u32 v89, v88, 16, 1
	s_delay_alu instid0(VALU_DEP_1)
	v_add3_u32 v89, v88, v89, 0x7fff
                                        ; implicit-def: $vgpr88
; %bb.30:
	s_and_not1_saveexec_b32 s4, s4
; %bb.31:
	v_and_b32_e32 v89, 0xffff, v88
	v_or_b32_e32 v90, 0x10000, v88
	s_delay_alu instid0(VALU_DEP_2) | instskip(NEXT) | instid1(VALU_DEP_2)
	v_cmp_eq_u32_e32 vcc_lo, 0, v89
	v_cndmask_b32_e32 v89, v90, v88, vcc_lo
; %bb.32:
	s_or_b32 exec_lo, exec_lo, s4
	v_and_b32_e32 v88, 0x7f800000, v87
	s_delay_alu instid0(VALU_DEP_1) | instskip(SKIP_1) | instid1(SALU_CYCLE_1)
	v_cmp_ne_u32_e32 vcc_lo, 0x7f800000, v88
                                        ; implicit-def: $vgpr88
	s_and_saveexec_b32 s4, vcc_lo
	s_xor_b32 s4, exec_lo, s4
; %bb.33:
	v_bfe_u32 v88, v87, 16, 1
	s_delay_alu instid0(VALU_DEP_1)
	v_add3_u32 v88, v87, v88, 0x7fff
                                        ; implicit-def: $vgpr87
; %bb.34:
	s_and_not1_saveexec_b32 s4, s4
; %bb.35:
	v_and_b32_e32 v88, 0xffff, v87
	v_or_b32_e32 v90, 0x10000, v87
	s_delay_alu instid0(VALU_DEP_2) | instskip(NEXT) | instid1(VALU_DEP_2)
	v_cmp_eq_u32_e32 vcc_lo, 0, v88
	v_cndmask_b32_e32 v88, v90, v87, vcc_lo
; %bb.36:
	s_or_b32 exec_lo, exec_lo, s4
	v_and_b32_e32 v87, 0x7f800000, v84
	s_delay_alu instid0(VALU_DEP_1) | instskip(SKIP_1) | instid1(SALU_CYCLE_1)
	v_cmp_ne_u32_e32 vcc_lo, 0x7f800000, v87
                                        ; implicit-def: $vgpr87
	s_and_saveexec_b32 s4, vcc_lo
	s_xor_b32 s4, exec_lo, s4
; %bb.37:
	v_bfe_u32 v87, v84, 16, 1
	s_delay_alu instid0(VALU_DEP_1)
	v_add3_u32 v87, v84, v87, 0x7fff
                                        ; implicit-def: $vgpr84
; %bb.38:
	s_and_not1_saveexec_b32 s4, s4
; %bb.39:
	v_and_b32_e32 v87, 0xffff, v84
	v_or_b32_e32 v90, 0x10000, v84
	s_delay_alu instid0(VALU_DEP_2) | instskip(NEXT) | instid1(VALU_DEP_2)
	v_cmp_eq_u32_e32 vcc_lo, 0, v87
	v_cndmask_b32_e32 v87, v90, v84, vcc_lo
; %bb.40:
	s_or_b32 exec_lo, exec_lo, s4
	v_and_b32_e32 v84, 0x7f800000, v80
	s_delay_alu instid0(VALU_DEP_1) | instskip(SKIP_1) | instid1(SALU_CYCLE_1)
	v_cmp_ne_u32_e32 vcc_lo, 0x7f800000, v84
                                        ; implicit-def: $vgpr84
	s_and_saveexec_b32 s4, vcc_lo
	s_xor_b32 s4, exec_lo, s4
; %bb.41:
	v_bfe_u32 v84, v80, 16, 1
	s_delay_alu instid0(VALU_DEP_1)
	v_add3_u32 v84, v80, v84, 0x7fff
                                        ; implicit-def: $vgpr80
; %bb.42:
	s_and_not1_saveexec_b32 s4, s4
; %bb.43:
	v_and_b32_e32 v84, 0xffff, v80
	v_or_b32_e32 v90, 0x10000, v80
	s_delay_alu instid0(VALU_DEP_2) | instskip(NEXT) | instid1(VALU_DEP_2)
	v_cmp_eq_u32_e32 vcc_lo, 0, v84
	v_cndmask_b32_e32 v84, v90, v80, vcc_lo
; %bb.44:
	s_or_b32 exec_lo, exec_lo, s4
	s_load_b64 s[36:37], s[0:1], 0x94
	v_lshlrev_b32_e32 v91, 4, v74
	s_delay_alu instid0(VALU_DEP_2)
	v_perm_b32 v90, v84, v87, 0x7060302
	v_dual_mul_f32 v79, v82, v79 :: v_dual_lshlrev_b32 v80, 6, v65
	v_dual_mul_f32 v77, v82, v77 :: v_dual_lshlrev_b32 v92, 11, v66
	v_mul_f32_e32 v84, v82, v70
	v_perm_b32 v89, v88, v89, 0x7060302
	v_perm_b32 v88, v86, v85, 0x7060302
	;; [unrolled: 1-line block ×3, first 2 shown]
	v_mul_f32_e32 v70, v82, v81
	v_or3_b32 v76, v91, v92, v80
	v_dual_mul_f32 v78, v82, v78 :: v_dual_and_b32 v85, 0x7f800000, v84
	v_mul_f32_e32 v83, v82, v72
	v_mul_f32_e32 v81, v82, v71
	;; [unrolled: 1-line block ×3, first 2 shown]
	s_mov_b32 s4, exec_lo
	ds_store_b128 v76, v[87:90]
                                        ; implicit-def: $vgpr69
	v_cmpx_ne_u32_e32 0x7f800000, v85
	s_xor_b32 s4, exec_lo, s4
; %bb.45:
	v_bfe_u32 v69, v84, 16, 1
	s_delay_alu instid0(VALU_DEP_1)
	v_add3_u32 v69, v84, v69, 0x7fff
                                        ; implicit-def: $vgpr84
; %bb.46:
	s_and_not1_saveexec_b32 s4, s4
; %bb.47:
	v_and_b32_e32 v69, 0xffff, v84
	v_or_b32_e32 v71, 0x10000, v84
	s_delay_alu instid0(VALU_DEP_2) | instskip(NEXT) | instid1(VALU_DEP_2)
	v_cmp_eq_u32_e32 vcc_lo, 0, v69
	v_cndmask_b32_e32 v69, v71, v84, vcc_lo
; %bb.48:
	s_or_b32 exec_lo, exec_lo, s4
	v_and_b32_e32 v71, 0x7f800000, v72
	s_delay_alu instid0(VALU_DEP_1) | instskip(SKIP_1) | instid1(SALU_CYCLE_1)
	v_cmp_ne_u32_e32 vcc_lo, 0x7f800000, v71
                                        ; implicit-def: $vgpr71
	s_and_saveexec_b32 s4, vcc_lo
	s_xor_b32 s4, exec_lo, s4
; %bb.49:
	v_bfe_u32 v71, v72, 16, 1
	s_delay_alu instid0(VALU_DEP_1)
	v_add3_u32 v71, v72, v71, 0x7fff
                                        ; implicit-def: $vgpr72
; %bb.50:
	s_and_not1_saveexec_b32 s4, s4
; %bb.51:
	v_and_b32_e32 v71, 0xffff, v72
	v_or_b32_e32 v82, 0x10000, v72
	s_delay_alu instid0(VALU_DEP_2) | instskip(NEXT) | instid1(VALU_DEP_2)
	v_cmp_eq_u32_e32 vcc_lo, 0, v71
	v_cndmask_b32_e32 v71, v82, v72, vcc_lo
; %bb.52:
	s_or_b32 exec_lo, exec_lo, s4
	v_and_b32_e32 v72, 0x7f800000, v81
	s_delay_alu instid0(VALU_DEP_1) | instskip(SKIP_1) | instid1(SALU_CYCLE_1)
	v_cmp_ne_u32_e32 vcc_lo, 0x7f800000, v72
                                        ; implicit-def: $vgpr72
	s_and_saveexec_b32 s4, vcc_lo
	s_xor_b32 s4, exec_lo, s4
; %bb.53:
	v_bfe_u32 v72, v81, 16, 1
	s_delay_alu instid0(VALU_DEP_1)
	v_add3_u32 v72, v81, v72, 0x7fff
                                        ; implicit-def: $vgpr81
; %bb.54:
	s_and_not1_saveexec_b32 s4, s4
; %bb.55:
	v_and_b32_e32 v72, 0xffff, v81
	v_or_b32_e32 v82, 0x10000, v81
	s_delay_alu instid0(VALU_DEP_2) | instskip(NEXT) | instid1(VALU_DEP_2)
	v_cmp_eq_u32_e32 vcc_lo, 0, v72
	v_cndmask_b32_e32 v72, v82, v81, vcc_lo
; %bb.56:
	s_or_b32 exec_lo, exec_lo, s4
	v_and_b32_e32 v81, 0x7f800000, v83
	s_delay_alu instid0(VALU_DEP_1) | instskip(SKIP_1) | instid1(SALU_CYCLE_1)
	v_cmp_ne_u32_e32 vcc_lo, 0x7f800000, v81
                                        ; implicit-def: $vgpr81
	s_and_saveexec_b32 s4, vcc_lo
	s_xor_b32 s4, exec_lo, s4
; %bb.57:
	v_bfe_u32 v81, v83, 16, 1
	s_delay_alu instid0(VALU_DEP_1)
	v_add3_u32 v81, v83, v81, 0x7fff
                                        ; implicit-def: $vgpr83
; %bb.58:
	s_and_not1_saveexec_b32 s4, s4
; %bb.59:
	v_and_b32_e32 v81, 0xffff, v83
	v_or_b32_e32 v82, 0x10000, v83
	s_delay_alu instid0(VALU_DEP_2) | instskip(NEXT) | instid1(VALU_DEP_2)
	v_cmp_eq_u32_e32 vcc_lo, 0, v81
	v_cndmask_b32_e32 v81, v82, v83, vcc_lo
; %bb.60:
	s_or_b32 exec_lo, exec_lo, s4
	v_and_b32_e32 v82, 0x7f800000, v77
	s_delay_alu instid0(VALU_DEP_1) | instskip(SKIP_1) | instid1(SALU_CYCLE_1)
	v_cmp_ne_u32_e32 vcc_lo, 0x7f800000, v82
                                        ; implicit-def: $vgpr82
	s_and_saveexec_b32 s4, vcc_lo
	s_xor_b32 s4, exec_lo, s4
; %bb.61:
	v_bfe_u32 v82, v77, 16, 1
	s_delay_alu instid0(VALU_DEP_1)
	v_add3_u32 v82, v77, v82, 0x7fff
                                        ; implicit-def: $vgpr77
; %bb.62:
	s_and_not1_saveexec_b32 s4, s4
; %bb.63:
	v_and_b32_e32 v82, 0xffff, v77
	v_or_b32_e32 v83, 0x10000, v77
	s_delay_alu instid0(VALU_DEP_2) | instskip(NEXT) | instid1(VALU_DEP_2)
	v_cmp_eq_u32_e32 vcc_lo, 0, v82
	v_cndmask_b32_e32 v82, v83, v77, vcc_lo
; %bb.64:
	s_or_b32 exec_lo, exec_lo, s4
	v_and_b32_e32 v77, 0x7f800000, v78
	s_delay_alu instid0(VALU_DEP_1) | instskip(SKIP_1) | instid1(SALU_CYCLE_1)
	v_cmp_ne_u32_e32 vcc_lo, 0x7f800000, v77
                                        ; implicit-def: $vgpr77
	s_and_saveexec_b32 s4, vcc_lo
	s_xor_b32 s4, exec_lo, s4
; %bb.65:
	v_bfe_u32 v77, v78, 16, 1
	s_delay_alu instid0(VALU_DEP_1)
	v_add3_u32 v77, v78, v77, 0x7fff
                                        ; implicit-def: $vgpr78
; %bb.66:
	s_and_not1_saveexec_b32 s4, s4
; %bb.67:
	v_and_b32_e32 v77, 0xffff, v78
	v_or_b32_e32 v83, 0x10000, v78
	s_delay_alu instid0(VALU_DEP_2) | instskip(NEXT) | instid1(VALU_DEP_2)
	v_cmp_eq_u32_e32 vcc_lo, 0, v77
	v_cndmask_b32_e32 v77, v83, v78, vcc_lo
; %bb.68:
	s_or_b32 exec_lo, exec_lo, s4
	v_and_b32_e32 v78, 0x7f800000, v79
	s_delay_alu instid0(VALU_DEP_1) | instskip(SKIP_1) | instid1(SALU_CYCLE_1)
	v_cmp_ne_u32_e32 vcc_lo, 0x7f800000, v78
                                        ; implicit-def: $vgpr78
	s_and_saveexec_b32 s4, vcc_lo
	s_xor_b32 s4, exec_lo, s4
; %bb.69:
	v_bfe_u32 v78, v79, 16, 1
	s_delay_alu instid0(VALU_DEP_1)
	v_add3_u32 v78, v79, v78, 0x7fff
                                        ; implicit-def: $vgpr79
; %bb.70:
	s_and_not1_saveexec_b32 s4, s4
; %bb.71:
	v_and_b32_e32 v78, 0xffff, v79
	v_or_b32_e32 v83, 0x10000, v79
	s_delay_alu instid0(VALU_DEP_2) | instskip(NEXT) | instid1(VALU_DEP_2)
	v_cmp_eq_u32_e32 vcc_lo, 0, v78
	v_cndmask_b32_e32 v78, v83, v79, vcc_lo
; %bb.72:
	s_or_b32 exec_lo, exec_lo, s4
	v_and_b32_e32 v79, 0x7f800000, v70
	s_delay_alu instid0(VALU_DEP_1) | instskip(SKIP_1) | instid1(SALU_CYCLE_1)
	v_cmp_ne_u32_e32 vcc_lo, 0x7f800000, v79
                                        ; implicit-def: $vgpr79
	s_and_saveexec_b32 s4, vcc_lo
	s_xor_b32 s4, exec_lo, s4
; %bb.73:
	v_bfe_u32 v79, v70, 16, 1
	s_delay_alu instid0(VALU_DEP_1)
	v_add3_u32 v79, v70, v79, 0x7fff
                                        ; implicit-def: $vgpr70
; %bb.74:
	s_and_not1_saveexec_b32 s4, s4
; %bb.75:
	v_and_b32_e32 v79, 0xffff, v70
	v_or_b32_e32 v83, 0x10000, v70
	s_delay_alu instid0(VALU_DEP_2) | instskip(NEXT) | instid1(VALU_DEP_2)
	v_cmp_eq_u32_e32 vcc_lo, 0, v79
	v_cndmask_b32_e32 v79, v83, v70, vcc_lo
; %bb.76:
	s_or_b32 exec_lo, exec_lo, s4
	s_delay_alu instid0(VALU_DEP_1)
	v_perm_b32 v86, v79, v78, 0x7060302
	v_perm_b32 v85, v77, v82, 0x7060302
	;; [unrolled: 1-line block ×4, first 2 shown]
	v_lshl_or_b32 v82, v66, 11, v80
	ds_store_b128 v76, v[83:86] offset:1024
	s_waitcnt lgkmcnt(0)
	s_barrier
	buffer_gl0_inv
	ds_load_b128 v[69:72], v82
	ds_load_b128 v[83:86], v82 offset:16
	s_waitcnt lgkmcnt(1)
	v_lshrrev_b32_e32 v66, 16, v69
	s_waitcnt lgkmcnt(0)
	v_lshrrev_b32_e32 v91, 16, v83
	v_lshlrev_b32_e32 v78, 2, v74
	v_lshrrev_b32_e32 v95, 16, v70
	v_lshrrev_b32_e32 v98, 16, v84
	;; [unrolled: 1-line block ×4, first 2 shown]
	v_cmp_eq_u32_e32 vcc_lo, 1, v78
	v_lshrrev_b32_e32 v97, 16, v72
	v_lshrrev_b32_e32 v100, 16, v86
	v_cndmask_b32_e32 v87, v83, v91, vcc_lo
	v_or_b32_e32 v79, 1, v78
	v_cndmask_b32_e32 v81, v69, v66, vcc_lo
	v_cmp_eq_u32_e64 s5, 2, v78
	v_cmp_eq_u32_e64 s8, 3, v78
	;; [unrolled: 1-line block ×5, first 2 shown]
	v_cndmask_b32_e64 v81, v81, v70, s5
	v_cndmask_b32_e64 v87, v87, v84, s5
	v_cmp_eq_u32_e64 s9, 3, v79
	v_cndmask_b32_e64 v88, v69, v66, s4
	v_or_b32_e32 v77, 2, v78
	v_cndmask_b32_e64 v81, v81, v95, s8
	v_cndmask_b32_e64 v87, v87, v98, s8
	;; [unrolled: 1-line block ×4, first 2 shown]
	v_cmp_eq_u32_e64 s11, 5, v78
	v_cndmask_b32_e64 v81, v81, v71, s10
	v_cndmask_b32_e64 v87, v87, v85, s10
	v_cmp_eq_u32_e64 s12, 4, v79
	v_cndmask_b32_e64 v88, v88, v95, s9
	v_cmp_eq_u32_e64 s6, 1, v77
	v_cndmask_b32_e64 v89, v89, v84, s7
	v_cndmask_b32_e64 v81, v81, v96, s11
	v_cmp_eq_u32_e64 s13, 6, v78
	v_cndmask_b32_e64 v88, v88, v71, s12
	;; [unrolled: 3-line block ×3, first 2 shown]
	v_cndmask_b32_e64 v89, v89, v98, s9
	v_cndmask_b32_e64 v81, v81, v72, s13
	v_cmp_eq_u32_e64 s16, 7, v78
	v_cndmask_b32_e64 v88, v88, v96, s15
	v_cndmask_b32_e64 v87, v87, v86, s13
	v_cmp_eq_u32_e64 s17, 6, v79
	v_cmp_eq_u32_e64 s18, 2, v77
	v_cndmask_b32_e64 v89, v89, v85, s12
	v_cndmask_b32_e64 v101, v81, v97, s16
	;; [unrolled: 1-line block ×6, first 2 shown]
	v_cmp_eq_u32_e64 s19, 7, v79
	v_cmp_eq_u32_e64 s20, 3, v77
	;; [unrolled: 1-line block ×4, first 2 shown]
	v_cndmask_b32_e64 v87, v87, v84, s18
	v_cndmask_b32_e64 v103, v88, v97, s19
	v_cndmask_b32_e64 v88, v89, v99, s15
	v_cndmask_b32_e64 v89, v81, v95, s20
	v_or_b32_e32 v81, 3, v78
	v_cndmask_b32_e64 v93, v87, v98, s20
	v_cmp_eq_u32_e64 s25, 6, v77
	v_cndmask_b32_e64 v104, v88, v86, s17
	v_cndmask_b32_e64 v92, v89, v71, s21
	v_cmp_eq_u32_e64 s22, 1, v81
	ds_load_b128 v[87:90], v82 offset:1024
	v_cmp_eq_u32_e64 s24, 2, v81
	v_cmp_eq_u32_e64 s26, 3, v81
	v_cndmask_b32_e64 v105, v92, v96, s23
	v_cndmask_b32_e64 v66, v69, v66, s22
	;; [unrolled: 1-line block ×4, first 2 shown]
	ds_load_b128 v[91:94], v82 offset:1040
	v_cmp_eq_u32_e64 s27, 4, v81
	v_cndmask_b32_e64 v66, v66, v70, s24
	v_cmp_eq_u32_e64 s28, 7, v77
	v_cndmask_b32_e64 v70, v83, v84, s24
	v_cndmask_b32_e64 v84, v105, v72, s25
	v_cmp_eq_u32_e64 s29, 5, v81
	v_cndmask_b32_e64 v66, v66, v95, s26
	v_cmp_eq_u32_e64 s30, 6, v81
	v_cndmask_b32_e64 v70, v70, v98, s26
	v_cndmask_b32_e64 v69, v69, v99, s23
	;; [unrolled: 1-line block ×4, first 2 shown]
	s_waitcnt lgkmcnt(1)
	v_lshrrev_b32_e32 v95, 16, v87
	v_cndmask_b32_e64 v70, v70, v85, s27
	v_cndmask_b32_e64 v71, v84, v97, s28
	;; [unrolled: 1-line block ×4, first 2 shown]
	v_cndmask_b32_e32 v84, v87, v95, vcc_lo
	v_cndmask_b32_e64 v70, v70, v99, s29
	s_waitcnt lgkmcnt(0)
	v_lshrrev_b32_e32 v85, 16, v91
	v_lshrrev_b32_e32 v96, 16, v88
	v_cndmask_b32_e64 v98, v87, v95, s4
	v_cndmask_b32_e64 v84, v84, v88, s5
	;; [unrolled: 1-line block ×3, first 2 shown]
	v_cndmask_b32_e32 v99, v91, v85, vcc_lo
	v_cmp_eq_u32_e32 vcc_lo, 7, v81
	v_cndmask_b32_e64 v66, v66, v72, s30
	v_cndmask_b32_e64 v72, v84, v96, s8
	;; [unrolled: 1-line block ×3, first 2 shown]
	v_lshrrev_b32_e32 v98, 16, v92
	v_cndmask_b32_e32 v70, v70, v100, vcc_lo
	v_cndmask_b32_e64 v86, v99, v92, s5
	v_cndmask_b32_e64 v69, v69, v100, s28
	v_lshrrev_b32_e32 v100, 16, v93
	v_cndmask_b32_e64 v72, v72, v89, s10
	v_lshrrev_b32_e32 v99, 16, v89
	v_cndmask_b32_e64 v86, v86, v98, s8
	v_perm_b32 v71, v69, v71, 0x5040100
	v_cndmask_b32_e64 v84, v84, v96, s9
	s_delay_alu instid0(VALU_DEP_3) | instskip(NEXT) | instid1(VALU_DEP_2)
	v_cndmask_b32_e64 v86, v86, v93, s10
	v_cndmask_b32_e64 v84, v84, v89, s12
	s_delay_alu instid0(VALU_DEP_2) | instskip(NEXT) | instid1(VALU_DEP_1)
	v_cndmask_b32_e64 v86, v86, v100, s11
	v_cndmask_b32_e64 v69, v86, v94, s13
	;; [unrolled: 1-line block ×5, first 2 shown]
	s_delay_alu instid0(VALU_DEP_3) | instskip(NEXT) | instid1(VALU_DEP_3)
	v_cndmask_b32_e64 v86, v86, v88, s18
	v_cndmask_b32_e64 v87, v87, v88, s24
	s_delay_alu instid0(VALU_DEP_3) | instskip(NEXT) | instid1(VALU_DEP_3)
	v_cndmask_b32_e64 v88, v95, v92, s24
	v_cndmask_b32_e64 v86, v86, v96, s20
	;; [unrolled: 3-line block ×7, first 2 shown]
	s_delay_alu instid0(VALU_DEP_3) | instskip(SKIP_2) | instid1(VALU_DEP_2)
	v_cndmask_b32_e64 v88, v88, v94, s30
	v_cndmask_b32_e32 v66, v66, v97, vcc_lo
	v_cndmask_b32_e64 v97, v72, v99, s11
	v_perm_b32 v72, v70, v66, 0x5040100
	v_perm_b32 v70, v83, v103, 0x5040100
	v_cndmask_b32_e64 v103, v91, v85, s6
	v_cndmask_b32_e64 v85, v91, v85, s4
	;; [unrolled: 1-line block ×4, first 2 shown]
	v_lshrrev_b32_e32 v97, 16, v90
	v_cndmask_b32_e64 v91, v103, v92, s18
	v_cndmask_b32_e64 v85, v85, v92, s7
	;; [unrolled: 1-line block ×3, first 2 shown]
	s_mov_b32 s4, exec_lo
	v_cndmask_b32_e64 v83, v84, v97, s16
	v_cndmask_b32_e64 v91, v91, v98, s20
	;; [unrolled: 1-line block ×3, first 2 shown]
	v_lshrrev_b32_e32 v84, 16, v94
	v_cndmask_b32_e64 v66, v66, v97, s19
	v_cndmask_b32_e64 v90, v86, v97, s28
	;; [unrolled: 1-line block ×4, first 2 shown]
	v_dual_cndmask_b32 v86, v87, v97 :: v_dual_cndmask_b32 v87, v88, v84
	v_cndmask_b32_e64 v91, v69, v84, s16
	s_delay_alu instid0(VALU_DEP_4) | instskip(NEXT) | instid1(VALU_DEP_4)
	v_cndmask_b32_e64 v89, v89, v100, s23
	v_cndmask_b32_e64 v85, v85, v100, s15
	v_perm_b32 v69, v102, v101, 0x5040100
	v_perm_b32 v86, v87, v86, 0x5040100
	;; [unrolled: 1-line block ×3, first 2 shown]
	v_cndmask_b32_e64 v89, v89, v94, s25
	v_cndmask_b32_e64 v85, v85, v94, s17
	s_mul_i32 s9, s37, 13
	s_delay_alu instid0(VALU_DEP_2) | instskip(NEXT) | instid1(VALU_DEP_2)
	v_cndmask_b32_e64 v88, v89, v84, s28
	v_cndmask_b32_e64 v89, v85, v84, s19
	s_delay_alu instid0(VALU_DEP_2) | instskip(NEXT) | instid1(VALU_DEP_2)
	v_perm_b32 v85, v88, v90, 0x5040100
	v_perm_b32 v84, v89, v66, 0x5040100
	ds_store_b128 v76, v[69:72]
	ds_store_b128 v76, v[83:86] offset:1024
	v_cmpx_gt_u32_e32 13, v0
	s_cbranch_execz .LBB1722_78
; %bb.77:
	s_mul_i32 s5, s9, s34
	s_load_b128 s[16:19], s[0:1], 0x58
	v_add3_u32 v69, s5, s31, v65
	s_delay_alu instid0(VALU_DEP_1) | instskip(NEXT) | instid1(VALU_DEP_1)
	v_mad_u64_u32 v[65:66], null, v69, s36, s[14:15]
	v_ashrrev_i32_e32 v66, 31, v65
	s_delay_alu instid0(VALU_DEP_1) | instskip(SKIP_1) | instid1(VALU_DEP_1)
	v_lshlrev_b64 v[65:66], 2, v[65:66]
	s_waitcnt lgkmcnt(0)
	v_add_co_u32 v69, vcc_lo, s18, v65
	s_delay_alu instid0(VALU_DEP_2)
	v_add_co_ci_u32_e32 v70, vcc_lo, s19, v66, vcc_lo
	v_add_co_u32 v65, vcc_lo, s16, v65
	v_add_co_ci_u32_e32 v66, vcc_lo, s17, v66, vcc_lo
	global_store_b32 v[69:70], v67, off
	global_store_b32 v[65:66], v68, off
.LBB1722_78:
	s_or_b32 exec_lo, exec_lo, s4
	s_waitcnt lgkmcnt(0)
	s_waitcnt_vscnt null, 0x0
	s_barrier
	buffer_gl0_inv
	ds_load_b128 v[83:86], v80
	ds_load_b128 v[87:90], v80 offset:16
	ds_load_b128 v[95:98], v80 offset:2064
	ds_load_b128 v[91:94], v80 offset:2048
	v_mov_b32_e32 v65, 0
	ds_load_b128 v[103:106], v80 offset:4112
	ds_load_b128 v[99:102], v80 offset:4096
	;; [unrolled: 1-line block ×4, first 2 shown]
	v_mov_b32_e32 v66, v65
	v_mov_b32_e32 v67, v65
	;; [unrolled: 1-line block ×7, first 2 shown]
	s_waitcnt lgkmcnt(6)
	s_delay_alu instid0(VALU_DEP_1)
	v_wmma_f32_16x16x16_bf16 v[65:72], v[57:64], v[83:90], v[65:72]
	ds_load_b128 v[61:64], v80 offset:8208
	ds_load_b128 v[57:60], v80 offset:8192
	s_waitcnt lgkmcnt(6)
	v_wmma_f32_16x16x16_bf16 v[65:72], v[41:48], v[91:98], v[65:72]
	ds_load_b128 v[45:48], v80 offset:10256
	ds_load_b128 v[41:44], v80 offset:10240
	s_waitcnt lgkmcnt(6)
	;; [unrolled: 4-line block ×4, first 2 shown]
	v_wmma_f32_16x16x16_bf16 v[65:72], v[1:8], v[57:64], v[65:72]
	s_waitcnt lgkmcnt(4)
	s_delay_alu instid0(VALU_DEP_1) | instskip(SKIP_1) | instid1(VALU_DEP_1)
	v_wmma_f32_16x16x16_bf16 v[65:72], v[9:16], v[41:48], v[65:72]
	s_waitcnt lgkmcnt(2)
	v_wmma_f32_16x16x16_bf16 v[65:72], v[17:24], v[33:40], v[65:72]
	s_waitcnt lgkmcnt(0)
	s_delay_alu instid0(VALU_DEP_1) | instskip(NEXT) | instid1(VALU_DEP_1)
	v_wmma_f32_16x16x16_bf16 v[65:72], v[49:56], v[25:32], v[65:72]
	v_and_b32_e32 v1, 0x7f800000, v65
	s_delay_alu instid0(VALU_DEP_1) | instskip(SKIP_1) | instid1(SALU_CYCLE_1)
	v_cmp_ne_u32_e32 vcc_lo, 0x7f800000, v1
                                        ; implicit-def: $vgpr1
	s_and_saveexec_b32 s4, vcc_lo
	s_xor_b32 s4, exec_lo, s4
; %bb.79:
	v_bfe_u32 v1, v65, 16, 1
	s_delay_alu instid0(VALU_DEP_1)
	v_add3_u32 v1, v65, v1, 0x7fff
; %bb.80:
	s_and_not1_saveexec_b32 s4, s4
; %bb.81:
	v_and_b32_e32 v1, 0xffff, v65
	v_or_b32_e32 v2, 0x10000, v65
	s_delay_alu instid0(VALU_DEP_2) | instskip(NEXT) | instid1(VALU_DEP_2)
	v_cmp_eq_u32_e32 vcc_lo, 0, v1
	v_cndmask_b32_e32 v1, v2, v65, vcc_lo
; %bb.82:
	s_or_b32 exec_lo, exec_lo, s4
	v_and_b32_e32 v2, 0x7f800000, v66
	s_delay_alu instid0(VALU_DEP_1) | instskip(SKIP_1) | instid1(SALU_CYCLE_1)
	v_cmp_ne_u32_e32 vcc_lo, 0x7f800000, v2
                                        ; implicit-def: $vgpr2
	s_and_saveexec_b32 s4, vcc_lo
	s_xor_b32 s4, exec_lo, s4
; %bb.83:
	v_bfe_u32 v2, v66, 16, 1
	s_delay_alu instid0(VALU_DEP_1)
	v_add3_u32 v2, v66, v2, 0x7fff
; %bb.84:
	s_and_not1_saveexec_b32 s4, s4
; %bb.85:
	v_and_b32_e32 v2, 0xffff, v66
	v_or_b32_e32 v3, 0x10000, v66
	s_delay_alu instid0(VALU_DEP_2) | instskip(NEXT) | instid1(VALU_DEP_2)
	v_cmp_eq_u32_e32 vcc_lo, 0, v2
	v_cndmask_b32_e32 v2, v3, v66, vcc_lo
; %bb.86:
	s_or_b32 exec_lo, exec_lo, s4
	v_and_b32_e32 v3, 0x7f800000, v67
	s_delay_alu instid0(VALU_DEP_1) | instskip(SKIP_1) | instid1(SALU_CYCLE_1)
	v_cmp_ne_u32_e32 vcc_lo, 0x7f800000, v3
                                        ; implicit-def: $vgpr3
	s_and_saveexec_b32 s4, vcc_lo
	s_xor_b32 s4, exec_lo, s4
; %bb.87:
	v_bfe_u32 v3, v67, 16, 1
	s_delay_alu instid0(VALU_DEP_1)
	v_add3_u32 v3, v67, v3, 0x7fff
; %bb.88:
	s_and_not1_saveexec_b32 s4, s4
; %bb.89:
	v_and_b32_e32 v3, 0xffff, v67
	v_or_b32_e32 v4, 0x10000, v67
	s_delay_alu instid0(VALU_DEP_2) | instskip(NEXT) | instid1(VALU_DEP_2)
	v_cmp_eq_u32_e32 vcc_lo, 0, v3
	v_cndmask_b32_e32 v3, v4, v67, vcc_lo
; %bb.90:
	s_or_b32 exec_lo, exec_lo, s4
	v_and_b32_e32 v4, 0x7f800000, v68
	s_delay_alu instid0(VALU_DEP_1) | instskip(SKIP_1) | instid1(SALU_CYCLE_1)
	v_cmp_ne_u32_e32 vcc_lo, 0x7f800000, v4
                                        ; implicit-def: $vgpr4
	s_and_saveexec_b32 s4, vcc_lo
	s_xor_b32 s4, exec_lo, s4
; %bb.91:
	v_bfe_u32 v4, v68, 16, 1
	s_delay_alu instid0(VALU_DEP_1)
	v_add3_u32 v4, v68, v4, 0x7fff
; %bb.92:
	s_and_not1_saveexec_b32 s4, s4
; %bb.93:
	v_and_b32_e32 v4, 0xffff, v68
	v_or_b32_e32 v5, 0x10000, v68
	s_delay_alu instid0(VALU_DEP_2) | instskip(NEXT) | instid1(VALU_DEP_2)
	v_cmp_eq_u32_e32 vcc_lo, 0, v4
	v_cndmask_b32_e32 v4, v5, v68, vcc_lo
; %bb.94:
	s_or_b32 exec_lo, exec_lo, s4
	v_and_b32_e32 v5, 0x7f800000, v69
	s_delay_alu instid0(VALU_DEP_1) | instskip(SKIP_1) | instid1(SALU_CYCLE_1)
	v_cmp_ne_u32_e32 vcc_lo, 0x7f800000, v5
                                        ; implicit-def: $vgpr5
	s_and_saveexec_b32 s4, vcc_lo
	s_xor_b32 s4, exec_lo, s4
; %bb.95:
	v_bfe_u32 v5, v69, 16, 1
	s_delay_alu instid0(VALU_DEP_1)
	v_add3_u32 v5, v69, v5, 0x7fff
; %bb.96:
	s_and_not1_saveexec_b32 s4, s4
; %bb.97:
	v_and_b32_e32 v5, 0xffff, v69
	v_or_b32_e32 v6, 0x10000, v69
	s_delay_alu instid0(VALU_DEP_2) | instskip(NEXT) | instid1(VALU_DEP_2)
	v_cmp_eq_u32_e32 vcc_lo, 0, v5
	v_cndmask_b32_e32 v5, v6, v69, vcc_lo
; %bb.98:
	s_or_b32 exec_lo, exec_lo, s4
	v_and_b32_e32 v6, 0x7f800000, v70
	s_delay_alu instid0(VALU_DEP_1) | instskip(SKIP_1) | instid1(SALU_CYCLE_1)
	v_cmp_ne_u32_e32 vcc_lo, 0x7f800000, v6
                                        ; implicit-def: $vgpr6
	s_and_saveexec_b32 s4, vcc_lo
	s_xor_b32 s4, exec_lo, s4
; %bb.99:
	v_bfe_u32 v6, v70, 16, 1
	s_delay_alu instid0(VALU_DEP_1)
	v_add3_u32 v6, v70, v6, 0x7fff
; %bb.100:
	s_and_not1_saveexec_b32 s4, s4
; %bb.101:
	v_and_b32_e32 v6, 0xffff, v70
	v_or_b32_e32 v7, 0x10000, v70
	s_delay_alu instid0(VALU_DEP_2) | instskip(NEXT) | instid1(VALU_DEP_2)
	v_cmp_eq_u32_e32 vcc_lo, 0, v6
	v_cndmask_b32_e32 v6, v7, v70, vcc_lo
; %bb.102:
	s_or_b32 exec_lo, exec_lo, s4
	v_and_b32_e32 v7, 0x7f800000, v71
	s_delay_alu instid0(VALU_DEP_1) | instskip(SKIP_1) | instid1(SALU_CYCLE_1)
	v_cmp_ne_u32_e32 vcc_lo, 0x7f800000, v7
                                        ; implicit-def: $vgpr7
	s_and_saveexec_b32 s4, vcc_lo
	s_xor_b32 s4, exec_lo, s4
; %bb.103:
	v_bfe_u32 v7, v71, 16, 1
	s_delay_alu instid0(VALU_DEP_1)
	v_add3_u32 v7, v71, v7, 0x7fff
; %bb.104:
	s_and_not1_saveexec_b32 s4, s4
; %bb.105:
	v_and_b32_e32 v7, 0xffff, v71
	v_or_b32_e32 v8, 0x10000, v71
	s_delay_alu instid0(VALU_DEP_2) | instskip(NEXT) | instid1(VALU_DEP_2)
	v_cmp_eq_u32_e32 vcc_lo, 0, v7
	v_cndmask_b32_e32 v7, v8, v71, vcc_lo
; %bb.106:
	s_or_b32 exec_lo, exec_lo, s4
	v_and_b32_e32 v8, 0x7f800000, v72
	s_delay_alu instid0(VALU_DEP_1) | instskip(SKIP_1) | instid1(SALU_CYCLE_1)
	v_cmp_ne_u32_e32 vcc_lo, 0x7f800000, v8
                                        ; implicit-def: $vgpr8
	s_and_saveexec_b32 s4, vcc_lo
	s_xor_b32 s4, exec_lo, s4
; %bb.107:
	v_bfe_u32 v8, v72, 16, 1
	s_delay_alu instid0(VALU_DEP_1)
	v_add3_u32 v8, v72, v8, 0x7fff
                                        ; implicit-def: $vgpr65_vgpr66_vgpr67_vgpr68_vgpr69_vgpr70_vgpr71_vgpr72
; %bb.108:
	s_and_not1_saveexec_b32 s4, s4
; %bb.109:
	v_and_b32_e32 v8, 0xffff, v72
	v_or_b32_e32 v9, 0x10000, v72
	s_delay_alu instid0(VALU_DEP_2) | instskip(NEXT) | instid1(VALU_DEP_2)
	v_cmp_eq_u32_e32 vcc_lo, 0, v8
	v_cndmask_b32_e32 v8, v9, v72, vcc_lo
; %bb.110:
	s_or_b32 exec_lo, exec_lo, s4
	s_delay_alu instid0(VALU_DEP_1)
	v_perm_b32 v7, v8, v7, 0x7060302
	v_perm_b32 v6, v6, v5, 0x7060302
	;; [unrolled: 1-line block ×4, first 2 shown]
	s_barrier
	buffer_gl0_inv
	v_cmp_eq_u32_e32 vcc_lo, 1, v78
	ds_store_b128 v76, v[4:7]
	s_waitcnt lgkmcnt(0)
	s_barrier
	buffer_gl0_inv
	ds_load_b128 v[1:4], v82
	ds_load_b128 v[5:8], v82 offset:16
	v_cmp_eq_u32_e64 s4, 1, v79
	v_cmp_eq_u32_e64 s5, 2, v78
	;; [unrolled: 1-line block ×5, first 2 shown]
	s_waitcnt lgkmcnt(1)
	v_lshrrev_b32_e32 v9, 16, v1
	s_waitcnt lgkmcnt(0)
	v_lshrrev_b32_e32 v13, 16, v5
	v_lshrrev_b32_e32 v10, 16, v2
	;; [unrolled: 1-line block ×4, first 2 shown]
	v_cndmask_b32_e64 v19, v1, v9, s4
	v_cndmask_b32_e32 v18, v5, v13, vcc_lo
	v_cndmask_b32_e64 v20, v5, v13, s4
	v_cndmask_b32_e32 v17, v1, v9, vcc_lo
	v_cmp_eq_u32_e32 vcc_lo, 2, v79
	v_lshrrev_b32_e32 v15, 16, v7
	v_cmp_eq_u32_e64 s4, 1, v77
	v_lshrrev_b32_e32 v12, 16, v4
	v_lshrrev_b32_e32 v16, 16, v8
	v_cndmask_b32_e32 v20, v20, v6, vcc_lo
	v_cndmask_b32_e64 v17, v17, v2, s5
	v_cndmask_b32_e32 v19, v19, v2, vcc_lo
	v_cndmask_b32_e64 v18, v18, v6, s5
	v_cmp_eq_u32_e32 vcc_lo, 4, v78
	v_cmp_eq_u32_e64 s5, 3, v79
	v_cndmask_b32_e64 v17, v17, v10, s6
	v_cndmask_b32_e64 v21, v1, v9, s4
	;; [unrolled: 1-line block ×5, first 2 shown]
	v_cndmask_b32_e32 v17, v17, v3, vcc_lo
	v_cndmask_b32_e64 v20, v20, v14, s5
	v_cndmask_b32_e32 v18, v18, v7, vcc_lo
	v_cmp_eq_u32_e32 vcc_lo, 4, v79
	v_cmp_eq_u32_e64 s5, 5, v79
	v_cmp_eq_u32_e64 s4, 2, v81
	v_cndmask_b32_e64 v21, v21, v2, s8
	v_cmp_eq_u32_e64 s6, 5, v78
	v_cndmask_b32_e32 v19, v19, v3, vcc_lo
	v_cndmask_b32_e32 v20, v20, v7, vcc_lo
	v_cmp_eq_u32_e32 vcc_lo, 6, v79
	s_delay_alu instid0(VALU_DEP_4) | instskip(NEXT) | instid1(VALU_DEP_4)
	v_cndmask_b32_e64 v17, v17, v11, s6
	v_cndmask_b32_e64 v19, v19, v11, s5
	s_delay_alu instid0(VALU_DEP_4) | instskip(SKIP_1) | instid1(VALU_DEP_3)
	v_cndmask_b32_e64 v20, v20, v15, s5
	v_cmp_eq_u32_e64 s5, 1, v81
	v_cndmask_b32_e32 v19, v19, v4, vcc_lo
	v_cndmask_b32_e64 v18, v18, v15, s6
	s_delay_alu instid0(VALU_DEP_3)
	v_cndmask_b32_e64 v1, v1, v9, s5
	v_cndmask_b32_e64 v5, v5, v13, s5
	v_cmp_eq_u32_e64 s5, 3, v77
	v_cndmask_b32_e64 v13, v22, v6, s8
	v_cmp_eq_u32_e64 s8, 3, v81
	v_cndmask_b32_e64 v1, v1, v2, s4
	v_cndmask_b32_e64 v2, v5, v6, s4
	;; [unrolled: 1-line block ×3, first 2 shown]
	v_cmp_eq_u32_e64 s4, 4, v77
	v_cndmask_b32_e64 v6, v13, v14, s5
	v_cndmask_b32_e64 v1, v1, v10, s8
	v_cmp_eq_u32_e64 s5, 4, v81
	v_cndmask_b32_e64 v2, v2, v14, s8
	v_cndmask_b32_e64 v5, v9, v3, s4
	;; [unrolled: 3-line block ×3, first 2 shown]
	v_cndmask_b32_e64 v2, v2, v7, s5
	v_cmp_eq_u32_e64 s4, 5, v81
	v_cmp_eq_u32_e64 s6, 6, v78
	v_cndmask_b32_e64 v5, v5, v11, s8
	v_cmp_eq_u32_e64 s5, 6, v77
	v_cndmask_b32_e64 v3, v6, v15, s8
	v_cndmask_b32_e64 v1, v1, v11, s4
	v_cmp_eq_u32_e64 s8, 6, v81
	v_cndmask_b32_e64 v2, v2, v15, s4
	v_cndmask_b32_e64 v17, v17, v4, s6
	v_cndmask_b32_e64 v18, v18, v8, s6
	v_cmp_eq_u32_e64 s6, 7, v78
	v_cndmask_b32_e64 v5, v5, v4, s5
	;; [unrolled: 4-line block ×3, first 2 shown]
	v_cmp_eq_u32_e64 s5, 7, v77
	v_cndmask_b32_e32 v4, v20, v8, vcc_lo
	v_cndmask_b32_e64 v17, v17, v12, s6
	v_cndmask_b32_e64 v19, v19, v12, s7
	;; [unrolled: 1-line block ×8, first 2 shown]
	v_cmp_gt_u32_e32 vcc_lo, 32, v0
	v_perm_b32 v4, v2, v1, 0x5040100
	v_perm_b32 v3, v3, v5, 0x5040100
	v_perm_b32 v2, v6, v19, 0x5040100
	v_perm_b32 v1, v7, v17, 0x5040100
	s_and_b32 s2, vcc_lo, s2
	ds_store_b128 v76, v[1:4]
	s_waitcnt lgkmcnt(0)
	s_barrier
	buffer_gl0_inv
	s_and_saveexec_b32 s4, s2
	s_cbranch_execz .LBB1722_2
; %bb.111:
	s_load_b64 s[4:5], s[0:1], 0x68
	v_lshlrev_b32_e32 v0, 10, v0
	v_lshlrev_b32_e32 v1, 4, v75
	s_lshl_b32 s0, s36, 6
	v_add_nc_u32_e32 v18, s31, v74
	s_mul_i32 s1, s0, s34
	s_delay_alu instid0(VALU_DEP_2) | instskip(SKIP_1) | instid1(VALU_DEP_2)
	v_and_or_b32 v0, 0x3800, v0, v1
	s_mul_i32 s6, s1, s9
	v_mul_lo_u32 v1, v18, s0
	s_ashr_i32 s7, s6, 31
	v_add_nc_u32_e32 v2, 2, v18
	v_lshl_or_b32 v19, v74, 6, v0
	s_lshl_b64 s[6:7], s[6:7], 1
	v_add_nc_u32_e32 v8, 4, v18
	v_add_nc_u32_e32 v15, 6, v18
	v_mul_lo_u32 v7, v2, s0
	ds_load_b128 v[3:6], v19
	v_ashrrev_i32_e32 v2, 31, v1
	v_mul_lo_u32 v11, v8, s0
	s_waitcnt lgkmcnt(0)
	s_add_u32 s1, s4, s6
	s_addc_u32 s2, s5, s7
	s_lshl_b32 s4, s14, 6
	v_lshlrev_b64 v[9:10], 1, v[1:2]
	s_ashr_i32 s5, s4, 31
	v_ashrrev_i32_e32 v8, 31, v7
	s_lshl_b64 s[4:5], s[4:5], 1
	v_ashrrev_i32_e32 v12, 31, v11
	s_add_u32 s1, s1, s4
	s_addc_u32 s2, s2, s5
	v_add_co_u32 v1, s1, s1, v73
	s_delay_alu instid0(VALU_DEP_1) | instskip(SKIP_1) | instid1(VALU_DEP_3)
	v_add_co_ci_u32_e64 v2, null, s2, 0, s1
	v_mul_lo_u32 v15, v15, s0
	v_add_co_u32 v13, vcc_lo, v1, v9
	s_delay_alu instid0(VALU_DEP_3)
	v_add_co_ci_u32_e32 v14, vcc_lo, v2, v10, vcc_lo
	v_lshlrev_b64 v[16:17], 1, v[7:8]
	ds_load_b128 v[7:10], v19 offset:128
	global_store_b128 v[13:14], v[3:6], off
	v_add_nc_u32_e32 v5, 8, v18
	v_lshlrev_b64 v[3:4], 1, v[11:12]
	v_add_co_u32 v23, vcc_lo, v1, v16
	v_ashrrev_i32_e32 v16, 31, v15
	s_delay_alu instid0(VALU_DEP_4) | instskip(SKIP_3) | instid1(VALU_DEP_3)
	v_mul_lo_u32 v25, v5, s0
	v_add_nc_u32_e32 v5, 10, v18
	v_add_co_ci_u32_e32 v24, vcc_lo, v2, v17, vcc_lo
	v_add_co_u32 v27, vcc_lo, v1, v3
	v_mul_lo_u32 v29, v5, s0
	v_add_co_ci_u32_e32 v28, vcc_lo, v2, v4, vcc_lo
	v_lshlrev_b64 v[31:32], 1, v[15:16]
	ds_load_b128 v[3:6], v19 offset:256
	ds_load_b128 v[11:14], v19 offset:384
	;; [unrolled: 1-line block ×4, first 2 shown]
	v_ashrrev_i32_e32 v26, 31, v25
	v_ashrrev_i32_e32 v30, 31, v29
	v_add_co_u32 v31, vcc_lo, v1, v31
	s_delay_alu instid0(VALU_DEP_3) | instskip(SKIP_1) | instid1(VALU_DEP_4)
	v_lshlrev_b64 v[25:26], 1, v[25:26]
	v_add_co_ci_u32_e32 v32, vcc_lo, v2, v32, vcc_lo
	v_lshlrev_b64 v[29:30], 1, v[29:30]
	s_delay_alu instid0(VALU_DEP_3) | instskip(NEXT) | instid1(VALU_DEP_4)
	v_add_co_u32 v25, vcc_lo, v1, v25
	v_add_co_ci_u32_e32 v26, vcc_lo, v2, v26, vcc_lo
	s_delay_alu instid0(VALU_DEP_3) | instskip(NEXT) | instid1(VALU_DEP_4)
	v_add_co_u32 v29, vcc_lo, v1, v29
	v_add_co_ci_u32_e32 v30, vcc_lo, v2, v30, vcc_lo
	s_waitcnt lgkmcnt(4)
	global_store_b128 v[23:24], v[7:10], off
	s_waitcnt lgkmcnt(3)
	global_store_b128 v[27:28], v[3:6], off
	s_waitcnt lgkmcnt(2)
	global_store_b128 v[31:32], v[11:14], off
	s_waitcnt lgkmcnt(1)
	global_store_b128 v[25:26], v[15:18], off
	s_waitcnt lgkmcnt(0)
	global_store_b128 v[29:30], v[19:22], off
	s_and_b32 exec_lo, exec_lo, s3
	s_cbranch_execz .LBB1722_2
; %bb.112:
	ds_load_b128 v[3:6], v0 offset:768
	s_add_i32 s1, s31, 12
	s_delay_alu instid0(SALU_CYCLE_1) | instskip(NEXT) | instid1(SALU_CYCLE_1)
	s_mul_i32 s0, s1, s0
	s_ashr_i32 s1, s0, 31
	s_delay_alu instid0(SALU_CYCLE_1) | instskip(NEXT) | instid1(SALU_CYCLE_1)
	s_lshl_b64 s[0:1], s[0:1], 1
	v_add_co_u32 v0, vcc_lo, v1, s0
	v_add_co_ci_u32_e32 v1, vcc_lo, s1, v2, vcc_lo
	s_waitcnt lgkmcnt(0)
	global_store_b128 v[0:1], v[3:6], off
	s_nop 0
	s_sendmsg sendmsg(MSG_DEALLOC_VGPRS)
	s_endpgm
	.section	.rodata,"a",@progbits
	.p2align	6, 0x0
	.amdhsa_kernel _Z39paged_attention_ll4mi_QKV_mfma16_kernelI14__hip_bfloat16hLN4vllm18Fp8KVCacheDataTypeE1ES0_Li16ELi64ELi256ELb0ELi13EL8MFMAType0EEvPKT_PKT0_S9_ifPKiSB_SB_iPKfiiiPfSE_PS4_PT2_iSD_SD_
		.amdhsa_group_segment_fixed_size 17472
		.amdhsa_private_segment_fixed_size 0
		.amdhsa_kernarg_size 400
		.amdhsa_user_sgpr_count 13
		.amdhsa_user_sgpr_dispatch_ptr 0
		.amdhsa_user_sgpr_queue_ptr 0
		.amdhsa_user_sgpr_kernarg_segment_ptr 1
		.amdhsa_user_sgpr_dispatch_id 0
		.amdhsa_user_sgpr_private_segment_size 0
		.amdhsa_wavefront_size32 1
		.amdhsa_uses_dynamic_stack 0
		.amdhsa_enable_private_segment 0
		.amdhsa_system_sgpr_workgroup_id_x 1
		.amdhsa_system_sgpr_workgroup_id_y 1
		.amdhsa_system_sgpr_workgroup_id_z 1
		.amdhsa_system_sgpr_workgroup_info 0
		.amdhsa_system_vgpr_workitem_id 0
		.amdhsa_next_free_vgpr 124
		.amdhsa_next_free_sgpr 40
		.amdhsa_reserve_vcc 1
		.amdhsa_float_round_mode_32 0
		.amdhsa_float_round_mode_16_64 0
		.amdhsa_float_denorm_mode_32 3
		.amdhsa_float_denorm_mode_16_64 3
		.amdhsa_dx10_clamp 1
		.amdhsa_ieee_mode 1
		.amdhsa_fp16_overflow 0
		.amdhsa_workgroup_processor_mode 1
		.amdhsa_memory_ordered 1
		.amdhsa_forward_progress 0
		.amdhsa_shared_vgpr_count 0
		.amdhsa_exception_fp_ieee_invalid_op 0
		.amdhsa_exception_fp_denorm_src 0
		.amdhsa_exception_fp_ieee_div_zero 0
		.amdhsa_exception_fp_ieee_overflow 0
		.amdhsa_exception_fp_ieee_underflow 0
		.amdhsa_exception_fp_ieee_inexact 0
		.amdhsa_exception_int_div_zero 0
	.end_amdhsa_kernel
	.section	.text._Z39paged_attention_ll4mi_QKV_mfma16_kernelI14__hip_bfloat16hLN4vllm18Fp8KVCacheDataTypeE1ES0_Li16ELi64ELi256ELb0ELi13EL8MFMAType0EEvPKT_PKT0_S9_ifPKiSB_SB_iPKfiiiPfSE_PS4_PT2_iSD_SD_,"axG",@progbits,_Z39paged_attention_ll4mi_QKV_mfma16_kernelI14__hip_bfloat16hLN4vllm18Fp8KVCacheDataTypeE1ES0_Li16ELi64ELi256ELb0ELi13EL8MFMAType0EEvPKT_PKT0_S9_ifPKiSB_SB_iPKfiiiPfSE_PS4_PT2_iSD_SD_,comdat
.Lfunc_end1722:
	.size	_Z39paged_attention_ll4mi_QKV_mfma16_kernelI14__hip_bfloat16hLN4vllm18Fp8KVCacheDataTypeE1ES0_Li16ELi64ELi256ELb0ELi13EL8MFMAType0EEvPKT_PKT0_S9_ifPKiSB_SB_iPKfiiiPfSE_PS4_PT2_iSD_SD_, .Lfunc_end1722-_Z39paged_attention_ll4mi_QKV_mfma16_kernelI14__hip_bfloat16hLN4vllm18Fp8KVCacheDataTypeE1ES0_Li16ELi64ELi256ELb0ELi13EL8MFMAType0EEvPKT_PKT0_S9_ifPKiSB_SB_iPKfiiiPfSE_PS4_PT2_iSD_SD_
                                        ; -- End function
	.section	.AMDGPU.csdata,"",@progbits
; Kernel info:
; codeLenInByte = 8908
; NumSgprs: 42
; NumVgprs: 124
; ScratchSize: 0
; MemoryBound: 0
; FloatMode: 240
; IeeeMode: 1
; LDSByteSize: 17472 bytes/workgroup (compile time only)
; SGPRBlocks: 5
; VGPRBlocks: 15
; NumSGPRsForWavesPerEU: 42
; NumVGPRsForWavesPerEU: 124
; Occupancy: 10
; WaveLimiterHint : 1
; COMPUTE_PGM_RSRC2:SCRATCH_EN: 0
; COMPUTE_PGM_RSRC2:USER_SGPR: 13
; COMPUTE_PGM_RSRC2:TRAP_HANDLER: 0
; COMPUTE_PGM_RSRC2:TGID_X_EN: 1
; COMPUTE_PGM_RSRC2:TGID_Y_EN: 1
; COMPUTE_PGM_RSRC2:TGID_Z_EN: 1
; COMPUTE_PGM_RSRC2:TIDIG_COMP_CNT: 0
	.section	.text._Z39paged_attention_ll4mi_QKV_mfma16_kernelI14__hip_bfloat16hLN4vllm18Fp8KVCacheDataTypeE1ES0_Li16ELi64ELi256ELb0ELi14EL8MFMAType0EEvPKT_PKT0_S9_ifPKiSB_SB_iPKfiiiPfSE_PS4_PT2_iSD_SD_,"axG",@progbits,_Z39paged_attention_ll4mi_QKV_mfma16_kernelI14__hip_bfloat16hLN4vllm18Fp8KVCacheDataTypeE1ES0_Li16ELi64ELi256ELb0ELi14EL8MFMAType0EEvPKT_PKT0_S9_ifPKiSB_SB_iPKfiiiPfSE_PS4_PT2_iSD_SD_,comdat
	.protected	_Z39paged_attention_ll4mi_QKV_mfma16_kernelI14__hip_bfloat16hLN4vllm18Fp8KVCacheDataTypeE1ES0_Li16ELi64ELi256ELb0ELi14EL8MFMAType0EEvPKT_PKT0_S9_ifPKiSB_SB_iPKfiiiPfSE_PS4_PT2_iSD_SD_ ; -- Begin function _Z39paged_attention_ll4mi_QKV_mfma16_kernelI14__hip_bfloat16hLN4vllm18Fp8KVCacheDataTypeE1ES0_Li16ELi64ELi256ELb0ELi14EL8MFMAType0EEvPKT_PKT0_S9_ifPKiSB_SB_iPKfiiiPfSE_PS4_PT2_iSD_SD_
	.globl	_Z39paged_attention_ll4mi_QKV_mfma16_kernelI14__hip_bfloat16hLN4vllm18Fp8KVCacheDataTypeE1ES0_Li16ELi64ELi256ELb0ELi14EL8MFMAType0EEvPKT_PKT0_S9_ifPKiSB_SB_iPKfiiiPfSE_PS4_PT2_iSD_SD_
	.p2align	8
	.type	_Z39paged_attention_ll4mi_QKV_mfma16_kernelI14__hip_bfloat16hLN4vllm18Fp8KVCacheDataTypeE1ES0_Li16ELi64ELi256ELb0ELi14EL8MFMAType0EEvPKT_PKT0_S9_ifPKiSB_SB_iPKfiiiPfSE_PS4_PT2_iSD_SD_,@function
_Z39paged_attention_ll4mi_QKV_mfma16_kernelI14__hip_bfloat16hLN4vllm18Fp8KVCacheDataTypeE1ES0_Li16ELi64ELi256ELb0ELi14EL8MFMAType0EEvPKT_PKT0_S9_ifPKiSB_SB_iPKfiiiPfSE_PS4_PT2_iSD_SD_: ; @_Z39paged_attention_ll4mi_QKV_mfma16_kernelI14__hip_bfloat16hLN4vllm18Fp8KVCacheDataTypeE1ES0_Li16ELi64ELi256ELb0ELi14EL8MFMAType0EEvPKT_PKT0_S9_ifPKiSB_SB_iPKfiiiPfSE_PS4_PT2_iSD_SD_
; %bb.0:
	s_load_b64 s[2:3], s[0:1], 0x30
	s_mov_b32 s30, s13
	s_waitcnt lgkmcnt(0)
	s_cmp_lg_u64 s[2:3], 0
	s_cselect_b32 s8, -1, 0
	s_ashr_i32 s31, s13, 31
	s_cmp_eq_u64 s[2:3], 0
	s_cbranch_scc1 .LBB1723_3
; %bb.1:
	s_lshl_b64 s[4:5], s[30:31], 2
	s_delay_alu instid0(SALU_CYCLE_1) | instskip(SKIP_4) | instid1(SALU_CYCLE_1)
	s_add_u32 s4, s2, s4
	s_addc_u32 s5, s3, s5
	s_load_b64 s[4:5], s[4:5], 0x0
	s_waitcnt lgkmcnt(0)
	s_sub_i32 s4, s5, s4
	s_cmp_eq_u32 s4, 1
	s_cselect_b32 s4, -1, 0
	s_delay_alu instid0(SALU_CYCLE_1)
	s_and_not1_b32 vcc_lo, exec_lo, s4
	s_cbranch_vccz .LBB1723_4
.LBB1723_2:
	s_endpgm
.LBB1723_3:
.LBB1723_4:
	s_load_b64 s[4:5], s[0:1], 0x28
	s_lshl_b64 s[6:7], s[30:31], 2
	s_waitcnt lgkmcnt(0)
	s_add_u32 s4, s4, s6
	s_addc_u32 s5, s5, s7
	s_lshl_b32 s12, s14, 8
	s_load_b32 s24, s[4:5], 0x0
	s_waitcnt lgkmcnt(0)
	s_cmp_ge_i32 s12, s24
	s_cbranch_scc1 .LBB1723_2
; %bb.5:
	s_clause 0x1
	s_load_b128 s[20:23], s[0:1], 0x8
	s_load_b64 s[4:5], s[0:1], 0x20
	s_and_not1_b32 vcc_lo, exec_lo, s8
	s_cbranch_vccnz .LBB1723_7
; %bb.6:
	s_add_u32 s2, s2, s6
	s_addc_u32 s3, s3, s7
	s_load_b32 s3, s[2:3], 0x0
	s_branch .LBB1723_8
.LBB1723_7:
	s_mov_b32 s3, s30
.LBB1723_8:
	s_load_b128 s[16:19], s[0:1], 0x48
	v_and_b32_e32 v65, 15, v0
	v_cmp_gt_u32_e32 vcc_lo, 0xe0, v0
	v_lshrrev_b32_e32 v66, 5, v0
	v_and_b32_e32 v67, 31, v0
	v_and_b32_e32 v75, 1, v0
	v_lshlrev_b32_e32 v1, 3, v65
	v_cmp_gt_u32_e64 s2, 8, v65
	v_bfe_u32 v74, v0, 4, 1
	s_mul_i32 s31, s15, 14
	s_delay_alu instid0(VALU_DEP_3) | instskip(NEXT) | instid1(VALU_DEP_3)
	v_lshlrev_b32_e32 v73, 1, v1
	s_and_b32 s7, vcc_lo, s2
	s_delay_alu instid0(SALU_CYCLE_1)
	s_and_saveexec_b32 s6, s7
	s_cbranch_execz .LBB1723_10
; %bb.9:
	s_load_b64 s[8:9], s[0:1], 0x0
	v_lshl_or_b32 v5, v66, 1, v74
	s_waitcnt lgkmcnt(0)
	s_mul_hi_i32 s11, s3, s16
	s_mul_i32 s10, s3, s16
	v_lshlrev_b32_e32 v6, 10, v65
	s_lshl_b64 s[10:11], s[10:11], 1
	v_add_lshl_u32 v1, v5, s31, 6
	v_lshlrev_b32_e32 v5, 6, v5
	v_lshlrev_b32_e32 v7, 10, v75
	v_and_b32_e32 v6, 0x3800, v6
	s_delay_alu instid0(VALU_DEP_4) | instskip(NEXT) | instid1(VALU_DEP_2)
	v_ashrrev_i32_e32 v2, 31, v1
	v_or3_b32 v5, v6, v7, v5
	s_delay_alu instid0(VALU_DEP_2) | instskip(SKIP_2) | instid1(VALU_DEP_1)
	v_lshlrev_b64 v[1:2], 1, v[1:2]
	s_add_u32 s3, s8, s10
	s_addc_u32 s7, s9, s11
	v_add_co_u32 v1, vcc_lo, s3, v1
	s_delay_alu instid0(VALU_DEP_2) | instskip(NEXT) | instid1(VALU_DEP_2)
	v_add_co_ci_u32_e32 v2, vcc_lo, s7, v2, vcc_lo
	v_add_co_u32 v1, vcc_lo, v1, v73
	s_delay_alu instid0(VALU_DEP_2)
	v_add_co_ci_u32_e32 v2, vcc_lo, 0, v2, vcc_lo
	global_load_b128 v[1:4], v[1:2], off
	s_waitcnt vmcnt(0)
	ds_store_b128 v5, v[1:4]
.LBB1723_10:
	s_or_b32 exec_lo, exec_lo, s6
	v_and_b32_e32 v1, 0xef, v0
	s_waitcnt lgkmcnt(0)
	s_add_i32 s3, s24, 15
	s_clause 0x1
	s_load_b32 s6, s[0:1], 0x38
	s_load_b32 s19, s[0:1], 0x1c
	s_ashr_i32 s7, s3, 31
	v_add_nc_u32_e32 v1, s12, v1
	s_lshr_b32 s7, s7, 28
	s_waitcnt lgkmcnt(0)
	s_add_i32 s3, s3, s7
	s_barrier
	v_ashrrev_i32_e32 v2, 31, v1
	v_or_b32_e32 v3, 16, v1
	s_ashr_i32 s3, s3, 4
	v_cmp_gt_i32_e32 vcc_lo, s24, v1
	s_add_i32 s3, s3, -1
	v_lshrrev_b32_e32 v2, 28, v2
	buffer_gl0_inv
	s_mul_i32 s27, s15, s18
	v_add_nc_u32_e32 v4, v1, v2
	s_mul_i32 s6, s30, s6
	s_delay_alu instid0(SALU_CYCLE_1) | instskip(NEXT) | instid1(VALU_DEP_1)
	s_ashr_i32 s7, s6, 31
	v_ashrrev_i32_e32 v4, 4, v4
	v_add_nc_u32_e32 v2, v3, v2
	s_lshl_b64 s[6:7], s[6:7], 2
	s_delay_alu instid0(SALU_CYCLE_1) | instskip(NEXT) | instid1(VALU_DEP_2)
	s_add_u32 s26, s4, s6
	v_cndmask_b32_e32 v1, s3, v4, vcc_lo
	s_delay_alu instid0(VALU_DEP_2)
	v_ashrrev_i32_e32 v2, 4, v2
	v_cmp_gt_i32_e32 vcc_lo, s24, v3
	s_addc_u32 s25, s5, s7
	s_ashr_i32 s28, s27, 31
	s_add_u32 s13, s20, s27
	s_addc_u32 s15, s21, s28
	v_cndmask_b32_e32 v3, s3, v2, vcc_lo
	v_ashrrev_i32_e32 v2, 31, v1
	s_lshl_b32 s4, s14, 4
	s_delay_alu instid0(SALU_CYCLE_1) | instskip(NEXT) | instid1(VALU_DEP_2)
	s_ashr_i32 s5, s4, 31
	v_ashrrev_i32_e32 v4, 31, v3
	s_delay_alu instid0(VALU_DEP_2) | instskip(SKIP_1) | instid1(SALU_CYCLE_1)
	v_lshlrev_b64 v[1:2], 2, v[1:2]
	s_lshl_b64 s[4:5], s[4:5], 2
	s_add_u32 s4, s26, s4
	s_delay_alu instid0(VALU_DEP_2) | instskip(SKIP_1) | instid1(VALU_DEP_2)
	v_lshlrev_b64 v[3:4], 2, v[3:4]
	s_addc_u32 s5, s25, s5
	v_add_co_u32 v1, vcc_lo, s26, v1
	v_add_co_ci_u32_e32 v2, vcc_lo, s25, v2, vcc_lo
	s_delay_alu instid0(VALU_DEP_3) | instskip(NEXT) | instid1(VALU_DEP_4)
	v_add_co_u32 v3, vcc_lo, s26, v3
	v_add_co_ci_u32_e32 v4, vcc_lo, s25, v4, vcc_lo
	s_clause 0x1
	global_load_b32 v5, v[1:2], off
	global_load_b32 v7, v[3:4], off
	s_or_b32 s6, s12, 32
	v_lshlrev_b32_e32 v1, 4, v0
	s_ashr_i32 s7, s6, 4
	s_cmp_lt_i32 s6, s24
	v_cmp_gt_u32_e32 vcc_lo, 14, v65
	s_cselect_b32 s6, s7, s3
	v_and_b32_e32 v1, 0xf0, v1
	s_ashr_i32 s7, s6, 31
	s_delay_alu instid0(SALU_CYCLE_1) | instskip(NEXT) | instid1(SALU_CYCLE_1)
	s_lshl_b64 s[6:7], s[6:7], 2
	s_add_u32 s6, s26, s6
	s_addc_u32 s7, s25, s7
	s_or_b32 s8, s12, 64
	v_add_co_u32 v1, s13, s13, v1
	s_ashr_i32 s9, s8, 4
	s_cmp_lt_i32 s8, s24
	v_add_co_ci_u32_e64 v2, null, s15, 0, s13
	s_cselect_b32 s8, s9, s3
	s_delay_alu instid0(SALU_CYCLE_1) | instskip(NEXT) | instid1(SALU_CYCLE_1)
	s_ashr_i32 s9, s8, 31
	s_lshl_b64 s[8:9], s[8:9], 2
	s_delay_alu instid0(SALU_CYCLE_1) | instskip(SKIP_2) | instid1(SALU_CYCLE_1)
	s_add_u32 s8, s26, s8
	s_addc_u32 s9, s25, s9
	s_or_b32 s10, s12, 0x60
	s_ashr_i32 s11, s10, 4
	s_cmp_lt_i32 s10, s24
	s_cselect_b32 s10, s11, s3
	s_delay_alu instid0(SALU_CYCLE_1) | instskip(NEXT) | instid1(SALU_CYCLE_1)
	s_ashr_i32 s11, s10, 31
	s_lshl_b64 s[10:11], s[10:11], 2
	s_delay_alu instid0(SALU_CYCLE_1) | instskip(SKIP_2) | instid1(SALU_CYCLE_1)
	s_add_u32 s10, s26, s10
	s_addc_u32 s11, s25, s11
	s_or_b32 s16, s12, 0x80
	s_ashr_i32 s18, s16, 4
	s_cmp_lt_i32 s16, s24
	;; [unrolled: 10-line block ×3, first 2 shown]
	s_cselect_b32 s20, s18, s3
	s_delay_alu instid0(SALU_CYCLE_1) | instskip(NEXT) | instid1(SALU_CYCLE_1)
	s_ashr_i32 s21, s20, 31
	s_lshl_b64 s[20:21], s[20:21], 2
	s_delay_alu instid0(SALU_CYCLE_1)
	s_add_u32 s36, s26, s20
	s_addc_u32 s37, s25, s21
	s_clause 0x5
	s_load_b32 s21, s[4:5], 0x0
	s_load_b32 s13, s[6:7], 0x0
	;; [unrolled: 1-line block ×6, first 2 shown]
	s_or_b32 s8, s12, 0xc0
	s_mov_b32 s4, 0
	s_ashr_i32 s9, s8, 4
	s_cmp_lt_i32 s8, s24
	s_mov_b32 s11, s4
	s_cselect_b32 s34, s9, s3
	s_mov_b32 s5, s4
	s_ashr_i32 s35, s34, 31
	s_mov_b32 s6, s4
	s_lshl_b64 s[34:35], s[34:35], 2
	s_mov_b32 s7, s4
	s_add_u32 s34, s26, s34
	s_addc_u32 s35, s25, s35
	s_or_b32 s29, s12, 0xe0
	s_mov_b32 s8, s4
	s_ashr_i32 s33, s29, 4
	s_mov_b32 s9, s4
	s_mov_b32 s10, s4
	s_cmp_lt_i32 s29, s24
	v_dual_mov_b32 v107, s11 :: v_dual_mov_b32 v100, s4
	v_mov_b32_e32 v106, s10
	v_dual_mov_b32 v104, s8 :: v_dual_mov_b32 v103, s7
	v_dual_mov_b32 v102, s6 :: v_dual_mov_b32 v101, s5
	s_waitcnt vmcnt(1)
	v_mad_i64_i32 v[3:4], null, v5, s17, v[1:2]
	s_waitcnt vmcnt(0)
	v_mad_i64_i32 v[5:6], null, v7, s17, v[1:2]
	v_add_nc_u32_e32 v1, -14, v65
	v_lshlrev_b32_e32 v2, 4, v65
	s_clause 0x7
	global_load_b128 v[49:52], v[3:4], off
	global_load_b128 v[53:56], v[3:4], off offset:256
	global_load_b128 v[76:79], v[5:6], off
	global_load_b128 v[80:83], v[5:6], off offset:256
	global_load_b128 v[84:87], v[3:4], off offset:512
	;; [unrolled: 1-line block ×5, first 2 shown]
	v_cndmask_b32_e32 v1, v1, v65, vcc_lo
	v_mov_b32_e32 v105, s9
	s_cselect_b32 s4, s33, s3
	v_lshl_or_b32 v2, v66, 8, v2
	s_ashr_i32 s5, s4, 31
	v_lshlrev_b32_e32 v70, 6, v1
	s_lshl_b64 s[4:5], s[4:5], 2
	s_load_b32 s3, s[34:35], 0x0
	s_add_u32 s4, s26, s4
	s_addc_u32 s5, s25, s5
	ds_load_b128 v[108:111], v70
	ds_load_b128 v[112:115], v70 offset:1024
	s_load_b32 s4, s[4:5], 0x0
	s_add_u32 s6, s22, s27
	s_addc_u32 s7, s23, s28
	v_add_co_u32 v9, s6, s6, v2
	s_delay_alu instid0(VALU_DEP_1) | instskip(SKIP_1) | instid1(VALU_DEP_1)
	v_add_co_ci_u32_e64 v10, null, s7, 0, s6
	s_waitcnt lgkmcnt(0)
	v_mad_i64_i32 v[1:2], null, s21, s17, v[9:10]
	v_mad_i64_i32 v[3:4], null, s13, s17, v[9:10]
	;; [unrolled: 1-line block ×7, first 2 shown]
	s_clause 0x9
	global_load_b128 v[57:60], v[1:2], off
	global_load_b128 v[61:64], v[1:2], off offset:16
	global_load_b128 v[41:44], v[3:4], off
	global_load_b128 v[45:48], v[3:4], off offset:16
	;; [unrolled: 2-line block ×5, first 2 shown]
	v_mad_i64_i32 v[68:69], null, s4, s17, v[9:10]
	s_clause 0x3
	global_load_b128 v[9:12], v[13:14], off
	global_load_b128 v[13:16], v[13:14], off offset:16
	global_load_b128 v[17:20], v[21:22], off
	global_load_b128 v[21:24], v[21:22], off offset:16
	s_waitcnt vmcnt(20)
	v_wmma_f32_16x16x16_bf16 v[116:123], v[49:56], v[108:115], v[100:107]
	s_clause 0x1
	global_load_b128 v[49:52], v[68:69], off
	global_load_b128 v[53:56], v[68:69], off offset:16
	v_and_b32_e32 v68, 0xe0, v0
	v_mbcnt_lo_u32_b32 v69, -1, 0
	s_delay_alu instid0(VALU_DEP_2)
	v_add_nc_u32_e32 v68, s12, v68
	s_waitcnt vmcnt(20)
	v_wmma_f32_16x16x16_bf16 v[100:107], v[76:83], v[108:115], v[100:107]
	ds_load_b128 v[76:79], v70 offset:2048
	ds_load_b128 v[80:83], v70 offset:3072
	v_xor_b32_e32 v70, 16, v69
	s_waitcnt vmcnt(0) lgkmcnt(0)
	v_or_b32_e32 v68, v68, v74
	s_barrier
	buffer_gl0_inv
	v_cmp_gt_i32_e32 vcc_lo, 32, v70
	v_or_b32_e32 v71, 4, v68
	v_or_b32_e32 v72, 6, v68
	v_cmp_gt_i32_e64 s3, s24, v68
	v_or_b32_e32 v108, 8, v68
	v_or_b32_e32 v109, 10, v68
	v_cmp_gt_i32_e64 s4, s24, v71
	v_cmp_gt_i32_e64 s5, s24, v72
	s_delay_alu instid0(VALU_DEP_4) | instskip(NEXT) | instid1(VALU_DEP_4)
	v_cmp_gt_i32_e64 s6, s24, v108
	v_cmp_gt_i32_e64 s7, s24, v109
	v_wmma_f32_16x16x16_bf16 v[116:123], v[84:91], v[76:83], v[116:123]
	v_cndmask_b32_e32 v69, v69, v70, vcc_lo
	v_or_b32_e32 v70, 2, v68
	v_wmma_f32_16x16x16_bf16 v[100:107], v[92:99], v[76:83], v[100:107]
	v_or_b32_e32 v89, 22, v68
	v_dual_mul_f32 v82, s19, v119 :: v_dual_mul_f32 v79, s19, v122
	v_dual_mul_f32 v92, s19, v117 :: v_dual_mul_f32 v93, s19, v116
	s_delay_alu instid0(VALU_DEP_4) | instskip(SKIP_2) | instid1(VALU_DEP_4)
	v_mul_f32_e32 v98, s19, v103
	v_cmp_gt_i32_e32 vcc_lo, s24, v70
	v_dual_mul_f32 v83, s19, v118 :: v_dual_mul_f32 v96, s19, v105
	v_cndmask_b32_e64 v93, 0xff7fffff, v93, s3
	v_or_b32_e32 v84, 12, v68
	v_cndmask_b32_e32 v92, 0xff7fffff, v92, vcc_lo
	v_or_b32_e32 v85, 14, v68
	v_dual_mul_f32 v80, s19, v121 :: v_dual_mul_f32 v81, s19, v120
	v_mul_f32_e32 v94, s19, v107
	v_cndmask_b32_e64 v71, 0xff7fffff, v83, s4
	v_cndmask_b32_e64 v72, 0xff7fffff, v82, s5
	v_cmp_gt_i32_e64 s13, s24, v89
	v_lshlrev_b32_e32 v89, 2, v69
	v_max3_f32 v82, v93, 0xff7fffff, v92
	v_or_b32_e32 v86, 16, v68
	v_or_b32_e32 v87, 18, v68
	v_mul_f32_e32 v78, s19, v123
	v_cndmask_b32_e64 v81, 0xff7fffff, v81, s6
	v_cndmask_b32_e64 v80, 0xff7fffff, v80, s7
	v_max3_f32 v71, v82, v71, v72
	v_cmp_gt_i32_e64 s8, s24, v84
	v_cmp_gt_i32_e64 s9, s24, v85
	v_or_b32_e32 v88, 20, v68
	v_or_b32_e32 v90, 24, v68
	;; [unrolled: 1-line block ×5, first 2 shown]
	v_dual_mul_f32 v95, s19, v106 :: v_dual_mul_f32 v70, s19, v101
	v_dual_mul_f32 v99, s19, v102 :: v_dual_mul_f32 v68, s19, v100
	v_cndmask_b32_e64 v72, 0xff7fffff, v79, s8
	v_cndmask_b32_e64 v78, 0xff7fffff, v78, s9
	v_max3_f32 v71, v71, v81, v80
	v_cmp_gt_i32_e64 s10, s24, v86
	v_cmp_gt_i32_e64 s11, s24, v87
	;; [unrolled: 1-line block ×3, first 2 shown]
	v_mul_f32_e32 v97, s19, v104
	v_max3_f32 v71, v71, v72, v78
	v_cndmask_b32_e64 v68, 0xff7fffff, v68, s10
	v_cndmask_b32_e64 v70, 0xff7fffff, v70, s11
	;; [unrolled: 1-line block ×4, first 2 shown]
	v_cmp_gt_i32_e64 s15, s24, v90
	v_cmp_gt_i32_e64 s16, s24, v91
	v_max3_f32 v68, v71, v68, v70
	v_cmp_gt_i32_e64 s17, s24, v76
	v_cmp_gt_i32_e64 s18, s24, v77
	v_cndmask_b32_e64 v70, 0xff7fffff, v97, s15
	v_cndmask_b32_e64 v71, 0xff7fffff, v96, s16
	v_max3_f32 v68, v68, v72, v78
	v_cndmask_b32_e64 v72, 0xff7fffff, v95, s17
	v_cndmask_b32_e64 v76, 0xff7fffff, v94, s18
	s_delay_alu instid0(VALU_DEP_3) | instskip(NEXT) | instid1(VALU_DEP_1)
	v_max3_f32 v68, v68, v70, v71
	v_max3_f32 v68, v68, v72, v76
	ds_bpermute_b32 v69, v89, v68
	s_waitcnt lgkmcnt(0)
	v_max_f32_e32 v69, v69, v69
	s_delay_alu instid0(VALU_DEP_1) | instskip(NEXT) | instid1(VALU_DEP_1)
	v_max_f32_e32 v68, v68, v69
	v_fma_f32 v69, s19, v116, -v68
	v_fma_f32 v70, s19, v117, -v68
	;; [unrolled: 1-line block ×5, first 2 shown]
	s_delay_alu instid0(VALU_DEP_4) | instskip(NEXT) | instid1(VALU_DEP_4)
	v_dual_mul_f32 v69, 0x3fb8aa3b, v69 :: v_dual_mul_f32 v70, 0x3fb8aa3b, v70
	v_mul_f32_e32 v72, 0x3fb8aa3b, v72
	v_fma_f32 v78, s19, v122, -v68
	s_delay_alu instid0(VALU_DEP_4) | instskip(NEXT) | instid1(VALU_DEP_4)
	v_mul_f32_e32 v77, 0x3fb8aa3b, v76
	v_exp_f32_e32 v69, v69
	v_exp_f32_e32 v70, v70
	v_mul_f32_e32 v71, 0x3fb8aa3b, v71
	v_exp_f32_e32 v72, v72
	v_mul_f32_e32 v78, 0x3fb8aa3b, v78
	v_exp_f32_e32 v77, v77
	v_fma_f32 v81, s19, v105, -v68
	s_delay_alu instid0(VALU_DEP_2)
	v_exp_f32_e32 v78, v78
	v_cndmask_b32_e64 v80, 0, v69, s3
	v_cndmask_b32_e32 v76, 0, v70, vcc_lo
	v_exp_f32_e32 v71, v71
	v_fma_f32 v69, s19, v121, -v68
	v_cndmask_b32_e64 v85, 0, v72, s5
	v_add_f32_e32 v70, 0, v80
	s_delay_alu instid0(TRANS32_DEP_3)
	v_cndmask_b32_e64 v86, 0, v77, s6
	v_fma_f32 v77, s19, v101, -v68
	v_mul_f32_e32 v69, 0x3fb8aa3b, v69
	v_fma_f32 v72, s19, v100, -v68
	v_cndmask_b32_e64 v84, 0, v78, s8
	v_fma_f32 v78, s19, v103, -v68
	v_cndmask_b32_e64 v83, 0, v71, s4
	v_fma_f32 v71, s19, v123, -v68
	v_add_f32_e32 v70, v70, v76
	v_exp_f32_e32 v69, v69
	v_mul_f32_e32 v77, 0x3fb8aa3b, v77
	v_mul_f32_e32 v81, 0x3fb8aa3b, v81
	;; [unrolled: 1-line block ×3, first 2 shown]
	v_add_f32_e32 v70, v70, v83
	s_mov_b32 s3, exec_lo
	v_exp_f32_e32 v77, v77
	v_exp_f32_e32 v81, v81
	;; [unrolled: 1-line block ×3, first 2 shown]
	v_cndmask_b32_e64 v87, 0, v69, s7
	v_add_f32_e32 v70, v70, v85
	s_delay_alu instid0(VALU_DEP_1) | instskip(SKIP_1) | instid1(VALU_DEP_2)
	v_dual_mul_f32 v72, 0x3fb8aa3b, v72 :: v_dual_add_f32 v69, v70, v86
	v_fma_f32 v70, s19, v102, -v68
	v_exp_f32_e32 v72, v72
	s_waitcnt_depctr 0xfff
	v_cndmask_b32_e64 v88, 0, v71, s9
	v_fma_f32 v71, s19, v104, -v68
	v_dual_add_f32 v69, v69, v87 :: v_dual_mul_f32 v70, 0x3fb8aa3b, v70
	s_delay_alu instid0(VALU_DEP_2) | instskip(NEXT) | instid1(VALU_DEP_2)
	v_dual_mul_f32 v78, 0x3fb8aa3b, v78 :: v_dual_mul_f32 v71, 0x3fb8aa3b, v71
	v_add_f32_e32 v69, v69, v84
	s_delay_alu instid0(VALU_DEP_3) | instskip(SKIP_1) | instid1(VALU_DEP_3)
	v_exp_f32_e32 v79, v70
	v_cndmask_b32_e64 v70, 0, v72, s10
	v_exp_f32_e32 v78, v78
	v_exp_f32_e32 v82, v71
	v_add_f32_e32 v72, v69, v88
	v_cndmask_b32_e64 v69, 0, v77, s11
	v_fma_f32 v77, s19, v106, -v68
	s_delay_alu instid0(VALU_DEP_3) | instskip(NEXT) | instid1(TRANS32_DEP_3)
	v_add_f32_e32 v72, v72, v70
	v_cndmask_b32_e64 v71, 0, v79, s12
	s_delay_alu instid0(VALU_DEP_3) | instskip(NEXT) | instid1(VALU_DEP_3)
	v_mul_f32_e32 v77, 0x3fb8aa3b, v77
	v_add_f32_e32 v79, v72, v69
	s_delay_alu instid0(TRANS32_DEP_2) | instskip(NEXT) | instid1(VALU_DEP_3)
	v_cndmask_b32_e64 v72, 0, v78, s13
	v_exp_f32_e32 v90, v77
	v_cndmask_b32_e64 v77, 0, v82, s15
	s_delay_alu instid0(VALU_DEP_3) | instskip(SKIP_1) | instid1(VALU_DEP_1)
	v_add_f32_e32 v78, v79, v71
	v_fma_f32 v79, s19, v107, -v68
	v_dual_add_f32 v82, v78, v72 :: v_dual_mul_f32 v79, 0x3fb8aa3b, v79
	v_cndmask_b32_e64 v78, 0, v81, s16
	s_delay_alu instid0(VALU_DEP_2) | instskip(NEXT) | instid1(VALU_DEP_3)
	v_add_f32_e32 v81, v82, v77
	v_exp_f32_e32 v82, v79
	s_delay_alu instid0(TRANS32_DEP_2) | instskip(NEXT) | instid1(VALU_DEP_2)
	v_cndmask_b32_e64 v79, 0, v90, s17
	v_add_f32_e32 v81, v81, v78
	s_delay_alu instid0(VALU_DEP_1) | instskip(SKIP_2) | instid1(VALU_DEP_1)
	v_add_f32_e32 v90, v81, v79
	s_waitcnt_depctr 0xfff
	v_cndmask_b32_e64 v81, 0, v82, s18
	v_add_f32_e32 v82, v90, v81
	ds_bpermute_b32 v89, v89, v82
	v_cmpx_gt_u32_e32 16, v67
	s_cbranch_execz .LBB1723_12
; %bb.11:
	v_mul_u32_u24_e32 v67, 0x44, v66
	s_delay_alu instid0(VALU_DEP_1) | instskip(SKIP_1) | instid1(VALU_DEP_1)
	v_lshl_add_u32 v67, v65, 2, v67
	s_waitcnt lgkmcnt(0)
	v_dual_add_f32 v82, v82, v89 :: v_dual_add_nc_u32 v67, 0x4000, v67
	ds_store_2addr_b32 v67, v68, v82 offset1:136
.LBB1723_12:
	s_or_b32 exec_lo, exec_lo, s3
	v_lshlrev_b32_e32 v67, 2, v65
	s_waitcnt lgkmcnt(0)
	s_barrier
	buffer_gl0_inv
	v_cmp_eq_u32_e32 vcc_lo, 1, v66
	v_add_nc_u32_e32 v82, 0x4000, v67
	v_cmp_eq_u32_e64 s3, 2, v66
	v_cmp_eq_u32_e64 s5, 7, v66
	ds_load_2addr_b32 v[89:90], v82 offset1:17
	ds_load_2addr_b32 v[91:92], v82 offset0:34 offset1:51
	ds_load_2addr_b32 v[93:94], v82 offset0:68 offset1:85
	;; [unrolled: 1-line block ×4, first 2 shown]
	s_waitcnt lgkmcnt(4)
	v_max3_f32 v67, v89, 0xff7fffff, v90
	s_waitcnt lgkmcnt(3)
	s_delay_alu instid0(VALU_DEP_1) | instskip(SKIP_1) | instid1(VALU_DEP_1)
	v_max3_f32 v67, v67, v91, v92
	s_waitcnt lgkmcnt(2)
	v_max3_f32 v67, v67, v93, v94
	s_waitcnt lgkmcnt(1)
	s_delay_alu instid0(VALU_DEP_1) | instskip(NEXT) | instid1(VALU_DEP_1)
	v_max3_f32 v67, v67, v95, v96
	v_sub_f32_e32 v93, v93, v67
	s_delay_alu instid0(VALU_DEP_1) | instskip(NEXT) | instid1(VALU_DEP_1)
	v_dual_sub_f32 v68, v89, v67 :: v_dual_mul_f32 v103, 0x3fb8aa3b, v93
	v_mul_f32_e32 v68, 0x3fb8aa3b, v68
	s_delay_alu instid0(VALU_DEP_1)
	v_exp_f32_e32 v100, v68
	v_sub_f32_e32 v68, v92, v67
	v_sub_f32_e32 v99, v90, v67
	ds_load_2addr_b32 v[89:90], v82 offset0:170 offset1:187
	v_dual_mul_f32 v102, 0x3fb8aa3b, v68 :: v_dual_mul_f32 v99, 0x3fb8aa3b, v99
	s_waitcnt lgkmcnt(1)
	v_fma_f32 v68, v100, v97, 0
	s_delay_alu instid0(VALU_DEP_2) | instskip(NEXT) | instid1(VALU_DEP_2)
	v_exp_f32_e32 v102, v102
	v_exp_f32_e32 v99, v99
	s_waitcnt_depctr 0xfff
	v_fmac_f32_e32 v68, v99, v98
	v_sub_f32_e32 v91, v91, v67
	s_delay_alu instid0(VALU_DEP_1)
	v_mul_f32_e32 v101, 0x3fb8aa3b, v91
	ds_load_2addr_b32 v[91:92], v82 offset0:204 offset1:221
	v_sub_f32_e32 v97, v94, v67
	ds_load_2addr_b32 v[93:94], v82 offset0:238 offset1:255
	s_waitcnt lgkmcnt(0)
	v_exp_f32_e32 v101, v101
	s_barrier
	buffer_gl0_inv
	v_dual_fmac_f32 v68, v101, v89 :: v_dual_sub_f32 v89, v96, v67
	v_dual_sub_f32 v82, v95, v67 :: v_dual_mul_f32 v95, 0x3fb8aa3b, v97
	v_exp_f32_e32 v97, v103
	s_delay_alu instid0(VALU_DEP_2) | instskip(NEXT) | instid1(VALU_DEP_2)
	v_dual_fmac_f32 v68, v102, v90 :: v_dual_mul_f32 v89, 0x3fb8aa3b, v89
	v_mul_f32_e32 v82, 0x3fb8aa3b, v82
	s_delay_alu instid0(VALU_DEP_3) | instskip(NEXT) | instid1(VALU_DEP_2)
	v_exp_f32_e32 v95, v95
	v_exp_f32_e32 v89, v89
	s_delay_alu instid0(VALU_DEP_1)
	v_exp_f32_e32 v82, v82
	v_fmac_f32_e32 v68, v97, v91
	s_delay_alu instid0(TRANS32_DEP_3) | instid1(VALU_DEP_1)
	v_fmac_f32_e32 v68, v95, v92
	s_waitcnt_depctr 0xfff
	v_fmac_f32_e32 v68, v82, v93
	s_delay_alu instid0(VALU_DEP_1) | instskip(NEXT) | instid1(VALU_DEP_1)
	v_fmac_f32_e32 v68, v89, v94
	v_add_f32_e32 v90, 0x358637bd, v68
	s_delay_alu instid0(VALU_DEP_1) | instskip(NEXT) | instid1(VALU_DEP_1)
	v_div_scale_f32 v91, null, v90, v90, 1.0
	v_rcp_f32_e32 v92, v91
	s_waitcnt_depctr 0xfff
	v_fma_f32 v93, -v91, v92, 1.0
	s_delay_alu instid0(VALU_DEP_1) | instskip(SKIP_1) | instid1(VALU_DEP_2)
	v_dual_fmac_f32 v92, v93, v92 :: v_dual_cndmask_b32 v93, v100, v99
	v_cmp_eq_u32_e32 vcc_lo, 3, v66
	v_cndmask_b32_e64 v93, v93, v101, s3
	v_cmp_eq_u32_e64 s3, 4, v66
	s_delay_alu instid0(VALU_DEP_2) | instskip(SKIP_1) | instid1(VALU_DEP_2)
	v_cndmask_b32_e32 v93, v93, v102, vcc_lo
	v_cmp_eq_u32_e32 vcc_lo, 5, v66
	v_cndmask_b32_e64 v93, v93, v97, s3
	v_cmp_eq_u32_e64 s3, 6, v66
	s_delay_alu instid0(VALU_DEP_2) | instskip(SKIP_1) | instid1(VALU_DEP_1)
	v_cndmask_b32_e32 v93, v93, v95, vcc_lo
	v_div_scale_f32 v94, s4, 1.0, v90, 1.0
	s_mov_b32 vcc_lo, s4
	s_delay_alu instid0(VALU_DEP_2) | instskip(NEXT) | instid1(VALU_DEP_2)
	v_cndmask_b32_e64 v82, v93, v82, s3
	v_mul_f32_e32 v96, v94, v92
	s_mov_b32 s3, exec_lo
	s_delay_alu instid0(VALU_DEP_2) | instskip(NEXT) | instid1(VALU_DEP_2)
	v_cndmask_b32_e64 v82, v82, v89, s5
	v_fma_f32 v98, -v91, v96, v94
	s_delay_alu instid0(VALU_DEP_1) | instskip(NEXT) | instid1(VALU_DEP_1)
	v_fmac_f32_e32 v96, v98, v92
	v_fma_f32 v91, -v91, v96, v94
	s_delay_alu instid0(VALU_DEP_1) | instskip(NEXT) | instid1(VALU_DEP_1)
	v_div_fmas_f32 v91, v91, v92, v96
	v_div_fixup_f32 v90, v91, v90, 1.0
	s_delay_alu instid0(VALU_DEP_1) | instskip(NEXT) | instid1(VALU_DEP_1)
	v_mul_f32_e32 v82, v82, v90
	v_mul_f32_e32 v87, v82, v87
	;; [unrolled: 1-line block ×7, first 2 shown]
	v_dual_mul_f32 v86, v82, v83 :: v_dual_and_b32 v91, 0x7f800000, v90
	v_mul_f32_e32 v85, v82, v76
                                        ; implicit-def: $vgpr76
	s_delay_alu instid0(VALU_DEP_2)
	v_cmpx_ne_u32_e32 0x7f800000, v91
	s_xor_b32 s3, exec_lo, s3
; %bb.13:
	v_bfe_u32 v76, v90, 16, 1
	s_delay_alu instid0(VALU_DEP_1)
	v_add3_u32 v76, v90, v76, 0x7fff
                                        ; implicit-def: $vgpr90
; %bb.14:
	s_and_not1_saveexec_b32 s3, s3
; %bb.15:
	v_and_b32_e32 v76, 0xffff, v90
	v_or_b32_e32 v83, 0x10000, v90
	s_delay_alu instid0(VALU_DEP_2) | instskip(NEXT) | instid1(VALU_DEP_2)
	v_cmp_eq_u32_e32 vcc_lo, 0, v76
	v_cndmask_b32_e32 v76, v83, v90, vcc_lo
; %bb.16:
	s_or_b32 exec_lo, exec_lo, s3
	v_and_b32_e32 v83, 0x7f800000, v85
	s_delay_alu instid0(VALU_DEP_1) | instskip(SKIP_1) | instid1(SALU_CYCLE_1)
	v_cmp_ne_u32_e32 vcc_lo, 0x7f800000, v83
                                        ; implicit-def: $vgpr83
	s_and_saveexec_b32 s3, vcc_lo
	s_xor_b32 s3, exec_lo, s3
; %bb.17:
	v_bfe_u32 v83, v85, 16, 1
	s_delay_alu instid0(VALU_DEP_1)
	v_add3_u32 v83, v85, v83, 0x7fff
                                        ; implicit-def: $vgpr85
; %bb.18:
	s_and_not1_saveexec_b32 s3, s3
; %bb.19:
	v_and_b32_e32 v83, 0xffff, v85
	v_or_b32_e32 v90, 0x10000, v85
	s_delay_alu instid0(VALU_DEP_2) | instskip(NEXT) | instid1(VALU_DEP_2)
	v_cmp_eq_u32_e32 vcc_lo, 0, v83
	v_cndmask_b32_e32 v83, v90, v85, vcc_lo
; %bb.20:
	s_or_b32 exec_lo, exec_lo, s3
	v_and_b32_e32 v85, 0x7f800000, v86
	s_delay_alu instid0(VALU_DEP_1) | instskip(SKIP_1) | instid1(SALU_CYCLE_1)
	v_cmp_ne_u32_e32 vcc_lo, 0x7f800000, v85
                                        ; implicit-def: $vgpr85
	s_and_saveexec_b32 s3, vcc_lo
	s_xor_b32 s3, exec_lo, s3
; %bb.21:
	v_bfe_u32 v85, v86, 16, 1
	s_delay_alu instid0(VALU_DEP_1)
	v_add3_u32 v85, v86, v85, 0x7fff
                                        ; implicit-def: $vgpr86
; %bb.22:
	s_and_not1_saveexec_b32 s3, s3
; %bb.23:
	v_and_b32_e32 v85, 0xffff, v86
	v_or_b32_e32 v90, 0x10000, v86
	s_delay_alu instid0(VALU_DEP_2) | instskip(NEXT) | instid1(VALU_DEP_2)
	v_cmp_eq_u32_e32 vcc_lo, 0, v85
	v_cndmask_b32_e32 v85, v90, v86, vcc_lo
; %bb.24:
	s_or_b32 exec_lo, exec_lo, s3
	v_and_b32_e32 v86, 0x7f800000, v89
	s_delay_alu instid0(VALU_DEP_1) | instskip(SKIP_1) | instid1(SALU_CYCLE_1)
	v_cmp_ne_u32_e32 vcc_lo, 0x7f800000, v86
                                        ; implicit-def: $vgpr86
	s_and_saveexec_b32 s3, vcc_lo
	s_xor_b32 s3, exec_lo, s3
; %bb.25:
	v_bfe_u32 v86, v89, 16, 1
	s_delay_alu instid0(VALU_DEP_1)
	v_add3_u32 v86, v89, v86, 0x7fff
                                        ; implicit-def: $vgpr89
; %bb.26:
	s_and_not1_saveexec_b32 s3, s3
; %bb.27:
	v_and_b32_e32 v86, 0xffff, v89
	v_or_b32_e32 v90, 0x10000, v89
	s_delay_alu instid0(VALU_DEP_2) | instskip(NEXT) | instid1(VALU_DEP_2)
	v_cmp_eq_u32_e32 vcc_lo, 0, v86
	v_cndmask_b32_e32 v86, v90, v89, vcc_lo
; %bb.28:
	s_or_b32 exec_lo, exec_lo, s3
	v_and_b32_e32 v89, 0x7f800000, v88
	s_delay_alu instid0(VALU_DEP_1) | instskip(SKIP_1) | instid1(SALU_CYCLE_1)
	v_cmp_ne_u32_e32 vcc_lo, 0x7f800000, v89
                                        ; implicit-def: $vgpr89
	s_and_saveexec_b32 s3, vcc_lo
	s_xor_b32 s3, exec_lo, s3
; %bb.29:
	v_bfe_u32 v89, v88, 16, 1
	s_delay_alu instid0(VALU_DEP_1)
	v_add3_u32 v89, v88, v89, 0x7fff
                                        ; implicit-def: $vgpr88
; %bb.30:
	s_and_not1_saveexec_b32 s3, s3
; %bb.31:
	v_and_b32_e32 v89, 0xffff, v88
	v_or_b32_e32 v90, 0x10000, v88
	s_delay_alu instid0(VALU_DEP_2) | instskip(NEXT) | instid1(VALU_DEP_2)
	v_cmp_eq_u32_e32 vcc_lo, 0, v89
	v_cndmask_b32_e32 v89, v90, v88, vcc_lo
; %bb.32:
	s_or_b32 exec_lo, exec_lo, s3
	v_and_b32_e32 v88, 0x7f800000, v87
	s_delay_alu instid0(VALU_DEP_1) | instskip(SKIP_1) | instid1(SALU_CYCLE_1)
	v_cmp_ne_u32_e32 vcc_lo, 0x7f800000, v88
                                        ; implicit-def: $vgpr88
	s_and_saveexec_b32 s3, vcc_lo
	s_xor_b32 s3, exec_lo, s3
; %bb.33:
	v_bfe_u32 v88, v87, 16, 1
	s_delay_alu instid0(VALU_DEP_1)
	v_add3_u32 v88, v87, v88, 0x7fff
                                        ; implicit-def: $vgpr87
; %bb.34:
	s_and_not1_saveexec_b32 s3, s3
; %bb.35:
	v_and_b32_e32 v88, 0xffff, v87
	v_or_b32_e32 v90, 0x10000, v87
	s_delay_alu instid0(VALU_DEP_2) | instskip(NEXT) | instid1(VALU_DEP_2)
	v_cmp_eq_u32_e32 vcc_lo, 0, v88
	v_cndmask_b32_e32 v88, v90, v87, vcc_lo
; %bb.36:
	s_or_b32 exec_lo, exec_lo, s3
	v_and_b32_e32 v87, 0x7f800000, v84
	s_delay_alu instid0(VALU_DEP_1) | instskip(SKIP_1) | instid1(SALU_CYCLE_1)
	v_cmp_ne_u32_e32 vcc_lo, 0x7f800000, v87
                                        ; implicit-def: $vgpr87
	s_and_saveexec_b32 s3, vcc_lo
	s_xor_b32 s3, exec_lo, s3
; %bb.37:
	v_bfe_u32 v87, v84, 16, 1
	s_delay_alu instid0(VALU_DEP_1)
	v_add3_u32 v87, v84, v87, 0x7fff
                                        ; implicit-def: $vgpr84
; %bb.38:
	s_and_not1_saveexec_b32 s3, s3
; %bb.39:
	v_and_b32_e32 v87, 0xffff, v84
	v_or_b32_e32 v90, 0x10000, v84
	s_delay_alu instid0(VALU_DEP_2) | instskip(NEXT) | instid1(VALU_DEP_2)
	v_cmp_eq_u32_e32 vcc_lo, 0, v87
	v_cndmask_b32_e32 v87, v90, v84, vcc_lo
; %bb.40:
	s_or_b32 exec_lo, exec_lo, s3
	v_and_b32_e32 v84, 0x7f800000, v80
	s_delay_alu instid0(VALU_DEP_1) | instskip(SKIP_1) | instid1(SALU_CYCLE_1)
	v_cmp_ne_u32_e32 vcc_lo, 0x7f800000, v84
                                        ; implicit-def: $vgpr84
	s_and_saveexec_b32 s3, vcc_lo
	s_xor_b32 s3, exec_lo, s3
; %bb.41:
	v_bfe_u32 v84, v80, 16, 1
	s_delay_alu instid0(VALU_DEP_1)
	v_add3_u32 v84, v80, v84, 0x7fff
                                        ; implicit-def: $vgpr80
; %bb.42:
	s_and_not1_saveexec_b32 s3, s3
; %bb.43:
	v_and_b32_e32 v84, 0xffff, v80
	v_or_b32_e32 v90, 0x10000, v80
	s_delay_alu instid0(VALU_DEP_2) | instskip(NEXT) | instid1(VALU_DEP_2)
	v_cmp_eq_u32_e32 vcc_lo, 0, v84
	v_cndmask_b32_e32 v84, v90, v80, vcc_lo
; %bb.44:
	s_or_b32 exec_lo, exec_lo, s3
	s_load_b64 s[34:35], s[0:1], 0x94
	v_lshlrev_b32_e32 v91, 4, v74
	s_delay_alu instid0(VALU_DEP_2)
	v_perm_b32 v90, v84, v87, 0x7060302
	v_dual_mul_f32 v79, v82, v79 :: v_dual_lshlrev_b32 v80, 6, v65
	v_dual_mul_f32 v77, v82, v77 :: v_dual_lshlrev_b32 v92, 11, v66
	v_mul_f32_e32 v84, v82, v70
	v_perm_b32 v89, v88, v89, 0x7060302
	v_perm_b32 v88, v86, v85, 0x7060302
	;; [unrolled: 1-line block ×3, first 2 shown]
	v_mul_f32_e32 v70, v82, v81
	v_or3_b32 v76, v91, v92, v80
	v_dual_mul_f32 v78, v82, v78 :: v_dual_and_b32 v85, 0x7f800000, v84
	v_mul_f32_e32 v83, v82, v72
	v_mul_f32_e32 v81, v82, v71
	;; [unrolled: 1-line block ×3, first 2 shown]
	s_mov_b32 s3, exec_lo
	ds_store_b128 v76, v[87:90]
                                        ; implicit-def: $vgpr69
	v_cmpx_ne_u32_e32 0x7f800000, v85
	s_xor_b32 s3, exec_lo, s3
; %bb.45:
	v_bfe_u32 v69, v84, 16, 1
	s_delay_alu instid0(VALU_DEP_1)
	v_add3_u32 v69, v84, v69, 0x7fff
                                        ; implicit-def: $vgpr84
; %bb.46:
	s_and_not1_saveexec_b32 s3, s3
; %bb.47:
	v_and_b32_e32 v69, 0xffff, v84
	v_or_b32_e32 v71, 0x10000, v84
	s_delay_alu instid0(VALU_DEP_2) | instskip(NEXT) | instid1(VALU_DEP_2)
	v_cmp_eq_u32_e32 vcc_lo, 0, v69
	v_cndmask_b32_e32 v69, v71, v84, vcc_lo
; %bb.48:
	s_or_b32 exec_lo, exec_lo, s3
	v_and_b32_e32 v71, 0x7f800000, v72
	s_delay_alu instid0(VALU_DEP_1) | instskip(SKIP_1) | instid1(SALU_CYCLE_1)
	v_cmp_ne_u32_e32 vcc_lo, 0x7f800000, v71
                                        ; implicit-def: $vgpr71
	s_and_saveexec_b32 s3, vcc_lo
	s_xor_b32 s3, exec_lo, s3
; %bb.49:
	v_bfe_u32 v71, v72, 16, 1
	s_delay_alu instid0(VALU_DEP_1)
	v_add3_u32 v71, v72, v71, 0x7fff
                                        ; implicit-def: $vgpr72
; %bb.50:
	s_and_not1_saveexec_b32 s3, s3
; %bb.51:
	v_and_b32_e32 v71, 0xffff, v72
	v_or_b32_e32 v82, 0x10000, v72
	s_delay_alu instid0(VALU_DEP_2) | instskip(NEXT) | instid1(VALU_DEP_2)
	v_cmp_eq_u32_e32 vcc_lo, 0, v71
	v_cndmask_b32_e32 v71, v82, v72, vcc_lo
; %bb.52:
	s_or_b32 exec_lo, exec_lo, s3
	v_and_b32_e32 v72, 0x7f800000, v81
	s_delay_alu instid0(VALU_DEP_1) | instskip(SKIP_1) | instid1(SALU_CYCLE_1)
	v_cmp_ne_u32_e32 vcc_lo, 0x7f800000, v72
                                        ; implicit-def: $vgpr72
	s_and_saveexec_b32 s3, vcc_lo
	s_xor_b32 s3, exec_lo, s3
; %bb.53:
	v_bfe_u32 v72, v81, 16, 1
	s_delay_alu instid0(VALU_DEP_1)
	v_add3_u32 v72, v81, v72, 0x7fff
                                        ; implicit-def: $vgpr81
; %bb.54:
	s_and_not1_saveexec_b32 s3, s3
; %bb.55:
	v_and_b32_e32 v72, 0xffff, v81
	v_or_b32_e32 v82, 0x10000, v81
	s_delay_alu instid0(VALU_DEP_2) | instskip(NEXT) | instid1(VALU_DEP_2)
	v_cmp_eq_u32_e32 vcc_lo, 0, v72
	v_cndmask_b32_e32 v72, v82, v81, vcc_lo
; %bb.56:
	s_or_b32 exec_lo, exec_lo, s3
	v_and_b32_e32 v81, 0x7f800000, v83
	s_delay_alu instid0(VALU_DEP_1) | instskip(SKIP_1) | instid1(SALU_CYCLE_1)
	v_cmp_ne_u32_e32 vcc_lo, 0x7f800000, v81
                                        ; implicit-def: $vgpr81
	s_and_saveexec_b32 s3, vcc_lo
	s_xor_b32 s3, exec_lo, s3
; %bb.57:
	v_bfe_u32 v81, v83, 16, 1
	s_delay_alu instid0(VALU_DEP_1)
	v_add3_u32 v81, v83, v81, 0x7fff
                                        ; implicit-def: $vgpr83
; %bb.58:
	s_and_not1_saveexec_b32 s3, s3
; %bb.59:
	v_and_b32_e32 v81, 0xffff, v83
	v_or_b32_e32 v82, 0x10000, v83
	s_delay_alu instid0(VALU_DEP_2) | instskip(NEXT) | instid1(VALU_DEP_2)
	v_cmp_eq_u32_e32 vcc_lo, 0, v81
	v_cndmask_b32_e32 v81, v82, v83, vcc_lo
; %bb.60:
	s_or_b32 exec_lo, exec_lo, s3
	v_and_b32_e32 v82, 0x7f800000, v77
	s_delay_alu instid0(VALU_DEP_1) | instskip(SKIP_1) | instid1(SALU_CYCLE_1)
	v_cmp_ne_u32_e32 vcc_lo, 0x7f800000, v82
                                        ; implicit-def: $vgpr82
	s_and_saveexec_b32 s3, vcc_lo
	s_xor_b32 s3, exec_lo, s3
; %bb.61:
	v_bfe_u32 v82, v77, 16, 1
	s_delay_alu instid0(VALU_DEP_1)
	v_add3_u32 v82, v77, v82, 0x7fff
                                        ; implicit-def: $vgpr77
; %bb.62:
	s_and_not1_saveexec_b32 s3, s3
; %bb.63:
	v_and_b32_e32 v82, 0xffff, v77
	v_or_b32_e32 v83, 0x10000, v77
	s_delay_alu instid0(VALU_DEP_2) | instskip(NEXT) | instid1(VALU_DEP_2)
	v_cmp_eq_u32_e32 vcc_lo, 0, v82
	v_cndmask_b32_e32 v82, v83, v77, vcc_lo
; %bb.64:
	s_or_b32 exec_lo, exec_lo, s3
	v_and_b32_e32 v77, 0x7f800000, v78
	s_delay_alu instid0(VALU_DEP_1) | instskip(SKIP_1) | instid1(SALU_CYCLE_1)
	v_cmp_ne_u32_e32 vcc_lo, 0x7f800000, v77
                                        ; implicit-def: $vgpr77
	s_and_saveexec_b32 s3, vcc_lo
	s_xor_b32 s3, exec_lo, s3
; %bb.65:
	v_bfe_u32 v77, v78, 16, 1
	s_delay_alu instid0(VALU_DEP_1)
	v_add3_u32 v77, v78, v77, 0x7fff
                                        ; implicit-def: $vgpr78
; %bb.66:
	s_and_not1_saveexec_b32 s3, s3
; %bb.67:
	v_and_b32_e32 v77, 0xffff, v78
	v_or_b32_e32 v83, 0x10000, v78
	s_delay_alu instid0(VALU_DEP_2) | instskip(NEXT) | instid1(VALU_DEP_2)
	v_cmp_eq_u32_e32 vcc_lo, 0, v77
	v_cndmask_b32_e32 v77, v83, v78, vcc_lo
; %bb.68:
	s_or_b32 exec_lo, exec_lo, s3
	v_and_b32_e32 v78, 0x7f800000, v79
	s_delay_alu instid0(VALU_DEP_1) | instskip(SKIP_1) | instid1(SALU_CYCLE_1)
	v_cmp_ne_u32_e32 vcc_lo, 0x7f800000, v78
                                        ; implicit-def: $vgpr78
	s_and_saveexec_b32 s3, vcc_lo
	s_xor_b32 s3, exec_lo, s3
; %bb.69:
	v_bfe_u32 v78, v79, 16, 1
	s_delay_alu instid0(VALU_DEP_1)
	v_add3_u32 v78, v79, v78, 0x7fff
                                        ; implicit-def: $vgpr79
; %bb.70:
	s_and_not1_saveexec_b32 s3, s3
; %bb.71:
	v_and_b32_e32 v78, 0xffff, v79
	v_or_b32_e32 v83, 0x10000, v79
	s_delay_alu instid0(VALU_DEP_2) | instskip(NEXT) | instid1(VALU_DEP_2)
	v_cmp_eq_u32_e32 vcc_lo, 0, v78
	v_cndmask_b32_e32 v78, v83, v79, vcc_lo
; %bb.72:
	s_or_b32 exec_lo, exec_lo, s3
	v_and_b32_e32 v79, 0x7f800000, v70
	s_delay_alu instid0(VALU_DEP_1) | instskip(SKIP_1) | instid1(SALU_CYCLE_1)
	v_cmp_ne_u32_e32 vcc_lo, 0x7f800000, v79
                                        ; implicit-def: $vgpr79
	s_and_saveexec_b32 s3, vcc_lo
	s_xor_b32 s3, exec_lo, s3
; %bb.73:
	v_bfe_u32 v79, v70, 16, 1
	s_delay_alu instid0(VALU_DEP_1)
	v_add3_u32 v79, v70, v79, 0x7fff
                                        ; implicit-def: $vgpr70
; %bb.74:
	s_and_not1_saveexec_b32 s3, s3
; %bb.75:
	v_and_b32_e32 v79, 0xffff, v70
	v_or_b32_e32 v83, 0x10000, v70
	s_delay_alu instid0(VALU_DEP_2) | instskip(NEXT) | instid1(VALU_DEP_2)
	v_cmp_eq_u32_e32 vcc_lo, 0, v79
	v_cndmask_b32_e32 v79, v83, v70, vcc_lo
; %bb.76:
	s_or_b32 exec_lo, exec_lo, s3
	s_delay_alu instid0(VALU_DEP_1)
	v_perm_b32 v86, v79, v78, 0x7060302
	v_perm_b32 v85, v77, v82, 0x7060302
	;; [unrolled: 1-line block ×4, first 2 shown]
	v_lshl_or_b32 v82, v66, 11, v80
	ds_store_b128 v76, v[83:86] offset:1024
	s_waitcnt lgkmcnt(0)
	s_barrier
	buffer_gl0_inv
	ds_load_b128 v[69:72], v82
	ds_load_b128 v[83:86], v82 offset:16
	s_waitcnt lgkmcnt(1)
	v_lshrrev_b32_e32 v66, 16, v69
	s_waitcnt lgkmcnt(0)
	v_lshrrev_b32_e32 v91, 16, v83
	v_lshlrev_b32_e32 v78, 2, v74
	v_lshrrev_b32_e32 v95, 16, v70
	v_lshrrev_b32_e32 v98, 16, v84
	;; [unrolled: 1-line block ×4, first 2 shown]
	v_cmp_eq_u32_e32 vcc_lo, 1, v78
	v_lshrrev_b32_e32 v97, 16, v72
	v_lshrrev_b32_e32 v100, 16, v86
	v_cndmask_b32_e32 v87, v83, v91, vcc_lo
	v_or_b32_e32 v79, 1, v78
	v_cndmask_b32_e32 v81, v69, v66, vcc_lo
	v_cmp_eq_u32_e64 s4, 2, v78
	v_cmp_eq_u32_e64 s7, 3, v78
	;; [unrolled: 1-line block ×5, first 2 shown]
	v_cndmask_b32_e64 v81, v81, v70, s4
	v_cndmask_b32_e64 v87, v87, v84, s4
	v_cmp_eq_u32_e64 s8, 3, v79
	v_cndmask_b32_e64 v88, v69, v66, s3
	v_or_b32_e32 v77, 2, v78
	v_cndmask_b32_e64 v81, v81, v95, s7
	v_cndmask_b32_e64 v87, v87, v98, s7
	;; [unrolled: 1-line block ×4, first 2 shown]
	v_cmp_eq_u32_e64 s10, 5, v78
	v_cndmask_b32_e64 v81, v81, v71, s9
	v_cndmask_b32_e64 v87, v87, v85, s9
	v_cmp_eq_u32_e64 s11, 4, v79
	v_cndmask_b32_e64 v88, v88, v95, s8
	v_cmp_eq_u32_e64 s5, 1, v77
	v_cndmask_b32_e64 v89, v89, v84, s6
	v_cndmask_b32_e64 v81, v81, v96, s10
	v_cmp_eq_u32_e64 s12, 6, v78
	v_cndmask_b32_e64 v88, v88, v71, s11
	;; [unrolled: 3-line block ×3, first 2 shown]
	v_cndmask_b32_e64 v89, v89, v98, s8
	v_cndmask_b32_e64 v81, v81, v72, s12
	v_cmp_eq_u32_e64 s15, 7, v78
	v_cndmask_b32_e64 v88, v88, v96, s13
	v_cndmask_b32_e64 v87, v87, v86, s12
	v_cmp_eq_u32_e64 s16, 6, v79
	v_cmp_eq_u32_e64 s17, 2, v77
	v_cndmask_b32_e64 v89, v89, v85, s11
	v_cndmask_b32_e64 v101, v81, v97, s15
	;; [unrolled: 1-line block ×6, first 2 shown]
	v_cmp_eq_u32_e64 s18, 7, v79
	v_cmp_eq_u32_e64 s19, 3, v77
	v_cmp_eq_u32_e64 s20, 4, v77
	v_cmp_eq_u32_e64 s22, 5, v77
	v_cndmask_b32_e64 v87, v87, v84, s17
	v_cndmask_b32_e64 v103, v88, v97, s18
	;; [unrolled: 1-line block ×4, first 2 shown]
	v_or_b32_e32 v81, 3, v78
	v_cndmask_b32_e64 v93, v87, v98, s19
	v_cmp_eq_u32_e64 s24, 6, v77
	v_cndmask_b32_e64 v104, v88, v86, s16
	v_cndmask_b32_e64 v92, v89, v71, s20
	v_cmp_eq_u32_e64 s21, 1, v81
	ds_load_b128 v[87:90], v82 offset:1024
	v_cmp_eq_u32_e64 s23, 2, v81
	v_cmp_eq_u32_e64 s25, 3, v81
	v_cndmask_b32_e64 v105, v92, v96, s22
	v_cndmask_b32_e64 v66, v69, v66, s21
	;; [unrolled: 1-line block ×4, first 2 shown]
	ds_load_b128 v[91:94], v82 offset:1040
	v_cmp_eq_u32_e64 s26, 4, v81
	v_cndmask_b32_e64 v66, v66, v70, s23
	v_cmp_eq_u32_e64 s27, 7, v77
	v_cndmask_b32_e64 v70, v83, v84, s23
	v_cndmask_b32_e64 v84, v105, v72, s24
	v_cmp_eq_u32_e64 s28, 5, v81
	v_cndmask_b32_e64 v66, v66, v95, s25
	v_cmp_eq_u32_e64 s29, 6, v81
	v_cndmask_b32_e64 v70, v70, v98, s25
	v_cndmask_b32_e64 v69, v69, v99, s22
	v_cndmask_b32_e64 v83, v104, v100, s18
	v_cndmask_b32_e64 v66, v66, v71, s26
	s_waitcnt lgkmcnt(1)
	v_lshrrev_b32_e32 v95, 16, v87
	v_cndmask_b32_e64 v70, v70, v85, s26
	v_cndmask_b32_e64 v71, v84, v97, s27
	;; [unrolled: 1-line block ×4, first 2 shown]
	v_cndmask_b32_e32 v84, v87, v95, vcc_lo
	v_cndmask_b32_e64 v70, v70, v99, s28
	s_waitcnt lgkmcnt(0)
	v_lshrrev_b32_e32 v85, 16, v91
	v_lshrrev_b32_e32 v96, 16, v88
	v_cndmask_b32_e64 v98, v87, v95, s3
	v_cndmask_b32_e64 v84, v84, v88, s4
	;; [unrolled: 1-line block ×3, first 2 shown]
	v_cndmask_b32_e32 v99, v91, v85, vcc_lo
	v_cmp_eq_u32_e32 vcc_lo, 7, v81
	v_cndmask_b32_e64 v66, v66, v72, s29
	v_cndmask_b32_e64 v72, v84, v96, s7
	;; [unrolled: 1-line block ×3, first 2 shown]
	v_lshrrev_b32_e32 v98, 16, v92
	v_cndmask_b32_e32 v70, v70, v100, vcc_lo
	v_cndmask_b32_e64 v86, v99, v92, s4
	v_cndmask_b32_e64 v69, v69, v100, s27
	v_lshrrev_b32_e32 v100, 16, v93
	v_cndmask_b32_e64 v72, v72, v89, s9
	v_lshrrev_b32_e32 v99, 16, v89
	v_cndmask_b32_e64 v86, v86, v98, s7
	v_perm_b32 v71, v69, v71, 0x5040100
	v_cndmask_b32_e64 v84, v84, v96, s8
	s_delay_alu instid0(VALU_DEP_3) | instskip(NEXT) | instid1(VALU_DEP_2)
	v_cndmask_b32_e64 v86, v86, v93, s9
	v_cndmask_b32_e64 v84, v84, v89, s11
	s_delay_alu instid0(VALU_DEP_2) | instskip(NEXT) | instid1(VALU_DEP_1)
	v_cndmask_b32_e64 v86, v86, v100, s10
	v_cndmask_b32_e64 v69, v86, v94, s12
	;; [unrolled: 1-line block ×5, first 2 shown]
	s_delay_alu instid0(VALU_DEP_3) | instskip(NEXT) | instid1(VALU_DEP_3)
	v_cndmask_b32_e64 v86, v86, v88, s17
	v_cndmask_b32_e64 v87, v87, v88, s23
	s_delay_alu instid0(VALU_DEP_3) | instskip(NEXT) | instid1(VALU_DEP_3)
	v_cndmask_b32_e64 v88, v95, v92, s23
	v_cndmask_b32_e64 v86, v86, v96, s19
	;; [unrolled: 3-line block ×7, first 2 shown]
	s_delay_alu instid0(VALU_DEP_3) | instskip(SKIP_2) | instid1(VALU_DEP_2)
	v_cndmask_b32_e64 v88, v88, v94, s29
	v_cndmask_b32_e32 v66, v66, v97, vcc_lo
	v_cndmask_b32_e64 v97, v72, v99, s10
	v_perm_b32 v72, v70, v66, 0x5040100
	v_perm_b32 v70, v83, v103, 0x5040100
	v_cndmask_b32_e64 v103, v91, v85, s5
	v_cndmask_b32_e64 v85, v91, v85, s3
	;; [unrolled: 1-line block ×4, first 2 shown]
	v_lshrrev_b32_e32 v97, 16, v90
	v_cndmask_b32_e64 v91, v103, v92, s17
	v_cndmask_b32_e64 v85, v85, v92, s6
	;; [unrolled: 1-line block ×3, first 2 shown]
	s_mov_b32 s3, exec_lo
	v_cndmask_b32_e64 v83, v84, v97, s15
	v_cndmask_b32_e64 v91, v91, v98, s19
	v_cndmask_b32_e64 v85, v85, v98, s8
	v_lshrrev_b32_e32 v84, 16, v94
	v_cndmask_b32_e64 v66, v66, v97, s18
	v_cndmask_b32_e64 v90, v86, v97, s27
	v_cndmask_b32_e64 v89, v91, v93, s20
	v_cndmask_b32_e64 v85, v85, v93, s11
	v_dual_cndmask_b32 v86, v87, v97 :: v_dual_cndmask_b32 v87, v88, v84
	v_cndmask_b32_e64 v91, v69, v84, s15
	s_delay_alu instid0(VALU_DEP_4) | instskip(NEXT) | instid1(VALU_DEP_4)
	v_cndmask_b32_e64 v89, v89, v100, s22
	v_cndmask_b32_e64 v85, v85, v100, s13
	v_perm_b32 v69, v102, v101, 0x5040100
	v_perm_b32 v86, v87, v86, 0x5040100
	;; [unrolled: 1-line block ×3, first 2 shown]
	v_cndmask_b32_e64 v89, v89, v94, s24
	v_cndmask_b32_e64 v85, v85, v94, s16
	s_mul_i32 s8, s35, 14
	s_delay_alu instid0(VALU_DEP_2) | instskip(NEXT) | instid1(VALU_DEP_2)
	v_cndmask_b32_e64 v88, v89, v84, s27
	v_cndmask_b32_e64 v89, v85, v84, s18
	s_delay_alu instid0(VALU_DEP_2) | instskip(NEXT) | instid1(VALU_DEP_2)
	v_perm_b32 v85, v88, v90, 0x5040100
	v_perm_b32 v84, v89, v66, 0x5040100
	ds_store_b128 v76, v[69:72]
	ds_store_b128 v76, v[83:86] offset:1024
	v_cmpx_gt_u32_e32 14, v0
	s_cbranch_execz .LBB1723_78
; %bb.77:
	s_mul_i32 s4, s8, s30
	s_delay_alu instid0(SALU_CYCLE_1) | instskip(SKIP_1) | instid1(VALU_DEP_1)
	v_add3_u32 v69, s4, s31, v65
	s_load_b128 s[4:7], s[0:1], 0x58
	v_mad_u64_u32 v[65:66], null, v69, s34, s[14:15]
	s_delay_alu instid0(VALU_DEP_1) | instskip(NEXT) | instid1(VALU_DEP_1)
	v_ashrrev_i32_e32 v66, 31, v65
	v_lshlrev_b64 v[65:66], 2, v[65:66]
	s_waitcnt lgkmcnt(0)
	s_delay_alu instid0(VALU_DEP_1) | instskip(NEXT) | instid1(VALU_DEP_2)
	v_add_co_u32 v69, vcc_lo, s6, v65
	v_add_co_ci_u32_e32 v70, vcc_lo, s7, v66, vcc_lo
	v_add_co_u32 v65, vcc_lo, s4, v65
	v_add_co_ci_u32_e32 v66, vcc_lo, s5, v66, vcc_lo
	global_store_b32 v[69:70], v67, off
	global_store_b32 v[65:66], v68, off
.LBB1723_78:
	s_or_b32 exec_lo, exec_lo, s3
	s_waitcnt lgkmcnt(0)
	s_waitcnt_vscnt null, 0x0
	s_barrier
	buffer_gl0_inv
	ds_load_b128 v[83:86], v80
	ds_load_b128 v[87:90], v80 offset:16
	ds_load_b128 v[95:98], v80 offset:2064
	;; [unrolled: 1-line block ×3, first 2 shown]
	v_mov_b32_e32 v65, 0
	ds_load_b128 v[103:106], v80 offset:4112
	ds_load_b128 v[99:102], v80 offset:4096
	;; [unrolled: 1-line block ×4, first 2 shown]
	v_mov_b32_e32 v66, v65
	v_mov_b32_e32 v67, v65
	;; [unrolled: 1-line block ×7, first 2 shown]
	s_waitcnt lgkmcnt(6)
	s_delay_alu instid0(VALU_DEP_1)
	v_wmma_f32_16x16x16_bf16 v[65:72], v[57:64], v[83:90], v[65:72]
	ds_load_b128 v[61:64], v80 offset:8208
	ds_load_b128 v[57:60], v80 offset:8192
	s_waitcnt lgkmcnt(6)
	v_wmma_f32_16x16x16_bf16 v[65:72], v[41:48], v[91:98], v[65:72]
	ds_load_b128 v[45:48], v80 offset:10256
	ds_load_b128 v[41:44], v80 offset:10240
	s_waitcnt lgkmcnt(6)
	;; [unrolled: 4-line block ×4, first 2 shown]
	v_wmma_f32_16x16x16_bf16 v[65:72], v[1:8], v[57:64], v[65:72]
	s_waitcnt lgkmcnt(4)
	s_delay_alu instid0(VALU_DEP_1) | instskip(SKIP_1) | instid1(VALU_DEP_1)
	v_wmma_f32_16x16x16_bf16 v[65:72], v[9:16], v[41:48], v[65:72]
	s_waitcnt lgkmcnt(2)
	v_wmma_f32_16x16x16_bf16 v[65:72], v[17:24], v[33:40], v[65:72]
	s_waitcnt lgkmcnt(0)
	s_delay_alu instid0(VALU_DEP_1) | instskip(NEXT) | instid1(VALU_DEP_1)
	v_wmma_f32_16x16x16_bf16 v[65:72], v[49:56], v[25:32], v[65:72]
	v_and_b32_e32 v1, 0x7f800000, v65
	s_delay_alu instid0(VALU_DEP_1) | instskip(SKIP_1) | instid1(SALU_CYCLE_1)
	v_cmp_ne_u32_e32 vcc_lo, 0x7f800000, v1
                                        ; implicit-def: $vgpr1
	s_and_saveexec_b32 s3, vcc_lo
	s_xor_b32 s3, exec_lo, s3
; %bb.79:
	v_bfe_u32 v1, v65, 16, 1
	s_delay_alu instid0(VALU_DEP_1)
	v_add3_u32 v1, v65, v1, 0x7fff
; %bb.80:
	s_and_not1_saveexec_b32 s3, s3
; %bb.81:
	v_and_b32_e32 v1, 0xffff, v65
	v_or_b32_e32 v2, 0x10000, v65
	s_delay_alu instid0(VALU_DEP_2) | instskip(NEXT) | instid1(VALU_DEP_2)
	v_cmp_eq_u32_e32 vcc_lo, 0, v1
	v_cndmask_b32_e32 v1, v2, v65, vcc_lo
; %bb.82:
	s_or_b32 exec_lo, exec_lo, s3
	v_and_b32_e32 v2, 0x7f800000, v66
	s_delay_alu instid0(VALU_DEP_1) | instskip(SKIP_1) | instid1(SALU_CYCLE_1)
	v_cmp_ne_u32_e32 vcc_lo, 0x7f800000, v2
                                        ; implicit-def: $vgpr2
	s_and_saveexec_b32 s3, vcc_lo
	s_xor_b32 s3, exec_lo, s3
; %bb.83:
	v_bfe_u32 v2, v66, 16, 1
	s_delay_alu instid0(VALU_DEP_1)
	v_add3_u32 v2, v66, v2, 0x7fff
; %bb.84:
	s_and_not1_saveexec_b32 s3, s3
; %bb.85:
	v_and_b32_e32 v2, 0xffff, v66
	v_or_b32_e32 v3, 0x10000, v66
	s_delay_alu instid0(VALU_DEP_2) | instskip(NEXT) | instid1(VALU_DEP_2)
	v_cmp_eq_u32_e32 vcc_lo, 0, v2
	v_cndmask_b32_e32 v2, v3, v66, vcc_lo
; %bb.86:
	s_or_b32 exec_lo, exec_lo, s3
	v_and_b32_e32 v3, 0x7f800000, v67
	s_delay_alu instid0(VALU_DEP_1) | instskip(SKIP_1) | instid1(SALU_CYCLE_1)
	v_cmp_ne_u32_e32 vcc_lo, 0x7f800000, v3
                                        ; implicit-def: $vgpr3
	s_and_saveexec_b32 s3, vcc_lo
	s_xor_b32 s3, exec_lo, s3
; %bb.87:
	v_bfe_u32 v3, v67, 16, 1
	s_delay_alu instid0(VALU_DEP_1)
	v_add3_u32 v3, v67, v3, 0x7fff
; %bb.88:
	s_and_not1_saveexec_b32 s3, s3
; %bb.89:
	v_and_b32_e32 v3, 0xffff, v67
	v_or_b32_e32 v4, 0x10000, v67
	s_delay_alu instid0(VALU_DEP_2) | instskip(NEXT) | instid1(VALU_DEP_2)
	v_cmp_eq_u32_e32 vcc_lo, 0, v3
	v_cndmask_b32_e32 v3, v4, v67, vcc_lo
; %bb.90:
	s_or_b32 exec_lo, exec_lo, s3
	v_and_b32_e32 v4, 0x7f800000, v68
	s_delay_alu instid0(VALU_DEP_1) | instskip(SKIP_1) | instid1(SALU_CYCLE_1)
	v_cmp_ne_u32_e32 vcc_lo, 0x7f800000, v4
                                        ; implicit-def: $vgpr4
	s_and_saveexec_b32 s3, vcc_lo
	s_xor_b32 s3, exec_lo, s3
; %bb.91:
	v_bfe_u32 v4, v68, 16, 1
	s_delay_alu instid0(VALU_DEP_1)
	v_add3_u32 v4, v68, v4, 0x7fff
; %bb.92:
	s_and_not1_saveexec_b32 s3, s3
; %bb.93:
	v_and_b32_e32 v4, 0xffff, v68
	v_or_b32_e32 v5, 0x10000, v68
	s_delay_alu instid0(VALU_DEP_2) | instskip(NEXT) | instid1(VALU_DEP_2)
	v_cmp_eq_u32_e32 vcc_lo, 0, v4
	v_cndmask_b32_e32 v4, v5, v68, vcc_lo
; %bb.94:
	s_or_b32 exec_lo, exec_lo, s3
	v_and_b32_e32 v5, 0x7f800000, v69
	s_delay_alu instid0(VALU_DEP_1) | instskip(SKIP_1) | instid1(SALU_CYCLE_1)
	v_cmp_ne_u32_e32 vcc_lo, 0x7f800000, v5
                                        ; implicit-def: $vgpr5
	s_and_saveexec_b32 s3, vcc_lo
	s_xor_b32 s3, exec_lo, s3
; %bb.95:
	v_bfe_u32 v5, v69, 16, 1
	s_delay_alu instid0(VALU_DEP_1)
	v_add3_u32 v5, v69, v5, 0x7fff
; %bb.96:
	s_and_not1_saveexec_b32 s3, s3
; %bb.97:
	v_and_b32_e32 v5, 0xffff, v69
	v_or_b32_e32 v6, 0x10000, v69
	s_delay_alu instid0(VALU_DEP_2) | instskip(NEXT) | instid1(VALU_DEP_2)
	v_cmp_eq_u32_e32 vcc_lo, 0, v5
	v_cndmask_b32_e32 v5, v6, v69, vcc_lo
; %bb.98:
	s_or_b32 exec_lo, exec_lo, s3
	v_and_b32_e32 v6, 0x7f800000, v70
	s_delay_alu instid0(VALU_DEP_1) | instskip(SKIP_1) | instid1(SALU_CYCLE_1)
	v_cmp_ne_u32_e32 vcc_lo, 0x7f800000, v6
                                        ; implicit-def: $vgpr6
	s_and_saveexec_b32 s3, vcc_lo
	s_xor_b32 s3, exec_lo, s3
; %bb.99:
	v_bfe_u32 v6, v70, 16, 1
	s_delay_alu instid0(VALU_DEP_1)
	v_add3_u32 v6, v70, v6, 0x7fff
; %bb.100:
	s_and_not1_saveexec_b32 s3, s3
; %bb.101:
	v_and_b32_e32 v6, 0xffff, v70
	v_or_b32_e32 v7, 0x10000, v70
	s_delay_alu instid0(VALU_DEP_2) | instskip(NEXT) | instid1(VALU_DEP_2)
	v_cmp_eq_u32_e32 vcc_lo, 0, v6
	v_cndmask_b32_e32 v6, v7, v70, vcc_lo
; %bb.102:
	s_or_b32 exec_lo, exec_lo, s3
	v_and_b32_e32 v7, 0x7f800000, v71
	s_delay_alu instid0(VALU_DEP_1) | instskip(SKIP_1) | instid1(SALU_CYCLE_1)
	v_cmp_ne_u32_e32 vcc_lo, 0x7f800000, v7
                                        ; implicit-def: $vgpr7
	s_and_saveexec_b32 s3, vcc_lo
	s_xor_b32 s3, exec_lo, s3
; %bb.103:
	v_bfe_u32 v7, v71, 16, 1
	s_delay_alu instid0(VALU_DEP_1)
	v_add3_u32 v7, v71, v7, 0x7fff
; %bb.104:
	s_and_not1_saveexec_b32 s3, s3
; %bb.105:
	v_and_b32_e32 v7, 0xffff, v71
	v_or_b32_e32 v8, 0x10000, v71
	s_delay_alu instid0(VALU_DEP_2) | instskip(NEXT) | instid1(VALU_DEP_2)
	v_cmp_eq_u32_e32 vcc_lo, 0, v7
	v_cndmask_b32_e32 v7, v8, v71, vcc_lo
; %bb.106:
	s_or_b32 exec_lo, exec_lo, s3
	v_and_b32_e32 v8, 0x7f800000, v72
	s_delay_alu instid0(VALU_DEP_1) | instskip(SKIP_1) | instid1(SALU_CYCLE_1)
	v_cmp_ne_u32_e32 vcc_lo, 0x7f800000, v8
                                        ; implicit-def: $vgpr8
	s_and_saveexec_b32 s3, vcc_lo
	s_xor_b32 s3, exec_lo, s3
; %bb.107:
	v_bfe_u32 v8, v72, 16, 1
	s_delay_alu instid0(VALU_DEP_1)
	v_add3_u32 v8, v72, v8, 0x7fff
                                        ; implicit-def: $vgpr65_vgpr66_vgpr67_vgpr68_vgpr69_vgpr70_vgpr71_vgpr72
; %bb.108:
	s_and_not1_saveexec_b32 s3, s3
; %bb.109:
	v_and_b32_e32 v8, 0xffff, v72
	v_or_b32_e32 v9, 0x10000, v72
	s_delay_alu instid0(VALU_DEP_2) | instskip(NEXT) | instid1(VALU_DEP_2)
	v_cmp_eq_u32_e32 vcc_lo, 0, v8
	v_cndmask_b32_e32 v8, v9, v72, vcc_lo
; %bb.110:
	s_or_b32 exec_lo, exec_lo, s3
	s_delay_alu instid0(VALU_DEP_1)
	v_perm_b32 v7, v8, v7, 0x7060302
	v_perm_b32 v6, v6, v5, 0x7060302
	;; [unrolled: 1-line block ×4, first 2 shown]
	s_barrier
	buffer_gl0_inv
	v_cmp_eq_u32_e32 vcc_lo, 1, v78
	ds_store_b128 v76, v[4:7]
	s_waitcnt lgkmcnt(0)
	s_barrier
	buffer_gl0_inv
	ds_load_b128 v[1:4], v82
	ds_load_b128 v[5:8], v82 offset:16
	v_cmp_eq_u32_e64 s3, 1, v79
	v_cmp_eq_u32_e64 s4, 2, v78
	;; [unrolled: 1-line block ×5, first 2 shown]
	s_waitcnt lgkmcnt(1)
	v_lshrrev_b32_e32 v9, 16, v1
	s_waitcnt lgkmcnt(0)
	v_lshrrev_b32_e32 v13, 16, v5
	v_lshrrev_b32_e32 v10, 16, v2
	;; [unrolled: 1-line block ×4, first 2 shown]
	v_cndmask_b32_e64 v19, v1, v9, s3
	v_cndmask_b32_e32 v18, v5, v13, vcc_lo
	v_cndmask_b32_e64 v20, v5, v13, s3
	v_cndmask_b32_e32 v17, v1, v9, vcc_lo
	v_cmp_eq_u32_e32 vcc_lo, 2, v79
	v_lshrrev_b32_e32 v15, 16, v7
	v_cmp_eq_u32_e64 s3, 1, v77
	v_lshrrev_b32_e32 v12, 16, v4
	v_lshrrev_b32_e32 v16, 16, v8
	v_cndmask_b32_e32 v20, v20, v6, vcc_lo
	v_cndmask_b32_e64 v17, v17, v2, s4
	v_cndmask_b32_e32 v19, v19, v2, vcc_lo
	v_cndmask_b32_e64 v18, v18, v6, s4
	v_cmp_eq_u32_e32 vcc_lo, 4, v78
	v_cmp_eq_u32_e64 s4, 3, v79
	v_cndmask_b32_e64 v17, v17, v10, s5
	v_cndmask_b32_e64 v21, v1, v9, s3
	;; [unrolled: 1-line block ×5, first 2 shown]
	v_cndmask_b32_e32 v17, v17, v3, vcc_lo
	v_cndmask_b32_e64 v20, v20, v14, s4
	v_cndmask_b32_e32 v18, v18, v7, vcc_lo
	v_cmp_eq_u32_e32 vcc_lo, 4, v79
	v_cmp_eq_u32_e64 s4, 5, v79
	v_cmp_eq_u32_e64 s3, 2, v81
	v_cndmask_b32_e64 v21, v21, v2, s7
	v_cmp_eq_u32_e64 s5, 5, v78
	v_cndmask_b32_e32 v19, v19, v3, vcc_lo
	v_cndmask_b32_e32 v20, v20, v7, vcc_lo
	v_cmp_eq_u32_e32 vcc_lo, 6, v79
	s_delay_alu instid0(VALU_DEP_4) | instskip(NEXT) | instid1(VALU_DEP_4)
	v_cndmask_b32_e64 v17, v17, v11, s5
	v_cndmask_b32_e64 v19, v19, v11, s4
	s_delay_alu instid0(VALU_DEP_4) | instskip(SKIP_1) | instid1(VALU_DEP_3)
	v_cndmask_b32_e64 v20, v20, v15, s4
	v_cmp_eq_u32_e64 s4, 1, v81
	v_cndmask_b32_e32 v19, v19, v4, vcc_lo
	v_cndmask_b32_e64 v18, v18, v15, s5
	s_delay_alu instid0(VALU_DEP_3)
	v_cndmask_b32_e64 v1, v1, v9, s4
	v_cndmask_b32_e64 v5, v5, v13, s4
	v_cmp_eq_u32_e64 s4, 3, v77
	v_cndmask_b32_e64 v13, v22, v6, s7
	v_cmp_eq_u32_e64 s7, 3, v81
	v_cndmask_b32_e64 v1, v1, v2, s3
	v_cndmask_b32_e64 v2, v5, v6, s3
	v_cndmask_b32_e64 v9, v21, v10, s4
	v_cmp_eq_u32_e64 s3, 4, v77
	v_cndmask_b32_e64 v6, v13, v14, s4
	v_cndmask_b32_e64 v1, v1, v10, s7
	v_cmp_eq_u32_e64 s4, 4, v81
	v_cndmask_b32_e64 v2, v2, v14, s7
	v_cndmask_b32_e64 v5, v9, v3, s3
	;; [unrolled: 3-line block ×3, first 2 shown]
	v_cndmask_b32_e64 v2, v2, v7, s4
	v_cmp_eq_u32_e64 s3, 5, v81
	v_cmp_eq_u32_e64 s5, 6, v78
	v_cndmask_b32_e64 v5, v5, v11, s7
	v_cmp_eq_u32_e64 s4, 6, v77
	v_cndmask_b32_e64 v3, v6, v15, s7
	v_cndmask_b32_e64 v1, v1, v11, s3
	v_cmp_eq_u32_e64 s7, 6, v81
	v_cndmask_b32_e64 v2, v2, v15, s3
	v_cndmask_b32_e64 v17, v17, v4, s5
	v_cndmask_b32_e64 v18, v18, v8, s5
	v_cmp_eq_u32_e64 s5, 7, v78
	v_cndmask_b32_e64 v5, v5, v4, s4
	;; [unrolled: 4-line block ×3, first 2 shown]
	v_cmp_eq_u32_e64 s4, 7, v77
	v_cndmask_b32_e32 v4, v20, v8, vcc_lo
	v_cndmask_b32_e64 v17, v17, v12, s5
	v_cndmask_b32_e64 v19, v19, v12, s6
	;; [unrolled: 1-line block ×8, first 2 shown]
	v_cmp_gt_u32_e32 vcc_lo, 32, v0
	v_perm_b32 v4, v2, v1, 0x5040100
	v_perm_b32 v3, v3, v5, 0x5040100
	;; [unrolled: 1-line block ×4, first 2 shown]
	s_and_b32 s2, vcc_lo, s2
	ds_store_b128 v76, v[1:4]
	s_waitcnt lgkmcnt(0)
	s_barrier
	buffer_gl0_inv
	s_and_saveexec_b32 s3, s2
	s_cbranch_execz .LBB1723_2
; %bb.111:
	s_load_b64 s[0:1], s[0:1], 0x68
	v_lshlrev_b32_e32 v0, 10, v0
	s_lshl_b32 s4, s34, 6
	v_or_b32_e32 v3, s31, v74
	s_mul_i32 s2, s4, s30
	v_lshlrev_b32_e32 v1, 4, v75
	v_lshlrev_b32_e32 v2, 6, v74
	v_and_b32_e32 v0, 0x3800, v0
	s_mul_i32 s2, s2, s8
	v_mul_lo_u32 v8, v3, s4
	s_ashr_i32 s3, s2, 31
	s_delay_alu instid0(SALU_CYCLE_1)
	s_lshl_b64 s[2:3], s[2:3], 1
	v_or3_b32 v16, v0, v1, v2
	ds_load_b128 v[0:3], v16
	ds_load_b128 v[4:7], v16 offset:128
	v_ashrrev_i32_e32 v9, 31, v8
	s_waitcnt lgkmcnt(0)
	s_add_u32 s2, s0, s2
	s_addc_u32 s3, s1, s3
	s_lshl_b32 s0, s14, 6
	s_delay_alu instid0(SALU_CYCLE_1) | instskip(SKIP_2) | instid1(SALU_CYCLE_1)
	s_ashr_i32 s1, s0, 31
	v_lshlrev_b64 v[9:10], 1, v[8:9]
	s_lshl_b64 s[0:1], s[0:1], 1
	s_add_u32 s0, s2, s0
	s_addc_u32 s1, s3, s1
	s_lshl_b32 s2, s34, 7
	v_add_co_u32 v30, s0, s0, v73
	v_add_nc_u32_e32 v11, s2, v8
	v_add_co_ci_u32_e64 v31, null, s1, 0, s0
	s_delay_alu instid0(VALU_DEP_3) | instskip(NEXT) | instid1(VALU_DEP_3)
	v_add_co_u32 v9, vcc_lo, v30, v9
	v_add_nc_u32_e32 v8, s2, v11
	s_delay_alu instid0(VALU_DEP_3) | instskip(SKIP_1) | instid1(VALU_DEP_3)
	v_add_co_ci_u32_e32 v10, vcc_lo, v31, v10, vcc_lo
	v_ashrrev_i32_e32 v12, 31, v11
	v_add_nc_u32_e32 v13, s2, v8
	global_store_b128 v[9:10], v[0:3], off
	v_ashrrev_i32_e32 v9, 31, v8
	v_lshlrev_b64 v[11:12], 1, v[11:12]
	v_ashrrev_i32_e32 v14, 31, v13
	v_add_nc_u32_e32 v10, s2, v13
	s_delay_alu instid0(VALU_DEP_4) | instskip(NEXT) | instid1(VALU_DEP_4)
	v_lshlrev_b64 v[2:3], 1, v[8:9]
	v_add_co_u32 v0, vcc_lo, v30, v11
	s_delay_alu instid0(VALU_DEP_4)
	v_lshlrev_b64 v[8:9], 1, v[13:14]
	v_add_co_ci_u32_e32 v1, vcc_lo, v31, v12, vcc_lo
	v_ashrrev_i32_e32 v11, 31, v10
	v_add_co_u32 v22, vcc_lo, v30, v2
	v_add_nc_u32_e32 v20, s2, v10
	v_add_co_ci_u32_e32 v23, vcc_lo, v31, v3, vcc_lo
	v_add_co_u32 v24, vcc_lo, v30, v8
	global_store_b128 v[0:1], v[4:7], off
	v_add_co_ci_u32_e32 v25, vcc_lo, v31, v9, vcc_lo
	ds_load_b128 v[0:3], v16 offset:256
	ds_load_b128 v[4:7], v16 offset:384
	v_lshlrev_b64 v[26:27], 1, v[10:11]
	ds_load_b128 v[8:11], v16 offset:512
	ds_load_b128 v[12:15], v16 offset:640
	;; [unrolled: 1-line block ×3, first 2 shown]
	v_add_nc_u32_e32 v28, s2, v20
	v_ashrrev_i32_e32 v21, 31, v20
	v_add_co_u32 v26, vcc_lo, v30, v26
	s_delay_alu instid0(VALU_DEP_3) | instskip(NEXT) | instid1(VALU_DEP_3)
	v_ashrrev_i32_e32 v29, 31, v28
	v_lshlrev_b64 v[20:21], 1, v[20:21]
	v_add_co_ci_u32_e32 v27, vcc_lo, v31, v27, vcc_lo
	s_delay_alu instid0(VALU_DEP_3) | instskip(NEXT) | instid1(VALU_DEP_3)
	v_lshlrev_b64 v[28:29], 1, v[28:29]
	v_add_co_u32 v20, vcc_lo, v30, v20
	s_delay_alu instid0(VALU_DEP_4) | instskip(NEXT) | instid1(VALU_DEP_3)
	v_add_co_ci_u32_e32 v21, vcc_lo, v31, v21, vcc_lo
	v_add_co_u32 v28, vcc_lo, v30, v28
	s_delay_alu instid0(VALU_DEP_4)
	v_add_co_ci_u32_e32 v29, vcc_lo, v31, v29, vcc_lo
	s_waitcnt lgkmcnt(4)
	global_store_b128 v[22:23], v[0:3], off
	s_waitcnt lgkmcnt(3)
	global_store_b128 v[24:25], v[4:7], off
	;; [unrolled: 2-line block ×5, first 2 shown]
	s_nop 0
	s_sendmsg sendmsg(MSG_DEALLOC_VGPRS)
	s_endpgm
	.section	.rodata,"a",@progbits
	.p2align	6, 0x0
	.amdhsa_kernel _Z39paged_attention_ll4mi_QKV_mfma16_kernelI14__hip_bfloat16hLN4vllm18Fp8KVCacheDataTypeE1ES0_Li16ELi64ELi256ELb0ELi14EL8MFMAType0EEvPKT_PKT0_S9_ifPKiSB_SB_iPKfiiiPfSE_PS4_PT2_iSD_SD_
		.amdhsa_group_segment_fixed_size 17472
		.amdhsa_private_segment_fixed_size 0
		.amdhsa_kernarg_size 400
		.amdhsa_user_sgpr_count 13
		.amdhsa_user_sgpr_dispatch_ptr 0
		.amdhsa_user_sgpr_queue_ptr 0
		.amdhsa_user_sgpr_kernarg_segment_ptr 1
		.amdhsa_user_sgpr_dispatch_id 0
		.amdhsa_user_sgpr_private_segment_size 0
		.amdhsa_wavefront_size32 1
		.amdhsa_uses_dynamic_stack 0
		.amdhsa_enable_private_segment 0
		.amdhsa_system_sgpr_workgroup_id_x 1
		.amdhsa_system_sgpr_workgroup_id_y 1
		.amdhsa_system_sgpr_workgroup_id_z 1
		.amdhsa_system_sgpr_workgroup_info 0
		.amdhsa_system_vgpr_workitem_id 0
		.amdhsa_next_free_vgpr 124
		.amdhsa_next_free_sgpr 38
		.amdhsa_reserve_vcc 1
		.amdhsa_float_round_mode_32 0
		.amdhsa_float_round_mode_16_64 0
		.amdhsa_float_denorm_mode_32 3
		.amdhsa_float_denorm_mode_16_64 3
		.amdhsa_dx10_clamp 1
		.amdhsa_ieee_mode 1
		.amdhsa_fp16_overflow 0
		.amdhsa_workgroup_processor_mode 1
		.amdhsa_memory_ordered 1
		.amdhsa_forward_progress 0
		.amdhsa_shared_vgpr_count 0
		.amdhsa_exception_fp_ieee_invalid_op 0
		.amdhsa_exception_fp_denorm_src 0
		.amdhsa_exception_fp_ieee_div_zero 0
		.amdhsa_exception_fp_ieee_overflow 0
		.amdhsa_exception_fp_ieee_underflow 0
		.amdhsa_exception_fp_ieee_inexact 0
		.amdhsa_exception_int_div_zero 0
	.end_amdhsa_kernel
	.section	.text._Z39paged_attention_ll4mi_QKV_mfma16_kernelI14__hip_bfloat16hLN4vllm18Fp8KVCacheDataTypeE1ES0_Li16ELi64ELi256ELb0ELi14EL8MFMAType0EEvPKT_PKT0_S9_ifPKiSB_SB_iPKfiiiPfSE_PS4_PT2_iSD_SD_,"axG",@progbits,_Z39paged_attention_ll4mi_QKV_mfma16_kernelI14__hip_bfloat16hLN4vllm18Fp8KVCacheDataTypeE1ES0_Li16ELi64ELi256ELb0ELi14EL8MFMAType0EEvPKT_PKT0_S9_ifPKiSB_SB_iPKfiiiPfSE_PS4_PT2_iSD_SD_,comdat
.Lfunc_end1723:
	.size	_Z39paged_attention_ll4mi_QKV_mfma16_kernelI14__hip_bfloat16hLN4vllm18Fp8KVCacheDataTypeE1ES0_Li16ELi64ELi256ELb0ELi14EL8MFMAType0EEvPKT_PKT0_S9_ifPKiSB_SB_iPKfiiiPfSE_PS4_PT2_iSD_SD_, .Lfunc_end1723-_Z39paged_attention_ll4mi_QKV_mfma16_kernelI14__hip_bfloat16hLN4vllm18Fp8KVCacheDataTypeE1ES0_Li16ELi64ELi256ELb0ELi14EL8MFMAType0EEvPKT_PKT0_S9_ifPKiSB_SB_iPKfiiiPfSE_PS4_PT2_iSD_SD_
                                        ; -- End function
	.section	.AMDGPU.csdata,"",@progbits
; Kernel info:
; codeLenInByte = 8860
; NumSgprs: 40
; NumVgprs: 124
; ScratchSize: 0
; MemoryBound: 0
; FloatMode: 240
; IeeeMode: 1
; LDSByteSize: 17472 bytes/workgroup (compile time only)
; SGPRBlocks: 4
; VGPRBlocks: 15
; NumSGPRsForWavesPerEU: 40
; NumVGPRsForWavesPerEU: 124
; Occupancy: 10
; WaveLimiterHint : 1
; COMPUTE_PGM_RSRC2:SCRATCH_EN: 0
; COMPUTE_PGM_RSRC2:USER_SGPR: 13
; COMPUTE_PGM_RSRC2:TRAP_HANDLER: 0
; COMPUTE_PGM_RSRC2:TGID_X_EN: 1
; COMPUTE_PGM_RSRC2:TGID_Y_EN: 1
; COMPUTE_PGM_RSRC2:TGID_Z_EN: 1
; COMPUTE_PGM_RSRC2:TIDIG_COMP_CNT: 0
	.section	.text._Z39paged_attention_ll4mi_QKV_mfma16_kernelI14__hip_bfloat16hLN4vllm18Fp8KVCacheDataTypeE1ES0_Li16ELi64ELi256ELb0ELi15EL8MFMAType0EEvPKT_PKT0_S9_ifPKiSB_SB_iPKfiiiPfSE_PS4_PT2_iSD_SD_,"axG",@progbits,_Z39paged_attention_ll4mi_QKV_mfma16_kernelI14__hip_bfloat16hLN4vllm18Fp8KVCacheDataTypeE1ES0_Li16ELi64ELi256ELb0ELi15EL8MFMAType0EEvPKT_PKT0_S9_ifPKiSB_SB_iPKfiiiPfSE_PS4_PT2_iSD_SD_,comdat
	.protected	_Z39paged_attention_ll4mi_QKV_mfma16_kernelI14__hip_bfloat16hLN4vllm18Fp8KVCacheDataTypeE1ES0_Li16ELi64ELi256ELb0ELi15EL8MFMAType0EEvPKT_PKT0_S9_ifPKiSB_SB_iPKfiiiPfSE_PS4_PT2_iSD_SD_ ; -- Begin function _Z39paged_attention_ll4mi_QKV_mfma16_kernelI14__hip_bfloat16hLN4vllm18Fp8KVCacheDataTypeE1ES0_Li16ELi64ELi256ELb0ELi15EL8MFMAType0EEvPKT_PKT0_S9_ifPKiSB_SB_iPKfiiiPfSE_PS4_PT2_iSD_SD_
	.globl	_Z39paged_attention_ll4mi_QKV_mfma16_kernelI14__hip_bfloat16hLN4vllm18Fp8KVCacheDataTypeE1ES0_Li16ELi64ELi256ELb0ELi15EL8MFMAType0EEvPKT_PKT0_S9_ifPKiSB_SB_iPKfiiiPfSE_PS4_PT2_iSD_SD_
	.p2align	8
	.type	_Z39paged_attention_ll4mi_QKV_mfma16_kernelI14__hip_bfloat16hLN4vllm18Fp8KVCacheDataTypeE1ES0_Li16ELi64ELi256ELb0ELi15EL8MFMAType0EEvPKT_PKT0_S9_ifPKiSB_SB_iPKfiiiPfSE_PS4_PT2_iSD_SD_,@function
_Z39paged_attention_ll4mi_QKV_mfma16_kernelI14__hip_bfloat16hLN4vllm18Fp8KVCacheDataTypeE1ES0_Li16ELi64ELi256ELb0ELi15EL8MFMAType0EEvPKT_PKT0_S9_ifPKiSB_SB_iPKfiiiPfSE_PS4_PT2_iSD_SD_: ; @_Z39paged_attention_ll4mi_QKV_mfma16_kernelI14__hip_bfloat16hLN4vllm18Fp8KVCacheDataTypeE1ES0_Li16ELi64ELi256ELb0ELi15EL8MFMAType0EEvPKT_PKT0_S9_ifPKiSB_SB_iPKfiiiPfSE_PS4_PT2_iSD_SD_
; %bb.0:
	s_load_b64 s[2:3], s[0:1], 0x30
	s_mov_b32 s34, s13
	s_waitcnt lgkmcnt(0)
	s_cmp_lg_u64 s[2:3], 0
	s_cselect_b32 s8, -1, 0
	s_ashr_i32 s35, s13, 31
	s_cmp_eq_u64 s[2:3], 0
	s_cbranch_scc1 .LBB1724_3
; %bb.1:
	s_lshl_b64 s[4:5], s[34:35], 2
	s_delay_alu instid0(SALU_CYCLE_1) | instskip(SKIP_4) | instid1(SALU_CYCLE_1)
	s_add_u32 s4, s2, s4
	s_addc_u32 s5, s3, s5
	s_load_b64 s[4:5], s[4:5], 0x0
	s_waitcnt lgkmcnt(0)
	s_sub_i32 s4, s5, s4
	s_cmp_eq_u32 s4, 1
	s_cselect_b32 s4, -1, 0
	s_delay_alu instid0(SALU_CYCLE_1)
	s_and_not1_b32 vcc_lo, exec_lo, s4
	s_cbranch_vccz .LBB1724_4
.LBB1724_2:
	s_nop 0
	s_sendmsg sendmsg(MSG_DEALLOC_VGPRS)
	s_endpgm
.LBB1724_3:
.LBB1724_4:
	s_load_b64 s[4:5], s[0:1], 0x28
	s_lshl_b64 s[6:7], s[34:35], 2
	s_waitcnt lgkmcnt(0)
	s_add_u32 s4, s4, s6
	s_addc_u32 s5, s5, s7
	s_lshl_b32 s12, s14, 8
	s_load_b32 s24, s[4:5], 0x0
	s_waitcnt lgkmcnt(0)
	s_cmp_ge_i32 s12, s24
	s_cbranch_scc1 .LBB1724_2
; %bb.5:
	s_clause 0x1
	s_load_b128 s[20:23], s[0:1], 0x8
	s_load_b64 s[4:5], s[0:1], 0x20
	s_and_not1_b32 vcc_lo, exec_lo, s8
	s_cbranch_vccnz .LBB1724_7
; %bb.6:
	s_add_u32 s2, s2, s6
	s_addc_u32 s3, s3, s7
	s_load_b32 s3, s[2:3], 0x0
	s_branch .LBB1724_8
.LBB1724_7:
	s_mov_b32 s3, s34
.LBB1724_8:
	s_load_b128 s[16:19], s[0:1], 0x48
	v_lshrrev_b32_e32 v66, 5, v0
	v_bfe_u32 v74, v0, 4, 1
	v_and_b32_e32 v65, 15, v0
	v_and_b32_e32 v67, 31, v0
	;; [unrolled: 1-line block ×3, first 2 shown]
	s_mul_i32 s31, s15, 15
	v_lshl_or_b32 v1, v66, 1, v74
	v_lshlrev_b32_e32 v2, 3, v65
	v_cmp_gt_u32_e64 s2, 8, v65
	s_delay_alu instid0(VALU_DEP_3) | instskip(NEXT) | instid1(VALU_DEP_3)
	v_cmp_gt_u32_e32 vcc_lo, 15, v1
	v_lshlrev_b32_e32 v73, 1, v2
	s_delay_alu instid0(VALU_DEP_3) | instskip(NEXT) | instid1(SALU_CYCLE_1)
	s_and_b32 s7, s2, vcc_lo
	s_and_saveexec_b32 s6, s7
	s_cbranch_execz .LBB1724_10
; %bb.9:
	s_load_b64 s[8:9], s[0:1], 0x0
	v_add_lshl_u32 v2, v1, s31, 6
	s_waitcnt lgkmcnt(0)
	s_mul_hi_i32 s11, s3, s16
	s_mul_i32 s10, s3, s16
	v_lshlrev_b32_e32 v6, 10, v65
	s_lshl_b64 s[10:11], s[10:11], 1
	v_ashrrev_i32_e32 v3, 31, v2
	v_lshlrev_b32_e32 v1, 6, v1
	v_lshlrev_b32_e32 v7, 10, v75
	v_and_b32_e32 v6, 0x3800, v6
	s_delay_alu instid0(VALU_DEP_4) | instskip(NEXT) | instid1(VALU_DEP_2)
	v_lshlrev_b64 v[2:3], 1, v[2:3]
	v_or3_b32 v1, v6, v7, v1
	s_add_u32 s3, s8, s10
	s_addc_u32 s7, s9, s11
	s_delay_alu instid0(VALU_DEP_2) | instskip(NEXT) | instid1(VALU_DEP_3)
	v_add_co_u32 v2, vcc_lo, s3, v2
	v_add_co_ci_u32_e32 v3, vcc_lo, s7, v3, vcc_lo
	s_delay_alu instid0(VALU_DEP_2) | instskip(NEXT) | instid1(VALU_DEP_2)
	v_add_co_u32 v2, vcc_lo, v2, v73
	v_add_co_ci_u32_e32 v3, vcc_lo, 0, v3, vcc_lo
	global_load_b128 v[2:5], v[2:3], off
	s_waitcnt vmcnt(0)
	ds_store_b128 v1, v[2:5]
.LBB1724_10:
	s_or_b32 exec_lo, exec_lo, s6
	v_and_b32_e32 v1, 0xef, v0
	s_waitcnt lgkmcnt(0)
	s_add_i32 s3, s24, 15
	s_clause 0x1
	s_load_b32 s6, s[0:1], 0x38
	s_load_b32 s19, s[0:1], 0x1c
	s_ashr_i32 s7, s3, 31
	v_add_nc_u32_e32 v1, s12, v1
	s_lshr_b32 s7, s7, 28
	s_waitcnt lgkmcnt(0)
	s_add_i32 s3, s3, s7
	s_barrier
	v_ashrrev_i32_e32 v2, 31, v1
	v_or_b32_e32 v3, 16, v1
	s_ashr_i32 s3, s3, 4
	v_cmp_gt_i32_e32 vcc_lo, s24, v1
	s_add_i32 s3, s3, -1
	v_lshrrev_b32_e32 v2, 28, v2
	buffer_gl0_inv
	s_mul_i32 s27, s15, s18
	v_add_nc_u32_e32 v4, v1, v2
	s_mul_i32 s6, s34, s6
	s_delay_alu instid0(SALU_CYCLE_1) | instskip(NEXT) | instid1(VALU_DEP_1)
	s_ashr_i32 s7, s6, 31
	v_ashrrev_i32_e32 v4, 4, v4
	v_add_nc_u32_e32 v2, v3, v2
	s_lshl_b64 s[6:7], s[6:7], 2
	s_delay_alu instid0(SALU_CYCLE_1) | instskip(NEXT) | instid1(VALU_DEP_2)
	s_add_u32 s26, s4, s6
	v_cndmask_b32_e32 v1, s3, v4, vcc_lo
	s_delay_alu instid0(VALU_DEP_2)
	v_ashrrev_i32_e32 v2, 4, v2
	v_cmp_gt_i32_e32 vcc_lo, s24, v3
	s_addc_u32 s25, s5, s7
	s_ashr_i32 s28, s27, 31
	s_add_u32 s13, s20, s27
	s_addc_u32 s15, s21, s28
	v_cndmask_b32_e32 v3, s3, v2, vcc_lo
	v_ashrrev_i32_e32 v2, 31, v1
	s_lshl_b32 s4, s14, 4
	s_delay_alu instid0(SALU_CYCLE_1) | instskip(NEXT) | instid1(VALU_DEP_2)
	s_ashr_i32 s5, s4, 31
	v_ashrrev_i32_e32 v4, 31, v3
	s_delay_alu instid0(VALU_DEP_2) | instskip(SKIP_1) | instid1(SALU_CYCLE_1)
	v_lshlrev_b64 v[1:2], 2, v[1:2]
	s_lshl_b64 s[4:5], s[4:5], 2
	s_add_u32 s4, s26, s4
	s_delay_alu instid0(VALU_DEP_2) | instskip(SKIP_1) | instid1(VALU_DEP_2)
	v_lshlrev_b64 v[3:4], 2, v[3:4]
	s_addc_u32 s5, s25, s5
	v_add_co_u32 v1, vcc_lo, s26, v1
	v_add_co_ci_u32_e32 v2, vcc_lo, s25, v2, vcc_lo
	s_delay_alu instid0(VALU_DEP_3) | instskip(NEXT) | instid1(VALU_DEP_4)
	v_add_co_u32 v3, vcc_lo, s26, v3
	v_add_co_ci_u32_e32 v4, vcc_lo, s25, v4, vcc_lo
	s_clause 0x1
	global_load_b32 v5, v[1:2], off
	global_load_b32 v7, v[3:4], off
	s_or_b32 s6, s12, 32
	v_lshlrev_b32_e32 v1, 4, v0
	s_ashr_i32 s7, s6, 4
	s_cmp_lt_i32 s6, s24
	v_cmp_ne_u32_e32 vcc_lo, 15, v65
	s_cselect_b32 s6, s7, s3
	v_and_b32_e32 v1, 0xf0, v1
	s_ashr_i32 s7, s6, 31
	s_delay_alu instid0(SALU_CYCLE_1) | instskip(NEXT) | instid1(SALU_CYCLE_1)
	s_lshl_b64 s[6:7], s[6:7], 2
	s_add_u32 s6, s26, s6
	s_addc_u32 s7, s25, s7
	s_or_b32 s8, s12, 64
	v_add_co_u32 v1, s13, s13, v1
	s_ashr_i32 s9, s8, 4
	s_cmp_lt_i32 s8, s24
	v_add_co_ci_u32_e64 v2, null, s15, 0, s13
	s_cselect_b32 s8, s9, s3
	s_delay_alu instid0(SALU_CYCLE_1) | instskip(NEXT) | instid1(SALU_CYCLE_1)
	s_ashr_i32 s9, s8, 31
	s_lshl_b64 s[8:9], s[8:9], 2
	s_delay_alu instid0(SALU_CYCLE_1) | instskip(SKIP_2) | instid1(SALU_CYCLE_1)
	s_add_u32 s8, s26, s8
	s_addc_u32 s9, s25, s9
	s_or_b32 s10, s12, 0x60
	s_ashr_i32 s11, s10, 4
	s_cmp_lt_i32 s10, s24
	s_cselect_b32 s10, s11, s3
	s_delay_alu instid0(SALU_CYCLE_1) | instskip(NEXT) | instid1(SALU_CYCLE_1)
	s_ashr_i32 s11, s10, 31
	s_lshl_b64 s[10:11], s[10:11], 2
	s_delay_alu instid0(SALU_CYCLE_1) | instskip(SKIP_2) | instid1(SALU_CYCLE_1)
	s_add_u32 s10, s26, s10
	s_addc_u32 s11, s25, s11
	s_or_b32 s16, s12, 0x80
	s_ashr_i32 s18, s16, 4
	s_cmp_lt_i32 s16, s24
	;; [unrolled: 10-line block ×3, first 2 shown]
	s_cselect_b32 s20, s18, s3
	s_delay_alu instid0(SALU_CYCLE_1) | instskip(NEXT) | instid1(SALU_CYCLE_1)
	s_ashr_i32 s21, s20, 31
	s_lshl_b64 s[20:21], s[20:21], 2
	s_delay_alu instid0(SALU_CYCLE_1)
	s_add_u32 s38, s26, s20
	s_addc_u32 s39, s25, s21
	s_clause 0x5
	s_load_b32 s21, s[4:5], 0x0
	s_load_b32 s13, s[6:7], 0x0
	;; [unrolled: 1-line block ×6, first 2 shown]
	s_or_b32 s7, s12, 0xc0
	s_mov_b32 s4, 0
	s_ashr_i32 s8, s7, 4
	s_cmp_lt_i32 s7, s24
	s_mov_b32 s5, s4
	s_cselect_b32 s10, s8, s3
	s_mov_b32 s6, s4
	s_ashr_i32 s11, s10, 31
	s_mov_b32 s7, s4
	s_lshl_b64 s[36:37], s[10:11], 2
	s_mov_b32 s11, s4
	s_add_u32 s36, s26, s36
	s_addc_u32 s37, s25, s37
	s_or_b32 s29, s12, 0xe0
	s_mov_b32 s8, s4
	s_ashr_i32 s30, s29, 4
	s_mov_b32 s9, s4
	s_mov_b32 s10, s4
	s_cmp_lt_i32 s29, s24
	s_waitcnt vmcnt(1)
	v_mad_i64_i32 v[3:4], null, v5, s17, v[1:2]
	s_waitcnt vmcnt(0)
	v_mad_i64_i32 v[5:6], null, v7, s17, v[1:2]
	v_cndmask_b32_e32 v1, 0, v65, vcc_lo
	v_mov_b32_e32 v107, s11
	s_clause 0x7
	global_load_b128 v[49:52], v[3:4], off
	global_load_b128 v[53:56], v[3:4], off offset:256
	global_load_b128 v[76:79], v[5:6], off
	global_load_b128 v[80:83], v[5:6], off offset:256
	global_load_b128 v[84:87], v[3:4], off offset:512
	;; [unrolled: 1-line block ×5, first 2 shown]
	v_lshlrev_b32_e32 v70, 6, v1
	v_dual_mov_b32 v106, s10 :: v_dual_mov_b32 v105, s9
	v_dual_mov_b32 v104, s8 :: v_dual_mov_b32 v103, s7
	;; [unrolled: 1-line block ×3, first 2 shown]
	v_mov_b32_e32 v100, s4
	s_cselect_b32 s4, s30, s3
	v_lshlrev_b32_e32 v2, 4, v65
	s_ashr_i32 s5, s4, 31
	s_load_b32 s3, s[36:37], 0x0
	s_lshl_b64 s[4:5], s[4:5], 2
	ds_load_b128 v[108:111], v70
	ds_load_b128 v[112:115], v70 offset:1024
	s_add_u32 s4, s26, s4
	s_addc_u32 s5, s25, s5
	v_lshl_or_b32 v1, v66, 8, v2
	s_load_b32 s4, s[4:5], 0x0
	s_add_u32 s6, s22, s27
	s_addc_u32 s7, s23, s28
	s_delay_alu instid0(VALU_DEP_1) | instskip(NEXT) | instid1(VALU_DEP_1)
	v_add_co_u32 v9, s6, s6, v1
	v_add_co_ci_u32_e64 v10, null, s7, 0, s6
	s_waitcnt lgkmcnt(0)
	s_delay_alu instid0(VALU_DEP_1)
	v_mad_i64_i32 v[1:2], null, s21, s17, v[9:10]
	v_mad_i64_i32 v[3:4], null, s13, s17, v[9:10]
	;; [unrolled: 1-line block ×7, first 2 shown]
	s_clause 0x9
	global_load_b128 v[57:60], v[1:2], off
	global_load_b128 v[61:64], v[1:2], off offset:16
	global_load_b128 v[41:44], v[3:4], off
	global_load_b128 v[45:48], v[3:4], off offset:16
	;; [unrolled: 2-line block ×5, first 2 shown]
	v_mad_i64_i32 v[68:69], null, s4, s17, v[9:10]
	s_clause 0x3
	global_load_b128 v[9:12], v[13:14], off
	global_load_b128 v[13:16], v[13:14], off offset:16
	global_load_b128 v[17:20], v[21:22], off
	global_load_b128 v[21:24], v[21:22], off offset:16
	s_waitcnt vmcnt(20)
	v_wmma_f32_16x16x16_bf16 v[116:123], v[49:56], v[108:115], v[100:107]
	s_clause 0x1
	global_load_b128 v[49:52], v[68:69], off
	global_load_b128 v[53:56], v[68:69], off offset:16
	v_and_b32_e32 v68, 0xe0, v0
	v_mbcnt_lo_u32_b32 v69, -1, 0
	s_delay_alu instid0(VALU_DEP_2)
	v_add_nc_u32_e32 v68, s12, v68
	s_waitcnt vmcnt(20)
	v_wmma_f32_16x16x16_bf16 v[100:107], v[76:83], v[108:115], v[100:107]
	ds_load_b128 v[76:79], v70 offset:2048
	ds_load_b128 v[80:83], v70 offset:3072
	v_xor_b32_e32 v70, 16, v69
	s_waitcnt vmcnt(0) lgkmcnt(0)
	v_or_b32_e32 v68, v68, v74
	s_barrier
	buffer_gl0_inv
	v_cmp_gt_i32_e32 vcc_lo, 32, v70
	v_or_b32_e32 v71, 4, v68
	v_or_b32_e32 v72, 6, v68
	v_cmp_gt_i32_e64 s3, s24, v68
	v_or_b32_e32 v108, 8, v68
	v_or_b32_e32 v109, 10, v68
	v_cmp_gt_i32_e64 s4, s24, v71
	v_cmp_gt_i32_e64 s5, s24, v72
	s_delay_alu instid0(VALU_DEP_4) | instskip(NEXT) | instid1(VALU_DEP_4)
	v_cmp_gt_i32_e64 s6, s24, v108
	v_cmp_gt_i32_e64 s7, s24, v109
	v_wmma_f32_16x16x16_bf16 v[116:123], v[84:91], v[76:83], v[116:123]
	v_cndmask_b32_e32 v69, v69, v70, vcc_lo
	v_or_b32_e32 v70, 2, v68
	v_wmma_f32_16x16x16_bf16 v[100:107], v[92:99], v[76:83], v[100:107]
	v_or_b32_e32 v89, 22, v68
	v_dual_mul_f32 v80, s19, v121 :: v_dual_mul_f32 v81, s19, v120
	v_dual_mul_f32 v92, s19, v117 :: v_dual_mul_f32 v93, s19, v116
	s_delay_alu instid0(VALU_DEP_4)
	v_mul_f32_e32 v96, s19, v105
	v_cmp_gt_i32_e32 vcc_lo, s24, v70
	v_dual_mul_f32 v79, s19, v122 :: v_dual_mul_f32 v82, s19, v119
	v_dual_mul_f32 v83, s19, v118 :: v_dual_mul_f32 v94, s19, v107
	v_cndmask_b32_e64 v93, 0xff7fffff, v93, s3
	v_cndmask_b32_e32 v92, 0xff7fffff, v92, vcc_lo
	v_or_b32_e32 v84, 12, v68
	v_or_b32_e32 v85, 14, v68
	v_cndmask_b32_e64 v71, 0xff7fffff, v83, s4
	v_cndmask_b32_e64 v72, 0xff7fffff, v82, s5
	v_cmp_gt_i32_e64 s13, s24, v89
	v_lshlrev_b32_e32 v89, 2, v69
	v_max3_f32 v82, v93, 0xff7fffff, v92
	v_or_b32_e32 v86, 16, v68
	v_or_b32_e32 v87, 18, v68
	v_mul_f32_e32 v78, s19, v123
	v_cndmask_b32_e64 v81, 0xff7fffff, v81, s6
	v_cndmask_b32_e64 v80, 0xff7fffff, v80, s7
	v_max3_f32 v71, v82, v71, v72
	v_cmp_gt_i32_e64 s8, s24, v84
	v_cmp_gt_i32_e64 s9, s24, v85
	v_or_b32_e32 v88, 20, v68
	v_or_b32_e32 v90, 24, v68
	;; [unrolled: 1-line block ×5, first 2 shown]
	v_dual_mul_f32 v97, s19, v104 :: v_dual_mul_f32 v70, s19, v101
	v_dual_mul_f32 v99, s19, v102 :: v_dual_mul_f32 v68, s19, v100
	v_cndmask_b32_e64 v72, 0xff7fffff, v79, s8
	v_cndmask_b32_e64 v78, 0xff7fffff, v78, s9
	v_max3_f32 v71, v71, v81, v80
	v_cmp_gt_i32_e64 s10, s24, v86
	v_cmp_gt_i32_e64 s11, s24, v87
	v_dual_mul_f32 v95, s19, v106 :: v_dual_mul_f32 v98, s19, v103
	s_delay_alu instid0(VALU_DEP_4) | instskip(NEXT) | instid1(VALU_DEP_4)
	v_max3_f32 v71, v71, v72, v78
	v_cndmask_b32_e64 v68, 0xff7fffff, v68, s10
	s_delay_alu instid0(VALU_DEP_4)
	v_cndmask_b32_e64 v70, 0xff7fffff, v70, s11
	v_cmp_gt_i32_e64 s12, s24, v88
	v_cndmask_b32_e64 v78, 0xff7fffff, v98, s13
	v_cmp_gt_i32_e64 s15, s24, v90
	v_cmp_gt_i32_e64 s16, s24, v91
	v_max3_f32 v68, v71, v68, v70
	v_cndmask_b32_e64 v72, 0xff7fffff, v99, s12
	v_cmp_gt_i32_e64 s17, s24, v76
	v_cndmask_b32_e64 v70, 0xff7fffff, v97, s15
	v_cndmask_b32_e64 v71, 0xff7fffff, v96, s16
	v_cmp_gt_i32_e64 s18, s24, v77
	v_max3_f32 v68, v68, v72, v78
	v_cndmask_b32_e64 v72, 0xff7fffff, v95, s17
	s_delay_alu instid0(VALU_DEP_3) | instskip(NEXT) | instid1(VALU_DEP_3)
	v_cndmask_b32_e64 v76, 0xff7fffff, v94, s18
	v_max3_f32 v68, v68, v70, v71
	s_delay_alu instid0(VALU_DEP_1) | instskip(SKIP_3) | instid1(VALU_DEP_1)
	v_max3_f32 v68, v68, v72, v76
	ds_bpermute_b32 v69, v89, v68
	s_waitcnt lgkmcnt(0)
	v_max_f32_e32 v69, v69, v69
	v_max_f32_e32 v68, v68, v69
	s_delay_alu instid0(VALU_DEP_1) | instskip(NEXT) | instid1(VALU_DEP_1)
	v_fma_f32 v71, s19, v118, -v68
	v_mul_f32_e32 v71, 0x3fb8aa3b, v71
	v_fma_f32 v70, s19, v117, -v68
	v_fma_f32 v69, s19, v116, -v68
	;; [unrolled: 1-line block ×5, first 2 shown]
	s_delay_alu instid0(VALU_DEP_4) | instskip(SKIP_1) | instid1(VALU_DEP_3)
	v_dual_mul_f32 v70, 0x3fb8aa3b, v70 :: v_dual_mul_f32 v69, 0x3fb8aa3b, v69
	v_exp_f32_e32 v71, v71
	v_mul_f32_e32 v72, 0x3fb8aa3b, v72
	v_fma_f32 v81, s19, v105, -v68
	s_delay_alu instid0(VALU_DEP_3)
	v_exp_f32_e32 v70, v70
	v_mul_f32_e32 v77, 0x3fb8aa3b, v76
	v_exp_f32_e32 v69, v69
	v_exp_f32_e32 v72, v72
	v_mul_f32_e32 v81, 0x3fb8aa3b, v81
	v_cndmask_b32_e64 v83, 0, v71, s4
	v_fma_f32 v71, s19, v123, -v68
	s_delay_alu instid0(VALU_DEP_3) | instskip(SKIP_4) | instid1(TRANS32_DEP_3)
	v_exp_f32_e32 v81, v81
	v_cndmask_b32_e32 v76, 0, v70, vcc_lo
	v_exp_f32_e32 v77, v77
	v_cndmask_b32_e64 v80, 0, v69, s3
	v_fma_f32 v69, s19, v121, -v68
	v_cndmask_b32_e64 v85, 0, v72, s5
	v_mul_f32_e32 v71, 0x3fb8aa3b, v71
	v_fma_f32 v72, s19, v100, -v68
	s_delay_alu instid0(VALU_DEP_4) | instskip(SKIP_1) | instid1(VALU_DEP_4)
	v_dual_add_f32 v70, 0, v80 :: v_dual_mul_f32 v69, 0x3fb8aa3b, v69
	v_cmp_gt_u32_e64 s3, 16, v67
	v_exp_f32_e32 v71, v71
	s_delay_alu instid0(TRANS32_DEP_2) | instskip(SKIP_4) | instid1(VALU_DEP_3)
	v_cndmask_b32_e64 v86, 0, v77, s6
	v_fma_f32 v77, s19, v101, -v68
	v_mul_f32_e32 v78, 0x3fb8aa3b, v78
	v_add_f32_e32 v70, v70, v76
	v_exp_f32_e32 v69, v69
	v_mul_f32_e32 v77, 0x3fb8aa3b, v77
	s_delay_alu instid0(VALU_DEP_3) | instskip(NEXT) | instid1(TRANS32_DEP_3)
	v_exp_f32_e32 v78, v78
	v_cndmask_b32_e64 v88, 0, v71, s9
	v_fma_f32 v71, s19, v104, -v68
	s_delay_alu instid0(VALU_DEP_3) | instskip(NEXT) | instid1(TRANS32_DEP_3)
	v_exp_f32_e32 v77, v77
	v_cndmask_b32_e64 v87, 0, v69, s7
	s_delay_alu instid0(VALU_DEP_2)
	v_mul_f32_e32 v71, 0x3fb8aa3b, v71
	s_waitcnt_depctr 0xfff
	v_cndmask_b32_e64 v84, 0, v78, s8
	v_add_f32_e32 v70, v70, v83
	v_fma_f32 v78, s19, v103, -v68
	v_exp_f32_e32 v82, v71
	s_delay_alu instid0(VALU_DEP_2) | instskip(SKIP_1) | instid1(VALU_DEP_3)
	v_add_f32_e32 v70, v70, v85
	v_mul_f32_e32 v72, 0x3fb8aa3b, v72
	v_mul_f32_e32 v78, 0x3fb8aa3b, v78
	s_delay_alu instid0(VALU_DEP_3) | instskip(SKIP_1) | instid1(VALU_DEP_4)
	v_add_f32_e32 v69, v70, v86
	v_fma_f32 v70, s19, v102, -v68
	v_exp_f32_e32 v72, v72
	s_delay_alu instid0(VALU_DEP_3) | instskip(NEXT) | instid1(VALU_DEP_1)
	v_exp_f32_e32 v78, v78
	v_dual_add_f32 v69, v69, v87 :: v_dual_mul_f32 v70, 0x3fb8aa3b, v70
	s_delay_alu instid0(VALU_DEP_1) | instskip(NEXT) | instid1(VALU_DEP_2)
	v_add_f32_e32 v69, v69, v84
	v_exp_f32_e32 v79, v70
	s_delay_alu instid0(TRANS32_DEP_3) | instskip(NEXT) | instid1(VALU_DEP_2)
	v_cndmask_b32_e64 v70, 0, v72, s10
	v_add_f32_e32 v72, v69, v88
	v_cndmask_b32_e64 v69, 0, v77, s11
	v_fma_f32 v77, s19, v106, -v68
	s_waitcnt_depctr 0xfff
	v_cndmask_b32_e64 v71, 0, v79, s12
	v_dual_mul_f32 v77, 0x3fb8aa3b, v77 :: v_dual_add_f32 v72, v72, v70
	s_delay_alu instid0(VALU_DEP_1) | instskip(NEXT) | instid1(VALU_DEP_1)
	v_exp_f32_e32 v90, v77
	v_add_f32_e32 v79, v72, v69
	v_cndmask_b32_e64 v72, 0, v78, s13
	v_cndmask_b32_e64 v77, 0, v82, s15
	s_delay_alu instid0(VALU_DEP_3) | instskip(SKIP_1) | instid1(VALU_DEP_1)
	v_add_f32_e32 v78, v79, v71
	v_fma_f32 v79, s19, v107, -v68
	v_dual_add_f32 v82, v78, v72 :: v_dual_mul_f32 v79, 0x3fb8aa3b, v79
	v_cndmask_b32_e64 v78, 0, v81, s16
	s_delay_alu instid0(VALU_DEP_2) | instskip(NEXT) | instid1(VALU_DEP_3)
	v_add_f32_e32 v81, v82, v77
	v_exp_f32_e32 v82, v79
	v_cndmask_b32_e64 v79, 0, v90, s17
	s_delay_alu instid0(VALU_DEP_2) | instskip(NEXT) | instid1(VALU_DEP_1)
	v_add_f32_e32 v81, v81, v78
	v_add_f32_e32 v90, v81, v79
	s_waitcnt_depctr 0xfff
	v_cndmask_b32_e64 v81, 0, v82, s18
	s_delay_alu instid0(VALU_DEP_1)
	v_add_f32_e32 v82, v90, v81
	ds_bpermute_b32 v89, v89, v82
	s_and_saveexec_b32 s4, s3
	s_cbranch_execz .LBB1724_12
; %bb.11:
	v_mul_u32_u24_e32 v67, 0x44, v66
	s_delay_alu instid0(VALU_DEP_1) | instskip(SKIP_1) | instid1(VALU_DEP_1)
	v_lshl_add_u32 v67, v65, 2, v67
	s_waitcnt lgkmcnt(0)
	v_dual_add_f32 v82, v82, v89 :: v_dual_add_nc_u32 v67, 0x4000, v67
	ds_store_2addr_b32 v67, v68, v82 offset1:136
.LBB1724_12:
	s_or_b32 exec_lo, exec_lo, s4
	v_lshlrev_b32_e32 v67, 2, v65
	s_waitcnt lgkmcnt(0)
	s_barrier
	buffer_gl0_inv
	v_cmp_eq_u32_e32 vcc_lo, 1, v66
	v_add_nc_u32_e32 v82, 0x4000, v67
	v_cmp_eq_u32_e64 s4, 2, v66
	v_cmp_eq_u32_e64 s6, 7, v66
	ds_load_2addr_b32 v[89:90], v82 offset1:17
	ds_load_2addr_b32 v[91:92], v82 offset0:34 offset1:51
	ds_load_2addr_b32 v[93:94], v82 offset0:68 offset1:85
	;; [unrolled: 1-line block ×4, first 2 shown]
	s_waitcnt lgkmcnt(4)
	v_max3_f32 v67, v89, 0xff7fffff, v90
	s_waitcnt lgkmcnt(3)
	s_delay_alu instid0(VALU_DEP_1) | instskip(SKIP_1) | instid1(VALU_DEP_1)
	v_max3_f32 v67, v67, v91, v92
	s_waitcnt lgkmcnt(2)
	v_max3_f32 v67, v67, v93, v94
	s_waitcnt lgkmcnt(1)
	s_delay_alu instid0(VALU_DEP_1) | instskip(NEXT) | instid1(VALU_DEP_1)
	v_max3_f32 v67, v67, v95, v96
	v_sub_f32_e32 v93, v93, v67
	s_delay_alu instid0(VALU_DEP_1) | instskip(NEXT) | instid1(VALU_DEP_1)
	v_dual_sub_f32 v68, v89, v67 :: v_dual_mul_f32 v103, 0x3fb8aa3b, v93
	v_mul_f32_e32 v68, 0x3fb8aa3b, v68
	s_delay_alu instid0(VALU_DEP_1)
	v_exp_f32_e32 v100, v68
	v_sub_f32_e32 v68, v92, v67
	v_sub_f32_e32 v99, v90, v67
	ds_load_2addr_b32 v[89:90], v82 offset0:170 offset1:187
	v_dual_mul_f32 v102, 0x3fb8aa3b, v68 :: v_dual_mul_f32 v99, 0x3fb8aa3b, v99
	s_waitcnt lgkmcnt(1)
	v_fma_f32 v68, v100, v97, 0
	s_delay_alu instid0(VALU_DEP_2) | instskip(NEXT) | instid1(VALU_DEP_2)
	v_exp_f32_e32 v102, v102
	v_exp_f32_e32 v99, v99
	s_waitcnt_depctr 0xfff
	v_fmac_f32_e32 v68, v99, v98
	v_sub_f32_e32 v91, v91, v67
	s_delay_alu instid0(VALU_DEP_1)
	v_mul_f32_e32 v101, 0x3fb8aa3b, v91
	ds_load_2addr_b32 v[91:92], v82 offset0:204 offset1:221
	v_sub_f32_e32 v97, v94, v67
	ds_load_2addr_b32 v[93:94], v82 offset0:238 offset1:255
	s_waitcnt lgkmcnt(0)
	v_exp_f32_e32 v101, v101
	s_barrier
	buffer_gl0_inv
	v_dual_fmac_f32 v68, v101, v89 :: v_dual_sub_f32 v89, v96, v67
	v_dual_sub_f32 v82, v95, v67 :: v_dual_mul_f32 v95, 0x3fb8aa3b, v97
	v_exp_f32_e32 v97, v103
	s_delay_alu instid0(VALU_DEP_2) | instskip(NEXT) | instid1(VALU_DEP_2)
	v_dual_fmac_f32 v68, v102, v90 :: v_dual_mul_f32 v89, 0x3fb8aa3b, v89
	v_mul_f32_e32 v82, 0x3fb8aa3b, v82
	s_delay_alu instid0(VALU_DEP_3) | instskip(NEXT) | instid1(VALU_DEP_2)
	v_exp_f32_e32 v95, v95
	v_exp_f32_e32 v89, v89
	s_delay_alu instid0(VALU_DEP_1)
	v_exp_f32_e32 v82, v82
	v_fmac_f32_e32 v68, v97, v91
	s_delay_alu instid0(TRANS32_DEP_3) | instid1(VALU_DEP_1)
	v_fmac_f32_e32 v68, v95, v92
	s_waitcnt_depctr 0xfff
	v_fmac_f32_e32 v68, v82, v93
	s_delay_alu instid0(VALU_DEP_1) | instskip(NEXT) | instid1(VALU_DEP_1)
	v_fmac_f32_e32 v68, v89, v94
	v_add_f32_e32 v90, 0x358637bd, v68
	s_delay_alu instid0(VALU_DEP_1) | instskip(NEXT) | instid1(VALU_DEP_1)
	v_div_scale_f32 v91, null, v90, v90, 1.0
	v_rcp_f32_e32 v92, v91
	s_waitcnt_depctr 0xfff
	v_fma_f32 v93, -v91, v92, 1.0
	s_delay_alu instid0(VALU_DEP_1) | instskip(SKIP_1) | instid1(VALU_DEP_2)
	v_dual_fmac_f32 v92, v93, v92 :: v_dual_cndmask_b32 v93, v100, v99
	v_cmp_eq_u32_e32 vcc_lo, 3, v66
	v_cndmask_b32_e64 v93, v93, v101, s4
	v_cmp_eq_u32_e64 s4, 4, v66
	s_delay_alu instid0(VALU_DEP_2) | instskip(SKIP_1) | instid1(VALU_DEP_2)
	v_cndmask_b32_e32 v93, v93, v102, vcc_lo
	v_cmp_eq_u32_e32 vcc_lo, 5, v66
	v_cndmask_b32_e64 v93, v93, v97, s4
	v_cmp_eq_u32_e64 s4, 6, v66
	s_delay_alu instid0(VALU_DEP_2) | instskip(SKIP_1) | instid1(VALU_DEP_1)
	v_cndmask_b32_e32 v93, v93, v95, vcc_lo
	v_div_scale_f32 v94, s5, 1.0, v90, 1.0
	s_mov_b32 vcc_lo, s5
	s_delay_alu instid0(VALU_DEP_2) | instskip(NEXT) | instid1(VALU_DEP_2)
	v_cndmask_b32_e64 v82, v93, v82, s4
	v_mul_f32_e32 v96, v94, v92
	s_mov_b32 s4, exec_lo
	s_delay_alu instid0(VALU_DEP_2) | instskip(NEXT) | instid1(VALU_DEP_2)
	v_cndmask_b32_e64 v82, v82, v89, s6
	v_fma_f32 v98, -v91, v96, v94
	s_delay_alu instid0(VALU_DEP_1) | instskip(NEXT) | instid1(VALU_DEP_1)
	v_fmac_f32_e32 v96, v98, v92
	v_fma_f32 v91, -v91, v96, v94
	s_delay_alu instid0(VALU_DEP_1) | instskip(NEXT) | instid1(VALU_DEP_1)
	v_div_fmas_f32 v91, v91, v92, v96
	v_div_fixup_f32 v90, v91, v90, 1.0
	s_delay_alu instid0(VALU_DEP_1) | instskip(NEXT) | instid1(VALU_DEP_1)
	v_mul_f32_e32 v82, v82, v90
	v_mul_f32_e32 v87, v82, v87
	;; [unrolled: 1-line block ×7, first 2 shown]
	v_dual_mul_f32 v86, v82, v83 :: v_dual_and_b32 v91, 0x7f800000, v90
	v_mul_f32_e32 v85, v82, v76
                                        ; implicit-def: $vgpr76
	s_delay_alu instid0(VALU_DEP_2)
	v_cmpx_ne_u32_e32 0x7f800000, v91
	s_xor_b32 s4, exec_lo, s4
; %bb.13:
	v_bfe_u32 v76, v90, 16, 1
	s_delay_alu instid0(VALU_DEP_1)
	v_add3_u32 v76, v90, v76, 0x7fff
                                        ; implicit-def: $vgpr90
; %bb.14:
	s_and_not1_saveexec_b32 s4, s4
; %bb.15:
	v_and_b32_e32 v76, 0xffff, v90
	v_or_b32_e32 v83, 0x10000, v90
	s_delay_alu instid0(VALU_DEP_2) | instskip(NEXT) | instid1(VALU_DEP_2)
	v_cmp_eq_u32_e32 vcc_lo, 0, v76
	v_cndmask_b32_e32 v76, v83, v90, vcc_lo
; %bb.16:
	s_or_b32 exec_lo, exec_lo, s4
	v_and_b32_e32 v83, 0x7f800000, v85
	s_delay_alu instid0(VALU_DEP_1) | instskip(SKIP_1) | instid1(SALU_CYCLE_1)
	v_cmp_ne_u32_e32 vcc_lo, 0x7f800000, v83
                                        ; implicit-def: $vgpr83
	s_and_saveexec_b32 s4, vcc_lo
	s_xor_b32 s4, exec_lo, s4
; %bb.17:
	v_bfe_u32 v83, v85, 16, 1
	s_delay_alu instid0(VALU_DEP_1)
	v_add3_u32 v83, v85, v83, 0x7fff
                                        ; implicit-def: $vgpr85
; %bb.18:
	s_and_not1_saveexec_b32 s4, s4
; %bb.19:
	v_and_b32_e32 v83, 0xffff, v85
	v_or_b32_e32 v90, 0x10000, v85
	s_delay_alu instid0(VALU_DEP_2) | instskip(NEXT) | instid1(VALU_DEP_2)
	v_cmp_eq_u32_e32 vcc_lo, 0, v83
	v_cndmask_b32_e32 v83, v90, v85, vcc_lo
; %bb.20:
	s_or_b32 exec_lo, exec_lo, s4
	v_and_b32_e32 v85, 0x7f800000, v86
	s_delay_alu instid0(VALU_DEP_1) | instskip(SKIP_1) | instid1(SALU_CYCLE_1)
	v_cmp_ne_u32_e32 vcc_lo, 0x7f800000, v85
                                        ; implicit-def: $vgpr85
	s_and_saveexec_b32 s4, vcc_lo
	s_xor_b32 s4, exec_lo, s4
; %bb.21:
	v_bfe_u32 v85, v86, 16, 1
	s_delay_alu instid0(VALU_DEP_1)
	v_add3_u32 v85, v86, v85, 0x7fff
                                        ; implicit-def: $vgpr86
; %bb.22:
	s_and_not1_saveexec_b32 s4, s4
; %bb.23:
	v_and_b32_e32 v85, 0xffff, v86
	v_or_b32_e32 v90, 0x10000, v86
	s_delay_alu instid0(VALU_DEP_2) | instskip(NEXT) | instid1(VALU_DEP_2)
	v_cmp_eq_u32_e32 vcc_lo, 0, v85
	v_cndmask_b32_e32 v85, v90, v86, vcc_lo
; %bb.24:
	s_or_b32 exec_lo, exec_lo, s4
	v_and_b32_e32 v86, 0x7f800000, v89
	s_delay_alu instid0(VALU_DEP_1) | instskip(SKIP_1) | instid1(SALU_CYCLE_1)
	v_cmp_ne_u32_e32 vcc_lo, 0x7f800000, v86
                                        ; implicit-def: $vgpr86
	s_and_saveexec_b32 s4, vcc_lo
	s_xor_b32 s4, exec_lo, s4
; %bb.25:
	v_bfe_u32 v86, v89, 16, 1
	s_delay_alu instid0(VALU_DEP_1)
	v_add3_u32 v86, v89, v86, 0x7fff
                                        ; implicit-def: $vgpr89
; %bb.26:
	s_and_not1_saveexec_b32 s4, s4
; %bb.27:
	v_and_b32_e32 v86, 0xffff, v89
	v_or_b32_e32 v90, 0x10000, v89
	s_delay_alu instid0(VALU_DEP_2) | instskip(NEXT) | instid1(VALU_DEP_2)
	v_cmp_eq_u32_e32 vcc_lo, 0, v86
	v_cndmask_b32_e32 v86, v90, v89, vcc_lo
; %bb.28:
	s_or_b32 exec_lo, exec_lo, s4
	v_and_b32_e32 v89, 0x7f800000, v88
	s_delay_alu instid0(VALU_DEP_1) | instskip(SKIP_1) | instid1(SALU_CYCLE_1)
	v_cmp_ne_u32_e32 vcc_lo, 0x7f800000, v89
                                        ; implicit-def: $vgpr89
	s_and_saveexec_b32 s4, vcc_lo
	s_xor_b32 s4, exec_lo, s4
; %bb.29:
	v_bfe_u32 v89, v88, 16, 1
	s_delay_alu instid0(VALU_DEP_1)
	v_add3_u32 v89, v88, v89, 0x7fff
                                        ; implicit-def: $vgpr88
; %bb.30:
	s_and_not1_saveexec_b32 s4, s4
; %bb.31:
	v_and_b32_e32 v89, 0xffff, v88
	v_or_b32_e32 v90, 0x10000, v88
	s_delay_alu instid0(VALU_DEP_2) | instskip(NEXT) | instid1(VALU_DEP_2)
	v_cmp_eq_u32_e32 vcc_lo, 0, v89
	v_cndmask_b32_e32 v89, v90, v88, vcc_lo
; %bb.32:
	s_or_b32 exec_lo, exec_lo, s4
	v_and_b32_e32 v88, 0x7f800000, v87
	s_delay_alu instid0(VALU_DEP_1) | instskip(SKIP_1) | instid1(SALU_CYCLE_1)
	v_cmp_ne_u32_e32 vcc_lo, 0x7f800000, v88
                                        ; implicit-def: $vgpr88
	s_and_saveexec_b32 s4, vcc_lo
	s_xor_b32 s4, exec_lo, s4
; %bb.33:
	v_bfe_u32 v88, v87, 16, 1
	s_delay_alu instid0(VALU_DEP_1)
	v_add3_u32 v88, v87, v88, 0x7fff
                                        ; implicit-def: $vgpr87
; %bb.34:
	s_and_not1_saveexec_b32 s4, s4
; %bb.35:
	v_and_b32_e32 v88, 0xffff, v87
	v_or_b32_e32 v90, 0x10000, v87
	s_delay_alu instid0(VALU_DEP_2) | instskip(NEXT) | instid1(VALU_DEP_2)
	v_cmp_eq_u32_e32 vcc_lo, 0, v88
	v_cndmask_b32_e32 v88, v90, v87, vcc_lo
; %bb.36:
	s_or_b32 exec_lo, exec_lo, s4
	v_and_b32_e32 v87, 0x7f800000, v84
	s_delay_alu instid0(VALU_DEP_1) | instskip(SKIP_1) | instid1(SALU_CYCLE_1)
	v_cmp_ne_u32_e32 vcc_lo, 0x7f800000, v87
                                        ; implicit-def: $vgpr87
	s_and_saveexec_b32 s4, vcc_lo
	s_xor_b32 s4, exec_lo, s4
; %bb.37:
	v_bfe_u32 v87, v84, 16, 1
	s_delay_alu instid0(VALU_DEP_1)
	v_add3_u32 v87, v84, v87, 0x7fff
                                        ; implicit-def: $vgpr84
; %bb.38:
	s_and_not1_saveexec_b32 s4, s4
; %bb.39:
	v_and_b32_e32 v87, 0xffff, v84
	v_or_b32_e32 v90, 0x10000, v84
	s_delay_alu instid0(VALU_DEP_2) | instskip(NEXT) | instid1(VALU_DEP_2)
	v_cmp_eq_u32_e32 vcc_lo, 0, v87
	v_cndmask_b32_e32 v87, v90, v84, vcc_lo
; %bb.40:
	s_or_b32 exec_lo, exec_lo, s4
	v_and_b32_e32 v84, 0x7f800000, v80
	s_delay_alu instid0(VALU_DEP_1) | instskip(SKIP_1) | instid1(SALU_CYCLE_1)
	v_cmp_ne_u32_e32 vcc_lo, 0x7f800000, v84
                                        ; implicit-def: $vgpr84
	s_and_saveexec_b32 s4, vcc_lo
	s_xor_b32 s4, exec_lo, s4
; %bb.41:
	v_bfe_u32 v84, v80, 16, 1
	s_delay_alu instid0(VALU_DEP_1)
	v_add3_u32 v84, v80, v84, 0x7fff
                                        ; implicit-def: $vgpr80
; %bb.42:
	s_and_not1_saveexec_b32 s4, s4
; %bb.43:
	v_and_b32_e32 v84, 0xffff, v80
	v_or_b32_e32 v90, 0x10000, v80
	s_delay_alu instid0(VALU_DEP_2) | instskip(NEXT) | instid1(VALU_DEP_2)
	v_cmp_eq_u32_e32 vcc_lo, 0, v84
	v_cndmask_b32_e32 v84, v90, v80, vcc_lo
; %bb.44:
	s_or_b32 exec_lo, exec_lo, s4
	s_load_b64 s[36:37], s[0:1], 0x94
	v_lshlrev_b32_e32 v91, 4, v74
	s_delay_alu instid0(VALU_DEP_2)
	v_perm_b32 v90, v84, v87, 0x7060302
	v_dual_mul_f32 v79, v82, v79 :: v_dual_lshlrev_b32 v80, 6, v65
	v_dual_mul_f32 v77, v82, v77 :: v_dual_lshlrev_b32 v92, 11, v66
	v_mul_f32_e32 v84, v82, v70
	v_perm_b32 v89, v88, v89, 0x7060302
	v_perm_b32 v88, v86, v85, 0x7060302
	;; [unrolled: 1-line block ×3, first 2 shown]
	v_mul_f32_e32 v70, v82, v81
	v_or3_b32 v76, v91, v92, v80
	v_dual_mul_f32 v78, v82, v78 :: v_dual_and_b32 v85, 0x7f800000, v84
	v_mul_f32_e32 v83, v82, v72
	v_mul_f32_e32 v81, v82, v71
	;; [unrolled: 1-line block ×3, first 2 shown]
	s_mov_b32 s4, exec_lo
	ds_store_b128 v76, v[87:90]
                                        ; implicit-def: $vgpr69
	v_cmpx_ne_u32_e32 0x7f800000, v85
	s_xor_b32 s4, exec_lo, s4
; %bb.45:
	v_bfe_u32 v69, v84, 16, 1
	s_delay_alu instid0(VALU_DEP_1)
	v_add3_u32 v69, v84, v69, 0x7fff
                                        ; implicit-def: $vgpr84
; %bb.46:
	s_and_not1_saveexec_b32 s4, s4
; %bb.47:
	v_and_b32_e32 v69, 0xffff, v84
	v_or_b32_e32 v71, 0x10000, v84
	s_delay_alu instid0(VALU_DEP_2) | instskip(NEXT) | instid1(VALU_DEP_2)
	v_cmp_eq_u32_e32 vcc_lo, 0, v69
	v_cndmask_b32_e32 v69, v71, v84, vcc_lo
; %bb.48:
	s_or_b32 exec_lo, exec_lo, s4
	v_and_b32_e32 v71, 0x7f800000, v72
	s_delay_alu instid0(VALU_DEP_1) | instskip(SKIP_1) | instid1(SALU_CYCLE_1)
	v_cmp_ne_u32_e32 vcc_lo, 0x7f800000, v71
                                        ; implicit-def: $vgpr71
	s_and_saveexec_b32 s4, vcc_lo
	s_xor_b32 s4, exec_lo, s4
; %bb.49:
	v_bfe_u32 v71, v72, 16, 1
	s_delay_alu instid0(VALU_DEP_1)
	v_add3_u32 v71, v72, v71, 0x7fff
                                        ; implicit-def: $vgpr72
; %bb.50:
	s_and_not1_saveexec_b32 s4, s4
; %bb.51:
	v_and_b32_e32 v71, 0xffff, v72
	v_or_b32_e32 v82, 0x10000, v72
	s_delay_alu instid0(VALU_DEP_2) | instskip(NEXT) | instid1(VALU_DEP_2)
	v_cmp_eq_u32_e32 vcc_lo, 0, v71
	v_cndmask_b32_e32 v71, v82, v72, vcc_lo
; %bb.52:
	s_or_b32 exec_lo, exec_lo, s4
	v_and_b32_e32 v72, 0x7f800000, v81
	s_delay_alu instid0(VALU_DEP_1) | instskip(SKIP_1) | instid1(SALU_CYCLE_1)
	v_cmp_ne_u32_e32 vcc_lo, 0x7f800000, v72
                                        ; implicit-def: $vgpr72
	s_and_saveexec_b32 s4, vcc_lo
	s_xor_b32 s4, exec_lo, s4
; %bb.53:
	v_bfe_u32 v72, v81, 16, 1
	s_delay_alu instid0(VALU_DEP_1)
	v_add3_u32 v72, v81, v72, 0x7fff
                                        ; implicit-def: $vgpr81
; %bb.54:
	s_and_not1_saveexec_b32 s4, s4
; %bb.55:
	v_and_b32_e32 v72, 0xffff, v81
	v_or_b32_e32 v82, 0x10000, v81
	s_delay_alu instid0(VALU_DEP_2) | instskip(NEXT) | instid1(VALU_DEP_2)
	v_cmp_eq_u32_e32 vcc_lo, 0, v72
	v_cndmask_b32_e32 v72, v82, v81, vcc_lo
; %bb.56:
	s_or_b32 exec_lo, exec_lo, s4
	v_and_b32_e32 v81, 0x7f800000, v83
	s_delay_alu instid0(VALU_DEP_1) | instskip(SKIP_1) | instid1(SALU_CYCLE_1)
	v_cmp_ne_u32_e32 vcc_lo, 0x7f800000, v81
                                        ; implicit-def: $vgpr81
	s_and_saveexec_b32 s4, vcc_lo
	s_xor_b32 s4, exec_lo, s4
; %bb.57:
	v_bfe_u32 v81, v83, 16, 1
	s_delay_alu instid0(VALU_DEP_1)
	v_add3_u32 v81, v83, v81, 0x7fff
                                        ; implicit-def: $vgpr83
; %bb.58:
	s_and_not1_saveexec_b32 s4, s4
; %bb.59:
	v_and_b32_e32 v81, 0xffff, v83
	v_or_b32_e32 v82, 0x10000, v83
	s_delay_alu instid0(VALU_DEP_2) | instskip(NEXT) | instid1(VALU_DEP_2)
	v_cmp_eq_u32_e32 vcc_lo, 0, v81
	v_cndmask_b32_e32 v81, v82, v83, vcc_lo
; %bb.60:
	s_or_b32 exec_lo, exec_lo, s4
	v_and_b32_e32 v82, 0x7f800000, v77
	s_delay_alu instid0(VALU_DEP_1) | instskip(SKIP_1) | instid1(SALU_CYCLE_1)
	v_cmp_ne_u32_e32 vcc_lo, 0x7f800000, v82
                                        ; implicit-def: $vgpr82
	s_and_saveexec_b32 s4, vcc_lo
	s_xor_b32 s4, exec_lo, s4
; %bb.61:
	v_bfe_u32 v82, v77, 16, 1
	s_delay_alu instid0(VALU_DEP_1)
	v_add3_u32 v82, v77, v82, 0x7fff
                                        ; implicit-def: $vgpr77
; %bb.62:
	s_and_not1_saveexec_b32 s4, s4
; %bb.63:
	v_and_b32_e32 v82, 0xffff, v77
	v_or_b32_e32 v83, 0x10000, v77
	s_delay_alu instid0(VALU_DEP_2) | instskip(NEXT) | instid1(VALU_DEP_2)
	v_cmp_eq_u32_e32 vcc_lo, 0, v82
	v_cndmask_b32_e32 v82, v83, v77, vcc_lo
; %bb.64:
	s_or_b32 exec_lo, exec_lo, s4
	v_and_b32_e32 v77, 0x7f800000, v78
	s_delay_alu instid0(VALU_DEP_1) | instskip(SKIP_1) | instid1(SALU_CYCLE_1)
	v_cmp_ne_u32_e32 vcc_lo, 0x7f800000, v77
                                        ; implicit-def: $vgpr77
	s_and_saveexec_b32 s4, vcc_lo
	s_xor_b32 s4, exec_lo, s4
; %bb.65:
	v_bfe_u32 v77, v78, 16, 1
	s_delay_alu instid0(VALU_DEP_1)
	v_add3_u32 v77, v78, v77, 0x7fff
                                        ; implicit-def: $vgpr78
; %bb.66:
	s_and_not1_saveexec_b32 s4, s4
; %bb.67:
	v_and_b32_e32 v77, 0xffff, v78
	v_or_b32_e32 v83, 0x10000, v78
	s_delay_alu instid0(VALU_DEP_2) | instskip(NEXT) | instid1(VALU_DEP_2)
	v_cmp_eq_u32_e32 vcc_lo, 0, v77
	v_cndmask_b32_e32 v77, v83, v78, vcc_lo
; %bb.68:
	s_or_b32 exec_lo, exec_lo, s4
	v_and_b32_e32 v78, 0x7f800000, v79
	s_delay_alu instid0(VALU_DEP_1) | instskip(SKIP_1) | instid1(SALU_CYCLE_1)
	v_cmp_ne_u32_e32 vcc_lo, 0x7f800000, v78
                                        ; implicit-def: $vgpr78
	s_and_saveexec_b32 s4, vcc_lo
	s_xor_b32 s4, exec_lo, s4
; %bb.69:
	v_bfe_u32 v78, v79, 16, 1
	s_delay_alu instid0(VALU_DEP_1)
	v_add3_u32 v78, v79, v78, 0x7fff
                                        ; implicit-def: $vgpr79
; %bb.70:
	s_and_not1_saveexec_b32 s4, s4
; %bb.71:
	v_and_b32_e32 v78, 0xffff, v79
	v_or_b32_e32 v83, 0x10000, v79
	s_delay_alu instid0(VALU_DEP_2) | instskip(NEXT) | instid1(VALU_DEP_2)
	v_cmp_eq_u32_e32 vcc_lo, 0, v78
	v_cndmask_b32_e32 v78, v83, v79, vcc_lo
; %bb.72:
	s_or_b32 exec_lo, exec_lo, s4
	v_and_b32_e32 v79, 0x7f800000, v70
	s_delay_alu instid0(VALU_DEP_1) | instskip(SKIP_1) | instid1(SALU_CYCLE_1)
	v_cmp_ne_u32_e32 vcc_lo, 0x7f800000, v79
                                        ; implicit-def: $vgpr79
	s_and_saveexec_b32 s4, vcc_lo
	s_xor_b32 s4, exec_lo, s4
; %bb.73:
	v_bfe_u32 v79, v70, 16, 1
	s_delay_alu instid0(VALU_DEP_1)
	v_add3_u32 v79, v70, v79, 0x7fff
                                        ; implicit-def: $vgpr70
; %bb.74:
	s_and_not1_saveexec_b32 s4, s4
; %bb.75:
	v_and_b32_e32 v79, 0xffff, v70
	v_or_b32_e32 v83, 0x10000, v70
	s_delay_alu instid0(VALU_DEP_2) | instskip(NEXT) | instid1(VALU_DEP_2)
	v_cmp_eq_u32_e32 vcc_lo, 0, v79
	v_cndmask_b32_e32 v79, v83, v70, vcc_lo
; %bb.76:
	s_or_b32 exec_lo, exec_lo, s4
	s_delay_alu instid0(VALU_DEP_1)
	v_perm_b32 v86, v79, v78, 0x7060302
	v_perm_b32 v85, v77, v82, 0x7060302
	;; [unrolled: 1-line block ×4, first 2 shown]
	v_lshl_or_b32 v82, v66, 11, v80
	ds_store_b128 v76, v[83:86] offset:1024
	s_waitcnt lgkmcnt(0)
	s_barrier
	buffer_gl0_inv
	ds_load_b128 v[69:72], v82
	ds_load_b128 v[83:86], v82 offset:16
	s_waitcnt lgkmcnt(1)
	v_lshrrev_b32_e32 v66, 16, v69
	s_waitcnt lgkmcnt(0)
	v_lshrrev_b32_e32 v91, 16, v83
	v_lshlrev_b32_e32 v78, 2, v74
	v_lshrrev_b32_e32 v95, 16, v70
	v_lshrrev_b32_e32 v98, 16, v84
	;; [unrolled: 1-line block ×4, first 2 shown]
	v_cmp_eq_u32_e32 vcc_lo, 1, v78
	v_lshrrev_b32_e32 v97, 16, v72
	v_lshrrev_b32_e32 v100, 16, v86
	v_cndmask_b32_e32 v87, v83, v91, vcc_lo
	v_or_b32_e32 v79, 1, v78
	v_cndmask_b32_e32 v81, v69, v66, vcc_lo
	v_cmp_eq_u32_e64 s5, 2, v78
	v_cmp_eq_u32_e64 s8, 3, v78
	;; [unrolled: 1-line block ×5, first 2 shown]
	v_cndmask_b32_e64 v81, v81, v70, s5
	v_cndmask_b32_e64 v87, v87, v84, s5
	v_cmp_eq_u32_e64 s9, 3, v79
	v_cndmask_b32_e64 v88, v69, v66, s4
	v_or_b32_e32 v77, 2, v78
	v_cndmask_b32_e64 v81, v81, v95, s8
	v_cndmask_b32_e64 v87, v87, v98, s8
	;; [unrolled: 1-line block ×4, first 2 shown]
	v_cmp_eq_u32_e64 s11, 5, v78
	v_cndmask_b32_e64 v81, v81, v71, s10
	v_cndmask_b32_e64 v87, v87, v85, s10
	v_cmp_eq_u32_e64 s12, 4, v79
	v_cndmask_b32_e64 v88, v88, v95, s9
	v_cmp_eq_u32_e64 s6, 1, v77
	v_cndmask_b32_e64 v89, v89, v84, s7
	v_cndmask_b32_e64 v81, v81, v96, s11
	v_cmp_eq_u32_e64 s13, 6, v78
	v_cndmask_b32_e64 v88, v88, v71, s12
	;; [unrolled: 3-line block ×3, first 2 shown]
	v_cndmask_b32_e64 v89, v89, v98, s9
	v_cndmask_b32_e64 v81, v81, v72, s13
	v_cmp_eq_u32_e64 s16, 7, v78
	v_cndmask_b32_e64 v88, v88, v96, s15
	v_cndmask_b32_e64 v87, v87, v86, s13
	v_cmp_eq_u32_e64 s17, 6, v79
	v_cmp_eq_u32_e64 s18, 2, v77
	v_cndmask_b32_e64 v89, v89, v85, s12
	v_cndmask_b32_e64 v101, v81, v97, s16
	;; [unrolled: 1-line block ×6, first 2 shown]
	v_cmp_eq_u32_e64 s19, 7, v79
	v_cmp_eq_u32_e64 s20, 3, v77
	;; [unrolled: 1-line block ×4, first 2 shown]
	v_cndmask_b32_e64 v87, v87, v84, s18
	v_cndmask_b32_e64 v103, v88, v97, s19
	;; [unrolled: 1-line block ×4, first 2 shown]
	v_or_b32_e32 v81, 3, v78
	v_cndmask_b32_e64 v93, v87, v98, s20
	v_cmp_eq_u32_e64 s25, 6, v77
	v_cndmask_b32_e64 v104, v88, v86, s17
	v_cndmask_b32_e64 v92, v89, v71, s21
	v_cmp_eq_u32_e64 s22, 1, v81
	ds_load_b128 v[87:90], v82 offset:1024
	v_cmp_eq_u32_e64 s24, 2, v81
	v_cmp_eq_u32_e64 s26, 3, v81
	v_cndmask_b32_e64 v105, v92, v96, s23
	v_cndmask_b32_e64 v66, v69, v66, s22
	;; [unrolled: 1-line block ×4, first 2 shown]
	ds_load_b128 v[91:94], v82 offset:1040
	v_cmp_eq_u32_e64 s27, 4, v81
	v_cndmask_b32_e64 v66, v66, v70, s24
	v_cmp_eq_u32_e64 s28, 7, v77
	v_cndmask_b32_e64 v70, v83, v84, s24
	v_cndmask_b32_e64 v84, v105, v72, s25
	v_cmp_eq_u32_e64 s29, 5, v81
	v_cndmask_b32_e64 v66, v66, v95, s26
	v_cmp_eq_u32_e64 s30, 6, v81
	v_cndmask_b32_e64 v70, v70, v98, s26
	v_cndmask_b32_e64 v69, v69, v99, s23
	;; [unrolled: 1-line block ×4, first 2 shown]
	s_waitcnt lgkmcnt(1)
	v_lshrrev_b32_e32 v95, 16, v87
	v_cndmask_b32_e64 v70, v70, v85, s27
	v_cndmask_b32_e64 v71, v84, v97, s28
	;; [unrolled: 1-line block ×4, first 2 shown]
	v_cndmask_b32_e32 v84, v87, v95, vcc_lo
	v_cndmask_b32_e64 v70, v70, v99, s29
	s_waitcnt lgkmcnt(0)
	v_lshrrev_b32_e32 v85, 16, v91
	v_lshrrev_b32_e32 v96, 16, v88
	v_cndmask_b32_e64 v98, v87, v95, s4
	v_cndmask_b32_e64 v84, v84, v88, s5
	;; [unrolled: 1-line block ×3, first 2 shown]
	v_cndmask_b32_e32 v99, v91, v85, vcc_lo
	v_cmp_eq_u32_e32 vcc_lo, 7, v81
	v_cndmask_b32_e64 v66, v66, v72, s30
	v_cndmask_b32_e64 v72, v84, v96, s8
	v_cndmask_b32_e64 v84, v98, v88, s7
	v_lshrrev_b32_e32 v98, 16, v92
	v_cndmask_b32_e32 v70, v70, v100, vcc_lo
	v_cndmask_b32_e64 v86, v99, v92, s5
	v_cndmask_b32_e64 v69, v69, v100, s28
	v_lshrrev_b32_e32 v100, 16, v93
	v_cndmask_b32_e64 v72, v72, v89, s10
	v_lshrrev_b32_e32 v99, 16, v89
	v_cndmask_b32_e64 v86, v86, v98, s8
	v_perm_b32 v71, v69, v71, 0x5040100
	v_cndmask_b32_e64 v84, v84, v96, s9
	s_delay_alu instid0(VALU_DEP_3) | instskip(NEXT) | instid1(VALU_DEP_2)
	v_cndmask_b32_e64 v86, v86, v93, s10
	v_cndmask_b32_e64 v84, v84, v89, s12
	s_delay_alu instid0(VALU_DEP_2) | instskip(NEXT) | instid1(VALU_DEP_1)
	v_cndmask_b32_e64 v86, v86, v100, s11
	v_cndmask_b32_e64 v69, v86, v94, s13
	;; [unrolled: 1-line block ×5, first 2 shown]
	s_delay_alu instid0(VALU_DEP_3) | instskip(NEXT) | instid1(VALU_DEP_3)
	v_cndmask_b32_e64 v86, v86, v88, s18
	v_cndmask_b32_e64 v87, v87, v88, s24
	s_delay_alu instid0(VALU_DEP_3) | instskip(NEXT) | instid1(VALU_DEP_3)
	v_cndmask_b32_e64 v88, v95, v92, s24
	v_cndmask_b32_e64 v86, v86, v96, s20
	;; [unrolled: 3-line block ×7, first 2 shown]
	s_delay_alu instid0(VALU_DEP_3) | instskip(SKIP_2) | instid1(VALU_DEP_2)
	v_cndmask_b32_e64 v88, v88, v94, s30
	v_cndmask_b32_e32 v66, v66, v97, vcc_lo
	v_cndmask_b32_e64 v97, v72, v99, s11
	v_perm_b32 v72, v70, v66, 0x5040100
	v_perm_b32 v70, v83, v103, 0x5040100
	v_cndmask_b32_e64 v103, v91, v85, s6
	v_cndmask_b32_e64 v85, v91, v85, s4
	;; [unrolled: 1-line block ×4, first 2 shown]
	v_lshrrev_b32_e32 v97, 16, v90
	v_cndmask_b32_e64 v91, v103, v92, s18
	v_cndmask_b32_e64 v85, v85, v92, s7
	;; [unrolled: 1-line block ×3, first 2 shown]
	s_mov_b32 s4, exec_lo
	v_cndmask_b32_e64 v83, v84, v97, s16
	v_cndmask_b32_e64 v91, v91, v98, s20
	v_cndmask_b32_e64 v85, v85, v98, s9
	v_lshrrev_b32_e32 v84, 16, v94
	v_cndmask_b32_e64 v66, v66, v97, s19
	v_cndmask_b32_e64 v90, v86, v97, s28
	v_cndmask_b32_e64 v89, v91, v93, s21
	v_cndmask_b32_e64 v85, v85, v93, s12
	v_dual_cndmask_b32 v86, v87, v97 :: v_dual_cndmask_b32 v87, v88, v84
	v_cndmask_b32_e64 v91, v69, v84, s16
	s_delay_alu instid0(VALU_DEP_4) | instskip(NEXT) | instid1(VALU_DEP_4)
	v_cndmask_b32_e64 v89, v89, v100, s23
	v_cndmask_b32_e64 v85, v85, v100, s15
	v_perm_b32 v69, v102, v101, 0x5040100
	v_perm_b32 v86, v87, v86, 0x5040100
	;; [unrolled: 1-line block ×3, first 2 shown]
	v_cndmask_b32_e64 v89, v89, v94, s25
	v_cndmask_b32_e64 v85, v85, v94, s17
	s_mul_i32 s9, s37, 15
	s_delay_alu instid0(VALU_DEP_2) | instskip(NEXT) | instid1(VALU_DEP_2)
	v_cndmask_b32_e64 v88, v89, v84, s28
	v_cndmask_b32_e64 v89, v85, v84, s19
	s_delay_alu instid0(VALU_DEP_2) | instskip(NEXT) | instid1(VALU_DEP_2)
	v_perm_b32 v85, v88, v90, 0x5040100
	v_perm_b32 v84, v89, v66, 0x5040100
	ds_store_b128 v76, v[69:72]
	ds_store_b128 v76, v[83:86] offset:1024
	v_cmpx_gt_u32_e32 15, v0
	s_cbranch_execz .LBB1724_78
; %bb.77:
	s_mul_i32 s5, s9, s34
	s_load_b128 s[16:19], s[0:1], 0x58
	v_add3_u32 v69, s5, s31, v65
	s_delay_alu instid0(VALU_DEP_1) | instskip(NEXT) | instid1(VALU_DEP_1)
	v_mad_u64_u32 v[65:66], null, v69, s36, s[14:15]
	v_ashrrev_i32_e32 v66, 31, v65
	s_delay_alu instid0(VALU_DEP_1) | instskip(SKIP_1) | instid1(VALU_DEP_1)
	v_lshlrev_b64 v[65:66], 2, v[65:66]
	s_waitcnt lgkmcnt(0)
	v_add_co_u32 v69, vcc_lo, s18, v65
	s_delay_alu instid0(VALU_DEP_2)
	v_add_co_ci_u32_e32 v70, vcc_lo, s19, v66, vcc_lo
	v_add_co_u32 v65, vcc_lo, s16, v65
	v_add_co_ci_u32_e32 v66, vcc_lo, s17, v66, vcc_lo
	global_store_b32 v[69:70], v67, off
	global_store_b32 v[65:66], v68, off
.LBB1724_78:
	s_or_b32 exec_lo, exec_lo, s4
	s_waitcnt lgkmcnt(0)
	s_waitcnt_vscnt null, 0x0
	s_barrier
	buffer_gl0_inv
	ds_load_b128 v[83:86], v80
	ds_load_b128 v[87:90], v80 offset:16
	ds_load_b128 v[95:98], v80 offset:2064
	ds_load_b128 v[91:94], v80 offset:2048
	v_mov_b32_e32 v65, 0
	ds_load_b128 v[103:106], v80 offset:4112
	ds_load_b128 v[99:102], v80 offset:4096
	;; [unrolled: 1-line block ×4, first 2 shown]
	v_mov_b32_e32 v66, v65
	v_mov_b32_e32 v67, v65
	;; [unrolled: 1-line block ×7, first 2 shown]
	s_waitcnt lgkmcnt(6)
	s_delay_alu instid0(VALU_DEP_1)
	v_wmma_f32_16x16x16_bf16 v[65:72], v[57:64], v[83:90], v[65:72]
	ds_load_b128 v[61:64], v80 offset:8208
	ds_load_b128 v[57:60], v80 offset:8192
	s_waitcnt lgkmcnt(6)
	v_wmma_f32_16x16x16_bf16 v[65:72], v[41:48], v[91:98], v[65:72]
	ds_load_b128 v[45:48], v80 offset:10256
	ds_load_b128 v[41:44], v80 offset:10240
	s_waitcnt lgkmcnt(6)
	;; [unrolled: 4-line block ×4, first 2 shown]
	v_wmma_f32_16x16x16_bf16 v[65:72], v[1:8], v[57:64], v[65:72]
	s_waitcnt lgkmcnt(4)
	s_delay_alu instid0(VALU_DEP_1) | instskip(SKIP_1) | instid1(VALU_DEP_1)
	v_wmma_f32_16x16x16_bf16 v[65:72], v[9:16], v[41:48], v[65:72]
	s_waitcnt lgkmcnt(2)
	v_wmma_f32_16x16x16_bf16 v[65:72], v[17:24], v[33:40], v[65:72]
	s_waitcnt lgkmcnt(0)
	s_delay_alu instid0(VALU_DEP_1) | instskip(NEXT) | instid1(VALU_DEP_1)
	v_wmma_f32_16x16x16_bf16 v[65:72], v[49:56], v[25:32], v[65:72]
	v_and_b32_e32 v1, 0x7f800000, v65
	s_delay_alu instid0(VALU_DEP_1) | instskip(SKIP_1) | instid1(SALU_CYCLE_1)
	v_cmp_ne_u32_e32 vcc_lo, 0x7f800000, v1
                                        ; implicit-def: $vgpr1
	s_and_saveexec_b32 s4, vcc_lo
	s_xor_b32 s4, exec_lo, s4
; %bb.79:
	v_bfe_u32 v1, v65, 16, 1
	s_delay_alu instid0(VALU_DEP_1)
	v_add3_u32 v1, v65, v1, 0x7fff
; %bb.80:
	s_and_not1_saveexec_b32 s4, s4
; %bb.81:
	v_and_b32_e32 v1, 0xffff, v65
	v_or_b32_e32 v2, 0x10000, v65
	s_delay_alu instid0(VALU_DEP_2) | instskip(NEXT) | instid1(VALU_DEP_2)
	v_cmp_eq_u32_e32 vcc_lo, 0, v1
	v_cndmask_b32_e32 v1, v2, v65, vcc_lo
; %bb.82:
	s_or_b32 exec_lo, exec_lo, s4
	v_and_b32_e32 v2, 0x7f800000, v66
	s_delay_alu instid0(VALU_DEP_1) | instskip(SKIP_1) | instid1(SALU_CYCLE_1)
	v_cmp_ne_u32_e32 vcc_lo, 0x7f800000, v2
                                        ; implicit-def: $vgpr2
	s_and_saveexec_b32 s4, vcc_lo
	s_xor_b32 s4, exec_lo, s4
; %bb.83:
	v_bfe_u32 v2, v66, 16, 1
	s_delay_alu instid0(VALU_DEP_1)
	v_add3_u32 v2, v66, v2, 0x7fff
; %bb.84:
	s_and_not1_saveexec_b32 s4, s4
; %bb.85:
	v_and_b32_e32 v2, 0xffff, v66
	v_or_b32_e32 v3, 0x10000, v66
	s_delay_alu instid0(VALU_DEP_2) | instskip(NEXT) | instid1(VALU_DEP_2)
	v_cmp_eq_u32_e32 vcc_lo, 0, v2
	v_cndmask_b32_e32 v2, v3, v66, vcc_lo
; %bb.86:
	s_or_b32 exec_lo, exec_lo, s4
	v_and_b32_e32 v3, 0x7f800000, v67
	s_delay_alu instid0(VALU_DEP_1) | instskip(SKIP_1) | instid1(SALU_CYCLE_1)
	v_cmp_ne_u32_e32 vcc_lo, 0x7f800000, v3
                                        ; implicit-def: $vgpr3
	s_and_saveexec_b32 s4, vcc_lo
	s_xor_b32 s4, exec_lo, s4
; %bb.87:
	v_bfe_u32 v3, v67, 16, 1
	s_delay_alu instid0(VALU_DEP_1)
	v_add3_u32 v3, v67, v3, 0x7fff
; %bb.88:
	s_and_not1_saveexec_b32 s4, s4
; %bb.89:
	v_and_b32_e32 v3, 0xffff, v67
	v_or_b32_e32 v4, 0x10000, v67
	s_delay_alu instid0(VALU_DEP_2) | instskip(NEXT) | instid1(VALU_DEP_2)
	v_cmp_eq_u32_e32 vcc_lo, 0, v3
	v_cndmask_b32_e32 v3, v4, v67, vcc_lo
; %bb.90:
	s_or_b32 exec_lo, exec_lo, s4
	v_and_b32_e32 v4, 0x7f800000, v68
	s_delay_alu instid0(VALU_DEP_1) | instskip(SKIP_1) | instid1(SALU_CYCLE_1)
	v_cmp_ne_u32_e32 vcc_lo, 0x7f800000, v4
                                        ; implicit-def: $vgpr4
	s_and_saveexec_b32 s4, vcc_lo
	s_xor_b32 s4, exec_lo, s4
; %bb.91:
	v_bfe_u32 v4, v68, 16, 1
	s_delay_alu instid0(VALU_DEP_1)
	v_add3_u32 v4, v68, v4, 0x7fff
; %bb.92:
	s_and_not1_saveexec_b32 s4, s4
; %bb.93:
	v_and_b32_e32 v4, 0xffff, v68
	v_or_b32_e32 v5, 0x10000, v68
	s_delay_alu instid0(VALU_DEP_2) | instskip(NEXT) | instid1(VALU_DEP_2)
	v_cmp_eq_u32_e32 vcc_lo, 0, v4
	v_cndmask_b32_e32 v4, v5, v68, vcc_lo
; %bb.94:
	s_or_b32 exec_lo, exec_lo, s4
	v_and_b32_e32 v5, 0x7f800000, v69
	s_delay_alu instid0(VALU_DEP_1) | instskip(SKIP_1) | instid1(SALU_CYCLE_1)
	v_cmp_ne_u32_e32 vcc_lo, 0x7f800000, v5
                                        ; implicit-def: $vgpr5
	s_and_saveexec_b32 s4, vcc_lo
	s_xor_b32 s4, exec_lo, s4
; %bb.95:
	v_bfe_u32 v5, v69, 16, 1
	s_delay_alu instid0(VALU_DEP_1)
	v_add3_u32 v5, v69, v5, 0x7fff
; %bb.96:
	s_and_not1_saveexec_b32 s4, s4
; %bb.97:
	v_and_b32_e32 v5, 0xffff, v69
	v_or_b32_e32 v6, 0x10000, v69
	s_delay_alu instid0(VALU_DEP_2) | instskip(NEXT) | instid1(VALU_DEP_2)
	v_cmp_eq_u32_e32 vcc_lo, 0, v5
	v_cndmask_b32_e32 v5, v6, v69, vcc_lo
; %bb.98:
	s_or_b32 exec_lo, exec_lo, s4
	v_and_b32_e32 v6, 0x7f800000, v70
	s_delay_alu instid0(VALU_DEP_1) | instskip(SKIP_1) | instid1(SALU_CYCLE_1)
	v_cmp_ne_u32_e32 vcc_lo, 0x7f800000, v6
                                        ; implicit-def: $vgpr6
	s_and_saveexec_b32 s4, vcc_lo
	s_xor_b32 s4, exec_lo, s4
; %bb.99:
	v_bfe_u32 v6, v70, 16, 1
	s_delay_alu instid0(VALU_DEP_1)
	v_add3_u32 v6, v70, v6, 0x7fff
; %bb.100:
	s_and_not1_saveexec_b32 s4, s4
; %bb.101:
	v_and_b32_e32 v6, 0xffff, v70
	v_or_b32_e32 v7, 0x10000, v70
	s_delay_alu instid0(VALU_DEP_2) | instskip(NEXT) | instid1(VALU_DEP_2)
	v_cmp_eq_u32_e32 vcc_lo, 0, v6
	v_cndmask_b32_e32 v6, v7, v70, vcc_lo
; %bb.102:
	s_or_b32 exec_lo, exec_lo, s4
	v_and_b32_e32 v7, 0x7f800000, v71
	s_delay_alu instid0(VALU_DEP_1) | instskip(SKIP_1) | instid1(SALU_CYCLE_1)
	v_cmp_ne_u32_e32 vcc_lo, 0x7f800000, v7
                                        ; implicit-def: $vgpr7
	s_and_saveexec_b32 s4, vcc_lo
	s_xor_b32 s4, exec_lo, s4
; %bb.103:
	v_bfe_u32 v7, v71, 16, 1
	s_delay_alu instid0(VALU_DEP_1)
	v_add3_u32 v7, v71, v7, 0x7fff
; %bb.104:
	s_and_not1_saveexec_b32 s4, s4
; %bb.105:
	v_and_b32_e32 v7, 0xffff, v71
	v_or_b32_e32 v8, 0x10000, v71
	s_delay_alu instid0(VALU_DEP_2) | instskip(NEXT) | instid1(VALU_DEP_2)
	v_cmp_eq_u32_e32 vcc_lo, 0, v7
	v_cndmask_b32_e32 v7, v8, v71, vcc_lo
; %bb.106:
	s_or_b32 exec_lo, exec_lo, s4
	v_and_b32_e32 v8, 0x7f800000, v72
	s_delay_alu instid0(VALU_DEP_1) | instskip(SKIP_1) | instid1(SALU_CYCLE_1)
	v_cmp_ne_u32_e32 vcc_lo, 0x7f800000, v8
                                        ; implicit-def: $vgpr8
	s_and_saveexec_b32 s4, vcc_lo
	s_xor_b32 s4, exec_lo, s4
; %bb.107:
	v_bfe_u32 v8, v72, 16, 1
	s_delay_alu instid0(VALU_DEP_1)
	v_add3_u32 v8, v72, v8, 0x7fff
                                        ; implicit-def: $vgpr65_vgpr66_vgpr67_vgpr68_vgpr69_vgpr70_vgpr71_vgpr72
; %bb.108:
	s_and_not1_saveexec_b32 s4, s4
; %bb.109:
	v_and_b32_e32 v8, 0xffff, v72
	v_or_b32_e32 v9, 0x10000, v72
	s_delay_alu instid0(VALU_DEP_2) | instskip(NEXT) | instid1(VALU_DEP_2)
	v_cmp_eq_u32_e32 vcc_lo, 0, v8
	v_cndmask_b32_e32 v8, v9, v72, vcc_lo
; %bb.110:
	s_or_b32 exec_lo, exec_lo, s4
	s_delay_alu instid0(VALU_DEP_1)
	v_perm_b32 v7, v8, v7, 0x7060302
	v_perm_b32 v6, v6, v5, 0x7060302
	v_perm_b32 v5, v4, v3, 0x7060302
	v_perm_b32 v4, v2, v1, 0x7060302
	s_barrier
	buffer_gl0_inv
	v_cmp_eq_u32_e32 vcc_lo, 1, v78
	ds_store_b128 v76, v[4:7]
	s_waitcnt lgkmcnt(0)
	s_barrier
	buffer_gl0_inv
	ds_load_b128 v[1:4], v82
	ds_load_b128 v[5:8], v82 offset:16
	v_cmp_eq_u32_e64 s4, 1, v79
	v_cmp_eq_u32_e64 s5, 2, v78
	;; [unrolled: 1-line block ×5, first 2 shown]
	s_waitcnt lgkmcnt(1)
	v_lshrrev_b32_e32 v9, 16, v1
	s_waitcnt lgkmcnt(0)
	v_lshrrev_b32_e32 v13, 16, v5
	v_lshrrev_b32_e32 v10, 16, v2
	v_lshrrev_b32_e32 v14, 16, v6
	v_lshrrev_b32_e32 v11, 16, v3
	v_cndmask_b32_e64 v19, v1, v9, s4
	v_cndmask_b32_e32 v18, v5, v13, vcc_lo
	v_cndmask_b32_e64 v20, v5, v13, s4
	v_cndmask_b32_e32 v17, v1, v9, vcc_lo
	v_cmp_eq_u32_e32 vcc_lo, 2, v79
	v_lshrrev_b32_e32 v15, 16, v7
	v_cmp_eq_u32_e64 s4, 1, v77
	v_lshrrev_b32_e32 v12, 16, v4
	v_lshrrev_b32_e32 v16, 16, v8
	v_cndmask_b32_e32 v20, v20, v6, vcc_lo
	v_cndmask_b32_e64 v17, v17, v2, s5
	v_cndmask_b32_e32 v19, v19, v2, vcc_lo
	v_cndmask_b32_e64 v18, v18, v6, s5
	v_cmp_eq_u32_e32 vcc_lo, 4, v78
	v_cmp_eq_u32_e64 s5, 3, v79
	v_cndmask_b32_e64 v17, v17, v10, s6
	v_cndmask_b32_e64 v21, v1, v9, s4
	;; [unrolled: 1-line block ×5, first 2 shown]
	v_cndmask_b32_e32 v17, v17, v3, vcc_lo
	v_cndmask_b32_e64 v20, v20, v14, s5
	v_cndmask_b32_e32 v18, v18, v7, vcc_lo
	v_cmp_eq_u32_e32 vcc_lo, 4, v79
	v_cmp_eq_u32_e64 s5, 5, v79
	v_cmp_eq_u32_e64 s4, 2, v81
	v_cndmask_b32_e64 v21, v21, v2, s8
	v_cmp_eq_u32_e64 s6, 5, v78
	v_cndmask_b32_e32 v19, v19, v3, vcc_lo
	v_cndmask_b32_e32 v20, v20, v7, vcc_lo
	v_cmp_eq_u32_e32 vcc_lo, 6, v79
	s_delay_alu instid0(VALU_DEP_4) | instskip(NEXT) | instid1(VALU_DEP_4)
	v_cndmask_b32_e64 v17, v17, v11, s6
	v_cndmask_b32_e64 v19, v19, v11, s5
	s_delay_alu instid0(VALU_DEP_4) | instskip(SKIP_1) | instid1(VALU_DEP_3)
	v_cndmask_b32_e64 v20, v20, v15, s5
	v_cmp_eq_u32_e64 s5, 1, v81
	v_cndmask_b32_e32 v19, v19, v4, vcc_lo
	v_cndmask_b32_e64 v18, v18, v15, s6
	s_delay_alu instid0(VALU_DEP_3)
	v_cndmask_b32_e64 v1, v1, v9, s5
	v_cndmask_b32_e64 v5, v5, v13, s5
	v_cmp_eq_u32_e64 s5, 3, v77
	v_cndmask_b32_e64 v13, v22, v6, s8
	v_cmp_eq_u32_e64 s8, 3, v81
	v_cndmask_b32_e64 v1, v1, v2, s4
	v_cndmask_b32_e64 v2, v5, v6, s4
	;; [unrolled: 1-line block ×3, first 2 shown]
	v_cmp_eq_u32_e64 s4, 4, v77
	v_cndmask_b32_e64 v6, v13, v14, s5
	v_cndmask_b32_e64 v1, v1, v10, s8
	v_cmp_eq_u32_e64 s5, 4, v81
	v_cndmask_b32_e64 v2, v2, v14, s8
	v_cndmask_b32_e64 v5, v9, v3, s4
	;; [unrolled: 3-line block ×3, first 2 shown]
	v_cndmask_b32_e64 v2, v2, v7, s5
	v_cmp_eq_u32_e64 s4, 5, v81
	v_cmp_eq_u32_e64 s6, 6, v78
	v_cndmask_b32_e64 v5, v5, v11, s8
	v_cmp_eq_u32_e64 s5, 6, v77
	v_cndmask_b32_e64 v3, v6, v15, s8
	v_cndmask_b32_e64 v1, v1, v11, s4
	v_cmp_eq_u32_e64 s8, 6, v81
	v_cndmask_b32_e64 v2, v2, v15, s4
	v_cndmask_b32_e64 v17, v17, v4, s6
	v_cndmask_b32_e64 v18, v18, v8, s6
	v_cmp_eq_u32_e64 s6, 7, v78
	v_cndmask_b32_e64 v5, v5, v4, s5
	;; [unrolled: 4-line block ×3, first 2 shown]
	v_cmp_eq_u32_e64 s5, 7, v77
	v_cndmask_b32_e32 v4, v20, v8, vcc_lo
	v_cndmask_b32_e64 v17, v17, v12, s6
	v_cndmask_b32_e64 v19, v19, v12, s7
	;; [unrolled: 1-line block ×8, first 2 shown]
	v_cmp_gt_u32_e32 vcc_lo, 32, v0
	v_perm_b32 v4, v2, v1, 0x5040100
	v_perm_b32 v3, v3, v5, 0x5040100
	;; [unrolled: 1-line block ×4, first 2 shown]
	s_and_b32 s2, vcc_lo, s2
	ds_store_b128 v76, v[1:4]
	s_waitcnt lgkmcnt(0)
	s_barrier
	buffer_gl0_inv
	s_and_saveexec_b32 s4, s2
	s_cbranch_execz .LBB1724_2
; %bb.111:
	s_load_b64 s[4:5], s[0:1], 0x68
	v_add_nc_u32_e32 v20, s31, v74
	v_lshlrev_b32_e32 v0, 10, v0
	v_lshlrev_b32_e32 v1, 4, v75
	s_lshl_b32 s0, s36, 6
	s_delay_alu instid0(SALU_CYCLE_1)
	s_mul_i32 s1, s0, s34
	v_add_nc_u32_e32 v2, 2, v20
	s_mul_i32 s6, s1, s9
	v_and_or_b32 v0, 0x3800, v0, v1
	v_mul_lo_u32 v1, v20, s0
	s_ashr_i32 s7, s6, 31
	v_mul_lo_u32 v11, v2, s0
	s_lshl_b64 s[6:7], s[6:7], 1
	v_add_nc_u32_e32 v3, 4, v20
	v_lshl_or_b32 v21, v74, 6, v0
	v_add_nc_u32_e32 v16, 6, v20
	v_ashrrev_i32_e32 v2, 31, v1
	s_delay_alu instid0(VALU_DEP_4)
	v_mul_lo_u32 v13, v3, s0
	s_waitcnt lgkmcnt(0)
	s_add_u32 s1, s4, s6
	s_addc_u32 s2, s5, s7
	s_lshl_b32 s4, s14, 6
	ds_load_b128 v[3:6], v21
	ds_load_b128 v[7:10], v21 offset:128
	s_ashr_i32 s5, s4, 31
	v_ashrrev_i32_e32 v12, 31, v11
	s_lshl_b64 s[4:5], s[4:5], 1
	v_lshlrev_b64 v[14:15], 1, v[1:2]
	s_add_u32 s1, s1, s4
	s_addc_u32 s2, s2, s5
	v_add_co_u32 v1, s1, s1, v73
	s_delay_alu instid0(VALU_DEP_1) | instskip(SKIP_1) | instid1(VALU_DEP_3)
	v_add_co_ci_u32_e64 v2, null, s2, 0, s1
	v_lshlrev_b64 v[11:12], 1, v[11:12]
	v_add_co_u32 v18, vcc_lo, v1, v14
	v_mul_lo_u32 v16, v16, s0
	s_delay_alu instid0(VALU_DEP_4) | instskip(NEXT) | instid1(VALU_DEP_4)
	v_add_co_ci_u32_e32 v19, vcc_lo, v2, v15, vcc_lo
	v_add_co_u32 v11, vcc_lo, v1, v11
	v_ashrrev_i32_e32 v14, 31, v13
	v_add_co_ci_u32_e32 v12, vcc_lo, v2, v12, vcc_lo
	v_add_nc_u32_e32 v15, 8, v20
	v_ashrrev_i32_e32 v17, 31, v16
	s_waitcnt lgkmcnt(1)
	global_store_b128 v[18:19], v[3:6], off
	v_lshlrev_b64 v[3:4], 1, v[13:14]
	s_waitcnt lgkmcnt(0)
	global_store_b128 v[11:12], v[7:10], off
	v_mul_lo_u32 v11, v15, s0
	v_add_nc_u32_e32 v7, 10, v20
	v_lshlrev_b64 v[5:6], 1, v[16:17]
	v_add_co_u32 v23, vcc_lo, v1, v3
	v_add_nc_u32_e32 v3, 12, v20
	s_delay_alu instid0(VALU_DEP_4)
	v_mul_lo_u32 v25, v7, s0
	v_ashrrev_i32_e32 v12, 31, v11
	v_add_co_ci_u32_e32 v24, vcc_lo, v2, v4, vcc_lo
	v_add_co_u32 v27, vcc_lo, v1, v5
	v_mul_lo_u32 v29, v3, s0
	v_add_co_ci_u32_e32 v28, vcc_lo, v2, v6, vcc_lo
	ds_load_b128 v[3:6], v21 offset:256
	ds_load_b128 v[7:10], v21 offset:384
	v_lshlrev_b64 v[31:32], 1, v[11:12]
	ds_load_b128 v[11:14], v21 offset:512
	ds_load_b128 v[15:18], v21 offset:640
	;; [unrolled: 1-line block ×3, first 2 shown]
	v_ashrrev_i32_e32 v26, 31, v25
	v_ashrrev_i32_e32 v30, 31, v29
	v_add_co_u32 v31, vcc_lo, v1, v31
	s_delay_alu instid0(VALU_DEP_3) | instskip(NEXT) | instid1(VALU_DEP_3)
	v_lshlrev_b64 v[25:26], 1, v[25:26]
	v_lshlrev_b64 v[29:30], 1, v[29:30]
	v_add_co_ci_u32_e32 v32, vcc_lo, v2, v32, vcc_lo
	s_delay_alu instid0(VALU_DEP_3) | instskip(NEXT) | instid1(VALU_DEP_4)
	v_add_co_u32 v25, vcc_lo, v1, v25
	v_add_co_ci_u32_e32 v26, vcc_lo, v2, v26, vcc_lo
	s_delay_alu instid0(VALU_DEP_4)
	v_add_co_u32 v29, vcc_lo, v1, v29
	v_add_co_ci_u32_e32 v30, vcc_lo, v2, v30, vcc_lo
	s_waitcnt lgkmcnt(4)
	global_store_b128 v[23:24], v[3:6], off
	s_waitcnt lgkmcnt(3)
	global_store_b128 v[27:28], v[7:10], off
	;; [unrolled: 2-line block ×5, first 2 shown]
	s_and_b32 exec_lo, exec_lo, s3
	s_cbranch_execz .LBB1724_2
; %bb.112:
	ds_load_b128 v[3:6], v0 offset:896
	s_add_i32 s1, s31, 14
	s_delay_alu instid0(SALU_CYCLE_1) | instskip(NEXT) | instid1(SALU_CYCLE_1)
	s_mul_i32 s0, s1, s0
	s_ashr_i32 s1, s0, 31
	s_delay_alu instid0(SALU_CYCLE_1) | instskip(NEXT) | instid1(SALU_CYCLE_1)
	s_lshl_b64 s[0:1], s[0:1], 1
	v_add_co_u32 v0, vcc_lo, v1, s0
	v_add_co_ci_u32_e32 v1, vcc_lo, s1, v2, vcc_lo
	s_waitcnt lgkmcnt(0)
	global_store_b128 v[0:1], v[3:6], off
	s_nop 0
	s_sendmsg sendmsg(MSG_DEALLOC_VGPRS)
	s_endpgm
	.section	.rodata,"a",@progbits
	.p2align	6, 0x0
	.amdhsa_kernel _Z39paged_attention_ll4mi_QKV_mfma16_kernelI14__hip_bfloat16hLN4vllm18Fp8KVCacheDataTypeE1ES0_Li16ELi64ELi256ELb0ELi15EL8MFMAType0EEvPKT_PKT0_S9_ifPKiSB_SB_iPKfiiiPfSE_PS4_PT2_iSD_SD_
		.amdhsa_group_segment_fixed_size 17472
		.amdhsa_private_segment_fixed_size 0
		.amdhsa_kernarg_size 400
		.amdhsa_user_sgpr_count 13
		.amdhsa_user_sgpr_dispatch_ptr 0
		.amdhsa_user_sgpr_queue_ptr 0
		.amdhsa_user_sgpr_kernarg_segment_ptr 1
		.amdhsa_user_sgpr_dispatch_id 0
		.amdhsa_user_sgpr_private_segment_size 0
		.amdhsa_wavefront_size32 1
		.amdhsa_uses_dynamic_stack 0
		.amdhsa_enable_private_segment 0
		.amdhsa_system_sgpr_workgroup_id_x 1
		.amdhsa_system_sgpr_workgroup_id_y 1
		.amdhsa_system_sgpr_workgroup_id_z 1
		.amdhsa_system_sgpr_workgroup_info 0
		.amdhsa_system_vgpr_workitem_id 0
		.amdhsa_next_free_vgpr 124
		.amdhsa_next_free_sgpr 40
		.amdhsa_reserve_vcc 1
		.amdhsa_float_round_mode_32 0
		.amdhsa_float_round_mode_16_64 0
		.amdhsa_float_denorm_mode_32 3
		.amdhsa_float_denorm_mode_16_64 3
		.amdhsa_dx10_clamp 1
		.amdhsa_ieee_mode 1
		.amdhsa_fp16_overflow 0
		.amdhsa_workgroup_processor_mode 1
		.amdhsa_memory_ordered 1
		.amdhsa_forward_progress 0
		.amdhsa_shared_vgpr_count 0
		.amdhsa_exception_fp_ieee_invalid_op 0
		.amdhsa_exception_fp_denorm_src 0
		.amdhsa_exception_fp_ieee_div_zero 0
		.amdhsa_exception_fp_ieee_overflow 0
		.amdhsa_exception_fp_ieee_underflow 0
		.amdhsa_exception_fp_ieee_inexact 0
		.amdhsa_exception_int_div_zero 0
	.end_amdhsa_kernel
	.section	.text._Z39paged_attention_ll4mi_QKV_mfma16_kernelI14__hip_bfloat16hLN4vllm18Fp8KVCacheDataTypeE1ES0_Li16ELi64ELi256ELb0ELi15EL8MFMAType0EEvPKT_PKT0_S9_ifPKiSB_SB_iPKfiiiPfSE_PS4_PT2_iSD_SD_,"axG",@progbits,_Z39paged_attention_ll4mi_QKV_mfma16_kernelI14__hip_bfloat16hLN4vllm18Fp8KVCacheDataTypeE1ES0_Li16ELi64ELi256ELb0ELi15EL8MFMAType0EEvPKT_PKT0_S9_ifPKiSB_SB_iPKfiiiPfSE_PS4_PT2_iSD_SD_,comdat
.Lfunc_end1724:
	.size	_Z39paged_attention_ll4mi_QKV_mfma16_kernelI14__hip_bfloat16hLN4vllm18Fp8KVCacheDataTypeE1ES0_Li16ELi64ELi256ELb0ELi15EL8MFMAType0EEvPKT_PKT0_S9_ifPKiSB_SB_iPKfiiiPfSE_PS4_PT2_iSD_SD_, .Lfunc_end1724-_Z39paged_attention_ll4mi_QKV_mfma16_kernelI14__hip_bfloat16hLN4vllm18Fp8KVCacheDataTypeE1ES0_Li16ELi64ELi256ELb0ELi15EL8MFMAType0EEvPKT_PKT0_S9_ifPKiSB_SB_iPKfiiiPfSE_PS4_PT2_iSD_SD_
                                        ; -- End function
	.section	.AMDGPU.csdata,"",@progbits
; Kernel info:
; codeLenInByte = 9008
; NumSgprs: 42
; NumVgprs: 124
; ScratchSize: 0
; MemoryBound: 0
; FloatMode: 240
; IeeeMode: 1
; LDSByteSize: 17472 bytes/workgroup (compile time only)
; SGPRBlocks: 5
; VGPRBlocks: 15
; NumSGPRsForWavesPerEU: 42
; NumVGPRsForWavesPerEU: 124
; Occupancy: 10
; WaveLimiterHint : 1
; COMPUTE_PGM_RSRC2:SCRATCH_EN: 0
; COMPUTE_PGM_RSRC2:USER_SGPR: 13
; COMPUTE_PGM_RSRC2:TRAP_HANDLER: 0
; COMPUTE_PGM_RSRC2:TGID_X_EN: 1
; COMPUTE_PGM_RSRC2:TGID_Y_EN: 1
; COMPUTE_PGM_RSRC2:TGID_Z_EN: 1
; COMPUTE_PGM_RSRC2:TIDIG_COMP_CNT: 0
	.section	.text._Z39paged_attention_ll4mi_QKV_mfma16_kernelI14__hip_bfloat16hLN4vllm18Fp8KVCacheDataTypeE1ES0_Li16ELi64ELi256ELb0ELi16EL8MFMAType0EEvPKT_PKT0_S9_ifPKiSB_SB_iPKfiiiPfSE_PS4_PT2_iSD_SD_,"axG",@progbits,_Z39paged_attention_ll4mi_QKV_mfma16_kernelI14__hip_bfloat16hLN4vllm18Fp8KVCacheDataTypeE1ES0_Li16ELi64ELi256ELb0ELi16EL8MFMAType0EEvPKT_PKT0_S9_ifPKiSB_SB_iPKfiiiPfSE_PS4_PT2_iSD_SD_,comdat
	.protected	_Z39paged_attention_ll4mi_QKV_mfma16_kernelI14__hip_bfloat16hLN4vllm18Fp8KVCacheDataTypeE1ES0_Li16ELi64ELi256ELb0ELi16EL8MFMAType0EEvPKT_PKT0_S9_ifPKiSB_SB_iPKfiiiPfSE_PS4_PT2_iSD_SD_ ; -- Begin function _Z39paged_attention_ll4mi_QKV_mfma16_kernelI14__hip_bfloat16hLN4vllm18Fp8KVCacheDataTypeE1ES0_Li16ELi64ELi256ELb0ELi16EL8MFMAType0EEvPKT_PKT0_S9_ifPKiSB_SB_iPKfiiiPfSE_PS4_PT2_iSD_SD_
	.globl	_Z39paged_attention_ll4mi_QKV_mfma16_kernelI14__hip_bfloat16hLN4vllm18Fp8KVCacheDataTypeE1ES0_Li16ELi64ELi256ELb0ELi16EL8MFMAType0EEvPKT_PKT0_S9_ifPKiSB_SB_iPKfiiiPfSE_PS4_PT2_iSD_SD_
	.p2align	8
	.type	_Z39paged_attention_ll4mi_QKV_mfma16_kernelI14__hip_bfloat16hLN4vllm18Fp8KVCacheDataTypeE1ES0_Li16ELi64ELi256ELb0ELi16EL8MFMAType0EEvPKT_PKT0_S9_ifPKiSB_SB_iPKfiiiPfSE_PS4_PT2_iSD_SD_,@function
_Z39paged_attention_ll4mi_QKV_mfma16_kernelI14__hip_bfloat16hLN4vllm18Fp8KVCacheDataTypeE1ES0_Li16ELi64ELi256ELb0ELi16EL8MFMAType0EEvPKT_PKT0_S9_ifPKiSB_SB_iPKfiiiPfSE_PS4_PT2_iSD_SD_: ; @_Z39paged_attention_ll4mi_QKV_mfma16_kernelI14__hip_bfloat16hLN4vllm18Fp8KVCacheDataTypeE1ES0_Li16ELi64ELi256ELb0ELi16EL8MFMAType0EEvPKT_PKT0_S9_ifPKiSB_SB_iPKfiiiPfSE_PS4_PT2_iSD_SD_
; %bb.0:
	s_load_b64 s[2:3], s[0:1], 0x30
	s_mov_b32 s30, s13
	s_waitcnt lgkmcnt(0)
	s_cmp_lg_u64 s[2:3], 0
	s_cselect_b32 s8, -1, 0
	s_ashr_i32 s31, s13, 31
	s_cmp_eq_u64 s[2:3], 0
	s_cbranch_scc1 .LBB1725_3
; %bb.1:
	s_lshl_b64 s[4:5], s[30:31], 2
	s_delay_alu instid0(SALU_CYCLE_1) | instskip(SKIP_4) | instid1(SALU_CYCLE_1)
	s_add_u32 s4, s2, s4
	s_addc_u32 s5, s3, s5
	s_load_b64 s[4:5], s[4:5], 0x0
	s_waitcnt lgkmcnt(0)
	s_sub_i32 s4, s5, s4
	s_cmp_eq_u32 s4, 1
	s_cselect_b32 s4, -1, 0
	s_delay_alu instid0(SALU_CYCLE_1)
	s_and_not1_b32 vcc_lo, exec_lo, s4
	s_cbranch_vccz .LBB1725_4
.LBB1725_2:
	s_endpgm
.LBB1725_3:
.LBB1725_4:
	s_load_b64 s[4:5], s[0:1], 0x28
	s_lshl_b64 s[6:7], s[30:31], 2
	s_waitcnt lgkmcnt(0)
	s_add_u32 s4, s4, s6
	s_addc_u32 s5, s5, s7
	s_lshl_b32 s12, s14, 8
	s_load_b32 s24, s[4:5], 0x0
	s_waitcnt lgkmcnt(0)
	s_cmp_ge_i32 s12, s24
	s_cbranch_scc1 .LBB1725_2
; %bb.5:
	s_clause 0x1
	s_load_b128 s[20:23], s[0:1], 0x8
	s_load_b64 s[4:5], s[0:1], 0x20
	s_and_not1_b32 vcc_lo, exec_lo, s8
	s_cbranch_vccnz .LBB1725_7
; %bb.6:
	s_add_u32 s2, s2, s6
	s_addc_u32 s3, s3, s7
	s_load_b32 s3, s[2:3], 0x0
	s_branch .LBB1725_8
.LBB1725_7:
	s_mov_b32 s3, s30
.LBB1725_8:
	s_load_b128 s[16:19], s[0:1], 0x48
	v_and_b32_e32 v66, 15, v0
	v_cmp_gt_u32_e32 vcc_lo, 0x100, v0
	v_lshrrev_b32_e32 v65, 5, v0
	v_and_b32_e32 v67, 31, v0
	v_and_b32_e32 v75, 1, v0
	v_lshlrev_b32_e32 v1, 3, v66
	v_cmp_gt_u32_e64 s2, 8, v66
	v_bfe_u32 v74, v0, 4, 1
	s_lshl_b32 s31, s15, 4
	s_delay_alu instid0(VALU_DEP_3) | instskip(NEXT) | instid1(VALU_DEP_3)
	v_lshlrev_b32_e32 v73, 1, v1
	s_and_b32 s7, vcc_lo, s2
	s_delay_alu instid0(SALU_CYCLE_1)
	s_and_saveexec_b32 s6, s7
	s_cbranch_execz .LBB1725_10
; %bb.9:
	v_lshl_or_b32 v5, v65, 1, v74
	s_load_b64 s[8:9], s[0:1], 0x0
	s_waitcnt lgkmcnt(0)
	s_mul_hi_i32 s11, s3, s16
	s_mul_i32 s10, s3, s16
	v_lshlrev_b32_e32 v6, 10, v66
	v_or_b32_e32 v1, s31, v5
	s_lshl_b64 s[10:11], s[10:11], 1
	v_lshlrev_b32_e32 v5, 6, v5
	v_lshlrev_b32_e32 v7, 10, v75
	v_and_b32_e32 v6, 0x3800, v6
	v_lshlrev_b32_e32 v1, 6, v1
	s_delay_alu instid0(VALU_DEP_2) | instskip(NEXT) | instid1(VALU_DEP_2)
	v_or3_b32 v5, v6, v7, v5
	v_ashrrev_i32_e32 v2, 31, v1
	s_delay_alu instid0(VALU_DEP_1) | instskip(SKIP_2) | instid1(VALU_DEP_1)
	v_lshlrev_b64 v[1:2], 1, v[1:2]
	s_add_u32 s3, s8, s10
	s_addc_u32 s7, s9, s11
	v_add_co_u32 v1, vcc_lo, s3, v1
	s_delay_alu instid0(VALU_DEP_2) | instskip(NEXT) | instid1(VALU_DEP_2)
	v_add_co_ci_u32_e32 v2, vcc_lo, s7, v2, vcc_lo
	v_add_co_u32 v1, vcc_lo, v1, v73
	s_delay_alu instid0(VALU_DEP_2)
	v_add_co_ci_u32_e32 v2, vcc_lo, 0, v2, vcc_lo
	global_load_b128 v[1:4], v[1:2], off
	s_waitcnt vmcnt(0)
	ds_store_b128 v5, v[1:4]
.LBB1725_10:
	s_or_b32 exec_lo, exec_lo, s6
	v_and_b32_e32 v1, 0xef, v0
	s_waitcnt lgkmcnt(0)
	s_add_i32 s3, s24, 15
	s_clause 0x1
	s_load_b32 s6, s[0:1], 0x38
	s_load_b32 s19, s[0:1], 0x1c
	s_ashr_i32 s7, s3, 31
	v_add_nc_u32_e32 v1, s12, v1
	s_lshr_b32 s7, s7, 28
	s_waitcnt lgkmcnt(0)
	s_add_i32 s3, s3, s7
	s_barrier
	v_ashrrev_i32_e32 v2, 31, v1
	v_or_b32_e32 v3, 16, v1
	s_ashr_i32 s3, s3, 4
	v_cmp_gt_i32_e32 vcc_lo, s24, v1
	s_add_i32 s3, s3, -1
	v_lshrrev_b32_e32 v2, 28, v2
	buffer_gl0_inv
	s_mul_i32 s27, s15, s18
	v_add_nc_u32_e32 v4, v1, v2
	s_mul_i32 s6, s30, s6
	s_delay_alu instid0(SALU_CYCLE_1) | instskip(NEXT) | instid1(VALU_DEP_1)
	s_ashr_i32 s7, s6, 31
	v_ashrrev_i32_e32 v4, 4, v4
	v_add_nc_u32_e32 v2, v3, v2
	s_lshl_b64 s[6:7], s[6:7], 2
	s_delay_alu instid0(SALU_CYCLE_1) | instskip(NEXT) | instid1(VALU_DEP_2)
	s_add_u32 s26, s4, s6
	v_cndmask_b32_e32 v1, s3, v4, vcc_lo
	s_delay_alu instid0(VALU_DEP_2)
	v_ashrrev_i32_e32 v2, 4, v2
	v_cmp_gt_i32_e32 vcc_lo, s24, v3
	s_addc_u32 s25, s5, s7
	s_ashr_i32 s28, s27, 31
	s_add_u32 s13, s20, s27
	s_addc_u32 s15, s21, s28
	v_cndmask_b32_e32 v3, s3, v2, vcc_lo
	v_ashrrev_i32_e32 v2, 31, v1
	s_lshl_b32 s4, s14, 4
	s_delay_alu instid0(SALU_CYCLE_1) | instskip(NEXT) | instid1(VALU_DEP_2)
	s_ashr_i32 s5, s4, 31
	v_ashrrev_i32_e32 v4, 31, v3
	s_delay_alu instid0(VALU_DEP_2) | instskip(SKIP_1) | instid1(SALU_CYCLE_1)
	v_lshlrev_b64 v[1:2], 2, v[1:2]
	s_lshl_b64 s[4:5], s[4:5], 2
	s_add_u32 s4, s26, s4
	s_delay_alu instid0(VALU_DEP_2) | instskip(SKIP_1) | instid1(VALU_DEP_2)
	v_lshlrev_b64 v[3:4], 2, v[3:4]
	s_addc_u32 s5, s25, s5
	v_add_co_u32 v1, vcc_lo, s26, v1
	v_add_co_ci_u32_e32 v2, vcc_lo, s25, v2, vcc_lo
	s_delay_alu instid0(VALU_DEP_3) | instskip(NEXT) | instid1(VALU_DEP_4)
	v_add_co_u32 v3, vcc_lo, s26, v3
	v_add_co_ci_u32_e32 v4, vcc_lo, s25, v4, vcc_lo
	s_clause 0x1
	global_load_b32 v5, v[1:2], off
	global_load_b32 v7, v[3:4], off
	s_or_b32 s6, s12, 32
	v_lshlrev_b32_e32 v1, 4, v0
	s_ashr_i32 s7, s6, 4
	s_cmp_lt_i32 s6, s24
	s_cselect_b32 s6, s7, s3
	s_delay_alu instid0(VALU_DEP_1) | instskip(SKIP_1) | instid1(SALU_CYCLE_1)
	v_and_b32_e32 v1, 0xf0, v1
	s_ashr_i32 s7, s6, 31
	s_lshl_b64 s[6:7], s[6:7], 2
	s_delay_alu instid0(SALU_CYCLE_1)
	s_add_u32 s6, s26, s6
	s_addc_u32 s7, s25, s7
	s_or_b32 s8, s12, 64
	v_add_co_u32 v1, s13, s13, v1
	s_ashr_i32 s9, s8, 4
	s_cmp_lt_i32 s8, s24
	v_add_co_ci_u32_e64 v2, null, s15, 0, s13
	s_cselect_b32 s8, s9, s3
	s_delay_alu instid0(SALU_CYCLE_1) | instskip(NEXT) | instid1(SALU_CYCLE_1)
	s_ashr_i32 s9, s8, 31
	s_lshl_b64 s[8:9], s[8:9], 2
	s_delay_alu instid0(SALU_CYCLE_1) | instskip(SKIP_2) | instid1(SALU_CYCLE_1)
	s_add_u32 s8, s26, s8
	s_addc_u32 s9, s25, s9
	s_or_b32 s10, s12, 0x60
	s_ashr_i32 s11, s10, 4
	s_cmp_lt_i32 s10, s24
	s_cselect_b32 s10, s11, s3
	s_delay_alu instid0(SALU_CYCLE_1) | instskip(NEXT) | instid1(SALU_CYCLE_1)
	s_ashr_i32 s11, s10, 31
	s_lshl_b64 s[10:11], s[10:11], 2
	s_delay_alu instid0(SALU_CYCLE_1) | instskip(SKIP_2) | instid1(SALU_CYCLE_1)
	s_add_u32 s10, s26, s10
	s_addc_u32 s11, s25, s11
	s_or_b32 s16, s12, 0x80
	s_ashr_i32 s18, s16, 4
	s_cmp_lt_i32 s16, s24
	;; [unrolled: 10-line block ×3, first 2 shown]
	s_cselect_b32 s20, s18, s3
	s_delay_alu instid0(SALU_CYCLE_1) | instskip(NEXT) | instid1(SALU_CYCLE_1)
	s_ashr_i32 s21, s20, 31
	s_lshl_b64 s[20:21], s[20:21], 2
	s_delay_alu instid0(SALU_CYCLE_1)
	s_add_u32 s36, s26, s20
	s_addc_u32 s37, s25, s21
	s_clause 0x5
	s_load_b32 s21, s[4:5], 0x0
	s_load_b32 s13, s[6:7], 0x0
	;; [unrolled: 1-line block ×6, first 2 shown]
	s_or_b32 s6, s12, 0xc0
	s_mov_b32 s4, 0
	s_ashr_i32 s7, s6, 4
	s_cmp_lt_i32 s6, s24
	s_mov_b32 s5, s4
	s_cselect_b32 s10, s7, s3
	s_mov_b32 s6, s4
	s_ashr_i32 s11, s10, 31
	s_mov_b32 s7, s4
	s_lshl_b64 s[10:11], s[10:11], 2
	s_mov_b32 s8, s4
	s_add_u32 s34, s26, s10
	s_addc_u32 s35, s25, s11
	s_or_b32 s11, s12, 0xe0
	s_mov_b32 s9, s4
	s_ashr_i32 s29, s11, 4
	s_cmp_lt_i32 s11, s24
	s_mov_b32 s11, s4
	s_cselect_b32 s36, s29, s3
	s_mov_b32 s10, s4
	s_ashr_i32 s37, s36, 31
	v_mov_b32_e32 v108, s11
	v_mov_b32_e32 v102, s5
	v_dual_mov_b32 v105, s8 :: v_dual_lshlrev_b32 v76, 6, v66
	v_dual_mov_b32 v107, s10 :: v_dual_mov_b32 v106, s9
	v_dual_mov_b32 v104, s7 :: v_dual_mov_b32 v103, s6
	v_mov_b32_e32 v101, s4
	s_lshl_b64 s[4:5], s[36:37], 2
	s_delay_alu instid0(SALU_CYCLE_1)
	s_add_u32 s4, s26, s4
	s_addc_u32 s5, s25, s5
	s_add_u32 s6, s22, s27
	s_addc_u32 s7, s23, s28
	s_waitcnt vmcnt(1)
	v_mad_i64_i32 v[3:4], null, v5, s17, v[1:2]
	s_waitcnt vmcnt(0)
	v_mad_i64_i32 v[5:6], null, v7, s17, v[1:2]
	v_lshlrev_b32_e32 v1, 4, v66
	s_clause 0x7
	global_load_b128 v[49:52], v[3:4], off
	global_load_b128 v[53:56], v[3:4], off offset:256
	global_load_b128 v[77:80], v[5:6], off
	global_load_b128 v[81:84], v[5:6], off offset:256
	global_load_b128 v[85:88], v[3:4], off offset:512
	global_load_b128 v[89:92], v[3:4], off offset:768
	global_load_b128 v[93:96], v[5:6], off offset:512
	global_load_b128 v[97:100], v[5:6], off offset:768
	v_lshl_or_b32 v1, v65, 8, v1
	s_load_b32 s3, s[34:35], 0x0
	ds_load_b128 v[109:112], v76
	ds_load_b128 v[113:116], v76 offset:1024
	s_load_b32 s4, s[4:5], 0x0
	v_add_co_u32 v9, s6, s6, v1
	s_delay_alu instid0(VALU_DEP_1) | instskip(SKIP_1) | instid1(VALU_DEP_1)
	v_add_co_ci_u32_e64 v10, null, s7, 0, s6
	s_waitcnt lgkmcnt(0)
	v_mad_i64_i32 v[1:2], null, s21, s17, v[9:10]
	v_mad_i64_i32 v[3:4], null, s13, s17, v[9:10]
	;; [unrolled: 1-line block ×7, first 2 shown]
	s_clause 0x9
	global_load_b128 v[57:60], v[1:2], off
	global_load_b128 v[61:64], v[1:2], off offset:16
	global_load_b128 v[41:44], v[3:4], off
	global_load_b128 v[45:48], v[3:4], off offset:16
	;; [unrolled: 2-line block ×5, first 2 shown]
	v_mad_i64_i32 v[68:69], null, s4, s17, v[9:10]
	s_clause 0x3
	global_load_b128 v[9:12], v[13:14], off
	global_load_b128 v[13:16], v[13:14], off offset:16
	global_load_b128 v[17:20], v[21:22], off
	global_load_b128 v[21:24], v[21:22], off offset:16
	s_waitcnt vmcnt(20)
	v_wmma_f32_16x16x16_bf16 v[117:124], v[49:56], v[109:116], v[101:108]
	s_clause 0x1
	global_load_b128 v[49:52], v[68:69], off
	global_load_b128 v[53:56], v[68:69], off offset:16
	v_and_b32_e32 v68, 0xe0, v0
	v_mbcnt_lo_u32_b32 v69, -1, 0
	s_delay_alu instid0(VALU_DEP_2)
	v_add_nc_u32_e32 v68, s12, v68
	s_waitcnt vmcnt(20)
	v_wmma_f32_16x16x16_bf16 v[101:108], v[77:84], v[109:116], v[101:108]
	ds_load_b128 v[77:80], v76 offset:2048
	ds_load_b128 v[81:84], v76 offset:3072
	v_xor_b32_e32 v70, 16, v69
	s_waitcnt vmcnt(0) lgkmcnt(0)
	v_or_b32_e32 v68, v68, v74
	s_barrier
	buffer_gl0_inv
	v_cmp_gt_i32_e32 vcc_lo, 32, v70
	v_or_b32_e32 v71, 4, v68
	v_or_b32_e32 v72, 6, v68
	v_cmp_gt_i32_e64 s3, s24, v68
	v_or_b32_e32 v109, 8, v68
	s_delay_alu instid0(VALU_DEP_4) | instskip(NEXT) | instid1(VALU_DEP_4)
	v_cmp_gt_i32_e64 s4, s24, v71
	v_cmp_gt_i32_e64 s5, s24, v72
	s_delay_alu instid0(VALU_DEP_3)
	v_cmp_gt_i32_e64 s6, s24, v109
	v_wmma_f32_16x16x16_bf16 v[117:124], v[85:92], v[77:84], v[117:124]
	v_cndmask_b32_e32 v69, v69, v70, vcc_lo
	v_or_b32_e32 v70, 2, v68
	v_wmma_f32_16x16x16_bf16 v[101:108], v[93:100], v[77:84], v[101:108]
	v_or_b32_e32 v85, 10, v68
	v_dual_mul_f32 v84, s19, v120 :: v_dual_mul_f32 v83, s19, v121
	v_dual_mul_f32 v94, s19, v118 :: v_dual_mul_f32 v95, s19, v117
	s_delay_alu instid0(VALU_DEP_4) | instskip(SKIP_2) | instid1(VALU_DEP_4)
	v_mul_f32_e32 v98, s19, v106
	v_cmp_gt_i32_e32 vcc_lo, s24, v70
	v_dual_mul_f32 v93, s19, v119 :: v_dual_mul_f32 v96, s19, v108
	v_cndmask_b32_e64 v95, 0xff7fffff, v95, s3
	v_or_b32_e32 v86, 12, v68
	v_cndmask_b32_e32 v94, 0xff7fffff, v94, vcc_lo
	v_or_b32_e32 v87, 14, v68
	v_dual_mul_f32 v81, s19, v123 :: v_dual_mul_f32 v82, s19, v122
	v_cndmask_b32_e64 v93, 0xff7fffff, v93, s4
	v_cndmask_b32_e64 v72, 0xff7fffff, v84, s5
	v_max3_f32 v84, v95, 0xff7fffff, v94
	v_cmp_gt_i32_e64 s7, s24, v85
	v_or_b32_e32 v88, 16, v68
	v_or_b32_e32 v89, 18, v68
	v_mul_f32_e32 v80, s19, v124
	v_cndmask_b32_e64 v83, 0xff7fffff, v83, s6
	v_cndmask_b32_e64 v82, 0xff7fffff, v82, s7
	v_max3_f32 v72, v84, v93, v72
	v_cmp_gt_i32_e64 s8, s24, v86
	v_cmp_gt_i32_e64 s9, s24, v87
	v_or_b32_e32 v90, 20, v68
	v_or_b32_e32 v91, 22, v68
	;; [unrolled: 1-line block ×6, first 2 shown]
	v_dual_mul_f32 v68, s19, v102 :: v_dual_mul_f32 v71, s19, v101
	v_cndmask_b32_e64 v81, 0xff7fffff, v81, s8
	v_cndmask_b32_e64 v80, 0xff7fffff, v80, s9
	v_max3_f32 v72, v72, v83, v82
	v_cmp_gt_i32_e64 s10, s24, v88
	v_cmp_gt_i32_e64 s11, s24, v89
	v_dual_mul_f32 v97, s19, v107 :: v_dual_mul_f32 v100, s19, v104
	v_dual_mul_f32 v99, s19, v105 :: v_dual_mul_f32 v70, s19, v103
	s_delay_alu instid0(VALU_DEP_4) | instskip(NEXT) | instid1(VALU_DEP_4)
	v_cndmask_b32_e64 v71, 0xff7fffff, v71, s10
	v_cndmask_b32_e64 v68, 0xff7fffff, v68, s11
	v_max3_f32 v72, v72, v81, v80
	v_cmp_gt_i32_e64 s12, s24, v90
	v_cmp_gt_i32_e64 s13, s24, v91
	;; [unrolled: 1-line block ×4, first 2 shown]
	v_max3_f32 v68, v72, v71, v68
	v_cndmask_b32_e64 v70, 0xff7fffff, v70, s12
	v_cndmask_b32_e64 v80, 0xff7fffff, v100, s13
	;; [unrolled: 1-line block ×4, first 2 shown]
	v_cmp_gt_i32_e64 s17, s24, v78
	v_cmp_gt_i32_e64 s18, s24, v79
	v_max3_f32 v68, v68, v70, v80
	v_lshlrev_b32_e32 v90, 2, v69
	s_delay_alu instid0(VALU_DEP_4) | instskip(NEXT) | instid1(VALU_DEP_4)
	v_cndmask_b32_e64 v70, 0xff7fffff, v97, s17
	v_cndmask_b32_e64 v77, 0xff7fffff, v96, s18
	s_delay_alu instid0(VALU_DEP_4) | instskip(NEXT) | instid1(VALU_DEP_1)
	v_max3_f32 v68, v68, v71, v72
	v_max3_f32 v68, v68, v70, v77
	ds_bpermute_b32 v69, v90, v68
	s_waitcnt lgkmcnt(0)
	v_max_f32_e32 v69, v69, v69
	s_delay_alu instid0(VALU_DEP_1) | instskip(NEXT) | instid1(VALU_DEP_1)
	v_max_f32_e32 v81, v68, v69
	v_fma_f32 v68, s19, v117, -v81
	s_delay_alu instid0(VALU_DEP_1)
	v_mul_f32_e32 v68, 0x3fb8aa3b, v68
	v_fma_f32 v69, s19, v118, -v81
	v_fma_f32 v71, s19, v120, -v81
	;; [unrolled: 1-line block ×4, first 2 shown]
	v_exp_f32_e32 v68, v68
	v_mul_f32_e32 v69, 0x3fb8aa3b, v69
	s_delay_alu instid0(VALU_DEP_3) | instskip(NEXT) | instid1(VALU_DEP_3)
	v_dual_mul_f32 v71, 0x3fb8aa3b, v71 :: v_dual_mul_f32 v72, 0x3fb8aa3b, v72
	v_mul_f32_e32 v70, 0x3fb8aa3b, v70
	v_fma_f32 v78, s19, v123, -v81
	s_delay_alu instid0(VALU_DEP_4) | instskip(NEXT) | instid1(VALU_DEP_3)
	v_exp_f32_e32 v69, v69
	v_exp_f32_e32 v71, v71
	;; [unrolled: 1-line block ×4, first 2 shown]
	v_cndmask_b32_e64 v82, 0, v68, s3
	v_fma_f32 v68, s19, v122, -v81
	v_mul_f32_e32 v78, 0x3fb8aa3b, v78
	v_fma_f32 v80, s19, v106, -v81
	s_mov_b32 s3, exec_lo
	s_delay_alu instid0(VALU_DEP_3) | instskip(NEXT) | instid1(TRANS32_DEP_2)
	v_dual_cndmask_b32 v77, 0, v69 :: v_dual_mul_f32 v68, 0x3fb8aa3b, v68
	v_cndmask_b32_e64 v86, 0, v72, s6
	v_fma_f32 v72, s19, v102, -v81
	v_add_f32_e32 v69, 0, v82
	v_cndmask_b32_e64 v83, 0, v70, s4
	v_exp_f32_e32 v68, v68
	v_fma_f32 v70, s19, v124, -v81
	s_delay_alu instid0(VALU_DEP_3) | instskip(SKIP_2) | instid1(VALU_DEP_4)
	v_dual_mul_f32 v72, 0x3fb8aa3b, v72 :: v_dual_add_f32 v69, v69, v77
	v_cndmask_b32_e64 v85, 0, v71, s5
	v_fma_f32 v71, s19, v101, -v81
	v_mul_f32_e32 v70, 0x3fb8aa3b, v70
	v_exp_f32_e32 v78, v78
	v_add_f32_e32 v69, v69, v83
	v_exp_f32_e32 v72, v72
	s_delay_alu instid0(TRANS32_DEP_3) | instskip(SKIP_1) | instid1(VALU_DEP_2)
	v_cndmask_b32_e64 v87, 0, v68, s7
	v_exp_f32_e32 v70, v70
	v_add_f32_e32 v69, v69, v85
	v_mul_f32_e32 v71, 0x3fb8aa3b, v71
	s_delay_alu instid0(TRANS32_DEP_3) | instskip(NEXT) | instid1(VALU_DEP_3)
	v_cndmask_b32_e64 v84, 0, v78, s8
	v_add_f32_e32 v68, v69, v86
	v_fma_f32 v69, s19, v103, -v81
	s_delay_alu instid0(VALU_DEP_4) | instskip(SKIP_1) | instid1(TRANS32_DEP_2)
	v_exp_f32_e32 v71, v71
	v_fma_f32 v78, s19, v104, -v81
	v_cndmask_b32_e64 v88, 0, v70, s9
	s_delay_alu instid0(VALU_DEP_3) | instskip(SKIP_1) | instid1(VALU_DEP_2)
	v_dual_add_f32 v68, v68, v87 :: v_dual_mul_f32 v69, 0x3fb8aa3b, v69
	v_fma_f32 v70, s19, v105, -v81
	v_add_f32_e32 v68, v68, v84
	v_mul_f32_e32 v78, 0x3fb8aa3b, v78
	s_delay_alu instid0(VALU_DEP_4) | instskip(NEXT) | instid1(TRANS32_DEP_2)
	v_exp_f32_e32 v79, v69
	v_cndmask_b32_e64 v69, 0, v71, s10
	s_delay_alu instid0(VALU_DEP_3) | instskip(NEXT) | instid1(VALU_DEP_3)
	v_dual_add_f32 v71, v68, v88 :: v_dual_mul_f32 v70, 0x3fb8aa3b, v70
	v_exp_f32_e32 v78, v78
	v_cndmask_b32_e64 v68, 0, v72, s11
	v_fma_f32 v72, s19, v107, -v81
	s_delay_alu instid0(VALU_DEP_3) | instskip(SKIP_1) | instid1(TRANS32_DEP_3)
	v_add_f32_e32 v71, v71, v69
	v_exp_f32_e32 v89, v70
	v_cndmask_b32_e64 v70, 0, v79, s12
	s_delay_alu instid0(VALU_DEP_2) | instskip(NEXT) | instid1(TRANS32_DEP_2)
	v_add_f32_e32 v79, v71, v68
	v_cndmask_b32_e64 v71, 0, v78, s13
	s_delay_alu instid0(VALU_DEP_2) | instskip(SKIP_2) | instid1(VALU_DEP_1)
	v_add_f32_e32 v78, v79, v70
	v_mul_f32_e32 v80, 0x3fb8aa3b, v80
	v_fma_f32 v79, s19, v108, -v81
	v_dual_mul_f32 v72, 0x3fb8aa3b, v72 :: v_dual_mul_f32 v79, 0x3fb8aa3b, v79
	s_delay_alu instid0(VALU_DEP_1) | instskip(NEXT) | instid1(TRANS32_DEP_2)
	v_exp_f32_e32 v91, v72
	v_cndmask_b32_e64 v72, 0, v89, s15
	v_add_f32_e32 v89, v78, v71
	v_exp_f32_e32 v80, v80
	s_waitcnt_depctr 0xfff
	v_cndmask_b32_e64 v78, 0, v80, s16
	v_add_f32_e32 v80, v89, v72
	v_exp_f32_e32 v89, v79
	v_cndmask_b32_e64 v79, 0, v91, s17
	s_delay_alu instid0(VALU_DEP_2) | instskip(NEXT) | instid1(VALU_DEP_1)
	v_add_f32_e32 v80, v80, v78
	v_add_f32_e32 v91, v80, v79
	s_waitcnt_depctr 0xfff
	v_cndmask_b32_e64 v80, 0, v89, s18
	s_delay_alu instid0(VALU_DEP_1)
	v_add_f32_e32 v89, v91, v80
	ds_bpermute_b32 v90, v90, v89
	v_cmpx_gt_u32_e32 16, v67
	s_cbranch_execz .LBB1725_12
; %bb.11:
	v_mul_u32_u24_e32 v67, 0x44, v65
	s_waitcnt lgkmcnt(0)
	v_add_f32_e32 v89, v89, v90
	s_delay_alu instid0(VALU_DEP_2) | instskip(NEXT) | instid1(VALU_DEP_1)
	v_lshl_add_u32 v67, v66, 2, v67
	v_add_nc_u32_e32 v67, 0x4000, v67
	ds_store_2addr_b32 v67, v81, v89 offset1:136
.LBB1725_12:
	s_or_b32 exec_lo, exec_lo, s3
	v_lshlrev_b32_e32 v66, 2, v66
	s_waitcnt lgkmcnt(0)
	s_barrier
	buffer_gl0_inv
	v_cmp_eq_u32_e32 vcc_lo, 1, v65
	v_add_nc_u32_e32 v81, 0x4000, v66
	v_cmp_eq_u32_e64 s3, 2, v65
	v_cmp_eq_u32_e64 s5, 7, v65
	ds_load_2addr_b32 v[89:90], v81 offset1:17
	ds_load_2addr_b32 v[91:92], v81 offset0:34 offset1:51
	ds_load_2addr_b32 v[93:94], v81 offset0:68 offset1:85
	;; [unrolled: 1-line block ×4, first 2 shown]
	s_waitcnt lgkmcnt(4)
	v_max3_f32 v66, v89, 0xff7fffff, v90
	s_waitcnt lgkmcnt(3)
	s_delay_alu instid0(VALU_DEP_1) | instskip(SKIP_1) | instid1(VALU_DEP_1)
	v_max3_f32 v66, v66, v91, v92
	s_waitcnt lgkmcnt(2)
	v_max3_f32 v66, v66, v93, v94
	s_waitcnt lgkmcnt(1)
	s_delay_alu instid0(VALU_DEP_1) | instskip(NEXT) | instid1(VALU_DEP_1)
	v_max3_f32 v66, v66, v95, v96
	v_sub_f32_e32 v67, v89, v66
	v_sub_f32_e32 v91, v91, v66
	;; [unrolled: 1-line block ×3, first 2 shown]
	s_delay_alu instid0(VALU_DEP_3) | instskip(NEXT) | instid1(VALU_DEP_3)
	v_mul_f32_e32 v67, 0x3fb8aa3b, v67
	v_mul_f32_e32 v101, 0x3fb8aa3b, v91
	s_delay_alu instid0(VALU_DEP_3) | instskip(NEXT) | instid1(VALU_DEP_3)
	v_mul_f32_e32 v103, 0x3fb8aa3b, v93
	v_exp_f32_e32 v100, v67
	v_sub_f32_e32 v67, v92, v66
	v_sub_f32_e32 v99, v90, v66
	ds_load_2addr_b32 v[89:90], v81 offset0:170 offset1:187
	ds_load_2addr_b32 v[91:92], v81 offset0:204 offset1:221
	v_exp_f32_e32 v101, v101
	v_mul_f32_e32 v102, 0x3fb8aa3b, v67
	v_mul_f32_e32 v99, 0x3fb8aa3b, v99
	s_waitcnt lgkmcnt(2)
	v_fma_f32 v67, v100, v97, 0
	v_sub_f32_e32 v97, v94, v66
	s_delay_alu instid0(VALU_DEP_3)
	v_exp_f32_e32 v99, v99
	v_exp_f32_e32 v102, v102
	ds_load_2addr_b32 v[93:94], v81 offset0:238 offset1:255
	v_sub_f32_e32 v81, v95, v66
	v_mul_f32_e32 v95, 0x3fb8aa3b, v97
	v_exp_f32_e32 v97, v103
	s_waitcnt lgkmcnt(0)
	s_barrier
	v_mul_f32_e32 v81, 0x3fb8aa3b, v81
	v_exp_f32_e32 v95, v95
	v_fmac_f32_e32 v67, v99, v98
	buffer_gl0_inv
	v_exp_f32_e32 v81, v81
	v_fmac_f32_e32 v67, v101, v89
	v_sub_f32_e32 v89, v96, v66
	s_delay_alu instid0(VALU_DEP_2) | instskip(NEXT) | instid1(VALU_DEP_2)
	v_fmac_f32_e32 v67, v102, v90
	v_mul_f32_e32 v89, 0x3fb8aa3b, v89
	s_delay_alu instid0(VALU_DEP_2) | instskip(NEXT) | instid1(VALU_DEP_2)
	v_fmac_f32_e32 v67, v97, v91
	v_exp_f32_e32 v89, v89
	s_delay_alu instid0(VALU_DEP_1)
	v_fmac_f32_e32 v67, v95, v92
	s_delay_alu instid0(TRANS32_DEP_2) | instid1(VALU_DEP_1)
	v_fmac_f32_e32 v67, v81, v93
	s_waitcnt_depctr 0xfff
	v_fmac_f32_e32 v67, v89, v94
	s_delay_alu instid0(VALU_DEP_1) | instskip(NEXT) | instid1(VALU_DEP_1)
	v_add_f32_e32 v90, 0x358637bd, v67
	v_div_scale_f32 v91, null, v90, v90, 1.0
	v_div_scale_f32 v94, s4, 1.0, v90, 1.0
	s_delay_alu instid0(VALU_DEP_2) | instskip(SKIP_2) | instid1(VALU_DEP_1)
	v_rcp_f32_e32 v92, v91
	s_waitcnt_depctr 0xfff
	v_fma_f32 v93, -v91, v92, 1.0
	v_dual_fmac_f32 v92, v93, v92 :: v_dual_cndmask_b32 v93, v100, v99
	v_cmp_eq_u32_e32 vcc_lo, 3, v65
	s_delay_alu instid0(VALU_DEP_2) | instskip(NEXT) | instid1(VALU_DEP_3)
	v_mul_f32_e32 v96, v94, v92
	v_cndmask_b32_e64 v93, v93, v101, s3
	v_cmp_eq_u32_e64 s3, 4, v65
	s_delay_alu instid0(VALU_DEP_3) | instskip(NEXT) | instid1(VALU_DEP_3)
	v_fma_f32 v98, -v91, v96, v94
	v_cndmask_b32_e32 v93, v93, v102, vcc_lo
	v_cmp_eq_u32_e32 vcc_lo, 5, v65
	s_delay_alu instid0(VALU_DEP_3) | instskip(NEXT) | instid1(VALU_DEP_3)
	v_fmac_f32_e32 v96, v98, v92
	v_cndmask_b32_e64 v93, v93, v97, s3
	v_cmp_eq_u32_e64 s3, 6, v65
	s_delay_alu instid0(VALU_DEP_3) | instskip(NEXT) | instid1(VALU_DEP_3)
	v_fma_f32 v91, -v91, v96, v94
	v_cndmask_b32_e32 v93, v93, v95, vcc_lo
	s_mov_b32 vcc_lo, s4
	s_delay_alu instid0(VALU_DEP_2) | instskip(NEXT) | instid1(VALU_DEP_2)
	v_div_fmas_f32 v91, v91, v92, v96
	v_cndmask_b32_e64 v81, v93, v81, s3
	s_mov_b32 s3, exec_lo
	s_delay_alu instid0(VALU_DEP_2) | instskip(NEXT) | instid1(VALU_DEP_2)
	v_div_fixup_f32 v90, v91, v90, 1.0
	v_cndmask_b32_e64 v81, v81, v89, s5
	s_delay_alu instid0(VALU_DEP_1) | instskip(NEXT) | instid1(VALU_DEP_1)
	v_mul_f32_e32 v81, v81, v90
	v_mul_f32_e32 v90, v81, v82
	;; [unrolled: 1-line block ×6, first 2 shown]
	v_dual_mul_f32 v86, v81, v83 :: v_dual_and_b32 v91, 0x7f800000, v90
	v_mul_f32_e32 v89, v81, v85
	v_mul_f32_e32 v85, v81, v77
                                        ; implicit-def: $vgpr77
	s_delay_alu instid0(VALU_DEP_3)
	v_cmpx_ne_u32_e32 0x7f800000, v91
	s_xor_b32 s3, exec_lo, s3
; %bb.13:
	v_bfe_u32 v77, v90, 16, 1
	s_delay_alu instid0(VALU_DEP_1)
	v_add3_u32 v77, v90, v77, 0x7fff
                                        ; implicit-def: $vgpr90
; %bb.14:
	s_and_not1_saveexec_b32 s3, s3
; %bb.15:
	v_and_b32_e32 v77, 0xffff, v90
	v_or_b32_e32 v83, 0x10000, v90
	s_delay_alu instid0(VALU_DEP_2) | instskip(NEXT) | instid1(VALU_DEP_2)
	v_cmp_eq_u32_e32 vcc_lo, 0, v77
	v_cndmask_b32_e32 v77, v83, v90, vcc_lo
; %bb.16:
	s_or_b32 exec_lo, exec_lo, s3
	v_and_b32_e32 v83, 0x7f800000, v85
	s_delay_alu instid0(VALU_DEP_1) | instskip(SKIP_1) | instid1(SALU_CYCLE_1)
	v_cmp_ne_u32_e32 vcc_lo, 0x7f800000, v83
                                        ; implicit-def: $vgpr83
	s_and_saveexec_b32 s3, vcc_lo
	s_xor_b32 s3, exec_lo, s3
; %bb.17:
	v_bfe_u32 v83, v85, 16, 1
	s_delay_alu instid0(VALU_DEP_1)
	v_add3_u32 v83, v85, v83, 0x7fff
                                        ; implicit-def: $vgpr85
; %bb.18:
	s_and_not1_saveexec_b32 s3, s3
; %bb.19:
	v_and_b32_e32 v83, 0xffff, v85
	v_or_b32_e32 v90, 0x10000, v85
	s_delay_alu instid0(VALU_DEP_2) | instskip(NEXT) | instid1(VALU_DEP_2)
	v_cmp_eq_u32_e32 vcc_lo, 0, v83
	v_cndmask_b32_e32 v83, v90, v85, vcc_lo
; %bb.20:
	s_or_b32 exec_lo, exec_lo, s3
	v_and_b32_e32 v85, 0x7f800000, v86
	s_delay_alu instid0(VALU_DEP_1) | instskip(SKIP_1) | instid1(SALU_CYCLE_1)
	v_cmp_ne_u32_e32 vcc_lo, 0x7f800000, v85
                                        ; implicit-def: $vgpr85
	s_and_saveexec_b32 s3, vcc_lo
	s_xor_b32 s3, exec_lo, s3
; %bb.21:
	v_bfe_u32 v85, v86, 16, 1
	s_delay_alu instid0(VALU_DEP_1)
	v_add3_u32 v85, v86, v85, 0x7fff
                                        ; implicit-def: $vgpr86
; %bb.22:
	s_and_not1_saveexec_b32 s3, s3
; %bb.23:
	v_and_b32_e32 v85, 0xffff, v86
	v_or_b32_e32 v90, 0x10000, v86
	s_delay_alu instid0(VALU_DEP_2) | instskip(NEXT) | instid1(VALU_DEP_2)
	v_cmp_eq_u32_e32 vcc_lo, 0, v85
	v_cndmask_b32_e32 v85, v90, v86, vcc_lo
; %bb.24:
	s_or_b32 exec_lo, exec_lo, s3
	v_and_b32_e32 v86, 0x7f800000, v89
	s_delay_alu instid0(VALU_DEP_1) | instskip(SKIP_1) | instid1(SALU_CYCLE_1)
	v_cmp_ne_u32_e32 vcc_lo, 0x7f800000, v86
                                        ; implicit-def: $vgpr86
	s_and_saveexec_b32 s3, vcc_lo
	s_xor_b32 s3, exec_lo, s3
; %bb.25:
	v_bfe_u32 v86, v89, 16, 1
	s_delay_alu instid0(VALU_DEP_1)
	v_add3_u32 v86, v89, v86, 0x7fff
                                        ; implicit-def: $vgpr89
; %bb.26:
	s_and_not1_saveexec_b32 s3, s3
; %bb.27:
	v_and_b32_e32 v86, 0xffff, v89
	v_or_b32_e32 v90, 0x10000, v89
	s_delay_alu instid0(VALU_DEP_2) | instskip(NEXT) | instid1(VALU_DEP_2)
	v_cmp_eq_u32_e32 vcc_lo, 0, v86
	v_cndmask_b32_e32 v86, v90, v89, vcc_lo
; %bb.28:
	s_or_b32 exec_lo, exec_lo, s3
	v_and_b32_e32 v89, 0x7f800000, v88
	s_delay_alu instid0(VALU_DEP_1) | instskip(SKIP_1) | instid1(SALU_CYCLE_1)
	v_cmp_ne_u32_e32 vcc_lo, 0x7f800000, v89
                                        ; implicit-def: $vgpr89
	s_and_saveexec_b32 s3, vcc_lo
	s_xor_b32 s3, exec_lo, s3
; %bb.29:
	v_bfe_u32 v89, v88, 16, 1
	s_delay_alu instid0(VALU_DEP_1)
	v_add3_u32 v89, v88, v89, 0x7fff
                                        ; implicit-def: $vgpr88
; %bb.30:
	s_and_not1_saveexec_b32 s3, s3
; %bb.31:
	v_and_b32_e32 v89, 0xffff, v88
	v_or_b32_e32 v90, 0x10000, v88
	s_delay_alu instid0(VALU_DEP_2) | instskip(NEXT) | instid1(VALU_DEP_2)
	v_cmp_eq_u32_e32 vcc_lo, 0, v89
	v_cndmask_b32_e32 v89, v90, v88, vcc_lo
; %bb.32:
	s_or_b32 exec_lo, exec_lo, s3
	v_and_b32_e32 v88, 0x7f800000, v87
	s_delay_alu instid0(VALU_DEP_1) | instskip(SKIP_1) | instid1(SALU_CYCLE_1)
	v_cmp_ne_u32_e32 vcc_lo, 0x7f800000, v88
                                        ; implicit-def: $vgpr88
	s_and_saveexec_b32 s3, vcc_lo
	s_xor_b32 s3, exec_lo, s3
; %bb.33:
	v_bfe_u32 v88, v87, 16, 1
	s_delay_alu instid0(VALU_DEP_1)
	v_add3_u32 v88, v87, v88, 0x7fff
                                        ; implicit-def: $vgpr87
; %bb.34:
	s_and_not1_saveexec_b32 s3, s3
; %bb.35:
	v_and_b32_e32 v88, 0xffff, v87
	v_or_b32_e32 v90, 0x10000, v87
	s_delay_alu instid0(VALU_DEP_2) | instskip(NEXT) | instid1(VALU_DEP_2)
	v_cmp_eq_u32_e32 vcc_lo, 0, v88
	v_cndmask_b32_e32 v88, v90, v87, vcc_lo
; %bb.36:
	s_or_b32 exec_lo, exec_lo, s3
	v_and_b32_e32 v87, 0x7f800000, v84
	s_delay_alu instid0(VALU_DEP_1) | instskip(SKIP_1) | instid1(SALU_CYCLE_1)
	v_cmp_ne_u32_e32 vcc_lo, 0x7f800000, v87
                                        ; implicit-def: $vgpr87
	s_and_saveexec_b32 s3, vcc_lo
	s_xor_b32 s3, exec_lo, s3
; %bb.37:
	v_bfe_u32 v87, v84, 16, 1
	s_delay_alu instid0(VALU_DEP_1)
	v_add3_u32 v87, v84, v87, 0x7fff
                                        ; implicit-def: $vgpr84
; %bb.38:
	s_and_not1_saveexec_b32 s3, s3
; %bb.39:
	v_and_b32_e32 v87, 0xffff, v84
	v_or_b32_e32 v90, 0x10000, v84
	s_delay_alu instid0(VALU_DEP_2) | instskip(NEXT) | instid1(VALU_DEP_2)
	v_cmp_eq_u32_e32 vcc_lo, 0, v87
	v_cndmask_b32_e32 v87, v90, v84, vcc_lo
; %bb.40:
	s_or_b32 exec_lo, exec_lo, s3
	v_and_b32_e32 v84, 0x7f800000, v82
	s_delay_alu instid0(VALU_DEP_1) | instskip(SKIP_1) | instid1(SALU_CYCLE_1)
	v_cmp_ne_u32_e32 vcc_lo, 0x7f800000, v84
                                        ; implicit-def: $vgpr84
	s_and_saveexec_b32 s3, vcc_lo
	s_xor_b32 s3, exec_lo, s3
; %bb.41:
	v_bfe_u32 v84, v82, 16, 1
	s_delay_alu instid0(VALU_DEP_1)
	v_add3_u32 v84, v82, v84, 0x7fff
                                        ; implicit-def: $vgpr82
; %bb.42:
	s_and_not1_saveexec_b32 s3, s3
; %bb.43:
	v_and_b32_e32 v84, 0xffff, v82
	v_or_b32_e32 v90, 0x10000, v82
	s_delay_alu instid0(VALU_DEP_2) | instskip(NEXT) | instid1(VALU_DEP_2)
	v_cmp_eq_u32_e32 vcc_lo, 0, v84
	v_cndmask_b32_e32 v84, v90, v82, vcc_lo
; %bb.44:
	s_or_b32 exec_lo, exec_lo, s3
	s_load_b64 s[34:35], s[0:1], 0x94
	v_lshlrev_b32_e32 v82, 4, v74
	s_delay_alu instid0(VALU_DEP_2)
	v_perm_b32 v90, v84, v87, 0x7060302
	v_lshlrev_b32_e32 v84, 11, v65
	v_perm_b32 v87, v83, v77, 0x7060302
	v_mul_f32_e32 v83, v81, v69
	v_mul_f32_e32 v69, v81, v80
	v_perm_b32 v89, v88, v89, 0x7060302
	v_perm_b32 v88, v86, v85, 0x7060302
	v_or3_b32 v77, v82, v84, v76
	v_mul_f32_e32 v79, v81, v79
	v_mul_f32_e32 v78, v81, v78
	v_and_b32_e32 v84, 0x7f800000, v83
	v_mul_f32_e32 v72, v81, v72
	v_mul_f32_e32 v82, v81, v71
	;; [unrolled: 1-line block ×4, first 2 shown]
	s_mov_b32 s3, exec_lo
	ds_store_b128 v77, v[87:90]
                                        ; implicit-def: $vgpr68
	v_cmpx_ne_u32_e32 0x7f800000, v84
	s_xor_b32 s3, exec_lo, s3
; %bb.45:
	v_bfe_u32 v68, v83, 16, 1
	s_delay_alu instid0(VALU_DEP_1)
	v_add3_u32 v68, v83, v68, 0x7fff
                                        ; implicit-def: $vgpr83
; %bb.46:
	s_and_not1_saveexec_b32 s3, s3
; %bb.47:
	v_and_b32_e32 v68, 0xffff, v83
	v_or_b32_e32 v70, 0x10000, v83
	s_delay_alu instid0(VALU_DEP_2) | instskip(NEXT) | instid1(VALU_DEP_2)
	v_cmp_eq_u32_e32 vcc_lo, 0, v68
	v_cndmask_b32_e32 v68, v70, v83, vcc_lo
; %bb.48:
	s_or_b32 exec_lo, exec_lo, s3
	v_and_b32_e32 v70, 0x7f800000, v71
	s_delay_alu instid0(VALU_DEP_1) | instskip(SKIP_1) | instid1(SALU_CYCLE_1)
	v_cmp_ne_u32_e32 vcc_lo, 0x7f800000, v70
                                        ; implicit-def: $vgpr70
	s_and_saveexec_b32 s3, vcc_lo
	s_xor_b32 s3, exec_lo, s3
; %bb.49:
	v_bfe_u32 v70, v71, 16, 1
	s_delay_alu instid0(VALU_DEP_1)
	v_add3_u32 v70, v71, v70, 0x7fff
                                        ; implicit-def: $vgpr71
; %bb.50:
	s_and_not1_saveexec_b32 s3, s3
; %bb.51:
	v_and_b32_e32 v70, 0xffff, v71
	v_or_b32_e32 v81, 0x10000, v71
	s_delay_alu instid0(VALU_DEP_2) | instskip(NEXT) | instid1(VALU_DEP_2)
	v_cmp_eq_u32_e32 vcc_lo, 0, v70
	v_cndmask_b32_e32 v70, v81, v71, vcc_lo
; %bb.52:
	s_or_b32 exec_lo, exec_lo, s3
	v_and_b32_e32 v71, 0x7f800000, v80
	s_delay_alu instid0(VALU_DEP_1) | instskip(SKIP_1) | instid1(SALU_CYCLE_1)
	v_cmp_ne_u32_e32 vcc_lo, 0x7f800000, v71
                                        ; implicit-def: $vgpr71
	s_and_saveexec_b32 s3, vcc_lo
	s_xor_b32 s3, exec_lo, s3
; %bb.53:
	v_bfe_u32 v71, v80, 16, 1
	s_delay_alu instid0(VALU_DEP_1)
	v_add3_u32 v71, v80, v71, 0x7fff
                                        ; implicit-def: $vgpr80
; %bb.54:
	s_and_not1_saveexec_b32 s3, s3
; %bb.55:
	v_and_b32_e32 v71, 0xffff, v80
	v_or_b32_e32 v81, 0x10000, v80
	s_delay_alu instid0(VALU_DEP_2) | instskip(NEXT) | instid1(VALU_DEP_2)
	v_cmp_eq_u32_e32 vcc_lo, 0, v71
	v_cndmask_b32_e32 v71, v81, v80, vcc_lo
; %bb.56:
	s_or_b32 exec_lo, exec_lo, s3
	v_and_b32_e32 v80, 0x7f800000, v82
	s_delay_alu instid0(VALU_DEP_1) | instskip(SKIP_1) | instid1(SALU_CYCLE_1)
	v_cmp_ne_u32_e32 vcc_lo, 0x7f800000, v80
                                        ; implicit-def: $vgpr80
	s_and_saveexec_b32 s3, vcc_lo
	s_xor_b32 s3, exec_lo, s3
; %bb.57:
	v_bfe_u32 v80, v82, 16, 1
	s_delay_alu instid0(VALU_DEP_1)
	v_add3_u32 v80, v82, v80, 0x7fff
                                        ; implicit-def: $vgpr82
; %bb.58:
	s_and_not1_saveexec_b32 s3, s3
; %bb.59:
	v_and_b32_e32 v80, 0xffff, v82
	v_or_b32_e32 v81, 0x10000, v82
	s_delay_alu instid0(VALU_DEP_2) | instskip(NEXT) | instid1(VALU_DEP_2)
	v_cmp_eq_u32_e32 vcc_lo, 0, v80
	v_cndmask_b32_e32 v80, v81, v82, vcc_lo
; %bb.60:
	s_or_b32 exec_lo, exec_lo, s3
	v_and_b32_e32 v81, 0x7f800000, v72
	s_delay_alu instid0(VALU_DEP_1) | instskip(SKIP_1) | instid1(SALU_CYCLE_1)
	v_cmp_ne_u32_e32 vcc_lo, 0x7f800000, v81
                                        ; implicit-def: $vgpr81
	s_and_saveexec_b32 s3, vcc_lo
	s_xor_b32 s3, exec_lo, s3
; %bb.61:
	v_bfe_u32 v81, v72, 16, 1
	s_delay_alu instid0(VALU_DEP_1)
	v_add3_u32 v81, v72, v81, 0x7fff
                                        ; implicit-def: $vgpr72
; %bb.62:
	s_and_not1_saveexec_b32 s3, s3
; %bb.63:
	v_and_b32_e32 v81, 0xffff, v72
	v_or_b32_e32 v82, 0x10000, v72
	s_delay_alu instid0(VALU_DEP_2) | instskip(NEXT) | instid1(VALU_DEP_2)
	v_cmp_eq_u32_e32 vcc_lo, 0, v81
	v_cndmask_b32_e32 v81, v82, v72, vcc_lo
; %bb.64:
	s_or_b32 exec_lo, exec_lo, s3
	v_and_b32_e32 v72, 0x7f800000, v78
	s_delay_alu instid0(VALU_DEP_1) | instskip(SKIP_1) | instid1(SALU_CYCLE_1)
	v_cmp_ne_u32_e32 vcc_lo, 0x7f800000, v72
                                        ; implicit-def: $vgpr72
	s_and_saveexec_b32 s3, vcc_lo
	s_xor_b32 s3, exec_lo, s3
; %bb.65:
	v_bfe_u32 v72, v78, 16, 1
	s_delay_alu instid0(VALU_DEP_1)
	v_add3_u32 v72, v78, v72, 0x7fff
                                        ; implicit-def: $vgpr78
; %bb.66:
	s_and_not1_saveexec_b32 s3, s3
; %bb.67:
	v_and_b32_e32 v72, 0xffff, v78
	v_or_b32_e32 v82, 0x10000, v78
	s_delay_alu instid0(VALU_DEP_2) | instskip(NEXT) | instid1(VALU_DEP_2)
	v_cmp_eq_u32_e32 vcc_lo, 0, v72
	v_cndmask_b32_e32 v72, v82, v78, vcc_lo
; %bb.68:
	s_or_b32 exec_lo, exec_lo, s3
	v_and_b32_e32 v78, 0x7f800000, v79
	s_delay_alu instid0(VALU_DEP_1) | instskip(SKIP_1) | instid1(SALU_CYCLE_1)
	v_cmp_ne_u32_e32 vcc_lo, 0x7f800000, v78
                                        ; implicit-def: $vgpr78
	s_and_saveexec_b32 s3, vcc_lo
	s_xor_b32 s3, exec_lo, s3
; %bb.69:
	v_bfe_u32 v78, v79, 16, 1
	s_delay_alu instid0(VALU_DEP_1)
	v_add3_u32 v78, v79, v78, 0x7fff
                                        ; implicit-def: $vgpr79
; %bb.70:
	s_and_not1_saveexec_b32 s3, s3
; %bb.71:
	v_and_b32_e32 v78, 0xffff, v79
	v_or_b32_e32 v82, 0x10000, v79
	s_delay_alu instid0(VALU_DEP_2) | instskip(NEXT) | instid1(VALU_DEP_2)
	v_cmp_eq_u32_e32 vcc_lo, 0, v78
	v_cndmask_b32_e32 v78, v82, v79, vcc_lo
; %bb.72:
	s_or_b32 exec_lo, exec_lo, s3
	v_and_b32_e32 v79, 0x7f800000, v69
	s_delay_alu instid0(VALU_DEP_1) | instskip(SKIP_1) | instid1(SALU_CYCLE_1)
	v_cmp_ne_u32_e32 vcc_lo, 0x7f800000, v79
                                        ; implicit-def: $vgpr79
	s_and_saveexec_b32 s3, vcc_lo
	s_xor_b32 s3, exec_lo, s3
; %bb.73:
	v_bfe_u32 v79, v69, 16, 1
	s_delay_alu instid0(VALU_DEP_1)
	v_add3_u32 v79, v69, v79, 0x7fff
                                        ; implicit-def: $vgpr69
; %bb.74:
	s_and_not1_saveexec_b32 s3, s3
; %bb.75:
	v_and_b32_e32 v79, 0xffff, v69
	v_or_b32_e32 v82, 0x10000, v69
	s_delay_alu instid0(VALU_DEP_2) | instskip(NEXT) | instid1(VALU_DEP_2)
	v_cmp_eq_u32_e32 vcc_lo, 0, v79
	v_cndmask_b32_e32 v79, v82, v69, vcc_lo
; %bb.76:
	s_or_b32 exec_lo, exec_lo, s3
	s_delay_alu instid0(VALU_DEP_1)
	v_perm_b32 v86, v79, v78, 0x7060302
	v_perm_b32 v85, v72, v81, 0x7060302
	;; [unrolled: 1-line block ×4, first 2 shown]
	v_lshl_or_b32 v82, v65, 11, v76
	v_lshlrev_b32_e32 v79, 2, v74
	ds_store_b128 v77, v[83:86] offset:1024
	s_waitcnt lgkmcnt(0)
	s_barrier
	buffer_gl0_inv
	ds_load_b128 v[68:71], v82
	ds_load_b128 v[83:86], v82 offset:16
	v_or_b32_e32 v80, 1, v79
	v_cmp_eq_u32_e32 vcc_lo, 1, v79
	v_cmp_eq_u32_e64 s4, 2, v79
	v_cmp_eq_u32_e64 s7, 3, v79
	;; [unrolled: 1-line block ×6, first 2 shown]
	v_or_b32_e32 v78, 2, v79
	v_cmp_eq_u32_e64 s10, 5, v79
	v_cmp_eq_u32_e64 s11, 4, v80
	;; [unrolled: 1-line block ×9, first 2 shown]
	s_waitcnt lgkmcnt(1)
	v_lshrrev_b32_e32 v65, 16, v68
	s_waitcnt lgkmcnt(0)
	v_lshrrev_b32_e32 v91, 16, v83
	v_lshrrev_b32_e32 v72, 16, v69
	;; [unrolled: 1-line block ×4, first 2 shown]
	v_cndmask_b32_e32 v81, v68, v65, vcc_lo
	v_cndmask_b32_e32 v87, v83, v91, vcc_lo
	v_cndmask_b32_e64 v88, v68, v65, s3
	v_lshrrev_b32_e32 v98, 16, v85
	v_cndmask_b32_e64 v89, v83, v91, s3
	v_cndmask_b32_e64 v81, v81, v69, s4
	v_cndmask_b32_e64 v87, v87, v84, s4
	v_cndmask_b32_e64 v88, v88, v69, s6
	v_lshrrev_b32_e32 v96, 16, v71
	v_cndmask_b32_e64 v89, v89, v84, s6
	v_cndmask_b32_e64 v81, v81, v72, s7
	v_cndmask_b32_e64 v87, v87, v97, s7
	;; [unrolled: 5-line block ×3, first 2 shown]
	v_cndmask_b32_e64 v88, v88, v70, s11
	v_cndmask_b32_e64 v89, v89, v97, s8
	v_cmp_eq_u32_e64 s19, 3, v78
	v_cndmask_b32_e64 v81, v81, v95, s10
	v_cndmask_b32_e64 v87, v87, v98, s10
	;; [unrolled: 1-line block ×4, first 2 shown]
	v_cmp_eq_u32_e64 s20, 4, v78
	v_cndmask_b32_e64 v81, v81, v71, s12
	v_cndmask_b32_e64 v87, v87, v86, s12
	;; [unrolled: 1-line block ×3, first 2 shown]
	v_cmp_eq_u32_e64 s22, 5, v78
	v_cmp_eq_u32_e64 s24, 6, v78
	v_cndmask_b32_e64 v100, v81, v96, s15
	v_cndmask_b32_e64 v101, v87, v99, s15
	;; [unrolled: 1-line block ×6, first 2 shown]
	v_cmp_eq_u32_e64 s27, 7, v78
	v_cndmask_b32_e64 v89, v81, v72, s19
	v_cndmask_b32_e64 v87, v87, v84, s17
	v_or_b32_e32 v81, 3, v79
	v_cndmask_b32_e64 v103, v88, v86, s16
	s_delay_alu instid0(VALU_DEP_4) | instskip(NEXT) | instid1(VALU_DEP_4)
	v_cndmask_b32_e64 v92, v89, v70, s20
	v_cndmask_b32_e64 v93, v87, v97, s19
	s_delay_alu instid0(VALU_DEP_4)
	v_cmp_eq_u32_e64 s21, 1, v81
	ds_load_b128 v[87:90], v82 offset:1024
	v_cmp_eq_u32_e64 s23, 2, v81
	v_cndmask_b32_e64 v104, v92, v95, s22
	v_cmp_eq_u32_e64 s25, 3, v81
	v_cndmask_b32_e64 v65, v68, v65, s21
	v_cndmask_b32_e64 v68, v93, v85, s20
	;; [unrolled: 1-line block ×3, first 2 shown]
	ds_load_b128 v[91:94], v82 offset:1040
	v_cmp_eq_u32_e64 s26, 4, v81
	v_cndmask_b32_e64 v65, v65, v69, s23
	v_cmp_eq_u32_e64 s28, 5, v81
	v_cndmask_b32_e64 v69, v83, v84, s23
	;; [unrolled: 2-line block ×3, first 2 shown]
	v_cndmask_b32_e64 v65, v65, v72, s25
	v_cndmask_b32_e64 v72, v104, v71, s24
	;; [unrolled: 1-line block ×6, first 2 shown]
	s_waitcnt lgkmcnt(1)
	v_lshrrev_b32_e32 v84, 16, v87
	v_cndmask_b32_e64 v69, v69, v85, s26
	v_cndmask_b32_e64 v70, v72, v96, s27
	v_cndmask_b32_e64 v68, v68, v99, s27
	v_cndmask_b32_e64 v65, v65, v95, s28
	v_cndmask_b32_e32 v72, v87, v84, vcc_lo
	v_cndmask_b32_e64 v69, v69, v98, s28
	s_waitcnt lgkmcnt(0)
	v_lshrrev_b32_e32 v85, 16, v91
	v_lshrrev_b32_e32 v95, 16, v88
	v_cndmask_b32_e64 v97, v87, v84, s3
	v_cndmask_b32_e64 v72, v72, v88, s4
	;; [unrolled: 1-line block ×3, first 2 shown]
	v_cndmask_b32_e32 v98, v91, v85, vcc_lo
	v_cmp_eq_u32_e32 vcc_lo, 7, v81
	v_cndmask_b32_e64 v69, v69, v86, s29
	v_cndmask_b32_e64 v71, v72, v95, s7
	;; [unrolled: 1-line block ×3, first 2 shown]
	v_lshrrev_b32_e32 v97, 16, v92
	v_cndmask_b32_e32 v65, v65, v96, vcc_lo
	v_cndmask_b32_e64 v86, v98, v92, s4
	v_cndmask_b32_e32 v69, v69, v99, vcc_lo
	v_lshrrev_b32_e32 v99, 16, v93
	v_cndmask_b32_e64 v71, v71, v89, s9
	v_lshrrev_b32_e32 v98, 16, v89
	v_cndmask_b32_e64 v86, v86, v97, s7
	v_perm_b32 v70, v68, v70, 0x5040100
	v_cndmask_b32_e64 v72, v72, v95, s8
	s_delay_alu instid0(VALU_DEP_4) | instskip(NEXT) | instid1(VALU_DEP_4)
	v_cndmask_b32_e64 v96, v71, v98, s10
	v_cndmask_b32_e64 v86, v86, v93, s9
	v_perm_b32 v71, v69, v65, 0x5040100
	v_perm_b32 v69, v83, v102, 0x5040100
	v_cndmask_b32_e64 v102, v91, v85, s5
	v_cndmask_b32_e64 v72, v72, v89, s11
	;; [unrolled: 1-line block ×3, first 2 shown]
	v_lshrrev_b32_e32 v83, 16, v94
	s_delay_alu instid0(VALU_DEP_3) | instskip(NEXT) | instid1(VALU_DEP_3)
	v_cndmask_b32_e64 v65, v72, v98, s13
	v_cndmask_b32_e64 v68, v86, v94, s12
	;; [unrolled: 1-line block ×27, first 2 shown]
	v_lshrrev_b32_e32 v96, 16, v90
	v_cndmask_b32_e64 v65, v65, v90, s16
	v_cndmask_b32_e64 v86, v86, v90, s24
	;; [unrolled: 1-line block ×9, first 2 shown]
	v_cndmask_b32_e32 v84, v84, v96, vcc_lo
	v_cndmask_b32_e32 v86, v87, v83, vcc_lo
	v_cndmask_b32_e64 v87, v88, v83, s27
	v_cndmask_b32_e64 v88, v85, v83, s18
	;; [unrolled: 1-line block ×3, first 2 shown]
	v_perm_b32 v68, v101, v100, 0x5040100
	v_perm_b32 v86, v86, v84, 0x5040100
	;; [unrolled: 1-line block ×5, first 2 shown]
	s_lshl_b32 s8, s35, 4
	s_mov_b32 s3, exec_lo
	ds_store_b128 v77, v[68:71]
	ds_store_b128 v77, v[83:86] offset:1024
	v_cmpx_gt_u32_e32 16, v0
	s_cbranch_execz .LBB1725_78
; %bb.77:
	v_or_b32_e32 v65, s31, v0
	s_load_b128 s[4:7], s[0:1], 0x58
	s_delay_alu instid0(VALU_DEP_1) | instskip(NEXT) | instid1(VALU_DEP_1)
	v_mad_u64_u32 v[68:69], null, s8, s30, v[65:66]
	v_mad_u64_u32 v[69:70], null, v68, s34, s[14:15]
	s_delay_alu instid0(VALU_DEP_1) | instskip(NEXT) | instid1(VALU_DEP_1)
	v_ashrrev_i32_e32 v70, 31, v69
	v_lshlrev_b64 v[68:69], 2, v[69:70]
	s_waitcnt lgkmcnt(0)
	s_delay_alu instid0(VALU_DEP_1) | instskip(NEXT) | instid1(VALU_DEP_2)
	v_add_co_u32 v70, vcc_lo, s6, v68
	v_add_co_ci_u32_e32 v71, vcc_lo, s7, v69, vcc_lo
	v_add_co_u32 v68, vcc_lo, s4, v68
	v_add_co_ci_u32_e32 v69, vcc_lo, s5, v69, vcc_lo
	global_store_b32 v[70:71], v66, off
	global_store_b32 v[68:69], v67, off
.LBB1725_78:
	s_or_b32 exec_lo, exec_lo, s3
	s_waitcnt lgkmcnt(0)
	s_waitcnt_vscnt null, 0x0
	s_barrier
	buffer_gl0_inv
	ds_load_b128 v[83:86], v76
	ds_load_b128 v[87:90], v76 offset:16
	ds_load_b128 v[95:98], v76 offset:2064
	;; [unrolled: 1-line block ×3, first 2 shown]
	v_mov_b32_e32 v65, 0
	ds_load_b128 v[103:106], v76 offset:4112
	ds_load_b128 v[99:102], v76 offset:4096
	;; [unrolled: 1-line block ×4, first 2 shown]
	v_mov_b32_e32 v66, v65
	v_mov_b32_e32 v67, v65
	;; [unrolled: 1-line block ×7, first 2 shown]
	s_waitcnt lgkmcnt(6)
	s_delay_alu instid0(VALU_DEP_1)
	v_wmma_f32_16x16x16_bf16 v[65:72], v[57:64], v[83:90], v[65:72]
	ds_load_b128 v[61:64], v76 offset:8208
	ds_load_b128 v[57:60], v76 offset:8192
	s_waitcnt lgkmcnt(6)
	v_wmma_f32_16x16x16_bf16 v[65:72], v[41:48], v[91:98], v[65:72]
	ds_load_b128 v[45:48], v76 offset:10256
	ds_load_b128 v[41:44], v76 offset:10240
	s_waitcnt lgkmcnt(6)
	v_wmma_f32_16x16x16_bf16 v[65:72], v[33:40], v[99:106], v[65:72]
	ds_load_b128 v[37:40], v76 offset:12304
	ds_load_b128 v[33:36], v76 offset:12288
	s_waitcnt lgkmcnt(6)
	v_wmma_f32_16x16x16_bf16 v[65:72], v[25:32], v[107:114], v[65:72]
	ds_load_b128 v[29:32], v76 offset:14352
	ds_load_b128 v[25:28], v76 offset:14336
	s_waitcnt lgkmcnt(6)
	v_wmma_f32_16x16x16_bf16 v[65:72], v[1:8], v[57:64], v[65:72]
	s_waitcnt lgkmcnt(4)
	s_delay_alu instid0(VALU_DEP_1) | instskip(SKIP_1) | instid1(VALU_DEP_1)
	v_wmma_f32_16x16x16_bf16 v[65:72], v[9:16], v[41:48], v[65:72]
	s_waitcnt lgkmcnt(2)
	v_wmma_f32_16x16x16_bf16 v[65:72], v[17:24], v[33:40], v[65:72]
	s_waitcnt lgkmcnt(0)
	s_delay_alu instid0(VALU_DEP_1) | instskip(NEXT) | instid1(VALU_DEP_1)
	v_wmma_f32_16x16x16_bf16 v[65:72], v[49:56], v[25:32], v[65:72]
	v_and_b32_e32 v1, 0x7f800000, v65
	s_delay_alu instid0(VALU_DEP_1) | instskip(SKIP_1) | instid1(SALU_CYCLE_1)
	v_cmp_ne_u32_e32 vcc_lo, 0x7f800000, v1
                                        ; implicit-def: $vgpr1
	s_and_saveexec_b32 s3, vcc_lo
	s_xor_b32 s3, exec_lo, s3
; %bb.79:
	v_bfe_u32 v1, v65, 16, 1
	s_delay_alu instid0(VALU_DEP_1)
	v_add3_u32 v1, v65, v1, 0x7fff
; %bb.80:
	s_and_not1_saveexec_b32 s3, s3
; %bb.81:
	v_and_b32_e32 v1, 0xffff, v65
	v_or_b32_e32 v2, 0x10000, v65
	s_delay_alu instid0(VALU_DEP_2) | instskip(NEXT) | instid1(VALU_DEP_2)
	v_cmp_eq_u32_e32 vcc_lo, 0, v1
	v_cndmask_b32_e32 v1, v2, v65, vcc_lo
; %bb.82:
	s_or_b32 exec_lo, exec_lo, s3
	v_and_b32_e32 v2, 0x7f800000, v66
	s_delay_alu instid0(VALU_DEP_1) | instskip(SKIP_1) | instid1(SALU_CYCLE_1)
	v_cmp_ne_u32_e32 vcc_lo, 0x7f800000, v2
                                        ; implicit-def: $vgpr2
	s_and_saveexec_b32 s3, vcc_lo
	s_xor_b32 s3, exec_lo, s3
; %bb.83:
	v_bfe_u32 v2, v66, 16, 1
	s_delay_alu instid0(VALU_DEP_1)
	v_add3_u32 v2, v66, v2, 0x7fff
; %bb.84:
	s_and_not1_saveexec_b32 s3, s3
; %bb.85:
	v_and_b32_e32 v2, 0xffff, v66
	v_or_b32_e32 v3, 0x10000, v66
	s_delay_alu instid0(VALU_DEP_2) | instskip(NEXT) | instid1(VALU_DEP_2)
	v_cmp_eq_u32_e32 vcc_lo, 0, v2
	v_cndmask_b32_e32 v2, v3, v66, vcc_lo
; %bb.86:
	s_or_b32 exec_lo, exec_lo, s3
	v_and_b32_e32 v3, 0x7f800000, v67
	s_delay_alu instid0(VALU_DEP_1) | instskip(SKIP_1) | instid1(SALU_CYCLE_1)
	v_cmp_ne_u32_e32 vcc_lo, 0x7f800000, v3
                                        ; implicit-def: $vgpr3
	s_and_saveexec_b32 s3, vcc_lo
	s_xor_b32 s3, exec_lo, s3
; %bb.87:
	v_bfe_u32 v3, v67, 16, 1
	s_delay_alu instid0(VALU_DEP_1)
	v_add3_u32 v3, v67, v3, 0x7fff
; %bb.88:
	s_and_not1_saveexec_b32 s3, s3
; %bb.89:
	v_and_b32_e32 v3, 0xffff, v67
	v_or_b32_e32 v4, 0x10000, v67
	s_delay_alu instid0(VALU_DEP_2) | instskip(NEXT) | instid1(VALU_DEP_2)
	v_cmp_eq_u32_e32 vcc_lo, 0, v3
	v_cndmask_b32_e32 v3, v4, v67, vcc_lo
; %bb.90:
	s_or_b32 exec_lo, exec_lo, s3
	v_and_b32_e32 v4, 0x7f800000, v68
	s_delay_alu instid0(VALU_DEP_1) | instskip(SKIP_1) | instid1(SALU_CYCLE_1)
	v_cmp_ne_u32_e32 vcc_lo, 0x7f800000, v4
                                        ; implicit-def: $vgpr4
	s_and_saveexec_b32 s3, vcc_lo
	s_xor_b32 s3, exec_lo, s3
; %bb.91:
	v_bfe_u32 v4, v68, 16, 1
	s_delay_alu instid0(VALU_DEP_1)
	v_add3_u32 v4, v68, v4, 0x7fff
; %bb.92:
	s_and_not1_saveexec_b32 s3, s3
; %bb.93:
	v_and_b32_e32 v4, 0xffff, v68
	v_or_b32_e32 v5, 0x10000, v68
	s_delay_alu instid0(VALU_DEP_2) | instskip(NEXT) | instid1(VALU_DEP_2)
	v_cmp_eq_u32_e32 vcc_lo, 0, v4
	v_cndmask_b32_e32 v4, v5, v68, vcc_lo
; %bb.94:
	s_or_b32 exec_lo, exec_lo, s3
	v_and_b32_e32 v5, 0x7f800000, v69
	s_delay_alu instid0(VALU_DEP_1) | instskip(SKIP_1) | instid1(SALU_CYCLE_1)
	v_cmp_ne_u32_e32 vcc_lo, 0x7f800000, v5
                                        ; implicit-def: $vgpr5
	s_and_saveexec_b32 s3, vcc_lo
	s_xor_b32 s3, exec_lo, s3
; %bb.95:
	v_bfe_u32 v5, v69, 16, 1
	s_delay_alu instid0(VALU_DEP_1)
	v_add3_u32 v5, v69, v5, 0x7fff
; %bb.96:
	s_and_not1_saveexec_b32 s3, s3
; %bb.97:
	v_and_b32_e32 v5, 0xffff, v69
	v_or_b32_e32 v6, 0x10000, v69
	s_delay_alu instid0(VALU_DEP_2) | instskip(NEXT) | instid1(VALU_DEP_2)
	v_cmp_eq_u32_e32 vcc_lo, 0, v5
	v_cndmask_b32_e32 v5, v6, v69, vcc_lo
; %bb.98:
	s_or_b32 exec_lo, exec_lo, s3
	v_and_b32_e32 v6, 0x7f800000, v70
	s_delay_alu instid0(VALU_DEP_1) | instskip(SKIP_1) | instid1(SALU_CYCLE_1)
	v_cmp_ne_u32_e32 vcc_lo, 0x7f800000, v6
                                        ; implicit-def: $vgpr6
	s_and_saveexec_b32 s3, vcc_lo
	s_xor_b32 s3, exec_lo, s3
; %bb.99:
	v_bfe_u32 v6, v70, 16, 1
	s_delay_alu instid0(VALU_DEP_1)
	v_add3_u32 v6, v70, v6, 0x7fff
; %bb.100:
	s_and_not1_saveexec_b32 s3, s3
; %bb.101:
	v_and_b32_e32 v6, 0xffff, v70
	v_or_b32_e32 v7, 0x10000, v70
	s_delay_alu instid0(VALU_DEP_2) | instskip(NEXT) | instid1(VALU_DEP_2)
	v_cmp_eq_u32_e32 vcc_lo, 0, v6
	v_cndmask_b32_e32 v6, v7, v70, vcc_lo
; %bb.102:
	s_or_b32 exec_lo, exec_lo, s3
	v_and_b32_e32 v7, 0x7f800000, v71
	s_delay_alu instid0(VALU_DEP_1) | instskip(SKIP_1) | instid1(SALU_CYCLE_1)
	v_cmp_ne_u32_e32 vcc_lo, 0x7f800000, v7
                                        ; implicit-def: $vgpr7
	s_and_saveexec_b32 s3, vcc_lo
	s_xor_b32 s3, exec_lo, s3
; %bb.103:
	v_bfe_u32 v7, v71, 16, 1
	s_delay_alu instid0(VALU_DEP_1)
	v_add3_u32 v7, v71, v7, 0x7fff
; %bb.104:
	s_and_not1_saveexec_b32 s3, s3
; %bb.105:
	v_and_b32_e32 v7, 0xffff, v71
	v_or_b32_e32 v8, 0x10000, v71
	s_delay_alu instid0(VALU_DEP_2) | instskip(NEXT) | instid1(VALU_DEP_2)
	v_cmp_eq_u32_e32 vcc_lo, 0, v7
	v_cndmask_b32_e32 v7, v8, v71, vcc_lo
; %bb.106:
	s_or_b32 exec_lo, exec_lo, s3
	v_and_b32_e32 v8, 0x7f800000, v72
	s_delay_alu instid0(VALU_DEP_1) | instskip(SKIP_1) | instid1(SALU_CYCLE_1)
	v_cmp_ne_u32_e32 vcc_lo, 0x7f800000, v8
                                        ; implicit-def: $vgpr8
	s_and_saveexec_b32 s3, vcc_lo
	s_xor_b32 s3, exec_lo, s3
; %bb.107:
	v_bfe_u32 v8, v72, 16, 1
	s_delay_alu instid0(VALU_DEP_1)
	v_add3_u32 v8, v72, v8, 0x7fff
                                        ; implicit-def: $vgpr65_vgpr66_vgpr67_vgpr68_vgpr69_vgpr70_vgpr71_vgpr72
; %bb.108:
	s_and_not1_saveexec_b32 s3, s3
; %bb.109:
	v_and_b32_e32 v8, 0xffff, v72
	v_or_b32_e32 v9, 0x10000, v72
	s_delay_alu instid0(VALU_DEP_2) | instskip(NEXT) | instid1(VALU_DEP_2)
	v_cmp_eq_u32_e32 vcc_lo, 0, v8
	v_cndmask_b32_e32 v8, v9, v72, vcc_lo
; %bb.110:
	s_or_b32 exec_lo, exec_lo, s3
	s_delay_alu instid0(VALU_DEP_1)
	v_perm_b32 v7, v8, v7, 0x7060302
	v_perm_b32 v6, v6, v5, 0x7060302
	;; [unrolled: 1-line block ×4, first 2 shown]
	s_barrier
	buffer_gl0_inv
	v_cmp_eq_u32_e32 vcc_lo, 1, v79
	ds_store_b128 v77, v[4:7]
	s_waitcnt lgkmcnt(0)
	s_barrier
	buffer_gl0_inv
	ds_load_b128 v[1:4], v82
	ds_load_b128 v[5:8], v82 offset:16
	v_cmp_eq_u32_e64 s3, 1, v80
	v_cmp_eq_u32_e64 s4, 2, v79
	;; [unrolled: 1-line block ×5, first 2 shown]
	s_waitcnt lgkmcnt(1)
	v_lshrrev_b32_e32 v9, 16, v1
	s_waitcnt lgkmcnt(0)
	v_lshrrev_b32_e32 v13, 16, v5
	v_lshrrev_b32_e32 v10, 16, v2
	v_lshrrev_b32_e32 v14, 16, v6
	v_lshrrev_b32_e32 v11, 16, v3
	v_cndmask_b32_e64 v19, v1, v9, s3
	v_cndmask_b32_e32 v18, v5, v13, vcc_lo
	v_cndmask_b32_e64 v20, v5, v13, s3
	v_cndmask_b32_e32 v17, v1, v9, vcc_lo
	v_cmp_eq_u32_e32 vcc_lo, 2, v80
	v_lshrrev_b32_e32 v15, 16, v7
	v_cmp_eq_u32_e64 s3, 1, v78
	v_lshrrev_b32_e32 v12, 16, v4
	v_lshrrev_b32_e32 v16, 16, v8
	v_cndmask_b32_e32 v20, v20, v6, vcc_lo
	v_cndmask_b32_e64 v17, v17, v2, s4
	v_cndmask_b32_e32 v19, v19, v2, vcc_lo
	v_cndmask_b32_e64 v18, v18, v6, s4
	v_cmp_eq_u32_e32 vcc_lo, 4, v79
	v_cmp_eq_u32_e64 s4, 3, v80
	v_cndmask_b32_e64 v17, v17, v10, s5
	v_cndmask_b32_e64 v21, v1, v9, s3
	v_cndmask_b32_e64 v18, v18, v14, s5
	v_cndmask_b32_e64 v22, v5, v13, s3
	v_cndmask_b32_e64 v19, v19, v10, s4
	v_cndmask_b32_e32 v17, v17, v3, vcc_lo
	v_cndmask_b32_e64 v20, v20, v14, s4
	v_cndmask_b32_e32 v18, v18, v7, vcc_lo
	v_cmp_eq_u32_e32 vcc_lo, 4, v80
	v_cmp_eq_u32_e64 s4, 5, v80
	v_cmp_eq_u32_e64 s3, 2, v81
	v_cndmask_b32_e64 v21, v21, v2, s7
	v_cmp_eq_u32_e64 s5, 5, v79
	v_cndmask_b32_e32 v19, v19, v3, vcc_lo
	v_cndmask_b32_e32 v20, v20, v7, vcc_lo
	v_cmp_eq_u32_e32 vcc_lo, 6, v80
	s_delay_alu instid0(VALU_DEP_4) | instskip(NEXT) | instid1(VALU_DEP_4)
	v_cndmask_b32_e64 v17, v17, v11, s5
	v_cndmask_b32_e64 v19, v19, v11, s4
	s_delay_alu instid0(VALU_DEP_4) | instskip(SKIP_1) | instid1(VALU_DEP_3)
	v_cndmask_b32_e64 v20, v20, v15, s4
	v_cmp_eq_u32_e64 s4, 1, v81
	v_cndmask_b32_e32 v19, v19, v4, vcc_lo
	v_cndmask_b32_e64 v18, v18, v15, s5
	s_delay_alu instid0(VALU_DEP_3)
	v_cndmask_b32_e64 v1, v1, v9, s4
	v_cndmask_b32_e64 v5, v5, v13, s4
	v_cmp_eq_u32_e64 s4, 3, v78
	v_cndmask_b32_e64 v13, v22, v6, s7
	v_cmp_eq_u32_e64 s7, 3, v81
	v_cndmask_b32_e64 v1, v1, v2, s3
	v_cndmask_b32_e64 v2, v5, v6, s3
	;; [unrolled: 1-line block ×3, first 2 shown]
	v_cmp_eq_u32_e64 s3, 4, v78
	v_cndmask_b32_e64 v6, v13, v14, s4
	v_cndmask_b32_e64 v1, v1, v10, s7
	v_cmp_eq_u32_e64 s4, 4, v81
	v_cndmask_b32_e64 v2, v2, v14, s7
	v_cndmask_b32_e64 v5, v9, v3, s3
	;; [unrolled: 3-line block ×3, first 2 shown]
	v_cndmask_b32_e64 v2, v2, v7, s4
	v_cmp_eq_u32_e64 s3, 5, v81
	v_cmp_eq_u32_e64 s5, 6, v79
	v_cndmask_b32_e64 v5, v5, v11, s7
	v_cmp_eq_u32_e64 s4, 6, v78
	v_cndmask_b32_e64 v3, v6, v15, s7
	v_cndmask_b32_e64 v1, v1, v11, s3
	v_cmp_eq_u32_e64 s7, 6, v81
	v_cndmask_b32_e64 v2, v2, v15, s3
	v_cndmask_b32_e64 v17, v17, v4, s5
	v_cndmask_b32_e64 v18, v18, v8, s5
	v_cmp_eq_u32_e64 s5, 7, v79
	v_cndmask_b32_e64 v5, v5, v4, s4
	;; [unrolled: 4-line block ×3, first 2 shown]
	v_cmp_eq_u32_e64 s4, 7, v78
	v_cndmask_b32_e32 v4, v20, v8, vcc_lo
	v_cndmask_b32_e64 v17, v17, v12, s5
	v_cndmask_b32_e64 v19, v19, v12, s6
	;; [unrolled: 1-line block ×8, first 2 shown]
	v_cmp_gt_u32_e32 vcc_lo, 32, v0
	v_perm_b32 v4, v2, v1, 0x5040100
	v_perm_b32 v3, v3, v5, 0x5040100
	;; [unrolled: 1-line block ×4, first 2 shown]
	s_and_b32 s2, vcc_lo, s2
	ds_store_b128 v77, v[1:4]
	s_waitcnt lgkmcnt(0)
	s_barrier
	buffer_gl0_inv
	s_and_saveexec_b32 s3, s2
	s_cbranch_execz .LBB1725_2
; %bb.111:
	s_load_b64 s[0:1], s[0:1], 0x68
	v_lshlrev_b32_e32 v0, 10, v0
	s_lshl_b32 s4, s34, 6
	v_or_b32_e32 v23, s31, v74
	s_mul_i32 s2, s4, s30
	v_lshlrev_b32_e32 v1, 4, v75
	v_lshlrev_b32_e32 v2, 6, v74
	s_mul_i32 s2, s2, s8
	v_and_b32_e32 v0, 0x3800, v0
	v_mul_lo_u32 v8, v23, s4
	s_ashr_i32 s3, s2, 31
	v_or_b32_e32 v3, 2, v23
	s_lshl_b64 s[2:3], s[2:3], 1
	v_or3_b32 v27, v0, v1, v2
	v_or_b32_e32 v11, 4, v23
	v_or_b32_e32 v18, 6, v23
	v_mul_lo_u32 v10, v3, s4
	v_ashrrev_i32_e32 v9, 31, v8
	ds_load_b128 v[0:3], v27
	ds_load_b128 v[4:7], v27 offset:128
	v_mul_lo_u32 v12, v11, s4
	s_waitcnt lgkmcnt(0)
	s_add_u32 s2, s0, s2
	s_addc_u32 s3, s1, s3
	s_lshl_b32 s0, s14, 6
	v_lshlrev_b64 v[8:9], 1, v[8:9]
	s_ashr_i32 s1, s0, 31
	v_ashrrev_i32_e32 v11, 31, v10
	s_lshl_b64 s[0:1], s[0:1], 1
	v_ashrrev_i32_e32 v13, 31, v12
	s_add_u32 s0, s2, s0
	s_addc_u32 s1, s3, s1
	v_add_co_u32 v30, s0, s0, v73
	s_delay_alu instid0(VALU_DEP_1) | instskip(SKIP_1) | instid1(VALU_DEP_3)
	v_add_co_ci_u32_e64 v31, null, s1, 0, s0
	v_lshlrev_b64 v[16:17], 1, v[10:11]
	v_add_co_u32 v14, vcc_lo, v30, v8
	s_delay_alu instid0(VALU_DEP_3)
	v_add_co_ci_u32_e32 v15, vcc_lo, v31, v9, vcc_lo
	ds_load_b128 v[8:11], v27 offset:256
	v_mul_lo_u32 v18, v18, s4
	v_or_b32_e32 v19, 8, v23
	v_add_co_u32 v16, vcc_lo, v30, v16
	global_store_b128 v[14:15], v[0:3], off
	v_lshlrev_b64 v[0:1], 1, v[12:13]
	v_add_co_ci_u32_e32 v17, vcc_lo, v31, v17, vcc_lo
	v_mul_lo_u32 v12, v19, s4
	v_ashrrev_i32_e32 v19, 31, v18
	v_or_b32_e32 v14, 10, v23
	global_store_b128 v[16:17], v[4:7], off
	v_add_co_u32 v4, vcc_lo, v30, v0
	v_add_co_ci_u32_e32 v5, vcc_lo, v31, v1, vcc_lo
	ds_load_b128 v[0:3], v27 offset:384
	v_ashrrev_i32_e32 v13, 31, v12
	v_lshlrev_b64 v[6:7], 1, v[18:19]
	v_mul_lo_u32 v14, v14, s4
	s_waitcnt lgkmcnt(1)
	global_store_b128 v[4:5], v[8:11], off
	v_or_b32_e32 v8, 12, v23
	v_lshlrev_b64 v[4:5], 1, v[12:13]
	v_add_co_u32 v20, vcc_lo, v30, v6
	v_or_b32_e32 v6, 14, v23
	v_ashrrev_i32_e32 v15, 31, v14
	v_mul_lo_u32 v22, v8, s4
	v_add_co_ci_u32_e32 v21, vcc_lo, v31, v7, vcc_lo
	v_add_co_u32 v24, vcc_lo, v30, v4
	v_mul_lo_u32 v26, v6, s4
	v_add_co_ci_u32_e32 v25, vcc_lo, v31, v5, vcc_lo
	v_lshlrev_b64 v[28:29], 1, v[14:15]
	ds_load_b128 v[4:7], v27 offset:512
	ds_load_b128 v[8:11], v27 offset:640
	;; [unrolled: 1-line block ×4, first 2 shown]
	v_ashrrev_i32_e32 v23, 31, v22
	v_ashrrev_i32_e32 v27, 31, v26
	v_add_co_u32 v28, vcc_lo, v30, v28
	s_delay_alu instid0(VALU_DEP_3) | instskip(SKIP_1) | instid1(VALU_DEP_4)
	v_lshlrev_b64 v[22:23], 1, v[22:23]
	v_add_co_ci_u32_e32 v29, vcc_lo, v31, v29, vcc_lo
	v_lshlrev_b64 v[26:27], 1, v[26:27]
	s_delay_alu instid0(VALU_DEP_3) | instskip(NEXT) | instid1(VALU_DEP_4)
	v_add_co_u32 v22, vcc_lo, v30, v22
	v_add_co_ci_u32_e32 v23, vcc_lo, v31, v23, vcc_lo
	s_delay_alu instid0(VALU_DEP_3) | instskip(NEXT) | instid1(VALU_DEP_4)
	v_add_co_u32 v26, vcc_lo, v30, v26
	v_add_co_ci_u32_e32 v27, vcc_lo, v31, v27, vcc_lo
	s_waitcnt lgkmcnt(4)
	global_store_b128 v[20:21], v[0:3], off
	s_waitcnt lgkmcnt(3)
	global_store_b128 v[24:25], v[4:7], off
	;; [unrolled: 2-line block ×5, first 2 shown]
	s_nop 0
	s_sendmsg sendmsg(MSG_DEALLOC_VGPRS)
	s_endpgm
	.section	.rodata,"a",@progbits
	.p2align	6, 0x0
	.amdhsa_kernel _Z39paged_attention_ll4mi_QKV_mfma16_kernelI14__hip_bfloat16hLN4vllm18Fp8KVCacheDataTypeE1ES0_Li16ELi64ELi256ELb0ELi16EL8MFMAType0EEvPKT_PKT0_S9_ifPKiSB_SB_iPKfiiiPfSE_PS4_PT2_iSD_SD_
		.amdhsa_group_segment_fixed_size 17472
		.amdhsa_private_segment_fixed_size 0
		.amdhsa_kernarg_size 400
		.amdhsa_user_sgpr_count 13
		.amdhsa_user_sgpr_dispatch_ptr 0
		.amdhsa_user_sgpr_queue_ptr 0
		.amdhsa_user_sgpr_kernarg_segment_ptr 1
		.amdhsa_user_sgpr_dispatch_id 0
		.amdhsa_user_sgpr_private_segment_size 0
		.amdhsa_wavefront_size32 1
		.amdhsa_uses_dynamic_stack 0
		.amdhsa_enable_private_segment 0
		.amdhsa_system_sgpr_workgroup_id_x 1
		.amdhsa_system_sgpr_workgroup_id_y 1
		.amdhsa_system_sgpr_workgroup_id_z 1
		.amdhsa_system_sgpr_workgroup_info 0
		.amdhsa_system_vgpr_workitem_id 0
		.amdhsa_next_free_vgpr 125
		.amdhsa_next_free_sgpr 38
		.amdhsa_reserve_vcc 1
		.amdhsa_float_round_mode_32 0
		.amdhsa_float_round_mode_16_64 0
		.amdhsa_float_denorm_mode_32 3
		.amdhsa_float_denorm_mode_16_64 3
		.amdhsa_dx10_clamp 1
		.amdhsa_ieee_mode 1
		.amdhsa_fp16_overflow 0
		.amdhsa_workgroup_processor_mode 1
		.amdhsa_memory_ordered 1
		.amdhsa_forward_progress 0
		.amdhsa_shared_vgpr_count 0
		.amdhsa_exception_fp_ieee_invalid_op 0
		.amdhsa_exception_fp_denorm_src 0
		.amdhsa_exception_fp_ieee_div_zero 0
		.amdhsa_exception_fp_ieee_overflow 0
		.amdhsa_exception_fp_ieee_underflow 0
		.amdhsa_exception_fp_ieee_inexact 0
		.amdhsa_exception_int_div_zero 0
	.end_amdhsa_kernel
	.section	.text._Z39paged_attention_ll4mi_QKV_mfma16_kernelI14__hip_bfloat16hLN4vllm18Fp8KVCacheDataTypeE1ES0_Li16ELi64ELi256ELb0ELi16EL8MFMAType0EEvPKT_PKT0_S9_ifPKiSB_SB_iPKfiiiPfSE_PS4_PT2_iSD_SD_,"axG",@progbits,_Z39paged_attention_ll4mi_QKV_mfma16_kernelI14__hip_bfloat16hLN4vllm18Fp8KVCacheDataTypeE1ES0_Li16ELi64ELi256ELb0ELi16EL8MFMAType0EEvPKT_PKT0_S9_ifPKiSB_SB_iPKfiiiPfSE_PS4_PT2_iSD_SD_,comdat
.Lfunc_end1725:
	.size	_Z39paged_attention_ll4mi_QKV_mfma16_kernelI14__hip_bfloat16hLN4vllm18Fp8KVCacheDataTypeE1ES0_Li16ELi64ELi256ELb0ELi16EL8MFMAType0EEvPKT_PKT0_S9_ifPKiSB_SB_iPKfiiiPfSE_PS4_PT2_iSD_SD_, .Lfunc_end1725-_Z39paged_attention_ll4mi_QKV_mfma16_kernelI14__hip_bfloat16hLN4vllm18Fp8KVCacheDataTypeE1ES0_Li16ELi64ELi256ELb0ELi16EL8MFMAType0EEvPKT_PKT0_S9_ifPKiSB_SB_iPKfiiiPfSE_PS4_PT2_iSD_SD_
                                        ; -- End function
	.section	.AMDGPU.csdata,"",@progbits
; Kernel info:
; codeLenInByte = 8912
; NumSgprs: 40
; NumVgprs: 125
; ScratchSize: 0
; MemoryBound: 0
; FloatMode: 240
; IeeeMode: 1
; LDSByteSize: 17472 bytes/workgroup (compile time only)
; SGPRBlocks: 4
; VGPRBlocks: 15
; NumSGPRsForWavesPerEU: 40
; NumVGPRsForWavesPerEU: 125
; Occupancy: 10
; WaveLimiterHint : 1
; COMPUTE_PGM_RSRC2:SCRATCH_EN: 0
; COMPUTE_PGM_RSRC2:USER_SGPR: 13
; COMPUTE_PGM_RSRC2:TRAP_HANDLER: 0
; COMPUTE_PGM_RSRC2:TGID_X_EN: 1
; COMPUTE_PGM_RSRC2:TGID_Y_EN: 1
; COMPUTE_PGM_RSRC2:TGID_Z_EN: 1
; COMPUTE_PGM_RSRC2:TIDIG_COMP_CNT: 0
	.section	.text._Z39paged_attention_ll4mi_QKV_mfma16_kernelI14__hip_bfloat16hLN4vllm18Fp8KVCacheDataTypeE1ES0_Li16ELi64ELi256ELb0ELi1EL8MFMAType0EEvPKT_PKT0_S9_ifPKiSB_SB_iPKfiiiPfSE_PS4_PT2_iSD_SD_,"axG",@progbits,_Z39paged_attention_ll4mi_QKV_mfma16_kernelI14__hip_bfloat16hLN4vllm18Fp8KVCacheDataTypeE1ES0_Li16ELi64ELi256ELb0ELi1EL8MFMAType0EEvPKT_PKT0_S9_ifPKiSB_SB_iPKfiiiPfSE_PS4_PT2_iSD_SD_,comdat
	.protected	_Z39paged_attention_ll4mi_QKV_mfma16_kernelI14__hip_bfloat16hLN4vllm18Fp8KVCacheDataTypeE1ES0_Li16ELi64ELi256ELb0ELi1EL8MFMAType0EEvPKT_PKT0_S9_ifPKiSB_SB_iPKfiiiPfSE_PS4_PT2_iSD_SD_ ; -- Begin function _Z39paged_attention_ll4mi_QKV_mfma16_kernelI14__hip_bfloat16hLN4vllm18Fp8KVCacheDataTypeE1ES0_Li16ELi64ELi256ELb0ELi1EL8MFMAType0EEvPKT_PKT0_S9_ifPKiSB_SB_iPKfiiiPfSE_PS4_PT2_iSD_SD_
	.globl	_Z39paged_attention_ll4mi_QKV_mfma16_kernelI14__hip_bfloat16hLN4vllm18Fp8KVCacheDataTypeE1ES0_Li16ELi64ELi256ELb0ELi1EL8MFMAType0EEvPKT_PKT0_S9_ifPKiSB_SB_iPKfiiiPfSE_PS4_PT2_iSD_SD_
	.p2align	8
	.type	_Z39paged_attention_ll4mi_QKV_mfma16_kernelI14__hip_bfloat16hLN4vllm18Fp8KVCacheDataTypeE1ES0_Li16ELi64ELi256ELb0ELi1EL8MFMAType0EEvPKT_PKT0_S9_ifPKiSB_SB_iPKfiiiPfSE_PS4_PT2_iSD_SD_,@function
_Z39paged_attention_ll4mi_QKV_mfma16_kernelI14__hip_bfloat16hLN4vllm18Fp8KVCacheDataTypeE1ES0_Li16ELi64ELi256ELb0ELi1EL8MFMAType0EEvPKT_PKT0_S9_ifPKiSB_SB_iPKfiiiPfSE_PS4_PT2_iSD_SD_: ; @_Z39paged_attention_ll4mi_QKV_mfma16_kernelI14__hip_bfloat16hLN4vllm18Fp8KVCacheDataTypeE1ES0_Li16ELi64ELi256ELb0ELi1EL8MFMAType0EEvPKT_PKT0_S9_ifPKiSB_SB_iPKfiiiPfSE_PS4_PT2_iSD_SD_
; %bb.0:
	s_load_b64 s[4:5], s[0:1], 0x30
	s_mov_b32 s34, s13
	s_waitcnt lgkmcnt(0)
	s_cmp_lg_u64 s[4:5], 0
	s_cselect_b32 s6, -1, 0
	s_ashr_i32 s35, s13, 31
	s_cmp_eq_u64 s[4:5], 0
	s_cbranch_scc1 .LBB1726_3
; %bb.1:
	s_lshl_b64 s[2:3], s[34:35], 2
	s_delay_alu instid0(SALU_CYCLE_1) | instskip(SKIP_4) | instid1(SALU_CYCLE_1)
	s_add_u32 s2, s4, s2
	s_addc_u32 s3, s5, s3
	s_load_b64 s[2:3], s[2:3], 0x0
	s_waitcnt lgkmcnt(0)
	s_sub_i32 s2, s3, s2
	s_cmp_eq_u32 s2, 1
	s_cselect_b32 s2, -1, 0
	s_delay_alu instid0(SALU_CYCLE_1)
	s_and_not1_b32 vcc_lo, exec_lo, s2
	s_cbranch_vccz .LBB1726_4
.LBB1726_2:
	s_endpgm
.LBB1726_3:
.LBB1726_4:
	s_load_b64 s[2:3], s[0:1], 0x28
	s_lshl_b64 s[8:9], s[34:35], 2
	s_waitcnt lgkmcnt(0)
	s_add_u32 s2, s2, s8
	s_addc_u32 s3, s3, s9
	s_lshl_b32 s12, s14, 8
	s_load_b32 s33, s[2:3], 0x0
	s_waitcnt lgkmcnt(0)
	s_cmp_ge_i32 s12, s33
	s_cbranch_scc1 .LBB1726_2
; %bb.5:
	s_clause 0x1
	s_load_b128 s[28:31], s[0:1], 0x8
	s_load_b64 s[2:3], s[0:1], 0x20
	s_and_not1_b32 vcc_lo, exec_lo, s6
	s_mov_b64 s[6:7], s[34:35]
	s_cbranch_vccnz .LBB1726_7
; %bb.6:
	s_add_u32 s4, s4, s8
	s_addc_u32 s5, s5, s9
	s_load_b32 s6, s[4:5], 0x0
.LBB1726_7:
	s_load_b128 s[24:27], s[0:1], 0x48
	v_and_b32_e32 v73, 15, v0
	s_mov_b32 s13, exec_lo
                                        ; implicit-def: $sgpr16
                                        ; implicit-def: $sgpr4
	s_delay_alu instid0(VALU_DEP_1)
	v_cmpx_eq_u32_e32 0, v73
	s_cbranch_execz .LBB1726_9
; %bb.8:
	s_load_b64 s[4:5], s[0:1], 0x0
	s_waitcnt lgkmcnt(0)
	s_mul_hi_i32 s7, s6, s24
	s_mul_i32 s6, s6, s24
	s_delay_alu instid0(SALU_CYCLE_1) | instskip(NEXT) | instid1(SALU_CYCLE_1)
	s_lshl_b64 s[6:7], s[6:7], 1
	s_add_u32 s6, s4, s6
	s_addc_u32 s7, s5, s7
	s_lshl_b32 s4, s15, 6
	s_delay_alu instid0(SALU_CYCLE_1) | instskip(NEXT) | instid1(SALU_CYCLE_1)
	s_ashr_i32 s5, s4, 31
	s_lshl_b64 s[4:5], s[4:5], 1
	s_delay_alu instid0(SALU_CYCLE_1)
	s_add_u32 s4, s6, s4
	s_addc_u32 s5, s7, s5
	s_clause 0x1
	s_load_b256 s[16:23], s[4:5], 0x0
	s_load_b256 s[4:11], s[4:5], 0x40
.LBB1726_9:
	s_or_b32 exec_lo, exec_lo, s13
	s_waitcnt lgkmcnt(0)
	v_dual_mov_b32 v114, s23 :: v_dual_and_b32 v1, 0xef, v0
	s_add_i32 s13, s33, 15
	s_load_b32 s27, s[0:1], 0x38
	s_ashr_i32 s24, s13, 31
	s_delay_alu instid0(VALU_DEP_1) | instskip(SKIP_3) | instid1(VALU_DEP_2)
	v_dual_mov_b32 v112, s21 :: v_dual_add_nc_u32 v1, s12, v1
	s_lshr_b32 s24, s24, 28
	v_lshrrev_b32_e32 v65, 5, v0
	s_add_i32 s13, s13, s24
	v_ashrrev_i32_e32 v2, 31, v1
	v_or_b32_e32 v3, 16, v1
	s_ashr_i32 s13, s13, 4
	v_cmp_gt_i32_e32 vcc_lo, s33, v1
	s_add_i32 s13, s13, -1
	v_lshrrev_b32_e32 v2, 28, v2
	s_load_b32 s24, s[0:1], 0x1c
	v_mbcnt_lo_u32_b32 v67, -1, 0
	v_dual_mov_b32 v113, s22 :: v_dual_lshlrev_b32 v74, 4, v73
	s_delay_alu instid0(VALU_DEP_3) | instskip(SKIP_1) | instid1(VALU_DEP_4)
	v_add_nc_u32_e32 v4, v1, v2
	v_mov_b32_e32 v110, s19
	v_xor_b32_e32 v68, 16, v67
	s_waitcnt lgkmcnt(0)
	s_mul_i32 s36, s34, s27
	v_mov_b32_e32 v108, s17
	v_ashrrev_i32_e32 v4, 4, v4
	v_add_nc_u32_e32 v2, v3, v2
	s_ashr_i32 s37, s36, 31
	v_and_b32_e32 v66, 0xe0, v0
	s_lshl_b64 s[36:37], s[36:37], 2
	v_cndmask_b32_e32 v1, s13, v4, vcc_lo
	v_ashrrev_i32_e32 v2, 4, v2
	v_cmp_gt_i32_e32 vcc_lo, s33, v3
	s_add_u32 s36, s2, s36
	s_addc_u32 s35, s3, s37
	s_mul_i32 s37, s15, s26
	v_add_nc_u32_e32 v66, s12, v66
	v_cndmask_b32_e32 v3, s13, v2, vcc_lo
	v_ashrrev_i32_e32 v2, 31, v1
	s_ashr_i32 s38, s37, 31
	s_add_u32 s39, s28, s37
	s_addc_u32 s46, s29, s38
	v_ashrrev_i32_e32 v4, 31, v3
	v_lshlrev_b64 v[1:2], 2, v[1:2]
	s_lshl_b32 s2, s14, 4
	s_delay_alu instid0(SALU_CYCLE_1) | instskip(NEXT) | instid1(VALU_DEP_2)
	s_ashr_i32 s3, s2, 31
	v_lshlrev_b64 v[3:4], 2, v[3:4]
	s_lshl_b64 s[2:3], s[2:3], 2
	s_delay_alu instid0(VALU_DEP_2) | instskip(SKIP_1) | instid1(VALU_DEP_3)
	v_add_co_u32 v1, vcc_lo, s36, v1
	v_add_co_ci_u32_e32 v2, vcc_lo, s35, v2, vcc_lo
	v_add_co_u32 v3, vcc_lo, s36, v3
	s_delay_alu instid0(VALU_DEP_4)
	v_add_co_ci_u32_e32 v4, vcc_lo, s35, v4, vcc_lo
	s_clause 0x1
	global_load_b32 v5, v[1:2], off
	global_load_b32 v7, v[3:4], off
	s_add_u32 s2, s36, s2
	s_addc_u32 s3, s35, s3
	s_or_b32 s26, s12, 32
	v_lshlrev_b32_e32 v1, 4, v0
	s_ashr_i32 s27, s26, 4
	s_cmp_lt_i32 s26, s33
	v_cmp_gt_i32_e32 vcc_lo, 32, v68
	s_cselect_b32 s26, s27, s13
	v_and_b32_e32 v1, 0xf0, v1
	s_ashr_i32 s27, s26, 31
	s_delay_alu instid0(SALU_CYCLE_1) | instskip(NEXT) | instid1(SALU_CYCLE_1)
	s_lshl_b64 s[26:27], s[26:27], 2
	s_add_u32 s26, s36, s26
	s_addc_u32 s27, s35, s27
	s_or_b32 s28, s12, 64
	v_add_co_u32 v1, s39, s39, v1
	s_ashr_i32 s29, s28, 4
	s_cmp_lt_i32 s28, s33
	v_add_co_ci_u32_e64 v2, null, s46, 0, s39
	s_cselect_b32 s28, s29, s13
	s_delay_alu instid0(SALU_CYCLE_1) | instskip(NEXT) | instid1(SALU_CYCLE_1)
	s_ashr_i32 s29, s28, 31
	s_lshl_b64 s[28:29], s[28:29], 2
	s_delay_alu instid0(SALU_CYCLE_1) | instskip(SKIP_2) | instid1(SALU_CYCLE_1)
	s_add_u32 s40, s36, s28
	s_addc_u32 s41, s35, s29
	s_or_b32 s28, s12, 0x60
	s_ashr_i32 s29, s28, 4
	s_cmp_lt_i32 s28, s33
	s_cselect_b32 s28, s29, s13
	s_delay_alu instid0(SALU_CYCLE_1) | instskip(NEXT) | instid1(SALU_CYCLE_1)
	s_ashr_i32 s29, s28, 31
	s_lshl_b64 s[28:29], s[28:29], 2
	s_delay_alu instid0(SALU_CYCLE_1) | instskip(SKIP_2) | instid1(SALU_CYCLE_1)
	s_add_u32 s42, s36, s28
	s_addc_u32 s43, s35, s29
	s_or_b32 s28, s12, 0x80
	s_ashr_i32 s29, s28, 4
	s_cmp_lt_i32 s28, s33
	;; [unrolled: 10-line block ×3, first 2 shown]
	s_cselect_b32 s28, s29, s13
	s_delay_alu instid0(SALU_CYCLE_1) | instskip(NEXT) | instid1(SALU_CYCLE_1)
	s_ashr_i32 s29, s28, 31
	s_lshl_b64 s[28:29], s[28:29], 2
	s_delay_alu instid0(SALU_CYCLE_1)
	s_add_u32 s46, s36, s28
	s_addc_u32 s47, s35, s29
	s_clause 0x5
	s_load_b32 s29, s[2:3], 0x0
	s_load_b32 s2, s[26:27], 0x0
	;; [unrolled: 1-line block ×6, first 2 shown]
	s_or_b32 s39, s12, 0xc0
	s_delay_alu instid0(SALU_CYCLE_1) | instskip(SKIP_2) | instid1(SALU_CYCLE_1)
	s_ashr_i32 s40, s39, 4
	s_cmp_lt_i32 s39, s33
	s_cselect_b32 s40, s40, s13
	s_ashr_i32 s41, s40, 31
	s_delay_alu instid0(SALU_CYCLE_1) | instskip(NEXT) | instid1(SALU_CYCLE_1)
	s_lshl_b64 s[40:41], s[40:41], 2
	s_add_u32 s40, s36, s40
	s_addc_u32 s41, s35, s41
	s_or_b32 s39, s12, 0xe0
	s_delay_alu instid0(SALU_CYCLE_1) | instskip(SKIP_2) | instid1(SALU_CYCLE_1)
	s_ashr_i32 s42, s39, 4
	s_cmp_lt_i32 s39, s33
	s_cselect_b32 s42, s42, s13
	s_ashr_i32 s43, s42, 31
	s_delay_alu instid0(SALU_CYCLE_1)
	s_lshl_b64 s[42:43], s[42:43], 2
	s_waitcnt vmcnt(1)
	v_mad_i64_i32 v[3:4], null, v5, s25, v[1:2]
	s_waitcnt vmcnt(0)
	v_mad_i64_i32 v[5:6], null, v7, s25, v[1:2]
	s_clause 0x7
	global_load_b128 v[75:78], v[3:4], off
	global_load_b128 v[79:82], v[3:4], off offset:256
	global_load_b128 v[83:86], v[5:6], off
	global_load_b128 v[87:90], v[5:6], off offset:256
	global_load_b128 v[91:94], v[3:4], off offset:512
	;; [unrolled: 1-line block ×5, first 2 shown]
	v_lshl_or_b32 v1, v65, 8, v74
	s_load_b32 s13, s[40:41], 0x0
	s_add_u32 s40, s36, s42
	s_addc_u32 s41, s35, s43
	s_add_u32 s30, s30, s37
	s_addc_u32 s31, s31, s38
	v_add_co_u32 v1, s30, s30, v1
	s_delay_alu instid0(VALU_DEP_1) | instskip(SKIP_3) | instid1(VALU_DEP_1)
	v_add_co_ci_u32_e64 v2, null, s31, 0, s30
	s_load_b32 s30, s[40:41], 0x0
	s_mov_b32 s36, 0
	s_waitcnt lgkmcnt(0)
	v_mad_i64_i32 v[3:4], null, s29, s25, v[1:2]
	v_mad_i64_i32 v[9:10], null, s26, s25, v[1:2]
	;; [unrolled: 1-line block ×7, first 2 shown]
	s_clause 0x5
	global_load_b128 v[49:52], v[3:4], off
	global_load_b128 v[53:56], v[3:4], off offset:16
	global_load_b128 v[41:44], v[5:6], off
	global_load_b128 v[45:48], v[5:6], off offset:16
	;; [unrolled: 2-line block ×3, first 2 shown]
	s_mov_b32 s43, s36
	s_mov_b32 s37, s36
	v_mad_i64_i32 v[61:62], null, s30, s25, v[1:2]
	s_clause 0x9
	global_load_b128 v[25:28], v[9:10], off
	global_load_b128 v[29:32], v[9:10], off offset:16
	global_load_b128 v[1:4], v[11:12], off
	global_load_b128 v[5:8], v[11:12], off offset:16
	;; [unrolled: 2-line block ×5, first 2 shown]
	s_mov_b32 s38, s36
	s_mov_b32 s39, s36
	;; [unrolled: 1-line block ×5, first 2 shown]
	v_dual_mov_b32 v111, s20 :: v_dual_mov_b32 v122, s43
	v_dual_mov_b32 v109, s18 :: v_dual_mov_b32 v120, s41
	v_dual_mov_b32 v107, s16 :: v_dual_mov_b32 v118, s39
	v_dual_mov_b32 v121, s42 :: v_dual_mov_b32 v116, s37
	v_mov_b32_e32 v119, s40
	v_mov_b32_e32 v117, s38
	;; [unrolled: 1-line block ×3, first 2 shown]
	s_waitcnt vmcnt(0)
	s_barrier
	buffer_gl0_inv
	v_wmma_f32_16x16x16_bf16 v[123:130], v[75:82], v[107:114], v[115:122]
	v_bfe_u32 v75, v0, 4, 1
	v_wmma_f32_16x16x16_bf16 v[115:122], v[83:90], v[107:114], v[115:122]
	v_dual_mov_b32 v83, s11 :: v_dual_mov_b32 v80, s8
	v_mov_b32_e32 v82, s10
	s_delay_alu instid0(VALU_DEP_4) | instskip(SKIP_3) | instid1(VALU_DEP_4)
	v_or_b32_e32 v66, v66, v75
	v_dual_mov_b32 v81, s9 :: v_dual_mov_b32 v78, s6
	v_dual_mov_b32 v79, s7 :: v_dual_mov_b32 v76, s4
	v_mov_b32_e32 v77, s5
	v_or_b32_e32 v69, 4, v66
	v_or_b32_e32 v70, 6, v66
	;; [unrolled: 1-line block ×3, first 2 shown]
	v_cmp_gt_i32_e64 s2, s33, v66
	v_wmma_f32_16x16x16_bf16 v[123:130], v[91:98], v[76:83], v[123:130]
	v_cndmask_b32_e32 v67, v67, v68, vcc_lo
	v_or_b32_e32 v68, 2, v66
	v_wmma_f32_16x16x16_bf16 v[115:122], v[99:106], v[76:83], v[115:122]
	v_or_b32_e32 v72, 10, v66
	v_dual_mul_f32 v82, s24, v126 :: v_dual_mul_f32 v81, s24, v127
	v_dual_mul_f32 v92, s24, v124 :: v_dual_mul_f32 v93, s24, v123
	s_delay_alu instid0(VALU_DEP_4) | instskip(SKIP_2) | instid1(VALU_DEP_4)
	v_mul_f32_e32 v96, s24, v120
	v_cmp_gt_i32_e32 vcc_lo, s33, v68
	v_dual_mul_f32 v83, s24, v125 :: v_dual_mul_f32 v94, s24, v122
	v_cndmask_b32_e64 v93, 0xff7fffff, v93, s2
	v_cmp_gt_i32_e64 s3, s33, v69
	v_cndmask_b32_e32 v92, 0xff7fffff, v92, vcc_lo
	v_cmp_gt_i32_e64 s4, s33, v70
	v_cmp_gt_i32_e64 s5, s33, v71
	v_or_b32_e32 v84, 12, v66
	v_or_b32_e32 v85, 14, v66
	v_dual_mul_f32 v79, s24, v129 :: v_dual_mul_f32 v80, s24, v128
	v_cndmask_b32_e64 v69, 0xff7fffff, v83, s3
	v_cndmask_b32_e64 v70, 0xff7fffff, v82, s4
	;; [unrolled: 1-line block ×3, first 2 shown]
	v_cmp_gt_i32_e64 s6, s33, v72
	v_lshlrev_b32_e32 v81, 2, v67
	v_max3_f32 v82, v93, 0xff7fffff, v92
	v_or_b32_e32 v86, 16, v66
	v_or_b32_e32 v87, 18, v66
	v_mul_f32_e32 v78, s24, v130
	v_cndmask_b32_e64 v72, 0xff7fffff, v80, s6
	v_max3_f32 v69, v82, v69, v70
	v_cmp_gt_i32_e64 s7, s33, v84
	v_cmp_gt_i32_e64 s8, s33, v85
	v_or_b32_e32 v88, 20, v66
	v_or_b32_e32 v89, 22, v66
	;; [unrolled: 1-line block ×6, first 2 shown]
	v_dual_mul_f32 v97, s24, v119 :: v_dual_mul_f32 v68, s24, v116
	v_dual_mul_f32 v99, s24, v117 :: v_dual_mul_f32 v66, s24, v115
	v_cndmask_b32_e64 v70, 0xff7fffff, v79, s7
	v_cndmask_b32_e64 v78, 0xff7fffff, v78, s8
	v_max3_f32 v69, v69, v71, v72
	v_cmp_gt_i32_e64 s9, s33, v86
	v_cmp_gt_i32_e64 s10, s33, v87
	v_dual_mul_f32 v95, s24, v121 :: v_dual_mul_f32 v98, s24, v118
	s_delay_alu instid0(VALU_DEP_4) | instskip(NEXT) | instid1(VALU_DEP_4)
	v_max3_f32 v69, v69, v70, v78
	v_cndmask_b32_e64 v66, 0xff7fffff, v66, s9
	s_delay_alu instid0(VALU_DEP_4)
	v_cndmask_b32_e64 v68, 0xff7fffff, v68, s10
	v_cmp_gt_i32_e64 s11, s33, v88
	v_cmp_gt_i32_e64 s12, s33, v89
	;; [unrolled: 1-line block ×4, first 2 shown]
	v_max3_f32 v66, v69, v66, v68
	v_cndmask_b32_e64 v70, 0xff7fffff, v99, s11
	v_cndmask_b32_e64 v71, 0xff7fffff, v98, s12
	;; [unrolled: 1-line block ×4, first 2 shown]
	v_cmp_gt_i32_e64 s17, s33, v76
	v_cmp_gt_i32_e64 s18, s33, v77
	v_max3_f32 v66, v66, v70, v71
	s_delay_alu instid0(VALU_DEP_3) | instskip(NEXT) | instid1(VALU_DEP_3)
	v_cndmask_b32_e64 v70, 0xff7fffff, v95, s17
	v_cndmask_b32_e64 v71, 0xff7fffff, v94, s18
	s_delay_alu instid0(VALU_DEP_3) | instskip(NEXT) | instid1(VALU_DEP_1)
	v_max3_f32 v66, v66, v68, v69
	v_max3_f32 v66, v66, v70, v71
	ds_bpermute_b32 v67, v81, v66
	s_waitcnt lgkmcnt(0)
	v_max_f32_e32 v67, v67, v67
	s_delay_alu instid0(VALU_DEP_1) | instskip(NEXT) | instid1(VALU_DEP_1)
	v_max_f32_e32 v66, v66, v67
	v_fma_f32 v69, s24, v125, -v66
	s_delay_alu instid0(VALU_DEP_1)
	v_mul_f32_e32 v69, 0x3fb8aa3b, v69
	v_fma_f32 v67, s24, v123, -v66
	v_fma_f32 v68, s24, v124, -v66
	;; [unrolled: 1-line block ×4, first 2 shown]
	v_exp_f32_e32 v69, v69
	s_delay_alu instid0(VALU_DEP_3) | instskip(NEXT) | instid1(VALU_DEP_3)
	v_dual_mul_f32 v67, 0x3fb8aa3b, v67 :: v_dual_mul_f32 v68, 0x3fb8aa3b, v68
	v_mul_f32_e32 v70, 0x3fb8aa3b, v70
	v_fma_f32 v72, s24, v129, -v66
	v_fma_f32 v77, s24, v119, -v66
	s_delay_alu instid0(VALU_DEP_4)
	v_exp_f32_e32 v67, v67
	v_exp_f32_e32 v68, v68
	v_mul_f32_e32 v71, 0x3fb8aa3b, v71
	v_exp_f32_e32 v70, v70
	v_cndmask_b32_e64 v82, 0, v69, s3
	v_fma_f32 v69, s24, v130, -v66
	v_fma_f32 v88, s24, v122, -v66
	s_mov_b32 s3, exec_lo
	v_mul_f32_e32 v77, 0x3fb8aa3b, v77
	s_delay_alu instid0(TRANS32_DEP_3) | instskip(NEXT) | instid1(TRANS32_DEP_2)
	v_cndmask_b32_e64 v80, 0, v67, s2
	v_cndmask_b32_e32 v76, 0, v68, vcc_lo
	v_fma_f32 v67, s24, v128, -v66
	v_exp_f32_e32 v71, v71
	v_cndmask_b32_e64 v84, 0, v70, s4
	v_dual_add_f32 v68, 0, v80 :: v_dual_mul_f32 v69, 0x3fb8aa3b, v69
	s_delay_alu instid0(VALU_DEP_3) | instskip(SKIP_2) | instid1(VALU_DEP_3)
	v_mul_f32_e32 v67, 0x3fb8aa3b, v67
	v_fma_f32 v70, s24, v115, -v66
	v_exp_f32_e32 v77, v77
	v_add_f32_e32 v68, v68, v76
	v_exp_f32_e32 v69, v69
	v_exp_f32_e32 v67, v67
	v_cndmask_b32_e64 v85, 0, v71, s5
	v_fma_f32 v71, s24, v116, -v66
	v_add_f32_e32 v68, v68, v82
	s_delay_alu instid0(VALU_DEP_2)
	v_dual_mul_f32 v88, 0x3fb8aa3b, v88 :: v_dual_mul_f32 v71, 0x3fb8aa3b, v71
	s_waitcnt_depctr 0xfff
	v_cndmask_b32_e64 v87, 0, v69, s8
	v_cndmask_b32_e64 v86, 0, v67, s6
	v_add_f32_e32 v68, v68, v84
	v_mul_f32_e32 v72, 0x3fb8aa3b, v72
	v_exp_f32_e32 v71, v71
	s_delay_alu instid0(VALU_DEP_2) | instskip(NEXT) | instid1(VALU_DEP_2)
	v_add_f32_e32 v67, v68, v85
	v_exp_f32_e32 v72, v72
	v_fma_f32 v68, s24, v117, -v66
	s_delay_alu instid0(VALU_DEP_2) | instskip(SKIP_4) | instid1(VALU_DEP_3)
	v_add_f32_e32 v67, v67, v86
	s_waitcnt_depctr 0xfff
	v_cndmask_b32_e64 v83, 0, v72, s7
	v_mul_f32_e32 v70, 0x3fb8aa3b, v70
	v_fma_f32 v72, s24, v118, -v66
	v_add_f32_e32 v67, v67, v83
	s_delay_alu instid0(VALU_DEP_3) | instskip(SKIP_1) | instid1(VALU_DEP_2)
	v_exp_f32_e32 v70, v70
	v_mul_f32_e32 v68, 0x3fb8aa3b, v68
	v_dual_mul_f32 v72, 0x3fb8aa3b, v72 :: v_dual_add_f32 v67, v67, v87
	s_delay_alu instid0(VALU_DEP_2) | instskip(NEXT) | instid1(VALU_DEP_1)
	v_exp_f32_e32 v78, v68
	v_exp_f32_e32 v72, v72
	v_cndmask_b32_e64 v68, 0, v71, s10
	v_fma_f32 v71, s24, v121, -v66
	s_delay_alu instid0(TRANS32_DEP_3) | instskip(SKIP_1) | instid1(VALU_DEP_2)
	v_cndmask_b32_e64 v69, 0, v70, s9
	v_fma_f32 v70, s24, v120, -v66
	v_add_f32_e32 v67, v67, v69
	s_delay_alu instid0(VALU_DEP_2) | instskip(NEXT) | instid1(TRANS32_DEP_2)
	v_mul_f32_e32 v79, 0x3fb8aa3b, v70
	v_cndmask_b32_e64 v70, 0, v78, s11
	v_mul_f32_e32 v78, 0x3fb8aa3b, v71
	s_delay_alu instid0(TRANS32_DEP_1) | instskip(SKIP_4) | instid1(VALU_DEP_2)
	v_cndmask_b32_e64 v71, 0, v72, s12
	v_add_f32_e32 v67, v67, v68
	v_exp_f32_e32 v79, v79
	v_cndmask_b32_e64 v72, 0, v77, s13
	v_exp_f32_e32 v78, v78
	v_add_f32_e32 v67, v67, v70
	s_waitcnt_depctr 0xfff
	v_cndmask_b32_e64 v77, 0, v79, s16
	v_exp_f32_e32 v79, v88
	v_dual_add_f32 v67, v67, v71 :: v_dual_and_b32 v88, 31, v0
	v_cndmask_b32_e64 v78, 0, v78, s17
	s_delay_alu instid0(VALU_DEP_2) | instskip(NEXT) | instid1(VALU_DEP_3)
	v_cmp_lt_u32_e64 s2, 15, v88
	v_add_f32_e32 v67, v67, v72
	s_waitcnt_depctr 0xfff
	v_cndmask_b32_e64 v79, 0, v79, s18
	v_add_f32_e32 v67, v67, v77
	s_delay_alu instid0(VALU_DEP_1) | instskip(NEXT) | instid1(VALU_DEP_1)
	v_add_f32_e32 v67, v67, v78
	v_add_f32_e32 v67, v67, v79
	ds_bpermute_b32 v81, v81, v67
	v_cmpx_gt_u32_e32 16, v88
	s_cbranch_execz .LBB1726_11
; %bb.10:
	v_mul_u32_u24_e32 v88, 0x44, v65
	s_waitcnt lgkmcnt(0)
	v_add_f32_e32 v67, v67, v81
	s_delay_alu instid0(VALU_DEP_2) | instskip(NEXT) | instid1(VALU_DEP_1)
	v_lshl_add_u32 v88, v73, 2, v88
	v_add_nc_u32_e32 v81, 0x4000, v88
	ds_store_2addr_b32 v81, v66, v67 offset1:136
.LBB1726_11:
	s_or_b32 exec_lo, exec_lo, s3
	v_lshlrev_b32_e32 v66, 2, v73
	s_waitcnt lgkmcnt(0)
	s_barrier
	buffer_gl0_inv
	v_cmp_eq_u32_e32 vcc_lo, 1, v65
	v_add_nc_u32_e32 v81, 0x4000, v66
	v_cmp_eq_u32_e64 s3, 2, v65
	v_cmp_eq_u32_e64 s5, 7, v65
	ds_load_2addr_b32 v[88:89], v81 offset1:17
	ds_load_2addr_b32 v[90:91], v81 offset0:34 offset1:51
	ds_load_2addr_b32 v[92:93], v81 offset0:68 offset1:85
	;; [unrolled: 1-line block ×4, first 2 shown]
	s_waitcnt lgkmcnt(4)
	v_max3_f32 v66, v88, 0xff7fffff, v89
	s_waitcnt lgkmcnt(3)
	s_delay_alu instid0(VALU_DEP_1) | instskip(SKIP_1) | instid1(VALU_DEP_1)
	v_max3_f32 v66, v66, v90, v91
	s_waitcnt lgkmcnt(2)
	v_max3_f32 v66, v66, v92, v93
	s_waitcnt lgkmcnt(1)
	s_delay_alu instid0(VALU_DEP_1) | instskip(NEXT) | instid1(VALU_DEP_1)
	v_max3_f32 v66, v66, v94, v95
	v_sub_f32_e32 v92, v92, v66
	s_delay_alu instid0(VALU_DEP_1) | instskip(NEXT) | instid1(VALU_DEP_1)
	v_dual_sub_f32 v67, v88, v66 :: v_dual_mul_f32 v102, 0x3fb8aa3b, v92
	v_mul_f32_e32 v67, 0x3fb8aa3b, v67
	s_delay_alu instid0(VALU_DEP_1)
	v_exp_f32_e32 v99, v67
	v_sub_f32_e32 v67, v91, v66
	v_sub_f32_e32 v98, v89, v66
	ds_load_2addr_b32 v[88:89], v81 offset0:170 offset1:187
	v_dual_mul_f32 v101, 0x3fb8aa3b, v67 :: v_dual_mul_f32 v98, 0x3fb8aa3b, v98
	s_waitcnt lgkmcnt(1)
	v_fma_f32 v67, v99, v96, 0
	s_delay_alu instid0(VALU_DEP_2) | instskip(NEXT) | instid1(VALU_DEP_2)
	v_exp_f32_e32 v101, v101
	v_exp_f32_e32 v98, v98
	s_waitcnt_depctr 0xfff
	v_fmac_f32_e32 v67, v98, v97
	v_sub_f32_e32 v90, v90, v66
	s_delay_alu instid0(VALU_DEP_1)
	v_mul_f32_e32 v100, 0x3fb8aa3b, v90
	ds_load_2addr_b32 v[90:91], v81 offset0:204 offset1:221
	v_sub_f32_e32 v96, v93, v66
	ds_load_2addr_b32 v[92:93], v81 offset0:238 offset1:255
	s_waitcnt lgkmcnt(0)
	v_exp_f32_e32 v100, v100
	s_barrier
	buffer_gl0_inv
	v_dual_fmac_f32 v67, v100, v88 :: v_dual_sub_f32 v88, v95, v66
	v_dual_sub_f32 v81, v94, v66 :: v_dual_mul_f32 v94, 0x3fb8aa3b, v96
	v_exp_f32_e32 v96, v102
	s_delay_alu instid0(VALU_DEP_2) | instskip(NEXT) | instid1(VALU_DEP_2)
	v_dual_fmac_f32 v67, v101, v89 :: v_dual_mul_f32 v88, 0x3fb8aa3b, v88
	v_mul_f32_e32 v81, 0x3fb8aa3b, v81
	s_delay_alu instid0(VALU_DEP_3) | instskip(NEXT) | instid1(VALU_DEP_2)
	v_exp_f32_e32 v94, v94
	v_exp_f32_e32 v88, v88
	s_delay_alu instid0(VALU_DEP_1)
	v_exp_f32_e32 v81, v81
	v_fmac_f32_e32 v67, v96, v90
	s_delay_alu instid0(TRANS32_DEP_3) | instid1(VALU_DEP_1)
	v_fmac_f32_e32 v67, v94, v91
	s_waitcnt_depctr 0xfff
	v_fmac_f32_e32 v67, v81, v92
	s_delay_alu instid0(VALU_DEP_1) | instskip(NEXT) | instid1(VALU_DEP_1)
	v_fmac_f32_e32 v67, v88, v93
	v_add_f32_e32 v89, 0x358637bd, v67
	s_delay_alu instid0(VALU_DEP_1) | instskip(NEXT) | instid1(VALU_DEP_1)
	v_div_scale_f32 v90, null, v89, v89, 1.0
	v_rcp_f32_e32 v91, v90
	s_waitcnt_depctr 0xfff
	v_fma_f32 v92, -v90, v91, 1.0
	s_delay_alu instid0(VALU_DEP_1) | instskip(SKIP_1) | instid1(VALU_DEP_2)
	v_dual_fmac_f32 v91, v92, v91 :: v_dual_cndmask_b32 v92, v99, v98
	v_cmp_eq_u32_e32 vcc_lo, 3, v65
	v_cndmask_b32_e64 v92, v92, v100, s3
	v_cmp_eq_u32_e64 s3, 4, v65
	s_delay_alu instid0(VALU_DEP_2) | instskip(SKIP_1) | instid1(VALU_DEP_2)
	v_cndmask_b32_e32 v92, v92, v101, vcc_lo
	v_cmp_eq_u32_e32 vcc_lo, 5, v65
	v_cndmask_b32_e64 v92, v92, v96, s3
	v_cmp_eq_u32_e64 s3, 6, v65
	s_delay_alu instid0(VALU_DEP_2) | instskip(SKIP_1) | instid1(VALU_DEP_1)
	v_cndmask_b32_e32 v92, v92, v94, vcc_lo
	v_div_scale_f32 v93, s4, 1.0, v89, 1.0
	s_mov_b32 vcc_lo, s4
	s_delay_alu instid0(VALU_DEP_2) | instskip(NEXT) | instid1(VALU_DEP_2)
	v_cndmask_b32_e64 v81, v92, v81, s3
	v_mul_f32_e32 v95, v93, v91
	s_mov_b32 s3, exec_lo
	s_delay_alu instid0(VALU_DEP_2) | instskip(NEXT) | instid1(VALU_DEP_2)
	v_cndmask_b32_e64 v81, v81, v88, s5
	v_fma_f32 v97, -v90, v95, v93
	s_delay_alu instid0(VALU_DEP_1) | instskip(NEXT) | instid1(VALU_DEP_1)
	v_fmac_f32_e32 v95, v97, v91
	v_fma_f32 v90, -v90, v95, v93
	s_delay_alu instid0(VALU_DEP_1) | instskip(NEXT) | instid1(VALU_DEP_1)
	v_div_fmas_f32 v90, v90, v91, v95
	v_div_fixup_f32 v89, v90, v89, 1.0
	s_delay_alu instid0(VALU_DEP_1) | instskip(NEXT) | instid1(VALU_DEP_1)
	v_mul_f32_e32 v81, v81, v89
	v_mul_f32_e32 v89, v81, v80
	;; [unrolled: 1-line block ×6, first 2 shown]
	v_and_b32_e32 v90, 0x7f800000, v89
	v_mul_f32_e32 v88, v81, v84
	v_mul_f32_e32 v85, v81, v82
	;; [unrolled: 1-line block ×3, first 2 shown]
                                        ; implicit-def: $vgpr76
	s_delay_alu instid0(VALU_DEP_4)
	v_cmpx_ne_u32_e32 0x7f800000, v90
	s_xor_b32 s3, exec_lo, s3
; %bb.12:
	v_bfe_u32 v76, v89, 16, 1
	s_delay_alu instid0(VALU_DEP_1)
	v_add3_u32 v76, v89, v76, 0x7fff
                                        ; implicit-def: $vgpr89
; %bb.13:
	s_and_not1_saveexec_b32 s3, s3
; %bb.14:
	v_and_b32_e32 v76, 0xffff, v89
	v_or_b32_e32 v82, 0x10000, v89
	s_delay_alu instid0(VALU_DEP_2) | instskip(NEXT) | instid1(VALU_DEP_2)
	v_cmp_eq_u32_e32 vcc_lo, 0, v76
	v_cndmask_b32_e32 v76, v82, v89, vcc_lo
; %bb.15:
	s_or_b32 exec_lo, exec_lo, s3
	v_and_b32_e32 v82, 0x7f800000, v84
	s_delay_alu instid0(VALU_DEP_1) | instskip(SKIP_1) | instid1(SALU_CYCLE_1)
	v_cmp_ne_u32_e32 vcc_lo, 0x7f800000, v82
                                        ; implicit-def: $vgpr82
	s_and_saveexec_b32 s3, vcc_lo
	s_xor_b32 s3, exec_lo, s3
; %bb.16:
	v_bfe_u32 v82, v84, 16, 1
	s_delay_alu instid0(VALU_DEP_1)
	v_add3_u32 v82, v84, v82, 0x7fff
                                        ; implicit-def: $vgpr84
; %bb.17:
	s_and_not1_saveexec_b32 s3, s3
; %bb.18:
	v_and_b32_e32 v82, 0xffff, v84
	v_or_b32_e32 v89, 0x10000, v84
	s_delay_alu instid0(VALU_DEP_2) | instskip(NEXT) | instid1(VALU_DEP_2)
	v_cmp_eq_u32_e32 vcc_lo, 0, v82
	v_cndmask_b32_e32 v82, v89, v84, vcc_lo
; %bb.19:
	s_or_b32 exec_lo, exec_lo, s3
	v_and_b32_e32 v84, 0x7f800000, v85
	s_delay_alu instid0(VALU_DEP_1) | instskip(SKIP_1) | instid1(SALU_CYCLE_1)
	v_cmp_ne_u32_e32 vcc_lo, 0x7f800000, v84
                                        ; implicit-def: $vgpr84
	s_and_saveexec_b32 s3, vcc_lo
	s_xor_b32 s3, exec_lo, s3
; %bb.20:
	v_bfe_u32 v84, v85, 16, 1
	s_delay_alu instid0(VALU_DEP_1)
	v_add3_u32 v84, v85, v84, 0x7fff
                                        ; implicit-def: $vgpr85
; %bb.21:
	s_and_not1_saveexec_b32 s3, s3
; %bb.22:
	v_and_b32_e32 v84, 0xffff, v85
	v_or_b32_e32 v89, 0x10000, v85
	s_delay_alu instid0(VALU_DEP_2) | instskip(NEXT) | instid1(VALU_DEP_2)
	v_cmp_eq_u32_e32 vcc_lo, 0, v84
	v_cndmask_b32_e32 v84, v89, v85, vcc_lo
; %bb.23:
	s_or_b32 exec_lo, exec_lo, s3
	v_and_b32_e32 v85, 0x7f800000, v88
	s_delay_alu instid0(VALU_DEP_1) | instskip(SKIP_1) | instid1(SALU_CYCLE_1)
	v_cmp_ne_u32_e32 vcc_lo, 0x7f800000, v85
                                        ; implicit-def: $vgpr85
	s_and_saveexec_b32 s3, vcc_lo
	s_xor_b32 s3, exec_lo, s3
; %bb.24:
	v_bfe_u32 v85, v88, 16, 1
	s_delay_alu instid0(VALU_DEP_1)
	v_add3_u32 v85, v88, v85, 0x7fff
                                        ; implicit-def: $vgpr88
; %bb.25:
	s_and_not1_saveexec_b32 s3, s3
; %bb.26:
	v_and_b32_e32 v85, 0xffff, v88
	v_or_b32_e32 v89, 0x10000, v88
	s_delay_alu instid0(VALU_DEP_2) | instskip(NEXT) | instid1(VALU_DEP_2)
	v_cmp_eq_u32_e32 vcc_lo, 0, v85
	v_cndmask_b32_e32 v85, v89, v88, vcc_lo
; %bb.27:
	s_or_b32 exec_lo, exec_lo, s3
	v_and_b32_e32 v88, 0x7f800000, v87
	s_delay_alu instid0(VALU_DEP_1) | instskip(SKIP_1) | instid1(SALU_CYCLE_1)
	v_cmp_ne_u32_e32 vcc_lo, 0x7f800000, v88
                                        ; implicit-def: $vgpr88
	s_and_saveexec_b32 s3, vcc_lo
	s_xor_b32 s3, exec_lo, s3
; %bb.28:
	v_bfe_u32 v88, v87, 16, 1
	s_delay_alu instid0(VALU_DEP_1)
	v_add3_u32 v88, v87, v88, 0x7fff
                                        ; implicit-def: $vgpr87
; %bb.29:
	s_and_not1_saveexec_b32 s3, s3
; %bb.30:
	v_and_b32_e32 v88, 0xffff, v87
	v_or_b32_e32 v89, 0x10000, v87
	s_delay_alu instid0(VALU_DEP_2) | instskip(NEXT) | instid1(VALU_DEP_2)
	v_cmp_eq_u32_e32 vcc_lo, 0, v88
	v_cndmask_b32_e32 v88, v89, v87, vcc_lo
; %bb.31:
	s_or_b32 exec_lo, exec_lo, s3
	v_and_b32_e32 v87, 0x7f800000, v86
	s_delay_alu instid0(VALU_DEP_1) | instskip(SKIP_1) | instid1(SALU_CYCLE_1)
	v_cmp_ne_u32_e32 vcc_lo, 0x7f800000, v87
                                        ; implicit-def: $vgpr87
	s_and_saveexec_b32 s3, vcc_lo
	s_xor_b32 s3, exec_lo, s3
; %bb.32:
	v_bfe_u32 v87, v86, 16, 1
	s_delay_alu instid0(VALU_DEP_1)
	v_add3_u32 v87, v86, v87, 0x7fff
                                        ; implicit-def: $vgpr86
; %bb.33:
	s_and_not1_saveexec_b32 s3, s3
; %bb.34:
	v_and_b32_e32 v87, 0xffff, v86
	v_or_b32_e32 v89, 0x10000, v86
	s_delay_alu instid0(VALU_DEP_2) | instskip(NEXT) | instid1(VALU_DEP_2)
	v_cmp_eq_u32_e32 vcc_lo, 0, v87
	v_cndmask_b32_e32 v87, v89, v86, vcc_lo
; %bb.35:
	s_or_b32 exec_lo, exec_lo, s3
	v_and_b32_e32 v86, 0x7f800000, v83
	s_delay_alu instid0(VALU_DEP_1) | instskip(SKIP_1) | instid1(SALU_CYCLE_1)
	v_cmp_ne_u32_e32 vcc_lo, 0x7f800000, v86
                                        ; implicit-def: $vgpr86
	s_and_saveexec_b32 s3, vcc_lo
	s_xor_b32 s3, exec_lo, s3
; %bb.36:
	v_bfe_u32 v86, v83, 16, 1
	s_delay_alu instid0(VALU_DEP_1)
	v_add3_u32 v86, v83, v86, 0x7fff
                                        ; implicit-def: $vgpr83
; %bb.37:
	s_and_not1_saveexec_b32 s3, s3
; %bb.38:
	v_and_b32_e32 v86, 0xffff, v83
	v_or_b32_e32 v89, 0x10000, v83
	s_delay_alu instid0(VALU_DEP_2) | instskip(NEXT) | instid1(VALU_DEP_2)
	v_cmp_eq_u32_e32 vcc_lo, 0, v86
	v_cndmask_b32_e32 v86, v89, v83, vcc_lo
; %bb.39:
	s_or_b32 exec_lo, exec_lo, s3
	v_and_b32_e32 v83, 0x7f800000, v80
	s_delay_alu instid0(VALU_DEP_1) | instskip(SKIP_1) | instid1(SALU_CYCLE_1)
	v_cmp_ne_u32_e32 vcc_lo, 0x7f800000, v83
                                        ; implicit-def: $vgpr83
	s_and_saveexec_b32 s3, vcc_lo
	s_xor_b32 s3, exec_lo, s3
; %bb.40:
	v_bfe_u32 v83, v80, 16, 1
	s_delay_alu instid0(VALU_DEP_1)
	v_add3_u32 v83, v80, v83, 0x7fff
                                        ; implicit-def: $vgpr80
; %bb.41:
	s_and_not1_saveexec_b32 s3, s3
; %bb.42:
	v_and_b32_e32 v83, 0xffff, v80
	v_or_b32_e32 v89, 0x10000, v80
	s_delay_alu instid0(VALU_DEP_2) | instskip(NEXT) | instid1(VALU_DEP_2)
	v_cmp_eq_u32_e32 vcc_lo, 0, v83
	v_cndmask_b32_e32 v83, v89, v80, vcc_lo
; %bb.43:
	s_or_b32 exec_lo, exec_lo, s3
	s_load_b64 s[36:37], s[0:1], 0x94
	v_lshlrev_b32_e32 v90, 4, v75
	s_delay_alu instid0(VALU_DEP_2)
	v_perm_b32 v89, v83, v86, 0x7060302
	v_mul_f32_e32 v83, v81, v69
	v_dual_mul_f32 v69, v81, v79 :: v_dual_lshlrev_b32 v80, 6, v73
	v_dual_mul_f32 v78, v81, v78 :: v_dual_lshlrev_b32 v91, 11, v65
	v_perm_b32 v88, v87, v88, 0x7060302
	v_perm_b32 v87, v85, v84, 0x7060302
	;; [unrolled: 1-line block ×3, first 2 shown]
	s_delay_alu instid0(VALU_DEP_4)
	v_or3_b32 v76, v90, v91, v80
	v_dual_mul_f32 v77, v81, v77 :: v_dual_and_b32 v84, 0x7f800000, v83
	v_mul_f32_e32 v72, v81, v72
	v_mul_f32_e32 v82, v81, v71
	;; [unrolled: 1-line block ×4, first 2 shown]
	s_mov_b32 s3, exec_lo
	ds_store_b128 v76, v[86:89]
                                        ; implicit-def: $vgpr68
	v_cmpx_ne_u32_e32 0x7f800000, v84
	s_xor_b32 s3, exec_lo, s3
; %bb.44:
	v_bfe_u32 v68, v83, 16, 1
	s_delay_alu instid0(VALU_DEP_1)
	v_add3_u32 v68, v83, v68, 0x7fff
                                        ; implicit-def: $vgpr83
; %bb.45:
	s_and_not1_saveexec_b32 s3, s3
; %bb.46:
	v_and_b32_e32 v68, 0xffff, v83
	v_or_b32_e32 v70, 0x10000, v83
	s_delay_alu instid0(VALU_DEP_2) | instskip(NEXT) | instid1(VALU_DEP_2)
	v_cmp_eq_u32_e32 vcc_lo, 0, v68
	v_cndmask_b32_e32 v68, v70, v83, vcc_lo
; %bb.47:
	s_or_b32 exec_lo, exec_lo, s3
	v_and_b32_e32 v70, 0x7f800000, v71
	s_delay_alu instid0(VALU_DEP_1) | instskip(SKIP_1) | instid1(SALU_CYCLE_1)
	v_cmp_ne_u32_e32 vcc_lo, 0x7f800000, v70
                                        ; implicit-def: $vgpr70
	s_and_saveexec_b32 s3, vcc_lo
	s_xor_b32 s3, exec_lo, s3
; %bb.48:
	v_bfe_u32 v70, v71, 16, 1
	s_delay_alu instid0(VALU_DEP_1)
	v_add3_u32 v70, v71, v70, 0x7fff
                                        ; implicit-def: $vgpr71
; %bb.49:
	s_and_not1_saveexec_b32 s3, s3
; %bb.50:
	v_and_b32_e32 v70, 0xffff, v71
	v_or_b32_e32 v81, 0x10000, v71
	s_delay_alu instid0(VALU_DEP_2) | instskip(NEXT) | instid1(VALU_DEP_2)
	v_cmp_eq_u32_e32 vcc_lo, 0, v70
	v_cndmask_b32_e32 v70, v81, v71, vcc_lo
; %bb.51:
	s_or_b32 exec_lo, exec_lo, s3
	v_and_b32_e32 v71, 0x7f800000, v79
	s_delay_alu instid0(VALU_DEP_1) | instskip(SKIP_1) | instid1(SALU_CYCLE_1)
	v_cmp_ne_u32_e32 vcc_lo, 0x7f800000, v71
                                        ; implicit-def: $vgpr71
	s_and_saveexec_b32 s3, vcc_lo
	s_xor_b32 s3, exec_lo, s3
; %bb.52:
	v_bfe_u32 v71, v79, 16, 1
	s_delay_alu instid0(VALU_DEP_1)
	v_add3_u32 v71, v79, v71, 0x7fff
                                        ; implicit-def: $vgpr79
; %bb.53:
	s_and_not1_saveexec_b32 s3, s3
; %bb.54:
	v_and_b32_e32 v71, 0xffff, v79
	v_or_b32_e32 v81, 0x10000, v79
	s_delay_alu instid0(VALU_DEP_2) | instskip(NEXT) | instid1(VALU_DEP_2)
	v_cmp_eq_u32_e32 vcc_lo, 0, v71
	v_cndmask_b32_e32 v71, v81, v79, vcc_lo
; %bb.55:
	s_or_b32 exec_lo, exec_lo, s3
	v_and_b32_e32 v79, 0x7f800000, v82
	s_delay_alu instid0(VALU_DEP_1) | instskip(SKIP_1) | instid1(SALU_CYCLE_1)
	v_cmp_ne_u32_e32 vcc_lo, 0x7f800000, v79
                                        ; implicit-def: $vgpr79
	s_and_saveexec_b32 s3, vcc_lo
	s_xor_b32 s3, exec_lo, s3
; %bb.56:
	v_bfe_u32 v79, v82, 16, 1
	s_delay_alu instid0(VALU_DEP_1)
	v_add3_u32 v79, v82, v79, 0x7fff
                                        ; implicit-def: $vgpr82
; %bb.57:
	s_and_not1_saveexec_b32 s3, s3
; %bb.58:
	v_and_b32_e32 v79, 0xffff, v82
	v_or_b32_e32 v81, 0x10000, v82
	s_delay_alu instid0(VALU_DEP_2) | instskip(NEXT) | instid1(VALU_DEP_2)
	v_cmp_eq_u32_e32 vcc_lo, 0, v79
	v_cndmask_b32_e32 v79, v81, v82, vcc_lo
; %bb.59:
	s_or_b32 exec_lo, exec_lo, s3
	v_and_b32_e32 v81, 0x7f800000, v72
	s_delay_alu instid0(VALU_DEP_1) | instskip(SKIP_1) | instid1(SALU_CYCLE_1)
	v_cmp_ne_u32_e32 vcc_lo, 0x7f800000, v81
                                        ; implicit-def: $vgpr81
	s_and_saveexec_b32 s3, vcc_lo
	s_xor_b32 s3, exec_lo, s3
; %bb.60:
	v_bfe_u32 v81, v72, 16, 1
	s_delay_alu instid0(VALU_DEP_1)
	v_add3_u32 v81, v72, v81, 0x7fff
                                        ; implicit-def: $vgpr72
; %bb.61:
	s_and_not1_saveexec_b32 s3, s3
; %bb.62:
	v_and_b32_e32 v81, 0xffff, v72
	v_or_b32_e32 v82, 0x10000, v72
	s_delay_alu instid0(VALU_DEP_2) | instskip(NEXT) | instid1(VALU_DEP_2)
	v_cmp_eq_u32_e32 vcc_lo, 0, v81
	v_cndmask_b32_e32 v81, v82, v72, vcc_lo
; %bb.63:
	s_or_b32 exec_lo, exec_lo, s3
	v_and_b32_e32 v72, 0x7f800000, v77
	s_delay_alu instid0(VALU_DEP_1) | instskip(SKIP_1) | instid1(SALU_CYCLE_1)
	v_cmp_ne_u32_e32 vcc_lo, 0x7f800000, v72
                                        ; implicit-def: $vgpr72
	s_and_saveexec_b32 s3, vcc_lo
	s_xor_b32 s3, exec_lo, s3
; %bb.64:
	v_bfe_u32 v72, v77, 16, 1
	s_delay_alu instid0(VALU_DEP_1)
	v_add3_u32 v72, v77, v72, 0x7fff
                                        ; implicit-def: $vgpr77
; %bb.65:
	s_and_not1_saveexec_b32 s3, s3
; %bb.66:
	v_and_b32_e32 v72, 0xffff, v77
	v_or_b32_e32 v82, 0x10000, v77
	s_delay_alu instid0(VALU_DEP_2) | instskip(NEXT) | instid1(VALU_DEP_2)
	v_cmp_eq_u32_e32 vcc_lo, 0, v72
	v_cndmask_b32_e32 v72, v82, v77, vcc_lo
; %bb.67:
	s_or_b32 exec_lo, exec_lo, s3
	v_and_b32_e32 v77, 0x7f800000, v78
	s_delay_alu instid0(VALU_DEP_1) | instskip(SKIP_1) | instid1(SALU_CYCLE_1)
	v_cmp_ne_u32_e32 vcc_lo, 0x7f800000, v77
                                        ; implicit-def: $vgpr77
	s_and_saveexec_b32 s3, vcc_lo
	s_xor_b32 s3, exec_lo, s3
; %bb.68:
	v_bfe_u32 v77, v78, 16, 1
	s_delay_alu instid0(VALU_DEP_1)
	v_add3_u32 v77, v78, v77, 0x7fff
                                        ; implicit-def: $vgpr78
; %bb.69:
	s_and_not1_saveexec_b32 s3, s3
; %bb.70:
	v_and_b32_e32 v77, 0xffff, v78
	v_or_b32_e32 v82, 0x10000, v78
	s_delay_alu instid0(VALU_DEP_2) | instskip(NEXT) | instid1(VALU_DEP_2)
	v_cmp_eq_u32_e32 vcc_lo, 0, v77
	v_cndmask_b32_e32 v77, v82, v78, vcc_lo
; %bb.71:
	s_or_b32 exec_lo, exec_lo, s3
	v_and_b32_e32 v78, 0x7f800000, v69
	s_delay_alu instid0(VALU_DEP_1) | instskip(SKIP_1) | instid1(SALU_CYCLE_1)
	v_cmp_ne_u32_e32 vcc_lo, 0x7f800000, v78
                                        ; implicit-def: $vgpr78
	s_and_saveexec_b32 s3, vcc_lo
	s_xor_b32 s3, exec_lo, s3
; %bb.72:
	v_bfe_u32 v78, v69, 16, 1
	s_delay_alu instid0(VALU_DEP_1)
	v_add3_u32 v78, v69, v78, 0x7fff
                                        ; implicit-def: $vgpr69
; %bb.73:
	s_and_not1_saveexec_b32 s3, s3
; %bb.74:
	v_and_b32_e32 v78, 0xffff, v69
	v_or_b32_e32 v82, 0x10000, v69
	s_delay_alu instid0(VALU_DEP_2) | instskip(NEXT) | instid1(VALU_DEP_2)
	v_cmp_eq_u32_e32 vcc_lo, 0, v78
	v_cndmask_b32_e32 v78, v82, v69, vcc_lo
; %bb.75:
	s_or_b32 exec_lo, exec_lo, s3
	s_delay_alu instid0(VALU_DEP_1)
	v_perm_b32 v86, v78, v77, 0x7060302
	v_perm_b32 v85, v72, v81, 0x7060302
	;; [unrolled: 1-line block ×4, first 2 shown]
	v_lshl_or_b32 v82, v65, 11, v80
	ds_store_b128 v76, v[83:86] offset:1024
	s_waitcnt lgkmcnt(0)
	s_barrier
	buffer_gl0_inv
	ds_load_b128 v[68:71], v82
	ds_load_b128 v[83:86], v82 offset:16
	s_waitcnt lgkmcnt(1)
	v_lshrrev_b32_e32 v65, 16, v68
	v_lshlrev_b32_e32 v78, 2, v75
	s_waitcnt lgkmcnt(0)
	v_lshrrev_b32_e32 v91, 16, v83
	v_lshrrev_b32_e32 v72, 16, v69
	;; [unrolled: 1-line block ×4, first 2 shown]
	v_cmp_eq_u32_e32 vcc_lo, 1, v78
	v_lshrrev_b32_e32 v98, 16, v85
	v_lshrrev_b32_e32 v96, 16, v71
	;; [unrolled: 1-line block ×3, first 2 shown]
	v_cndmask_b32_e32 v81, v68, v65, vcc_lo
	v_or_b32_e32 v79, 1, v78
	v_cmp_eq_u32_e64 s4, 2, v78
	v_cndmask_b32_e32 v87, v83, v91, vcc_lo
	v_cmp_eq_u32_e64 s7, 3, v78
	v_cmp_eq_u32_e64 s9, 4, v78
	;; [unrolled: 1-line block ×3, first 2 shown]
	v_cndmask_b32_e64 v81, v81, v69, s4
	v_cmp_eq_u32_e64 s6, 2, v79
	v_cndmask_b32_e64 v87, v87, v84, s4
	v_cmp_eq_u32_e64 s8, 3, v79
	v_cndmask_b32_e64 v88, v68, v65, s3
	v_cndmask_b32_e64 v81, v81, v72, s7
	v_or_b32_e32 v77, 2, v78
	v_cndmask_b32_e64 v87, v87, v97, s7
	v_cndmask_b32_e64 v89, v83, v91, s3
	;; [unrolled: 1-line block ×4, first 2 shown]
	v_cmp_eq_u32_e64 s10, 5, v78
	v_cndmask_b32_e64 v87, v87, v85, s9
	v_cmp_eq_u32_e64 s11, 4, v79
	v_cndmask_b32_e64 v88, v88, v72, s8
	;; [unrolled: 2-line block ×3, first 2 shown]
	v_cndmask_b32_e64 v81, v81, v95, s10
	v_cmp_eq_u32_e64 s12, 6, v78
	v_cndmask_b32_e64 v88, v88, v70, s11
	v_cndmask_b32_e64 v87, v87, v98, s10
	v_cmp_eq_u32_e64 s13, 5, v79
	v_cndmask_b32_e64 v90, v68, v65, s5
	v_cndmask_b32_e64 v89, v89, v97, s8
	;; [unrolled: 1-line block ×3, first 2 shown]
	v_cmp_eq_u32_e64 s16, 7, v78
	v_cndmask_b32_e64 v88, v88, v95, s13
	v_cndmask_b32_e64 v87, v87, v86, s12
	v_cmp_eq_u32_e64 s17, 6, v79
	v_cmp_eq_u32_e64 s18, 2, v77
	v_cndmask_b32_e64 v89, v89, v85, s11
	v_cndmask_b32_e64 v100, v81, v96, s16
	v_cndmask_b32_e64 v101, v87, v99, s16
	v_cndmask_b32_e64 v88, v88, v71, s17
	v_cndmask_b32_e64 v81, v90, v69, s18
	v_cndmask_b32_e64 v87, v83, v91, s5
	v_cmp_eq_u32_e64 s19, 7, v79
	v_cmp_eq_u32_e64 s20, 3, v77
	;; [unrolled: 1-line block ×4, first 2 shown]
	v_cndmask_b32_e64 v87, v87, v84, s18
	v_cndmask_b32_e64 v102, v88, v96, s19
	;; [unrolled: 1-line block ×4, first 2 shown]
	v_or_b32_e32 v81, 3, v78
	v_cndmask_b32_e64 v93, v87, v97, s20
	v_cmp_eq_u32_e64 s25, 6, v77
	v_cndmask_b32_e64 v103, v88, v86, s17
	v_cndmask_b32_e64 v92, v89, v70, s21
	v_cmp_eq_u32_e64 s22, 1, v81
	ds_load_b128 v[87:90], v82 offset:1024
	v_cmp_eq_u32_e64 s24, 2, v81
	v_cmp_eq_u32_e64 s26, 3, v81
	v_cndmask_b32_e64 v104, v92, v95, s23
	v_cndmask_b32_e64 v65, v68, v65, s22
	;; [unrolled: 1-line block ×4, first 2 shown]
	ds_load_b128 v[91:94], v82 offset:1040
	v_cmp_eq_u32_e64 s27, 4, v81
	v_cndmask_b32_e64 v65, v65, v69, s24
	v_cmp_eq_u32_e64 s29, 5, v81
	v_cndmask_b32_e64 v69, v83, v84, s24
	v_cmp_eq_u32_e64 s28, 7, v77
	v_cmp_eq_u32_e64 s30, 6, v81
	v_cndmask_b32_e64 v65, v65, v72, s26
	v_cndmask_b32_e64 v72, v104, v71, s25
	;; [unrolled: 1-line block ×6, first 2 shown]
	s_waitcnt lgkmcnt(1)
	v_lshrrev_b32_e32 v84, 16, v87
	v_cndmask_b32_e64 v69, v69, v85, s27
	v_cndmask_b32_e64 v70, v72, v96, s28
	;; [unrolled: 1-line block ×4, first 2 shown]
	v_lshrrev_b32_e32 v95, 16, v88
	v_cndmask_b32_e64 v69, v69, v98, s29
	s_waitcnt lgkmcnt(0)
	v_lshrrev_b32_e32 v85, 16, v91
	v_cndmask_b32_e64 v97, v87, v84, s3
	v_cndmask_b32_e64 v65, v65, v71, s30
	;; [unrolled: 1-line block ×4, first 2 shown]
	v_cndmask_b32_e32 v72, v87, v84, vcc_lo
	v_cndmask_b32_e32 v98, v91, v85, vcc_lo
	v_cmp_eq_u32_e32 vcc_lo, 7, v81
	v_perm_b32 v70, v68, v70, 0x5040100
	v_cndmask_b32_e32 v65, v65, v96, vcc_lo
	v_cndmask_b32_e32 v69, v69, v99, vcc_lo
	v_cndmask_b32_e64 v72, v72, v88, s4
	v_cndmask_b32_e64 v86, v98, v92, s4
	v_lshrrev_b32_e32 v99, 16, v93
	v_lshrrev_b32_e32 v98, 16, v89
	s_delay_alu instid0(VALU_DEP_4) | instskip(SKIP_2) | instid1(VALU_DEP_3)
	v_cndmask_b32_e64 v71, v72, v95, s7
	v_cndmask_b32_e64 v72, v97, v88, s6
	v_lshrrev_b32_e32 v97, 16, v92
	v_cndmask_b32_e64 v71, v71, v89, s9
	s_delay_alu instid0(VALU_DEP_3) | instskip(NEXT) | instid1(VALU_DEP_3)
	v_cndmask_b32_e64 v72, v72, v95, s8
	v_cndmask_b32_e64 v86, v86, v97, s7
	s_delay_alu instid0(VALU_DEP_3) | instskip(SKIP_1) | instid1(VALU_DEP_3)
	v_cndmask_b32_e64 v96, v71, v98, s10
	v_perm_b32 v71, v69, v65, 0x5040100
	v_cndmask_b32_e64 v86, v86, v93, s9
	v_perm_b32 v69, v83, v102, 0x5040100
	v_cndmask_b32_e64 v102, v91, v85, s5
	v_cndmask_b32_e64 v72, v72, v89, s11
	v_lshrrev_b32_e32 v83, 16, v94
	v_cndmask_b32_e64 v86, v86, v99, s10
	s_delay_alu instid0(VALU_DEP_3) | instskip(SKIP_1) | instid1(VALU_DEP_3)
	v_cndmask_b32_e64 v65, v72, v98, s13
	v_cndmask_b32_e64 v72, v96, v90, s12
	;; [unrolled: 1-line block ×7, first 2 shown]
	v_lshrrev_b32_e32 v96, 16, v90
	v_cndmask_b32_e64 v86, v86, v88, s18
	v_cndmask_b32_e64 v84, v84, v88, s24
	;; [unrolled: 1-line block ×29, first 2 shown]
	v_cndmask_b32_e32 v84, v84, v96, vcc_lo
	v_cndmask_b32_e32 v86, v87, v83, vcc_lo
	v_cndmask_b32_e64 v87, v88, v83, s28
	v_cndmask_b32_e64 v88, v85, v83, s19
	;; [unrolled: 1-line block ×3, first 2 shown]
	v_perm_b32 v68, v101, v100, 0x5040100
	v_perm_b32 v86, v86, v84, 0x5040100
	;; [unrolled: 1-line block ×5, first 2 shown]
	s_mov_b32 s3, exec_lo
	ds_store_b128 v76, v[68:71]
	ds_store_b128 v76, v[83:86] offset:1024
	v_cmpx_eq_u32_e32 0, v0
	s_cbranch_execz .LBB1726_77
; %bb.76:
	s_load_b128 s[4:7], s[0:1], 0x58
	s_mul_i32 s8, s37, s34
	v_mov_b32_e32 v65, 0
	s_add_i32 s8, s8, s15
	s_delay_alu instid0(SALU_CYCLE_1) | instskip(NEXT) | instid1(SALU_CYCLE_1)
	s_mul_i32 s8, s8, s36
	s_add_i32 s8, s8, s14
	s_delay_alu instid0(SALU_CYCLE_1) | instskip(NEXT) | instid1(SALU_CYCLE_1)
	s_ashr_i32 s9, s8, 31
	s_lshl_b64 s[8:9], s[8:9], 2
	s_waitcnt lgkmcnt(0)
	s_add_u32 s6, s6, s8
	s_addc_u32 s7, s7, s9
	s_add_u32 s4, s4, s8
	s_addc_u32 s5, s5, s9
	s_clause 0x1
	global_store_b32 v65, v66, s[6:7]
	global_store_b32 v65, v67, s[4:5]
.LBB1726_77:
	s_or_b32 exec_lo, exec_lo, s3
	s_waitcnt lgkmcnt(0)
	s_waitcnt_vscnt null, 0x0
	s_barrier
	buffer_gl0_inv
	ds_load_b128 v[83:86], v80
	ds_load_b128 v[87:90], v80 offset:16
	ds_load_b128 v[95:98], v80 offset:2064
	;; [unrolled: 1-line block ×3, first 2 shown]
	v_mov_b32_e32 v65, 0
	ds_load_b128 v[103:106], v80 offset:4112
	ds_load_b128 v[99:102], v80 offset:4096
	;; [unrolled: 1-line block ×4, first 2 shown]
	v_mov_b32_e32 v66, v65
	v_mov_b32_e32 v67, v65
	;; [unrolled: 1-line block ×7, first 2 shown]
	s_waitcnt lgkmcnt(6)
	s_delay_alu instid0(VALU_DEP_1)
	v_wmma_f32_16x16x16_bf16 v[65:72], v[49:56], v[83:90], v[65:72]
	ds_load_b128 v[53:56], v80 offset:8208
	ds_load_b128 v[49:52], v80 offset:8192
	s_waitcnt lgkmcnt(6)
	v_wmma_f32_16x16x16_bf16 v[65:72], v[41:48], v[91:98], v[65:72]
	ds_load_b128 v[45:48], v80 offset:10256
	ds_load_b128 v[41:44], v80 offset:10240
	s_waitcnt lgkmcnt(6)
	;; [unrolled: 4-line block ×4, first 2 shown]
	v_wmma_f32_16x16x16_bf16 v[65:72], v[1:8], v[49:56], v[65:72]
	s_waitcnt lgkmcnt(4)
	s_delay_alu instid0(VALU_DEP_1) | instskip(SKIP_1) | instid1(VALU_DEP_1)
	v_wmma_f32_16x16x16_bf16 v[65:72], v[9:16], v[41:48], v[65:72]
	s_waitcnt lgkmcnt(2)
	v_wmma_f32_16x16x16_bf16 v[65:72], v[17:24], v[33:40], v[65:72]
	s_waitcnt lgkmcnt(0)
	s_delay_alu instid0(VALU_DEP_1) | instskip(NEXT) | instid1(VALU_DEP_1)
	v_wmma_f32_16x16x16_bf16 v[65:72], v[57:64], v[25:32], v[65:72]
	v_and_b32_e32 v1, 0x7f800000, v65
	s_delay_alu instid0(VALU_DEP_1) | instskip(SKIP_1) | instid1(SALU_CYCLE_1)
	v_cmp_ne_u32_e32 vcc_lo, 0x7f800000, v1
                                        ; implicit-def: $vgpr1
	s_and_saveexec_b32 s3, vcc_lo
	s_xor_b32 s3, exec_lo, s3
; %bb.78:
	v_bfe_u32 v1, v65, 16, 1
	s_delay_alu instid0(VALU_DEP_1)
	v_add3_u32 v1, v65, v1, 0x7fff
; %bb.79:
	s_and_not1_saveexec_b32 s3, s3
; %bb.80:
	v_and_b32_e32 v1, 0xffff, v65
	v_or_b32_e32 v2, 0x10000, v65
	s_delay_alu instid0(VALU_DEP_2) | instskip(NEXT) | instid1(VALU_DEP_2)
	v_cmp_eq_u32_e32 vcc_lo, 0, v1
	v_cndmask_b32_e32 v1, v2, v65, vcc_lo
; %bb.81:
	s_or_b32 exec_lo, exec_lo, s3
	v_and_b32_e32 v2, 0x7f800000, v66
	s_delay_alu instid0(VALU_DEP_1) | instskip(SKIP_1) | instid1(SALU_CYCLE_1)
	v_cmp_ne_u32_e32 vcc_lo, 0x7f800000, v2
                                        ; implicit-def: $vgpr2
	s_and_saveexec_b32 s3, vcc_lo
	s_xor_b32 s3, exec_lo, s3
; %bb.82:
	v_bfe_u32 v2, v66, 16, 1
	s_delay_alu instid0(VALU_DEP_1)
	v_add3_u32 v2, v66, v2, 0x7fff
; %bb.83:
	s_and_not1_saveexec_b32 s3, s3
; %bb.84:
	v_and_b32_e32 v2, 0xffff, v66
	v_or_b32_e32 v3, 0x10000, v66
	s_delay_alu instid0(VALU_DEP_2) | instskip(NEXT) | instid1(VALU_DEP_2)
	v_cmp_eq_u32_e32 vcc_lo, 0, v2
	v_cndmask_b32_e32 v2, v3, v66, vcc_lo
; %bb.85:
	s_or_b32 exec_lo, exec_lo, s3
	v_and_b32_e32 v3, 0x7f800000, v67
	s_delay_alu instid0(VALU_DEP_1) | instskip(SKIP_1) | instid1(SALU_CYCLE_1)
	v_cmp_ne_u32_e32 vcc_lo, 0x7f800000, v3
                                        ; implicit-def: $vgpr3
	s_and_saveexec_b32 s3, vcc_lo
	s_xor_b32 s3, exec_lo, s3
; %bb.86:
	v_bfe_u32 v3, v67, 16, 1
	s_delay_alu instid0(VALU_DEP_1)
	v_add3_u32 v3, v67, v3, 0x7fff
; %bb.87:
	s_and_not1_saveexec_b32 s3, s3
; %bb.88:
	v_and_b32_e32 v3, 0xffff, v67
	v_or_b32_e32 v4, 0x10000, v67
	s_delay_alu instid0(VALU_DEP_2) | instskip(NEXT) | instid1(VALU_DEP_2)
	v_cmp_eq_u32_e32 vcc_lo, 0, v3
	v_cndmask_b32_e32 v3, v4, v67, vcc_lo
; %bb.89:
	s_or_b32 exec_lo, exec_lo, s3
	v_and_b32_e32 v4, 0x7f800000, v68
	s_delay_alu instid0(VALU_DEP_1) | instskip(SKIP_1) | instid1(SALU_CYCLE_1)
	v_cmp_ne_u32_e32 vcc_lo, 0x7f800000, v4
                                        ; implicit-def: $vgpr4
	s_and_saveexec_b32 s3, vcc_lo
	s_xor_b32 s3, exec_lo, s3
; %bb.90:
	v_bfe_u32 v4, v68, 16, 1
	s_delay_alu instid0(VALU_DEP_1)
	v_add3_u32 v4, v68, v4, 0x7fff
; %bb.91:
	s_and_not1_saveexec_b32 s3, s3
; %bb.92:
	v_and_b32_e32 v4, 0xffff, v68
	v_or_b32_e32 v5, 0x10000, v68
	s_delay_alu instid0(VALU_DEP_2) | instskip(NEXT) | instid1(VALU_DEP_2)
	v_cmp_eq_u32_e32 vcc_lo, 0, v4
	v_cndmask_b32_e32 v4, v5, v68, vcc_lo
; %bb.93:
	s_or_b32 exec_lo, exec_lo, s3
	v_and_b32_e32 v5, 0x7f800000, v69
	s_delay_alu instid0(VALU_DEP_1) | instskip(SKIP_1) | instid1(SALU_CYCLE_1)
	v_cmp_ne_u32_e32 vcc_lo, 0x7f800000, v5
                                        ; implicit-def: $vgpr5
	s_and_saveexec_b32 s3, vcc_lo
	s_xor_b32 s3, exec_lo, s3
; %bb.94:
	v_bfe_u32 v5, v69, 16, 1
	s_delay_alu instid0(VALU_DEP_1)
	v_add3_u32 v5, v69, v5, 0x7fff
; %bb.95:
	s_and_not1_saveexec_b32 s3, s3
; %bb.96:
	v_and_b32_e32 v5, 0xffff, v69
	v_or_b32_e32 v6, 0x10000, v69
	s_delay_alu instid0(VALU_DEP_2) | instskip(NEXT) | instid1(VALU_DEP_2)
	v_cmp_eq_u32_e32 vcc_lo, 0, v5
	v_cndmask_b32_e32 v5, v6, v69, vcc_lo
; %bb.97:
	s_or_b32 exec_lo, exec_lo, s3
	v_and_b32_e32 v6, 0x7f800000, v70
	s_delay_alu instid0(VALU_DEP_1) | instskip(SKIP_1) | instid1(SALU_CYCLE_1)
	v_cmp_ne_u32_e32 vcc_lo, 0x7f800000, v6
                                        ; implicit-def: $vgpr6
	s_and_saveexec_b32 s3, vcc_lo
	s_xor_b32 s3, exec_lo, s3
; %bb.98:
	v_bfe_u32 v6, v70, 16, 1
	s_delay_alu instid0(VALU_DEP_1)
	v_add3_u32 v6, v70, v6, 0x7fff
; %bb.99:
	s_and_not1_saveexec_b32 s3, s3
; %bb.100:
	v_and_b32_e32 v6, 0xffff, v70
	v_or_b32_e32 v7, 0x10000, v70
	s_delay_alu instid0(VALU_DEP_2) | instskip(NEXT) | instid1(VALU_DEP_2)
	v_cmp_eq_u32_e32 vcc_lo, 0, v6
	v_cndmask_b32_e32 v6, v7, v70, vcc_lo
; %bb.101:
	s_or_b32 exec_lo, exec_lo, s3
	v_and_b32_e32 v7, 0x7f800000, v71
	s_delay_alu instid0(VALU_DEP_1) | instskip(SKIP_1) | instid1(SALU_CYCLE_1)
	v_cmp_ne_u32_e32 vcc_lo, 0x7f800000, v7
                                        ; implicit-def: $vgpr7
	s_and_saveexec_b32 s3, vcc_lo
	s_xor_b32 s3, exec_lo, s3
; %bb.102:
	v_bfe_u32 v7, v71, 16, 1
	s_delay_alu instid0(VALU_DEP_1)
	v_add3_u32 v7, v71, v7, 0x7fff
; %bb.103:
	s_and_not1_saveexec_b32 s3, s3
; %bb.104:
	v_and_b32_e32 v7, 0xffff, v71
	v_or_b32_e32 v8, 0x10000, v71
	s_delay_alu instid0(VALU_DEP_2) | instskip(NEXT) | instid1(VALU_DEP_2)
	v_cmp_eq_u32_e32 vcc_lo, 0, v7
	v_cndmask_b32_e32 v7, v8, v71, vcc_lo
; %bb.105:
	s_or_b32 exec_lo, exec_lo, s3
	v_and_b32_e32 v8, 0x7f800000, v72
	s_delay_alu instid0(VALU_DEP_1) | instskip(SKIP_1) | instid1(SALU_CYCLE_1)
	v_cmp_ne_u32_e32 vcc_lo, 0x7f800000, v8
                                        ; implicit-def: $vgpr8
	s_and_saveexec_b32 s3, vcc_lo
	s_xor_b32 s3, exec_lo, s3
; %bb.106:
	v_bfe_u32 v8, v72, 16, 1
	s_delay_alu instid0(VALU_DEP_1)
	v_add3_u32 v8, v72, v8, 0x7fff
                                        ; implicit-def: $vgpr65_vgpr66_vgpr67_vgpr68_vgpr69_vgpr70_vgpr71_vgpr72
; %bb.107:
	s_and_not1_saveexec_b32 s3, s3
; %bb.108:
	v_and_b32_e32 v8, 0xffff, v72
	v_or_b32_e32 v9, 0x10000, v72
	s_delay_alu instid0(VALU_DEP_2) | instskip(NEXT) | instid1(VALU_DEP_2)
	v_cmp_eq_u32_e32 vcc_lo, 0, v8
	v_cndmask_b32_e32 v8, v9, v72, vcc_lo
; %bb.109:
	s_or_b32 exec_lo, exec_lo, s3
	s_delay_alu instid0(VALU_DEP_1)
	v_perm_b32 v7, v8, v7, 0x7060302
	v_perm_b32 v6, v6, v5, 0x7060302
	;; [unrolled: 1-line block ×4, first 2 shown]
	s_barrier
	buffer_gl0_inv
	v_cmp_eq_u32_e32 vcc_lo, 1, v78
	ds_store_b128 v76, v[4:7]
	s_waitcnt lgkmcnt(0)
	s_barrier
	buffer_gl0_inv
	ds_load_b128 v[1:4], v82
	ds_load_b128 v[5:8], v82 offset:16
	v_cmp_eq_u32_e64 s3, 1, v79
	v_cmp_eq_u32_e64 s4, 2, v78
	;; [unrolled: 1-line block ×5, first 2 shown]
	s_waitcnt lgkmcnt(1)
	v_lshrrev_b32_e32 v9, 16, v1
	s_waitcnt lgkmcnt(0)
	v_lshrrev_b32_e32 v13, 16, v5
	v_lshrrev_b32_e32 v10, 16, v2
	;; [unrolled: 1-line block ×4, first 2 shown]
	v_cndmask_b32_e64 v19, v1, v9, s3
	v_cndmask_b32_e32 v18, v5, v13, vcc_lo
	v_cndmask_b32_e64 v20, v5, v13, s3
	v_cndmask_b32_e32 v17, v1, v9, vcc_lo
	v_cmp_eq_u32_e32 vcc_lo, 2, v79
	v_lshrrev_b32_e32 v15, 16, v7
	v_cmp_eq_u32_e64 s3, 1, v77
	v_lshrrev_b32_e32 v12, 16, v4
	v_lshrrev_b32_e32 v16, 16, v8
	v_cndmask_b32_e32 v20, v20, v6, vcc_lo
	v_cndmask_b32_e64 v17, v17, v2, s4
	v_cndmask_b32_e32 v19, v19, v2, vcc_lo
	v_cndmask_b32_e64 v18, v18, v6, s4
	v_cmp_eq_u32_e32 vcc_lo, 4, v78
	v_cmp_eq_u32_e64 s4, 3, v79
	v_cndmask_b32_e64 v17, v17, v10, s5
	v_cndmask_b32_e64 v21, v1, v9, s3
	;; [unrolled: 1-line block ×5, first 2 shown]
	v_cndmask_b32_e32 v17, v17, v3, vcc_lo
	v_cndmask_b32_e64 v20, v20, v14, s4
	v_cndmask_b32_e32 v18, v18, v7, vcc_lo
	v_cmp_eq_u32_e32 vcc_lo, 4, v79
	v_cmp_eq_u32_e64 s4, 5, v79
	v_cmp_eq_u32_e64 s3, 2, v81
	v_cndmask_b32_e64 v21, v21, v2, s7
	v_cmp_eq_u32_e64 s5, 5, v78
	v_cndmask_b32_e32 v19, v19, v3, vcc_lo
	v_cndmask_b32_e32 v20, v20, v7, vcc_lo
	v_cmp_eq_u32_e32 vcc_lo, 6, v79
	s_delay_alu instid0(VALU_DEP_4) | instskip(NEXT) | instid1(VALU_DEP_4)
	v_cndmask_b32_e64 v17, v17, v11, s5
	v_cndmask_b32_e64 v19, v19, v11, s4
	s_delay_alu instid0(VALU_DEP_4) | instskip(SKIP_1) | instid1(VALU_DEP_3)
	v_cndmask_b32_e64 v20, v20, v15, s4
	v_cmp_eq_u32_e64 s4, 1, v81
	v_cndmask_b32_e32 v19, v19, v4, vcc_lo
	v_cndmask_b32_e64 v18, v18, v15, s5
	s_delay_alu instid0(VALU_DEP_3)
	v_cndmask_b32_e64 v1, v1, v9, s4
	v_cndmask_b32_e64 v5, v5, v13, s4
	v_cmp_eq_u32_e64 s4, 3, v77
	v_cndmask_b32_e64 v13, v22, v6, s7
	v_cmp_eq_u32_e64 s7, 3, v81
	v_cndmask_b32_e64 v1, v1, v2, s3
	v_cndmask_b32_e64 v2, v5, v6, s3
	;; [unrolled: 1-line block ×3, first 2 shown]
	v_cmp_eq_u32_e64 s3, 4, v77
	v_cndmask_b32_e64 v6, v13, v14, s4
	v_cndmask_b32_e64 v1, v1, v10, s7
	v_cmp_eq_u32_e64 s4, 4, v81
	v_cndmask_b32_e64 v2, v2, v14, s7
	v_cndmask_b32_e64 v5, v9, v3, s3
	;; [unrolled: 3-line block ×3, first 2 shown]
	v_cndmask_b32_e64 v2, v2, v7, s4
	v_cmp_eq_u32_e64 s3, 5, v81
	v_cndmask_b32_e64 v5, v5, v11, s7
	v_cndmask_b32_e64 v3, v6, v15, s7
	v_cmp_eq_u32_e64 s7, 6, v81
	v_cmp_eq_u32_e64 s5, 6, v78
	v_cndmask_b32_e64 v1, v1, v11, s3
	v_cndmask_b32_e64 v2, v2, v15, s3
	v_cmp_eq_u32_e64 s4, 6, v77
	v_cmp_eq_u32_e64 s3, 7, v81
	v_cndmask_b32_e64 v17, v17, v4, s5
	v_cndmask_b32_e64 v1, v1, v4, s7
	v_cndmask_b32_e64 v2, v2, v8, s7
	v_cndmask_b32_e64 v18, v18, v8, s5
	v_cmp_eq_u32_e64 s5, 7, v78
	v_cndmask_b32_e64 v5, v5, v4, s4
	v_cndmask_b32_e64 v3, v3, v8, s4
	v_cmp_eq_u32_e64 s4, 7, v77
	v_cndmask_b32_e32 v4, v20, v8, vcc_lo
	v_cndmask_b32_e64 v1, v1, v12, s3
	v_cndmask_b32_e64 v2, v2, v16, s3
	v_cmp_lt_u32_e32 vcc_lo, 31, v0
	v_cmp_lt_u32_e64 s3, 7, v73
	v_cndmask_b32_e64 v17, v17, v12, s5
	v_cndmask_b32_e64 v19, v19, v12, s6
	;; [unrolled: 1-line block ×6, first 2 shown]
	s_or_b32 s3, vcc_lo, s3
	v_perm_b32 v4, v2, v1, 0x5040100
	v_perm_b32 v3, v3, v5, 0x5040100
	;; [unrolled: 1-line block ×4, first 2 shown]
	s_or_b32 s2, s2, s3
	s_delay_alu instid0(SALU_CYCLE_1)
	s_xor_b32 s2, s2, -1
	ds_store_b128 v76, v[1:4]
	s_waitcnt lgkmcnt(0)
	s_barrier
	buffer_gl0_inv
	s_and_saveexec_b32 s3, s2
	s_cbranch_execz .LBB1726_2
; %bb.110:
	s_load_b64 s[0:1], s[0:1], 0x68
	v_lshlrev_b32_e32 v1, 10, v0
	v_and_b32_e32 v0, 1, v0
	v_lshlrev_b32_e32 v2, 6, v75
	s_lshl_b32 s4, s36, 6
	s_delay_alu instid0(VALU_DEP_3) | instskip(NEXT) | instid1(VALU_DEP_3)
	v_and_b32_e32 v1, 0x3800, v1
	v_lshlrev_b32_e32 v0, 4, v0
	s_mul_i32 s2, s4, s34
	s_delay_alu instid0(SALU_CYCLE_1) | instskip(NEXT) | instid1(VALU_DEP_1)
	s_mul_i32 s2, s2, s37
	v_or3_b32 v0, v1, v2, v0
	s_ashr_i32 s3, s2, 31
	s_delay_alu instid0(SALU_CYCLE_1)
	s_lshl_b64 s[2:3], s[2:3], 1
	ds_load_b128 v[0:3], v0
	s_waitcnt lgkmcnt(0)
	s_add_u32 s5, s0, s2
	s_addc_u32 s3, s1, s3
	s_lshl_b32 s0, s14, 6
	s_mul_i32 s2, s4, s15
	s_ashr_i32 s1, s0, 31
	s_delay_alu instid0(SALU_CYCLE_1) | instskip(NEXT) | instid1(SALU_CYCLE_1)
	s_lshl_b64 s[0:1], s[0:1], 1
	s_add_u32 s4, s5, s0
	s_addc_u32 s5, s3, s1
	s_ashr_i32 s3, s2, 31
	s_delay_alu instid0(SALU_CYCLE_1) | instskip(NEXT) | instid1(SALU_CYCLE_1)
	s_lshl_b64 s[0:1], s[2:3], 1
	s_add_u32 s0, s4, s0
	s_addc_u32 s1, s5, s1
	global_store_b128 v74, v[0:3], s[0:1]
	s_nop 0
	s_sendmsg sendmsg(MSG_DEALLOC_VGPRS)
	s_endpgm
	.section	.rodata,"a",@progbits
	.p2align	6, 0x0
	.amdhsa_kernel _Z39paged_attention_ll4mi_QKV_mfma16_kernelI14__hip_bfloat16hLN4vllm18Fp8KVCacheDataTypeE1ES0_Li16ELi64ELi256ELb0ELi1EL8MFMAType0EEvPKT_PKT0_S9_ifPKiSB_SB_iPKfiiiPfSE_PS4_PT2_iSD_SD_
		.amdhsa_group_segment_fixed_size 17472
		.amdhsa_private_segment_fixed_size 0
		.amdhsa_kernarg_size 400
		.amdhsa_user_sgpr_count 13
		.amdhsa_user_sgpr_dispatch_ptr 0
		.amdhsa_user_sgpr_queue_ptr 0
		.amdhsa_user_sgpr_kernarg_segment_ptr 1
		.amdhsa_user_sgpr_dispatch_id 0
		.amdhsa_user_sgpr_private_segment_size 0
		.amdhsa_wavefront_size32 1
		.amdhsa_uses_dynamic_stack 0
		.amdhsa_enable_private_segment 0
		.amdhsa_system_sgpr_workgroup_id_x 1
		.amdhsa_system_sgpr_workgroup_id_y 1
		.amdhsa_system_sgpr_workgroup_id_z 1
		.amdhsa_system_sgpr_workgroup_info 0
		.amdhsa_system_vgpr_workitem_id 0
		.amdhsa_next_free_vgpr 131
		.amdhsa_next_free_sgpr 48
		.amdhsa_reserve_vcc 1
		.amdhsa_float_round_mode_32 0
		.amdhsa_float_round_mode_16_64 0
		.amdhsa_float_denorm_mode_32 3
		.amdhsa_float_denorm_mode_16_64 3
		.amdhsa_dx10_clamp 1
		.amdhsa_ieee_mode 1
		.amdhsa_fp16_overflow 0
		.amdhsa_workgroup_processor_mode 1
		.amdhsa_memory_ordered 1
		.amdhsa_forward_progress 0
		.amdhsa_shared_vgpr_count 0
		.amdhsa_exception_fp_ieee_invalid_op 0
		.amdhsa_exception_fp_denorm_src 0
		.amdhsa_exception_fp_ieee_div_zero 0
		.amdhsa_exception_fp_ieee_overflow 0
		.amdhsa_exception_fp_ieee_underflow 0
		.amdhsa_exception_fp_ieee_inexact 0
		.amdhsa_exception_int_div_zero 0
	.end_amdhsa_kernel
	.section	.text._Z39paged_attention_ll4mi_QKV_mfma16_kernelI14__hip_bfloat16hLN4vllm18Fp8KVCacheDataTypeE1ES0_Li16ELi64ELi256ELb0ELi1EL8MFMAType0EEvPKT_PKT0_S9_ifPKiSB_SB_iPKfiiiPfSE_PS4_PT2_iSD_SD_,"axG",@progbits,_Z39paged_attention_ll4mi_QKV_mfma16_kernelI14__hip_bfloat16hLN4vllm18Fp8KVCacheDataTypeE1ES0_Li16ELi64ELi256ELb0ELi1EL8MFMAType0EEvPKT_PKT0_S9_ifPKiSB_SB_iPKfiiiPfSE_PS4_PT2_iSD_SD_,comdat
.Lfunc_end1726:
	.size	_Z39paged_attention_ll4mi_QKV_mfma16_kernelI14__hip_bfloat16hLN4vllm18Fp8KVCacheDataTypeE1ES0_Li16ELi64ELi256ELb0ELi1EL8MFMAType0EEvPKT_PKT0_S9_ifPKiSB_SB_iPKfiiiPfSE_PS4_PT2_iSD_SD_, .Lfunc_end1726-_Z39paged_attention_ll4mi_QKV_mfma16_kernelI14__hip_bfloat16hLN4vllm18Fp8KVCacheDataTypeE1ES0_Li16ELi64ELi256ELb0ELi1EL8MFMAType0EEvPKT_PKT0_S9_ifPKiSB_SB_iPKfiiiPfSE_PS4_PT2_iSD_SD_
                                        ; -- End function
	.section	.AMDGPU.csdata,"",@progbits
; Kernel info:
; codeLenInByte = 8416
; NumSgprs: 50
; NumVgprs: 131
; ScratchSize: 0
; MemoryBound: 1
; FloatMode: 240
; IeeeMode: 1
; LDSByteSize: 17472 bytes/workgroup (compile time only)
; SGPRBlocks: 6
; VGPRBlocks: 16
; NumSGPRsForWavesPerEU: 50
; NumVGPRsForWavesPerEU: 131
; Occupancy: 10
; WaveLimiterHint : 1
; COMPUTE_PGM_RSRC2:SCRATCH_EN: 0
; COMPUTE_PGM_RSRC2:USER_SGPR: 13
; COMPUTE_PGM_RSRC2:TRAP_HANDLER: 0
; COMPUTE_PGM_RSRC2:TGID_X_EN: 1
; COMPUTE_PGM_RSRC2:TGID_Y_EN: 1
; COMPUTE_PGM_RSRC2:TGID_Z_EN: 1
; COMPUTE_PGM_RSRC2:TIDIG_COMP_CNT: 0
	.section	.text._Z39paged_attention_ll4mi_QKV_mfma16_kernelI14__hip_bfloat16hLN4vllm18Fp8KVCacheDataTypeE1ES0_Li16ELi64ELi256ELb0ELi2EL8MFMAType0EEvPKT_PKT0_S9_ifPKiSB_SB_iPKfiiiPfSE_PS4_PT2_iSD_SD_,"axG",@progbits,_Z39paged_attention_ll4mi_QKV_mfma16_kernelI14__hip_bfloat16hLN4vllm18Fp8KVCacheDataTypeE1ES0_Li16ELi64ELi256ELb0ELi2EL8MFMAType0EEvPKT_PKT0_S9_ifPKiSB_SB_iPKfiiiPfSE_PS4_PT2_iSD_SD_,comdat
	.protected	_Z39paged_attention_ll4mi_QKV_mfma16_kernelI14__hip_bfloat16hLN4vllm18Fp8KVCacheDataTypeE1ES0_Li16ELi64ELi256ELb0ELi2EL8MFMAType0EEvPKT_PKT0_S9_ifPKiSB_SB_iPKfiiiPfSE_PS4_PT2_iSD_SD_ ; -- Begin function _Z39paged_attention_ll4mi_QKV_mfma16_kernelI14__hip_bfloat16hLN4vllm18Fp8KVCacheDataTypeE1ES0_Li16ELi64ELi256ELb0ELi2EL8MFMAType0EEvPKT_PKT0_S9_ifPKiSB_SB_iPKfiiiPfSE_PS4_PT2_iSD_SD_
	.globl	_Z39paged_attention_ll4mi_QKV_mfma16_kernelI14__hip_bfloat16hLN4vllm18Fp8KVCacheDataTypeE1ES0_Li16ELi64ELi256ELb0ELi2EL8MFMAType0EEvPKT_PKT0_S9_ifPKiSB_SB_iPKfiiiPfSE_PS4_PT2_iSD_SD_
	.p2align	8
	.type	_Z39paged_attention_ll4mi_QKV_mfma16_kernelI14__hip_bfloat16hLN4vllm18Fp8KVCacheDataTypeE1ES0_Li16ELi64ELi256ELb0ELi2EL8MFMAType0EEvPKT_PKT0_S9_ifPKiSB_SB_iPKfiiiPfSE_PS4_PT2_iSD_SD_,@function
_Z39paged_attention_ll4mi_QKV_mfma16_kernelI14__hip_bfloat16hLN4vllm18Fp8KVCacheDataTypeE1ES0_Li16ELi64ELi256ELb0ELi2EL8MFMAType0EEvPKT_PKT0_S9_ifPKiSB_SB_iPKfiiiPfSE_PS4_PT2_iSD_SD_: ; @_Z39paged_attention_ll4mi_QKV_mfma16_kernelI14__hip_bfloat16hLN4vllm18Fp8KVCacheDataTypeE1ES0_Li16ELi64ELi256ELb0ELi2EL8MFMAType0EEvPKT_PKT0_S9_ifPKiSB_SB_iPKfiiiPfSE_PS4_PT2_iSD_SD_
; %bb.0:
	s_load_b64 s[2:3], s[0:1], 0x30
	s_mov_b32 s30, s13
	s_waitcnt lgkmcnt(0)
	s_cmp_lg_u64 s[2:3], 0
	s_cselect_b32 s8, -1, 0
	s_ashr_i32 s31, s13, 31
	s_cmp_eq_u64 s[2:3], 0
	s_cbranch_scc1 .LBB1727_3
; %bb.1:
	s_lshl_b64 s[4:5], s[30:31], 2
	s_delay_alu instid0(SALU_CYCLE_1) | instskip(SKIP_4) | instid1(SALU_CYCLE_1)
	s_add_u32 s4, s2, s4
	s_addc_u32 s5, s3, s5
	s_load_b64 s[4:5], s[4:5], 0x0
	s_waitcnt lgkmcnt(0)
	s_sub_i32 s4, s5, s4
	s_cmp_eq_u32 s4, 1
	s_cselect_b32 s4, -1, 0
	s_delay_alu instid0(SALU_CYCLE_1)
	s_and_not1_b32 vcc_lo, exec_lo, s4
	s_cbranch_vccz .LBB1727_4
.LBB1727_2:
	s_endpgm
.LBB1727_3:
.LBB1727_4:
	s_load_b64 s[4:5], s[0:1], 0x28
	s_lshl_b64 s[6:7], s[30:31], 2
	s_waitcnt lgkmcnt(0)
	s_add_u32 s4, s4, s6
	s_addc_u32 s5, s5, s7
	s_lshl_b32 s12, s14, 8
	s_load_b32 s24, s[4:5], 0x0
	s_waitcnt lgkmcnt(0)
	s_cmp_ge_i32 s12, s24
	s_cbranch_scc1 .LBB1727_2
; %bb.5:
	s_clause 0x1
	s_load_b128 s[20:23], s[0:1], 0x8
	s_load_b64 s[4:5], s[0:1], 0x20
	s_and_not1_b32 vcc_lo, exec_lo, s8
	s_cbranch_vccnz .LBB1727_7
; %bb.6:
	s_add_u32 s2, s2, s6
	s_addc_u32 s3, s3, s7
	s_load_b32 s3, s[2:3], 0x0
	s_branch .LBB1727_8
.LBB1727_7:
	s_mov_b32 s3, s30
.LBB1727_8:
	s_load_b128 s[16:19], s[0:1], 0x48
	v_and_b32_e32 v66, 15, v0
	v_bfe_u32 v65, v0, 4, 1
	s_lshl_b32 s31, s15, 1
	v_cmp_gt_u32_e32 vcc_lo, 32, v0
	v_and_b32_e32 v68, 31, v0
	v_lshlrev_b32_e32 v1, 3, v66
	v_cmp_gt_u32_e64 s2, 8, v66
	v_and_b32_e32 v76, 1, v0
	v_or_b32_e32 v75, s31, v65
	v_lshlrev_b32_e32 v74, 6, v65
	v_lshlrev_b32_e32 v73, 1, v1
	s_and_b32 s29, vcc_lo, s2
	s_delay_alu instid0(SALU_CYCLE_1)
	s_and_saveexec_b32 s2, s29
	s_cbranch_execz .LBB1727_10
; %bb.9:
	s_load_b64 s[6:7], s[0:1], 0x0
	v_lshlrev_b32_e32 v1, 6, v75
	s_waitcnt lgkmcnt(0)
	s_mul_hi_i32 s9, s3, s16
	s_mul_i32 s8, s3, s16
	v_lshlrev_b32_e32 v5, 10, v66
	s_lshl_b64 s[8:9], s[8:9], 1
	v_ashrrev_i32_e32 v2, 31, v1
	v_lshlrev_b32_e32 v6, 10, v76
	s_delay_alu instid0(VALU_DEP_3) | instskip(NEXT) | instid1(VALU_DEP_3)
	v_and_b32_e32 v5, 0x3800, v5
	v_lshlrev_b64 v[1:2], 1, v[1:2]
	s_delay_alu instid0(VALU_DEP_2) | instskip(SKIP_2) | instid1(VALU_DEP_2)
	v_or3_b32 v5, v5, v6, v74
	s_add_u32 s3, s6, s8
	s_addc_u32 s6, s7, s9
	v_add_co_u32 v1, vcc_lo, s3, v1
	s_delay_alu instid0(VALU_DEP_3) | instskip(NEXT) | instid1(VALU_DEP_2)
	v_add_co_ci_u32_e32 v2, vcc_lo, s6, v2, vcc_lo
	v_add_co_u32 v1, vcc_lo, v1, v73
	s_delay_alu instid0(VALU_DEP_2)
	v_add_co_ci_u32_e32 v2, vcc_lo, 0, v2, vcc_lo
	global_load_b128 v[1:4], v[1:2], off
	s_waitcnt vmcnt(0)
	ds_store_b128 v5, v[1:4]
.LBB1727_10:
	s_or_b32 exec_lo, exec_lo, s2
	v_and_b32_e32 v1, 0xef, v0
	s_add_i32 s2, s24, 15
	s_waitcnt lgkmcnt(0)
	s_clause 0x1
	s_load_b32 s3, s[0:1], 0x38
	s_load_b32 s19, s[0:1], 0x1c
	s_ashr_i32 s6, s2, 31
	v_add_nc_u32_e32 v1, s12, v1
	s_lshr_b32 s6, s6, 28
	s_waitcnt lgkmcnt(0)
	s_add_i32 s2, s2, s6
	s_barrier
	v_ashrrev_i32_e32 v2, 31, v1
	v_or_b32_e32 v3, 16, v1
	s_ashr_i32 s2, s2, 4
	v_cmp_gt_i32_e32 vcc_lo, s24, v1
	s_add_i32 s2, s2, -1
	v_lshrrev_b32_e32 v2, 28, v2
	buffer_gl0_inv
	s_mul_i32 s27, s15, s18
	v_lshrrev_b32_e32 v67, 5, v0
	v_lshlrev_b32_e32 v71, 6, v76
	v_add_nc_u32_e32 v4, v1, v2
	s_mul_i32 s6, s30, s3
	s_delay_alu instid0(SALU_CYCLE_1) | instskip(NEXT) | instid1(VALU_DEP_1)
	s_ashr_i32 s7, s6, 31
	v_ashrrev_i32_e32 v4, 4, v4
	v_add_nc_u32_e32 v2, v3, v2
	s_lshl_b64 s[6:7], s[6:7], 2
	s_delay_alu instid0(SALU_CYCLE_1) | instskip(NEXT) | instid1(VALU_DEP_2)
	s_add_u32 s26, s4, s6
	v_cndmask_b32_e32 v1, s2, v4, vcc_lo
	s_delay_alu instid0(VALU_DEP_2)
	v_ashrrev_i32_e32 v2, 4, v2
	v_cmp_gt_i32_e32 vcc_lo, s24, v3
	s_addc_u32 s25, s5, s7
	s_ashr_i32 s28, s27, 31
	s_add_u32 s3, s20, s27
	s_addc_u32 s13, s21, s28
	v_cndmask_b32_e32 v3, s2, v2, vcc_lo
	v_ashrrev_i32_e32 v2, 31, v1
	s_lshl_b32 s4, s14, 4
	s_delay_alu instid0(SALU_CYCLE_1) | instskip(NEXT) | instid1(VALU_DEP_2)
	s_ashr_i32 s5, s4, 31
	v_ashrrev_i32_e32 v4, 31, v3
	s_delay_alu instid0(VALU_DEP_2) | instskip(SKIP_1) | instid1(SALU_CYCLE_1)
	v_lshlrev_b64 v[1:2], 2, v[1:2]
	s_lshl_b64 s[4:5], s[4:5], 2
	s_add_u32 s4, s26, s4
	s_delay_alu instid0(VALU_DEP_2) | instskip(SKIP_1) | instid1(VALU_DEP_2)
	v_lshlrev_b64 v[3:4], 2, v[3:4]
	s_addc_u32 s5, s25, s5
	v_add_co_u32 v1, vcc_lo, s26, v1
	v_add_co_ci_u32_e32 v2, vcc_lo, s25, v2, vcc_lo
	s_delay_alu instid0(VALU_DEP_3) | instskip(NEXT) | instid1(VALU_DEP_4)
	v_add_co_u32 v3, vcc_lo, s26, v3
	v_add_co_ci_u32_e32 v4, vcc_lo, s25, v4, vcc_lo
	s_clause 0x1
	global_load_b32 v5, v[1:2], off
	global_load_b32 v7, v[3:4], off
	s_or_b32 s6, s12, 32
	v_lshlrev_b32_e32 v1, 4, v0
	s_ashr_i32 s7, s6, 4
	s_cmp_lt_i32 s6, s24
	s_cselect_b32 s6, s7, s2
	s_delay_alu instid0(VALU_DEP_1) | instskip(SKIP_1) | instid1(SALU_CYCLE_1)
	v_and_b32_e32 v1, 0xf0, v1
	s_ashr_i32 s7, s6, 31
	s_lshl_b64 s[6:7], s[6:7], 2
	s_delay_alu instid0(SALU_CYCLE_1)
	s_add_u32 s6, s26, s6
	s_addc_u32 s7, s25, s7
	s_or_b32 s8, s12, 64
	v_add_co_u32 v1, s3, s3, v1
	s_ashr_i32 s9, s8, 4
	s_cmp_lt_i32 s8, s24
	v_add_co_ci_u32_e64 v2, null, s13, 0, s3
	s_cselect_b32 s8, s9, s2
	s_delay_alu instid0(SALU_CYCLE_1) | instskip(NEXT) | instid1(SALU_CYCLE_1)
	s_ashr_i32 s9, s8, 31
	s_lshl_b64 s[8:9], s[8:9], 2
	s_delay_alu instid0(SALU_CYCLE_1) | instskip(SKIP_2) | instid1(SALU_CYCLE_1)
	s_add_u32 s8, s26, s8
	s_addc_u32 s9, s25, s9
	s_or_b32 s10, s12, 0x60
	s_ashr_i32 s11, s10, 4
	s_cmp_lt_i32 s10, s24
	s_cselect_b32 s10, s11, s2
	s_delay_alu instid0(SALU_CYCLE_1) | instskip(NEXT) | instid1(SALU_CYCLE_1)
	s_ashr_i32 s11, s10, 31
	s_lshl_b64 s[10:11], s[10:11], 2
	s_delay_alu instid0(SALU_CYCLE_1) | instskip(SKIP_2) | instid1(SALU_CYCLE_1)
	s_add_u32 s10, s26, s10
	s_addc_u32 s11, s25, s11
	s_or_b32 s15, s12, 0x80
	s_ashr_i32 s16, s15, 4
	s_cmp_lt_i32 s15, s24
	;; [unrolled: 10-line block ×3, first 2 shown]
	s_cselect_b32 s20, s16, s2
	s_delay_alu instid0(SALU_CYCLE_1) | instskip(NEXT) | instid1(SALU_CYCLE_1)
	s_ashr_i32 s21, s20, 31
	s_lshl_b64 s[20:21], s[20:21], 2
	s_delay_alu instid0(SALU_CYCLE_1)
	s_add_u32 s36, s26, s20
	s_addc_u32 s37, s25, s21
	s_clause 0x5
	s_load_b32 s20, s[4:5], 0x0
	s_load_b32 s3, s[6:7], 0x0
	s_load_b32 s13, s[8:9], 0x0
	s_load_b32 s15, s[10:11], 0x0
	s_load_b32 s16, s[34:35], 0x0
	s_load_b32 s18, s[36:37], 0x0
	s_or_b32 s6, s12, 0xc0
	s_mov_b32 s4, 0
	s_ashr_i32 s7, s6, 4
	s_cmp_lt_i32 s6, s24
	s_mov_b32 s5, s4
	s_cselect_b32 s10, s7, s2
	s_mov_b32 s6, s4
	s_ashr_i32 s11, s10, 31
	s_mov_b32 s7, s4
	s_lshl_b64 s[10:11], s[10:11], 2
	s_mov_b32 s8, s4
	s_add_u32 s34, s26, s10
	s_addc_u32 s35, s25, s11
	s_or_b32 s11, s12, 0xe0
	s_mov_b32 s9, s4
	s_ashr_i32 s21, s11, 4
	s_cmp_lt_i32 s11, s24
	s_mov_b32 s11, s4
	s_cselect_b32 s36, s21, s2
	s_mov_b32 s10, s4
	s_ashr_i32 s37, s36, 31
	v_mov_b32_e32 v108, s11
	v_dual_mov_b32 v102, s5 :: v_dual_mov_b32 v107, s10
	v_dual_mov_b32 v106, s9 :: v_dual_mov_b32 v105, s8
	;; [unrolled: 1-line block ×3, first 2 shown]
	v_mov_b32_e32 v101, s4
	s_lshl_b64 s[4:5], s[36:37], 2
	s_delay_alu instid0(SALU_CYCLE_1)
	s_add_u32 s4, s26, s4
	s_addc_u32 s5, s25, s5
	s_add_u32 s6, s22, s27
	s_addc_u32 s7, s23, s28
	s_waitcnt vmcnt(1)
	v_mad_i64_i32 v[3:4], null, v5, s17, v[1:2]
	s_waitcnt vmcnt(0)
	v_mad_i64_i32 v[5:6], null, v7, s17, v[1:2]
	v_lshlrev_b32_e32 v1, 4, v66
	s_clause 0x7
	global_load_b128 v[49:52], v[3:4], off
	global_load_b128 v[53:56], v[3:4], off offset:256
	global_load_b128 v[77:80], v[5:6], off
	global_load_b128 v[81:84], v[5:6], off offset:256
	global_load_b128 v[85:88], v[3:4], off offset:512
	global_load_b128 v[89:92], v[3:4], off offset:768
	global_load_b128 v[93:96], v[5:6], off offset:512
	global_load_b128 v[97:100], v[5:6], off offset:768
	v_lshl_or_b32 v1, v67, 8, v1
	s_load_b32 s2, s[34:35], 0x0
	ds_load_b128 v[109:112], v71
	ds_load_b128 v[113:116], v71 offset:1024
	s_load_b32 s4, s[4:5], 0x0
	v_add_co_u32 v9, s6, s6, v1
	s_delay_alu instid0(VALU_DEP_1) | instskip(SKIP_1) | instid1(VALU_DEP_1)
	v_add_co_ci_u32_e64 v10, null, s7, 0, s6
	s_waitcnt lgkmcnt(0)
	v_mad_i64_i32 v[1:2], null, s20, s17, v[9:10]
	v_mad_i64_i32 v[3:4], null, s3, s17, v[9:10]
	;; [unrolled: 1-line block ×7, first 2 shown]
	s_clause 0x9
	global_load_b128 v[57:60], v[1:2], off
	global_load_b128 v[61:64], v[1:2], off offset:16
	global_load_b128 v[41:44], v[3:4], off
	global_load_b128 v[45:48], v[3:4], off offset:16
	;; [unrolled: 2-line block ×5, first 2 shown]
	v_mad_i64_i32 v[69:70], null, s4, s17, v[9:10]
	s_clause 0x3
	global_load_b128 v[9:12], v[13:14], off
	global_load_b128 v[13:16], v[13:14], off offset:16
	global_load_b128 v[17:20], v[21:22], off
	global_load_b128 v[21:24], v[21:22], off offset:16
	s_waitcnt vmcnt(20)
	v_wmma_f32_16x16x16_bf16 v[117:124], v[49:56], v[109:116], v[101:108]
	s_clause 0x1
	global_load_b128 v[49:52], v[69:70], off
	global_load_b128 v[53:56], v[69:70], off offset:16
	s_waitcnt vmcnt(20)
	v_wmma_f32_16x16x16_bf16 v[101:108], v[77:84], v[109:116], v[101:108]
	ds_load_b128 v[77:80], v71 offset:2048
	ds_load_b128 v[81:84], v71 offset:3072
	v_mbcnt_lo_u32_b32 v70, -1, 0
	s_waitcnt vmcnt(0) lgkmcnt(0)
	s_barrier
	buffer_gl0_inv
	v_xor_b32_e32 v71, 16, v70
	s_delay_alu instid0(VALU_DEP_1) | instskip(SKIP_4) | instid1(VALU_DEP_2)
	v_cmp_gt_i32_e32 vcc_lo, 32, v71
	v_cndmask_b32_e32 v70, v70, v71, vcc_lo
	v_wmma_f32_16x16x16_bf16 v[101:108], v[93:100], v[77:84], v[101:108]
	v_and_b32_e32 v69, 0xe0, v0
	v_wmma_f32_16x16x16_bf16 v[117:124], v[85:92], v[77:84], v[117:124]
	v_dual_mul_f32 v98, s19, v106 :: v_dual_add_nc_u32 v69, s12, v69
	s_delay_alu instid0(VALU_DEP_4) | instskip(NEXT) | instid1(VALU_DEP_3)
	v_mul_f32_e32 v96, s19, v108
	v_dual_mul_f32 v94, s19, v118 :: v_dual_mul_f32 v95, s19, v117
	s_delay_alu instid0(VALU_DEP_4) | instskip(NEXT) | instid1(VALU_DEP_4)
	v_mul_f32_e32 v84, s19, v120
	v_or_b32_e32 v69, v69, v65
	v_dual_mul_f32 v93, s19, v119 :: v_dual_mul_f32 v82, s19, v122
	v_dual_mul_f32 v83, s19, v121 :: v_dual_mul_f32 v80, s19, v124
	s_delay_alu instid0(VALU_DEP_3)
	v_or_b32_e32 v71, 2, v69
	v_or_b32_e32 v72, 4, v69
	;; [unrolled: 1-line block ×3, first 2 shown]
	v_cmp_gt_i32_e64 s2, s24, v69
	v_or_b32_e32 v110, 8, v69
	v_cmp_gt_i32_e32 vcc_lo, s24, v71
	v_or_b32_e32 v85, 10, v69
	v_cmp_gt_i32_e64 s3, s24, v72
	v_cndmask_b32_e64 v95, 0xff7fffff, v95, s2
	v_cmp_gt_i32_e64 s4, s24, v109
	v_cndmask_b32_e32 v94, 0xff7fffff, v94, vcc_lo
	v_or_b32_e32 v86, 12, v69
	v_or_b32_e32 v87, 14, v69
	v_mul_f32_e32 v72, s19, v101
	v_cndmask_b32_e64 v93, 0xff7fffff, v93, s3
	v_cndmask_b32_e64 v84, 0xff7fffff, v84, s4
	v_max3_f32 v94, v95, 0xff7fffff, v94
	v_cmp_gt_i32_e64 s5, s24, v110
	v_cmp_gt_i32_e64 s6, s24, v85
	v_or_b32_e32 v88, 16, v69
	v_or_b32_e32 v89, 18, v69
	v_dual_mul_f32 v81, s19, v123 :: v_dual_mul_f32 v100, s19, v104
	v_cndmask_b32_e64 v83, 0xff7fffff, v83, s5
	v_cndmask_b32_e64 v82, 0xff7fffff, v82, s6
	v_max3_f32 v84, v94, v93, v84
	v_cmp_gt_i32_e64 s7, s24, v86
	v_cmp_gt_i32_e64 s8, s24, v87
	v_or_b32_e32 v90, 20, v69
	v_or_b32_e32 v91, 22, v69
	;; [unrolled: 1-line block ×6, first 2 shown]
	v_mul_f32_e32 v69, s19, v102
	v_cndmask_b32_e64 v81, 0xff7fffff, v81, s7
	v_cndmask_b32_e64 v80, 0xff7fffff, v80, s8
	v_max3_f32 v82, v84, v83, v82
	v_cmp_gt_i32_e64 s9, s24, v88
	v_cmp_gt_i32_e64 s10, s24, v89
	v_mul_f32_e32 v71, s19, v103
	v_cmp_gt_i32_e64 s11, s24, v90
	v_max3_f32 v80, v82, v81, v80
	v_cndmask_b32_e64 v72, 0xff7fffff, v72, s9
	v_cndmask_b32_e64 v69, 0xff7fffff, v69, s10
	v_cmp_gt_i32_e64 s12, s24, v91
	v_mul_f32_e32 v99, s19, v105
	v_cndmask_b32_e64 v71, 0xff7fffff, v71, s11
	v_cmp_gt_i32_e64 s13, s24, v92
	v_max3_f32 v69, v80, v72, v69
	v_cndmask_b32_e64 v81, 0xff7fffff, v100, s12
	v_cmp_gt_i32_e64 s15, s24, v77
	v_mul_f32_e32 v97, s19, v107
	v_cndmask_b32_e64 v72, 0xff7fffff, v99, s13
	v_cmp_gt_i32_e64 s16, s24, v78
	v_max3_f32 v69, v69, v71, v81
	v_cndmask_b32_e64 v77, 0xff7fffff, v98, s15
	v_cmp_gt_i32_e64 s17, s24, v79
	v_lshlrev_b32_e32 v91, 2, v70
	v_cndmask_b32_e64 v71, 0xff7fffff, v97, s16
	s_delay_alu instid0(VALU_DEP_4) | instskip(NEXT) | instid1(VALU_DEP_4)
	v_max3_f32 v69, v69, v72, v77
	v_cndmask_b32_e64 v78, 0xff7fffff, v96, s17
	s_delay_alu instid0(VALU_DEP_1) | instskip(SKIP_3) | instid1(VALU_DEP_1)
	v_max3_f32 v69, v69, v71, v78
	ds_bpermute_b32 v70, v91, v69
	s_waitcnt lgkmcnt(0)
	v_max_f32_e32 v70, v70, v70
	v_max_f32_e32 v69, v69, v70
	s_delay_alu instid0(VALU_DEP_1) | instskip(SKIP_4) | instid1(VALU_DEP_4)
	v_fma_f32 v70, s19, v117, -v69
	v_fma_f32 v71, s19, v118, -v69
	;; [unrolled: 1-line block ×5, first 2 shown]
	v_dual_mul_f32 v70, 0x3fb8aa3b, v70 :: v_dual_mul_f32 v71, 0x3fb8aa3b, v71
	s_delay_alu instid0(VALU_DEP_3) | instskip(NEXT) | instid1(VALU_DEP_3)
	v_dual_mul_f32 v72, 0x3fb8aa3b, v72 :: v_dual_mul_f32 v77, 0x3fb8aa3b, v77
	v_mul_f32_e32 v78, 0x3fb8aa3b, v78
	s_delay_alu instid0(VALU_DEP_3) | instskip(NEXT) | instid1(VALU_DEP_3)
	v_exp_f32_e32 v70, v70
	v_exp_f32_e32 v71, v71
	s_delay_alu instid0(VALU_DEP_2)
	v_exp_f32_e32 v72, v72
	v_exp_f32_e32 v79, v77
	;; [unrolled: 1-line block ×3, first 2 shown]
	v_cndmask_b32_e64 v81, 0, v70, s2
	v_fma_f32 v70, s19, v122, -v69
	v_cndmask_b32_e32 v77, 0, v71, vcc_lo
	s_delay_alu instid0(TRANS32_DEP_3)
	v_cndmask_b32_e64 v85, 0, v72, s3
	s_waitcnt_depctr 0xfff
	v_cndmask_b32_e64 v87, 0, v79, s4
	v_dual_add_f32 v71, 0, v81 :: v_dual_mul_f32 v70, 0x3fb8aa3b, v70
	v_cndmask_b32_e64 v88, 0, v78, s5
	s_mov_b32 s2, exec_lo
	s_delay_alu instid0(VALU_DEP_2) | instskip(NEXT) | instid1(VALU_DEP_3)
	v_add_f32_e32 v71, v71, v77
	v_exp_f32_e32 v70, v70
	s_delay_alu instid0(VALU_DEP_1) | instskip(NEXT) | instid1(VALU_DEP_1)
	v_add_f32_e32 v71, v71, v85
	v_add_f32_e32 v71, v71, v87
	s_waitcnt_depctr 0xfff
	v_cndmask_b32_e64 v89, 0, v70, s6
	v_add_f32_e32 v70, v71, v88
	s_delay_alu instid0(VALU_DEP_1)
	v_add_f32_e32 v70, v70, v89
	v_fma_f32 v80, s19, v123, -v69
	v_fma_f32 v72, s19, v124, -v69
	;; [unrolled: 1-line block ×5, first 2 shown]
	v_mul_f32_e32 v80, 0x3fb8aa3b, v80
	s_delay_alu instid0(VALU_DEP_4) | instskip(NEXT) | instid1(VALU_DEP_3)
	v_dual_mul_f32 v72, 0x3fb8aa3b, v72 :: v_dual_mul_f32 v79, 0x3fb8aa3b, v79
	v_dual_mul_f32 v78, 0x3fb8aa3b, v78 :: v_dual_mul_f32 v71, 0x3fb8aa3b, v71
	s_delay_alu instid0(VALU_DEP_3) | instskip(NEXT) | instid1(VALU_DEP_2)
	v_exp_f32_e32 v80, v80
	v_exp_f32_e32 v72, v72
	s_delay_alu instid0(VALU_DEP_2) | instskip(NEXT) | instid1(VALU_DEP_1)
	v_exp_f32_e32 v79, v79
	v_exp_f32_e32 v78, v78
	;; [unrolled: 1-line block ×3, first 2 shown]
	v_fma_f32 v83, s19, v106, -v69
	v_cndmask_b32_e64 v86, 0, v80, s7
	v_fma_f32 v80, s19, v104, -v69
	v_cndmask_b32_e64 v90, 0, v72, s8
	v_fma_f32 v72, s19, v105, -v69
	s_delay_alu instid0(TRANS32_DEP_3) | instskip(SKIP_2) | instid1(VALU_DEP_2)
	v_cndmask_b32_e64 v71, 0, v79, s9
	v_add_f32_e32 v70, v70, v86
	v_dual_mul_f32 v80, 0x3fb8aa3b, v80 :: v_dual_mul_f32 v83, 0x3fb8aa3b, v83
	v_dual_mul_f32 v72, 0x3fb8aa3b, v72 :: v_dual_add_f32 v79, v70, v90
	s_delay_alu instid0(VALU_DEP_2) | instskip(SKIP_1) | instid1(VALU_DEP_2)
	v_exp_f32_e32 v80, v80
	v_cndmask_b32_e64 v70, 0, v78, s10
	v_exp_f32_e32 v84, v72
	v_cndmask_b32_e64 v72, 0, v82, s11
	v_add_f32_e32 v78, v79, v71
	v_fma_f32 v79, s19, v107, -v69
	v_exp_f32_e32 v83, v83
	s_delay_alu instid0(VALU_DEP_1) | instskip(NEXT) | instid1(TRANS32_DEP_3)
	v_dual_add_f32 v82, v78, v70 :: v_dual_mul_f32 v79, 0x3fb8aa3b, v79
	v_cndmask_b32_e64 v78, 0, v80, s12
	s_delay_alu instid0(VALU_DEP_2) | instskip(SKIP_1) | instid1(VALU_DEP_4)
	v_add_f32_e32 v80, v82, v72
	v_fma_f32 v82, s19, v108, -v69
	v_exp_f32_e32 v92, v79
	v_cndmask_b32_e64 v79, 0, v84, s13
	s_delay_alu instid0(VALU_DEP_3) | instskip(NEXT) | instid1(VALU_DEP_3)
	v_add_f32_e32 v84, v80, v78
	v_mul_f32_e32 v82, 0x3fb8aa3b, v82
	s_delay_alu instid0(TRANS32_DEP_2) | instskip(NEXT) | instid1(VALU_DEP_3)
	v_cndmask_b32_e64 v80, 0, v83, s15
	v_add_f32_e32 v83, v84, v79
	s_delay_alu instid0(VALU_DEP_3) | instskip(NEXT) | instid1(TRANS32_DEP_2)
	v_exp_f32_e32 v84, v82
	v_cndmask_b32_e64 v82, 0, v92, s16
	s_delay_alu instid0(VALU_DEP_2) | instskip(NEXT) | instid1(VALU_DEP_1)
	v_add_f32_e32 v83, v83, v80
	v_add_f32_e32 v92, v83, v82
	s_waitcnt_depctr 0xfff
	v_cndmask_b32_e64 v83, 0, v84, s17
	s_delay_alu instid0(VALU_DEP_1)
	v_add_f32_e32 v84, v92, v83
	ds_bpermute_b32 v91, v91, v84
	v_cmpx_gt_u32_e32 16, v68
	s_cbranch_execz .LBB1727_12
; %bb.11:
	v_mul_u32_u24_e32 v68, 0x44, v67
	s_waitcnt lgkmcnt(0)
	v_add_f32_e32 v84, v84, v91
	s_delay_alu instid0(VALU_DEP_2) | instskip(NEXT) | instid1(VALU_DEP_1)
	v_lshl_add_u32 v68, v66, 2, v68
	v_add_nc_u32_e32 v68, 0x4000, v68
	ds_store_2addr_b32 v68, v69, v84 offset1:136
.LBB1727_12:
	s_or_b32 exec_lo, exec_lo, s2
	v_lshlrev_b32_e32 v68, 2, v66
	s_waitcnt lgkmcnt(0)
	s_barrier
	buffer_gl0_inv
	v_cmp_eq_u32_e32 vcc_lo, 1, v67
	v_add_nc_u32_e32 v84, 0x4000, v68
	v_cmp_eq_u32_e64 s2, 2, v67
	v_cmp_eq_u32_e64 s4, 7, v67
	ds_load_2addr_b32 v[91:92], v84 offset1:17
	ds_load_2addr_b32 v[93:94], v84 offset0:34 offset1:51
	ds_load_2addr_b32 v[95:96], v84 offset0:68 offset1:85
	;; [unrolled: 1-line block ×4, first 2 shown]
	s_waitcnt lgkmcnt(4)
	v_max3_f32 v68, v91, 0xff7fffff, v92
	s_waitcnt lgkmcnt(3)
	s_delay_alu instid0(VALU_DEP_1) | instskip(SKIP_1) | instid1(VALU_DEP_1)
	v_max3_f32 v68, v68, v93, v94
	s_waitcnt lgkmcnt(2)
	v_max3_f32 v68, v68, v95, v96
	s_waitcnt lgkmcnt(1)
	s_delay_alu instid0(VALU_DEP_1) | instskip(NEXT) | instid1(VALU_DEP_1)
	v_max3_f32 v68, v68, v97, v98
	v_sub_f32_e32 v69, v91, v68
	v_sub_f32_e32 v93, v93, v68
	;; [unrolled: 1-line block ×3, first 2 shown]
	s_delay_alu instid0(VALU_DEP_3) | instskip(NEXT) | instid1(VALU_DEP_3)
	v_mul_f32_e32 v69, 0x3fb8aa3b, v69
	v_mul_f32_e32 v103, 0x3fb8aa3b, v93
	s_delay_alu instid0(VALU_DEP_3) | instskip(NEXT) | instid1(VALU_DEP_3)
	v_mul_f32_e32 v105, 0x3fb8aa3b, v95
	v_exp_f32_e32 v102, v69
	v_sub_f32_e32 v69, v94, v68
	v_sub_f32_e32 v101, v92, v68
	ds_load_2addr_b32 v[91:92], v84 offset0:170 offset1:187
	v_exp_f32_e32 v103, v103
	v_mul_f32_e32 v104, 0x3fb8aa3b, v69
	v_mul_f32_e32 v101, 0x3fb8aa3b, v101
	s_waitcnt lgkmcnt(1)
	v_fma_f32 v69, v102, v99, 0
	v_sub_f32_e32 v99, v96, v68
	s_delay_alu instid0(VALU_DEP_3) | instskip(SKIP_4) | instid1(VALU_DEP_1)
	v_exp_f32_e32 v101, v101
	v_exp_f32_e32 v104, v104
	s_waitcnt_depctr 0xfff
	v_fmac_f32_e32 v69, v101, v100
	s_waitcnt lgkmcnt(0)
	v_fmac_f32_e32 v69, v103, v91
	ds_load_2addr_b32 v[93:94], v84 offset0:204 offset1:221
	ds_load_2addr_b32 v[95:96], v84 offset0:238 offset1:255
	v_dual_sub_f32 v84, v97, v68 :: v_dual_mul_f32 v97, 0x3fb8aa3b, v99
	v_exp_f32_e32 v99, v105
	v_sub_f32_e32 v91, v98, v68
	v_fmac_f32_e32 v69, v104, v92
	s_delay_alu instid0(VALU_DEP_3)
	v_mul_f32_e32 v84, 0x3fb8aa3b, v84
	v_exp_f32_e32 v97, v97
	s_waitcnt lgkmcnt(0)
	v_mul_f32_e32 v91, 0x3fb8aa3b, v91
	s_barrier
	v_exp_f32_e32 v84, v84
	buffer_gl0_inv
	v_exp_f32_e32 v91, v91
	v_fmac_f32_e32 v69, v99, v93
	s_delay_alu instid0(VALU_DEP_1) | instskip(NEXT) | instid1(VALU_DEP_1)
	v_fmac_f32_e32 v69, v97, v94
	v_fmac_f32_e32 v69, v84, v95
	s_waitcnt_depctr 0xfff
	v_fmac_f32_e32 v69, v91, v96
	s_delay_alu instid0(VALU_DEP_1) | instskip(NEXT) | instid1(VALU_DEP_1)
	v_add_f32_e32 v92, 0x358637bd, v69
	v_div_scale_f32 v93, null, v92, v92, 1.0
	v_div_scale_f32 v96, s3, 1.0, v92, 1.0
	s_delay_alu instid0(VALU_DEP_2) | instskip(SKIP_2) | instid1(VALU_DEP_1)
	v_rcp_f32_e32 v94, v93
	s_waitcnt_depctr 0xfff
	v_fma_f32 v95, -v93, v94, 1.0
	v_dual_fmac_f32 v94, v95, v94 :: v_dual_cndmask_b32 v95, v102, v101
	v_cmp_eq_u32_e32 vcc_lo, 3, v67
	s_delay_alu instid0(VALU_DEP_2) | instskip(NEXT) | instid1(VALU_DEP_3)
	v_mul_f32_e32 v98, v96, v94
	v_cndmask_b32_e64 v95, v95, v103, s2
	v_cmp_eq_u32_e64 s2, 4, v67
	s_delay_alu instid0(VALU_DEP_3) | instskip(NEXT) | instid1(VALU_DEP_3)
	v_fma_f32 v100, -v93, v98, v96
	v_cndmask_b32_e32 v95, v95, v104, vcc_lo
	v_cmp_eq_u32_e32 vcc_lo, 5, v67
	s_delay_alu instid0(VALU_DEP_3) | instskip(NEXT) | instid1(VALU_DEP_3)
	v_fmac_f32_e32 v98, v100, v94
	v_cndmask_b32_e64 v95, v95, v99, s2
	v_cmp_eq_u32_e64 s2, 6, v67
	s_delay_alu instid0(VALU_DEP_3) | instskip(NEXT) | instid1(VALU_DEP_3)
	v_fma_f32 v93, -v93, v98, v96
	v_cndmask_b32_e32 v95, v95, v97, vcc_lo
	s_mov_b32 vcc_lo, s3
	s_delay_alu instid0(VALU_DEP_2) | instskip(NEXT) | instid1(VALU_DEP_2)
	v_div_fmas_f32 v93, v93, v94, v98
	v_cndmask_b32_e64 v84, v95, v84, s2
	s_mov_b32 s2, exec_lo
	s_delay_alu instid0(VALU_DEP_2) | instskip(NEXT) | instid1(VALU_DEP_2)
	v_div_fixup_f32 v92, v93, v92, 1.0
	v_cndmask_b32_e64 v84, v84, v91, s4
	s_delay_alu instid0(VALU_DEP_1) | instskip(NEXT) | instid1(VALU_DEP_1)
	v_mul_f32_e32 v84, v84, v92
	v_mul_f32_e32 v92, v84, v81
	;; [unrolled: 1-line block ×6, first 2 shown]
	v_and_b32_e32 v93, 0x7f800000, v92
	v_mul_f32_e32 v91, v84, v87
	v_mul_f32_e32 v88, v84, v85
	;; [unrolled: 1-line block ×3, first 2 shown]
                                        ; implicit-def: $vgpr77
	s_delay_alu instid0(VALU_DEP_4)
	v_cmpx_ne_u32_e32 0x7f800000, v93
	s_xor_b32 s2, exec_lo, s2
; %bb.13:
	v_bfe_u32 v77, v92, 16, 1
	s_delay_alu instid0(VALU_DEP_1)
	v_add3_u32 v77, v92, v77, 0x7fff
                                        ; implicit-def: $vgpr92
; %bb.14:
	s_and_not1_saveexec_b32 s2, s2
; %bb.15:
	v_and_b32_e32 v77, 0xffff, v92
	v_or_b32_e32 v85, 0x10000, v92
	s_delay_alu instid0(VALU_DEP_2) | instskip(NEXT) | instid1(VALU_DEP_2)
	v_cmp_eq_u32_e32 vcc_lo, 0, v77
	v_cndmask_b32_e32 v77, v85, v92, vcc_lo
; %bb.16:
	s_or_b32 exec_lo, exec_lo, s2
	v_and_b32_e32 v85, 0x7f800000, v87
	s_delay_alu instid0(VALU_DEP_1) | instskip(SKIP_1) | instid1(SALU_CYCLE_1)
	v_cmp_ne_u32_e32 vcc_lo, 0x7f800000, v85
                                        ; implicit-def: $vgpr85
	s_and_saveexec_b32 s2, vcc_lo
	s_xor_b32 s2, exec_lo, s2
; %bb.17:
	v_bfe_u32 v85, v87, 16, 1
	s_delay_alu instid0(VALU_DEP_1)
	v_add3_u32 v85, v87, v85, 0x7fff
                                        ; implicit-def: $vgpr87
; %bb.18:
	s_and_not1_saveexec_b32 s2, s2
; %bb.19:
	v_and_b32_e32 v85, 0xffff, v87
	v_or_b32_e32 v92, 0x10000, v87
	s_delay_alu instid0(VALU_DEP_2) | instskip(NEXT) | instid1(VALU_DEP_2)
	v_cmp_eq_u32_e32 vcc_lo, 0, v85
	v_cndmask_b32_e32 v85, v92, v87, vcc_lo
; %bb.20:
	s_or_b32 exec_lo, exec_lo, s2
	v_and_b32_e32 v87, 0x7f800000, v88
	s_delay_alu instid0(VALU_DEP_1) | instskip(SKIP_1) | instid1(SALU_CYCLE_1)
	v_cmp_ne_u32_e32 vcc_lo, 0x7f800000, v87
                                        ; implicit-def: $vgpr87
	s_and_saveexec_b32 s2, vcc_lo
	s_xor_b32 s2, exec_lo, s2
; %bb.21:
	v_bfe_u32 v87, v88, 16, 1
	s_delay_alu instid0(VALU_DEP_1)
	v_add3_u32 v87, v88, v87, 0x7fff
                                        ; implicit-def: $vgpr88
; %bb.22:
	s_and_not1_saveexec_b32 s2, s2
; %bb.23:
	v_and_b32_e32 v87, 0xffff, v88
	v_or_b32_e32 v92, 0x10000, v88
	s_delay_alu instid0(VALU_DEP_2) | instskip(NEXT) | instid1(VALU_DEP_2)
	v_cmp_eq_u32_e32 vcc_lo, 0, v87
	v_cndmask_b32_e32 v87, v92, v88, vcc_lo
; %bb.24:
	s_or_b32 exec_lo, exec_lo, s2
	v_and_b32_e32 v88, 0x7f800000, v91
	s_delay_alu instid0(VALU_DEP_1) | instskip(SKIP_1) | instid1(SALU_CYCLE_1)
	v_cmp_ne_u32_e32 vcc_lo, 0x7f800000, v88
                                        ; implicit-def: $vgpr88
	s_and_saveexec_b32 s2, vcc_lo
	s_xor_b32 s2, exec_lo, s2
; %bb.25:
	v_bfe_u32 v88, v91, 16, 1
	s_delay_alu instid0(VALU_DEP_1)
	v_add3_u32 v88, v91, v88, 0x7fff
                                        ; implicit-def: $vgpr91
; %bb.26:
	s_and_not1_saveexec_b32 s2, s2
; %bb.27:
	v_and_b32_e32 v88, 0xffff, v91
	v_or_b32_e32 v92, 0x10000, v91
	s_delay_alu instid0(VALU_DEP_2) | instskip(NEXT) | instid1(VALU_DEP_2)
	v_cmp_eq_u32_e32 vcc_lo, 0, v88
	v_cndmask_b32_e32 v88, v92, v91, vcc_lo
; %bb.28:
	s_or_b32 exec_lo, exec_lo, s2
	v_and_b32_e32 v91, 0x7f800000, v90
	s_delay_alu instid0(VALU_DEP_1) | instskip(SKIP_1) | instid1(SALU_CYCLE_1)
	v_cmp_ne_u32_e32 vcc_lo, 0x7f800000, v91
                                        ; implicit-def: $vgpr91
	s_and_saveexec_b32 s2, vcc_lo
	s_xor_b32 s2, exec_lo, s2
; %bb.29:
	v_bfe_u32 v91, v90, 16, 1
	s_delay_alu instid0(VALU_DEP_1)
	v_add3_u32 v91, v90, v91, 0x7fff
                                        ; implicit-def: $vgpr90
; %bb.30:
	s_and_not1_saveexec_b32 s2, s2
; %bb.31:
	v_and_b32_e32 v91, 0xffff, v90
	v_or_b32_e32 v92, 0x10000, v90
	s_delay_alu instid0(VALU_DEP_2) | instskip(NEXT) | instid1(VALU_DEP_2)
	v_cmp_eq_u32_e32 vcc_lo, 0, v91
	v_cndmask_b32_e32 v91, v92, v90, vcc_lo
; %bb.32:
	s_or_b32 exec_lo, exec_lo, s2
	v_and_b32_e32 v90, 0x7f800000, v89
	s_delay_alu instid0(VALU_DEP_1) | instskip(SKIP_1) | instid1(SALU_CYCLE_1)
	v_cmp_ne_u32_e32 vcc_lo, 0x7f800000, v90
                                        ; implicit-def: $vgpr90
	s_and_saveexec_b32 s2, vcc_lo
	s_xor_b32 s2, exec_lo, s2
; %bb.33:
	v_bfe_u32 v90, v89, 16, 1
	s_delay_alu instid0(VALU_DEP_1)
	v_add3_u32 v90, v89, v90, 0x7fff
                                        ; implicit-def: $vgpr89
; %bb.34:
	s_and_not1_saveexec_b32 s2, s2
; %bb.35:
	v_and_b32_e32 v90, 0xffff, v89
	v_or_b32_e32 v92, 0x10000, v89
	s_delay_alu instid0(VALU_DEP_2) | instskip(NEXT) | instid1(VALU_DEP_2)
	v_cmp_eq_u32_e32 vcc_lo, 0, v90
	v_cndmask_b32_e32 v90, v92, v89, vcc_lo
; %bb.36:
	s_or_b32 exec_lo, exec_lo, s2
	v_and_b32_e32 v89, 0x7f800000, v86
	s_delay_alu instid0(VALU_DEP_1) | instskip(SKIP_1) | instid1(SALU_CYCLE_1)
	v_cmp_ne_u32_e32 vcc_lo, 0x7f800000, v89
                                        ; implicit-def: $vgpr89
	s_and_saveexec_b32 s2, vcc_lo
	s_xor_b32 s2, exec_lo, s2
; %bb.37:
	v_bfe_u32 v89, v86, 16, 1
	s_delay_alu instid0(VALU_DEP_1)
	v_add3_u32 v89, v86, v89, 0x7fff
                                        ; implicit-def: $vgpr86
; %bb.38:
	s_and_not1_saveexec_b32 s2, s2
; %bb.39:
	v_and_b32_e32 v89, 0xffff, v86
	v_or_b32_e32 v92, 0x10000, v86
	s_delay_alu instid0(VALU_DEP_2) | instskip(NEXT) | instid1(VALU_DEP_2)
	v_cmp_eq_u32_e32 vcc_lo, 0, v89
	v_cndmask_b32_e32 v89, v92, v86, vcc_lo
; %bb.40:
	s_or_b32 exec_lo, exec_lo, s2
	v_and_b32_e32 v86, 0x7f800000, v81
	s_delay_alu instid0(VALU_DEP_1) | instskip(SKIP_1) | instid1(SALU_CYCLE_1)
	v_cmp_ne_u32_e32 vcc_lo, 0x7f800000, v86
                                        ; implicit-def: $vgpr86
	s_and_saveexec_b32 s2, vcc_lo
	s_xor_b32 s2, exec_lo, s2
; %bb.41:
	v_bfe_u32 v86, v81, 16, 1
	s_delay_alu instid0(VALU_DEP_1)
	v_add3_u32 v86, v81, v86, 0x7fff
                                        ; implicit-def: $vgpr81
; %bb.42:
	s_and_not1_saveexec_b32 s2, s2
; %bb.43:
	v_and_b32_e32 v86, 0xffff, v81
	v_or_b32_e32 v92, 0x10000, v81
	s_delay_alu instid0(VALU_DEP_2) | instskip(NEXT) | instid1(VALU_DEP_2)
	v_cmp_eq_u32_e32 vcc_lo, 0, v86
	v_cndmask_b32_e32 v86, v92, v81, vcc_lo
; %bb.44:
	s_or_b32 exec_lo, exec_lo, s2
	s_load_b64 s[34:35], s[0:1], 0x94
	v_lshlrev_b32_e32 v93, 4, v65
	s_delay_alu instid0(VALU_DEP_2)
	v_perm_b32 v92, v86, v89, 0x7060302
	v_dual_mul_f32 v80, v84, v80 :: v_dual_lshlrev_b32 v81, 6, v66
	v_lshlrev_b32_e32 v66, 11, v67
	v_perm_b32 v89, v85, v77, 0x7060302
	v_mul_f32_e32 v85, v84, v71
	v_mul_f32_e32 v71, v84, v82
	v_perm_b32 v91, v90, v91, 0x7060302
	v_perm_b32 v90, v88, v87, 0x7060302
	v_or3_b32 v77, v93, v66, v81
	v_mul_f32_e32 v66, v84, v83
	v_dual_mul_f32 v79, v84, v79 :: v_dual_and_b32 v86, 0x7f800000, v85
	v_mul_f32_e32 v83, v84, v78
	v_mul_f32_e32 v82, v84, v72
	;; [unrolled: 1-line block ×3, first 2 shown]
	s_mov_b32 s2, exec_lo
	ds_store_b128 v77, v[89:92]
                                        ; implicit-def: $vgpr70
	v_cmpx_ne_u32_e32 0x7f800000, v86
	s_xor_b32 s2, exec_lo, s2
; %bb.45:
	v_bfe_u32 v70, v85, 16, 1
	s_delay_alu instid0(VALU_DEP_1)
	v_add3_u32 v70, v85, v70, 0x7fff
                                        ; implicit-def: $vgpr85
; %bb.46:
	s_and_not1_saveexec_b32 s2, s2
; %bb.47:
	v_and_b32_e32 v70, 0xffff, v85
	v_or_b32_e32 v72, 0x10000, v85
	s_delay_alu instid0(VALU_DEP_2) | instskip(NEXT) | instid1(VALU_DEP_2)
	v_cmp_eq_u32_e32 vcc_lo, 0, v70
	v_cndmask_b32_e32 v70, v72, v85, vcc_lo
; %bb.48:
	s_or_b32 exec_lo, exec_lo, s2
	v_and_b32_e32 v72, 0x7f800000, v78
	s_delay_alu instid0(VALU_DEP_1) | instskip(SKIP_1) | instid1(SALU_CYCLE_1)
	v_cmp_ne_u32_e32 vcc_lo, 0x7f800000, v72
                                        ; implicit-def: $vgpr72
	s_and_saveexec_b32 s2, vcc_lo
	s_xor_b32 s2, exec_lo, s2
; %bb.49:
	v_bfe_u32 v72, v78, 16, 1
	s_delay_alu instid0(VALU_DEP_1)
	v_add3_u32 v72, v78, v72, 0x7fff
                                        ; implicit-def: $vgpr78
; %bb.50:
	s_and_not1_saveexec_b32 s2, s2
; %bb.51:
	v_and_b32_e32 v72, 0xffff, v78
	v_or_b32_e32 v84, 0x10000, v78
	s_delay_alu instid0(VALU_DEP_2) | instskip(NEXT) | instid1(VALU_DEP_2)
	v_cmp_eq_u32_e32 vcc_lo, 0, v72
	v_cndmask_b32_e32 v72, v84, v78, vcc_lo
; %bb.52:
	s_or_b32 exec_lo, exec_lo, s2
	v_and_b32_e32 v78, 0x7f800000, v82
	s_delay_alu instid0(VALU_DEP_1) | instskip(SKIP_1) | instid1(SALU_CYCLE_1)
	v_cmp_ne_u32_e32 vcc_lo, 0x7f800000, v78
                                        ; implicit-def: $vgpr78
	s_and_saveexec_b32 s2, vcc_lo
	s_xor_b32 s2, exec_lo, s2
; %bb.53:
	v_bfe_u32 v78, v82, 16, 1
	s_delay_alu instid0(VALU_DEP_1)
	v_add3_u32 v78, v82, v78, 0x7fff
                                        ; implicit-def: $vgpr82
; %bb.54:
	s_and_not1_saveexec_b32 s2, s2
; %bb.55:
	v_and_b32_e32 v78, 0xffff, v82
	v_or_b32_e32 v84, 0x10000, v82
	s_delay_alu instid0(VALU_DEP_2) | instskip(NEXT) | instid1(VALU_DEP_2)
	v_cmp_eq_u32_e32 vcc_lo, 0, v78
	v_cndmask_b32_e32 v78, v84, v82, vcc_lo
; %bb.56:
	s_or_b32 exec_lo, exec_lo, s2
	v_and_b32_e32 v82, 0x7f800000, v83
	s_delay_alu instid0(VALU_DEP_1) | instskip(SKIP_1) | instid1(SALU_CYCLE_1)
	v_cmp_ne_u32_e32 vcc_lo, 0x7f800000, v82
                                        ; implicit-def: $vgpr82
	s_and_saveexec_b32 s2, vcc_lo
	s_xor_b32 s2, exec_lo, s2
; %bb.57:
	v_bfe_u32 v82, v83, 16, 1
	s_delay_alu instid0(VALU_DEP_1)
	v_add3_u32 v82, v83, v82, 0x7fff
                                        ; implicit-def: $vgpr83
; %bb.58:
	s_and_not1_saveexec_b32 s2, s2
; %bb.59:
	v_and_b32_e32 v82, 0xffff, v83
	v_or_b32_e32 v84, 0x10000, v83
	s_delay_alu instid0(VALU_DEP_2) | instskip(NEXT) | instid1(VALU_DEP_2)
	v_cmp_eq_u32_e32 vcc_lo, 0, v82
	v_cndmask_b32_e32 v82, v84, v83, vcc_lo
; %bb.60:
	s_or_b32 exec_lo, exec_lo, s2
	v_and_b32_e32 v83, 0x7f800000, v79
	s_delay_alu instid0(VALU_DEP_1) | instskip(SKIP_1) | instid1(SALU_CYCLE_1)
	v_cmp_ne_u32_e32 vcc_lo, 0x7f800000, v83
                                        ; implicit-def: $vgpr83
	s_and_saveexec_b32 s2, vcc_lo
	s_xor_b32 s2, exec_lo, s2
; %bb.61:
	v_bfe_u32 v83, v79, 16, 1
	s_delay_alu instid0(VALU_DEP_1)
	v_add3_u32 v83, v79, v83, 0x7fff
                                        ; implicit-def: $vgpr79
; %bb.62:
	s_and_not1_saveexec_b32 s2, s2
; %bb.63:
	v_and_b32_e32 v83, 0xffff, v79
	v_or_b32_e32 v84, 0x10000, v79
	s_delay_alu instid0(VALU_DEP_2) | instskip(NEXT) | instid1(VALU_DEP_2)
	v_cmp_eq_u32_e32 vcc_lo, 0, v83
	v_cndmask_b32_e32 v83, v84, v79, vcc_lo
; %bb.64:
	s_or_b32 exec_lo, exec_lo, s2
	v_and_b32_e32 v79, 0x7f800000, v80
	s_delay_alu instid0(VALU_DEP_1) | instskip(SKIP_1) | instid1(SALU_CYCLE_1)
	v_cmp_ne_u32_e32 vcc_lo, 0x7f800000, v79
                                        ; implicit-def: $vgpr79
	s_and_saveexec_b32 s2, vcc_lo
	s_xor_b32 s2, exec_lo, s2
; %bb.65:
	v_bfe_u32 v79, v80, 16, 1
	s_delay_alu instid0(VALU_DEP_1)
	v_add3_u32 v79, v80, v79, 0x7fff
                                        ; implicit-def: $vgpr80
; %bb.66:
	s_and_not1_saveexec_b32 s2, s2
; %bb.67:
	v_and_b32_e32 v79, 0xffff, v80
	v_or_b32_e32 v84, 0x10000, v80
	s_delay_alu instid0(VALU_DEP_2) | instskip(NEXT) | instid1(VALU_DEP_2)
	v_cmp_eq_u32_e32 vcc_lo, 0, v79
	v_cndmask_b32_e32 v79, v84, v80, vcc_lo
; %bb.68:
	s_or_b32 exec_lo, exec_lo, s2
	v_and_b32_e32 v80, 0x7f800000, v71
	s_delay_alu instid0(VALU_DEP_1) | instskip(SKIP_1) | instid1(SALU_CYCLE_1)
	v_cmp_ne_u32_e32 vcc_lo, 0x7f800000, v80
                                        ; implicit-def: $vgpr80
	s_and_saveexec_b32 s2, vcc_lo
	s_xor_b32 s2, exec_lo, s2
; %bb.69:
	v_bfe_u32 v80, v71, 16, 1
	s_delay_alu instid0(VALU_DEP_1)
	v_add3_u32 v80, v71, v80, 0x7fff
                                        ; implicit-def: $vgpr71
; %bb.70:
	s_and_not1_saveexec_b32 s2, s2
; %bb.71:
	v_and_b32_e32 v80, 0xffff, v71
	v_or_b32_e32 v84, 0x10000, v71
	s_delay_alu instid0(VALU_DEP_2) | instskip(NEXT) | instid1(VALU_DEP_2)
	v_cmp_eq_u32_e32 vcc_lo, 0, v80
	v_cndmask_b32_e32 v80, v84, v71, vcc_lo
; %bb.72:
	s_or_b32 exec_lo, exec_lo, s2
	v_and_b32_e32 v71, 0x7f800000, v66
	s_delay_alu instid0(VALU_DEP_1) | instskip(SKIP_1) | instid1(SALU_CYCLE_1)
	v_cmp_ne_u32_e32 vcc_lo, 0x7f800000, v71
                                        ; implicit-def: $vgpr71
	s_and_saveexec_b32 s2, vcc_lo
	s_xor_b32 s2, exec_lo, s2
; %bb.73:
	v_bfe_u32 v71, v66, 16, 1
	s_delay_alu instid0(VALU_DEP_1)
	v_add3_u32 v71, v66, v71, 0x7fff
                                        ; implicit-def: $vgpr66
; %bb.74:
	s_and_not1_saveexec_b32 s2, s2
; %bb.75:
	v_and_b32_e32 v71, 0xffff, v66
	v_or_b32_e32 v84, 0x10000, v66
	s_delay_alu instid0(VALU_DEP_2) | instskip(NEXT) | instid1(VALU_DEP_2)
	v_cmp_eq_u32_e32 vcc_lo, 0, v71
	v_cndmask_b32_e32 v71, v84, v66, vcc_lo
; %bb.76:
	s_or_b32 exec_lo, exec_lo, s2
	s_delay_alu instid0(VALU_DEP_1)
	v_perm_b32 v87, v71, v80, 0x7060302
	v_perm_b32 v86, v79, v83, 0x7060302
	;; [unrolled: 1-line block ×4, first 2 shown]
	v_lshl_or_b32 v83, v67, 11, v81
	ds_store_b128 v77, v[84:87] offset:1024
	s_waitcnt lgkmcnt(0)
	s_barrier
	buffer_gl0_inv
	ds_load_b128 v[84:87], v83
	ds_load_b128 v[88:91], v83 offset:16
	s_waitcnt lgkmcnt(1)
	v_lshrrev_b32_e32 v70, 16, v87
	s_waitcnt lgkmcnt(0)
	v_lshrrev_b32_e32 v71, 16, v88
	v_lshlrev_b32_e32 v79, 2, v65
	v_lshrrev_b32_e32 v65, 16, v84
	v_lshrrev_b32_e32 v66, 16, v85
	v_lshrrev_b32_e32 v72, 16, v89
	v_lshrrev_b32_e32 v67, 16, v86
	v_cmp_eq_u32_e32 vcc_lo, 1, v79
	v_lshrrev_b32_e32 v100, 16, v90
	v_lshrrev_b32_e32 v101, 16, v91
	v_cndmask_b32_e32 v92, v88, v71, vcc_lo
	v_or_b32_e32 v80, 1, v79
	v_cndmask_b32_e32 v82, v84, v65, vcc_lo
	v_cmp_eq_u32_e64 s3, 2, v79
	v_cmp_eq_u32_e64 s6, 3, v79
	v_cmp_eq_u32_e64 s8, 4, v79
	v_cmp_eq_u32_e64 s2, 1, v80
	v_cmp_eq_u32_e64 s5, 2, v80
	v_cndmask_b32_e64 v82, v82, v85, s3
	v_cndmask_b32_e64 v92, v92, v89, s3
	v_cmp_eq_u32_e64 s7, 3, v80
	v_cndmask_b32_e64 v93, v84, v65, s2
	v_or_b32_e32 v78, 2, v79
	v_cndmask_b32_e64 v82, v82, v66, s6
	v_cndmask_b32_e64 v92, v92, v72, s6
	;; [unrolled: 1-line block ×4, first 2 shown]
	v_cmp_eq_u32_e64 s9, 5, v79
	v_cndmask_b32_e64 v82, v82, v86, s8
	v_cndmask_b32_e64 v92, v92, v90, s8
	v_cmp_eq_u32_e64 s10, 4, v80
	v_cndmask_b32_e64 v93, v93, v66, s7
	v_cmp_eq_u32_e64 s4, 1, v78
	v_cndmask_b32_e64 v94, v94, v89, s5
	v_cndmask_b32_e64 v82, v82, v67, s9
	v_cmp_eq_u32_e64 s11, 6, v79
	v_cndmask_b32_e64 v93, v93, v86, s10
	;; [unrolled: 3-line block ×3, first 2 shown]
	v_cndmask_b32_e64 v94, v94, v72, s7
	v_cndmask_b32_e64 v82, v82, v87, s11
	v_cmp_eq_u32_e64 s13, 7, v79
	v_cndmask_b32_e64 v93, v93, v67, s12
	v_cndmask_b32_e64 v92, v92, v91, s11
	v_cmp_eq_u32_e64 s15, 6, v80
	v_cmp_eq_u32_e64 s16, 2, v78
	v_cndmask_b32_e64 v94, v94, v90, s10
	v_cndmask_b32_e64 v102, v82, v70, s13
	;; [unrolled: 1-line block ×6, first 2 shown]
	v_cmp_eq_u32_e64 s17, 7, v80
	v_cmp_eq_u32_e64 s18, 3, v78
	;; [unrolled: 1-line block ×4, first 2 shown]
	v_cndmask_b32_e64 v92, v92, v89, s16
	v_cndmask_b32_e64 v104, v93, v70, s17
	;; [unrolled: 1-line block ×4, first 2 shown]
	v_or_b32_e32 v82, 3, v79
	v_cndmask_b32_e64 v97, v92, v72, s18
	v_cmp_eq_u32_e64 s23, 6, v78
	v_cndmask_b32_e64 v105, v93, v91, s15
	v_cndmask_b32_e64 v96, v94, v86, s19
	v_cmp_eq_u32_e64 s20, 1, v82
	ds_load_b128 v[92:95], v83 offset:1024
	v_cmp_eq_u32_e64 s22, 2, v82
	v_cmp_eq_u32_e64 s24, 3, v82
	v_cndmask_b32_e64 v106, v96, v67, s21
	v_cndmask_b32_e64 v65, v84, v65, s20
	;; [unrolled: 1-line block ×3, first 2 shown]
	ds_load_b128 v[96:99], v83 offset:1040
	v_cndmask_b32_e64 v71, v88, v71, s20
	v_cmp_eq_u32_e64 s25, 4, v82
	v_cndmask_b32_e64 v65, v65, v85, s22
	v_cmp_eq_u32_e64 s27, 5, v82
	v_cmp_eq_u32_e64 s28, 6, v82
	v_cndmask_b32_e64 v71, v71, v89, s22
	v_cndmask_b32_e64 v84, v84, v100, s21
	;; [unrolled: 1-line block ×4, first 2 shown]
	v_cmp_eq_u32_e64 s26, 7, v78
	v_cndmask_b32_e64 v71, v71, v72, s24
	v_cndmask_b32_e64 v84, v84, v91, s23
	;; [unrolled: 1-line block ×3, first 2 shown]
	s_waitcnt lgkmcnt(1)
	v_lshrrev_b32_e32 v72, 16, v92
	v_lshrrev_b32_e32 v88, 16, v93
	v_cndmask_b32_e64 v71, v71, v90, s25
	v_cndmask_b32_e64 v66, v66, v70, s26
	;; [unrolled: 1-line block ×6, first 2 shown]
	s_waitcnt lgkmcnt(0)
	v_lshrrev_b32_e32 v71, 16, v96
	v_cndmask_b32_e64 v65, v65, v87, s28
	v_cndmask_b32_e64 v87, v89, v93, s5
	v_lshrrev_b32_e32 v100, 16, v98
	v_cndmask_b32_e64 v67, v67, v91, s28
	v_cndmask_b32_e32 v86, v92, v72, vcc_lo
	v_cndmask_b32_e32 v90, v96, v71, vcc_lo
	v_cmp_eq_u32_e32 vcc_lo, 7, v82
	v_cndmask_b32_e64 v87, v87, v88, s7
	v_lshrrev_b32_e32 v91, 16, v94
	v_cndmask_b32_e64 v85, v105, v101, s17
	v_cndmask_b32_e64 v89, v90, v97, s3
	v_cndmask_b32_e32 v67, v67, v101, vcc_lo
	v_cndmask_b32_e64 v86, v86, v93, s3
	v_lshrrev_b32_e32 v90, 16, v97
	v_cndmask_b32_e32 v65, v65, v70, vcc_lo
	v_cndmask_b32_e64 v70, v87, v94, s10
	v_cndmask_b32_e64 v101, v96, v71, s4
	;; [unrolled: 1-line block ×4, first 2 shown]
	v_perm_b32 v87, v67, v65, 0x5040100
	v_cndmask_b32_e64 v65, v70, v91, s12
	v_lshrrev_b32_e32 v70, 16, v95
	v_cndmask_b32_e64 v86, v86, v94, s8
	v_cndmask_b32_e64 v89, v89, v98, s8
	v_perm_b32 v85, v85, v104, 0x5040100
	v_cndmask_b32_e64 v65, v65, v95, s15
	s_delay_alu instid0(VALU_DEP_4) | instskip(NEXT) | instid1(VALU_DEP_4)
	v_cndmask_b32_e64 v86, v86, v91, s9
	v_cndmask_b32_e64 v89, v89, v100, s9
	s_delay_alu instid0(VALU_DEP_3) | instskip(NEXT) | instid1(VALU_DEP_3)
	v_cndmask_b32_e64 v65, v65, v70, s17
	v_cndmask_b32_e64 v67, v86, v95, s11
	v_perm_b32 v86, v84, v66, 0x5040100
	v_lshrrev_b32_e32 v84, 16, v99
	s_delay_alu instid0(VALU_DEP_3)
	v_cndmask_b32_e64 v66, v67, v70, s13
	v_cndmask_b32_e64 v67, v89, v99, s11
	;; [unrolled: 1-line block ×33, first 2 shown]
	v_cndmask_b32_e32 v70, v72, v70, vcc_lo
	v_cndmask_b32_e32 v72, v88, v84, vcc_lo
	v_cndmask_b32_e64 v88, v90, v84, s26
	v_cndmask_b32_e64 v71, v71, v84, s17
	v_perm_b32 v84, v103, v102, 0x5040100
	s_lshl_b32 s7, s35, 1
	v_perm_b32 v91, v72, v70, 0x5040100
	v_perm_b32 v90, v88, v89, 0x5040100
	;; [unrolled: 1-line block ×4, first 2 shown]
	s_mov_b32 s2, exec_lo
	ds_store_b128 v77, v[84:87]
	ds_store_b128 v77, v[88:91] offset:1024
	v_cmpx_gt_u32_e32 2, v0
	s_cbranch_execz .LBB1727_78
; %bb.77:
	v_or_b32_e32 v65, s31, v0
	s_load_b128 s[8:11], s[0:1], 0x58
	s_delay_alu instid0(VALU_DEP_1) | instskip(NEXT) | instid1(VALU_DEP_1)
	v_mad_u64_u32 v[66:67], null, s7, s30, v[65:66]
	v_mad_u64_u32 v[70:71], null, v66, s34, s[14:15]
	s_delay_alu instid0(VALU_DEP_1) | instskip(NEXT) | instid1(VALU_DEP_1)
	v_ashrrev_i32_e32 v71, 31, v70
	v_lshlrev_b64 v[65:66], 2, v[70:71]
	s_waitcnt lgkmcnt(0)
	s_delay_alu instid0(VALU_DEP_1) | instskip(NEXT) | instid1(VALU_DEP_2)
	v_add_co_u32 v70, vcc_lo, s10, v65
	v_add_co_ci_u32_e32 v71, vcc_lo, s11, v66, vcc_lo
	v_add_co_u32 v65, vcc_lo, s8, v65
	v_add_co_ci_u32_e32 v66, vcc_lo, s9, v66, vcc_lo
	global_store_b32 v[70:71], v68, off
	global_store_b32 v[65:66], v69, off
.LBB1727_78:
	s_or_b32 exec_lo, exec_lo, s2
	s_waitcnt lgkmcnt(0)
	s_waitcnt_vscnt null, 0x0
	s_barrier
	buffer_gl0_inv
	ds_load_b128 v[84:87], v81
	ds_load_b128 v[88:91], v81 offset:16
	ds_load_b128 v[96:99], v81 offset:2064
	;; [unrolled: 1-line block ×3, first 2 shown]
	v_mov_b32_e32 v65, 0
	ds_load_b128 v[104:107], v81 offset:4112
	ds_load_b128 v[100:103], v81 offset:4096
	;; [unrolled: 1-line block ×4, first 2 shown]
	v_mov_b32_e32 v66, v65
	v_mov_b32_e32 v67, v65
	;; [unrolled: 1-line block ×7, first 2 shown]
	s_waitcnt lgkmcnt(6)
	s_delay_alu instid0(VALU_DEP_1)
	v_wmma_f32_16x16x16_bf16 v[65:72], v[57:64], v[84:91], v[65:72]
	ds_load_b128 v[61:64], v81 offset:8208
	ds_load_b128 v[57:60], v81 offset:8192
	s_waitcnt lgkmcnt(6)
	v_wmma_f32_16x16x16_bf16 v[65:72], v[41:48], v[92:99], v[65:72]
	ds_load_b128 v[45:48], v81 offset:10256
	ds_load_b128 v[41:44], v81 offset:10240
	s_waitcnt lgkmcnt(6)
	v_wmma_f32_16x16x16_bf16 v[65:72], v[33:40], v[100:107], v[65:72]
	ds_load_b128 v[37:40], v81 offset:12304
	ds_load_b128 v[33:36], v81 offset:12288
	s_waitcnt lgkmcnt(6)
	v_wmma_f32_16x16x16_bf16 v[65:72], v[25:32], v[108:115], v[65:72]
	ds_load_b128 v[29:32], v81 offset:14352
	ds_load_b128 v[25:28], v81 offset:14336
	s_waitcnt lgkmcnt(6)
	v_wmma_f32_16x16x16_bf16 v[65:72], v[1:8], v[57:64], v[65:72]
	s_waitcnt lgkmcnt(4)
	s_delay_alu instid0(VALU_DEP_1) | instskip(SKIP_1) | instid1(VALU_DEP_1)
	v_wmma_f32_16x16x16_bf16 v[65:72], v[9:16], v[41:48], v[65:72]
	s_waitcnt lgkmcnt(2)
	v_wmma_f32_16x16x16_bf16 v[65:72], v[17:24], v[33:40], v[65:72]
	s_waitcnt lgkmcnt(0)
	s_delay_alu instid0(VALU_DEP_1) | instskip(NEXT) | instid1(VALU_DEP_1)
	v_wmma_f32_16x16x16_bf16 v[65:72], v[49:56], v[25:32], v[65:72]
	v_and_b32_e32 v1, 0x7f800000, v65
	s_delay_alu instid0(VALU_DEP_1) | instskip(SKIP_1) | instid1(SALU_CYCLE_1)
	v_cmp_ne_u32_e32 vcc_lo, 0x7f800000, v1
                                        ; implicit-def: $vgpr1
	s_and_saveexec_b32 s2, vcc_lo
	s_xor_b32 s2, exec_lo, s2
; %bb.79:
	v_bfe_u32 v1, v65, 16, 1
	s_delay_alu instid0(VALU_DEP_1)
	v_add3_u32 v1, v65, v1, 0x7fff
; %bb.80:
	s_and_not1_saveexec_b32 s2, s2
; %bb.81:
	v_and_b32_e32 v1, 0xffff, v65
	v_or_b32_e32 v2, 0x10000, v65
	s_delay_alu instid0(VALU_DEP_2) | instskip(NEXT) | instid1(VALU_DEP_2)
	v_cmp_eq_u32_e32 vcc_lo, 0, v1
	v_cndmask_b32_e32 v1, v2, v65, vcc_lo
; %bb.82:
	s_or_b32 exec_lo, exec_lo, s2
	v_and_b32_e32 v2, 0x7f800000, v66
	s_delay_alu instid0(VALU_DEP_1) | instskip(SKIP_1) | instid1(SALU_CYCLE_1)
	v_cmp_ne_u32_e32 vcc_lo, 0x7f800000, v2
                                        ; implicit-def: $vgpr2
	s_and_saveexec_b32 s2, vcc_lo
	s_xor_b32 s2, exec_lo, s2
; %bb.83:
	v_bfe_u32 v2, v66, 16, 1
	s_delay_alu instid0(VALU_DEP_1)
	v_add3_u32 v2, v66, v2, 0x7fff
; %bb.84:
	s_and_not1_saveexec_b32 s2, s2
; %bb.85:
	v_and_b32_e32 v2, 0xffff, v66
	v_or_b32_e32 v3, 0x10000, v66
	s_delay_alu instid0(VALU_DEP_2) | instskip(NEXT) | instid1(VALU_DEP_2)
	v_cmp_eq_u32_e32 vcc_lo, 0, v2
	v_cndmask_b32_e32 v2, v3, v66, vcc_lo
; %bb.86:
	s_or_b32 exec_lo, exec_lo, s2
	v_and_b32_e32 v3, 0x7f800000, v67
	s_delay_alu instid0(VALU_DEP_1) | instskip(SKIP_1) | instid1(SALU_CYCLE_1)
	v_cmp_ne_u32_e32 vcc_lo, 0x7f800000, v3
                                        ; implicit-def: $vgpr3
	s_and_saveexec_b32 s2, vcc_lo
	s_xor_b32 s2, exec_lo, s2
; %bb.87:
	v_bfe_u32 v3, v67, 16, 1
	s_delay_alu instid0(VALU_DEP_1)
	v_add3_u32 v3, v67, v3, 0x7fff
; %bb.88:
	s_and_not1_saveexec_b32 s2, s2
; %bb.89:
	v_and_b32_e32 v3, 0xffff, v67
	v_or_b32_e32 v4, 0x10000, v67
	s_delay_alu instid0(VALU_DEP_2) | instskip(NEXT) | instid1(VALU_DEP_2)
	v_cmp_eq_u32_e32 vcc_lo, 0, v3
	v_cndmask_b32_e32 v3, v4, v67, vcc_lo
; %bb.90:
	s_or_b32 exec_lo, exec_lo, s2
	v_and_b32_e32 v4, 0x7f800000, v68
	s_delay_alu instid0(VALU_DEP_1) | instskip(SKIP_1) | instid1(SALU_CYCLE_1)
	v_cmp_ne_u32_e32 vcc_lo, 0x7f800000, v4
                                        ; implicit-def: $vgpr4
	s_and_saveexec_b32 s2, vcc_lo
	s_xor_b32 s2, exec_lo, s2
; %bb.91:
	v_bfe_u32 v4, v68, 16, 1
	s_delay_alu instid0(VALU_DEP_1)
	v_add3_u32 v4, v68, v4, 0x7fff
; %bb.92:
	s_and_not1_saveexec_b32 s2, s2
; %bb.93:
	v_and_b32_e32 v4, 0xffff, v68
	v_or_b32_e32 v5, 0x10000, v68
	s_delay_alu instid0(VALU_DEP_2) | instskip(NEXT) | instid1(VALU_DEP_2)
	v_cmp_eq_u32_e32 vcc_lo, 0, v4
	v_cndmask_b32_e32 v4, v5, v68, vcc_lo
; %bb.94:
	s_or_b32 exec_lo, exec_lo, s2
	v_and_b32_e32 v5, 0x7f800000, v69
	s_delay_alu instid0(VALU_DEP_1) | instskip(SKIP_1) | instid1(SALU_CYCLE_1)
	v_cmp_ne_u32_e32 vcc_lo, 0x7f800000, v5
                                        ; implicit-def: $vgpr5
	s_and_saveexec_b32 s2, vcc_lo
	s_xor_b32 s2, exec_lo, s2
; %bb.95:
	v_bfe_u32 v5, v69, 16, 1
	s_delay_alu instid0(VALU_DEP_1)
	v_add3_u32 v5, v69, v5, 0x7fff
; %bb.96:
	s_and_not1_saveexec_b32 s2, s2
; %bb.97:
	v_and_b32_e32 v5, 0xffff, v69
	v_or_b32_e32 v6, 0x10000, v69
	s_delay_alu instid0(VALU_DEP_2) | instskip(NEXT) | instid1(VALU_DEP_2)
	v_cmp_eq_u32_e32 vcc_lo, 0, v5
	v_cndmask_b32_e32 v5, v6, v69, vcc_lo
; %bb.98:
	s_or_b32 exec_lo, exec_lo, s2
	v_and_b32_e32 v6, 0x7f800000, v70
	s_delay_alu instid0(VALU_DEP_1) | instskip(SKIP_1) | instid1(SALU_CYCLE_1)
	v_cmp_ne_u32_e32 vcc_lo, 0x7f800000, v6
                                        ; implicit-def: $vgpr6
	s_and_saveexec_b32 s2, vcc_lo
	s_xor_b32 s2, exec_lo, s2
; %bb.99:
	v_bfe_u32 v6, v70, 16, 1
	s_delay_alu instid0(VALU_DEP_1)
	v_add3_u32 v6, v70, v6, 0x7fff
; %bb.100:
	s_and_not1_saveexec_b32 s2, s2
; %bb.101:
	v_and_b32_e32 v6, 0xffff, v70
	v_or_b32_e32 v7, 0x10000, v70
	s_delay_alu instid0(VALU_DEP_2) | instskip(NEXT) | instid1(VALU_DEP_2)
	v_cmp_eq_u32_e32 vcc_lo, 0, v6
	v_cndmask_b32_e32 v6, v7, v70, vcc_lo
; %bb.102:
	s_or_b32 exec_lo, exec_lo, s2
	v_and_b32_e32 v7, 0x7f800000, v71
	s_delay_alu instid0(VALU_DEP_1) | instskip(SKIP_1) | instid1(SALU_CYCLE_1)
	v_cmp_ne_u32_e32 vcc_lo, 0x7f800000, v7
                                        ; implicit-def: $vgpr7
	s_and_saveexec_b32 s2, vcc_lo
	s_xor_b32 s2, exec_lo, s2
; %bb.103:
	v_bfe_u32 v7, v71, 16, 1
	s_delay_alu instid0(VALU_DEP_1)
	v_add3_u32 v7, v71, v7, 0x7fff
; %bb.104:
	s_and_not1_saveexec_b32 s2, s2
; %bb.105:
	v_and_b32_e32 v7, 0xffff, v71
	v_or_b32_e32 v8, 0x10000, v71
	s_delay_alu instid0(VALU_DEP_2) | instskip(NEXT) | instid1(VALU_DEP_2)
	v_cmp_eq_u32_e32 vcc_lo, 0, v7
	v_cndmask_b32_e32 v7, v8, v71, vcc_lo
; %bb.106:
	s_or_b32 exec_lo, exec_lo, s2
	v_and_b32_e32 v8, 0x7f800000, v72
	s_delay_alu instid0(VALU_DEP_1) | instskip(SKIP_1) | instid1(SALU_CYCLE_1)
	v_cmp_ne_u32_e32 vcc_lo, 0x7f800000, v8
                                        ; implicit-def: $vgpr8
	s_and_saveexec_b32 s2, vcc_lo
	s_xor_b32 s2, exec_lo, s2
; %bb.107:
	v_bfe_u32 v8, v72, 16, 1
	s_delay_alu instid0(VALU_DEP_1)
	v_add3_u32 v8, v72, v8, 0x7fff
                                        ; implicit-def: $vgpr65_vgpr66_vgpr67_vgpr68_vgpr69_vgpr70_vgpr71_vgpr72
; %bb.108:
	s_and_not1_saveexec_b32 s2, s2
; %bb.109:
	v_and_b32_e32 v8, 0xffff, v72
	v_or_b32_e32 v9, 0x10000, v72
	s_delay_alu instid0(VALU_DEP_2) | instskip(NEXT) | instid1(VALU_DEP_2)
	v_cmp_eq_u32_e32 vcc_lo, 0, v8
	v_cndmask_b32_e32 v8, v9, v72, vcc_lo
; %bb.110:
	s_or_b32 exec_lo, exec_lo, s2
	s_delay_alu instid0(VALU_DEP_1)
	v_perm_b32 v7, v8, v7, 0x7060302
	v_perm_b32 v6, v6, v5, 0x7060302
	;; [unrolled: 1-line block ×4, first 2 shown]
	s_barrier
	buffer_gl0_inv
	v_cmp_eq_u32_e32 vcc_lo, 1, v79
	ds_store_b128 v77, v[4:7]
	s_waitcnt lgkmcnt(0)
	s_barrier
	buffer_gl0_inv
	ds_load_b128 v[1:4], v83
	ds_load_b128 v[5:8], v83 offset:16
	v_cmp_eq_u32_e64 s2, 1, v80
	v_cmp_eq_u32_e64 s3, 2, v79
	;; [unrolled: 1-line block ×5, first 2 shown]
	s_waitcnt lgkmcnt(1)
	v_lshrrev_b32_e32 v9, 16, v1
	s_waitcnt lgkmcnt(0)
	v_lshrrev_b32_e32 v13, 16, v5
	v_lshrrev_b32_e32 v10, 16, v2
	;; [unrolled: 1-line block ×4, first 2 shown]
	v_cndmask_b32_e64 v19, v1, v9, s2
	v_cndmask_b32_e32 v18, v5, v13, vcc_lo
	v_cndmask_b32_e64 v20, v5, v13, s2
	v_cndmask_b32_e32 v17, v1, v9, vcc_lo
	v_cmp_eq_u32_e32 vcc_lo, 2, v80
	v_lshrrev_b32_e32 v15, 16, v7
	v_cmp_eq_u32_e64 s2, 1, v78
	v_lshrrev_b32_e32 v12, 16, v4
	v_lshrrev_b32_e32 v16, 16, v8
	v_cndmask_b32_e32 v20, v20, v6, vcc_lo
	v_cndmask_b32_e64 v17, v17, v2, s3
	v_cndmask_b32_e32 v19, v19, v2, vcc_lo
	v_cndmask_b32_e64 v18, v18, v6, s3
	v_cmp_eq_u32_e32 vcc_lo, 4, v79
	v_cmp_eq_u32_e64 s3, 3, v80
	v_cndmask_b32_e64 v17, v17, v10, s4
	v_cndmask_b32_e64 v21, v1, v9, s2
	;; [unrolled: 1-line block ×5, first 2 shown]
	v_cndmask_b32_e32 v17, v17, v3, vcc_lo
	v_cndmask_b32_e64 v20, v20, v14, s3
	v_cndmask_b32_e32 v18, v18, v7, vcc_lo
	v_cmp_eq_u32_e32 vcc_lo, 4, v80
	v_cmp_eq_u32_e64 s3, 5, v80
	v_cmp_eq_u32_e64 s2, 2, v82
	v_cndmask_b32_e64 v21, v21, v2, s6
	v_cmp_eq_u32_e64 s4, 5, v79
	v_cndmask_b32_e32 v19, v19, v3, vcc_lo
	v_cndmask_b32_e32 v20, v20, v7, vcc_lo
	v_cmp_eq_u32_e32 vcc_lo, 6, v80
	s_delay_alu instid0(VALU_DEP_4) | instskip(NEXT) | instid1(VALU_DEP_4)
	v_cndmask_b32_e64 v17, v17, v11, s4
	v_cndmask_b32_e64 v19, v19, v11, s3
	s_delay_alu instid0(VALU_DEP_4) | instskip(SKIP_1) | instid1(VALU_DEP_3)
	v_cndmask_b32_e64 v20, v20, v15, s3
	v_cmp_eq_u32_e64 s3, 1, v82
	v_cndmask_b32_e32 v19, v19, v4, vcc_lo
	v_cndmask_b32_e64 v18, v18, v15, s4
	s_delay_alu instid0(VALU_DEP_3)
	v_cndmask_b32_e64 v1, v1, v9, s3
	v_cndmask_b32_e64 v5, v5, v13, s3
	v_cmp_eq_u32_e64 s3, 3, v78
	v_cndmask_b32_e64 v13, v22, v6, s6
	v_cmp_eq_u32_e64 s6, 3, v82
	v_cndmask_b32_e64 v1, v1, v2, s2
	v_cndmask_b32_e64 v2, v5, v6, s2
	;; [unrolled: 1-line block ×3, first 2 shown]
	v_cmp_eq_u32_e64 s2, 4, v78
	v_cndmask_b32_e64 v6, v13, v14, s3
	v_cndmask_b32_e64 v1, v1, v10, s6
	v_cmp_eq_u32_e64 s3, 4, v82
	v_cndmask_b32_e64 v2, v2, v14, s6
	v_cndmask_b32_e64 v5, v9, v3, s2
	;; [unrolled: 3-line block ×3, first 2 shown]
	v_cndmask_b32_e64 v2, v2, v7, s3
	v_cmp_eq_u32_e64 s2, 5, v82
	v_cmp_eq_u32_e64 s4, 6, v79
	v_cndmask_b32_e64 v5, v5, v11, s6
	v_cmp_eq_u32_e64 s3, 6, v78
	v_cndmask_b32_e64 v3, v6, v15, s6
	v_cndmask_b32_e64 v1, v1, v11, s2
	v_cmp_eq_u32_e64 s6, 6, v82
	v_cndmask_b32_e64 v2, v2, v15, s2
	v_cndmask_b32_e64 v17, v17, v4, s4
	v_cndmask_b32_e64 v18, v18, v8, s4
	v_cmp_eq_u32_e64 s4, 7, v79
	v_cndmask_b32_e64 v5, v5, v4, s3
	;; [unrolled: 4-line block ×3, first 2 shown]
	v_cmp_eq_u32_e64 s3, 7, v78
	v_cndmask_b32_e32 v4, v20, v8, vcc_lo
	v_cndmask_b32_e64 v17, v17, v12, s4
	v_cndmask_b32_e64 v19, v19, v12, s5
	;; [unrolled: 1-line block ×8, first 2 shown]
	s_delay_alu instid0(VALU_DEP_4) | instskip(NEXT) | instid1(VALU_DEP_4)
	v_perm_b32 v4, v2, v1, 0x5040100
	v_perm_b32 v3, v3, v5, 0x5040100
	s_delay_alu instid0(VALU_DEP_4) | instskip(NEXT) | instid1(VALU_DEP_4)
	v_perm_b32 v2, v6, v19, 0x5040100
	v_perm_b32 v1, v7, v17, 0x5040100
	ds_store_b128 v77, v[1:4]
	s_waitcnt lgkmcnt(0)
	s_barrier
	buffer_gl0_inv
	s_and_saveexec_b32 s2, s29
	s_cbranch_execz .LBB1727_2
; %bb.111:
	s_load_b64 s[0:1], s[0:1], 0x68
	v_lshlrev_b32_e32 v0, 10, v0
	s_lshl_b32 s2, s34, 6
	v_lshlrev_b32_e32 v1, 4, v76
	v_mul_lo_u32 v4, s2, v75
	s_mul_i32 s3, s2, s30
	v_and_b32_e32 v0, 0x3800, v0
	s_mul_i32 s2, s3, s7
	s_delay_alu instid0(SALU_CYCLE_1) | instskip(NEXT) | instid1(VALU_DEP_1)
	s_ashr_i32 s3, s2, 31
	v_or3_b32 v0, v0, v74, v1
	s_lshl_b64 s[2:3], s[2:3], 1
	s_delay_alu instid0(VALU_DEP_3)
	v_ashrrev_i32_e32 v5, 31, v4
	ds_load_b128 v[0:3], v0
	v_lshlrev_b64 v[4:5], 1, v[4:5]
	s_waitcnt lgkmcnt(0)
	s_add_u32 s2, s0, s2
	s_addc_u32 s3, s1, s3
	s_lshl_b32 s0, s14, 6
	s_delay_alu instid0(SALU_CYCLE_1) | instskip(NEXT) | instid1(SALU_CYCLE_1)
	s_ashr_i32 s1, s0, 31
	s_lshl_b64 s[0:1], s[0:1], 1
	s_delay_alu instid0(SALU_CYCLE_1) | instskip(SKIP_3) | instid1(VALU_DEP_2)
	s_add_u32 s0, s2, s0
	s_addc_u32 s1, s3, s1
	v_add_co_u32 v4, vcc_lo, s0, v4
	v_add_co_ci_u32_e32 v5, vcc_lo, s1, v5, vcc_lo
	v_add_co_u32 v4, vcc_lo, v4, v73
	s_delay_alu instid0(VALU_DEP_2)
	v_add_co_ci_u32_e32 v5, vcc_lo, 0, v5, vcc_lo
	global_store_b128 v[4:5], v[0:3], off
	s_nop 0
	s_sendmsg sendmsg(MSG_DEALLOC_VGPRS)
	s_endpgm
	.section	.rodata,"a",@progbits
	.p2align	6, 0x0
	.amdhsa_kernel _Z39paged_attention_ll4mi_QKV_mfma16_kernelI14__hip_bfloat16hLN4vllm18Fp8KVCacheDataTypeE1ES0_Li16ELi64ELi256ELb0ELi2EL8MFMAType0EEvPKT_PKT0_S9_ifPKiSB_SB_iPKfiiiPfSE_PS4_PT2_iSD_SD_
		.amdhsa_group_segment_fixed_size 17472
		.amdhsa_private_segment_fixed_size 0
		.amdhsa_kernarg_size 400
		.amdhsa_user_sgpr_count 13
		.amdhsa_user_sgpr_dispatch_ptr 0
		.amdhsa_user_sgpr_queue_ptr 0
		.amdhsa_user_sgpr_kernarg_segment_ptr 1
		.amdhsa_user_sgpr_dispatch_id 0
		.amdhsa_user_sgpr_private_segment_size 0
		.amdhsa_wavefront_size32 1
		.amdhsa_uses_dynamic_stack 0
		.amdhsa_enable_private_segment 0
		.amdhsa_system_sgpr_workgroup_id_x 1
		.amdhsa_system_sgpr_workgroup_id_y 1
		.amdhsa_system_sgpr_workgroup_id_z 1
		.amdhsa_system_sgpr_workgroup_info 0
		.amdhsa_system_vgpr_workitem_id 0
		.amdhsa_next_free_vgpr 125
		.amdhsa_next_free_sgpr 38
		.amdhsa_reserve_vcc 1
		.amdhsa_float_round_mode_32 0
		.amdhsa_float_round_mode_16_64 0
		.amdhsa_float_denorm_mode_32 3
		.amdhsa_float_denorm_mode_16_64 3
		.amdhsa_dx10_clamp 1
		.amdhsa_ieee_mode 1
		.amdhsa_fp16_overflow 0
		.amdhsa_workgroup_processor_mode 1
		.amdhsa_memory_ordered 1
		.amdhsa_forward_progress 0
		.amdhsa_shared_vgpr_count 0
		.amdhsa_exception_fp_ieee_invalid_op 0
		.amdhsa_exception_fp_denorm_src 0
		.amdhsa_exception_fp_ieee_div_zero 0
		.amdhsa_exception_fp_ieee_overflow 0
		.amdhsa_exception_fp_ieee_underflow 0
		.amdhsa_exception_fp_ieee_inexact 0
		.amdhsa_exception_int_div_zero 0
	.end_amdhsa_kernel
	.section	.text._Z39paged_attention_ll4mi_QKV_mfma16_kernelI14__hip_bfloat16hLN4vllm18Fp8KVCacheDataTypeE1ES0_Li16ELi64ELi256ELb0ELi2EL8MFMAType0EEvPKT_PKT0_S9_ifPKiSB_SB_iPKfiiiPfSE_PS4_PT2_iSD_SD_,"axG",@progbits,_Z39paged_attention_ll4mi_QKV_mfma16_kernelI14__hip_bfloat16hLN4vllm18Fp8KVCacheDataTypeE1ES0_Li16ELi64ELi256ELb0ELi2EL8MFMAType0EEvPKT_PKT0_S9_ifPKiSB_SB_iPKfiiiPfSE_PS4_PT2_iSD_SD_,comdat
.Lfunc_end1727:
	.size	_Z39paged_attention_ll4mi_QKV_mfma16_kernelI14__hip_bfloat16hLN4vllm18Fp8KVCacheDataTypeE1ES0_Li16ELi64ELi256ELb0ELi2EL8MFMAType0EEvPKT_PKT0_S9_ifPKiSB_SB_iPKfiiiPfSE_PS4_PT2_iSD_SD_, .Lfunc_end1727-_Z39paged_attention_ll4mi_QKV_mfma16_kernelI14__hip_bfloat16hLN4vllm18Fp8KVCacheDataTypeE1ES0_Li16ELi64ELi256ELb0ELi2EL8MFMAType0EEvPKT_PKT0_S9_ifPKiSB_SB_iPKfiiiPfSE_PS4_PT2_iSD_SD_
                                        ; -- End function
	.section	.AMDGPU.csdata,"",@progbits
; Kernel info:
; codeLenInByte = 8492
; NumSgprs: 40
; NumVgprs: 125
; ScratchSize: 0
; MemoryBound: 0
; FloatMode: 240
; IeeeMode: 1
; LDSByteSize: 17472 bytes/workgroup (compile time only)
; SGPRBlocks: 4
; VGPRBlocks: 15
; NumSGPRsForWavesPerEU: 40
; NumVGPRsForWavesPerEU: 125
; Occupancy: 10
; WaveLimiterHint : 1
; COMPUTE_PGM_RSRC2:SCRATCH_EN: 0
; COMPUTE_PGM_RSRC2:USER_SGPR: 13
; COMPUTE_PGM_RSRC2:TRAP_HANDLER: 0
; COMPUTE_PGM_RSRC2:TGID_X_EN: 1
; COMPUTE_PGM_RSRC2:TGID_Y_EN: 1
; COMPUTE_PGM_RSRC2:TGID_Z_EN: 1
; COMPUTE_PGM_RSRC2:TIDIG_COMP_CNT: 0
	.section	.text._Z39paged_attention_ll4mi_QKV_mfma16_kernelI14__hip_bfloat16hLN4vllm18Fp8KVCacheDataTypeE1ES0_Li16ELi64ELi256ELb0ELi3EL8MFMAType0EEvPKT_PKT0_S9_ifPKiSB_SB_iPKfiiiPfSE_PS4_PT2_iSD_SD_,"axG",@progbits,_Z39paged_attention_ll4mi_QKV_mfma16_kernelI14__hip_bfloat16hLN4vllm18Fp8KVCacheDataTypeE1ES0_Li16ELi64ELi256ELb0ELi3EL8MFMAType0EEvPKT_PKT0_S9_ifPKiSB_SB_iPKfiiiPfSE_PS4_PT2_iSD_SD_,comdat
	.protected	_Z39paged_attention_ll4mi_QKV_mfma16_kernelI14__hip_bfloat16hLN4vllm18Fp8KVCacheDataTypeE1ES0_Li16ELi64ELi256ELb0ELi3EL8MFMAType0EEvPKT_PKT0_S9_ifPKiSB_SB_iPKfiiiPfSE_PS4_PT2_iSD_SD_ ; -- Begin function _Z39paged_attention_ll4mi_QKV_mfma16_kernelI14__hip_bfloat16hLN4vllm18Fp8KVCacheDataTypeE1ES0_Li16ELi64ELi256ELb0ELi3EL8MFMAType0EEvPKT_PKT0_S9_ifPKiSB_SB_iPKfiiiPfSE_PS4_PT2_iSD_SD_
	.globl	_Z39paged_attention_ll4mi_QKV_mfma16_kernelI14__hip_bfloat16hLN4vllm18Fp8KVCacheDataTypeE1ES0_Li16ELi64ELi256ELb0ELi3EL8MFMAType0EEvPKT_PKT0_S9_ifPKiSB_SB_iPKfiiiPfSE_PS4_PT2_iSD_SD_
	.p2align	8
	.type	_Z39paged_attention_ll4mi_QKV_mfma16_kernelI14__hip_bfloat16hLN4vllm18Fp8KVCacheDataTypeE1ES0_Li16ELi64ELi256ELb0ELi3EL8MFMAType0EEvPKT_PKT0_S9_ifPKiSB_SB_iPKfiiiPfSE_PS4_PT2_iSD_SD_,@function
_Z39paged_attention_ll4mi_QKV_mfma16_kernelI14__hip_bfloat16hLN4vllm18Fp8KVCacheDataTypeE1ES0_Li16ELi64ELi256ELb0ELi3EL8MFMAType0EEvPKT_PKT0_S9_ifPKiSB_SB_iPKfiiiPfSE_PS4_PT2_iSD_SD_: ; @_Z39paged_attention_ll4mi_QKV_mfma16_kernelI14__hip_bfloat16hLN4vllm18Fp8KVCacheDataTypeE1ES0_Li16ELi64ELi256ELb0ELi3EL8MFMAType0EEvPKT_PKT0_S9_ifPKiSB_SB_iPKfiiiPfSE_PS4_PT2_iSD_SD_
; %bb.0:
	s_load_b64 s[2:3], s[0:1], 0x30
	s_mov_b32 s34, s13
	s_waitcnt lgkmcnt(0)
	s_cmp_lg_u64 s[2:3], 0
	s_cselect_b32 s8, -1, 0
	s_ashr_i32 s35, s13, 31
	s_cmp_eq_u64 s[2:3], 0
	s_cbranch_scc1 .LBB1728_3
; %bb.1:
	s_lshl_b64 s[4:5], s[34:35], 2
	s_delay_alu instid0(SALU_CYCLE_1) | instskip(SKIP_4) | instid1(SALU_CYCLE_1)
	s_add_u32 s4, s2, s4
	s_addc_u32 s5, s3, s5
	s_load_b64 s[4:5], s[4:5], 0x0
	s_waitcnt lgkmcnt(0)
	s_sub_i32 s4, s5, s4
	s_cmp_eq_u32 s4, 1
	s_cselect_b32 s4, -1, 0
	s_delay_alu instid0(SALU_CYCLE_1)
	s_and_not1_b32 vcc_lo, exec_lo, s4
	s_cbranch_vccz .LBB1728_4
.LBB1728_2:
	s_nop 0
	s_sendmsg sendmsg(MSG_DEALLOC_VGPRS)
	s_endpgm
.LBB1728_3:
.LBB1728_4:
	s_load_b64 s[4:5], s[0:1], 0x28
	s_lshl_b64 s[6:7], s[34:35], 2
	s_waitcnt lgkmcnt(0)
	s_add_u32 s4, s4, s6
	s_addc_u32 s5, s5, s7
	s_lshl_b32 s12, s14, 8
	s_load_b32 s24, s[4:5], 0x0
	s_waitcnt lgkmcnt(0)
	s_cmp_ge_i32 s12, s24
	s_cbranch_scc1 .LBB1728_2
; %bb.5:
	s_clause 0x1
	s_load_b128 s[20:23], s[0:1], 0x8
	s_load_b64 s[4:5], s[0:1], 0x20
	s_and_not1_b32 vcc_lo, exec_lo, s8
	s_cbranch_vccnz .LBB1728_7
; %bb.6:
	s_add_u32 s2, s2, s6
	s_addc_u32 s3, s3, s7
	s_load_b32 s3, s[2:3], 0x0
	s_branch .LBB1728_8
.LBB1728_7:
	s_mov_b32 s3, s34
.LBB1728_8:
	s_load_b128 s[16:19], s[0:1], 0x48
	v_lshrrev_b32_e32 v66, 5, v0
	v_bfe_u32 v74, v0, 4, 1
	v_and_b32_e32 v65, 15, v0
	v_and_b32_e32 v67, 31, v0
	;; [unrolled: 1-line block ×3, first 2 shown]
	s_mul_i32 s31, s15, 3
	v_lshl_or_b32 v1, v66, 1, v74
	v_lshlrev_b32_e32 v2, 3, v65
	v_cmp_gt_u32_e64 s2, 8, v65
	s_delay_alu instid0(VALU_DEP_3) | instskip(NEXT) | instid1(VALU_DEP_3)
	v_cmp_gt_u32_e32 vcc_lo, 3, v1
	v_lshlrev_b32_e32 v73, 1, v2
	s_delay_alu instid0(VALU_DEP_3) | instskip(NEXT) | instid1(SALU_CYCLE_1)
	s_and_b32 s7, s2, vcc_lo
	s_and_saveexec_b32 s6, s7
	s_cbranch_execz .LBB1728_10
; %bb.9:
	s_load_b64 s[8:9], s[0:1], 0x0
	v_add_lshl_u32 v2, v1, s31, 6
	s_waitcnt lgkmcnt(0)
	s_mul_hi_i32 s11, s3, s16
	s_mul_i32 s10, s3, s16
	v_lshlrev_b32_e32 v6, 10, v65
	s_lshl_b64 s[10:11], s[10:11], 1
	v_ashrrev_i32_e32 v3, 31, v2
	v_lshlrev_b32_e32 v1, 6, v1
	v_lshlrev_b32_e32 v7, 10, v75
	v_and_b32_e32 v6, 0x3800, v6
	s_delay_alu instid0(VALU_DEP_4) | instskip(NEXT) | instid1(VALU_DEP_2)
	v_lshlrev_b64 v[2:3], 1, v[2:3]
	v_or3_b32 v1, v6, v7, v1
	s_add_u32 s3, s8, s10
	s_addc_u32 s7, s9, s11
	s_delay_alu instid0(VALU_DEP_2) | instskip(NEXT) | instid1(VALU_DEP_3)
	v_add_co_u32 v2, vcc_lo, s3, v2
	v_add_co_ci_u32_e32 v3, vcc_lo, s7, v3, vcc_lo
	s_delay_alu instid0(VALU_DEP_2) | instskip(NEXT) | instid1(VALU_DEP_2)
	v_add_co_u32 v2, vcc_lo, v2, v73
	v_add_co_ci_u32_e32 v3, vcc_lo, 0, v3, vcc_lo
	global_load_b128 v[2:5], v[2:3], off
	s_waitcnt vmcnt(0)
	ds_store_b128 v1, v[2:5]
.LBB1728_10:
	s_or_b32 exec_lo, exec_lo, s6
	v_and_b32_e32 v1, 0xef, v0
	s_waitcnt lgkmcnt(0)
	s_add_i32 s3, s24, 15
	s_clause 0x1
	s_load_b32 s6, s[0:1], 0x38
	s_load_b32 s19, s[0:1], 0x1c
	s_ashr_i32 s7, s3, 31
	v_add_nc_u32_e32 v1, s12, v1
	s_lshr_b32 s7, s7, 28
	s_waitcnt lgkmcnt(0)
	s_add_i32 s3, s3, s7
	s_barrier
	v_ashrrev_i32_e32 v2, 31, v1
	v_or_b32_e32 v3, 16, v1
	s_ashr_i32 s3, s3, 4
	v_cmp_gt_i32_e32 vcc_lo, s24, v1
	s_add_i32 s3, s3, -1
	v_lshrrev_b32_e32 v2, 28, v2
	buffer_gl0_inv
	s_mul_i32 s27, s15, s18
	v_add_nc_u32_e32 v4, v1, v2
	s_mul_i32 s6, s34, s6
	s_delay_alu instid0(SALU_CYCLE_1) | instskip(NEXT) | instid1(VALU_DEP_1)
	s_ashr_i32 s7, s6, 31
	v_ashrrev_i32_e32 v4, 4, v4
	v_add_nc_u32_e32 v2, v3, v2
	s_lshl_b64 s[6:7], s[6:7], 2
	s_delay_alu instid0(SALU_CYCLE_1) | instskip(NEXT) | instid1(VALU_DEP_2)
	s_add_u32 s26, s4, s6
	v_cndmask_b32_e32 v1, s3, v4, vcc_lo
	s_delay_alu instid0(VALU_DEP_2)
	v_ashrrev_i32_e32 v2, 4, v2
	v_cmp_gt_i32_e32 vcc_lo, s24, v3
	s_addc_u32 s25, s5, s7
	s_ashr_i32 s28, s27, 31
	s_add_u32 s13, s20, s27
	s_addc_u32 s15, s21, s28
	v_cndmask_b32_e32 v3, s3, v2, vcc_lo
	v_ashrrev_i32_e32 v2, 31, v1
	s_lshl_b32 s4, s14, 4
	s_delay_alu instid0(SALU_CYCLE_1) | instskip(NEXT) | instid1(VALU_DEP_2)
	s_ashr_i32 s5, s4, 31
	v_ashrrev_i32_e32 v4, 31, v3
	s_delay_alu instid0(VALU_DEP_2) | instskip(SKIP_1) | instid1(SALU_CYCLE_1)
	v_lshlrev_b64 v[1:2], 2, v[1:2]
	s_lshl_b64 s[4:5], s[4:5], 2
	s_add_u32 s4, s26, s4
	s_delay_alu instid0(VALU_DEP_2) | instskip(SKIP_1) | instid1(VALU_DEP_2)
	v_lshlrev_b64 v[3:4], 2, v[3:4]
	s_addc_u32 s5, s25, s5
	v_add_co_u32 v1, vcc_lo, s26, v1
	v_add_co_ci_u32_e32 v2, vcc_lo, s25, v2, vcc_lo
	s_delay_alu instid0(VALU_DEP_3) | instskip(NEXT) | instid1(VALU_DEP_4)
	v_add_co_u32 v3, vcc_lo, s26, v3
	v_add_co_ci_u32_e32 v4, vcc_lo, s25, v4, vcc_lo
	s_clause 0x1
	global_load_b32 v5, v[1:2], off
	global_load_b32 v7, v[3:4], off
	s_or_b32 s6, s12, 32
	v_lshlrev_b32_e32 v1, 4, v0
	s_ashr_i32 s7, s6, 4
	s_cmp_lt_i32 s6, s24
	s_cselect_b32 s6, s7, s3
	s_delay_alu instid0(VALU_DEP_1) | instskip(SKIP_1) | instid1(SALU_CYCLE_1)
	v_and_b32_e32 v1, 0xf0, v1
	s_ashr_i32 s7, s6, 31
	s_lshl_b64 s[6:7], s[6:7], 2
	s_delay_alu instid0(SALU_CYCLE_1)
	s_add_u32 s6, s26, s6
	s_addc_u32 s7, s25, s7
	s_or_b32 s8, s12, 64
	v_add_co_u32 v1, s13, s13, v1
	s_ashr_i32 s9, s8, 4
	s_cmp_lt_i32 s8, s24
	v_add_co_ci_u32_e64 v2, null, s15, 0, s13
	s_cselect_b32 s8, s9, s3
	s_delay_alu instid0(SALU_CYCLE_1) | instskip(NEXT) | instid1(SALU_CYCLE_1)
	s_ashr_i32 s9, s8, 31
	s_lshl_b64 s[8:9], s[8:9], 2
	s_delay_alu instid0(SALU_CYCLE_1) | instskip(SKIP_2) | instid1(SALU_CYCLE_1)
	s_add_u32 s8, s26, s8
	s_addc_u32 s9, s25, s9
	s_or_b32 s10, s12, 0x60
	s_ashr_i32 s11, s10, 4
	s_cmp_lt_i32 s10, s24
	s_cselect_b32 s10, s11, s3
	s_delay_alu instid0(SALU_CYCLE_1) | instskip(NEXT) | instid1(SALU_CYCLE_1)
	s_ashr_i32 s11, s10, 31
	s_lshl_b64 s[10:11], s[10:11], 2
	s_delay_alu instid0(SALU_CYCLE_1) | instskip(SKIP_2) | instid1(SALU_CYCLE_1)
	s_add_u32 s10, s26, s10
	s_addc_u32 s11, s25, s11
	s_or_b32 s16, s12, 0x80
	s_ashr_i32 s18, s16, 4
	s_cmp_lt_i32 s16, s24
	;; [unrolled: 10-line block ×3, first 2 shown]
	s_cselect_b32 s20, s18, s3
	s_delay_alu instid0(SALU_CYCLE_1) | instskip(NEXT) | instid1(SALU_CYCLE_1)
	s_ashr_i32 s21, s20, 31
	s_lshl_b64 s[20:21], s[20:21], 2
	s_delay_alu instid0(SALU_CYCLE_1)
	s_add_u32 s38, s26, s20
	s_addc_u32 s39, s25, s21
	s_clause 0x5
	s_load_b32 s21, s[4:5], 0x0
	s_load_b32 s13, s[6:7], 0x0
	;; [unrolled: 1-line block ×6, first 2 shown]
	s_or_b32 s9, s12, 0xc0
	s_mov_b32 s4, 0
	s_ashr_i32 s10, s9, 4
	s_cmp_lt_i32 s9, s24
	s_mov_b32 s11, s4
	s_cselect_b32 s36, s10, s3
	s_mov_b32 s5, s4
	s_ashr_i32 s37, s36, 31
	s_mov_b32 s6, s4
	s_lshl_b64 s[36:37], s[36:37], 2
	s_mov_b32 s7, s4
	s_add_u32 s36, s26, s36
	s_addc_u32 s37, s25, s37
	s_or_b32 s29, s12, 0xe0
	s_mov_b32 s8, s4
	s_ashr_i32 s30, s29, 4
	s_mov_b32 s9, s4
	s_mov_b32 s10, s4
	s_cmp_lt_i32 s29, s24
	v_dual_mov_b32 v107, s11 :: v_dual_mov_b32 v100, s4
	v_mov_b32_e32 v106, s10
	v_dual_mov_b32 v104, s8 :: v_dual_mov_b32 v103, s7
	v_dual_mov_b32 v102, s6 :: v_dual_mov_b32 v101, s5
	s_waitcnt vmcnt(1)
	v_mad_i64_i32 v[3:4], null, v5, s17, v[1:2]
	s_waitcnt vmcnt(0)
	v_mad_i64_i32 v[5:6], null, v7, s17, v[1:2]
	v_mul_lo_u16 v1, 0x56, v65
	v_lshlrev_b32_e32 v2, 4, v65
	s_clause 0x7
	global_load_b128 v[49:52], v[3:4], off
	global_load_b128 v[53:56], v[3:4], off offset:256
	global_load_b128 v[76:79], v[5:6], off
	global_load_b128 v[80:83], v[5:6], off offset:256
	global_load_b128 v[84:87], v[3:4], off offset:512
	;; [unrolled: 1-line block ×5, first 2 shown]
	v_lshrrev_b16 v1, 8, v1
	v_lshl_or_b32 v2, v66, 8, v2
	s_delay_alu instid0(VALU_DEP_2) | instskip(NEXT) | instid1(VALU_DEP_1)
	v_mul_lo_u16 v1, v1, 3
	v_sub_nc_u16 v1, v65, v1
	s_delay_alu instid0(VALU_DEP_1)
	v_and_b32_e32 v1, 0xff, v1
	v_mov_b32_e32 v105, s9
	s_cselect_b32 s4, s30, s3
	s_load_b32 s3, s[36:37], 0x0
	s_ashr_i32 s5, s4, 31
	v_lshlrev_b32_e32 v70, 6, v1
	s_lshl_b64 s[4:5], s[4:5], 2
	ds_load_b128 v[108:111], v70
	ds_load_b128 v[112:115], v70 offset:1024
	s_add_u32 s4, s26, s4
	s_addc_u32 s5, s25, s5
	s_add_u32 s6, s22, s27
	s_load_b32 s4, s[4:5], 0x0
	s_addc_u32 s7, s23, s28
	v_add_co_u32 v9, s6, s6, v2
	s_delay_alu instid0(VALU_DEP_1) | instskip(SKIP_1) | instid1(VALU_DEP_1)
	v_add_co_ci_u32_e64 v10, null, s7, 0, s6
	s_waitcnt lgkmcnt(0)
	v_mad_i64_i32 v[1:2], null, s21, s17, v[9:10]
	v_mad_i64_i32 v[3:4], null, s13, s17, v[9:10]
	;; [unrolled: 1-line block ×7, first 2 shown]
	s_clause 0x9
	global_load_b128 v[57:60], v[1:2], off
	global_load_b128 v[61:64], v[1:2], off offset:16
	global_load_b128 v[41:44], v[3:4], off
	global_load_b128 v[45:48], v[3:4], off offset:16
	;; [unrolled: 2-line block ×5, first 2 shown]
	v_mad_i64_i32 v[68:69], null, s4, s17, v[9:10]
	s_clause 0x3
	global_load_b128 v[9:12], v[13:14], off
	global_load_b128 v[13:16], v[13:14], off offset:16
	global_load_b128 v[17:20], v[21:22], off
	global_load_b128 v[21:24], v[21:22], off offset:16
	s_waitcnt vmcnt(20)
	v_wmma_f32_16x16x16_bf16 v[116:123], v[49:56], v[108:115], v[100:107]
	s_clause 0x1
	global_load_b128 v[49:52], v[68:69], off
	global_load_b128 v[53:56], v[68:69], off offset:16
	v_and_b32_e32 v68, 0xe0, v0
	v_mbcnt_lo_u32_b32 v69, -1, 0
	s_delay_alu instid0(VALU_DEP_2)
	v_add_nc_u32_e32 v68, s12, v68
	s_waitcnt vmcnt(20)
	v_wmma_f32_16x16x16_bf16 v[100:107], v[76:83], v[108:115], v[100:107]
	ds_load_b128 v[76:79], v70 offset:2048
	ds_load_b128 v[80:83], v70 offset:3072
	v_xor_b32_e32 v70, 16, v69
	s_waitcnt vmcnt(0) lgkmcnt(0)
	v_or_b32_e32 v68, v68, v74
	s_barrier
	buffer_gl0_inv
	v_cmp_gt_i32_e32 vcc_lo, 32, v70
	v_or_b32_e32 v71, 4, v68
	v_or_b32_e32 v72, 6, v68
	v_cmp_gt_i32_e64 s3, s24, v68
	v_or_b32_e32 v108, 8, v68
	v_or_b32_e32 v109, 10, v68
	v_cmp_gt_i32_e64 s4, s24, v71
	v_cmp_gt_i32_e64 s5, s24, v72
	s_delay_alu instid0(VALU_DEP_4) | instskip(NEXT) | instid1(VALU_DEP_4)
	v_cmp_gt_i32_e64 s6, s24, v108
	v_cmp_gt_i32_e64 s7, s24, v109
	v_wmma_f32_16x16x16_bf16 v[116:123], v[84:91], v[76:83], v[116:123]
	v_cndmask_b32_e32 v69, v69, v70, vcc_lo
	v_or_b32_e32 v70, 2, v68
	v_wmma_f32_16x16x16_bf16 v[100:107], v[92:99], v[76:83], v[100:107]
	v_or_b32_e32 v89, 22, v68
	v_dual_mul_f32 v80, s19, v121 :: v_dual_mul_f32 v81, s19, v120
	v_dual_mul_f32 v92, s19, v117 :: v_dual_mul_f32 v93, s19, v116
	s_delay_alu instid0(VALU_DEP_4)
	v_mul_f32_e32 v96, s19, v105
	v_cmp_gt_i32_e32 vcc_lo, s24, v70
	v_dual_mul_f32 v79, s19, v122 :: v_dual_mul_f32 v82, s19, v119
	v_dual_mul_f32 v83, s19, v118 :: v_dual_mul_f32 v94, s19, v107
	v_cndmask_b32_e64 v93, 0xff7fffff, v93, s3
	v_cndmask_b32_e32 v92, 0xff7fffff, v92, vcc_lo
	v_or_b32_e32 v84, 12, v68
	v_or_b32_e32 v85, 14, v68
	v_cndmask_b32_e64 v71, 0xff7fffff, v83, s4
	v_cndmask_b32_e64 v72, 0xff7fffff, v82, s5
	v_cmp_gt_i32_e64 s13, s24, v89
	v_lshlrev_b32_e32 v89, 2, v69
	v_max3_f32 v82, v93, 0xff7fffff, v92
	v_or_b32_e32 v86, 16, v68
	v_or_b32_e32 v87, 18, v68
	v_mul_f32_e32 v78, s19, v123
	v_cndmask_b32_e64 v81, 0xff7fffff, v81, s6
	v_cndmask_b32_e64 v80, 0xff7fffff, v80, s7
	v_max3_f32 v71, v82, v71, v72
	v_cmp_gt_i32_e64 s8, s24, v84
	v_cmp_gt_i32_e64 s9, s24, v85
	v_or_b32_e32 v88, 20, v68
	v_or_b32_e32 v90, 24, v68
	;; [unrolled: 1-line block ×5, first 2 shown]
	v_dual_mul_f32 v97, s19, v104 :: v_dual_mul_f32 v70, s19, v101
	v_dual_mul_f32 v99, s19, v102 :: v_dual_mul_f32 v68, s19, v100
	v_cndmask_b32_e64 v72, 0xff7fffff, v79, s8
	v_cndmask_b32_e64 v78, 0xff7fffff, v78, s9
	v_max3_f32 v71, v71, v81, v80
	v_cmp_gt_i32_e64 s10, s24, v86
	v_cmp_gt_i32_e64 s11, s24, v87
	v_dual_mul_f32 v95, s19, v106 :: v_dual_mul_f32 v98, s19, v103
	s_delay_alu instid0(VALU_DEP_4) | instskip(NEXT) | instid1(VALU_DEP_4)
	v_max3_f32 v71, v71, v72, v78
	v_cndmask_b32_e64 v68, 0xff7fffff, v68, s10
	s_delay_alu instid0(VALU_DEP_4)
	v_cndmask_b32_e64 v70, 0xff7fffff, v70, s11
	v_cmp_gt_i32_e64 s12, s24, v88
	v_cndmask_b32_e64 v78, 0xff7fffff, v98, s13
	v_cmp_gt_i32_e64 s15, s24, v90
	v_cmp_gt_i32_e64 s16, s24, v91
	v_max3_f32 v68, v71, v68, v70
	v_cndmask_b32_e64 v72, 0xff7fffff, v99, s12
	v_cmp_gt_i32_e64 s17, s24, v76
	v_cndmask_b32_e64 v70, 0xff7fffff, v97, s15
	v_cndmask_b32_e64 v71, 0xff7fffff, v96, s16
	v_cmp_gt_i32_e64 s18, s24, v77
	v_max3_f32 v68, v68, v72, v78
	v_cndmask_b32_e64 v72, 0xff7fffff, v95, s17
	s_delay_alu instid0(VALU_DEP_3) | instskip(NEXT) | instid1(VALU_DEP_3)
	v_cndmask_b32_e64 v76, 0xff7fffff, v94, s18
	v_max3_f32 v68, v68, v70, v71
	s_delay_alu instid0(VALU_DEP_1) | instskip(SKIP_3) | instid1(VALU_DEP_1)
	v_max3_f32 v68, v68, v72, v76
	ds_bpermute_b32 v69, v89, v68
	s_waitcnt lgkmcnt(0)
	v_max_f32_e32 v69, v69, v69
	v_max_f32_e32 v68, v68, v69
	s_delay_alu instid0(VALU_DEP_1) | instskip(NEXT) | instid1(VALU_DEP_1)
	v_fma_f32 v71, s19, v118, -v68
	v_mul_f32_e32 v71, 0x3fb8aa3b, v71
	v_fma_f32 v70, s19, v117, -v68
	v_fma_f32 v69, s19, v116, -v68
	;; [unrolled: 1-line block ×5, first 2 shown]
	s_delay_alu instid0(VALU_DEP_4) | instskip(SKIP_1) | instid1(VALU_DEP_3)
	v_dual_mul_f32 v70, 0x3fb8aa3b, v70 :: v_dual_mul_f32 v69, 0x3fb8aa3b, v69
	v_exp_f32_e32 v71, v71
	v_mul_f32_e32 v72, 0x3fb8aa3b, v72
	v_fma_f32 v81, s19, v105, -v68
	s_delay_alu instid0(VALU_DEP_3)
	v_exp_f32_e32 v70, v70
	v_mul_f32_e32 v77, 0x3fb8aa3b, v76
	v_exp_f32_e32 v69, v69
	v_exp_f32_e32 v72, v72
	v_mul_f32_e32 v81, 0x3fb8aa3b, v81
	v_cndmask_b32_e64 v83, 0, v71, s4
	v_fma_f32 v71, s19, v123, -v68
	s_delay_alu instid0(VALU_DEP_3) | instskip(SKIP_4) | instid1(TRANS32_DEP_3)
	v_exp_f32_e32 v81, v81
	v_cndmask_b32_e32 v76, 0, v70, vcc_lo
	v_exp_f32_e32 v77, v77
	v_cndmask_b32_e64 v80, 0, v69, s3
	v_fma_f32 v69, s19, v121, -v68
	v_cndmask_b32_e64 v85, 0, v72, s5
	v_mul_f32_e32 v71, 0x3fb8aa3b, v71
	v_fma_f32 v72, s19, v100, -v68
	s_delay_alu instid0(VALU_DEP_4) | instskip(SKIP_1) | instid1(VALU_DEP_4)
	v_dual_add_f32 v70, 0, v80 :: v_dual_mul_f32 v69, 0x3fb8aa3b, v69
	v_cmp_gt_u32_e64 s3, 16, v67
	v_exp_f32_e32 v71, v71
	s_delay_alu instid0(TRANS32_DEP_2) | instskip(SKIP_4) | instid1(VALU_DEP_3)
	v_cndmask_b32_e64 v86, 0, v77, s6
	v_fma_f32 v77, s19, v101, -v68
	v_mul_f32_e32 v78, 0x3fb8aa3b, v78
	v_add_f32_e32 v70, v70, v76
	v_exp_f32_e32 v69, v69
	v_mul_f32_e32 v77, 0x3fb8aa3b, v77
	s_delay_alu instid0(VALU_DEP_3) | instskip(NEXT) | instid1(TRANS32_DEP_3)
	v_exp_f32_e32 v78, v78
	v_cndmask_b32_e64 v88, 0, v71, s9
	v_fma_f32 v71, s19, v104, -v68
	s_delay_alu instid0(VALU_DEP_3) | instskip(NEXT) | instid1(TRANS32_DEP_3)
	v_exp_f32_e32 v77, v77
	v_cndmask_b32_e64 v87, 0, v69, s7
	s_delay_alu instid0(VALU_DEP_2)
	v_mul_f32_e32 v71, 0x3fb8aa3b, v71
	s_waitcnt_depctr 0xfff
	v_cndmask_b32_e64 v84, 0, v78, s8
	v_add_f32_e32 v70, v70, v83
	v_fma_f32 v78, s19, v103, -v68
	v_exp_f32_e32 v82, v71
	s_delay_alu instid0(VALU_DEP_2) | instskip(SKIP_1) | instid1(VALU_DEP_3)
	v_add_f32_e32 v70, v70, v85
	v_mul_f32_e32 v72, 0x3fb8aa3b, v72
	v_mul_f32_e32 v78, 0x3fb8aa3b, v78
	s_delay_alu instid0(VALU_DEP_3) | instskip(SKIP_1) | instid1(VALU_DEP_4)
	v_add_f32_e32 v69, v70, v86
	v_fma_f32 v70, s19, v102, -v68
	v_exp_f32_e32 v72, v72
	s_delay_alu instid0(VALU_DEP_3) | instskip(NEXT) | instid1(VALU_DEP_1)
	v_exp_f32_e32 v78, v78
	v_dual_add_f32 v69, v69, v87 :: v_dual_mul_f32 v70, 0x3fb8aa3b, v70
	s_delay_alu instid0(VALU_DEP_1) | instskip(NEXT) | instid1(VALU_DEP_2)
	v_add_f32_e32 v69, v69, v84
	v_exp_f32_e32 v79, v70
	s_delay_alu instid0(TRANS32_DEP_3) | instskip(NEXT) | instid1(VALU_DEP_2)
	v_cndmask_b32_e64 v70, 0, v72, s10
	v_add_f32_e32 v72, v69, v88
	v_cndmask_b32_e64 v69, 0, v77, s11
	v_fma_f32 v77, s19, v106, -v68
	s_waitcnt_depctr 0xfff
	v_cndmask_b32_e64 v71, 0, v79, s12
	v_dual_mul_f32 v77, 0x3fb8aa3b, v77 :: v_dual_add_f32 v72, v72, v70
	s_delay_alu instid0(VALU_DEP_1) | instskip(NEXT) | instid1(VALU_DEP_1)
	v_exp_f32_e32 v90, v77
	v_add_f32_e32 v79, v72, v69
	v_cndmask_b32_e64 v72, 0, v78, s13
	v_cndmask_b32_e64 v77, 0, v82, s15
	s_delay_alu instid0(VALU_DEP_3) | instskip(SKIP_1) | instid1(VALU_DEP_1)
	v_add_f32_e32 v78, v79, v71
	v_fma_f32 v79, s19, v107, -v68
	v_dual_add_f32 v82, v78, v72 :: v_dual_mul_f32 v79, 0x3fb8aa3b, v79
	v_cndmask_b32_e64 v78, 0, v81, s16
	s_delay_alu instid0(VALU_DEP_2) | instskip(NEXT) | instid1(VALU_DEP_3)
	v_add_f32_e32 v81, v82, v77
	v_exp_f32_e32 v82, v79
	v_cndmask_b32_e64 v79, 0, v90, s17
	s_delay_alu instid0(VALU_DEP_2) | instskip(NEXT) | instid1(VALU_DEP_1)
	v_add_f32_e32 v81, v81, v78
	v_add_f32_e32 v90, v81, v79
	s_waitcnt_depctr 0xfff
	v_cndmask_b32_e64 v81, 0, v82, s18
	s_delay_alu instid0(VALU_DEP_1)
	v_add_f32_e32 v82, v90, v81
	ds_bpermute_b32 v89, v89, v82
	s_and_saveexec_b32 s4, s3
	s_cbranch_execz .LBB1728_12
; %bb.11:
	v_mul_u32_u24_e32 v67, 0x44, v66
	s_delay_alu instid0(VALU_DEP_1) | instskip(SKIP_1) | instid1(VALU_DEP_1)
	v_lshl_add_u32 v67, v65, 2, v67
	s_waitcnt lgkmcnt(0)
	v_dual_add_f32 v82, v82, v89 :: v_dual_add_nc_u32 v67, 0x4000, v67
	ds_store_2addr_b32 v67, v68, v82 offset1:136
.LBB1728_12:
	s_or_b32 exec_lo, exec_lo, s4
	v_lshlrev_b32_e32 v67, 2, v65
	s_waitcnt lgkmcnt(0)
	s_barrier
	buffer_gl0_inv
	v_cmp_eq_u32_e32 vcc_lo, 1, v66
	v_add_nc_u32_e32 v82, 0x4000, v67
	v_cmp_eq_u32_e64 s4, 2, v66
	v_cmp_eq_u32_e64 s6, 7, v66
	ds_load_2addr_b32 v[89:90], v82 offset1:17
	ds_load_2addr_b32 v[91:92], v82 offset0:34 offset1:51
	ds_load_2addr_b32 v[93:94], v82 offset0:68 offset1:85
	;; [unrolled: 1-line block ×4, first 2 shown]
	s_waitcnt lgkmcnt(4)
	v_max3_f32 v67, v89, 0xff7fffff, v90
	s_waitcnt lgkmcnt(3)
	s_delay_alu instid0(VALU_DEP_1) | instskip(SKIP_1) | instid1(VALU_DEP_1)
	v_max3_f32 v67, v67, v91, v92
	s_waitcnt lgkmcnt(2)
	v_max3_f32 v67, v67, v93, v94
	s_waitcnt lgkmcnt(1)
	s_delay_alu instid0(VALU_DEP_1) | instskip(NEXT) | instid1(VALU_DEP_1)
	v_max3_f32 v67, v67, v95, v96
	v_sub_f32_e32 v93, v93, v67
	s_delay_alu instid0(VALU_DEP_1) | instskip(NEXT) | instid1(VALU_DEP_1)
	v_dual_sub_f32 v68, v89, v67 :: v_dual_mul_f32 v103, 0x3fb8aa3b, v93
	v_mul_f32_e32 v68, 0x3fb8aa3b, v68
	s_delay_alu instid0(VALU_DEP_1)
	v_exp_f32_e32 v100, v68
	v_sub_f32_e32 v68, v92, v67
	v_sub_f32_e32 v99, v90, v67
	ds_load_2addr_b32 v[89:90], v82 offset0:170 offset1:187
	v_dual_mul_f32 v102, 0x3fb8aa3b, v68 :: v_dual_mul_f32 v99, 0x3fb8aa3b, v99
	s_waitcnt lgkmcnt(1)
	v_fma_f32 v68, v100, v97, 0
	s_delay_alu instid0(VALU_DEP_2) | instskip(NEXT) | instid1(VALU_DEP_2)
	v_exp_f32_e32 v102, v102
	v_exp_f32_e32 v99, v99
	s_waitcnt_depctr 0xfff
	v_fmac_f32_e32 v68, v99, v98
	v_sub_f32_e32 v91, v91, v67
	s_delay_alu instid0(VALU_DEP_1)
	v_mul_f32_e32 v101, 0x3fb8aa3b, v91
	ds_load_2addr_b32 v[91:92], v82 offset0:204 offset1:221
	v_sub_f32_e32 v97, v94, v67
	ds_load_2addr_b32 v[93:94], v82 offset0:238 offset1:255
	s_waitcnt lgkmcnt(0)
	v_exp_f32_e32 v101, v101
	s_barrier
	buffer_gl0_inv
	v_dual_fmac_f32 v68, v101, v89 :: v_dual_sub_f32 v89, v96, v67
	v_dual_sub_f32 v82, v95, v67 :: v_dual_mul_f32 v95, 0x3fb8aa3b, v97
	v_exp_f32_e32 v97, v103
	s_delay_alu instid0(VALU_DEP_2) | instskip(NEXT) | instid1(VALU_DEP_2)
	v_dual_fmac_f32 v68, v102, v90 :: v_dual_mul_f32 v89, 0x3fb8aa3b, v89
	v_mul_f32_e32 v82, 0x3fb8aa3b, v82
	s_delay_alu instid0(VALU_DEP_3) | instskip(NEXT) | instid1(VALU_DEP_2)
	v_exp_f32_e32 v95, v95
	v_exp_f32_e32 v89, v89
	s_delay_alu instid0(VALU_DEP_1)
	v_exp_f32_e32 v82, v82
	v_fmac_f32_e32 v68, v97, v91
	s_delay_alu instid0(TRANS32_DEP_3) | instid1(VALU_DEP_1)
	v_fmac_f32_e32 v68, v95, v92
	s_waitcnt_depctr 0xfff
	v_fmac_f32_e32 v68, v82, v93
	s_delay_alu instid0(VALU_DEP_1) | instskip(NEXT) | instid1(VALU_DEP_1)
	v_fmac_f32_e32 v68, v89, v94
	v_add_f32_e32 v90, 0x358637bd, v68
	s_delay_alu instid0(VALU_DEP_1) | instskip(NEXT) | instid1(VALU_DEP_1)
	v_div_scale_f32 v91, null, v90, v90, 1.0
	v_rcp_f32_e32 v92, v91
	s_waitcnt_depctr 0xfff
	v_fma_f32 v93, -v91, v92, 1.0
	s_delay_alu instid0(VALU_DEP_1) | instskip(SKIP_1) | instid1(VALU_DEP_2)
	v_dual_fmac_f32 v92, v93, v92 :: v_dual_cndmask_b32 v93, v100, v99
	v_cmp_eq_u32_e32 vcc_lo, 3, v66
	v_cndmask_b32_e64 v93, v93, v101, s4
	v_cmp_eq_u32_e64 s4, 4, v66
	s_delay_alu instid0(VALU_DEP_2) | instskip(SKIP_1) | instid1(VALU_DEP_2)
	v_cndmask_b32_e32 v93, v93, v102, vcc_lo
	v_cmp_eq_u32_e32 vcc_lo, 5, v66
	v_cndmask_b32_e64 v93, v93, v97, s4
	v_cmp_eq_u32_e64 s4, 6, v66
	s_delay_alu instid0(VALU_DEP_2) | instskip(SKIP_1) | instid1(VALU_DEP_1)
	v_cndmask_b32_e32 v93, v93, v95, vcc_lo
	v_div_scale_f32 v94, s5, 1.0, v90, 1.0
	s_mov_b32 vcc_lo, s5
	s_delay_alu instid0(VALU_DEP_2) | instskip(NEXT) | instid1(VALU_DEP_2)
	v_cndmask_b32_e64 v82, v93, v82, s4
	v_mul_f32_e32 v96, v94, v92
	s_mov_b32 s4, exec_lo
	s_delay_alu instid0(VALU_DEP_2) | instskip(NEXT) | instid1(VALU_DEP_2)
	v_cndmask_b32_e64 v82, v82, v89, s6
	v_fma_f32 v98, -v91, v96, v94
	s_delay_alu instid0(VALU_DEP_1) | instskip(NEXT) | instid1(VALU_DEP_1)
	v_fmac_f32_e32 v96, v98, v92
	v_fma_f32 v91, -v91, v96, v94
	s_delay_alu instid0(VALU_DEP_1) | instskip(NEXT) | instid1(VALU_DEP_1)
	v_div_fmas_f32 v91, v91, v92, v96
	v_div_fixup_f32 v90, v91, v90, 1.0
	s_delay_alu instid0(VALU_DEP_1) | instskip(NEXT) | instid1(VALU_DEP_1)
	v_mul_f32_e32 v82, v82, v90
	v_mul_f32_e32 v87, v82, v87
	;; [unrolled: 1-line block ×7, first 2 shown]
	v_dual_mul_f32 v86, v82, v83 :: v_dual_and_b32 v91, 0x7f800000, v90
	v_mul_f32_e32 v85, v82, v76
                                        ; implicit-def: $vgpr76
	s_delay_alu instid0(VALU_DEP_2)
	v_cmpx_ne_u32_e32 0x7f800000, v91
	s_xor_b32 s4, exec_lo, s4
; %bb.13:
	v_bfe_u32 v76, v90, 16, 1
	s_delay_alu instid0(VALU_DEP_1)
	v_add3_u32 v76, v90, v76, 0x7fff
                                        ; implicit-def: $vgpr90
; %bb.14:
	s_and_not1_saveexec_b32 s4, s4
; %bb.15:
	v_and_b32_e32 v76, 0xffff, v90
	v_or_b32_e32 v83, 0x10000, v90
	s_delay_alu instid0(VALU_DEP_2) | instskip(NEXT) | instid1(VALU_DEP_2)
	v_cmp_eq_u32_e32 vcc_lo, 0, v76
	v_cndmask_b32_e32 v76, v83, v90, vcc_lo
; %bb.16:
	s_or_b32 exec_lo, exec_lo, s4
	v_and_b32_e32 v83, 0x7f800000, v85
	s_delay_alu instid0(VALU_DEP_1) | instskip(SKIP_1) | instid1(SALU_CYCLE_1)
	v_cmp_ne_u32_e32 vcc_lo, 0x7f800000, v83
                                        ; implicit-def: $vgpr83
	s_and_saveexec_b32 s4, vcc_lo
	s_xor_b32 s4, exec_lo, s4
; %bb.17:
	v_bfe_u32 v83, v85, 16, 1
	s_delay_alu instid0(VALU_DEP_1)
	v_add3_u32 v83, v85, v83, 0x7fff
                                        ; implicit-def: $vgpr85
; %bb.18:
	s_and_not1_saveexec_b32 s4, s4
; %bb.19:
	v_and_b32_e32 v83, 0xffff, v85
	v_or_b32_e32 v90, 0x10000, v85
	s_delay_alu instid0(VALU_DEP_2) | instskip(NEXT) | instid1(VALU_DEP_2)
	v_cmp_eq_u32_e32 vcc_lo, 0, v83
	v_cndmask_b32_e32 v83, v90, v85, vcc_lo
; %bb.20:
	s_or_b32 exec_lo, exec_lo, s4
	v_and_b32_e32 v85, 0x7f800000, v86
	s_delay_alu instid0(VALU_DEP_1) | instskip(SKIP_1) | instid1(SALU_CYCLE_1)
	v_cmp_ne_u32_e32 vcc_lo, 0x7f800000, v85
                                        ; implicit-def: $vgpr85
	s_and_saveexec_b32 s4, vcc_lo
	s_xor_b32 s4, exec_lo, s4
; %bb.21:
	v_bfe_u32 v85, v86, 16, 1
	s_delay_alu instid0(VALU_DEP_1)
	v_add3_u32 v85, v86, v85, 0x7fff
                                        ; implicit-def: $vgpr86
; %bb.22:
	s_and_not1_saveexec_b32 s4, s4
; %bb.23:
	v_and_b32_e32 v85, 0xffff, v86
	v_or_b32_e32 v90, 0x10000, v86
	s_delay_alu instid0(VALU_DEP_2) | instskip(NEXT) | instid1(VALU_DEP_2)
	v_cmp_eq_u32_e32 vcc_lo, 0, v85
	v_cndmask_b32_e32 v85, v90, v86, vcc_lo
; %bb.24:
	s_or_b32 exec_lo, exec_lo, s4
	v_and_b32_e32 v86, 0x7f800000, v89
	s_delay_alu instid0(VALU_DEP_1) | instskip(SKIP_1) | instid1(SALU_CYCLE_1)
	v_cmp_ne_u32_e32 vcc_lo, 0x7f800000, v86
                                        ; implicit-def: $vgpr86
	s_and_saveexec_b32 s4, vcc_lo
	s_xor_b32 s4, exec_lo, s4
; %bb.25:
	v_bfe_u32 v86, v89, 16, 1
	s_delay_alu instid0(VALU_DEP_1)
	v_add3_u32 v86, v89, v86, 0x7fff
                                        ; implicit-def: $vgpr89
; %bb.26:
	s_and_not1_saveexec_b32 s4, s4
; %bb.27:
	v_and_b32_e32 v86, 0xffff, v89
	v_or_b32_e32 v90, 0x10000, v89
	s_delay_alu instid0(VALU_DEP_2) | instskip(NEXT) | instid1(VALU_DEP_2)
	v_cmp_eq_u32_e32 vcc_lo, 0, v86
	v_cndmask_b32_e32 v86, v90, v89, vcc_lo
; %bb.28:
	s_or_b32 exec_lo, exec_lo, s4
	v_and_b32_e32 v89, 0x7f800000, v88
	s_delay_alu instid0(VALU_DEP_1) | instskip(SKIP_1) | instid1(SALU_CYCLE_1)
	v_cmp_ne_u32_e32 vcc_lo, 0x7f800000, v89
                                        ; implicit-def: $vgpr89
	s_and_saveexec_b32 s4, vcc_lo
	s_xor_b32 s4, exec_lo, s4
; %bb.29:
	v_bfe_u32 v89, v88, 16, 1
	s_delay_alu instid0(VALU_DEP_1)
	v_add3_u32 v89, v88, v89, 0x7fff
                                        ; implicit-def: $vgpr88
; %bb.30:
	s_and_not1_saveexec_b32 s4, s4
; %bb.31:
	v_and_b32_e32 v89, 0xffff, v88
	v_or_b32_e32 v90, 0x10000, v88
	s_delay_alu instid0(VALU_DEP_2) | instskip(NEXT) | instid1(VALU_DEP_2)
	v_cmp_eq_u32_e32 vcc_lo, 0, v89
	v_cndmask_b32_e32 v89, v90, v88, vcc_lo
; %bb.32:
	s_or_b32 exec_lo, exec_lo, s4
	v_and_b32_e32 v88, 0x7f800000, v87
	s_delay_alu instid0(VALU_DEP_1) | instskip(SKIP_1) | instid1(SALU_CYCLE_1)
	v_cmp_ne_u32_e32 vcc_lo, 0x7f800000, v88
                                        ; implicit-def: $vgpr88
	s_and_saveexec_b32 s4, vcc_lo
	s_xor_b32 s4, exec_lo, s4
; %bb.33:
	v_bfe_u32 v88, v87, 16, 1
	s_delay_alu instid0(VALU_DEP_1)
	v_add3_u32 v88, v87, v88, 0x7fff
                                        ; implicit-def: $vgpr87
; %bb.34:
	s_and_not1_saveexec_b32 s4, s4
; %bb.35:
	v_and_b32_e32 v88, 0xffff, v87
	v_or_b32_e32 v90, 0x10000, v87
	s_delay_alu instid0(VALU_DEP_2) | instskip(NEXT) | instid1(VALU_DEP_2)
	v_cmp_eq_u32_e32 vcc_lo, 0, v88
	v_cndmask_b32_e32 v88, v90, v87, vcc_lo
; %bb.36:
	s_or_b32 exec_lo, exec_lo, s4
	v_and_b32_e32 v87, 0x7f800000, v84
	s_delay_alu instid0(VALU_DEP_1) | instskip(SKIP_1) | instid1(SALU_CYCLE_1)
	v_cmp_ne_u32_e32 vcc_lo, 0x7f800000, v87
                                        ; implicit-def: $vgpr87
	s_and_saveexec_b32 s4, vcc_lo
	s_xor_b32 s4, exec_lo, s4
; %bb.37:
	v_bfe_u32 v87, v84, 16, 1
	s_delay_alu instid0(VALU_DEP_1)
	v_add3_u32 v87, v84, v87, 0x7fff
                                        ; implicit-def: $vgpr84
; %bb.38:
	s_and_not1_saveexec_b32 s4, s4
; %bb.39:
	v_and_b32_e32 v87, 0xffff, v84
	v_or_b32_e32 v90, 0x10000, v84
	s_delay_alu instid0(VALU_DEP_2) | instskip(NEXT) | instid1(VALU_DEP_2)
	v_cmp_eq_u32_e32 vcc_lo, 0, v87
	v_cndmask_b32_e32 v87, v90, v84, vcc_lo
; %bb.40:
	s_or_b32 exec_lo, exec_lo, s4
	v_and_b32_e32 v84, 0x7f800000, v80
	s_delay_alu instid0(VALU_DEP_1) | instskip(SKIP_1) | instid1(SALU_CYCLE_1)
	v_cmp_ne_u32_e32 vcc_lo, 0x7f800000, v84
                                        ; implicit-def: $vgpr84
	s_and_saveexec_b32 s4, vcc_lo
	s_xor_b32 s4, exec_lo, s4
; %bb.41:
	v_bfe_u32 v84, v80, 16, 1
	s_delay_alu instid0(VALU_DEP_1)
	v_add3_u32 v84, v80, v84, 0x7fff
                                        ; implicit-def: $vgpr80
; %bb.42:
	s_and_not1_saveexec_b32 s4, s4
; %bb.43:
	v_and_b32_e32 v84, 0xffff, v80
	v_or_b32_e32 v90, 0x10000, v80
	s_delay_alu instid0(VALU_DEP_2) | instskip(NEXT) | instid1(VALU_DEP_2)
	v_cmp_eq_u32_e32 vcc_lo, 0, v84
	v_cndmask_b32_e32 v84, v90, v80, vcc_lo
; %bb.44:
	s_or_b32 exec_lo, exec_lo, s4
	s_load_b64 s[36:37], s[0:1], 0x94
	v_lshlrev_b32_e32 v91, 4, v74
	s_delay_alu instid0(VALU_DEP_2)
	v_perm_b32 v90, v84, v87, 0x7060302
	v_dual_mul_f32 v79, v82, v79 :: v_dual_lshlrev_b32 v80, 6, v65
	v_dual_mul_f32 v77, v82, v77 :: v_dual_lshlrev_b32 v92, 11, v66
	v_mul_f32_e32 v84, v82, v70
	v_perm_b32 v89, v88, v89, 0x7060302
	v_perm_b32 v88, v86, v85, 0x7060302
	;; [unrolled: 1-line block ×3, first 2 shown]
	v_mul_f32_e32 v70, v82, v81
	v_or3_b32 v76, v91, v92, v80
	v_dual_mul_f32 v78, v82, v78 :: v_dual_and_b32 v85, 0x7f800000, v84
	v_mul_f32_e32 v83, v82, v72
	v_mul_f32_e32 v81, v82, v71
	;; [unrolled: 1-line block ×3, first 2 shown]
	s_mov_b32 s4, exec_lo
	ds_store_b128 v76, v[87:90]
                                        ; implicit-def: $vgpr69
	v_cmpx_ne_u32_e32 0x7f800000, v85
	s_xor_b32 s4, exec_lo, s4
; %bb.45:
	v_bfe_u32 v69, v84, 16, 1
	s_delay_alu instid0(VALU_DEP_1)
	v_add3_u32 v69, v84, v69, 0x7fff
                                        ; implicit-def: $vgpr84
; %bb.46:
	s_and_not1_saveexec_b32 s4, s4
; %bb.47:
	v_and_b32_e32 v69, 0xffff, v84
	v_or_b32_e32 v71, 0x10000, v84
	s_delay_alu instid0(VALU_DEP_2) | instskip(NEXT) | instid1(VALU_DEP_2)
	v_cmp_eq_u32_e32 vcc_lo, 0, v69
	v_cndmask_b32_e32 v69, v71, v84, vcc_lo
; %bb.48:
	s_or_b32 exec_lo, exec_lo, s4
	v_and_b32_e32 v71, 0x7f800000, v72
	s_delay_alu instid0(VALU_DEP_1) | instskip(SKIP_1) | instid1(SALU_CYCLE_1)
	v_cmp_ne_u32_e32 vcc_lo, 0x7f800000, v71
                                        ; implicit-def: $vgpr71
	s_and_saveexec_b32 s4, vcc_lo
	s_xor_b32 s4, exec_lo, s4
; %bb.49:
	v_bfe_u32 v71, v72, 16, 1
	s_delay_alu instid0(VALU_DEP_1)
	v_add3_u32 v71, v72, v71, 0x7fff
                                        ; implicit-def: $vgpr72
; %bb.50:
	s_and_not1_saveexec_b32 s4, s4
; %bb.51:
	v_and_b32_e32 v71, 0xffff, v72
	v_or_b32_e32 v82, 0x10000, v72
	s_delay_alu instid0(VALU_DEP_2) | instskip(NEXT) | instid1(VALU_DEP_2)
	v_cmp_eq_u32_e32 vcc_lo, 0, v71
	v_cndmask_b32_e32 v71, v82, v72, vcc_lo
; %bb.52:
	s_or_b32 exec_lo, exec_lo, s4
	v_and_b32_e32 v72, 0x7f800000, v81
	s_delay_alu instid0(VALU_DEP_1) | instskip(SKIP_1) | instid1(SALU_CYCLE_1)
	v_cmp_ne_u32_e32 vcc_lo, 0x7f800000, v72
                                        ; implicit-def: $vgpr72
	s_and_saveexec_b32 s4, vcc_lo
	s_xor_b32 s4, exec_lo, s4
; %bb.53:
	v_bfe_u32 v72, v81, 16, 1
	s_delay_alu instid0(VALU_DEP_1)
	v_add3_u32 v72, v81, v72, 0x7fff
                                        ; implicit-def: $vgpr81
; %bb.54:
	s_and_not1_saveexec_b32 s4, s4
; %bb.55:
	v_and_b32_e32 v72, 0xffff, v81
	v_or_b32_e32 v82, 0x10000, v81
	s_delay_alu instid0(VALU_DEP_2) | instskip(NEXT) | instid1(VALU_DEP_2)
	v_cmp_eq_u32_e32 vcc_lo, 0, v72
	v_cndmask_b32_e32 v72, v82, v81, vcc_lo
; %bb.56:
	s_or_b32 exec_lo, exec_lo, s4
	v_and_b32_e32 v81, 0x7f800000, v83
	s_delay_alu instid0(VALU_DEP_1) | instskip(SKIP_1) | instid1(SALU_CYCLE_1)
	v_cmp_ne_u32_e32 vcc_lo, 0x7f800000, v81
                                        ; implicit-def: $vgpr81
	s_and_saveexec_b32 s4, vcc_lo
	s_xor_b32 s4, exec_lo, s4
; %bb.57:
	v_bfe_u32 v81, v83, 16, 1
	s_delay_alu instid0(VALU_DEP_1)
	v_add3_u32 v81, v83, v81, 0x7fff
                                        ; implicit-def: $vgpr83
; %bb.58:
	s_and_not1_saveexec_b32 s4, s4
; %bb.59:
	v_and_b32_e32 v81, 0xffff, v83
	v_or_b32_e32 v82, 0x10000, v83
	s_delay_alu instid0(VALU_DEP_2) | instskip(NEXT) | instid1(VALU_DEP_2)
	v_cmp_eq_u32_e32 vcc_lo, 0, v81
	v_cndmask_b32_e32 v81, v82, v83, vcc_lo
; %bb.60:
	s_or_b32 exec_lo, exec_lo, s4
	v_and_b32_e32 v82, 0x7f800000, v77
	s_delay_alu instid0(VALU_DEP_1) | instskip(SKIP_1) | instid1(SALU_CYCLE_1)
	v_cmp_ne_u32_e32 vcc_lo, 0x7f800000, v82
                                        ; implicit-def: $vgpr82
	s_and_saveexec_b32 s4, vcc_lo
	s_xor_b32 s4, exec_lo, s4
; %bb.61:
	v_bfe_u32 v82, v77, 16, 1
	s_delay_alu instid0(VALU_DEP_1)
	v_add3_u32 v82, v77, v82, 0x7fff
                                        ; implicit-def: $vgpr77
; %bb.62:
	s_and_not1_saveexec_b32 s4, s4
; %bb.63:
	v_and_b32_e32 v82, 0xffff, v77
	v_or_b32_e32 v83, 0x10000, v77
	s_delay_alu instid0(VALU_DEP_2) | instskip(NEXT) | instid1(VALU_DEP_2)
	v_cmp_eq_u32_e32 vcc_lo, 0, v82
	v_cndmask_b32_e32 v82, v83, v77, vcc_lo
; %bb.64:
	s_or_b32 exec_lo, exec_lo, s4
	v_and_b32_e32 v77, 0x7f800000, v78
	s_delay_alu instid0(VALU_DEP_1) | instskip(SKIP_1) | instid1(SALU_CYCLE_1)
	v_cmp_ne_u32_e32 vcc_lo, 0x7f800000, v77
                                        ; implicit-def: $vgpr77
	s_and_saveexec_b32 s4, vcc_lo
	s_xor_b32 s4, exec_lo, s4
; %bb.65:
	v_bfe_u32 v77, v78, 16, 1
	s_delay_alu instid0(VALU_DEP_1)
	v_add3_u32 v77, v78, v77, 0x7fff
                                        ; implicit-def: $vgpr78
; %bb.66:
	s_and_not1_saveexec_b32 s4, s4
; %bb.67:
	v_and_b32_e32 v77, 0xffff, v78
	v_or_b32_e32 v83, 0x10000, v78
	s_delay_alu instid0(VALU_DEP_2) | instskip(NEXT) | instid1(VALU_DEP_2)
	v_cmp_eq_u32_e32 vcc_lo, 0, v77
	v_cndmask_b32_e32 v77, v83, v78, vcc_lo
; %bb.68:
	s_or_b32 exec_lo, exec_lo, s4
	v_and_b32_e32 v78, 0x7f800000, v79
	s_delay_alu instid0(VALU_DEP_1) | instskip(SKIP_1) | instid1(SALU_CYCLE_1)
	v_cmp_ne_u32_e32 vcc_lo, 0x7f800000, v78
                                        ; implicit-def: $vgpr78
	s_and_saveexec_b32 s4, vcc_lo
	s_xor_b32 s4, exec_lo, s4
; %bb.69:
	v_bfe_u32 v78, v79, 16, 1
	s_delay_alu instid0(VALU_DEP_1)
	v_add3_u32 v78, v79, v78, 0x7fff
                                        ; implicit-def: $vgpr79
; %bb.70:
	s_and_not1_saveexec_b32 s4, s4
; %bb.71:
	v_and_b32_e32 v78, 0xffff, v79
	v_or_b32_e32 v83, 0x10000, v79
	s_delay_alu instid0(VALU_DEP_2) | instskip(NEXT) | instid1(VALU_DEP_2)
	v_cmp_eq_u32_e32 vcc_lo, 0, v78
	v_cndmask_b32_e32 v78, v83, v79, vcc_lo
; %bb.72:
	s_or_b32 exec_lo, exec_lo, s4
	v_and_b32_e32 v79, 0x7f800000, v70
	s_delay_alu instid0(VALU_DEP_1) | instskip(SKIP_1) | instid1(SALU_CYCLE_1)
	v_cmp_ne_u32_e32 vcc_lo, 0x7f800000, v79
                                        ; implicit-def: $vgpr79
	s_and_saveexec_b32 s4, vcc_lo
	s_xor_b32 s4, exec_lo, s4
; %bb.73:
	v_bfe_u32 v79, v70, 16, 1
	s_delay_alu instid0(VALU_DEP_1)
	v_add3_u32 v79, v70, v79, 0x7fff
                                        ; implicit-def: $vgpr70
; %bb.74:
	s_and_not1_saveexec_b32 s4, s4
; %bb.75:
	v_and_b32_e32 v79, 0xffff, v70
	v_or_b32_e32 v83, 0x10000, v70
	s_delay_alu instid0(VALU_DEP_2) | instskip(NEXT) | instid1(VALU_DEP_2)
	v_cmp_eq_u32_e32 vcc_lo, 0, v79
	v_cndmask_b32_e32 v79, v83, v70, vcc_lo
; %bb.76:
	s_or_b32 exec_lo, exec_lo, s4
	s_delay_alu instid0(VALU_DEP_1)
	v_perm_b32 v86, v79, v78, 0x7060302
	v_perm_b32 v85, v77, v82, 0x7060302
	;; [unrolled: 1-line block ×4, first 2 shown]
	v_lshl_or_b32 v82, v66, 11, v80
	ds_store_b128 v76, v[83:86] offset:1024
	s_waitcnt lgkmcnt(0)
	s_barrier
	buffer_gl0_inv
	ds_load_b128 v[69:72], v82
	ds_load_b128 v[83:86], v82 offset:16
	s_waitcnt lgkmcnt(1)
	v_lshrrev_b32_e32 v66, 16, v69
	s_waitcnt lgkmcnt(0)
	v_lshrrev_b32_e32 v91, 16, v83
	v_lshlrev_b32_e32 v78, 2, v74
	v_lshrrev_b32_e32 v95, 16, v70
	v_lshrrev_b32_e32 v98, 16, v84
	;; [unrolled: 1-line block ×4, first 2 shown]
	v_cmp_eq_u32_e32 vcc_lo, 1, v78
	v_lshrrev_b32_e32 v97, 16, v72
	v_lshrrev_b32_e32 v100, 16, v86
	v_cndmask_b32_e32 v87, v83, v91, vcc_lo
	v_or_b32_e32 v79, 1, v78
	v_cndmask_b32_e32 v81, v69, v66, vcc_lo
	v_cmp_eq_u32_e64 s5, 2, v78
	v_cmp_eq_u32_e64 s8, 3, v78
	;; [unrolled: 1-line block ×5, first 2 shown]
	v_cndmask_b32_e64 v81, v81, v70, s5
	v_cndmask_b32_e64 v87, v87, v84, s5
	v_cmp_eq_u32_e64 s9, 3, v79
	v_cndmask_b32_e64 v88, v69, v66, s4
	v_or_b32_e32 v77, 2, v78
	v_cndmask_b32_e64 v81, v81, v95, s8
	v_cndmask_b32_e64 v87, v87, v98, s8
	;; [unrolled: 1-line block ×4, first 2 shown]
	v_cmp_eq_u32_e64 s11, 5, v78
	v_cndmask_b32_e64 v81, v81, v71, s10
	v_cndmask_b32_e64 v87, v87, v85, s10
	v_cmp_eq_u32_e64 s12, 4, v79
	v_cndmask_b32_e64 v88, v88, v95, s9
	v_cmp_eq_u32_e64 s6, 1, v77
	v_cndmask_b32_e64 v89, v89, v84, s7
	v_cndmask_b32_e64 v81, v81, v96, s11
	v_cmp_eq_u32_e64 s13, 6, v78
	v_cndmask_b32_e64 v88, v88, v71, s12
	;; [unrolled: 3-line block ×3, first 2 shown]
	v_cndmask_b32_e64 v89, v89, v98, s9
	v_cndmask_b32_e64 v81, v81, v72, s13
	v_cmp_eq_u32_e64 s16, 7, v78
	v_cndmask_b32_e64 v88, v88, v96, s15
	v_cndmask_b32_e64 v87, v87, v86, s13
	v_cmp_eq_u32_e64 s17, 6, v79
	v_cmp_eq_u32_e64 s18, 2, v77
	v_cndmask_b32_e64 v89, v89, v85, s12
	v_cndmask_b32_e64 v101, v81, v97, s16
	;; [unrolled: 1-line block ×6, first 2 shown]
	v_cmp_eq_u32_e64 s19, 7, v79
	v_cmp_eq_u32_e64 s20, 3, v77
	;; [unrolled: 1-line block ×4, first 2 shown]
	v_cndmask_b32_e64 v87, v87, v84, s18
	v_cndmask_b32_e64 v103, v88, v97, s19
	;; [unrolled: 1-line block ×4, first 2 shown]
	v_or_b32_e32 v81, 3, v78
	v_cndmask_b32_e64 v93, v87, v98, s20
	v_cmp_eq_u32_e64 s25, 6, v77
	v_cndmask_b32_e64 v104, v88, v86, s17
	v_cndmask_b32_e64 v92, v89, v71, s21
	v_cmp_eq_u32_e64 s22, 1, v81
	ds_load_b128 v[87:90], v82 offset:1024
	v_cmp_eq_u32_e64 s24, 2, v81
	v_cmp_eq_u32_e64 s26, 3, v81
	v_cndmask_b32_e64 v105, v92, v96, s23
	v_cndmask_b32_e64 v66, v69, v66, s22
	;; [unrolled: 1-line block ×4, first 2 shown]
	ds_load_b128 v[91:94], v82 offset:1040
	v_cmp_eq_u32_e64 s27, 4, v81
	v_cndmask_b32_e64 v66, v66, v70, s24
	v_cmp_eq_u32_e64 s28, 7, v77
	v_cndmask_b32_e64 v70, v83, v84, s24
	v_cndmask_b32_e64 v84, v105, v72, s25
	v_cmp_eq_u32_e64 s29, 5, v81
	v_cndmask_b32_e64 v66, v66, v95, s26
	v_cmp_eq_u32_e64 s30, 6, v81
	v_cndmask_b32_e64 v70, v70, v98, s26
	v_cndmask_b32_e64 v69, v69, v99, s23
	;; [unrolled: 1-line block ×4, first 2 shown]
	s_waitcnt lgkmcnt(1)
	v_lshrrev_b32_e32 v95, 16, v87
	v_cndmask_b32_e64 v70, v70, v85, s27
	v_cndmask_b32_e64 v71, v84, v97, s28
	;; [unrolled: 1-line block ×4, first 2 shown]
	v_cndmask_b32_e32 v84, v87, v95, vcc_lo
	v_cndmask_b32_e64 v70, v70, v99, s29
	s_waitcnt lgkmcnt(0)
	v_lshrrev_b32_e32 v85, 16, v91
	v_lshrrev_b32_e32 v96, 16, v88
	v_cndmask_b32_e64 v98, v87, v95, s4
	v_cndmask_b32_e64 v84, v84, v88, s5
	;; [unrolled: 1-line block ×3, first 2 shown]
	v_cndmask_b32_e32 v99, v91, v85, vcc_lo
	v_cmp_eq_u32_e32 vcc_lo, 7, v81
	v_cndmask_b32_e64 v66, v66, v72, s30
	v_cndmask_b32_e64 v72, v84, v96, s8
	;; [unrolled: 1-line block ×3, first 2 shown]
	v_lshrrev_b32_e32 v98, 16, v92
	v_cndmask_b32_e32 v70, v70, v100, vcc_lo
	v_cndmask_b32_e64 v86, v99, v92, s5
	v_cndmask_b32_e64 v69, v69, v100, s28
	v_lshrrev_b32_e32 v100, 16, v93
	v_cndmask_b32_e64 v72, v72, v89, s10
	v_lshrrev_b32_e32 v99, 16, v89
	v_cndmask_b32_e64 v86, v86, v98, s8
	v_perm_b32 v71, v69, v71, 0x5040100
	v_cndmask_b32_e64 v84, v84, v96, s9
	s_delay_alu instid0(VALU_DEP_3) | instskip(NEXT) | instid1(VALU_DEP_2)
	v_cndmask_b32_e64 v86, v86, v93, s10
	v_cndmask_b32_e64 v84, v84, v89, s12
	s_delay_alu instid0(VALU_DEP_2) | instskip(NEXT) | instid1(VALU_DEP_1)
	v_cndmask_b32_e64 v86, v86, v100, s11
	v_cndmask_b32_e64 v69, v86, v94, s13
	v_cndmask_b32_e64 v86, v87, v95, s6
	v_cndmask_b32_e64 v87, v87, v95, s22
	v_cndmask_b32_e64 v95, v91, v85, s22
	s_delay_alu instid0(VALU_DEP_3) | instskip(NEXT) | instid1(VALU_DEP_3)
	v_cndmask_b32_e64 v86, v86, v88, s18
	v_cndmask_b32_e64 v87, v87, v88, s24
	s_delay_alu instid0(VALU_DEP_3) | instskip(NEXT) | instid1(VALU_DEP_3)
	v_cndmask_b32_e64 v88, v95, v92, s24
	v_cndmask_b32_e64 v86, v86, v96, s20
	;; [unrolled: 3-line block ×7, first 2 shown]
	s_delay_alu instid0(VALU_DEP_3) | instskip(SKIP_2) | instid1(VALU_DEP_2)
	v_cndmask_b32_e64 v88, v88, v94, s30
	v_cndmask_b32_e32 v66, v66, v97, vcc_lo
	v_cndmask_b32_e64 v97, v72, v99, s11
	v_perm_b32 v72, v70, v66, 0x5040100
	v_perm_b32 v70, v83, v103, 0x5040100
	v_cndmask_b32_e64 v103, v91, v85, s6
	v_cndmask_b32_e64 v85, v91, v85, s4
	v_cndmask_b32_e64 v66, v84, v99, s15
	v_cndmask_b32_e64 v84, v97, v90, s13
	v_lshrrev_b32_e32 v97, 16, v90
	v_cndmask_b32_e64 v91, v103, v92, s18
	v_cndmask_b32_e64 v85, v85, v92, s7
	;; [unrolled: 1-line block ×3, first 2 shown]
	s_mov_b32 s4, exec_lo
	v_cndmask_b32_e64 v83, v84, v97, s16
	v_cndmask_b32_e64 v91, v91, v98, s20
	;; [unrolled: 1-line block ×3, first 2 shown]
	v_lshrrev_b32_e32 v84, 16, v94
	v_cndmask_b32_e64 v66, v66, v97, s19
	v_cndmask_b32_e64 v90, v86, v97, s28
	;; [unrolled: 1-line block ×4, first 2 shown]
	v_dual_cndmask_b32 v86, v87, v97 :: v_dual_cndmask_b32 v87, v88, v84
	v_cndmask_b32_e64 v91, v69, v84, s16
	s_delay_alu instid0(VALU_DEP_4) | instskip(NEXT) | instid1(VALU_DEP_4)
	v_cndmask_b32_e64 v89, v89, v100, s23
	v_cndmask_b32_e64 v85, v85, v100, s15
	v_perm_b32 v69, v102, v101, 0x5040100
	v_perm_b32 v86, v87, v86, 0x5040100
	;; [unrolled: 1-line block ×3, first 2 shown]
	v_cndmask_b32_e64 v89, v89, v94, s25
	v_cndmask_b32_e64 v85, v85, v94, s17
	s_mul_i32 s9, s37, 3
	s_delay_alu instid0(VALU_DEP_2) | instskip(NEXT) | instid1(VALU_DEP_2)
	v_cndmask_b32_e64 v88, v89, v84, s28
	v_cndmask_b32_e64 v89, v85, v84, s19
	s_delay_alu instid0(VALU_DEP_2) | instskip(NEXT) | instid1(VALU_DEP_2)
	v_perm_b32 v85, v88, v90, 0x5040100
	v_perm_b32 v84, v89, v66, 0x5040100
	ds_store_b128 v76, v[69:72]
	ds_store_b128 v76, v[83:86] offset:1024
	v_cmpx_gt_u32_e32 3, v0
	s_cbranch_execz .LBB1728_78
; %bb.77:
	s_mul_i32 s5, s9, s34
	s_load_b128 s[16:19], s[0:1], 0x58
	v_add3_u32 v69, s5, s31, v65
	s_delay_alu instid0(VALU_DEP_1) | instskip(NEXT) | instid1(VALU_DEP_1)
	v_mad_u64_u32 v[65:66], null, v69, s36, s[14:15]
	v_ashrrev_i32_e32 v66, 31, v65
	s_delay_alu instid0(VALU_DEP_1) | instskip(SKIP_1) | instid1(VALU_DEP_1)
	v_lshlrev_b64 v[65:66], 2, v[65:66]
	s_waitcnt lgkmcnt(0)
	v_add_co_u32 v69, vcc_lo, s18, v65
	s_delay_alu instid0(VALU_DEP_2)
	v_add_co_ci_u32_e32 v70, vcc_lo, s19, v66, vcc_lo
	v_add_co_u32 v65, vcc_lo, s16, v65
	v_add_co_ci_u32_e32 v66, vcc_lo, s17, v66, vcc_lo
	global_store_b32 v[69:70], v67, off
	global_store_b32 v[65:66], v68, off
.LBB1728_78:
	s_or_b32 exec_lo, exec_lo, s4
	s_waitcnt lgkmcnt(0)
	s_waitcnt_vscnt null, 0x0
	s_barrier
	buffer_gl0_inv
	ds_load_b128 v[83:86], v80
	ds_load_b128 v[87:90], v80 offset:16
	ds_load_b128 v[95:98], v80 offset:2064
	;; [unrolled: 1-line block ×3, first 2 shown]
	v_mov_b32_e32 v65, 0
	ds_load_b128 v[103:106], v80 offset:4112
	ds_load_b128 v[99:102], v80 offset:4096
	;; [unrolled: 1-line block ×4, first 2 shown]
	v_mov_b32_e32 v66, v65
	v_mov_b32_e32 v67, v65
	;; [unrolled: 1-line block ×7, first 2 shown]
	s_waitcnt lgkmcnt(6)
	s_delay_alu instid0(VALU_DEP_1)
	v_wmma_f32_16x16x16_bf16 v[65:72], v[57:64], v[83:90], v[65:72]
	ds_load_b128 v[61:64], v80 offset:8208
	ds_load_b128 v[57:60], v80 offset:8192
	s_waitcnt lgkmcnt(6)
	v_wmma_f32_16x16x16_bf16 v[65:72], v[41:48], v[91:98], v[65:72]
	ds_load_b128 v[45:48], v80 offset:10256
	ds_load_b128 v[41:44], v80 offset:10240
	s_waitcnt lgkmcnt(6)
	;; [unrolled: 4-line block ×4, first 2 shown]
	v_wmma_f32_16x16x16_bf16 v[65:72], v[1:8], v[57:64], v[65:72]
	s_waitcnt lgkmcnt(4)
	s_delay_alu instid0(VALU_DEP_1) | instskip(SKIP_1) | instid1(VALU_DEP_1)
	v_wmma_f32_16x16x16_bf16 v[65:72], v[9:16], v[41:48], v[65:72]
	s_waitcnt lgkmcnt(2)
	v_wmma_f32_16x16x16_bf16 v[65:72], v[17:24], v[33:40], v[65:72]
	s_waitcnt lgkmcnt(0)
	s_delay_alu instid0(VALU_DEP_1) | instskip(NEXT) | instid1(VALU_DEP_1)
	v_wmma_f32_16x16x16_bf16 v[65:72], v[49:56], v[25:32], v[65:72]
	v_and_b32_e32 v1, 0x7f800000, v65
	s_delay_alu instid0(VALU_DEP_1) | instskip(SKIP_1) | instid1(SALU_CYCLE_1)
	v_cmp_ne_u32_e32 vcc_lo, 0x7f800000, v1
                                        ; implicit-def: $vgpr1
	s_and_saveexec_b32 s4, vcc_lo
	s_xor_b32 s4, exec_lo, s4
; %bb.79:
	v_bfe_u32 v1, v65, 16, 1
	s_delay_alu instid0(VALU_DEP_1)
	v_add3_u32 v1, v65, v1, 0x7fff
; %bb.80:
	s_and_not1_saveexec_b32 s4, s4
; %bb.81:
	v_and_b32_e32 v1, 0xffff, v65
	v_or_b32_e32 v2, 0x10000, v65
	s_delay_alu instid0(VALU_DEP_2) | instskip(NEXT) | instid1(VALU_DEP_2)
	v_cmp_eq_u32_e32 vcc_lo, 0, v1
	v_cndmask_b32_e32 v1, v2, v65, vcc_lo
; %bb.82:
	s_or_b32 exec_lo, exec_lo, s4
	v_and_b32_e32 v2, 0x7f800000, v66
	s_delay_alu instid0(VALU_DEP_1) | instskip(SKIP_1) | instid1(SALU_CYCLE_1)
	v_cmp_ne_u32_e32 vcc_lo, 0x7f800000, v2
                                        ; implicit-def: $vgpr2
	s_and_saveexec_b32 s4, vcc_lo
	s_xor_b32 s4, exec_lo, s4
; %bb.83:
	v_bfe_u32 v2, v66, 16, 1
	s_delay_alu instid0(VALU_DEP_1)
	v_add3_u32 v2, v66, v2, 0x7fff
; %bb.84:
	s_and_not1_saveexec_b32 s4, s4
; %bb.85:
	v_and_b32_e32 v2, 0xffff, v66
	v_or_b32_e32 v3, 0x10000, v66
	s_delay_alu instid0(VALU_DEP_2) | instskip(NEXT) | instid1(VALU_DEP_2)
	v_cmp_eq_u32_e32 vcc_lo, 0, v2
	v_cndmask_b32_e32 v2, v3, v66, vcc_lo
; %bb.86:
	s_or_b32 exec_lo, exec_lo, s4
	v_and_b32_e32 v3, 0x7f800000, v67
	s_delay_alu instid0(VALU_DEP_1) | instskip(SKIP_1) | instid1(SALU_CYCLE_1)
	v_cmp_ne_u32_e32 vcc_lo, 0x7f800000, v3
                                        ; implicit-def: $vgpr3
	s_and_saveexec_b32 s4, vcc_lo
	s_xor_b32 s4, exec_lo, s4
; %bb.87:
	v_bfe_u32 v3, v67, 16, 1
	s_delay_alu instid0(VALU_DEP_1)
	v_add3_u32 v3, v67, v3, 0x7fff
; %bb.88:
	s_and_not1_saveexec_b32 s4, s4
; %bb.89:
	v_and_b32_e32 v3, 0xffff, v67
	v_or_b32_e32 v4, 0x10000, v67
	s_delay_alu instid0(VALU_DEP_2) | instskip(NEXT) | instid1(VALU_DEP_2)
	v_cmp_eq_u32_e32 vcc_lo, 0, v3
	v_cndmask_b32_e32 v3, v4, v67, vcc_lo
; %bb.90:
	s_or_b32 exec_lo, exec_lo, s4
	v_and_b32_e32 v4, 0x7f800000, v68
	s_delay_alu instid0(VALU_DEP_1) | instskip(SKIP_1) | instid1(SALU_CYCLE_1)
	v_cmp_ne_u32_e32 vcc_lo, 0x7f800000, v4
                                        ; implicit-def: $vgpr4
	s_and_saveexec_b32 s4, vcc_lo
	s_xor_b32 s4, exec_lo, s4
; %bb.91:
	v_bfe_u32 v4, v68, 16, 1
	s_delay_alu instid0(VALU_DEP_1)
	v_add3_u32 v4, v68, v4, 0x7fff
; %bb.92:
	s_and_not1_saveexec_b32 s4, s4
; %bb.93:
	v_and_b32_e32 v4, 0xffff, v68
	v_or_b32_e32 v5, 0x10000, v68
	s_delay_alu instid0(VALU_DEP_2) | instskip(NEXT) | instid1(VALU_DEP_2)
	v_cmp_eq_u32_e32 vcc_lo, 0, v4
	v_cndmask_b32_e32 v4, v5, v68, vcc_lo
; %bb.94:
	s_or_b32 exec_lo, exec_lo, s4
	v_and_b32_e32 v5, 0x7f800000, v69
	s_delay_alu instid0(VALU_DEP_1) | instskip(SKIP_1) | instid1(SALU_CYCLE_1)
	v_cmp_ne_u32_e32 vcc_lo, 0x7f800000, v5
                                        ; implicit-def: $vgpr5
	s_and_saveexec_b32 s4, vcc_lo
	s_xor_b32 s4, exec_lo, s4
; %bb.95:
	v_bfe_u32 v5, v69, 16, 1
	s_delay_alu instid0(VALU_DEP_1)
	v_add3_u32 v5, v69, v5, 0x7fff
; %bb.96:
	s_and_not1_saveexec_b32 s4, s4
; %bb.97:
	v_and_b32_e32 v5, 0xffff, v69
	v_or_b32_e32 v6, 0x10000, v69
	s_delay_alu instid0(VALU_DEP_2) | instskip(NEXT) | instid1(VALU_DEP_2)
	v_cmp_eq_u32_e32 vcc_lo, 0, v5
	v_cndmask_b32_e32 v5, v6, v69, vcc_lo
; %bb.98:
	s_or_b32 exec_lo, exec_lo, s4
	v_and_b32_e32 v6, 0x7f800000, v70
	s_delay_alu instid0(VALU_DEP_1) | instskip(SKIP_1) | instid1(SALU_CYCLE_1)
	v_cmp_ne_u32_e32 vcc_lo, 0x7f800000, v6
                                        ; implicit-def: $vgpr6
	s_and_saveexec_b32 s4, vcc_lo
	s_xor_b32 s4, exec_lo, s4
; %bb.99:
	v_bfe_u32 v6, v70, 16, 1
	s_delay_alu instid0(VALU_DEP_1)
	v_add3_u32 v6, v70, v6, 0x7fff
; %bb.100:
	s_and_not1_saveexec_b32 s4, s4
; %bb.101:
	v_and_b32_e32 v6, 0xffff, v70
	v_or_b32_e32 v7, 0x10000, v70
	s_delay_alu instid0(VALU_DEP_2) | instskip(NEXT) | instid1(VALU_DEP_2)
	v_cmp_eq_u32_e32 vcc_lo, 0, v6
	v_cndmask_b32_e32 v6, v7, v70, vcc_lo
; %bb.102:
	s_or_b32 exec_lo, exec_lo, s4
	v_and_b32_e32 v7, 0x7f800000, v71
	s_delay_alu instid0(VALU_DEP_1) | instskip(SKIP_1) | instid1(SALU_CYCLE_1)
	v_cmp_ne_u32_e32 vcc_lo, 0x7f800000, v7
                                        ; implicit-def: $vgpr7
	s_and_saveexec_b32 s4, vcc_lo
	s_xor_b32 s4, exec_lo, s4
; %bb.103:
	v_bfe_u32 v7, v71, 16, 1
	s_delay_alu instid0(VALU_DEP_1)
	v_add3_u32 v7, v71, v7, 0x7fff
; %bb.104:
	s_and_not1_saveexec_b32 s4, s4
; %bb.105:
	v_and_b32_e32 v7, 0xffff, v71
	v_or_b32_e32 v8, 0x10000, v71
	s_delay_alu instid0(VALU_DEP_2) | instskip(NEXT) | instid1(VALU_DEP_2)
	v_cmp_eq_u32_e32 vcc_lo, 0, v7
	v_cndmask_b32_e32 v7, v8, v71, vcc_lo
; %bb.106:
	s_or_b32 exec_lo, exec_lo, s4
	v_and_b32_e32 v8, 0x7f800000, v72
	s_delay_alu instid0(VALU_DEP_1) | instskip(SKIP_1) | instid1(SALU_CYCLE_1)
	v_cmp_ne_u32_e32 vcc_lo, 0x7f800000, v8
                                        ; implicit-def: $vgpr8
	s_and_saveexec_b32 s4, vcc_lo
	s_xor_b32 s4, exec_lo, s4
; %bb.107:
	v_bfe_u32 v8, v72, 16, 1
	s_delay_alu instid0(VALU_DEP_1)
	v_add3_u32 v8, v72, v8, 0x7fff
                                        ; implicit-def: $vgpr65_vgpr66_vgpr67_vgpr68_vgpr69_vgpr70_vgpr71_vgpr72
; %bb.108:
	s_and_not1_saveexec_b32 s4, s4
; %bb.109:
	v_and_b32_e32 v8, 0xffff, v72
	v_or_b32_e32 v9, 0x10000, v72
	s_delay_alu instid0(VALU_DEP_2) | instskip(NEXT) | instid1(VALU_DEP_2)
	v_cmp_eq_u32_e32 vcc_lo, 0, v8
	v_cndmask_b32_e32 v8, v9, v72, vcc_lo
; %bb.110:
	s_or_b32 exec_lo, exec_lo, s4
	s_delay_alu instid0(VALU_DEP_1)
	v_perm_b32 v7, v8, v7, 0x7060302
	v_perm_b32 v6, v6, v5, 0x7060302
	;; [unrolled: 1-line block ×4, first 2 shown]
	s_barrier
	buffer_gl0_inv
	v_cmp_eq_u32_e32 vcc_lo, 1, v78
	ds_store_b128 v76, v[4:7]
	s_waitcnt lgkmcnt(0)
	s_barrier
	buffer_gl0_inv
	ds_load_b128 v[1:4], v82
	ds_load_b128 v[5:8], v82 offset:16
	v_cmp_eq_u32_e64 s4, 1, v79
	v_cmp_eq_u32_e64 s5, 2, v78
	;; [unrolled: 1-line block ×5, first 2 shown]
	s_waitcnt lgkmcnt(1)
	v_lshrrev_b32_e32 v9, 16, v1
	s_waitcnt lgkmcnt(0)
	v_lshrrev_b32_e32 v13, 16, v5
	v_lshrrev_b32_e32 v10, 16, v2
	;; [unrolled: 1-line block ×4, first 2 shown]
	v_cndmask_b32_e64 v19, v1, v9, s4
	v_cndmask_b32_e32 v18, v5, v13, vcc_lo
	v_cndmask_b32_e64 v20, v5, v13, s4
	v_cndmask_b32_e32 v17, v1, v9, vcc_lo
	v_cmp_eq_u32_e32 vcc_lo, 2, v79
	v_lshrrev_b32_e32 v15, 16, v7
	v_cmp_eq_u32_e64 s4, 1, v77
	v_lshrrev_b32_e32 v12, 16, v4
	v_lshrrev_b32_e32 v16, 16, v8
	v_cndmask_b32_e32 v20, v20, v6, vcc_lo
	v_cndmask_b32_e64 v17, v17, v2, s5
	v_cndmask_b32_e32 v19, v19, v2, vcc_lo
	v_cndmask_b32_e64 v18, v18, v6, s5
	v_cmp_eq_u32_e32 vcc_lo, 4, v78
	v_cmp_eq_u32_e64 s5, 3, v79
	v_cndmask_b32_e64 v17, v17, v10, s6
	v_cndmask_b32_e64 v21, v1, v9, s4
	v_cndmask_b32_e64 v18, v18, v14, s6
	v_cndmask_b32_e64 v22, v5, v13, s4
	v_cndmask_b32_e64 v19, v19, v10, s5
	v_cndmask_b32_e32 v17, v17, v3, vcc_lo
	v_cndmask_b32_e64 v20, v20, v14, s5
	v_cndmask_b32_e32 v18, v18, v7, vcc_lo
	v_cmp_eq_u32_e32 vcc_lo, 4, v79
	v_cmp_eq_u32_e64 s5, 5, v79
	v_cmp_eq_u32_e64 s4, 2, v81
	v_cndmask_b32_e64 v21, v21, v2, s8
	v_cmp_eq_u32_e64 s6, 5, v78
	v_cndmask_b32_e32 v19, v19, v3, vcc_lo
	v_cndmask_b32_e32 v20, v20, v7, vcc_lo
	v_cmp_eq_u32_e32 vcc_lo, 6, v79
	s_delay_alu instid0(VALU_DEP_4) | instskip(NEXT) | instid1(VALU_DEP_4)
	v_cndmask_b32_e64 v17, v17, v11, s6
	v_cndmask_b32_e64 v19, v19, v11, s5
	s_delay_alu instid0(VALU_DEP_4) | instskip(SKIP_1) | instid1(VALU_DEP_3)
	v_cndmask_b32_e64 v20, v20, v15, s5
	v_cmp_eq_u32_e64 s5, 1, v81
	v_cndmask_b32_e32 v19, v19, v4, vcc_lo
	v_cndmask_b32_e64 v18, v18, v15, s6
	s_delay_alu instid0(VALU_DEP_3)
	v_cndmask_b32_e64 v1, v1, v9, s5
	v_cndmask_b32_e64 v5, v5, v13, s5
	v_cmp_eq_u32_e64 s5, 3, v77
	v_cndmask_b32_e64 v13, v22, v6, s8
	v_cmp_eq_u32_e64 s8, 3, v81
	v_cndmask_b32_e64 v1, v1, v2, s4
	v_cndmask_b32_e64 v2, v5, v6, s4
	;; [unrolled: 1-line block ×3, first 2 shown]
	v_cmp_eq_u32_e64 s4, 4, v77
	v_cndmask_b32_e64 v6, v13, v14, s5
	v_cndmask_b32_e64 v1, v1, v10, s8
	v_cmp_eq_u32_e64 s5, 4, v81
	v_cndmask_b32_e64 v2, v2, v14, s8
	v_cndmask_b32_e64 v5, v9, v3, s4
	;; [unrolled: 3-line block ×3, first 2 shown]
	v_cndmask_b32_e64 v2, v2, v7, s5
	v_cmp_eq_u32_e64 s4, 5, v81
	v_cmp_eq_u32_e64 s6, 6, v78
	v_cndmask_b32_e64 v5, v5, v11, s8
	v_cmp_eq_u32_e64 s5, 6, v77
	v_cndmask_b32_e64 v3, v6, v15, s8
	v_cndmask_b32_e64 v1, v1, v11, s4
	v_cmp_eq_u32_e64 s8, 6, v81
	v_cndmask_b32_e64 v2, v2, v15, s4
	v_cndmask_b32_e64 v17, v17, v4, s6
	v_cndmask_b32_e64 v18, v18, v8, s6
	v_cmp_eq_u32_e64 s6, 7, v78
	v_cndmask_b32_e64 v5, v5, v4, s5
	;; [unrolled: 4-line block ×3, first 2 shown]
	v_cmp_eq_u32_e64 s5, 7, v77
	v_cndmask_b32_e32 v4, v20, v8, vcc_lo
	v_cndmask_b32_e64 v17, v17, v12, s6
	v_cndmask_b32_e64 v19, v19, v12, s7
	v_cndmask_b32_e64 v1, v1, v12, s4
	v_cndmask_b32_e64 v5, v5, v12, s5
	v_cndmask_b32_e64 v2, v2, v16, s4
	v_cndmask_b32_e64 v3, v3, v16, s5
	v_cndmask_b32_e64 v6, v4, v16, s7
	v_cndmask_b32_e64 v7, v18, v16, s6
	v_cmp_gt_u32_e32 vcc_lo, 32, v0
	v_perm_b32 v4, v2, v1, 0x5040100
	v_perm_b32 v3, v3, v5, 0x5040100
	;; [unrolled: 1-line block ×4, first 2 shown]
	s_and_b32 s2, vcc_lo, s2
	ds_store_b128 v76, v[1:4]
	s_waitcnt lgkmcnt(0)
	s_barrier
	buffer_gl0_inv
	s_and_saveexec_b32 s4, s2
	s_cbranch_execz .LBB1728_2
; %bb.111:
	s_load_b64 s[4:5], s[0:1], 0x68
	v_lshlrev_b32_e32 v0, 10, v0
	v_lshlrev_b32_e32 v2, 4, v75
	v_add_nc_u32_e32 v1, s31, v74
	s_lshl_b32 s0, s36, 6
	s_delay_alu instid0(SALU_CYCLE_1) | instskip(NEXT) | instid1(VALU_DEP_2)
	s_mul_i32 s1, s0, s34
	v_and_or_b32 v0, 0x3800, v0, v2
	s_mul_i32 s6, s1, s9
	v_mul_lo_u32 v1, v1, s0
	s_ashr_i32 s7, s6, 31
	s_delay_alu instid0(VALU_DEP_2) | instskip(SKIP_1) | instid1(VALU_DEP_2)
	v_lshl_or_b32 v3, v74, 6, v0
	s_lshl_b64 s[6:7], s[6:7], 1
	v_ashrrev_i32_e32 v2, 31, v1
	ds_load_b128 v[3:6], v3
	s_waitcnt lgkmcnt(0)
	s_add_u32 s1, s4, s6
	s_addc_u32 s2, s5, s7
	s_lshl_b32 s4, s14, 6
	v_lshlrev_b64 v[7:8], 1, v[1:2]
	s_ashr_i32 s5, s4, 31
	s_delay_alu instid0(SALU_CYCLE_1) | instskip(NEXT) | instid1(SALU_CYCLE_1)
	s_lshl_b64 s[4:5], s[4:5], 1
	s_add_u32 s1, s1, s4
	s_addc_u32 s2, s2, s5
	v_add_co_u32 v1, s1, s1, v73
	s_delay_alu instid0(VALU_DEP_1) | instskip(NEXT) | instid1(VALU_DEP_2)
	v_add_co_ci_u32_e64 v2, null, s2, 0, s1
	v_add_co_u32 v7, vcc_lo, v1, v7
	s_delay_alu instid0(VALU_DEP_2)
	v_add_co_ci_u32_e32 v8, vcc_lo, v2, v8, vcc_lo
	global_store_b128 v[7:8], v[3:6], off
	s_and_b32 exec_lo, exec_lo, s3
	s_cbranch_execz .LBB1728_2
; %bb.112:
	ds_load_b128 v[3:6], v0 offset:128
	s_add_i32 s1, s31, 2
	s_delay_alu instid0(SALU_CYCLE_1) | instskip(NEXT) | instid1(SALU_CYCLE_1)
	s_mul_i32 s0, s1, s0
	s_ashr_i32 s1, s0, 31
	s_delay_alu instid0(SALU_CYCLE_1) | instskip(NEXT) | instid1(SALU_CYCLE_1)
	s_lshl_b64 s[0:1], s[0:1], 1
	v_add_co_u32 v0, vcc_lo, v1, s0
	v_add_co_ci_u32_e32 v1, vcc_lo, s1, v2, vcc_lo
	s_waitcnt lgkmcnt(0)
	global_store_b128 v[0:1], v[3:6], off
	s_nop 0
	s_sendmsg sendmsg(MSG_DEALLOC_VGPRS)
	s_endpgm
	.section	.rodata,"a",@progbits
	.p2align	6, 0x0
	.amdhsa_kernel _Z39paged_attention_ll4mi_QKV_mfma16_kernelI14__hip_bfloat16hLN4vllm18Fp8KVCacheDataTypeE1ES0_Li16ELi64ELi256ELb0ELi3EL8MFMAType0EEvPKT_PKT0_S9_ifPKiSB_SB_iPKfiiiPfSE_PS4_PT2_iSD_SD_
		.amdhsa_group_segment_fixed_size 17472
		.amdhsa_private_segment_fixed_size 0
		.amdhsa_kernarg_size 400
		.amdhsa_user_sgpr_count 13
		.amdhsa_user_sgpr_dispatch_ptr 0
		.amdhsa_user_sgpr_queue_ptr 0
		.amdhsa_user_sgpr_kernarg_segment_ptr 1
		.amdhsa_user_sgpr_dispatch_id 0
		.amdhsa_user_sgpr_private_segment_size 0
		.amdhsa_wavefront_size32 1
		.amdhsa_uses_dynamic_stack 0
		.amdhsa_enable_private_segment 0
		.amdhsa_system_sgpr_workgroup_id_x 1
		.amdhsa_system_sgpr_workgroup_id_y 1
		.amdhsa_system_sgpr_workgroup_id_z 1
		.amdhsa_system_sgpr_workgroup_info 0
		.amdhsa_system_vgpr_workitem_id 0
		.amdhsa_next_free_vgpr 124
		.amdhsa_next_free_sgpr 40
		.amdhsa_reserve_vcc 1
		.amdhsa_float_round_mode_32 0
		.amdhsa_float_round_mode_16_64 0
		.amdhsa_float_denorm_mode_32 3
		.amdhsa_float_denorm_mode_16_64 3
		.amdhsa_dx10_clamp 1
		.amdhsa_ieee_mode 1
		.amdhsa_fp16_overflow 0
		.amdhsa_workgroup_processor_mode 1
		.amdhsa_memory_ordered 1
		.amdhsa_forward_progress 0
		.amdhsa_shared_vgpr_count 0
		.amdhsa_exception_fp_ieee_invalid_op 0
		.amdhsa_exception_fp_denorm_src 0
		.amdhsa_exception_fp_ieee_div_zero 0
		.amdhsa_exception_fp_ieee_overflow 0
		.amdhsa_exception_fp_ieee_underflow 0
		.amdhsa_exception_fp_ieee_inexact 0
		.amdhsa_exception_int_div_zero 0
	.end_amdhsa_kernel
	.section	.text._Z39paged_attention_ll4mi_QKV_mfma16_kernelI14__hip_bfloat16hLN4vllm18Fp8KVCacheDataTypeE1ES0_Li16ELi64ELi256ELb0ELi3EL8MFMAType0EEvPKT_PKT0_S9_ifPKiSB_SB_iPKfiiiPfSE_PS4_PT2_iSD_SD_,"axG",@progbits,_Z39paged_attention_ll4mi_QKV_mfma16_kernelI14__hip_bfloat16hLN4vllm18Fp8KVCacheDataTypeE1ES0_Li16ELi64ELi256ELb0ELi3EL8MFMAType0EEvPKT_PKT0_S9_ifPKiSB_SB_iPKfiiiPfSE_PS4_PT2_iSD_SD_,comdat
.Lfunc_end1728:
	.size	_Z39paged_attention_ll4mi_QKV_mfma16_kernelI14__hip_bfloat16hLN4vllm18Fp8KVCacheDataTypeE1ES0_Li16ELi64ELi256ELb0ELi3EL8MFMAType0EEvPKT_PKT0_S9_ifPKiSB_SB_iPKfiiiPfSE_PS4_PT2_iSD_SD_, .Lfunc_end1728-_Z39paged_attention_ll4mi_QKV_mfma16_kernelI14__hip_bfloat16hLN4vllm18Fp8KVCacheDataTypeE1ES0_Li16ELi64ELi256ELb0ELi3EL8MFMAType0EEvPKT_PKT0_S9_ifPKiSB_SB_iPKfiiiPfSE_PS4_PT2_iSD_SD_
                                        ; -- End function
	.section	.AMDGPU.csdata,"",@progbits
; Kernel info:
; codeLenInByte = 8700
; NumSgprs: 42
; NumVgprs: 124
; ScratchSize: 0
; MemoryBound: 0
; FloatMode: 240
; IeeeMode: 1
; LDSByteSize: 17472 bytes/workgroup (compile time only)
; SGPRBlocks: 5
; VGPRBlocks: 15
; NumSGPRsForWavesPerEU: 42
; NumVGPRsForWavesPerEU: 124
; Occupancy: 10
; WaveLimiterHint : 1
; COMPUTE_PGM_RSRC2:SCRATCH_EN: 0
; COMPUTE_PGM_RSRC2:USER_SGPR: 13
; COMPUTE_PGM_RSRC2:TRAP_HANDLER: 0
; COMPUTE_PGM_RSRC2:TGID_X_EN: 1
; COMPUTE_PGM_RSRC2:TGID_Y_EN: 1
; COMPUTE_PGM_RSRC2:TGID_Z_EN: 1
; COMPUTE_PGM_RSRC2:TIDIG_COMP_CNT: 0
	.section	.text._Z39paged_attention_ll4mi_QKV_mfma16_kernelI14__hip_bfloat16hLN4vllm18Fp8KVCacheDataTypeE1ES0_Li16ELi64ELi256ELb0ELi4EL8MFMAType0EEvPKT_PKT0_S9_ifPKiSB_SB_iPKfiiiPfSE_PS4_PT2_iSD_SD_,"axG",@progbits,_Z39paged_attention_ll4mi_QKV_mfma16_kernelI14__hip_bfloat16hLN4vllm18Fp8KVCacheDataTypeE1ES0_Li16ELi64ELi256ELb0ELi4EL8MFMAType0EEvPKT_PKT0_S9_ifPKiSB_SB_iPKfiiiPfSE_PS4_PT2_iSD_SD_,comdat
	.protected	_Z39paged_attention_ll4mi_QKV_mfma16_kernelI14__hip_bfloat16hLN4vllm18Fp8KVCacheDataTypeE1ES0_Li16ELi64ELi256ELb0ELi4EL8MFMAType0EEvPKT_PKT0_S9_ifPKiSB_SB_iPKfiiiPfSE_PS4_PT2_iSD_SD_ ; -- Begin function _Z39paged_attention_ll4mi_QKV_mfma16_kernelI14__hip_bfloat16hLN4vllm18Fp8KVCacheDataTypeE1ES0_Li16ELi64ELi256ELb0ELi4EL8MFMAType0EEvPKT_PKT0_S9_ifPKiSB_SB_iPKfiiiPfSE_PS4_PT2_iSD_SD_
	.globl	_Z39paged_attention_ll4mi_QKV_mfma16_kernelI14__hip_bfloat16hLN4vllm18Fp8KVCacheDataTypeE1ES0_Li16ELi64ELi256ELb0ELi4EL8MFMAType0EEvPKT_PKT0_S9_ifPKiSB_SB_iPKfiiiPfSE_PS4_PT2_iSD_SD_
	.p2align	8
	.type	_Z39paged_attention_ll4mi_QKV_mfma16_kernelI14__hip_bfloat16hLN4vllm18Fp8KVCacheDataTypeE1ES0_Li16ELi64ELi256ELb0ELi4EL8MFMAType0EEvPKT_PKT0_S9_ifPKiSB_SB_iPKfiiiPfSE_PS4_PT2_iSD_SD_,@function
_Z39paged_attention_ll4mi_QKV_mfma16_kernelI14__hip_bfloat16hLN4vllm18Fp8KVCacheDataTypeE1ES0_Li16ELi64ELi256ELb0ELi4EL8MFMAType0EEvPKT_PKT0_S9_ifPKiSB_SB_iPKfiiiPfSE_PS4_PT2_iSD_SD_: ; @_Z39paged_attention_ll4mi_QKV_mfma16_kernelI14__hip_bfloat16hLN4vllm18Fp8KVCacheDataTypeE1ES0_Li16ELi64ELi256ELb0ELi4EL8MFMAType0EEvPKT_PKT0_S9_ifPKiSB_SB_iPKfiiiPfSE_PS4_PT2_iSD_SD_
; %bb.0:
	s_load_b64 s[2:3], s[0:1], 0x30
	s_mov_b32 s30, s13
	s_waitcnt lgkmcnt(0)
	s_cmp_lg_u64 s[2:3], 0
	s_cselect_b32 s8, -1, 0
	s_ashr_i32 s31, s13, 31
	s_cmp_eq_u64 s[2:3], 0
	s_cbranch_scc1 .LBB1729_3
; %bb.1:
	s_lshl_b64 s[4:5], s[30:31], 2
	s_delay_alu instid0(SALU_CYCLE_1) | instskip(SKIP_4) | instid1(SALU_CYCLE_1)
	s_add_u32 s4, s2, s4
	s_addc_u32 s5, s3, s5
	s_load_b64 s[4:5], s[4:5], 0x0
	s_waitcnt lgkmcnt(0)
	s_sub_i32 s4, s5, s4
	s_cmp_eq_u32 s4, 1
	s_cselect_b32 s4, -1, 0
	s_delay_alu instid0(SALU_CYCLE_1)
	s_and_not1_b32 vcc_lo, exec_lo, s4
	s_cbranch_vccz .LBB1729_4
.LBB1729_2:
	s_endpgm
.LBB1729_3:
.LBB1729_4:
	s_load_b64 s[4:5], s[0:1], 0x28
	s_lshl_b64 s[6:7], s[30:31], 2
	s_waitcnt lgkmcnt(0)
	s_add_u32 s4, s4, s6
	s_addc_u32 s5, s5, s7
	s_lshl_b32 s12, s14, 8
	s_load_b32 s24, s[4:5], 0x0
	s_waitcnt lgkmcnt(0)
	s_cmp_ge_i32 s12, s24
	s_cbranch_scc1 .LBB1729_2
; %bb.5:
	s_clause 0x1
	s_load_b128 s[20:23], s[0:1], 0x8
	s_load_b64 s[4:5], s[0:1], 0x20
	s_and_not1_b32 vcc_lo, exec_lo, s8
	s_cbranch_vccnz .LBB1729_7
; %bb.6:
	s_add_u32 s2, s2, s6
	s_addc_u32 s3, s3, s7
	s_load_b32 s3, s[2:3], 0x0
	s_branch .LBB1729_8
.LBB1729_7:
	s_mov_b32 s3, s30
.LBB1729_8:
	s_load_b128 s[16:19], s[0:1], 0x48
	v_and_b32_e32 v66, 15, v0
	v_cmp_gt_u32_e32 vcc_lo, 64, v0
	v_lshrrev_b32_e32 v65, 5, v0
	v_and_b32_e32 v67, 31, v0
	v_and_b32_e32 v74, 1, v0
	v_lshlrev_b32_e32 v1, 3, v66
	v_cmp_gt_u32_e64 s2, 8, v66
	v_bfe_u32 v75, v0, 4, 1
	s_lshl_b32 s31, s15, 2
	s_delay_alu instid0(VALU_DEP_3) | instskip(NEXT) | instid1(VALU_DEP_3)
	v_lshlrev_b32_e32 v73, 1, v1
	s_and_b32 s7, vcc_lo, s2
	s_delay_alu instid0(SALU_CYCLE_1)
	s_and_saveexec_b32 s6, s7
	s_cbranch_execz .LBB1729_10
; %bb.9:
	v_lshl_or_b32 v5, v65, 1, v75
	s_load_b64 s[8:9], s[0:1], 0x0
	s_waitcnt lgkmcnt(0)
	s_mul_hi_i32 s11, s3, s16
	s_mul_i32 s10, s3, s16
	v_lshlrev_b32_e32 v6, 10, v66
	v_or_b32_e32 v1, s31, v5
	s_lshl_b64 s[10:11], s[10:11], 1
	v_lshlrev_b32_e32 v5, 6, v5
	v_lshlrev_b32_e32 v7, 10, v74
	v_and_b32_e32 v6, 0x3800, v6
	v_lshlrev_b32_e32 v1, 6, v1
	s_delay_alu instid0(VALU_DEP_2) | instskip(NEXT) | instid1(VALU_DEP_2)
	v_or3_b32 v5, v6, v7, v5
	v_ashrrev_i32_e32 v2, 31, v1
	s_delay_alu instid0(VALU_DEP_1) | instskip(SKIP_2) | instid1(VALU_DEP_1)
	v_lshlrev_b64 v[1:2], 1, v[1:2]
	s_add_u32 s3, s8, s10
	s_addc_u32 s7, s9, s11
	v_add_co_u32 v1, vcc_lo, s3, v1
	s_delay_alu instid0(VALU_DEP_2) | instskip(NEXT) | instid1(VALU_DEP_2)
	v_add_co_ci_u32_e32 v2, vcc_lo, s7, v2, vcc_lo
	v_add_co_u32 v1, vcc_lo, v1, v73
	s_delay_alu instid0(VALU_DEP_2)
	v_add_co_ci_u32_e32 v2, vcc_lo, 0, v2, vcc_lo
	global_load_b128 v[1:4], v[1:2], off
	s_waitcnt vmcnt(0)
	ds_store_b128 v5, v[1:4]
.LBB1729_10:
	s_or_b32 exec_lo, exec_lo, s6
	v_and_b32_e32 v1, 0xef, v0
	s_waitcnt lgkmcnt(0)
	s_add_i32 s3, s24, 15
	s_clause 0x1
	s_load_b32 s6, s[0:1], 0x38
	s_load_b32 s19, s[0:1], 0x1c
	s_ashr_i32 s7, s3, 31
	v_add_nc_u32_e32 v1, s12, v1
	s_lshr_b32 s7, s7, 28
	s_waitcnt lgkmcnt(0)
	s_add_i32 s3, s3, s7
	s_barrier
	v_ashrrev_i32_e32 v2, 31, v1
	v_or_b32_e32 v3, 16, v1
	s_ashr_i32 s3, s3, 4
	v_cmp_gt_i32_e32 vcc_lo, s24, v1
	s_add_i32 s3, s3, -1
	v_lshrrev_b32_e32 v2, 28, v2
	buffer_gl0_inv
	s_mul_i32 s27, s15, s18
	v_add_nc_u32_e32 v4, v1, v2
	s_mul_i32 s6, s30, s6
	s_delay_alu instid0(SALU_CYCLE_1) | instskip(NEXT) | instid1(VALU_DEP_1)
	s_ashr_i32 s7, s6, 31
	v_ashrrev_i32_e32 v4, 4, v4
	v_add_nc_u32_e32 v2, v3, v2
	s_lshl_b64 s[6:7], s[6:7], 2
	s_delay_alu instid0(SALU_CYCLE_1) | instskip(NEXT) | instid1(VALU_DEP_2)
	s_add_u32 s26, s4, s6
	v_cndmask_b32_e32 v1, s3, v4, vcc_lo
	s_delay_alu instid0(VALU_DEP_2)
	v_ashrrev_i32_e32 v2, 4, v2
	v_cmp_gt_i32_e32 vcc_lo, s24, v3
	s_addc_u32 s25, s5, s7
	s_ashr_i32 s28, s27, 31
	s_add_u32 s13, s20, s27
	s_addc_u32 s15, s21, s28
	v_cndmask_b32_e32 v3, s3, v2, vcc_lo
	v_ashrrev_i32_e32 v2, 31, v1
	s_lshl_b32 s4, s14, 4
	s_delay_alu instid0(SALU_CYCLE_1) | instskip(NEXT) | instid1(VALU_DEP_2)
	s_ashr_i32 s5, s4, 31
	v_ashrrev_i32_e32 v4, 31, v3
	s_delay_alu instid0(VALU_DEP_2) | instskip(SKIP_1) | instid1(SALU_CYCLE_1)
	v_lshlrev_b64 v[1:2], 2, v[1:2]
	s_lshl_b64 s[4:5], s[4:5], 2
	s_add_u32 s4, s26, s4
	s_delay_alu instid0(VALU_DEP_2) | instskip(SKIP_1) | instid1(VALU_DEP_2)
	v_lshlrev_b64 v[3:4], 2, v[3:4]
	s_addc_u32 s5, s25, s5
	v_add_co_u32 v1, vcc_lo, s26, v1
	v_add_co_ci_u32_e32 v2, vcc_lo, s25, v2, vcc_lo
	s_delay_alu instid0(VALU_DEP_3) | instskip(NEXT) | instid1(VALU_DEP_4)
	v_add_co_u32 v3, vcc_lo, s26, v3
	v_add_co_ci_u32_e32 v4, vcc_lo, s25, v4, vcc_lo
	s_clause 0x1
	global_load_b32 v5, v[1:2], off
	global_load_b32 v7, v[3:4], off
	s_or_b32 s6, s12, 32
	v_lshlrev_b32_e32 v1, 4, v0
	s_ashr_i32 s7, s6, 4
	s_cmp_lt_i32 s6, s24
	s_cselect_b32 s6, s7, s3
	s_delay_alu instid0(VALU_DEP_1) | instskip(SKIP_1) | instid1(SALU_CYCLE_1)
	v_and_b32_e32 v1, 0xf0, v1
	s_ashr_i32 s7, s6, 31
	s_lshl_b64 s[6:7], s[6:7], 2
	s_delay_alu instid0(SALU_CYCLE_1)
	s_add_u32 s6, s26, s6
	s_addc_u32 s7, s25, s7
	s_or_b32 s8, s12, 64
	v_add_co_u32 v1, s13, s13, v1
	s_ashr_i32 s9, s8, 4
	s_cmp_lt_i32 s8, s24
	v_add_co_ci_u32_e64 v2, null, s15, 0, s13
	s_cselect_b32 s8, s9, s3
	s_delay_alu instid0(SALU_CYCLE_1) | instskip(NEXT) | instid1(SALU_CYCLE_1)
	s_ashr_i32 s9, s8, 31
	s_lshl_b64 s[8:9], s[8:9], 2
	s_delay_alu instid0(SALU_CYCLE_1) | instskip(SKIP_2) | instid1(SALU_CYCLE_1)
	s_add_u32 s8, s26, s8
	s_addc_u32 s9, s25, s9
	s_or_b32 s10, s12, 0x60
	s_ashr_i32 s11, s10, 4
	s_cmp_lt_i32 s10, s24
	s_cselect_b32 s10, s11, s3
	s_delay_alu instid0(SALU_CYCLE_1) | instskip(NEXT) | instid1(SALU_CYCLE_1)
	s_ashr_i32 s11, s10, 31
	s_lshl_b64 s[10:11], s[10:11], 2
	s_delay_alu instid0(SALU_CYCLE_1) | instskip(SKIP_2) | instid1(SALU_CYCLE_1)
	s_add_u32 s10, s26, s10
	s_addc_u32 s11, s25, s11
	s_or_b32 s16, s12, 0x80
	s_ashr_i32 s18, s16, 4
	s_cmp_lt_i32 s16, s24
	s_cselect_b32 s20, s18, s3
	s_delay_alu instid0(SALU_CYCLE_1) | instskip(NEXT) | instid1(SALU_CYCLE_1)
	s_ashr_i32 s21, s20, 31
	s_lshl_b64 s[20:21], s[20:21], 2
	s_delay_alu instid0(SALU_CYCLE_1) | instskip(SKIP_2) | instid1(SALU_CYCLE_1)
	s_add_u32 s34, s26, s20
	s_addc_u32 s35, s25, s21
	s_or_b32 s16, s12, 0xa0
	s_ashr_i32 s18, s16, 4
	s_cmp_lt_i32 s16, s24
	s_cselect_b32 s20, s18, s3
	s_delay_alu instid0(SALU_CYCLE_1) | instskip(NEXT) | instid1(SALU_CYCLE_1)
	s_ashr_i32 s21, s20, 31
	s_lshl_b64 s[20:21], s[20:21], 2
	s_delay_alu instid0(SALU_CYCLE_1)
	s_add_u32 s36, s26, s20
	s_addc_u32 s37, s25, s21
	s_clause 0x5
	s_load_b32 s21, s[4:5], 0x0
	s_load_b32 s13, s[6:7], 0x0
	s_load_b32 s15, s[8:9], 0x0
	s_load_b32 s16, s[10:11], 0x0
	s_load_b32 s18, s[34:35], 0x0
	s_load_b32 s20, s[36:37], 0x0
	s_or_b32 s7, s12, 0xc0
	s_mov_b32 s4, 0
	s_ashr_i32 s8, s7, 4
	s_cmp_lt_i32 s7, s24
	s_mov_b32 s5, s4
	s_cselect_b32 s10, s8, s3
	s_mov_b32 s6, s4
	s_ashr_i32 s11, s10, 31
	s_mov_b32 s7, s4
	s_lshl_b64 s[34:35], s[10:11], 2
	s_mov_b32 s11, s4
	s_add_u32 s34, s26, s34
	s_addc_u32 s35, s25, s35
	s_or_b32 s29, s12, 0xe0
	s_mov_b32 s8, s4
	s_ashr_i32 s33, s29, 4
	s_mov_b32 s9, s4
	s_mov_b32 s10, s4
	s_cmp_lt_i32 s29, s24
	v_dual_mov_b32 v107, s11 :: v_dual_mov_b32 v100, s4
	v_mov_b32_e32 v106, s10
	v_dual_mov_b32 v104, s8 :: v_dual_mov_b32 v103, s7
	v_dual_mov_b32 v102, s6 :: v_dual_mov_b32 v101, s5
	v_mov_b32_e32 v105, s9
	s_cselect_b32 s4, s33, s3
	s_delay_alu instid0(SALU_CYCLE_1) | instskip(NEXT) | instid1(SALU_CYCLE_1)
	s_ashr_i32 s5, s4, 31
	s_lshl_b64 s[4:5], s[4:5], 2
	s_delay_alu instid0(SALU_CYCLE_1)
	s_add_u32 s4, s26, s4
	s_addc_u32 s5, s25, s5
	s_add_u32 s6, s22, s27
	s_addc_u32 s7, s23, s28
	s_waitcnt vmcnt(1)
	v_mad_i64_i32 v[3:4], null, v5, s17, v[1:2]
	s_waitcnt vmcnt(0)
	v_mad_i64_i32 v[5:6], null, v7, s17, v[1:2]
	s_clause 0x7
	global_load_b128 v[49:52], v[3:4], off
	global_load_b128 v[53:56], v[3:4], off offset:256
	global_load_b128 v[76:79], v[5:6], off
	global_load_b128 v[80:83], v[5:6], off offset:256
	global_load_b128 v[84:87], v[3:4], off offset:512
	;; [unrolled: 1-line block ×5, first 2 shown]
	v_and_b32_e32 v1, 3, v0
	v_lshlrev_b32_e32 v2, 4, v66
	s_load_b32 s3, s[34:35], 0x0
	s_delay_alu instid0(VALU_DEP_2) | instskip(NEXT) | instid1(VALU_DEP_2)
	v_lshlrev_b32_e32 v70, 6, v1
	v_lshl_or_b32 v1, v65, 8, v2
	ds_load_b128 v[108:111], v70
	ds_load_b128 v[112:115], v70 offset:1024
	s_load_b32 s4, s[4:5], 0x0
	v_add_co_u32 v9, s6, s6, v1
	s_delay_alu instid0(VALU_DEP_1) | instskip(SKIP_1) | instid1(VALU_DEP_1)
	v_add_co_ci_u32_e64 v10, null, s7, 0, s6
	s_waitcnt lgkmcnt(0)
	v_mad_i64_i32 v[1:2], null, s21, s17, v[9:10]
	v_mad_i64_i32 v[3:4], null, s13, s17, v[9:10]
	;; [unrolled: 1-line block ×7, first 2 shown]
	s_clause 0x9
	global_load_b128 v[57:60], v[1:2], off
	global_load_b128 v[61:64], v[1:2], off offset:16
	global_load_b128 v[41:44], v[3:4], off
	global_load_b128 v[45:48], v[3:4], off offset:16
	;; [unrolled: 2-line block ×5, first 2 shown]
	v_mad_i64_i32 v[68:69], null, s4, s17, v[9:10]
	s_clause 0x3
	global_load_b128 v[9:12], v[13:14], off
	global_load_b128 v[13:16], v[13:14], off offset:16
	global_load_b128 v[17:20], v[21:22], off
	global_load_b128 v[21:24], v[21:22], off offset:16
	s_waitcnt vmcnt(20)
	v_wmma_f32_16x16x16_bf16 v[116:123], v[49:56], v[108:115], v[100:107]
	s_clause 0x1
	global_load_b128 v[49:52], v[68:69], off
	global_load_b128 v[53:56], v[68:69], off offset:16
	v_and_b32_e32 v68, 0xe0, v0
	v_mbcnt_lo_u32_b32 v69, -1, 0
	s_delay_alu instid0(VALU_DEP_2)
	v_add_nc_u32_e32 v68, s12, v68
	s_waitcnt vmcnt(20)
	v_wmma_f32_16x16x16_bf16 v[100:107], v[76:83], v[108:115], v[100:107]
	ds_load_b128 v[76:79], v70 offset:2048
	ds_load_b128 v[80:83], v70 offset:3072
	v_xor_b32_e32 v70, 16, v69
	s_waitcnt vmcnt(0) lgkmcnt(0)
	v_or_b32_e32 v68, v68, v75
	s_barrier
	buffer_gl0_inv
	v_cmp_gt_i32_e32 vcc_lo, 32, v70
	v_or_b32_e32 v71, 4, v68
	v_or_b32_e32 v72, 6, v68
	v_cmp_gt_i32_e64 s3, s24, v68
	v_or_b32_e32 v108, 8, v68
	v_or_b32_e32 v109, 10, v68
	v_cmp_gt_i32_e64 s4, s24, v71
	v_cmp_gt_i32_e64 s5, s24, v72
	s_delay_alu instid0(VALU_DEP_4) | instskip(NEXT) | instid1(VALU_DEP_4)
	v_cmp_gt_i32_e64 s6, s24, v108
	v_cmp_gt_i32_e64 s7, s24, v109
	v_wmma_f32_16x16x16_bf16 v[116:123], v[84:91], v[76:83], v[116:123]
	v_cndmask_b32_e32 v69, v69, v70, vcc_lo
	v_or_b32_e32 v70, 2, v68
	v_wmma_f32_16x16x16_bf16 v[100:107], v[92:99], v[76:83], v[100:107]
	v_or_b32_e32 v89, 22, v68
	v_dual_mul_f32 v80, s19, v121 :: v_dual_mul_f32 v81, s19, v120
	v_dual_mul_f32 v92, s19, v117 :: v_dual_mul_f32 v93, s19, v116
	s_delay_alu instid0(VALU_DEP_4)
	v_mul_f32_e32 v96, s19, v105
	v_cmp_gt_i32_e32 vcc_lo, s24, v70
	v_dual_mul_f32 v79, s19, v122 :: v_dual_mul_f32 v82, s19, v119
	v_dual_mul_f32 v83, s19, v118 :: v_dual_mul_f32 v94, s19, v107
	v_cndmask_b32_e64 v93, 0xff7fffff, v93, s3
	v_cndmask_b32_e32 v92, 0xff7fffff, v92, vcc_lo
	v_or_b32_e32 v84, 12, v68
	v_or_b32_e32 v85, 14, v68
	v_cndmask_b32_e64 v71, 0xff7fffff, v83, s4
	v_cndmask_b32_e64 v72, 0xff7fffff, v82, s5
	v_cmp_gt_i32_e64 s13, s24, v89
	v_lshlrev_b32_e32 v89, 2, v69
	v_max3_f32 v82, v93, 0xff7fffff, v92
	v_or_b32_e32 v86, 16, v68
	v_or_b32_e32 v87, 18, v68
	v_mul_f32_e32 v78, s19, v123
	v_cndmask_b32_e64 v81, 0xff7fffff, v81, s6
	v_cndmask_b32_e64 v80, 0xff7fffff, v80, s7
	v_max3_f32 v71, v82, v71, v72
	v_cmp_gt_i32_e64 s8, s24, v84
	v_cmp_gt_i32_e64 s9, s24, v85
	v_or_b32_e32 v88, 20, v68
	v_or_b32_e32 v90, 24, v68
	;; [unrolled: 1-line block ×5, first 2 shown]
	v_dual_mul_f32 v97, s19, v104 :: v_dual_mul_f32 v70, s19, v101
	v_dual_mul_f32 v99, s19, v102 :: v_dual_mul_f32 v68, s19, v100
	v_cndmask_b32_e64 v72, 0xff7fffff, v79, s8
	v_cndmask_b32_e64 v78, 0xff7fffff, v78, s9
	v_max3_f32 v71, v71, v81, v80
	v_cmp_gt_i32_e64 s10, s24, v86
	v_cmp_gt_i32_e64 s11, s24, v87
	v_dual_mul_f32 v95, s19, v106 :: v_dual_mul_f32 v98, s19, v103
	s_delay_alu instid0(VALU_DEP_4) | instskip(NEXT) | instid1(VALU_DEP_4)
	v_max3_f32 v71, v71, v72, v78
	v_cndmask_b32_e64 v68, 0xff7fffff, v68, s10
	s_delay_alu instid0(VALU_DEP_4)
	v_cndmask_b32_e64 v70, 0xff7fffff, v70, s11
	v_cmp_gt_i32_e64 s12, s24, v88
	v_cndmask_b32_e64 v78, 0xff7fffff, v98, s13
	v_cmp_gt_i32_e64 s15, s24, v90
	v_cmp_gt_i32_e64 s16, s24, v91
	v_max3_f32 v68, v71, v68, v70
	v_cndmask_b32_e64 v72, 0xff7fffff, v99, s12
	v_cmp_gt_i32_e64 s17, s24, v76
	v_cndmask_b32_e64 v70, 0xff7fffff, v97, s15
	v_cndmask_b32_e64 v71, 0xff7fffff, v96, s16
	v_cmp_gt_i32_e64 s18, s24, v77
	v_max3_f32 v68, v68, v72, v78
	v_cndmask_b32_e64 v72, 0xff7fffff, v95, s17
	s_delay_alu instid0(VALU_DEP_3) | instskip(NEXT) | instid1(VALU_DEP_3)
	v_cndmask_b32_e64 v76, 0xff7fffff, v94, s18
	v_max3_f32 v68, v68, v70, v71
	s_delay_alu instid0(VALU_DEP_1) | instskip(SKIP_3) | instid1(VALU_DEP_1)
	v_max3_f32 v68, v68, v72, v76
	ds_bpermute_b32 v69, v89, v68
	s_waitcnt lgkmcnt(0)
	v_max_f32_e32 v69, v69, v69
	v_max_f32_e32 v68, v68, v69
	s_delay_alu instid0(VALU_DEP_1) | instskip(NEXT) | instid1(VALU_DEP_1)
	v_fma_f32 v71, s19, v118, -v68
	v_mul_f32_e32 v71, 0x3fb8aa3b, v71
	v_fma_f32 v70, s19, v117, -v68
	v_fma_f32 v69, s19, v116, -v68
	;; [unrolled: 1-line block ×5, first 2 shown]
	s_delay_alu instid0(VALU_DEP_4) | instskip(SKIP_1) | instid1(VALU_DEP_3)
	v_dual_mul_f32 v70, 0x3fb8aa3b, v70 :: v_dual_mul_f32 v69, 0x3fb8aa3b, v69
	v_exp_f32_e32 v71, v71
	v_mul_f32_e32 v72, 0x3fb8aa3b, v72
	v_fma_f32 v81, s19, v105, -v68
	s_delay_alu instid0(VALU_DEP_3)
	v_exp_f32_e32 v70, v70
	v_mul_f32_e32 v77, 0x3fb8aa3b, v76
	v_exp_f32_e32 v69, v69
	v_exp_f32_e32 v72, v72
	v_mul_f32_e32 v81, 0x3fb8aa3b, v81
	v_cndmask_b32_e64 v83, 0, v71, s4
	v_fma_f32 v71, s19, v123, -v68
	s_delay_alu instid0(VALU_DEP_3) | instskip(SKIP_4) | instid1(TRANS32_DEP_3)
	v_exp_f32_e32 v81, v81
	v_cndmask_b32_e32 v76, 0, v70, vcc_lo
	v_exp_f32_e32 v77, v77
	v_cndmask_b32_e64 v80, 0, v69, s3
	v_fma_f32 v69, s19, v121, -v68
	v_cndmask_b32_e64 v85, 0, v72, s5
	v_mul_f32_e32 v71, 0x3fb8aa3b, v71
	v_fma_f32 v72, s19, v100, -v68
	s_delay_alu instid0(VALU_DEP_4) | instskip(SKIP_1) | instid1(VALU_DEP_3)
	v_dual_add_f32 v70, 0, v80 :: v_dual_mul_f32 v69, 0x3fb8aa3b, v69
	s_mov_b32 s3, exec_lo
	v_exp_f32_e32 v71, v71
	s_delay_alu instid0(TRANS32_DEP_2) | instskip(SKIP_4) | instid1(VALU_DEP_3)
	v_cndmask_b32_e64 v86, 0, v77, s6
	v_fma_f32 v77, s19, v101, -v68
	v_mul_f32_e32 v78, 0x3fb8aa3b, v78
	v_add_f32_e32 v70, v70, v76
	v_exp_f32_e32 v69, v69
	v_mul_f32_e32 v77, 0x3fb8aa3b, v77
	s_delay_alu instid0(VALU_DEP_3) | instskip(NEXT) | instid1(TRANS32_DEP_3)
	v_exp_f32_e32 v78, v78
	v_cndmask_b32_e64 v88, 0, v71, s9
	v_fma_f32 v71, s19, v104, -v68
	s_delay_alu instid0(VALU_DEP_3) | instskip(NEXT) | instid1(TRANS32_DEP_3)
	v_exp_f32_e32 v77, v77
	v_cndmask_b32_e64 v87, 0, v69, s7
	s_delay_alu instid0(VALU_DEP_2)
	v_mul_f32_e32 v71, 0x3fb8aa3b, v71
	s_waitcnt_depctr 0xfff
	v_cndmask_b32_e64 v84, 0, v78, s8
	v_add_f32_e32 v70, v70, v83
	v_fma_f32 v78, s19, v103, -v68
	v_exp_f32_e32 v82, v71
	s_delay_alu instid0(VALU_DEP_2) | instskip(SKIP_1) | instid1(VALU_DEP_3)
	v_add_f32_e32 v70, v70, v85
	v_mul_f32_e32 v72, 0x3fb8aa3b, v72
	v_mul_f32_e32 v78, 0x3fb8aa3b, v78
	s_delay_alu instid0(VALU_DEP_3) | instskip(SKIP_1) | instid1(VALU_DEP_4)
	v_add_f32_e32 v69, v70, v86
	v_fma_f32 v70, s19, v102, -v68
	v_exp_f32_e32 v72, v72
	s_delay_alu instid0(VALU_DEP_3) | instskip(NEXT) | instid1(VALU_DEP_1)
	v_exp_f32_e32 v78, v78
	v_dual_add_f32 v69, v69, v87 :: v_dual_mul_f32 v70, 0x3fb8aa3b, v70
	s_delay_alu instid0(VALU_DEP_1) | instskip(NEXT) | instid1(VALU_DEP_2)
	v_add_f32_e32 v69, v69, v84
	v_exp_f32_e32 v79, v70
	s_delay_alu instid0(TRANS32_DEP_3) | instskip(NEXT) | instid1(VALU_DEP_2)
	v_cndmask_b32_e64 v70, 0, v72, s10
	v_add_f32_e32 v72, v69, v88
	v_cndmask_b32_e64 v69, 0, v77, s11
	v_fma_f32 v77, s19, v106, -v68
	s_waitcnt_depctr 0xfff
	v_cndmask_b32_e64 v71, 0, v79, s12
	v_dual_mul_f32 v77, 0x3fb8aa3b, v77 :: v_dual_add_f32 v72, v72, v70
	s_delay_alu instid0(VALU_DEP_1) | instskip(NEXT) | instid1(VALU_DEP_1)
	v_exp_f32_e32 v90, v77
	v_add_f32_e32 v79, v72, v69
	v_cndmask_b32_e64 v72, 0, v78, s13
	v_cndmask_b32_e64 v77, 0, v82, s15
	s_delay_alu instid0(VALU_DEP_3) | instskip(SKIP_1) | instid1(VALU_DEP_1)
	v_add_f32_e32 v78, v79, v71
	v_fma_f32 v79, s19, v107, -v68
	v_dual_add_f32 v82, v78, v72 :: v_dual_mul_f32 v79, 0x3fb8aa3b, v79
	v_cndmask_b32_e64 v78, 0, v81, s16
	s_delay_alu instid0(VALU_DEP_2) | instskip(NEXT) | instid1(VALU_DEP_3)
	v_add_f32_e32 v81, v82, v77
	v_exp_f32_e32 v82, v79
	v_cndmask_b32_e64 v79, 0, v90, s17
	s_delay_alu instid0(VALU_DEP_2) | instskip(NEXT) | instid1(VALU_DEP_1)
	v_add_f32_e32 v81, v81, v78
	v_add_f32_e32 v90, v81, v79
	s_waitcnt_depctr 0xfff
	v_cndmask_b32_e64 v81, 0, v82, s18
	s_delay_alu instid0(VALU_DEP_1)
	v_add_f32_e32 v82, v90, v81
	ds_bpermute_b32 v89, v89, v82
	v_cmpx_gt_u32_e32 16, v67
	s_cbranch_execz .LBB1729_12
; %bb.11:
	v_mul_u32_u24_e32 v67, 0x44, v65
	s_delay_alu instid0(VALU_DEP_1) | instskip(SKIP_1) | instid1(VALU_DEP_1)
	v_lshl_add_u32 v67, v66, 2, v67
	s_waitcnt lgkmcnt(0)
	v_dual_add_f32 v82, v82, v89 :: v_dual_add_nc_u32 v67, 0x4000, v67
	ds_store_2addr_b32 v67, v68, v82 offset1:136
.LBB1729_12:
	s_or_b32 exec_lo, exec_lo, s3
	v_lshlrev_b32_e32 v67, 2, v66
	s_waitcnt lgkmcnt(0)
	s_barrier
	buffer_gl0_inv
	v_cmp_eq_u32_e32 vcc_lo, 1, v65
	v_add_nc_u32_e32 v82, 0x4000, v67
	v_cmp_eq_u32_e64 s3, 2, v65
	v_cmp_eq_u32_e64 s5, 7, v65
	ds_load_2addr_b32 v[89:90], v82 offset1:17
	ds_load_2addr_b32 v[91:92], v82 offset0:34 offset1:51
	ds_load_2addr_b32 v[93:94], v82 offset0:68 offset1:85
	;; [unrolled: 1-line block ×4, first 2 shown]
	s_waitcnt lgkmcnt(4)
	v_max3_f32 v67, v89, 0xff7fffff, v90
	s_waitcnt lgkmcnt(3)
	s_delay_alu instid0(VALU_DEP_1) | instskip(SKIP_1) | instid1(VALU_DEP_1)
	v_max3_f32 v67, v67, v91, v92
	s_waitcnt lgkmcnt(2)
	v_max3_f32 v67, v67, v93, v94
	s_waitcnt lgkmcnt(1)
	s_delay_alu instid0(VALU_DEP_1) | instskip(NEXT) | instid1(VALU_DEP_1)
	v_max3_f32 v67, v67, v95, v96
	v_sub_f32_e32 v93, v93, v67
	s_delay_alu instid0(VALU_DEP_1) | instskip(NEXT) | instid1(VALU_DEP_1)
	v_dual_sub_f32 v68, v89, v67 :: v_dual_mul_f32 v103, 0x3fb8aa3b, v93
	v_mul_f32_e32 v68, 0x3fb8aa3b, v68
	s_delay_alu instid0(VALU_DEP_1)
	v_exp_f32_e32 v100, v68
	v_sub_f32_e32 v68, v92, v67
	v_sub_f32_e32 v99, v90, v67
	ds_load_2addr_b32 v[89:90], v82 offset0:170 offset1:187
	v_dual_mul_f32 v102, 0x3fb8aa3b, v68 :: v_dual_mul_f32 v99, 0x3fb8aa3b, v99
	s_waitcnt lgkmcnt(1)
	v_fma_f32 v68, v100, v97, 0
	s_delay_alu instid0(VALU_DEP_2) | instskip(NEXT) | instid1(VALU_DEP_2)
	v_exp_f32_e32 v102, v102
	v_exp_f32_e32 v99, v99
	s_waitcnt_depctr 0xfff
	v_fmac_f32_e32 v68, v99, v98
	v_sub_f32_e32 v91, v91, v67
	s_delay_alu instid0(VALU_DEP_1)
	v_mul_f32_e32 v101, 0x3fb8aa3b, v91
	ds_load_2addr_b32 v[91:92], v82 offset0:204 offset1:221
	v_sub_f32_e32 v97, v94, v67
	ds_load_2addr_b32 v[93:94], v82 offset0:238 offset1:255
	s_waitcnt lgkmcnt(0)
	v_exp_f32_e32 v101, v101
	s_barrier
	buffer_gl0_inv
	v_dual_fmac_f32 v68, v101, v89 :: v_dual_sub_f32 v89, v96, v67
	v_dual_sub_f32 v82, v95, v67 :: v_dual_mul_f32 v95, 0x3fb8aa3b, v97
	v_exp_f32_e32 v97, v103
	s_delay_alu instid0(VALU_DEP_2) | instskip(NEXT) | instid1(VALU_DEP_2)
	v_dual_fmac_f32 v68, v102, v90 :: v_dual_mul_f32 v89, 0x3fb8aa3b, v89
	v_mul_f32_e32 v82, 0x3fb8aa3b, v82
	s_delay_alu instid0(VALU_DEP_3) | instskip(NEXT) | instid1(VALU_DEP_2)
	v_exp_f32_e32 v95, v95
	v_exp_f32_e32 v89, v89
	s_delay_alu instid0(VALU_DEP_1)
	v_exp_f32_e32 v82, v82
	v_fmac_f32_e32 v68, v97, v91
	s_delay_alu instid0(TRANS32_DEP_3) | instid1(VALU_DEP_1)
	v_fmac_f32_e32 v68, v95, v92
	s_waitcnt_depctr 0xfff
	v_fmac_f32_e32 v68, v82, v93
	s_delay_alu instid0(VALU_DEP_1) | instskip(NEXT) | instid1(VALU_DEP_1)
	v_fmac_f32_e32 v68, v89, v94
	v_add_f32_e32 v90, 0x358637bd, v68
	s_delay_alu instid0(VALU_DEP_1) | instskip(NEXT) | instid1(VALU_DEP_1)
	v_div_scale_f32 v91, null, v90, v90, 1.0
	v_rcp_f32_e32 v92, v91
	s_waitcnt_depctr 0xfff
	v_fma_f32 v93, -v91, v92, 1.0
	s_delay_alu instid0(VALU_DEP_1) | instskip(SKIP_1) | instid1(VALU_DEP_2)
	v_dual_fmac_f32 v92, v93, v92 :: v_dual_cndmask_b32 v93, v100, v99
	v_cmp_eq_u32_e32 vcc_lo, 3, v65
	v_cndmask_b32_e64 v93, v93, v101, s3
	v_cmp_eq_u32_e64 s3, 4, v65
	s_delay_alu instid0(VALU_DEP_2) | instskip(SKIP_1) | instid1(VALU_DEP_2)
	v_cndmask_b32_e32 v93, v93, v102, vcc_lo
	v_cmp_eq_u32_e32 vcc_lo, 5, v65
	v_cndmask_b32_e64 v93, v93, v97, s3
	v_cmp_eq_u32_e64 s3, 6, v65
	s_delay_alu instid0(VALU_DEP_2) | instskip(SKIP_1) | instid1(VALU_DEP_1)
	v_cndmask_b32_e32 v93, v93, v95, vcc_lo
	v_div_scale_f32 v94, s4, 1.0, v90, 1.0
	s_mov_b32 vcc_lo, s4
	s_delay_alu instid0(VALU_DEP_2) | instskip(NEXT) | instid1(VALU_DEP_2)
	v_cndmask_b32_e64 v82, v93, v82, s3
	v_mul_f32_e32 v96, v94, v92
	s_mov_b32 s3, exec_lo
	s_delay_alu instid0(VALU_DEP_2) | instskip(NEXT) | instid1(VALU_DEP_2)
	v_cndmask_b32_e64 v82, v82, v89, s5
	v_fma_f32 v98, -v91, v96, v94
	s_delay_alu instid0(VALU_DEP_1) | instskip(NEXT) | instid1(VALU_DEP_1)
	v_fmac_f32_e32 v96, v98, v92
	v_fma_f32 v91, -v91, v96, v94
	s_delay_alu instid0(VALU_DEP_1) | instskip(NEXT) | instid1(VALU_DEP_1)
	v_div_fmas_f32 v91, v91, v92, v96
	v_div_fixup_f32 v90, v91, v90, 1.0
	s_delay_alu instid0(VALU_DEP_1) | instskip(NEXT) | instid1(VALU_DEP_1)
	v_mul_f32_e32 v82, v82, v90
	v_mul_f32_e32 v87, v82, v87
	;; [unrolled: 1-line block ×7, first 2 shown]
	v_dual_mul_f32 v86, v82, v83 :: v_dual_and_b32 v91, 0x7f800000, v90
	v_mul_f32_e32 v85, v82, v76
                                        ; implicit-def: $vgpr76
	s_delay_alu instid0(VALU_DEP_2)
	v_cmpx_ne_u32_e32 0x7f800000, v91
	s_xor_b32 s3, exec_lo, s3
; %bb.13:
	v_bfe_u32 v76, v90, 16, 1
	s_delay_alu instid0(VALU_DEP_1)
	v_add3_u32 v76, v90, v76, 0x7fff
                                        ; implicit-def: $vgpr90
; %bb.14:
	s_and_not1_saveexec_b32 s3, s3
; %bb.15:
	v_and_b32_e32 v76, 0xffff, v90
	v_or_b32_e32 v83, 0x10000, v90
	s_delay_alu instid0(VALU_DEP_2) | instskip(NEXT) | instid1(VALU_DEP_2)
	v_cmp_eq_u32_e32 vcc_lo, 0, v76
	v_cndmask_b32_e32 v76, v83, v90, vcc_lo
; %bb.16:
	s_or_b32 exec_lo, exec_lo, s3
	v_and_b32_e32 v83, 0x7f800000, v85
	s_delay_alu instid0(VALU_DEP_1) | instskip(SKIP_1) | instid1(SALU_CYCLE_1)
	v_cmp_ne_u32_e32 vcc_lo, 0x7f800000, v83
                                        ; implicit-def: $vgpr83
	s_and_saveexec_b32 s3, vcc_lo
	s_xor_b32 s3, exec_lo, s3
; %bb.17:
	v_bfe_u32 v83, v85, 16, 1
	s_delay_alu instid0(VALU_DEP_1)
	v_add3_u32 v83, v85, v83, 0x7fff
                                        ; implicit-def: $vgpr85
; %bb.18:
	s_and_not1_saveexec_b32 s3, s3
; %bb.19:
	v_and_b32_e32 v83, 0xffff, v85
	v_or_b32_e32 v90, 0x10000, v85
	s_delay_alu instid0(VALU_DEP_2) | instskip(NEXT) | instid1(VALU_DEP_2)
	v_cmp_eq_u32_e32 vcc_lo, 0, v83
	v_cndmask_b32_e32 v83, v90, v85, vcc_lo
; %bb.20:
	s_or_b32 exec_lo, exec_lo, s3
	v_and_b32_e32 v85, 0x7f800000, v86
	s_delay_alu instid0(VALU_DEP_1) | instskip(SKIP_1) | instid1(SALU_CYCLE_1)
	v_cmp_ne_u32_e32 vcc_lo, 0x7f800000, v85
                                        ; implicit-def: $vgpr85
	s_and_saveexec_b32 s3, vcc_lo
	s_xor_b32 s3, exec_lo, s3
; %bb.21:
	v_bfe_u32 v85, v86, 16, 1
	s_delay_alu instid0(VALU_DEP_1)
	v_add3_u32 v85, v86, v85, 0x7fff
                                        ; implicit-def: $vgpr86
; %bb.22:
	s_and_not1_saveexec_b32 s3, s3
; %bb.23:
	v_and_b32_e32 v85, 0xffff, v86
	v_or_b32_e32 v90, 0x10000, v86
	s_delay_alu instid0(VALU_DEP_2) | instskip(NEXT) | instid1(VALU_DEP_2)
	v_cmp_eq_u32_e32 vcc_lo, 0, v85
	v_cndmask_b32_e32 v85, v90, v86, vcc_lo
; %bb.24:
	s_or_b32 exec_lo, exec_lo, s3
	v_and_b32_e32 v86, 0x7f800000, v89
	s_delay_alu instid0(VALU_DEP_1) | instskip(SKIP_1) | instid1(SALU_CYCLE_1)
	v_cmp_ne_u32_e32 vcc_lo, 0x7f800000, v86
                                        ; implicit-def: $vgpr86
	s_and_saveexec_b32 s3, vcc_lo
	s_xor_b32 s3, exec_lo, s3
; %bb.25:
	v_bfe_u32 v86, v89, 16, 1
	s_delay_alu instid0(VALU_DEP_1)
	v_add3_u32 v86, v89, v86, 0x7fff
                                        ; implicit-def: $vgpr89
; %bb.26:
	s_and_not1_saveexec_b32 s3, s3
; %bb.27:
	v_and_b32_e32 v86, 0xffff, v89
	v_or_b32_e32 v90, 0x10000, v89
	s_delay_alu instid0(VALU_DEP_2) | instskip(NEXT) | instid1(VALU_DEP_2)
	v_cmp_eq_u32_e32 vcc_lo, 0, v86
	v_cndmask_b32_e32 v86, v90, v89, vcc_lo
; %bb.28:
	s_or_b32 exec_lo, exec_lo, s3
	v_and_b32_e32 v89, 0x7f800000, v88
	s_delay_alu instid0(VALU_DEP_1) | instskip(SKIP_1) | instid1(SALU_CYCLE_1)
	v_cmp_ne_u32_e32 vcc_lo, 0x7f800000, v89
                                        ; implicit-def: $vgpr89
	s_and_saveexec_b32 s3, vcc_lo
	s_xor_b32 s3, exec_lo, s3
; %bb.29:
	v_bfe_u32 v89, v88, 16, 1
	s_delay_alu instid0(VALU_DEP_1)
	v_add3_u32 v89, v88, v89, 0x7fff
                                        ; implicit-def: $vgpr88
; %bb.30:
	s_and_not1_saveexec_b32 s3, s3
; %bb.31:
	v_and_b32_e32 v89, 0xffff, v88
	v_or_b32_e32 v90, 0x10000, v88
	s_delay_alu instid0(VALU_DEP_2) | instskip(NEXT) | instid1(VALU_DEP_2)
	v_cmp_eq_u32_e32 vcc_lo, 0, v89
	v_cndmask_b32_e32 v89, v90, v88, vcc_lo
; %bb.32:
	s_or_b32 exec_lo, exec_lo, s3
	v_and_b32_e32 v88, 0x7f800000, v87
	s_delay_alu instid0(VALU_DEP_1) | instskip(SKIP_1) | instid1(SALU_CYCLE_1)
	v_cmp_ne_u32_e32 vcc_lo, 0x7f800000, v88
                                        ; implicit-def: $vgpr88
	s_and_saveexec_b32 s3, vcc_lo
	s_xor_b32 s3, exec_lo, s3
; %bb.33:
	v_bfe_u32 v88, v87, 16, 1
	s_delay_alu instid0(VALU_DEP_1)
	v_add3_u32 v88, v87, v88, 0x7fff
                                        ; implicit-def: $vgpr87
; %bb.34:
	s_and_not1_saveexec_b32 s3, s3
; %bb.35:
	v_and_b32_e32 v88, 0xffff, v87
	v_or_b32_e32 v90, 0x10000, v87
	s_delay_alu instid0(VALU_DEP_2) | instskip(NEXT) | instid1(VALU_DEP_2)
	v_cmp_eq_u32_e32 vcc_lo, 0, v88
	v_cndmask_b32_e32 v88, v90, v87, vcc_lo
; %bb.36:
	s_or_b32 exec_lo, exec_lo, s3
	v_and_b32_e32 v87, 0x7f800000, v84
	s_delay_alu instid0(VALU_DEP_1) | instskip(SKIP_1) | instid1(SALU_CYCLE_1)
	v_cmp_ne_u32_e32 vcc_lo, 0x7f800000, v87
                                        ; implicit-def: $vgpr87
	s_and_saveexec_b32 s3, vcc_lo
	s_xor_b32 s3, exec_lo, s3
; %bb.37:
	v_bfe_u32 v87, v84, 16, 1
	s_delay_alu instid0(VALU_DEP_1)
	v_add3_u32 v87, v84, v87, 0x7fff
                                        ; implicit-def: $vgpr84
; %bb.38:
	s_and_not1_saveexec_b32 s3, s3
; %bb.39:
	v_and_b32_e32 v87, 0xffff, v84
	v_or_b32_e32 v90, 0x10000, v84
	s_delay_alu instid0(VALU_DEP_2) | instskip(NEXT) | instid1(VALU_DEP_2)
	v_cmp_eq_u32_e32 vcc_lo, 0, v87
	v_cndmask_b32_e32 v87, v90, v84, vcc_lo
; %bb.40:
	s_or_b32 exec_lo, exec_lo, s3
	v_and_b32_e32 v84, 0x7f800000, v80
	s_delay_alu instid0(VALU_DEP_1) | instskip(SKIP_1) | instid1(SALU_CYCLE_1)
	v_cmp_ne_u32_e32 vcc_lo, 0x7f800000, v84
                                        ; implicit-def: $vgpr84
	s_and_saveexec_b32 s3, vcc_lo
	s_xor_b32 s3, exec_lo, s3
; %bb.41:
	v_bfe_u32 v84, v80, 16, 1
	s_delay_alu instid0(VALU_DEP_1)
	v_add3_u32 v84, v80, v84, 0x7fff
                                        ; implicit-def: $vgpr80
; %bb.42:
	s_and_not1_saveexec_b32 s3, s3
; %bb.43:
	v_and_b32_e32 v84, 0xffff, v80
	v_or_b32_e32 v90, 0x10000, v80
	s_delay_alu instid0(VALU_DEP_2) | instskip(NEXT) | instid1(VALU_DEP_2)
	v_cmp_eq_u32_e32 vcc_lo, 0, v84
	v_cndmask_b32_e32 v84, v90, v80, vcc_lo
; %bb.44:
	s_or_b32 exec_lo, exec_lo, s3
	s_load_b64 s[34:35], s[0:1], 0x94
	v_lshlrev_b32_e32 v91, 4, v75
	s_delay_alu instid0(VALU_DEP_2)
	v_perm_b32 v90, v84, v87, 0x7060302
	v_dual_mul_f32 v77, v82, v77 :: v_dual_lshlrev_b32 v80, 6, v66
	v_lshlrev_b32_e32 v66, 11, v65
	v_perm_b32 v87, v83, v76, 0x7060302
	v_mul_f32_e32 v83, v82, v70
	v_perm_b32 v89, v88, v89, 0x7060302
	v_perm_b32 v88, v86, v85, 0x7060302
	v_or3_b32 v76, v91, v66, v80
	v_mul_f32_e32 v66, v82, v81
	v_mul_f32_e32 v70, v82, v79
	;; [unrolled: 1-line block ×3, first 2 shown]
	v_dual_mul_f32 v81, v82, v72 :: v_dual_and_b32 v84, 0x7f800000, v83
	v_mul_f32_e32 v79, v82, v71
	v_mul_f32_e32 v72, v82, v69
	s_mov_b32 s3, exec_lo
	ds_store_b128 v76, v[87:90]
                                        ; implicit-def: $vgpr69
	v_cmpx_ne_u32_e32 0x7f800000, v84
	s_xor_b32 s3, exec_lo, s3
; %bb.45:
	v_bfe_u32 v69, v83, 16, 1
	s_delay_alu instid0(VALU_DEP_1)
	v_add3_u32 v69, v83, v69, 0x7fff
                                        ; implicit-def: $vgpr83
; %bb.46:
	s_and_not1_saveexec_b32 s3, s3
; %bb.47:
	v_and_b32_e32 v69, 0xffff, v83
	v_or_b32_e32 v71, 0x10000, v83
	s_delay_alu instid0(VALU_DEP_2) | instskip(NEXT) | instid1(VALU_DEP_2)
	v_cmp_eq_u32_e32 vcc_lo, 0, v69
	v_cndmask_b32_e32 v69, v71, v83, vcc_lo
; %bb.48:
	s_or_b32 exec_lo, exec_lo, s3
	v_and_b32_e32 v71, 0x7f800000, v72
	s_delay_alu instid0(VALU_DEP_1) | instskip(SKIP_1) | instid1(SALU_CYCLE_1)
	v_cmp_ne_u32_e32 vcc_lo, 0x7f800000, v71
                                        ; implicit-def: $vgpr71
	s_and_saveexec_b32 s3, vcc_lo
	s_xor_b32 s3, exec_lo, s3
; %bb.49:
	v_bfe_u32 v71, v72, 16, 1
	s_delay_alu instid0(VALU_DEP_1)
	v_add3_u32 v71, v72, v71, 0x7fff
                                        ; implicit-def: $vgpr72
; %bb.50:
	s_and_not1_saveexec_b32 s3, s3
; %bb.51:
	v_and_b32_e32 v71, 0xffff, v72
	v_or_b32_e32 v82, 0x10000, v72
	s_delay_alu instid0(VALU_DEP_2) | instskip(NEXT) | instid1(VALU_DEP_2)
	v_cmp_eq_u32_e32 vcc_lo, 0, v71
	v_cndmask_b32_e32 v71, v82, v72, vcc_lo
; %bb.52:
	s_or_b32 exec_lo, exec_lo, s3
	v_and_b32_e32 v72, 0x7f800000, v79
	s_delay_alu instid0(VALU_DEP_1) | instskip(SKIP_1) | instid1(SALU_CYCLE_1)
	v_cmp_ne_u32_e32 vcc_lo, 0x7f800000, v72
                                        ; implicit-def: $vgpr72
	s_and_saveexec_b32 s3, vcc_lo
	s_xor_b32 s3, exec_lo, s3
; %bb.53:
	v_bfe_u32 v72, v79, 16, 1
	s_delay_alu instid0(VALU_DEP_1)
	v_add3_u32 v72, v79, v72, 0x7fff
                                        ; implicit-def: $vgpr79
; %bb.54:
	s_and_not1_saveexec_b32 s3, s3
; %bb.55:
	v_and_b32_e32 v72, 0xffff, v79
	v_or_b32_e32 v82, 0x10000, v79
	s_delay_alu instid0(VALU_DEP_2) | instskip(NEXT) | instid1(VALU_DEP_2)
	v_cmp_eq_u32_e32 vcc_lo, 0, v72
	v_cndmask_b32_e32 v72, v82, v79, vcc_lo
; %bb.56:
	s_or_b32 exec_lo, exec_lo, s3
	v_and_b32_e32 v79, 0x7f800000, v81
	s_delay_alu instid0(VALU_DEP_1) | instskip(SKIP_1) | instid1(SALU_CYCLE_1)
	v_cmp_ne_u32_e32 vcc_lo, 0x7f800000, v79
                                        ; implicit-def: $vgpr79
	s_and_saveexec_b32 s3, vcc_lo
	s_xor_b32 s3, exec_lo, s3
; %bb.57:
	v_bfe_u32 v79, v81, 16, 1
	s_delay_alu instid0(VALU_DEP_1)
	v_add3_u32 v79, v81, v79, 0x7fff
                                        ; implicit-def: $vgpr81
; %bb.58:
	s_and_not1_saveexec_b32 s3, s3
; %bb.59:
	v_and_b32_e32 v79, 0xffff, v81
	v_or_b32_e32 v82, 0x10000, v81
	s_delay_alu instid0(VALU_DEP_2) | instskip(NEXT) | instid1(VALU_DEP_2)
	v_cmp_eq_u32_e32 vcc_lo, 0, v79
	v_cndmask_b32_e32 v79, v82, v81, vcc_lo
; %bb.60:
	s_or_b32 exec_lo, exec_lo, s3
	v_and_b32_e32 v81, 0x7f800000, v77
	s_delay_alu instid0(VALU_DEP_1) | instskip(SKIP_1) | instid1(SALU_CYCLE_1)
	v_cmp_ne_u32_e32 vcc_lo, 0x7f800000, v81
                                        ; implicit-def: $vgpr81
	s_and_saveexec_b32 s3, vcc_lo
	s_xor_b32 s3, exec_lo, s3
; %bb.61:
	v_bfe_u32 v81, v77, 16, 1
	s_delay_alu instid0(VALU_DEP_1)
	v_add3_u32 v81, v77, v81, 0x7fff
                                        ; implicit-def: $vgpr77
; %bb.62:
	s_and_not1_saveexec_b32 s3, s3
; %bb.63:
	v_and_b32_e32 v81, 0xffff, v77
	v_or_b32_e32 v82, 0x10000, v77
	s_delay_alu instid0(VALU_DEP_2) | instskip(NEXT) | instid1(VALU_DEP_2)
	v_cmp_eq_u32_e32 vcc_lo, 0, v81
	v_cndmask_b32_e32 v81, v82, v77, vcc_lo
; %bb.64:
	s_or_b32 exec_lo, exec_lo, s3
	v_and_b32_e32 v77, 0x7f800000, v78
	s_delay_alu instid0(VALU_DEP_1) | instskip(SKIP_1) | instid1(SALU_CYCLE_1)
	v_cmp_ne_u32_e32 vcc_lo, 0x7f800000, v77
                                        ; implicit-def: $vgpr77
	s_and_saveexec_b32 s3, vcc_lo
	s_xor_b32 s3, exec_lo, s3
; %bb.65:
	v_bfe_u32 v77, v78, 16, 1
	s_delay_alu instid0(VALU_DEP_1)
	v_add3_u32 v77, v78, v77, 0x7fff
                                        ; implicit-def: $vgpr78
; %bb.66:
	s_and_not1_saveexec_b32 s3, s3
; %bb.67:
	v_and_b32_e32 v77, 0xffff, v78
	v_or_b32_e32 v82, 0x10000, v78
	s_delay_alu instid0(VALU_DEP_2) | instskip(NEXT) | instid1(VALU_DEP_2)
	v_cmp_eq_u32_e32 vcc_lo, 0, v77
	v_cndmask_b32_e32 v77, v82, v78, vcc_lo
; %bb.68:
	s_or_b32 exec_lo, exec_lo, s3
	v_and_b32_e32 v78, 0x7f800000, v70
	s_delay_alu instid0(VALU_DEP_1) | instskip(SKIP_1) | instid1(SALU_CYCLE_1)
	v_cmp_ne_u32_e32 vcc_lo, 0x7f800000, v78
                                        ; implicit-def: $vgpr78
	s_and_saveexec_b32 s3, vcc_lo
	s_xor_b32 s3, exec_lo, s3
; %bb.69:
	v_bfe_u32 v78, v70, 16, 1
	s_delay_alu instid0(VALU_DEP_1)
	v_add3_u32 v78, v70, v78, 0x7fff
                                        ; implicit-def: $vgpr70
; %bb.70:
	s_and_not1_saveexec_b32 s3, s3
; %bb.71:
	v_and_b32_e32 v78, 0xffff, v70
	v_or_b32_e32 v82, 0x10000, v70
	s_delay_alu instid0(VALU_DEP_2) | instskip(NEXT) | instid1(VALU_DEP_2)
	v_cmp_eq_u32_e32 vcc_lo, 0, v78
	v_cndmask_b32_e32 v78, v82, v70, vcc_lo
; %bb.72:
	s_or_b32 exec_lo, exec_lo, s3
	v_and_b32_e32 v70, 0x7f800000, v66
	s_delay_alu instid0(VALU_DEP_1) | instskip(SKIP_1) | instid1(SALU_CYCLE_1)
	v_cmp_ne_u32_e32 vcc_lo, 0x7f800000, v70
                                        ; implicit-def: $vgpr70
	s_and_saveexec_b32 s3, vcc_lo
	s_xor_b32 s3, exec_lo, s3
; %bb.73:
	v_bfe_u32 v70, v66, 16, 1
	s_delay_alu instid0(VALU_DEP_1)
	v_add3_u32 v70, v66, v70, 0x7fff
                                        ; implicit-def: $vgpr66
; %bb.74:
	s_and_not1_saveexec_b32 s3, s3
; %bb.75:
	v_and_b32_e32 v70, 0xffff, v66
	v_or_b32_e32 v82, 0x10000, v66
	s_delay_alu instid0(VALU_DEP_2) | instskip(NEXT) | instid1(VALU_DEP_2)
	v_cmp_eq_u32_e32 vcc_lo, 0, v70
	v_cndmask_b32_e32 v70, v82, v66, vcc_lo
; %bb.76:
	s_or_b32 exec_lo, exec_lo, s3
	s_delay_alu instid0(VALU_DEP_1)
	v_perm_b32 v86, v70, v78, 0x7060302
	v_perm_b32 v85, v77, v81, 0x7060302
	;; [unrolled: 1-line block ×4, first 2 shown]
	v_lshl_or_b32 v82, v65, 11, v80
	ds_store_b128 v76, v[83:86] offset:1024
	s_waitcnt lgkmcnt(0)
	s_barrier
	buffer_gl0_inv
	ds_load_b128 v[69:72], v82
	ds_load_b128 v[83:86], v82 offset:16
	s_waitcnt lgkmcnt(1)
	v_lshrrev_b32_e32 v65, 16, v69
	v_lshlrev_b32_e32 v78, 2, v75
	s_waitcnt lgkmcnt(0)
	v_lshrrev_b32_e32 v91, 16, v83
	v_lshrrev_b32_e32 v66, 16, v70
	;; [unrolled: 1-line block ×4, first 2 shown]
	v_cmp_eq_u32_e32 vcc_lo, 1, v78
	v_lshrrev_b32_e32 v98, 16, v85
	v_lshrrev_b32_e32 v96, 16, v72
	;; [unrolled: 1-line block ×3, first 2 shown]
	v_cndmask_b32_e32 v81, v69, v65, vcc_lo
	v_or_b32_e32 v79, 1, v78
	v_cmp_eq_u32_e64 s4, 2, v78
	v_cndmask_b32_e32 v87, v83, v91, vcc_lo
	v_cmp_eq_u32_e64 s7, 3, v78
	v_cmp_eq_u32_e64 s9, 4, v78
	;; [unrolled: 1-line block ×3, first 2 shown]
	v_cndmask_b32_e64 v81, v81, v70, s4
	v_cmp_eq_u32_e64 s6, 2, v79
	v_cndmask_b32_e64 v87, v87, v84, s4
	v_cmp_eq_u32_e64 s8, 3, v79
	v_cndmask_b32_e64 v88, v69, v65, s3
	v_cndmask_b32_e64 v81, v81, v66, s7
	v_or_b32_e32 v77, 2, v78
	v_cndmask_b32_e64 v87, v87, v97, s7
	v_cndmask_b32_e64 v89, v83, v91, s3
	;; [unrolled: 1-line block ×4, first 2 shown]
	v_cmp_eq_u32_e64 s10, 5, v78
	v_cndmask_b32_e64 v87, v87, v85, s9
	v_cmp_eq_u32_e64 s11, 4, v79
	v_cndmask_b32_e64 v88, v88, v66, s8
	;; [unrolled: 2-line block ×3, first 2 shown]
	v_cndmask_b32_e64 v81, v81, v95, s10
	v_cmp_eq_u32_e64 s12, 6, v78
	v_cndmask_b32_e64 v88, v88, v71, s11
	v_cndmask_b32_e64 v87, v87, v98, s10
	v_cmp_eq_u32_e64 s13, 5, v79
	v_cndmask_b32_e64 v90, v69, v65, s5
	v_cndmask_b32_e64 v89, v89, v97, s8
	;; [unrolled: 1-line block ×3, first 2 shown]
	v_cmp_eq_u32_e64 s15, 7, v78
	v_cndmask_b32_e64 v88, v88, v95, s13
	v_cndmask_b32_e64 v87, v87, v86, s12
	v_cmp_eq_u32_e64 s16, 6, v79
	v_cmp_eq_u32_e64 s17, 2, v77
	v_cndmask_b32_e64 v89, v89, v85, s11
	v_cndmask_b32_e64 v100, v81, v96, s15
	;; [unrolled: 1-line block ×6, first 2 shown]
	v_cmp_eq_u32_e64 s18, 7, v79
	v_cmp_eq_u32_e64 s19, 3, v77
	;; [unrolled: 1-line block ×4, first 2 shown]
	v_cndmask_b32_e64 v87, v87, v84, s17
	v_cndmask_b32_e64 v102, v88, v96, s18
	;; [unrolled: 1-line block ×4, first 2 shown]
	v_or_b32_e32 v81, 3, v78
	v_cndmask_b32_e64 v93, v87, v97, s19
	v_cmp_eq_u32_e64 s24, 6, v77
	v_cndmask_b32_e64 v103, v88, v86, s16
	v_cndmask_b32_e64 v92, v89, v71, s20
	v_cmp_eq_u32_e64 s21, 1, v81
	ds_load_b128 v[87:90], v82 offset:1024
	v_cmp_eq_u32_e64 s23, 2, v81
	v_cmp_eq_u32_e64 s25, 3, v81
	v_cndmask_b32_e64 v104, v92, v95, s22
	v_cndmask_b32_e64 v65, v69, v65, s21
	;; [unrolled: 1-line block ×4, first 2 shown]
	ds_load_b128 v[91:94], v82 offset:1040
	v_cmp_eq_u32_e64 s26, 4, v81
	v_cndmask_b32_e64 v65, v65, v70, s23
	v_cmp_eq_u32_e64 s28, 5, v81
	v_cndmask_b32_e64 v70, v83, v84, s23
	;; [unrolled: 2-line block ×3, first 2 shown]
	v_cndmask_b32_e64 v65, v65, v66, s25
	v_cndmask_b32_e64 v66, v104, v72, s24
	;; [unrolled: 1-line block ×3, first 2 shown]
	v_cmp_eq_u32_e64 s27, 7, v77
	v_cndmask_b32_e64 v69, v69, v86, s24
	v_cndmask_b32_e64 v65, v65, v71, s26
	s_waitcnt lgkmcnt(1)
	v_lshrrev_b32_e32 v84, 16, v87
	v_cndmask_b32_e64 v70, v70, v85, s26
	v_cndmask_b32_e64 v83, v103, v99, s18
	;; [unrolled: 1-line block ×4, first 2 shown]
	v_lshrrev_b32_e32 v95, 16, v88
	v_cndmask_b32_e64 v70, v70, v98, s28
	s_waitcnt lgkmcnt(0)
	v_lshrrev_b32_e32 v85, 16, v91
	v_cndmask_b32_e64 v97, v87, v84, s3
	v_cndmask_b32_e64 v65, v65, v72, s29
	;; [unrolled: 1-line block ×4, first 2 shown]
	v_cndmask_b32_e32 v71, v87, v84, vcc_lo
	v_cndmask_b32_e32 v98, v91, v85, vcc_lo
	v_cmp_eq_u32_e32 vcc_lo, 7, v81
	v_cndmask_b32_e64 v72, v97, v88, s6
	v_lshrrev_b32_e32 v97, 16, v92
	v_lshrrev_b32_e32 v103, 16, v90
	v_dual_cndmask_b32 v65, v65, v96 :: v_dual_cndmask_b32 v70, v70, v99
	v_cndmask_b32_e64 v71, v71, v88, s4
	v_cndmask_b32_e64 v86, v98, v92, s4
	;; [unrolled: 1-line block ×3, first 2 shown]
	v_lshrrev_b32_e32 v98, 16, v89
	v_lshrrev_b32_e32 v99, 16, v93
	v_cndmask_b32_e64 v71, v71, v95, s7
	v_cndmask_b32_e64 v86, v86, v97, s7
	;; [unrolled: 1-line block ×3, first 2 shown]
	v_perm_b32 v72, v70, v65, 0x5040100
	v_perm_b32 v70, v83, v102, 0x5040100
	v_cndmask_b32_e64 v71, v71, v89, s9
	v_cndmask_b32_e64 v86, v86, v93, s9
	;; [unrolled: 1-line block ×3, first 2 shown]
	v_lshrrev_b32_e32 v83, 16, v94
	s_delay_alu instid0(VALU_DEP_4) | instskip(NEXT) | instid1(VALU_DEP_4)
	v_cndmask_b32_e64 v71, v71, v98, s10
	v_cndmask_b32_e64 v86, v86, v99, s10
	s_delay_alu instid0(VALU_DEP_4) | instskip(NEXT) | instid1(VALU_DEP_3)
	v_cndmask_b32_e64 v65, v65, v90, s16
	v_cndmask_b32_e64 v96, v71, v90, s12
	v_perm_b32 v71, v69, v66, 0x5040100
	s_delay_alu instid0(VALU_DEP_4)
	v_cndmask_b32_e64 v69, v86, v94, s12
	v_cndmask_b32_e64 v86, v87, v84, s5
	;; [unrolled: 1-line block ×34, first 2 shown]
	v_cndmask_b32_e32 v84, v84, v103, vcc_lo
	v_cndmask_b32_e32 v86, v87, v83, vcc_lo
	v_cndmask_b32_e64 v87, v88, v83, s27
	v_cndmask_b32_e64 v88, v85, v83, s18
	;; [unrolled: 1-line block ×3, first 2 shown]
	v_perm_b32 v69, v101, v100, 0x5040100
	v_perm_b32 v86, v86, v84, 0x5040100
	;; [unrolled: 1-line block ×5, first 2 shown]
	s_lshl_b32 s8, s35, 2
	s_mov_b32 s3, exec_lo
	ds_store_b128 v76, v[69:72]
	ds_store_b128 v76, v[83:86] offset:1024
	v_cmpx_gt_u32_e32 4, v0
	s_cbranch_execz .LBB1729_78
; %bb.77:
	v_or_b32_e32 v65, s31, v0
	s_load_b128 s[4:7], s[0:1], 0x58
	s_delay_alu instid0(VALU_DEP_1) | instskip(NEXT) | instid1(VALU_DEP_1)
	v_mad_u64_u32 v[69:70], null, s8, s30, v[65:66]
	v_mad_u64_u32 v[65:66], null, v69, s34, s[14:15]
	s_delay_alu instid0(VALU_DEP_1) | instskip(NEXT) | instid1(VALU_DEP_1)
	v_ashrrev_i32_e32 v66, 31, v65
	v_lshlrev_b64 v[65:66], 2, v[65:66]
	s_waitcnt lgkmcnt(0)
	s_delay_alu instid0(VALU_DEP_1) | instskip(NEXT) | instid1(VALU_DEP_2)
	v_add_co_u32 v69, vcc_lo, s6, v65
	v_add_co_ci_u32_e32 v70, vcc_lo, s7, v66, vcc_lo
	v_add_co_u32 v65, vcc_lo, s4, v65
	v_add_co_ci_u32_e32 v66, vcc_lo, s5, v66, vcc_lo
	global_store_b32 v[69:70], v67, off
	global_store_b32 v[65:66], v68, off
.LBB1729_78:
	s_or_b32 exec_lo, exec_lo, s3
	s_waitcnt lgkmcnt(0)
	s_waitcnt_vscnt null, 0x0
	s_barrier
	buffer_gl0_inv
	ds_load_b128 v[83:86], v80
	ds_load_b128 v[87:90], v80 offset:16
	ds_load_b128 v[95:98], v80 offset:2064
	;; [unrolled: 1-line block ×3, first 2 shown]
	v_mov_b32_e32 v65, 0
	ds_load_b128 v[103:106], v80 offset:4112
	ds_load_b128 v[99:102], v80 offset:4096
	ds_load_b128 v[111:114], v80 offset:6160
	ds_load_b128 v[107:110], v80 offset:6144
	v_mov_b32_e32 v66, v65
	v_mov_b32_e32 v67, v65
	;; [unrolled: 1-line block ×7, first 2 shown]
	s_waitcnt lgkmcnt(6)
	s_delay_alu instid0(VALU_DEP_1)
	v_wmma_f32_16x16x16_bf16 v[65:72], v[57:64], v[83:90], v[65:72]
	ds_load_b128 v[61:64], v80 offset:8208
	ds_load_b128 v[57:60], v80 offset:8192
	s_waitcnt lgkmcnt(6)
	v_wmma_f32_16x16x16_bf16 v[65:72], v[41:48], v[91:98], v[65:72]
	ds_load_b128 v[45:48], v80 offset:10256
	ds_load_b128 v[41:44], v80 offset:10240
	s_waitcnt lgkmcnt(6)
	;; [unrolled: 4-line block ×4, first 2 shown]
	v_wmma_f32_16x16x16_bf16 v[65:72], v[1:8], v[57:64], v[65:72]
	s_waitcnt lgkmcnt(4)
	s_delay_alu instid0(VALU_DEP_1) | instskip(SKIP_1) | instid1(VALU_DEP_1)
	v_wmma_f32_16x16x16_bf16 v[65:72], v[9:16], v[41:48], v[65:72]
	s_waitcnt lgkmcnt(2)
	v_wmma_f32_16x16x16_bf16 v[65:72], v[17:24], v[33:40], v[65:72]
	s_waitcnt lgkmcnt(0)
	s_delay_alu instid0(VALU_DEP_1) | instskip(NEXT) | instid1(VALU_DEP_1)
	v_wmma_f32_16x16x16_bf16 v[65:72], v[49:56], v[25:32], v[65:72]
	v_and_b32_e32 v1, 0x7f800000, v65
	s_delay_alu instid0(VALU_DEP_1) | instskip(SKIP_1) | instid1(SALU_CYCLE_1)
	v_cmp_ne_u32_e32 vcc_lo, 0x7f800000, v1
                                        ; implicit-def: $vgpr1
	s_and_saveexec_b32 s3, vcc_lo
	s_xor_b32 s3, exec_lo, s3
; %bb.79:
	v_bfe_u32 v1, v65, 16, 1
	s_delay_alu instid0(VALU_DEP_1)
	v_add3_u32 v1, v65, v1, 0x7fff
; %bb.80:
	s_and_not1_saveexec_b32 s3, s3
; %bb.81:
	v_and_b32_e32 v1, 0xffff, v65
	v_or_b32_e32 v2, 0x10000, v65
	s_delay_alu instid0(VALU_DEP_2) | instskip(NEXT) | instid1(VALU_DEP_2)
	v_cmp_eq_u32_e32 vcc_lo, 0, v1
	v_cndmask_b32_e32 v1, v2, v65, vcc_lo
; %bb.82:
	s_or_b32 exec_lo, exec_lo, s3
	v_and_b32_e32 v2, 0x7f800000, v66
	s_delay_alu instid0(VALU_DEP_1) | instskip(SKIP_1) | instid1(SALU_CYCLE_1)
	v_cmp_ne_u32_e32 vcc_lo, 0x7f800000, v2
                                        ; implicit-def: $vgpr2
	s_and_saveexec_b32 s3, vcc_lo
	s_xor_b32 s3, exec_lo, s3
; %bb.83:
	v_bfe_u32 v2, v66, 16, 1
	s_delay_alu instid0(VALU_DEP_1)
	v_add3_u32 v2, v66, v2, 0x7fff
; %bb.84:
	s_and_not1_saveexec_b32 s3, s3
; %bb.85:
	v_and_b32_e32 v2, 0xffff, v66
	v_or_b32_e32 v3, 0x10000, v66
	s_delay_alu instid0(VALU_DEP_2) | instskip(NEXT) | instid1(VALU_DEP_2)
	v_cmp_eq_u32_e32 vcc_lo, 0, v2
	v_cndmask_b32_e32 v2, v3, v66, vcc_lo
; %bb.86:
	s_or_b32 exec_lo, exec_lo, s3
	v_and_b32_e32 v3, 0x7f800000, v67
	s_delay_alu instid0(VALU_DEP_1) | instskip(SKIP_1) | instid1(SALU_CYCLE_1)
	v_cmp_ne_u32_e32 vcc_lo, 0x7f800000, v3
                                        ; implicit-def: $vgpr3
	s_and_saveexec_b32 s3, vcc_lo
	s_xor_b32 s3, exec_lo, s3
; %bb.87:
	v_bfe_u32 v3, v67, 16, 1
	s_delay_alu instid0(VALU_DEP_1)
	v_add3_u32 v3, v67, v3, 0x7fff
; %bb.88:
	s_and_not1_saveexec_b32 s3, s3
; %bb.89:
	v_and_b32_e32 v3, 0xffff, v67
	v_or_b32_e32 v4, 0x10000, v67
	s_delay_alu instid0(VALU_DEP_2) | instskip(NEXT) | instid1(VALU_DEP_2)
	v_cmp_eq_u32_e32 vcc_lo, 0, v3
	v_cndmask_b32_e32 v3, v4, v67, vcc_lo
; %bb.90:
	s_or_b32 exec_lo, exec_lo, s3
	v_and_b32_e32 v4, 0x7f800000, v68
	s_delay_alu instid0(VALU_DEP_1) | instskip(SKIP_1) | instid1(SALU_CYCLE_1)
	v_cmp_ne_u32_e32 vcc_lo, 0x7f800000, v4
                                        ; implicit-def: $vgpr4
	s_and_saveexec_b32 s3, vcc_lo
	s_xor_b32 s3, exec_lo, s3
; %bb.91:
	v_bfe_u32 v4, v68, 16, 1
	s_delay_alu instid0(VALU_DEP_1)
	v_add3_u32 v4, v68, v4, 0x7fff
; %bb.92:
	s_and_not1_saveexec_b32 s3, s3
; %bb.93:
	v_and_b32_e32 v4, 0xffff, v68
	v_or_b32_e32 v5, 0x10000, v68
	s_delay_alu instid0(VALU_DEP_2) | instskip(NEXT) | instid1(VALU_DEP_2)
	v_cmp_eq_u32_e32 vcc_lo, 0, v4
	v_cndmask_b32_e32 v4, v5, v68, vcc_lo
; %bb.94:
	s_or_b32 exec_lo, exec_lo, s3
	v_and_b32_e32 v5, 0x7f800000, v69
	s_delay_alu instid0(VALU_DEP_1) | instskip(SKIP_1) | instid1(SALU_CYCLE_1)
	v_cmp_ne_u32_e32 vcc_lo, 0x7f800000, v5
                                        ; implicit-def: $vgpr5
	s_and_saveexec_b32 s3, vcc_lo
	s_xor_b32 s3, exec_lo, s3
; %bb.95:
	v_bfe_u32 v5, v69, 16, 1
	s_delay_alu instid0(VALU_DEP_1)
	v_add3_u32 v5, v69, v5, 0x7fff
; %bb.96:
	s_and_not1_saveexec_b32 s3, s3
; %bb.97:
	v_and_b32_e32 v5, 0xffff, v69
	v_or_b32_e32 v6, 0x10000, v69
	s_delay_alu instid0(VALU_DEP_2) | instskip(NEXT) | instid1(VALU_DEP_2)
	v_cmp_eq_u32_e32 vcc_lo, 0, v5
	v_cndmask_b32_e32 v5, v6, v69, vcc_lo
; %bb.98:
	s_or_b32 exec_lo, exec_lo, s3
	v_and_b32_e32 v6, 0x7f800000, v70
	s_delay_alu instid0(VALU_DEP_1) | instskip(SKIP_1) | instid1(SALU_CYCLE_1)
	v_cmp_ne_u32_e32 vcc_lo, 0x7f800000, v6
                                        ; implicit-def: $vgpr6
	s_and_saveexec_b32 s3, vcc_lo
	s_xor_b32 s3, exec_lo, s3
; %bb.99:
	v_bfe_u32 v6, v70, 16, 1
	s_delay_alu instid0(VALU_DEP_1)
	v_add3_u32 v6, v70, v6, 0x7fff
; %bb.100:
	s_and_not1_saveexec_b32 s3, s3
; %bb.101:
	v_and_b32_e32 v6, 0xffff, v70
	v_or_b32_e32 v7, 0x10000, v70
	s_delay_alu instid0(VALU_DEP_2) | instskip(NEXT) | instid1(VALU_DEP_2)
	v_cmp_eq_u32_e32 vcc_lo, 0, v6
	v_cndmask_b32_e32 v6, v7, v70, vcc_lo
; %bb.102:
	s_or_b32 exec_lo, exec_lo, s3
	v_and_b32_e32 v7, 0x7f800000, v71
	s_delay_alu instid0(VALU_DEP_1) | instskip(SKIP_1) | instid1(SALU_CYCLE_1)
	v_cmp_ne_u32_e32 vcc_lo, 0x7f800000, v7
                                        ; implicit-def: $vgpr7
	s_and_saveexec_b32 s3, vcc_lo
	s_xor_b32 s3, exec_lo, s3
; %bb.103:
	v_bfe_u32 v7, v71, 16, 1
	s_delay_alu instid0(VALU_DEP_1)
	v_add3_u32 v7, v71, v7, 0x7fff
; %bb.104:
	s_and_not1_saveexec_b32 s3, s3
; %bb.105:
	v_and_b32_e32 v7, 0xffff, v71
	v_or_b32_e32 v8, 0x10000, v71
	s_delay_alu instid0(VALU_DEP_2) | instskip(NEXT) | instid1(VALU_DEP_2)
	v_cmp_eq_u32_e32 vcc_lo, 0, v7
	v_cndmask_b32_e32 v7, v8, v71, vcc_lo
; %bb.106:
	s_or_b32 exec_lo, exec_lo, s3
	v_and_b32_e32 v8, 0x7f800000, v72
	s_delay_alu instid0(VALU_DEP_1) | instskip(SKIP_1) | instid1(SALU_CYCLE_1)
	v_cmp_ne_u32_e32 vcc_lo, 0x7f800000, v8
                                        ; implicit-def: $vgpr8
	s_and_saveexec_b32 s3, vcc_lo
	s_xor_b32 s3, exec_lo, s3
; %bb.107:
	v_bfe_u32 v8, v72, 16, 1
	s_delay_alu instid0(VALU_DEP_1)
	v_add3_u32 v8, v72, v8, 0x7fff
                                        ; implicit-def: $vgpr65_vgpr66_vgpr67_vgpr68_vgpr69_vgpr70_vgpr71_vgpr72
; %bb.108:
	s_and_not1_saveexec_b32 s3, s3
; %bb.109:
	v_and_b32_e32 v8, 0xffff, v72
	v_or_b32_e32 v9, 0x10000, v72
	s_delay_alu instid0(VALU_DEP_2) | instskip(NEXT) | instid1(VALU_DEP_2)
	v_cmp_eq_u32_e32 vcc_lo, 0, v8
	v_cndmask_b32_e32 v8, v9, v72, vcc_lo
; %bb.110:
	s_or_b32 exec_lo, exec_lo, s3
	s_delay_alu instid0(VALU_DEP_1)
	v_perm_b32 v7, v8, v7, 0x7060302
	v_perm_b32 v6, v6, v5, 0x7060302
	;; [unrolled: 1-line block ×4, first 2 shown]
	s_barrier
	buffer_gl0_inv
	v_cmp_eq_u32_e32 vcc_lo, 1, v78
	ds_store_b128 v76, v[4:7]
	s_waitcnt lgkmcnt(0)
	s_barrier
	buffer_gl0_inv
	ds_load_b128 v[1:4], v82
	ds_load_b128 v[5:8], v82 offset:16
	v_cmp_eq_u32_e64 s3, 1, v79
	v_cmp_eq_u32_e64 s4, 2, v78
	;; [unrolled: 1-line block ×5, first 2 shown]
	s_waitcnt lgkmcnt(1)
	v_lshrrev_b32_e32 v9, 16, v1
	s_waitcnt lgkmcnt(0)
	v_lshrrev_b32_e32 v13, 16, v5
	v_lshrrev_b32_e32 v10, 16, v2
	v_lshrrev_b32_e32 v14, 16, v6
	v_lshrrev_b32_e32 v11, 16, v3
	v_cndmask_b32_e64 v19, v1, v9, s3
	v_cndmask_b32_e32 v18, v5, v13, vcc_lo
	v_cndmask_b32_e64 v20, v5, v13, s3
	v_cndmask_b32_e32 v17, v1, v9, vcc_lo
	v_cmp_eq_u32_e32 vcc_lo, 2, v79
	v_lshrrev_b32_e32 v15, 16, v7
	v_cmp_eq_u32_e64 s3, 1, v77
	v_lshrrev_b32_e32 v12, 16, v4
	v_lshrrev_b32_e32 v16, 16, v8
	v_cndmask_b32_e32 v20, v20, v6, vcc_lo
	v_cndmask_b32_e64 v17, v17, v2, s4
	v_cndmask_b32_e32 v19, v19, v2, vcc_lo
	v_cndmask_b32_e64 v18, v18, v6, s4
	v_cmp_eq_u32_e32 vcc_lo, 4, v78
	v_cmp_eq_u32_e64 s4, 3, v79
	v_cndmask_b32_e64 v17, v17, v10, s5
	v_cndmask_b32_e64 v21, v1, v9, s3
	;; [unrolled: 1-line block ×5, first 2 shown]
	v_cndmask_b32_e32 v17, v17, v3, vcc_lo
	v_cndmask_b32_e64 v20, v20, v14, s4
	v_cndmask_b32_e32 v18, v18, v7, vcc_lo
	v_cmp_eq_u32_e32 vcc_lo, 4, v79
	v_cmp_eq_u32_e64 s4, 5, v79
	v_cmp_eq_u32_e64 s3, 2, v81
	v_cndmask_b32_e64 v21, v21, v2, s7
	v_cmp_eq_u32_e64 s5, 5, v78
	v_cndmask_b32_e32 v19, v19, v3, vcc_lo
	v_cndmask_b32_e32 v20, v20, v7, vcc_lo
	v_cmp_eq_u32_e32 vcc_lo, 6, v79
	s_delay_alu instid0(VALU_DEP_4) | instskip(NEXT) | instid1(VALU_DEP_4)
	v_cndmask_b32_e64 v17, v17, v11, s5
	v_cndmask_b32_e64 v19, v19, v11, s4
	s_delay_alu instid0(VALU_DEP_4) | instskip(SKIP_1) | instid1(VALU_DEP_3)
	v_cndmask_b32_e64 v20, v20, v15, s4
	v_cmp_eq_u32_e64 s4, 1, v81
	v_cndmask_b32_e32 v19, v19, v4, vcc_lo
	v_cndmask_b32_e64 v18, v18, v15, s5
	s_delay_alu instid0(VALU_DEP_3)
	v_cndmask_b32_e64 v1, v1, v9, s4
	v_cndmask_b32_e64 v5, v5, v13, s4
	v_cmp_eq_u32_e64 s4, 3, v77
	v_cndmask_b32_e64 v13, v22, v6, s7
	v_cmp_eq_u32_e64 s7, 3, v81
	v_cndmask_b32_e64 v1, v1, v2, s3
	v_cndmask_b32_e64 v2, v5, v6, s3
	;; [unrolled: 1-line block ×3, first 2 shown]
	v_cmp_eq_u32_e64 s3, 4, v77
	v_cndmask_b32_e64 v6, v13, v14, s4
	v_cndmask_b32_e64 v1, v1, v10, s7
	v_cmp_eq_u32_e64 s4, 4, v81
	v_cndmask_b32_e64 v2, v2, v14, s7
	v_cndmask_b32_e64 v5, v9, v3, s3
	;; [unrolled: 3-line block ×3, first 2 shown]
	v_cndmask_b32_e64 v2, v2, v7, s4
	v_cmp_eq_u32_e64 s3, 5, v81
	v_cmp_eq_u32_e64 s5, 6, v78
	v_cndmask_b32_e64 v5, v5, v11, s7
	v_cmp_eq_u32_e64 s4, 6, v77
	v_cndmask_b32_e64 v3, v6, v15, s7
	v_cndmask_b32_e64 v1, v1, v11, s3
	v_cmp_eq_u32_e64 s7, 6, v81
	v_cndmask_b32_e64 v2, v2, v15, s3
	v_cndmask_b32_e64 v17, v17, v4, s5
	v_cndmask_b32_e64 v18, v18, v8, s5
	v_cmp_eq_u32_e64 s5, 7, v78
	v_cndmask_b32_e64 v5, v5, v4, s4
	;; [unrolled: 4-line block ×3, first 2 shown]
	v_cmp_eq_u32_e64 s4, 7, v77
	v_cndmask_b32_e32 v4, v20, v8, vcc_lo
	v_cndmask_b32_e64 v17, v17, v12, s5
	v_cndmask_b32_e64 v19, v19, v12, s6
	;; [unrolled: 1-line block ×8, first 2 shown]
	v_cmp_gt_u32_e32 vcc_lo, 32, v0
	v_perm_b32 v4, v2, v1, 0x5040100
	v_perm_b32 v3, v3, v5, 0x5040100
	;; [unrolled: 1-line block ×4, first 2 shown]
	s_and_b32 s2, vcc_lo, s2
	ds_store_b128 v76, v[1:4]
	s_waitcnt lgkmcnt(0)
	s_barrier
	buffer_gl0_inv
	s_and_saveexec_b32 s3, s2
	s_cbranch_execz .LBB1729_2
; %bb.111:
	s_load_b64 s[0:1], s[0:1], 0x68
	v_lshlrev_b32_e32 v0, 10, v0
	v_or_b32_e32 v1, s31, v75
	s_lshl_b32 s4, s34, 6
	v_lshlrev_b32_e32 v2, 4, v74
	s_mul_i32 s2, s4, s30
	v_lshlrev_b32_e32 v3, 6, v75
	v_mul_lo_u32 v8, v1, s4
	v_and_b32_e32 v0, 0x3800, v0
	v_or_b32_e32 v1, 2, v1
	s_mul_i32 s2, s2, s8
	s_delay_alu instid0(SALU_CYCLE_1) | instskip(NEXT) | instid1(VALU_DEP_2)
	s_ashr_i32 s3, s2, 31
	v_or3_b32 v4, v0, v2, v3
	s_lshl_b64 s[2:3], s[2:3], 1
	v_mul_lo_u32 v10, v1, s4
	v_ashrrev_i32_e32 v9, 31, v8
	ds_load_b128 v[0:3], v4
	ds_load_b128 v[4:7], v4 offset:128
	s_waitcnt lgkmcnt(0)
	s_add_u32 s2, s0, s2
	s_addc_u32 s3, s1, s3
	s_lshl_b32 s0, s14, 6
	v_ashrrev_i32_e32 v11, 31, v10
	s_ashr_i32 s1, s0, 31
	v_lshlrev_b64 v[8:9], 1, v[8:9]
	s_lshl_b64 s[0:1], s[0:1], 1
	s_delay_alu instid0(SALU_CYCLE_1) | instskip(SKIP_2) | instid1(VALU_DEP_1)
	s_add_u32 s0, s2, s0
	s_addc_u32 s1, s3, s1
	v_add_co_u32 v12, s0, s0, v73
	v_add_co_ci_u32_e64 v13, null, s1, 0, s0
	v_lshlrev_b64 v[10:11], 1, v[10:11]
	s_delay_alu instid0(VALU_DEP_3) | instskip(NEXT) | instid1(VALU_DEP_3)
	v_add_co_u32 v8, vcc_lo, v12, v8
	v_add_co_ci_u32_e32 v9, vcc_lo, v13, v9, vcc_lo
	s_delay_alu instid0(VALU_DEP_3) | instskip(NEXT) | instid1(VALU_DEP_4)
	v_add_co_u32 v10, vcc_lo, v12, v10
	v_add_co_ci_u32_e32 v11, vcc_lo, v13, v11, vcc_lo
	s_clause 0x1
	global_store_b128 v[8:9], v[0:3], off
	global_store_b128 v[10:11], v[4:7], off
	s_nop 0
	s_sendmsg sendmsg(MSG_DEALLOC_VGPRS)
	s_endpgm
	.section	.rodata,"a",@progbits
	.p2align	6, 0x0
	.amdhsa_kernel _Z39paged_attention_ll4mi_QKV_mfma16_kernelI14__hip_bfloat16hLN4vllm18Fp8KVCacheDataTypeE1ES0_Li16ELi64ELi256ELb0ELi4EL8MFMAType0EEvPKT_PKT0_S9_ifPKiSB_SB_iPKfiiiPfSE_PS4_PT2_iSD_SD_
		.amdhsa_group_segment_fixed_size 17472
		.amdhsa_private_segment_fixed_size 0
		.amdhsa_kernarg_size 400
		.amdhsa_user_sgpr_count 13
		.amdhsa_user_sgpr_dispatch_ptr 0
		.amdhsa_user_sgpr_queue_ptr 0
		.amdhsa_user_sgpr_kernarg_segment_ptr 1
		.amdhsa_user_sgpr_dispatch_id 0
		.amdhsa_user_sgpr_private_segment_size 0
		.amdhsa_wavefront_size32 1
		.amdhsa_uses_dynamic_stack 0
		.amdhsa_enable_private_segment 0
		.amdhsa_system_sgpr_workgroup_id_x 1
		.amdhsa_system_sgpr_workgroup_id_y 1
		.amdhsa_system_sgpr_workgroup_id_z 1
		.amdhsa_system_sgpr_workgroup_info 0
		.amdhsa_system_vgpr_workitem_id 0
		.amdhsa_next_free_vgpr 124
		.amdhsa_next_free_sgpr 38
		.amdhsa_reserve_vcc 1
		.amdhsa_float_round_mode_32 0
		.amdhsa_float_round_mode_16_64 0
		.amdhsa_float_denorm_mode_32 3
		.amdhsa_float_denorm_mode_16_64 3
		.amdhsa_dx10_clamp 1
		.amdhsa_ieee_mode 1
		.amdhsa_fp16_overflow 0
		.amdhsa_workgroup_processor_mode 1
		.amdhsa_memory_ordered 1
		.amdhsa_forward_progress 0
		.amdhsa_shared_vgpr_count 0
		.amdhsa_exception_fp_ieee_invalid_op 0
		.amdhsa_exception_fp_denorm_src 0
		.amdhsa_exception_fp_ieee_div_zero 0
		.amdhsa_exception_fp_ieee_overflow 0
		.amdhsa_exception_fp_ieee_underflow 0
		.amdhsa_exception_fp_ieee_inexact 0
		.amdhsa_exception_int_div_zero 0
	.end_amdhsa_kernel
	.section	.text._Z39paged_attention_ll4mi_QKV_mfma16_kernelI14__hip_bfloat16hLN4vllm18Fp8KVCacheDataTypeE1ES0_Li16ELi64ELi256ELb0ELi4EL8MFMAType0EEvPKT_PKT0_S9_ifPKiSB_SB_iPKfiiiPfSE_PS4_PT2_iSD_SD_,"axG",@progbits,_Z39paged_attention_ll4mi_QKV_mfma16_kernelI14__hip_bfloat16hLN4vllm18Fp8KVCacheDataTypeE1ES0_Li16ELi64ELi256ELb0ELi4EL8MFMAType0EEvPKT_PKT0_S9_ifPKiSB_SB_iPKfiiiPfSE_PS4_PT2_iSD_SD_,comdat
.Lfunc_end1729:
	.size	_Z39paged_attention_ll4mi_QKV_mfma16_kernelI14__hip_bfloat16hLN4vllm18Fp8KVCacheDataTypeE1ES0_Li16ELi64ELi256ELb0ELi4EL8MFMAType0EEvPKT_PKT0_S9_ifPKiSB_SB_iPKfiiiPfSE_PS4_PT2_iSD_SD_, .Lfunc_end1729-_Z39paged_attention_ll4mi_QKV_mfma16_kernelI14__hip_bfloat16hLN4vllm18Fp8KVCacheDataTypeE1ES0_Li16ELi64ELi256ELb0ELi4EL8MFMAType0EEvPKT_PKT0_S9_ifPKiSB_SB_iPKfiiiPfSE_PS4_PT2_iSD_SD_
                                        ; -- End function
	.section	.AMDGPU.csdata,"",@progbits
; Kernel info:
; codeLenInByte = 8604
; NumSgprs: 40
; NumVgprs: 124
; ScratchSize: 0
; MemoryBound: 0
; FloatMode: 240
; IeeeMode: 1
; LDSByteSize: 17472 bytes/workgroup (compile time only)
; SGPRBlocks: 4
; VGPRBlocks: 15
; NumSGPRsForWavesPerEU: 40
; NumVGPRsForWavesPerEU: 124
; Occupancy: 10
; WaveLimiterHint : 1
; COMPUTE_PGM_RSRC2:SCRATCH_EN: 0
; COMPUTE_PGM_RSRC2:USER_SGPR: 13
; COMPUTE_PGM_RSRC2:TRAP_HANDLER: 0
; COMPUTE_PGM_RSRC2:TGID_X_EN: 1
; COMPUTE_PGM_RSRC2:TGID_Y_EN: 1
; COMPUTE_PGM_RSRC2:TGID_Z_EN: 1
; COMPUTE_PGM_RSRC2:TIDIG_COMP_CNT: 0
	.section	.text._Z39paged_attention_ll4mi_QKV_mfma16_kernelI14__hip_bfloat16hLN4vllm18Fp8KVCacheDataTypeE1EhLi32ELi64ELi256ELb1ELi5EL8MFMAType0EEvPKT_PKT0_S9_ifPKiSB_SB_iPKfiiiPfSE_PS4_PT2_iSD_SD_,"axG",@progbits,_Z39paged_attention_ll4mi_QKV_mfma16_kernelI14__hip_bfloat16hLN4vllm18Fp8KVCacheDataTypeE1EhLi32ELi64ELi256ELb1ELi5EL8MFMAType0EEvPKT_PKT0_S9_ifPKiSB_SB_iPKfiiiPfSE_PS4_PT2_iSD_SD_,comdat
	.protected	_Z39paged_attention_ll4mi_QKV_mfma16_kernelI14__hip_bfloat16hLN4vllm18Fp8KVCacheDataTypeE1EhLi32ELi64ELi256ELb1ELi5EL8MFMAType0EEvPKT_PKT0_S9_ifPKiSB_SB_iPKfiiiPfSE_PS4_PT2_iSD_SD_ ; -- Begin function _Z39paged_attention_ll4mi_QKV_mfma16_kernelI14__hip_bfloat16hLN4vllm18Fp8KVCacheDataTypeE1EhLi32ELi64ELi256ELb1ELi5EL8MFMAType0EEvPKT_PKT0_S9_ifPKiSB_SB_iPKfiiiPfSE_PS4_PT2_iSD_SD_
	.globl	_Z39paged_attention_ll4mi_QKV_mfma16_kernelI14__hip_bfloat16hLN4vllm18Fp8KVCacheDataTypeE1EhLi32ELi64ELi256ELb1ELi5EL8MFMAType0EEvPKT_PKT0_S9_ifPKiSB_SB_iPKfiiiPfSE_PS4_PT2_iSD_SD_
	.p2align	8
	.type	_Z39paged_attention_ll4mi_QKV_mfma16_kernelI14__hip_bfloat16hLN4vllm18Fp8KVCacheDataTypeE1EhLi32ELi64ELi256ELb1ELi5EL8MFMAType0EEvPKT_PKT0_S9_ifPKiSB_SB_iPKfiiiPfSE_PS4_PT2_iSD_SD_,@function
_Z39paged_attention_ll4mi_QKV_mfma16_kernelI14__hip_bfloat16hLN4vllm18Fp8KVCacheDataTypeE1EhLi32ELi64ELi256ELb1ELi5EL8MFMAType0EEvPKT_PKT0_S9_ifPKiSB_SB_iPKfiiiPfSE_PS4_PT2_iSD_SD_: ; @_Z39paged_attention_ll4mi_QKV_mfma16_kernelI14__hip_bfloat16hLN4vllm18Fp8KVCacheDataTypeE1EhLi32ELi64ELi256ELb1ELi5EL8MFMAType0EEvPKT_PKT0_S9_ifPKiSB_SB_iPKfiiiPfSE_PS4_PT2_iSD_SD_
; %bb.0:
	s_load_b64 s[2:3], s[0:1], 0x30
	s_mov_b32 s34, s13
	s_waitcnt lgkmcnt(0)
	s_cmp_lg_u64 s[2:3], 0
	s_cselect_b32 s8, -1, 0
	s_ashr_i32 s35, s13, 31
	s_cmp_eq_u64 s[2:3], 0
	s_cbranch_scc1 .LBB1730_3
; %bb.1:
	s_lshl_b64 s[4:5], s[34:35], 2
	s_delay_alu instid0(SALU_CYCLE_1) | instskip(SKIP_4) | instid1(SALU_CYCLE_1)
	s_add_u32 s4, s2, s4
	s_addc_u32 s5, s3, s5
	s_load_b64 s[4:5], s[4:5], 0x0
	s_waitcnt lgkmcnt(0)
	s_sub_i32 s4, s5, s4
	s_cmp_eq_u32 s4, 1
	s_cselect_b32 s4, -1, 0
	s_delay_alu instid0(SALU_CYCLE_1)
	s_and_not1_b32 vcc_lo, exec_lo, s4
	s_cbranch_vccz .LBB1730_4
.LBB1730_2:
	s_nop 0
	s_sendmsg sendmsg(MSG_DEALLOC_VGPRS)
	s_endpgm
.LBB1730_3:
.LBB1730_4:
	s_load_b64 s[4:5], s[0:1], 0x28
	s_lshl_b64 s[6:7], s[34:35], 2
	s_waitcnt lgkmcnt(0)
	s_add_u32 s4, s4, s6
	s_addc_u32 s5, s5, s7
	s_lshl_b32 s12, s14, 8
	s_load_b32 s24, s[4:5], 0x0
	s_waitcnt lgkmcnt(0)
	s_cmp_ge_i32 s12, s24
	s_cbranch_scc1 .LBB1730_2
; %bb.5:
	s_clause 0x1
	s_load_b128 s[20:23], s[0:1], 0x8
	s_load_b64 s[4:5], s[0:1], 0x20
	s_and_not1_b32 vcc_lo, exec_lo, s8
	s_cbranch_vccnz .LBB1730_7
; %bb.6:
	s_add_u32 s2, s2, s6
	s_addc_u32 s3, s3, s7
	s_load_b32 s3, s[2:3], 0x0
	s_branch .LBB1730_8
.LBB1730_7:
	s_mov_b32 s3, s34
.LBB1730_8:
	s_load_b128 s[16:19], s[0:1], 0x48
	v_lshrrev_b32_e32 v66, 5, v0
	v_bfe_u32 v74, v0, 4, 1
	v_and_b32_e32 v65, 15, v0
	v_and_b32_e32 v67, 31, v0
	;; [unrolled: 1-line block ×3, first 2 shown]
	s_mul_i32 s31, s15, 5
	v_lshl_or_b32 v1, v66, 1, v74
	v_lshlrev_b32_e32 v2, 3, v65
	v_cmp_gt_u32_e64 s2, 8, v65
	s_delay_alu instid0(VALU_DEP_3) | instskip(NEXT) | instid1(VALU_DEP_3)
	v_cmp_gt_u32_e32 vcc_lo, 5, v1
	v_lshlrev_b32_e32 v73, 1, v2
	s_delay_alu instid0(VALU_DEP_3) | instskip(NEXT) | instid1(SALU_CYCLE_1)
	s_and_b32 s7, s2, vcc_lo
	s_and_saveexec_b32 s6, s7
	s_cbranch_execz .LBB1730_10
; %bb.9:
	s_load_b64 s[8:9], s[0:1], 0x0
	v_add_lshl_u32 v2, v1, s31, 6
	s_waitcnt lgkmcnt(0)
	s_mul_hi_i32 s11, s3, s16
	s_mul_i32 s10, s3, s16
	v_lshlrev_b32_e32 v6, 10, v65
	s_lshl_b64 s[10:11], s[10:11], 1
	v_ashrrev_i32_e32 v3, 31, v2
	v_lshlrev_b32_e32 v1, 6, v1
	v_lshlrev_b32_e32 v7, 10, v75
	v_and_b32_e32 v6, 0x3800, v6
	s_delay_alu instid0(VALU_DEP_4) | instskip(NEXT) | instid1(VALU_DEP_2)
	v_lshlrev_b64 v[2:3], 1, v[2:3]
	v_or3_b32 v1, v6, v7, v1
	s_add_u32 s3, s8, s10
	s_addc_u32 s7, s9, s11
	s_delay_alu instid0(VALU_DEP_2) | instskip(NEXT) | instid1(VALU_DEP_3)
	v_add_co_u32 v2, vcc_lo, s3, v2
	v_add_co_ci_u32_e32 v3, vcc_lo, s7, v3, vcc_lo
	s_delay_alu instid0(VALU_DEP_2) | instskip(NEXT) | instid1(VALU_DEP_2)
	v_add_co_u32 v2, vcc_lo, v2, v73
	v_add_co_ci_u32_e32 v3, vcc_lo, 0, v3, vcc_lo
	global_load_b128 v[2:5], v[2:3], off
	s_waitcnt vmcnt(0)
	ds_store_b128 v1, v[2:5]
.LBB1730_10:
	s_or_b32 exec_lo, exec_lo, s6
	v_and_b32_e32 v1, 0xef, v0
	s_waitcnt lgkmcnt(0)
	s_add_i32 s3, s24, 31
	s_clause 0x1
	s_load_b32 s6, s[0:1], 0x38
	s_load_b32 s19, s[0:1], 0x1c
	s_ashr_i32 s7, s3, 31
	v_add_nc_u32_e32 v1, s12, v1
	s_lshr_b32 s7, s7, 27
	s_waitcnt lgkmcnt(0)
	s_add_i32 s3, s3, s7
	s_barrier
	v_ashrrev_i32_e32 v2, 31, v1
	v_or_b32_e32 v3, 16, v1
	s_ashr_i32 s3, s3, 5
	v_cmp_gt_i32_e32 vcc_lo, s24, v1
	s_add_i32 s3, s3, -1
	v_lshrrev_b32_e32 v2, 27, v2
	buffer_gl0_inv
	s_mul_i32 s27, s15, s18
	v_add_nc_u32_e32 v4, v1, v2
	s_mul_i32 s6, s34, s6
	s_delay_alu instid0(SALU_CYCLE_1) | instskip(NEXT) | instid1(VALU_DEP_1)
	s_ashr_i32 s7, s6, 31
	v_ashrrev_i32_e32 v4, 5, v4
	v_add_nc_u32_e32 v2, v3, v2
	s_lshl_b64 s[6:7], s[6:7], 2
	s_delay_alu instid0(SALU_CYCLE_1) | instskip(NEXT) | instid1(VALU_DEP_2)
	s_add_u32 s26, s4, s6
	v_cndmask_b32_e32 v1, s3, v4, vcc_lo
	s_delay_alu instid0(VALU_DEP_2)
	v_ashrrev_i32_e32 v2, 5, v2
	v_cmp_gt_i32_e32 vcc_lo, s24, v3
	s_addc_u32 s25, s5, s7
	s_ashr_i32 s28, s27, 31
	s_add_u32 s4, s20, s27
	s_addc_u32 s5, s21, s28
	v_cndmask_b32_e32 v3, s3, v2, vcc_lo
	v_ashrrev_i32_e32 v2, 31, v1
	s_lshl_b32 s6, s14, 3
	s_delay_alu instid0(SALU_CYCLE_1) | instskip(NEXT) | instid1(VALU_DEP_2)
	s_ashr_i32 s7, s6, 31
	v_ashrrev_i32_e32 v4, 31, v3
	s_delay_alu instid0(VALU_DEP_2) | instskip(SKIP_1) | instid1(SALU_CYCLE_1)
	v_lshlrev_b64 v[1:2], 2, v[1:2]
	s_lshl_b64 s[6:7], s[6:7], 2
	s_add_u32 s6, s26, s6
	s_delay_alu instid0(VALU_DEP_2) | instskip(SKIP_1) | instid1(VALU_DEP_2)
	v_lshlrev_b64 v[3:4], 2, v[3:4]
	s_addc_u32 s7, s25, s7
	v_add_co_u32 v1, vcc_lo, s26, v1
	v_add_co_ci_u32_e32 v2, vcc_lo, s25, v2, vcc_lo
	s_delay_alu instid0(VALU_DEP_3) | instskip(NEXT) | instid1(VALU_DEP_4)
	v_add_co_u32 v3, vcc_lo, s26, v3
	v_add_co_ci_u32_e32 v4, vcc_lo, s25, v4, vcc_lo
	s_clause 0x1
	global_load_b32 v5, v[1:2], off
	global_load_b32 v6, v[3:4], off
	s_or_b32 s8, s12, 32
	s_delay_alu instid0(SALU_CYCLE_1) | instskip(SKIP_2) | instid1(SALU_CYCLE_1)
	s_ashr_i32 s9, s8, 5
	s_cmp_lt_i32 s8, s24
	s_cselect_b32 s8, s9, s3
	s_ashr_i32 s9, s8, 31
	s_delay_alu instid0(SALU_CYCLE_1) | instskip(NEXT) | instid1(SALU_CYCLE_1)
	s_lshl_b64 s[8:9], s[8:9], 2
	s_add_u32 s8, s26, s8
	s_addc_u32 s9, s25, s9
	s_or_b32 s10, s12, 64
	s_delay_alu instid0(SALU_CYCLE_1) | instskip(SKIP_2) | instid1(SALU_CYCLE_1)
	s_ashr_i32 s11, s10, 5
	s_cmp_lt_i32 s10, s24
	s_cselect_b32 s10, s11, s3
	s_ashr_i32 s11, s10, 31
	s_delay_alu instid0(SALU_CYCLE_1) | instskip(NEXT) | instid1(SALU_CYCLE_1)
	s_lshl_b64 s[10:11], s[10:11], 2
	s_add_u32 s10, s26, s10
	s_addc_u32 s11, s25, s11
	;; [unrolled: 10-line block ×5, first 2 shown]
	s_clause 0x5
	s_load_b32 s21, s[6:7], 0x0
	s_load_b32 s13, s[8:9], 0x0
	;; [unrolled: 1-line block ×6, first 2 shown]
	s_or_b32 s9, s12, 0xc0
	s_delay_alu instid0(SALU_CYCLE_1) | instskip(SKIP_2) | instid1(SALU_CYCLE_1)
	s_ashr_i32 s10, s9, 5
	s_cmp_lt_i32 s9, s24
	s_cselect_b32 s36, s10, s3
	s_ashr_i32 s37, s36, 31
	s_delay_alu instid0(SALU_CYCLE_1) | instskip(NEXT) | instid1(SALU_CYCLE_1)
	s_lshl_b64 s[36:37], s[36:37], 2
	s_add_u32 s36, s26, s36
	s_addc_u32 s37, s25, s37
	s_or_b32 s29, s12, 0xe0
	s_delay_alu instid0(SALU_CYCLE_1)
	s_ashr_i32 s30, s29, 5
	s_cmp_lt_i32 s29, s24
	s_waitcnt vmcnt(1)
	v_mad_i64_i32 v[1:2], null, v5, s17, s[4:5]
	s_waitcnt vmcnt(0)
	v_mad_i64_i32 v[3:4], null, v6, s17, s[4:5]
	s_mov_b32 s4, 0
	s_delay_alu instid0(SALU_CYCLE_1)
	s_mov_b32 s5, s4
	s_mov_b32 s6, s4
	;; [unrolled: 1-line block ×7, first 2 shown]
	v_lshlrev_b32_e32 v5, 4, v65
	v_dual_mov_b32 v107, s11 :: v_dual_mov_b32 v102, s6
	v_mov_b32_e32 v106, s10
	v_mov_b32_e32 v104, s8
	s_delay_alu instid0(VALU_DEP_4)
	v_add_co_u32 v1, vcc_lo, v1, v5
	v_add_co_ci_u32_e32 v2, vcc_lo, 0, v2, vcc_lo
	v_add_co_u32 v3, vcc_lo, v3, v5
	v_add_co_ci_u32_e32 v4, vcc_lo, 0, v4, vcc_lo
	s_clause 0x7
	global_load_b128 v[49:52], v[1:2], off
	global_load_b128 v[53:56], v[1:2], off offset:512
	global_load_b128 v[76:79], v[3:4], off offset:256
	;; [unrolled: 1-line block ×7, first 2 shown]
	v_mul_lo_u16 v1, v65, 52
	v_mov_b32_e32 v103, s7
	v_dual_mov_b32 v101, s5 :: v_dual_lshlrev_b32 v2, 5, v65
	v_mov_b32_e32 v100, s4
	s_delay_alu instid0(VALU_DEP_4) | instskip(NEXT) | instid1(VALU_DEP_3)
	v_lshrrev_b16 v1, 8, v1
	v_lshl_or_b32 v2, v66, 9, v2
	s_delay_alu instid0(VALU_DEP_2) | instskip(NEXT) | instid1(VALU_DEP_1)
	v_mul_lo_u16 v1, v1, 5
	v_sub_nc_u16 v1, v65, v1
	s_delay_alu instid0(VALU_DEP_1)
	v_and_b32_e32 v1, 0xff, v1
	v_mov_b32_e32 v105, s9
	s_cselect_b32 s4, s30, s3
	s_load_b32 s3, s[36:37], 0x0
	s_ashr_i32 s5, s4, 31
	v_lshlrev_b32_e32 v70, 6, v1
	s_lshl_b64 s[4:5], s[4:5], 2
	ds_load_b128 v[108:111], v70
	ds_load_b128 v[112:115], v70 offset:1024
	s_add_u32 s4, s26, s4
	s_addc_u32 s5, s25, s5
	s_add_u32 s6, s22, s27
	s_load_b32 s4, s[4:5], 0x0
	s_addc_u32 s7, s23, s28
	v_add_co_u32 v9, s6, s6, v2
	s_delay_alu instid0(VALU_DEP_1) | instskip(SKIP_1) | instid1(VALU_DEP_1)
	v_add_co_ci_u32_e64 v10, null, s7, 0, s6
	s_waitcnt lgkmcnt(0)
	v_mad_i64_i32 v[1:2], null, s21, s17, v[9:10]
	v_mad_i64_i32 v[3:4], null, s13, s17, v[9:10]
	;; [unrolled: 1-line block ×7, first 2 shown]
	s_clause 0x9
	global_load_b128 v[57:60], v[1:2], off
	global_load_b128 v[61:64], v[1:2], off offset:16
	global_load_b128 v[41:44], v[3:4], off
	global_load_b128 v[45:48], v[3:4], off offset:16
	;; [unrolled: 2-line block ×5, first 2 shown]
	v_mad_i64_i32 v[68:69], null, s4, s17, v[9:10]
	s_clause 0x3
	global_load_b128 v[9:12], v[13:14], off
	global_load_b128 v[13:16], v[13:14], off offset:16
	global_load_b128 v[17:20], v[21:22], off
	global_load_b128 v[21:24], v[21:22], off offset:16
	s_waitcnt vmcnt(20)
	v_wmma_f32_16x16x16_bf16 v[116:123], v[49:56], v[108:115], v[100:107]
	s_clause 0x1
	global_load_b128 v[49:52], v[68:69], off
	global_load_b128 v[53:56], v[68:69], off offset:16
	v_and_b32_e32 v68, 0xe0, v0
	v_mbcnt_lo_u32_b32 v69, -1, 0
	s_delay_alu instid0(VALU_DEP_2)
	v_add_nc_u32_e32 v68, s12, v68
	s_waitcnt vmcnt(20)
	v_wmma_f32_16x16x16_bf16 v[100:107], v[76:83], v[108:115], v[100:107]
	ds_load_b128 v[76:79], v70 offset:2048
	ds_load_b128 v[80:83], v70 offset:3072
	v_xor_b32_e32 v70, 16, v69
	s_waitcnt vmcnt(0) lgkmcnt(0)
	v_or_b32_e32 v68, v68, v74
	s_barrier
	buffer_gl0_inv
	v_cmp_gt_i32_e32 vcc_lo, 32, v70
	v_or_b32_e32 v71, 4, v68
	v_or_b32_e32 v72, 6, v68
	v_cmp_gt_i32_e64 s3, s24, v68
	v_or_b32_e32 v108, 8, v68
	v_or_b32_e32 v109, 10, v68
	v_cmp_gt_i32_e64 s4, s24, v71
	v_cmp_gt_i32_e64 s5, s24, v72
	s_delay_alu instid0(VALU_DEP_4) | instskip(NEXT) | instid1(VALU_DEP_4)
	v_cmp_gt_i32_e64 s6, s24, v108
	v_cmp_gt_i32_e64 s7, s24, v109
	v_wmma_f32_16x16x16_bf16 v[116:123], v[84:91], v[76:83], v[116:123]
	v_cndmask_b32_e32 v69, v69, v70, vcc_lo
	v_or_b32_e32 v70, 2, v68
	v_wmma_f32_16x16x16_bf16 v[100:107], v[92:99], v[76:83], v[100:107]
	v_or_b32_e32 v84, 12, v68
	v_dual_mul_f32 v78, s19, v123 :: v_dual_mul_f32 v83, s19, v118
	v_dual_mul_f32 v92, s19, v117 :: v_dual_mul_f32 v93, s19, v116
	s_delay_alu instid0(VALU_DEP_4) | instskip(SKIP_2) | instid1(VALU_DEP_4)
	v_mul_f32_e32 v94, s19, v107
	v_cmp_gt_i32_e32 vcc_lo, s24, v70
	v_dual_mul_f32 v81, s19, v120 :: v_dual_mul_f32 v82, s19, v119
	v_cndmask_b32_e64 v93, 0xff7fffff, v93, s3
	v_or_b32_e32 v85, 14, v68
	v_cndmask_b32_e32 v92, 0xff7fffff, v92, vcc_lo
	v_dual_mul_f32 v79, s19, v122 :: v_dual_mul_f32 v80, s19, v121
	v_cndmask_b32_e64 v71, 0xff7fffff, v83, s4
	v_cndmask_b32_e64 v72, 0xff7fffff, v82, s5
	s_delay_alu instid0(VALU_DEP_4)
	v_max3_f32 v82, v93, 0xff7fffff, v92
	v_or_b32_e32 v86, 16, v68
	v_or_b32_e32 v87, 18, v68
	v_cndmask_b32_e64 v81, 0xff7fffff, v81, s6
	v_cndmask_b32_e64 v80, 0xff7fffff, v80, s7
	v_max3_f32 v71, v82, v71, v72
	v_cmp_gt_i32_e64 s8, s24, v84
	v_cmp_gt_i32_e64 s9, s24, v85
	v_or_b32_e32 v88, 20, v68
	v_or_b32_e32 v89, 22, v68
	;; [unrolled: 1-line block ×6, first 2 shown]
	v_dual_mul_f32 v99, s19, v102 :: v_dual_mul_f32 v70, s19, v101
	v_mul_f32_e32 v68, s19, v100
	v_cndmask_b32_e64 v72, 0xff7fffff, v79, s8
	v_cndmask_b32_e64 v78, 0xff7fffff, v78, s9
	v_max3_f32 v71, v71, v81, v80
	v_cmp_gt_i32_e64 s10, s24, v86
	v_cmp_gt_i32_e64 s11, s24, v87
	v_dual_mul_f32 v97, s19, v104 :: v_dual_mul_f32 v98, s19, v103
	s_delay_alu instid0(VALU_DEP_4) | instskip(SKIP_1) | instid1(VALU_DEP_4)
	v_max3_f32 v71, v71, v72, v78
	v_cmp_gt_i32_e64 s12, s24, v88
	v_cndmask_b32_e64 v70, 0xff7fffff, v70, s11
	v_cmp_gt_i32_e64 s13, s24, v89
	v_lshlrev_b32_e32 v89, 2, v69
	v_cndmask_b32_e64 v68, 0xff7fffff, v68, s10
	v_dual_mul_f32 v95, s19, v106 :: v_dual_mul_f32 v96, s19, v105
	v_cndmask_b32_e64 v72, 0xff7fffff, v99, s12
	v_cndmask_b32_e64 v78, 0xff7fffff, v98, s13
	s_delay_alu instid0(VALU_DEP_4)
	v_max3_f32 v68, v71, v68, v70
	v_cmp_gt_i32_e64 s15, s24, v90
	v_cmp_gt_i32_e64 s16, s24, v91
	;; [unrolled: 1-line block ×4, first 2 shown]
	v_max3_f32 v68, v68, v72, v78
	v_cndmask_b32_e64 v70, 0xff7fffff, v97, s15
	v_cndmask_b32_e64 v71, 0xff7fffff, v96, s16
	;; [unrolled: 1-line block ×4, first 2 shown]
	s_delay_alu instid0(VALU_DEP_3) | instskip(NEXT) | instid1(VALU_DEP_1)
	v_max3_f32 v68, v68, v70, v71
	v_max3_f32 v68, v68, v72, v76
	ds_bpermute_b32 v69, v89, v68
	s_waitcnt lgkmcnt(0)
	v_max_f32_e32 v69, v69, v69
	s_delay_alu instid0(VALU_DEP_1) | instskip(NEXT) | instid1(VALU_DEP_1)
	v_max_f32_e32 v68, v68, v69
	v_fma_f32 v71, s19, v118, -v68
	s_delay_alu instid0(VALU_DEP_1)
	v_mul_f32_e32 v71, 0x3fb8aa3b, v71
	v_fma_f32 v69, s19, v116, -v68
	v_fma_f32 v70, s19, v117, -v68
	v_fma_f32 v76, s19, v120, -v68
	v_fma_f32 v72, s19, v119, -v68
	v_exp_f32_e32 v71, v71
	s_delay_alu instid0(VALU_DEP_3) | instskip(SKIP_2) | instid1(VALU_DEP_3)
	v_dual_mul_f32 v69, 0x3fb8aa3b, v69 :: v_dual_mul_f32 v70, 0x3fb8aa3b, v70
	v_fma_f32 v78, s19, v122, -v68
	v_fma_f32 v81, s19, v105, -v68
	v_exp_f32_e32 v69, v69
	s_delay_alu instid0(VALU_DEP_3) | instskip(SKIP_1) | instid1(VALU_DEP_2)
	v_exp_f32_e32 v70, v70
	v_mul_f32_e32 v77, 0x3fb8aa3b, v76
	v_mul_f32_e32 v81, 0x3fb8aa3b, v81
	s_delay_alu instid0(TRANS32_DEP_3) | instskip(SKIP_1) | instid1(VALU_DEP_3)
	v_cndmask_b32_e64 v83, 0, v71, s4
	v_fma_f32 v71, s19, v123, -v68
	v_exp_f32_e32 v81, v81
	s_delay_alu instid0(TRANS32_DEP_3) | instskip(NEXT) | instid1(TRANS32_DEP_2)
	v_cndmask_b32_e64 v80, 0, v69, s3
	v_cndmask_b32_e32 v76, 0, v70, vcc_lo
	v_fma_f32 v69, s19, v121, -v68
	v_mul_f32_e32 v72, 0x3fb8aa3b, v72
	v_exp_f32_e32 v77, v77
	v_dual_add_f32 v70, 0, v80 :: v_dual_mul_f32 v71, 0x3fb8aa3b, v71
	s_delay_alu instid0(VALU_DEP_3) | instskip(NEXT) | instid1(VALU_DEP_3)
	v_mul_f32_e32 v69, 0x3fb8aa3b, v69
	v_exp_f32_e32 v72, v72
	v_cmp_gt_u32_e64 s3, 16, v67
	s_delay_alu instid0(VALU_DEP_3) | instskip(NEXT) | instid1(VALU_DEP_2)
	v_exp_f32_e32 v71, v71
	v_exp_f32_e32 v69, v69
	v_cndmask_b32_e64 v86, 0, v77, s6
	v_fma_f32 v77, s19, v101, -v68
	v_add_f32_e32 v70, v70, v76
	s_delay_alu instid0(TRANS32_DEP_3) | instskip(SKIP_1) | instid1(VALU_DEP_3)
	v_cndmask_b32_e64 v85, 0, v72, s5
	v_fma_f32 v72, s19, v100, -v68
	v_dual_mul_f32 v77, 0x3fb8aa3b, v77 :: v_dual_add_f32 v70, v70, v83
	s_delay_alu instid0(TRANS32_DEP_2) | instskip(SKIP_1) | instid1(TRANS32_DEP_1)
	v_cndmask_b32_e64 v88, 0, v71, s9
	v_fma_f32 v71, s19, v104, -v68
	v_cndmask_b32_e64 v87, 0, v69, s7
	s_delay_alu instid0(VALU_DEP_4) | instskip(NEXT) | instid1(VALU_DEP_2)
	v_exp_f32_e32 v77, v77
	v_dual_add_f32 v70, v70, v85 :: v_dual_mul_f32 v71, 0x3fb8aa3b, v71
	s_delay_alu instid0(VALU_DEP_1) | instskip(SKIP_2) | instid1(VALU_DEP_3)
	v_dual_mul_f32 v72, 0x3fb8aa3b, v72 :: v_dual_add_f32 v69, v70, v86
	v_mul_f32_e32 v78, 0x3fb8aa3b, v78
	v_fma_f32 v70, s19, v102, -v68
	v_exp_f32_e32 v72, v72
	v_exp_f32_e32 v82, v71
	v_add_f32_e32 v69, v69, v87
	v_exp_f32_e32 v78, v78
	v_mul_f32_e32 v70, 0x3fb8aa3b, v70
	s_delay_alu instid0(VALU_DEP_1) | instskip(SKIP_4) | instid1(VALU_DEP_2)
	v_exp_f32_e32 v79, v70
	v_cndmask_b32_e64 v70, 0, v72, s10
	s_waitcnt_depctr 0xfff
	v_cndmask_b32_e64 v84, 0, v78, s8
	v_fma_f32 v78, s19, v103, -v68
	v_add_f32_e32 v69, v69, v84
	v_cndmask_b32_e64 v71, 0, v79, s12
	s_delay_alu instid0(VALU_DEP_2) | instskip(SKIP_2) | instid1(VALU_DEP_1)
	v_add_f32_e32 v72, v69, v88
	v_cndmask_b32_e64 v69, 0, v77, s11
	v_fma_f32 v77, s19, v106, -v68
	v_dual_mul_f32 v77, 0x3fb8aa3b, v77 :: v_dual_add_f32 v72, v72, v70
	v_mul_f32_e32 v78, 0x3fb8aa3b, v78
	s_delay_alu instid0(VALU_DEP_2) | instskip(NEXT) | instid1(VALU_DEP_2)
	v_exp_f32_e32 v90, v77
	v_add_f32_e32 v79, v72, v69
	s_delay_alu instid0(VALU_DEP_2)
	v_exp_f32_e32 v78, v78
	v_cndmask_b32_e64 v77, 0, v82, s15
	s_waitcnt_depctr 0xfff
	v_cndmask_b32_e64 v72, 0, v78, s13
	v_add_f32_e32 v78, v79, v71
	v_fma_f32 v79, s19, v107, -v68
	s_delay_alu instid0(VALU_DEP_1) | instskip(SKIP_1) | instid1(VALU_DEP_2)
	v_dual_add_f32 v82, v78, v72 :: v_dual_mul_f32 v79, 0x3fb8aa3b, v79
	v_cndmask_b32_e64 v78, 0, v81, s16
	v_add_f32_e32 v81, v82, v77
	s_delay_alu instid0(VALU_DEP_3) | instskip(SKIP_1) | instid1(VALU_DEP_2)
	v_exp_f32_e32 v82, v79
	v_cndmask_b32_e64 v79, 0, v90, s17
	v_add_f32_e32 v81, v81, v78
	s_delay_alu instid0(VALU_DEP_1) | instskip(SKIP_2) | instid1(VALU_DEP_1)
	v_add_f32_e32 v90, v81, v79
	s_waitcnt_depctr 0xfff
	v_cndmask_b32_e64 v81, 0, v82, s18
	v_add_f32_e32 v82, v90, v81
	ds_bpermute_b32 v89, v89, v82
	s_and_saveexec_b32 s4, s3
	s_cbranch_execz .LBB1730_12
; %bb.11:
	v_mul_u32_u24_e32 v67, 0x44, v66
	s_delay_alu instid0(VALU_DEP_1) | instskip(SKIP_1) | instid1(VALU_DEP_1)
	v_lshl_add_u32 v67, v65, 2, v67
	s_waitcnt lgkmcnt(0)
	v_dual_add_f32 v82, v82, v89 :: v_dual_add_nc_u32 v67, 0x4000, v67
	ds_store_2addr_b32 v67, v68, v82 offset1:136
.LBB1730_12:
	s_or_b32 exec_lo, exec_lo, s4
	v_lshlrev_b32_e32 v67, 2, v65
	s_waitcnt lgkmcnt(0)
	s_barrier
	buffer_gl0_inv
	v_cmp_eq_u32_e32 vcc_lo, 1, v66
	v_add_nc_u32_e32 v82, 0x4000, v67
	v_cmp_eq_u32_e64 s4, 2, v66
	v_cmp_eq_u32_e64 s6, 7, v66
	ds_load_2addr_b32 v[89:90], v82 offset1:17
	ds_load_2addr_b32 v[91:92], v82 offset0:34 offset1:51
	ds_load_2addr_b32 v[93:94], v82 offset0:68 offset1:85
	;; [unrolled: 1-line block ×4, first 2 shown]
	s_waitcnt lgkmcnt(4)
	v_max3_f32 v67, v89, 0xff7fffff, v90
	s_waitcnt lgkmcnt(3)
	s_delay_alu instid0(VALU_DEP_1) | instskip(SKIP_1) | instid1(VALU_DEP_1)
	v_max3_f32 v67, v67, v91, v92
	s_waitcnt lgkmcnt(2)
	v_max3_f32 v67, v67, v93, v94
	s_waitcnt lgkmcnt(1)
	s_delay_alu instid0(VALU_DEP_1) | instskip(NEXT) | instid1(VALU_DEP_1)
	v_max3_f32 v67, v67, v95, v96
	v_sub_f32_e32 v93, v93, v67
	s_delay_alu instid0(VALU_DEP_1) | instskip(NEXT) | instid1(VALU_DEP_1)
	v_dual_sub_f32 v68, v89, v67 :: v_dual_mul_f32 v103, 0x3fb8aa3b, v93
	v_mul_f32_e32 v68, 0x3fb8aa3b, v68
	s_delay_alu instid0(VALU_DEP_1)
	v_exp_f32_e32 v100, v68
	v_sub_f32_e32 v68, v92, v67
	v_sub_f32_e32 v99, v90, v67
	ds_load_2addr_b32 v[89:90], v82 offset0:170 offset1:187
	v_dual_mul_f32 v102, 0x3fb8aa3b, v68 :: v_dual_mul_f32 v99, 0x3fb8aa3b, v99
	s_waitcnt lgkmcnt(1)
	v_fma_f32 v68, v100, v97, 0
	s_delay_alu instid0(VALU_DEP_2) | instskip(NEXT) | instid1(VALU_DEP_2)
	v_exp_f32_e32 v102, v102
	v_exp_f32_e32 v99, v99
	s_waitcnt_depctr 0xfff
	v_fmac_f32_e32 v68, v99, v98
	v_sub_f32_e32 v91, v91, v67
	s_delay_alu instid0(VALU_DEP_1)
	v_mul_f32_e32 v101, 0x3fb8aa3b, v91
	ds_load_2addr_b32 v[91:92], v82 offset0:204 offset1:221
	v_sub_f32_e32 v97, v94, v67
	ds_load_2addr_b32 v[93:94], v82 offset0:238 offset1:255
	s_waitcnt lgkmcnt(0)
	v_exp_f32_e32 v101, v101
	s_barrier
	buffer_gl0_inv
	v_dual_fmac_f32 v68, v101, v89 :: v_dual_sub_f32 v89, v96, v67
	v_dual_sub_f32 v82, v95, v67 :: v_dual_mul_f32 v95, 0x3fb8aa3b, v97
	v_exp_f32_e32 v97, v103
	s_delay_alu instid0(VALU_DEP_2) | instskip(NEXT) | instid1(VALU_DEP_2)
	v_dual_fmac_f32 v68, v102, v90 :: v_dual_mul_f32 v89, 0x3fb8aa3b, v89
	v_mul_f32_e32 v82, 0x3fb8aa3b, v82
	s_delay_alu instid0(VALU_DEP_3) | instskip(NEXT) | instid1(VALU_DEP_2)
	v_exp_f32_e32 v95, v95
	v_exp_f32_e32 v89, v89
	s_delay_alu instid0(VALU_DEP_1)
	v_exp_f32_e32 v82, v82
	v_fmac_f32_e32 v68, v97, v91
	s_delay_alu instid0(TRANS32_DEP_3) | instid1(VALU_DEP_1)
	v_fmac_f32_e32 v68, v95, v92
	s_waitcnt_depctr 0xfff
	v_fmac_f32_e32 v68, v82, v93
	s_delay_alu instid0(VALU_DEP_1) | instskip(NEXT) | instid1(VALU_DEP_1)
	v_fmac_f32_e32 v68, v89, v94
	v_add_f32_e32 v90, 0x358637bd, v68
	s_delay_alu instid0(VALU_DEP_1) | instskip(NEXT) | instid1(VALU_DEP_1)
	v_div_scale_f32 v91, null, v90, v90, 1.0
	v_rcp_f32_e32 v92, v91
	s_waitcnt_depctr 0xfff
	v_fma_f32 v93, -v91, v92, 1.0
	s_delay_alu instid0(VALU_DEP_1) | instskip(SKIP_1) | instid1(VALU_DEP_2)
	v_dual_fmac_f32 v92, v93, v92 :: v_dual_cndmask_b32 v93, v100, v99
	v_cmp_eq_u32_e32 vcc_lo, 3, v66
	v_cndmask_b32_e64 v93, v93, v101, s4
	v_cmp_eq_u32_e64 s4, 4, v66
	s_delay_alu instid0(VALU_DEP_2) | instskip(SKIP_1) | instid1(VALU_DEP_2)
	v_cndmask_b32_e32 v93, v93, v102, vcc_lo
	v_cmp_eq_u32_e32 vcc_lo, 5, v66
	v_cndmask_b32_e64 v93, v93, v97, s4
	v_cmp_eq_u32_e64 s4, 6, v66
	s_delay_alu instid0(VALU_DEP_2) | instskip(SKIP_1) | instid1(VALU_DEP_1)
	v_cndmask_b32_e32 v93, v93, v95, vcc_lo
	v_div_scale_f32 v94, s5, 1.0, v90, 1.0
	s_mov_b32 vcc_lo, s5
	s_delay_alu instid0(VALU_DEP_2) | instskip(NEXT) | instid1(VALU_DEP_2)
	v_cndmask_b32_e64 v82, v93, v82, s4
	v_mul_f32_e32 v96, v94, v92
	s_mov_b32 s4, exec_lo
	s_delay_alu instid0(VALU_DEP_2) | instskip(NEXT) | instid1(VALU_DEP_2)
	v_cndmask_b32_e64 v82, v82, v89, s6
	v_fma_f32 v98, -v91, v96, v94
	s_delay_alu instid0(VALU_DEP_1) | instskip(NEXT) | instid1(VALU_DEP_1)
	v_fmac_f32_e32 v96, v98, v92
	v_fma_f32 v91, -v91, v96, v94
	s_delay_alu instid0(VALU_DEP_1) | instskip(NEXT) | instid1(VALU_DEP_1)
	v_div_fmas_f32 v91, v91, v92, v96
	v_div_fixup_f32 v90, v91, v90, 1.0
	s_delay_alu instid0(VALU_DEP_1) | instskip(NEXT) | instid1(VALU_DEP_1)
	v_mul_f32_e32 v82, v82, v90
	v_mul_f32_e32 v87, v82, v87
	;; [unrolled: 1-line block ×7, first 2 shown]
	v_dual_mul_f32 v86, v82, v83 :: v_dual_and_b32 v91, 0x7f800000, v90
	v_mul_f32_e32 v85, v82, v76
                                        ; implicit-def: $vgpr76
	s_delay_alu instid0(VALU_DEP_2)
	v_cmpx_ne_u32_e32 0x7f800000, v91
	s_xor_b32 s4, exec_lo, s4
; %bb.13:
	v_bfe_u32 v76, v90, 16, 1
	s_delay_alu instid0(VALU_DEP_1)
	v_add3_u32 v76, v90, v76, 0x7fff
                                        ; implicit-def: $vgpr90
; %bb.14:
	s_and_not1_saveexec_b32 s4, s4
; %bb.15:
	v_and_b32_e32 v76, 0xffff, v90
	v_or_b32_e32 v83, 0x10000, v90
	s_delay_alu instid0(VALU_DEP_2) | instskip(NEXT) | instid1(VALU_DEP_2)
	v_cmp_eq_u32_e32 vcc_lo, 0, v76
	v_cndmask_b32_e32 v76, v83, v90, vcc_lo
; %bb.16:
	s_or_b32 exec_lo, exec_lo, s4
	v_and_b32_e32 v83, 0x7f800000, v85
	s_delay_alu instid0(VALU_DEP_1) | instskip(SKIP_1) | instid1(SALU_CYCLE_1)
	v_cmp_ne_u32_e32 vcc_lo, 0x7f800000, v83
                                        ; implicit-def: $vgpr83
	s_and_saveexec_b32 s4, vcc_lo
	s_xor_b32 s4, exec_lo, s4
; %bb.17:
	v_bfe_u32 v83, v85, 16, 1
	s_delay_alu instid0(VALU_DEP_1)
	v_add3_u32 v83, v85, v83, 0x7fff
                                        ; implicit-def: $vgpr85
; %bb.18:
	s_and_not1_saveexec_b32 s4, s4
; %bb.19:
	v_and_b32_e32 v83, 0xffff, v85
	v_or_b32_e32 v90, 0x10000, v85
	s_delay_alu instid0(VALU_DEP_2) | instskip(NEXT) | instid1(VALU_DEP_2)
	v_cmp_eq_u32_e32 vcc_lo, 0, v83
	v_cndmask_b32_e32 v83, v90, v85, vcc_lo
; %bb.20:
	s_or_b32 exec_lo, exec_lo, s4
	v_and_b32_e32 v85, 0x7f800000, v86
	s_delay_alu instid0(VALU_DEP_1) | instskip(SKIP_1) | instid1(SALU_CYCLE_1)
	v_cmp_ne_u32_e32 vcc_lo, 0x7f800000, v85
                                        ; implicit-def: $vgpr85
	s_and_saveexec_b32 s4, vcc_lo
	s_xor_b32 s4, exec_lo, s4
; %bb.21:
	v_bfe_u32 v85, v86, 16, 1
	s_delay_alu instid0(VALU_DEP_1)
	v_add3_u32 v85, v86, v85, 0x7fff
                                        ; implicit-def: $vgpr86
; %bb.22:
	s_and_not1_saveexec_b32 s4, s4
; %bb.23:
	v_and_b32_e32 v85, 0xffff, v86
	v_or_b32_e32 v90, 0x10000, v86
	s_delay_alu instid0(VALU_DEP_2) | instskip(NEXT) | instid1(VALU_DEP_2)
	v_cmp_eq_u32_e32 vcc_lo, 0, v85
	v_cndmask_b32_e32 v85, v90, v86, vcc_lo
; %bb.24:
	s_or_b32 exec_lo, exec_lo, s4
	v_and_b32_e32 v86, 0x7f800000, v89
	s_delay_alu instid0(VALU_DEP_1) | instskip(SKIP_1) | instid1(SALU_CYCLE_1)
	v_cmp_ne_u32_e32 vcc_lo, 0x7f800000, v86
                                        ; implicit-def: $vgpr86
	s_and_saveexec_b32 s4, vcc_lo
	s_xor_b32 s4, exec_lo, s4
; %bb.25:
	v_bfe_u32 v86, v89, 16, 1
	s_delay_alu instid0(VALU_DEP_1)
	v_add3_u32 v86, v89, v86, 0x7fff
                                        ; implicit-def: $vgpr89
; %bb.26:
	s_and_not1_saveexec_b32 s4, s4
; %bb.27:
	v_and_b32_e32 v86, 0xffff, v89
	v_or_b32_e32 v90, 0x10000, v89
	s_delay_alu instid0(VALU_DEP_2) | instskip(NEXT) | instid1(VALU_DEP_2)
	v_cmp_eq_u32_e32 vcc_lo, 0, v86
	v_cndmask_b32_e32 v86, v90, v89, vcc_lo
; %bb.28:
	s_or_b32 exec_lo, exec_lo, s4
	v_and_b32_e32 v89, 0x7f800000, v88
	s_delay_alu instid0(VALU_DEP_1) | instskip(SKIP_1) | instid1(SALU_CYCLE_1)
	v_cmp_ne_u32_e32 vcc_lo, 0x7f800000, v89
                                        ; implicit-def: $vgpr89
	s_and_saveexec_b32 s4, vcc_lo
	s_xor_b32 s4, exec_lo, s4
; %bb.29:
	v_bfe_u32 v89, v88, 16, 1
	s_delay_alu instid0(VALU_DEP_1)
	v_add3_u32 v89, v88, v89, 0x7fff
                                        ; implicit-def: $vgpr88
; %bb.30:
	s_and_not1_saveexec_b32 s4, s4
; %bb.31:
	v_and_b32_e32 v89, 0xffff, v88
	v_or_b32_e32 v90, 0x10000, v88
	s_delay_alu instid0(VALU_DEP_2) | instskip(NEXT) | instid1(VALU_DEP_2)
	v_cmp_eq_u32_e32 vcc_lo, 0, v89
	v_cndmask_b32_e32 v89, v90, v88, vcc_lo
; %bb.32:
	s_or_b32 exec_lo, exec_lo, s4
	v_and_b32_e32 v88, 0x7f800000, v87
	s_delay_alu instid0(VALU_DEP_1) | instskip(SKIP_1) | instid1(SALU_CYCLE_1)
	v_cmp_ne_u32_e32 vcc_lo, 0x7f800000, v88
                                        ; implicit-def: $vgpr88
	s_and_saveexec_b32 s4, vcc_lo
	s_xor_b32 s4, exec_lo, s4
; %bb.33:
	v_bfe_u32 v88, v87, 16, 1
	s_delay_alu instid0(VALU_DEP_1)
	v_add3_u32 v88, v87, v88, 0x7fff
                                        ; implicit-def: $vgpr87
; %bb.34:
	s_and_not1_saveexec_b32 s4, s4
; %bb.35:
	v_and_b32_e32 v88, 0xffff, v87
	v_or_b32_e32 v90, 0x10000, v87
	s_delay_alu instid0(VALU_DEP_2) | instskip(NEXT) | instid1(VALU_DEP_2)
	v_cmp_eq_u32_e32 vcc_lo, 0, v88
	v_cndmask_b32_e32 v88, v90, v87, vcc_lo
; %bb.36:
	s_or_b32 exec_lo, exec_lo, s4
	v_and_b32_e32 v87, 0x7f800000, v84
	s_delay_alu instid0(VALU_DEP_1) | instskip(SKIP_1) | instid1(SALU_CYCLE_1)
	v_cmp_ne_u32_e32 vcc_lo, 0x7f800000, v87
                                        ; implicit-def: $vgpr87
	s_and_saveexec_b32 s4, vcc_lo
	s_xor_b32 s4, exec_lo, s4
; %bb.37:
	v_bfe_u32 v87, v84, 16, 1
	s_delay_alu instid0(VALU_DEP_1)
	v_add3_u32 v87, v84, v87, 0x7fff
                                        ; implicit-def: $vgpr84
; %bb.38:
	s_and_not1_saveexec_b32 s4, s4
; %bb.39:
	v_and_b32_e32 v87, 0xffff, v84
	v_or_b32_e32 v90, 0x10000, v84
	s_delay_alu instid0(VALU_DEP_2) | instskip(NEXT) | instid1(VALU_DEP_2)
	v_cmp_eq_u32_e32 vcc_lo, 0, v87
	v_cndmask_b32_e32 v87, v90, v84, vcc_lo
; %bb.40:
	s_or_b32 exec_lo, exec_lo, s4
	v_and_b32_e32 v84, 0x7f800000, v80
	s_delay_alu instid0(VALU_DEP_1) | instskip(SKIP_1) | instid1(SALU_CYCLE_1)
	v_cmp_ne_u32_e32 vcc_lo, 0x7f800000, v84
                                        ; implicit-def: $vgpr84
	s_and_saveexec_b32 s4, vcc_lo
	s_xor_b32 s4, exec_lo, s4
; %bb.41:
	v_bfe_u32 v84, v80, 16, 1
	s_delay_alu instid0(VALU_DEP_1)
	v_add3_u32 v84, v80, v84, 0x7fff
                                        ; implicit-def: $vgpr80
; %bb.42:
	s_and_not1_saveexec_b32 s4, s4
; %bb.43:
	v_and_b32_e32 v84, 0xffff, v80
	v_or_b32_e32 v90, 0x10000, v80
	s_delay_alu instid0(VALU_DEP_2) | instskip(NEXT) | instid1(VALU_DEP_2)
	v_cmp_eq_u32_e32 vcc_lo, 0, v84
	v_cndmask_b32_e32 v84, v90, v80, vcc_lo
; %bb.44:
	s_or_b32 exec_lo, exec_lo, s4
	s_load_b64 s[36:37], s[0:1], 0x94
	v_lshlrev_b32_e32 v91, 4, v74
	s_delay_alu instid0(VALU_DEP_2)
	v_perm_b32 v90, v84, v87, 0x7060302
	v_dual_mul_f32 v79, v82, v79 :: v_dual_lshlrev_b32 v80, 6, v65
	v_dual_mul_f32 v77, v82, v77 :: v_dual_lshlrev_b32 v92, 11, v66
	v_mul_f32_e32 v84, v82, v70
	v_perm_b32 v89, v88, v89, 0x7060302
	v_perm_b32 v88, v86, v85, 0x7060302
	;; [unrolled: 1-line block ×3, first 2 shown]
	v_mul_f32_e32 v70, v82, v81
	v_or3_b32 v76, v91, v92, v80
	v_dual_mul_f32 v78, v82, v78 :: v_dual_and_b32 v85, 0x7f800000, v84
	v_mul_f32_e32 v83, v82, v72
	v_mul_f32_e32 v81, v82, v71
	;; [unrolled: 1-line block ×3, first 2 shown]
	s_mov_b32 s4, exec_lo
	ds_store_b128 v76, v[87:90]
                                        ; implicit-def: $vgpr69
	v_cmpx_ne_u32_e32 0x7f800000, v85
	s_xor_b32 s4, exec_lo, s4
; %bb.45:
	v_bfe_u32 v69, v84, 16, 1
	s_delay_alu instid0(VALU_DEP_1)
	v_add3_u32 v69, v84, v69, 0x7fff
                                        ; implicit-def: $vgpr84
; %bb.46:
	s_and_not1_saveexec_b32 s4, s4
; %bb.47:
	v_and_b32_e32 v69, 0xffff, v84
	v_or_b32_e32 v71, 0x10000, v84
	s_delay_alu instid0(VALU_DEP_2) | instskip(NEXT) | instid1(VALU_DEP_2)
	v_cmp_eq_u32_e32 vcc_lo, 0, v69
	v_cndmask_b32_e32 v69, v71, v84, vcc_lo
; %bb.48:
	s_or_b32 exec_lo, exec_lo, s4
	v_and_b32_e32 v71, 0x7f800000, v72
	s_delay_alu instid0(VALU_DEP_1) | instskip(SKIP_1) | instid1(SALU_CYCLE_1)
	v_cmp_ne_u32_e32 vcc_lo, 0x7f800000, v71
                                        ; implicit-def: $vgpr71
	s_and_saveexec_b32 s4, vcc_lo
	s_xor_b32 s4, exec_lo, s4
; %bb.49:
	v_bfe_u32 v71, v72, 16, 1
	s_delay_alu instid0(VALU_DEP_1)
	v_add3_u32 v71, v72, v71, 0x7fff
                                        ; implicit-def: $vgpr72
; %bb.50:
	s_and_not1_saveexec_b32 s4, s4
; %bb.51:
	v_and_b32_e32 v71, 0xffff, v72
	v_or_b32_e32 v82, 0x10000, v72
	s_delay_alu instid0(VALU_DEP_2) | instskip(NEXT) | instid1(VALU_DEP_2)
	v_cmp_eq_u32_e32 vcc_lo, 0, v71
	v_cndmask_b32_e32 v71, v82, v72, vcc_lo
; %bb.52:
	s_or_b32 exec_lo, exec_lo, s4
	v_and_b32_e32 v72, 0x7f800000, v81
	s_delay_alu instid0(VALU_DEP_1) | instskip(SKIP_1) | instid1(SALU_CYCLE_1)
	v_cmp_ne_u32_e32 vcc_lo, 0x7f800000, v72
                                        ; implicit-def: $vgpr72
	s_and_saveexec_b32 s4, vcc_lo
	s_xor_b32 s4, exec_lo, s4
; %bb.53:
	v_bfe_u32 v72, v81, 16, 1
	s_delay_alu instid0(VALU_DEP_1)
	v_add3_u32 v72, v81, v72, 0x7fff
                                        ; implicit-def: $vgpr81
; %bb.54:
	s_and_not1_saveexec_b32 s4, s4
; %bb.55:
	v_and_b32_e32 v72, 0xffff, v81
	v_or_b32_e32 v82, 0x10000, v81
	s_delay_alu instid0(VALU_DEP_2) | instskip(NEXT) | instid1(VALU_DEP_2)
	v_cmp_eq_u32_e32 vcc_lo, 0, v72
	v_cndmask_b32_e32 v72, v82, v81, vcc_lo
; %bb.56:
	s_or_b32 exec_lo, exec_lo, s4
	v_and_b32_e32 v81, 0x7f800000, v83
	s_delay_alu instid0(VALU_DEP_1) | instskip(SKIP_1) | instid1(SALU_CYCLE_1)
	v_cmp_ne_u32_e32 vcc_lo, 0x7f800000, v81
                                        ; implicit-def: $vgpr81
	s_and_saveexec_b32 s4, vcc_lo
	s_xor_b32 s4, exec_lo, s4
; %bb.57:
	v_bfe_u32 v81, v83, 16, 1
	s_delay_alu instid0(VALU_DEP_1)
	v_add3_u32 v81, v83, v81, 0x7fff
                                        ; implicit-def: $vgpr83
; %bb.58:
	s_and_not1_saveexec_b32 s4, s4
; %bb.59:
	v_and_b32_e32 v81, 0xffff, v83
	v_or_b32_e32 v82, 0x10000, v83
	s_delay_alu instid0(VALU_DEP_2) | instskip(NEXT) | instid1(VALU_DEP_2)
	v_cmp_eq_u32_e32 vcc_lo, 0, v81
	v_cndmask_b32_e32 v81, v82, v83, vcc_lo
; %bb.60:
	s_or_b32 exec_lo, exec_lo, s4
	v_and_b32_e32 v82, 0x7f800000, v77
	s_delay_alu instid0(VALU_DEP_1) | instskip(SKIP_1) | instid1(SALU_CYCLE_1)
	v_cmp_ne_u32_e32 vcc_lo, 0x7f800000, v82
                                        ; implicit-def: $vgpr82
	s_and_saveexec_b32 s4, vcc_lo
	s_xor_b32 s4, exec_lo, s4
; %bb.61:
	v_bfe_u32 v82, v77, 16, 1
	s_delay_alu instid0(VALU_DEP_1)
	v_add3_u32 v82, v77, v82, 0x7fff
                                        ; implicit-def: $vgpr77
; %bb.62:
	s_and_not1_saveexec_b32 s4, s4
; %bb.63:
	v_and_b32_e32 v82, 0xffff, v77
	v_or_b32_e32 v83, 0x10000, v77
	s_delay_alu instid0(VALU_DEP_2) | instskip(NEXT) | instid1(VALU_DEP_2)
	v_cmp_eq_u32_e32 vcc_lo, 0, v82
	v_cndmask_b32_e32 v82, v83, v77, vcc_lo
; %bb.64:
	s_or_b32 exec_lo, exec_lo, s4
	v_and_b32_e32 v77, 0x7f800000, v78
	s_delay_alu instid0(VALU_DEP_1) | instskip(SKIP_1) | instid1(SALU_CYCLE_1)
	v_cmp_ne_u32_e32 vcc_lo, 0x7f800000, v77
                                        ; implicit-def: $vgpr77
	s_and_saveexec_b32 s4, vcc_lo
	s_xor_b32 s4, exec_lo, s4
; %bb.65:
	v_bfe_u32 v77, v78, 16, 1
	s_delay_alu instid0(VALU_DEP_1)
	v_add3_u32 v77, v78, v77, 0x7fff
                                        ; implicit-def: $vgpr78
; %bb.66:
	s_and_not1_saveexec_b32 s4, s4
; %bb.67:
	v_and_b32_e32 v77, 0xffff, v78
	v_or_b32_e32 v83, 0x10000, v78
	s_delay_alu instid0(VALU_DEP_2) | instskip(NEXT) | instid1(VALU_DEP_2)
	v_cmp_eq_u32_e32 vcc_lo, 0, v77
	v_cndmask_b32_e32 v77, v83, v78, vcc_lo
; %bb.68:
	s_or_b32 exec_lo, exec_lo, s4
	v_and_b32_e32 v78, 0x7f800000, v79
	s_delay_alu instid0(VALU_DEP_1) | instskip(SKIP_1) | instid1(SALU_CYCLE_1)
	v_cmp_ne_u32_e32 vcc_lo, 0x7f800000, v78
                                        ; implicit-def: $vgpr78
	s_and_saveexec_b32 s4, vcc_lo
	s_xor_b32 s4, exec_lo, s4
; %bb.69:
	v_bfe_u32 v78, v79, 16, 1
	s_delay_alu instid0(VALU_DEP_1)
	v_add3_u32 v78, v79, v78, 0x7fff
                                        ; implicit-def: $vgpr79
; %bb.70:
	s_and_not1_saveexec_b32 s4, s4
; %bb.71:
	v_and_b32_e32 v78, 0xffff, v79
	v_or_b32_e32 v83, 0x10000, v79
	s_delay_alu instid0(VALU_DEP_2) | instskip(NEXT) | instid1(VALU_DEP_2)
	v_cmp_eq_u32_e32 vcc_lo, 0, v78
	v_cndmask_b32_e32 v78, v83, v79, vcc_lo
; %bb.72:
	s_or_b32 exec_lo, exec_lo, s4
	v_and_b32_e32 v79, 0x7f800000, v70
	s_delay_alu instid0(VALU_DEP_1) | instskip(SKIP_1) | instid1(SALU_CYCLE_1)
	v_cmp_ne_u32_e32 vcc_lo, 0x7f800000, v79
                                        ; implicit-def: $vgpr79
	s_and_saveexec_b32 s4, vcc_lo
	s_xor_b32 s4, exec_lo, s4
; %bb.73:
	v_bfe_u32 v79, v70, 16, 1
	s_delay_alu instid0(VALU_DEP_1)
	v_add3_u32 v79, v70, v79, 0x7fff
                                        ; implicit-def: $vgpr70
; %bb.74:
	s_and_not1_saveexec_b32 s4, s4
; %bb.75:
	v_and_b32_e32 v79, 0xffff, v70
	v_or_b32_e32 v83, 0x10000, v70
	s_delay_alu instid0(VALU_DEP_2) | instskip(NEXT) | instid1(VALU_DEP_2)
	v_cmp_eq_u32_e32 vcc_lo, 0, v79
	v_cndmask_b32_e32 v79, v83, v70, vcc_lo
; %bb.76:
	s_or_b32 exec_lo, exec_lo, s4
	s_delay_alu instid0(VALU_DEP_1)
	v_perm_b32 v86, v79, v78, 0x7060302
	v_perm_b32 v85, v77, v82, 0x7060302
	;; [unrolled: 1-line block ×4, first 2 shown]
	v_lshl_or_b32 v82, v66, 11, v80
	ds_store_b128 v76, v[83:86] offset:1024
	s_waitcnt lgkmcnt(0)
	s_barrier
	buffer_gl0_inv
	ds_load_b128 v[69:72], v82
	ds_load_b128 v[83:86], v82 offset:16
	s_waitcnt lgkmcnt(1)
	v_lshrrev_b32_e32 v66, 16, v69
	s_waitcnt lgkmcnt(0)
	v_lshrrev_b32_e32 v91, 16, v83
	v_lshlrev_b32_e32 v78, 2, v74
	v_lshrrev_b32_e32 v95, 16, v70
	v_lshrrev_b32_e32 v98, 16, v84
	;; [unrolled: 1-line block ×4, first 2 shown]
	v_cmp_eq_u32_e32 vcc_lo, 1, v78
	v_lshrrev_b32_e32 v97, 16, v72
	v_lshrrev_b32_e32 v100, 16, v86
	v_cndmask_b32_e32 v87, v83, v91, vcc_lo
	v_or_b32_e32 v79, 1, v78
	v_cndmask_b32_e32 v81, v69, v66, vcc_lo
	v_cmp_eq_u32_e64 s5, 2, v78
	v_cmp_eq_u32_e64 s8, 3, v78
	;; [unrolled: 1-line block ×5, first 2 shown]
	v_cndmask_b32_e64 v81, v81, v70, s5
	v_cndmask_b32_e64 v87, v87, v84, s5
	v_cmp_eq_u32_e64 s9, 3, v79
	v_cndmask_b32_e64 v88, v69, v66, s4
	v_or_b32_e32 v77, 2, v78
	v_cndmask_b32_e64 v81, v81, v95, s8
	v_cndmask_b32_e64 v87, v87, v98, s8
	;; [unrolled: 1-line block ×4, first 2 shown]
	v_cmp_eq_u32_e64 s11, 5, v78
	v_cndmask_b32_e64 v81, v81, v71, s10
	v_cndmask_b32_e64 v87, v87, v85, s10
	v_cmp_eq_u32_e64 s12, 4, v79
	v_cndmask_b32_e64 v88, v88, v95, s9
	v_cmp_eq_u32_e64 s6, 1, v77
	v_cndmask_b32_e64 v89, v89, v84, s7
	v_cndmask_b32_e64 v81, v81, v96, s11
	v_cmp_eq_u32_e64 s13, 6, v78
	v_cndmask_b32_e64 v88, v88, v71, s12
	;; [unrolled: 3-line block ×3, first 2 shown]
	v_cndmask_b32_e64 v89, v89, v98, s9
	v_cndmask_b32_e64 v81, v81, v72, s13
	v_cmp_eq_u32_e64 s16, 7, v78
	v_cndmask_b32_e64 v88, v88, v96, s15
	v_cndmask_b32_e64 v87, v87, v86, s13
	v_cmp_eq_u32_e64 s17, 6, v79
	v_cmp_eq_u32_e64 s18, 2, v77
	v_cndmask_b32_e64 v89, v89, v85, s12
	v_cndmask_b32_e64 v101, v81, v97, s16
	;; [unrolled: 1-line block ×6, first 2 shown]
	v_cmp_eq_u32_e64 s19, 7, v79
	v_cmp_eq_u32_e64 s20, 3, v77
	;; [unrolled: 1-line block ×4, first 2 shown]
	v_cndmask_b32_e64 v87, v87, v84, s18
	v_cndmask_b32_e64 v103, v88, v97, s19
	;; [unrolled: 1-line block ×4, first 2 shown]
	v_or_b32_e32 v81, 3, v78
	v_cndmask_b32_e64 v93, v87, v98, s20
	v_cmp_eq_u32_e64 s25, 6, v77
	v_cndmask_b32_e64 v104, v88, v86, s17
	v_cndmask_b32_e64 v92, v89, v71, s21
	v_cmp_eq_u32_e64 s22, 1, v81
	ds_load_b128 v[87:90], v82 offset:1024
	v_cmp_eq_u32_e64 s24, 2, v81
	v_cmp_eq_u32_e64 s26, 3, v81
	v_cndmask_b32_e64 v105, v92, v96, s23
	v_cndmask_b32_e64 v66, v69, v66, s22
	;; [unrolled: 1-line block ×4, first 2 shown]
	ds_load_b128 v[91:94], v82 offset:1040
	v_cmp_eq_u32_e64 s27, 4, v81
	v_cndmask_b32_e64 v66, v66, v70, s24
	v_cmp_eq_u32_e64 s28, 7, v77
	v_cndmask_b32_e64 v70, v83, v84, s24
	v_cndmask_b32_e64 v84, v105, v72, s25
	v_cmp_eq_u32_e64 s29, 5, v81
	v_cndmask_b32_e64 v66, v66, v95, s26
	v_cmp_eq_u32_e64 s30, 6, v81
	v_cndmask_b32_e64 v70, v70, v98, s26
	v_cndmask_b32_e64 v69, v69, v99, s23
	;; [unrolled: 1-line block ×4, first 2 shown]
	s_waitcnt lgkmcnt(1)
	v_lshrrev_b32_e32 v95, 16, v87
	v_cndmask_b32_e64 v70, v70, v85, s27
	v_cndmask_b32_e64 v71, v84, v97, s28
	v_cndmask_b32_e64 v69, v69, v86, s25
	v_cndmask_b32_e64 v66, v66, v96, s29
	v_cndmask_b32_e32 v84, v87, v95, vcc_lo
	v_cndmask_b32_e64 v70, v70, v99, s29
	s_waitcnt lgkmcnt(0)
	v_lshrrev_b32_e32 v85, 16, v91
	v_lshrrev_b32_e32 v96, 16, v88
	v_cndmask_b32_e64 v98, v87, v95, s4
	v_cndmask_b32_e64 v84, v84, v88, s5
	v_cndmask_b32_e64 v70, v70, v86, s30
	v_cndmask_b32_e32 v99, v91, v85, vcc_lo
	v_cmp_eq_u32_e32 vcc_lo, 7, v81
	v_cndmask_b32_e64 v66, v66, v72, s30
	v_cndmask_b32_e64 v72, v84, v96, s8
	;; [unrolled: 1-line block ×3, first 2 shown]
	v_lshrrev_b32_e32 v98, 16, v92
	v_cndmask_b32_e32 v70, v70, v100, vcc_lo
	v_cndmask_b32_e64 v86, v99, v92, s5
	v_cndmask_b32_e64 v69, v69, v100, s28
	v_lshrrev_b32_e32 v100, 16, v93
	v_cndmask_b32_e64 v72, v72, v89, s10
	v_lshrrev_b32_e32 v99, 16, v89
	v_cndmask_b32_e64 v86, v86, v98, s8
	v_perm_b32 v71, v69, v71, 0x5040100
	v_cndmask_b32_e64 v84, v84, v96, s9
	s_delay_alu instid0(VALU_DEP_3) | instskip(NEXT) | instid1(VALU_DEP_2)
	v_cndmask_b32_e64 v86, v86, v93, s10
	v_cndmask_b32_e64 v84, v84, v89, s12
	s_delay_alu instid0(VALU_DEP_2) | instskip(NEXT) | instid1(VALU_DEP_1)
	v_cndmask_b32_e64 v86, v86, v100, s11
	v_cndmask_b32_e64 v69, v86, v94, s13
	;; [unrolled: 1-line block ×5, first 2 shown]
	s_delay_alu instid0(VALU_DEP_3) | instskip(NEXT) | instid1(VALU_DEP_3)
	v_cndmask_b32_e64 v86, v86, v88, s18
	v_cndmask_b32_e64 v87, v87, v88, s24
	s_delay_alu instid0(VALU_DEP_3) | instskip(NEXT) | instid1(VALU_DEP_3)
	v_cndmask_b32_e64 v88, v95, v92, s24
	v_cndmask_b32_e64 v86, v86, v96, s20
	;; [unrolled: 3-line block ×7, first 2 shown]
	s_delay_alu instid0(VALU_DEP_3) | instskip(SKIP_2) | instid1(VALU_DEP_2)
	v_cndmask_b32_e64 v88, v88, v94, s30
	v_cndmask_b32_e32 v66, v66, v97, vcc_lo
	v_cndmask_b32_e64 v97, v72, v99, s11
	v_perm_b32 v72, v70, v66, 0x5040100
	v_perm_b32 v70, v83, v103, 0x5040100
	v_cndmask_b32_e64 v103, v91, v85, s6
	v_cndmask_b32_e64 v85, v91, v85, s4
	;; [unrolled: 1-line block ×4, first 2 shown]
	v_lshrrev_b32_e32 v97, 16, v90
	v_cndmask_b32_e64 v91, v103, v92, s18
	v_cndmask_b32_e64 v85, v85, v92, s7
	;; [unrolled: 1-line block ×3, first 2 shown]
	s_mov_b32 s4, exec_lo
	v_cndmask_b32_e64 v83, v84, v97, s16
	v_cndmask_b32_e64 v91, v91, v98, s20
	;; [unrolled: 1-line block ×3, first 2 shown]
	v_lshrrev_b32_e32 v84, 16, v94
	v_cndmask_b32_e64 v66, v66, v97, s19
	v_cndmask_b32_e64 v90, v86, v97, s28
	;; [unrolled: 1-line block ×4, first 2 shown]
	v_dual_cndmask_b32 v86, v87, v97 :: v_dual_cndmask_b32 v87, v88, v84
	v_cndmask_b32_e64 v91, v69, v84, s16
	s_delay_alu instid0(VALU_DEP_4) | instskip(NEXT) | instid1(VALU_DEP_4)
	v_cndmask_b32_e64 v89, v89, v100, s23
	v_cndmask_b32_e64 v85, v85, v100, s15
	v_perm_b32 v69, v102, v101, 0x5040100
	v_perm_b32 v86, v87, v86, 0x5040100
	;; [unrolled: 1-line block ×3, first 2 shown]
	v_cndmask_b32_e64 v89, v89, v94, s25
	v_cndmask_b32_e64 v85, v85, v94, s17
	s_mul_i32 s9, s37, 5
	s_delay_alu instid0(VALU_DEP_2) | instskip(NEXT) | instid1(VALU_DEP_2)
	v_cndmask_b32_e64 v88, v89, v84, s28
	v_cndmask_b32_e64 v89, v85, v84, s19
	s_delay_alu instid0(VALU_DEP_2) | instskip(NEXT) | instid1(VALU_DEP_2)
	v_perm_b32 v85, v88, v90, 0x5040100
	v_perm_b32 v84, v89, v66, 0x5040100
	ds_store_b128 v76, v[69:72]
	ds_store_b128 v76, v[83:86] offset:1024
	v_cmpx_gt_u32_e32 5, v0
	s_cbranch_execz .LBB1730_78
; %bb.77:
	s_mul_i32 s5, s9, s34
	s_load_b128 s[16:19], s[0:1], 0x58
	v_add3_u32 v69, s5, s31, v65
	s_delay_alu instid0(VALU_DEP_1) | instskip(NEXT) | instid1(VALU_DEP_1)
	v_mad_u64_u32 v[65:66], null, v69, s36, s[14:15]
	v_ashrrev_i32_e32 v66, 31, v65
	s_delay_alu instid0(VALU_DEP_1) | instskip(SKIP_1) | instid1(VALU_DEP_1)
	v_lshlrev_b64 v[65:66], 2, v[65:66]
	s_waitcnt lgkmcnt(0)
	v_add_co_u32 v69, vcc_lo, s18, v65
	s_delay_alu instid0(VALU_DEP_2)
	v_add_co_ci_u32_e32 v70, vcc_lo, s19, v66, vcc_lo
	v_add_co_u32 v65, vcc_lo, s16, v65
	v_add_co_ci_u32_e32 v66, vcc_lo, s17, v66, vcc_lo
	global_store_b32 v[69:70], v67, off
	global_store_b32 v[65:66], v68, off
.LBB1730_78:
	s_or_b32 exec_lo, exec_lo, s4
	s_waitcnt lgkmcnt(0)
	s_waitcnt_vscnt null, 0x0
	s_barrier
	buffer_gl0_inv
	ds_load_b128 v[83:86], v80
	ds_load_b128 v[87:90], v80 offset:16
	ds_load_b128 v[95:98], v80 offset:2064
	;; [unrolled: 1-line block ×3, first 2 shown]
	v_mov_b32_e32 v65, 0
	ds_load_b128 v[103:106], v80 offset:4112
	ds_load_b128 v[99:102], v80 offset:4096
	;; [unrolled: 1-line block ×4, first 2 shown]
	v_mov_b32_e32 v66, v65
	v_mov_b32_e32 v67, v65
	;; [unrolled: 1-line block ×7, first 2 shown]
	s_waitcnt lgkmcnt(6)
	s_delay_alu instid0(VALU_DEP_1)
	v_wmma_f32_16x16x16_bf16 v[65:72], v[57:64], v[83:90], v[65:72]
	ds_load_b128 v[61:64], v80 offset:8208
	ds_load_b128 v[57:60], v80 offset:8192
	s_waitcnt lgkmcnt(6)
	v_wmma_f32_16x16x16_bf16 v[65:72], v[41:48], v[91:98], v[65:72]
	ds_load_b128 v[45:48], v80 offset:10256
	ds_load_b128 v[41:44], v80 offset:10240
	s_waitcnt lgkmcnt(6)
	;; [unrolled: 4-line block ×4, first 2 shown]
	v_wmma_f32_16x16x16_bf16 v[65:72], v[1:8], v[57:64], v[65:72]
	s_waitcnt lgkmcnt(4)
	s_delay_alu instid0(VALU_DEP_1) | instskip(SKIP_1) | instid1(VALU_DEP_1)
	v_wmma_f32_16x16x16_bf16 v[65:72], v[9:16], v[41:48], v[65:72]
	s_waitcnt lgkmcnt(2)
	v_wmma_f32_16x16x16_bf16 v[65:72], v[17:24], v[33:40], v[65:72]
	s_waitcnt lgkmcnt(0)
	s_delay_alu instid0(VALU_DEP_1) | instskip(NEXT) | instid1(VALU_DEP_1)
	v_wmma_f32_16x16x16_bf16 v[65:72], v[49:56], v[25:32], v[65:72]
	v_and_b32_e32 v1, 0x7f800000, v65
	s_delay_alu instid0(VALU_DEP_1) | instskip(SKIP_1) | instid1(SALU_CYCLE_1)
	v_cmp_ne_u32_e32 vcc_lo, 0x7f800000, v1
                                        ; implicit-def: $vgpr1
	s_and_saveexec_b32 s4, vcc_lo
	s_xor_b32 s4, exec_lo, s4
; %bb.79:
	v_bfe_u32 v1, v65, 16, 1
	s_delay_alu instid0(VALU_DEP_1)
	v_add3_u32 v1, v65, v1, 0x7fff
; %bb.80:
	s_and_not1_saveexec_b32 s4, s4
; %bb.81:
	v_and_b32_e32 v1, 0xffff, v65
	v_or_b32_e32 v2, 0x10000, v65
	s_delay_alu instid0(VALU_DEP_2) | instskip(NEXT) | instid1(VALU_DEP_2)
	v_cmp_eq_u32_e32 vcc_lo, 0, v1
	v_cndmask_b32_e32 v1, v2, v65, vcc_lo
; %bb.82:
	s_or_b32 exec_lo, exec_lo, s4
	v_and_b32_e32 v2, 0x7f800000, v66
	s_delay_alu instid0(VALU_DEP_1) | instskip(SKIP_1) | instid1(SALU_CYCLE_1)
	v_cmp_ne_u32_e32 vcc_lo, 0x7f800000, v2
                                        ; implicit-def: $vgpr2
	s_and_saveexec_b32 s4, vcc_lo
	s_xor_b32 s4, exec_lo, s4
; %bb.83:
	v_bfe_u32 v2, v66, 16, 1
	s_delay_alu instid0(VALU_DEP_1)
	v_add3_u32 v2, v66, v2, 0x7fff
; %bb.84:
	s_and_not1_saveexec_b32 s4, s4
; %bb.85:
	v_and_b32_e32 v2, 0xffff, v66
	v_or_b32_e32 v3, 0x10000, v66
	s_delay_alu instid0(VALU_DEP_2) | instskip(NEXT) | instid1(VALU_DEP_2)
	v_cmp_eq_u32_e32 vcc_lo, 0, v2
	v_cndmask_b32_e32 v2, v3, v66, vcc_lo
; %bb.86:
	s_or_b32 exec_lo, exec_lo, s4
	v_and_b32_e32 v3, 0x7f800000, v67
	s_delay_alu instid0(VALU_DEP_1) | instskip(SKIP_1) | instid1(SALU_CYCLE_1)
	v_cmp_ne_u32_e32 vcc_lo, 0x7f800000, v3
                                        ; implicit-def: $vgpr3
	s_and_saveexec_b32 s4, vcc_lo
	s_xor_b32 s4, exec_lo, s4
; %bb.87:
	v_bfe_u32 v3, v67, 16, 1
	s_delay_alu instid0(VALU_DEP_1)
	v_add3_u32 v3, v67, v3, 0x7fff
; %bb.88:
	s_and_not1_saveexec_b32 s4, s4
; %bb.89:
	v_and_b32_e32 v3, 0xffff, v67
	v_or_b32_e32 v4, 0x10000, v67
	s_delay_alu instid0(VALU_DEP_2) | instskip(NEXT) | instid1(VALU_DEP_2)
	v_cmp_eq_u32_e32 vcc_lo, 0, v3
	v_cndmask_b32_e32 v3, v4, v67, vcc_lo
; %bb.90:
	s_or_b32 exec_lo, exec_lo, s4
	v_and_b32_e32 v4, 0x7f800000, v68
	s_delay_alu instid0(VALU_DEP_1) | instskip(SKIP_1) | instid1(SALU_CYCLE_1)
	v_cmp_ne_u32_e32 vcc_lo, 0x7f800000, v4
                                        ; implicit-def: $vgpr4
	s_and_saveexec_b32 s4, vcc_lo
	s_xor_b32 s4, exec_lo, s4
; %bb.91:
	v_bfe_u32 v4, v68, 16, 1
	s_delay_alu instid0(VALU_DEP_1)
	v_add3_u32 v4, v68, v4, 0x7fff
; %bb.92:
	s_and_not1_saveexec_b32 s4, s4
; %bb.93:
	v_and_b32_e32 v4, 0xffff, v68
	v_or_b32_e32 v5, 0x10000, v68
	s_delay_alu instid0(VALU_DEP_2) | instskip(NEXT) | instid1(VALU_DEP_2)
	v_cmp_eq_u32_e32 vcc_lo, 0, v4
	v_cndmask_b32_e32 v4, v5, v68, vcc_lo
; %bb.94:
	s_or_b32 exec_lo, exec_lo, s4
	v_and_b32_e32 v5, 0x7f800000, v69
	s_delay_alu instid0(VALU_DEP_1) | instskip(SKIP_1) | instid1(SALU_CYCLE_1)
	v_cmp_ne_u32_e32 vcc_lo, 0x7f800000, v5
                                        ; implicit-def: $vgpr5
	s_and_saveexec_b32 s4, vcc_lo
	s_xor_b32 s4, exec_lo, s4
; %bb.95:
	v_bfe_u32 v5, v69, 16, 1
	s_delay_alu instid0(VALU_DEP_1)
	v_add3_u32 v5, v69, v5, 0x7fff
; %bb.96:
	s_and_not1_saveexec_b32 s4, s4
; %bb.97:
	v_and_b32_e32 v5, 0xffff, v69
	v_or_b32_e32 v6, 0x10000, v69
	s_delay_alu instid0(VALU_DEP_2) | instskip(NEXT) | instid1(VALU_DEP_2)
	v_cmp_eq_u32_e32 vcc_lo, 0, v5
	v_cndmask_b32_e32 v5, v6, v69, vcc_lo
; %bb.98:
	s_or_b32 exec_lo, exec_lo, s4
	v_and_b32_e32 v6, 0x7f800000, v70
	s_delay_alu instid0(VALU_DEP_1) | instskip(SKIP_1) | instid1(SALU_CYCLE_1)
	v_cmp_ne_u32_e32 vcc_lo, 0x7f800000, v6
                                        ; implicit-def: $vgpr6
	s_and_saveexec_b32 s4, vcc_lo
	s_xor_b32 s4, exec_lo, s4
; %bb.99:
	v_bfe_u32 v6, v70, 16, 1
	s_delay_alu instid0(VALU_DEP_1)
	v_add3_u32 v6, v70, v6, 0x7fff
; %bb.100:
	s_and_not1_saveexec_b32 s4, s4
; %bb.101:
	v_and_b32_e32 v6, 0xffff, v70
	v_or_b32_e32 v7, 0x10000, v70
	s_delay_alu instid0(VALU_DEP_2) | instskip(NEXT) | instid1(VALU_DEP_2)
	v_cmp_eq_u32_e32 vcc_lo, 0, v6
	v_cndmask_b32_e32 v6, v7, v70, vcc_lo
; %bb.102:
	s_or_b32 exec_lo, exec_lo, s4
	v_and_b32_e32 v7, 0x7f800000, v71
	s_delay_alu instid0(VALU_DEP_1) | instskip(SKIP_1) | instid1(SALU_CYCLE_1)
	v_cmp_ne_u32_e32 vcc_lo, 0x7f800000, v7
                                        ; implicit-def: $vgpr7
	s_and_saveexec_b32 s4, vcc_lo
	s_xor_b32 s4, exec_lo, s4
; %bb.103:
	v_bfe_u32 v7, v71, 16, 1
	s_delay_alu instid0(VALU_DEP_1)
	v_add3_u32 v7, v71, v7, 0x7fff
; %bb.104:
	s_and_not1_saveexec_b32 s4, s4
; %bb.105:
	v_and_b32_e32 v7, 0xffff, v71
	v_or_b32_e32 v8, 0x10000, v71
	s_delay_alu instid0(VALU_DEP_2) | instskip(NEXT) | instid1(VALU_DEP_2)
	v_cmp_eq_u32_e32 vcc_lo, 0, v7
	v_cndmask_b32_e32 v7, v8, v71, vcc_lo
; %bb.106:
	s_or_b32 exec_lo, exec_lo, s4
	v_and_b32_e32 v8, 0x7f800000, v72
	s_delay_alu instid0(VALU_DEP_1) | instskip(SKIP_1) | instid1(SALU_CYCLE_1)
	v_cmp_ne_u32_e32 vcc_lo, 0x7f800000, v8
                                        ; implicit-def: $vgpr8
	s_and_saveexec_b32 s4, vcc_lo
	s_xor_b32 s4, exec_lo, s4
; %bb.107:
	v_bfe_u32 v8, v72, 16, 1
	s_delay_alu instid0(VALU_DEP_1)
	v_add3_u32 v8, v72, v8, 0x7fff
                                        ; implicit-def: $vgpr65_vgpr66_vgpr67_vgpr68_vgpr69_vgpr70_vgpr71_vgpr72
; %bb.108:
	s_and_not1_saveexec_b32 s4, s4
; %bb.109:
	v_and_b32_e32 v8, 0xffff, v72
	v_or_b32_e32 v9, 0x10000, v72
	s_delay_alu instid0(VALU_DEP_2) | instskip(NEXT) | instid1(VALU_DEP_2)
	v_cmp_eq_u32_e32 vcc_lo, 0, v8
	v_cndmask_b32_e32 v8, v9, v72, vcc_lo
; %bb.110:
	s_or_b32 exec_lo, exec_lo, s4
	s_delay_alu instid0(VALU_DEP_1)
	v_perm_b32 v7, v8, v7, 0x7060302
	v_perm_b32 v6, v6, v5, 0x7060302
	v_perm_b32 v5, v4, v3, 0x7060302
	v_perm_b32 v4, v2, v1, 0x7060302
	s_barrier
	buffer_gl0_inv
	v_cmp_eq_u32_e32 vcc_lo, 1, v78
	ds_store_b128 v76, v[4:7]
	s_waitcnt lgkmcnt(0)
	s_barrier
	buffer_gl0_inv
	ds_load_b128 v[1:4], v82
	ds_load_b128 v[5:8], v82 offset:16
	v_cmp_eq_u32_e64 s4, 1, v79
	v_cmp_eq_u32_e64 s5, 2, v78
	;; [unrolled: 1-line block ×5, first 2 shown]
	s_waitcnt lgkmcnt(1)
	v_lshrrev_b32_e32 v9, 16, v1
	s_waitcnt lgkmcnt(0)
	v_lshrrev_b32_e32 v13, 16, v5
	v_lshrrev_b32_e32 v10, 16, v2
	;; [unrolled: 1-line block ×4, first 2 shown]
	v_cndmask_b32_e64 v19, v1, v9, s4
	v_cndmask_b32_e32 v18, v5, v13, vcc_lo
	v_cndmask_b32_e64 v20, v5, v13, s4
	v_cndmask_b32_e32 v17, v1, v9, vcc_lo
	v_cmp_eq_u32_e32 vcc_lo, 2, v79
	v_lshrrev_b32_e32 v15, 16, v7
	v_cmp_eq_u32_e64 s4, 1, v77
	v_lshrrev_b32_e32 v12, 16, v4
	v_lshrrev_b32_e32 v16, 16, v8
	v_cndmask_b32_e32 v20, v20, v6, vcc_lo
	v_cndmask_b32_e64 v17, v17, v2, s5
	v_cndmask_b32_e32 v19, v19, v2, vcc_lo
	v_cndmask_b32_e64 v18, v18, v6, s5
	v_cmp_eq_u32_e32 vcc_lo, 4, v78
	v_cmp_eq_u32_e64 s5, 3, v79
	v_cndmask_b32_e64 v17, v17, v10, s6
	v_cndmask_b32_e64 v21, v1, v9, s4
	;; [unrolled: 1-line block ×5, first 2 shown]
	v_cndmask_b32_e32 v17, v17, v3, vcc_lo
	v_cndmask_b32_e64 v20, v20, v14, s5
	v_cndmask_b32_e32 v18, v18, v7, vcc_lo
	v_cmp_eq_u32_e32 vcc_lo, 4, v79
	v_cmp_eq_u32_e64 s5, 5, v79
	v_cmp_eq_u32_e64 s4, 2, v81
	v_cndmask_b32_e64 v21, v21, v2, s8
	v_cmp_eq_u32_e64 s6, 5, v78
	v_cndmask_b32_e32 v19, v19, v3, vcc_lo
	v_cndmask_b32_e32 v20, v20, v7, vcc_lo
	v_cmp_eq_u32_e32 vcc_lo, 6, v79
	s_delay_alu instid0(VALU_DEP_4) | instskip(NEXT) | instid1(VALU_DEP_4)
	v_cndmask_b32_e64 v17, v17, v11, s6
	v_cndmask_b32_e64 v19, v19, v11, s5
	s_delay_alu instid0(VALU_DEP_4) | instskip(SKIP_1) | instid1(VALU_DEP_3)
	v_cndmask_b32_e64 v20, v20, v15, s5
	v_cmp_eq_u32_e64 s5, 1, v81
	v_cndmask_b32_e32 v19, v19, v4, vcc_lo
	v_cndmask_b32_e64 v18, v18, v15, s6
	s_delay_alu instid0(VALU_DEP_3)
	v_cndmask_b32_e64 v1, v1, v9, s5
	v_cndmask_b32_e64 v5, v5, v13, s5
	v_cmp_eq_u32_e64 s5, 3, v77
	v_cndmask_b32_e64 v13, v22, v6, s8
	v_cmp_eq_u32_e64 s8, 3, v81
	v_cndmask_b32_e64 v1, v1, v2, s4
	v_cndmask_b32_e64 v2, v5, v6, s4
	;; [unrolled: 1-line block ×3, first 2 shown]
	v_cmp_eq_u32_e64 s4, 4, v77
	v_cndmask_b32_e64 v6, v13, v14, s5
	v_cndmask_b32_e64 v1, v1, v10, s8
	v_cmp_eq_u32_e64 s5, 4, v81
	v_cndmask_b32_e64 v2, v2, v14, s8
	v_cndmask_b32_e64 v5, v9, v3, s4
	;; [unrolled: 3-line block ×3, first 2 shown]
	v_cndmask_b32_e64 v2, v2, v7, s5
	v_cmp_eq_u32_e64 s4, 5, v81
	v_cmp_eq_u32_e64 s6, 6, v78
	v_cndmask_b32_e64 v5, v5, v11, s8
	v_cmp_eq_u32_e64 s5, 6, v77
	v_cndmask_b32_e64 v3, v6, v15, s8
	v_cndmask_b32_e64 v1, v1, v11, s4
	v_cmp_eq_u32_e64 s8, 6, v81
	v_cndmask_b32_e64 v2, v2, v15, s4
	v_cndmask_b32_e64 v17, v17, v4, s6
	v_cndmask_b32_e64 v18, v18, v8, s6
	v_cmp_eq_u32_e64 s6, 7, v78
	v_cndmask_b32_e64 v5, v5, v4, s5
	;; [unrolled: 4-line block ×3, first 2 shown]
	v_cmp_eq_u32_e64 s5, 7, v77
	v_cndmask_b32_e32 v4, v20, v8, vcc_lo
	v_cndmask_b32_e64 v17, v17, v12, s6
	v_cndmask_b32_e64 v19, v19, v12, s7
	;; [unrolled: 1-line block ×8, first 2 shown]
	v_cmp_gt_u32_e32 vcc_lo, 32, v0
	v_perm_b32 v4, v2, v1, 0x5040100
	v_perm_b32 v3, v3, v5, 0x5040100
	;; [unrolled: 1-line block ×4, first 2 shown]
	s_and_b32 s2, vcc_lo, s2
	ds_store_b128 v76, v[1:4]
	s_waitcnt lgkmcnt(0)
	s_barrier
	buffer_gl0_inv
	s_and_saveexec_b32 s4, s2
	s_cbranch_execz .LBB1730_2
; %bb.111:
	s_load_b64 s[4:5], s[0:1], 0x68
	v_lshlrev_b32_e32 v0, 10, v0
	v_add_nc_u32_e32 v2, s31, v74
	v_lshlrev_b32_e32 v3, 4, v75
	s_lshl_b32 s0, s36, 6
	s_delay_alu instid0(SALU_CYCLE_1) | instskip(NEXT) | instid1(VALU_DEP_2)
	s_mul_i32 s1, s0, s34
	v_mul_lo_u32 v1, v2, s0
	s_delay_alu instid0(VALU_DEP_2) | instskip(SKIP_2) | instid1(SALU_CYCLE_1)
	v_and_or_b32 v0, 0x3800, v0, v3
	v_add_nc_u32_e32 v2, 2, v2
	s_mul_i32 s6, s1, s9
	s_ashr_i32 s7, s6, 31
	s_delay_alu instid0(VALU_DEP_2)
	v_lshl_or_b32 v7, v74, 6, v0
	s_lshl_b64 s[6:7], s[6:7], 1
	v_mul_lo_u32 v11, v2, s0
	v_ashrrev_i32_e32 v2, 31, v1
	ds_load_b128 v[3:6], v7
	ds_load_b128 v[7:10], v7 offset:128
	s_waitcnt lgkmcnt(0)
	s_add_u32 s1, s4, s6
	s_addc_u32 s2, s5, s7
	s_lshl_b32 s4, s14, 6
	v_ashrrev_i32_e32 v12, 31, v11
	s_ashr_i32 s5, s4, 31
	v_lshlrev_b64 v[13:14], 1, v[1:2]
	s_lshl_b64 s[4:5], s[4:5], 1
	s_delay_alu instid0(SALU_CYCLE_1) | instskip(SKIP_2) | instid1(VALU_DEP_1)
	s_add_u32 s1, s1, s4
	s_addc_u32 s2, s2, s5
	v_add_co_u32 v1, s1, s1, v73
	v_add_co_ci_u32_e64 v2, null, s2, 0, s1
	v_lshlrev_b64 v[11:12], 1, v[11:12]
	s_delay_alu instid0(VALU_DEP_3) | instskip(NEXT) | instid1(VALU_DEP_3)
	v_add_co_u32 v13, vcc_lo, v1, v13
	v_add_co_ci_u32_e32 v14, vcc_lo, v2, v14, vcc_lo
	s_delay_alu instid0(VALU_DEP_3) | instskip(NEXT) | instid1(VALU_DEP_4)
	v_add_co_u32 v11, vcc_lo, v1, v11
	v_add_co_ci_u32_e32 v12, vcc_lo, v2, v12, vcc_lo
	s_clause 0x1
	global_store_b128 v[13:14], v[3:6], off
	global_store_b128 v[11:12], v[7:10], off
	s_and_b32 exec_lo, exec_lo, s3
	s_cbranch_execz .LBB1730_2
; %bb.112:
	ds_load_b128 v[3:6], v0 offset:256
	s_add_i32 s1, s31, 4
	s_delay_alu instid0(SALU_CYCLE_1) | instskip(NEXT) | instid1(SALU_CYCLE_1)
	s_mul_i32 s0, s1, s0
	s_ashr_i32 s1, s0, 31
	s_delay_alu instid0(SALU_CYCLE_1) | instskip(NEXT) | instid1(SALU_CYCLE_1)
	s_lshl_b64 s[0:1], s[0:1], 1
	v_add_co_u32 v0, vcc_lo, v1, s0
	v_add_co_ci_u32_e32 v1, vcc_lo, s1, v2, vcc_lo
	s_waitcnt lgkmcnt(0)
	global_store_b128 v[0:1], v[3:6], off
	s_nop 0
	s_sendmsg sendmsg(MSG_DEALLOC_VGPRS)
	s_endpgm
	.section	.rodata,"a",@progbits
	.p2align	6, 0x0
	.amdhsa_kernel _Z39paged_attention_ll4mi_QKV_mfma16_kernelI14__hip_bfloat16hLN4vllm18Fp8KVCacheDataTypeE1EhLi32ELi64ELi256ELb1ELi5EL8MFMAType0EEvPKT_PKT0_S9_ifPKiSB_SB_iPKfiiiPfSE_PS4_PT2_iSD_SD_
		.amdhsa_group_segment_fixed_size 17472
		.amdhsa_private_segment_fixed_size 0
		.amdhsa_kernarg_size 400
		.amdhsa_user_sgpr_count 13
		.amdhsa_user_sgpr_dispatch_ptr 0
		.amdhsa_user_sgpr_queue_ptr 0
		.amdhsa_user_sgpr_kernarg_segment_ptr 1
		.amdhsa_user_sgpr_dispatch_id 0
		.amdhsa_user_sgpr_private_segment_size 0
		.amdhsa_wavefront_size32 1
		.amdhsa_uses_dynamic_stack 0
		.amdhsa_enable_private_segment 0
		.amdhsa_system_sgpr_workgroup_id_x 1
		.amdhsa_system_sgpr_workgroup_id_y 1
		.amdhsa_system_sgpr_workgroup_id_z 1
		.amdhsa_system_sgpr_workgroup_info 0
		.amdhsa_system_vgpr_workitem_id 0
		.amdhsa_next_free_vgpr 124
		.amdhsa_next_free_sgpr 42
		.amdhsa_reserve_vcc 1
		.amdhsa_float_round_mode_32 0
		.amdhsa_float_round_mode_16_64 0
		.amdhsa_float_denorm_mode_32 3
		.amdhsa_float_denorm_mode_16_64 3
		.amdhsa_dx10_clamp 1
		.amdhsa_ieee_mode 1
		.amdhsa_fp16_overflow 0
		.amdhsa_workgroup_processor_mode 1
		.amdhsa_memory_ordered 1
		.amdhsa_forward_progress 0
		.amdhsa_shared_vgpr_count 0
		.amdhsa_exception_fp_ieee_invalid_op 0
		.amdhsa_exception_fp_denorm_src 0
		.amdhsa_exception_fp_ieee_div_zero 0
		.amdhsa_exception_fp_ieee_overflow 0
		.amdhsa_exception_fp_ieee_underflow 0
		.amdhsa_exception_fp_ieee_inexact 0
		.amdhsa_exception_int_div_zero 0
	.end_amdhsa_kernel
	.section	.text._Z39paged_attention_ll4mi_QKV_mfma16_kernelI14__hip_bfloat16hLN4vllm18Fp8KVCacheDataTypeE1EhLi32ELi64ELi256ELb1ELi5EL8MFMAType0EEvPKT_PKT0_S9_ifPKiSB_SB_iPKfiiiPfSE_PS4_PT2_iSD_SD_,"axG",@progbits,_Z39paged_attention_ll4mi_QKV_mfma16_kernelI14__hip_bfloat16hLN4vllm18Fp8KVCacheDataTypeE1EhLi32ELi64ELi256ELb1ELi5EL8MFMAType0EEvPKT_PKT0_S9_ifPKiSB_SB_iPKfiiiPfSE_PS4_PT2_iSD_SD_,comdat
.Lfunc_end1730:
	.size	_Z39paged_attention_ll4mi_QKV_mfma16_kernelI14__hip_bfloat16hLN4vllm18Fp8KVCacheDataTypeE1EhLi32ELi64ELi256ELb1ELi5EL8MFMAType0EEvPKT_PKT0_S9_ifPKiSB_SB_iPKfiiiPfSE_PS4_PT2_iSD_SD_, .Lfunc_end1730-_Z39paged_attention_ll4mi_QKV_mfma16_kernelI14__hip_bfloat16hLN4vllm18Fp8KVCacheDataTypeE1EhLi32ELi64ELi256ELb1ELi5EL8MFMAType0EEvPKT_PKT0_S9_ifPKiSB_SB_iPKfiiiPfSE_PS4_PT2_iSD_SD_
                                        ; -- End function
	.section	.AMDGPU.csdata,"",@progbits
; Kernel info:
; codeLenInByte = 8780
; NumSgprs: 44
; NumVgprs: 124
; ScratchSize: 0
; MemoryBound: 0
; FloatMode: 240
; IeeeMode: 1
; LDSByteSize: 17472 bytes/workgroup (compile time only)
; SGPRBlocks: 5
; VGPRBlocks: 15
; NumSGPRsForWavesPerEU: 44
; NumVGPRsForWavesPerEU: 124
; Occupancy: 10
; WaveLimiterHint : 1
; COMPUTE_PGM_RSRC2:SCRATCH_EN: 0
; COMPUTE_PGM_RSRC2:USER_SGPR: 13
; COMPUTE_PGM_RSRC2:TRAP_HANDLER: 0
; COMPUTE_PGM_RSRC2:TGID_X_EN: 1
; COMPUTE_PGM_RSRC2:TGID_Y_EN: 1
; COMPUTE_PGM_RSRC2:TGID_Z_EN: 1
; COMPUTE_PGM_RSRC2:TIDIG_COMP_CNT: 0
	.section	.text._Z39paged_attention_ll4mi_QKV_mfma16_kernelI14__hip_bfloat16hLN4vllm18Fp8KVCacheDataTypeE1EhLi32ELi64ELi256ELb1ELi6EL8MFMAType0EEvPKT_PKT0_S9_ifPKiSB_SB_iPKfiiiPfSE_PS4_PT2_iSD_SD_,"axG",@progbits,_Z39paged_attention_ll4mi_QKV_mfma16_kernelI14__hip_bfloat16hLN4vllm18Fp8KVCacheDataTypeE1EhLi32ELi64ELi256ELb1ELi6EL8MFMAType0EEvPKT_PKT0_S9_ifPKiSB_SB_iPKfiiiPfSE_PS4_PT2_iSD_SD_,comdat
	.protected	_Z39paged_attention_ll4mi_QKV_mfma16_kernelI14__hip_bfloat16hLN4vllm18Fp8KVCacheDataTypeE1EhLi32ELi64ELi256ELb1ELi6EL8MFMAType0EEvPKT_PKT0_S9_ifPKiSB_SB_iPKfiiiPfSE_PS4_PT2_iSD_SD_ ; -- Begin function _Z39paged_attention_ll4mi_QKV_mfma16_kernelI14__hip_bfloat16hLN4vllm18Fp8KVCacheDataTypeE1EhLi32ELi64ELi256ELb1ELi6EL8MFMAType0EEvPKT_PKT0_S9_ifPKiSB_SB_iPKfiiiPfSE_PS4_PT2_iSD_SD_
	.globl	_Z39paged_attention_ll4mi_QKV_mfma16_kernelI14__hip_bfloat16hLN4vllm18Fp8KVCacheDataTypeE1EhLi32ELi64ELi256ELb1ELi6EL8MFMAType0EEvPKT_PKT0_S9_ifPKiSB_SB_iPKfiiiPfSE_PS4_PT2_iSD_SD_
	.p2align	8
	.type	_Z39paged_attention_ll4mi_QKV_mfma16_kernelI14__hip_bfloat16hLN4vllm18Fp8KVCacheDataTypeE1EhLi32ELi64ELi256ELb1ELi6EL8MFMAType0EEvPKT_PKT0_S9_ifPKiSB_SB_iPKfiiiPfSE_PS4_PT2_iSD_SD_,@function
_Z39paged_attention_ll4mi_QKV_mfma16_kernelI14__hip_bfloat16hLN4vllm18Fp8KVCacheDataTypeE1EhLi32ELi64ELi256ELb1ELi6EL8MFMAType0EEvPKT_PKT0_S9_ifPKiSB_SB_iPKfiiiPfSE_PS4_PT2_iSD_SD_: ; @_Z39paged_attention_ll4mi_QKV_mfma16_kernelI14__hip_bfloat16hLN4vllm18Fp8KVCacheDataTypeE1EhLi32ELi64ELi256ELb1ELi6EL8MFMAType0EEvPKT_PKT0_S9_ifPKiSB_SB_iPKfiiiPfSE_PS4_PT2_iSD_SD_
; %bb.0:
	s_load_b64 s[2:3], s[0:1], 0x30
	s_mov_b32 s30, s13
	s_waitcnt lgkmcnt(0)
	s_cmp_lg_u64 s[2:3], 0
	s_cselect_b32 s8, -1, 0
	s_ashr_i32 s31, s13, 31
	s_cmp_eq_u64 s[2:3], 0
	s_cbranch_scc1 .LBB1731_3
; %bb.1:
	s_lshl_b64 s[4:5], s[30:31], 2
	s_delay_alu instid0(SALU_CYCLE_1) | instskip(SKIP_4) | instid1(SALU_CYCLE_1)
	s_add_u32 s4, s2, s4
	s_addc_u32 s5, s3, s5
	s_load_b64 s[4:5], s[4:5], 0x0
	s_waitcnt lgkmcnt(0)
	s_sub_i32 s4, s5, s4
	s_cmp_eq_u32 s4, 1
	s_cselect_b32 s4, -1, 0
	s_delay_alu instid0(SALU_CYCLE_1)
	s_and_not1_b32 vcc_lo, exec_lo, s4
	s_cbranch_vccz .LBB1731_4
.LBB1731_2:
	s_endpgm
.LBB1731_3:
.LBB1731_4:
	s_load_b64 s[4:5], s[0:1], 0x28
	s_lshl_b64 s[6:7], s[30:31], 2
	s_waitcnt lgkmcnt(0)
	s_add_u32 s4, s4, s6
	s_addc_u32 s5, s5, s7
	s_lshl_b32 s12, s14, 8
	s_load_b32 s24, s[4:5], 0x0
	s_waitcnt lgkmcnt(0)
	s_cmp_ge_i32 s12, s24
	s_cbranch_scc1 .LBB1731_2
; %bb.5:
	s_clause 0x1
	s_load_b128 s[20:23], s[0:1], 0x8
	s_load_b64 s[4:5], s[0:1], 0x20
	s_and_not1_b32 vcc_lo, exec_lo, s8
	s_cbranch_vccnz .LBB1731_7
; %bb.6:
	s_add_u32 s2, s2, s6
	s_addc_u32 s3, s3, s7
	s_load_b32 s3, s[2:3], 0x0
	s_branch .LBB1731_8
.LBB1731_7:
	s_mov_b32 s3, s30
.LBB1731_8:
	s_load_b128 s[16:19], s[0:1], 0x48
	v_and_b32_e32 v65, 15, v0
	v_cmp_gt_u32_e32 vcc_lo, 0x60, v0
	v_lshrrev_b32_e32 v66, 5, v0
	v_and_b32_e32 v67, 31, v0
	v_and_b32_e32 v75, 1, v0
	v_lshlrev_b32_e32 v1, 3, v65
	v_cmp_gt_u32_e64 s2, 8, v65
	v_bfe_u32 v74, v0, 4, 1
	s_mul_i32 s31, s15, 6
	s_delay_alu instid0(VALU_DEP_3) | instskip(NEXT) | instid1(VALU_DEP_3)
	v_lshlrev_b32_e32 v73, 1, v1
	s_and_b32 s7, vcc_lo, s2
	s_delay_alu instid0(SALU_CYCLE_1)
	s_and_saveexec_b32 s6, s7
	s_cbranch_execz .LBB1731_10
; %bb.9:
	s_load_b64 s[8:9], s[0:1], 0x0
	v_lshl_or_b32 v5, v66, 1, v74
	s_waitcnt lgkmcnt(0)
	s_mul_hi_i32 s11, s3, s16
	s_mul_i32 s10, s3, s16
	v_lshlrev_b32_e32 v6, 10, v65
	s_lshl_b64 s[10:11], s[10:11], 1
	v_add_lshl_u32 v1, v5, s31, 6
	v_lshlrev_b32_e32 v5, 6, v5
	v_lshlrev_b32_e32 v7, 10, v75
	v_and_b32_e32 v6, 0x3800, v6
	s_delay_alu instid0(VALU_DEP_4) | instskip(NEXT) | instid1(VALU_DEP_2)
	v_ashrrev_i32_e32 v2, 31, v1
	v_or3_b32 v5, v6, v7, v5
	s_delay_alu instid0(VALU_DEP_2) | instskip(SKIP_2) | instid1(VALU_DEP_1)
	v_lshlrev_b64 v[1:2], 1, v[1:2]
	s_add_u32 s3, s8, s10
	s_addc_u32 s7, s9, s11
	v_add_co_u32 v1, vcc_lo, s3, v1
	s_delay_alu instid0(VALU_DEP_2) | instskip(NEXT) | instid1(VALU_DEP_2)
	v_add_co_ci_u32_e32 v2, vcc_lo, s7, v2, vcc_lo
	v_add_co_u32 v1, vcc_lo, v1, v73
	s_delay_alu instid0(VALU_DEP_2)
	v_add_co_ci_u32_e32 v2, vcc_lo, 0, v2, vcc_lo
	global_load_b128 v[1:4], v[1:2], off
	s_waitcnt vmcnt(0)
	ds_store_b128 v5, v[1:4]
.LBB1731_10:
	s_or_b32 exec_lo, exec_lo, s6
	v_and_b32_e32 v1, 0xef, v0
	s_waitcnt lgkmcnt(0)
	s_add_i32 s3, s24, 31
	s_clause 0x1
	s_load_b32 s6, s[0:1], 0x38
	s_load_b32 s19, s[0:1], 0x1c
	s_ashr_i32 s7, s3, 31
	v_add_nc_u32_e32 v1, s12, v1
	s_lshr_b32 s7, s7, 27
	s_waitcnt lgkmcnt(0)
	s_add_i32 s3, s3, s7
	s_barrier
	v_ashrrev_i32_e32 v2, 31, v1
	v_or_b32_e32 v3, 16, v1
	s_ashr_i32 s3, s3, 5
	v_cmp_gt_i32_e32 vcc_lo, s24, v1
	s_add_i32 s3, s3, -1
	v_lshrrev_b32_e32 v2, 27, v2
	buffer_gl0_inv
	s_mul_i32 s27, s15, s18
	v_add_nc_u32_e32 v4, v1, v2
	s_mul_i32 s6, s30, s6
	s_delay_alu instid0(SALU_CYCLE_1) | instskip(NEXT) | instid1(VALU_DEP_1)
	s_ashr_i32 s7, s6, 31
	v_ashrrev_i32_e32 v4, 5, v4
	v_add_nc_u32_e32 v2, v3, v2
	s_lshl_b64 s[6:7], s[6:7], 2
	s_delay_alu instid0(SALU_CYCLE_1) | instskip(NEXT) | instid1(VALU_DEP_2)
	s_add_u32 s26, s4, s6
	v_cndmask_b32_e32 v1, s3, v4, vcc_lo
	s_delay_alu instid0(VALU_DEP_2)
	v_ashrrev_i32_e32 v2, 5, v2
	v_cmp_gt_i32_e32 vcc_lo, s24, v3
	s_addc_u32 s25, s5, s7
	s_ashr_i32 s28, s27, 31
	s_add_u32 s4, s20, s27
	s_addc_u32 s5, s21, s28
	v_cndmask_b32_e32 v3, s3, v2, vcc_lo
	v_ashrrev_i32_e32 v2, 31, v1
	s_lshl_b32 s6, s14, 3
	s_delay_alu instid0(SALU_CYCLE_1) | instskip(NEXT) | instid1(VALU_DEP_2)
	s_ashr_i32 s7, s6, 31
	v_ashrrev_i32_e32 v4, 31, v3
	s_delay_alu instid0(VALU_DEP_2) | instskip(SKIP_1) | instid1(SALU_CYCLE_1)
	v_lshlrev_b64 v[1:2], 2, v[1:2]
	s_lshl_b64 s[6:7], s[6:7], 2
	s_add_u32 s6, s26, s6
	s_delay_alu instid0(VALU_DEP_2) | instskip(SKIP_1) | instid1(VALU_DEP_2)
	v_lshlrev_b64 v[3:4], 2, v[3:4]
	s_addc_u32 s7, s25, s7
	v_add_co_u32 v1, vcc_lo, s26, v1
	v_add_co_ci_u32_e32 v2, vcc_lo, s25, v2, vcc_lo
	s_delay_alu instid0(VALU_DEP_3) | instskip(NEXT) | instid1(VALU_DEP_4)
	v_add_co_u32 v3, vcc_lo, s26, v3
	v_add_co_ci_u32_e32 v4, vcc_lo, s25, v4, vcc_lo
	s_clause 0x1
	global_load_b32 v5, v[1:2], off
	global_load_b32 v6, v[3:4], off
	s_or_b32 s8, s12, 32
	s_delay_alu instid0(SALU_CYCLE_1) | instskip(SKIP_2) | instid1(SALU_CYCLE_1)
	s_ashr_i32 s9, s8, 5
	s_cmp_lt_i32 s8, s24
	s_cselect_b32 s8, s9, s3
	s_ashr_i32 s9, s8, 31
	s_delay_alu instid0(SALU_CYCLE_1) | instskip(NEXT) | instid1(SALU_CYCLE_1)
	s_lshl_b64 s[8:9], s[8:9], 2
	s_add_u32 s8, s26, s8
	s_addc_u32 s9, s25, s9
	s_or_b32 s10, s12, 64
	s_delay_alu instid0(SALU_CYCLE_1) | instskip(SKIP_2) | instid1(SALU_CYCLE_1)
	s_ashr_i32 s11, s10, 5
	s_cmp_lt_i32 s10, s24
	s_cselect_b32 s10, s11, s3
	s_ashr_i32 s11, s10, 31
	s_delay_alu instid0(SALU_CYCLE_1) | instskip(NEXT) | instid1(SALU_CYCLE_1)
	s_lshl_b64 s[10:11], s[10:11], 2
	s_add_u32 s10, s26, s10
	s_addc_u32 s11, s25, s11
	;; [unrolled: 10-line block ×5, first 2 shown]
	s_clause 0x5
	s_load_b32 s21, s[6:7], 0x0
	s_load_b32 s13, s[8:9], 0x0
	;; [unrolled: 1-line block ×6, first 2 shown]
	s_or_b32 s9, s12, 0xc0
	s_delay_alu instid0(SALU_CYCLE_1) | instskip(SKIP_2) | instid1(SALU_CYCLE_1)
	s_ashr_i32 s10, s9, 5
	s_cmp_lt_i32 s9, s24
	s_cselect_b32 s34, s10, s3
	s_ashr_i32 s35, s34, 31
	s_delay_alu instid0(SALU_CYCLE_1) | instskip(NEXT) | instid1(SALU_CYCLE_1)
	s_lshl_b64 s[34:35], s[34:35], 2
	s_add_u32 s34, s26, s34
	s_addc_u32 s35, s25, s35
	s_or_b32 s29, s12, 0xe0
	s_delay_alu instid0(SALU_CYCLE_1)
	s_ashr_i32 s33, s29, 5
	s_cmp_lt_i32 s29, s24
	s_waitcnt vmcnt(1)
	v_mad_i64_i32 v[1:2], null, v5, s17, s[4:5]
	s_waitcnt vmcnt(0)
	v_mad_i64_i32 v[3:4], null, v6, s17, s[4:5]
	s_mov_b32 s4, 0
	s_delay_alu instid0(SALU_CYCLE_1)
	s_mov_b32 s5, s4
	s_mov_b32 s6, s4
	;; [unrolled: 1-line block ×7, first 2 shown]
	v_lshlrev_b32_e32 v5, 4, v65
	v_dual_mov_b32 v107, s11 :: v_dual_mov_b32 v102, s6
	v_mov_b32_e32 v106, s10
	v_mov_b32_e32 v104, s8
	s_delay_alu instid0(VALU_DEP_4)
	v_add_co_u32 v1, vcc_lo, v1, v5
	v_add_co_ci_u32_e32 v2, vcc_lo, 0, v2, vcc_lo
	v_add_co_u32 v3, vcc_lo, v3, v5
	v_add_co_ci_u32_e32 v4, vcc_lo, 0, v4, vcc_lo
	s_clause 0x7
	global_load_b128 v[49:52], v[1:2], off
	global_load_b128 v[53:56], v[1:2], off offset:512
	global_load_b128 v[76:79], v[3:4], off offset:256
	;; [unrolled: 1-line block ×7, first 2 shown]
	v_mul_lo_u16 v1, v65, 43
	v_mov_b32_e32 v103, s7
	v_dual_mov_b32 v101, s5 :: v_dual_lshlrev_b32 v2, 5, v65
	v_mov_b32_e32 v100, s4
	s_delay_alu instid0(VALU_DEP_4) | instskip(NEXT) | instid1(VALU_DEP_3)
	v_lshrrev_b16 v1, 8, v1
	v_lshl_or_b32 v2, v66, 9, v2
	s_delay_alu instid0(VALU_DEP_2) | instskip(NEXT) | instid1(VALU_DEP_1)
	v_mul_lo_u16 v1, v1, 6
	v_sub_nc_u16 v1, v65, v1
	s_delay_alu instid0(VALU_DEP_1)
	v_and_b32_e32 v1, 0xff, v1
	v_mov_b32_e32 v105, s9
	s_cselect_b32 s4, s33, s3
	s_load_b32 s3, s[34:35], 0x0
	s_ashr_i32 s5, s4, 31
	v_lshlrev_b32_e32 v70, 6, v1
	s_lshl_b64 s[4:5], s[4:5], 2
	ds_load_b128 v[108:111], v70
	ds_load_b128 v[112:115], v70 offset:1024
	s_add_u32 s4, s26, s4
	s_addc_u32 s5, s25, s5
	s_add_u32 s6, s22, s27
	s_load_b32 s4, s[4:5], 0x0
	s_addc_u32 s7, s23, s28
	v_add_co_u32 v9, s6, s6, v2
	s_delay_alu instid0(VALU_DEP_1) | instskip(SKIP_1) | instid1(VALU_DEP_1)
	v_add_co_ci_u32_e64 v10, null, s7, 0, s6
	s_waitcnt lgkmcnt(0)
	v_mad_i64_i32 v[1:2], null, s21, s17, v[9:10]
	v_mad_i64_i32 v[3:4], null, s13, s17, v[9:10]
	;; [unrolled: 1-line block ×7, first 2 shown]
	s_clause 0x9
	global_load_b128 v[57:60], v[1:2], off
	global_load_b128 v[61:64], v[1:2], off offset:16
	global_load_b128 v[41:44], v[3:4], off
	global_load_b128 v[45:48], v[3:4], off offset:16
	;; [unrolled: 2-line block ×5, first 2 shown]
	v_mad_i64_i32 v[68:69], null, s4, s17, v[9:10]
	s_clause 0x3
	global_load_b128 v[9:12], v[13:14], off
	global_load_b128 v[13:16], v[13:14], off offset:16
	global_load_b128 v[17:20], v[21:22], off
	global_load_b128 v[21:24], v[21:22], off offset:16
	s_waitcnt vmcnt(20)
	v_wmma_f32_16x16x16_bf16 v[116:123], v[49:56], v[108:115], v[100:107]
	s_clause 0x1
	global_load_b128 v[49:52], v[68:69], off
	global_load_b128 v[53:56], v[68:69], off offset:16
	v_and_b32_e32 v68, 0xe0, v0
	v_mbcnt_lo_u32_b32 v69, -1, 0
	s_delay_alu instid0(VALU_DEP_2)
	v_add_nc_u32_e32 v68, s12, v68
	s_waitcnt vmcnt(20)
	v_wmma_f32_16x16x16_bf16 v[100:107], v[76:83], v[108:115], v[100:107]
	ds_load_b128 v[76:79], v70 offset:2048
	ds_load_b128 v[80:83], v70 offset:3072
	v_xor_b32_e32 v70, 16, v69
	s_waitcnt vmcnt(0) lgkmcnt(0)
	v_or_b32_e32 v68, v68, v74
	s_barrier
	buffer_gl0_inv
	v_cmp_gt_i32_e32 vcc_lo, 32, v70
	v_or_b32_e32 v71, 4, v68
	v_or_b32_e32 v72, 6, v68
	v_cmp_gt_i32_e64 s3, s24, v68
	v_or_b32_e32 v108, 8, v68
	v_or_b32_e32 v109, 10, v68
	v_cmp_gt_i32_e64 s4, s24, v71
	v_cmp_gt_i32_e64 s5, s24, v72
	s_delay_alu instid0(VALU_DEP_4) | instskip(NEXT) | instid1(VALU_DEP_4)
	v_cmp_gt_i32_e64 s6, s24, v108
	v_cmp_gt_i32_e64 s7, s24, v109
	v_wmma_f32_16x16x16_bf16 v[116:123], v[84:91], v[76:83], v[116:123]
	v_cndmask_b32_e32 v69, v69, v70, vcc_lo
	v_or_b32_e32 v70, 2, v68
	v_wmma_f32_16x16x16_bf16 v[100:107], v[92:99], v[76:83], v[100:107]
	v_or_b32_e32 v84, 12, v68
	v_dual_mul_f32 v78, s19, v123 :: v_dual_mul_f32 v83, s19, v118
	v_dual_mul_f32 v92, s19, v117 :: v_dual_mul_f32 v93, s19, v116
	s_delay_alu instid0(VALU_DEP_4) | instskip(SKIP_2) | instid1(VALU_DEP_4)
	v_mul_f32_e32 v94, s19, v107
	v_cmp_gt_i32_e32 vcc_lo, s24, v70
	v_dual_mul_f32 v81, s19, v120 :: v_dual_mul_f32 v82, s19, v119
	v_cndmask_b32_e64 v93, 0xff7fffff, v93, s3
	v_or_b32_e32 v85, 14, v68
	v_cndmask_b32_e32 v92, 0xff7fffff, v92, vcc_lo
	v_dual_mul_f32 v79, s19, v122 :: v_dual_mul_f32 v80, s19, v121
	v_cndmask_b32_e64 v71, 0xff7fffff, v83, s4
	v_cndmask_b32_e64 v72, 0xff7fffff, v82, s5
	s_delay_alu instid0(VALU_DEP_4)
	v_max3_f32 v82, v93, 0xff7fffff, v92
	v_or_b32_e32 v86, 16, v68
	v_or_b32_e32 v87, 18, v68
	v_cndmask_b32_e64 v81, 0xff7fffff, v81, s6
	v_cndmask_b32_e64 v80, 0xff7fffff, v80, s7
	v_max3_f32 v71, v82, v71, v72
	v_cmp_gt_i32_e64 s8, s24, v84
	v_cmp_gt_i32_e64 s9, s24, v85
	v_or_b32_e32 v88, 20, v68
	v_or_b32_e32 v89, 22, v68
	;; [unrolled: 1-line block ×6, first 2 shown]
	v_dual_mul_f32 v99, s19, v102 :: v_dual_mul_f32 v70, s19, v101
	v_mul_f32_e32 v68, s19, v100
	v_cndmask_b32_e64 v72, 0xff7fffff, v79, s8
	v_cndmask_b32_e64 v78, 0xff7fffff, v78, s9
	v_max3_f32 v71, v71, v81, v80
	v_cmp_gt_i32_e64 s10, s24, v86
	v_cmp_gt_i32_e64 s11, s24, v87
	v_dual_mul_f32 v97, s19, v104 :: v_dual_mul_f32 v98, s19, v103
	s_delay_alu instid0(VALU_DEP_4) | instskip(SKIP_1) | instid1(VALU_DEP_4)
	v_max3_f32 v71, v71, v72, v78
	v_cmp_gt_i32_e64 s12, s24, v88
	v_cndmask_b32_e64 v70, 0xff7fffff, v70, s11
	v_cmp_gt_i32_e64 s13, s24, v89
	v_lshlrev_b32_e32 v89, 2, v69
	v_cndmask_b32_e64 v68, 0xff7fffff, v68, s10
	v_dual_mul_f32 v95, s19, v106 :: v_dual_mul_f32 v96, s19, v105
	v_cndmask_b32_e64 v72, 0xff7fffff, v99, s12
	v_cndmask_b32_e64 v78, 0xff7fffff, v98, s13
	s_delay_alu instid0(VALU_DEP_4)
	v_max3_f32 v68, v71, v68, v70
	v_cmp_gt_i32_e64 s15, s24, v90
	v_cmp_gt_i32_e64 s16, s24, v91
	;; [unrolled: 1-line block ×4, first 2 shown]
	v_max3_f32 v68, v68, v72, v78
	v_cndmask_b32_e64 v70, 0xff7fffff, v97, s15
	v_cndmask_b32_e64 v71, 0xff7fffff, v96, s16
	;; [unrolled: 1-line block ×4, first 2 shown]
	s_delay_alu instid0(VALU_DEP_3) | instskip(NEXT) | instid1(VALU_DEP_1)
	v_max3_f32 v68, v68, v70, v71
	v_max3_f32 v68, v68, v72, v76
	ds_bpermute_b32 v69, v89, v68
	s_waitcnt lgkmcnt(0)
	v_max_f32_e32 v69, v69, v69
	s_delay_alu instid0(VALU_DEP_1) | instskip(NEXT) | instid1(VALU_DEP_1)
	v_max_f32_e32 v68, v68, v69
	v_fma_f32 v71, s19, v118, -v68
	s_delay_alu instid0(VALU_DEP_1)
	v_mul_f32_e32 v71, 0x3fb8aa3b, v71
	v_fma_f32 v69, s19, v116, -v68
	v_fma_f32 v70, s19, v117, -v68
	v_fma_f32 v76, s19, v120, -v68
	v_fma_f32 v72, s19, v119, -v68
	v_exp_f32_e32 v71, v71
	s_delay_alu instid0(VALU_DEP_3) | instskip(SKIP_2) | instid1(VALU_DEP_3)
	v_dual_mul_f32 v69, 0x3fb8aa3b, v69 :: v_dual_mul_f32 v70, 0x3fb8aa3b, v70
	v_fma_f32 v78, s19, v122, -v68
	v_fma_f32 v81, s19, v105, -v68
	v_exp_f32_e32 v69, v69
	s_delay_alu instid0(VALU_DEP_3) | instskip(SKIP_1) | instid1(VALU_DEP_2)
	v_exp_f32_e32 v70, v70
	v_mul_f32_e32 v77, 0x3fb8aa3b, v76
	v_mul_f32_e32 v81, 0x3fb8aa3b, v81
	s_delay_alu instid0(TRANS32_DEP_3) | instskip(SKIP_1) | instid1(VALU_DEP_3)
	v_cndmask_b32_e64 v83, 0, v71, s4
	v_fma_f32 v71, s19, v123, -v68
	v_exp_f32_e32 v81, v81
	s_delay_alu instid0(TRANS32_DEP_3) | instskip(NEXT) | instid1(TRANS32_DEP_2)
	v_cndmask_b32_e64 v80, 0, v69, s3
	v_cndmask_b32_e32 v76, 0, v70, vcc_lo
	v_fma_f32 v69, s19, v121, -v68
	v_mul_f32_e32 v72, 0x3fb8aa3b, v72
	v_exp_f32_e32 v77, v77
	v_dual_add_f32 v70, 0, v80 :: v_dual_mul_f32 v71, 0x3fb8aa3b, v71
	s_delay_alu instid0(VALU_DEP_3) | instskip(NEXT) | instid1(VALU_DEP_3)
	v_mul_f32_e32 v69, 0x3fb8aa3b, v69
	v_exp_f32_e32 v72, v72
	s_mov_b32 s3, exec_lo
	s_delay_alu instid0(VALU_DEP_2) | instskip(NEXT) | instid1(VALU_DEP_1)
	v_exp_f32_e32 v71, v71
	v_exp_f32_e32 v69, v69
	v_cndmask_b32_e64 v86, 0, v77, s6
	v_fma_f32 v77, s19, v101, -v68
	v_add_f32_e32 v70, v70, v76
	s_delay_alu instid0(TRANS32_DEP_3) | instskip(SKIP_1) | instid1(VALU_DEP_3)
	v_cndmask_b32_e64 v85, 0, v72, s5
	v_fma_f32 v72, s19, v100, -v68
	v_dual_mul_f32 v77, 0x3fb8aa3b, v77 :: v_dual_add_f32 v70, v70, v83
	s_delay_alu instid0(TRANS32_DEP_2) | instskip(SKIP_1) | instid1(TRANS32_DEP_1)
	v_cndmask_b32_e64 v88, 0, v71, s9
	v_fma_f32 v71, s19, v104, -v68
	v_cndmask_b32_e64 v87, 0, v69, s7
	s_delay_alu instid0(VALU_DEP_4) | instskip(NEXT) | instid1(VALU_DEP_2)
	v_exp_f32_e32 v77, v77
	v_dual_add_f32 v70, v70, v85 :: v_dual_mul_f32 v71, 0x3fb8aa3b, v71
	s_delay_alu instid0(VALU_DEP_1) | instskip(SKIP_2) | instid1(VALU_DEP_3)
	v_dual_mul_f32 v72, 0x3fb8aa3b, v72 :: v_dual_add_f32 v69, v70, v86
	v_mul_f32_e32 v78, 0x3fb8aa3b, v78
	v_fma_f32 v70, s19, v102, -v68
	v_exp_f32_e32 v72, v72
	v_exp_f32_e32 v82, v71
	v_add_f32_e32 v69, v69, v87
	v_exp_f32_e32 v78, v78
	v_mul_f32_e32 v70, 0x3fb8aa3b, v70
	s_delay_alu instid0(VALU_DEP_1) | instskip(SKIP_4) | instid1(VALU_DEP_2)
	v_exp_f32_e32 v79, v70
	v_cndmask_b32_e64 v70, 0, v72, s10
	s_waitcnt_depctr 0xfff
	v_cndmask_b32_e64 v84, 0, v78, s8
	v_fma_f32 v78, s19, v103, -v68
	v_add_f32_e32 v69, v69, v84
	v_cndmask_b32_e64 v71, 0, v79, s12
	s_delay_alu instid0(VALU_DEP_2) | instskip(SKIP_2) | instid1(VALU_DEP_1)
	v_add_f32_e32 v72, v69, v88
	v_cndmask_b32_e64 v69, 0, v77, s11
	v_fma_f32 v77, s19, v106, -v68
	v_dual_mul_f32 v77, 0x3fb8aa3b, v77 :: v_dual_add_f32 v72, v72, v70
	v_mul_f32_e32 v78, 0x3fb8aa3b, v78
	s_delay_alu instid0(VALU_DEP_2) | instskip(NEXT) | instid1(VALU_DEP_2)
	v_exp_f32_e32 v90, v77
	v_add_f32_e32 v79, v72, v69
	s_delay_alu instid0(VALU_DEP_2)
	v_exp_f32_e32 v78, v78
	v_cndmask_b32_e64 v77, 0, v82, s15
	s_waitcnt_depctr 0xfff
	v_cndmask_b32_e64 v72, 0, v78, s13
	v_add_f32_e32 v78, v79, v71
	v_fma_f32 v79, s19, v107, -v68
	s_delay_alu instid0(VALU_DEP_1) | instskip(SKIP_1) | instid1(VALU_DEP_2)
	v_dual_add_f32 v82, v78, v72 :: v_dual_mul_f32 v79, 0x3fb8aa3b, v79
	v_cndmask_b32_e64 v78, 0, v81, s16
	v_add_f32_e32 v81, v82, v77
	s_delay_alu instid0(VALU_DEP_3) | instskip(SKIP_1) | instid1(VALU_DEP_2)
	v_exp_f32_e32 v82, v79
	v_cndmask_b32_e64 v79, 0, v90, s17
	v_add_f32_e32 v81, v81, v78
	s_delay_alu instid0(VALU_DEP_1) | instskip(SKIP_2) | instid1(VALU_DEP_1)
	v_add_f32_e32 v90, v81, v79
	s_waitcnt_depctr 0xfff
	v_cndmask_b32_e64 v81, 0, v82, s18
	v_add_f32_e32 v82, v90, v81
	ds_bpermute_b32 v89, v89, v82
	v_cmpx_gt_u32_e32 16, v67
	s_cbranch_execz .LBB1731_12
; %bb.11:
	v_mul_u32_u24_e32 v67, 0x44, v66
	s_delay_alu instid0(VALU_DEP_1) | instskip(SKIP_1) | instid1(VALU_DEP_1)
	v_lshl_add_u32 v67, v65, 2, v67
	s_waitcnt lgkmcnt(0)
	v_dual_add_f32 v82, v82, v89 :: v_dual_add_nc_u32 v67, 0x4000, v67
	ds_store_2addr_b32 v67, v68, v82 offset1:136
.LBB1731_12:
	s_or_b32 exec_lo, exec_lo, s3
	v_lshlrev_b32_e32 v67, 2, v65
	s_waitcnt lgkmcnt(0)
	s_barrier
	buffer_gl0_inv
	v_cmp_eq_u32_e32 vcc_lo, 1, v66
	v_add_nc_u32_e32 v82, 0x4000, v67
	v_cmp_eq_u32_e64 s3, 2, v66
	v_cmp_eq_u32_e64 s5, 7, v66
	ds_load_2addr_b32 v[89:90], v82 offset1:17
	ds_load_2addr_b32 v[91:92], v82 offset0:34 offset1:51
	ds_load_2addr_b32 v[93:94], v82 offset0:68 offset1:85
	;; [unrolled: 1-line block ×4, first 2 shown]
	s_waitcnt lgkmcnt(4)
	v_max3_f32 v67, v89, 0xff7fffff, v90
	s_waitcnt lgkmcnt(3)
	s_delay_alu instid0(VALU_DEP_1) | instskip(SKIP_1) | instid1(VALU_DEP_1)
	v_max3_f32 v67, v67, v91, v92
	s_waitcnt lgkmcnt(2)
	v_max3_f32 v67, v67, v93, v94
	s_waitcnt lgkmcnt(1)
	s_delay_alu instid0(VALU_DEP_1) | instskip(NEXT) | instid1(VALU_DEP_1)
	v_max3_f32 v67, v67, v95, v96
	v_sub_f32_e32 v93, v93, v67
	s_delay_alu instid0(VALU_DEP_1) | instskip(NEXT) | instid1(VALU_DEP_1)
	v_dual_sub_f32 v68, v89, v67 :: v_dual_mul_f32 v103, 0x3fb8aa3b, v93
	v_mul_f32_e32 v68, 0x3fb8aa3b, v68
	s_delay_alu instid0(VALU_DEP_1)
	v_exp_f32_e32 v100, v68
	v_sub_f32_e32 v68, v92, v67
	v_sub_f32_e32 v99, v90, v67
	ds_load_2addr_b32 v[89:90], v82 offset0:170 offset1:187
	v_dual_mul_f32 v102, 0x3fb8aa3b, v68 :: v_dual_mul_f32 v99, 0x3fb8aa3b, v99
	s_waitcnt lgkmcnt(1)
	v_fma_f32 v68, v100, v97, 0
	s_delay_alu instid0(VALU_DEP_2) | instskip(NEXT) | instid1(VALU_DEP_2)
	v_exp_f32_e32 v102, v102
	v_exp_f32_e32 v99, v99
	s_waitcnt_depctr 0xfff
	v_fmac_f32_e32 v68, v99, v98
	v_sub_f32_e32 v91, v91, v67
	s_delay_alu instid0(VALU_DEP_1)
	v_mul_f32_e32 v101, 0x3fb8aa3b, v91
	ds_load_2addr_b32 v[91:92], v82 offset0:204 offset1:221
	v_sub_f32_e32 v97, v94, v67
	ds_load_2addr_b32 v[93:94], v82 offset0:238 offset1:255
	s_waitcnt lgkmcnt(0)
	v_exp_f32_e32 v101, v101
	s_barrier
	buffer_gl0_inv
	v_dual_fmac_f32 v68, v101, v89 :: v_dual_sub_f32 v89, v96, v67
	v_dual_sub_f32 v82, v95, v67 :: v_dual_mul_f32 v95, 0x3fb8aa3b, v97
	v_exp_f32_e32 v97, v103
	s_delay_alu instid0(VALU_DEP_2) | instskip(NEXT) | instid1(VALU_DEP_2)
	v_dual_fmac_f32 v68, v102, v90 :: v_dual_mul_f32 v89, 0x3fb8aa3b, v89
	v_mul_f32_e32 v82, 0x3fb8aa3b, v82
	s_delay_alu instid0(VALU_DEP_3) | instskip(NEXT) | instid1(VALU_DEP_2)
	v_exp_f32_e32 v95, v95
	v_exp_f32_e32 v89, v89
	s_delay_alu instid0(VALU_DEP_1)
	v_exp_f32_e32 v82, v82
	v_fmac_f32_e32 v68, v97, v91
	s_delay_alu instid0(TRANS32_DEP_3) | instid1(VALU_DEP_1)
	v_fmac_f32_e32 v68, v95, v92
	s_waitcnt_depctr 0xfff
	v_fmac_f32_e32 v68, v82, v93
	s_delay_alu instid0(VALU_DEP_1) | instskip(NEXT) | instid1(VALU_DEP_1)
	v_fmac_f32_e32 v68, v89, v94
	v_add_f32_e32 v90, 0x358637bd, v68
	s_delay_alu instid0(VALU_DEP_1) | instskip(NEXT) | instid1(VALU_DEP_1)
	v_div_scale_f32 v91, null, v90, v90, 1.0
	v_rcp_f32_e32 v92, v91
	s_waitcnt_depctr 0xfff
	v_fma_f32 v93, -v91, v92, 1.0
	s_delay_alu instid0(VALU_DEP_1) | instskip(SKIP_1) | instid1(VALU_DEP_2)
	v_dual_fmac_f32 v92, v93, v92 :: v_dual_cndmask_b32 v93, v100, v99
	v_cmp_eq_u32_e32 vcc_lo, 3, v66
	v_cndmask_b32_e64 v93, v93, v101, s3
	v_cmp_eq_u32_e64 s3, 4, v66
	s_delay_alu instid0(VALU_DEP_2) | instskip(SKIP_1) | instid1(VALU_DEP_2)
	v_cndmask_b32_e32 v93, v93, v102, vcc_lo
	v_cmp_eq_u32_e32 vcc_lo, 5, v66
	v_cndmask_b32_e64 v93, v93, v97, s3
	v_cmp_eq_u32_e64 s3, 6, v66
	s_delay_alu instid0(VALU_DEP_2) | instskip(SKIP_1) | instid1(VALU_DEP_1)
	v_cndmask_b32_e32 v93, v93, v95, vcc_lo
	v_div_scale_f32 v94, s4, 1.0, v90, 1.0
	s_mov_b32 vcc_lo, s4
	s_delay_alu instid0(VALU_DEP_2) | instskip(NEXT) | instid1(VALU_DEP_2)
	v_cndmask_b32_e64 v82, v93, v82, s3
	v_mul_f32_e32 v96, v94, v92
	s_mov_b32 s3, exec_lo
	s_delay_alu instid0(VALU_DEP_2) | instskip(NEXT) | instid1(VALU_DEP_2)
	v_cndmask_b32_e64 v82, v82, v89, s5
	v_fma_f32 v98, -v91, v96, v94
	s_delay_alu instid0(VALU_DEP_1) | instskip(NEXT) | instid1(VALU_DEP_1)
	v_fmac_f32_e32 v96, v98, v92
	v_fma_f32 v91, -v91, v96, v94
	s_delay_alu instid0(VALU_DEP_1) | instskip(NEXT) | instid1(VALU_DEP_1)
	v_div_fmas_f32 v91, v91, v92, v96
	v_div_fixup_f32 v90, v91, v90, 1.0
	s_delay_alu instid0(VALU_DEP_1) | instskip(NEXT) | instid1(VALU_DEP_1)
	v_mul_f32_e32 v82, v82, v90
	v_mul_f32_e32 v87, v82, v87
	;; [unrolled: 1-line block ×7, first 2 shown]
	v_dual_mul_f32 v86, v82, v83 :: v_dual_and_b32 v91, 0x7f800000, v90
	v_mul_f32_e32 v85, v82, v76
                                        ; implicit-def: $vgpr76
	s_delay_alu instid0(VALU_DEP_2)
	v_cmpx_ne_u32_e32 0x7f800000, v91
	s_xor_b32 s3, exec_lo, s3
; %bb.13:
	v_bfe_u32 v76, v90, 16, 1
	s_delay_alu instid0(VALU_DEP_1)
	v_add3_u32 v76, v90, v76, 0x7fff
                                        ; implicit-def: $vgpr90
; %bb.14:
	s_and_not1_saveexec_b32 s3, s3
; %bb.15:
	v_and_b32_e32 v76, 0xffff, v90
	v_or_b32_e32 v83, 0x10000, v90
	s_delay_alu instid0(VALU_DEP_2) | instskip(NEXT) | instid1(VALU_DEP_2)
	v_cmp_eq_u32_e32 vcc_lo, 0, v76
	v_cndmask_b32_e32 v76, v83, v90, vcc_lo
; %bb.16:
	s_or_b32 exec_lo, exec_lo, s3
	v_and_b32_e32 v83, 0x7f800000, v85
	s_delay_alu instid0(VALU_DEP_1) | instskip(SKIP_1) | instid1(SALU_CYCLE_1)
	v_cmp_ne_u32_e32 vcc_lo, 0x7f800000, v83
                                        ; implicit-def: $vgpr83
	s_and_saveexec_b32 s3, vcc_lo
	s_xor_b32 s3, exec_lo, s3
; %bb.17:
	v_bfe_u32 v83, v85, 16, 1
	s_delay_alu instid0(VALU_DEP_1)
	v_add3_u32 v83, v85, v83, 0x7fff
                                        ; implicit-def: $vgpr85
; %bb.18:
	s_and_not1_saveexec_b32 s3, s3
; %bb.19:
	v_and_b32_e32 v83, 0xffff, v85
	v_or_b32_e32 v90, 0x10000, v85
	s_delay_alu instid0(VALU_DEP_2) | instskip(NEXT) | instid1(VALU_DEP_2)
	v_cmp_eq_u32_e32 vcc_lo, 0, v83
	v_cndmask_b32_e32 v83, v90, v85, vcc_lo
; %bb.20:
	s_or_b32 exec_lo, exec_lo, s3
	v_and_b32_e32 v85, 0x7f800000, v86
	s_delay_alu instid0(VALU_DEP_1) | instskip(SKIP_1) | instid1(SALU_CYCLE_1)
	v_cmp_ne_u32_e32 vcc_lo, 0x7f800000, v85
                                        ; implicit-def: $vgpr85
	s_and_saveexec_b32 s3, vcc_lo
	s_xor_b32 s3, exec_lo, s3
; %bb.21:
	v_bfe_u32 v85, v86, 16, 1
	s_delay_alu instid0(VALU_DEP_1)
	v_add3_u32 v85, v86, v85, 0x7fff
                                        ; implicit-def: $vgpr86
; %bb.22:
	s_and_not1_saveexec_b32 s3, s3
; %bb.23:
	v_and_b32_e32 v85, 0xffff, v86
	v_or_b32_e32 v90, 0x10000, v86
	s_delay_alu instid0(VALU_DEP_2) | instskip(NEXT) | instid1(VALU_DEP_2)
	v_cmp_eq_u32_e32 vcc_lo, 0, v85
	v_cndmask_b32_e32 v85, v90, v86, vcc_lo
; %bb.24:
	s_or_b32 exec_lo, exec_lo, s3
	v_and_b32_e32 v86, 0x7f800000, v89
	s_delay_alu instid0(VALU_DEP_1) | instskip(SKIP_1) | instid1(SALU_CYCLE_1)
	v_cmp_ne_u32_e32 vcc_lo, 0x7f800000, v86
                                        ; implicit-def: $vgpr86
	s_and_saveexec_b32 s3, vcc_lo
	s_xor_b32 s3, exec_lo, s3
; %bb.25:
	v_bfe_u32 v86, v89, 16, 1
	s_delay_alu instid0(VALU_DEP_1)
	v_add3_u32 v86, v89, v86, 0x7fff
                                        ; implicit-def: $vgpr89
; %bb.26:
	s_and_not1_saveexec_b32 s3, s3
; %bb.27:
	v_and_b32_e32 v86, 0xffff, v89
	v_or_b32_e32 v90, 0x10000, v89
	s_delay_alu instid0(VALU_DEP_2) | instskip(NEXT) | instid1(VALU_DEP_2)
	v_cmp_eq_u32_e32 vcc_lo, 0, v86
	v_cndmask_b32_e32 v86, v90, v89, vcc_lo
; %bb.28:
	s_or_b32 exec_lo, exec_lo, s3
	v_and_b32_e32 v89, 0x7f800000, v88
	s_delay_alu instid0(VALU_DEP_1) | instskip(SKIP_1) | instid1(SALU_CYCLE_1)
	v_cmp_ne_u32_e32 vcc_lo, 0x7f800000, v89
                                        ; implicit-def: $vgpr89
	s_and_saveexec_b32 s3, vcc_lo
	s_xor_b32 s3, exec_lo, s3
; %bb.29:
	v_bfe_u32 v89, v88, 16, 1
	s_delay_alu instid0(VALU_DEP_1)
	v_add3_u32 v89, v88, v89, 0x7fff
                                        ; implicit-def: $vgpr88
; %bb.30:
	s_and_not1_saveexec_b32 s3, s3
; %bb.31:
	v_and_b32_e32 v89, 0xffff, v88
	v_or_b32_e32 v90, 0x10000, v88
	s_delay_alu instid0(VALU_DEP_2) | instskip(NEXT) | instid1(VALU_DEP_2)
	v_cmp_eq_u32_e32 vcc_lo, 0, v89
	v_cndmask_b32_e32 v89, v90, v88, vcc_lo
; %bb.32:
	s_or_b32 exec_lo, exec_lo, s3
	v_and_b32_e32 v88, 0x7f800000, v87
	s_delay_alu instid0(VALU_DEP_1) | instskip(SKIP_1) | instid1(SALU_CYCLE_1)
	v_cmp_ne_u32_e32 vcc_lo, 0x7f800000, v88
                                        ; implicit-def: $vgpr88
	s_and_saveexec_b32 s3, vcc_lo
	s_xor_b32 s3, exec_lo, s3
; %bb.33:
	v_bfe_u32 v88, v87, 16, 1
	s_delay_alu instid0(VALU_DEP_1)
	v_add3_u32 v88, v87, v88, 0x7fff
                                        ; implicit-def: $vgpr87
; %bb.34:
	s_and_not1_saveexec_b32 s3, s3
; %bb.35:
	v_and_b32_e32 v88, 0xffff, v87
	v_or_b32_e32 v90, 0x10000, v87
	s_delay_alu instid0(VALU_DEP_2) | instskip(NEXT) | instid1(VALU_DEP_2)
	v_cmp_eq_u32_e32 vcc_lo, 0, v88
	v_cndmask_b32_e32 v88, v90, v87, vcc_lo
; %bb.36:
	s_or_b32 exec_lo, exec_lo, s3
	v_and_b32_e32 v87, 0x7f800000, v84
	s_delay_alu instid0(VALU_DEP_1) | instskip(SKIP_1) | instid1(SALU_CYCLE_1)
	v_cmp_ne_u32_e32 vcc_lo, 0x7f800000, v87
                                        ; implicit-def: $vgpr87
	s_and_saveexec_b32 s3, vcc_lo
	s_xor_b32 s3, exec_lo, s3
; %bb.37:
	v_bfe_u32 v87, v84, 16, 1
	s_delay_alu instid0(VALU_DEP_1)
	v_add3_u32 v87, v84, v87, 0x7fff
                                        ; implicit-def: $vgpr84
; %bb.38:
	s_and_not1_saveexec_b32 s3, s3
; %bb.39:
	v_and_b32_e32 v87, 0xffff, v84
	v_or_b32_e32 v90, 0x10000, v84
	s_delay_alu instid0(VALU_DEP_2) | instskip(NEXT) | instid1(VALU_DEP_2)
	v_cmp_eq_u32_e32 vcc_lo, 0, v87
	v_cndmask_b32_e32 v87, v90, v84, vcc_lo
; %bb.40:
	s_or_b32 exec_lo, exec_lo, s3
	v_and_b32_e32 v84, 0x7f800000, v80
	s_delay_alu instid0(VALU_DEP_1) | instskip(SKIP_1) | instid1(SALU_CYCLE_1)
	v_cmp_ne_u32_e32 vcc_lo, 0x7f800000, v84
                                        ; implicit-def: $vgpr84
	s_and_saveexec_b32 s3, vcc_lo
	s_xor_b32 s3, exec_lo, s3
; %bb.41:
	v_bfe_u32 v84, v80, 16, 1
	s_delay_alu instid0(VALU_DEP_1)
	v_add3_u32 v84, v80, v84, 0x7fff
                                        ; implicit-def: $vgpr80
; %bb.42:
	s_and_not1_saveexec_b32 s3, s3
; %bb.43:
	v_and_b32_e32 v84, 0xffff, v80
	v_or_b32_e32 v90, 0x10000, v80
	s_delay_alu instid0(VALU_DEP_2) | instskip(NEXT) | instid1(VALU_DEP_2)
	v_cmp_eq_u32_e32 vcc_lo, 0, v84
	v_cndmask_b32_e32 v84, v90, v80, vcc_lo
; %bb.44:
	s_or_b32 exec_lo, exec_lo, s3
	s_load_b64 s[34:35], s[0:1], 0x94
	v_lshlrev_b32_e32 v91, 4, v74
	s_delay_alu instid0(VALU_DEP_2)
	v_perm_b32 v90, v84, v87, 0x7060302
	v_dual_mul_f32 v79, v82, v79 :: v_dual_lshlrev_b32 v80, 6, v65
	v_dual_mul_f32 v77, v82, v77 :: v_dual_lshlrev_b32 v92, 11, v66
	v_mul_f32_e32 v84, v82, v70
	v_perm_b32 v89, v88, v89, 0x7060302
	v_perm_b32 v88, v86, v85, 0x7060302
	;; [unrolled: 1-line block ×3, first 2 shown]
	v_mul_f32_e32 v70, v82, v81
	v_or3_b32 v76, v91, v92, v80
	v_dual_mul_f32 v78, v82, v78 :: v_dual_and_b32 v85, 0x7f800000, v84
	v_mul_f32_e32 v83, v82, v72
	v_mul_f32_e32 v81, v82, v71
	;; [unrolled: 1-line block ×3, first 2 shown]
	s_mov_b32 s3, exec_lo
	ds_store_b128 v76, v[87:90]
                                        ; implicit-def: $vgpr69
	v_cmpx_ne_u32_e32 0x7f800000, v85
	s_xor_b32 s3, exec_lo, s3
; %bb.45:
	v_bfe_u32 v69, v84, 16, 1
	s_delay_alu instid0(VALU_DEP_1)
	v_add3_u32 v69, v84, v69, 0x7fff
                                        ; implicit-def: $vgpr84
; %bb.46:
	s_and_not1_saveexec_b32 s3, s3
; %bb.47:
	v_and_b32_e32 v69, 0xffff, v84
	v_or_b32_e32 v71, 0x10000, v84
	s_delay_alu instid0(VALU_DEP_2) | instskip(NEXT) | instid1(VALU_DEP_2)
	v_cmp_eq_u32_e32 vcc_lo, 0, v69
	v_cndmask_b32_e32 v69, v71, v84, vcc_lo
; %bb.48:
	s_or_b32 exec_lo, exec_lo, s3
	v_and_b32_e32 v71, 0x7f800000, v72
	s_delay_alu instid0(VALU_DEP_1) | instskip(SKIP_1) | instid1(SALU_CYCLE_1)
	v_cmp_ne_u32_e32 vcc_lo, 0x7f800000, v71
                                        ; implicit-def: $vgpr71
	s_and_saveexec_b32 s3, vcc_lo
	s_xor_b32 s3, exec_lo, s3
; %bb.49:
	v_bfe_u32 v71, v72, 16, 1
	s_delay_alu instid0(VALU_DEP_1)
	v_add3_u32 v71, v72, v71, 0x7fff
                                        ; implicit-def: $vgpr72
; %bb.50:
	s_and_not1_saveexec_b32 s3, s3
; %bb.51:
	v_and_b32_e32 v71, 0xffff, v72
	v_or_b32_e32 v82, 0x10000, v72
	s_delay_alu instid0(VALU_DEP_2) | instskip(NEXT) | instid1(VALU_DEP_2)
	v_cmp_eq_u32_e32 vcc_lo, 0, v71
	v_cndmask_b32_e32 v71, v82, v72, vcc_lo
; %bb.52:
	s_or_b32 exec_lo, exec_lo, s3
	v_and_b32_e32 v72, 0x7f800000, v81
	s_delay_alu instid0(VALU_DEP_1) | instskip(SKIP_1) | instid1(SALU_CYCLE_1)
	v_cmp_ne_u32_e32 vcc_lo, 0x7f800000, v72
                                        ; implicit-def: $vgpr72
	s_and_saveexec_b32 s3, vcc_lo
	s_xor_b32 s3, exec_lo, s3
; %bb.53:
	v_bfe_u32 v72, v81, 16, 1
	s_delay_alu instid0(VALU_DEP_1)
	v_add3_u32 v72, v81, v72, 0x7fff
                                        ; implicit-def: $vgpr81
; %bb.54:
	s_and_not1_saveexec_b32 s3, s3
; %bb.55:
	v_and_b32_e32 v72, 0xffff, v81
	v_or_b32_e32 v82, 0x10000, v81
	s_delay_alu instid0(VALU_DEP_2) | instskip(NEXT) | instid1(VALU_DEP_2)
	v_cmp_eq_u32_e32 vcc_lo, 0, v72
	v_cndmask_b32_e32 v72, v82, v81, vcc_lo
; %bb.56:
	s_or_b32 exec_lo, exec_lo, s3
	v_and_b32_e32 v81, 0x7f800000, v83
	s_delay_alu instid0(VALU_DEP_1) | instskip(SKIP_1) | instid1(SALU_CYCLE_1)
	v_cmp_ne_u32_e32 vcc_lo, 0x7f800000, v81
                                        ; implicit-def: $vgpr81
	s_and_saveexec_b32 s3, vcc_lo
	s_xor_b32 s3, exec_lo, s3
; %bb.57:
	v_bfe_u32 v81, v83, 16, 1
	s_delay_alu instid0(VALU_DEP_1)
	v_add3_u32 v81, v83, v81, 0x7fff
                                        ; implicit-def: $vgpr83
; %bb.58:
	s_and_not1_saveexec_b32 s3, s3
; %bb.59:
	v_and_b32_e32 v81, 0xffff, v83
	v_or_b32_e32 v82, 0x10000, v83
	s_delay_alu instid0(VALU_DEP_2) | instskip(NEXT) | instid1(VALU_DEP_2)
	v_cmp_eq_u32_e32 vcc_lo, 0, v81
	v_cndmask_b32_e32 v81, v82, v83, vcc_lo
; %bb.60:
	s_or_b32 exec_lo, exec_lo, s3
	v_and_b32_e32 v82, 0x7f800000, v77
	s_delay_alu instid0(VALU_DEP_1) | instskip(SKIP_1) | instid1(SALU_CYCLE_1)
	v_cmp_ne_u32_e32 vcc_lo, 0x7f800000, v82
                                        ; implicit-def: $vgpr82
	s_and_saveexec_b32 s3, vcc_lo
	s_xor_b32 s3, exec_lo, s3
; %bb.61:
	v_bfe_u32 v82, v77, 16, 1
	s_delay_alu instid0(VALU_DEP_1)
	v_add3_u32 v82, v77, v82, 0x7fff
                                        ; implicit-def: $vgpr77
; %bb.62:
	s_and_not1_saveexec_b32 s3, s3
; %bb.63:
	v_and_b32_e32 v82, 0xffff, v77
	v_or_b32_e32 v83, 0x10000, v77
	s_delay_alu instid0(VALU_DEP_2) | instskip(NEXT) | instid1(VALU_DEP_2)
	v_cmp_eq_u32_e32 vcc_lo, 0, v82
	v_cndmask_b32_e32 v82, v83, v77, vcc_lo
; %bb.64:
	s_or_b32 exec_lo, exec_lo, s3
	v_and_b32_e32 v77, 0x7f800000, v78
	s_delay_alu instid0(VALU_DEP_1) | instskip(SKIP_1) | instid1(SALU_CYCLE_1)
	v_cmp_ne_u32_e32 vcc_lo, 0x7f800000, v77
                                        ; implicit-def: $vgpr77
	s_and_saveexec_b32 s3, vcc_lo
	s_xor_b32 s3, exec_lo, s3
; %bb.65:
	v_bfe_u32 v77, v78, 16, 1
	s_delay_alu instid0(VALU_DEP_1)
	v_add3_u32 v77, v78, v77, 0x7fff
                                        ; implicit-def: $vgpr78
; %bb.66:
	s_and_not1_saveexec_b32 s3, s3
; %bb.67:
	v_and_b32_e32 v77, 0xffff, v78
	v_or_b32_e32 v83, 0x10000, v78
	s_delay_alu instid0(VALU_DEP_2) | instskip(NEXT) | instid1(VALU_DEP_2)
	v_cmp_eq_u32_e32 vcc_lo, 0, v77
	v_cndmask_b32_e32 v77, v83, v78, vcc_lo
; %bb.68:
	s_or_b32 exec_lo, exec_lo, s3
	v_and_b32_e32 v78, 0x7f800000, v79
	s_delay_alu instid0(VALU_DEP_1) | instskip(SKIP_1) | instid1(SALU_CYCLE_1)
	v_cmp_ne_u32_e32 vcc_lo, 0x7f800000, v78
                                        ; implicit-def: $vgpr78
	s_and_saveexec_b32 s3, vcc_lo
	s_xor_b32 s3, exec_lo, s3
; %bb.69:
	v_bfe_u32 v78, v79, 16, 1
	s_delay_alu instid0(VALU_DEP_1)
	v_add3_u32 v78, v79, v78, 0x7fff
                                        ; implicit-def: $vgpr79
; %bb.70:
	s_and_not1_saveexec_b32 s3, s3
; %bb.71:
	v_and_b32_e32 v78, 0xffff, v79
	v_or_b32_e32 v83, 0x10000, v79
	s_delay_alu instid0(VALU_DEP_2) | instskip(NEXT) | instid1(VALU_DEP_2)
	v_cmp_eq_u32_e32 vcc_lo, 0, v78
	v_cndmask_b32_e32 v78, v83, v79, vcc_lo
; %bb.72:
	s_or_b32 exec_lo, exec_lo, s3
	v_and_b32_e32 v79, 0x7f800000, v70
	s_delay_alu instid0(VALU_DEP_1) | instskip(SKIP_1) | instid1(SALU_CYCLE_1)
	v_cmp_ne_u32_e32 vcc_lo, 0x7f800000, v79
                                        ; implicit-def: $vgpr79
	s_and_saveexec_b32 s3, vcc_lo
	s_xor_b32 s3, exec_lo, s3
; %bb.73:
	v_bfe_u32 v79, v70, 16, 1
	s_delay_alu instid0(VALU_DEP_1)
	v_add3_u32 v79, v70, v79, 0x7fff
                                        ; implicit-def: $vgpr70
; %bb.74:
	s_and_not1_saveexec_b32 s3, s3
; %bb.75:
	v_and_b32_e32 v79, 0xffff, v70
	v_or_b32_e32 v83, 0x10000, v70
	s_delay_alu instid0(VALU_DEP_2) | instskip(NEXT) | instid1(VALU_DEP_2)
	v_cmp_eq_u32_e32 vcc_lo, 0, v79
	v_cndmask_b32_e32 v79, v83, v70, vcc_lo
; %bb.76:
	s_or_b32 exec_lo, exec_lo, s3
	s_delay_alu instid0(VALU_DEP_1)
	v_perm_b32 v86, v79, v78, 0x7060302
	v_perm_b32 v85, v77, v82, 0x7060302
	;; [unrolled: 1-line block ×4, first 2 shown]
	v_lshl_or_b32 v82, v66, 11, v80
	ds_store_b128 v76, v[83:86] offset:1024
	s_waitcnt lgkmcnt(0)
	s_barrier
	buffer_gl0_inv
	ds_load_b128 v[69:72], v82
	ds_load_b128 v[83:86], v82 offset:16
	s_waitcnt lgkmcnt(1)
	v_lshrrev_b32_e32 v66, 16, v69
	s_waitcnt lgkmcnt(0)
	v_lshrrev_b32_e32 v91, 16, v83
	v_lshlrev_b32_e32 v78, 2, v74
	v_lshrrev_b32_e32 v95, 16, v70
	v_lshrrev_b32_e32 v98, 16, v84
	;; [unrolled: 1-line block ×4, first 2 shown]
	v_cmp_eq_u32_e32 vcc_lo, 1, v78
	v_lshrrev_b32_e32 v97, 16, v72
	v_lshrrev_b32_e32 v100, 16, v86
	v_cndmask_b32_e32 v87, v83, v91, vcc_lo
	v_or_b32_e32 v79, 1, v78
	v_cndmask_b32_e32 v81, v69, v66, vcc_lo
	v_cmp_eq_u32_e64 s4, 2, v78
	v_cmp_eq_u32_e64 s7, 3, v78
	;; [unrolled: 1-line block ×5, first 2 shown]
	v_cndmask_b32_e64 v81, v81, v70, s4
	v_cndmask_b32_e64 v87, v87, v84, s4
	v_cmp_eq_u32_e64 s8, 3, v79
	v_cndmask_b32_e64 v88, v69, v66, s3
	v_or_b32_e32 v77, 2, v78
	v_cndmask_b32_e64 v81, v81, v95, s7
	v_cndmask_b32_e64 v87, v87, v98, s7
	;; [unrolled: 1-line block ×4, first 2 shown]
	v_cmp_eq_u32_e64 s10, 5, v78
	v_cndmask_b32_e64 v81, v81, v71, s9
	v_cndmask_b32_e64 v87, v87, v85, s9
	v_cmp_eq_u32_e64 s11, 4, v79
	v_cndmask_b32_e64 v88, v88, v95, s8
	v_cmp_eq_u32_e64 s5, 1, v77
	v_cndmask_b32_e64 v89, v89, v84, s6
	v_cndmask_b32_e64 v81, v81, v96, s10
	v_cmp_eq_u32_e64 s12, 6, v78
	v_cndmask_b32_e64 v88, v88, v71, s11
	;; [unrolled: 3-line block ×3, first 2 shown]
	v_cndmask_b32_e64 v89, v89, v98, s8
	v_cndmask_b32_e64 v81, v81, v72, s12
	v_cmp_eq_u32_e64 s15, 7, v78
	v_cndmask_b32_e64 v88, v88, v96, s13
	v_cndmask_b32_e64 v87, v87, v86, s12
	v_cmp_eq_u32_e64 s16, 6, v79
	v_cmp_eq_u32_e64 s17, 2, v77
	v_cndmask_b32_e64 v89, v89, v85, s11
	v_cndmask_b32_e64 v101, v81, v97, s15
	;; [unrolled: 1-line block ×6, first 2 shown]
	v_cmp_eq_u32_e64 s18, 7, v79
	v_cmp_eq_u32_e64 s19, 3, v77
	;; [unrolled: 1-line block ×4, first 2 shown]
	v_cndmask_b32_e64 v87, v87, v84, s17
	v_cndmask_b32_e64 v103, v88, v97, s18
	;; [unrolled: 1-line block ×4, first 2 shown]
	v_or_b32_e32 v81, 3, v78
	v_cndmask_b32_e64 v93, v87, v98, s19
	v_cmp_eq_u32_e64 s24, 6, v77
	v_cndmask_b32_e64 v104, v88, v86, s16
	v_cndmask_b32_e64 v92, v89, v71, s20
	v_cmp_eq_u32_e64 s21, 1, v81
	ds_load_b128 v[87:90], v82 offset:1024
	v_cmp_eq_u32_e64 s23, 2, v81
	v_cmp_eq_u32_e64 s25, 3, v81
	v_cndmask_b32_e64 v105, v92, v96, s22
	v_cndmask_b32_e64 v66, v69, v66, s21
	;; [unrolled: 1-line block ×4, first 2 shown]
	ds_load_b128 v[91:94], v82 offset:1040
	v_cmp_eq_u32_e64 s26, 4, v81
	v_cndmask_b32_e64 v66, v66, v70, s23
	v_cmp_eq_u32_e64 s27, 7, v77
	v_cndmask_b32_e64 v70, v83, v84, s23
	v_cndmask_b32_e64 v84, v105, v72, s24
	v_cmp_eq_u32_e64 s28, 5, v81
	v_cndmask_b32_e64 v66, v66, v95, s25
	v_cmp_eq_u32_e64 s29, 6, v81
	v_cndmask_b32_e64 v70, v70, v98, s25
	v_cndmask_b32_e64 v69, v69, v99, s22
	;; [unrolled: 1-line block ×4, first 2 shown]
	s_waitcnt lgkmcnt(1)
	v_lshrrev_b32_e32 v95, 16, v87
	v_cndmask_b32_e64 v70, v70, v85, s26
	v_cndmask_b32_e64 v71, v84, v97, s27
	;; [unrolled: 1-line block ×4, first 2 shown]
	v_cndmask_b32_e32 v84, v87, v95, vcc_lo
	v_cndmask_b32_e64 v70, v70, v99, s28
	s_waitcnt lgkmcnt(0)
	v_lshrrev_b32_e32 v85, 16, v91
	v_lshrrev_b32_e32 v96, 16, v88
	v_cndmask_b32_e64 v98, v87, v95, s3
	v_cndmask_b32_e64 v84, v84, v88, s4
	;; [unrolled: 1-line block ×3, first 2 shown]
	v_cndmask_b32_e32 v99, v91, v85, vcc_lo
	v_cmp_eq_u32_e32 vcc_lo, 7, v81
	v_cndmask_b32_e64 v66, v66, v72, s29
	v_cndmask_b32_e64 v72, v84, v96, s7
	;; [unrolled: 1-line block ×3, first 2 shown]
	v_lshrrev_b32_e32 v98, 16, v92
	v_cndmask_b32_e32 v70, v70, v100, vcc_lo
	v_cndmask_b32_e64 v86, v99, v92, s4
	v_cndmask_b32_e64 v69, v69, v100, s27
	v_lshrrev_b32_e32 v100, 16, v93
	v_cndmask_b32_e64 v72, v72, v89, s9
	v_lshrrev_b32_e32 v99, 16, v89
	v_cndmask_b32_e64 v86, v86, v98, s7
	v_perm_b32 v71, v69, v71, 0x5040100
	v_cndmask_b32_e64 v84, v84, v96, s8
	s_delay_alu instid0(VALU_DEP_3) | instskip(NEXT) | instid1(VALU_DEP_2)
	v_cndmask_b32_e64 v86, v86, v93, s9
	v_cndmask_b32_e64 v84, v84, v89, s11
	s_delay_alu instid0(VALU_DEP_2) | instskip(NEXT) | instid1(VALU_DEP_1)
	v_cndmask_b32_e64 v86, v86, v100, s10
	v_cndmask_b32_e64 v69, v86, v94, s12
	;; [unrolled: 1-line block ×5, first 2 shown]
	s_delay_alu instid0(VALU_DEP_3) | instskip(NEXT) | instid1(VALU_DEP_3)
	v_cndmask_b32_e64 v86, v86, v88, s17
	v_cndmask_b32_e64 v87, v87, v88, s23
	s_delay_alu instid0(VALU_DEP_3) | instskip(NEXT) | instid1(VALU_DEP_3)
	v_cndmask_b32_e64 v88, v95, v92, s23
	v_cndmask_b32_e64 v86, v86, v96, s19
	;; [unrolled: 3-line block ×7, first 2 shown]
	s_delay_alu instid0(VALU_DEP_3) | instskip(SKIP_2) | instid1(VALU_DEP_2)
	v_cndmask_b32_e64 v88, v88, v94, s29
	v_cndmask_b32_e32 v66, v66, v97, vcc_lo
	v_cndmask_b32_e64 v97, v72, v99, s10
	v_perm_b32 v72, v70, v66, 0x5040100
	v_perm_b32 v70, v83, v103, 0x5040100
	v_cndmask_b32_e64 v103, v91, v85, s5
	v_cndmask_b32_e64 v85, v91, v85, s3
	;; [unrolled: 1-line block ×4, first 2 shown]
	v_lshrrev_b32_e32 v97, 16, v90
	v_cndmask_b32_e64 v91, v103, v92, s17
	v_cndmask_b32_e64 v85, v85, v92, s6
	;; [unrolled: 1-line block ×3, first 2 shown]
	s_mov_b32 s3, exec_lo
	v_cndmask_b32_e64 v83, v84, v97, s15
	v_cndmask_b32_e64 v91, v91, v98, s19
	;; [unrolled: 1-line block ×3, first 2 shown]
	v_lshrrev_b32_e32 v84, 16, v94
	v_cndmask_b32_e64 v66, v66, v97, s18
	v_cndmask_b32_e64 v90, v86, v97, s27
	v_cndmask_b32_e64 v89, v91, v93, s20
	v_cndmask_b32_e64 v85, v85, v93, s11
	v_dual_cndmask_b32 v86, v87, v97 :: v_dual_cndmask_b32 v87, v88, v84
	v_cndmask_b32_e64 v91, v69, v84, s15
	s_delay_alu instid0(VALU_DEP_4) | instskip(NEXT) | instid1(VALU_DEP_4)
	v_cndmask_b32_e64 v89, v89, v100, s22
	v_cndmask_b32_e64 v85, v85, v100, s13
	v_perm_b32 v69, v102, v101, 0x5040100
	v_perm_b32 v86, v87, v86, 0x5040100
	;; [unrolled: 1-line block ×3, first 2 shown]
	v_cndmask_b32_e64 v89, v89, v94, s24
	v_cndmask_b32_e64 v85, v85, v94, s16
	s_mul_i32 s8, s35, 6
	s_delay_alu instid0(VALU_DEP_2) | instskip(NEXT) | instid1(VALU_DEP_2)
	v_cndmask_b32_e64 v88, v89, v84, s27
	v_cndmask_b32_e64 v89, v85, v84, s18
	s_delay_alu instid0(VALU_DEP_2) | instskip(NEXT) | instid1(VALU_DEP_2)
	v_perm_b32 v85, v88, v90, 0x5040100
	v_perm_b32 v84, v89, v66, 0x5040100
	ds_store_b128 v76, v[69:72]
	ds_store_b128 v76, v[83:86] offset:1024
	v_cmpx_gt_u32_e32 6, v0
	s_cbranch_execz .LBB1731_78
; %bb.77:
	s_mul_i32 s4, s8, s30
	s_delay_alu instid0(SALU_CYCLE_1) | instskip(SKIP_1) | instid1(VALU_DEP_1)
	v_add3_u32 v69, s4, s31, v65
	s_load_b128 s[4:7], s[0:1], 0x58
	v_mad_u64_u32 v[65:66], null, v69, s34, s[14:15]
	s_delay_alu instid0(VALU_DEP_1) | instskip(NEXT) | instid1(VALU_DEP_1)
	v_ashrrev_i32_e32 v66, 31, v65
	v_lshlrev_b64 v[65:66], 2, v[65:66]
	s_waitcnt lgkmcnt(0)
	s_delay_alu instid0(VALU_DEP_1) | instskip(NEXT) | instid1(VALU_DEP_2)
	v_add_co_u32 v69, vcc_lo, s6, v65
	v_add_co_ci_u32_e32 v70, vcc_lo, s7, v66, vcc_lo
	v_add_co_u32 v65, vcc_lo, s4, v65
	v_add_co_ci_u32_e32 v66, vcc_lo, s5, v66, vcc_lo
	global_store_b32 v[69:70], v67, off
	global_store_b32 v[65:66], v68, off
.LBB1731_78:
	s_or_b32 exec_lo, exec_lo, s3
	s_waitcnt lgkmcnt(0)
	s_waitcnt_vscnt null, 0x0
	s_barrier
	buffer_gl0_inv
	ds_load_b128 v[83:86], v80
	ds_load_b128 v[87:90], v80 offset:16
	ds_load_b128 v[95:98], v80 offset:2064
	;; [unrolled: 1-line block ×3, first 2 shown]
	v_mov_b32_e32 v65, 0
	ds_load_b128 v[103:106], v80 offset:4112
	ds_load_b128 v[99:102], v80 offset:4096
	;; [unrolled: 1-line block ×4, first 2 shown]
	v_mov_b32_e32 v66, v65
	v_mov_b32_e32 v67, v65
	;; [unrolled: 1-line block ×7, first 2 shown]
	s_waitcnt lgkmcnt(6)
	s_delay_alu instid0(VALU_DEP_1)
	v_wmma_f32_16x16x16_bf16 v[65:72], v[57:64], v[83:90], v[65:72]
	ds_load_b128 v[61:64], v80 offset:8208
	ds_load_b128 v[57:60], v80 offset:8192
	s_waitcnt lgkmcnt(6)
	v_wmma_f32_16x16x16_bf16 v[65:72], v[41:48], v[91:98], v[65:72]
	ds_load_b128 v[45:48], v80 offset:10256
	ds_load_b128 v[41:44], v80 offset:10240
	s_waitcnt lgkmcnt(6)
	;; [unrolled: 4-line block ×4, first 2 shown]
	v_wmma_f32_16x16x16_bf16 v[65:72], v[1:8], v[57:64], v[65:72]
	s_waitcnt lgkmcnt(4)
	s_delay_alu instid0(VALU_DEP_1) | instskip(SKIP_1) | instid1(VALU_DEP_1)
	v_wmma_f32_16x16x16_bf16 v[65:72], v[9:16], v[41:48], v[65:72]
	s_waitcnt lgkmcnt(2)
	v_wmma_f32_16x16x16_bf16 v[65:72], v[17:24], v[33:40], v[65:72]
	s_waitcnt lgkmcnt(0)
	s_delay_alu instid0(VALU_DEP_1) | instskip(NEXT) | instid1(VALU_DEP_1)
	v_wmma_f32_16x16x16_bf16 v[65:72], v[49:56], v[25:32], v[65:72]
	v_and_b32_e32 v1, 0x7f800000, v65
	s_delay_alu instid0(VALU_DEP_1) | instskip(SKIP_1) | instid1(SALU_CYCLE_1)
	v_cmp_ne_u32_e32 vcc_lo, 0x7f800000, v1
                                        ; implicit-def: $vgpr1
	s_and_saveexec_b32 s3, vcc_lo
	s_xor_b32 s3, exec_lo, s3
; %bb.79:
	v_bfe_u32 v1, v65, 16, 1
	s_delay_alu instid0(VALU_DEP_1)
	v_add3_u32 v1, v65, v1, 0x7fff
; %bb.80:
	s_and_not1_saveexec_b32 s3, s3
; %bb.81:
	v_and_b32_e32 v1, 0xffff, v65
	v_or_b32_e32 v2, 0x10000, v65
	s_delay_alu instid0(VALU_DEP_2) | instskip(NEXT) | instid1(VALU_DEP_2)
	v_cmp_eq_u32_e32 vcc_lo, 0, v1
	v_cndmask_b32_e32 v1, v2, v65, vcc_lo
; %bb.82:
	s_or_b32 exec_lo, exec_lo, s3
	v_and_b32_e32 v2, 0x7f800000, v66
	s_delay_alu instid0(VALU_DEP_1) | instskip(SKIP_1) | instid1(SALU_CYCLE_1)
	v_cmp_ne_u32_e32 vcc_lo, 0x7f800000, v2
                                        ; implicit-def: $vgpr2
	s_and_saveexec_b32 s3, vcc_lo
	s_xor_b32 s3, exec_lo, s3
; %bb.83:
	v_bfe_u32 v2, v66, 16, 1
	s_delay_alu instid0(VALU_DEP_1)
	v_add3_u32 v2, v66, v2, 0x7fff
; %bb.84:
	s_and_not1_saveexec_b32 s3, s3
; %bb.85:
	v_and_b32_e32 v2, 0xffff, v66
	v_or_b32_e32 v3, 0x10000, v66
	s_delay_alu instid0(VALU_DEP_2) | instskip(NEXT) | instid1(VALU_DEP_2)
	v_cmp_eq_u32_e32 vcc_lo, 0, v2
	v_cndmask_b32_e32 v2, v3, v66, vcc_lo
; %bb.86:
	s_or_b32 exec_lo, exec_lo, s3
	v_and_b32_e32 v3, 0x7f800000, v67
	s_delay_alu instid0(VALU_DEP_1) | instskip(SKIP_1) | instid1(SALU_CYCLE_1)
	v_cmp_ne_u32_e32 vcc_lo, 0x7f800000, v3
                                        ; implicit-def: $vgpr3
	s_and_saveexec_b32 s3, vcc_lo
	s_xor_b32 s3, exec_lo, s3
; %bb.87:
	v_bfe_u32 v3, v67, 16, 1
	s_delay_alu instid0(VALU_DEP_1)
	v_add3_u32 v3, v67, v3, 0x7fff
; %bb.88:
	s_and_not1_saveexec_b32 s3, s3
; %bb.89:
	v_and_b32_e32 v3, 0xffff, v67
	v_or_b32_e32 v4, 0x10000, v67
	s_delay_alu instid0(VALU_DEP_2) | instskip(NEXT) | instid1(VALU_DEP_2)
	v_cmp_eq_u32_e32 vcc_lo, 0, v3
	v_cndmask_b32_e32 v3, v4, v67, vcc_lo
; %bb.90:
	s_or_b32 exec_lo, exec_lo, s3
	v_and_b32_e32 v4, 0x7f800000, v68
	s_delay_alu instid0(VALU_DEP_1) | instskip(SKIP_1) | instid1(SALU_CYCLE_1)
	v_cmp_ne_u32_e32 vcc_lo, 0x7f800000, v4
                                        ; implicit-def: $vgpr4
	s_and_saveexec_b32 s3, vcc_lo
	s_xor_b32 s3, exec_lo, s3
; %bb.91:
	v_bfe_u32 v4, v68, 16, 1
	s_delay_alu instid0(VALU_DEP_1)
	v_add3_u32 v4, v68, v4, 0x7fff
; %bb.92:
	s_and_not1_saveexec_b32 s3, s3
; %bb.93:
	v_and_b32_e32 v4, 0xffff, v68
	v_or_b32_e32 v5, 0x10000, v68
	s_delay_alu instid0(VALU_DEP_2) | instskip(NEXT) | instid1(VALU_DEP_2)
	v_cmp_eq_u32_e32 vcc_lo, 0, v4
	v_cndmask_b32_e32 v4, v5, v68, vcc_lo
; %bb.94:
	s_or_b32 exec_lo, exec_lo, s3
	v_and_b32_e32 v5, 0x7f800000, v69
	s_delay_alu instid0(VALU_DEP_1) | instskip(SKIP_1) | instid1(SALU_CYCLE_1)
	v_cmp_ne_u32_e32 vcc_lo, 0x7f800000, v5
                                        ; implicit-def: $vgpr5
	s_and_saveexec_b32 s3, vcc_lo
	s_xor_b32 s3, exec_lo, s3
; %bb.95:
	v_bfe_u32 v5, v69, 16, 1
	s_delay_alu instid0(VALU_DEP_1)
	v_add3_u32 v5, v69, v5, 0x7fff
; %bb.96:
	s_and_not1_saveexec_b32 s3, s3
; %bb.97:
	v_and_b32_e32 v5, 0xffff, v69
	v_or_b32_e32 v6, 0x10000, v69
	s_delay_alu instid0(VALU_DEP_2) | instskip(NEXT) | instid1(VALU_DEP_2)
	v_cmp_eq_u32_e32 vcc_lo, 0, v5
	v_cndmask_b32_e32 v5, v6, v69, vcc_lo
; %bb.98:
	s_or_b32 exec_lo, exec_lo, s3
	v_and_b32_e32 v6, 0x7f800000, v70
	s_delay_alu instid0(VALU_DEP_1) | instskip(SKIP_1) | instid1(SALU_CYCLE_1)
	v_cmp_ne_u32_e32 vcc_lo, 0x7f800000, v6
                                        ; implicit-def: $vgpr6
	s_and_saveexec_b32 s3, vcc_lo
	s_xor_b32 s3, exec_lo, s3
; %bb.99:
	v_bfe_u32 v6, v70, 16, 1
	s_delay_alu instid0(VALU_DEP_1)
	v_add3_u32 v6, v70, v6, 0x7fff
; %bb.100:
	s_and_not1_saveexec_b32 s3, s3
; %bb.101:
	v_and_b32_e32 v6, 0xffff, v70
	v_or_b32_e32 v7, 0x10000, v70
	s_delay_alu instid0(VALU_DEP_2) | instskip(NEXT) | instid1(VALU_DEP_2)
	v_cmp_eq_u32_e32 vcc_lo, 0, v6
	v_cndmask_b32_e32 v6, v7, v70, vcc_lo
; %bb.102:
	s_or_b32 exec_lo, exec_lo, s3
	v_and_b32_e32 v7, 0x7f800000, v71
	s_delay_alu instid0(VALU_DEP_1) | instskip(SKIP_1) | instid1(SALU_CYCLE_1)
	v_cmp_ne_u32_e32 vcc_lo, 0x7f800000, v7
                                        ; implicit-def: $vgpr7
	s_and_saveexec_b32 s3, vcc_lo
	s_xor_b32 s3, exec_lo, s3
; %bb.103:
	v_bfe_u32 v7, v71, 16, 1
	s_delay_alu instid0(VALU_DEP_1)
	v_add3_u32 v7, v71, v7, 0x7fff
; %bb.104:
	s_and_not1_saveexec_b32 s3, s3
; %bb.105:
	v_and_b32_e32 v7, 0xffff, v71
	v_or_b32_e32 v8, 0x10000, v71
	s_delay_alu instid0(VALU_DEP_2) | instskip(NEXT) | instid1(VALU_DEP_2)
	v_cmp_eq_u32_e32 vcc_lo, 0, v7
	v_cndmask_b32_e32 v7, v8, v71, vcc_lo
; %bb.106:
	s_or_b32 exec_lo, exec_lo, s3
	v_and_b32_e32 v8, 0x7f800000, v72
	s_delay_alu instid0(VALU_DEP_1) | instskip(SKIP_1) | instid1(SALU_CYCLE_1)
	v_cmp_ne_u32_e32 vcc_lo, 0x7f800000, v8
                                        ; implicit-def: $vgpr8
	s_and_saveexec_b32 s3, vcc_lo
	s_xor_b32 s3, exec_lo, s3
; %bb.107:
	v_bfe_u32 v8, v72, 16, 1
	s_delay_alu instid0(VALU_DEP_1)
	v_add3_u32 v8, v72, v8, 0x7fff
                                        ; implicit-def: $vgpr65_vgpr66_vgpr67_vgpr68_vgpr69_vgpr70_vgpr71_vgpr72
; %bb.108:
	s_and_not1_saveexec_b32 s3, s3
; %bb.109:
	v_and_b32_e32 v8, 0xffff, v72
	v_or_b32_e32 v9, 0x10000, v72
	s_delay_alu instid0(VALU_DEP_2) | instskip(NEXT) | instid1(VALU_DEP_2)
	v_cmp_eq_u32_e32 vcc_lo, 0, v8
	v_cndmask_b32_e32 v8, v9, v72, vcc_lo
; %bb.110:
	s_or_b32 exec_lo, exec_lo, s3
	s_delay_alu instid0(VALU_DEP_1)
	v_perm_b32 v7, v8, v7, 0x7060302
	v_perm_b32 v6, v6, v5, 0x7060302
	;; [unrolled: 1-line block ×4, first 2 shown]
	s_barrier
	buffer_gl0_inv
	v_cmp_eq_u32_e32 vcc_lo, 1, v78
	ds_store_b128 v76, v[4:7]
	s_waitcnt lgkmcnt(0)
	s_barrier
	buffer_gl0_inv
	ds_load_b128 v[1:4], v82
	ds_load_b128 v[5:8], v82 offset:16
	v_cmp_eq_u32_e64 s3, 1, v79
	v_cmp_eq_u32_e64 s4, 2, v78
	;; [unrolled: 1-line block ×5, first 2 shown]
	s_waitcnt lgkmcnt(1)
	v_lshrrev_b32_e32 v9, 16, v1
	s_waitcnt lgkmcnt(0)
	v_lshrrev_b32_e32 v13, 16, v5
	v_lshrrev_b32_e32 v10, 16, v2
	;; [unrolled: 1-line block ×4, first 2 shown]
	v_cndmask_b32_e64 v19, v1, v9, s3
	v_cndmask_b32_e32 v18, v5, v13, vcc_lo
	v_cndmask_b32_e64 v20, v5, v13, s3
	v_cndmask_b32_e32 v17, v1, v9, vcc_lo
	v_cmp_eq_u32_e32 vcc_lo, 2, v79
	v_lshrrev_b32_e32 v15, 16, v7
	v_cmp_eq_u32_e64 s3, 1, v77
	v_lshrrev_b32_e32 v12, 16, v4
	v_lshrrev_b32_e32 v16, 16, v8
	v_cndmask_b32_e32 v20, v20, v6, vcc_lo
	v_cndmask_b32_e64 v17, v17, v2, s4
	v_cndmask_b32_e32 v19, v19, v2, vcc_lo
	v_cndmask_b32_e64 v18, v18, v6, s4
	v_cmp_eq_u32_e32 vcc_lo, 4, v78
	v_cmp_eq_u32_e64 s4, 3, v79
	v_cndmask_b32_e64 v17, v17, v10, s5
	v_cndmask_b32_e64 v21, v1, v9, s3
	;; [unrolled: 1-line block ×5, first 2 shown]
	v_cndmask_b32_e32 v17, v17, v3, vcc_lo
	v_cndmask_b32_e64 v20, v20, v14, s4
	v_cndmask_b32_e32 v18, v18, v7, vcc_lo
	v_cmp_eq_u32_e32 vcc_lo, 4, v79
	v_cmp_eq_u32_e64 s4, 5, v79
	v_cmp_eq_u32_e64 s3, 2, v81
	v_cndmask_b32_e64 v21, v21, v2, s7
	v_cmp_eq_u32_e64 s5, 5, v78
	v_cndmask_b32_e32 v19, v19, v3, vcc_lo
	v_cndmask_b32_e32 v20, v20, v7, vcc_lo
	v_cmp_eq_u32_e32 vcc_lo, 6, v79
	s_delay_alu instid0(VALU_DEP_4) | instskip(NEXT) | instid1(VALU_DEP_4)
	v_cndmask_b32_e64 v17, v17, v11, s5
	v_cndmask_b32_e64 v19, v19, v11, s4
	s_delay_alu instid0(VALU_DEP_4) | instskip(SKIP_1) | instid1(VALU_DEP_3)
	v_cndmask_b32_e64 v20, v20, v15, s4
	v_cmp_eq_u32_e64 s4, 1, v81
	v_cndmask_b32_e32 v19, v19, v4, vcc_lo
	v_cndmask_b32_e64 v18, v18, v15, s5
	s_delay_alu instid0(VALU_DEP_3)
	v_cndmask_b32_e64 v1, v1, v9, s4
	v_cndmask_b32_e64 v5, v5, v13, s4
	v_cmp_eq_u32_e64 s4, 3, v77
	v_cndmask_b32_e64 v13, v22, v6, s7
	v_cmp_eq_u32_e64 s7, 3, v81
	v_cndmask_b32_e64 v1, v1, v2, s3
	v_cndmask_b32_e64 v2, v5, v6, s3
	;; [unrolled: 1-line block ×3, first 2 shown]
	v_cmp_eq_u32_e64 s3, 4, v77
	v_cndmask_b32_e64 v6, v13, v14, s4
	v_cndmask_b32_e64 v1, v1, v10, s7
	v_cmp_eq_u32_e64 s4, 4, v81
	v_cndmask_b32_e64 v2, v2, v14, s7
	v_cndmask_b32_e64 v5, v9, v3, s3
	;; [unrolled: 3-line block ×3, first 2 shown]
	v_cndmask_b32_e64 v2, v2, v7, s4
	v_cmp_eq_u32_e64 s3, 5, v81
	v_cmp_eq_u32_e64 s5, 6, v78
	v_cndmask_b32_e64 v5, v5, v11, s7
	v_cmp_eq_u32_e64 s4, 6, v77
	v_cndmask_b32_e64 v3, v6, v15, s7
	v_cndmask_b32_e64 v1, v1, v11, s3
	v_cmp_eq_u32_e64 s7, 6, v81
	v_cndmask_b32_e64 v2, v2, v15, s3
	v_cndmask_b32_e64 v17, v17, v4, s5
	v_cndmask_b32_e64 v18, v18, v8, s5
	v_cmp_eq_u32_e64 s5, 7, v78
	v_cndmask_b32_e64 v5, v5, v4, s4
	;; [unrolled: 4-line block ×3, first 2 shown]
	v_cmp_eq_u32_e64 s4, 7, v77
	v_cndmask_b32_e32 v4, v20, v8, vcc_lo
	v_cndmask_b32_e64 v17, v17, v12, s5
	v_cndmask_b32_e64 v19, v19, v12, s6
	;; [unrolled: 1-line block ×8, first 2 shown]
	v_cmp_gt_u32_e32 vcc_lo, 32, v0
	v_perm_b32 v4, v2, v1, 0x5040100
	v_perm_b32 v3, v3, v5, 0x5040100
	;; [unrolled: 1-line block ×4, first 2 shown]
	s_and_b32 s2, vcc_lo, s2
	ds_store_b128 v76, v[1:4]
	s_waitcnt lgkmcnt(0)
	s_barrier
	buffer_gl0_inv
	s_and_saveexec_b32 s3, s2
	s_cbranch_execz .LBB1731_2
; %bb.111:
	s_load_b64 s[0:1], s[0:1], 0x68
	s_lshl_b32 s4, s34, 6
	v_or_b32_e32 v3, s31, v74
	s_mul_i32 s2, s4, s30
	v_lshlrev_b32_e32 v0, 10, v0
	s_mul_i32 s2, s2, s8
	v_lshlrev_b32_e32 v1, 4, v75
	s_ashr_i32 s3, s2, 31
	v_mul_lo_u32 v12, v3, s4
	s_lshl_b64 s[2:3], s[2:3], 1
	v_lshlrev_b32_e32 v2, 6, v74
	v_and_b32_e32 v0, 0x3800, v0
	s_delay_alu instid0(VALU_DEP_1) | instskip(NEXT) | instid1(VALU_DEP_4)
	v_or3_b32 v8, v0, v1, v2
	v_ashrrev_i32_e32 v13, 31, v12
	ds_load_b128 v[0:3], v8
	ds_load_b128 v[4:7], v8 offset:128
	ds_load_b128 v[8:11], v8 offset:256
	s_waitcnt lgkmcnt(0)
	s_add_u32 s2, s0, s2
	s_addc_u32 s3, s1, s3
	s_lshl_b32 s0, s14, 6
	s_delay_alu instid0(SALU_CYCLE_1) | instskip(NEXT) | instid1(SALU_CYCLE_1)
	s_ashr_i32 s1, s0, 31
	s_lshl_b64 s[0:1], s[0:1], 1
	s_delay_alu instid0(SALU_CYCLE_1)
	s_add_u32 s0, s2, s0
	s_addc_u32 s1, s3, s1
	s_lshl_b32 s2, s34, 7
	v_add_co_u32 v18, s0, s0, v73
	v_add_nc_u32_e32 v14, s2, v12
	v_lshlrev_b64 v[12:13], 1, v[12:13]
	v_add_co_ci_u32_e64 v19, null, s1, 0, s0
	s_delay_alu instid0(VALU_DEP_3) | instskip(SKIP_1) | instid1(VALU_DEP_4)
	v_add_nc_u32_e32 v16, s2, v14
	v_ashrrev_i32_e32 v15, 31, v14
	v_add_co_u32 v12, vcc_lo, v18, v12
	s_delay_alu instid0(VALU_DEP_4) | instskip(NEXT) | instid1(VALU_DEP_4)
	v_add_co_ci_u32_e32 v13, vcc_lo, v19, v13, vcc_lo
	v_ashrrev_i32_e32 v17, 31, v16
	s_delay_alu instid0(VALU_DEP_4) | instskip(NEXT) | instid1(VALU_DEP_2)
	v_lshlrev_b64 v[14:15], 1, v[14:15]
	v_lshlrev_b64 v[16:17], 1, v[16:17]
	s_delay_alu instid0(VALU_DEP_2) | instskip(NEXT) | instid1(VALU_DEP_3)
	v_add_co_u32 v14, vcc_lo, v18, v14
	v_add_co_ci_u32_e32 v15, vcc_lo, v19, v15, vcc_lo
	s_delay_alu instid0(VALU_DEP_3) | instskip(NEXT) | instid1(VALU_DEP_4)
	v_add_co_u32 v16, vcc_lo, v18, v16
	v_add_co_ci_u32_e32 v17, vcc_lo, v19, v17, vcc_lo
	s_clause 0x2
	global_store_b128 v[12:13], v[0:3], off
	global_store_b128 v[14:15], v[4:7], off
	global_store_b128 v[16:17], v[8:11], off
	s_nop 0
	s_sendmsg sendmsg(MSG_DEALLOC_VGPRS)
	s_endpgm
	.section	.rodata,"a",@progbits
	.p2align	6, 0x0
	.amdhsa_kernel _Z39paged_attention_ll4mi_QKV_mfma16_kernelI14__hip_bfloat16hLN4vllm18Fp8KVCacheDataTypeE1EhLi32ELi64ELi256ELb1ELi6EL8MFMAType0EEvPKT_PKT0_S9_ifPKiSB_SB_iPKfiiiPfSE_PS4_PT2_iSD_SD_
		.amdhsa_group_segment_fixed_size 17472
		.amdhsa_private_segment_fixed_size 0
		.amdhsa_kernarg_size 400
		.amdhsa_user_sgpr_count 13
		.amdhsa_user_sgpr_dispatch_ptr 0
		.amdhsa_user_sgpr_queue_ptr 0
		.amdhsa_user_sgpr_kernarg_segment_ptr 1
		.amdhsa_user_sgpr_dispatch_id 0
		.amdhsa_user_sgpr_private_segment_size 0
		.amdhsa_wavefront_size32 1
		.amdhsa_uses_dynamic_stack 0
		.amdhsa_enable_private_segment 0
		.amdhsa_system_sgpr_workgroup_id_x 1
		.amdhsa_system_sgpr_workgroup_id_y 1
		.amdhsa_system_sgpr_workgroup_id_z 1
		.amdhsa_system_sgpr_workgroup_info 0
		.amdhsa_system_vgpr_workitem_id 0
		.amdhsa_next_free_vgpr 124
		.amdhsa_next_free_sgpr 40
		.amdhsa_reserve_vcc 1
		.amdhsa_float_round_mode_32 0
		.amdhsa_float_round_mode_16_64 0
		.amdhsa_float_denorm_mode_32 3
		.amdhsa_float_denorm_mode_16_64 3
		.amdhsa_dx10_clamp 1
		.amdhsa_ieee_mode 1
		.amdhsa_fp16_overflow 0
		.amdhsa_workgroup_processor_mode 1
		.amdhsa_memory_ordered 1
		.amdhsa_forward_progress 0
		.amdhsa_shared_vgpr_count 0
		.amdhsa_exception_fp_ieee_invalid_op 0
		.amdhsa_exception_fp_denorm_src 0
		.amdhsa_exception_fp_ieee_div_zero 0
		.amdhsa_exception_fp_ieee_overflow 0
		.amdhsa_exception_fp_ieee_underflow 0
		.amdhsa_exception_fp_ieee_inexact 0
		.amdhsa_exception_int_div_zero 0
	.end_amdhsa_kernel
	.section	.text._Z39paged_attention_ll4mi_QKV_mfma16_kernelI14__hip_bfloat16hLN4vllm18Fp8KVCacheDataTypeE1EhLi32ELi64ELi256ELb1ELi6EL8MFMAType0EEvPKT_PKT0_S9_ifPKiSB_SB_iPKfiiiPfSE_PS4_PT2_iSD_SD_,"axG",@progbits,_Z39paged_attention_ll4mi_QKV_mfma16_kernelI14__hip_bfloat16hLN4vllm18Fp8KVCacheDataTypeE1EhLi32ELi64ELi256ELb1ELi6EL8MFMAType0EEvPKT_PKT0_S9_ifPKiSB_SB_iPKfiiiPfSE_PS4_PT2_iSD_SD_,comdat
.Lfunc_end1731:
	.size	_Z39paged_attention_ll4mi_QKV_mfma16_kernelI14__hip_bfloat16hLN4vllm18Fp8KVCacheDataTypeE1EhLi32ELi64ELi256ELb1ELi6EL8MFMAType0EEvPKT_PKT0_S9_ifPKiSB_SB_iPKfiiiPfSE_PS4_PT2_iSD_SD_, .Lfunc_end1731-_Z39paged_attention_ll4mi_QKV_mfma16_kernelI14__hip_bfloat16hLN4vllm18Fp8KVCacheDataTypeE1EhLi32ELi64ELi256ELb1ELi6EL8MFMAType0EEvPKT_PKT0_S9_ifPKiSB_SB_iPKfiiiPfSE_PS4_PT2_iSD_SD_
                                        ; -- End function
	.section	.AMDGPU.csdata,"",@progbits
; Kernel info:
; codeLenInByte = 8760
; NumSgprs: 42
; NumVgprs: 124
; ScratchSize: 0
; MemoryBound: 0
; FloatMode: 240
; IeeeMode: 1
; LDSByteSize: 17472 bytes/workgroup (compile time only)
; SGPRBlocks: 5
; VGPRBlocks: 15
; NumSGPRsForWavesPerEU: 42
; NumVGPRsForWavesPerEU: 124
; Occupancy: 10
; WaveLimiterHint : 1
; COMPUTE_PGM_RSRC2:SCRATCH_EN: 0
; COMPUTE_PGM_RSRC2:USER_SGPR: 13
; COMPUTE_PGM_RSRC2:TRAP_HANDLER: 0
; COMPUTE_PGM_RSRC2:TGID_X_EN: 1
; COMPUTE_PGM_RSRC2:TGID_Y_EN: 1
; COMPUTE_PGM_RSRC2:TGID_Z_EN: 1
; COMPUTE_PGM_RSRC2:TIDIG_COMP_CNT: 0
	.section	.text._Z39paged_attention_ll4mi_QKV_mfma16_kernelI14__hip_bfloat16hLN4vllm18Fp8KVCacheDataTypeE1EhLi32ELi64ELi256ELb1ELi7EL8MFMAType0EEvPKT_PKT0_S9_ifPKiSB_SB_iPKfiiiPfSE_PS4_PT2_iSD_SD_,"axG",@progbits,_Z39paged_attention_ll4mi_QKV_mfma16_kernelI14__hip_bfloat16hLN4vllm18Fp8KVCacheDataTypeE1EhLi32ELi64ELi256ELb1ELi7EL8MFMAType0EEvPKT_PKT0_S9_ifPKiSB_SB_iPKfiiiPfSE_PS4_PT2_iSD_SD_,comdat
	.protected	_Z39paged_attention_ll4mi_QKV_mfma16_kernelI14__hip_bfloat16hLN4vllm18Fp8KVCacheDataTypeE1EhLi32ELi64ELi256ELb1ELi7EL8MFMAType0EEvPKT_PKT0_S9_ifPKiSB_SB_iPKfiiiPfSE_PS4_PT2_iSD_SD_ ; -- Begin function _Z39paged_attention_ll4mi_QKV_mfma16_kernelI14__hip_bfloat16hLN4vllm18Fp8KVCacheDataTypeE1EhLi32ELi64ELi256ELb1ELi7EL8MFMAType0EEvPKT_PKT0_S9_ifPKiSB_SB_iPKfiiiPfSE_PS4_PT2_iSD_SD_
	.globl	_Z39paged_attention_ll4mi_QKV_mfma16_kernelI14__hip_bfloat16hLN4vllm18Fp8KVCacheDataTypeE1EhLi32ELi64ELi256ELb1ELi7EL8MFMAType0EEvPKT_PKT0_S9_ifPKiSB_SB_iPKfiiiPfSE_PS4_PT2_iSD_SD_
	.p2align	8
	.type	_Z39paged_attention_ll4mi_QKV_mfma16_kernelI14__hip_bfloat16hLN4vllm18Fp8KVCacheDataTypeE1EhLi32ELi64ELi256ELb1ELi7EL8MFMAType0EEvPKT_PKT0_S9_ifPKiSB_SB_iPKfiiiPfSE_PS4_PT2_iSD_SD_,@function
_Z39paged_attention_ll4mi_QKV_mfma16_kernelI14__hip_bfloat16hLN4vllm18Fp8KVCacheDataTypeE1EhLi32ELi64ELi256ELb1ELi7EL8MFMAType0EEvPKT_PKT0_S9_ifPKiSB_SB_iPKfiiiPfSE_PS4_PT2_iSD_SD_: ; @_Z39paged_attention_ll4mi_QKV_mfma16_kernelI14__hip_bfloat16hLN4vllm18Fp8KVCacheDataTypeE1EhLi32ELi64ELi256ELb1ELi7EL8MFMAType0EEvPKT_PKT0_S9_ifPKiSB_SB_iPKfiiiPfSE_PS4_PT2_iSD_SD_
; %bb.0:
	s_load_b64 s[2:3], s[0:1], 0x30
	s_mov_b32 s34, s13
	s_waitcnt lgkmcnt(0)
	s_cmp_lg_u64 s[2:3], 0
	s_cselect_b32 s8, -1, 0
	s_ashr_i32 s35, s13, 31
	s_cmp_eq_u64 s[2:3], 0
	s_cbranch_scc1 .LBB1732_3
; %bb.1:
	s_lshl_b64 s[4:5], s[34:35], 2
	s_delay_alu instid0(SALU_CYCLE_1) | instskip(SKIP_4) | instid1(SALU_CYCLE_1)
	s_add_u32 s4, s2, s4
	s_addc_u32 s5, s3, s5
	s_load_b64 s[4:5], s[4:5], 0x0
	s_waitcnt lgkmcnt(0)
	s_sub_i32 s4, s5, s4
	s_cmp_eq_u32 s4, 1
	s_cselect_b32 s4, -1, 0
	s_delay_alu instid0(SALU_CYCLE_1)
	s_and_not1_b32 vcc_lo, exec_lo, s4
	s_cbranch_vccz .LBB1732_4
.LBB1732_2:
	s_nop 0
	s_sendmsg sendmsg(MSG_DEALLOC_VGPRS)
	s_endpgm
.LBB1732_3:
.LBB1732_4:
	s_load_b64 s[4:5], s[0:1], 0x28
	s_lshl_b64 s[6:7], s[34:35], 2
	s_waitcnt lgkmcnt(0)
	s_add_u32 s4, s4, s6
	s_addc_u32 s5, s5, s7
	s_lshl_b32 s12, s14, 8
	s_load_b32 s24, s[4:5], 0x0
	s_waitcnt lgkmcnt(0)
	s_cmp_ge_i32 s12, s24
	s_cbranch_scc1 .LBB1732_2
; %bb.5:
	s_clause 0x1
	s_load_b128 s[20:23], s[0:1], 0x8
	s_load_b64 s[4:5], s[0:1], 0x20
	s_and_not1_b32 vcc_lo, exec_lo, s8
	s_cbranch_vccnz .LBB1732_7
; %bb.6:
	s_add_u32 s2, s2, s6
	s_addc_u32 s3, s3, s7
	s_load_b32 s3, s[2:3], 0x0
	s_branch .LBB1732_8
.LBB1732_7:
	s_mov_b32 s3, s34
.LBB1732_8:
	s_load_b128 s[16:19], s[0:1], 0x48
	v_lshrrev_b32_e32 v66, 5, v0
	v_bfe_u32 v74, v0, 4, 1
	v_and_b32_e32 v65, 15, v0
	v_and_b32_e32 v67, 31, v0
	;; [unrolled: 1-line block ×3, first 2 shown]
	s_mul_i32 s31, s15, 7
	v_lshl_or_b32 v1, v66, 1, v74
	v_lshlrev_b32_e32 v2, 3, v65
	v_cmp_gt_u32_e64 s2, 8, v65
	s_delay_alu instid0(VALU_DEP_3) | instskip(NEXT) | instid1(VALU_DEP_3)
	v_cmp_gt_u32_e32 vcc_lo, 7, v1
	v_lshlrev_b32_e32 v73, 1, v2
	s_delay_alu instid0(VALU_DEP_3) | instskip(NEXT) | instid1(SALU_CYCLE_1)
	s_and_b32 s7, s2, vcc_lo
	s_and_saveexec_b32 s6, s7
	s_cbranch_execz .LBB1732_10
; %bb.9:
	s_load_b64 s[8:9], s[0:1], 0x0
	v_add_lshl_u32 v2, v1, s31, 6
	s_waitcnt lgkmcnt(0)
	s_mul_hi_i32 s11, s3, s16
	s_mul_i32 s10, s3, s16
	v_lshlrev_b32_e32 v6, 10, v65
	s_lshl_b64 s[10:11], s[10:11], 1
	v_ashrrev_i32_e32 v3, 31, v2
	v_lshlrev_b32_e32 v1, 6, v1
	v_lshlrev_b32_e32 v7, 10, v75
	v_and_b32_e32 v6, 0x3800, v6
	s_delay_alu instid0(VALU_DEP_4) | instskip(NEXT) | instid1(VALU_DEP_2)
	v_lshlrev_b64 v[2:3], 1, v[2:3]
	v_or3_b32 v1, v6, v7, v1
	s_add_u32 s3, s8, s10
	s_addc_u32 s7, s9, s11
	s_delay_alu instid0(VALU_DEP_2) | instskip(NEXT) | instid1(VALU_DEP_3)
	v_add_co_u32 v2, vcc_lo, s3, v2
	v_add_co_ci_u32_e32 v3, vcc_lo, s7, v3, vcc_lo
	s_delay_alu instid0(VALU_DEP_2) | instskip(NEXT) | instid1(VALU_DEP_2)
	v_add_co_u32 v2, vcc_lo, v2, v73
	v_add_co_ci_u32_e32 v3, vcc_lo, 0, v3, vcc_lo
	global_load_b128 v[2:5], v[2:3], off
	s_waitcnt vmcnt(0)
	ds_store_b128 v1, v[2:5]
.LBB1732_10:
	s_or_b32 exec_lo, exec_lo, s6
	v_and_b32_e32 v1, 0xef, v0
	s_waitcnt lgkmcnt(0)
	s_add_i32 s3, s24, 31
	s_clause 0x1
	s_load_b32 s6, s[0:1], 0x38
	s_load_b32 s19, s[0:1], 0x1c
	s_ashr_i32 s7, s3, 31
	v_add_nc_u32_e32 v1, s12, v1
	s_lshr_b32 s7, s7, 27
	s_waitcnt lgkmcnt(0)
	s_add_i32 s3, s3, s7
	s_barrier
	v_ashrrev_i32_e32 v2, 31, v1
	v_or_b32_e32 v3, 16, v1
	s_ashr_i32 s3, s3, 5
	v_cmp_gt_i32_e32 vcc_lo, s24, v1
	s_add_i32 s3, s3, -1
	v_lshrrev_b32_e32 v2, 27, v2
	buffer_gl0_inv
	s_mul_i32 s27, s15, s18
	v_add_nc_u32_e32 v4, v1, v2
	s_mul_i32 s6, s34, s6
	s_delay_alu instid0(SALU_CYCLE_1) | instskip(NEXT) | instid1(VALU_DEP_1)
	s_ashr_i32 s7, s6, 31
	v_ashrrev_i32_e32 v4, 5, v4
	v_add_nc_u32_e32 v2, v3, v2
	s_lshl_b64 s[6:7], s[6:7], 2
	s_delay_alu instid0(SALU_CYCLE_1) | instskip(NEXT) | instid1(VALU_DEP_2)
	s_add_u32 s26, s4, s6
	v_cndmask_b32_e32 v1, s3, v4, vcc_lo
	s_delay_alu instid0(VALU_DEP_2)
	v_ashrrev_i32_e32 v2, 5, v2
	v_cmp_gt_i32_e32 vcc_lo, s24, v3
	s_addc_u32 s25, s5, s7
	s_ashr_i32 s28, s27, 31
	s_add_u32 s4, s20, s27
	s_addc_u32 s5, s21, s28
	v_cndmask_b32_e32 v3, s3, v2, vcc_lo
	v_ashrrev_i32_e32 v2, 31, v1
	s_lshl_b32 s6, s14, 3
	s_delay_alu instid0(SALU_CYCLE_1) | instskip(NEXT) | instid1(VALU_DEP_2)
	s_ashr_i32 s7, s6, 31
	v_ashrrev_i32_e32 v4, 31, v3
	s_delay_alu instid0(VALU_DEP_2) | instskip(SKIP_1) | instid1(SALU_CYCLE_1)
	v_lshlrev_b64 v[1:2], 2, v[1:2]
	s_lshl_b64 s[6:7], s[6:7], 2
	s_add_u32 s6, s26, s6
	s_delay_alu instid0(VALU_DEP_2) | instskip(SKIP_1) | instid1(VALU_DEP_2)
	v_lshlrev_b64 v[3:4], 2, v[3:4]
	s_addc_u32 s7, s25, s7
	v_add_co_u32 v1, vcc_lo, s26, v1
	v_add_co_ci_u32_e32 v2, vcc_lo, s25, v2, vcc_lo
	s_delay_alu instid0(VALU_DEP_3) | instskip(NEXT) | instid1(VALU_DEP_4)
	v_add_co_u32 v3, vcc_lo, s26, v3
	v_add_co_ci_u32_e32 v4, vcc_lo, s25, v4, vcc_lo
	s_clause 0x1
	global_load_b32 v5, v[1:2], off
	global_load_b32 v6, v[3:4], off
	s_or_b32 s8, s12, 32
	s_delay_alu instid0(SALU_CYCLE_1) | instskip(SKIP_2) | instid1(SALU_CYCLE_1)
	s_ashr_i32 s9, s8, 5
	s_cmp_lt_i32 s8, s24
	s_cselect_b32 s8, s9, s3
	s_ashr_i32 s9, s8, 31
	s_delay_alu instid0(SALU_CYCLE_1) | instskip(NEXT) | instid1(SALU_CYCLE_1)
	s_lshl_b64 s[8:9], s[8:9], 2
	s_add_u32 s8, s26, s8
	s_addc_u32 s9, s25, s9
	s_or_b32 s10, s12, 64
	s_delay_alu instid0(SALU_CYCLE_1) | instskip(SKIP_2) | instid1(SALU_CYCLE_1)
	s_ashr_i32 s11, s10, 5
	s_cmp_lt_i32 s10, s24
	s_cselect_b32 s10, s11, s3
	s_ashr_i32 s11, s10, 31
	s_delay_alu instid0(SALU_CYCLE_1) | instskip(NEXT) | instid1(SALU_CYCLE_1)
	s_lshl_b64 s[10:11], s[10:11], 2
	s_add_u32 s10, s26, s10
	s_addc_u32 s11, s25, s11
	;; [unrolled: 10-line block ×5, first 2 shown]
	s_clause 0x5
	s_load_b32 s21, s[6:7], 0x0
	s_load_b32 s13, s[8:9], 0x0
	;; [unrolled: 1-line block ×6, first 2 shown]
	s_or_b32 s9, s12, 0xc0
	s_delay_alu instid0(SALU_CYCLE_1) | instskip(SKIP_2) | instid1(SALU_CYCLE_1)
	s_ashr_i32 s10, s9, 5
	s_cmp_lt_i32 s9, s24
	s_cselect_b32 s36, s10, s3
	s_ashr_i32 s37, s36, 31
	s_delay_alu instid0(SALU_CYCLE_1) | instskip(NEXT) | instid1(SALU_CYCLE_1)
	s_lshl_b64 s[36:37], s[36:37], 2
	s_add_u32 s36, s26, s36
	s_addc_u32 s37, s25, s37
	s_or_b32 s29, s12, 0xe0
	s_delay_alu instid0(SALU_CYCLE_1)
	s_ashr_i32 s30, s29, 5
	s_cmp_lt_i32 s29, s24
	s_waitcnt vmcnt(1)
	v_mad_i64_i32 v[1:2], null, v5, s17, s[4:5]
	s_waitcnt vmcnt(0)
	v_mad_i64_i32 v[3:4], null, v6, s17, s[4:5]
	s_mov_b32 s4, 0
	s_delay_alu instid0(SALU_CYCLE_1)
	s_mov_b32 s5, s4
	s_mov_b32 s6, s4
	;; [unrolled: 1-line block ×7, first 2 shown]
	v_lshlrev_b32_e32 v5, 4, v65
	v_dual_mov_b32 v107, s11 :: v_dual_mov_b32 v102, s6
	v_mov_b32_e32 v106, s10
	v_mov_b32_e32 v104, s8
	s_delay_alu instid0(VALU_DEP_4)
	v_add_co_u32 v1, vcc_lo, v1, v5
	v_add_co_ci_u32_e32 v2, vcc_lo, 0, v2, vcc_lo
	v_add_co_u32 v3, vcc_lo, v3, v5
	v_add_co_ci_u32_e32 v4, vcc_lo, 0, v4, vcc_lo
	s_clause 0x7
	global_load_b128 v[49:52], v[1:2], off
	global_load_b128 v[53:56], v[1:2], off offset:512
	global_load_b128 v[76:79], v[3:4], off offset:256
	;; [unrolled: 1-line block ×7, first 2 shown]
	v_mul_lo_u16 v1, v65, 37
	v_mov_b32_e32 v103, s7
	v_dual_mov_b32 v101, s5 :: v_dual_lshlrev_b32 v2, 5, v65
	v_mov_b32_e32 v100, s4
	s_delay_alu instid0(VALU_DEP_4) | instskip(NEXT) | instid1(VALU_DEP_3)
	v_lshrrev_b16 v1, 8, v1
	v_lshl_or_b32 v2, v66, 9, v2
	s_delay_alu instid0(VALU_DEP_2) | instskip(NEXT) | instid1(VALU_DEP_1)
	v_mul_lo_u16 v1, v1, 7
	v_sub_nc_u16 v1, v65, v1
	s_delay_alu instid0(VALU_DEP_1)
	v_and_b32_e32 v1, 0xff, v1
	v_mov_b32_e32 v105, s9
	s_cselect_b32 s4, s30, s3
	s_load_b32 s3, s[36:37], 0x0
	s_ashr_i32 s5, s4, 31
	v_lshlrev_b32_e32 v70, 6, v1
	s_lshl_b64 s[4:5], s[4:5], 2
	ds_load_b128 v[108:111], v70
	ds_load_b128 v[112:115], v70 offset:1024
	s_add_u32 s4, s26, s4
	s_addc_u32 s5, s25, s5
	s_add_u32 s6, s22, s27
	s_load_b32 s4, s[4:5], 0x0
	s_addc_u32 s7, s23, s28
	v_add_co_u32 v9, s6, s6, v2
	s_delay_alu instid0(VALU_DEP_1) | instskip(SKIP_1) | instid1(VALU_DEP_1)
	v_add_co_ci_u32_e64 v10, null, s7, 0, s6
	s_waitcnt lgkmcnt(0)
	v_mad_i64_i32 v[1:2], null, s21, s17, v[9:10]
	v_mad_i64_i32 v[3:4], null, s13, s17, v[9:10]
	;; [unrolled: 1-line block ×7, first 2 shown]
	s_clause 0x9
	global_load_b128 v[57:60], v[1:2], off
	global_load_b128 v[61:64], v[1:2], off offset:16
	global_load_b128 v[41:44], v[3:4], off
	global_load_b128 v[45:48], v[3:4], off offset:16
	;; [unrolled: 2-line block ×5, first 2 shown]
	v_mad_i64_i32 v[68:69], null, s4, s17, v[9:10]
	s_clause 0x3
	global_load_b128 v[9:12], v[13:14], off
	global_load_b128 v[13:16], v[13:14], off offset:16
	global_load_b128 v[17:20], v[21:22], off
	global_load_b128 v[21:24], v[21:22], off offset:16
	s_waitcnt vmcnt(20)
	v_wmma_f32_16x16x16_bf16 v[116:123], v[49:56], v[108:115], v[100:107]
	s_clause 0x1
	global_load_b128 v[49:52], v[68:69], off
	global_load_b128 v[53:56], v[68:69], off offset:16
	v_and_b32_e32 v68, 0xe0, v0
	v_mbcnt_lo_u32_b32 v69, -1, 0
	s_delay_alu instid0(VALU_DEP_2)
	v_add_nc_u32_e32 v68, s12, v68
	s_waitcnt vmcnt(20)
	v_wmma_f32_16x16x16_bf16 v[100:107], v[76:83], v[108:115], v[100:107]
	ds_load_b128 v[76:79], v70 offset:2048
	ds_load_b128 v[80:83], v70 offset:3072
	v_xor_b32_e32 v70, 16, v69
	s_waitcnt vmcnt(0) lgkmcnt(0)
	v_or_b32_e32 v68, v68, v74
	s_barrier
	buffer_gl0_inv
	v_cmp_gt_i32_e32 vcc_lo, 32, v70
	v_or_b32_e32 v71, 4, v68
	v_or_b32_e32 v72, 6, v68
	v_cmp_gt_i32_e64 s3, s24, v68
	v_or_b32_e32 v108, 8, v68
	v_or_b32_e32 v109, 10, v68
	v_cmp_gt_i32_e64 s4, s24, v71
	v_cmp_gt_i32_e64 s5, s24, v72
	s_delay_alu instid0(VALU_DEP_4) | instskip(NEXT) | instid1(VALU_DEP_4)
	v_cmp_gt_i32_e64 s6, s24, v108
	v_cmp_gt_i32_e64 s7, s24, v109
	v_wmma_f32_16x16x16_bf16 v[116:123], v[84:91], v[76:83], v[116:123]
	v_cndmask_b32_e32 v69, v69, v70, vcc_lo
	v_or_b32_e32 v70, 2, v68
	v_wmma_f32_16x16x16_bf16 v[100:107], v[92:99], v[76:83], v[100:107]
	v_or_b32_e32 v84, 12, v68
	v_dual_mul_f32 v78, s19, v123 :: v_dual_mul_f32 v83, s19, v118
	v_dual_mul_f32 v92, s19, v117 :: v_dual_mul_f32 v93, s19, v116
	s_delay_alu instid0(VALU_DEP_4) | instskip(SKIP_2) | instid1(VALU_DEP_4)
	v_mul_f32_e32 v94, s19, v107
	v_cmp_gt_i32_e32 vcc_lo, s24, v70
	v_dual_mul_f32 v81, s19, v120 :: v_dual_mul_f32 v82, s19, v119
	v_cndmask_b32_e64 v93, 0xff7fffff, v93, s3
	v_or_b32_e32 v85, 14, v68
	v_cndmask_b32_e32 v92, 0xff7fffff, v92, vcc_lo
	v_dual_mul_f32 v79, s19, v122 :: v_dual_mul_f32 v80, s19, v121
	v_cndmask_b32_e64 v71, 0xff7fffff, v83, s4
	v_cndmask_b32_e64 v72, 0xff7fffff, v82, s5
	s_delay_alu instid0(VALU_DEP_4)
	v_max3_f32 v82, v93, 0xff7fffff, v92
	v_or_b32_e32 v86, 16, v68
	v_or_b32_e32 v87, 18, v68
	v_cndmask_b32_e64 v81, 0xff7fffff, v81, s6
	v_cndmask_b32_e64 v80, 0xff7fffff, v80, s7
	v_max3_f32 v71, v82, v71, v72
	v_cmp_gt_i32_e64 s8, s24, v84
	v_cmp_gt_i32_e64 s9, s24, v85
	v_or_b32_e32 v88, 20, v68
	v_or_b32_e32 v89, 22, v68
	;; [unrolled: 1-line block ×6, first 2 shown]
	v_dual_mul_f32 v99, s19, v102 :: v_dual_mul_f32 v70, s19, v101
	v_mul_f32_e32 v68, s19, v100
	v_cndmask_b32_e64 v72, 0xff7fffff, v79, s8
	v_cndmask_b32_e64 v78, 0xff7fffff, v78, s9
	v_max3_f32 v71, v71, v81, v80
	v_cmp_gt_i32_e64 s10, s24, v86
	v_cmp_gt_i32_e64 s11, s24, v87
	v_dual_mul_f32 v97, s19, v104 :: v_dual_mul_f32 v98, s19, v103
	s_delay_alu instid0(VALU_DEP_4) | instskip(SKIP_1) | instid1(VALU_DEP_4)
	v_max3_f32 v71, v71, v72, v78
	v_cmp_gt_i32_e64 s12, s24, v88
	v_cndmask_b32_e64 v70, 0xff7fffff, v70, s11
	v_cmp_gt_i32_e64 s13, s24, v89
	v_lshlrev_b32_e32 v89, 2, v69
	v_cndmask_b32_e64 v68, 0xff7fffff, v68, s10
	v_dual_mul_f32 v95, s19, v106 :: v_dual_mul_f32 v96, s19, v105
	v_cndmask_b32_e64 v72, 0xff7fffff, v99, s12
	v_cndmask_b32_e64 v78, 0xff7fffff, v98, s13
	s_delay_alu instid0(VALU_DEP_4)
	v_max3_f32 v68, v71, v68, v70
	v_cmp_gt_i32_e64 s15, s24, v90
	v_cmp_gt_i32_e64 s16, s24, v91
	;; [unrolled: 1-line block ×4, first 2 shown]
	v_max3_f32 v68, v68, v72, v78
	v_cndmask_b32_e64 v70, 0xff7fffff, v97, s15
	v_cndmask_b32_e64 v71, 0xff7fffff, v96, s16
	;; [unrolled: 1-line block ×4, first 2 shown]
	s_delay_alu instid0(VALU_DEP_3) | instskip(NEXT) | instid1(VALU_DEP_1)
	v_max3_f32 v68, v68, v70, v71
	v_max3_f32 v68, v68, v72, v76
	ds_bpermute_b32 v69, v89, v68
	s_waitcnt lgkmcnt(0)
	v_max_f32_e32 v69, v69, v69
	s_delay_alu instid0(VALU_DEP_1) | instskip(NEXT) | instid1(VALU_DEP_1)
	v_max_f32_e32 v68, v68, v69
	v_fma_f32 v71, s19, v118, -v68
	s_delay_alu instid0(VALU_DEP_1)
	v_mul_f32_e32 v71, 0x3fb8aa3b, v71
	v_fma_f32 v69, s19, v116, -v68
	v_fma_f32 v70, s19, v117, -v68
	;; [unrolled: 1-line block ×4, first 2 shown]
	v_exp_f32_e32 v71, v71
	s_delay_alu instid0(VALU_DEP_3) | instskip(SKIP_2) | instid1(VALU_DEP_3)
	v_dual_mul_f32 v69, 0x3fb8aa3b, v69 :: v_dual_mul_f32 v70, 0x3fb8aa3b, v70
	v_fma_f32 v78, s19, v122, -v68
	v_fma_f32 v81, s19, v105, -v68
	v_exp_f32_e32 v69, v69
	s_delay_alu instid0(VALU_DEP_3) | instskip(SKIP_1) | instid1(VALU_DEP_2)
	v_exp_f32_e32 v70, v70
	v_mul_f32_e32 v77, 0x3fb8aa3b, v76
	v_mul_f32_e32 v81, 0x3fb8aa3b, v81
	s_delay_alu instid0(TRANS32_DEP_3) | instskip(SKIP_1) | instid1(VALU_DEP_3)
	v_cndmask_b32_e64 v83, 0, v71, s4
	v_fma_f32 v71, s19, v123, -v68
	v_exp_f32_e32 v81, v81
	s_delay_alu instid0(TRANS32_DEP_3) | instskip(NEXT) | instid1(TRANS32_DEP_2)
	v_cndmask_b32_e64 v80, 0, v69, s3
	v_cndmask_b32_e32 v76, 0, v70, vcc_lo
	v_fma_f32 v69, s19, v121, -v68
	v_mul_f32_e32 v72, 0x3fb8aa3b, v72
	v_exp_f32_e32 v77, v77
	v_dual_add_f32 v70, 0, v80 :: v_dual_mul_f32 v71, 0x3fb8aa3b, v71
	s_delay_alu instid0(VALU_DEP_3) | instskip(NEXT) | instid1(VALU_DEP_3)
	v_mul_f32_e32 v69, 0x3fb8aa3b, v69
	v_exp_f32_e32 v72, v72
	v_cmp_gt_u32_e64 s3, 16, v67
	s_delay_alu instid0(VALU_DEP_3) | instskip(NEXT) | instid1(VALU_DEP_2)
	v_exp_f32_e32 v71, v71
	v_exp_f32_e32 v69, v69
	v_cndmask_b32_e64 v86, 0, v77, s6
	v_fma_f32 v77, s19, v101, -v68
	v_add_f32_e32 v70, v70, v76
	s_delay_alu instid0(TRANS32_DEP_3) | instskip(SKIP_1) | instid1(VALU_DEP_3)
	v_cndmask_b32_e64 v85, 0, v72, s5
	v_fma_f32 v72, s19, v100, -v68
	v_dual_mul_f32 v77, 0x3fb8aa3b, v77 :: v_dual_add_f32 v70, v70, v83
	s_delay_alu instid0(TRANS32_DEP_2) | instskip(SKIP_1) | instid1(TRANS32_DEP_1)
	v_cndmask_b32_e64 v88, 0, v71, s9
	v_fma_f32 v71, s19, v104, -v68
	v_cndmask_b32_e64 v87, 0, v69, s7
	s_delay_alu instid0(VALU_DEP_4) | instskip(NEXT) | instid1(VALU_DEP_2)
	v_exp_f32_e32 v77, v77
	v_dual_add_f32 v70, v70, v85 :: v_dual_mul_f32 v71, 0x3fb8aa3b, v71
	s_delay_alu instid0(VALU_DEP_1) | instskip(SKIP_2) | instid1(VALU_DEP_3)
	v_dual_mul_f32 v72, 0x3fb8aa3b, v72 :: v_dual_add_f32 v69, v70, v86
	v_mul_f32_e32 v78, 0x3fb8aa3b, v78
	v_fma_f32 v70, s19, v102, -v68
	v_exp_f32_e32 v72, v72
	v_exp_f32_e32 v82, v71
	v_add_f32_e32 v69, v69, v87
	v_exp_f32_e32 v78, v78
	v_mul_f32_e32 v70, 0x3fb8aa3b, v70
	s_delay_alu instid0(VALU_DEP_1) | instskip(SKIP_4) | instid1(VALU_DEP_2)
	v_exp_f32_e32 v79, v70
	v_cndmask_b32_e64 v70, 0, v72, s10
	s_waitcnt_depctr 0xfff
	v_cndmask_b32_e64 v84, 0, v78, s8
	v_fma_f32 v78, s19, v103, -v68
	v_add_f32_e32 v69, v69, v84
	v_cndmask_b32_e64 v71, 0, v79, s12
	s_delay_alu instid0(VALU_DEP_2) | instskip(SKIP_2) | instid1(VALU_DEP_1)
	v_add_f32_e32 v72, v69, v88
	v_cndmask_b32_e64 v69, 0, v77, s11
	v_fma_f32 v77, s19, v106, -v68
	v_dual_mul_f32 v77, 0x3fb8aa3b, v77 :: v_dual_add_f32 v72, v72, v70
	v_mul_f32_e32 v78, 0x3fb8aa3b, v78
	s_delay_alu instid0(VALU_DEP_2) | instskip(NEXT) | instid1(VALU_DEP_2)
	v_exp_f32_e32 v90, v77
	v_add_f32_e32 v79, v72, v69
	s_delay_alu instid0(VALU_DEP_2)
	v_exp_f32_e32 v78, v78
	v_cndmask_b32_e64 v77, 0, v82, s15
	s_waitcnt_depctr 0xfff
	v_cndmask_b32_e64 v72, 0, v78, s13
	v_add_f32_e32 v78, v79, v71
	v_fma_f32 v79, s19, v107, -v68
	s_delay_alu instid0(VALU_DEP_1) | instskip(SKIP_1) | instid1(VALU_DEP_2)
	v_dual_add_f32 v82, v78, v72 :: v_dual_mul_f32 v79, 0x3fb8aa3b, v79
	v_cndmask_b32_e64 v78, 0, v81, s16
	v_add_f32_e32 v81, v82, v77
	s_delay_alu instid0(VALU_DEP_3) | instskip(SKIP_1) | instid1(VALU_DEP_2)
	v_exp_f32_e32 v82, v79
	v_cndmask_b32_e64 v79, 0, v90, s17
	v_add_f32_e32 v81, v81, v78
	s_delay_alu instid0(VALU_DEP_1) | instskip(SKIP_2) | instid1(VALU_DEP_1)
	v_add_f32_e32 v90, v81, v79
	s_waitcnt_depctr 0xfff
	v_cndmask_b32_e64 v81, 0, v82, s18
	v_add_f32_e32 v82, v90, v81
	ds_bpermute_b32 v89, v89, v82
	s_and_saveexec_b32 s4, s3
	s_cbranch_execz .LBB1732_12
; %bb.11:
	v_mul_u32_u24_e32 v67, 0x44, v66
	s_delay_alu instid0(VALU_DEP_1) | instskip(SKIP_1) | instid1(VALU_DEP_1)
	v_lshl_add_u32 v67, v65, 2, v67
	s_waitcnt lgkmcnt(0)
	v_dual_add_f32 v82, v82, v89 :: v_dual_add_nc_u32 v67, 0x4000, v67
	ds_store_2addr_b32 v67, v68, v82 offset1:136
.LBB1732_12:
	s_or_b32 exec_lo, exec_lo, s4
	v_lshlrev_b32_e32 v67, 2, v65
	s_waitcnt lgkmcnt(0)
	s_barrier
	buffer_gl0_inv
	v_cmp_eq_u32_e32 vcc_lo, 1, v66
	v_add_nc_u32_e32 v82, 0x4000, v67
	v_cmp_eq_u32_e64 s4, 2, v66
	v_cmp_eq_u32_e64 s6, 7, v66
	ds_load_2addr_b32 v[89:90], v82 offset1:17
	ds_load_2addr_b32 v[91:92], v82 offset0:34 offset1:51
	ds_load_2addr_b32 v[93:94], v82 offset0:68 offset1:85
	;; [unrolled: 1-line block ×4, first 2 shown]
	s_waitcnt lgkmcnt(4)
	v_max3_f32 v67, v89, 0xff7fffff, v90
	s_waitcnt lgkmcnt(3)
	s_delay_alu instid0(VALU_DEP_1) | instskip(SKIP_1) | instid1(VALU_DEP_1)
	v_max3_f32 v67, v67, v91, v92
	s_waitcnt lgkmcnt(2)
	v_max3_f32 v67, v67, v93, v94
	s_waitcnt lgkmcnt(1)
	s_delay_alu instid0(VALU_DEP_1) | instskip(NEXT) | instid1(VALU_DEP_1)
	v_max3_f32 v67, v67, v95, v96
	v_sub_f32_e32 v93, v93, v67
	s_delay_alu instid0(VALU_DEP_1) | instskip(NEXT) | instid1(VALU_DEP_1)
	v_dual_sub_f32 v68, v89, v67 :: v_dual_mul_f32 v103, 0x3fb8aa3b, v93
	v_mul_f32_e32 v68, 0x3fb8aa3b, v68
	s_delay_alu instid0(VALU_DEP_1)
	v_exp_f32_e32 v100, v68
	v_sub_f32_e32 v68, v92, v67
	v_sub_f32_e32 v99, v90, v67
	ds_load_2addr_b32 v[89:90], v82 offset0:170 offset1:187
	v_dual_mul_f32 v102, 0x3fb8aa3b, v68 :: v_dual_mul_f32 v99, 0x3fb8aa3b, v99
	s_waitcnt lgkmcnt(1)
	v_fma_f32 v68, v100, v97, 0
	s_delay_alu instid0(VALU_DEP_2) | instskip(NEXT) | instid1(VALU_DEP_2)
	v_exp_f32_e32 v102, v102
	v_exp_f32_e32 v99, v99
	s_waitcnt_depctr 0xfff
	v_fmac_f32_e32 v68, v99, v98
	v_sub_f32_e32 v91, v91, v67
	s_delay_alu instid0(VALU_DEP_1)
	v_mul_f32_e32 v101, 0x3fb8aa3b, v91
	ds_load_2addr_b32 v[91:92], v82 offset0:204 offset1:221
	v_sub_f32_e32 v97, v94, v67
	ds_load_2addr_b32 v[93:94], v82 offset0:238 offset1:255
	s_waitcnt lgkmcnt(0)
	v_exp_f32_e32 v101, v101
	s_barrier
	buffer_gl0_inv
	v_dual_fmac_f32 v68, v101, v89 :: v_dual_sub_f32 v89, v96, v67
	v_dual_sub_f32 v82, v95, v67 :: v_dual_mul_f32 v95, 0x3fb8aa3b, v97
	v_exp_f32_e32 v97, v103
	s_delay_alu instid0(VALU_DEP_2) | instskip(NEXT) | instid1(VALU_DEP_2)
	v_dual_fmac_f32 v68, v102, v90 :: v_dual_mul_f32 v89, 0x3fb8aa3b, v89
	v_mul_f32_e32 v82, 0x3fb8aa3b, v82
	s_delay_alu instid0(VALU_DEP_3) | instskip(NEXT) | instid1(VALU_DEP_2)
	v_exp_f32_e32 v95, v95
	v_exp_f32_e32 v89, v89
	s_delay_alu instid0(VALU_DEP_1)
	v_exp_f32_e32 v82, v82
	v_fmac_f32_e32 v68, v97, v91
	s_delay_alu instid0(TRANS32_DEP_3) | instid1(VALU_DEP_1)
	v_fmac_f32_e32 v68, v95, v92
	s_waitcnt_depctr 0xfff
	v_fmac_f32_e32 v68, v82, v93
	s_delay_alu instid0(VALU_DEP_1) | instskip(NEXT) | instid1(VALU_DEP_1)
	v_fmac_f32_e32 v68, v89, v94
	v_add_f32_e32 v90, 0x358637bd, v68
	s_delay_alu instid0(VALU_DEP_1) | instskip(NEXT) | instid1(VALU_DEP_1)
	v_div_scale_f32 v91, null, v90, v90, 1.0
	v_rcp_f32_e32 v92, v91
	s_waitcnt_depctr 0xfff
	v_fma_f32 v93, -v91, v92, 1.0
	s_delay_alu instid0(VALU_DEP_1) | instskip(SKIP_1) | instid1(VALU_DEP_2)
	v_dual_fmac_f32 v92, v93, v92 :: v_dual_cndmask_b32 v93, v100, v99
	v_cmp_eq_u32_e32 vcc_lo, 3, v66
	v_cndmask_b32_e64 v93, v93, v101, s4
	v_cmp_eq_u32_e64 s4, 4, v66
	s_delay_alu instid0(VALU_DEP_2) | instskip(SKIP_1) | instid1(VALU_DEP_2)
	v_cndmask_b32_e32 v93, v93, v102, vcc_lo
	v_cmp_eq_u32_e32 vcc_lo, 5, v66
	v_cndmask_b32_e64 v93, v93, v97, s4
	v_cmp_eq_u32_e64 s4, 6, v66
	s_delay_alu instid0(VALU_DEP_2) | instskip(SKIP_1) | instid1(VALU_DEP_1)
	v_cndmask_b32_e32 v93, v93, v95, vcc_lo
	v_div_scale_f32 v94, s5, 1.0, v90, 1.0
	s_mov_b32 vcc_lo, s5
	s_delay_alu instid0(VALU_DEP_2) | instskip(NEXT) | instid1(VALU_DEP_2)
	v_cndmask_b32_e64 v82, v93, v82, s4
	v_mul_f32_e32 v96, v94, v92
	s_mov_b32 s4, exec_lo
	s_delay_alu instid0(VALU_DEP_2) | instskip(NEXT) | instid1(VALU_DEP_2)
	v_cndmask_b32_e64 v82, v82, v89, s6
	v_fma_f32 v98, -v91, v96, v94
	s_delay_alu instid0(VALU_DEP_1) | instskip(NEXT) | instid1(VALU_DEP_1)
	v_fmac_f32_e32 v96, v98, v92
	v_fma_f32 v91, -v91, v96, v94
	s_delay_alu instid0(VALU_DEP_1) | instskip(NEXT) | instid1(VALU_DEP_1)
	v_div_fmas_f32 v91, v91, v92, v96
	v_div_fixup_f32 v90, v91, v90, 1.0
	s_delay_alu instid0(VALU_DEP_1) | instskip(NEXT) | instid1(VALU_DEP_1)
	v_mul_f32_e32 v82, v82, v90
	v_mul_f32_e32 v87, v82, v87
	;; [unrolled: 1-line block ×7, first 2 shown]
	v_dual_mul_f32 v86, v82, v83 :: v_dual_and_b32 v91, 0x7f800000, v90
	v_mul_f32_e32 v85, v82, v76
                                        ; implicit-def: $vgpr76
	s_delay_alu instid0(VALU_DEP_2)
	v_cmpx_ne_u32_e32 0x7f800000, v91
	s_xor_b32 s4, exec_lo, s4
; %bb.13:
	v_bfe_u32 v76, v90, 16, 1
	s_delay_alu instid0(VALU_DEP_1)
	v_add3_u32 v76, v90, v76, 0x7fff
                                        ; implicit-def: $vgpr90
; %bb.14:
	s_and_not1_saveexec_b32 s4, s4
; %bb.15:
	v_and_b32_e32 v76, 0xffff, v90
	v_or_b32_e32 v83, 0x10000, v90
	s_delay_alu instid0(VALU_DEP_2) | instskip(NEXT) | instid1(VALU_DEP_2)
	v_cmp_eq_u32_e32 vcc_lo, 0, v76
	v_cndmask_b32_e32 v76, v83, v90, vcc_lo
; %bb.16:
	s_or_b32 exec_lo, exec_lo, s4
	v_and_b32_e32 v83, 0x7f800000, v85
	s_delay_alu instid0(VALU_DEP_1) | instskip(SKIP_1) | instid1(SALU_CYCLE_1)
	v_cmp_ne_u32_e32 vcc_lo, 0x7f800000, v83
                                        ; implicit-def: $vgpr83
	s_and_saveexec_b32 s4, vcc_lo
	s_xor_b32 s4, exec_lo, s4
; %bb.17:
	v_bfe_u32 v83, v85, 16, 1
	s_delay_alu instid0(VALU_DEP_1)
	v_add3_u32 v83, v85, v83, 0x7fff
                                        ; implicit-def: $vgpr85
; %bb.18:
	s_and_not1_saveexec_b32 s4, s4
; %bb.19:
	v_and_b32_e32 v83, 0xffff, v85
	v_or_b32_e32 v90, 0x10000, v85
	s_delay_alu instid0(VALU_DEP_2) | instskip(NEXT) | instid1(VALU_DEP_2)
	v_cmp_eq_u32_e32 vcc_lo, 0, v83
	v_cndmask_b32_e32 v83, v90, v85, vcc_lo
; %bb.20:
	s_or_b32 exec_lo, exec_lo, s4
	v_and_b32_e32 v85, 0x7f800000, v86
	s_delay_alu instid0(VALU_DEP_1) | instskip(SKIP_1) | instid1(SALU_CYCLE_1)
	v_cmp_ne_u32_e32 vcc_lo, 0x7f800000, v85
                                        ; implicit-def: $vgpr85
	s_and_saveexec_b32 s4, vcc_lo
	s_xor_b32 s4, exec_lo, s4
; %bb.21:
	v_bfe_u32 v85, v86, 16, 1
	s_delay_alu instid0(VALU_DEP_1)
	v_add3_u32 v85, v86, v85, 0x7fff
                                        ; implicit-def: $vgpr86
; %bb.22:
	s_and_not1_saveexec_b32 s4, s4
; %bb.23:
	v_and_b32_e32 v85, 0xffff, v86
	v_or_b32_e32 v90, 0x10000, v86
	s_delay_alu instid0(VALU_DEP_2) | instskip(NEXT) | instid1(VALU_DEP_2)
	v_cmp_eq_u32_e32 vcc_lo, 0, v85
	v_cndmask_b32_e32 v85, v90, v86, vcc_lo
; %bb.24:
	s_or_b32 exec_lo, exec_lo, s4
	v_and_b32_e32 v86, 0x7f800000, v89
	s_delay_alu instid0(VALU_DEP_1) | instskip(SKIP_1) | instid1(SALU_CYCLE_1)
	v_cmp_ne_u32_e32 vcc_lo, 0x7f800000, v86
                                        ; implicit-def: $vgpr86
	s_and_saveexec_b32 s4, vcc_lo
	s_xor_b32 s4, exec_lo, s4
; %bb.25:
	v_bfe_u32 v86, v89, 16, 1
	s_delay_alu instid0(VALU_DEP_1)
	v_add3_u32 v86, v89, v86, 0x7fff
                                        ; implicit-def: $vgpr89
; %bb.26:
	s_and_not1_saveexec_b32 s4, s4
; %bb.27:
	v_and_b32_e32 v86, 0xffff, v89
	v_or_b32_e32 v90, 0x10000, v89
	s_delay_alu instid0(VALU_DEP_2) | instskip(NEXT) | instid1(VALU_DEP_2)
	v_cmp_eq_u32_e32 vcc_lo, 0, v86
	v_cndmask_b32_e32 v86, v90, v89, vcc_lo
; %bb.28:
	s_or_b32 exec_lo, exec_lo, s4
	v_and_b32_e32 v89, 0x7f800000, v88
	s_delay_alu instid0(VALU_DEP_1) | instskip(SKIP_1) | instid1(SALU_CYCLE_1)
	v_cmp_ne_u32_e32 vcc_lo, 0x7f800000, v89
                                        ; implicit-def: $vgpr89
	s_and_saveexec_b32 s4, vcc_lo
	s_xor_b32 s4, exec_lo, s4
; %bb.29:
	v_bfe_u32 v89, v88, 16, 1
	s_delay_alu instid0(VALU_DEP_1)
	v_add3_u32 v89, v88, v89, 0x7fff
                                        ; implicit-def: $vgpr88
; %bb.30:
	s_and_not1_saveexec_b32 s4, s4
; %bb.31:
	v_and_b32_e32 v89, 0xffff, v88
	v_or_b32_e32 v90, 0x10000, v88
	s_delay_alu instid0(VALU_DEP_2) | instskip(NEXT) | instid1(VALU_DEP_2)
	v_cmp_eq_u32_e32 vcc_lo, 0, v89
	v_cndmask_b32_e32 v89, v90, v88, vcc_lo
; %bb.32:
	s_or_b32 exec_lo, exec_lo, s4
	v_and_b32_e32 v88, 0x7f800000, v87
	s_delay_alu instid0(VALU_DEP_1) | instskip(SKIP_1) | instid1(SALU_CYCLE_1)
	v_cmp_ne_u32_e32 vcc_lo, 0x7f800000, v88
                                        ; implicit-def: $vgpr88
	s_and_saveexec_b32 s4, vcc_lo
	s_xor_b32 s4, exec_lo, s4
; %bb.33:
	v_bfe_u32 v88, v87, 16, 1
	s_delay_alu instid0(VALU_DEP_1)
	v_add3_u32 v88, v87, v88, 0x7fff
                                        ; implicit-def: $vgpr87
; %bb.34:
	s_and_not1_saveexec_b32 s4, s4
; %bb.35:
	v_and_b32_e32 v88, 0xffff, v87
	v_or_b32_e32 v90, 0x10000, v87
	s_delay_alu instid0(VALU_DEP_2) | instskip(NEXT) | instid1(VALU_DEP_2)
	v_cmp_eq_u32_e32 vcc_lo, 0, v88
	v_cndmask_b32_e32 v88, v90, v87, vcc_lo
; %bb.36:
	s_or_b32 exec_lo, exec_lo, s4
	v_and_b32_e32 v87, 0x7f800000, v84
	s_delay_alu instid0(VALU_DEP_1) | instskip(SKIP_1) | instid1(SALU_CYCLE_1)
	v_cmp_ne_u32_e32 vcc_lo, 0x7f800000, v87
                                        ; implicit-def: $vgpr87
	s_and_saveexec_b32 s4, vcc_lo
	s_xor_b32 s4, exec_lo, s4
; %bb.37:
	v_bfe_u32 v87, v84, 16, 1
	s_delay_alu instid0(VALU_DEP_1)
	v_add3_u32 v87, v84, v87, 0x7fff
                                        ; implicit-def: $vgpr84
; %bb.38:
	s_and_not1_saveexec_b32 s4, s4
; %bb.39:
	v_and_b32_e32 v87, 0xffff, v84
	v_or_b32_e32 v90, 0x10000, v84
	s_delay_alu instid0(VALU_DEP_2) | instskip(NEXT) | instid1(VALU_DEP_2)
	v_cmp_eq_u32_e32 vcc_lo, 0, v87
	v_cndmask_b32_e32 v87, v90, v84, vcc_lo
; %bb.40:
	s_or_b32 exec_lo, exec_lo, s4
	v_and_b32_e32 v84, 0x7f800000, v80
	s_delay_alu instid0(VALU_DEP_1) | instskip(SKIP_1) | instid1(SALU_CYCLE_1)
	v_cmp_ne_u32_e32 vcc_lo, 0x7f800000, v84
                                        ; implicit-def: $vgpr84
	s_and_saveexec_b32 s4, vcc_lo
	s_xor_b32 s4, exec_lo, s4
; %bb.41:
	v_bfe_u32 v84, v80, 16, 1
	s_delay_alu instid0(VALU_DEP_1)
	v_add3_u32 v84, v80, v84, 0x7fff
                                        ; implicit-def: $vgpr80
; %bb.42:
	s_and_not1_saveexec_b32 s4, s4
; %bb.43:
	v_and_b32_e32 v84, 0xffff, v80
	v_or_b32_e32 v90, 0x10000, v80
	s_delay_alu instid0(VALU_DEP_2) | instskip(NEXT) | instid1(VALU_DEP_2)
	v_cmp_eq_u32_e32 vcc_lo, 0, v84
	v_cndmask_b32_e32 v84, v90, v80, vcc_lo
; %bb.44:
	s_or_b32 exec_lo, exec_lo, s4
	s_load_b64 s[36:37], s[0:1], 0x94
	v_lshlrev_b32_e32 v91, 4, v74
	s_delay_alu instid0(VALU_DEP_2)
	v_perm_b32 v90, v84, v87, 0x7060302
	v_dual_mul_f32 v79, v82, v79 :: v_dual_lshlrev_b32 v80, 6, v65
	v_dual_mul_f32 v77, v82, v77 :: v_dual_lshlrev_b32 v92, 11, v66
	v_mul_f32_e32 v84, v82, v70
	v_perm_b32 v89, v88, v89, 0x7060302
	v_perm_b32 v88, v86, v85, 0x7060302
	;; [unrolled: 1-line block ×3, first 2 shown]
	v_mul_f32_e32 v70, v82, v81
	v_or3_b32 v76, v91, v92, v80
	v_dual_mul_f32 v78, v82, v78 :: v_dual_and_b32 v85, 0x7f800000, v84
	v_mul_f32_e32 v83, v82, v72
	v_mul_f32_e32 v81, v82, v71
	;; [unrolled: 1-line block ×3, first 2 shown]
	s_mov_b32 s4, exec_lo
	ds_store_b128 v76, v[87:90]
                                        ; implicit-def: $vgpr69
	v_cmpx_ne_u32_e32 0x7f800000, v85
	s_xor_b32 s4, exec_lo, s4
; %bb.45:
	v_bfe_u32 v69, v84, 16, 1
	s_delay_alu instid0(VALU_DEP_1)
	v_add3_u32 v69, v84, v69, 0x7fff
                                        ; implicit-def: $vgpr84
; %bb.46:
	s_and_not1_saveexec_b32 s4, s4
; %bb.47:
	v_and_b32_e32 v69, 0xffff, v84
	v_or_b32_e32 v71, 0x10000, v84
	s_delay_alu instid0(VALU_DEP_2) | instskip(NEXT) | instid1(VALU_DEP_2)
	v_cmp_eq_u32_e32 vcc_lo, 0, v69
	v_cndmask_b32_e32 v69, v71, v84, vcc_lo
; %bb.48:
	s_or_b32 exec_lo, exec_lo, s4
	v_and_b32_e32 v71, 0x7f800000, v72
	s_delay_alu instid0(VALU_DEP_1) | instskip(SKIP_1) | instid1(SALU_CYCLE_1)
	v_cmp_ne_u32_e32 vcc_lo, 0x7f800000, v71
                                        ; implicit-def: $vgpr71
	s_and_saveexec_b32 s4, vcc_lo
	s_xor_b32 s4, exec_lo, s4
; %bb.49:
	v_bfe_u32 v71, v72, 16, 1
	s_delay_alu instid0(VALU_DEP_1)
	v_add3_u32 v71, v72, v71, 0x7fff
                                        ; implicit-def: $vgpr72
; %bb.50:
	s_and_not1_saveexec_b32 s4, s4
; %bb.51:
	v_and_b32_e32 v71, 0xffff, v72
	v_or_b32_e32 v82, 0x10000, v72
	s_delay_alu instid0(VALU_DEP_2) | instskip(NEXT) | instid1(VALU_DEP_2)
	v_cmp_eq_u32_e32 vcc_lo, 0, v71
	v_cndmask_b32_e32 v71, v82, v72, vcc_lo
; %bb.52:
	s_or_b32 exec_lo, exec_lo, s4
	v_and_b32_e32 v72, 0x7f800000, v81
	s_delay_alu instid0(VALU_DEP_1) | instskip(SKIP_1) | instid1(SALU_CYCLE_1)
	v_cmp_ne_u32_e32 vcc_lo, 0x7f800000, v72
                                        ; implicit-def: $vgpr72
	s_and_saveexec_b32 s4, vcc_lo
	s_xor_b32 s4, exec_lo, s4
; %bb.53:
	v_bfe_u32 v72, v81, 16, 1
	s_delay_alu instid0(VALU_DEP_1)
	v_add3_u32 v72, v81, v72, 0x7fff
                                        ; implicit-def: $vgpr81
; %bb.54:
	s_and_not1_saveexec_b32 s4, s4
; %bb.55:
	v_and_b32_e32 v72, 0xffff, v81
	v_or_b32_e32 v82, 0x10000, v81
	s_delay_alu instid0(VALU_DEP_2) | instskip(NEXT) | instid1(VALU_DEP_2)
	v_cmp_eq_u32_e32 vcc_lo, 0, v72
	v_cndmask_b32_e32 v72, v82, v81, vcc_lo
; %bb.56:
	s_or_b32 exec_lo, exec_lo, s4
	v_and_b32_e32 v81, 0x7f800000, v83
	s_delay_alu instid0(VALU_DEP_1) | instskip(SKIP_1) | instid1(SALU_CYCLE_1)
	v_cmp_ne_u32_e32 vcc_lo, 0x7f800000, v81
                                        ; implicit-def: $vgpr81
	s_and_saveexec_b32 s4, vcc_lo
	s_xor_b32 s4, exec_lo, s4
; %bb.57:
	v_bfe_u32 v81, v83, 16, 1
	s_delay_alu instid0(VALU_DEP_1)
	v_add3_u32 v81, v83, v81, 0x7fff
                                        ; implicit-def: $vgpr83
; %bb.58:
	s_and_not1_saveexec_b32 s4, s4
; %bb.59:
	v_and_b32_e32 v81, 0xffff, v83
	v_or_b32_e32 v82, 0x10000, v83
	s_delay_alu instid0(VALU_DEP_2) | instskip(NEXT) | instid1(VALU_DEP_2)
	v_cmp_eq_u32_e32 vcc_lo, 0, v81
	v_cndmask_b32_e32 v81, v82, v83, vcc_lo
; %bb.60:
	s_or_b32 exec_lo, exec_lo, s4
	v_and_b32_e32 v82, 0x7f800000, v77
	s_delay_alu instid0(VALU_DEP_1) | instskip(SKIP_1) | instid1(SALU_CYCLE_1)
	v_cmp_ne_u32_e32 vcc_lo, 0x7f800000, v82
                                        ; implicit-def: $vgpr82
	s_and_saveexec_b32 s4, vcc_lo
	s_xor_b32 s4, exec_lo, s4
; %bb.61:
	v_bfe_u32 v82, v77, 16, 1
	s_delay_alu instid0(VALU_DEP_1)
	v_add3_u32 v82, v77, v82, 0x7fff
                                        ; implicit-def: $vgpr77
; %bb.62:
	s_and_not1_saveexec_b32 s4, s4
; %bb.63:
	v_and_b32_e32 v82, 0xffff, v77
	v_or_b32_e32 v83, 0x10000, v77
	s_delay_alu instid0(VALU_DEP_2) | instskip(NEXT) | instid1(VALU_DEP_2)
	v_cmp_eq_u32_e32 vcc_lo, 0, v82
	v_cndmask_b32_e32 v82, v83, v77, vcc_lo
; %bb.64:
	s_or_b32 exec_lo, exec_lo, s4
	v_and_b32_e32 v77, 0x7f800000, v78
	s_delay_alu instid0(VALU_DEP_1) | instskip(SKIP_1) | instid1(SALU_CYCLE_1)
	v_cmp_ne_u32_e32 vcc_lo, 0x7f800000, v77
                                        ; implicit-def: $vgpr77
	s_and_saveexec_b32 s4, vcc_lo
	s_xor_b32 s4, exec_lo, s4
; %bb.65:
	v_bfe_u32 v77, v78, 16, 1
	s_delay_alu instid0(VALU_DEP_1)
	v_add3_u32 v77, v78, v77, 0x7fff
                                        ; implicit-def: $vgpr78
; %bb.66:
	s_and_not1_saveexec_b32 s4, s4
; %bb.67:
	v_and_b32_e32 v77, 0xffff, v78
	v_or_b32_e32 v83, 0x10000, v78
	s_delay_alu instid0(VALU_DEP_2) | instskip(NEXT) | instid1(VALU_DEP_2)
	v_cmp_eq_u32_e32 vcc_lo, 0, v77
	v_cndmask_b32_e32 v77, v83, v78, vcc_lo
; %bb.68:
	s_or_b32 exec_lo, exec_lo, s4
	v_and_b32_e32 v78, 0x7f800000, v79
	s_delay_alu instid0(VALU_DEP_1) | instskip(SKIP_1) | instid1(SALU_CYCLE_1)
	v_cmp_ne_u32_e32 vcc_lo, 0x7f800000, v78
                                        ; implicit-def: $vgpr78
	s_and_saveexec_b32 s4, vcc_lo
	s_xor_b32 s4, exec_lo, s4
; %bb.69:
	v_bfe_u32 v78, v79, 16, 1
	s_delay_alu instid0(VALU_DEP_1)
	v_add3_u32 v78, v79, v78, 0x7fff
                                        ; implicit-def: $vgpr79
; %bb.70:
	s_and_not1_saveexec_b32 s4, s4
; %bb.71:
	v_and_b32_e32 v78, 0xffff, v79
	v_or_b32_e32 v83, 0x10000, v79
	s_delay_alu instid0(VALU_DEP_2) | instskip(NEXT) | instid1(VALU_DEP_2)
	v_cmp_eq_u32_e32 vcc_lo, 0, v78
	v_cndmask_b32_e32 v78, v83, v79, vcc_lo
; %bb.72:
	s_or_b32 exec_lo, exec_lo, s4
	v_and_b32_e32 v79, 0x7f800000, v70
	s_delay_alu instid0(VALU_DEP_1) | instskip(SKIP_1) | instid1(SALU_CYCLE_1)
	v_cmp_ne_u32_e32 vcc_lo, 0x7f800000, v79
                                        ; implicit-def: $vgpr79
	s_and_saveexec_b32 s4, vcc_lo
	s_xor_b32 s4, exec_lo, s4
; %bb.73:
	v_bfe_u32 v79, v70, 16, 1
	s_delay_alu instid0(VALU_DEP_1)
	v_add3_u32 v79, v70, v79, 0x7fff
                                        ; implicit-def: $vgpr70
; %bb.74:
	s_and_not1_saveexec_b32 s4, s4
; %bb.75:
	v_and_b32_e32 v79, 0xffff, v70
	v_or_b32_e32 v83, 0x10000, v70
	s_delay_alu instid0(VALU_DEP_2) | instskip(NEXT) | instid1(VALU_DEP_2)
	v_cmp_eq_u32_e32 vcc_lo, 0, v79
	v_cndmask_b32_e32 v79, v83, v70, vcc_lo
; %bb.76:
	s_or_b32 exec_lo, exec_lo, s4
	s_delay_alu instid0(VALU_DEP_1)
	v_perm_b32 v86, v79, v78, 0x7060302
	v_perm_b32 v85, v77, v82, 0x7060302
	;; [unrolled: 1-line block ×4, first 2 shown]
	v_lshl_or_b32 v82, v66, 11, v80
	ds_store_b128 v76, v[83:86] offset:1024
	s_waitcnt lgkmcnt(0)
	s_barrier
	buffer_gl0_inv
	ds_load_b128 v[69:72], v82
	ds_load_b128 v[83:86], v82 offset:16
	s_waitcnt lgkmcnt(1)
	v_lshrrev_b32_e32 v66, 16, v69
	s_waitcnt lgkmcnt(0)
	v_lshrrev_b32_e32 v91, 16, v83
	v_lshlrev_b32_e32 v78, 2, v74
	v_lshrrev_b32_e32 v95, 16, v70
	v_lshrrev_b32_e32 v98, 16, v84
	;; [unrolled: 1-line block ×4, first 2 shown]
	v_cmp_eq_u32_e32 vcc_lo, 1, v78
	v_lshrrev_b32_e32 v97, 16, v72
	v_lshrrev_b32_e32 v100, 16, v86
	v_cndmask_b32_e32 v87, v83, v91, vcc_lo
	v_or_b32_e32 v79, 1, v78
	v_cndmask_b32_e32 v81, v69, v66, vcc_lo
	v_cmp_eq_u32_e64 s5, 2, v78
	v_cmp_eq_u32_e64 s8, 3, v78
	;; [unrolled: 1-line block ×5, first 2 shown]
	v_cndmask_b32_e64 v81, v81, v70, s5
	v_cndmask_b32_e64 v87, v87, v84, s5
	v_cmp_eq_u32_e64 s9, 3, v79
	v_cndmask_b32_e64 v88, v69, v66, s4
	v_or_b32_e32 v77, 2, v78
	v_cndmask_b32_e64 v81, v81, v95, s8
	v_cndmask_b32_e64 v87, v87, v98, s8
	;; [unrolled: 1-line block ×4, first 2 shown]
	v_cmp_eq_u32_e64 s11, 5, v78
	v_cndmask_b32_e64 v81, v81, v71, s10
	v_cndmask_b32_e64 v87, v87, v85, s10
	v_cmp_eq_u32_e64 s12, 4, v79
	v_cndmask_b32_e64 v88, v88, v95, s9
	v_cmp_eq_u32_e64 s6, 1, v77
	v_cndmask_b32_e64 v89, v89, v84, s7
	v_cndmask_b32_e64 v81, v81, v96, s11
	v_cmp_eq_u32_e64 s13, 6, v78
	v_cndmask_b32_e64 v88, v88, v71, s12
	;; [unrolled: 3-line block ×3, first 2 shown]
	v_cndmask_b32_e64 v89, v89, v98, s9
	v_cndmask_b32_e64 v81, v81, v72, s13
	v_cmp_eq_u32_e64 s16, 7, v78
	v_cndmask_b32_e64 v88, v88, v96, s15
	v_cndmask_b32_e64 v87, v87, v86, s13
	v_cmp_eq_u32_e64 s17, 6, v79
	v_cmp_eq_u32_e64 s18, 2, v77
	v_cndmask_b32_e64 v89, v89, v85, s12
	v_cndmask_b32_e64 v101, v81, v97, s16
	;; [unrolled: 1-line block ×6, first 2 shown]
	v_cmp_eq_u32_e64 s19, 7, v79
	v_cmp_eq_u32_e64 s20, 3, v77
	;; [unrolled: 1-line block ×4, first 2 shown]
	v_cndmask_b32_e64 v87, v87, v84, s18
	v_cndmask_b32_e64 v103, v88, v97, s19
	;; [unrolled: 1-line block ×4, first 2 shown]
	v_or_b32_e32 v81, 3, v78
	v_cndmask_b32_e64 v93, v87, v98, s20
	v_cmp_eq_u32_e64 s25, 6, v77
	v_cndmask_b32_e64 v104, v88, v86, s17
	v_cndmask_b32_e64 v92, v89, v71, s21
	v_cmp_eq_u32_e64 s22, 1, v81
	ds_load_b128 v[87:90], v82 offset:1024
	v_cmp_eq_u32_e64 s24, 2, v81
	v_cmp_eq_u32_e64 s26, 3, v81
	v_cndmask_b32_e64 v105, v92, v96, s23
	v_cndmask_b32_e64 v66, v69, v66, s22
	;; [unrolled: 1-line block ×4, first 2 shown]
	ds_load_b128 v[91:94], v82 offset:1040
	v_cmp_eq_u32_e64 s27, 4, v81
	v_cndmask_b32_e64 v66, v66, v70, s24
	v_cmp_eq_u32_e64 s28, 7, v77
	v_cndmask_b32_e64 v70, v83, v84, s24
	v_cndmask_b32_e64 v84, v105, v72, s25
	v_cmp_eq_u32_e64 s29, 5, v81
	v_cndmask_b32_e64 v66, v66, v95, s26
	v_cmp_eq_u32_e64 s30, 6, v81
	v_cndmask_b32_e64 v70, v70, v98, s26
	v_cndmask_b32_e64 v69, v69, v99, s23
	;; [unrolled: 1-line block ×4, first 2 shown]
	s_waitcnt lgkmcnt(1)
	v_lshrrev_b32_e32 v95, 16, v87
	v_cndmask_b32_e64 v70, v70, v85, s27
	v_cndmask_b32_e64 v71, v84, v97, s28
	;; [unrolled: 1-line block ×4, first 2 shown]
	v_cndmask_b32_e32 v84, v87, v95, vcc_lo
	v_cndmask_b32_e64 v70, v70, v99, s29
	s_waitcnt lgkmcnt(0)
	v_lshrrev_b32_e32 v85, 16, v91
	v_lshrrev_b32_e32 v96, 16, v88
	v_cndmask_b32_e64 v98, v87, v95, s4
	v_cndmask_b32_e64 v84, v84, v88, s5
	;; [unrolled: 1-line block ×3, first 2 shown]
	v_cndmask_b32_e32 v99, v91, v85, vcc_lo
	v_cmp_eq_u32_e32 vcc_lo, 7, v81
	v_cndmask_b32_e64 v66, v66, v72, s30
	v_cndmask_b32_e64 v72, v84, v96, s8
	;; [unrolled: 1-line block ×3, first 2 shown]
	v_lshrrev_b32_e32 v98, 16, v92
	v_cndmask_b32_e32 v70, v70, v100, vcc_lo
	v_cndmask_b32_e64 v86, v99, v92, s5
	v_cndmask_b32_e64 v69, v69, v100, s28
	v_lshrrev_b32_e32 v100, 16, v93
	v_cndmask_b32_e64 v72, v72, v89, s10
	v_lshrrev_b32_e32 v99, 16, v89
	v_cndmask_b32_e64 v86, v86, v98, s8
	v_perm_b32 v71, v69, v71, 0x5040100
	v_cndmask_b32_e64 v84, v84, v96, s9
	s_delay_alu instid0(VALU_DEP_3) | instskip(NEXT) | instid1(VALU_DEP_2)
	v_cndmask_b32_e64 v86, v86, v93, s10
	v_cndmask_b32_e64 v84, v84, v89, s12
	s_delay_alu instid0(VALU_DEP_2) | instskip(NEXT) | instid1(VALU_DEP_1)
	v_cndmask_b32_e64 v86, v86, v100, s11
	v_cndmask_b32_e64 v69, v86, v94, s13
	;; [unrolled: 1-line block ×5, first 2 shown]
	s_delay_alu instid0(VALU_DEP_3) | instskip(NEXT) | instid1(VALU_DEP_3)
	v_cndmask_b32_e64 v86, v86, v88, s18
	v_cndmask_b32_e64 v87, v87, v88, s24
	s_delay_alu instid0(VALU_DEP_3) | instskip(NEXT) | instid1(VALU_DEP_3)
	v_cndmask_b32_e64 v88, v95, v92, s24
	v_cndmask_b32_e64 v86, v86, v96, s20
	;; [unrolled: 3-line block ×7, first 2 shown]
	s_delay_alu instid0(VALU_DEP_3) | instskip(SKIP_2) | instid1(VALU_DEP_2)
	v_cndmask_b32_e64 v88, v88, v94, s30
	v_cndmask_b32_e32 v66, v66, v97, vcc_lo
	v_cndmask_b32_e64 v97, v72, v99, s11
	v_perm_b32 v72, v70, v66, 0x5040100
	v_perm_b32 v70, v83, v103, 0x5040100
	v_cndmask_b32_e64 v103, v91, v85, s6
	v_cndmask_b32_e64 v85, v91, v85, s4
	;; [unrolled: 1-line block ×4, first 2 shown]
	v_lshrrev_b32_e32 v97, 16, v90
	v_cndmask_b32_e64 v91, v103, v92, s18
	v_cndmask_b32_e64 v85, v85, v92, s7
	;; [unrolled: 1-line block ×3, first 2 shown]
	s_mov_b32 s4, exec_lo
	v_cndmask_b32_e64 v83, v84, v97, s16
	v_cndmask_b32_e64 v91, v91, v98, s20
	;; [unrolled: 1-line block ×3, first 2 shown]
	v_lshrrev_b32_e32 v84, 16, v94
	v_cndmask_b32_e64 v66, v66, v97, s19
	v_cndmask_b32_e64 v90, v86, v97, s28
	;; [unrolled: 1-line block ×4, first 2 shown]
	v_dual_cndmask_b32 v86, v87, v97 :: v_dual_cndmask_b32 v87, v88, v84
	v_cndmask_b32_e64 v91, v69, v84, s16
	s_delay_alu instid0(VALU_DEP_4) | instskip(NEXT) | instid1(VALU_DEP_4)
	v_cndmask_b32_e64 v89, v89, v100, s23
	v_cndmask_b32_e64 v85, v85, v100, s15
	v_perm_b32 v69, v102, v101, 0x5040100
	v_perm_b32 v86, v87, v86, 0x5040100
	v_perm_b32 v83, v91, v83, 0x5040100
	v_cndmask_b32_e64 v89, v89, v94, s25
	v_cndmask_b32_e64 v85, v85, v94, s17
	s_mul_i32 s9, s37, 7
	s_delay_alu instid0(VALU_DEP_2) | instskip(NEXT) | instid1(VALU_DEP_2)
	v_cndmask_b32_e64 v88, v89, v84, s28
	v_cndmask_b32_e64 v89, v85, v84, s19
	s_delay_alu instid0(VALU_DEP_2) | instskip(NEXT) | instid1(VALU_DEP_2)
	v_perm_b32 v85, v88, v90, 0x5040100
	v_perm_b32 v84, v89, v66, 0x5040100
	ds_store_b128 v76, v[69:72]
	ds_store_b128 v76, v[83:86] offset:1024
	v_cmpx_gt_u32_e32 7, v0
	s_cbranch_execz .LBB1732_78
; %bb.77:
	s_mul_i32 s5, s9, s34
	s_load_b128 s[16:19], s[0:1], 0x58
	v_add3_u32 v69, s5, s31, v65
	s_delay_alu instid0(VALU_DEP_1) | instskip(NEXT) | instid1(VALU_DEP_1)
	v_mad_u64_u32 v[65:66], null, v69, s36, s[14:15]
	v_ashrrev_i32_e32 v66, 31, v65
	s_delay_alu instid0(VALU_DEP_1) | instskip(SKIP_1) | instid1(VALU_DEP_1)
	v_lshlrev_b64 v[65:66], 2, v[65:66]
	s_waitcnt lgkmcnt(0)
	v_add_co_u32 v69, vcc_lo, s18, v65
	s_delay_alu instid0(VALU_DEP_2)
	v_add_co_ci_u32_e32 v70, vcc_lo, s19, v66, vcc_lo
	v_add_co_u32 v65, vcc_lo, s16, v65
	v_add_co_ci_u32_e32 v66, vcc_lo, s17, v66, vcc_lo
	global_store_b32 v[69:70], v67, off
	global_store_b32 v[65:66], v68, off
.LBB1732_78:
	s_or_b32 exec_lo, exec_lo, s4
	s_waitcnt lgkmcnt(0)
	s_waitcnt_vscnt null, 0x0
	s_barrier
	buffer_gl0_inv
	ds_load_b128 v[83:86], v80
	ds_load_b128 v[87:90], v80 offset:16
	ds_load_b128 v[95:98], v80 offset:2064
	;; [unrolled: 1-line block ×3, first 2 shown]
	v_mov_b32_e32 v65, 0
	ds_load_b128 v[103:106], v80 offset:4112
	ds_load_b128 v[99:102], v80 offset:4096
	;; [unrolled: 1-line block ×4, first 2 shown]
	v_mov_b32_e32 v66, v65
	v_mov_b32_e32 v67, v65
	;; [unrolled: 1-line block ×7, first 2 shown]
	s_waitcnt lgkmcnt(6)
	s_delay_alu instid0(VALU_DEP_1)
	v_wmma_f32_16x16x16_bf16 v[65:72], v[57:64], v[83:90], v[65:72]
	ds_load_b128 v[61:64], v80 offset:8208
	ds_load_b128 v[57:60], v80 offset:8192
	s_waitcnt lgkmcnt(6)
	v_wmma_f32_16x16x16_bf16 v[65:72], v[41:48], v[91:98], v[65:72]
	ds_load_b128 v[45:48], v80 offset:10256
	ds_load_b128 v[41:44], v80 offset:10240
	s_waitcnt lgkmcnt(6)
	;; [unrolled: 4-line block ×4, first 2 shown]
	v_wmma_f32_16x16x16_bf16 v[65:72], v[1:8], v[57:64], v[65:72]
	s_waitcnt lgkmcnt(4)
	s_delay_alu instid0(VALU_DEP_1) | instskip(SKIP_1) | instid1(VALU_DEP_1)
	v_wmma_f32_16x16x16_bf16 v[65:72], v[9:16], v[41:48], v[65:72]
	s_waitcnt lgkmcnt(2)
	v_wmma_f32_16x16x16_bf16 v[65:72], v[17:24], v[33:40], v[65:72]
	s_waitcnt lgkmcnt(0)
	s_delay_alu instid0(VALU_DEP_1) | instskip(NEXT) | instid1(VALU_DEP_1)
	v_wmma_f32_16x16x16_bf16 v[65:72], v[49:56], v[25:32], v[65:72]
	v_and_b32_e32 v1, 0x7f800000, v65
	s_delay_alu instid0(VALU_DEP_1) | instskip(SKIP_1) | instid1(SALU_CYCLE_1)
	v_cmp_ne_u32_e32 vcc_lo, 0x7f800000, v1
                                        ; implicit-def: $vgpr1
	s_and_saveexec_b32 s4, vcc_lo
	s_xor_b32 s4, exec_lo, s4
; %bb.79:
	v_bfe_u32 v1, v65, 16, 1
	s_delay_alu instid0(VALU_DEP_1)
	v_add3_u32 v1, v65, v1, 0x7fff
; %bb.80:
	s_and_not1_saveexec_b32 s4, s4
; %bb.81:
	v_and_b32_e32 v1, 0xffff, v65
	v_or_b32_e32 v2, 0x10000, v65
	s_delay_alu instid0(VALU_DEP_2) | instskip(NEXT) | instid1(VALU_DEP_2)
	v_cmp_eq_u32_e32 vcc_lo, 0, v1
	v_cndmask_b32_e32 v1, v2, v65, vcc_lo
; %bb.82:
	s_or_b32 exec_lo, exec_lo, s4
	v_and_b32_e32 v2, 0x7f800000, v66
	s_delay_alu instid0(VALU_DEP_1) | instskip(SKIP_1) | instid1(SALU_CYCLE_1)
	v_cmp_ne_u32_e32 vcc_lo, 0x7f800000, v2
                                        ; implicit-def: $vgpr2
	s_and_saveexec_b32 s4, vcc_lo
	s_xor_b32 s4, exec_lo, s4
; %bb.83:
	v_bfe_u32 v2, v66, 16, 1
	s_delay_alu instid0(VALU_DEP_1)
	v_add3_u32 v2, v66, v2, 0x7fff
; %bb.84:
	s_and_not1_saveexec_b32 s4, s4
; %bb.85:
	v_and_b32_e32 v2, 0xffff, v66
	v_or_b32_e32 v3, 0x10000, v66
	s_delay_alu instid0(VALU_DEP_2) | instskip(NEXT) | instid1(VALU_DEP_2)
	v_cmp_eq_u32_e32 vcc_lo, 0, v2
	v_cndmask_b32_e32 v2, v3, v66, vcc_lo
; %bb.86:
	s_or_b32 exec_lo, exec_lo, s4
	v_and_b32_e32 v3, 0x7f800000, v67
	s_delay_alu instid0(VALU_DEP_1) | instskip(SKIP_1) | instid1(SALU_CYCLE_1)
	v_cmp_ne_u32_e32 vcc_lo, 0x7f800000, v3
                                        ; implicit-def: $vgpr3
	s_and_saveexec_b32 s4, vcc_lo
	s_xor_b32 s4, exec_lo, s4
; %bb.87:
	v_bfe_u32 v3, v67, 16, 1
	s_delay_alu instid0(VALU_DEP_1)
	v_add3_u32 v3, v67, v3, 0x7fff
; %bb.88:
	s_and_not1_saveexec_b32 s4, s4
; %bb.89:
	v_and_b32_e32 v3, 0xffff, v67
	v_or_b32_e32 v4, 0x10000, v67
	s_delay_alu instid0(VALU_DEP_2) | instskip(NEXT) | instid1(VALU_DEP_2)
	v_cmp_eq_u32_e32 vcc_lo, 0, v3
	v_cndmask_b32_e32 v3, v4, v67, vcc_lo
; %bb.90:
	s_or_b32 exec_lo, exec_lo, s4
	v_and_b32_e32 v4, 0x7f800000, v68
	s_delay_alu instid0(VALU_DEP_1) | instskip(SKIP_1) | instid1(SALU_CYCLE_1)
	v_cmp_ne_u32_e32 vcc_lo, 0x7f800000, v4
                                        ; implicit-def: $vgpr4
	s_and_saveexec_b32 s4, vcc_lo
	s_xor_b32 s4, exec_lo, s4
; %bb.91:
	v_bfe_u32 v4, v68, 16, 1
	s_delay_alu instid0(VALU_DEP_1)
	v_add3_u32 v4, v68, v4, 0x7fff
; %bb.92:
	s_and_not1_saveexec_b32 s4, s4
; %bb.93:
	v_and_b32_e32 v4, 0xffff, v68
	v_or_b32_e32 v5, 0x10000, v68
	s_delay_alu instid0(VALU_DEP_2) | instskip(NEXT) | instid1(VALU_DEP_2)
	v_cmp_eq_u32_e32 vcc_lo, 0, v4
	v_cndmask_b32_e32 v4, v5, v68, vcc_lo
; %bb.94:
	s_or_b32 exec_lo, exec_lo, s4
	v_and_b32_e32 v5, 0x7f800000, v69
	s_delay_alu instid0(VALU_DEP_1) | instskip(SKIP_1) | instid1(SALU_CYCLE_1)
	v_cmp_ne_u32_e32 vcc_lo, 0x7f800000, v5
                                        ; implicit-def: $vgpr5
	s_and_saveexec_b32 s4, vcc_lo
	s_xor_b32 s4, exec_lo, s4
; %bb.95:
	v_bfe_u32 v5, v69, 16, 1
	s_delay_alu instid0(VALU_DEP_1)
	v_add3_u32 v5, v69, v5, 0x7fff
; %bb.96:
	s_and_not1_saveexec_b32 s4, s4
; %bb.97:
	v_and_b32_e32 v5, 0xffff, v69
	v_or_b32_e32 v6, 0x10000, v69
	s_delay_alu instid0(VALU_DEP_2) | instskip(NEXT) | instid1(VALU_DEP_2)
	v_cmp_eq_u32_e32 vcc_lo, 0, v5
	v_cndmask_b32_e32 v5, v6, v69, vcc_lo
; %bb.98:
	s_or_b32 exec_lo, exec_lo, s4
	v_and_b32_e32 v6, 0x7f800000, v70
	s_delay_alu instid0(VALU_DEP_1) | instskip(SKIP_1) | instid1(SALU_CYCLE_1)
	v_cmp_ne_u32_e32 vcc_lo, 0x7f800000, v6
                                        ; implicit-def: $vgpr6
	s_and_saveexec_b32 s4, vcc_lo
	s_xor_b32 s4, exec_lo, s4
; %bb.99:
	v_bfe_u32 v6, v70, 16, 1
	s_delay_alu instid0(VALU_DEP_1)
	v_add3_u32 v6, v70, v6, 0x7fff
; %bb.100:
	s_and_not1_saveexec_b32 s4, s4
; %bb.101:
	v_and_b32_e32 v6, 0xffff, v70
	v_or_b32_e32 v7, 0x10000, v70
	s_delay_alu instid0(VALU_DEP_2) | instskip(NEXT) | instid1(VALU_DEP_2)
	v_cmp_eq_u32_e32 vcc_lo, 0, v6
	v_cndmask_b32_e32 v6, v7, v70, vcc_lo
; %bb.102:
	s_or_b32 exec_lo, exec_lo, s4
	v_and_b32_e32 v7, 0x7f800000, v71
	s_delay_alu instid0(VALU_DEP_1) | instskip(SKIP_1) | instid1(SALU_CYCLE_1)
	v_cmp_ne_u32_e32 vcc_lo, 0x7f800000, v7
                                        ; implicit-def: $vgpr7
	s_and_saveexec_b32 s4, vcc_lo
	s_xor_b32 s4, exec_lo, s4
; %bb.103:
	v_bfe_u32 v7, v71, 16, 1
	s_delay_alu instid0(VALU_DEP_1)
	v_add3_u32 v7, v71, v7, 0x7fff
; %bb.104:
	s_and_not1_saveexec_b32 s4, s4
; %bb.105:
	v_and_b32_e32 v7, 0xffff, v71
	v_or_b32_e32 v8, 0x10000, v71
	s_delay_alu instid0(VALU_DEP_2) | instskip(NEXT) | instid1(VALU_DEP_2)
	v_cmp_eq_u32_e32 vcc_lo, 0, v7
	v_cndmask_b32_e32 v7, v8, v71, vcc_lo
; %bb.106:
	s_or_b32 exec_lo, exec_lo, s4
	v_and_b32_e32 v8, 0x7f800000, v72
	s_delay_alu instid0(VALU_DEP_1) | instskip(SKIP_1) | instid1(SALU_CYCLE_1)
	v_cmp_ne_u32_e32 vcc_lo, 0x7f800000, v8
                                        ; implicit-def: $vgpr8
	s_and_saveexec_b32 s4, vcc_lo
	s_xor_b32 s4, exec_lo, s4
; %bb.107:
	v_bfe_u32 v8, v72, 16, 1
	s_delay_alu instid0(VALU_DEP_1)
	v_add3_u32 v8, v72, v8, 0x7fff
                                        ; implicit-def: $vgpr65_vgpr66_vgpr67_vgpr68_vgpr69_vgpr70_vgpr71_vgpr72
; %bb.108:
	s_and_not1_saveexec_b32 s4, s4
; %bb.109:
	v_and_b32_e32 v8, 0xffff, v72
	v_or_b32_e32 v9, 0x10000, v72
	s_delay_alu instid0(VALU_DEP_2) | instskip(NEXT) | instid1(VALU_DEP_2)
	v_cmp_eq_u32_e32 vcc_lo, 0, v8
	v_cndmask_b32_e32 v8, v9, v72, vcc_lo
; %bb.110:
	s_or_b32 exec_lo, exec_lo, s4
	s_delay_alu instid0(VALU_DEP_1)
	v_perm_b32 v7, v8, v7, 0x7060302
	v_perm_b32 v6, v6, v5, 0x7060302
	v_perm_b32 v5, v4, v3, 0x7060302
	v_perm_b32 v4, v2, v1, 0x7060302
	s_barrier
	buffer_gl0_inv
	v_cmp_eq_u32_e32 vcc_lo, 1, v78
	ds_store_b128 v76, v[4:7]
	s_waitcnt lgkmcnt(0)
	s_barrier
	buffer_gl0_inv
	ds_load_b128 v[1:4], v82
	ds_load_b128 v[5:8], v82 offset:16
	v_cmp_eq_u32_e64 s4, 1, v79
	v_cmp_eq_u32_e64 s5, 2, v78
	;; [unrolled: 1-line block ×5, first 2 shown]
	s_waitcnt lgkmcnt(1)
	v_lshrrev_b32_e32 v9, 16, v1
	s_waitcnt lgkmcnt(0)
	v_lshrrev_b32_e32 v13, 16, v5
	v_lshrrev_b32_e32 v10, 16, v2
	;; [unrolled: 1-line block ×4, first 2 shown]
	v_cndmask_b32_e64 v19, v1, v9, s4
	v_cndmask_b32_e32 v18, v5, v13, vcc_lo
	v_cndmask_b32_e64 v20, v5, v13, s4
	v_cndmask_b32_e32 v17, v1, v9, vcc_lo
	v_cmp_eq_u32_e32 vcc_lo, 2, v79
	v_lshrrev_b32_e32 v15, 16, v7
	v_cmp_eq_u32_e64 s4, 1, v77
	v_lshrrev_b32_e32 v12, 16, v4
	v_lshrrev_b32_e32 v16, 16, v8
	v_cndmask_b32_e32 v20, v20, v6, vcc_lo
	v_cndmask_b32_e64 v17, v17, v2, s5
	v_cndmask_b32_e32 v19, v19, v2, vcc_lo
	v_cndmask_b32_e64 v18, v18, v6, s5
	v_cmp_eq_u32_e32 vcc_lo, 4, v78
	v_cmp_eq_u32_e64 s5, 3, v79
	v_cndmask_b32_e64 v17, v17, v10, s6
	v_cndmask_b32_e64 v21, v1, v9, s4
	;; [unrolled: 1-line block ×5, first 2 shown]
	v_cndmask_b32_e32 v17, v17, v3, vcc_lo
	v_cndmask_b32_e64 v20, v20, v14, s5
	v_cndmask_b32_e32 v18, v18, v7, vcc_lo
	v_cmp_eq_u32_e32 vcc_lo, 4, v79
	v_cmp_eq_u32_e64 s5, 5, v79
	v_cmp_eq_u32_e64 s4, 2, v81
	v_cndmask_b32_e64 v21, v21, v2, s8
	v_cmp_eq_u32_e64 s6, 5, v78
	v_cndmask_b32_e32 v19, v19, v3, vcc_lo
	v_cndmask_b32_e32 v20, v20, v7, vcc_lo
	v_cmp_eq_u32_e32 vcc_lo, 6, v79
	s_delay_alu instid0(VALU_DEP_4) | instskip(NEXT) | instid1(VALU_DEP_4)
	v_cndmask_b32_e64 v17, v17, v11, s6
	v_cndmask_b32_e64 v19, v19, v11, s5
	s_delay_alu instid0(VALU_DEP_4) | instskip(SKIP_1) | instid1(VALU_DEP_3)
	v_cndmask_b32_e64 v20, v20, v15, s5
	v_cmp_eq_u32_e64 s5, 1, v81
	v_cndmask_b32_e32 v19, v19, v4, vcc_lo
	v_cndmask_b32_e64 v18, v18, v15, s6
	s_delay_alu instid0(VALU_DEP_3)
	v_cndmask_b32_e64 v1, v1, v9, s5
	v_cndmask_b32_e64 v5, v5, v13, s5
	v_cmp_eq_u32_e64 s5, 3, v77
	v_cndmask_b32_e64 v13, v22, v6, s8
	v_cmp_eq_u32_e64 s8, 3, v81
	v_cndmask_b32_e64 v1, v1, v2, s4
	v_cndmask_b32_e64 v2, v5, v6, s4
	;; [unrolled: 1-line block ×3, first 2 shown]
	v_cmp_eq_u32_e64 s4, 4, v77
	v_cndmask_b32_e64 v6, v13, v14, s5
	v_cndmask_b32_e64 v1, v1, v10, s8
	v_cmp_eq_u32_e64 s5, 4, v81
	v_cndmask_b32_e64 v2, v2, v14, s8
	v_cndmask_b32_e64 v5, v9, v3, s4
	;; [unrolled: 3-line block ×3, first 2 shown]
	v_cndmask_b32_e64 v2, v2, v7, s5
	v_cmp_eq_u32_e64 s4, 5, v81
	v_cmp_eq_u32_e64 s6, 6, v78
	v_cndmask_b32_e64 v5, v5, v11, s8
	v_cmp_eq_u32_e64 s5, 6, v77
	v_cndmask_b32_e64 v3, v6, v15, s8
	v_cndmask_b32_e64 v1, v1, v11, s4
	v_cmp_eq_u32_e64 s8, 6, v81
	v_cndmask_b32_e64 v2, v2, v15, s4
	v_cndmask_b32_e64 v17, v17, v4, s6
	v_cndmask_b32_e64 v18, v18, v8, s6
	v_cmp_eq_u32_e64 s6, 7, v78
	v_cndmask_b32_e64 v5, v5, v4, s5
	;; [unrolled: 4-line block ×3, first 2 shown]
	v_cmp_eq_u32_e64 s5, 7, v77
	v_cndmask_b32_e32 v4, v20, v8, vcc_lo
	v_cndmask_b32_e64 v17, v17, v12, s6
	v_cndmask_b32_e64 v19, v19, v12, s7
	;; [unrolled: 1-line block ×8, first 2 shown]
	v_cmp_gt_u32_e32 vcc_lo, 32, v0
	v_perm_b32 v4, v2, v1, 0x5040100
	v_perm_b32 v3, v3, v5, 0x5040100
	;; [unrolled: 1-line block ×4, first 2 shown]
	s_and_b32 s2, vcc_lo, s2
	ds_store_b128 v76, v[1:4]
	s_waitcnt lgkmcnt(0)
	s_barrier
	buffer_gl0_inv
	s_and_saveexec_b32 s4, s2
	s_cbranch_execz .LBB1732_2
; %bb.111:
	s_load_b64 s[4:5], s[0:1], 0x68
	v_lshlrev_b32_e32 v0, 10, v0
	v_add_nc_u32_e32 v2, s31, v74
	v_lshlrev_b32_e32 v3, 4, v75
	s_lshl_b32 s0, s36, 6
	s_delay_alu instid0(SALU_CYCLE_1) | instskip(NEXT) | instid1(VALU_DEP_2)
	s_mul_i32 s1, s0, s34
	v_mul_lo_u32 v1, v2, s0
	s_delay_alu instid0(VALU_DEP_2)
	v_and_or_b32 v0, 0x3800, v0, v3
	v_add_nc_u32_e32 v3, 2, v2
	s_mul_i32 s6, s1, s9
	v_add_nc_u32_e32 v4, 4, v2
	s_ashr_i32 s7, s6, 31
	v_lshl_or_b32 v11, v74, 6, v0
	s_lshl_b64 s[6:7], s[6:7], 1
	v_mul_lo_u32 v15, v3, s0
	v_mul_lo_u32 v17, v4, s0
	v_ashrrev_i32_e32 v2, 31, v1
	ds_load_b128 v[3:6], v11
	ds_load_b128 v[7:10], v11 offset:128
	ds_load_b128 v[11:14], v11 offset:256
	s_waitcnt lgkmcnt(0)
	s_add_u32 s1, s4, s6
	s_addc_u32 s2, s5, s7
	s_lshl_b32 s4, s14, 6
	v_ashrrev_i32_e32 v16, 31, v15
	s_ashr_i32 s5, s4, 31
	v_lshlrev_b64 v[19:20], 1, v[1:2]
	s_lshl_b64 s[4:5], s[4:5], 1
	v_ashrrev_i32_e32 v18, 31, v17
	s_add_u32 s1, s1, s4
	s_addc_u32 s2, s2, s5
	v_add_co_u32 v1, s1, s1, v73
	s_delay_alu instid0(VALU_DEP_1) | instskip(SKIP_1) | instid1(VALU_DEP_3)
	v_add_co_ci_u32_e64 v2, null, s2, 0, s1
	v_lshlrev_b64 v[15:16], 1, v[15:16]
	v_add_co_u32 v19, vcc_lo, v1, v19
	v_lshlrev_b64 v[17:18], 1, v[17:18]
	s_delay_alu instid0(VALU_DEP_4) | instskip(NEXT) | instid1(VALU_DEP_4)
	v_add_co_ci_u32_e32 v20, vcc_lo, v2, v20, vcc_lo
	v_add_co_u32 v15, vcc_lo, v1, v15
	v_add_co_ci_u32_e32 v16, vcc_lo, v2, v16, vcc_lo
	s_delay_alu instid0(VALU_DEP_4)
	v_add_co_u32 v17, vcc_lo, v1, v17
	v_add_co_ci_u32_e32 v18, vcc_lo, v2, v18, vcc_lo
	s_clause 0x2
	global_store_b128 v[19:20], v[3:6], off
	global_store_b128 v[15:16], v[7:10], off
	;; [unrolled: 1-line block ×3, first 2 shown]
	s_and_b32 exec_lo, exec_lo, s3
	s_cbranch_execz .LBB1732_2
; %bb.112:
	ds_load_b128 v[3:6], v0 offset:384
	s_add_i32 s1, s31, 6
	s_delay_alu instid0(SALU_CYCLE_1) | instskip(NEXT) | instid1(SALU_CYCLE_1)
	s_mul_i32 s0, s1, s0
	s_ashr_i32 s1, s0, 31
	s_delay_alu instid0(SALU_CYCLE_1) | instskip(NEXT) | instid1(SALU_CYCLE_1)
	s_lshl_b64 s[0:1], s[0:1], 1
	v_add_co_u32 v0, vcc_lo, v1, s0
	v_add_co_ci_u32_e32 v1, vcc_lo, s1, v2, vcc_lo
	s_waitcnt lgkmcnt(0)
	global_store_b128 v[0:1], v[3:6], off
	s_nop 0
	s_sendmsg sendmsg(MSG_DEALLOC_VGPRS)
	s_endpgm
	.section	.rodata,"a",@progbits
	.p2align	6, 0x0
	.amdhsa_kernel _Z39paged_attention_ll4mi_QKV_mfma16_kernelI14__hip_bfloat16hLN4vllm18Fp8KVCacheDataTypeE1EhLi32ELi64ELi256ELb1ELi7EL8MFMAType0EEvPKT_PKT0_S9_ifPKiSB_SB_iPKfiiiPfSE_PS4_PT2_iSD_SD_
		.amdhsa_group_segment_fixed_size 17472
		.amdhsa_private_segment_fixed_size 0
		.amdhsa_kernarg_size 400
		.amdhsa_user_sgpr_count 13
		.amdhsa_user_sgpr_dispatch_ptr 0
		.amdhsa_user_sgpr_queue_ptr 0
		.amdhsa_user_sgpr_kernarg_segment_ptr 1
		.amdhsa_user_sgpr_dispatch_id 0
		.amdhsa_user_sgpr_private_segment_size 0
		.amdhsa_wavefront_size32 1
		.amdhsa_uses_dynamic_stack 0
		.amdhsa_enable_private_segment 0
		.amdhsa_system_sgpr_workgroup_id_x 1
		.amdhsa_system_sgpr_workgroup_id_y 1
		.amdhsa_system_sgpr_workgroup_id_z 1
		.amdhsa_system_sgpr_workgroup_info 0
		.amdhsa_system_vgpr_workitem_id 0
		.amdhsa_next_free_vgpr 124
		.amdhsa_next_free_sgpr 42
		.amdhsa_reserve_vcc 1
		.amdhsa_float_round_mode_32 0
		.amdhsa_float_round_mode_16_64 0
		.amdhsa_float_denorm_mode_32 3
		.amdhsa_float_denorm_mode_16_64 3
		.amdhsa_dx10_clamp 1
		.amdhsa_ieee_mode 1
		.amdhsa_fp16_overflow 0
		.amdhsa_workgroup_processor_mode 1
		.amdhsa_memory_ordered 1
		.amdhsa_forward_progress 0
		.amdhsa_shared_vgpr_count 0
		.amdhsa_exception_fp_ieee_invalid_op 0
		.amdhsa_exception_fp_denorm_src 0
		.amdhsa_exception_fp_ieee_div_zero 0
		.amdhsa_exception_fp_ieee_overflow 0
		.amdhsa_exception_fp_ieee_underflow 0
		.amdhsa_exception_fp_ieee_inexact 0
		.amdhsa_exception_int_div_zero 0
	.end_amdhsa_kernel
	.section	.text._Z39paged_attention_ll4mi_QKV_mfma16_kernelI14__hip_bfloat16hLN4vllm18Fp8KVCacheDataTypeE1EhLi32ELi64ELi256ELb1ELi7EL8MFMAType0EEvPKT_PKT0_S9_ifPKiSB_SB_iPKfiiiPfSE_PS4_PT2_iSD_SD_,"axG",@progbits,_Z39paged_attention_ll4mi_QKV_mfma16_kernelI14__hip_bfloat16hLN4vllm18Fp8KVCacheDataTypeE1EhLi32ELi64ELi256ELb1ELi7EL8MFMAType0EEvPKT_PKT0_S9_ifPKiSB_SB_iPKfiiiPfSE_PS4_PT2_iSD_SD_,comdat
.Lfunc_end1732:
	.size	_Z39paged_attention_ll4mi_QKV_mfma16_kernelI14__hip_bfloat16hLN4vllm18Fp8KVCacheDataTypeE1EhLi32ELi64ELi256ELb1ELi7EL8MFMAType0EEvPKT_PKT0_S9_ifPKiSB_SB_iPKfiiiPfSE_PS4_PT2_iSD_SD_, .Lfunc_end1732-_Z39paged_attention_ll4mi_QKV_mfma16_kernelI14__hip_bfloat16hLN4vllm18Fp8KVCacheDataTypeE1EhLi32ELi64ELi256ELb1ELi7EL8MFMAType0EEvPKT_PKT0_S9_ifPKiSB_SB_iPKfiiiPfSE_PS4_PT2_iSD_SD_
                                        ; -- End function
	.section	.AMDGPU.csdata,"",@progbits
; Kernel info:
; codeLenInByte = 8828
; NumSgprs: 44
; NumVgprs: 124
; ScratchSize: 0
; MemoryBound: 0
; FloatMode: 240
; IeeeMode: 1
; LDSByteSize: 17472 bytes/workgroup (compile time only)
; SGPRBlocks: 5
; VGPRBlocks: 15
; NumSGPRsForWavesPerEU: 44
; NumVGPRsForWavesPerEU: 124
; Occupancy: 10
; WaveLimiterHint : 1
; COMPUTE_PGM_RSRC2:SCRATCH_EN: 0
; COMPUTE_PGM_RSRC2:USER_SGPR: 13
; COMPUTE_PGM_RSRC2:TRAP_HANDLER: 0
; COMPUTE_PGM_RSRC2:TGID_X_EN: 1
; COMPUTE_PGM_RSRC2:TGID_Y_EN: 1
; COMPUTE_PGM_RSRC2:TGID_Z_EN: 1
; COMPUTE_PGM_RSRC2:TIDIG_COMP_CNT: 0
	.section	.text._Z39paged_attention_ll4mi_QKV_mfma16_kernelI14__hip_bfloat16hLN4vllm18Fp8KVCacheDataTypeE1EhLi32ELi64ELi256ELb1ELi8EL8MFMAType0EEvPKT_PKT0_S9_ifPKiSB_SB_iPKfiiiPfSE_PS4_PT2_iSD_SD_,"axG",@progbits,_Z39paged_attention_ll4mi_QKV_mfma16_kernelI14__hip_bfloat16hLN4vllm18Fp8KVCacheDataTypeE1EhLi32ELi64ELi256ELb1ELi8EL8MFMAType0EEvPKT_PKT0_S9_ifPKiSB_SB_iPKfiiiPfSE_PS4_PT2_iSD_SD_,comdat
	.protected	_Z39paged_attention_ll4mi_QKV_mfma16_kernelI14__hip_bfloat16hLN4vllm18Fp8KVCacheDataTypeE1EhLi32ELi64ELi256ELb1ELi8EL8MFMAType0EEvPKT_PKT0_S9_ifPKiSB_SB_iPKfiiiPfSE_PS4_PT2_iSD_SD_ ; -- Begin function _Z39paged_attention_ll4mi_QKV_mfma16_kernelI14__hip_bfloat16hLN4vllm18Fp8KVCacheDataTypeE1EhLi32ELi64ELi256ELb1ELi8EL8MFMAType0EEvPKT_PKT0_S9_ifPKiSB_SB_iPKfiiiPfSE_PS4_PT2_iSD_SD_
	.globl	_Z39paged_attention_ll4mi_QKV_mfma16_kernelI14__hip_bfloat16hLN4vllm18Fp8KVCacheDataTypeE1EhLi32ELi64ELi256ELb1ELi8EL8MFMAType0EEvPKT_PKT0_S9_ifPKiSB_SB_iPKfiiiPfSE_PS4_PT2_iSD_SD_
	.p2align	8
	.type	_Z39paged_attention_ll4mi_QKV_mfma16_kernelI14__hip_bfloat16hLN4vllm18Fp8KVCacheDataTypeE1EhLi32ELi64ELi256ELb1ELi8EL8MFMAType0EEvPKT_PKT0_S9_ifPKiSB_SB_iPKfiiiPfSE_PS4_PT2_iSD_SD_,@function
_Z39paged_attention_ll4mi_QKV_mfma16_kernelI14__hip_bfloat16hLN4vllm18Fp8KVCacheDataTypeE1EhLi32ELi64ELi256ELb1ELi8EL8MFMAType0EEvPKT_PKT0_S9_ifPKiSB_SB_iPKfiiiPfSE_PS4_PT2_iSD_SD_: ; @_Z39paged_attention_ll4mi_QKV_mfma16_kernelI14__hip_bfloat16hLN4vllm18Fp8KVCacheDataTypeE1EhLi32ELi64ELi256ELb1ELi8EL8MFMAType0EEvPKT_PKT0_S9_ifPKiSB_SB_iPKfiiiPfSE_PS4_PT2_iSD_SD_
; %bb.0:
	s_load_b64 s[2:3], s[0:1], 0x30
	s_mov_b32 s30, s13
	s_waitcnt lgkmcnt(0)
	s_cmp_lg_u64 s[2:3], 0
	s_cselect_b32 s8, -1, 0
	s_ashr_i32 s31, s13, 31
	s_cmp_eq_u64 s[2:3], 0
	s_cbranch_scc1 .LBB1733_3
; %bb.1:
	s_lshl_b64 s[4:5], s[30:31], 2
	s_delay_alu instid0(SALU_CYCLE_1) | instskip(SKIP_4) | instid1(SALU_CYCLE_1)
	s_add_u32 s4, s2, s4
	s_addc_u32 s5, s3, s5
	s_load_b64 s[4:5], s[4:5], 0x0
	s_waitcnt lgkmcnt(0)
	s_sub_i32 s4, s5, s4
	s_cmp_eq_u32 s4, 1
	s_cselect_b32 s4, -1, 0
	s_delay_alu instid0(SALU_CYCLE_1)
	s_and_not1_b32 vcc_lo, exec_lo, s4
	s_cbranch_vccz .LBB1733_4
.LBB1733_2:
	s_endpgm
.LBB1733_3:
.LBB1733_4:
	s_load_b64 s[4:5], s[0:1], 0x28
	s_lshl_b64 s[6:7], s[30:31], 2
	s_waitcnt lgkmcnt(0)
	s_add_u32 s4, s4, s6
	s_addc_u32 s5, s5, s7
	s_lshl_b32 s12, s14, 8
	s_load_b32 s24, s[4:5], 0x0
	s_waitcnt lgkmcnt(0)
	s_cmp_ge_i32 s12, s24
	s_cbranch_scc1 .LBB1733_2
; %bb.5:
	s_clause 0x1
	s_load_b128 s[20:23], s[0:1], 0x8
	s_load_b64 s[4:5], s[0:1], 0x20
	s_and_not1_b32 vcc_lo, exec_lo, s8
	s_cbranch_vccnz .LBB1733_7
; %bb.6:
	s_add_u32 s2, s2, s6
	s_addc_u32 s3, s3, s7
	s_load_b32 s3, s[2:3], 0x0
	s_branch .LBB1733_8
.LBB1733_7:
	s_mov_b32 s3, s30
.LBB1733_8:
	s_load_b128 s[16:19], s[0:1], 0x48
	v_and_b32_e32 v66, 15, v0
	v_cmp_gt_u32_e32 vcc_lo, 0x80, v0
	v_lshrrev_b32_e32 v65, 5, v0
	v_and_b32_e32 v67, 31, v0
	v_and_b32_e32 v74, 1, v0
	v_lshlrev_b32_e32 v1, 3, v66
	v_cmp_gt_u32_e64 s2, 8, v66
	v_bfe_u32 v75, v0, 4, 1
	s_lshl_b32 s31, s15, 3
	s_delay_alu instid0(VALU_DEP_3) | instskip(NEXT) | instid1(VALU_DEP_3)
	v_lshlrev_b32_e32 v73, 1, v1
	s_and_b32 s7, vcc_lo, s2
	s_delay_alu instid0(SALU_CYCLE_1)
	s_and_saveexec_b32 s6, s7
	s_cbranch_execz .LBB1733_10
; %bb.9:
	v_lshl_or_b32 v5, v65, 1, v75
	s_load_b64 s[8:9], s[0:1], 0x0
	s_waitcnt lgkmcnt(0)
	s_mul_hi_i32 s11, s3, s16
	s_mul_i32 s10, s3, s16
	v_lshlrev_b32_e32 v6, 10, v66
	v_or_b32_e32 v1, s31, v5
	s_lshl_b64 s[10:11], s[10:11], 1
	v_lshlrev_b32_e32 v5, 6, v5
	v_lshlrev_b32_e32 v7, 10, v74
	v_and_b32_e32 v6, 0x3800, v6
	v_lshlrev_b32_e32 v1, 6, v1
	s_delay_alu instid0(VALU_DEP_2) | instskip(NEXT) | instid1(VALU_DEP_2)
	v_or3_b32 v5, v6, v7, v5
	v_ashrrev_i32_e32 v2, 31, v1
	s_delay_alu instid0(VALU_DEP_1) | instskip(SKIP_2) | instid1(VALU_DEP_1)
	v_lshlrev_b64 v[1:2], 1, v[1:2]
	s_add_u32 s3, s8, s10
	s_addc_u32 s7, s9, s11
	v_add_co_u32 v1, vcc_lo, s3, v1
	s_delay_alu instid0(VALU_DEP_2) | instskip(NEXT) | instid1(VALU_DEP_2)
	v_add_co_ci_u32_e32 v2, vcc_lo, s7, v2, vcc_lo
	v_add_co_u32 v1, vcc_lo, v1, v73
	s_delay_alu instid0(VALU_DEP_2)
	v_add_co_ci_u32_e32 v2, vcc_lo, 0, v2, vcc_lo
	global_load_b128 v[1:4], v[1:2], off
	s_waitcnt vmcnt(0)
	ds_store_b128 v5, v[1:4]
.LBB1733_10:
	s_or_b32 exec_lo, exec_lo, s6
	v_and_b32_e32 v1, 0xef, v0
	s_waitcnt lgkmcnt(0)
	s_add_i32 s3, s24, 31
	s_clause 0x1
	s_load_b32 s6, s[0:1], 0x38
	s_load_b32 s19, s[0:1], 0x1c
	s_ashr_i32 s7, s3, 31
	v_add_nc_u32_e32 v1, s12, v1
	s_lshr_b32 s7, s7, 27
	s_waitcnt lgkmcnt(0)
	s_add_i32 s3, s3, s7
	s_barrier
	v_ashrrev_i32_e32 v2, 31, v1
	v_or_b32_e32 v3, 16, v1
	s_ashr_i32 s3, s3, 5
	v_cmp_gt_i32_e32 vcc_lo, s24, v1
	s_add_i32 s3, s3, -1
	v_lshrrev_b32_e32 v2, 27, v2
	buffer_gl0_inv
	s_mul_i32 s27, s15, s18
	v_add_nc_u32_e32 v4, v1, v2
	s_mul_i32 s6, s30, s6
	s_delay_alu instid0(SALU_CYCLE_1) | instskip(NEXT) | instid1(VALU_DEP_1)
	s_ashr_i32 s7, s6, 31
	v_ashrrev_i32_e32 v4, 5, v4
	v_add_nc_u32_e32 v2, v3, v2
	s_lshl_b64 s[6:7], s[6:7], 2
	s_delay_alu instid0(SALU_CYCLE_1) | instskip(NEXT) | instid1(VALU_DEP_2)
	s_add_u32 s26, s4, s6
	v_cndmask_b32_e32 v1, s3, v4, vcc_lo
	s_delay_alu instid0(VALU_DEP_2)
	v_ashrrev_i32_e32 v2, 5, v2
	v_cmp_gt_i32_e32 vcc_lo, s24, v3
	s_addc_u32 s25, s5, s7
	s_ashr_i32 s28, s27, 31
	s_add_u32 s4, s20, s27
	s_addc_u32 s5, s21, s28
	v_cndmask_b32_e32 v3, s3, v2, vcc_lo
	v_ashrrev_i32_e32 v2, 31, v1
	s_lshl_b32 s6, s14, 3
	s_delay_alu instid0(SALU_CYCLE_1) | instskip(NEXT) | instid1(VALU_DEP_2)
	s_ashr_i32 s7, s6, 31
	v_ashrrev_i32_e32 v4, 31, v3
	s_delay_alu instid0(VALU_DEP_2) | instskip(SKIP_1) | instid1(SALU_CYCLE_1)
	v_lshlrev_b64 v[1:2], 2, v[1:2]
	s_lshl_b64 s[6:7], s[6:7], 2
	s_add_u32 s6, s26, s6
	s_delay_alu instid0(VALU_DEP_2) | instskip(SKIP_1) | instid1(VALU_DEP_2)
	v_lshlrev_b64 v[3:4], 2, v[3:4]
	s_addc_u32 s7, s25, s7
	v_add_co_u32 v1, vcc_lo, s26, v1
	v_add_co_ci_u32_e32 v2, vcc_lo, s25, v2, vcc_lo
	s_delay_alu instid0(VALU_DEP_3) | instskip(NEXT) | instid1(VALU_DEP_4)
	v_add_co_u32 v3, vcc_lo, s26, v3
	v_add_co_ci_u32_e32 v4, vcc_lo, s25, v4, vcc_lo
	s_clause 0x1
	global_load_b32 v5, v[1:2], off
	global_load_b32 v6, v[3:4], off
	s_or_b32 s8, s12, 32
	s_delay_alu instid0(SALU_CYCLE_1) | instskip(SKIP_2) | instid1(SALU_CYCLE_1)
	s_ashr_i32 s9, s8, 5
	s_cmp_lt_i32 s8, s24
	s_cselect_b32 s8, s9, s3
	s_ashr_i32 s9, s8, 31
	s_delay_alu instid0(SALU_CYCLE_1) | instskip(NEXT) | instid1(SALU_CYCLE_1)
	s_lshl_b64 s[8:9], s[8:9], 2
	s_add_u32 s8, s26, s8
	s_addc_u32 s9, s25, s9
	s_or_b32 s10, s12, 64
	s_delay_alu instid0(SALU_CYCLE_1) | instskip(SKIP_2) | instid1(SALU_CYCLE_1)
	s_ashr_i32 s11, s10, 5
	s_cmp_lt_i32 s10, s24
	s_cselect_b32 s10, s11, s3
	s_ashr_i32 s11, s10, 31
	s_delay_alu instid0(SALU_CYCLE_1) | instskip(NEXT) | instid1(SALU_CYCLE_1)
	s_lshl_b64 s[10:11], s[10:11], 2
	s_add_u32 s10, s26, s10
	s_addc_u32 s11, s25, s11
	;; [unrolled: 10-line block ×5, first 2 shown]
	s_clause 0x5
	s_load_b32 s21, s[6:7], 0x0
	s_load_b32 s13, s[8:9], 0x0
	;; [unrolled: 1-line block ×6, first 2 shown]
	s_or_b32 s7, s12, 0xc0
	s_delay_alu instid0(SALU_CYCLE_1) | instskip(SKIP_2) | instid1(SALU_CYCLE_1)
	s_ashr_i32 s8, s7, 5
	s_cmp_lt_i32 s7, s24
	s_cselect_b32 s10, s8, s3
	s_ashr_i32 s11, s10, 31
	s_delay_alu instid0(SALU_CYCLE_1) | instskip(NEXT) | instid1(SALU_CYCLE_1)
	s_lshl_b64 s[34:35], s[10:11], 2
	s_add_u32 s34, s26, s34
	s_addc_u32 s35, s25, s35
	s_or_b32 s29, s12, 0xe0
	s_delay_alu instid0(SALU_CYCLE_1)
	s_ashr_i32 s33, s29, 5
	s_cmp_lt_i32 s29, s24
	s_waitcnt vmcnt(1)
	v_mad_i64_i32 v[1:2], null, v5, s17, s[4:5]
	s_waitcnt vmcnt(0)
	v_mad_i64_i32 v[3:4], null, v6, s17, s[4:5]
	s_mov_b32 s4, 0
	s_delay_alu instid0(SALU_CYCLE_1)
	s_mov_b32 s5, s4
	s_mov_b32 s6, s4
	;; [unrolled: 1-line block ×7, first 2 shown]
	v_lshlrev_b32_e32 v5, 4, v66
	v_dual_mov_b32 v107, s11 :: v_dual_mov_b32 v102, s6
	v_dual_mov_b32 v106, s10 :: v_dual_mov_b32 v105, s9
	s_delay_alu instid0(VALU_DEP_3)
	v_add_co_u32 v1, vcc_lo, v1, v5
	v_add_co_ci_u32_e32 v2, vcc_lo, 0, v2, vcc_lo
	v_add_co_u32 v3, vcc_lo, v3, v5
	v_add_co_ci_u32_e32 v4, vcc_lo, 0, v4, vcc_lo
	s_clause 0x7
	global_load_b128 v[49:52], v[1:2], off
	global_load_b128 v[53:56], v[1:2], off offset:512
	global_load_b128 v[76:79], v[3:4], off offset:256
	;; [unrolled: 1-line block ×7, first 2 shown]
	v_dual_mov_b32 v100, s4 :: v_dual_and_b32 v1, 7, v0
	v_lshlrev_b32_e32 v2, 5, v66
	v_dual_mov_b32 v104, s8 :: v_dual_mov_b32 v103, s7
	v_mov_b32_e32 v101, s5
	s_cselect_b32 s4, s33, s3
	v_lshlrev_b32_e32 v70, 6, v1
	s_ashr_i32 s5, s4, 31
	v_lshl_or_b32 v1, v65, 9, v2
	s_lshl_b64 s[4:5], s[4:5], 2
	s_load_b32 s3, s[34:35], 0x0
	s_add_u32 s4, s26, s4
	s_addc_u32 s5, s25, s5
	ds_load_b128 v[108:111], v70
	ds_load_b128 v[112:115], v70 offset:1024
	s_load_b32 s4, s[4:5], 0x0
	s_add_u32 s6, s22, s27
	s_addc_u32 s7, s23, s28
	v_add_co_u32 v9, s6, s6, v1
	s_delay_alu instid0(VALU_DEP_1) | instskip(SKIP_1) | instid1(VALU_DEP_1)
	v_add_co_ci_u32_e64 v10, null, s7, 0, s6
	s_waitcnt lgkmcnt(0)
	v_mad_i64_i32 v[1:2], null, s21, s17, v[9:10]
	v_mad_i64_i32 v[3:4], null, s13, s17, v[9:10]
	;; [unrolled: 1-line block ×7, first 2 shown]
	s_clause 0x9
	global_load_b128 v[57:60], v[1:2], off
	global_load_b128 v[61:64], v[1:2], off offset:16
	global_load_b128 v[41:44], v[3:4], off
	global_load_b128 v[45:48], v[3:4], off offset:16
	;; [unrolled: 2-line block ×5, first 2 shown]
	v_mad_i64_i32 v[68:69], null, s4, s17, v[9:10]
	s_clause 0x3
	global_load_b128 v[9:12], v[13:14], off
	global_load_b128 v[13:16], v[13:14], off offset:16
	global_load_b128 v[17:20], v[21:22], off
	global_load_b128 v[21:24], v[21:22], off offset:16
	s_waitcnt vmcnt(20)
	v_wmma_f32_16x16x16_bf16 v[116:123], v[49:56], v[108:115], v[100:107]
	s_clause 0x1
	global_load_b128 v[49:52], v[68:69], off
	global_load_b128 v[53:56], v[68:69], off offset:16
	v_and_b32_e32 v68, 0xe0, v0
	v_mbcnt_lo_u32_b32 v69, -1, 0
	s_delay_alu instid0(VALU_DEP_2)
	v_add_nc_u32_e32 v68, s12, v68
	s_waitcnt vmcnt(20)
	v_wmma_f32_16x16x16_bf16 v[100:107], v[76:83], v[108:115], v[100:107]
	ds_load_b128 v[76:79], v70 offset:2048
	ds_load_b128 v[80:83], v70 offset:3072
	v_xor_b32_e32 v70, 16, v69
	s_waitcnt vmcnt(0) lgkmcnt(0)
	v_or_b32_e32 v68, v68, v75
	s_barrier
	buffer_gl0_inv
	v_cmp_gt_i32_e32 vcc_lo, 32, v70
	v_or_b32_e32 v71, 4, v68
	v_or_b32_e32 v72, 6, v68
	v_cmp_gt_i32_e64 s3, s24, v68
	v_or_b32_e32 v108, 8, v68
	v_or_b32_e32 v109, 10, v68
	v_cmp_gt_i32_e64 s4, s24, v71
	v_cmp_gt_i32_e64 s5, s24, v72
	s_delay_alu instid0(VALU_DEP_4) | instskip(NEXT) | instid1(VALU_DEP_4)
	v_cmp_gt_i32_e64 s6, s24, v108
	v_cmp_gt_i32_e64 s7, s24, v109
	v_wmma_f32_16x16x16_bf16 v[116:123], v[84:91], v[76:83], v[116:123]
	v_cndmask_b32_e32 v69, v69, v70, vcc_lo
	v_or_b32_e32 v70, 2, v68
	v_wmma_f32_16x16x16_bf16 v[100:107], v[92:99], v[76:83], v[100:107]
	v_or_b32_e32 v84, 12, v68
	v_dual_mul_f32 v78, s19, v123 :: v_dual_mul_f32 v83, s19, v118
	v_dual_mul_f32 v92, s19, v117 :: v_dual_mul_f32 v93, s19, v116
	s_delay_alu instid0(VALU_DEP_4) | instskip(SKIP_2) | instid1(VALU_DEP_4)
	v_mul_f32_e32 v94, s19, v107
	v_cmp_gt_i32_e32 vcc_lo, s24, v70
	v_dual_mul_f32 v81, s19, v120 :: v_dual_mul_f32 v82, s19, v119
	v_cndmask_b32_e64 v93, 0xff7fffff, v93, s3
	v_or_b32_e32 v85, 14, v68
	v_cndmask_b32_e32 v92, 0xff7fffff, v92, vcc_lo
	v_dual_mul_f32 v79, s19, v122 :: v_dual_mul_f32 v80, s19, v121
	v_cndmask_b32_e64 v71, 0xff7fffff, v83, s4
	v_cndmask_b32_e64 v72, 0xff7fffff, v82, s5
	s_delay_alu instid0(VALU_DEP_4)
	v_max3_f32 v82, v93, 0xff7fffff, v92
	v_or_b32_e32 v86, 16, v68
	v_or_b32_e32 v87, 18, v68
	v_cndmask_b32_e64 v81, 0xff7fffff, v81, s6
	v_cndmask_b32_e64 v80, 0xff7fffff, v80, s7
	v_max3_f32 v71, v82, v71, v72
	v_cmp_gt_i32_e64 s8, s24, v84
	v_cmp_gt_i32_e64 s9, s24, v85
	v_or_b32_e32 v88, 20, v68
	v_or_b32_e32 v89, 22, v68
	;; [unrolled: 1-line block ×6, first 2 shown]
	v_dual_mul_f32 v99, s19, v102 :: v_dual_mul_f32 v70, s19, v101
	v_mul_f32_e32 v68, s19, v100
	v_cndmask_b32_e64 v72, 0xff7fffff, v79, s8
	v_cndmask_b32_e64 v78, 0xff7fffff, v78, s9
	v_max3_f32 v71, v71, v81, v80
	v_cmp_gt_i32_e64 s10, s24, v86
	v_cmp_gt_i32_e64 s11, s24, v87
	v_dual_mul_f32 v97, s19, v104 :: v_dual_mul_f32 v98, s19, v103
	s_delay_alu instid0(VALU_DEP_4) | instskip(SKIP_1) | instid1(VALU_DEP_4)
	v_max3_f32 v71, v71, v72, v78
	v_cmp_gt_i32_e64 s12, s24, v88
	v_cndmask_b32_e64 v70, 0xff7fffff, v70, s11
	v_cmp_gt_i32_e64 s13, s24, v89
	v_lshlrev_b32_e32 v89, 2, v69
	v_cndmask_b32_e64 v68, 0xff7fffff, v68, s10
	v_dual_mul_f32 v95, s19, v106 :: v_dual_mul_f32 v96, s19, v105
	v_cndmask_b32_e64 v72, 0xff7fffff, v99, s12
	v_cndmask_b32_e64 v78, 0xff7fffff, v98, s13
	s_delay_alu instid0(VALU_DEP_4)
	v_max3_f32 v68, v71, v68, v70
	v_cmp_gt_i32_e64 s15, s24, v90
	v_cmp_gt_i32_e64 s16, s24, v91
	;; [unrolled: 1-line block ×4, first 2 shown]
	v_max3_f32 v68, v68, v72, v78
	v_cndmask_b32_e64 v70, 0xff7fffff, v97, s15
	v_cndmask_b32_e64 v71, 0xff7fffff, v96, s16
	;; [unrolled: 1-line block ×4, first 2 shown]
	s_delay_alu instid0(VALU_DEP_3) | instskip(NEXT) | instid1(VALU_DEP_1)
	v_max3_f32 v68, v68, v70, v71
	v_max3_f32 v68, v68, v72, v76
	ds_bpermute_b32 v69, v89, v68
	s_waitcnt lgkmcnt(0)
	v_max_f32_e32 v69, v69, v69
	s_delay_alu instid0(VALU_DEP_1) | instskip(NEXT) | instid1(VALU_DEP_1)
	v_max_f32_e32 v68, v68, v69
	v_fma_f32 v71, s19, v118, -v68
	s_delay_alu instid0(VALU_DEP_1)
	v_mul_f32_e32 v71, 0x3fb8aa3b, v71
	v_fma_f32 v69, s19, v116, -v68
	v_fma_f32 v70, s19, v117, -v68
	;; [unrolled: 1-line block ×4, first 2 shown]
	v_exp_f32_e32 v71, v71
	s_delay_alu instid0(VALU_DEP_3) | instskip(SKIP_2) | instid1(VALU_DEP_3)
	v_dual_mul_f32 v69, 0x3fb8aa3b, v69 :: v_dual_mul_f32 v70, 0x3fb8aa3b, v70
	v_fma_f32 v78, s19, v122, -v68
	v_fma_f32 v81, s19, v105, -v68
	v_exp_f32_e32 v69, v69
	s_delay_alu instid0(VALU_DEP_3) | instskip(SKIP_1) | instid1(VALU_DEP_2)
	v_exp_f32_e32 v70, v70
	v_mul_f32_e32 v77, 0x3fb8aa3b, v76
	v_mul_f32_e32 v81, 0x3fb8aa3b, v81
	s_delay_alu instid0(TRANS32_DEP_3) | instskip(SKIP_1) | instid1(VALU_DEP_3)
	v_cndmask_b32_e64 v83, 0, v71, s4
	v_fma_f32 v71, s19, v123, -v68
	v_exp_f32_e32 v81, v81
	s_delay_alu instid0(TRANS32_DEP_3) | instskip(NEXT) | instid1(TRANS32_DEP_2)
	v_cndmask_b32_e64 v80, 0, v69, s3
	v_cndmask_b32_e32 v76, 0, v70, vcc_lo
	v_fma_f32 v69, s19, v121, -v68
	v_mul_f32_e32 v72, 0x3fb8aa3b, v72
	v_exp_f32_e32 v77, v77
	v_dual_add_f32 v70, 0, v80 :: v_dual_mul_f32 v71, 0x3fb8aa3b, v71
	s_delay_alu instid0(VALU_DEP_3) | instskip(NEXT) | instid1(VALU_DEP_3)
	v_mul_f32_e32 v69, 0x3fb8aa3b, v69
	v_exp_f32_e32 v72, v72
	s_mov_b32 s3, exec_lo
	s_delay_alu instid0(VALU_DEP_2) | instskip(NEXT) | instid1(VALU_DEP_1)
	v_exp_f32_e32 v71, v71
	v_exp_f32_e32 v69, v69
	v_cndmask_b32_e64 v86, 0, v77, s6
	v_fma_f32 v77, s19, v101, -v68
	v_add_f32_e32 v70, v70, v76
	s_delay_alu instid0(TRANS32_DEP_3) | instskip(SKIP_1) | instid1(VALU_DEP_3)
	v_cndmask_b32_e64 v85, 0, v72, s5
	v_fma_f32 v72, s19, v100, -v68
	v_dual_mul_f32 v77, 0x3fb8aa3b, v77 :: v_dual_add_f32 v70, v70, v83
	s_delay_alu instid0(TRANS32_DEP_2) | instskip(SKIP_1) | instid1(TRANS32_DEP_1)
	v_cndmask_b32_e64 v88, 0, v71, s9
	v_fma_f32 v71, s19, v104, -v68
	v_cndmask_b32_e64 v87, 0, v69, s7
	s_delay_alu instid0(VALU_DEP_4) | instskip(NEXT) | instid1(VALU_DEP_2)
	v_exp_f32_e32 v77, v77
	v_dual_add_f32 v70, v70, v85 :: v_dual_mul_f32 v71, 0x3fb8aa3b, v71
	s_delay_alu instid0(VALU_DEP_1) | instskip(SKIP_2) | instid1(VALU_DEP_3)
	v_dual_mul_f32 v72, 0x3fb8aa3b, v72 :: v_dual_add_f32 v69, v70, v86
	v_mul_f32_e32 v78, 0x3fb8aa3b, v78
	v_fma_f32 v70, s19, v102, -v68
	v_exp_f32_e32 v72, v72
	v_exp_f32_e32 v82, v71
	v_add_f32_e32 v69, v69, v87
	v_exp_f32_e32 v78, v78
	v_mul_f32_e32 v70, 0x3fb8aa3b, v70
	s_delay_alu instid0(VALU_DEP_1) | instskip(SKIP_4) | instid1(VALU_DEP_2)
	v_exp_f32_e32 v79, v70
	v_cndmask_b32_e64 v70, 0, v72, s10
	s_waitcnt_depctr 0xfff
	v_cndmask_b32_e64 v84, 0, v78, s8
	v_fma_f32 v78, s19, v103, -v68
	v_add_f32_e32 v69, v69, v84
	v_cndmask_b32_e64 v71, 0, v79, s12
	s_delay_alu instid0(VALU_DEP_2) | instskip(SKIP_2) | instid1(VALU_DEP_1)
	v_add_f32_e32 v72, v69, v88
	v_cndmask_b32_e64 v69, 0, v77, s11
	v_fma_f32 v77, s19, v106, -v68
	v_dual_mul_f32 v77, 0x3fb8aa3b, v77 :: v_dual_add_f32 v72, v72, v70
	v_mul_f32_e32 v78, 0x3fb8aa3b, v78
	s_delay_alu instid0(VALU_DEP_2) | instskip(NEXT) | instid1(VALU_DEP_2)
	v_exp_f32_e32 v90, v77
	v_add_f32_e32 v79, v72, v69
	s_delay_alu instid0(VALU_DEP_2)
	v_exp_f32_e32 v78, v78
	v_cndmask_b32_e64 v77, 0, v82, s15
	s_waitcnt_depctr 0xfff
	v_cndmask_b32_e64 v72, 0, v78, s13
	v_add_f32_e32 v78, v79, v71
	v_fma_f32 v79, s19, v107, -v68
	s_delay_alu instid0(VALU_DEP_1) | instskip(SKIP_1) | instid1(VALU_DEP_2)
	v_dual_add_f32 v82, v78, v72 :: v_dual_mul_f32 v79, 0x3fb8aa3b, v79
	v_cndmask_b32_e64 v78, 0, v81, s16
	v_add_f32_e32 v81, v82, v77
	s_delay_alu instid0(VALU_DEP_3) | instskip(SKIP_1) | instid1(VALU_DEP_2)
	v_exp_f32_e32 v82, v79
	v_cndmask_b32_e64 v79, 0, v90, s17
	v_add_f32_e32 v81, v81, v78
	s_delay_alu instid0(VALU_DEP_1) | instskip(SKIP_2) | instid1(VALU_DEP_1)
	v_add_f32_e32 v90, v81, v79
	s_waitcnt_depctr 0xfff
	v_cndmask_b32_e64 v81, 0, v82, s18
	v_add_f32_e32 v82, v90, v81
	ds_bpermute_b32 v89, v89, v82
	v_cmpx_gt_u32_e32 16, v67
	s_cbranch_execz .LBB1733_12
; %bb.11:
	v_mul_u32_u24_e32 v67, 0x44, v65
	s_delay_alu instid0(VALU_DEP_1) | instskip(SKIP_1) | instid1(VALU_DEP_1)
	v_lshl_add_u32 v67, v66, 2, v67
	s_waitcnt lgkmcnt(0)
	v_dual_add_f32 v82, v82, v89 :: v_dual_add_nc_u32 v67, 0x4000, v67
	ds_store_2addr_b32 v67, v68, v82 offset1:136
.LBB1733_12:
	s_or_b32 exec_lo, exec_lo, s3
	v_lshlrev_b32_e32 v67, 2, v66
	s_waitcnt lgkmcnt(0)
	s_barrier
	buffer_gl0_inv
	v_cmp_eq_u32_e32 vcc_lo, 1, v65
	v_add_nc_u32_e32 v82, 0x4000, v67
	v_cmp_eq_u32_e64 s3, 2, v65
	v_cmp_eq_u32_e64 s5, 7, v65
	ds_load_2addr_b32 v[89:90], v82 offset1:17
	ds_load_2addr_b32 v[91:92], v82 offset0:34 offset1:51
	ds_load_2addr_b32 v[93:94], v82 offset0:68 offset1:85
	;; [unrolled: 1-line block ×4, first 2 shown]
	s_waitcnt lgkmcnt(4)
	v_max3_f32 v67, v89, 0xff7fffff, v90
	s_waitcnt lgkmcnt(3)
	s_delay_alu instid0(VALU_DEP_1) | instskip(SKIP_1) | instid1(VALU_DEP_1)
	v_max3_f32 v67, v67, v91, v92
	s_waitcnt lgkmcnt(2)
	v_max3_f32 v67, v67, v93, v94
	s_waitcnt lgkmcnt(1)
	s_delay_alu instid0(VALU_DEP_1) | instskip(NEXT) | instid1(VALU_DEP_1)
	v_max3_f32 v67, v67, v95, v96
	v_sub_f32_e32 v93, v93, v67
	s_delay_alu instid0(VALU_DEP_1) | instskip(NEXT) | instid1(VALU_DEP_1)
	v_dual_sub_f32 v68, v89, v67 :: v_dual_mul_f32 v103, 0x3fb8aa3b, v93
	v_mul_f32_e32 v68, 0x3fb8aa3b, v68
	s_delay_alu instid0(VALU_DEP_1)
	v_exp_f32_e32 v100, v68
	v_sub_f32_e32 v68, v92, v67
	v_sub_f32_e32 v99, v90, v67
	ds_load_2addr_b32 v[89:90], v82 offset0:170 offset1:187
	v_dual_mul_f32 v102, 0x3fb8aa3b, v68 :: v_dual_mul_f32 v99, 0x3fb8aa3b, v99
	s_waitcnt lgkmcnt(1)
	v_fma_f32 v68, v100, v97, 0
	s_delay_alu instid0(VALU_DEP_2) | instskip(NEXT) | instid1(VALU_DEP_2)
	v_exp_f32_e32 v102, v102
	v_exp_f32_e32 v99, v99
	s_waitcnt_depctr 0xfff
	v_fmac_f32_e32 v68, v99, v98
	v_sub_f32_e32 v91, v91, v67
	s_delay_alu instid0(VALU_DEP_1)
	v_mul_f32_e32 v101, 0x3fb8aa3b, v91
	ds_load_2addr_b32 v[91:92], v82 offset0:204 offset1:221
	v_sub_f32_e32 v97, v94, v67
	ds_load_2addr_b32 v[93:94], v82 offset0:238 offset1:255
	s_waitcnt lgkmcnt(0)
	v_exp_f32_e32 v101, v101
	s_barrier
	buffer_gl0_inv
	v_dual_fmac_f32 v68, v101, v89 :: v_dual_sub_f32 v89, v96, v67
	v_dual_sub_f32 v82, v95, v67 :: v_dual_mul_f32 v95, 0x3fb8aa3b, v97
	v_exp_f32_e32 v97, v103
	s_delay_alu instid0(VALU_DEP_2) | instskip(NEXT) | instid1(VALU_DEP_2)
	v_dual_fmac_f32 v68, v102, v90 :: v_dual_mul_f32 v89, 0x3fb8aa3b, v89
	v_mul_f32_e32 v82, 0x3fb8aa3b, v82
	s_delay_alu instid0(VALU_DEP_3) | instskip(NEXT) | instid1(VALU_DEP_2)
	v_exp_f32_e32 v95, v95
	v_exp_f32_e32 v89, v89
	s_delay_alu instid0(VALU_DEP_1)
	v_exp_f32_e32 v82, v82
	v_fmac_f32_e32 v68, v97, v91
	s_delay_alu instid0(TRANS32_DEP_3) | instid1(VALU_DEP_1)
	v_fmac_f32_e32 v68, v95, v92
	s_waitcnt_depctr 0xfff
	v_fmac_f32_e32 v68, v82, v93
	s_delay_alu instid0(VALU_DEP_1) | instskip(NEXT) | instid1(VALU_DEP_1)
	v_fmac_f32_e32 v68, v89, v94
	v_add_f32_e32 v90, 0x358637bd, v68
	s_delay_alu instid0(VALU_DEP_1) | instskip(NEXT) | instid1(VALU_DEP_1)
	v_div_scale_f32 v91, null, v90, v90, 1.0
	v_rcp_f32_e32 v92, v91
	s_waitcnt_depctr 0xfff
	v_fma_f32 v93, -v91, v92, 1.0
	s_delay_alu instid0(VALU_DEP_1) | instskip(SKIP_1) | instid1(VALU_DEP_2)
	v_dual_fmac_f32 v92, v93, v92 :: v_dual_cndmask_b32 v93, v100, v99
	v_cmp_eq_u32_e32 vcc_lo, 3, v65
	v_cndmask_b32_e64 v93, v93, v101, s3
	v_cmp_eq_u32_e64 s3, 4, v65
	s_delay_alu instid0(VALU_DEP_2) | instskip(SKIP_1) | instid1(VALU_DEP_2)
	v_cndmask_b32_e32 v93, v93, v102, vcc_lo
	v_cmp_eq_u32_e32 vcc_lo, 5, v65
	v_cndmask_b32_e64 v93, v93, v97, s3
	v_cmp_eq_u32_e64 s3, 6, v65
	s_delay_alu instid0(VALU_DEP_2) | instskip(SKIP_1) | instid1(VALU_DEP_1)
	v_cndmask_b32_e32 v93, v93, v95, vcc_lo
	v_div_scale_f32 v94, s4, 1.0, v90, 1.0
	s_mov_b32 vcc_lo, s4
	s_delay_alu instid0(VALU_DEP_2) | instskip(NEXT) | instid1(VALU_DEP_2)
	v_cndmask_b32_e64 v82, v93, v82, s3
	v_mul_f32_e32 v96, v94, v92
	s_mov_b32 s3, exec_lo
	s_delay_alu instid0(VALU_DEP_2) | instskip(NEXT) | instid1(VALU_DEP_2)
	v_cndmask_b32_e64 v82, v82, v89, s5
	v_fma_f32 v98, -v91, v96, v94
	s_delay_alu instid0(VALU_DEP_1) | instskip(NEXT) | instid1(VALU_DEP_1)
	v_fmac_f32_e32 v96, v98, v92
	v_fma_f32 v91, -v91, v96, v94
	s_delay_alu instid0(VALU_DEP_1) | instskip(NEXT) | instid1(VALU_DEP_1)
	v_div_fmas_f32 v91, v91, v92, v96
	v_div_fixup_f32 v90, v91, v90, 1.0
	s_delay_alu instid0(VALU_DEP_1) | instskip(NEXT) | instid1(VALU_DEP_1)
	v_mul_f32_e32 v82, v82, v90
	v_mul_f32_e32 v87, v82, v87
	;; [unrolled: 1-line block ×7, first 2 shown]
	v_dual_mul_f32 v86, v82, v83 :: v_dual_and_b32 v91, 0x7f800000, v90
	v_mul_f32_e32 v85, v82, v76
                                        ; implicit-def: $vgpr76
	s_delay_alu instid0(VALU_DEP_2)
	v_cmpx_ne_u32_e32 0x7f800000, v91
	s_xor_b32 s3, exec_lo, s3
; %bb.13:
	v_bfe_u32 v76, v90, 16, 1
	s_delay_alu instid0(VALU_DEP_1)
	v_add3_u32 v76, v90, v76, 0x7fff
                                        ; implicit-def: $vgpr90
; %bb.14:
	s_and_not1_saveexec_b32 s3, s3
; %bb.15:
	v_and_b32_e32 v76, 0xffff, v90
	v_or_b32_e32 v83, 0x10000, v90
	s_delay_alu instid0(VALU_DEP_2) | instskip(NEXT) | instid1(VALU_DEP_2)
	v_cmp_eq_u32_e32 vcc_lo, 0, v76
	v_cndmask_b32_e32 v76, v83, v90, vcc_lo
; %bb.16:
	s_or_b32 exec_lo, exec_lo, s3
	v_and_b32_e32 v83, 0x7f800000, v85
	s_delay_alu instid0(VALU_DEP_1) | instskip(SKIP_1) | instid1(SALU_CYCLE_1)
	v_cmp_ne_u32_e32 vcc_lo, 0x7f800000, v83
                                        ; implicit-def: $vgpr83
	s_and_saveexec_b32 s3, vcc_lo
	s_xor_b32 s3, exec_lo, s3
; %bb.17:
	v_bfe_u32 v83, v85, 16, 1
	s_delay_alu instid0(VALU_DEP_1)
	v_add3_u32 v83, v85, v83, 0x7fff
                                        ; implicit-def: $vgpr85
; %bb.18:
	s_and_not1_saveexec_b32 s3, s3
; %bb.19:
	v_and_b32_e32 v83, 0xffff, v85
	v_or_b32_e32 v90, 0x10000, v85
	s_delay_alu instid0(VALU_DEP_2) | instskip(NEXT) | instid1(VALU_DEP_2)
	v_cmp_eq_u32_e32 vcc_lo, 0, v83
	v_cndmask_b32_e32 v83, v90, v85, vcc_lo
; %bb.20:
	s_or_b32 exec_lo, exec_lo, s3
	v_and_b32_e32 v85, 0x7f800000, v86
	s_delay_alu instid0(VALU_DEP_1) | instskip(SKIP_1) | instid1(SALU_CYCLE_1)
	v_cmp_ne_u32_e32 vcc_lo, 0x7f800000, v85
                                        ; implicit-def: $vgpr85
	s_and_saveexec_b32 s3, vcc_lo
	s_xor_b32 s3, exec_lo, s3
; %bb.21:
	v_bfe_u32 v85, v86, 16, 1
	s_delay_alu instid0(VALU_DEP_1)
	v_add3_u32 v85, v86, v85, 0x7fff
                                        ; implicit-def: $vgpr86
; %bb.22:
	s_and_not1_saveexec_b32 s3, s3
; %bb.23:
	v_and_b32_e32 v85, 0xffff, v86
	v_or_b32_e32 v90, 0x10000, v86
	s_delay_alu instid0(VALU_DEP_2) | instskip(NEXT) | instid1(VALU_DEP_2)
	v_cmp_eq_u32_e32 vcc_lo, 0, v85
	v_cndmask_b32_e32 v85, v90, v86, vcc_lo
; %bb.24:
	s_or_b32 exec_lo, exec_lo, s3
	v_and_b32_e32 v86, 0x7f800000, v89
	s_delay_alu instid0(VALU_DEP_1) | instskip(SKIP_1) | instid1(SALU_CYCLE_1)
	v_cmp_ne_u32_e32 vcc_lo, 0x7f800000, v86
                                        ; implicit-def: $vgpr86
	s_and_saveexec_b32 s3, vcc_lo
	s_xor_b32 s3, exec_lo, s3
; %bb.25:
	v_bfe_u32 v86, v89, 16, 1
	s_delay_alu instid0(VALU_DEP_1)
	v_add3_u32 v86, v89, v86, 0x7fff
                                        ; implicit-def: $vgpr89
; %bb.26:
	s_and_not1_saveexec_b32 s3, s3
; %bb.27:
	v_and_b32_e32 v86, 0xffff, v89
	v_or_b32_e32 v90, 0x10000, v89
	s_delay_alu instid0(VALU_DEP_2) | instskip(NEXT) | instid1(VALU_DEP_2)
	v_cmp_eq_u32_e32 vcc_lo, 0, v86
	v_cndmask_b32_e32 v86, v90, v89, vcc_lo
; %bb.28:
	s_or_b32 exec_lo, exec_lo, s3
	v_and_b32_e32 v89, 0x7f800000, v88
	s_delay_alu instid0(VALU_DEP_1) | instskip(SKIP_1) | instid1(SALU_CYCLE_1)
	v_cmp_ne_u32_e32 vcc_lo, 0x7f800000, v89
                                        ; implicit-def: $vgpr89
	s_and_saveexec_b32 s3, vcc_lo
	s_xor_b32 s3, exec_lo, s3
; %bb.29:
	v_bfe_u32 v89, v88, 16, 1
	s_delay_alu instid0(VALU_DEP_1)
	v_add3_u32 v89, v88, v89, 0x7fff
                                        ; implicit-def: $vgpr88
; %bb.30:
	s_and_not1_saveexec_b32 s3, s3
; %bb.31:
	v_and_b32_e32 v89, 0xffff, v88
	v_or_b32_e32 v90, 0x10000, v88
	s_delay_alu instid0(VALU_DEP_2) | instskip(NEXT) | instid1(VALU_DEP_2)
	v_cmp_eq_u32_e32 vcc_lo, 0, v89
	v_cndmask_b32_e32 v89, v90, v88, vcc_lo
; %bb.32:
	s_or_b32 exec_lo, exec_lo, s3
	v_and_b32_e32 v88, 0x7f800000, v87
	s_delay_alu instid0(VALU_DEP_1) | instskip(SKIP_1) | instid1(SALU_CYCLE_1)
	v_cmp_ne_u32_e32 vcc_lo, 0x7f800000, v88
                                        ; implicit-def: $vgpr88
	s_and_saveexec_b32 s3, vcc_lo
	s_xor_b32 s3, exec_lo, s3
; %bb.33:
	v_bfe_u32 v88, v87, 16, 1
	s_delay_alu instid0(VALU_DEP_1)
	v_add3_u32 v88, v87, v88, 0x7fff
                                        ; implicit-def: $vgpr87
; %bb.34:
	s_and_not1_saveexec_b32 s3, s3
; %bb.35:
	v_and_b32_e32 v88, 0xffff, v87
	v_or_b32_e32 v90, 0x10000, v87
	s_delay_alu instid0(VALU_DEP_2) | instskip(NEXT) | instid1(VALU_DEP_2)
	v_cmp_eq_u32_e32 vcc_lo, 0, v88
	v_cndmask_b32_e32 v88, v90, v87, vcc_lo
; %bb.36:
	s_or_b32 exec_lo, exec_lo, s3
	v_and_b32_e32 v87, 0x7f800000, v84
	s_delay_alu instid0(VALU_DEP_1) | instskip(SKIP_1) | instid1(SALU_CYCLE_1)
	v_cmp_ne_u32_e32 vcc_lo, 0x7f800000, v87
                                        ; implicit-def: $vgpr87
	s_and_saveexec_b32 s3, vcc_lo
	s_xor_b32 s3, exec_lo, s3
; %bb.37:
	v_bfe_u32 v87, v84, 16, 1
	s_delay_alu instid0(VALU_DEP_1)
	v_add3_u32 v87, v84, v87, 0x7fff
                                        ; implicit-def: $vgpr84
; %bb.38:
	s_and_not1_saveexec_b32 s3, s3
; %bb.39:
	v_and_b32_e32 v87, 0xffff, v84
	v_or_b32_e32 v90, 0x10000, v84
	s_delay_alu instid0(VALU_DEP_2) | instskip(NEXT) | instid1(VALU_DEP_2)
	v_cmp_eq_u32_e32 vcc_lo, 0, v87
	v_cndmask_b32_e32 v87, v90, v84, vcc_lo
; %bb.40:
	s_or_b32 exec_lo, exec_lo, s3
	v_and_b32_e32 v84, 0x7f800000, v80
	s_delay_alu instid0(VALU_DEP_1) | instskip(SKIP_1) | instid1(SALU_CYCLE_1)
	v_cmp_ne_u32_e32 vcc_lo, 0x7f800000, v84
                                        ; implicit-def: $vgpr84
	s_and_saveexec_b32 s3, vcc_lo
	s_xor_b32 s3, exec_lo, s3
; %bb.41:
	v_bfe_u32 v84, v80, 16, 1
	s_delay_alu instid0(VALU_DEP_1)
	v_add3_u32 v84, v80, v84, 0x7fff
                                        ; implicit-def: $vgpr80
; %bb.42:
	s_and_not1_saveexec_b32 s3, s3
; %bb.43:
	v_and_b32_e32 v84, 0xffff, v80
	v_or_b32_e32 v90, 0x10000, v80
	s_delay_alu instid0(VALU_DEP_2) | instskip(NEXT) | instid1(VALU_DEP_2)
	v_cmp_eq_u32_e32 vcc_lo, 0, v84
	v_cndmask_b32_e32 v84, v90, v80, vcc_lo
; %bb.44:
	s_or_b32 exec_lo, exec_lo, s3
	s_load_b64 s[34:35], s[0:1], 0x94
	v_lshlrev_b32_e32 v91, 4, v75
	s_delay_alu instid0(VALU_DEP_2)
	v_perm_b32 v90, v84, v87, 0x7060302
	v_dual_mul_f32 v77, v82, v77 :: v_dual_lshlrev_b32 v80, 6, v66
	v_lshlrev_b32_e32 v66, 11, v65
	v_perm_b32 v87, v83, v76, 0x7060302
	v_mul_f32_e32 v83, v82, v70
	v_perm_b32 v89, v88, v89, 0x7060302
	v_perm_b32 v88, v86, v85, 0x7060302
	v_or3_b32 v76, v91, v66, v80
	v_mul_f32_e32 v66, v82, v81
	v_mul_f32_e32 v70, v82, v79
	;; [unrolled: 1-line block ×3, first 2 shown]
	v_dual_mul_f32 v81, v82, v72 :: v_dual_and_b32 v84, 0x7f800000, v83
	v_mul_f32_e32 v79, v82, v71
	v_mul_f32_e32 v72, v82, v69
	s_mov_b32 s3, exec_lo
	ds_store_b128 v76, v[87:90]
                                        ; implicit-def: $vgpr69
	v_cmpx_ne_u32_e32 0x7f800000, v84
	s_xor_b32 s3, exec_lo, s3
; %bb.45:
	v_bfe_u32 v69, v83, 16, 1
	s_delay_alu instid0(VALU_DEP_1)
	v_add3_u32 v69, v83, v69, 0x7fff
                                        ; implicit-def: $vgpr83
; %bb.46:
	s_and_not1_saveexec_b32 s3, s3
; %bb.47:
	v_and_b32_e32 v69, 0xffff, v83
	v_or_b32_e32 v71, 0x10000, v83
	s_delay_alu instid0(VALU_DEP_2) | instskip(NEXT) | instid1(VALU_DEP_2)
	v_cmp_eq_u32_e32 vcc_lo, 0, v69
	v_cndmask_b32_e32 v69, v71, v83, vcc_lo
; %bb.48:
	s_or_b32 exec_lo, exec_lo, s3
	v_and_b32_e32 v71, 0x7f800000, v72
	s_delay_alu instid0(VALU_DEP_1) | instskip(SKIP_1) | instid1(SALU_CYCLE_1)
	v_cmp_ne_u32_e32 vcc_lo, 0x7f800000, v71
                                        ; implicit-def: $vgpr71
	s_and_saveexec_b32 s3, vcc_lo
	s_xor_b32 s3, exec_lo, s3
; %bb.49:
	v_bfe_u32 v71, v72, 16, 1
	s_delay_alu instid0(VALU_DEP_1)
	v_add3_u32 v71, v72, v71, 0x7fff
                                        ; implicit-def: $vgpr72
; %bb.50:
	s_and_not1_saveexec_b32 s3, s3
; %bb.51:
	v_and_b32_e32 v71, 0xffff, v72
	v_or_b32_e32 v82, 0x10000, v72
	s_delay_alu instid0(VALU_DEP_2) | instskip(NEXT) | instid1(VALU_DEP_2)
	v_cmp_eq_u32_e32 vcc_lo, 0, v71
	v_cndmask_b32_e32 v71, v82, v72, vcc_lo
; %bb.52:
	s_or_b32 exec_lo, exec_lo, s3
	v_and_b32_e32 v72, 0x7f800000, v79
	s_delay_alu instid0(VALU_DEP_1) | instskip(SKIP_1) | instid1(SALU_CYCLE_1)
	v_cmp_ne_u32_e32 vcc_lo, 0x7f800000, v72
                                        ; implicit-def: $vgpr72
	s_and_saveexec_b32 s3, vcc_lo
	s_xor_b32 s3, exec_lo, s3
; %bb.53:
	v_bfe_u32 v72, v79, 16, 1
	s_delay_alu instid0(VALU_DEP_1)
	v_add3_u32 v72, v79, v72, 0x7fff
                                        ; implicit-def: $vgpr79
; %bb.54:
	s_and_not1_saveexec_b32 s3, s3
; %bb.55:
	v_and_b32_e32 v72, 0xffff, v79
	v_or_b32_e32 v82, 0x10000, v79
	s_delay_alu instid0(VALU_DEP_2) | instskip(NEXT) | instid1(VALU_DEP_2)
	v_cmp_eq_u32_e32 vcc_lo, 0, v72
	v_cndmask_b32_e32 v72, v82, v79, vcc_lo
; %bb.56:
	s_or_b32 exec_lo, exec_lo, s3
	v_and_b32_e32 v79, 0x7f800000, v81
	s_delay_alu instid0(VALU_DEP_1) | instskip(SKIP_1) | instid1(SALU_CYCLE_1)
	v_cmp_ne_u32_e32 vcc_lo, 0x7f800000, v79
                                        ; implicit-def: $vgpr79
	s_and_saveexec_b32 s3, vcc_lo
	s_xor_b32 s3, exec_lo, s3
; %bb.57:
	v_bfe_u32 v79, v81, 16, 1
	s_delay_alu instid0(VALU_DEP_1)
	v_add3_u32 v79, v81, v79, 0x7fff
                                        ; implicit-def: $vgpr81
; %bb.58:
	s_and_not1_saveexec_b32 s3, s3
; %bb.59:
	v_and_b32_e32 v79, 0xffff, v81
	v_or_b32_e32 v82, 0x10000, v81
	s_delay_alu instid0(VALU_DEP_2) | instskip(NEXT) | instid1(VALU_DEP_2)
	v_cmp_eq_u32_e32 vcc_lo, 0, v79
	v_cndmask_b32_e32 v79, v82, v81, vcc_lo
; %bb.60:
	s_or_b32 exec_lo, exec_lo, s3
	v_and_b32_e32 v81, 0x7f800000, v77
	s_delay_alu instid0(VALU_DEP_1) | instskip(SKIP_1) | instid1(SALU_CYCLE_1)
	v_cmp_ne_u32_e32 vcc_lo, 0x7f800000, v81
                                        ; implicit-def: $vgpr81
	s_and_saveexec_b32 s3, vcc_lo
	s_xor_b32 s3, exec_lo, s3
; %bb.61:
	v_bfe_u32 v81, v77, 16, 1
	s_delay_alu instid0(VALU_DEP_1)
	v_add3_u32 v81, v77, v81, 0x7fff
                                        ; implicit-def: $vgpr77
; %bb.62:
	s_and_not1_saveexec_b32 s3, s3
; %bb.63:
	v_and_b32_e32 v81, 0xffff, v77
	v_or_b32_e32 v82, 0x10000, v77
	s_delay_alu instid0(VALU_DEP_2) | instskip(NEXT) | instid1(VALU_DEP_2)
	v_cmp_eq_u32_e32 vcc_lo, 0, v81
	v_cndmask_b32_e32 v81, v82, v77, vcc_lo
; %bb.64:
	s_or_b32 exec_lo, exec_lo, s3
	v_and_b32_e32 v77, 0x7f800000, v78
	s_delay_alu instid0(VALU_DEP_1) | instskip(SKIP_1) | instid1(SALU_CYCLE_1)
	v_cmp_ne_u32_e32 vcc_lo, 0x7f800000, v77
                                        ; implicit-def: $vgpr77
	s_and_saveexec_b32 s3, vcc_lo
	s_xor_b32 s3, exec_lo, s3
; %bb.65:
	v_bfe_u32 v77, v78, 16, 1
	s_delay_alu instid0(VALU_DEP_1)
	v_add3_u32 v77, v78, v77, 0x7fff
                                        ; implicit-def: $vgpr78
; %bb.66:
	s_and_not1_saveexec_b32 s3, s3
; %bb.67:
	v_and_b32_e32 v77, 0xffff, v78
	v_or_b32_e32 v82, 0x10000, v78
	s_delay_alu instid0(VALU_DEP_2) | instskip(NEXT) | instid1(VALU_DEP_2)
	v_cmp_eq_u32_e32 vcc_lo, 0, v77
	v_cndmask_b32_e32 v77, v82, v78, vcc_lo
; %bb.68:
	s_or_b32 exec_lo, exec_lo, s3
	v_and_b32_e32 v78, 0x7f800000, v70
	s_delay_alu instid0(VALU_DEP_1) | instskip(SKIP_1) | instid1(SALU_CYCLE_1)
	v_cmp_ne_u32_e32 vcc_lo, 0x7f800000, v78
                                        ; implicit-def: $vgpr78
	s_and_saveexec_b32 s3, vcc_lo
	s_xor_b32 s3, exec_lo, s3
; %bb.69:
	v_bfe_u32 v78, v70, 16, 1
	s_delay_alu instid0(VALU_DEP_1)
	v_add3_u32 v78, v70, v78, 0x7fff
                                        ; implicit-def: $vgpr70
; %bb.70:
	s_and_not1_saveexec_b32 s3, s3
; %bb.71:
	v_and_b32_e32 v78, 0xffff, v70
	v_or_b32_e32 v82, 0x10000, v70
	s_delay_alu instid0(VALU_DEP_2) | instskip(NEXT) | instid1(VALU_DEP_2)
	v_cmp_eq_u32_e32 vcc_lo, 0, v78
	v_cndmask_b32_e32 v78, v82, v70, vcc_lo
; %bb.72:
	s_or_b32 exec_lo, exec_lo, s3
	v_and_b32_e32 v70, 0x7f800000, v66
	s_delay_alu instid0(VALU_DEP_1) | instskip(SKIP_1) | instid1(SALU_CYCLE_1)
	v_cmp_ne_u32_e32 vcc_lo, 0x7f800000, v70
                                        ; implicit-def: $vgpr70
	s_and_saveexec_b32 s3, vcc_lo
	s_xor_b32 s3, exec_lo, s3
; %bb.73:
	v_bfe_u32 v70, v66, 16, 1
	s_delay_alu instid0(VALU_DEP_1)
	v_add3_u32 v70, v66, v70, 0x7fff
                                        ; implicit-def: $vgpr66
; %bb.74:
	s_and_not1_saveexec_b32 s3, s3
; %bb.75:
	v_and_b32_e32 v70, 0xffff, v66
	v_or_b32_e32 v82, 0x10000, v66
	s_delay_alu instid0(VALU_DEP_2) | instskip(NEXT) | instid1(VALU_DEP_2)
	v_cmp_eq_u32_e32 vcc_lo, 0, v70
	v_cndmask_b32_e32 v70, v82, v66, vcc_lo
; %bb.76:
	s_or_b32 exec_lo, exec_lo, s3
	s_delay_alu instid0(VALU_DEP_1)
	v_perm_b32 v86, v70, v78, 0x7060302
	v_perm_b32 v85, v77, v81, 0x7060302
	;; [unrolled: 1-line block ×4, first 2 shown]
	v_lshl_or_b32 v82, v65, 11, v80
	ds_store_b128 v76, v[83:86] offset:1024
	s_waitcnt lgkmcnt(0)
	s_barrier
	buffer_gl0_inv
	ds_load_b128 v[69:72], v82
	ds_load_b128 v[83:86], v82 offset:16
	s_waitcnt lgkmcnt(1)
	v_lshrrev_b32_e32 v65, 16, v69
	v_lshlrev_b32_e32 v78, 2, v75
	s_waitcnt lgkmcnt(0)
	v_lshrrev_b32_e32 v91, 16, v83
	v_lshrrev_b32_e32 v66, 16, v70
	;; [unrolled: 1-line block ×4, first 2 shown]
	v_cmp_eq_u32_e32 vcc_lo, 1, v78
	v_lshrrev_b32_e32 v98, 16, v85
	v_lshrrev_b32_e32 v96, 16, v72
	;; [unrolled: 1-line block ×3, first 2 shown]
	v_cndmask_b32_e32 v81, v69, v65, vcc_lo
	v_or_b32_e32 v79, 1, v78
	v_cmp_eq_u32_e64 s4, 2, v78
	v_cndmask_b32_e32 v87, v83, v91, vcc_lo
	v_cmp_eq_u32_e64 s7, 3, v78
	v_cmp_eq_u32_e64 s9, 4, v78
	;; [unrolled: 1-line block ×3, first 2 shown]
	v_cndmask_b32_e64 v81, v81, v70, s4
	v_cmp_eq_u32_e64 s6, 2, v79
	v_cndmask_b32_e64 v87, v87, v84, s4
	v_cmp_eq_u32_e64 s8, 3, v79
	v_cndmask_b32_e64 v88, v69, v65, s3
	v_cndmask_b32_e64 v81, v81, v66, s7
	v_or_b32_e32 v77, 2, v78
	v_cndmask_b32_e64 v87, v87, v97, s7
	v_cndmask_b32_e64 v89, v83, v91, s3
	v_cndmask_b32_e64 v88, v88, v70, s6
	v_cndmask_b32_e64 v81, v81, v71, s9
	v_cmp_eq_u32_e64 s10, 5, v78
	v_cndmask_b32_e64 v87, v87, v85, s9
	v_cmp_eq_u32_e64 s11, 4, v79
	v_cndmask_b32_e64 v88, v88, v66, s8
	;; [unrolled: 2-line block ×3, first 2 shown]
	v_cndmask_b32_e64 v81, v81, v95, s10
	v_cmp_eq_u32_e64 s12, 6, v78
	v_cndmask_b32_e64 v88, v88, v71, s11
	v_cndmask_b32_e64 v87, v87, v98, s10
	v_cmp_eq_u32_e64 s13, 5, v79
	v_cndmask_b32_e64 v90, v69, v65, s5
	v_cndmask_b32_e64 v89, v89, v97, s8
	;; [unrolled: 1-line block ×3, first 2 shown]
	v_cmp_eq_u32_e64 s15, 7, v78
	v_cndmask_b32_e64 v88, v88, v95, s13
	v_cndmask_b32_e64 v87, v87, v86, s12
	v_cmp_eq_u32_e64 s16, 6, v79
	v_cmp_eq_u32_e64 s17, 2, v77
	v_cndmask_b32_e64 v89, v89, v85, s11
	v_cndmask_b32_e64 v100, v81, v96, s15
	;; [unrolled: 1-line block ×6, first 2 shown]
	v_cmp_eq_u32_e64 s18, 7, v79
	v_cmp_eq_u32_e64 s19, 3, v77
	;; [unrolled: 1-line block ×4, first 2 shown]
	v_cndmask_b32_e64 v87, v87, v84, s17
	v_cndmask_b32_e64 v102, v88, v96, s18
	;; [unrolled: 1-line block ×4, first 2 shown]
	v_or_b32_e32 v81, 3, v78
	v_cndmask_b32_e64 v93, v87, v97, s19
	v_cmp_eq_u32_e64 s24, 6, v77
	v_cndmask_b32_e64 v103, v88, v86, s16
	v_cndmask_b32_e64 v92, v89, v71, s20
	v_cmp_eq_u32_e64 s21, 1, v81
	ds_load_b128 v[87:90], v82 offset:1024
	v_cmp_eq_u32_e64 s23, 2, v81
	v_cmp_eq_u32_e64 s25, 3, v81
	v_cndmask_b32_e64 v104, v92, v95, s22
	v_cndmask_b32_e64 v65, v69, v65, s21
	;; [unrolled: 1-line block ×4, first 2 shown]
	ds_load_b128 v[91:94], v82 offset:1040
	v_cmp_eq_u32_e64 s26, 4, v81
	v_cndmask_b32_e64 v65, v65, v70, s23
	v_cmp_eq_u32_e64 s28, 5, v81
	v_cndmask_b32_e64 v70, v83, v84, s23
	v_cmp_eq_u32_e64 s29, 6, v81
	v_cndmask_b32_e64 v69, v69, v98, s22
	v_cndmask_b32_e64 v65, v65, v66, s25
	v_cndmask_b32_e64 v66, v104, v72, s24
	;; [unrolled: 1-line block ×3, first 2 shown]
	v_cmp_eq_u32_e64 s27, 7, v77
	v_cndmask_b32_e64 v69, v69, v86, s24
	v_cndmask_b32_e64 v65, v65, v71, s26
	s_waitcnt lgkmcnt(1)
	v_lshrrev_b32_e32 v84, 16, v87
	v_cndmask_b32_e64 v70, v70, v85, s26
	v_cndmask_b32_e64 v83, v103, v99, s18
	;; [unrolled: 1-line block ×4, first 2 shown]
	v_lshrrev_b32_e32 v95, 16, v88
	v_cndmask_b32_e64 v70, v70, v98, s28
	s_waitcnt lgkmcnt(0)
	v_lshrrev_b32_e32 v85, 16, v91
	v_cndmask_b32_e64 v97, v87, v84, s3
	v_cndmask_b32_e64 v65, v65, v72, s29
	;; [unrolled: 1-line block ×4, first 2 shown]
	v_cndmask_b32_e32 v71, v87, v84, vcc_lo
	v_cndmask_b32_e32 v98, v91, v85, vcc_lo
	v_cmp_eq_u32_e32 vcc_lo, 7, v81
	v_cndmask_b32_e64 v72, v97, v88, s6
	v_lshrrev_b32_e32 v97, 16, v92
	v_lshrrev_b32_e32 v103, 16, v90
	v_dual_cndmask_b32 v65, v65, v96 :: v_dual_cndmask_b32 v70, v70, v99
	v_cndmask_b32_e64 v71, v71, v88, s4
	v_cndmask_b32_e64 v86, v98, v92, s4
	;; [unrolled: 1-line block ×3, first 2 shown]
	v_lshrrev_b32_e32 v98, 16, v89
	v_lshrrev_b32_e32 v99, 16, v93
	v_cndmask_b32_e64 v71, v71, v95, s7
	v_cndmask_b32_e64 v86, v86, v97, s7
	;; [unrolled: 1-line block ×3, first 2 shown]
	v_perm_b32 v72, v70, v65, 0x5040100
	v_perm_b32 v70, v83, v102, 0x5040100
	v_cndmask_b32_e64 v71, v71, v89, s9
	v_cndmask_b32_e64 v86, v86, v93, s9
	;; [unrolled: 1-line block ×3, first 2 shown]
	v_lshrrev_b32_e32 v83, 16, v94
	s_delay_alu instid0(VALU_DEP_4) | instskip(NEXT) | instid1(VALU_DEP_4)
	v_cndmask_b32_e64 v71, v71, v98, s10
	v_cndmask_b32_e64 v86, v86, v99, s10
	s_delay_alu instid0(VALU_DEP_4) | instskip(NEXT) | instid1(VALU_DEP_3)
	v_cndmask_b32_e64 v65, v65, v90, s16
	v_cndmask_b32_e64 v96, v71, v90, s12
	v_perm_b32 v71, v69, v66, 0x5040100
	s_delay_alu instid0(VALU_DEP_4)
	v_cndmask_b32_e64 v69, v86, v94, s12
	v_cndmask_b32_e64 v86, v87, v84, s5
	;; [unrolled: 1-line block ×34, first 2 shown]
	v_cndmask_b32_e32 v84, v84, v103, vcc_lo
	v_cndmask_b32_e32 v86, v87, v83, vcc_lo
	v_cndmask_b32_e64 v87, v88, v83, s27
	v_cndmask_b32_e64 v88, v85, v83, s18
	;; [unrolled: 1-line block ×3, first 2 shown]
	v_perm_b32 v69, v101, v100, 0x5040100
	v_perm_b32 v86, v86, v84, 0x5040100
	;; [unrolled: 1-line block ×5, first 2 shown]
	s_lshl_b32 s8, s35, 3
	s_mov_b32 s3, exec_lo
	ds_store_b128 v76, v[69:72]
	ds_store_b128 v76, v[83:86] offset:1024
	v_cmpx_gt_u32_e32 8, v0
	s_cbranch_execz .LBB1733_78
; %bb.77:
	v_or_b32_e32 v65, s31, v0
	s_load_b128 s[4:7], s[0:1], 0x58
	s_delay_alu instid0(VALU_DEP_1) | instskip(NEXT) | instid1(VALU_DEP_1)
	v_mad_u64_u32 v[69:70], null, s8, s30, v[65:66]
	v_mad_u64_u32 v[65:66], null, v69, s34, s[14:15]
	s_delay_alu instid0(VALU_DEP_1) | instskip(NEXT) | instid1(VALU_DEP_1)
	v_ashrrev_i32_e32 v66, 31, v65
	v_lshlrev_b64 v[65:66], 2, v[65:66]
	s_waitcnt lgkmcnt(0)
	s_delay_alu instid0(VALU_DEP_1) | instskip(NEXT) | instid1(VALU_DEP_2)
	v_add_co_u32 v69, vcc_lo, s6, v65
	v_add_co_ci_u32_e32 v70, vcc_lo, s7, v66, vcc_lo
	v_add_co_u32 v65, vcc_lo, s4, v65
	v_add_co_ci_u32_e32 v66, vcc_lo, s5, v66, vcc_lo
	global_store_b32 v[69:70], v67, off
	global_store_b32 v[65:66], v68, off
.LBB1733_78:
	s_or_b32 exec_lo, exec_lo, s3
	s_waitcnt lgkmcnt(0)
	s_waitcnt_vscnt null, 0x0
	s_barrier
	buffer_gl0_inv
	ds_load_b128 v[83:86], v80
	ds_load_b128 v[87:90], v80 offset:16
	ds_load_b128 v[95:98], v80 offset:2064
	;; [unrolled: 1-line block ×3, first 2 shown]
	v_mov_b32_e32 v65, 0
	ds_load_b128 v[103:106], v80 offset:4112
	ds_load_b128 v[99:102], v80 offset:4096
	;; [unrolled: 1-line block ×4, first 2 shown]
	v_mov_b32_e32 v66, v65
	v_mov_b32_e32 v67, v65
	v_mov_b32_e32 v68, v65
	v_mov_b32_e32 v69, v65
	v_mov_b32_e32 v70, v65
	v_mov_b32_e32 v71, v65
	v_mov_b32_e32 v72, v65
	s_waitcnt lgkmcnt(6)
	s_delay_alu instid0(VALU_DEP_1)
	v_wmma_f32_16x16x16_bf16 v[65:72], v[57:64], v[83:90], v[65:72]
	ds_load_b128 v[61:64], v80 offset:8208
	ds_load_b128 v[57:60], v80 offset:8192
	s_waitcnt lgkmcnt(6)
	v_wmma_f32_16x16x16_bf16 v[65:72], v[41:48], v[91:98], v[65:72]
	ds_load_b128 v[45:48], v80 offset:10256
	ds_load_b128 v[41:44], v80 offset:10240
	s_waitcnt lgkmcnt(6)
	;; [unrolled: 4-line block ×4, first 2 shown]
	v_wmma_f32_16x16x16_bf16 v[65:72], v[1:8], v[57:64], v[65:72]
	s_waitcnt lgkmcnt(4)
	s_delay_alu instid0(VALU_DEP_1) | instskip(SKIP_1) | instid1(VALU_DEP_1)
	v_wmma_f32_16x16x16_bf16 v[65:72], v[9:16], v[41:48], v[65:72]
	s_waitcnt lgkmcnt(2)
	v_wmma_f32_16x16x16_bf16 v[65:72], v[17:24], v[33:40], v[65:72]
	s_waitcnt lgkmcnt(0)
	s_delay_alu instid0(VALU_DEP_1) | instskip(NEXT) | instid1(VALU_DEP_1)
	v_wmma_f32_16x16x16_bf16 v[65:72], v[49:56], v[25:32], v[65:72]
	v_and_b32_e32 v1, 0x7f800000, v65
	s_delay_alu instid0(VALU_DEP_1) | instskip(SKIP_1) | instid1(SALU_CYCLE_1)
	v_cmp_ne_u32_e32 vcc_lo, 0x7f800000, v1
                                        ; implicit-def: $vgpr1
	s_and_saveexec_b32 s3, vcc_lo
	s_xor_b32 s3, exec_lo, s3
; %bb.79:
	v_bfe_u32 v1, v65, 16, 1
	s_delay_alu instid0(VALU_DEP_1)
	v_add3_u32 v1, v65, v1, 0x7fff
; %bb.80:
	s_and_not1_saveexec_b32 s3, s3
; %bb.81:
	v_and_b32_e32 v1, 0xffff, v65
	v_or_b32_e32 v2, 0x10000, v65
	s_delay_alu instid0(VALU_DEP_2) | instskip(NEXT) | instid1(VALU_DEP_2)
	v_cmp_eq_u32_e32 vcc_lo, 0, v1
	v_cndmask_b32_e32 v1, v2, v65, vcc_lo
; %bb.82:
	s_or_b32 exec_lo, exec_lo, s3
	v_and_b32_e32 v2, 0x7f800000, v66
	s_delay_alu instid0(VALU_DEP_1) | instskip(SKIP_1) | instid1(SALU_CYCLE_1)
	v_cmp_ne_u32_e32 vcc_lo, 0x7f800000, v2
                                        ; implicit-def: $vgpr2
	s_and_saveexec_b32 s3, vcc_lo
	s_xor_b32 s3, exec_lo, s3
; %bb.83:
	v_bfe_u32 v2, v66, 16, 1
	s_delay_alu instid0(VALU_DEP_1)
	v_add3_u32 v2, v66, v2, 0x7fff
; %bb.84:
	s_and_not1_saveexec_b32 s3, s3
; %bb.85:
	v_and_b32_e32 v2, 0xffff, v66
	v_or_b32_e32 v3, 0x10000, v66
	s_delay_alu instid0(VALU_DEP_2) | instskip(NEXT) | instid1(VALU_DEP_2)
	v_cmp_eq_u32_e32 vcc_lo, 0, v2
	v_cndmask_b32_e32 v2, v3, v66, vcc_lo
; %bb.86:
	s_or_b32 exec_lo, exec_lo, s3
	v_and_b32_e32 v3, 0x7f800000, v67
	s_delay_alu instid0(VALU_DEP_1) | instskip(SKIP_1) | instid1(SALU_CYCLE_1)
	v_cmp_ne_u32_e32 vcc_lo, 0x7f800000, v3
                                        ; implicit-def: $vgpr3
	s_and_saveexec_b32 s3, vcc_lo
	s_xor_b32 s3, exec_lo, s3
; %bb.87:
	v_bfe_u32 v3, v67, 16, 1
	s_delay_alu instid0(VALU_DEP_1)
	v_add3_u32 v3, v67, v3, 0x7fff
; %bb.88:
	s_and_not1_saveexec_b32 s3, s3
; %bb.89:
	v_and_b32_e32 v3, 0xffff, v67
	v_or_b32_e32 v4, 0x10000, v67
	s_delay_alu instid0(VALU_DEP_2) | instskip(NEXT) | instid1(VALU_DEP_2)
	v_cmp_eq_u32_e32 vcc_lo, 0, v3
	v_cndmask_b32_e32 v3, v4, v67, vcc_lo
; %bb.90:
	s_or_b32 exec_lo, exec_lo, s3
	v_and_b32_e32 v4, 0x7f800000, v68
	s_delay_alu instid0(VALU_DEP_1) | instskip(SKIP_1) | instid1(SALU_CYCLE_1)
	v_cmp_ne_u32_e32 vcc_lo, 0x7f800000, v4
                                        ; implicit-def: $vgpr4
	s_and_saveexec_b32 s3, vcc_lo
	s_xor_b32 s3, exec_lo, s3
; %bb.91:
	v_bfe_u32 v4, v68, 16, 1
	s_delay_alu instid0(VALU_DEP_1)
	v_add3_u32 v4, v68, v4, 0x7fff
; %bb.92:
	s_and_not1_saveexec_b32 s3, s3
; %bb.93:
	v_and_b32_e32 v4, 0xffff, v68
	v_or_b32_e32 v5, 0x10000, v68
	s_delay_alu instid0(VALU_DEP_2) | instskip(NEXT) | instid1(VALU_DEP_2)
	v_cmp_eq_u32_e32 vcc_lo, 0, v4
	v_cndmask_b32_e32 v4, v5, v68, vcc_lo
; %bb.94:
	s_or_b32 exec_lo, exec_lo, s3
	v_and_b32_e32 v5, 0x7f800000, v69
	s_delay_alu instid0(VALU_DEP_1) | instskip(SKIP_1) | instid1(SALU_CYCLE_1)
	v_cmp_ne_u32_e32 vcc_lo, 0x7f800000, v5
                                        ; implicit-def: $vgpr5
	s_and_saveexec_b32 s3, vcc_lo
	s_xor_b32 s3, exec_lo, s3
; %bb.95:
	v_bfe_u32 v5, v69, 16, 1
	s_delay_alu instid0(VALU_DEP_1)
	v_add3_u32 v5, v69, v5, 0x7fff
; %bb.96:
	s_and_not1_saveexec_b32 s3, s3
; %bb.97:
	v_and_b32_e32 v5, 0xffff, v69
	v_or_b32_e32 v6, 0x10000, v69
	s_delay_alu instid0(VALU_DEP_2) | instskip(NEXT) | instid1(VALU_DEP_2)
	v_cmp_eq_u32_e32 vcc_lo, 0, v5
	v_cndmask_b32_e32 v5, v6, v69, vcc_lo
; %bb.98:
	s_or_b32 exec_lo, exec_lo, s3
	v_and_b32_e32 v6, 0x7f800000, v70
	s_delay_alu instid0(VALU_DEP_1) | instskip(SKIP_1) | instid1(SALU_CYCLE_1)
	v_cmp_ne_u32_e32 vcc_lo, 0x7f800000, v6
                                        ; implicit-def: $vgpr6
	s_and_saveexec_b32 s3, vcc_lo
	s_xor_b32 s3, exec_lo, s3
; %bb.99:
	v_bfe_u32 v6, v70, 16, 1
	s_delay_alu instid0(VALU_DEP_1)
	v_add3_u32 v6, v70, v6, 0x7fff
; %bb.100:
	s_and_not1_saveexec_b32 s3, s3
; %bb.101:
	v_and_b32_e32 v6, 0xffff, v70
	v_or_b32_e32 v7, 0x10000, v70
	s_delay_alu instid0(VALU_DEP_2) | instskip(NEXT) | instid1(VALU_DEP_2)
	v_cmp_eq_u32_e32 vcc_lo, 0, v6
	v_cndmask_b32_e32 v6, v7, v70, vcc_lo
; %bb.102:
	s_or_b32 exec_lo, exec_lo, s3
	v_and_b32_e32 v7, 0x7f800000, v71
	s_delay_alu instid0(VALU_DEP_1) | instskip(SKIP_1) | instid1(SALU_CYCLE_1)
	v_cmp_ne_u32_e32 vcc_lo, 0x7f800000, v7
                                        ; implicit-def: $vgpr7
	s_and_saveexec_b32 s3, vcc_lo
	s_xor_b32 s3, exec_lo, s3
; %bb.103:
	v_bfe_u32 v7, v71, 16, 1
	s_delay_alu instid0(VALU_DEP_1)
	v_add3_u32 v7, v71, v7, 0x7fff
; %bb.104:
	s_and_not1_saveexec_b32 s3, s3
; %bb.105:
	v_and_b32_e32 v7, 0xffff, v71
	v_or_b32_e32 v8, 0x10000, v71
	s_delay_alu instid0(VALU_DEP_2) | instskip(NEXT) | instid1(VALU_DEP_2)
	v_cmp_eq_u32_e32 vcc_lo, 0, v7
	v_cndmask_b32_e32 v7, v8, v71, vcc_lo
; %bb.106:
	s_or_b32 exec_lo, exec_lo, s3
	v_and_b32_e32 v8, 0x7f800000, v72
	s_delay_alu instid0(VALU_DEP_1) | instskip(SKIP_1) | instid1(SALU_CYCLE_1)
	v_cmp_ne_u32_e32 vcc_lo, 0x7f800000, v8
                                        ; implicit-def: $vgpr8
	s_and_saveexec_b32 s3, vcc_lo
	s_xor_b32 s3, exec_lo, s3
; %bb.107:
	v_bfe_u32 v8, v72, 16, 1
	s_delay_alu instid0(VALU_DEP_1)
	v_add3_u32 v8, v72, v8, 0x7fff
                                        ; implicit-def: $vgpr65_vgpr66_vgpr67_vgpr68_vgpr69_vgpr70_vgpr71_vgpr72
; %bb.108:
	s_and_not1_saveexec_b32 s3, s3
; %bb.109:
	v_and_b32_e32 v8, 0xffff, v72
	v_or_b32_e32 v9, 0x10000, v72
	s_delay_alu instid0(VALU_DEP_2) | instskip(NEXT) | instid1(VALU_DEP_2)
	v_cmp_eq_u32_e32 vcc_lo, 0, v8
	v_cndmask_b32_e32 v8, v9, v72, vcc_lo
; %bb.110:
	s_or_b32 exec_lo, exec_lo, s3
	s_delay_alu instid0(VALU_DEP_1)
	v_perm_b32 v7, v8, v7, 0x7060302
	v_perm_b32 v6, v6, v5, 0x7060302
	;; [unrolled: 1-line block ×4, first 2 shown]
	s_barrier
	buffer_gl0_inv
	v_cmp_eq_u32_e32 vcc_lo, 1, v78
	ds_store_b128 v76, v[4:7]
	s_waitcnt lgkmcnt(0)
	s_barrier
	buffer_gl0_inv
	ds_load_b128 v[1:4], v82
	ds_load_b128 v[5:8], v82 offset:16
	v_cmp_eq_u32_e64 s3, 1, v79
	v_cmp_eq_u32_e64 s4, 2, v78
	;; [unrolled: 1-line block ×5, first 2 shown]
	s_waitcnt lgkmcnt(1)
	v_lshrrev_b32_e32 v9, 16, v1
	s_waitcnt lgkmcnt(0)
	v_lshrrev_b32_e32 v13, 16, v5
	v_lshrrev_b32_e32 v10, 16, v2
	;; [unrolled: 1-line block ×4, first 2 shown]
	v_cndmask_b32_e64 v19, v1, v9, s3
	v_cndmask_b32_e32 v18, v5, v13, vcc_lo
	v_cndmask_b32_e64 v20, v5, v13, s3
	v_cndmask_b32_e32 v17, v1, v9, vcc_lo
	v_cmp_eq_u32_e32 vcc_lo, 2, v79
	v_lshrrev_b32_e32 v15, 16, v7
	v_cmp_eq_u32_e64 s3, 1, v77
	v_lshrrev_b32_e32 v12, 16, v4
	v_lshrrev_b32_e32 v16, 16, v8
	v_cndmask_b32_e32 v20, v20, v6, vcc_lo
	v_cndmask_b32_e64 v17, v17, v2, s4
	v_cndmask_b32_e32 v19, v19, v2, vcc_lo
	v_cndmask_b32_e64 v18, v18, v6, s4
	v_cmp_eq_u32_e32 vcc_lo, 4, v78
	v_cmp_eq_u32_e64 s4, 3, v79
	v_cndmask_b32_e64 v17, v17, v10, s5
	v_cndmask_b32_e64 v21, v1, v9, s3
	v_cndmask_b32_e64 v18, v18, v14, s5
	v_cndmask_b32_e64 v22, v5, v13, s3
	v_cndmask_b32_e64 v19, v19, v10, s4
	v_cndmask_b32_e32 v17, v17, v3, vcc_lo
	v_cndmask_b32_e64 v20, v20, v14, s4
	v_cndmask_b32_e32 v18, v18, v7, vcc_lo
	v_cmp_eq_u32_e32 vcc_lo, 4, v79
	v_cmp_eq_u32_e64 s4, 5, v79
	v_cmp_eq_u32_e64 s3, 2, v81
	v_cndmask_b32_e64 v21, v21, v2, s7
	v_cmp_eq_u32_e64 s5, 5, v78
	v_cndmask_b32_e32 v19, v19, v3, vcc_lo
	v_cndmask_b32_e32 v20, v20, v7, vcc_lo
	v_cmp_eq_u32_e32 vcc_lo, 6, v79
	s_delay_alu instid0(VALU_DEP_4) | instskip(NEXT) | instid1(VALU_DEP_4)
	v_cndmask_b32_e64 v17, v17, v11, s5
	v_cndmask_b32_e64 v19, v19, v11, s4
	s_delay_alu instid0(VALU_DEP_4) | instskip(SKIP_1) | instid1(VALU_DEP_3)
	v_cndmask_b32_e64 v20, v20, v15, s4
	v_cmp_eq_u32_e64 s4, 1, v81
	v_cndmask_b32_e32 v19, v19, v4, vcc_lo
	v_cndmask_b32_e64 v18, v18, v15, s5
	s_delay_alu instid0(VALU_DEP_3)
	v_cndmask_b32_e64 v1, v1, v9, s4
	v_cndmask_b32_e64 v5, v5, v13, s4
	v_cmp_eq_u32_e64 s4, 3, v77
	v_cndmask_b32_e64 v13, v22, v6, s7
	v_cmp_eq_u32_e64 s7, 3, v81
	v_cndmask_b32_e64 v1, v1, v2, s3
	v_cndmask_b32_e64 v2, v5, v6, s3
	;; [unrolled: 1-line block ×3, first 2 shown]
	v_cmp_eq_u32_e64 s3, 4, v77
	v_cndmask_b32_e64 v6, v13, v14, s4
	v_cndmask_b32_e64 v1, v1, v10, s7
	v_cmp_eq_u32_e64 s4, 4, v81
	v_cndmask_b32_e64 v2, v2, v14, s7
	v_cndmask_b32_e64 v5, v9, v3, s3
	;; [unrolled: 3-line block ×3, first 2 shown]
	v_cndmask_b32_e64 v2, v2, v7, s4
	v_cmp_eq_u32_e64 s3, 5, v81
	v_cmp_eq_u32_e64 s5, 6, v78
	v_cndmask_b32_e64 v5, v5, v11, s7
	v_cmp_eq_u32_e64 s4, 6, v77
	v_cndmask_b32_e64 v3, v6, v15, s7
	v_cndmask_b32_e64 v1, v1, v11, s3
	v_cmp_eq_u32_e64 s7, 6, v81
	v_cndmask_b32_e64 v2, v2, v15, s3
	v_cndmask_b32_e64 v17, v17, v4, s5
	v_cndmask_b32_e64 v18, v18, v8, s5
	v_cmp_eq_u32_e64 s5, 7, v78
	v_cndmask_b32_e64 v5, v5, v4, s4
	;; [unrolled: 4-line block ×3, first 2 shown]
	v_cmp_eq_u32_e64 s4, 7, v77
	v_cndmask_b32_e32 v4, v20, v8, vcc_lo
	v_cndmask_b32_e64 v17, v17, v12, s5
	v_cndmask_b32_e64 v19, v19, v12, s6
	;; [unrolled: 1-line block ×8, first 2 shown]
	v_cmp_gt_u32_e32 vcc_lo, 32, v0
	v_perm_b32 v4, v2, v1, 0x5040100
	v_perm_b32 v3, v3, v5, 0x5040100
	;; [unrolled: 1-line block ×4, first 2 shown]
	s_and_b32 s2, vcc_lo, s2
	ds_store_b128 v76, v[1:4]
	s_waitcnt lgkmcnt(0)
	s_barrier
	buffer_gl0_inv
	s_and_saveexec_b32 s3, s2
	s_cbranch_execz .LBB1733_2
; %bb.111:
	s_load_b64 s[0:1], s[0:1], 0x68
	s_lshl_b32 s4, s34, 6
	v_or_b32_e32 v2, s31, v75
	s_mul_i32 s2, s4, s30
	v_lshlrev_b32_e32 v1, 10, v0
	s_mul_i32 s2, s2, s8
	v_lshlrev_b32_e32 v3, 4, v74
	v_mul_lo_u32 v0, v2, s4
	s_ashr_i32 s3, s2, 31
	v_lshlrev_b32_e32 v4, 6, v75
	v_and_b32_e32 v1, 0x3800, v1
	v_or_b32_e32 v5, 2, v2
	s_lshl_b64 s[2:3], s[2:3], 1
	v_or_b32_e32 v6, 4, v2
	v_or_b32_e32 v7, 6, v2
	v_or3_b32 v12, v1, v3, v4
	v_ashrrev_i32_e32 v1, 31, v0
	v_mul_lo_u32 v2, v5, s4
	v_mul_lo_u32 v16, v6, s4
	;; [unrolled: 1-line block ×3, first 2 shown]
	s_waitcnt lgkmcnt(0)
	s_add_u32 s2, s0, s2
	s_addc_u32 s3, s1, s3
	s_lshl_b32 s0, s14, 6
	v_lshlrev_b64 v[0:1], 1, v[0:1]
	s_ashr_i32 s1, s0, 31
	v_ashrrev_i32_e32 v3, 31, v2
	s_lshl_b64 s[0:1], s[0:1], 1
	v_ashrrev_i32_e32 v17, 31, v16
	s_add_u32 s0, s2, s0
	s_addc_u32 s1, s3, s1
	v_add_co_u32 v24, s0, s0, v73
	s_delay_alu instid0(VALU_DEP_1) | instskip(SKIP_1) | instid1(VALU_DEP_3)
	v_add_co_ci_u32_e64 v25, null, s1, 0, s0
	v_lshlrev_b64 v[22:23], 1, v[2:3]
	v_add_co_u32 v18, vcc_lo, v24, v0
	s_delay_alu instid0(VALU_DEP_3)
	v_add_co_ci_u32_e32 v19, vcc_lo, v25, v1, vcc_lo
	ds_load_b128 v[0:3], v12
	ds_load_b128 v[4:7], v12 offset:128
	ds_load_b128 v[8:11], v12 offset:256
	;; [unrolled: 1-line block ×3, first 2 shown]
	v_ashrrev_i32_e32 v21, 31, v20
	v_lshlrev_b64 v[16:17], 1, v[16:17]
	v_add_co_u32 v22, vcc_lo, v24, v22
	v_add_co_ci_u32_e32 v23, vcc_lo, v25, v23, vcc_lo
	s_delay_alu instid0(VALU_DEP_4) | instskip(NEXT) | instid1(VALU_DEP_4)
	v_lshlrev_b64 v[20:21], 1, v[20:21]
	v_add_co_u32 v16, vcc_lo, v24, v16
	v_add_co_ci_u32_e32 v17, vcc_lo, v25, v17, vcc_lo
	s_delay_alu instid0(VALU_DEP_3) | instskip(NEXT) | instid1(VALU_DEP_4)
	v_add_co_u32 v20, vcc_lo, v24, v20
	v_add_co_ci_u32_e32 v21, vcc_lo, v25, v21, vcc_lo
	s_waitcnt lgkmcnt(3)
	global_store_b128 v[18:19], v[0:3], off
	s_waitcnt lgkmcnt(2)
	global_store_b128 v[22:23], v[4:7], off
	;; [unrolled: 2-line block ×4, first 2 shown]
	s_nop 0
	s_sendmsg sendmsg(MSG_DEALLOC_VGPRS)
	s_endpgm
	.section	.rodata,"a",@progbits
	.p2align	6, 0x0
	.amdhsa_kernel _Z39paged_attention_ll4mi_QKV_mfma16_kernelI14__hip_bfloat16hLN4vllm18Fp8KVCacheDataTypeE1EhLi32ELi64ELi256ELb1ELi8EL8MFMAType0EEvPKT_PKT0_S9_ifPKiSB_SB_iPKfiiiPfSE_PS4_PT2_iSD_SD_
		.amdhsa_group_segment_fixed_size 17472
		.amdhsa_private_segment_fixed_size 0
		.amdhsa_kernarg_size 400
		.amdhsa_user_sgpr_count 13
		.amdhsa_user_sgpr_dispatch_ptr 0
		.amdhsa_user_sgpr_queue_ptr 0
		.amdhsa_user_sgpr_kernarg_segment_ptr 1
		.amdhsa_user_sgpr_dispatch_id 0
		.amdhsa_user_sgpr_private_segment_size 0
		.amdhsa_wavefront_size32 1
		.amdhsa_uses_dynamic_stack 0
		.amdhsa_enable_private_segment 0
		.amdhsa_system_sgpr_workgroup_id_x 1
		.amdhsa_system_sgpr_workgroup_id_y 1
		.amdhsa_system_sgpr_workgroup_id_z 1
		.amdhsa_system_sgpr_workgroup_info 0
		.amdhsa_system_vgpr_workitem_id 0
		.amdhsa_next_free_vgpr 124
		.amdhsa_next_free_sgpr 40
		.amdhsa_reserve_vcc 1
		.amdhsa_float_round_mode_32 0
		.amdhsa_float_round_mode_16_64 0
		.amdhsa_float_denorm_mode_32 3
		.amdhsa_float_denorm_mode_16_64 3
		.amdhsa_dx10_clamp 1
		.amdhsa_ieee_mode 1
		.amdhsa_fp16_overflow 0
		.amdhsa_workgroup_processor_mode 1
		.amdhsa_memory_ordered 1
		.amdhsa_forward_progress 0
		.amdhsa_shared_vgpr_count 0
		.amdhsa_exception_fp_ieee_invalid_op 0
		.amdhsa_exception_fp_denorm_src 0
		.amdhsa_exception_fp_ieee_div_zero 0
		.amdhsa_exception_fp_ieee_overflow 0
		.amdhsa_exception_fp_ieee_underflow 0
		.amdhsa_exception_fp_ieee_inexact 0
		.amdhsa_exception_int_div_zero 0
	.end_amdhsa_kernel
	.section	.text._Z39paged_attention_ll4mi_QKV_mfma16_kernelI14__hip_bfloat16hLN4vllm18Fp8KVCacheDataTypeE1EhLi32ELi64ELi256ELb1ELi8EL8MFMAType0EEvPKT_PKT0_S9_ifPKiSB_SB_iPKfiiiPfSE_PS4_PT2_iSD_SD_,"axG",@progbits,_Z39paged_attention_ll4mi_QKV_mfma16_kernelI14__hip_bfloat16hLN4vllm18Fp8KVCacheDataTypeE1EhLi32ELi64ELi256ELb1ELi8EL8MFMAType0EEvPKT_PKT0_S9_ifPKiSB_SB_iPKfiiiPfSE_PS4_PT2_iSD_SD_,comdat
.Lfunc_end1733:
	.size	_Z39paged_attention_ll4mi_QKV_mfma16_kernelI14__hip_bfloat16hLN4vllm18Fp8KVCacheDataTypeE1EhLi32ELi64ELi256ELb1ELi8EL8MFMAType0EEvPKT_PKT0_S9_ifPKiSB_SB_iPKfiiiPfSE_PS4_PT2_iSD_SD_, .Lfunc_end1733-_Z39paged_attention_ll4mi_QKV_mfma16_kernelI14__hip_bfloat16hLN4vllm18Fp8KVCacheDataTypeE1EhLi32ELi64ELi256ELb1ELi8EL8MFMAType0EEvPKT_PKT0_S9_ifPKiSB_SB_iPKfiiiPfSE_PS4_PT2_iSD_SD_
                                        ; -- End function
	.section	.AMDGPU.csdata,"",@progbits
; Kernel info:
; codeLenInByte = 8732
; NumSgprs: 42
; NumVgprs: 124
; ScratchSize: 0
; MemoryBound: 0
; FloatMode: 240
; IeeeMode: 1
; LDSByteSize: 17472 bytes/workgroup (compile time only)
; SGPRBlocks: 5
; VGPRBlocks: 15
; NumSGPRsForWavesPerEU: 42
; NumVGPRsForWavesPerEU: 124
; Occupancy: 10
; WaveLimiterHint : 1
; COMPUTE_PGM_RSRC2:SCRATCH_EN: 0
; COMPUTE_PGM_RSRC2:USER_SGPR: 13
; COMPUTE_PGM_RSRC2:TRAP_HANDLER: 0
; COMPUTE_PGM_RSRC2:TGID_X_EN: 1
; COMPUTE_PGM_RSRC2:TGID_Y_EN: 1
; COMPUTE_PGM_RSRC2:TGID_Z_EN: 1
; COMPUTE_PGM_RSRC2:TIDIG_COMP_CNT: 0
	.section	.text._Z39paged_attention_ll4mi_QKV_mfma16_kernelI14__hip_bfloat16hLN4vllm18Fp8KVCacheDataTypeE1EhLi32ELi64ELi256ELb1ELi9EL8MFMAType0EEvPKT_PKT0_S9_ifPKiSB_SB_iPKfiiiPfSE_PS4_PT2_iSD_SD_,"axG",@progbits,_Z39paged_attention_ll4mi_QKV_mfma16_kernelI14__hip_bfloat16hLN4vllm18Fp8KVCacheDataTypeE1EhLi32ELi64ELi256ELb1ELi9EL8MFMAType0EEvPKT_PKT0_S9_ifPKiSB_SB_iPKfiiiPfSE_PS4_PT2_iSD_SD_,comdat
	.protected	_Z39paged_attention_ll4mi_QKV_mfma16_kernelI14__hip_bfloat16hLN4vllm18Fp8KVCacheDataTypeE1EhLi32ELi64ELi256ELb1ELi9EL8MFMAType0EEvPKT_PKT0_S9_ifPKiSB_SB_iPKfiiiPfSE_PS4_PT2_iSD_SD_ ; -- Begin function _Z39paged_attention_ll4mi_QKV_mfma16_kernelI14__hip_bfloat16hLN4vllm18Fp8KVCacheDataTypeE1EhLi32ELi64ELi256ELb1ELi9EL8MFMAType0EEvPKT_PKT0_S9_ifPKiSB_SB_iPKfiiiPfSE_PS4_PT2_iSD_SD_
	.globl	_Z39paged_attention_ll4mi_QKV_mfma16_kernelI14__hip_bfloat16hLN4vllm18Fp8KVCacheDataTypeE1EhLi32ELi64ELi256ELb1ELi9EL8MFMAType0EEvPKT_PKT0_S9_ifPKiSB_SB_iPKfiiiPfSE_PS4_PT2_iSD_SD_
	.p2align	8
	.type	_Z39paged_attention_ll4mi_QKV_mfma16_kernelI14__hip_bfloat16hLN4vllm18Fp8KVCacheDataTypeE1EhLi32ELi64ELi256ELb1ELi9EL8MFMAType0EEvPKT_PKT0_S9_ifPKiSB_SB_iPKfiiiPfSE_PS4_PT2_iSD_SD_,@function
_Z39paged_attention_ll4mi_QKV_mfma16_kernelI14__hip_bfloat16hLN4vllm18Fp8KVCacheDataTypeE1EhLi32ELi64ELi256ELb1ELi9EL8MFMAType0EEvPKT_PKT0_S9_ifPKiSB_SB_iPKfiiiPfSE_PS4_PT2_iSD_SD_: ; @_Z39paged_attention_ll4mi_QKV_mfma16_kernelI14__hip_bfloat16hLN4vllm18Fp8KVCacheDataTypeE1EhLi32ELi64ELi256ELb1ELi9EL8MFMAType0EEvPKT_PKT0_S9_ifPKiSB_SB_iPKfiiiPfSE_PS4_PT2_iSD_SD_
; %bb.0:
	s_load_b64 s[2:3], s[0:1], 0x30
	s_mov_b32 s34, s13
	s_waitcnt lgkmcnt(0)
	s_cmp_lg_u64 s[2:3], 0
	s_cselect_b32 s8, -1, 0
	s_ashr_i32 s35, s13, 31
	s_cmp_eq_u64 s[2:3], 0
	s_cbranch_scc1 .LBB1734_3
; %bb.1:
	s_lshl_b64 s[4:5], s[34:35], 2
	s_delay_alu instid0(SALU_CYCLE_1) | instskip(SKIP_4) | instid1(SALU_CYCLE_1)
	s_add_u32 s4, s2, s4
	s_addc_u32 s5, s3, s5
	s_load_b64 s[4:5], s[4:5], 0x0
	s_waitcnt lgkmcnt(0)
	s_sub_i32 s4, s5, s4
	s_cmp_eq_u32 s4, 1
	s_cselect_b32 s4, -1, 0
	s_delay_alu instid0(SALU_CYCLE_1)
	s_and_not1_b32 vcc_lo, exec_lo, s4
	s_cbranch_vccz .LBB1734_4
.LBB1734_2:
	s_nop 0
	s_sendmsg sendmsg(MSG_DEALLOC_VGPRS)
	s_endpgm
.LBB1734_3:
.LBB1734_4:
	s_load_b64 s[4:5], s[0:1], 0x28
	s_lshl_b64 s[6:7], s[34:35], 2
	s_waitcnt lgkmcnt(0)
	s_add_u32 s4, s4, s6
	s_addc_u32 s5, s5, s7
	s_lshl_b32 s12, s14, 8
	s_load_b32 s24, s[4:5], 0x0
	s_waitcnt lgkmcnt(0)
	s_cmp_ge_i32 s12, s24
	s_cbranch_scc1 .LBB1734_2
; %bb.5:
	s_clause 0x1
	s_load_b128 s[20:23], s[0:1], 0x8
	s_load_b64 s[4:5], s[0:1], 0x20
	s_and_not1_b32 vcc_lo, exec_lo, s8
	s_cbranch_vccnz .LBB1734_7
; %bb.6:
	s_add_u32 s2, s2, s6
	s_addc_u32 s3, s3, s7
	s_load_b32 s3, s[2:3], 0x0
	s_branch .LBB1734_8
.LBB1734_7:
	s_mov_b32 s3, s34
.LBB1734_8:
	s_load_b128 s[16:19], s[0:1], 0x48
	v_lshrrev_b32_e32 v66, 5, v0
	v_bfe_u32 v74, v0, 4, 1
	v_and_b32_e32 v65, 15, v0
	v_and_b32_e32 v67, 31, v0
	;; [unrolled: 1-line block ×3, first 2 shown]
	s_mul_i32 s31, s15, 9
	v_lshl_or_b32 v1, v66, 1, v74
	v_lshlrev_b32_e32 v2, 3, v65
	v_cmp_gt_u32_e64 s2, 8, v65
	s_delay_alu instid0(VALU_DEP_3) | instskip(NEXT) | instid1(VALU_DEP_3)
	v_cmp_gt_u32_e32 vcc_lo, 9, v1
	v_lshlrev_b32_e32 v73, 1, v2
	s_delay_alu instid0(VALU_DEP_3) | instskip(NEXT) | instid1(SALU_CYCLE_1)
	s_and_b32 s7, s2, vcc_lo
	s_and_saveexec_b32 s6, s7
	s_cbranch_execz .LBB1734_10
; %bb.9:
	s_load_b64 s[8:9], s[0:1], 0x0
	v_add_lshl_u32 v2, v1, s31, 6
	s_waitcnt lgkmcnt(0)
	s_mul_hi_i32 s11, s3, s16
	s_mul_i32 s10, s3, s16
	v_lshlrev_b32_e32 v6, 10, v65
	s_lshl_b64 s[10:11], s[10:11], 1
	v_ashrrev_i32_e32 v3, 31, v2
	v_lshlrev_b32_e32 v1, 6, v1
	v_lshlrev_b32_e32 v7, 10, v75
	v_and_b32_e32 v6, 0x3800, v6
	s_delay_alu instid0(VALU_DEP_4) | instskip(NEXT) | instid1(VALU_DEP_2)
	v_lshlrev_b64 v[2:3], 1, v[2:3]
	v_or3_b32 v1, v6, v7, v1
	s_add_u32 s3, s8, s10
	s_addc_u32 s7, s9, s11
	s_delay_alu instid0(VALU_DEP_2) | instskip(NEXT) | instid1(VALU_DEP_3)
	v_add_co_u32 v2, vcc_lo, s3, v2
	v_add_co_ci_u32_e32 v3, vcc_lo, s7, v3, vcc_lo
	s_delay_alu instid0(VALU_DEP_2) | instskip(NEXT) | instid1(VALU_DEP_2)
	v_add_co_u32 v2, vcc_lo, v2, v73
	v_add_co_ci_u32_e32 v3, vcc_lo, 0, v3, vcc_lo
	global_load_b128 v[2:5], v[2:3], off
	s_waitcnt vmcnt(0)
	ds_store_b128 v1, v[2:5]
.LBB1734_10:
	s_or_b32 exec_lo, exec_lo, s6
	v_and_b32_e32 v1, 0xef, v0
	s_waitcnt lgkmcnt(0)
	s_add_i32 s3, s24, 31
	s_clause 0x1
	s_load_b32 s6, s[0:1], 0x38
	s_load_b32 s19, s[0:1], 0x1c
	s_ashr_i32 s7, s3, 31
	v_add_nc_u32_e32 v1, s12, v1
	s_lshr_b32 s7, s7, 27
	s_waitcnt lgkmcnt(0)
	s_add_i32 s3, s3, s7
	s_barrier
	v_ashrrev_i32_e32 v2, 31, v1
	v_or_b32_e32 v3, 16, v1
	s_ashr_i32 s3, s3, 5
	v_cmp_gt_i32_e32 vcc_lo, s24, v1
	s_add_i32 s3, s3, -1
	v_lshrrev_b32_e32 v2, 27, v2
	buffer_gl0_inv
	s_mul_i32 s27, s15, s18
	v_add_nc_u32_e32 v4, v1, v2
	s_mul_i32 s6, s34, s6
	s_delay_alu instid0(SALU_CYCLE_1) | instskip(NEXT) | instid1(VALU_DEP_1)
	s_ashr_i32 s7, s6, 31
	v_ashrrev_i32_e32 v4, 5, v4
	v_add_nc_u32_e32 v2, v3, v2
	s_lshl_b64 s[6:7], s[6:7], 2
	s_delay_alu instid0(SALU_CYCLE_1) | instskip(NEXT) | instid1(VALU_DEP_2)
	s_add_u32 s26, s4, s6
	v_cndmask_b32_e32 v1, s3, v4, vcc_lo
	s_delay_alu instid0(VALU_DEP_2)
	v_ashrrev_i32_e32 v2, 5, v2
	v_cmp_gt_i32_e32 vcc_lo, s24, v3
	s_addc_u32 s25, s5, s7
	s_ashr_i32 s28, s27, 31
	s_add_u32 s4, s20, s27
	s_addc_u32 s5, s21, s28
	v_cndmask_b32_e32 v3, s3, v2, vcc_lo
	v_ashrrev_i32_e32 v2, 31, v1
	s_lshl_b32 s6, s14, 3
	s_delay_alu instid0(SALU_CYCLE_1) | instskip(NEXT) | instid1(VALU_DEP_2)
	s_ashr_i32 s7, s6, 31
	v_ashrrev_i32_e32 v4, 31, v3
	s_delay_alu instid0(VALU_DEP_2) | instskip(SKIP_1) | instid1(SALU_CYCLE_1)
	v_lshlrev_b64 v[1:2], 2, v[1:2]
	s_lshl_b64 s[6:7], s[6:7], 2
	s_add_u32 s6, s26, s6
	s_delay_alu instid0(VALU_DEP_2) | instskip(SKIP_1) | instid1(VALU_DEP_2)
	v_lshlrev_b64 v[3:4], 2, v[3:4]
	s_addc_u32 s7, s25, s7
	v_add_co_u32 v1, vcc_lo, s26, v1
	v_add_co_ci_u32_e32 v2, vcc_lo, s25, v2, vcc_lo
	s_delay_alu instid0(VALU_DEP_3) | instskip(NEXT) | instid1(VALU_DEP_4)
	v_add_co_u32 v3, vcc_lo, s26, v3
	v_add_co_ci_u32_e32 v4, vcc_lo, s25, v4, vcc_lo
	s_clause 0x1
	global_load_b32 v5, v[1:2], off
	global_load_b32 v6, v[3:4], off
	s_or_b32 s8, s12, 32
	s_delay_alu instid0(SALU_CYCLE_1) | instskip(SKIP_2) | instid1(SALU_CYCLE_1)
	s_ashr_i32 s9, s8, 5
	s_cmp_lt_i32 s8, s24
	s_cselect_b32 s8, s9, s3
	s_ashr_i32 s9, s8, 31
	s_delay_alu instid0(SALU_CYCLE_1) | instskip(NEXT) | instid1(SALU_CYCLE_1)
	s_lshl_b64 s[8:9], s[8:9], 2
	s_add_u32 s8, s26, s8
	s_addc_u32 s9, s25, s9
	s_or_b32 s10, s12, 64
	s_delay_alu instid0(SALU_CYCLE_1) | instskip(SKIP_2) | instid1(SALU_CYCLE_1)
	s_ashr_i32 s11, s10, 5
	s_cmp_lt_i32 s10, s24
	s_cselect_b32 s10, s11, s3
	s_ashr_i32 s11, s10, 31
	s_delay_alu instid0(SALU_CYCLE_1) | instskip(NEXT) | instid1(SALU_CYCLE_1)
	s_lshl_b64 s[10:11], s[10:11], 2
	s_add_u32 s10, s26, s10
	s_addc_u32 s11, s25, s11
	;; [unrolled: 10-line block ×5, first 2 shown]
	s_clause 0x5
	s_load_b32 s21, s[6:7], 0x0
	s_load_b32 s13, s[8:9], 0x0
	;; [unrolled: 1-line block ×6, first 2 shown]
	s_or_b32 s8, s12, 0xc0
	s_delay_alu instid0(SALU_CYCLE_1) | instskip(SKIP_2) | instid1(SALU_CYCLE_1)
	s_ashr_i32 s9, s8, 5
	s_cmp_lt_i32 s8, s24
	s_cselect_b32 s36, s9, s3
	s_ashr_i32 s37, s36, 31
	s_delay_alu instid0(SALU_CYCLE_1) | instskip(NEXT) | instid1(SALU_CYCLE_1)
	s_lshl_b64 s[36:37], s[36:37], 2
	s_add_u32 s36, s26, s36
	s_addc_u32 s37, s25, s37
	s_or_b32 s29, s12, 0xe0
	s_delay_alu instid0(SALU_CYCLE_1)
	s_ashr_i32 s30, s29, 5
	s_cmp_lt_i32 s29, s24
	s_waitcnt vmcnt(1)
	v_mad_i64_i32 v[1:2], null, v5, s17, s[4:5]
	s_waitcnt vmcnt(0)
	v_mad_i64_i32 v[3:4], null, v6, s17, s[4:5]
	s_mov_b32 s4, 0
	s_delay_alu instid0(SALU_CYCLE_1)
	s_mov_b32 s5, s4
	s_mov_b32 s6, s4
	s_mov_b32 s7, s4
	s_mov_b32 s8, s4
	s_mov_b32 s9, s4
	s_mov_b32 s10, s4
	s_mov_b32 s11, s4
	v_lshlrev_b32_e32 v5, 4, v65
	v_dual_mov_b32 v107, s11 :: v_dual_mov_b32 v102, s6
	v_mov_b32_e32 v100, s4
	v_mov_b32_e32 v106, s10
	s_delay_alu instid0(VALU_DEP_4)
	v_add_co_u32 v1, vcc_lo, v1, v5
	v_add_co_ci_u32_e32 v2, vcc_lo, 0, v2, vcc_lo
	v_add_co_u32 v3, vcc_lo, v3, v5
	v_add_co_ci_u32_e32 v4, vcc_lo, 0, v4, vcc_lo
	s_clause 0x7
	global_load_b128 v[49:52], v[1:2], off
	global_load_b128 v[53:56], v[1:2], off offset:512
	global_load_b128 v[76:79], v[3:4], off offset:256
	;; [unrolled: 1-line block ×7, first 2 shown]
	v_add_nc_u32_e32 v1, -9, v65
	v_cmp_gt_u32_e32 vcc_lo, 9, v65
	v_dual_mov_b32 v104, s8 :: v_dual_mov_b32 v103, s7
	v_dual_mov_b32 v101, s5 :: v_dual_lshlrev_b32 v2, 5, v65
	s_delay_alu instid0(VALU_DEP_4)
	v_cndmask_b32_e32 v1, v1, v65, vcc_lo
	v_mov_b32_e32 v105, s9
	s_cselect_b32 s4, s30, s3
	s_load_b32 s3, s[36:37], 0x0
	s_ashr_i32 s5, s4, 31
	v_lshlrev_b32_e32 v70, 6, v1
	s_lshl_b64 s[4:5], s[4:5], 2
	v_lshl_or_b32 v2, v66, 9, v2
	s_add_u32 s4, s26, s4
	s_addc_u32 s5, s25, s5
	ds_load_b128 v[108:111], v70
	ds_load_b128 v[112:115], v70 offset:1024
	s_load_b32 s4, s[4:5], 0x0
	s_add_u32 s6, s22, s27
	s_addc_u32 s7, s23, s28
	v_add_co_u32 v9, s6, s6, v2
	s_delay_alu instid0(VALU_DEP_1) | instskip(SKIP_1) | instid1(VALU_DEP_1)
	v_add_co_ci_u32_e64 v10, null, s7, 0, s6
	s_waitcnt lgkmcnt(0)
	v_mad_i64_i32 v[1:2], null, s21, s17, v[9:10]
	v_mad_i64_i32 v[3:4], null, s13, s17, v[9:10]
	;; [unrolled: 1-line block ×7, first 2 shown]
	s_clause 0x9
	global_load_b128 v[57:60], v[1:2], off
	global_load_b128 v[61:64], v[1:2], off offset:16
	global_load_b128 v[41:44], v[3:4], off
	global_load_b128 v[45:48], v[3:4], off offset:16
	;; [unrolled: 2-line block ×5, first 2 shown]
	v_mad_i64_i32 v[68:69], null, s4, s17, v[9:10]
	s_clause 0x3
	global_load_b128 v[9:12], v[13:14], off
	global_load_b128 v[13:16], v[13:14], off offset:16
	global_load_b128 v[17:20], v[21:22], off
	global_load_b128 v[21:24], v[21:22], off offset:16
	s_waitcnt vmcnt(20)
	v_wmma_f32_16x16x16_bf16 v[116:123], v[49:56], v[108:115], v[100:107]
	s_clause 0x1
	global_load_b128 v[49:52], v[68:69], off
	global_load_b128 v[53:56], v[68:69], off offset:16
	v_and_b32_e32 v68, 0xe0, v0
	v_mbcnt_lo_u32_b32 v69, -1, 0
	s_delay_alu instid0(VALU_DEP_2)
	v_add_nc_u32_e32 v68, s12, v68
	s_waitcnt vmcnt(20)
	v_wmma_f32_16x16x16_bf16 v[100:107], v[76:83], v[108:115], v[100:107]
	ds_load_b128 v[76:79], v70 offset:2048
	ds_load_b128 v[80:83], v70 offset:3072
	v_xor_b32_e32 v70, 16, v69
	s_waitcnt vmcnt(0) lgkmcnt(0)
	v_or_b32_e32 v68, v68, v74
	s_barrier
	buffer_gl0_inv
	v_cmp_gt_i32_e32 vcc_lo, 32, v70
	v_or_b32_e32 v71, 4, v68
	v_or_b32_e32 v72, 6, v68
	v_cmp_gt_i32_e64 s3, s24, v68
	v_or_b32_e32 v108, 8, v68
	v_or_b32_e32 v109, 10, v68
	v_cmp_gt_i32_e64 s4, s24, v71
	v_cmp_gt_i32_e64 s5, s24, v72
	s_delay_alu instid0(VALU_DEP_4) | instskip(NEXT) | instid1(VALU_DEP_4)
	v_cmp_gt_i32_e64 s6, s24, v108
	v_cmp_gt_i32_e64 s7, s24, v109
	v_wmma_f32_16x16x16_bf16 v[116:123], v[84:91], v[76:83], v[116:123]
	v_cndmask_b32_e32 v69, v69, v70, vcc_lo
	v_or_b32_e32 v70, 2, v68
	v_wmma_f32_16x16x16_bf16 v[100:107], v[92:99], v[76:83], v[100:107]
	v_or_b32_e32 v89, 22, v68
	v_dual_mul_f32 v80, s19, v121 :: v_dual_mul_f32 v81, s19, v120
	v_dual_mul_f32 v92, s19, v117 :: v_dual_mul_f32 v93, s19, v116
	s_delay_alu instid0(VALU_DEP_4)
	v_mul_f32_e32 v96, s19, v105
	v_cmp_gt_i32_e32 vcc_lo, s24, v70
	v_dual_mul_f32 v79, s19, v122 :: v_dual_mul_f32 v82, s19, v119
	v_dual_mul_f32 v83, s19, v118 :: v_dual_mul_f32 v94, s19, v107
	v_cndmask_b32_e64 v93, 0xff7fffff, v93, s3
	v_cndmask_b32_e32 v92, 0xff7fffff, v92, vcc_lo
	v_or_b32_e32 v84, 12, v68
	v_or_b32_e32 v85, 14, v68
	v_cndmask_b32_e64 v71, 0xff7fffff, v83, s4
	v_cndmask_b32_e64 v72, 0xff7fffff, v82, s5
	v_cmp_gt_i32_e64 s13, s24, v89
	v_lshlrev_b32_e32 v89, 2, v69
	v_max3_f32 v82, v93, 0xff7fffff, v92
	v_or_b32_e32 v86, 16, v68
	v_or_b32_e32 v87, 18, v68
	v_mul_f32_e32 v78, s19, v123
	v_cndmask_b32_e64 v81, 0xff7fffff, v81, s6
	v_cndmask_b32_e64 v80, 0xff7fffff, v80, s7
	v_max3_f32 v71, v82, v71, v72
	v_cmp_gt_i32_e64 s8, s24, v84
	v_cmp_gt_i32_e64 s9, s24, v85
	v_or_b32_e32 v88, 20, v68
	v_or_b32_e32 v90, 24, v68
	;; [unrolled: 1-line block ×5, first 2 shown]
	v_dual_mul_f32 v97, s19, v104 :: v_dual_mul_f32 v70, s19, v101
	v_dual_mul_f32 v99, s19, v102 :: v_dual_mul_f32 v68, s19, v100
	v_cndmask_b32_e64 v72, 0xff7fffff, v79, s8
	v_cndmask_b32_e64 v78, 0xff7fffff, v78, s9
	v_max3_f32 v71, v71, v81, v80
	v_cmp_gt_i32_e64 s10, s24, v86
	v_cmp_gt_i32_e64 s11, s24, v87
	v_dual_mul_f32 v95, s19, v106 :: v_dual_mul_f32 v98, s19, v103
	s_delay_alu instid0(VALU_DEP_4) | instskip(NEXT) | instid1(VALU_DEP_4)
	v_max3_f32 v71, v71, v72, v78
	v_cndmask_b32_e64 v68, 0xff7fffff, v68, s10
	s_delay_alu instid0(VALU_DEP_4)
	v_cndmask_b32_e64 v70, 0xff7fffff, v70, s11
	v_cmp_gt_i32_e64 s12, s24, v88
	v_cndmask_b32_e64 v78, 0xff7fffff, v98, s13
	v_cmp_gt_i32_e64 s15, s24, v90
	v_cmp_gt_i32_e64 s16, s24, v91
	v_max3_f32 v68, v71, v68, v70
	v_cndmask_b32_e64 v72, 0xff7fffff, v99, s12
	v_cmp_gt_i32_e64 s17, s24, v76
	v_cndmask_b32_e64 v70, 0xff7fffff, v97, s15
	v_cndmask_b32_e64 v71, 0xff7fffff, v96, s16
	v_cmp_gt_i32_e64 s18, s24, v77
	v_max3_f32 v68, v68, v72, v78
	v_cndmask_b32_e64 v72, 0xff7fffff, v95, s17
	s_delay_alu instid0(VALU_DEP_3) | instskip(NEXT) | instid1(VALU_DEP_3)
	v_cndmask_b32_e64 v76, 0xff7fffff, v94, s18
	v_max3_f32 v68, v68, v70, v71
	s_delay_alu instid0(VALU_DEP_1) | instskip(SKIP_3) | instid1(VALU_DEP_1)
	v_max3_f32 v68, v68, v72, v76
	ds_bpermute_b32 v69, v89, v68
	s_waitcnt lgkmcnt(0)
	v_max_f32_e32 v69, v69, v69
	v_max_f32_e32 v68, v68, v69
	s_delay_alu instid0(VALU_DEP_1) | instskip(NEXT) | instid1(VALU_DEP_1)
	v_fma_f32 v71, s19, v118, -v68
	v_mul_f32_e32 v71, 0x3fb8aa3b, v71
	v_fma_f32 v70, s19, v117, -v68
	v_fma_f32 v69, s19, v116, -v68
	v_fma_f32 v76, s19, v120, -v68
	v_fma_f32 v72, s19, v119, -v68
	v_fma_f32 v78, s19, v122, -v68
	s_delay_alu instid0(VALU_DEP_4) | instskip(SKIP_1) | instid1(VALU_DEP_3)
	v_dual_mul_f32 v70, 0x3fb8aa3b, v70 :: v_dual_mul_f32 v69, 0x3fb8aa3b, v69
	v_exp_f32_e32 v71, v71
	v_mul_f32_e32 v72, 0x3fb8aa3b, v72
	v_fma_f32 v81, s19, v105, -v68
	s_delay_alu instid0(VALU_DEP_3)
	v_exp_f32_e32 v70, v70
	v_mul_f32_e32 v77, 0x3fb8aa3b, v76
	v_exp_f32_e32 v69, v69
	v_exp_f32_e32 v72, v72
	v_mul_f32_e32 v81, 0x3fb8aa3b, v81
	v_cndmask_b32_e64 v83, 0, v71, s4
	v_fma_f32 v71, s19, v123, -v68
	s_delay_alu instid0(VALU_DEP_3) | instskip(SKIP_4) | instid1(TRANS32_DEP_3)
	v_exp_f32_e32 v81, v81
	v_cndmask_b32_e32 v76, 0, v70, vcc_lo
	v_exp_f32_e32 v77, v77
	v_cndmask_b32_e64 v80, 0, v69, s3
	v_fma_f32 v69, s19, v121, -v68
	v_cndmask_b32_e64 v85, 0, v72, s5
	v_mul_f32_e32 v71, 0x3fb8aa3b, v71
	v_fma_f32 v72, s19, v100, -v68
	s_delay_alu instid0(VALU_DEP_4) | instskip(SKIP_1) | instid1(VALU_DEP_4)
	v_dual_add_f32 v70, 0, v80 :: v_dual_mul_f32 v69, 0x3fb8aa3b, v69
	v_cmp_gt_u32_e64 s3, 16, v67
	v_exp_f32_e32 v71, v71
	s_delay_alu instid0(TRANS32_DEP_2) | instskip(SKIP_4) | instid1(VALU_DEP_3)
	v_cndmask_b32_e64 v86, 0, v77, s6
	v_fma_f32 v77, s19, v101, -v68
	v_mul_f32_e32 v78, 0x3fb8aa3b, v78
	v_add_f32_e32 v70, v70, v76
	v_exp_f32_e32 v69, v69
	v_mul_f32_e32 v77, 0x3fb8aa3b, v77
	s_delay_alu instid0(VALU_DEP_3) | instskip(NEXT) | instid1(TRANS32_DEP_3)
	v_exp_f32_e32 v78, v78
	v_cndmask_b32_e64 v88, 0, v71, s9
	v_fma_f32 v71, s19, v104, -v68
	s_delay_alu instid0(VALU_DEP_3) | instskip(NEXT) | instid1(TRANS32_DEP_3)
	v_exp_f32_e32 v77, v77
	v_cndmask_b32_e64 v87, 0, v69, s7
	s_delay_alu instid0(VALU_DEP_2)
	v_mul_f32_e32 v71, 0x3fb8aa3b, v71
	s_waitcnt_depctr 0xfff
	v_cndmask_b32_e64 v84, 0, v78, s8
	v_add_f32_e32 v70, v70, v83
	v_fma_f32 v78, s19, v103, -v68
	v_exp_f32_e32 v82, v71
	s_delay_alu instid0(VALU_DEP_2) | instskip(SKIP_1) | instid1(VALU_DEP_3)
	v_add_f32_e32 v70, v70, v85
	v_mul_f32_e32 v72, 0x3fb8aa3b, v72
	v_mul_f32_e32 v78, 0x3fb8aa3b, v78
	s_delay_alu instid0(VALU_DEP_3) | instskip(SKIP_1) | instid1(VALU_DEP_4)
	v_add_f32_e32 v69, v70, v86
	v_fma_f32 v70, s19, v102, -v68
	v_exp_f32_e32 v72, v72
	s_delay_alu instid0(VALU_DEP_3) | instskip(NEXT) | instid1(VALU_DEP_1)
	v_exp_f32_e32 v78, v78
	v_dual_add_f32 v69, v69, v87 :: v_dual_mul_f32 v70, 0x3fb8aa3b, v70
	s_delay_alu instid0(VALU_DEP_1) | instskip(NEXT) | instid1(VALU_DEP_2)
	v_add_f32_e32 v69, v69, v84
	v_exp_f32_e32 v79, v70
	s_delay_alu instid0(TRANS32_DEP_3) | instskip(NEXT) | instid1(VALU_DEP_2)
	v_cndmask_b32_e64 v70, 0, v72, s10
	v_add_f32_e32 v72, v69, v88
	v_cndmask_b32_e64 v69, 0, v77, s11
	v_fma_f32 v77, s19, v106, -v68
	s_waitcnt_depctr 0xfff
	v_cndmask_b32_e64 v71, 0, v79, s12
	v_dual_mul_f32 v77, 0x3fb8aa3b, v77 :: v_dual_add_f32 v72, v72, v70
	s_delay_alu instid0(VALU_DEP_1) | instskip(NEXT) | instid1(VALU_DEP_1)
	v_exp_f32_e32 v90, v77
	v_add_f32_e32 v79, v72, v69
	v_cndmask_b32_e64 v72, 0, v78, s13
	v_cndmask_b32_e64 v77, 0, v82, s15
	s_delay_alu instid0(VALU_DEP_3) | instskip(SKIP_1) | instid1(VALU_DEP_1)
	v_add_f32_e32 v78, v79, v71
	v_fma_f32 v79, s19, v107, -v68
	v_dual_add_f32 v82, v78, v72 :: v_dual_mul_f32 v79, 0x3fb8aa3b, v79
	v_cndmask_b32_e64 v78, 0, v81, s16
	s_delay_alu instid0(VALU_DEP_2) | instskip(NEXT) | instid1(VALU_DEP_3)
	v_add_f32_e32 v81, v82, v77
	v_exp_f32_e32 v82, v79
	v_cndmask_b32_e64 v79, 0, v90, s17
	s_delay_alu instid0(VALU_DEP_2) | instskip(NEXT) | instid1(VALU_DEP_1)
	v_add_f32_e32 v81, v81, v78
	v_add_f32_e32 v90, v81, v79
	s_waitcnt_depctr 0xfff
	v_cndmask_b32_e64 v81, 0, v82, s18
	s_delay_alu instid0(VALU_DEP_1)
	v_add_f32_e32 v82, v90, v81
	ds_bpermute_b32 v89, v89, v82
	s_and_saveexec_b32 s4, s3
	s_cbranch_execz .LBB1734_12
; %bb.11:
	v_mul_u32_u24_e32 v67, 0x44, v66
	s_delay_alu instid0(VALU_DEP_1) | instskip(SKIP_1) | instid1(VALU_DEP_1)
	v_lshl_add_u32 v67, v65, 2, v67
	s_waitcnt lgkmcnt(0)
	v_dual_add_f32 v82, v82, v89 :: v_dual_add_nc_u32 v67, 0x4000, v67
	ds_store_2addr_b32 v67, v68, v82 offset1:136
.LBB1734_12:
	s_or_b32 exec_lo, exec_lo, s4
	v_lshlrev_b32_e32 v67, 2, v65
	s_waitcnt lgkmcnt(0)
	s_barrier
	buffer_gl0_inv
	v_cmp_eq_u32_e32 vcc_lo, 1, v66
	v_add_nc_u32_e32 v82, 0x4000, v67
	v_cmp_eq_u32_e64 s4, 2, v66
	v_cmp_eq_u32_e64 s6, 7, v66
	ds_load_2addr_b32 v[89:90], v82 offset1:17
	ds_load_2addr_b32 v[91:92], v82 offset0:34 offset1:51
	ds_load_2addr_b32 v[93:94], v82 offset0:68 offset1:85
	;; [unrolled: 1-line block ×4, first 2 shown]
	s_waitcnt lgkmcnt(4)
	v_max3_f32 v67, v89, 0xff7fffff, v90
	s_waitcnt lgkmcnt(3)
	s_delay_alu instid0(VALU_DEP_1) | instskip(SKIP_1) | instid1(VALU_DEP_1)
	v_max3_f32 v67, v67, v91, v92
	s_waitcnt lgkmcnt(2)
	v_max3_f32 v67, v67, v93, v94
	s_waitcnt lgkmcnt(1)
	s_delay_alu instid0(VALU_DEP_1) | instskip(NEXT) | instid1(VALU_DEP_1)
	v_max3_f32 v67, v67, v95, v96
	v_sub_f32_e32 v93, v93, v67
	s_delay_alu instid0(VALU_DEP_1) | instskip(NEXT) | instid1(VALU_DEP_1)
	v_dual_sub_f32 v68, v89, v67 :: v_dual_mul_f32 v103, 0x3fb8aa3b, v93
	v_mul_f32_e32 v68, 0x3fb8aa3b, v68
	s_delay_alu instid0(VALU_DEP_1)
	v_exp_f32_e32 v100, v68
	v_sub_f32_e32 v68, v92, v67
	v_sub_f32_e32 v99, v90, v67
	ds_load_2addr_b32 v[89:90], v82 offset0:170 offset1:187
	v_dual_mul_f32 v102, 0x3fb8aa3b, v68 :: v_dual_mul_f32 v99, 0x3fb8aa3b, v99
	s_waitcnt lgkmcnt(1)
	v_fma_f32 v68, v100, v97, 0
	s_delay_alu instid0(VALU_DEP_2) | instskip(NEXT) | instid1(VALU_DEP_2)
	v_exp_f32_e32 v102, v102
	v_exp_f32_e32 v99, v99
	s_waitcnt_depctr 0xfff
	v_fmac_f32_e32 v68, v99, v98
	v_sub_f32_e32 v91, v91, v67
	s_delay_alu instid0(VALU_DEP_1)
	v_mul_f32_e32 v101, 0x3fb8aa3b, v91
	ds_load_2addr_b32 v[91:92], v82 offset0:204 offset1:221
	v_sub_f32_e32 v97, v94, v67
	ds_load_2addr_b32 v[93:94], v82 offset0:238 offset1:255
	s_waitcnt lgkmcnt(0)
	v_exp_f32_e32 v101, v101
	s_barrier
	buffer_gl0_inv
	v_dual_fmac_f32 v68, v101, v89 :: v_dual_sub_f32 v89, v96, v67
	v_dual_sub_f32 v82, v95, v67 :: v_dual_mul_f32 v95, 0x3fb8aa3b, v97
	v_exp_f32_e32 v97, v103
	s_delay_alu instid0(VALU_DEP_2) | instskip(NEXT) | instid1(VALU_DEP_2)
	v_dual_fmac_f32 v68, v102, v90 :: v_dual_mul_f32 v89, 0x3fb8aa3b, v89
	v_mul_f32_e32 v82, 0x3fb8aa3b, v82
	s_delay_alu instid0(VALU_DEP_3) | instskip(NEXT) | instid1(VALU_DEP_2)
	v_exp_f32_e32 v95, v95
	v_exp_f32_e32 v89, v89
	s_delay_alu instid0(VALU_DEP_1)
	v_exp_f32_e32 v82, v82
	v_fmac_f32_e32 v68, v97, v91
	s_delay_alu instid0(TRANS32_DEP_3) | instid1(VALU_DEP_1)
	v_fmac_f32_e32 v68, v95, v92
	s_waitcnt_depctr 0xfff
	v_fmac_f32_e32 v68, v82, v93
	s_delay_alu instid0(VALU_DEP_1) | instskip(NEXT) | instid1(VALU_DEP_1)
	v_fmac_f32_e32 v68, v89, v94
	v_add_f32_e32 v90, 0x358637bd, v68
	s_delay_alu instid0(VALU_DEP_1) | instskip(NEXT) | instid1(VALU_DEP_1)
	v_div_scale_f32 v91, null, v90, v90, 1.0
	v_rcp_f32_e32 v92, v91
	s_waitcnt_depctr 0xfff
	v_fma_f32 v93, -v91, v92, 1.0
	s_delay_alu instid0(VALU_DEP_1) | instskip(SKIP_1) | instid1(VALU_DEP_2)
	v_dual_fmac_f32 v92, v93, v92 :: v_dual_cndmask_b32 v93, v100, v99
	v_cmp_eq_u32_e32 vcc_lo, 3, v66
	v_cndmask_b32_e64 v93, v93, v101, s4
	v_cmp_eq_u32_e64 s4, 4, v66
	s_delay_alu instid0(VALU_DEP_2) | instskip(SKIP_1) | instid1(VALU_DEP_2)
	v_cndmask_b32_e32 v93, v93, v102, vcc_lo
	v_cmp_eq_u32_e32 vcc_lo, 5, v66
	v_cndmask_b32_e64 v93, v93, v97, s4
	v_cmp_eq_u32_e64 s4, 6, v66
	s_delay_alu instid0(VALU_DEP_2) | instskip(SKIP_1) | instid1(VALU_DEP_1)
	v_cndmask_b32_e32 v93, v93, v95, vcc_lo
	v_div_scale_f32 v94, s5, 1.0, v90, 1.0
	s_mov_b32 vcc_lo, s5
	s_delay_alu instid0(VALU_DEP_2) | instskip(NEXT) | instid1(VALU_DEP_2)
	v_cndmask_b32_e64 v82, v93, v82, s4
	v_mul_f32_e32 v96, v94, v92
	s_mov_b32 s4, exec_lo
	s_delay_alu instid0(VALU_DEP_2) | instskip(NEXT) | instid1(VALU_DEP_2)
	v_cndmask_b32_e64 v82, v82, v89, s6
	v_fma_f32 v98, -v91, v96, v94
	s_delay_alu instid0(VALU_DEP_1) | instskip(NEXT) | instid1(VALU_DEP_1)
	v_fmac_f32_e32 v96, v98, v92
	v_fma_f32 v91, -v91, v96, v94
	s_delay_alu instid0(VALU_DEP_1) | instskip(NEXT) | instid1(VALU_DEP_1)
	v_div_fmas_f32 v91, v91, v92, v96
	v_div_fixup_f32 v90, v91, v90, 1.0
	s_delay_alu instid0(VALU_DEP_1) | instskip(NEXT) | instid1(VALU_DEP_1)
	v_mul_f32_e32 v82, v82, v90
	v_mul_f32_e32 v87, v82, v87
	;; [unrolled: 1-line block ×7, first 2 shown]
	v_dual_mul_f32 v86, v82, v83 :: v_dual_and_b32 v91, 0x7f800000, v90
	v_mul_f32_e32 v85, v82, v76
                                        ; implicit-def: $vgpr76
	s_delay_alu instid0(VALU_DEP_2)
	v_cmpx_ne_u32_e32 0x7f800000, v91
	s_xor_b32 s4, exec_lo, s4
; %bb.13:
	v_bfe_u32 v76, v90, 16, 1
	s_delay_alu instid0(VALU_DEP_1)
	v_add3_u32 v76, v90, v76, 0x7fff
                                        ; implicit-def: $vgpr90
; %bb.14:
	s_and_not1_saveexec_b32 s4, s4
; %bb.15:
	v_and_b32_e32 v76, 0xffff, v90
	v_or_b32_e32 v83, 0x10000, v90
	s_delay_alu instid0(VALU_DEP_2) | instskip(NEXT) | instid1(VALU_DEP_2)
	v_cmp_eq_u32_e32 vcc_lo, 0, v76
	v_cndmask_b32_e32 v76, v83, v90, vcc_lo
; %bb.16:
	s_or_b32 exec_lo, exec_lo, s4
	v_and_b32_e32 v83, 0x7f800000, v85
	s_delay_alu instid0(VALU_DEP_1) | instskip(SKIP_1) | instid1(SALU_CYCLE_1)
	v_cmp_ne_u32_e32 vcc_lo, 0x7f800000, v83
                                        ; implicit-def: $vgpr83
	s_and_saveexec_b32 s4, vcc_lo
	s_xor_b32 s4, exec_lo, s4
; %bb.17:
	v_bfe_u32 v83, v85, 16, 1
	s_delay_alu instid0(VALU_DEP_1)
	v_add3_u32 v83, v85, v83, 0x7fff
                                        ; implicit-def: $vgpr85
; %bb.18:
	s_and_not1_saveexec_b32 s4, s4
; %bb.19:
	v_and_b32_e32 v83, 0xffff, v85
	v_or_b32_e32 v90, 0x10000, v85
	s_delay_alu instid0(VALU_DEP_2) | instskip(NEXT) | instid1(VALU_DEP_2)
	v_cmp_eq_u32_e32 vcc_lo, 0, v83
	v_cndmask_b32_e32 v83, v90, v85, vcc_lo
; %bb.20:
	s_or_b32 exec_lo, exec_lo, s4
	v_and_b32_e32 v85, 0x7f800000, v86
	s_delay_alu instid0(VALU_DEP_1) | instskip(SKIP_1) | instid1(SALU_CYCLE_1)
	v_cmp_ne_u32_e32 vcc_lo, 0x7f800000, v85
                                        ; implicit-def: $vgpr85
	s_and_saveexec_b32 s4, vcc_lo
	s_xor_b32 s4, exec_lo, s4
; %bb.21:
	v_bfe_u32 v85, v86, 16, 1
	s_delay_alu instid0(VALU_DEP_1)
	v_add3_u32 v85, v86, v85, 0x7fff
                                        ; implicit-def: $vgpr86
; %bb.22:
	s_and_not1_saveexec_b32 s4, s4
; %bb.23:
	v_and_b32_e32 v85, 0xffff, v86
	v_or_b32_e32 v90, 0x10000, v86
	s_delay_alu instid0(VALU_DEP_2) | instskip(NEXT) | instid1(VALU_DEP_2)
	v_cmp_eq_u32_e32 vcc_lo, 0, v85
	v_cndmask_b32_e32 v85, v90, v86, vcc_lo
; %bb.24:
	s_or_b32 exec_lo, exec_lo, s4
	v_and_b32_e32 v86, 0x7f800000, v89
	s_delay_alu instid0(VALU_DEP_1) | instskip(SKIP_1) | instid1(SALU_CYCLE_1)
	v_cmp_ne_u32_e32 vcc_lo, 0x7f800000, v86
                                        ; implicit-def: $vgpr86
	s_and_saveexec_b32 s4, vcc_lo
	s_xor_b32 s4, exec_lo, s4
; %bb.25:
	v_bfe_u32 v86, v89, 16, 1
	s_delay_alu instid0(VALU_DEP_1)
	v_add3_u32 v86, v89, v86, 0x7fff
                                        ; implicit-def: $vgpr89
; %bb.26:
	s_and_not1_saveexec_b32 s4, s4
; %bb.27:
	v_and_b32_e32 v86, 0xffff, v89
	v_or_b32_e32 v90, 0x10000, v89
	s_delay_alu instid0(VALU_DEP_2) | instskip(NEXT) | instid1(VALU_DEP_2)
	v_cmp_eq_u32_e32 vcc_lo, 0, v86
	v_cndmask_b32_e32 v86, v90, v89, vcc_lo
; %bb.28:
	s_or_b32 exec_lo, exec_lo, s4
	v_and_b32_e32 v89, 0x7f800000, v88
	s_delay_alu instid0(VALU_DEP_1) | instskip(SKIP_1) | instid1(SALU_CYCLE_1)
	v_cmp_ne_u32_e32 vcc_lo, 0x7f800000, v89
                                        ; implicit-def: $vgpr89
	s_and_saveexec_b32 s4, vcc_lo
	s_xor_b32 s4, exec_lo, s4
; %bb.29:
	v_bfe_u32 v89, v88, 16, 1
	s_delay_alu instid0(VALU_DEP_1)
	v_add3_u32 v89, v88, v89, 0x7fff
                                        ; implicit-def: $vgpr88
; %bb.30:
	s_and_not1_saveexec_b32 s4, s4
; %bb.31:
	v_and_b32_e32 v89, 0xffff, v88
	v_or_b32_e32 v90, 0x10000, v88
	s_delay_alu instid0(VALU_DEP_2) | instskip(NEXT) | instid1(VALU_DEP_2)
	v_cmp_eq_u32_e32 vcc_lo, 0, v89
	v_cndmask_b32_e32 v89, v90, v88, vcc_lo
; %bb.32:
	s_or_b32 exec_lo, exec_lo, s4
	v_and_b32_e32 v88, 0x7f800000, v87
	s_delay_alu instid0(VALU_DEP_1) | instskip(SKIP_1) | instid1(SALU_CYCLE_1)
	v_cmp_ne_u32_e32 vcc_lo, 0x7f800000, v88
                                        ; implicit-def: $vgpr88
	s_and_saveexec_b32 s4, vcc_lo
	s_xor_b32 s4, exec_lo, s4
; %bb.33:
	v_bfe_u32 v88, v87, 16, 1
	s_delay_alu instid0(VALU_DEP_1)
	v_add3_u32 v88, v87, v88, 0x7fff
                                        ; implicit-def: $vgpr87
; %bb.34:
	s_and_not1_saveexec_b32 s4, s4
; %bb.35:
	v_and_b32_e32 v88, 0xffff, v87
	v_or_b32_e32 v90, 0x10000, v87
	s_delay_alu instid0(VALU_DEP_2) | instskip(NEXT) | instid1(VALU_DEP_2)
	v_cmp_eq_u32_e32 vcc_lo, 0, v88
	v_cndmask_b32_e32 v88, v90, v87, vcc_lo
; %bb.36:
	s_or_b32 exec_lo, exec_lo, s4
	v_and_b32_e32 v87, 0x7f800000, v84
	s_delay_alu instid0(VALU_DEP_1) | instskip(SKIP_1) | instid1(SALU_CYCLE_1)
	v_cmp_ne_u32_e32 vcc_lo, 0x7f800000, v87
                                        ; implicit-def: $vgpr87
	s_and_saveexec_b32 s4, vcc_lo
	s_xor_b32 s4, exec_lo, s4
; %bb.37:
	v_bfe_u32 v87, v84, 16, 1
	s_delay_alu instid0(VALU_DEP_1)
	v_add3_u32 v87, v84, v87, 0x7fff
                                        ; implicit-def: $vgpr84
; %bb.38:
	s_and_not1_saveexec_b32 s4, s4
; %bb.39:
	v_and_b32_e32 v87, 0xffff, v84
	v_or_b32_e32 v90, 0x10000, v84
	s_delay_alu instid0(VALU_DEP_2) | instskip(NEXT) | instid1(VALU_DEP_2)
	v_cmp_eq_u32_e32 vcc_lo, 0, v87
	v_cndmask_b32_e32 v87, v90, v84, vcc_lo
; %bb.40:
	s_or_b32 exec_lo, exec_lo, s4
	v_and_b32_e32 v84, 0x7f800000, v80
	s_delay_alu instid0(VALU_DEP_1) | instskip(SKIP_1) | instid1(SALU_CYCLE_1)
	v_cmp_ne_u32_e32 vcc_lo, 0x7f800000, v84
                                        ; implicit-def: $vgpr84
	s_and_saveexec_b32 s4, vcc_lo
	s_xor_b32 s4, exec_lo, s4
; %bb.41:
	v_bfe_u32 v84, v80, 16, 1
	s_delay_alu instid0(VALU_DEP_1)
	v_add3_u32 v84, v80, v84, 0x7fff
                                        ; implicit-def: $vgpr80
; %bb.42:
	s_and_not1_saveexec_b32 s4, s4
; %bb.43:
	v_and_b32_e32 v84, 0xffff, v80
	v_or_b32_e32 v90, 0x10000, v80
	s_delay_alu instid0(VALU_DEP_2) | instskip(NEXT) | instid1(VALU_DEP_2)
	v_cmp_eq_u32_e32 vcc_lo, 0, v84
	v_cndmask_b32_e32 v84, v90, v80, vcc_lo
; %bb.44:
	s_or_b32 exec_lo, exec_lo, s4
	s_load_b64 s[36:37], s[0:1], 0x94
	v_lshlrev_b32_e32 v91, 4, v74
	s_delay_alu instid0(VALU_DEP_2)
	v_perm_b32 v90, v84, v87, 0x7060302
	v_dual_mul_f32 v79, v82, v79 :: v_dual_lshlrev_b32 v80, 6, v65
	v_dual_mul_f32 v77, v82, v77 :: v_dual_lshlrev_b32 v92, 11, v66
	v_mul_f32_e32 v84, v82, v70
	v_perm_b32 v89, v88, v89, 0x7060302
	v_perm_b32 v88, v86, v85, 0x7060302
	;; [unrolled: 1-line block ×3, first 2 shown]
	v_mul_f32_e32 v70, v82, v81
	v_or3_b32 v76, v91, v92, v80
	v_dual_mul_f32 v78, v82, v78 :: v_dual_and_b32 v85, 0x7f800000, v84
	v_mul_f32_e32 v83, v82, v72
	v_mul_f32_e32 v81, v82, v71
	;; [unrolled: 1-line block ×3, first 2 shown]
	s_mov_b32 s4, exec_lo
	ds_store_b128 v76, v[87:90]
                                        ; implicit-def: $vgpr69
	v_cmpx_ne_u32_e32 0x7f800000, v85
	s_xor_b32 s4, exec_lo, s4
; %bb.45:
	v_bfe_u32 v69, v84, 16, 1
	s_delay_alu instid0(VALU_DEP_1)
	v_add3_u32 v69, v84, v69, 0x7fff
                                        ; implicit-def: $vgpr84
; %bb.46:
	s_and_not1_saveexec_b32 s4, s4
; %bb.47:
	v_and_b32_e32 v69, 0xffff, v84
	v_or_b32_e32 v71, 0x10000, v84
	s_delay_alu instid0(VALU_DEP_2) | instskip(NEXT) | instid1(VALU_DEP_2)
	v_cmp_eq_u32_e32 vcc_lo, 0, v69
	v_cndmask_b32_e32 v69, v71, v84, vcc_lo
; %bb.48:
	s_or_b32 exec_lo, exec_lo, s4
	v_and_b32_e32 v71, 0x7f800000, v72
	s_delay_alu instid0(VALU_DEP_1) | instskip(SKIP_1) | instid1(SALU_CYCLE_1)
	v_cmp_ne_u32_e32 vcc_lo, 0x7f800000, v71
                                        ; implicit-def: $vgpr71
	s_and_saveexec_b32 s4, vcc_lo
	s_xor_b32 s4, exec_lo, s4
; %bb.49:
	v_bfe_u32 v71, v72, 16, 1
	s_delay_alu instid0(VALU_DEP_1)
	v_add3_u32 v71, v72, v71, 0x7fff
                                        ; implicit-def: $vgpr72
; %bb.50:
	s_and_not1_saveexec_b32 s4, s4
; %bb.51:
	v_and_b32_e32 v71, 0xffff, v72
	v_or_b32_e32 v82, 0x10000, v72
	s_delay_alu instid0(VALU_DEP_2) | instskip(NEXT) | instid1(VALU_DEP_2)
	v_cmp_eq_u32_e32 vcc_lo, 0, v71
	v_cndmask_b32_e32 v71, v82, v72, vcc_lo
; %bb.52:
	s_or_b32 exec_lo, exec_lo, s4
	v_and_b32_e32 v72, 0x7f800000, v81
	s_delay_alu instid0(VALU_DEP_1) | instskip(SKIP_1) | instid1(SALU_CYCLE_1)
	v_cmp_ne_u32_e32 vcc_lo, 0x7f800000, v72
                                        ; implicit-def: $vgpr72
	s_and_saveexec_b32 s4, vcc_lo
	s_xor_b32 s4, exec_lo, s4
; %bb.53:
	v_bfe_u32 v72, v81, 16, 1
	s_delay_alu instid0(VALU_DEP_1)
	v_add3_u32 v72, v81, v72, 0x7fff
                                        ; implicit-def: $vgpr81
; %bb.54:
	s_and_not1_saveexec_b32 s4, s4
; %bb.55:
	v_and_b32_e32 v72, 0xffff, v81
	v_or_b32_e32 v82, 0x10000, v81
	s_delay_alu instid0(VALU_DEP_2) | instskip(NEXT) | instid1(VALU_DEP_2)
	v_cmp_eq_u32_e32 vcc_lo, 0, v72
	v_cndmask_b32_e32 v72, v82, v81, vcc_lo
; %bb.56:
	s_or_b32 exec_lo, exec_lo, s4
	v_and_b32_e32 v81, 0x7f800000, v83
	s_delay_alu instid0(VALU_DEP_1) | instskip(SKIP_1) | instid1(SALU_CYCLE_1)
	v_cmp_ne_u32_e32 vcc_lo, 0x7f800000, v81
                                        ; implicit-def: $vgpr81
	s_and_saveexec_b32 s4, vcc_lo
	s_xor_b32 s4, exec_lo, s4
; %bb.57:
	v_bfe_u32 v81, v83, 16, 1
	s_delay_alu instid0(VALU_DEP_1)
	v_add3_u32 v81, v83, v81, 0x7fff
                                        ; implicit-def: $vgpr83
; %bb.58:
	s_and_not1_saveexec_b32 s4, s4
; %bb.59:
	v_and_b32_e32 v81, 0xffff, v83
	v_or_b32_e32 v82, 0x10000, v83
	s_delay_alu instid0(VALU_DEP_2) | instskip(NEXT) | instid1(VALU_DEP_2)
	v_cmp_eq_u32_e32 vcc_lo, 0, v81
	v_cndmask_b32_e32 v81, v82, v83, vcc_lo
; %bb.60:
	s_or_b32 exec_lo, exec_lo, s4
	v_and_b32_e32 v82, 0x7f800000, v77
	s_delay_alu instid0(VALU_DEP_1) | instskip(SKIP_1) | instid1(SALU_CYCLE_1)
	v_cmp_ne_u32_e32 vcc_lo, 0x7f800000, v82
                                        ; implicit-def: $vgpr82
	s_and_saveexec_b32 s4, vcc_lo
	s_xor_b32 s4, exec_lo, s4
; %bb.61:
	v_bfe_u32 v82, v77, 16, 1
	s_delay_alu instid0(VALU_DEP_1)
	v_add3_u32 v82, v77, v82, 0x7fff
                                        ; implicit-def: $vgpr77
; %bb.62:
	s_and_not1_saveexec_b32 s4, s4
; %bb.63:
	v_and_b32_e32 v82, 0xffff, v77
	v_or_b32_e32 v83, 0x10000, v77
	s_delay_alu instid0(VALU_DEP_2) | instskip(NEXT) | instid1(VALU_DEP_2)
	v_cmp_eq_u32_e32 vcc_lo, 0, v82
	v_cndmask_b32_e32 v82, v83, v77, vcc_lo
; %bb.64:
	s_or_b32 exec_lo, exec_lo, s4
	v_and_b32_e32 v77, 0x7f800000, v78
	s_delay_alu instid0(VALU_DEP_1) | instskip(SKIP_1) | instid1(SALU_CYCLE_1)
	v_cmp_ne_u32_e32 vcc_lo, 0x7f800000, v77
                                        ; implicit-def: $vgpr77
	s_and_saveexec_b32 s4, vcc_lo
	s_xor_b32 s4, exec_lo, s4
; %bb.65:
	v_bfe_u32 v77, v78, 16, 1
	s_delay_alu instid0(VALU_DEP_1)
	v_add3_u32 v77, v78, v77, 0x7fff
                                        ; implicit-def: $vgpr78
; %bb.66:
	s_and_not1_saveexec_b32 s4, s4
; %bb.67:
	v_and_b32_e32 v77, 0xffff, v78
	v_or_b32_e32 v83, 0x10000, v78
	s_delay_alu instid0(VALU_DEP_2) | instskip(NEXT) | instid1(VALU_DEP_2)
	v_cmp_eq_u32_e32 vcc_lo, 0, v77
	v_cndmask_b32_e32 v77, v83, v78, vcc_lo
; %bb.68:
	s_or_b32 exec_lo, exec_lo, s4
	v_and_b32_e32 v78, 0x7f800000, v79
	s_delay_alu instid0(VALU_DEP_1) | instskip(SKIP_1) | instid1(SALU_CYCLE_1)
	v_cmp_ne_u32_e32 vcc_lo, 0x7f800000, v78
                                        ; implicit-def: $vgpr78
	s_and_saveexec_b32 s4, vcc_lo
	s_xor_b32 s4, exec_lo, s4
; %bb.69:
	v_bfe_u32 v78, v79, 16, 1
	s_delay_alu instid0(VALU_DEP_1)
	v_add3_u32 v78, v79, v78, 0x7fff
                                        ; implicit-def: $vgpr79
; %bb.70:
	s_and_not1_saveexec_b32 s4, s4
; %bb.71:
	v_and_b32_e32 v78, 0xffff, v79
	v_or_b32_e32 v83, 0x10000, v79
	s_delay_alu instid0(VALU_DEP_2) | instskip(NEXT) | instid1(VALU_DEP_2)
	v_cmp_eq_u32_e32 vcc_lo, 0, v78
	v_cndmask_b32_e32 v78, v83, v79, vcc_lo
; %bb.72:
	s_or_b32 exec_lo, exec_lo, s4
	v_and_b32_e32 v79, 0x7f800000, v70
	s_delay_alu instid0(VALU_DEP_1) | instskip(SKIP_1) | instid1(SALU_CYCLE_1)
	v_cmp_ne_u32_e32 vcc_lo, 0x7f800000, v79
                                        ; implicit-def: $vgpr79
	s_and_saveexec_b32 s4, vcc_lo
	s_xor_b32 s4, exec_lo, s4
; %bb.73:
	v_bfe_u32 v79, v70, 16, 1
	s_delay_alu instid0(VALU_DEP_1)
	v_add3_u32 v79, v70, v79, 0x7fff
                                        ; implicit-def: $vgpr70
; %bb.74:
	s_and_not1_saveexec_b32 s4, s4
; %bb.75:
	v_and_b32_e32 v79, 0xffff, v70
	v_or_b32_e32 v83, 0x10000, v70
	s_delay_alu instid0(VALU_DEP_2) | instskip(NEXT) | instid1(VALU_DEP_2)
	v_cmp_eq_u32_e32 vcc_lo, 0, v79
	v_cndmask_b32_e32 v79, v83, v70, vcc_lo
; %bb.76:
	s_or_b32 exec_lo, exec_lo, s4
	s_delay_alu instid0(VALU_DEP_1)
	v_perm_b32 v86, v79, v78, 0x7060302
	v_perm_b32 v85, v77, v82, 0x7060302
	;; [unrolled: 1-line block ×4, first 2 shown]
	v_lshl_or_b32 v82, v66, 11, v80
	ds_store_b128 v76, v[83:86] offset:1024
	s_waitcnt lgkmcnt(0)
	s_barrier
	buffer_gl0_inv
	ds_load_b128 v[69:72], v82
	ds_load_b128 v[83:86], v82 offset:16
	s_waitcnt lgkmcnt(1)
	v_lshrrev_b32_e32 v66, 16, v69
	s_waitcnt lgkmcnt(0)
	v_lshrrev_b32_e32 v91, 16, v83
	v_lshlrev_b32_e32 v78, 2, v74
	v_lshrrev_b32_e32 v95, 16, v70
	v_lshrrev_b32_e32 v98, 16, v84
	;; [unrolled: 1-line block ×4, first 2 shown]
	v_cmp_eq_u32_e32 vcc_lo, 1, v78
	v_lshrrev_b32_e32 v97, 16, v72
	v_lshrrev_b32_e32 v100, 16, v86
	v_cndmask_b32_e32 v87, v83, v91, vcc_lo
	v_or_b32_e32 v79, 1, v78
	v_cndmask_b32_e32 v81, v69, v66, vcc_lo
	v_cmp_eq_u32_e64 s5, 2, v78
	v_cmp_eq_u32_e64 s8, 3, v78
	;; [unrolled: 1-line block ×5, first 2 shown]
	v_cndmask_b32_e64 v81, v81, v70, s5
	v_cndmask_b32_e64 v87, v87, v84, s5
	v_cmp_eq_u32_e64 s9, 3, v79
	v_cndmask_b32_e64 v88, v69, v66, s4
	v_or_b32_e32 v77, 2, v78
	v_cndmask_b32_e64 v81, v81, v95, s8
	v_cndmask_b32_e64 v87, v87, v98, s8
	;; [unrolled: 1-line block ×4, first 2 shown]
	v_cmp_eq_u32_e64 s11, 5, v78
	v_cndmask_b32_e64 v81, v81, v71, s10
	v_cndmask_b32_e64 v87, v87, v85, s10
	v_cmp_eq_u32_e64 s12, 4, v79
	v_cndmask_b32_e64 v88, v88, v95, s9
	v_cmp_eq_u32_e64 s6, 1, v77
	v_cndmask_b32_e64 v89, v89, v84, s7
	v_cndmask_b32_e64 v81, v81, v96, s11
	v_cmp_eq_u32_e64 s13, 6, v78
	v_cndmask_b32_e64 v88, v88, v71, s12
	;; [unrolled: 3-line block ×3, first 2 shown]
	v_cndmask_b32_e64 v89, v89, v98, s9
	v_cndmask_b32_e64 v81, v81, v72, s13
	v_cmp_eq_u32_e64 s16, 7, v78
	v_cndmask_b32_e64 v88, v88, v96, s15
	v_cndmask_b32_e64 v87, v87, v86, s13
	v_cmp_eq_u32_e64 s17, 6, v79
	v_cmp_eq_u32_e64 s18, 2, v77
	v_cndmask_b32_e64 v89, v89, v85, s12
	v_cndmask_b32_e64 v101, v81, v97, s16
	;; [unrolled: 1-line block ×6, first 2 shown]
	v_cmp_eq_u32_e64 s19, 7, v79
	v_cmp_eq_u32_e64 s20, 3, v77
	v_cmp_eq_u32_e64 s21, 4, v77
	v_cmp_eq_u32_e64 s23, 5, v77
	v_cndmask_b32_e64 v87, v87, v84, s18
	v_cndmask_b32_e64 v103, v88, v97, s19
	v_cndmask_b32_e64 v88, v89, v99, s15
	v_cndmask_b32_e64 v89, v81, v95, s20
	v_or_b32_e32 v81, 3, v78
	v_cndmask_b32_e64 v93, v87, v98, s20
	v_cmp_eq_u32_e64 s25, 6, v77
	v_cndmask_b32_e64 v104, v88, v86, s17
	v_cndmask_b32_e64 v92, v89, v71, s21
	v_cmp_eq_u32_e64 s22, 1, v81
	ds_load_b128 v[87:90], v82 offset:1024
	v_cmp_eq_u32_e64 s24, 2, v81
	v_cmp_eq_u32_e64 s26, 3, v81
	v_cndmask_b32_e64 v105, v92, v96, s23
	v_cndmask_b32_e64 v66, v69, v66, s22
	;; [unrolled: 1-line block ×4, first 2 shown]
	ds_load_b128 v[91:94], v82 offset:1040
	v_cmp_eq_u32_e64 s27, 4, v81
	v_cndmask_b32_e64 v66, v66, v70, s24
	v_cmp_eq_u32_e64 s28, 7, v77
	v_cndmask_b32_e64 v70, v83, v84, s24
	v_cndmask_b32_e64 v84, v105, v72, s25
	v_cmp_eq_u32_e64 s29, 5, v81
	v_cndmask_b32_e64 v66, v66, v95, s26
	v_cmp_eq_u32_e64 s30, 6, v81
	v_cndmask_b32_e64 v70, v70, v98, s26
	v_cndmask_b32_e64 v69, v69, v99, s23
	;; [unrolled: 1-line block ×4, first 2 shown]
	s_waitcnt lgkmcnt(1)
	v_lshrrev_b32_e32 v95, 16, v87
	v_cndmask_b32_e64 v70, v70, v85, s27
	v_cndmask_b32_e64 v71, v84, v97, s28
	;; [unrolled: 1-line block ×4, first 2 shown]
	v_cndmask_b32_e32 v84, v87, v95, vcc_lo
	v_cndmask_b32_e64 v70, v70, v99, s29
	s_waitcnt lgkmcnt(0)
	v_lshrrev_b32_e32 v85, 16, v91
	v_lshrrev_b32_e32 v96, 16, v88
	v_cndmask_b32_e64 v98, v87, v95, s4
	v_cndmask_b32_e64 v84, v84, v88, s5
	;; [unrolled: 1-line block ×3, first 2 shown]
	v_cndmask_b32_e32 v99, v91, v85, vcc_lo
	v_cmp_eq_u32_e32 vcc_lo, 7, v81
	v_cndmask_b32_e64 v66, v66, v72, s30
	v_cndmask_b32_e64 v72, v84, v96, s8
	;; [unrolled: 1-line block ×3, first 2 shown]
	v_lshrrev_b32_e32 v98, 16, v92
	v_cndmask_b32_e32 v70, v70, v100, vcc_lo
	v_cndmask_b32_e64 v86, v99, v92, s5
	v_cndmask_b32_e64 v69, v69, v100, s28
	v_lshrrev_b32_e32 v100, 16, v93
	v_cndmask_b32_e64 v72, v72, v89, s10
	v_lshrrev_b32_e32 v99, 16, v89
	v_cndmask_b32_e64 v86, v86, v98, s8
	v_perm_b32 v71, v69, v71, 0x5040100
	v_cndmask_b32_e64 v84, v84, v96, s9
	s_delay_alu instid0(VALU_DEP_3) | instskip(NEXT) | instid1(VALU_DEP_2)
	v_cndmask_b32_e64 v86, v86, v93, s10
	v_cndmask_b32_e64 v84, v84, v89, s12
	s_delay_alu instid0(VALU_DEP_2) | instskip(NEXT) | instid1(VALU_DEP_1)
	v_cndmask_b32_e64 v86, v86, v100, s11
	v_cndmask_b32_e64 v69, v86, v94, s13
	;; [unrolled: 1-line block ×5, first 2 shown]
	s_delay_alu instid0(VALU_DEP_3) | instskip(NEXT) | instid1(VALU_DEP_3)
	v_cndmask_b32_e64 v86, v86, v88, s18
	v_cndmask_b32_e64 v87, v87, v88, s24
	s_delay_alu instid0(VALU_DEP_3) | instskip(NEXT) | instid1(VALU_DEP_3)
	v_cndmask_b32_e64 v88, v95, v92, s24
	v_cndmask_b32_e64 v86, v86, v96, s20
	;; [unrolled: 3-line block ×7, first 2 shown]
	s_delay_alu instid0(VALU_DEP_3) | instskip(SKIP_2) | instid1(VALU_DEP_2)
	v_cndmask_b32_e64 v88, v88, v94, s30
	v_cndmask_b32_e32 v66, v66, v97, vcc_lo
	v_cndmask_b32_e64 v97, v72, v99, s11
	v_perm_b32 v72, v70, v66, 0x5040100
	v_perm_b32 v70, v83, v103, 0x5040100
	v_cndmask_b32_e64 v103, v91, v85, s6
	v_cndmask_b32_e64 v85, v91, v85, s4
	;; [unrolled: 1-line block ×4, first 2 shown]
	v_lshrrev_b32_e32 v97, 16, v90
	v_cndmask_b32_e64 v91, v103, v92, s18
	v_cndmask_b32_e64 v85, v85, v92, s7
	;; [unrolled: 1-line block ×3, first 2 shown]
	s_mov_b32 s4, exec_lo
	v_cndmask_b32_e64 v83, v84, v97, s16
	v_cndmask_b32_e64 v91, v91, v98, s20
	;; [unrolled: 1-line block ×3, first 2 shown]
	v_lshrrev_b32_e32 v84, 16, v94
	v_cndmask_b32_e64 v66, v66, v97, s19
	v_cndmask_b32_e64 v90, v86, v97, s28
	;; [unrolled: 1-line block ×4, first 2 shown]
	v_dual_cndmask_b32 v86, v87, v97 :: v_dual_cndmask_b32 v87, v88, v84
	v_cndmask_b32_e64 v91, v69, v84, s16
	s_delay_alu instid0(VALU_DEP_4) | instskip(NEXT) | instid1(VALU_DEP_4)
	v_cndmask_b32_e64 v89, v89, v100, s23
	v_cndmask_b32_e64 v85, v85, v100, s15
	v_perm_b32 v69, v102, v101, 0x5040100
	v_perm_b32 v86, v87, v86, 0x5040100
	;; [unrolled: 1-line block ×3, first 2 shown]
	v_cndmask_b32_e64 v89, v89, v94, s25
	v_cndmask_b32_e64 v85, v85, v94, s17
	s_mul_i32 s9, s37, 9
	s_delay_alu instid0(VALU_DEP_2) | instskip(NEXT) | instid1(VALU_DEP_2)
	v_cndmask_b32_e64 v88, v89, v84, s28
	v_cndmask_b32_e64 v89, v85, v84, s19
	s_delay_alu instid0(VALU_DEP_2) | instskip(NEXT) | instid1(VALU_DEP_2)
	v_perm_b32 v85, v88, v90, 0x5040100
	v_perm_b32 v84, v89, v66, 0x5040100
	ds_store_b128 v76, v[69:72]
	ds_store_b128 v76, v[83:86] offset:1024
	v_cmpx_gt_u32_e32 9, v0
	s_cbranch_execz .LBB1734_78
; %bb.77:
	s_mul_i32 s5, s9, s34
	s_load_b128 s[16:19], s[0:1], 0x58
	v_add3_u32 v69, s5, s31, v65
	s_delay_alu instid0(VALU_DEP_1) | instskip(NEXT) | instid1(VALU_DEP_1)
	v_mad_u64_u32 v[65:66], null, v69, s36, s[14:15]
	v_ashrrev_i32_e32 v66, 31, v65
	s_delay_alu instid0(VALU_DEP_1) | instskip(SKIP_1) | instid1(VALU_DEP_1)
	v_lshlrev_b64 v[65:66], 2, v[65:66]
	s_waitcnt lgkmcnt(0)
	v_add_co_u32 v69, vcc_lo, s18, v65
	s_delay_alu instid0(VALU_DEP_2)
	v_add_co_ci_u32_e32 v70, vcc_lo, s19, v66, vcc_lo
	v_add_co_u32 v65, vcc_lo, s16, v65
	v_add_co_ci_u32_e32 v66, vcc_lo, s17, v66, vcc_lo
	global_store_b32 v[69:70], v67, off
	global_store_b32 v[65:66], v68, off
.LBB1734_78:
	s_or_b32 exec_lo, exec_lo, s4
	s_waitcnt lgkmcnt(0)
	s_waitcnt_vscnt null, 0x0
	s_barrier
	buffer_gl0_inv
	ds_load_b128 v[83:86], v80
	ds_load_b128 v[87:90], v80 offset:16
	ds_load_b128 v[95:98], v80 offset:2064
	;; [unrolled: 1-line block ×3, first 2 shown]
	v_mov_b32_e32 v65, 0
	ds_load_b128 v[103:106], v80 offset:4112
	ds_load_b128 v[99:102], v80 offset:4096
	ds_load_b128 v[111:114], v80 offset:6160
	ds_load_b128 v[107:110], v80 offset:6144
	v_mov_b32_e32 v66, v65
	v_mov_b32_e32 v67, v65
	;; [unrolled: 1-line block ×7, first 2 shown]
	s_waitcnt lgkmcnt(6)
	s_delay_alu instid0(VALU_DEP_1)
	v_wmma_f32_16x16x16_bf16 v[65:72], v[57:64], v[83:90], v[65:72]
	ds_load_b128 v[61:64], v80 offset:8208
	ds_load_b128 v[57:60], v80 offset:8192
	s_waitcnt lgkmcnt(6)
	v_wmma_f32_16x16x16_bf16 v[65:72], v[41:48], v[91:98], v[65:72]
	ds_load_b128 v[45:48], v80 offset:10256
	ds_load_b128 v[41:44], v80 offset:10240
	s_waitcnt lgkmcnt(6)
	;; [unrolled: 4-line block ×4, first 2 shown]
	v_wmma_f32_16x16x16_bf16 v[65:72], v[1:8], v[57:64], v[65:72]
	s_waitcnt lgkmcnt(4)
	s_delay_alu instid0(VALU_DEP_1) | instskip(SKIP_1) | instid1(VALU_DEP_1)
	v_wmma_f32_16x16x16_bf16 v[65:72], v[9:16], v[41:48], v[65:72]
	s_waitcnt lgkmcnt(2)
	v_wmma_f32_16x16x16_bf16 v[65:72], v[17:24], v[33:40], v[65:72]
	s_waitcnt lgkmcnt(0)
	s_delay_alu instid0(VALU_DEP_1) | instskip(NEXT) | instid1(VALU_DEP_1)
	v_wmma_f32_16x16x16_bf16 v[65:72], v[49:56], v[25:32], v[65:72]
	v_and_b32_e32 v1, 0x7f800000, v65
	s_delay_alu instid0(VALU_DEP_1) | instskip(SKIP_1) | instid1(SALU_CYCLE_1)
	v_cmp_ne_u32_e32 vcc_lo, 0x7f800000, v1
                                        ; implicit-def: $vgpr1
	s_and_saveexec_b32 s4, vcc_lo
	s_xor_b32 s4, exec_lo, s4
; %bb.79:
	v_bfe_u32 v1, v65, 16, 1
	s_delay_alu instid0(VALU_DEP_1)
	v_add3_u32 v1, v65, v1, 0x7fff
; %bb.80:
	s_and_not1_saveexec_b32 s4, s4
; %bb.81:
	v_and_b32_e32 v1, 0xffff, v65
	v_or_b32_e32 v2, 0x10000, v65
	s_delay_alu instid0(VALU_DEP_2) | instskip(NEXT) | instid1(VALU_DEP_2)
	v_cmp_eq_u32_e32 vcc_lo, 0, v1
	v_cndmask_b32_e32 v1, v2, v65, vcc_lo
; %bb.82:
	s_or_b32 exec_lo, exec_lo, s4
	v_and_b32_e32 v2, 0x7f800000, v66
	s_delay_alu instid0(VALU_DEP_1) | instskip(SKIP_1) | instid1(SALU_CYCLE_1)
	v_cmp_ne_u32_e32 vcc_lo, 0x7f800000, v2
                                        ; implicit-def: $vgpr2
	s_and_saveexec_b32 s4, vcc_lo
	s_xor_b32 s4, exec_lo, s4
; %bb.83:
	v_bfe_u32 v2, v66, 16, 1
	s_delay_alu instid0(VALU_DEP_1)
	v_add3_u32 v2, v66, v2, 0x7fff
; %bb.84:
	s_and_not1_saveexec_b32 s4, s4
; %bb.85:
	v_and_b32_e32 v2, 0xffff, v66
	v_or_b32_e32 v3, 0x10000, v66
	s_delay_alu instid0(VALU_DEP_2) | instskip(NEXT) | instid1(VALU_DEP_2)
	v_cmp_eq_u32_e32 vcc_lo, 0, v2
	v_cndmask_b32_e32 v2, v3, v66, vcc_lo
; %bb.86:
	s_or_b32 exec_lo, exec_lo, s4
	v_and_b32_e32 v3, 0x7f800000, v67
	s_delay_alu instid0(VALU_DEP_1) | instskip(SKIP_1) | instid1(SALU_CYCLE_1)
	v_cmp_ne_u32_e32 vcc_lo, 0x7f800000, v3
                                        ; implicit-def: $vgpr3
	s_and_saveexec_b32 s4, vcc_lo
	s_xor_b32 s4, exec_lo, s4
; %bb.87:
	v_bfe_u32 v3, v67, 16, 1
	s_delay_alu instid0(VALU_DEP_1)
	v_add3_u32 v3, v67, v3, 0x7fff
; %bb.88:
	s_and_not1_saveexec_b32 s4, s4
; %bb.89:
	v_and_b32_e32 v3, 0xffff, v67
	v_or_b32_e32 v4, 0x10000, v67
	s_delay_alu instid0(VALU_DEP_2) | instskip(NEXT) | instid1(VALU_DEP_2)
	v_cmp_eq_u32_e32 vcc_lo, 0, v3
	v_cndmask_b32_e32 v3, v4, v67, vcc_lo
; %bb.90:
	s_or_b32 exec_lo, exec_lo, s4
	v_and_b32_e32 v4, 0x7f800000, v68
	s_delay_alu instid0(VALU_DEP_1) | instskip(SKIP_1) | instid1(SALU_CYCLE_1)
	v_cmp_ne_u32_e32 vcc_lo, 0x7f800000, v4
                                        ; implicit-def: $vgpr4
	s_and_saveexec_b32 s4, vcc_lo
	s_xor_b32 s4, exec_lo, s4
; %bb.91:
	v_bfe_u32 v4, v68, 16, 1
	s_delay_alu instid0(VALU_DEP_1)
	v_add3_u32 v4, v68, v4, 0x7fff
; %bb.92:
	s_and_not1_saveexec_b32 s4, s4
; %bb.93:
	v_and_b32_e32 v4, 0xffff, v68
	v_or_b32_e32 v5, 0x10000, v68
	s_delay_alu instid0(VALU_DEP_2) | instskip(NEXT) | instid1(VALU_DEP_2)
	v_cmp_eq_u32_e32 vcc_lo, 0, v4
	v_cndmask_b32_e32 v4, v5, v68, vcc_lo
; %bb.94:
	s_or_b32 exec_lo, exec_lo, s4
	v_and_b32_e32 v5, 0x7f800000, v69
	s_delay_alu instid0(VALU_DEP_1) | instskip(SKIP_1) | instid1(SALU_CYCLE_1)
	v_cmp_ne_u32_e32 vcc_lo, 0x7f800000, v5
                                        ; implicit-def: $vgpr5
	s_and_saveexec_b32 s4, vcc_lo
	s_xor_b32 s4, exec_lo, s4
; %bb.95:
	v_bfe_u32 v5, v69, 16, 1
	s_delay_alu instid0(VALU_DEP_1)
	v_add3_u32 v5, v69, v5, 0x7fff
; %bb.96:
	s_and_not1_saveexec_b32 s4, s4
; %bb.97:
	v_and_b32_e32 v5, 0xffff, v69
	v_or_b32_e32 v6, 0x10000, v69
	s_delay_alu instid0(VALU_DEP_2) | instskip(NEXT) | instid1(VALU_DEP_2)
	v_cmp_eq_u32_e32 vcc_lo, 0, v5
	v_cndmask_b32_e32 v5, v6, v69, vcc_lo
; %bb.98:
	s_or_b32 exec_lo, exec_lo, s4
	v_and_b32_e32 v6, 0x7f800000, v70
	s_delay_alu instid0(VALU_DEP_1) | instskip(SKIP_1) | instid1(SALU_CYCLE_1)
	v_cmp_ne_u32_e32 vcc_lo, 0x7f800000, v6
                                        ; implicit-def: $vgpr6
	s_and_saveexec_b32 s4, vcc_lo
	s_xor_b32 s4, exec_lo, s4
; %bb.99:
	v_bfe_u32 v6, v70, 16, 1
	s_delay_alu instid0(VALU_DEP_1)
	v_add3_u32 v6, v70, v6, 0x7fff
; %bb.100:
	s_and_not1_saveexec_b32 s4, s4
; %bb.101:
	v_and_b32_e32 v6, 0xffff, v70
	v_or_b32_e32 v7, 0x10000, v70
	s_delay_alu instid0(VALU_DEP_2) | instskip(NEXT) | instid1(VALU_DEP_2)
	v_cmp_eq_u32_e32 vcc_lo, 0, v6
	v_cndmask_b32_e32 v6, v7, v70, vcc_lo
; %bb.102:
	s_or_b32 exec_lo, exec_lo, s4
	v_and_b32_e32 v7, 0x7f800000, v71
	s_delay_alu instid0(VALU_DEP_1) | instskip(SKIP_1) | instid1(SALU_CYCLE_1)
	v_cmp_ne_u32_e32 vcc_lo, 0x7f800000, v7
                                        ; implicit-def: $vgpr7
	s_and_saveexec_b32 s4, vcc_lo
	s_xor_b32 s4, exec_lo, s4
; %bb.103:
	v_bfe_u32 v7, v71, 16, 1
	s_delay_alu instid0(VALU_DEP_1)
	v_add3_u32 v7, v71, v7, 0x7fff
; %bb.104:
	s_and_not1_saveexec_b32 s4, s4
; %bb.105:
	v_and_b32_e32 v7, 0xffff, v71
	v_or_b32_e32 v8, 0x10000, v71
	s_delay_alu instid0(VALU_DEP_2) | instskip(NEXT) | instid1(VALU_DEP_2)
	v_cmp_eq_u32_e32 vcc_lo, 0, v7
	v_cndmask_b32_e32 v7, v8, v71, vcc_lo
; %bb.106:
	s_or_b32 exec_lo, exec_lo, s4
	v_and_b32_e32 v8, 0x7f800000, v72
	s_delay_alu instid0(VALU_DEP_1) | instskip(SKIP_1) | instid1(SALU_CYCLE_1)
	v_cmp_ne_u32_e32 vcc_lo, 0x7f800000, v8
                                        ; implicit-def: $vgpr8
	s_and_saveexec_b32 s4, vcc_lo
	s_xor_b32 s4, exec_lo, s4
; %bb.107:
	v_bfe_u32 v8, v72, 16, 1
	s_delay_alu instid0(VALU_DEP_1)
	v_add3_u32 v8, v72, v8, 0x7fff
                                        ; implicit-def: $vgpr65_vgpr66_vgpr67_vgpr68_vgpr69_vgpr70_vgpr71_vgpr72
; %bb.108:
	s_and_not1_saveexec_b32 s4, s4
; %bb.109:
	v_and_b32_e32 v8, 0xffff, v72
	v_or_b32_e32 v9, 0x10000, v72
	s_delay_alu instid0(VALU_DEP_2) | instskip(NEXT) | instid1(VALU_DEP_2)
	v_cmp_eq_u32_e32 vcc_lo, 0, v8
	v_cndmask_b32_e32 v8, v9, v72, vcc_lo
; %bb.110:
	s_or_b32 exec_lo, exec_lo, s4
	s_delay_alu instid0(VALU_DEP_1)
	v_perm_b32 v7, v8, v7, 0x7060302
	v_perm_b32 v6, v6, v5, 0x7060302
	;; [unrolled: 1-line block ×4, first 2 shown]
	s_barrier
	buffer_gl0_inv
	v_cmp_eq_u32_e32 vcc_lo, 1, v78
	ds_store_b128 v76, v[4:7]
	s_waitcnt lgkmcnt(0)
	s_barrier
	buffer_gl0_inv
	ds_load_b128 v[1:4], v82
	ds_load_b128 v[5:8], v82 offset:16
	v_cmp_eq_u32_e64 s4, 1, v79
	v_cmp_eq_u32_e64 s5, 2, v78
	;; [unrolled: 1-line block ×5, first 2 shown]
	s_waitcnt lgkmcnt(1)
	v_lshrrev_b32_e32 v9, 16, v1
	s_waitcnt lgkmcnt(0)
	v_lshrrev_b32_e32 v13, 16, v5
	v_lshrrev_b32_e32 v10, 16, v2
	;; [unrolled: 1-line block ×4, first 2 shown]
	v_cndmask_b32_e64 v19, v1, v9, s4
	v_cndmask_b32_e32 v18, v5, v13, vcc_lo
	v_cndmask_b32_e64 v20, v5, v13, s4
	v_cndmask_b32_e32 v17, v1, v9, vcc_lo
	v_cmp_eq_u32_e32 vcc_lo, 2, v79
	v_lshrrev_b32_e32 v15, 16, v7
	v_cmp_eq_u32_e64 s4, 1, v77
	v_lshrrev_b32_e32 v12, 16, v4
	v_lshrrev_b32_e32 v16, 16, v8
	v_cndmask_b32_e32 v20, v20, v6, vcc_lo
	v_cndmask_b32_e64 v17, v17, v2, s5
	v_cndmask_b32_e32 v19, v19, v2, vcc_lo
	v_cndmask_b32_e64 v18, v18, v6, s5
	v_cmp_eq_u32_e32 vcc_lo, 4, v78
	v_cmp_eq_u32_e64 s5, 3, v79
	v_cndmask_b32_e64 v17, v17, v10, s6
	v_cndmask_b32_e64 v21, v1, v9, s4
	;; [unrolled: 1-line block ×5, first 2 shown]
	v_cndmask_b32_e32 v17, v17, v3, vcc_lo
	v_cndmask_b32_e64 v20, v20, v14, s5
	v_cndmask_b32_e32 v18, v18, v7, vcc_lo
	v_cmp_eq_u32_e32 vcc_lo, 4, v79
	v_cmp_eq_u32_e64 s5, 5, v79
	v_cmp_eq_u32_e64 s4, 2, v81
	v_cndmask_b32_e64 v21, v21, v2, s8
	v_cmp_eq_u32_e64 s6, 5, v78
	v_cndmask_b32_e32 v19, v19, v3, vcc_lo
	v_cndmask_b32_e32 v20, v20, v7, vcc_lo
	v_cmp_eq_u32_e32 vcc_lo, 6, v79
	s_delay_alu instid0(VALU_DEP_4) | instskip(NEXT) | instid1(VALU_DEP_4)
	v_cndmask_b32_e64 v17, v17, v11, s6
	v_cndmask_b32_e64 v19, v19, v11, s5
	s_delay_alu instid0(VALU_DEP_4) | instskip(SKIP_1) | instid1(VALU_DEP_3)
	v_cndmask_b32_e64 v20, v20, v15, s5
	v_cmp_eq_u32_e64 s5, 1, v81
	v_cndmask_b32_e32 v19, v19, v4, vcc_lo
	v_cndmask_b32_e64 v18, v18, v15, s6
	s_delay_alu instid0(VALU_DEP_3)
	v_cndmask_b32_e64 v1, v1, v9, s5
	v_cndmask_b32_e64 v5, v5, v13, s5
	v_cmp_eq_u32_e64 s5, 3, v77
	v_cndmask_b32_e64 v13, v22, v6, s8
	v_cmp_eq_u32_e64 s8, 3, v81
	v_cndmask_b32_e64 v1, v1, v2, s4
	v_cndmask_b32_e64 v2, v5, v6, s4
	;; [unrolled: 1-line block ×3, first 2 shown]
	v_cmp_eq_u32_e64 s4, 4, v77
	v_cndmask_b32_e64 v6, v13, v14, s5
	v_cndmask_b32_e64 v1, v1, v10, s8
	v_cmp_eq_u32_e64 s5, 4, v81
	v_cndmask_b32_e64 v2, v2, v14, s8
	v_cndmask_b32_e64 v5, v9, v3, s4
	;; [unrolled: 3-line block ×3, first 2 shown]
	v_cndmask_b32_e64 v2, v2, v7, s5
	v_cmp_eq_u32_e64 s4, 5, v81
	v_cmp_eq_u32_e64 s6, 6, v78
	v_cndmask_b32_e64 v5, v5, v11, s8
	v_cmp_eq_u32_e64 s5, 6, v77
	v_cndmask_b32_e64 v3, v6, v15, s8
	v_cndmask_b32_e64 v1, v1, v11, s4
	v_cmp_eq_u32_e64 s8, 6, v81
	v_cndmask_b32_e64 v2, v2, v15, s4
	v_cndmask_b32_e64 v17, v17, v4, s6
	v_cndmask_b32_e64 v18, v18, v8, s6
	v_cmp_eq_u32_e64 s6, 7, v78
	v_cndmask_b32_e64 v5, v5, v4, s5
	;; [unrolled: 4-line block ×3, first 2 shown]
	v_cmp_eq_u32_e64 s5, 7, v77
	v_cndmask_b32_e32 v4, v20, v8, vcc_lo
	v_cndmask_b32_e64 v17, v17, v12, s6
	v_cndmask_b32_e64 v19, v19, v12, s7
	;; [unrolled: 1-line block ×8, first 2 shown]
	v_cmp_gt_u32_e32 vcc_lo, 32, v0
	v_perm_b32 v4, v2, v1, 0x5040100
	v_perm_b32 v3, v3, v5, 0x5040100
	;; [unrolled: 1-line block ×4, first 2 shown]
	s_and_b32 s2, vcc_lo, s2
	ds_store_b128 v76, v[1:4]
	s_waitcnt lgkmcnt(0)
	s_barrier
	buffer_gl0_inv
	s_and_saveexec_b32 s4, s2
	s_cbranch_execz .LBB1734_2
; %bb.111:
	s_load_b64 s[4:5], s[0:1], 0x68
	v_lshlrev_b32_e32 v0, 10, v0
	v_lshlrev_b32_e32 v1, 4, v75
	s_lshl_b32 s0, s36, 6
	v_add_nc_u32_e32 v2, s31, v74
	s_mul_i32 s1, s0, s34
	s_delay_alu instid0(SALU_CYCLE_1) | instskip(SKIP_1) | instid1(VALU_DEP_2)
	s_mul_i32 s6, s1, s9
	v_and_or_b32 v0, 0x3800, v0, v1
	v_mul_lo_u32 v1, v2, s0
	s_ashr_i32 s7, s6, 31
	v_add_nc_u32_e32 v3, 2, v2
	s_lshl_b64 s[6:7], s[6:7], 1
	v_add_nc_u32_e32 v4, 4, v2
	v_add_nc_u32_e32 v5, 6, v2
	v_lshl_or_b32 v15, v74, 6, v0
	v_mul_lo_u32 v3, v3, s0
	v_ashrrev_i32_e32 v2, 31, v1
	v_mul_lo_u32 v19, v4, s0
	v_mul_lo_u32 v21, v5, s0
	s_waitcnt lgkmcnt(0)
	s_add_u32 s1, s4, s6
	s_addc_u32 s2, s5, s7
	s_lshl_b32 s4, s14, 6
	v_lshlrev_b64 v[5:6], 1, v[1:2]
	s_ashr_i32 s5, s4, 31
	v_ashrrev_i32_e32 v4, 31, v3
	s_lshl_b64 s[4:5], s[4:5], 1
	v_ashrrev_i32_e32 v20, 31, v19
	s_add_u32 s1, s1, s4
	s_addc_u32 s2, s2, s5
	v_add_co_u32 v1, s1, s1, v73
	s_delay_alu instid0(VALU_DEP_1) | instskip(SKIP_1) | instid1(VALU_DEP_3)
	v_add_co_ci_u32_e64 v2, null, s2, 0, s1
	v_lshlrev_b64 v[25:26], 1, v[3:4]
	v_add_co_u32 v23, vcc_lo, v1, v5
	s_delay_alu instid0(VALU_DEP_3)
	v_add_co_ci_u32_e32 v24, vcc_lo, v2, v6, vcc_lo
	ds_load_b128 v[3:6], v15
	ds_load_b128 v[7:10], v15 offset:128
	ds_load_b128 v[11:14], v15 offset:256
	;; [unrolled: 1-line block ×3, first 2 shown]
	v_ashrrev_i32_e32 v22, 31, v21
	v_lshlrev_b64 v[19:20], 1, v[19:20]
	v_add_co_u32 v25, vcc_lo, v1, v25
	v_add_co_ci_u32_e32 v26, vcc_lo, v2, v26, vcc_lo
	s_delay_alu instid0(VALU_DEP_4) | instskip(NEXT) | instid1(VALU_DEP_4)
	v_lshlrev_b64 v[21:22], 1, v[21:22]
	v_add_co_u32 v19, vcc_lo, v1, v19
	v_add_co_ci_u32_e32 v20, vcc_lo, v2, v20, vcc_lo
	s_delay_alu instid0(VALU_DEP_3) | instskip(NEXT) | instid1(VALU_DEP_4)
	v_add_co_u32 v21, vcc_lo, v1, v21
	v_add_co_ci_u32_e32 v22, vcc_lo, v2, v22, vcc_lo
	s_waitcnt lgkmcnt(3)
	global_store_b128 v[23:24], v[3:6], off
	s_waitcnt lgkmcnt(2)
	global_store_b128 v[25:26], v[7:10], off
	;; [unrolled: 2-line block ×4, first 2 shown]
	s_and_b32 exec_lo, exec_lo, s3
	s_cbranch_execz .LBB1734_2
; %bb.112:
	ds_load_b128 v[3:6], v0 offset:512
	s_add_i32 s1, s31, 8
	s_delay_alu instid0(SALU_CYCLE_1) | instskip(NEXT) | instid1(SALU_CYCLE_1)
	s_mul_i32 s0, s1, s0
	s_ashr_i32 s1, s0, 31
	s_delay_alu instid0(SALU_CYCLE_1) | instskip(NEXT) | instid1(SALU_CYCLE_1)
	s_lshl_b64 s[0:1], s[0:1], 1
	v_add_co_u32 v0, vcc_lo, v1, s0
	v_add_co_ci_u32_e32 v1, vcc_lo, s1, v2, vcc_lo
	s_waitcnt lgkmcnt(0)
	global_store_b128 v[0:1], v[3:6], off
	s_nop 0
	s_sendmsg sendmsg(MSG_DEALLOC_VGPRS)
	s_endpgm
	.section	.rodata,"a",@progbits
	.p2align	6, 0x0
	.amdhsa_kernel _Z39paged_attention_ll4mi_QKV_mfma16_kernelI14__hip_bfloat16hLN4vllm18Fp8KVCacheDataTypeE1EhLi32ELi64ELi256ELb1ELi9EL8MFMAType0EEvPKT_PKT0_S9_ifPKiSB_SB_iPKfiiiPfSE_PS4_PT2_iSD_SD_
		.amdhsa_group_segment_fixed_size 17472
		.amdhsa_private_segment_fixed_size 0
		.amdhsa_kernarg_size 400
		.amdhsa_user_sgpr_count 13
		.amdhsa_user_sgpr_dispatch_ptr 0
		.amdhsa_user_sgpr_queue_ptr 0
		.amdhsa_user_sgpr_kernarg_segment_ptr 1
		.amdhsa_user_sgpr_dispatch_id 0
		.amdhsa_user_sgpr_private_segment_size 0
		.amdhsa_wavefront_size32 1
		.amdhsa_uses_dynamic_stack 0
		.amdhsa_enable_private_segment 0
		.amdhsa_system_sgpr_workgroup_id_x 1
		.amdhsa_system_sgpr_workgroup_id_y 1
		.amdhsa_system_sgpr_workgroup_id_z 1
		.amdhsa_system_sgpr_workgroup_info 0
		.amdhsa_system_vgpr_workitem_id 0
		.amdhsa_next_free_vgpr 124
		.amdhsa_next_free_sgpr 42
		.amdhsa_reserve_vcc 1
		.amdhsa_float_round_mode_32 0
		.amdhsa_float_round_mode_16_64 0
		.amdhsa_float_denorm_mode_32 3
		.amdhsa_float_denorm_mode_16_64 3
		.amdhsa_dx10_clamp 1
		.amdhsa_ieee_mode 1
		.amdhsa_fp16_overflow 0
		.amdhsa_workgroup_processor_mode 1
		.amdhsa_memory_ordered 1
		.amdhsa_forward_progress 0
		.amdhsa_shared_vgpr_count 0
		.amdhsa_exception_fp_ieee_invalid_op 0
		.amdhsa_exception_fp_denorm_src 0
		.amdhsa_exception_fp_ieee_div_zero 0
		.amdhsa_exception_fp_ieee_overflow 0
		.amdhsa_exception_fp_ieee_underflow 0
		.amdhsa_exception_fp_ieee_inexact 0
		.amdhsa_exception_int_div_zero 0
	.end_amdhsa_kernel
	.section	.text._Z39paged_attention_ll4mi_QKV_mfma16_kernelI14__hip_bfloat16hLN4vllm18Fp8KVCacheDataTypeE1EhLi32ELi64ELi256ELb1ELi9EL8MFMAType0EEvPKT_PKT0_S9_ifPKiSB_SB_iPKfiiiPfSE_PS4_PT2_iSD_SD_,"axG",@progbits,_Z39paged_attention_ll4mi_QKV_mfma16_kernelI14__hip_bfloat16hLN4vllm18Fp8KVCacheDataTypeE1EhLi32ELi64ELi256ELb1ELi9EL8MFMAType0EEvPKT_PKT0_S9_ifPKiSB_SB_iPKfiiiPfSE_PS4_PT2_iSD_SD_,comdat
.Lfunc_end1734:
	.size	_Z39paged_attention_ll4mi_QKV_mfma16_kernelI14__hip_bfloat16hLN4vllm18Fp8KVCacheDataTypeE1EhLi32ELi64ELi256ELb1ELi9EL8MFMAType0EEvPKT_PKT0_S9_ifPKiSB_SB_iPKfiiiPfSE_PS4_PT2_iSD_SD_, .Lfunc_end1734-_Z39paged_attention_ll4mi_QKV_mfma16_kernelI14__hip_bfloat16hLN4vllm18Fp8KVCacheDataTypeE1EhLi32ELi64ELi256ELb1ELi9EL8MFMAType0EEvPKT_PKT0_S9_ifPKiSB_SB_iPKfiiiPfSE_PS4_PT2_iSD_SD_
                                        ; -- End function
	.section	.AMDGPU.csdata,"",@progbits
; Kernel info:
; codeLenInByte = 8856
; NumSgprs: 44
; NumVgprs: 124
; ScratchSize: 0
; MemoryBound: 0
; FloatMode: 240
; IeeeMode: 1
; LDSByteSize: 17472 bytes/workgroup (compile time only)
; SGPRBlocks: 5
; VGPRBlocks: 15
; NumSGPRsForWavesPerEU: 44
; NumVGPRsForWavesPerEU: 124
; Occupancy: 10
; WaveLimiterHint : 1
; COMPUTE_PGM_RSRC2:SCRATCH_EN: 0
; COMPUTE_PGM_RSRC2:USER_SGPR: 13
; COMPUTE_PGM_RSRC2:TRAP_HANDLER: 0
; COMPUTE_PGM_RSRC2:TGID_X_EN: 1
; COMPUTE_PGM_RSRC2:TGID_Y_EN: 1
; COMPUTE_PGM_RSRC2:TGID_Z_EN: 1
; COMPUTE_PGM_RSRC2:TIDIG_COMP_CNT: 0
	.section	.text._Z39paged_attention_ll4mi_QKV_mfma16_kernelI14__hip_bfloat16hLN4vllm18Fp8KVCacheDataTypeE1EhLi32ELi64ELi256ELb1ELi10EL8MFMAType0EEvPKT_PKT0_S9_ifPKiSB_SB_iPKfiiiPfSE_PS4_PT2_iSD_SD_,"axG",@progbits,_Z39paged_attention_ll4mi_QKV_mfma16_kernelI14__hip_bfloat16hLN4vllm18Fp8KVCacheDataTypeE1EhLi32ELi64ELi256ELb1ELi10EL8MFMAType0EEvPKT_PKT0_S9_ifPKiSB_SB_iPKfiiiPfSE_PS4_PT2_iSD_SD_,comdat
	.protected	_Z39paged_attention_ll4mi_QKV_mfma16_kernelI14__hip_bfloat16hLN4vllm18Fp8KVCacheDataTypeE1EhLi32ELi64ELi256ELb1ELi10EL8MFMAType0EEvPKT_PKT0_S9_ifPKiSB_SB_iPKfiiiPfSE_PS4_PT2_iSD_SD_ ; -- Begin function _Z39paged_attention_ll4mi_QKV_mfma16_kernelI14__hip_bfloat16hLN4vllm18Fp8KVCacheDataTypeE1EhLi32ELi64ELi256ELb1ELi10EL8MFMAType0EEvPKT_PKT0_S9_ifPKiSB_SB_iPKfiiiPfSE_PS4_PT2_iSD_SD_
	.globl	_Z39paged_attention_ll4mi_QKV_mfma16_kernelI14__hip_bfloat16hLN4vllm18Fp8KVCacheDataTypeE1EhLi32ELi64ELi256ELb1ELi10EL8MFMAType0EEvPKT_PKT0_S9_ifPKiSB_SB_iPKfiiiPfSE_PS4_PT2_iSD_SD_
	.p2align	8
	.type	_Z39paged_attention_ll4mi_QKV_mfma16_kernelI14__hip_bfloat16hLN4vllm18Fp8KVCacheDataTypeE1EhLi32ELi64ELi256ELb1ELi10EL8MFMAType0EEvPKT_PKT0_S9_ifPKiSB_SB_iPKfiiiPfSE_PS4_PT2_iSD_SD_,@function
_Z39paged_attention_ll4mi_QKV_mfma16_kernelI14__hip_bfloat16hLN4vllm18Fp8KVCacheDataTypeE1EhLi32ELi64ELi256ELb1ELi10EL8MFMAType0EEvPKT_PKT0_S9_ifPKiSB_SB_iPKfiiiPfSE_PS4_PT2_iSD_SD_: ; @_Z39paged_attention_ll4mi_QKV_mfma16_kernelI14__hip_bfloat16hLN4vllm18Fp8KVCacheDataTypeE1EhLi32ELi64ELi256ELb1ELi10EL8MFMAType0EEvPKT_PKT0_S9_ifPKiSB_SB_iPKfiiiPfSE_PS4_PT2_iSD_SD_
; %bb.0:
	s_load_b64 s[2:3], s[0:1], 0x30
	s_mov_b32 s30, s13
	s_waitcnt lgkmcnt(0)
	s_cmp_lg_u64 s[2:3], 0
	s_cselect_b32 s8, -1, 0
	s_ashr_i32 s31, s13, 31
	s_cmp_eq_u64 s[2:3], 0
	s_cbranch_scc1 .LBB1735_3
; %bb.1:
	s_lshl_b64 s[4:5], s[30:31], 2
	s_delay_alu instid0(SALU_CYCLE_1) | instskip(SKIP_4) | instid1(SALU_CYCLE_1)
	s_add_u32 s4, s2, s4
	s_addc_u32 s5, s3, s5
	s_load_b64 s[4:5], s[4:5], 0x0
	s_waitcnt lgkmcnt(0)
	s_sub_i32 s4, s5, s4
	s_cmp_eq_u32 s4, 1
	s_cselect_b32 s4, -1, 0
	s_delay_alu instid0(SALU_CYCLE_1)
	s_and_not1_b32 vcc_lo, exec_lo, s4
	s_cbranch_vccz .LBB1735_4
.LBB1735_2:
	s_endpgm
.LBB1735_3:
.LBB1735_4:
	s_load_b64 s[4:5], s[0:1], 0x28
	s_lshl_b64 s[6:7], s[30:31], 2
	s_waitcnt lgkmcnt(0)
	s_add_u32 s4, s4, s6
	s_addc_u32 s5, s5, s7
	s_lshl_b32 s12, s14, 8
	s_load_b32 s24, s[4:5], 0x0
	s_waitcnt lgkmcnt(0)
	s_cmp_ge_i32 s12, s24
	s_cbranch_scc1 .LBB1735_2
; %bb.5:
	s_clause 0x1
	s_load_b128 s[20:23], s[0:1], 0x8
	s_load_b64 s[4:5], s[0:1], 0x20
	s_and_not1_b32 vcc_lo, exec_lo, s8
	s_cbranch_vccnz .LBB1735_7
; %bb.6:
	s_add_u32 s2, s2, s6
	s_addc_u32 s3, s3, s7
	s_load_b32 s3, s[2:3], 0x0
	s_branch .LBB1735_8
.LBB1735_7:
	s_mov_b32 s3, s30
.LBB1735_8:
	s_load_b128 s[16:19], s[0:1], 0x48
	v_and_b32_e32 v65, 15, v0
	v_cmp_gt_u32_e32 vcc_lo, 0xa0, v0
	v_lshrrev_b32_e32 v66, 5, v0
	v_and_b32_e32 v67, 31, v0
	v_and_b32_e32 v75, 1, v0
	v_lshlrev_b32_e32 v1, 3, v65
	v_cmp_gt_u32_e64 s2, 8, v65
	v_bfe_u32 v74, v0, 4, 1
	s_mul_i32 s31, s15, 10
	s_delay_alu instid0(VALU_DEP_3) | instskip(NEXT) | instid1(VALU_DEP_3)
	v_lshlrev_b32_e32 v73, 1, v1
	s_and_b32 s7, vcc_lo, s2
	s_delay_alu instid0(SALU_CYCLE_1)
	s_and_saveexec_b32 s6, s7
	s_cbranch_execz .LBB1735_10
; %bb.9:
	s_load_b64 s[8:9], s[0:1], 0x0
	v_lshl_or_b32 v5, v66, 1, v74
	s_waitcnt lgkmcnt(0)
	s_mul_hi_i32 s11, s3, s16
	s_mul_i32 s10, s3, s16
	v_lshlrev_b32_e32 v6, 10, v65
	s_lshl_b64 s[10:11], s[10:11], 1
	v_add_lshl_u32 v1, v5, s31, 6
	v_lshlrev_b32_e32 v5, 6, v5
	v_lshlrev_b32_e32 v7, 10, v75
	v_and_b32_e32 v6, 0x3800, v6
	s_delay_alu instid0(VALU_DEP_4) | instskip(NEXT) | instid1(VALU_DEP_2)
	v_ashrrev_i32_e32 v2, 31, v1
	v_or3_b32 v5, v6, v7, v5
	s_delay_alu instid0(VALU_DEP_2) | instskip(SKIP_2) | instid1(VALU_DEP_1)
	v_lshlrev_b64 v[1:2], 1, v[1:2]
	s_add_u32 s3, s8, s10
	s_addc_u32 s7, s9, s11
	v_add_co_u32 v1, vcc_lo, s3, v1
	s_delay_alu instid0(VALU_DEP_2) | instskip(NEXT) | instid1(VALU_DEP_2)
	v_add_co_ci_u32_e32 v2, vcc_lo, s7, v2, vcc_lo
	v_add_co_u32 v1, vcc_lo, v1, v73
	s_delay_alu instid0(VALU_DEP_2)
	v_add_co_ci_u32_e32 v2, vcc_lo, 0, v2, vcc_lo
	global_load_b128 v[1:4], v[1:2], off
	s_waitcnt vmcnt(0)
	ds_store_b128 v5, v[1:4]
.LBB1735_10:
	s_or_b32 exec_lo, exec_lo, s6
	v_and_b32_e32 v1, 0xef, v0
	s_waitcnt lgkmcnt(0)
	s_add_i32 s3, s24, 31
	s_clause 0x1
	s_load_b32 s6, s[0:1], 0x38
	s_load_b32 s19, s[0:1], 0x1c
	s_ashr_i32 s7, s3, 31
	v_add_nc_u32_e32 v1, s12, v1
	s_lshr_b32 s7, s7, 27
	s_waitcnt lgkmcnt(0)
	s_add_i32 s3, s3, s7
	s_barrier
	v_ashrrev_i32_e32 v2, 31, v1
	v_or_b32_e32 v3, 16, v1
	s_ashr_i32 s3, s3, 5
	v_cmp_gt_i32_e32 vcc_lo, s24, v1
	s_add_i32 s3, s3, -1
	v_lshrrev_b32_e32 v2, 27, v2
	buffer_gl0_inv
	s_mul_i32 s27, s15, s18
	v_add_nc_u32_e32 v4, v1, v2
	s_mul_i32 s6, s30, s6
	s_delay_alu instid0(SALU_CYCLE_1) | instskip(NEXT) | instid1(VALU_DEP_1)
	s_ashr_i32 s7, s6, 31
	v_ashrrev_i32_e32 v4, 5, v4
	v_add_nc_u32_e32 v2, v3, v2
	s_lshl_b64 s[6:7], s[6:7], 2
	s_delay_alu instid0(SALU_CYCLE_1) | instskip(NEXT) | instid1(VALU_DEP_2)
	s_add_u32 s26, s4, s6
	v_cndmask_b32_e32 v1, s3, v4, vcc_lo
	s_delay_alu instid0(VALU_DEP_2)
	v_ashrrev_i32_e32 v2, 5, v2
	v_cmp_gt_i32_e32 vcc_lo, s24, v3
	s_addc_u32 s25, s5, s7
	s_ashr_i32 s28, s27, 31
	s_add_u32 s4, s20, s27
	s_addc_u32 s5, s21, s28
	v_cndmask_b32_e32 v3, s3, v2, vcc_lo
	v_ashrrev_i32_e32 v2, 31, v1
	s_lshl_b32 s6, s14, 3
	s_delay_alu instid0(SALU_CYCLE_1) | instskip(NEXT) | instid1(VALU_DEP_2)
	s_ashr_i32 s7, s6, 31
	v_ashrrev_i32_e32 v4, 31, v3
	s_delay_alu instid0(VALU_DEP_2) | instskip(SKIP_1) | instid1(SALU_CYCLE_1)
	v_lshlrev_b64 v[1:2], 2, v[1:2]
	s_lshl_b64 s[6:7], s[6:7], 2
	s_add_u32 s6, s26, s6
	s_delay_alu instid0(VALU_DEP_2) | instskip(SKIP_1) | instid1(VALU_DEP_2)
	v_lshlrev_b64 v[3:4], 2, v[3:4]
	s_addc_u32 s7, s25, s7
	v_add_co_u32 v1, vcc_lo, s26, v1
	v_add_co_ci_u32_e32 v2, vcc_lo, s25, v2, vcc_lo
	s_delay_alu instid0(VALU_DEP_3) | instskip(NEXT) | instid1(VALU_DEP_4)
	v_add_co_u32 v3, vcc_lo, s26, v3
	v_add_co_ci_u32_e32 v4, vcc_lo, s25, v4, vcc_lo
	s_clause 0x1
	global_load_b32 v5, v[1:2], off
	global_load_b32 v6, v[3:4], off
	s_or_b32 s8, s12, 32
	s_delay_alu instid0(SALU_CYCLE_1) | instskip(SKIP_2) | instid1(SALU_CYCLE_1)
	s_ashr_i32 s9, s8, 5
	s_cmp_lt_i32 s8, s24
	s_cselect_b32 s8, s9, s3
	s_ashr_i32 s9, s8, 31
	s_delay_alu instid0(SALU_CYCLE_1) | instskip(NEXT) | instid1(SALU_CYCLE_1)
	s_lshl_b64 s[8:9], s[8:9], 2
	s_add_u32 s8, s26, s8
	s_addc_u32 s9, s25, s9
	s_or_b32 s10, s12, 64
	s_delay_alu instid0(SALU_CYCLE_1) | instskip(SKIP_2) | instid1(SALU_CYCLE_1)
	s_ashr_i32 s11, s10, 5
	s_cmp_lt_i32 s10, s24
	s_cselect_b32 s10, s11, s3
	s_ashr_i32 s11, s10, 31
	s_delay_alu instid0(SALU_CYCLE_1) | instskip(NEXT) | instid1(SALU_CYCLE_1)
	s_lshl_b64 s[10:11], s[10:11], 2
	s_add_u32 s10, s26, s10
	s_addc_u32 s11, s25, s11
	;; [unrolled: 10-line block ×5, first 2 shown]
	s_clause 0x5
	s_load_b32 s21, s[6:7], 0x0
	s_load_b32 s13, s[8:9], 0x0
	;; [unrolled: 1-line block ×6, first 2 shown]
	s_or_b32 s8, s12, 0xc0
	s_delay_alu instid0(SALU_CYCLE_1) | instskip(SKIP_2) | instid1(SALU_CYCLE_1)
	s_ashr_i32 s9, s8, 5
	s_cmp_lt_i32 s8, s24
	s_cselect_b32 s34, s9, s3
	s_ashr_i32 s35, s34, 31
	s_delay_alu instid0(SALU_CYCLE_1) | instskip(NEXT) | instid1(SALU_CYCLE_1)
	s_lshl_b64 s[34:35], s[34:35], 2
	s_add_u32 s34, s26, s34
	s_addc_u32 s35, s25, s35
	s_or_b32 s29, s12, 0xe0
	s_delay_alu instid0(SALU_CYCLE_1)
	s_ashr_i32 s33, s29, 5
	s_cmp_lt_i32 s29, s24
	s_waitcnt vmcnt(1)
	v_mad_i64_i32 v[1:2], null, v5, s17, s[4:5]
	s_waitcnt vmcnt(0)
	v_mad_i64_i32 v[3:4], null, v6, s17, s[4:5]
	s_mov_b32 s4, 0
	s_delay_alu instid0(SALU_CYCLE_1)
	s_mov_b32 s5, s4
	s_mov_b32 s6, s4
	;; [unrolled: 1-line block ×7, first 2 shown]
	v_lshlrev_b32_e32 v5, 4, v65
	v_dual_mov_b32 v107, s11 :: v_dual_mov_b32 v102, s6
	v_mov_b32_e32 v100, s4
	v_mov_b32_e32 v106, s10
	s_delay_alu instid0(VALU_DEP_4)
	v_add_co_u32 v1, vcc_lo, v1, v5
	v_add_co_ci_u32_e32 v2, vcc_lo, 0, v2, vcc_lo
	v_add_co_u32 v3, vcc_lo, v3, v5
	v_add_co_ci_u32_e32 v4, vcc_lo, 0, v4, vcc_lo
	s_clause 0x7
	global_load_b128 v[49:52], v[1:2], off
	global_load_b128 v[53:56], v[1:2], off offset:512
	global_load_b128 v[76:79], v[3:4], off offset:256
	global_load_b128 v[80:83], v[3:4], off offset:768
	global_load_b128 v[84:87], v[1:2], off offset:1024
	global_load_b128 v[88:91], v[1:2], off offset:1536
	global_load_b128 v[92:95], v[3:4], off offset:1280
	global_load_b128 v[96:99], v[3:4], off offset:1792
	v_add_nc_u32_e32 v1, -10, v65
	v_cmp_gt_u32_e32 vcc_lo, 10, v65
	v_dual_mov_b32 v104, s8 :: v_dual_mov_b32 v103, s7
	v_dual_mov_b32 v101, s5 :: v_dual_lshlrev_b32 v2, 5, v65
	s_delay_alu instid0(VALU_DEP_4)
	v_cndmask_b32_e32 v1, v1, v65, vcc_lo
	v_mov_b32_e32 v105, s9
	s_cselect_b32 s4, s33, s3
	s_load_b32 s3, s[34:35], 0x0
	s_ashr_i32 s5, s4, 31
	v_lshlrev_b32_e32 v70, 6, v1
	s_lshl_b64 s[4:5], s[4:5], 2
	v_lshl_or_b32 v2, v66, 9, v2
	s_add_u32 s4, s26, s4
	s_addc_u32 s5, s25, s5
	ds_load_b128 v[108:111], v70
	ds_load_b128 v[112:115], v70 offset:1024
	s_load_b32 s4, s[4:5], 0x0
	s_add_u32 s6, s22, s27
	s_addc_u32 s7, s23, s28
	v_add_co_u32 v9, s6, s6, v2
	s_delay_alu instid0(VALU_DEP_1) | instskip(SKIP_1) | instid1(VALU_DEP_1)
	v_add_co_ci_u32_e64 v10, null, s7, 0, s6
	s_waitcnt lgkmcnt(0)
	v_mad_i64_i32 v[1:2], null, s21, s17, v[9:10]
	v_mad_i64_i32 v[3:4], null, s13, s17, v[9:10]
	v_mad_i64_i32 v[5:6], null, s15, s17, v[9:10]
	v_mad_i64_i32 v[7:8], null, s16, s17, v[9:10]
	v_mad_i64_i32 v[13:14], null, s20, s17, v[9:10]
	v_mad_i64_i32 v[11:12], null, s18, s17, v[9:10]
	v_mad_i64_i32 v[21:22], null, s3, s17, v[9:10]
	s_clause 0x9
	global_load_b128 v[57:60], v[1:2], off
	global_load_b128 v[61:64], v[1:2], off offset:16
	global_load_b128 v[41:44], v[3:4], off
	global_load_b128 v[45:48], v[3:4], off offset:16
	;; [unrolled: 2-line block ×5, first 2 shown]
	v_mad_i64_i32 v[68:69], null, s4, s17, v[9:10]
	s_clause 0x3
	global_load_b128 v[9:12], v[13:14], off
	global_load_b128 v[13:16], v[13:14], off offset:16
	global_load_b128 v[17:20], v[21:22], off
	global_load_b128 v[21:24], v[21:22], off offset:16
	s_waitcnt vmcnt(20)
	v_wmma_f32_16x16x16_bf16 v[116:123], v[49:56], v[108:115], v[100:107]
	s_clause 0x1
	global_load_b128 v[49:52], v[68:69], off
	global_load_b128 v[53:56], v[68:69], off offset:16
	v_and_b32_e32 v68, 0xe0, v0
	v_mbcnt_lo_u32_b32 v69, -1, 0
	s_delay_alu instid0(VALU_DEP_2)
	v_add_nc_u32_e32 v68, s12, v68
	s_waitcnt vmcnt(20)
	v_wmma_f32_16x16x16_bf16 v[100:107], v[76:83], v[108:115], v[100:107]
	ds_load_b128 v[76:79], v70 offset:2048
	ds_load_b128 v[80:83], v70 offset:3072
	v_xor_b32_e32 v70, 16, v69
	s_waitcnt vmcnt(0) lgkmcnt(0)
	v_or_b32_e32 v68, v68, v74
	s_barrier
	buffer_gl0_inv
	v_cmp_gt_i32_e32 vcc_lo, 32, v70
	v_or_b32_e32 v71, 4, v68
	v_or_b32_e32 v72, 6, v68
	v_cmp_gt_i32_e64 s3, s24, v68
	v_or_b32_e32 v108, 8, v68
	v_or_b32_e32 v109, 10, v68
	v_cmp_gt_i32_e64 s4, s24, v71
	v_cmp_gt_i32_e64 s5, s24, v72
	s_delay_alu instid0(VALU_DEP_4) | instskip(NEXT) | instid1(VALU_DEP_4)
	v_cmp_gt_i32_e64 s6, s24, v108
	v_cmp_gt_i32_e64 s7, s24, v109
	v_wmma_f32_16x16x16_bf16 v[116:123], v[84:91], v[76:83], v[116:123]
	v_cndmask_b32_e32 v69, v69, v70, vcc_lo
	v_or_b32_e32 v70, 2, v68
	v_wmma_f32_16x16x16_bf16 v[100:107], v[92:99], v[76:83], v[100:107]
	v_or_b32_e32 v89, 22, v68
	v_dual_mul_f32 v80, s19, v121 :: v_dual_mul_f32 v81, s19, v120
	v_dual_mul_f32 v92, s19, v117 :: v_dual_mul_f32 v93, s19, v116
	s_delay_alu instid0(VALU_DEP_4)
	v_mul_f32_e32 v96, s19, v105
	v_cmp_gt_i32_e32 vcc_lo, s24, v70
	v_dual_mul_f32 v79, s19, v122 :: v_dual_mul_f32 v82, s19, v119
	v_dual_mul_f32 v83, s19, v118 :: v_dual_mul_f32 v94, s19, v107
	v_cndmask_b32_e64 v93, 0xff7fffff, v93, s3
	v_cndmask_b32_e32 v92, 0xff7fffff, v92, vcc_lo
	v_or_b32_e32 v84, 12, v68
	v_or_b32_e32 v85, 14, v68
	v_cndmask_b32_e64 v71, 0xff7fffff, v83, s4
	v_cndmask_b32_e64 v72, 0xff7fffff, v82, s5
	v_cmp_gt_i32_e64 s13, s24, v89
	v_lshlrev_b32_e32 v89, 2, v69
	v_max3_f32 v82, v93, 0xff7fffff, v92
	v_or_b32_e32 v86, 16, v68
	v_or_b32_e32 v87, 18, v68
	v_mul_f32_e32 v78, s19, v123
	v_cndmask_b32_e64 v81, 0xff7fffff, v81, s6
	v_cndmask_b32_e64 v80, 0xff7fffff, v80, s7
	v_max3_f32 v71, v82, v71, v72
	v_cmp_gt_i32_e64 s8, s24, v84
	v_cmp_gt_i32_e64 s9, s24, v85
	v_or_b32_e32 v88, 20, v68
	v_or_b32_e32 v90, 24, v68
	v_or_b32_e32 v91, 26, v68
	v_or_b32_e32 v76, 28, v68
	v_or_b32_e32 v77, 30, v68
	v_dual_mul_f32 v97, s19, v104 :: v_dual_mul_f32 v70, s19, v101
	v_dual_mul_f32 v99, s19, v102 :: v_dual_mul_f32 v68, s19, v100
	v_cndmask_b32_e64 v72, 0xff7fffff, v79, s8
	v_cndmask_b32_e64 v78, 0xff7fffff, v78, s9
	v_max3_f32 v71, v71, v81, v80
	v_cmp_gt_i32_e64 s10, s24, v86
	v_cmp_gt_i32_e64 s11, s24, v87
	v_dual_mul_f32 v95, s19, v106 :: v_dual_mul_f32 v98, s19, v103
	s_delay_alu instid0(VALU_DEP_4) | instskip(NEXT) | instid1(VALU_DEP_4)
	v_max3_f32 v71, v71, v72, v78
	v_cndmask_b32_e64 v68, 0xff7fffff, v68, s10
	s_delay_alu instid0(VALU_DEP_4)
	v_cndmask_b32_e64 v70, 0xff7fffff, v70, s11
	v_cmp_gt_i32_e64 s12, s24, v88
	v_cndmask_b32_e64 v78, 0xff7fffff, v98, s13
	v_cmp_gt_i32_e64 s15, s24, v90
	v_cmp_gt_i32_e64 s16, s24, v91
	v_max3_f32 v68, v71, v68, v70
	v_cndmask_b32_e64 v72, 0xff7fffff, v99, s12
	v_cmp_gt_i32_e64 s17, s24, v76
	v_cndmask_b32_e64 v70, 0xff7fffff, v97, s15
	v_cndmask_b32_e64 v71, 0xff7fffff, v96, s16
	v_cmp_gt_i32_e64 s18, s24, v77
	v_max3_f32 v68, v68, v72, v78
	v_cndmask_b32_e64 v72, 0xff7fffff, v95, s17
	s_delay_alu instid0(VALU_DEP_3) | instskip(NEXT) | instid1(VALU_DEP_3)
	v_cndmask_b32_e64 v76, 0xff7fffff, v94, s18
	v_max3_f32 v68, v68, v70, v71
	s_delay_alu instid0(VALU_DEP_1) | instskip(SKIP_3) | instid1(VALU_DEP_1)
	v_max3_f32 v68, v68, v72, v76
	ds_bpermute_b32 v69, v89, v68
	s_waitcnt lgkmcnt(0)
	v_max_f32_e32 v69, v69, v69
	v_max_f32_e32 v68, v68, v69
	s_delay_alu instid0(VALU_DEP_1) | instskip(NEXT) | instid1(VALU_DEP_1)
	v_fma_f32 v71, s19, v118, -v68
	v_mul_f32_e32 v71, 0x3fb8aa3b, v71
	v_fma_f32 v70, s19, v117, -v68
	v_fma_f32 v69, s19, v116, -v68
	;; [unrolled: 1-line block ×5, first 2 shown]
	s_delay_alu instid0(VALU_DEP_4) | instskip(SKIP_1) | instid1(VALU_DEP_3)
	v_dual_mul_f32 v70, 0x3fb8aa3b, v70 :: v_dual_mul_f32 v69, 0x3fb8aa3b, v69
	v_exp_f32_e32 v71, v71
	v_mul_f32_e32 v72, 0x3fb8aa3b, v72
	v_fma_f32 v81, s19, v105, -v68
	s_delay_alu instid0(VALU_DEP_3)
	v_exp_f32_e32 v70, v70
	v_mul_f32_e32 v77, 0x3fb8aa3b, v76
	v_exp_f32_e32 v69, v69
	v_exp_f32_e32 v72, v72
	v_mul_f32_e32 v81, 0x3fb8aa3b, v81
	v_cndmask_b32_e64 v83, 0, v71, s4
	v_fma_f32 v71, s19, v123, -v68
	s_delay_alu instid0(VALU_DEP_3) | instskip(SKIP_4) | instid1(TRANS32_DEP_3)
	v_exp_f32_e32 v81, v81
	v_cndmask_b32_e32 v76, 0, v70, vcc_lo
	v_exp_f32_e32 v77, v77
	v_cndmask_b32_e64 v80, 0, v69, s3
	v_fma_f32 v69, s19, v121, -v68
	v_cndmask_b32_e64 v85, 0, v72, s5
	v_mul_f32_e32 v71, 0x3fb8aa3b, v71
	v_fma_f32 v72, s19, v100, -v68
	s_delay_alu instid0(VALU_DEP_4) | instskip(SKIP_1) | instid1(VALU_DEP_3)
	v_dual_add_f32 v70, 0, v80 :: v_dual_mul_f32 v69, 0x3fb8aa3b, v69
	s_mov_b32 s3, exec_lo
	v_exp_f32_e32 v71, v71
	s_delay_alu instid0(TRANS32_DEP_2) | instskip(SKIP_4) | instid1(VALU_DEP_3)
	v_cndmask_b32_e64 v86, 0, v77, s6
	v_fma_f32 v77, s19, v101, -v68
	v_mul_f32_e32 v78, 0x3fb8aa3b, v78
	v_add_f32_e32 v70, v70, v76
	v_exp_f32_e32 v69, v69
	v_mul_f32_e32 v77, 0x3fb8aa3b, v77
	s_delay_alu instid0(VALU_DEP_3) | instskip(NEXT) | instid1(TRANS32_DEP_3)
	v_exp_f32_e32 v78, v78
	v_cndmask_b32_e64 v88, 0, v71, s9
	v_fma_f32 v71, s19, v104, -v68
	s_delay_alu instid0(VALU_DEP_3) | instskip(NEXT) | instid1(TRANS32_DEP_3)
	v_exp_f32_e32 v77, v77
	v_cndmask_b32_e64 v87, 0, v69, s7
	s_delay_alu instid0(VALU_DEP_2)
	v_mul_f32_e32 v71, 0x3fb8aa3b, v71
	s_waitcnt_depctr 0xfff
	v_cndmask_b32_e64 v84, 0, v78, s8
	v_add_f32_e32 v70, v70, v83
	v_fma_f32 v78, s19, v103, -v68
	v_exp_f32_e32 v82, v71
	s_delay_alu instid0(VALU_DEP_2) | instskip(SKIP_1) | instid1(VALU_DEP_3)
	v_add_f32_e32 v70, v70, v85
	v_mul_f32_e32 v72, 0x3fb8aa3b, v72
	v_mul_f32_e32 v78, 0x3fb8aa3b, v78
	s_delay_alu instid0(VALU_DEP_3) | instskip(SKIP_1) | instid1(VALU_DEP_4)
	v_add_f32_e32 v69, v70, v86
	v_fma_f32 v70, s19, v102, -v68
	v_exp_f32_e32 v72, v72
	s_delay_alu instid0(VALU_DEP_3) | instskip(NEXT) | instid1(VALU_DEP_1)
	v_exp_f32_e32 v78, v78
	v_dual_add_f32 v69, v69, v87 :: v_dual_mul_f32 v70, 0x3fb8aa3b, v70
	s_delay_alu instid0(VALU_DEP_1) | instskip(NEXT) | instid1(VALU_DEP_2)
	v_add_f32_e32 v69, v69, v84
	v_exp_f32_e32 v79, v70
	s_delay_alu instid0(TRANS32_DEP_3) | instskip(NEXT) | instid1(VALU_DEP_2)
	v_cndmask_b32_e64 v70, 0, v72, s10
	v_add_f32_e32 v72, v69, v88
	v_cndmask_b32_e64 v69, 0, v77, s11
	v_fma_f32 v77, s19, v106, -v68
	s_waitcnt_depctr 0xfff
	v_cndmask_b32_e64 v71, 0, v79, s12
	v_dual_mul_f32 v77, 0x3fb8aa3b, v77 :: v_dual_add_f32 v72, v72, v70
	s_delay_alu instid0(VALU_DEP_1) | instskip(NEXT) | instid1(VALU_DEP_1)
	v_exp_f32_e32 v90, v77
	v_add_f32_e32 v79, v72, v69
	v_cndmask_b32_e64 v72, 0, v78, s13
	v_cndmask_b32_e64 v77, 0, v82, s15
	s_delay_alu instid0(VALU_DEP_3) | instskip(SKIP_1) | instid1(VALU_DEP_1)
	v_add_f32_e32 v78, v79, v71
	v_fma_f32 v79, s19, v107, -v68
	v_dual_add_f32 v82, v78, v72 :: v_dual_mul_f32 v79, 0x3fb8aa3b, v79
	v_cndmask_b32_e64 v78, 0, v81, s16
	s_delay_alu instid0(VALU_DEP_2) | instskip(NEXT) | instid1(VALU_DEP_3)
	v_add_f32_e32 v81, v82, v77
	v_exp_f32_e32 v82, v79
	v_cndmask_b32_e64 v79, 0, v90, s17
	s_delay_alu instid0(VALU_DEP_2) | instskip(NEXT) | instid1(VALU_DEP_1)
	v_add_f32_e32 v81, v81, v78
	v_add_f32_e32 v90, v81, v79
	s_waitcnt_depctr 0xfff
	v_cndmask_b32_e64 v81, 0, v82, s18
	s_delay_alu instid0(VALU_DEP_1)
	v_add_f32_e32 v82, v90, v81
	ds_bpermute_b32 v89, v89, v82
	v_cmpx_gt_u32_e32 16, v67
	s_cbranch_execz .LBB1735_12
; %bb.11:
	v_mul_u32_u24_e32 v67, 0x44, v66
	s_delay_alu instid0(VALU_DEP_1) | instskip(SKIP_1) | instid1(VALU_DEP_1)
	v_lshl_add_u32 v67, v65, 2, v67
	s_waitcnt lgkmcnt(0)
	v_dual_add_f32 v82, v82, v89 :: v_dual_add_nc_u32 v67, 0x4000, v67
	ds_store_2addr_b32 v67, v68, v82 offset1:136
.LBB1735_12:
	s_or_b32 exec_lo, exec_lo, s3
	v_lshlrev_b32_e32 v67, 2, v65
	s_waitcnt lgkmcnt(0)
	s_barrier
	buffer_gl0_inv
	v_cmp_eq_u32_e32 vcc_lo, 1, v66
	v_add_nc_u32_e32 v82, 0x4000, v67
	v_cmp_eq_u32_e64 s3, 2, v66
	v_cmp_eq_u32_e64 s5, 7, v66
	ds_load_2addr_b32 v[89:90], v82 offset1:17
	ds_load_2addr_b32 v[91:92], v82 offset0:34 offset1:51
	ds_load_2addr_b32 v[93:94], v82 offset0:68 offset1:85
	;; [unrolled: 1-line block ×4, first 2 shown]
	s_waitcnt lgkmcnt(4)
	v_max3_f32 v67, v89, 0xff7fffff, v90
	s_waitcnt lgkmcnt(3)
	s_delay_alu instid0(VALU_DEP_1) | instskip(SKIP_1) | instid1(VALU_DEP_1)
	v_max3_f32 v67, v67, v91, v92
	s_waitcnt lgkmcnt(2)
	v_max3_f32 v67, v67, v93, v94
	s_waitcnt lgkmcnt(1)
	s_delay_alu instid0(VALU_DEP_1) | instskip(NEXT) | instid1(VALU_DEP_1)
	v_max3_f32 v67, v67, v95, v96
	v_sub_f32_e32 v93, v93, v67
	s_delay_alu instid0(VALU_DEP_1) | instskip(NEXT) | instid1(VALU_DEP_1)
	v_dual_sub_f32 v68, v89, v67 :: v_dual_mul_f32 v103, 0x3fb8aa3b, v93
	v_mul_f32_e32 v68, 0x3fb8aa3b, v68
	s_delay_alu instid0(VALU_DEP_1)
	v_exp_f32_e32 v100, v68
	v_sub_f32_e32 v68, v92, v67
	v_sub_f32_e32 v99, v90, v67
	ds_load_2addr_b32 v[89:90], v82 offset0:170 offset1:187
	v_dual_mul_f32 v102, 0x3fb8aa3b, v68 :: v_dual_mul_f32 v99, 0x3fb8aa3b, v99
	s_waitcnt lgkmcnt(1)
	v_fma_f32 v68, v100, v97, 0
	s_delay_alu instid0(VALU_DEP_2) | instskip(NEXT) | instid1(VALU_DEP_2)
	v_exp_f32_e32 v102, v102
	v_exp_f32_e32 v99, v99
	s_waitcnt_depctr 0xfff
	v_fmac_f32_e32 v68, v99, v98
	v_sub_f32_e32 v91, v91, v67
	s_delay_alu instid0(VALU_DEP_1)
	v_mul_f32_e32 v101, 0x3fb8aa3b, v91
	ds_load_2addr_b32 v[91:92], v82 offset0:204 offset1:221
	v_sub_f32_e32 v97, v94, v67
	ds_load_2addr_b32 v[93:94], v82 offset0:238 offset1:255
	s_waitcnt lgkmcnt(0)
	v_exp_f32_e32 v101, v101
	s_barrier
	buffer_gl0_inv
	v_dual_fmac_f32 v68, v101, v89 :: v_dual_sub_f32 v89, v96, v67
	v_dual_sub_f32 v82, v95, v67 :: v_dual_mul_f32 v95, 0x3fb8aa3b, v97
	v_exp_f32_e32 v97, v103
	s_delay_alu instid0(VALU_DEP_2) | instskip(NEXT) | instid1(VALU_DEP_2)
	v_dual_fmac_f32 v68, v102, v90 :: v_dual_mul_f32 v89, 0x3fb8aa3b, v89
	v_mul_f32_e32 v82, 0x3fb8aa3b, v82
	s_delay_alu instid0(VALU_DEP_3) | instskip(NEXT) | instid1(VALU_DEP_2)
	v_exp_f32_e32 v95, v95
	v_exp_f32_e32 v89, v89
	s_delay_alu instid0(VALU_DEP_1)
	v_exp_f32_e32 v82, v82
	v_fmac_f32_e32 v68, v97, v91
	s_delay_alu instid0(TRANS32_DEP_3) | instid1(VALU_DEP_1)
	v_fmac_f32_e32 v68, v95, v92
	s_waitcnt_depctr 0xfff
	v_fmac_f32_e32 v68, v82, v93
	s_delay_alu instid0(VALU_DEP_1) | instskip(NEXT) | instid1(VALU_DEP_1)
	v_fmac_f32_e32 v68, v89, v94
	v_add_f32_e32 v90, 0x358637bd, v68
	s_delay_alu instid0(VALU_DEP_1) | instskip(NEXT) | instid1(VALU_DEP_1)
	v_div_scale_f32 v91, null, v90, v90, 1.0
	v_rcp_f32_e32 v92, v91
	s_waitcnt_depctr 0xfff
	v_fma_f32 v93, -v91, v92, 1.0
	s_delay_alu instid0(VALU_DEP_1) | instskip(SKIP_1) | instid1(VALU_DEP_2)
	v_dual_fmac_f32 v92, v93, v92 :: v_dual_cndmask_b32 v93, v100, v99
	v_cmp_eq_u32_e32 vcc_lo, 3, v66
	v_cndmask_b32_e64 v93, v93, v101, s3
	v_cmp_eq_u32_e64 s3, 4, v66
	s_delay_alu instid0(VALU_DEP_2) | instskip(SKIP_1) | instid1(VALU_DEP_2)
	v_cndmask_b32_e32 v93, v93, v102, vcc_lo
	v_cmp_eq_u32_e32 vcc_lo, 5, v66
	v_cndmask_b32_e64 v93, v93, v97, s3
	v_cmp_eq_u32_e64 s3, 6, v66
	s_delay_alu instid0(VALU_DEP_2) | instskip(SKIP_1) | instid1(VALU_DEP_1)
	v_cndmask_b32_e32 v93, v93, v95, vcc_lo
	v_div_scale_f32 v94, s4, 1.0, v90, 1.0
	s_mov_b32 vcc_lo, s4
	s_delay_alu instid0(VALU_DEP_2) | instskip(NEXT) | instid1(VALU_DEP_2)
	v_cndmask_b32_e64 v82, v93, v82, s3
	v_mul_f32_e32 v96, v94, v92
	s_mov_b32 s3, exec_lo
	s_delay_alu instid0(VALU_DEP_2) | instskip(NEXT) | instid1(VALU_DEP_2)
	v_cndmask_b32_e64 v82, v82, v89, s5
	v_fma_f32 v98, -v91, v96, v94
	s_delay_alu instid0(VALU_DEP_1) | instskip(NEXT) | instid1(VALU_DEP_1)
	v_fmac_f32_e32 v96, v98, v92
	v_fma_f32 v91, -v91, v96, v94
	s_delay_alu instid0(VALU_DEP_1) | instskip(NEXT) | instid1(VALU_DEP_1)
	v_div_fmas_f32 v91, v91, v92, v96
	v_div_fixup_f32 v90, v91, v90, 1.0
	s_delay_alu instid0(VALU_DEP_1) | instskip(NEXT) | instid1(VALU_DEP_1)
	v_mul_f32_e32 v82, v82, v90
	v_mul_f32_e32 v87, v82, v87
	;; [unrolled: 1-line block ×7, first 2 shown]
	v_dual_mul_f32 v86, v82, v83 :: v_dual_and_b32 v91, 0x7f800000, v90
	v_mul_f32_e32 v85, v82, v76
                                        ; implicit-def: $vgpr76
	s_delay_alu instid0(VALU_DEP_2)
	v_cmpx_ne_u32_e32 0x7f800000, v91
	s_xor_b32 s3, exec_lo, s3
; %bb.13:
	v_bfe_u32 v76, v90, 16, 1
	s_delay_alu instid0(VALU_DEP_1)
	v_add3_u32 v76, v90, v76, 0x7fff
                                        ; implicit-def: $vgpr90
; %bb.14:
	s_and_not1_saveexec_b32 s3, s3
; %bb.15:
	v_and_b32_e32 v76, 0xffff, v90
	v_or_b32_e32 v83, 0x10000, v90
	s_delay_alu instid0(VALU_DEP_2) | instskip(NEXT) | instid1(VALU_DEP_2)
	v_cmp_eq_u32_e32 vcc_lo, 0, v76
	v_cndmask_b32_e32 v76, v83, v90, vcc_lo
; %bb.16:
	s_or_b32 exec_lo, exec_lo, s3
	v_and_b32_e32 v83, 0x7f800000, v85
	s_delay_alu instid0(VALU_DEP_1) | instskip(SKIP_1) | instid1(SALU_CYCLE_1)
	v_cmp_ne_u32_e32 vcc_lo, 0x7f800000, v83
                                        ; implicit-def: $vgpr83
	s_and_saveexec_b32 s3, vcc_lo
	s_xor_b32 s3, exec_lo, s3
; %bb.17:
	v_bfe_u32 v83, v85, 16, 1
	s_delay_alu instid0(VALU_DEP_1)
	v_add3_u32 v83, v85, v83, 0x7fff
                                        ; implicit-def: $vgpr85
; %bb.18:
	s_and_not1_saveexec_b32 s3, s3
; %bb.19:
	v_and_b32_e32 v83, 0xffff, v85
	v_or_b32_e32 v90, 0x10000, v85
	s_delay_alu instid0(VALU_DEP_2) | instskip(NEXT) | instid1(VALU_DEP_2)
	v_cmp_eq_u32_e32 vcc_lo, 0, v83
	v_cndmask_b32_e32 v83, v90, v85, vcc_lo
; %bb.20:
	s_or_b32 exec_lo, exec_lo, s3
	v_and_b32_e32 v85, 0x7f800000, v86
	s_delay_alu instid0(VALU_DEP_1) | instskip(SKIP_1) | instid1(SALU_CYCLE_1)
	v_cmp_ne_u32_e32 vcc_lo, 0x7f800000, v85
                                        ; implicit-def: $vgpr85
	s_and_saveexec_b32 s3, vcc_lo
	s_xor_b32 s3, exec_lo, s3
; %bb.21:
	v_bfe_u32 v85, v86, 16, 1
	s_delay_alu instid0(VALU_DEP_1)
	v_add3_u32 v85, v86, v85, 0x7fff
                                        ; implicit-def: $vgpr86
; %bb.22:
	s_and_not1_saveexec_b32 s3, s3
; %bb.23:
	v_and_b32_e32 v85, 0xffff, v86
	v_or_b32_e32 v90, 0x10000, v86
	s_delay_alu instid0(VALU_DEP_2) | instskip(NEXT) | instid1(VALU_DEP_2)
	v_cmp_eq_u32_e32 vcc_lo, 0, v85
	v_cndmask_b32_e32 v85, v90, v86, vcc_lo
; %bb.24:
	s_or_b32 exec_lo, exec_lo, s3
	v_and_b32_e32 v86, 0x7f800000, v89
	s_delay_alu instid0(VALU_DEP_1) | instskip(SKIP_1) | instid1(SALU_CYCLE_1)
	v_cmp_ne_u32_e32 vcc_lo, 0x7f800000, v86
                                        ; implicit-def: $vgpr86
	s_and_saveexec_b32 s3, vcc_lo
	s_xor_b32 s3, exec_lo, s3
; %bb.25:
	v_bfe_u32 v86, v89, 16, 1
	s_delay_alu instid0(VALU_DEP_1)
	v_add3_u32 v86, v89, v86, 0x7fff
                                        ; implicit-def: $vgpr89
; %bb.26:
	s_and_not1_saveexec_b32 s3, s3
; %bb.27:
	v_and_b32_e32 v86, 0xffff, v89
	v_or_b32_e32 v90, 0x10000, v89
	s_delay_alu instid0(VALU_DEP_2) | instskip(NEXT) | instid1(VALU_DEP_2)
	v_cmp_eq_u32_e32 vcc_lo, 0, v86
	v_cndmask_b32_e32 v86, v90, v89, vcc_lo
; %bb.28:
	s_or_b32 exec_lo, exec_lo, s3
	v_and_b32_e32 v89, 0x7f800000, v88
	s_delay_alu instid0(VALU_DEP_1) | instskip(SKIP_1) | instid1(SALU_CYCLE_1)
	v_cmp_ne_u32_e32 vcc_lo, 0x7f800000, v89
                                        ; implicit-def: $vgpr89
	s_and_saveexec_b32 s3, vcc_lo
	s_xor_b32 s3, exec_lo, s3
; %bb.29:
	v_bfe_u32 v89, v88, 16, 1
	s_delay_alu instid0(VALU_DEP_1)
	v_add3_u32 v89, v88, v89, 0x7fff
                                        ; implicit-def: $vgpr88
; %bb.30:
	s_and_not1_saveexec_b32 s3, s3
; %bb.31:
	v_and_b32_e32 v89, 0xffff, v88
	v_or_b32_e32 v90, 0x10000, v88
	s_delay_alu instid0(VALU_DEP_2) | instskip(NEXT) | instid1(VALU_DEP_2)
	v_cmp_eq_u32_e32 vcc_lo, 0, v89
	v_cndmask_b32_e32 v89, v90, v88, vcc_lo
; %bb.32:
	s_or_b32 exec_lo, exec_lo, s3
	v_and_b32_e32 v88, 0x7f800000, v87
	s_delay_alu instid0(VALU_DEP_1) | instskip(SKIP_1) | instid1(SALU_CYCLE_1)
	v_cmp_ne_u32_e32 vcc_lo, 0x7f800000, v88
                                        ; implicit-def: $vgpr88
	s_and_saveexec_b32 s3, vcc_lo
	s_xor_b32 s3, exec_lo, s3
; %bb.33:
	v_bfe_u32 v88, v87, 16, 1
	s_delay_alu instid0(VALU_DEP_1)
	v_add3_u32 v88, v87, v88, 0x7fff
                                        ; implicit-def: $vgpr87
; %bb.34:
	s_and_not1_saveexec_b32 s3, s3
; %bb.35:
	v_and_b32_e32 v88, 0xffff, v87
	v_or_b32_e32 v90, 0x10000, v87
	s_delay_alu instid0(VALU_DEP_2) | instskip(NEXT) | instid1(VALU_DEP_2)
	v_cmp_eq_u32_e32 vcc_lo, 0, v88
	v_cndmask_b32_e32 v88, v90, v87, vcc_lo
; %bb.36:
	s_or_b32 exec_lo, exec_lo, s3
	v_and_b32_e32 v87, 0x7f800000, v84
	s_delay_alu instid0(VALU_DEP_1) | instskip(SKIP_1) | instid1(SALU_CYCLE_1)
	v_cmp_ne_u32_e32 vcc_lo, 0x7f800000, v87
                                        ; implicit-def: $vgpr87
	s_and_saveexec_b32 s3, vcc_lo
	s_xor_b32 s3, exec_lo, s3
; %bb.37:
	v_bfe_u32 v87, v84, 16, 1
	s_delay_alu instid0(VALU_DEP_1)
	v_add3_u32 v87, v84, v87, 0x7fff
                                        ; implicit-def: $vgpr84
; %bb.38:
	s_and_not1_saveexec_b32 s3, s3
; %bb.39:
	v_and_b32_e32 v87, 0xffff, v84
	v_or_b32_e32 v90, 0x10000, v84
	s_delay_alu instid0(VALU_DEP_2) | instskip(NEXT) | instid1(VALU_DEP_2)
	v_cmp_eq_u32_e32 vcc_lo, 0, v87
	v_cndmask_b32_e32 v87, v90, v84, vcc_lo
; %bb.40:
	s_or_b32 exec_lo, exec_lo, s3
	v_and_b32_e32 v84, 0x7f800000, v80
	s_delay_alu instid0(VALU_DEP_1) | instskip(SKIP_1) | instid1(SALU_CYCLE_1)
	v_cmp_ne_u32_e32 vcc_lo, 0x7f800000, v84
                                        ; implicit-def: $vgpr84
	s_and_saveexec_b32 s3, vcc_lo
	s_xor_b32 s3, exec_lo, s3
; %bb.41:
	v_bfe_u32 v84, v80, 16, 1
	s_delay_alu instid0(VALU_DEP_1)
	v_add3_u32 v84, v80, v84, 0x7fff
                                        ; implicit-def: $vgpr80
; %bb.42:
	s_and_not1_saveexec_b32 s3, s3
; %bb.43:
	v_and_b32_e32 v84, 0xffff, v80
	v_or_b32_e32 v90, 0x10000, v80
	s_delay_alu instid0(VALU_DEP_2) | instskip(NEXT) | instid1(VALU_DEP_2)
	v_cmp_eq_u32_e32 vcc_lo, 0, v84
	v_cndmask_b32_e32 v84, v90, v80, vcc_lo
; %bb.44:
	s_or_b32 exec_lo, exec_lo, s3
	s_load_b64 s[34:35], s[0:1], 0x94
	v_lshlrev_b32_e32 v91, 4, v74
	s_delay_alu instid0(VALU_DEP_2)
	v_perm_b32 v90, v84, v87, 0x7060302
	v_dual_mul_f32 v79, v82, v79 :: v_dual_lshlrev_b32 v80, 6, v65
	v_dual_mul_f32 v77, v82, v77 :: v_dual_lshlrev_b32 v92, 11, v66
	v_mul_f32_e32 v84, v82, v70
	v_perm_b32 v89, v88, v89, 0x7060302
	v_perm_b32 v88, v86, v85, 0x7060302
	;; [unrolled: 1-line block ×3, first 2 shown]
	v_mul_f32_e32 v70, v82, v81
	v_or3_b32 v76, v91, v92, v80
	v_dual_mul_f32 v78, v82, v78 :: v_dual_and_b32 v85, 0x7f800000, v84
	v_mul_f32_e32 v83, v82, v72
	v_mul_f32_e32 v81, v82, v71
	;; [unrolled: 1-line block ×3, first 2 shown]
	s_mov_b32 s3, exec_lo
	ds_store_b128 v76, v[87:90]
                                        ; implicit-def: $vgpr69
	v_cmpx_ne_u32_e32 0x7f800000, v85
	s_xor_b32 s3, exec_lo, s3
; %bb.45:
	v_bfe_u32 v69, v84, 16, 1
	s_delay_alu instid0(VALU_DEP_1)
	v_add3_u32 v69, v84, v69, 0x7fff
                                        ; implicit-def: $vgpr84
; %bb.46:
	s_and_not1_saveexec_b32 s3, s3
; %bb.47:
	v_and_b32_e32 v69, 0xffff, v84
	v_or_b32_e32 v71, 0x10000, v84
	s_delay_alu instid0(VALU_DEP_2) | instskip(NEXT) | instid1(VALU_DEP_2)
	v_cmp_eq_u32_e32 vcc_lo, 0, v69
	v_cndmask_b32_e32 v69, v71, v84, vcc_lo
; %bb.48:
	s_or_b32 exec_lo, exec_lo, s3
	v_and_b32_e32 v71, 0x7f800000, v72
	s_delay_alu instid0(VALU_DEP_1) | instskip(SKIP_1) | instid1(SALU_CYCLE_1)
	v_cmp_ne_u32_e32 vcc_lo, 0x7f800000, v71
                                        ; implicit-def: $vgpr71
	s_and_saveexec_b32 s3, vcc_lo
	s_xor_b32 s3, exec_lo, s3
; %bb.49:
	v_bfe_u32 v71, v72, 16, 1
	s_delay_alu instid0(VALU_DEP_1)
	v_add3_u32 v71, v72, v71, 0x7fff
                                        ; implicit-def: $vgpr72
; %bb.50:
	s_and_not1_saveexec_b32 s3, s3
; %bb.51:
	v_and_b32_e32 v71, 0xffff, v72
	v_or_b32_e32 v82, 0x10000, v72
	s_delay_alu instid0(VALU_DEP_2) | instskip(NEXT) | instid1(VALU_DEP_2)
	v_cmp_eq_u32_e32 vcc_lo, 0, v71
	v_cndmask_b32_e32 v71, v82, v72, vcc_lo
; %bb.52:
	s_or_b32 exec_lo, exec_lo, s3
	v_and_b32_e32 v72, 0x7f800000, v81
	s_delay_alu instid0(VALU_DEP_1) | instskip(SKIP_1) | instid1(SALU_CYCLE_1)
	v_cmp_ne_u32_e32 vcc_lo, 0x7f800000, v72
                                        ; implicit-def: $vgpr72
	s_and_saveexec_b32 s3, vcc_lo
	s_xor_b32 s3, exec_lo, s3
; %bb.53:
	v_bfe_u32 v72, v81, 16, 1
	s_delay_alu instid0(VALU_DEP_1)
	v_add3_u32 v72, v81, v72, 0x7fff
                                        ; implicit-def: $vgpr81
; %bb.54:
	s_and_not1_saveexec_b32 s3, s3
; %bb.55:
	v_and_b32_e32 v72, 0xffff, v81
	v_or_b32_e32 v82, 0x10000, v81
	s_delay_alu instid0(VALU_DEP_2) | instskip(NEXT) | instid1(VALU_DEP_2)
	v_cmp_eq_u32_e32 vcc_lo, 0, v72
	v_cndmask_b32_e32 v72, v82, v81, vcc_lo
; %bb.56:
	s_or_b32 exec_lo, exec_lo, s3
	v_and_b32_e32 v81, 0x7f800000, v83
	s_delay_alu instid0(VALU_DEP_1) | instskip(SKIP_1) | instid1(SALU_CYCLE_1)
	v_cmp_ne_u32_e32 vcc_lo, 0x7f800000, v81
                                        ; implicit-def: $vgpr81
	s_and_saveexec_b32 s3, vcc_lo
	s_xor_b32 s3, exec_lo, s3
; %bb.57:
	v_bfe_u32 v81, v83, 16, 1
	s_delay_alu instid0(VALU_DEP_1)
	v_add3_u32 v81, v83, v81, 0x7fff
                                        ; implicit-def: $vgpr83
; %bb.58:
	s_and_not1_saveexec_b32 s3, s3
; %bb.59:
	v_and_b32_e32 v81, 0xffff, v83
	v_or_b32_e32 v82, 0x10000, v83
	s_delay_alu instid0(VALU_DEP_2) | instskip(NEXT) | instid1(VALU_DEP_2)
	v_cmp_eq_u32_e32 vcc_lo, 0, v81
	v_cndmask_b32_e32 v81, v82, v83, vcc_lo
; %bb.60:
	s_or_b32 exec_lo, exec_lo, s3
	v_and_b32_e32 v82, 0x7f800000, v77
	s_delay_alu instid0(VALU_DEP_1) | instskip(SKIP_1) | instid1(SALU_CYCLE_1)
	v_cmp_ne_u32_e32 vcc_lo, 0x7f800000, v82
                                        ; implicit-def: $vgpr82
	s_and_saveexec_b32 s3, vcc_lo
	s_xor_b32 s3, exec_lo, s3
; %bb.61:
	v_bfe_u32 v82, v77, 16, 1
	s_delay_alu instid0(VALU_DEP_1)
	v_add3_u32 v82, v77, v82, 0x7fff
                                        ; implicit-def: $vgpr77
; %bb.62:
	s_and_not1_saveexec_b32 s3, s3
; %bb.63:
	v_and_b32_e32 v82, 0xffff, v77
	v_or_b32_e32 v83, 0x10000, v77
	s_delay_alu instid0(VALU_DEP_2) | instskip(NEXT) | instid1(VALU_DEP_2)
	v_cmp_eq_u32_e32 vcc_lo, 0, v82
	v_cndmask_b32_e32 v82, v83, v77, vcc_lo
; %bb.64:
	s_or_b32 exec_lo, exec_lo, s3
	v_and_b32_e32 v77, 0x7f800000, v78
	s_delay_alu instid0(VALU_DEP_1) | instskip(SKIP_1) | instid1(SALU_CYCLE_1)
	v_cmp_ne_u32_e32 vcc_lo, 0x7f800000, v77
                                        ; implicit-def: $vgpr77
	s_and_saveexec_b32 s3, vcc_lo
	s_xor_b32 s3, exec_lo, s3
; %bb.65:
	v_bfe_u32 v77, v78, 16, 1
	s_delay_alu instid0(VALU_DEP_1)
	v_add3_u32 v77, v78, v77, 0x7fff
                                        ; implicit-def: $vgpr78
; %bb.66:
	s_and_not1_saveexec_b32 s3, s3
; %bb.67:
	v_and_b32_e32 v77, 0xffff, v78
	v_or_b32_e32 v83, 0x10000, v78
	s_delay_alu instid0(VALU_DEP_2) | instskip(NEXT) | instid1(VALU_DEP_2)
	v_cmp_eq_u32_e32 vcc_lo, 0, v77
	v_cndmask_b32_e32 v77, v83, v78, vcc_lo
; %bb.68:
	s_or_b32 exec_lo, exec_lo, s3
	v_and_b32_e32 v78, 0x7f800000, v79
	s_delay_alu instid0(VALU_DEP_1) | instskip(SKIP_1) | instid1(SALU_CYCLE_1)
	v_cmp_ne_u32_e32 vcc_lo, 0x7f800000, v78
                                        ; implicit-def: $vgpr78
	s_and_saveexec_b32 s3, vcc_lo
	s_xor_b32 s3, exec_lo, s3
; %bb.69:
	v_bfe_u32 v78, v79, 16, 1
	s_delay_alu instid0(VALU_DEP_1)
	v_add3_u32 v78, v79, v78, 0x7fff
                                        ; implicit-def: $vgpr79
; %bb.70:
	s_and_not1_saveexec_b32 s3, s3
; %bb.71:
	v_and_b32_e32 v78, 0xffff, v79
	v_or_b32_e32 v83, 0x10000, v79
	s_delay_alu instid0(VALU_DEP_2) | instskip(NEXT) | instid1(VALU_DEP_2)
	v_cmp_eq_u32_e32 vcc_lo, 0, v78
	v_cndmask_b32_e32 v78, v83, v79, vcc_lo
; %bb.72:
	s_or_b32 exec_lo, exec_lo, s3
	v_and_b32_e32 v79, 0x7f800000, v70
	s_delay_alu instid0(VALU_DEP_1) | instskip(SKIP_1) | instid1(SALU_CYCLE_1)
	v_cmp_ne_u32_e32 vcc_lo, 0x7f800000, v79
                                        ; implicit-def: $vgpr79
	s_and_saveexec_b32 s3, vcc_lo
	s_xor_b32 s3, exec_lo, s3
; %bb.73:
	v_bfe_u32 v79, v70, 16, 1
	s_delay_alu instid0(VALU_DEP_1)
	v_add3_u32 v79, v70, v79, 0x7fff
                                        ; implicit-def: $vgpr70
; %bb.74:
	s_and_not1_saveexec_b32 s3, s3
; %bb.75:
	v_and_b32_e32 v79, 0xffff, v70
	v_or_b32_e32 v83, 0x10000, v70
	s_delay_alu instid0(VALU_DEP_2) | instskip(NEXT) | instid1(VALU_DEP_2)
	v_cmp_eq_u32_e32 vcc_lo, 0, v79
	v_cndmask_b32_e32 v79, v83, v70, vcc_lo
; %bb.76:
	s_or_b32 exec_lo, exec_lo, s3
	s_delay_alu instid0(VALU_DEP_1)
	v_perm_b32 v86, v79, v78, 0x7060302
	v_perm_b32 v85, v77, v82, 0x7060302
	;; [unrolled: 1-line block ×4, first 2 shown]
	v_lshl_or_b32 v82, v66, 11, v80
	ds_store_b128 v76, v[83:86] offset:1024
	s_waitcnt lgkmcnt(0)
	s_barrier
	buffer_gl0_inv
	ds_load_b128 v[69:72], v82
	ds_load_b128 v[83:86], v82 offset:16
	s_waitcnt lgkmcnt(1)
	v_lshrrev_b32_e32 v66, 16, v69
	s_waitcnt lgkmcnt(0)
	v_lshrrev_b32_e32 v91, 16, v83
	v_lshlrev_b32_e32 v78, 2, v74
	v_lshrrev_b32_e32 v95, 16, v70
	v_lshrrev_b32_e32 v98, 16, v84
	;; [unrolled: 1-line block ×4, first 2 shown]
	v_cmp_eq_u32_e32 vcc_lo, 1, v78
	v_lshrrev_b32_e32 v97, 16, v72
	v_lshrrev_b32_e32 v100, 16, v86
	v_cndmask_b32_e32 v87, v83, v91, vcc_lo
	v_or_b32_e32 v79, 1, v78
	v_cndmask_b32_e32 v81, v69, v66, vcc_lo
	v_cmp_eq_u32_e64 s4, 2, v78
	v_cmp_eq_u32_e64 s7, 3, v78
	;; [unrolled: 1-line block ×5, first 2 shown]
	v_cndmask_b32_e64 v81, v81, v70, s4
	v_cndmask_b32_e64 v87, v87, v84, s4
	v_cmp_eq_u32_e64 s8, 3, v79
	v_cndmask_b32_e64 v88, v69, v66, s3
	v_or_b32_e32 v77, 2, v78
	v_cndmask_b32_e64 v81, v81, v95, s7
	v_cndmask_b32_e64 v87, v87, v98, s7
	;; [unrolled: 1-line block ×4, first 2 shown]
	v_cmp_eq_u32_e64 s10, 5, v78
	v_cndmask_b32_e64 v81, v81, v71, s9
	v_cndmask_b32_e64 v87, v87, v85, s9
	v_cmp_eq_u32_e64 s11, 4, v79
	v_cndmask_b32_e64 v88, v88, v95, s8
	v_cmp_eq_u32_e64 s5, 1, v77
	v_cndmask_b32_e64 v89, v89, v84, s6
	v_cndmask_b32_e64 v81, v81, v96, s10
	v_cmp_eq_u32_e64 s12, 6, v78
	v_cndmask_b32_e64 v88, v88, v71, s11
	;; [unrolled: 3-line block ×3, first 2 shown]
	v_cndmask_b32_e64 v89, v89, v98, s8
	v_cndmask_b32_e64 v81, v81, v72, s12
	v_cmp_eq_u32_e64 s15, 7, v78
	v_cndmask_b32_e64 v88, v88, v96, s13
	v_cndmask_b32_e64 v87, v87, v86, s12
	v_cmp_eq_u32_e64 s16, 6, v79
	v_cmp_eq_u32_e64 s17, 2, v77
	v_cndmask_b32_e64 v89, v89, v85, s11
	v_cndmask_b32_e64 v101, v81, v97, s15
	;; [unrolled: 1-line block ×6, first 2 shown]
	v_cmp_eq_u32_e64 s18, 7, v79
	v_cmp_eq_u32_e64 s19, 3, v77
	;; [unrolled: 1-line block ×4, first 2 shown]
	v_cndmask_b32_e64 v87, v87, v84, s17
	v_cndmask_b32_e64 v103, v88, v97, s18
	;; [unrolled: 1-line block ×4, first 2 shown]
	v_or_b32_e32 v81, 3, v78
	v_cndmask_b32_e64 v93, v87, v98, s19
	v_cmp_eq_u32_e64 s24, 6, v77
	v_cndmask_b32_e64 v104, v88, v86, s16
	v_cndmask_b32_e64 v92, v89, v71, s20
	v_cmp_eq_u32_e64 s21, 1, v81
	ds_load_b128 v[87:90], v82 offset:1024
	v_cmp_eq_u32_e64 s23, 2, v81
	v_cmp_eq_u32_e64 s25, 3, v81
	v_cndmask_b32_e64 v105, v92, v96, s22
	v_cndmask_b32_e64 v66, v69, v66, s21
	;; [unrolled: 1-line block ×4, first 2 shown]
	ds_load_b128 v[91:94], v82 offset:1040
	v_cmp_eq_u32_e64 s26, 4, v81
	v_cndmask_b32_e64 v66, v66, v70, s23
	v_cmp_eq_u32_e64 s27, 7, v77
	v_cndmask_b32_e64 v70, v83, v84, s23
	v_cndmask_b32_e64 v84, v105, v72, s24
	v_cmp_eq_u32_e64 s28, 5, v81
	v_cndmask_b32_e64 v66, v66, v95, s25
	v_cmp_eq_u32_e64 s29, 6, v81
	v_cndmask_b32_e64 v70, v70, v98, s25
	v_cndmask_b32_e64 v69, v69, v99, s22
	;; [unrolled: 1-line block ×4, first 2 shown]
	s_waitcnt lgkmcnt(1)
	v_lshrrev_b32_e32 v95, 16, v87
	v_cndmask_b32_e64 v70, v70, v85, s26
	v_cndmask_b32_e64 v71, v84, v97, s27
	;; [unrolled: 1-line block ×4, first 2 shown]
	v_cndmask_b32_e32 v84, v87, v95, vcc_lo
	v_cndmask_b32_e64 v70, v70, v99, s28
	s_waitcnt lgkmcnt(0)
	v_lshrrev_b32_e32 v85, 16, v91
	v_lshrrev_b32_e32 v96, 16, v88
	v_cndmask_b32_e64 v98, v87, v95, s3
	v_cndmask_b32_e64 v84, v84, v88, s4
	;; [unrolled: 1-line block ×3, first 2 shown]
	v_cndmask_b32_e32 v99, v91, v85, vcc_lo
	v_cmp_eq_u32_e32 vcc_lo, 7, v81
	v_cndmask_b32_e64 v66, v66, v72, s29
	v_cndmask_b32_e64 v72, v84, v96, s7
	;; [unrolled: 1-line block ×3, first 2 shown]
	v_lshrrev_b32_e32 v98, 16, v92
	v_cndmask_b32_e32 v70, v70, v100, vcc_lo
	v_cndmask_b32_e64 v86, v99, v92, s4
	v_cndmask_b32_e64 v69, v69, v100, s27
	v_lshrrev_b32_e32 v100, 16, v93
	v_cndmask_b32_e64 v72, v72, v89, s9
	v_lshrrev_b32_e32 v99, 16, v89
	v_cndmask_b32_e64 v86, v86, v98, s7
	v_perm_b32 v71, v69, v71, 0x5040100
	v_cndmask_b32_e64 v84, v84, v96, s8
	s_delay_alu instid0(VALU_DEP_3) | instskip(NEXT) | instid1(VALU_DEP_2)
	v_cndmask_b32_e64 v86, v86, v93, s9
	v_cndmask_b32_e64 v84, v84, v89, s11
	s_delay_alu instid0(VALU_DEP_2) | instskip(NEXT) | instid1(VALU_DEP_1)
	v_cndmask_b32_e64 v86, v86, v100, s10
	v_cndmask_b32_e64 v69, v86, v94, s12
	;; [unrolled: 1-line block ×5, first 2 shown]
	s_delay_alu instid0(VALU_DEP_3) | instskip(NEXT) | instid1(VALU_DEP_3)
	v_cndmask_b32_e64 v86, v86, v88, s17
	v_cndmask_b32_e64 v87, v87, v88, s23
	s_delay_alu instid0(VALU_DEP_3) | instskip(NEXT) | instid1(VALU_DEP_3)
	v_cndmask_b32_e64 v88, v95, v92, s23
	v_cndmask_b32_e64 v86, v86, v96, s19
	;; [unrolled: 3-line block ×7, first 2 shown]
	s_delay_alu instid0(VALU_DEP_3) | instskip(SKIP_2) | instid1(VALU_DEP_2)
	v_cndmask_b32_e64 v88, v88, v94, s29
	v_cndmask_b32_e32 v66, v66, v97, vcc_lo
	v_cndmask_b32_e64 v97, v72, v99, s10
	v_perm_b32 v72, v70, v66, 0x5040100
	v_perm_b32 v70, v83, v103, 0x5040100
	v_cndmask_b32_e64 v103, v91, v85, s5
	v_cndmask_b32_e64 v85, v91, v85, s3
	;; [unrolled: 1-line block ×4, first 2 shown]
	v_lshrrev_b32_e32 v97, 16, v90
	v_cndmask_b32_e64 v91, v103, v92, s17
	v_cndmask_b32_e64 v85, v85, v92, s6
	;; [unrolled: 1-line block ×3, first 2 shown]
	s_mov_b32 s3, exec_lo
	v_cndmask_b32_e64 v83, v84, v97, s15
	v_cndmask_b32_e64 v91, v91, v98, s19
	;; [unrolled: 1-line block ×3, first 2 shown]
	v_lshrrev_b32_e32 v84, 16, v94
	v_cndmask_b32_e64 v66, v66, v97, s18
	v_cndmask_b32_e64 v90, v86, v97, s27
	;; [unrolled: 1-line block ×4, first 2 shown]
	v_dual_cndmask_b32 v86, v87, v97 :: v_dual_cndmask_b32 v87, v88, v84
	v_cndmask_b32_e64 v91, v69, v84, s15
	s_delay_alu instid0(VALU_DEP_4) | instskip(NEXT) | instid1(VALU_DEP_4)
	v_cndmask_b32_e64 v89, v89, v100, s22
	v_cndmask_b32_e64 v85, v85, v100, s13
	v_perm_b32 v69, v102, v101, 0x5040100
	v_perm_b32 v86, v87, v86, 0x5040100
	;; [unrolled: 1-line block ×3, first 2 shown]
	v_cndmask_b32_e64 v89, v89, v94, s24
	v_cndmask_b32_e64 v85, v85, v94, s16
	s_mul_i32 s8, s35, 10
	s_delay_alu instid0(VALU_DEP_2) | instskip(NEXT) | instid1(VALU_DEP_2)
	v_cndmask_b32_e64 v88, v89, v84, s27
	v_cndmask_b32_e64 v89, v85, v84, s18
	s_delay_alu instid0(VALU_DEP_2) | instskip(NEXT) | instid1(VALU_DEP_2)
	v_perm_b32 v85, v88, v90, 0x5040100
	v_perm_b32 v84, v89, v66, 0x5040100
	ds_store_b128 v76, v[69:72]
	ds_store_b128 v76, v[83:86] offset:1024
	v_cmpx_gt_u32_e32 10, v0
	s_cbranch_execz .LBB1735_78
; %bb.77:
	s_mul_i32 s4, s8, s30
	s_delay_alu instid0(SALU_CYCLE_1) | instskip(SKIP_1) | instid1(VALU_DEP_1)
	v_add3_u32 v69, s4, s31, v65
	s_load_b128 s[4:7], s[0:1], 0x58
	v_mad_u64_u32 v[65:66], null, v69, s34, s[14:15]
	s_delay_alu instid0(VALU_DEP_1) | instskip(NEXT) | instid1(VALU_DEP_1)
	v_ashrrev_i32_e32 v66, 31, v65
	v_lshlrev_b64 v[65:66], 2, v[65:66]
	s_waitcnt lgkmcnt(0)
	s_delay_alu instid0(VALU_DEP_1) | instskip(NEXT) | instid1(VALU_DEP_2)
	v_add_co_u32 v69, vcc_lo, s6, v65
	v_add_co_ci_u32_e32 v70, vcc_lo, s7, v66, vcc_lo
	v_add_co_u32 v65, vcc_lo, s4, v65
	v_add_co_ci_u32_e32 v66, vcc_lo, s5, v66, vcc_lo
	global_store_b32 v[69:70], v67, off
	global_store_b32 v[65:66], v68, off
.LBB1735_78:
	s_or_b32 exec_lo, exec_lo, s3
	s_waitcnt lgkmcnt(0)
	s_waitcnt_vscnt null, 0x0
	s_barrier
	buffer_gl0_inv
	ds_load_b128 v[83:86], v80
	ds_load_b128 v[87:90], v80 offset:16
	ds_load_b128 v[95:98], v80 offset:2064
	;; [unrolled: 1-line block ×3, first 2 shown]
	v_mov_b32_e32 v65, 0
	ds_load_b128 v[103:106], v80 offset:4112
	ds_load_b128 v[99:102], v80 offset:4096
	;; [unrolled: 1-line block ×4, first 2 shown]
	v_mov_b32_e32 v66, v65
	v_mov_b32_e32 v67, v65
	;; [unrolled: 1-line block ×7, first 2 shown]
	s_waitcnt lgkmcnt(6)
	s_delay_alu instid0(VALU_DEP_1)
	v_wmma_f32_16x16x16_bf16 v[65:72], v[57:64], v[83:90], v[65:72]
	ds_load_b128 v[61:64], v80 offset:8208
	ds_load_b128 v[57:60], v80 offset:8192
	s_waitcnt lgkmcnt(6)
	v_wmma_f32_16x16x16_bf16 v[65:72], v[41:48], v[91:98], v[65:72]
	ds_load_b128 v[45:48], v80 offset:10256
	ds_load_b128 v[41:44], v80 offset:10240
	s_waitcnt lgkmcnt(6)
	;; [unrolled: 4-line block ×4, first 2 shown]
	v_wmma_f32_16x16x16_bf16 v[65:72], v[1:8], v[57:64], v[65:72]
	s_waitcnt lgkmcnt(4)
	s_delay_alu instid0(VALU_DEP_1) | instskip(SKIP_1) | instid1(VALU_DEP_1)
	v_wmma_f32_16x16x16_bf16 v[65:72], v[9:16], v[41:48], v[65:72]
	s_waitcnt lgkmcnt(2)
	v_wmma_f32_16x16x16_bf16 v[65:72], v[17:24], v[33:40], v[65:72]
	s_waitcnt lgkmcnt(0)
	s_delay_alu instid0(VALU_DEP_1) | instskip(NEXT) | instid1(VALU_DEP_1)
	v_wmma_f32_16x16x16_bf16 v[65:72], v[49:56], v[25:32], v[65:72]
	v_and_b32_e32 v1, 0x7f800000, v65
	s_delay_alu instid0(VALU_DEP_1) | instskip(SKIP_1) | instid1(SALU_CYCLE_1)
	v_cmp_ne_u32_e32 vcc_lo, 0x7f800000, v1
                                        ; implicit-def: $vgpr1
	s_and_saveexec_b32 s3, vcc_lo
	s_xor_b32 s3, exec_lo, s3
; %bb.79:
	v_bfe_u32 v1, v65, 16, 1
	s_delay_alu instid0(VALU_DEP_1)
	v_add3_u32 v1, v65, v1, 0x7fff
; %bb.80:
	s_and_not1_saveexec_b32 s3, s3
; %bb.81:
	v_and_b32_e32 v1, 0xffff, v65
	v_or_b32_e32 v2, 0x10000, v65
	s_delay_alu instid0(VALU_DEP_2) | instskip(NEXT) | instid1(VALU_DEP_2)
	v_cmp_eq_u32_e32 vcc_lo, 0, v1
	v_cndmask_b32_e32 v1, v2, v65, vcc_lo
; %bb.82:
	s_or_b32 exec_lo, exec_lo, s3
	v_and_b32_e32 v2, 0x7f800000, v66
	s_delay_alu instid0(VALU_DEP_1) | instskip(SKIP_1) | instid1(SALU_CYCLE_1)
	v_cmp_ne_u32_e32 vcc_lo, 0x7f800000, v2
                                        ; implicit-def: $vgpr2
	s_and_saveexec_b32 s3, vcc_lo
	s_xor_b32 s3, exec_lo, s3
; %bb.83:
	v_bfe_u32 v2, v66, 16, 1
	s_delay_alu instid0(VALU_DEP_1)
	v_add3_u32 v2, v66, v2, 0x7fff
; %bb.84:
	s_and_not1_saveexec_b32 s3, s3
; %bb.85:
	v_and_b32_e32 v2, 0xffff, v66
	v_or_b32_e32 v3, 0x10000, v66
	s_delay_alu instid0(VALU_DEP_2) | instskip(NEXT) | instid1(VALU_DEP_2)
	v_cmp_eq_u32_e32 vcc_lo, 0, v2
	v_cndmask_b32_e32 v2, v3, v66, vcc_lo
; %bb.86:
	s_or_b32 exec_lo, exec_lo, s3
	v_and_b32_e32 v3, 0x7f800000, v67
	s_delay_alu instid0(VALU_DEP_1) | instskip(SKIP_1) | instid1(SALU_CYCLE_1)
	v_cmp_ne_u32_e32 vcc_lo, 0x7f800000, v3
                                        ; implicit-def: $vgpr3
	s_and_saveexec_b32 s3, vcc_lo
	s_xor_b32 s3, exec_lo, s3
; %bb.87:
	v_bfe_u32 v3, v67, 16, 1
	s_delay_alu instid0(VALU_DEP_1)
	v_add3_u32 v3, v67, v3, 0x7fff
; %bb.88:
	s_and_not1_saveexec_b32 s3, s3
; %bb.89:
	v_and_b32_e32 v3, 0xffff, v67
	v_or_b32_e32 v4, 0x10000, v67
	s_delay_alu instid0(VALU_DEP_2) | instskip(NEXT) | instid1(VALU_DEP_2)
	v_cmp_eq_u32_e32 vcc_lo, 0, v3
	v_cndmask_b32_e32 v3, v4, v67, vcc_lo
; %bb.90:
	s_or_b32 exec_lo, exec_lo, s3
	v_and_b32_e32 v4, 0x7f800000, v68
	s_delay_alu instid0(VALU_DEP_1) | instskip(SKIP_1) | instid1(SALU_CYCLE_1)
	v_cmp_ne_u32_e32 vcc_lo, 0x7f800000, v4
                                        ; implicit-def: $vgpr4
	s_and_saveexec_b32 s3, vcc_lo
	s_xor_b32 s3, exec_lo, s3
; %bb.91:
	v_bfe_u32 v4, v68, 16, 1
	s_delay_alu instid0(VALU_DEP_1)
	v_add3_u32 v4, v68, v4, 0x7fff
; %bb.92:
	s_and_not1_saveexec_b32 s3, s3
; %bb.93:
	v_and_b32_e32 v4, 0xffff, v68
	v_or_b32_e32 v5, 0x10000, v68
	s_delay_alu instid0(VALU_DEP_2) | instskip(NEXT) | instid1(VALU_DEP_2)
	v_cmp_eq_u32_e32 vcc_lo, 0, v4
	v_cndmask_b32_e32 v4, v5, v68, vcc_lo
; %bb.94:
	s_or_b32 exec_lo, exec_lo, s3
	v_and_b32_e32 v5, 0x7f800000, v69
	s_delay_alu instid0(VALU_DEP_1) | instskip(SKIP_1) | instid1(SALU_CYCLE_1)
	v_cmp_ne_u32_e32 vcc_lo, 0x7f800000, v5
                                        ; implicit-def: $vgpr5
	s_and_saveexec_b32 s3, vcc_lo
	s_xor_b32 s3, exec_lo, s3
; %bb.95:
	v_bfe_u32 v5, v69, 16, 1
	s_delay_alu instid0(VALU_DEP_1)
	v_add3_u32 v5, v69, v5, 0x7fff
; %bb.96:
	s_and_not1_saveexec_b32 s3, s3
; %bb.97:
	v_and_b32_e32 v5, 0xffff, v69
	v_or_b32_e32 v6, 0x10000, v69
	s_delay_alu instid0(VALU_DEP_2) | instskip(NEXT) | instid1(VALU_DEP_2)
	v_cmp_eq_u32_e32 vcc_lo, 0, v5
	v_cndmask_b32_e32 v5, v6, v69, vcc_lo
; %bb.98:
	s_or_b32 exec_lo, exec_lo, s3
	v_and_b32_e32 v6, 0x7f800000, v70
	s_delay_alu instid0(VALU_DEP_1) | instskip(SKIP_1) | instid1(SALU_CYCLE_1)
	v_cmp_ne_u32_e32 vcc_lo, 0x7f800000, v6
                                        ; implicit-def: $vgpr6
	s_and_saveexec_b32 s3, vcc_lo
	s_xor_b32 s3, exec_lo, s3
; %bb.99:
	v_bfe_u32 v6, v70, 16, 1
	s_delay_alu instid0(VALU_DEP_1)
	v_add3_u32 v6, v70, v6, 0x7fff
; %bb.100:
	s_and_not1_saveexec_b32 s3, s3
; %bb.101:
	v_and_b32_e32 v6, 0xffff, v70
	v_or_b32_e32 v7, 0x10000, v70
	s_delay_alu instid0(VALU_DEP_2) | instskip(NEXT) | instid1(VALU_DEP_2)
	v_cmp_eq_u32_e32 vcc_lo, 0, v6
	v_cndmask_b32_e32 v6, v7, v70, vcc_lo
; %bb.102:
	s_or_b32 exec_lo, exec_lo, s3
	v_and_b32_e32 v7, 0x7f800000, v71
	s_delay_alu instid0(VALU_DEP_1) | instskip(SKIP_1) | instid1(SALU_CYCLE_1)
	v_cmp_ne_u32_e32 vcc_lo, 0x7f800000, v7
                                        ; implicit-def: $vgpr7
	s_and_saveexec_b32 s3, vcc_lo
	s_xor_b32 s3, exec_lo, s3
; %bb.103:
	v_bfe_u32 v7, v71, 16, 1
	s_delay_alu instid0(VALU_DEP_1)
	v_add3_u32 v7, v71, v7, 0x7fff
; %bb.104:
	s_and_not1_saveexec_b32 s3, s3
; %bb.105:
	v_and_b32_e32 v7, 0xffff, v71
	v_or_b32_e32 v8, 0x10000, v71
	s_delay_alu instid0(VALU_DEP_2) | instskip(NEXT) | instid1(VALU_DEP_2)
	v_cmp_eq_u32_e32 vcc_lo, 0, v7
	v_cndmask_b32_e32 v7, v8, v71, vcc_lo
; %bb.106:
	s_or_b32 exec_lo, exec_lo, s3
	v_and_b32_e32 v8, 0x7f800000, v72
	s_delay_alu instid0(VALU_DEP_1) | instskip(SKIP_1) | instid1(SALU_CYCLE_1)
	v_cmp_ne_u32_e32 vcc_lo, 0x7f800000, v8
                                        ; implicit-def: $vgpr8
	s_and_saveexec_b32 s3, vcc_lo
	s_xor_b32 s3, exec_lo, s3
; %bb.107:
	v_bfe_u32 v8, v72, 16, 1
	s_delay_alu instid0(VALU_DEP_1)
	v_add3_u32 v8, v72, v8, 0x7fff
                                        ; implicit-def: $vgpr65_vgpr66_vgpr67_vgpr68_vgpr69_vgpr70_vgpr71_vgpr72
; %bb.108:
	s_and_not1_saveexec_b32 s3, s3
; %bb.109:
	v_and_b32_e32 v8, 0xffff, v72
	v_or_b32_e32 v9, 0x10000, v72
	s_delay_alu instid0(VALU_DEP_2) | instskip(NEXT) | instid1(VALU_DEP_2)
	v_cmp_eq_u32_e32 vcc_lo, 0, v8
	v_cndmask_b32_e32 v8, v9, v72, vcc_lo
; %bb.110:
	s_or_b32 exec_lo, exec_lo, s3
	s_delay_alu instid0(VALU_DEP_1)
	v_perm_b32 v7, v8, v7, 0x7060302
	v_perm_b32 v6, v6, v5, 0x7060302
	;; [unrolled: 1-line block ×4, first 2 shown]
	s_barrier
	buffer_gl0_inv
	v_cmp_eq_u32_e32 vcc_lo, 1, v78
	ds_store_b128 v76, v[4:7]
	s_waitcnt lgkmcnt(0)
	s_barrier
	buffer_gl0_inv
	ds_load_b128 v[1:4], v82
	ds_load_b128 v[5:8], v82 offset:16
	v_cmp_eq_u32_e64 s3, 1, v79
	v_cmp_eq_u32_e64 s4, 2, v78
	;; [unrolled: 1-line block ×5, first 2 shown]
	s_waitcnt lgkmcnt(1)
	v_lshrrev_b32_e32 v9, 16, v1
	s_waitcnt lgkmcnt(0)
	v_lshrrev_b32_e32 v13, 16, v5
	v_lshrrev_b32_e32 v10, 16, v2
	v_lshrrev_b32_e32 v14, 16, v6
	v_lshrrev_b32_e32 v11, 16, v3
	v_cndmask_b32_e64 v19, v1, v9, s3
	v_cndmask_b32_e32 v18, v5, v13, vcc_lo
	v_cndmask_b32_e64 v20, v5, v13, s3
	v_cndmask_b32_e32 v17, v1, v9, vcc_lo
	v_cmp_eq_u32_e32 vcc_lo, 2, v79
	v_lshrrev_b32_e32 v15, 16, v7
	v_cmp_eq_u32_e64 s3, 1, v77
	v_lshrrev_b32_e32 v12, 16, v4
	v_lshrrev_b32_e32 v16, 16, v8
	v_cndmask_b32_e32 v20, v20, v6, vcc_lo
	v_cndmask_b32_e64 v17, v17, v2, s4
	v_cndmask_b32_e32 v19, v19, v2, vcc_lo
	v_cndmask_b32_e64 v18, v18, v6, s4
	v_cmp_eq_u32_e32 vcc_lo, 4, v78
	v_cmp_eq_u32_e64 s4, 3, v79
	v_cndmask_b32_e64 v17, v17, v10, s5
	v_cndmask_b32_e64 v21, v1, v9, s3
	;; [unrolled: 1-line block ×5, first 2 shown]
	v_cndmask_b32_e32 v17, v17, v3, vcc_lo
	v_cndmask_b32_e64 v20, v20, v14, s4
	v_cndmask_b32_e32 v18, v18, v7, vcc_lo
	v_cmp_eq_u32_e32 vcc_lo, 4, v79
	v_cmp_eq_u32_e64 s4, 5, v79
	v_cmp_eq_u32_e64 s3, 2, v81
	v_cndmask_b32_e64 v21, v21, v2, s7
	v_cmp_eq_u32_e64 s5, 5, v78
	v_cndmask_b32_e32 v19, v19, v3, vcc_lo
	v_cndmask_b32_e32 v20, v20, v7, vcc_lo
	v_cmp_eq_u32_e32 vcc_lo, 6, v79
	s_delay_alu instid0(VALU_DEP_4) | instskip(NEXT) | instid1(VALU_DEP_4)
	v_cndmask_b32_e64 v17, v17, v11, s5
	v_cndmask_b32_e64 v19, v19, v11, s4
	s_delay_alu instid0(VALU_DEP_4) | instskip(SKIP_1) | instid1(VALU_DEP_3)
	v_cndmask_b32_e64 v20, v20, v15, s4
	v_cmp_eq_u32_e64 s4, 1, v81
	v_cndmask_b32_e32 v19, v19, v4, vcc_lo
	v_cndmask_b32_e64 v18, v18, v15, s5
	s_delay_alu instid0(VALU_DEP_3)
	v_cndmask_b32_e64 v1, v1, v9, s4
	v_cndmask_b32_e64 v5, v5, v13, s4
	v_cmp_eq_u32_e64 s4, 3, v77
	v_cndmask_b32_e64 v13, v22, v6, s7
	v_cmp_eq_u32_e64 s7, 3, v81
	v_cndmask_b32_e64 v1, v1, v2, s3
	v_cndmask_b32_e64 v2, v5, v6, s3
	;; [unrolled: 1-line block ×3, first 2 shown]
	v_cmp_eq_u32_e64 s3, 4, v77
	v_cndmask_b32_e64 v6, v13, v14, s4
	v_cndmask_b32_e64 v1, v1, v10, s7
	v_cmp_eq_u32_e64 s4, 4, v81
	v_cndmask_b32_e64 v2, v2, v14, s7
	v_cndmask_b32_e64 v5, v9, v3, s3
	v_cmp_eq_u32_e64 s7, 5, v77
	v_cndmask_b32_e64 v6, v6, v7, s3
	v_cndmask_b32_e64 v1, v1, v3, s4
	v_cndmask_b32_e64 v2, v2, v7, s4
	v_cmp_eq_u32_e64 s3, 5, v81
	v_cmp_eq_u32_e64 s5, 6, v78
	v_cndmask_b32_e64 v5, v5, v11, s7
	v_cmp_eq_u32_e64 s4, 6, v77
	v_cndmask_b32_e64 v3, v6, v15, s7
	v_cndmask_b32_e64 v1, v1, v11, s3
	v_cmp_eq_u32_e64 s7, 6, v81
	v_cndmask_b32_e64 v2, v2, v15, s3
	v_cndmask_b32_e64 v17, v17, v4, s5
	v_cndmask_b32_e64 v18, v18, v8, s5
	v_cmp_eq_u32_e64 s5, 7, v78
	v_cndmask_b32_e64 v5, v5, v4, s4
	;; [unrolled: 4-line block ×3, first 2 shown]
	v_cmp_eq_u32_e64 s4, 7, v77
	v_cndmask_b32_e32 v4, v20, v8, vcc_lo
	v_cndmask_b32_e64 v17, v17, v12, s5
	v_cndmask_b32_e64 v19, v19, v12, s6
	;; [unrolled: 1-line block ×8, first 2 shown]
	v_cmp_gt_u32_e32 vcc_lo, 32, v0
	v_perm_b32 v4, v2, v1, 0x5040100
	v_perm_b32 v3, v3, v5, 0x5040100
	;; [unrolled: 1-line block ×4, first 2 shown]
	s_and_b32 s2, vcc_lo, s2
	ds_store_b128 v76, v[1:4]
	s_waitcnt lgkmcnt(0)
	s_barrier
	buffer_gl0_inv
	s_and_saveexec_b32 s3, s2
	s_cbranch_execz .LBB1735_2
; %bb.111:
	s_load_b64 s[0:1], s[0:1], 0x68
	s_lshl_b32 s4, s34, 6
	v_or_b32_e32 v2, s31, v74
	s_mul_i32 s2, s4, s30
	v_lshlrev_b32_e32 v0, 10, v0
	s_mul_i32 s2, s2, s8
	v_lshlrev_b32_e32 v1, 4, v75
	s_ashr_i32 s3, s2, 31
	v_mul_lo_u32 v20, v2, s4
	s_lshl_b64 s[2:3], s[2:3], 1
	v_lshlrev_b32_e32 v3, 6, v74
	v_and_b32_e32 v0, 0x3800, v0
	s_delay_alu instid0(VALU_DEP_1) | instskip(NEXT) | instid1(VALU_DEP_4)
	v_or3_b32 v16, v0, v1, v3
	v_ashrrev_i32_e32 v21, 31, v20
	ds_load_b128 v[0:3], v16
	ds_load_b128 v[4:7], v16 offset:128
	s_waitcnt lgkmcnt(0)
	s_add_u32 s2, s0, s2
	s_addc_u32 s3, s1, s3
	s_lshl_b32 s0, s14, 6
	ds_load_b128 v[8:11], v16 offset:256
	ds_load_b128 v[12:15], v16 offset:384
	;; [unrolled: 1-line block ×3, first 2 shown]
	s_ashr_i32 s1, s0, 31
	s_delay_alu instid0(SALU_CYCLE_1) | instskip(NEXT) | instid1(SALU_CYCLE_1)
	s_lshl_b64 s[0:1], s[0:1], 1
	s_add_u32 s0, s2, s0
	s_addc_u32 s1, s3, s1
	s_lshl_b32 s2, s34, 7
	v_add_co_u32 v30, s0, s0, v73
	v_add_nc_u32_e32 v22, s2, v20
	v_lshlrev_b64 v[20:21], 1, v[20:21]
	v_add_co_ci_u32_e64 v31, null, s1, 0, s0
	s_delay_alu instid0(VALU_DEP_3) | instskip(SKIP_1) | instid1(VALU_DEP_4)
	v_add_nc_u32_e32 v24, s2, v22
	v_ashrrev_i32_e32 v23, 31, v22
	v_add_co_u32 v20, vcc_lo, v30, v20
	s_delay_alu instid0(VALU_DEP_4) | instskip(NEXT) | instid1(VALU_DEP_4)
	v_add_co_ci_u32_e32 v21, vcc_lo, v31, v21, vcc_lo
	v_add_nc_u32_e32 v26, s2, v24
	v_ashrrev_i32_e32 v25, 31, v24
	v_lshlrev_b64 v[22:23], 1, v[22:23]
	s_delay_alu instid0(VALU_DEP_3) | instskip(SKIP_1) | instid1(VALU_DEP_4)
	v_add_nc_u32_e32 v28, s2, v26
	v_ashrrev_i32_e32 v27, 31, v26
	v_lshlrev_b64 v[24:25], 1, v[24:25]
	s_delay_alu instid0(VALU_DEP_4) | instskip(NEXT) | instid1(VALU_DEP_4)
	v_add_co_u32 v22, vcc_lo, v30, v22
	v_ashrrev_i32_e32 v29, 31, v28
	s_delay_alu instid0(VALU_DEP_4) | instskip(SKIP_2) | instid1(VALU_DEP_4)
	v_lshlrev_b64 v[26:27], 1, v[26:27]
	v_add_co_ci_u32_e32 v23, vcc_lo, v31, v23, vcc_lo
	v_add_co_u32 v24, vcc_lo, v30, v24
	v_lshlrev_b64 v[28:29], 1, v[28:29]
	v_add_co_ci_u32_e32 v25, vcc_lo, v31, v25, vcc_lo
	v_add_co_u32 v26, vcc_lo, v30, v26
	v_add_co_ci_u32_e32 v27, vcc_lo, v31, v27, vcc_lo
	s_delay_alu instid0(VALU_DEP_4)
	v_add_co_u32 v28, vcc_lo, v30, v28
	v_add_co_ci_u32_e32 v29, vcc_lo, v31, v29, vcc_lo
	s_clause 0x1
	global_store_b128 v[20:21], v[0:3], off
	global_store_b128 v[22:23], v[4:7], off
	s_waitcnt lgkmcnt(2)
	global_store_b128 v[24:25], v[8:11], off
	s_waitcnt lgkmcnt(1)
	;; [unrolled: 2-line block ×3, first 2 shown]
	global_store_b128 v[28:29], v[16:19], off
	s_nop 0
	s_sendmsg sendmsg(MSG_DEALLOC_VGPRS)
	s_endpgm
	.section	.rodata,"a",@progbits
	.p2align	6, 0x0
	.amdhsa_kernel _Z39paged_attention_ll4mi_QKV_mfma16_kernelI14__hip_bfloat16hLN4vllm18Fp8KVCacheDataTypeE1EhLi32ELi64ELi256ELb1ELi10EL8MFMAType0EEvPKT_PKT0_S9_ifPKiSB_SB_iPKfiiiPfSE_PS4_PT2_iSD_SD_
		.amdhsa_group_segment_fixed_size 17472
		.amdhsa_private_segment_fixed_size 0
		.amdhsa_kernarg_size 400
		.amdhsa_user_sgpr_count 13
		.amdhsa_user_sgpr_dispatch_ptr 0
		.amdhsa_user_sgpr_queue_ptr 0
		.amdhsa_user_sgpr_kernarg_segment_ptr 1
		.amdhsa_user_sgpr_dispatch_id 0
		.amdhsa_user_sgpr_private_segment_size 0
		.amdhsa_wavefront_size32 1
		.amdhsa_uses_dynamic_stack 0
		.amdhsa_enable_private_segment 0
		.amdhsa_system_sgpr_workgroup_id_x 1
		.amdhsa_system_sgpr_workgroup_id_y 1
		.amdhsa_system_sgpr_workgroup_id_z 1
		.amdhsa_system_sgpr_workgroup_info 0
		.amdhsa_system_vgpr_workitem_id 0
		.amdhsa_next_free_vgpr 124
		.amdhsa_next_free_sgpr 40
		.amdhsa_reserve_vcc 1
		.amdhsa_float_round_mode_32 0
		.amdhsa_float_round_mode_16_64 0
		.amdhsa_float_denorm_mode_32 3
		.amdhsa_float_denorm_mode_16_64 3
		.amdhsa_dx10_clamp 1
		.amdhsa_ieee_mode 1
		.amdhsa_fp16_overflow 0
		.amdhsa_workgroup_processor_mode 1
		.amdhsa_memory_ordered 1
		.amdhsa_forward_progress 0
		.amdhsa_shared_vgpr_count 0
		.amdhsa_exception_fp_ieee_invalid_op 0
		.amdhsa_exception_fp_denorm_src 0
		.amdhsa_exception_fp_ieee_div_zero 0
		.amdhsa_exception_fp_ieee_overflow 0
		.amdhsa_exception_fp_ieee_underflow 0
		.amdhsa_exception_fp_ieee_inexact 0
		.amdhsa_exception_int_div_zero 0
	.end_amdhsa_kernel
	.section	.text._Z39paged_attention_ll4mi_QKV_mfma16_kernelI14__hip_bfloat16hLN4vllm18Fp8KVCacheDataTypeE1EhLi32ELi64ELi256ELb1ELi10EL8MFMAType0EEvPKT_PKT0_S9_ifPKiSB_SB_iPKfiiiPfSE_PS4_PT2_iSD_SD_,"axG",@progbits,_Z39paged_attention_ll4mi_QKV_mfma16_kernelI14__hip_bfloat16hLN4vllm18Fp8KVCacheDataTypeE1EhLi32ELi64ELi256ELb1ELi10EL8MFMAType0EEvPKT_PKT0_S9_ifPKiSB_SB_iPKfiiiPfSE_PS4_PT2_iSD_SD_,comdat
.Lfunc_end1735:
	.size	_Z39paged_attention_ll4mi_QKV_mfma16_kernelI14__hip_bfloat16hLN4vllm18Fp8KVCacheDataTypeE1EhLi32ELi64ELi256ELb1ELi10EL8MFMAType0EEvPKT_PKT0_S9_ifPKiSB_SB_iPKfiiiPfSE_PS4_PT2_iSD_SD_, .Lfunc_end1735-_Z39paged_attention_ll4mi_QKV_mfma16_kernelI14__hip_bfloat16hLN4vllm18Fp8KVCacheDataTypeE1EhLi32ELi64ELi256ELb1ELi10EL8MFMAType0EEvPKT_PKT0_S9_ifPKiSB_SB_iPKfiiiPfSE_PS4_PT2_iSD_SD_
                                        ; -- End function
	.section	.AMDGPU.csdata,"",@progbits
; Kernel info:
; codeLenInByte = 8824
; NumSgprs: 42
; NumVgprs: 124
; ScratchSize: 0
; MemoryBound: 0
; FloatMode: 240
; IeeeMode: 1
; LDSByteSize: 17472 bytes/workgroup (compile time only)
; SGPRBlocks: 5
; VGPRBlocks: 15
; NumSGPRsForWavesPerEU: 42
; NumVGPRsForWavesPerEU: 124
; Occupancy: 10
; WaveLimiterHint : 1
; COMPUTE_PGM_RSRC2:SCRATCH_EN: 0
; COMPUTE_PGM_RSRC2:USER_SGPR: 13
; COMPUTE_PGM_RSRC2:TRAP_HANDLER: 0
; COMPUTE_PGM_RSRC2:TGID_X_EN: 1
; COMPUTE_PGM_RSRC2:TGID_Y_EN: 1
; COMPUTE_PGM_RSRC2:TGID_Z_EN: 1
; COMPUTE_PGM_RSRC2:TIDIG_COMP_CNT: 0
	.section	.text._Z39paged_attention_ll4mi_QKV_mfma16_kernelI14__hip_bfloat16hLN4vllm18Fp8KVCacheDataTypeE1EhLi32ELi64ELi256ELb1ELi11EL8MFMAType0EEvPKT_PKT0_S9_ifPKiSB_SB_iPKfiiiPfSE_PS4_PT2_iSD_SD_,"axG",@progbits,_Z39paged_attention_ll4mi_QKV_mfma16_kernelI14__hip_bfloat16hLN4vllm18Fp8KVCacheDataTypeE1EhLi32ELi64ELi256ELb1ELi11EL8MFMAType0EEvPKT_PKT0_S9_ifPKiSB_SB_iPKfiiiPfSE_PS4_PT2_iSD_SD_,comdat
	.protected	_Z39paged_attention_ll4mi_QKV_mfma16_kernelI14__hip_bfloat16hLN4vllm18Fp8KVCacheDataTypeE1EhLi32ELi64ELi256ELb1ELi11EL8MFMAType0EEvPKT_PKT0_S9_ifPKiSB_SB_iPKfiiiPfSE_PS4_PT2_iSD_SD_ ; -- Begin function _Z39paged_attention_ll4mi_QKV_mfma16_kernelI14__hip_bfloat16hLN4vllm18Fp8KVCacheDataTypeE1EhLi32ELi64ELi256ELb1ELi11EL8MFMAType0EEvPKT_PKT0_S9_ifPKiSB_SB_iPKfiiiPfSE_PS4_PT2_iSD_SD_
	.globl	_Z39paged_attention_ll4mi_QKV_mfma16_kernelI14__hip_bfloat16hLN4vllm18Fp8KVCacheDataTypeE1EhLi32ELi64ELi256ELb1ELi11EL8MFMAType0EEvPKT_PKT0_S9_ifPKiSB_SB_iPKfiiiPfSE_PS4_PT2_iSD_SD_
	.p2align	8
	.type	_Z39paged_attention_ll4mi_QKV_mfma16_kernelI14__hip_bfloat16hLN4vllm18Fp8KVCacheDataTypeE1EhLi32ELi64ELi256ELb1ELi11EL8MFMAType0EEvPKT_PKT0_S9_ifPKiSB_SB_iPKfiiiPfSE_PS4_PT2_iSD_SD_,@function
_Z39paged_attention_ll4mi_QKV_mfma16_kernelI14__hip_bfloat16hLN4vllm18Fp8KVCacheDataTypeE1EhLi32ELi64ELi256ELb1ELi11EL8MFMAType0EEvPKT_PKT0_S9_ifPKiSB_SB_iPKfiiiPfSE_PS4_PT2_iSD_SD_: ; @_Z39paged_attention_ll4mi_QKV_mfma16_kernelI14__hip_bfloat16hLN4vllm18Fp8KVCacheDataTypeE1EhLi32ELi64ELi256ELb1ELi11EL8MFMAType0EEvPKT_PKT0_S9_ifPKiSB_SB_iPKfiiiPfSE_PS4_PT2_iSD_SD_
; %bb.0:
	s_load_b64 s[2:3], s[0:1], 0x30
	s_mov_b32 s34, s13
	s_waitcnt lgkmcnt(0)
	s_cmp_lg_u64 s[2:3], 0
	s_cselect_b32 s8, -1, 0
	s_ashr_i32 s35, s13, 31
	s_cmp_eq_u64 s[2:3], 0
	s_cbranch_scc1 .LBB1736_3
; %bb.1:
	s_lshl_b64 s[4:5], s[34:35], 2
	s_delay_alu instid0(SALU_CYCLE_1) | instskip(SKIP_4) | instid1(SALU_CYCLE_1)
	s_add_u32 s4, s2, s4
	s_addc_u32 s5, s3, s5
	s_load_b64 s[4:5], s[4:5], 0x0
	s_waitcnt lgkmcnt(0)
	s_sub_i32 s4, s5, s4
	s_cmp_eq_u32 s4, 1
	s_cselect_b32 s4, -1, 0
	s_delay_alu instid0(SALU_CYCLE_1)
	s_and_not1_b32 vcc_lo, exec_lo, s4
	s_cbranch_vccz .LBB1736_4
.LBB1736_2:
	s_nop 0
	s_sendmsg sendmsg(MSG_DEALLOC_VGPRS)
	s_endpgm
.LBB1736_3:
.LBB1736_4:
	s_load_b64 s[4:5], s[0:1], 0x28
	s_lshl_b64 s[6:7], s[34:35], 2
	s_waitcnt lgkmcnt(0)
	s_add_u32 s4, s4, s6
	s_addc_u32 s5, s5, s7
	s_lshl_b32 s12, s14, 8
	s_load_b32 s24, s[4:5], 0x0
	s_waitcnt lgkmcnt(0)
	s_cmp_ge_i32 s12, s24
	s_cbranch_scc1 .LBB1736_2
; %bb.5:
	s_clause 0x1
	s_load_b128 s[20:23], s[0:1], 0x8
	s_load_b64 s[4:5], s[0:1], 0x20
	s_and_not1_b32 vcc_lo, exec_lo, s8
	s_cbranch_vccnz .LBB1736_7
; %bb.6:
	s_add_u32 s2, s2, s6
	s_addc_u32 s3, s3, s7
	s_load_b32 s3, s[2:3], 0x0
	s_branch .LBB1736_8
.LBB1736_7:
	s_mov_b32 s3, s34
.LBB1736_8:
	s_load_b128 s[16:19], s[0:1], 0x48
	v_lshrrev_b32_e32 v66, 5, v0
	v_bfe_u32 v74, v0, 4, 1
	v_and_b32_e32 v65, 15, v0
	v_and_b32_e32 v67, 31, v0
	v_and_b32_e32 v75, 1, v0
	s_mul_i32 s31, s15, 11
	v_lshl_or_b32 v1, v66, 1, v74
	v_lshlrev_b32_e32 v2, 3, v65
	v_cmp_gt_u32_e64 s2, 8, v65
	s_delay_alu instid0(VALU_DEP_3) | instskip(NEXT) | instid1(VALU_DEP_3)
	v_cmp_gt_u32_e32 vcc_lo, 11, v1
	v_lshlrev_b32_e32 v73, 1, v2
	s_delay_alu instid0(VALU_DEP_3) | instskip(NEXT) | instid1(SALU_CYCLE_1)
	s_and_b32 s7, s2, vcc_lo
	s_and_saveexec_b32 s6, s7
	s_cbranch_execz .LBB1736_10
; %bb.9:
	s_load_b64 s[8:9], s[0:1], 0x0
	v_add_lshl_u32 v2, v1, s31, 6
	s_waitcnt lgkmcnt(0)
	s_mul_hi_i32 s11, s3, s16
	s_mul_i32 s10, s3, s16
	v_lshlrev_b32_e32 v6, 10, v65
	s_lshl_b64 s[10:11], s[10:11], 1
	v_ashrrev_i32_e32 v3, 31, v2
	v_lshlrev_b32_e32 v1, 6, v1
	v_lshlrev_b32_e32 v7, 10, v75
	v_and_b32_e32 v6, 0x3800, v6
	s_delay_alu instid0(VALU_DEP_4) | instskip(NEXT) | instid1(VALU_DEP_2)
	v_lshlrev_b64 v[2:3], 1, v[2:3]
	v_or3_b32 v1, v6, v7, v1
	s_add_u32 s3, s8, s10
	s_addc_u32 s7, s9, s11
	s_delay_alu instid0(VALU_DEP_2) | instskip(NEXT) | instid1(VALU_DEP_3)
	v_add_co_u32 v2, vcc_lo, s3, v2
	v_add_co_ci_u32_e32 v3, vcc_lo, s7, v3, vcc_lo
	s_delay_alu instid0(VALU_DEP_2) | instskip(NEXT) | instid1(VALU_DEP_2)
	v_add_co_u32 v2, vcc_lo, v2, v73
	v_add_co_ci_u32_e32 v3, vcc_lo, 0, v3, vcc_lo
	global_load_b128 v[2:5], v[2:3], off
	s_waitcnt vmcnt(0)
	ds_store_b128 v1, v[2:5]
.LBB1736_10:
	s_or_b32 exec_lo, exec_lo, s6
	v_and_b32_e32 v1, 0xef, v0
	s_waitcnt lgkmcnt(0)
	s_add_i32 s3, s24, 31
	s_clause 0x1
	s_load_b32 s6, s[0:1], 0x38
	s_load_b32 s19, s[0:1], 0x1c
	s_ashr_i32 s7, s3, 31
	v_add_nc_u32_e32 v1, s12, v1
	s_lshr_b32 s7, s7, 27
	s_waitcnt lgkmcnt(0)
	s_add_i32 s3, s3, s7
	s_barrier
	v_ashrrev_i32_e32 v2, 31, v1
	v_or_b32_e32 v3, 16, v1
	s_ashr_i32 s3, s3, 5
	v_cmp_gt_i32_e32 vcc_lo, s24, v1
	s_add_i32 s3, s3, -1
	v_lshrrev_b32_e32 v2, 27, v2
	buffer_gl0_inv
	s_mul_i32 s27, s15, s18
	v_add_nc_u32_e32 v4, v1, v2
	s_mul_i32 s6, s34, s6
	s_delay_alu instid0(SALU_CYCLE_1) | instskip(NEXT) | instid1(VALU_DEP_1)
	s_ashr_i32 s7, s6, 31
	v_ashrrev_i32_e32 v4, 5, v4
	v_add_nc_u32_e32 v2, v3, v2
	s_lshl_b64 s[6:7], s[6:7], 2
	s_delay_alu instid0(SALU_CYCLE_1) | instskip(NEXT) | instid1(VALU_DEP_2)
	s_add_u32 s26, s4, s6
	v_cndmask_b32_e32 v1, s3, v4, vcc_lo
	s_delay_alu instid0(VALU_DEP_2)
	v_ashrrev_i32_e32 v2, 5, v2
	v_cmp_gt_i32_e32 vcc_lo, s24, v3
	s_addc_u32 s25, s5, s7
	s_ashr_i32 s28, s27, 31
	s_add_u32 s4, s20, s27
	s_addc_u32 s5, s21, s28
	v_cndmask_b32_e32 v3, s3, v2, vcc_lo
	v_ashrrev_i32_e32 v2, 31, v1
	s_lshl_b32 s6, s14, 3
	s_delay_alu instid0(SALU_CYCLE_1) | instskip(NEXT) | instid1(VALU_DEP_2)
	s_ashr_i32 s7, s6, 31
	v_ashrrev_i32_e32 v4, 31, v3
	s_delay_alu instid0(VALU_DEP_2) | instskip(SKIP_1) | instid1(SALU_CYCLE_1)
	v_lshlrev_b64 v[1:2], 2, v[1:2]
	s_lshl_b64 s[6:7], s[6:7], 2
	s_add_u32 s6, s26, s6
	s_delay_alu instid0(VALU_DEP_2) | instskip(SKIP_1) | instid1(VALU_DEP_2)
	v_lshlrev_b64 v[3:4], 2, v[3:4]
	s_addc_u32 s7, s25, s7
	v_add_co_u32 v1, vcc_lo, s26, v1
	v_add_co_ci_u32_e32 v2, vcc_lo, s25, v2, vcc_lo
	s_delay_alu instid0(VALU_DEP_3) | instskip(NEXT) | instid1(VALU_DEP_4)
	v_add_co_u32 v3, vcc_lo, s26, v3
	v_add_co_ci_u32_e32 v4, vcc_lo, s25, v4, vcc_lo
	s_clause 0x1
	global_load_b32 v5, v[1:2], off
	global_load_b32 v6, v[3:4], off
	s_or_b32 s8, s12, 32
	s_delay_alu instid0(SALU_CYCLE_1) | instskip(SKIP_2) | instid1(SALU_CYCLE_1)
	s_ashr_i32 s9, s8, 5
	s_cmp_lt_i32 s8, s24
	s_cselect_b32 s8, s9, s3
	s_ashr_i32 s9, s8, 31
	s_delay_alu instid0(SALU_CYCLE_1) | instskip(NEXT) | instid1(SALU_CYCLE_1)
	s_lshl_b64 s[8:9], s[8:9], 2
	s_add_u32 s8, s26, s8
	s_addc_u32 s9, s25, s9
	s_or_b32 s10, s12, 64
	s_delay_alu instid0(SALU_CYCLE_1) | instskip(SKIP_2) | instid1(SALU_CYCLE_1)
	s_ashr_i32 s11, s10, 5
	s_cmp_lt_i32 s10, s24
	s_cselect_b32 s10, s11, s3
	s_ashr_i32 s11, s10, 31
	s_delay_alu instid0(SALU_CYCLE_1) | instskip(NEXT) | instid1(SALU_CYCLE_1)
	s_lshl_b64 s[10:11], s[10:11], 2
	s_add_u32 s10, s26, s10
	s_addc_u32 s11, s25, s11
	;; [unrolled: 10-line block ×5, first 2 shown]
	s_clause 0x5
	s_load_b32 s21, s[6:7], 0x0
	s_load_b32 s13, s[8:9], 0x0
	;; [unrolled: 1-line block ×6, first 2 shown]
	s_or_b32 s8, s12, 0xc0
	s_delay_alu instid0(SALU_CYCLE_1) | instskip(SKIP_2) | instid1(SALU_CYCLE_1)
	s_ashr_i32 s9, s8, 5
	s_cmp_lt_i32 s8, s24
	s_cselect_b32 s36, s9, s3
	s_ashr_i32 s37, s36, 31
	s_delay_alu instid0(SALU_CYCLE_1) | instskip(NEXT) | instid1(SALU_CYCLE_1)
	s_lshl_b64 s[36:37], s[36:37], 2
	s_add_u32 s36, s26, s36
	s_addc_u32 s37, s25, s37
	s_or_b32 s29, s12, 0xe0
	s_delay_alu instid0(SALU_CYCLE_1)
	s_ashr_i32 s30, s29, 5
	s_cmp_lt_i32 s29, s24
	s_waitcnt vmcnt(1)
	v_mad_i64_i32 v[1:2], null, v5, s17, s[4:5]
	s_waitcnt vmcnt(0)
	v_mad_i64_i32 v[3:4], null, v6, s17, s[4:5]
	s_mov_b32 s4, 0
	s_delay_alu instid0(SALU_CYCLE_1)
	s_mov_b32 s5, s4
	s_mov_b32 s6, s4
	;; [unrolled: 1-line block ×7, first 2 shown]
	v_lshlrev_b32_e32 v5, 4, v65
	v_dual_mov_b32 v107, s11 :: v_dual_mov_b32 v102, s6
	v_mov_b32_e32 v100, s4
	v_mov_b32_e32 v106, s10
	s_delay_alu instid0(VALU_DEP_4)
	v_add_co_u32 v1, vcc_lo, v1, v5
	v_add_co_ci_u32_e32 v2, vcc_lo, 0, v2, vcc_lo
	v_add_co_u32 v3, vcc_lo, v3, v5
	v_add_co_ci_u32_e32 v4, vcc_lo, 0, v4, vcc_lo
	s_clause 0x7
	global_load_b128 v[49:52], v[1:2], off
	global_load_b128 v[53:56], v[1:2], off offset:512
	global_load_b128 v[76:79], v[3:4], off offset:256
	;; [unrolled: 1-line block ×7, first 2 shown]
	v_add_nc_u32_e32 v1, -11, v65
	v_cmp_gt_u32_e32 vcc_lo, 11, v65
	v_dual_mov_b32 v104, s8 :: v_dual_mov_b32 v103, s7
	v_dual_mov_b32 v101, s5 :: v_dual_lshlrev_b32 v2, 5, v65
	s_delay_alu instid0(VALU_DEP_4)
	v_cndmask_b32_e32 v1, v1, v65, vcc_lo
	v_mov_b32_e32 v105, s9
	s_cselect_b32 s4, s30, s3
	s_load_b32 s3, s[36:37], 0x0
	s_ashr_i32 s5, s4, 31
	v_lshlrev_b32_e32 v70, 6, v1
	s_lshl_b64 s[4:5], s[4:5], 2
	v_lshl_or_b32 v2, v66, 9, v2
	s_add_u32 s4, s26, s4
	s_addc_u32 s5, s25, s5
	ds_load_b128 v[108:111], v70
	ds_load_b128 v[112:115], v70 offset:1024
	s_load_b32 s4, s[4:5], 0x0
	s_add_u32 s6, s22, s27
	s_addc_u32 s7, s23, s28
	v_add_co_u32 v9, s6, s6, v2
	s_delay_alu instid0(VALU_DEP_1) | instskip(SKIP_1) | instid1(VALU_DEP_1)
	v_add_co_ci_u32_e64 v10, null, s7, 0, s6
	s_waitcnt lgkmcnt(0)
	v_mad_i64_i32 v[1:2], null, s21, s17, v[9:10]
	v_mad_i64_i32 v[3:4], null, s13, s17, v[9:10]
	v_mad_i64_i32 v[5:6], null, s15, s17, v[9:10]
	v_mad_i64_i32 v[7:8], null, s16, s17, v[9:10]
	v_mad_i64_i32 v[13:14], null, s20, s17, v[9:10]
	v_mad_i64_i32 v[11:12], null, s18, s17, v[9:10]
	v_mad_i64_i32 v[21:22], null, s3, s17, v[9:10]
	s_clause 0x9
	global_load_b128 v[57:60], v[1:2], off
	global_load_b128 v[61:64], v[1:2], off offset:16
	global_load_b128 v[41:44], v[3:4], off
	global_load_b128 v[45:48], v[3:4], off offset:16
	;; [unrolled: 2-line block ×5, first 2 shown]
	v_mad_i64_i32 v[68:69], null, s4, s17, v[9:10]
	s_clause 0x3
	global_load_b128 v[9:12], v[13:14], off
	global_load_b128 v[13:16], v[13:14], off offset:16
	global_load_b128 v[17:20], v[21:22], off
	global_load_b128 v[21:24], v[21:22], off offset:16
	s_waitcnt vmcnt(20)
	v_wmma_f32_16x16x16_bf16 v[116:123], v[49:56], v[108:115], v[100:107]
	s_clause 0x1
	global_load_b128 v[49:52], v[68:69], off
	global_load_b128 v[53:56], v[68:69], off offset:16
	v_and_b32_e32 v68, 0xe0, v0
	v_mbcnt_lo_u32_b32 v69, -1, 0
	s_delay_alu instid0(VALU_DEP_2)
	v_add_nc_u32_e32 v68, s12, v68
	s_waitcnt vmcnt(20)
	v_wmma_f32_16x16x16_bf16 v[100:107], v[76:83], v[108:115], v[100:107]
	ds_load_b128 v[76:79], v70 offset:2048
	ds_load_b128 v[80:83], v70 offset:3072
	v_xor_b32_e32 v70, 16, v69
	s_waitcnt vmcnt(0) lgkmcnt(0)
	v_or_b32_e32 v68, v68, v74
	s_barrier
	buffer_gl0_inv
	v_cmp_gt_i32_e32 vcc_lo, 32, v70
	v_or_b32_e32 v71, 4, v68
	v_or_b32_e32 v72, 6, v68
	v_cmp_gt_i32_e64 s3, s24, v68
	v_or_b32_e32 v108, 8, v68
	v_or_b32_e32 v109, 10, v68
	v_cmp_gt_i32_e64 s4, s24, v71
	v_cmp_gt_i32_e64 s5, s24, v72
	s_delay_alu instid0(VALU_DEP_4) | instskip(NEXT) | instid1(VALU_DEP_4)
	v_cmp_gt_i32_e64 s6, s24, v108
	v_cmp_gt_i32_e64 s7, s24, v109
	v_wmma_f32_16x16x16_bf16 v[116:123], v[84:91], v[76:83], v[116:123]
	v_cndmask_b32_e32 v69, v69, v70, vcc_lo
	v_or_b32_e32 v70, 2, v68
	v_wmma_f32_16x16x16_bf16 v[100:107], v[92:99], v[76:83], v[100:107]
	v_or_b32_e32 v89, 22, v68
	v_dual_mul_f32 v80, s19, v121 :: v_dual_mul_f32 v81, s19, v120
	v_dual_mul_f32 v92, s19, v117 :: v_dual_mul_f32 v93, s19, v116
	s_delay_alu instid0(VALU_DEP_4)
	v_mul_f32_e32 v96, s19, v105
	v_cmp_gt_i32_e32 vcc_lo, s24, v70
	v_dual_mul_f32 v79, s19, v122 :: v_dual_mul_f32 v82, s19, v119
	v_dual_mul_f32 v83, s19, v118 :: v_dual_mul_f32 v94, s19, v107
	v_cndmask_b32_e64 v93, 0xff7fffff, v93, s3
	v_cndmask_b32_e32 v92, 0xff7fffff, v92, vcc_lo
	v_or_b32_e32 v84, 12, v68
	v_or_b32_e32 v85, 14, v68
	v_cndmask_b32_e64 v71, 0xff7fffff, v83, s4
	v_cndmask_b32_e64 v72, 0xff7fffff, v82, s5
	v_cmp_gt_i32_e64 s13, s24, v89
	v_lshlrev_b32_e32 v89, 2, v69
	v_max3_f32 v82, v93, 0xff7fffff, v92
	v_or_b32_e32 v86, 16, v68
	v_or_b32_e32 v87, 18, v68
	v_mul_f32_e32 v78, s19, v123
	v_cndmask_b32_e64 v81, 0xff7fffff, v81, s6
	v_cndmask_b32_e64 v80, 0xff7fffff, v80, s7
	v_max3_f32 v71, v82, v71, v72
	v_cmp_gt_i32_e64 s8, s24, v84
	v_cmp_gt_i32_e64 s9, s24, v85
	v_or_b32_e32 v88, 20, v68
	v_or_b32_e32 v90, 24, v68
	;; [unrolled: 1-line block ×5, first 2 shown]
	v_dual_mul_f32 v97, s19, v104 :: v_dual_mul_f32 v70, s19, v101
	v_dual_mul_f32 v99, s19, v102 :: v_dual_mul_f32 v68, s19, v100
	v_cndmask_b32_e64 v72, 0xff7fffff, v79, s8
	v_cndmask_b32_e64 v78, 0xff7fffff, v78, s9
	v_max3_f32 v71, v71, v81, v80
	v_cmp_gt_i32_e64 s10, s24, v86
	v_cmp_gt_i32_e64 s11, s24, v87
	v_dual_mul_f32 v95, s19, v106 :: v_dual_mul_f32 v98, s19, v103
	s_delay_alu instid0(VALU_DEP_4) | instskip(NEXT) | instid1(VALU_DEP_4)
	v_max3_f32 v71, v71, v72, v78
	v_cndmask_b32_e64 v68, 0xff7fffff, v68, s10
	s_delay_alu instid0(VALU_DEP_4)
	v_cndmask_b32_e64 v70, 0xff7fffff, v70, s11
	v_cmp_gt_i32_e64 s12, s24, v88
	v_cndmask_b32_e64 v78, 0xff7fffff, v98, s13
	v_cmp_gt_i32_e64 s15, s24, v90
	v_cmp_gt_i32_e64 s16, s24, v91
	v_max3_f32 v68, v71, v68, v70
	v_cndmask_b32_e64 v72, 0xff7fffff, v99, s12
	v_cmp_gt_i32_e64 s17, s24, v76
	v_cndmask_b32_e64 v70, 0xff7fffff, v97, s15
	v_cndmask_b32_e64 v71, 0xff7fffff, v96, s16
	v_cmp_gt_i32_e64 s18, s24, v77
	v_max3_f32 v68, v68, v72, v78
	v_cndmask_b32_e64 v72, 0xff7fffff, v95, s17
	s_delay_alu instid0(VALU_DEP_3) | instskip(NEXT) | instid1(VALU_DEP_3)
	v_cndmask_b32_e64 v76, 0xff7fffff, v94, s18
	v_max3_f32 v68, v68, v70, v71
	s_delay_alu instid0(VALU_DEP_1) | instskip(SKIP_3) | instid1(VALU_DEP_1)
	v_max3_f32 v68, v68, v72, v76
	ds_bpermute_b32 v69, v89, v68
	s_waitcnt lgkmcnt(0)
	v_max_f32_e32 v69, v69, v69
	v_max_f32_e32 v68, v68, v69
	s_delay_alu instid0(VALU_DEP_1) | instskip(NEXT) | instid1(VALU_DEP_1)
	v_fma_f32 v71, s19, v118, -v68
	v_mul_f32_e32 v71, 0x3fb8aa3b, v71
	v_fma_f32 v70, s19, v117, -v68
	v_fma_f32 v69, s19, v116, -v68
	;; [unrolled: 1-line block ×5, first 2 shown]
	s_delay_alu instid0(VALU_DEP_4) | instskip(SKIP_1) | instid1(VALU_DEP_3)
	v_dual_mul_f32 v70, 0x3fb8aa3b, v70 :: v_dual_mul_f32 v69, 0x3fb8aa3b, v69
	v_exp_f32_e32 v71, v71
	v_mul_f32_e32 v72, 0x3fb8aa3b, v72
	v_fma_f32 v81, s19, v105, -v68
	s_delay_alu instid0(VALU_DEP_3)
	v_exp_f32_e32 v70, v70
	v_mul_f32_e32 v77, 0x3fb8aa3b, v76
	v_exp_f32_e32 v69, v69
	v_exp_f32_e32 v72, v72
	v_mul_f32_e32 v81, 0x3fb8aa3b, v81
	v_cndmask_b32_e64 v83, 0, v71, s4
	v_fma_f32 v71, s19, v123, -v68
	s_delay_alu instid0(VALU_DEP_3) | instskip(SKIP_4) | instid1(TRANS32_DEP_3)
	v_exp_f32_e32 v81, v81
	v_cndmask_b32_e32 v76, 0, v70, vcc_lo
	v_exp_f32_e32 v77, v77
	v_cndmask_b32_e64 v80, 0, v69, s3
	v_fma_f32 v69, s19, v121, -v68
	v_cndmask_b32_e64 v85, 0, v72, s5
	v_mul_f32_e32 v71, 0x3fb8aa3b, v71
	v_fma_f32 v72, s19, v100, -v68
	s_delay_alu instid0(VALU_DEP_4) | instskip(SKIP_1) | instid1(VALU_DEP_4)
	v_dual_add_f32 v70, 0, v80 :: v_dual_mul_f32 v69, 0x3fb8aa3b, v69
	v_cmp_gt_u32_e64 s3, 16, v67
	v_exp_f32_e32 v71, v71
	s_delay_alu instid0(TRANS32_DEP_2) | instskip(SKIP_4) | instid1(VALU_DEP_3)
	v_cndmask_b32_e64 v86, 0, v77, s6
	v_fma_f32 v77, s19, v101, -v68
	v_mul_f32_e32 v78, 0x3fb8aa3b, v78
	v_add_f32_e32 v70, v70, v76
	v_exp_f32_e32 v69, v69
	v_mul_f32_e32 v77, 0x3fb8aa3b, v77
	s_delay_alu instid0(VALU_DEP_3) | instskip(NEXT) | instid1(TRANS32_DEP_3)
	v_exp_f32_e32 v78, v78
	v_cndmask_b32_e64 v88, 0, v71, s9
	v_fma_f32 v71, s19, v104, -v68
	s_delay_alu instid0(VALU_DEP_3) | instskip(NEXT) | instid1(TRANS32_DEP_3)
	v_exp_f32_e32 v77, v77
	v_cndmask_b32_e64 v87, 0, v69, s7
	s_delay_alu instid0(VALU_DEP_2)
	v_mul_f32_e32 v71, 0x3fb8aa3b, v71
	s_waitcnt_depctr 0xfff
	v_cndmask_b32_e64 v84, 0, v78, s8
	v_add_f32_e32 v70, v70, v83
	v_fma_f32 v78, s19, v103, -v68
	v_exp_f32_e32 v82, v71
	s_delay_alu instid0(VALU_DEP_2) | instskip(SKIP_1) | instid1(VALU_DEP_3)
	v_add_f32_e32 v70, v70, v85
	v_mul_f32_e32 v72, 0x3fb8aa3b, v72
	v_mul_f32_e32 v78, 0x3fb8aa3b, v78
	s_delay_alu instid0(VALU_DEP_3) | instskip(SKIP_1) | instid1(VALU_DEP_4)
	v_add_f32_e32 v69, v70, v86
	v_fma_f32 v70, s19, v102, -v68
	v_exp_f32_e32 v72, v72
	s_delay_alu instid0(VALU_DEP_3) | instskip(NEXT) | instid1(VALU_DEP_1)
	v_exp_f32_e32 v78, v78
	v_dual_add_f32 v69, v69, v87 :: v_dual_mul_f32 v70, 0x3fb8aa3b, v70
	s_delay_alu instid0(VALU_DEP_1) | instskip(NEXT) | instid1(VALU_DEP_2)
	v_add_f32_e32 v69, v69, v84
	v_exp_f32_e32 v79, v70
	s_delay_alu instid0(TRANS32_DEP_3) | instskip(NEXT) | instid1(VALU_DEP_2)
	v_cndmask_b32_e64 v70, 0, v72, s10
	v_add_f32_e32 v72, v69, v88
	v_cndmask_b32_e64 v69, 0, v77, s11
	v_fma_f32 v77, s19, v106, -v68
	s_waitcnt_depctr 0xfff
	v_cndmask_b32_e64 v71, 0, v79, s12
	v_dual_mul_f32 v77, 0x3fb8aa3b, v77 :: v_dual_add_f32 v72, v72, v70
	s_delay_alu instid0(VALU_DEP_1) | instskip(NEXT) | instid1(VALU_DEP_1)
	v_exp_f32_e32 v90, v77
	v_add_f32_e32 v79, v72, v69
	v_cndmask_b32_e64 v72, 0, v78, s13
	v_cndmask_b32_e64 v77, 0, v82, s15
	s_delay_alu instid0(VALU_DEP_3) | instskip(SKIP_1) | instid1(VALU_DEP_1)
	v_add_f32_e32 v78, v79, v71
	v_fma_f32 v79, s19, v107, -v68
	v_dual_add_f32 v82, v78, v72 :: v_dual_mul_f32 v79, 0x3fb8aa3b, v79
	v_cndmask_b32_e64 v78, 0, v81, s16
	s_delay_alu instid0(VALU_DEP_2) | instskip(NEXT) | instid1(VALU_DEP_3)
	v_add_f32_e32 v81, v82, v77
	v_exp_f32_e32 v82, v79
	v_cndmask_b32_e64 v79, 0, v90, s17
	s_delay_alu instid0(VALU_DEP_2) | instskip(NEXT) | instid1(VALU_DEP_1)
	v_add_f32_e32 v81, v81, v78
	v_add_f32_e32 v90, v81, v79
	s_waitcnt_depctr 0xfff
	v_cndmask_b32_e64 v81, 0, v82, s18
	s_delay_alu instid0(VALU_DEP_1)
	v_add_f32_e32 v82, v90, v81
	ds_bpermute_b32 v89, v89, v82
	s_and_saveexec_b32 s4, s3
	s_cbranch_execz .LBB1736_12
; %bb.11:
	v_mul_u32_u24_e32 v67, 0x44, v66
	s_delay_alu instid0(VALU_DEP_1) | instskip(SKIP_1) | instid1(VALU_DEP_1)
	v_lshl_add_u32 v67, v65, 2, v67
	s_waitcnt lgkmcnt(0)
	v_dual_add_f32 v82, v82, v89 :: v_dual_add_nc_u32 v67, 0x4000, v67
	ds_store_2addr_b32 v67, v68, v82 offset1:136
.LBB1736_12:
	s_or_b32 exec_lo, exec_lo, s4
	v_lshlrev_b32_e32 v67, 2, v65
	s_waitcnt lgkmcnt(0)
	s_barrier
	buffer_gl0_inv
	v_cmp_eq_u32_e32 vcc_lo, 1, v66
	v_add_nc_u32_e32 v82, 0x4000, v67
	v_cmp_eq_u32_e64 s4, 2, v66
	v_cmp_eq_u32_e64 s6, 7, v66
	ds_load_2addr_b32 v[89:90], v82 offset1:17
	ds_load_2addr_b32 v[91:92], v82 offset0:34 offset1:51
	ds_load_2addr_b32 v[93:94], v82 offset0:68 offset1:85
	;; [unrolled: 1-line block ×4, first 2 shown]
	s_waitcnt lgkmcnt(4)
	v_max3_f32 v67, v89, 0xff7fffff, v90
	s_waitcnt lgkmcnt(3)
	s_delay_alu instid0(VALU_DEP_1) | instskip(SKIP_1) | instid1(VALU_DEP_1)
	v_max3_f32 v67, v67, v91, v92
	s_waitcnt lgkmcnt(2)
	v_max3_f32 v67, v67, v93, v94
	s_waitcnt lgkmcnt(1)
	s_delay_alu instid0(VALU_DEP_1) | instskip(NEXT) | instid1(VALU_DEP_1)
	v_max3_f32 v67, v67, v95, v96
	v_sub_f32_e32 v93, v93, v67
	s_delay_alu instid0(VALU_DEP_1) | instskip(NEXT) | instid1(VALU_DEP_1)
	v_dual_sub_f32 v68, v89, v67 :: v_dual_mul_f32 v103, 0x3fb8aa3b, v93
	v_mul_f32_e32 v68, 0x3fb8aa3b, v68
	s_delay_alu instid0(VALU_DEP_1)
	v_exp_f32_e32 v100, v68
	v_sub_f32_e32 v68, v92, v67
	v_sub_f32_e32 v99, v90, v67
	ds_load_2addr_b32 v[89:90], v82 offset0:170 offset1:187
	v_dual_mul_f32 v102, 0x3fb8aa3b, v68 :: v_dual_mul_f32 v99, 0x3fb8aa3b, v99
	s_waitcnt lgkmcnt(1)
	v_fma_f32 v68, v100, v97, 0
	s_delay_alu instid0(VALU_DEP_2) | instskip(NEXT) | instid1(VALU_DEP_2)
	v_exp_f32_e32 v102, v102
	v_exp_f32_e32 v99, v99
	s_waitcnt_depctr 0xfff
	v_fmac_f32_e32 v68, v99, v98
	v_sub_f32_e32 v91, v91, v67
	s_delay_alu instid0(VALU_DEP_1)
	v_mul_f32_e32 v101, 0x3fb8aa3b, v91
	ds_load_2addr_b32 v[91:92], v82 offset0:204 offset1:221
	v_sub_f32_e32 v97, v94, v67
	ds_load_2addr_b32 v[93:94], v82 offset0:238 offset1:255
	s_waitcnt lgkmcnt(0)
	v_exp_f32_e32 v101, v101
	s_barrier
	buffer_gl0_inv
	v_dual_fmac_f32 v68, v101, v89 :: v_dual_sub_f32 v89, v96, v67
	v_dual_sub_f32 v82, v95, v67 :: v_dual_mul_f32 v95, 0x3fb8aa3b, v97
	v_exp_f32_e32 v97, v103
	s_delay_alu instid0(VALU_DEP_2) | instskip(NEXT) | instid1(VALU_DEP_2)
	v_dual_fmac_f32 v68, v102, v90 :: v_dual_mul_f32 v89, 0x3fb8aa3b, v89
	v_mul_f32_e32 v82, 0x3fb8aa3b, v82
	s_delay_alu instid0(VALU_DEP_3) | instskip(NEXT) | instid1(VALU_DEP_2)
	v_exp_f32_e32 v95, v95
	v_exp_f32_e32 v89, v89
	s_delay_alu instid0(VALU_DEP_1)
	v_exp_f32_e32 v82, v82
	v_fmac_f32_e32 v68, v97, v91
	s_delay_alu instid0(TRANS32_DEP_3) | instid1(VALU_DEP_1)
	v_fmac_f32_e32 v68, v95, v92
	s_waitcnt_depctr 0xfff
	v_fmac_f32_e32 v68, v82, v93
	s_delay_alu instid0(VALU_DEP_1) | instskip(NEXT) | instid1(VALU_DEP_1)
	v_fmac_f32_e32 v68, v89, v94
	v_add_f32_e32 v90, 0x358637bd, v68
	s_delay_alu instid0(VALU_DEP_1) | instskip(NEXT) | instid1(VALU_DEP_1)
	v_div_scale_f32 v91, null, v90, v90, 1.0
	v_rcp_f32_e32 v92, v91
	s_waitcnt_depctr 0xfff
	v_fma_f32 v93, -v91, v92, 1.0
	s_delay_alu instid0(VALU_DEP_1) | instskip(SKIP_1) | instid1(VALU_DEP_2)
	v_dual_fmac_f32 v92, v93, v92 :: v_dual_cndmask_b32 v93, v100, v99
	v_cmp_eq_u32_e32 vcc_lo, 3, v66
	v_cndmask_b32_e64 v93, v93, v101, s4
	v_cmp_eq_u32_e64 s4, 4, v66
	s_delay_alu instid0(VALU_DEP_2) | instskip(SKIP_1) | instid1(VALU_DEP_2)
	v_cndmask_b32_e32 v93, v93, v102, vcc_lo
	v_cmp_eq_u32_e32 vcc_lo, 5, v66
	v_cndmask_b32_e64 v93, v93, v97, s4
	v_cmp_eq_u32_e64 s4, 6, v66
	s_delay_alu instid0(VALU_DEP_2) | instskip(SKIP_1) | instid1(VALU_DEP_1)
	v_cndmask_b32_e32 v93, v93, v95, vcc_lo
	v_div_scale_f32 v94, s5, 1.0, v90, 1.0
	s_mov_b32 vcc_lo, s5
	s_delay_alu instid0(VALU_DEP_2) | instskip(NEXT) | instid1(VALU_DEP_2)
	v_cndmask_b32_e64 v82, v93, v82, s4
	v_mul_f32_e32 v96, v94, v92
	s_mov_b32 s4, exec_lo
	s_delay_alu instid0(VALU_DEP_2) | instskip(NEXT) | instid1(VALU_DEP_2)
	v_cndmask_b32_e64 v82, v82, v89, s6
	v_fma_f32 v98, -v91, v96, v94
	s_delay_alu instid0(VALU_DEP_1) | instskip(NEXT) | instid1(VALU_DEP_1)
	v_fmac_f32_e32 v96, v98, v92
	v_fma_f32 v91, -v91, v96, v94
	s_delay_alu instid0(VALU_DEP_1) | instskip(NEXT) | instid1(VALU_DEP_1)
	v_div_fmas_f32 v91, v91, v92, v96
	v_div_fixup_f32 v90, v91, v90, 1.0
	s_delay_alu instid0(VALU_DEP_1) | instskip(NEXT) | instid1(VALU_DEP_1)
	v_mul_f32_e32 v82, v82, v90
	v_mul_f32_e32 v87, v82, v87
	;; [unrolled: 1-line block ×7, first 2 shown]
	v_dual_mul_f32 v86, v82, v83 :: v_dual_and_b32 v91, 0x7f800000, v90
	v_mul_f32_e32 v85, v82, v76
                                        ; implicit-def: $vgpr76
	s_delay_alu instid0(VALU_DEP_2)
	v_cmpx_ne_u32_e32 0x7f800000, v91
	s_xor_b32 s4, exec_lo, s4
; %bb.13:
	v_bfe_u32 v76, v90, 16, 1
	s_delay_alu instid0(VALU_DEP_1)
	v_add3_u32 v76, v90, v76, 0x7fff
                                        ; implicit-def: $vgpr90
; %bb.14:
	s_and_not1_saveexec_b32 s4, s4
; %bb.15:
	v_and_b32_e32 v76, 0xffff, v90
	v_or_b32_e32 v83, 0x10000, v90
	s_delay_alu instid0(VALU_DEP_2) | instskip(NEXT) | instid1(VALU_DEP_2)
	v_cmp_eq_u32_e32 vcc_lo, 0, v76
	v_cndmask_b32_e32 v76, v83, v90, vcc_lo
; %bb.16:
	s_or_b32 exec_lo, exec_lo, s4
	v_and_b32_e32 v83, 0x7f800000, v85
	s_delay_alu instid0(VALU_DEP_1) | instskip(SKIP_1) | instid1(SALU_CYCLE_1)
	v_cmp_ne_u32_e32 vcc_lo, 0x7f800000, v83
                                        ; implicit-def: $vgpr83
	s_and_saveexec_b32 s4, vcc_lo
	s_xor_b32 s4, exec_lo, s4
; %bb.17:
	v_bfe_u32 v83, v85, 16, 1
	s_delay_alu instid0(VALU_DEP_1)
	v_add3_u32 v83, v85, v83, 0x7fff
                                        ; implicit-def: $vgpr85
; %bb.18:
	s_and_not1_saveexec_b32 s4, s4
; %bb.19:
	v_and_b32_e32 v83, 0xffff, v85
	v_or_b32_e32 v90, 0x10000, v85
	s_delay_alu instid0(VALU_DEP_2) | instskip(NEXT) | instid1(VALU_DEP_2)
	v_cmp_eq_u32_e32 vcc_lo, 0, v83
	v_cndmask_b32_e32 v83, v90, v85, vcc_lo
; %bb.20:
	s_or_b32 exec_lo, exec_lo, s4
	v_and_b32_e32 v85, 0x7f800000, v86
	s_delay_alu instid0(VALU_DEP_1) | instskip(SKIP_1) | instid1(SALU_CYCLE_1)
	v_cmp_ne_u32_e32 vcc_lo, 0x7f800000, v85
                                        ; implicit-def: $vgpr85
	s_and_saveexec_b32 s4, vcc_lo
	s_xor_b32 s4, exec_lo, s4
; %bb.21:
	v_bfe_u32 v85, v86, 16, 1
	s_delay_alu instid0(VALU_DEP_1)
	v_add3_u32 v85, v86, v85, 0x7fff
                                        ; implicit-def: $vgpr86
; %bb.22:
	s_and_not1_saveexec_b32 s4, s4
; %bb.23:
	v_and_b32_e32 v85, 0xffff, v86
	v_or_b32_e32 v90, 0x10000, v86
	s_delay_alu instid0(VALU_DEP_2) | instskip(NEXT) | instid1(VALU_DEP_2)
	v_cmp_eq_u32_e32 vcc_lo, 0, v85
	v_cndmask_b32_e32 v85, v90, v86, vcc_lo
; %bb.24:
	s_or_b32 exec_lo, exec_lo, s4
	v_and_b32_e32 v86, 0x7f800000, v89
	s_delay_alu instid0(VALU_DEP_1) | instskip(SKIP_1) | instid1(SALU_CYCLE_1)
	v_cmp_ne_u32_e32 vcc_lo, 0x7f800000, v86
                                        ; implicit-def: $vgpr86
	s_and_saveexec_b32 s4, vcc_lo
	s_xor_b32 s4, exec_lo, s4
; %bb.25:
	v_bfe_u32 v86, v89, 16, 1
	s_delay_alu instid0(VALU_DEP_1)
	v_add3_u32 v86, v89, v86, 0x7fff
                                        ; implicit-def: $vgpr89
; %bb.26:
	s_and_not1_saveexec_b32 s4, s4
; %bb.27:
	v_and_b32_e32 v86, 0xffff, v89
	v_or_b32_e32 v90, 0x10000, v89
	s_delay_alu instid0(VALU_DEP_2) | instskip(NEXT) | instid1(VALU_DEP_2)
	v_cmp_eq_u32_e32 vcc_lo, 0, v86
	v_cndmask_b32_e32 v86, v90, v89, vcc_lo
; %bb.28:
	s_or_b32 exec_lo, exec_lo, s4
	v_and_b32_e32 v89, 0x7f800000, v88
	s_delay_alu instid0(VALU_DEP_1) | instskip(SKIP_1) | instid1(SALU_CYCLE_1)
	v_cmp_ne_u32_e32 vcc_lo, 0x7f800000, v89
                                        ; implicit-def: $vgpr89
	s_and_saveexec_b32 s4, vcc_lo
	s_xor_b32 s4, exec_lo, s4
; %bb.29:
	v_bfe_u32 v89, v88, 16, 1
	s_delay_alu instid0(VALU_DEP_1)
	v_add3_u32 v89, v88, v89, 0x7fff
                                        ; implicit-def: $vgpr88
; %bb.30:
	s_and_not1_saveexec_b32 s4, s4
; %bb.31:
	v_and_b32_e32 v89, 0xffff, v88
	v_or_b32_e32 v90, 0x10000, v88
	s_delay_alu instid0(VALU_DEP_2) | instskip(NEXT) | instid1(VALU_DEP_2)
	v_cmp_eq_u32_e32 vcc_lo, 0, v89
	v_cndmask_b32_e32 v89, v90, v88, vcc_lo
; %bb.32:
	s_or_b32 exec_lo, exec_lo, s4
	v_and_b32_e32 v88, 0x7f800000, v87
	s_delay_alu instid0(VALU_DEP_1) | instskip(SKIP_1) | instid1(SALU_CYCLE_1)
	v_cmp_ne_u32_e32 vcc_lo, 0x7f800000, v88
                                        ; implicit-def: $vgpr88
	s_and_saveexec_b32 s4, vcc_lo
	s_xor_b32 s4, exec_lo, s4
; %bb.33:
	v_bfe_u32 v88, v87, 16, 1
	s_delay_alu instid0(VALU_DEP_1)
	v_add3_u32 v88, v87, v88, 0x7fff
                                        ; implicit-def: $vgpr87
; %bb.34:
	s_and_not1_saveexec_b32 s4, s4
; %bb.35:
	v_and_b32_e32 v88, 0xffff, v87
	v_or_b32_e32 v90, 0x10000, v87
	s_delay_alu instid0(VALU_DEP_2) | instskip(NEXT) | instid1(VALU_DEP_2)
	v_cmp_eq_u32_e32 vcc_lo, 0, v88
	v_cndmask_b32_e32 v88, v90, v87, vcc_lo
; %bb.36:
	s_or_b32 exec_lo, exec_lo, s4
	v_and_b32_e32 v87, 0x7f800000, v84
	s_delay_alu instid0(VALU_DEP_1) | instskip(SKIP_1) | instid1(SALU_CYCLE_1)
	v_cmp_ne_u32_e32 vcc_lo, 0x7f800000, v87
                                        ; implicit-def: $vgpr87
	s_and_saveexec_b32 s4, vcc_lo
	s_xor_b32 s4, exec_lo, s4
; %bb.37:
	v_bfe_u32 v87, v84, 16, 1
	s_delay_alu instid0(VALU_DEP_1)
	v_add3_u32 v87, v84, v87, 0x7fff
                                        ; implicit-def: $vgpr84
; %bb.38:
	s_and_not1_saveexec_b32 s4, s4
; %bb.39:
	v_and_b32_e32 v87, 0xffff, v84
	v_or_b32_e32 v90, 0x10000, v84
	s_delay_alu instid0(VALU_DEP_2) | instskip(NEXT) | instid1(VALU_DEP_2)
	v_cmp_eq_u32_e32 vcc_lo, 0, v87
	v_cndmask_b32_e32 v87, v90, v84, vcc_lo
; %bb.40:
	s_or_b32 exec_lo, exec_lo, s4
	v_and_b32_e32 v84, 0x7f800000, v80
	s_delay_alu instid0(VALU_DEP_1) | instskip(SKIP_1) | instid1(SALU_CYCLE_1)
	v_cmp_ne_u32_e32 vcc_lo, 0x7f800000, v84
                                        ; implicit-def: $vgpr84
	s_and_saveexec_b32 s4, vcc_lo
	s_xor_b32 s4, exec_lo, s4
; %bb.41:
	v_bfe_u32 v84, v80, 16, 1
	s_delay_alu instid0(VALU_DEP_1)
	v_add3_u32 v84, v80, v84, 0x7fff
                                        ; implicit-def: $vgpr80
; %bb.42:
	s_and_not1_saveexec_b32 s4, s4
; %bb.43:
	v_and_b32_e32 v84, 0xffff, v80
	v_or_b32_e32 v90, 0x10000, v80
	s_delay_alu instid0(VALU_DEP_2) | instskip(NEXT) | instid1(VALU_DEP_2)
	v_cmp_eq_u32_e32 vcc_lo, 0, v84
	v_cndmask_b32_e32 v84, v90, v80, vcc_lo
; %bb.44:
	s_or_b32 exec_lo, exec_lo, s4
	s_load_b64 s[36:37], s[0:1], 0x94
	v_lshlrev_b32_e32 v91, 4, v74
	s_delay_alu instid0(VALU_DEP_2)
	v_perm_b32 v90, v84, v87, 0x7060302
	v_dual_mul_f32 v79, v82, v79 :: v_dual_lshlrev_b32 v80, 6, v65
	v_dual_mul_f32 v77, v82, v77 :: v_dual_lshlrev_b32 v92, 11, v66
	v_mul_f32_e32 v84, v82, v70
	v_perm_b32 v89, v88, v89, 0x7060302
	v_perm_b32 v88, v86, v85, 0x7060302
	;; [unrolled: 1-line block ×3, first 2 shown]
	v_mul_f32_e32 v70, v82, v81
	v_or3_b32 v76, v91, v92, v80
	v_dual_mul_f32 v78, v82, v78 :: v_dual_and_b32 v85, 0x7f800000, v84
	v_mul_f32_e32 v83, v82, v72
	v_mul_f32_e32 v81, v82, v71
	;; [unrolled: 1-line block ×3, first 2 shown]
	s_mov_b32 s4, exec_lo
	ds_store_b128 v76, v[87:90]
                                        ; implicit-def: $vgpr69
	v_cmpx_ne_u32_e32 0x7f800000, v85
	s_xor_b32 s4, exec_lo, s4
; %bb.45:
	v_bfe_u32 v69, v84, 16, 1
	s_delay_alu instid0(VALU_DEP_1)
	v_add3_u32 v69, v84, v69, 0x7fff
                                        ; implicit-def: $vgpr84
; %bb.46:
	s_and_not1_saveexec_b32 s4, s4
; %bb.47:
	v_and_b32_e32 v69, 0xffff, v84
	v_or_b32_e32 v71, 0x10000, v84
	s_delay_alu instid0(VALU_DEP_2) | instskip(NEXT) | instid1(VALU_DEP_2)
	v_cmp_eq_u32_e32 vcc_lo, 0, v69
	v_cndmask_b32_e32 v69, v71, v84, vcc_lo
; %bb.48:
	s_or_b32 exec_lo, exec_lo, s4
	v_and_b32_e32 v71, 0x7f800000, v72
	s_delay_alu instid0(VALU_DEP_1) | instskip(SKIP_1) | instid1(SALU_CYCLE_1)
	v_cmp_ne_u32_e32 vcc_lo, 0x7f800000, v71
                                        ; implicit-def: $vgpr71
	s_and_saveexec_b32 s4, vcc_lo
	s_xor_b32 s4, exec_lo, s4
; %bb.49:
	v_bfe_u32 v71, v72, 16, 1
	s_delay_alu instid0(VALU_DEP_1)
	v_add3_u32 v71, v72, v71, 0x7fff
                                        ; implicit-def: $vgpr72
; %bb.50:
	s_and_not1_saveexec_b32 s4, s4
; %bb.51:
	v_and_b32_e32 v71, 0xffff, v72
	v_or_b32_e32 v82, 0x10000, v72
	s_delay_alu instid0(VALU_DEP_2) | instskip(NEXT) | instid1(VALU_DEP_2)
	v_cmp_eq_u32_e32 vcc_lo, 0, v71
	v_cndmask_b32_e32 v71, v82, v72, vcc_lo
; %bb.52:
	s_or_b32 exec_lo, exec_lo, s4
	v_and_b32_e32 v72, 0x7f800000, v81
	s_delay_alu instid0(VALU_DEP_1) | instskip(SKIP_1) | instid1(SALU_CYCLE_1)
	v_cmp_ne_u32_e32 vcc_lo, 0x7f800000, v72
                                        ; implicit-def: $vgpr72
	s_and_saveexec_b32 s4, vcc_lo
	s_xor_b32 s4, exec_lo, s4
; %bb.53:
	v_bfe_u32 v72, v81, 16, 1
	s_delay_alu instid0(VALU_DEP_1)
	v_add3_u32 v72, v81, v72, 0x7fff
                                        ; implicit-def: $vgpr81
; %bb.54:
	s_and_not1_saveexec_b32 s4, s4
; %bb.55:
	v_and_b32_e32 v72, 0xffff, v81
	v_or_b32_e32 v82, 0x10000, v81
	s_delay_alu instid0(VALU_DEP_2) | instskip(NEXT) | instid1(VALU_DEP_2)
	v_cmp_eq_u32_e32 vcc_lo, 0, v72
	v_cndmask_b32_e32 v72, v82, v81, vcc_lo
; %bb.56:
	s_or_b32 exec_lo, exec_lo, s4
	v_and_b32_e32 v81, 0x7f800000, v83
	s_delay_alu instid0(VALU_DEP_1) | instskip(SKIP_1) | instid1(SALU_CYCLE_1)
	v_cmp_ne_u32_e32 vcc_lo, 0x7f800000, v81
                                        ; implicit-def: $vgpr81
	s_and_saveexec_b32 s4, vcc_lo
	s_xor_b32 s4, exec_lo, s4
; %bb.57:
	v_bfe_u32 v81, v83, 16, 1
	s_delay_alu instid0(VALU_DEP_1)
	v_add3_u32 v81, v83, v81, 0x7fff
                                        ; implicit-def: $vgpr83
; %bb.58:
	s_and_not1_saveexec_b32 s4, s4
; %bb.59:
	v_and_b32_e32 v81, 0xffff, v83
	v_or_b32_e32 v82, 0x10000, v83
	s_delay_alu instid0(VALU_DEP_2) | instskip(NEXT) | instid1(VALU_DEP_2)
	v_cmp_eq_u32_e32 vcc_lo, 0, v81
	v_cndmask_b32_e32 v81, v82, v83, vcc_lo
; %bb.60:
	s_or_b32 exec_lo, exec_lo, s4
	v_and_b32_e32 v82, 0x7f800000, v77
	s_delay_alu instid0(VALU_DEP_1) | instskip(SKIP_1) | instid1(SALU_CYCLE_1)
	v_cmp_ne_u32_e32 vcc_lo, 0x7f800000, v82
                                        ; implicit-def: $vgpr82
	s_and_saveexec_b32 s4, vcc_lo
	s_xor_b32 s4, exec_lo, s4
; %bb.61:
	v_bfe_u32 v82, v77, 16, 1
	s_delay_alu instid0(VALU_DEP_1)
	v_add3_u32 v82, v77, v82, 0x7fff
                                        ; implicit-def: $vgpr77
; %bb.62:
	s_and_not1_saveexec_b32 s4, s4
; %bb.63:
	v_and_b32_e32 v82, 0xffff, v77
	v_or_b32_e32 v83, 0x10000, v77
	s_delay_alu instid0(VALU_DEP_2) | instskip(NEXT) | instid1(VALU_DEP_2)
	v_cmp_eq_u32_e32 vcc_lo, 0, v82
	v_cndmask_b32_e32 v82, v83, v77, vcc_lo
; %bb.64:
	s_or_b32 exec_lo, exec_lo, s4
	v_and_b32_e32 v77, 0x7f800000, v78
	s_delay_alu instid0(VALU_DEP_1) | instskip(SKIP_1) | instid1(SALU_CYCLE_1)
	v_cmp_ne_u32_e32 vcc_lo, 0x7f800000, v77
                                        ; implicit-def: $vgpr77
	s_and_saveexec_b32 s4, vcc_lo
	s_xor_b32 s4, exec_lo, s4
; %bb.65:
	v_bfe_u32 v77, v78, 16, 1
	s_delay_alu instid0(VALU_DEP_1)
	v_add3_u32 v77, v78, v77, 0x7fff
                                        ; implicit-def: $vgpr78
; %bb.66:
	s_and_not1_saveexec_b32 s4, s4
; %bb.67:
	v_and_b32_e32 v77, 0xffff, v78
	v_or_b32_e32 v83, 0x10000, v78
	s_delay_alu instid0(VALU_DEP_2) | instskip(NEXT) | instid1(VALU_DEP_2)
	v_cmp_eq_u32_e32 vcc_lo, 0, v77
	v_cndmask_b32_e32 v77, v83, v78, vcc_lo
; %bb.68:
	s_or_b32 exec_lo, exec_lo, s4
	v_and_b32_e32 v78, 0x7f800000, v79
	s_delay_alu instid0(VALU_DEP_1) | instskip(SKIP_1) | instid1(SALU_CYCLE_1)
	v_cmp_ne_u32_e32 vcc_lo, 0x7f800000, v78
                                        ; implicit-def: $vgpr78
	s_and_saveexec_b32 s4, vcc_lo
	s_xor_b32 s4, exec_lo, s4
; %bb.69:
	v_bfe_u32 v78, v79, 16, 1
	s_delay_alu instid0(VALU_DEP_1)
	v_add3_u32 v78, v79, v78, 0x7fff
                                        ; implicit-def: $vgpr79
; %bb.70:
	s_and_not1_saveexec_b32 s4, s4
; %bb.71:
	v_and_b32_e32 v78, 0xffff, v79
	v_or_b32_e32 v83, 0x10000, v79
	s_delay_alu instid0(VALU_DEP_2) | instskip(NEXT) | instid1(VALU_DEP_2)
	v_cmp_eq_u32_e32 vcc_lo, 0, v78
	v_cndmask_b32_e32 v78, v83, v79, vcc_lo
; %bb.72:
	s_or_b32 exec_lo, exec_lo, s4
	v_and_b32_e32 v79, 0x7f800000, v70
	s_delay_alu instid0(VALU_DEP_1) | instskip(SKIP_1) | instid1(SALU_CYCLE_1)
	v_cmp_ne_u32_e32 vcc_lo, 0x7f800000, v79
                                        ; implicit-def: $vgpr79
	s_and_saveexec_b32 s4, vcc_lo
	s_xor_b32 s4, exec_lo, s4
; %bb.73:
	v_bfe_u32 v79, v70, 16, 1
	s_delay_alu instid0(VALU_DEP_1)
	v_add3_u32 v79, v70, v79, 0x7fff
                                        ; implicit-def: $vgpr70
; %bb.74:
	s_and_not1_saveexec_b32 s4, s4
; %bb.75:
	v_and_b32_e32 v79, 0xffff, v70
	v_or_b32_e32 v83, 0x10000, v70
	s_delay_alu instid0(VALU_DEP_2) | instskip(NEXT) | instid1(VALU_DEP_2)
	v_cmp_eq_u32_e32 vcc_lo, 0, v79
	v_cndmask_b32_e32 v79, v83, v70, vcc_lo
; %bb.76:
	s_or_b32 exec_lo, exec_lo, s4
	s_delay_alu instid0(VALU_DEP_1)
	v_perm_b32 v86, v79, v78, 0x7060302
	v_perm_b32 v85, v77, v82, 0x7060302
	;; [unrolled: 1-line block ×4, first 2 shown]
	v_lshl_or_b32 v82, v66, 11, v80
	ds_store_b128 v76, v[83:86] offset:1024
	s_waitcnt lgkmcnt(0)
	s_barrier
	buffer_gl0_inv
	ds_load_b128 v[69:72], v82
	ds_load_b128 v[83:86], v82 offset:16
	s_waitcnt lgkmcnt(1)
	v_lshrrev_b32_e32 v66, 16, v69
	s_waitcnt lgkmcnt(0)
	v_lshrrev_b32_e32 v91, 16, v83
	v_lshlrev_b32_e32 v78, 2, v74
	v_lshrrev_b32_e32 v95, 16, v70
	v_lshrrev_b32_e32 v98, 16, v84
	;; [unrolled: 1-line block ×4, first 2 shown]
	v_cmp_eq_u32_e32 vcc_lo, 1, v78
	v_lshrrev_b32_e32 v97, 16, v72
	v_lshrrev_b32_e32 v100, 16, v86
	v_cndmask_b32_e32 v87, v83, v91, vcc_lo
	v_or_b32_e32 v79, 1, v78
	v_cndmask_b32_e32 v81, v69, v66, vcc_lo
	v_cmp_eq_u32_e64 s5, 2, v78
	v_cmp_eq_u32_e64 s8, 3, v78
	;; [unrolled: 1-line block ×5, first 2 shown]
	v_cndmask_b32_e64 v81, v81, v70, s5
	v_cndmask_b32_e64 v87, v87, v84, s5
	v_cmp_eq_u32_e64 s9, 3, v79
	v_cndmask_b32_e64 v88, v69, v66, s4
	v_or_b32_e32 v77, 2, v78
	v_cndmask_b32_e64 v81, v81, v95, s8
	v_cndmask_b32_e64 v87, v87, v98, s8
	;; [unrolled: 1-line block ×4, first 2 shown]
	v_cmp_eq_u32_e64 s11, 5, v78
	v_cndmask_b32_e64 v81, v81, v71, s10
	v_cndmask_b32_e64 v87, v87, v85, s10
	v_cmp_eq_u32_e64 s12, 4, v79
	v_cndmask_b32_e64 v88, v88, v95, s9
	v_cmp_eq_u32_e64 s6, 1, v77
	v_cndmask_b32_e64 v89, v89, v84, s7
	v_cndmask_b32_e64 v81, v81, v96, s11
	v_cmp_eq_u32_e64 s13, 6, v78
	v_cndmask_b32_e64 v88, v88, v71, s12
	;; [unrolled: 3-line block ×3, first 2 shown]
	v_cndmask_b32_e64 v89, v89, v98, s9
	v_cndmask_b32_e64 v81, v81, v72, s13
	v_cmp_eq_u32_e64 s16, 7, v78
	v_cndmask_b32_e64 v88, v88, v96, s15
	v_cndmask_b32_e64 v87, v87, v86, s13
	v_cmp_eq_u32_e64 s17, 6, v79
	v_cmp_eq_u32_e64 s18, 2, v77
	v_cndmask_b32_e64 v89, v89, v85, s12
	v_cndmask_b32_e64 v101, v81, v97, s16
	;; [unrolled: 1-line block ×6, first 2 shown]
	v_cmp_eq_u32_e64 s19, 7, v79
	v_cmp_eq_u32_e64 s20, 3, v77
	;; [unrolled: 1-line block ×4, first 2 shown]
	v_cndmask_b32_e64 v87, v87, v84, s18
	v_cndmask_b32_e64 v103, v88, v97, s19
	;; [unrolled: 1-line block ×4, first 2 shown]
	v_or_b32_e32 v81, 3, v78
	v_cndmask_b32_e64 v93, v87, v98, s20
	v_cmp_eq_u32_e64 s25, 6, v77
	v_cndmask_b32_e64 v104, v88, v86, s17
	v_cndmask_b32_e64 v92, v89, v71, s21
	v_cmp_eq_u32_e64 s22, 1, v81
	ds_load_b128 v[87:90], v82 offset:1024
	v_cmp_eq_u32_e64 s24, 2, v81
	v_cmp_eq_u32_e64 s26, 3, v81
	v_cndmask_b32_e64 v105, v92, v96, s23
	v_cndmask_b32_e64 v66, v69, v66, s22
	;; [unrolled: 1-line block ×4, first 2 shown]
	ds_load_b128 v[91:94], v82 offset:1040
	v_cmp_eq_u32_e64 s27, 4, v81
	v_cndmask_b32_e64 v66, v66, v70, s24
	v_cmp_eq_u32_e64 s28, 7, v77
	v_cndmask_b32_e64 v70, v83, v84, s24
	v_cndmask_b32_e64 v84, v105, v72, s25
	v_cmp_eq_u32_e64 s29, 5, v81
	v_cndmask_b32_e64 v66, v66, v95, s26
	v_cmp_eq_u32_e64 s30, 6, v81
	v_cndmask_b32_e64 v70, v70, v98, s26
	v_cndmask_b32_e64 v69, v69, v99, s23
	;; [unrolled: 1-line block ×4, first 2 shown]
	s_waitcnt lgkmcnt(1)
	v_lshrrev_b32_e32 v95, 16, v87
	v_cndmask_b32_e64 v70, v70, v85, s27
	v_cndmask_b32_e64 v71, v84, v97, s28
	;; [unrolled: 1-line block ×4, first 2 shown]
	v_cndmask_b32_e32 v84, v87, v95, vcc_lo
	v_cndmask_b32_e64 v70, v70, v99, s29
	s_waitcnt lgkmcnt(0)
	v_lshrrev_b32_e32 v85, 16, v91
	v_lshrrev_b32_e32 v96, 16, v88
	v_cndmask_b32_e64 v98, v87, v95, s4
	v_cndmask_b32_e64 v84, v84, v88, s5
	v_cndmask_b32_e64 v70, v70, v86, s30
	v_cndmask_b32_e32 v99, v91, v85, vcc_lo
	v_cmp_eq_u32_e32 vcc_lo, 7, v81
	v_cndmask_b32_e64 v66, v66, v72, s30
	v_cndmask_b32_e64 v72, v84, v96, s8
	;; [unrolled: 1-line block ×3, first 2 shown]
	v_lshrrev_b32_e32 v98, 16, v92
	v_cndmask_b32_e32 v70, v70, v100, vcc_lo
	v_cndmask_b32_e64 v86, v99, v92, s5
	v_cndmask_b32_e64 v69, v69, v100, s28
	v_lshrrev_b32_e32 v100, 16, v93
	v_cndmask_b32_e64 v72, v72, v89, s10
	v_lshrrev_b32_e32 v99, 16, v89
	v_cndmask_b32_e64 v86, v86, v98, s8
	v_perm_b32 v71, v69, v71, 0x5040100
	v_cndmask_b32_e64 v84, v84, v96, s9
	s_delay_alu instid0(VALU_DEP_3) | instskip(NEXT) | instid1(VALU_DEP_2)
	v_cndmask_b32_e64 v86, v86, v93, s10
	v_cndmask_b32_e64 v84, v84, v89, s12
	s_delay_alu instid0(VALU_DEP_2) | instskip(NEXT) | instid1(VALU_DEP_1)
	v_cndmask_b32_e64 v86, v86, v100, s11
	v_cndmask_b32_e64 v69, v86, v94, s13
	;; [unrolled: 1-line block ×5, first 2 shown]
	s_delay_alu instid0(VALU_DEP_3) | instskip(NEXT) | instid1(VALU_DEP_3)
	v_cndmask_b32_e64 v86, v86, v88, s18
	v_cndmask_b32_e64 v87, v87, v88, s24
	s_delay_alu instid0(VALU_DEP_3) | instskip(NEXT) | instid1(VALU_DEP_3)
	v_cndmask_b32_e64 v88, v95, v92, s24
	v_cndmask_b32_e64 v86, v86, v96, s20
	;; [unrolled: 3-line block ×7, first 2 shown]
	s_delay_alu instid0(VALU_DEP_3) | instskip(SKIP_2) | instid1(VALU_DEP_2)
	v_cndmask_b32_e64 v88, v88, v94, s30
	v_cndmask_b32_e32 v66, v66, v97, vcc_lo
	v_cndmask_b32_e64 v97, v72, v99, s11
	v_perm_b32 v72, v70, v66, 0x5040100
	v_perm_b32 v70, v83, v103, 0x5040100
	v_cndmask_b32_e64 v103, v91, v85, s6
	v_cndmask_b32_e64 v85, v91, v85, s4
	;; [unrolled: 1-line block ×4, first 2 shown]
	v_lshrrev_b32_e32 v97, 16, v90
	v_cndmask_b32_e64 v91, v103, v92, s18
	v_cndmask_b32_e64 v85, v85, v92, s7
	;; [unrolled: 1-line block ×3, first 2 shown]
	s_mov_b32 s4, exec_lo
	v_cndmask_b32_e64 v83, v84, v97, s16
	v_cndmask_b32_e64 v91, v91, v98, s20
	;; [unrolled: 1-line block ×3, first 2 shown]
	v_lshrrev_b32_e32 v84, 16, v94
	v_cndmask_b32_e64 v66, v66, v97, s19
	v_cndmask_b32_e64 v90, v86, v97, s28
	;; [unrolled: 1-line block ×4, first 2 shown]
	v_dual_cndmask_b32 v86, v87, v97 :: v_dual_cndmask_b32 v87, v88, v84
	v_cndmask_b32_e64 v91, v69, v84, s16
	s_delay_alu instid0(VALU_DEP_4) | instskip(NEXT) | instid1(VALU_DEP_4)
	v_cndmask_b32_e64 v89, v89, v100, s23
	v_cndmask_b32_e64 v85, v85, v100, s15
	v_perm_b32 v69, v102, v101, 0x5040100
	v_perm_b32 v86, v87, v86, 0x5040100
	;; [unrolled: 1-line block ×3, first 2 shown]
	v_cndmask_b32_e64 v89, v89, v94, s25
	v_cndmask_b32_e64 v85, v85, v94, s17
	s_mul_i32 s9, s37, 11
	s_delay_alu instid0(VALU_DEP_2) | instskip(NEXT) | instid1(VALU_DEP_2)
	v_cndmask_b32_e64 v88, v89, v84, s28
	v_cndmask_b32_e64 v89, v85, v84, s19
	s_delay_alu instid0(VALU_DEP_2) | instskip(NEXT) | instid1(VALU_DEP_2)
	v_perm_b32 v85, v88, v90, 0x5040100
	v_perm_b32 v84, v89, v66, 0x5040100
	ds_store_b128 v76, v[69:72]
	ds_store_b128 v76, v[83:86] offset:1024
	v_cmpx_gt_u32_e32 11, v0
	s_cbranch_execz .LBB1736_78
; %bb.77:
	s_mul_i32 s5, s9, s34
	s_load_b128 s[16:19], s[0:1], 0x58
	v_add3_u32 v69, s5, s31, v65
	s_delay_alu instid0(VALU_DEP_1) | instskip(NEXT) | instid1(VALU_DEP_1)
	v_mad_u64_u32 v[65:66], null, v69, s36, s[14:15]
	v_ashrrev_i32_e32 v66, 31, v65
	s_delay_alu instid0(VALU_DEP_1) | instskip(SKIP_1) | instid1(VALU_DEP_1)
	v_lshlrev_b64 v[65:66], 2, v[65:66]
	s_waitcnt lgkmcnt(0)
	v_add_co_u32 v69, vcc_lo, s18, v65
	s_delay_alu instid0(VALU_DEP_2)
	v_add_co_ci_u32_e32 v70, vcc_lo, s19, v66, vcc_lo
	v_add_co_u32 v65, vcc_lo, s16, v65
	v_add_co_ci_u32_e32 v66, vcc_lo, s17, v66, vcc_lo
	global_store_b32 v[69:70], v67, off
	global_store_b32 v[65:66], v68, off
.LBB1736_78:
	s_or_b32 exec_lo, exec_lo, s4
	s_waitcnt lgkmcnt(0)
	s_waitcnt_vscnt null, 0x0
	s_barrier
	buffer_gl0_inv
	ds_load_b128 v[83:86], v80
	ds_load_b128 v[87:90], v80 offset:16
	ds_load_b128 v[95:98], v80 offset:2064
	ds_load_b128 v[91:94], v80 offset:2048
	v_mov_b32_e32 v65, 0
	ds_load_b128 v[103:106], v80 offset:4112
	ds_load_b128 v[99:102], v80 offset:4096
	;; [unrolled: 1-line block ×4, first 2 shown]
	v_mov_b32_e32 v66, v65
	v_mov_b32_e32 v67, v65
	;; [unrolled: 1-line block ×7, first 2 shown]
	s_waitcnt lgkmcnt(6)
	s_delay_alu instid0(VALU_DEP_1)
	v_wmma_f32_16x16x16_bf16 v[65:72], v[57:64], v[83:90], v[65:72]
	ds_load_b128 v[61:64], v80 offset:8208
	ds_load_b128 v[57:60], v80 offset:8192
	s_waitcnt lgkmcnt(6)
	v_wmma_f32_16x16x16_bf16 v[65:72], v[41:48], v[91:98], v[65:72]
	ds_load_b128 v[45:48], v80 offset:10256
	ds_load_b128 v[41:44], v80 offset:10240
	s_waitcnt lgkmcnt(6)
	;; [unrolled: 4-line block ×4, first 2 shown]
	v_wmma_f32_16x16x16_bf16 v[65:72], v[1:8], v[57:64], v[65:72]
	s_waitcnt lgkmcnt(4)
	s_delay_alu instid0(VALU_DEP_1) | instskip(SKIP_1) | instid1(VALU_DEP_1)
	v_wmma_f32_16x16x16_bf16 v[65:72], v[9:16], v[41:48], v[65:72]
	s_waitcnt lgkmcnt(2)
	v_wmma_f32_16x16x16_bf16 v[65:72], v[17:24], v[33:40], v[65:72]
	s_waitcnt lgkmcnt(0)
	s_delay_alu instid0(VALU_DEP_1) | instskip(NEXT) | instid1(VALU_DEP_1)
	v_wmma_f32_16x16x16_bf16 v[65:72], v[49:56], v[25:32], v[65:72]
	v_and_b32_e32 v1, 0x7f800000, v65
	s_delay_alu instid0(VALU_DEP_1) | instskip(SKIP_1) | instid1(SALU_CYCLE_1)
	v_cmp_ne_u32_e32 vcc_lo, 0x7f800000, v1
                                        ; implicit-def: $vgpr1
	s_and_saveexec_b32 s4, vcc_lo
	s_xor_b32 s4, exec_lo, s4
; %bb.79:
	v_bfe_u32 v1, v65, 16, 1
	s_delay_alu instid0(VALU_DEP_1)
	v_add3_u32 v1, v65, v1, 0x7fff
; %bb.80:
	s_and_not1_saveexec_b32 s4, s4
; %bb.81:
	v_and_b32_e32 v1, 0xffff, v65
	v_or_b32_e32 v2, 0x10000, v65
	s_delay_alu instid0(VALU_DEP_2) | instskip(NEXT) | instid1(VALU_DEP_2)
	v_cmp_eq_u32_e32 vcc_lo, 0, v1
	v_cndmask_b32_e32 v1, v2, v65, vcc_lo
; %bb.82:
	s_or_b32 exec_lo, exec_lo, s4
	v_and_b32_e32 v2, 0x7f800000, v66
	s_delay_alu instid0(VALU_DEP_1) | instskip(SKIP_1) | instid1(SALU_CYCLE_1)
	v_cmp_ne_u32_e32 vcc_lo, 0x7f800000, v2
                                        ; implicit-def: $vgpr2
	s_and_saveexec_b32 s4, vcc_lo
	s_xor_b32 s4, exec_lo, s4
; %bb.83:
	v_bfe_u32 v2, v66, 16, 1
	s_delay_alu instid0(VALU_DEP_1)
	v_add3_u32 v2, v66, v2, 0x7fff
; %bb.84:
	s_and_not1_saveexec_b32 s4, s4
; %bb.85:
	v_and_b32_e32 v2, 0xffff, v66
	v_or_b32_e32 v3, 0x10000, v66
	s_delay_alu instid0(VALU_DEP_2) | instskip(NEXT) | instid1(VALU_DEP_2)
	v_cmp_eq_u32_e32 vcc_lo, 0, v2
	v_cndmask_b32_e32 v2, v3, v66, vcc_lo
; %bb.86:
	s_or_b32 exec_lo, exec_lo, s4
	v_and_b32_e32 v3, 0x7f800000, v67
	s_delay_alu instid0(VALU_DEP_1) | instskip(SKIP_1) | instid1(SALU_CYCLE_1)
	v_cmp_ne_u32_e32 vcc_lo, 0x7f800000, v3
                                        ; implicit-def: $vgpr3
	s_and_saveexec_b32 s4, vcc_lo
	s_xor_b32 s4, exec_lo, s4
; %bb.87:
	v_bfe_u32 v3, v67, 16, 1
	s_delay_alu instid0(VALU_DEP_1)
	v_add3_u32 v3, v67, v3, 0x7fff
; %bb.88:
	s_and_not1_saveexec_b32 s4, s4
; %bb.89:
	v_and_b32_e32 v3, 0xffff, v67
	v_or_b32_e32 v4, 0x10000, v67
	s_delay_alu instid0(VALU_DEP_2) | instskip(NEXT) | instid1(VALU_DEP_2)
	v_cmp_eq_u32_e32 vcc_lo, 0, v3
	v_cndmask_b32_e32 v3, v4, v67, vcc_lo
; %bb.90:
	s_or_b32 exec_lo, exec_lo, s4
	v_and_b32_e32 v4, 0x7f800000, v68
	s_delay_alu instid0(VALU_DEP_1) | instskip(SKIP_1) | instid1(SALU_CYCLE_1)
	v_cmp_ne_u32_e32 vcc_lo, 0x7f800000, v4
                                        ; implicit-def: $vgpr4
	s_and_saveexec_b32 s4, vcc_lo
	s_xor_b32 s4, exec_lo, s4
; %bb.91:
	v_bfe_u32 v4, v68, 16, 1
	s_delay_alu instid0(VALU_DEP_1)
	v_add3_u32 v4, v68, v4, 0x7fff
; %bb.92:
	s_and_not1_saveexec_b32 s4, s4
; %bb.93:
	v_and_b32_e32 v4, 0xffff, v68
	v_or_b32_e32 v5, 0x10000, v68
	s_delay_alu instid0(VALU_DEP_2) | instskip(NEXT) | instid1(VALU_DEP_2)
	v_cmp_eq_u32_e32 vcc_lo, 0, v4
	v_cndmask_b32_e32 v4, v5, v68, vcc_lo
; %bb.94:
	s_or_b32 exec_lo, exec_lo, s4
	v_and_b32_e32 v5, 0x7f800000, v69
	s_delay_alu instid0(VALU_DEP_1) | instskip(SKIP_1) | instid1(SALU_CYCLE_1)
	v_cmp_ne_u32_e32 vcc_lo, 0x7f800000, v5
                                        ; implicit-def: $vgpr5
	s_and_saveexec_b32 s4, vcc_lo
	s_xor_b32 s4, exec_lo, s4
; %bb.95:
	v_bfe_u32 v5, v69, 16, 1
	s_delay_alu instid0(VALU_DEP_1)
	v_add3_u32 v5, v69, v5, 0x7fff
; %bb.96:
	s_and_not1_saveexec_b32 s4, s4
; %bb.97:
	v_and_b32_e32 v5, 0xffff, v69
	v_or_b32_e32 v6, 0x10000, v69
	s_delay_alu instid0(VALU_DEP_2) | instskip(NEXT) | instid1(VALU_DEP_2)
	v_cmp_eq_u32_e32 vcc_lo, 0, v5
	v_cndmask_b32_e32 v5, v6, v69, vcc_lo
; %bb.98:
	s_or_b32 exec_lo, exec_lo, s4
	v_and_b32_e32 v6, 0x7f800000, v70
	s_delay_alu instid0(VALU_DEP_1) | instskip(SKIP_1) | instid1(SALU_CYCLE_1)
	v_cmp_ne_u32_e32 vcc_lo, 0x7f800000, v6
                                        ; implicit-def: $vgpr6
	s_and_saveexec_b32 s4, vcc_lo
	s_xor_b32 s4, exec_lo, s4
; %bb.99:
	v_bfe_u32 v6, v70, 16, 1
	s_delay_alu instid0(VALU_DEP_1)
	v_add3_u32 v6, v70, v6, 0x7fff
; %bb.100:
	s_and_not1_saveexec_b32 s4, s4
; %bb.101:
	v_and_b32_e32 v6, 0xffff, v70
	v_or_b32_e32 v7, 0x10000, v70
	s_delay_alu instid0(VALU_DEP_2) | instskip(NEXT) | instid1(VALU_DEP_2)
	v_cmp_eq_u32_e32 vcc_lo, 0, v6
	v_cndmask_b32_e32 v6, v7, v70, vcc_lo
; %bb.102:
	s_or_b32 exec_lo, exec_lo, s4
	v_and_b32_e32 v7, 0x7f800000, v71
	s_delay_alu instid0(VALU_DEP_1) | instskip(SKIP_1) | instid1(SALU_CYCLE_1)
	v_cmp_ne_u32_e32 vcc_lo, 0x7f800000, v7
                                        ; implicit-def: $vgpr7
	s_and_saveexec_b32 s4, vcc_lo
	s_xor_b32 s4, exec_lo, s4
; %bb.103:
	v_bfe_u32 v7, v71, 16, 1
	s_delay_alu instid0(VALU_DEP_1)
	v_add3_u32 v7, v71, v7, 0x7fff
; %bb.104:
	s_and_not1_saveexec_b32 s4, s4
; %bb.105:
	v_and_b32_e32 v7, 0xffff, v71
	v_or_b32_e32 v8, 0x10000, v71
	s_delay_alu instid0(VALU_DEP_2) | instskip(NEXT) | instid1(VALU_DEP_2)
	v_cmp_eq_u32_e32 vcc_lo, 0, v7
	v_cndmask_b32_e32 v7, v8, v71, vcc_lo
; %bb.106:
	s_or_b32 exec_lo, exec_lo, s4
	v_and_b32_e32 v8, 0x7f800000, v72
	s_delay_alu instid0(VALU_DEP_1) | instskip(SKIP_1) | instid1(SALU_CYCLE_1)
	v_cmp_ne_u32_e32 vcc_lo, 0x7f800000, v8
                                        ; implicit-def: $vgpr8
	s_and_saveexec_b32 s4, vcc_lo
	s_xor_b32 s4, exec_lo, s4
; %bb.107:
	v_bfe_u32 v8, v72, 16, 1
	s_delay_alu instid0(VALU_DEP_1)
	v_add3_u32 v8, v72, v8, 0x7fff
                                        ; implicit-def: $vgpr65_vgpr66_vgpr67_vgpr68_vgpr69_vgpr70_vgpr71_vgpr72
; %bb.108:
	s_and_not1_saveexec_b32 s4, s4
; %bb.109:
	v_and_b32_e32 v8, 0xffff, v72
	v_or_b32_e32 v9, 0x10000, v72
	s_delay_alu instid0(VALU_DEP_2) | instskip(NEXT) | instid1(VALU_DEP_2)
	v_cmp_eq_u32_e32 vcc_lo, 0, v8
	v_cndmask_b32_e32 v8, v9, v72, vcc_lo
; %bb.110:
	s_or_b32 exec_lo, exec_lo, s4
	s_delay_alu instid0(VALU_DEP_1)
	v_perm_b32 v7, v8, v7, 0x7060302
	v_perm_b32 v6, v6, v5, 0x7060302
	;; [unrolled: 1-line block ×4, first 2 shown]
	s_barrier
	buffer_gl0_inv
	v_cmp_eq_u32_e32 vcc_lo, 1, v78
	ds_store_b128 v76, v[4:7]
	s_waitcnt lgkmcnt(0)
	s_barrier
	buffer_gl0_inv
	ds_load_b128 v[1:4], v82
	ds_load_b128 v[5:8], v82 offset:16
	v_cmp_eq_u32_e64 s4, 1, v79
	v_cmp_eq_u32_e64 s5, 2, v78
	;; [unrolled: 1-line block ×5, first 2 shown]
	s_waitcnt lgkmcnt(1)
	v_lshrrev_b32_e32 v9, 16, v1
	s_waitcnt lgkmcnt(0)
	v_lshrrev_b32_e32 v13, 16, v5
	v_lshrrev_b32_e32 v10, 16, v2
	;; [unrolled: 1-line block ×4, first 2 shown]
	v_cndmask_b32_e64 v19, v1, v9, s4
	v_cndmask_b32_e32 v18, v5, v13, vcc_lo
	v_cndmask_b32_e64 v20, v5, v13, s4
	v_cndmask_b32_e32 v17, v1, v9, vcc_lo
	v_cmp_eq_u32_e32 vcc_lo, 2, v79
	v_lshrrev_b32_e32 v15, 16, v7
	v_cmp_eq_u32_e64 s4, 1, v77
	v_lshrrev_b32_e32 v12, 16, v4
	v_lshrrev_b32_e32 v16, 16, v8
	v_cndmask_b32_e32 v20, v20, v6, vcc_lo
	v_cndmask_b32_e64 v17, v17, v2, s5
	v_cndmask_b32_e32 v19, v19, v2, vcc_lo
	v_cndmask_b32_e64 v18, v18, v6, s5
	v_cmp_eq_u32_e32 vcc_lo, 4, v78
	v_cmp_eq_u32_e64 s5, 3, v79
	v_cndmask_b32_e64 v17, v17, v10, s6
	v_cndmask_b32_e64 v21, v1, v9, s4
	;; [unrolled: 1-line block ×5, first 2 shown]
	v_cndmask_b32_e32 v17, v17, v3, vcc_lo
	v_cndmask_b32_e64 v20, v20, v14, s5
	v_cndmask_b32_e32 v18, v18, v7, vcc_lo
	v_cmp_eq_u32_e32 vcc_lo, 4, v79
	v_cmp_eq_u32_e64 s5, 5, v79
	v_cmp_eq_u32_e64 s4, 2, v81
	v_cndmask_b32_e64 v21, v21, v2, s8
	v_cmp_eq_u32_e64 s6, 5, v78
	v_cndmask_b32_e32 v19, v19, v3, vcc_lo
	v_cndmask_b32_e32 v20, v20, v7, vcc_lo
	v_cmp_eq_u32_e32 vcc_lo, 6, v79
	s_delay_alu instid0(VALU_DEP_4) | instskip(NEXT) | instid1(VALU_DEP_4)
	v_cndmask_b32_e64 v17, v17, v11, s6
	v_cndmask_b32_e64 v19, v19, v11, s5
	s_delay_alu instid0(VALU_DEP_4) | instskip(SKIP_1) | instid1(VALU_DEP_3)
	v_cndmask_b32_e64 v20, v20, v15, s5
	v_cmp_eq_u32_e64 s5, 1, v81
	v_cndmask_b32_e32 v19, v19, v4, vcc_lo
	v_cndmask_b32_e64 v18, v18, v15, s6
	s_delay_alu instid0(VALU_DEP_3)
	v_cndmask_b32_e64 v1, v1, v9, s5
	v_cndmask_b32_e64 v5, v5, v13, s5
	v_cmp_eq_u32_e64 s5, 3, v77
	v_cndmask_b32_e64 v13, v22, v6, s8
	v_cmp_eq_u32_e64 s8, 3, v81
	v_cndmask_b32_e64 v1, v1, v2, s4
	v_cndmask_b32_e64 v2, v5, v6, s4
	;; [unrolled: 1-line block ×3, first 2 shown]
	v_cmp_eq_u32_e64 s4, 4, v77
	v_cndmask_b32_e64 v6, v13, v14, s5
	v_cndmask_b32_e64 v1, v1, v10, s8
	v_cmp_eq_u32_e64 s5, 4, v81
	v_cndmask_b32_e64 v2, v2, v14, s8
	v_cndmask_b32_e64 v5, v9, v3, s4
	;; [unrolled: 3-line block ×3, first 2 shown]
	v_cndmask_b32_e64 v2, v2, v7, s5
	v_cmp_eq_u32_e64 s4, 5, v81
	v_cmp_eq_u32_e64 s6, 6, v78
	v_cndmask_b32_e64 v5, v5, v11, s8
	v_cmp_eq_u32_e64 s5, 6, v77
	v_cndmask_b32_e64 v3, v6, v15, s8
	v_cndmask_b32_e64 v1, v1, v11, s4
	v_cmp_eq_u32_e64 s8, 6, v81
	v_cndmask_b32_e64 v2, v2, v15, s4
	v_cndmask_b32_e64 v17, v17, v4, s6
	v_cndmask_b32_e64 v18, v18, v8, s6
	v_cmp_eq_u32_e64 s6, 7, v78
	v_cndmask_b32_e64 v5, v5, v4, s5
	;; [unrolled: 4-line block ×3, first 2 shown]
	v_cmp_eq_u32_e64 s5, 7, v77
	v_cndmask_b32_e32 v4, v20, v8, vcc_lo
	v_cndmask_b32_e64 v17, v17, v12, s6
	v_cndmask_b32_e64 v19, v19, v12, s7
	;; [unrolled: 1-line block ×8, first 2 shown]
	v_cmp_gt_u32_e32 vcc_lo, 32, v0
	v_perm_b32 v4, v2, v1, 0x5040100
	v_perm_b32 v3, v3, v5, 0x5040100
	;; [unrolled: 1-line block ×4, first 2 shown]
	s_and_b32 s2, vcc_lo, s2
	ds_store_b128 v76, v[1:4]
	s_waitcnt lgkmcnt(0)
	s_barrier
	buffer_gl0_inv
	s_and_saveexec_b32 s4, s2
	s_cbranch_execz .LBB1736_2
; %bb.111:
	s_load_b64 s[4:5], s[0:1], 0x68
	v_lshlrev_b32_e32 v0, 10, v0
	v_lshlrev_b32_e32 v1, 4, v75
	s_lshl_b32 s0, s36, 6
	v_add_nc_u32_e32 v7, s31, v74
	s_mul_i32 s1, s0, s34
	s_delay_alu instid0(SALU_CYCLE_1) | instskip(SKIP_1) | instid1(VALU_DEP_2)
	s_mul_i32 s6, s1, s9
	v_and_or_b32 v0, 0x3800, v0, v1
	v_mul_lo_u32 v1, v7, s0
	v_add_nc_u32_e32 v2, 2, v7
	s_ashr_i32 s7, s6, 31
	v_add_nc_u32_e32 v4, 4, v7
	s_lshl_b64 s[6:7], s[6:7], 1
	v_add_nc_u32_e32 v8, 6, v7
	v_mul_lo_u32 v3, v2, s0
	v_lshl_or_b32 v19, v74, 6, v0
	v_ashrrev_i32_e32 v2, 31, v1
	v_mul_lo_u32 v11, v4, s0
	v_mul_lo_u32 v25, v8, s0
	s_waitcnt lgkmcnt(0)
	s_add_u32 s1, s4, s6
	s_addc_u32 s2, s5, s7
	s_lshl_b32 s4, s14, 6
	v_lshlrev_b64 v[5:6], 1, v[1:2]
	s_ashr_i32 s5, s4, 31
	v_ashrrev_i32_e32 v4, 31, v3
	s_lshl_b64 s[4:5], s[4:5], 1
	v_ashrrev_i32_e32 v12, 31, v11
	s_add_u32 s1, s1, s4
	s_addc_u32 s2, s2, s5
	v_add_co_u32 v1, s1, s1, v73
	s_delay_alu instid0(VALU_DEP_1) | instskip(SKIP_1) | instid1(VALU_DEP_3)
	v_add_co_ci_u32_e64 v2, null, s2, 0, s1
	v_lshlrev_b64 v[3:4], 1, v[3:4]
	v_add_co_u32 v23, vcc_lo, v1, v5
	v_add_nc_u32_e32 v5, 8, v7
	s_delay_alu instid0(VALU_DEP_4) | instskip(NEXT) | instid1(VALU_DEP_4)
	v_add_co_ci_u32_e32 v24, vcc_lo, v2, v6, vcc_lo
	v_add_co_u32 v27, vcc_lo, v1, v3
	s_delay_alu instid0(VALU_DEP_3)
	v_mul_lo_u32 v29, v5, s0
	v_add_co_ci_u32_e32 v28, vcc_lo, v2, v4, vcc_lo
	ds_load_b128 v[3:6], v19
	ds_load_b128 v[7:10], v19 offset:128
	v_lshlrev_b64 v[31:32], 1, v[11:12]
	ds_load_b128 v[11:14], v19 offset:256
	ds_load_b128 v[15:18], v19 offset:384
	;; [unrolled: 1-line block ×3, first 2 shown]
	v_ashrrev_i32_e32 v26, 31, v25
	v_ashrrev_i32_e32 v30, 31, v29
	v_add_co_u32 v31, vcc_lo, v1, v31
	s_delay_alu instid0(VALU_DEP_3) | instskip(NEXT) | instid1(VALU_DEP_3)
	v_lshlrev_b64 v[25:26], 1, v[25:26]
	v_lshlrev_b64 v[29:30], 1, v[29:30]
	v_add_co_ci_u32_e32 v32, vcc_lo, v2, v32, vcc_lo
	s_delay_alu instid0(VALU_DEP_3) | instskip(NEXT) | instid1(VALU_DEP_4)
	v_add_co_u32 v25, vcc_lo, v1, v25
	v_add_co_ci_u32_e32 v26, vcc_lo, v2, v26, vcc_lo
	s_delay_alu instid0(VALU_DEP_4)
	v_add_co_u32 v29, vcc_lo, v1, v29
	v_add_co_ci_u32_e32 v30, vcc_lo, v2, v30, vcc_lo
	s_waitcnt lgkmcnt(4)
	global_store_b128 v[23:24], v[3:6], off
	s_waitcnt lgkmcnt(3)
	global_store_b128 v[27:28], v[7:10], off
	;; [unrolled: 2-line block ×5, first 2 shown]
	s_and_b32 exec_lo, exec_lo, s3
	s_cbranch_execz .LBB1736_2
; %bb.112:
	ds_load_b128 v[3:6], v0 offset:640
	s_add_i32 s1, s31, 10
	s_delay_alu instid0(SALU_CYCLE_1) | instskip(NEXT) | instid1(SALU_CYCLE_1)
	s_mul_i32 s0, s1, s0
	s_ashr_i32 s1, s0, 31
	s_delay_alu instid0(SALU_CYCLE_1) | instskip(NEXT) | instid1(SALU_CYCLE_1)
	s_lshl_b64 s[0:1], s[0:1], 1
	v_add_co_u32 v0, vcc_lo, v1, s0
	v_add_co_ci_u32_e32 v1, vcc_lo, s1, v2, vcc_lo
	s_waitcnt lgkmcnt(0)
	global_store_b128 v[0:1], v[3:6], off
	s_nop 0
	s_sendmsg sendmsg(MSG_DEALLOC_VGPRS)
	s_endpgm
	.section	.rodata,"a",@progbits
	.p2align	6, 0x0
	.amdhsa_kernel _Z39paged_attention_ll4mi_QKV_mfma16_kernelI14__hip_bfloat16hLN4vllm18Fp8KVCacheDataTypeE1EhLi32ELi64ELi256ELb1ELi11EL8MFMAType0EEvPKT_PKT0_S9_ifPKiSB_SB_iPKfiiiPfSE_PS4_PT2_iSD_SD_
		.amdhsa_group_segment_fixed_size 17472
		.amdhsa_private_segment_fixed_size 0
		.amdhsa_kernarg_size 400
		.amdhsa_user_sgpr_count 13
		.amdhsa_user_sgpr_dispatch_ptr 0
		.amdhsa_user_sgpr_queue_ptr 0
		.amdhsa_user_sgpr_kernarg_segment_ptr 1
		.amdhsa_user_sgpr_dispatch_id 0
		.amdhsa_user_sgpr_private_segment_size 0
		.amdhsa_wavefront_size32 1
		.amdhsa_uses_dynamic_stack 0
		.amdhsa_enable_private_segment 0
		.amdhsa_system_sgpr_workgroup_id_x 1
		.amdhsa_system_sgpr_workgroup_id_y 1
		.amdhsa_system_sgpr_workgroup_id_z 1
		.amdhsa_system_sgpr_workgroup_info 0
		.amdhsa_system_vgpr_workitem_id 0
		.amdhsa_next_free_vgpr 124
		.amdhsa_next_free_sgpr 42
		.amdhsa_reserve_vcc 1
		.amdhsa_float_round_mode_32 0
		.amdhsa_float_round_mode_16_64 0
		.amdhsa_float_denorm_mode_32 3
		.amdhsa_float_denorm_mode_16_64 3
		.amdhsa_dx10_clamp 1
		.amdhsa_ieee_mode 1
		.amdhsa_fp16_overflow 0
		.amdhsa_workgroup_processor_mode 1
		.amdhsa_memory_ordered 1
		.amdhsa_forward_progress 0
		.amdhsa_shared_vgpr_count 0
		.amdhsa_exception_fp_ieee_invalid_op 0
		.amdhsa_exception_fp_denorm_src 0
		.amdhsa_exception_fp_ieee_div_zero 0
		.amdhsa_exception_fp_ieee_overflow 0
		.amdhsa_exception_fp_ieee_underflow 0
		.amdhsa_exception_fp_ieee_inexact 0
		.amdhsa_exception_int_div_zero 0
	.end_amdhsa_kernel
	.section	.text._Z39paged_attention_ll4mi_QKV_mfma16_kernelI14__hip_bfloat16hLN4vllm18Fp8KVCacheDataTypeE1EhLi32ELi64ELi256ELb1ELi11EL8MFMAType0EEvPKT_PKT0_S9_ifPKiSB_SB_iPKfiiiPfSE_PS4_PT2_iSD_SD_,"axG",@progbits,_Z39paged_attention_ll4mi_QKV_mfma16_kernelI14__hip_bfloat16hLN4vllm18Fp8KVCacheDataTypeE1EhLi32ELi64ELi256ELb1ELi11EL8MFMAType0EEvPKT_PKT0_S9_ifPKiSB_SB_iPKfiiiPfSE_PS4_PT2_iSD_SD_,comdat
.Lfunc_end1736:
	.size	_Z39paged_attention_ll4mi_QKV_mfma16_kernelI14__hip_bfloat16hLN4vllm18Fp8KVCacheDataTypeE1EhLi32ELi64ELi256ELb1ELi11EL8MFMAType0EEvPKT_PKT0_S9_ifPKiSB_SB_iPKfiiiPfSE_PS4_PT2_iSD_SD_, .Lfunc_end1736-_Z39paged_attention_ll4mi_QKV_mfma16_kernelI14__hip_bfloat16hLN4vllm18Fp8KVCacheDataTypeE1EhLi32ELi64ELi256ELb1ELi11EL8MFMAType0EEvPKT_PKT0_S9_ifPKiSB_SB_iPKfiiiPfSE_PS4_PT2_iSD_SD_
                                        ; -- End function
	.section	.AMDGPU.csdata,"",@progbits
; Kernel info:
; codeLenInByte = 8920
; NumSgprs: 44
; NumVgprs: 124
; ScratchSize: 0
; MemoryBound: 0
; FloatMode: 240
; IeeeMode: 1
; LDSByteSize: 17472 bytes/workgroup (compile time only)
; SGPRBlocks: 5
; VGPRBlocks: 15
; NumSGPRsForWavesPerEU: 44
; NumVGPRsForWavesPerEU: 124
; Occupancy: 10
; WaveLimiterHint : 1
; COMPUTE_PGM_RSRC2:SCRATCH_EN: 0
; COMPUTE_PGM_RSRC2:USER_SGPR: 13
; COMPUTE_PGM_RSRC2:TRAP_HANDLER: 0
; COMPUTE_PGM_RSRC2:TGID_X_EN: 1
; COMPUTE_PGM_RSRC2:TGID_Y_EN: 1
; COMPUTE_PGM_RSRC2:TGID_Z_EN: 1
; COMPUTE_PGM_RSRC2:TIDIG_COMP_CNT: 0
	.section	.text._Z39paged_attention_ll4mi_QKV_mfma16_kernelI14__hip_bfloat16hLN4vllm18Fp8KVCacheDataTypeE1EhLi32ELi64ELi256ELb1ELi12EL8MFMAType0EEvPKT_PKT0_S9_ifPKiSB_SB_iPKfiiiPfSE_PS4_PT2_iSD_SD_,"axG",@progbits,_Z39paged_attention_ll4mi_QKV_mfma16_kernelI14__hip_bfloat16hLN4vllm18Fp8KVCacheDataTypeE1EhLi32ELi64ELi256ELb1ELi12EL8MFMAType0EEvPKT_PKT0_S9_ifPKiSB_SB_iPKfiiiPfSE_PS4_PT2_iSD_SD_,comdat
	.protected	_Z39paged_attention_ll4mi_QKV_mfma16_kernelI14__hip_bfloat16hLN4vllm18Fp8KVCacheDataTypeE1EhLi32ELi64ELi256ELb1ELi12EL8MFMAType0EEvPKT_PKT0_S9_ifPKiSB_SB_iPKfiiiPfSE_PS4_PT2_iSD_SD_ ; -- Begin function _Z39paged_attention_ll4mi_QKV_mfma16_kernelI14__hip_bfloat16hLN4vllm18Fp8KVCacheDataTypeE1EhLi32ELi64ELi256ELb1ELi12EL8MFMAType0EEvPKT_PKT0_S9_ifPKiSB_SB_iPKfiiiPfSE_PS4_PT2_iSD_SD_
	.globl	_Z39paged_attention_ll4mi_QKV_mfma16_kernelI14__hip_bfloat16hLN4vllm18Fp8KVCacheDataTypeE1EhLi32ELi64ELi256ELb1ELi12EL8MFMAType0EEvPKT_PKT0_S9_ifPKiSB_SB_iPKfiiiPfSE_PS4_PT2_iSD_SD_
	.p2align	8
	.type	_Z39paged_attention_ll4mi_QKV_mfma16_kernelI14__hip_bfloat16hLN4vllm18Fp8KVCacheDataTypeE1EhLi32ELi64ELi256ELb1ELi12EL8MFMAType0EEvPKT_PKT0_S9_ifPKiSB_SB_iPKfiiiPfSE_PS4_PT2_iSD_SD_,@function
_Z39paged_attention_ll4mi_QKV_mfma16_kernelI14__hip_bfloat16hLN4vllm18Fp8KVCacheDataTypeE1EhLi32ELi64ELi256ELb1ELi12EL8MFMAType0EEvPKT_PKT0_S9_ifPKiSB_SB_iPKfiiiPfSE_PS4_PT2_iSD_SD_: ; @_Z39paged_attention_ll4mi_QKV_mfma16_kernelI14__hip_bfloat16hLN4vllm18Fp8KVCacheDataTypeE1EhLi32ELi64ELi256ELb1ELi12EL8MFMAType0EEvPKT_PKT0_S9_ifPKiSB_SB_iPKfiiiPfSE_PS4_PT2_iSD_SD_
; %bb.0:
	s_load_b64 s[2:3], s[0:1], 0x30
	s_mov_b32 s30, s13
	s_waitcnt lgkmcnt(0)
	s_cmp_lg_u64 s[2:3], 0
	s_cselect_b32 s8, -1, 0
	s_ashr_i32 s31, s13, 31
	s_cmp_eq_u64 s[2:3], 0
	s_cbranch_scc1 .LBB1737_3
; %bb.1:
	s_lshl_b64 s[4:5], s[30:31], 2
	s_delay_alu instid0(SALU_CYCLE_1) | instskip(SKIP_4) | instid1(SALU_CYCLE_1)
	s_add_u32 s4, s2, s4
	s_addc_u32 s5, s3, s5
	s_load_b64 s[4:5], s[4:5], 0x0
	s_waitcnt lgkmcnt(0)
	s_sub_i32 s4, s5, s4
	s_cmp_eq_u32 s4, 1
	s_cselect_b32 s4, -1, 0
	s_delay_alu instid0(SALU_CYCLE_1)
	s_and_not1_b32 vcc_lo, exec_lo, s4
	s_cbranch_vccz .LBB1737_4
.LBB1737_2:
	s_endpgm
.LBB1737_3:
.LBB1737_4:
	s_load_b64 s[4:5], s[0:1], 0x28
	s_lshl_b64 s[6:7], s[30:31], 2
	s_waitcnt lgkmcnt(0)
	s_add_u32 s4, s4, s6
	s_addc_u32 s5, s5, s7
	s_lshl_b32 s12, s14, 8
	s_load_b32 s24, s[4:5], 0x0
	s_waitcnt lgkmcnt(0)
	s_cmp_ge_i32 s12, s24
	s_cbranch_scc1 .LBB1737_2
; %bb.5:
	s_clause 0x1
	s_load_b128 s[20:23], s[0:1], 0x8
	s_load_b64 s[4:5], s[0:1], 0x20
	s_and_not1_b32 vcc_lo, exec_lo, s8
	s_cbranch_vccnz .LBB1737_7
; %bb.6:
	s_add_u32 s2, s2, s6
	s_addc_u32 s3, s3, s7
	s_load_b32 s3, s[2:3], 0x0
	s_branch .LBB1737_8
.LBB1737_7:
	s_mov_b32 s3, s30
.LBB1737_8:
	s_load_b128 s[16:19], s[0:1], 0x48
	v_and_b32_e32 v65, 15, v0
	v_cmp_gt_u32_e32 vcc_lo, 0xc0, v0
	v_lshrrev_b32_e32 v66, 5, v0
	v_and_b32_e32 v67, 31, v0
	v_and_b32_e32 v75, 1, v0
	v_lshlrev_b32_e32 v1, 3, v65
	v_cmp_gt_u32_e64 s2, 8, v65
	v_bfe_u32 v74, v0, 4, 1
	s_mul_i32 s31, s15, 12
	s_delay_alu instid0(VALU_DEP_3) | instskip(NEXT) | instid1(VALU_DEP_3)
	v_lshlrev_b32_e32 v73, 1, v1
	s_and_b32 s7, vcc_lo, s2
	s_delay_alu instid0(SALU_CYCLE_1)
	s_and_saveexec_b32 s6, s7
	s_cbranch_execz .LBB1737_10
; %bb.9:
	s_load_b64 s[8:9], s[0:1], 0x0
	v_lshl_or_b32 v5, v66, 1, v74
	s_waitcnt lgkmcnt(0)
	s_mul_hi_i32 s11, s3, s16
	s_mul_i32 s10, s3, s16
	v_lshlrev_b32_e32 v6, 10, v65
	s_lshl_b64 s[10:11], s[10:11], 1
	v_add_lshl_u32 v1, v5, s31, 6
	v_lshlrev_b32_e32 v5, 6, v5
	v_lshlrev_b32_e32 v7, 10, v75
	v_and_b32_e32 v6, 0x3800, v6
	s_delay_alu instid0(VALU_DEP_4) | instskip(NEXT) | instid1(VALU_DEP_2)
	v_ashrrev_i32_e32 v2, 31, v1
	v_or3_b32 v5, v6, v7, v5
	s_delay_alu instid0(VALU_DEP_2) | instskip(SKIP_2) | instid1(VALU_DEP_1)
	v_lshlrev_b64 v[1:2], 1, v[1:2]
	s_add_u32 s3, s8, s10
	s_addc_u32 s7, s9, s11
	v_add_co_u32 v1, vcc_lo, s3, v1
	s_delay_alu instid0(VALU_DEP_2) | instskip(NEXT) | instid1(VALU_DEP_2)
	v_add_co_ci_u32_e32 v2, vcc_lo, s7, v2, vcc_lo
	v_add_co_u32 v1, vcc_lo, v1, v73
	s_delay_alu instid0(VALU_DEP_2)
	v_add_co_ci_u32_e32 v2, vcc_lo, 0, v2, vcc_lo
	global_load_b128 v[1:4], v[1:2], off
	s_waitcnt vmcnt(0)
	ds_store_b128 v5, v[1:4]
.LBB1737_10:
	s_or_b32 exec_lo, exec_lo, s6
	v_and_b32_e32 v1, 0xef, v0
	s_waitcnt lgkmcnt(0)
	s_add_i32 s3, s24, 31
	s_clause 0x1
	s_load_b32 s6, s[0:1], 0x38
	s_load_b32 s19, s[0:1], 0x1c
	s_ashr_i32 s7, s3, 31
	v_add_nc_u32_e32 v1, s12, v1
	s_lshr_b32 s7, s7, 27
	s_waitcnt lgkmcnt(0)
	s_add_i32 s3, s3, s7
	s_barrier
	v_ashrrev_i32_e32 v2, 31, v1
	v_or_b32_e32 v3, 16, v1
	s_ashr_i32 s3, s3, 5
	v_cmp_gt_i32_e32 vcc_lo, s24, v1
	s_add_i32 s3, s3, -1
	v_lshrrev_b32_e32 v2, 27, v2
	buffer_gl0_inv
	s_mul_i32 s27, s15, s18
	v_add_nc_u32_e32 v4, v1, v2
	s_mul_i32 s6, s30, s6
	s_delay_alu instid0(SALU_CYCLE_1) | instskip(NEXT) | instid1(VALU_DEP_1)
	s_ashr_i32 s7, s6, 31
	v_ashrrev_i32_e32 v4, 5, v4
	v_add_nc_u32_e32 v2, v3, v2
	s_lshl_b64 s[6:7], s[6:7], 2
	s_delay_alu instid0(SALU_CYCLE_1) | instskip(NEXT) | instid1(VALU_DEP_2)
	s_add_u32 s26, s4, s6
	v_cndmask_b32_e32 v1, s3, v4, vcc_lo
	s_delay_alu instid0(VALU_DEP_2)
	v_ashrrev_i32_e32 v2, 5, v2
	v_cmp_gt_i32_e32 vcc_lo, s24, v3
	s_addc_u32 s25, s5, s7
	s_ashr_i32 s28, s27, 31
	s_add_u32 s4, s20, s27
	s_addc_u32 s5, s21, s28
	v_cndmask_b32_e32 v3, s3, v2, vcc_lo
	v_ashrrev_i32_e32 v2, 31, v1
	s_lshl_b32 s6, s14, 3
	s_delay_alu instid0(SALU_CYCLE_1) | instskip(NEXT) | instid1(VALU_DEP_2)
	s_ashr_i32 s7, s6, 31
	v_ashrrev_i32_e32 v4, 31, v3
	s_delay_alu instid0(VALU_DEP_2) | instskip(SKIP_1) | instid1(SALU_CYCLE_1)
	v_lshlrev_b64 v[1:2], 2, v[1:2]
	s_lshl_b64 s[6:7], s[6:7], 2
	s_add_u32 s6, s26, s6
	s_delay_alu instid0(VALU_DEP_2) | instskip(SKIP_1) | instid1(VALU_DEP_2)
	v_lshlrev_b64 v[3:4], 2, v[3:4]
	s_addc_u32 s7, s25, s7
	v_add_co_u32 v1, vcc_lo, s26, v1
	v_add_co_ci_u32_e32 v2, vcc_lo, s25, v2, vcc_lo
	s_delay_alu instid0(VALU_DEP_3) | instskip(NEXT) | instid1(VALU_DEP_4)
	v_add_co_u32 v3, vcc_lo, s26, v3
	v_add_co_ci_u32_e32 v4, vcc_lo, s25, v4, vcc_lo
	s_clause 0x1
	global_load_b32 v5, v[1:2], off
	global_load_b32 v6, v[3:4], off
	s_or_b32 s8, s12, 32
	s_delay_alu instid0(SALU_CYCLE_1) | instskip(SKIP_2) | instid1(SALU_CYCLE_1)
	s_ashr_i32 s9, s8, 5
	s_cmp_lt_i32 s8, s24
	s_cselect_b32 s8, s9, s3
	s_ashr_i32 s9, s8, 31
	s_delay_alu instid0(SALU_CYCLE_1) | instskip(NEXT) | instid1(SALU_CYCLE_1)
	s_lshl_b64 s[8:9], s[8:9], 2
	s_add_u32 s8, s26, s8
	s_addc_u32 s9, s25, s9
	s_or_b32 s10, s12, 64
	s_delay_alu instid0(SALU_CYCLE_1) | instskip(SKIP_2) | instid1(SALU_CYCLE_1)
	s_ashr_i32 s11, s10, 5
	s_cmp_lt_i32 s10, s24
	s_cselect_b32 s10, s11, s3
	s_ashr_i32 s11, s10, 31
	s_delay_alu instid0(SALU_CYCLE_1) | instskip(NEXT) | instid1(SALU_CYCLE_1)
	s_lshl_b64 s[10:11], s[10:11], 2
	s_add_u32 s10, s26, s10
	s_addc_u32 s11, s25, s11
	;; [unrolled: 10-line block ×5, first 2 shown]
	s_clause 0x5
	s_load_b32 s21, s[6:7], 0x0
	s_load_b32 s13, s[8:9], 0x0
	;; [unrolled: 1-line block ×6, first 2 shown]
	s_or_b32 s8, s12, 0xc0
	s_delay_alu instid0(SALU_CYCLE_1) | instskip(SKIP_2) | instid1(SALU_CYCLE_1)
	s_ashr_i32 s9, s8, 5
	s_cmp_lt_i32 s8, s24
	s_cselect_b32 s34, s9, s3
	s_ashr_i32 s35, s34, 31
	s_delay_alu instid0(SALU_CYCLE_1) | instskip(NEXT) | instid1(SALU_CYCLE_1)
	s_lshl_b64 s[34:35], s[34:35], 2
	s_add_u32 s34, s26, s34
	s_addc_u32 s35, s25, s35
	s_or_b32 s29, s12, 0xe0
	s_delay_alu instid0(SALU_CYCLE_1)
	s_ashr_i32 s33, s29, 5
	s_cmp_lt_i32 s29, s24
	s_waitcnt vmcnt(1)
	v_mad_i64_i32 v[1:2], null, v5, s17, s[4:5]
	s_waitcnt vmcnt(0)
	v_mad_i64_i32 v[3:4], null, v6, s17, s[4:5]
	s_mov_b32 s4, 0
	s_delay_alu instid0(SALU_CYCLE_1)
	s_mov_b32 s5, s4
	s_mov_b32 s6, s4
	;; [unrolled: 1-line block ×7, first 2 shown]
	v_lshlrev_b32_e32 v5, 4, v65
	v_dual_mov_b32 v107, s11 :: v_dual_mov_b32 v102, s6
	v_mov_b32_e32 v100, s4
	v_mov_b32_e32 v106, s10
	s_delay_alu instid0(VALU_DEP_4)
	v_add_co_u32 v1, vcc_lo, v1, v5
	v_add_co_ci_u32_e32 v2, vcc_lo, 0, v2, vcc_lo
	v_add_co_u32 v3, vcc_lo, v3, v5
	v_add_co_ci_u32_e32 v4, vcc_lo, 0, v4, vcc_lo
	s_clause 0x7
	global_load_b128 v[49:52], v[1:2], off
	global_load_b128 v[53:56], v[1:2], off offset:512
	global_load_b128 v[76:79], v[3:4], off offset:256
	;; [unrolled: 1-line block ×7, first 2 shown]
	v_add_nc_u32_e32 v1, -12, v65
	v_cmp_gt_u32_e32 vcc_lo, 12, v65
	v_dual_mov_b32 v104, s8 :: v_dual_mov_b32 v103, s7
	v_dual_mov_b32 v101, s5 :: v_dual_lshlrev_b32 v2, 5, v65
	s_delay_alu instid0(VALU_DEP_4)
	v_cndmask_b32_e32 v1, v1, v65, vcc_lo
	v_mov_b32_e32 v105, s9
	s_cselect_b32 s4, s33, s3
	s_load_b32 s3, s[34:35], 0x0
	s_ashr_i32 s5, s4, 31
	v_lshlrev_b32_e32 v70, 6, v1
	s_lshl_b64 s[4:5], s[4:5], 2
	v_lshl_or_b32 v2, v66, 9, v2
	s_add_u32 s4, s26, s4
	s_addc_u32 s5, s25, s5
	ds_load_b128 v[108:111], v70
	ds_load_b128 v[112:115], v70 offset:1024
	s_load_b32 s4, s[4:5], 0x0
	s_add_u32 s6, s22, s27
	s_addc_u32 s7, s23, s28
	v_add_co_u32 v9, s6, s6, v2
	s_delay_alu instid0(VALU_DEP_1) | instskip(SKIP_1) | instid1(VALU_DEP_1)
	v_add_co_ci_u32_e64 v10, null, s7, 0, s6
	s_waitcnt lgkmcnt(0)
	v_mad_i64_i32 v[1:2], null, s21, s17, v[9:10]
	v_mad_i64_i32 v[3:4], null, s13, s17, v[9:10]
	;; [unrolled: 1-line block ×7, first 2 shown]
	s_clause 0x9
	global_load_b128 v[57:60], v[1:2], off
	global_load_b128 v[61:64], v[1:2], off offset:16
	global_load_b128 v[41:44], v[3:4], off
	global_load_b128 v[45:48], v[3:4], off offset:16
	;; [unrolled: 2-line block ×5, first 2 shown]
	v_mad_i64_i32 v[68:69], null, s4, s17, v[9:10]
	s_clause 0x3
	global_load_b128 v[9:12], v[13:14], off
	global_load_b128 v[13:16], v[13:14], off offset:16
	global_load_b128 v[17:20], v[21:22], off
	global_load_b128 v[21:24], v[21:22], off offset:16
	s_waitcnt vmcnt(20)
	v_wmma_f32_16x16x16_bf16 v[116:123], v[49:56], v[108:115], v[100:107]
	s_clause 0x1
	global_load_b128 v[49:52], v[68:69], off
	global_load_b128 v[53:56], v[68:69], off offset:16
	v_and_b32_e32 v68, 0xe0, v0
	v_mbcnt_lo_u32_b32 v69, -1, 0
	s_delay_alu instid0(VALU_DEP_2)
	v_add_nc_u32_e32 v68, s12, v68
	s_waitcnt vmcnt(20)
	v_wmma_f32_16x16x16_bf16 v[100:107], v[76:83], v[108:115], v[100:107]
	ds_load_b128 v[76:79], v70 offset:2048
	ds_load_b128 v[80:83], v70 offset:3072
	v_xor_b32_e32 v70, 16, v69
	s_waitcnt vmcnt(0) lgkmcnt(0)
	v_or_b32_e32 v68, v68, v74
	s_barrier
	buffer_gl0_inv
	v_cmp_gt_i32_e32 vcc_lo, 32, v70
	v_or_b32_e32 v71, 4, v68
	v_or_b32_e32 v72, 6, v68
	v_cmp_gt_i32_e64 s3, s24, v68
	v_or_b32_e32 v108, 8, v68
	v_or_b32_e32 v109, 10, v68
	v_cmp_gt_i32_e64 s4, s24, v71
	v_cmp_gt_i32_e64 s5, s24, v72
	s_delay_alu instid0(VALU_DEP_4) | instskip(NEXT) | instid1(VALU_DEP_4)
	v_cmp_gt_i32_e64 s6, s24, v108
	v_cmp_gt_i32_e64 s7, s24, v109
	v_wmma_f32_16x16x16_bf16 v[116:123], v[84:91], v[76:83], v[116:123]
	v_cndmask_b32_e32 v69, v69, v70, vcc_lo
	v_or_b32_e32 v70, 2, v68
	v_wmma_f32_16x16x16_bf16 v[100:107], v[92:99], v[76:83], v[100:107]
	v_or_b32_e32 v89, 22, v68
	v_dual_mul_f32 v80, s19, v121 :: v_dual_mul_f32 v81, s19, v120
	v_dual_mul_f32 v92, s19, v117 :: v_dual_mul_f32 v93, s19, v116
	s_delay_alu instid0(VALU_DEP_4)
	v_mul_f32_e32 v96, s19, v105
	v_cmp_gt_i32_e32 vcc_lo, s24, v70
	v_dual_mul_f32 v79, s19, v122 :: v_dual_mul_f32 v82, s19, v119
	v_dual_mul_f32 v83, s19, v118 :: v_dual_mul_f32 v94, s19, v107
	v_cndmask_b32_e64 v93, 0xff7fffff, v93, s3
	v_cndmask_b32_e32 v92, 0xff7fffff, v92, vcc_lo
	v_or_b32_e32 v84, 12, v68
	v_or_b32_e32 v85, 14, v68
	v_cndmask_b32_e64 v71, 0xff7fffff, v83, s4
	v_cndmask_b32_e64 v72, 0xff7fffff, v82, s5
	v_cmp_gt_i32_e64 s13, s24, v89
	v_lshlrev_b32_e32 v89, 2, v69
	v_max3_f32 v82, v93, 0xff7fffff, v92
	v_or_b32_e32 v86, 16, v68
	v_or_b32_e32 v87, 18, v68
	v_mul_f32_e32 v78, s19, v123
	v_cndmask_b32_e64 v81, 0xff7fffff, v81, s6
	v_cndmask_b32_e64 v80, 0xff7fffff, v80, s7
	v_max3_f32 v71, v82, v71, v72
	v_cmp_gt_i32_e64 s8, s24, v84
	v_cmp_gt_i32_e64 s9, s24, v85
	v_or_b32_e32 v88, 20, v68
	v_or_b32_e32 v90, 24, v68
	;; [unrolled: 1-line block ×5, first 2 shown]
	v_dual_mul_f32 v97, s19, v104 :: v_dual_mul_f32 v70, s19, v101
	v_dual_mul_f32 v99, s19, v102 :: v_dual_mul_f32 v68, s19, v100
	v_cndmask_b32_e64 v72, 0xff7fffff, v79, s8
	v_cndmask_b32_e64 v78, 0xff7fffff, v78, s9
	v_max3_f32 v71, v71, v81, v80
	v_cmp_gt_i32_e64 s10, s24, v86
	v_cmp_gt_i32_e64 s11, s24, v87
	v_dual_mul_f32 v95, s19, v106 :: v_dual_mul_f32 v98, s19, v103
	s_delay_alu instid0(VALU_DEP_4) | instskip(NEXT) | instid1(VALU_DEP_4)
	v_max3_f32 v71, v71, v72, v78
	v_cndmask_b32_e64 v68, 0xff7fffff, v68, s10
	s_delay_alu instid0(VALU_DEP_4)
	v_cndmask_b32_e64 v70, 0xff7fffff, v70, s11
	v_cmp_gt_i32_e64 s12, s24, v88
	v_cndmask_b32_e64 v78, 0xff7fffff, v98, s13
	v_cmp_gt_i32_e64 s15, s24, v90
	v_cmp_gt_i32_e64 s16, s24, v91
	v_max3_f32 v68, v71, v68, v70
	v_cndmask_b32_e64 v72, 0xff7fffff, v99, s12
	v_cmp_gt_i32_e64 s17, s24, v76
	v_cndmask_b32_e64 v70, 0xff7fffff, v97, s15
	v_cndmask_b32_e64 v71, 0xff7fffff, v96, s16
	v_cmp_gt_i32_e64 s18, s24, v77
	v_max3_f32 v68, v68, v72, v78
	v_cndmask_b32_e64 v72, 0xff7fffff, v95, s17
	s_delay_alu instid0(VALU_DEP_3) | instskip(NEXT) | instid1(VALU_DEP_3)
	v_cndmask_b32_e64 v76, 0xff7fffff, v94, s18
	v_max3_f32 v68, v68, v70, v71
	s_delay_alu instid0(VALU_DEP_1) | instskip(SKIP_3) | instid1(VALU_DEP_1)
	v_max3_f32 v68, v68, v72, v76
	ds_bpermute_b32 v69, v89, v68
	s_waitcnt lgkmcnt(0)
	v_max_f32_e32 v69, v69, v69
	v_max_f32_e32 v68, v68, v69
	s_delay_alu instid0(VALU_DEP_1) | instskip(NEXT) | instid1(VALU_DEP_1)
	v_fma_f32 v71, s19, v118, -v68
	v_mul_f32_e32 v71, 0x3fb8aa3b, v71
	v_fma_f32 v70, s19, v117, -v68
	v_fma_f32 v69, s19, v116, -v68
	;; [unrolled: 1-line block ×5, first 2 shown]
	s_delay_alu instid0(VALU_DEP_4) | instskip(SKIP_1) | instid1(VALU_DEP_3)
	v_dual_mul_f32 v70, 0x3fb8aa3b, v70 :: v_dual_mul_f32 v69, 0x3fb8aa3b, v69
	v_exp_f32_e32 v71, v71
	v_mul_f32_e32 v72, 0x3fb8aa3b, v72
	v_fma_f32 v81, s19, v105, -v68
	s_delay_alu instid0(VALU_DEP_3)
	v_exp_f32_e32 v70, v70
	v_mul_f32_e32 v77, 0x3fb8aa3b, v76
	v_exp_f32_e32 v69, v69
	v_exp_f32_e32 v72, v72
	v_mul_f32_e32 v81, 0x3fb8aa3b, v81
	v_cndmask_b32_e64 v83, 0, v71, s4
	v_fma_f32 v71, s19, v123, -v68
	s_delay_alu instid0(VALU_DEP_3) | instskip(SKIP_4) | instid1(TRANS32_DEP_3)
	v_exp_f32_e32 v81, v81
	v_cndmask_b32_e32 v76, 0, v70, vcc_lo
	v_exp_f32_e32 v77, v77
	v_cndmask_b32_e64 v80, 0, v69, s3
	v_fma_f32 v69, s19, v121, -v68
	v_cndmask_b32_e64 v85, 0, v72, s5
	v_mul_f32_e32 v71, 0x3fb8aa3b, v71
	v_fma_f32 v72, s19, v100, -v68
	s_delay_alu instid0(VALU_DEP_4) | instskip(SKIP_1) | instid1(VALU_DEP_3)
	v_dual_add_f32 v70, 0, v80 :: v_dual_mul_f32 v69, 0x3fb8aa3b, v69
	s_mov_b32 s3, exec_lo
	v_exp_f32_e32 v71, v71
	s_delay_alu instid0(TRANS32_DEP_2) | instskip(SKIP_4) | instid1(VALU_DEP_3)
	v_cndmask_b32_e64 v86, 0, v77, s6
	v_fma_f32 v77, s19, v101, -v68
	v_mul_f32_e32 v78, 0x3fb8aa3b, v78
	v_add_f32_e32 v70, v70, v76
	v_exp_f32_e32 v69, v69
	v_mul_f32_e32 v77, 0x3fb8aa3b, v77
	s_delay_alu instid0(VALU_DEP_3) | instskip(NEXT) | instid1(TRANS32_DEP_3)
	v_exp_f32_e32 v78, v78
	v_cndmask_b32_e64 v88, 0, v71, s9
	v_fma_f32 v71, s19, v104, -v68
	s_delay_alu instid0(VALU_DEP_3) | instskip(NEXT) | instid1(TRANS32_DEP_3)
	v_exp_f32_e32 v77, v77
	v_cndmask_b32_e64 v87, 0, v69, s7
	s_delay_alu instid0(VALU_DEP_2)
	v_mul_f32_e32 v71, 0x3fb8aa3b, v71
	s_waitcnt_depctr 0xfff
	v_cndmask_b32_e64 v84, 0, v78, s8
	v_add_f32_e32 v70, v70, v83
	v_fma_f32 v78, s19, v103, -v68
	v_exp_f32_e32 v82, v71
	s_delay_alu instid0(VALU_DEP_2) | instskip(SKIP_1) | instid1(VALU_DEP_3)
	v_add_f32_e32 v70, v70, v85
	v_mul_f32_e32 v72, 0x3fb8aa3b, v72
	v_mul_f32_e32 v78, 0x3fb8aa3b, v78
	s_delay_alu instid0(VALU_DEP_3) | instskip(SKIP_1) | instid1(VALU_DEP_4)
	v_add_f32_e32 v69, v70, v86
	v_fma_f32 v70, s19, v102, -v68
	v_exp_f32_e32 v72, v72
	s_delay_alu instid0(VALU_DEP_3) | instskip(NEXT) | instid1(VALU_DEP_1)
	v_exp_f32_e32 v78, v78
	v_dual_add_f32 v69, v69, v87 :: v_dual_mul_f32 v70, 0x3fb8aa3b, v70
	s_delay_alu instid0(VALU_DEP_1) | instskip(NEXT) | instid1(VALU_DEP_2)
	v_add_f32_e32 v69, v69, v84
	v_exp_f32_e32 v79, v70
	s_delay_alu instid0(TRANS32_DEP_3) | instskip(NEXT) | instid1(VALU_DEP_2)
	v_cndmask_b32_e64 v70, 0, v72, s10
	v_add_f32_e32 v72, v69, v88
	v_cndmask_b32_e64 v69, 0, v77, s11
	v_fma_f32 v77, s19, v106, -v68
	s_waitcnt_depctr 0xfff
	v_cndmask_b32_e64 v71, 0, v79, s12
	v_dual_mul_f32 v77, 0x3fb8aa3b, v77 :: v_dual_add_f32 v72, v72, v70
	s_delay_alu instid0(VALU_DEP_1) | instskip(NEXT) | instid1(VALU_DEP_1)
	v_exp_f32_e32 v90, v77
	v_add_f32_e32 v79, v72, v69
	v_cndmask_b32_e64 v72, 0, v78, s13
	v_cndmask_b32_e64 v77, 0, v82, s15
	s_delay_alu instid0(VALU_DEP_3) | instskip(SKIP_1) | instid1(VALU_DEP_1)
	v_add_f32_e32 v78, v79, v71
	v_fma_f32 v79, s19, v107, -v68
	v_dual_add_f32 v82, v78, v72 :: v_dual_mul_f32 v79, 0x3fb8aa3b, v79
	v_cndmask_b32_e64 v78, 0, v81, s16
	s_delay_alu instid0(VALU_DEP_2) | instskip(NEXT) | instid1(VALU_DEP_3)
	v_add_f32_e32 v81, v82, v77
	v_exp_f32_e32 v82, v79
	v_cndmask_b32_e64 v79, 0, v90, s17
	s_delay_alu instid0(VALU_DEP_2) | instskip(NEXT) | instid1(VALU_DEP_1)
	v_add_f32_e32 v81, v81, v78
	v_add_f32_e32 v90, v81, v79
	s_waitcnt_depctr 0xfff
	v_cndmask_b32_e64 v81, 0, v82, s18
	s_delay_alu instid0(VALU_DEP_1)
	v_add_f32_e32 v82, v90, v81
	ds_bpermute_b32 v89, v89, v82
	v_cmpx_gt_u32_e32 16, v67
	s_cbranch_execz .LBB1737_12
; %bb.11:
	v_mul_u32_u24_e32 v67, 0x44, v66
	s_delay_alu instid0(VALU_DEP_1) | instskip(SKIP_1) | instid1(VALU_DEP_1)
	v_lshl_add_u32 v67, v65, 2, v67
	s_waitcnt lgkmcnt(0)
	v_dual_add_f32 v82, v82, v89 :: v_dual_add_nc_u32 v67, 0x4000, v67
	ds_store_2addr_b32 v67, v68, v82 offset1:136
.LBB1737_12:
	s_or_b32 exec_lo, exec_lo, s3
	v_lshlrev_b32_e32 v67, 2, v65
	s_waitcnt lgkmcnt(0)
	s_barrier
	buffer_gl0_inv
	v_cmp_eq_u32_e32 vcc_lo, 1, v66
	v_add_nc_u32_e32 v82, 0x4000, v67
	v_cmp_eq_u32_e64 s3, 2, v66
	v_cmp_eq_u32_e64 s5, 7, v66
	ds_load_2addr_b32 v[89:90], v82 offset1:17
	ds_load_2addr_b32 v[91:92], v82 offset0:34 offset1:51
	ds_load_2addr_b32 v[93:94], v82 offset0:68 offset1:85
	;; [unrolled: 1-line block ×4, first 2 shown]
	s_waitcnt lgkmcnt(4)
	v_max3_f32 v67, v89, 0xff7fffff, v90
	s_waitcnt lgkmcnt(3)
	s_delay_alu instid0(VALU_DEP_1) | instskip(SKIP_1) | instid1(VALU_DEP_1)
	v_max3_f32 v67, v67, v91, v92
	s_waitcnt lgkmcnt(2)
	v_max3_f32 v67, v67, v93, v94
	s_waitcnt lgkmcnt(1)
	s_delay_alu instid0(VALU_DEP_1) | instskip(NEXT) | instid1(VALU_DEP_1)
	v_max3_f32 v67, v67, v95, v96
	v_sub_f32_e32 v93, v93, v67
	s_delay_alu instid0(VALU_DEP_1) | instskip(NEXT) | instid1(VALU_DEP_1)
	v_dual_sub_f32 v68, v89, v67 :: v_dual_mul_f32 v103, 0x3fb8aa3b, v93
	v_mul_f32_e32 v68, 0x3fb8aa3b, v68
	s_delay_alu instid0(VALU_DEP_1)
	v_exp_f32_e32 v100, v68
	v_sub_f32_e32 v68, v92, v67
	v_sub_f32_e32 v99, v90, v67
	ds_load_2addr_b32 v[89:90], v82 offset0:170 offset1:187
	v_dual_mul_f32 v102, 0x3fb8aa3b, v68 :: v_dual_mul_f32 v99, 0x3fb8aa3b, v99
	s_waitcnt lgkmcnt(1)
	v_fma_f32 v68, v100, v97, 0
	s_delay_alu instid0(VALU_DEP_2) | instskip(NEXT) | instid1(VALU_DEP_2)
	v_exp_f32_e32 v102, v102
	v_exp_f32_e32 v99, v99
	s_waitcnt_depctr 0xfff
	v_fmac_f32_e32 v68, v99, v98
	v_sub_f32_e32 v91, v91, v67
	s_delay_alu instid0(VALU_DEP_1)
	v_mul_f32_e32 v101, 0x3fb8aa3b, v91
	ds_load_2addr_b32 v[91:92], v82 offset0:204 offset1:221
	v_sub_f32_e32 v97, v94, v67
	ds_load_2addr_b32 v[93:94], v82 offset0:238 offset1:255
	s_waitcnt lgkmcnt(0)
	v_exp_f32_e32 v101, v101
	s_barrier
	buffer_gl0_inv
	v_dual_fmac_f32 v68, v101, v89 :: v_dual_sub_f32 v89, v96, v67
	v_dual_sub_f32 v82, v95, v67 :: v_dual_mul_f32 v95, 0x3fb8aa3b, v97
	v_exp_f32_e32 v97, v103
	s_delay_alu instid0(VALU_DEP_2) | instskip(NEXT) | instid1(VALU_DEP_2)
	v_dual_fmac_f32 v68, v102, v90 :: v_dual_mul_f32 v89, 0x3fb8aa3b, v89
	v_mul_f32_e32 v82, 0x3fb8aa3b, v82
	s_delay_alu instid0(VALU_DEP_3) | instskip(NEXT) | instid1(VALU_DEP_2)
	v_exp_f32_e32 v95, v95
	v_exp_f32_e32 v89, v89
	s_delay_alu instid0(VALU_DEP_1)
	v_exp_f32_e32 v82, v82
	v_fmac_f32_e32 v68, v97, v91
	s_delay_alu instid0(TRANS32_DEP_3) | instid1(VALU_DEP_1)
	v_fmac_f32_e32 v68, v95, v92
	s_waitcnt_depctr 0xfff
	v_fmac_f32_e32 v68, v82, v93
	s_delay_alu instid0(VALU_DEP_1) | instskip(NEXT) | instid1(VALU_DEP_1)
	v_fmac_f32_e32 v68, v89, v94
	v_add_f32_e32 v90, 0x358637bd, v68
	s_delay_alu instid0(VALU_DEP_1) | instskip(NEXT) | instid1(VALU_DEP_1)
	v_div_scale_f32 v91, null, v90, v90, 1.0
	v_rcp_f32_e32 v92, v91
	s_waitcnt_depctr 0xfff
	v_fma_f32 v93, -v91, v92, 1.0
	s_delay_alu instid0(VALU_DEP_1) | instskip(SKIP_1) | instid1(VALU_DEP_2)
	v_dual_fmac_f32 v92, v93, v92 :: v_dual_cndmask_b32 v93, v100, v99
	v_cmp_eq_u32_e32 vcc_lo, 3, v66
	v_cndmask_b32_e64 v93, v93, v101, s3
	v_cmp_eq_u32_e64 s3, 4, v66
	s_delay_alu instid0(VALU_DEP_2) | instskip(SKIP_1) | instid1(VALU_DEP_2)
	v_cndmask_b32_e32 v93, v93, v102, vcc_lo
	v_cmp_eq_u32_e32 vcc_lo, 5, v66
	v_cndmask_b32_e64 v93, v93, v97, s3
	v_cmp_eq_u32_e64 s3, 6, v66
	s_delay_alu instid0(VALU_DEP_2) | instskip(SKIP_1) | instid1(VALU_DEP_1)
	v_cndmask_b32_e32 v93, v93, v95, vcc_lo
	v_div_scale_f32 v94, s4, 1.0, v90, 1.0
	s_mov_b32 vcc_lo, s4
	s_delay_alu instid0(VALU_DEP_2) | instskip(NEXT) | instid1(VALU_DEP_2)
	v_cndmask_b32_e64 v82, v93, v82, s3
	v_mul_f32_e32 v96, v94, v92
	s_mov_b32 s3, exec_lo
	s_delay_alu instid0(VALU_DEP_2) | instskip(NEXT) | instid1(VALU_DEP_2)
	v_cndmask_b32_e64 v82, v82, v89, s5
	v_fma_f32 v98, -v91, v96, v94
	s_delay_alu instid0(VALU_DEP_1) | instskip(NEXT) | instid1(VALU_DEP_1)
	v_fmac_f32_e32 v96, v98, v92
	v_fma_f32 v91, -v91, v96, v94
	s_delay_alu instid0(VALU_DEP_1) | instskip(NEXT) | instid1(VALU_DEP_1)
	v_div_fmas_f32 v91, v91, v92, v96
	v_div_fixup_f32 v90, v91, v90, 1.0
	s_delay_alu instid0(VALU_DEP_1) | instskip(NEXT) | instid1(VALU_DEP_1)
	v_mul_f32_e32 v82, v82, v90
	v_mul_f32_e32 v87, v82, v87
	;; [unrolled: 1-line block ×7, first 2 shown]
	v_dual_mul_f32 v86, v82, v83 :: v_dual_and_b32 v91, 0x7f800000, v90
	v_mul_f32_e32 v85, v82, v76
                                        ; implicit-def: $vgpr76
	s_delay_alu instid0(VALU_DEP_2)
	v_cmpx_ne_u32_e32 0x7f800000, v91
	s_xor_b32 s3, exec_lo, s3
; %bb.13:
	v_bfe_u32 v76, v90, 16, 1
	s_delay_alu instid0(VALU_DEP_1)
	v_add3_u32 v76, v90, v76, 0x7fff
                                        ; implicit-def: $vgpr90
; %bb.14:
	s_and_not1_saveexec_b32 s3, s3
; %bb.15:
	v_and_b32_e32 v76, 0xffff, v90
	v_or_b32_e32 v83, 0x10000, v90
	s_delay_alu instid0(VALU_DEP_2) | instskip(NEXT) | instid1(VALU_DEP_2)
	v_cmp_eq_u32_e32 vcc_lo, 0, v76
	v_cndmask_b32_e32 v76, v83, v90, vcc_lo
; %bb.16:
	s_or_b32 exec_lo, exec_lo, s3
	v_and_b32_e32 v83, 0x7f800000, v85
	s_delay_alu instid0(VALU_DEP_1) | instskip(SKIP_1) | instid1(SALU_CYCLE_1)
	v_cmp_ne_u32_e32 vcc_lo, 0x7f800000, v83
                                        ; implicit-def: $vgpr83
	s_and_saveexec_b32 s3, vcc_lo
	s_xor_b32 s3, exec_lo, s3
; %bb.17:
	v_bfe_u32 v83, v85, 16, 1
	s_delay_alu instid0(VALU_DEP_1)
	v_add3_u32 v83, v85, v83, 0x7fff
                                        ; implicit-def: $vgpr85
; %bb.18:
	s_and_not1_saveexec_b32 s3, s3
; %bb.19:
	v_and_b32_e32 v83, 0xffff, v85
	v_or_b32_e32 v90, 0x10000, v85
	s_delay_alu instid0(VALU_DEP_2) | instskip(NEXT) | instid1(VALU_DEP_2)
	v_cmp_eq_u32_e32 vcc_lo, 0, v83
	v_cndmask_b32_e32 v83, v90, v85, vcc_lo
; %bb.20:
	s_or_b32 exec_lo, exec_lo, s3
	v_and_b32_e32 v85, 0x7f800000, v86
	s_delay_alu instid0(VALU_DEP_1) | instskip(SKIP_1) | instid1(SALU_CYCLE_1)
	v_cmp_ne_u32_e32 vcc_lo, 0x7f800000, v85
                                        ; implicit-def: $vgpr85
	s_and_saveexec_b32 s3, vcc_lo
	s_xor_b32 s3, exec_lo, s3
; %bb.21:
	v_bfe_u32 v85, v86, 16, 1
	s_delay_alu instid0(VALU_DEP_1)
	v_add3_u32 v85, v86, v85, 0x7fff
                                        ; implicit-def: $vgpr86
; %bb.22:
	s_and_not1_saveexec_b32 s3, s3
; %bb.23:
	v_and_b32_e32 v85, 0xffff, v86
	v_or_b32_e32 v90, 0x10000, v86
	s_delay_alu instid0(VALU_DEP_2) | instskip(NEXT) | instid1(VALU_DEP_2)
	v_cmp_eq_u32_e32 vcc_lo, 0, v85
	v_cndmask_b32_e32 v85, v90, v86, vcc_lo
; %bb.24:
	s_or_b32 exec_lo, exec_lo, s3
	v_and_b32_e32 v86, 0x7f800000, v89
	s_delay_alu instid0(VALU_DEP_1) | instskip(SKIP_1) | instid1(SALU_CYCLE_1)
	v_cmp_ne_u32_e32 vcc_lo, 0x7f800000, v86
                                        ; implicit-def: $vgpr86
	s_and_saveexec_b32 s3, vcc_lo
	s_xor_b32 s3, exec_lo, s3
; %bb.25:
	v_bfe_u32 v86, v89, 16, 1
	s_delay_alu instid0(VALU_DEP_1)
	v_add3_u32 v86, v89, v86, 0x7fff
                                        ; implicit-def: $vgpr89
; %bb.26:
	s_and_not1_saveexec_b32 s3, s3
; %bb.27:
	v_and_b32_e32 v86, 0xffff, v89
	v_or_b32_e32 v90, 0x10000, v89
	s_delay_alu instid0(VALU_DEP_2) | instskip(NEXT) | instid1(VALU_DEP_2)
	v_cmp_eq_u32_e32 vcc_lo, 0, v86
	v_cndmask_b32_e32 v86, v90, v89, vcc_lo
; %bb.28:
	s_or_b32 exec_lo, exec_lo, s3
	v_and_b32_e32 v89, 0x7f800000, v88
	s_delay_alu instid0(VALU_DEP_1) | instskip(SKIP_1) | instid1(SALU_CYCLE_1)
	v_cmp_ne_u32_e32 vcc_lo, 0x7f800000, v89
                                        ; implicit-def: $vgpr89
	s_and_saveexec_b32 s3, vcc_lo
	s_xor_b32 s3, exec_lo, s3
; %bb.29:
	v_bfe_u32 v89, v88, 16, 1
	s_delay_alu instid0(VALU_DEP_1)
	v_add3_u32 v89, v88, v89, 0x7fff
                                        ; implicit-def: $vgpr88
; %bb.30:
	s_and_not1_saveexec_b32 s3, s3
; %bb.31:
	v_and_b32_e32 v89, 0xffff, v88
	v_or_b32_e32 v90, 0x10000, v88
	s_delay_alu instid0(VALU_DEP_2) | instskip(NEXT) | instid1(VALU_DEP_2)
	v_cmp_eq_u32_e32 vcc_lo, 0, v89
	v_cndmask_b32_e32 v89, v90, v88, vcc_lo
; %bb.32:
	s_or_b32 exec_lo, exec_lo, s3
	v_and_b32_e32 v88, 0x7f800000, v87
	s_delay_alu instid0(VALU_DEP_1) | instskip(SKIP_1) | instid1(SALU_CYCLE_1)
	v_cmp_ne_u32_e32 vcc_lo, 0x7f800000, v88
                                        ; implicit-def: $vgpr88
	s_and_saveexec_b32 s3, vcc_lo
	s_xor_b32 s3, exec_lo, s3
; %bb.33:
	v_bfe_u32 v88, v87, 16, 1
	s_delay_alu instid0(VALU_DEP_1)
	v_add3_u32 v88, v87, v88, 0x7fff
                                        ; implicit-def: $vgpr87
; %bb.34:
	s_and_not1_saveexec_b32 s3, s3
; %bb.35:
	v_and_b32_e32 v88, 0xffff, v87
	v_or_b32_e32 v90, 0x10000, v87
	s_delay_alu instid0(VALU_DEP_2) | instskip(NEXT) | instid1(VALU_DEP_2)
	v_cmp_eq_u32_e32 vcc_lo, 0, v88
	v_cndmask_b32_e32 v88, v90, v87, vcc_lo
; %bb.36:
	s_or_b32 exec_lo, exec_lo, s3
	v_and_b32_e32 v87, 0x7f800000, v84
	s_delay_alu instid0(VALU_DEP_1) | instskip(SKIP_1) | instid1(SALU_CYCLE_1)
	v_cmp_ne_u32_e32 vcc_lo, 0x7f800000, v87
                                        ; implicit-def: $vgpr87
	s_and_saveexec_b32 s3, vcc_lo
	s_xor_b32 s3, exec_lo, s3
; %bb.37:
	v_bfe_u32 v87, v84, 16, 1
	s_delay_alu instid0(VALU_DEP_1)
	v_add3_u32 v87, v84, v87, 0x7fff
                                        ; implicit-def: $vgpr84
; %bb.38:
	s_and_not1_saveexec_b32 s3, s3
; %bb.39:
	v_and_b32_e32 v87, 0xffff, v84
	v_or_b32_e32 v90, 0x10000, v84
	s_delay_alu instid0(VALU_DEP_2) | instskip(NEXT) | instid1(VALU_DEP_2)
	v_cmp_eq_u32_e32 vcc_lo, 0, v87
	v_cndmask_b32_e32 v87, v90, v84, vcc_lo
; %bb.40:
	s_or_b32 exec_lo, exec_lo, s3
	v_and_b32_e32 v84, 0x7f800000, v80
	s_delay_alu instid0(VALU_DEP_1) | instskip(SKIP_1) | instid1(SALU_CYCLE_1)
	v_cmp_ne_u32_e32 vcc_lo, 0x7f800000, v84
                                        ; implicit-def: $vgpr84
	s_and_saveexec_b32 s3, vcc_lo
	s_xor_b32 s3, exec_lo, s3
; %bb.41:
	v_bfe_u32 v84, v80, 16, 1
	s_delay_alu instid0(VALU_DEP_1)
	v_add3_u32 v84, v80, v84, 0x7fff
                                        ; implicit-def: $vgpr80
; %bb.42:
	s_and_not1_saveexec_b32 s3, s3
; %bb.43:
	v_and_b32_e32 v84, 0xffff, v80
	v_or_b32_e32 v90, 0x10000, v80
	s_delay_alu instid0(VALU_DEP_2) | instskip(NEXT) | instid1(VALU_DEP_2)
	v_cmp_eq_u32_e32 vcc_lo, 0, v84
	v_cndmask_b32_e32 v84, v90, v80, vcc_lo
; %bb.44:
	s_or_b32 exec_lo, exec_lo, s3
	s_load_b64 s[34:35], s[0:1], 0x94
	v_lshlrev_b32_e32 v91, 4, v74
	s_delay_alu instid0(VALU_DEP_2)
	v_perm_b32 v90, v84, v87, 0x7060302
	v_dual_mul_f32 v79, v82, v79 :: v_dual_lshlrev_b32 v80, 6, v65
	v_dual_mul_f32 v77, v82, v77 :: v_dual_lshlrev_b32 v92, 11, v66
	v_mul_f32_e32 v84, v82, v70
	v_perm_b32 v89, v88, v89, 0x7060302
	v_perm_b32 v88, v86, v85, 0x7060302
	;; [unrolled: 1-line block ×3, first 2 shown]
	v_mul_f32_e32 v70, v82, v81
	v_or3_b32 v76, v91, v92, v80
	v_dual_mul_f32 v78, v82, v78 :: v_dual_and_b32 v85, 0x7f800000, v84
	v_mul_f32_e32 v83, v82, v72
	v_mul_f32_e32 v81, v82, v71
	v_mul_f32_e32 v72, v82, v69
	s_mov_b32 s3, exec_lo
	ds_store_b128 v76, v[87:90]
                                        ; implicit-def: $vgpr69
	v_cmpx_ne_u32_e32 0x7f800000, v85
	s_xor_b32 s3, exec_lo, s3
; %bb.45:
	v_bfe_u32 v69, v84, 16, 1
	s_delay_alu instid0(VALU_DEP_1)
	v_add3_u32 v69, v84, v69, 0x7fff
                                        ; implicit-def: $vgpr84
; %bb.46:
	s_and_not1_saveexec_b32 s3, s3
; %bb.47:
	v_and_b32_e32 v69, 0xffff, v84
	v_or_b32_e32 v71, 0x10000, v84
	s_delay_alu instid0(VALU_DEP_2) | instskip(NEXT) | instid1(VALU_DEP_2)
	v_cmp_eq_u32_e32 vcc_lo, 0, v69
	v_cndmask_b32_e32 v69, v71, v84, vcc_lo
; %bb.48:
	s_or_b32 exec_lo, exec_lo, s3
	v_and_b32_e32 v71, 0x7f800000, v72
	s_delay_alu instid0(VALU_DEP_1) | instskip(SKIP_1) | instid1(SALU_CYCLE_1)
	v_cmp_ne_u32_e32 vcc_lo, 0x7f800000, v71
                                        ; implicit-def: $vgpr71
	s_and_saveexec_b32 s3, vcc_lo
	s_xor_b32 s3, exec_lo, s3
; %bb.49:
	v_bfe_u32 v71, v72, 16, 1
	s_delay_alu instid0(VALU_DEP_1)
	v_add3_u32 v71, v72, v71, 0x7fff
                                        ; implicit-def: $vgpr72
; %bb.50:
	s_and_not1_saveexec_b32 s3, s3
; %bb.51:
	v_and_b32_e32 v71, 0xffff, v72
	v_or_b32_e32 v82, 0x10000, v72
	s_delay_alu instid0(VALU_DEP_2) | instskip(NEXT) | instid1(VALU_DEP_2)
	v_cmp_eq_u32_e32 vcc_lo, 0, v71
	v_cndmask_b32_e32 v71, v82, v72, vcc_lo
; %bb.52:
	s_or_b32 exec_lo, exec_lo, s3
	v_and_b32_e32 v72, 0x7f800000, v81
	s_delay_alu instid0(VALU_DEP_1) | instskip(SKIP_1) | instid1(SALU_CYCLE_1)
	v_cmp_ne_u32_e32 vcc_lo, 0x7f800000, v72
                                        ; implicit-def: $vgpr72
	s_and_saveexec_b32 s3, vcc_lo
	s_xor_b32 s3, exec_lo, s3
; %bb.53:
	v_bfe_u32 v72, v81, 16, 1
	s_delay_alu instid0(VALU_DEP_1)
	v_add3_u32 v72, v81, v72, 0x7fff
                                        ; implicit-def: $vgpr81
; %bb.54:
	s_and_not1_saveexec_b32 s3, s3
; %bb.55:
	v_and_b32_e32 v72, 0xffff, v81
	v_or_b32_e32 v82, 0x10000, v81
	s_delay_alu instid0(VALU_DEP_2) | instskip(NEXT) | instid1(VALU_DEP_2)
	v_cmp_eq_u32_e32 vcc_lo, 0, v72
	v_cndmask_b32_e32 v72, v82, v81, vcc_lo
; %bb.56:
	s_or_b32 exec_lo, exec_lo, s3
	v_and_b32_e32 v81, 0x7f800000, v83
	s_delay_alu instid0(VALU_DEP_1) | instskip(SKIP_1) | instid1(SALU_CYCLE_1)
	v_cmp_ne_u32_e32 vcc_lo, 0x7f800000, v81
                                        ; implicit-def: $vgpr81
	s_and_saveexec_b32 s3, vcc_lo
	s_xor_b32 s3, exec_lo, s3
; %bb.57:
	v_bfe_u32 v81, v83, 16, 1
	s_delay_alu instid0(VALU_DEP_1)
	v_add3_u32 v81, v83, v81, 0x7fff
                                        ; implicit-def: $vgpr83
; %bb.58:
	s_and_not1_saveexec_b32 s3, s3
; %bb.59:
	v_and_b32_e32 v81, 0xffff, v83
	v_or_b32_e32 v82, 0x10000, v83
	s_delay_alu instid0(VALU_DEP_2) | instskip(NEXT) | instid1(VALU_DEP_2)
	v_cmp_eq_u32_e32 vcc_lo, 0, v81
	v_cndmask_b32_e32 v81, v82, v83, vcc_lo
; %bb.60:
	s_or_b32 exec_lo, exec_lo, s3
	v_and_b32_e32 v82, 0x7f800000, v77
	s_delay_alu instid0(VALU_DEP_1) | instskip(SKIP_1) | instid1(SALU_CYCLE_1)
	v_cmp_ne_u32_e32 vcc_lo, 0x7f800000, v82
                                        ; implicit-def: $vgpr82
	s_and_saveexec_b32 s3, vcc_lo
	s_xor_b32 s3, exec_lo, s3
; %bb.61:
	v_bfe_u32 v82, v77, 16, 1
	s_delay_alu instid0(VALU_DEP_1)
	v_add3_u32 v82, v77, v82, 0x7fff
                                        ; implicit-def: $vgpr77
; %bb.62:
	s_and_not1_saveexec_b32 s3, s3
; %bb.63:
	v_and_b32_e32 v82, 0xffff, v77
	v_or_b32_e32 v83, 0x10000, v77
	s_delay_alu instid0(VALU_DEP_2) | instskip(NEXT) | instid1(VALU_DEP_2)
	v_cmp_eq_u32_e32 vcc_lo, 0, v82
	v_cndmask_b32_e32 v82, v83, v77, vcc_lo
; %bb.64:
	s_or_b32 exec_lo, exec_lo, s3
	v_and_b32_e32 v77, 0x7f800000, v78
	s_delay_alu instid0(VALU_DEP_1) | instskip(SKIP_1) | instid1(SALU_CYCLE_1)
	v_cmp_ne_u32_e32 vcc_lo, 0x7f800000, v77
                                        ; implicit-def: $vgpr77
	s_and_saveexec_b32 s3, vcc_lo
	s_xor_b32 s3, exec_lo, s3
; %bb.65:
	v_bfe_u32 v77, v78, 16, 1
	s_delay_alu instid0(VALU_DEP_1)
	v_add3_u32 v77, v78, v77, 0x7fff
                                        ; implicit-def: $vgpr78
; %bb.66:
	s_and_not1_saveexec_b32 s3, s3
; %bb.67:
	v_and_b32_e32 v77, 0xffff, v78
	v_or_b32_e32 v83, 0x10000, v78
	s_delay_alu instid0(VALU_DEP_2) | instskip(NEXT) | instid1(VALU_DEP_2)
	v_cmp_eq_u32_e32 vcc_lo, 0, v77
	v_cndmask_b32_e32 v77, v83, v78, vcc_lo
; %bb.68:
	s_or_b32 exec_lo, exec_lo, s3
	v_and_b32_e32 v78, 0x7f800000, v79
	s_delay_alu instid0(VALU_DEP_1) | instskip(SKIP_1) | instid1(SALU_CYCLE_1)
	v_cmp_ne_u32_e32 vcc_lo, 0x7f800000, v78
                                        ; implicit-def: $vgpr78
	s_and_saveexec_b32 s3, vcc_lo
	s_xor_b32 s3, exec_lo, s3
; %bb.69:
	v_bfe_u32 v78, v79, 16, 1
	s_delay_alu instid0(VALU_DEP_1)
	v_add3_u32 v78, v79, v78, 0x7fff
                                        ; implicit-def: $vgpr79
; %bb.70:
	s_and_not1_saveexec_b32 s3, s3
; %bb.71:
	v_and_b32_e32 v78, 0xffff, v79
	v_or_b32_e32 v83, 0x10000, v79
	s_delay_alu instid0(VALU_DEP_2) | instskip(NEXT) | instid1(VALU_DEP_2)
	v_cmp_eq_u32_e32 vcc_lo, 0, v78
	v_cndmask_b32_e32 v78, v83, v79, vcc_lo
; %bb.72:
	s_or_b32 exec_lo, exec_lo, s3
	v_and_b32_e32 v79, 0x7f800000, v70
	s_delay_alu instid0(VALU_DEP_1) | instskip(SKIP_1) | instid1(SALU_CYCLE_1)
	v_cmp_ne_u32_e32 vcc_lo, 0x7f800000, v79
                                        ; implicit-def: $vgpr79
	s_and_saveexec_b32 s3, vcc_lo
	s_xor_b32 s3, exec_lo, s3
; %bb.73:
	v_bfe_u32 v79, v70, 16, 1
	s_delay_alu instid0(VALU_DEP_1)
	v_add3_u32 v79, v70, v79, 0x7fff
                                        ; implicit-def: $vgpr70
; %bb.74:
	s_and_not1_saveexec_b32 s3, s3
; %bb.75:
	v_and_b32_e32 v79, 0xffff, v70
	v_or_b32_e32 v83, 0x10000, v70
	s_delay_alu instid0(VALU_DEP_2) | instskip(NEXT) | instid1(VALU_DEP_2)
	v_cmp_eq_u32_e32 vcc_lo, 0, v79
	v_cndmask_b32_e32 v79, v83, v70, vcc_lo
; %bb.76:
	s_or_b32 exec_lo, exec_lo, s3
	s_delay_alu instid0(VALU_DEP_1)
	v_perm_b32 v86, v79, v78, 0x7060302
	v_perm_b32 v85, v77, v82, 0x7060302
	;; [unrolled: 1-line block ×4, first 2 shown]
	v_lshl_or_b32 v82, v66, 11, v80
	ds_store_b128 v76, v[83:86] offset:1024
	s_waitcnt lgkmcnt(0)
	s_barrier
	buffer_gl0_inv
	ds_load_b128 v[69:72], v82
	ds_load_b128 v[83:86], v82 offset:16
	s_waitcnt lgkmcnt(1)
	v_lshrrev_b32_e32 v66, 16, v69
	s_waitcnt lgkmcnt(0)
	v_lshrrev_b32_e32 v91, 16, v83
	v_lshlrev_b32_e32 v78, 2, v74
	v_lshrrev_b32_e32 v95, 16, v70
	v_lshrrev_b32_e32 v98, 16, v84
	v_lshrrev_b32_e32 v96, 16, v71
	v_lshrrev_b32_e32 v99, 16, v85
	v_cmp_eq_u32_e32 vcc_lo, 1, v78
	v_lshrrev_b32_e32 v97, 16, v72
	v_lshrrev_b32_e32 v100, 16, v86
	v_cndmask_b32_e32 v87, v83, v91, vcc_lo
	v_or_b32_e32 v79, 1, v78
	v_cndmask_b32_e32 v81, v69, v66, vcc_lo
	v_cmp_eq_u32_e64 s4, 2, v78
	v_cmp_eq_u32_e64 s7, 3, v78
	;; [unrolled: 1-line block ×5, first 2 shown]
	v_cndmask_b32_e64 v81, v81, v70, s4
	v_cndmask_b32_e64 v87, v87, v84, s4
	v_cmp_eq_u32_e64 s8, 3, v79
	v_cndmask_b32_e64 v88, v69, v66, s3
	v_or_b32_e32 v77, 2, v78
	v_cndmask_b32_e64 v81, v81, v95, s7
	v_cndmask_b32_e64 v87, v87, v98, s7
	;; [unrolled: 1-line block ×4, first 2 shown]
	v_cmp_eq_u32_e64 s10, 5, v78
	v_cndmask_b32_e64 v81, v81, v71, s9
	v_cndmask_b32_e64 v87, v87, v85, s9
	v_cmp_eq_u32_e64 s11, 4, v79
	v_cndmask_b32_e64 v88, v88, v95, s8
	v_cmp_eq_u32_e64 s5, 1, v77
	v_cndmask_b32_e64 v89, v89, v84, s6
	v_cndmask_b32_e64 v81, v81, v96, s10
	v_cmp_eq_u32_e64 s12, 6, v78
	v_cndmask_b32_e64 v88, v88, v71, s11
	;; [unrolled: 3-line block ×3, first 2 shown]
	v_cndmask_b32_e64 v89, v89, v98, s8
	v_cndmask_b32_e64 v81, v81, v72, s12
	v_cmp_eq_u32_e64 s15, 7, v78
	v_cndmask_b32_e64 v88, v88, v96, s13
	v_cndmask_b32_e64 v87, v87, v86, s12
	v_cmp_eq_u32_e64 s16, 6, v79
	v_cmp_eq_u32_e64 s17, 2, v77
	v_cndmask_b32_e64 v89, v89, v85, s11
	v_cndmask_b32_e64 v101, v81, v97, s15
	;; [unrolled: 1-line block ×6, first 2 shown]
	v_cmp_eq_u32_e64 s18, 7, v79
	v_cmp_eq_u32_e64 s19, 3, v77
	;; [unrolled: 1-line block ×4, first 2 shown]
	v_cndmask_b32_e64 v87, v87, v84, s17
	v_cndmask_b32_e64 v103, v88, v97, s18
	;; [unrolled: 1-line block ×4, first 2 shown]
	v_or_b32_e32 v81, 3, v78
	v_cndmask_b32_e64 v93, v87, v98, s19
	v_cmp_eq_u32_e64 s24, 6, v77
	v_cndmask_b32_e64 v104, v88, v86, s16
	v_cndmask_b32_e64 v92, v89, v71, s20
	v_cmp_eq_u32_e64 s21, 1, v81
	ds_load_b128 v[87:90], v82 offset:1024
	v_cmp_eq_u32_e64 s23, 2, v81
	v_cmp_eq_u32_e64 s25, 3, v81
	v_cndmask_b32_e64 v105, v92, v96, s22
	v_cndmask_b32_e64 v66, v69, v66, s21
	;; [unrolled: 1-line block ×4, first 2 shown]
	ds_load_b128 v[91:94], v82 offset:1040
	v_cmp_eq_u32_e64 s26, 4, v81
	v_cndmask_b32_e64 v66, v66, v70, s23
	v_cmp_eq_u32_e64 s27, 7, v77
	v_cndmask_b32_e64 v70, v83, v84, s23
	v_cndmask_b32_e64 v84, v105, v72, s24
	v_cmp_eq_u32_e64 s28, 5, v81
	v_cndmask_b32_e64 v66, v66, v95, s25
	v_cmp_eq_u32_e64 s29, 6, v81
	v_cndmask_b32_e64 v70, v70, v98, s25
	v_cndmask_b32_e64 v69, v69, v99, s22
	;; [unrolled: 1-line block ×4, first 2 shown]
	s_waitcnt lgkmcnt(1)
	v_lshrrev_b32_e32 v95, 16, v87
	v_cndmask_b32_e64 v70, v70, v85, s26
	v_cndmask_b32_e64 v71, v84, v97, s27
	v_cndmask_b32_e64 v69, v69, v86, s24
	v_cndmask_b32_e64 v66, v66, v96, s28
	v_cndmask_b32_e32 v84, v87, v95, vcc_lo
	v_cndmask_b32_e64 v70, v70, v99, s28
	s_waitcnt lgkmcnt(0)
	v_lshrrev_b32_e32 v85, 16, v91
	v_lshrrev_b32_e32 v96, 16, v88
	v_cndmask_b32_e64 v98, v87, v95, s3
	v_cndmask_b32_e64 v84, v84, v88, s4
	;; [unrolled: 1-line block ×3, first 2 shown]
	v_cndmask_b32_e32 v99, v91, v85, vcc_lo
	v_cmp_eq_u32_e32 vcc_lo, 7, v81
	v_cndmask_b32_e64 v66, v66, v72, s29
	v_cndmask_b32_e64 v72, v84, v96, s7
	;; [unrolled: 1-line block ×3, first 2 shown]
	v_lshrrev_b32_e32 v98, 16, v92
	v_cndmask_b32_e32 v70, v70, v100, vcc_lo
	v_cndmask_b32_e64 v86, v99, v92, s4
	v_cndmask_b32_e64 v69, v69, v100, s27
	v_lshrrev_b32_e32 v100, 16, v93
	v_cndmask_b32_e64 v72, v72, v89, s9
	v_lshrrev_b32_e32 v99, 16, v89
	v_cndmask_b32_e64 v86, v86, v98, s7
	v_perm_b32 v71, v69, v71, 0x5040100
	v_cndmask_b32_e64 v84, v84, v96, s8
	s_delay_alu instid0(VALU_DEP_3) | instskip(NEXT) | instid1(VALU_DEP_2)
	v_cndmask_b32_e64 v86, v86, v93, s9
	v_cndmask_b32_e64 v84, v84, v89, s11
	s_delay_alu instid0(VALU_DEP_2) | instskip(NEXT) | instid1(VALU_DEP_1)
	v_cndmask_b32_e64 v86, v86, v100, s10
	v_cndmask_b32_e64 v69, v86, v94, s12
	;; [unrolled: 1-line block ×5, first 2 shown]
	s_delay_alu instid0(VALU_DEP_3) | instskip(NEXT) | instid1(VALU_DEP_3)
	v_cndmask_b32_e64 v86, v86, v88, s17
	v_cndmask_b32_e64 v87, v87, v88, s23
	s_delay_alu instid0(VALU_DEP_3) | instskip(NEXT) | instid1(VALU_DEP_3)
	v_cndmask_b32_e64 v88, v95, v92, s23
	v_cndmask_b32_e64 v86, v86, v96, s19
	;; [unrolled: 3-line block ×7, first 2 shown]
	s_delay_alu instid0(VALU_DEP_3) | instskip(SKIP_2) | instid1(VALU_DEP_2)
	v_cndmask_b32_e64 v88, v88, v94, s29
	v_cndmask_b32_e32 v66, v66, v97, vcc_lo
	v_cndmask_b32_e64 v97, v72, v99, s10
	v_perm_b32 v72, v70, v66, 0x5040100
	v_perm_b32 v70, v83, v103, 0x5040100
	v_cndmask_b32_e64 v103, v91, v85, s5
	v_cndmask_b32_e64 v85, v91, v85, s3
	;; [unrolled: 1-line block ×4, first 2 shown]
	v_lshrrev_b32_e32 v97, 16, v90
	v_cndmask_b32_e64 v91, v103, v92, s17
	v_cndmask_b32_e64 v85, v85, v92, s6
	;; [unrolled: 1-line block ×3, first 2 shown]
	s_mov_b32 s3, exec_lo
	v_cndmask_b32_e64 v83, v84, v97, s15
	v_cndmask_b32_e64 v91, v91, v98, s19
	;; [unrolled: 1-line block ×3, first 2 shown]
	v_lshrrev_b32_e32 v84, 16, v94
	v_cndmask_b32_e64 v66, v66, v97, s18
	v_cndmask_b32_e64 v90, v86, v97, s27
	;; [unrolled: 1-line block ×4, first 2 shown]
	v_dual_cndmask_b32 v86, v87, v97 :: v_dual_cndmask_b32 v87, v88, v84
	v_cndmask_b32_e64 v91, v69, v84, s15
	s_delay_alu instid0(VALU_DEP_4) | instskip(NEXT) | instid1(VALU_DEP_4)
	v_cndmask_b32_e64 v89, v89, v100, s22
	v_cndmask_b32_e64 v85, v85, v100, s13
	v_perm_b32 v69, v102, v101, 0x5040100
	v_perm_b32 v86, v87, v86, 0x5040100
	;; [unrolled: 1-line block ×3, first 2 shown]
	v_cndmask_b32_e64 v89, v89, v94, s24
	v_cndmask_b32_e64 v85, v85, v94, s16
	s_mul_i32 s8, s35, 12
	s_delay_alu instid0(VALU_DEP_2) | instskip(NEXT) | instid1(VALU_DEP_2)
	v_cndmask_b32_e64 v88, v89, v84, s27
	v_cndmask_b32_e64 v89, v85, v84, s18
	s_delay_alu instid0(VALU_DEP_2) | instskip(NEXT) | instid1(VALU_DEP_2)
	v_perm_b32 v85, v88, v90, 0x5040100
	v_perm_b32 v84, v89, v66, 0x5040100
	ds_store_b128 v76, v[69:72]
	ds_store_b128 v76, v[83:86] offset:1024
	v_cmpx_gt_u32_e32 12, v0
	s_cbranch_execz .LBB1737_78
; %bb.77:
	s_mul_i32 s4, s8, s30
	s_delay_alu instid0(SALU_CYCLE_1) | instskip(SKIP_1) | instid1(VALU_DEP_1)
	v_add3_u32 v69, s4, s31, v65
	s_load_b128 s[4:7], s[0:1], 0x58
	v_mad_u64_u32 v[65:66], null, v69, s34, s[14:15]
	s_delay_alu instid0(VALU_DEP_1) | instskip(NEXT) | instid1(VALU_DEP_1)
	v_ashrrev_i32_e32 v66, 31, v65
	v_lshlrev_b64 v[65:66], 2, v[65:66]
	s_waitcnt lgkmcnt(0)
	s_delay_alu instid0(VALU_DEP_1) | instskip(NEXT) | instid1(VALU_DEP_2)
	v_add_co_u32 v69, vcc_lo, s6, v65
	v_add_co_ci_u32_e32 v70, vcc_lo, s7, v66, vcc_lo
	v_add_co_u32 v65, vcc_lo, s4, v65
	v_add_co_ci_u32_e32 v66, vcc_lo, s5, v66, vcc_lo
	global_store_b32 v[69:70], v67, off
	global_store_b32 v[65:66], v68, off
.LBB1737_78:
	s_or_b32 exec_lo, exec_lo, s3
	s_waitcnt lgkmcnt(0)
	s_waitcnt_vscnt null, 0x0
	s_barrier
	buffer_gl0_inv
	ds_load_b128 v[83:86], v80
	ds_load_b128 v[87:90], v80 offset:16
	ds_load_b128 v[95:98], v80 offset:2064
	ds_load_b128 v[91:94], v80 offset:2048
	v_mov_b32_e32 v65, 0
	ds_load_b128 v[103:106], v80 offset:4112
	ds_load_b128 v[99:102], v80 offset:4096
	ds_load_b128 v[111:114], v80 offset:6160
	ds_load_b128 v[107:110], v80 offset:6144
	v_mov_b32_e32 v66, v65
	v_mov_b32_e32 v67, v65
	;; [unrolled: 1-line block ×7, first 2 shown]
	s_waitcnt lgkmcnt(6)
	s_delay_alu instid0(VALU_DEP_1)
	v_wmma_f32_16x16x16_bf16 v[65:72], v[57:64], v[83:90], v[65:72]
	ds_load_b128 v[61:64], v80 offset:8208
	ds_load_b128 v[57:60], v80 offset:8192
	s_waitcnt lgkmcnt(6)
	v_wmma_f32_16x16x16_bf16 v[65:72], v[41:48], v[91:98], v[65:72]
	ds_load_b128 v[45:48], v80 offset:10256
	ds_load_b128 v[41:44], v80 offset:10240
	s_waitcnt lgkmcnt(6)
	;; [unrolled: 4-line block ×4, first 2 shown]
	v_wmma_f32_16x16x16_bf16 v[65:72], v[1:8], v[57:64], v[65:72]
	s_waitcnt lgkmcnt(4)
	s_delay_alu instid0(VALU_DEP_1) | instskip(SKIP_1) | instid1(VALU_DEP_1)
	v_wmma_f32_16x16x16_bf16 v[65:72], v[9:16], v[41:48], v[65:72]
	s_waitcnt lgkmcnt(2)
	v_wmma_f32_16x16x16_bf16 v[65:72], v[17:24], v[33:40], v[65:72]
	s_waitcnt lgkmcnt(0)
	s_delay_alu instid0(VALU_DEP_1) | instskip(NEXT) | instid1(VALU_DEP_1)
	v_wmma_f32_16x16x16_bf16 v[65:72], v[49:56], v[25:32], v[65:72]
	v_and_b32_e32 v1, 0x7f800000, v65
	s_delay_alu instid0(VALU_DEP_1) | instskip(SKIP_1) | instid1(SALU_CYCLE_1)
	v_cmp_ne_u32_e32 vcc_lo, 0x7f800000, v1
                                        ; implicit-def: $vgpr1
	s_and_saveexec_b32 s3, vcc_lo
	s_xor_b32 s3, exec_lo, s3
; %bb.79:
	v_bfe_u32 v1, v65, 16, 1
	s_delay_alu instid0(VALU_DEP_1)
	v_add3_u32 v1, v65, v1, 0x7fff
; %bb.80:
	s_and_not1_saveexec_b32 s3, s3
; %bb.81:
	v_and_b32_e32 v1, 0xffff, v65
	v_or_b32_e32 v2, 0x10000, v65
	s_delay_alu instid0(VALU_DEP_2) | instskip(NEXT) | instid1(VALU_DEP_2)
	v_cmp_eq_u32_e32 vcc_lo, 0, v1
	v_cndmask_b32_e32 v1, v2, v65, vcc_lo
; %bb.82:
	s_or_b32 exec_lo, exec_lo, s3
	v_and_b32_e32 v2, 0x7f800000, v66
	s_delay_alu instid0(VALU_DEP_1) | instskip(SKIP_1) | instid1(SALU_CYCLE_1)
	v_cmp_ne_u32_e32 vcc_lo, 0x7f800000, v2
                                        ; implicit-def: $vgpr2
	s_and_saveexec_b32 s3, vcc_lo
	s_xor_b32 s3, exec_lo, s3
; %bb.83:
	v_bfe_u32 v2, v66, 16, 1
	s_delay_alu instid0(VALU_DEP_1)
	v_add3_u32 v2, v66, v2, 0x7fff
; %bb.84:
	s_and_not1_saveexec_b32 s3, s3
; %bb.85:
	v_and_b32_e32 v2, 0xffff, v66
	v_or_b32_e32 v3, 0x10000, v66
	s_delay_alu instid0(VALU_DEP_2) | instskip(NEXT) | instid1(VALU_DEP_2)
	v_cmp_eq_u32_e32 vcc_lo, 0, v2
	v_cndmask_b32_e32 v2, v3, v66, vcc_lo
; %bb.86:
	s_or_b32 exec_lo, exec_lo, s3
	v_and_b32_e32 v3, 0x7f800000, v67
	s_delay_alu instid0(VALU_DEP_1) | instskip(SKIP_1) | instid1(SALU_CYCLE_1)
	v_cmp_ne_u32_e32 vcc_lo, 0x7f800000, v3
                                        ; implicit-def: $vgpr3
	s_and_saveexec_b32 s3, vcc_lo
	s_xor_b32 s3, exec_lo, s3
; %bb.87:
	v_bfe_u32 v3, v67, 16, 1
	s_delay_alu instid0(VALU_DEP_1)
	v_add3_u32 v3, v67, v3, 0x7fff
; %bb.88:
	s_and_not1_saveexec_b32 s3, s3
; %bb.89:
	v_and_b32_e32 v3, 0xffff, v67
	v_or_b32_e32 v4, 0x10000, v67
	s_delay_alu instid0(VALU_DEP_2) | instskip(NEXT) | instid1(VALU_DEP_2)
	v_cmp_eq_u32_e32 vcc_lo, 0, v3
	v_cndmask_b32_e32 v3, v4, v67, vcc_lo
; %bb.90:
	s_or_b32 exec_lo, exec_lo, s3
	v_and_b32_e32 v4, 0x7f800000, v68
	s_delay_alu instid0(VALU_DEP_1) | instskip(SKIP_1) | instid1(SALU_CYCLE_1)
	v_cmp_ne_u32_e32 vcc_lo, 0x7f800000, v4
                                        ; implicit-def: $vgpr4
	s_and_saveexec_b32 s3, vcc_lo
	s_xor_b32 s3, exec_lo, s3
; %bb.91:
	v_bfe_u32 v4, v68, 16, 1
	s_delay_alu instid0(VALU_DEP_1)
	v_add3_u32 v4, v68, v4, 0x7fff
; %bb.92:
	s_and_not1_saveexec_b32 s3, s3
; %bb.93:
	v_and_b32_e32 v4, 0xffff, v68
	v_or_b32_e32 v5, 0x10000, v68
	s_delay_alu instid0(VALU_DEP_2) | instskip(NEXT) | instid1(VALU_DEP_2)
	v_cmp_eq_u32_e32 vcc_lo, 0, v4
	v_cndmask_b32_e32 v4, v5, v68, vcc_lo
; %bb.94:
	s_or_b32 exec_lo, exec_lo, s3
	v_and_b32_e32 v5, 0x7f800000, v69
	s_delay_alu instid0(VALU_DEP_1) | instskip(SKIP_1) | instid1(SALU_CYCLE_1)
	v_cmp_ne_u32_e32 vcc_lo, 0x7f800000, v5
                                        ; implicit-def: $vgpr5
	s_and_saveexec_b32 s3, vcc_lo
	s_xor_b32 s3, exec_lo, s3
; %bb.95:
	v_bfe_u32 v5, v69, 16, 1
	s_delay_alu instid0(VALU_DEP_1)
	v_add3_u32 v5, v69, v5, 0x7fff
; %bb.96:
	s_and_not1_saveexec_b32 s3, s3
; %bb.97:
	v_and_b32_e32 v5, 0xffff, v69
	v_or_b32_e32 v6, 0x10000, v69
	s_delay_alu instid0(VALU_DEP_2) | instskip(NEXT) | instid1(VALU_DEP_2)
	v_cmp_eq_u32_e32 vcc_lo, 0, v5
	v_cndmask_b32_e32 v5, v6, v69, vcc_lo
; %bb.98:
	s_or_b32 exec_lo, exec_lo, s3
	v_and_b32_e32 v6, 0x7f800000, v70
	s_delay_alu instid0(VALU_DEP_1) | instskip(SKIP_1) | instid1(SALU_CYCLE_1)
	v_cmp_ne_u32_e32 vcc_lo, 0x7f800000, v6
                                        ; implicit-def: $vgpr6
	s_and_saveexec_b32 s3, vcc_lo
	s_xor_b32 s3, exec_lo, s3
; %bb.99:
	v_bfe_u32 v6, v70, 16, 1
	s_delay_alu instid0(VALU_DEP_1)
	v_add3_u32 v6, v70, v6, 0x7fff
; %bb.100:
	s_and_not1_saveexec_b32 s3, s3
; %bb.101:
	v_and_b32_e32 v6, 0xffff, v70
	v_or_b32_e32 v7, 0x10000, v70
	s_delay_alu instid0(VALU_DEP_2) | instskip(NEXT) | instid1(VALU_DEP_2)
	v_cmp_eq_u32_e32 vcc_lo, 0, v6
	v_cndmask_b32_e32 v6, v7, v70, vcc_lo
; %bb.102:
	s_or_b32 exec_lo, exec_lo, s3
	v_and_b32_e32 v7, 0x7f800000, v71
	s_delay_alu instid0(VALU_DEP_1) | instskip(SKIP_1) | instid1(SALU_CYCLE_1)
	v_cmp_ne_u32_e32 vcc_lo, 0x7f800000, v7
                                        ; implicit-def: $vgpr7
	s_and_saveexec_b32 s3, vcc_lo
	s_xor_b32 s3, exec_lo, s3
; %bb.103:
	v_bfe_u32 v7, v71, 16, 1
	s_delay_alu instid0(VALU_DEP_1)
	v_add3_u32 v7, v71, v7, 0x7fff
; %bb.104:
	s_and_not1_saveexec_b32 s3, s3
; %bb.105:
	v_and_b32_e32 v7, 0xffff, v71
	v_or_b32_e32 v8, 0x10000, v71
	s_delay_alu instid0(VALU_DEP_2) | instskip(NEXT) | instid1(VALU_DEP_2)
	v_cmp_eq_u32_e32 vcc_lo, 0, v7
	v_cndmask_b32_e32 v7, v8, v71, vcc_lo
; %bb.106:
	s_or_b32 exec_lo, exec_lo, s3
	v_and_b32_e32 v8, 0x7f800000, v72
	s_delay_alu instid0(VALU_DEP_1) | instskip(SKIP_1) | instid1(SALU_CYCLE_1)
	v_cmp_ne_u32_e32 vcc_lo, 0x7f800000, v8
                                        ; implicit-def: $vgpr8
	s_and_saveexec_b32 s3, vcc_lo
	s_xor_b32 s3, exec_lo, s3
; %bb.107:
	v_bfe_u32 v8, v72, 16, 1
	s_delay_alu instid0(VALU_DEP_1)
	v_add3_u32 v8, v72, v8, 0x7fff
                                        ; implicit-def: $vgpr65_vgpr66_vgpr67_vgpr68_vgpr69_vgpr70_vgpr71_vgpr72
; %bb.108:
	s_and_not1_saveexec_b32 s3, s3
; %bb.109:
	v_and_b32_e32 v8, 0xffff, v72
	v_or_b32_e32 v9, 0x10000, v72
	s_delay_alu instid0(VALU_DEP_2) | instskip(NEXT) | instid1(VALU_DEP_2)
	v_cmp_eq_u32_e32 vcc_lo, 0, v8
	v_cndmask_b32_e32 v8, v9, v72, vcc_lo
; %bb.110:
	s_or_b32 exec_lo, exec_lo, s3
	s_delay_alu instid0(VALU_DEP_1)
	v_perm_b32 v7, v8, v7, 0x7060302
	v_perm_b32 v6, v6, v5, 0x7060302
	v_perm_b32 v5, v4, v3, 0x7060302
	v_perm_b32 v4, v2, v1, 0x7060302
	s_barrier
	buffer_gl0_inv
	v_cmp_eq_u32_e32 vcc_lo, 1, v78
	ds_store_b128 v76, v[4:7]
	s_waitcnt lgkmcnt(0)
	s_barrier
	buffer_gl0_inv
	ds_load_b128 v[1:4], v82
	ds_load_b128 v[5:8], v82 offset:16
	v_cmp_eq_u32_e64 s3, 1, v79
	v_cmp_eq_u32_e64 s4, 2, v78
	;; [unrolled: 1-line block ×5, first 2 shown]
	s_waitcnt lgkmcnt(1)
	v_lshrrev_b32_e32 v9, 16, v1
	s_waitcnt lgkmcnt(0)
	v_lshrrev_b32_e32 v13, 16, v5
	v_lshrrev_b32_e32 v10, 16, v2
	;; [unrolled: 1-line block ×4, first 2 shown]
	v_cndmask_b32_e64 v19, v1, v9, s3
	v_cndmask_b32_e32 v18, v5, v13, vcc_lo
	v_cndmask_b32_e64 v20, v5, v13, s3
	v_cndmask_b32_e32 v17, v1, v9, vcc_lo
	v_cmp_eq_u32_e32 vcc_lo, 2, v79
	v_lshrrev_b32_e32 v15, 16, v7
	v_cmp_eq_u32_e64 s3, 1, v77
	v_lshrrev_b32_e32 v12, 16, v4
	v_lshrrev_b32_e32 v16, 16, v8
	v_cndmask_b32_e32 v20, v20, v6, vcc_lo
	v_cndmask_b32_e64 v17, v17, v2, s4
	v_cndmask_b32_e32 v19, v19, v2, vcc_lo
	v_cndmask_b32_e64 v18, v18, v6, s4
	v_cmp_eq_u32_e32 vcc_lo, 4, v78
	v_cmp_eq_u32_e64 s4, 3, v79
	v_cndmask_b32_e64 v17, v17, v10, s5
	v_cndmask_b32_e64 v21, v1, v9, s3
	;; [unrolled: 1-line block ×5, first 2 shown]
	v_cndmask_b32_e32 v17, v17, v3, vcc_lo
	v_cndmask_b32_e64 v20, v20, v14, s4
	v_cndmask_b32_e32 v18, v18, v7, vcc_lo
	v_cmp_eq_u32_e32 vcc_lo, 4, v79
	v_cmp_eq_u32_e64 s4, 5, v79
	v_cmp_eq_u32_e64 s3, 2, v81
	v_cndmask_b32_e64 v21, v21, v2, s7
	v_cmp_eq_u32_e64 s5, 5, v78
	v_cndmask_b32_e32 v19, v19, v3, vcc_lo
	v_cndmask_b32_e32 v20, v20, v7, vcc_lo
	v_cmp_eq_u32_e32 vcc_lo, 6, v79
	s_delay_alu instid0(VALU_DEP_4) | instskip(NEXT) | instid1(VALU_DEP_4)
	v_cndmask_b32_e64 v17, v17, v11, s5
	v_cndmask_b32_e64 v19, v19, v11, s4
	s_delay_alu instid0(VALU_DEP_4) | instskip(SKIP_1) | instid1(VALU_DEP_3)
	v_cndmask_b32_e64 v20, v20, v15, s4
	v_cmp_eq_u32_e64 s4, 1, v81
	v_cndmask_b32_e32 v19, v19, v4, vcc_lo
	v_cndmask_b32_e64 v18, v18, v15, s5
	s_delay_alu instid0(VALU_DEP_3)
	v_cndmask_b32_e64 v1, v1, v9, s4
	v_cndmask_b32_e64 v5, v5, v13, s4
	v_cmp_eq_u32_e64 s4, 3, v77
	v_cndmask_b32_e64 v13, v22, v6, s7
	v_cmp_eq_u32_e64 s7, 3, v81
	v_cndmask_b32_e64 v1, v1, v2, s3
	v_cndmask_b32_e64 v2, v5, v6, s3
	;; [unrolled: 1-line block ×3, first 2 shown]
	v_cmp_eq_u32_e64 s3, 4, v77
	v_cndmask_b32_e64 v6, v13, v14, s4
	v_cndmask_b32_e64 v1, v1, v10, s7
	v_cmp_eq_u32_e64 s4, 4, v81
	v_cndmask_b32_e64 v2, v2, v14, s7
	v_cndmask_b32_e64 v5, v9, v3, s3
	;; [unrolled: 3-line block ×3, first 2 shown]
	v_cndmask_b32_e64 v2, v2, v7, s4
	v_cmp_eq_u32_e64 s3, 5, v81
	v_cmp_eq_u32_e64 s5, 6, v78
	v_cndmask_b32_e64 v5, v5, v11, s7
	v_cmp_eq_u32_e64 s4, 6, v77
	v_cndmask_b32_e64 v3, v6, v15, s7
	v_cndmask_b32_e64 v1, v1, v11, s3
	v_cmp_eq_u32_e64 s7, 6, v81
	v_cndmask_b32_e64 v2, v2, v15, s3
	v_cndmask_b32_e64 v17, v17, v4, s5
	v_cndmask_b32_e64 v18, v18, v8, s5
	v_cmp_eq_u32_e64 s5, 7, v78
	v_cndmask_b32_e64 v5, v5, v4, s4
	;; [unrolled: 4-line block ×3, first 2 shown]
	v_cmp_eq_u32_e64 s4, 7, v77
	v_cndmask_b32_e32 v4, v20, v8, vcc_lo
	v_cndmask_b32_e64 v17, v17, v12, s5
	v_cndmask_b32_e64 v19, v19, v12, s6
	;; [unrolled: 1-line block ×8, first 2 shown]
	v_cmp_gt_u32_e32 vcc_lo, 32, v0
	v_perm_b32 v4, v2, v1, 0x5040100
	v_perm_b32 v3, v3, v5, 0x5040100
	;; [unrolled: 1-line block ×4, first 2 shown]
	s_and_b32 s2, vcc_lo, s2
	ds_store_b128 v76, v[1:4]
	s_waitcnt lgkmcnt(0)
	s_barrier
	buffer_gl0_inv
	s_and_saveexec_b32 s3, s2
	s_cbranch_execz .LBB1737_2
; %bb.111:
	s_load_b64 s[0:1], s[0:1], 0x68
	v_lshlrev_b32_e32 v0, 10, v0
	s_lshl_b32 s4, s34, 6
	v_or_b32_e32 v3, s31, v74
	s_mul_i32 s2, s4, s30
	v_lshlrev_b32_e32 v1, 4, v75
	s_mul_i32 s2, s2, s8
	v_lshlrev_b32_e32 v2, 6, v74
	v_and_b32_e32 v0, 0x3800, v0
	s_ashr_i32 s3, s2, 31
	v_mul_lo_u32 v4, v3, s4
	s_lshl_b64 s[2:3], s[2:3], 1
	s_delay_alu instid0(VALU_DEP_2) | instskip(NEXT) | instid1(VALU_DEP_2)
	v_or3_b32 v16, v0, v1, v2
	v_ashrrev_i32_e32 v5, 31, v4
	ds_load_b128 v[0:3], v16
	s_waitcnt lgkmcnt(0)
	s_add_u32 s2, s0, s2
	s_addc_u32 s3, s1, s3
	s_lshl_b32 s0, s14, 6
	v_lshlrev_b64 v[5:6], 1, v[4:5]
	s_ashr_i32 s1, s0, 31
	s_delay_alu instid0(SALU_CYCLE_1) | instskip(NEXT) | instid1(SALU_CYCLE_1)
	s_lshl_b64 s[0:1], s[0:1], 1
	s_add_u32 s0, s2, s0
	s_addc_u32 s1, s3, s1
	s_lshl_b32 s2, s34, 7
	v_add_co_u32 v30, s0, s0, v73
	v_add_nc_u32_e32 v8, s2, v4
	v_add_co_ci_u32_e64 v31, null, s1, 0, s0
	s_delay_alu instid0(VALU_DEP_3) | instskip(NEXT) | instid1(VALU_DEP_3)
	v_add_co_u32 v12, vcc_lo, v30, v5
	v_add_nc_u32_e32 v10, s2, v8
	v_ashrrev_i32_e32 v9, 31, v8
	s_delay_alu instid0(VALU_DEP_4)
	v_add_co_ci_u32_e32 v13, vcc_lo, v31, v6, vcc_lo
	ds_load_b128 v[4:7], v16 offset:128
	v_ashrrev_i32_e32 v11, 31, v10
	v_lshlrev_b64 v[8:9], 1, v[8:9]
	v_add_nc_u32_e32 v14, s2, v10
	global_store_b128 v[12:13], v[0:3], off
	v_lshlrev_b64 v[0:1], 1, v[10:11]
	v_ashrrev_i32_e32 v15, 31, v14
	v_add_co_u32 v22, vcc_lo, v30, v8
	v_add_nc_u32_e32 v20, s2, v14
	v_add_co_ci_u32_e32 v23, vcc_lo, v31, v9, vcc_lo
	v_add_co_u32 v26, vcc_lo, v30, v0
	v_lshlrev_b64 v[24:25], 1, v[14:15]
	v_add_co_ci_u32_e32 v27, vcc_lo, v31, v1, vcc_lo
	ds_load_b128 v[0:3], v16 offset:256
	ds_load_b128 v[8:11], v16 offset:384
	;; [unrolled: 1-line block ×4, first 2 shown]
	v_add_nc_u32_e32 v28, s2, v20
	v_ashrrev_i32_e32 v21, 31, v20
	v_add_co_u32 v24, vcc_lo, v30, v24
	v_add_co_ci_u32_e32 v25, vcc_lo, v31, v25, vcc_lo
	s_delay_alu instid0(VALU_DEP_4) | instskip(NEXT) | instid1(VALU_DEP_4)
	v_ashrrev_i32_e32 v29, 31, v28
	v_lshlrev_b64 v[20:21], 1, v[20:21]
	s_delay_alu instid0(VALU_DEP_2) | instskip(NEXT) | instid1(VALU_DEP_2)
	v_lshlrev_b64 v[28:29], 1, v[28:29]
	v_add_co_u32 v20, vcc_lo, v30, v20
	s_delay_alu instid0(VALU_DEP_3) | instskip(NEXT) | instid1(VALU_DEP_3)
	v_add_co_ci_u32_e32 v21, vcc_lo, v31, v21, vcc_lo
	v_add_co_u32 v28, vcc_lo, v30, v28
	s_delay_alu instid0(VALU_DEP_4)
	v_add_co_ci_u32_e32 v29, vcc_lo, v31, v29, vcc_lo
	s_waitcnt lgkmcnt(4)
	global_store_b128 v[22:23], v[4:7], off
	s_waitcnt lgkmcnt(3)
	global_store_b128 v[26:27], v[0:3], off
	;; [unrolled: 2-line block ×5, first 2 shown]
	s_nop 0
	s_sendmsg sendmsg(MSG_DEALLOC_VGPRS)
	s_endpgm
	.section	.rodata,"a",@progbits
	.p2align	6, 0x0
	.amdhsa_kernel _Z39paged_attention_ll4mi_QKV_mfma16_kernelI14__hip_bfloat16hLN4vllm18Fp8KVCacheDataTypeE1EhLi32ELi64ELi256ELb1ELi12EL8MFMAType0EEvPKT_PKT0_S9_ifPKiSB_SB_iPKfiiiPfSE_PS4_PT2_iSD_SD_
		.amdhsa_group_segment_fixed_size 17472
		.amdhsa_private_segment_fixed_size 0
		.amdhsa_kernarg_size 400
		.amdhsa_user_sgpr_count 13
		.amdhsa_user_sgpr_dispatch_ptr 0
		.amdhsa_user_sgpr_queue_ptr 0
		.amdhsa_user_sgpr_kernarg_segment_ptr 1
		.amdhsa_user_sgpr_dispatch_id 0
		.amdhsa_user_sgpr_private_segment_size 0
		.amdhsa_wavefront_size32 1
		.amdhsa_uses_dynamic_stack 0
		.amdhsa_enable_private_segment 0
		.amdhsa_system_sgpr_workgroup_id_x 1
		.amdhsa_system_sgpr_workgroup_id_y 1
		.amdhsa_system_sgpr_workgroup_id_z 1
		.amdhsa_system_sgpr_workgroup_info 0
		.amdhsa_system_vgpr_workitem_id 0
		.amdhsa_next_free_vgpr 124
		.amdhsa_next_free_sgpr 40
		.amdhsa_reserve_vcc 1
		.amdhsa_float_round_mode_32 0
		.amdhsa_float_round_mode_16_64 0
		.amdhsa_float_denorm_mode_32 3
		.amdhsa_float_denorm_mode_16_64 3
		.amdhsa_dx10_clamp 1
		.amdhsa_ieee_mode 1
		.amdhsa_fp16_overflow 0
		.amdhsa_workgroup_processor_mode 1
		.amdhsa_memory_ordered 1
		.amdhsa_forward_progress 0
		.amdhsa_shared_vgpr_count 0
		.amdhsa_exception_fp_ieee_invalid_op 0
		.amdhsa_exception_fp_denorm_src 0
		.amdhsa_exception_fp_ieee_div_zero 0
		.amdhsa_exception_fp_ieee_overflow 0
		.amdhsa_exception_fp_ieee_underflow 0
		.amdhsa_exception_fp_ieee_inexact 0
		.amdhsa_exception_int_div_zero 0
	.end_amdhsa_kernel
	.section	.text._Z39paged_attention_ll4mi_QKV_mfma16_kernelI14__hip_bfloat16hLN4vllm18Fp8KVCacheDataTypeE1EhLi32ELi64ELi256ELb1ELi12EL8MFMAType0EEvPKT_PKT0_S9_ifPKiSB_SB_iPKfiiiPfSE_PS4_PT2_iSD_SD_,"axG",@progbits,_Z39paged_attention_ll4mi_QKV_mfma16_kernelI14__hip_bfloat16hLN4vllm18Fp8KVCacheDataTypeE1EhLi32ELi64ELi256ELb1ELi12EL8MFMAType0EEvPKT_PKT0_S9_ifPKiSB_SB_iPKfiiiPfSE_PS4_PT2_iSD_SD_,comdat
.Lfunc_end1737:
	.size	_Z39paged_attention_ll4mi_QKV_mfma16_kernelI14__hip_bfloat16hLN4vllm18Fp8KVCacheDataTypeE1EhLi32ELi64ELi256ELb1ELi12EL8MFMAType0EEvPKT_PKT0_S9_ifPKiSB_SB_iPKfiiiPfSE_PS4_PT2_iSD_SD_, .Lfunc_end1737-_Z39paged_attention_ll4mi_QKV_mfma16_kernelI14__hip_bfloat16hLN4vllm18Fp8KVCacheDataTypeE1EhLi32ELi64ELi256ELb1ELi12EL8MFMAType0EEvPKT_PKT0_S9_ifPKiSB_SB_iPKfiiiPfSE_PS4_PT2_iSD_SD_
                                        ; -- End function
	.section	.AMDGPU.csdata,"",@progbits
; Kernel info:
; codeLenInByte = 8872
; NumSgprs: 42
; NumVgprs: 124
; ScratchSize: 0
; MemoryBound: 0
; FloatMode: 240
; IeeeMode: 1
; LDSByteSize: 17472 bytes/workgroup (compile time only)
; SGPRBlocks: 5
; VGPRBlocks: 15
; NumSGPRsForWavesPerEU: 42
; NumVGPRsForWavesPerEU: 124
; Occupancy: 10
; WaveLimiterHint : 1
; COMPUTE_PGM_RSRC2:SCRATCH_EN: 0
; COMPUTE_PGM_RSRC2:USER_SGPR: 13
; COMPUTE_PGM_RSRC2:TRAP_HANDLER: 0
; COMPUTE_PGM_RSRC2:TGID_X_EN: 1
; COMPUTE_PGM_RSRC2:TGID_Y_EN: 1
; COMPUTE_PGM_RSRC2:TGID_Z_EN: 1
; COMPUTE_PGM_RSRC2:TIDIG_COMP_CNT: 0
	.section	.text._Z39paged_attention_ll4mi_QKV_mfma16_kernelI14__hip_bfloat16hLN4vllm18Fp8KVCacheDataTypeE1EhLi32ELi64ELi256ELb1ELi13EL8MFMAType0EEvPKT_PKT0_S9_ifPKiSB_SB_iPKfiiiPfSE_PS4_PT2_iSD_SD_,"axG",@progbits,_Z39paged_attention_ll4mi_QKV_mfma16_kernelI14__hip_bfloat16hLN4vllm18Fp8KVCacheDataTypeE1EhLi32ELi64ELi256ELb1ELi13EL8MFMAType0EEvPKT_PKT0_S9_ifPKiSB_SB_iPKfiiiPfSE_PS4_PT2_iSD_SD_,comdat
	.protected	_Z39paged_attention_ll4mi_QKV_mfma16_kernelI14__hip_bfloat16hLN4vllm18Fp8KVCacheDataTypeE1EhLi32ELi64ELi256ELb1ELi13EL8MFMAType0EEvPKT_PKT0_S9_ifPKiSB_SB_iPKfiiiPfSE_PS4_PT2_iSD_SD_ ; -- Begin function _Z39paged_attention_ll4mi_QKV_mfma16_kernelI14__hip_bfloat16hLN4vllm18Fp8KVCacheDataTypeE1EhLi32ELi64ELi256ELb1ELi13EL8MFMAType0EEvPKT_PKT0_S9_ifPKiSB_SB_iPKfiiiPfSE_PS4_PT2_iSD_SD_
	.globl	_Z39paged_attention_ll4mi_QKV_mfma16_kernelI14__hip_bfloat16hLN4vllm18Fp8KVCacheDataTypeE1EhLi32ELi64ELi256ELb1ELi13EL8MFMAType0EEvPKT_PKT0_S9_ifPKiSB_SB_iPKfiiiPfSE_PS4_PT2_iSD_SD_
	.p2align	8
	.type	_Z39paged_attention_ll4mi_QKV_mfma16_kernelI14__hip_bfloat16hLN4vllm18Fp8KVCacheDataTypeE1EhLi32ELi64ELi256ELb1ELi13EL8MFMAType0EEvPKT_PKT0_S9_ifPKiSB_SB_iPKfiiiPfSE_PS4_PT2_iSD_SD_,@function
_Z39paged_attention_ll4mi_QKV_mfma16_kernelI14__hip_bfloat16hLN4vllm18Fp8KVCacheDataTypeE1EhLi32ELi64ELi256ELb1ELi13EL8MFMAType0EEvPKT_PKT0_S9_ifPKiSB_SB_iPKfiiiPfSE_PS4_PT2_iSD_SD_: ; @_Z39paged_attention_ll4mi_QKV_mfma16_kernelI14__hip_bfloat16hLN4vllm18Fp8KVCacheDataTypeE1EhLi32ELi64ELi256ELb1ELi13EL8MFMAType0EEvPKT_PKT0_S9_ifPKiSB_SB_iPKfiiiPfSE_PS4_PT2_iSD_SD_
; %bb.0:
	s_load_b64 s[2:3], s[0:1], 0x30
	s_mov_b32 s34, s13
	s_waitcnt lgkmcnt(0)
	s_cmp_lg_u64 s[2:3], 0
	s_cselect_b32 s8, -1, 0
	s_ashr_i32 s35, s13, 31
	s_cmp_eq_u64 s[2:3], 0
	s_cbranch_scc1 .LBB1738_3
; %bb.1:
	s_lshl_b64 s[4:5], s[34:35], 2
	s_delay_alu instid0(SALU_CYCLE_1) | instskip(SKIP_4) | instid1(SALU_CYCLE_1)
	s_add_u32 s4, s2, s4
	s_addc_u32 s5, s3, s5
	s_load_b64 s[4:5], s[4:5], 0x0
	s_waitcnt lgkmcnt(0)
	s_sub_i32 s4, s5, s4
	s_cmp_eq_u32 s4, 1
	s_cselect_b32 s4, -1, 0
	s_delay_alu instid0(SALU_CYCLE_1)
	s_and_not1_b32 vcc_lo, exec_lo, s4
	s_cbranch_vccz .LBB1738_4
.LBB1738_2:
	s_nop 0
	s_sendmsg sendmsg(MSG_DEALLOC_VGPRS)
	s_endpgm
.LBB1738_3:
.LBB1738_4:
	s_load_b64 s[4:5], s[0:1], 0x28
	s_lshl_b64 s[6:7], s[34:35], 2
	s_waitcnt lgkmcnt(0)
	s_add_u32 s4, s4, s6
	s_addc_u32 s5, s5, s7
	s_lshl_b32 s12, s14, 8
	s_load_b32 s24, s[4:5], 0x0
	s_waitcnt lgkmcnt(0)
	s_cmp_ge_i32 s12, s24
	s_cbranch_scc1 .LBB1738_2
; %bb.5:
	s_clause 0x1
	s_load_b128 s[20:23], s[0:1], 0x8
	s_load_b64 s[4:5], s[0:1], 0x20
	s_and_not1_b32 vcc_lo, exec_lo, s8
	s_cbranch_vccnz .LBB1738_7
; %bb.6:
	s_add_u32 s2, s2, s6
	s_addc_u32 s3, s3, s7
	s_load_b32 s3, s[2:3], 0x0
	s_branch .LBB1738_8
.LBB1738_7:
	s_mov_b32 s3, s34
.LBB1738_8:
	s_load_b128 s[16:19], s[0:1], 0x48
	v_lshrrev_b32_e32 v66, 5, v0
	v_bfe_u32 v74, v0, 4, 1
	v_and_b32_e32 v65, 15, v0
	v_and_b32_e32 v67, 31, v0
	;; [unrolled: 1-line block ×3, first 2 shown]
	s_mul_i32 s31, s15, 13
	v_lshl_or_b32 v1, v66, 1, v74
	v_lshlrev_b32_e32 v2, 3, v65
	v_cmp_gt_u32_e64 s2, 8, v65
	s_delay_alu instid0(VALU_DEP_3) | instskip(NEXT) | instid1(VALU_DEP_3)
	v_cmp_gt_u32_e32 vcc_lo, 13, v1
	v_lshlrev_b32_e32 v73, 1, v2
	s_delay_alu instid0(VALU_DEP_3) | instskip(NEXT) | instid1(SALU_CYCLE_1)
	s_and_b32 s7, s2, vcc_lo
	s_and_saveexec_b32 s6, s7
	s_cbranch_execz .LBB1738_10
; %bb.9:
	s_load_b64 s[8:9], s[0:1], 0x0
	v_add_lshl_u32 v2, v1, s31, 6
	s_waitcnt lgkmcnt(0)
	s_mul_hi_i32 s11, s3, s16
	s_mul_i32 s10, s3, s16
	v_lshlrev_b32_e32 v6, 10, v65
	s_lshl_b64 s[10:11], s[10:11], 1
	v_ashrrev_i32_e32 v3, 31, v2
	v_lshlrev_b32_e32 v1, 6, v1
	v_lshlrev_b32_e32 v7, 10, v75
	v_and_b32_e32 v6, 0x3800, v6
	s_delay_alu instid0(VALU_DEP_4) | instskip(NEXT) | instid1(VALU_DEP_2)
	v_lshlrev_b64 v[2:3], 1, v[2:3]
	v_or3_b32 v1, v6, v7, v1
	s_add_u32 s3, s8, s10
	s_addc_u32 s7, s9, s11
	s_delay_alu instid0(VALU_DEP_2) | instskip(NEXT) | instid1(VALU_DEP_3)
	v_add_co_u32 v2, vcc_lo, s3, v2
	v_add_co_ci_u32_e32 v3, vcc_lo, s7, v3, vcc_lo
	s_delay_alu instid0(VALU_DEP_2) | instskip(NEXT) | instid1(VALU_DEP_2)
	v_add_co_u32 v2, vcc_lo, v2, v73
	v_add_co_ci_u32_e32 v3, vcc_lo, 0, v3, vcc_lo
	global_load_b128 v[2:5], v[2:3], off
	s_waitcnt vmcnt(0)
	ds_store_b128 v1, v[2:5]
.LBB1738_10:
	s_or_b32 exec_lo, exec_lo, s6
	v_and_b32_e32 v1, 0xef, v0
	s_waitcnt lgkmcnt(0)
	s_add_i32 s3, s24, 31
	s_clause 0x1
	s_load_b32 s6, s[0:1], 0x38
	s_load_b32 s19, s[0:1], 0x1c
	s_ashr_i32 s7, s3, 31
	v_add_nc_u32_e32 v1, s12, v1
	s_lshr_b32 s7, s7, 27
	s_waitcnt lgkmcnt(0)
	s_add_i32 s3, s3, s7
	s_barrier
	v_ashrrev_i32_e32 v2, 31, v1
	v_or_b32_e32 v3, 16, v1
	s_ashr_i32 s3, s3, 5
	v_cmp_gt_i32_e32 vcc_lo, s24, v1
	s_add_i32 s3, s3, -1
	v_lshrrev_b32_e32 v2, 27, v2
	buffer_gl0_inv
	s_mul_i32 s27, s15, s18
	v_add_nc_u32_e32 v4, v1, v2
	s_mul_i32 s6, s34, s6
	s_delay_alu instid0(SALU_CYCLE_1) | instskip(NEXT) | instid1(VALU_DEP_1)
	s_ashr_i32 s7, s6, 31
	v_ashrrev_i32_e32 v4, 5, v4
	v_add_nc_u32_e32 v2, v3, v2
	s_lshl_b64 s[6:7], s[6:7], 2
	s_delay_alu instid0(SALU_CYCLE_1) | instskip(NEXT) | instid1(VALU_DEP_2)
	s_add_u32 s26, s4, s6
	v_cndmask_b32_e32 v1, s3, v4, vcc_lo
	s_delay_alu instid0(VALU_DEP_2)
	v_ashrrev_i32_e32 v2, 5, v2
	v_cmp_gt_i32_e32 vcc_lo, s24, v3
	s_addc_u32 s25, s5, s7
	s_ashr_i32 s28, s27, 31
	s_add_u32 s4, s20, s27
	s_addc_u32 s5, s21, s28
	v_cndmask_b32_e32 v3, s3, v2, vcc_lo
	v_ashrrev_i32_e32 v2, 31, v1
	s_lshl_b32 s6, s14, 3
	s_delay_alu instid0(SALU_CYCLE_1) | instskip(NEXT) | instid1(VALU_DEP_2)
	s_ashr_i32 s7, s6, 31
	v_ashrrev_i32_e32 v4, 31, v3
	s_delay_alu instid0(VALU_DEP_2) | instskip(SKIP_1) | instid1(SALU_CYCLE_1)
	v_lshlrev_b64 v[1:2], 2, v[1:2]
	s_lshl_b64 s[6:7], s[6:7], 2
	s_add_u32 s6, s26, s6
	s_delay_alu instid0(VALU_DEP_2) | instskip(SKIP_1) | instid1(VALU_DEP_2)
	v_lshlrev_b64 v[3:4], 2, v[3:4]
	s_addc_u32 s7, s25, s7
	v_add_co_u32 v1, vcc_lo, s26, v1
	v_add_co_ci_u32_e32 v2, vcc_lo, s25, v2, vcc_lo
	s_delay_alu instid0(VALU_DEP_3) | instskip(NEXT) | instid1(VALU_DEP_4)
	v_add_co_u32 v3, vcc_lo, s26, v3
	v_add_co_ci_u32_e32 v4, vcc_lo, s25, v4, vcc_lo
	s_clause 0x1
	global_load_b32 v5, v[1:2], off
	global_load_b32 v6, v[3:4], off
	s_or_b32 s8, s12, 32
	s_delay_alu instid0(SALU_CYCLE_1) | instskip(SKIP_2) | instid1(SALU_CYCLE_1)
	s_ashr_i32 s9, s8, 5
	s_cmp_lt_i32 s8, s24
	s_cselect_b32 s8, s9, s3
	s_ashr_i32 s9, s8, 31
	s_delay_alu instid0(SALU_CYCLE_1) | instskip(NEXT) | instid1(SALU_CYCLE_1)
	s_lshl_b64 s[8:9], s[8:9], 2
	s_add_u32 s8, s26, s8
	s_addc_u32 s9, s25, s9
	s_or_b32 s10, s12, 64
	s_delay_alu instid0(SALU_CYCLE_1) | instskip(SKIP_2) | instid1(SALU_CYCLE_1)
	s_ashr_i32 s11, s10, 5
	s_cmp_lt_i32 s10, s24
	s_cselect_b32 s10, s11, s3
	s_ashr_i32 s11, s10, 31
	s_delay_alu instid0(SALU_CYCLE_1) | instskip(NEXT) | instid1(SALU_CYCLE_1)
	s_lshl_b64 s[10:11], s[10:11], 2
	s_add_u32 s10, s26, s10
	s_addc_u32 s11, s25, s11
	s_or_b32 s13, s12, 0x60
	s_delay_alu instid0(SALU_CYCLE_1) | instskip(SKIP_2) | instid1(SALU_CYCLE_1)
	s_ashr_i32 s15, s13, 5
	s_cmp_lt_i32 s13, s24
	s_cselect_b32 s20, s15, s3
	s_ashr_i32 s21, s20, 31
	s_delay_alu instid0(SALU_CYCLE_1) | instskip(NEXT) | instid1(SALU_CYCLE_1)
	s_lshl_b64 s[20:21], s[20:21], 2
	s_add_u32 s36, s26, s20
	s_addc_u32 s37, s25, s21
	s_or_b32 s13, s12, 0x80
	s_delay_alu instid0(SALU_CYCLE_1) | instskip(SKIP_2) | instid1(SALU_CYCLE_1)
	s_ashr_i32 s15, s13, 5
	s_cmp_lt_i32 s13, s24
	s_cselect_b32 s20, s15, s3
	s_ashr_i32 s21, s20, 31
	s_delay_alu instid0(SALU_CYCLE_1) | instskip(NEXT) | instid1(SALU_CYCLE_1)
	s_lshl_b64 s[20:21], s[20:21], 2
	s_add_u32 s38, s26, s20
	s_addc_u32 s39, s25, s21
	s_or_b32 s13, s12, 0xa0
	s_delay_alu instid0(SALU_CYCLE_1) | instskip(SKIP_2) | instid1(SALU_CYCLE_1)
	s_ashr_i32 s15, s13, 5
	s_cmp_lt_i32 s13, s24
	s_cselect_b32 s20, s15, s3
	s_ashr_i32 s21, s20, 31
	s_delay_alu instid0(SALU_CYCLE_1) | instskip(NEXT) | instid1(SALU_CYCLE_1)
	s_lshl_b64 s[20:21], s[20:21], 2
	s_add_u32 s40, s26, s20
	s_addc_u32 s41, s25, s21
	s_clause 0x5
	s_load_b32 s21, s[6:7], 0x0
	s_load_b32 s13, s[8:9], 0x0
	;; [unrolled: 1-line block ×6, first 2 shown]
	s_or_b32 s8, s12, 0xc0
	s_delay_alu instid0(SALU_CYCLE_1) | instskip(SKIP_2) | instid1(SALU_CYCLE_1)
	s_ashr_i32 s9, s8, 5
	s_cmp_lt_i32 s8, s24
	s_cselect_b32 s36, s9, s3
	s_ashr_i32 s37, s36, 31
	s_delay_alu instid0(SALU_CYCLE_1) | instskip(NEXT) | instid1(SALU_CYCLE_1)
	s_lshl_b64 s[36:37], s[36:37], 2
	s_add_u32 s36, s26, s36
	s_addc_u32 s37, s25, s37
	s_or_b32 s29, s12, 0xe0
	s_delay_alu instid0(SALU_CYCLE_1)
	s_ashr_i32 s30, s29, 5
	s_cmp_lt_i32 s29, s24
	s_waitcnt vmcnt(1)
	v_mad_i64_i32 v[1:2], null, v5, s17, s[4:5]
	s_waitcnt vmcnt(0)
	v_mad_i64_i32 v[3:4], null, v6, s17, s[4:5]
	s_mov_b32 s4, 0
	s_delay_alu instid0(SALU_CYCLE_1)
	s_mov_b32 s5, s4
	s_mov_b32 s6, s4
	;; [unrolled: 1-line block ×7, first 2 shown]
	v_lshlrev_b32_e32 v5, 4, v65
	v_dual_mov_b32 v107, s11 :: v_dual_mov_b32 v102, s6
	v_mov_b32_e32 v100, s4
	v_mov_b32_e32 v106, s10
	s_delay_alu instid0(VALU_DEP_4)
	v_add_co_u32 v1, vcc_lo, v1, v5
	v_add_co_ci_u32_e32 v2, vcc_lo, 0, v2, vcc_lo
	v_add_co_u32 v3, vcc_lo, v3, v5
	v_add_co_ci_u32_e32 v4, vcc_lo, 0, v4, vcc_lo
	s_clause 0x7
	global_load_b128 v[49:52], v[1:2], off
	global_load_b128 v[53:56], v[1:2], off offset:512
	global_load_b128 v[76:79], v[3:4], off offset:256
	;; [unrolled: 1-line block ×7, first 2 shown]
	v_add_nc_u32_e32 v1, -13, v65
	v_cmp_gt_u32_e32 vcc_lo, 13, v65
	v_dual_mov_b32 v104, s8 :: v_dual_mov_b32 v103, s7
	v_dual_mov_b32 v101, s5 :: v_dual_lshlrev_b32 v2, 5, v65
	s_delay_alu instid0(VALU_DEP_4)
	v_cndmask_b32_e32 v1, v1, v65, vcc_lo
	v_mov_b32_e32 v105, s9
	s_cselect_b32 s4, s30, s3
	s_load_b32 s3, s[36:37], 0x0
	s_ashr_i32 s5, s4, 31
	v_lshlrev_b32_e32 v70, 6, v1
	s_lshl_b64 s[4:5], s[4:5], 2
	v_lshl_or_b32 v2, v66, 9, v2
	s_add_u32 s4, s26, s4
	s_addc_u32 s5, s25, s5
	ds_load_b128 v[108:111], v70
	ds_load_b128 v[112:115], v70 offset:1024
	s_load_b32 s4, s[4:5], 0x0
	s_add_u32 s6, s22, s27
	s_addc_u32 s7, s23, s28
	v_add_co_u32 v9, s6, s6, v2
	s_delay_alu instid0(VALU_DEP_1) | instskip(SKIP_1) | instid1(VALU_DEP_1)
	v_add_co_ci_u32_e64 v10, null, s7, 0, s6
	s_waitcnt lgkmcnt(0)
	v_mad_i64_i32 v[1:2], null, s21, s17, v[9:10]
	v_mad_i64_i32 v[3:4], null, s13, s17, v[9:10]
	;; [unrolled: 1-line block ×7, first 2 shown]
	s_clause 0x9
	global_load_b128 v[57:60], v[1:2], off
	global_load_b128 v[61:64], v[1:2], off offset:16
	global_load_b128 v[41:44], v[3:4], off
	global_load_b128 v[45:48], v[3:4], off offset:16
	global_load_b128 v[33:36], v[5:6], off
	global_load_b128 v[37:40], v[5:6], off offset:16
	global_load_b128 v[25:28], v[7:8], off
	global_load_b128 v[29:32], v[7:8], off offset:16
	global_load_b128 v[1:4], v[11:12], off
	global_load_b128 v[5:8], v[11:12], off offset:16
	v_mad_i64_i32 v[68:69], null, s4, s17, v[9:10]
	s_clause 0x3
	global_load_b128 v[9:12], v[13:14], off
	global_load_b128 v[13:16], v[13:14], off offset:16
	global_load_b128 v[17:20], v[21:22], off
	global_load_b128 v[21:24], v[21:22], off offset:16
	s_waitcnt vmcnt(20)
	v_wmma_f32_16x16x16_bf16 v[116:123], v[49:56], v[108:115], v[100:107]
	s_clause 0x1
	global_load_b128 v[49:52], v[68:69], off
	global_load_b128 v[53:56], v[68:69], off offset:16
	v_and_b32_e32 v68, 0xe0, v0
	v_mbcnt_lo_u32_b32 v69, -1, 0
	s_delay_alu instid0(VALU_DEP_2)
	v_add_nc_u32_e32 v68, s12, v68
	s_waitcnt vmcnt(20)
	v_wmma_f32_16x16x16_bf16 v[100:107], v[76:83], v[108:115], v[100:107]
	ds_load_b128 v[76:79], v70 offset:2048
	ds_load_b128 v[80:83], v70 offset:3072
	v_xor_b32_e32 v70, 16, v69
	s_waitcnt vmcnt(0) lgkmcnt(0)
	v_or_b32_e32 v68, v68, v74
	s_barrier
	buffer_gl0_inv
	v_cmp_gt_i32_e32 vcc_lo, 32, v70
	v_or_b32_e32 v71, 4, v68
	v_or_b32_e32 v72, 6, v68
	v_cmp_gt_i32_e64 s3, s24, v68
	v_or_b32_e32 v108, 8, v68
	v_or_b32_e32 v109, 10, v68
	v_cmp_gt_i32_e64 s4, s24, v71
	v_cmp_gt_i32_e64 s5, s24, v72
	s_delay_alu instid0(VALU_DEP_4) | instskip(NEXT) | instid1(VALU_DEP_4)
	v_cmp_gt_i32_e64 s6, s24, v108
	v_cmp_gt_i32_e64 s7, s24, v109
	v_wmma_f32_16x16x16_bf16 v[116:123], v[84:91], v[76:83], v[116:123]
	v_cndmask_b32_e32 v69, v69, v70, vcc_lo
	v_or_b32_e32 v70, 2, v68
	v_wmma_f32_16x16x16_bf16 v[100:107], v[92:99], v[76:83], v[100:107]
	v_or_b32_e32 v89, 22, v68
	v_dual_mul_f32 v80, s19, v121 :: v_dual_mul_f32 v81, s19, v120
	v_dual_mul_f32 v92, s19, v117 :: v_dual_mul_f32 v93, s19, v116
	s_delay_alu instid0(VALU_DEP_4)
	v_mul_f32_e32 v96, s19, v105
	v_cmp_gt_i32_e32 vcc_lo, s24, v70
	v_dual_mul_f32 v79, s19, v122 :: v_dual_mul_f32 v82, s19, v119
	v_dual_mul_f32 v83, s19, v118 :: v_dual_mul_f32 v94, s19, v107
	v_cndmask_b32_e64 v93, 0xff7fffff, v93, s3
	v_cndmask_b32_e32 v92, 0xff7fffff, v92, vcc_lo
	v_or_b32_e32 v84, 12, v68
	v_or_b32_e32 v85, 14, v68
	v_cndmask_b32_e64 v71, 0xff7fffff, v83, s4
	v_cndmask_b32_e64 v72, 0xff7fffff, v82, s5
	v_cmp_gt_i32_e64 s13, s24, v89
	v_lshlrev_b32_e32 v89, 2, v69
	v_max3_f32 v82, v93, 0xff7fffff, v92
	v_or_b32_e32 v86, 16, v68
	v_or_b32_e32 v87, 18, v68
	v_mul_f32_e32 v78, s19, v123
	v_cndmask_b32_e64 v81, 0xff7fffff, v81, s6
	v_cndmask_b32_e64 v80, 0xff7fffff, v80, s7
	v_max3_f32 v71, v82, v71, v72
	v_cmp_gt_i32_e64 s8, s24, v84
	v_cmp_gt_i32_e64 s9, s24, v85
	v_or_b32_e32 v88, 20, v68
	v_or_b32_e32 v90, 24, v68
	;; [unrolled: 1-line block ×5, first 2 shown]
	v_dual_mul_f32 v97, s19, v104 :: v_dual_mul_f32 v70, s19, v101
	v_dual_mul_f32 v99, s19, v102 :: v_dual_mul_f32 v68, s19, v100
	v_cndmask_b32_e64 v72, 0xff7fffff, v79, s8
	v_cndmask_b32_e64 v78, 0xff7fffff, v78, s9
	v_max3_f32 v71, v71, v81, v80
	v_cmp_gt_i32_e64 s10, s24, v86
	v_cmp_gt_i32_e64 s11, s24, v87
	v_dual_mul_f32 v95, s19, v106 :: v_dual_mul_f32 v98, s19, v103
	s_delay_alu instid0(VALU_DEP_4) | instskip(NEXT) | instid1(VALU_DEP_4)
	v_max3_f32 v71, v71, v72, v78
	v_cndmask_b32_e64 v68, 0xff7fffff, v68, s10
	s_delay_alu instid0(VALU_DEP_4)
	v_cndmask_b32_e64 v70, 0xff7fffff, v70, s11
	v_cmp_gt_i32_e64 s12, s24, v88
	v_cndmask_b32_e64 v78, 0xff7fffff, v98, s13
	v_cmp_gt_i32_e64 s15, s24, v90
	v_cmp_gt_i32_e64 s16, s24, v91
	v_max3_f32 v68, v71, v68, v70
	v_cndmask_b32_e64 v72, 0xff7fffff, v99, s12
	v_cmp_gt_i32_e64 s17, s24, v76
	v_cndmask_b32_e64 v70, 0xff7fffff, v97, s15
	v_cndmask_b32_e64 v71, 0xff7fffff, v96, s16
	v_cmp_gt_i32_e64 s18, s24, v77
	v_max3_f32 v68, v68, v72, v78
	v_cndmask_b32_e64 v72, 0xff7fffff, v95, s17
	s_delay_alu instid0(VALU_DEP_3) | instskip(NEXT) | instid1(VALU_DEP_3)
	v_cndmask_b32_e64 v76, 0xff7fffff, v94, s18
	v_max3_f32 v68, v68, v70, v71
	s_delay_alu instid0(VALU_DEP_1) | instskip(SKIP_3) | instid1(VALU_DEP_1)
	v_max3_f32 v68, v68, v72, v76
	ds_bpermute_b32 v69, v89, v68
	s_waitcnt lgkmcnt(0)
	v_max_f32_e32 v69, v69, v69
	v_max_f32_e32 v68, v68, v69
	s_delay_alu instid0(VALU_DEP_1) | instskip(NEXT) | instid1(VALU_DEP_1)
	v_fma_f32 v71, s19, v118, -v68
	v_mul_f32_e32 v71, 0x3fb8aa3b, v71
	v_fma_f32 v70, s19, v117, -v68
	v_fma_f32 v69, s19, v116, -v68
	;; [unrolled: 1-line block ×5, first 2 shown]
	s_delay_alu instid0(VALU_DEP_4) | instskip(SKIP_1) | instid1(VALU_DEP_3)
	v_dual_mul_f32 v70, 0x3fb8aa3b, v70 :: v_dual_mul_f32 v69, 0x3fb8aa3b, v69
	v_exp_f32_e32 v71, v71
	v_mul_f32_e32 v72, 0x3fb8aa3b, v72
	v_fma_f32 v81, s19, v105, -v68
	s_delay_alu instid0(VALU_DEP_3)
	v_exp_f32_e32 v70, v70
	v_mul_f32_e32 v77, 0x3fb8aa3b, v76
	v_exp_f32_e32 v69, v69
	v_exp_f32_e32 v72, v72
	v_mul_f32_e32 v81, 0x3fb8aa3b, v81
	v_cndmask_b32_e64 v83, 0, v71, s4
	v_fma_f32 v71, s19, v123, -v68
	s_delay_alu instid0(VALU_DEP_3) | instskip(SKIP_4) | instid1(TRANS32_DEP_3)
	v_exp_f32_e32 v81, v81
	v_cndmask_b32_e32 v76, 0, v70, vcc_lo
	v_exp_f32_e32 v77, v77
	v_cndmask_b32_e64 v80, 0, v69, s3
	v_fma_f32 v69, s19, v121, -v68
	v_cndmask_b32_e64 v85, 0, v72, s5
	v_mul_f32_e32 v71, 0x3fb8aa3b, v71
	v_fma_f32 v72, s19, v100, -v68
	s_delay_alu instid0(VALU_DEP_4) | instskip(SKIP_1) | instid1(VALU_DEP_4)
	v_dual_add_f32 v70, 0, v80 :: v_dual_mul_f32 v69, 0x3fb8aa3b, v69
	v_cmp_gt_u32_e64 s3, 16, v67
	v_exp_f32_e32 v71, v71
	s_delay_alu instid0(TRANS32_DEP_2) | instskip(SKIP_4) | instid1(VALU_DEP_3)
	v_cndmask_b32_e64 v86, 0, v77, s6
	v_fma_f32 v77, s19, v101, -v68
	v_mul_f32_e32 v78, 0x3fb8aa3b, v78
	v_add_f32_e32 v70, v70, v76
	v_exp_f32_e32 v69, v69
	v_mul_f32_e32 v77, 0x3fb8aa3b, v77
	s_delay_alu instid0(VALU_DEP_3) | instskip(NEXT) | instid1(TRANS32_DEP_3)
	v_exp_f32_e32 v78, v78
	v_cndmask_b32_e64 v88, 0, v71, s9
	v_fma_f32 v71, s19, v104, -v68
	s_delay_alu instid0(VALU_DEP_3) | instskip(NEXT) | instid1(TRANS32_DEP_3)
	v_exp_f32_e32 v77, v77
	v_cndmask_b32_e64 v87, 0, v69, s7
	s_delay_alu instid0(VALU_DEP_2)
	v_mul_f32_e32 v71, 0x3fb8aa3b, v71
	s_waitcnt_depctr 0xfff
	v_cndmask_b32_e64 v84, 0, v78, s8
	v_add_f32_e32 v70, v70, v83
	v_fma_f32 v78, s19, v103, -v68
	v_exp_f32_e32 v82, v71
	s_delay_alu instid0(VALU_DEP_2) | instskip(SKIP_1) | instid1(VALU_DEP_3)
	v_add_f32_e32 v70, v70, v85
	v_mul_f32_e32 v72, 0x3fb8aa3b, v72
	v_mul_f32_e32 v78, 0x3fb8aa3b, v78
	s_delay_alu instid0(VALU_DEP_3) | instskip(SKIP_1) | instid1(VALU_DEP_4)
	v_add_f32_e32 v69, v70, v86
	v_fma_f32 v70, s19, v102, -v68
	v_exp_f32_e32 v72, v72
	s_delay_alu instid0(VALU_DEP_3) | instskip(NEXT) | instid1(VALU_DEP_1)
	v_exp_f32_e32 v78, v78
	v_dual_add_f32 v69, v69, v87 :: v_dual_mul_f32 v70, 0x3fb8aa3b, v70
	s_delay_alu instid0(VALU_DEP_1) | instskip(NEXT) | instid1(VALU_DEP_2)
	v_add_f32_e32 v69, v69, v84
	v_exp_f32_e32 v79, v70
	s_delay_alu instid0(TRANS32_DEP_3) | instskip(NEXT) | instid1(VALU_DEP_2)
	v_cndmask_b32_e64 v70, 0, v72, s10
	v_add_f32_e32 v72, v69, v88
	v_cndmask_b32_e64 v69, 0, v77, s11
	v_fma_f32 v77, s19, v106, -v68
	s_waitcnt_depctr 0xfff
	v_cndmask_b32_e64 v71, 0, v79, s12
	v_dual_mul_f32 v77, 0x3fb8aa3b, v77 :: v_dual_add_f32 v72, v72, v70
	s_delay_alu instid0(VALU_DEP_1) | instskip(NEXT) | instid1(VALU_DEP_1)
	v_exp_f32_e32 v90, v77
	v_add_f32_e32 v79, v72, v69
	v_cndmask_b32_e64 v72, 0, v78, s13
	v_cndmask_b32_e64 v77, 0, v82, s15
	s_delay_alu instid0(VALU_DEP_3) | instskip(SKIP_1) | instid1(VALU_DEP_1)
	v_add_f32_e32 v78, v79, v71
	v_fma_f32 v79, s19, v107, -v68
	v_dual_add_f32 v82, v78, v72 :: v_dual_mul_f32 v79, 0x3fb8aa3b, v79
	v_cndmask_b32_e64 v78, 0, v81, s16
	s_delay_alu instid0(VALU_DEP_2) | instskip(NEXT) | instid1(VALU_DEP_3)
	v_add_f32_e32 v81, v82, v77
	v_exp_f32_e32 v82, v79
	v_cndmask_b32_e64 v79, 0, v90, s17
	s_delay_alu instid0(VALU_DEP_2) | instskip(NEXT) | instid1(VALU_DEP_1)
	v_add_f32_e32 v81, v81, v78
	v_add_f32_e32 v90, v81, v79
	s_waitcnt_depctr 0xfff
	v_cndmask_b32_e64 v81, 0, v82, s18
	s_delay_alu instid0(VALU_DEP_1)
	v_add_f32_e32 v82, v90, v81
	ds_bpermute_b32 v89, v89, v82
	s_and_saveexec_b32 s4, s3
	s_cbranch_execz .LBB1738_12
; %bb.11:
	v_mul_u32_u24_e32 v67, 0x44, v66
	s_delay_alu instid0(VALU_DEP_1) | instskip(SKIP_1) | instid1(VALU_DEP_1)
	v_lshl_add_u32 v67, v65, 2, v67
	s_waitcnt lgkmcnt(0)
	v_dual_add_f32 v82, v82, v89 :: v_dual_add_nc_u32 v67, 0x4000, v67
	ds_store_2addr_b32 v67, v68, v82 offset1:136
.LBB1738_12:
	s_or_b32 exec_lo, exec_lo, s4
	v_lshlrev_b32_e32 v67, 2, v65
	s_waitcnt lgkmcnt(0)
	s_barrier
	buffer_gl0_inv
	v_cmp_eq_u32_e32 vcc_lo, 1, v66
	v_add_nc_u32_e32 v82, 0x4000, v67
	v_cmp_eq_u32_e64 s4, 2, v66
	v_cmp_eq_u32_e64 s6, 7, v66
	ds_load_2addr_b32 v[89:90], v82 offset1:17
	ds_load_2addr_b32 v[91:92], v82 offset0:34 offset1:51
	ds_load_2addr_b32 v[93:94], v82 offset0:68 offset1:85
	;; [unrolled: 1-line block ×4, first 2 shown]
	s_waitcnt lgkmcnt(4)
	v_max3_f32 v67, v89, 0xff7fffff, v90
	s_waitcnt lgkmcnt(3)
	s_delay_alu instid0(VALU_DEP_1) | instskip(SKIP_1) | instid1(VALU_DEP_1)
	v_max3_f32 v67, v67, v91, v92
	s_waitcnt lgkmcnt(2)
	v_max3_f32 v67, v67, v93, v94
	s_waitcnt lgkmcnt(1)
	s_delay_alu instid0(VALU_DEP_1) | instskip(NEXT) | instid1(VALU_DEP_1)
	v_max3_f32 v67, v67, v95, v96
	v_sub_f32_e32 v93, v93, v67
	s_delay_alu instid0(VALU_DEP_1) | instskip(NEXT) | instid1(VALU_DEP_1)
	v_dual_sub_f32 v68, v89, v67 :: v_dual_mul_f32 v103, 0x3fb8aa3b, v93
	v_mul_f32_e32 v68, 0x3fb8aa3b, v68
	s_delay_alu instid0(VALU_DEP_1)
	v_exp_f32_e32 v100, v68
	v_sub_f32_e32 v68, v92, v67
	v_sub_f32_e32 v99, v90, v67
	ds_load_2addr_b32 v[89:90], v82 offset0:170 offset1:187
	v_dual_mul_f32 v102, 0x3fb8aa3b, v68 :: v_dual_mul_f32 v99, 0x3fb8aa3b, v99
	s_waitcnt lgkmcnt(1)
	v_fma_f32 v68, v100, v97, 0
	s_delay_alu instid0(VALU_DEP_2) | instskip(NEXT) | instid1(VALU_DEP_2)
	v_exp_f32_e32 v102, v102
	v_exp_f32_e32 v99, v99
	s_waitcnt_depctr 0xfff
	v_fmac_f32_e32 v68, v99, v98
	v_sub_f32_e32 v91, v91, v67
	s_delay_alu instid0(VALU_DEP_1)
	v_mul_f32_e32 v101, 0x3fb8aa3b, v91
	ds_load_2addr_b32 v[91:92], v82 offset0:204 offset1:221
	v_sub_f32_e32 v97, v94, v67
	ds_load_2addr_b32 v[93:94], v82 offset0:238 offset1:255
	s_waitcnt lgkmcnt(0)
	v_exp_f32_e32 v101, v101
	s_barrier
	buffer_gl0_inv
	v_dual_fmac_f32 v68, v101, v89 :: v_dual_sub_f32 v89, v96, v67
	v_dual_sub_f32 v82, v95, v67 :: v_dual_mul_f32 v95, 0x3fb8aa3b, v97
	v_exp_f32_e32 v97, v103
	s_delay_alu instid0(VALU_DEP_2) | instskip(NEXT) | instid1(VALU_DEP_2)
	v_dual_fmac_f32 v68, v102, v90 :: v_dual_mul_f32 v89, 0x3fb8aa3b, v89
	v_mul_f32_e32 v82, 0x3fb8aa3b, v82
	s_delay_alu instid0(VALU_DEP_3) | instskip(NEXT) | instid1(VALU_DEP_2)
	v_exp_f32_e32 v95, v95
	v_exp_f32_e32 v89, v89
	s_delay_alu instid0(VALU_DEP_1)
	v_exp_f32_e32 v82, v82
	v_fmac_f32_e32 v68, v97, v91
	s_delay_alu instid0(TRANS32_DEP_3) | instid1(VALU_DEP_1)
	v_fmac_f32_e32 v68, v95, v92
	s_waitcnt_depctr 0xfff
	v_fmac_f32_e32 v68, v82, v93
	s_delay_alu instid0(VALU_DEP_1) | instskip(NEXT) | instid1(VALU_DEP_1)
	v_fmac_f32_e32 v68, v89, v94
	v_add_f32_e32 v90, 0x358637bd, v68
	s_delay_alu instid0(VALU_DEP_1) | instskip(NEXT) | instid1(VALU_DEP_1)
	v_div_scale_f32 v91, null, v90, v90, 1.0
	v_rcp_f32_e32 v92, v91
	s_waitcnt_depctr 0xfff
	v_fma_f32 v93, -v91, v92, 1.0
	s_delay_alu instid0(VALU_DEP_1) | instskip(SKIP_1) | instid1(VALU_DEP_2)
	v_dual_fmac_f32 v92, v93, v92 :: v_dual_cndmask_b32 v93, v100, v99
	v_cmp_eq_u32_e32 vcc_lo, 3, v66
	v_cndmask_b32_e64 v93, v93, v101, s4
	v_cmp_eq_u32_e64 s4, 4, v66
	s_delay_alu instid0(VALU_DEP_2) | instskip(SKIP_1) | instid1(VALU_DEP_2)
	v_cndmask_b32_e32 v93, v93, v102, vcc_lo
	v_cmp_eq_u32_e32 vcc_lo, 5, v66
	v_cndmask_b32_e64 v93, v93, v97, s4
	v_cmp_eq_u32_e64 s4, 6, v66
	s_delay_alu instid0(VALU_DEP_2) | instskip(SKIP_1) | instid1(VALU_DEP_1)
	v_cndmask_b32_e32 v93, v93, v95, vcc_lo
	v_div_scale_f32 v94, s5, 1.0, v90, 1.0
	s_mov_b32 vcc_lo, s5
	s_delay_alu instid0(VALU_DEP_2) | instskip(NEXT) | instid1(VALU_DEP_2)
	v_cndmask_b32_e64 v82, v93, v82, s4
	v_mul_f32_e32 v96, v94, v92
	s_mov_b32 s4, exec_lo
	s_delay_alu instid0(VALU_DEP_2) | instskip(NEXT) | instid1(VALU_DEP_2)
	v_cndmask_b32_e64 v82, v82, v89, s6
	v_fma_f32 v98, -v91, v96, v94
	s_delay_alu instid0(VALU_DEP_1) | instskip(NEXT) | instid1(VALU_DEP_1)
	v_fmac_f32_e32 v96, v98, v92
	v_fma_f32 v91, -v91, v96, v94
	s_delay_alu instid0(VALU_DEP_1) | instskip(NEXT) | instid1(VALU_DEP_1)
	v_div_fmas_f32 v91, v91, v92, v96
	v_div_fixup_f32 v90, v91, v90, 1.0
	s_delay_alu instid0(VALU_DEP_1) | instskip(NEXT) | instid1(VALU_DEP_1)
	v_mul_f32_e32 v82, v82, v90
	v_mul_f32_e32 v87, v82, v87
	;; [unrolled: 1-line block ×7, first 2 shown]
	v_dual_mul_f32 v86, v82, v83 :: v_dual_and_b32 v91, 0x7f800000, v90
	v_mul_f32_e32 v85, v82, v76
                                        ; implicit-def: $vgpr76
	s_delay_alu instid0(VALU_DEP_2)
	v_cmpx_ne_u32_e32 0x7f800000, v91
	s_xor_b32 s4, exec_lo, s4
; %bb.13:
	v_bfe_u32 v76, v90, 16, 1
	s_delay_alu instid0(VALU_DEP_1)
	v_add3_u32 v76, v90, v76, 0x7fff
                                        ; implicit-def: $vgpr90
; %bb.14:
	s_and_not1_saveexec_b32 s4, s4
; %bb.15:
	v_and_b32_e32 v76, 0xffff, v90
	v_or_b32_e32 v83, 0x10000, v90
	s_delay_alu instid0(VALU_DEP_2) | instskip(NEXT) | instid1(VALU_DEP_2)
	v_cmp_eq_u32_e32 vcc_lo, 0, v76
	v_cndmask_b32_e32 v76, v83, v90, vcc_lo
; %bb.16:
	s_or_b32 exec_lo, exec_lo, s4
	v_and_b32_e32 v83, 0x7f800000, v85
	s_delay_alu instid0(VALU_DEP_1) | instskip(SKIP_1) | instid1(SALU_CYCLE_1)
	v_cmp_ne_u32_e32 vcc_lo, 0x7f800000, v83
                                        ; implicit-def: $vgpr83
	s_and_saveexec_b32 s4, vcc_lo
	s_xor_b32 s4, exec_lo, s4
; %bb.17:
	v_bfe_u32 v83, v85, 16, 1
	s_delay_alu instid0(VALU_DEP_1)
	v_add3_u32 v83, v85, v83, 0x7fff
                                        ; implicit-def: $vgpr85
; %bb.18:
	s_and_not1_saveexec_b32 s4, s4
; %bb.19:
	v_and_b32_e32 v83, 0xffff, v85
	v_or_b32_e32 v90, 0x10000, v85
	s_delay_alu instid0(VALU_DEP_2) | instskip(NEXT) | instid1(VALU_DEP_2)
	v_cmp_eq_u32_e32 vcc_lo, 0, v83
	v_cndmask_b32_e32 v83, v90, v85, vcc_lo
; %bb.20:
	s_or_b32 exec_lo, exec_lo, s4
	v_and_b32_e32 v85, 0x7f800000, v86
	s_delay_alu instid0(VALU_DEP_1) | instskip(SKIP_1) | instid1(SALU_CYCLE_1)
	v_cmp_ne_u32_e32 vcc_lo, 0x7f800000, v85
                                        ; implicit-def: $vgpr85
	s_and_saveexec_b32 s4, vcc_lo
	s_xor_b32 s4, exec_lo, s4
; %bb.21:
	v_bfe_u32 v85, v86, 16, 1
	s_delay_alu instid0(VALU_DEP_1)
	v_add3_u32 v85, v86, v85, 0x7fff
                                        ; implicit-def: $vgpr86
; %bb.22:
	s_and_not1_saveexec_b32 s4, s4
; %bb.23:
	v_and_b32_e32 v85, 0xffff, v86
	v_or_b32_e32 v90, 0x10000, v86
	s_delay_alu instid0(VALU_DEP_2) | instskip(NEXT) | instid1(VALU_DEP_2)
	v_cmp_eq_u32_e32 vcc_lo, 0, v85
	v_cndmask_b32_e32 v85, v90, v86, vcc_lo
; %bb.24:
	s_or_b32 exec_lo, exec_lo, s4
	v_and_b32_e32 v86, 0x7f800000, v89
	s_delay_alu instid0(VALU_DEP_1) | instskip(SKIP_1) | instid1(SALU_CYCLE_1)
	v_cmp_ne_u32_e32 vcc_lo, 0x7f800000, v86
                                        ; implicit-def: $vgpr86
	s_and_saveexec_b32 s4, vcc_lo
	s_xor_b32 s4, exec_lo, s4
; %bb.25:
	v_bfe_u32 v86, v89, 16, 1
	s_delay_alu instid0(VALU_DEP_1)
	v_add3_u32 v86, v89, v86, 0x7fff
                                        ; implicit-def: $vgpr89
; %bb.26:
	s_and_not1_saveexec_b32 s4, s4
; %bb.27:
	v_and_b32_e32 v86, 0xffff, v89
	v_or_b32_e32 v90, 0x10000, v89
	s_delay_alu instid0(VALU_DEP_2) | instskip(NEXT) | instid1(VALU_DEP_2)
	v_cmp_eq_u32_e32 vcc_lo, 0, v86
	v_cndmask_b32_e32 v86, v90, v89, vcc_lo
; %bb.28:
	s_or_b32 exec_lo, exec_lo, s4
	v_and_b32_e32 v89, 0x7f800000, v88
	s_delay_alu instid0(VALU_DEP_1) | instskip(SKIP_1) | instid1(SALU_CYCLE_1)
	v_cmp_ne_u32_e32 vcc_lo, 0x7f800000, v89
                                        ; implicit-def: $vgpr89
	s_and_saveexec_b32 s4, vcc_lo
	s_xor_b32 s4, exec_lo, s4
; %bb.29:
	v_bfe_u32 v89, v88, 16, 1
	s_delay_alu instid0(VALU_DEP_1)
	v_add3_u32 v89, v88, v89, 0x7fff
                                        ; implicit-def: $vgpr88
; %bb.30:
	s_and_not1_saveexec_b32 s4, s4
; %bb.31:
	v_and_b32_e32 v89, 0xffff, v88
	v_or_b32_e32 v90, 0x10000, v88
	s_delay_alu instid0(VALU_DEP_2) | instskip(NEXT) | instid1(VALU_DEP_2)
	v_cmp_eq_u32_e32 vcc_lo, 0, v89
	v_cndmask_b32_e32 v89, v90, v88, vcc_lo
; %bb.32:
	s_or_b32 exec_lo, exec_lo, s4
	v_and_b32_e32 v88, 0x7f800000, v87
	s_delay_alu instid0(VALU_DEP_1) | instskip(SKIP_1) | instid1(SALU_CYCLE_1)
	v_cmp_ne_u32_e32 vcc_lo, 0x7f800000, v88
                                        ; implicit-def: $vgpr88
	s_and_saveexec_b32 s4, vcc_lo
	s_xor_b32 s4, exec_lo, s4
; %bb.33:
	v_bfe_u32 v88, v87, 16, 1
	s_delay_alu instid0(VALU_DEP_1)
	v_add3_u32 v88, v87, v88, 0x7fff
                                        ; implicit-def: $vgpr87
; %bb.34:
	s_and_not1_saveexec_b32 s4, s4
; %bb.35:
	v_and_b32_e32 v88, 0xffff, v87
	v_or_b32_e32 v90, 0x10000, v87
	s_delay_alu instid0(VALU_DEP_2) | instskip(NEXT) | instid1(VALU_DEP_2)
	v_cmp_eq_u32_e32 vcc_lo, 0, v88
	v_cndmask_b32_e32 v88, v90, v87, vcc_lo
; %bb.36:
	s_or_b32 exec_lo, exec_lo, s4
	v_and_b32_e32 v87, 0x7f800000, v84
	s_delay_alu instid0(VALU_DEP_1) | instskip(SKIP_1) | instid1(SALU_CYCLE_1)
	v_cmp_ne_u32_e32 vcc_lo, 0x7f800000, v87
                                        ; implicit-def: $vgpr87
	s_and_saveexec_b32 s4, vcc_lo
	s_xor_b32 s4, exec_lo, s4
; %bb.37:
	v_bfe_u32 v87, v84, 16, 1
	s_delay_alu instid0(VALU_DEP_1)
	v_add3_u32 v87, v84, v87, 0x7fff
                                        ; implicit-def: $vgpr84
; %bb.38:
	s_and_not1_saveexec_b32 s4, s4
; %bb.39:
	v_and_b32_e32 v87, 0xffff, v84
	v_or_b32_e32 v90, 0x10000, v84
	s_delay_alu instid0(VALU_DEP_2) | instskip(NEXT) | instid1(VALU_DEP_2)
	v_cmp_eq_u32_e32 vcc_lo, 0, v87
	v_cndmask_b32_e32 v87, v90, v84, vcc_lo
; %bb.40:
	s_or_b32 exec_lo, exec_lo, s4
	v_and_b32_e32 v84, 0x7f800000, v80
	s_delay_alu instid0(VALU_DEP_1) | instskip(SKIP_1) | instid1(SALU_CYCLE_1)
	v_cmp_ne_u32_e32 vcc_lo, 0x7f800000, v84
                                        ; implicit-def: $vgpr84
	s_and_saveexec_b32 s4, vcc_lo
	s_xor_b32 s4, exec_lo, s4
; %bb.41:
	v_bfe_u32 v84, v80, 16, 1
	s_delay_alu instid0(VALU_DEP_1)
	v_add3_u32 v84, v80, v84, 0x7fff
                                        ; implicit-def: $vgpr80
; %bb.42:
	s_and_not1_saveexec_b32 s4, s4
; %bb.43:
	v_and_b32_e32 v84, 0xffff, v80
	v_or_b32_e32 v90, 0x10000, v80
	s_delay_alu instid0(VALU_DEP_2) | instskip(NEXT) | instid1(VALU_DEP_2)
	v_cmp_eq_u32_e32 vcc_lo, 0, v84
	v_cndmask_b32_e32 v84, v90, v80, vcc_lo
; %bb.44:
	s_or_b32 exec_lo, exec_lo, s4
	s_load_b64 s[36:37], s[0:1], 0x94
	v_lshlrev_b32_e32 v91, 4, v74
	s_delay_alu instid0(VALU_DEP_2)
	v_perm_b32 v90, v84, v87, 0x7060302
	v_dual_mul_f32 v79, v82, v79 :: v_dual_lshlrev_b32 v80, 6, v65
	v_dual_mul_f32 v77, v82, v77 :: v_dual_lshlrev_b32 v92, 11, v66
	v_mul_f32_e32 v84, v82, v70
	v_perm_b32 v89, v88, v89, 0x7060302
	v_perm_b32 v88, v86, v85, 0x7060302
	;; [unrolled: 1-line block ×3, first 2 shown]
	v_mul_f32_e32 v70, v82, v81
	v_or3_b32 v76, v91, v92, v80
	v_dual_mul_f32 v78, v82, v78 :: v_dual_and_b32 v85, 0x7f800000, v84
	v_mul_f32_e32 v83, v82, v72
	v_mul_f32_e32 v81, v82, v71
	v_mul_f32_e32 v72, v82, v69
	s_mov_b32 s4, exec_lo
	ds_store_b128 v76, v[87:90]
                                        ; implicit-def: $vgpr69
	v_cmpx_ne_u32_e32 0x7f800000, v85
	s_xor_b32 s4, exec_lo, s4
; %bb.45:
	v_bfe_u32 v69, v84, 16, 1
	s_delay_alu instid0(VALU_DEP_1)
	v_add3_u32 v69, v84, v69, 0x7fff
                                        ; implicit-def: $vgpr84
; %bb.46:
	s_and_not1_saveexec_b32 s4, s4
; %bb.47:
	v_and_b32_e32 v69, 0xffff, v84
	v_or_b32_e32 v71, 0x10000, v84
	s_delay_alu instid0(VALU_DEP_2) | instskip(NEXT) | instid1(VALU_DEP_2)
	v_cmp_eq_u32_e32 vcc_lo, 0, v69
	v_cndmask_b32_e32 v69, v71, v84, vcc_lo
; %bb.48:
	s_or_b32 exec_lo, exec_lo, s4
	v_and_b32_e32 v71, 0x7f800000, v72
	s_delay_alu instid0(VALU_DEP_1) | instskip(SKIP_1) | instid1(SALU_CYCLE_1)
	v_cmp_ne_u32_e32 vcc_lo, 0x7f800000, v71
                                        ; implicit-def: $vgpr71
	s_and_saveexec_b32 s4, vcc_lo
	s_xor_b32 s4, exec_lo, s4
; %bb.49:
	v_bfe_u32 v71, v72, 16, 1
	s_delay_alu instid0(VALU_DEP_1)
	v_add3_u32 v71, v72, v71, 0x7fff
                                        ; implicit-def: $vgpr72
; %bb.50:
	s_and_not1_saveexec_b32 s4, s4
; %bb.51:
	v_and_b32_e32 v71, 0xffff, v72
	v_or_b32_e32 v82, 0x10000, v72
	s_delay_alu instid0(VALU_DEP_2) | instskip(NEXT) | instid1(VALU_DEP_2)
	v_cmp_eq_u32_e32 vcc_lo, 0, v71
	v_cndmask_b32_e32 v71, v82, v72, vcc_lo
; %bb.52:
	s_or_b32 exec_lo, exec_lo, s4
	v_and_b32_e32 v72, 0x7f800000, v81
	s_delay_alu instid0(VALU_DEP_1) | instskip(SKIP_1) | instid1(SALU_CYCLE_1)
	v_cmp_ne_u32_e32 vcc_lo, 0x7f800000, v72
                                        ; implicit-def: $vgpr72
	s_and_saveexec_b32 s4, vcc_lo
	s_xor_b32 s4, exec_lo, s4
; %bb.53:
	v_bfe_u32 v72, v81, 16, 1
	s_delay_alu instid0(VALU_DEP_1)
	v_add3_u32 v72, v81, v72, 0x7fff
                                        ; implicit-def: $vgpr81
; %bb.54:
	s_and_not1_saveexec_b32 s4, s4
; %bb.55:
	v_and_b32_e32 v72, 0xffff, v81
	v_or_b32_e32 v82, 0x10000, v81
	s_delay_alu instid0(VALU_DEP_2) | instskip(NEXT) | instid1(VALU_DEP_2)
	v_cmp_eq_u32_e32 vcc_lo, 0, v72
	v_cndmask_b32_e32 v72, v82, v81, vcc_lo
; %bb.56:
	s_or_b32 exec_lo, exec_lo, s4
	v_and_b32_e32 v81, 0x7f800000, v83
	s_delay_alu instid0(VALU_DEP_1) | instskip(SKIP_1) | instid1(SALU_CYCLE_1)
	v_cmp_ne_u32_e32 vcc_lo, 0x7f800000, v81
                                        ; implicit-def: $vgpr81
	s_and_saveexec_b32 s4, vcc_lo
	s_xor_b32 s4, exec_lo, s4
; %bb.57:
	v_bfe_u32 v81, v83, 16, 1
	s_delay_alu instid0(VALU_DEP_1)
	v_add3_u32 v81, v83, v81, 0x7fff
                                        ; implicit-def: $vgpr83
; %bb.58:
	s_and_not1_saveexec_b32 s4, s4
; %bb.59:
	v_and_b32_e32 v81, 0xffff, v83
	v_or_b32_e32 v82, 0x10000, v83
	s_delay_alu instid0(VALU_DEP_2) | instskip(NEXT) | instid1(VALU_DEP_2)
	v_cmp_eq_u32_e32 vcc_lo, 0, v81
	v_cndmask_b32_e32 v81, v82, v83, vcc_lo
; %bb.60:
	s_or_b32 exec_lo, exec_lo, s4
	v_and_b32_e32 v82, 0x7f800000, v77
	s_delay_alu instid0(VALU_DEP_1) | instskip(SKIP_1) | instid1(SALU_CYCLE_1)
	v_cmp_ne_u32_e32 vcc_lo, 0x7f800000, v82
                                        ; implicit-def: $vgpr82
	s_and_saveexec_b32 s4, vcc_lo
	s_xor_b32 s4, exec_lo, s4
; %bb.61:
	v_bfe_u32 v82, v77, 16, 1
	s_delay_alu instid0(VALU_DEP_1)
	v_add3_u32 v82, v77, v82, 0x7fff
                                        ; implicit-def: $vgpr77
; %bb.62:
	s_and_not1_saveexec_b32 s4, s4
; %bb.63:
	v_and_b32_e32 v82, 0xffff, v77
	v_or_b32_e32 v83, 0x10000, v77
	s_delay_alu instid0(VALU_DEP_2) | instskip(NEXT) | instid1(VALU_DEP_2)
	v_cmp_eq_u32_e32 vcc_lo, 0, v82
	v_cndmask_b32_e32 v82, v83, v77, vcc_lo
; %bb.64:
	s_or_b32 exec_lo, exec_lo, s4
	v_and_b32_e32 v77, 0x7f800000, v78
	s_delay_alu instid0(VALU_DEP_1) | instskip(SKIP_1) | instid1(SALU_CYCLE_1)
	v_cmp_ne_u32_e32 vcc_lo, 0x7f800000, v77
                                        ; implicit-def: $vgpr77
	s_and_saveexec_b32 s4, vcc_lo
	s_xor_b32 s4, exec_lo, s4
; %bb.65:
	v_bfe_u32 v77, v78, 16, 1
	s_delay_alu instid0(VALU_DEP_1)
	v_add3_u32 v77, v78, v77, 0x7fff
                                        ; implicit-def: $vgpr78
; %bb.66:
	s_and_not1_saveexec_b32 s4, s4
; %bb.67:
	v_and_b32_e32 v77, 0xffff, v78
	v_or_b32_e32 v83, 0x10000, v78
	s_delay_alu instid0(VALU_DEP_2) | instskip(NEXT) | instid1(VALU_DEP_2)
	v_cmp_eq_u32_e32 vcc_lo, 0, v77
	v_cndmask_b32_e32 v77, v83, v78, vcc_lo
; %bb.68:
	s_or_b32 exec_lo, exec_lo, s4
	v_and_b32_e32 v78, 0x7f800000, v79
	s_delay_alu instid0(VALU_DEP_1) | instskip(SKIP_1) | instid1(SALU_CYCLE_1)
	v_cmp_ne_u32_e32 vcc_lo, 0x7f800000, v78
                                        ; implicit-def: $vgpr78
	s_and_saveexec_b32 s4, vcc_lo
	s_xor_b32 s4, exec_lo, s4
; %bb.69:
	v_bfe_u32 v78, v79, 16, 1
	s_delay_alu instid0(VALU_DEP_1)
	v_add3_u32 v78, v79, v78, 0x7fff
                                        ; implicit-def: $vgpr79
; %bb.70:
	s_and_not1_saveexec_b32 s4, s4
; %bb.71:
	v_and_b32_e32 v78, 0xffff, v79
	v_or_b32_e32 v83, 0x10000, v79
	s_delay_alu instid0(VALU_DEP_2) | instskip(NEXT) | instid1(VALU_DEP_2)
	v_cmp_eq_u32_e32 vcc_lo, 0, v78
	v_cndmask_b32_e32 v78, v83, v79, vcc_lo
; %bb.72:
	s_or_b32 exec_lo, exec_lo, s4
	v_and_b32_e32 v79, 0x7f800000, v70
	s_delay_alu instid0(VALU_DEP_1) | instskip(SKIP_1) | instid1(SALU_CYCLE_1)
	v_cmp_ne_u32_e32 vcc_lo, 0x7f800000, v79
                                        ; implicit-def: $vgpr79
	s_and_saveexec_b32 s4, vcc_lo
	s_xor_b32 s4, exec_lo, s4
; %bb.73:
	v_bfe_u32 v79, v70, 16, 1
	s_delay_alu instid0(VALU_DEP_1)
	v_add3_u32 v79, v70, v79, 0x7fff
                                        ; implicit-def: $vgpr70
; %bb.74:
	s_and_not1_saveexec_b32 s4, s4
; %bb.75:
	v_and_b32_e32 v79, 0xffff, v70
	v_or_b32_e32 v83, 0x10000, v70
	s_delay_alu instid0(VALU_DEP_2) | instskip(NEXT) | instid1(VALU_DEP_2)
	v_cmp_eq_u32_e32 vcc_lo, 0, v79
	v_cndmask_b32_e32 v79, v83, v70, vcc_lo
; %bb.76:
	s_or_b32 exec_lo, exec_lo, s4
	s_delay_alu instid0(VALU_DEP_1)
	v_perm_b32 v86, v79, v78, 0x7060302
	v_perm_b32 v85, v77, v82, 0x7060302
	v_perm_b32 v84, v81, v72, 0x7060302
	v_perm_b32 v83, v71, v69, 0x7060302
	v_lshl_or_b32 v82, v66, 11, v80
	ds_store_b128 v76, v[83:86] offset:1024
	s_waitcnt lgkmcnt(0)
	s_barrier
	buffer_gl0_inv
	ds_load_b128 v[69:72], v82
	ds_load_b128 v[83:86], v82 offset:16
	s_waitcnt lgkmcnt(1)
	v_lshrrev_b32_e32 v66, 16, v69
	s_waitcnt lgkmcnt(0)
	v_lshrrev_b32_e32 v91, 16, v83
	v_lshlrev_b32_e32 v78, 2, v74
	v_lshrrev_b32_e32 v95, 16, v70
	v_lshrrev_b32_e32 v98, 16, v84
	;; [unrolled: 1-line block ×4, first 2 shown]
	v_cmp_eq_u32_e32 vcc_lo, 1, v78
	v_lshrrev_b32_e32 v97, 16, v72
	v_lshrrev_b32_e32 v100, 16, v86
	v_cndmask_b32_e32 v87, v83, v91, vcc_lo
	v_or_b32_e32 v79, 1, v78
	v_cndmask_b32_e32 v81, v69, v66, vcc_lo
	v_cmp_eq_u32_e64 s5, 2, v78
	v_cmp_eq_u32_e64 s8, 3, v78
	;; [unrolled: 1-line block ×5, first 2 shown]
	v_cndmask_b32_e64 v81, v81, v70, s5
	v_cndmask_b32_e64 v87, v87, v84, s5
	v_cmp_eq_u32_e64 s9, 3, v79
	v_cndmask_b32_e64 v88, v69, v66, s4
	v_or_b32_e32 v77, 2, v78
	v_cndmask_b32_e64 v81, v81, v95, s8
	v_cndmask_b32_e64 v87, v87, v98, s8
	;; [unrolled: 1-line block ×4, first 2 shown]
	v_cmp_eq_u32_e64 s11, 5, v78
	v_cndmask_b32_e64 v81, v81, v71, s10
	v_cndmask_b32_e64 v87, v87, v85, s10
	v_cmp_eq_u32_e64 s12, 4, v79
	v_cndmask_b32_e64 v88, v88, v95, s9
	v_cmp_eq_u32_e64 s6, 1, v77
	v_cndmask_b32_e64 v89, v89, v84, s7
	v_cndmask_b32_e64 v81, v81, v96, s11
	v_cmp_eq_u32_e64 s13, 6, v78
	v_cndmask_b32_e64 v88, v88, v71, s12
	;; [unrolled: 3-line block ×3, first 2 shown]
	v_cndmask_b32_e64 v89, v89, v98, s9
	v_cndmask_b32_e64 v81, v81, v72, s13
	v_cmp_eq_u32_e64 s16, 7, v78
	v_cndmask_b32_e64 v88, v88, v96, s15
	v_cndmask_b32_e64 v87, v87, v86, s13
	v_cmp_eq_u32_e64 s17, 6, v79
	v_cmp_eq_u32_e64 s18, 2, v77
	v_cndmask_b32_e64 v89, v89, v85, s12
	v_cndmask_b32_e64 v101, v81, v97, s16
	;; [unrolled: 1-line block ×6, first 2 shown]
	v_cmp_eq_u32_e64 s19, 7, v79
	v_cmp_eq_u32_e64 s20, 3, v77
	;; [unrolled: 1-line block ×4, first 2 shown]
	v_cndmask_b32_e64 v87, v87, v84, s18
	v_cndmask_b32_e64 v103, v88, v97, s19
	;; [unrolled: 1-line block ×4, first 2 shown]
	v_or_b32_e32 v81, 3, v78
	v_cndmask_b32_e64 v93, v87, v98, s20
	v_cmp_eq_u32_e64 s25, 6, v77
	v_cndmask_b32_e64 v104, v88, v86, s17
	v_cndmask_b32_e64 v92, v89, v71, s21
	v_cmp_eq_u32_e64 s22, 1, v81
	ds_load_b128 v[87:90], v82 offset:1024
	v_cmp_eq_u32_e64 s24, 2, v81
	v_cmp_eq_u32_e64 s26, 3, v81
	v_cndmask_b32_e64 v105, v92, v96, s23
	v_cndmask_b32_e64 v66, v69, v66, s22
	;; [unrolled: 1-line block ×4, first 2 shown]
	ds_load_b128 v[91:94], v82 offset:1040
	v_cmp_eq_u32_e64 s27, 4, v81
	v_cndmask_b32_e64 v66, v66, v70, s24
	v_cmp_eq_u32_e64 s28, 7, v77
	v_cndmask_b32_e64 v70, v83, v84, s24
	v_cndmask_b32_e64 v84, v105, v72, s25
	v_cmp_eq_u32_e64 s29, 5, v81
	v_cndmask_b32_e64 v66, v66, v95, s26
	v_cmp_eq_u32_e64 s30, 6, v81
	v_cndmask_b32_e64 v70, v70, v98, s26
	v_cndmask_b32_e64 v69, v69, v99, s23
	;; [unrolled: 1-line block ×4, first 2 shown]
	s_waitcnt lgkmcnt(1)
	v_lshrrev_b32_e32 v95, 16, v87
	v_cndmask_b32_e64 v70, v70, v85, s27
	v_cndmask_b32_e64 v71, v84, v97, s28
	;; [unrolled: 1-line block ×4, first 2 shown]
	v_cndmask_b32_e32 v84, v87, v95, vcc_lo
	v_cndmask_b32_e64 v70, v70, v99, s29
	s_waitcnt lgkmcnt(0)
	v_lshrrev_b32_e32 v85, 16, v91
	v_lshrrev_b32_e32 v96, 16, v88
	v_cndmask_b32_e64 v98, v87, v95, s4
	v_cndmask_b32_e64 v84, v84, v88, s5
	;; [unrolled: 1-line block ×3, first 2 shown]
	v_cndmask_b32_e32 v99, v91, v85, vcc_lo
	v_cmp_eq_u32_e32 vcc_lo, 7, v81
	v_cndmask_b32_e64 v66, v66, v72, s30
	v_cndmask_b32_e64 v72, v84, v96, s8
	;; [unrolled: 1-line block ×3, first 2 shown]
	v_lshrrev_b32_e32 v98, 16, v92
	v_cndmask_b32_e32 v70, v70, v100, vcc_lo
	v_cndmask_b32_e64 v86, v99, v92, s5
	v_cndmask_b32_e64 v69, v69, v100, s28
	v_lshrrev_b32_e32 v100, 16, v93
	v_cndmask_b32_e64 v72, v72, v89, s10
	v_lshrrev_b32_e32 v99, 16, v89
	v_cndmask_b32_e64 v86, v86, v98, s8
	v_perm_b32 v71, v69, v71, 0x5040100
	v_cndmask_b32_e64 v84, v84, v96, s9
	s_delay_alu instid0(VALU_DEP_3) | instskip(NEXT) | instid1(VALU_DEP_2)
	v_cndmask_b32_e64 v86, v86, v93, s10
	v_cndmask_b32_e64 v84, v84, v89, s12
	s_delay_alu instid0(VALU_DEP_2) | instskip(NEXT) | instid1(VALU_DEP_1)
	v_cndmask_b32_e64 v86, v86, v100, s11
	v_cndmask_b32_e64 v69, v86, v94, s13
	;; [unrolled: 1-line block ×5, first 2 shown]
	s_delay_alu instid0(VALU_DEP_3) | instskip(NEXT) | instid1(VALU_DEP_3)
	v_cndmask_b32_e64 v86, v86, v88, s18
	v_cndmask_b32_e64 v87, v87, v88, s24
	s_delay_alu instid0(VALU_DEP_3) | instskip(NEXT) | instid1(VALU_DEP_3)
	v_cndmask_b32_e64 v88, v95, v92, s24
	v_cndmask_b32_e64 v86, v86, v96, s20
	s_delay_alu instid0(VALU_DEP_3) | instskip(NEXT) | instid1(VALU_DEP_3)
	v_cndmask_b32_e64 v87, v87, v96, s26
	v_cndmask_b32_e64 v88, v88, v98, s26
	s_delay_alu instid0(VALU_DEP_3) | instskip(NEXT) | instid1(VALU_DEP_3)
	v_cndmask_b32_e64 v86, v86, v89, s21
	v_cndmask_b32_e64 v87, v87, v89, s27
	s_delay_alu instid0(VALU_DEP_3) | instskip(NEXT) | instid1(VALU_DEP_3)
	v_cndmask_b32_e64 v88, v88, v93, s27
	v_cndmask_b32_e64 v86, v86, v99, s23
	s_delay_alu instid0(VALU_DEP_3) | instskip(NEXT) | instid1(VALU_DEP_3)
	v_cndmask_b32_e64 v87, v87, v99, s29
	v_cndmask_b32_e64 v88, v88, v100, s29
	s_delay_alu instid0(VALU_DEP_3) | instskip(NEXT) | instid1(VALU_DEP_3)
	v_cndmask_b32_e64 v86, v86, v90, s25
	v_cndmask_b32_e64 v87, v87, v90, s30
	s_delay_alu instid0(VALU_DEP_3) | instskip(SKIP_2) | instid1(VALU_DEP_2)
	v_cndmask_b32_e64 v88, v88, v94, s30
	v_cndmask_b32_e32 v66, v66, v97, vcc_lo
	v_cndmask_b32_e64 v97, v72, v99, s11
	v_perm_b32 v72, v70, v66, 0x5040100
	v_perm_b32 v70, v83, v103, 0x5040100
	v_cndmask_b32_e64 v103, v91, v85, s6
	v_cndmask_b32_e64 v85, v91, v85, s4
	;; [unrolled: 1-line block ×4, first 2 shown]
	v_lshrrev_b32_e32 v97, 16, v90
	v_cndmask_b32_e64 v91, v103, v92, s18
	v_cndmask_b32_e64 v85, v85, v92, s7
	;; [unrolled: 1-line block ×3, first 2 shown]
	s_mov_b32 s4, exec_lo
	v_cndmask_b32_e64 v83, v84, v97, s16
	v_cndmask_b32_e64 v91, v91, v98, s20
	;; [unrolled: 1-line block ×3, first 2 shown]
	v_lshrrev_b32_e32 v84, 16, v94
	v_cndmask_b32_e64 v66, v66, v97, s19
	v_cndmask_b32_e64 v90, v86, v97, s28
	;; [unrolled: 1-line block ×4, first 2 shown]
	v_dual_cndmask_b32 v86, v87, v97 :: v_dual_cndmask_b32 v87, v88, v84
	v_cndmask_b32_e64 v91, v69, v84, s16
	s_delay_alu instid0(VALU_DEP_4) | instskip(NEXT) | instid1(VALU_DEP_4)
	v_cndmask_b32_e64 v89, v89, v100, s23
	v_cndmask_b32_e64 v85, v85, v100, s15
	v_perm_b32 v69, v102, v101, 0x5040100
	v_perm_b32 v86, v87, v86, 0x5040100
	;; [unrolled: 1-line block ×3, first 2 shown]
	v_cndmask_b32_e64 v89, v89, v94, s25
	v_cndmask_b32_e64 v85, v85, v94, s17
	s_mul_i32 s9, s37, 13
	s_delay_alu instid0(VALU_DEP_2) | instskip(NEXT) | instid1(VALU_DEP_2)
	v_cndmask_b32_e64 v88, v89, v84, s28
	v_cndmask_b32_e64 v89, v85, v84, s19
	s_delay_alu instid0(VALU_DEP_2) | instskip(NEXT) | instid1(VALU_DEP_2)
	v_perm_b32 v85, v88, v90, 0x5040100
	v_perm_b32 v84, v89, v66, 0x5040100
	ds_store_b128 v76, v[69:72]
	ds_store_b128 v76, v[83:86] offset:1024
	v_cmpx_gt_u32_e32 13, v0
	s_cbranch_execz .LBB1738_78
; %bb.77:
	s_mul_i32 s5, s9, s34
	s_load_b128 s[16:19], s[0:1], 0x58
	v_add3_u32 v69, s5, s31, v65
	s_delay_alu instid0(VALU_DEP_1) | instskip(NEXT) | instid1(VALU_DEP_1)
	v_mad_u64_u32 v[65:66], null, v69, s36, s[14:15]
	v_ashrrev_i32_e32 v66, 31, v65
	s_delay_alu instid0(VALU_DEP_1) | instskip(SKIP_1) | instid1(VALU_DEP_1)
	v_lshlrev_b64 v[65:66], 2, v[65:66]
	s_waitcnt lgkmcnt(0)
	v_add_co_u32 v69, vcc_lo, s18, v65
	s_delay_alu instid0(VALU_DEP_2)
	v_add_co_ci_u32_e32 v70, vcc_lo, s19, v66, vcc_lo
	v_add_co_u32 v65, vcc_lo, s16, v65
	v_add_co_ci_u32_e32 v66, vcc_lo, s17, v66, vcc_lo
	global_store_b32 v[69:70], v67, off
	global_store_b32 v[65:66], v68, off
.LBB1738_78:
	s_or_b32 exec_lo, exec_lo, s4
	s_waitcnt lgkmcnt(0)
	s_waitcnt_vscnt null, 0x0
	s_barrier
	buffer_gl0_inv
	ds_load_b128 v[83:86], v80
	ds_load_b128 v[87:90], v80 offset:16
	ds_load_b128 v[95:98], v80 offset:2064
	;; [unrolled: 1-line block ×3, first 2 shown]
	v_mov_b32_e32 v65, 0
	ds_load_b128 v[103:106], v80 offset:4112
	ds_load_b128 v[99:102], v80 offset:4096
	;; [unrolled: 1-line block ×4, first 2 shown]
	v_mov_b32_e32 v66, v65
	v_mov_b32_e32 v67, v65
	;; [unrolled: 1-line block ×7, first 2 shown]
	s_waitcnt lgkmcnt(6)
	s_delay_alu instid0(VALU_DEP_1)
	v_wmma_f32_16x16x16_bf16 v[65:72], v[57:64], v[83:90], v[65:72]
	ds_load_b128 v[61:64], v80 offset:8208
	ds_load_b128 v[57:60], v80 offset:8192
	s_waitcnt lgkmcnt(6)
	v_wmma_f32_16x16x16_bf16 v[65:72], v[41:48], v[91:98], v[65:72]
	ds_load_b128 v[45:48], v80 offset:10256
	ds_load_b128 v[41:44], v80 offset:10240
	s_waitcnt lgkmcnt(6)
	v_wmma_f32_16x16x16_bf16 v[65:72], v[33:40], v[99:106], v[65:72]
	ds_load_b128 v[37:40], v80 offset:12304
	ds_load_b128 v[33:36], v80 offset:12288
	s_waitcnt lgkmcnt(6)
	v_wmma_f32_16x16x16_bf16 v[65:72], v[25:32], v[107:114], v[65:72]
	ds_load_b128 v[29:32], v80 offset:14352
	ds_load_b128 v[25:28], v80 offset:14336
	s_waitcnt lgkmcnt(6)
	v_wmma_f32_16x16x16_bf16 v[65:72], v[1:8], v[57:64], v[65:72]
	s_waitcnt lgkmcnt(4)
	s_delay_alu instid0(VALU_DEP_1) | instskip(SKIP_1) | instid1(VALU_DEP_1)
	v_wmma_f32_16x16x16_bf16 v[65:72], v[9:16], v[41:48], v[65:72]
	s_waitcnt lgkmcnt(2)
	v_wmma_f32_16x16x16_bf16 v[65:72], v[17:24], v[33:40], v[65:72]
	s_waitcnt lgkmcnt(0)
	s_delay_alu instid0(VALU_DEP_1) | instskip(NEXT) | instid1(VALU_DEP_1)
	v_wmma_f32_16x16x16_bf16 v[65:72], v[49:56], v[25:32], v[65:72]
	v_and_b32_e32 v1, 0x7f800000, v65
	s_delay_alu instid0(VALU_DEP_1) | instskip(SKIP_1) | instid1(SALU_CYCLE_1)
	v_cmp_ne_u32_e32 vcc_lo, 0x7f800000, v1
                                        ; implicit-def: $vgpr1
	s_and_saveexec_b32 s4, vcc_lo
	s_xor_b32 s4, exec_lo, s4
; %bb.79:
	v_bfe_u32 v1, v65, 16, 1
	s_delay_alu instid0(VALU_DEP_1)
	v_add3_u32 v1, v65, v1, 0x7fff
; %bb.80:
	s_and_not1_saveexec_b32 s4, s4
; %bb.81:
	v_and_b32_e32 v1, 0xffff, v65
	v_or_b32_e32 v2, 0x10000, v65
	s_delay_alu instid0(VALU_DEP_2) | instskip(NEXT) | instid1(VALU_DEP_2)
	v_cmp_eq_u32_e32 vcc_lo, 0, v1
	v_cndmask_b32_e32 v1, v2, v65, vcc_lo
; %bb.82:
	s_or_b32 exec_lo, exec_lo, s4
	v_and_b32_e32 v2, 0x7f800000, v66
	s_delay_alu instid0(VALU_DEP_1) | instskip(SKIP_1) | instid1(SALU_CYCLE_1)
	v_cmp_ne_u32_e32 vcc_lo, 0x7f800000, v2
                                        ; implicit-def: $vgpr2
	s_and_saveexec_b32 s4, vcc_lo
	s_xor_b32 s4, exec_lo, s4
; %bb.83:
	v_bfe_u32 v2, v66, 16, 1
	s_delay_alu instid0(VALU_DEP_1)
	v_add3_u32 v2, v66, v2, 0x7fff
; %bb.84:
	s_and_not1_saveexec_b32 s4, s4
; %bb.85:
	v_and_b32_e32 v2, 0xffff, v66
	v_or_b32_e32 v3, 0x10000, v66
	s_delay_alu instid0(VALU_DEP_2) | instskip(NEXT) | instid1(VALU_DEP_2)
	v_cmp_eq_u32_e32 vcc_lo, 0, v2
	v_cndmask_b32_e32 v2, v3, v66, vcc_lo
; %bb.86:
	s_or_b32 exec_lo, exec_lo, s4
	v_and_b32_e32 v3, 0x7f800000, v67
	s_delay_alu instid0(VALU_DEP_1) | instskip(SKIP_1) | instid1(SALU_CYCLE_1)
	v_cmp_ne_u32_e32 vcc_lo, 0x7f800000, v3
                                        ; implicit-def: $vgpr3
	s_and_saveexec_b32 s4, vcc_lo
	s_xor_b32 s4, exec_lo, s4
; %bb.87:
	v_bfe_u32 v3, v67, 16, 1
	s_delay_alu instid0(VALU_DEP_1)
	v_add3_u32 v3, v67, v3, 0x7fff
; %bb.88:
	s_and_not1_saveexec_b32 s4, s4
; %bb.89:
	v_and_b32_e32 v3, 0xffff, v67
	v_or_b32_e32 v4, 0x10000, v67
	s_delay_alu instid0(VALU_DEP_2) | instskip(NEXT) | instid1(VALU_DEP_2)
	v_cmp_eq_u32_e32 vcc_lo, 0, v3
	v_cndmask_b32_e32 v3, v4, v67, vcc_lo
; %bb.90:
	s_or_b32 exec_lo, exec_lo, s4
	v_and_b32_e32 v4, 0x7f800000, v68
	s_delay_alu instid0(VALU_DEP_1) | instskip(SKIP_1) | instid1(SALU_CYCLE_1)
	v_cmp_ne_u32_e32 vcc_lo, 0x7f800000, v4
                                        ; implicit-def: $vgpr4
	s_and_saveexec_b32 s4, vcc_lo
	s_xor_b32 s4, exec_lo, s4
; %bb.91:
	v_bfe_u32 v4, v68, 16, 1
	s_delay_alu instid0(VALU_DEP_1)
	v_add3_u32 v4, v68, v4, 0x7fff
; %bb.92:
	s_and_not1_saveexec_b32 s4, s4
; %bb.93:
	v_and_b32_e32 v4, 0xffff, v68
	v_or_b32_e32 v5, 0x10000, v68
	s_delay_alu instid0(VALU_DEP_2) | instskip(NEXT) | instid1(VALU_DEP_2)
	v_cmp_eq_u32_e32 vcc_lo, 0, v4
	v_cndmask_b32_e32 v4, v5, v68, vcc_lo
; %bb.94:
	s_or_b32 exec_lo, exec_lo, s4
	v_and_b32_e32 v5, 0x7f800000, v69
	s_delay_alu instid0(VALU_DEP_1) | instskip(SKIP_1) | instid1(SALU_CYCLE_1)
	v_cmp_ne_u32_e32 vcc_lo, 0x7f800000, v5
                                        ; implicit-def: $vgpr5
	s_and_saveexec_b32 s4, vcc_lo
	s_xor_b32 s4, exec_lo, s4
; %bb.95:
	v_bfe_u32 v5, v69, 16, 1
	s_delay_alu instid0(VALU_DEP_1)
	v_add3_u32 v5, v69, v5, 0x7fff
; %bb.96:
	s_and_not1_saveexec_b32 s4, s4
; %bb.97:
	v_and_b32_e32 v5, 0xffff, v69
	v_or_b32_e32 v6, 0x10000, v69
	s_delay_alu instid0(VALU_DEP_2) | instskip(NEXT) | instid1(VALU_DEP_2)
	v_cmp_eq_u32_e32 vcc_lo, 0, v5
	v_cndmask_b32_e32 v5, v6, v69, vcc_lo
; %bb.98:
	s_or_b32 exec_lo, exec_lo, s4
	v_and_b32_e32 v6, 0x7f800000, v70
	s_delay_alu instid0(VALU_DEP_1) | instskip(SKIP_1) | instid1(SALU_CYCLE_1)
	v_cmp_ne_u32_e32 vcc_lo, 0x7f800000, v6
                                        ; implicit-def: $vgpr6
	s_and_saveexec_b32 s4, vcc_lo
	s_xor_b32 s4, exec_lo, s4
; %bb.99:
	v_bfe_u32 v6, v70, 16, 1
	s_delay_alu instid0(VALU_DEP_1)
	v_add3_u32 v6, v70, v6, 0x7fff
; %bb.100:
	s_and_not1_saveexec_b32 s4, s4
; %bb.101:
	v_and_b32_e32 v6, 0xffff, v70
	v_or_b32_e32 v7, 0x10000, v70
	s_delay_alu instid0(VALU_DEP_2) | instskip(NEXT) | instid1(VALU_DEP_2)
	v_cmp_eq_u32_e32 vcc_lo, 0, v6
	v_cndmask_b32_e32 v6, v7, v70, vcc_lo
; %bb.102:
	s_or_b32 exec_lo, exec_lo, s4
	v_and_b32_e32 v7, 0x7f800000, v71
	s_delay_alu instid0(VALU_DEP_1) | instskip(SKIP_1) | instid1(SALU_CYCLE_1)
	v_cmp_ne_u32_e32 vcc_lo, 0x7f800000, v7
                                        ; implicit-def: $vgpr7
	s_and_saveexec_b32 s4, vcc_lo
	s_xor_b32 s4, exec_lo, s4
; %bb.103:
	v_bfe_u32 v7, v71, 16, 1
	s_delay_alu instid0(VALU_DEP_1)
	v_add3_u32 v7, v71, v7, 0x7fff
; %bb.104:
	s_and_not1_saveexec_b32 s4, s4
; %bb.105:
	v_and_b32_e32 v7, 0xffff, v71
	v_or_b32_e32 v8, 0x10000, v71
	s_delay_alu instid0(VALU_DEP_2) | instskip(NEXT) | instid1(VALU_DEP_2)
	v_cmp_eq_u32_e32 vcc_lo, 0, v7
	v_cndmask_b32_e32 v7, v8, v71, vcc_lo
; %bb.106:
	s_or_b32 exec_lo, exec_lo, s4
	v_and_b32_e32 v8, 0x7f800000, v72
	s_delay_alu instid0(VALU_DEP_1) | instskip(SKIP_1) | instid1(SALU_CYCLE_1)
	v_cmp_ne_u32_e32 vcc_lo, 0x7f800000, v8
                                        ; implicit-def: $vgpr8
	s_and_saveexec_b32 s4, vcc_lo
	s_xor_b32 s4, exec_lo, s4
; %bb.107:
	v_bfe_u32 v8, v72, 16, 1
	s_delay_alu instid0(VALU_DEP_1)
	v_add3_u32 v8, v72, v8, 0x7fff
                                        ; implicit-def: $vgpr65_vgpr66_vgpr67_vgpr68_vgpr69_vgpr70_vgpr71_vgpr72
; %bb.108:
	s_and_not1_saveexec_b32 s4, s4
; %bb.109:
	v_and_b32_e32 v8, 0xffff, v72
	v_or_b32_e32 v9, 0x10000, v72
	s_delay_alu instid0(VALU_DEP_2) | instskip(NEXT) | instid1(VALU_DEP_2)
	v_cmp_eq_u32_e32 vcc_lo, 0, v8
	v_cndmask_b32_e32 v8, v9, v72, vcc_lo
; %bb.110:
	s_or_b32 exec_lo, exec_lo, s4
	s_delay_alu instid0(VALU_DEP_1)
	v_perm_b32 v7, v8, v7, 0x7060302
	v_perm_b32 v6, v6, v5, 0x7060302
	;; [unrolled: 1-line block ×4, first 2 shown]
	s_barrier
	buffer_gl0_inv
	v_cmp_eq_u32_e32 vcc_lo, 1, v78
	ds_store_b128 v76, v[4:7]
	s_waitcnt lgkmcnt(0)
	s_barrier
	buffer_gl0_inv
	ds_load_b128 v[1:4], v82
	ds_load_b128 v[5:8], v82 offset:16
	v_cmp_eq_u32_e64 s4, 1, v79
	v_cmp_eq_u32_e64 s5, 2, v78
	v_cmp_eq_u32_e64 s6, 3, v78
	v_cmp_eq_u32_e64 s8, 2, v77
	v_cmp_eq_u32_e64 s7, 7, v79
	s_waitcnt lgkmcnt(1)
	v_lshrrev_b32_e32 v9, 16, v1
	s_waitcnt lgkmcnt(0)
	v_lshrrev_b32_e32 v13, 16, v5
	v_lshrrev_b32_e32 v10, 16, v2
	;; [unrolled: 1-line block ×4, first 2 shown]
	v_cndmask_b32_e64 v19, v1, v9, s4
	v_cndmask_b32_e32 v18, v5, v13, vcc_lo
	v_cndmask_b32_e64 v20, v5, v13, s4
	v_cndmask_b32_e32 v17, v1, v9, vcc_lo
	v_cmp_eq_u32_e32 vcc_lo, 2, v79
	v_lshrrev_b32_e32 v15, 16, v7
	v_cmp_eq_u32_e64 s4, 1, v77
	v_lshrrev_b32_e32 v12, 16, v4
	v_lshrrev_b32_e32 v16, 16, v8
	v_cndmask_b32_e32 v20, v20, v6, vcc_lo
	v_cndmask_b32_e64 v17, v17, v2, s5
	v_cndmask_b32_e32 v19, v19, v2, vcc_lo
	v_cndmask_b32_e64 v18, v18, v6, s5
	v_cmp_eq_u32_e32 vcc_lo, 4, v78
	v_cmp_eq_u32_e64 s5, 3, v79
	v_cndmask_b32_e64 v17, v17, v10, s6
	v_cndmask_b32_e64 v21, v1, v9, s4
	;; [unrolled: 1-line block ×5, first 2 shown]
	v_cndmask_b32_e32 v17, v17, v3, vcc_lo
	v_cndmask_b32_e64 v20, v20, v14, s5
	v_cndmask_b32_e32 v18, v18, v7, vcc_lo
	v_cmp_eq_u32_e32 vcc_lo, 4, v79
	v_cmp_eq_u32_e64 s5, 5, v79
	v_cmp_eq_u32_e64 s4, 2, v81
	v_cndmask_b32_e64 v21, v21, v2, s8
	v_cmp_eq_u32_e64 s6, 5, v78
	v_cndmask_b32_e32 v19, v19, v3, vcc_lo
	v_cndmask_b32_e32 v20, v20, v7, vcc_lo
	v_cmp_eq_u32_e32 vcc_lo, 6, v79
	s_delay_alu instid0(VALU_DEP_4) | instskip(NEXT) | instid1(VALU_DEP_4)
	v_cndmask_b32_e64 v17, v17, v11, s6
	v_cndmask_b32_e64 v19, v19, v11, s5
	s_delay_alu instid0(VALU_DEP_4) | instskip(SKIP_1) | instid1(VALU_DEP_3)
	v_cndmask_b32_e64 v20, v20, v15, s5
	v_cmp_eq_u32_e64 s5, 1, v81
	v_cndmask_b32_e32 v19, v19, v4, vcc_lo
	v_cndmask_b32_e64 v18, v18, v15, s6
	s_delay_alu instid0(VALU_DEP_3)
	v_cndmask_b32_e64 v1, v1, v9, s5
	v_cndmask_b32_e64 v5, v5, v13, s5
	v_cmp_eq_u32_e64 s5, 3, v77
	v_cndmask_b32_e64 v13, v22, v6, s8
	v_cmp_eq_u32_e64 s8, 3, v81
	v_cndmask_b32_e64 v1, v1, v2, s4
	v_cndmask_b32_e64 v2, v5, v6, s4
	;; [unrolled: 1-line block ×3, first 2 shown]
	v_cmp_eq_u32_e64 s4, 4, v77
	v_cndmask_b32_e64 v6, v13, v14, s5
	v_cndmask_b32_e64 v1, v1, v10, s8
	v_cmp_eq_u32_e64 s5, 4, v81
	v_cndmask_b32_e64 v2, v2, v14, s8
	v_cndmask_b32_e64 v5, v9, v3, s4
	;; [unrolled: 3-line block ×3, first 2 shown]
	v_cndmask_b32_e64 v2, v2, v7, s5
	v_cmp_eq_u32_e64 s4, 5, v81
	v_cmp_eq_u32_e64 s6, 6, v78
	v_cndmask_b32_e64 v5, v5, v11, s8
	v_cmp_eq_u32_e64 s5, 6, v77
	v_cndmask_b32_e64 v3, v6, v15, s8
	v_cndmask_b32_e64 v1, v1, v11, s4
	v_cmp_eq_u32_e64 s8, 6, v81
	v_cndmask_b32_e64 v2, v2, v15, s4
	v_cndmask_b32_e64 v17, v17, v4, s6
	v_cndmask_b32_e64 v18, v18, v8, s6
	v_cmp_eq_u32_e64 s6, 7, v78
	v_cndmask_b32_e64 v5, v5, v4, s5
	v_cndmask_b32_e64 v3, v3, v8, s5
	v_cndmask_b32_e64 v1, v1, v4, s8
	v_cmp_eq_u32_e64 s4, 7, v81
	v_cndmask_b32_e64 v2, v2, v8, s8
	v_cmp_eq_u32_e64 s5, 7, v77
	v_cndmask_b32_e32 v4, v20, v8, vcc_lo
	v_cndmask_b32_e64 v17, v17, v12, s6
	v_cndmask_b32_e64 v19, v19, v12, s7
	;; [unrolled: 1-line block ×8, first 2 shown]
	v_cmp_gt_u32_e32 vcc_lo, 32, v0
	v_perm_b32 v4, v2, v1, 0x5040100
	v_perm_b32 v3, v3, v5, 0x5040100
	;; [unrolled: 1-line block ×4, first 2 shown]
	s_and_b32 s2, vcc_lo, s2
	ds_store_b128 v76, v[1:4]
	s_waitcnt lgkmcnt(0)
	s_barrier
	buffer_gl0_inv
	s_and_saveexec_b32 s4, s2
	s_cbranch_execz .LBB1738_2
; %bb.111:
	s_load_b64 s[4:5], s[0:1], 0x68
	v_lshlrev_b32_e32 v0, 10, v0
	v_lshlrev_b32_e32 v1, 4, v75
	s_lshl_b32 s0, s36, 6
	v_add_nc_u32_e32 v18, s31, v74
	s_mul_i32 s1, s0, s34
	s_delay_alu instid0(VALU_DEP_2) | instskip(SKIP_1) | instid1(VALU_DEP_2)
	v_and_or_b32 v0, 0x3800, v0, v1
	s_mul_i32 s6, s1, s9
	v_mul_lo_u32 v1, v18, s0
	s_ashr_i32 s7, s6, 31
	v_add_nc_u32_e32 v2, 2, v18
	v_lshl_or_b32 v19, v74, 6, v0
	s_lshl_b64 s[6:7], s[6:7], 1
	v_add_nc_u32_e32 v8, 4, v18
	v_add_nc_u32_e32 v15, 6, v18
	v_mul_lo_u32 v7, v2, s0
	ds_load_b128 v[3:6], v19
	v_ashrrev_i32_e32 v2, 31, v1
	v_mul_lo_u32 v11, v8, s0
	s_waitcnt lgkmcnt(0)
	s_add_u32 s1, s4, s6
	s_addc_u32 s2, s5, s7
	s_lshl_b32 s4, s14, 6
	v_lshlrev_b64 v[9:10], 1, v[1:2]
	s_ashr_i32 s5, s4, 31
	v_ashrrev_i32_e32 v8, 31, v7
	s_lshl_b64 s[4:5], s[4:5], 1
	v_ashrrev_i32_e32 v12, 31, v11
	s_add_u32 s1, s1, s4
	s_addc_u32 s2, s2, s5
	v_add_co_u32 v1, s1, s1, v73
	s_delay_alu instid0(VALU_DEP_1) | instskip(SKIP_1) | instid1(VALU_DEP_3)
	v_add_co_ci_u32_e64 v2, null, s2, 0, s1
	v_mul_lo_u32 v15, v15, s0
	v_add_co_u32 v13, vcc_lo, v1, v9
	s_delay_alu instid0(VALU_DEP_3)
	v_add_co_ci_u32_e32 v14, vcc_lo, v2, v10, vcc_lo
	v_lshlrev_b64 v[16:17], 1, v[7:8]
	ds_load_b128 v[7:10], v19 offset:128
	global_store_b128 v[13:14], v[3:6], off
	v_add_nc_u32_e32 v5, 8, v18
	v_lshlrev_b64 v[3:4], 1, v[11:12]
	v_add_co_u32 v23, vcc_lo, v1, v16
	v_ashrrev_i32_e32 v16, 31, v15
	s_delay_alu instid0(VALU_DEP_4) | instskip(SKIP_3) | instid1(VALU_DEP_3)
	v_mul_lo_u32 v25, v5, s0
	v_add_nc_u32_e32 v5, 10, v18
	v_add_co_ci_u32_e32 v24, vcc_lo, v2, v17, vcc_lo
	v_add_co_u32 v27, vcc_lo, v1, v3
	v_mul_lo_u32 v29, v5, s0
	v_add_co_ci_u32_e32 v28, vcc_lo, v2, v4, vcc_lo
	v_lshlrev_b64 v[31:32], 1, v[15:16]
	ds_load_b128 v[3:6], v19 offset:256
	ds_load_b128 v[11:14], v19 offset:384
	;; [unrolled: 1-line block ×4, first 2 shown]
	v_ashrrev_i32_e32 v26, 31, v25
	v_ashrrev_i32_e32 v30, 31, v29
	v_add_co_u32 v31, vcc_lo, v1, v31
	s_delay_alu instid0(VALU_DEP_3) | instskip(SKIP_1) | instid1(VALU_DEP_4)
	v_lshlrev_b64 v[25:26], 1, v[25:26]
	v_add_co_ci_u32_e32 v32, vcc_lo, v2, v32, vcc_lo
	v_lshlrev_b64 v[29:30], 1, v[29:30]
	s_delay_alu instid0(VALU_DEP_3) | instskip(NEXT) | instid1(VALU_DEP_4)
	v_add_co_u32 v25, vcc_lo, v1, v25
	v_add_co_ci_u32_e32 v26, vcc_lo, v2, v26, vcc_lo
	s_delay_alu instid0(VALU_DEP_3) | instskip(NEXT) | instid1(VALU_DEP_4)
	v_add_co_u32 v29, vcc_lo, v1, v29
	v_add_co_ci_u32_e32 v30, vcc_lo, v2, v30, vcc_lo
	s_waitcnt lgkmcnt(4)
	global_store_b128 v[23:24], v[7:10], off
	s_waitcnt lgkmcnt(3)
	global_store_b128 v[27:28], v[3:6], off
	;; [unrolled: 2-line block ×5, first 2 shown]
	s_and_b32 exec_lo, exec_lo, s3
	s_cbranch_execz .LBB1738_2
; %bb.112:
	ds_load_b128 v[3:6], v0 offset:768
	s_add_i32 s1, s31, 12
	s_delay_alu instid0(SALU_CYCLE_1) | instskip(NEXT) | instid1(SALU_CYCLE_1)
	s_mul_i32 s0, s1, s0
	s_ashr_i32 s1, s0, 31
	s_delay_alu instid0(SALU_CYCLE_1) | instskip(NEXT) | instid1(SALU_CYCLE_1)
	s_lshl_b64 s[0:1], s[0:1], 1
	v_add_co_u32 v0, vcc_lo, v1, s0
	v_add_co_ci_u32_e32 v1, vcc_lo, s1, v2, vcc_lo
	s_waitcnt lgkmcnt(0)
	global_store_b128 v[0:1], v[3:6], off
	s_nop 0
	s_sendmsg sendmsg(MSG_DEALLOC_VGPRS)
	s_endpgm
	.section	.rodata,"a",@progbits
	.p2align	6, 0x0
	.amdhsa_kernel _Z39paged_attention_ll4mi_QKV_mfma16_kernelI14__hip_bfloat16hLN4vllm18Fp8KVCacheDataTypeE1EhLi32ELi64ELi256ELb1ELi13EL8MFMAType0EEvPKT_PKT0_S9_ifPKiSB_SB_iPKfiiiPfSE_PS4_PT2_iSD_SD_
		.amdhsa_group_segment_fixed_size 17472
		.amdhsa_private_segment_fixed_size 0
		.amdhsa_kernarg_size 400
		.amdhsa_user_sgpr_count 13
		.amdhsa_user_sgpr_dispatch_ptr 0
		.amdhsa_user_sgpr_queue_ptr 0
		.amdhsa_user_sgpr_kernarg_segment_ptr 1
		.amdhsa_user_sgpr_dispatch_id 0
		.amdhsa_user_sgpr_private_segment_size 0
		.amdhsa_wavefront_size32 1
		.amdhsa_uses_dynamic_stack 0
		.amdhsa_enable_private_segment 0
		.amdhsa_system_sgpr_workgroup_id_x 1
		.amdhsa_system_sgpr_workgroup_id_y 1
		.amdhsa_system_sgpr_workgroup_id_z 1
		.amdhsa_system_sgpr_workgroup_info 0
		.amdhsa_system_vgpr_workitem_id 0
		.amdhsa_next_free_vgpr 124
		.amdhsa_next_free_sgpr 42
		.amdhsa_reserve_vcc 1
		.amdhsa_float_round_mode_32 0
		.amdhsa_float_round_mode_16_64 0
		.amdhsa_float_denorm_mode_32 3
		.amdhsa_float_denorm_mode_16_64 3
		.amdhsa_dx10_clamp 1
		.amdhsa_ieee_mode 1
		.amdhsa_fp16_overflow 0
		.amdhsa_workgroup_processor_mode 1
		.amdhsa_memory_ordered 1
		.amdhsa_forward_progress 0
		.amdhsa_shared_vgpr_count 0
		.amdhsa_exception_fp_ieee_invalid_op 0
		.amdhsa_exception_fp_denorm_src 0
		.amdhsa_exception_fp_ieee_div_zero 0
		.amdhsa_exception_fp_ieee_overflow 0
		.amdhsa_exception_fp_ieee_underflow 0
		.amdhsa_exception_fp_ieee_inexact 0
		.amdhsa_exception_int_div_zero 0
	.end_amdhsa_kernel
	.section	.text._Z39paged_attention_ll4mi_QKV_mfma16_kernelI14__hip_bfloat16hLN4vllm18Fp8KVCacheDataTypeE1EhLi32ELi64ELi256ELb1ELi13EL8MFMAType0EEvPKT_PKT0_S9_ifPKiSB_SB_iPKfiiiPfSE_PS4_PT2_iSD_SD_,"axG",@progbits,_Z39paged_attention_ll4mi_QKV_mfma16_kernelI14__hip_bfloat16hLN4vllm18Fp8KVCacheDataTypeE1EhLi32ELi64ELi256ELb1ELi13EL8MFMAType0EEvPKT_PKT0_S9_ifPKiSB_SB_iPKfiiiPfSE_PS4_PT2_iSD_SD_,comdat
.Lfunc_end1738:
	.size	_Z39paged_attention_ll4mi_QKV_mfma16_kernelI14__hip_bfloat16hLN4vllm18Fp8KVCacheDataTypeE1EhLi32ELi64ELi256ELb1ELi13EL8MFMAType0EEvPKT_PKT0_S9_ifPKiSB_SB_iPKfiiiPfSE_PS4_PT2_iSD_SD_, .Lfunc_end1738-_Z39paged_attention_ll4mi_QKV_mfma16_kernelI14__hip_bfloat16hLN4vllm18Fp8KVCacheDataTypeE1EhLi32ELi64ELi256ELb1ELi13EL8MFMAType0EEvPKT_PKT0_S9_ifPKiSB_SB_iPKfiiiPfSE_PS4_PT2_iSD_SD_
                                        ; -- End function
	.section	.AMDGPU.csdata,"",@progbits
; Kernel info:
; codeLenInByte = 8972
; NumSgprs: 44
; NumVgprs: 124
; ScratchSize: 0
; MemoryBound: 0
; FloatMode: 240
; IeeeMode: 1
; LDSByteSize: 17472 bytes/workgroup (compile time only)
; SGPRBlocks: 5
; VGPRBlocks: 15
; NumSGPRsForWavesPerEU: 44
; NumVGPRsForWavesPerEU: 124
; Occupancy: 10
; WaveLimiterHint : 1
; COMPUTE_PGM_RSRC2:SCRATCH_EN: 0
; COMPUTE_PGM_RSRC2:USER_SGPR: 13
; COMPUTE_PGM_RSRC2:TRAP_HANDLER: 0
; COMPUTE_PGM_RSRC2:TGID_X_EN: 1
; COMPUTE_PGM_RSRC2:TGID_Y_EN: 1
; COMPUTE_PGM_RSRC2:TGID_Z_EN: 1
; COMPUTE_PGM_RSRC2:TIDIG_COMP_CNT: 0
	.section	.text._Z39paged_attention_ll4mi_QKV_mfma16_kernelI14__hip_bfloat16hLN4vllm18Fp8KVCacheDataTypeE1EhLi32ELi64ELi256ELb1ELi14EL8MFMAType0EEvPKT_PKT0_S9_ifPKiSB_SB_iPKfiiiPfSE_PS4_PT2_iSD_SD_,"axG",@progbits,_Z39paged_attention_ll4mi_QKV_mfma16_kernelI14__hip_bfloat16hLN4vllm18Fp8KVCacheDataTypeE1EhLi32ELi64ELi256ELb1ELi14EL8MFMAType0EEvPKT_PKT0_S9_ifPKiSB_SB_iPKfiiiPfSE_PS4_PT2_iSD_SD_,comdat
	.protected	_Z39paged_attention_ll4mi_QKV_mfma16_kernelI14__hip_bfloat16hLN4vllm18Fp8KVCacheDataTypeE1EhLi32ELi64ELi256ELb1ELi14EL8MFMAType0EEvPKT_PKT0_S9_ifPKiSB_SB_iPKfiiiPfSE_PS4_PT2_iSD_SD_ ; -- Begin function _Z39paged_attention_ll4mi_QKV_mfma16_kernelI14__hip_bfloat16hLN4vllm18Fp8KVCacheDataTypeE1EhLi32ELi64ELi256ELb1ELi14EL8MFMAType0EEvPKT_PKT0_S9_ifPKiSB_SB_iPKfiiiPfSE_PS4_PT2_iSD_SD_
	.globl	_Z39paged_attention_ll4mi_QKV_mfma16_kernelI14__hip_bfloat16hLN4vllm18Fp8KVCacheDataTypeE1EhLi32ELi64ELi256ELb1ELi14EL8MFMAType0EEvPKT_PKT0_S9_ifPKiSB_SB_iPKfiiiPfSE_PS4_PT2_iSD_SD_
	.p2align	8
	.type	_Z39paged_attention_ll4mi_QKV_mfma16_kernelI14__hip_bfloat16hLN4vllm18Fp8KVCacheDataTypeE1EhLi32ELi64ELi256ELb1ELi14EL8MFMAType0EEvPKT_PKT0_S9_ifPKiSB_SB_iPKfiiiPfSE_PS4_PT2_iSD_SD_,@function
_Z39paged_attention_ll4mi_QKV_mfma16_kernelI14__hip_bfloat16hLN4vllm18Fp8KVCacheDataTypeE1EhLi32ELi64ELi256ELb1ELi14EL8MFMAType0EEvPKT_PKT0_S9_ifPKiSB_SB_iPKfiiiPfSE_PS4_PT2_iSD_SD_: ; @_Z39paged_attention_ll4mi_QKV_mfma16_kernelI14__hip_bfloat16hLN4vllm18Fp8KVCacheDataTypeE1EhLi32ELi64ELi256ELb1ELi14EL8MFMAType0EEvPKT_PKT0_S9_ifPKiSB_SB_iPKfiiiPfSE_PS4_PT2_iSD_SD_
; %bb.0:
	s_load_b64 s[2:3], s[0:1], 0x30
	s_mov_b32 s30, s13
	s_waitcnt lgkmcnt(0)
	s_cmp_lg_u64 s[2:3], 0
	s_cselect_b32 s8, -1, 0
	s_ashr_i32 s31, s13, 31
	s_cmp_eq_u64 s[2:3], 0
	s_cbranch_scc1 .LBB1739_3
; %bb.1:
	s_lshl_b64 s[4:5], s[30:31], 2
	s_delay_alu instid0(SALU_CYCLE_1) | instskip(SKIP_4) | instid1(SALU_CYCLE_1)
	s_add_u32 s4, s2, s4
	s_addc_u32 s5, s3, s5
	s_load_b64 s[4:5], s[4:5], 0x0
	s_waitcnt lgkmcnt(0)
	s_sub_i32 s4, s5, s4
	s_cmp_eq_u32 s4, 1
	s_cselect_b32 s4, -1, 0
	s_delay_alu instid0(SALU_CYCLE_1)
	s_and_not1_b32 vcc_lo, exec_lo, s4
	s_cbranch_vccz .LBB1739_4
.LBB1739_2:
	s_endpgm
.LBB1739_3:
.LBB1739_4:
	s_load_b64 s[4:5], s[0:1], 0x28
	s_lshl_b64 s[6:7], s[30:31], 2
	s_waitcnt lgkmcnt(0)
	s_add_u32 s4, s4, s6
	s_addc_u32 s5, s5, s7
	s_lshl_b32 s12, s14, 8
	s_load_b32 s24, s[4:5], 0x0
	s_waitcnt lgkmcnt(0)
	s_cmp_ge_i32 s12, s24
	s_cbranch_scc1 .LBB1739_2
; %bb.5:
	s_clause 0x1
	s_load_b128 s[20:23], s[0:1], 0x8
	s_load_b64 s[4:5], s[0:1], 0x20
	s_and_not1_b32 vcc_lo, exec_lo, s8
	s_cbranch_vccnz .LBB1739_7
; %bb.6:
	s_add_u32 s2, s2, s6
	s_addc_u32 s3, s3, s7
	s_load_b32 s3, s[2:3], 0x0
	s_branch .LBB1739_8
.LBB1739_7:
	s_mov_b32 s3, s30
.LBB1739_8:
	s_load_b128 s[16:19], s[0:1], 0x48
	v_and_b32_e32 v65, 15, v0
	v_cmp_gt_u32_e32 vcc_lo, 0xe0, v0
	v_lshrrev_b32_e32 v66, 5, v0
	v_and_b32_e32 v67, 31, v0
	v_and_b32_e32 v75, 1, v0
	v_lshlrev_b32_e32 v1, 3, v65
	v_cmp_gt_u32_e64 s2, 8, v65
	v_bfe_u32 v74, v0, 4, 1
	s_mul_i32 s31, s15, 14
	s_delay_alu instid0(VALU_DEP_3) | instskip(NEXT) | instid1(VALU_DEP_3)
	v_lshlrev_b32_e32 v73, 1, v1
	s_and_b32 s7, vcc_lo, s2
	s_delay_alu instid0(SALU_CYCLE_1)
	s_and_saveexec_b32 s6, s7
	s_cbranch_execz .LBB1739_10
; %bb.9:
	s_load_b64 s[8:9], s[0:1], 0x0
	v_lshl_or_b32 v5, v66, 1, v74
	s_waitcnt lgkmcnt(0)
	s_mul_hi_i32 s11, s3, s16
	s_mul_i32 s10, s3, s16
	v_lshlrev_b32_e32 v6, 10, v65
	s_lshl_b64 s[10:11], s[10:11], 1
	v_add_lshl_u32 v1, v5, s31, 6
	v_lshlrev_b32_e32 v5, 6, v5
	v_lshlrev_b32_e32 v7, 10, v75
	v_and_b32_e32 v6, 0x3800, v6
	s_delay_alu instid0(VALU_DEP_4) | instskip(NEXT) | instid1(VALU_DEP_2)
	v_ashrrev_i32_e32 v2, 31, v1
	v_or3_b32 v5, v6, v7, v5
	s_delay_alu instid0(VALU_DEP_2) | instskip(SKIP_2) | instid1(VALU_DEP_1)
	v_lshlrev_b64 v[1:2], 1, v[1:2]
	s_add_u32 s3, s8, s10
	s_addc_u32 s7, s9, s11
	v_add_co_u32 v1, vcc_lo, s3, v1
	s_delay_alu instid0(VALU_DEP_2) | instskip(NEXT) | instid1(VALU_DEP_2)
	v_add_co_ci_u32_e32 v2, vcc_lo, s7, v2, vcc_lo
	v_add_co_u32 v1, vcc_lo, v1, v73
	s_delay_alu instid0(VALU_DEP_2)
	v_add_co_ci_u32_e32 v2, vcc_lo, 0, v2, vcc_lo
	global_load_b128 v[1:4], v[1:2], off
	s_waitcnt vmcnt(0)
	ds_store_b128 v5, v[1:4]
.LBB1739_10:
	s_or_b32 exec_lo, exec_lo, s6
	v_and_b32_e32 v1, 0xef, v0
	s_waitcnt lgkmcnt(0)
	s_add_i32 s3, s24, 31
	s_clause 0x1
	s_load_b32 s6, s[0:1], 0x38
	s_load_b32 s19, s[0:1], 0x1c
	s_ashr_i32 s7, s3, 31
	v_add_nc_u32_e32 v1, s12, v1
	s_lshr_b32 s7, s7, 27
	s_waitcnt lgkmcnt(0)
	s_add_i32 s3, s3, s7
	s_barrier
	v_ashrrev_i32_e32 v2, 31, v1
	v_or_b32_e32 v3, 16, v1
	s_ashr_i32 s3, s3, 5
	v_cmp_gt_i32_e32 vcc_lo, s24, v1
	s_add_i32 s3, s3, -1
	v_lshrrev_b32_e32 v2, 27, v2
	buffer_gl0_inv
	s_mul_i32 s27, s15, s18
	v_add_nc_u32_e32 v4, v1, v2
	s_mul_i32 s6, s30, s6
	s_delay_alu instid0(SALU_CYCLE_1) | instskip(NEXT) | instid1(VALU_DEP_1)
	s_ashr_i32 s7, s6, 31
	v_ashrrev_i32_e32 v4, 5, v4
	v_add_nc_u32_e32 v2, v3, v2
	s_lshl_b64 s[6:7], s[6:7], 2
	s_delay_alu instid0(SALU_CYCLE_1) | instskip(NEXT) | instid1(VALU_DEP_2)
	s_add_u32 s26, s4, s6
	v_cndmask_b32_e32 v1, s3, v4, vcc_lo
	s_delay_alu instid0(VALU_DEP_2)
	v_ashrrev_i32_e32 v2, 5, v2
	v_cmp_gt_i32_e32 vcc_lo, s24, v3
	s_addc_u32 s25, s5, s7
	s_ashr_i32 s28, s27, 31
	s_add_u32 s4, s20, s27
	s_addc_u32 s5, s21, s28
	v_cndmask_b32_e32 v3, s3, v2, vcc_lo
	v_ashrrev_i32_e32 v2, 31, v1
	s_lshl_b32 s6, s14, 3
	s_delay_alu instid0(SALU_CYCLE_1) | instskip(NEXT) | instid1(VALU_DEP_2)
	s_ashr_i32 s7, s6, 31
	v_ashrrev_i32_e32 v4, 31, v3
	s_delay_alu instid0(VALU_DEP_2) | instskip(SKIP_1) | instid1(SALU_CYCLE_1)
	v_lshlrev_b64 v[1:2], 2, v[1:2]
	s_lshl_b64 s[6:7], s[6:7], 2
	s_add_u32 s6, s26, s6
	s_delay_alu instid0(VALU_DEP_2) | instskip(SKIP_1) | instid1(VALU_DEP_2)
	v_lshlrev_b64 v[3:4], 2, v[3:4]
	s_addc_u32 s7, s25, s7
	v_add_co_u32 v1, vcc_lo, s26, v1
	v_add_co_ci_u32_e32 v2, vcc_lo, s25, v2, vcc_lo
	s_delay_alu instid0(VALU_DEP_3) | instskip(NEXT) | instid1(VALU_DEP_4)
	v_add_co_u32 v3, vcc_lo, s26, v3
	v_add_co_ci_u32_e32 v4, vcc_lo, s25, v4, vcc_lo
	s_clause 0x1
	global_load_b32 v5, v[1:2], off
	global_load_b32 v6, v[3:4], off
	s_or_b32 s8, s12, 32
	s_delay_alu instid0(SALU_CYCLE_1) | instskip(SKIP_2) | instid1(SALU_CYCLE_1)
	s_ashr_i32 s9, s8, 5
	s_cmp_lt_i32 s8, s24
	s_cselect_b32 s8, s9, s3
	s_ashr_i32 s9, s8, 31
	s_delay_alu instid0(SALU_CYCLE_1) | instskip(NEXT) | instid1(SALU_CYCLE_1)
	s_lshl_b64 s[8:9], s[8:9], 2
	s_add_u32 s8, s26, s8
	s_addc_u32 s9, s25, s9
	s_or_b32 s10, s12, 64
	s_delay_alu instid0(SALU_CYCLE_1) | instskip(SKIP_2) | instid1(SALU_CYCLE_1)
	s_ashr_i32 s11, s10, 5
	s_cmp_lt_i32 s10, s24
	s_cselect_b32 s10, s11, s3
	s_ashr_i32 s11, s10, 31
	s_delay_alu instid0(SALU_CYCLE_1) | instskip(NEXT) | instid1(SALU_CYCLE_1)
	s_lshl_b64 s[10:11], s[10:11], 2
	s_add_u32 s10, s26, s10
	s_addc_u32 s11, s25, s11
	;; [unrolled: 10-line block ×5, first 2 shown]
	s_clause 0x5
	s_load_b32 s21, s[6:7], 0x0
	s_load_b32 s13, s[8:9], 0x0
	;; [unrolled: 1-line block ×6, first 2 shown]
	s_or_b32 s8, s12, 0xc0
	s_delay_alu instid0(SALU_CYCLE_1) | instskip(SKIP_2) | instid1(SALU_CYCLE_1)
	s_ashr_i32 s9, s8, 5
	s_cmp_lt_i32 s8, s24
	s_cselect_b32 s34, s9, s3
	s_ashr_i32 s35, s34, 31
	s_delay_alu instid0(SALU_CYCLE_1) | instskip(NEXT) | instid1(SALU_CYCLE_1)
	s_lshl_b64 s[34:35], s[34:35], 2
	s_add_u32 s34, s26, s34
	s_addc_u32 s35, s25, s35
	s_or_b32 s29, s12, 0xe0
	s_delay_alu instid0(SALU_CYCLE_1)
	s_ashr_i32 s33, s29, 5
	s_cmp_lt_i32 s29, s24
	s_waitcnt vmcnt(1)
	v_mad_i64_i32 v[1:2], null, v5, s17, s[4:5]
	s_waitcnt vmcnt(0)
	v_mad_i64_i32 v[3:4], null, v6, s17, s[4:5]
	s_mov_b32 s4, 0
	s_delay_alu instid0(SALU_CYCLE_1)
	s_mov_b32 s5, s4
	s_mov_b32 s6, s4
	;; [unrolled: 1-line block ×7, first 2 shown]
	v_lshlrev_b32_e32 v5, 4, v65
	v_dual_mov_b32 v107, s11 :: v_dual_mov_b32 v102, s6
	v_mov_b32_e32 v100, s4
	v_mov_b32_e32 v106, s10
	s_delay_alu instid0(VALU_DEP_4)
	v_add_co_u32 v1, vcc_lo, v1, v5
	v_add_co_ci_u32_e32 v2, vcc_lo, 0, v2, vcc_lo
	v_add_co_u32 v3, vcc_lo, v3, v5
	v_add_co_ci_u32_e32 v4, vcc_lo, 0, v4, vcc_lo
	s_clause 0x7
	global_load_b128 v[49:52], v[1:2], off
	global_load_b128 v[53:56], v[1:2], off offset:512
	global_load_b128 v[76:79], v[3:4], off offset:256
	global_load_b128 v[80:83], v[3:4], off offset:768
	global_load_b128 v[84:87], v[1:2], off offset:1024
	global_load_b128 v[88:91], v[1:2], off offset:1536
	global_load_b128 v[92:95], v[3:4], off offset:1280
	global_load_b128 v[96:99], v[3:4], off offset:1792
	v_add_nc_u32_e32 v1, -14, v65
	v_cmp_gt_u32_e32 vcc_lo, 14, v65
	v_dual_mov_b32 v104, s8 :: v_dual_mov_b32 v103, s7
	v_dual_mov_b32 v101, s5 :: v_dual_lshlrev_b32 v2, 5, v65
	s_delay_alu instid0(VALU_DEP_4)
	v_cndmask_b32_e32 v1, v1, v65, vcc_lo
	v_mov_b32_e32 v105, s9
	s_cselect_b32 s4, s33, s3
	s_load_b32 s3, s[34:35], 0x0
	s_ashr_i32 s5, s4, 31
	v_lshlrev_b32_e32 v70, 6, v1
	s_lshl_b64 s[4:5], s[4:5], 2
	v_lshl_or_b32 v2, v66, 9, v2
	s_add_u32 s4, s26, s4
	s_addc_u32 s5, s25, s5
	ds_load_b128 v[108:111], v70
	ds_load_b128 v[112:115], v70 offset:1024
	s_load_b32 s4, s[4:5], 0x0
	s_add_u32 s6, s22, s27
	s_addc_u32 s7, s23, s28
	v_add_co_u32 v9, s6, s6, v2
	s_delay_alu instid0(VALU_DEP_1) | instskip(SKIP_1) | instid1(VALU_DEP_1)
	v_add_co_ci_u32_e64 v10, null, s7, 0, s6
	s_waitcnt lgkmcnt(0)
	v_mad_i64_i32 v[1:2], null, s21, s17, v[9:10]
	v_mad_i64_i32 v[3:4], null, s13, s17, v[9:10]
	;; [unrolled: 1-line block ×7, first 2 shown]
	s_clause 0x9
	global_load_b128 v[57:60], v[1:2], off
	global_load_b128 v[61:64], v[1:2], off offset:16
	global_load_b128 v[41:44], v[3:4], off
	global_load_b128 v[45:48], v[3:4], off offset:16
	;; [unrolled: 2-line block ×5, first 2 shown]
	v_mad_i64_i32 v[68:69], null, s4, s17, v[9:10]
	s_clause 0x3
	global_load_b128 v[9:12], v[13:14], off
	global_load_b128 v[13:16], v[13:14], off offset:16
	global_load_b128 v[17:20], v[21:22], off
	global_load_b128 v[21:24], v[21:22], off offset:16
	s_waitcnt vmcnt(20)
	v_wmma_f32_16x16x16_bf16 v[116:123], v[49:56], v[108:115], v[100:107]
	s_clause 0x1
	global_load_b128 v[49:52], v[68:69], off
	global_load_b128 v[53:56], v[68:69], off offset:16
	v_and_b32_e32 v68, 0xe0, v0
	v_mbcnt_lo_u32_b32 v69, -1, 0
	s_delay_alu instid0(VALU_DEP_2)
	v_add_nc_u32_e32 v68, s12, v68
	s_waitcnt vmcnt(20)
	v_wmma_f32_16x16x16_bf16 v[100:107], v[76:83], v[108:115], v[100:107]
	ds_load_b128 v[76:79], v70 offset:2048
	ds_load_b128 v[80:83], v70 offset:3072
	v_xor_b32_e32 v70, 16, v69
	s_waitcnt vmcnt(0) lgkmcnt(0)
	v_or_b32_e32 v68, v68, v74
	s_barrier
	buffer_gl0_inv
	v_cmp_gt_i32_e32 vcc_lo, 32, v70
	v_or_b32_e32 v71, 4, v68
	v_or_b32_e32 v72, 6, v68
	v_cmp_gt_i32_e64 s3, s24, v68
	v_or_b32_e32 v108, 8, v68
	v_or_b32_e32 v109, 10, v68
	v_cmp_gt_i32_e64 s4, s24, v71
	v_cmp_gt_i32_e64 s5, s24, v72
	s_delay_alu instid0(VALU_DEP_4) | instskip(NEXT) | instid1(VALU_DEP_4)
	v_cmp_gt_i32_e64 s6, s24, v108
	v_cmp_gt_i32_e64 s7, s24, v109
	v_wmma_f32_16x16x16_bf16 v[116:123], v[84:91], v[76:83], v[116:123]
	v_cndmask_b32_e32 v69, v69, v70, vcc_lo
	v_or_b32_e32 v70, 2, v68
	v_wmma_f32_16x16x16_bf16 v[100:107], v[92:99], v[76:83], v[100:107]
	v_or_b32_e32 v89, 22, v68
	v_dual_mul_f32 v80, s19, v121 :: v_dual_mul_f32 v81, s19, v120
	v_dual_mul_f32 v92, s19, v117 :: v_dual_mul_f32 v93, s19, v116
	s_delay_alu instid0(VALU_DEP_4)
	v_mul_f32_e32 v96, s19, v105
	v_cmp_gt_i32_e32 vcc_lo, s24, v70
	v_dual_mul_f32 v79, s19, v122 :: v_dual_mul_f32 v82, s19, v119
	v_dual_mul_f32 v83, s19, v118 :: v_dual_mul_f32 v94, s19, v107
	v_cndmask_b32_e64 v93, 0xff7fffff, v93, s3
	v_cndmask_b32_e32 v92, 0xff7fffff, v92, vcc_lo
	v_or_b32_e32 v84, 12, v68
	v_or_b32_e32 v85, 14, v68
	v_cndmask_b32_e64 v71, 0xff7fffff, v83, s4
	v_cndmask_b32_e64 v72, 0xff7fffff, v82, s5
	v_cmp_gt_i32_e64 s13, s24, v89
	v_lshlrev_b32_e32 v89, 2, v69
	v_max3_f32 v82, v93, 0xff7fffff, v92
	v_or_b32_e32 v86, 16, v68
	v_or_b32_e32 v87, 18, v68
	v_mul_f32_e32 v78, s19, v123
	v_cndmask_b32_e64 v81, 0xff7fffff, v81, s6
	v_cndmask_b32_e64 v80, 0xff7fffff, v80, s7
	v_max3_f32 v71, v82, v71, v72
	v_cmp_gt_i32_e64 s8, s24, v84
	v_cmp_gt_i32_e64 s9, s24, v85
	v_or_b32_e32 v88, 20, v68
	v_or_b32_e32 v90, 24, v68
	;; [unrolled: 1-line block ×5, first 2 shown]
	v_dual_mul_f32 v97, s19, v104 :: v_dual_mul_f32 v70, s19, v101
	v_dual_mul_f32 v99, s19, v102 :: v_dual_mul_f32 v68, s19, v100
	v_cndmask_b32_e64 v72, 0xff7fffff, v79, s8
	v_cndmask_b32_e64 v78, 0xff7fffff, v78, s9
	v_max3_f32 v71, v71, v81, v80
	v_cmp_gt_i32_e64 s10, s24, v86
	v_cmp_gt_i32_e64 s11, s24, v87
	v_dual_mul_f32 v95, s19, v106 :: v_dual_mul_f32 v98, s19, v103
	s_delay_alu instid0(VALU_DEP_4) | instskip(NEXT) | instid1(VALU_DEP_4)
	v_max3_f32 v71, v71, v72, v78
	v_cndmask_b32_e64 v68, 0xff7fffff, v68, s10
	s_delay_alu instid0(VALU_DEP_4)
	v_cndmask_b32_e64 v70, 0xff7fffff, v70, s11
	v_cmp_gt_i32_e64 s12, s24, v88
	v_cndmask_b32_e64 v78, 0xff7fffff, v98, s13
	v_cmp_gt_i32_e64 s15, s24, v90
	v_cmp_gt_i32_e64 s16, s24, v91
	v_max3_f32 v68, v71, v68, v70
	v_cndmask_b32_e64 v72, 0xff7fffff, v99, s12
	v_cmp_gt_i32_e64 s17, s24, v76
	v_cndmask_b32_e64 v70, 0xff7fffff, v97, s15
	v_cndmask_b32_e64 v71, 0xff7fffff, v96, s16
	v_cmp_gt_i32_e64 s18, s24, v77
	v_max3_f32 v68, v68, v72, v78
	v_cndmask_b32_e64 v72, 0xff7fffff, v95, s17
	s_delay_alu instid0(VALU_DEP_3) | instskip(NEXT) | instid1(VALU_DEP_3)
	v_cndmask_b32_e64 v76, 0xff7fffff, v94, s18
	v_max3_f32 v68, v68, v70, v71
	s_delay_alu instid0(VALU_DEP_1) | instskip(SKIP_3) | instid1(VALU_DEP_1)
	v_max3_f32 v68, v68, v72, v76
	ds_bpermute_b32 v69, v89, v68
	s_waitcnt lgkmcnt(0)
	v_max_f32_e32 v69, v69, v69
	v_max_f32_e32 v68, v68, v69
	s_delay_alu instid0(VALU_DEP_1) | instskip(NEXT) | instid1(VALU_DEP_1)
	v_fma_f32 v71, s19, v118, -v68
	v_mul_f32_e32 v71, 0x3fb8aa3b, v71
	v_fma_f32 v70, s19, v117, -v68
	v_fma_f32 v69, s19, v116, -v68
	;; [unrolled: 1-line block ×5, first 2 shown]
	s_delay_alu instid0(VALU_DEP_4) | instskip(SKIP_1) | instid1(VALU_DEP_3)
	v_dual_mul_f32 v70, 0x3fb8aa3b, v70 :: v_dual_mul_f32 v69, 0x3fb8aa3b, v69
	v_exp_f32_e32 v71, v71
	v_mul_f32_e32 v72, 0x3fb8aa3b, v72
	v_fma_f32 v81, s19, v105, -v68
	s_delay_alu instid0(VALU_DEP_3)
	v_exp_f32_e32 v70, v70
	v_mul_f32_e32 v77, 0x3fb8aa3b, v76
	v_exp_f32_e32 v69, v69
	v_exp_f32_e32 v72, v72
	v_mul_f32_e32 v81, 0x3fb8aa3b, v81
	v_cndmask_b32_e64 v83, 0, v71, s4
	v_fma_f32 v71, s19, v123, -v68
	s_delay_alu instid0(VALU_DEP_3) | instskip(SKIP_4) | instid1(TRANS32_DEP_3)
	v_exp_f32_e32 v81, v81
	v_cndmask_b32_e32 v76, 0, v70, vcc_lo
	v_exp_f32_e32 v77, v77
	v_cndmask_b32_e64 v80, 0, v69, s3
	v_fma_f32 v69, s19, v121, -v68
	v_cndmask_b32_e64 v85, 0, v72, s5
	v_mul_f32_e32 v71, 0x3fb8aa3b, v71
	v_fma_f32 v72, s19, v100, -v68
	s_delay_alu instid0(VALU_DEP_4) | instskip(SKIP_1) | instid1(VALU_DEP_3)
	v_dual_add_f32 v70, 0, v80 :: v_dual_mul_f32 v69, 0x3fb8aa3b, v69
	s_mov_b32 s3, exec_lo
	v_exp_f32_e32 v71, v71
	s_delay_alu instid0(TRANS32_DEP_2) | instskip(SKIP_4) | instid1(VALU_DEP_3)
	v_cndmask_b32_e64 v86, 0, v77, s6
	v_fma_f32 v77, s19, v101, -v68
	v_mul_f32_e32 v78, 0x3fb8aa3b, v78
	v_add_f32_e32 v70, v70, v76
	v_exp_f32_e32 v69, v69
	v_mul_f32_e32 v77, 0x3fb8aa3b, v77
	s_delay_alu instid0(VALU_DEP_3) | instskip(NEXT) | instid1(TRANS32_DEP_3)
	v_exp_f32_e32 v78, v78
	v_cndmask_b32_e64 v88, 0, v71, s9
	v_fma_f32 v71, s19, v104, -v68
	s_delay_alu instid0(VALU_DEP_3) | instskip(NEXT) | instid1(TRANS32_DEP_3)
	v_exp_f32_e32 v77, v77
	v_cndmask_b32_e64 v87, 0, v69, s7
	s_delay_alu instid0(VALU_DEP_2)
	v_mul_f32_e32 v71, 0x3fb8aa3b, v71
	s_waitcnt_depctr 0xfff
	v_cndmask_b32_e64 v84, 0, v78, s8
	v_add_f32_e32 v70, v70, v83
	v_fma_f32 v78, s19, v103, -v68
	v_exp_f32_e32 v82, v71
	s_delay_alu instid0(VALU_DEP_2) | instskip(SKIP_1) | instid1(VALU_DEP_3)
	v_add_f32_e32 v70, v70, v85
	v_mul_f32_e32 v72, 0x3fb8aa3b, v72
	v_mul_f32_e32 v78, 0x3fb8aa3b, v78
	s_delay_alu instid0(VALU_DEP_3) | instskip(SKIP_1) | instid1(VALU_DEP_4)
	v_add_f32_e32 v69, v70, v86
	v_fma_f32 v70, s19, v102, -v68
	v_exp_f32_e32 v72, v72
	s_delay_alu instid0(VALU_DEP_3) | instskip(NEXT) | instid1(VALU_DEP_1)
	v_exp_f32_e32 v78, v78
	v_dual_add_f32 v69, v69, v87 :: v_dual_mul_f32 v70, 0x3fb8aa3b, v70
	s_delay_alu instid0(VALU_DEP_1) | instskip(NEXT) | instid1(VALU_DEP_2)
	v_add_f32_e32 v69, v69, v84
	v_exp_f32_e32 v79, v70
	s_delay_alu instid0(TRANS32_DEP_3) | instskip(NEXT) | instid1(VALU_DEP_2)
	v_cndmask_b32_e64 v70, 0, v72, s10
	v_add_f32_e32 v72, v69, v88
	v_cndmask_b32_e64 v69, 0, v77, s11
	v_fma_f32 v77, s19, v106, -v68
	s_waitcnt_depctr 0xfff
	v_cndmask_b32_e64 v71, 0, v79, s12
	v_dual_mul_f32 v77, 0x3fb8aa3b, v77 :: v_dual_add_f32 v72, v72, v70
	s_delay_alu instid0(VALU_DEP_1) | instskip(NEXT) | instid1(VALU_DEP_1)
	v_exp_f32_e32 v90, v77
	v_add_f32_e32 v79, v72, v69
	v_cndmask_b32_e64 v72, 0, v78, s13
	v_cndmask_b32_e64 v77, 0, v82, s15
	s_delay_alu instid0(VALU_DEP_3) | instskip(SKIP_1) | instid1(VALU_DEP_1)
	v_add_f32_e32 v78, v79, v71
	v_fma_f32 v79, s19, v107, -v68
	v_dual_add_f32 v82, v78, v72 :: v_dual_mul_f32 v79, 0x3fb8aa3b, v79
	v_cndmask_b32_e64 v78, 0, v81, s16
	s_delay_alu instid0(VALU_DEP_2) | instskip(NEXT) | instid1(VALU_DEP_3)
	v_add_f32_e32 v81, v82, v77
	v_exp_f32_e32 v82, v79
	v_cndmask_b32_e64 v79, 0, v90, s17
	s_delay_alu instid0(VALU_DEP_2) | instskip(NEXT) | instid1(VALU_DEP_1)
	v_add_f32_e32 v81, v81, v78
	v_add_f32_e32 v90, v81, v79
	s_waitcnt_depctr 0xfff
	v_cndmask_b32_e64 v81, 0, v82, s18
	s_delay_alu instid0(VALU_DEP_1)
	v_add_f32_e32 v82, v90, v81
	ds_bpermute_b32 v89, v89, v82
	v_cmpx_gt_u32_e32 16, v67
	s_cbranch_execz .LBB1739_12
; %bb.11:
	v_mul_u32_u24_e32 v67, 0x44, v66
	s_delay_alu instid0(VALU_DEP_1) | instskip(SKIP_1) | instid1(VALU_DEP_1)
	v_lshl_add_u32 v67, v65, 2, v67
	s_waitcnt lgkmcnt(0)
	v_dual_add_f32 v82, v82, v89 :: v_dual_add_nc_u32 v67, 0x4000, v67
	ds_store_2addr_b32 v67, v68, v82 offset1:136
.LBB1739_12:
	s_or_b32 exec_lo, exec_lo, s3
	v_lshlrev_b32_e32 v67, 2, v65
	s_waitcnt lgkmcnt(0)
	s_barrier
	buffer_gl0_inv
	v_cmp_eq_u32_e32 vcc_lo, 1, v66
	v_add_nc_u32_e32 v82, 0x4000, v67
	v_cmp_eq_u32_e64 s3, 2, v66
	v_cmp_eq_u32_e64 s5, 7, v66
	ds_load_2addr_b32 v[89:90], v82 offset1:17
	ds_load_2addr_b32 v[91:92], v82 offset0:34 offset1:51
	ds_load_2addr_b32 v[93:94], v82 offset0:68 offset1:85
	;; [unrolled: 1-line block ×4, first 2 shown]
	s_waitcnt lgkmcnt(4)
	v_max3_f32 v67, v89, 0xff7fffff, v90
	s_waitcnt lgkmcnt(3)
	s_delay_alu instid0(VALU_DEP_1) | instskip(SKIP_1) | instid1(VALU_DEP_1)
	v_max3_f32 v67, v67, v91, v92
	s_waitcnt lgkmcnt(2)
	v_max3_f32 v67, v67, v93, v94
	s_waitcnt lgkmcnt(1)
	s_delay_alu instid0(VALU_DEP_1) | instskip(NEXT) | instid1(VALU_DEP_1)
	v_max3_f32 v67, v67, v95, v96
	v_sub_f32_e32 v93, v93, v67
	s_delay_alu instid0(VALU_DEP_1) | instskip(NEXT) | instid1(VALU_DEP_1)
	v_dual_sub_f32 v68, v89, v67 :: v_dual_mul_f32 v103, 0x3fb8aa3b, v93
	v_mul_f32_e32 v68, 0x3fb8aa3b, v68
	s_delay_alu instid0(VALU_DEP_1)
	v_exp_f32_e32 v100, v68
	v_sub_f32_e32 v68, v92, v67
	v_sub_f32_e32 v99, v90, v67
	ds_load_2addr_b32 v[89:90], v82 offset0:170 offset1:187
	v_dual_mul_f32 v102, 0x3fb8aa3b, v68 :: v_dual_mul_f32 v99, 0x3fb8aa3b, v99
	s_waitcnt lgkmcnt(1)
	v_fma_f32 v68, v100, v97, 0
	s_delay_alu instid0(VALU_DEP_2) | instskip(NEXT) | instid1(VALU_DEP_2)
	v_exp_f32_e32 v102, v102
	v_exp_f32_e32 v99, v99
	s_waitcnt_depctr 0xfff
	v_fmac_f32_e32 v68, v99, v98
	v_sub_f32_e32 v91, v91, v67
	s_delay_alu instid0(VALU_DEP_1)
	v_mul_f32_e32 v101, 0x3fb8aa3b, v91
	ds_load_2addr_b32 v[91:92], v82 offset0:204 offset1:221
	v_sub_f32_e32 v97, v94, v67
	ds_load_2addr_b32 v[93:94], v82 offset0:238 offset1:255
	s_waitcnt lgkmcnt(0)
	v_exp_f32_e32 v101, v101
	s_barrier
	buffer_gl0_inv
	v_dual_fmac_f32 v68, v101, v89 :: v_dual_sub_f32 v89, v96, v67
	v_dual_sub_f32 v82, v95, v67 :: v_dual_mul_f32 v95, 0x3fb8aa3b, v97
	v_exp_f32_e32 v97, v103
	s_delay_alu instid0(VALU_DEP_2) | instskip(NEXT) | instid1(VALU_DEP_2)
	v_dual_fmac_f32 v68, v102, v90 :: v_dual_mul_f32 v89, 0x3fb8aa3b, v89
	v_mul_f32_e32 v82, 0x3fb8aa3b, v82
	s_delay_alu instid0(VALU_DEP_3) | instskip(NEXT) | instid1(VALU_DEP_2)
	v_exp_f32_e32 v95, v95
	v_exp_f32_e32 v89, v89
	s_delay_alu instid0(VALU_DEP_1)
	v_exp_f32_e32 v82, v82
	v_fmac_f32_e32 v68, v97, v91
	s_delay_alu instid0(TRANS32_DEP_3) | instid1(VALU_DEP_1)
	v_fmac_f32_e32 v68, v95, v92
	s_waitcnt_depctr 0xfff
	v_fmac_f32_e32 v68, v82, v93
	s_delay_alu instid0(VALU_DEP_1) | instskip(NEXT) | instid1(VALU_DEP_1)
	v_fmac_f32_e32 v68, v89, v94
	v_add_f32_e32 v90, 0x358637bd, v68
	s_delay_alu instid0(VALU_DEP_1) | instskip(NEXT) | instid1(VALU_DEP_1)
	v_div_scale_f32 v91, null, v90, v90, 1.0
	v_rcp_f32_e32 v92, v91
	s_waitcnt_depctr 0xfff
	v_fma_f32 v93, -v91, v92, 1.0
	s_delay_alu instid0(VALU_DEP_1) | instskip(SKIP_1) | instid1(VALU_DEP_2)
	v_dual_fmac_f32 v92, v93, v92 :: v_dual_cndmask_b32 v93, v100, v99
	v_cmp_eq_u32_e32 vcc_lo, 3, v66
	v_cndmask_b32_e64 v93, v93, v101, s3
	v_cmp_eq_u32_e64 s3, 4, v66
	s_delay_alu instid0(VALU_DEP_2) | instskip(SKIP_1) | instid1(VALU_DEP_2)
	v_cndmask_b32_e32 v93, v93, v102, vcc_lo
	v_cmp_eq_u32_e32 vcc_lo, 5, v66
	v_cndmask_b32_e64 v93, v93, v97, s3
	v_cmp_eq_u32_e64 s3, 6, v66
	s_delay_alu instid0(VALU_DEP_2) | instskip(SKIP_1) | instid1(VALU_DEP_1)
	v_cndmask_b32_e32 v93, v93, v95, vcc_lo
	v_div_scale_f32 v94, s4, 1.0, v90, 1.0
	s_mov_b32 vcc_lo, s4
	s_delay_alu instid0(VALU_DEP_2) | instskip(NEXT) | instid1(VALU_DEP_2)
	v_cndmask_b32_e64 v82, v93, v82, s3
	v_mul_f32_e32 v96, v94, v92
	s_mov_b32 s3, exec_lo
	s_delay_alu instid0(VALU_DEP_2) | instskip(NEXT) | instid1(VALU_DEP_2)
	v_cndmask_b32_e64 v82, v82, v89, s5
	v_fma_f32 v98, -v91, v96, v94
	s_delay_alu instid0(VALU_DEP_1) | instskip(NEXT) | instid1(VALU_DEP_1)
	v_fmac_f32_e32 v96, v98, v92
	v_fma_f32 v91, -v91, v96, v94
	s_delay_alu instid0(VALU_DEP_1) | instskip(NEXT) | instid1(VALU_DEP_1)
	v_div_fmas_f32 v91, v91, v92, v96
	v_div_fixup_f32 v90, v91, v90, 1.0
	s_delay_alu instid0(VALU_DEP_1) | instskip(NEXT) | instid1(VALU_DEP_1)
	v_mul_f32_e32 v82, v82, v90
	v_mul_f32_e32 v87, v82, v87
	;; [unrolled: 1-line block ×7, first 2 shown]
	v_dual_mul_f32 v86, v82, v83 :: v_dual_and_b32 v91, 0x7f800000, v90
	v_mul_f32_e32 v85, v82, v76
                                        ; implicit-def: $vgpr76
	s_delay_alu instid0(VALU_DEP_2)
	v_cmpx_ne_u32_e32 0x7f800000, v91
	s_xor_b32 s3, exec_lo, s3
; %bb.13:
	v_bfe_u32 v76, v90, 16, 1
	s_delay_alu instid0(VALU_DEP_1)
	v_add3_u32 v76, v90, v76, 0x7fff
                                        ; implicit-def: $vgpr90
; %bb.14:
	s_and_not1_saveexec_b32 s3, s3
; %bb.15:
	v_and_b32_e32 v76, 0xffff, v90
	v_or_b32_e32 v83, 0x10000, v90
	s_delay_alu instid0(VALU_DEP_2) | instskip(NEXT) | instid1(VALU_DEP_2)
	v_cmp_eq_u32_e32 vcc_lo, 0, v76
	v_cndmask_b32_e32 v76, v83, v90, vcc_lo
; %bb.16:
	s_or_b32 exec_lo, exec_lo, s3
	v_and_b32_e32 v83, 0x7f800000, v85
	s_delay_alu instid0(VALU_DEP_1) | instskip(SKIP_1) | instid1(SALU_CYCLE_1)
	v_cmp_ne_u32_e32 vcc_lo, 0x7f800000, v83
                                        ; implicit-def: $vgpr83
	s_and_saveexec_b32 s3, vcc_lo
	s_xor_b32 s3, exec_lo, s3
; %bb.17:
	v_bfe_u32 v83, v85, 16, 1
	s_delay_alu instid0(VALU_DEP_1)
	v_add3_u32 v83, v85, v83, 0x7fff
                                        ; implicit-def: $vgpr85
; %bb.18:
	s_and_not1_saveexec_b32 s3, s3
; %bb.19:
	v_and_b32_e32 v83, 0xffff, v85
	v_or_b32_e32 v90, 0x10000, v85
	s_delay_alu instid0(VALU_DEP_2) | instskip(NEXT) | instid1(VALU_DEP_2)
	v_cmp_eq_u32_e32 vcc_lo, 0, v83
	v_cndmask_b32_e32 v83, v90, v85, vcc_lo
; %bb.20:
	s_or_b32 exec_lo, exec_lo, s3
	v_and_b32_e32 v85, 0x7f800000, v86
	s_delay_alu instid0(VALU_DEP_1) | instskip(SKIP_1) | instid1(SALU_CYCLE_1)
	v_cmp_ne_u32_e32 vcc_lo, 0x7f800000, v85
                                        ; implicit-def: $vgpr85
	s_and_saveexec_b32 s3, vcc_lo
	s_xor_b32 s3, exec_lo, s3
; %bb.21:
	v_bfe_u32 v85, v86, 16, 1
	s_delay_alu instid0(VALU_DEP_1)
	v_add3_u32 v85, v86, v85, 0x7fff
                                        ; implicit-def: $vgpr86
; %bb.22:
	s_and_not1_saveexec_b32 s3, s3
; %bb.23:
	v_and_b32_e32 v85, 0xffff, v86
	v_or_b32_e32 v90, 0x10000, v86
	s_delay_alu instid0(VALU_DEP_2) | instskip(NEXT) | instid1(VALU_DEP_2)
	v_cmp_eq_u32_e32 vcc_lo, 0, v85
	v_cndmask_b32_e32 v85, v90, v86, vcc_lo
; %bb.24:
	s_or_b32 exec_lo, exec_lo, s3
	v_and_b32_e32 v86, 0x7f800000, v89
	s_delay_alu instid0(VALU_DEP_1) | instskip(SKIP_1) | instid1(SALU_CYCLE_1)
	v_cmp_ne_u32_e32 vcc_lo, 0x7f800000, v86
                                        ; implicit-def: $vgpr86
	s_and_saveexec_b32 s3, vcc_lo
	s_xor_b32 s3, exec_lo, s3
; %bb.25:
	v_bfe_u32 v86, v89, 16, 1
	s_delay_alu instid0(VALU_DEP_1)
	v_add3_u32 v86, v89, v86, 0x7fff
                                        ; implicit-def: $vgpr89
; %bb.26:
	s_and_not1_saveexec_b32 s3, s3
; %bb.27:
	v_and_b32_e32 v86, 0xffff, v89
	v_or_b32_e32 v90, 0x10000, v89
	s_delay_alu instid0(VALU_DEP_2) | instskip(NEXT) | instid1(VALU_DEP_2)
	v_cmp_eq_u32_e32 vcc_lo, 0, v86
	v_cndmask_b32_e32 v86, v90, v89, vcc_lo
; %bb.28:
	s_or_b32 exec_lo, exec_lo, s3
	v_and_b32_e32 v89, 0x7f800000, v88
	s_delay_alu instid0(VALU_DEP_1) | instskip(SKIP_1) | instid1(SALU_CYCLE_1)
	v_cmp_ne_u32_e32 vcc_lo, 0x7f800000, v89
                                        ; implicit-def: $vgpr89
	s_and_saveexec_b32 s3, vcc_lo
	s_xor_b32 s3, exec_lo, s3
; %bb.29:
	v_bfe_u32 v89, v88, 16, 1
	s_delay_alu instid0(VALU_DEP_1)
	v_add3_u32 v89, v88, v89, 0x7fff
                                        ; implicit-def: $vgpr88
; %bb.30:
	s_and_not1_saveexec_b32 s3, s3
; %bb.31:
	v_and_b32_e32 v89, 0xffff, v88
	v_or_b32_e32 v90, 0x10000, v88
	s_delay_alu instid0(VALU_DEP_2) | instskip(NEXT) | instid1(VALU_DEP_2)
	v_cmp_eq_u32_e32 vcc_lo, 0, v89
	v_cndmask_b32_e32 v89, v90, v88, vcc_lo
; %bb.32:
	s_or_b32 exec_lo, exec_lo, s3
	v_and_b32_e32 v88, 0x7f800000, v87
	s_delay_alu instid0(VALU_DEP_1) | instskip(SKIP_1) | instid1(SALU_CYCLE_1)
	v_cmp_ne_u32_e32 vcc_lo, 0x7f800000, v88
                                        ; implicit-def: $vgpr88
	s_and_saveexec_b32 s3, vcc_lo
	s_xor_b32 s3, exec_lo, s3
; %bb.33:
	v_bfe_u32 v88, v87, 16, 1
	s_delay_alu instid0(VALU_DEP_1)
	v_add3_u32 v88, v87, v88, 0x7fff
                                        ; implicit-def: $vgpr87
; %bb.34:
	s_and_not1_saveexec_b32 s3, s3
; %bb.35:
	v_and_b32_e32 v88, 0xffff, v87
	v_or_b32_e32 v90, 0x10000, v87
	s_delay_alu instid0(VALU_DEP_2) | instskip(NEXT) | instid1(VALU_DEP_2)
	v_cmp_eq_u32_e32 vcc_lo, 0, v88
	v_cndmask_b32_e32 v88, v90, v87, vcc_lo
; %bb.36:
	s_or_b32 exec_lo, exec_lo, s3
	v_and_b32_e32 v87, 0x7f800000, v84
	s_delay_alu instid0(VALU_DEP_1) | instskip(SKIP_1) | instid1(SALU_CYCLE_1)
	v_cmp_ne_u32_e32 vcc_lo, 0x7f800000, v87
                                        ; implicit-def: $vgpr87
	s_and_saveexec_b32 s3, vcc_lo
	s_xor_b32 s3, exec_lo, s3
; %bb.37:
	v_bfe_u32 v87, v84, 16, 1
	s_delay_alu instid0(VALU_DEP_1)
	v_add3_u32 v87, v84, v87, 0x7fff
                                        ; implicit-def: $vgpr84
; %bb.38:
	s_and_not1_saveexec_b32 s3, s3
; %bb.39:
	v_and_b32_e32 v87, 0xffff, v84
	v_or_b32_e32 v90, 0x10000, v84
	s_delay_alu instid0(VALU_DEP_2) | instskip(NEXT) | instid1(VALU_DEP_2)
	v_cmp_eq_u32_e32 vcc_lo, 0, v87
	v_cndmask_b32_e32 v87, v90, v84, vcc_lo
; %bb.40:
	s_or_b32 exec_lo, exec_lo, s3
	v_and_b32_e32 v84, 0x7f800000, v80
	s_delay_alu instid0(VALU_DEP_1) | instskip(SKIP_1) | instid1(SALU_CYCLE_1)
	v_cmp_ne_u32_e32 vcc_lo, 0x7f800000, v84
                                        ; implicit-def: $vgpr84
	s_and_saveexec_b32 s3, vcc_lo
	s_xor_b32 s3, exec_lo, s3
; %bb.41:
	v_bfe_u32 v84, v80, 16, 1
	s_delay_alu instid0(VALU_DEP_1)
	v_add3_u32 v84, v80, v84, 0x7fff
                                        ; implicit-def: $vgpr80
; %bb.42:
	s_and_not1_saveexec_b32 s3, s3
; %bb.43:
	v_and_b32_e32 v84, 0xffff, v80
	v_or_b32_e32 v90, 0x10000, v80
	s_delay_alu instid0(VALU_DEP_2) | instskip(NEXT) | instid1(VALU_DEP_2)
	v_cmp_eq_u32_e32 vcc_lo, 0, v84
	v_cndmask_b32_e32 v84, v90, v80, vcc_lo
; %bb.44:
	s_or_b32 exec_lo, exec_lo, s3
	s_load_b64 s[34:35], s[0:1], 0x94
	v_lshlrev_b32_e32 v91, 4, v74
	s_delay_alu instid0(VALU_DEP_2)
	v_perm_b32 v90, v84, v87, 0x7060302
	v_dual_mul_f32 v79, v82, v79 :: v_dual_lshlrev_b32 v80, 6, v65
	v_dual_mul_f32 v77, v82, v77 :: v_dual_lshlrev_b32 v92, 11, v66
	v_mul_f32_e32 v84, v82, v70
	v_perm_b32 v89, v88, v89, 0x7060302
	v_perm_b32 v88, v86, v85, 0x7060302
	;; [unrolled: 1-line block ×3, first 2 shown]
	v_mul_f32_e32 v70, v82, v81
	v_or3_b32 v76, v91, v92, v80
	v_dual_mul_f32 v78, v82, v78 :: v_dual_and_b32 v85, 0x7f800000, v84
	v_mul_f32_e32 v83, v82, v72
	v_mul_f32_e32 v81, v82, v71
	;; [unrolled: 1-line block ×3, first 2 shown]
	s_mov_b32 s3, exec_lo
	ds_store_b128 v76, v[87:90]
                                        ; implicit-def: $vgpr69
	v_cmpx_ne_u32_e32 0x7f800000, v85
	s_xor_b32 s3, exec_lo, s3
; %bb.45:
	v_bfe_u32 v69, v84, 16, 1
	s_delay_alu instid0(VALU_DEP_1)
	v_add3_u32 v69, v84, v69, 0x7fff
                                        ; implicit-def: $vgpr84
; %bb.46:
	s_and_not1_saveexec_b32 s3, s3
; %bb.47:
	v_and_b32_e32 v69, 0xffff, v84
	v_or_b32_e32 v71, 0x10000, v84
	s_delay_alu instid0(VALU_DEP_2) | instskip(NEXT) | instid1(VALU_DEP_2)
	v_cmp_eq_u32_e32 vcc_lo, 0, v69
	v_cndmask_b32_e32 v69, v71, v84, vcc_lo
; %bb.48:
	s_or_b32 exec_lo, exec_lo, s3
	v_and_b32_e32 v71, 0x7f800000, v72
	s_delay_alu instid0(VALU_DEP_1) | instskip(SKIP_1) | instid1(SALU_CYCLE_1)
	v_cmp_ne_u32_e32 vcc_lo, 0x7f800000, v71
                                        ; implicit-def: $vgpr71
	s_and_saveexec_b32 s3, vcc_lo
	s_xor_b32 s3, exec_lo, s3
; %bb.49:
	v_bfe_u32 v71, v72, 16, 1
	s_delay_alu instid0(VALU_DEP_1)
	v_add3_u32 v71, v72, v71, 0x7fff
                                        ; implicit-def: $vgpr72
; %bb.50:
	s_and_not1_saveexec_b32 s3, s3
; %bb.51:
	v_and_b32_e32 v71, 0xffff, v72
	v_or_b32_e32 v82, 0x10000, v72
	s_delay_alu instid0(VALU_DEP_2) | instskip(NEXT) | instid1(VALU_DEP_2)
	v_cmp_eq_u32_e32 vcc_lo, 0, v71
	v_cndmask_b32_e32 v71, v82, v72, vcc_lo
; %bb.52:
	s_or_b32 exec_lo, exec_lo, s3
	v_and_b32_e32 v72, 0x7f800000, v81
	s_delay_alu instid0(VALU_DEP_1) | instskip(SKIP_1) | instid1(SALU_CYCLE_1)
	v_cmp_ne_u32_e32 vcc_lo, 0x7f800000, v72
                                        ; implicit-def: $vgpr72
	s_and_saveexec_b32 s3, vcc_lo
	s_xor_b32 s3, exec_lo, s3
; %bb.53:
	v_bfe_u32 v72, v81, 16, 1
	s_delay_alu instid0(VALU_DEP_1)
	v_add3_u32 v72, v81, v72, 0x7fff
                                        ; implicit-def: $vgpr81
; %bb.54:
	s_and_not1_saveexec_b32 s3, s3
; %bb.55:
	v_and_b32_e32 v72, 0xffff, v81
	v_or_b32_e32 v82, 0x10000, v81
	s_delay_alu instid0(VALU_DEP_2) | instskip(NEXT) | instid1(VALU_DEP_2)
	v_cmp_eq_u32_e32 vcc_lo, 0, v72
	v_cndmask_b32_e32 v72, v82, v81, vcc_lo
; %bb.56:
	s_or_b32 exec_lo, exec_lo, s3
	v_and_b32_e32 v81, 0x7f800000, v83
	s_delay_alu instid0(VALU_DEP_1) | instskip(SKIP_1) | instid1(SALU_CYCLE_1)
	v_cmp_ne_u32_e32 vcc_lo, 0x7f800000, v81
                                        ; implicit-def: $vgpr81
	s_and_saveexec_b32 s3, vcc_lo
	s_xor_b32 s3, exec_lo, s3
; %bb.57:
	v_bfe_u32 v81, v83, 16, 1
	s_delay_alu instid0(VALU_DEP_1)
	v_add3_u32 v81, v83, v81, 0x7fff
                                        ; implicit-def: $vgpr83
; %bb.58:
	s_and_not1_saveexec_b32 s3, s3
; %bb.59:
	v_and_b32_e32 v81, 0xffff, v83
	v_or_b32_e32 v82, 0x10000, v83
	s_delay_alu instid0(VALU_DEP_2) | instskip(NEXT) | instid1(VALU_DEP_2)
	v_cmp_eq_u32_e32 vcc_lo, 0, v81
	v_cndmask_b32_e32 v81, v82, v83, vcc_lo
; %bb.60:
	s_or_b32 exec_lo, exec_lo, s3
	v_and_b32_e32 v82, 0x7f800000, v77
	s_delay_alu instid0(VALU_DEP_1) | instskip(SKIP_1) | instid1(SALU_CYCLE_1)
	v_cmp_ne_u32_e32 vcc_lo, 0x7f800000, v82
                                        ; implicit-def: $vgpr82
	s_and_saveexec_b32 s3, vcc_lo
	s_xor_b32 s3, exec_lo, s3
; %bb.61:
	v_bfe_u32 v82, v77, 16, 1
	s_delay_alu instid0(VALU_DEP_1)
	v_add3_u32 v82, v77, v82, 0x7fff
                                        ; implicit-def: $vgpr77
; %bb.62:
	s_and_not1_saveexec_b32 s3, s3
; %bb.63:
	v_and_b32_e32 v82, 0xffff, v77
	v_or_b32_e32 v83, 0x10000, v77
	s_delay_alu instid0(VALU_DEP_2) | instskip(NEXT) | instid1(VALU_DEP_2)
	v_cmp_eq_u32_e32 vcc_lo, 0, v82
	v_cndmask_b32_e32 v82, v83, v77, vcc_lo
; %bb.64:
	s_or_b32 exec_lo, exec_lo, s3
	v_and_b32_e32 v77, 0x7f800000, v78
	s_delay_alu instid0(VALU_DEP_1) | instskip(SKIP_1) | instid1(SALU_CYCLE_1)
	v_cmp_ne_u32_e32 vcc_lo, 0x7f800000, v77
                                        ; implicit-def: $vgpr77
	s_and_saveexec_b32 s3, vcc_lo
	s_xor_b32 s3, exec_lo, s3
; %bb.65:
	v_bfe_u32 v77, v78, 16, 1
	s_delay_alu instid0(VALU_DEP_1)
	v_add3_u32 v77, v78, v77, 0x7fff
                                        ; implicit-def: $vgpr78
; %bb.66:
	s_and_not1_saveexec_b32 s3, s3
; %bb.67:
	v_and_b32_e32 v77, 0xffff, v78
	v_or_b32_e32 v83, 0x10000, v78
	s_delay_alu instid0(VALU_DEP_2) | instskip(NEXT) | instid1(VALU_DEP_2)
	v_cmp_eq_u32_e32 vcc_lo, 0, v77
	v_cndmask_b32_e32 v77, v83, v78, vcc_lo
; %bb.68:
	s_or_b32 exec_lo, exec_lo, s3
	v_and_b32_e32 v78, 0x7f800000, v79
	s_delay_alu instid0(VALU_DEP_1) | instskip(SKIP_1) | instid1(SALU_CYCLE_1)
	v_cmp_ne_u32_e32 vcc_lo, 0x7f800000, v78
                                        ; implicit-def: $vgpr78
	s_and_saveexec_b32 s3, vcc_lo
	s_xor_b32 s3, exec_lo, s3
; %bb.69:
	v_bfe_u32 v78, v79, 16, 1
	s_delay_alu instid0(VALU_DEP_1)
	v_add3_u32 v78, v79, v78, 0x7fff
                                        ; implicit-def: $vgpr79
; %bb.70:
	s_and_not1_saveexec_b32 s3, s3
; %bb.71:
	v_and_b32_e32 v78, 0xffff, v79
	v_or_b32_e32 v83, 0x10000, v79
	s_delay_alu instid0(VALU_DEP_2) | instskip(NEXT) | instid1(VALU_DEP_2)
	v_cmp_eq_u32_e32 vcc_lo, 0, v78
	v_cndmask_b32_e32 v78, v83, v79, vcc_lo
; %bb.72:
	s_or_b32 exec_lo, exec_lo, s3
	v_and_b32_e32 v79, 0x7f800000, v70
	s_delay_alu instid0(VALU_DEP_1) | instskip(SKIP_1) | instid1(SALU_CYCLE_1)
	v_cmp_ne_u32_e32 vcc_lo, 0x7f800000, v79
                                        ; implicit-def: $vgpr79
	s_and_saveexec_b32 s3, vcc_lo
	s_xor_b32 s3, exec_lo, s3
; %bb.73:
	v_bfe_u32 v79, v70, 16, 1
	s_delay_alu instid0(VALU_DEP_1)
	v_add3_u32 v79, v70, v79, 0x7fff
                                        ; implicit-def: $vgpr70
; %bb.74:
	s_and_not1_saveexec_b32 s3, s3
; %bb.75:
	v_and_b32_e32 v79, 0xffff, v70
	v_or_b32_e32 v83, 0x10000, v70
	s_delay_alu instid0(VALU_DEP_2) | instskip(NEXT) | instid1(VALU_DEP_2)
	v_cmp_eq_u32_e32 vcc_lo, 0, v79
	v_cndmask_b32_e32 v79, v83, v70, vcc_lo
; %bb.76:
	s_or_b32 exec_lo, exec_lo, s3
	s_delay_alu instid0(VALU_DEP_1)
	v_perm_b32 v86, v79, v78, 0x7060302
	v_perm_b32 v85, v77, v82, 0x7060302
	;; [unrolled: 1-line block ×4, first 2 shown]
	v_lshl_or_b32 v82, v66, 11, v80
	ds_store_b128 v76, v[83:86] offset:1024
	s_waitcnt lgkmcnt(0)
	s_barrier
	buffer_gl0_inv
	ds_load_b128 v[69:72], v82
	ds_load_b128 v[83:86], v82 offset:16
	s_waitcnt lgkmcnt(1)
	v_lshrrev_b32_e32 v66, 16, v69
	s_waitcnt lgkmcnt(0)
	v_lshrrev_b32_e32 v91, 16, v83
	v_lshlrev_b32_e32 v78, 2, v74
	v_lshrrev_b32_e32 v95, 16, v70
	v_lshrrev_b32_e32 v98, 16, v84
	;; [unrolled: 1-line block ×4, first 2 shown]
	v_cmp_eq_u32_e32 vcc_lo, 1, v78
	v_lshrrev_b32_e32 v97, 16, v72
	v_lshrrev_b32_e32 v100, 16, v86
	v_cndmask_b32_e32 v87, v83, v91, vcc_lo
	v_or_b32_e32 v79, 1, v78
	v_cndmask_b32_e32 v81, v69, v66, vcc_lo
	v_cmp_eq_u32_e64 s4, 2, v78
	v_cmp_eq_u32_e64 s7, 3, v78
	;; [unrolled: 1-line block ×5, first 2 shown]
	v_cndmask_b32_e64 v81, v81, v70, s4
	v_cndmask_b32_e64 v87, v87, v84, s4
	v_cmp_eq_u32_e64 s8, 3, v79
	v_cndmask_b32_e64 v88, v69, v66, s3
	v_or_b32_e32 v77, 2, v78
	v_cndmask_b32_e64 v81, v81, v95, s7
	v_cndmask_b32_e64 v87, v87, v98, s7
	v_cndmask_b32_e64 v89, v83, v91, s3
	v_cndmask_b32_e64 v88, v88, v70, s6
	v_cmp_eq_u32_e64 s10, 5, v78
	v_cndmask_b32_e64 v81, v81, v71, s9
	v_cndmask_b32_e64 v87, v87, v85, s9
	v_cmp_eq_u32_e64 s11, 4, v79
	v_cndmask_b32_e64 v88, v88, v95, s8
	v_cmp_eq_u32_e64 s5, 1, v77
	v_cndmask_b32_e64 v89, v89, v84, s6
	v_cndmask_b32_e64 v81, v81, v96, s10
	v_cmp_eq_u32_e64 s12, 6, v78
	v_cndmask_b32_e64 v88, v88, v71, s11
	;; [unrolled: 3-line block ×3, first 2 shown]
	v_cndmask_b32_e64 v89, v89, v98, s8
	v_cndmask_b32_e64 v81, v81, v72, s12
	v_cmp_eq_u32_e64 s15, 7, v78
	v_cndmask_b32_e64 v88, v88, v96, s13
	v_cndmask_b32_e64 v87, v87, v86, s12
	v_cmp_eq_u32_e64 s16, 6, v79
	v_cmp_eq_u32_e64 s17, 2, v77
	v_cndmask_b32_e64 v89, v89, v85, s11
	v_cndmask_b32_e64 v101, v81, v97, s15
	;; [unrolled: 1-line block ×6, first 2 shown]
	v_cmp_eq_u32_e64 s18, 7, v79
	v_cmp_eq_u32_e64 s19, 3, v77
	v_cmp_eq_u32_e64 s20, 4, v77
	v_cmp_eq_u32_e64 s22, 5, v77
	v_cndmask_b32_e64 v87, v87, v84, s17
	v_cndmask_b32_e64 v103, v88, v97, s18
	;; [unrolled: 1-line block ×4, first 2 shown]
	v_or_b32_e32 v81, 3, v78
	v_cndmask_b32_e64 v93, v87, v98, s19
	v_cmp_eq_u32_e64 s24, 6, v77
	v_cndmask_b32_e64 v104, v88, v86, s16
	v_cndmask_b32_e64 v92, v89, v71, s20
	v_cmp_eq_u32_e64 s21, 1, v81
	ds_load_b128 v[87:90], v82 offset:1024
	v_cmp_eq_u32_e64 s23, 2, v81
	v_cmp_eq_u32_e64 s25, 3, v81
	v_cndmask_b32_e64 v105, v92, v96, s22
	v_cndmask_b32_e64 v66, v69, v66, s21
	;; [unrolled: 1-line block ×4, first 2 shown]
	ds_load_b128 v[91:94], v82 offset:1040
	v_cmp_eq_u32_e64 s26, 4, v81
	v_cndmask_b32_e64 v66, v66, v70, s23
	v_cmp_eq_u32_e64 s27, 7, v77
	v_cndmask_b32_e64 v70, v83, v84, s23
	v_cndmask_b32_e64 v84, v105, v72, s24
	v_cmp_eq_u32_e64 s28, 5, v81
	v_cndmask_b32_e64 v66, v66, v95, s25
	v_cmp_eq_u32_e64 s29, 6, v81
	v_cndmask_b32_e64 v70, v70, v98, s25
	v_cndmask_b32_e64 v69, v69, v99, s22
	;; [unrolled: 1-line block ×4, first 2 shown]
	s_waitcnt lgkmcnt(1)
	v_lshrrev_b32_e32 v95, 16, v87
	v_cndmask_b32_e64 v70, v70, v85, s26
	v_cndmask_b32_e64 v71, v84, v97, s27
	;; [unrolled: 1-line block ×4, first 2 shown]
	v_cndmask_b32_e32 v84, v87, v95, vcc_lo
	v_cndmask_b32_e64 v70, v70, v99, s28
	s_waitcnt lgkmcnt(0)
	v_lshrrev_b32_e32 v85, 16, v91
	v_lshrrev_b32_e32 v96, 16, v88
	v_cndmask_b32_e64 v98, v87, v95, s3
	v_cndmask_b32_e64 v84, v84, v88, s4
	;; [unrolled: 1-line block ×3, first 2 shown]
	v_cndmask_b32_e32 v99, v91, v85, vcc_lo
	v_cmp_eq_u32_e32 vcc_lo, 7, v81
	v_cndmask_b32_e64 v66, v66, v72, s29
	v_cndmask_b32_e64 v72, v84, v96, s7
	;; [unrolled: 1-line block ×3, first 2 shown]
	v_lshrrev_b32_e32 v98, 16, v92
	v_cndmask_b32_e32 v70, v70, v100, vcc_lo
	v_cndmask_b32_e64 v86, v99, v92, s4
	v_cndmask_b32_e64 v69, v69, v100, s27
	v_lshrrev_b32_e32 v100, 16, v93
	v_cndmask_b32_e64 v72, v72, v89, s9
	v_lshrrev_b32_e32 v99, 16, v89
	v_cndmask_b32_e64 v86, v86, v98, s7
	v_perm_b32 v71, v69, v71, 0x5040100
	v_cndmask_b32_e64 v84, v84, v96, s8
	s_delay_alu instid0(VALU_DEP_3) | instskip(NEXT) | instid1(VALU_DEP_2)
	v_cndmask_b32_e64 v86, v86, v93, s9
	v_cndmask_b32_e64 v84, v84, v89, s11
	s_delay_alu instid0(VALU_DEP_2) | instskip(NEXT) | instid1(VALU_DEP_1)
	v_cndmask_b32_e64 v86, v86, v100, s10
	v_cndmask_b32_e64 v69, v86, v94, s12
	;; [unrolled: 1-line block ×5, first 2 shown]
	s_delay_alu instid0(VALU_DEP_3) | instskip(NEXT) | instid1(VALU_DEP_3)
	v_cndmask_b32_e64 v86, v86, v88, s17
	v_cndmask_b32_e64 v87, v87, v88, s23
	s_delay_alu instid0(VALU_DEP_3) | instskip(NEXT) | instid1(VALU_DEP_3)
	v_cndmask_b32_e64 v88, v95, v92, s23
	v_cndmask_b32_e64 v86, v86, v96, s19
	;; [unrolled: 3-line block ×7, first 2 shown]
	s_delay_alu instid0(VALU_DEP_3) | instskip(SKIP_2) | instid1(VALU_DEP_2)
	v_cndmask_b32_e64 v88, v88, v94, s29
	v_cndmask_b32_e32 v66, v66, v97, vcc_lo
	v_cndmask_b32_e64 v97, v72, v99, s10
	v_perm_b32 v72, v70, v66, 0x5040100
	v_perm_b32 v70, v83, v103, 0x5040100
	v_cndmask_b32_e64 v103, v91, v85, s5
	v_cndmask_b32_e64 v85, v91, v85, s3
	;; [unrolled: 1-line block ×4, first 2 shown]
	v_lshrrev_b32_e32 v97, 16, v90
	v_cndmask_b32_e64 v91, v103, v92, s17
	v_cndmask_b32_e64 v85, v85, v92, s6
	;; [unrolled: 1-line block ×3, first 2 shown]
	s_mov_b32 s3, exec_lo
	v_cndmask_b32_e64 v83, v84, v97, s15
	v_cndmask_b32_e64 v91, v91, v98, s19
	;; [unrolled: 1-line block ×3, first 2 shown]
	v_lshrrev_b32_e32 v84, 16, v94
	v_cndmask_b32_e64 v66, v66, v97, s18
	v_cndmask_b32_e64 v90, v86, v97, s27
	;; [unrolled: 1-line block ×4, first 2 shown]
	v_dual_cndmask_b32 v86, v87, v97 :: v_dual_cndmask_b32 v87, v88, v84
	v_cndmask_b32_e64 v91, v69, v84, s15
	s_delay_alu instid0(VALU_DEP_4) | instskip(NEXT) | instid1(VALU_DEP_4)
	v_cndmask_b32_e64 v89, v89, v100, s22
	v_cndmask_b32_e64 v85, v85, v100, s13
	v_perm_b32 v69, v102, v101, 0x5040100
	v_perm_b32 v86, v87, v86, 0x5040100
	v_perm_b32 v83, v91, v83, 0x5040100
	v_cndmask_b32_e64 v89, v89, v94, s24
	v_cndmask_b32_e64 v85, v85, v94, s16
	s_mul_i32 s8, s35, 14
	s_delay_alu instid0(VALU_DEP_2) | instskip(NEXT) | instid1(VALU_DEP_2)
	v_cndmask_b32_e64 v88, v89, v84, s27
	v_cndmask_b32_e64 v89, v85, v84, s18
	s_delay_alu instid0(VALU_DEP_2) | instskip(NEXT) | instid1(VALU_DEP_2)
	v_perm_b32 v85, v88, v90, 0x5040100
	v_perm_b32 v84, v89, v66, 0x5040100
	ds_store_b128 v76, v[69:72]
	ds_store_b128 v76, v[83:86] offset:1024
	v_cmpx_gt_u32_e32 14, v0
	s_cbranch_execz .LBB1739_78
; %bb.77:
	s_mul_i32 s4, s8, s30
	s_delay_alu instid0(SALU_CYCLE_1) | instskip(SKIP_1) | instid1(VALU_DEP_1)
	v_add3_u32 v69, s4, s31, v65
	s_load_b128 s[4:7], s[0:1], 0x58
	v_mad_u64_u32 v[65:66], null, v69, s34, s[14:15]
	s_delay_alu instid0(VALU_DEP_1) | instskip(NEXT) | instid1(VALU_DEP_1)
	v_ashrrev_i32_e32 v66, 31, v65
	v_lshlrev_b64 v[65:66], 2, v[65:66]
	s_waitcnt lgkmcnt(0)
	s_delay_alu instid0(VALU_DEP_1) | instskip(NEXT) | instid1(VALU_DEP_2)
	v_add_co_u32 v69, vcc_lo, s6, v65
	v_add_co_ci_u32_e32 v70, vcc_lo, s7, v66, vcc_lo
	v_add_co_u32 v65, vcc_lo, s4, v65
	v_add_co_ci_u32_e32 v66, vcc_lo, s5, v66, vcc_lo
	global_store_b32 v[69:70], v67, off
	global_store_b32 v[65:66], v68, off
.LBB1739_78:
	s_or_b32 exec_lo, exec_lo, s3
	s_waitcnt lgkmcnt(0)
	s_waitcnt_vscnt null, 0x0
	s_barrier
	buffer_gl0_inv
	ds_load_b128 v[83:86], v80
	ds_load_b128 v[87:90], v80 offset:16
	ds_load_b128 v[95:98], v80 offset:2064
	;; [unrolled: 1-line block ×3, first 2 shown]
	v_mov_b32_e32 v65, 0
	ds_load_b128 v[103:106], v80 offset:4112
	ds_load_b128 v[99:102], v80 offset:4096
	;; [unrolled: 1-line block ×4, first 2 shown]
	v_mov_b32_e32 v66, v65
	v_mov_b32_e32 v67, v65
	;; [unrolled: 1-line block ×7, first 2 shown]
	s_waitcnt lgkmcnt(6)
	s_delay_alu instid0(VALU_DEP_1)
	v_wmma_f32_16x16x16_bf16 v[65:72], v[57:64], v[83:90], v[65:72]
	ds_load_b128 v[61:64], v80 offset:8208
	ds_load_b128 v[57:60], v80 offset:8192
	s_waitcnt lgkmcnt(6)
	v_wmma_f32_16x16x16_bf16 v[65:72], v[41:48], v[91:98], v[65:72]
	ds_load_b128 v[45:48], v80 offset:10256
	ds_load_b128 v[41:44], v80 offset:10240
	s_waitcnt lgkmcnt(6)
	;; [unrolled: 4-line block ×4, first 2 shown]
	v_wmma_f32_16x16x16_bf16 v[65:72], v[1:8], v[57:64], v[65:72]
	s_waitcnt lgkmcnt(4)
	s_delay_alu instid0(VALU_DEP_1) | instskip(SKIP_1) | instid1(VALU_DEP_1)
	v_wmma_f32_16x16x16_bf16 v[65:72], v[9:16], v[41:48], v[65:72]
	s_waitcnt lgkmcnt(2)
	v_wmma_f32_16x16x16_bf16 v[65:72], v[17:24], v[33:40], v[65:72]
	s_waitcnt lgkmcnt(0)
	s_delay_alu instid0(VALU_DEP_1) | instskip(NEXT) | instid1(VALU_DEP_1)
	v_wmma_f32_16x16x16_bf16 v[65:72], v[49:56], v[25:32], v[65:72]
	v_and_b32_e32 v1, 0x7f800000, v65
	s_delay_alu instid0(VALU_DEP_1) | instskip(SKIP_1) | instid1(SALU_CYCLE_1)
	v_cmp_ne_u32_e32 vcc_lo, 0x7f800000, v1
                                        ; implicit-def: $vgpr1
	s_and_saveexec_b32 s3, vcc_lo
	s_xor_b32 s3, exec_lo, s3
; %bb.79:
	v_bfe_u32 v1, v65, 16, 1
	s_delay_alu instid0(VALU_DEP_1)
	v_add3_u32 v1, v65, v1, 0x7fff
; %bb.80:
	s_and_not1_saveexec_b32 s3, s3
; %bb.81:
	v_and_b32_e32 v1, 0xffff, v65
	v_or_b32_e32 v2, 0x10000, v65
	s_delay_alu instid0(VALU_DEP_2) | instskip(NEXT) | instid1(VALU_DEP_2)
	v_cmp_eq_u32_e32 vcc_lo, 0, v1
	v_cndmask_b32_e32 v1, v2, v65, vcc_lo
; %bb.82:
	s_or_b32 exec_lo, exec_lo, s3
	v_and_b32_e32 v2, 0x7f800000, v66
	s_delay_alu instid0(VALU_DEP_1) | instskip(SKIP_1) | instid1(SALU_CYCLE_1)
	v_cmp_ne_u32_e32 vcc_lo, 0x7f800000, v2
                                        ; implicit-def: $vgpr2
	s_and_saveexec_b32 s3, vcc_lo
	s_xor_b32 s3, exec_lo, s3
; %bb.83:
	v_bfe_u32 v2, v66, 16, 1
	s_delay_alu instid0(VALU_DEP_1)
	v_add3_u32 v2, v66, v2, 0x7fff
; %bb.84:
	s_and_not1_saveexec_b32 s3, s3
; %bb.85:
	v_and_b32_e32 v2, 0xffff, v66
	v_or_b32_e32 v3, 0x10000, v66
	s_delay_alu instid0(VALU_DEP_2) | instskip(NEXT) | instid1(VALU_DEP_2)
	v_cmp_eq_u32_e32 vcc_lo, 0, v2
	v_cndmask_b32_e32 v2, v3, v66, vcc_lo
; %bb.86:
	s_or_b32 exec_lo, exec_lo, s3
	v_and_b32_e32 v3, 0x7f800000, v67
	s_delay_alu instid0(VALU_DEP_1) | instskip(SKIP_1) | instid1(SALU_CYCLE_1)
	v_cmp_ne_u32_e32 vcc_lo, 0x7f800000, v3
                                        ; implicit-def: $vgpr3
	s_and_saveexec_b32 s3, vcc_lo
	s_xor_b32 s3, exec_lo, s3
; %bb.87:
	v_bfe_u32 v3, v67, 16, 1
	s_delay_alu instid0(VALU_DEP_1)
	v_add3_u32 v3, v67, v3, 0x7fff
; %bb.88:
	s_and_not1_saveexec_b32 s3, s3
; %bb.89:
	v_and_b32_e32 v3, 0xffff, v67
	v_or_b32_e32 v4, 0x10000, v67
	s_delay_alu instid0(VALU_DEP_2) | instskip(NEXT) | instid1(VALU_DEP_2)
	v_cmp_eq_u32_e32 vcc_lo, 0, v3
	v_cndmask_b32_e32 v3, v4, v67, vcc_lo
; %bb.90:
	s_or_b32 exec_lo, exec_lo, s3
	v_and_b32_e32 v4, 0x7f800000, v68
	s_delay_alu instid0(VALU_DEP_1) | instskip(SKIP_1) | instid1(SALU_CYCLE_1)
	v_cmp_ne_u32_e32 vcc_lo, 0x7f800000, v4
                                        ; implicit-def: $vgpr4
	s_and_saveexec_b32 s3, vcc_lo
	s_xor_b32 s3, exec_lo, s3
; %bb.91:
	v_bfe_u32 v4, v68, 16, 1
	s_delay_alu instid0(VALU_DEP_1)
	v_add3_u32 v4, v68, v4, 0x7fff
; %bb.92:
	s_and_not1_saveexec_b32 s3, s3
; %bb.93:
	v_and_b32_e32 v4, 0xffff, v68
	v_or_b32_e32 v5, 0x10000, v68
	s_delay_alu instid0(VALU_DEP_2) | instskip(NEXT) | instid1(VALU_DEP_2)
	v_cmp_eq_u32_e32 vcc_lo, 0, v4
	v_cndmask_b32_e32 v4, v5, v68, vcc_lo
; %bb.94:
	s_or_b32 exec_lo, exec_lo, s3
	v_and_b32_e32 v5, 0x7f800000, v69
	s_delay_alu instid0(VALU_DEP_1) | instskip(SKIP_1) | instid1(SALU_CYCLE_1)
	v_cmp_ne_u32_e32 vcc_lo, 0x7f800000, v5
                                        ; implicit-def: $vgpr5
	s_and_saveexec_b32 s3, vcc_lo
	s_xor_b32 s3, exec_lo, s3
; %bb.95:
	v_bfe_u32 v5, v69, 16, 1
	s_delay_alu instid0(VALU_DEP_1)
	v_add3_u32 v5, v69, v5, 0x7fff
; %bb.96:
	s_and_not1_saveexec_b32 s3, s3
; %bb.97:
	v_and_b32_e32 v5, 0xffff, v69
	v_or_b32_e32 v6, 0x10000, v69
	s_delay_alu instid0(VALU_DEP_2) | instskip(NEXT) | instid1(VALU_DEP_2)
	v_cmp_eq_u32_e32 vcc_lo, 0, v5
	v_cndmask_b32_e32 v5, v6, v69, vcc_lo
; %bb.98:
	s_or_b32 exec_lo, exec_lo, s3
	v_and_b32_e32 v6, 0x7f800000, v70
	s_delay_alu instid0(VALU_DEP_1) | instskip(SKIP_1) | instid1(SALU_CYCLE_1)
	v_cmp_ne_u32_e32 vcc_lo, 0x7f800000, v6
                                        ; implicit-def: $vgpr6
	s_and_saveexec_b32 s3, vcc_lo
	s_xor_b32 s3, exec_lo, s3
; %bb.99:
	v_bfe_u32 v6, v70, 16, 1
	s_delay_alu instid0(VALU_DEP_1)
	v_add3_u32 v6, v70, v6, 0x7fff
; %bb.100:
	s_and_not1_saveexec_b32 s3, s3
; %bb.101:
	v_and_b32_e32 v6, 0xffff, v70
	v_or_b32_e32 v7, 0x10000, v70
	s_delay_alu instid0(VALU_DEP_2) | instskip(NEXT) | instid1(VALU_DEP_2)
	v_cmp_eq_u32_e32 vcc_lo, 0, v6
	v_cndmask_b32_e32 v6, v7, v70, vcc_lo
; %bb.102:
	s_or_b32 exec_lo, exec_lo, s3
	v_and_b32_e32 v7, 0x7f800000, v71
	s_delay_alu instid0(VALU_DEP_1) | instskip(SKIP_1) | instid1(SALU_CYCLE_1)
	v_cmp_ne_u32_e32 vcc_lo, 0x7f800000, v7
                                        ; implicit-def: $vgpr7
	s_and_saveexec_b32 s3, vcc_lo
	s_xor_b32 s3, exec_lo, s3
; %bb.103:
	v_bfe_u32 v7, v71, 16, 1
	s_delay_alu instid0(VALU_DEP_1)
	v_add3_u32 v7, v71, v7, 0x7fff
; %bb.104:
	s_and_not1_saveexec_b32 s3, s3
; %bb.105:
	v_and_b32_e32 v7, 0xffff, v71
	v_or_b32_e32 v8, 0x10000, v71
	s_delay_alu instid0(VALU_DEP_2) | instskip(NEXT) | instid1(VALU_DEP_2)
	v_cmp_eq_u32_e32 vcc_lo, 0, v7
	v_cndmask_b32_e32 v7, v8, v71, vcc_lo
; %bb.106:
	s_or_b32 exec_lo, exec_lo, s3
	v_and_b32_e32 v8, 0x7f800000, v72
	s_delay_alu instid0(VALU_DEP_1) | instskip(SKIP_1) | instid1(SALU_CYCLE_1)
	v_cmp_ne_u32_e32 vcc_lo, 0x7f800000, v8
                                        ; implicit-def: $vgpr8
	s_and_saveexec_b32 s3, vcc_lo
	s_xor_b32 s3, exec_lo, s3
; %bb.107:
	v_bfe_u32 v8, v72, 16, 1
	s_delay_alu instid0(VALU_DEP_1)
	v_add3_u32 v8, v72, v8, 0x7fff
                                        ; implicit-def: $vgpr65_vgpr66_vgpr67_vgpr68_vgpr69_vgpr70_vgpr71_vgpr72
; %bb.108:
	s_and_not1_saveexec_b32 s3, s3
; %bb.109:
	v_and_b32_e32 v8, 0xffff, v72
	v_or_b32_e32 v9, 0x10000, v72
	s_delay_alu instid0(VALU_DEP_2) | instskip(NEXT) | instid1(VALU_DEP_2)
	v_cmp_eq_u32_e32 vcc_lo, 0, v8
	v_cndmask_b32_e32 v8, v9, v72, vcc_lo
; %bb.110:
	s_or_b32 exec_lo, exec_lo, s3
	s_delay_alu instid0(VALU_DEP_1)
	v_perm_b32 v7, v8, v7, 0x7060302
	v_perm_b32 v6, v6, v5, 0x7060302
	;; [unrolled: 1-line block ×4, first 2 shown]
	s_barrier
	buffer_gl0_inv
	v_cmp_eq_u32_e32 vcc_lo, 1, v78
	ds_store_b128 v76, v[4:7]
	s_waitcnt lgkmcnt(0)
	s_barrier
	buffer_gl0_inv
	ds_load_b128 v[1:4], v82
	ds_load_b128 v[5:8], v82 offset:16
	v_cmp_eq_u32_e64 s3, 1, v79
	v_cmp_eq_u32_e64 s4, 2, v78
	;; [unrolled: 1-line block ×5, first 2 shown]
	s_waitcnt lgkmcnt(1)
	v_lshrrev_b32_e32 v9, 16, v1
	s_waitcnt lgkmcnt(0)
	v_lshrrev_b32_e32 v13, 16, v5
	v_lshrrev_b32_e32 v10, 16, v2
	;; [unrolled: 1-line block ×4, first 2 shown]
	v_cndmask_b32_e64 v19, v1, v9, s3
	v_cndmask_b32_e32 v18, v5, v13, vcc_lo
	v_cndmask_b32_e64 v20, v5, v13, s3
	v_cndmask_b32_e32 v17, v1, v9, vcc_lo
	v_cmp_eq_u32_e32 vcc_lo, 2, v79
	v_lshrrev_b32_e32 v15, 16, v7
	v_cmp_eq_u32_e64 s3, 1, v77
	v_lshrrev_b32_e32 v12, 16, v4
	v_lshrrev_b32_e32 v16, 16, v8
	v_cndmask_b32_e32 v20, v20, v6, vcc_lo
	v_cndmask_b32_e64 v17, v17, v2, s4
	v_cndmask_b32_e32 v19, v19, v2, vcc_lo
	v_cndmask_b32_e64 v18, v18, v6, s4
	v_cmp_eq_u32_e32 vcc_lo, 4, v78
	v_cmp_eq_u32_e64 s4, 3, v79
	v_cndmask_b32_e64 v17, v17, v10, s5
	v_cndmask_b32_e64 v21, v1, v9, s3
	;; [unrolled: 1-line block ×5, first 2 shown]
	v_cndmask_b32_e32 v17, v17, v3, vcc_lo
	v_cndmask_b32_e64 v20, v20, v14, s4
	v_cndmask_b32_e32 v18, v18, v7, vcc_lo
	v_cmp_eq_u32_e32 vcc_lo, 4, v79
	v_cmp_eq_u32_e64 s4, 5, v79
	v_cmp_eq_u32_e64 s3, 2, v81
	v_cndmask_b32_e64 v21, v21, v2, s7
	v_cmp_eq_u32_e64 s5, 5, v78
	v_cndmask_b32_e32 v19, v19, v3, vcc_lo
	v_cndmask_b32_e32 v20, v20, v7, vcc_lo
	v_cmp_eq_u32_e32 vcc_lo, 6, v79
	s_delay_alu instid0(VALU_DEP_4) | instskip(NEXT) | instid1(VALU_DEP_4)
	v_cndmask_b32_e64 v17, v17, v11, s5
	v_cndmask_b32_e64 v19, v19, v11, s4
	s_delay_alu instid0(VALU_DEP_4) | instskip(SKIP_1) | instid1(VALU_DEP_3)
	v_cndmask_b32_e64 v20, v20, v15, s4
	v_cmp_eq_u32_e64 s4, 1, v81
	v_cndmask_b32_e32 v19, v19, v4, vcc_lo
	v_cndmask_b32_e64 v18, v18, v15, s5
	s_delay_alu instid0(VALU_DEP_3)
	v_cndmask_b32_e64 v1, v1, v9, s4
	v_cndmask_b32_e64 v5, v5, v13, s4
	v_cmp_eq_u32_e64 s4, 3, v77
	v_cndmask_b32_e64 v13, v22, v6, s7
	v_cmp_eq_u32_e64 s7, 3, v81
	v_cndmask_b32_e64 v1, v1, v2, s3
	v_cndmask_b32_e64 v2, v5, v6, s3
	;; [unrolled: 1-line block ×3, first 2 shown]
	v_cmp_eq_u32_e64 s3, 4, v77
	v_cndmask_b32_e64 v6, v13, v14, s4
	v_cndmask_b32_e64 v1, v1, v10, s7
	v_cmp_eq_u32_e64 s4, 4, v81
	v_cndmask_b32_e64 v2, v2, v14, s7
	v_cndmask_b32_e64 v5, v9, v3, s3
	;; [unrolled: 3-line block ×3, first 2 shown]
	v_cndmask_b32_e64 v2, v2, v7, s4
	v_cmp_eq_u32_e64 s3, 5, v81
	v_cmp_eq_u32_e64 s5, 6, v78
	v_cndmask_b32_e64 v5, v5, v11, s7
	v_cmp_eq_u32_e64 s4, 6, v77
	v_cndmask_b32_e64 v3, v6, v15, s7
	v_cndmask_b32_e64 v1, v1, v11, s3
	v_cmp_eq_u32_e64 s7, 6, v81
	v_cndmask_b32_e64 v2, v2, v15, s3
	v_cndmask_b32_e64 v17, v17, v4, s5
	v_cndmask_b32_e64 v18, v18, v8, s5
	v_cmp_eq_u32_e64 s5, 7, v78
	v_cndmask_b32_e64 v5, v5, v4, s4
	;; [unrolled: 4-line block ×3, first 2 shown]
	v_cmp_eq_u32_e64 s4, 7, v77
	v_cndmask_b32_e32 v4, v20, v8, vcc_lo
	v_cndmask_b32_e64 v17, v17, v12, s5
	v_cndmask_b32_e64 v19, v19, v12, s6
	;; [unrolled: 1-line block ×8, first 2 shown]
	v_cmp_gt_u32_e32 vcc_lo, 32, v0
	v_perm_b32 v4, v2, v1, 0x5040100
	v_perm_b32 v3, v3, v5, 0x5040100
	;; [unrolled: 1-line block ×4, first 2 shown]
	s_and_b32 s2, vcc_lo, s2
	ds_store_b128 v76, v[1:4]
	s_waitcnt lgkmcnt(0)
	s_barrier
	buffer_gl0_inv
	s_and_saveexec_b32 s3, s2
	s_cbranch_execz .LBB1739_2
; %bb.111:
	s_load_b64 s[0:1], s[0:1], 0x68
	v_lshlrev_b32_e32 v0, 10, v0
	s_lshl_b32 s4, s34, 6
	v_or_b32_e32 v3, s31, v74
	s_mul_i32 s2, s4, s30
	v_lshlrev_b32_e32 v1, 4, v75
	v_lshlrev_b32_e32 v2, 6, v74
	v_and_b32_e32 v0, 0x3800, v0
	s_mul_i32 s2, s2, s8
	v_mul_lo_u32 v8, v3, s4
	s_ashr_i32 s3, s2, 31
	s_delay_alu instid0(SALU_CYCLE_1)
	s_lshl_b64 s[2:3], s[2:3], 1
	v_or3_b32 v16, v0, v1, v2
	ds_load_b128 v[0:3], v16
	ds_load_b128 v[4:7], v16 offset:128
	v_ashrrev_i32_e32 v9, 31, v8
	s_waitcnt lgkmcnt(0)
	s_add_u32 s2, s0, s2
	s_addc_u32 s3, s1, s3
	s_lshl_b32 s0, s14, 6
	s_delay_alu instid0(SALU_CYCLE_1) | instskip(SKIP_2) | instid1(SALU_CYCLE_1)
	s_ashr_i32 s1, s0, 31
	v_lshlrev_b64 v[9:10], 1, v[8:9]
	s_lshl_b64 s[0:1], s[0:1], 1
	s_add_u32 s0, s2, s0
	s_addc_u32 s1, s3, s1
	s_lshl_b32 s2, s34, 7
	v_add_co_u32 v30, s0, s0, v73
	v_add_nc_u32_e32 v11, s2, v8
	v_add_co_ci_u32_e64 v31, null, s1, 0, s0
	s_delay_alu instid0(VALU_DEP_3) | instskip(NEXT) | instid1(VALU_DEP_3)
	v_add_co_u32 v9, vcc_lo, v30, v9
	v_add_nc_u32_e32 v8, s2, v11
	s_delay_alu instid0(VALU_DEP_3) | instskip(SKIP_1) | instid1(VALU_DEP_3)
	v_add_co_ci_u32_e32 v10, vcc_lo, v31, v10, vcc_lo
	v_ashrrev_i32_e32 v12, 31, v11
	v_add_nc_u32_e32 v13, s2, v8
	global_store_b128 v[9:10], v[0:3], off
	v_ashrrev_i32_e32 v9, 31, v8
	v_lshlrev_b64 v[11:12], 1, v[11:12]
	v_ashrrev_i32_e32 v14, 31, v13
	v_add_nc_u32_e32 v10, s2, v13
	s_delay_alu instid0(VALU_DEP_4) | instskip(NEXT) | instid1(VALU_DEP_4)
	v_lshlrev_b64 v[2:3], 1, v[8:9]
	v_add_co_u32 v0, vcc_lo, v30, v11
	s_delay_alu instid0(VALU_DEP_4)
	v_lshlrev_b64 v[8:9], 1, v[13:14]
	v_add_co_ci_u32_e32 v1, vcc_lo, v31, v12, vcc_lo
	v_ashrrev_i32_e32 v11, 31, v10
	v_add_co_u32 v22, vcc_lo, v30, v2
	v_add_nc_u32_e32 v20, s2, v10
	v_add_co_ci_u32_e32 v23, vcc_lo, v31, v3, vcc_lo
	v_add_co_u32 v24, vcc_lo, v30, v8
	global_store_b128 v[0:1], v[4:7], off
	v_add_co_ci_u32_e32 v25, vcc_lo, v31, v9, vcc_lo
	ds_load_b128 v[0:3], v16 offset:256
	ds_load_b128 v[4:7], v16 offset:384
	v_lshlrev_b64 v[26:27], 1, v[10:11]
	ds_load_b128 v[8:11], v16 offset:512
	ds_load_b128 v[12:15], v16 offset:640
	;; [unrolled: 1-line block ×3, first 2 shown]
	v_add_nc_u32_e32 v28, s2, v20
	v_ashrrev_i32_e32 v21, 31, v20
	v_add_co_u32 v26, vcc_lo, v30, v26
	s_delay_alu instid0(VALU_DEP_3) | instskip(NEXT) | instid1(VALU_DEP_3)
	v_ashrrev_i32_e32 v29, 31, v28
	v_lshlrev_b64 v[20:21], 1, v[20:21]
	v_add_co_ci_u32_e32 v27, vcc_lo, v31, v27, vcc_lo
	s_delay_alu instid0(VALU_DEP_3) | instskip(NEXT) | instid1(VALU_DEP_3)
	v_lshlrev_b64 v[28:29], 1, v[28:29]
	v_add_co_u32 v20, vcc_lo, v30, v20
	s_delay_alu instid0(VALU_DEP_4) | instskip(NEXT) | instid1(VALU_DEP_3)
	v_add_co_ci_u32_e32 v21, vcc_lo, v31, v21, vcc_lo
	v_add_co_u32 v28, vcc_lo, v30, v28
	s_delay_alu instid0(VALU_DEP_4)
	v_add_co_ci_u32_e32 v29, vcc_lo, v31, v29, vcc_lo
	s_waitcnt lgkmcnt(4)
	global_store_b128 v[22:23], v[0:3], off
	s_waitcnt lgkmcnt(3)
	global_store_b128 v[24:25], v[4:7], off
	;; [unrolled: 2-line block ×5, first 2 shown]
	s_nop 0
	s_sendmsg sendmsg(MSG_DEALLOC_VGPRS)
	s_endpgm
	.section	.rodata,"a",@progbits
	.p2align	6, 0x0
	.amdhsa_kernel _Z39paged_attention_ll4mi_QKV_mfma16_kernelI14__hip_bfloat16hLN4vllm18Fp8KVCacheDataTypeE1EhLi32ELi64ELi256ELb1ELi14EL8MFMAType0EEvPKT_PKT0_S9_ifPKiSB_SB_iPKfiiiPfSE_PS4_PT2_iSD_SD_
		.amdhsa_group_segment_fixed_size 17472
		.amdhsa_private_segment_fixed_size 0
		.amdhsa_kernarg_size 400
		.amdhsa_user_sgpr_count 13
		.amdhsa_user_sgpr_dispatch_ptr 0
		.amdhsa_user_sgpr_queue_ptr 0
		.amdhsa_user_sgpr_kernarg_segment_ptr 1
		.amdhsa_user_sgpr_dispatch_id 0
		.amdhsa_user_sgpr_private_segment_size 0
		.amdhsa_wavefront_size32 1
		.amdhsa_uses_dynamic_stack 0
		.amdhsa_enable_private_segment 0
		.amdhsa_system_sgpr_workgroup_id_x 1
		.amdhsa_system_sgpr_workgroup_id_y 1
		.amdhsa_system_sgpr_workgroup_id_z 1
		.amdhsa_system_sgpr_workgroup_info 0
		.amdhsa_system_vgpr_workitem_id 0
		.amdhsa_next_free_vgpr 124
		.amdhsa_next_free_sgpr 40
		.amdhsa_reserve_vcc 1
		.amdhsa_float_round_mode_32 0
		.amdhsa_float_round_mode_16_64 0
		.amdhsa_float_denorm_mode_32 3
		.amdhsa_float_denorm_mode_16_64 3
		.amdhsa_dx10_clamp 1
		.amdhsa_ieee_mode 1
		.amdhsa_fp16_overflow 0
		.amdhsa_workgroup_processor_mode 1
		.amdhsa_memory_ordered 1
		.amdhsa_forward_progress 0
		.amdhsa_shared_vgpr_count 0
		.amdhsa_exception_fp_ieee_invalid_op 0
		.amdhsa_exception_fp_denorm_src 0
		.amdhsa_exception_fp_ieee_div_zero 0
		.amdhsa_exception_fp_ieee_overflow 0
		.amdhsa_exception_fp_ieee_underflow 0
		.amdhsa_exception_fp_ieee_inexact 0
		.amdhsa_exception_int_div_zero 0
	.end_amdhsa_kernel
	.section	.text._Z39paged_attention_ll4mi_QKV_mfma16_kernelI14__hip_bfloat16hLN4vllm18Fp8KVCacheDataTypeE1EhLi32ELi64ELi256ELb1ELi14EL8MFMAType0EEvPKT_PKT0_S9_ifPKiSB_SB_iPKfiiiPfSE_PS4_PT2_iSD_SD_,"axG",@progbits,_Z39paged_attention_ll4mi_QKV_mfma16_kernelI14__hip_bfloat16hLN4vllm18Fp8KVCacheDataTypeE1EhLi32ELi64ELi256ELb1ELi14EL8MFMAType0EEvPKT_PKT0_S9_ifPKiSB_SB_iPKfiiiPfSE_PS4_PT2_iSD_SD_,comdat
.Lfunc_end1739:
	.size	_Z39paged_attention_ll4mi_QKV_mfma16_kernelI14__hip_bfloat16hLN4vllm18Fp8KVCacheDataTypeE1EhLi32ELi64ELi256ELb1ELi14EL8MFMAType0EEvPKT_PKT0_S9_ifPKiSB_SB_iPKfiiiPfSE_PS4_PT2_iSD_SD_, .Lfunc_end1739-_Z39paged_attention_ll4mi_QKV_mfma16_kernelI14__hip_bfloat16hLN4vllm18Fp8KVCacheDataTypeE1EhLi32ELi64ELi256ELb1ELi14EL8MFMAType0EEvPKT_PKT0_S9_ifPKiSB_SB_iPKfiiiPfSE_PS4_PT2_iSD_SD_
                                        ; -- End function
	.section	.AMDGPU.csdata,"",@progbits
; Kernel info:
; codeLenInByte = 8924
; NumSgprs: 42
; NumVgprs: 124
; ScratchSize: 0
; MemoryBound: 0
; FloatMode: 240
; IeeeMode: 1
; LDSByteSize: 17472 bytes/workgroup (compile time only)
; SGPRBlocks: 5
; VGPRBlocks: 15
; NumSGPRsForWavesPerEU: 42
; NumVGPRsForWavesPerEU: 124
; Occupancy: 10
; WaveLimiterHint : 1
; COMPUTE_PGM_RSRC2:SCRATCH_EN: 0
; COMPUTE_PGM_RSRC2:USER_SGPR: 13
; COMPUTE_PGM_RSRC2:TRAP_HANDLER: 0
; COMPUTE_PGM_RSRC2:TGID_X_EN: 1
; COMPUTE_PGM_RSRC2:TGID_Y_EN: 1
; COMPUTE_PGM_RSRC2:TGID_Z_EN: 1
; COMPUTE_PGM_RSRC2:TIDIG_COMP_CNT: 0
	.section	.text._Z39paged_attention_ll4mi_QKV_mfma16_kernelI14__hip_bfloat16hLN4vllm18Fp8KVCacheDataTypeE1EhLi32ELi64ELi256ELb1ELi15EL8MFMAType0EEvPKT_PKT0_S9_ifPKiSB_SB_iPKfiiiPfSE_PS4_PT2_iSD_SD_,"axG",@progbits,_Z39paged_attention_ll4mi_QKV_mfma16_kernelI14__hip_bfloat16hLN4vllm18Fp8KVCacheDataTypeE1EhLi32ELi64ELi256ELb1ELi15EL8MFMAType0EEvPKT_PKT0_S9_ifPKiSB_SB_iPKfiiiPfSE_PS4_PT2_iSD_SD_,comdat
	.protected	_Z39paged_attention_ll4mi_QKV_mfma16_kernelI14__hip_bfloat16hLN4vllm18Fp8KVCacheDataTypeE1EhLi32ELi64ELi256ELb1ELi15EL8MFMAType0EEvPKT_PKT0_S9_ifPKiSB_SB_iPKfiiiPfSE_PS4_PT2_iSD_SD_ ; -- Begin function _Z39paged_attention_ll4mi_QKV_mfma16_kernelI14__hip_bfloat16hLN4vllm18Fp8KVCacheDataTypeE1EhLi32ELi64ELi256ELb1ELi15EL8MFMAType0EEvPKT_PKT0_S9_ifPKiSB_SB_iPKfiiiPfSE_PS4_PT2_iSD_SD_
	.globl	_Z39paged_attention_ll4mi_QKV_mfma16_kernelI14__hip_bfloat16hLN4vllm18Fp8KVCacheDataTypeE1EhLi32ELi64ELi256ELb1ELi15EL8MFMAType0EEvPKT_PKT0_S9_ifPKiSB_SB_iPKfiiiPfSE_PS4_PT2_iSD_SD_
	.p2align	8
	.type	_Z39paged_attention_ll4mi_QKV_mfma16_kernelI14__hip_bfloat16hLN4vllm18Fp8KVCacheDataTypeE1EhLi32ELi64ELi256ELb1ELi15EL8MFMAType0EEvPKT_PKT0_S9_ifPKiSB_SB_iPKfiiiPfSE_PS4_PT2_iSD_SD_,@function
_Z39paged_attention_ll4mi_QKV_mfma16_kernelI14__hip_bfloat16hLN4vllm18Fp8KVCacheDataTypeE1EhLi32ELi64ELi256ELb1ELi15EL8MFMAType0EEvPKT_PKT0_S9_ifPKiSB_SB_iPKfiiiPfSE_PS4_PT2_iSD_SD_: ; @_Z39paged_attention_ll4mi_QKV_mfma16_kernelI14__hip_bfloat16hLN4vllm18Fp8KVCacheDataTypeE1EhLi32ELi64ELi256ELb1ELi15EL8MFMAType0EEvPKT_PKT0_S9_ifPKiSB_SB_iPKfiiiPfSE_PS4_PT2_iSD_SD_
; %bb.0:
	s_load_b64 s[2:3], s[0:1], 0x30
	s_mov_b32 s34, s13
	s_waitcnt lgkmcnt(0)
	s_cmp_lg_u64 s[2:3], 0
	s_cselect_b32 s8, -1, 0
	s_ashr_i32 s35, s13, 31
	s_cmp_eq_u64 s[2:3], 0
	s_cbranch_scc1 .LBB1740_3
; %bb.1:
	s_lshl_b64 s[4:5], s[34:35], 2
	s_delay_alu instid0(SALU_CYCLE_1) | instskip(SKIP_4) | instid1(SALU_CYCLE_1)
	s_add_u32 s4, s2, s4
	s_addc_u32 s5, s3, s5
	s_load_b64 s[4:5], s[4:5], 0x0
	s_waitcnt lgkmcnt(0)
	s_sub_i32 s4, s5, s4
	s_cmp_eq_u32 s4, 1
	s_cselect_b32 s4, -1, 0
	s_delay_alu instid0(SALU_CYCLE_1)
	s_and_not1_b32 vcc_lo, exec_lo, s4
	s_cbranch_vccz .LBB1740_4
.LBB1740_2:
	s_nop 0
	s_sendmsg sendmsg(MSG_DEALLOC_VGPRS)
	s_endpgm
.LBB1740_3:
.LBB1740_4:
	s_load_b64 s[4:5], s[0:1], 0x28
	s_lshl_b64 s[6:7], s[34:35], 2
	s_waitcnt lgkmcnt(0)
	s_add_u32 s4, s4, s6
	s_addc_u32 s5, s5, s7
	s_lshl_b32 s12, s14, 8
	s_load_b32 s24, s[4:5], 0x0
	s_waitcnt lgkmcnt(0)
	s_cmp_ge_i32 s12, s24
	s_cbranch_scc1 .LBB1740_2
; %bb.5:
	s_clause 0x1
	s_load_b128 s[20:23], s[0:1], 0x8
	s_load_b64 s[4:5], s[0:1], 0x20
	s_and_not1_b32 vcc_lo, exec_lo, s8
	s_cbranch_vccnz .LBB1740_7
; %bb.6:
	s_add_u32 s2, s2, s6
	s_addc_u32 s3, s3, s7
	s_load_b32 s3, s[2:3], 0x0
	s_branch .LBB1740_8
.LBB1740_7:
	s_mov_b32 s3, s34
.LBB1740_8:
	s_load_b128 s[16:19], s[0:1], 0x48
	v_lshrrev_b32_e32 v66, 5, v0
	v_bfe_u32 v74, v0, 4, 1
	v_and_b32_e32 v65, 15, v0
	v_and_b32_e32 v67, 31, v0
	;; [unrolled: 1-line block ×3, first 2 shown]
	s_mul_i32 s31, s15, 15
	v_lshl_or_b32 v1, v66, 1, v74
	v_lshlrev_b32_e32 v2, 3, v65
	v_cmp_gt_u32_e64 s2, 8, v65
	s_delay_alu instid0(VALU_DEP_3) | instskip(NEXT) | instid1(VALU_DEP_3)
	v_cmp_gt_u32_e32 vcc_lo, 15, v1
	v_lshlrev_b32_e32 v73, 1, v2
	s_delay_alu instid0(VALU_DEP_3) | instskip(NEXT) | instid1(SALU_CYCLE_1)
	s_and_b32 s7, s2, vcc_lo
	s_and_saveexec_b32 s6, s7
	s_cbranch_execz .LBB1740_10
; %bb.9:
	s_load_b64 s[8:9], s[0:1], 0x0
	v_add_lshl_u32 v2, v1, s31, 6
	s_waitcnt lgkmcnt(0)
	s_mul_hi_i32 s11, s3, s16
	s_mul_i32 s10, s3, s16
	v_lshlrev_b32_e32 v6, 10, v65
	s_lshl_b64 s[10:11], s[10:11], 1
	v_ashrrev_i32_e32 v3, 31, v2
	v_lshlrev_b32_e32 v1, 6, v1
	v_lshlrev_b32_e32 v7, 10, v75
	v_and_b32_e32 v6, 0x3800, v6
	s_delay_alu instid0(VALU_DEP_4) | instskip(NEXT) | instid1(VALU_DEP_2)
	v_lshlrev_b64 v[2:3], 1, v[2:3]
	v_or3_b32 v1, v6, v7, v1
	s_add_u32 s3, s8, s10
	s_addc_u32 s7, s9, s11
	s_delay_alu instid0(VALU_DEP_2) | instskip(NEXT) | instid1(VALU_DEP_3)
	v_add_co_u32 v2, vcc_lo, s3, v2
	v_add_co_ci_u32_e32 v3, vcc_lo, s7, v3, vcc_lo
	s_delay_alu instid0(VALU_DEP_2) | instskip(NEXT) | instid1(VALU_DEP_2)
	v_add_co_u32 v2, vcc_lo, v2, v73
	v_add_co_ci_u32_e32 v3, vcc_lo, 0, v3, vcc_lo
	global_load_b128 v[2:5], v[2:3], off
	s_waitcnt vmcnt(0)
	ds_store_b128 v1, v[2:5]
.LBB1740_10:
	s_or_b32 exec_lo, exec_lo, s6
	v_and_b32_e32 v1, 0xef, v0
	s_waitcnt lgkmcnt(0)
	s_add_i32 s3, s24, 31
	s_clause 0x1
	s_load_b32 s6, s[0:1], 0x38
	s_load_b32 s19, s[0:1], 0x1c
	s_ashr_i32 s7, s3, 31
	v_add_nc_u32_e32 v1, s12, v1
	s_lshr_b32 s7, s7, 27
	s_waitcnt lgkmcnt(0)
	s_add_i32 s3, s3, s7
	s_barrier
	v_ashrrev_i32_e32 v2, 31, v1
	v_or_b32_e32 v3, 16, v1
	s_ashr_i32 s3, s3, 5
	v_cmp_gt_i32_e32 vcc_lo, s24, v1
	s_add_i32 s3, s3, -1
	v_lshrrev_b32_e32 v2, 27, v2
	buffer_gl0_inv
	s_mul_i32 s27, s15, s18
	v_add_nc_u32_e32 v4, v1, v2
	s_mul_i32 s6, s34, s6
	s_delay_alu instid0(SALU_CYCLE_1) | instskip(NEXT) | instid1(VALU_DEP_1)
	s_ashr_i32 s7, s6, 31
	v_ashrrev_i32_e32 v4, 5, v4
	v_add_nc_u32_e32 v2, v3, v2
	s_lshl_b64 s[6:7], s[6:7], 2
	s_delay_alu instid0(SALU_CYCLE_1) | instskip(NEXT) | instid1(VALU_DEP_2)
	s_add_u32 s26, s4, s6
	v_cndmask_b32_e32 v1, s3, v4, vcc_lo
	s_delay_alu instid0(VALU_DEP_2)
	v_ashrrev_i32_e32 v2, 5, v2
	v_cmp_gt_i32_e32 vcc_lo, s24, v3
	s_addc_u32 s25, s5, s7
	s_ashr_i32 s28, s27, 31
	s_add_u32 s4, s20, s27
	s_addc_u32 s5, s21, s28
	v_cndmask_b32_e32 v3, s3, v2, vcc_lo
	v_ashrrev_i32_e32 v2, 31, v1
	s_lshl_b32 s6, s14, 3
	s_delay_alu instid0(SALU_CYCLE_1) | instskip(NEXT) | instid1(VALU_DEP_2)
	s_ashr_i32 s7, s6, 31
	v_ashrrev_i32_e32 v4, 31, v3
	s_delay_alu instid0(VALU_DEP_2) | instskip(SKIP_1) | instid1(SALU_CYCLE_1)
	v_lshlrev_b64 v[1:2], 2, v[1:2]
	s_lshl_b64 s[6:7], s[6:7], 2
	s_add_u32 s6, s26, s6
	s_delay_alu instid0(VALU_DEP_2) | instskip(SKIP_1) | instid1(VALU_DEP_2)
	v_lshlrev_b64 v[3:4], 2, v[3:4]
	s_addc_u32 s7, s25, s7
	v_add_co_u32 v1, vcc_lo, s26, v1
	v_add_co_ci_u32_e32 v2, vcc_lo, s25, v2, vcc_lo
	s_delay_alu instid0(VALU_DEP_3) | instskip(NEXT) | instid1(VALU_DEP_4)
	v_add_co_u32 v3, vcc_lo, s26, v3
	v_add_co_ci_u32_e32 v4, vcc_lo, s25, v4, vcc_lo
	s_clause 0x1
	global_load_b32 v5, v[1:2], off
	global_load_b32 v6, v[3:4], off
	s_or_b32 s8, s12, 32
	s_delay_alu instid0(SALU_CYCLE_1) | instskip(SKIP_2) | instid1(SALU_CYCLE_1)
	s_ashr_i32 s9, s8, 5
	s_cmp_lt_i32 s8, s24
	s_cselect_b32 s8, s9, s3
	s_ashr_i32 s9, s8, 31
	s_delay_alu instid0(SALU_CYCLE_1) | instskip(NEXT) | instid1(SALU_CYCLE_1)
	s_lshl_b64 s[8:9], s[8:9], 2
	s_add_u32 s8, s26, s8
	s_addc_u32 s9, s25, s9
	s_or_b32 s10, s12, 64
	s_delay_alu instid0(SALU_CYCLE_1) | instskip(SKIP_2) | instid1(SALU_CYCLE_1)
	s_ashr_i32 s11, s10, 5
	s_cmp_lt_i32 s10, s24
	s_cselect_b32 s10, s11, s3
	s_ashr_i32 s11, s10, 31
	s_delay_alu instid0(SALU_CYCLE_1) | instskip(NEXT) | instid1(SALU_CYCLE_1)
	s_lshl_b64 s[10:11], s[10:11], 2
	s_add_u32 s10, s26, s10
	s_addc_u32 s11, s25, s11
	s_or_b32 s13, s12, 0x60
	s_delay_alu instid0(SALU_CYCLE_1) | instskip(SKIP_2) | instid1(SALU_CYCLE_1)
	s_ashr_i32 s15, s13, 5
	s_cmp_lt_i32 s13, s24
	s_cselect_b32 s20, s15, s3
	s_ashr_i32 s21, s20, 31
	s_delay_alu instid0(SALU_CYCLE_1) | instskip(NEXT) | instid1(SALU_CYCLE_1)
	s_lshl_b64 s[20:21], s[20:21], 2
	s_add_u32 s36, s26, s20
	s_addc_u32 s37, s25, s21
	s_or_b32 s13, s12, 0x80
	s_delay_alu instid0(SALU_CYCLE_1) | instskip(SKIP_2) | instid1(SALU_CYCLE_1)
	s_ashr_i32 s15, s13, 5
	s_cmp_lt_i32 s13, s24
	s_cselect_b32 s20, s15, s3
	s_ashr_i32 s21, s20, 31
	s_delay_alu instid0(SALU_CYCLE_1) | instskip(NEXT) | instid1(SALU_CYCLE_1)
	s_lshl_b64 s[20:21], s[20:21], 2
	s_add_u32 s38, s26, s20
	s_addc_u32 s39, s25, s21
	s_or_b32 s13, s12, 0xa0
	s_delay_alu instid0(SALU_CYCLE_1) | instskip(SKIP_2) | instid1(SALU_CYCLE_1)
	s_ashr_i32 s15, s13, 5
	s_cmp_lt_i32 s13, s24
	s_cselect_b32 s20, s15, s3
	s_ashr_i32 s21, s20, 31
	s_delay_alu instid0(SALU_CYCLE_1) | instskip(NEXT) | instid1(SALU_CYCLE_1)
	s_lshl_b64 s[20:21], s[20:21], 2
	s_add_u32 s40, s26, s20
	s_addc_u32 s41, s25, s21
	s_clause 0x5
	s_load_b32 s21, s[6:7], 0x0
	s_load_b32 s13, s[8:9], 0x0
	;; [unrolled: 1-line block ×6, first 2 shown]
	s_or_b32 s7, s12, 0xc0
	s_delay_alu instid0(SALU_CYCLE_1) | instskip(SKIP_2) | instid1(SALU_CYCLE_1)
	s_ashr_i32 s8, s7, 5
	s_cmp_lt_i32 s7, s24
	s_cselect_b32 s10, s8, s3
	s_ashr_i32 s11, s10, 31
	s_delay_alu instid0(SALU_CYCLE_1) | instskip(NEXT) | instid1(SALU_CYCLE_1)
	s_lshl_b64 s[36:37], s[10:11], 2
	s_add_u32 s36, s26, s36
	s_addc_u32 s37, s25, s37
	s_or_b32 s29, s12, 0xe0
	s_delay_alu instid0(SALU_CYCLE_1)
	s_ashr_i32 s30, s29, 5
	s_cmp_lt_i32 s29, s24
	s_waitcnt vmcnt(1)
	v_mad_i64_i32 v[1:2], null, v5, s17, s[4:5]
	s_waitcnt vmcnt(0)
	v_mad_i64_i32 v[3:4], null, v6, s17, s[4:5]
	s_mov_b32 s4, 0
	s_delay_alu instid0(SALU_CYCLE_1)
	s_mov_b32 s5, s4
	s_mov_b32 s6, s4
	;; [unrolled: 1-line block ×7, first 2 shown]
	v_lshlrev_b32_e32 v5, 4, v65
	v_dual_mov_b32 v107, s11 :: v_dual_mov_b32 v100, s4
	v_mov_b32_e32 v102, s6
	v_mov_b32_e32 v106, s10
	s_delay_alu instid0(VALU_DEP_4)
	v_add_co_u32 v1, vcc_lo, v1, v5
	v_add_co_ci_u32_e32 v2, vcc_lo, 0, v2, vcc_lo
	v_add_co_u32 v3, vcc_lo, v3, v5
	v_add_co_ci_u32_e32 v4, vcc_lo, 0, v4, vcc_lo
	s_clause 0x7
	global_load_b128 v[49:52], v[1:2], off
	global_load_b128 v[53:56], v[1:2], off offset:512
	global_load_b128 v[76:79], v[3:4], off offset:256
	;; [unrolled: 1-line block ×7, first 2 shown]
	v_cmp_ne_u32_e32 vcc_lo, 15, v65
	v_dual_mov_b32 v104, s8 :: v_dual_mov_b32 v103, s7
	v_dual_mov_b32 v101, s5 :: v_dual_lshlrev_b32 v2, 5, v65
	v_cndmask_b32_e32 v1, 0, v65, vcc_lo
	v_mov_b32_e32 v105, s9
	s_cselect_b32 s4, s30, s3
	s_load_b32 s3, s[36:37], 0x0
	s_ashr_i32 s5, s4, 31
	v_lshlrev_b32_e32 v70, 6, v1
	s_lshl_b64 s[4:5], s[4:5], 2
	v_lshl_or_b32 v1, v66, 9, v2
	s_add_u32 s4, s26, s4
	s_addc_u32 s5, s25, s5
	ds_load_b128 v[108:111], v70
	ds_load_b128 v[112:115], v70 offset:1024
	s_load_b32 s4, s[4:5], 0x0
	s_add_u32 s6, s22, s27
	s_addc_u32 s7, s23, s28
	v_add_co_u32 v9, s6, s6, v1
	s_delay_alu instid0(VALU_DEP_1) | instskip(SKIP_1) | instid1(VALU_DEP_1)
	v_add_co_ci_u32_e64 v10, null, s7, 0, s6
	s_waitcnt lgkmcnt(0)
	v_mad_i64_i32 v[1:2], null, s21, s17, v[9:10]
	v_mad_i64_i32 v[3:4], null, s13, s17, v[9:10]
	;; [unrolled: 1-line block ×7, first 2 shown]
	s_clause 0x9
	global_load_b128 v[57:60], v[1:2], off
	global_load_b128 v[61:64], v[1:2], off offset:16
	global_load_b128 v[41:44], v[3:4], off
	global_load_b128 v[45:48], v[3:4], off offset:16
	;; [unrolled: 2-line block ×5, first 2 shown]
	v_mad_i64_i32 v[68:69], null, s4, s17, v[9:10]
	s_clause 0x3
	global_load_b128 v[9:12], v[13:14], off
	global_load_b128 v[13:16], v[13:14], off offset:16
	global_load_b128 v[17:20], v[21:22], off
	global_load_b128 v[21:24], v[21:22], off offset:16
	s_waitcnt vmcnt(20)
	v_wmma_f32_16x16x16_bf16 v[116:123], v[49:56], v[108:115], v[100:107]
	s_clause 0x1
	global_load_b128 v[49:52], v[68:69], off
	global_load_b128 v[53:56], v[68:69], off offset:16
	v_and_b32_e32 v68, 0xe0, v0
	v_mbcnt_lo_u32_b32 v69, -1, 0
	s_delay_alu instid0(VALU_DEP_2)
	v_add_nc_u32_e32 v68, s12, v68
	s_waitcnt vmcnt(20)
	v_wmma_f32_16x16x16_bf16 v[100:107], v[76:83], v[108:115], v[100:107]
	ds_load_b128 v[76:79], v70 offset:2048
	ds_load_b128 v[80:83], v70 offset:3072
	v_xor_b32_e32 v70, 16, v69
	s_waitcnt vmcnt(0) lgkmcnt(0)
	v_or_b32_e32 v68, v68, v74
	s_barrier
	buffer_gl0_inv
	v_cmp_gt_i32_e32 vcc_lo, 32, v70
	v_or_b32_e32 v71, 4, v68
	v_or_b32_e32 v72, 6, v68
	v_cmp_gt_i32_e64 s3, s24, v68
	v_or_b32_e32 v108, 8, v68
	v_or_b32_e32 v109, 10, v68
	v_cmp_gt_i32_e64 s4, s24, v71
	v_cmp_gt_i32_e64 s5, s24, v72
	s_delay_alu instid0(VALU_DEP_4) | instskip(NEXT) | instid1(VALU_DEP_4)
	v_cmp_gt_i32_e64 s6, s24, v108
	v_cmp_gt_i32_e64 s7, s24, v109
	v_wmma_f32_16x16x16_bf16 v[116:123], v[84:91], v[76:83], v[116:123]
	v_cndmask_b32_e32 v69, v69, v70, vcc_lo
	v_or_b32_e32 v70, 2, v68
	v_wmma_f32_16x16x16_bf16 v[100:107], v[92:99], v[76:83], v[100:107]
	v_or_b32_e32 v84, 12, v68
	v_dual_mul_f32 v78, s19, v123 :: v_dual_mul_f32 v83, s19, v118
	v_dual_mul_f32 v92, s19, v117 :: v_dual_mul_f32 v93, s19, v116
	s_delay_alu instid0(VALU_DEP_4) | instskip(SKIP_2) | instid1(VALU_DEP_4)
	v_mul_f32_e32 v94, s19, v107
	v_cmp_gt_i32_e32 vcc_lo, s24, v70
	v_dual_mul_f32 v81, s19, v120 :: v_dual_mul_f32 v82, s19, v119
	v_cndmask_b32_e64 v93, 0xff7fffff, v93, s3
	v_or_b32_e32 v85, 14, v68
	v_cndmask_b32_e32 v92, 0xff7fffff, v92, vcc_lo
	v_dual_mul_f32 v79, s19, v122 :: v_dual_mul_f32 v80, s19, v121
	v_cndmask_b32_e64 v71, 0xff7fffff, v83, s4
	v_cndmask_b32_e64 v72, 0xff7fffff, v82, s5
	s_delay_alu instid0(VALU_DEP_4)
	v_max3_f32 v82, v93, 0xff7fffff, v92
	v_or_b32_e32 v86, 16, v68
	v_or_b32_e32 v87, 18, v68
	v_cndmask_b32_e64 v81, 0xff7fffff, v81, s6
	v_cndmask_b32_e64 v80, 0xff7fffff, v80, s7
	v_max3_f32 v71, v82, v71, v72
	v_cmp_gt_i32_e64 s8, s24, v84
	v_cmp_gt_i32_e64 s9, s24, v85
	v_or_b32_e32 v88, 20, v68
	v_or_b32_e32 v89, 22, v68
	;; [unrolled: 1-line block ×6, first 2 shown]
	v_dual_mul_f32 v99, s19, v102 :: v_dual_mul_f32 v70, s19, v101
	v_mul_f32_e32 v68, s19, v100
	v_cndmask_b32_e64 v72, 0xff7fffff, v79, s8
	v_cndmask_b32_e64 v78, 0xff7fffff, v78, s9
	v_max3_f32 v71, v71, v81, v80
	v_cmp_gt_i32_e64 s10, s24, v86
	v_cmp_gt_i32_e64 s11, s24, v87
	v_dual_mul_f32 v97, s19, v104 :: v_dual_mul_f32 v98, s19, v103
	s_delay_alu instid0(VALU_DEP_4) | instskip(SKIP_1) | instid1(VALU_DEP_4)
	v_max3_f32 v71, v71, v72, v78
	v_cmp_gt_i32_e64 s12, s24, v88
	v_cndmask_b32_e64 v70, 0xff7fffff, v70, s11
	v_cmp_gt_i32_e64 s13, s24, v89
	v_lshlrev_b32_e32 v89, 2, v69
	v_cndmask_b32_e64 v68, 0xff7fffff, v68, s10
	v_dual_mul_f32 v95, s19, v106 :: v_dual_mul_f32 v96, s19, v105
	v_cndmask_b32_e64 v72, 0xff7fffff, v99, s12
	v_cndmask_b32_e64 v78, 0xff7fffff, v98, s13
	s_delay_alu instid0(VALU_DEP_4)
	v_max3_f32 v68, v71, v68, v70
	v_cmp_gt_i32_e64 s15, s24, v90
	v_cmp_gt_i32_e64 s16, s24, v91
	;; [unrolled: 1-line block ×4, first 2 shown]
	v_max3_f32 v68, v68, v72, v78
	v_cndmask_b32_e64 v70, 0xff7fffff, v97, s15
	v_cndmask_b32_e64 v71, 0xff7fffff, v96, s16
	;; [unrolled: 1-line block ×4, first 2 shown]
	s_delay_alu instid0(VALU_DEP_3) | instskip(NEXT) | instid1(VALU_DEP_1)
	v_max3_f32 v68, v68, v70, v71
	v_max3_f32 v68, v68, v72, v76
	ds_bpermute_b32 v69, v89, v68
	s_waitcnt lgkmcnt(0)
	v_max_f32_e32 v69, v69, v69
	s_delay_alu instid0(VALU_DEP_1) | instskip(NEXT) | instid1(VALU_DEP_1)
	v_max_f32_e32 v68, v68, v69
	v_fma_f32 v71, s19, v118, -v68
	s_delay_alu instid0(VALU_DEP_1)
	v_mul_f32_e32 v71, 0x3fb8aa3b, v71
	v_fma_f32 v69, s19, v116, -v68
	v_fma_f32 v70, s19, v117, -v68
	v_fma_f32 v76, s19, v120, -v68
	v_fma_f32 v72, s19, v119, -v68
	v_exp_f32_e32 v71, v71
	s_delay_alu instid0(VALU_DEP_3) | instskip(SKIP_2) | instid1(VALU_DEP_3)
	v_dual_mul_f32 v69, 0x3fb8aa3b, v69 :: v_dual_mul_f32 v70, 0x3fb8aa3b, v70
	v_fma_f32 v78, s19, v122, -v68
	v_fma_f32 v81, s19, v105, -v68
	v_exp_f32_e32 v69, v69
	s_delay_alu instid0(VALU_DEP_3) | instskip(SKIP_1) | instid1(VALU_DEP_2)
	v_exp_f32_e32 v70, v70
	v_mul_f32_e32 v77, 0x3fb8aa3b, v76
	v_mul_f32_e32 v81, 0x3fb8aa3b, v81
	s_delay_alu instid0(TRANS32_DEP_3) | instskip(SKIP_1) | instid1(VALU_DEP_3)
	v_cndmask_b32_e64 v83, 0, v71, s4
	v_fma_f32 v71, s19, v123, -v68
	v_exp_f32_e32 v81, v81
	s_delay_alu instid0(TRANS32_DEP_3) | instskip(NEXT) | instid1(TRANS32_DEP_2)
	v_cndmask_b32_e64 v80, 0, v69, s3
	v_cndmask_b32_e32 v76, 0, v70, vcc_lo
	v_fma_f32 v69, s19, v121, -v68
	v_mul_f32_e32 v72, 0x3fb8aa3b, v72
	v_exp_f32_e32 v77, v77
	v_dual_add_f32 v70, 0, v80 :: v_dual_mul_f32 v71, 0x3fb8aa3b, v71
	s_delay_alu instid0(VALU_DEP_3) | instskip(NEXT) | instid1(VALU_DEP_3)
	v_mul_f32_e32 v69, 0x3fb8aa3b, v69
	v_exp_f32_e32 v72, v72
	v_cmp_gt_u32_e64 s3, 16, v67
	s_delay_alu instid0(VALU_DEP_3) | instskip(NEXT) | instid1(VALU_DEP_2)
	v_exp_f32_e32 v71, v71
	v_exp_f32_e32 v69, v69
	v_cndmask_b32_e64 v86, 0, v77, s6
	v_fma_f32 v77, s19, v101, -v68
	v_add_f32_e32 v70, v70, v76
	s_delay_alu instid0(TRANS32_DEP_3) | instskip(SKIP_1) | instid1(VALU_DEP_3)
	v_cndmask_b32_e64 v85, 0, v72, s5
	v_fma_f32 v72, s19, v100, -v68
	v_dual_mul_f32 v77, 0x3fb8aa3b, v77 :: v_dual_add_f32 v70, v70, v83
	s_delay_alu instid0(TRANS32_DEP_2) | instskip(SKIP_1) | instid1(TRANS32_DEP_1)
	v_cndmask_b32_e64 v88, 0, v71, s9
	v_fma_f32 v71, s19, v104, -v68
	v_cndmask_b32_e64 v87, 0, v69, s7
	s_delay_alu instid0(VALU_DEP_4) | instskip(NEXT) | instid1(VALU_DEP_2)
	v_exp_f32_e32 v77, v77
	v_dual_add_f32 v70, v70, v85 :: v_dual_mul_f32 v71, 0x3fb8aa3b, v71
	s_delay_alu instid0(VALU_DEP_1) | instskip(SKIP_2) | instid1(VALU_DEP_3)
	v_dual_mul_f32 v72, 0x3fb8aa3b, v72 :: v_dual_add_f32 v69, v70, v86
	v_mul_f32_e32 v78, 0x3fb8aa3b, v78
	v_fma_f32 v70, s19, v102, -v68
	v_exp_f32_e32 v72, v72
	v_exp_f32_e32 v82, v71
	v_add_f32_e32 v69, v69, v87
	v_exp_f32_e32 v78, v78
	v_mul_f32_e32 v70, 0x3fb8aa3b, v70
	s_delay_alu instid0(VALU_DEP_1) | instskip(SKIP_4) | instid1(VALU_DEP_2)
	v_exp_f32_e32 v79, v70
	v_cndmask_b32_e64 v70, 0, v72, s10
	s_waitcnt_depctr 0xfff
	v_cndmask_b32_e64 v84, 0, v78, s8
	v_fma_f32 v78, s19, v103, -v68
	v_add_f32_e32 v69, v69, v84
	v_cndmask_b32_e64 v71, 0, v79, s12
	s_delay_alu instid0(VALU_DEP_2) | instskip(SKIP_2) | instid1(VALU_DEP_1)
	v_add_f32_e32 v72, v69, v88
	v_cndmask_b32_e64 v69, 0, v77, s11
	v_fma_f32 v77, s19, v106, -v68
	v_dual_mul_f32 v77, 0x3fb8aa3b, v77 :: v_dual_add_f32 v72, v72, v70
	v_mul_f32_e32 v78, 0x3fb8aa3b, v78
	s_delay_alu instid0(VALU_DEP_2) | instskip(NEXT) | instid1(VALU_DEP_2)
	v_exp_f32_e32 v90, v77
	v_add_f32_e32 v79, v72, v69
	s_delay_alu instid0(VALU_DEP_2)
	v_exp_f32_e32 v78, v78
	v_cndmask_b32_e64 v77, 0, v82, s15
	s_waitcnt_depctr 0xfff
	v_cndmask_b32_e64 v72, 0, v78, s13
	v_add_f32_e32 v78, v79, v71
	v_fma_f32 v79, s19, v107, -v68
	s_delay_alu instid0(VALU_DEP_1) | instskip(SKIP_1) | instid1(VALU_DEP_2)
	v_dual_add_f32 v82, v78, v72 :: v_dual_mul_f32 v79, 0x3fb8aa3b, v79
	v_cndmask_b32_e64 v78, 0, v81, s16
	v_add_f32_e32 v81, v82, v77
	s_delay_alu instid0(VALU_DEP_3) | instskip(SKIP_1) | instid1(VALU_DEP_2)
	v_exp_f32_e32 v82, v79
	v_cndmask_b32_e64 v79, 0, v90, s17
	v_add_f32_e32 v81, v81, v78
	s_delay_alu instid0(VALU_DEP_1) | instskip(SKIP_2) | instid1(VALU_DEP_1)
	v_add_f32_e32 v90, v81, v79
	s_waitcnt_depctr 0xfff
	v_cndmask_b32_e64 v81, 0, v82, s18
	v_add_f32_e32 v82, v90, v81
	ds_bpermute_b32 v89, v89, v82
	s_and_saveexec_b32 s4, s3
	s_cbranch_execz .LBB1740_12
; %bb.11:
	v_mul_u32_u24_e32 v67, 0x44, v66
	s_delay_alu instid0(VALU_DEP_1) | instskip(SKIP_1) | instid1(VALU_DEP_1)
	v_lshl_add_u32 v67, v65, 2, v67
	s_waitcnt lgkmcnt(0)
	v_dual_add_f32 v82, v82, v89 :: v_dual_add_nc_u32 v67, 0x4000, v67
	ds_store_2addr_b32 v67, v68, v82 offset1:136
.LBB1740_12:
	s_or_b32 exec_lo, exec_lo, s4
	v_lshlrev_b32_e32 v67, 2, v65
	s_waitcnt lgkmcnt(0)
	s_barrier
	buffer_gl0_inv
	v_cmp_eq_u32_e32 vcc_lo, 1, v66
	v_add_nc_u32_e32 v82, 0x4000, v67
	v_cmp_eq_u32_e64 s4, 2, v66
	v_cmp_eq_u32_e64 s6, 7, v66
	ds_load_2addr_b32 v[89:90], v82 offset1:17
	ds_load_2addr_b32 v[91:92], v82 offset0:34 offset1:51
	ds_load_2addr_b32 v[93:94], v82 offset0:68 offset1:85
	;; [unrolled: 1-line block ×4, first 2 shown]
	s_waitcnt lgkmcnt(4)
	v_max3_f32 v67, v89, 0xff7fffff, v90
	s_waitcnt lgkmcnt(3)
	s_delay_alu instid0(VALU_DEP_1) | instskip(SKIP_1) | instid1(VALU_DEP_1)
	v_max3_f32 v67, v67, v91, v92
	s_waitcnt lgkmcnt(2)
	v_max3_f32 v67, v67, v93, v94
	s_waitcnt lgkmcnt(1)
	s_delay_alu instid0(VALU_DEP_1) | instskip(NEXT) | instid1(VALU_DEP_1)
	v_max3_f32 v67, v67, v95, v96
	v_sub_f32_e32 v93, v93, v67
	s_delay_alu instid0(VALU_DEP_1) | instskip(NEXT) | instid1(VALU_DEP_1)
	v_dual_sub_f32 v68, v89, v67 :: v_dual_mul_f32 v103, 0x3fb8aa3b, v93
	v_mul_f32_e32 v68, 0x3fb8aa3b, v68
	s_delay_alu instid0(VALU_DEP_1)
	v_exp_f32_e32 v100, v68
	v_sub_f32_e32 v68, v92, v67
	v_sub_f32_e32 v99, v90, v67
	ds_load_2addr_b32 v[89:90], v82 offset0:170 offset1:187
	v_dual_mul_f32 v102, 0x3fb8aa3b, v68 :: v_dual_mul_f32 v99, 0x3fb8aa3b, v99
	s_waitcnt lgkmcnt(1)
	v_fma_f32 v68, v100, v97, 0
	s_delay_alu instid0(VALU_DEP_2) | instskip(NEXT) | instid1(VALU_DEP_2)
	v_exp_f32_e32 v102, v102
	v_exp_f32_e32 v99, v99
	s_waitcnt_depctr 0xfff
	v_fmac_f32_e32 v68, v99, v98
	v_sub_f32_e32 v91, v91, v67
	s_delay_alu instid0(VALU_DEP_1)
	v_mul_f32_e32 v101, 0x3fb8aa3b, v91
	ds_load_2addr_b32 v[91:92], v82 offset0:204 offset1:221
	v_sub_f32_e32 v97, v94, v67
	ds_load_2addr_b32 v[93:94], v82 offset0:238 offset1:255
	s_waitcnt lgkmcnt(0)
	v_exp_f32_e32 v101, v101
	s_barrier
	buffer_gl0_inv
	v_dual_fmac_f32 v68, v101, v89 :: v_dual_sub_f32 v89, v96, v67
	v_dual_sub_f32 v82, v95, v67 :: v_dual_mul_f32 v95, 0x3fb8aa3b, v97
	v_exp_f32_e32 v97, v103
	s_delay_alu instid0(VALU_DEP_2) | instskip(NEXT) | instid1(VALU_DEP_2)
	v_dual_fmac_f32 v68, v102, v90 :: v_dual_mul_f32 v89, 0x3fb8aa3b, v89
	v_mul_f32_e32 v82, 0x3fb8aa3b, v82
	s_delay_alu instid0(VALU_DEP_3) | instskip(NEXT) | instid1(VALU_DEP_2)
	v_exp_f32_e32 v95, v95
	v_exp_f32_e32 v89, v89
	s_delay_alu instid0(VALU_DEP_1)
	v_exp_f32_e32 v82, v82
	v_fmac_f32_e32 v68, v97, v91
	s_delay_alu instid0(TRANS32_DEP_3) | instid1(VALU_DEP_1)
	v_fmac_f32_e32 v68, v95, v92
	s_waitcnt_depctr 0xfff
	v_fmac_f32_e32 v68, v82, v93
	s_delay_alu instid0(VALU_DEP_1) | instskip(NEXT) | instid1(VALU_DEP_1)
	v_fmac_f32_e32 v68, v89, v94
	v_add_f32_e32 v90, 0x358637bd, v68
	s_delay_alu instid0(VALU_DEP_1) | instskip(NEXT) | instid1(VALU_DEP_1)
	v_div_scale_f32 v91, null, v90, v90, 1.0
	v_rcp_f32_e32 v92, v91
	s_waitcnt_depctr 0xfff
	v_fma_f32 v93, -v91, v92, 1.0
	s_delay_alu instid0(VALU_DEP_1) | instskip(SKIP_1) | instid1(VALU_DEP_2)
	v_dual_fmac_f32 v92, v93, v92 :: v_dual_cndmask_b32 v93, v100, v99
	v_cmp_eq_u32_e32 vcc_lo, 3, v66
	v_cndmask_b32_e64 v93, v93, v101, s4
	v_cmp_eq_u32_e64 s4, 4, v66
	s_delay_alu instid0(VALU_DEP_2) | instskip(SKIP_1) | instid1(VALU_DEP_2)
	v_cndmask_b32_e32 v93, v93, v102, vcc_lo
	v_cmp_eq_u32_e32 vcc_lo, 5, v66
	v_cndmask_b32_e64 v93, v93, v97, s4
	v_cmp_eq_u32_e64 s4, 6, v66
	s_delay_alu instid0(VALU_DEP_2) | instskip(SKIP_1) | instid1(VALU_DEP_1)
	v_cndmask_b32_e32 v93, v93, v95, vcc_lo
	v_div_scale_f32 v94, s5, 1.0, v90, 1.0
	s_mov_b32 vcc_lo, s5
	s_delay_alu instid0(VALU_DEP_2) | instskip(NEXT) | instid1(VALU_DEP_2)
	v_cndmask_b32_e64 v82, v93, v82, s4
	v_mul_f32_e32 v96, v94, v92
	s_mov_b32 s4, exec_lo
	s_delay_alu instid0(VALU_DEP_2) | instskip(NEXT) | instid1(VALU_DEP_2)
	v_cndmask_b32_e64 v82, v82, v89, s6
	v_fma_f32 v98, -v91, v96, v94
	s_delay_alu instid0(VALU_DEP_1) | instskip(NEXT) | instid1(VALU_DEP_1)
	v_fmac_f32_e32 v96, v98, v92
	v_fma_f32 v91, -v91, v96, v94
	s_delay_alu instid0(VALU_DEP_1) | instskip(NEXT) | instid1(VALU_DEP_1)
	v_div_fmas_f32 v91, v91, v92, v96
	v_div_fixup_f32 v90, v91, v90, 1.0
	s_delay_alu instid0(VALU_DEP_1) | instskip(NEXT) | instid1(VALU_DEP_1)
	v_mul_f32_e32 v82, v82, v90
	v_mul_f32_e32 v87, v82, v87
	;; [unrolled: 1-line block ×7, first 2 shown]
	v_dual_mul_f32 v86, v82, v83 :: v_dual_and_b32 v91, 0x7f800000, v90
	v_mul_f32_e32 v85, v82, v76
                                        ; implicit-def: $vgpr76
	s_delay_alu instid0(VALU_DEP_2)
	v_cmpx_ne_u32_e32 0x7f800000, v91
	s_xor_b32 s4, exec_lo, s4
; %bb.13:
	v_bfe_u32 v76, v90, 16, 1
	s_delay_alu instid0(VALU_DEP_1)
	v_add3_u32 v76, v90, v76, 0x7fff
                                        ; implicit-def: $vgpr90
; %bb.14:
	s_and_not1_saveexec_b32 s4, s4
; %bb.15:
	v_and_b32_e32 v76, 0xffff, v90
	v_or_b32_e32 v83, 0x10000, v90
	s_delay_alu instid0(VALU_DEP_2) | instskip(NEXT) | instid1(VALU_DEP_2)
	v_cmp_eq_u32_e32 vcc_lo, 0, v76
	v_cndmask_b32_e32 v76, v83, v90, vcc_lo
; %bb.16:
	s_or_b32 exec_lo, exec_lo, s4
	v_and_b32_e32 v83, 0x7f800000, v85
	s_delay_alu instid0(VALU_DEP_1) | instskip(SKIP_1) | instid1(SALU_CYCLE_1)
	v_cmp_ne_u32_e32 vcc_lo, 0x7f800000, v83
                                        ; implicit-def: $vgpr83
	s_and_saveexec_b32 s4, vcc_lo
	s_xor_b32 s4, exec_lo, s4
; %bb.17:
	v_bfe_u32 v83, v85, 16, 1
	s_delay_alu instid0(VALU_DEP_1)
	v_add3_u32 v83, v85, v83, 0x7fff
                                        ; implicit-def: $vgpr85
; %bb.18:
	s_and_not1_saveexec_b32 s4, s4
; %bb.19:
	v_and_b32_e32 v83, 0xffff, v85
	v_or_b32_e32 v90, 0x10000, v85
	s_delay_alu instid0(VALU_DEP_2) | instskip(NEXT) | instid1(VALU_DEP_2)
	v_cmp_eq_u32_e32 vcc_lo, 0, v83
	v_cndmask_b32_e32 v83, v90, v85, vcc_lo
; %bb.20:
	s_or_b32 exec_lo, exec_lo, s4
	v_and_b32_e32 v85, 0x7f800000, v86
	s_delay_alu instid0(VALU_DEP_1) | instskip(SKIP_1) | instid1(SALU_CYCLE_1)
	v_cmp_ne_u32_e32 vcc_lo, 0x7f800000, v85
                                        ; implicit-def: $vgpr85
	s_and_saveexec_b32 s4, vcc_lo
	s_xor_b32 s4, exec_lo, s4
; %bb.21:
	v_bfe_u32 v85, v86, 16, 1
	s_delay_alu instid0(VALU_DEP_1)
	v_add3_u32 v85, v86, v85, 0x7fff
                                        ; implicit-def: $vgpr86
; %bb.22:
	s_and_not1_saveexec_b32 s4, s4
; %bb.23:
	v_and_b32_e32 v85, 0xffff, v86
	v_or_b32_e32 v90, 0x10000, v86
	s_delay_alu instid0(VALU_DEP_2) | instskip(NEXT) | instid1(VALU_DEP_2)
	v_cmp_eq_u32_e32 vcc_lo, 0, v85
	v_cndmask_b32_e32 v85, v90, v86, vcc_lo
; %bb.24:
	s_or_b32 exec_lo, exec_lo, s4
	v_and_b32_e32 v86, 0x7f800000, v89
	s_delay_alu instid0(VALU_DEP_1) | instskip(SKIP_1) | instid1(SALU_CYCLE_1)
	v_cmp_ne_u32_e32 vcc_lo, 0x7f800000, v86
                                        ; implicit-def: $vgpr86
	s_and_saveexec_b32 s4, vcc_lo
	s_xor_b32 s4, exec_lo, s4
; %bb.25:
	v_bfe_u32 v86, v89, 16, 1
	s_delay_alu instid0(VALU_DEP_1)
	v_add3_u32 v86, v89, v86, 0x7fff
                                        ; implicit-def: $vgpr89
; %bb.26:
	s_and_not1_saveexec_b32 s4, s4
; %bb.27:
	v_and_b32_e32 v86, 0xffff, v89
	v_or_b32_e32 v90, 0x10000, v89
	s_delay_alu instid0(VALU_DEP_2) | instskip(NEXT) | instid1(VALU_DEP_2)
	v_cmp_eq_u32_e32 vcc_lo, 0, v86
	v_cndmask_b32_e32 v86, v90, v89, vcc_lo
; %bb.28:
	s_or_b32 exec_lo, exec_lo, s4
	v_and_b32_e32 v89, 0x7f800000, v88
	s_delay_alu instid0(VALU_DEP_1) | instskip(SKIP_1) | instid1(SALU_CYCLE_1)
	v_cmp_ne_u32_e32 vcc_lo, 0x7f800000, v89
                                        ; implicit-def: $vgpr89
	s_and_saveexec_b32 s4, vcc_lo
	s_xor_b32 s4, exec_lo, s4
; %bb.29:
	v_bfe_u32 v89, v88, 16, 1
	s_delay_alu instid0(VALU_DEP_1)
	v_add3_u32 v89, v88, v89, 0x7fff
                                        ; implicit-def: $vgpr88
; %bb.30:
	s_and_not1_saveexec_b32 s4, s4
; %bb.31:
	v_and_b32_e32 v89, 0xffff, v88
	v_or_b32_e32 v90, 0x10000, v88
	s_delay_alu instid0(VALU_DEP_2) | instskip(NEXT) | instid1(VALU_DEP_2)
	v_cmp_eq_u32_e32 vcc_lo, 0, v89
	v_cndmask_b32_e32 v89, v90, v88, vcc_lo
; %bb.32:
	s_or_b32 exec_lo, exec_lo, s4
	v_and_b32_e32 v88, 0x7f800000, v87
	s_delay_alu instid0(VALU_DEP_1) | instskip(SKIP_1) | instid1(SALU_CYCLE_1)
	v_cmp_ne_u32_e32 vcc_lo, 0x7f800000, v88
                                        ; implicit-def: $vgpr88
	s_and_saveexec_b32 s4, vcc_lo
	s_xor_b32 s4, exec_lo, s4
; %bb.33:
	v_bfe_u32 v88, v87, 16, 1
	s_delay_alu instid0(VALU_DEP_1)
	v_add3_u32 v88, v87, v88, 0x7fff
                                        ; implicit-def: $vgpr87
; %bb.34:
	s_and_not1_saveexec_b32 s4, s4
; %bb.35:
	v_and_b32_e32 v88, 0xffff, v87
	v_or_b32_e32 v90, 0x10000, v87
	s_delay_alu instid0(VALU_DEP_2) | instskip(NEXT) | instid1(VALU_DEP_2)
	v_cmp_eq_u32_e32 vcc_lo, 0, v88
	v_cndmask_b32_e32 v88, v90, v87, vcc_lo
; %bb.36:
	s_or_b32 exec_lo, exec_lo, s4
	v_and_b32_e32 v87, 0x7f800000, v84
	s_delay_alu instid0(VALU_DEP_1) | instskip(SKIP_1) | instid1(SALU_CYCLE_1)
	v_cmp_ne_u32_e32 vcc_lo, 0x7f800000, v87
                                        ; implicit-def: $vgpr87
	s_and_saveexec_b32 s4, vcc_lo
	s_xor_b32 s4, exec_lo, s4
; %bb.37:
	v_bfe_u32 v87, v84, 16, 1
	s_delay_alu instid0(VALU_DEP_1)
	v_add3_u32 v87, v84, v87, 0x7fff
                                        ; implicit-def: $vgpr84
; %bb.38:
	s_and_not1_saveexec_b32 s4, s4
; %bb.39:
	v_and_b32_e32 v87, 0xffff, v84
	v_or_b32_e32 v90, 0x10000, v84
	s_delay_alu instid0(VALU_DEP_2) | instskip(NEXT) | instid1(VALU_DEP_2)
	v_cmp_eq_u32_e32 vcc_lo, 0, v87
	v_cndmask_b32_e32 v87, v90, v84, vcc_lo
; %bb.40:
	s_or_b32 exec_lo, exec_lo, s4
	v_and_b32_e32 v84, 0x7f800000, v80
	s_delay_alu instid0(VALU_DEP_1) | instskip(SKIP_1) | instid1(SALU_CYCLE_1)
	v_cmp_ne_u32_e32 vcc_lo, 0x7f800000, v84
                                        ; implicit-def: $vgpr84
	s_and_saveexec_b32 s4, vcc_lo
	s_xor_b32 s4, exec_lo, s4
; %bb.41:
	v_bfe_u32 v84, v80, 16, 1
	s_delay_alu instid0(VALU_DEP_1)
	v_add3_u32 v84, v80, v84, 0x7fff
                                        ; implicit-def: $vgpr80
; %bb.42:
	s_and_not1_saveexec_b32 s4, s4
; %bb.43:
	v_and_b32_e32 v84, 0xffff, v80
	v_or_b32_e32 v90, 0x10000, v80
	s_delay_alu instid0(VALU_DEP_2) | instskip(NEXT) | instid1(VALU_DEP_2)
	v_cmp_eq_u32_e32 vcc_lo, 0, v84
	v_cndmask_b32_e32 v84, v90, v80, vcc_lo
; %bb.44:
	s_or_b32 exec_lo, exec_lo, s4
	s_load_b64 s[36:37], s[0:1], 0x94
	v_lshlrev_b32_e32 v91, 4, v74
	s_delay_alu instid0(VALU_DEP_2)
	v_perm_b32 v90, v84, v87, 0x7060302
	v_dual_mul_f32 v79, v82, v79 :: v_dual_lshlrev_b32 v80, 6, v65
	v_dual_mul_f32 v77, v82, v77 :: v_dual_lshlrev_b32 v92, 11, v66
	v_mul_f32_e32 v84, v82, v70
	v_perm_b32 v89, v88, v89, 0x7060302
	v_perm_b32 v88, v86, v85, 0x7060302
	;; [unrolled: 1-line block ×3, first 2 shown]
	v_mul_f32_e32 v70, v82, v81
	v_or3_b32 v76, v91, v92, v80
	v_dual_mul_f32 v78, v82, v78 :: v_dual_and_b32 v85, 0x7f800000, v84
	v_mul_f32_e32 v83, v82, v72
	v_mul_f32_e32 v81, v82, v71
	;; [unrolled: 1-line block ×3, first 2 shown]
	s_mov_b32 s4, exec_lo
	ds_store_b128 v76, v[87:90]
                                        ; implicit-def: $vgpr69
	v_cmpx_ne_u32_e32 0x7f800000, v85
	s_xor_b32 s4, exec_lo, s4
; %bb.45:
	v_bfe_u32 v69, v84, 16, 1
	s_delay_alu instid0(VALU_DEP_1)
	v_add3_u32 v69, v84, v69, 0x7fff
                                        ; implicit-def: $vgpr84
; %bb.46:
	s_and_not1_saveexec_b32 s4, s4
; %bb.47:
	v_and_b32_e32 v69, 0xffff, v84
	v_or_b32_e32 v71, 0x10000, v84
	s_delay_alu instid0(VALU_DEP_2) | instskip(NEXT) | instid1(VALU_DEP_2)
	v_cmp_eq_u32_e32 vcc_lo, 0, v69
	v_cndmask_b32_e32 v69, v71, v84, vcc_lo
; %bb.48:
	s_or_b32 exec_lo, exec_lo, s4
	v_and_b32_e32 v71, 0x7f800000, v72
	s_delay_alu instid0(VALU_DEP_1) | instskip(SKIP_1) | instid1(SALU_CYCLE_1)
	v_cmp_ne_u32_e32 vcc_lo, 0x7f800000, v71
                                        ; implicit-def: $vgpr71
	s_and_saveexec_b32 s4, vcc_lo
	s_xor_b32 s4, exec_lo, s4
; %bb.49:
	v_bfe_u32 v71, v72, 16, 1
	s_delay_alu instid0(VALU_DEP_1)
	v_add3_u32 v71, v72, v71, 0x7fff
                                        ; implicit-def: $vgpr72
; %bb.50:
	s_and_not1_saveexec_b32 s4, s4
; %bb.51:
	v_and_b32_e32 v71, 0xffff, v72
	v_or_b32_e32 v82, 0x10000, v72
	s_delay_alu instid0(VALU_DEP_2) | instskip(NEXT) | instid1(VALU_DEP_2)
	v_cmp_eq_u32_e32 vcc_lo, 0, v71
	v_cndmask_b32_e32 v71, v82, v72, vcc_lo
; %bb.52:
	s_or_b32 exec_lo, exec_lo, s4
	v_and_b32_e32 v72, 0x7f800000, v81
	s_delay_alu instid0(VALU_DEP_1) | instskip(SKIP_1) | instid1(SALU_CYCLE_1)
	v_cmp_ne_u32_e32 vcc_lo, 0x7f800000, v72
                                        ; implicit-def: $vgpr72
	s_and_saveexec_b32 s4, vcc_lo
	s_xor_b32 s4, exec_lo, s4
; %bb.53:
	v_bfe_u32 v72, v81, 16, 1
	s_delay_alu instid0(VALU_DEP_1)
	v_add3_u32 v72, v81, v72, 0x7fff
                                        ; implicit-def: $vgpr81
; %bb.54:
	s_and_not1_saveexec_b32 s4, s4
; %bb.55:
	v_and_b32_e32 v72, 0xffff, v81
	v_or_b32_e32 v82, 0x10000, v81
	s_delay_alu instid0(VALU_DEP_2) | instskip(NEXT) | instid1(VALU_DEP_2)
	v_cmp_eq_u32_e32 vcc_lo, 0, v72
	v_cndmask_b32_e32 v72, v82, v81, vcc_lo
; %bb.56:
	s_or_b32 exec_lo, exec_lo, s4
	v_and_b32_e32 v81, 0x7f800000, v83
	s_delay_alu instid0(VALU_DEP_1) | instskip(SKIP_1) | instid1(SALU_CYCLE_1)
	v_cmp_ne_u32_e32 vcc_lo, 0x7f800000, v81
                                        ; implicit-def: $vgpr81
	s_and_saveexec_b32 s4, vcc_lo
	s_xor_b32 s4, exec_lo, s4
; %bb.57:
	v_bfe_u32 v81, v83, 16, 1
	s_delay_alu instid0(VALU_DEP_1)
	v_add3_u32 v81, v83, v81, 0x7fff
                                        ; implicit-def: $vgpr83
; %bb.58:
	s_and_not1_saveexec_b32 s4, s4
; %bb.59:
	v_and_b32_e32 v81, 0xffff, v83
	v_or_b32_e32 v82, 0x10000, v83
	s_delay_alu instid0(VALU_DEP_2) | instskip(NEXT) | instid1(VALU_DEP_2)
	v_cmp_eq_u32_e32 vcc_lo, 0, v81
	v_cndmask_b32_e32 v81, v82, v83, vcc_lo
; %bb.60:
	s_or_b32 exec_lo, exec_lo, s4
	v_and_b32_e32 v82, 0x7f800000, v77
	s_delay_alu instid0(VALU_DEP_1) | instskip(SKIP_1) | instid1(SALU_CYCLE_1)
	v_cmp_ne_u32_e32 vcc_lo, 0x7f800000, v82
                                        ; implicit-def: $vgpr82
	s_and_saveexec_b32 s4, vcc_lo
	s_xor_b32 s4, exec_lo, s4
; %bb.61:
	v_bfe_u32 v82, v77, 16, 1
	s_delay_alu instid0(VALU_DEP_1)
	v_add3_u32 v82, v77, v82, 0x7fff
                                        ; implicit-def: $vgpr77
; %bb.62:
	s_and_not1_saveexec_b32 s4, s4
; %bb.63:
	v_and_b32_e32 v82, 0xffff, v77
	v_or_b32_e32 v83, 0x10000, v77
	s_delay_alu instid0(VALU_DEP_2) | instskip(NEXT) | instid1(VALU_DEP_2)
	v_cmp_eq_u32_e32 vcc_lo, 0, v82
	v_cndmask_b32_e32 v82, v83, v77, vcc_lo
; %bb.64:
	s_or_b32 exec_lo, exec_lo, s4
	v_and_b32_e32 v77, 0x7f800000, v78
	s_delay_alu instid0(VALU_DEP_1) | instskip(SKIP_1) | instid1(SALU_CYCLE_1)
	v_cmp_ne_u32_e32 vcc_lo, 0x7f800000, v77
                                        ; implicit-def: $vgpr77
	s_and_saveexec_b32 s4, vcc_lo
	s_xor_b32 s4, exec_lo, s4
; %bb.65:
	v_bfe_u32 v77, v78, 16, 1
	s_delay_alu instid0(VALU_DEP_1)
	v_add3_u32 v77, v78, v77, 0x7fff
                                        ; implicit-def: $vgpr78
; %bb.66:
	s_and_not1_saveexec_b32 s4, s4
; %bb.67:
	v_and_b32_e32 v77, 0xffff, v78
	v_or_b32_e32 v83, 0x10000, v78
	s_delay_alu instid0(VALU_DEP_2) | instskip(NEXT) | instid1(VALU_DEP_2)
	v_cmp_eq_u32_e32 vcc_lo, 0, v77
	v_cndmask_b32_e32 v77, v83, v78, vcc_lo
; %bb.68:
	s_or_b32 exec_lo, exec_lo, s4
	v_and_b32_e32 v78, 0x7f800000, v79
	s_delay_alu instid0(VALU_DEP_1) | instskip(SKIP_1) | instid1(SALU_CYCLE_1)
	v_cmp_ne_u32_e32 vcc_lo, 0x7f800000, v78
                                        ; implicit-def: $vgpr78
	s_and_saveexec_b32 s4, vcc_lo
	s_xor_b32 s4, exec_lo, s4
; %bb.69:
	v_bfe_u32 v78, v79, 16, 1
	s_delay_alu instid0(VALU_DEP_1)
	v_add3_u32 v78, v79, v78, 0x7fff
                                        ; implicit-def: $vgpr79
; %bb.70:
	s_and_not1_saveexec_b32 s4, s4
; %bb.71:
	v_and_b32_e32 v78, 0xffff, v79
	v_or_b32_e32 v83, 0x10000, v79
	s_delay_alu instid0(VALU_DEP_2) | instskip(NEXT) | instid1(VALU_DEP_2)
	v_cmp_eq_u32_e32 vcc_lo, 0, v78
	v_cndmask_b32_e32 v78, v83, v79, vcc_lo
; %bb.72:
	s_or_b32 exec_lo, exec_lo, s4
	v_and_b32_e32 v79, 0x7f800000, v70
	s_delay_alu instid0(VALU_DEP_1) | instskip(SKIP_1) | instid1(SALU_CYCLE_1)
	v_cmp_ne_u32_e32 vcc_lo, 0x7f800000, v79
                                        ; implicit-def: $vgpr79
	s_and_saveexec_b32 s4, vcc_lo
	s_xor_b32 s4, exec_lo, s4
; %bb.73:
	v_bfe_u32 v79, v70, 16, 1
	s_delay_alu instid0(VALU_DEP_1)
	v_add3_u32 v79, v70, v79, 0x7fff
                                        ; implicit-def: $vgpr70
; %bb.74:
	s_and_not1_saveexec_b32 s4, s4
; %bb.75:
	v_and_b32_e32 v79, 0xffff, v70
	v_or_b32_e32 v83, 0x10000, v70
	s_delay_alu instid0(VALU_DEP_2) | instskip(NEXT) | instid1(VALU_DEP_2)
	v_cmp_eq_u32_e32 vcc_lo, 0, v79
	v_cndmask_b32_e32 v79, v83, v70, vcc_lo
; %bb.76:
	s_or_b32 exec_lo, exec_lo, s4
	s_delay_alu instid0(VALU_DEP_1)
	v_perm_b32 v86, v79, v78, 0x7060302
	v_perm_b32 v85, v77, v82, 0x7060302
	;; [unrolled: 1-line block ×4, first 2 shown]
	v_lshl_or_b32 v82, v66, 11, v80
	ds_store_b128 v76, v[83:86] offset:1024
	s_waitcnt lgkmcnt(0)
	s_barrier
	buffer_gl0_inv
	ds_load_b128 v[69:72], v82
	ds_load_b128 v[83:86], v82 offset:16
	s_waitcnt lgkmcnt(1)
	v_lshrrev_b32_e32 v66, 16, v69
	s_waitcnt lgkmcnt(0)
	v_lshrrev_b32_e32 v91, 16, v83
	v_lshlrev_b32_e32 v78, 2, v74
	v_lshrrev_b32_e32 v95, 16, v70
	v_lshrrev_b32_e32 v98, 16, v84
	;; [unrolled: 1-line block ×4, first 2 shown]
	v_cmp_eq_u32_e32 vcc_lo, 1, v78
	v_lshrrev_b32_e32 v97, 16, v72
	v_lshrrev_b32_e32 v100, 16, v86
	v_cndmask_b32_e32 v87, v83, v91, vcc_lo
	v_or_b32_e32 v79, 1, v78
	v_cndmask_b32_e32 v81, v69, v66, vcc_lo
	v_cmp_eq_u32_e64 s5, 2, v78
	v_cmp_eq_u32_e64 s8, 3, v78
	;; [unrolled: 1-line block ×5, first 2 shown]
	v_cndmask_b32_e64 v81, v81, v70, s5
	v_cndmask_b32_e64 v87, v87, v84, s5
	v_cmp_eq_u32_e64 s9, 3, v79
	v_cndmask_b32_e64 v88, v69, v66, s4
	v_or_b32_e32 v77, 2, v78
	v_cndmask_b32_e64 v81, v81, v95, s8
	v_cndmask_b32_e64 v87, v87, v98, s8
	;; [unrolled: 1-line block ×4, first 2 shown]
	v_cmp_eq_u32_e64 s11, 5, v78
	v_cndmask_b32_e64 v81, v81, v71, s10
	v_cndmask_b32_e64 v87, v87, v85, s10
	v_cmp_eq_u32_e64 s12, 4, v79
	v_cndmask_b32_e64 v88, v88, v95, s9
	v_cmp_eq_u32_e64 s6, 1, v77
	v_cndmask_b32_e64 v89, v89, v84, s7
	v_cndmask_b32_e64 v81, v81, v96, s11
	v_cmp_eq_u32_e64 s13, 6, v78
	v_cndmask_b32_e64 v88, v88, v71, s12
	;; [unrolled: 3-line block ×3, first 2 shown]
	v_cndmask_b32_e64 v89, v89, v98, s9
	v_cndmask_b32_e64 v81, v81, v72, s13
	v_cmp_eq_u32_e64 s16, 7, v78
	v_cndmask_b32_e64 v88, v88, v96, s15
	v_cndmask_b32_e64 v87, v87, v86, s13
	v_cmp_eq_u32_e64 s17, 6, v79
	v_cmp_eq_u32_e64 s18, 2, v77
	v_cndmask_b32_e64 v89, v89, v85, s12
	v_cndmask_b32_e64 v101, v81, v97, s16
	;; [unrolled: 1-line block ×6, first 2 shown]
	v_cmp_eq_u32_e64 s19, 7, v79
	v_cmp_eq_u32_e64 s20, 3, v77
	;; [unrolled: 1-line block ×4, first 2 shown]
	v_cndmask_b32_e64 v87, v87, v84, s18
	v_cndmask_b32_e64 v103, v88, v97, s19
	;; [unrolled: 1-line block ×4, first 2 shown]
	v_or_b32_e32 v81, 3, v78
	v_cndmask_b32_e64 v93, v87, v98, s20
	v_cmp_eq_u32_e64 s25, 6, v77
	v_cndmask_b32_e64 v104, v88, v86, s17
	v_cndmask_b32_e64 v92, v89, v71, s21
	v_cmp_eq_u32_e64 s22, 1, v81
	ds_load_b128 v[87:90], v82 offset:1024
	v_cmp_eq_u32_e64 s24, 2, v81
	v_cmp_eq_u32_e64 s26, 3, v81
	v_cndmask_b32_e64 v105, v92, v96, s23
	v_cndmask_b32_e64 v66, v69, v66, s22
	;; [unrolled: 1-line block ×4, first 2 shown]
	ds_load_b128 v[91:94], v82 offset:1040
	v_cmp_eq_u32_e64 s27, 4, v81
	v_cndmask_b32_e64 v66, v66, v70, s24
	v_cmp_eq_u32_e64 s28, 7, v77
	v_cndmask_b32_e64 v70, v83, v84, s24
	v_cndmask_b32_e64 v84, v105, v72, s25
	v_cmp_eq_u32_e64 s29, 5, v81
	v_cndmask_b32_e64 v66, v66, v95, s26
	v_cmp_eq_u32_e64 s30, 6, v81
	v_cndmask_b32_e64 v70, v70, v98, s26
	v_cndmask_b32_e64 v69, v69, v99, s23
	;; [unrolled: 1-line block ×4, first 2 shown]
	s_waitcnt lgkmcnt(1)
	v_lshrrev_b32_e32 v95, 16, v87
	v_cndmask_b32_e64 v70, v70, v85, s27
	v_cndmask_b32_e64 v71, v84, v97, s28
	;; [unrolled: 1-line block ×4, first 2 shown]
	v_cndmask_b32_e32 v84, v87, v95, vcc_lo
	v_cndmask_b32_e64 v70, v70, v99, s29
	s_waitcnt lgkmcnt(0)
	v_lshrrev_b32_e32 v85, 16, v91
	v_lshrrev_b32_e32 v96, 16, v88
	v_cndmask_b32_e64 v98, v87, v95, s4
	v_cndmask_b32_e64 v84, v84, v88, s5
	;; [unrolled: 1-line block ×3, first 2 shown]
	v_cndmask_b32_e32 v99, v91, v85, vcc_lo
	v_cmp_eq_u32_e32 vcc_lo, 7, v81
	v_cndmask_b32_e64 v66, v66, v72, s30
	v_cndmask_b32_e64 v72, v84, v96, s8
	;; [unrolled: 1-line block ×3, first 2 shown]
	v_lshrrev_b32_e32 v98, 16, v92
	v_cndmask_b32_e32 v70, v70, v100, vcc_lo
	v_cndmask_b32_e64 v86, v99, v92, s5
	v_cndmask_b32_e64 v69, v69, v100, s28
	v_lshrrev_b32_e32 v100, 16, v93
	v_cndmask_b32_e64 v72, v72, v89, s10
	v_lshrrev_b32_e32 v99, 16, v89
	v_cndmask_b32_e64 v86, v86, v98, s8
	v_perm_b32 v71, v69, v71, 0x5040100
	v_cndmask_b32_e64 v84, v84, v96, s9
	s_delay_alu instid0(VALU_DEP_3) | instskip(NEXT) | instid1(VALU_DEP_2)
	v_cndmask_b32_e64 v86, v86, v93, s10
	v_cndmask_b32_e64 v84, v84, v89, s12
	s_delay_alu instid0(VALU_DEP_2) | instskip(NEXT) | instid1(VALU_DEP_1)
	v_cndmask_b32_e64 v86, v86, v100, s11
	v_cndmask_b32_e64 v69, v86, v94, s13
	v_cndmask_b32_e64 v86, v87, v95, s6
	v_cndmask_b32_e64 v87, v87, v95, s22
	v_cndmask_b32_e64 v95, v91, v85, s22
	s_delay_alu instid0(VALU_DEP_3) | instskip(NEXT) | instid1(VALU_DEP_3)
	v_cndmask_b32_e64 v86, v86, v88, s18
	v_cndmask_b32_e64 v87, v87, v88, s24
	s_delay_alu instid0(VALU_DEP_3) | instskip(NEXT) | instid1(VALU_DEP_3)
	v_cndmask_b32_e64 v88, v95, v92, s24
	v_cndmask_b32_e64 v86, v86, v96, s20
	;; [unrolled: 3-line block ×7, first 2 shown]
	s_delay_alu instid0(VALU_DEP_3) | instskip(SKIP_2) | instid1(VALU_DEP_2)
	v_cndmask_b32_e64 v88, v88, v94, s30
	v_cndmask_b32_e32 v66, v66, v97, vcc_lo
	v_cndmask_b32_e64 v97, v72, v99, s11
	v_perm_b32 v72, v70, v66, 0x5040100
	v_perm_b32 v70, v83, v103, 0x5040100
	v_cndmask_b32_e64 v103, v91, v85, s6
	v_cndmask_b32_e64 v85, v91, v85, s4
	;; [unrolled: 1-line block ×4, first 2 shown]
	v_lshrrev_b32_e32 v97, 16, v90
	v_cndmask_b32_e64 v91, v103, v92, s18
	v_cndmask_b32_e64 v85, v85, v92, s7
	;; [unrolled: 1-line block ×3, first 2 shown]
	s_mov_b32 s4, exec_lo
	v_cndmask_b32_e64 v83, v84, v97, s16
	v_cndmask_b32_e64 v91, v91, v98, s20
	;; [unrolled: 1-line block ×3, first 2 shown]
	v_lshrrev_b32_e32 v84, 16, v94
	v_cndmask_b32_e64 v66, v66, v97, s19
	v_cndmask_b32_e64 v90, v86, v97, s28
	v_cndmask_b32_e64 v89, v91, v93, s21
	v_cndmask_b32_e64 v85, v85, v93, s12
	v_dual_cndmask_b32 v86, v87, v97 :: v_dual_cndmask_b32 v87, v88, v84
	v_cndmask_b32_e64 v91, v69, v84, s16
	s_delay_alu instid0(VALU_DEP_4) | instskip(NEXT) | instid1(VALU_DEP_4)
	v_cndmask_b32_e64 v89, v89, v100, s23
	v_cndmask_b32_e64 v85, v85, v100, s15
	v_perm_b32 v69, v102, v101, 0x5040100
	v_perm_b32 v86, v87, v86, 0x5040100
	;; [unrolled: 1-line block ×3, first 2 shown]
	v_cndmask_b32_e64 v89, v89, v94, s25
	v_cndmask_b32_e64 v85, v85, v94, s17
	s_mul_i32 s9, s37, 15
	s_delay_alu instid0(VALU_DEP_2) | instskip(NEXT) | instid1(VALU_DEP_2)
	v_cndmask_b32_e64 v88, v89, v84, s28
	v_cndmask_b32_e64 v89, v85, v84, s19
	s_delay_alu instid0(VALU_DEP_2) | instskip(NEXT) | instid1(VALU_DEP_2)
	v_perm_b32 v85, v88, v90, 0x5040100
	v_perm_b32 v84, v89, v66, 0x5040100
	ds_store_b128 v76, v[69:72]
	ds_store_b128 v76, v[83:86] offset:1024
	v_cmpx_gt_u32_e32 15, v0
	s_cbranch_execz .LBB1740_78
; %bb.77:
	s_mul_i32 s5, s9, s34
	s_load_b128 s[16:19], s[0:1], 0x58
	v_add3_u32 v69, s5, s31, v65
	s_delay_alu instid0(VALU_DEP_1) | instskip(NEXT) | instid1(VALU_DEP_1)
	v_mad_u64_u32 v[65:66], null, v69, s36, s[14:15]
	v_ashrrev_i32_e32 v66, 31, v65
	s_delay_alu instid0(VALU_DEP_1) | instskip(SKIP_1) | instid1(VALU_DEP_1)
	v_lshlrev_b64 v[65:66], 2, v[65:66]
	s_waitcnt lgkmcnt(0)
	v_add_co_u32 v69, vcc_lo, s18, v65
	s_delay_alu instid0(VALU_DEP_2)
	v_add_co_ci_u32_e32 v70, vcc_lo, s19, v66, vcc_lo
	v_add_co_u32 v65, vcc_lo, s16, v65
	v_add_co_ci_u32_e32 v66, vcc_lo, s17, v66, vcc_lo
	global_store_b32 v[69:70], v67, off
	global_store_b32 v[65:66], v68, off
.LBB1740_78:
	s_or_b32 exec_lo, exec_lo, s4
	s_waitcnt lgkmcnt(0)
	s_waitcnt_vscnt null, 0x0
	s_barrier
	buffer_gl0_inv
	ds_load_b128 v[83:86], v80
	ds_load_b128 v[87:90], v80 offset:16
	ds_load_b128 v[95:98], v80 offset:2064
	;; [unrolled: 1-line block ×3, first 2 shown]
	v_mov_b32_e32 v65, 0
	ds_load_b128 v[103:106], v80 offset:4112
	ds_load_b128 v[99:102], v80 offset:4096
	;; [unrolled: 1-line block ×4, first 2 shown]
	v_mov_b32_e32 v66, v65
	v_mov_b32_e32 v67, v65
	;; [unrolled: 1-line block ×7, first 2 shown]
	s_waitcnt lgkmcnt(6)
	s_delay_alu instid0(VALU_DEP_1)
	v_wmma_f32_16x16x16_bf16 v[65:72], v[57:64], v[83:90], v[65:72]
	ds_load_b128 v[61:64], v80 offset:8208
	ds_load_b128 v[57:60], v80 offset:8192
	s_waitcnt lgkmcnt(6)
	v_wmma_f32_16x16x16_bf16 v[65:72], v[41:48], v[91:98], v[65:72]
	ds_load_b128 v[45:48], v80 offset:10256
	ds_load_b128 v[41:44], v80 offset:10240
	s_waitcnt lgkmcnt(6)
	;; [unrolled: 4-line block ×4, first 2 shown]
	v_wmma_f32_16x16x16_bf16 v[65:72], v[1:8], v[57:64], v[65:72]
	s_waitcnt lgkmcnt(4)
	s_delay_alu instid0(VALU_DEP_1) | instskip(SKIP_1) | instid1(VALU_DEP_1)
	v_wmma_f32_16x16x16_bf16 v[65:72], v[9:16], v[41:48], v[65:72]
	s_waitcnt lgkmcnt(2)
	v_wmma_f32_16x16x16_bf16 v[65:72], v[17:24], v[33:40], v[65:72]
	s_waitcnt lgkmcnt(0)
	s_delay_alu instid0(VALU_DEP_1) | instskip(NEXT) | instid1(VALU_DEP_1)
	v_wmma_f32_16x16x16_bf16 v[65:72], v[49:56], v[25:32], v[65:72]
	v_and_b32_e32 v1, 0x7f800000, v65
	s_delay_alu instid0(VALU_DEP_1) | instskip(SKIP_1) | instid1(SALU_CYCLE_1)
	v_cmp_ne_u32_e32 vcc_lo, 0x7f800000, v1
                                        ; implicit-def: $vgpr1
	s_and_saveexec_b32 s4, vcc_lo
	s_xor_b32 s4, exec_lo, s4
; %bb.79:
	v_bfe_u32 v1, v65, 16, 1
	s_delay_alu instid0(VALU_DEP_1)
	v_add3_u32 v1, v65, v1, 0x7fff
; %bb.80:
	s_and_not1_saveexec_b32 s4, s4
; %bb.81:
	v_and_b32_e32 v1, 0xffff, v65
	v_or_b32_e32 v2, 0x10000, v65
	s_delay_alu instid0(VALU_DEP_2) | instskip(NEXT) | instid1(VALU_DEP_2)
	v_cmp_eq_u32_e32 vcc_lo, 0, v1
	v_cndmask_b32_e32 v1, v2, v65, vcc_lo
; %bb.82:
	s_or_b32 exec_lo, exec_lo, s4
	v_and_b32_e32 v2, 0x7f800000, v66
	s_delay_alu instid0(VALU_DEP_1) | instskip(SKIP_1) | instid1(SALU_CYCLE_1)
	v_cmp_ne_u32_e32 vcc_lo, 0x7f800000, v2
                                        ; implicit-def: $vgpr2
	s_and_saveexec_b32 s4, vcc_lo
	s_xor_b32 s4, exec_lo, s4
; %bb.83:
	v_bfe_u32 v2, v66, 16, 1
	s_delay_alu instid0(VALU_DEP_1)
	v_add3_u32 v2, v66, v2, 0x7fff
; %bb.84:
	s_and_not1_saveexec_b32 s4, s4
; %bb.85:
	v_and_b32_e32 v2, 0xffff, v66
	v_or_b32_e32 v3, 0x10000, v66
	s_delay_alu instid0(VALU_DEP_2) | instskip(NEXT) | instid1(VALU_DEP_2)
	v_cmp_eq_u32_e32 vcc_lo, 0, v2
	v_cndmask_b32_e32 v2, v3, v66, vcc_lo
; %bb.86:
	s_or_b32 exec_lo, exec_lo, s4
	v_and_b32_e32 v3, 0x7f800000, v67
	s_delay_alu instid0(VALU_DEP_1) | instskip(SKIP_1) | instid1(SALU_CYCLE_1)
	v_cmp_ne_u32_e32 vcc_lo, 0x7f800000, v3
                                        ; implicit-def: $vgpr3
	s_and_saveexec_b32 s4, vcc_lo
	s_xor_b32 s4, exec_lo, s4
; %bb.87:
	v_bfe_u32 v3, v67, 16, 1
	s_delay_alu instid0(VALU_DEP_1)
	v_add3_u32 v3, v67, v3, 0x7fff
; %bb.88:
	s_and_not1_saveexec_b32 s4, s4
; %bb.89:
	v_and_b32_e32 v3, 0xffff, v67
	v_or_b32_e32 v4, 0x10000, v67
	s_delay_alu instid0(VALU_DEP_2) | instskip(NEXT) | instid1(VALU_DEP_2)
	v_cmp_eq_u32_e32 vcc_lo, 0, v3
	v_cndmask_b32_e32 v3, v4, v67, vcc_lo
; %bb.90:
	s_or_b32 exec_lo, exec_lo, s4
	v_and_b32_e32 v4, 0x7f800000, v68
	s_delay_alu instid0(VALU_DEP_1) | instskip(SKIP_1) | instid1(SALU_CYCLE_1)
	v_cmp_ne_u32_e32 vcc_lo, 0x7f800000, v4
                                        ; implicit-def: $vgpr4
	s_and_saveexec_b32 s4, vcc_lo
	s_xor_b32 s4, exec_lo, s4
; %bb.91:
	v_bfe_u32 v4, v68, 16, 1
	s_delay_alu instid0(VALU_DEP_1)
	v_add3_u32 v4, v68, v4, 0x7fff
; %bb.92:
	s_and_not1_saveexec_b32 s4, s4
; %bb.93:
	v_and_b32_e32 v4, 0xffff, v68
	v_or_b32_e32 v5, 0x10000, v68
	s_delay_alu instid0(VALU_DEP_2) | instskip(NEXT) | instid1(VALU_DEP_2)
	v_cmp_eq_u32_e32 vcc_lo, 0, v4
	v_cndmask_b32_e32 v4, v5, v68, vcc_lo
; %bb.94:
	s_or_b32 exec_lo, exec_lo, s4
	v_and_b32_e32 v5, 0x7f800000, v69
	s_delay_alu instid0(VALU_DEP_1) | instskip(SKIP_1) | instid1(SALU_CYCLE_1)
	v_cmp_ne_u32_e32 vcc_lo, 0x7f800000, v5
                                        ; implicit-def: $vgpr5
	s_and_saveexec_b32 s4, vcc_lo
	s_xor_b32 s4, exec_lo, s4
; %bb.95:
	v_bfe_u32 v5, v69, 16, 1
	s_delay_alu instid0(VALU_DEP_1)
	v_add3_u32 v5, v69, v5, 0x7fff
; %bb.96:
	s_and_not1_saveexec_b32 s4, s4
; %bb.97:
	v_and_b32_e32 v5, 0xffff, v69
	v_or_b32_e32 v6, 0x10000, v69
	s_delay_alu instid0(VALU_DEP_2) | instskip(NEXT) | instid1(VALU_DEP_2)
	v_cmp_eq_u32_e32 vcc_lo, 0, v5
	v_cndmask_b32_e32 v5, v6, v69, vcc_lo
; %bb.98:
	s_or_b32 exec_lo, exec_lo, s4
	v_and_b32_e32 v6, 0x7f800000, v70
	s_delay_alu instid0(VALU_DEP_1) | instskip(SKIP_1) | instid1(SALU_CYCLE_1)
	v_cmp_ne_u32_e32 vcc_lo, 0x7f800000, v6
                                        ; implicit-def: $vgpr6
	s_and_saveexec_b32 s4, vcc_lo
	s_xor_b32 s4, exec_lo, s4
; %bb.99:
	v_bfe_u32 v6, v70, 16, 1
	s_delay_alu instid0(VALU_DEP_1)
	v_add3_u32 v6, v70, v6, 0x7fff
; %bb.100:
	s_and_not1_saveexec_b32 s4, s4
; %bb.101:
	v_and_b32_e32 v6, 0xffff, v70
	v_or_b32_e32 v7, 0x10000, v70
	s_delay_alu instid0(VALU_DEP_2) | instskip(NEXT) | instid1(VALU_DEP_2)
	v_cmp_eq_u32_e32 vcc_lo, 0, v6
	v_cndmask_b32_e32 v6, v7, v70, vcc_lo
; %bb.102:
	s_or_b32 exec_lo, exec_lo, s4
	v_and_b32_e32 v7, 0x7f800000, v71
	s_delay_alu instid0(VALU_DEP_1) | instskip(SKIP_1) | instid1(SALU_CYCLE_1)
	v_cmp_ne_u32_e32 vcc_lo, 0x7f800000, v7
                                        ; implicit-def: $vgpr7
	s_and_saveexec_b32 s4, vcc_lo
	s_xor_b32 s4, exec_lo, s4
; %bb.103:
	v_bfe_u32 v7, v71, 16, 1
	s_delay_alu instid0(VALU_DEP_1)
	v_add3_u32 v7, v71, v7, 0x7fff
; %bb.104:
	s_and_not1_saveexec_b32 s4, s4
; %bb.105:
	v_and_b32_e32 v7, 0xffff, v71
	v_or_b32_e32 v8, 0x10000, v71
	s_delay_alu instid0(VALU_DEP_2) | instskip(NEXT) | instid1(VALU_DEP_2)
	v_cmp_eq_u32_e32 vcc_lo, 0, v7
	v_cndmask_b32_e32 v7, v8, v71, vcc_lo
; %bb.106:
	s_or_b32 exec_lo, exec_lo, s4
	v_and_b32_e32 v8, 0x7f800000, v72
	s_delay_alu instid0(VALU_DEP_1) | instskip(SKIP_1) | instid1(SALU_CYCLE_1)
	v_cmp_ne_u32_e32 vcc_lo, 0x7f800000, v8
                                        ; implicit-def: $vgpr8
	s_and_saveexec_b32 s4, vcc_lo
	s_xor_b32 s4, exec_lo, s4
; %bb.107:
	v_bfe_u32 v8, v72, 16, 1
	s_delay_alu instid0(VALU_DEP_1)
	v_add3_u32 v8, v72, v8, 0x7fff
                                        ; implicit-def: $vgpr65_vgpr66_vgpr67_vgpr68_vgpr69_vgpr70_vgpr71_vgpr72
; %bb.108:
	s_and_not1_saveexec_b32 s4, s4
; %bb.109:
	v_and_b32_e32 v8, 0xffff, v72
	v_or_b32_e32 v9, 0x10000, v72
	s_delay_alu instid0(VALU_DEP_2) | instskip(NEXT) | instid1(VALU_DEP_2)
	v_cmp_eq_u32_e32 vcc_lo, 0, v8
	v_cndmask_b32_e32 v8, v9, v72, vcc_lo
; %bb.110:
	s_or_b32 exec_lo, exec_lo, s4
	s_delay_alu instid0(VALU_DEP_1)
	v_perm_b32 v7, v8, v7, 0x7060302
	v_perm_b32 v6, v6, v5, 0x7060302
	;; [unrolled: 1-line block ×4, first 2 shown]
	s_barrier
	buffer_gl0_inv
	v_cmp_eq_u32_e32 vcc_lo, 1, v78
	ds_store_b128 v76, v[4:7]
	s_waitcnt lgkmcnt(0)
	s_barrier
	buffer_gl0_inv
	ds_load_b128 v[1:4], v82
	ds_load_b128 v[5:8], v82 offset:16
	v_cmp_eq_u32_e64 s4, 1, v79
	v_cmp_eq_u32_e64 s5, 2, v78
	;; [unrolled: 1-line block ×5, first 2 shown]
	s_waitcnt lgkmcnt(1)
	v_lshrrev_b32_e32 v9, 16, v1
	s_waitcnt lgkmcnt(0)
	v_lshrrev_b32_e32 v13, 16, v5
	v_lshrrev_b32_e32 v10, 16, v2
	;; [unrolled: 1-line block ×4, first 2 shown]
	v_cndmask_b32_e64 v19, v1, v9, s4
	v_cndmask_b32_e32 v18, v5, v13, vcc_lo
	v_cndmask_b32_e64 v20, v5, v13, s4
	v_cndmask_b32_e32 v17, v1, v9, vcc_lo
	v_cmp_eq_u32_e32 vcc_lo, 2, v79
	v_lshrrev_b32_e32 v15, 16, v7
	v_cmp_eq_u32_e64 s4, 1, v77
	v_lshrrev_b32_e32 v12, 16, v4
	v_lshrrev_b32_e32 v16, 16, v8
	v_cndmask_b32_e32 v20, v20, v6, vcc_lo
	v_cndmask_b32_e64 v17, v17, v2, s5
	v_cndmask_b32_e32 v19, v19, v2, vcc_lo
	v_cndmask_b32_e64 v18, v18, v6, s5
	v_cmp_eq_u32_e32 vcc_lo, 4, v78
	v_cmp_eq_u32_e64 s5, 3, v79
	v_cndmask_b32_e64 v17, v17, v10, s6
	v_cndmask_b32_e64 v21, v1, v9, s4
	;; [unrolled: 1-line block ×5, first 2 shown]
	v_cndmask_b32_e32 v17, v17, v3, vcc_lo
	v_cndmask_b32_e64 v20, v20, v14, s5
	v_cndmask_b32_e32 v18, v18, v7, vcc_lo
	v_cmp_eq_u32_e32 vcc_lo, 4, v79
	v_cmp_eq_u32_e64 s5, 5, v79
	v_cmp_eq_u32_e64 s4, 2, v81
	v_cndmask_b32_e64 v21, v21, v2, s8
	v_cmp_eq_u32_e64 s6, 5, v78
	v_cndmask_b32_e32 v19, v19, v3, vcc_lo
	v_cndmask_b32_e32 v20, v20, v7, vcc_lo
	v_cmp_eq_u32_e32 vcc_lo, 6, v79
	s_delay_alu instid0(VALU_DEP_4) | instskip(NEXT) | instid1(VALU_DEP_4)
	v_cndmask_b32_e64 v17, v17, v11, s6
	v_cndmask_b32_e64 v19, v19, v11, s5
	s_delay_alu instid0(VALU_DEP_4) | instskip(SKIP_1) | instid1(VALU_DEP_3)
	v_cndmask_b32_e64 v20, v20, v15, s5
	v_cmp_eq_u32_e64 s5, 1, v81
	v_cndmask_b32_e32 v19, v19, v4, vcc_lo
	v_cndmask_b32_e64 v18, v18, v15, s6
	s_delay_alu instid0(VALU_DEP_3)
	v_cndmask_b32_e64 v1, v1, v9, s5
	v_cndmask_b32_e64 v5, v5, v13, s5
	v_cmp_eq_u32_e64 s5, 3, v77
	v_cndmask_b32_e64 v13, v22, v6, s8
	v_cmp_eq_u32_e64 s8, 3, v81
	v_cndmask_b32_e64 v1, v1, v2, s4
	v_cndmask_b32_e64 v2, v5, v6, s4
	;; [unrolled: 1-line block ×3, first 2 shown]
	v_cmp_eq_u32_e64 s4, 4, v77
	v_cndmask_b32_e64 v6, v13, v14, s5
	v_cndmask_b32_e64 v1, v1, v10, s8
	v_cmp_eq_u32_e64 s5, 4, v81
	v_cndmask_b32_e64 v2, v2, v14, s8
	v_cndmask_b32_e64 v5, v9, v3, s4
	;; [unrolled: 3-line block ×3, first 2 shown]
	v_cndmask_b32_e64 v2, v2, v7, s5
	v_cmp_eq_u32_e64 s4, 5, v81
	v_cmp_eq_u32_e64 s6, 6, v78
	v_cndmask_b32_e64 v5, v5, v11, s8
	v_cmp_eq_u32_e64 s5, 6, v77
	v_cndmask_b32_e64 v3, v6, v15, s8
	v_cndmask_b32_e64 v1, v1, v11, s4
	v_cmp_eq_u32_e64 s8, 6, v81
	v_cndmask_b32_e64 v2, v2, v15, s4
	v_cndmask_b32_e64 v17, v17, v4, s6
	v_cndmask_b32_e64 v18, v18, v8, s6
	v_cmp_eq_u32_e64 s6, 7, v78
	v_cndmask_b32_e64 v5, v5, v4, s5
	;; [unrolled: 4-line block ×3, first 2 shown]
	v_cmp_eq_u32_e64 s5, 7, v77
	v_cndmask_b32_e32 v4, v20, v8, vcc_lo
	v_cndmask_b32_e64 v17, v17, v12, s6
	v_cndmask_b32_e64 v19, v19, v12, s7
	;; [unrolled: 1-line block ×8, first 2 shown]
	v_cmp_gt_u32_e32 vcc_lo, 32, v0
	v_perm_b32 v4, v2, v1, 0x5040100
	v_perm_b32 v3, v3, v5, 0x5040100
	;; [unrolled: 1-line block ×4, first 2 shown]
	s_and_b32 s2, vcc_lo, s2
	ds_store_b128 v76, v[1:4]
	s_waitcnt lgkmcnt(0)
	s_barrier
	buffer_gl0_inv
	s_and_saveexec_b32 s4, s2
	s_cbranch_execz .LBB1740_2
; %bb.111:
	s_load_b64 s[4:5], s[0:1], 0x68
	v_add_nc_u32_e32 v20, s31, v74
	v_lshlrev_b32_e32 v0, 10, v0
	v_lshlrev_b32_e32 v1, 4, v75
	s_lshl_b32 s0, s36, 6
	s_delay_alu instid0(SALU_CYCLE_1)
	s_mul_i32 s1, s0, s34
	v_add_nc_u32_e32 v2, 2, v20
	s_mul_i32 s6, s1, s9
	v_and_or_b32 v0, 0x3800, v0, v1
	v_mul_lo_u32 v1, v20, s0
	s_ashr_i32 s7, s6, 31
	v_mul_lo_u32 v11, v2, s0
	s_lshl_b64 s[6:7], s[6:7], 1
	v_add_nc_u32_e32 v3, 4, v20
	v_lshl_or_b32 v21, v74, 6, v0
	v_add_nc_u32_e32 v16, 6, v20
	v_ashrrev_i32_e32 v2, 31, v1
	s_delay_alu instid0(VALU_DEP_4)
	v_mul_lo_u32 v13, v3, s0
	s_waitcnt lgkmcnt(0)
	s_add_u32 s1, s4, s6
	s_addc_u32 s2, s5, s7
	s_lshl_b32 s4, s14, 6
	ds_load_b128 v[3:6], v21
	ds_load_b128 v[7:10], v21 offset:128
	s_ashr_i32 s5, s4, 31
	v_ashrrev_i32_e32 v12, 31, v11
	s_lshl_b64 s[4:5], s[4:5], 1
	v_lshlrev_b64 v[14:15], 1, v[1:2]
	s_add_u32 s1, s1, s4
	s_addc_u32 s2, s2, s5
	v_add_co_u32 v1, s1, s1, v73
	s_delay_alu instid0(VALU_DEP_1) | instskip(SKIP_1) | instid1(VALU_DEP_3)
	v_add_co_ci_u32_e64 v2, null, s2, 0, s1
	v_lshlrev_b64 v[11:12], 1, v[11:12]
	v_add_co_u32 v18, vcc_lo, v1, v14
	v_mul_lo_u32 v16, v16, s0
	s_delay_alu instid0(VALU_DEP_4) | instskip(NEXT) | instid1(VALU_DEP_4)
	v_add_co_ci_u32_e32 v19, vcc_lo, v2, v15, vcc_lo
	v_add_co_u32 v11, vcc_lo, v1, v11
	v_ashrrev_i32_e32 v14, 31, v13
	v_add_co_ci_u32_e32 v12, vcc_lo, v2, v12, vcc_lo
	v_add_nc_u32_e32 v15, 8, v20
	v_ashrrev_i32_e32 v17, 31, v16
	s_waitcnt lgkmcnt(1)
	global_store_b128 v[18:19], v[3:6], off
	v_lshlrev_b64 v[3:4], 1, v[13:14]
	s_waitcnt lgkmcnt(0)
	global_store_b128 v[11:12], v[7:10], off
	v_mul_lo_u32 v11, v15, s0
	v_add_nc_u32_e32 v7, 10, v20
	v_lshlrev_b64 v[5:6], 1, v[16:17]
	v_add_co_u32 v23, vcc_lo, v1, v3
	v_add_nc_u32_e32 v3, 12, v20
	s_delay_alu instid0(VALU_DEP_4)
	v_mul_lo_u32 v25, v7, s0
	v_ashrrev_i32_e32 v12, 31, v11
	v_add_co_ci_u32_e32 v24, vcc_lo, v2, v4, vcc_lo
	v_add_co_u32 v27, vcc_lo, v1, v5
	v_mul_lo_u32 v29, v3, s0
	v_add_co_ci_u32_e32 v28, vcc_lo, v2, v6, vcc_lo
	ds_load_b128 v[3:6], v21 offset:256
	ds_load_b128 v[7:10], v21 offset:384
	v_lshlrev_b64 v[31:32], 1, v[11:12]
	ds_load_b128 v[11:14], v21 offset:512
	ds_load_b128 v[15:18], v21 offset:640
	;; [unrolled: 1-line block ×3, first 2 shown]
	v_ashrrev_i32_e32 v26, 31, v25
	v_ashrrev_i32_e32 v30, 31, v29
	v_add_co_u32 v31, vcc_lo, v1, v31
	s_delay_alu instid0(VALU_DEP_3) | instskip(NEXT) | instid1(VALU_DEP_3)
	v_lshlrev_b64 v[25:26], 1, v[25:26]
	v_lshlrev_b64 v[29:30], 1, v[29:30]
	v_add_co_ci_u32_e32 v32, vcc_lo, v2, v32, vcc_lo
	s_delay_alu instid0(VALU_DEP_3) | instskip(NEXT) | instid1(VALU_DEP_4)
	v_add_co_u32 v25, vcc_lo, v1, v25
	v_add_co_ci_u32_e32 v26, vcc_lo, v2, v26, vcc_lo
	s_delay_alu instid0(VALU_DEP_4)
	v_add_co_u32 v29, vcc_lo, v1, v29
	v_add_co_ci_u32_e32 v30, vcc_lo, v2, v30, vcc_lo
	s_waitcnt lgkmcnt(4)
	global_store_b128 v[23:24], v[3:6], off
	s_waitcnt lgkmcnt(3)
	global_store_b128 v[27:28], v[7:10], off
	;; [unrolled: 2-line block ×5, first 2 shown]
	s_and_b32 exec_lo, exec_lo, s3
	s_cbranch_execz .LBB1740_2
; %bb.112:
	ds_load_b128 v[3:6], v0 offset:896
	s_add_i32 s1, s31, 14
	s_delay_alu instid0(SALU_CYCLE_1) | instskip(NEXT) | instid1(SALU_CYCLE_1)
	s_mul_i32 s0, s1, s0
	s_ashr_i32 s1, s0, 31
	s_delay_alu instid0(SALU_CYCLE_1) | instskip(NEXT) | instid1(SALU_CYCLE_1)
	s_lshl_b64 s[0:1], s[0:1], 1
	v_add_co_u32 v0, vcc_lo, v1, s0
	v_add_co_ci_u32_e32 v1, vcc_lo, s1, v2, vcc_lo
	s_waitcnt lgkmcnt(0)
	global_store_b128 v[0:1], v[3:6], off
	s_nop 0
	s_sendmsg sendmsg(MSG_DEALLOC_VGPRS)
	s_endpgm
	.section	.rodata,"a",@progbits
	.p2align	6, 0x0
	.amdhsa_kernel _Z39paged_attention_ll4mi_QKV_mfma16_kernelI14__hip_bfloat16hLN4vllm18Fp8KVCacheDataTypeE1EhLi32ELi64ELi256ELb1ELi15EL8MFMAType0EEvPKT_PKT0_S9_ifPKiSB_SB_iPKfiiiPfSE_PS4_PT2_iSD_SD_
		.amdhsa_group_segment_fixed_size 17472
		.amdhsa_private_segment_fixed_size 0
		.amdhsa_kernarg_size 400
		.amdhsa_user_sgpr_count 13
		.amdhsa_user_sgpr_dispatch_ptr 0
		.amdhsa_user_sgpr_queue_ptr 0
		.amdhsa_user_sgpr_kernarg_segment_ptr 1
		.amdhsa_user_sgpr_dispatch_id 0
		.amdhsa_user_sgpr_private_segment_size 0
		.amdhsa_wavefront_size32 1
		.amdhsa_uses_dynamic_stack 0
		.amdhsa_enable_private_segment 0
		.amdhsa_system_sgpr_workgroup_id_x 1
		.amdhsa_system_sgpr_workgroup_id_y 1
		.amdhsa_system_sgpr_workgroup_id_z 1
		.amdhsa_system_sgpr_workgroup_info 0
		.amdhsa_system_vgpr_workitem_id 0
		.amdhsa_next_free_vgpr 124
		.amdhsa_next_free_sgpr 42
		.amdhsa_reserve_vcc 1
		.amdhsa_float_round_mode_32 0
		.amdhsa_float_round_mode_16_64 0
		.amdhsa_float_denorm_mode_32 3
		.amdhsa_float_denorm_mode_16_64 3
		.amdhsa_dx10_clamp 1
		.amdhsa_ieee_mode 1
		.amdhsa_fp16_overflow 0
		.amdhsa_workgroup_processor_mode 1
		.amdhsa_memory_ordered 1
		.amdhsa_forward_progress 0
		.amdhsa_shared_vgpr_count 0
		.amdhsa_exception_fp_ieee_invalid_op 0
		.amdhsa_exception_fp_denorm_src 0
		.amdhsa_exception_fp_ieee_div_zero 0
		.amdhsa_exception_fp_ieee_overflow 0
		.amdhsa_exception_fp_ieee_underflow 0
		.amdhsa_exception_fp_ieee_inexact 0
		.amdhsa_exception_int_div_zero 0
	.end_amdhsa_kernel
	.section	.text._Z39paged_attention_ll4mi_QKV_mfma16_kernelI14__hip_bfloat16hLN4vllm18Fp8KVCacheDataTypeE1EhLi32ELi64ELi256ELb1ELi15EL8MFMAType0EEvPKT_PKT0_S9_ifPKiSB_SB_iPKfiiiPfSE_PS4_PT2_iSD_SD_,"axG",@progbits,_Z39paged_attention_ll4mi_QKV_mfma16_kernelI14__hip_bfloat16hLN4vllm18Fp8KVCacheDataTypeE1EhLi32ELi64ELi256ELb1ELi15EL8MFMAType0EEvPKT_PKT0_S9_ifPKiSB_SB_iPKfiiiPfSE_PS4_PT2_iSD_SD_,comdat
.Lfunc_end1740:
	.size	_Z39paged_attention_ll4mi_QKV_mfma16_kernelI14__hip_bfloat16hLN4vllm18Fp8KVCacheDataTypeE1EhLi32ELi64ELi256ELb1ELi15EL8MFMAType0EEvPKT_PKT0_S9_ifPKiSB_SB_iPKfiiiPfSE_PS4_PT2_iSD_SD_, .Lfunc_end1740-_Z39paged_attention_ll4mi_QKV_mfma16_kernelI14__hip_bfloat16hLN4vllm18Fp8KVCacheDataTypeE1EhLi32ELi64ELi256ELb1ELi15EL8MFMAType0EEvPKT_PKT0_S9_ifPKiSB_SB_iPKfiiiPfSE_PS4_PT2_iSD_SD_
                                        ; -- End function
	.section	.AMDGPU.csdata,"",@progbits
; Kernel info:
; codeLenInByte = 9028
; NumSgprs: 44
; NumVgprs: 124
; ScratchSize: 0
; MemoryBound: 0
; FloatMode: 240
; IeeeMode: 1
; LDSByteSize: 17472 bytes/workgroup (compile time only)
; SGPRBlocks: 5
; VGPRBlocks: 15
; NumSGPRsForWavesPerEU: 44
; NumVGPRsForWavesPerEU: 124
; Occupancy: 10
; WaveLimiterHint : 1
; COMPUTE_PGM_RSRC2:SCRATCH_EN: 0
; COMPUTE_PGM_RSRC2:USER_SGPR: 13
; COMPUTE_PGM_RSRC2:TRAP_HANDLER: 0
; COMPUTE_PGM_RSRC2:TGID_X_EN: 1
; COMPUTE_PGM_RSRC2:TGID_Y_EN: 1
; COMPUTE_PGM_RSRC2:TGID_Z_EN: 1
; COMPUTE_PGM_RSRC2:TIDIG_COMP_CNT: 0
	.section	.text._Z39paged_attention_ll4mi_QKV_mfma16_kernelI14__hip_bfloat16hLN4vllm18Fp8KVCacheDataTypeE1EhLi32ELi64ELi256ELb1ELi16EL8MFMAType0EEvPKT_PKT0_S9_ifPKiSB_SB_iPKfiiiPfSE_PS4_PT2_iSD_SD_,"axG",@progbits,_Z39paged_attention_ll4mi_QKV_mfma16_kernelI14__hip_bfloat16hLN4vllm18Fp8KVCacheDataTypeE1EhLi32ELi64ELi256ELb1ELi16EL8MFMAType0EEvPKT_PKT0_S9_ifPKiSB_SB_iPKfiiiPfSE_PS4_PT2_iSD_SD_,comdat
	.protected	_Z39paged_attention_ll4mi_QKV_mfma16_kernelI14__hip_bfloat16hLN4vllm18Fp8KVCacheDataTypeE1EhLi32ELi64ELi256ELb1ELi16EL8MFMAType0EEvPKT_PKT0_S9_ifPKiSB_SB_iPKfiiiPfSE_PS4_PT2_iSD_SD_ ; -- Begin function _Z39paged_attention_ll4mi_QKV_mfma16_kernelI14__hip_bfloat16hLN4vllm18Fp8KVCacheDataTypeE1EhLi32ELi64ELi256ELb1ELi16EL8MFMAType0EEvPKT_PKT0_S9_ifPKiSB_SB_iPKfiiiPfSE_PS4_PT2_iSD_SD_
	.globl	_Z39paged_attention_ll4mi_QKV_mfma16_kernelI14__hip_bfloat16hLN4vllm18Fp8KVCacheDataTypeE1EhLi32ELi64ELi256ELb1ELi16EL8MFMAType0EEvPKT_PKT0_S9_ifPKiSB_SB_iPKfiiiPfSE_PS4_PT2_iSD_SD_
	.p2align	8
	.type	_Z39paged_attention_ll4mi_QKV_mfma16_kernelI14__hip_bfloat16hLN4vllm18Fp8KVCacheDataTypeE1EhLi32ELi64ELi256ELb1ELi16EL8MFMAType0EEvPKT_PKT0_S9_ifPKiSB_SB_iPKfiiiPfSE_PS4_PT2_iSD_SD_,@function
_Z39paged_attention_ll4mi_QKV_mfma16_kernelI14__hip_bfloat16hLN4vllm18Fp8KVCacheDataTypeE1EhLi32ELi64ELi256ELb1ELi16EL8MFMAType0EEvPKT_PKT0_S9_ifPKiSB_SB_iPKfiiiPfSE_PS4_PT2_iSD_SD_: ; @_Z39paged_attention_ll4mi_QKV_mfma16_kernelI14__hip_bfloat16hLN4vllm18Fp8KVCacheDataTypeE1EhLi32ELi64ELi256ELb1ELi16EL8MFMAType0EEvPKT_PKT0_S9_ifPKiSB_SB_iPKfiiiPfSE_PS4_PT2_iSD_SD_
; %bb.0:
	s_load_b64 s[2:3], s[0:1], 0x30
	s_mov_b32 s30, s13
	s_waitcnt lgkmcnt(0)
	s_cmp_lg_u64 s[2:3], 0
	s_cselect_b32 s8, -1, 0
	s_ashr_i32 s31, s13, 31
	s_cmp_eq_u64 s[2:3], 0
	s_cbranch_scc1 .LBB1741_3
; %bb.1:
	s_lshl_b64 s[4:5], s[30:31], 2
	s_delay_alu instid0(SALU_CYCLE_1) | instskip(SKIP_4) | instid1(SALU_CYCLE_1)
	s_add_u32 s4, s2, s4
	s_addc_u32 s5, s3, s5
	s_load_b64 s[4:5], s[4:5], 0x0
	s_waitcnt lgkmcnt(0)
	s_sub_i32 s4, s5, s4
	s_cmp_eq_u32 s4, 1
	s_cselect_b32 s4, -1, 0
	s_delay_alu instid0(SALU_CYCLE_1)
	s_and_not1_b32 vcc_lo, exec_lo, s4
	s_cbranch_vccz .LBB1741_4
.LBB1741_2:
	s_endpgm
.LBB1741_3:
.LBB1741_4:
	s_load_b64 s[4:5], s[0:1], 0x28
	s_lshl_b64 s[6:7], s[30:31], 2
	s_waitcnt lgkmcnt(0)
	s_add_u32 s4, s4, s6
	s_addc_u32 s5, s5, s7
	s_lshl_b32 s12, s14, 8
	s_load_b32 s24, s[4:5], 0x0
	s_waitcnt lgkmcnt(0)
	s_cmp_ge_i32 s12, s24
	s_cbranch_scc1 .LBB1741_2
; %bb.5:
	s_clause 0x1
	s_load_b128 s[20:23], s[0:1], 0x8
	s_load_b64 s[4:5], s[0:1], 0x20
	s_and_not1_b32 vcc_lo, exec_lo, s8
	s_cbranch_vccnz .LBB1741_7
; %bb.6:
	s_add_u32 s2, s2, s6
	s_addc_u32 s3, s3, s7
	s_load_b32 s3, s[2:3], 0x0
	s_branch .LBB1741_8
.LBB1741_7:
	s_mov_b32 s3, s30
.LBB1741_8:
	s_load_b128 s[16:19], s[0:1], 0x48
	v_and_b32_e32 v66, 15, v0
	v_cmp_gt_u32_e32 vcc_lo, 0x100, v0
	v_lshrrev_b32_e32 v65, 5, v0
	v_and_b32_e32 v67, 31, v0
	v_and_b32_e32 v75, 1, v0
	v_lshlrev_b32_e32 v1, 3, v66
	v_cmp_gt_u32_e64 s2, 8, v66
	v_bfe_u32 v74, v0, 4, 1
	s_lshl_b32 s31, s15, 4
	s_delay_alu instid0(VALU_DEP_3) | instskip(NEXT) | instid1(VALU_DEP_3)
	v_lshlrev_b32_e32 v73, 1, v1
	s_and_b32 s7, vcc_lo, s2
	s_delay_alu instid0(SALU_CYCLE_1)
	s_and_saveexec_b32 s6, s7
	s_cbranch_execz .LBB1741_10
; %bb.9:
	v_lshl_or_b32 v5, v65, 1, v74
	s_load_b64 s[8:9], s[0:1], 0x0
	s_waitcnt lgkmcnt(0)
	s_mul_hi_i32 s11, s3, s16
	s_mul_i32 s10, s3, s16
	v_lshlrev_b32_e32 v6, 10, v66
	v_or_b32_e32 v1, s31, v5
	s_lshl_b64 s[10:11], s[10:11], 1
	v_lshlrev_b32_e32 v5, 6, v5
	v_lshlrev_b32_e32 v7, 10, v75
	v_and_b32_e32 v6, 0x3800, v6
	v_lshlrev_b32_e32 v1, 6, v1
	s_delay_alu instid0(VALU_DEP_2) | instskip(NEXT) | instid1(VALU_DEP_2)
	v_or3_b32 v5, v6, v7, v5
	v_ashrrev_i32_e32 v2, 31, v1
	s_delay_alu instid0(VALU_DEP_1) | instskip(SKIP_2) | instid1(VALU_DEP_1)
	v_lshlrev_b64 v[1:2], 1, v[1:2]
	s_add_u32 s3, s8, s10
	s_addc_u32 s7, s9, s11
	v_add_co_u32 v1, vcc_lo, s3, v1
	s_delay_alu instid0(VALU_DEP_2) | instskip(NEXT) | instid1(VALU_DEP_2)
	v_add_co_ci_u32_e32 v2, vcc_lo, s7, v2, vcc_lo
	v_add_co_u32 v1, vcc_lo, v1, v73
	s_delay_alu instid0(VALU_DEP_2)
	v_add_co_ci_u32_e32 v2, vcc_lo, 0, v2, vcc_lo
	global_load_b128 v[1:4], v[1:2], off
	s_waitcnt vmcnt(0)
	ds_store_b128 v5, v[1:4]
.LBB1741_10:
	s_or_b32 exec_lo, exec_lo, s6
	v_and_b32_e32 v1, 0xef, v0
	s_waitcnt lgkmcnt(0)
	s_add_i32 s3, s24, 31
	s_clause 0x1
	s_load_b32 s6, s[0:1], 0x38
	s_load_b32 s19, s[0:1], 0x1c
	s_ashr_i32 s7, s3, 31
	v_add_nc_u32_e32 v1, s12, v1
	s_lshr_b32 s7, s7, 27
	s_waitcnt lgkmcnt(0)
	s_add_i32 s3, s3, s7
	s_barrier
	v_ashrrev_i32_e32 v2, 31, v1
	v_or_b32_e32 v3, 16, v1
	s_ashr_i32 s3, s3, 5
	v_cmp_gt_i32_e32 vcc_lo, s24, v1
	s_add_i32 s3, s3, -1
	v_lshrrev_b32_e32 v2, 27, v2
	buffer_gl0_inv
	s_mul_i32 s27, s15, s18
	v_add_nc_u32_e32 v4, v1, v2
	s_mul_i32 s6, s30, s6
	s_delay_alu instid0(SALU_CYCLE_1) | instskip(NEXT) | instid1(VALU_DEP_1)
	s_ashr_i32 s7, s6, 31
	v_ashrrev_i32_e32 v4, 5, v4
	v_add_nc_u32_e32 v2, v3, v2
	s_lshl_b64 s[6:7], s[6:7], 2
	s_delay_alu instid0(SALU_CYCLE_1) | instskip(NEXT) | instid1(VALU_DEP_2)
	s_add_u32 s26, s4, s6
	v_cndmask_b32_e32 v1, s3, v4, vcc_lo
	s_delay_alu instid0(VALU_DEP_2)
	v_ashrrev_i32_e32 v2, 5, v2
	v_cmp_gt_i32_e32 vcc_lo, s24, v3
	s_addc_u32 s25, s5, s7
	s_ashr_i32 s28, s27, 31
	s_add_u32 s4, s20, s27
	s_addc_u32 s5, s21, s28
	v_cndmask_b32_e32 v3, s3, v2, vcc_lo
	v_ashrrev_i32_e32 v2, 31, v1
	s_lshl_b32 s6, s14, 3
	s_delay_alu instid0(SALU_CYCLE_1) | instskip(NEXT) | instid1(VALU_DEP_2)
	s_ashr_i32 s7, s6, 31
	v_ashrrev_i32_e32 v4, 31, v3
	s_delay_alu instid0(VALU_DEP_2) | instskip(SKIP_1) | instid1(SALU_CYCLE_1)
	v_lshlrev_b64 v[1:2], 2, v[1:2]
	s_lshl_b64 s[6:7], s[6:7], 2
	s_add_u32 s6, s26, s6
	s_delay_alu instid0(VALU_DEP_2) | instskip(SKIP_1) | instid1(VALU_DEP_2)
	v_lshlrev_b64 v[3:4], 2, v[3:4]
	s_addc_u32 s7, s25, s7
	v_add_co_u32 v1, vcc_lo, s26, v1
	v_add_co_ci_u32_e32 v2, vcc_lo, s25, v2, vcc_lo
	s_delay_alu instid0(VALU_DEP_3) | instskip(NEXT) | instid1(VALU_DEP_4)
	v_add_co_u32 v3, vcc_lo, s26, v3
	v_add_co_ci_u32_e32 v4, vcc_lo, s25, v4, vcc_lo
	s_clause 0x1
	global_load_b32 v5, v[1:2], off
	global_load_b32 v6, v[3:4], off
	s_or_b32 s8, s12, 32
	s_delay_alu instid0(SALU_CYCLE_1) | instskip(SKIP_2) | instid1(SALU_CYCLE_1)
	s_ashr_i32 s9, s8, 5
	s_cmp_lt_i32 s8, s24
	s_cselect_b32 s8, s9, s3
	s_ashr_i32 s9, s8, 31
	s_delay_alu instid0(SALU_CYCLE_1) | instskip(NEXT) | instid1(SALU_CYCLE_1)
	s_lshl_b64 s[8:9], s[8:9], 2
	s_add_u32 s8, s26, s8
	s_addc_u32 s9, s25, s9
	s_or_b32 s10, s12, 64
	s_delay_alu instid0(SALU_CYCLE_1) | instskip(SKIP_2) | instid1(SALU_CYCLE_1)
	s_ashr_i32 s11, s10, 5
	s_cmp_lt_i32 s10, s24
	s_cselect_b32 s10, s11, s3
	s_ashr_i32 s11, s10, 31
	s_delay_alu instid0(SALU_CYCLE_1) | instskip(NEXT) | instid1(SALU_CYCLE_1)
	s_lshl_b64 s[10:11], s[10:11], 2
	s_add_u32 s10, s26, s10
	s_addc_u32 s11, s25, s11
	;; [unrolled: 10-line block ×5, first 2 shown]
	s_clause 0x5
	s_load_b32 s21, s[6:7], 0x0
	s_load_b32 s13, s[8:9], 0x0
	s_load_b32 s15, s[10:11], 0x0
	s_load_b32 s16, s[34:35], 0x0
	s_load_b32 s18, s[36:37], 0x0
	s_load_b32 s20, s[38:39], 0x0
	s_or_b32 s6, s12, 0xc0
	s_delay_alu instid0(SALU_CYCLE_1) | instskip(SKIP_2) | instid1(SALU_CYCLE_1)
	s_ashr_i32 s7, s6, 5
	s_cmp_lt_i32 s6, s24
	s_cselect_b32 s10, s7, s3
	s_ashr_i32 s11, s10, 31
	s_delay_alu instid0(SALU_CYCLE_1) | instskip(NEXT) | instid1(SALU_CYCLE_1)
	s_lshl_b64 s[10:11], s[10:11], 2
	s_add_u32 s34, s26, s10
	s_addc_u32 s35, s25, s11
	s_or_b32 s11, s12, 0xe0
	s_delay_alu instid0(SALU_CYCLE_1) | instskip(SKIP_2) | instid1(SALU_CYCLE_1)
	s_ashr_i32 s29, s11, 5
	s_cmp_lt_i32 s11, s24
	s_cselect_b32 s36, s29, s3
	s_ashr_i32 s37, s36, 31
	s_waitcnt vmcnt(1)
	v_mad_i64_i32 v[1:2], null, v5, s17, s[4:5]
	s_waitcnt vmcnt(0)
	v_mad_i64_i32 v[3:4], null, v6, s17, s[4:5]
	s_mov_b32 s4, 0
	s_delay_alu instid0(SALU_CYCLE_1)
	s_mov_b32 s5, s4
	s_mov_b32 s6, s4
	;; [unrolled: 1-line block ×7, first 2 shown]
	s_delay_alu instid0(SALU_CYCLE_1) | instskip(SKIP_2) | instid1(VALU_DEP_3)
	v_dual_mov_b32 v108, s11 :: v_dual_lshlrev_b32 v5, 4, v66
	v_mov_b32_e32 v104, s7
	v_dual_mov_b32 v105, s8 :: v_dual_lshlrev_b32 v76, 6, v66
	v_add_co_u32 v1, vcc_lo, v1, v5
	v_add_co_ci_u32_e32 v2, vcc_lo, 0, v2, vcc_lo
	v_add_co_u32 v3, vcc_lo, v3, v5
	v_add_co_ci_u32_e32 v4, vcc_lo, 0, v4, vcc_lo
	s_clause 0x7
	global_load_b128 v[49:52], v[1:2], off
	global_load_b128 v[53:56], v[1:2], off offset:512
	global_load_b128 v[77:80], v[3:4], off offset:256
	;; [unrolled: 1-line block ×7, first 2 shown]
	v_dual_mov_b32 v102, s5 :: v_dual_lshlrev_b32 v1, 5, v66
	v_dual_mov_b32 v107, s10 :: v_dual_mov_b32 v106, s9
	v_mov_b32_e32 v103, s6
	v_mov_b32_e32 v101, s4
	s_lshl_b64 s[4:5], s[36:37], 2
	v_lshl_or_b32 v1, v65, 9, v1
	s_add_u32 s4, s26, s4
	s_addc_u32 s5, s25, s5
	s_load_b32 s3, s[34:35], 0x0
	ds_load_b128 v[109:112], v76
	ds_load_b128 v[113:116], v76 offset:1024
	s_load_b32 s4, s[4:5], 0x0
	s_add_u32 s6, s22, s27
	s_addc_u32 s7, s23, s28
	v_add_co_u32 v9, s6, s6, v1
	s_delay_alu instid0(VALU_DEP_1) | instskip(SKIP_1) | instid1(VALU_DEP_1)
	v_add_co_ci_u32_e64 v10, null, s7, 0, s6
	s_waitcnt lgkmcnt(0)
	v_mad_i64_i32 v[1:2], null, s21, s17, v[9:10]
	v_mad_i64_i32 v[3:4], null, s13, s17, v[9:10]
	;; [unrolled: 1-line block ×7, first 2 shown]
	s_clause 0x9
	global_load_b128 v[57:60], v[1:2], off
	global_load_b128 v[61:64], v[1:2], off offset:16
	global_load_b128 v[41:44], v[3:4], off
	global_load_b128 v[45:48], v[3:4], off offset:16
	;; [unrolled: 2-line block ×5, first 2 shown]
	v_mad_i64_i32 v[68:69], null, s4, s17, v[9:10]
	s_clause 0x3
	global_load_b128 v[9:12], v[13:14], off
	global_load_b128 v[13:16], v[13:14], off offset:16
	global_load_b128 v[17:20], v[21:22], off
	global_load_b128 v[21:24], v[21:22], off offset:16
	s_waitcnt vmcnt(20)
	v_wmma_f32_16x16x16_bf16 v[117:124], v[49:56], v[109:116], v[101:108]
	s_clause 0x1
	global_load_b128 v[49:52], v[68:69], off
	global_load_b128 v[53:56], v[68:69], off offset:16
	v_and_b32_e32 v68, 0xe0, v0
	v_mbcnt_lo_u32_b32 v69, -1, 0
	s_delay_alu instid0(VALU_DEP_2)
	v_add_nc_u32_e32 v68, s12, v68
	s_waitcnt vmcnt(20)
	v_wmma_f32_16x16x16_bf16 v[101:108], v[77:84], v[109:116], v[101:108]
	ds_load_b128 v[77:80], v76 offset:2048
	ds_load_b128 v[81:84], v76 offset:3072
	v_xor_b32_e32 v70, 16, v69
	s_waitcnt vmcnt(0) lgkmcnt(0)
	v_or_b32_e32 v68, v68, v74
	s_barrier
	buffer_gl0_inv
	v_cmp_gt_i32_e32 vcc_lo, 32, v70
	v_or_b32_e32 v71, 4, v68
	v_or_b32_e32 v72, 6, v68
	v_cmp_gt_i32_e64 s3, s24, v68
	v_or_b32_e32 v109, 8, v68
	s_delay_alu instid0(VALU_DEP_4) | instskip(NEXT) | instid1(VALU_DEP_4)
	v_cmp_gt_i32_e64 s4, s24, v71
	v_cmp_gt_i32_e64 s5, s24, v72
	s_delay_alu instid0(VALU_DEP_3)
	v_cmp_gt_i32_e64 s6, s24, v109
	v_wmma_f32_16x16x16_bf16 v[117:124], v[85:92], v[77:84], v[117:124]
	v_cndmask_b32_e32 v69, v69, v70, vcc_lo
	v_or_b32_e32 v70, 2, v68
	v_wmma_f32_16x16x16_bf16 v[101:108], v[93:100], v[77:84], v[101:108]
	v_or_b32_e32 v85, 10, v68
	v_dual_mul_f32 v80, s19, v124 :: v_dual_mul_f32 v93, s19, v119
	v_dual_mul_f32 v94, s19, v118 :: v_dual_mul_f32 v95, s19, v117
	s_delay_alu instid0(VALU_DEP_4) | instskip(SKIP_2) | instid1(VALU_DEP_4)
	v_mul_f32_e32 v96, s19, v108
	v_cmp_gt_i32_e32 vcc_lo, s24, v70
	v_dual_mul_f32 v83, s19, v121 :: v_dual_mul_f32 v84, s19, v120
	v_cndmask_b32_e64 v95, 0xff7fffff, v95, s3
	v_or_b32_e32 v86, 12, v68
	v_cndmask_b32_e32 v94, 0xff7fffff, v94, vcc_lo
	v_or_b32_e32 v87, 14, v68
	v_dual_mul_f32 v81, s19, v123 :: v_dual_mul_f32 v82, s19, v122
	v_cndmask_b32_e64 v93, 0xff7fffff, v93, s4
	v_cndmask_b32_e64 v72, 0xff7fffff, v84, s5
	v_max3_f32 v84, v95, 0xff7fffff, v94
	v_cmp_gt_i32_e64 s7, s24, v85
	v_or_b32_e32 v88, 16, v68
	v_or_b32_e32 v89, 18, v68
	v_cndmask_b32_e64 v83, 0xff7fffff, v83, s6
	v_max3_f32 v72, v84, v93, v72
	v_cndmask_b32_e64 v82, 0xff7fffff, v82, s7
	v_cmp_gt_i32_e64 s8, s24, v86
	v_cmp_gt_i32_e64 s9, s24, v87
	v_or_b32_e32 v90, 20, v68
	v_or_b32_e32 v91, 22, v68
	;; [unrolled: 1-line block ×6, first 2 shown]
	v_dual_mul_f32 v70, s19, v103 :: v_dual_mul_f32 v71, s19, v101
	v_mul_f32_e32 v68, s19, v102
	v_cndmask_b32_e64 v81, 0xff7fffff, v81, s8
	v_cndmask_b32_e64 v80, 0xff7fffff, v80, s9
	v_max3_f32 v72, v72, v83, v82
	v_cmp_gt_i32_e64 s10, s24, v88
	v_cmp_gt_i32_e64 s11, s24, v89
	v_dual_mul_f32 v99, s19, v105 :: v_dual_mul_f32 v100, s19, v104
	s_delay_alu instid0(VALU_DEP_4) | instskip(NEXT) | instid1(VALU_DEP_4)
	v_max3_f32 v72, v72, v81, v80
	v_cndmask_b32_e64 v71, 0xff7fffff, v71, s10
	s_delay_alu instid0(VALU_DEP_4) | instskip(SKIP_3) | instid1(VALU_DEP_4)
	v_cndmask_b32_e64 v68, 0xff7fffff, v68, s11
	v_cmp_gt_i32_e64 s12, s24, v90
	v_cmp_gt_i32_e64 s13, s24, v91
	v_dual_mul_f32 v97, s19, v107 :: v_dual_mul_f32 v98, s19, v106
	v_max3_f32 v68, v72, v71, v68
	s_delay_alu instid0(VALU_DEP_4) | instskip(NEXT) | instid1(VALU_DEP_4)
	v_cndmask_b32_e64 v70, 0xff7fffff, v70, s12
	v_cndmask_b32_e64 v80, 0xff7fffff, v100, s13
	v_cmp_gt_i32_e64 s15, s24, v92
	v_cmp_gt_i32_e64 s16, s24, v77
	;; [unrolled: 1-line block ×4, first 2 shown]
	v_max3_f32 v68, v68, v70, v80
	v_cndmask_b32_e64 v71, 0xff7fffff, v99, s15
	v_cndmask_b32_e64 v72, 0xff7fffff, v98, s16
	;; [unrolled: 1-line block ×4, first 2 shown]
	v_lshlrev_b32_e32 v90, 2, v69
	s_delay_alu instid0(VALU_DEP_4) | instskip(NEXT) | instid1(VALU_DEP_1)
	v_max3_f32 v68, v68, v71, v72
	v_max3_f32 v68, v68, v70, v77
	ds_bpermute_b32 v69, v90, v68
	s_waitcnt lgkmcnt(0)
	v_max_f32_e32 v69, v69, v69
	s_delay_alu instid0(VALU_DEP_1) | instskip(NEXT) | instid1(VALU_DEP_1)
	v_max_f32_e32 v81, v68, v69
	v_fma_f32 v68, s19, v117, -v81
	v_fma_f32 v69, s19, v118, -v81
	;; [unrolled: 1-line block ×5, first 2 shown]
	s_delay_alu instid0(VALU_DEP_4) | instskip(NEXT) | instid1(VALU_DEP_3)
	v_dual_mul_f32 v68, 0x3fb8aa3b, v68 :: v_dual_mul_f32 v69, 0x3fb8aa3b, v69
	v_dual_mul_f32 v70, 0x3fb8aa3b, v70 :: v_dual_mul_f32 v71, 0x3fb8aa3b, v71
	v_fma_f32 v78, s19, v123, -v81
	s_delay_alu instid0(VALU_DEP_3) | instskip(NEXT) | instid1(VALU_DEP_3)
	v_exp_f32_e32 v68, v68
	v_exp_f32_e32 v69, v69
	s_delay_alu instid0(VALU_DEP_2)
	v_exp_f32_e32 v70, v70
	v_mul_f32_e32 v72, 0x3fb8aa3b, v72
	v_exp_f32_e32 v71, v71
	v_mul_f32_e32 v78, 0x3fb8aa3b, v78
	v_fma_f32 v80, s19, v106, -v81
	v_cndmask_b32_e64 v82, 0, v68, s3
	s_delay_alu instid0(TRANS32_DEP_3) | instskip(SKIP_2) | instid1(TRANS32_DEP_3)
	v_cndmask_b32_e32 v77, 0, v69, vcc_lo
	v_fma_f32 v68, s19, v122, -v81
	v_exp_f32_e32 v72, v72
	v_cndmask_b32_e64 v83, 0, v70, s4
	v_add_f32_e32 v69, 0, v82
	v_fma_f32 v70, s19, v124, -v81
	v_mul_f32_e32 v68, 0x3fb8aa3b, v68
	v_cndmask_b32_e64 v85, 0, v71, s5
	v_fma_f32 v71, s19, v101, -v81
	s_delay_alu instid0(VALU_DEP_4) | instskip(NEXT) | instid1(VALU_DEP_4)
	v_dual_add_f32 v69, v69, v77 :: v_dual_mul_f32 v70, 0x3fb8aa3b, v70
	v_exp_f32_e32 v68, v68
	s_delay_alu instid0(TRANS32_DEP_2) | instskip(SKIP_1) | instid1(VALU_DEP_3)
	v_cndmask_b32_e64 v86, 0, v72, s6
	v_fma_f32 v72, s19, v102, -v81
	v_add_f32_e32 v69, v69, v83
	v_exp_f32_e32 v78, v78
	v_exp_f32_e32 v70, v70
	s_mov_b32 s3, exec_lo
	s_delay_alu instid0(VALU_DEP_1) | instskip(SKIP_1) | instid1(TRANS32_DEP_3)
	v_dual_mul_f32 v72, 0x3fb8aa3b, v72 :: v_dual_add_f32 v69, v69, v85
	v_mul_f32_e32 v71, 0x3fb8aa3b, v71
	v_cndmask_b32_e64 v87, 0, v68, s7
	s_delay_alu instid0(VALU_DEP_3) | instskip(NEXT) | instid1(VALU_DEP_3)
	v_exp_f32_e32 v72, v72
	v_add_f32_e32 v68, v69, v86
	v_fma_f32 v69, s19, v103, -v81
	v_exp_f32_e32 v71, v71
	v_cndmask_b32_e64 v84, 0, v78, s8
	v_fma_f32 v78, s19, v104, -v81
	s_delay_alu instid0(VALU_DEP_3) | instskip(SKIP_2) | instid1(VALU_DEP_3)
	v_dual_add_f32 v68, v68, v87 :: v_dual_mul_f32 v69, 0x3fb8aa3b, v69
	v_cndmask_b32_e64 v88, 0, v70, s9
	v_fma_f32 v70, s19, v105, -v81
	v_exp_f32_e32 v79, v69
	s_delay_alu instid0(TRANS32_DEP_2) | instskip(SKIP_1) | instid1(VALU_DEP_1)
	v_cndmask_b32_e64 v69, 0, v71, s10
	v_add_f32_e32 v68, v68, v84
	v_dual_mul_f32 v78, 0x3fb8aa3b, v78 :: v_dual_add_f32 v71, v68, v88
	s_delay_alu instid0(VALU_DEP_1) | instskip(SKIP_2) | instid1(VALU_DEP_3)
	v_exp_f32_e32 v78, v78
	v_cndmask_b32_e64 v68, 0, v72, s11
	v_fma_f32 v72, s19, v107, -v81
	v_dual_add_f32 v71, v71, v69 :: v_dual_mul_f32 v70, 0x3fb8aa3b, v70
	s_delay_alu instid0(VALU_DEP_1) | instskip(NEXT) | instid1(TRANS32_DEP_3)
	v_exp_f32_e32 v89, v70
	v_cndmask_b32_e64 v70, 0, v79, s12
	s_delay_alu instid0(VALU_DEP_2) | instskip(NEXT) | instid1(TRANS32_DEP_2)
	v_add_f32_e32 v79, v71, v68
	v_cndmask_b32_e64 v71, 0, v78, s13
	s_delay_alu instid0(VALU_DEP_2) | instskip(SKIP_2) | instid1(VALU_DEP_1)
	v_add_f32_e32 v78, v79, v70
	v_mul_f32_e32 v80, 0x3fb8aa3b, v80
	v_fma_f32 v79, s19, v108, -v81
	v_dual_mul_f32 v72, 0x3fb8aa3b, v72 :: v_dual_mul_f32 v79, 0x3fb8aa3b, v79
	s_delay_alu instid0(VALU_DEP_1) | instskip(NEXT) | instid1(TRANS32_DEP_2)
	v_exp_f32_e32 v91, v72
	v_cndmask_b32_e64 v72, 0, v89, s15
	v_add_f32_e32 v89, v78, v71
	v_exp_f32_e32 v80, v80
	s_waitcnt_depctr 0xfff
	v_cndmask_b32_e64 v78, 0, v80, s16
	v_add_f32_e32 v80, v89, v72
	v_exp_f32_e32 v89, v79
	v_cndmask_b32_e64 v79, 0, v91, s17
	s_delay_alu instid0(VALU_DEP_2) | instskip(NEXT) | instid1(VALU_DEP_1)
	v_add_f32_e32 v80, v80, v78
	v_add_f32_e32 v91, v80, v79
	s_waitcnt_depctr 0xfff
	v_cndmask_b32_e64 v80, 0, v89, s18
	s_delay_alu instid0(VALU_DEP_1)
	v_add_f32_e32 v89, v91, v80
	ds_bpermute_b32 v90, v90, v89
	v_cmpx_gt_u32_e32 16, v67
	s_cbranch_execz .LBB1741_12
; %bb.11:
	v_mul_u32_u24_e32 v67, 0x44, v65
	s_waitcnt lgkmcnt(0)
	v_add_f32_e32 v89, v89, v90
	s_delay_alu instid0(VALU_DEP_2) | instskip(NEXT) | instid1(VALU_DEP_1)
	v_lshl_add_u32 v67, v66, 2, v67
	v_add_nc_u32_e32 v67, 0x4000, v67
	ds_store_2addr_b32 v67, v81, v89 offset1:136
.LBB1741_12:
	s_or_b32 exec_lo, exec_lo, s3
	v_lshlrev_b32_e32 v66, 2, v66
	s_waitcnt lgkmcnt(0)
	s_barrier
	buffer_gl0_inv
	v_cmp_eq_u32_e32 vcc_lo, 1, v65
	v_add_nc_u32_e32 v81, 0x4000, v66
	v_cmp_eq_u32_e64 s3, 2, v65
	v_cmp_eq_u32_e64 s5, 7, v65
	ds_load_2addr_b32 v[89:90], v81 offset1:17
	ds_load_2addr_b32 v[91:92], v81 offset0:34 offset1:51
	ds_load_2addr_b32 v[93:94], v81 offset0:68 offset1:85
	ds_load_2addr_b32 v[95:96], v81 offset0:102 offset1:119
	ds_load_2addr_b32 v[97:98], v81 offset0:136 offset1:153
	s_waitcnt lgkmcnt(4)
	v_max3_f32 v66, v89, 0xff7fffff, v90
	s_waitcnt lgkmcnt(3)
	s_delay_alu instid0(VALU_DEP_1) | instskip(SKIP_1) | instid1(VALU_DEP_1)
	v_max3_f32 v66, v66, v91, v92
	s_waitcnt lgkmcnt(2)
	v_max3_f32 v66, v66, v93, v94
	s_waitcnt lgkmcnt(1)
	s_delay_alu instid0(VALU_DEP_1) | instskip(NEXT) | instid1(VALU_DEP_1)
	v_max3_f32 v66, v66, v95, v96
	v_sub_f32_e32 v67, v89, v66
	v_sub_f32_e32 v91, v91, v66
	;; [unrolled: 1-line block ×3, first 2 shown]
	s_delay_alu instid0(VALU_DEP_3) | instskip(NEXT) | instid1(VALU_DEP_3)
	v_mul_f32_e32 v67, 0x3fb8aa3b, v67
	v_mul_f32_e32 v101, 0x3fb8aa3b, v91
	s_delay_alu instid0(VALU_DEP_3) | instskip(NEXT) | instid1(VALU_DEP_3)
	v_mul_f32_e32 v103, 0x3fb8aa3b, v93
	v_exp_f32_e32 v100, v67
	v_sub_f32_e32 v67, v92, v66
	v_sub_f32_e32 v99, v90, v66
	ds_load_2addr_b32 v[89:90], v81 offset0:170 offset1:187
	ds_load_2addr_b32 v[91:92], v81 offset0:204 offset1:221
	v_exp_f32_e32 v101, v101
	v_mul_f32_e32 v102, 0x3fb8aa3b, v67
	v_mul_f32_e32 v99, 0x3fb8aa3b, v99
	s_waitcnt lgkmcnt(2)
	v_fma_f32 v67, v100, v97, 0
	v_sub_f32_e32 v97, v94, v66
	s_delay_alu instid0(VALU_DEP_3)
	v_exp_f32_e32 v99, v99
	v_exp_f32_e32 v102, v102
	ds_load_2addr_b32 v[93:94], v81 offset0:238 offset1:255
	v_sub_f32_e32 v81, v95, v66
	v_mul_f32_e32 v95, 0x3fb8aa3b, v97
	v_exp_f32_e32 v97, v103
	s_waitcnt lgkmcnt(0)
	s_barrier
	v_mul_f32_e32 v81, 0x3fb8aa3b, v81
	v_exp_f32_e32 v95, v95
	v_fmac_f32_e32 v67, v99, v98
	buffer_gl0_inv
	v_exp_f32_e32 v81, v81
	v_fmac_f32_e32 v67, v101, v89
	v_sub_f32_e32 v89, v96, v66
	s_delay_alu instid0(VALU_DEP_2) | instskip(NEXT) | instid1(VALU_DEP_2)
	v_fmac_f32_e32 v67, v102, v90
	v_mul_f32_e32 v89, 0x3fb8aa3b, v89
	s_delay_alu instid0(VALU_DEP_2) | instskip(NEXT) | instid1(VALU_DEP_2)
	v_fmac_f32_e32 v67, v97, v91
	v_exp_f32_e32 v89, v89
	s_delay_alu instid0(VALU_DEP_1)
	v_fmac_f32_e32 v67, v95, v92
	s_delay_alu instid0(TRANS32_DEP_2) | instid1(VALU_DEP_1)
	v_fmac_f32_e32 v67, v81, v93
	s_waitcnt_depctr 0xfff
	v_fmac_f32_e32 v67, v89, v94
	s_delay_alu instid0(VALU_DEP_1) | instskip(NEXT) | instid1(VALU_DEP_1)
	v_add_f32_e32 v90, 0x358637bd, v67
	v_div_scale_f32 v91, null, v90, v90, 1.0
	v_div_scale_f32 v94, s4, 1.0, v90, 1.0
	s_delay_alu instid0(VALU_DEP_2) | instskip(SKIP_2) | instid1(VALU_DEP_1)
	v_rcp_f32_e32 v92, v91
	s_waitcnt_depctr 0xfff
	v_fma_f32 v93, -v91, v92, 1.0
	v_dual_fmac_f32 v92, v93, v92 :: v_dual_cndmask_b32 v93, v100, v99
	v_cmp_eq_u32_e32 vcc_lo, 3, v65
	s_delay_alu instid0(VALU_DEP_2) | instskip(NEXT) | instid1(VALU_DEP_3)
	v_mul_f32_e32 v96, v94, v92
	v_cndmask_b32_e64 v93, v93, v101, s3
	v_cmp_eq_u32_e64 s3, 4, v65
	s_delay_alu instid0(VALU_DEP_3) | instskip(NEXT) | instid1(VALU_DEP_3)
	v_fma_f32 v98, -v91, v96, v94
	v_cndmask_b32_e32 v93, v93, v102, vcc_lo
	v_cmp_eq_u32_e32 vcc_lo, 5, v65
	s_delay_alu instid0(VALU_DEP_3) | instskip(NEXT) | instid1(VALU_DEP_3)
	v_fmac_f32_e32 v96, v98, v92
	v_cndmask_b32_e64 v93, v93, v97, s3
	v_cmp_eq_u32_e64 s3, 6, v65
	s_delay_alu instid0(VALU_DEP_3) | instskip(NEXT) | instid1(VALU_DEP_3)
	v_fma_f32 v91, -v91, v96, v94
	v_cndmask_b32_e32 v93, v93, v95, vcc_lo
	s_mov_b32 vcc_lo, s4
	s_delay_alu instid0(VALU_DEP_2) | instskip(NEXT) | instid1(VALU_DEP_2)
	v_div_fmas_f32 v91, v91, v92, v96
	v_cndmask_b32_e64 v81, v93, v81, s3
	s_mov_b32 s3, exec_lo
	s_delay_alu instid0(VALU_DEP_2) | instskip(NEXT) | instid1(VALU_DEP_2)
	v_div_fixup_f32 v90, v91, v90, 1.0
	v_cndmask_b32_e64 v81, v81, v89, s5
	s_delay_alu instid0(VALU_DEP_1) | instskip(NEXT) | instid1(VALU_DEP_1)
	v_mul_f32_e32 v81, v81, v90
	v_mul_f32_e32 v90, v81, v82
	;; [unrolled: 1-line block ×6, first 2 shown]
	v_dual_mul_f32 v86, v81, v83 :: v_dual_and_b32 v91, 0x7f800000, v90
	v_mul_f32_e32 v89, v81, v85
	v_mul_f32_e32 v85, v81, v77
                                        ; implicit-def: $vgpr77
	s_delay_alu instid0(VALU_DEP_3)
	v_cmpx_ne_u32_e32 0x7f800000, v91
	s_xor_b32 s3, exec_lo, s3
; %bb.13:
	v_bfe_u32 v77, v90, 16, 1
	s_delay_alu instid0(VALU_DEP_1)
	v_add3_u32 v77, v90, v77, 0x7fff
                                        ; implicit-def: $vgpr90
; %bb.14:
	s_and_not1_saveexec_b32 s3, s3
; %bb.15:
	v_and_b32_e32 v77, 0xffff, v90
	v_or_b32_e32 v83, 0x10000, v90
	s_delay_alu instid0(VALU_DEP_2) | instskip(NEXT) | instid1(VALU_DEP_2)
	v_cmp_eq_u32_e32 vcc_lo, 0, v77
	v_cndmask_b32_e32 v77, v83, v90, vcc_lo
; %bb.16:
	s_or_b32 exec_lo, exec_lo, s3
	v_and_b32_e32 v83, 0x7f800000, v85
	s_delay_alu instid0(VALU_DEP_1) | instskip(SKIP_1) | instid1(SALU_CYCLE_1)
	v_cmp_ne_u32_e32 vcc_lo, 0x7f800000, v83
                                        ; implicit-def: $vgpr83
	s_and_saveexec_b32 s3, vcc_lo
	s_xor_b32 s3, exec_lo, s3
; %bb.17:
	v_bfe_u32 v83, v85, 16, 1
	s_delay_alu instid0(VALU_DEP_1)
	v_add3_u32 v83, v85, v83, 0x7fff
                                        ; implicit-def: $vgpr85
; %bb.18:
	s_and_not1_saveexec_b32 s3, s3
; %bb.19:
	v_and_b32_e32 v83, 0xffff, v85
	v_or_b32_e32 v90, 0x10000, v85
	s_delay_alu instid0(VALU_DEP_2) | instskip(NEXT) | instid1(VALU_DEP_2)
	v_cmp_eq_u32_e32 vcc_lo, 0, v83
	v_cndmask_b32_e32 v83, v90, v85, vcc_lo
; %bb.20:
	s_or_b32 exec_lo, exec_lo, s3
	v_and_b32_e32 v85, 0x7f800000, v86
	s_delay_alu instid0(VALU_DEP_1) | instskip(SKIP_1) | instid1(SALU_CYCLE_1)
	v_cmp_ne_u32_e32 vcc_lo, 0x7f800000, v85
                                        ; implicit-def: $vgpr85
	s_and_saveexec_b32 s3, vcc_lo
	s_xor_b32 s3, exec_lo, s3
; %bb.21:
	v_bfe_u32 v85, v86, 16, 1
	s_delay_alu instid0(VALU_DEP_1)
	v_add3_u32 v85, v86, v85, 0x7fff
                                        ; implicit-def: $vgpr86
; %bb.22:
	s_and_not1_saveexec_b32 s3, s3
; %bb.23:
	v_and_b32_e32 v85, 0xffff, v86
	v_or_b32_e32 v90, 0x10000, v86
	s_delay_alu instid0(VALU_DEP_2) | instskip(NEXT) | instid1(VALU_DEP_2)
	v_cmp_eq_u32_e32 vcc_lo, 0, v85
	v_cndmask_b32_e32 v85, v90, v86, vcc_lo
; %bb.24:
	s_or_b32 exec_lo, exec_lo, s3
	v_and_b32_e32 v86, 0x7f800000, v89
	s_delay_alu instid0(VALU_DEP_1) | instskip(SKIP_1) | instid1(SALU_CYCLE_1)
	v_cmp_ne_u32_e32 vcc_lo, 0x7f800000, v86
                                        ; implicit-def: $vgpr86
	s_and_saveexec_b32 s3, vcc_lo
	s_xor_b32 s3, exec_lo, s3
; %bb.25:
	v_bfe_u32 v86, v89, 16, 1
	s_delay_alu instid0(VALU_DEP_1)
	v_add3_u32 v86, v89, v86, 0x7fff
                                        ; implicit-def: $vgpr89
; %bb.26:
	s_and_not1_saveexec_b32 s3, s3
; %bb.27:
	v_and_b32_e32 v86, 0xffff, v89
	v_or_b32_e32 v90, 0x10000, v89
	s_delay_alu instid0(VALU_DEP_2) | instskip(NEXT) | instid1(VALU_DEP_2)
	v_cmp_eq_u32_e32 vcc_lo, 0, v86
	v_cndmask_b32_e32 v86, v90, v89, vcc_lo
; %bb.28:
	s_or_b32 exec_lo, exec_lo, s3
	v_and_b32_e32 v89, 0x7f800000, v88
	s_delay_alu instid0(VALU_DEP_1) | instskip(SKIP_1) | instid1(SALU_CYCLE_1)
	v_cmp_ne_u32_e32 vcc_lo, 0x7f800000, v89
                                        ; implicit-def: $vgpr89
	s_and_saveexec_b32 s3, vcc_lo
	s_xor_b32 s3, exec_lo, s3
; %bb.29:
	v_bfe_u32 v89, v88, 16, 1
	s_delay_alu instid0(VALU_DEP_1)
	v_add3_u32 v89, v88, v89, 0x7fff
                                        ; implicit-def: $vgpr88
; %bb.30:
	s_and_not1_saveexec_b32 s3, s3
; %bb.31:
	v_and_b32_e32 v89, 0xffff, v88
	v_or_b32_e32 v90, 0x10000, v88
	s_delay_alu instid0(VALU_DEP_2) | instskip(NEXT) | instid1(VALU_DEP_2)
	v_cmp_eq_u32_e32 vcc_lo, 0, v89
	v_cndmask_b32_e32 v89, v90, v88, vcc_lo
; %bb.32:
	s_or_b32 exec_lo, exec_lo, s3
	v_and_b32_e32 v88, 0x7f800000, v87
	s_delay_alu instid0(VALU_DEP_1) | instskip(SKIP_1) | instid1(SALU_CYCLE_1)
	v_cmp_ne_u32_e32 vcc_lo, 0x7f800000, v88
                                        ; implicit-def: $vgpr88
	s_and_saveexec_b32 s3, vcc_lo
	s_xor_b32 s3, exec_lo, s3
; %bb.33:
	v_bfe_u32 v88, v87, 16, 1
	s_delay_alu instid0(VALU_DEP_1)
	v_add3_u32 v88, v87, v88, 0x7fff
                                        ; implicit-def: $vgpr87
; %bb.34:
	s_and_not1_saveexec_b32 s3, s3
; %bb.35:
	v_and_b32_e32 v88, 0xffff, v87
	v_or_b32_e32 v90, 0x10000, v87
	s_delay_alu instid0(VALU_DEP_2) | instskip(NEXT) | instid1(VALU_DEP_2)
	v_cmp_eq_u32_e32 vcc_lo, 0, v88
	v_cndmask_b32_e32 v88, v90, v87, vcc_lo
; %bb.36:
	s_or_b32 exec_lo, exec_lo, s3
	v_and_b32_e32 v87, 0x7f800000, v84
	s_delay_alu instid0(VALU_DEP_1) | instskip(SKIP_1) | instid1(SALU_CYCLE_1)
	v_cmp_ne_u32_e32 vcc_lo, 0x7f800000, v87
                                        ; implicit-def: $vgpr87
	s_and_saveexec_b32 s3, vcc_lo
	s_xor_b32 s3, exec_lo, s3
; %bb.37:
	v_bfe_u32 v87, v84, 16, 1
	s_delay_alu instid0(VALU_DEP_1)
	v_add3_u32 v87, v84, v87, 0x7fff
                                        ; implicit-def: $vgpr84
; %bb.38:
	s_and_not1_saveexec_b32 s3, s3
; %bb.39:
	v_and_b32_e32 v87, 0xffff, v84
	v_or_b32_e32 v90, 0x10000, v84
	s_delay_alu instid0(VALU_DEP_2) | instskip(NEXT) | instid1(VALU_DEP_2)
	v_cmp_eq_u32_e32 vcc_lo, 0, v87
	v_cndmask_b32_e32 v87, v90, v84, vcc_lo
; %bb.40:
	s_or_b32 exec_lo, exec_lo, s3
	v_and_b32_e32 v84, 0x7f800000, v82
	s_delay_alu instid0(VALU_DEP_1) | instskip(SKIP_1) | instid1(SALU_CYCLE_1)
	v_cmp_ne_u32_e32 vcc_lo, 0x7f800000, v84
                                        ; implicit-def: $vgpr84
	s_and_saveexec_b32 s3, vcc_lo
	s_xor_b32 s3, exec_lo, s3
; %bb.41:
	v_bfe_u32 v84, v82, 16, 1
	s_delay_alu instid0(VALU_DEP_1)
	v_add3_u32 v84, v82, v84, 0x7fff
                                        ; implicit-def: $vgpr82
; %bb.42:
	s_and_not1_saveexec_b32 s3, s3
; %bb.43:
	v_and_b32_e32 v84, 0xffff, v82
	v_or_b32_e32 v90, 0x10000, v82
	s_delay_alu instid0(VALU_DEP_2) | instskip(NEXT) | instid1(VALU_DEP_2)
	v_cmp_eq_u32_e32 vcc_lo, 0, v84
	v_cndmask_b32_e32 v84, v90, v82, vcc_lo
; %bb.44:
	s_or_b32 exec_lo, exec_lo, s3
	s_load_b64 s[34:35], s[0:1], 0x94
	v_lshlrev_b32_e32 v82, 4, v74
	s_delay_alu instid0(VALU_DEP_2)
	v_perm_b32 v90, v84, v87, 0x7060302
	v_lshlrev_b32_e32 v84, 11, v65
	v_perm_b32 v87, v83, v77, 0x7060302
	v_mul_f32_e32 v83, v81, v69
	v_mul_f32_e32 v69, v81, v80
	v_perm_b32 v89, v88, v89, 0x7060302
	v_perm_b32 v88, v86, v85, 0x7060302
	v_or3_b32 v77, v82, v84, v76
	v_mul_f32_e32 v79, v81, v79
	v_mul_f32_e32 v78, v81, v78
	v_and_b32_e32 v84, 0x7f800000, v83
	v_mul_f32_e32 v72, v81, v72
	v_mul_f32_e32 v82, v81, v71
	;; [unrolled: 1-line block ×4, first 2 shown]
	s_mov_b32 s3, exec_lo
	ds_store_b128 v77, v[87:90]
                                        ; implicit-def: $vgpr68
	v_cmpx_ne_u32_e32 0x7f800000, v84
	s_xor_b32 s3, exec_lo, s3
; %bb.45:
	v_bfe_u32 v68, v83, 16, 1
	s_delay_alu instid0(VALU_DEP_1)
	v_add3_u32 v68, v83, v68, 0x7fff
                                        ; implicit-def: $vgpr83
; %bb.46:
	s_and_not1_saveexec_b32 s3, s3
; %bb.47:
	v_and_b32_e32 v68, 0xffff, v83
	v_or_b32_e32 v70, 0x10000, v83
	s_delay_alu instid0(VALU_DEP_2) | instskip(NEXT) | instid1(VALU_DEP_2)
	v_cmp_eq_u32_e32 vcc_lo, 0, v68
	v_cndmask_b32_e32 v68, v70, v83, vcc_lo
; %bb.48:
	s_or_b32 exec_lo, exec_lo, s3
	v_and_b32_e32 v70, 0x7f800000, v71
	s_delay_alu instid0(VALU_DEP_1) | instskip(SKIP_1) | instid1(SALU_CYCLE_1)
	v_cmp_ne_u32_e32 vcc_lo, 0x7f800000, v70
                                        ; implicit-def: $vgpr70
	s_and_saveexec_b32 s3, vcc_lo
	s_xor_b32 s3, exec_lo, s3
; %bb.49:
	v_bfe_u32 v70, v71, 16, 1
	s_delay_alu instid0(VALU_DEP_1)
	v_add3_u32 v70, v71, v70, 0x7fff
                                        ; implicit-def: $vgpr71
; %bb.50:
	s_and_not1_saveexec_b32 s3, s3
; %bb.51:
	v_and_b32_e32 v70, 0xffff, v71
	v_or_b32_e32 v81, 0x10000, v71
	s_delay_alu instid0(VALU_DEP_2) | instskip(NEXT) | instid1(VALU_DEP_2)
	v_cmp_eq_u32_e32 vcc_lo, 0, v70
	v_cndmask_b32_e32 v70, v81, v71, vcc_lo
; %bb.52:
	s_or_b32 exec_lo, exec_lo, s3
	v_and_b32_e32 v71, 0x7f800000, v80
	s_delay_alu instid0(VALU_DEP_1) | instskip(SKIP_1) | instid1(SALU_CYCLE_1)
	v_cmp_ne_u32_e32 vcc_lo, 0x7f800000, v71
                                        ; implicit-def: $vgpr71
	s_and_saveexec_b32 s3, vcc_lo
	s_xor_b32 s3, exec_lo, s3
; %bb.53:
	v_bfe_u32 v71, v80, 16, 1
	s_delay_alu instid0(VALU_DEP_1)
	v_add3_u32 v71, v80, v71, 0x7fff
                                        ; implicit-def: $vgpr80
; %bb.54:
	s_and_not1_saveexec_b32 s3, s3
; %bb.55:
	v_and_b32_e32 v71, 0xffff, v80
	v_or_b32_e32 v81, 0x10000, v80
	s_delay_alu instid0(VALU_DEP_2) | instskip(NEXT) | instid1(VALU_DEP_2)
	v_cmp_eq_u32_e32 vcc_lo, 0, v71
	v_cndmask_b32_e32 v71, v81, v80, vcc_lo
; %bb.56:
	s_or_b32 exec_lo, exec_lo, s3
	v_and_b32_e32 v80, 0x7f800000, v82
	s_delay_alu instid0(VALU_DEP_1) | instskip(SKIP_1) | instid1(SALU_CYCLE_1)
	v_cmp_ne_u32_e32 vcc_lo, 0x7f800000, v80
                                        ; implicit-def: $vgpr80
	s_and_saveexec_b32 s3, vcc_lo
	s_xor_b32 s3, exec_lo, s3
; %bb.57:
	v_bfe_u32 v80, v82, 16, 1
	s_delay_alu instid0(VALU_DEP_1)
	v_add3_u32 v80, v82, v80, 0x7fff
                                        ; implicit-def: $vgpr82
; %bb.58:
	s_and_not1_saveexec_b32 s3, s3
; %bb.59:
	v_and_b32_e32 v80, 0xffff, v82
	v_or_b32_e32 v81, 0x10000, v82
	s_delay_alu instid0(VALU_DEP_2) | instskip(NEXT) | instid1(VALU_DEP_2)
	v_cmp_eq_u32_e32 vcc_lo, 0, v80
	v_cndmask_b32_e32 v80, v81, v82, vcc_lo
; %bb.60:
	s_or_b32 exec_lo, exec_lo, s3
	v_and_b32_e32 v81, 0x7f800000, v72
	s_delay_alu instid0(VALU_DEP_1) | instskip(SKIP_1) | instid1(SALU_CYCLE_1)
	v_cmp_ne_u32_e32 vcc_lo, 0x7f800000, v81
                                        ; implicit-def: $vgpr81
	s_and_saveexec_b32 s3, vcc_lo
	s_xor_b32 s3, exec_lo, s3
; %bb.61:
	v_bfe_u32 v81, v72, 16, 1
	s_delay_alu instid0(VALU_DEP_1)
	v_add3_u32 v81, v72, v81, 0x7fff
                                        ; implicit-def: $vgpr72
; %bb.62:
	s_and_not1_saveexec_b32 s3, s3
; %bb.63:
	v_and_b32_e32 v81, 0xffff, v72
	v_or_b32_e32 v82, 0x10000, v72
	s_delay_alu instid0(VALU_DEP_2) | instskip(NEXT) | instid1(VALU_DEP_2)
	v_cmp_eq_u32_e32 vcc_lo, 0, v81
	v_cndmask_b32_e32 v81, v82, v72, vcc_lo
; %bb.64:
	s_or_b32 exec_lo, exec_lo, s3
	v_and_b32_e32 v72, 0x7f800000, v78
	s_delay_alu instid0(VALU_DEP_1) | instskip(SKIP_1) | instid1(SALU_CYCLE_1)
	v_cmp_ne_u32_e32 vcc_lo, 0x7f800000, v72
                                        ; implicit-def: $vgpr72
	s_and_saveexec_b32 s3, vcc_lo
	s_xor_b32 s3, exec_lo, s3
; %bb.65:
	v_bfe_u32 v72, v78, 16, 1
	s_delay_alu instid0(VALU_DEP_1)
	v_add3_u32 v72, v78, v72, 0x7fff
                                        ; implicit-def: $vgpr78
; %bb.66:
	s_and_not1_saveexec_b32 s3, s3
; %bb.67:
	v_and_b32_e32 v72, 0xffff, v78
	v_or_b32_e32 v82, 0x10000, v78
	s_delay_alu instid0(VALU_DEP_2) | instskip(NEXT) | instid1(VALU_DEP_2)
	v_cmp_eq_u32_e32 vcc_lo, 0, v72
	v_cndmask_b32_e32 v72, v82, v78, vcc_lo
; %bb.68:
	s_or_b32 exec_lo, exec_lo, s3
	v_and_b32_e32 v78, 0x7f800000, v79
	s_delay_alu instid0(VALU_DEP_1) | instskip(SKIP_1) | instid1(SALU_CYCLE_1)
	v_cmp_ne_u32_e32 vcc_lo, 0x7f800000, v78
                                        ; implicit-def: $vgpr78
	s_and_saveexec_b32 s3, vcc_lo
	s_xor_b32 s3, exec_lo, s3
; %bb.69:
	v_bfe_u32 v78, v79, 16, 1
	s_delay_alu instid0(VALU_DEP_1)
	v_add3_u32 v78, v79, v78, 0x7fff
                                        ; implicit-def: $vgpr79
; %bb.70:
	s_and_not1_saveexec_b32 s3, s3
; %bb.71:
	v_and_b32_e32 v78, 0xffff, v79
	v_or_b32_e32 v82, 0x10000, v79
	s_delay_alu instid0(VALU_DEP_2) | instskip(NEXT) | instid1(VALU_DEP_2)
	v_cmp_eq_u32_e32 vcc_lo, 0, v78
	v_cndmask_b32_e32 v78, v82, v79, vcc_lo
; %bb.72:
	s_or_b32 exec_lo, exec_lo, s3
	v_and_b32_e32 v79, 0x7f800000, v69
	s_delay_alu instid0(VALU_DEP_1) | instskip(SKIP_1) | instid1(SALU_CYCLE_1)
	v_cmp_ne_u32_e32 vcc_lo, 0x7f800000, v79
                                        ; implicit-def: $vgpr79
	s_and_saveexec_b32 s3, vcc_lo
	s_xor_b32 s3, exec_lo, s3
; %bb.73:
	v_bfe_u32 v79, v69, 16, 1
	s_delay_alu instid0(VALU_DEP_1)
	v_add3_u32 v79, v69, v79, 0x7fff
                                        ; implicit-def: $vgpr69
; %bb.74:
	s_and_not1_saveexec_b32 s3, s3
; %bb.75:
	v_and_b32_e32 v79, 0xffff, v69
	v_or_b32_e32 v82, 0x10000, v69
	s_delay_alu instid0(VALU_DEP_2) | instskip(NEXT) | instid1(VALU_DEP_2)
	v_cmp_eq_u32_e32 vcc_lo, 0, v79
	v_cndmask_b32_e32 v79, v82, v69, vcc_lo
; %bb.76:
	s_or_b32 exec_lo, exec_lo, s3
	s_delay_alu instid0(VALU_DEP_1)
	v_perm_b32 v86, v79, v78, 0x7060302
	v_perm_b32 v85, v72, v81, 0x7060302
	;; [unrolled: 1-line block ×4, first 2 shown]
	v_lshl_or_b32 v82, v65, 11, v76
	v_lshlrev_b32_e32 v79, 2, v74
	ds_store_b128 v77, v[83:86] offset:1024
	s_waitcnt lgkmcnt(0)
	s_barrier
	buffer_gl0_inv
	ds_load_b128 v[68:71], v82
	ds_load_b128 v[83:86], v82 offset:16
	v_or_b32_e32 v80, 1, v79
	v_cmp_eq_u32_e32 vcc_lo, 1, v79
	v_cmp_eq_u32_e64 s4, 2, v79
	v_cmp_eq_u32_e64 s7, 3, v79
	;; [unrolled: 1-line block ×6, first 2 shown]
	v_or_b32_e32 v78, 2, v79
	v_cmp_eq_u32_e64 s10, 5, v79
	v_cmp_eq_u32_e64 s11, 4, v80
	;; [unrolled: 1-line block ×9, first 2 shown]
	s_waitcnt lgkmcnt(1)
	v_lshrrev_b32_e32 v65, 16, v68
	s_waitcnt lgkmcnt(0)
	v_lshrrev_b32_e32 v91, 16, v83
	v_lshrrev_b32_e32 v72, 16, v69
	;; [unrolled: 1-line block ×4, first 2 shown]
	v_cndmask_b32_e32 v81, v68, v65, vcc_lo
	v_cndmask_b32_e32 v87, v83, v91, vcc_lo
	v_cndmask_b32_e64 v88, v68, v65, s3
	v_lshrrev_b32_e32 v98, 16, v85
	v_cndmask_b32_e64 v89, v83, v91, s3
	v_cndmask_b32_e64 v81, v81, v69, s4
	v_cndmask_b32_e64 v87, v87, v84, s4
	v_cndmask_b32_e64 v88, v88, v69, s6
	v_lshrrev_b32_e32 v96, 16, v71
	v_cndmask_b32_e64 v89, v89, v84, s6
	v_cndmask_b32_e64 v81, v81, v72, s7
	v_cndmask_b32_e64 v87, v87, v97, s7
	;; [unrolled: 5-line block ×3, first 2 shown]
	v_cndmask_b32_e64 v88, v88, v70, s11
	v_cndmask_b32_e64 v89, v89, v97, s8
	v_cmp_eq_u32_e64 s19, 3, v78
	v_cndmask_b32_e64 v81, v81, v95, s10
	v_cndmask_b32_e64 v87, v87, v98, s10
	;; [unrolled: 1-line block ×4, first 2 shown]
	v_cmp_eq_u32_e64 s20, 4, v78
	v_cndmask_b32_e64 v81, v81, v71, s12
	v_cndmask_b32_e64 v87, v87, v86, s12
	;; [unrolled: 1-line block ×3, first 2 shown]
	v_cmp_eq_u32_e64 s22, 5, v78
	v_cmp_eq_u32_e64 s24, 6, v78
	v_cndmask_b32_e64 v100, v81, v96, s15
	v_cndmask_b32_e64 v101, v87, v99, s15
	;; [unrolled: 1-line block ×6, first 2 shown]
	v_cmp_eq_u32_e64 s27, 7, v78
	v_cndmask_b32_e64 v89, v81, v72, s19
	v_cndmask_b32_e64 v87, v87, v84, s17
	v_or_b32_e32 v81, 3, v79
	v_cndmask_b32_e64 v103, v88, v86, s16
	s_delay_alu instid0(VALU_DEP_4) | instskip(NEXT) | instid1(VALU_DEP_4)
	v_cndmask_b32_e64 v92, v89, v70, s20
	v_cndmask_b32_e64 v93, v87, v97, s19
	s_delay_alu instid0(VALU_DEP_4)
	v_cmp_eq_u32_e64 s21, 1, v81
	ds_load_b128 v[87:90], v82 offset:1024
	v_cmp_eq_u32_e64 s23, 2, v81
	v_cndmask_b32_e64 v104, v92, v95, s22
	v_cmp_eq_u32_e64 s25, 3, v81
	v_cndmask_b32_e64 v65, v68, v65, s21
	v_cndmask_b32_e64 v68, v93, v85, s20
	v_cndmask_b32_e64 v83, v83, v91, s21
	ds_load_b128 v[91:94], v82 offset:1040
	v_cmp_eq_u32_e64 s26, 4, v81
	v_cndmask_b32_e64 v65, v65, v69, s23
	v_cmp_eq_u32_e64 s28, 5, v81
	v_cndmask_b32_e64 v69, v83, v84, s23
	;; [unrolled: 2-line block ×3, first 2 shown]
	v_cndmask_b32_e64 v65, v65, v72, s25
	v_cndmask_b32_e64 v72, v104, v71, s24
	;; [unrolled: 1-line block ×6, first 2 shown]
	s_waitcnt lgkmcnt(1)
	v_lshrrev_b32_e32 v84, 16, v87
	v_cndmask_b32_e64 v69, v69, v85, s26
	v_cndmask_b32_e64 v70, v72, v96, s27
	;; [unrolled: 1-line block ×4, first 2 shown]
	v_cndmask_b32_e32 v72, v87, v84, vcc_lo
	v_cndmask_b32_e64 v69, v69, v98, s28
	s_waitcnt lgkmcnt(0)
	v_lshrrev_b32_e32 v85, 16, v91
	v_lshrrev_b32_e32 v95, 16, v88
	v_cndmask_b32_e64 v97, v87, v84, s3
	v_cndmask_b32_e64 v72, v72, v88, s4
	;; [unrolled: 1-line block ×3, first 2 shown]
	v_cndmask_b32_e32 v98, v91, v85, vcc_lo
	v_cmp_eq_u32_e32 vcc_lo, 7, v81
	v_cndmask_b32_e64 v69, v69, v86, s29
	v_cndmask_b32_e64 v71, v72, v95, s7
	;; [unrolled: 1-line block ×3, first 2 shown]
	v_lshrrev_b32_e32 v97, 16, v92
	v_cndmask_b32_e32 v65, v65, v96, vcc_lo
	v_cndmask_b32_e64 v86, v98, v92, s4
	v_cndmask_b32_e32 v69, v69, v99, vcc_lo
	v_lshrrev_b32_e32 v99, 16, v93
	v_cndmask_b32_e64 v71, v71, v89, s9
	v_lshrrev_b32_e32 v98, 16, v89
	v_cndmask_b32_e64 v86, v86, v97, s7
	v_perm_b32 v70, v68, v70, 0x5040100
	v_cndmask_b32_e64 v72, v72, v95, s8
	s_delay_alu instid0(VALU_DEP_4) | instskip(NEXT) | instid1(VALU_DEP_4)
	v_cndmask_b32_e64 v96, v71, v98, s10
	v_cndmask_b32_e64 v86, v86, v93, s9
	v_perm_b32 v71, v69, v65, 0x5040100
	v_perm_b32 v69, v83, v102, 0x5040100
	v_cndmask_b32_e64 v102, v91, v85, s5
	v_cndmask_b32_e64 v72, v72, v89, s11
	;; [unrolled: 1-line block ×3, first 2 shown]
	v_lshrrev_b32_e32 v83, 16, v94
	s_delay_alu instid0(VALU_DEP_3) | instskip(NEXT) | instid1(VALU_DEP_3)
	v_cndmask_b32_e64 v65, v72, v98, s13
	v_cndmask_b32_e64 v68, v86, v94, s12
	v_cndmask_b32_e64 v86, v87, v84, s5
	v_cndmask_b32_e64 v84, v87, v84, s21
	v_cndmask_b32_e64 v87, v91, v85, s21
	v_cndmask_b32_e64 v85, v91, v85, s3
	v_cndmask_b32_e64 v72, v96, v90, s12
	v_cndmask_b32_e64 v86, v86, v88, s17
	v_cndmask_b32_e64 v84, v84, v88, s23
	v_cndmask_b32_e64 v87, v87, v92, s23
	v_cndmask_b32_e64 v88, v102, v92, s17
	v_cndmask_b32_e64 v85, v85, v92, s6
	v_cndmask_b32_e64 v86, v86, v95, s19
	v_cndmask_b32_e64 v84, v84, v95, s25
	v_cndmask_b32_e64 v87, v87, v97, s25
	v_cndmask_b32_e64 v88, v88, v97, s19
	v_cndmask_b32_e64 v85, v85, v97, s8
	v_cndmask_b32_e64 v86, v86, v89, s20
	v_cndmask_b32_e64 v84, v84, v89, s26
	v_cndmask_b32_e64 v87, v87, v93, s26
	v_cndmask_b32_e64 v88, v88, v93, s20
	v_cndmask_b32_e64 v85, v85, v93, s11
	v_cndmask_b32_e64 v86, v86, v98, s22
	v_cndmask_b32_e64 v84, v84, v98, s28
	v_cndmask_b32_e64 v87, v87, v99, s28
	v_cndmask_b32_e64 v88, v88, v99, s22
	v_cndmask_b32_e64 v85, v85, v99, s13
	v_lshrrev_b32_e32 v96, 16, v90
	v_cndmask_b32_e64 v65, v65, v90, s16
	v_cndmask_b32_e64 v86, v86, v90, s24
	;; [unrolled: 1-line block ×9, first 2 shown]
	v_cndmask_b32_e32 v84, v84, v96, vcc_lo
	v_cndmask_b32_e32 v86, v87, v83, vcc_lo
	v_cndmask_b32_e64 v87, v88, v83, s27
	v_cndmask_b32_e64 v88, v85, v83, s18
	;; [unrolled: 1-line block ×3, first 2 shown]
	v_perm_b32 v68, v101, v100, 0x5040100
	v_perm_b32 v86, v86, v84, 0x5040100
	;; [unrolled: 1-line block ×5, first 2 shown]
	s_lshl_b32 s8, s35, 4
	s_mov_b32 s3, exec_lo
	ds_store_b128 v77, v[68:71]
	ds_store_b128 v77, v[83:86] offset:1024
	v_cmpx_gt_u32_e32 16, v0
	s_cbranch_execz .LBB1741_78
; %bb.77:
	v_or_b32_e32 v65, s31, v0
	s_load_b128 s[4:7], s[0:1], 0x58
	s_delay_alu instid0(VALU_DEP_1) | instskip(NEXT) | instid1(VALU_DEP_1)
	v_mad_u64_u32 v[68:69], null, s8, s30, v[65:66]
	v_mad_u64_u32 v[69:70], null, v68, s34, s[14:15]
	s_delay_alu instid0(VALU_DEP_1) | instskip(NEXT) | instid1(VALU_DEP_1)
	v_ashrrev_i32_e32 v70, 31, v69
	v_lshlrev_b64 v[68:69], 2, v[69:70]
	s_waitcnt lgkmcnt(0)
	s_delay_alu instid0(VALU_DEP_1) | instskip(NEXT) | instid1(VALU_DEP_2)
	v_add_co_u32 v70, vcc_lo, s6, v68
	v_add_co_ci_u32_e32 v71, vcc_lo, s7, v69, vcc_lo
	v_add_co_u32 v68, vcc_lo, s4, v68
	v_add_co_ci_u32_e32 v69, vcc_lo, s5, v69, vcc_lo
	global_store_b32 v[70:71], v66, off
	global_store_b32 v[68:69], v67, off
.LBB1741_78:
	s_or_b32 exec_lo, exec_lo, s3
	s_waitcnt lgkmcnt(0)
	s_waitcnt_vscnt null, 0x0
	s_barrier
	buffer_gl0_inv
	ds_load_b128 v[83:86], v76
	ds_load_b128 v[87:90], v76 offset:16
	ds_load_b128 v[95:98], v76 offset:2064
	ds_load_b128 v[91:94], v76 offset:2048
	v_mov_b32_e32 v65, 0
	ds_load_b128 v[103:106], v76 offset:4112
	ds_load_b128 v[99:102], v76 offset:4096
	;; [unrolled: 1-line block ×4, first 2 shown]
	v_mov_b32_e32 v66, v65
	v_mov_b32_e32 v67, v65
	;; [unrolled: 1-line block ×7, first 2 shown]
	s_waitcnt lgkmcnt(6)
	s_delay_alu instid0(VALU_DEP_1)
	v_wmma_f32_16x16x16_bf16 v[65:72], v[57:64], v[83:90], v[65:72]
	ds_load_b128 v[61:64], v76 offset:8208
	ds_load_b128 v[57:60], v76 offset:8192
	s_waitcnt lgkmcnt(6)
	v_wmma_f32_16x16x16_bf16 v[65:72], v[41:48], v[91:98], v[65:72]
	ds_load_b128 v[45:48], v76 offset:10256
	ds_load_b128 v[41:44], v76 offset:10240
	s_waitcnt lgkmcnt(6)
	;; [unrolled: 4-line block ×4, first 2 shown]
	v_wmma_f32_16x16x16_bf16 v[65:72], v[1:8], v[57:64], v[65:72]
	s_waitcnt lgkmcnt(4)
	s_delay_alu instid0(VALU_DEP_1) | instskip(SKIP_1) | instid1(VALU_DEP_1)
	v_wmma_f32_16x16x16_bf16 v[65:72], v[9:16], v[41:48], v[65:72]
	s_waitcnt lgkmcnt(2)
	v_wmma_f32_16x16x16_bf16 v[65:72], v[17:24], v[33:40], v[65:72]
	s_waitcnt lgkmcnt(0)
	s_delay_alu instid0(VALU_DEP_1) | instskip(NEXT) | instid1(VALU_DEP_1)
	v_wmma_f32_16x16x16_bf16 v[65:72], v[49:56], v[25:32], v[65:72]
	v_and_b32_e32 v1, 0x7f800000, v65
	s_delay_alu instid0(VALU_DEP_1) | instskip(SKIP_1) | instid1(SALU_CYCLE_1)
	v_cmp_ne_u32_e32 vcc_lo, 0x7f800000, v1
                                        ; implicit-def: $vgpr1
	s_and_saveexec_b32 s3, vcc_lo
	s_xor_b32 s3, exec_lo, s3
; %bb.79:
	v_bfe_u32 v1, v65, 16, 1
	s_delay_alu instid0(VALU_DEP_1)
	v_add3_u32 v1, v65, v1, 0x7fff
; %bb.80:
	s_and_not1_saveexec_b32 s3, s3
; %bb.81:
	v_and_b32_e32 v1, 0xffff, v65
	v_or_b32_e32 v2, 0x10000, v65
	s_delay_alu instid0(VALU_DEP_2) | instskip(NEXT) | instid1(VALU_DEP_2)
	v_cmp_eq_u32_e32 vcc_lo, 0, v1
	v_cndmask_b32_e32 v1, v2, v65, vcc_lo
; %bb.82:
	s_or_b32 exec_lo, exec_lo, s3
	v_and_b32_e32 v2, 0x7f800000, v66
	s_delay_alu instid0(VALU_DEP_1) | instskip(SKIP_1) | instid1(SALU_CYCLE_1)
	v_cmp_ne_u32_e32 vcc_lo, 0x7f800000, v2
                                        ; implicit-def: $vgpr2
	s_and_saveexec_b32 s3, vcc_lo
	s_xor_b32 s3, exec_lo, s3
; %bb.83:
	v_bfe_u32 v2, v66, 16, 1
	s_delay_alu instid0(VALU_DEP_1)
	v_add3_u32 v2, v66, v2, 0x7fff
; %bb.84:
	s_and_not1_saveexec_b32 s3, s3
; %bb.85:
	v_and_b32_e32 v2, 0xffff, v66
	v_or_b32_e32 v3, 0x10000, v66
	s_delay_alu instid0(VALU_DEP_2) | instskip(NEXT) | instid1(VALU_DEP_2)
	v_cmp_eq_u32_e32 vcc_lo, 0, v2
	v_cndmask_b32_e32 v2, v3, v66, vcc_lo
; %bb.86:
	s_or_b32 exec_lo, exec_lo, s3
	v_and_b32_e32 v3, 0x7f800000, v67
	s_delay_alu instid0(VALU_DEP_1) | instskip(SKIP_1) | instid1(SALU_CYCLE_1)
	v_cmp_ne_u32_e32 vcc_lo, 0x7f800000, v3
                                        ; implicit-def: $vgpr3
	s_and_saveexec_b32 s3, vcc_lo
	s_xor_b32 s3, exec_lo, s3
; %bb.87:
	v_bfe_u32 v3, v67, 16, 1
	s_delay_alu instid0(VALU_DEP_1)
	v_add3_u32 v3, v67, v3, 0x7fff
; %bb.88:
	s_and_not1_saveexec_b32 s3, s3
; %bb.89:
	v_and_b32_e32 v3, 0xffff, v67
	v_or_b32_e32 v4, 0x10000, v67
	s_delay_alu instid0(VALU_DEP_2) | instskip(NEXT) | instid1(VALU_DEP_2)
	v_cmp_eq_u32_e32 vcc_lo, 0, v3
	v_cndmask_b32_e32 v3, v4, v67, vcc_lo
; %bb.90:
	s_or_b32 exec_lo, exec_lo, s3
	v_and_b32_e32 v4, 0x7f800000, v68
	s_delay_alu instid0(VALU_DEP_1) | instskip(SKIP_1) | instid1(SALU_CYCLE_1)
	v_cmp_ne_u32_e32 vcc_lo, 0x7f800000, v4
                                        ; implicit-def: $vgpr4
	s_and_saveexec_b32 s3, vcc_lo
	s_xor_b32 s3, exec_lo, s3
; %bb.91:
	v_bfe_u32 v4, v68, 16, 1
	s_delay_alu instid0(VALU_DEP_1)
	v_add3_u32 v4, v68, v4, 0x7fff
; %bb.92:
	s_and_not1_saveexec_b32 s3, s3
; %bb.93:
	v_and_b32_e32 v4, 0xffff, v68
	v_or_b32_e32 v5, 0x10000, v68
	s_delay_alu instid0(VALU_DEP_2) | instskip(NEXT) | instid1(VALU_DEP_2)
	v_cmp_eq_u32_e32 vcc_lo, 0, v4
	v_cndmask_b32_e32 v4, v5, v68, vcc_lo
; %bb.94:
	s_or_b32 exec_lo, exec_lo, s3
	v_and_b32_e32 v5, 0x7f800000, v69
	s_delay_alu instid0(VALU_DEP_1) | instskip(SKIP_1) | instid1(SALU_CYCLE_1)
	v_cmp_ne_u32_e32 vcc_lo, 0x7f800000, v5
                                        ; implicit-def: $vgpr5
	s_and_saveexec_b32 s3, vcc_lo
	s_xor_b32 s3, exec_lo, s3
; %bb.95:
	v_bfe_u32 v5, v69, 16, 1
	s_delay_alu instid0(VALU_DEP_1)
	v_add3_u32 v5, v69, v5, 0x7fff
; %bb.96:
	s_and_not1_saveexec_b32 s3, s3
; %bb.97:
	v_and_b32_e32 v5, 0xffff, v69
	v_or_b32_e32 v6, 0x10000, v69
	s_delay_alu instid0(VALU_DEP_2) | instskip(NEXT) | instid1(VALU_DEP_2)
	v_cmp_eq_u32_e32 vcc_lo, 0, v5
	v_cndmask_b32_e32 v5, v6, v69, vcc_lo
; %bb.98:
	s_or_b32 exec_lo, exec_lo, s3
	v_and_b32_e32 v6, 0x7f800000, v70
	s_delay_alu instid0(VALU_DEP_1) | instskip(SKIP_1) | instid1(SALU_CYCLE_1)
	v_cmp_ne_u32_e32 vcc_lo, 0x7f800000, v6
                                        ; implicit-def: $vgpr6
	s_and_saveexec_b32 s3, vcc_lo
	s_xor_b32 s3, exec_lo, s3
; %bb.99:
	v_bfe_u32 v6, v70, 16, 1
	s_delay_alu instid0(VALU_DEP_1)
	v_add3_u32 v6, v70, v6, 0x7fff
; %bb.100:
	s_and_not1_saveexec_b32 s3, s3
; %bb.101:
	v_and_b32_e32 v6, 0xffff, v70
	v_or_b32_e32 v7, 0x10000, v70
	s_delay_alu instid0(VALU_DEP_2) | instskip(NEXT) | instid1(VALU_DEP_2)
	v_cmp_eq_u32_e32 vcc_lo, 0, v6
	v_cndmask_b32_e32 v6, v7, v70, vcc_lo
; %bb.102:
	s_or_b32 exec_lo, exec_lo, s3
	v_and_b32_e32 v7, 0x7f800000, v71
	s_delay_alu instid0(VALU_DEP_1) | instskip(SKIP_1) | instid1(SALU_CYCLE_1)
	v_cmp_ne_u32_e32 vcc_lo, 0x7f800000, v7
                                        ; implicit-def: $vgpr7
	s_and_saveexec_b32 s3, vcc_lo
	s_xor_b32 s3, exec_lo, s3
; %bb.103:
	v_bfe_u32 v7, v71, 16, 1
	s_delay_alu instid0(VALU_DEP_1)
	v_add3_u32 v7, v71, v7, 0x7fff
; %bb.104:
	s_and_not1_saveexec_b32 s3, s3
; %bb.105:
	v_and_b32_e32 v7, 0xffff, v71
	v_or_b32_e32 v8, 0x10000, v71
	s_delay_alu instid0(VALU_DEP_2) | instskip(NEXT) | instid1(VALU_DEP_2)
	v_cmp_eq_u32_e32 vcc_lo, 0, v7
	v_cndmask_b32_e32 v7, v8, v71, vcc_lo
; %bb.106:
	s_or_b32 exec_lo, exec_lo, s3
	v_and_b32_e32 v8, 0x7f800000, v72
	s_delay_alu instid0(VALU_DEP_1) | instskip(SKIP_1) | instid1(SALU_CYCLE_1)
	v_cmp_ne_u32_e32 vcc_lo, 0x7f800000, v8
                                        ; implicit-def: $vgpr8
	s_and_saveexec_b32 s3, vcc_lo
	s_xor_b32 s3, exec_lo, s3
; %bb.107:
	v_bfe_u32 v8, v72, 16, 1
	s_delay_alu instid0(VALU_DEP_1)
	v_add3_u32 v8, v72, v8, 0x7fff
                                        ; implicit-def: $vgpr65_vgpr66_vgpr67_vgpr68_vgpr69_vgpr70_vgpr71_vgpr72
; %bb.108:
	s_and_not1_saveexec_b32 s3, s3
; %bb.109:
	v_and_b32_e32 v8, 0xffff, v72
	v_or_b32_e32 v9, 0x10000, v72
	s_delay_alu instid0(VALU_DEP_2) | instskip(NEXT) | instid1(VALU_DEP_2)
	v_cmp_eq_u32_e32 vcc_lo, 0, v8
	v_cndmask_b32_e32 v8, v9, v72, vcc_lo
; %bb.110:
	s_or_b32 exec_lo, exec_lo, s3
	s_delay_alu instid0(VALU_DEP_1)
	v_perm_b32 v7, v8, v7, 0x7060302
	v_perm_b32 v6, v6, v5, 0x7060302
	;; [unrolled: 1-line block ×4, first 2 shown]
	s_barrier
	buffer_gl0_inv
	v_cmp_eq_u32_e32 vcc_lo, 1, v79
	ds_store_b128 v77, v[4:7]
	s_waitcnt lgkmcnt(0)
	s_barrier
	buffer_gl0_inv
	ds_load_b128 v[1:4], v82
	ds_load_b128 v[5:8], v82 offset:16
	v_cmp_eq_u32_e64 s3, 1, v80
	v_cmp_eq_u32_e64 s4, 2, v79
	;; [unrolled: 1-line block ×5, first 2 shown]
	s_waitcnt lgkmcnt(1)
	v_lshrrev_b32_e32 v9, 16, v1
	s_waitcnt lgkmcnt(0)
	v_lshrrev_b32_e32 v13, 16, v5
	v_lshrrev_b32_e32 v10, 16, v2
	;; [unrolled: 1-line block ×4, first 2 shown]
	v_cndmask_b32_e64 v19, v1, v9, s3
	v_cndmask_b32_e32 v18, v5, v13, vcc_lo
	v_cndmask_b32_e64 v20, v5, v13, s3
	v_cndmask_b32_e32 v17, v1, v9, vcc_lo
	v_cmp_eq_u32_e32 vcc_lo, 2, v80
	v_lshrrev_b32_e32 v15, 16, v7
	v_cmp_eq_u32_e64 s3, 1, v78
	v_lshrrev_b32_e32 v12, 16, v4
	v_lshrrev_b32_e32 v16, 16, v8
	v_cndmask_b32_e32 v20, v20, v6, vcc_lo
	v_cndmask_b32_e64 v17, v17, v2, s4
	v_cndmask_b32_e32 v19, v19, v2, vcc_lo
	v_cndmask_b32_e64 v18, v18, v6, s4
	v_cmp_eq_u32_e32 vcc_lo, 4, v79
	v_cmp_eq_u32_e64 s4, 3, v80
	v_cndmask_b32_e64 v17, v17, v10, s5
	v_cndmask_b32_e64 v21, v1, v9, s3
	;; [unrolled: 1-line block ×5, first 2 shown]
	v_cndmask_b32_e32 v17, v17, v3, vcc_lo
	v_cndmask_b32_e64 v20, v20, v14, s4
	v_cndmask_b32_e32 v18, v18, v7, vcc_lo
	v_cmp_eq_u32_e32 vcc_lo, 4, v80
	v_cmp_eq_u32_e64 s4, 5, v80
	v_cmp_eq_u32_e64 s3, 2, v81
	v_cndmask_b32_e64 v21, v21, v2, s7
	v_cmp_eq_u32_e64 s5, 5, v79
	v_cndmask_b32_e32 v19, v19, v3, vcc_lo
	v_cndmask_b32_e32 v20, v20, v7, vcc_lo
	v_cmp_eq_u32_e32 vcc_lo, 6, v80
	s_delay_alu instid0(VALU_DEP_4) | instskip(NEXT) | instid1(VALU_DEP_4)
	v_cndmask_b32_e64 v17, v17, v11, s5
	v_cndmask_b32_e64 v19, v19, v11, s4
	s_delay_alu instid0(VALU_DEP_4) | instskip(SKIP_1) | instid1(VALU_DEP_3)
	v_cndmask_b32_e64 v20, v20, v15, s4
	v_cmp_eq_u32_e64 s4, 1, v81
	v_cndmask_b32_e32 v19, v19, v4, vcc_lo
	v_cndmask_b32_e64 v18, v18, v15, s5
	s_delay_alu instid0(VALU_DEP_3)
	v_cndmask_b32_e64 v1, v1, v9, s4
	v_cndmask_b32_e64 v5, v5, v13, s4
	v_cmp_eq_u32_e64 s4, 3, v78
	v_cndmask_b32_e64 v13, v22, v6, s7
	v_cmp_eq_u32_e64 s7, 3, v81
	v_cndmask_b32_e64 v1, v1, v2, s3
	v_cndmask_b32_e64 v2, v5, v6, s3
	;; [unrolled: 1-line block ×3, first 2 shown]
	v_cmp_eq_u32_e64 s3, 4, v78
	v_cndmask_b32_e64 v6, v13, v14, s4
	v_cndmask_b32_e64 v1, v1, v10, s7
	v_cmp_eq_u32_e64 s4, 4, v81
	v_cndmask_b32_e64 v2, v2, v14, s7
	v_cndmask_b32_e64 v5, v9, v3, s3
	;; [unrolled: 3-line block ×3, first 2 shown]
	v_cndmask_b32_e64 v2, v2, v7, s4
	v_cmp_eq_u32_e64 s3, 5, v81
	v_cmp_eq_u32_e64 s5, 6, v79
	v_cndmask_b32_e64 v5, v5, v11, s7
	v_cmp_eq_u32_e64 s4, 6, v78
	v_cndmask_b32_e64 v3, v6, v15, s7
	v_cndmask_b32_e64 v1, v1, v11, s3
	v_cmp_eq_u32_e64 s7, 6, v81
	v_cndmask_b32_e64 v2, v2, v15, s3
	v_cndmask_b32_e64 v17, v17, v4, s5
	v_cndmask_b32_e64 v18, v18, v8, s5
	v_cmp_eq_u32_e64 s5, 7, v79
	v_cndmask_b32_e64 v5, v5, v4, s4
	;; [unrolled: 4-line block ×3, first 2 shown]
	v_cmp_eq_u32_e64 s4, 7, v78
	v_cndmask_b32_e32 v4, v20, v8, vcc_lo
	v_cndmask_b32_e64 v17, v17, v12, s5
	v_cndmask_b32_e64 v19, v19, v12, s6
	;; [unrolled: 1-line block ×8, first 2 shown]
	v_cmp_gt_u32_e32 vcc_lo, 32, v0
	v_perm_b32 v4, v2, v1, 0x5040100
	v_perm_b32 v3, v3, v5, 0x5040100
	;; [unrolled: 1-line block ×4, first 2 shown]
	s_and_b32 s2, vcc_lo, s2
	ds_store_b128 v77, v[1:4]
	s_waitcnt lgkmcnt(0)
	s_barrier
	buffer_gl0_inv
	s_and_saveexec_b32 s3, s2
	s_cbranch_execz .LBB1741_2
; %bb.111:
	s_load_b64 s[0:1], s[0:1], 0x68
	v_lshlrev_b32_e32 v0, 10, v0
	s_lshl_b32 s4, s34, 6
	v_or_b32_e32 v23, s31, v74
	s_mul_i32 s2, s4, s30
	v_lshlrev_b32_e32 v1, 4, v75
	v_lshlrev_b32_e32 v2, 6, v74
	s_mul_i32 s2, s2, s8
	v_and_b32_e32 v0, 0x3800, v0
	v_mul_lo_u32 v8, v23, s4
	s_ashr_i32 s3, s2, 31
	v_or_b32_e32 v3, 2, v23
	s_lshl_b64 s[2:3], s[2:3], 1
	v_or3_b32 v27, v0, v1, v2
	v_or_b32_e32 v11, 4, v23
	v_or_b32_e32 v18, 6, v23
	v_mul_lo_u32 v10, v3, s4
	v_ashrrev_i32_e32 v9, 31, v8
	ds_load_b128 v[0:3], v27
	ds_load_b128 v[4:7], v27 offset:128
	v_mul_lo_u32 v12, v11, s4
	s_waitcnt lgkmcnt(0)
	s_add_u32 s2, s0, s2
	s_addc_u32 s3, s1, s3
	s_lshl_b32 s0, s14, 6
	v_lshlrev_b64 v[8:9], 1, v[8:9]
	s_ashr_i32 s1, s0, 31
	v_ashrrev_i32_e32 v11, 31, v10
	s_lshl_b64 s[0:1], s[0:1], 1
	v_ashrrev_i32_e32 v13, 31, v12
	s_add_u32 s0, s2, s0
	s_addc_u32 s1, s3, s1
	v_add_co_u32 v30, s0, s0, v73
	s_delay_alu instid0(VALU_DEP_1) | instskip(SKIP_1) | instid1(VALU_DEP_3)
	v_add_co_ci_u32_e64 v31, null, s1, 0, s0
	v_lshlrev_b64 v[16:17], 1, v[10:11]
	v_add_co_u32 v14, vcc_lo, v30, v8
	s_delay_alu instid0(VALU_DEP_3)
	v_add_co_ci_u32_e32 v15, vcc_lo, v31, v9, vcc_lo
	ds_load_b128 v[8:11], v27 offset:256
	v_mul_lo_u32 v18, v18, s4
	v_or_b32_e32 v19, 8, v23
	v_add_co_u32 v16, vcc_lo, v30, v16
	global_store_b128 v[14:15], v[0:3], off
	v_lshlrev_b64 v[0:1], 1, v[12:13]
	v_add_co_ci_u32_e32 v17, vcc_lo, v31, v17, vcc_lo
	v_mul_lo_u32 v12, v19, s4
	v_ashrrev_i32_e32 v19, 31, v18
	v_or_b32_e32 v14, 10, v23
	global_store_b128 v[16:17], v[4:7], off
	v_add_co_u32 v4, vcc_lo, v30, v0
	v_add_co_ci_u32_e32 v5, vcc_lo, v31, v1, vcc_lo
	ds_load_b128 v[0:3], v27 offset:384
	v_ashrrev_i32_e32 v13, 31, v12
	v_lshlrev_b64 v[6:7], 1, v[18:19]
	v_mul_lo_u32 v14, v14, s4
	s_waitcnt lgkmcnt(1)
	global_store_b128 v[4:5], v[8:11], off
	v_or_b32_e32 v8, 12, v23
	v_lshlrev_b64 v[4:5], 1, v[12:13]
	v_add_co_u32 v20, vcc_lo, v30, v6
	v_or_b32_e32 v6, 14, v23
	v_ashrrev_i32_e32 v15, 31, v14
	v_mul_lo_u32 v22, v8, s4
	v_add_co_ci_u32_e32 v21, vcc_lo, v31, v7, vcc_lo
	v_add_co_u32 v24, vcc_lo, v30, v4
	v_mul_lo_u32 v26, v6, s4
	v_add_co_ci_u32_e32 v25, vcc_lo, v31, v5, vcc_lo
	v_lshlrev_b64 v[28:29], 1, v[14:15]
	ds_load_b128 v[4:7], v27 offset:512
	ds_load_b128 v[8:11], v27 offset:640
	;; [unrolled: 1-line block ×4, first 2 shown]
	v_ashrrev_i32_e32 v23, 31, v22
	v_ashrrev_i32_e32 v27, 31, v26
	v_add_co_u32 v28, vcc_lo, v30, v28
	s_delay_alu instid0(VALU_DEP_3) | instskip(SKIP_1) | instid1(VALU_DEP_4)
	v_lshlrev_b64 v[22:23], 1, v[22:23]
	v_add_co_ci_u32_e32 v29, vcc_lo, v31, v29, vcc_lo
	v_lshlrev_b64 v[26:27], 1, v[26:27]
	s_delay_alu instid0(VALU_DEP_3) | instskip(NEXT) | instid1(VALU_DEP_4)
	v_add_co_u32 v22, vcc_lo, v30, v22
	v_add_co_ci_u32_e32 v23, vcc_lo, v31, v23, vcc_lo
	s_delay_alu instid0(VALU_DEP_3) | instskip(NEXT) | instid1(VALU_DEP_4)
	v_add_co_u32 v26, vcc_lo, v30, v26
	v_add_co_ci_u32_e32 v27, vcc_lo, v31, v27, vcc_lo
	s_waitcnt lgkmcnt(4)
	global_store_b128 v[20:21], v[0:3], off
	s_waitcnt lgkmcnt(3)
	global_store_b128 v[24:25], v[4:7], off
	;; [unrolled: 2-line block ×5, first 2 shown]
	s_nop 0
	s_sendmsg sendmsg(MSG_DEALLOC_VGPRS)
	s_endpgm
	.section	.rodata,"a",@progbits
	.p2align	6, 0x0
	.amdhsa_kernel _Z39paged_attention_ll4mi_QKV_mfma16_kernelI14__hip_bfloat16hLN4vllm18Fp8KVCacheDataTypeE1EhLi32ELi64ELi256ELb1ELi16EL8MFMAType0EEvPKT_PKT0_S9_ifPKiSB_SB_iPKfiiiPfSE_PS4_PT2_iSD_SD_
		.amdhsa_group_segment_fixed_size 17472
		.amdhsa_private_segment_fixed_size 0
		.amdhsa_kernarg_size 400
		.amdhsa_user_sgpr_count 13
		.amdhsa_user_sgpr_dispatch_ptr 0
		.amdhsa_user_sgpr_queue_ptr 0
		.amdhsa_user_sgpr_kernarg_segment_ptr 1
		.amdhsa_user_sgpr_dispatch_id 0
		.amdhsa_user_sgpr_private_segment_size 0
		.amdhsa_wavefront_size32 1
		.amdhsa_uses_dynamic_stack 0
		.amdhsa_enable_private_segment 0
		.amdhsa_system_sgpr_workgroup_id_x 1
		.amdhsa_system_sgpr_workgroup_id_y 1
		.amdhsa_system_sgpr_workgroup_id_z 1
		.amdhsa_system_sgpr_workgroup_info 0
		.amdhsa_system_vgpr_workitem_id 0
		.amdhsa_next_free_vgpr 125
		.amdhsa_next_free_sgpr 40
		.amdhsa_reserve_vcc 1
		.amdhsa_float_round_mode_32 0
		.amdhsa_float_round_mode_16_64 0
		.amdhsa_float_denorm_mode_32 3
		.amdhsa_float_denorm_mode_16_64 3
		.amdhsa_dx10_clamp 1
		.amdhsa_ieee_mode 1
		.amdhsa_fp16_overflow 0
		.amdhsa_workgroup_processor_mode 1
		.amdhsa_memory_ordered 1
		.amdhsa_forward_progress 0
		.amdhsa_shared_vgpr_count 0
		.amdhsa_exception_fp_ieee_invalid_op 0
		.amdhsa_exception_fp_denorm_src 0
		.amdhsa_exception_fp_ieee_div_zero 0
		.amdhsa_exception_fp_ieee_overflow 0
		.amdhsa_exception_fp_ieee_underflow 0
		.amdhsa_exception_fp_ieee_inexact 0
		.amdhsa_exception_int_div_zero 0
	.end_amdhsa_kernel
	.section	.text._Z39paged_attention_ll4mi_QKV_mfma16_kernelI14__hip_bfloat16hLN4vllm18Fp8KVCacheDataTypeE1EhLi32ELi64ELi256ELb1ELi16EL8MFMAType0EEvPKT_PKT0_S9_ifPKiSB_SB_iPKfiiiPfSE_PS4_PT2_iSD_SD_,"axG",@progbits,_Z39paged_attention_ll4mi_QKV_mfma16_kernelI14__hip_bfloat16hLN4vllm18Fp8KVCacheDataTypeE1EhLi32ELi64ELi256ELb1ELi16EL8MFMAType0EEvPKT_PKT0_S9_ifPKiSB_SB_iPKfiiiPfSE_PS4_PT2_iSD_SD_,comdat
.Lfunc_end1741:
	.size	_Z39paged_attention_ll4mi_QKV_mfma16_kernelI14__hip_bfloat16hLN4vllm18Fp8KVCacheDataTypeE1EhLi32ELi64ELi256ELb1ELi16EL8MFMAType0EEvPKT_PKT0_S9_ifPKiSB_SB_iPKfiiiPfSE_PS4_PT2_iSD_SD_, .Lfunc_end1741-_Z39paged_attention_ll4mi_QKV_mfma16_kernelI14__hip_bfloat16hLN4vllm18Fp8KVCacheDataTypeE1EhLi32ELi64ELi256ELb1ELi16EL8MFMAType0EEvPKT_PKT0_S9_ifPKiSB_SB_iPKfiiiPfSE_PS4_PT2_iSD_SD_
                                        ; -- End function
	.section	.AMDGPU.csdata,"",@progbits
; Kernel info:
; codeLenInByte = 8928
; NumSgprs: 42
; NumVgprs: 125
; ScratchSize: 0
; MemoryBound: 0
; FloatMode: 240
; IeeeMode: 1
; LDSByteSize: 17472 bytes/workgroup (compile time only)
; SGPRBlocks: 5
; VGPRBlocks: 15
; NumSGPRsForWavesPerEU: 42
; NumVGPRsForWavesPerEU: 125
; Occupancy: 10
; WaveLimiterHint : 1
; COMPUTE_PGM_RSRC2:SCRATCH_EN: 0
; COMPUTE_PGM_RSRC2:USER_SGPR: 13
; COMPUTE_PGM_RSRC2:TRAP_HANDLER: 0
; COMPUTE_PGM_RSRC2:TGID_X_EN: 1
; COMPUTE_PGM_RSRC2:TGID_Y_EN: 1
; COMPUTE_PGM_RSRC2:TGID_Z_EN: 1
; COMPUTE_PGM_RSRC2:TIDIG_COMP_CNT: 0
	.section	.text._Z39paged_attention_ll4mi_QKV_mfma16_kernelI14__hip_bfloat16hLN4vllm18Fp8KVCacheDataTypeE1EhLi32ELi64ELi256ELb1ELi1EL8MFMAType0EEvPKT_PKT0_S9_ifPKiSB_SB_iPKfiiiPfSE_PS4_PT2_iSD_SD_,"axG",@progbits,_Z39paged_attention_ll4mi_QKV_mfma16_kernelI14__hip_bfloat16hLN4vllm18Fp8KVCacheDataTypeE1EhLi32ELi64ELi256ELb1ELi1EL8MFMAType0EEvPKT_PKT0_S9_ifPKiSB_SB_iPKfiiiPfSE_PS4_PT2_iSD_SD_,comdat
	.protected	_Z39paged_attention_ll4mi_QKV_mfma16_kernelI14__hip_bfloat16hLN4vllm18Fp8KVCacheDataTypeE1EhLi32ELi64ELi256ELb1ELi1EL8MFMAType0EEvPKT_PKT0_S9_ifPKiSB_SB_iPKfiiiPfSE_PS4_PT2_iSD_SD_ ; -- Begin function _Z39paged_attention_ll4mi_QKV_mfma16_kernelI14__hip_bfloat16hLN4vllm18Fp8KVCacheDataTypeE1EhLi32ELi64ELi256ELb1ELi1EL8MFMAType0EEvPKT_PKT0_S9_ifPKiSB_SB_iPKfiiiPfSE_PS4_PT2_iSD_SD_
	.globl	_Z39paged_attention_ll4mi_QKV_mfma16_kernelI14__hip_bfloat16hLN4vllm18Fp8KVCacheDataTypeE1EhLi32ELi64ELi256ELb1ELi1EL8MFMAType0EEvPKT_PKT0_S9_ifPKiSB_SB_iPKfiiiPfSE_PS4_PT2_iSD_SD_
	.p2align	8
	.type	_Z39paged_attention_ll4mi_QKV_mfma16_kernelI14__hip_bfloat16hLN4vllm18Fp8KVCacheDataTypeE1EhLi32ELi64ELi256ELb1ELi1EL8MFMAType0EEvPKT_PKT0_S9_ifPKiSB_SB_iPKfiiiPfSE_PS4_PT2_iSD_SD_,@function
_Z39paged_attention_ll4mi_QKV_mfma16_kernelI14__hip_bfloat16hLN4vllm18Fp8KVCacheDataTypeE1EhLi32ELi64ELi256ELb1ELi1EL8MFMAType0EEvPKT_PKT0_S9_ifPKiSB_SB_iPKfiiiPfSE_PS4_PT2_iSD_SD_: ; @_Z39paged_attention_ll4mi_QKV_mfma16_kernelI14__hip_bfloat16hLN4vllm18Fp8KVCacheDataTypeE1EhLi32ELi64ELi256ELb1ELi1EL8MFMAType0EEvPKT_PKT0_S9_ifPKiSB_SB_iPKfiiiPfSE_PS4_PT2_iSD_SD_
; %bb.0:
	s_load_b64 s[4:5], s[0:1], 0x30
	s_mov_b32 s34, s13
	s_waitcnt lgkmcnt(0)
	s_cmp_lg_u64 s[4:5], 0
	s_cselect_b32 s6, -1, 0
	s_ashr_i32 s35, s13, 31
	s_cmp_eq_u64 s[4:5], 0
	s_cbranch_scc1 .LBB1742_3
; %bb.1:
	s_lshl_b64 s[2:3], s[34:35], 2
	s_delay_alu instid0(SALU_CYCLE_1) | instskip(SKIP_4) | instid1(SALU_CYCLE_1)
	s_add_u32 s2, s4, s2
	s_addc_u32 s3, s5, s3
	s_load_b64 s[2:3], s[2:3], 0x0
	s_waitcnt lgkmcnt(0)
	s_sub_i32 s2, s3, s2
	s_cmp_eq_u32 s2, 1
	s_cselect_b32 s2, -1, 0
	s_delay_alu instid0(SALU_CYCLE_1)
	s_and_not1_b32 vcc_lo, exec_lo, s2
	s_cbranch_vccz .LBB1742_4
.LBB1742_2:
	s_endpgm
.LBB1742_3:
.LBB1742_4:
	s_load_b64 s[2:3], s[0:1], 0x28
	s_lshl_b64 s[8:9], s[34:35], 2
	s_waitcnt lgkmcnt(0)
	s_add_u32 s2, s2, s8
	s_addc_u32 s3, s3, s9
	s_lshl_b32 s12, s14, 8
	s_load_b32 s33, s[2:3], 0x0
	s_waitcnt lgkmcnt(0)
	s_cmp_ge_i32 s12, s33
	s_cbranch_scc1 .LBB1742_2
; %bb.5:
	s_clause 0x1
	s_load_b128 s[28:31], s[0:1], 0x8
	s_load_b64 s[2:3], s[0:1], 0x20
	s_and_not1_b32 vcc_lo, exec_lo, s6
	s_mov_b64 s[6:7], s[34:35]
	s_cbranch_vccnz .LBB1742_7
; %bb.6:
	s_add_u32 s4, s4, s8
	s_addc_u32 s5, s5, s9
	s_load_b32 s6, s[4:5], 0x0
.LBB1742_7:
	s_load_b128 s[24:27], s[0:1], 0x48
	v_and_b32_e32 v73, 15, v0
	s_mov_b32 s13, exec_lo
                                        ; implicit-def: $sgpr16
                                        ; implicit-def: $sgpr4
	s_delay_alu instid0(VALU_DEP_1)
	v_cmpx_eq_u32_e32 0, v73
	s_cbranch_execz .LBB1742_9
; %bb.8:
	s_load_b64 s[4:5], s[0:1], 0x0
	s_waitcnt lgkmcnt(0)
	s_mul_hi_i32 s7, s6, s24
	s_mul_i32 s6, s6, s24
	s_delay_alu instid0(SALU_CYCLE_1) | instskip(NEXT) | instid1(SALU_CYCLE_1)
	s_lshl_b64 s[6:7], s[6:7], 1
	s_add_u32 s6, s4, s6
	s_addc_u32 s7, s5, s7
	s_lshl_b32 s4, s15, 6
	s_delay_alu instid0(SALU_CYCLE_1) | instskip(NEXT) | instid1(SALU_CYCLE_1)
	s_ashr_i32 s5, s4, 31
	s_lshl_b64 s[4:5], s[4:5], 1
	s_delay_alu instid0(SALU_CYCLE_1)
	s_add_u32 s4, s6, s4
	s_addc_u32 s5, s7, s5
	s_clause 0x1
	s_load_b256 s[16:23], s[4:5], 0x0
	s_load_b256 s[4:11], s[4:5], 0x40
.LBB1742_9:
	s_or_b32 exec_lo, exec_lo, s13
	s_waitcnt lgkmcnt(0)
	v_dual_mov_b32 v114, s23 :: v_dual_and_b32 v1, 0xef, v0
	s_add_i32 s13, s33, 31
	s_load_b32 s27, s[0:1], 0x38
	s_ashr_i32 s24, s13, 31
	s_delay_alu instid0(VALU_DEP_1) | instskip(SKIP_3) | instid1(VALU_DEP_2)
	v_dual_mov_b32 v112, s21 :: v_dual_add_nc_u32 v1, s12, v1
	s_lshr_b32 s24, s24, 27
	v_lshrrev_b32_e32 v65, 5, v0
	s_add_i32 s13, s13, s24
	v_ashrrev_i32_e32 v2, 31, v1
	v_or_b32_e32 v3, 16, v1
	s_ashr_i32 s13, s13, 5
	v_cmp_gt_i32_e32 vcc_lo, s33, v1
	s_add_i32 s13, s13, -1
	v_lshrrev_b32_e32 v2, 27, v2
	s_load_b32 s24, s[0:1], 0x1c
	v_dual_mov_b32 v111, s20 :: v_dual_mov_b32 v108, s17
	v_mbcnt_lo_u32_b32 v67, -1, 0
	s_delay_alu instid0(VALU_DEP_3)
	v_dual_mov_b32 v113, s22 :: v_dual_add_nc_u32 v4, v1, v2
	v_lshlrev_b32_e32 v74, 4, v73
	s_waitcnt lgkmcnt(0)
	s_mul_i32 s36, s34, s27
	v_xor_b32_e32 v68, 16, v67
	v_ashrrev_i32_e32 v4, 5, v4
	v_add_nc_u32_e32 v2, v3, v2
	s_ashr_i32 s37, s36, 31
	v_mov_b32_e32 v110, s19
	s_lshl_b64 s[36:37], s[36:37], 2
	v_cndmask_b32_e32 v1, s13, v4, vcc_lo
	v_ashrrev_i32_e32 v2, 5, v2
	v_cmp_gt_i32_e32 vcc_lo, s33, v3
	s_add_u32 s36, s2, s36
	s_addc_u32 s35, s3, s37
	s_mul_i32 s37, s15, s26
	v_and_b32_e32 v66, 0xe0, v0
	v_cndmask_b32_e32 v3, s13, v2, vcc_lo
	v_ashrrev_i32_e32 v2, 31, v1
	s_ashr_i32 s38, s37, 31
	s_add_u32 s40, s28, s37
	s_addc_u32 s41, s29, s38
	v_ashrrev_i32_e32 v4, 31, v3
	v_lshlrev_b64 v[1:2], 2, v[1:2]
	s_lshl_b32 s2, s14, 3
	v_add_nc_u32_e32 v66, s12, v66
	s_ashr_i32 s3, s2, 31
	v_lshlrev_b64 v[3:4], 2, v[3:4]
	s_lshl_b64 s[2:3], s[2:3], 2
	v_add_co_u32 v1, vcc_lo, s36, v1
	v_add_co_ci_u32_e32 v2, vcc_lo, s35, v2, vcc_lo
	s_delay_alu instid0(VALU_DEP_3) | instskip(NEXT) | instid1(VALU_DEP_4)
	v_add_co_u32 v3, vcc_lo, s36, v3
	v_add_co_ci_u32_e32 v4, vcc_lo, s35, v4, vcc_lo
	s_clause 0x1
	global_load_b32 v5, v[1:2], off
	global_load_b32 v6, v[3:4], off
	s_add_u32 s2, s36, s2
	s_addc_u32 s3, s35, s3
	s_or_b32 s26, s12, 32
	s_delay_alu instid0(SALU_CYCLE_1) | instskip(SKIP_2) | instid1(SALU_CYCLE_1)
	s_ashr_i32 s27, s26, 5
	s_cmp_lt_i32 s26, s33
	s_cselect_b32 s26, s27, s13
	s_ashr_i32 s27, s26, 31
	s_delay_alu instid0(SALU_CYCLE_1) | instskip(NEXT) | instid1(SALU_CYCLE_1)
	s_lshl_b64 s[26:27], s[26:27], 2
	s_add_u32 s26, s36, s26
	s_addc_u32 s27, s35, s27
	s_or_b32 s28, s12, 64
	s_delay_alu instid0(SALU_CYCLE_1) | instskip(SKIP_2) | instid1(SALU_CYCLE_1)
	s_ashr_i32 s29, s28, 5
	s_cmp_lt_i32 s28, s33
	s_cselect_b32 s28, s29, s13
	s_ashr_i32 s29, s28, 31
	s_delay_alu instid0(SALU_CYCLE_1) | instskip(NEXT) | instid1(SALU_CYCLE_1)
	s_lshl_b64 s[28:29], s[28:29], 2
	;; [unrolled: 10-line block ×5, first 2 shown]
	s_add_u32 s48, s36, s28
	s_addc_u32 s49, s35, s29
	s_clause 0x5
	s_load_b32 s29, s[2:3], 0x0
	s_load_b32 s2, s[26:27], 0x0
	;; [unrolled: 1-line block ×6, first 2 shown]
	s_or_b32 s39, s12, 0xc0
	s_waitcnt vmcnt(1)
	v_mad_i64_i32 v[1:2], null, v5, s25, s[40:41]
	s_waitcnt vmcnt(0)
	v_mad_i64_i32 v[3:4], null, v6, s25, s[40:41]
	s_ashr_i32 s40, s39, 5
	s_cmp_lt_i32 s39, s33
	s_cselect_b32 s40, s40, s13
	s_delay_alu instid0(VALU_DEP_2) | instskip(NEXT) | instid1(VALU_DEP_3)
	v_add_co_u32 v1, vcc_lo, v1, v74
	v_add_co_ci_u32_e32 v2, vcc_lo, 0, v2, vcc_lo
	s_delay_alu instid0(VALU_DEP_3) | instskip(NEXT) | instid1(VALU_DEP_4)
	v_add_co_u32 v3, vcc_lo, v3, v74
	v_add_co_ci_u32_e32 v4, vcc_lo, 0, v4, vcc_lo
	s_clause 0x7
	global_load_b128 v[75:78], v[1:2], off
	global_load_b128 v[79:82], v[1:2], off offset:512
	global_load_b128 v[83:86], v[3:4], off offset:256
	;; [unrolled: 1-line block ×7, first 2 shown]
	s_ashr_i32 s41, s40, 31
	v_lshlrev_b32_e32 v1, 5, v73
	s_lshl_b64 s[40:41], s[40:41], 2
	v_cmp_gt_i32_e32 vcc_lo, 32, v68
	s_add_u32 s40, s36, s40
	s_addc_u32 s41, s35, s41
	s_or_b32 s39, s12, 0xe0
	v_lshl_or_b32 v1, v65, 9, v1
	s_ashr_i32 s42, s39, 5
	s_cmp_lt_i32 s39, s33
	s_cselect_b32 s42, s42, s13
	s_load_b32 s13, s[40:41], 0x0
	s_ashr_i32 s43, s42, 31
	s_delay_alu instid0(SALU_CYCLE_1) | instskip(NEXT) | instid1(SALU_CYCLE_1)
	s_lshl_b64 s[42:43], s[42:43], 2
	s_add_u32 s40, s36, s42
	s_addc_u32 s41, s35, s43
	s_add_u32 s30, s30, s37
	s_addc_u32 s31, s31, s38
	v_add_co_u32 v1, s30, s30, v1
	s_delay_alu instid0(VALU_DEP_1) | instskip(SKIP_3) | instid1(VALU_DEP_1)
	v_add_co_ci_u32_e64 v2, null, s31, 0, s30
	s_load_b32 s30, s[40:41], 0x0
	s_mov_b32 s36, 0
	s_waitcnt lgkmcnt(0)
	v_mad_i64_i32 v[3:4], null, s29, s25, v[1:2]
	v_mad_i64_i32 v[9:10], null, s26, s25, v[1:2]
	;; [unrolled: 1-line block ×7, first 2 shown]
	s_clause 0x5
	global_load_b128 v[49:52], v[3:4], off
	global_load_b128 v[53:56], v[3:4], off offset:16
	global_load_b128 v[41:44], v[5:6], off
	global_load_b128 v[45:48], v[5:6], off offset:16
	;; [unrolled: 2-line block ×3, first 2 shown]
	s_mov_b32 s43, s36
	s_mov_b32 s37, s36
	v_mad_i64_i32 v[61:62], null, s30, s25, v[1:2]
	s_clause 0x9
	global_load_b128 v[25:28], v[9:10], off
	global_load_b128 v[29:32], v[9:10], off offset:16
	global_load_b128 v[1:4], v[11:12], off
	global_load_b128 v[5:8], v[11:12], off offset:16
	;; [unrolled: 2-line block ×5, first 2 shown]
	s_mov_b32 s38, s36
	s_mov_b32 s39, s36
	;; [unrolled: 1-line block ×5, first 2 shown]
	v_dual_mov_b32 v109, s18 :: v_dual_mov_b32 v122, s43
	v_dual_mov_b32 v107, s16 :: v_dual_mov_b32 v120, s41
	;; [unrolled: 1-line block ×4, first 2 shown]
	v_mov_b32_e32 v117, s38
	v_mov_b32_e32 v115, s36
	s_waitcnt vmcnt(0)
	s_barrier
	buffer_gl0_inv
	v_wmma_f32_16x16x16_bf16 v[123:130], v[75:82], v[107:114], v[115:122]
	v_bfe_u32 v75, v0, 4, 1
	v_wmma_f32_16x16x16_bf16 v[115:122], v[83:90], v[107:114], v[115:122]
	v_dual_mov_b32 v83, s11 :: v_dual_mov_b32 v82, s10
	v_dual_mov_b32 v81, s9 :: v_dual_mov_b32 v80, s8
	s_delay_alu instid0(VALU_DEP_4) | instskip(SKIP_2) | instid1(VALU_DEP_3)
	v_or_b32_e32 v66, v66, v75
	v_dual_mov_b32 v79, s7 :: v_dual_mov_b32 v78, s6
	v_dual_mov_b32 v77, s5 :: v_dual_mov_b32 v76, s4
	v_or_b32_e32 v69, 4, v66
	v_or_b32_e32 v70, 6, v66
	;; [unrolled: 1-line block ×3, first 2 shown]
	v_cmp_gt_i32_e64 s2, s33, v66
	v_wmma_f32_16x16x16_bf16 v[123:130], v[91:98], v[76:83], v[123:130]
	v_cndmask_b32_e32 v67, v67, v68, vcc_lo
	v_or_b32_e32 v68, 2, v66
	v_wmma_f32_16x16x16_bf16 v[115:122], v[99:106], v[76:83], v[115:122]
	v_or_b32_e32 v72, 10, v66
	v_dual_mul_f32 v78, s24, v130 :: v_dual_mul_f32 v83, s24, v125
	v_dual_mul_f32 v92, s24, v124 :: v_dual_mul_f32 v93, s24, v123
	s_delay_alu instid0(VALU_DEP_4) | instskip(SKIP_2) | instid1(VALU_DEP_4)
	v_mul_f32_e32 v94, s24, v122
	v_cmp_gt_i32_e32 vcc_lo, s33, v68
	v_dual_mul_f32 v81, s24, v127 :: v_dual_mul_f32 v82, s24, v126
	v_cndmask_b32_e64 v93, 0xff7fffff, v93, s2
	v_cmp_gt_i32_e64 s3, s33, v69
	v_cndmask_b32_e32 v92, 0xff7fffff, v92, vcc_lo
	v_cmp_gt_i32_e64 s4, s33, v70
	v_cmp_gt_i32_e64 s5, s33, v71
	v_or_b32_e32 v84, 12, v66
	v_or_b32_e32 v85, 14, v66
	v_dual_mul_f32 v79, s24, v129 :: v_dual_mul_f32 v80, s24, v128
	v_cndmask_b32_e64 v69, 0xff7fffff, v83, s3
	v_cndmask_b32_e64 v70, 0xff7fffff, v82, s4
	;; [unrolled: 1-line block ×3, first 2 shown]
	v_cmp_gt_i32_e64 s6, s33, v72
	v_lshlrev_b32_e32 v81, 2, v67
	v_max3_f32 v82, v93, 0xff7fffff, v92
	v_or_b32_e32 v86, 16, v66
	v_or_b32_e32 v87, 18, v66
	v_cndmask_b32_e64 v72, 0xff7fffff, v80, s6
	v_cmp_gt_i32_e64 s7, s33, v84
	v_max3_f32 v69, v82, v69, v70
	v_cmp_gt_i32_e64 s8, s33, v85
	v_or_b32_e32 v88, 20, v66
	v_or_b32_e32 v89, 22, v66
	;; [unrolled: 1-line block ×6, first 2 shown]
	v_dual_mul_f32 v99, s24, v117 :: v_dual_mul_f32 v68, s24, v116
	v_mul_f32_e32 v66, s24, v115
	v_cndmask_b32_e64 v70, 0xff7fffff, v79, s7
	v_cndmask_b32_e64 v78, 0xff7fffff, v78, s8
	v_max3_f32 v69, v69, v71, v72
	v_cmp_gt_i32_e64 s9, s33, v86
	v_cmp_gt_i32_e64 s10, s33, v87
	v_dual_mul_f32 v97, s24, v119 :: v_dual_mul_f32 v98, s24, v118
	s_delay_alu instid0(VALU_DEP_4) | instskip(NEXT) | instid1(VALU_DEP_4)
	v_max3_f32 v69, v69, v70, v78
	v_cndmask_b32_e64 v66, 0xff7fffff, v66, s9
	s_delay_alu instid0(VALU_DEP_4) | instskip(SKIP_3) | instid1(VALU_DEP_4)
	v_cndmask_b32_e64 v68, 0xff7fffff, v68, s10
	v_cmp_gt_i32_e64 s11, s33, v88
	v_cmp_gt_i32_e64 s12, s33, v89
	v_dual_mul_f32 v95, s24, v121 :: v_dual_mul_f32 v96, s24, v120
	v_max3_f32 v66, v69, v66, v68
	s_delay_alu instid0(VALU_DEP_4) | instskip(NEXT) | instid1(VALU_DEP_4)
	v_cndmask_b32_e64 v70, 0xff7fffff, v99, s11
	v_cndmask_b32_e64 v71, 0xff7fffff, v98, s12
	v_cmp_gt_i32_e64 s13, s33, v90
	v_cmp_gt_i32_e64 s16, s33, v91
	;; [unrolled: 1-line block ×4, first 2 shown]
	v_max3_f32 v66, v66, v70, v71
	v_cndmask_b32_e64 v68, 0xff7fffff, v97, s13
	v_cndmask_b32_e64 v69, 0xff7fffff, v96, s16
	;; [unrolled: 1-line block ×4, first 2 shown]
	s_delay_alu instid0(VALU_DEP_3) | instskip(NEXT) | instid1(VALU_DEP_1)
	v_max3_f32 v66, v66, v68, v69
	v_max3_f32 v66, v66, v70, v71
	ds_bpermute_b32 v67, v81, v66
	s_waitcnt lgkmcnt(0)
	v_max_f32_e32 v67, v67, v67
	s_delay_alu instid0(VALU_DEP_1) | instskip(NEXT) | instid1(VALU_DEP_1)
	v_max_f32_e32 v66, v66, v67
	v_fma_f32 v69, s24, v125, -v66
	s_delay_alu instid0(VALU_DEP_1) | instskip(NEXT) | instid1(VALU_DEP_1)
	v_mul_f32_e32 v69, 0x3fb8aa3b, v69
	v_exp_f32_e32 v69, v69
	s_waitcnt_depctr 0xfff
	v_cndmask_b32_e64 v82, 0, v69, s3
	v_fma_f32 v69, s24, v130, -v66
	s_mov_b32 s3, exec_lo
	s_delay_alu instid0(VALU_DEP_1)
	v_mul_f32_e32 v69, 0x3fb8aa3b, v69
	v_fma_f32 v67, s24, v123, -v66
	v_fma_f32 v68, s24, v124, -v66
	;; [unrolled: 1-line block ×5, first 2 shown]
	s_delay_alu instid0(VALU_DEP_4) | instskip(NEXT) | instid1(VALU_DEP_4)
	v_dual_mul_f32 v67, 0x3fb8aa3b, v67 :: v_dual_mul_f32 v68, 0x3fb8aa3b, v68
	v_mul_f32_e32 v70, 0x3fb8aa3b, v70
	v_exp_f32_e32 v69, v69
	v_fma_f32 v77, s24, v119, -v66
	s_delay_alu instid0(VALU_DEP_3)
	v_exp_f32_e32 v67, v67
	v_exp_f32_e32 v68, v68
	v_mul_f32_e32 v71, 0x3fb8aa3b, v71
	v_exp_f32_e32 v70, v70
	v_mul_f32_e32 v77, 0x3fb8aa3b, v77
	v_fma_f32 v88, s24, v122, -v66
	v_cndmask_b32_e64 v87, 0, v69, s8
	s_delay_alu instid0(VALU_DEP_3) | instskip(SKIP_1) | instid1(TRANS32_DEP_3)
	v_exp_f32_e32 v77, v77
	v_cndmask_b32_e64 v80, 0, v67, s2
	v_cndmask_b32_e32 v76, 0, v68, vcc_lo
	v_fma_f32 v67, s24, v128, -v66
	v_exp_f32_e32 v71, v71
	s_delay_alu instid0(TRANS32_DEP_3) | instskip(SKIP_3) | instid1(VALU_DEP_1)
	v_cndmask_b32_e64 v84, 0, v70, s4
	v_add_f32_e32 v68, 0, v80
	v_fma_f32 v70, s24, v115, -v66
	v_dual_mul_f32 v67, 0x3fb8aa3b, v67 :: v_dual_mul_f32 v88, 0x3fb8aa3b, v88
	v_exp_f32_e32 v67, v67
	s_waitcnt_depctr 0xfff
	v_cndmask_b32_e64 v85, 0, v71, s5
	v_fma_f32 v71, s24, v116, -v66
	s_delay_alu instid0(VALU_DEP_1) | instskip(NEXT) | instid1(VALU_DEP_1)
	v_dual_add_f32 v68, v68, v76 :: v_dual_mul_f32 v71, 0x3fb8aa3b, v71
	v_add_f32_e32 v68, v68, v82
	v_cndmask_b32_e64 v86, 0, v67, s6
	s_delay_alu instid0(VALU_DEP_3) | instskip(NEXT) | instid1(VALU_DEP_2)
	v_exp_f32_e32 v71, v71
	v_add_f32_e32 v68, v68, v84
	s_delay_alu instid0(VALU_DEP_1) | instskip(NEXT) | instid1(VALU_DEP_1)
	v_dual_mul_f32 v72, 0x3fb8aa3b, v72 :: v_dual_add_f32 v67, v68, v85
	v_exp_f32_e32 v72, v72
	v_fma_f32 v68, s24, v117, -v66
	s_delay_alu instid0(VALU_DEP_1)
	v_dual_add_f32 v67, v67, v86 :: v_dual_mul_f32 v68, 0x3fb8aa3b, v68
	s_waitcnt_depctr 0xfff
	v_cndmask_b32_e64 v83, 0, v72, s7
	v_fma_f32 v72, s24, v118, -v66
	v_exp_f32_e32 v78, v68
	v_cndmask_b32_e64 v68, 0, v71, s10
	v_fma_f32 v71, s24, v121, -v66
	v_dual_add_f32 v67, v67, v83 :: v_dual_mul_f32 v70, 0x3fb8aa3b, v70
	s_delay_alu instid0(VALU_DEP_1) | instskip(NEXT) | instid1(VALU_DEP_2)
	v_add_f32_e32 v67, v67, v87
	v_exp_f32_e32 v70, v70
	s_waitcnt_depctr 0xfff
	v_cndmask_b32_e64 v69, 0, v70, s9
	v_mul_f32_e32 v72, 0x3fb8aa3b, v72
	v_fma_f32 v70, s24, v120, -v66
	s_delay_alu instid0(VALU_DEP_3) | instskip(NEXT) | instid1(VALU_DEP_3)
	v_add_f32_e32 v67, v67, v69
	v_exp_f32_e32 v72, v72
	s_delay_alu instid0(VALU_DEP_2) | instskip(SKIP_1) | instid1(VALU_DEP_3)
	v_mul_f32_e32 v79, 0x3fb8aa3b, v70
	v_cndmask_b32_e64 v70, 0, v78, s11
	v_dual_mul_f32 v78, 0x3fb8aa3b, v71 :: v_dual_add_f32 v67, v67, v68
	s_delay_alu instid0(VALU_DEP_3) | instskip(NEXT) | instid1(VALU_DEP_1)
	v_exp_f32_e32 v79, v79
	v_exp_f32_e32 v78, v78
	s_delay_alu instid0(VALU_DEP_1) | instskip(NEXT) | instid1(TRANS32_DEP_3)
	v_add_f32_e32 v67, v67, v70
	v_cndmask_b32_e64 v71, 0, v72, s12
	v_cndmask_b32_e64 v72, 0, v77, s13
	s_delay_alu instid0(VALU_DEP_2)
	v_add_f32_e32 v67, v67, v71
	s_waitcnt_depctr 0xfff
	v_cndmask_b32_e64 v77, 0, v79, s16
	v_exp_f32_e32 v79, v88
	v_and_b32_e32 v88, 31, v0
	v_cndmask_b32_e64 v78, 0, v78, s17
	v_add_f32_e32 v67, v67, v72
	s_delay_alu instid0(VALU_DEP_3) | instskip(NEXT) | instid1(VALU_DEP_2)
	v_cmp_lt_u32_e64 s2, 15, v88
	v_add_f32_e32 v67, v67, v77
	s_waitcnt_depctr 0xfff
	v_cndmask_b32_e64 v79, 0, v79, s18
	v_add_f32_e32 v67, v67, v78
	s_delay_alu instid0(VALU_DEP_1)
	v_add_f32_e32 v67, v67, v79
	ds_bpermute_b32 v81, v81, v67
	v_cmpx_gt_u32_e32 16, v88
	s_cbranch_execz .LBB1742_11
; %bb.10:
	v_mul_u32_u24_e32 v88, 0x44, v65
	s_waitcnt lgkmcnt(0)
	v_add_f32_e32 v67, v67, v81
	s_delay_alu instid0(VALU_DEP_2) | instskip(NEXT) | instid1(VALU_DEP_1)
	v_lshl_add_u32 v88, v73, 2, v88
	v_add_nc_u32_e32 v81, 0x4000, v88
	ds_store_2addr_b32 v81, v66, v67 offset1:136
.LBB1742_11:
	s_or_b32 exec_lo, exec_lo, s3
	v_lshlrev_b32_e32 v66, 2, v73
	s_waitcnt lgkmcnt(0)
	s_barrier
	buffer_gl0_inv
	v_cmp_eq_u32_e32 vcc_lo, 1, v65
	v_add_nc_u32_e32 v81, 0x4000, v66
	v_cmp_eq_u32_e64 s3, 2, v65
	v_cmp_eq_u32_e64 s5, 7, v65
	ds_load_2addr_b32 v[88:89], v81 offset1:17
	ds_load_2addr_b32 v[90:91], v81 offset0:34 offset1:51
	ds_load_2addr_b32 v[92:93], v81 offset0:68 offset1:85
	;; [unrolled: 1-line block ×4, first 2 shown]
	s_waitcnt lgkmcnt(4)
	v_max3_f32 v66, v88, 0xff7fffff, v89
	s_waitcnt lgkmcnt(3)
	s_delay_alu instid0(VALU_DEP_1) | instskip(SKIP_1) | instid1(VALU_DEP_1)
	v_max3_f32 v66, v66, v90, v91
	s_waitcnt lgkmcnt(2)
	v_max3_f32 v66, v66, v92, v93
	s_waitcnt lgkmcnt(1)
	s_delay_alu instid0(VALU_DEP_1) | instskip(NEXT) | instid1(VALU_DEP_1)
	v_max3_f32 v66, v66, v94, v95
	v_sub_f32_e32 v92, v92, v66
	s_delay_alu instid0(VALU_DEP_1) | instskip(NEXT) | instid1(VALU_DEP_1)
	v_dual_sub_f32 v67, v88, v66 :: v_dual_mul_f32 v102, 0x3fb8aa3b, v92
	v_mul_f32_e32 v67, 0x3fb8aa3b, v67
	s_delay_alu instid0(VALU_DEP_1)
	v_exp_f32_e32 v99, v67
	v_sub_f32_e32 v67, v91, v66
	v_sub_f32_e32 v98, v89, v66
	ds_load_2addr_b32 v[88:89], v81 offset0:170 offset1:187
	v_dual_mul_f32 v101, 0x3fb8aa3b, v67 :: v_dual_mul_f32 v98, 0x3fb8aa3b, v98
	s_waitcnt lgkmcnt(1)
	v_fma_f32 v67, v99, v96, 0
	s_delay_alu instid0(VALU_DEP_2) | instskip(NEXT) | instid1(VALU_DEP_2)
	v_exp_f32_e32 v101, v101
	v_exp_f32_e32 v98, v98
	s_waitcnt_depctr 0xfff
	v_fmac_f32_e32 v67, v98, v97
	v_sub_f32_e32 v90, v90, v66
	s_delay_alu instid0(VALU_DEP_1)
	v_mul_f32_e32 v100, 0x3fb8aa3b, v90
	ds_load_2addr_b32 v[90:91], v81 offset0:204 offset1:221
	v_sub_f32_e32 v96, v93, v66
	ds_load_2addr_b32 v[92:93], v81 offset0:238 offset1:255
	s_waitcnt lgkmcnt(0)
	v_exp_f32_e32 v100, v100
	s_barrier
	buffer_gl0_inv
	v_dual_fmac_f32 v67, v100, v88 :: v_dual_sub_f32 v88, v95, v66
	v_dual_sub_f32 v81, v94, v66 :: v_dual_mul_f32 v94, 0x3fb8aa3b, v96
	v_exp_f32_e32 v96, v102
	s_delay_alu instid0(VALU_DEP_2) | instskip(NEXT) | instid1(VALU_DEP_2)
	v_dual_fmac_f32 v67, v101, v89 :: v_dual_mul_f32 v88, 0x3fb8aa3b, v88
	v_mul_f32_e32 v81, 0x3fb8aa3b, v81
	s_delay_alu instid0(VALU_DEP_3) | instskip(NEXT) | instid1(VALU_DEP_2)
	v_exp_f32_e32 v94, v94
	v_exp_f32_e32 v88, v88
	s_delay_alu instid0(VALU_DEP_1)
	v_exp_f32_e32 v81, v81
	v_fmac_f32_e32 v67, v96, v90
	s_delay_alu instid0(TRANS32_DEP_3) | instid1(VALU_DEP_1)
	v_fmac_f32_e32 v67, v94, v91
	s_waitcnt_depctr 0xfff
	v_fmac_f32_e32 v67, v81, v92
	s_delay_alu instid0(VALU_DEP_1) | instskip(NEXT) | instid1(VALU_DEP_1)
	v_fmac_f32_e32 v67, v88, v93
	v_add_f32_e32 v89, 0x358637bd, v67
	s_delay_alu instid0(VALU_DEP_1) | instskip(NEXT) | instid1(VALU_DEP_1)
	v_div_scale_f32 v90, null, v89, v89, 1.0
	v_rcp_f32_e32 v91, v90
	s_waitcnt_depctr 0xfff
	v_fma_f32 v92, -v90, v91, 1.0
	s_delay_alu instid0(VALU_DEP_1) | instskip(SKIP_1) | instid1(VALU_DEP_2)
	v_dual_fmac_f32 v91, v92, v91 :: v_dual_cndmask_b32 v92, v99, v98
	v_cmp_eq_u32_e32 vcc_lo, 3, v65
	v_cndmask_b32_e64 v92, v92, v100, s3
	v_cmp_eq_u32_e64 s3, 4, v65
	s_delay_alu instid0(VALU_DEP_2) | instskip(SKIP_1) | instid1(VALU_DEP_2)
	v_cndmask_b32_e32 v92, v92, v101, vcc_lo
	v_cmp_eq_u32_e32 vcc_lo, 5, v65
	v_cndmask_b32_e64 v92, v92, v96, s3
	v_cmp_eq_u32_e64 s3, 6, v65
	s_delay_alu instid0(VALU_DEP_2) | instskip(SKIP_1) | instid1(VALU_DEP_1)
	v_cndmask_b32_e32 v92, v92, v94, vcc_lo
	v_div_scale_f32 v93, s4, 1.0, v89, 1.0
	s_mov_b32 vcc_lo, s4
	s_delay_alu instid0(VALU_DEP_2) | instskip(NEXT) | instid1(VALU_DEP_2)
	v_cndmask_b32_e64 v81, v92, v81, s3
	v_mul_f32_e32 v95, v93, v91
	s_mov_b32 s3, exec_lo
	s_delay_alu instid0(VALU_DEP_2) | instskip(NEXT) | instid1(VALU_DEP_2)
	v_cndmask_b32_e64 v81, v81, v88, s5
	v_fma_f32 v97, -v90, v95, v93
	s_delay_alu instid0(VALU_DEP_1) | instskip(NEXT) | instid1(VALU_DEP_1)
	v_fmac_f32_e32 v95, v97, v91
	v_fma_f32 v90, -v90, v95, v93
	s_delay_alu instid0(VALU_DEP_1) | instskip(NEXT) | instid1(VALU_DEP_1)
	v_div_fmas_f32 v90, v90, v91, v95
	v_div_fixup_f32 v89, v90, v89, 1.0
	s_delay_alu instid0(VALU_DEP_1) | instskip(NEXT) | instid1(VALU_DEP_1)
	v_mul_f32_e32 v81, v81, v89
	v_mul_f32_e32 v89, v81, v80
	v_mul_f32_e32 v80, v81, v87
	v_mul_f32_e32 v83, v81, v83
	v_mul_f32_e32 v86, v81, v86
	v_mul_f32_e32 v87, v81, v85
	v_and_b32_e32 v90, 0x7f800000, v89
	v_mul_f32_e32 v88, v81, v84
	v_mul_f32_e32 v85, v81, v82
	;; [unrolled: 1-line block ×3, first 2 shown]
                                        ; implicit-def: $vgpr76
	s_delay_alu instid0(VALU_DEP_4)
	v_cmpx_ne_u32_e32 0x7f800000, v90
	s_xor_b32 s3, exec_lo, s3
; %bb.12:
	v_bfe_u32 v76, v89, 16, 1
	s_delay_alu instid0(VALU_DEP_1)
	v_add3_u32 v76, v89, v76, 0x7fff
                                        ; implicit-def: $vgpr89
; %bb.13:
	s_and_not1_saveexec_b32 s3, s3
; %bb.14:
	v_and_b32_e32 v76, 0xffff, v89
	v_or_b32_e32 v82, 0x10000, v89
	s_delay_alu instid0(VALU_DEP_2) | instskip(NEXT) | instid1(VALU_DEP_2)
	v_cmp_eq_u32_e32 vcc_lo, 0, v76
	v_cndmask_b32_e32 v76, v82, v89, vcc_lo
; %bb.15:
	s_or_b32 exec_lo, exec_lo, s3
	v_and_b32_e32 v82, 0x7f800000, v84
	s_delay_alu instid0(VALU_DEP_1) | instskip(SKIP_1) | instid1(SALU_CYCLE_1)
	v_cmp_ne_u32_e32 vcc_lo, 0x7f800000, v82
                                        ; implicit-def: $vgpr82
	s_and_saveexec_b32 s3, vcc_lo
	s_xor_b32 s3, exec_lo, s3
; %bb.16:
	v_bfe_u32 v82, v84, 16, 1
	s_delay_alu instid0(VALU_DEP_1)
	v_add3_u32 v82, v84, v82, 0x7fff
                                        ; implicit-def: $vgpr84
; %bb.17:
	s_and_not1_saveexec_b32 s3, s3
; %bb.18:
	v_and_b32_e32 v82, 0xffff, v84
	v_or_b32_e32 v89, 0x10000, v84
	s_delay_alu instid0(VALU_DEP_2) | instskip(NEXT) | instid1(VALU_DEP_2)
	v_cmp_eq_u32_e32 vcc_lo, 0, v82
	v_cndmask_b32_e32 v82, v89, v84, vcc_lo
; %bb.19:
	s_or_b32 exec_lo, exec_lo, s3
	v_and_b32_e32 v84, 0x7f800000, v85
	s_delay_alu instid0(VALU_DEP_1) | instskip(SKIP_1) | instid1(SALU_CYCLE_1)
	v_cmp_ne_u32_e32 vcc_lo, 0x7f800000, v84
                                        ; implicit-def: $vgpr84
	s_and_saveexec_b32 s3, vcc_lo
	s_xor_b32 s3, exec_lo, s3
; %bb.20:
	v_bfe_u32 v84, v85, 16, 1
	s_delay_alu instid0(VALU_DEP_1)
	v_add3_u32 v84, v85, v84, 0x7fff
                                        ; implicit-def: $vgpr85
; %bb.21:
	s_and_not1_saveexec_b32 s3, s3
; %bb.22:
	v_and_b32_e32 v84, 0xffff, v85
	v_or_b32_e32 v89, 0x10000, v85
	s_delay_alu instid0(VALU_DEP_2) | instskip(NEXT) | instid1(VALU_DEP_2)
	v_cmp_eq_u32_e32 vcc_lo, 0, v84
	v_cndmask_b32_e32 v84, v89, v85, vcc_lo
; %bb.23:
	s_or_b32 exec_lo, exec_lo, s3
	v_and_b32_e32 v85, 0x7f800000, v88
	s_delay_alu instid0(VALU_DEP_1) | instskip(SKIP_1) | instid1(SALU_CYCLE_1)
	v_cmp_ne_u32_e32 vcc_lo, 0x7f800000, v85
                                        ; implicit-def: $vgpr85
	s_and_saveexec_b32 s3, vcc_lo
	s_xor_b32 s3, exec_lo, s3
; %bb.24:
	v_bfe_u32 v85, v88, 16, 1
	s_delay_alu instid0(VALU_DEP_1)
	v_add3_u32 v85, v88, v85, 0x7fff
                                        ; implicit-def: $vgpr88
; %bb.25:
	s_and_not1_saveexec_b32 s3, s3
; %bb.26:
	v_and_b32_e32 v85, 0xffff, v88
	v_or_b32_e32 v89, 0x10000, v88
	s_delay_alu instid0(VALU_DEP_2) | instskip(NEXT) | instid1(VALU_DEP_2)
	v_cmp_eq_u32_e32 vcc_lo, 0, v85
	v_cndmask_b32_e32 v85, v89, v88, vcc_lo
; %bb.27:
	s_or_b32 exec_lo, exec_lo, s3
	v_and_b32_e32 v88, 0x7f800000, v87
	s_delay_alu instid0(VALU_DEP_1) | instskip(SKIP_1) | instid1(SALU_CYCLE_1)
	v_cmp_ne_u32_e32 vcc_lo, 0x7f800000, v88
                                        ; implicit-def: $vgpr88
	s_and_saveexec_b32 s3, vcc_lo
	s_xor_b32 s3, exec_lo, s3
; %bb.28:
	v_bfe_u32 v88, v87, 16, 1
	s_delay_alu instid0(VALU_DEP_1)
	v_add3_u32 v88, v87, v88, 0x7fff
                                        ; implicit-def: $vgpr87
; %bb.29:
	s_and_not1_saveexec_b32 s3, s3
; %bb.30:
	v_and_b32_e32 v88, 0xffff, v87
	v_or_b32_e32 v89, 0x10000, v87
	s_delay_alu instid0(VALU_DEP_2) | instskip(NEXT) | instid1(VALU_DEP_2)
	v_cmp_eq_u32_e32 vcc_lo, 0, v88
	v_cndmask_b32_e32 v88, v89, v87, vcc_lo
; %bb.31:
	s_or_b32 exec_lo, exec_lo, s3
	v_and_b32_e32 v87, 0x7f800000, v86
	s_delay_alu instid0(VALU_DEP_1) | instskip(SKIP_1) | instid1(SALU_CYCLE_1)
	v_cmp_ne_u32_e32 vcc_lo, 0x7f800000, v87
                                        ; implicit-def: $vgpr87
	s_and_saveexec_b32 s3, vcc_lo
	s_xor_b32 s3, exec_lo, s3
; %bb.32:
	v_bfe_u32 v87, v86, 16, 1
	s_delay_alu instid0(VALU_DEP_1)
	v_add3_u32 v87, v86, v87, 0x7fff
                                        ; implicit-def: $vgpr86
; %bb.33:
	s_and_not1_saveexec_b32 s3, s3
; %bb.34:
	v_and_b32_e32 v87, 0xffff, v86
	v_or_b32_e32 v89, 0x10000, v86
	s_delay_alu instid0(VALU_DEP_2) | instskip(NEXT) | instid1(VALU_DEP_2)
	v_cmp_eq_u32_e32 vcc_lo, 0, v87
	v_cndmask_b32_e32 v87, v89, v86, vcc_lo
; %bb.35:
	s_or_b32 exec_lo, exec_lo, s3
	v_and_b32_e32 v86, 0x7f800000, v83
	s_delay_alu instid0(VALU_DEP_1) | instskip(SKIP_1) | instid1(SALU_CYCLE_1)
	v_cmp_ne_u32_e32 vcc_lo, 0x7f800000, v86
                                        ; implicit-def: $vgpr86
	s_and_saveexec_b32 s3, vcc_lo
	s_xor_b32 s3, exec_lo, s3
; %bb.36:
	v_bfe_u32 v86, v83, 16, 1
	s_delay_alu instid0(VALU_DEP_1)
	v_add3_u32 v86, v83, v86, 0x7fff
                                        ; implicit-def: $vgpr83
; %bb.37:
	s_and_not1_saveexec_b32 s3, s3
; %bb.38:
	v_and_b32_e32 v86, 0xffff, v83
	v_or_b32_e32 v89, 0x10000, v83
	s_delay_alu instid0(VALU_DEP_2) | instskip(NEXT) | instid1(VALU_DEP_2)
	v_cmp_eq_u32_e32 vcc_lo, 0, v86
	v_cndmask_b32_e32 v86, v89, v83, vcc_lo
; %bb.39:
	s_or_b32 exec_lo, exec_lo, s3
	v_and_b32_e32 v83, 0x7f800000, v80
	s_delay_alu instid0(VALU_DEP_1) | instskip(SKIP_1) | instid1(SALU_CYCLE_1)
	v_cmp_ne_u32_e32 vcc_lo, 0x7f800000, v83
                                        ; implicit-def: $vgpr83
	s_and_saveexec_b32 s3, vcc_lo
	s_xor_b32 s3, exec_lo, s3
; %bb.40:
	v_bfe_u32 v83, v80, 16, 1
	s_delay_alu instid0(VALU_DEP_1)
	v_add3_u32 v83, v80, v83, 0x7fff
                                        ; implicit-def: $vgpr80
; %bb.41:
	s_and_not1_saveexec_b32 s3, s3
; %bb.42:
	v_and_b32_e32 v83, 0xffff, v80
	v_or_b32_e32 v89, 0x10000, v80
	s_delay_alu instid0(VALU_DEP_2) | instskip(NEXT) | instid1(VALU_DEP_2)
	v_cmp_eq_u32_e32 vcc_lo, 0, v83
	v_cndmask_b32_e32 v83, v89, v80, vcc_lo
; %bb.43:
	s_or_b32 exec_lo, exec_lo, s3
	s_load_b64 s[36:37], s[0:1], 0x94
	v_lshlrev_b32_e32 v90, 4, v75
	s_delay_alu instid0(VALU_DEP_2)
	v_perm_b32 v89, v83, v86, 0x7060302
	v_mul_f32_e32 v83, v81, v69
	v_dual_mul_f32 v69, v81, v79 :: v_dual_lshlrev_b32 v80, 6, v73
	v_dual_mul_f32 v78, v81, v78 :: v_dual_lshlrev_b32 v91, 11, v65
	v_perm_b32 v88, v87, v88, 0x7060302
	v_perm_b32 v87, v85, v84, 0x7060302
	;; [unrolled: 1-line block ×3, first 2 shown]
	s_delay_alu instid0(VALU_DEP_4)
	v_or3_b32 v76, v90, v91, v80
	v_dual_mul_f32 v77, v81, v77 :: v_dual_and_b32 v84, 0x7f800000, v83
	v_mul_f32_e32 v72, v81, v72
	v_mul_f32_e32 v82, v81, v71
	;; [unrolled: 1-line block ×4, first 2 shown]
	s_mov_b32 s3, exec_lo
	ds_store_b128 v76, v[86:89]
                                        ; implicit-def: $vgpr68
	v_cmpx_ne_u32_e32 0x7f800000, v84
	s_xor_b32 s3, exec_lo, s3
; %bb.44:
	v_bfe_u32 v68, v83, 16, 1
	s_delay_alu instid0(VALU_DEP_1)
	v_add3_u32 v68, v83, v68, 0x7fff
                                        ; implicit-def: $vgpr83
; %bb.45:
	s_and_not1_saveexec_b32 s3, s3
; %bb.46:
	v_and_b32_e32 v68, 0xffff, v83
	v_or_b32_e32 v70, 0x10000, v83
	s_delay_alu instid0(VALU_DEP_2) | instskip(NEXT) | instid1(VALU_DEP_2)
	v_cmp_eq_u32_e32 vcc_lo, 0, v68
	v_cndmask_b32_e32 v68, v70, v83, vcc_lo
; %bb.47:
	s_or_b32 exec_lo, exec_lo, s3
	v_and_b32_e32 v70, 0x7f800000, v71
	s_delay_alu instid0(VALU_DEP_1) | instskip(SKIP_1) | instid1(SALU_CYCLE_1)
	v_cmp_ne_u32_e32 vcc_lo, 0x7f800000, v70
                                        ; implicit-def: $vgpr70
	s_and_saveexec_b32 s3, vcc_lo
	s_xor_b32 s3, exec_lo, s3
; %bb.48:
	v_bfe_u32 v70, v71, 16, 1
	s_delay_alu instid0(VALU_DEP_1)
	v_add3_u32 v70, v71, v70, 0x7fff
                                        ; implicit-def: $vgpr71
; %bb.49:
	s_and_not1_saveexec_b32 s3, s3
; %bb.50:
	v_and_b32_e32 v70, 0xffff, v71
	v_or_b32_e32 v81, 0x10000, v71
	s_delay_alu instid0(VALU_DEP_2) | instskip(NEXT) | instid1(VALU_DEP_2)
	v_cmp_eq_u32_e32 vcc_lo, 0, v70
	v_cndmask_b32_e32 v70, v81, v71, vcc_lo
; %bb.51:
	s_or_b32 exec_lo, exec_lo, s3
	v_and_b32_e32 v71, 0x7f800000, v79
	s_delay_alu instid0(VALU_DEP_1) | instskip(SKIP_1) | instid1(SALU_CYCLE_1)
	v_cmp_ne_u32_e32 vcc_lo, 0x7f800000, v71
                                        ; implicit-def: $vgpr71
	s_and_saveexec_b32 s3, vcc_lo
	s_xor_b32 s3, exec_lo, s3
; %bb.52:
	v_bfe_u32 v71, v79, 16, 1
	s_delay_alu instid0(VALU_DEP_1)
	v_add3_u32 v71, v79, v71, 0x7fff
                                        ; implicit-def: $vgpr79
; %bb.53:
	s_and_not1_saveexec_b32 s3, s3
; %bb.54:
	v_and_b32_e32 v71, 0xffff, v79
	v_or_b32_e32 v81, 0x10000, v79
	s_delay_alu instid0(VALU_DEP_2) | instskip(NEXT) | instid1(VALU_DEP_2)
	v_cmp_eq_u32_e32 vcc_lo, 0, v71
	v_cndmask_b32_e32 v71, v81, v79, vcc_lo
; %bb.55:
	s_or_b32 exec_lo, exec_lo, s3
	v_and_b32_e32 v79, 0x7f800000, v82
	s_delay_alu instid0(VALU_DEP_1) | instskip(SKIP_1) | instid1(SALU_CYCLE_1)
	v_cmp_ne_u32_e32 vcc_lo, 0x7f800000, v79
                                        ; implicit-def: $vgpr79
	s_and_saveexec_b32 s3, vcc_lo
	s_xor_b32 s3, exec_lo, s3
; %bb.56:
	v_bfe_u32 v79, v82, 16, 1
	s_delay_alu instid0(VALU_DEP_1)
	v_add3_u32 v79, v82, v79, 0x7fff
                                        ; implicit-def: $vgpr82
; %bb.57:
	s_and_not1_saveexec_b32 s3, s3
; %bb.58:
	v_and_b32_e32 v79, 0xffff, v82
	v_or_b32_e32 v81, 0x10000, v82
	s_delay_alu instid0(VALU_DEP_2) | instskip(NEXT) | instid1(VALU_DEP_2)
	v_cmp_eq_u32_e32 vcc_lo, 0, v79
	v_cndmask_b32_e32 v79, v81, v82, vcc_lo
; %bb.59:
	s_or_b32 exec_lo, exec_lo, s3
	v_and_b32_e32 v81, 0x7f800000, v72
	s_delay_alu instid0(VALU_DEP_1) | instskip(SKIP_1) | instid1(SALU_CYCLE_1)
	v_cmp_ne_u32_e32 vcc_lo, 0x7f800000, v81
                                        ; implicit-def: $vgpr81
	s_and_saveexec_b32 s3, vcc_lo
	s_xor_b32 s3, exec_lo, s3
; %bb.60:
	v_bfe_u32 v81, v72, 16, 1
	s_delay_alu instid0(VALU_DEP_1)
	v_add3_u32 v81, v72, v81, 0x7fff
                                        ; implicit-def: $vgpr72
; %bb.61:
	s_and_not1_saveexec_b32 s3, s3
; %bb.62:
	v_and_b32_e32 v81, 0xffff, v72
	v_or_b32_e32 v82, 0x10000, v72
	s_delay_alu instid0(VALU_DEP_2) | instskip(NEXT) | instid1(VALU_DEP_2)
	v_cmp_eq_u32_e32 vcc_lo, 0, v81
	v_cndmask_b32_e32 v81, v82, v72, vcc_lo
; %bb.63:
	s_or_b32 exec_lo, exec_lo, s3
	v_and_b32_e32 v72, 0x7f800000, v77
	s_delay_alu instid0(VALU_DEP_1) | instskip(SKIP_1) | instid1(SALU_CYCLE_1)
	v_cmp_ne_u32_e32 vcc_lo, 0x7f800000, v72
                                        ; implicit-def: $vgpr72
	s_and_saveexec_b32 s3, vcc_lo
	s_xor_b32 s3, exec_lo, s3
; %bb.64:
	v_bfe_u32 v72, v77, 16, 1
	s_delay_alu instid0(VALU_DEP_1)
	v_add3_u32 v72, v77, v72, 0x7fff
                                        ; implicit-def: $vgpr77
; %bb.65:
	s_and_not1_saveexec_b32 s3, s3
; %bb.66:
	v_and_b32_e32 v72, 0xffff, v77
	v_or_b32_e32 v82, 0x10000, v77
	s_delay_alu instid0(VALU_DEP_2) | instskip(NEXT) | instid1(VALU_DEP_2)
	v_cmp_eq_u32_e32 vcc_lo, 0, v72
	v_cndmask_b32_e32 v72, v82, v77, vcc_lo
; %bb.67:
	s_or_b32 exec_lo, exec_lo, s3
	v_and_b32_e32 v77, 0x7f800000, v78
	s_delay_alu instid0(VALU_DEP_1) | instskip(SKIP_1) | instid1(SALU_CYCLE_1)
	v_cmp_ne_u32_e32 vcc_lo, 0x7f800000, v77
                                        ; implicit-def: $vgpr77
	s_and_saveexec_b32 s3, vcc_lo
	s_xor_b32 s3, exec_lo, s3
; %bb.68:
	v_bfe_u32 v77, v78, 16, 1
	s_delay_alu instid0(VALU_DEP_1)
	v_add3_u32 v77, v78, v77, 0x7fff
                                        ; implicit-def: $vgpr78
; %bb.69:
	s_and_not1_saveexec_b32 s3, s3
; %bb.70:
	v_and_b32_e32 v77, 0xffff, v78
	v_or_b32_e32 v82, 0x10000, v78
	s_delay_alu instid0(VALU_DEP_2) | instskip(NEXT) | instid1(VALU_DEP_2)
	v_cmp_eq_u32_e32 vcc_lo, 0, v77
	v_cndmask_b32_e32 v77, v82, v78, vcc_lo
; %bb.71:
	s_or_b32 exec_lo, exec_lo, s3
	v_and_b32_e32 v78, 0x7f800000, v69
	s_delay_alu instid0(VALU_DEP_1) | instskip(SKIP_1) | instid1(SALU_CYCLE_1)
	v_cmp_ne_u32_e32 vcc_lo, 0x7f800000, v78
                                        ; implicit-def: $vgpr78
	s_and_saveexec_b32 s3, vcc_lo
	s_xor_b32 s3, exec_lo, s3
; %bb.72:
	v_bfe_u32 v78, v69, 16, 1
	s_delay_alu instid0(VALU_DEP_1)
	v_add3_u32 v78, v69, v78, 0x7fff
                                        ; implicit-def: $vgpr69
; %bb.73:
	s_and_not1_saveexec_b32 s3, s3
; %bb.74:
	v_and_b32_e32 v78, 0xffff, v69
	v_or_b32_e32 v82, 0x10000, v69
	s_delay_alu instid0(VALU_DEP_2) | instskip(NEXT) | instid1(VALU_DEP_2)
	v_cmp_eq_u32_e32 vcc_lo, 0, v78
	v_cndmask_b32_e32 v78, v82, v69, vcc_lo
; %bb.75:
	s_or_b32 exec_lo, exec_lo, s3
	s_delay_alu instid0(VALU_DEP_1)
	v_perm_b32 v86, v78, v77, 0x7060302
	v_perm_b32 v85, v72, v81, 0x7060302
	v_perm_b32 v84, v79, v71, 0x7060302
	v_perm_b32 v83, v70, v68, 0x7060302
	v_lshl_or_b32 v82, v65, 11, v80
	ds_store_b128 v76, v[83:86] offset:1024
	s_waitcnt lgkmcnt(0)
	s_barrier
	buffer_gl0_inv
	ds_load_b128 v[68:71], v82
	ds_load_b128 v[83:86], v82 offset:16
	s_waitcnt lgkmcnt(1)
	v_lshrrev_b32_e32 v65, 16, v68
	v_lshlrev_b32_e32 v78, 2, v75
	s_waitcnt lgkmcnt(0)
	v_lshrrev_b32_e32 v91, 16, v83
	v_lshrrev_b32_e32 v72, 16, v69
	;; [unrolled: 1-line block ×4, first 2 shown]
	v_cmp_eq_u32_e32 vcc_lo, 1, v78
	v_lshrrev_b32_e32 v98, 16, v85
	v_lshrrev_b32_e32 v96, 16, v71
	;; [unrolled: 1-line block ×3, first 2 shown]
	v_cndmask_b32_e32 v81, v68, v65, vcc_lo
	v_or_b32_e32 v79, 1, v78
	v_cmp_eq_u32_e64 s4, 2, v78
	v_cndmask_b32_e32 v87, v83, v91, vcc_lo
	v_cmp_eq_u32_e64 s7, 3, v78
	v_cmp_eq_u32_e64 s9, 4, v78
	;; [unrolled: 1-line block ×3, first 2 shown]
	v_cndmask_b32_e64 v81, v81, v69, s4
	v_cmp_eq_u32_e64 s6, 2, v79
	v_cndmask_b32_e64 v87, v87, v84, s4
	v_cmp_eq_u32_e64 s8, 3, v79
	v_cndmask_b32_e64 v88, v68, v65, s3
	v_cndmask_b32_e64 v81, v81, v72, s7
	v_or_b32_e32 v77, 2, v78
	v_cndmask_b32_e64 v87, v87, v97, s7
	v_cndmask_b32_e64 v89, v83, v91, s3
	;; [unrolled: 1-line block ×4, first 2 shown]
	v_cmp_eq_u32_e64 s10, 5, v78
	v_cndmask_b32_e64 v87, v87, v85, s9
	v_cmp_eq_u32_e64 s11, 4, v79
	v_cndmask_b32_e64 v88, v88, v72, s8
	;; [unrolled: 2-line block ×3, first 2 shown]
	v_cndmask_b32_e64 v81, v81, v95, s10
	v_cmp_eq_u32_e64 s12, 6, v78
	v_cndmask_b32_e64 v88, v88, v70, s11
	v_cndmask_b32_e64 v87, v87, v98, s10
	v_cmp_eq_u32_e64 s13, 5, v79
	v_cndmask_b32_e64 v90, v68, v65, s5
	v_cndmask_b32_e64 v89, v89, v97, s8
	;; [unrolled: 1-line block ×3, first 2 shown]
	v_cmp_eq_u32_e64 s16, 7, v78
	v_cndmask_b32_e64 v88, v88, v95, s13
	v_cndmask_b32_e64 v87, v87, v86, s12
	v_cmp_eq_u32_e64 s17, 6, v79
	v_cmp_eq_u32_e64 s18, 2, v77
	v_cndmask_b32_e64 v89, v89, v85, s11
	v_cndmask_b32_e64 v100, v81, v96, s16
	;; [unrolled: 1-line block ×6, first 2 shown]
	v_cmp_eq_u32_e64 s19, 7, v79
	v_cmp_eq_u32_e64 s20, 3, v77
	;; [unrolled: 1-line block ×4, first 2 shown]
	v_cndmask_b32_e64 v87, v87, v84, s18
	v_cndmask_b32_e64 v102, v88, v96, s19
	;; [unrolled: 1-line block ×4, first 2 shown]
	v_or_b32_e32 v81, 3, v78
	v_cndmask_b32_e64 v93, v87, v97, s20
	v_cmp_eq_u32_e64 s25, 6, v77
	v_cndmask_b32_e64 v103, v88, v86, s17
	v_cndmask_b32_e64 v92, v89, v70, s21
	v_cmp_eq_u32_e64 s22, 1, v81
	ds_load_b128 v[87:90], v82 offset:1024
	v_cmp_eq_u32_e64 s24, 2, v81
	v_cmp_eq_u32_e64 s26, 3, v81
	v_cndmask_b32_e64 v104, v92, v95, s23
	v_cndmask_b32_e64 v65, v68, v65, s22
	;; [unrolled: 1-line block ×4, first 2 shown]
	ds_load_b128 v[91:94], v82 offset:1040
	v_cmp_eq_u32_e64 s27, 4, v81
	v_cndmask_b32_e64 v65, v65, v69, s24
	v_cmp_eq_u32_e64 s29, 5, v81
	v_cndmask_b32_e64 v69, v83, v84, s24
	v_cmp_eq_u32_e64 s28, 7, v77
	v_cmp_eq_u32_e64 s30, 6, v81
	v_cndmask_b32_e64 v65, v65, v72, s26
	v_cndmask_b32_e64 v72, v104, v71, s25
	v_cndmask_b32_e64 v69, v69, v97, s26
	v_cndmask_b32_e64 v68, v68, v98, s23
	v_cndmask_b32_e64 v83, v103, v99, s19
	v_cndmask_b32_e64 v65, v65, v70, s27
	s_waitcnt lgkmcnt(1)
	v_lshrrev_b32_e32 v84, 16, v87
	v_cndmask_b32_e64 v69, v69, v85, s27
	v_cndmask_b32_e64 v70, v72, v96, s28
	;; [unrolled: 1-line block ×4, first 2 shown]
	v_lshrrev_b32_e32 v95, 16, v88
	v_cndmask_b32_e64 v69, v69, v98, s29
	s_waitcnt lgkmcnt(0)
	v_lshrrev_b32_e32 v85, 16, v91
	v_cndmask_b32_e64 v97, v87, v84, s3
	v_cndmask_b32_e64 v65, v65, v71, s30
	;; [unrolled: 1-line block ×4, first 2 shown]
	v_cndmask_b32_e32 v72, v87, v84, vcc_lo
	v_cndmask_b32_e32 v98, v91, v85, vcc_lo
	v_cmp_eq_u32_e32 vcc_lo, 7, v81
	v_perm_b32 v70, v68, v70, 0x5040100
	v_cndmask_b32_e32 v65, v65, v96, vcc_lo
	v_cndmask_b32_e32 v69, v69, v99, vcc_lo
	v_cndmask_b32_e64 v72, v72, v88, s4
	v_cndmask_b32_e64 v86, v98, v92, s4
	v_lshrrev_b32_e32 v99, 16, v93
	v_lshrrev_b32_e32 v98, 16, v89
	s_delay_alu instid0(VALU_DEP_4) | instskip(SKIP_2) | instid1(VALU_DEP_3)
	v_cndmask_b32_e64 v71, v72, v95, s7
	v_cndmask_b32_e64 v72, v97, v88, s6
	v_lshrrev_b32_e32 v97, 16, v92
	v_cndmask_b32_e64 v71, v71, v89, s9
	s_delay_alu instid0(VALU_DEP_3) | instskip(NEXT) | instid1(VALU_DEP_3)
	v_cndmask_b32_e64 v72, v72, v95, s8
	v_cndmask_b32_e64 v86, v86, v97, s7
	s_delay_alu instid0(VALU_DEP_3) | instskip(SKIP_1) | instid1(VALU_DEP_3)
	v_cndmask_b32_e64 v96, v71, v98, s10
	v_perm_b32 v71, v69, v65, 0x5040100
	v_cndmask_b32_e64 v86, v86, v93, s9
	v_perm_b32 v69, v83, v102, 0x5040100
	v_cndmask_b32_e64 v102, v91, v85, s5
	v_cndmask_b32_e64 v72, v72, v89, s11
	v_lshrrev_b32_e32 v83, 16, v94
	v_cndmask_b32_e64 v86, v86, v99, s10
	s_delay_alu instid0(VALU_DEP_3) | instskip(SKIP_1) | instid1(VALU_DEP_3)
	v_cndmask_b32_e64 v65, v72, v98, s13
	v_cndmask_b32_e64 v72, v96, v90, s12
	;; [unrolled: 1-line block ×7, first 2 shown]
	v_lshrrev_b32_e32 v96, 16, v90
	v_cndmask_b32_e64 v86, v86, v88, s18
	v_cndmask_b32_e64 v84, v84, v88, s24
	;; [unrolled: 1-line block ×29, first 2 shown]
	v_cndmask_b32_e32 v84, v84, v96, vcc_lo
	v_cndmask_b32_e32 v86, v87, v83, vcc_lo
	v_cndmask_b32_e64 v87, v88, v83, s28
	v_cndmask_b32_e64 v88, v85, v83, s19
	;; [unrolled: 1-line block ×3, first 2 shown]
	v_perm_b32 v68, v101, v100, 0x5040100
	v_perm_b32 v86, v86, v84, 0x5040100
	;; [unrolled: 1-line block ×5, first 2 shown]
	s_mov_b32 s3, exec_lo
	ds_store_b128 v76, v[68:71]
	ds_store_b128 v76, v[83:86] offset:1024
	v_cmpx_eq_u32_e32 0, v0
	s_cbranch_execz .LBB1742_77
; %bb.76:
	s_load_b128 s[4:7], s[0:1], 0x58
	s_mul_i32 s8, s37, s34
	v_mov_b32_e32 v65, 0
	s_add_i32 s8, s8, s15
	s_delay_alu instid0(SALU_CYCLE_1) | instskip(NEXT) | instid1(SALU_CYCLE_1)
	s_mul_i32 s8, s8, s36
	s_add_i32 s8, s8, s14
	s_delay_alu instid0(SALU_CYCLE_1) | instskip(NEXT) | instid1(SALU_CYCLE_1)
	s_ashr_i32 s9, s8, 31
	s_lshl_b64 s[8:9], s[8:9], 2
	s_waitcnt lgkmcnt(0)
	s_add_u32 s6, s6, s8
	s_addc_u32 s7, s7, s9
	s_add_u32 s4, s4, s8
	s_addc_u32 s5, s5, s9
	s_clause 0x1
	global_store_b32 v65, v66, s[6:7]
	global_store_b32 v65, v67, s[4:5]
.LBB1742_77:
	s_or_b32 exec_lo, exec_lo, s3
	s_waitcnt lgkmcnt(0)
	s_waitcnt_vscnt null, 0x0
	s_barrier
	buffer_gl0_inv
	ds_load_b128 v[83:86], v80
	ds_load_b128 v[87:90], v80 offset:16
	ds_load_b128 v[95:98], v80 offset:2064
	ds_load_b128 v[91:94], v80 offset:2048
	v_mov_b32_e32 v65, 0
	ds_load_b128 v[103:106], v80 offset:4112
	ds_load_b128 v[99:102], v80 offset:4096
	;; [unrolled: 1-line block ×4, first 2 shown]
	v_mov_b32_e32 v66, v65
	v_mov_b32_e32 v67, v65
	v_mov_b32_e32 v68, v65
	v_mov_b32_e32 v69, v65
	v_mov_b32_e32 v70, v65
	v_mov_b32_e32 v71, v65
	v_mov_b32_e32 v72, v65
	s_waitcnt lgkmcnt(6)
	s_delay_alu instid0(VALU_DEP_1)
	v_wmma_f32_16x16x16_bf16 v[65:72], v[49:56], v[83:90], v[65:72]
	ds_load_b128 v[53:56], v80 offset:8208
	ds_load_b128 v[49:52], v80 offset:8192
	s_waitcnt lgkmcnt(6)
	v_wmma_f32_16x16x16_bf16 v[65:72], v[41:48], v[91:98], v[65:72]
	ds_load_b128 v[45:48], v80 offset:10256
	ds_load_b128 v[41:44], v80 offset:10240
	s_waitcnt lgkmcnt(6)
	;; [unrolled: 4-line block ×4, first 2 shown]
	v_wmma_f32_16x16x16_bf16 v[65:72], v[1:8], v[49:56], v[65:72]
	s_waitcnt lgkmcnt(4)
	s_delay_alu instid0(VALU_DEP_1) | instskip(SKIP_1) | instid1(VALU_DEP_1)
	v_wmma_f32_16x16x16_bf16 v[65:72], v[9:16], v[41:48], v[65:72]
	s_waitcnt lgkmcnt(2)
	v_wmma_f32_16x16x16_bf16 v[65:72], v[17:24], v[33:40], v[65:72]
	s_waitcnt lgkmcnt(0)
	s_delay_alu instid0(VALU_DEP_1) | instskip(NEXT) | instid1(VALU_DEP_1)
	v_wmma_f32_16x16x16_bf16 v[65:72], v[57:64], v[25:32], v[65:72]
	v_and_b32_e32 v1, 0x7f800000, v65
	s_delay_alu instid0(VALU_DEP_1) | instskip(SKIP_1) | instid1(SALU_CYCLE_1)
	v_cmp_ne_u32_e32 vcc_lo, 0x7f800000, v1
                                        ; implicit-def: $vgpr1
	s_and_saveexec_b32 s3, vcc_lo
	s_xor_b32 s3, exec_lo, s3
; %bb.78:
	v_bfe_u32 v1, v65, 16, 1
	s_delay_alu instid0(VALU_DEP_1)
	v_add3_u32 v1, v65, v1, 0x7fff
; %bb.79:
	s_and_not1_saveexec_b32 s3, s3
; %bb.80:
	v_and_b32_e32 v1, 0xffff, v65
	v_or_b32_e32 v2, 0x10000, v65
	s_delay_alu instid0(VALU_DEP_2) | instskip(NEXT) | instid1(VALU_DEP_2)
	v_cmp_eq_u32_e32 vcc_lo, 0, v1
	v_cndmask_b32_e32 v1, v2, v65, vcc_lo
; %bb.81:
	s_or_b32 exec_lo, exec_lo, s3
	v_and_b32_e32 v2, 0x7f800000, v66
	s_delay_alu instid0(VALU_DEP_1) | instskip(SKIP_1) | instid1(SALU_CYCLE_1)
	v_cmp_ne_u32_e32 vcc_lo, 0x7f800000, v2
                                        ; implicit-def: $vgpr2
	s_and_saveexec_b32 s3, vcc_lo
	s_xor_b32 s3, exec_lo, s3
; %bb.82:
	v_bfe_u32 v2, v66, 16, 1
	s_delay_alu instid0(VALU_DEP_1)
	v_add3_u32 v2, v66, v2, 0x7fff
; %bb.83:
	s_and_not1_saveexec_b32 s3, s3
; %bb.84:
	v_and_b32_e32 v2, 0xffff, v66
	v_or_b32_e32 v3, 0x10000, v66
	s_delay_alu instid0(VALU_DEP_2) | instskip(NEXT) | instid1(VALU_DEP_2)
	v_cmp_eq_u32_e32 vcc_lo, 0, v2
	v_cndmask_b32_e32 v2, v3, v66, vcc_lo
; %bb.85:
	s_or_b32 exec_lo, exec_lo, s3
	v_and_b32_e32 v3, 0x7f800000, v67
	s_delay_alu instid0(VALU_DEP_1) | instskip(SKIP_1) | instid1(SALU_CYCLE_1)
	v_cmp_ne_u32_e32 vcc_lo, 0x7f800000, v3
                                        ; implicit-def: $vgpr3
	s_and_saveexec_b32 s3, vcc_lo
	s_xor_b32 s3, exec_lo, s3
; %bb.86:
	v_bfe_u32 v3, v67, 16, 1
	s_delay_alu instid0(VALU_DEP_1)
	v_add3_u32 v3, v67, v3, 0x7fff
; %bb.87:
	s_and_not1_saveexec_b32 s3, s3
; %bb.88:
	v_and_b32_e32 v3, 0xffff, v67
	v_or_b32_e32 v4, 0x10000, v67
	s_delay_alu instid0(VALU_DEP_2) | instskip(NEXT) | instid1(VALU_DEP_2)
	v_cmp_eq_u32_e32 vcc_lo, 0, v3
	v_cndmask_b32_e32 v3, v4, v67, vcc_lo
; %bb.89:
	s_or_b32 exec_lo, exec_lo, s3
	v_and_b32_e32 v4, 0x7f800000, v68
	s_delay_alu instid0(VALU_DEP_1) | instskip(SKIP_1) | instid1(SALU_CYCLE_1)
	v_cmp_ne_u32_e32 vcc_lo, 0x7f800000, v4
                                        ; implicit-def: $vgpr4
	s_and_saveexec_b32 s3, vcc_lo
	s_xor_b32 s3, exec_lo, s3
; %bb.90:
	v_bfe_u32 v4, v68, 16, 1
	s_delay_alu instid0(VALU_DEP_1)
	v_add3_u32 v4, v68, v4, 0x7fff
; %bb.91:
	s_and_not1_saveexec_b32 s3, s3
; %bb.92:
	v_and_b32_e32 v4, 0xffff, v68
	v_or_b32_e32 v5, 0x10000, v68
	s_delay_alu instid0(VALU_DEP_2) | instskip(NEXT) | instid1(VALU_DEP_2)
	v_cmp_eq_u32_e32 vcc_lo, 0, v4
	v_cndmask_b32_e32 v4, v5, v68, vcc_lo
; %bb.93:
	s_or_b32 exec_lo, exec_lo, s3
	v_and_b32_e32 v5, 0x7f800000, v69
	s_delay_alu instid0(VALU_DEP_1) | instskip(SKIP_1) | instid1(SALU_CYCLE_1)
	v_cmp_ne_u32_e32 vcc_lo, 0x7f800000, v5
                                        ; implicit-def: $vgpr5
	s_and_saveexec_b32 s3, vcc_lo
	s_xor_b32 s3, exec_lo, s3
; %bb.94:
	v_bfe_u32 v5, v69, 16, 1
	s_delay_alu instid0(VALU_DEP_1)
	v_add3_u32 v5, v69, v5, 0x7fff
; %bb.95:
	s_and_not1_saveexec_b32 s3, s3
; %bb.96:
	v_and_b32_e32 v5, 0xffff, v69
	v_or_b32_e32 v6, 0x10000, v69
	s_delay_alu instid0(VALU_DEP_2) | instskip(NEXT) | instid1(VALU_DEP_2)
	v_cmp_eq_u32_e32 vcc_lo, 0, v5
	v_cndmask_b32_e32 v5, v6, v69, vcc_lo
; %bb.97:
	s_or_b32 exec_lo, exec_lo, s3
	v_and_b32_e32 v6, 0x7f800000, v70
	s_delay_alu instid0(VALU_DEP_1) | instskip(SKIP_1) | instid1(SALU_CYCLE_1)
	v_cmp_ne_u32_e32 vcc_lo, 0x7f800000, v6
                                        ; implicit-def: $vgpr6
	s_and_saveexec_b32 s3, vcc_lo
	s_xor_b32 s3, exec_lo, s3
; %bb.98:
	v_bfe_u32 v6, v70, 16, 1
	s_delay_alu instid0(VALU_DEP_1)
	v_add3_u32 v6, v70, v6, 0x7fff
; %bb.99:
	s_and_not1_saveexec_b32 s3, s3
; %bb.100:
	v_and_b32_e32 v6, 0xffff, v70
	v_or_b32_e32 v7, 0x10000, v70
	s_delay_alu instid0(VALU_DEP_2) | instskip(NEXT) | instid1(VALU_DEP_2)
	v_cmp_eq_u32_e32 vcc_lo, 0, v6
	v_cndmask_b32_e32 v6, v7, v70, vcc_lo
; %bb.101:
	s_or_b32 exec_lo, exec_lo, s3
	v_and_b32_e32 v7, 0x7f800000, v71
	s_delay_alu instid0(VALU_DEP_1) | instskip(SKIP_1) | instid1(SALU_CYCLE_1)
	v_cmp_ne_u32_e32 vcc_lo, 0x7f800000, v7
                                        ; implicit-def: $vgpr7
	s_and_saveexec_b32 s3, vcc_lo
	s_xor_b32 s3, exec_lo, s3
; %bb.102:
	v_bfe_u32 v7, v71, 16, 1
	s_delay_alu instid0(VALU_DEP_1)
	v_add3_u32 v7, v71, v7, 0x7fff
; %bb.103:
	s_and_not1_saveexec_b32 s3, s3
; %bb.104:
	v_and_b32_e32 v7, 0xffff, v71
	v_or_b32_e32 v8, 0x10000, v71
	s_delay_alu instid0(VALU_DEP_2) | instskip(NEXT) | instid1(VALU_DEP_2)
	v_cmp_eq_u32_e32 vcc_lo, 0, v7
	v_cndmask_b32_e32 v7, v8, v71, vcc_lo
; %bb.105:
	s_or_b32 exec_lo, exec_lo, s3
	v_and_b32_e32 v8, 0x7f800000, v72
	s_delay_alu instid0(VALU_DEP_1) | instskip(SKIP_1) | instid1(SALU_CYCLE_1)
	v_cmp_ne_u32_e32 vcc_lo, 0x7f800000, v8
                                        ; implicit-def: $vgpr8
	s_and_saveexec_b32 s3, vcc_lo
	s_xor_b32 s3, exec_lo, s3
; %bb.106:
	v_bfe_u32 v8, v72, 16, 1
	s_delay_alu instid0(VALU_DEP_1)
	v_add3_u32 v8, v72, v8, 0x7fff
                                        ; implicit-def: $vgpr65_vgpr66_vgpr67_vgpr68_vgpr69_vgpr70_vgpr71_vgpr72
; %bb.107:
	s_and_not1_saveexec_b32 s3, s3
; %bb.108:
	v_and_b32_e32 v8, 0xffff, v72
	v_or_b32_e32 v9, 0x10000, v72
	s_delay_alu instid0(VALU_DEP_2) | instskip(NEXT) | instid1(VALU_DEP_2)
	v_cmp_eq_u32_e32 vcc_lo, 0, v8
	v_cndmask_b32_e32 v8, v9, v72, vcc_lo
; %bb.109:
	s_or_b32 exec_lo, exec_lo, s3
	s_delay_alu instid0(VALU_DEP_1)
	v_perm_b32 v7, v8, v7, 0x7060302
	v_perm_b32 v6, v6, v5, 0x7060302
	;; [unrolled: 1-line block ×4, first 2 shown]
	s_barrier
	buffer_gl0_inv
	v_cmp_eq_u32_e32 vcc_lo, 1, v78
	ds_store_b128 v76, v[4:7]
	s_waitcnt lgkmcnt(0)
	s_barrier
	buffer_gl0_inv
	ds_load_b128 v[1:4], v82
	ds_load_b128 v[5:8], v82 offset:16
	v_cmp_eq_u32_e64 s3, 1, v79
	v_cmp_eq_u32_e64 s4, 2, v78
	;; [unrolled: 1-line block ×5, first 2 shown]
	s_waitcnt lgkmcnt(1)
	v_lshrrev_b32_e32 v9, 16, v1
	s_waitcnt lgkmcnt(0)
	v_lshrrev_b32_e32 v13, 16, v5
	v_lshrrev_b32_e32 v10, 16, v2
	;; [unrolled: 1-line block ×4, first 2 shown]
	v_cndmask_b32_e64 v19, v1, v9, s3
	v_cndmask_b32_e32 v18, v5, v13, vcc_lo
	v_cndmask_b32_e64 v20, v5, v13, s3
	v_cndmask_b32_e32 v17, v1, v9, vcc_lo
	v_cmp_eq_u32_e32 vcc_lo, 2, v79
	v_lshrrev_b32_e32 v15, 16, v7
	v_cmp_eq_u32_e64 s3, 1, v77
	v_lshrrev_b32_e32 v12, 16, v4
	v_lshrrev_b32_e32 v16, 16, v8
	v_cndmask_b32_e32 v20, v20, v6, vcc_lo
	v_cndmask_b32_e64 v17, v17, v2, s4
	v_cndmask_b32_e32 v19, v19, v2, vcc_lo
	v_cndmask_b32_e64 v18, v18, v6, s4
	v_cmp_eq_u32_e32 vcc_lo, 4, v78
	v_cmp_eq_u32_e64 s4, 3, v79
	v_cndmask_b32_e64 v17, v17, v10, s5
	v_cndmask_b32_e64 v21, v1, v9, s3
	;; [unrolled: 1-line block ×5, first 2 shown]
	v_cndmask_b32_e32 v17, v17, v3, vcc_lo
	v_cndmask_b32_e64 v20, v20, v14, s4
	v_cndmask_b32_e32 v18, v18, v7, vcc_lo
	v_cmp_eq_u32_e32 vcc_lo, 4, v79
	v_cmp_eq_u32_e64 s4, 5, v79
	v_cmp_eq_u32_e64 s3, 2, v81
	v_cndmask_b32_e64 v21, v21, v2, s7
	v_cmp_eq_u32_e64 s5, 5, v78
	v_cndmask_b32_e32 v19, v19, v3, vcc_lo
	v_cndmask_b32_e32 v20, v20, v7, vcc_lo
	v_cmp_eq_u32_e32 vcc_lo, 6, v79
	s_delay_alu instid0(VALU_DEP_4) | instskip(NEXT) | instid1(VALU_DEP_4)
	v_cndmask_b32_e64 v17, v17, v11, s5
	v_cndmask_b32_e64 v19, v19, v11, s4
	s_delay_alu instid0(VALU_DEP_4) | instskip(SKIP_1) | instid1(VALU_DEP_3)
	v_cndmask_b32_e64 v20, v20, v15, s4
	v_cmp_eq_u32_e64 s4, 1, v81
	v_cndmask_b32_e32 v19, v19, v4, vcc_lo
	v_cndmask_b32_e64 v18, v18, v15, s5
	s_delay_alu instid0(VALU_DEP_3)
	v_cndmask_b32_e64 v1, v1, v9, s4
	v_cndmask_b32_e64 v5, v5, v13, s4
	v_cmp_eq_u32_e64 s4, 3, v77
	v_cndmask_b32_e64 v13, v22, v6, s7
	v_cmp_eq_u32_e64 s7, 3, v81
	v_cndmask_b32_e64 v1, v1, v2, s3
	v_cndmask_b32_e64 v2, v5, v6, s3
	;; [unrolled: 1-line block ×3, first 2 shown]
	v_cmp_eq_u32_e64 s3, 4, v77
	v_cndmask_b32_e64 v6, v13, v14, s4
	v_cndmask_b32_e64 v1, v1, v10, s7
	v_cmp_eq_u32_e64 s4, 4, v81
	v_cndmask_b32_e64 v2, v2, v14, s7
	v_cndmask_b32_e64 v5, v9, v3, s3
	;; [unrolled: 3-line block ×3, first 2 shown]
	v_cndmask_b32_e64 v2, v2, v7, s4
	v_cmp_eq_u32_e64 s3, 5, v81
	v_cndmask_b32_e64 v5, v5, v11, s7
	v_cndmask_b32_e64 v3, v6, v15, s7
	v_cmp_eq_u32_e64 s7, 6, v81
	v_cmp_eq_u32_e64 s5, 6, v78
	v_cndmask_b32_e64 v1, v1, v11, s3
	v_cndmask_b32_e64 v2, v2, v15, s3
	v_cmp_eq_u32_e64 s4, 6, v77
	v_cmp_eq_u32_e64 s3, 7, v81
	v_cndmask_b32_e64 v17, v17, v4, s5
	v_cndmask_b32_e64 v1, v1, v4, s7
	;; [unrolled: 1-line block ×4, first 2 shown]
	v_cmp_eq_u32_e64 s5, 7, v78
	v_cndmask_b32_e64 v5, v5, v4, s4
	v_cndmask_b32_e64 v3, v3, v8, s4
	v_cmp_eq_u32_e64 s4, 7, v77
	v_cndmask_b32_e32 v4, v20, v8, vcc_lo
	v_cndmask_b32_e64 v1, v1, v12, s3
	v_cndmask_b32_e64 v2, v2, v16, s3
	v_cmp_lt_u32_e32 vcc_lo, 31, v0
	v_cmp_lt_u32_e64 s3, 7, v73
	v_cndmask_b32_e64 v17, v17, v12, s5
	v_cndmask_b32_e64 v19, v19, v12, s6
	;; [unrolled: 1-line block ×6, first 2 shown]
	s_or_b32 s3, vcc_lo, s3
	v_perm_b32 v4, v2, v1, 0x5040100
	v_perm_b32 v3, v3, v5, 0x5040100
	;; [unrolled: 1-line block ×4, first 2 shown]
	s_or_b32 s2, s2, s3
	s_delay_alu instid0(SALU_CYCLE_1)
	s_xor_b32 s2, s2, -1
	ds_store_b128 v76, v[1:4]
	s_waitcnt lgkmcnt(0)
	s_barrier
	buffer_gl0_inv
	s_and_saveexec_b32 s3, s2
	s_cbranch_execz .LBB1742_2
; %bb.110:
	s_load_b64 s[0:1], s[0:1], 0x68
	v_lshlrev_b32_e32 v1, 10, v0
	v_and_b32_e32 v0, 1, v0
	v_lshlrev_b32_e32 v2, 6, v75
	s_lshl_b32 s4, s36, 6
	s_delay_alu instid0(VALU_DEP_3) | instskip(NEXT) | instid1(VALU_DEP_3)
	v_and_b32_e32 v1, 0x3800, v1
	v_lshlrev_b32_e32 v0, 4, v0
	s_mul_i32 s2, s4, s34
	s_delay_alu instid0(SALU_CYCLE_1) | instskip(NEXT) | instid1(VALU_DEP_1)
	s_mul_i32 s2, s2, s37
	v_or3_b32 v0, v1, v2, v0
	s_ashr_i32 s3, s2, 31
	s_delay_alu instid0(SALU_CYCLE_1)
	s_lshl_b64 s[2:3], s[2:3], 1
	ds_load_b128 v[0:3], v0
	s_waitcnt lgkmcnt(0)
	s_add_u32 s5, s0, s2
	s_addc_u32 s3, s1, s3
	s_lshl_b32 s0, s14, 6
	s_mul_i32 s2, s4, s15
	s_ashr_i32 s1, s0, 31
	s_delay_alu instid0(SALU_CYCLE_1) | instskip(NEXT) | instid1(SALU_CYCLE_1)
	s_lshl_b64 s[0:1], s[0:1], 1
	s_add_u32 s4, s5, s0
	s_addc_u32 s5, s3, s1
	s_ashr_i32 s3, s2, 31
	s_delay_alu instid0(SALU_CYCLE_1) | instskip(NEXT) | instid1(SALU_CYCLE_1)
	s_lshl_b64 s[0:1], s[2:3], 1
	s_add_u32 s0, s4, s0
	s_addc_u32 s1, s5, s1
	global_store_b128 v74, v[0:3], s[0:1]
	s_nop 0
	s_sendmsg sendmsg(MSG_DEALLOC_VGPRS)
	s_endpgm
	.section	.rodata,"a",@progbits
	.p2align	6, 0x0
	.amdhsa_kernel _Z39paged_attention_ll4mi_QKV_mfma16_kernelI14__hip_bfloat16hLN4vllm18Fp8KVCacheDataTypeE1EhLi32ELi64ELi256ELb1ELi1EL8MFMAType0EEvPKT_PKT0_S9_ifPKiSB_SB_iPKfiiiPfSE_PS4_PT2_iSD_SD_
		.amdhsa_group_segment_fixed_size 17472
		.amdhsa_private_segment_fixed_size 0
		.amdhsa_kernarg_size 400
		.amdhsa_user_sgpr_count 13
		.amdhsa_user_sgpr_dispatch_ptr 0
		.amdhsa_user_sgpr_queue_ptr 0
		.amdhsa_user_sgpr_kernarg_segment_ptr 1
		.amdhsa_user_sgpr_dispatch_id 0
		.amdhsa_user_sgpr_private_segment_size 0
		.amdhsa_wavefront_size32 1
		.amdhsa_uses_dynamic_stack 0
		.amdhsa_enable_private_segment 0
		.amdhsa_system_sgpr_workgroup_id_x 1
		.amdhsa_system_sgpr_workgroup_id_y 1
		.amdhsa_system_sgpr_workgroup_id_z 1
		.amdhsa_system_sgpr_workgroup_info 0
		.amdhsa_system_vgpr_workitem_id 0
		.amdhsa_next_free_vgpr 131
		.amdhsa_next_free_sgpr 50
		.amdhsa_reserve_vcc 1
		.amdhsa_float_round_mode_32 0
		.amdhsa_float_round_mode_16_64 0
		.amdhsa_float_denorm_mode_32 3
		.amdhsa_float_denorm_mode_16_64 3
		.amdhsa_dx10_clamp 1
		.amdhsa_ieee_mode 1
		.amdhsa_fp16_overflow 0
		.amdhsa_workgroup_processor_mode 1
		.amdhsa_memory_ordered 1
		.amdhsa_forward_progress 0
		.amdhsa_shared_vgpr_count 0
		.amdhsa_exception_fp_ieee_invalid_op 0
		.amdhsa_exception_fp_denorm_src 0
		.amdhsa_exception_fp_ieee_div_zero 0
		.amdhsa_exception_fp_ieee_overflow 0
		.amdhsa_exception_fp_ieee_underflow 0
		.amdhsa_exception_fp_ieee_inexact 0
		.amdhsa_exception_int_div_zero 0
	.end_amdhsa_kernel
	.section	.text._Z39paged_attention_ll4mi_QKV_mfma16_kernelI14__hip_bfloat16hLN4vllm18Fp8KVCacheDataTypeE1EhLi32ELi64ELi256ELb1ELi1EL8MFMAType0EEvPKT_PKT0_S9_ifPKiSB_SB_iPKfiiiPfSE_PS4_PT2_iSD_SD_,"axG",@progbits,_Z39paged_attention_ll4mi_QKV_mfma16_kernelI14__hip_bfloat16hLN4vllm18Fp8KVCacheDataTypeE1EhLi32ELi64ELi256ELb1ELi1EL8MFMAType0EEvPKT_PKT0_S9_ifPKiSB_SB_iPKfiiiPfSE_PS4_PT2_iSD_SD_,comdat
.Lfunc_end1742:
	.size	_Z39paged_attention_ll4mi_QKV_mfma16_kernelI14__hip_bfloat16hLN4vllm18Fp8KVCacheDataTypeE1EhLi32ELi64ELi256ELb1ELi1EL8MFMAType0EEvPKT_PKT0_S9_ifPKiSB_SB_iPKfiiiPfSE_PS4_PT2_iSD_SD_, .Lfunc_end1742-_Z39paged_attention_ll4mi_QKV_mfma16_kernelI14__hip_bfloat16hLN4vllm18Fp8KVCacheDataTypeE1EhLi32ELi64ELi256ELb1ELi1EL8MFMAType0EEvPKT_PKT0_S9_ifPKiSB_SB_iPKfiiiPfSE_PS4_PT2_iSD_SD_
                                        ; -- End function
	.section	.AMDGPU.csdata,"",@progbits
; Kernel info:
; codeLenInByte = 8428
; NumSgprs: 52
; NumVgprs: 131
; ScratchSize: 0
; MemoryBound: 1
; FloatMode: 240
; IeeeMode: 1
; LDSByteSize: 17472 bytes/workgroup (compile time only)
; SGPRBlocks: 6
; VGPRBlocks: 16
; NumSGPRsForWavesPerEU: 52
; NumVGPRsForWavesPerEU: 131
; Occupancy: 10
; WaveLimiterHint : 1
; COMPUTE_PGM_RSRC2:SCRATCH_EN: 0
; COMPUTE_PGM_RSRC2:USER_SGPR: 13
; COMPUTE_PGM_RSRC2:TRAP_HANDLER: 0
; COMPUTE_PGM_RSRC2:TGID_X_EN: 1
; COMPUTE_PGM_RSRC2:TGID_Y_EN: 1
; COMPUTE_PGM_RSRC2:TGID_Z_EN: 1
; COMPUTE_PGM_RSRC2:TIDIG_COMP_CNT: 0
	.section	.text._Z39paged_attention_ll4mi_QKV_mfma16_kernelI14__hip_bfloat16hLN4vllm18Fp8KVCacheDataTypeE1EhLi32ELi64ELi256ELb1ELi2EL8MFMAType0EEvPKT_PKT0_S9_ifPKiSB_SB_iPKfiiiPfSE_PS4_PT2_iSD_SD_,"axG",@progbits,_Z39paged_attention_ll4mi_QKV_mfma16_kernelI14__hip_bfloat16hLN4vllm18Fp8KVCacheDataTypeE1EhLi32ELi64ELi256ELb1ELi2EL8MFMAType0EEvPKT_PKT0_S9_ifPKiSB_SB_iPKfiiiPfSE_PS4_PT2_iSD_SD_,comdat
	.protected	_Z39paged_attention_ll4mi_QKV_mfma16_kernelI14__hip_bfloat16hLN4vllm18Fp8KVCacheDataTypeE1EhLi32ELi64ELi256ELb1ELi2EL8MFMAType0EEvPKT_PKT0_S9_ifPKiSB_SB_iPKfiiiPfSE_PS4_PT2_iSD_SD_ ; -- Begin function _Z39paged_attention_ll4mi_QKV_mfma16_kernelI14__hip_bfloat16hLN4vllm18Fp8KVCacheDataTypeE1EhLi32ELi64ELi256ELb1ELi2EL8MFMAType0EEvPKT_PKT0_S9_ifPKiSB_SB_iPKfiiiPfSE_PS4_PT2_iSD_SD_
	.globl	_Z39paged_attention_ll4mi_QKV_mfma16_kernelI14__hip_bfloat16hLN4vllm18Fp8KVCacheDataTypeE1EhLi32ELi64ELi256ELb1ELi2EL8MFMAType0EEvPKT_PKT0_S9_ifPKiSB_SB_iPKfiiiPfSE_PS4_PT2_iSD_SD_
	.p2align	8
	.type	_Z39paged_attention_ll4mi_QKV_mfma16_kernelI14__hip_bfloat16hLN4vllm18Fp8KVCacheDataTypeE1EhLi32ELi64ELi256ELb1ELi2EL8MFMAType0EEvPKT_PKT0_S9_ifPKiSB_SB_iPKfiiiPfSE_PS4_PT2_iSD_SD_,@function
_Z39paged_attention_ll4mi_QKV_mfma16_kernelI14__hip_bfloat16hLN4vllm18Fp8KVCacheDataTypeE1EhLi32ELi64ELi256ELb1ELi2EL8MFMAType0EEvPKT_PKT0_S9_ifPKiSB_SB_iPKfiiiPfSE_PS4_PT2_iSD_SD_: ; @_Z39paged_attention_ll4mi_QKV_mfma16_kernelI14__hip_bfloat16hLN4vllm18Fp8KVCacheDataTypeE1EhLi32ELi64ELi256ELb1ELi2EL8MFMAType0EEvPKT_PKT0_S9_ifPKiSB_SB_iPKfiiiPfSE_PS4_PT2_iSD_SD_
; %bb.0:
	s_load_b64 s[2:3], s[0:1], 0x30
	s_mov_b32 s30, s13
	s_waitcnt lgkmcnt(0)
	s_cmp_lg_u64 s[2:3], 0
	s_cselect_b32 s8, -1, 0
	s_ashr_i32 s31, s13, 31
	s_cmp_eq_u64 s[2:3], 0
	s_cbranch_scc1 .LBB1743_3
; %bb.1:
	s_lshl_b64 s[4:5], s[30:31], 2
	s_delay_alu instid0(SALU_CYCLE_1) | instskip(SKIP_4) | instid1(SALU_CYCLE_1)
	s_add_u32 s4, s2, s4
	s_addc_u32 s5, s3, s5
	s_load_b64 s[4:5], s[4:5], 0x0
	s_waitcnt lgkmcnt(0)
	s_sub_i32 s4, s5, s4
	s_cmp_eq_u32 s4, 1
	s_cselect_b32 s4, -1, 0
	s_delay_alu instid0(SALU_CYCLE_1)
	s_and_not1_b32 vcc_lo, exec_lo, s4
	s_cbranch_vccz .LBB1743_4
.LBB1743_2:
	s_endpgm
.LBB1743_3:
.LBB1743_4:
	s_load_b64 s[4:5], s[0:1], 0x28
	s_lshl_b64 s[6:7], s[30:31], 2
	s_waitcnt lgkmcnt(0)
	s_add_u32 s4, s4, s6
	s_addc_u32 s5, s5, s7
	s_lshl_b32 s12, s14, 8
	s_load_b32 s24, s[4:5], 0x0
	s_waitcnt lgkmcnt(0)
	s_cmp_ge_i32 s12, s24
	s_cbranch_scc1 .LBB1743_2
; %bb.5:
	s_clause 0x1
	s_load_b128 s[20:23], s[0:1], 0x8
	s_load_b64 s[4:5], s[0:1], 0x20
	s_and_not1_b32 vcc_lo, exec_lo, s8
	s_cbranch_vccnz .LBB1743_7
; %bb.6:
	s_add_u32 s2, s2, s6
	s_addc_u32 s3, s3, s7
	s_load_b32 s3, s[2:3], 0x0
	s_branch .LBB1743_8
.LBB1743_7:
	s_mov_b32 s3, s30
.LBB1743_8:
	s_load_b128 s[16:19], s[0:1], 0x48
	v_and_b32_e32 v66, 15, v0
	v_bfe_u32 v65, v0, 4, 1
	s_lshl_b32 s31, s15, 1
	v_cmp_gt_u32_e32 vcc_lo, 32, v0
	v_and_b32_e32 v68, 31, v0
	v_lshlrev_b32_e32 v1, 3, v66
	v_cmp_gt_u32_e64 s2, 8, v66
	v_and_b32_e32 v76, 1, v0
	v_or_b32_e32 v75, s31, v65
	v_lshlrev_b32_e32 v74, 6, v65
	v_lshlrev_b32_e32 v73, 1, v1
	s_and_b32 s29, vcc_lo, s2
	s_delay_alu instid0(SALU_CYCLE_1)
	s_and_saveexec_b32 s2, s29
	s_cbranch_execz .LBB1743_10
; %bb.9:
	s_load_b64 s[6:7], s[0:1], 0x0
	v_lshlrev_b32_e32 v1, 6, v75
	s_waitcnt lgkmcnt(0)
	s_mul_hi_i32 s9, s3, s16
	s_mul_i32 s8, s3, s16
	v_lshlrev_b32_e32 v5, 10, v66
	s_lshl_b64 s[8:9], s[8:9], 1
	v_ashrrev_i32_e32 v2, 31, v1
	v_lshlrev_b32_e32 v6, 10, v76
	s_delay_alu instid0(VALU_DEP_3) | instskip(NEXT) | instid1(VALU_DEP_3)
	v_and_b32_e32 v5, 0x3800, v5
	v_lshlrev_b64 v[1:2], 1, v[1:2]
	s_delay_alu instid0(VALU_DEP_2) | instskip(SKIP_2) | instid1(VALU_DEP_2)
	v_or3_b32 v5, v5, v6, v74
	s_add_u32 s3, s6, s8
	s_addc_u32 s6, s7, s9
	v_add_co_u32 v1, vcc_lo, s3, v1
	s_delay_alu instid0(VALU_DEP_3) | instskip(NEXT) | instid1(VALU_DEP_2)
	v_add_co_ci_u32_e32 v2, vcc_lo, s6, v2, vcc_lo
	v_add_co_u32 v1, vcc_lo, v1, v73
	s_delay_alu instid0(VALU_DEP_2)
	v_add_co_ci_u32_e32 v2, vcc_lo, 0, v2, vcc_lo
	global_load_b128 v[1:4], v[1:2], off
	s_waitcnt vmcnt(0)
	ds_store_b128 v5, v[1:4]
.LBB1743_10:
	s_or_b32 exec_lo, exec_lo, s2
	v_and_b32_e32 v1, 0xef, v0
	s_add_i32 s2, s24, 31
	s_waitcnt lgkmcnt(0)
	s_clause 0x1
	s_load_b32 s3, s[0:1], 0x38
	s_load_b32 s19, s[0:1], 0x1c
	s_ashr_i32 s6, s2, 31
	v_add_nc_u32_e32 v1, s12, v1
	s_lshr_b32 s6, s6, 27
	s_waitcnt lgkmcnt(0)
	s_add_i32 s2, s2, s6
	s_barrier
	v_ashrrev_i32_e32 v2, 31, v1
	v_or_b32_e32 v3, 16, v1
	s_ashr_i32 s2, s2, 5
	v_cmp_gt_i32_e32 vcc_lo, s24, v1
	s_add_i32 s2, s2, -1
	v_lshrrev_b32_e32 v2, 27, v2
	buffer_gl0_inv
	s_mul_i32 s27, s15, s18
	v_lshrrev_b32_e32 v67, 5, v0
	v_add_nc_u32_e32 v4, v1, v2
	s_mul_i32 s6, s30, s3
	s_delay_alu instid0(SALU_CYCLE_1) | instskip(NEXT) | instid1(VALU_DEP_1)
	s_ashr_i32 s7, s6, 31
	v_ashrrev_i32_e32 v4, 5, v4
	v_add_nc_u32_e32 v2, v3, v2
	s_lshl_b64 s[6:7], s[6:7], 2
	s_delay_alu instid0(SALU_CYCLE_1) | instskip(NEXT) | instid1(VALU_DEP_2)
	s_add_u32 s26, s4, s6
	v_cndmask_b32_e32 v1, s2, v4, vcc_lo
	s_delay_alu instid0(VALU_DEP_2)
	v_ashrrev_i32_e32 v2, 5, v2
	v_cmp_gt_i32_e32 vcc_lo, s24, v3
	s_addc_u32 s25, s5, s7
	s_ashr_i32 s28, s27, 31
	s_add_u32 s4, s20, s27
	s_addc_u32 s5, s21, s28
	v_cndmask_b32_e32 v3, s2, v2, vcc_lo
	v_ashrrev_i32_e32 v2, 31, v1
	s_lshl_b32 s6, s14, 3
	s_delay_alu instid0(SALU_CYCLE_1) | instskip(NEXT) | instid1(VALU_DEP_2)
	s_ashr_i32 s7, s6, 31
	v_ashrrev_i32_e32 v4, 31, v3
	s_delay_alu instid0(VALU_DEP_2) | instskip(SKIP_1) | instid1(SALU_CYCLE_1)
	v_lshlrev_b64 v[1:2], 2, v[1:2]
	s_lshl_b64 s[6:7], s[6:7], 2
	s_add_u32 s6, s26, s6
	s_delay_alu instid0(VALU_DEP_2) | instskip(SKIP_1) | instid1(VALU_DEP_2)
	v_lshlrev_b64 v[3:4], 2, v[3:4]
	s_addc_u32 s7, s25, s7
	v_add_co_u32 v1, vcc_lo, s26, v1
	v_add_co_ci_u32_e32 v2, vcc_lo, s25, v2, vcc_lo
	s_delay_alu instid0(VALU_DEP_3) | instskip(NEXT) | instid1(VALU_DEP_4)
	v_add_co_u32 v3, vcc_lo, s26, v3
	v_add_co_ci_u32_e32 v4, vcc_lo, s25, v4, vcc_lo
	s_clause 0x1
	global_load_b32 v5, v[1:2], off
	global_load_b32 v6, v[3:4], off
	s_or_b32 s3, s12, 32
	s_delay_alu instid0(SALU_CYCLE_1) | instskip(SKIP_2) | instid1(SALU_CYCLE_1)
	s_ashr_i32 s8, s3, 5
	s_cmp_lt_i32 s3, s24
	s_cselect_b32 s8, s8, s2
	s_ashr_i32 s9, s8, 31
	s_delay_alu instid0(SALU_CYCLE_1) | instskip(NEXT) | instid1(SALU_CYCLE_1)
	s_lshl_b64 s[8:9], s[8:9], 2
	s_add_u32 s8, s26, s8
	s_addc_u32 s9, s25, s9
	s_or_b32 s3, s12, 64
	s_delay_alu instid0(SALU_CYCLE_1) | instskip(SKIP_2) | instid1(SALU_CYCLE_1)
	s_ashr_i32 s10, s3, 5
	s_cmp_lt_i32 s3, s24
	s_cselect_b32 s10, s10, s2
	s_ashr_i32 s11, s10, 31
	s_delay_alu instid0(SALU_CYCLE_1) | instskip(NEXT) | instid1(SALU_CYCLE_1)
	s_lshl_b64 s[10:11], s[10:11], 2
	s_add_u32 s10, s26, s10
	s_addc_u32 s11, s25, s11
	;; [unrolled: 10-line block ×5, first 2 shown]
	s_clause 0x5
	s_load_b32 s20, s[6:7], 0x0
	s_load_b32 s3, s[8:9], 0x0
	;; [unrolled: 1-line block ×6, first 2 shown]
	s_or_b32 s6, s12, 0xc0
	s_delay_alu instid0(SALU_CYCLE_1) | instskip(SKIP_2) | instid1(SALU_CYCLE_1)
	s_ashr_i32 s7, s6, 5
	s_cmp_lt_i32 s6, s24
	s_cselect_b32 s10, s7, s2
	s_ashr_i32 s11, s10, 31
	s_delay_alu instid0(SALU_CYCLE_1) | instskip(NEXT) | instid1(SALU_CYCLE_1)
	s_lshl_b64 s[10:11], s[10:11], 2
	s_add_u32 s34, s26, s10
	s_addc_u32 s35, s25, s11
	s_or_b32 s11, s12, 0xe0
	s_delay_alu instid0(SALU_CYCLE_1) | instskip(SKIP_2) | instid1(SALU_CYCLE_1)
	s_ashr_i32 s21, s11, 5
	s_cmp_lt_i32 s11, s24
	s_cselect_b32 s36, s21, s2
	s_ashr_i32 s37, s36, 31
	s_waitcnt vmcnt(1)
	v_mad_i64_i32 v[1:2], null, v5, s17, s[4:5]
	s_waitcnt vmcnt(0)
	v_mad_i64_i32 v[3:4], null, v6, s17, s[4:5]
	s_mov_b32 s4, 0
	s_delay_alu instid0(SALU_CYCLE_1)
	s_mov_b32 s5, s4
	s_mov_b32 s6, s4
	;; [unrolled: 1-line block ×7, first 2 shown]
	s_delay_alu instid0(SALU_CYCLE_1) | instskip(SKIP_2) | instid1(VALU_DEP_3)
	v_dual_mov_b32 v108, s11 :: v_dual_lshlrev_b32 v5, 4, v66
	v_dual_mov_b32 v104, s7 :: v_dual_lshlrev_b32 v71, 6, v76
	v_mov_b32_e32 v102, s5
	v_add_co_u32 v1, vcc_lo, v1, v5
	v_add_co_ci_u32_e32 v2, vcc_lo, 0, v2, vcc_lo
	v_add_co_u32 v3, vcc_lo, v3, v5
	v_add_co_ci_u32_e32 v4, vcc_lo, 0, v4, vcc_lo
	s_clause 0x7
	global_load_b128 v[49:52], v[1:2], off
	global_load_b128 v[53:56], v[1:2], off offset:512
	global_load_b128 v[77:80], v[3:4], off offset:256
	;; [unrolled: 1-line block ×7, first 2 shown]
	v_lshlrev_b32_e32 v1, 5, v66
	v_dual_mov_b32 v107, s10 :: v_dual_mov_b32 v106, s9
	v_mov_b32_e32 v105, s8
	v_mov_b32_e32 v103, s6
	;; [unrolled: 1-line block ×3, first 2 shown]
	s_lshl_b64 s[4:5], s[36:37], 2
	v_lshl_or_b32 v1, v67, 9, v1
	s_add_u32 s4, s26, s4
	s_addc_u32 s5, s25, s5
	s_load_b32 s2, s[34:35], 0x0
	ds_load_b128 v[109:112], v71
	ds_load_b128 v[113:116], v71 offset:1024
	s_load_b32 s4, s[4:5], 0x0
	s_add_u32 s6, s22, s27
	s_addc_u32 s7, s23, s28
	v_add_co_u32 v9, s6, s6, v1
	s_delay_alu instid0(VALU_DEP_1) | instskip(SKIP_1) | instid1(VALU_DEP_1)
	v_add_co_ci_u32_e64 v10, null, s7, 0, s6
	s_waitcnt lgkmcnt(0)
	v_mad_i64_i32 v[1:2], null, s20, s17, v[9:10]
	v_mad_i64_i32 v[3:4], null, s3, s17, v[9:10]
	v_mad_i64_i32 v[5:6], null, s13, s17, v[9:10]
	v_mad_i64_i32 v[7:8], null, s15, s17, v[9:10]
	v_mad_i64_i32 v[13:14], null, s18, s17, v[9:10]
	v_mad_i64_i32 v[11:12], null, s16, s17, v[9:10]
	v_mad_i64_i32 v[21:22], null, s2, s17, v[9:10]
	s_clause 0x9
	global_load_b128 v[57:60], v[1:2], off
	global_load_b128 v[61:64], v[1:2], off offset:16
	global_load_b128 v[41:44], v[3:4], off
	global_load_b128 v[45:48], v[3:4], off offset:16
	;; [unrolled: 2-line block ×5, first 2 shown]
	v_mad_i64_i32 v[69:70], null, s4, s17, v[9:10]
	s_clause 0x3
	global_load_b128 v[9:12], v[13:14], off
	global_load_b128 v[13:16], v[13:14], off offset:16
	global_load_b128 v[17:20], v[21:22], off
	global_load_b128 v[21:24], v[21:22], off offset:16
	s_waitcnt vmcnt(20)
	v_wmma_f32_16x16x16_bf16 v[117:124], v[49:56], v[109:116], v[101:108]
	s_clause 0x1
	global_load_b128 v[49:52], v[69:70], off
	global_load_b128 v[53:56], v[69:70], off offset:16
	s_waitcnt vmcnt(20)
	v_wmma_f32_16x16x16_bf16 v[101:108], v[77:84], v[109:116], v[101:108]
	ds_load_b128 v[77:80], v71 offset:2048
	ds_load_b128 v[81:84], v71 offset:3072
	v_mbcnt_lo_u32_b32 v70, -1, 0
	s_waitcnt vmcnt(0) lgkmcnt(0)
	s_barrier
	buffer_gl0_inv
	v_xor_b32_e32 v71, 16, v70
	s_delay_alu instid0(VALU_DEP_1) | instskip(SKIP_4) | instid1(VALU_DEP_2)
	v_cmp_gt_i32_e32 vcc_lo, 32, v71
	v_cndmask_b32_e32 v70, v70, v71, vcc_lo
	v_wmma_f32_16x16x16_bf16 v[117:124], v[85:92], v[77:84], v[117:124]
	v_and_b32_e32 v69, 0xe0, v0
	v_wmma_f32_16x16x16_bf16 v[101:108], v[93:100], v[77:84], v[101:108]
	v_dual_mul_f32 v94, s19, v118 :: v_dual_add_nc_u32 v69, s12, v69
	s_delay_alu instid0(VALU_DEP_2) | instskip(SKIP_1) | instid1(VALU_DEP_3)
	v_dual_mul_f32 v96, s19, v108 :: v_dual_mul_f32 v95, s19, v117
	v_dual_mul_f32 v84, s19, v120 :: v_dual_mul_f32 v93, s19, v119
	v_or_b32_e32 v69, v69, v65
	v_dual_mul_f32 v82, s19, v122 :: v_dual_mul_f32 v83, s19, v121
	v_mul_f32_e32 v100, s19, v104
	v_mul_f32_e32 v80, s19, v124
	s_delay_alu instid0(VALU_DEP_4)
	v_or_b32_e32 v71, 2, v69
	v_or_b32_e32 v72, 4, v69
	;; [unrolled: 1-line block ×3, first 2 shown]
	v_cmp_gt_i32_e64 s2, s24, v69
	v_or_b32_e32 v110, 8, v69
	v_cmp_gt_i32_e32 vcc_lo, s24, v71
	v_or_b32_e32 v85, 10, v69
	v_cmp_gt_i32_e64 s3, s24, v72
	v_cndmask_b32_e64 v95, 0xff7fffff, v95, s2
	v_cmp_gt_i32_e64 s4, s24, v109
	v_cndmask_b32_e32 v94, 0xff7fffff, v94, vcc_lo
	v_or_b32_e32 v86, 12, v69
	v_or_b32_e32 v87, 14, v69
	v_mul_f32_e32 v72, s19, v101
	v_cndmask_b32_e64 v93, 0xff7fffff, v93, s3
	v_cndmask_b32_e64 v84, 0xff7fffff, v84, s4
	v_max3_f32 v94, v95, 0xff7fffff, v94
	v_cmp_gt_i32_e64 s5, s24, v110
	v_cmp_gt_i32_e64 s6, s24, v85
	v_or_b32_e32 v88, 16, v69
	v_or_b32_e32 v89, 18, v69
	v_dual_mul_f32 v81, s19, v123 :: v_dual_mul_f32 v98, s19, v106
	v_cndmask_b32_e64 v83, 0xff7fffff, v83, s5
	v_cndmask_b32_e64 v82, 0xff7fffff, v82, s6
	v_max3_f32 v84, v94, v93, v84
	v_cmp_gt_i32_e64 s7, s24, v86
	v_cmp_gt_i32_e64 s8, s24, v87
	v_or_b32_e32 v90, 20, v69
	v_or_b32_e32 v91, 22, v69
	;; [unrolled: 1-line block ×6, first 2 shown]
	v_mul_f32_e32 v69, s19, v102
	v_cndmask_b32_e64 v81, 0xff7fffff, v81, s7
	v_cndmask_b32_e64 v80, 0xff7fffff, v80, s8
	v_max3_f32 v82, v84, v83, v82
	v_cmp_gt_i32_e64 s9, s24, v88
	v_cmp_gt_i32_e64 s10, s24, v89
	v_mul_f32_e32 v71, s19, v103
	v_cmp_gt_i32_e64 s11, s24, v90
	v_max3_f32 v80, v82, v81, v80
	v_cndmask_b32_e64 v72, 0xff7fffff, v72, s9
	v_cndmask_b32_e64 v69, 0xff7fffff, v69, s10
	v_cmp_gt_i32_e64 s12, s24, v91
	v_mul_f32_e32 v99, s19, v105
	v_cndmask_b32_e64 v71, 0xff7fffff, v71, s11
	v_cmp_gt_i32_e64 s13, s24, v92
	v_max3_f32 v69, v80, v72, v69
	v_cndmask_b32_e64 v81, 0xff7fffff, v100, s12
	v_cmp_gt_i32_e64 s15, s24, v77
	v_mul_f32_e32 v97, s19, v107
	v_cndmask_b32_e64 v72, 0xff7fffff, v99, s13
	v_cmp_gt_i32_e64 s16, s24, v78
	v_max3_f32 v69, v69, v71, v81
	v_cndmask_b32_e64 v77, 0xff7fffff, v98, s15
	v_cmp_gt_i32_e64 s17, s24, v79
	v_lshlrev_b32_e32 v91, 2, v70
	v_cndmask_b32_e64 v71, 0xff7fffff, v97, s16
	s_delay_alu instid0(VALU_DEP_4) | instskip(NEXT) | instid1(VALU_DEP_4)
	v_max3_f32 v69, v69, v72, v77
	v_cndmask_b32_e64 v78, 0xff7fffff, v96, s17
	s_delay_alu instid0(VALU_DEP_1) | instskip(SKIP_3) | instid1(VALU_DEP_1)
	v_max3_f32 v69, v69, v71, v78
	ds_bpermute_b32 v70, v91, v69
	s_waitcnt lgkmcnt(0)
	v_max_f32_e32 v70, v70, v70
	v_max_f32_e32 v69, v69, v70
	s_delay_alu instid0(VALU_DEP_1)
	v_fma_f32 v70, s19, v117, -v69
	v_fma_f32 v71, s19, v118, -v69
	;; [unrolled: 1-line block ×5, first 2 shown]
	v_mul_f32_e32 v70, 0x3fb8aa3b, v70
	s_delay_alu instid0(VALU_DEP_3) | instskip(NEXT) | instid1(VALU_DEP_3)
	v_dual_mul_f32 v72, 0x3fb8aa3b, v72 :: v_dual_mul_f32 v77, 0x3fb8aa3b, v77
	v_mul_f32_e32 v78, 0x3fb8aa3b, v78
	s_delay_alu instid0(VALU_DEP_3) | instskip(NEXT) | instid1(VALU_DEP_2)
	v_exp_f32_e32 v70, v70
	v_exp_f32_e32 v72, v72
	s_delay_alu instid0(VALU_DEP_2) | instskip(NEXT) | instid1(VALU_DEP_1)
	v_exp_f32_e32 v79, v77
	v_exp_f32_e32 v78, v78
	v_cndmask_b32_e64 v81, 0, v70, s2
	v_fma_f32 v70, s19, v122, -v69
	v_mul_f32_e32 v71, 0x3fb8aa3b, v71
	s_delay_alu instid0(TRANS32_DEP_3)
	v_cndmask_b32_e64 v85, 0, v72, s3
	s_waitcnt_depctr 0xfff
	v_cndmask_b32_e64 v87, 0, v79, s4
	v_cndmask_b32_e64 v88, 0, v78, s5
	v_mul_f32_e32 v70, 0x3fb8aa3b, v70
	v_exp_f32_e32 v71, v71
	s_mov_b32 s2, exec_lo
	s_delay_alu instid0(VALU_DEP_1) | instskip(SKIP_4) | instid1(VALU_DEP_2)
	v_exp_f32_e32 v70, v70
	s_waitcnt_depctr 0xfff
	v_cndmask_b32_e32 v77, 0, v71, vcc_lo
	v_add_f32_e32 v71, 0, v81
	v_cndmask_b32_e64 v89, 0, v70, s6
	v_add_f32_e32 v71, v71, v77
	s_delay_alu instid0(VALU_DEP_1) | instskip(NEXT) | instid1(VALU_DEP_1)
	v_add_f32_e32 v71, v71, v85
	v_add_f32_e32 v71, v71, v87
	s_delay_alu instid0(VALU_DEP_1) | instskip(NEXT) | instid1(VALU_DEP_1)
	v_add_f32_e32 v70, v71, v88
	v_add_f32_e32 v70, v70, v89
	v_fma_f32 v72, s19, v124, -v69
	v_fma_f32 v71, s19, v103, -v69
	;; [unrolled: 1-line block ×5, first 2 shown]
	s_delay_alu instid0(VALU_DEP_4) | instskip(NEXT) | instid1(VALU_DEP_4)
	v_dual_mul_f32 v72, 0x3fb8aa3b, v72 :: v_dual_mul_f32 v71, 0x3fb8aa3b, v71
	v_mul_f32_e32 v80, 0x3fb8aa3b, v80
	v_fma_f32 v83, s19, v106, -v69
	s_delay_alu instid0(VALU_DEP_4) | instskip(NEXT) | instid1(VALU_DEP_4)
	v_mul_f32_e32 v78, 0x3fb8aa3b, v78
	v_exp_f32_e32 v72, v72
	v_exp_f32_e32 v82, v71
	;; [unrolled: 1-line block ×3, first 2 shown]
	s_delay_alu instid0(VALU_DEP_1)
	v_exp_f32_e32 v78, v78
	v_cndmask_b32_e64 v90, 0, v72, s8
	v_fma_f32 v72, s19, v105, -v69
	s_waitcnt_depctr 0xfff
	v_cndmask_b32_e64 v86, 0, v80, s7
	v_fma_f32 v80, s19, v104, -v69
	v_mul_f32_e32 v72, 0x3fb8aa3b, v72
	s_delay_alu instid0(VALU_DEP_3) | instskip(NEXT) | instid1(VALU_DEP_3)
	v_add_f32_e32 v70, v70, v86
	v_mul_f32_e32 v80, 0x3fb8aa3b, v80
	s_delay_alu instid0(VALU_DEP_3) | instskip(SKIP_2) | instid1(VALU_DEP_3)
	v_exp_f32_e32 v84, v72
	v_cndmask_b32_e64 v72, 0, v82, s11
	v_mul_f32_e32 v79, 0x3fb8aa3b, v79
	v_exp_f32_e32 v80, v80
	s_delay_alu instid0(VALU_DEP_1) | instskip(SKIP_4) | instid1(VALU_DEP_2)
	v_exp_f32_e32 v79, v79
	s_waitcnt_depctr 0xfff
	v_cndmask_b32_e64 v71, 0, v79, s9
	v_add_f32_e32 v79, v70, v90
	v_cndmask_b32_e64 v70, 0, v78, s10
	v_add_f32_e32 v78, v79, v71
	v_fma_f32 v79, s19, v107, -v69
	s_delay_alu instid0(VALU_DEP_2) | instskip(SKIP_1) | instid1(VALU_DEP_2)
	v_add_f32_e32 v82, v78, v70
	v_cndmask_b32_e64 v78, 0, v80, s12
	v_dual_mul_f32 v79, 0x3fb8aa3b, v79 :: v_dual_add_f32 v80, v82, v72
	v_fma_f32 v82, s19, v108, -v69
	v_mul_f32_e32 v83, 0x3fb8aa3b, v83
	s_delay_alu instid0(VALU_DEP_3)
	v_exp_f32_e32 v92, v79
	v_cndmask_b32_e64 v79, 0, v84, s13
	v_add_f32_e32 v84, v80, v78
	v_mul_f32_e32 v82, 0x3fb8aa3b, v82
	v_exp_f32_e32 v83, v83
	s_waitcnt_depctr 0xfff
	v_cndmask_b32_e64 v80, 0, v83, s15
	v_add_f32_e32 v83, v84, v79
	v_exp_f32_e32 v84, v82
	v_cndmask_b32_e64 v82, 0, v92, s16
	s_delay_alu instid0(VALU_DEP_2) | instskip(NEXT) | instid1(VALU_DEP_1)
	v_add_f32_e32 v83, v83, v80
	v_add_f32_e32 v92, v83, v82
	s_waitcnt_depctr 0xfff
	v_cndmask_b32_e64 v83, 0, v84, s17
	s_delay_alu instid0(VALU_DEP_1)
	v_add_f32_e32 v84, v92, v83
	ds_bpermute_b32 v91, v91, v84
	v_cmpx_gt_u32_e32 16, v68
	s_cbranch_execz .LBB1743_12
; %bb.11:
	v_mul_u32_u24_e32 v68, 0x44, v67
	s_waitcnt lgkmcnt(0)
	v_add_f32_e32 v84, v84, v91
	s_delay_alu instid0(VALU_DEP_2) | instskip(NEXT) | instid1(VALU_DEP_1)
	v_lshl_add_u32 v68, v66, 2, v68
	v_add_nc_u32_e32 v68, 0x4000, v68
	ds_store_2addr_b32 v68, v69, v84 offset1:136
.LBB1743_12:
	s_or_b32 exec_lo, exec_lo, s2
	v_lshlrev_b32_e32 v68, 2, v66
	s_waitcnt lgkmcnt(0)
	s_barrier
	buffer_gl0_inv
	v_cmp_eq_u32_e32 vcc_lo, 1, v67
	v_add_nc_u32_e32 v84, 0x4000, v68
	v_cmp_eq_u32_e64 s2, 2, v67
	v_cmp_eq_u32_e64 s4, 7, v67
	ds_load_2addr_b32 v[91:92], v84 offset1:17
	ds_load_2addr_b32 v[93:94], v84 offset0:34 offset1:51
	ds_load_2addr_b32 v[95:96], v84 offset0:68 offset1:85
	;; [unrolled: 1-line block ×4, first 2 shown]
	s_waitcnt lgkmcnt(4)
	v_max3_f32 v68, v91, 0xff7fffff, v92
	s_waitcnt lgkmcnt(3)
	s_delay_alu instid0(VALU_DEP_1) | instskip(SKIP_1) | instid1(VALU_DEP_1)
	v_max3_f32 v68, v68, v93, v94
	s_waitcnt lgkmcnt(2)
	v_max3_f32 v68, v68, v95, v96
	s_waitcnt lgkmcnt(1)
	s_delay_alu instid0(VALU_DEP_1) | instskip(NEXT) | instid1(VALU_DEP_1)
	v_max3_f32 v68, v68, v97, v98
	v_sub_f32_e32 v69, v91, v68
	v_sub_f32_e32 v93, v93, v68
	v_sub_f32_e32 v95, v95, v68
	s_delay_alu instid0(VALU_DEP_3) | instskip(NEXT) | instid1(VALU_DEP_3)
	v_mul_f32_e32 v69, 0x3fb8aa3b, v69
	v_mul_f32_e32 v103, 0x3fb8aa3b, v93
	s_delay_alu instid0(VALU_DEP_3) | instskip(NEXT) | instid1(VALU_DEP_3)
	v_mul_f32_e32 v105, 0x3fb8aa3b, v95
	v_exp_f32_e32 v102, v69
	v_sub_f32_e32 v69, v94, v68
	v_sub_f32_e32 v101, v92, v68
	ds_load_2addr_b32 v[91:92], v84 offset0:170 offset1:187
	v_exp_f32_e32 v103, v103
	v_mul_f32_e32 v104, 0x3fb8aa3b, v69
	v_mul_f32_e32 v101, 0x3fb8aa3b, v101
	s_waitcnt lgkmcnt(1)
	v_fma_f32 v69, v102, v99, 0
	v_sub_f32_e32 v99, v96, v68
	s_delay_alu instid0(VALU_DEP_3) | instskip(SKIP_4) | instid1(VALU_DEP_1)
	v_exp_f32_e32 v101, v101
	v_exp_f32_e32 v104, v104
	s_waitcnt_depctr 0xfff
	v_fmac_f32_e32 v69, v101, v100
	s_waitcnt lgkmcnt(0)
	v_fmac_f32_e32 v69, v103, v91
	ds_load_2addr_b32 v[93:94], v84 offset0:204 offset1:221
	ds_load_2addr_b32 v[95:96], v84 offset0:238 offset1:255
	v_dual_sub_f32 v84, v97, v68 :: v_dual_mul_f32 v97, 0x3fb8aa3b, v99
	v_exp_f32_e32 v99, v105
	v_sub_f32_e32 v91, v98, v68
	v_fmac_f32_e32 v69, v104, v92
	s_delay_alu instid0(VALU_DEP_3)
	v_mul_f32_e32 v84, 0x3fb8aa3b, v84
	v_exp_f32_e32 v97, v97
	s_waitcnt lgkmcnt(0)
	v_mul_f32_e32 v91, 0x3fb8aa3b, v91
	s_barrier
	v_exp_f32_e32 v84, v84
	buffer_gl0_inv
	v_exp_f32_e32 v91, v91
	v_fmac_f32_e32 v69, v99, v93
	s_delay_alu instid0(VALU_DEP_1) | instskip(NEXT) | instid1(VALU_DEP_1)
	v_fmac_f32_e32 v69, v97, v94
	v_fmac_f32_e32 v69, v84, v95
	s_waitcnt_depctr 0xfff
	v_fmac_f32_e32 v69, v91, v96
	s_delay_alu instid0(VALU_DEP_1) | instskip(NEXT) | instid1(VALU_DEP_1)
	v_add_f32_e32 v92, 0x358637bd, v69
	v_div_scale_f32 v93, null, v92, v92, 1.0
	v_div_scale_f32 v96, s3, 1.0, v92, 1.0
	s_delay_alu instid0(VALU_DEP_2) | instskip(SKIP_2) | instid1(VALU_DEP_1)
	v_rcp_f32_e32 v94, v93
	s_waitcnt_depctr 0xfff
	v_fma_f32 v95, -v93, v94, 1.0
	v_dual_fmac_f32 v94, v95, v94 :: v_dual_cndmask_b32 v95, v102, v101
	v_cmp_eq_u32_e32 vcc_lo, 3, v67
	s_delay_alu instid0(VALU_DEP_2) | instskip(NEXT) | instid1(VALU_DEP_3)
	v_mul_f32_e32 v98, v96, v94
	v_cndmask_b32_e64 v95, v95, v103, s2
	v_cmp_eq_u32_e64 s2, 4, v67
	s_delay_alu instid0(VALU_DEP_3) | instskip(NEXT) | instid1(VALU_DEP_3)
	v_fma_f32 v100, -v93, v98, v96
	v_cndmask_b32_e32 v95, v95, v104, vcc_lo
	v_cmp_eq_u32_e32 vcc_lo, 5, v67
	s_delay_alu instid0(VALU_DEP_3) | instskip(NEXT) | instid1(VALU_DEP_3)
	v_fmac_f32_e32 v98, v100, v94
	v_cndmask_b32_e64 v95, v95, v99, s2
	v_cmp_eq_u32_e64 s2, 6, v67
	s_delay_alu instid0(VALU_DEP_3) | instskip(NEXT) | instid1(VALU_DEP_3)
	v_fma_f32 v93, -v93, v98, v96
	v_cndmask_b32_e32 v95, v95, v97, vcc_lo
	s_mov_b32 vcc_lo, s3
	s_delay_alu instid0(VALU_DEP_2) | instskip(NEXT) | instid1(VALU_DEP_2)
	v_div_fmas_f32 v93, v93, v94, v98
	v_cndmask_b32_e64 v84, v95, v84, s2
	s_mov_b32 s2, exec_lo
	s_delay_alu instid0(VALU_DEP_2) | instskip(NEXT) | instid1(VALU_DEP_2)
	v_div_fixup_f32 v92, v93, v92, 1.0
	v_cndmask_b32_e64 v84, v84, v91, s4
	s_delay_alu instid0(VALU_DEP_1) | instskip(NEXT) | instid1(VALU_DEP_1)
	v_mul_f32_e32 v84, v84, v92
	v_mul_f32_e32 v92, v84, v81
	;; [unrolled: 1-line block ×6, first 2 shown]
	v_and_b32_e32 v93, 0x7f800000, v92
	v_mul_f32_e32 v91, v84, v87
	v_mul_f32_e32 v88, v84, v85
	;; [unrolled: 1-line block ×3, first 2 shown]
                                        ; implicit-def: $vgpr77
	s_delay_alu instid0(VALU_DEP_4)
	v_cmpx_ne_u32_e32 0x7f800000, v93
	s_xor_b32 s2, exec_lo, s2
; %bb.13:
	v_bfe_u32 v77, v92, 16, 1
	s_delay_alu instid0(VALU_DEP_1)
	v_add3_u32 v77, v92, v77, 0x7fff
                                        ; implicit-def: $vgpr92
; %bb.14:
	s_and_not1_saveexec_b32 s2, s2
; %bb.15:
	v_and_b32_e32 v77, 0xffff, v92
	v_or_b32_e32 v85, 0x10000, v92
	s_delay_alu instid0(VALU_DEP_2) | instskip(NEXT) | instid1(VALU_DEP_2)
	v_cmp_eq_u32_e32 vcc_lo, 0, v77
	v_cndmask_b32_e32 v77, v85, v92, vcc_lo
; %bb.16:
	s_or_b32 exec_lo, exec_lo, s2
	v_and_b32_e32 v85, 0x7f800000, v87
	s_delay_alu instid0(VALU_DEP_1) | instskip(SKIP_1) | instid1(SALU_CYCLE_1)
	v_cmp_ne_u32_e32 vcc_lo, 0x7f800000, v85
                                        ; implicit-def: $vgpr85
	s_and_saveexec_b32 s2, vcc_lo
	s_xor_b32 s2, exec_lo, s2
; %bb.17:
	v_bfe_u32 v85, v87, 16, 1
	s_delay_alu instid0(VALU_DEP_1)
	v_add3_u32 v85, v87, v85, 0x7fff
                                        ; implicit-def: $vgpr87
; %bb.18:
	s_and_not1_saveexec_b32 s2, s2
; %bb.19:
	v_and_b32_e32 v85, 0xffff, v87
	v_or_b32_e32 v92, 0x10000, v87
	s_delay_alu instid0(VALU_DEP_2) | instskip(NEXT) | instid1(VALU_DEP_2)
	v_cmp_eq_u32_e32 vcc_lo, 0, v85
	v_cndmask_b32_e32 v85, v92, v87, vcc_lo
; %bb.20:
	s_or_b32 exec_lo, exec_lo, s2
	v_and_b32_e32 v87, 0x7f800000, v88
	s_delay_alu instid0(VALU_DEP_1) | instskip(SKIP_1) | instid1(SALU_CYCLE_1)
	v_cmp_ne_u32_e32 vcc_lo, 0x7f800000, v87
                                        ; implicit-def: $vgpr87
	s_and_saveexec_b32 s2, vcc_lo
	s_xor_b32 s2, exec_lo, s2
; %bb.21:
	v_bfe_u32 v87, v88, 16, 1
	s_delay_alu instid0(VALU_DEP_1)
	v_add3_u32 v87, v88, v87, 0x7fff
                                        ; implicit-def: $vgpr88
; %bb.22:
	s_and_not1_saveexec_b32 s2, s2
; %bb.23:
	v_and_b32_e32 v87, 0xffff, v88
	v_or_b32_e32 v92, 0x10000, v88
	s_delay_alu instid0(VALU_DEP_2) | instskip(NEXT) | instid1(VALU_DEP_2)
	v_cmp_eq_u32_e32 vcc_lo, 0, v87
	v_cndmask_b32_e32 v87, v92, v88, vcc_lo
; %bb.24:
	s_or_b32 exec_lo, exec_lo, s2
	v_and_b32_e32 v88, 0x7f800000, v91
	s_delay_alu instid0(VALU_DEP_1) | instskip(SKIP_1) | instid1(SALU_CYCLE_1)
	v_cmp_ne_u32_e32 vcc_lo, 0x7f800000, v88
                                        ; implicit-def: $vgpr88
	s_and_saveexec_b32 s2, vcc_lo
	s_xor_b32 s2, exec_lo, s2
; %bb.25:
	v_bfe_u32 v88, v91, 16, 1
	s_delay_alu instid0(VALU_DEP_1)
	v_add3_u32 v88, v91, v88, 0x7fff
                                        ; implicit-def: $vgpr91
; %bb.26:
	s_and_not1_saveexec_b32 s2, s2
; %bb.27:
	v_and_b32_e32 v88, 0xffff, v91
	v_or_b32_e32 v92, 0x10000, v91
	s_delay_alu instid0(VALU_DEP_2) | instskip(NEXT) | instid1(VALU_DEP_2)
	v_cmp_eq_u32_e32 vcc_lo, 0, v88
	v_cndmask_b32_e32 v88, v92, v91, vcc_lo
; %bb.28:
	s_or_b32 exec_lo, exec_lo, s2
	v_and_b32_e32 v91, 0x7f800000, v90
	s_delay_alu instid0(VALU_DEP_1) | instskip(SKIP_1) | instid1(SALU_CYCLE_1)
	v_cmp_ne_u32_e32 vcc_lo, 0x7f800000, v91
                                        ; implicit-def: $vgpr91
	s_and_saveexec_b32 s2, vcc_lo
	s_xor_b32 s2, exec_lo, s2
; %bb.29:
	v_bfe_u32 v91, v90, 16, 1
	s_delay_alu instid0(VALU_DEP_1)
	v_add3_u32 v91, v90, v91, 0x7fff
                                        ; implicit-def: $vgpr90
; %bb.30:
	s_and_not1_saveexec_b32 s2, s2
; %bb.31:
	v_and_b32_e32 v91, 0xffff, v90
	v_or_b32_e32 v92, 0x10000, v90
	s_delay_alu instid0(VALU_DEP_2) | instskip(NEXT) | instid1(VALU_DEP_2)
	v_cmp_eq_u32_e32 vcc_lo, 0, v91
	v_cndmask_b32_e32 v91, v92, v90, vcc_lo
; %bb.32:
	s_or_b32 exec_lo, exec_lo, s2
	v_and_b32_e32 v90, 0x7f800000, v89
	s_delay_alu instid0(VALU_DEP_1) | instskip(SKIP_1) | instid1(SALU_CYCLE_1)
	v_cmp_ne_u32_e32 vcc_lo, 0x7f800000, v90
                                        ; implicit-def: $vgpr90
	s_and_saveexec_b32 s2, vcc_lo
	s_xor_b32 s2, exec_lo, s2
; %bb.33:
	v_bfe_u32 v90, v89, 16, 1
	s_delay_alu instid0(VALU_DEP_1)
	v_add3_u32 v90, v89, v90, 0x7fff
                                        ; implicit-def: $vgpr89
; %bb.34:
	s_and_not1_saveexec_b32 s2, s2
; %bb.35:
	v_and_b32_e32 v90, 0xffff, v89
	v_or_b32_e32 v92, 0x10000, v89
	s_delay_alu instid0(VALU_DEP_2) | instskip(NEXT) | instid1(VALU_DEP_2)
	v_cmp_eq_u32_e32 vcc_lo, 0, v90
	v_cndmask_b32_e32 v90, v92, v89, vcc_lo
; %bb.36:
	s_or_b32 exec_lo, exec_lo, s2
	v_and_b32_e32 v89, 0x7f800000, v86
	s_delay_alu instid0(VALU_DEP_1) | instskip(SKIP_1) | instid1(SALU_CYCLE_1)
	v_cmp_ne_u32_e32 vcc_lo, 0x7f800000, v89
                                        ; implicit-def: $vgpr89
	s_and_saveexec_b32 s2, vcc_lo
	s_xor_b32 s2, exec_lo, s2
; %bb.37:
	v_bfe_u32 v89, v86, 16, 1
	s_delay_alu instid0(VALU_DEP_1)
	v_add3_u32 v89, v86, v89, 0x7fff
                                        ; implicit-def: $vgpr86
; %bb.38:
	s_and_not1_saveexec_b32 s2, s2
; %bb.39:
	v_and_b32_e32 v89, 0xffff, v86
	v_or_b32_e32 v92, 0x10000, v86
	s_delay_alu instid0(VALU_DEP_2) | instskip(NEXT) | instid1(VALU_DEP_2)
	v_cmp_eq_u32_e32 vcc_lo, 0, v89
	v_cndmask_b32_e32 v89, v92, v86, vcc_lo
; %bb.40:
	s_or_b32 exec_lo, exec_lo, s2
	v_and_b32_e32 v86, 0x7f800000, v81
	s_delay_alu instid0(VALU_DEP_1) | instskip(SKIP_1) | instid1(SALU_CYCLE_1)
	v_cmp_ne_u32_e32 vcc_lo, 0x7f800000, v86
                                        ; implicit-def: $vgpr86
	s_and_saveexec_b32 s2, vcc_lo
	s_xor_b32 s2, exec_lo, s2
; %bb.41:
	v_bfe_u32 v86, v81, 16, 1
	s_delay_alu instid0(VALU_DEP_1)
	v_add3_u32 v86, v81, v86, 0x7fff
                                        ; implicit-def: $vgpr81
; %bb.42:
	s_and_not1_saveexec_b32 s2, s2
; %bb.43:
	v_and_b32_e32 v86, 0xffff, v81
	v_or_b32_e32 v92, 0x10000, v81
	s_delay_alu instid0(VALU_DEP_2) | instskip(NEXT) | instid1(VALU_DEP_2)
	v_cmp_eq_u32_e32 vcc_lo, 0, v86
	v_cndmask_b32_e32 v86, v92, v81, vcc_lo
; %bb.44:
	s_or_b32 exec_lo, exec_lo, s2
	s_load_b64 s[34:35], s[0:1], 0x94
	v_lshlrev_b32_e32 v93, 4, v65
	s_delay_alu instid0(VALU_DEP_2)
	v_perm_b32 v92, v86, v89, 0x7060302
	v_dual_mul_f32 v80, v84, v80 :: v_dual_lshlrev_b32 v81, 6, v66
	v_lshlrev_b32_e32 v66, 11, v67
	v_perm_b32 v89, v85, v77, 0x7060302
	v_mul_f32_e32 v85, v84, v71
	v_mul_f32_e32 v71, v84, v82
	v_perm_b32 v91, v90, v91, 0x7060302
	v_perm_b32 v90, v88, v87, 0x7060302
	v_or3_b32 v77, v93, v66, v81
	v_mul_f32_e32 v66, v84, v83
	v_dual_mul_f32 v79, v84, v79 :: v_dual_and_b32 v86, 0x7f800000, v85
	v_mul_f32_e32 v83, v84, v78
	v_mul_f32_e32 v82, v84, v72
	;; [unrolled: 1-line block ×3, first 2 shown]
	s_mov_b32 s2, exec_lo
	ds_store_b128 v77, v[89:92]
                                        ; implicit-def: $vgpr70
	v_cmpx_ne_u32_e32 0x7f800000, v86
	s_xor_b32 s2, exec_lo, s2
; %bb.45:
	v_bfe_u32 v70, v85, 16, 1
	s_delay_alu instid0(VALU_DEP_1)
	v_add3_u32 v70, v85, v70, 0x7fff
                                        ; implicit-def: $vgpr85
; %bb.46:
	s_and_not1_saveexec_b32 s2, s2
; %bb.47:
	v_and_b32_e32 v70, 0xffff, v85
	v_or_b32_e32 v72, 0x10000, v85
	s_delay_alu instid0(VALU_DEP_2) | instskip(NEXT) | instid1(VALU_DEP_2)
	v_cmp_eq_u32_e32 vcc_lo, 0, v70
	v_cndmask_b32_e32 v70, v72, v85, vcc_lo
; %bb.48:
	s_or_b32 exec_lo, exec_lo, s2
	v_and_b32_e32 v72, 0x7f800000, v78
	s_delay_alu instid0(VALU_DEP_1) | instskip(SKIP_1) | instid1(SALU_CYCLE_1)
	v_cmp_ne_u32_e32 vcc_lo, 0x7f800000, v72
                                        ; implicit-def: $vgpr72
	s_and_saveexec_b32 s2, vcc_lo
	s_xor_b32 s2, exec_lo, s2
; %bb.49:
	v_bfe_u32 v72, v78, 16, 1
	s_delay_alu instid0(VALU_DEP_1)
	v_add3_u32 v72, v78, v72, 0x7fff
                                        ; implicit-def: $vgpr78
; %bb.50:
	s_and_not1_saveexec_b32 s2, s2
; %bb.51:
	v_and_b32_e32 v72, 0xffff, v78
	v_or_b32_e32 v84, 0x10000, v78
	s_delay_alu instid0(VALU_DEP_2) | instskip(NEXT) | instid1(VALU_DEP_2)
	v_cmp_eq_u32_e32 vcc_lo, 0, v72
	v_cndmask_b32_e32 v72, v84, v78, vcc_lo
; %bb.52:
	s_or_b32 exec_lo, exec_lo, s2
	v_and_b32_e32 v78, 0x7f800000, v82
	s_delay_alu instid0(VALU_DEP_1) | instskip(SKIP_1) | instid1(SALU_CYCLE_1)
	v_cmp_ne_u32_e32 vcc_lo, 0x7f800000, v78
                                        ; implicit-def: $vgpr78
	s_and_saveexec_b32 s2, vcc_lo
	s_xor_b32 s2, exec_lo, s2
; %bb.53:
	v_bfe_u32 v78, v82, 16, 1
	s_delay_alu instid0(VALU_DEP_1)
	v_add3_u32 v78, v82, v78, 0x7fff
                                        ; implicit-def: $vgpr82
; %bb.54:
	s_and_not1_saveexec_b32 s2, s2
; %bb.55:
	v_and_b32_e32 v78, 0xffff, v82
	v_or_b32_e32 v84, 0x10000, v82
	s_delay_alu instid0(VALU_DEP_2) | instskip(NEXT) | instid1(VALU_DEP_2)
	v_cmp_eq_u32_e32 vcc_lo, 0, v78
	v_cndmask_b32_e32 v78, v84, v82, vcc_lo
; %bb.56:
	s_or_b32 exec_lo, exec_lo, s2
	v_and_b32_e32 v82, 0x7f800000, v83
	s_delay_alu instid0(VALU_DEP_1) | instskip(SKIP_1) | instid1(SALU_CYCLE_1)
	v_cmp_ne_u32_e32 vcc_lo, 0x7f800000, v82
                                        ; implicit-def: $vgpr82
	s_and_saveexec_b32 s2, vcc_lo
	s_xor_b32 s2, exec_lo, s2
; %bb.57:
	v_bfe_u32 v82, v83, 16, 1
	s_delay_alu instid0(VALU_DEP_1)
	v_add3_u32 v82, v83, v82, 0x7fff
                                        ; implicit-def: $vgpr83
; %bb.58:
	s_and_not1_saveexec_b32 s2, s2
; %bb.59:
	v_and_b32_e32 v82, 0xffff, v83
	v_or_b32_e32 v84, 0x10000, v83
	s_delay_alu instid0(VALU_DEP_2) | instskip(NEXT) | instid1(VALU_DEP_2)
	v_cmp_eq_u32_e32 vcc_lo, 0, v82
	v_cndmask_b32_e32 v82, v84, v83, vcc_lo
; %bb.60:
	s_or_b32 exec_lo, exec_lo, s2
	v_and_b32_e32 v83, 0x7f800000, v79
	s_delay_alu instid0(VALU_DEP_1) | instskip(SKIP_1) | instid1(SALU_CYCLE_1)
	v_cmp_ne_u32_e32 vcc_lo, 0x7f800000, v83
                                        ; implicit-def: $vgpr83
	s_and_saveexec_b32 s2, vcc_lo
	s_xor_b32 s2, exec_lo, s2
; %bb.61:
	v_bfe_u32 v83, v79, 16, 1
	s_delay_alu instid0(VALU_DEP_1)
	v_add3_u32 v83, v79, v83, 0x7fff
                                        ; implicit-def: $vgpr79
; %bb.62:
	s_and_not1_saveexec_b32 s2, s2
; %bb.63:
	v_and_b32_e32 v83, 0xffff, v79
	v_or_b32_e32 v84, 0x10000, v79
	s_delay_alu instid0(VALU_DEP_2) | instskip(NEXT) | instid1(VALU_DEP_2)
	v_cmp_eq_u32_e32 vcc_lo, 0, v83
	v_cndmask_b32_e32 v83, v84, v79, vcc_lo
; %bb.64:
	s_or_b32 exec_lo, exec_lo, s2
	v_and_b32_e32 v79, 0x7f800000, v80
	s_delay_alu instid0(VALU_DEP_1) | instskip(SKIP_1) | instid1(SALU_CYCLE_1)
	v_cmp_ne_u32_e32 vcc_lo, 0x7f800000, v79
                                        ; implicit-def: $vgpr79
	s_and_saveexec_b32 s2, vcc_lo
	s_xor_b32 s2, exec_lo, s2
; %bb.65:
	v_bfe_u32 v79, v80, 16, 1
	s_delay_alu instid0(VALU_DEP_1)
	v_add3_u32 v79, v80, v79, 0x7fff
                                        ; implicit-def: $vgpr80
; %bb.66:
	s_and_not1_saveexec_b32 s2, s2
; %bb.67:
	v_and_b32_e32 v79, 0xffff, v80
	v_or_b32_e32 v84, 0x10000, v80
	s_delay_alu instid0(VALU_DEP_2) | instskip(NEXT) | instid1(VALU_DEP_2)
	v_cmp_eq_u32_e32 vcc_lo, 0, v79
	v_cndmask_b32_e32 v79, v84, v80, vcc_lo
; %bb.68:
	s_or_b32 exec_lo, exec_lo, s2
	v_and_b32_e32 v80, 0x7f800000, v71
	s_delay_alu instid0(VALU_DEP_1) | instskip(SKIP_1) | instid1(SALU_CYCLE_1)
	v_cmp_ne_u32_e32 vcc_lo, 0x7f800000, v80
                                        ; implicit-def: $vgpr80
	s_and_saveexec_b32 s2, vcc_lo
	s_xor_b32 s2, exec_lo, s2
; %bb.69:
	v_bfe_u32 v80, v71, 16, 1
	s_delay_alu instid0(VALU_DEP_1)
	v_add3_u32 v80, v71, v80, 0x7fff
                                        ; implicit-def: $vgpr71
; %bb.70:
	s_and_not1_saveexec_b32 s2, s2
; %bb.71:
	v_and_b32_e32 v80, 0xffff, v71
	v_or_b32_e32 v84, 0x10000, v71
	s_delay_alu instid0(VALU_DEP_2) | instskip(NEXT) | instid1(VALU_DEP_2)
	v_cmp_eq_u32_e32 vcc_lo, 0, v80
	v_cndmask_b32_e32 v80, v84, v71, vcc_lo
; %bb.72:
	s_or_b32 exec_lo, exec_lo, s2
	v_and_b32_e32 v71, 0x7f800000, v66
	s_delay_alu instid0(VALU_DEP_1) | instskip(SKIP_1) | instid1(SALU_CYCLE_1)
	v_cmp_ne_u32_e32 vcc_lo, 0x7f800000, v71
                                        ; implicit-def: $vgpr71
	s_and_saveexec_b32 s2, vcc_lo
	s_xor_b32 s2, exec_lo, s2
; %bb.73:
	v_bfe_u32 v71, v66, 16, 1
	s_delay_alu instid0(VALU_DEP_1)
	v_add3_u32 v71, v66, v71, 0x7fff
                                        ; implicit-def: $vgpr66
; %bb.74:
	s_and_not1_saveexec_b32 s2, s2
; %bb.75:
	v_and_b32_e32 v71, 0xffff, v66
	v_or_b32_e32 v84, 0x10000, v66
	s_delay_alu instid0(VALU_DEP_2) | instskip(NEXT) | instid1(VALU_DEP_2)
	v_cmp_eq_u32_e32 vcc_lo, 0, v71
	v_cndmask_b32_e32 v71, v84, v66, vcc_lo
; %bb.76:
	s_or_b32 exec_lo, exec_lo, s2
	s_delay_alu instid0(VALU_DEP_1)
	v_perm_b32 v87, v71, v80, 0x7060302
	v_perm_b32 v86, v79, v83, 0x7060302
	;; [unrolled: 1-line block ×4, first 2 shown]
	v_lshl_or_b32 v83, v67, 11, v81
	ds_store_b128 v77, v[84:87] offset:1024
	s_waitcnt lgkmcnt(0)
	s_barrier
	buffer_gl0_inv
	ds_load_b128 v[84:87], v83
	ds_load_b128 v[88:91], v83 offset:16
	s_waitcnt lgkmcnt(1)
	v_lshrrev_b32_e32 v70, 16, v87
	s_waitcnt lgkmcnt(0)
	v_lshrrev_b32_e32 v71, 16, v88
	v_lshlrev_b32_e32 v79, 2, v65
	v_lshrrev_b32_e32 v65, 16, v84
	v_lshrrev_b32_e32 v66, 16, v85
	;; [unrolled: 1-line block ×4, first 2 shown]
	v_cmp_eq_u32_e32 vcc_lo, 1, v79
	v_lshrrev_b32_e32 v100, 16, v90
	v_lshrrev_b32_e32 v101, 16, v91
	v_cndmask_b32_e32 v92, v88, v71, vcc_lo
	v_or_b32_e32 v80, 1, v79
	v_cndmask_b32_e32 v82, v84, v65, vcc_lo
	v_cmp_eq_u32_e64 s3, 2, v79
	v_cmp_eq_u32_e64 s6, 3, v79
	;; [unrolled: 1-line block ×5, first 2 shown]
	v_cndmask_b32_e64 v82, v82, v85, s3
	v_cndmask_b32_e64 v92, v92, v89, s3
	v_cmp_eq_u32_e64 s7, 3, v80
	v_cndmask_b32_e64 v93, v84, v65, s2
	v_or_b32_e32 v78, 2, v79
	v_cndmask_b32_e64 v82, v82, v66, s6
	v_cndmask_b32_e64 v92, v92, v72, s6
	;; [unrolled: 1-line block ×4, first 2 shown]
	v_cmp_eq_u32_e64 s9, 5, v79
	v_cndmask_b32_e64 v82, v82, v86, s8
	v_cndmask_b32_e64 v92, v92, v90, s8
	v_cmp_eq_u32_e64 s10, 4, v80
	v_cndmask_b32_e64 v93, v93, v66, s7
	v_cmp_eq_u32_e64 s4, 1, v78
	v_cndmask_b32_e64 v94, v94, v89, s5
	v_cndmask_b32_e64 v82, v82, v67, s9
	v_cmp_eq_u32_e64 s11, 6, v79
	v_cndmask_b32_e64 v93, v93, v86, s10
	;; [unrolled: 3-line block ×3, first 2 shown]
	v_cndmask_b32_e64 v94, v94, v72, s7
	v_cndmask_b32_e64 v82, v82, v87, s11
	v_cmp_eq_u32_e64 s13, 7, v79
	v_cndmask_b32_e64 v93, v93, v67, s12
	v_cndmask_b32_e64 v92, v92, v91, s11
	v_cmp_eq_u32_e64 s15, 6, v80
	v_cmp_eq_u32_e64 s16, 2, v78
	v_cndmask_b32_e64 v94, v94, v90, s10
	v_cndmask_b32_e64 v102, v82, v70, s13
	;; [unrolled: 1-line block ×6, first 2 shown]
	v_cmp_eq_u32_e64 s17, 7, v80
	v_cmp_eq_u32_e64 s18, 3, v78
	;; [unrolled: 1-line block ×4, first 2 shown]
	v_cndmask_b32_e64 v92, v92, v89, s16
	v_cndmask_b32_e64 v104, v93, v70, s17
	;; [unrolled: 1-line block ×4, first 2 shown]
	v_or_b32_e32 v82, 3, v79
	v_cndmask_b32_e64 v97, v92, v72, s18
	v_cmp_eq_u32_e64 s23, 6, v78
	v_cndmask_b32_e64 v105, v93, v91, s15
	v_cndmask_b32_e64 v96, v94, v86, s19
	v_cmp_eq_u32_e64 s20, 1, v82
	ds_load_b128 v[92:95], v83 offset:1024
	v_cmp_eq_u32_e64 s22, 2, v82
	v_cmp_eq_u32_e64 s24, 3, v82
	v_cndmask_b32_e64 v106, v96, v67, s21
	v_cndmask_b32_e64 v65, v84, v65, s20
	v_cndmask_b32_e64 v84, v97, v90, s19
	ds_load_b128 v[96:99], v83 offset:1040
	v_cndmask_b32_e64 v71, v88, v71, s20
	v_cmp_eq_u32_e64 s25, 4, v82
	v_cndmask_b32_e64 v65, v65, v85, s22
	v_cmp_eq_u32_e64 s27, 5, v82
	v_cmp_eq_u32_e64 s28, 6, v82
	v_cndmask_b32_e64 v71, v71, v89, s22
	v_cndmask_b32_e64 v84, v84, v100, s21
	;; [unrolled: 1-line block ×4, first 2 shown]
	v_cmp_eq_u32_e64 s26, 7, v78
	v_cndmask_b32_e64 v71, v71, v72, s24
	v_cndmask_b32_e64 v84, v84, v91, s23
	;; [unrolled: 1-line block ×3, first 2 shown]
	s_waitcnt lgkmcnt(1)
	v_lshrrev_b32_e32 v72, 16, v92
	v_lshrrev_b32_e32 v88, 16, v93
	v_cndmask_b32_e64 v71, v71, v90, s25
	v_cndmask_b32_e64 v66, v66, v70, s26
	v_cndmask_b32_e64 v65, v65, v67, s27
	v_cndmask_b32_e64 v89, v92, v72, s2
	v_cndmask_b32_e64 v84, v84, v101, s26
	v_cndmask_b32_e64 v67, v71, v100, s27
	s_waitcnt lgkmcnt(0)
	v_lshrrev_b32_e32 v71, 16, v96
	v_cndmask_b32_e64 v65, v65, v87, s28
	v_cndmask_b32_e64 v87, v89, v93, s5
	v_lshrrev_b32_e32 v100, 16, v98
	v_cndmask_b32_e64 v67, v67, v91, s28
	v_cndmask_b32_e32 v86, v92, v72, vcc_lo
	v_cndmask_b32_e32 v90, v96, v71, vcc_lo
	v_cmp_eq_u32_e32 vcc_lo, 7, v82
	v_cndmask_b32_e64 v87, v87, v88, s7
	v_lshrrev_b32_e32 v91, 16, v94
	v_cndmask_b32_e64 v85, v105, v101, s17
	v_cndmask_b32_e64 v89, v90, v97, s3
	v_cndmask_b32_e32 v67, v67, v101, vcc_lo
	v_cndmask_b32_e64 v86, v86, v93, s3
	v_lshrrev_b32_e32 v90, 16, v97
	v_cndmask_b32_e32 v65, v65, v70, vcc_lo
	v_cndmask_b32_e64 v70, v87, v94, s10
	v_cndmask_b32_e64 v101, v96, v71, s4
	;; [unrolled: 1-line block ×4, first 2 shown]
	v_perm_b32 v87, v67, v65, 0x5040100
	v_cndmask_b32_e64 v65, v70, v91, s12
	v_lshrrev_b32_e32 v70, 16, v95
	v_cndmask_b32_e64 v86, v86, v94, s8
	v_cndmask_b32_e64 v89, v89, v98, s8
	v_perm_b32 v85, v85, v104, 0x5040100
	v_cndmask_b32_e64 v65, v65, v95, s15
	s_delay_alu instid0(VALU_DEP_4) | instskip(NEXT) | instid1(VALU_DEP_4)
	v_cndmask_b32_e64 v86, v86, v91, s9
	v_cndmask_b32_e64 v89, v89, v100, s9
	s_delay_alu instid0(VALU_DEP_3) | instskip(NEXT) | instid1(VALU_DEP_3)
	v_cndmask_b32_e64 v65, v65, v70, s17
	v_cndmask_b32_e64 v67, v86, v95, s11
	v_perm_b32 v86, v84, v66, 0x5040100
	v_lshrrev_b32_e32 v84, 16, v99
	s_delay_alu instid0(VALU_DEP_3)
	v_cndmask_b32_e64 v66, v67, v70, s13
	v_cndmask_b32_e64 v67, v89, v99, s11
	;; [unrolled: 1-line block ×33, first 2 shown]
	v_cndmask_b32_e32 v70, v72, v70, vcc_lo
	v_cndmask_b32_e32 v72, v88, v84, vcc_lo
	v_cndmask_b32_e64 v88, v90, v84, s26
	v_cndmask_b32_e64 v71, v71, v84, s17
	v_perm_b32 v84, v103, v102, 0x5040100
	s_lshl_b32 s7, s35, 1
	v_perm_b32 v91, v72, v70, 0x5040100
	v_perm_b32 v90, v88, v89, 0x5040100
	v_perm_b32 v89, v71, v65, 0x5040100
	v_perm_b32 v88, v67, v66, 0x5040100
	s_mov_b32 s2, exec_lo
	ds_store_b128 v77, v[84:87]
	ds_store_b128 v77, v[88:91] offset:1024
	v_cmpx_gt_u32_e32 2, v0
	s_cbranch_execz .LBB1743_78
; %bb.77:
	v_or_b32_e32 v65, s31, v0
	s_load_b128 s[8:11], s[0:1], 0x58
	s_delay_alu instid0(VALU_DEP_1) | instskip(NEXT) | instid1(VALU_DEP_1)
	v_mad_u64_u32 v[66:67], null, s7, s30, v[65:66]
	v_mad_u64_u32 v[70:71], null, v66, s34, s[14:15]
	s_delay_alu instid0(VALU_DEP_1) | instskip(NEXT) | instid1(VALU_DEP_1)
	v_ashrrev_i32_e32 v71, 31, v70
	v_lshlrev_b64 v[65:66], 2, v[70:71]
	s_waitcnt lgkmcnt(0)
	s_delay_alu instid0(VALU_DEP_1) | instskip(NEXT) | instid1(VALU_DEP_2)
	v_add_co_u32 v70, vcc_lo, s10, v65
	v_add_co_ci_u32_e32 v71, vcc_lo, s11, v66, vcc_lo
	v_add_co_u32 v65, vcc_lo, s8, v65
	v_add_co_ci_u32_e32 v66, vcc_lo, s9, v66, vcc_lo
	global_store_b32 v[70:71], v68, off
	global_store_b32 v[65:66], v69, off
.LBB1743_78:
	s_or_b32 exec_lo, exec_lo, s2
	s_waitcnt lgkmcnt(0)
	s_waitcnt_vscnt null, 0x0
	s_barrier
	buffer_gl0_inv
	ds_load_b128 v[84:87], v81
	ds_load_b128 v[88:91], v81 offset:16
	ds_load_b128 v[96:99], v81 offset:2064
	;; [unrolled: 1-line block ×3, first 2 shown]
	v_mov_b32_e32 v65, 0
	ds_load_b128 v[104:107], v81 offset:4112
	ds_load_b128 v[100:103], v81 offset:4096
	;; [unrolled: 1-line block ×4, first 2 shown]
	v_mov_b32_e32 v66, v65
	v_mov_b32_e32 v67, v65
	;; [unrolled: 1-line block ×7, first 2 shown]
	s_waitcnt lgkmcnt(6)
	s_delay_alu instid0(VALU_DEP_1)
	v_wmma_f32_16x16x16_bf16 v[65:72], v[57:64], v[84:91], v[65:72]
	ds_load_b128 v[61:64], v81 offset:8208
	ds_load_b128 v[57:60], v81 offset:8192
	s_waitcnt lgkmcnt(6)
	v_wmma_f32_16x16x16_bf16 v[65:72], v[41:48], v[92:99], v[65:72]
	ds_load_b128 v[45:48], v81 offset:10256
	ds_load_b128 v[41:44], v81 offset:10240
	s_waitcnt lgkmcnt(6)
	;; [unrolled: 4-line block ×4, first 2 shown]
	v_wmma_f32_16x16x16_bf16 v[65:72], v[1:8], v[57:64], v[65:72]
	s_waitcnt lgkmcnt(4)
	s_delay_alu instid0(VALU_DEP_1) | instskip(SKIP_1) | instid1(VALU_DEP_1)
	v_wmma_f32_16x16x16_bf16 v[65:72], v[9:16], v[41:48], v[65:72]
	s_waitcnt lgkmcnt(2)
	v_wmma_f32_16x16x16_bf16 v[65:72], v[17:24], v[33:40], v[65:72]
	s_waitcnt lgkmcnt(0)
	s_delay_alu instid0(VALU_DEP_1) | instskip(NEXT) | instid1(VALU_DEP_1)
	v_wmma_f32_16x16x16_bf16 v[65:72], v[49:56], v[25:32], v[65:72]
	v_and_b32_e32 v1, 0x7f800000, v65
	s_delay_alu instid0(VALU_DEP_1) | instskip(SKIP_1) | instid1(SALU_CYCLE_1)
	v_cmp_ne_u32_e32 vcc_lo, 0x7f800000, v1
                                        ; implicit-def: $vgpr1
	s_and_saveexec_b32 s2, vcc_lo
	s_xor_b32 s2, exec_lo, s2
; %bb.79:
	v_bfe_u32 v1, v65, 16, 1
	s_delay_alu instid0(VALU_DEP_1)
	v_add3_u32 v1, v65, v1, 0x7fff
; %bb.80:
	s_and_not1_saveexec_b32 s2, s2
; %bb.81:
	v_and_b32_e32 v1, 0xffff, v65
	v_or_b32_e32 v2, 0x10000, v65
	s_delay_alu instid0(VALU_DEP_2) | instskip(NEXT) | instid1(VALU_DEP_2)
	v_cmp_eq_u32_e32 vcc_lo, 0, v1
	v_cndmask_b32_e32 v1, v2, v65, vcc_lo
; %bb.82:
	s_or_b32 exec_lo, exec_lo, s2
	v_and_b32_e32 v2, 0x7f800000, v66
	s_delay_alu instid0(VALU_DEP_1) | instskip(SKIP_1) | instid1(SALU_CYCLE_1)
	v_cmp_ne_u32_e32 vcc_lo, 0x7f800000, v2
                                        ; implicit-def: $vgpr2
	s_and_saveexec_b32 s2, vcc_lo
	s_xor_b32 s2, exec_lo, s2
; %bb.83:
	v_bfe_u32 v2, v66, 16, 1
	s_delay_alu instid0(VALU_DEP_1)
	v_add3_u32 v2, v66, v2, 0x7fff
; %bb.84:
	s_and_not1_saveexec_b32 s2, s2
; %bb.85:
	v_and_b32_e32 v2, 0xffff, v66
	v_or_b32_e32 v3, 0x10000, v66
	s_delay_alu instid0(VALU_DEP_2) | instskip(NEXT) | instid1(VALU_DEP_2)
	v_cmp_eq_u32_e32 vcc_lo, 0, v2
	v_cndmask_b32_e32 v2, v3, v66, vcc_lo
; %bb.86:
	s_or_b32 exec_lo, exec_lo, s2
	v_and_b32_e32 v3, 0x7f800000, v67
	s_delay_alu instid0(VALU_DEP_1) | instskip(SKIP_1) | instid1(SALU_CYCLE_1)
	v_cmp_ne_u32_e32 vcc_lo, 0x7f800000, v3
                                        ; implicit-def: $vgpr3
	s_and_saveexec_b32 s2, vcc_lo
	s_xor_b32 s2, exec_lo, s2
; %bb.87:
	v_bfe_u32 v3, v67, 16, 1
	s_delay_alu instid0(VALU_DEP_1)
	v_add3_u32 v3, v67, v3, 0x7fff
; %bb.88:
	s_and_not1_saveexec_b32 s2, s2
; %bb.89:
	v_and_b32_e32 v3, 0xffff, v67
	v_or_b32_e32 v4, 0x10000, v67
	s_delay_alu instid0(VALU_DEP_2) | instskip(NEXT) | instid1(VALU_DEP_2)
	v_cmp_eq_u32_e32 vcc_lo, 0, v3
	v_cndmask_b32_e32 v3, v4, v67, vcc_lo
; %bb.90:
	s_or_b32 exec_lo, exec_lo, s2
	v_and_b32_e32 v4, 0x7f800000, v68
	s_delay_alu instid0(VALU_DEP_1) | instskip(SKIP_1) | instid1(SALU_CYCLE_1)
	v_cmp_ne_u32_e32 vcc_lo, 0x7f800000, v4
                                        ; implicit-def: $vgpr4
	s_and_saveexec_b32 s2, vcc_lo
	s_xor_b32 s2, exec_lo, s2
; %bb.91:
	v_bfe_u32 v4, v68, 16, 1
	s_delay_alu instid0(VALU_DEP_1)
	v_add3_u32 v4, v68, v4, 0x7fff
; %bb.92:
	s_and_not1_saveexec_b32 s2, s2
; %bb.93:
	v_and_b32_e32 v4, 0xffff, v68
	v_or_b32_e32 v5, 0x10000, v68
	s_delay_alu instid0(VALU_DEP_2) | instskip(NEXT) | instid1(VALU_DEP_2)
	v_cmp_eq_u32_e32 vcc_lo, 0, v4
	v_cndmask_b32_e32 v4, v5, v68, vcc_lo
; %bb.94:
	s_or_b32 exec_lo, exec_lo, s2
	v_and_b32_e32 v5, 0x7f800000, v69
	s_delay_alu instid0(VALU_DEP_1) | instskip(SKIP_1) | instid1(SALU_CYCLE_1)
	v_cmp_ne_u32_e32 vcc_lo, 0x7f800000, v5
                                        ; implicit-def: $vgpr5
	s_and_saveexec_b32 s2, vcc_lo
	s_xor_b32 s2, exec_lo, s2
; %bb.95:
	v_bfe_u32 v5, v69, 16, 1
	s_delay_alu instid0(VALU_DEP_1)
	v_add3_u32 v5, v69, v5, 0x7fff
; %bb.96:
	s_and_not1_saveexec_b32 s2, s2
; %bb.97:
	v_and_b32_e32 v5, 0xffff, v69
	v_or_b32_e32 v6, 0x10000, v69
	s_delay_alu instid0(VALU_DEP_2) | instskip(NEXT) | instid1(VALU_DEP_2)
	v_cmp_eq_u32_e32 vcc_lo, 0, v5
	v_cndmask_b32_e32 v5, v6, v69, vcc_lo
; %bb.98:
	s_or_b32 exec_lo, exec_lo, s2
	v_and_b32_e32 v6, 0x7f800000, v70
	s_delay_alu instid0(VALU_DEP_1) | instskip(SKIP_1) | instid1(SALU_CYCLE_1)
	v_cmp_ne_u32_e32 vcc_lo, 0x7f800000, v6
                                        ; implicit-def: $vgpr6
	s_and_saveexec_b32 s2, vcc_lo
	s_xor_b32 s2, exec_lo, s2
; %bb.99:
	v_bfe_u32 v6, v70, 16, 1
	s_delay_alu instid0(VALU_DEP_1)
	v_add3_u32 v6, v70, v6, 0x7fff
; %bb.100:
	s_and_not1_saveexec_b32 s2, s2
; %bb.101:
	v_and_b32_e32 v6, 0xffff, v70
	v_or_b32_e32 v7, 0x10000, v70
	s_delay_alu instid0(VALU_DEP_2) | instskip(NEXT) | instid1(VALU_DEP_2)
	v_cmp_eq_u32_e32 vcc_lo, 0, v6
	v_cndmask_b32_e32 v6, v7, v70, vcc_lo
; %bb.102:
	s_or_b32 exec_lo, exec_lo, s2
	v_and_b32_e32 v7, 0x7f800000, v71
	s_delay_alu instid0(VALU_DEP_1) | instskip(SKIP_1) | instid1(SALU_CYCLE_1)
	v_cmp_ne_u32_e32 vcc_lo, 0x7f800000, v7
                                        ; implicit-def: $vgpr7
	s_and_saveexec_b32 s2, vcc_lo
	s_xor_b32 s2, exec_lo, s2
; %bb.103:
	v_bfe_u32 v7, v71, 16, 1
	s_delay_alu instid0(VALU_DEP_1)
	v_add3_u32 v7, v71, v7, 0x7fff
; %bb.104:
	s_and_not1_saveexec_b32 s2, s2
; %bb.105:
	v_and_b32_e32 v7, 0xffff, v71
	v_or_b32_e32 v8, 0x10000, v71
	s_delay_alu instid0(VALU_DEP_2) | instskip(NEXT) | instid1(VALU_DEP_2)
	v_cmp_eq_u32_e32 vcc_lo, 0, v7
	v_cndmask_b32_e32 v7, v8, v71, vcc_lo
; %bb.106:
	s_or_b32 exec_lo, exec_lo, s2
	v_and_b32_e32 v8, 0x7f800000, v72
	s_delay_alu instid0(VALU_DEP_1) | instskip(SKIP_1) | instid1(SALU_CYCLE_1)
	v_cmp_ne_u32_e32 vcc_lo, 0x7f800000, v8
                                        ; implicit-def: $vgpr8
	s_and_saveexec_b32 s2, vcc_lo
	s_xor_b32 s2, exec_lo, s2
; %bb.107:
	v_bfe_u32 v8, v72, 16, 1
	s_delay_alu instid0(VALU_DEP_1)
	v_add3_u32 v8, v72, v8, 0x7fff
                                        ; implicit-def: $vgpr65_vgpr66_vgpr67_vgpr68_vgpr69_vgpr70_vgpr71_vgpr72
; %bb.108:
	s_and_not1_saveexec_b32 s2, s2
; %bb.109:
	v_and_b32_e32 v8, 0xffff, v72
	v_or_b32_e32 v9, 0x10000, v72
	s_delay_alu instid0(VALU_DEP_2) | instskip(NEXT) | instid1(VALU_DEP_2)
	v_cmp_eq_u32_e32 vcc_lo, 0, v8
	v_cndmask_b32_e32 v8, v9, v72, vcc_lo
; %bb.110:
	s_or_b32 exec_lo, exec_lo, s2
	s_delay_alu instid0(VALU_DEP_1)
	v_perm_b32 v7, v8, v7, 0x7060302
	v_perm_b32 v6, v6, v5, 0x7060302
	;; [unrolled: 1-line block ×4, first 2 shown]
	s_barrier
	buffer_gl0_inv
	v_cmp_eq_u32_e32 vcc_lo, 1, v79
	ds_store_b128 v77, v[4:7]
	s_waitcnt lgkmcnt(0)
	s_barrier
	buffer_gl0_inv
	ds_load_b128 v[1:4], v83
	ds_load_b128 v[5:8], v83 offset:16
	v_cmp_eq_u32_e64 s2, 1, v80
	v_cmp_eq_u32_e64 s3, 2, v79
	;; [unrolled: 1-line block ×5, first 2 shown]
	s_waitcnt lgkmcnt(1)
	v_lshrrev_b32_e32 v9, 16, v1
	s_waitcnt lgkmcnt(0)
	v_lshrrev_b32_e32 v13, 16, v5
	v_lshrrev_b32_e32 v10, 16, v2
	v_lshrrev_b32_e32 v14, 16, v6
	v_lshrrev_b32_e32 v11, 16, v3
	v_cndmask_b32_e64 v19, v1, v9, s2
	v_cndmask_b32_e32 v18, v5, v13, vcc_lo
	v_cndmask_b32_e64 v20, v5, v13, s2
	v_cndmask_b32_e32 v17, v1, v9, vcc_lo
	v_cmp_eq_u32_e32 vcc_lo, 2, v80
	v_lshrrev_b32_e32 v15, 16, v7
	v_cmp_eq_u32_e64 s2, 1, v78
	v_lshrrev_b32_e32 v12, 16, v4
	v_lshrrev_b32_e32 v16, 16, v8
	v_cndmask_b32_e32 v20, v20, v6, vcc_lo
	v_cndmask_b32_e64 v17, v17, v2, s3
	v_cndmask_b32_e32 v19, v19, v2, vcc_lo
	v_cndmask_b32_e64 v18, v18, v6, s3
	v_cmp_eq_u32_e32 vcc_lo, 4, v79
	v_cmp_eq_u32_e64 s3, 3, v80
	v_cndmask_b32_e64 v17, v17, v10, s4
	v_cndmask_b32_e64 v21, v1, v9, s2
	v_cndmask_b32_e64 v18, v18, v14, s4
	v_cndmask_b32_e64 v22, v5, v13, s2
	v_cndmask_b32_e64 v19, v19, v10, s3
	v_cndmask_b32_e32 v17, v17, v3, vcc_lo
	v_cndmask_b32_e64 v20, v20, v14, s3
	v_cndmask_b32_e32 v18, v18, v7, vcc_lo
	v_cmp_eq_u32_e32 vcc_lo, 4, v80
	v_cmp_eq_u32_e64 s3, 5, v80
	v_cmp_eq_u32_e64 s2, 2, v82
	v_cndmask_b32_e64 v21, v21, v2, s6
	v_cmp_eq_u32_e64 s4, 5, v79
	v_cndmask_b32_e32 v19, v19, v3, vcc_lo
	v_cndmask_b32_e32 v20, v20, v7, vcc_lo
	v_cmp_eq_u32_e32 vcc_lo, 6, v80
	s_delay_alu instid0(VALU_DEP_4) | instskip(NEXT) | instid1(VALU_DEP_4)
	v_cndmask_b32_e64 v17, v17, v11, s4
	v_cndmask_b32_e64 v19, v19, v11, s3
	s_delay_alu instid0(VALU_DEP_4) | instskip(SKIP_1) | instid1(VALU_DEP_3)
	v_cndmask_b32_e64 v20, v20, v15, s3
	v_cmp_eq_u32_e64 s3, 1, v82
	v_cndmask_b32_e32 v19, v19, v4, vcc_lo
	v_cndmask_b32_e64 v18, v18, v15, s4
	s_delay_alu instid0(VALU_DEP_3)
	v_cndmask_b32_e64 v1, v1, v9, s3
	v_cndmask_b32_e64 v5, v5, v13, s3
	v_cmp_eq_u32_e64 s3, 3, v78
	v_cndmask_b32_e64 v13, v22, v6, s6
	v_cmp_eq_u32_e64 s6, 3, v82
	v_cndmask_b32_e64 v1, v1, v2, s2
	v_cndmask_b32_e64 v2, v5, v6, s2
	;; [unrolled: 1-line block ×3, first 2 shown]
	v_cmp_eq_u32_e64 s2, 4, v78
	v_cndmask_b32_e64 v6, v13, v14, s3
	v_cndmask_b32_e64 v1, v1, v10, s6
	v_cmp_eq_u32_e64 s3, 4, v82
	v_cndmask_b32_e64 v2, v2, v14, s6
	v_cndmask_b32_e64 v5, v9, v3, s2
	v_cmp_eq_u32_e64 s6, 5, v78
	v_cndmask_b32_e64 v6, v6, v7, s2
	v_cndmask_b32_e64 v1, v1, v3, s3
	v_cndmask_b32_e64 v2, v2, v7, s3
	v_cmp_eq_u32_e64 s2, 5, v82
	v_cmp_eq_u32_e64 s4, 6, v79
	v_cndmask_b32_e64 v5, v5, v11, s6
	v_cmp_eq_u32_e64 s3, 6, v78
	v_cndmask_b32_e64 v3, v6, v15, s6
	v_cndmask_b32_e64 v1, v1, v11, s2
	v_cmp_eq_u32_e64 s6, 6, v82
	v_cndmask_b32_e64 v2, v2, v15, s2
	v_cndmask_b32_e64 v17, v17, v4, s4
	v_cndmask_b32_e64 v18, v18, v8, s4
	v_cmp_eq_u32_e64 s4, 7, v79
	v_cndmask_b32_e64 v5, v5, v4, s3
	;; [unrolled: 4-line block ×3, first 2 shown]
	v_cmp_eq_u32_e64 s3, 7, v78
	v_cndmask_b32_e32 v4, v20, v8, vcc_lo
	v_cndmask_b32_e64 v17, v17, v12, s4
	v_cndmask_b32_e64 v19, v19, v12, s5
	;; [unrolled: 1-line block ×8, first 2 shown]
	s_delay_alu instid0(VALU_DEP_4) | instskip(NEXT) | instid1(VALU_DEP_4)
	v_perm_b32 v4, v2, v1, 0x5040100
	v_perm_b32 v3, v3, v5, 0x5040100
	s_delay_alu instid0(VALU_DEP_4) | instskip(NEXT) | instid1(VALU_DEP_4)
	v_perm_b32 v2, v6, v19, 0x5040100
	v_perm_b32 v1, v7, v17, 0x5040100
	ds_store_b128 v77, v[1:4]
	s_waitcnt lgkmcnt(0)
	s_barrier
	buffer_gl0_inv
	s_and_saveexec_b32 s2, s29
	s_cbranch_execz .LBB1743_2
; %bb.111:
	s_load_b64 s[0:1], s[0:1], 0x68
	v_lshlrev_b32_e32 v0, 10, v0
	s_lshl_b32 s2, s34, 6
	v_lshlrev_b32_e32 v1, 4, v76
	v_mul_lo_u32 v4, s2, v75
	s_mul_i32 s3, s2, s30
	v_and_b32_e32 v0, 0x3800, v0
	s_mul_i32 s2, s3, s7
	s_delay_alu instid0(SALU_CYCLE_1) | instskip(NEXT) | instid1(VALU_DEP_1)
	s_ashr_i32 s3, s2, 31
	v_or3_b32 v0, v0, v74, v1
	s_lshl_b64 s[2:3], s[2:3], 1
	s_delay_alu instid0(VALU_DEP_3)
	v_ashrrev_i32_e32 v5, 31, v4
	ds_load_b128 v[0:3], v0
	v_lshlrev_b64 v[4:5], 1, v[4:5]
	s_waitcnt lgkmcnt(0)
	s_add_u32 s2, s0, s2
	s_addc_u32 s3, s1, s3
	s_lshl_b32 s0, s14, 6
	s_delay_alu instid0(SALU_CYCLE_1) | instskip(NEXT) | instid1(SALU_CYCLE_1)
	s_ashr_i32 s1, s0, 31
	s_lshl_b64 s[0:1], s[0:1], 1
	s_delay_alu instid0(SALU_CYCLE_1) | instskip(SKIP_3) | instid1(VALU_DEP_2)
	s_add_u32 s0, s2, s0
	s_addc_u32 s1, s3, s1
	v_add_co_u32 v4, vcc_lo, s0, v4
	v_add_co_ci_u32_e32 v5, vcc_lo, s1, v5, vcc_lo
	v_add_co_u32 v4, vcc_lo, v4, v73
	s_delay_alu instid0(VALU_DEP_2)
	v_add_co_ci_u32_e32 v5, vcc_lo, 0, v5, vcc_lo
	global_store_b128 v[4:5], v[0:3], off
	s_nop 0
	s_sendmsg sendmsg(MSG_DEALLOC_VGPRS)
	s_endpgm
	.section	.rodata,"a",@progbits
	.p2align	6, 0x0
	.amdhsa_kernel _Z39paged_attention_ll4mi_QKV_mfma16_kernelI14__hip_bfloat16hLN4vllm18Fp8KVCacheDataTypeE1EhLi32ELi64ELi256ELb1ELi2EL8MFMAType0EEvPKT_PKT0_S9_ifPKiSB_SB_iPKfiiiPfSE_PS4_PT2_iSD_SD_
		.amdhsa_group_segment_fixed_size 17472
		.amdhsa_private_segment_fixed_size 0
		.amdhsa_kernarg_size 400
		.amdhsa_user_sgpr_count 13
		.amdhsa_user_sgpr_dispatch_ptr 0
		.amdhsa_user_sgpr_queue_ptr 0
		.amdhsa_user_sgpr_kernarg_segment_ptr 1
		.amdhsa_user_sgpr_dispatch_id 0
		.amdhsa_user_sgpr_private_segment_size 0
		.amdhsa_wavefront_size32 1
		.amdhsa_uses_dynamic_stack 0
		.amdhsa_enable_private_segment 0
		.amdhsa_system_sgpr_workgroup_id_x 1
		.amdhsa_system_sgpr_workgroup_id_y 1
		.amdhsa_system_sgpr_workgroup_id_z 1
		.amdhsa_system_sgpr_workgroup_info 0
		.amdhsa_system_vgpr_workitem_id 0
		.amdhsa_next_free_vgpr 125
		.amdhsa_next_free_sgpr 40
		.amdhsa_reserve_vcc 1
		.amdhsa_float_round_mode_32 0
		.amdhsa_float_round_mode_16_64 0
		.amdhsa_float_denorm_mode_32 3
		.amdhsa_float_denorm_mode_16_64 3
		.amdhsa_dx10_clamp 1
		.amdhsa_ieee_mode 1
		.amdhsa_fp16_overflow 0
		.amdhsa_workgroup_processor_mode 1
		.amdhsa_memory_ordered 1
		.amdhsa_forward_progress 0
		.amdhsa_shared_vgpr_count 0
		.amdhsa_exception_fp_ieee_invalid_op 0
		.amdhsa_exception_fp_denorm_src 0
		.amdhsa_exception_fp_ieee_div_zero 0
		.amdhsa_exception_fp_ieee_overflow 0
		.amdhsa_exception_fp_ieee_underflow 0
		.amdhsa_exception_fp_ieee_inexact 0
		.amdhsa_exception_int_div_zero 0
	.end_amdhsa_kernel
	.section	.text._Z39paged_attention_ll4mi_QKV_mfma16_kernelI14__hip_bfloat16hLN4vllm18Fp8KVCacheDataTypeE1EhLi32ELi64ELi256ELb1ELi2EL8MFMAType0EEvPKT_PKT0_S9_ifPKiSB_SB_iPKfiiiPfSE_PS4_PT2_iSD_SD_,"axG",@progbits,_Z39paged_attention_ll4mi_QKV_mfma16_kernelI14__hip_bfloat16hLN4vllm18Fp8KVCacheDataTypeE1EhLi32ELi64ELi256ELb1ELi2EL8MFMAType0EEvPKT_PKT0_S9_ifPKiSB_SB_iPKfiiiPfSE_PS4_PT2_iSD_SD_,comdat
.Lfunc_end1743:
	.size	_Z39paged_attention_ll4mi_QKV_mfma16_kernelI14__hip_bfloat16hLN4vllm18Fp8KVCacheDataTypeE1EhLi32ELi64ELi256ELb1ELi2EL8MFMAType0EEvPKT_PKT0_S9_ifPKiSB_SB_iPKfiiiPfSE_PS4_PT2_iSD_SD_, .Lfunc_end1743-_Z39paged_attention_ll4mi_QKV_mfma16_kernelI14__hip_bfloat16hLN4vllm18Fp8KVCacheDataTypeE1EhLi32ELi64ELi256ELb1ELi2EL8MFMAType0EEvPKT_PKT0_S9_ifPKiSB_SB_iPKfiiiPfSE_PS4_PT2_iSD_SD_
                                        ; -- End function
	.section	.AMDGPU.csdata,"",@progbits
; Kernel info:
; codeLenInByte = 8520
; NumSgprs: 42
; NumVgprs: 125
; ScratchSize: 0
; MemoryBound: 0
; FloatMode: 240
; IeeeMode: 1
; LDSByteSize: 17472 bytes/workgroup (compile time only)
; SGPRBlocks: 5
; VGPRBlocks: 15
; NumSGPRsForWavesPerEU: 42
; NumVGPRsForWavesPerEU: 125
; Occupancy: 10
; WaveLimiterHint : 1
; COMPUTE_PGM_RSRC2:SCRATCH_EN: 0
; COMPUTE_PGM_RSRC2:USER_SGPR: 13
; COMPUTE_PGM_RSRC2:TRAP_HANDLER: 0
; COMPUTE_PGM_RSRC2:TGID_X_EN: 1
; COMPUTE_PGM_RSRC2:TGID_Y_EN: 1
; COMPUTE_PGM_RSRC2:TGID_Z_EN: 1
; COMPUTE_PGM_RSRC2:TIDIG_COMP_CNT: 0
	.section	.text._Z39paged_attention_ll4mi_QKV_mfma16_kernelI14__hip_bfloat16hLN4vllm18Fp8KVCacheDataTypeE1EhLi32ELi64ELi256ELb1ELi3EL8MFMAType0EEvPKT_PKT0_S9_ifPKiSB_SB_iPKfiiiPfSE_PS4_PT2_iSD_SD_,"axG",@progbits,_Z39paged_attention_ll4mi_QKV_mfma16_kernelI14__hip_bfloat16hLN4vllm18Fp8KVCacheDataTypeE1EhLi32ELi64ELi256ELb1ELi3EL8MFMAType0EEvPKT_PKT0_S9_ifPKiSB_SB_iPKfiiiPfSE_PS4_PT2_iSD_SD_,comdat
	.protected	_Z39paged_attention_ll4mi_QKV_mfma16_kernelI14__hip_bfloat16hLN4vllm18Fp8KVCacheDataTypeE1EhLi32ELi64ELi256ELb1ELi3EL8MFMAType0EEvPKT_PKT0_S9_ifPKiSB_SB_iPKfiiiPfSE_PS4_PT2_iSD_SD_ ; -- Begin function _Z39paged_attention_ll4mi_QKV_mfma16_kernelI14__hip_bfloat16hLN4vllm18Fp8KVCacheDataTypeE1EhLi32ELi64ELi256ELb1ELi3EL8MFMAType0EEvPKT_PKT0_S9_ifPKiSB_SB_iPKfiiiPfSE_PS4_PT2_iSD_SD_
	.globl	_Z39paged_attention_ll4mi_QKV_mfma16_kernelI14__hip_bfloat16hLN4vllm18Fp8KVCacheDataTypeE1EhLi32ELi64ELi256ELb1ELi3EL8MFMAType0EEvPKT_PKT0_S9_ifPKiSB_SB_iPKfiiiPfSE_PS4_PT2_iSD_SD_
	.p2align	8
	.type	_Z39paged_attention_ll4mi_QKV_mfma16_kernelI14__hip_bfloat16hLN4vllm18Fp8KVCacheDataTypeE1EhLi32ELi64ELi256ELb1ELi3EL8MFMAType0EEvPKT_PKT0_S9_ifPKiSB_SB_iPKfiiiPfSE_PS4_PT2_iSD_SD_,@function
_Z39paged_attention_ll4mi_QKV_mfma16_kernelI14__hip_bfloat16hLN4vllm18Fp8KVCacheDataTypeE1EhLi32ELi64ELi256ELb1ELi3EL8MFMAType0EEvPKT_PKT0_S9_ifPKiSB_SB_iPKfiiiPfSE_PS4_PT2_iSD_SD_: ; @_Z39paged_attention_ll4mi_QKV_mfma16_kernelI14__hip_bfloat16hLN4vllm18Fp8KVCacheDataTypeE1EhLi32ELi64ELi256ELb1ELi3EL8MFMAType0EEvPKT_PKT0_S9_ifPKiSB_SB_iPKfiiiPfSE_PS4_PT2_iSD_SD_
; %bb.0:
	s_load_b64 s[2:3], s[0:1], 0x30
	s_mov_b32 s34, s13
	s_waitcnt lgkmcnt(0)
	s_cmp_lg_u64 s[2:3], 0
	s_cselect_b32 s8, -1, 0
	s_ashr_i32 s35, s13, 31
	s_cmp_eq_u64 s[2:3], 0
	s_cbranch_scc1 .LBB1744_3
; %bb.1:
	s_lshl_b64 s[4:5], s[34:35], 2
	s_delay_alu instid0(SALU_CYCLE_1) | instskip(SKIP_4) | instid1(SALU_CYCLE_1)
	s_add_u32 s4, s2, s4
	s_addc_u32 s5, s3, s5
	s_load_b64 s[4:5], s[4:5], 0x0
	s_waitcnt lgkmcnt(0)
	s_sub_i32 s4, s5, s4
	s_cmp_eq_u32 s4, 1
	s_cselect_b32 s4, -1, 0
	s_delay_alu instid0(SALU_CYCLE_1)
	s_and_not1_b32 vcc_lo, exec_lo, s4
	s_cbranch_vccz .LBB1744_4
.LBB1744_2:
	s_nop 0
	s_sendmsg sendmsg(MSG_DEALLOC_VGPRS)
	s_endpgm
.LBB1744_3:
.LBB1744_4:
	s_load_b64 s[4:5], s[0:1], 0x28
	s_lshl_b64 s[6:7], s[34:35], 2
	s_waitcnt lgkmcnt(0)
	s_add_u32 s4, s4, s6
	s_addc_u32 s5, s5, s7
	s_lshl_b32 s12, s14, 8
	s_load_b32 s24, s[4:5], 0x0
	s_waitcnt lgkmcnt(0)
	s_cmp_ge_i32 s12, s24
	s_cbranch_scc1 .LBB1744_2
; %bb.5:
	s_clause 0x1
	s_load_b128 s[20:23], s[0:1], 0x8
	s_load_b64 s[4:5], s[0:1], 0x20
	s_and_not1_b32 vcc_lo, exec_lo, s8
	s_cbranch_vccnz .LBB1744_7
; %bb.6:
	s_add_u32 s2, s2, s6
	s_addc_u32 s3, s3, s7
	s_load_b32 s3, s[2:3], 0x0
	s_branch .LBB1744_8
.LBB1744_7:
	s_mov_b32 s3, s34
.LBB1744_8:
	s_load_b128 s[16:19], s[0:1], 0x48
	v_lshrrev_b32_e32 v66, 5, v0
	v_bfe_u32 v74, v0, 4, 1
	v_and_b32_e32 v65, 15, v0
	v_and_b32_e32 v67, 31, v0
	;; [unrolled: 1-line block ×3, first 2 shown]
	s_mul_i32 s31, s15, 3
	v_lshl_or_b32 v1, v66, 1, v74
	v_lshlrev_b32_e32 v2, 3, v65
	v_cmp_gt_u32_e64 s2, 8, v65
	s_delay_alu instid0(VALU_DEP_3) | instskip(NEXT) | instid1(VALU_DEP_3)
	v_cmp_gt_u32_e32 vcc_lo, 3, v1
	v_lshlrev_b32_e32 v73, 1, v2
	s_delay_alu instid0(VALU_DEP_3) | instskip(NEXT) | instid1(SALU_CYCLE_1)
	s_and_b32 s7, s2, vcc_lo
	s_and_saveexec_b32 s6, s7
	s_cbranch_execz .LBB1744_10
; %bb.9:
	s_load_b64 s[8:9], s[0:1], 0x0
	v_add_lshl_u32 v2, v1, s31, 6
	s_waitcnt lgkmcnt(0)
	s_mul_hi_i32 s11, s3, s16
	s_mul_i32 s10, s3, s16
	v_lshlrev_b32_e32 v6, 10, v65
	s_lshl_b64 s[10:11], s[10:11], 1
	v_ashrrev_i32_e32 v3, 31, v2
	v_lshlrev_b32_e32 v1, 6, v1
	v_lshlrev_b32_e32 v7, 10, v75
	v_and_b32_e32 v6, 0x3800, v6
	s_delay_alu instid0(VALU_DEP_4) | instskip(NEXT) | instid1(VALU_DEP_2)
	v_lshlrev_b64 v[2:3], 1, v[2:3]
	v_or3_b32 v1, v6, v7, v1
	s_add_u32 s3, s8, s10
	s_addc_u32 s7, s9, s11
	s_delay_alu instid0(VALU_DEP_2) | instskip(NEXT) | instid1(VALU_DEP_3)
	v_add_co_u32 v2, vcc_lo, s3, v2
	v_add_co_ci_u32_e32 v3, vcc_lo, s7, v3, vcc_lo
	s_delay_alu instid0(VALU_DEP_2) | instskip(NEXT) | instid1(VALU_DEP_2)
	v_add_co_u32 v2, vcc_lo, v2, v73
	v_add_co_ci_u32_e32 v3, vcc_lo, 0, v3, vcc_lo
	global_load_b128 v[2:5], v[2:3], off
	s_waitcnt vmcnt(0)
	ds_store_b128 v1, v[2:5]
.LBB1744_10:
	s_or_b32 exec_lo, exec_lo, s6
	v_and_b32_e32 v1, 0xef, v0
	s_waitcnt lgkmcnt(0)
	s_add_i32 s3, s24, 31
	s_clause 0x1
	s_load_b32 s6, s[0:1], 0x38
	s_load_b32 s19, s[0:1], 0x1c
	s_ashr_i32 s7, s3, 31
	v_add_nc_u32_e32 v1, s12, v1
	s_lshr_b32 s7, s7, 27
	s_waitcnt lgkmcnt(0)
	s_add_i32 s3, s3, s7
	s_barrier
	v_ashrrev_i32_e32 v2, 31, v1
	v_or_b32_e32 v3, 16, v1
	s_ashr_i32 s3, s3, 5
	v_cmp_gt_i32_e32 vcc_lo, s24, v1
	s_add_i32 s3, s3, -1
	v_lshrrev_b32_e32 v2, 27, v2
	buffer_gl0_inv
	s_mul_i32 s27, s15, s18
	v_add_nc_u32_e32 v4, v1, v2
	s_mul_i32 s6, s34, s6
	s_delay_alu instid0(SALU_CYCLE_1) | instskip(NEXT) | instid1(VALU_DEP_1)
	s_ashr_i32 s7, s6, 31
	v_ashrrev_i32_e32 v4, 5, v4
	v_add_nc_u32_e32 v2, v3, v2
	s_lshl_b64 s[6:7], s[6:7], 2
	s_delay_alu instid0(SALU_CYCLE_1) | instskip(NEXT) | instid1(VALU_DEP_2)
	s_add_u32 s26, s4, s6
	v_cndmask_b32_e32 v1, s3, v4, vcc_lo
	s_delay_alu instid0(VALU_DEP_2)
	v_ashrrev_i32_e32 v2, 5, v2
	v_cmp_gt_i32_e32 vcc_lo, s24, v3
	s_addc_u32 s25, s5, s7
	s_ashr_i32 s28, s27, 31
	s_add_u32 s4, s20, s27
	s_addc_u32 s5, s21, s28
	v_cndmask_b32_e32 v3, s3, v2, vcc_lo
	v_ashrrev_i32_e32 v2, 31, v1
	s_lshl_b32 s6, s14, 3
	s_delay_alu instid0(SALU_CYCLE_1) | instskip(NEXT) | instid1(VALU_DEP_2)
	s_ashr_i32 s7, s6, 31
	v_ashrrev_i32_e32 v4, 31, v3
	s_delay_alu instid0(VALU_DEP_2) | instskip(SKIP_1) | instid1(SALU_CYCLE_1)
	v_lshlrev_b64 v[1:2], 2, v[1:2]
	s_lshl_b64 s[6:7], s[6:7], 2
	s_add_u32 s6, s26, s6
	s_delay_alu instid0(VALU_DEP_2) | instskip(SKIP_1) | instid1(VALU_DEP_2)
	v_lshlrev_b64 v[3:4], 2, v[3:4]
	s_addc_u32 s7, s25, s7
	v_add_co_u32 v1, vcc_lo, s26, v1
	v_add_co_ci_u32_e32 v2, vcc_lo, s25, v2, vcc_lo
	s_delay_alu instid0(VALU_DEP_3) | instskip(NEXT) | instid1(VALU_DEP_4)
	v_add_co_u32 v3, vcc_lo, s26, v3
	v_add_co_ci_u32_e32 v4, vcc_lo, s25, v4, vcc_lo
	s_clause 0x1
	global_load_b32 v5, v[1:2], off
	global_load_b32 v6, v[3:4], off
	s_or_b32 s8, s12, 32
	s_delay_alu instid0(SALU_CYCLE_1) | instskip(SKIP_2) | instid1(SALU_CYCLE_1)
	s_ashr_i32 s9, s8, 5
	s_cmp_lt_i32 s8, s24
	s_cselect_b32 s8, s9, s3
	s_ashr_i32 s9, s8, 31
	s_delay_alu instid0(SALU_CYCLE_1) | instskip(NEXT) | instid1(SALU_CYCLE_1)
	s_lshl_b64 s[8:9], s[8:9], 2
	s_add_u32 s8, s26, s8
	s_addc_u32 s9, s25, s9
	s_or_b32 s10, s12, 64
	s_delay_alu instid0(SALU_CYCLE_1) | instskip(SKIP_2) | instid1(SALU_CYCLE_1)
	s_ashr_i32 s11, s10, 5
	s_cmp_lt_i32 s10, s24
	s_cselect_b32 s10, s11, s3
	s_ashr_i32 s11, s10, 31
	s_delay_alu instid0(SALU_CYCLE_1) | instskip(NEXT) | instid1(SALU_CYCLE_1)
	s_lshl_b64 s[10:11], s[10:11], 2
	s_add_u32 s10, s26, s10
	s_addc_u32 s11, s25, s11
	;; [unrolled: 10-line block ×5, first 2 shown]
	s_clause 0x5
	s_load_b32 s21, s[6:7], 0x0
	s_load_b32 s13, s[8:9], 0x0
	;; [unrolled: 1-line block ×6, first 2 shown]
	s_or_b32 s9, s12, 0xc0
	s_delay_alu instid0(SALU_CYCLE_1) | instskip(SKIP_2) | instid1(SALU_CYCLE_1)
	s_ashr_i32 s10, s9, 5
	s_cmp_lt_i32 s9, s24
	s_cselect_b32 s36, s10, s3
	s_ashr_i32 s37, s36, 31
	s_delay_alu instid0(SALU_CYCLE_1) | instskip(NEXT) | instid1(SALU_CYCLE_1)
	s_lshl_b64 s[36:37], s[36:37], 2
	s_add_u32 s36, s26, s36
	s_addc_u32 s37, s25, s37
	s_or_b32 s29, s12, 0xe0
	s_delay_alu instid0(SALU_CYCLE_1)
	s_ashr_i32 s30, s29, 5
	s_cmp_lt_i32 s29, s24
	s_waitcnt vmcnt(1)
	v_mad_i64_i32 v[1:2], null, v5, s17, s[4:5]
	s_waitcnt vmcnt(0)
	v_mad_i64_i32 v[3:4], null, v6, s17, s[4:5]
	s_mov_b32 s4, 0
	s_delay_alu instid0(SALU_CYCLE_1)
	s_mov_b32 s5, s4
	s_mov_b32 s6, s4
	;; [unrolled: 1-line block ×7, first 2 shown]
	v_lshlrev_b32_e32 v5, 4, v65
	v_dual_mov_b32 v107, s11 :: v_dual_mov_b32 v102, s6
	v_mov_b32_e32 v106, s10
	v_mov_b32_e32 v104, s8
	s_delay_alu instid0(VALU_DEP_4)
	v_add_co_u32 v1, vcc_lo, v1, v5
	v_add_co_ci_u32_e32 v2, vcc_lo, 0, v2, vcc_lo
	v_add_co_u32 v3, vcc_lo, v3, v5
	v_add_co_ci_u32_e32 v4, vcc_lo, 0, v4, vcc_lo
	s_clause 0x7
	global_load_b128 v[49:52], v[1:2], off
	global_load_b128 v[53:56], v[1:2], off offset:512
	global_load_b128 v[76:79], v[3:4], off offset:256
	;; [unrolled: 1-line block ×7, first 2 shown]
	v_mul_lo_u16 v1, 0x56, v65
	v_mov_b32_e32 v103, s7
	v_dual_mov_b32 v101, s5 :: v_dual_lshlrev_b32 v2, 5, v65
	v_mov_b32_e32 v100, s4
	s_delay_alu instid0(VALU_DEP_4) | instskip(NEXT) | instid1(VALU_DEP_3)
	v_lshrrev_b16 v1, 8, v1
	v_lshl_or_b32 v2, v66, 9, v2
	s_delay_alu instid0(VALU_DEP_2) | instskip(NEXT) | instid1(VALU_DEP_1)
	v_mul_lo_u16 v1, v1, 3
	v_sub_nc_u16 v1, v65, v1
	s_delay_alu instid0(VALU_DEP_1)
	v_and_b32_e32 v1, 0xff, v1
	v_mov_b32_e32 v105, s9
	s_cselect_b32 s4, s30, s3
	s_load_b32 s3, s[36:37], 0x0
	s_ashr_i32 s5, s4, 31
	v_lshlrev_b32_e32 v70, 6, v1
	s_lshl_b64 s[4:5], s[4:5], 2
	ds_load_b128 v[108:111], v70
	ds_load_b128 v[112:115], v70 offset:1024
	s_add_u32 s4, s26, s4
	s_addc_u32 s5, s25, s5
	s_add_u32 s6, s22, s27
	s_load_b32 s4, s[4:5], 0x0
	s_addc_u32 s7, s23, s28
	v_add_co_u32 v9, s6, s6, v2
	s_delay_alu instid0(VALU_DEP_1) | instskip(SKIP_1) | instid1(VALU_DEP_1)
	v_add_co_ci_u32_e64 v10, null, s7, 0, s6
	s_waitcnt lgkmcnt(0)
	v_mad_i64_i32 v[1:2], null, s21, s17, v[9:10]
	v_mad_i64_i32 v[3:4], null, s13, s17, v[9:10]
	;; [unrolled: 1-line block ×7, first 2 shown]
	s_clause 0x9
	global_load_b128 v[57:60], v[1:2], off
	global_load_b128 v[61:64], v[1:2], off offset:16
	global_load_b128 v[41:44], v[3:4], off
	global_load_b128 v[45:48], v[3:4], off offset:16
	;; [unrolled: 2-line block ×5, first 2 shown]
	v_mad_i64_i32 v[68:69], null, s4, s17, v[9:10]
	s_clause 0x3
	global_load_b128 v[9:12], v[13:14], off
	global_load_b128 v[13:16], v[13:14], off offset:16
	global_load_b128 v[17:20], v[21:22], off
	global_load_b128 v[21:24], v[21:22], off offset:16
	s_waitcnt vmcnt(20)
	v_wmma_f32_16x16x16_bf16 v[116:123], v[49:56], v[108:115], v[100:107]
	s_clause 0x1
	global_load_b128 v[49:52], v[68:69], off
	global_load_b128 v[53:56], v[68:69], off offset:16
	v_and_b32_e32 v68, 0xe0, v0
	v_mbcnt_lo_u32_b32 v69, -1, 0
	s_delay_alu instid0(VALU_DEP_2)
	v_add_nc_u32_e32 v68, s12, v68
	s_waitcnt vmcnt(20)
	v_wmma_f32_16x16x16_bf16 v[100:107], v[76:83], v[108:115], v[100:107]
	ds_load_b128 v[76:79], v70 offset:2048
	ds_load_b128 v[80:83], v70 offset:3072
	v_xor_b32_e32 v70, 16, v69
	s_waitcnt vmcnt(0) lgkmcnt(0)
	v_or_b32_e32 v68, v68, v74
	s_barrier
	buffer_gl0_inv
	v_cmp_gt_i32_e32 vcc_lo, 32, v70
	v_or_b32_e32 v71, 4, v68
	v_or_b32_e32 v72, 6, v68
	v_cmp_gt_i32_e64 s3, s24, v68
	v_or_b32_e32 v108, 8, v68
	v_or_b32_e32 v109, 10, v68
	v_cmp_gt_i32_e64 s4, s24, v71
	v_cmp_gt_i32_e64 s5, s24, v72
	s_delay_alu instid0(VALU_DEP_4) | instskip(NEXT) | instid1(VALU_DEP_4)
	v_cmp_gt_i32_e64 s6, s24, v108
	v_cmp_gt_i32_e64 s7, s24, v109
	v_wmma_f32_16x16x16_bf16 v[116:123], v[84:91], v[76:83], v[116:123]
	v_cndmask_b32_e32 v69, v69, v70, vcc_lo
	v_or_b32_e32 v70, 2, v68
	v_wmma_f32_16x16x16_bf16 v[100:107], v[92:99], v[76:83], v[100:107]
	v_or_b32_e32 v84, 12, v68
	v_dual_mul_f32 v78, s19, v123 :: v_dual_mul_f32 v83, s19, v118
	v_dual_mul_f32 v92, s19, v117 :: v_dual_mul_f32 v93, s19, v116
	s_delay_alu instid0(VALU_DEP_4) | instskip(SKIP_2) | instid1(VALU_DEP_4)
	v_mul_f32_e32 v94, s19, v107
	v_cmp_gt_i32_e32 vcc_lo, s24, v70
	v_dual_mul_f32 v81, s19, v120 :: v_dual_mul_f32 v82, s19, v119
	v_cndmask_b32_e64 v93, 0xff7fffff, v93, s3
	v_or_b32_e32 v85, 14, v68
	v_cndmask_b32_e32 v92, 0xff7fffff, v92, vcc_lo
	v_dual_mul_f32 v79, s19, v122 :: v_dual_mul_f32 v80, s19, v121
	v_cndmask_b32_e64 v71, 0xff7fffff, v83, s4
	v_cndmask_b32_e64 v72, 0xff7fffff, v82, s5
	s_delay_alu instid0(VALU_DEP_4)
	v_max3_f32 v82, v93, 0xff7fffff, v92
	v_or_b32_e32 v86, 16, v68
	v_or_b32_e32 v87, 18, v68
	v_cndmask_b32_e64 v81, 0xff7fffff, v81, s6
	v_cndmask_b32_e64 v80, 0xff7fffff, v80, s7
	v_max3_f32 v71, v82, v71, v72
	v_cmp_gt_i32_e64 s8, s24, v84
	v_cmp_gt_i32_e64 s9, s24, v85
	v_or_b32_e32 v88, 20, v68
	v_or_b32_e32 v89, 22, v68
	;; [unrolled: 1-line block ×6, first 2 shown]
	v_dual_mul_f32 v99, s19, v102 :: v_dual_mul_f32 v70, s19, v101
	v_mul_f32_e32 v68, s19, v100
	v_cndmask_b32_e64 v72, 0xff7fffff, v79, s8
	v_cndmask_b32_e64 v78, 0xff7fffff, v78, s9
	v_max3_f32 v71, v71, v81, v80
	v_cmp_gt_i32_e64 s10, s24, v86
	v_cmp_gt_i32_e64 s11, s24, v87
	v_dual_mul_f32 v97, s19, v104 :: v_dual_mul_f32 v98, s19, v103
	s_delay_alu instid0(VALU_DEP_4) | instskip(SKIP_1) | instid1(VALU_DEP_4)
	v_max3_f32 v71, v71, v72, v78
	v_cmp_gt_i32_e64 s12, s24, v88
	v_cndmask_b32_e64 v70, 0xff7fffff, v70, s11
	v_cmp_gt_i32_e64 s13, s24, v89
	v_lshlrev_b32_e32 v89, 2, v69
	v_cndmask_b32_e64 v68, 0xff7fffff, v68, s10
	v_dual_mul_f32 v95, s19, v106 :: v_dual_mul_f32 v96, s19, v105
	v_cndmask_b32_e64 v72, 0xff7fffff, v99, s12
	v_cndmask_b32_e64 v78, 0xff7fffff, v98, s13
	s_delay_alu instid0(VALU_DEP_4)
	v_max3_f32 v68, v71, v68, v70
	v_cmp_gt_i32_e64 s15, s24, v90
	v_cmp_gt_i32_e64 s16, s24, v91
	;; [unrolled: 1-line block ×4, first 2 shown]
	v_max3_f32 v68, v68, v72, v78
	v_cndmask_b32_e64 v70, 0xff7fffff, v97, s15
	v_cndmask_b32_e64 v71, 0xff7fffff, v96, s16
	;; [unrolled: 1-line block ×4, first 2 shown]
	s_delay_alu instid0(VALU_DEP_3) | instskip(NEXT) | instid1(VALU_DEP_1)
	v_max3_f32 v68, v68, v70, v71
	v_max3_f32 v68, v68, v72, v76
	ds_bpermute_b32 v69, v89, v68
	s_waitcnt lgkmcnt(0)
	v_max_f32_e32 v69, v69, v69
	s_delay_alu instid0(VALU_DEP_1) | instskip(NEXT) | instid1(VALU_DEP_1)
	v_max_f32_e32 v68, v68, v69
	v_fma_f32 v71, s19, v118, -v68
	s_delay_alu instid0(VALU_DEP_1)
	v_mul_f32_e32 v71, 0x3fb8aa3b, v71
	v_fma_f32 v69, s19, v116, -v68
	v_fma_f32 v70, s19, v117, -v68
	;; [unrolled: 1-line block ×4, first 2 shown]
	v_exp_f32_e32 v71, v71
	s_delay_alu instid0(VALU_DEP_3) | instskip(SKIP_2) | instid1(VALU_DEP_3)
	v_dual_mul_f32 v69, 0x3fb8aa3b, v69 :: v_dual_mul_f32 v70, 0x3fb8aa3b, v70
	v_fma_f32 v78, s19, v122, -v68
	v_fma_f32 v81, s19, v105, -v68
	v_exp_f32_e32 v69, v69
	s_delay_alu instid0(VALU_DEP_3) | instskip(SKIP_1) | instid1(VALU_DEP_2)
	v_exp_f32_e32 v70, v70
	v_mul_f32_e32 v77, 0x3fb8aa3b, v76
	v_mul_f32_e32 v81, 0x3fb8aa3b, v81
	s_delay_alu instid0(TRANS32_DEP_3) | instskip(SKIP_1) | instid1(VALU_DEP_3)
	v_cndmask_b32_e64 v83, 0, v71, s4
	v_fma_f32 v71, s19, v123, -v68
	v_exp_f32_e32 v81, v81
	s_delay_alu instid0(TRANS32_DEP_3) | instskip(NEXT) | instid1(TRANS32_DEP_2)
	v_cndmask_b32_e64 v80, 0, v69, s3
	v_cndmask_b32_e32 v76, 0, v70, vcc_lo
	v_fma_f32 v69, s19, v121, -v68
	v_mul_f32_e32 v72, 0x3fb8aa3b, v72
	v_exp_f32_e32 v77, v77
	v_dual_add_f32 v70, 0, v80 :: v_dual_mul_f32 v71, 0x3fb8aa3b, v71
	s_delay_alu instid0(VALU_DEP_3) | instskip(NEXT) | instid1(VALU_DEP_3)
	v_mul_f32_e32 v69, 0x3fb8aa3b, v69
	v_exp_f32_e32 v72, v72
	v_cmp_gt_u32_e64 s3, 16, v67
	s_delay_alu instid0(VALU_DEP_3) | instskip(NEXT) | instid1(VALU_DEP_2)
	v_exp_f32_e32 v71, v71
	v_exp_f32_e32 v69, v69
	v_cndmask_b32_e64 v86, 0, v77, s6
	v_fma_f32 v77, s19, v101, -v68
	v_add_f32_e32 v70, v70, v76
	s_delay_alu instid0(TRANS32_DEP_3) | instskip(SKIP_1) | instid1(VALU_DEP_3)
	v_cndmask_b32_e64 v85, 0, v72, s5
	v_fma_f32 v72, s19, v100, -v68
	v_dual_mul_f32 v77, 0x3fb8aa3b, v77 :: v_dual_add_f32 v70, v70, v83
	s_delay_alu instid0(TRANS32_DEP_2) | instskip(SKIP_1) | instid1(TRANS32_DEP_1)
	v_cndmask_b32_e64 v88, 0, v71, s9
	v_fma_f32 v71, s19, v104, -v68
	v_cndmask_b32_e64 v87, 0, v69, s7
	s_delay_alu instid0(VALU_DEP_4) | instskip(NEXT) | instid1(VALU_DEP_2)
	v_exp_f32_e32 v77, v77
	v_dual_add_f32 v70, v70, v85 :: v_dual_mul_f32 v71, 0x3fb8aa3b, v71
	s_delay_alu instid0(VALU_DEP_1) | instskip(SKIP_2) | instid1(VALU_DEP_3)
	v_dual_mul_f32 v72, 0x3fb8aa3b, v72 :: v_dual_add_f32 v69, v70, v86
	v_mul_f32_e32 v78, 0x3fb8aa3b, v78
	v_fma_f32 v70, s19, v102, -v68
	v_exp_f32_e32 v72, v72
	v_exp_f32_e32 v82, v71
	v_add_f32_e32 v69, v69, v87
	v_exp_f32_e32 v78, v78
	v_mul_f32_e32 v70, 0x3fb8aa3b, v70
	s_delay_alu instid0(VALU_DEP_1) | instskip(SKIP_4) | instid1(VALU_DEP_2)
	v_exp_f32_e32 v79, v70
	v_cndmask_b32_e64 v70, 0, v72, s10
	s_waitcnt_depctr 0xfff
	v_cndmask_b32_e64 v84, 0, v78, s8
	v_fma_f32 v78, s19, v103, -v68
	v_add_f32_e32 v69, v69, v84
	v_cndmask_b32_e64 v71, 0, v79, s12
	s_delay_alu instid0(VALU_DEP_2) | instskip(SKIP_2) | instid1(VALU_DEP_1)
	v_add_f32_e32 v72, v69, v88
	v_cndmask_b32_e64 v69, 0, v77, s11
	v_fma_f32 v77, s19, v106, -v68
	v_dual_mul_f32 v77, 0x3fb8aa3b, v77 :: v_dual_add_f32 v72, v72, v70
	v_mul_f32_e32 v78, 0x3fb8aa3b, v78
	s_delay_alu instid0(VALU_DEP_2) | instskip(NEXT) | instid1(VALU_DEP_2)
	v_exp_f32_e32 v90, v77
	v_add_f32_e32 v79, v72, v69
	s_delay_alu instid0(VALU_DEP_2)
	v_exp_f32_e32 v78, v78
	v_cndmask_b32_e64 v77, 0, v82, s15
	s_waitcnt_depctr 0xfff
	v_cndmask_b32_e64 v72, 0, v78, s13
	v_add_f32_e32 v78, v79, v71
	v_fma_f32 v79, s19, v107, -v68
	s_delay_alu instid0(VALU_DEP_1) | instskip(SKIP_1) | instid1(VALU_DEP_2)
	v_dual_add_f32 v82, v78, v72 :: v_dual_mul_f32 v79, 0x3fb8aa3b, v79
	v_cndmask_b32_e64 v78, 0, v81, s16
	v_add_f32_e32 v81, v82, v77
	s_delay_alu instid0(VALU_DEP_3) | instskip(SKIP_1) | instid1(VALU_DEP_2)
	v_exp_f32_e32 v82, v79
	v_cndmask_b32_e64 v79, 0, v90, s17
	v_add_f32_e32 v81, v81, v78
	s_delay_alu instid0(VALU_DEP_1) | instskip(SKIP_2) | instid1(VALU_DEP_1)
	v_add_f32_e32 v90, v81, v79
	s_waitcnt_depctr 0xfff
	v_cndmask_b32_e64 v81, 0, v82, s18
	v_add_f32_e32 v82, v90, v81
	ds_bpermute_b32 v89, v89, v82
	s_and_saveexec_b32 s4, s3
	s_cbranch_execz .LBB1744_12
; %bb.11:
	v_mul_u32_u24_e32 v67, 0x44, v66
	s_delay_alu instid0(VALU_DEP_1) | instskip(SKIP_1) | instid1(VALU_DEP_1)
	v_lshl_add_u32 v67, v65, 2, v67
	s_waitcnt lgkmcnt(0)
	v_dual_add_f32 v82, v82, v89 :: v_dual_add_nc_u32 v67, 0x4000, v67
	ds_store_2addr_b32 v67, v68, v82 offset1:136
.LBB1744_12:
	s_or_b32 exec_lo, exec_lo, s4
	v_lshlrev_b32_e32 v67, 2, v65
	s_waitcnt lgkmcnt(0)
	s_barrier
	buffer_gl0_inv
	v_cmp_eq_u32_e32 vcc_lo, 1, v66
	v_add_nc_u32_e32 v82, 0x4000, v67
	v_cmp_eq_u32_e64 s4, 2, v66
	v_cmp_eq_u32_e64 s6, 7, v66
	ds_load_2addr_b32 v[89:90], v82 offset1:17
	ds_load_2addr_b32 v[91:92], v82 offset0:34 offset1:51
	ds_load_2addr_b32 v[93:94], v82 offset0:68 offset1:85
	;; [unrolled: 1-line block ×4, first 2 shown]
	s_waitcnt lgkmcnt(4)
	v_max3_f32 v67, v89, 0xff7fffff, v90
	s_waitcnt lgkmcnt(3)
	s_delay_alu instid0(VALU_DEP_1) | instskip(SKIP_1) | instid1(VALU_DEP_1)
	v_max3_f32 v67, v67, v91, v92
	s_waitcnt lgkmcnt(2)
	v_max3_f32 v67, v67, v93, v94
	s_waitcnt lgkmcnt(1)
	s_delay_alu instid0(VALU_DEP_1) | instskip(NEXT) | instid1(VALU_DEP_1)
	v_max3_f32 v67, v67, v95, v96
	v_sub_f32_e32 v93, v93, v67
	s_delay_alu instid0(VALU_DEP_1) | instskip(NEXT) | instid1(VALU_DEP_1)
	v_dual_sub_f32 v68, v89, v67 :: v_dual_mul_f32 v103, 0x3fb8aa3b, v93
	v_mul_f32_e32 v68, 0x3fb8aa3b, v68
	s_delay_alu instid0(VALU_DEP_1)
	v_exp_f32_e32 v100, v68
	v_sub_f32_e32 v68, v92, v67
	v_sub_f32_e32 v99, v90, v67
	ds_load_2addr_b32 v[89:90], v82 offset0:170 offset1:187
	v_dual_mul_f32 v102, 0x3fb8aa3b, v68 :: v_dual_mul_f32 v99, 0x3fb8aa3b, v99
	s_waitcnt lgkmcnt(1)
	v_fma_f32 v68, v100, v97, 0
	s_delay_alu instid0(VALU_DEP_2) | instskip(NEXT) | instid1(VALU_DEP_2)
	v_exp_f32_e32 v102, v102
	v_exp_f32_e32 v99, v99
	s_waitcnt_depctr 0xfff
	v_fmac_f32_e32 v68, v99, v98
	v_sub_f32_e32 v91, v91, v67
	s_delay_alu instid0(VALU_DEP_1)
	v_mul_f32_e32 v101, 0x3fb8aa3b, v91
	ds_load_2addr_b32 v[91:92], v82 offset0:204 offset1:221
	v_sub_f32_e32 v97, v94, v67
	ds_load_2addr_b32 v[93:94], v82 offset0:238 offset1:255
	s_waitcnt lgkmcnt(0)
	v_exp_f32_e32 v101, v101
	s_barrier
	buffer_gl0_inv
	v_dual_fmac_f32 v68, v101, v89 :: v_dual_sub_f32 v89, v96, v67
	v_dual_sub_f32 v82, v95, v67 :: v_dual_mul_f32 v95, 0x3fb8aa3b, v97
	v_exp_f32_e32 v97, v103
	s_delay_alu instid0(VALU_DEP_2) | instskip(NEXT) | instid1(VALU_DEP_2)
	v_dual_fmac_f32 v68, v102, v90 :: v_dual_mul_f32 v89, 0x3fb8aa3b, v89
	v_mul_f32_e32 v82, 0x3fb8aa3b, v82
	s_delay_alu instid0(VALU_DEP_3) | instskip(NEXT) | instid1(VALU_DEP_2)
	v_exp_f32_e32 v95, v95
	v_exp_f32_e32 v89, v89
	s_delay_alu instid0(VALU_DEP_1)
	v_exp_f32_e32 v82, v82
	v_fmac_f32_e32 v68, v97, v91
	s_delay_alu instid0(TRANS32_DEP_3) | instid1(VALU_DEP_1)
	v_fmac_f32_e32 v68, v95, v92
	s_waitcnt_depctr 0xfff
	v_fmac_f32_e32 v68, v82, v93
	s_delay_alu instid0(VALU_DEP_1) | instskip(NEXT) | instid1(VALU_DEP_1)
	v_fmac_f32_e32 v68, v89, v94
	v_add_f32_e32 v90, 0x358637bd, v68
	s_delay_alu instid0(VALU_DEP_1) | instskip(NEXT) | instid1(VALU_DEP_1)
	v_div_scale_f32 v91, null, v90, v90, 1.0
	v_rcp_f32_e32 v92, v91
	s_waitcnt_depctr 0xfff
	v_fma_f32 v93, -v91, v92, 1.0
	s_delay_alu instid0(VALU_DEP_1) | instskip(SKIP_1) | instid1(VALU_DEP_2)
	v_dual_fmac_f32 v92, v93, v92 :: v_dual_cndmask_b32 v93, v100, v99
	v_cmp_eq_u32_e32 vcc_lo, 3, v66
	v_cndmask_b32_e64 v93, v93, v101, s4
	v_cmp_eq_u32_e64 s4, 4, v66
	s_delay_alu instid0(VALU_DEP_2) | instskip(SKIP_1) | instid1(VALU_DEP_2)
	v_cndmask_b32_e32 v93, v93, v102, vcc_lo
	v_cmp_eq_u32_e32 vcc_lo, 5, v66
	v_cndmask_b32_e64 v93, v93, v97, s4
	v_cmp_eq_u32_e64 s4, 6, v66
	s_delay_alu instid0(VALU_DEP_2) | instskip(SKIP_1) | instid1(VALU_DEP_1)
	v_cndmask_b32_e32 v93, v93, v95, vcc_lo
	v_div_scale_f32 v94, s5, 1.0, v90, 1.0
	s_mov_b32 vcc_lo, s5
	s_delay_alu instid0(VALU_DEP_2) | instskip(NEXT) | instid1(VALU_DEP_2)
	v_cndmask_b32_e64 v82, v93, v82, s4
	v_mul_f32_e32 v96, v94, v92
	s_mov_b32 s4, exec_lo
	s_delay_alu instid0(VALU_DEP_2) | instskip(NEXT) | instid1(VALU_DEP_2)
	v_cndmask_b32_e64 v82, v82, v89, s6
	v_fma_f32 v98, -v91, v96, v94
	s_delay_alu instid0(VALU_DEP_1) | instskip(NEXT) | instid1(VALU_DEP_1)
	v_fmac_f32_e32 v96, v98, v92
	v_fma_f32 v91, -v91, v96, v94
	s_delay_alu instid0(VALU_DEP_1) | instskip(NEXT) | instid1(VALU_DEP_1)
	v_div_fmas_f32 v91, v91, v92, v96
	v_div_fixup_f32 v90, v91, v90, 1.0
	s_delay_alu instid0(VALU_DEP_1) | instskip(NEXT) | instid1(VALU_DEP_1)
	v_mul_f32_e32 v82, v82, v90
	v_mul_f32_e32 v87, v82, v87
	v_mul_f32_e32 v90, v82, v80
	v_mul_f32_e32 v80, v82, v88
	v_mul_f32_e32 v84, v82, v84
	v_mul_f32_e32 v88, v82, v86
	v_mul_f32_e32 v89, v82, v85
	v_dual_mul_f32 v86, v82, v83 :: v_dual_and_b32 v91, 0x7f800000, v90
	v_mul_f32_e32 v85, v82, v76
                                        ; implicit-def: $vgpr76
	s_delay_alu instid0(VALU_DEP_2)
	v_cmpx_ne_u32_e32 0x7f800000, v91
	s_xor_b32 s4, exec_lo, s4
; %bb.13:
	v_bfe_u32 v76, v90, 16, 1
	s_delay_alu instid0(VALU_DEP_1)
	v_add3_u32 v76, v90, v76, 0x7fff
                                        ; implicit-def: $vgpr90
; %bb.14:
	s_and_not1_saveexec_b32 s4, s4
; %bb.15:
	v_and_b32_e32 v76, 0xffff, v90
	v_or_b32_e32 v83, 0x10000, v90
	s_delay_alu instid0(VALU_DEP_2) | instskip(NEXT) | instid1(VALU_DEP_2)
	v_cmp_eq_u32_e32 vcc_lo, 0, v76
	v_cndmask_b32_e32 v76, v83, v90, vcc_lo
; %bb.16:
	s_or_b32 exec_lo, exec_lo, s4
	v_and_b32_e32 v83, 0x7f800000, v85
	s_delay_alu instid0(VALU_DEP_1) | instskip(SKIP_1) | instid1(SALU_CYCLE_1)
	v_cmp_ne_u32_e32 vcc_lo, 0x7f800000, v83
                                        ; implicit-def: $vgpr83
	s_and_saveexec_b32 s4, vcc_lo
	s_xor_b32 s4, exec_lo, s4
; %bb.17:
	v_bfe_u32 v83, v85, 16, 1
	s_delay_alu instid0(VALU_DEP_1)
	v_add3_u32 v83, v85, v83, 0x7fff
                                        ; implicit-def: $vgpr85
; %bb.18:
	s_and_not1_saveexec_b32 s4, s4
; %bb.19:
	v_and_b32_e32 v83, 0xffff, v85
	v_or_b32_e32 v90, 0x10000, v85
	s_delay_alu instid0(VALU_DEP_2) | instskip(NEXT) | instid1(VALU_DEP_2)
	v_cmp_eq_u32_e32 vcc_lo, 0, v83
	v_cndmask_b32_e32 v83, v90, v85, vcc_lo
; %bb.20:
	s_or_b32 exec_lo, exec_lo, s4
	v_and_b32_e32 v85, 0x7f800000, v86
	s_delay_alu instid0(VALU_DEP_1) | instskip(SKIP_1) | instid1(SALU_CYCLE_1)
	v_cmp_ne_u32_e32 vcc_lo, 0x7f800000, v85
                                        ; implicit-def: $vgpr85
	s_and_saveexec_b32 s4, vcc_lo
	s_xor_b32 s4, exec_lo, s4
; %bb.21:
	v_bfe_u32 v85, v86, 16, 1
	s_delay_alu instid0(VALU_DEP_1)
	v_add3_u32 v85, v86, v85, 0x7fff
                                        ; implicit-def: $vgpr86
; %bb.22:
	s_and_not1_saveexec_b32 s4, s4
; %bb.23:
	v_and_b32_e32 v85, 0xffff, v86
	v_or_b32_e32 v90, 0x10000, v86
	s_delay_alu instid0(VALU_DEP_2) | instskip(NEXT) | instid1(VALU_DEP_2)
	v_cmp_eq_u32_e32 vcc_lo, 0, v85
	v_cndmask_b32_e32 v85, v90, v86, vcc_lo
; %bb.24:
	s_or_b32 exec_lo, exec_lo, s4
	v_and_b32_e32 v86, 0x7f800000, v89
	s_delay_alu instid0(VALU_DEP_1) | instskip(SKIP_1) | instid1(SALU_CYCLE_1)
	v_cmp_ne_u32_e32 vcc_lo, 0x7f800000, v86
                                        ; implicit-def: $vgpr86
	s_and_saveexec_b32 s4, vcc_lo
	s_xor_b32 s4, exec_lo, s4
; %bb.25:
	v_bfe_u32 v86, v89, 16, 1
	s_delay_alu instid0(VALU_DEP_1)
	v_add3_u32 v86, v89, v86, 0x7fff
                                        ; implicit-def: $vgpr89
; %bb.26:
	s_and_not1_saveexec_b32 s4, s4
; %bb.27:
	v_and_b32_e32 v86, 0xffff, v89
	v_or_b32_e32 v90, 0x10000, v89
	s_delay_alu instid0(VALU_DEP_2) | instskip(NEXT) | instid1(VALU_DEP_2)
	v_cmp_eq_u32_e32 vcc_lo, 0, v86
	v_cndmask_b32_e32 v86, v90, v89, vcc_lo
; %bb.28:
	s_or_b32 exec_lo, exec_lo, s4
	v_and_b32_e32 v89, 0x7f800000, v88
	s_delay_alu instid0(VALU_DEP_1) | instskip(SKIP_1) | instid1(SALU_CYCLE_1)
	v_cmp_ne_u32_e32 vcc_lo, 0x7f800000, v89
                                        ; implicit-def: $vgpr89
	s_and_saveexec_b32 s4, vcc_lo
	s_xor_b32 s4, exec_lo, s4
; %bb.29:
	v_bfe_u32 v89, v88, 16, 1
	s_delay_alu instid0(VALU_DEP_1)
	v_add3_u32 v89, v88, v89, 0x7fff
                                        ; implicit-def: $vgpr88
; %bb.30:
	s_and_not1_saveexec_b32 s4, s4
; %bb.31:
	v_and_b32_e32 v89, 0xffff, v88
	v_or_b32_e32 v90, 0x10000, v88
	s_delay_alu instid0(VALU_DEP_2) | instskip(NEXT) | instid1(VALU_DEP_2)
	v_cmp_eq_u32_e32 vcc_lo, 0, v89
	v_cndmask_b32_e32 v89, v90, v88, vcc_lo
; %bb.32:
	s_or_b32 exec_lo, exec_lo, s4
	v_and_b32_e32 v88, 0x7f800000, v87
	s_delay_alu instid0(VALU_DEP_1) | instskip(SKIP_1) | instid1(SALU_CYCLE_1)
	v_cmp_ne_u32_e32 vcc_lo, 0x7f800000, v88
                                        ; implicit-def: $vgpr88
	s_and_saveexec_b32 s4, vcc_lo
	s_xor_b32 s4, exec_lo, s4
; %bb.33:
	v_bfe_u32 v88, v87, 16, 1
	s_delay_alu instid0(VALU_DEP_1)
	v_add3_u32 v88, v87, v88, 0x7fff
                                        ; implicit-def: $vgpr87
; %bb.34:
	s_and_not1_saveexec_b32 s4, s4
; %bb.35:
	v_and_b32_e32 v88, 0xffff, v87
	v_or_b32_e32 v90, 0x10000, v87
	s_delay_alu instid0(VALU_DEP_2) | instskip(NEXT) | instid1(VALU_DEP_2)
	v_cmp_eq_u32_e32 vcc_lo, 0, v88
	v_cndmask_b32_e32 v88, v90, v87, vcc_lo
; %bb.36:
	s_or_b32 exec_lo, exec_lo, s4
	v_and_b32_e32 v87, 0x7f800000, v84
	s_delay_alu instid0(VALU_DEP_1) | instskip(SKIP_1) | instid1(SALU_CYCLE_1)
	v_cmp_ne_u32_e32 vcc_lo, 0x7f800000, v87
                                        ; implicit-def: $vgpr87
	s_and_saveexec_b32 s4, vcc_lo
	s_xor_b32 s4, exec_lo, s4
; %bb.37:
	v_bfe_u32 v87, v84, 16, 1
	s_delay_alu instid0(VALU_DEP_1)
	v_add3_u32 v87, v84, v87, 0x7fff
                                        ; implicit-def: $vgpr84
; %bb.38:
	s_and_not1_saveexec_b32 s4, s4
; %bb.39:
	v_and_b32_e32 v87, 0xffff, v84
	v_or_b32_e32 v90, 0x10000, v84
	s_delay_alu instid0(VALU_DEP_2) | instskip(NEXT) | instid1(VALU_DEP_2)
	v_cmp_eq_u32_e32 vcc_lo, 0, v87
	v_cndmask_b32_e32 v87, v90, v84, vcc_lo
; %bb.40:
	s_or_b32 exec_lo, exec_lo, s4
	v_and_b32_e32 v84, 0x7f800000, v80
	s_delay_alu instid0(VALU_DEP_1) | instskip(SKIP_1) | instid1(SALU_CYCLE_1)
	v_cmp_ne_u32_e32 vcc_lo, 0x7f800000, v84
                                        ; implicit-def: $vgpr84
	s_and_saveexec_b32 s4, vcc_lo
	s_xor_b32 s4, exec_lo, s4
; %bb.41:
	v_bfe_u32 v84, v80, 16, 1
	s_delay_alu instid0(VALU_DEP_1)
	v_add3_u32 v84, v80, v84, 0x7fff
                                        ; implicit-def: $vgpr80
; %bb.42:
	s_and_not1_saveexec_b32 s4, s4
; %bb.43:
	v_and_b32_e32 v84, 0xffff, v80
	v_or_b32_e32 v90, 0x10000, v80
	s_delay_alu instid0(VALU_DEP_2) | instskip(NEXT) | instid1(VALU_DEP_2)
	v_cmp_eq_u32_e32 vcc_lo, 0, v84
	v_cndmask_b32_e32 v84, v90, v80, vcc_lo
; %bb.44:
	s_or_b32 exec_lo, exec_lo, s4
	s_load_b64 s[36:37], s[0:1], 0x94
	v_lshlrev_b32_e32 v91, 4, v74
	s_delay_alu instid0(VALU_DEP_2)
	v_perm_b32 v90, v84, v87, 0x7060302
	v_dual_mul_f32 v79, v82, v79 :: v_dual_lshlrev_b32 v80, 6, v65
	v_dual_mul_f32 v77, v82, v77 :: v_dual_lshlrev_b32 v92, 11, v66
	v_mul_f32_e32 v84, v82, v70
	v_perm_b32 v89, v88, v89, 0x7060302
	v_perm_b32 v88, v86, v85, 0x7060302
	;; [unrolled: 1-line block ×3, first 2 shown]
	v_mul_f32_e32 v70, v82, v81
	v_or3_b32 v76, v91, v92, v80
	v_dual_mul_f32 v78, v82, v78 :: v_dual_and_b32 v85, 0x7f800000, v84
	v_mul_f32_e32 v83, v82, v72
	v_mul_f32_e32 v81, v82, v71
	;; [unrolled: 1-line block ×3, first 2 shown]
	s_mov_b32 s4, exec_lo
	ds_store_b128 v76, v[87:90]
                                        ; implicit-def: $vgpr69
	v_cmpx_ne_u32_e32 0x7f800000, v85
	s_xor_b32 s4, exec_lo, s4
; %bb.45:
	v_bfe_u32 v69, v84, 16, 1
	s_delay_alu instid0(VALU_DEP_1)
	v_add3_u32 v69, v84, v69, 0x7fff
                                        ; implicit-def: $vgpr84
; %bb.46:
	s_and_not1_saveexec_b32 s4, s4
; %bb.47:
	v_and_b32_e32 v69, 0xffff, v84
	v_or_b32_e32 v71, 0x10000, v84
	s_delay_alu instid0(VALU_DEP_2) | instskip(NEXT) | instid1(VALU_DEP_2)
	v_cmp_eq_u32_e32 vcc_lo, 0, v69
	v_cndmask_b32_e32 v69, v71, v84, vcc_lo
; %bb.48:
	s_or_b32 exec_lo, exec_lo, s4
	v_and_b32_e32 v71, 0x7f800000, v72
	s_delay_alu instid0(VALU_DEP_1) | instskip(SKIP_1) | instid1(SALU_CYCLE_1)
	v_cmp_ne_u32_e32 vcc_lo, 0x7f800000, v71
                                        ; implicit-def: $vgpr71
	s_and_saveexec_b32 s4, vcc_lo
	s_xor_b32 s4, exec_lo, s4
; %bb.49:
	v_bfe_u32 v71, v72, 16, 1
	s_delay_alu instid0(VALU_DEP_1)
	v_add3_u32 v71, v72, v71, 0x7fff
                                        ; implicit-def: $vgpr72
; %bb.50:
	s_and_not1_saveexec_b32 s4, s4
; %bb.51:
	v_and_b32_e32 v71, 0xffff, v72
	v_or_b32_e32 v82, 0x10000, v72
	s_delay_alu instid0(VALU_DEP_2) | instskip(NEXT) | instid1(VALU_DEP_2)
	v_cmp_eq_u32_e32 vcc_lo, 0, v71
	v_cndmask_b32_e32 v71, v82, v72, vcc_lo
; %bb.52:
	s_or_b32 exec_lo, exec_lo, s4
	v_and_b32_e32 v72, 0x7f800000, v81
	s_delay_alu instid0(VALU_DEP_1) | instskip(SKIP_1) | instid1(SALU_CYCLE_1)
	v_cmp_ne_u32_e32 vcc_lo, 0x7f800000, v72
                                        ; implicit-def: $vgpr72
	s_and_saveexec_b32 s4, vcc_lo
	s_xor_b32 s4, exec_lo, s4
; %bb.53:
	v_bfe_u32 v72, v81, 16, 1
	s_delay_alu instid0(VALU_DEP_1)
	v_add3_u32 v72, v81, v72, 0x7fff
                                        ; implicit-def: $vgpr81
; %bb.54:
	s_and_not1_saveexec_b32 s4, s4
; %bb.55:
	v_and_b32_e32 v72, 0xffff, v81
	v_or_b32_e32 v82, 0x10000, v81
	s_delay_alu instid0(VALU_DEP_2) | instskip(NEXT) | instid1(VALU_DEP_2)
	v_cmp_eq_u32_e32 vcc_lo, 0, v72
	v_cndmask_b32_e32 v72, v82, v81, vcc_lo
; %bb.56:
	s_or_b32 exec_lo, exec_lo, s4
	v_and_b32_e32 v81, 0x7f800000, v83
	s_delay_alu instid0(VALU_DEP_1) | instskip(SKIP_1) | instid1(SALU_CYCLE_1)
	v_cmp_ne_u32_e32 vcc_lo, 0x7f800000, v81
                                        ; implicit-def: $vgpr81
	s_and_saveexec_b32 s4, vcc_lo
	s_xor_b32 s4, exec_lo, s4
; %bb.57:
	v_bfe_u32 v81, v83, 16, 1
	s_delay_alu instid0(VALU_DEP_1)
	v_add3_u32 v81, v83, v81, 0x7fff
                                        ; implicit-def: $vgpr83
; %bb.58:
	s_and_not1_saveexec_b32 s4, s4
; %bb.59:
	v_and_b32_e32 v81, 0xffff, v83
	v_or_b32_e32 v82, 0x10000, v83
	s_delay_alu instid0(VALU_DEP_2) | instskip(NEXT) | instid1(VALU_DEP_2)
	v_cmp_eq_u32_e32 vcc_lo, 0, v81
	v_cndmask_b32_e32 v81, v82, v83, vcc_lo
; %bb.60:
	s_or_b32 exec_lo, exec_lo, s4
	v_and_b32_e32 v82, 0x7f800000, v77
	s_delay_alu instid0(VALU_DEP_1) | instskip(SKIP_1) | instid1(SALU_CYCLE_1)
	v_cmp_ne_u32_e32 vcc_lo, 0x7f800000, v82
                                        ; implicit-def: $vgpr82
	s_and_saveexec_b32 s4, vcc_lo
	s_xor_b32 s4, exec_lo, s4
; %bb.61:
	v_bfe_u32 v82, v77, 16, 1
	s_delay_alu instid0(VALU_DEP_1)
	v_add3_u32 v82, v77, v82, 0x7fff
                                        ; implicit-def: $vgpr77
; %bb.62:
	s_and_not1_saveexec_b32 s4, s4
; %bb.63:
	v_and_b32_e32 v82, 0xffff, v77
	v_or_b32_e32 v83, 0x10000, v77
	s_delay_alu instid0(VALU_DEP_2) | instskip(NEXT) | instid1(VALU_DEP_2)
	v_cmp_eq_u32_e32 vcc_lo, 0, v82
	v_cndmask_b32_e32 v82, v83, v77, vcc_lo
; %bb.64:
	s_or_b32 exec_lo, exec_lo, s4
	v_and_b32_e32 v77, 0x7f800000, v78
	s_delay_alu instid0(VALU_DEP_1) | instskip(SKIP_1) | instid1(SALU_CYCLE_1)
	v_cmp_ne_u32_e32 vcc_lo, 0x7f800000, v77
                                        ; implicit-def: $vgpr77
	s_and_saveexec_b32 s4, vcc_lo
	s_xor_b32 s4, exec_lo, s4
; %bb.65:
	v_bfe_u32 v77, v78, 16, 1
	s_delay_alu instid0(VALU_DEP_1)
	v_add3_u32 v77, v78, v77, 0x7fff
                                        ; implicit-def: $vgpr78
; %bb.66:
	s_and_not1_saveexec_b32 s4, s4
; %bb.67:
	v_and_b32_e32 v77, 0xffff, v78
	v_or_b32_e32 v83, 0x10000, v78
	s_delay_alu instid0(VALU_DEP_2) | instskip(NEXT) | instid1(VALU_DEP_2)
	v_cmp_eq_u32_e32 vcc_lo, 0, v77
	v_cndmask_b32_e32 v77, v83, v78, vcc_lo
; %bb.68:
	s_or_b32 exec_lo, exec_lo, s4
	v_and_b32_e32 v78, 0x7f800000, v79
	s_delay_alu instid0(VALU_DEP_1) | instskip(SKIP_1) | instid1(SALU_CYCLE_1)
	v_cmp_ne_u32_e32 vcc_lo, 0x7f800000, v78
                                        ; implicit-def: $vgpr78
	s_and_saveexec_b32 s4, vcc_lo
	s_xor_b32 s4, exec_lo, s4
; %bb.69:
	v_bfe_u32 v78, v79, 16, 1
	s_delay_alu instid0(VALU_DEP_1)
	v_add3_u32 v78, v79, v78, 0x7fff
                                        ; implicit-def: $vgpr79
; %bb.70:
	s_and_not1_saveexec_b32 s4, s4
; %bb.71:
	v_and_b32_e32 v78, 0xffff, v79
	v_or_b32_e32 v83, 0x10000, v79
	s_delay_alu instid0(VALU_DEP_2) | instskip(NEXT) | instid1(VALU_DEP_2)
	v_cmp_eq_u32_e32 vcc_lo, 0, v78
	v_cndmask_b32_e32 v78, v83, v79, vcc_lo
; %bb.72:
	s_or_b32 exec_lo, exec_lo, s4
	v_and_b32_e32 v79, 0x7f800000, v70
	s_delay_alu instid0(VALU_DEP_1) | instskip(SKIP_1) | instid1(SALU_CYCLE_1)
	v_cmp_ne_u32_e32 vcc_lo, 0x7f800000, v79
                                        ; implicit-def: $vgpr79
	s_and_saveexec_b32 s4, vcc_lo
	s_xor_b32 s4, exec_lo, s4
; %bb.73:
	v_bfe_u32 v79, v70, 16, 1
	s_delay_alu instid0(VALU_DEP_1)
	v_add3_u32 v79, v70, v79, 0x7fff
                                        ; implicit-def: $vgpr70
; %bb.74:
	s_and_not1_saveexec_b32 s4, s4
; %bb.75:
	v_and_b32_e32 v79, 0xffff, v70
	v_or_b32_e32 v83, 0x10000, v70
	s_delay_alu instid0(VALU_DEP_2) | instskip(NEXT) | instid1(VALU_DEP_2)
	v_cmp_eq_u32_e32 vcc_lo, 0, v79
	v_cndmask_b32_e32 v79, v83, v70, vcc_lo
; %bb.76:
	s_or_b32 exec_lo, exec_lo, s4
	s_delay_alu instid0(VALU_DEP_1)
	v_perm_b32 v86, v79, v78, 0x7060302
	v_perm_b32 v85, v77, v82, 0x7060302
	;; [unrolled: 1-line block ×4, first 2 shown]
	v_lshl_or_b32 v82, v66, 11, v80
	ds_store_b128 v76, v[83:86] offset:1024
	s_waitcnt lgkmcnt(0)
	s_barrier
	buffer_gl0_inv
	ds_load_b128 v[69:72], v82
	ds_load_b128 v[83:86], v82 offset:16
	s_waitcnt lgkmcnt(1)
	v_lshrrev_b32_e32 v66, 16, v69
	s_waitcnt lgkmcnt(0)
	v_lshrrev_b32_e32 v91, 16, v83
	v_lshlrev_b32_e32 v78, 2, v74
	v_lshrrev_b32_e32 v95, 16, v70
	v_lshrrev_b32_e32 v98, 16, v84
	;; [unrolled: 1-line block ×4, first 2 shown]
	v_cmp_eq_u32_e32 vcc_lo, 1, v78
	v_lshrrev_b32_e32 v97, 16, v72
	v_lshrrev_b32_e32 v100, 16, v86
	v_cndmask_b32_e32 v87, v83, v91, vcc_lo
	v_or_b32_e32 v79, 1, v78
	v_cndmask_b32_e32 v81, v69, v66, vcc_lo
	v_cmp_eq_u32_e64 s5, 2, v78
	v_cmp_eq_u32_e64 s8, 3, v78
	v_cmp_eq_u32_e64 s10, 4, v78
	v_cmp_eq_u32_e64 s4, 1, v79
	v_cmp_eq_u32_e64 s7, 2, v79
	v_cndmask_b32_e64 v81, v81, v70, s5
	v_cndmask_b32_e64 v87, v87, v84, s5
	v_cmp_eq_u32_e64 s9, 3, v79
	v_cndmask_b32_e64 v88, v69, v66, s4
	v_or_b32_e32 v77, 2, v78
	v_cndmask_b32_e64 v81, v81, v95, s8
	v_cndmask_b32_e64 v87, v87, v98, s8
	;; [unrolled: 1-line block ×4, first 2 shown]
	v_cmp_eq_u32_e64 s11, 5, v78
	v_cndmask_b32_e64 v81, v81, v71, s10
	v_cndmask_b32_e64 v87, v87, v85, s10
	v_cmp_eq_u32_e64 s12, 4, v79
	v_cndmask_b32_e64 v88, v88, v95, s9
	v_cmp_eq_u32_e64 s6, 1, v77
	v_cndmask_b32_e64 v89, v89, v84, s7
	v_cndmask_b32_e64 v81, v81, v96, s11
	v_cmp_eq_u32_e64 s13, 6, v78
	v_cndmask_b32_e64 v88, v88, v71, s12
	v_cndmask_b32_e64 v87, v87, v99, s11
	v_cmp_eq_u32_e64 s15, 5, v79
	v_cndmask_b32_e64 v90, v69, v66, s6
	v_cndmask_b32_e64 v89, v89, v98, s9
	v_cndmask_b32_e64 v81, v81, v72, s13
	v_cmp_eq_u32_e64 s16, 7, v78
	v_cndmask_b32_e64 v88, v88, v96, s15
	v_cndmask_b32_e64 v87, v87, v86, s13
	v_cmp_eq_u32_e64 s17, 6, v79
	v_cmp_eq_u32_e64 s18, 2, v77
	v_cndmask_b32_e64 v89, v89, v85, s12
	v_cndmask_b32_e64 v101, v81, v97, s16
	;; [unrolled: 1-line block ×6, first 2 shown]
	v_cmp_eq_u32_e64 s19, 7, v79
	v_cmp_eq_u32_e64 s20, 3, v77
	;; [unrolled: 1-line block ×4, first 2 shown]
	v_cndmask_b32_e64 v87, v87, v84, s18
	v_cndmask_b32_e64 v103, v88, v97, s19
	;; [unrolled: 1-line block ×4, first 2 shown]
	v_or_b32_e32 v81, 3, v78
	v_cndmask_b32_e64 v93, v87, v98, s20
	v_cmp_eq_u32_e64 s25, 6, v77
	v_cndmask_b32_e64 v104, v88, v86, s17
	v_cndmask_b32_e64 v92, v89, v71, s21
	v_cmp_eq_u32_e64 s22, 1, v81
	ds_load_b128 v[87:90], v82 offset:1024
	v_cmp_eq_u32_e64 s24, 2, v81
	v_cmp_eq_u32_e64 s26, 3, v81
	v_cndmask_b32_e64 v105, v92, v96, s23
	v_cndmask_b32_e64 v66, v69, v66, s22
	;; [unrolled: 1-line block ×4, first 2 shown]
	ds_load_b128 v[91:94], v82 offset:1040
	v_cmp_eq_u32_e64 s27, 4, v81
	v_cndmask_b32_e64 v66, v66, v70, s24
	v_cmp_eq_u32_e64 s28, 7, v77
	v_cndmask_b32_e64 v70, v83, v84, s24
	v_cndmask_b32_e64 v84, v105, v72, s25
	v_cmp_eq_u32_e64 s29, 5, v81
	v_cndmask_b32_e64 v66, v66, v95, s26
	v_cmp_eq_u32_e64 s30, 6, v81
	v_cndmask_b32_e64 v70, v70, v98, s26
	v_cndmask_b32_e64 v69, v69, v99, s23
	;; [unrolled: 1-line block ×4, first 2 shown]
	s_waitcnt lgkmcnt(1)
	v_lshrrev_b32_e32 v95, 16, v87
	v_cndmask_b32_e64 v70, v70, v85, s27
	v_cndmask_b32_e64 v71, v84, v97, s28
	;; [unrolled: 1-line block ×4, first 2 shown]
	v_cndmask_b32_e32 v84, v87, v95, vcc_lo
	v_cndmask_b32_e64 v70, v70, v99, s29
	s_waitcnt lgkmcnt(0)
	v_lshrrev_b32_e32 v85, 16, v91
	v_lshrrev_b32_e32 v96, 16, v88
	v_cndmask_b32_e64 v98, v87, v95, s4
	v_cndmask_b32_e64 v84, v84, v88, s5
	;; [unrolled: 1-line block ×3, first 2 shown]
	v_cndmask_b32_e32 v99, v91, v85, vcc_lo
	v_cmp_eq_u32_e32 vcc_lo, 7, v81
	v_cndmask_b32_e64 v66, v66, v72, s30
	v_cndmask_b32_e64 v72, v84, v96, s8
	;; [unrolled: 1-line block ×3, first 2 shown]
	v_lshrrev_b32_e32 v98, 16, v92
	v_cndmask_b32_e32 v70, v70, v100, vcc_lo
	v_cndmask_b32_e64 v86, v99, v92, s5
	v_cndmask_b32_e64 v69, v69, v100, s28
	v_lshrrev_b32_e32 v100, 16, v93
	v_cndmask_b32_e64 v72, v72, v89, s10
	v_lshrrev_b32_e32 v99, 16, v89
	v_cndmask_b32_e64 v86, v86, v98, s8
	v_perm_b32 v71, v69, v71, 0x5040100
	v_cndmask_b32_e64 v84, v84, v96, s9
	s_delay_alu instid0(VALU_DEP_3) | instskip(NEXT) | instid1(VALU_DEP_2)
	v_cndmask_b32_e64 v86, v86, v93, s10
	v_cndmask_b32_e64 v84, v84, v89, s12
	s_delay_alu instid0(VALU_DEP_2) | instskip(NEXT) | instid1(VALU_DEP_1)
	v_cndmask_b32_e64 v86, v86, v100, s11
	v_cndmask_b32_e64 v69, v86, v94, s13
	;; [unrolled: 1-line block ×5, first 2 shown]
	s_delay_alu instid0(VALU_DEP_3) | instskip(NEXT) | instid1(VALU_DEP_3)
	v_cndmask_b32_e64 v86, v86, v88, s18
	v_cndmask_b32_e64 v87, v87, v88, s24
	s_delay_alu instid0(VALU_DEP_3) | instskip(NEXT) | instid1(VALU_DEP_3)
	v_cndmask_b32_e64 v88, v95, v92, s24
	v_cndmask_b32_e64 v86, v86, v96, s20
	;; [unrolled: 3-line block ×7, first 2 shown]
	s_delay_alu instid0(VALU_DEP_3) | instskip(SKIP_2) | instid1(VALU_DEP_2)
	v_cndmask_b32_e64 v88, v88, v94, s30
	v_cndmask_b32_e32 v66, v66, v97, vcc_lo
	v_cndmask_b32_e64 v97, v72, v99, s11
	v_perm_b32 v72, v70, v66, 0x5040100
	v_perm_b32 v70, v83, v103, 0x5040100
	v_cndmask_b32_e64 v103, v91, v85, s6
	v_cndmask_b32_e64 v85, v91, v85, s4
	;; [unrolled: 1-line block ×4, first 2 shown]
	v_lshrrev_b32_e32 v97, 16, v90
	v_cndmask_b32_e64 v91, v103, v92, s18
	v_cndmask_b32_e64 v85, v85, v92, s7
	;; [unrolled: 1-line block ×3, first 2 shown]
	s_mov_b32 s4, exec_lo
	v_cndmask_b32_e64 v83, v84, v97, s16
	v_cndmask_b32_e64 v91, v91, v98, s20
	;; [unrolled: 1-line block ×3, first 2 shown]
	v_lshrrev_b32_e32 v84, 16, v94
	v_cndmask_b32_e64 v66, v66, v97, s19
	v_cndmask_b32_e64 v90, v86, v97, s28
	;; [unrolled: 1-line block ×4, first 2 shown]
	v_dual_cndmask_b32 v86, v87, v97 :: v_dual_cndmask_b32 v87, v88, v84
	v_cndmask_b32_e64 v91, v69, v84, s16
	s_delay_alu instid0(VALU_DEP_4) | instskip(NEXT) | instid1(VALU_DEP_4)
	v_cndmask_b32_e64 v89, v89, v100, s23
	v_cndmask_b32_e64 v85, v85, v100, s15
	v_perm_b32 v69, v102, v101, 0x5040100
	v_perm_b32 v86, v87, v86, 0x5040100
	;; [unrolled: 1-line block ×3, first 2 shown]
	v_cndmask_b32_e64 v89, v89, v94, s25
	v_cndmask_b32_e64 v85, v85, v94, s17
	s_mul_i32 s9, s37, 3
	s_delay_alu instid0(VALU_DEP_2) | instskip(NEXT) | instid1(VALU_DEP_2)
	v_cndmask_b32_e64 v88, v89, v84, s28
	v_cndmask_b32_e64 v89, v85, v84, s19
	s_delay_alu instid0(VALU_DEP_2) | instskip(NEXT) | instid1(VALU_DEP_2)
	v_perm_b32 v85, v88, v90, 0x5040100
	v_perm_b32 v84, v89, v66, 0x5040100
	ds_store_b128 v76, v[69:72]
	ds_store_b128 v76, v[83:86] offset:1024
	v_cmpx_gt_u32_e32 3, v0
	s_cbranch_execz .LBB1744_78
; %bb.77:
	s_mul_i32 s5, s9, s34
	s_load_b128 s[16:19], s[0:1], 0x58
	v_add3_u32 v69, s5, s31, v65
	s_delay_alu instid0(VALU_DEP_1) | instskip(NEXT) | instid1(VALU_DEP_1)
	v_mad_u64_u32 v[65:66], null, v69, s36, s[14:15]
	v_ashrrev_i32_e32 v66, 31, v65
	s_delay_alu instid0(VALU_DEP_1) | instskip(SKIP_1) | instid1(VALU_DEP_1)
	v_lshlrev_b64 v[65:66], 2, v[65:66]
	s_waitcnt lgkmcnt(0)
	v_add_co_u32 v69, vcc_lo, s18, v65
	s_delay_alu instid0(VALU_DEP_2)
	v_add_co_ci_u32_e32 v70, vcc_lo, s19, v66, vcc_lo
	v_add_co_u32 v65, vcc_lo, s16, v65
	v_add_co_ci_u32_e32 v66, vcc_lo, s17, v66, vcc_lo
	global_store_b32 v[69:70], v67, off
	global_store_b32 v[65:66], v68, off
.LBB1744_78:
	s_or_b32 exec_lo, exec_lo, s4
	s_waitcnt lgkmcnt(0)
	s_waitcnt_vscnt null, 0x0
	s_barrier
	buffer_gl0_inv
	ds_load_b128 v[83:86], v80
	ds_load_b128 v[87:90], v80 offset:16
	ds_load_b128 v[95:98], v80 offset:2064
	;; [unrolled: 1-line block ×3, first 2 shown]
	v_mov_b32_e32 v65, 0
	ds_load_b128 v[103:106], v80 offset:4112
	ds_load_b128 v[99:102], v80 offset:4096
	;; [unrolled: 1-line block ×4, first 2 shown]
	v_mov_b32_e32 v66, v65
	v_mov_b32_e32 v67, v65
	;; [unrolled: 1-line block ×7, first 2 shown]
	s_waitcnt lgkmcnt(6)
	s_delay_alu instid0(VALU_DEP_1)
	v_wmma_f32_16x16x16_bf16 v[65:72], v[57:64], v[83:90], v[65:72]
	ds_load_b128 v[61:64], v80 offset:8208
	ds_load_b128 v[57:60], v80 offset:8192
	s_waitcnt lgkmcnt(6)
	v_wmma_f32_16x16x16_bf16 v[65:72], v[41:48], v[91:98], v[65:72]
	ds_load_b128 v[45:48], v80 offset:10256
	ds_load_b128 v[41:44], v80 offset:10240
	s_waitcnt lgkmcnt(6)
	;; [unrolled: 4-line block ×4, first 2 shown]
	v_wmma_f32_16x16x16_bf16 v[65:72], v[1:8], v[57:64], v[65:72]
	s_waitcnt lgkmcnt(4)
	s_delay_alu instid0(VALU_DEP_1) | instskip(SKIP_1) | instid1(VALU_DEP_1)
	v_wmma_f32_16x16x16_bf16 v[65:72], v[9:16], v[41:48], v[65:72]
	s_waitcnt lgkmcnt(2)
	v_wmma_f32_16x16x16_bf16 v[65:72], v[17:24], v[33:40], v[65:72]
	s_waitcnt lgkmcnt(0)
	s_delay_alu instid0(VALU_DEP_1) | instskip(NEXT) | instid1(VALU_DEP_1)
	v_wmma_f32_16x16x16_bf16 v[65:72], v[49:56], v[25:32], v[65:72]
	v_and_b32_e32 v1, 0x7f800000, v65
	s_delay_alu instid0(VALU_DEP_1) | instskip(SKIP_1) | instid1(SALU_CYCLE_1)
	v_cmp_ne_u32_e32 vcc_lo, 0x7f800000, v1
                                        ; implicit-def: $vgpr1
	s_and_saveexec_b32 s4, vcc_lo
	s_xor_b32 s4, exec_lo, s4
; %bb.79:
	v_bfe_u32 v1, v65, 16, 1
	s_delay_alu instid0(VALU_DEP_1)
	v_add3_u32 v1, v65, v1, 0x7fff
; %bb.80:
	s_and_not1_saveexec_b32 s4, s4
; %bb.81:
	v_and_b32_e32 v1, 0xffff, v65
	v_or_b32_e32 v2, 0x10000, v65
	s_delay_alu instid0(VALU_DEP_2) | instskip(NEXT) | instid1(VALU_DEP_2)
	v_cmp_eq_u32_e32 vcc_lo, 0, v1
	v_cndmask_b32_e32 v1, v2, v65, vcc_lo
; %bb.82:
	s_or_b32 exec_lo, exec_lo, s4
	v_and_b32_e32 v2, 0x7f800000, v66
	s_delay_alu instid0(VALU_DEP_1) | instskip(SKIP_1) | instid1(SALU_CYCLE_1)
	v_cmp_ne_u32_e32 vcc_lo, 0x7f800000, v2
                                        ; implicit-def: $vgpr2
	s_and_saveexec_b32 s4, vcc_lo
	s_xor_b32 s4, exec_lo, s4
; %bb.83:
	v_bfe_u32 v2, v66, 16, 1
	s_delay_alu instid0(VALU_DEP_1)
	v_add3_u32 v2, v66, v2, 0x7fff
; %bb.84:
	s_and_not1_saveexec_b32 s4, s4
; %bb.85:
	v_and_b32_e32 v2, 0xffff, v66
	v_or_b32_e32 v3, 0x10000, v66
	s_delay_alu instid0(VALU_DEP_2) | instskip(NEXT) | instid1(VALU_DEP_2)
	v_cmp_eq_u32_e32 vcc_lo, 0, v2
	v_cndmask_b32_e32 v2, v3, v66, vcc_lo
; %bb.86:
	s_or_b32 exec_lo, exec_lo, s4
	v_and_b32_e32 v3, 0x7f800000, v67
	s_delay_alu instid0(VALU_DEP_1) | instskip(SKIP_1) | instid1(SALU_CYCLE_1)
	v_cmp_ne_u32_e32 vcc_lo, 0x7f800000, v3
                                        ; implicit-def: $vgpr3
	s_and_saveexec_b32 s4, vcc_lo
	s_xor_b32 s4, exec_lo, s4
; %bb.87:
	v_bfe_u32 v3, v67, 16, 1
	s_delay_alu instid0(VALU_DEP_1)
	v_add3_u32 v3, v67, v3, 0x7fff
; %bb.88:
	s_and_not1_saveexec_b32 s4, s4
; %bb.89:
	v_and_b32_e32 v3, 0xffff, v67
	v_or_b32_e32 v4, 0x10000, v67
	s_delay_alu instid0(VALU_DEP_2) | instskip(NEXT) | instid1(VALU_DEP_2)
	v_cmp_eq_u32_e32 vcc_lo, 0, v3
	v_cndmask_b32_e32 v3, v4, v67, vcc_lo
; %bb.90:
	s_or_b32 exec_lo, exec_lo, s4
	v_and_b32_e32 v4, 0x7f800000, v68
	s_delay_alu instid0(VALU_DEP_1) | instskip(SKIP_1) | instid1(SALU_CYCLE_1)
	v_cmp_ne_u32_e32 vcc_lo, 0x7f800000, v4
                                        ; implicit-def: $vgpr4
	s_and_saveexec_b32 s4, vcc_lo
	s_xor_b32 s4, exec_lo, s4
; %bb.91:
	v_bfe_u32 v4, v68, 16, 1
	s_delay_alu instid0(VALU_DEP_1)
	v_add3_u32 v4, v68, v4, 0x7fff
; %bb.92:
	s_and_not1_saveexec_b32 s4, s4
; %bb.93:
	v_and_b32_e32 v4, 0xffff, v68
	v_or_b32_e32 v5, 0x10000, v68
	s_delay_alu instid0(VALU_DEP_2) | instskip(NEXT) | instid1(VALU_DEP_2)
	v_cmp_eq_u32_e32 vcc_lo, 0, v4
	v_cndmask_b32_e32 v4, v5, v68, vcc_lo
; %bb.94:
	s_or_b32 exec_lo, exec_lo, s4
	v_and_b32_e32 v5, 0x7f800000, v69
	s_delay_alu instid0(VALU_DEP_1) | instskip(SKIP_1) | instid1(SALU_CYCLE_1)
	v_cmp_ne_u32_e32 vcc_lo, 0x7f800000, v5
                                        ; implicit-def: $vgpr5
	s_and_saveexec_b32 s4, vcc_lo
	s_xor_b32 s4, exec_lo, s4
; %bb.95:
	v_bfe_u32 v5, v69, 16, 1
	s_delay_alu instid0(VALU_DEP_1)
	v_add3_u32 v5, v69, v5, 0x7fff
; %bb.96:
	s_and_not1_saveexec_b32 s4, s4
; %bb.97:
	v_and_b32_e32 v5, 0xffff, v69
	v_or_b32_e32 v6, 0x10000, v69
	s_delay_alu instid0(VALU_DEP_2) | instskip(NEXT) | instid1(VALU_DEP_2)
	v_cmp_eq_u32_e32 vcc_lo, 0, v5
	v_cndmask_b32_e32 v5, v6, v69, vcc_lo
; %bb.98:
	s_or_b32 exec_lo, exec_lo, s4
	v_and_b32_e32 v6, 0x7f800000, v70
	s_delay_alu instid0(VALU_DEP_1) | instskip(SKIP_1) | instid1(SALU_CYCLE_1)
	v_cmp_ne_u32_e32 vcc_lo, 0x7f800000, v6
                                        ; implicit-def: $vgpr6
	s_and_saveexec_b32 s4, vcc_lo
	s_xor_b32 s4, exec_lo, s4
; %bb.99:
	v_bfe_u32 v6, v70, 16, 1
	s_delay_alu instid0(VALU_DEP_1)
	v_add3_u32 v6, v70, v6, 0x7fff
; %bb.100:
	s_and_not1_saveexec_b32 s4, s4
; %bb.101:
	v_and_b32_e32 v6, 0xffff, v70
	v_or_b32_e32 v7, 0x10000, v70
	s_delay_alu instid0(VALU_DEP_2) | instskip(NEXT) | instid1(VALU_DEP_2)
	v_cmp_eq_u32_e32 vcc_lo, 0, v6
	v_cndmask_b32_e32 v6, v7, v70, vcc_lo
; %bb.102:
	s_or_b32 exec_lo, exec_lo, s4
	v_and_b32_e32 v7, 0x7f800000, v71
	s_delay_alu instid0(VALU_DEP_1) | instskip(SKIP_1) | instid1(SALU_CYCLE_1)
	v_cmp_ne_u32_e32 vcc_lo, 0x7f800000, v7
                                        ; implicit-def: $vgpr7
	s_and_saveexec_b32 s4, vcc_lo
	s_xor_b32 s4, exec_lo, s4
; %bb.103:
	v_bfe_u32 v7, v71, 16, 1
	s_delay_alu instid0(VALU_DEP_1)
	v_add3_u32 v7, v71, v7, 0x7fff
; %bb.104:
	s_and_not1_saveexec_b32 s4, s4
; %bb.105:
	v_and_b32_e32 v7, 0xffff, v71
	v_or_b32_e32 v8, 0x10000, v71
	s_delay_alu instid0(VALU_DEP_2) | instskip(NEXT) | instid1(VALU_DEP_2)
	v_cmp_eq_u32_e32 vcc_lo, 0, v7
	v_cndmask_b32_e32 v7, v8, v71, vcc_lo
; %bb.106:
	s_or_b32 exec_lo, exec_lo, s4
	v_and_b32_e32 v8, 0x7f800000, v72
	s_delay_alu instid0(VALU_DEP_1) | instskip(SKIP_1) | instid1(SALU_CYCLE_1)
	v_cmp_ne_u32_e32 vcc_lo, 0x7f800000, v8
                                        ; implicit-def: $vgpr8
	s_and_saveexec_b32 s4, vcc_lo
	s_xor_b32 s4, exec_lo, s4
; %bb.107:
	v_bfe_u32 v8, v72, 16, 1
	s_delay_alu instid0(VALU_DEP_1)
	v_add3_u32 v8, v72, v8, 0x7fff
                                        ; implicit-def: $vgpr65_vgpr66_vgpr67_vgpr68_vgpr69_vgpr70_vgpr71_vgpr72
; %bb.108:
	s_and_not1_saveexec_b32 s4, s4
; %bb.109:
	v_and_b32_e32 v8, 0xffff, v72
	v_or_b32_e32 v9, 0x10000, v72
	s_delay_alu instid0(VALU_DEP_2) | instskip(NEXT) | instid1(VALU_DEP_2)
	v_cmp_eq_u32_e32 vcc_lo, 0, v8
	v_cndmask_b32_e32 v8, v9, v72, vcc_lo
; %bb.110:
	s_or_b32 exec_lo, exec_lo, s4
	s_delay_alu instid0(VALU_DEP_1)
	v_perm_b32 v7, v8, v7, 0x7060302
	v_perm_b32 v6, v6, v5, 0x7060302
	;; [unrolled: 1-line block ×4, first 2 shown]
	s_barrier
	buffer_gl0_inv
	v_cmp_eq_u32_e32 vcc_lo, 1, v78
	ds_store_b128 v76, v[4:7]
	s_waitcnt lgkmcnt(0)
	s_barrier
	buffer_gl0_inv
	ds_load_b128 v[1:4], v82
	ds_load_b128 v[5:8], v82 offset:16
	v_cmp_eq_u32_e64 s4, 1, v79
	v_cmp_eq_u32_e64 s5, 2, v78
	;; [unrolled: 1-line block ×5, first 2 shown]
	s_waitcnt lgkmcnt(1)
	v_lshrrev_b32_e32 v9, 16, v1
	s_waitcnt lgkmcnt(0)
	v_lshrrev_b32_e32 v13, 16, v5
	v_lshrrev_b32_e32 v10, 16, v2
	;; [unrolled: 1-line block ×4, first 2 shown]
	v_cndmask_b32_e64 v19, v1, v9, s4
	v_cndmask_b32_e32 v18, v5, v13, vcc_lo
	v_cndmask_b32_e64 v20, v5, v13, s4
	v_cndmask_b32_e32 v17, v1, v9, vcc_lo
	v_cmp_eq_u32_e32 vcc_lo, 2, v79
	v_lshrrev_b32_e32 v15, 16, v7
	v_cmp_eq_u32_e64 s4, 1, v77
	v_lshrrev_b32_e32 v12, 16, v4
	v_lshrrev_b32_e32 v16, 16, v8
	v_cndmask_b32_e32 v20, v20, v6, vcc_lo
	v_cndmask_b32_e64 v17, v17, v2, s5
	v_cndmask_b32_e32 v19, v19, v2, vcc_lo
	v_cndmask_b32_e64 v18, v18, v6, s5
	v_cmp_eq_u32_e32 vcc_lo, 4, v78
	v_cmp_eq_u32_e64 s5, 3, v79
	v_cndmask_b32_e64 v17, v17, v10, s6
	v_cndmask_b32_e64 v21, v1, v9, s4
	;; [unrolled: 1-line block ×5, first 2 shown]
	v_cndmask_b32_e32 v17, v17, v3, vcc_lo
	v_cndmask_b32_e64 v20, v20, v14, s5
	v_cndmask_b32_e32 v18, v18, v7, vcc_lo
	v_cmp_eq_u32_e32 vcc_lo, 4, v79
	v_cmp_eq_u32_e64 s5, 5, v79
	v_cmp_eq_u32_e64 s4, 2, v81
	v_cndmask_b32_e64 v21, v21, v2, s8
	v_cmp_eq_u32_e64 s6, 5, v78
	v_cndmask_b32_e32 v19, v19, v3, vcc_lo
	v_cndmask_b32_e32 v20, v20, v7, vcc_lo
	v_cmp_eq_u32_e32 vcc_lo, 6, v79
	s_delay_alu instid0(VALU_DEP_4) | instskip(NEXT) | instid1(VALU_DEP_4)
	v_cndmask_b32_e64 v17, v17, v11, s6
	v_cndmask_b32_e64 v19, v19, v11, s5
	s_delay_alu instid0(VALU_DEP_4) | instskip(SKIP_1) | instid1(VALU_DEP_3)
	v_cndmask_b32_e64 v20, v20, v15, s5
	v_cmp_eq_u32_e64 s5, 1, v81
	v_cndmask_b32_e32 v19, v19, v4, vcc_lo
	v_cndmask_b32_e64 v18, v18, v15, s6
	s_delay_alu instid0(VALU_DEP_3)
	v_cndmask_b32_e64 v1, v1, v9, s5
	v_cndmask_b32_e64 v5, v5, v13, s5
	v_cmp_eq_u32_e64 s5, 3, v77
	v_cndmask_b32_e64 v13, v22, v6, s8
	v_cmp_eq_u32_e64 s8, 3, v81
	v_cndmask_b32_e64 v1, v1, v2, s4
	v_cndmask_b32_e64 v2, v5, v6, s4
	;; [unrolled: 1-line block ×3, first 2 shown]
	v_cmp_eq_u32_e64 s4, 4, v77
	v_cndmask_b32_e64 v6, v13, v14, s5
	v_cndmask_b32_e64 v1, v1, v10, s8
	v_cmp_eq_u32_e64 s5, 4, v81
	v_cndmask_b32_e64 v2, v2, v14, s8
	v_cndmask_b32_e64 v5, v9, v3, s4
	;; [unrolled: 3-line block ×3, first 2 shown]
	v_cndmask_b32_e64 v2, v2, v7, s5
	v_cmp_eq_u32_e64 s4, 5, v81
	v_cmp_eq_u32_e64 s6, 6, v78
	v_cndmask_b32_e64 v5, v5, v11, s8
	v_cmp_eq_u32_e64 s5, 6, v77
	v_cndmask_b32_e64 v3, v6, v15, s8
	v_cndmask_b32_e64 v1, v1, v11, s4
	v_cmp_eq_u32_e64 s8, 6, v81
	v_cndmask_b32_e64 v2, v2, v15, s4
	v_cndmask_b32_e64 v17, v17, v4, s6
	v_cndmask_b32_e64 v18, v18, v8, s6
	v_cmp_eq_u32_e64 s6, 7, v78
	v_cndmask_b32_e64 v5, v5, v4, s5
	;; [unrolled: 4-line block ×3, first 2 shown]
	v_cmp_eq_u32_e64 s5, 7, v77
	v_cndmask_b32_e32 v4, v20, v8, vcc_lo
	v_cndmask_b32_e64 v17, v17, v12, s6
	v_cndmask_b32_e64 v19, v19, v12, s7
	;; [unrolled: 1-line block ×8, first 2 shown]
	v_cmp_gt_u32_e32 vcc_lo, 32, v0
	v_perm_b32 v4, v2, v1, 0x5040100
	v_perm_b32 v3, v3, v5, 0x5040100
	;; [unrolled: 1-line block ×4, first 2 shown]
	s_and_b32 s2, vcc_lo, s2
	ds_store_b128 v76, v[1:4]
	s_waitcnt lgkmcnt(0)
	s_barrier
	buffer_gl0_inv
	s_and_saveexec_b32 s4, s2
	s_cbranch_execz .LBB1744_2
; %bb.111:
	s_load_b64 s[4:5], s[0:1], 0x68
	v_lshlrev_b32_e32 v0, 10, v0
	v_lshlrev_b32_e32 v2, 4, v75
	v_add_nc_u32_e32 v1, s31, v74
	s_lshl_b32 s0, s36, 6
	s_delay_alu instid0(SALU_CYCLE_1) | instskip(NEXT) | instid1(VALU_DEP_2)
	s_mul_i32 s1, s0, s34
	v_and_or_b32 v0, 0x3800, v0, v2
	s_mul_i32 s6, s1, s9
	v_mul_lo_u32 v1, v1, s0
	s_ashr_i32 s7, s6, 31
	s_delay_alu instid0(VALU_DEP_2) | instskip(SKIP_1) | instid1(VALU_DEP_2)
	v_lshl_or_b32 v3, v74, 6, v0
	s_lshl_b64 s[6:7], s[6:7], 1
	v_ashrrev_i32_e32 v2, 31, v1
	ds_load_b128 v[3:6], v3
	s_waitcnt lgkmcnt(0)
	s_add_u32 s1, s4, s6
	s_addc_u32 s2, s5, s7
	s_lshl_b32 s4, s14, 6
	v_lshlrev_b64 v[7:8], 1, v[1:2]
	s_ashr_i32 s5, s4, 31
	s_delay_alu instid0(SALU_CYCLE_1) | instskip(NEXT) | instid1(SALU_CYCLE_1)
	s_lshl_b64 s[4:5], s[4:5], 1
	s_add_u32 s1, s1, s4
	s_addc_u32 s2, s2, s5
	v_add_co_u32 v1, s1, s1, v73
	s_delay_alu instid0(VALU_DEP_1) | instskip(NEXT) | instid1(VALU_DEP_2)
	v_add_co_ci_u32_e64 v2, null, s2, 0, s1
	v_add_co_u32 v7, vcc_lo, v1, v7
	s_delay_alu instid0(VALU_DEP_2)
	v_add_co_ci_u32_e32 v8, vcc_lo, v2, v8, vcc_lo
	global_store_b128 v[7:8], v[3:6], off
	s_and_b32 exec_lo, exec_lo, s3
	s_cbranch_execz .LBB1744_2
; %bb.112:
	ds_load_b128 v[3:6], v0 offset:128
	s_add_i32 s1, s31, 2
	s_delay_alu instid0(SALU_CYCLE_1) | instskip(NEXT) | instid1(SALU_CYCLE_1)
	s_mul_i32 s0, s1, s0
	s_ashr_i32 s1, s0, 31
	s_delay_alu instid0(SALU_CYCLE_1) | instskip(NEXT) | instid1(SALU_CYCLE_1)
	s_lshl_b64 s[0:1], s[0:1], 1
	v_add_co_u32 v0, vcc_lo, v1, s0
	v_add_co_ci_u32_e32 v1, vcc_lo, s1, v2, vcc_lo
	s_waitcnt lgkmcnt(0)
	global_store_b128 v[0:1], v[3:6], off
	s_nop 0
	s_sendmsg sendmsg(MSG_DEALLOC_VGPRS)
	s_endpgm
	.section	.rodata,"a",@progbits
	.p2align	6, 0x0
	.amdhsa_kernel _Z39paged_attention_ll4mi_QKV_mfma16_kernelI14__hip_bfloat16hLN4vllm18Fp8KVCacheDataTypeE1EhLi32ELi64ELi256ELb1ELi3EL8MFMAType0EEvPKT_PKT0_S9_ifPKiSB_SB_iPKfiiiPfSE_PS4_PT2_iSD_SD_
		.amdhsa_group_segment_fixed_size 17472
		.amdhsa_private_segment_fixed_size 0
		.amdhsa_kernarg_size 400
		.amdhsa_user_sgpr_count 13
		.amdhsa_user_sgpr_dispatch_ptr 0
		.amdhsa_user_sgpr_queue_ptr 0
		.amdhsa_user_sgpr_kernarg_segment_ptr 1
		.amdhsa_user_sgpr_dispatch_id 0
		.amdhsa_user_sgpr_private_segment_size 0
		.amdhsa_wavefront_size32 1
		.amdhsa_uses_dynamic_stack 0
		.amdhsa_enable_private_segment 0
		.amdhsa_system_sgpr_workgroup_id_x 1
		.amdhsa_system_sgpr_workgroup_id_y 1
		.amdhsa_system_sgpr_workgroup_id_z 1
		.amdhsa_system_sgpr_workgroup_info 0
		.amdhsa_system_vgpr_workitem_id 0
		.amdhsa_next_free_vgpr 124
		.amdhsa_next_free_sgpr 42
		.amdhsa_reserve_vcc 1
		.amdhsa_float_round_mode_32 0
		.amdhsa_float_round_mode_16_64 0
		.amdhsa_float_denorm_mode_32 3
		.amdhsa_float_denorm_mode_16_64 3
		.amdhsa_dx10_clamp 1
		.amdhsa_ieee_mode 1
		.amdhsa_fp16_overflow 0
		.amdhsa_workgroup_processor_mode 1
		.amdhsa_memory_ordered 1
		.amdhsa_forward_progress 0
		.amdhsa_shared_vgpr_count 0
		.amdhsa_exception_fp_ieee_invalid_op 0
		.amdhsa_exception_fp_denorm_src 0
		.amdhsa_exception_fp_ieee_div_zero 0
		.amdhsa_exception_fp_ieee_overflow 0
		.amdhsa_exception_fp_ieee_underflow 0
		.amdhsa_exception_fp_ieee_inexact 0
		.amdhsa_exception_int_div_zero 0
	.end_amdhsa_kernel
	.section	.text._Z39paged_attention_ll4mi_QKV_mfma16_kernelI14__hip_bfloat16hLN4vllm18Fp8KVCacheDataTypeE1EhLi32ELi64ELi256ELb1ELi3EL8MFMAType0EEvPKT_PKT0_S9_ifPKiSB_SB_iPKfiiiPfSE_PS4_PT2_iSD_SD_,"axG",@progbits,_Z39paged_attention_ll4mi_QKV_mfma16_kernelI14__hip_bfloat16hLN4vllm18Fp8KVCacheDataTypeE1EhLi32ELi64ELi256ELb1ELi3EL8MFMAType0EEvPKT_PKT0_S9_ifPKiSB_SB_iPKfiiiPfSE_PS4_PT2_iSD_SD_,comdat
.Lfunc_end1744:
	.size	_Z39paged_attention_ll4mi_QKV_mfma16_kernelI14__hip_bfloat16hLN4vllm18Fp8KVCacheDataTypeE1EhLi32ELi64ELi256ELb1ELi3EL8MFMAType0EEvPKT_PKT0_S9_ifPKiSB_SB_iPKfiiiPfSE_PS4_PT2_iSD_SD_, .Lfunc_end1744-_Z39paged_attention_ll4mi_QKV_mfma16_kernelI14__hip_bfloat16hLN4vllm18Fp8KVCacheDataTypeE1EhLi32ELi64ELi256ELb1ELi3EL8MFMAType0EEvPKT_PKT0_S9_ifPKiSB_SB_iPKfiiiPfSE_PS4_PT2_iSD_SD_
                                        ; -- End function
	.section	.AMDGPU.csdata,"",@progbits
; Kernel info:
; codeLenInByte = 8724
; NumSgprs: 44
; NumVgprs: 124
; ScratchSize: 0
; MemoryBound: 0
; FloatMode: 240
; IeeeMode: 1
; LDSByteSize: 17472 bytes/workgroup (compile time only)
; SGPRBlocks: 5
; VGPRBlocks: 15
; NumSGPRsForWavesPerEU: 44
; NumVGPRsForWavesPerEU: 124
; Occupancy: 10
; WaveLimiterHint : 1
; COMPUTE_PGM_RSRC2:SCRATCH_EN: 0
; COMPUTE_PGM_RSRC2:USER_SGPR: 13
; COMPUTE_PGM_RSRC2:TRAP_HANDLER: 0
; COMPUTE_PGM_RSRC2:TGID_X_EN: 1
; COMPUTE_PGM_RSRC2:TGID_Y_EN: 1
; COMPUTE_PGM_RSRC2:TGID_Z_EN: 1
; COMPUTE_PGM_RSRC2:TIDIG_COMP_CNT: 0
	.section	.text._Z39paged_attention_ll4mi_QKV_mfma16_kernelI14__hip_bfloat16hLN4vllm18Fp8KVCacheDataTypeE1EhLi32ELi64ELi256ELb1ELi4EL8MFMAType0EEvPKT_PKT0_S9_ifPKiSB_SB_iPKfiiiPfSE_PS4_PT2_iSD_SD_,"axG",@progbits,_Z39paged_attention_ll4mi_QKV_mfma16_kernelI14__hip_bfloat16hLN4vllm18Fp8KVCacheDataTypeE1EhLi32ELi64ELi256ELb1ELi4EL8MFMAType0EEvPKT_PKT0_S9_ifPKiSB_SB_iPKfiiiPfSE_PS4_PT2_iSD_SD_,comdat
	.protected	_Z39paged_attention_ll4mi_QKV_mfma16_kernelI14__hip_bfloat16hLN4vllm18Fp8KVCacheDataTypeE1EhLi32ELi64ELi256ELb1ELi4EL8MFMAType0EEvPKT_PKT0_S9_ifPKiSB_SB_iPKfiiiPfSE_PS4_PT2_iSD_SD_ ; -- Begin function _Z39paged_attention_ll4mi_QKV_mfma16_kernelI14__hip_bfloat16hLN4vllm18Fp8KVCacheDataTypeE1EhLi32ELi64ELi256ELb1ELi4EL8MFMAType0EEvPKT_PKT0_S9_ifPKiSB_SB_iPKfiiiPfSE_PS4_PT2_iSD_SD_
	.globl	_Z39paged_attention_ll4mi_QKV_mfma16_kernelI14__hip_bfloat16hLN4vllm18Fp8KVCacheDataTypeE1EhLi32ELi64ELi256ELb1ELi4EL8MFMAType0EEvPKT_PKT0_S9_ifPKiSB_SB_iPKfiiiPfSE_PS4_PT2_iSD_SD_
	.p2align	8
	.type	_Z39paged_attention_ll4mi_QKV_mfma16_kernelI14__hip_bfloat16hLN4vllm18Fp8KVCacheDataTypeE1EhLi32ELi64ELi256ELb1ELi4EL8MFMAType0EEvPKT_PKT0_S9_ifPKiSB_SB_iPKfiiiPfSE_PS4_PT2_iSD_SD_,@function
_Z39paged_attention_ll4mi_QKV_mfma16_kernelI14__hip_bfloat16hLN4vllm18Fp8KVCacheDataTypeE1EhLi32ELi64ELi256ELb1ELi4EL8MFMAType0EEvPKT_PKT0_S9_ifPKiSB_SB_iPKfiiiPfSE_PS4_PT2_iSD_SD_: ; @_Z39paged_attention_ll4mi_QKV_mfma16_kernelI14__hip_bfloat16hLN4vllm18Fp8KVCacheDataTypeE1EhLi32ELi64ELi256ELb1ELi4EL8MFMAType0EEvPKT_PKT0_S9_ifPKiSB_SB_iPKfiiiPfSE_PS4_PT2_iSD_SD_
; %bb.0:
	s_load_b64 s[2:3], s[0:1], 0x30
	s_mov_b32 s30, s13
	s_waitcnt lgkmcnt(0)
	s_cmp_lg_u64 s[2:3], 0
	s_cselect_b32 s8, -1, 0
	s_ashr_i32 s31, s13, 31
	s_cmp_eq_u64 s[2:3], 0
	s_cbranch_scc1 .LBB1745_3
; %bb.1:
	s_lshl_b64 s[4:5], s[30:31], 2
	s_delay_alu instid0(SALU_CYCLE_1) | instskip(SKIP_4) | instid1(SALU_CYCLE_1)
	s_add_u32 s4, s2, s4
	s_addc_u32 s5, s3, s5
	s_load_b64 s[4:5], s[4:5], 0x0
	s_waitcnt lgkmcnt(0)
	s_sub_i32 s4, s5, s4
	s_cmp_eq_u32 s4, 1
	s_cselect_b32 s4, -1, 0
	s_delay_alu instid0(SALU_CYCLE_1)
	s_and_not1_b32 vcc_lo, exec_lo, s4
	s_cbranch_vccz .LBB1745_4
.LBB1745_2:
	s_endpgm
.LBB1745_3:
.LBB1745_4:
	s_load_b64 s[4:5], s[0:1], 0x28
	s_lshl_b64 s[6:7], s[30:31], 2
	s_waitcnt lgkmcnt(0)
	s_add_u32 s4, s4, s6
	s_addc_u32 s5, s5, s7
	s_lshl_b32 s12, s14, 8
	s_load_b32 s24, s[4:5], 0x0
	s_waitcnt lgkmcnt(0)
	s_cmp_ge_i32 s12, s24
	s_cbranch_scc1 .LBB1745_2
; %bb.5:
	s_clause 0x1
	s_load_b128 s[20:23], s[0:1], 0x8
	s_load_b64 s[4:5], s[0:1], 0x20
	s_and_not1_b32 vcc_lo, exec_lo, s8
	s_cbranch_vccnz .LBB1745_7
; %bb.6:
	s_add_u32 s2, s2, s6
	s_addc_u32 s3, s3, s7
	s_load_b32 s3, s[2:3], 0x0
	s_branch .LBB1745_8
.LBB1745_7:
	s_mov_b32 s3, s30
.LBB1745_8:
	s_load_b128 s[16:19], s[0:1], 0x48
	v_and_b32_e32 v66, 15, v0
	v_cmp_gt_u32_e32 vcc_lo, 64, v0
	v_lshrrev_b32_e32 v65, 5, v0
	v_and_b32_e32 v67, 31, v0
	v_and_b32_e32 v74, 1, v0
	v_lshlrev_b32_e32 v1, 3, v66
	v_cmp_gt_u32_e64 s2, 8, v66
	v_bfe_u32 v75, v0, 4, 1
	s_lshl_b32 s31, s15, 2
	s_delay_alu instid0(VALU_DEP_3) | instskip(NEXT) | instid1(VALU_DEP_3)
	v_lshlrev_b32_e32 v73, 1, v1
	s_and_b32 s7, vcc_lo, s2
	s_delay_alu instid0(SALU_CYCLE_1)
	s_and_saveexec_b32 s6, s7
	s_cbranch_execz .LBB1745_10
; %bb.9:
	v_lshl_or_b32 v5, v65, 1, v75
	s_load_b64 s[8:9], s[0:1], 0x0
	s_waitcnt lgkmcnt(0)
	s_mul_hi_i32 s11, s3, s16
	s_mul_i32 s10, s3, s16
	v_lshlrev_b32_e32 v6, 10, v66
	v_or_b32_e32 v1, s31, v5
	s_lshl_b64 s[10:11], s[10:11], 1
	v_lshlrev_b32_e32 v5, 6, v5
	v_lshlrev_b32_e32 v7, 10, v74
	v_and_b32_e32 v6, 0x3800, v6
	v_lshlrev_b32_e32 v1, 6, v1
	s_delay_alu instid0(VALU_DEP_2) | instskip(NEXT) | instid1(VALU_DEP_2)
	v_or3_b32 v5, v6, v7, v5
	v_ashrrev_i32_e32 v2, 31, v1
	s_delay_alu instid0(VALU_DEP_1) | instskip(SKIP_2) | instid1(VALU_DEP_1)
	v_lshlrev_b64 v[1:2], 1, v[1:2]
	s_add_u32 s3, s8, s10
	s_addc_u32 s7, s9, s11
	v_add_co_u32 v1, vcc_lo, s3, v1
	s_delay_alu instid0(VALU_DEP_2) | instskip(NEXT) | instid1(VALU_DEP_2)
	v_add_co_ci_u32_e32 v2, vcc_lo, s7, v2, vcc_lo
	v_add_co_u32 v1, vcc_lo, v1, v73
	s_delay_alu instid0(VALU_DEP_2)
	v_add_co_ci_u32_e32 v2, vcc_lo, 0, v2, vcc_lo
	global_load_b128 v[1:4], v[1:2], off
	s_waitcnt vmcnt(0)
	ds_store_b128 v5, v[1:4]
.LBB1745_10:
	s_or_b32 exec_lo, exec_lo, s6
	v_and_b32_e32 v1, 0xef, v0
	s_waitcnt lgkmcnt(0)
	s_add_i32 s3, s24, 31
	s_clause 0x1
	s_load_b32 s6, s[0:1], 0x38
	s_load_b32 s19, s[0:1], 0x1c
	s_ashr_i32 s7, s3, 31
	v_add_nc_u32_e32 v1, s12, v1
	s_lshr_b32 s7, s7, 27
	s_waitcnt lgkmcnt(0)
	s_add_i32 s3, s3, s7
	s_barrier
	v_ashrrev_i32_e32 v2, 31, v1
	v_or_b32_e32 v3, 16, v1
	s_ashr_i32 s3, s3, 5
	v_cmp_gt_i32_e32 vcc_lo, s24, v1
	s_add_i32 s3, s3, -1
	v_lshrrev_b32_e32 v2, 27, v2
	buffer_gl0_inv
	s_mul_i32 s27, s15, s18
	v_add_nc_u32_e32 v4, v1, v2
	s_mul_i32 s6, s30, s6
	s_delay_alu instid0(SALU_CYCLE_1) | instskip(NEXT) | instid1(VALU_DEP_1)
	s_ashr_i32 s7, s6, 31
	v_ashrrev_i32_e32 v4, 5, v4
	v_add_nc_u32_e32 v2, v3, v2
	s_lshl_b64 s[6:7], s[6:7], 2
	s_delay_alu instid0(SALU_CYCLE_1) | instskip(NEXT) | instid1(VALU_DEP_2)
	s_add_u32 s26, s4, s6
	v_cndmask_b32_e32 v1, s3, v4, vcc_lo
	s_delay_alu instid0(VALU_DEP_2)
	v_ashrrev_i32_e32 v2, 5, v2
	v_cmp_gt_i32_e32 vcc_lo, s24, v3
	s_addc_u32 s25, s5, s7
	s_ashr_i32 s28, s27, 31
	s_add_u32 s4, s20, s27
	s_addc_u32 s5, s21, s28
	v_cndmask_b32_e32 v3, s3, v2, vcc_lo
	v_ashrrev_i32_e32 v2, 31, v1
	s_lshl_b32 s6, s14, 3
	s_delay_alu instid0(SALU_CYCLE_1) | instskip(NEXT) | instid1(VALU_DEP_2)
	s_ashr_i32 s7, s6, 31
	v_ashrrev_i32_e32 v4, 31, v3
	s_delay_alu instid0(VALU_DEP_2) | instskip(SKIP_1) | instid1(SALU_CYCLE_1)
	v_lshlrev_b64 v[1:2], 2, v[1:2]
	s_lshl_b64 s[6:7], s[6:7], 2
	s_add_u32 s6, s26, s6
	s_delay_alu instid0(VALU_DEP_2) | instskip(SKIP_1) | instid1(VALU_DEP_2)
	v_lshlrev_b64 v[3:4], 2, v[3:4]
	s_addc_u32 s7, s25, s7
	v_add_co_u32 v1, vcc_lo, s26, v1
	v_add_co_ci_u32_e32 v2, vcc_lo, s25, v2, vcc_lo
	s_delay_alu instid0(VALU_DEP_3) | instskip(NEXT) | instid1(VALU_DEP_4)
	v_add_co_u32 v3, vcc_lo, s26, v3
	v_add_co_ci_u32_e32 v4, vcc_lo, s25, v4, vcc_lo
	s_clause 0x1
	global_load_b32 v5, v[1:2], off
	global_load_b32 v6, v[3:4], off
	s_or_b32 s8, s12, 32
	s_delay_alu instid0(SALU_CYCLE_1) | instskip(SKIP_2) | instid1(SALU_CYCLE_1)
	s_ashr_i32 s9, s8, 5
	s_cmp_lt_i32 s8, s24
	s_cselect_b32 s8, s9, s3
	s_ashr_i32 s9, s8, 31
	s_delay_alu instid0(SALU_CYCLE_1) | instskip(NEXT) | instid1(SALU_CYCLE_1)
	s_lshl_b64 s[8:9], s[8:9], 2
	s_add_u32 s8, s26, s8
	s_addc_u32 s9, s25, s9
	s_or_b32 s10, s12, 64
	s_delay_alu instid0(SALU_CYCLE_1) | instskip(SKIP_2) | instid1(SALU_CYCLE_1)
	s_ashr_i32 s11, s10, 5
	s_cmp_lt_i32 s10, s24
	s_cselect_b32 s10, s11, s3
	s_ashr_i32 s11, s10, 31
	s_delay_alu instid0(SALU_CYCLE_1) | instskip(NEXT) | instid1(SALU_CYCLE_1)
	s_lshl_b64 s[10:11], s[10:11], 2
	s_add_u32 s10, s26, s10
	s_addc_u32 s11, s25, s11
	;; [unrolled: 10-line block ×5, first 2 shown]
	s_clause 0x5
	s_load_b32 s21, s[6:7], 0x0
	s_load_b32 s13, s[8:9], 0x0
	;; [unrolled: 1-line block ×6, first 2 shown]
	s_or_b32 s7, s12, 0xc0
	s_delay_alu instid0(SALU_CYCLE_1) | instskip(SKIP_2) | instid1(SALU_CYCLE_1)
	s_ashr_i32 s8, s7, 5
	s_cmp_lt_i32 s7, s24
	s_cselect_b32 s10, s8, s3
	s_ashr_i32 s11, s10, 31
	s_delay_alu instid0(SALU_CYCLE_1) | instskip(NEXT) | instid1(SALU_CYCLE_1)
	s_lshl_b64 s[34:35], s[10:11], 2
	s_add_u32 s34, s26, s34
	s_addc_u32 s35, s25, s35
	s_or_b32 s29, s12, 0xe0
	s_delay_alu instid0(SALU_CYCLE_1)
	s_ashr_i32 s33, s29, 5
	s_cmp_lt_i32 s29, s24
	s_waitcnt vmcnt(1)
	v_mad_i64_i32 v[1:2], null, v5, s17, s[4:5]
	s_waitcnt vmcnt(0)
	v_mad_i64_i32 v[3:4], null, v6, s17, s[4:5]
	s_mov_b32 s4, 0
	s_delay_alu instid0(SALU_CYCLE_1)
	s_mov_b32 s5, s4
	s_mov_b32 s6, s4
	;; [unrolled: 1-line block ×7, first 2 shown]
	v_lshlrev_b32_e32 v5, 4, v66
	v_dual_mov_b32 v107, s11 :: v_dual_mov_b32 v102, s6
	v_dual_mov_b32 v106, s10 :: v_dual_mov_b32 v105, s9
	s_delay_alu instid0(VALU_DEP_3)
	v_add_co_u32 v1, vcc_lo, v1, v5
	v_add_co_ci_u32_e32 v2, vcc_lo, 0, v2, vcc_lo
	v_add_co_u32 v3, vcc_lo, v3, v5
	v_add_co_ci_u32_e32 v4, vcc_lo, 0, v4, vcc_lo
	s_clause 0x7
	global_load_b128 v[49:52], v[1:2], off
	global_load_b128 v[53:56], v[1:2], off offset:512
	global_load_b128 v[76:79], v[3:4], off offset:256
	;; [unrolled: 1-line block ×7, first 2 shown]
	v_dual_mov_b32 v100, s4 :: v_dual_and_b32 v1, 3, v0
	v_lshlrev_b32_e32 v2, 5, v66
	v_dual_mov_b32 v104, s8 :: v_dual_mov_b32 v103, s7
	v_mov_b32_e32 v101, s5
	s_cselect_b32 s4, s33, s3
	v_lshlrev_b32_e32 v70, 6, v1
	s_ashr_i32 s5, s4, 31
	v_lshl_or_b32 v1, v65, 9, v2
	s_lshl_b64 s[4:5], s[4:5], 2
	s_load_b32 s3, s[34:35], 0x0
	s_add_u32 s4, s26, s4
	s_addc_u32 s5, s25, s5
	ds_load_b128 v[108:111], v70
	ds_load_b128 v[112:115], v70 offset:1024
	s_load_b32 s4, s[4:5], 0x0
	s_add_u32 s6, s22, s27
	s_addc_u32 s7, s23, s28
	v_add_co_u32 v9, s6, s6, v1
	s_delay_alu instid0(VALU_DEP_1) | instskip(SKIP_1) | instid1(VALU_DEP_1)
	v_add_co_ci_u32_e64 v10, null, s7, 0, s6
	s_waitcnt lgkmcnt(0)
	v_mad_i64_i32 v[1:2], null, s21, s17, v[9:10]
	v_mad_i64_i32 v[3:4], null, s13, s17, v[9:10]
	;; [unrolled: 1-line block ×7, first 2 shown]
	s_clause 0x9
	global_load_b128 v[57:60], v[1:2], off
	global_load_b128 v[61:64], v[1:2], off offset:16
	global_load_b128 v[41:44], v[3:4], off
	global_load_b128 v[45:48], v[3:4], off offset:16
	;; [unrolled: 2-line block ×5, first 2 shown]
	v_mad_i64_i32 v[68:69], null, s4, s17, v[9:10]
	s_clause 0x3
	global_load_b128 v[9:12], v[13:14], off
	global_load_b128 v[13:16], v[13:14], off offset:16
	global_load_b128 v[17:20], v[21:22], off
	global_load_b128 v[21:24], v[21:22], off offset:16
	s_waitcnt vmcnt(20)
	v_wmma_f32_16x16x16_bf16 v[116:123], v[49:56], v[108:115], v[100:107]
	s_clause 0x1
	global_load_b128 v[49:52], v[68:69], off
	global_load_b128 v[53:56], v[68:69], off offset:16
	v_and_b32_e32 v68, 0xe0, v0
	v_mbcnt_lo_u32_b32 v69, -1, 0
	s_delay_alu instid0(VALU_DEP_2)
	v_add_nc_u32_e32 v68, s12, v68
	s_waitcnt vmcnt(20)
	v_wmma_f32_16x16x16_bf16 v[100:107], v[76:83], v[108:115], v[100:107]
	ds_load_b128 v[76:79], v70 offset:2048
	ds_load_b128 v[80:83], v70 offset:3072
	v_xor_b32_e32 v70, 16, v69
	s_waitcnt vmcnt(0) lgkmcnt(0)
	v_or_b32_e32 v68, v68, v75
	s_barrier
	buffer_gl0_inv
	v_cmp_gt_i32_e32 vcc_lo, 32, v70
	v_or_b32_e32 v71, 4, v68
	v_or_b32_e32 v72, 6, v68
	v_cmp_gt_i32_e64 s3, s24, v68
	v_or_b32_e32 v108, 8, v68
	v_or_b32_e32 v109, 10, v68
	v_cmp_gt_i32_e64 s4, s24, v71
	v_cmp_gt_i32_e64 s5, s24, v72
	s_delay_alu instid0(VALU_DEP_4) | instskip(NEXT) | instid1(VALU_DEP_4)
	v_cmp_gt_i32_e64 s6, s24, v108
	v_cmp_gt_i32_e64 s7, s24, v109
	v_wmma_f32_16x16x16_bf16 v[116:123], v[84:91], v[76:83], v[116:123]
	v_cndmask_b32_e32 v69, v69, v70, vcc_lo
	v_or_b32_e32 v70, 2, v68
	v_wmma_f32_16x16x16_bf16 v[100:107], v[92:99], v[76:83], v[100:107]
	v_or_b32_e32 v84, 12, v68
	v_dual_mul_f32 v78, s19, v123 :: v_dual_mul_f32 v83, s19, v118
	v_dual_mul_f32 v92, s19, v117 :: v_dual_mul_f32 v93, s19, v116
	s_delay_alu instid0(VALU_DEP_4) | instskip(SKIP_2) | instid1(VALU_DEP_4)
	v_mul_f32_e32 v94, s19, v107
	v_cmp_gt_i32_e32 vcc_lo, s24, v70
	v_dual_mul_f32 v81, s19, v120 :: v_dual_mul_f32 v82, s19, v119
	v_cndmask_b32_e64 v93, 0xff7fffff, v93, s3
	v_or_b32_e32 v85, 14, v68
	v_cndmask_b32_e32 v92, 0xff7fffff, v92, vcc_lo
	v_dual_mul_f32 v79, s19, v122 :: v_dual_mul_f32 v80, s19, v121
	v_cndmask_b32_e64 v71, 0xff7fffff, v83, s4
	v_cndmask_b32_e64 v72, 0xff7fffff, v82, s5
	s_delay_alu instid0(VALU_DEP_4)
	v_max3_f32 v82, v93, 0xff7fffff, v92
	v_or_b32_e32 v86, 16, v68
	v_or_b32_e32 v87, 18, v68
	v_cndmask_b32_e64 v81, 0xff7fffff, v81, s6
	v_cndmask_b32_e64 v80, 0xff7fffff, v80, s7
	v_max3_f32 v71, v82, v71, v72
	v_cmp_gt_i32_e64 s8, s24, v84
	v_cmp_gt_i32_e64 s9, s24, v85
	v_or_b32_e32 v88, 20, v68
	v_or_b32_e32 v89, 22, v68
	;; [unrolled: 1-line block ×6, first 2 shown]
	v_dual_mul_f32 v99, s19, v102 :: v_dual_mul_f32 v70, s19, v101
	v_mul_f32_e32 v68, s19, v100
	v_cndmask_b32_e64 v72, 0xff7fffff, v79, s8
	v_cndmask_b32_e64 v78, 0xff7fffff, v78, s9
	v_max3_f32 v71, v71, v81, v80
	v_cmp_gt_i32_e64 s10, s24, v86
	v_cmp_gt_i32_e64 s11, s24, v87
	v_dual_mul_f32 v97, s19, v104 :: v_dual_mul_f32 v98, s19, v103
	s_delay_alu instid0(VALU_DEP_4) | instskip(SKIP_1) | instid1(VALU_DEP_4)
	v_max3_f32 v71, v71, v72, v78
	v_cmp_gt_i32_e64 s12, s24, v88
	v_cndmask_b32_e64 v70, 0xff7fffff, v70, s11
	v_cmp_gt_i32_e64 s13, s24, v89
	v_lshlrev_b32_e32 v89, 2, v69
	v_cndmask_b32_e64 v68, 0xff7fffff, v68, s10
	v_dual_mul_f32 v95, s19, v106 :: v_dual_mul_f32 v96, s19, v105
	v_cndmask_b32_e64 v72, 0xff7fffff, v99, s12
	v_cndmask_b32_e64 v78, 0xff7fffff, v98, s13
	s_delay_alu instid0(VALU_DEP_4)
	v_max3_f32 v68, v71, v68, v70
	v_cmp_gt_i32_e64 s15, s24, v90
	v_cmp_gt_i32_e64 s16, s24, v91
	;; [unrolled: 1-line block ×4, first 2 shown]
	v_max3_f32 v68, v68, v72, v78
	v_cndmask_b32_e64 v70, 0xff7fffff, v97, s15
	v_cndmask_b32_e64 v71, 0xff7fffff, v96, s16
	;; [unrolled: 1-line block ×4, first 2 shown]
	s_delay_alu instid0(VALU_DEP_3) | instskip(NEXT) | instid1(VALU_DEP_1)
	v_max3_f32 v68, v68, v70, v71
	v_max3_f32 v68, v68, v72, v76
	ds_bpermute_b32 v69, v89, v68
	s_waitcnt lgkmcnt(0)
	v_max_f32_e32 v69, v69, v69
	s_delay_alu instid0(VALU_DEP_1) | instskip(NEXT) | instid1(VALU_DEP_1)
	v_max_f32_e32 v68, v68, v69
	v_fma_f32 v71, s19, v118, -v68
	s_delay_alu instid0(VALU_DEP_1)
	v_mul_f32_e32 v71, 0x3fb8aa3b, v71
	v_fma_f32 v69, s19, v116, -v68
	v_fma_f32 v70, s19, v117, -v68
	;; [unrolled: 1-line block ×4, first 2 shown]
	v_exp_f32_e32 v71, v71
	s_delay_alu instid0(VALU_DEP_3) | instskip(SKIP_2) | instid1(VALU_DEP_3)
	v_dual_mul_f32 v69, 0x3fb8aa3b, v69 :: v_dual_mul_f32 v70, 0x3fb8aa3b, v70
	v_fma_f32 v78, s19, v122, -v68
	v_fma_f32 v81, s19, v105, -v68
	v_exp_f32_e32 v69, v69
	s_delay_alu instid0(VALU_DEP_3) | instskip(SKIP_1) | instid1(VALU_DEP_2)
	v_exp_f32_e32 v70, v70
	v_mul_f32_e32 v77, 0x3fb8aa3b, v76
	v_mul_f32_e32 v81, 0x3fb8aa3b, v81
	s_delay_alu instid0(TRANS32_DEP_3) | instskip(SKIP_1) | instid1(VALU_DEP_3)
	v_cndmask_b32_e64 v83, 0, v71, s4
	v_fma_f32 v71, s19, v123, -v68
	v_exp_f32_e32 v81, v81
	s_delay_alu instid0(TRANS32_DEP_3) | instskip(NEXT) | instid1(TRANS32_DEP_2)
	v_cndmask_b32_e64 v80, 0, v69, s3
	v_cndmask_b32_e32 v76, 0, v70, vcc_lo
	v_fma_f32 v69, s19, v121, -v68
	v_mul_f32_e32 v72, 0x3fb8aa3b, v72
	v_exp_f32_e32 v77, v77
	v_dual_add_f32 v70, 0, v80 :: v_dual_mul_f32 v71, 0x3fb8aa3b, v71
	s_delay_alu instid0(VALU_DEP_3) | instskip(NEXT) | instid1(VALU_DEP_3)
	v_mul_f32_e32 v69, 0x3fb8aa3b, v69
	v_exp_f32_e32 v72, v72
	s_mov_b32 s3, exec_lo
	s_delay_alu instid0(VALU_DEP_2) | instskip(NEXT) | instid1(VALU_DEP_1)
	v_exp_f32_e32 v71, v71
	v_exp_f32_e32 v69, v69
	v_cndmask_b32_e64 v86, 0, v77, s6
	v_fma_f32 v77, s19, v101, -v68
	v_add_f32_e32 v70, v70, v76
	s_delay_alu instid0(TRANS32_DEP_3) | instskip(SKIP_1) | instid1(VALU_DEP_3)
	v_cndmask_b32_e64 v85, 0, v72, s5
	v_fma_f32 v72, s19, v100, -v68
	v_dual_mul_f32 v77, 0x3fb8aa3b, v77 :: v_dual_add_f32 v70, v70, v83
	s_delay_alu instid0(TRANS32_DEP_2) | instskip(SKIP_1) | instid1(TRANS32_DEP_1)
	v_cndmask_b32_e64 v88, 0, v71, s9
	v_fma_f32 v71, s19, v104, -v68
	v_cndmask_b32_e64 v87, 0, v69, s7
	s_delay_alu instid0(VALU_DEP_4) | instskip(NEXT) | instid1(VALU_DEP_2)
	v_exp_f32_e32 v77, v77
	v_dual_add_f32 v70, v70, v85 :: v_dual_mul_f32 v71, 0x3fb8aa3b, v71
	s_delay_alu instid0(VALU_DEP_1) | instskip(SKIP_2) | instid1(VALU_DEP_3)
	v_dual_mul_f32 v72, 0x3fb8aa3b, v72 :: v_dual_add_f32 v69, v70, v86
	v_mul_f32_e32 v78, 0x3fb8aa3b, v78
	v_fma_f32 v70, s19, v102, -v68
	v_exp_f32_e32 v72, v72
	v_exp_f32_e32 v82, v71
	v_add_f32_e32 v69, v69, v87
	v_exp_f32_e32 v78, v78
	v_mul_f32_e32 v70, 0x3fb8aa3b, v70
	s_delay_alu instid0(VALU_DEP_1) | instskip(SKIP_4) | instid1(VALU_DEP_2)
	v_exp_f32_e32 v79, v70
	v_cndmask_b32_e64 v70, 0, v72, s10
	s_waitcnt_depctr 0xfff
	v_cndmask_b32_e64 v84, 0, v78, s8
	v_fma_f32 v78, s19, v103, -v68
	v_add_f32_e32 v69, v69, v84
	v_cndmask_b32_e64 v71, 0, v79, s12
	s_delay_alu instid0(VALU_DEP_2) | instskip(SKIP_2) | instid1(VALU_DEP_1)
	v_add_f32_e32 v72, v69, v88
	v_cndmask_b32_e64 v69, 0, v77, s11
	v_fma_f32 v77, s19, v106, -v68
	v_dual_mul_f32 v77, 0x3fb8aa3b, v77 :: v_dual_add_f32 v72, v72, v70
	v_mul_f32_e32 v78, 0x3fb8aa3b, v78
	s_delay_alu instid0(VALU_DEP_2) | instskip(NEXT) | instid1(VALU_DEP_2)
	v_exp_f32_e32 v90, v77
	v_add_f32_e32 v79, v72, v69
	s_delay_alu instid0(VALU_DEP_2)
	v_exp_f32_e32 v78, v78
	v_cndmask_b32_e64 v77, 0, v82, s15
	s_waitcnt_depctr 0xfff
	v_cndmask_b32_e64 v72, 0, v78, s13
	v_add_f32_e32 v78, v79, v71
	v_fma_f32 v79, s19, v107, -v68
	s_delay_alu instid0(VALU_DEP_1) | instskip(SKIP_1) | instid1(VALU_DEP_2)
	v_dual_add_f32 v82, v78, v72 :: v_dual_mul_f32 v79, 0x3fb8aa3b, v79
	v_cndmask_b32_e64 v78, 0, v81, s16
	v_add_f32_e32 v81, v82, v77
	s_delay_alu instid0(VALU_DEP_3) | instskip(SKIP_1) | instid1(VALU_DEP_2)
	v_exp_f32_e32 v82, v79
	v_cndmask_b32_e64 v79, 0, v90, s17
	v_add_f32_e32 v81, v81, v78
	s_delay_alu instid0(VALU_DEP_1) | instskip(SKIP_2) | instid1(VALU_DEP_1)
	v_add_f32_e32 v90, v81, v79
	s_waitcnt_depctr 0xfff
	v_cndmask_b32_e64 v81, 0, v82, s18
	v_add_f32_e32 v82, v90, v81
	ds_bpermute_b32 v89, v89, v82
	v_cmpx_gt_u32_e32 16, v67
	s_cbranch_execz .LBB1745_12
; %bb.11:
	v_mul_u32_u24_e32 v67, 0x44, v65
	s_delay_alu instid0(VALU_DEP_1) | instskip(SKIP_1) | instid1(VALU_DEP_1)
	v_lshl_add_u32 v67, v66, 2, v67
	s_waitcnt lgkmcnt(0)
	v_dual_add_f32 v82, v82, v89 :: v_dual_add_nc_u32 v67, 0x4000, v67
	ds_store_2addr_b32 v67, v68, v82 offset1:136
.LBB1745_12:
	s_or_b32 exec_lo, exec_lo, s3
	v_lshlrev_b32_e32 v67, 2, v66
	s_waitcnt lgkmcnt(0)
	s_barrier
	buffer_gl0_inv
	v_cmp_eq_u32_e32 vcc_lo, 1, v65
	v_add_nc_u32_e32 v82, 0x4000, v67
	v_cmp_eq_u32_e64 s3, 2, v65
	v_cmp_eq_u32_e64 s5, 7, v65
	ds_load_2addr_b32 v[89:90], v82 offset1:17
	ds_load_2addr_b32 v[91:92], v82 offset0:34 offset1:51
	ds_load_2addr_b32 v[93:94], v82 offset0:68 offset1:85
	;; [unrolled: 1-line block ×4, first 2 shown]
	s_waitcnt lgkmcnt(4)
	v_max3_f32 v67, v89, 0xff7fffff, v90
	s_waitcnt lgkmcnt(3)
	s_delay_alu instid0(VALU_DEP_1) | instskip(SKIP_1) | instid1(VALU_DEP_1)
	v_max3_f32 v67, v67, v91, v92
	s_waitcnt lgkmcnt(2)
	v_max3_f32 v67, v67, v93, v94
	s_waitcnt lgkmcnt(1)
	s_delay_alu instid0(VALU_DEP_1) | instskip(NEXT) | instid1(VALU_DEP_1)
	v_max3_f32 v67, v67, v95, v96
	v_sub_f32_e32 v93, v93, v67
	s_delay_alu instid0(VALU_DEP_1) | instskip(NEXT) | instid1(VALU_DEP_1)
	v_dual_sub_f32 v68, v89, v67 :: v_dual_mul_f32 v103, 0x3fb8aa3b, v93
	v_mul_f32_e32 v68, 0x3fb8aa3b, v68
	s_delay_alu instid0(VALU_DEP_1)
	v_exp_f32_e32 v100, v68
	v_sub_f32_e32 v68, v92, v67
	v_sub_f32_e32 v99, v90, v67
	ds_load_2addr_b32 v[89:90], v82 offset0:170 offset1:187
	v_dual_mul_f32 v102, 0x3fb8aa3b, v68 :: v_dual_mul_f32 v99, 0x3fb8aa3b, v99
	s_waitcnt lgkmcnt(1)
	v_fma_f32 v68, v100, v97, 0
	s_delay_alu instid0(VALU_DEP_2) | instskip(NEXT) | instid1(VALU_DEP_2)
	v_exp_f32_e32 v102, v102
	v_exp_f32_e32 v99, v99
	s_waitcnt_depctr 0xfff
	v_fmac_f32_e32 v68, v99, v98
	v_sub_f32_e32 v91, v91, v67
	s_delay_alu instid0(VALU_DEP_1)
	v_mul_f32_e32 v101, 0x3fb8aa3b, v91
	ds_load_2addr_b32 v[91:92], v82 offset0:204 offset1:221
	v_sub_f32_e32 v97, v94, v67
	ds_load_2addr_b32 v[93:94], v82 offset0:238 offset1:255
	s_waitcnt lgkmcnt(0)
	v_exp_f32_e32 v101, v101
	s_barrier
	buffer_gl0_inv
	v_dual_fmac_f32 v68, v101, v89 :: v_dual_sub_f32 v89, v96, v67
	v_dual_sub_f32 v82, v95, v67 :: v_dual_mul_f32 v95, 0x3fb8aa3b, v97
	v_exp_f32_e32 v97, v103
	s_delay_alu instid0(VALU_DEP_2) | instskip(NEXT) | instid1(VALU_DEP_2)
	v_dual_fmac_f32 v68, v102, v90 :: v_dual_mul_f32 v89, 0x3fb8aa3b, v89
	v_mul_f32_e32 v82, 0x3fb8aa3b, v82
	s_delay_alu instid0(VALU_DEP_3) | instskip(NEXT) | instid1(VALU_DEP_2)
	v_exp_f32_e32 v95, v95
	v_exp_f32_e32 v89, v89
	s_delay_alu instid0(VALU_DEP_1)
	v_exp_f32_e32 v82, v82
	v_fmac_f32_e32 v68, v97, v91
	s_delay_alu instid0(TRANS32_DEP_3) | instid1(VALU_DEP_1)
	v_fmac_f32_e32 v68, v95, v92
	s_waitcnt_depctr 0xfff
	v_fmac_f32_e32 v68, v82, v93
	s_delay_alu instid0(VALU_DEP_1) | instskip(NEXT) | instid1(VALU_DEP_1)
	v_fmac_f32_e32 v68, v89, v94
	v_add_f32_e32 v90, 0x358637bd, v68
	s_delay_alu instid0(VALU_DEP_1) | instskip(NEXT) | instid1(VALU_DEP_1)
	v_div_scale_f32 v91, null, v90, v90, 1.0
	v_rcp_f32_e32 v92, v91
	s_waitcnt_depctr 0xfff
	v_fma_f32 v93, -v91, v92, 1.0
	s_delay_alu instid0(VALU_DEP_1) | instskip(SKIP_1) | instid1(VALU_DEP_2)
	v_dual_fmac_f32 v92, v93, v92 :: v_dual_cndmask_b32 v93, v100, v99
	v_cmp_eq_u32_e32 vcc_lo, 3, v65
	v_cndmask_b32_e64 v93, v93, v101, s3
	v_cmp_eq_u32_e64 s3, 4, v65
	s_delay_alu instid0(VALU_DEP_2) | instskip(SKIP_1) | instid1(VALU_DEP_2)
	v_cndmask_b32_e32 v93, v93, v102, vcc_lo
	v_cmp_eq_u32_e32 vcc_lo, 5, v65
	v_cndmask_b32_e64 v93, v93, v97, s3
	v_cmp_eq_u32_e64 s3, 6, v65
	s_delay_alu instid0(VALU_DEP_2) | instskip(SKIP_1) | instid1(VALU_DEP_1)
	v_cndmask_b32_e32 v93, v93, v95, vcc_lo
	v_div_scale_f32 v94, s4, 1.0, v90, 1.0
	s_mov_b32 vcc_lo, s4
	s_delay_alu instid0(VALU_DEP_2) | instskip(NEXT) | instid1(VALU_DEP_2)
	v_cndmask_b32_e64 v82, v93, v82, s3
	v_mul_f32_e32 v96, v94, v92
	s_mov_b32 s3, exec_lo
	s_delay_alu instid0(VALU_DEP_2) | instskip(NEXT) | instid1(VALU_DEP_2)
	v_cndmask_b32_e64 v82, v82, v89, s5
	v_fma_f32 v98, -v91, v96, v94
	s_delay_alu instid0(VALU_DEP_1) | instskip(NEXT) | instid1(VALU_DEP_1)
	v_fmac_f32_e32 v96, v98, v92
	v_fma_f32 v91, -v91, v96, v94
	s_delay_alu instid0(VALU_DEP_1) | instskip(NEXT) | instid1(VALU_DEP_1)
	v_div_fmas_f32 v91, v91, v92, v96
	v_div_fixup_f32 v90, v91, v90, 1.0
	s_delay_alu instid0(VALU_DEP_1) | instskip(NEXT) | instid1(VALU_DEP_1)
	v_mul_f32_e32 v82, v82, v90
	v_mul_f32_e32 v87, v82, v87
	;; [unrolled: 1-line block ×7, first 2 shown]
	v_dual_mul_f32 v86, v82, v83 :: v_dual_and_b32 v91, 0x7f800000, v90
	v_mul_f32_e32 v85, v82, v76
                                        ; implicit-def: $vgpr76
	s_delay_alu instid0(VALU_DEP_2)
	v_cmpx_ne_u32_e32 0x7f800000, v91
	s_xor_b32 s3, exec_lo, s3
; %bb.13:
	v_bfe_u32 v76, v90, 16, 1
	s_delay_alu instid0(VALU_DEP_1)
	v_add3_u32 v76, v90, v76, 0x7fff
                                        ; implicit-def: $vgpr90
; %bb.14:
	s_and_not1_saveexec_b32 s3, s3
; %bb.15:
	v_and_b32_e32 v76, 0xffff, v90
	v_or_b32_e32 v83, 0x10000, v90
	s_delay_alu instid0(VALU_DEP_2) | instskip(NEXT) | instid1(VALU_DEP_2)
	v_cmp_eq_u32_e32 vcc_lo, 0, v76
	v_cndmask_b32_e32 v76, v83, v90, vcc_lo
; %bb.16:
	s_or_b32 exec_lo, exec_lo, s3
	v_and_b32_e32 v83, 0x7f800000, v85
	s_delay_alu instid0(VALU_DEP_1) | instskip(SKIP_1) | instid1(SALU_CYCLE_1)
	v_cmp_ne_u32_e32 vcc_lo, 0x7f800000, v83
                                        ; implicit-def: $vgpr83
	s_and_saveexec_b32 s3, vcc_lo
	s_xor_b32 s3, exec_lo, s3
; %bb.17:
	v_bfe_u32 v83, v85, 16, 1
	s_delay_alu instid0(VALU_DEP_1)
	v_add3_u32 v83, v85, v83, 0x7fff
                                        ; implicit-def: $vgpr85
; %bb.18:
	s_and_not1_saveexec_b32 s3, s3
; %bb.19:
	v_and_b32_e32 v83, 0xffff, v85
	v_or_b32_e32 v90, 0x10000, v85
	s_delay_alu instid0(VALU_DEP_2) | instskip(NEXT) | instid1(VALU_DEP_2)
	v_cmp_eq_u32_e32 vcc_lo, 0, v83
	v_cndmask_b32_e32 v83, v90, v85, vcc_lo
; %bb.20:
	s_or_b32 exec_lo, exec_lo, s3
	v_and_b32_e32 v85, 0x7f800000, v86
	s_delay_alu instid0(VALU_DEP_1) | instskip(SKIP_1) | instid1(SALU_CYCLE_1)
	v_cmp_ne_u32_e32 vcc_lo, 0x7f800000, v85
                                        ; implicit-def: $vgpr85
	s_and_saveexec_b32 s3, vcc_lo
	s_xor_b32 s3, exec_lo, s3
; %bb.21:
	v_bfe_u32 v85, v86, 16, 1
	s_delay_alu instid0(VALU_DEP_1)
	v_add3_u32 v85, v86, v85, 0x7fff
                                        ; implicit-def: $vgpr86
; %bb.22:
	s_and_not1_saveexec_b32 s3, s3
; %bb.23:
	v_and_b32_e32 v85, 0xffff, v86
	v_or_b32_e32 v90, 0x10000, v86
	s_delay_alu instid0(VALU_DEP_2) | instskip(NEXT) | instid1(VALU_DEP_2)
	v_cmp_eq_u32_e32 vcc_lo, 0, v85
	v_cndmask_b32_e32 v85, v90, v86, vcc_lo
; %bb.24:
	s_or_b32 exec_lo, exec_lo, s3
	v_and_b32_e32 v86, 0x7f800000, v89
	s_delay_alu instid0(VALU_DEP_1) | instskip(SKIP_1) | instid1(SALU_CYCLE_1)
	v_cmp_ne_u32_e32 vcc_lo, 0x7f800000, v86
                                        ; implicit-def: $vgpr86
	s_and_saveexec_b32 s3, vcc_lo
	s_xor_b32 s3, exec_lo, s3
; %bb.25:
	v_bfe_u32 v86, v89, 16, 1
	s_delay_alu instid0(VALU_DEP_1)
	v_add3_u32 v86, v89, v86, 0x7fff
                                        ; implicit-def: $vgpr89
; %bb.26:
	s_and_not1_saveexec_b32 s3, s3
; %bb.27:
	v_and_b32_e32 v86, 0xffff, v89
	v_or_b32_e32 v90, 0x10000, v89
	s_delay_alu instid0(VALU_DEP_2) | instskip(NEXT) | instid1(VALU_DEP_2)
	v_cmp_eq_u32_e32 vcc_lo, 0, v86
	v_cndmask_b32_e32 v86, v90, v89, vcc_lo
; %bb.28:
	s_or_b32 exec_lo, exec_lo, s3
	v_and_b32_e32 v89, 0x7f800000, v88
	s_delay_alu instid0(VALU_DEP_1) | instskip(SKIP_1) | instid1(SALU_CYCLE_1)
	v_cmp_ne_u32_e32 vcc_lo, 0x7f800000, v89
                                        ; implicit-def: $vgpr89
	s_and_saveexec_b32 s3, vcc_lo
	s_xor_b32 s3, exec_lo, s3
; %bb.29:
	v_bfe_u32 v89, v88, 16, 1
	s_delay_alu instid0(VALU_DEP_1)
	v_add3_u32 v89, v88, v89, 0x7fff
                                        ; implicit-def: $vgpr88
; %bb.30:
	s_and_not1_saveexec_b32 s3, s3
; %bb.31:
	v_and_b32_e32 v89, 0xffff, v88
	v_or_b32_e32 v90, 0x10000, v88
	s_delay_alu instid0(VALU_DEP_2) | instskip(NEXT) | instid1(VALU_DEP_2)
	v_cmp_eq_u32_e32 vcc_lo, 0, v89
	v_cndmask_b32_e32 v89, v90, v88, vcc_lo
; %bb.32:
	s_or_b32 exec_lo, exec_lo, s3
	v_and_b32_e32 v88, 0x7f800000, v87
	s_delay_alu instid0(VALU_DEP_1) | instskip(SKIP_1) | instid1(SALU_CYCLE_1)
	v_cmp_ne_u32_e32 vcc_lo, 0x7f800000, v88
                                        ; implicit-def: $vgpr88
	s_and_saveexec_b32 s3, vcc_lo
	s_xor_b32 s3, exec_lo, s3
; %bb.33:
	v_bfe_u32 v88, v87, 16, 1
	s_delay_alu instid0(VALU_DEP_1)
	v_add3_u32 v88, v87, v88, 0x7fff
                                        ; implicit-def: $vgpr87
; %bb.34:
	s_and_not1_saveexec_b32 s3, s3
; %bb.35:
	v_and_b32_e32 v88, 0xffff, v87
	v_or_b32_e32 v90, 0x10000, v87
	s_delay_alu instid0(VALU_DEP_2) | instskip(NEXT) | instid1(VALU_DEP_2)
	v_cmp_eq_u32_e32 vcc_lo, 0, v88
	v_cndmask_b32_e32 v88, v90, v87, vcc_lo
; %bb.36:
	s_or_b32 exec_lo, exec_lo, s3
	v_and_b32_e32 v87, 0x7f800000, v84
	s_delay_alu instid0(VALU_DEP_1) | instskip(SKIP_1) | instid1(SALU_CYCLE_1)
	v_cmp_ne_u32_e32 vcc_lo, 0x7f800000, v87
                                        ; implicit-def: $vgpr87
	s_and_saveexec_b32 s3, vcc_lo
	s_xor_b32 s3, exec_lo, s3
; %bb.37:
	v_bfe_u32 v87, v84, 16, 1
	s_delay_alu instid0(VALU_DEP_1)
	v_add3_u32 v87, v84, v87, 0x7fff
                                        ; implicit-def: $vgpr84
; %bb.38:
	s_and_not1_saveexec_b32 s3, s3
; %bb.39:
	v_and_b32_e32 v87, 0xffff, v84
	v_or_b32_e32 v90, 0x10000, v84
	s_delay_alu instid0(VALU_DEP_2) | instskip(NEXT) | instid1(VALU_DEP_2)
	v_cmp_eq_u32_e32 vcc_lo, 0, v87
	v_cndmask_b32_e32 v87, v90, v84, vcc_lo
; %bb.40:
	s_or_b32 exec_lo, exec_lo, s3
	v_and_b32_e32 v84, 0x7f800000, v80
	s_delay_alu instid0(VALU_DEP_1) | instskip(SKIP_1) | instid1(SALU_CYCLE_1)
	v_cmp_ne_u32_e32 vcc_lo, 0x7f800000, v84
                                        ; implicit-def: $vgpr84
	s_and_saveexec_b32 s3, vcc_lo
	s_xor_b32 s3, exec_lo, s3
; %bb.41:
	v_bfe_u32 v84, v80, 16, 1
	s_delay_alu instid0(VALU_DEP_1)
	v_add3_u32 v84, v80, v84, 0x7fff
                                        ; implicit-def: $vgpr80
; %bb.42:
	s_and_not1_saveexec_b32 s3, s3
; %bb.43:
	v_and_b32_e32 v84, 0xffff, v80
	v_or_b32_e32 v90, 0x10000, v80
	s_delay_alu instid0(VALU_DEP_2) | instskip(NEXT) | instid1(VALU_DEP_2)
	v_cmp_eq_u32_e32 vcc_lo, 0, v84
	v_cndmask_b32_e32 v84, v90, v80, vcc_lo
; %bb.44:
	s_or_b32 exec_lo, exec_lo, s3
	s_load_b64 s[34:35], s[0:1], 0x94
	v_lshlrev_b32_e32 v91, 4, v75
	s_delay_alu instid0(VALU_DEP_2)
	v_perm_b32 v90, v84, v87, 0x7060302
	v_dual_mul_f32 v77, v82, v77 :: v_dual_lshlrev_b32 v80, 6, v66
	v_lshlrev_b32_e32 v66, 11, v65
	v_perm_b32 v87, v83, v76, 0x7060302
	v_mul_f32_e32 v83, v82, v70
	v_perm_b32 v89, v88, v89, 0x7060302
	v_perm_b32 v88, v86, v85, 0x7060302
	v_or3_b32 v76, v91, v66, v80
	v_mul_f32_e32 v66, v82, v81
	v_mul_f32_e32 v70, v82, v79
	;; [unrolled: 1-line block ×3, first 2 shown]
	v_dual_mul_f32 v81, v82, v72 :: v_dual_and_b32 v84, 0x7f800000, v83
	v_mul_f32_e32 v79, v82, v71
	v_mul_f32_e32 v72, v82, v69
	s_mov_b32 s3, exec_lo
	ds_store_b128 v76, v[87:90]
                                        ; implicit-def: $vgpr69
	v_cmpx_ne_u32_e32 0x7f800000, v84
	s_xor_b32 s3, exec_lo, s3
; %bb.45:
	v_bfe_u32 v69, v83, 16, 1
	s_delay_alu instid0(VALU_DEP_1)
	v_add3_u32 v69, v83, v69, 0x7fff
                                        ; implicit-def: $vgpr83
; %bb.46:
	s_and_not1_saveexec_b32 s3, s3
; %bb.47:
	v_and_b32_e32 v69, 0xffff, v83
	v_or_b32_e32 v71, 0x10000, v83
	s_delay_alu instid0(VALU_DEP_2) | instskip(NEXT) | instid1(VALU_DEP_2)
	v_cmp_eq_u32_e32 vcc_lo, 0, v69
	v_cndmask_b32_e32 v69, v71, v83, vcc_lo
; %bb.48:
	s_or_b32 exec_lo, exec_lo, s3
	v_and_b32_e32 v71, 0x7f800000, v72
	s_delay_alu instid0(VALU_DEP_1) | instskip(SKIP_1) | instid1(SALU_CYCLE_1)
	v_cmp_ne_u32_e32 vcc_lo, 0x7f800000, v71
                                        ; implicit-def: $vgpr71
	s_and_saveexec_b32 s3, vcc_lo
	s_xor_b32 s3, exec_lo, s3
; %bb.49:
	v_bfe_u32 v71, v72, 16, 1
	s_delay_alu instid0(VALU_DEP_1)
	v_add3_u32 v71, v72, v71, 0x7fff
                                        ; implicit-def: $vgpr72
; %bb.50:
	s_and_not1_saveexec_b32 s3, s3
; %bb.51:
	v_and_b32_e32 v71, 0xffff, v72
	v_or_b32_e32 v82, 0x10000, v72
	s_delay_alu instid0(VALU_DEP_2) | instskip(NEXT) | instid1(VALU_DEP_2)
	v_cmp_eq_u32_e32 vcc_lo, 0, v71
	v_cndmask_b32_e32 v71, v82, v72, vcc_lo
; %bb.52:
	s_or_b32 exec_lo, exec_lo, s3
	v_and_b32_e32 v72, 0x7f800000, v79
	s_delay_alu instid0(VALU_DEP_1) | instskip(SKIP_1) | instid1(SALU_CYCLE_1)
	v_cmp_ne_u32_e32 vcc_lo, 0x7f800000, v72
                                        ; implicit-def: $vgpr72
	s_and_saveexec_b32 s3, vcc_lo
	s_xor_b32 s3, exec_lo, s3
; %bb.53:
	v_bfe_u32 v72, v79, 16, 1
	s_delay_alu instid0(VALU_DEP_1)
	v_add3_u32 v72, v79, v72, 0x7fff
                                        ; implicit-def: $vgpr79
; %bb.54:
	s_and_not1_saveexec_b32 s3, s3
; %bb.55:
	v_and_b32_e32 v72, 0xffff, v79
	v_or_b32_e32 v82, 0x10000, v79
	s_delay_alu instid0(VALU_DEP_2) | instskip(NEXT) | instid1(VALU_DEP_2)
	v_cmp_eq_u32_e32 vcc_lo, 0, v72
	v_cndmask_b32_e32 v72, v82, v79, vcc_lo
; %bb.56:
	s_or_b32 exec_lo, exec_lo, s3
	v_and_b32_e32 v79, 0x7f800000, v81
	s_delay_alu instid0(VALU_DEP_1) | instskip(SKIP_1) | instid1(SALU_CYCLE_1)
	v_cmp_ne_u32_e32 vcc_lo, 0x7f800000, v79
                                        ; implicit-def: $vgpr79
	s_and_saveexec_b32 s3, vcc_lo
	s_xor_b32 s3, exec_lo, s3
; %bb.57:
	v_bfe_u32 v79, v81, 16, 1
	s_delay_alu instid0(VALU_DEP_1)
	v_add3_u32 v79, v81, v79, 0x7fff
                                        ; implicit-def: $vgpr81
; %bb.58:
	s_and_not1_saveexec_b32 s3, s3
; %bb.59:
	v_and_b32_e32 v79, 0xffff, v81
	v_or_b32_e32 v82, 0x10000, v81
	s_delay_alu instid0(VALU_DEP_2) | instskip(NEXT) | instid1(VALU_DEP_2)
	v_cmp_eq_u32_e32 vcc_lo, 0, v79
	v_cndmask_b32_e32 v79, v82, v81, vcc_lo
; %bb.60:
	s_or_b32 exec_lo, exec_lo, s3
	v_and_b32_e32 v81, 0x7f800000, v77
	s_delay_alu instid0(VALU_DEP_1) | instskip(SKIP_1) | instid1(SALU_CYCLE_1)
	v_cmp_ne_u32_e32 vcc_lo, 0x7f800000, v81
                                        ; implicit-def: $vgpr81
	s_and_saveexec_b32 s3, vcc_lo
	s_xor_b32 s3, exec_lo, s3
; %bb.61:
	v_bfe_u32 v81, v77, 16, 1
	s_delay_alu instid0(VALU_DEP_1)
	v_add3_u32 v81, v77, v81, 0x7fff
                                        ; implicit-def: $vgpr77
; %bb.62:
	s_and_not1_saveexec_b32 s3, s3
; %bb.63:
	v_and_b32_e32 v81, 0xffff, v77
	v_or_b32_e32 v82, 0x10000, v77
	s_delay_alu instid0(VALU_DEP_2) | instskip(NEXT) | instid1(VALU_DEP_2)
	v_cmp_eq_u32_e32 vcc_lo, 0, v81
	v_cndmask_b32_e32 v81, v82, v77, vcc_lo
; %bb.64:
	s_or_b32 exec_lo, exec_lo, s3
	v_and_b32_e32 v77, 0x7f800000, v78
	s_delay_alu instid0(VALU_DEP_1) | instskip(SKIP_1) | instid1(SALU_CYCLE_1)
	v_cmp_ne_u32_e32 vcc_lo, 0x7f800000, v77
                                        ; implicit-def: $vgpr77
	s_and_saveexec_b32 s3, vcc_lo
	s_xor_b32 s3, exec_lo, s3
; %bb.65:
	v_bfe_u32 v77, v78, 16, 1
	s_delay_alu instid0(VALU_DEP_1)
	v_add3_u32 v77, v78, v77, 0x7fff
                                        ; implicit-def: $vgpr78
; %bb.66:
	s_and_not1_saveexec_b32 s3, s3
; %bb.67:
	v_and_b32_e32 v77, 0xffff, v78
	v_or_b32_e32 v82, 0x10000, v78
	s_delay_alu instid0(VALU_DEP_2) | instskip(NEXT) | instid1(VALU_DEP_2)
	v_cmp_eq_u32_e32 vcc_lo, 0, v77
	v_cndmask_b32_e32 v77, v82, v78, vcc_lo
; %bb.68:
	s_or_b32 exec_lo, exec_lo, s3
	v_and_b32_e32 v78, 0x7f800000, v70
	s_delay_alu instid0(VALU_DEP_1) | instskip(SKIP_1) | instid1(SALU_CYCLE_1)
	v_cmp_ne_u32_e32 vcc_lo, 0x7f800000, v78
                                        ; implicit-def: $vgpr78
	s_and_saveexec_b32 s3, vcc_lo
	s_xor_b32 s3, exec_lo, s3
; %bb.69:
	v_bfe_u32 v78, v70, 16, 1
	s_delay_alu instid0(VALU_DEP_1)
	v_add3_u32 v78, v70, v78, 0x7fff
                                        ; implicit-def: $vgpr70
; %bb.70:
	s_and_not1_saveexec_b32 s3, s3
; %bb.71:
	v_and_b32_e32 v78, 0xffff, v70
	v_or_b32_e32 v82, 0x10000, v70
	s_delay_alu instid0(VALU_DEP_2) | instskip(NEXT) | instid1(VALU_DEP_2)
	v_cmp_eq_u32_e32 vcc_lo, 0, v78
	v_cndmask_b32_e32 v78, v82, v70, vcc_lo
; %bb.72:
	s_or_b32 exec_lo, exec_lo, s3
	v_and_b32_e32 v70, 0x7f800000, v66
	s_delay_alu instid0(VALU_DEP_1) | instskip(SKIP_1) | instid1(SALU_CYCLE_1)
	v_cmp_ne_u32_e32 vcc_lo, 0x7f800000, v70
                                        ; implicit-def: $vgpr70
	s_and_saveexec_b32 s3, vcc_lo
	s_xor_b32 s3, exec_lo, s3
; %bb.73:
	v_bfe_u32 v70, v66, 16, 1
	s_delay_alu instid0(VALU_DEP_1)
	v_add3_u32 v70, v66, v70, 0x7fff
                                        ; implicit-def: $vgpr66
; %bb.74:
	s_and_not1_saveexec_b32 s3, s3
; %bb.75:
	v_and_b32_e32 v70, 0xffff, v66
	v_or_b32_e32 v82, 0x10000, v66
	s_delay_alu instid0(VALU_DEP_2) | instskip(NEXT) | instid1(VALU_DEP_2)
	v_cmp_eq_u32_e32 vcc_lo, 0, v70
	v_cndmask_b32_e32 v70, v82, v66, vcc_lo
; %bb.76:
	s_or_b32 exec_lo, exec_lo, s3
	s_delay_alu instid0(VALU_DEP_1)
	v_perm_b32 v86, v70, v78, 0x7060302
	v_perm_b32 v85, v77, v81, 0x7060302
	;; [unrolled: 1-line block ×4, first 2 shown]
	v_lshl_or_b32 v82, v65, 11, v80
	ds_store_b128 v76, v[83:86] offset:1024
	s_waitcnt lgkmcnt(0)
	s_barrier
	buffer_gl0_inv
	ds_load_b128 v[69:72], v82
	ds_load_b128 v[83:86], v82 offset:16
	s_waitcnt lgkmcnt(1)
	v_lshrrev_b32_e32 v65, 16, v69
	v_lshlrev_b32_e32 v78, 2, v75
	s_waitcnt lgkmcnt(0)
	v_lshrrev_b32_e32 v91, 16, v83
	v_lshrrev_b32_e32 v66, 16, v70
	;; [unrolled: 1-line block ×4, first 2 shown]
	v_cmp_eq_u32_e32 vcc_lo, 1, v78
	v_lshrrev_b32_e32 v98, 16, v85
	v_lshrrev_b32_e32 v96, 16, v72
	;; [unrolled: 1-line block ×3, first 2 shown]
	v_cndmask_b32_e32 v81, v69, v65, vcc_lo
	v_or_b32_e32 v79, 1, v78
	v_cmp_eq_u32_e64 s4, 2, v78
	v_cndmask_b32_e32 v87, v83, v91, vcc_lo
	v_cmp_eq_u32_e64 s7, 3, v78
	v_cmp_eq_u32_e64 s9, 4, v78
	;; [unrolled: 1-line block ×3, first 2 shown]
	v_cndmask_b32_e64 v81, v81, v70, s4
	v_cmp_eq_u32_e64 s6, 2, v79
	v_cndmask_b32_e64 v87, v87, v84, s4
	v_cmp_eq_u32_e64 s8, 3, v79
	v_cndmask_b32_e64 v88, v69, v65, s3
	v_cndmask_b32_e64 v81, v81, v66, s7
	v_or_b32_e32 v77, 2, v78
	v_cndmask_b32_e64 v87, v87, v97, s7
	v_cndmask_b32_e64 v89, v83, v91, s3
	;; [unrolled: 1-line block ×4, first 2 shown]
	v_cmp_eq_u32_e64 s10, 5, v78
	v_cndmask_b32_e64 v87, v87, v85, s9
	v_cmp_eq_u32_e64 s11, 4, v79
	v_cndmask_b32_e64 v88, v88, v66, s8
	;; [unrolled: 2-line block ×3, first 2 shown]
	v_cndmask_b32_e64 v81, v81, v95, s10
	v_cmp_eq_u32_e64 s12, 6, v78
	v_cndmask_b32_e64 v88, v88, v71, s11
	v_cndmask_b32_e64 v87, v87, v98, s10
	v_cmp_eq_u32_e64 s13, 5, v79
	v_cndmask_b32_e64 v90, v69, v65, s5
	v_cndmask_b32_e64 v89, v89, v97, s8
	;; [unrolled: 1-line block ×3, first 2 shown]
	v_cmp_eq_u32_e64 s15, 7, v78
	v_cndmask_b32_e64 v88, v88, v95, s13
	v_cndmask_b32_e64 v87, v87, v86, s12
	v_cmp_eq_u32_e64 s16, 6, v79
	v_cmp_eq_u32_e64 s17, 2, v77
	v_cndmask_b32_e64 v89, v89, v85, s11
	v_cndmask_b32_e64 v100, v81, v96, s15
	;; [unrolled: 1-line block ×6, first 2 shown]
	v_cmp_eq_u32_e64 s18, 7, v79
	v_cmp_eq_u32_e64 s19, 3, v77
	v_cmp_eq_u32_e64 s20, 4, v77
	v_cmp_eq_u32_e64 s22, 5, v77
	v_cndmask_b32_e64 v87, v87, v84, s17
	v_cndmask_b32_e64 v102, v88, v96, s18
	;; [unrolled: 1-line block ×4, first 2 shown]
	v_or_b32_e32 v81, 3, v78
	v_cndmask_b32_e64 v93, v87, v97, s19
	v_cmp_eq_u32_e64 s24, 6, v77
	v_cndmask_b32_e64 v103, v88, v86, s16
	v_cndmask_b32_e64 v92, v89, v71, s20
	v_cmp_eq_u32_e64 s21, 1, v81
	ds_load_b128 v[87:90], v82 offset:1024
	v_cmp_eq_u32_e64 s23, 2, v81
	v_cmp_eq_u32_e64 s25, 3, v81
	v_cndmask_b32_e64 v104, v92, v95, s22
	v_cndmask_b32_e64 v65, v69, v65, s21
	;; [unrolled: 1-line block ×4, first 2 shown]
	ds_load_b128 v[91:94], v82 offset:1040
	v_cmp_eq_u32_e64 s26, 4, v81
	v_cndmask_b32_e64 v65, v65, v70, s23
	v_cmp_eq_u32_e64 s28, 5, v81
	v_cndmask_b32_e64 v70, v83, v84, s23
	;; [unrolled: 2-line block ×3, first 2 shown]
	v_cndmask_b32_e64 v65, v65, v66, s25
	v_cndmask_b32_e64 v66, v104, v72, s24
	;; [unrolled: 1-line block ×3, first 2 shown]
	v_cmp_eq_u32_e64 s27, 7, v77
	v_cndmask_b32_e64 v69, v69, v86, s24
	v_cndmask_b32_e64 v65, v65, v71, s26
	s_waitcnt lgkmcnt(1)
	v_lshrrev_b32_e32 v84, 16, v87
	v_cndmask_b32_e64 v70, v70, v85, s26
	v_cndmask_b32_e64 v83, v103, v99, s18
	;; [unrolled: 1-line block ×4, first 2 shown]
	v_lshrrev_b32_e32 v95, 16, v88
	v_cndmask_b32_e64 v70, v70, v98, s28
	s_waitcnt lgkmcnt(0)
	v_lshrrev_b32_e32 v85, 16, v91
	v_cndmask_b32_e64 v97, v87, v84, s3
	v_cndmask_b32_e64 v65, v65, v72, s29
	;; [unrolled: 1-line block ×4, first 2 shown]
	v_cndmask_b32_e32 v71, v87, v84, vcc_lo
	v_cndmask_b32_e32 v98, v91, v85, vcc_lo
	v_cmp_eq_u32_e32 vcc_lo, 7, v81
	v_cndmask_b32_e64 v72, v97, v88, s6
	v_lshrrev_b32_e32 v97, 16, v92
	v_lshrrev_b32_e32 v103, 16, v90
	v_dual_cndmask_b32 v65, v65, v96 :: v_dual_cndmask_b32 v70, v70, v99
	v_cndmask_b32_e64 v71, v71, v88, s4
	v_cndmask_b32_e64 v86, v98, v92, s4
	;; [unrolled: 1-line block ×3, first 2 shown]
	v_lshrrev_b32_e32 v98, 16, v89
	v_lshrrev_b32_e32 v99, 16, v93
	v_cndmask_b32_e64 v71, v71, v95, s7
	v_cndmask_b32_e64 v86, v86, v97, s7
	;; [unrolled: 1-line block ×3, first 2 shown]
	v_perm_b32 v72, v70, v65, 0x5040100
	v_perm_b32 v70, v83, v102, 0x5040100
	v_cndmask_b32_e64 v71, v71, v89, s9
	v_cndmask_b32_e64 v86, v86, v93, s9
	;; [unrolled: 1-line block ×3, first 2 shown]
	v_lshrrev_b32_e32 v83, 16, v94
	s_delay_alu instid0(VALU_DEP_4) | instskip(NEXT) | instid1(VALU_DEP_4)
	v_cndmask_b32_e64 v71, v71, v98, s10
	v_cndmask_b32_e64 v86, v86, v99, s10
	s_delay_alu instid0(VALU_DEP_4) | instskip(NEXT) | instid1(VALU_DEP_3)
	v_cndmask_b32_e64 v65, v65, v90, s16
	v_cndmask_b32_e64 v96, v71, v90, s12
	v_perm_b32 v71, v69, v66, 0x5040100
	s_delay_alu instid0(VALU_DEP_4)
	v_cndmask_b32_e64 v69, v86, v94, s12
	v_cndmask_b32_e64 v86, v87, v84, s5
	;; [unrolled: 1-line block ×34, first 2 shown]
	v_cndmask_b32_e32 v84, v84, v103, vcc_lo
	v_cndmask_b32_e32 v86, v87, v83, vcc_lo
	v_cndmask_b32_e64 v87, v88, v83, s27
	v_cndmask_b32_e64 v88, v85, v83, s18
	;; [unrolled: 1-line block ×3, first 2 shown]
	v_perm_b32 v69, v101, v100, 0x5040100
	v_perm_b32 v86, v86, v84, 0x5040100
	;; [unrolled: 1-line block ×5, first 2 shown]
	s_lshl_b32 s8, s35, 2
	s_mov_b32 s3, exec_lo
	ds_store_b128 v76, v[69:72]
	ds_store_b128 v76, v[83:86] offset:1024
	v_cmpx_gt_u32_e32 4, v0
	s_cbranch_execz .LBB1745_78
; %bb.77:
	v_or_b32_e32 v65, s31, v0
	s_load_b128 s[4:7], s[0:1], 0x58
	s_delay_alu instid0(VALU_DEP_1) | instskip(NEXT) | instid1(VALU_DEP_1)
	v_mad_u64_u32 v[69:70], null, s8, s30, v[65:66]
	v_mad_u64_u32 v[65:66], null, v69, s34, s[14:15]
	s_delay_alu instid0(VALU_DEP_1) | instskip(NEXT) | instid1(VALU_DEP_1)
	v_ashrrev_i32_e32 v66, 31, v65
	v_lshlrev_b64 v[65:66], 2, v[65:66]
	s_waitcnt lgkmcnt(0)
	s_delay_alu instid0(VALU_DEP_1) | instskip(NEXT) | instid1(VALU_DEP_2)
	v_add_co_u32 v69, vcc_lo, s6, v65
	v_add_co_ci_u32_e32 v70, vcc_lo, s7, v66, vcc_lo
	v_add_co_u32 v65, vcc_lo, s4, v65
	v_add_co_ci_u32_e32 v66, vcc_lo, s5, v66, vcc_lo
	global_store_b32 v[69:70], v67, off
	global_store_b32 v[65:66], v68, off
.LBB1745_78:
	s_or_b32 exec_lo, exec_lo, s3
	s_waitcnt lgkmcnt(0)
	s_waitcnt_vscnt null, 0x0
	s_barrier
	buffer_gl0_inv
	ds_load_b128 v[83:86], v80
	ds_load_b128 v[87:90], v80 offset:16
	ds_load_b128 v[95:98], v80 offset:2064
	;; [unrolled: 1-line block ×3, first 2 shown]
	v_mov_b32_e32 v65, 0
	ds_load_b128 v[103:106], v80 offset:4112
	ds_load_b128 v[99:102], v80 offset:4096
	;; [unrolled: 1-line block ×4, first 2 shown]
	v_mov_b32_e32 v66, v65
	v_mov_b32_e32 v67, v65
	;; [unrolled: 1-line block ×7, first 2 shown]
	s_waitcnt lgkmcnt(6)
	s_delay_alu instid0(VALU_DEP_1)
	v_wmma_f32_16x16x16_bf16 v[65:72], v[57:64], v[83:90], v[65:72]
	ds_load_b128 v[61:64], v80 offset:8208
	ds_load_b128 v[57:60], v80 offset:8192
	s_waitcnt lgkmcnt(6)
	v_wmma_f32_16x16x16_bf16 v[65:72], v[41:48], v[91:98], v[65:72]
	ds_load_b128 v[45:48], v80 offset:10256
	ds_load_b128 v[41:44], v80 offset:10240
	s_waitcnt lgkmcnt(6)
	;; [unrolled: 4-line block ×4, first 2 shown]
	v_wmma_f32_16x16x16_bf16 v[65:72], v[1:8], v[57:64], v[65:72]
	s_waitcnt lgkmcnt(4)
	s_delay_alu instid0(VALU_DEP_1) | instskip(SKIP_1) | instid1(VALU_DEP_1)
	v_wmma_f32_16x16x16_bf16 v[65:72], v[9:16], v[41:48], v[65:72]
	s_waitcnt lgkmcnt(2)
	v_wmma_f32_16x16x16_bf16 v[65:72], v[17:24], v[33:40], v[65:72]
	s_waitcnt lgkmcnt(0)
	s_delay_alu instid0(VALU_DEP_1) | instskip(NEXT) | instid1(VALU_DEP_1)
	v_wmma_f32_16x16x16_bf16 v[65:72], v[49:56], v[25:32], v[65:72]
	v_and_b32_e32 v1, 0x7f800000, v65
	s_delay_alu instid0(VALU_DEP_1) | instskip(SKIP_1) | instid1(SALU_CYCLE_1)
	v_cmp_ne_u32_e32 vcc_lo, 0x7f800000, v1
                                        ; implicit-def: $vgpr1
	s_and_saveexec_b32 s3, vcc_lo
	s_xor_b32 s3, exec_lo, s3
; %bb.79:
	v_bfe_u32 v1, v65, 16, 1
	s_delay_alu instid0(VALU_DEP_1)
	v_add3_u32 v1, v65, v1, 0x7fff
; %bb.80:
	s_and_not1_saveexec_b32 s3, s3
; %bb.81:
	v_and_b32_e32 v1, 0xffff, v65
	v_or_b32_e32 v2, 0x10000, v65
	s_delay_alu instid0(VALU_DEP_2) | instskip(NEXT) | instid1(VALU_DEP_2)
	v_cmp_eq_u32_e32 vcc_lo, 0, v1
	v_cndmask_b32_e32 v1, v2, v65, vcc_lo
; %bb.82:
	s_or_b32 exec_lo, exec_lo, s3
	v_and_b32_e32 v2, 0x7f800000, v66
	s_delay_alu instid0(VALU_DEP_1) | instskip(SKIP_1) | instid1(SALU_CYCLE_1)
	v_cmp_ne_u32_e32 vcc_lo, 0x7f800000, v2
                                        ; implicit-def: $vgpr2
	s_and_saveexec_b32 s3, vcc_lo
	s_xor_b32 s3, exec_lo, s3
; %bb.83:
	v_bfe_u32 v2, v66, 16, 1
	s_delay_alu instid0(VALU_DEP_1)
	v_add3_u32 v2, v66, v2, 0x7fff
; %bb.84:
	s_and_not1_saveexec_b32 s3, s3
; %bb.85:
	v_and_b32_e32 v2, 0xffff, v66
	v_or_b32_e32 v3, 0x10000, v66
	s_delay_alu instid0(VALU_DEP_2) | instskip(NEXT) | instid1(VALU_DEP_2)
	v_cmp_eq_u32_e32 vcc_lo, 0, v2
	v_cndmask_b32_e32 v2, v3, v66, vcc_lo
; %bb.86:
	s_or_b32 exec_lo, exec_lo, s3
	v_and_b32_e32 v3, 0x7f800000, v67
	s_delay_alu instid0(VALU_DEP_1) | instskip(SKIP_1) | instid1(SALU_CYCLE_1)
	v_cmp_ne_u32_e32 vcc_lo, 0x7f800000, v3
                                        ; implicit-def: $vgpr3
	s_and_saveexec_b32 s3, vcc_lo
	s_xor_b32 s3, exec_lo, s3
; %bb.87:
	v_bfe_u32 v3, v67, 16, 1
	s_delay_alu instid0(VALU_DEP_1)
	v_add3_u32 v3, v67, v3, 0x7fff
; %bb.88:
	s_and_not1_saveexec_b32 s3, s3
; %bb.89:
	v_and_b32_e32 v3, 0xffff, v67
	v_or_b32_e32 v4, 0x10000, v67
	s_delay_alu instid0(VALU_DEP_2) | instskip(NEXT) | instid1(VALU_DEP_2)
	v_cmp_eq_u32_e32 vcc_lo, 0, v3
	v_cndmask_b32_e32 v3, v4, v67, vcc_lo
; %bb.90:
	s_or_b32 exec_lo, exec_lo, s3
	v_and_b32_e32 v4, 0x7f800000, v68
	s_delay_alu instid0(VALU_DEP_1) | instskip(SKIP_1) | instid1(SALU_CYCLE_1)
	v_cmp_ne_u32_e32 vcc_lo, 0x7f800000, v4
                                        ; implicit-def: $vgpr4
	s_and_saveexec_b32 s3, vcc_lo
	s_xor_b32 s3, exec_lo, s3
; %bb.91:
	v_bfe_u32 v4, v68, 16, 1
	s_delay_alu instid0(VALU_DEP_1)
	v_add3_u32 v4, v68, v4, 0x7fff
; %bb.92:
	s_and_not1_saveexec_b32 s3, s3
; %bb.93:
	v_and_b32_e32 v4, 0xffff, v68
	v_or_b32_e32 v5, 0x10000, v68
	s_delay_alu instid0(VALU_DEP_2) | instskip(NEXT) | instid1(VALU_DEP_2)
	v_cmp_eq_u32_e32 vcc_lo, 0, v4
	v_cndmask_b32_e32 v4, v5, v68, vcc_lo
; %bb.94:
	s_or_b32 exec_lo, exec_lo, s3
	v_and_b32_e32 v5, 0x7f800000, v69
	s_delay_alu instid0(VALU_DEP_1) | instskip(SKIP_1) | instid1(SALU_CYCLE_1)
	v_cmp_ne_u32_e32 vcc_lo, 0x7f800000, v5
                                        ; implicit-def: $vgpr5
	s_and_saveexec_b32 s3, vcc_lo
	s_xor_b32 s3, exec_lo, s3
; %bb.95:
	v_bfe_u32 v5, v69, 16, 1
	s_delay_alu instid0(VALU_DEP_1)
	v_add3_u32 v5, v69, v5, 0x7fff
; %bb.96:
	s_and_not1_saveexec_b32 s3, s3
; %bb.97:
	v_and_b32_e32 v5, 0xffff, v69
	v_or_b32_e32 v6, 0x10000, v69
	s_delay_alu instid0(VALU_DEP_2) | instskip(NEXT) | instid1(VALU_DEP_2)
	v_cmp_eq_u32_e32 vcc_lo, 0, v5
	v_cndmask_b32_e32 v5, v6, v69, vcc_lo
; %bb.98:
	s_or_b32 exec_lo, exec_lo, s3
	v_and_b32_e32 v6, 0x7f800000, v70
	s_delay_alu instid0(VALU_DEP_1) | instskip(SKIP_1) | instid1(SALU_CYCLE_1)
	v_cmp_ne_u32_e32 vcc_lo, 0x7f800000, v6
                                        ; implicit-def: $vgpr6
	s_and_saveexec_b32 s3, vcc_lo
	s_xor_b32 s3, exec_lo, s3
; %bb.99:
	v_bfe_u32 v6, v70, 16, 1
	s_delay_alu instid0(VALU_DEP_1)
	v_add3_u32 v6, v70, v6, 0x7fff
; %bb.100:
	s_and_not1_saveexec_b32 s3, s3
; %bb.101:
	v_and_b32_e32 v6, 0xffff, v70
	v_or_b32_e32 v7, 0x10000, v70
	s_delay_alu instid0(VALU_DEP_2) | instskip(NEXT) | instid1(VALU_DEP_2)
	v_cmp_eq_u32_e32 vcc_lo, 0, v6
	v_cndmask_b32_e32 v6, v7, v70, vcc_lo
; %bb.102:
	s_or_b32 exec_lo, exec_lo, s3
	v_and_b32_e32 v7, 0x7f800000, v71
	s_delay_alu instid0(VALU_DEP_1) | instskip(SKIP_1) | instid1(SALU_CYCLE_1)
	v_cmp_ne_u32_e32 vcc_lo, 0x7f800000, v7
                                        ; implicit-def: $vgpr7
	s_and_saveexec_b32 s3, vcc_lo
	s_xor_b32 s3, exec_lo, s3
; %bb.103:
	v_bfe_u32 v7, v71, 16, 1
	s_delay_alu instid0(VALU_DEP_1)
	v_add3_u32 v7, v71, v7, 0x7fff
; %bb.104:
	s_and_not1_saveexec_b32 s3, s3
; %bb.105:
	v_and_b32_e32 v7, 0xffff, v71
	v_or_b32_e32 v8, 0x10000, v71
	s_delay_alu instid0(VALU_DEP_2) | instskip(NEXT) | instid1(VALU_DEP_2)
	v_cmp_eq_u32_e32 vcc_lo, 0, v7
	v_cndmask_b32_e32 v7, v8, v71, vcc_lo
; %bb.106:
	s_or_b32 exec_lo, exec_lo, s3
	v_and_b32_e32 v8, 0x7f800000, v72
	s_delay_alu instid0(VALU_DEP_1) | instskip(SKIP_1) | instid1(SALU_CYCLE_1)
	v_cmp_ne_u32_e32 vcc_lo, 0x7f800000, v8
                                        ; implicit-def: $vgpr8
	s_and_saveexec_b32 s3, vcc_lo
	s_xor_b32 s3, exec_lo, s3
; %bb.107:
	v_bfe_u32 v8, v72, 16, 1
	s_delay_alu instid0(VALU_DEP_1)
	v_add3_u32 v8, v72, v8, 0x7fff
                                        ; implicit-def: $vgpr65_vgpr66_vgpr67_vgpr68_vgpr69_vgpr70_vgpr71_vgpr72
; %bb.108:
	s_and_not1_saveexec_b32 s3, s3
; %bb.109:
	v_and_b32_e32 v8, 0xffff, v72
	v_or_b32_e32 v9, 0x10000, v72
	s_delay_alu instid0(VALU_DEP_2) | instskip(NEXT) | instid1(VALU_DEP_2)
	v_cmp_eq_u32_e32 vcc_lo, 0, v8
	v_cndmask_b32_e32 v8, v9, v72, vcc_lo
; %bb.110:
	s_or_b32 exec_lo, exec_lo, s3
	s_delay_alu instid0(VALU_DEP_1)
	v_perm_b32 v7, v8, v7, 0x7060302
	v_perm_b32 v6, v6, v5, 0x7060302
	;; [unrolled: 1-line block ×4, first 2 shown]
	s_barrier
	buffer_gl0_inv
	v_cmp_eq_u32_e32 vcc_lo, 1, v78
	ds_store_b128 v76, v[4:7]
	s_waitcnt lgkmcnt(0)
	s_barrier
	buffer_gl0_inv
	ds_load_b128 v[1:4], v82
	ds_load_b128 v[5:8], v82 offset:16
	v_cmp_eq_u32_e64 s3, 1, v79
	v_cmp_eq_u32_e64 s4, 2, v78
	;; [unrolled: 1-line block ×5, first 2 shown]
	s_waitcnt lgkmcnt(1)
	v_lshrrev_b32_e32 v9, 16, v1
	s_waitcnt lgkmcnt(0)
	v_lshrrev_b32_e32 v13, 16, v5
	v_lshrrev_b32_e32 v10, 16, v2
	;; [unrolled: 1-line block ×4, first 2 shown]
	v_cndmask_b32_e64 v19, v1, v9, s3
	v_cndmask_b32_e32 v18, v5, v13, vcc_lo
	v_cndmask_b32_e64 v20, v5, v13, s3
	v_cndmask_b32_e32 v17, v1, v9, vcc_lo
	v_cmp_eq_u32_e32 vcc_lo, 2, v79
	v_lshrrev_b32_e32 v15, 16, v7
	v_cmp_eq_u32_e64 s3, 1, v77
	v_lshrrev_b32_e32 v12, 16, v4
	v_lshrrev_b32_e32 v16, 16, v8
	v_cndmask_b32_e32 v20, v20, v6, vcc_lo
	v_cndmask_b32_e64 v17, v17, v2, s4
	v_cndmask_b32_e32 v19, v19, v2, vcc_lo
	v_cndmask_b32_e64 v18, v18, v6, s4
	v_cmp_eq_u32_e32 vcc_lo, 4, v78
	v_cmp_eq_u32_e64 s4, 3, v79
	v_cndmask_b32_e64 v17, v17, v10, s5
	v_cndmask_b32_e64 v21, v1, v9, s3
	;; [unrolled: 1-line block ×5, first 2 shown]
	v_cndmask_b32_e32 v17, v17, v3, vcc_lo
	v_cndmask_b32_e64 v20, v20, v14, s4
	v_cndmask_b32_e32 v18, v18, v7, vcc_lo
	v_cmp_eq_u32_e32 vcc_lo, 4, v79
	v_cmp_eq_u32_e64 s4, 5, v79
	v_cmp_eq_u32_e64 s3, 2, v81
	v_cndmask_b32_e64 v21, v21, v2, s7
	v_cmp_eq_u32_e64 s5, 5, v78
	v_cndmask_b32_e32 v19, v19, v3, vcc_lo
	v_cndmask_b32_e32 v20, v20, v7, vcc_lo
	v_cmp_eq_u32_e32 vcc_lo, 6, v79
	s_delay_alu instid0(VALU_DEP_4) | instskip(NEXT) | instid1(VALU_DEP_4)
	v_cndmask_b32_e64 v17, v17, v11, s5
	v_cndmask_b32_e64 v19, v19, v11, s4
	s_delay_alu instid0(VALU_DEP_4) | instskip(SKIP_1) | instid1(VALU_DEP_3)
	v_cndmask_b32_e64 v20, v20, v15, s4
	v_cmp_eq_u32_e64 s4, 1, v81
	v_cndmask_b32_e32 v19, v19, v4, vcc_lo
	v_cndmask_b32_e64 v18, v18, v15, s5
	s_delay_alu instid0(VALU_DEP_3)
	v_cndmask_b32_e64 v1, v1, v9, s4
	v_cndmask_b32_e64 v5, v5, v13, s4
	v_cmp_eq_u32_e64 s4, 3, v77
	v_cndmask_b32_e64 v13, v22, v6, s7
	v_cmp_eq_u32_e64 s7, 3, v81
	v_cndmask_b32_e64 v1, v1, v2, s3
	v_cndmask_b32_e64 v2, v5, v6, s3
	;; [unrolled: 1-line block ×3, first 2 shown]
	v_cmp_eq_u32_e64 s3, 4, v77
	v_cndmask_b32_e64 v6, v13, v14, s4
	v_cndmask_b32_e64 v1, v1, v10, s7
	v_cmp_eq_u32_e64 s4, 4, v81
	v_cndmask_b32_e64 v2, v2, v14, s7
	v_cndmask_b32_e64 v5, v9, v3, s3
	;; [unrolled: 3-line block ×3, first 2 shown]
	v_cndmask_b32_e64 v2, v2, v7, s4
	v_cmp_eq_u32_e64 s3, 5, v81
	v_cmp_eq_u32_e64 s5, 6, v78
	v_cndmask_b32_e64 v5, v5, v11, s7
	v_cmp_eq_u32_e64 s4, 6, v77
	v_cndmask_b32_e64 v3, v6, v15, s7
	v_cndmask_b32_e64 v1, v1, v11, s3
	v_cmp_eq_u32_e64 s7, 6, v81
	v_cndmask_b32_e64 v2, v2, v15, s3
	v_cndmask_b32_e64 v17, v17, v4, s5
	v_cndmask_b32_e64 v18, v18, v8, s5
	v_cmp_eq_u32_e64 s5, 7, v78
	v_cndmask_b32_e64 v5, v5, v4, s4
	;; [unrolled: 4-line block ×3, first 2 shown]
	v_cmp_eq_u32_e64 s4, 7, v77
	v_cndmask_b32_e32 v4, v20, v8, vcc_lo
	v_cndmask_b32_e64 v17, v17, v12, s5
	v_cndmask_b32_e64 v19, v19, v12, s6
	;; [unrolled: 1-line block ×8, first 2 shown]
	v_cmp_gt_u32_e32 vcc_lo, 32, v0
	v_perm_b32 v4, v2, v1, 0x5040100
	v_perm_b32 v3, v3, v5, 0x5040100
	;; [unrolled: 1-line block ×4, first 2 shown]
	s_and_b32 s2, vcc_lo, s2
	ds_store_b128 v76, v[1:4]
	s_waitcnt lgkmcnt(0)
	s_barrier
	buffer_gl0_inv
	s_and_saveexec_b32 s3, s2
	s_cbranch_execz .LBB1745_2
; %bb.111:
	s_load_b64 s[0:1], s[0:1], 0x68
	v_lshlrev_b32_e32 v0, 10, v0
	v_or_b32_e32 v1, s31, v75
	s_lshl_b32 s4, s34, 6
	v_lshlrev_b32_e32 v2, 4, v74
	s_mul_i32 s2, s4, s30
	v_lshlrev_b32_e32 v3, 6, v75
	v_mul_lo_u32 v8, v1, s4
	v_and_b32_e32 v0, 0x3800, v0
	v_or_b32_e32 v1, 2, v1
	s_mul_i32 s2, s2, s8
	s_delay_alu instid0(SALU_CYCLE_1) | instskip(NEXT) | instid1(VALU_DEP_2)
	s_ashr_i32 s3, s2, 31
	v_or3_b32 v4, v0, v2, v3
	s_lshl_b64 s[2:3], s[2:3], 1
	v_mul_lo_u32 v10, v1, s4
	v_ashrrev_i32_e32 v9, 31, v8
	ds_load_b128 v[0:3], v4
	ds_load_b128 v[4:7], v4 offset:128
	s_waitcnt lgkmcnt(0)
	s_add_u32 s2, s0, s2
	s_addc_u32 s3, s1, s3
	s_lshl_b32 s0, s14, 6
	v_ashrrev_i32_e32 v11, 31, v10
	s_ashr_i32 s1, s0, 31
	v_lshlrev_b64 v[8:9], 1, v[8:9]
	s_lshl_b64 s[0:1], s[0:1], 1
	s_delay_alu instid0(SALU_CYCLE_1) | instskip(SKIP_2) | instid1(VALU_DEP_1)
	s_add_u32 s0, s2, s0
	s_addc_u32 s1, s3, s1
	v_add_co_u32 v12, s0, s0, v73
	v_add_co_ci_u32_e64 v13, null, s1, 0, s0
	v_lshlrev_b64 v[10:11], 1, v[10:11]
	s_delay_alu instid0(VALU_DEP_3) | instskip(NEXT) | instid1(VALU_DEP_3)
	v_add_co_u32 v8, vcc_lo, v12, v8
	v_add_co_ci_u32_e32 v9, vcc_lo, v13, v9, vcc_lo
	s_delay_alu instid0(VALU_DEP_3) | instskip(NEXT) | instid1(VALU_DEP_4)
	v_add_co_u32 v10, vcc_lo, v12, v10
	v_add_co_ci_u32_e32 v11, vcc_lo, v13, v11, vcc_lo
	s_clause 0x1
	global_store_b128 v[8:9], v[0:3], off
	global_store_b128 v[10:11], v[4:7], off
	s_nop 0
	s_sendmsg sendmsg(MSG_DEALLOC_VGPRS)
	s_endpgm
	.section	.rodata,"a",@progbits
	.p2align	6, 0x0
	.amdhsa_kernel _Z39paged_attention_ll4mi_QKV_mfma16_kernelI14__hip_bfloat16hLN4vllm18Fp8KVCacheDataTypeE1EhLi32ELi64ELi256ELb1ELi4EL8MFMAType0EEvPKT_PKT0_S9_ifPKiSB_SB_iPKfiiiPfSE_PS4_PT2_iSD_SD_
		.amdhsa_group_segment_fixed_size 17472
		.amdhsa_private_segment_fixed_size 0
		.amdhsa_kernarg_size 400
		.amdhsa_user_sgpr_count 13
		.amdhsa_user_sgpr_dispatch_ptr 0
		.amdhsa_user_sgpr_queue_ptr 0
		.amdhsa_user_sgpr_kernarg_segment_ptr 1
		.amdhsa_user_sgpr_dispatch_id 0
		.amdhsa_user_sgpr_private_segment_size 0
		.amdhsa_wavefront_size32 1
		.amdhsa_uses_dynamic_stack 0
		.amdhsa_enable_private_segment 0
		.amdhsa_system_sgpr_workgroup_id_x 1
		.amdhsa_system_sgpr_workgroup_id_y 1
		.amdhsa_system_sgpr_workgroup_id_z 1
		.amdhsa_system_sgpr_workgroup_info 0
		.amdhsa_system_vgpr_workitem_id 0
		.amdhsa_next_free_vgpr 124
		.amdhsa_next_free_sgpr 40
		.amdhsa_reserve_vcc 1
		.amdhsa_float_round_mode_32 0
		.amdhsa_float_round_mode_16_64 0
		.amdhsa_float_denorm_mode_32 3
		.amdhsa_float_denorm_mode_16_64 3
		.amdhsa_dx10_clamp 1
		.amdhsa_ieee_mode 1
		.amdhsa_fp16_overflow 0
		.amdhsa_workgroup_processor_mode 1
		.amdhsa_memory_ordered 1
		.amdhsa_forward_progress 0
		.amdhsa_shared_vgpr_count 0
		.amdhsa_exception_fp_ieee_invalid_op 0
		.amdhsa_exception_fp_denorm_src 0
		.amdhsa_exception_fp_ieee_div_zero 0
		.amdhsa_exception_fp_ieee_overflow 0
		.amdhsa_exception_fp_ieee_underflow 0
		.amdhsa_exception_fp_ieee_inexact 0
		.amdhsa_exception_int_div_zero 0
	.end_amdhsa_kernel
	.section	.text._Z39paged_attention_ll4mi_QKV_mfma16_kernelI14__hip_bfloat16hLN4vllm18Fp8KVCacheDataTypeE1EhLi32ELi64ELi256ELb1ELi4EL8MFMAType0EEvPKT_PKT0_S9_ifPKiSB_SB_iPKfiiiPfSE_PS4_PT2_iSD_SD_,"axG",@progbits,_Z39paged_attention_ll4mi_QKV_mfma16_kernelI14__hip_bfloat16hLN4vllm18Fp8KVCacheDataTypeE1EhLi32ELi64ELi256ELb1ELi4EL8MFMAType0EEvPKT_PKT0_S9_ifPKiSB_SB_iPKfiiiPfSE_PS4_PT2_iSD_SD_,comdat
.Lfunc_end1745:
	.size	_Z39paged_attention_ll4mi_QKV_mfma16_kernelI14__hip_bfloat16hLN4vllm18Fp8KVCacheDataTypeE1EhLi32ELi64ELi256ELb1ELi4EL8MFMAType0EEvPKT_PKT0_S9_ifPKiSB_SB_iPKfiiiPfSE_PS4_PT2_iSD_SD_, .Lfunc_end1745-_Z39paged_attention_ll4mi_QKV_mfma16_kernelI14__hip_bfloat16hLN4vllm18Fp8KVCacheDataTypeE1EhLi32ELi64ELi256ELb1ELi4EL8MFMAType0EEvPKT_PKT0_S9_ifPKiSB_SB_iPKfiiiPfSE_PS4_PT2_iSD_SD_
                                        ; -- End function
	.section	.AMDGPU.csdata,"",@progbits
; Kernel info:
; codeLenInByte = 8612
; NumSgprs: 42
; NumVgprs: 124
; ScratchSize: 0
; MemoryBound: 0
; FloatMode: 240
; IeeeMode: 1
; LDSByteSize: 17472 bytes/workgroup (compile time only)
; SGPRBlocks: 5
; VGPRBlocks: 15
; NumSGPRsForWavesPerEU: 42
; NumVGPRsForWavesPerEU: 124
; Occupancy: 10
; WaveLimiterHint : 1
; COMPUTE_PGM_RSRC2:SCRATCH_EN: 0
; COMPUTE_PGM_RSRC2:USER_SGPR: 13
; COMPUTE_PGM_RSRC2:TRAP_HANDLER: 0
; COMPUTE_PGM_RSRC2:TGID_X_EN: 1
; COMPUTE_PGM_RSRC2:TGID_Y_EN: 1
; COMPUTE_PGM_RSRC2:TGID_Z_EN: 1
; COMPUTE_PGM_RSRC2:TIDIG_COMP_CNT: 0
	.section	.text._Z39paged_attention_ll4mi_QKV_mfma16_kernelI14__hip_bfloat16hLN4vllm18Fp8KVCacheDataTypeE1EhLi32ELi64ELi256ELb0ELi5EL8MFMAType0EEvPKT_PKT0_S9_ifPKiSB_SB_iPKfiiiPfSE_PS4_PT2_iSD_SD_,"axG",@progbits,_Z39paged_attention_ll4mi_QKV_mfma16_kernelI14__hip_bfloat16hLN4vllm18Fp8KVCacheDataTypeE1EhLi32ELi64ELi256ELb0ELi5EL8MFMAType0EEvPKT_PKT0_S9_ifPKiSB_SB_iPKfiiiPfSE_PS4_PT2_iSD_SD_,comdat
	.protected	_Z39paged_attention_ll4mi_QKV_mfma16_kernelI14__hip_bfloat16hLN4vllm18Fp8KVCacheDataTypeE1EhLi32ELi64ELi256ELb0ELi5EL8MFMAType0EEvPKT_PKT0_S9_ifPKiSB_SB_iPKfiiiPfSE_PS4_PT2_iSD_SD_ ; -- Begin function _Z39paged_attention_ll4mi_QKV_mfma16_kernelI14__hip_bfloat16hLN4vllm18Fp8KVCacheDataTypeE1EhLi32ELi64ELi256ELb0ELi5EL8MFMAType0EEvPKT_PKT0_S9_ifPKiSB_SB_iPKfiiiPfSE_PS4_PT2_iSD_SD_
	.globl	_Z39paged_attention_ll4mi_QKV_mfma16_kernelI14__hip_bfloat16hLN4vllm18Fp8KVCacheDataTypeE1EhLi32ELi64ELi256ELb0ELi5EL8MFMAType0EEvPKT_PKT0_S9_ifPKiSB_SB_iPKfiiiPfSE_PS4_PT2_iSD_SD_
	.p2align	8
	.type	_Z39paged_attention_ll4mi_QKV_mfma16_kernelI14__hip_bfloat16hLN4vllm18Fp8KVCacheDataTypeE1EhLi32ELi64ELi256ELb0ELi5EL8MFMAType0EEvPKT_PKT0_S9_ifPKiSB_SB_iPKfiiiPfSE_PS4_PT2_iSD_SD_,@function
_Z39paged_attention_ll4mi_QKV_mfma16_kernelI14__hip_bfloat16hLN4vllm18Fp8KVCacheDataTypeE1EhLi32ELi64ELi256ELb0ELi5EL8MFMAType0EEvPKT_PKT0_S9_ifPKiSB_SB_iPKfiiiPfSE_PS4_PT2_iSD_SD_: ; @_Z39paged_attention_ll4mi_QKV_mfma16_kernelI14__hip_bfloat16hLN4vllm18Fp8KVCacheDataTypeE1EhLi32ELi64ELi256ELb0ELi5EL8MFMAType0EEvPKT_PKT0_S9_ifPKiSB_SB_iPKfiiiPfSE_PS4_PT2_iSD_SD_
; %bb.0:
	s_load_b64 s[2:3], s[0:1], 0x30
	s_mov_b32 s34, s13
	s_waitcnt lgkmcnt(0)
	s_cmp_lg_u64 s[2:3], 0
	s_cselect_b32 s8, -1, 0
	s_ashr_i32 s35, s13, 31
	s_cmp_eq_u64 s[2:3], 0
	s_cbranch_scc1 .LBB1746_3
; %bb.1:
	s_lshl_b64 s[4:5], s[34:35], 2
	s_delay_alu instid0(SALU_CYCLE_1) | instskip(SKIP_4) | instid1(SALU_CYCLE_1)
	s_add_u32 s4, s2, s4
	s_addc_u32 s5, s3, s5
	s_load_b64 s[4:5], s[4:5], 0x0
	s_waitcnt lgkmcnt(0)
	s_sub_i32 s4, s5, s4
	s_cmp_eq_u32 s4, 1
	s_cselect_b32 s4, -1, 0
	s_delay_alu instid0(SALU_CYCLE_1)
	s_and_not1_b32 vcc_lo, exec_lo, s4
	s_cbranch_vccz .LBB1746_4
.LBB1746_2:
	s_nop 0
	s_sendmsg sendmsg(MSG_DEALLOC_VGPRS)
	s_endpgm
.LBB1746_3:
.LBB1746_4:
	s_load_b64 s[4:5], s[0:1], 0x28
	s_lshl_b64 s[6:7], s[34:35], 2
	s_waitcnt lgkmcnt(0)
	s_add_u32 s4, s4, s6
	s_addc_u32 s5, s5, s7
	s_lshl_b32 s12, s14, 8
	s_load_b32 s24, s[4:5], 0x0
	s_waitcnt lgkmcnt(0)
	s_cmp_ge_i32 s12, s24
	s_cbranch_scc1 .LBB1746_2
; %bb.5:
	s_clause 0x1
	s_load_b128 s[20:23], s[0:1], 0x8
	s_load_b64 s[4:5], s[0:1], 0x20
	s_and_not1_b32 vcc_lo, exec_lo, s8
	s_cbranch_vccnz .LBB1746_7
; %bb.6:
	s_add_u32 s2, s2, s6
	s_addc_u32 s3, s3, s7
	s_load_b32 s3, s[2:3], 0x0
	s_branch .LBB1746_8
.LBB1746_7:
	s_mov_b32 s3, s34
.LBB1746_8:
	s_load_b128 s[16:19], s[0:1], 0x48
	v_lshrrev_b32_e32 v66, 5, v0
	v_bfe_u32 v74, v0, 4, 1
	v_and_b32_e32 v65, 15, v0
	v_and_b32_e32 v67, 31, v0
	;; [unrolled: 1-line block ×3, first 2 shown]
	s_mul_i32 s31, s15, 5
	v_lshl_or_b32 v1, v66, 1, v74
	v_lshlrev_b32_e32 v2, 3, v65
	v_cmp_gt_u32_e64 s2, 8, v65
	s_delay_alu instid0(VALU_DEP_3) | instskip(NEXT) | instid1(VALU_DEP_3)
	v_cmp_gt_u32_e32 vcc_lo, 5, v1
	v_lshlrev_b32_e32 v73, 1, v2
	s_delay_alu instid0(VALU_DEP_3) | instskip(NEXT) | instid1(SALU_CYCLE_1)
	s_and_b32 s7, s2, vcc_lo
	s_and_saveexec_b32 s6, s7
	s_cbranch_execz .LBB1746_10
; %bb.9:
	s_load_b64 s[8:9], s[0:1], 0x0
	v_add_lshl_u32 v2, v1, s31, 6
	s_waitcnt lgkmcnt(0)
	s_mul_hi_i32 s11, s3, s16
	s_mul_i32 s10, s3, s16
	v_lshlrev_b32_e32 v6, 10, v65
	s_lshl_b64 s[10:11], s[10:11], 1
	v_ashrrev_i32_e32 v3, 31, v2
	v_lshlrev_b32_e32 v1, 6, v1
	v_lshlrev_b32_e32 v7, 10, v75
	v_and_b32_e32 v6, 0x3800, v6
	s_delay_alu instid0(VALU_DEP_4) | instskip(NEXT) | instid1(VALU_DEP_2)
	v_lshlrev_b64 v[2:3], 1, v[2:3]
	v_or3_b32 v1, v6, v7, v1
	s_add_u32 s3, s8, s10
	s_addc_u32 s7, s9, s11
	s_delay_alu instid0(VALU_DEP_2) | instskip(NEXT) | instid1(VALU_DEP_3)
	v_add_co_u32 v2, vcc_lo, s3, v2
	v_add_co_ci_u32_e32 v3, vcc_lo, s7, v3, vcc_lo
	s_delay_alu instid0(VALU_DEP_2) | instskip(NEXT) | instid1(VALU_DEP_2)
	v_add_co_u32 v2, vcc_lo, v2, v73
	v_add_co_ci_u32_e32 v3, vcc_lo, 0, v3, vcc_lo
	global_load_b128 v[2:5], v[2:3], off
	s_waitcnt vmcnt(0)
	ds_store_b128 v1, v[2:5]
.LBB1746_10:
	s_or_b32 exec_lo, exec_lo, s6
	v_and_b32_e32 v1, 0xef, v0
	s_waitcnt lgkmcnt(0)
	s_add_i32 s3, s24, 31
	s_clause 0x1
	s_load_b32 s6, s[0:1], 0x38
	s_load_b32 s19, s[0:1], 0x1c
	s_ashr_i32 s7, s3, 31
	v_add_nc_u32_e32 v1, s12, v1
	s_lshr_b32 s7, s7, 27
	s_waitcnt lgkmcnt(0)
	s_add_i32 s3, s3, s7
	s_barrier
	v_ashrrev_i32_e32 v2, 31, v1
	v_or_b32_e32 v3, 16, v1
	s_ashr_i32 s3, s3, 5
	v_cmp_gt_i32_e32 vcc_lo, s24, v1
	s_add_i32 s3, s3, -1
	v_lshrrev_b32_e32 v2, 27, v2
	buffer_gl0_inv
	s_mul_i32 s27, s15, s18
	v_add_nc_u32_e32 v4, v1, v2
	s_mul_i32 s6, s34, s6
	s_delay_alu instid0(SALU_CYCLE_1) | instskip(NEXT) | instid1(VALU_DEP_1)
	s_ashr_i32 s7, s6, 31
	v_ashrrev_i32_e32 v4, 5, v4
	v_add_nc_u32_e32 v2, v3, v2
	s_lshl_b64 s[6:7], s[6:7], 2
	s_delay_alu instid0(SALU_CYCLE_1) | instskip(NEXT) | instid1(VALU_DEP_2)
	s_add_u32 s26, s4, s6
	v_cndmask_b32_e32 v1, s3, v4, vcc_lo
	s_delay_alu instid0(VALU_DEP_2)
	v_ashrrev_i32_e32 v2, 5, v2
	v_cmp_gt_i32_e32 vcc_lo, s24, v3
	s_addc_u32 s25, s5, s7
	s_ashr_i32 s28, s27, 31
	s_add_u32 s4, s20, s27
	s_addc_u32 s5, s21, s28
	v_cndmask_b32_e32 v3, s3, v2, vcc_lo
	v_ashrrev_i32_e32 v2, 31, v1
	s_lshl_b32 s6, s14, 3
	s_delay_alu instid0(SALU_CYCLE_1) | instskip(NEXT) | instid1(VALU_DEP_2)
	s_ashr_i32 s7, s6, 31
	v_ashrrev_i32_e32 v4, 31, v3
	s_delay_alu instid0(VALU_DEP_2) | instskip(SKIP_1) | instid1(SALU_CYCLE_1)
	v_lshlrev_b64 v[1:2], 2, v[1:2]
	s_lshl_b64 s[6:7], s[6:7], 2
	s_add_u32 s6, s26, s6
	s_delay_alu instid0(VALU_DEP_2) | instskip(SKIP_1) | instid1(VALU_DEP_2)
	v_lshlrev_b64 v[3:4], 2, v[3:4]
	s_addc_u32 s7, s25, s7
	v_add_co_u32 v1, vcc_lo, s26, v1
	v_add_co_ci_u32_e32 v2, vcc_lo, s25, v2, vcc_lo
	s_delay_alu instid0(VALU_DEP_3) | instskip(NEXT) | instid1(VALU_DEP_4)
	v_add_co_u32 v3, vcc_lo, s26, v3
	v_add_co_ci_u32_e32 v4, vcc_lo, s25, v4, vcc_lo
	s_clause 0x1
	global_load_b32 v5, v[1:2], off
	global_load_b32 v6, v[3:4], off
	s_or_b32 s8, s12, 32
	s_delay_alu instid0(SALU_CYCLE_1) | instskip(SKIP_2) | instid1(SALU_CYCLE_1)
	s_ashr_i32 s9, s8, 5
	s_cmp_lt_i32 s8, s24
	s_cselect_b32 s8, s9, s3
	s_ashr_i32 s9, s8, 31
	s_delay_alu instid0(SALU_CYCLE_1) | instskip(NEXT) | instid1(SALU_CYCLE_1)
	s_lshl_b64 s[8:9], s[8:9], 2
	s_add_u32 s8, s26, s8
	s_addc_u32 s9, s25, s9
	s_or_b32 s10, s12, 64
	s_delay_alu instid0(SALU_CYCLE_1) | instskip(SKIP_2) | instid1(SALU_CYCLE_1)
	s_ashr_i32 s11, s10, 5
	s_cmp_lt_i32 s10, s24
	s_cselect_b32 s10, s11, s3
	s_ashr_i32 s11, s10, 31
	s_delay_alu instid0(SALU_CYCLE_1) | instskip(NEXT) | instid1(SALU_CYCLE_1)
	s_lshl_b64 s[10:11], s[10:11], 2
	s_add_u32 s10, s26, s10
	s_addc_u32 s11, s25, s11
	;; [unrolled: 10-line block ×5, first 2 shown]
	s_clause 0x5
	s_load_b32 s21, s[6:7], 0x0
	s_load_b32 s13, s[8:9], 0x0
	;; [unrolled: 1-line block ×6, first 2 shown]
	s_or_b32 s9, s12, 0xc0
	s_delay_alu instid0(SALU_CYCLE_1) | instskip(SKIP_2) | instid1(SALU_CYCLE_1)
	s_ashr_i32 s10, s9, 5
	s_cmp_lt_i32 s9, s24
	s_cselect_b32 s36, s10, s3
	s_ashr_i32 s37, s36, 31
	s_delay_alu instid0(SALU_CYCLE_1) | instskip(NEXT) | instid1(SALU_CYCLE_1)
	s_lshl_b64 s[36:37], s[36:37], 2
	s_add_u32 s36, s26, s36
	s_addc_u32 s37, s25, s37
	s_or_b32 s29, s12, 0xe0
	s_delay_alu instid0(SALU_CYCLE_1)
	s_ashr_i32 s30, s29, 5
	s_cmp_lt_i32 s29, s24
	s_waitcnt vmcnt(1)
	v_mad_i64_i32 v[1:2], null, v5, s17, s[4:5]
	s_waitcnt vmcnt(0)
	v_mad_i64_i32 v[3:4], null, v6, s17, s[4:5]
	s_mov_b32 s4, 0
	s_delay_alu instid0(SALU_CYCLE_1)
	s_mov_b32 s5, s4
	s_mov_b32 s6, s4
	;; [unrolled: 1-line block ×7, first 2 shown]
	v_lshlrev_b32_e32 v5, 4, v65
	v_dual_mov_b32 v107, s11 :: v_dual_mov_b32 v102, s6
	v_mov_b32_e32 v106, s10
	v_mov_b32_e32 v104, s8
	s_delay_alu instid0(VALU_DEP_4)
	v_add_co_u32 v1, vcc_lo, v1, v5
	v_add_co_ci_u32_e32 v2, vcc_lo, 0, v2, vcc_lo
	v_add_co_u32 v3, vcc_lo, v3, v5
	v_add_co_ci_u32_e32 v4, vcc_lo, 0, v4, vcc_lo
	s_clause 0x7
	global_load_b128 v[49:52], v[1:2], off
	global_load_b128 v[53:56], v[1:2], off offset:512
	global_load_b128 v[76:79], v[3:4], off offset:256
	;; [unrolled: 1-line block ×7, first 2 shown]
	v_mul_lo_u16 v1, v65, 52
	v_mov_b32_e32 v103, s7
	v_dual_mov_b32 v101, s5 :: v_dual_lshlrev_b32 v2, 5, v65
	v_mov_b32_e32 v100, s4
	s_delay_alu instid0(VALU_DEP_4) | instskip(NEXT) | instid1(VALU_DEP_3)
	v_lshrrev_b16 v1, 8, v1
	v_lshl_or_b32 v2, v66, 9, v2
	s_delay_alu instid0(VALU_DEP_2) | instskip(NEXT) | instid1(VALU_DEP_1)
	v_mul_lo_u16 v1, v1, 5
	v_sub_nc_u16 v1, v65, v1
	s_delay_alu instid0(VALU_DEP_1)
	v_and_b32_e32 v1, 0xff, v1
	v_mov_b32_e32 v105, s9
	s_cselect_b32 s4, s30, s3
	s_load_b32 s3, s[36:37], 0x0
	s_ashr_i32 s5, s4, 31
	v_lshlrev_b32_e32 v70, 6, v1
	s_lshl_b64 s[4:5], s[4:5], 2
	ds_load_b128 v[108:111], v70
	ds_load_b128 v[112:115], v70 offset:1024
	s_add_u32 s4, s26, s4
	s_addc_u32 s5, s25, s5
	s_add_u32 s6, s22, s27
	s_load_b32 s4, s[4:5], 0x0
	s_addc_u32 s7, s23, s28
	v_add_co_u32 v9, s6, s6, v2
	s_delay_alu instid0(VALU_DEP_1) | instskip(SKIP_1) | instid1(VALU_DEP_1)
	v_add_co_ci_u32_e64 v10, null, s7, 0, s6
	s_waitcnt lgkmcnt(0)
	v_mad_i64_i32 v[1:2], null, s21, s17, v[9:10]
	v_mad_i64_i32 v[3:4], null, s13, s17, v[9:10]
	;; [unrolled: 1-line block ×7, first 2 shown]
	s_clause 0x9
	global_load_b128 v[57:60], v[1:2], off
	global_load_b128 v[61:64], v[1:2], off offset:16
	global_load_b128 v[41:44], v[3:4], off
	global_load_b128 v[45:48], v[3:4], off offset:16
	;; [unrolled: 2-line block ×5, first 2 shown]
	v_mad_i64_i32 v[68:69], null, s4, s17, v[9:10]
	s_clause 0x3
	global_load_b128 v[9:12], v[13:14], off
	global_load_b128 v[13:16], v[13:14], off offset:16
	global_load_b128 v[17:20], v[21:22], off
	global_load_b128 v[21:24], v[21:22], off offset:16
	s_waitcnt vmcnt(20)
	v_wmma_f32_16x16x16_bf16 v[116:123], v[49:56], v[108:115], v[100:107]
	s_clause 0x1
	global_load_b128 v[49:52], v[68:69], off
	global_load_b128 v[53:56], v[68:69], off offset:16
	v_and_b32_e32 v68, 0xe0, v0
	v_mbcnt_lo_u32_b32 v69, -1, 0
	s_delay_alu instid0(VALU_DEP_2)
	v_add_nc_u32_e32 v68, s12, v68
	s_waitcnt vmcnt(20)
	v_wmma_f32_16x16x16_bf16 v[100:107], v[76:83], v[108:115], v[100:107]
	ds_load_b128 v[76:79], v70 offset:2048
	ds_load_b128 v[80:83], v70 offset:3072
	v_xor_b32_e32 v70, 16, v69
	s_waitcnt vmcnt(0) lgkmcnt(0)
	v_or_b32_e32 v68, v68, v74
	s_barrier
	buffer_gl0_inv
	v_cmp_gt_i32_e32 vcc_lo, 32, v70
	v_or_b32_e32 v71, 4, v68
	v_or_b32_e32 v72, 6, v68
	v_cmp_gt_i32_e64 s3, s24, v68
	v_or_b32_e32 v108, 8, v68
	v_or_b32_e32 v109, 10, v68
	v_cmp_gt_i32_e64 s4, s24, v71
	v_cmp_gt_i32_e64 s5, s24, v72
	s_delay_alu instid0(VALU_DEP_4) | instskip(NEXT) | instid1(VALU_DEP_4)
	v_cmp_gt_i32_e64 s6, s24, v108
	v_cmp_gt_i32_e64 s7, s24, v109
	v_wmma_f32_16x16x16_bf16 v[116:123], v[84:91], v[76:83], v[116:123]
	v_cndmask_b32_e32 v69, v69, v70, vcc_lo
	v_or_b32_e32 v70, 2, v68
	v_wmma_f32_16x16x16_bf16 v[100:107], v[92:99], v[76:83], v[100:107]
	v_or_b32_e32 v84, 12, v68
	v_dual_mul_f32 v78, s19, v123 :: v_dual_mul_f32 v83, s19, v118
	v_dual_mul_f32 v92, s19, v117 :: v_dual_mul_f32 v93, s19, v116
	s_delay_alu instid0(VALU_DEP_4) | instskip(SKIP_2) | instid1(VALU_DEP_4)
	v_mul_f32_e32 v94, s19, v107
	v_cmp_gt_i32_e32 vcc_lo, s24, v70
	v_dual_mul_f32 v81, s19, v120 :: v_dual_mul_f32 v82, s19, v119
	v_cndmask_b32_e64 v93, 0xff7fffff, v93, s3
	v_or_b32_e32 v85, 14, v68
	v_cndmask_b32_e32 v92, 0xff7fffff, v92, vcc_lo
	v_dual_mul_f32 v79, s19, v122 :: v_dual_mul_f32 v80, s19, v121
	v_cndmask_b32_e64 v71, 0xff7fffff, v83, s4
	v_cndmask_b32_e64 v72, 0xff7fffff, v82, s5
	s_delay_alu instid0(VALU_DEP_4)
	v_max3_f32 v82, v93, 0xff7fffff, v92
	v_or_b32_e32 v86, 16, v68
	v_or_b32_e32 v87, 18, v68
	v_cndmask_b32_e64 v81, 0xff7fffff, v81, s6
	v_cndmask_b32_e64 v80, 0xff7fffff, v80, s7
	v_max3_f32 v71, v82, v71, v72
	v_cmp_gt_i32_e64 s8, s24, v84
	v_cmp_gt_i32_e64 s9, s24, v85
	v_or_b32_e32 v88, 20, v68
	v_or_b32_e32 v89, 22, v68
	;; [unrolled: 1-line block ×6, first 2 shown]
	v_dual_mul_f32 v99, s19, v102 :: v_dual_mul_f32 v70, s19, v101
	v_mul_f32_e32 v68, s19, v100
	v_cndmask_b32_e64 v72, 0xff7fffff, v79, s8
	v_cndmask_b32_e64 v78, 0xff7fffff, v78, s9
	v_max3_f32 v71, v71, v81, v80
	v_cmp_gt_i32_e64 s10, s24, v86
	v_cmp_gt_i32_e64 s11, s24, v87
	v_dual_mul_f32 v97, s19, v104 :: v_dual_mul_f32 v98, s19, v103
	s_delay_alu instid0(VALU_DEP_4) | instskip(SKIP_1) | instid1(VALU_DEP_4)
	v_max3_f32 v71, v71, v72, v78
	v_cmp_gt_i32_e64 s12, s24, v88
	v_cndmask_b32_e64 v70, 0xff7fffff, v70, s11
	v_cmp_gt_i32_e64 s13, s24, v89
	v_lshlrev_b32_e32 v89, 2, v69
	v_cndmask_b32_e64 v68, 0xff7fffff, v68, s10
	v_dual_mul_f32 v95, s19, v106 :: v_dual_mul_f32 v96, s19, v105
	v_cndmask_b32_e64 v72, 0xff7fffff, v99, s12
	v_cndmask_b32_e64 v78, 0xff7fffff, v98, s13
	s_delay_alu instid0(VALU_DEP_4)
	v_max3_f32 v68, v71, v68, v70
	v_cmp_gt_i32_e64 s15, s24, v90
	v_cmp_gt_i32_e64 s16, s24, v91
	;; [unrolled: 1-line block ×4, first 2 shown]
	v_max3_f32 v68, v68, v72, v78
	v_cndmask_b32_e64 v70, 0xff7fffff, v97, s15
	v_cndmask_b32_e64 v71, 0xff7fffff, v96, s16
	;; [unrolled: 1-line block ×4, first 2 shown]
	s_delay_alu instid0(VALU_DEP_3) | instskip(NEXT) | instid1(VALU_DEP_1)
	v_max3_f32 v68, v68, v70, v71
	v_max3_f32 v68, v68, v72, v76
	ds_bpermute_b32 v69, v89, v68
	s_waitcnt lgkmcnt(0)
	v_max_f32_e32 v69, v69, v69
	s_delay_alu instid0(VALU_DEP_1) | instskip(NEXT) | instid1(VALU_DEP_1)
	v_max_f32_e32 v68, v68, v69
	v_fma_f32 v71, s19, v118, -v68
	s_delay_alu instid0(VALU_DEP_1)
	v_mul_f32_e32 v71, 0x3fb8aa3b, v71
	v_fma_f32 v69, s19, v116, -v68
	v_fma_f32 v70, s19, v117, -v68
	;; [unrolled: 1-line block ×4, first 2 shown]
	v_exp_f32_e32 v71, v71
	s_delay_alu instid0(VALU_DEP_3) | instskip(SKIP_2) | instid1(VALU_DEP_3)
	v_dual_mul_f32 v69, 0x3fb8aa3b, v69 :: v_dual_mul_f32 v70, 0x3fb8aa3b, v70
	v_fma_f32 v78, s19, v122, -v68
	v_fma_f32 v81, s19, v105, -v68
	v_exp_f32_e32 v69, v69
	s_delay_alu instid0(VALU_DEP_3) | instskip(SKIP_1) | instid1(VALU_DEP_2)
	v_exp_f32_e32 v70, v70
	v_mul_f32_e32 v77, 0x3fb8aa3b, v76
	v_mul_f32_e32 v81, 0x3fb8aa3b, v81
	s_delay_alu instid0(TRANS32_DEP_3) | instskip(SKIP_1) | instid1(VALU_DEP_3)
	v_cndmask_b32_e64 v83, 0, v71, s4
	v_fma_f32 v71, s19, v123, -v68
	v_exp_f32_e32 v81, v81
	s_delay_alu instid0(TRANS32_DEP_3) | instskip(NEXT) | instid1(TRANS32_DEP_2)
	v_cndmask_b32_e64 v80, 0, v69, s3
	v_cndmask_b32_e32 v76, 0, v70, vcc_lo
	v_fma_f32 v69, s19, v121, -v68
	v_mul_f32_e32 v72, 0x3fb8aa3b, v72
	v_exp_f32_e32 v77, v77
	v_dual_add_f32 v70, 0, v80 :: v_dual_mul_f32 v71, 0x3fb8aa3b, v71
	s_delay_alu instid0(VALU_DEP_3) | instskip(NEXT) | instid1(VALU_DEP_3)
	v_mul_f32_e32 v69, 0x3fb8aa3b, v69
	v_exp_f32_e32 v72, v72
	v_cmp_gt_u32_e64 s3, 16, v67
	s_delay_alu instid0(VALU_DEP_3) | instskip(NEXT) | instid1(VALU_DEP_2)
	v_exp_f32_e32 v71, v71
	v_exp_f32_e32 v69, v69
	v_cndmask_b32_e64 v86, 0, v77, s6
	v_fma_f32 v77, s19, v101, -v68
	v_add_f32_e32 v70, v70, v76
	s_delay_alu instid0(TRANS32_DEP_3) | instskip(SKIP_1) | instid1(VALU_DEP_3)
	v_cndmask_b32_e64 v85, 0, v72, s5
	v_fma_f32 v72, s19, v100, -v68
	v_dual_mul_f32 v77, 0x3fb8aa3b, v77 :: v_dual_add_f32 v70, v70, v83
	s_delay_alu instid0(TRANS32_DEP_2) | instskip(SKIP_1) | instid1(TRANS32_DEP_1)
	v_cndmask_b32_e64 v88, 0, v71, s9
	v_fma_f32 v71, s19, v104, -v68
	v_cndmask_b32_e64 v87, 0, v69, s7
	s_delay_alu instid0(VALU_DEP_4) | instskip(NEXT) | instid1(VALU_DEP_2)
	v_exp_f32_e32 v77, v77
	v_dual_add_f32 v70, v70, v85 :: v_dual_mul_f32 v71, 0x3fb8aa3b, v71
	s_delay_alu instid0(VALU_DEP_1) | instskip(SKIP_2) | instid1(VALU_DEP_3)
	v_dual_mul_f32 v72, 0x3fb8aa3b, v72 :: v_dual_add_f32 v69, v70, v86
	v_mul_f32_e32 v78, 0x3fb8aa3b, v78
	v_fma_f32 v70, s19, v102, -v68
	v_exp_f32_e32 v72, v72
	v_exp_f32_e32 v82, v71
	v_add_f32_e32 v69, v69, v87
	v_exp_f32_e32 v78, v78
	v_mul_f32_e32 v70, 0x3fb8aa3b, v70
	s_delay_alu instid0(VALU_DEP_1) | instskip(SKIP_4) | instid1(VALU_DEP_2)
	v_exp_f32_e32 v79, v70
	v_cndmask_b32_e64 v70, 0, v72, s10
	s_waitcnt_depctr 0xfff
	v_cndmask_b32_e64 v84, 0, v78, s8
	v_fma_f32 v78, s19, v103, -v68
	v_add_f32_e32 v69, v69, v84
	v_cndmask_b32_e64 v71, 0, v79, s12
	s_delay_alu instid0(VALU_DEP_2) | instskip(SKIP_2) | instid1(VALU_DEP_1)
	v_add_f32_e32 v72, v69, v88
	v_cndmask_b32_e64 v69, 0, v77, s11
	v_fma_f32 v77, s19, v106, -v68
	v_dual_mul_f32 v77, 0x3fb8aa3b, v77 :: v_dual_add_f32 v72, v72, v70
	v_mul_f32_e32 v78, 0x3fb8aa3b, v78
	s_delay_alu instid0(VALU_DEP_2) | instskip(NEXT) | instid1(VALU_DEP_2)
	v_exp_f32_e32 v90, v77
	v_add_f32_e32 v79, v72, v69
	s_delay_alu instid0(VALU_DEP_2)
	v_exp_f32_e32 v78, v78
	v_cndmask_b32_e64 v77, 0, v82, s15
	s_waitcnt_depctr 0xfff
	v_cndmask_b32_e64 v72, 0, v78, s13
	v_add_f32_e32 v78, v79, v71
	v_fma_f32 v79, s19, v107, -v68
	s_delay_alu instid0(VALU_DEP_1) | instskip(SKIP_1) | instid1(VALU_DEP_2)
	v_dual_add_f32 v82, v78, v72 :: v_dual_mul_f32 v79, 0x3fb8aa3b, v79
	v_cndmask_b32_e64 v78, 0, v81, s16
	v_add_f32_e32 v81, v82, v77
	s_delay_alu instid0(VALU_DEP_3) | instskip(SKIP_1) | instid1(VALU_DEP_2)
	v_exp_f32_e32 v82, v79
	v_cndmask_b32_e64 v79, 0, v90, s17
	v_add_f32_e32 v81, v81, v78
	s_delay_alu instid0(VALU_DEP_1) | instskip(SKIP_2) | instid1(VALU_DEP_1)
	v_add_f32_e32 v90, v81, v79
	s_waitcnt_depctr 0xfff
	v_cndmask_b32_e64 v81, 0, v82, s18
	v_add_f32_e32 v82, v90, v81
	ds_bpermute_b32 v89, v89, v82
	s_and_saveexec_b32 s4, s3
	s_cbranch_execz .LBB1746_12
; %bb.11:
	v_mul_u32_u24_e32 v67, 0x44, v66
	s_delay_alu instid0(VALU_DEP_1) | instskip(SKIP_1) | instid1(VALU_DEP_1)
	v_lshl_add_u32 v67, v65, 2, v67
	s_waitcnt lgkmcnt(0)
	v_dual_add_f32 v82, v82, v89 :: v_dual_add_nc_u32 v67, 0x4000, v67
	ds_store_2addr_b32 v67, v68, v82 offset1:136
.LBB1746_12:
	s_or_b32 exec_lo, exec_lo, s4
	v_lshlrev_b32_e32 v67, 2, v65
	s_waitcnt lgkmcnt(0)
	s_barrier
	buffer_gl0_inv
	v_cmp_eq_u32_e32 vcc_lo, 1, v66
	v_add_nc_u32_e32 v82, 0x4000, v67
	v_cmp_eq_u32_e64 s4, 2, v66
	v_cmp_eq_u32_e64 s6, 7, v66
	ds_load_2addr_b32 v[89:90], v82 offset1:17
	ds_load_2addr_b32 v[91:92], v82 offset0:34 offset1:51
	ds_load_2addr_b32 v[93:94], v82 offset0:68 offset1:85
	;; [unrolled: 1-line block ×4, first 2 shown]
	s_waitcnt lgkmcnt(4)
	v_max3_f32 v67, v89, 0xff7fffff, v90
	s_waitcnt lgkmcnt(3)
	s_delay_alu instid0(VALU_DEP_1) | instskip(SKIP_1) | instid1(VALU_DEP_1)
	v_max3_f32 v67, v67, v91, v92
	s_waitcnt lgkmcnt(2)
	v_max3_f32 v67, v67, v93, v94
	s_waitcnt lgkmcnt(1)
	s_delay_alu instid0(VALU_DEP_1) | instskip(NEXT) | instid1(VALU_DEP_1)
	v_max3_f32 v67, v67, v95, v96
	v_sub_f32_e32 v93, v93, v67
	s_delay_alu instid0(VALU_DEP_1) | instskip(NEXT) | instid1(VALU_DEP_1)
	v_dual_sub_f32 v68, v89, v67 :: v_dual_mul_f32 v103, 0x3fb8aa3b, v93
	v_mul_f32_e32 v68, 0x3fb8aa3b, v68
	s_delay_alu instid0(VALU_DEP_1)
	v_exp_f32_e32 v100, v68
	v_sub_f32_e32 v68, v92, v67
	v_sub_f32_e32 v99, v90, v67
	ds_load_2addr_b32 v[89:90], v82 offset0:170 offset1:187
	v_dual_mul_f32 v102, 0x3fb8aa3b, v68 :: v_dual_mul_f32 v99, 0x3fb8aa3b, v99
	s_waitcnt lgkmcnt(1)
	v_fma_f32 v68, v100, v97, 0
	s_delay_alu instid0(VALU_DEP_2) | instskip(NEXT) | instid1(VALU_DEP_2)
	v_exp_f32_e32 v102, v102
	v_exp_f32_e32 v99, v99
	s_waitcnt_depctr 0xfff
	v_fmac_f32_e32 v68, v99, v98
	v_sub_f32_e32 v91, v91, v67
	s_delay_alu instid0(VALU_DEP_1)
	v_mul_f32_e32 v101, 0x3fb8aa3b, v91
	ds_load_2addr_b32 v[91:92], v82 offset0:204 offset1:221
	v_sub_f32_e32 v97, v94, v67
	ds_load_2addr_b32 v[93:94], v82 offset0:238 offset1:255
	s_waitcnt lgkmcnt(0)
	v_exp_f32_e32 v101, v101
	s_barrier
	buffer_gl0_inv
	v_dual_fmac_f32 v68, v101, v89 :: v_dual_sub_f32 v89, v96, v67
	v_dual_sub_f32 v82, v95, v67 :: v_dual_mul_f32 v95, 0x3fb8aa3b, v97
	v_exp_f32_e32 v97, v103
	s_delay_alu instid0(VALU_DEP_2) | instskip(NEXT) | instid1(VALU_DEP_2)
	v_dual_fmac_f32 v68, v102, v90 :: v_dual_mul_f32 v89, 0x3fb8aa3b, v89
	v_mul_f32_e32 v82, 0x3fb8aa3b, v82
	s_delay_alu instid0(VALU_DEP_3) | instskip(NEXT) | instid1(VALU_DEP_2)
	v_exp_f32_e32 v95, v95
	v_exp_f32_e32 v89, v89
	s_delay_alu instid0(VALU_DEP_1)
	v_exp_f32_e32 v82, v82
	v_fmac_f32_e32 v68, v97, v91
	s_delay_alu instid0(TRANS32_DEP_3) | instid1(VALU_DEP_1)
	v_fmac_f32_e32 v68, v95, v92
	s_waitcnt_depctr 0xfff
	v_fmac_f32_e32 v68, v82, v93
	s_delay_alu instid0(VALU_DEP_1) | instskip(NEXT) | instid1(VALU_DEP_1)
	v_fmac_f32_e32 v68, v89, v94
	v_add_f32_e32 v90, 0x358637bd, v68
	s_delay_alu instid0(VALU_DEP_1) | instskip(NEXT) | instid1(VALU_DEP_1)
	v_div_scale_f32 v91, null, v90, v90, 1.0
	v_rcp_f32_e32 v92, v91
	s_waitcnt_depctr 0xfff
	v_fma_f32 v93, -v91, v92, 1.0
	s_delay_alu instid0(VALU_DEP_1) | instskip(SKIP_1) | instid1(VALU_DEP_2)
	v_dual_fmac_f32 v92, v93, v92 :: v_dual_cndmask_b32 v93, v100, v99
	v_cmp_eq_u32_e32 vcc_lo, 3, v66
	v_cndmask_b32_e64 v93, v93, v101, s4
	v_cmp_eq_u32_e64 s4, 4, v66
	s_delay_alu instid0(VALU_DEP_2) | instskip(SKIP_1) | instid1(VALU_DEP_2)
	v_cndmask_b32_e32 v93, v93, v102, vcc_lo
	v_cmp_eq_u32_e32 vcc_lo, 5, v66
	v_cndmask_b32_e64 v93, v93, v97, s4
	v_cmp_eq_u32_e64 s4, 6, v66
	s_delay_alu instid0(VALU_DEP_2) | instskip(SKIP_1) | instid1(VALU_DEP_1)
	v_cndmask_b32_e32 v93, v93, v95, vcc_lo
	v_div_scale_f32 v94, s5, 1.0, v90, 1.0
	s_mov_b32 vcc_lo, s5
	s_delay_alu instid0(VALU_DEP_2) | instskip(NEXT) | instid1(VALU_DEP_2)
	v_cndmask_b32_e64 v82, v93, v82, s4
	v_mul_f32_e32 v96, v94, v92
	s_mov_b32 s4, exec_lo
	s_delay_alu instid0(VALU_DEP_2) | instskip(NEXT) | instid1(VALU_DEP_2)
	v_cndmask_b32_e64 v82, v82, v89, s6
	v_fma_f32 v98, -v91, v96, v94
	s_delay_alu instid0(VALU_DEP_1) | instskip(NEXT) | instid1(VALU_DEP_1)
	v_fmac_f32_e32 v96, v98, v92
	v_fma_f32 v91, -v91, v96, v94
	s_delay_alu instid0(VALU_DEP_1) | instskip(NEXT) | instid1(VALU_DEP_1)
	v_div_fmas_f32 v91, v91, v92, v96
	v_div_fixup_f32 v90, v91, v90, 1.0
	s_delay_alu instid0(VALU_DEP_1) | instskip(NEXT) | instid1(VALU_DEP_1)
	v_mul_f32_e32 v82, v82, v90
	v_mul_f32_e32 v87, v82, v87
	;; [unrolled: 1-line block ×7, first 2 shown]
	v_dual_mul_f32 v86, v82, v83 :: v_dual_and_b32 v91, 0x7f800000, v90
	v_mul_f32_e32 v85, v82, v76
                                        ; implicit-def: $vgpr76
	s_delay_alu instid0(VALU_DEP_2)
	v_cmpx_ne_u32_e32 0x7f800000, v91
	s_xor_b32 s4, exec_lo, s4
; %bb.13:
	v_bfe_u32 v76, v90, 16, 1
	s_delay_alu instid0(VALU_DEP_1)
	v_add3_u32 v76, v90, v76, 0x7fff
                                        ; implicit-def: $vgpr90
; %bb.14:
	s_and_not1_saveexec_b32 s4, s4
; %bb.15:
	v_and_b32_e32 v76, 0xffff, v90
	v_or_b32_e32 v83, 0x10000, v90
	s_delay_alu instid0(VALU_DEP_2) | instskip(NEXT) | instid1(VALU_DEP_2)
	v_cmp_eq_u32_e32 vcc_lo, 0, v76
	v_cndmask_b32_e32 v76, v83, v90, vcc_lo
; %bb.16:
	s_or_b32 exec_lo, exec_lo, s4
	v_and_b32_e32 v83, 0x7f800000, v85
	s_delay_alu instid0(VALU_DEP_1) | instskip(SKIP_1) | instid1(SALU_CYCLE_1)
	v_cmp_ne_u32_e32 vcc_lo, 0x7f800000, v83
                                        ; implicit-def: $vgpr83
	s_and_saveexec_b32 s4, vcc_lo
	s_xor_b32 s4, exec_lo, s4
; %bb.17:
	v_bfe_u32 v83, v85, 16, 1
	s_delay_alu instid0(VALU_DEP_1)
	v_add3_u32 v83, v85, v83, 0x7fff
                                        ; implicit-def: $vgpr85
; %bb.18:
	s_and_not1_saveexec_b32 s4, s4
; %bb.19:
	v_and_b32_e32 v83, 0xffff, v85
	v_or_b32_e32 v90, 0x10000, v85
	s_delay_alu instid0(VALU_DEP_2) | instskip(NEXT) | instid1(VALU_DEP_2)
	v_cmp_eq_u32_e32 vcc_lo, 0, v83
	v_cndmask_b32_e32 v83, v90, v85, vcc_lo
; %bb.20:
	s_or_b32 exec_lo, exec_lo, s4
	v_and_b32_e32 v85, 0x7f800000, v86
	s_delay_alu instid0(VALU_DEP_1) | instskip(SKIP_1) | instid1(SALU_CYCLE_1)
	v_cmp_ne_u32_e32 vcc_lo, 0x7f800000, v85
                                        ; implicit-def: $vgpr85
	s_and_saveexec_b32 s4, vcc_lo
	s_xor_b32 s4, exec_lo, s4
; %bb.21:
	v_bfe_u32 v85, v86, 16, 1
	s_delay_alu instid0(VALU_DEP_1)
	v_add3_u32 v85, v86, v85, 0x7fff
                                        ; implicit-def: $vgpr86
; %bb.22:
	s_and_not1_saveexec_b32 s4, s4
; %bb.23:
	v_and_b32_e32 v85, 0xffff, v86
	v_or_b32_e32 v90, 0x10000, v86
	s_delay_alu instid0(VALU_DEP_2) | instskip(NEXT) | instid1(VALU_DEP_2)
	v_cmp_eq_u32_e32 vcc_lo, 0, v85
	v_cndmask_b32_e32 v85, v90, v86, vcc_lo
; %bb.24:
	s_or_b32 exec_lo, exec_lo, s4
	v_and_b32_e32 v86, 0x7f800000, v89
	s_delay_alu instid0(VALU_DEP_1) | instskip(SKIP_1) | instid1(SALU_CYCLE_1)
	v_cmp_ne_u32_e32 vcc_lo, 0x7f800000, v86
                                        ; implicit-def: $vgpr86
	s_and_saveexec_b32 s4, vcc_lo
	s_xor_b32 s4, exec_lo, s4
; %bb.25:
	v_bfe_u32 v86, v89, 16, 1
	s_delay_alu instid0(VALU_DEP_1)
	v_add3_u32 v86, v89, v86, 0x7fff
                                        ; implicit-def: $vgpr89
; %bb.26:
	s_and_not1_saveexec_b32 s4, s4
; %bb.27:
	v_and_b32_e32 v86, 0xffff, v89
	v_or_b32_e32 v90, 0x10000, v89
	s_delay_alu instid0(VALU_DEP_2) | instskip(NEXT) | instid1(VALU_DEP_2)
	v_cmp_eq_u32_e32 vcc_lo, 0, v86
	v_cndmask_b32_e32 v86, v90, v89, vcc_lo
; %bb.28:
	s_or_b32 exec_lo, exec_lo, s4
	v_and_b32_e32 v89, 0x7f800000, v88
	s_delay_alu instid0(VALU_DEP_1) | instskip(SKIP_1) | instid1(SALU_CYCLE_1)
	v_cmp_ne_u32_e32 vcc_lo, 0x7f800000, v89
                                        ; implicit-def: $vgpr89
	s_and_saveexec_b32 s4, vcc_lo
	s_xor_b32 s4, exec_lo, s4
; %bb.29:
	v_bfe_u32 v89, v88, 16, 1
	s_delay_alu instid0(VALU_DEP_1)
	v_add3_u32 v89, v88, v89, 0x7fff
                                        ; implicit-def: $vgpr88
; %bb.30:
	s_and_not1_saveexec_b32 s4, s4
; %bb.31:
	v_and_b32_e32 v89, 0xffff, v88
	v_or_b32_e32 v90, 0x10000, v88
	s_delay_alu instid0(VALU_DEP_2) | instskip(NEXT) | instid1(VALU_DEP_2)
	v_cmp_eq_u32_e32 vcc_lo, 0, v89
	v_cndmask_b32_e32 v89, v90, v88, vcc_lo
; %bb.32:
	s_or_b32 exec_lo, exec_lo, s4
	v_and_b32_e32 v88, 0x7f800000, v87
	s_delay_alu instid0(VALU_DEP_1) | instskip(SKIP_1) | instid1(SALU_CYCLE_1)
	v_cmp_ne_u32_e32 vcc_lo, 0x7f800000, v88
                                        ; implicit-def: $vgpr88
	s_and_saveexec_b32 s4, vcc_lo
	s_xor_b32 s4, exec_lo, s4
; %bb.33:
	v_bfe_u32 v88, v87, 16, 1
	s_delay_alu instid0(VALU_DEP_1)
	v_add3_u32 v88, v87, v88, 0x7fff
                                        ; implicit-def: $vgpr87
; %bb.34:
	s_and_not1_saveexec_b32 s4, s4
; %bb.35:
	v_and_b32_e32 v88, 0xffff, v87
	v_or_b32_e32 v90, 0x10000, v87
	s_delay_alu instid0(VALU_DEP_2) | instskip(NEXT) | instid1(VALU_DEP_2)
	v_cmp_eq_u32_e32 vcc_lo, 0, v88
	v_cndmask_b32_e32 v88, v90, v87, vcc_lo
; %bb.36:
	s_or_b32 exec_lo, exec_lo, s4
	v_and_b32_e32 v87, 0x7f800000, v84
	s_delay_alu instid0(VALU_DEP_1) | instskip(SKIP_1) | instid1(SALU_CYCLE_1)
	v_cmp_ne_u32_e32 vcc_lo, 0x7f800000, v87
                                        ; implicit-def: $vgpr87
	s_and_saveexec_b32 s4, vcc_lo
	s_xor_b32 s4, exec_lo, s4
; %bb.37:
	v_bfe_u32 v87, v84, 16, 1
	s_delay_alu instid0(VALU_DEP_1)
	v_add3_u32 v87, v84, v87, 0x7fff
                                        ; implicit-def: $vgpr84
; %bb.38:
	s_and_not1_saveexec_b32 s4, s4
; %bb.39:
	v_and_b32_e32 v87, 0xffff, v84
	v_or_b32_e32 v90, 0x10000, v84
	s_delay_alu instid0(VALU_DEP_2) | instskip(NEXT) | instid1(VALU_DEP_2)
	v_cmp_eq_u32_e32 vcc_lo, 0, v87
	v_cndmask_b32_e32 v87, v90, v84, vcc_lo
; %bb.40:
	s_or_b32 exec_lo, exec_lo, s4
	v_and_b32_e32 v84, 0x7f800000, v80
	s_delay_alu instid0(VALU_DEP_1) | instskip(SKIP_1) | instid1(SALU_CYCLE_1)
	v_cmp_ne_u32_e32 vcc_lo, 0x7f800000, v84
                                        ; implicit-def: $vgpr84
	s_and_saveexec_b32 s4, vcc_lo
	s_xor_b32 s4, exec_lo, s4
; %bb.41:
	v_bfe_u32 v84, v80, 16, 1
	s_delay_alu instid0(VALU_DEP_1)
	v_add3_u32 v84, v80, v84, 0x7fff
                                        ; implicit-def: $vgpr80
; %bb.42:
	s_and_not1_saveexec_b32 s4, s4
; %bb.43:
	v_and_b32_e32 v84, 0xffff, v80
	v_or_b32_e32 v90, 0x10000, v80
	s_delay_alu instid0(VALU_DEP_2) | instskip(NEXT) | instid1(VALU_DEP_2)
	v_cmp_eq_u32_e32 vcc_lo, 0, v84
	v_cndmask_b32_e32 v84, v90, v80, vcc_lo
; %bb.44:
	s_or_b32 exec_lo, exec_lo, s4
	s_load_b64 s[36:37], s[0:1], 0x94
	v_lshlrev_b32_e32 v91, 4, v74
	s_delay_alu instid0(VALU_DEP_2)
	v_perm_b32 v90, v84, v87, 0x7060302
	v_dual_mul_f32 v79, v82, v79 :: v_dual_lshlrev_b32 v80, 6, v65
	v_dual_mul_f32 v77, v82, v77 :: v_dual_lshlrev_b32 v92, 11, v66
	v_mul_f32_e32 v84, v82, v70
	v_perm_b32 v89, v88, v89, 0x7060302
	v_perm_b32 v88, v86, v85, 0x7060302
	;; [unrolled: 1-line block ×3, first 2 shown]
	v_mul_f32_e32 v70, v82, v81
	v_or3_b32 v76, v91, v92, v80
	v_dual_mul_f32 v78, v82, v78 :: v_dual_and_b32 v85, 0x7f800000, v84
	v_mul_f32_e32 v83, v82, v72
	v_mul_f32_e32 v81, v82, v71
	;; [unrolled: 1-line block ×3, first 2 shown]
	s_mov_b32 s4, exec_lo
	ds_store_b128 v76, v[87:90]
                                        ; implicit-def: $vgpr69
	v_cmpx_ne_u32_e32 0x7f800000, v85
	s_xor_b32 s4, exec_lo, s4
; %bb.45:
	v_bfe_u32 v69, v84, 16, 1
	s_delay_alu instid0(VALU_DEP_1)
	v_add3_u32 v69, v84, v69, 0x7fff
                                        ; implicit-def: $vgpr84
; %bb.46:
	s_and_not1_saveexec_b32 s4, s4
; %bb.47:
	v_and_b32_e32 v69, 0xffff, v84
	v_or_b32_e32 v71, 0x10000, v84
	s_delay_alu instid0(VALU_DEP_2) | instskip(NEXT) | instid1(VALU_DEP_2)
	v_cmp_eq_u32_e32 vcc_lo, 0, v69
	v_cndmask_b32_e32 v69, v71, v84, vcc_lo
; %bb.48:
	s_or_b32 exec_lo, exec_lo, s4
	v_and_b32_e32 v71, 0x7f800000, v72
	s_delay_alu instid0(VALU_DEP_1) | instskip(SKIP_1) | instid1(SALU_CYCLE_1)
	v_cmp_ne_u32_e32 vcc_lo, 0x7f800000, v71
                                        ; implicit-def: $vgpr71
	s_and_saveexec_b32 s4, vcc_lo
	s_xor_b32 s4, exec_lo, s4
; %bb.49:
	v_bfe_u32 v71, v72, 16, 1
	s_delay_alu instid0(VALU_DEP_1)
	v_add3_u32 v71, v72, v71, 0x7fff
                                        ; implicit-def: $vgpr72
; %bb.50:
	s_and_not1_saveexec_b32 s4, s4
; %bb.51:
	v_and_b32_e32 v71, 0xffff, v72
	v_or_b32_e32 v82, 0x10000, v72
	s_delay_alu instid0(VALU_DEP_2) | instskip(NEXT) | instid1(VALU_DEP_2)
	v_cmp_eq_u32_e32 vcc_lo, 0, v71
	v_cndmask_b32_e32 v71, v82, v72, vcc_lo
; %bb.52:
	s_or_b32 exec_lo, exec_lo, s4
	v_and_b32_e32 v72, 0x7f800000, v81
	s_delay_alu instid0(VALU_DEP_1) | instskip(SKIP_1) | instid1(SALU_CYCLE_1)
	v_cmp_ne_u32_e32 vcc_lo, 0x7f800000, v72
                                        ; implicit-def: $vgpr72
	s_and_saveexec_b32 s4, vcc_lo
	s_xor_b32 s4, exec_lo, s4
; %bb.53:
	v_bfe_u32 v72, v81, 16, 1
	s_delay_alu instid0(VALU_DEP_1)
	v_add3_u32 v72, v81, v72, 0x7fff
                                        ; implicit-def: $vgpr81
; %bb.54:
	s_and_not1_saveexec_b32 s4, s4
; %bb.55:
	v_and_b32_e32 v72, 0xffff, v81
	v_or_b32_e32 v82, 0x10000, v81
	s_delay_alu instid0(VALU_DEP_2) | instskip(NEXT) | instid1(VALU_DEP_2)
	v_cmp_eq_u32_e32 vcc_lo, 0, v72
	v_cndmask_b32_e32 v72, v82, v81, vcc_lo
; %bb.56:
	s_or_b32 exec_lo, exec_lo, s4
	v_and_b32_e32 v81, 0x7f800000, v83
	s_delay_alu instid0(VALU_DEP_1) | instskip(SKIP_1) | instid1(SALU_CYCLE_1)
	v_cmp_ne_u32_e32 vcc_lo, 0x7f800000, v81
                                        ; implicit-def: $vgpr81
	s_and_saveexec_b32 s4, vcc_lo
	s_xor_b32 s4, exec_lo, s4
; %bb.57:
	v_bfe_u32 v81, v83, 16, 1
	s_delay_alu instid0(VALU_DEP_1)
	v_add3_u32 v81, v83, v81, 0x7fff
                                        ; implicit-def: $vgpr83
; %bb.58:
	s_and_not1_saveexec_b32 s4, s4
; %bb.59:
	v_and_b32_e32 v81, 0xffff, v83
	v_or_b32_e32 v82, 0x10000, v83
	s_delay_alu instid0(VALU_DEP_2) | instskip(NEXT) | instid1(VALU_DEP_2)
	v_cmp_eq_u32_e32 vcc_lo, 0, v81
	v_cndmask_b32_e32 v81, v82, v83, vcc_lo
; %bb.60:
	s_or_b32 exec_lo, exec_lo, s4
	v_and_b32_e32 v82, 0x7f800000, v77
	s_delay_alu instid0(VALU_DEP_1) | instskip(SKIP_1) | instid1(SALU_CYCLE_1)
	v_cmp_ne_u32_e32 vcc_lo, 0x7f800000, v82
                                        ; implicit-def: $vgpr82
	s_and_saveexec_b32 s4, vcc_lo
	s_xor_b32 s4, exec_lo, s4
; %bb.61:
	v_bfe_u32 v82, v77, 16, 1
	s_delay_alu instid0(VALU_DEP_1)
	v_add3_u32 v82, v77, v82, 0x7fff
                                        ; implicit-def: $vgpr77
; %bb.62:
	s_and_not1_saveexec_b32 s4, s4
; %bb.63:
	v_and_b32_e32 v82, 0xffff, v77
	v_or_b32_e32 v83, 0x10000, v77
	s_delay_alu instid0(VALU_DEP_2) | instskip(NEXT) | instid1(VALU_DEP_2)
	v_cmp_eq_u32_e32 vcc_lo, 0, v82
	v_cndmask_b32_e32 v82, v83, v77, vcc_lo
; %bb.64:
	s_or_b32 exec_lo, exec_lo, s4
	v_and_b32_e32 v77, 0x7f800000, v78
	s_delay_alu instid0(VALU_DEP_1) | instskip(SKIP_1) | instid1(SALU_CYCLE_1)
	v_cmp_ne_u32_e32 vcc_lo, 0x7f800000, v77
                                        ; implicit-def: $vgpr77
	s_and_saveexec_b32 s4, vcc_lo
	s_xor_b32 s4, exec_lo, s4
; %bb.65:
	v_bfe_u32 v77, v78, 16, 1
	s_delay_alu instid0(VALU_DEP_1)
	v_add3_u32 v77, v78, v77, 0x7fff
                                        ; implicit-def: $vgpr78
; %bb.66:
	s_and_not1_saveexec_b32 s4, s4
; %bb.67:
	v_and_b32_e32 v77, 0xffff, v78
	v_or_b32_e32 v83, 0x10000, v78
	s_delay_alu instid0(VALU_DEP_2) | instskip(NEXT) | instid1(VALU_DEP_2)
	v_cmp_eq_u32_e32 vcc_lo, 0, v77
	v_cndmask_b32_e32 v77, v83, v78, vcc_lo
; %bb.68:
	s_or_b32 exec_lo, exec_lo, s4
	v_and_b32_e32 v78, 0x7f800000, v79
	s_delay_alu instid0(VALU_DEP_1) | instskip(SKIP_1) | instid1(SALU_CYCLE_1)
	v_cmp_ne_u32_e32 vcc_lo, 0x7f800000, v78
                                        ; implicit-def: $vgpr78
	s_and_saveexec_b32 s4, vcc_lo
	s_xor_b32 s4, exec_lo, s4
; %bb.69:
	v_bfe_u32 v78, v79, 16, 1
	s_delay_alu instid0(VALU_DEP_1)
	v_add3_u32 v78, v79, v78, 0x7fff
                                        ; implicit-def: $vgpr79
; %bb.70:
	s_and_not1_saveexec_b32 s4, s4
; %bb.71:
	v_and_b32_e32 v78, 0xffff, v79
	v_or_b32_e32 v83, 0x10000, v79
	s_delay_alu instid0(VALU_DEP_2) | instskip(NEXT) | instid1(VALU_DEP_2)
	v_cmp_eq_u32_e32 vcc_lo, 0, v78
	v_cndmask_b32_e32 v78, v83, v79, vcc_lo
; %bb.72:
	s_or_b32 exec_lo, exec_lo, s4
	v_and_b32_e32 v79, 0x7f800000, v70
	s_delay_alu instid0(VALU_DEP_1) | instskip(SKIP_1) | instid1(SALU_CYCLE_1)
	v_cmp_ne_u32_e32 vcc_lo, 0x7f800000, v79
                                        ; implicit-def: $vgpr79
	s_and_saveexec_b32 s4, vcc_lo
	s_xor_b32 s4, exec_lo, s4
; %bb.73:
	v_bfe_u32 v79, v70, 16, 1
	s_delay_alu instid0(VALU_DEP_1)
	v_add3_u32 v79, v70, v79, 0x7fff
                                        ; implicit-def: $vgpr70
; %bb.74:
	s_and_not1_saveexec_b32 s4, s4
; %bb.75:
	v_and_b32_e32 v79, 0xffff, v70
	v_or_b32_e32 v83, 0x10000, v70
	s_delay_alu instid0(VALU_DEP_2) | instskip(NEXT) | instid1(VALU_DEP_2)
	v_cmp_eq_u32_e32 vcc_lo, 0, v79
	v_cndmask_b32_e32 v79, v83, v70, vcc_lo
; %bb.76:
	s_or_b32 exec_lo, exec_lo, s4
	s_delay_alu instid0(VALU_DEP_1)
	v_perm_b32 v86, v79, v78, 0x7060302
	v_perm_b32 v85, v77, v82, 0x7060302
	;; [unrolled: 1-line block ×4, first 2 shown]
	v_lshl_or_b32 v82, v66, 11, v80
	ds_store_b128 v76, v[83:86] offset:1024
	s_waitcnt lgkmcnt(0)
	s_barrier
	buffer_gl0_inv
	ds_load_b128 v[69:72], v82
	ds_load_b128 v[83:86], v82 offset:16
	s_waitcnt lgkmcnt(1)
	v_lshrrev_b32_e32 v66, 16, v69
	s_waitcnt lgkmcnt(0)
	v_lshrrev_b32_e32 v91, 16, v83
	v_lshlrev_b32_e32 v78, 2, v74
	v_lshrrev_b32_e32 v95, 16, v70
	v_lshrrev_b32_e32 v98, 16, v84
	;; [unrolled: 1-line block ×4, first 2 shown]
	v_cmp_eq_u32_e32 vcc_lo, 1, v78
	v_lshrrev_b32_e32 v97, 16, v72
	v_lshrrev_b32_e32 v100, 16, v86
	v_cndmask_b32_e32 v87, v83, v91, vcc_lo
	v_or_b32_e32 v79, 1, v78
	v_cndmask_b32_e32 v81, v69, v66, vcc_lo
	v_cmp_eq_u32_e64 s5, 2, v78
	v_cmp_eq_u32_e64 s8, 3, v78
	;; [unrolled: 1-line block ×5, first 2 shown]
	v_cndmask_b32_e64 v81, v81, v70, s5
	v_cndmask_b32_e64 v87, v87, v84, s5
	v_cmp_eq_u32_e64 s9, 3, v79
	v_cndmask_b32_e64 v88, v69, v66, s4
	v_or_b32_e32 v77, 2, v78
	v_cndmask_b32_e64 v81, v81, v95, s8
	v_cndmask_b32_e64 v87, v87, v98, s8
	v_cndmask_b32_e64 v89, v83, v91, s4
	v_cndmask_b32_e64 v88, v88, v70, s7
	v_cmp_eq_u32_e64 s11, 5, v78
	v_cndmask_b32_e64 v81, v81, v71, s10
	v_cndmask_b32_e64 v87, v87, v85, s10
	v_cmp_eq_u32_e64 s12, 4, v79
	v_cndmask_b32_e64 v88, v88, v95, s9
	v_cmp_eq_u32_e64 s6, 1, v77
	v_cndmask_b32_e64 v89, v89, v84, s7
	v_cndmask_b32_e64 v81, v81, v96, s11
	v_cmp_eq_u32_e64 s13, 6, v78
	v_cndmask_b32_e64 v88, v88, v71, s12
	;; [unrolled: 3-line block ×3, first 2 shown]
	v_cndmask_b32_e64 v89, v89, v98, s9
	v_cndmask_b32_e64 v81, v81, v72, s13
	v_cmp_eq_u32_e64 s16, 7, v78
	v_cndmask_b32_e64 v88, v88, v96, s15
	v_cndmask_b32_e64 v87, v87, v86, s13
	v_cmp_eq_u32_e64 s17, 6, v79
	v_cmp_eq_u32_e64 s18, 2, v77
	v_cndmask_b32_e64 v89, v89, v85, s12
	v_cndmask_b32_e64 v101, v81, v97, s16
	;; [unrolled: 1-line block ×6, first 2 shown]
	v_cmp_eq_u32_e64 s19, 7, v79
	v_cmp_eq_u32_e64 s20, 3, v77
	;; [unrolled: 1-line block ×4, first 2 shown]
	v_cndmask_b32_e64 v87, v87, v84, s18
	v_cndmask_b32_e64 v103, v88, v97, s19
	;; [unrolled: 1-line block ×4, first 2 shown]
	v_or_b32_e32 v81, 3, v78
	v_cndmask_b32_e64 v93, v87, v98, s20
	v_cmp_eq_u32_e64 s25, 6, v77
	v_cndmask_b32_e64 v104, v88, v86, s17
	v_cndmask_b32_e64 v92, v89, v71, s21
	v_cmp_eq_u32_e64 s22, 1, v81
	ds_load_b128 v[87:90], v82 offset:1024
	v_cmp_eq_u32_e64 s24, 2, v81
	v_cmp_eq_u32_e64 s26, 3, v81
	v_cndmask_b32_e64 v105, v92, v96, s23
	v_cndmask_b32_e64 v66, v69, v66, s22
	;; [unrolled: 1-line block ×4, first 2 shown]
	ds_load_b128 v[91:94], v82 offset:1040
	v_cmp_eq_u32_e64 s27, 4, v81
	v_cndmask_b32_e64 v66, v66, v70, s24
	v_cmp_eq_u32_e64 s28, 7, v77
	v_cndmask_b32_e64 v70, v83, v84, s24
	v_cndmask_b32_e64 v84, v105, v72, s25
	v_cmp_eq_u32_e64 s29, 5, v81
	v_cndmask_b32_e64 v66, v66, v95, s26
	v_cmp_eq_u32_e64 s30, 6, v81
	v_cndmask_b32_e64 v70, v70, v98, s26
	v_cndmask_b32_e64 v69, v69, v99, s23
	;; [unrolled: 1-line block ×4, first 2 shown]
	s_waitcnt lgkmcnt(1)
	v_lshrrev_b32_e32 v95, 16, v87
	v_cndmask_b32_e64 v70, v70, v85, s27
	v_cndmask_b32_e64 v71, v84, v97, s28
	;; [unrolled: 1-line block ×4, first 2 shown]
	v_cndmask_b32_e32 v84, v87, v95, vcc_lo
	v_cndmask_b32_e64 v70, v70, v99, s29
	s_waitcnt lgkmcnt(0)
	v_lshrrev_b32_e32 v85, 16, v91
	v_lshrrev_b32_e32 v96, 16, v88
	v_cndmask_b32_e64 v98, v87, v95, s4
	v_cndmask_b32_e64 v84, v84, v88, s5
	;; [unrolled: 1-line block ×3, first 2 shown]
	v_cndmask_b32_e32 v99, v91, v85, vcc_lo
	v_cmp_eq_u32_e32 vcc_lo, 7, v81
	v_cndmask_b32_e64 v66, v66, v72, s30
	v_cndmask_b32_e64 v72, v84, v96, s8
	v_cndmask_b32_e64 v84, v98, v88, s7
	v_lshrrev_b32_e32 v98, 16, v92
	v_cndmask_b32_e32 v70, v70, v100, vcc_lo
	v_cndmask_b32_e64 v86, v99, v92, s5
	v_cndmask_b32_e64 v69, v69, v100, s28
	v_lshrrev_b32_e32 v100, 16, v93
	v_cndmask_b32_e64 v72, v72, v89, s10
	v_lshrrev_b32_e32 v99, 16, v89
	v_cndmask_b32_e64 v86, v86, v98, s8
	v_perm_b32 v71, v69, v71, 0x5040100
	v_cndmask_b32_e64 v84, v84, v96, s9
	s_delay_alu instid0(VALU_DEP_3) | instskip(NEXT) | instid1(VALU_DEP_2)
	v_cndmask_b32_e64 v86, v86, v93, s10
	v_cndmask_b32_e64 v84, v84, v89, s12
	s_delay_alu instid0(VALU_DEP_2) | instskip(NEXT) | instid1(VALU_DEP_1)
	v_cndmask_b32_e64 v86, v86, v100, s11
	v_cndmask_b32_e64 v69, v86, v94, s13
	;; [unrolled: 1-line block ×5, first 2 shown]
	s_delay_alu instid0(VALU_DEP_3) | instskip(NEXT) | instid1(VALU_DEP_3)
	v_cndmask_b32_e64 v86, v86, v88, s18
	v_cndmask_b32_e64 v87, v87, v88, s24
	s_delay_alu instid0(VALU_DEP_3) | instskip(NEXT) | instid1(VALU_DEP_3)
	v_cndmask_b32_e64 v88, v95, v92, s24
	v_cndmask_b32_e64 v86, v86, v96, s20
	;; [unrolled: 3-line block ×7, first 2 shown]
	s_delay_alu instid0(VALU_DEP_3) | instskip(SKIP_2) | instid1(VALU_DEP_2)
	v_cndmask_b32_e64 v88, v88, v94, s30
	v_cndmask_b32_e32 v66, v66, v97, vcc_lo
	v_cndmask_b32_e64 v97, v72, v99, s11
	v_perm_b32 v72, v70, v66, 0x5040100
	v_perm_b32 v70, v83, v103, 0x5040100
	v_cndmask_b32_e64 v103, v91, v85, s6
	v_cndmask_b32_e64 v85, v91, v85, s4
	;; [unrolled: 1-line block ×4, first 2 shown]
	v_lshrrev_b32_e32 v97, 16, v90
	v_cndmask_b32_e64 v91, v103, v92, s18
	v_cndmask_b32_e64 v85, v85, v92, s7
	;; [unrolled: 1-line block ×3, first 2 shown]
	s_mov_b32 s4, exec_lo
	v_cndmask_b32_e64 v83, v84, v97, s16
	v_cndmask_b32_e64 v91, v91, v98, s20
	;; [unrolled: 1-line block ×3, first 2 shown]
	v_lshrrev_b32_e32 v84, 16, v94
	v_cndmask_b32_e64 v66, v66, v97, s19
	v_cndmask_b32_e64 v90, v86, v97, s28
	;; [unrolled: 1-line block ×4, first 2 shown]
	v_dual_cndmask_b32 v86, v87, v97 :: v_dual_cndmask_b32 v87, v88, v84
	v_cndmask_b32_e64 v91, v69, v84, s16
	s_delay_alu instid0(VALU_DEP_4) | instskip(NEXT) | instid1(VALU_DEP_4)
	v_cndmask_b32_e64 v89, v89, v100, s23
	v_cndmask_b32_e64 v85, v85, v100, s15
	v_perm_b32 v69, v102, v101, 0x5040100
	v_perm_b32 v86, v87, v86, 0x5040100
	;; [unrolled: 1-line block ×3, first 2 shown]
	v_cndmask_b32_e64 v89, v89, v94, s25
	v_cndmask_b32_e64 v85, v85, v94, s17
	s_mul_i32 s9, s37, 5
	s_delay_alu instid0(VALU_DEP_2) | instskip(NEXT) | instid1(VALU_DEP_2)
	v_cndmask_b32_e64 v88, v89, v84, s28
	v_cndmask_b32_e64 v89, v85, v84, s19
	s_delay_alu instid0(VALU_DEP_2) | instskip(NEXT) | instid1(VALU_DEP_2)
	v_perm_b32 v85, v88, v90, 0x5040100
	v_perm_b32 v84, v89, v66, 0x5040100
	ds_store_b128 v76, v[69:72]
	ds_store_b128 v76, v[83:86] offset:1024
	v_cmpx_gt_u32_e32 5, v0
	s_cbranch_execz .LBB1746_78
; %bb.77:
	s_mul_i32 s5, s9, s34
	s_load_b128 s[16:19], s[0:1], 0x58
	v_add3_u32 v69, s5, s31, v65
	s_delay_alu instid0(VALU_DEP_1) | instskip(NEXT) | instid1(VALU_DEP_1)
	v_mad_u64_u32 v[65:66], null, v69, s36, s[14:15]
	v_ashrrev_i32_e32 v66, 31, v65
	s_delay_alu instid0(VALU_DEP_1) | instskip(SKIP_1) | instid1(VALU_DEP_1)
	v_lshlrev_b64 v[65:66], 2, v[65:66]
	s_waitcnt lgkmcnt(0)
	v_add_co_u32 v69, vcc_lo, s18, v65
	s_delay_alu instid0(VALU_DEP_2)
	v_add_co_ci_u32_e32 v70, vcc_lo, s19, v66, vcc_lo
	v_add_co_u32 v65, vcc_lo, s16, v65
	v_add_co_ci_u32_e32 v66, vcc_lo, s17, v66, vcc_lo
	global_store_b32 v[69:70], v67, off
	global_store_b32 v[65:66], v68, off
.LBB1746_78:
	s_or_b32 exec_lo, exec_lo, s4
	s_waitcnt lgkmcnt(0)
	s_waitcnt_vscnt null, 0x0
	s_barrier
	buffer_gl0_inv
	ds_load_b128 v[83:86], v80
	ds_load_b128 v[87:90], v80 offset:16
	ds_load_b128 v[95:98], v80 offset:2064
	;; [unrolled: 1-line block ×3, first 2 shown]
	v_mov_b32_e32 v65, 0
	ds_load_b128 v[103:106], v80 offset:4112
	ds_load_b128 v[99:102], v80 offset:4096
	;; [unrolled: 1-line block ×4, first 2 shown]
	v_mov_b32_e32 v66, v65
	v_mov_b32_e32 v67, v65
	;; [unrolled: 1-line block ×7, first 2 shown]
	s_waitcnt lgkmcnt(6)
	s_delay_alu instid0(VALU_DEP_1)
	v_wmma_f32_16x16x16_bf16 v[65:72], v[57:64], v[83:90], v[65:72]
	ds_load_b128 v[61:64], v80 offset:8208
	ds_load_b128 v[57:60], v80 offset:8192
	s_waitcnt lgkmcnt(6)
	v_wmma_f32_16x16x16_bf16 v[65:72], v[41:48], v[91:98], v[65:72]
	ds_load_b128 v[45:48], v80 offset:10256
	ds_load_b128 v[41:44], v80 offset:10240
	s_waitcnt lgkmcnt(6)
	;; [unrolled: 4-line block ×4, first 2 shown]
	v_wmma_f32_16x16x16_bf16 v[65:72], v[1:8], v[57:64], v[65:72]
	s_waitcnt lgkmcnt(4)
	s_delay_alu instid0(VALU_DEP_1) | instskip(SKIP_1) | instid1(VALU_DEP_1)
	v_wmma_f32_16x16x16_bf16 v[65:72], v[9:16], v[41:48], v[65:72]
	s_waitcnt lgkmcnt(2)
	v_wmma_f32_16x16x16_bf16 v[65:72], v[17:24], v[33:40], v[65:72]
	s_waitcnt lgkmcnt(0)
	s_delay_alu instid0(VALU_DEP_1) | instskip(NEXT) | instid1(VALU_DEP_1)
	v_wmma_f32_16x16x16_bf16 v[65:72], v[49:56], v[25:32], v[65:72]
	v_and_b32_e32 v1, 0x7f800000, v65
	s_delay_alu instid0(VALU_DEP_1) | instskip(SKIP_1) | instid1(SALU_CYCLE_1)
	v_cmp_ne_u32_e32 vcc_lo, 0x7f800000, v1
                                        ; implicit-def: $vgpr1
	s_and_saveexec_b32 s4, vcc_lo
	s_xor_b32 s4, exec_lo, s4
; %bb.79:
	v_bfe_u32 v1, v65, 16, 1
	s_delay_alu instid0(VALU_DEP_1)
	v_add3_u32 v1, v65, v1, 0x7fff
; %bb.80:
	s_and_not1_saveexec_b32 s4, s4
; %bb.81:
	v_and_b32_e32 v1, 0xffff, v65
	v_or_b32_e32 v2, 0x10000, v65
	s_delay_alu instid0(VALU_DEP_2) | instskip(NEXT) | instid1(VALU_DEP_2)
	v_cmp_eq_u32_e32 vcc_lo, 0, v1
	v_cndmask_b32_e32 v1, v2, v65, vcc_lo
; %bb.82:
	s_or_b32 exec_lo, exec_lo, s4
	v_and_b32_e32 v2, 0x7f800000, v66
	s_delay_alu instid0(VALU_DEP_1) | instskip(SKIP_1) | instid1(SALU_CYCLE_1)
	v_cmp_ne_u32_e32 vcc_lo, 0x7f800000, v2
                                        ; implicit-def: $vgpr2
	s_and_saveexec_b32 s4, vcc_lo
	s_xor_b32 s4, exec_lo, s4
; %bb.83:
	v_bfe_u32 v2, v66, 16, 1
	s_delay_alu instid0(VALU_DEP_1)
	v_add3_u32 v2, v66, v2, 0x7fff
; %bb.84:
	s_and_not1_saveexec_b32 s4, s4
; %bb.85:
	v_and_b32_e32 v2, 0xffff, v66
	v_or_b32_e32 v3, 0x10000, v66
	s_delay_alu instid0(VALU_DEP_2) | instskip(NEXT) | instid1(VALU_DEP_2)
	v_cmp_eq_u32_e32 vcc_lo, 0, v2
	v_cndmask_b32_e32 v2, v3, v66, vcc_lo
; %bb.86:
	s_or_b32 exec_lo, exec_lo, s4
	v_and_b32_e32 v3, 0x7f800000, v67
	s_delay_alu instid0(VALU_DEP_1) | instskip(SKIP_1) | instid1(SALU_CYCLE_1)
	v_cmp_ne_u32_e32 vcc_lo, 0x7f800000, v3
                                        ; implicit-def: $vgpr3
	s_and_saveexec_b32 s4, vcc_lo
	s_xor_b32 s4, exec_lo, s4
; %bb.87:
	v_bfe_u32 v3, v67, 16, 1
	s_delay_alu instid0(VALU_DEP_1)
	v_add3_u32 v3, v67, v3, 0x7fff
; %bb.88:
	s_and_not1_saveexec_b32 s4, s4
; %bb.89:
	v_and_b32_e32 v3, 0xffff, v67
	v_or_b32_e32 v4, 0x10000, v67
	s_delay_alu instid0(VALU_DEP_2) | instskip(NEXT) | instid1(VALU_DEP_2)
	v_cmp_eq_u32_e32 vcc_lo, 0, v3
	v_cndmask_b32_e32 v3, v4, v67, vcc_lo
; %bb.90:
	s_or_b32 exec_lo, exec_lo, s4
	v_and_b32_e32 v4, 0x7f800000, v68
	s_delay_alu instid0(VALU_DEP_1) | instskip(SKIP_1) | instid1(SALU_CYCLE_1)
	v_cmp_ne_u32_e32 vcc_lo, 0x7f800000, v4
                                        ; implicit-def: $vgpr4
	s_and_saveexec_b32 s4, vcc_lo
	s_xor_b32 s4, exec_lo, s4
; %bb.91:
	v_bfe_u32 v4, v68, 16, 1
	s_delay_alu instid0(VALU_DEP_1)
	v_add3_u32 v4, v68, v4, 0x7fff
; %bb.92:
	s_and_not1_saveexec_b32 s4, s4
; %bb.93:
	v_and_b32_e32 v4, 0xffff, v68
	v_or_b32_e32 v5, 0x10000, v68
	s_delay_alu instid0(VALU_DEP_2) | instskip(NEXT) | instid1(VALU_DEP_2)
	v_cmp_eq_u32_e32 vcc_lo, 0, v4
	v_cndmask_b32_e32 v4, v5, v68, vcc_lo
; %bb.94:
	s_or_b32 exec_lo, exec_lo, s4
	v_and_b32_e32 v5, 0x7f800000, v69
	s_delay_alu instid0(VALU_DEP_1) | instskip(SKIP_1) | instid1(SALU_CYCLE_1)
	v_cmp_ne_u32_e32 vcc_lo, 0x7f800000, v5
                                        ; implicit-def: $vgpr5
	s_and_saveexec_b32 s4, vcc_lo
	s_xor_b32 s4, exec_lo, s4
; %bb.95:
	v_bfe_u32 v5, v69, 16, 1
	s_delay_alu instid0(VALU_DEP_1)
	v_add3_u32 v5, v69, v5, 0x7fff
; %bb.96:
	s_and_not1_saveexec_b32 s4, s4
; %bb.97:
	v_and_b32_e32 v5, 0xffff, v69
	v_or_b32_e32 v6, 0x10000, v69
	s_delay_alu instid0(VALU_DEP_2) | instskip(NEXT) | instid1(VALU_DEP_2)
	v_cmp_eq_u32_e32 vcc_lo, 0, v5
	v_cndmask_b32_e32 v5, v6, v69, vcc_lo
; %bb.98:
	s_or_b32 exec_lo, exec_lo, s4
	v_and_b32_e32 v6, 0x7f800000, v70
	s_delay_alu instid0(VALU_DEP_1) | instskip(SKIP_1) | instid1(SALU_CYCLE_1)
	v_cmp_ne_u32_e32 vcc_lo, 0x7f800000, v6
                                        ; implicit-def: $vgpr6
	s_and_saveexec_b32 s4, vcc_lo
	s_xor_b32 s4, exec_lo, s4
; %bb.99:
	v_bfe_u32 v6, v70, 16, 1
	s_delay_alu instid0(VALU_DEP_1)
	v_add3_u32 v6, v70, v6, 0x7fff
; %bb.100:
	s_and_not1_saveexec_b32 s4, s4
; %bb.101:
	v_and_b32_e32 v6, 0xffff, v70
	v_or_b32_e32 v7, 0x10000, v70
	s_delay_alu instid0(VALU_DEP_2) | instskip(NEXT) | instid1(VALU_DEP_2)
	v_cmp_eq_u32_e32 vcc_lo, 0, v6
	v_cndmask_b32_e32 v6, v7, v70, vcc_lo
; %bb.102:
	s_or_b32 exec_lo, exec_lo, s4
	v_and_b32_e32 v7, 0x7f800000, v71
	s_delay_alu instid0(VALU_DEP_1) | instskip(SKIP_1) | instid1(SALU_CYCLE_1)
	v_cmp_ne_u32_e32 vcc_lo, 0x7f800000, v7
                                        ; implicit-def: $vgpr7
	s_and_saveexec_b32 s4, vcc_lo
	s_xor_b32 s4, exec_lo, s4
; %bb.103:
	v_bfe_u32 v7, v71, 16, 1
	s_delay_alu instid0(VALU_DEP_1)
	v_add3_u32 v7, v71, v7, 0x7fff
; %bb.104:
	s_and_not1_saveexec_b32 s4, s4
; %bb.105:
	v_and_b32_e32 v7, 0xffff, v71
	v_or_b32_e32 v8, 0x10000, v71
	s_delay_alu instid0(VALU_DEP_2) | instskip(NEXT) | instid1(VALU_DEP_2)
	v_cmp_eq_u32_e32 vcc_lo, 0, v7
	v_cndmask_b32_e32 v7, v8, v71, vcc_lo
; %bb.106:
	s_or_b32 exec_lo, exec_lo, s4
	v_and_b32_e32 v8, 0x7f800000, v72
	s_delay_alu instid0(VALU_DEP_1) | instskip(SKIP_1) | instid1(SALU_CYCLE_1)
	v_cmp_ne_u32_e32 vcc_lo, 0x7f800000, v8
                                        ; implicit-def: $vgpr8
	s_and_saveexec_b32 s4, vcc_lo
	s_xor_b32 s4, exec_lo, s4
; %bb.107:
	v_bfe_u32 v8, v72, 16, 1
	s_delay_alu instid0(VALU_DEP_1)
	v_add3_u32 v8, v72, v8, 0x7fff
                                        ; implicit-def: $vgpr65_vgpr66_vgpr67_vgpr68_vgpr69_vgpr70_vgpr71_vgpr72
; %bb.108:
	s_and_not1_saveexec_b32 s4, s4
; %bb.109:
	v_and_b32_e32 v8, 0xffff, v72
	v_or_b32_e32 v9, 0x10000, v72
	s_delay_alu instid0(VALU_DEP_2) | instskip(NEXT) | instid1(VALU_DEP_2)
	v_cmp_eq_u32_e32 vcc_lo, 0, v8
	v_cndmask_b32_e32 v8, v9, v72, vcc_lo
; %bb.110:
	s_or_b32 exec_lo, exec_lo, s4
	s_delay_alu instid0(VALU_DEP_1)
	v_perm_b32 v7, v8, v7, 0x7060302
	v_perm_b32 v6, v6, v5, 0x7060302
	;; [unrolled: 1-line block ×4, first 2 shown]
	s_barrier
	buffer_gl0_inv
	v_cmp_eq_u32_e32 vcc_lo, 1, v78
	ds_store_b128 v76, v[4:7]
	s_waitcnt lgkmcnt(0)
	s_barrier
	buffer_gl0_inv
	ds_load_b128 v[1:4], v82
	ds_load_b128 v[5:8], v82 offset:16
	v_cmp_eq_u32_e64 s4, 1, v79
	v_cmp_eq_u32_e64 s5, 2, v78
	;; [unrolled: 1-line block ×5, first 2 shown]
	s_waitcnt lgkmcnt(1)
	v_lshrrev_b32_e32 v9, 16, v1
	s_waitcnt lgkmcnt(0)
	v_lshrrev_b32_e32 v13, 16, v5
	v_lshrrev_b32_e32 v10, 16, v2
	;; [unrolled: 1-line block ×4, first 2 shown]
	v_cndmask_b32_e64 v19, v1, v9, s4
	v_cndmask_b32_e32 v18, v5, v13, vcc_lo
	v_cndmask_b32_e64 v20, v5, v13, s4
	v_cndmask_b32_e32 v17, v1, v9, vcc_lo
	v_cmp_eq_u32_e32 vcc_lo, 2, v79
	v_lshrrev_b32_e32 v15, 16, v7
	v_cmp_eq_u32_e64 s4, 1, v77
	v_lshrrev_b32_e32 v12, 16, v4
	v_lshrrev_b32_e32 v16, 16, v8
	v_cndmask_b32_e32 v20, v20, v6, vcc_lo
	v_cndmask_b32_e64 v17, v17, v2, s5
	v_cndmask_b32_e32 v19, v19, v2, vcc_lo
	v_cndmask_b32_e64 v18, v18, v6, s5
	v_cmp_eq_u32_e32 vcc_lo, 4, v78
	v_cmp_eq_u32_e64 s5, 3, v79
	v_cndmask_b32_e64 v17, v17, v10, s6
	v_cndmask_b32_e64 v21, v1, v9, s4
	;; [unrolled: 1-line block ×5, first 2 shown]
	v_cndmask_b32_e32 v17, v17, v3, vcc_lo
	v_cndmask_b32_e64 v20, v20, v14, s5
	v_cndmask_b32_e32 v18, v18, v7, vcc_lo
	v_cmp_eq_u32_e32 vcc_lo, 4, v79
	v_cmp_eq_u32_e64 s5, 5, v79
	v_cmp_eq_u32_e64 s4, 2, v81
	v_cndmask_b32_e64 v21, v21, v2, s8
	v_cmp_eq_u32_e64 s6, 5, v78
	v_cndmask_b32_e32 v19, v19, v3, vcc_lo
	v_cndmask_b32_e32 v20, v20, v7, vcc_lo
	v_cmp_eq_u32_e32 vcc_lo, 6, v79
	s_delay_alu instid0(VALU_DEP_4) | instskip(NEXT) | instid1(VALU_DEP_4)
	v_cndmask_b32_e64 v17, v17, v11, s6
	v_cndmask_b32_e64 v19, v19, v11, s5
	s_delay_alu instid0(VALU_DEP_4) | instskip(SKIP_1) | instid1(VALU_DEP_3)
	v_cndmask_b32_e64 v20, v20, v15, s5
	v_cmp_eq_u32_e64 s5, 1, v81
	v_cndmask_b32_e32 v19, v19, v4, vcc_lo
	v_cndmask_b32_e64 v18, v18, v15, s6
	s_delay_alu instid0(VALU_DEP_3)
	v_cndmask_b32_e64 v1, v1, v9, s5
	v_cndmask_b32_e64 v5, v5, v13, s5
	v_cmp_eq_u32_e64 s5, 3, v77
	v_cndmask_b32_e64 v13, v22, v6, s8
	v_cmp_eq_u32_e64 s8, 3, v81
	v_cndmask_b32_e64 v1, v1, v2, s4
	v_cndmask_b32_e64 v2, v5, v6, s4
	;; [unrolled: 1-line block ×3, first 2 shown]
	v_cmp_eq_u32_e64 s4, 4, v77
	v_cndmask_b32_e64 v6, v13, v14, s5
	v_cndmask_b32_e64 v1, v1, v10, s8
	v_cmp_eq_u32_e64 s5, 4, v81
	v_cndmask_b32_e64 v2, v2, v14, s8
	v_cndmask_b32_e64 v5, v9, v3, s4
	v_cmp_eq_u32_e64 s8, 5, v77
	v_cndmask_b32_e64 v6, v6, v7, s4
	v_cndmask_b32_e64 v1, v1, v3, s5
	v_cndmask_b32_e64 v2, v2, v7, s5
	v_cmp_eq_u32_e64 s4, 5, v81
	v_cmp_eq_u32_e64 s6, 6, v78
	v_cndmask_b32_e64 v5, v5, v11, s8
	v_cmp_eq_u32_e64 s5, 6, v77
	v_cndmask_b32_e64 v3, v6, v15, s8
	v_cndmask_b32_e64 v1, v1, v11, s4
	v_cmp_eq_u32_e64 s8, 6, v81
	v_cndmask_b32_e64 v2, v2, v15, s4
	v_cndmask_b32_e64 v17, v17, v4, s6
	v_cndmask_b32_e64 v18, v18, v8, s6
	v_cmp_eq_u32_e64 s6, 7, v78
	v_cndmask_b32_e64 v5, v5, v4, s5
	;; [unrolled: 4-line block ×3, first 2 shown]
	v_cmp_eq_u32_e64 s5, 7, v77
	v_cndmask_b32_e32 v4, v20, v8, vcc_lo
	v_cndmask_b32_e64 v17, v17, v12, s6
	v_cndmask_b32_e64 v19, v19, v12, s7
	;; [unrolled: 1-line block ×8, first 2 shown]
	v_cmp_gt_u32_e32 vcc_lo, 32, v0
	v_perm_b32 v4, v2, v1, 0x5040100
	v_perm_b32 v3, v3, v5, 0x5040100
	;; [unrolled: 1-line block ×4, first 2 shown]
	s_and_b32 s2, vcc_lo, s2
	ds_store_b128 v76, v[1:4]
	s_waitcnt lgkmcnt(0)
	s_barrier
	buffer_gl0_inv
	s_and_saveexec_b32 s4, s2
	s_cbranch_execz .LBB1746_2
; %bb.111:
	s_load_b64 s[4:5], s[0:1], 0x68
	v_lshlrev_b32_e32 v0, 10, v0
	v_add_nc_u32_e32 v2, s31, v74
	v_lshlrev_b32_e32 v3, 4, v75
	s_lshl_b32 s0, s36, 6
	s_delay_alu instid0(SALU_CYCLE_1) | instskip(NEXT) | instid1(VALU_DEP_2)
	s_mul_i32 s1, s0, s34
	v_mul_lo_u32 v1, v2, s0
	s_delay_alu instid0(VALU_DEP_2) | instskip(SKIP_2) | instid1(SALU_CYCLE_1)
	v_and_or_b32 v0, 0x3800, v0, v3
	v_add_nc_u32_e32 v2, 2, v2
	s_mul_i32 s6, s1, s9
	s_ashr_i32 s7, s6, 31
	s_delay_alu instid0(VALU_DEP_2)
	v_lshl_or_b32 v7, v74, 6, v0
	s_lshl_b64 s[6:7], s[6:7], 1
	v_mul_lo_u32 v11, v2, s0
	v_ashrrev_i32_e32 v2, 31, v1
	ds_load_b128 v[3:6], v7
	ds_load_b128 v[7:10], v7 offset:128
	s_waitcnt lgkmcnt(0)
	s_add_u32 s1, s4, s6
	s_addc_u32 s2, s5, s7
	s_lshl_b32 s4, s14, 6
	v_ashrrev_i32_e32 v12, 31, v11
	s_ashr_i32 s5, s4, 31
	v_lshlrev_b64 v[13:14], 1, v[1:2]
	s_lshl_b64 s[4:5], s[4:5], 1
	s_delay_alu instid0(SALU_CYCLE_1) | instskip(SKIP_2) | instid1(VALU_DEP_1)
	s_add_u32 s1, s1, s4
	s_addc_u32 s2, s2, s5
	v_add_co_u32 v1, s1, s1, v73
	v_add_co_ci_u32_e64 v2, null, s2, 0, s1
	v_lshlrev_b64 v[11:12], 1, v[11:12]
	s_delay_alu instid0(VALU_DEP_3) | instskip(NEXT) | instid1(VALU_DEP_3)
	v_add_co_u32 v13, vcc_lo, v1, v13
	v_add_co_ci_u32_e32 v14, vcc_lo, v2, v14, vcc_lo
	s_delay_alu instid0(VALU_DEP_3) | instskip(NEXT) | instid1(VALU_DEP_4)
	v_add_co_u32 v11, vcc_lo, v1, v11
	v_add_co_ci_u32_e32 v12, vcc_lo, v2, v12, vcc_lo
	s_clause 0x1
	global_store_b128 v[13:14], v[3:6], off
	global_store_b128 v[11:12], v[7:10], off
	s_and_b32 exec_lo, exec_lo, s3
	s_cbranch_execz .LBB1746_2
; %bb.112:
	ds_load_b128 v[3:6], v0 offset:256
	s_add_i32 s1, s31, 4
	s_delay_alu instid0(SALU_CYCLE_1) | instskip(NEXT) | instid1(SALU_CYCLE_1)
	s_mul_i32 s0, s1, s0
	s_ashr_i32 s1, s0, 31
	s_delay_alu instid0(SALU_CYCLE_1) | instskip(NEXT) | instid1(SALU_CYCLE_1)
	s_lshl_b64 s[0:1], s[0:1], 1
	v_add_co_u32 v0, vcc_lo, v1, s0
	v_add_co_ci_u32_e32 v1, vcc_lo, s1, v2, vcc_lo
	s_waitcnt lgkmcnt(0)
	global_store_b128 v[0:1], v[3:6], off
	s_nop 0
	s_sendmsg sendmsg(MSG_DEALLOC_VGPRS)
	s_endpgm
	.section	.rodata,"a",@progbits
	.p2align	6, 0x0
	.amdhsa_kernel _Z39paged_attention_ll4mi_QKV_mfma16_kernelI14__hip_bfloat16hLN4vllm18Fp8KVCacheDataTypeE1EhLi32ELi64ELi256ELb0ELi5EL8MFMAType0EEvPKT_PKT0_S9_ifPKiSB_SB_iPKfiiiPfSE_PS4_PT2_iSD_SD_
		.amdhsa_group_segment_fixed_size 17472
		.amdhsa_private_segment_fixed_size 0
		.amdhsa_kernarg_size 400
		.amdhsa_user_sgpr_count 13
		.amdhsa_user_sgpr_dispatch_ptr 0
		.amdhsa_user_sgpr_queue_ptr 0
		.amdhsa_user_sgpr_kernarg_segment_ptr 1
		.amdhsa_user_sgpr_dispatch_id 0
		.amdhsa_user_sgpr_private_segment_size 0
		.amdhsa_wavefront_size32 1
		.amdhsa_uses_dynamic_stack 0
		.amdhsa_enable_private_segment 0
		.amdhsa_system_sgpr_workgroup_id_x 1
		.amdhsa_system_sgpr_workgroup_id_y 1
		.amdhsa_system_sgpr_workgroup_id_z 1
		.amdhsa_system_sgpr_workgroup_info 0
		.amdhsa_system_vgpr_workitem_id 0
		.amdhsa_next_free_vgpr 124
		.amdhsa_next_free_sgpr 42
		.amdhsa_reserve_vcc 1
		.amdhsa_float_round_mode_32 0
		.amdhsa_float_round_mode_16_64 0
		.amdhsa_float_denorm_mode_32 3
		.amdhsa_float_denorm_mode_16_64 3
		.amdhsa_dx10_clamp 1
		.amdhsa_ieee_mode 1
		.amdhsa_fp16_overflow 0
		.amdhsa_workgroup_processor_mode 1
		.amdhsa_memory_ordered 1
		.amdhsa_forward_progress 0
		.amdhsa_shared_vgpr_count 0
		.amdhsa_exception_fp_ieee_invalid_op 0
		.amdhsa_exception_fp_denorm_src 0
		.amdhsa_exception_fp_ieee_div_zero 0
		.amdhsa_exception_fp_ieee_overflow 0
		.amdhsa_exception_fp_ieee_underflow 0
		.amdhsa_exception_fp_ieee_inexact 0
		.amdhsa_exception_int_div_zero 0
	.end_amdhsa_kernel
	.section	.text._Z39paged_attention_ll4mi_QKV_mfma16_kernelI14__hip_bfloat16hLN4vllm18Fp8KVCacheDataTypeE1EhLi32ELi64ELi256ELb0ELi5EL8MFMAType0EEvPKT_PKT0_S9_ifPKiSB_SB_iPKfiiiPfSE_PS4_PT2_iSD_SD_,"axG",@progbits,_Z39paged_attention_ll4mi_QKV_mfma16_kernelI14__hip_bfloat16hLN4vllm18Fp8KVCacheDataTypeE1EhLi32ELi64ELi256ELb0ELi5EL8MFMAType0EEvPKT_PKT0_S9_ifPKiSB_SB_iPKfiiiPfSE_PS4_PT2_iSD_SD_,comdat
.Lfunc_end1746:
	.size	_Z39paged_attention_ll4mi_QKV_mfma16_kernelI14__hip_bfloat16hLN4vllm18Fp8KVCacheDataTypeE1EhLi32ELi64ELi256ELb0ELi5EL8MFMAType0EEvPKT_PKT0_S9_ifPKiSB_SB_iPKfiiiPfSE_PS4_PT2_iSD_SD_, .Lfunc_end1746-_Z39paged_attention_ll4mi_QKV_mfma16_kernelI14__hip_bfloat16hLN4vllm18Fp8KVCacheDataTypeE1EhLi32ELi64ELi256ELb0ELi5EL8MFMAType0EEvPKT_PKT0_S9_ifPKiSB_SB_iPKfiiiPfSE_PS4_PT2_iSD_SD_
                                        ; -- End function
	.section	.AMDGPU.csdata,"",@progbits
; Kernel info:
; codeLenInByte = 8780
; NumSgprs: 44
; NumVgprs: 124
; ScratchSize: 0
; MemoryBound: 0
; FloatMode: 240
; IeeeMode: 1
; LDSByteSize: 17472 bytes/workgroup (compile time only)
; SGPRBlocks: 5
; VGPRBlocks: 15
; NumSGPRsForWavesPerEU: 44
; NumVGPRsForWavesPerEU: 124
; Occupancy: 10
; WaveLimiterHint : 1
; COMPUTE_PGM_RSRC2:SCRATCH_EN: 0
; COMPUTE_PGM_RSRC2:USER_SGPR: 13
; COMPUTE_PGM_RSRC2:TRAP_HANDLER: 0
; COMPUTE_PGM_RSRC2:TGID_X_EN: 1
; COMPUTE_PGM_RSRC2:TGID_Y_EN: 1
; COMPUTE_PGM_RSRC2:TGID_Z_EN: 1
; COMPUTE_PGM_RSRC2:TIDIG_COMP_CNT: 0
	.section	.text._Z39paged_attention_ll4mi_QKV_mfma16_kernelI14__hip_bfloat16hLN4vllm18Fp8KVCacheDataTypeE1EhLi32ELi64ELi256ELb0ELi6EL8MFMAType0EEvPKT_PKT0_S9_ifPKiSB_SB_iPKfiiiPfSE_PS4_PT2_iSD_SD_,"axG",@progbits,_Z39paged_attention_ll4mi_QKV_mfma16_kernelI14__hip_bfloat16hLN4vllm18Fp8KVCacheDataTypeE1EhLi32ELi64ELi256ELb0ELi6EL8MFMAType0EEvPKT_PKT0_S9_ifPKiSB_SB_iPKfiiiPfSE_PS4_PT2_iSD_SD_,comdat
	.protected	_Z39paged_attention_ll4mi_QKV_mfma16_kernelI14__hip_bfloat16hLN4vllm18Fp8KVCacheDataTypeE1EhLi32ELi64ELi256ELb0ELi6EL8MFMAType0EEvPKT_PKT0_S9_ifPKiSB_SB_iPKfiiiPfSE_PS4_PT2_iSD_SD_ ; -- Begin function _Z39paged_attention_ll4mi_QKV_mfma16_kernelI14__hip_bfloat16hLN4vllm18Fp8KVCacheDataTypeE1EhLi32ELi64ELi256ELb0ELi6EL8MFMAType0EEvPKT_PKT0_S9_ifPKiSB_SB_iPKfiiiPfSE_PS4_PT2_iSD_SD_
	.globl	_Z39paged_attention_ll4mi_QKV_mfma16_kernelI14__hip_bfloat16hLN4vllm18Fp8KVCacheDataTypeE1EhLi32ELi64ELi256ELb0ELi6EL8MFMAType0EEvPKT_PKT0_S9_ifPKiSB_SB_iPKfiiiPfSE_PS4_PT2_iSD_SD_
	.p2align	8
	.type	_Z39paged_attention_ll4mi_QKV_mfma16_kernelI14__hip_bfloat16hLN4vllm18Fp8KVCacheDataTypeE1EhLi32ELi64ELi256ELb0ELi6EL8MFMAType0EEvPKT_PKT0_S9_ifPKiSB_SB_iPKfiiiPfSE_PS4_PT2_iSD_SD_,@function
_Z39paged_attention_ll4mi_QKV_mfma16_kernelI14__hip_bfloat16hLN4vllm18Fp8KVCacheDataTypeE1EhLi32ELi64ELi256ELb0ELi6EL8MFMAType0EEvPKT_PKT0_S9_ifPKiSB_SB_iPKfiiiPfSE_PS4_PT2_iSD_SD_: ; @_Z39paged_attention_ll4mi_QKV_mfma16_kernelI14__hip_bfloat16hLN4vllm18Fp8KVCacheDataTypeE1EhLi32ELi64ELi256ELb0ELi6EL8MFMAType0EEvPKT_PKT0_S9_ifPKiSB_SB_iPKfiiiPfSE_PS4_PT2_iSD_SD_
; %bb.0:
	s_load_b64 s[2:3], s[0:1], 0x30
	s_mov_b32 s30, s13
	s_waitcnt lgkmcnt(0)
	s_cmp_lg_u64 s[2:3], 0
	s_cselect_b32 s8, -1, 0
	s_ashr_i32 s31, s13, 31
	s_cmp_eq_u64 s[2:3], 0
	s_cbranch_scc1 .LBB1747_3
; %bb.1:
	s_lshl_b64 s[4:5], s[30:31], 2
	s_delay_alu instid0(SALU_CYCLE_1) | instskip(SKIP_4) | instid1(SALU_CYCLE_1)
	s_add_u32 s4, s2, s4
	s_addc_u32 s5, s3, s5
	s_load_b64 s[4:5], s[4:5], 0x0
	s_waitcnt lgkmcnt(0)
	s_sub_i32 s4, s5, s4
	s_cmp_eq_u32 s4, 1
	s_cselect_b32 s4, -1, 0
	s_delay_alu instid0(SALU_CYCLE_1)
	s_and_not1_b32 vcc_lo, exec_lo, s4
	s_cbranch_vccz .LBB1747_4
.LBB1747_2:
	s_endpgm
.LBB1747_3:
.LBB1747_4:
	s_load_b64 s[4:5], s[0:1], 0x28
	s_lshl_b64 s[6:7], s[30:31], 2
	s_waitcnt lgkmcnt(0)
	s_add_u32 s4, s4, s6
	s_addc_u32 s5, s5, s7
	s_lshl_b32 s12, s14, 8
	s_load_b32 s24, s[4:5], 0x0
	s_waitcnt lgkmcnt(0)
	s_cmp_ge_i32 s12, s24
	s_cbranch_scc1 .LBB1747_2
; %bb.5:
	s_clause 0x1
	s_load_b128 s[20:23], s[0:1], 0x8
	s_load_b64 s[4:5], s[0:1], 0x20
	s_and_not1_b32 vcc_lo, exec_lo, s8
	s_cbranch_vccnz .LBB1747_7
; %bb.6:
	s_add_u32 s2, s2, s6
	s_addc_u32 s3, s3, s7
	s_load_b32 s3, s[2:3], 0x0
	s_branch .LBB1747_8
.LBB1747_7:
	s_mov_b32 s3, s30
.LBB1747_8:
	s_load_b128 s[16:19], s[0:1], 0x48
	v_and_b32_e32 v65, 15, v0
	v_cmp_gt_u32_e32 vcc_lo, 0x60, v0
	v_lshrrev_b32_e32 v66, 5, v0
	v_and_b32_e32 v67, 31, v0
	v_and_b32_e32 v75, 1, v0
	v_lshlrev_b32_e32 v1, 3, v65
	v_cmp_gt_u32_e64 s2, 8, v65
	v_bfe_u32 v74, v0, 4, 1
	s_mul_i32 s31, s15, 6
	s_delay_alu instid0(VALU_DEP_3) | instskip(NEXT) | instid1(VALU_DEP_3)
	v_lshlrev_b32_e32 v73, 1, v1
	s_and_b32 s7, vcc_lo, s2
	s_delay_alu instid0(SALU_CYCLE_1)
	s_and_saveexec_b32 s6, s7
	s_cbranch_execz .LBB1747_10
; %bb.9:
	s_load_b64 s[8:9], s[0:1], 0x0
	v_lshl_or_b32 v5, v66, 1, v74
	s_waitcnt lgkmcnt(0)
	s_mul_hi_i32 s11, s3, s16
	s_mul_i32 s10, s3, s16
	v_lshlrev_b32_e32 v6, 10, v65
	s_lshl_b64 s[10:11], s[10:11], 1
	v_add_lshl_u32 v1, v5, s31, 6
	v_lshlrev_b32_e32 v5, 6, v5
	v_lshlrev_b32_e32 v7, 10, v75
	v_and_b32_e32 v6, 0x3800, v6
	s_delay_alu instid0(VALU_DEP_4) | instskip(NEXT) | instid1(VALU_DEP_2)
	v_ashrrev_i32_e32 v2, 31, v1
	v_or3_b32 v5, v6, v7, v5
	s_delay_alu instid0(VALU_DEP_2) | instskip(SKIP_2) | instid1(VALU_DEP_1)
	v_lshlrev_b64 v[1:2], 1, v[1:2]
	s_add_u32 s3, s8, s10
	s_addc_u32 s7, s9, s11
	v_add_co_u32 v1, vcc_lo, s3, v1
	s_delay_alu instid0(VALU_DEP_2) | instskip(NEXT) | instid1(VALU_DEP_2)
	v_add_co_ci_u32_e32 v2, vcc_lo, s7, v2, vcc_lo
	v_add_co_u32 v1, vcc_lo, v1, v73
	s_delay_alu instid0(VALU_DEP_2)
	v_add_co_ci_u32_e32 v2, vcc_lo, 0, v2, vcc_lo
	global_load_b128 v[1:4], v[1:2], off
	s_waitcnt vmcnt(0)
	ds_store_b128 v5, v[1:4]
.LBB1747_10:
	s_or_b32 exec_lo, exec_lo, s6
	v_and_b32_e32 v1, 0xef, v0
	s_waitcnt lgkmcnt(0)
	s_add_i32 s3, s24, 31
	s_clause 0x1
	s_load_b32 s6, s[0:1], 0x38
	s_load_b32 s19, s[0:1], 0x1c
	s_ashr_i32 s7, s3, 31
	v_add_nc_u32_e32 v1, s12, v1
	s_lshr_b32 s7, s7, 27
	s_waitcnt lgkmcnt(0)
	s_add_i32 s3, s3, s7
	s_barrier
	v_ashrrev_i32_e32 v2, 31, v1
	v_or_b32_e32 v3, 16, v1
	s_ashr_i32 s3, s3, 5
	v_cmp_gt_i32_e32 vcc_lo, s24, v1
	s_add_i32 s3, s3, -1
	v_lshrrev_b32_e32 v2, 27, v2
	buffer_gl0_inv
	s_mul_i32 s27, s15, s18
	v_add_nc_u32_e32 v4, v1, v2
	s_mul_i32 s6, s30, s6
	s_delay_alu instid0(SALU_CYCLE_1) | instskip(NEXT) | instid1(VALU_DEP_1)
	s_ashr_i32 s7, s6, 31
	v_ashrrev_i32_e32 v4, 5, v4
	v_add_nc_u32_e32 v2, v3, v2
	s_lshl_b64 s[6:7], s[6:7], 2
	s_delay_alu instid0(SALU_CYCLE_1) | instskip(NEXT) | instid1(VALU_DEP_2)
	s_add_u32 s26, s4, s6
	v_cndmask_b32_e32 v1, s3, v4, vcc_lo
	s_delay_alu instid0(VALU_DEP_2)
	v_ashrrev_i32_e32 v2, 5, v2
	v_cmp_gt_i32_e32 vcc_lo, s24, v3
	s_addc_u32 s25, s5, s7
	s_ashr_i32 s28, s27, 31
	s_add_u32 s4, s20, s27
	s_addc_u32 s5, s21, s28
	v_cndmask_b32_e32 v3, s3, v2, vcc_lo
	v_ashrrev_i32_e32 v2, 31, v1
	s_lshl_b32 s6, s14, 3
	s_delay_alu instid0(SALU_CYCLE_1) | instskip(NEXT) | instid1(VALU_DEP_2)
	s_ashr_i32 s7, s6, 31
	v_ashrrev_i32_e32 v4, 31, v3
	s_delay_alu instid0(VALU_DEP_2) | instskip(SKIP_1) | instid1(SALU_CYCLE_1)
	v_lshlrev_b64 v[1:2], 2, v[1:2]
	s_lshl_b64 s[6:7], s[6:7], 2
	s_add_u32 s6, s26, s6
	s_delay_alu instid0(VALU_DEP_2) | instskip(SKIP_1) | instid1(VALU_DEP_2)
	v_lshlrev_b64 v[3:4], 2, v[3:4]
	s_addc_u32 s7, s25, s7
	v_add_co_u32 v1, vcc_lo, s26, v1
	v_add_co_ci_u32_e32 v2, vcc_lo, s25, v2, vcc_lo
	s_delay_alu instid0(VALU_DEP_3) | instskip(NEXT) | instid1(VALU_DEP_4)
	v_add_co_u32 v3, vcc_lo, s26, v3
	v_add_co_ci_u32_e32 v4, vcc_lo, s25, v4, vcc_lo
	s_clause 0x1
	global_load_b32 v5, v[1:2], off
	global_load_b32 v6, v[3:4], off
	s_or_b32 s8, s12, 32
	s_delay_alu instid0(SALU_CYCLE_1) | instskip(SKIP_2) | instid1(SALU_CYCLE_1)
	s_ashr_i32 s9, s8, 5
	s_cmp_lt_i32 s8, s24
	s_cselect_b32 s8, s9, s3
	s_ashr_i32 s9, s8, 31
	s_delay_alu instid0(SALU_CYCLE_1) | instskip(NEXT) | instid1(SALU_CYCLE_1)
	s_lshl_b64 s[8:9], s[8:9], 2
	s_add_u32 s8, s26, s8
	s_addc_u32 s9, s25, s9
	s_or_b32 s10, s12, 64
	s_delay_alu instid0(SALU_CYCLE_1) | instskip(SKIP_2) | instid1(SALU_CYCLE_1)
	s_ashr_i32 s11, s10, 5
	s_cmp_lt_i32 s10, s24
	s_cselect_b32 s10, s11, s3
	s_ashr_i32 s11, s10, 31
	s_delay_alu instid0(SALU_CYCLE_1) | instskip(NEXT) | instid1(SALU_CYCLE_1)
	s_lshl_b64 s[10:11], s[10:11], 2
	s_add_u32 s10, s26, s10
	s_addc_u32 s11, s25, s11
	s_or_b32 s13, s12, 0x60
	s_delay_alu instid0(SALU_CYCLE_1) | instskip(SKIP_2) | instid1(SALU_CYCLE_1)
	s_ashr_i32 s15, s13, 5
	s_cmp_lt_i32 s13, s24
	s_cselect_b32 s20, s15, s3
	s_ashr_i32 s21, s20, 31
	s_delay_alu instid0(SALU_CYCLE_1) | instskip(NEXT) | instid1(SALU_CYCLE_1)
	s_lshl_b64 s[20:21], s[20:21], 2
	s_add_u32 s34, s26, s20
	s_addc_u32 s35, s25, s21
	s_or_b32 s13, s12, 0x80
	s_delay_alu instid0(SALU_CYCLE_1) | instskip(SKIP_2) | instid1(SALU_CYCLE_1)
	s_ashr_i32 s15, s13, 5
	s_cmp_lt_i32 s13, s24
	s_cselect_b32 s20, s15, s3
	s_ashr_i32 s21, s20, 31
	s_delay_alu instid0(SALU_CYCLE_1) | instskip(NEXT) | instid1(SALU_CYCLE_1)
	s_lshl_b64 s[20:21], s[20:21], 2
	s_add_u32 s36, s26, s20
	s_addc_u32 s37, s25, s21
	s_or_b32 s13, s12, 0xa0
	s_delay_alu instid0(SALU_CYCLE_1) | instskip(SKIP_2) | instid1(SALU_CYCLE_1)
	s_ashr_i32 s15, s13, 5
	s_cmp_lt_i32 s13, s24
	s_cselect_b32 s20, s15, s3
	s_ashr_i32 s21, s20, 31
	s_delay_alu instid0(SALU_CYCLE_1) | instskip(NEXT) | instid1(SALU_CYCLE_1)
	s_lshl_b64 s[20:21], s[20:21], 2
	s_add_u32 s38, s26, s20
	s_addc_u32 s39, s25, s21
	s_clause 0x5
	s_load_b32 s21, s[6:7], 0x0
	s_load_b32 s13, s[8:9], 0x0
	;; [unrolled: 1-line block ×6, first 2 shown]
	s_or_b32 s9, s12, 0xc0
	s_delay_alu instid0(SALU_CYCLE_1) | instskip(SKIP_2) | instid1(SALU_CYCLE_1)
	s_ashr_i32 s10, s9, 5
	s_cmp_lt_i32 s9, s24
	s_cselect_b32 s34, s10, s3
	s_ashr_i32 s35, s34, 31
	s_delay_alu instid0(SALU_CYCLE_1) | instskip(NEXT) | instid1(SALU_CYCLE_1)
	s_lshl_b64 s[34:35], s[34:35], 2
	s_add_u32 s34, s26, s34
	s_addc_u32 s35, s25, s35
	s_or_b32 s29, s12, 0xe0
	s_delay_alu instid0(SALU_CYCLE_1)
	s_ashr_i32 s33, s29, 5
	s_cmp_lt_i32 s29, s24
	s_waitcnt vmcnt(1)
	v_mad_i64_i32 v[1:2], null, v5, s17, s[4:5]
	s_waitcnt vmcnt(0)
	v_mad_i64_i32 v[3:4], null, v6, s17, s[4:5]
	s_mov_b32 s4, 0
	s_delay_alu instid0(SALU_CYCLE_1)
	s_mov_b32 s5, s4
	s_mov_b32 s6, s4
	s_mov_b32 s7, s4
	s_mov_b32 s8, s4
	s_mov_b32 s9, s4
	s_mov_b32 s10, s4
	s_mov_b32 s11, s4
	v_lshlrev_b32_e32 v5, 4, v65
	v_dual_mov_b32 v107, s11 :: v_dual_mov_b32 v102, s6
	v_mov_b32_e32 v106, s10
	v_mov_b32_e32 v104, s8
	s_delay_alu instid0(VALU_DEP_4)
	v_add_co_u32 v1, vcc_lo, v1, v5
	v_add_co_ci_u32_e32 v2, vcc_lo, 0, v2, vcc_lo
	v_add_co_u32 v3, vcc_lo, v3, v5
	v_add_co_ci_u32_e32 v4, vcc_lo, 0, v4, vcc_lo
	s_clause 0x7
	global_load_b128 v[49:52], v[1:2], off
	global_load_b128 v[53:56], v[1:2], off offset:512
	global_load_b128 v[76:79], v[3:4], off offset:256
	;; [unrolled: 1-line block ×7, first 2 shown]
	v_mul_lo_u16 v1, v65, 43
	v_mov_b32_e32 v103, s7
	v_dual_mov_b32 v101, s5 :: v_dual_lshlrev_b32 v2, 5, v65
	v_mov_b32_e32 v100, s4
	s_delay_alu instid0(VALU_DEP_4) | instskip(NEXT) | instid1(VALU_DEP_3)
	v_lshrrev_b16 v1, 8, v1
	v_lshl_or_b32 v2, v66, 9, v2
	s_delay_alu instid0(VALU_DEP_2) | instskip(NEXT) | instid1(VALU_DEP_1)
	v_mul_lo_u16 v1, v1, 6
	v_sub_nc_u16 v1, v65, v1
	s_delay_alu instid0(VALU_DEP_1)
	v_and_b32_e32 v1, 0xff, v1
	v_mov_b32_e32 v105, s9
	s_cselect_b32 s4, s33, s3
	s_load_b32 s3, s[34:35], 0x0
	s_ashr_i32 s5, s4, 31
	v_lshlrev_b32_e32 v70, 6, v1
	s_lshl_b64 s[4:5], s[4:5], 2
	ds_load_b128 v[108:111], v70
	ds_load_b128 v[112:115], v70 offset:1024
	s_add_u32 s4, s26, s4
	s_addc_u32 s5, s25, s5
	s_add_u32 s6, s22, s27
	s_load_b32 s4, s[4:5], 0x0
	s_addc_u32 s7, s23, s28
	v_add_co_u32 v9, s6, s6, v2
	s_delay_alu instid0(VALU_DEP_1) | instskip(SKIP_1) | instid1(VALU_DEP_1)
	v_add_co_ci_u32_e64 v10, null, s7, 0, s6
	s_waitcnt lgkmcnt(0)
	v_mad_i64_i32 v[1:2], null, s21, s17, v[9:10]
	v_mad_i64_i32 v[3:4], null, s13, s17, v[9:10]
	;; [unrolled: 1-line block ×7, first 2 shown]
	s_clause 0x9
	global_load_b128 v[57:60], v[1:2], off
	global_load_b128 v[61:64], v[1:2], off offset:16
	global_load_b128 v[41:44], v[3:4], off
	global_load_b128 v[45:48], v[3:4], off offset:16
	;; [unrolled: 2-line block ×5, first 2 shown]
	v_mad_i64_i32 v[68:69], null, s4, s17, v[9:10]
	s_clause 0x3
	global_load_b128 v[9:12], v[13:14], off
	global_load_b128 v[13:16], v[13:14], off offset:16
	global_load_b128 v[17:20], v[21:22], off
	global_load_b128 v[21:24], v[21:22], off offset:16
	s_waitcnt vmcnt(20)
	v_wmma_f32_16x16x16_bf16 v[116:123], v[49:56], v[108:115], v[100:107]
	s_clause 0x1
	global_load_b128 v[49:52], v[68:69], off
	global_load_b128 v[53:56], v[68:69], off offset:16
	v_and_b32_e32 v68, 0xe0, v0
	v_mbcnt_lo_u32_b32 v69, -1, 0
	s_delay_alu instid0(VALU_DEP_2)
	v_add_nc_u32_e32 v68, s12, v68
	s_waitcnt vmcnt(20)
	v_wmma_f32_16x16x16_bf16 v[100:107], v[76:83], v[108:115], v[100:107]
	ds_load_b128 v[76:79], v70 offset:2048
	ds_load_b128 v[80:83], v70 offset:3072
	v_xor_b32_e32 v70, 16, v69
	s_waitcnt vmcnt(0) lgkmcnt(0)
	v_or_b32_e32 v68, v68, v74
	s_barrier
	buffer_gl0_inv
	v_cmp_gt_i32_e32 vcc_lo, 32, v70
	v_or_b32_e32 v71, 4, v68
	v_or_b32_e32 v72, 6, v68
	v_cmp_gt_i32_e64 s3, s24, v68
	v_or_b32_e32 v108, 8, v68
	v_or_b32_e32 v109, 10, v68
	v_cmp_gt_i32_e64 s4, s24, v71
	v_cmp_gt_i32_e64 s5, s24, v72
	s_delay_alu instid0(VALU_DEP_4) | instskip(NEXT) | instid1(VALU_DEP_4)
	v_cmp_gt_i32_e64 s6, s24, v108
	v_cmp_gt_i32_e64 s7, s24, v109
	v_wmma_f32_16x16x16_bf16 v[116:123], v[84:91], v[76:83], v[116:123]
	v_cndmask_b32_e32 v69, v69, v70, vcc_lo
	v_or_b32_e32 v70, 2, v68
	v_wmma_f32_16x16x16_bf16 v[100:107], v[92:99], v[76:83], v[100:107]
	v_or_b32_e32 v84, 12, v68
	v_dual_mul_f32 v78, s19, v123 :: v_dual_mul_f32 v83, s19, v118
	v_dual_mul_f32 v92, s19, v117 :: v_dual_mul_f32 v93, s19, v116
	s_delay_alu instid0(VALU_DEP_4) | instskip(SKIP_2) | instid1(VALU_DEP_4)
	v_mul_f32_e32 v94, s19, v107
	v_cmp_gt_i32_e32 vcc_lo, s24, v70
	v_dual_mul_f32 v81, s19, v120 :: v_dual_mul_f32 v82, s19, v119
	v_cndmask_b32_e64 v93, 0xff7fffff, v93, s3
	v_or_b32_e32 v85, 14, v68
	v_cndmask_b32_e32 v92, 0xff7fffff, v92, vcc_lo
	v_dual_mul_f32 v79, s19, v122 :: v_dual_mul_f32 v80, s19, v121
	v_cndmask_b32_e64 v71, 0xff7fffff, v83, s4
	v_cndmask_b32_e64 v72, 0xff7fffff, v82, s5
	s_delay_alu instid0(VALU_DEP_4)
	v_max3_f32 v82, v93, 0xff7fffff, v92
	v_or_b32_e32 v86, 16, v68
	v_or_b32_e32 v87, 18, v68
	v_cndmask_b32_e64 v81, 0xff7fffff, v81, s6
	v_cndmask_b32_e64 v80, 0xff7fffff, v80, s7
	v_max3_f32 v71, v82, v71, v72
	v_cmp_gt_i32_e64 s8, s24, v84
	v_cmp_gt_i32_e64 s9, s24, v85
	v_or_b32_e32 v88, 20, v68
	v_or_b32_e32 v89, 22, v68
	;; [unrolled: 1-line block ×6, first 2 shown]
	v_dual_mul_f32 v99, s19, v102 :: v_dual_mul_f32 v70, s19, v101
	v_mul_f32_e32 v68, s19, v100
	v_cndmask_b32_e64 v72, 0xff7fffff, v79, s8
	v_cndmask_b32_e64 v78, 0xff7fffff, v78, s9
	v_max3_f32 v71, v71, v81, v80
	v_cmp_gt_i32_e64 s10, s24, v86
	v_cmp_gt_i32_e64 s11, s24, v87
	v_dual_mul_f32 v97, s19, v104 :: v_dual_mul_f32 v98, s19, v103
	s_delay_alu instid0(VALU_DEP_4) | instskip(SKIP_1) | instid1(VALU_DEP_4)
	v_max3_f32 v71, v71, v72, v78
	v_cmp_gt_i32_e64 s12, s24, v88
	v_cndmask_b32_e64 v70, 0xff7fffff, v70, s11
	v_cmp_gt_i32_e64 s13, s24, v89
	v_lshlrev_b32_e32 v89, 2, v69
	v_cndmask_b32_e64 v68, 0xff7fffff, v68, s10
	v_dual_mul_f32 v95, s19, v106 :: v_dual_mul_f32 v96, s19, v105
	v_cndmask_b32_e64 v72, 0xff7fffff, v99, s12
	v_cndmask_b32_e64 v78, 0xff7fffff, v98, s13
	s_delay_alu instid0(VALU_DEP_4)
	v_max3_f32 v68, v71, v68, v70
	v_cmp_gt_i32_e64 s15, s24, v90
	v_cmp_gt_i32_e64 s16, s24, v91
	;; [unrolled: 1-line block ×4, first 2 shown]
	v_max3_f32 v68, v68, v72, v78
	v_cndmask_b32_e64 v70, 0xff7fffff, v97, s15
	v_cndmask_b32_e64 v71, 0xff7fffff, v96, s16
	;; [unrolled: 1-line block ×4, first 2 shown]
	s_delay_alu instid0(VALU_DEP_3) | instskip(NEXT) | instid1(VALU_DEP_1)
	v_max3_f32 v68, v68, v70, v71
	v_max3_f32 v68, v68, v72, v76
	ds_bpermute_b32 v69, v89, v68
	s_waitcnt lgkmcnt(0)
	v_max_f32_e32 v69, v69, v69
	s_delay_alu instid0(VALU_DEP_1) | instskip(NEXT) | instid1(VALU_DEP_1)
	v_max_f32_e32 v68, v68, v69
	v_fma_f32 v71, s19, v118, -v68
	s_delay_alu instid0(VALU_DEP_1)
	v_mul_f32_e32 v71, 0x3fb8aa3b, v71
	v_fma_f32 v69, s19, v116, -v68
	v_fma_f32 v70, s19, v117, -v68
	;; [unrolled: 1-line block ×4, first 2 shown]
	v_exp_f32_e32 v71, v71
	s_delay_alu instid0(VALU_DEP_3) | instskip(SKIP_2) | instid1(VALU_DEP_3)
	v_dual_mul_f32 v69, 0x3fb8aa3b, v69 :: v_dual_mul_f32 v70, 0x3fb8aa3b, v70
	v_fma_f32 v78, s19, v122, -v68
	v_fma_f32 v81, s19, v105, -v68
	v_exp_f32_e32 v69, v69
	s_delay_alu instid0(VALU_DEP_3) | instskip(SKIP_1) | instid1(VALU_DEP_2)
	v_exp_f32_e32 v70, v70
	v_mul_f32_e32 v77, 0x3fb8aa3b, v76
	v_mul_f32_e32 v81, 0x3fb8aa3b, v81
	s_delay_alu instid0(TRANS32_DEP_3) | instskip(SKIP_1) | instid1(VALU_DEP_3)
	v_cndmask_b32_e64 v83, 0, v71, s4
	v_fma_f32 v71, s19, v123, -v68
	v_exp_f32_e32 v81, v81
	s_delay_alu instid0(TRANS32_DEP_3) | instskip(NEXT) | instid1(TRANS32_DEP_2)
	v_cndmask_b32_e64 v80, 0, v69, s3
	v_cndmask_b32_e32 v76, 0, v70, vcc_lo
	v_fma_f32 v69, s19, v121, -v68
	v_mul_f32_e32 v72, 0x3fb8aa3b, v72
	v_exp_f32_e32 v77, v77
	v_dual_add_f32 v70, 0, v80 :: v_dual_mul_f32 v71, 0x3fb8aa3b, v71
	s_delay_alu instid0(VALU_DEP_3) | instskip(NEXT) | instid1(VALU_DEP_3)
	v_mul_f32_e32 v69, 0x3fb8aa3b, v69
	v_exp_f32_e32 v72, v72
	s_mov_b32 s3, exec_lo
	s_delay_alu instid0(VALU_DEP_2) | instskip(NEXT) | instid1(VALU_DEP_1)
	v_exp_f32_e32 v71, v71
	v_exp_f32_e32 v69, v69
	v_cndmask_b32_e64 v86, 0, v77, s6
	v_fma_f32 v77, s19, v101, -v68
	v_add_f32_e32 v70, v70, v76
	s_delay_alu instid0(TRANS32_DEP_3) | instskip(SKIP_1) | instid1(VALU_DEP_3)
	v_cndmask_b32_e64 v85, 0, v72, s5
	v_fma_f32 v72, s19, v100, -v68
	v_dual_mul_f32 v77, 0x3fb8aa3b, v77 :: v_dual_add_f32 v70, v70, v83
	s_delay_alu instid0(TRANS32_DEP_2) | instskip(SKIP_1) | instid1(TRANS32_DEP_1)
	v_cndmask_b32_e64 v88, 0, v71, s9
	v_fma_f32 v71, s19, v104, -v68
	v_cndmask_b32_e64 v87, 0, v69, s7
	s_delay_alu instid0(VALU_DEP_4) | instskip(NEXT) | instid1(VALU_DEP_2)
	v_exp_f32_e32 v77, v77
	v_dual_add_f32 v70, v70, v85 :: v_dual_mul_f32 v71, 0x3fb8aa3b, v71
	s_delay_alu instid0(VALU_DEP_1) | instskip(SKIP_2) | instid1(VALU_DEP_3)
	v_dual_mul_f32 v72, 0x3fb8aa3b, v72 :: v_dual_add_f32 v69, v70, v86
	v_mul_f32_e32 v78, 0x3fb8aa3b, v78
	v_fma_f32 v70, s19, v102, -v68
	v_exp_f32_e32 v72, v72
	v_exp_f32_e32 v82, v71
	v_add_f32_e32 v69, v69, v87
	v_exp_f32_e32 v78, v78
	v_mul_f32_e32 v70, 0x3fb8aa3b, v70
	s_delay_alu instid0(VALU_DEP_1) | instskip(SKIP_4) | instid1(VALU_DEP_2)
	v_exp_f32_e32 v79, v70
	v_cndmask_b32_e64 v70, 0, v72, s10
	s_waitcnt_depctr 0xfff
	v_cndmask_b32_e64 v84, 0, v78, s8
	v_fma_f32 v78, s19, v103, -v68
	v_add_f32_e32 v69, v69, v84
	v_cndmask_b32_e64 v71, 0, v79, s12
	s_delay_alu instid0(VALU_DEP_2) | instskip(SKIP_2) | instid1(VALU_DEP_1)
	v_add_f32_e32 v72, v69, v88
	v_cndmask_b32_e64 v69, 0, v77, s11
	v_fma_f32 v77, s19, v106, -v68
	v_dual_mul_f32 v77, 0x3fb8aa3b, v77 :: v_dual_add_f32 v72, v72, v70
	v_mul_f32_e32 v78, 0x3fb8aa3b, v78
	s_delay_alu instid0(VALU_DEP_2) | instskip(NEXT) | instid1(VALU_DEP_2)
	v_exp_f32_e32 v90, v77
	v_add_f32_e32 v79, v72, v69
	s_delay_alu instid0(VALU_DEP_2)
	v_exp_f32_e32 v78, v78
	v_cndmask_b32_e64 v77, 0, v82, s15
	s_waitcnt_depctr 0xfff
	v_cndmask_b32_e64 v72, 0, v78, s13
	v_add_f32_e32 v78, v79, v71
	v_fma_f32 v79, s19, v107, -v68
	s_delay_alu instid0(VALU_DEP_1) | instskip(SKIP_1) | instid1(VALU_DEP_2)
	v_dual_add_f32 v82, v78, v72 :: v_dual_mul_f32 v79, 0x3fb8aa3b, v79
	v_cndmask_b32_e64 v78, 0, v81, s16
	v_add_f32_e32 v81, v82, v77
	s_delay_alu instid0(VALU_DEP_3) | instskip(SKIP_1) | instid1(VALU_DEP_2)
	v_exp_f32_e32 v82, v79
	v_cndmask_b32_e64 v79, 0, v90, s17
	v_add_f32_e32 v81, v81, v78
	s_delay_alu instid0(VALU_DEP_1) | instskip(SKIP_2) | instid1(VALU_DEP_1)
	v_add_f32_e32 v90, v81, v79
	s_waitcnt_depctr 0xfff
	v_cndmask_b32_e64 v81, 0, v82, s18
	v_add_f32_e32 v82, v90, v81
	ds_bpermute_b32 v89, v89, v82
	v_cmpx_gt_u32_e32 16, v67
	s_cbranch_execz .LBB1747_12
; %bb.11:
	v_mul_u32_u24_e32 v67, 0x44, v66
	s_delay_alu instid0(VALU_DEP_1) | instskip(SKIP_1) | instid1(VALU_DEP_1)
	v_lshl_add_u32 v67, v65, 2, v67
	s_waitcnt lgkmcnt(0)
	v_dual_add_f32 v82, v82, v89 :: v_dual_add_nc_u32 v67, 0x4000, v67
	ds_store_2addr_b32 v67, v68, v82 offset1:136
.LBB1747_12:
	s_or_b32 exec_lo, exec_lo, s3
	v_lshlrev_b32_e32 v67, 2, v65
	s_waitcnt lgkmcnt(0)
	s_barrier
	buffer_gl0_inv
	v_cmp_eq_u32_e32 vcc_lo, 1, v66
	v_add_nc_u32_e32 v82, 0x4000, v67
	v_cmp_eq_u32_e64 s3, 2, v66
	v_cmp_eq_u32_e64 s5, 7, v66
	ds_load_2addr_b32 v[89:90], v82 offset1:17
	ds_load_2addr_b32 v[91:92], v82 offset0:34 offset1:51
	ds_load_2addr_b32 v[93:94], v82 offset0:68 offset1:85
	;; [unrolled: 1-line block ×4, first 2 shown]
	s_waitcnt lgkmcnt(4)
	v_max3_f32 v67, v89, 0xff7fffff, v90
	s_waitcnt lgkmcnt(3)
	s_delay_alu instid0(VALU_DEP_1) | instskip(SKIP_1) | instid1(VALU_DEP_1)
	v_max3_f32 v67, v67, v91, v92
	s_waitcnt lgkmcnt(2)
	v_max3_f32 v67, v67, v93, v94
	s_waitcnt lgkmcnt(1)
	s_delay_alu instid0(VALU_DEP_1) | instskip(NEXT) | instid1(VALU_DEP_1)
	v_max3_f32 v67, v67, v95, v96
	v_sub_f32_e32 v93, v93, v67
	s_delay_alu instid0(VALU_DEP_1) | instskip(NEXT) | instid1(VALU_DEP_1)
	v_dual_sub_f32 v68, v89, v67 :: v_dual_mul_f32 v103, 0x3fb8aa3b, v93
	v_mul_f32_e32 v68, 0x3fb8aa3b, v68
	s_delay_alu instid0(VALU_DEP_1)
	v_exp_f32_e32 v100, v68
	v_sub_f32_e32 v68, v92, v67
	v_sub_f32_e32 v99, v90, v67
	ds_load_2addr_b32 v[89:90], v82 offset0:170 offset1:187
	v_dual_mul_f32 v102, 0x3fb8aa3b, v68 :: v_dual_mul_f32 v99, 0x3fb8aa3b, v99
	s_waitcnt lgkmcnt(1)
	v_fma_f32 v68, v100, v97, 0
	s_delay_alu instid0(VALU_DEP_2) | instskip(NEXT) | instid1(VALU_DEP_2)
	v_exp_f32_e32 v102, v102
	v_exp_f32_e32 v99, v99
	s_waitcnt_depctr 0xfff
	v_fmac_f32_e32 v68, v99, v98
	v_sub_f32_e32 v91, v91, v67
	s_delay_alu instid0(VALU_DEP_1)
	v_mul_f32_e32 v101, 0x3fb8aa3b, v91
	ds_load_2addr_b32 v[91:92], v82 offset0:204 offset1:221
	v_sub_f32_e32 v97, v94, v67
	ds_load_2addr_b32 v[93:94], v82 offset0:238 offset1:255
	s_waitcnt lgkmcnt(0)
	v_exp_f32_e32 v101, v101
	s_barrier
	buffer_gl0_inv
	v_dual_fmac_f32 v68, v101, v89 :: v_dual_sub_f32 v89, v96, v67
	v_dual_sub_f32 v82, v95, v67 :: v_dual_mul_f32 v95, 0x3fb8aa3b, v97
	v_exp_f32_e32 v97, v103
	s_delay_alu instid0(VALU_DEP_2) | instskip(NEXT) | instid1(VALU_DEP_2)
	v_dual_fmac_f32 v68, v102, v90 :: v_dual_mul_f32 v89, 0x3fb8aa3b, v89
	v_mul_f32_e32 v82, 0x3fb8aa3b, v82
	s_delay_alu instid0(VALU_DEP_3) | instskip(NEXT) | instid1(VALU_DEP_2)
	v_exp_f32_e32 v95, v95
	v_exp_f32_e32 v89, v89
	s_delay_alu instid0(VALU_DEP_1)
	v_exp_f32_e32 v82, v82
	v_fmac_f32_e32 v68, v97, v91
	s_delay_alu instid0(TRANS32_DEP_3) | instid1(VALU_DEP_1)
	v_fmac_f32_e32 v68, v95, v92
	s_waitcnt_depctr 0xfff
	v_fmac_f32_e32 v68, v82, v93
	s_delay_alu instid0(VALU_DEP_1) | instskip(NEXT) | instid1(VALU_DEP_1)
	v_fmac_f32_e32 v68, v89, v94
	v_add_f32_e32 v90, 0x358637bd, v68
	s_delay_alu instid0(VALU_DEP_1) | instskip(NEXT) | instid1(VALU_DEP_1)
	v_div_scale_f32 v91, null, v90, v90, 1.0
	v_rcp_f32_e32 v92, v91
	s_waitcnt_depctr 0xfff
	v_fma_f32 v93, -v91, v92, 1.0
	s_delay_alu instid0(VALU_DEP_1) | instskip(SKIP_1) | instid1(VALU_DEP_2)
	v_dual_fmac_f32 v92, v93, v92 :: v_dual_cndmask_b32 v93, v100, v99
	v_cmp_eq_u32_e32 vcc_lo, 3, v66
	v_cndmask_b32_e64 v93, v93, v101, s3
	v_cmp_eq_u32_e64 s3, 4, v66
	s_delay_alu instid0(VALU_DEP_2) | instskip(SKIP_1) | instid1(VALU_DEP_2)
	v_cndmask_b32_e32 v93, v93, v102, vcc_lo
	v_cmp_eq_u32_e32 vcc_lo, 5, v66
	v_cndmask_b32_e64 v93, v93, v97, s3
	v_cmp_eq_u32_e64 s3, 6, v66
	s_delay_alu instid0(VALU_DEP_2) | instskip(SKIP_1) | instid1(VALU_DEP_1)
	v_cndmask_b32_e32 v93, v93, v95, vcc_lo
	v_div_scale_f32 v94, s4, 1.0, v90, 1.0
	s_mov_b32 vcc_lo, s4
	s_delay_alu instid0(VALU_DEP_2) | instskip(NEXT) | instid1(VALU_DEP_2)
	v_cndmask_b32_e64 v82, v93, v82, s3
	v_mul_f32_e32 v96, v94, v92
	s_mov_b32 s3, exec_lo
	s_delay_alu instid0(VALU_DEP_2) | instskip(NEXT) | instid1(VALU_DEP_2)
	v_cndmask_b32_e64 v82, v82, v89, s5
	v_fma_f32 v98, -v91, v96, v94
	s_delay_alu instid0(VALU_DEP_1) | instskip(NEXT) | instid1(VALU_DEP_1)
	v_fmac_f32_e32 v96, v98, v92
	v_fma_f32 v91, -v91, v96, v94
	s_delay_alu instid0(VALU_DEP_1) | instskip(NEXT) | instid1(VALU_DEP_1)
	v_div_fmas_f32 v91, v91, v92, v96
	v_div_fixup_f32 v90, v91, v90, 1.0
	s_delay_alu instid0(VALU_DEP_1) | instskip(NEXT) | instid1(VALU_DEP_1)
	v_mul_f32_e32 v82, v82, v90
	v_mul_f32_e32 v87, v82, v87
	;; [unrolled: 1-line block ×7, first 2 shown]
	v_dual_mul_f32 v86, v82, v83 :: v_dual_and_b32 v91, 0x7f800000, v90
	v_mul_f32_e32 v85, v82, v76
                                        ; implicit-def: $vgpr76
	s_delay_alu instid0(VALU_DEP_2)
	v_cmpx_ne_u32_e32 0x7f800000, v91
	s_xor_b32 s3, exec_lo, s3
; %bb.13:
	v_bfe_u32 v76, v90, 16, 1
	s_delay_alu instid0(VALU_DEP_1)
	v_add3_u32 v76, v90, v76, 0x7fff
                                        ; implicit-def: $vgpr90
; %bb.14:
	s_and_not1_saveexec_b32 s3, s3
; %bb.15:
	v_and_b32_e32 v76, 0xffff, v90
	v_or_b32_e32 v83, 0x10000, v90
	s_delay_alu instid0(VALU_DEP_2) | instskip(NEXT) | instid1(VALU_DEP_2)
	v_cmp_eq_u32_e32 vcc_lo, 0, v76
	v_cndmask_b32_e32 v76, v83, v90, vcc_lo
; %bb.16:
	s_or_b32 exec_lo, exec_lo, s3
	v_and_b32_e32 v83, 0x7f800000, v85
	s_delay_alu instid0(VALU_DEP_1) | instskip(SKIP_1) | instid1(SALU_CYCLE_1)
	v_cmp_ne_u32_e32 vcc_lo, 0x7f800000, v83
                                        ; implicit-def: $vgpr83
	s_and_saveexec_b32 s3, vcc_lo
	s_xor_b32 s3, exec_lo, s3
; %bb.17:
	v_bfe_u32 v83, v85, 16, 1
	s_delay_alu instid0(VALU_DEP_1)
	v_add3_u32 v83, v85, v83, 0x7fff
                                        ; implicit-def: $vgpr85
; %bb.18:
	s_and_not1_saveexec_b32 s3, s3
; %bb.19:
	v_and_b32_e32 v83, 0xffff, v85
	v_or_b32_e32 v90, 0x10000, v85
	s_delay_alu instid0(VALU_DEP_2) | instskip(NEXT) | instid1(VALU_DEP_2)
	v_cmp_eq_u32_e32 vcc_lo, 0, v83
	v_cndmask_b32_e32 v83, v90, v85, vcc_lo
; %bb.20:
	s_or_b32 exec_lo, exec_lo, s3
	v_and_b32_e32 v85, 0x7f800000, v86
	s_delay_alu instid0(VALU_DEP_1) | instskip(SKIP_1) | instid1(SALU_CYCLE_1)
	v_cmp_ne_u32_e32 vcc_lo, 0x7f800000, v85
                                        ; implicit-def: $vgpr85
	s_and_saveexec_b32 s3, vcc_lo
	s_xor_b32 s3, exec_lo, s3
; %bb.21:
	v_bfe_u32 v85, v86, 16, 1
	s_delay_alu instid0(VALU_DEP_1)
	v_add3_u32 v85, v86, v85, 0x7fff
                                        ; implicit-def: $vgpr86
; %bb.22:
	s_and_not1_saveexec_b32 s3, s3
; %bb.23:
	v_and_b32_e32 v85, 0xffff, v86
	v_or_b32_e32 v90, 0x10000, v86
	s_delay_alu instid0(VALU_DEP_2) | instskip(NEXT) | instid1(VALU_DEP_2)
	v_cmp_eq_u32_e32 vcc_lo, 0, v85
	v_cndmask_b32_e32 v85, v90, v86, vcc_lo
; %bb.24:
	s_or_b32 exec_lo, exec_lo, s3
	v_and_b32_e32 v86, 0x7f800000, v89
	s_delay_alu instid0(VALU_DEP_1) | instskip(SKIP_1) | instid1(SALU_CYCLE_1)
	v_cmp_ne_u32_e32 vcc_lo, 0x7f800000, v86
                                        ; implicit-def: $vgpr86
	s_and_saveexec_b32 s3, vcc_lo
	s_xor_b32 s3, exec_lo, s3
; %bb.25:
	v_bfe_u32 v86, v89, 16, 1
	s_delay_alu instid0(VALU_DEP_1)
	v_add3_u32 v86, v89, v86, 0x7fff
                                        ; implicit-def: $vgpr89
; %bb.26:
	s_and_not1_saveexec_b32 s3, s3
; %bb.27:
	v_and_b32_e32 v86, 0xffff, v89
	v_or_b32_e32 v90, 0x10000, v89
	s_delay_alu instid0(VALU_DEP_2) | instskip(NEXT) | instid1(VALU_DEP_2)
	v_cmp_eq_u32_e32 vcc_lo, 0, v86
	v_cndmask_b32_e32 v86, v90, v89, vcc_lo
; %bb.28:
	s_or_b32 exec_lo, exec_lo, s3
	v_and_b32_e32 v89, 0x7f800000, v88
	s_delay_alu instid0(VALU_DEP_1) | instskip(SKIP_1) | instid1(SALU_CYCLE_1)
	v_cmp_ne_u32_e32 vcc_lo, 0x7f800000, v89
                                        ; implicit-def: $vgpr89
	s_and_saveexec_b32 s3, vcc_lo
	s_xor_b32 s3, exec_lo, s3
; %bb.29:
	v_bfe_u32 v89, v88, 16, 1
	s_delay_alu instid0(VALU_DEP_1)
	v_add3_u32 v89, v88, v89, 0x7fff
                                        ; implicit-def: $vgpr88
; %bb.30:
	s_and_not1_saveexec_b32 s3, s3
; %bb.31:
	v_and_b32_e32 v89, 0xffff, v88
	v_or_b32_e32 v90, 0x10000, v88
	s_delay_alu instid0(VALU_DEP_2) | instskip(NEXT) | instid1(VALU_DEP_2)
	v_cmp_eq_u32_e32 vcc_lo, 0, v89
	v_cndmask_b32_e32 v89, v90, v88, vcc_lo
; %bb.32:
	s_or_b32 exec_lo, exec_lo, s3
	v_and_b32_e32 v88, 0x7f800000, v87
	s_delay_alu instid0(VALU_DEP_1) | instskip(SKIP_1) | instid1(SALU_CYCLE_1)
	v_cmp_ne_u32_e32 vcc_lo, 0x7f800000, v88
                                        ; implicit-def: $vgpr88
	s_and_saveexec_b32 s3, vcc_lo
	s_xor_b32 s3, exec_lo, s3
; %bb.33:
	v_bfe_u32 v88, v87, 16, 1
	s_delay_alu instid0(VALU_DEP_1)
	v_add3_u32 v88, v87, v88, 0x7fff
                                        ; implicit-def: $vgpr87
; %bb.34:
	s_and_not1_saveexec_b32 s3, s3
; %bb.35:
	v_and_b32_e32 v88, 0xffff, v87
	v_or_b32_e32 v90, 0x10000, v87
	s_delay_alu instid0(VALU_DEP_2) | instskip(NEXT) | instid1(VALU_DEP_2)
	v_cmp_eq_u32_e32 vcc_lo, 0, v88
	v_cndmask_b32_e32 v88, v90, v87, vcc_lo
; %bb.36:
	s_or_b32 exec_lo, exec_lo, s3
	v_and_b32_e32 v87, 0x7f800000, v84
	s_delay_alu instid0(VALU_DEP_1) | instskip(SKIP_1) | instid1(SALU_CYCLE_1)
	v_cmp_ne_u32_e32 vcc_lo, 0x7f800000, v87
                                        ; implicit-def: $vgpr87
	s_and_saveexec_b32 s3, vcc_lo
	s_xor_b32 s3, exec_lo, s3
; %bb.37:
	v_bfe_u32 v87, v84, 16, 1
	s_delay_alu instid0(VALU_DEP_1)
	v_add3_u32 v87, v84, v87, 0x7fff
                                        ; implicit-def: $vgpr84
; %bb.38:
	s_and_not1_saveexec_b32 s3, s3
; %bb.39:
	v_and_b32_e32 v87, 0xffff, v84
	v_or_b32_e32 v90, 0x10000, v84
	s_delay_alu instid0(VALU_DEP_2) | instskip(NEXT) | instid1(VALU_DEP_2)
	v_cmp_eq_u32_e32 vcc_lo, 0, v87
	v_cndmask_b32_e32 v87, v90, v84, vcc_lo
; %bb.40:
	s_or_b32 exec_lo, exec_lo, s3
	v_and_b32_e32 v84, 0x7f800000, v80
	s_delay_alu instid0(VALU_DEP_1) | instskip(SKIP_1) | instid1(SALU_CYCLE_1)
	v_cmp_ne_u32_e32 vcc_lo, 0x7f800000, v84
                                        ; implicit-def: $vgpr84
	s_and_saveexec_b32 s3, vcc_lo
	s_xor_b32 s3, exec_lo, s3
; %bb.41:
	v_bfe_u32 v84, v80, 16, 1
	s_delay_alu instid0(VALU_DEP_1)
	v_add3_u32 v84, v80, v84, 0x7fff
                                        ; implicit-def: $vgpr80
; %bb.42:
	s_and_not1_saveexec_b32 s3, s3
; %bb.43:
	v_and_b32_e32 v84, 0xffff, v80
	v_or_b32_e32 v90, 0x10000, v80
	s_delay_alu instid0(VALU_DEP_2) | instskip(NEXT) | instid1(VALU_DEP_2)
	v_cmp_eq_u32_e32 vcc_lo, 0, v84
	v_cndmask_b32_e32 v84, v90, v80, vcc_lo
; %bb.44:
	s_or_b32 exec_lo, exec_lo, s3
	s_load_b64 s[34:35], s[0:1], 0x94
	v_lshlrev_b32_e32 v91, 4, v74
	s_delay_alu instid0(VALU_DEP_2)
	v_perm_b32 v90, v84, v87, 0x7060302
	v_dual_mul_f32 v79, v82, v79 :: v_dual_lshlrev_b32 v80, 6, v65
	v_dual_mul_f32 v77, v82, v77 :: v_dual_lshlrev_b32 v92, 11, v66
	v_mul_f32_e32 v84, v82, v70
	v_perm_b32 v89, v88, v89, 0x7060302
	v_perm_b32 v88, v86, v85, 0x7060302
	v_perm_b32 v87, v83, v76, 0x7060302
	v_mul_f32_e32 v70, v82, v81
	v_or3_b32 v76, v91, v92, v80
	v_dual_mul_f32 v78, v82, v78 :: v_dual_and_b32 v85, 0x7f800000, v84
	v_mul_f32_e32 v83, v82, v72
	v_mul_f32_e32 v81, v82, v71
	;; [unrolled: 1-line block ×3, first 2 shown]
	s_mov_b32 s3, exec_lo
	ds_store_b128 v76, v[87:90]
                                        ; implicit-def: $vgpr69
	v_cmpx_ne_u32_e32 0x7f800000, v85
	s_xor_b32 s3, exec_lo, s3
; %bb.45:
	v_bfe_u32 v69, v84, 16, 1
	s_delay_alu instid0(VALU_DEP_1)
	v_add3_u32 v69, v84, v69, 0x7fff
                                        ; implicit-def: $vgpr84
; %bb.46:
	s_and_not1_saveexec_b32 s3, s3
; %bb.47:
	v_and_b32_e32 v69, 0xffff, v84
	v_or_b32_e32 v71, 0x10000, v84
	s_delay_alu instid0(VALU_DEP_2) | instskip(NEXT) | instid1(VALU_DEP_2)
	v_cmp_eq_u32_e32 vcc_lo, 0, v69
	v_cndmask_b32_e32 v69, v71, v84, vcc_lo
; %bb.48:
	s_or_b32 exec_lo, exec_lo, s3
	v_and_b32_e32 v71, 0x7f800000, v72
	s_delay_alu instid0(VALU_DEP_1) | instskip(SKIP_1) | instid1(SALU_CYCLE_1)
	v_cmp_ne_u32_e32 vcc_lo, 0x7f800000, v71
                                        ; implicit-def: $vgpr71
	s_and_saveexec_b32 s3, vcc_lo
	s_xor_b32 s3, exec_lo, s3
; %bb.49:
	v_bfe_u32 v71, v72, 16, 1
	s_delay_alu instid0(VALU_DEP_1)
	v_add3_u32 v71, v72, v71, 0x7fff
                                        ; implicit-def: $vgpr72
; %bb.50:
	s_and_not1_saveexec_b32 s3, s3
; %bb.51:
	v_and_b32_e32 v71, 0xffff, v72
	v_or_b32_e32 v82, 0x10000, v72
	s_delay_alu instid0(VALU_DEP_2) | instskip(NEXT) | instid1(VALU_DEP_2)
	v_cmp_eq_u32_e32 vcc_lo, 0, v71
	v_cndmask_b32_e32 v71, v82, v72, vcc_lo
; %bb.52:
	s_or_b32 exec_lo, exec_lo, s3
	v_and_b32_e32 v72, 0x7f800000, v81
	s_delay_alu instid0(VALU_DEP_1) | instskip(SKIP_1) | instid1(SALU_CYCLE_1)
	v_cmp_ne_u32_e32 vcc_lo, 0x7f800000, v72
                                        ; implicit-def: $vgpr72
	s_and_saveexec_b32 s3, vcc_lo
	s_xor_b32 s3, exec_lo, s3
; %bb.53:
	v_bfe_u32 v72, v81, 16, 1
	s_delay_alu instid0(VALU_DEP_1)
	v_add3_u32 v72, v81, v72, 0x7fff
                                        ; implicit-def: $vgpr81
; %bb.54:
	s_and_not1_saveexec_b32 s3, s3
; %bb.55:
	v_and_b32_e32 v72, 0xffff, v81
	v_or_b32_e32 v82, 0x10000, v81
	s_delay_alu instid0(VALU_DEP_2) | instskip(NEXT) | instid1(VALU_DEP_2)
	v_cmp_eq_u32_e32 vcc_lo, 0, v72
	v_cndmask_b32_e32 v72, v82, v81, vcc_lo
; %bb.56:
	s_or_b32 exec_lo, exec_lo, s3
	v_and_b32_e32 v81, 0x7f800000, v83
	s_delay_alu instid0(VALU_DEP_1) | instskip(SKIP_1) | instid1(SALU_CYCLE_1)
	v_cmp_ne_u32_e32 vcc_lo, 0x7f800000, v81
                                        ; implicit-def: $vgpr81
	s_and_saveexec_b32 s3, vcc_lo
	s_xor_b32 s3, exec_lo, s3
; %bb.57:
	v_bfe_u32 v81, v83, 16, 1
	s_delay_alu instid0(VALU_DEP_1)
	v_add3_u32 v81, v83, v81, 0x7fff
                                        ; implicit-def: $vgpr83
; %bb.58:
	s_and_not1_saveexec_b32 s3, s3
; %bb.59:
	v_and_b32_e32 v81, 0xffff, v83
	v_or_b32_e32 v82, 0x10000, v83
	s_delay_alu instid0(VALU_DEP_2) | instskip(NEXT) | instid1(VALU_DEP_2)
	v_cmp_eq_u32_e32 vcc_lo, 0, v81
	v_cndmask_b32_e32 v81, v82, v83, vcc_lo
; %bb.60:
	s_or_b32 exec_lo, exec_lo, s3
	v_and_b32_e32 v82, 0x7f800000, v77
	s_delay_alu instid0(VALU_DEP_1) | instskip(SKIP_1) | instid1(SALU_CYCLE_1)
	v_cmp_ne_u32_e32 vcc_lo, 0x7f800000, v82
                                        ; implicit-def: $vgpr82
	s_and_saveexec_b32 s3, vcc_lo
	s_xor_b32 s3, exec_lo, s3
; %bb.61:
	v_bfe_u32 v82, v77, 16, 1
	s_delay_alu instid0(VALU_DEP_1)
	v_add3_u32 v82, v77, v82, 0x7fff
                                        ; implicit-def: $vgpr77
; %bb.62:
	s_and_not1_saveexec_b32 s3, s3
; %bb.63:
	v_and_b32_e32 v82, 0xffff, v77
	v_or_b32_e32 v83, 0x10000, v77
	s_delay_alu instid0(VALU_DEP_2) | instskip(NEXT) | instid1(VALU_DEP_2)
	v_cmp_eq_u32_e32 vcc_lo, 0, v82
	v_cndmask_b32_e32 v82, v83, v77, vcc_lo
; %bb.64:
	s_or_b32 exec_lo, exec_lo, s3
	v_and_b32_e32 v77, 0x7f800000, v78
	s_delay_alu instid0(VALU_DEP_1) | instskip(SKIP_1) | instid1(SALU_CYCLE_1)
	v_cmp_ne_u32_e32 vcc_lo, 0x7f800000, v77
                                        ; implicit-def: $vgpr77
	s_and_saveexec_b32 s3, vcc_lo
	s_xor_b32 s3, exec_lo, s3
; %bb.65:
	v_bfe_u32 v77, v78, 16, 1
	s_delay_alu instid0(VALU_DEP_1)
	v_add3_u32 v77, v78, v77, 0x7fff
                                        ; implicit-def: $vgpr78
; %bb.66:
	s_and_not1_saveexec_b32 s3, s3
; %bb.67:
	v_and_b32_e32 v77, 0xffff, v78
	v_or_b32_e32 v83, 0x10000, v78
	s_delay_alu instid0(VALU_DEP_2) | instskip(NEXT) | instid1(VALU_DEP_2)
	v_cmp_eq_u32_e32 vcc_lo, 0, v77
	v_cndmask_b32_e32 v77, v83, v78, vcc_lo
; %bb.68:
	s_or_b32 exec_lo, exec_lo, s3
	v_and_b32_e32 v78, 0x7f800000, v79
	s_delay_alu instid0(VALU_DEP_1) | instskip(SKIP_1) | instid1(SALU_CYCLE_1)
	v_cmp_ne_u32_e32 vcc_lo, 0x7f800000, v78
                                        ; implicit-def: $vgpr78
	s_and_saveexec_b32 s3, vcc_lo
	s_xor_b32 s3, exec_lo, s3
; %bb.69:
	v_bfe_u32 v78, v79, 16, 1
	s_delay_alu instid0(VALU_DEP_1)
	v_add3_u32 v78, v79, v78, 0x7fff
                                        ; implicit-def: $vgpr79
; %bb.70:
	s_and_not1_saveexec_b32 s3, s3
; %bb.71:
	v_and_b32_e32 v78, 0xffff, v79
	v_or_b32_e32 v83, 0x10000, v79
	s_delay_alu instid0(VALU_DEP_2) | instskip(NEXT) | instid1(VALU_DEP_2)
	v_cmp_eq_u32_e32 vcc_lo, 0, v78
	v_cndmask_b32_e32 v78, v83, v79, vcc_lo
; %bb.72:
	s_or_b32 exec_lo, exec_lo, s3
	v_and_b32_e32 v79, 0x7f800000, v70
	s_delay_alu instid0(VALU_DEP_1) | instskip(SKIP_1) | instid1(SALU_CYCLE_1)
	v_cmp_ne_u32_e32 vcc_lo, 0x7f800000, v79
                                        ; implicit-def: $vgpr79
	s_and_saveexec_b32 s3, vcc_lo
	s_xor_b32 s3, exec_lo, s3
; %bb.73:
	v_bfe_u32 v79, v70, 16, 1
	s_delay_alu instid0(VALU_DEP_1)
	v_add3_u32 v79, v70, v79, 0x7fff
                                        ; implicit-def: $vgpr70
; %bb.74:
	s_and_not1_saveexec_b32 s3, s3
; %bb.75:
	v_and_b32_e32 v79, 0xffff, v70
	v_or_b32_e32 v83, 0x10000, v70
	s_delay_alu instid0(VALU_DEP_2) | instskip(NEXT) | instid1(VALU_DEP_2)
	v_cmp_eq_u32_e32 vcc_lo, 0, v79
	v_cndmask_b32_e32 v79, v83, v70, vcc_lo
; %bb.76:
	s_or_b32 exec_lo, exec_lo, s3
	s_delay_alu instid0(VALU_DEP_1)
	v_perm_b32 v86, v79, v78, 0x7060302
	v_perm_b32 v85, v77, v82, 0x7060302
	;; [unrolled: 1-line block ×4, first 2 shown]
	v_lshl_or_b32 v82, v66, 11, v80
	ds_store_b128 v76, v[83:86] offset:1024
	s_waitcnt lgkmcnt(0)
	s_barrier
	buffer_gl0_inv
	ds_load_b128 v[69:72], v82
	ds_load_b128 v[83:86], v82 offset:16
	s_waitcnt lgkmcnt(1)
	v_lshrrev_b32_e32 v66, 16, v69
	s_waitcnt lgkmcnt(0)
	v_lshrrev_b32_e32 v91, 16, v83
	v_lshlrev_b32_e32 v78, 2, v74
	v_lshrrev_b32_e32 v95, 16, v70
	v_lshrrev_b32_e32 v98, 16, v84
	;; [unrolled: 1-line block ×4, first 2 shown]
	v_cmp_eq_u32_e32 vcc_lo, 1, v78
	v_lshrrev_b32_e32 v97, 16, v72
	v_lshrrev_b32_e32 v100, 16, v86
	v_cndmask_b32_e32 v87, v83, v91, vcc_lo
	v_or_b32_e32 v79, 1, v78
	v_cndmask_b32_e32 v81, v69, v66, vcc_lo
	v_cmp_eq_u32_e64 s4, 2, v78
	v_cmp_eq_u32_e64 s7, 3, v78
	;; [unrolled: 1-line block ×5, first 2 shown]
	v_cndmask_b32_e64 v81, v81, v70, s4
	v_cndmask_b32_e64 v87, v87, v84, s4
	v_cmp_eq_u32_e64 s8, 3, v79
	v_cndmask_b32_e64 v88, v69, v66, s3
	v_or_b32_e32 v77, 2, v78
	v_cndmask_b32_e64 v81, v81, v95, s7
	v_cndmask_b32_e64 v87, v87, v98, s7
	;; [unrolled: 1-line block ×4, first 2 shown]
	v_cmp_eq_u32_e64 s10, 5, v78
	v_cndmask_b32_e64 v81, v81, v71, s9
	v_cndmask_b32_e64 v87, v87, v85, s9
	v_cmp_eq_u32_e64 s11, 4, v79
	v_cndmask_b32_e64 v88, v88, v95, s8
	v_cmp_eq_u32_e64 s5, 1, v77
	v_cndmask_b32_e64 v89, v89, v84, s6
	v_cndmask_b32_e64 v81, v81, v96, s10
	v_cmp_eq_u32_e64 s12, 6, v78
	v_cndmask_b32_e64 v88, v88, v71, s11
	;; [unrolled: 3-line block ×3, first 2 shown]
	v_cndmask_b32_e64 v89, v89, v98, s8
	v_cndmask_b32_e64 v81, v81, v72, s12
	v_cmp_eq_u32_e64 s15, 7, v78
	v_cndmask_b32_e64 v88, v88, v96, s13
	v_cndmask_b32_e64 v87, v87, v86, s12
	v_cmp_eq_u32_e64 s16, 6, v79
	v_cmp_eq_u32_e64 s17, 2, v77
	v_cndmask_b32_e64 v89, v89, v85, s11
	v_cndmask_b32_e64 v101, v81, v97, s15
	;; [unrolled: 1-line block ×6, first 2 shown]
	v_cmp_eq_u32_e64 s18, 7, v79
	v_cmp_eq_u32_e64 s19, 3, v77
	;; [unrolled: 1-line block ×4, first 2 shown]
	v_cndmask_b32_e64 v87, v87, v84, s17
	v_cndmask_b32_e64 v103, v88, v97, s18
	v_cndmask_b32_e64 v88, v89, v99, s13
	v_cndmask_b32_e64 v89, v81, v95, s19
	v_or_b32_e32 v81, 3, v78
	v_cndmask_b32_e64 v93, v87, v98, s19
	v_cmp_eq_u32_e64 s24, 6, v77
	v_cndmask_b32_e64 v104, v88, v86, s16
	v_cndmask_b32_e64 v92, v89, v71, s20
	v_cmp_eq_u32_e64 s21, 1, v81
	ds_load_b128 v[87:90], v82 offset:1024
	v_cmp_eq_u32_e64 s23, 2, v81
	v_cmp_eq_u32_e64 s25, 3, v81
	v_cndmask_b32_e64 v105, v92, v96, s22
	v_cndmask_b32_e64 v66, v69, v66, s21
	;; [unrolled: 1-line block ×4, first 2 shown]
	ds_load_b128 v[91:94], v82 offset:1040
	v_cmp_eq_u32_e64 s26, 4, v81
	v_cndmask_b32_e64 v66, v66, v70, s23
	v_cmp_eq_u32_e64 s27, 7, v77
	v_cndmask_b32_e64 v70, v83, v84, s23
	v_cndmask_b32_e64 v84, v105, v72, s24
	v_cmp_eq_u32_e64 s28, 5, v81
	v_cndmask_b32_e64 v66, v66, v95, s25
	v_cmp_eq_u32_e64 s29, 6, v81
	v_cndmask_b32_e64 v70, v70, v98, s25
	v_cndmask_b32_e64 v69, v69, v99, s22
	;; [unrolled: 1-line block ×4, first 2 shown]
	s_waitcnt lgkmcnt(1)
	v_lshrrev_b32_e32 v95, 16, v87
	v_cndmask_b32_e64 v70, v70, v85, s26
	v_cndmask_b32_e64 v71, v84, v97, s27
	;; [unrolled: 1-line block ×4, first 2 shown]
	v_cndmask_b32_e32 v84, v87, v95, vcc_lo
	v_cndmask_b32_e64 v70, v70, v99, s28
	s_waitcnt lgkmcnt(0)
	v_lshrrev_b32_e32 v85, 16, v91
	v_lshrrev_b32_e32 v96, 16, v88
	v_cndmask_b32_e64 v98, v87, v95, s3
	v_cndmask_b32_e64 v84, v84, v88, s4
	;; [unrolled: 1-line block ×3, first 2 shown]
	v_cndmask_b32_e32 v99, v91, v85, vcc_lo
	v_cmp_eq_u32_e32 vcc_lo, 7, v81
	v_cndmask_b32_e64 v66, v66, v72, s29
	v_cndmask_b32_e64 v72, v84, v96, s7
	;; [unrolled: 1-line block ×3, first 2 shown]
	v_lshrrev_b32_e32 v98, 16, v92
	v_cndmask_b32_e32 v70, v70, v100, vcc_lo
	v_cndmask_b32_e64 v86, v99, v92, s4
	v_cndmask_b32_e64 v69, v69, v100, s27
	v_lshrrev_b32_e32 v100, 16, v93
	v_cndmask_b32_e64 v72, v72, v89, s9
	v_lshrrev_b32_e32 v99, 16, v89
	v_cndmask_b32_e64 v86, v86, v98, s7
	v_perm_b32 v71, v69, v71, 0x5040100
	v_cndmask_b32_e64 v84, v84, v96, s8
	s_delay_alu instid0(VALU_DEP_3) | instskip(NEXT) | instid1(VALU_DEP_2)
	v_cndmask_b32_e64 v86, v86, v93, s9
	v_cndmask_b32_e64 v84, v84, v89, s11
	s_delay_alu instid0(VALU_DEP_2) | instskip(NEXT) | instid1(VALU_DEP_1)
	v_cndmask_b32_e64 v86, v86, v100, s10
	v_cndmask_b32_e64 v69, v86, v94, s12
	;; [unrolled: 1-line block ×5, first 2 shown]
	s_delay_alu instid0(VALU_DEP_3) | instskip(NEXT) | instid1(VALU_DEP_3)
	v_cndmask_b32_e64 v86, v86, v88, s17
	v_cndmask_b32_e64 v87, v87, v88, s23
	s_delay_alu instid0(VALU_DEP_3) | instskip(NEXT) | instid1(VALU_DEP_3)
	v_cndmask_b32_e64 v88, v95, v92, s23
	v_cndmask_b32_e64 v86, v86, v96, s19
	;; [unrolled: 3-line block ×7, first 2 shown]
	s_delay_alu instid0(VALU_DEP_3) | instskip(SKIP_2) | instid1(VALU_DEP_2)
	v_cndmask_b32_e64 v88, v88, v94, s29
	v_cndmask_b32_e32 v66, v66, v97, vcc_lo
	v_cndmask_b32_e64 v97, v72, v99, s10
	v_perm_b32 v72, v70, v66, 0x5040100
	v_perm_b32 v70, v83, v103, 0x5040100
	v_cndmask_b32_e64 v103, v91, v85, s5
	v_cndmask_b32_e64 v85, v91, v85, s3
	;; [unrolled: 1-line block ×4, first 2 shown]
	v_lshrrev_b32_e32 v97, 16, v90
	v_cndmask_b32_e64 v91, v103, v92, s17
	v_cndmask_b32_e64 v85, v85, v92, s6
	;; [unrolled: 1-line block ×3, first 2 shown]
	s_mov_b32 s3, exec_lo
	v_cndmask_b32_e64 v83, v84, v97, s15
	v_cndmask_b32_e64 v91, v91, v98, s19
	;; [unrolled: 1-line block ×3, first 2 shown]
	v_lshrrev_b32_e32 v84, 16, v94
	v_cndmask_b32_e64 v66, v66, v97, s18
	v_cndmask_b32_e64 v90, v86, v97, s27
	;; [unrolled: 1-line block ×4, first 2 shown]
	v_dual_cndmask_b32 v86, v87, v97 :: v_dual_cndmask_b32 v87, v88, v84
	v_cndmask_b32_e64 v91, v69, v84, s15
	s_delay_alu instid0(VALU_DEP_4) | instskip(NEXT) | instid1(VALU_DEP_4)
	v_cndmask_b32_e64 v89, v89, v100, s22
	v_cndmask_b32_e64 v85, v85, v100, s13
	v_perm_b32 v69, v102, v101, 0x5040100
	v_perm_b32 v86, v87, v86, 0x5040100
	;; [unrolled: 1-line block ×3, first 2 shown]
	v_cndmask_b32_e64 v89, v89, v94, s24
	v_cndmask_b32_e64 v85, v85, v94, s16
	s_mul_i32 s8, s35, 6
	s_delay_alu instid0(VALU_DEP_2) | instskip(NEXT) | instid1(VALU_DEP_2)
	v_cndmask_b32_e64 v88, v89, v84, s27
	v_cndmask_b32_e64 v89, v85, v84, s18
	s_delay_alu instid0(VALU_DEP_2) | instskip(NEXT) | instid1(VALU_DEP_2)
	v_perm_b32 v85, v88, v90, 0x5040100
	v_perm_b32 v84, v89, v66, 0x5040100
	ds_store_b128 v76, v[69:72]
	ds_store_b128 v76, v[83:86] offset:1024
	v_cmpx_gt_u32_e32 6, v0
	s_cbranch_execz .LBB1747_78
; %bb.77:
	s_mul_i32 s4, s8, s30
	s_delay_alu instid0(SALU_CYCLE_1) | instskip(SKIP_1) | instid1(VALU_DEP_1)
	v_add3_u32 v69, s4, s31, v65
	s_load_b128 s[4:7], s[0:1], 0x58
	v_mad_u64_u32 v[65:66], null, v69, s34, s[14:15]
	s_delay_alu instid0(VALU_DEP_1) | instskip(NEXT) | instid1(VALU_DEP_1)
	v_ashrrev_i32_e32 v66, 31, v65
	v_lshlrev_b64 v[65:66], 2, v[65:66]
	s_waitcnt lgkmcnt(0)
	s_delay_alu instid0(VALU_DEP_1) | instskip(NEXT) | instid1(VALU_DEP_2)
	v_add_co_u32 v69, vcc_lo, s6, v65
	v_add_co_ci_u32_e32 v70, vcc_lo, s7, v66, vcc_lo
	v_add_co_u32 v65, vcc_lo, s4, v65
	v_add_co_ci_u32_e32 v66, vcc_lo, s5, v66, vcc_lo
	global_store_b32 v[69:70], v67, off
	global_store_b32 v[65:66], v68, off
.LBB1747_78:
	s_or_b32 exec_lo, exec_lo, s3
	s_waitcnt lgkmcnt(0)
	s_waitcnt_vscnt null, 0x0
	s_barrier
	buffer_gl0_inv
	ds_load_b128 v[83:86], v80
	ds_load_b128 v[87:90], v80 offset:16
	ds_load_b128 v[95:98], v80 offset:2064
	;; [unrolled: 1-line block ×3, first 2 shown]
	v_mov_b32_e32 v65, 0
	ds_load_b128 v[103:106], v80 offset:4112
	ds_load_b128 v[99:102], v80 offset:4096
	;; [unrolled: 1-line block ×4, first 2 shown]
	v_mov_b32_e32 v66, v65
	v_mov_b32_e32 v67, v65
	;; [unrolled: 1-line block ×7, first 2 shown]
	s_waitcnt lgkmcnt(6)
	s_delay_alu instid0(VALU_DEP_1)
	v_wmma_f32_16x16x16_bf16 v[65:72], v[57:64], v[83:90], v[65:72]
	ds_load_b128 v[61:64], v80 offset:8208
	ds_load_b128 v[57:60], v80 offset:8192
	s_waitcnt lgkmcnt(6)
	v_wmma_f32_16x16x16_bf16 v[65:72], v[41:48], v[91:98], v[65:72]
	ds_load_b128 v[45:48], v80 offset:10256
	ds_load_b128 v[41:44], v80 offset:10240
	s_waitcnt lgkmcnt(6)
	;; [unrolled: 4-line block ×4, first 2 shown]
	v_wmma_f32_16x16x16_bf16 v[65:72], v[1:8], v[57:64], v[65:72]
	s_waitcnt lgkmcnt(4)
	s_delay_alu instid0(VALU_DEP_1) | instskip(SKIP_1) | instid1(VALU_DEP_1)
	v_wmma_f32_16x16x16_bf16 v[65:72], v[9:16], v[41:48], v[65:72]
	s_waitcnt lgkmcnt(2)
	v_wmma_f32_16x16x16_bf16 v[65:72], v[17:24], v[33:40], v[65:72]
	s_waitcnt lgkmcnt(0)
	s_delay_alu instid0(VALU_DEP_1) | instskip(NEXT) | instid1(VALU_DEP_1)
	v_wmma_f32_16x16x16_bf16 v[65:72], v[49:56], v[25:32], v[65:72]
	v_and_b32_e32 v1, 0x7f800000, v65
	s_delay_alu instid0(VALU_DEP_1) | instskip(SKIP_1) | instid1(SALU_CYCLE_1)
	v_cmp_ne_u32_e32 vcc_lo, 0x7f800000, v1
                                        ; implicit-def: $vgpr1
	s_and_saveexec_b32 s3, vcc_lo
	s_xor_b32 s3, exec_lo, s3
; %bb.79:
	v_bfe_u32 v1, v65, 16, 1
	s_delay_alu instid0(VALU_DEP_1)
	v_add3_u32 v1, v65, v1, 0x7fff
; %bb.80:
	s_and_not1_saveexec_b32 s3, s3
; %bb.81:
	v_and_b32_e32 v1, 0xffff, v65
	v_or_b32_e32 v2, 0x10000, v65
	s_delay_alu instid0(VALU_DEP_2) | instskip(NEXT) | instid1(VALU_DEP_2)
	v_cmp_eq_u32_e32 vcc_lo, 0, v1
	v_cndmask_b32_e32 v1, v2, v65, vcc_lo
; %bb.82:
	s_or_b32 exec_lo, exec_lo, s3
	v_and_b32_e32 v2, 0x7f800000, v66
	s_delay_alu instid0(VALU_DEP_1) | instskip(SKIP_1) | instid1(SALU_CYCLE_1)
	v_cmp_ne_u32_e32 vcc_lo, 0x7f800000, v2
                                        ; implicit-def: $vgpr2
	s_and_saveexec_b32 s3, vcc_lo
	s_xor_b32 s3, exec_lo, s3
; %bb.83:
	v_bfe_u32 v2, v66, 16, 1
	s_delay_alu instid0(VALU_DEP_1)
	v_add3_u32 v2, v66, v2, 0x7fff
; %bb.84:
	s_and_not1_saveexec_b32 s3, s3
; %bb.85:
	v_and_b32_e32 v2, 0xffff, v66
	v_or_b32_e32 v3, 0x10000, v66
	s_delay_alu instid0(VALU_DEP_2) | instskip(NEXT) | instid1(VALU_DEP_2)
	v_cmp_eq_u32_e32 vcc_lo, 0, v2
	v_cndmask_b32_e32 v2, v3, v66, vcc_lo
; %bb.86:
	s_or_b32 exec_lo, exec_lo, s3
	v_and_b32_e32 v3, 0x7f800000, v67
	s_delay_alu instid0(VALU_DEP_1) | instskip(SKIP_1) | instid1(SALU_CYCLE_1)
	v_cmp_ne_u32_e32 vcc_lo, 0x7f800000, v3
                                        ; implicit-def: $vgpr3
	s_and_saveexec_b32 s3, vcc_lo
	s_xor_b32 s3, exec_lo, s3
; %bb.87:
	v_bfe_u32 v3, v67, 16, 1
	s_delay_alu instid0(VALU_DEP_1)
	v_add3_u32 v3, v67, v3, 0x7fff
; %bb.88:
	s_and_not1_saveexec_b32 s3, s3
; %bb.89:
	v_and_b32_e32 v3, 0xffff, v67
	v_or_b32_e32 v4, 0x10000, v67
	s_delay_alu instid0(VALU_DEP_2) | instskip(NEXT) | instid1(VALU_DEP_2)
	v_cmp_eq_u32_e32 vcc_lo, 0, v3
	v_cndmask_b32_e32 v3, v4, v67, vcc_lo
; %bb.90:
	s_or_b32 exec_lo, exec_lo, s3
	v_and_b32_e32 v4, 0x7f800000, v68
	s_delay_alu instid0(VALU_DEP_1) | instskip(SKIP_1) | instid1(SALU_CYCLE_1)
	v_cmp_ne_u32_e32 vcc_lo, 0x7f800000, v4
                                        ; implicit-def: $vgpr4
	s_and_saveexec_b32 s3, vcc_lo
	s_xor_b32 s3, exec_lo, s3
; %bb.91:
	v_bfe_u32 v4, v68, 16, 1
	s_delay_alu instid0(VALU_DEP_1)
	v_add3_u32 v4, v68, v4, 0x7fff
; %bb.92:
	s_and_not1_saveexec_b32 s3, s3
; %bb.93:
	v_and_b32_e32 v4, 0xffff, v68
	v_or_b32_e32 v5, 0x10000, v68
	s_delay_alu instid0(VALU_DEP_2) | instskip(NEXT) | instid1(VALU_DEP_2)
	v_cmp_eq_u32_e32 vcc_lo, 0, v4
	v_cndmask_b32_e32 v4, v5, v68, vcc_lo
; %bb.94:
	s_or_b32 exec_lo, exec_lo, s3
	v_and_b32_e32 v5, 0x7f800000, v69
	s_delay_alu instid0(VALU_DEP_1) | instskip(SKIP_1) | instid1(SALU_CYCLE_1)
	v_cmp_ne_u32_e32 vcc_lo, 0x7f800000, v5
                                        ; implicit-def: $vgpr5
	s_and_saveexec_b32 s3, vcc_lo
	s_xor_b32 s3, exec_lo, s3
; %bb.95:
	v_bfe_u32 v5, v69, 16, 1
	s_delay_alu instid0(VALU_DEP_1)
	v_add3_u32 v5, v69, v5, 0x7fff
; %bb.96:
	s_and_not1_saveexec_b32 s3, s3
; %bb.97:
	v_and_b32_e32 v5, 0xffff, v69
	v_or_b32_e32 v6, 0x10000, v69
	s_delay_alu instid0(VALU_DEP_2) | instskip(NEXT) | instid1(VALU_DEP_2)
	v_cmp_eq_u32_e32 vcc_lo, 0, v5
	v_cndmask_b32_e32 v5, v6, v69, vcc_lo
; %bb.98:
	s_or_b32 exec_lo, exec_lo, s3
	v_and_b32_e32 v6, 0x7f800000, v70
	s_delay_alu instid0(VALU_DEP_1) | instskip(SKIP_1) | instid1(SALU_CYCLE_1)
	v_cmp_ne_u32_e32 vcc_lo, 0x7f800000, v6
                                        ; implicit-def: $vgpr6
	s_and_saveexec_b32 s3, vcc_lo
	s_xor_b32 s3, exec_lo, s3
; %bb.99:
	v_bfe_u32 v6, v70, 16, 1
	s_delay_alu instid0(VALU_DEP_1)
	v_add3_u32 v6, v70, v6, 0x7fff
; %bb.100:
	s_and_not1_saveexec_b32 s3, s3
; %bb.101:
	v_and_b32_e32 v6, 0xffff, v70
	v_or_b32_e32 v7, 0x10000, v70
	s_delay_alu instid0(VALU_DEP_2) | instskip(NEXT) | instid1(VALU_DEP_2)
	v_cmp_eq_u32_e32 vcc_lo, 0, v6
	v_cndmask_b32_e32 v6, v7, v70, vcc_lo
; %bb.102:
	s_or_b32 exec_lo, exec_lo, s3
	v_and_b32_e32 v7, 0x7f800000, v71
	s_delay_alu instid0(VALU_DEP_1) | instskip(SKIP_1) | instid1(SALU_CYCLE_1)
	v_cmp_ne_u32_e32 vcc_lo, 0x7f800000, v7
                                        ; implicit-def: $vgpr7
	s_and_saveexec_b32 s3, vcc_lo
	s_xor_b32 s3, exec_lo, s3
; %bb.103:
	v_bfe_u32 v7, v71, 16, 1
	s_delay_alu instid0(VALU_DEP_1)
	v_add3_u32 v7, v71, v7, 0x7fff
; %bb.104:
	s_and_not1_saveexec_b32 s3, s3
; %bb.105:
	v_and_b32_e32 v7, 0xffff, v71
	v_or_b32_e32 v8, 0x10000, v71
	s_delay_alu instid0(VALU_DEP_2) | instskip(NEXT) | instid1(VALU_DEP_2)
	v_cmp_eq_u32_e32 vcc_lo, 0, v7
	v_cndmask_b32_e32 v7, v8, v71, vcc_lo
; %bb.106:
	s_or_b32 exec_lo, exec_lo, s3
	v_and_b32_e32 v8, 0x7f800000, v72
	s_delay_alu instid0(VALU_DEP_1) | instskip(SKIP_1) | instid1(SALU_CYCLE_1)
	v_cmp_ne_u32_e32 vcc_lo, 0x7f800000, v8
                                        ; implicit-def: $vgpr8
	s_and_saveexec_b32 s3, vcc_lo
	s_xor_b32 s3, exec_lo, s3
; %bb.107:
	v_bfe_u32 v8, v72, 16, 1
	s_delay_alu instid0(VALU_DEP_1)
	v_add3_u32 v8, v72, v8, 0x7fff
                                        ; implicit-def: $vgpr65_vgpr66_vgpr67_vgpr68_vgpr69_vgpr70_vgpr71_vgpr72
; %bb.108:
	s_and_not1_saveexec_b32 s3, s3
; %bb.109:
	v_and_b32_e32 v8, 0xffff, v72
	v_or_b32_e32 v9, 0x10000, v72
	s_delay_alu instid0(VALU_DEP_2) | instskip(NEXT) | instid1(VALU_DEP_2)
	v_cmp_eq_u32_e32 vcc_lo, 0, v8
	v_cndmask_b32_e32 v8, v9, v72, vcc_lo
; %bb.110:
	s_or_b32 exec_lo, exec_lo, s3
	s_delay_alu instid0(VALU_DEP_1)
	v_perm_b32 v7, v8, v7, 0x7060302
	v_perm_b32 v6, v6, v5, 0x7060302
	;; [unrolled: 1-line block ×4, first 2 shown]
	s_barrier
	buffer_gl0_inv
	v_cmp_eq_u32_e32 vcc_lo, 1, v78
	ds_store_b128 v76, v[4:7]
	s_waitcnt lgkmcnt(0)
	s_barrier
	buffer_gl0_inv
	ds_load_b128 v[1:4], v82
	ds_load_b128 v[5:8], v82 offset:16
	v_cmp_eq_u32_e64 s3, 1, v79
	v_cmp_eq_u32_e64 s4, 2, v78
	;; [unrolled: 1-line block ×5, first 2 shown]
	s_waitcnt lgkmcnt(1)
	v_lshrrev_b32_e32 v9, 16, v1
	s_waitcnt lgkmcnt(0)
	v_lshrrev_b32_e32 v13, 16, v5
	v_lshrrev_b32_e32 v10, 16, v2
	;; [unrolled: 1-line block ×4, first 2 shown]
	v_cndmask_b32_e64 v19, v1, v9, s3
	v_cndmask_b32_e32 v18, v5, v13, vcc_lo
	v_cndmask_b32_e64 v20, v5, v13, s3
	v_cndmask_b32_e32 v17, v1, v9, vcc_lo
	v_cmp_eq_u32_e32 vcc_lo, 2, v79
	v_lshrrev_b32_e32 v15, 16, v7
	v_cmp_eq_u32_e64 s3, 1, v77
	v_lshrrev_b32_e32 v12, 16, v4
	v_lshrrev_b32_e32 v16, 16, v8
	v_cndmask_b32_e32 v20, v20, v6, vcc_lo
	v_cndmask_b32_e64 v17, v17, v2, s4
	v_cndmask_b32_e32 v19, v19, v2, vcc_lo
	v_cndmask_b32_e64 v18, v18, v6, s4
	v_cmp_eq_u32_e32 vcc_lo, 4, v78
	v_cmp_eq_u32_e64 s4, 3, v79
	v_cndmask_b32_e64 v17, v17, v10, s5
	v_cndmask_b32_e64 v21, v1, v9, s3
	;; [unrolled: 1-line block ×5, first 2 shown]
	v_cndmask_b32_e32 v17, v17, v3, vcc_lo
	v_cndmask_b32_e64 v20, v20, v14, s4
	v_cndmask_b32_e32 v18, v18, v7, vcc_lo
	v_cmp_eq_u32_e32 vcc_lo, 4, v79
	v_cmp_eq_u32_e64 s4, 5, v79
	v_cmp_eq_u32_e64 s3, 2, v81
	v_cndmask_b32_e64 v21, v21, v2, s7
	v_cmp_eq_u32_e64 s5, 5, v78
	v_cndmask_b32_e32 v19, v19, v3, vcc_lo
	v_cndmask_b32_e32 v20, v20, v7, vcc_lo
	v_cmp_eq_u32_e32 vcc_lo, 6, v79
	s_delay_alu instid0(VALU_DEP_4) | instskip(NEXT) | instid1(VALU_DEP_4)
	v_cndmask_b32_e64 v17, v17, v11, s5
	v_cndmask_b32_e64 v19, v19, v11, s4
	s_delay_alu instid0(VALU_DEP_4) | instskip(SKIP_1) | instid1(VALU_DEP_3)
	v_cndmask_b32_e64 v20, v20, v15, s4
	v_cmp_eq_u32_e64 s4, 1, v81
	v_cndmask_b32_e32 v19, v19, v4, vcc_lo
	v_cndmask_b32_e64 v18, v18, v15, s5
	s_delay_alu instid0(VALU_DEP_3)
	v_cndmask_b32_e64 v1, v1, v9, s4
	v_cndmask_b32_e64 v5, v5, v13, s4
	v_cmp_eq_u32_e64 s4, 3, v77
	v_cndmask_b32_e64 v13, v22, v6, s7
	v_cmp_eq_u32_e64 s7, 3, v81
	v_cndmask_b32_e64 v1, v1, v2, s3
	v_cndmask_b32_e64 v2, v5, v6, s3
	;; [unrolled: 1-line block ×3, first 2 shown]
	v_cmp_eq_u32_e64 s3, 4, v77
	v_cndmask_b32_e64 v6, v13, v14, s4
	v_cndmask_b32_e64 v1, v1, v10, s7
	v_cmp_eq_u32_e64 s4, 4, v81
	v_cndmask_b32_e64 v2, v2, v14, s7
	v_cndmask_b32_e64 v5, v9, v3, s3
	;; [unrolled: 3-line block ×3, first 2 shown]
	v_cndmask_b32_e64 v2, v2, v7, s4
	v_cmp_eq_u32_e64 s3, 5, v81
	v_cmp_eq_u32_e64 s5, 6, v78
	v_cndmask_b32_e64 v5, v5, v11, s7
	v_cmp_eq_u32_e64 s4, 6, v77
	v_cndmask_b32_e64 v3, v6, v15, s7
	v_cndmask_b32_e64 v1, v1, v11, s3
	v_cmp_eq_u32_e64 s7, 6, v81
	v_cndmask_b32_e64 v2, v2, v15, s3
	v_cndmask_b32_e64 v17, v17, v4, s5
	v_cndmask_b32_e64 v18, v18, v8, s5
	v_cmp_eq_u32_e64 s5, 7, v78
	v_cndmask_b32_e64 v5, v5, v4, s4
	;; [unrolled: 4-line block ×3, first 2 shown]
	v_cmp_eq_u32_e64 s4, 7, v77
	v_cndmask_b32_e32 v4, v20, v8, vcc_lo
	v_cndmask_b32_e64 v17, v17, v12, s5
	v_cndmask_b32_e64 v19, v19, v12, s6
	v_cndmask_b32_e64 v1, v1, v12, s3
	v_cndmask_b32_e64 v5, v5, v12, s4
	v_cndmask_b32_e64 v2, v2, v16, s3
	v_cndmask_b32_e64 v3, v3, v16, s4
	v_cndmask_b32_e64 v6, v4, v16, s6
	v_cndmask_b32_e64 v7, v18, v16, s5
	v_cmp_gt_u32_e32 vcc_lo, 32, v0
	v_perm_b32 v4, v2, v1, 0x5040100
	v_perm_b32 v3, v3, v5, 0x5040100
	;; [unrolled: 1-line block ×4, first 2 shown]
	s_and_b32 s2, vcc_lo, s2
	ds_store_b128 v76, v[1:4]
	s_waitcnt lgkmcnt(0)
	s_barrier
	buffer_gl0_inv
	s_and_saveexec_b32 s3, s2
	s_cbranch_execz .LBB1747_2
; %bb.111:
	s_load_b64 s[0:1], s[0:1], 0x68
	s_lshl_b32 s4, s34, 6
	v_or_b32_e32 v3, s31, v74
	s_mul_i32 s2, s4, s30
	v_lshlrev_b32_e32 v0, 10, v0
	s_mul_i32 s2, s2, s8
	v_lshlrev_b32_e32 v1, 4, v75
	s_ashr_i32 s3, s2, 31
	v_mul_lo_u32 v12, v3, s4
	s_lshl_b64 s[2:3], s[2:3], 1
	v_lshlrev_b32_e32 v2, 6, v74
	v_and_b32_e32 v0, 0x3800, v0
	s_delay_alu instid0(VALU_DEP_1) | instskip(NEXT) | instid1(VALU_DEP_4)
	v_or3_b32 v8, v0, v1, v2
	v_ashrrev_i32_e32 v13, 31, v12
	ds_load_b128 v[0:3], v8
	ds_load_b128 v[4:7], v8 offset:128
	ds_load_b128 v[8:11], v8 offset:256
	s_waitcnt lgkmcnt(0)
	s_add_u32 s2, s0, s2
	s_addc_u32 s3, s1, s3
	s_lshl_b32 s0, s14, 6
	s_delay_alu instid0(SALU_CYCLE_1) | instskip(NEXT) | instid1(SALU_CYCLE_1)
	s_ashr_i32 s1, s0, 31
	s_lshl_b64 s[0:1], s[0:1], 1
	s_delay_alu instid0(SALU_CYCLE_1)
	s_add_u32 s0, s2, s0
	s_addc_u32 s1, s3, s1
	s_lshl_b32 s2, s34, 7
	v_add_co_u32 v18, s0, s0, v73
	v_add_nc_u32_e32 v14, s2, v12
	v_lshlrev_b64 v[12:13], 1, v[12:13]
	v_add_co_ci_u32_e64 v19, null, s1, 0, s0
	s_delay_alu instid0(VALU_DEP_3) | instskip(SKIP_1) | instid1(VALU_DEP_4)
	v_add_nc_u32_e32 v16, s2, v14
	v_ashrrev_i32_e32 v15, 31, v14
	v_add_co_u32 v12, vcc_lo, v18, v12
	s_delay_alu instid0(VALU_DEP_4) | instskip(NEXT) | instid1(VALU_DEP_4)
	v_add_co_ci_u32_e32 v13, vcc_lo, v19, v13, vcc_lo
	v_ashrrev_i32_e32 v17, 31, v16
	s_delay_alu instid0(VALU_DEP_4) | instskip(NEXT) | instid1(VALU_DEP_2)
	v_lshlrev_b64 v[14:15], 1, v[14:15]
	v_lshlrev_b64 v[16:17], 1, v[16:17]
	s_delay_alu instid0(VALU_DEP_2) | instskip(NEXT) | instid1(VALU_DEP_3)
	v_add_co_u32 v14, vcc_lo, v18, v14
	v_add_co_ci_u32_e32 v15, vcc_lo, v19, v15, vcc_lo
	s_delay_alu instid0(VALU_DEP_3) | instskip(NEXT) | instid1(VALU_DEP_4)
	v_add_co_u32 v16, vcc_lo, v18, v16
	v_add_co_ci_u32_e32 v17, vcc_lo, v19, v17, vcc_lo
	s_clause 0x2
	global_store_b128 v[12:13], v[0:3], off
	global_store_b128 v[14:15], v[4:7], off
	global_store_b128 v[16:17], v[8:11], off
	s_nop 0
	s_sendmsg sendmsg(MSG_DEALLOC_VGPRS)
	s_endpgm
	.section	.rodata,"a",@progbits
	.p2align	6, 0x0
	.amdhsa_kernel _Z39paged_attention_ll4mi_QKV_mfma16_kernelI14__hip_bfloat16hLN4vllm18Fp8KVCacheDataTypeE1EhLi32ELi64ELi256ELb0ELi6EL8MFMAType0EEvPKT_PKT0_S9_ifPKiSB_SB_iPKfiiiPfSE_PS4_PT2_iSD_SD_
		.amdhsa_group_segment_fixed_size 17472
		.amdhsa_private_segment_fixed_size 0
		.amdhsa_kernarg_size 400
		.amdhsa_user_sgpr_count 13
		.amdhsa_user_sgpr_dispatch_ptr 0
		.amdhsa_user_sgpr_queue_ptr 0
		.amdhsa_user_sgpr_kernarg_segment_ptr 1
		.amdhsa_user_sgpr_dispatch_id 0
		.amdhsa_user_sgpr_private_segment_size 0
		.amdhsa_wavefront_size32 1
		.amdhsa_uses_dynamic_stack 0
		.amdhsa_enable_private_segment 0
		.amdhsa_system_sgpr_workgroup_id_x 1
		.amdhsa_system_sgpr_workgroup_id_y 1
		.amdhsa_system_sgpr_workgroup_id_z 1
		.amdhsa_system_sgpr_workgroup_info 0
		.amdhsa_system_vgpr_workitem_id 0
		.amdhsa_next_free_vgpr 124
		.amdhsa_next_free_sgpr 40
		.amdhsa_reserve_vcc 1
		.amdhsa_float_round_mode_32 0
		.amdhsa_float_round_mode_16_64 0
		.amdhsa_float_denorm_mode_32 3
		.amdhsa_float_denorm_mode_16_64 3
		.amdhsa_dx10_clamp 1
		.amdhsa_ieee_mode 1
		.amdhsa_fp16_overflow 0
		.amdhsa_workgroup_processor_mode 1
		.amdhsa_memory_ordered 1
		.amdhsa_forward_progress 0
		.amdhsa_shared_vgpr_count 0
		.amdhsa_exception_fp_ieee_invalid_op 0
		.amdhsa_exception_fp_denorm_src 0
		.amdhsa_exception_fp_ieee_div_zero 0
		.amdhsa_exception_fp_ieee_overflow 0
		.amdhsa_exception_fp_ieee_underflow 0
		.amdhsa_exception_fp_ieee_inexact 0
		.amdhsa_exception_int_div_zero 0
	.end_amdhsa_kernel
	.section	.text._Z39paged_attention_ll4mi_QKV_mfma16_kernelI14__hip_bfloat16hLN4vllm18Fp8KVCacheDataTypeE1EhLi32ELi64ELi256ELb0ELi6EL8MFMAType0EEvPKT_PKT0_S9_ifPKiSB_SB_iPKfiiiPfSE_PS4_PT2_iSD_SD_,"axG",@progbits,_Z39paged_attention_ll4mi_QKV_mfma16_kernelI14__hip_bfloat16hLN4vllm18Fp8KVCacheDataTypeE1EhLi32ELi64ELi256ELb0ELi6EL8MFMAType0EEvPKT_PKT0_S9_ifPKiSB_SB_iPKfiiiPfSE_PS4_PT2_iSD_SD_,comdat
.Lfunc_end1747:
	.size	_Z39paged_attention_ll4mi_QKV_mfma16_kernelI14__hip_bfloat16hLN4vllm18Fp8KVCacheDataTypeE1EhLi32ELi64ELi256ELb0ELi6EL8MFMAType0EEvPKT_PKT0_S9_ifPKiSB_SB_iPKfiiiPfSE_PS4_PT2_iSD_SD_, .Lfunc_end1747-_Z39paged_attention_ll4mi_QKV_mfma16_kernelI14__hip_bfloat16hLN4vllm18Fp8KVCacheDataTypeE1EhLi32ELi64ELi256ELb0ELi6EL8MFMAType0EEvPKT_PKT0_S9_ifPKiSB_SB_iPKfiiiPfSE_PS4_PT2_iSD_SD_
                                        ; -- End function
	.section	.AMDGPU.csdata,"",@progbits
; Kernel info:
; codeLenInByte = 8760
; NumSgprs: 42
; NumVgprs: 124
; ScratchSize: 0
; MemoryBound: 0
; FloatMode: 240
; IeeeMode: 1
; LDSByteSize: 17472 bytes/workgroup (compile time only)
; SGPRBlocks: 5
; VGPRBlocks: 15
; NumSGPRsForWavesPerEU: 42
; NumVGPRsForWavesPerEU: 124
; Occupancy: 10
; WaveLimiterHint : 1
; COMPUTE_PGM_RSRC2:SCRATCH_EN: 0
; COMPUTE_PGM_RSRC2:USER_SGPR: 13
; COMPUTE_PGM_RSRC2:TRAP_HANDLER: 0
; COMPUTE_PGM_RSRC2:TGID_X_EN: 1
; COMPUTE_PGM_RSRC2:TGID_Y_EN: 1
; COMPUTE_PGM_RSRC2:TGID_Z_EN: 1
; COMPUTE_PGM_RSRC2:TIDIG_COMP_CNT: 0
	.section	.text._Z39paged_attention_ll4mi_QKV_mfma16_kernelI14__hip_bfloat16hLN4vllm18Fp8KVCacheDataTypeE1EhLi32ELi64ELi256ELb0ELi7EL8MFMAType0EEvPKT_PKT0_S9_ifPKiSB_SB_iPKfiiiPfSE_PS4_PT2_iSD_SD_,"axG",@progbits,_Z39paged_attention_ll4mi_QKV_mfma16_kernelI14__hip_bfloat16hLN4vllm18Fp8KVCacheDataTypeE1EhLi32ELi64ELi256ELb0ELi7EL8MFMAType0EEvPKT_PKT0_S9_ifPKiSB_SB_iPKfiiiPfSE_PS4_PT2_iSD_SD_,comdat
	.protected	_Z39paged_attention_ll4mi_QKV_mfma16_kernelI14__hip_bfloat16hLN4vllm18Fp8KVCacheDataTypeE1EhLi32ELi64ELi256ELb0ELi7EL8MFMAType0EEvPKT_PKT0_S9_ifPKiSB_SB_iPKfiiiPfSE_PS4_PT2_iSD_SD_ ; -- Begin function _Z39paged_attention_ll4mi_QKV_mfma16_kernelI14__hip_bfloat16hLN4vllm18Fp8KVCacheDataTypeE1EhLi32ELi64ELi256ELb0ELi7EL8MFMAType0EEvPKT_PKT0_S9_ifPKiSB_SB_iPKfiiiPfSE_PS4_PT2_iSD_SD_
	.globl	_Z39paged_attention_ll4mi_QKV_mfma16_kernelI14__hip_bfloat16hLN4vllm18Fp8KVCacheDataTypeE1EhLi32ELi64ELi256ELb0ELi7EL8MFMAType0EEvPKT_PKT0_S9_ifPKiSB_SB_iPKfiiiPfSE_PS4_PT2_iSD_SD_
	.p2align	8
	.type	_Z39paged_attention_ll4mi_QKV_mfma16_kernelI14__hip_bfloat16hLN4vllm18Fp8KVCacheDataTypeE1EhLi32ELi64ELi256ELb0ELi7EL8MFMAType0EEvPKT_PKT0_S9_ifPKiSB_SB_iPKfiiiPfSE_PS4_PT2_iSD_SD_,@function
_Z39paged_attention_ll4mi_QKV_mfma16_kernelI14__hip_bfloat16hLN4vllm18Fp8KVCacheDataTypeE1EhLi32ELi64ELi256ELb0ELi7EL8MFMAType0EEvPKT_PKT0_S9_ifPKiSB_SB_iPKfiiiPfSE_PS4_PT2_iSD_SD_: ; @_Z39paged_attention_ll4mi_QKV_mfma16_kernelI14__hip_bfloat16hLN4vllm18Fp8KVCacheDataTypeE1EhLi32ELi64ELi256ELb0ELi7EL8MFMAType0EEvPKT_PKT0_S9_ifPKiSB_SB_iPKfiiiPfSE_PS4_PT2_iSD_SD_
; %bb.0:
	s_load_b64 s[2:3], s[0:1], 0x30
	s_mov_b32 s34, s13
	s_waitcnt lgkmcnt(0)
	s_cmp_lg_u64 s[2:3], 0
	s_cselect_b32 s8, -1, 0
	s_ashr_i32 s35, s13, 31
	s_cmp_eq_u64 s[2:3], 0
	s_cbranch_scc1 .LBB1748_3
; %bb.1:
	s_lshl_b64 s[4:5], s[34:35], 2
	s_delay_alu instid0(SALU_CYCLE_1) | instskip(SKIP_4) | instid1(SALU_CYCLE_1)
	s_add_u32 s4, s2, s4
	s_addc_u32 s5, s3, s5
	s_load_b64 s[4:5], s[4:5], 0x0
	s_waitcnt lgkmcnt(0)
	s_sub_i32 s4, s5, s4
	s_cmp_eq_u32 s4, 1
	s_cselect_b32 s4, -1, 0
	s_delay_alu instid0(SALU_CYCLE_1)
	s_and_not1_b32 vcc_lo, exec_lo, s4
	s_cbranch_vccz .LBB1748_4
.LBB1748_2:
	s_nop 0
	s_sendmsg sendmsg(MSG_DEALLOC_VGPRS)
	s_endpgm
.LBB1748_3:
.LBB1748_4:
	s_load_b64 s[4:5], s[0:1], 0x28
	s_lshl_b64 s[6:7], s[34:35], 2
	s_waitcnt lgkmcnt(0)
	s_add_u32 s4, s4, s6
	s_addc_u32 s5, s5, s7
	s_lshl_b32 s12, s14, 8
	s_load_b32 s24, s[4:5], 0x0
	s_waitcnt lgkmcnt(0)
	s_cmp_ge_i32 s12, s24
	s_cbranch_scc1 .LBB1748_2
; %bb.5:
	s_clause 0x1
	s_load_b128 s[20:23], s[0:1], 0x8
	s_load_b64 s[4:5], s[0:1], 0x20
	s_and_not1_b32 vcc_lo, exec_lo, s8
	s_cbranch_vccnz .LBB1748_7
; %bb.6:
	s_add_u32 s2, s2, s6
	s_addc_u32 s3, s3, s7
	s_load_b32 s3, s[2:3], 0x0
	s_branch .LBB1748_8
.LBB1748_7:
	s_mov_b32 s3, s34
.LBB1748_8:
	s_load_b128 s[16:19], s[0:1], 0x48
	v_lshrrev_b32_e32 v66, 5, v0
	v_bfe_u32 v74, v0, 4, 1
	v_and_b32_e32 v65, 15, v0
	v_and_b32_e32 v67, 31, v0
	;; [unrolled: 1-line block ×3, first 2 shown]
	s_mul_i32 s31, s15, 7
	v_lshl_or_b32 v1, v66, 1, v74
	v_lshlrev_b32_e32 v2, 3, v65
	v_cmp_gt_u32_e64 s2, 8, v65
	s_delay_alu instid0(VALU_DEP_3) | instskip(NEXT) | instid1(VALU_DEP_3)
	v_cmp_gt_u32_e32 vcc_lo, 7, v1
	v_lshlrev_b32_e32 v73, 1, v2
	s_delay_alu instid0(VALU_DEP_3) | instskip(NEXT) | instid1(SALU_CYCLE_1)
	s_and_b32 s7, s2, vcc_lo
	s_and_saveexec_b32 s6, s7
	s_cbranch_execz .LBB1748_10
; %bb.9:
	s_load_b64 s[8:9], s[0:1], 0x0
	v_add_lshl_u32 v2, v1, s31, 6
	s_waitcnt lgkmcnt(0)
	s_mul_hi_i32 s11, s3, s16
	s_mul_i32 s10, s3, s16
	v_lshlrev_b32_e32 v6, 10, v65
	s_lshl_b64 s[10:11], s[10:11], 1
	v_ashrrev_i32_e32 v3, 31, v2
	v_lshlrev_b32_e32 v1, 6, v1
	v_lshlrev_b32_e32 v7, 10, v75
	v_and_b32_e32 v6, 0x3800, v6
	s_delay_alu instid0(VALU_DEP_4) | instskip(NEXT) | instid1(VALU_DEP_2)
	v_lshlrev_b64 v[2:3], 1, v[2:3]
	v_or3_b32 v1, v6, v7, v1
	s_add_u32 s3, s8, s10
	s_addc_u32 s7, s9, s11
	s_delay_alu instid0(VALU_DEP_2) | instskip(NEXT) | instid1(VALU_DEP_3)
	v_add_co_u32 v2, vcc_lo, s3, v2
	v_add_co_ci_u32_e32 v3, vcc_lo, s7, v3, vcc_lo
	s_delay_alu instid0(VALU_DEP_2) | instskip(NEXT) | instid1(VALU_DEP_2)
	v_add_co_u32 v2, vcc_lo, v2, v73
	v_add_co_ci_u32_e32 v3, vcc_lo, 0, v3, vcc_lo
	global_load_b128 v[2:5], v[2:3], off
	s_waitcnt vmcnt(0)
	ds_store_b128 v1, v[2:5]
.LBB1748_10:
	s_or_b32 exec_lo, exec_lo, s6
	v_and_b32_e32 v1, 0xef, v0
	s_waitcnt lgkmcnt(0)
	s_add_i32 s3, s24, 31
	s_clause 0x1
	s_load_b32 s6, s[0:1], 0x38
	s_load_b32 s19, s[0:1], 0x1c
	s_ashr_i32 s7, s3, 31
	v_add_nc_u32_e32 v1, s12, v1
	s_lshr_b32 s7, s7, 27
	s_waitcnt lgkmcnt(0)
	s_add_i32 s3, s3, s7
	s_barrier
	v_ashrrev_i32_e32 v2, 31, v1
	v_or_b32_e32 v3, 16, v1
	s_ashr_i32 s3, s3, 5
	v_cmp_gt_i32_e32 vcc_lo, s24, v1
	s_add_i32 s3, s3, -1
	v_lshrrev_b32_e32 v2, 27, v2
	buffer_gl0_inv
	s_mul_i32 s27, s15, s18
	v_add_nc_u32_e32 v4, v1, v2
	s_mul_i32 s6, s34, s6
	s_delay_alu instid0(SALU_CYCLE_1) | instskip(NEXT) | instid1(VALU_DEP_1)
	s_ashr_i32 s7, s6, 31
	v_ashrrev_i32_e32 v4, 5, v4
	v_add_nc_u32_e32 v2, v3, v2
	s_lshl_b64 s[6:7], s[6:7], 2
	s_delay_alu instid0(SALU_CYCLE_1) | instskip(NEXT) | instid1(VALU_DEP_2)
	s_add_u32 s26, s4, s6
	v_cndmask_b32_e32 v1, s3, v4, vcc_lo
	s_delay_alu instid0(VALU_DEP_2)
	v_ashrrev_i32_e32 v2, 5, v2
	v_cmp_gt_i32_e32 vcc_lo, s24, v3
	s_addc_u32 s25, s5, s7
	s_ashr_i32 s28, s27, 31
	s_add_u32 s4, s20, s27
	s_addc_u32 s5, s21, s28
	v_cndmask_b32_e32 v3, s3, v2, vcc_lo
	v_ashrrev_i32_e32 v2, 31, v1
	s_lshl_b32 s6, s14, 3
	s_delay_alu instid0(SALU_CYCLE_1) | instskip(NEXT) | instid1(VALU_DEP_2)
	s_ashr_i32 s7, s6, 31
	v_ashrrev_i32_e32 v4, 31, v3
	s_delay_alu instid0(VALU_DEP_2) | instskip(SKIP_1) | instid1(SALU_CYCLE_1)
	v_lshlrev_b64 v[1:2], 2, v[1:2]
	s_lshl_b64 s[6:7], s[6:7], 2
	s_add_u32 s6, s26, s6
	s_delay_alu instid0(VALU_DEP_2) | instskip(SKIP_1) | instid1(VALU_DEP_2)
	v_lshlrev_b64 v[3:4], 2, v[3:4]
	s_addc_u32 s7, s25, s7
	v_add_co_u32 v1, vcc_lo, s26, v1
	v_add_co_ci_u32_e32 v2, vcc_lo, s25, v2, vcc_lo
	s_delay_alu instid0(VALU_DEP_3) | instskip(NEXT) | instid1(VALU_DEP_4)
	v_add_co_u32 v3, vcc_lo, s26, v3
	v_add_co_ci_u32_e32 v4, vcc_lo, s25, v4, vcc_lo
	s_clause 0x1
	global_load_b32 v5, v[1:2], off
	global_load_b32 v6, v[3:4], off
	s_or_b32 s8, s12, 32
	s_delay_alu instid0(SALU_CYCLE_1) | instskip(SKIP_2) | instid1(SALU_CYCLE_1)
	s_ashr_i32 s9, s8, 5
	s_cmp_lt_i32 s8, s24
	s_cselect_b32 s8, s9, s3
	s_ashr_i32 s9, s8, 31
	s_delay_alu instid0(SALU_CYCLE_1) | instskip(NEXT) | instid1(SALU_CYCLE_1)
	s_lshl_b64 s[8:9], s[8:9], 2
	s_add_u32 s8, s26, s8
	s_addc_u32 s9, s25, s9
	s_or_b32 s10, s12, 64
	s_delay_alu instid0(SALU_CYCLE_1) | instskip(SKIP_2) | instid1(SALU_CYCLE_1)
	s_ashr_i32 s11, s10, 5
	s_cmp_lt_i32 s10, s24
	s_cselect_b32 s10, s11, s3
	s_ashr_i32 s11, s10, 31
	s_delay_alu instid0(SALU_CYCLE_1) | instskip(NEXT) | instid1(SALU_CYCLE_1)
	s_lshl_b64 s[10:11], s[10:11], 2
	s_add_u32 s10, s26, s10
	s_addc_u32 s11, s25, s11
	;; [unrolled: 10-line block ×5, first 2 shown]
	s_clause 0x5
	s_load_b32 s21, s[6:7], 0x0
	s_load_b32 s13, s[8:9], 0x0
	;; [unrolled: 1-line block ×6, first 2 shown]
	s_or_b32 s9, s12, 0xc0
	s_delay_alu instid0(SALU_CYCLE_1) | instskip(SKIP_2) | instid1(SALU_CYCLE_1)
	s_ashr_i32 s10, s9, 5
	s_cmp_lt_i32 s9, s24
	s_cselect_b32 s36, s10, s3
	s_ashr_i32 s37, s36, 31
	s_delay_alu instid0(SALU_CYCLE_1) | instskip(NEXT) | instid1(SALU_CYCLE_1)
	s_lshl_b64 s[36:37], s[36:37], 2
	s_add_u32 s36, s26, s36
	s_addc_u32 s37, s25, s37
	s_or_b32 s29, s12, 0xe0
	s_delay_alu instid0(SALU_CYCLE_1)
	s_ashr_i32 s30, s29, 5
	s_cmp_lt_i32 s29, s24
	s_waitcnt vmcnt(1)
	v_mad_i64_i32 v[1:2], null, v5, s17, s[4:5]
	s_waitcnt vmcnt(0)
	v_mad_i64_i32 v[3:4], null, v6, s17, s[4:5]
	s_mov_b32 s4, 0
	s_delay_alu instid0(SALU_CYCLE_1)
	s_mov_b32 s5, s4
	s_mov_b32 s6, s4
	;; [unrolled: 1-line block ×7, first 2 shown]
	v_lshlrev_b32_e32 v5, 4, v65
	v_dual_mov_b32 v107, s11 :: v_dual_mov_b32 v102, s6
	v_mov_b32_e32 v106, s10
	v_mov_b32_e32 v104, s8
	s_delay_alu instid0(VALU_DEP_4)
	v_add_co_u32 v1, vcc_lo, v1, v5
	v_add_co_ci_u32_e32 v2, vcc_lo, 0, v2, vcc_lo
	v_add_co_u32 v3, vcc_lo, v3, v5
	v_add_co_ci_u32_e32 v4, vcc_lo, 0, v4, vcc_lo
	s_clause 0x7
	global_load_b128 v[49:52], v[1:2], off
	global_load_b128 v[53:56], v[1:2], off offset:512
	global_load_b128 v[76:79], v[3:4], off offset:256
	;; [unrolled: 1-line block ×7, first 2 shown]
	v_mul_lo_u16 v1, v65, 37
	v_mov_b32_e32 v103, s7
	v_dual_mov_b32 v101, s5 :: v_dual_lshlrev_b32 v2, 5, v65
	v_mov_b32_e32 v100, s4
	s_delay_alu instid0(VALU_DEP_4) | instskip(NEXT) | instid1(VALU_DEP_3)
	v_lshrrev_b16 v1, 8, v1
	v_lshl_or_b32 v2, v66, 9, v2
	s_delay_alu instid0(VALU_DEP_2) | instskip(NEXT) | instid1(VALU_DEP_1)
	v_mul_lo_u16 v1, v1, 7
	v_sub_nc_u16 v1, v65, v1
	s_delay_alu instid0(VALU_DEP_1)
	v_and_b32_e32 v1, 0xff, v1
	v_mov_b32_e32 v105, s9
	s_cselect_b32 s4, s30, s3
	s_load_b32 s3, s[36:37], 0x0
	s_ashr_i32 s5, s4, 31
	v_lshlrev_b32_e32 v70, 6, v1
	s_lshl_b64 s[4:5], s[4:5], 2
	ds_load_b128 v[108:111], v70
	ds_load_b128 v[112:115], v70 offset:1024
	s_add_u32 s4, s26, s4
	s_addc_u32 s5, s25, s5
	s_add_u32 s6, s22, s27
	s_load_b32 s4, s[4:5], 0x0
	s_addc_u32 s7, s23, s28
	v_add_co_u32 v9, s6, s6, v2
	s_delay_alu instid0(VALU_DEP_1) | instskip(SKIP_1) | instid1(VALU_DEP_1)
	v_add_co_ci_u32_e64 v10, null, s7, 0, s6
	s_waitcnt lgkmcnt(0)
	v_mad_i64_i32 v[1:2], null, s21, s17, v[9:10]
	v_mad_i64_i32 v[3:4], null, s13, s17, v[9:10]
	;; [unrolled: 1-line block ×7, first 2 shown]
	s_clause 0x9
	global_load_b128 v[57:60], v[1:2], off
	global_load_b128 v[61:64], v[1:2], off offset:16
	global_load_b128 v[41:44], v[3:4], off
	global_load_b128 v[45:48], v[3:4], off offset:16
	;; [unrolled: 2-line block ×5, first 2 shown]
	v_mad_i64_i32 v[68:69], null, s4, s17, v[9:10]
	s_clause 0x3
	global_load_b128 v[9:12], v[13:14], off
	global_load_b128 v[13:16], v[13:14], off offset:16
	global_load_b128 v[17:20], v[21:22], off
	global_load_b128 v[21:24], v[21:22], off offset:16
	s_waitcnt vmcnt(20)
	v_wmma_f32_16x16x16_bf16 v[116:123], v[49:56], v[108:115], v[100:107]
	s_clause 0x1
	global_load_b128 v[49:52], v[68:69], off
	global_load_b128 v[53:56], v[68:69], off offset:16
	v_and_b32_e32 v68, 0xe0, v0
	v_mbcnt_lo_u32_b32 v69, -1, 0
	s_delay_alu instid0(VALU_DEP_2)
	v_add_nc_u32_e32 v68, s12, v68
	s_waitcnt vmcnt(20)
	v_wmma_f32_16x16x16_bf16 v[100:107], v[76:83], v[108:115], v[100:107]
	ds_load_b128 v[76:79], v70 offset:2048
	ds_load_b128 v[80:83], v70 offset:3072
	v_xor_b32_e32 v70, 16, v69
	s_waitcnt vmcnt(0) lgkmcnt(0)
	v_or_b32_e32 v68, v68, v74
	s_barrier
	buffer_gl0_inv
	v_cmp_gt_i32_e32 vcc_lo, 32, v70
	v_or_b32_e32 v71, 4, v68
	v_or_b32_e32 v72, 6, v68
	v_cmp_gt_i32_e64 s3, s24, v68
	v_or_b32_e32 v108, 8, v68
	v_or_b32_e32 v109, 10, v68
	v_cmp_gt_i32_e64 s4, s24, v71
	v_cmp_gt_i32_e64 s5, s24, v72
	s_delay_alu instid0(VALU_DEP_4) | instskip(NEXT) | instid1(VALU_DEP_4)
	v_cmp_gt_i32_e64 s6, s24, v108
	v_cmp_gt_i32_e64 s7, s24, v109
	v_wmma_f32_16x16x16_bf16 v[116:123], v[84:91], v[76:83], v[116:123]
	v_cndmask_b32_e32 v69, v69, v70, vcc_lo
	v_or_b32_e32 v70, 2, v68
	v_wmma_f32_16x16x16_bf16 v[100:107], v[92:99], v[76:83], v[100:107]
	v_or_b32_e32 v84, 12, v68
	v_dual_mul_f32 v78, s19, v123 :: v_dual_mul_f32 v83, s19, v118
	v_dual_mul_f32 v92, s19, v117 :: v_dual_mul_f32 v93, s19, v116
	s_delay_alu instid0(VALU_DEP_4) | instskip(SKIP_2) | instid1(VALU_DEP_4)
	v_mul_f32_e32 v94, s19, v107
	v_cmp_gt_i32_e32 vcc_lo, s24, v70
	v_dual_mul_f32 v81, s19, v120 :: v_dual_mul_f32 v82, s19, v119
	v_cndmask_b32_e64 v93, 0xff7fffff, v93, s3
	v_or_b32_e32 v85, 14, v68
	v_cndmask_b32_e32 v92, 0xff7fffff, v92, vcc_lo
	v_dual_mul_f32 v79, s19, v122 :: v_dual_mul_f32 v80, s19, v121
	v_cndmask_b32_e64 v71, 0xff7fffff, v83, s4
	v_cndmask_b32_e64 v72, 0xff7fffff, v82, s5
	s_delay_alu instid0(VALU_DEP_4)
	v_max3_f32 v82, v93, 0xff7fffff, v92
	v_or_b32_e32 v86, 16, v68
	v_or_b32_e32 v87, 18, v68
	v_cndmask_b32_e64 v81, 0xff7fffff, v81, s6
	v_cndmask_b32_e64 v80, 0xff7fffff, v80, s7
	v_max3_f32 v71, v82, v71, v72
	v_cmp_gt_i32_e64 s8, s24, v84
	v_cmp_gt_i32_e64 s9, s24, v85
	v_or_b32_e32 v88, 20, v68
	v_or_b32_e32 v89, 22, v68
	;; [unrolled: 1-line block ×6, first 2 shown]
	v_dual_mul_f32 v99, s19, v102 :: v_dual_mul_f32 v70, s19, v101
	v_mul_f32_e32 v68, s19, v100
	v_cndmask_b32_e64 v72, 0xff7fffff, v79, s8
	v_cndmask_b32_e64 v78, 0xff7fffff, v78, s9
	v_max3_f32 v71, v71, v81, v80
	v_cmp_gt_i32_e64 s10, s24, v86
	v_cmp_gt_i32_e64 s11, s24, v87
	v_dual_mul_f32 v97, s19, v104 :: v_dual_mul_f32 v98, s19, v103
	s_delay_alu instid0(VALU_DEP_4) | instskip(SKIP_1) | instid1(VALU_DEP_4)
	v_max3_f32 v71, v71, v72, v78
	v_cmp_gt_i32_e64 s12, s24, v88
	v_cndmask_b32_e64 v70, 0xff7fffff, v70, s11
	v_cmp_gt_i32_e64 s13, s24, v89
	v_lshlrev_b32_e32 v89, 2, v69
	v_cndmask_b32_e64 v68, 0xff7fffff, v68, s10
	v_dual_mul_f32 v95, s19, v106 :: v_dual_mul_f32 v96, s19, v105
	v_cndmask_b32_e64 v72, 0xff7fffff, v99, s12
	v_cndmask_b32_e64 v78, 0xff7fffff, v98, s13
	s_delay_alu instid0(VALU_DEP_4)
	v_max3_f32 v68, v71, v68, v70
	v_cmp_gt_i32_e64 s15, s24, v90
	v_cmp_gt_i32_e64 s16, s24, v91
	;; [unrolled: 1-line block ×4, first 2 shown]
	v_max3_f32 v68, v68, v72, v78
	v_cndmask_b32_e64 v70, 0xff7fffff, v97, s15
	v_cndmask_b32_e64 v71, 0xff7fffff, v96, s16
	v_cndmask_b32_e64 v72, 0xff7fffff, v95, s17
	v_cndmask_b32_e64 v76, 0xff7fffff, v94, s18
	s_delay_alu instid0(VALU_DEP_3) | instskip(NEXT) | instid1(VALU_DEP_1)
	v_max3_f32 v68, v68, v70, v71
	v_max3_f32 v68, v68, v72, v76
	ds_bpermute_b32 v69, v89, v68
	s_waitcnt lgkmcnt(0)
	v_max_f32_e32 v69, v69, v69
	s_delay_alu instid0(VALU_DEP_1) | instskip(NEXT) | instid1(VALU_DEP_1)
	v_max_f32_e32 v68, v68, v69
	v_fma_f32 v71, s19, v118, -v68
	s_delay_alu instid0(VALU_DEP_1)
	v_mul_f32_e32 v71, 0x3fb8aa3b, v71
	v_fma_f32 v69, s19, v116, -v68
	v_fma_f32 v70, s19, v117, -v68
	;; [unrolled: 1-line block ×4, first 2 shown]
	v_exp_f32_e32 v71, v71
	s_delay_alu instid0(VALU_DEP_3) | instskip(SKIP_2) | instid1(VALU_DEP_3)
	v_dual_mul_f32 v69, 0x3fb8aa3b, v69 :: v_dual_mul_f32 v70, 0x3fb8aa3b, v70
	v_fma_f32 v78, s19, v122, -v68
	v_fma_f32 v81, s19, v105, -v68
	v_exp_f32_e32 v69, v69
	s_delay_alu instid0(VALU_DEP_3) | instskip(SKIP_1) | instid1(VALU_DEP_2)
	v_exp_f32_e32 v70, v70
	v_mul_f32_e32 v77, 0x3fb8aa3b, v76
	v_mul_f32_e32 v81, 0x3fb8aa3b, v81
	s_delay_alu instid0(TRANS32_DEP_3) | instskip(SKIP_1) | instid1(VALU_DEP_3)
	v_cndmask_b32_e64 v83, 0, v71, s4
	v_fma_f32 v71, s19, v123, -v68
	v_exp_f32_e32 v81, v81
	s_delay_alu instid0(TRANS32_DEP_3) | instskip(NEXT) | instid1(TRANS32_DEP_2)
	v_cndmask_b32_e64 v80, 0, v69, s3
	v_cndmask_b32_e32 v76, 0, v70, vcc_lo
	v_fma_f32 v69, s19, v121, -v68
	v_mul_f32_e32 v72, 0x3fb8aa3b, v72
	v_exp_f32_e32 v77, v77
	v_dual_add_f32 v70, 0, v80 :: v_dual_mul_f32 v71, 0x3fb8aa3b, v71
	s_delay_alu instid0(VALU_DEP_3) | instskip(NEXT) | instid1(VALU_DEP_3)
	v_mul_f32_e32 v69, 0x3fb8aa3b, v69
	v_exp_f32_e32 v72, v72
	v_cmp_gt_u32_e64 s3, 16, v67
	s_delay_alu instid0(VALU_DEP_3) | instskip(NEXT) | instid1(VALU_DEP_2)
	v_exp_f32_e32 v71, v71
	v_exp_f32_e32 v69, v69
	v_cndmask_b32_e64 v86, 0, v77, s6
	v_fma_f32 v77, s19, v101, -v68
	v_add_f32_e32 v70, v70, v76
	s_delay_alu instid0(TRANS32_DEP_3) | instskip(SKIP_1) | instid1(VALU_DEP_3)
	v_cndmask_b32_e64 v85, 0, v72, s5
	v_fma_f32 v72, s19, v100, -v68
	v_dual_mul_f32 v77, 0x3fb8aa3b, v77 :: v_dual_add_f32 v70, v70, v83
	s_delay_alu instid0(TRANS32_DEP_2) | instskip(SKIP_1) | instid1(TRANS32_DEP_1)
	v_cndmask_b32_e64 v88, 0, v71, s9
	v_fma_f32 v71, s19, v104, -v68
	v_cndmask_b32_e64 v87, 0, v69, s7
	s_delay_alu instid0(VALU_DEP_4) | instskip(NEXT) | instid1(VALU_DEP_2)
	v_exp_f32_e32 v77, v77
	v_dual_add_f32 v70, v70, v85 :: v_dual_mul_f32 v71, 0x3fb8aa3b, v71
	s_delay_alu instid0(VALU_DEP_1) | instskip(SKIP_2) | instid1(VALU_DEP_3)
	v_dual_mul_f32 v72, 0x3fb8aa3b, v72 :: v_dual_add_f32 v69, v70, v86
	v_mul_f32_e32 v78, 0x3fb8aa3b, v78
	v_fma_f32 v70, s19, v102, -v68
	v_exp_f32_e32 v72, v72
	v_exp_f32_e32 v82, v71
	v_add_f32_e32 v69, v69, v87
	v_exp_f32_e32 v78, v78
	v_mul_f32_e32 v70, 0x3fb8aa3b, v70
	s_delay_alu instid0(VALU_DEP_1) | instskip(SKIP_4) | instid1(VALU_DEP_2)
	v_exp_f32_e32 v79, v70
	v_cndmask_b32_e64 v70, 0, v72, s10
	s_waitcnt_depctr 0xfff
	v_cndmask_b32_e64 v84, 0, v78, s8
	v_fma_f32 v78, s19, v103, -v68
	v_add_f32_e32 v69, v69, v84
	v_cndmask_b32_e64 v71, 0, v79, s12
	s_delay_alu instid0(VALU_DEP_2) | instskip(SKIP_2) | instid1(VALU_DEP_1)
	v_add_f32_e32 v72, v69, v88
	v_cndmask_b32_e64 v69, 0, v77, s11
	v_fma_f32 v77, s19, v106, -v68
	v_dual_mul_f32 v77, 0x3fb8aa3b, v77 :: v_dual_add_f32 v72, v72, v70
	v_mul_f32_e32 v78, 0x3fb8aa3b, v78
	s_delay_alu instid0(VALU_DEP_2) | instskip(NEXT) | instid1(VALU_DEP_2)
	v_exp_f32_e32 v90, v77
	v_add_f32_e32 v79, v72, v69
	s_delay_alu instid0(VALU_DEP_2)
	v_exp_f32_e32 v78, v78
	v_cndmask_b32_e64 v77, 0, v82, s15
	s_waitcnt_depctr 0xfff
	v_cndmask_b32_e64 v72, 0, v78, s13
	v_add_f32_e32 v78, v79, v71
	v_fma_f32 v79, s19, v107, -v68
	s_delay_alu instid0(VALU_DEP_1) | instskip(SKIP_1) | instid1(VALU_DEP_2)
	v_dual_add_f32 v82, v78, v72 :: v_dual_mul_f32 v79, 0x3fb8aa3b, v79
	v_cndmask_b32_e64 v78, 0, v81, s16
	v_add_f32_e32 v81, v82, v77
	s_delay_alu instid0(VALU_DEP_3) | instskip(SKIP_1) | instid1(VALU_DEP_2)
	v_exp_f32_e32 v82, v79
	v_cndmask_b32_e64 v79, 0, v90, s17
	v_add_f32_e32 v81, v81, v78
	s_delay_alu instid0(VALU_DEP_1) | instskip(SKIP_2) | instid1(VALU_DEP_1)
	v_add_f32_e32 v90, v81, v79
	s_waitcnt_depctr 0xfff
	v_cndmask_b32_e64 v81, 0, v82, s18
	v_add_f32_e32 v82, v90, v81
	ds_bpermute_b32 v89, v89, v82
	s_and_saveexec_b32 s4, s3
	s_cbranch_execz .LBB1748_12
; %bb.11:
	v_mul_u32_u24_e32 v67, 0x44, v66
	s_delay_alu instid0(VALU_DEP_1) | instskip(SKIP_1) | instid1(VALU_DEP_1)
	v_lshl_add_u32 v67, v65, 2, v67
	s_waitcnt lgkmcnt(0)
	v_dual_add_f32 v82, v82, v89 :: v_dual_add_nc_u32 v67, 0x4000, v67
	ds_store_2addr_b32 v67, v68, v82 offset1:136
.LBB1748_12:
	s_or_b32 exec_lo, exec_lo, s4
	v_lshlrev_b32_e32 v67, 2, v65
	s_waitcnt lgkmcnt(0)
	s_barrier
	buffer_gl0_inv
	v_cmp_eq_u32_e32 vcc_lo, 1, v66
	v_add_nc_u32_e32 v82, 0x4000, v67
	v_cmp_eq_u32_e64 s4, 2, v66
	v_cmp_eq_u32_e64 s6, 7, v66
	ds_load_2addr_b32 v[89:90], v82 offset1:17
	ds_load_2addr_b32 v[91:92], v82 offset0:34 offset1:51
	ds_load_2addr_b32 v[93:94], v82 offset0:68 offset1:85
	;; [unrolled: 1-line block ×4, first 2 shown]
	s_waitcnt lgkmcnt(4)
	v_max3_f32 v67, v89, 0xff7fffff, v90
	s_waitcnt lgkmcnt(3)
	s_delay_alu instid0(VALU_DEP_1) | instskip(SKIP_1) | instid1(VALU_DEP_1)
	v_max3_f32 v67, v67, v91, v92
	s_waitcnt lgkmcnt(2)
	v_max3_f32 v67, v67, v93, v94
	s_waitcnt lgkmcnt(1)
	s_delay_alu instid0(VALU_DEP_1) | instskip(NEXT) | instid1(VALU_DEP_1)
	v_max3_f32 v67, v67, v95, v96
	v_sub_f32_e32 v93, v93, v67
	s_delay_alu instid0(VALU_DEP_1) | instskip(NEXT) | instid1(VALU_DEP_1)
	v_dual_sub_f32 v68, v89, v67 :: v_dual_mul_f32 v103, 0x3fb8aa3b, v93
	v_mul_f32_e32 v68, 0x3fb8aa3b, v68
	s_delay_alu instid0(VALU_DEP_1)
	v_exp_f32_e32 v100, v68
	v_sub_f32_e32 v68, v92, v67
	v_sub_f32_e32 v99, v90, v67
	ds_load_2addr_b32 v[89:90], v82 offset0:170 offset1:187
	v_dual_mul_f32 v102, 0x3fb8aa3b, v68 :: v_dual_mul_f32 v99, 0x3fb8aa3b, v99
	s_waitcnt lgkmcnt(1)
	v_fma_f32 v68, v100, v97, 0
	s_delay_alu instid0(VALU_DEP_2) | instskip(NEXT) | instid1(VALU_DEP_2)
	v_exp_f32_e32 v102, v102
	v_exp_f32_e32 v99, v99
	s_waitcnt_depctr 0xfff
	v_fmac_f32_e32 v68, v99, v98
	v_sub_f32_e32 v91, v91, v67
	s_delay_alu instid0(VALU_DEP_1)
	v_mul_f32_e32 v101, 0x3fb8aa3b, v91
	ds_load_2addr_b32 v[91:92], v82 offset0:204 offset1:221
	v_sub_f32_e32 v97, v94, v67
	ds_load_2addr_b32 v[93:94], v82 offset0:238 offset1:255
	s_waitcnt lgkmcnt(0)
	v_exp_f32_e32 v101, v101
	s_barrier
	buffer_gl0_inv
	v_dual_fmac_f32 v68, v101, v89 :: v_dual_sub_f32 v89, v96, v67
	v_dual_sub_f32 v82, v95, v67 :: v_dual_mul_f32 v95, 0x3fb8aa3b, v97
	v_exp_f32_e32 v97, v103
	s_delay_alu instid0(VALU_DEP_2) | instskip(NEXT) | instid1(VALU_DEP_2)
	v_dual_fmac_f32 v68, v102, v90 :: v_dual_mul_f32 v89, 0x3fb8aa3b, v89
	v_mul_f32_e32 v82, 0x3fb8aa3b, v82
	s_delay_alu instid0(VALU_DEP_3) | instskip(NEXT) | instid1(VALU_DEP_2)
	v_exp_f32_e32 v95, v95
	v_exp_f32_e32 v89, v89
	s_delay_alu instid0(VALU_DEP_1)
	v_exp_f32_e32 v82, v82
	v_fmac_f32_e32 v68, v97, v91
	s_delay_alu instid0(TRANS32_DEP_3) | instid1(VALU_DEP_1)
	v_fmac_f32_e32 v68, v95, v92
	s_waitcnt_depctr 0xfff
	v_fmac_f32_e32 v68, v82, v93
	s_delay_alu instid0(VALU_DEP_1) | instskip(NEXT) | instid1(VALU_DEP_1)
	v_fmac_f32_e32 v68, v89, v94
	v_add_f32_e32 v90, 0x358637bd, v68
	s_delay_alu instid0(VALU_DEP_1) | instskip(NEXT) | instid1(VALU_DEP_1)
	v_div_scale_f32 v91, null, v90, v90, 1.0
	v_rcp_f32_e32 v92, v91
	s_waitcnt_depctr 0xfff
	v_fma_f32 v93, -v91, v92, 1.0
	s_delay_alu instid0(VALU_DEP_1) | instskip(SKIP_1) | instid1(VALU_DEP_2)
	v_dual_fmac_f32 v92, v93, v92 :: v_dual_cndmask_b32 v93, v100, v99
	v_cmp_eq_u32_e32 vcc_lo, 3, v66
	v_cndmask_b32_e64 v93, v93, v101, s4
	v_cmp_eq_u32_e64 s4, 4, v66
	s_delay_alu instid0(VALU_DEP_2) | instskip(SKIP_1) | instid1(VALU_DEP_2)
	v_cndmask_b32_e32 v93, v93, v102, vcc_lo
	v_cmp_eq_u32_e32 vcc_lo, 5, v66
	v_cndmask_b32_e64 v93, v93, v97, s4
	v_cmp_eq_u32_e64 s4, 6, v66
	s_delay_alu instid0(VALU_DEP_2) | instskip(SKIP_1) | instid1(VALU_DEP_1)
	v_cndmask_b32_e32 v93, v93, v95, vcc_lo
	v_div_scale_f32 v94, s5, 1.0, v90, 1.0
	s_mov_b32 vcc_lo, s5
	s_delay_alu instid0(VALU_DEP_2) | instskip(NEXT) | instid1(VALU_DEP_2)
	v_cndmask_b32_e64 v82, v93, v82, s4
	v_mul_f32_e32 v96, v94, v92
	s_mov_b32 s4, exec_lo
	s_delay_alu instid0(VALU_DEP_2) | instskip(NEXT) | instid1(VALU_DEP_2)
	v_cndmask_b32_e64 v82, v82, v89, s6
	v_fma_f32 v98, -v91, v96, v94
	s_delay_alu instid0(VALU_DEP_1) | instskip(NEXT) | instid1(VALU_DEP_1)
	v_fmac_f32_e32 v96, v98, v92
	v_fma_f32 v91, -v91, v96, v94
	s_delay_alu instid0(VALU_DEP_1) | instskip(NEXT) | instid1(VALU_DEP_1)
	v_div_fmas_f32 v91, v91, v92, v96
	v_div_fixup_f32 v90, v91, v90, 1.0
	s_delay_alu instid0(VALU_DEP_1) | instskip(NEXT) | instid1(VALU_DEP_1)
	v_mul_f32_e32 v82, v82, v90
	v_mul_f32_e32 v87, v82, v87
	;; [unrolled: 1-line block ×7, first 2 shown]
	v_dual_mul_f32 v86, v82, v83 :: v_dual_and_b32 v91, 0x7f800000, v90
	v_mul_f32_e32 v85, v82, v76
                                        ; implicit-def: $vgpr76
	s_delay_alu instid0(VALU_DEP_2)
	v_cmpx_ne_u32_e32 0x7f800000, v91
	s_xor_b32 s4, exec_lo, s4
; %bb.13:
	v_bfe_u32 v76, v90, 16, 1
	s_delay_alu instid0(VALU_DEP_1)
	v_add3_u32 v76, v90, v76, 0x7fff
                                        ; implicit-def: $vgpr90
; %bb.14:
	s_and_not1_saveexec_b32 s4, s4
; %bb.15:
	v_and_b32_e32 v76, 0xffff, v90
	v_or_b32_e32 v83, 0x10000, v90
	s_delay_alu instid0(VALU_DEP_2) | instskip(NEXT) | instid1(VALU_DEP_2)
	v_cmp_eq_u32_e32 vcc_lo, 0, v76
	v_cndmask_b32_e32 v76, v83, v90, vcc_lo
; %bb.16:
	s_or_b32 exec_lo, exec_lo, s4
	v_and_b32_e32 v83, 0x7f800000, v85
	s_delay_alu instid0(VALU_DEP_1) | instskip(SKIP_1) | instid1(SALU_CYCLE_1)
	v_cmp_ne_u32_e32 vcc_lo, 0x7f800000, v83
                                        ; implicit-def: $vgpr83
	s_and_saveexec_b32 s4, vcc_lo
	s_xor_b32 s4, exec_lo, s4
; %bb.17:
	v_bfe_u32 v83, v85, 16, 1
	s_delay_alu instid0(VALU_DEP_1)
	v_add3_u32 v83, v85, v83, 0x7fff
                                        ; implicit-def: $vgpr85
; %bb.18:
	s_and_not1_saveexec_b32 s4, s4
; %bb.19:
	v_and_b32_e32 v83, 0xffff, v85
	v_or_b32_e32 v90, 0x10000, v85
	s_delay_alu instid0(VALU_DEP_2) | instskip(NEXT) | instid1(VALU_DEP_2)
	v_cmp_eq_u32_e32 vcc_lo, 0, v83
	v_cndmask_b32_e32 v83, v90, v85, vcc_lo
; %bb.20:
	s_or_b32 exec_lo, exec_lo, s4
	v_and_b32_e32 v85, 0x7f800000, v86
	s_delay_alu instid0(VALU_DEP_1) | instskip(SKIP_1) | instid1(SALU_CYCLE_1)
	v_cmp_ne_u32_e32 vcc_lo, 0x7f800000, v85
                                        ; implicit-def: $vgpr85
	s_and_saveexec_b32 s4, vcc_lo
	s_xor_b32 s4, exec_lo, s4
; %bb.21:
	v_bfe_u32 v85, v86, 16, 1
	s_delay_alu instid0(VALU_DEP_1)
	v_add3_u32 v85, v86, v85, 0x7fff
                                        ; implicit-def: $vgpr86
; %bb.22:
	s_and_not1_saveexec_b32 s4, s4
; %bb.23:
	v_and_b32_e32 v85, 0xffff, v86
	v_or_b32_e32 v90, 0x10000, v86
	s_delay_alu instid0(VALU_DEP_2) | instskip(NEXT) | instid1(VALU_DEP_2)
	v_cmp_eq_u32_e32 vcc_lo, 0, v85
	v_cndmask_b32_e32 v85, v90, v86, vcc_lo
; %bb.24:
	s_or_b32 exec_lo, exec_lo, s4
	v_and_b32_e32 v86, 0x7f800000, v89
	s_delay_alu instid0(VALU_DEP_1) | instskip(SKIP_1) | instid1(SALU_CYCLE_1)
	v_cmp_ne_u32_e32 vcc_lo, 0x7f800000, v86
                                        ; implicit-def: $vgpr86
	s_and_saveexec_b32 s4, vcc_lo
	s_xor_b32 s4, exec_lo, s4
; %bb.25:
	v_bfe_u32 v86, v89, 16, 1
	s_delay_alu instid0(VALU_DEP_1)
	v_add3_u32 v86, v89, v86, 0x7fff
                                        ; implicit-def: $vgpr89
; %bb.26:
	s_and_not1_saveexec_b32 s4, s4
; %bb.27:
	v_and_b32_e32 v86, 0xffff, v89
	v_or_b32_e32 v90, 0x10000, v89
	s_delay_alu instid0(VALU_DEP_2) | instskip(NEXT) | instid1(VALU_DEP_2)
	v_cmp_eq_u32_e32 vcc_lo, 0, v86
	v_cndmask_b32_e32 v86, v90, v89, vcc_lo
; %bb.28:
	s_or_b32 exec_lo, exec_lo, s4
	v_and_b32_e32 v89, 0x7f800000, v88
	s_delay_alu instid0(VALU_DEP_1) | instskip(SKIP_1) | instid1(SALU_CYCLE_1)
	v_cmp_ne_u32_e32 vcc_lo, 0x7f800000, v89
                                        ; implicit-def: $vgpr89
	s_and_saveexec_b32 s4, vcc_lo
	s_xor_b32 s4, exec_lo, s4
; %bb.29:
	v_bfe_u32 v89, v88, 16, 1
	s_delay_alu instid0(VALU_DEP_1)
	v_add3_u32 v89, v88, v89, 0x7fff
                                        ; implicit-def: $vgpr88
; %bb.30:
	s_and_not1_saveexec_b32 s4, s4
; %bb.31:
	v_and_b32_e32 v89, 0xffff, v88
	v_or_b32_e32 v90, 0x10000, v88
	s_delay_alu instid0(VALU_DEP_2) | instskip(NEXT) | instid1(VALU_DEP_2)
	v_cmp_eq_u32_e32 vcc_lo, 0, v89
	v_cndmask_b32_e32 v89, v90, v88, vcc_lo
; %bb.32:
	s_or_b32 exec_lo, exec_lo, s4
	v_and_b32_e32 v88, 0x7f800000, v87
	s_delay_alu instid0(VALU_DEP_1) | instskip(SKIP_1) | instid1(SALU_CYCLE_1)
	v_cmp_ne_u32_e32 vcc_lo, 0x7f800000, v88
                                        ; implicit-def: $vgpr88
	s_and_saveexec_b32 s4, vcc_lo
	s_xor_b32 s4, exec_lo, s4
; %bb.33:
	v_bfe_u32 v88, v87, 16, 1
	s_delay_alu instid0(VALU_DEP_1)
	v_add3_u32 v88, v87, v88, 0x7fff
                                        ; implicit-def: $vgpr87
; %bb.34:
	s_and_not1_saveexec_b32 s4, s4
; %bb.35:
	v_and_b32_e32 v88, 0xffff, v87
	v_or_b32_e32 v90, 0x10000, v87
	s_delay_alu instid0(VALU_DEP_2) | instskip(NEXT) | instid1(VALU_DEP_2)
	v_cmp_eq_u32_e32 vcc_lo, 0, v88
	v_cndmask_b32_e32 v88, v90, v87, vcc_lo
; %bb.36:
	s_or_b32 exec_lo, exec_lo, s4
	v_and_b32_e32 v87, 0x7f800000, v84
	s_delay_alu instid0(VALU_DEP_1) | instskip(SKIP_1) | instid1(SALU_CYCLE_1)
	v_cmp_ne_u32_e32 vcc_lo, 0x7f800000, v87
                                        ; implicit-def: $vgpr87
	s_and_saveexec_b32 s4, vcc_lo
	s_xor_b32 s4, exec_lo, s4
; %bb.37:
	v_bfe_u32 v87, v84, 16, 1
	s_delay_alu instid0(VALU_DEP_1)
	v_add3_u32 v87, v84, v87, 0x7fff
                                        ; implicit-def: $vgpr84
; %bb.38:
	s_and_not1_saveexec_b32 s4, s4
; %bb.39:
	v_and_b32_e32 v87, 0xffff, v84
	v_or_b32_e32 v90, 0x10000, v84
	s_delay_alu instid0(VALU_DEP_2) | instskip(NEXT) | instid1(VALU_DEP_2)
	v_cmp_eq_u32_e32 vcc_lo, 0, v87
	v_cndmask_b32_e32 v87, v90, v84, vcc_lo
; %bb.40:
	s_or_b32 exec_lo, exec_lo, s4
	v_and_b32_e32 v84, 0x7f800000, v80
	s_delay_alu instid0(VALU_DEP_1) | instskip(SKIP_1) | instid1(SALU_CYCLE_1)
	v_cmp_ne_u32_e32 vcc_lo, 0x7f800000, v84
                                        ; implicit-def: $vgpr84
	s_and_saveexec_b32 s4, vcc_lo
	s_xor_b32 s4, exec_lo, s4
; %bb.41:
	v_bfe_u32 v84, v80, 16, 1
	s_delay_alu instid0(VALU_DEP_1)
	v_add3_u32 v84, v80, v84, 0x7fff
                                        ; implicit-def: $vgpr80
; %bb.42:
	s_and_not1_saveexec_b32 s4, s4
; %bb.43:
	v_and_b32_e32 v84, 0xffff, v80
	v_or_b32_e32 v90, 0x10000, v80
	s_delay_alu instid0(VALU_DEP_2) | instskip(NEXT) | instid1(VALU_DEP_2)
	v_cmp_eq_u32_e32 vcc_lo, 0, v84
	v_cndmask_b32_e32 v84, v90, v80, vcc_lo
; %bb.44:
	s_or_b32 exec_lo, exec_lo, s4
	s_load_b64 s[36:37], s[0:1], 0x94
	v_lshlrev_b32_e32 v91, 4, v74
	s_delay_alu instid0(VALU_DEP_2)
	v_perm_b32 v90, v84, v87, 0x7060302
	v_dual_mul_f32 v79, v82, v79 :: v_dual_lshlrev_b32 v80, 6, v65
	v_dual_mul_f32 v77, v82, v77 :: v_dual_lshlrev_b32 v92, 11, v66
	v_mul_f32_e32 v84, v82, v70
	v_perm_b32 v89, v88, v89, 0x7060302
	v_perm_b32 v88, v86, v85, 0x7060302
	;; [unrolled: 1-line block ×3, first 2 shown]
	v_mul_f32_e32 v70, v82, v81
	v_or3_b32 v76, v91, v92, v80
	v_dual_mul_f32 v78, v82, v78 :: v_dual_and_b32 v85, 0x7f800000, v84
	v_mul_f32_e32 v83, v82, v72
	v_mul_f32_e32 v81, v82, v71
	v_mul_f32_e32 v72, v82, v69
	s_mov_b32 s4, exec_lo
	ds_store_b128 v76, v[87:90]
                                        ; implicit-def: $vgpr69
	v_cmpx_ne_u32_e32 0x7f800000, v85
	s_xor_b32 s4, exec_lo, s4
; %bb.45:
	v_bfe_u32 v69, v84, 16, 1
	s_delay_alu instid0(VALU_DEP_1)
	v_add3_u32 v69, v84, v69, 0x7fff
                                        ; implicit-def: $vgpr84
; %bb.46:
	s_and_not1_saveexec_b32 s4, s4
; %bb.47:
	v_and_b32_e32 v69, 0xffff, v84
	v_or_b32_e32 v71, 0x10000, v84
	s_delay_alu instid0(VALU_DEP_2) | instskip(NEXT) | instid1(VALU_DEP_2)
	v_cmp_eq_u32_e32 vcc_lo, 0, v69
	v_cndmask_b32_e32 v69, v71, v84, vcc_lo
; %bb.48:
	s_or_b32 exec_lo, exec_lo, s4
	v_and_b32_e32 v71, 0x7f800000, v72
	s_delay_alu instid0(VALU_DEP_1) | instskip(SKIP_1) | instid1(SALU_CYCLE_1)
	v_cmp_ne_u32_e32 vcc_lo, 0x7f800000, v71
                                        ; implicit-def: $vgpr71
	s_and_saveexec_b32 s4, vcc_lo
	s_xor_b32 s4, exec_lo, s4
; %bb.49:
	v_bfe_u32 v71, v72, 16, 1
	s_delay_alu instid0(VALU_DEP_1)
	v_add3_u32 v71, v72, v71, 0x7fff
                                        ; implicit-def: $vgpr72
; %bb.50:
	s_and_not1_saveexec_b32 s4, s4
; %bb.51:
	v_and_b32_e32 v71, 0xffff, v72
	v_or_b32_e32 v82, 0x10000, v72
	s_delay_alu instid0(VALU_DEP_2) | instskip(NEXT) | instid1(VALU_DEP_2)
	v_cmp_eq_u32_e32 vcc_lo, 0, v71
	v_cndmask_b32_e32 v71, v82, v72, vcc_lo
; %bb.52:
	s_or_b32 exec_lo, exec_lo, s4
	v_and_b32_e32 v72, 0x7f800000, v81
	s_delay_alu instid0(VALU_DEP_1) | instskip(SKIP_1) | instid1(SALU_CYCLE_1)
	v_cmp_ne_u32_e32 vcc_lo, 0x7f800000, v72
                                        ; implicit-def: $vgpr72
	s_and_saveexec_b32 s4, vcc_lo
	s_xor_b32 s4, exec_lo, s4
; %bb.53:
	v_bfe_u32 v72, v81, 16, 1
	s_delay_alu instid0(VALU_DEP_1)
	v_add3_u32 v72, v81, v72, 0x7fff
                                        ; implicit-def: $vgpr81
; %bb.54:
	s_and_not1_saveexec_b32 s4, s4
; %bb.55:
	v_and_b32_e32 v72, 0xffff, v81
	v_or_b32_e32 v82, 0x10000, v81
	s_delay_alu instid0(VALU_DEP_2) | instskip(NEXT) | instid1(VALU_DEP_2)
	v_cmp_eq_u32_e32 vcc_lo, 0, v72
	v_cndmask_b32_e32 v72, v82, v81, vcc_lo
; %bb.56:
	s_or_b32 exec_lo, exec_lo, s4
	v_and_b32_e32 v81, 0x7f800000, v83
	s_delay_alu instid0(VALU_DEP_1) | instskip(SKIP_1) | instid1(SALU_CYCLE_1)
	v_cmp_ne_u32_e32 vcc_lo, 0x7f800000, v81
                                        ; implicit-def: $vgpr81
	s_and_saveexec_b32 s4, vcc_lo
	s_xor_b32 s4, exec_lo, s4
; %bb.57:
	v_bfe_u32 v81, v83, 16, 1
	s_delay_alu instid0(VALU_DEP_1)
	v_add3_u32 v81, v83, v81, 0x7fff
                                        ; implicit-def: $vgpr83
; %bb.58:
	s_and_not1_saveexec_b32 s4, s4
; %bb.59:
	v_and_b32_e32 v81, 0xffff, v83
	v_or_b32_e32 v82, 0x10000, v83
	s_delay_alu instid0(VALU_DEP_2) | instskip(NEXT) | instid1(VALU_DEP_2)
	v_cmp_eq_u32_e32 vcc_lo, 0, v81
	v_cndmask_b32_e32 v81, v82, v83, vcc_lo
; %bb.60:
	s_or_b32 exec_lo, exec_lo, s4
	v_and_b32_e32 v82, 0x7f800000, v77
	s_delay_alu instid0(VALU_DEP_1) | instskip(SKIP_1) | instid1(SALU_CYCLE_1)
	v_cmp_ne_u32_e32 vcc_lo, 0x7f800000, v82
                                        ; implicit-def: $vgpr82
	s_and_saveexec_b32 s4, vcc_lo
	s_xor_b32 s4, exec_lo, s4
; %bb.61:
	v_bfe_u32 v82, v77, 16, 1
	s_delay_alu instid0(VALU_DEP_1)
	v_add3_u32 v82, v77, v82, 0x7fff
                                        ; implicit-def: $vgpr77
; %bb.62:
	s_and_not1_saveexec_b32 s4, s4
; %bb.63:
	v_and_b32_e32 v82, 0xffff, v77
	v_or_b32_e32 v83, 0x10000, v77
	s_delay_alu instid0(VALU_DEP_2) | instskip(NEXT) | instid1(VALU_DEP_2)
	v_cmp_eq_u32_e32 vcc_lo, 0, v82
	v_cndmask_b32_e32 v82, v83, v77, vcc_lo
; %bb.64:
	s_or_b32 exec_lo, exec_lo, s4
	v_and_b32_e32 v77, 0x7f800000, v78
	s_delay_alu instid0(VALU_DEP_1) | instskip(SKIP_1) | instid1(SALU_CYCLE_1)
	v_cmp_ne_u32_e32 vcc_lo, 0x7f800000, v77
                                        ; implicit-def: $vgpr77
	s_and_saveexec_b32 s4, vcc_lo
	s_xor_b32 s4, exec_lo, s4
; %bb.65:
	v_bfe_u32 v77, v78, 16, 1
	s_delay_alu instid0(VALU_DEP_1)
	v_add3_u32 v77, v78, v77, 0x7fff
                                        ; implicit-def: $vgpr78
; %bb.66:
	s_and_not1_saveexec_b32 s4, s4
; %bb.67:
	v_and_b32_e32 v77, 0xffff, v78
	v_or_b32_e32 v83, 0x10000, v78
	s_delay_alu instid0(VALU_DEP_2) | instskip(NEXT) | instid1(VALU_DEP_2)
	v_cmp_eq_u32_e32 vcc_lo, 0, v77
	v_cndmask_b32_e32 v77, v83, v78, vcc_lo
; %bb.68:
	s_or_b32 exec_lo, exec_lo, s4
	v_and_b32_e32 v78, 0x7f800000, v79
	s_delay_alu instid0(VALU_DEP_1) | instskip(SKIP_1) | instid1(SALU_CYCLE_1)
	v_cmp_ne_u32_e32 vcc_lo, 0x7f800000, v78
                                        ; implicit-def: $vgpr78
	s_and_saveexec_b32 s4, vcc_lo
	s_xor_b32 s4, exec_lo, s4
; %bb.69:
	v_bfe_u32 v78, v79, 16, 1
	s_delay_alu instid0(VALU_DEP_1)
	v_add3_u32 v78, v79, v78, 0x7fff
                                        ; implicit-def: $vgpr79
; %bb.70:
	s_and_not1_saveexec_b32 s4, s4
; %bb.71:
	v_and_b32_e32 v78, 0xffff, v79
	v_or_b32_e32 v83, 0x10000, v79
	s_delay_alu instid0(VALU_DEP_2) | instskip(NEXT) | instid1(VALU_DEP_2)
	v_cmp_eq_u32_e32 vcc_lo, 0, v78
	v_cndmask_b32_e32 v78, v83, v79, vcc_lo
; %bb.72:
	s_or_b32 exec_lo, exec_lo, s4
	v_and_b32_e32 v79, 0x7f800000, v70
	s_delay_alu instid0(VALU_DEP_1) | instskip(SKIP_1) | instid1(SALU_CYCLE_1)
	v_cmp_ne_u32_e32 vcc_lo, 0x7f800000, v79
                                        ; implicit-def: $vgpr79
	s_and_saveexec_b32 s4, vcc_lo
	s_xor_b32 s4, exec_lo, s4
; %bb.73:
	v_bfe_u32 v79, v70, 16, 1
	s_delay_alu instid0(VALU_DEP_1)
	v_add3_u32 v79, v70, v79, 0x7fff
                                        ; implicit-def: $vgpr70
; %bb.74:
	s_and_not1_saveexec_b32 s4, s4
; %bb.75:
	v_and_b32_e32 v79, 0xffff, v70
	v_or_b32_e32 v83, 0x10000, v70
	s_delay_alu instid0(VALU_DEP_2) | instskip(NEXT) | instid1(VALU_DEP_2)
	v_cmp_eq_u32_e32 vcc_lo, 0, v79
	v_cndmask_b32_e32 v79, v83, v70, vcc_lo
; %bb.76:
	s_or_b32 exec_lo, exec_lo, s4
	s_delay_alu instid0(VALU_DEP_1)
	v_perm_b32 v86, v79, v78, 0x7060302
	v_perm_b32 v85, v77, v82, 0x7060302
	;; [unrolled: 1-line block ×4, first 2 shown]
	v_lshl_or_b32 v82, v66, 11, v80
	ds_store_b128 v76, v[83:86] offset:1024
	s_waitcnt lgkmcnt(0)
	s_barrier
	buffer_gl0_inv
	ds_load_b128 v[69:72], v82
	ds_load_b128 v[83:86], v82 offset:16
	s_waitcnt lgkmcnt(1)
	v_lshrrev_b32_e32 v66, 16, v69
	s_waitcnt lgkmcnt(0)
	v_lshrrev_b32_e32 v91, 16, v83
	v_lshlrev_b32_e32 v78, 2, v74
	v_lshrrev_b32_e32 v95, 16, v70
	v_lshrrev_b32_e32 v98, 16, v84
	;; [unrolled: 1-line block ×4, first 2 shown]
	v_cmp_eq_u32_e32 vcc_lo, 1, v78
	v_lshrrev_b32_e32 v97, 16, v72
	v_lshrrev_b32_e32 v100, 16, v86
	v_cndmask_b32_e32 v87, v83, v91, vcc_lo
	v_or_b32_e32 v79, 1, v78
	v_cndmask_b32_e32 v81, v69, v66, vcc_lo
	v_cmp_eq_u32_e64 s5, 2, v78
	v_cmp_eq_u32_e64 s8, 3, v78
	;; [unrolled: 1-line block ×5, first 2 shown]
	v_cndmask_b32_e64 v81, v81, v70, s5
	v_cndmask_b32_e64 v87, v87, v84, s5
	v_cmp_eq_u32_e64 s9, 3, v79
	v_cndmask_b32_e64 v88, v69, v66, s4
	v_or_b32_e32 v77, 2, v78
	v_cndmask_b32_e64 v81, v81, v95, s8
	v_cndmask_b32_e64 v87, v87, v98, s8
	;; [unrolled: 1-line block ×4, first 2 shown]
	v_cmp_eq_u32_e64 s11, 5, v78
	v_cndmask_b32_e64 v81, v81, v71, s10
	v_cndmask_b32_e64 v87, v87, v85, s10
	v_cmp_eq_u32_e64 s12, 4, v79
	v_cndmask_b32_e64 v88, v88, v95, s9
	v_cmp_eq_u32_e64 s6, 1, v77
	v_cndmask_b32_e64 v89, v89, v84, s7
	v_cndmask_b32_e64 v81, v81, v96, s11
	v_cmp_eq_u32_e64 s13, 6, v78
	v_cndmask_b32_e64 v88, v88, v71, s12
	v_cndmask_b32_e64 v87, v87, v99, s11
	v_cmp_eq_u32_e64 s15, 5, v79
	v_cndmask_b32_e64 v90, v69, v66, s6
	v_cndmask_b32_e64 v89, v89, v98, s9
	v_cndmask_b32_e64 v81, v81, v72, s13
	v_cmp_eq_u32_e64 s16, 7, v78
	v_cndmask_b32_e64 v88, v88, v96, s15
	v_cndmask_b32_e64 v87, v87, v86, s13
	v_cmp_eq_u32_e64 s17, 6, v79
	v_cmp_eq_u32_e64 s18, 2, v77
	v_cndmask_b32_e64 v89, v89, v85, s12
	v_cndmask_b32_e64 v101, v81, v97, s16
	;; [unrolled: 1-line block ×6, first 2 shown]
	v_cmp_eq_u32_e64 s19, 7, v79
	v_cmp_eq_u32_e64 s20, 3, v77
	;; [unrolled: 1-line block ×4, first 2 shown]
	v_cndmask_b32_e64 v87, v87, v84, s18
	v_cndmask_b32_e64 v103, v88, v97, s19
	;; [unrolled: 1-line block ×4, first 2 shown]
	v_or_b32_e32 v81, 3, v78
	v_cndmask_b32_e64 v93, v87, v98, s20
	v_cmp_eq_u32_e64 s25, 6, v77
	v_cndmask_b32_e64 v104, v88, v86, s17
	v_cndmask_b32_e64 v92, v89, v71, s21
	v_cmp_eq_u32_e64 s22, 1, v81
	ds_load_b128 v[87:90], v82 offset:1024
	v_cmp_eq_u32_e64 s24, 2, v81
	v_cmp_eq_u32_e64 s26, 3, v81
	v_cndmask_b32_e64 v105, v92, v96, s23
	v_cndmask_b32_e64 v66, v69, v66, s22
	;; [unrolled: 1-line block ×4, first 2 shown]
	ds_load_b128 v[91:94], v82 offset:1040
	v_cmp_eq_u32_e64 s27, 4, v81
	v_cndmask_b32_e64 v66, v66, v70, s24
	v_cmp_eq_u32_e64 s28, 7, v77
	v_cndmask_b32_e64 v70, v83, v84, s24
	v_cndmask_b32_e64 v84, v105, v72, s25
	v_cmp_eq_u32_e64 s29, 5, v81
	v_cndmask_b32_e64 v66, v66, v95, s26
	v_cmp_eq_u32_e64 s30, 6, v81
	v_cndmask_b32_e64 v70, v70, v98, s26
	v_cndmask_b32_e64 v69, v69, v99, s23
	;; [unrolled: 1-line block ×4, first 2 shown]
	s_waitcnt lgkmcnt(1)
	v_lshrrev_b32_e32 v95, 16, v87
	v_cndmask_b32_e64 v70, v70, v85, s27
	v_cndmask_b32_e64 v71, v84, v97, s28
	;; [unrolled: 1-line block ×4, first 2 shown]
	v_cndmask_b32_e32 v84, v87, v95, vcc_lo
	v_cndmask_b32_e64 v70, v70, v99, s29
	s_waitcnt lgkmcnt(0)
	v_lshrrev_b32_e32 v85, 16, v91
	v_lshrrev_b32_e32 v96, 16, v88
	v_cndmask_b32_e64 v98, v87, v95, s4
	v_cndmask_b32_e64 v84, v84, v88, s5
	;; [unrolled: 1-line block ×3, first 2 shown]
	v_cndmask_b32_e32 v99, v91, v85, vcc_lo
	v_cmp_eq_u32_e32 vcc_lo, 7, v81
	v_cndmask_b32_e64 v66, v66, v72, s30
	v_cndmask_b32_e64 v72, v84, v96, s8
	;; [unrolled: 1-line block ×3, first 2 shown]
	v_lshrrev_b32_e32 v98, 16, v92
	v_cndmask_b32_e32 v70, v70, v100, vcc_lo
	v_cndmask_b32_e64 v86, v99, v92, s5
	v_cndmask_b32_e64 v69, v69, v100, s28
	v_lshrrev_b32_e32 v100, 16, v93
	v_cndmask_b32_e64 v72, v72, v89, s10
	v_lshrrev_b32_e32 v99, 16, v89
	v_cndmask_b32_e64 v86, v86, v98, s8
	v_perm_b32 v71, v69, v71, 0x5040100
	v_cndmask_b32_e64 v84, v84, v96, s9
	s_delay_alu instid0(VALU_DEP_3) | instskip(NEXT) | instid1(VALU_DEP_2)
	v_cndmask_b32_e64 v86, v86, v93, s10
	v_cndmask_b32_e64 v84, v84, v89, s12
	s_delay_alu instid0(VALU_DEP_2) | instskip(NEXT) | instid1(VALU_DEP_1)
	v_cndmask_b32_e64 v86, v86, v100, s11
	v_cndmask_b32_e64 v69, v86, v94, s13
	;; [unrolled: 1-line block ×5, first 2 shown]
	s_delay_alu instid0(VALU_DEP_3) | instskip(NEXT) | instid1(VALU_DEP_3)
	v_cndmask_b32_e64 v86, v86, v88, s18
	v_cndmask_b32_e64 v87, v87, v88, s24
	s_delay_alu instid0(VALU_DEP_3) | instskip(NEXT) | instid1(VALU_DEP_3)
	v_cndmask_b32_e64 v88, v95, v92, s24
	v_cndmask_b32_e64 v86, v86, v96, s20
	;; [unrolled: 3-line block ×7, first 2 shown]
	s_delay_alu instid0(VALU_DEP_3) | instskip(SKIP_2) | instid1(VALU_DEP_2)
	v_cndmask_b32_e64 v88, v88, v94, s30
	v_cndmask_b32_e32 v66, v66, v97, vcc_lo
	v_cndmask_b32_e64 v97, v72, v99, s11
	v_perm_b32 v72, v70, v66, 0x5040100
	v_perm_b32 v70, v83, v103, 0x5040100
	v_cndmask_b32_e64 v103, v91, v85, s6
	v_cndmask_b32_e64 v85, v91, v85, s4
	;; [unrolled: 1-line block ×4, first 2 shown]
	v_lshrrev_b32_e32 v97, 16, v90
	v_cndmask_b32_e64 v91, v103, v92, s18
	v_cndmask_b32_e64 v85, v85, v92, s7
	;; [unrolled: 1-line block ×3, first 2 shown]
	s_mov_b32 s4, exec_lo
	v_cndmask_b32_e64 v83, v84, v97, s16
	v_cndmask_b32_e64 v91, v91, v98, s20
	;; [unrolled: 1-line block ×3, first 2 shown]
	v_lshrrev_b32_e32 v84, 16, v94
	v_cndmask_b32_e64 v66, v66, v97, s19
	v_cndmask_b32_e64 v90, v86, v97, s28
	v_cndmask_b32_e64 v89, v91, v93, s21
	v_cndmask_b32_e64 v85, v85, v93, s12
	v_dual_cndmask_b32 v86, v87, v97 :: v_dual_cndmask_b32 v87, v88, v84
	v_cndmask_b32_e64 v91, v69, v84, s16
	s_delay_alu instid0(VALU_DEP_4) | instskip(NEXT) | instid1(VALU_DEP_4)
	v_cndmask_b32_e64 v89, v89, v100, s23
	v_cndmask_b32_e64 v85, v85, v100, s15
	v_perm_b32 v69, v102, v101, 0x5040100
	v_perm_b32 v86, v87, v86, 0x5040100
	;; [unrolled: 1-line block ×3, first 2 shown]
	v_cndmask_b32_e64 v89, v89, v94, s25
	v_cndmask_b32_e64 v85, v85, v94, s17
	s_mul_i32 s9, s37, 7
	s_delay_alu instid0(VALU_DEP_2) | instskip(NEXT) | instid1(VALU_DEP_2)
	v_cndmask_b32_e64 v88, v89, v84, s28
	v_cndmask_b32_e64 v89, v85, v84, s19
	s_delay_alu instid0(VALU_DEP_2) | instskip(NEXT) | instid1(VALU_DEP_2)
	v_perm_b32 v85, v88, v90, 0x5040100
	v_perm_b32 v84, v89, v66, 0x5040100
	ds_store_b128 v76, v[69:72]
	ds_store_b128 v76, v[83:86] offset:1024
	v_cmpx_gt_u32_e32 7, v0
	s_cbranch_execz .LBB1748_78
; %bb.77:
	s_mul_i32 s5, s9, s34
	s_load_b128 s[16:19], s[0:1], 0x58
	v_add3_u32 v69, s5, s31, v65
	s_delay_alu instid0(VALU_DEP_1) | instskip(NEXT) | instid1(VALU_DEP_1)
	v_mad_u64_u32 v[65:66], null, v69, s36, s[14:15]
	v_ashrrev_i32_e32 v66, 31, v65
	s_delay_alu instid0(VALU_DEP_1) | instskip(SKIP_1) | instid1(VALU_DEP_1)
	v_lshlrev_b64 v[65:66], 2, v[65:66]
	s_waitcnt lgkmcnt(0)
	v_add_co_u32 v69, vcc_lo, s18, v65
	s_delay_alu instid0(VALU_DEP_2)
	v_add_co_ci_u32_e32 v70, vcc_lo, s19, v66, vcc_lo
	v_add_co_u32 v65, vcc_lo, s16, v65
	v_add_co_ci_u32_e32 v66, vcc_lo, s17, v66, vcc_lo
	global_store_b32 v[69:70], v67, off
	global_store_b32 v[65:66], v68, off
.LBB1748_78:
	s_or_b32 exec_lo, exec_lo, s4
	s_waitcnt lgkmcnt(0)
	s_waitcnt_vscnt null, 0x0
	s_barrier
	buffer_gl0_inv
	ds_load_b128 v[83:86], v80
	ds_load_b128 v[87:90], v80 offset:16
	ds_load_b128 v[95:98], v80 offset:2064
	;; [unrolled: 1-line block ×3, first 2 shown]
	v_mov_b32_e32 v65, 0
	ds_load_b128 v[103:106], v80 offset:4112
	ds_load_b128 v[99:102], v80 offset:4096
	;; [unrolled: 1-line block ×4, first 2 shown]
	v_mov_b32_e32 v66, v65
	v_mov_b32_e32 v67, v65
	;; [unrolled: 1-line block ×7, first 2 shown]
	s_waitcnt lgkmcnt(6)
	s_delay_alu instid0(VALU_DEP_1)
	v_wmma_f32_16x16x16_bf16 v[65:72], v[57:64], v[83:90], v[65:72]
	ds_load_b128 v[61:64], v80 offset:8208
	ds_load_b128 v[57:60], v80 offset:8192
	s_waitcnt lgkmcnt(6)
	v_wmma_f32_16x16x16_bf16 v[65:72], v[41:48], v[91:98], v[65:72]
	ds_load_b128 v[45:48], v80 offset:10256
	ds_load_b128 v[41:44], v80 offset:10240
	s_waitcnt lgkmcnt(6)
	;; [unrolled: 4-line block ×4, first 2 shown]
	v_wmma_f32_16x16x16_bf16 v[65:72], v[1:8], v[57:64], v[65:72]
	s_waitcnt lgkmcnt(4)
	s_delay_alu instid0(VALU_DEP_1) | instskip(SKIP_1) | instid1(VALU_DEP_1)
	v_wmma_f32_16x16x16_bf16 v[65:72], v[9:16], v[41:48], v[65:72]
	s_waitcnt lgkmcnt(2)
	v_wmma_f32_16x16x16_bf16 v[65:72], v[17:24], v[33:40], v[65:72]
	s_waitcnt lgkmcnt(0)
	s_delay_alu instid0(VALU_DEP_1) | instskip(NEXT) | instid1(VALU_DEP_1)
	v_wmma_f32_16x16x16_bf16 v[65:72], v[49:56], v[25:32], v[65:72]
	v_and_b32_e32 v1, 0x7f800000, v65
	s_delay_alu instid0(VALU_DEP_1) | instskip(SKIP_1) | instid1(SALU_CYCLE_1)
	v_cmp_ne_u32_e32 vcc_lo, 0x7f800000, v1
                                        ; implicit-def: $vgpr1
	s_and_saveexec_b32 s4, vcc_lo
	s_xor_b32 s4, exec_lo, s4
; %bb.79:
	v_bfe_u32 v1, v65, 16, 1
	s_delay_alu instid0(VALU_DEP_1)
	v_add3_u32 v1, v65, v1, 0x7fff
; %bb.80:
	s_and_not1_saveexec_b32 s4, s4
; %bb.81:
	v_and_b32_e32 v1, 0xffff, v65
	v_or_b32_e32 v2, 0x10000, v65
	s_delay_alu instid0(VALU_DEP_2) | instskip(NEXT) | instid1(VALU_DEP_2)
	v_cmp_eq_u32_e32 vcc_lo, 0, v1
	v_cndmask_b32_e32 v1, v2, v65, vcc_lo
; %bb.82:
	s_or_b32 exec_lo, exec_lo, s4
	v_and_b32_e32 v2, 0x7f800000, v66
	s_delay_alu instid0(VALU_DEP_1) | instskip(SKIP_1) | instid1(SALU_CYCLE_1)
	v_cmp_ne_u32_e32 vcc_lo, 0x7f800000, v2
                                        ; implicit-def: $vgpr2
	s_and_saveexec_b32 s4, vcc_lo
	s_xor_b32 s4, exec_lo, s4
; %bb.83:
	v_bfe_u32 v2, v66, 16, 1
	s_delay_alu instid0(VALU_DEP_1)
	v_add3_u32 v2, v66, v2, 0x7fff
; %bb.84:
	s_and_not1_saveexec_b32 s4, s4
; %bb.85:
	v_and_b32_e32 v2, 0xffff, v66
	v_or_b32_e32 v3, 0x10000, v66
	s_delay_alu instid0(VALU_DEP_2) | instskip(NEXT) | instid1(VALU_DEP_2)
	v_cmp_eq_u32_e32 vcc_lo, 0, v2
	v_cndmask_b32_e32 v2, v3, v66, vcc_lo
; %bb.86:
	s_or_b32 exec_lo, exec_lo, s4
	v_and_b32_e32 v3, 0x7f800000, v67
	s_delay_alu instid0(VALU_DEP_1) | instskip(SKIP_1) | instid1(SALU_CYCLE_1)
	v_cmp_ne_u32_e32 vcc_lo, 0x7f800000, v3
                                        ; implicit-def: $vgpr3
	s_and_saveexec_b32 s4, vcc_lo
	s_xor_b32 s4, exec_lo, s4
; %bb.87:
	v_bfe_u32 v3, v67, 16, 1
	s_delay_alu instid0(VALU_DEP_1)
	v_add3_u32 v3, v67, v3, 0x7fff
; %bb.88:
	s_and_not1_saveexec_b32 s4, s4
; %bb.89:
	v_and_b32_e32 v3, 0xffff, v67
	v_or_b32_e32 v4, 0x10000, v67
	s_delay_alu instid0(VALU_DEP_2) | instskip(NEXT) | instid1(VALU_DEP_2)
	v_cmp_eq_u32_e32 vcc_lo, 0, v3
	v_cndmask_b32_e32 v3, v4, v67, vcc_lo
; %bb.90:
	s_or_b32 exec_lo, exec_lo, s4
	v_and_b32_e32 v4, 0x7f800000, v68
	s_delay_alu instid0(VALU_DEP_1) | instskip(SKIP_1) | instid1(SALU_CYCLE_1)
	v_cmp_ne_u32_e32 vcc_lo, 0x7f800000, v4
                                        ; implicit-def: $vgpr4
	s_and_saveexec_b32 s4, vcc_lo
	s_xor_b32 s4, exec_lo, s4
; %bb.91:
	v_bfe_u32 v4, v68, 16, 1
	s_delay_alu instid0(VALU_DEP_1)
	v_add3_u32 v4, v68, v4, 0x7fff
; %bb.92:
	s_and_not1_saveexec_b32 s4, s4
; %bb.93:
	v_and_b32_e32 v4, 0xffff, v68
	v_or_b32_e32 v5, 0x10000, v68
	s_delay_alu instid0(VALU_DEP_2) | instskip(NEXT) | instid1(VALU_DEP_2)
	v_cmp_eq_u32_e32 vcc_lo, 0, v4
	v_cndmask_b32_e32 v4, v5, v68, vcc_lo
; %bb.94:
	s_or_b32 exec_lo, exec_lo, s4
	v_and_b32_e32 v5, 0x7f800000, v69
	s_delay_alu instid0(VALU_DEP_1) | instskip(SKIP_1) | instid1(SALU_CYCLE_1)
	v_cmp_ne_u32_e32 vcc_lo, 0x7f800000, v5
                                        ; implicit-def: $vgpr5
	s_and_saveexec_b32 s4, vcc_lo
	s_xor_b32 s4, exec_lo, s4
; %bb.95:
	v_bfe_u32 v5, v69, 16, 1
	s_delay_alu instid0(VALU_DEP_1)
	v_add3_u32 v5, v69, v5, 0x7fff
; %bb.96:
	s_and_not1_saveexec_b32 s4, s4
; %bb.97:
	v_and_b32_e32 v5, 0xffff, v69
	v_or_b32_e32 v6, 0x10000, v69
	s_delay_alu instid0(VALU_DEP_2) | instskip(NEXT) | instid1(VALU_DEP_2)
	v_cmp_eq_u32_e32 vcc_lo, 0, v5
	v_cndmask_b32_e32 v5, v6, v69, vcc_lo
; %bb.98:
	s_or_b32 exec_lo, exec_lo, s4
	v_and_b32_e32 v6, 0x7f800000, v70
	s_delay_alu instid0(VALU_DEP_1) | instskip(SKIP_1) | instid1(SALU_CYCLE_1)
	v_cmp_ne_u32_e32 vcc_lo, 0x7f800000, v6
                                        ; implicit-def: $vgpr6
	s_and_saveexec_b32 s4, vcc_lo
	s_xor_b32 s4, exec_lo, s4
; %bb.99:
	v_bfe_u32 v6, v70, 16, 1
	s_delay_alu instid0(VALU_DEP_1)
	v_add3_u32 v6, v70, v6, 0x7fff
; %bb.100:
	s_and_not1_saveexec_b32 s4, s4
; %bb.101:
	v_and_b32_e32 v6, 0xffff, v70
	v_or_b32_e32 v7, 0x10000, v70
	s_delay_alu instid0(VALU_DEP_2) | instskip(NEXT) | instid1(VALU_DEP_2)
	v_cmp_eq_u32_e32 vcc_lo, 0, v6
	v_cndmask_b32_e32 v6, v7, v70, vcc_lo
; %bb.102:
	s_or_b32 exec_lo, exec_lo, s4
	v_and_b32_e32 v7, 0x7f800000, v71
	s_delay_alu instid0(VALU_DEP_1) | instskip(SKIP_1) | instid1(SALU_CYCLE_1)
	v_cmp_ne_u32_e32 vcc_lo, 0x7f800000, v7
                                        ; implicit-def: $vgpr7
	s_and_saveexec_b32 s4, vcc_lo
	s_xor_b32 s4, exec_lo, s4
; %bb.103:
	v_bfe_u32 v7, v71, 16, 1
	s_delay_alu instid0(VALU_DEP_1)
	v_add3_u32 v7, v71, v7, 0x7fff
; %bb.104:
	s_and_not1_saveexec_b32 s4, s4
; %bb.105:
	v_and_b32_e32 v7, 0xffff, v71
	v_or_b32_e32 v8, 0x10000, v71
	s_delay_alu instid0(VALU_DEP_2) | instskip(NEXT) | instid1(VALU_DEP_2)
	v_cmp_eq_u32_e32 vcc_lo, 0, v7
	v_cndmask_b32_e32 v7, v8, v71, vcc_lo
; %bb.106:
	s_or_b32 exec_lo, exec_lo, s4
	v_and_b32_e32 v8, 0x7f800000, v72
	s_delay_alu instid0(VALU_DEP_1) | instskip(SKIP_1) | instid1(SALU_CYCLE_1)
	v_cmp_ne_u32_e32 vcc_lo, 0x7f800000, v8
                                        ; implicit-def: $vgpr8
	s_and_saveexec_b32 s4, vcc_lo
	s_xor_b32 s4, exec_lo, s4
; %bb.107:
	v_bfe_u32 v8, v72, 16, 1
	s_delay_alu instid0(VALU_DEP_1)
	v_add3_u32 v8, v72, v8, 0x7fff
                                        ; implicit-def: $vgpr65_vgpr66_vgpr67_vgpr68_vgpr69_vgpr70_vgpr71_vgpr72
; %bb.108:
	s_and_not1_saveexec_b32 s4, s4
; %bb.109:
	v_and_b32_e32 v8, 0xffff, v72
	v_or_b32_e32 v9, 0x10000, v72
	s_delay_alu instid0(VALU_DEP_2) | instskip(NEXT) | instid1(VALU_DEP_2)
	v_cmp_eq_u32_e32 vcc_lo, 0, v8
	v_cndmask_b32_e32 v8, v9, v72, vcc_lo
; %bb.110:
	s_or_b32 exec_lo, exec_lo, s4
	s_delay_alu instid0(VALU_DEP_1)
	v_perm_b32 v7, v8, v7, 0x7060302
	v_perm_b32 v6, v6, v5, 0x7060302
	;; [unrolled: 1-line block ×4, first 2 shown]
	s_barrier
	buffer_gl0_inv
	v_cmp_eq_u32_e32 vcc_lo, 1, v78
	ds_store_b128 v76, v[4:7]
	s_waitcnt lgkmcnt(0)
	s_barrier
	buffer_gl0_inv
	ds_load_b128 v[1:4], v82
	ds_load_b128 v[5:8], v82 offset:16
	v_cmp_eq_u32_e64 s4, 1, v79
	v_cmp_eq_u32_e64 s5, 2, v78
	;; [unrolled: 1-line block ×5, first 2 shown]
	s_waitcnt lgkmcnt(1)
	v_lshrrev_b32_e32 v9, 16, v1
	s_waitcnt lgkmcnt(0)
	v_lshrrev_b32_e32 v13, 16, v5
	v_lshrrev_b32_e32 v10, 16, v2
	;; [unrolled: 1-line block ×4, first 2 shown]
	v_cndmask_b32_e64 v19, v1, v9, s4
	v_cndmask_b32_e32 v18, v5, v13, vcc_lo
	v_cndmask_b32_e64 v20, v5, v13, s4
	v_cndmask_b32_e32 v17, v1, v9, vcc_lo
	v_cmp_eq_u32_e32 vcc_lo, 2, v79
	v_lshrrev_b32_e32 v15, 16, v7
	v_cmp_eq_u32_e64 s4, 1, v77
	v_lshrrev_b32_e32 v12, 16, v4
	v_lshrrev_b32_e32 v16, 16, v8
	v_cndmask_b32_e32 v20, v20, v6, vcc_lo
	v_cndmask_b32_e64 v17, v17, v2, s5
	v_cndmask_b32_e32 v19, v19, v2, vcc_lo
	v_cndmask_b32_e64 v18, v18, v6, s5
	v_cmp_eq_u32_e32 vcc_lo, 4, v78
	v_cmp_eq_u32_e64 s5, 3, v79
	v_cndmask_b32_e64 v17, v17, v10, s6
	v_cndmask_b32_e64 v21, v1, v9, s4
	v_cndmask_b32_e64 v18, v18, v14, s6
	v_cndmask_b32_e64 v22, v5, v13, s4
	v_cndmask_b32_e64 v19, v19, v10, s5
	v_cndmask_b32_e32 v17, v17, v3, vcc_lo
	v_cndmask_b32_e64 v20, v20, v14, s5
	v_cndmask_b32_e32 v18, v18, v7, vcc_lo
	v_cmp_eq_u32_e32 vcc_lo, 4, v79
	v_cmp_eq_u32_e64 s5, 5, v79
	v_cmp_eq_u32_e64 s4, 2, v81
	v_cndmask_b32_e64 v21, v21, v2, s8
	v_cmp_eq_u32_e64 s6, 5, v78
	v_cndmask_b32_e32 v19, v19, v3, vcc_lo
	v_cndmask_b32_e32 v20, v20, v7, vcc_lo
	v_cmp_eq_u32_e32 vcc_lo, 6, v79
	s_delay_alu instid0(VALU_DEP_4) | instskip(NEXT) | instid1(VALU_DEP_4)
	v_cndmask_b32_e64 v17, v17, v11, s6
	v_cndmask_b32_e64 v19, v19, v11, s5
	s_delay_alu instid0(VALU_DEP_4) | instskip(SKIP_1) | instid1(VALU_DEP_3)
	v_cndmask_b32_e64 v20, v20, v15, s5
	v_cmp_eq_u32_e64 s5, 1, v81
	v_cndmask_b32_e32 v19, v19, v4, vcc_lo
	v_cndmask_b32_e64 v18, v18, v15, s6
	s_delay_alu instid0(VALU_DEP_3)
	v_cndmask_b32_e64 v1, v1, v9, s5
	v_cndmask_b32_e64 v5, v5, v13, s5
	v_cmp_eq_u32_e64 s5, 3, v77
	v_cndmask_b32_e64 v13, v22, v6, s8
	v_cmp_eq_u32_e64 s8, 3, v81
	v_cndmask_b32_e64 v1, v1, v2, s4
	v_cndmask_b32_e64 v2, v5, v6, s4
	v_cndmask_b32_e64 v9, v21, v10, s5
	v_cmp_eq_u32_e64 s4, 4, v77
	v_cndmask_b32_e64 v6, v13, v14, s5
	v_cndmask_b32_e64 v1, v1, v10, s8
	v_cmp_eq_u32_e64 s5, 4, v81
	v_cndmask_b32_e64 v2, v2, v14, s8
	v_cndmask_b32_e64 v5, v9, v3, s4
	;; [unrolled: 3-line block ×3, first 2 shown]
	v_cndmask_b32_e64 v2, v2, v7, s5
	v_cmp_eq_u32_e64 s4, 5, v81
	v_cmp_eq_u32_e64 s6, 6, v78
	v_cndmask_b32_e64 v5, v5, v11, s8
	v_cmp_eq_u32_e64 s5, 6, v77
	v_cndmask_b32_e64 v3, v6, v15, s8
	v_cndmask_b32_e64 v1, v1, v11, s4
	v_cmp_eq_u32_e64 s8, 6, v81
	v_cndmask_b32_e64 v2, v2, v15, s4
	v_cndmask_b32_e64 v17, v17, v4, s6
	v_cndmask_b32_e64 v18, v18, v8, s6
	v_cmp_eq_u32_e64 s6, 7, v78
	v_cndmask_b32_e64 v5, v5, v4, s5
	;; [unrolled: 4-line block ×3, first 2 shown]
	v_cmp_eq_u32_e64 s5, 7, v77
	v_cndmask_b32_e32 v4, v20, v8, vcc_lo
	v_cndmask_b32_e64 v17, v17, v12, s6
	v_cndmask_b32_e64 v19, v19, v12, s7
	;; [unrolled: 1-line block ×8, first 2 shown]
	v_cmp_gt_u32_e32 vcc_lo, 32, v0
	v_perm_b32 v4, v2, v1, 0x5040100
	v_perm_b32 v3, v3, v5, 0x5040100
	;; [unrolled: 1-line block ×4, first 2 shown]
	s_and_b32 s2, vcc_lo, s2
	ds_store_b128 v76, v[1:4]
	s_waitcnt lgkmcnt(0)
	s_barrier
	buffer_gl0_inv
	s_and_saveexec_b32 s4, s2
	s_cbranch_execz .LBB1748_2
; %bb.111:
	s_load_b64 s[4:5], s[0:1], 0x68
	v_lshlrev_b32_e32 v0, 10, v0
	v_add_nc_u32_e32 v2, s31, v74
	v_lshlrev_b32_e32 v3, 4, v75
	s_lshl_b32 s0, s36, 6
	s_delay_alu instid0(SALU_CYCLE_1) | instskip(NEXT) | instid1(VALU_DEP_2)
	s_mul_i32 s1, s0, s34
	v_mul_lo_u32 v1, v2, s0
	s_delay_alu instid0(VALU_DEP_2)
	v_and_or_b32 v0, 0x3800, v0, v3
	v_add_nc_u32_e32 v3, 2, v2
	s_mul_i32 s6, s1, s9
	v_add_nc_u32_e32 v4, 4, v2
	s_ashr_i32 s7, s6, 31
	v_lshl_or_b32 v11, v74, 6, v0
	s_lshl_b64 s[6:7], s[6:7], 1
	v_mul_lo_u32 v15, v3, s0
	v_mul_lo_u32 v17, v4, s0
	v_ashrrev_i32_e32 v2, 31, v1
	ds_load_b128 v[3:6], v11
	ds_load_b128 v[7:10], v11 offset:128
	ds_load_b128 v[11:14], v11 offset:256
	s_waitcnt lgkmcnt(0)
	s_add_u32 s1, s4, s6
	s_addc_u32 s2, s5, s7
	s_lshl_b32 s4, s14, 6
	v_ashrrev_i32_e32 v16, 31, v15
	s_ashr_i32 s5, s4, 31
	v_lshlrev_b64 v[19:20], 1, v[1:2]
	s_lshl_b64 s[4:5], s[4:5], 1
	v_ashrrev_i32_e32 v18, 31, v17
	s_add_u32 s1, s1, s4
	s_addc_u32 s2, s2, s5
	v_add_co_u32 v1, s1, s1, v73
	s_delay_alu instid0(VALU_DEP_1) | instskip(SKIP_1) | instid1(VALU_DEP_3)
	v_add_co_ci_u32_e64 v2, null, s2, 0, s1
	v_lshlrev_b64 v[15:16], 1, v[15:16]
	v_add_co_u32 v19, vcc_lo, v1, v19
	v_lshlrev_b64 v[17:18], 1, v[17:18]
	s_delay_alu instid0(VALU_DEP_4) | instskip(NEXT) | instid1(VALU_DEP_4)
	v_add_co_ci_u32_e32 v20, vcc_lo, v2, v20, vcc_lo
	v_add_co_u32 v15, vcc_lo, v1, v15
	v_add_co_ci_u32_e32 v16, vcc_lo, v2, v16, vcc_lo
	s_delay_alu instid0(VALU_DEP_4)
	v_add_co_u32 v17, vcc_lo, v1, v17
	v_add_co_ci_u32_e32 v18, vcc_lo, v2, v18, vcc_lo
	s_clause 0x2
	global_store_b128 v[19:20], v[3:6], off
	global_store_b128 v[15:16], v[7:10], off
	;; [unrolled: 1-line block ×3, first 2 shown]
	s_and_b32 exec_lo, exec_lo, s3
	s_cbranch_execz .LBB1748_2
; %bb.112:
	ds_load_b128 v[3:6], v0 offset:384
	s_add_i32 s1, s31, 6
	s_delay_alu instid0(SALU_CYCLE_1) | instskip(NEXT) | instid1(SALU_CYCLE_1)
	s_mul_i32 s0, s1, s0
	s_ashr_i32 s1, s0, 31
	s_delay_alu instid0(SALU_CYCLE_1) | instskip(NEXT) | instid1(SALU_CYCLE_1)
	s_lshl_b64 s[0:1], s[0:1], 1
	v_add_co_u32 v0, vcc_lo, v1, s0
	v_add_co_ci_u32_e32 v1, vcc_lo, s1, v2, vcc_lo
	s_waitcnt lgkmcnt(0)
	global_store_b128 v[0:1], v[3:6], off
	s_nop 0
	s_sendmsg sendmsg(MSG_DEALLOC_VGPRS)
	s_endpgm
	.section	.rodata,"a",@progbits
	.p2align	6, 0x0
	.amdhsa_kernel _Z39paged_attention_ll4mi_QKV_mfma16_kernelI14__hip_bfloat16hLN4vllm18Fp8KVCacheDataTypeE1EhLi32ELi64ELi256ELb0ELi7EL8MFMAType0EEvPKT_PKT0_S9_ifPKiSB_SB_iPKfiiiPfSE_PS4_PT2_iSD_SD_
		.amdhsa_group_segment_fixed_size 17472
		.amdhsa_private_segment_fixed_size 0
		.amdhsa_kernarg_size 400
		.amdhsa_user_sgpr_count 13
		.amdhsa_user_sgpr_dispatch_ptr 0
		.amdhsa_user_sgpr_queue_ptr 0
		.amdhsa_user_sgpr_kernarg_segment_ptr 1
		.amdhsa_user_sgpr_dispatch_id 0
		.amdhsa_user_sgpr_private_segment_size 0
		.amdhsa_wavefront_size32 1
		.amdhsa_uses_dynamic_stack 0
		.amdhsa_enable_private_segment 0
		.amdhsa_system_sgpr_workgroup_id_x 1
		.amdhsa_system_sgpr_workgroup_id_y 1
		.amdhsa_system_sgpr_workgroup_id_z 1
		.amdhsa_system_sgpr_workgroup_info 0
		.amdhsa_system_vgpr_workitem_id 0
		.amdhsa_next_free_vgpr 124
		.amdhsa_next_free_sgpr 42
		.amdhsa_reserve_vcc 1
		.amdhsa_float_round_mode_32 0
		.amdhsa_float_round_mode_16_64 0
		.amdhsa_float_denorm_mode_32 3
		.amdhsa_float_denorm_mode_16_64 3
		.amdhsa_dx10_clamp 1
		.amdhsa_ieee_mode 1
		.amdhsa_fp16_overflow 0
		.amdhsa_workgroup_processor_mode 1
		.amdhsa_memory_ordered 1
		.amdhsa_forward_progress 0
		.amdhsa_shared_vgpr_count 0
		.amdhsa_exception_fp_ieee_invalid_op 0
		.amdhsa_exception_fp_denorm_src 0
		.amdhsa_exception_fp_ieee_div_zero 0
		.amdhsa_exception_fp_ieee_overflow 0
		.amdhsa_exception_fp_ieee_underflow 0
		.amdhsa_exception_fp_ieee_inexact 0
		.amdhsa_exception_int_div_zero 0
	.end_amdhsa_kernel
	.section	.text._Z39paged_attention_ll4mi_QKV_mfma16_kernelI14__hip_bfloat16hLN4vllm18Fp8KVCacheDataTypeE1EhLi32ELi64ELi256ELb0ELi7EL8MFMAType0EEvPKT_PKT0_S9_ifPKiSB_SB_iPKfiiiPfSE_PS4_PT2_iSD_SD_,"axG",@progbits,_Z39paged_attention_ll4mi_QKV_mfma16_kernelI14__hip_bfloat16hLN4vllm18Fp8KVCacheDataTypeE1EhLi32ELi64ELi256ELb0ELi7EL8MFMAType0EEvPKT_PKT0_S9_ifPKiSB_SB_iPKfiiiPfSE_PS4_PT2_iSD_SD_,comdat
.Lfunc_end1748:
	.size	_Z39paged_attention_ll4mi_QKV_mfma16_kernelI14__hip_bfloat16hLN4vllm18Fp8KVCacheDataTypeE1EhLi32ELi64ELi256ELb0ELi7EL8MFMAType0EEvPKT_PKT0_S9_ifPKiSB_SB_iPKfiiiPfSE_PS4_PT2_iSD_SD_, .Lfunc_end1748-_Z39paged_attention_ll4mi_QKV_mfma16_kernelI14__hip_bfloat16hLN4vllm18Fp8KVCacheDataTypeE1EhLi32ELi64ELi256ELb0ELi7EL8MFMAType0EEvPKT_PKT0_S9_ifPKiSB_SB_iPKfiiiPfSE_PS4_PT2_iSD_SD_
                                        ; -- End function
	.section	.AMDGPU.csdata,"",@progbits
; Kernel info:
; codeLenInByte = 8828
; NumSgprs: 44
; NumVgprs: 124
; ScratchSize: 0
; MemoryBound: 0
; FloatMode: 240
; IeeeMode: 1
; LDSByteSize: 17472 bytes/workgroup (compile time only)
; SGPRBlocks: 5
; VGPRBlocks: 15
; NumSGPRsForWavesPerEU: 44
; NumVGPRsForWavesPerEU: 124
; Occupancy: 10
; WaveLimiterHint : 1
; COMPUTE_PGM_RSRC2:SCRATCH_EN: 0
; COMPUTE_PGM_RSRC2:USER_SGPR: 13
; COMPUTE_PGM_RSRC2:TRAP_HANDLER: 0
; COMPUTE_PGM_RSRC2:TGID_X_EN: 1
; COMPUTE_PGM_RSRC2:TGID_Y_EN: 1
; COMPUTE_PGM_RSRC2:TGID_Z_EN: 1
; COMPUTE_PGM_RSRC2:TIDIG_COMP_CNT: 0
	.section	.text._Z39paged_attention_ll4mi_QKV_mfma16_kernelI14__hip_bfloat16hLN4vllm18Fp8KVCacheDataTypeE1EhLi32ELi64ELi256ELb0ELi8EL8MFMAType0EEvPKT_PKT0_S9_ifPKiSB_SB_iPKfiiiPfSE_PS4_PT2_iSD_SD_,"axG",@progbits,_Z39paged_attention_ll4mi_QKV_mfma16_kernelI14__hip_bfloat16hLN4vllm18Fp8KVCacheDataTypeE1EhLi32ELi64ELi256ELb0ELi8EL8MFMAType0EEvPKT_PKT0_S9_ifPKiSB_SB_iPKfiiiPfSE_PS4_PT2_iSD_SD_,comdat
	.protected	_Z39paged_attention_ll4mi_QKV_mfma16_kernelI14__hip_bfloat16hLN4vllm18Fp8KVCacheDataTypeE1EhLi32ELi64ELi256ELb0ELi8EL8MFMAType0EEvPKT_PKT0_S9_ifPKiSB_SB_iPKfiiiPfSE_PS4_PT2_iSD_SD_ ; -- Begin function _Z39paged_attention_ll4mi_QKV_mfma16_kernelI14__hip_bfloat16hLN4vllm18Fp8KVCacheDataTypeE1EhLi32ELi64ELi256ELb0ELi8EL8MFMAType0EEvPKT_PKT0_S9_ifPKiSB_SB_iPKfiiiPfSE_PS4_PT2_iSD_SD_
	.globl	_Z39paged_attention_ll4mi_QKV_mfma16_kernelI14__hip_bfloat16hLN4vllm18Fp8KVCacheDataTypeE1EhLi32ELi64ELi256ELb0ELi8EL8MFMAType0EEvPKT_PKT0_S9_ifPKiSB_SB_iPKfiiiPfSE_PS4_PT2_iSD_SD_
	.p2align	8
	.type	_Z39paged_attention_ll4mi_QKV_mfma16_kernelI14__hip_bfloat16hLN4vllm18Fp8KVCacheDataTypeE1EhLi32ELi64ELi256ELb0ELi8EL8MFMAType0EEvPKT_PKT0_S9_ifPKiSB_SB_iPKfiiiPfSE_PS4_PT2_iSD_SD_,@function
_Z39paged_attention_ll4mi_QKV_mfma16_kernelI14__hip_bfloat16hLN4vllm18Fp8KVCacheDataTypeE1EhLi32ELi64ELi256ELb0ELi8EL8MFMAType0EEvPKT_PKT0_S9_ifPKiSB_SB_iPKfiiiPfSE_PS4_PT2_iSD_SD_: ; @_Z39paged_attention_ll4mi_QKV_mfma16_kernelI14__hip_bfloat16hLN4vllm18Fp8KVCacheDataTypeE1EhLi32ELi64ELi256ELb0ELi8EL8MFMAType0EEvPKT_PKT0_S9_ifPKiSB_SB_iPKfiiiPfSE_PS4_PT2_iSD_SD_
; %bb.0:
	s_load_b64 s[2:3], s[0:1], 0x30
	s_mov_b32 s30, s13
	s_waitcnt lgkmcnt(0)
	s_cmp_lg_u64 s[2:3], 0
	s_cselect_b32 s8, -1, 0
	s_ashr_i32 s31, s13, 31
	s_cmp_eq_u64 s[2:3], 0
	s_cbranch_scc1 .LBB1749_3
; %bb.1:
	s_lshl_b64 s[4:5], s[30:31], 2
	s_delay_alu instid0(SALU_CYCLE_1) | instskip(SKIP_4) | instid1(SALU_CYCLE_1)
	s_add_u32 s4, s2, s4
	s_addc_u32 s5, s3, s5
	s_load_b64 s[4:5], s[4:5], 0x0
	s_waitcnt lgkmcnt(0)
	s_sub_i32 s4, s5, s4
	s_cmp_eq_u32 s4, 1
	s_cselect_b32 s4, -1, 0
	s_delay_alu instid0(SALU_CYCLE_1)
	s_and_not1_b32 vcc_lo, exec_lo, s4
	s_cbranch_vccz .LBB1749_4
.LBB1749_2:
	s_endpgm
.LBB1749_3:
.LBB1749_4:
	s_load_b64 s[4:5], s[0:1], 0x28
	s_lshl_b64 s[6:7], s[30:31], 2
	s_waitcnt lgkmcnt(0)
	s_add_u32 s4, s4, s6
	s_addc_u32 s5, s5, s7
	s_lshl_b32 s12, s14, 8
	s_load_b32 s24, s[4:5], 0x0
	s_waitcnt lgkmcnt(0)
	s_cmp_ge_i32 s12, s24
	s_cbranch_scc1 .LBB1749_2
; %bb.5:
	s_clause 0x1
	s_load_b128 s[20:23], s[0:1], 0x8
	s_load_b64 s[4:5], s[0:1], 0x20
	s_and_not1_b32 vcc_lo, exec_lo, s8
	s_cbranch_vccnz .LBB1749_7
; %bb.6:
	s_add_u32 s2, s2, s6
	s_addc_u32 s3, s3, s7
	s_load_b32 s3, s[2:3], 0x0
	s_branch .LBB1749_8
.LBB1749_7:
	s_mov_b32 s3, s30
.LBB1749_8:
	s_load_b128 s[16:19], s[0:1], 0x48
	v_and_b32_e32 v66, 15, v0
	v_cmp_gt_u32_e32 vcc_lo, 0x80, v0
	v_lshrrev_b32_e32 v65, 5, v0
	v_and_b32_e32 v67, 31, v0
	v_and_b32_e32 v74, 1, v0
	v_lshlrev_b32_e32 v1, 3, v66
	v_cmp_gt_u32_e64 s2, 8, v66
	v_bfe_u32 v75, v0, 4, 1
	s_lshl_b32 s31, s15, 3
	s_delay_alu instid0(VALU_DEP_3) | instskip(NEXT) | instid1(VALU_DEP_3)
	v_lshlrev_b32_e32 v73, 1, v1
	s_and_b32 s7, vcc_lo, s2
	s_delay_alu instid0(SALU_CYCLE_1)
	s_and_saveexec_b32 s6, s7
	s_cbranch_execz .LBB1749_10
; %bb.9:
	v_lshl_or_b32 v5, v65, 1, v75
	s_load_b64 s[8:9], s[0:1], 0x0
	s_waitcnt lgkmcnt(0)
	s_mul_hi_i32 s11, s3, s16
	s_mul_i32 s10, s3, s16
	v_lshlrev_b32_e32 v6, 10, v66
	v_or_b32_e32 v1, s31, v5
	s_lshl_b64 s[10:11], s[10:11], 1
	v_lshlrev_b32_e32 v5, 6, v5
	v_lshlrev_b32_e32 v7, 10, v74
	v_and_b32_e32 v6, 0x3800, v6
	v_lshlrev_b32_e32 v1, 6, v1
	s_delay_alu instid0(VALU_DEP_2) | instskip(NEXT) | instid1(VALU_DEP_2)
	v_or3_b32 v5, v6, v7, v5
	v_ashrrev_i32_e32 v2, 31, v1
	s_delay_alu instid0(VALU_DEP_1) | instskip(SKIP_2) | instid1(VALU_DEP_1)
	v_lshlrev_b64 v[1:2], 1, v[1:2]
	s_add_u32 s3, s8, s10
	s_addc_u32 s7, s9, s11
	v_add_co_u32 v1, vcc_lo, s3, v1
	s_delay_alu instid0(VALU_DEP_2) | instskip(NEXT) | instid1(VALU_DEP_2)
	v_add_co_ci_u32_e32 v2, vcc_lo, s7, v2, vcc_lo
	v_add_co_u32 v1, vcc_lo, v1, v73
	s_delay_alu instid0(VALU_DEP_2)
	v_add_co_ci_u32_e32 v2, vcc_lo, 0, v2, vcc_lo
	global_load_b128 v[1:4], v[1:2], off
	s_waitcnt vmcnt(0)
	ds_store_b128 v5, v[1:4]
.LBB1749_10:
	s_or_b32 exec_lo, exec_lo, s6
	v_and_b32_e32 v1, 0xef, v0
	s_waitcnt lgkmcnt(0)
	s_add_i32 s3, s24, 31
	s_clause 0x1
	s_load_b32 s6, s[0:1], 0x38
	s_load_b32 s19, s[0:1], 0x1c
	s_ashr_i32 s7, s3, 31
	v_add_nc_u32_e32 v1, s12, v1
	s_lshr_b32 s7, s7, 27
	s_waitcnt lgkmcnt(0)
	s_add_i32 s3, s3, s7
	s_barrier
	v_ashrrev_i32_e32 v2, 31, v1
	v_or_b32_e32 v3, 16, v1
	s_ashr_i32 s3, s3, 5
	v_cmp_gt_i32_e32 vcc_lo, s24, v1
	s_add_i32 s3, s3, -1
	v_lshrrev_b32_e32 v2, 27, v2
	buffer_gl0_inv
	s_mul_i32 s27, s15, s18
	v_add_nc_u32_e32 v4, v1, v2
	s_mul_i32 s6, s30, s6
	s_delay_alu instid0(SALU_CYCLE_1) | instskip(NEXT) | instid1(VALU_DEP_1)
	s_ashr_i32 s7, s6, 31
	v_ashrrev_i32_e32 v4, 5, v4
	v_add_nc_u32_e32 v2, v3, v2
	s_lshl_b64 s[6:7], s[6:7], 2
	s_delay_alu instid0(SALU_CYCLE_1) | instskip(NEXT) | instid1(VALU_DEP_2)
	s_add_u32 s26, s4, s6
	v_cndmask_b32_e32 v1, s3, v4, vcc_lo
	s_delay_alu instid0(VALU_DEP_2)
	v_ashrrev_i32_e32 v2, 5, v2
	v_cmp_gt_i32_e32 vcc_lo, s24, v3
	s_addc_u32 s25, s5, s7
	s_ashr_i32 s28, s27, 31
	s_add_u32 s4, s20, s27
	s_addc_u32 s5, s21, s28
	v_cndmask_b32_e32 v3, s3, v2, vcc_lo
	v_ashrrev_i32_e32 v2, 31, v1
	s_lshl_b32 s6, s14, 3
	s_delay_alu instid0(SALU_CYCLE_1) | instskip(NEXT) | instid1(VALU_DEP_2)
	s_ashr_i32 s7, s6, 31
	v_ashrrev_i32_e32 v4, 31, v3
	s_delay_alu instid0(VALU_DEP_2) | instskip(SKIP_1) | instid1(SALU_CYCLE_1)
	v_lshlrev_b64 v[1:2], 2, v[1:2]
	s_lshl_b64 s[6:7], s[6:7], 2
	s_add_u32 s6, s26, s6
	s_delay_alu instid0(VALU_DEP_2) | instskip(SKIP_1) | instid1(VALU_DEP_2)
	v_lshlrev_b64 v[3:4], 2, v[3:4]
	s_addc_u32 s7, s25, s7
	v_add_co_u32 v1, vcc_lo, s26, v1
	v_add_co_ci_u32_e32 v2, vcc_lo, s25, v2, vcc_lo
	s_delay_alu instid0(VALU_DEP_3) | instskip(NEXT) | instid1(VALU_DEP_4)
	v_add_co_u32 v3, vcc_lo, s26, v3
	v_add_co_ci_u32_e32 v4, vcc_lo, s25, v4, vcc_lo
	s_clause 0x1
	global_load_b32 v5, v[1:2], off
	global_load_b32 v6, v[3:4], off
	s_or_b32 s8, s12, 32
	s_delay_alu instid0(SALU_CYCLE_1) | instskip(SKIP_2) | instid1(SALU_CYCLE_1)
	s_ashr_i32 s9, s8, 5
	s_cmp_lt_i32 s8, s24
	s_cselect_b32 s8, s9, s3
	s_ashr_i32 s9, s8, 31
	s_delay_alu instid0(SALU_CYCLE_1) | instskip(NEXT) | instid1(SALU_CYCLE_1)
	s_lshl_b64 s[8:9], s[8:9], 2
	s_add_u32 s8, s26, s8
	s_addc_u32 s9, s25, s9
	s_or_b32 s10, s12, 64
	s_delay_alu instid0(SALU_CYCLE_1) | instskip(SKIP_2) | instid1(SALU_CYCLE_1)
	s_ashr_i32 s11, s10, 5
	s_cmp_lt_i32 s10, s24
	s_cselect_b32 s10, s11, s3
	s_ashr_i32 s11, s10, 31
	s_delay_alu instid0(SALU_CYCLE_1) | instskip(NEXT) | instid1(SALU_CYCLE_1)
	s_lshl_b64 s[10:11], s[10:11], 2
	s_add_u32 s10, s26, s10
	s_addc_u32 s11, s25, s11
	s_or_b32 s13, s12, 0x60
	s_delay_alu instid0(SALU_CYCLE_1) | instskip(SKIP_2) | instid1(SALU_CYCLE_1)
	s_ashr_i32 s15, s13, 5
	s_cmp_lt_i32 s13, s24
	s_cselect_b32 s20, s15, s3
	s_ashr_i32 s21, s20, 31
	s_delay_alu instid0(SALU_CYCLE_1) | instskip(NEXT) | instid1(SALU_CYCLE_1)
	s_lshl_b64 s[20:21], s[20:21], 2
	s_add_u32 s34, s26, s20
	s_addc_u32 s35, s25, s21
	s_or_b32 s13, s12, 0x80
	s_delay_alu instid0(SALU_CYCLE_1) | instskip(SKIP_2) | instid1(SALU_CYCLE_1)
	s_ashr_i32 s15, s13, 5
	s_cmp_lt_i32 s13, s24
	s_cselect_b32 s20, s15, s3
	s_ashr_i32 s21, s20, 31
	s_delay_alu instid0(SALU_CYCLE_1) | instskip(NEXT) | instid1(SALU_CYCLE_1)
	s_lshl_b64 s[20:21], s[20:21], 2
	s_add_u32 s36, s26, s20
	s_addc_u32 s37, s25, s21
	s_or_b32 s13, s12, 0xa0
	s_delay_alu instid0(SALU_CYCLE_1) | instskip(SKIP_2) | instid1(SALU_CYCLE_1)
	s_ashr_i32 s15, s13, 5
	s_cmp_lt_i32 s13, s24
	s_cselect_b32 s20, s15, s3
	s_ashr_i32 s21, s20, 31
	s_delay_alu instid0(SALU_CYCLE_1) | instskip(NEXT) | instid1(SALU_CYCLE_1)
	s_lshl_b64 s[20:21], s[20:21], 2
	s_add_u32 s38, s26, s20
	s_addc_u32 s39, s25, s21
	s_clause 0x5
	s_load_b32 s21, s[6:7], 0x0
	s_load_b32 s13, s[8:9], 0x0
	;; [unrolled: 1-line block ×6, first 2 shown]
	s_or_b32 s7, s12, 0xc0
	s_delay_alu instid0(SALU_CYCLE_1) | instskip(SKIP_2) | instid1(SALU_CYCLE_1)
	s_ashr_i32 s8, s7, 5
	s_cmp_lt_i32 s7, s24
	s_cselect_b32 s10, s8, s3
	s_ashr_i32 s11, s10, 31
	s_delay_alu instid0(SALU_CYCLE_1) | instskip(NEXT) | instid1(SALU_CYCLE_1)
	s_lshl_b64 s[34:35], s[10:11], 2
	s_add_u32 s34, s26, s34
	s_addc_u32 s35, s25, s35
	s_or_b32 s29, s12, 0xe0
	s_delay_alu instid0(SALU_CYCLE_1)
	s_ashr_i32 s33, s29, 5
	s_cmp_lt_i32 s29, s24
	s_waitcnt vmcnt(1)
	v_mad_i64_i32 v[1:2], null, v5, s17, s[4:5]
	s_waitcnt vmcnt(0)
	v_mad_i64_i32 v[3:4], null, v6, s17, s[4:5]
	s_mov_b32 s4, 0
	s_delay_alu instid0(SALU_CYCLE_1)
	s_mov_b32 s5, s4
	s_mov_b32 s6, s4
	;; [unrolled: 1-line block ×7, first 2 shown]
	v_lshlrev_b32_e32 v5, 4, v66
	v_dual_mov_b32 v107, s11 :: v_dual_mov_b32 v102, s6
	v_dual_mov_b32 v106, s10 :: v_dual_mov_b32 v105, s9
	s_delay_alu instid0(VALU_DEP_3)
	v_add_co_u32 v1, vcc_lo, v1, v5
	v_add_co_ci_u32_e32 v2, vcc_lo, 0, v2, vcc_lo
	v_add_co_u32 v3, vcc_lo, v3, v5
	v_add_co_ci_u32_e32 v4, vcc_lo, 0, v4, vcc_lo
	s_clause 0x7
	global_load_b128 v[49:52], v[1:2], off
	global_load_b128 v[53:56], v[1:2], off offset:512
	global_load_b128 v[76:79], v[3:4], off offset:256
	;; [unrolled: 1-line block ×7, first 2 shown]
	v_dual_mov_b32 v100, s4 :: v_dual_and_b32 v1, 7, v0
	v_lshlrev_b32_e32 v2, 5, v66
	v_dual_mov_b32 v104, s8 :: v_dual_mov_b32 v103, s7
	v_mov_b32_e32 v101, s5
	s_cselect_b32 s4, s33, s3
	v_lshlrev_b32_e32 v70, 6, v1
	s_ashr_i32 s5, s4, 31
	v_lshl_or_b32 v1, v65, 9, v2
	s_lshl_b64 s[4:5], s[4:5], 2
	s_load_b32 s3, s[34:35], 0x0
	s_add_u32 s4, s26, s4
	s_addc_u32 s5, s25, s5
	ds_load_b128 v[108:111], v70
	ds_load_b128 v[112:115], v70 offset:1024
	s_load_b32 s4, s[4:5], 0x0
	s_add_u32 s6, s22, s27
	s_addc_u32 s7, s23, s28
	v_add_co_u32 v9, s6, s6, v1
	s_delay_alu instid0(VALU_DEP_1) | instskip(SKIP_1) | instid1(VALU_DEP_1)
	v_add_co_ci_u32_e64 v10, null, s7, 0, s6
	s_waitcnt lgkmcnt(0)
	v_mad_i64_i32 v[1:2], null, s21, s17, v[9:10]
	v_mad_i64_i32 v[3:4], null, s13, s17, v[9:10]
	;; [unrolled: 1-line block ×7, first 2 shown]
	s_clause 0x9
	global_load_b128 v[57:60], v[1:2], off
	global_load_b128 v[61:64], v[1:2], off offset:16
	global_load_b128 v[41:44], v[3:4], off
	global_load_b128 v[45:48], v[3:4], off offset:16
	;; [unrolled: 2-line block ×5, first 2 shown]
	v_mad_i64_i32 v[68:69], null, s4, s17, v[9:10]
	s_clause 0x3
	global_load_b128 v[9:12], v[13:14], off
	global_load_b128 v[13:16], v[13:14], off offset:16
	global_load_b128 v[17:20], v[21:22], off
	global_load_b128 v[21:24], v[21:22], off offset:16
	s_waitcnt vmcnt(20)
	v_wmma_f32_16x16x16_bf16 v[116:123], v[49:56], v[108:115], v[100:107]
	s_clause 0x1
	global_load_b128 v[49:52], v[68:69], off
	global_load_b128 v[53:56], v[68:69], off offset:16
	v_and_b32_e32 v68, 0xe0, v0
	v_mbcnt_lo_u32_b32 v69, -1, 0
	s_delay_alu instid0(VALU_DEP_2)
	v_add_nc_u32_e32 v68, s12, v68
	s_waitcnt vmcnt(20)
	v_wmma_f32_16x16x16_bf16 v[100:107], v[76:83], v[108:115], v[100:107]
	ds_load_b128 v[76:79], v70 offset:2048
	ds_load_b128 v[80:83], v70 offset:3072
	v_xor_b32_e32 v70, 16, v69
	s_waitcnt vmcnt(0) lgkmcnt(0)
	v_or_b32_e32 v68, v68, v75
	s_barrier
	buffer_gl0_inv
	v_cmp_gt_i32_e32 vcc_lo, 32, v70
	v_or_b32_e32 v71, 4, v68
	v_or_b32_e32 v72, 6, v68
	v_cmp_gt_i32_e64 s3, s24, v68
	v_or_b32_e32 v108, 8, v68
	v_or_b32_e32 v109, 10, v68
	v_cmp_gt_i32_e64 s4, s24, v71
	v_cmp_gt_i32_e64 s5, s24, v72
	s_delay_alu instid0(VALU_DEP_4) | instskip(NEXT) | instid1(VALU_DEP_4)
	v_cmp_gt_i32_e64 s6, s24, v108
	v_cmp_gt_i32_e64 s7, s24, v109
	v_wmma_f32_16x16x16_bf16 v[116:123], v[84:91], v[76:83], v[116:123]
	v_cndmask_b32_e32 v69, v69, v70, vcc_lo
	v_or_b32_e32 v70, 2, v68
	v_wmma_f32_16x16x16_bf16 v[100:107], v[92:99], v[76:83], v[100:107]
	v_or_b32_e32 v84, 12, v68
	v_dual_mul_f32 v78, s19, v123 :: v_dual_mul_f32 v83, s19, v118
	v_dual_mul_f32 v92, s19, v117 :: v_dual_mul_f32 v93, s19, v116
	s_delay_alu instid0(VALU_DEP_4) | instskip(SKIP_2) | instid1(VALU_DEP_4)
	v_mul_f32_e32 v94, s19, v107
	v_cmp_gt_i32_e32 vcc_lo, s24, v70
	v_dual_mul_f32 v81, s19, v120 :: v_dual_mul_f32 v82, s19, v119
	v_cndmask_b32_e64 v93, 0xff7fffff, v93, s3
	v_or_b32_e32 v85, 14, v68
	v_cndmask_b32_e32 v92, 0xff7fffff, v92, vcc_lo
	v_dual_mul_f32 v79, s19, v122 :: v_dual_mul_f32 v80, s19, v121
	v_cndmask_b32_e64 v71, 0xff7fffff, v83, s4
	v_cndmask_b32_e64 v72, 0xff7fffff, v82, s5
	s_delay_alu instid0(VALU_DEP_4)
	v_max3_f32 v82, v93, 0xff7fffff, v92
	v_or_b32_e32 v86, 16, v68
	v_or_b32_e32 v87, 18, v68
	v_cndmask_b32_e64 v81, 0xff7fffff, v81, s6
	v_cndmask_b32_e64 v80, 0xff7fffff, v80, s7
	v_max3_f32 v71, v82, v71, v72
	v_cmp_gt_i32_e64 s8, s24, v84
	v_cmp_gt_i32_e64 s9, s24, v85
	v_or_b32_e32 v88, 20, v68
	v_or_b32_e32 v89, 22, v68
	;; [unrolled: 1-line block ×6, first 2 shown]
	v_dual_mul_f32 v99, s19, v102 :: v_dual_mul_f32 v70, s19, v101
	v_mul_f32_e32 v68, s19, v100
	v_cndmask_b32_e64 v72, 0xff7fffff, v79, s8
	v_cndmask_b32_e64 v78, 0xff7fffff, v78, s9
	v_max3_f32 v71, v71, v81, v80
	v_cmp_gt_i32_e64 s10, s24, v86
	v_cmp_gt_i32_e64 s11, s24, v87
	v_dual_mul_f32 v97, s19, v104 :: v_dual_mul_f32 v98, s19, v103
	s_delay_alu instid0(VALU_DEP_4) | instskip(SKIP_1) | instid1(VALU_DEP_4)
	v_max3_f32 v71, v71, v72, v78
	v_cmp_gt_i32_e64 s12, s24, v88
	v_cndmask_b32_e64 v70, 0xff7fffff, v70, s11
	v_cmp_gt_i32_e64 s13, s24, v89
	v_lshlrev_b32_e32 v89, 2, v69
	v_cndmask_b32_e64 v68, 0xff7fffff, v68, s10
	v_dual_mul_f32 v95, s19, v106 :: v_dual_mul_f32 v96, s19, v105
	v_cndmask_b32_e64 v72, 0xff7fffff, v99, s12
	v_cndmask_b32_e64 v78, 0xff7fffff, v98, s13
	s_delay_alu instid0(VALU_DEP_4)
	v_max3_f32 v68, v71, v68, v70
	v_cmp_gt_i32_e64 s15, s24, v90
	v_cmp_gt_i32_e64 s16, s24, v91
	;; [unrolled: 1-line block ×4, first 2 shown]
	v_max3_f32 v68, v68, v72, v78
	v_cndmask_b32_e64 v70, 0xff7fffff, v97, s15
	v_cndmask_b32_e64 v71, 0xff7fffff, v96, s16
	;; [unrolled: 1-line block ×4, first 2 shown]
	s_delay_alu instid0(VALU_DEP_3) | instskip(NEXT) | instid1(VALU_DEP_1)
	v_max3_f32 v68, v68, v70, v71
	v_max3_f32 v68, v68, v72, v76
	ds_bpermute_b32 v69, v89, v68
	s_waitcnt lgkmcnt(0)
	v_max_f32_e32 v69, v69, v69
	s_delay_alu instid0(VALU_DEP_1) | instskip(NEXT) | instid1(VALU_DEP_1)
	v_max_f32_e32 v68, v68, v69
	v_fma_f32 v71, s19, v118, -v68
	s_delay_alu instid0(VALU_DEP_1)
	v_mul_f32_e32 v71, 0x3fb8aa3b, v71
	v_fma_f32 v69, s19, v116, -v68
	v_fma_f32 v70, s19, v117, -v68
	;; [unrolled: 1-line block ×4, first 2 shown]
	v_exp_f32_e32 v71, v71
	s_delay_alu instid0(VALU_DEP_3) | instskip(SKIP_2) | instid1(VALU_DEP_3)
	v_dual_mul_f32 v69, 0x3fb8aa3b, v69 :: v_dual_mul_f32 v70, 0x3fb8aa3b, v70
	v_fma_f32 v78, s19, v122, -v68
	v_fma_f32 v81, s19, v105, -v68
	v_exp_f32_e32 v69, v69
	s_delay_alu instid0(VALU_DEP_3) | instskip(SKIP_1) | instid1(VALU_DEP_2)
	v_exp_f32_e32 v70, v70
	v_mul_f32_e32 v77, 0x3fb8aa3b, v76
	v_mul_f32_e32 v81, 0x3fb8aa3b, v81
	s_delay_alu instid0(TRANS32_DEP_3) | instskip(SKIP_1) | instid1(VALU_DEP_3)
	v_cndmask_b32_e64 v83, 0, v71, s4
	v_fma_f32 v71, s19, v123, -v68
	v_exp_f32_e32 v81, v81
	s_delay_alu instid0(TRANS32_DEP_3) | instskip(NEXT) | instid1(TRANS32_DEP_2)
	v_cndmask_b32_e64 v80, 0, v69, s3
	v_cndmask_b32_e32 v76, 0, v70, vcc_lo
	v_fma_f32 v69, s19, v121, -v68
	v_mul_f32_e32 v72, 0x3fb8aa3b, v72
	v_exp_f32_e32 v77, v77
	v_dual_add_f32 v70, 0, v80 :: v_dual_mul_f32 v71, 0x3fb8aa3b, v71
	s_delay_alu instid0(VALU_DEP_3) | instskip(NEXT) | instid1(VALU_DEP_3)
	v_mul_f32_e32 v69, 0x3fb8aa3b, v69
	v_exp_f32_e32 v72, v72
	s_mov_b32 s3, exec_lo
	s_delay_alu instid0(VALU_DEP_2) | instskip(NEXT) | instid1(VALU_DEP_1)
	v_exp_f32_e32 v71, v71
	v_exp_f32_e32 v69, v69
	v_cndmask_b32_e64 v86, 0, v77, s6
	v_fma_f32 v77, s19, v101, -v68
	v_add_f32_e32 v70, v70, v76
	s_delay_alu instid0(TRANS32_DEP_3) | instskip(SKIP_1) | instid1(VALU_DEP_3)
	v_cndmask_b32_e64 v85, 0, v72, s5
	v_fma_f32 v72, s19, v100, -v68
	v_dual_mul_f32 v77, 0x3fb8aa3b, v77 :: v_dual_add_f32 v70, v70, v83
	s_delay_alu instid0(TRANS32_DEP_2) | instskip(SKIP_1) | instid1(TRANS32_DEP_1)
	v_cndmask_b32_e64 v88, 0, v71, s9
	v_fma_f32 v71, s19, v104, -v68
	v_cndmask_b32_e64 v87, 0, v69, s7
	s_delay_alu instid0(VALU_DEP_4) | instskip(NEXT) | instid1(VALU_DEP_2)
	v_exp_f32_e32 v77, v77
	v_dual_add_f32 v70, v70, v85 :: v_dual_mul_f32 v71, 0x3fb8aa3b, v71
	s_delay_alu instid0(VALU_DEP_1) | instskip(SKIP_2) | instid1(VALU_DEP_3)
	v_dual_mul_f32 v72, 0x3fb8aa3b, v72 :: v_dual_add_f32 v69, v70, v86
	v_mul_f32_e32 v78, 0x3fb8aa3b, v78
	v_fma_f32 v70, s19, v102, -v68
	v_exp_f32_e32 v72, v72
	v_exp_f32_e32 v82, v71
	v_add_f32_e32 v69, v69, v87
	v_exp_f32_e32 v78, v78
	v_mul_f32_e32 v70, 0x3fb8aa3b, v70
	s_delay_alu instid0(VALU_DEP_1) | instskip(SKIP_4) | instid1(VALU_DEP_2)
	v_exp_f32_e32 v79, v70
	v_cndmask_b32_e64 v70, 0, v72, s10
	s_waitcnt_depctr 0xfff
	v_cndmask_b32_e64 v84, 0, v78, s8
	v_fma_f32 v78, s19, v103, -v68
	v_add_f32_e32 v69, v69, v84
	v_cndmask_b32_e64 v71, 0, v79, s12
	s_delay_alu instid0(VALU_DEP_2) | instskip(SKIP_2) | instid1(VALU_DEP_1)
	v_add_f32_e32 v72, v69, v88
	v_cndmask_b32_e64 v69, 0, v77, s11
	v_fma_f32 v77, s19, v106, -v68
	v_dual_mul_f32 v77, 0x3fb8aa3b, v77 :: v_dual_add_f32 v72, v72, v70
	v_mul_f32_e32 v78, 0x3fb8aa3b, v78
	s_delay_alu instid0(VALU_DEP_2) | instskip(NEXT) | instid1(VALU_DEP_2)
	v_exp_f32_e32 v90, v77
	v_add_f32_e32 v79, v72, v69
	s_delay_alu instid0(VALU_DEP_2)
	v_exp_f32_e32 v78, v78
	v_cndmask_b32_e64 v77, 0, v82, s15
	s_waitcnt_depctr 0xfff
	v_cndmask_b32_e64 v72, 0, v78, s13
	v_add_f32_e32 v78, v79, v71
	v_fma_f32 v79, s19, v107, -v68
	s_delay_alu instid0(VALU_DEP_1) | instskip(SKIP_1) | instid1(VALU_DEP_2)
	v_dual_add_f32 v82, v78, v72 :: v_dual_mul_f32 v79, 0x3fb8aa3b, v79
	v_cndmask_b32_e64 v78, 0, v81, s16
	v_add_f32_e32 v81, v82, v77
	s_delay_alu instid0(VALU_DEP_3) | instskip(SKIP_1) | instid1(VALU_DEP_2)
	v_exp_f32_e32 v82, v79
	v_cndmask_b32_e64 v79, 0, v90, s17
	v_add_f32_e32 v81, v81, v78
	s_delay_alu instid0(VALU_DEP_1) | instskip(SKIP_2) | instid1(VALU_DEP_1)
	v_add_f32_e32 v90, v81, v79
	s_waitcnt_depctr 0xfff
	v_cndmask_b32_e64 v81, 0, v82, s18
	v_add_f32_e32 v82, v90, v81
	ds_bpermute_b32 v89, v89, v82
	v_cmpx_gt_u32_e32 16, v67
	s_cbranch_execz .LBB1749_12
; %bb.11:
	v_mul_u32_u24_e32 v67, 0x44, v65
	s_delay_alu instid0(VALU_DEP_1) | instskip(SKIP_1) | instid1(VALU_DEP_1)
	v_lshl_add_u32 v67, v66, 2, v67
	s_waitcnt lgkmcnt(0)
	v_dual_add_f32 v82, v82, v89 :: v_dual_add_nc_u32 v67, 0x4000, v67
	ds_store_2addr_b32 v67, v68, v82 offset1:136
.LBB1749_12:
	s_or_b32 exec_lo, exec_lo, s3
	v_lshlrev_b32_e32 v67, 2, v66
	s_waitcnt lgkmcnt(0)
	s_barrier
	buffer_gl0_inv
	v_cmp_eq_u32_e32 vcc_lo, 1, v65
	v_add_nc_u32_e32 v82, 0x4000, v67
	v_cmp_eq_u32_e64 s3, 2, v65
	v_cmp_eq_u32_e64 s5, 7, v65
	ds_load_2addr_b32 v[89:90], v82 offset1:17
	ds_load_2addr_b32 v[91:92], v82 offset0:34 offset1:51
	ds_load_2addr_b32 v[93:94], v82 offset0:68 offset1:85
	;; [unrolled: 1-line block ×4, first 2 shown]
	s_waitcnt lgkmcnt(4)
	v_max3_f32 v67, v89, 0xff7fffff, v90
	s_waitcnt lgkmcnt(3)
	s_delay_alu instid0(VALU_DEP_1) | instskip(SKIP_1) | instid1(VALU_DEP_1)
	v_max3_f32 v67, v67, v91, v92
	s_waitcnt lgkmcnt(2)
	v_max3_f32 v67, v67, v93, v94
	s_waitcnt lgkmcnt(1)
	s_delay_alu instid0(VALU_DEP_1) | instskip(NEXT) | instid1(VALU_DEP_1)
	v_max3_f32 v67, v67, v95, v96
	v_sub_f32_e32 v93, v93, v67
	s_delay_alu instid0(VALU_DEP_1) | instskip(NEXT) | instid1(VALU_DEP_1)
	v_dual_sub_f32 v68, v89, v67 :: v_dual_mul_f32 v103, 0x3fb8aa3b, v93
	v_mul_f32_e32 v68, 0x3fb8aa3b, v68
	s_delay_alu instid0(VALU_DEP_1)
	v_exp_f32_e32 v100, v68
	v_sub_f32_e32 v68, v92, v67
	v_sub_f32_e32 v99, v90, v67
	ds_load_2addr_b32 v[89:90], v82 offset0:170 offset1:187
	v_dual_mul_f32 v102, 0x3fb8aa3b, v68 :: v_dual_mul_f32 v99, 0x3fb8aa3b, v99
	s_waitcnt lgkmcnt(1)
	v_fma_f32 v68, v100, v97, 0
	s_delay_alu instid0(VALU_DEP_2) | instskip(NEXT) | instid1(VALU_DEP_2)
	v_exp_f32_e32 v102, v102
	v_exp_f32_e32 v99, v99
	s_waitcnt_depctr 0xfff
	v_fmac_f32_e32 v68, v99, v98
	v_sub_f32_e32 v91, v91, v67
	s_delay_alu instid0(VALU_DEP_1)
	v_mul_f32_e32 v101, 0x3fb8aa3b, v91
	ds_load_2addr_b32 v[91:92], v82 offset0:204 offset1:221
	v_sub_f32_e32 v97, v94, v67
	ds_load_2addr_b32 v[93:94], v82 offset0:238 offset1:255
	s_waitcnt lgkmcnt(0)
	v_exp_f32_e32 v101, v101
	s_barrier
	buffer_gl0_inv
	v_dual_fmac_f32 v68, v101, v89 :: v_dual_sub_f32 v89, v96, v67
	v_dual_sub_f32 v82, v95, v67 :: v_dual_mul_f32 v95, 0x3fb8aa3b, v97
	v_exp_f32_e32 v97, v103
	s_delay_alu instid0(VALU_DEP_2) | instskip(NEXT) | instid1(VALU_DEP_2)
	v_dual_fmac_f32 v68, v102, v90 :: v_dual_mul_f32 v89, 0x3fb8aa3b, v89
	v_mul_f32_e32 v82, 0x3fb8aa3b, v82
	s_delay_alu instid0(VALU_DEP_3) | instskip(NEXT) | instid1(VALU_DEP_2)
	v_exp_f32_e32 v95, v95
	v_exp_f32_e32 v89, v89
	s_delay_alu instid0(VALU_DEP_1)
	v_exp_f32_e32 v82, v82
	v_fmac_f32_e32 v68, v97, v91
	s_delay_alu instid0(TRANS32_DEP_3) | instid1(VALU_DEP_1)
	v_fmac_f32_e32 v68, v95, v92
	s_waitcnt_depctr 0xfff
	v_fmac_f32_e32 v68, v82, v93
	s_delay_alu instid0(VALU_DEP_1) | instskip(NEXT) | instid1(VALU_DEP_1)
	v_fmac_f32_e32 v68, v89, v94
	v_add_f32_e32 v90, 0x358637bd, v68
	s_delay_alu instid0(VALU_DEP_1) | instskip(NEXT) | instid1(VALU_DEP_1)
	v_div_scale_f32 v91, null, v90, v90, 1.0
	v_rcp_f32_e32 v92, v91
	s_waitcnt_depctr 0xfff
	v_fma_f32 v93, -v91, v92, 1.0
	s_delay_alu instid0(VALU_DEP_1) | instskip(SKIP_1) | instid1(VALU_DEP_2)
	v_dual_fmac_f32 v92, v93, v92 :: v_dual_cndmask_b32 v93, v100, v99
	v_cmp_eq_u32_e32 vcc_lo, 3, v65
	v_cndmask_b32_e64 v93, v93, v101, s3
	v_cmp_eq_u32_e64 s3, 4, v65
	s_delay_alu instid0(VALU_DEP_2) | instskip(SKIP_1) | instid1(VALU_DEP_2)
	v_cndmask_b32_e32 v93, v93, v102, vcc_lo
	v_cmp_eq_u32_e32 vcc_lo, 5, v65
	v_cndmask_b32_e64 v93, v93, v97, s3
	v_cmp_eq_u32_e64 s3, 6, v65
	s_delay_alu instid0(VALU_DEP_2) | instskip(SKIP_1) | instid1(VALU_DEP_1)
	v_cndmask_b32_e32 v93, v93, v95, vcc_lo
	v_div_scale_f32 v94, s4, 1.0, v90, 1.0
	s_mov_b32 vcc_lo, s4
	s_delay_alu instid0(VALU_DEP_2) | instskip(NEXT) | instid1(VALU_DEP_2)
	v_cndmask_b32_e64 v82, v93, v82, s3
	v_mul_f32_e32 v96, v94, v92
	s_mov_b32 s3, exec_lo
	s_delay_alu instid0(VALU_DEP_2) | instskip(NEXT) | instid1(VALU_DEP_2)
	v_cndmask_b32_e64 v82, v82, v89, s5
	v_fma_f32 v98, -v91, v96, v94
	s_delay_alu instid0(VALU_DEP_1) | instskip(NEXT) | instid1(VALU_DEP_1)
	v_fmac_f32_e32 v96, v98, v92
	v_fma_f32 v91, -v91, v96, v94
	s_delay_alu instid0(VALU_DEP_1) | instskip(NEXT) | instid1(VALU_DEP_1)
	v_div_fmas_f32 v91, v91, v92, v96
	v_div_fixup_f32 v90, v91, v90, 1.0
	s_delay_alu instid0(VALU_DEP_1) | instskip(NEXT) | instid1(VALU_DEP_1)
	v_mul_f32_e32 v82, v82, v90
	v_mul_f32_e32 v87, v82, v87
	;; [unrolled: 1-line block ×7, first 2 shown]
	v_dual_mul_f32 v86, v82, v83 :: v_dual_and_b32 v91, 0x7f800000, v90
	v_mul_f32_e32 v85, v82, v76
                                        ; implicit-def: $vgpr76
	s_delay_alu instid0(VALU_DEP_2)
	v_cmpx_ne_u32_e32 0x7f800000, v91
	s_xor_b32 s3, exec_lo, s3
; %bb.13:
	v_bfe_u32 v76, v90, 16, 1
	s_delay_alu instid0(VALU_DEP_1)
	v_add3_u32 v76, v90, v76, 0x7fff
                                        ; implicit-def: $vgpr90
; %bb.14:
	s_and_not1_saveexec_b32 s3, s3
; %bb.15:
	v_and_b32_e32 v76, 0xffff, v90
	v_or_b32_e32 v83, 0x10000, v90
	s_delay_alu instid0(VALU_DEP_2) | instskip(NEXT) | instid1(VALU_DEP_2)
	v_cmp_eq_u32_e32 vcc_lo, 0, v76
	v_cndmask_b32_e32 v76, v83, v90, vcc_lo
; %bb.16:
	s_or_b32 exec_lo, exec_lo, s3
	v_and_b32_e32 v83, 0x7f800000, v85
	s_delay_alu instid0(VALU_DEP_1) | instskip(SKIP_1) | instid1(SALU_CYCLE_1)
	v_cmp_ne_u32_e32 vcc_lo, 0x7f800000, v83
                                        ; implicit-def: $vgpr83
	s_and_saveexec_b32 s3, vcc_lo
	s_xor_b32 s3, exec_lo, s3
; %bb.17:
	v_bfe_u32 v83, v85, 16, 1
	s_delay_alu instid0(VALU_DEP_1)
	v_add3_u32 v83, v85, v83, 0x7fff
                                        ; implicit-def: $vgpr85
; %bb.18:
	s_and_not1_saveexec_b32 s3, s3
; %bb.19:
	v_and_b32_e32 v83, 0xffff, v85
	v_or_b32_e32 v90, 0x10000, v85
	s_delay_alu instid0(VALU_DEP_2) | instskip(NEXT) | instid1(VALU_DEP_2)
	v_cmp_eq_u32_e32 vcc_lo, 0, v83
	v_cndmask_b32_e32 v83, v90, v85, vcc_lo
; %bb.20:
	s_or_b32 exec_lo, exec_lo, s3
	v_and_b32_e32 v85, 0x7f800000, v86
	s_delay_alu instid0(VALU_DEP_1) | instskip(SKIP_1) | instid1(SALU_CYCLE_1)
	v_cmp_ne_u32_e32 vcc_lo, 0x7f800000, v85
                                        ; implicit-def: $vgpr85
	s_and_saveexec_b32 s3, vcc_lo
	s_xor_b32 s3, exec_lo, s3
; %bb.21:
	v_bfe_u32 v85, v86, 16, 1
	s_delay_alu instid0(VALU_DEP_1)
	v_add3_u32 v85, v86, v85, 0x7fff
                                        ; implicit-def: $vgpr86
; %bb.22:
	s_and_not1_saveexec_b32 s3, s3
; %bb.23:
	v_and_b32_e32 v85, 0xffff, v86
	v_or_b32_e32 v90, 0x10000, v86
	s_delay_alu instid0(VALU_DEP_2) | instskip(NEXT) | instid1(VALU_DEP_2)
	v_cmp_eq_u32_e32 vcc_lo, 0, v85
	v_cndmask_b32_e32 v85, v90, v86, vcc_lo
; %bb.24:
	s_or_b32 exec_lo, exec_lo, s3
	v_and_b32_e32 v86, 0x7f800000, v89
	s_delay_alu instid0(VALU_DEP_1) | instskip(SKIP_1) | instid1(SALU_CYCLE_1)
	v_cmp_ne_u32_e32 vcc_lo, 0x7f800000, v86
                                        ; implicit-def: $vgpr86
	s_and_saveexec_b32 s3, vcc_lo
	s_xor_b32 s3, exec_lo, s3
; %bb.25:
	v_bfe_u32 v86, v89, 16, 1
	s_delay_alu instid0(VALU_DEP_1)
	v_add3_u32 v86, v89, v86, 0x7fff
                                        ; implicit-def: $vgpr89
; %bb.26:
	s_and_not1_saveexec_b32 s3, s3
; %bb.27:
	v_and_b32_e32 v86, 0xffff, v89
	v_or_b32_e32 v90, 0x10000, v89
	s_delay_alu instid0(VALU_DEP_2) | instskip(NEXT) | instid1(VALU_DEP_2)
	v_cmp_eq_u32_e32 vcc_lo, 0, v86
	v_cndmask_b32_e32 v86, v90, v89, vcc_lo
; %bb.28:
	s_or_b32 exec_lo, exec_lo, s3
	v_and_b32_e32 v89, 0x7f800000, v88
	s_delay_alu instid0(VALU_DEP_1) | instskip(SKIP_1) | instid1(SALU_CYCLE_1)
	v_cmp_ne_u32_e32 vcc_lo, 0x7f800000, v89
                                        ; implicit-def: $vgpr89
	s_and_saveexec_b32 s3, vcc_lo
	s_xor_b32 s3, exec_lo, s3
; %bb.29:
	v_bfe_u32 v89, v88, 16, 1
	s_delay_alu instid0(VALU_DEP_1)
	v_add3_u32 v89, v88, v89, 0x7fff
                                        ; implicit-def: $vgpr88
; %bb.30:
	s_and_not1_saveexec_b32 s3, s3
; %bb.31:
	v_and_b32_e32 v89, 0xffff, v88
	v_or_b32_e32 v90, 0x10000, v88
	s_delay_alu instid0(VALU_DEP_2) | instskip(NEXT) | instid1(VALU_DEP_2)
	v_cmp_eq_u32_e32 vcc_lo, 0, v89
	v_cndmask_b32_e32 v89, v90, v88, vcc_lo
; %bb.32:
	s_or_b32 exec_lo, exec_lo, s3
	v_and_b32_e32 v88, 0x7f800000, v87
	s_delay_alu instid0(VALU_DEP_1) | instskip(SKIP_1) | instid1(SALU_CYCLE_1)
	v_cmp_ne_u32_e32 vcc_lo, 0x7f800000, v88
                                        ; implicit-def: $vgpr88
	s_and_saveexec_b32 s3, vcc_lo
	s_xor_b32 s3, exec_lo, s3
; %bb.33:
	v_bfe_u32 v88, v87, 16, 1
	s_delay_alu instid0(VALU_DEP_1)
	v_add3_u32 v88, v87, v88, 0x7fff
                                        ; implicit-def: $vgpr87
; %bb.34:
	s_and_not1_saveexec_b32 s3, s3
; %bb.35:
	v_and_b32_e32 v88, 0xffff, v87
	v_or_b32_e32 v90, 0x10000, v87
	s_delay_alu instid0(VALU_DEP_2) | instskip(NEXT) | instid1(VALU_DEP_2)
	v_cmp_eq_u32_e32 vcc_lo, 0, v88
	v_cndmask_b32_e32 v88, v90, v87, vcc_lo
; %bb.36:
	s_or_b32 exec_lo, exec_lo, s3
	v_and_b32_e32 v87, 0x7f800000, v84
	s_delay_alu instid0(VALU_DEP_1) | instskip(SKIP_1) | instid1(SALU_CYCLE_1)
	v_cmp_ne_u32_e32 vcc_lo, 0x7f800000, v87
                                        ; implicit-def: $vgpr87
	s_and_saveexec_b32 s3, vcc_lo
	s_xor_b32 s3, exec_lo, s3
; %bb.37:
	v_bfe_u32 v87, v84, 16, 1
	s_delay_alu instid0(VALU_DEP_1)
	v_add3_u32 v87, v84, v87, 0x7fff
                                        ; implicit-def: $vgpr84
; %bb.38:
	s_and_not1_saveexec_b32 s3, s3
; %bb.39:
	v_and_b32_e32 v87, 0xffff, v84
	v_or_b32_e32 v90, 0x10000, v84
	s_delay_alu instid0(VALU_DEP_2) | instskip(NEXT) | instid1(VALU_DEP_2)
	v_cmp_eq_u32_e32 vcc_lo, 0, v87
	v_cndmask_b32_e32 v87, v90, v84, vcc_lo
; %bb.40:
	s_or_b32 exec_lo, exec_lo, s3
	v_and_b32_e32 v84, 0x7f800000, v80
	s_delay_alu instid0(VALU_DEP_1) | instskip(SKIP_1) | instid1(SALU_CYCLE_1)
	v_cmp_ne_u32_e32 vcc_lo, 0x7f800000, v84
                                        ; implicit-def: $vgpr84
	s_and_saveexec_b32 s3, vcc_lo
	s_xor_b32 s3, exec_lo, s3
; %bb.41:
	v_bfe_u32 v84, v80, 16, 1
	s_delay_alu instid0(VALU_DEP_1)
	v_add3_u32 v84, v80, v84, 0x7fff
                                        ; implicit-def: $vgpr80
; %bb.42:
	s_and_not1_saveexec_b32 s3, s3
; %bb.43:
	v_and_b32_e32 v84, 0xffff, v80
	v_or_b32_e32 v90, 0x10000, v80
	s_delay_alu instid0(VALU_DEP_2) | instskip(NEXT) | instid1(VALU_DEP_2)
	v_cmp_eq_u32_e32 vcc_lo, 0, v84
	v_cndmask_b32_e32 v84, v90, v80, vcc_lo
; %bb.44:
	s_or_b32 exec_lo, exec_lo, s3
	s_load_b64 s[34:35], s[0:1], 0x94
	v_lshlrev_b32_e32 v91, 4, v75
	s_delay_alu instid0(VALU_DEP_2)
	v_perm_b32 v90, v84, v87, 0x7060302
	v_dual_mul_f32 v77, v82, v77 :: v_dual_lshlrev_b32 v80, 6, v66
	v_lshlrev_b32_e32 v66, 11, v65
	v_perm_b32 v87, v83, v76, 0x7060302
	v_mul_f32_e32 v83, v82, v70
	v_perm_b32 v89, v88, v89, 0x7060302
	v_perm_b32 v88, v86, v85, 0x7060302
	v_or3_b32 v76, v91, v66, v80
	v_mul_f32_e32 v66, v82, v81
	v_mul_f32_e32 v70, v82, v79
	;; [unrolled: 1-line block ×3, first 2 shown]
	v_dual_mul_f32 v81, v82, v72 :: v_dual_and_b32 v84, 0x7f800000, v83
	v_mul_f32_e32 v79, v82, v71
	v_mul_f32_e32 v72, v82, v69
	s_mov_b32 s3, exec_lo
	ds_store_b128 v76, v[87:90]
                                        ; implicit-def: $vgpr69
	v_cmpx_ne_u32_e32 0x7f800000, v84
	s_xor_b32 s3, exec_lo, s3
; %bb.45:
	v_bfe_u32 v69, v83, 16, 1
	s_delay_alu instid0(VALU_DEP_1)
	v_add3_u32 v69, v83, v69, 0x7fff
                                        ; implicit-def: $vgpr83
; %bb.46:
	s_and_not1_saveexec_b32 s3, s3
; %bb.47:
	v_and_b32_e32 v69, 0xffff, v83
	v_or_b32_e32 v71, 0x10000, v83
	s_delay_alu instid0(VALU_DEP_2) | instskip(NEXT) | instid1(VALU_DEP_2)
	v_cmp_eq_u32_e32 vcc_lo, 0, v69
	v_cndmask_b32_e32 v69, v71, v83, vcc_lo
; %bb.48:
	s_or_b32 exec_lo, exec_lo, s3
	v_and_b32_e32 v71, 0x7f800000, v72
	s_delay_alu instid0(VALU_DEP_1) | instskip(SKIP_1) | instid1(SALU_CYCLE_1)
	v_cmp_ne_u32_e32 vcc_lo, 0x7f800000, v71
                                        ; implicit-def: $vgpr71
	s_and_saveexec_b32 s3, vcc_lo
	s_xor_b32 s3, exec_lo, s3
; %bb.49:
	v_bfe_u32 v71, v72, 16, 1
	s_delay_alu instid0(VALU_DEP_1)
	v_add3_u32 v71, v72, v71, 0x7fff
                                        ; implicit-def: $vgpr72
; %bb.50:
	s_and_not1_saveexec_b32 s3, s3
; %bb.51:
	v_and_b32_e32 v71, 0xffff, v72
	v_or_b32_e32 v82, 0x10000, v72
	s_delay_alu instid0(VALU_DEP_2) | instskip(NEXT) | instid1(VALU_DEP_2)
	v_cmp_eq_u32_e32 vcc_lo, 0, v71
	v_cndmask_b32_e32 v71, v82, v72, vcc_lo
; %bb.52:
	s_or_b32 exec_lo, exec_lo, s3
	v_and_b32_e32 v72, 0x7f800000, v79
	s_delay_alu instid0(VALU_DEP_1) | instskip(SKIP_1) | instid1(SALU_CYCLE_1)
	v_cmp_ne_u32_e32 vcc_lo, 0x7f800000, v72
                                        ; implicit-def: $vgpr72
	s_and_saveexec_b32 s3, vcc_lo
	s_xor_b32 s3, exec_lo, s3
; %bb.53:
	v_bfe_u32 v72, v79, 16, 1
	s_delay_alu instid0(VALU_DEP_1)
	v_add3_u32 v72, v79, v72, 0x7fff
                                        ; implicit-def: $vgpr79
; %bb.54:
	s_and_not1_saveexec_b32 s3, s3
; %bb.55:
	v_and_b32_e32 v72, 0xffff, v79
	v_or_b32_e32 v82, 0x10000, v79
	s_delay_alu instid0(VALU_DEP_2) | instskip(NEXT) | instid1(VALU_DEP_2)
	v_cmp_eq_u32_e32 vcc_lo, 0, v72
	v_cndmask_b32_e32 v72, v82, v79, vcc_lo
; %bb.56:
	s_or_b32 exec_lo, exec_lo, s3
	v_and_b32_e32 v79, 0x7f800000, v81
	s_delay_alu instid0(VALU_DEP_1) | instskip(SKIP_1) | instid1(SALU_CYCLE_1)
	v_cmp_ne_u32_e32 vcc_lo, 0x7f800000, v79
                                        ; implicit-def: $vgpr79
	s_and_saveexec_b32 s3, vcc_lo
	s_xor_b32 s3, exec_lo, s3
; %bb.57:
	v_bfe_u32 v79, v81, 16, 1
	s_delay_alu instid0(VALU_DEP_1)
	v_add3_u32 v79, v81, v79, 0x7fff
                                        ; implicit-def: $vgpr81
; %bb.58:
	s_and_not1_saveexec_b32 s3, s3
; %bb.59:
	v_and_b32_e32 v79, 0xffff, v81
	v_or_b32_e32 v82, 0x10000, v81
	s_delay_alu instid0(VALU_DEP_2) | instskip(NEXT) | instid1(VALU_DEP_2)
	v_cmp_eq_u32_e32 vcc_lo, 0, v79
	v_cndmask_b32_e32 v79, v82, v81, vcc_lo
; %bb.60:
	s_or_b32 exec_lo, exec_lo, s3
	v_and_b32_e32 v81, 0x7f800000, v77
	s_delay_alu instid0(VALU_DEP_1) | instskip(SKIP_1) | instid1(SALU_CYCLE_1)
	v_cmp_ne_u32_e32 vcc_lo, 0x7f800000, v81
                                        ; implicit-def: $vgpr81
	s_and_saveexec_b32 s3, vcc_lo
	s_xor_b32 s3, exec_lo, s3
; %bb.61:
	v_bfe_u32 v81, v77, 16, 1
	s_delay_alu instid0(VALU_DEP_1)
	v_add3_u32 v81, v77, v81, 0x7fff
                                        ; implicit-def: $vgpr77
; %bb.62:
	s_and_not1_saveexec_b32 s3, s3
; %bb.63:
	v_and_b32_e32 v81, 0xffff, v77
	v_or_b32_e32 v82, 0x10000, v77
	s_delay_alu instid0(VALU_DEP_2) | instskip(NEXT) | instid1(VALU_DEP_2)
	v_cmp_eq_u32_e32 vcc_lo, 0, v81
	v_cndmask_b32_e32 v81, v82, v77, vcc_lo
; %bb.64:
	s_or_b32 exec_lo, exec_lo, s3
	v_and_b32_e32 v77, 0x7f800000, v78
	s_delay_alu instid0(VALU_DEP_1) | instskip(SKIP_1) | instid1(SALU_CYCLE_1)
	v_cmp_ne_u32_e32 vcc_lo, 0x7f800000, v77
                                        ; implicit-def: $vgpr77
	s_and_saveexec_b32 s3, vcc_lo
	s_xor_b32 s3, exec_lo, s3
; %bb.65:
	v_bfe_u32 v77, v78, 16, 1
	s_delay_alu instid0(VALU_DEP_1)
	v_add3_u32 v77, v78, v77, 0x7fff
                                        ; implicit-def: $vgpr78
; %bb.66:
	s_and_not1_saveexec_b32 s3, s3
; %bb.67:
	v_and_b32_e32 v77, 0xffff, v78
	v_or_b32_e32 v82, 0x10000, v78
	s_delay_alu instid0(VALU_DEP_2) | instskip(NEXT) | instid1(VALU_DEP_2)
	v_cmp_eq_u32_e32 vcc_lo, 0, v77
	v_cndmask_b32_e32 v77, v82, v78, vcc_lo
; %bb.68:
	s_or_b32 exec_lo, exec_lo, s3
	v_and_b32_e32 v78, 0x7f800000, v70
	s_delay_alu instid0(VALU_DEP_1) | instskip(SKIP_1) | instid1(SALU_CYCLE_1)
	v_cmp_ne_u32_e32 vcc_lo, 0x7f800000, v78
                                        ; implicit-def: $vgpr78
	s_and_saveexec_b32 s3, vcc_lo
	s_xor_b32 s3, exec_lo, s3
; %bb.69:
	v_bfe_u32 v78, v70, 16, 1
	s_delay_alu instid0(VALU_DEP_1)
	v_add3_u32 v78, v70, v78, 0x7fff
                                        ; implicit-def: $vgpr70
; %bb.70:
	s_and_not1_saveexec_b32 s3, s3
; %bb.71:
	v_and_b32_e32 v78, 0xffff, v70
	v_or_b32_e32 v82, 0x10000, v70
	s_delay_alu instid0(VALU_DEP_2) | instskip(NEXT) | instid1(VALU_DEP_2)
	v_cmp_eq_u32_e32 vcc_lo, 0, v78
	v_cndmask_b32_e32 v78, v82, v70, vcc_lo
; %bb.72:
	s_or_b32 exec_lo, exec_lo, s3
	v_and_b32_e32 v70, 0x7f800000, v66
	s_delay_alu instid0(VALU_DEP_1) | instskip(SKIP_1) | instid1(SALU_CYCLE_1)
	v_cmp_ne_u32_e32 vcc_lo, 0x7f800000, v70
                                        ; implicit-def: $vgpr70
	s_and_saveexec_b32 s3, vcc_lo
	s_xor_b32 s3, exec_lo, s3
; %bb.73:
	v_bfe_u32 v70, v66, 16, 1
	s_delay_alu instid0(VALU_DEP_1)
	v_add3_u32 v70, v66, v70, 0x7fff
                                        ; implicit-def: $vgpr66
; %bb.74:
	s_and_not1_saveexec_b32 s3, s3
; %bb.75:
	v_and_b32_e32 v70, 0xffff, v66
	v_or_b32_e32 v82, 0x10000, v66
	s_delay_alu instid0(VALU_DEP_2) | instskip(NEXT) | instid1(VALU_DEP_2)
	v_cmp_eq_u32_e32 vcc_lo, 0, v70
	v_cndmask_b32_e32 v70, v82, v66, vcc_lo
; %bb.76:
	s_or_b32 exec_lo, exec_lo, s3
	s_delay_alu instid0(VALU_DEP_1)
	v_perm_b32 v86, v70, v78, 0x7060302
	v_perm_b32 v85, v77, v81, 0x7060302
	;; [unrolled: 1-line block ×4, first 2 shown]
	v_lshl_or_b32 v82, v65, 11, v80
	ds_store_b128 v76, v[83:86] offset:1024
	s_waitcnt lgkmcnt(0)
	s_barrier
	buffer_gl0_inv
	ds_load_b128 v[69:72], v82
	ds_load_b128 v[83:86], v82 offset:16
	s_waitcnt lgkmcnt(1)
	v_lshrrev_b32_e32 v65, 16, v69
	v_lshlrev_b32_e32 v78, 2, v75
	s_waitcnt lgkmcnt(0)
	v_lshrrev_b32_e32 v91, 16, v83
	v_lshrrev_b32_e32 v66, 16, v70
	;; [unrolled: 1-line block ×4, first 2 shown]
	v_cmp_eq_u32_e32 vcc_lo, 1, v78
	v_lshrrev_b32_e32 v98, 16, v85
	v_lshrrev_b32_e32 v96, 16, v72
	;; [unrolled: 1-line block ×3, first 2 shown]
	v_cndmask_b32_e32 v81, v69, v65, vcc_lo
	v_or_b32_e32 v79, 1, v78
	v_cmp_eq_u32_e64 s4, 2, v78
	v_cndmask_b32_e32 v87, v83, v91, vcc_lo
	v_cmp_eq_u32_e64 s7, 3, v78
	v_cmp_eq_u32_e64 s9, 4, v78
	;; [unrolled: 1-line block ×3, first 2 shown]
	v_cndmask_b32_e64 v81, v81, v70, s4
	v_cmp_eq_u32_e64 s6, 2, v79
	v_cndmask_b32_e64 v87, v87, v84, s4
	v_cmp_eq_u32_e64 s8, 3, v79
	v_cndmask_b32_e64 v88, v69, v65, s3
	v_cndmask_b32_e64 v81, v81, v66, s7
	v_or_b32_e32 v77, 2, v78
	v_cndmask_b32_e64 v87, v87, v97, s7
	v_cndmask_b32_e64 v89, v83, v91, s3
	;; [unrolled: 1-line block ×4, first 2 shown]
	v_cmp_eq_u32_e64 s10, 5, v78
	v_cndmask_b32_e64 v87, v87, v85, s9
	v_cmp_eq_u32_e64 s11, 4, v79
	v_cndmask_b32_e64 v88, v88, v66, s8
	;; [unrolled: 2-line block ×3, first 2 shown]
	v_cndmask_b32_e64 v81, v81, v95, s10
	v_cmp_eq_u32_e64 s12, 6, v78
	v_cndmask_b32_e64 v88, v88, v71, s11
	v_cndmask_b32_e64 v87, v87, v98, s10
	v_cmp_eq_u32_e64 s13, 5, v79
	v_cndmask_b32_e64 v90, v69, v65, s5
	v_cndmask_b32_e64 v89, v89, v97, s8
	;; [unrolled: 1-line block ×3, first 2 shown]
	v_cmp_eq_u32_e64 s15, 7, v78
	v_cndmask_b32_e64 v88, v88, v95, s13
	v_cndmask_b32_e64 v87, v87, v86, s12
	v_cmp_eq_u32_e64 s16, 6, v79
	v_cmp_eq_u32_e64 s17, 2, v77
	v_cndmask_b32_e64 v89, v89, v85, s11
	v_cndmask_b32_e64 v100, v81, v96, s15
	;; [unrolled: 1-line block ×6, first 2 shown]
	v_cmp_eq_u32_e64 s18, 7, v79
	v_cmp_eq_u32_e64 s19, 3, v77
	;; [unrolled: 1-line block ×4, first 2 shown]
	v_cndmask_b32_e64 v87, v87, v84, s17
	v_cndmask_b32_e64 v102, v88, v96, s18
	;; [unrolled: 1-line block ×4, first 2 shown]
	v_or_b32_e32 v81, 3, v78
	v_cndmask_b32_e64 v93, v87, v97, s19
	v_cmp_eq_u32_e64 s24, 6, v77
	v_cndmask_b32_e64 v103, v88, v86, s16
	v_cndmask_b32_e64 v92, v89, v71, s20
	v_cmp_eq_u32_e64 s21, 1, v81
	ds_load_b128 v[87:90], v82 offset:1024
	v_cmp_eq_u32_e64 s23, 2, v81
	v_cmp_eq_u32_e64 s25, 3, v81
	v_cndmask_b32_e64 v104, v92, v95, s22
	v_cndmask_b32_e64 v65, v69, v65, s21
	;; [unrolled: 1-line block ×4, first 2 shown]
	ds_load_b128 v[91:94], v82 offset:1040
	v_cmp_eq_u32_e64 s26, 4, v81
	v_cndmask_b32_e64 v65, v65, v70, s23
	v_cmp_eq_u32_e64 s28, 5, v81
	v_cndmask_b32_e64 v70, v83, v84, s23
	;; [unrolled: 2-line block ×3, first 2 shown]
	v_cndmask_b32_e64 v65, v65, v66, s25
	v_cndmask_b32_e64 v66, v104, v72, s24
	;; [unrolled: 1-line block ×3, first 2 shown]
	v_cmp_eq_u32_e64 s27, 7, v77
	v_cndmask_b32_e64 v69, v69, v86, s24
	v_cndmask_b32_e64 v65, v65, v71, s26
	s_waitcnt lgkmcnt(1)
	v_lshrrev_b32_e32 v84, 16, v87
	v_cndmask_b32_e64 v70, v70, v85, s26
	v_cndmask_b32_e64 v83, v103, v99, s18
	;; [unrolled: 1-line block ×4, first 2 shown]
	v_lshrrev_b32_e32 v95, 16, v88
	v_cndmask_b32_e64 v70, v70, v98, s28
	s_waitcnt lgkmcnt(0)
	v_lshrrev_b32_e32 v85, 16, v91
	v_cndmask_b32_e64 v97, v87, v84, s3
	v_cndmask_b32_e64 v65, v65, v72, s29
	;; [unrolled: 1-line block ×4, first 2 shown]
	v_cndmask_b32_e32 v71, v87, v84, vcc_lo
	v_cndmask_b32_e32 v98, v91, v85, vcc_lo
	v_cmp_eq_u32_e32 vcc_lo, 7, v81
	v_cndmask_b32_e64 v72, v97, v88, s6
	v_lshrrev_b32_e32 v97, 16, v92
	v_lshrrev_b32_e32 v103, 16, v90
	v_dual_cndmask_b32 v65, v65, v96 :: v_dual_cndmask_b32 v70, v70, v99
	v_cndmask_b32_e64 v71, v71, v88, s4
	v_cndmask_b32_e64 v86, v98, v92, s4
	v_cndmask_b32_e64 v72, v72, v95, s8
	v_lshrrev_b32_e32 v98, 16, v89
	v_lshrrev_b32_e32 v99, 16, v93
	v_cndmask_b32_e64 v71, v71, v95, s7
	v_cndmask_b32_e64 v86, v86, v97, s7
	;; [unrolled: 1-line block ×3, first 2 shown]
	v_perm_b32 v72, v70, v65, 0x5040100
	v_perm_b32 v70, v83, v102, 0x5040100
	v_cndmask_b32_e64 v71, v71, v89, s9
	v_cndmask_b32_e64 v86, v86, v93, s9
	;; [unrolled: 1-line block ×3, first 2 shown]
	v_lshrrev_b32_e32 v83, 16, v94
	s_delay_alu instid0(VALU_DEP_4) | instskip(NEXT) | instid1(VALU_DEP_4)
	v_cndmask_b32_e64 v71, v71, v98, s10
	v_cndmask_b32_e64 v86, v86, v99, s10
	s_delay_alu instid0(VALU_DEP_4) | instskip(NEXT) | instid1(VALU_DEP_3)
	v_cndmask_b32_e64 v65, v65, v90, s16
	v_cndmask_b32_e64 v96, v71, v90, s12
	v_perm_b32 v71, v69, v66, 0x5040100
	s_delay_alu instid0(VALU_DEP_4)
	v_cndmask_b32_e64 v69, v86, v94, s12
	v_cndmask_b32_e64 v86, v87, v84, s5
	;; [unrolled: 1-line block ×34, first 2 shown]
	v_cndmask_b32_e32 v84, v84, v103, vcc_lo
	v_cndmask_b32_e32 v86, v87, v83, vcc_lo
	v_cndmask_b32_e64 v87, v88, v83, s27
	v_cndmask_b32_e64 v88, v85, v83, s18
	;; [unrolled: 1-line block ×3, first 2 shown]
	v_perm_b32 v69, v101, v100, 0x5040100
	v_perm_b32 v86, v86, v84, 0x5040100
	;; [unrolled: 1-line block ×5, first 2 shown]
	s_lshl_b32 s8, s35, 3
	s_mov_b32 s3, exec_lo
	ds_store_b128 v76, v[69:72]
	ds_store_b128 v76, v[83:86] offset:1024
	v_cmpx_gt_u32_e32 8, v0
	s_cbranch_execz .LBB1749_78
; %bb.77:
	v_or_b32_e32 v65, s31, v0
	s_load_b128 s[4:7], s[0:1], 0x58
	s_delay_alu instid0(VALU_DEP_1) | instskip(NEXT) | instid1(VALU_DEP_1)
	v_mad_u64_u32 v[69:70], null, s8, s30, v[65:66]
	v_mad_u64_u32 v[65:66], null, v69, s34, s[14:15]
	s_delay_alu instid0(VALU_DEP_1) | instskip(NEXT) | instid1(VALU_DEP_1)
	v_ashrrev_i32_e32 v66, 31, v65
	v_lshlrev_b64 v[65:66], 2, v[65:66]
	s_waitcnt lgkmcnt(0)
	s_delay_alu instid0(VALU_DEP_1) | instskip(NEXT) | instid1(VALU_DEP_2)
	v_add_co_u32 v69, vcc_lo, s6, v65
	v_add_co_ci_u32_e32 v70, vcc_lo, s7, v66, vcc_lo
	v_add_co_u32 v65, vcc_lo, s4, v65
	v_add_co_ci_u32_e32 v66, vcc_lo, s5, v66, vcc_lo
	global_store_b32 v[69:70], v67, off
	global_store_b32 v[65:66], v68, off
.LBB1749_78:
	s_or_b32 exec_lo, exec_lo, s3
	s_waitcnt lgkmcnt(0)
	s_waitcnt_vscnt null, 0x0
	s_barrier
	buffer_gl0_inv
	ds_load_b128 v[83:86], v80
	ds_load_b128 v[87:90], v80 offset:16
	ds_load_b128 v[95:98], v80 offset:2064
	ds_load_b128 v[91:94], v80 offset:2048
	v_mov_b32_e32 v65, 0
	ds_load_b128 v[103:106], v80 offset:4112
	ds_load_b128 v[99:102], v80 offset:4096
	;; [unrolled: 1-line block ×4, first 2 shown]
	v_mov_b32_e32 v66, v65
	v_mov_b32_e32 v67, v65
	;; [unrolled: 1-line block ×7, first 2 shown]
	s_waitcnt lgkmcnt(6)
	s_delay_alu instid0(VALU_DEP_1)
	v_wmma_f32_16x16x16_bf16 v[65:72], v[57:64], v[83:90], v[65:72]
	ds_load_b128 v[61:64], v80 offset:8208
	ds_load_b128 v[57:60], v80 offset:8192
	s_waitcnt lgkmcnt(6)
	v_wmma_f32_16x16x16_bf16 v[65:72], v[41:48], v[91:98], v[65:72]
	ds_load_b128 v[45:48], v80 offset:10256
	ds_load_b128 v[41:44], v80 offset:10240
	s_waitcnt lgkmcnt(6)
	v_wmma_f32_16x16x16_bf16 v[65:72], v[33:40], v[99:106], v[65:72]
	ds_load_b128 v[37:40], v80 offset:12304
	ds_load_b128 v[33:36], v80 offset:12288
	s_waitcnt lgkmcnt(6)
	v_wmma_f32_16x16x16_bf16 v[65:72], v[25:32], v[107:114], v[65:72]
	ds_load_b128 v[29:32], v80 offset:14352
	ds_load_b128 v[25:28], v80 offset:14336
	s_waitcnt lgkmcnt(6)
	v_wmma_f32_16x16x16_bf16 v[65:72], v[1:8], v[57:64], v[65:72]
	s_waitcnt lgkmcnt(4)
	s_delay_alu instid0(VALU_DEP_1) | instskip(SKIP_1) | instid1(VALU_DEP_1)
	v_wmma_f32_16x16x16_bf16 v[65:72], v[9:16], v[41:48], v[65:72]
	s_waitcnt lgkmcnt(2)
	v_wmma_f32_16x16x16_bf16 v[65:72], v[17:24], v[33:40], v[65:72]
	s_waitcnt lgkmcnt(0)
	s_delay_alu instid0(VALU_DEP_1) | instskip(NEXT) | instid1(VALU_DEP_1)
	v_wmma_f32_16x16x16_bf16 v[65:72], v[49:56], v[25:32], v[65:72]
	v_and_b32_e32 v1, 0x7f800000, v65
	s_delay_alu instid0(VALU_DEP_1) | instskip(SKIP_1) | instid1(SALU_CYCLE_1)
	v_cmp_ne_u32_e32 vcc_lo, 0x7f800000, v1
                                        ; implicit-def: $vgpr1
	s_and_saveexec_b32 s3, vcc_lo
	s_xor_b32 s3, exec_lo, s3
; %bb.79:
	v_bfe_u32 v1, v65, 16, 1
	s_delay_alu instid0(VALU_DEP_1)
	v_add3_u32 v1, v65, v1, 0x7fff
; %bb.80:
	s_and_not1_saveexec_b32 s3, s3
; %bb.81:
	v_and_b32_e32 v1, 0xffff, v65
	v_or_b32_e32 v2, 0x10000, v65
	s_delay_alu instid0(VALU_DEP_2) | instskip(NEXT) | instid1(VALU_DEP_2)
	v_cmp_eq_u32_e32 vcc_lo, 0, v1
	v_cndmask_b32_e32 v1, v2, v65, vcc_lo
; %bb.82:
	s_or_b32 exec_lo, exec_lo, s3
	v_and_b32_e32 v2, 0x7f800000, v66
	s_delay_alu instid0(VALU_DEP_1) | instskip(SKIP_1) | instid1(SALU_CYCLE_1)
	v_cmp_ne_u32_e32 vcc_lo, 0x7f800000, v2
                                        ; implicit-def: $vgpr2
	s_and_saveexec_b32 s3, vcc_lo
	s_xor_b32 s3, exec_lo, s3
; %bb.83:
	v_bfe_u32 v2, v66, 16, 1
	s_delay_alu instid0(VALU_DEP_1)
	v_add3_u32 v2, v66, v2, 0x7fff
; %bb.84:
	s_and_not1_saveexec_b32 s3, s3
; %bb.85:
	v_and_b32_e32 v2, 0xffff, v66
	v_or_b32_e32 v3, 0x10000, v66
	s_delay_alu instid0(VALU_DEP_2) | instskip(NEXT) | instid1(VALU_DEP_2)
	v_cmp_eq_u32_e32 vcc_lo, 0, v2
	v_cndmask_b32_e32 v2, v3, v66, vcc_lo
; %bb.86:
	s_or_b32 exec_lo, exec_lo, s3
	v_and_b32_e32 v3, 0x7f800000, v67
	s_delay_alu instid0(VALU_DEP_1) | instskip(SKIP_1) | instid1(SALU_CYCLE_1)
	v_cmp_ne_u32_e32 vcc_lo, 0x7f800000, v3
                                        ; implicit-def: $vgpr3
	s_and_saveexec_b32 s3, vcc_lo
	s_xor_b32 s3, exec_lo, s3
; %bb.87:
	v_bfe_u32 v3, v67, 16, 1
	s_delay_alu instid0(VALU_DEP_1)
	v_add3_u32 v3, v67, v3, 0x7fff
; %bb.88:
	s_and_not1_saveexec_b32 s3, s3
; %bb.89:
	v_and_b32_e32 v3, 0xffff, v67
	v_or_b32_e32 v4, 0x10000, v67
	s_delay_alu instid0(VALU_DEP_2) | instskip(NEXT) | instid1(VALU_DEP_2)
	v_cmp_eq_u32_e32 vcc_lo, 0, v3
	v_cndmask_b32_e32 v3, v4, v67, vcc_lo
; %bb.90:
	s_or_b32 exec_lo, exec_lo, s3
	v_and_b32_e32 v4, 0x7f800000, v68
	s_delay_alu instid0(VALU_DEP_1) | instskip(SKIP_1) | instid1(SALU_CYCLE_1)
	v_cmp_ne_u32_e32 vcc_lo, 0x7f800000, v4
                                        ; implicit-def: $vgpr4
	s_and_saveexec_b32 s3, vcc_lo
	s_xor_b32 s3, exec_lo, s3
; %bb.91:
	v_bfe_u32 v4, v68, 16, 1
	s_delay_alu instid0(VALU_DEP_1)
	v_add3_u32 v4, v68, v4, 0x7fff
; %bb.92:
	s_and_not1_saveexec_b32 s3, s3
; %bb.93:
	v_and_b32_e32 v4, 0xffff, v68
	v_or_b32_e32 v5, 0x10000, v68
	s_delay_alu instid0(VALU_DEP_2) | instskip(NEXT) | instid1(VALU_DEP_2)
	v_cmp_eq_u32_e32 vcc_lo, 0, v4
	v_cndmask_b32_e32 v4, v5, v68, vcc_lo
; %bb.94:
	s_or_b32 exec_lo, exec_lo, s3
	v_and_b32_e32 v5, 0x7f800000, v69
	s_delay_alu instid0(VALU_DEP_1) | instskip(SKIP_1) | instid1(SALU_CYCLE_1)
	v_cmp_ne_u32_e32 vcc_lo, 0x7f800000, v5
                                        ; implicit-def: $vgpr5
	s_and_saveexec_b32 s3, vcc_lo
	s_xor_b32 s3, exec_lo, s3
; %bb.95:
	v_bfe_u32 v5, v69, 16, 1
	s_delay_alu instid0(VALU_DEP_1)
	v_add3_u32 v5, v69, v5, 0x7fff
; %bb.96:
	s_and_not1_saveexec_b32 s3, s3
; %bb.97:
	v_and_b32_e32 v5, 0xffff, v69
	v_or_b32_e32 v6, 0x10000, v69
	s_delay_alu instid0(VALU_DEP_2) | instskip(NEXT) | instid1(VALU_DEP_2)
	v_cmp_eq_u32_e32 vcc_lo, 0, v5
	v_cndmask_b32_e32 v5, v6, v69, vcc_lo
; %bb.98:
	s_or_b32 exec_lo, exec_lo, s3
	v_and_b32_e32 v6, 0x7f800000, v70
	s_delay_alu instid0(VALU_DEP_1) | instskip(SKIP_1) | instid1(SALU_CYCLE_1)
	v_cmp_ne_u32_e32 vcc_lo, 0x7f800000, v6
                                        ; implicit-def: $vgpr6
	s_and_saveexec_b32 s3, vcc_lo
	s_xor_b32 s3, exec_lo, s3
; %bb.99:
	v_bfe_u32 v6, v70, 16, 1
	s_delay_alu instid0(VALU_DEP_1)
	v_add3_u32 v6, v70, v6, 0x7fff
; %bb.100:
	s_and_not1_saveexec_b32 s3, s3
; %bb.101:
	v_and_b32_e32 v6, 0xffff, v70
	v_or_b32_e32 v7, 0x10000, v70
	s_delay_alu instid0(VALU_DEP_2) | instskip(NEXT) | instid1(VALU_DEP_2)
	v_cmp_eq_u32_e32 vcc_lo, 0, v6
	v_cndmask_b32_e32 v6, v7, v70, vcc_lo
; %bb.102:
	s_or_b32 exec_lo, exec_lo, s3
	v_and_b32_e32 v7, 0x7f800000, v71
	s_delay_alu instid0(VALU_DEP_1) | instskip(SKIP_1) | instid1(SALU_CYCLE_1)
	v_cmp_ne_u32_e32 vcc_lo, 0x7f800000, v7
                                        ; implicit-def: $vgpr7
	s_and_saveexec_b32 s3, vcc_lo
	s_xor_b32 s3, exec_lo, s3
; %bb.103:
	v_bfe_u32 v7, v71, 16, 1
	s_delay_alu instid0(VALU_DEP_1)
	v_add3_u32 v7, v71, v7, 0x7fff
; %bb.104:
	s_and_not1_saveexec_b32 s3, s3
; %bb.105:
	v_and_b32_e32 v7, 0xffff, v71
	v_or_b32_e32 v8, 0x10000, v71
	s_delay_alu instid0(VALU_DEP_2) | instskip(NEXT) | instid1(VALU_DEP_2)
	v_cmp_eq_u32_e32 vcc_lo, 0, v7
	v_cndmask_b32_e32 v7, v8, v71, vcc_lo
; %bb.106:
	s_or_b32 exec_lo, exec_lo, s3
	v_and_b32_e32 v8, 0x7f800000, v72
	s_delay_alu instid0(VALU_DEP_1) | instskip(SKIP_1) | instid1(SALU_CYCLE_1)
	v_cmp_ne_u32_e32 vcc_lo, 0x7f800000, v8
                                        ; implicit-def: $vgpr8
	s_and_saveexec_b32 s3, vcc_lo
	s_xor_b32 s3, exec_lo, s3
; %bb.107:
	v_bfe_u32 v8, v72, 16, 1
	s_delay_alu instid0(VALU_DEP_1)
	v_add3_u32 v8, v72, v8, 0x7fff
                                        ; implicit-def: $vgpr65_vgpr66_vgpr67_vgpr68_vgpr69_vgpr70_vgpr71_vgpr72
; %bb.108:
	s_and_not1_saveexec_b32 s3, s3
; %bb.109:
	v_and_b32_e32 v8, 0xffff, v72
	v_or_b32_e32 v9, 0x10000, v72
	s_delay_alu instid0(VALU_DEP_2) | instskip(NEXT) | instid1(VALU_DEP_2)
	v_cmp_eq_u32_e32 vcc_lo, 0, v8
	v_cndmask_b32_e32 v8, v9, v72, vcc_lo
; %bb.110:
	s_or_b32 exec_lo, exec_lo, s3
	s_delay_alu instid0(VALU_DEP_1)
	v_perm_b32 v7, v8, v7, 0x7060302
	v_perm_b32 v6, v6, v5, 0x7060302
	;; [unrolled: 1-line block ×4, first 2 shown]
	s_barrier
	buffer_gl0_inv
	v_cmp_eq_u32_e32 vcc_lo, 1, v78
	ds_store_b128 v76, v[4:7]
	s_waitcnt lgkmcnt(0)
	s_barrier
	buffer_gl0_inv
	ds_load_b128 v[1:4], v82
	ds_load_b128 v[5:8], v82 offset:16
	v_cmp_eq_u32_e64 s3, 1, v79
	v_cmp_eq_u32_e64 s4, 2, v78
	;; [unrolled: 1-line block ×5, first 2 shown]
	s_waitcnt lgkmcnt(1)
	v_lshrrev_b32_e32 v9, 16, v1
	s_waitcnt lgkmcnt(0)
	v_lshrrev_b32_e32 v13, 16, v5
	v_lshrrev_b32_e32 v10, 16, v2
	;; [unrolled: 1-line block ×4, first 2 shown]
	v_cndmask_b32_e64 v19, v1, v9, s3
	v_cndmask_b32_e32 v18, v5, v13, vcc_lo
	v_cndmask_b32_e64 v20, v5, v13, s3
	v_cndmask_b32_e32 v17, v1, v9, vcc_lo
	v_cmp_eq_u32_e32 vcc_lo, 2, v79
	v_lshrrev_b32_e32 v15, 16, v7
	v_cmp_eq_u32_e64 s3, 1, v77
	v_lshrrev_b32_e32 v12, 16, v4
	v_lshrrev_b32_e32 v16, 16, v8
	v_cndmask_b32_e32 v20, v20, v6, vcc_lo
	v_cndmask_b32_e64 v17, v17, v2, s4
	v_cndmask_b32_e32 v19, v19, v2, vcc_lo
	v_cndmask_b32_e64 v18, v18, v6, s4
	v_cmp_eq_u32_e32 vcc_lo, 4, v78
	v_cmp_eq_u32_e64 s4, 3, v79
	v_cndmask_b32_e64 v17, v17, v10, s5
	v_cndmask_b32_e64 v21, v1, v9, s3
	;; [unrolled: 1-line block ×5, first 2 shown]
	v_cndmask_b32_e32 v17, v17, v3, vcc_lo
	v_cndmask_b32_e64 v20, v20, v14, s4
	v_cndmask_b32_e32 v18, v18, v7, vcc_lo
	v_cmp_eq_u32_e32 vcc_lo, 4, v79
	v_cmp_eq_u32_e64 s4, 5, v79
	v_cmp_eq_u32_e64 s3, 2, v81
	v_cndmask_b32_e64 v21, v21, v2, s7
	v_cmp_eq_u32_e64 s5, 5, v78
	v_cndmask_b32_e32 v19, v19, v3, vcc_lo
	v_cndmask_b32_e32 v20, v20, v7, vcc_lo
	v_cmp_eq_u32_e32 vcc_lo, 6, v79
	s_delay_alu instid0(VALU_DEP_4) | instskip(NEXT) | instid1(VALU_DEP_4)
	v_cndmask_b32_e64 v17, v17, v11, s5
	v_cndmask_b32_e64 v19, v19, v11, s4
	s_delay_alu instid0(VALU_DEP_4) | instskip(SKIP_1) | instid1(VALU_DEP_3)
	v_cndmask_b32_e64 v20, v20, v15, s4
	v_cmp_eq_u32_e64 s4, 1, v81
	v_cndmask_b32_e32 v19, v19, v4, vcc_lo
	v_cndmask_b32_e64 v18, v18, v15, s5
	s_delay_alu instid0(VALU_DEP_3)
	v_cndmask_b32_e64 v1, v1, v9, s4
	v_cndmask_b32_e64 v5, v5, v13, s4
	v_cmp_eq_u32_e64 s4, 3, v77
	v_cndmask_b32_e64 v13, v22, v6, s7
	v_cmp_eq_u32_e64 s7, 3, v81
	v_cndmask_b32_e64 v1, v1, v2, s3
	v_cndmask_b32_e64 v2, v5, v6, s3
	;; [unrolled: 1-line block ×3, first 2 shown]
	v_cmp_eq_u32_e64 s3, 4, v77
	v_cndmask_b32_e64 v6, v13, v14, s4
	v_cndmask_b32_e64 v1, v1, v10, s7
	v_cmp_eq_u32_e64 s4, 4, v81
	v_cndmask_b32_e64 v2, v2, v14, s7
	v_cndmask_b32_e64 v5, v9, v3, s3
	;; [unrolled: 3-line block ×3, first 2 shown]
	v_cndmask_b32_e64 v2, v2, v7, s4
	v_cmp_eq_u32_e64 s3, 5, v81
	v_cmp_eq_u32_e64 s5, 6, v78
	v_cndmask_b32_e64 v5, v5, v11, s7
	v_cmp_eq_u32_e64 s4, 6, v77
	v_cndmask_b32_e64 v3, v6, v15, s7
	v_cndmask_b32_e64 v1, v1, v11, s3
	v_cmp_eq_u32_e64 s7, 6, v81
	v_cndmask_b32_e64 v2, v2, v15, s3
	v_cndmask_b32_e64 v17, v17, v4, s5
	v_cndmask_b32_e64 v18, v18, v8, s5
	v_cmp_eq_u32_e64 s5, 7, v78
	v_cndmask_b32_e64 v5, v5, v4, s4
	;; [unrolled: 4-line block ×3, first 2 shown]
	v_cmp_eq_u32_e64 s4, 7, v77
	v_cndmask_b32_e32 v4, v20, v8, vcc_lo
	v_cndmask_b32_e64 v17, v17, v12, s5
	v_cndmask_b32_e64 v19, v19, v12, s6
	;; [unrolled: 1-line block ×8, first 2 shown]
	v_cmp_gt_u32_e32 vcc_lo, 32, v0
	v_perm_b32 v4, v2, v1, 0x5040100
	v_perm_b32 v3, v3, v5, 0x5040100
	;; [unrolled: 1-line block ×4, first 2 shown]
	s_and_b32 s2, vcc_lo, s2
	ds_store_b128 v76, v[1:4]
	s_waitcnt lgkmcnt(0)
	s_barrier
	buffer_gl0_inv
	s_and_saveexec_b32 s3, s2
	s_cbranch_execz .LBB1749_2
; %bb.111:
	s_load_b64 s[0:1], s[0:1], 0x68
	s_lshl_b32 s4, s34, 6
	v_or_b32_e32 v2, s31, v75
	s_mul_i32 s2, s4, s30
	v_lshlrev_b32_e32 v1, 10, v0
	s_mul_i32 s2, s2, s8
	v_lshlrev_b32_e32 v3, 4, v74
	v_mul_lo_u32 v0, v2, s4
	s_ashr_i32 s3, s2, 31
	v_lshlrev_b32_e32 v4, 6, v75
	v_and_b32_e32 v1, 0x3800, v1
	v_or_b32_e32 v5, 2, v2
	s_lshl_b64 s[2:3], s[2:3], 1
	v_or_b32_e32 v6, 4, v2
	v_or_b32_e32 v7, 6, v2
	v_or3_b32 v12, v1, v3, v4
	v_ashrrev_i32_e32 v1, 31, v0
	v_mul_lo_u32 v2, v5, s4
	v_mul_lo_u32 v16, v6, s4
	;; [unrolled: 1-line block ×3, first 2 shown]
	s_waitcnt lgkmcnt(0)
	s_add_u32 s2, s0, s2
	s_addc_u32 s3, s1, s3
	s_lshl_b32 s0, s14, 6
	v_lshlrev_b64 v[0:1], 1, v[0:1]
	s_ashr_i32 s1, s0, 31
	v_ashrrev_i32_e32 v3, 31, v2
	s_lshl_b64 s[0:1], s[0:1], 1
	v_ashrrev_i32_e32 v17, 31, v16
	s_add_u32 s0, s2, s0
	s_addc_u32 s1, s3, s1
	v_add_co_u32 v24, s0, s0, v73
	s_delay_alu instid0(VALU_DEP_1) | instskip(SKIP_1) | instid1(VALU_DEP_3)
	v_add_co_ci_u32_e64 v25, null, s1, 0, s0
	v_lshlrev_b64 v[22:23], 1, v[2:3]
	v_add_co_u32 v18, vcc_lo, v24, v0
	s_delay_alu instid0(VALU_DEP_3)
	v_add_co_ci_u32_e32 v19, vcc_lo, v25, v1, vcc_lo
	ds_load_b128 v[0:3], v12
	ds_load_b128 v[4:7], v12 offset:128
	ds_load_b128 v[8:11], v12 offset:256
	;; [unrolled: 1-line block ×3, first 2 shown]
	v_ashrrev_i32_e32 v21, 31, v20
	v_lshlrev_b64 v[16:17], 1, v[16:17]
	v_add_co_u32 v22, vcc_lo, v24, v22
	v_add_co_ci_u32_e32 v23, vcc_lo, v25, v23, vcc_lo
	s_delay_alu instid0(VALU_DEP_4) | instskip(NEXT) | instid1(VALU_DEP_4)
	v_lshlrev_b64 v[20:21], 1, v[20:21]
	v_add_co_u32 v16, vcc_lo, v24, v16
	v_add_co_ci_u32_e32 v17, vcc_lo, v25, v17, vcc_lo
	s_delay_alu instid0(VALU_DEP_3) | instskip(NEXT) | instid1(VALU_DEP_4)
	v_add_co_u32 v20, vcc_lo, v24, v20
	v_add_co_ci_u32_e32 v21, vcc_lo, v25, v21, vcc_lo
	s_waitcnt lgkmcnt(3)
	global_store_b128 v[18:19], v[0:3], off
	s_waitcnt lgkmcnt(2)
	global_store_b128 v[22:23], v[4:7], off
	;; [unrolled: 2-line block ×4, first 2 shown]
	s_nop 0
	s_sendmsg sendmsg(MSG_DEALLOC_VGPRS)
	s_endpgm
	.section	.rodata,"a",@progbits
	.p2align	6, 0x0
	.amdhsa_kernel _Z39paged_attention_ll4mi_QKV_mfma16_kernelI14__hip_bfloat16hLN4vllm18Fp8KVCacheDataTypeE1EhLi32ELi64ELi256ELb0ELi8EL8MFMAType0EEvPKT_PKT0_S9_ifPKiSB_SB_iPKfiiiPfSE_PS4_PT2_iSD_SD_
		.amdhsa_group_segment_fixed_size 17472
		.amdhsa_private_segment_fixed_size 0
		.amdhsa_kernarg_size 400
		.amdhsa_user_sgpr_count 13
		.amdhsa_user_sgpr_dispatch_ptr 0
		.amdhsa_user_sgpr_queue_ptr 0
		.amdhsa_user_sgpr_kernarg_segment_ptr 1
		.amdhsa_user_sgpr_dispatch_id 0
		.amdhsa_user_sgpr_private_segment_size 0
		.amdhsa_wavefront_size32 1
		.amdhsa_uses_dynamic_stack 0
		.amdhsa_enable_private_segment 0
		.amdhsa_system_sgpr_workgroup_id_x 1
		.amdhsa_system_sgpr_workgroup_id_y 1
		.amdhsa_system_sgpr_workgroup_id_z 1
		.amdhsa_system_sgpr_workgroup_info 0
		.amdhsa_system_vgpr_workitem_id 0
		.amdhsa_next_free_vgpr 124
		.amdhsa_next_free_sgpr 40
		.amdhsa_reserve_vcc 1
		.amdhsa_float_round_mode_32 0
		.amdhsa_float_round_mode_16_64 0
		.amdhsa_float_denorm_mode_32 3
		.amdhsa_float_denorm_mode_16_64 3
		.amdhsa_dx10_clamp 1
		.amdhsa_ieee_mode 1
		.amdhsa_fp16_overflow 0
		.amdhsa_workgroup_processor_mode 1
		.amdhsa_memory_ordered 1
		.amdhsa_forward_progress 0
		.amdhsa_shared_vgpr_count 0
		.amdhsa_exception_fp_ieee_invalid_op 0
		.amdhsa_exception_fp_denorm_src 0
		.amdhsa_exception_fp_ieee_div_zero 0
		.amdhsa_exception_fp_ieee_overflow 0
		.amdhsa_exception_fp_ieee_underflow 0
		.amdhsa_exception_fp_ieee_inexact 0
		.amdhsa_exception_int_div_zero 0
	.end_amdhsa_kernel
	.section	.text._Z39paged_attention_ll4mi_QKV_mfma16_kernelI14__hip_bfloat16hLN4vllm18Fp8KVCacheDataTypeE1EhLi32ELi64ELi256ELb0ELi8EL8MFMAType0EEvPKT_PKT0_S9_ifPKiSB_SB_iPKfiiiPfSE_PS4_PT2_iSD_SD_,"axG",@progbits,_Z39paged_attention_ll4mi_QKV_mfma16_kernelI14__hip_bfloat16hLN4vllm18Fp8KVCacheDataTypeE1EhLi32ELi64ELi256ELb0ELi8EL8MFMAType0EEvPKT_PKT0_S9_ifPKiSB_SB_iPKfiiiPfSE_PS4_PT2_iSD_SD_,comdat
.Lfunc_end1749:
	.size	_Z39paged_attention_ll4mi_QKV_mfma16_kernelI14__hip_bfloat16hLN4vllm18Fp8KVCacheDataTypeE1EhLi32ELi64ELi256ELb0ELi8EL8MFMAType0EEvPKT_PKT0_S9_ifPKiSB_SB_iPKfiiiPfSE_PS4_PT2_iSD_SD_, .Lfunc_end1749-_Z39paged_attention_ll4mi_QKV_mfma16_kernelI14__hip_bfloat16hLN4vllm18Fp8KVCacheDataTypeE1EhLi32ELi64ELi256ELb0ELi8EL8MFMAType0EEvPKT_PKT0_S9_ifPKiSB_SB_iPKfiiiPfSE_PS4_PT2_iSD_SD_
                                        ; -- End function
	.section	.AMDGPU.csdata,"",@progbits
; Kernel info:
; codeLenInByte = 8732
; NumSgprs: 42
; NumVgprs: 124
; ScratchSize: 0
; MemoryBound: 0
; FloatMode: 240
; IeeeMode: 1
; LDSByteSize: 17472 bytes/workgroup (compile time only)
; SGPRBlocks: 5
; VGPRBlocks: 15
; NumSGPRsForWavesPerEU: 42
; NumVGPRsForWavesPerEU: 124
; Occupancy: 10
; WaveLimiterHint : 1
; COMPUTE_PGM_RSRC2:SCRATCH_EN: 0
; COMPUTE_PGM_RSRC2:USER_SGPR: 13
; COMPUTE_PGM_RSRC2:TRAP_HANDLER: 0
; COMPUTE_PGM_RSRC2:TGID_X_EN: 1
; COMPUTE_PGM_RSRC2:TGID_Y_EN: 1
; COMPUTE_PGM_RSRC2:TGID_Z_EN: 1
; COMPUTE_PGM_RSRC2:TIDIG_COMP_CNT: 0
	.section	.text._Z39paged_attention_ll4mi_QKV_mfma16_kernelI14__hip_bfloat16hLN4vllm18Fp8KVCacheDataTypeE1EhLi32ELi64ELi256ELb0ELi9EL8MFMAType0EEvPKT_PKT0_S9_ifPKiSB_SB_iPKfiiiPfSE_PS4_PT2_iSD_SD_,"axG",@progbits,_Z39paged_attention_ll4mi_QKV_mfma16_kernelI14__hip_bfloat16hLN4vllm18Fp8KVCacheDataTypeE1EhLi32ELi64ELi256ELb0ELi9EL8MFMAType0EEvPKT_PKT0_S9_ifPKiSB_SB_iPKfiiiPfSE_PS4_PT2_iSD_SD_,comdat
	.protected	_Z39paged_attention_ll4mi_QKV_mfma16_kernelI14__hip_bfloat16hLN4vllm18Fp8KVCacheDataTypeE1EhLi32ELi64ELi256ELb0ELi9EL8MFMAType0EEvPKT_PKT0_S9_ifPKiSB_SB_iPKfiiiPfSE_PS4_PT2_iSD_SD_ ; -- Begin function _Z39paged_attention_ll4mi_QKV_mfma16_kernelI14__hip_bfloat16hLN4vllm18Fp8KVCacheDataTypeE1EhLi32ELi64ELi256ELb0ELi9EL8MFMAType0EEvPKT_PKT0_S9_ifPKiSB_SB_iPKfiiiPfSE_PS4_PT2_iSD_SD_
	.globl	_Z39paged_attention_ll4mi_QKV_mfma16_kernelI14__hip_bfloat16hLN4vllm18Fp8KVCacheDataTypeE1EhLi32ELi64ELi256ELb0ELi9EL8MFMAType0EEvPKT_PKT0_S9_ifPKiSB_SB_iPKfiiiPfSE_PS4_PT2_iSD_SD_
	.p2align	8
	.type	_Z39paged_attention_ll4mi_QKV_mfma16_kernelI14__hip_bfloat16hLN4vllm18Fp8KVCacheDataTypeE1EhLi32ELi64ELi256ELb0ELi9EL8MFMAType0EEvPKT_PKT0_S9_ifPKiSB_SB_iPKfiiiPfSE_PS4_PT2_iSD_SD_,@function
_Z39paged_attention_ll4mi_QKV_mfma16_kernelI14__hip_bfloat16hLN4vllm18Fp8KVCacheDataTypeE1EhLi32ELi64ELi256ELb0ELi9EL8MFMAType0EEvPKT_PKT0_S9_ifPKiSB_SB_iPKfiiiPfSE_PS4_PT2_iSD_SD_: ; @_Z39paged_attention_ll4mi_QKV_mfma16_kernelI14__hip_bfloat16hLN4vllm18Fp8KVCacheDataTypeE1EhLi32ELi64ELi256ELb0ELi9EL8MFMAType0EEvPKT_PKT0_S9_ifPKiSB_SB_iPKfiiiPfSE_PS4_PT2_iSD_SD_
; %bb.0:
	s_load_b64 s[2:3], s[0:1], 0x30
	s_mov_b32 s34, s13
	s_waitcnt lgkmcnt(0)
	s_cmp_lg_u64 s[2:3], 0
	s_cselect_b32 s8, -1, 0
	s_ashr_i32 s35, s13, 31
	s_cmp_eq_u64 s[2:3], 0
	s_cbranch_scc1 .LBB1750_3
; %bb.1:
	s_lshl_b64 s[4:5], s[34:35], 2
	s_delay_alu instid0(SALU_CYCLE_1) | instskip(SKIP_4) | instid1(SALU_CYCLE_1)
	s_add_u32 s4, s2, s4
	s_addc_u32 s5, s3, s5
	s_load_b64 s[4:5], s[4:5], 0x0
	s_waitcnt lgkmcnt(0)
	s_sub_i32 s4, s5, s4
	s_cmp_eq_u32 s4, 1
	s_cselect_b32 s4, -1, 0
	s_delay_alu instid0(SALU_CYCLE_1)
	s_and_not1_b32 vcc_lo, exec_lo, s4
	s_cbranch_vccz .LBB1750_4
.LBB1750_2:
	s_nop 0
	s_sendmsg sendmsg(MSG_DEALLOC_VGPRS)
	s_endpgm
.LBB1750_3:
.LBB1750_4:
	s_load_b64 s[4:5], s[0:1], 0x28
	s_lshl_b64 s[6:7], s[34:35], 2
	s_waitcnt lgkmcnt(0)
	s_add_u32 s4, s4, s6
	s_addc_u32 s5, s5, s7
	s_lshl_b32 s12, s14, 8
	s_load_b32 s24, s[4:5], 0x0
	s_waitcnt lgkmcnt(0)
	s_cmp_ge_i32 s12, s24
	s_cbranch_scc1 .LBB1750_2
; %bb.5:
	s_clause 0x1
	s_load_b128 s[20:23], s[0:1], 0x8
	s_load_b64 s[4:5], s[0:1], 0x20
	s_and_not1_b32 vcc_lo, exec_lo, s8
	s_cbranch_vccnz .LBB1750_7
; %bb.6:
	s_add_u32 s2, s2, s6
	s_addc_u32 s3, s3, s7
	s_load_b32 s3, s[2:3], 0x0
	s_branch .LBB1750_8
.LBB1750_7:
	s_mov_b32 s3, s34
.LBB1750_8:
	s_load_b128 s[16:19], s[0:1], 0x48
	v_lshrrev_b32_e32 v66, 5, v0
	v_bfe_u32 v74, v0, 4, 1
	v_and_b32_e32 v65, 15, v0
	v_and_b32_e32 v67, 31, v0
	v_and_b32_e32 v75, 1, v0
	s_mul_i32 s31, s15, 9
	v_lshl_or_b32 v1, v66, 1, v74
	v_lshlrev_b32_e32 v2, 3, v65
	v_cmp_gt_u32_e64 s2, 8, v65
	s_delay_alu instid0(VALU_DEP_3) | instskip(NEXT) | instid1(VALU_DEP_3)
	v_cmp_gt_u32_e32 vcc_lo, 9, v1
	v_lshlrev_b32_e32 v73, 1, v2
	s_delay_alu instid0(VALU_DEP_3) | instskip(NEXT) | instid1(SALU_CYCLE_1)
	s_and_b32 s7, s2, vcc_lo
	s_and_saveexec_b32 s6, s7
	s_cbranch_execz .LBB1750_10
; %bb.9:
	s_load_b64 s[8:9], s[0:1], 0x0
	v_add_lshl_u32 v2, v1, s31, 6
	s_waitcnt lgkmcnt(0)
	s_mul_hi_i32 s11, s3, s16
	s_mul_i32 s10, s3, s16
	v_lshlrev_b32_e32 v6, 10, v65
	s_lshl_b64 s[10:11], s[10:11], 1
	v_ashrrev_i32_e32 v3, 31, v2
	v_lshlrev_b32_e32 v1, 6, v1
	v_lshlrev_b32_e32 v7, 10, v75
	v_and_b32_e32 v6, 0x3800, v6
	s_delay_alu instid0(VALU_DEP_4) | instskip(NEXT) | instid1(VALU_DEP_2)
	v_lshlrev_b64 v[2:3], 1, v[2:3]
	v_or3_b32 v1, v6, v7, v1
	s_add_u32 s3, s8, s10
	s_addc_u32 s7, s9, s11
	s_delay_alu instid0(VALU_DEP_2) | instskip(NEXT) | instid1(VALU_DEP_3)
	v_add_co_u32 v2, vcc_lo, s3, v2
	v_add_co_ci_u32_e32 v3, vcc_lo, s7, v3, vcc_lo
	s_delay_alu instid0(VALU_DEP_2) | instskip(NEXT) | instid1(VALU_DEP_2)
	v_add_co_u32 v2, vcc_lo, v2, v73
	v_add_co_ci_u32_e32 v3, vcc_lo, 0, v3, vcc_lo
	global_load_b128 v[2:5], v[2:3], off
	s_waitcnt vmcnt(0)
	ds_store_b128 v1, v[2:5]
.LBB1750_10:
	s_or_b32 exec_lo, exec_lo, s6
	v_and_b32_e32 v1, 0xef, v0
	s_waitcnt lgkmcnt(0)
	s_add_i32 s3, s24, 31
	s_clause 0x1
	s_load_b32 s6, s[0:1], 0x38
	s_load_b32 s19, s[0:1], 0x1c
	s_ashr_i32 s7, s3, 31
	v_add_nc_u32_e32 v1, s12, v1
	s_lshr_b32 s7, s7, 27
	s_waitcnt lgkmcnt(0)
	s_add_i32 s3, s3, s7
	s_barrier
	v_ashrrev_i32_e32 v2, 31, v1
	v_or_b32_e32 v3, 16, v1
	s_ashr_i32 s3, s3, 5
	v_cmp_gt_i32_e32 vcc_lo, s24, v1
	s_add_i32 s3, s3, -1
	v_lshrrev_b32_e32 v2, 27, v2
	buffer_gl0_inv
	s_mul_i32 s27, s15, s18
	v_add_nc_u32_e32 v4, v1, v2
	s_mul_i32 s6, s34, s6
	s_delay_alu instid0(SALU_CYCLE_1) | instskip(NEXT) | instid1(VALU_DEP_1)
	s_ashr_i32 s7, s6, 31
	v_ashrrev_i32_e32 v4, 5, v4
	v_add_nc_u32_e32 v2, v3, v2
	s_lshl_b64 s[6:7], s[6:7], 2
	s_delay_alu instid0(SALU_CYCLE_1) | instskip(NEXT) | instid1(VALU_DEP_2)
	s_add_u32 s26, s4, s6
	v_cndmask_b32_e32 v1, s3, v4, vcc_lo
	s_delay_alu instid0(VALU_DEP_2)
	v_ashrrev_i32_e32 v2, 5, v2
	v_cmp_gt_i32_e32 vcc_lo, s24, v3
	s_addc_u32 s25, s5, s7
	s_ashr_i32 s28, s27, 31
	s_add_u32 s4, s20, s27
	s_addc_u32 s5, s21, s28
	v_cndmask_b32_e32 v3, s3, v2, vcc_lo
	v_ashrrev_i32_e32 v2, 31, v1
	s_lshl_b32 s6, s14, 3
	s_delay_alu instid0(SALU_CYCLE_1) | instskip(NEXT) | instid1(VALU_DEP_2)
	s_ashr_i32 s7, s6, 31
	v_ashrrev_i32_e32 v4, 31, v3
	s_delay_alu instid0(VALU_DEP_2) | instskip(SKIP_1) | instid1(SALU_CYCLE_1)
	v_lshlrev_b64 v[1:2], 2, v[1:2]
	s_lshl_b64 s[6:7], s[6:7], 2
	s_add_u32 s6, s26, s6
	s_delay_alu instid0(VALU_DEP_2) | instskip(SKIP_1) | instid1(VALU_DEP_2)
	v_lshlrev_b64 v[3:4], 2, v[3:4]
	s_addc_u32 s7, s25, s7
	v_add_co_u32 v1, vcc_lo, s26, v1
	v_add_co_ci_u32_e32 v2, vcc_lo, s25, v2, vcc_lo
	s_delay_alu instid0(VALU_DEP_3) | instskip(NEXT) | instid1(VALU_DEP_4)
	v_add_co_u32 v3, vcc_lo, s26, v3
	v_add_co_ci_u32_e32 v4, vcc_lo, s25, v4, vcc_lo
	s_clause 0x1
	global_load_b32 v5, v[1:2], off
	global_load_b32 v6, v[3:4], off
	s_or_b32 s8, s12, 32
	s_delay_alu instid0(SALU_CYCLE_1) | instskip(SKIP_2) | instid1(SALU_CYCLE_1)
	s_ashr_i32 s9, s8, 5
	s_cmp_lt_i32 s8, s24
	s_cselect_b32 s8, s9, s3
	s_ashr_i32 s9, s8, 31
	s_delay_alu instid0(SALU_CYCLE_1) | instskip(NEXT) | instid1(SALU_CYCLE_1)
	s_lshl_b64 s[8:9], s[8:9], 2
	s_add_u32 s8, s26, s8
	s_addc_u32 s9, s25, s9
	s_or_b32 s10, s12, 64
	s_delay_alu instid0(SALU_CYCLE_1) | instskip(SKIP_2) | instid1(SALU_CYCLE_1)
	s_ashr_i32 s11, s10, 5
	s_cmp_lt_i32 s10, s24
	s_cselect_b32 s10, s11, s3
	s_ashr_i32 s11, s10, 31
	s_delay_alu instid0(SALU_CYCLE_1) | instskip(NEXT) | instid1(SALU_CYCLE_1)
	s_lshl_b64 s[10:11], s[10:11], 2
	s_add_u32 s10, s26, s10
	s_addc_u32 s11, s25, s11
	;; [unrolled: 10-line block ×5, first 2 shown]
	s_clause 0x5
	s_load_b32 s21, s[6:7], 0x0
	s_load_b32 s13, s[8:9], 0x0
	;; [unrolled: 1-line block ×6, first 2 shown]
	s_or_b32 s8, s12, 0xc0
	s_delay_alu instid0(SALU_CYCLE_1) | instskip(SKIP_2) | instid1(SALU_CYCLE_1)
	s_ashr_i32 s9, s8, 5
	s_cmp_lt_i32 s8, s24
	s_cselect_b32 s36, s9, s3
	s_ashr_i32 s37, s36, 31
	s_delay_alu instid0(SALU_CYCLE_1) | instskip(NEXT) | instid1(SALU_CYCLE_1)
	s_lshl_b64 s[36:37], s[36:37], 2
	s_add_u32 s36, s26, s36
	s_addc_u32 s37, s25, s37
	s_or_b32 s29, s12, 0xe0
	s_delay_alu instid0(SALU_CYCLE_1)
	s_ashr_i32 s30, s29, 5
	s_cmp_lt_i32 s29, s24
	s_waitcnt vmcnt(1)
	v_mad_i64_i32 v[1:2], null, v5, s17, s[4:5]
	s_waitcnt vmcnt(0)
	v_mad_i64_i32 v[3:4], null, v6, s17, s[4:5]
	s_mov_b32 s4, 0
	s_delay_alu instid0(SALU_CYCLE_1)
	s_mov_b32 s5, s4
	s_mov_b32 s6, s4
	;; [unrolled: 1-line block ×7, first 2 shown]
	v_lshlrev_b32_e32 v5, 4, v65
	v_dual_mov_b32 v107, s11 :: v_dual_mov_b32 v102, s6
	v_mov_b32_e32 v100, s4
	v_mov_b32_e32 v106, s10
	s_delay_alu instid0(VALU_DEP_4)
	v_add_co_u32 v1, vcc_lo, v1, v5
	v_add_co_ci_u32_e32 v2, vcc_lo, 0, v2, vcc_lo
	v_add_co_u32 v3, vcc_lo, v3, v5
	v_add_co_ci_u32_e32 v4, vcc_lo, 0, v4, vcc_lo
	s_clause 0x7
	global_load_b128 v[49:52], v[1:2], off
	global_load_b128 v[53:56], v[1:2], off offset:512
	global_load_b128 v[76:79], v[3:4], off offset:256
	;; [unrolled: 1-line block ×7, first 2 shown]
	v_add_nc_u32_e32 v1, -9, v65
	v_cmp_gt_u32_e32 vcc_lo, 9, v65
	v_dual_mov_b32 v104, s8 :: v_dual_mov_b32 v103, s7
	v_dual_mov_b32 v101, s5 :: v_dual_lshlrev_b32 v2, 5, v65
	s_delay_alu instid0(VALU_DEP_4)
	v_cndmask_b32_e32 v1, v1, v65, vcc_lo
	v_mov_b32_e32 v105, s9
	s_cselect_b32 s4, s30, s3
	s_load_b32 s3, s[36:37], 0x0
	s_ashr_i32 s5, s4, 31
	v_lshlrev_b32_e32 v70, 6, v1
	s_lshl_b64 s[4:5], s[4:5], 2
	v_lshl_or_b32 v2, v66, 9, v2
	s_add_u32 s4, s26, s4
	s_addc_u32 s5, s25, s5
	ds_load_b128 v[108:111], v70
	ds_load_b128 v[112:115], v70 offset:1024
	s_load_b32 s4, s[4:5], 0x0
	s_add_u32 s6, s22, s27
	s_addc_u32 s7, s23, s28
	v_add_co_u32 v9, s6, s6, v2
	s_delay_alu instid0(VALU_DEP_1) | instskip(SKIP_1) | instid1(VALU_DEP_1)
	v_add_co_ci_u32_e64 v10, null, s7, 0, s6
	s_waitcnt lgkmcnt(0)
	v_mad_i64_i32 v[1:2], null, s21, s17, v[9:10]
	v_mad_i64_i32 v[3:4], null, s13, s17, v[9:10]
	;; [unrolled: 1-line block ×7, first 2 shown]
	s_clause 0x9
	global_load_b128 v[57:60], v[1:2], off
	global_load_b128 v[61:64], v[1:2], off offset:16
	global_load_b128 v[41:44], v[3:4], off
	global_load_b128 v[45:48], v[3:4], off offset:16
	;; [unrolled: 2-line block ×5, first 2 shown]
	v_mad_i64_i32 v[68:69], null, s4, s17, v[9:10]
	s_clause 0x3
	global_load_b128 v[9:12], v[13:14], off
	global_load_b128 v[13:16], v[13:14], off offset:16
	global_load_b128 v[17:20], v[21:22], off
	global_load_b128 v[21:24], v[21:22], off offset:16
	s_waitcnt vmcnt(20)
	v_wmma_f32_16x16x16_bf16 v[116:123], v[49:56], v[108:115], v[100:107]
	s_clause 0x1
	global_load_b128 v[49:52], v[68:69], off
	global_load_b128 v[53:56], v[68:69], off offset:16
	v_and_b32_e32 v68, 0xe0, v0
	v_mbcnt_lo_u32_b32 v69, -1, 0
	s_delay_alu instid0(VALU_DEP_2)
	v_add_nc_u32_e32 v68, s12, v68
	s_waitcnt vmcnt(20)
	v_wmma_f32_16x16x16_bf16 v[100:107], v[76:83], v[108:115], v[100:107]
	ds_load_b128 v[76:79], v70 offset:2048
	ds_load_b128 v[80:83], v70 offset:3072
	v_xor_b32_e32 v70, 16, v69
	s_waitcnt vmcnt(0) lgkmcnt(0)
	v_or_b32_e32 v68, v68, v74
	s_barrier
	buffer_gl0_inv
	v_cmp_gt_i32_e32 vcc_lo, 32, v70
	v_or_b32_e32 v71, 4, v68
	v_or_b32_e32 v72, 6, v68
	v_cmp_gt_i32_e64 s3, s24, v68
	v_or_b32_e32 v108, 8, v68
	v_or_b32_e32 v109, 10, v68
	v_cmp_gt_i32_e64 s4, s24, v71
	v_cmp_gt_i32_e64 s5, s24, v72
	s_delay_alu instid0(VALU_DEP_4) | instskip(NEXT) | instid1(VALU_DEP_4)
	v_cmp_gt_i32_e64 s6, s24, v108
	v_cmp_gt_i32_e64 s7, s24, v109
	v_wmma_f32_16x16x16_bf16 v[116:123], v[84:91], v[76:83], v[116:123]
	v_cndmask_b32_e32 v69, v69, v70, vcc_lo
	v_or_b32_e32 v70, 2, v68
	v_wmma_f32_16x16x16_bf16 v[100:107], v[92:99], v[76:83], v[100:107]
	v_or_b32_e32 v89, 22, v68
	v_dual_mul_f32 v80, s19, v121 :: v_dual_mul_f32 v81, s19, v120
	v_dual_mul_f32 v92, s19, v117 :: v_dual_mul_f32 v93, s19, v116
	s_delay_alu instid0(VALU_DEP_4)
	v_mul_f32_e32 v96, s19, v105
	v_cmp_gt_i32_e32 vcc_lo, s24, v70
	v_dual_mul_f32 v79, s19, v122 :: v_dual_mul_f32 v82, s19, v119
	v_dual_mul_f32 v83, s19, v118 :: v_dual_mul_f32 v94, s19, v107
	v_cndmask_b32_e64 v93, 0xff7fffff, v93, s3
	v_cndmask_b32_e32 v92, 0xff7fffff, v92, vcc_lo
	v_or_b32_e32 v84, 12, v68
	v_or_b32_e32 v85, 14, v68
	v_cndmask_b32_e64 v71, 0xff7fffff, v83, s4
	v_cndmask_b32_e64 v72, 0xff7fffff, v82, s5
	v_cmp_gt_i32_e64 s13, s24, v89
	v_lshlrev_b32_e32 v89, 2, v69
	v_max3_f32 v82, v93, 0xff7fffff, v92
	v_or_b32_e32 v86, 16, v68
	v_or_b32_e32 v87, 18, v68
	v_mul_f32_e32 v78, s19, v123
	v_cndmask_b32_e64 v81, 0xff7fffff, v81, s6
	v_cndmask_b32_e64 v80, 0xff7fffff, v80, s7
	v_max3_f32 v71, v82, v71, v72
	v_cmp_gt_i32_e64 s8, s24, v84
	v_cmp_gt_i32_e64 s9, s24, v85
	v_or_b32_e32 v88, 20, v68
	v_or_b32_e32 v90, 24, v68
	;; [unrolled: 1-line block ×5, first 2 shown]
	v_dual_mul_f32 v97, s19, v104 :: v_dual_mul_f32 v70, s19, v101
	v_dual_mul_f32 v99, s19, v102 :: v_dual_mul_f32 v68, s19, v100
	v_cndmask_b32_e64 v72, 0xff7fffff, v79, s8
	v_cndmask_b32_e64 v78, 0xff7fffff, v78, s9
	v_max3_f32 v71, v71, v81, v80
	v_cmp_gt_i32_e64 s10, s24, v86
	v_cmp_gt_i32_e64 s11, s24, v87
	v_dual_mul_f32 v95, s19, v106 :: v_dual_mul_f32 v98, s19, v103
	s_delay_alu instid0(VALU_DEP_4) | instskip(NEXT) | instid1(VALU_DEP_4)
	v_max3_f32 v71, v71, v72, v78
	v_cndmask_b32_e64 v68, 0xff7fffff, v68, s10
	s_delay_alu instid0(VALU_DEP_4)
	v_cndmask_b32_e64 v70, 0xff7fffff, v70, s11
	v_cmp_gt_i32_e64 s12, s24, v88
	v_cndmask_b32_e64 v78, 0xff7fffff, v98, s13
	v_cmp_gt_i32_e64 s15, s24, v90
	v_cmp_gt_i32_e64 s16, s24, v91
	v_max3_f32 v68, v71, v68, v70
	v_cndmask_b32_e64 v72, 0xff7fffff, v99, s12
	v_cmp_gt_i32_e64 s17, s24, v76
	v_cndmask_b32_e64 v70, 0xff7fffff, v97, s15
	v_cndmask_b32_e64 v71, 0xff7fffff, v96, s16
	v_cmp_gt_i32_e64 s18, s24, v77
	v_max3_f32 v68, v68, v72, v78
	v_cndmask_b32_e64 v72, 0xff7fffff, v95, s17
	s_delay_alu instid0(VALU_DEP_3) | instskip(NEXT) | instid1(VALU_DEP_3)
	v_cndmask_b32_e64 v76, 0xff7fffff, v94, s18
	v_max3_f32 v68, v68, v70, v71
	s_delay_alu instid0(VALU_DEP_1) | instskip(SKIP_3) | instid1(VALU_DEP_1)
	v_max3_f32 v68, v68, v72, v76
	ds_bpermute_b32 v69, v89, v68
	s_waitcnt lgkmcnt(0)
	v_max_f32_e32 v69, v69, v69
	v_max_f32_e32 v68, v68, v69
	s_delay_alu instid0(VALU_DEP_1) | instskip(NEXT) | instid1(VALU_DEP_1)
	v_fma_f32 v71, s19, v118, -v68
	v_mul_f32_e32 v71, 0x3fb8aa3b, v71
	v_fma_f32 v70, s19, v117, -v68
	v_fma_f32 v69, s19, v116, -v68
	;; [unrolled: 1-line block ×5, first 2 shown]
	s_delay_alu instid0(VALU_DEP_4) | instskip(SKIP_1) | instid1(VALU_DEP_3)
	v_dual_mul_f32 v70, 0x3fb8aa3b, v70 :: v_dual_mul_f32 v69, 0x3fb8aa3b, v69
	v_exp_f32_e32 v71, v71
	v_mul_f32_e32 v72, 0x3fb8aa3b, v72
	v_fma_f32 v81, s19, v105, -v68
	s_delay_alu instid0(VALU_DEP_3)
	v_exp_f32_e32 v70, v70
	v_mul_f32_e32 v77, 0x3fb8aa3b, v76
	v_exp_f32_e32 v69, v69
	v_exp_f32_e32 v72, v72
	v_mul_f32_e32 v81, 0x3fb8aa3b, v81
	v_cndmask_b32_e64 v83, 0, v71, s4
	v_fma_f32 v71, s19, v123, -v68
	s_delay_alu instid0(VALU_DEP_3) | instskip(SKIP_4) | instid1(TRANS32_DEP_3)
	v_exp_f32_e32 v81, v81
	v_cndmask_b32_e32 v76, 0, v70, vcc_lo
	v_exp_f32_e32 v77, v77
	v_cndmask_b32_e64 v80, 0, v69, s3
	v_fma_f32 v69, s19, v121, -v68
	v_cndmask_b32_e64 v85, 0, v72, s5
	v_mul_f32_e32 v71, 0x3fb8aa3b, v71
	v_fma_f32 v72, s19, v100, -v68
	s_delay_alu instid0(VALU_DEP_4) | instskip(SKIP_1) | instid1(VALU_DEP_4)
	v_dual_add_f32 v70, 0, v80 :: v_dual_mul_f32 v69, 0x3fb8aa3b, v69
	v_cmp_gt_u32_e64 s3, 16, v67
	v_exp_f32_e32 v71, v71
	s_delay_alu instid0(TRANS32_DEP_2) | instskip(SKIP_4) | instid1(VALU_DEP_3)
	v_cndmask_b32_e64 v86, 0, v77, s6
	v_fma_f32 v77, s19, v101, -v68
	v_mul_f32_e32 v78, 0x3fb8aa3b, v78
	v_add_f32_e32 v70, v70, v76
	v_exp_f32_e32 v69, v69
	v_mul_f32_e32 v77, 0x3fb8aa3b, v77
	s_delay_alu instid0(VALU_DEP_3) | instskip(NEXT) | instid1(TRANS32_DEP_3)
	v_exp_f32_e32 v78, v78
	v_cndmask_b32_e64 v88, 0, v71, s9
	v_fma_f32 v71, s19, v104, -v68
	s_delay_alu instid0(VALU_DEP_3) | instskip(NEXT) | instid1(TRANS32_DEP_3)
	v_exp_f32_e32 v77, v77
	v_cndmask_b32_e64 v87, 0, v69, s7
	s_delay_alu instid0(VALU_DEP_2)
	v_mul_f32_e32 v71, 0x3fb8aa3b, v71
	s_waitcnt_depctr 0xfff
	v_cndmask_b32_e64 v84, 0, v78, s8
	v_add_f32_e32 v70, v70, v83
	v_fma_f32 v78, s19, v103, -v68
	v_exp_f32_e32 v82, v71
	s_delay_alu instid0(VALU_DEP_2) | instskip(SKIP_1) | instid1(VALU_DEP_3)
	v_add_f32_e32 v70, v70, v85
	v_mul_f32_e32 v72, 0x3fb8aa3b, v72
	v_mul_f32_e32 v78, 0x3fb8aa3b, v78
	s_delay_alu instid0(VALU_DEP_3) | instskip(SKIP_1) | instid1(VALU_DEP_4)
	v_add_f32_e32 v69, v70, v86
	v_fma_f32 v70, s19, v102, -v68
	v_exp_f32_e32 v72, v72
	s_delay_alu instid0(VALU_DEP_3) | instskip(NEXT) | instid1(VALU_DEP_1)
	v_exp_f32_e32 v78, v78
	v_dual_add_f32 v69, v69, v87 :: v_dual_mul_f32 v70, 0x3fb8aa3b, v70
	s_delay_alu instid0(VALU_DEP_1) | instskip(NEXT) | instid1(VALU_DEP_2)
	v_add_f32_e32 v69, v69, v84
	v_exp_f32_e32 v79, v70
	s_delay_alu instid0(TRANS32_DEP_3) | instskip(NEXT) | instid1(VALU_DEP_2)
	v_cndmask_b32_e64 v70, 0, v72, s10
	v_add_f32_e32 v72, v69, v88
	v_cndmask_b32_e64 v69, 0, v77, s11
	v_fma_f32 v77, s19, v106, -v68
	s_waitcnt_depctr 0xfff
	v_cndmask_b32_e64 v71, 0, v79, s12
	v_dual_mul_f32 v77, 0x3fb8aa3b, v77 :: v_dual_add_f32 v72, v72, v70
	s_delay_alu instid0(VALU_DEP_1) | instskip(NEXT) | instid1(VALU_DEP_1)
	v_exp_f32_e32 v90, v77
	v_add_f32_e32 v79, v72, v69
	v_cndmask_b32_e64 v72, 0, v78, s13
	v_cndmask_b32_e64 v77, 0, v82, s15
	s_delay_alu instid0(VALU_DEP_3) | instskip(SKIP_1) | instid1(VALU_DEP_1)
	v_add_f32_e32 v78, v79, v71
	v_fma_f32 v79, s19, v107, -v68
	v_dual_add_f32 v82, v78, v72 :: v_dual_mul_f32 v79, 0x3fb8aa3b, v79
	v_cndmask_b32_e64 v78, 0, v81, s16
	s_delay_alu instid0(VALU_DEP_2) | instskip(NEXT) | instid1(VALU_DEP_3)
	v_add_f32_e32 v81, v82, v77
	v_exp_f32_e32 v82, v79
	v_cndmask_b32_e64 v79, 0, v90, s17
	s_delay_alu instid0(VALU_DEP_2) | instskip(NEXT) | instid1(VALU_DEP_1)
	v_add_f32_e32 v81, v81, v78
	v_add_f32_e32 v90, v81, v79
	s_waitcnt_depctr 0xfff
	v_cndmask_b32_e64 v81, 0, v82, s18
	s_delay_alu instid0(VALU_DEP_1)
	v_add_f32_e32 v82, v90, v81
	ds_bpermute_b32 v89, v89, v82
	s_and_saveexec_b32 s4, s3
	s_cbranch_execz .LBB1750_12
; %bb.11:
	v_mul_u32_u24_e32 v67, 0x44, v66
	s_delay_alu instid0(VALU_DEP_1) | instskip(SKIP_1) | instid1(VALU_DEP_1)
	v_lshl_add_u32 v67, v65, 2, v67
	s_waitcnt lgkmcnt(0)
	v_dual_add_f32 v82, v82, v89 :: v_dual_add_nc_u32 v67, 0x4000, v67
	ds_store_2addr_b32 v67, v68, v82 offset1:136
.LBB1750_12:
	s_or_b32 exec_lo, exec_lo, s4
	v_lshlrev_b32_e32 v67, 2, v65
	s_waitcnt lgkmcnt(0)
	s_barrier
	buffer_gl0_inv
	v_cmp_eq_u32_e32 vcc_lo, 1, v66
	v_add_nc_u32_e32 v82, 0x4000, v67
	v_cmp_eq_u32_e64 s4, 2, v66
	v_cmp_eq_u32_e64 s6, 7, v66
	ds_load_2addr_b32 v[89:90], v82 offset1:17
	ds_load_2addr_b32 v[91:92], v82 offset0:34 offset1:51
	ds_load_2addr_b32 v[93:94], v82 offset0:68 offset1:85
	;; [unrolled: 1-line block ×4, first 2 shown]
	s_waitcnt lgkmcnt(4)
	v_max3_f32 v67, v89, 0xff7fffff, v90
	s_waitcnt lgkmcnt(3)
	s_delay_alu instid0(VALU_DEP_1) | instskip(SKIP_1) | instid1(VALU_DEP_1)
	v_max3_f32 v67, v67, v91, v92
	s_waitcnt lgkmcnt(2)
	v_max3_f32 v67, v67, v93, v94
	s_waitcnt lgkmcnt(1)
	s_delay_alu instid0(VALU_DEP_1) | instskip(NEXT) | instid1(VALU_DEP_1)
	v_max3_f32 v67, v67, v95, v96
	v_sub_f32_e32 v93, v93, v67
	s_delay_alu instid0(VALU_DEP_1) | instskip(NEXT) | instid1(VALU_DEP_1)
	v_dual_sub_f32 v68, v89, v67 :: v_dual_mul_f32 v103, 0x3fb8aa3b, v93
	v_mul_f32_e32 v68, 0x3fb8aa3b, v68
	s_delay_alu instid0(VALU_DEP_1)
	v_exp_f32_e32 v100, v68
	v_sub_f32_e32 v68, v92, v67
	v_sub_f32_e32 v99, v90, v67
	ds_load_2addr_b32 v[89:90], v82 offset0:170 offset1:187
	v_dual_mul_f32 v102, 0x3fb8aa3b, v68 :: v_dual_mul_f32 v99, 0x3fb8aa3b, v99
	s_waitcnt lgkmcnt(1)
	v_fma_f32 v68, v100, v97, 0
	s_delay_alu instid0(VALU_DEP_2) | instskip(NEXT) | instid1(VALU_DEP_2)
	v_exp_f32_e32 v102, v102
	v_exp_f32_e32 v99, v99
	s_waitcnt_depctr 0xfff
	v_fmac_f32_e32 v68, v99, v98
	v_sub_f32_e32 v91, v91, v67
	s_delay_alu instid0(VALU_DEP_1)
	v_mul_f32_e32 v101, 0x3fb8aa3b, v91
	ds_load_2addr_b32 v[91:92], v82 offset0:204 offset1:221
	v_sub_f32_e32 v97, v94, v67
	ds_load_2addr_b32 v[93:94], v82 offset0:238 offset1:255
	s_waitcnt lgkmcnt(0)
	v_exp_f32_e32 v101, v101
	s_barrier
	buffer_gl0_inv
	v_dual_fmac_f32 v68, v101, v89 :: v_dual_sub_f32 v89, v96, v67
	v_dual_sub_f32 v82, v95, v67 :: v_dual_mul_f32 v95, 0x3fb8aa3b, v97
	v_exp_f32_e32 v97, v103
	s_delay_alu instid0(VALU_DEP_2) | instskip(NEXT) | instid1(VALU_DEP_2)
	v_dual_fmac_f32 v68, v102, v90 :: v_dual_mul_f32 v89, 0x3fb8aa3b, v89
	v_mul_f32_e32 v82, 0x3fb8aa3b, v82
	s_delay_alu instid0(VALU_DEP_3) | instskip(NEXT) | instid1(VALU_DEP_2)
	v_exp_f32_e32 v95, v95
	v_exp_f32_e32 v89, v89
	s_delay_alu instid0(VALU_DEP_1)
	v_exp_f32_e32 v82, v82
	v_fmac_f32_e32 v68, v97, v91
	s_delay_alu instid0(TRANS32_DEP_3) | instid1(VALU_DEP_1)
	v_fmac_f32_e32 v68, v95, v92
	s_waitcnt_depctr 0xfff
	v_fmac_f32_e32 v68, v82, v93
	s_delay_alu instid0(VALU_DEP_1) | instskip(NEXT) | instid1(VALU_DEP_1)
	v_fmac_f32_e32 v68, v89, v94
	v_add_f32_e32 v90, 0x358637bd, v68
	s_delay_alu instid0(VALU_DEP_1) | instskip(NEXT) | instid1(VALU_DEP_1)
	v_div_scale_f32 v91, null, v90, v90, 1.0
	v_rcp_f32_e32 v92, v91
	s_waitcnt_depctr 0xfff
	v_fma_f32 v93, -v91, v92, 1.0
	s_delay_alu instid0(VALU_DEP_1) | instskip(SKIP_1) | instid1(VALU_DEP_2)
	v_dual_fmac_f32 v92, v93, v92 :: v_dual_cndmask_b32 v93, v100, v99
	v_cmp_eq_u32_e32 vcc_lo, 3, v66
	v_cndmask_b32_e64 v93, v93, v101, s4
	v_cmp_eq_u32_e64 s4, 4, v66
	s_delay_alu instid0(VALU_DEP_2) | instskip(SKIP_1) | instid1(VALU_DEP_2)
	v_cndmask_b32_e32 v93, v93, v102, vcc_lo
	v_cmp_eq_u32_e32 vcc_lo, 5, v66
	v_cndmask_b32_e64 v93, v93, v97, s4
	v_cmp_eq_u32_e64 s4, 6, v66
	s_delay_alu instid0(VALU_DEP_2) | instskip(SKIP_1) | instid1(VALU_DEP_1)
	v_cndmask_b32_e32 v93, v93, v95, vcc_lo
	v_div_scale_f32 v94, s5, 1.0, v90, 1.0
	s_mov_b32 vcc_lo, s5
	s_delay_alu instid0(VALU_DEP_2) | instskip(NEXT) | instid1(VALU_DEP_2)
	v_cndmask_b32_e64 v82, v93, v82, s4
	v_mul_f32_e32 v96, v94, v92
	s_mov_b32 s4, exec_lo
	s_delay_alu instid0(VALU_DEP_2) | instskip(NEXT) | instid1(VALU_DEP_2)
	v_cndmask_b32_e64 v82, v82, v89, s6
	v_fma_f32 v98, -v91, v96, v94
	s_delay_alu instid0(VALU_DEP_1) | instskip(NEXT) | instid1(VALU_DEP_1)
	v_fmac_f32_e32 v96, v98, v92
	v_fma_f32 v91, -v91, v96, v94
	s_delay_alu instid0(VALU_DEP_1) | instskip(NEXT) | instid1(VALU_DEP_1)
	v_div_fmas_f32 v91, v91, v92, v96
	v_div_fixup_f32 v90, v91, v90, 1.0
	s_delay_alu instid0(VALU_DEP_1) | instskip(NEXT) | instid1(VALU_DEP_1)
	v_mul_f32_e32 v82, v82, v90
	v_mul_f32_e32 v87, v82, v87
	;; [unrolled: 1-line block ×7, first 2 shown]
	v_dual_mul_f32 v86, v82, v83 :: v_dual_and_b32 v91, 0x7f800000, v90
	v_mul_f32_e32 v85, v82, v76
                                        ; implicit-def: $vgpr76
	s_delay_alu instid0(VALU_DEP_2)
	v_cmpx_ne_u32_e32 0x7f800000, v91
	s_xor_b32 s4, exec_lo, s4
; %bb.13:
	v_bfe_u32 v76, v90, 16, 1
	s_delay_alu instid0(VALU_DEP_1)
	v_add3_u32 v76, v90, v76, 0x7fff
                                        ; implicit-def: $vgpr90
; %bb.14:
	s_and_not1_saveexec_b32 s4, s4
; %bb.15:
	v_and_b32_e32 v76, 0xffff, v90
	v_or_b32_e32 v83, 0x10000, v90
	s_delay_alu instid0(VALU_DEP_2) | instskip(NEXT) | instid1(VALU_DEP_2)
	v_cmp_eq_u32_e32 vcc_lo, 0, v76
	v_cndmask_b32_e32 v76, v83, v90, vcc_lo
; %bb.16:
	s_or_b32 exec_lo, exec_lo, s4
	v_and_b32_e32 v83, 0x7f800000, v85
	s_delay_alu instid0(VALU_DEP_1) | instskip(SKIP_1) | instid1(SALU_CYCLE_1)
	v_cmp_ne_u32_e32 vcc_lo, 0x7f800000, v83
                                        ; implicit-def: $vgpr83
	s_and_saveexec_b32 s4, vcc_lo
	s_xor_b32 s4, exec_lo, s4
; %bb.17:
	v_bfe_u32 v83, v85, 16, 1
	s_delay_alu instid0(VALU_DEP_1)
	v_add3_u32 v83, v85, v83, 0x7fff
                                        ; implicit-def: $vgpr85
; %bb.18:
	s_and_not1_saveexec_b32 s4, s4
; %bb.19:
	v_and_b32_e32 v83, 0xffff, v85
	v_or_b32_e32 v90, 0x10000, v85
	s_delay_alu instid0(VALU_DEP_2) | instskip(NEXT) | instid1(VALU_DEP_2)
	v_cmp_eq_u32_e32 vcc_lo, 0, v83
	v_cndmask_b32_e32 v83, v90, v85, vcc_lo
; %bb.20:
	s_or_b32 exec_lo, exec_lo, s4
	v_and_b32_e32 v85, 0x7f800000, v86
	s_delay_alu instid0(VALU_DEP_1) | instskip(SKIP_1) | instid1(SALU_CYCLE_1)
	v_cmp_ne_u32_e32 vcc_lo, 0x7f800000, v85
                                        ; implicit-def: $vgpr85
	s_and_saveexec_b32 s4, vcc_lo
	s_xor_b32 s4, exec_lo, s4
; %bb.21:
	v_bfe_u32 v85, v86, 16, 1
	s_delay_alu instid0(VALU_DEP_1)
	v_add3_u32 v85, v86, v85, 0x7fff
                                        ; implicit-def: $vgpr86
; %bb.22:
	s_and_not1_saveexec_b32 s4, s4
; %bb.23:
	v_and_b32_e32 v85, 0xffff, v86
	v_or_b32_e32 v90, 0x10000, v86
	s_delay_alu instid0(VALU_DEP_2) | instskip(NEXT) | instid1(VALU_DEP_2)
	v_cmp_eq_u32_e32 vcc_lo, 0, v85
	v_cndmask_b32_e32 v85, v90, v86, vcc_lo
; %bb.24:
	s_or_b32 exec_lo, exec_lo, s4
	v_and_b32_e32 v86, 0x7f800000, v89
	s_delay_alu instid0(VALU_DEP_1) | instskip(SKIP_1) | instid1(SALU_CYCLE_1)
	v_cmp_ne_u32_e32 vcc_lo, 0x7f800000, v86
                                        ; implicit-def: $vgpr86
	s_and_saveexec_b32 s4, vcc_lo
	s_xor_b32 s4, exec_lo, s4
; %bb.25:
	v_bfe_u32 v86, v89, 16, 1
	s_delay_alu instid0(VALU_DEP_1)
	v_add3_u32 v86, v89, v86, 0x7fff
                                        ; implicit-def: $vgpr89
; %bb.26:
	s_and_not1_saveexec_b32 s4, s4
; %bb.27:
	v_and_b32_e32 v86, 0xffff, v89
	v_or_b32_e32 v90, 0x10000, v89
	s_delay_alu instid0(VALU_DEP_2) | instskip(NEXT) | instid1(VALU_DEP_2)
	v_cmp_eq_u32_e32 vcc_lo, 0, v86
	v_cndmask_b32_e32 v86, v90, v89, vcc_lo
; %bb.28:
	s_or_b32 exec_lo, exec_lo, s4
	v_and_b32_e32 v89, 0x7f800000, v88
	s_delay_alu instid0(VALU_DEP_1) | instskip(SKIP_1) | instid1(SALU_CYCLE_1)
	v_cmp_ne_u32_e32 vcc_lo, 0x7f800000, v89
                                        ; implicit-def: $vgpr89
	s_and_saveexec_b32 s4, vcc_lo
	s_xor_b32 s4, exec_lo, s4
; %bb.29:
	v_bfe_u32 v89, v88, 16, 1
	s_delay_alu instid0(VALU_DEP_1)
	v_add3_u32 v89, v88, v89, 0x7fff
                                        ; implicit-def: $vgpr88
; %bb.30:
	s_and_not1_saveexec_b32 s4, s4
; %bb.31:
	v_and_b32_e32 v89, 0xffff, v88
	v_or_b32_e32 v90, 0x10000, v88
	s_delay_alu instid0(VALU_DEP_2) | instskip(NEXT) | instid1(VALU_DEP_2)
	v_cmp_eq_u32_e32 vcc_lo, 0, v89
	v_cndmask_b32_e32 v89, v90, v88, vcc_lo
; %bb.32:
	s_or_b32 exec_lo, exec_lo, s4
	v_and_b32_e32 v88, 0x7f800000, v87
	s_delay_alu instid0(VALU_DEP_1) | instskip(SKIP_1) | instid1(SALU_CYCLE_1)
	v_cmp_ne_u32_e32 vcc_lo, 0x7f800000, v88
                                        ; implicit-def: $vgpr88
	s_and_saveexec_b32 s4, vcc_lo
	s_xor_b32 s4, exec_lo, s4
; %bb.33:
	v_bfe_u32 v88, v87, 16, 1
	s_delay_alu instid0(VALU_DEP_1)
	v_add3_u32 v88, v87, v88, 0x7fff
                                        ; implicit-def: $vgpr87
; %bb.34:
	s_and_not1_saveexec_b32 s4, s4
; %bb.35:
	v_and_b32_e32 v88, 0xffff, v87
	v_or_b32_e32 v90, 0x10000, v87
	s_delay_alu instid0(VALU_DEP_2) | instskip(NEXT) | instid1(VALU_DEP_2)
	v_cmp_eq_u32_e32 vcc_lo, 0, v88
	v_cndmask_b32_e32 v88, v90, v87, vcc_lo
; %bb.36:
	s_or_b32 exec_lo, exec_lo, s4
	v_and_b32_e32 v87, 0x7f800000, v84
	s_delay_alu instid0(VALU_DEP_1) | instskip(SKIP_1) | instid1(SALU_CYCLE_1)
	v_cmp_ne_u32_e32 vcc_lo, 0x7f800000, v87
                                        ; implicit-def: $vgpr87
	s_and_saveexec_b32 s4, vcc_lo
	s_xor_b32 s4, exec_lo, s4
; %bb.37:
	v_bfe_u32 v87, v84, 16, 1
	s_delay_alu instid0(VALU_DEP_1)
	v_add3_u32 v87, v84, v87, 0x7fff
                                        ; implicit-def: $vgpr84
; %bb.38:
	s_and_not1_saveexec_b32 s4, s4
; %bb.39:
	v_and_b32_e32 v87, 0xffff, v84
	v_or_b32_e32 v90, 0x10000, v84
	s_delay_alu instid0(VALU_DEP_2) | instskip(NEXT) | instid1(VALU_DEP_2)
	v_cmp_eq_u32_e32 vcc_lo, 0, v87
	v_cndmask_b32_e32 v87, v90, v84, vcc_lo
; %bb.40:
	s_or_b32 exec_lo, exec_lo, s4
	v_and_b32_e32 v84, 0x7f800000, v80
	s_delay_alu instid0(VALU_DEP_1) | instskip(SKIP_1) | instid1(SALU_CYCLE_1)
	v_cmp_ne_u32_e32 vcc_lo, 0x7f800000, v84
                                        ; implicit-def: $vgpr84
	s_and_saveexec_b32 s4, vcc_lo
	s_xor_b32 s4, exec_lo, s4
; %bb.41:
	v_bfe_u32 v84, v80, 16, 1
	s_delay_alu instid0(VALU_DEP_1)
	v_add3_u32 v84, v80, v84, 0x7fff
                                        ; implicit-def: $vgpr80
; %bb.42:
	s_and_not1_saveexec_b32 s4, s4
; %bb.43:
	v_and_b32_e32 v84, 0xffff, v80
	v_or_b32_e32 v90, 0x10000, v80
	s_delay_alu instid0(VALU_DEP_2) | instskip(NEXT) | instid1(VALU_DEP_2)
	v_cmp_eq_u32_e32 vcc_lo, 0, v84
	v_cndmask_b32_e32 v84, v90, v80, vcc_lo
; %bb.44:
	s_or_b32 exec_lo, exec_lo, s4
	s_load_b64 s[36:37], s[0:1], 0x94
	v_lshlrev_b32_e32 v91, 4, v74
	s_delay_alu instid0(VALU_DEP_2)
	v_perm_b32 v90, v84, v87, 0x7060302
	v_dual_mul_f32 v79, v82, v79 :: v_dual_lshlrev_b32 v80, 6, v65
	v_dual_mul_f32 v77, v82, v77 :: v_dual_lshlrev_b32 v92, 11, v66
	v_mul_f32_e32 v84, v82, v70
	v_perm_b32 v89, v88, v89, 0x7060302
	v_perm_b32 v88, v86, v85, 0x7060302
	;; [unrolled: 1-line block ×3, first 2 shown]
	v_mul_f32_e32 v70, v82, v81
	v_or3_b32 v76, v91, v92, v80
	v_dual_mul_f32 v78, v82, v78 :: v_dual_and_b32 v85, 0x7f800000, v84
	v_mul_f32_e32 v83, v82, v72
	v_mul_f32_e32 v81, v82, v71
	;; [unrolled: 1-line block ×3, first 2 shown]
	s_mov_b32 s4, exec_lo
	ds_store_b128 v76, v[87:90]
                                        ; implicit-def: $vgpr69
	v_cmpx_ne_u32_e32 0x7f800000, v85
	s_xor_b32 s4, exec_lo, s4
; %bb.45:
	v_bfe_u32 v69, v84, 16, 1
	s_delay_alu instid0(VALU_DEP_1)
	v_add3_u32 v69, v84, v69, 0x7fff
                                        ; implicit-def: $vgpr84
; %bb.46:
	s_and_not1_saveexec_b32 s4, s4
; %bb.47:
	v_and_b32_e32 v69, 0xffff, v84
	v_or_b32_e32 v71, 0x10000, v84
	s_delay_alu instid0(VALU_DEP_2) | instskip(NEXT) | instid1(VALU_DEP_2)
	v_cmp_eq_u32_e32 vcc_lo, 0, v69
	v_cndmask_b32_e32 v69, v71, v84, vcc_lo
; %bb.48:
	s_or_b32 exec_lo, exec_lo, s4
	v_and_b32_e32 v71, 0x7f800000, v72
	s_delay_alu instid0(VALU_DEP_1) | instskip(SKIP_1) | instid1(SALU_CYCLE_1)
	v_cmp_ne_u32_e32 vcc_lo, 0x7f800000, v71
                                        ; implicit-def: $vgpr71
	s_and_saveexec_b32 s4, vcc_lo
	s_xor_b32 s4, exec_lo, s4
; %bb.49:
	v_bfe_u32 v71, v72, 16, 1
	s_delay_alu instid0(VALU_DEP_1)
	v_add3_u32 v71, v72, v71, 0x7fff
                                        ; implicit-def: $vgpr72
; %bb.50:
	s_and_not1_saveexec_b32 s4, s4
; %bb.51:
	v_and_b32_e32 v71, 0xffff, v72
	v_or_b32_e32 v82, 0x10000, v72
	s_delay_alu instid0(VALU_DEP_2) | instskip(NEXT) | instid1(VALU_DEP_2)
	v_cmp_eq_u32_e32 vcc_lo, 0, v71
	v_cndmask_b32_e32 v71, v82, v72, vcc_lo
; %bb.52:
	s_or_b32 exec_lo, exec_lo, s4
	v_and_b32_e32 v72, 0x7f800000, v81
	s_delay_alu instid0(VALU_DEP_1) | instskip(SKIP_1) | instid1(SALU_CYCLE_1)
	v_cmp_ne_u32_e32 vcc_lo, 0x7f800000, v72
                                        ; implicit-def: $vgpr72
	s_and_saveexec_b32 s4, vcc_lo
	s_xor_b32 s4, exec_lo, s4
; %bb.53:
	v_bfe_u32 v72, v81, 16, 1
	s_delay_alu instid0(VALU_DEP_1)
	v_add3_u32 v72, v81, v72, 0x7fff
                                        ; implicit-def: $vgpr81
; %bb.54:
	s_and_not1_saveexec_b32 s4, s4
; %bb.55:
	v_and_b32_e32 v72, 0xffff, v81
	v_or_b32_e32 v82, 0x10000, v81
	s_delay_alu instid0(VALU_DEP_2) | instskip(NEXT) | instid1(VALU_DEP_2)
	v_cmp_eq_u32_e32 vcc_lo, 0, v72
	v_cndmask_b32_e32 v72, v82, v81, vcc_lo
; %bb.56:
	s_or_b32 exec_lo, exec_lo, s4
	v_and_b32_e32 v81, 0x7f800000, v83
	s_delay_alu instid0(VALU_DEP_1) | instskip(SKIP_1) | instid1(SALU_CYCLE_1)
	v_cmp_ne_u32_e32 vcc_lo, 0x7f800000, v81
                                        ; implicit-def: $vgpr81
	s_and_saveexec_b32 s4, vcc_lo
	s_xor_b32 s4, exec_lo, s4
; %bb.57:
	v_bfe_u32 v81, v83, 16, 1
	s_delay_alu instid0(VALU_DEP_1)
	v_add3_u32 v81, v83, v81, 0x7fff
                                        ; implicit-def: $vgpr83
; %bb.58:
	s_and_not1_saveexec_b32 s4, s4
; %bb.59:
	v_and_b32_e32 v81, 0xffff, v83
	v_or_b32_e32 v82, 0x10000, v83
	s_delay_alu instid0(VALU_DEP_2) | instskip(NEXT) | instid1(VALU_DEP_2)
	v_cmp_eq_u32_e32 vcc_lo, 0, v81
	v_cndmask_b32_e32 v81, v82, v83, vcc_lo
; %bb.60:
	s_or_b32 exec_lo, exec_lo, s4
	v_and_b32_e32 v82, 0x7f800000, v77
	s_delay_alu instid0(VALU_DEP_1) | instskip(SKIP_1) | instid1(SALU_CYCLE_1)
	v_cmp_ne_u32_e32 vcc_lo, 0x7f800000, v82
                                        ; implicit-def: $vgpr82
	s_and_saveexec_b32 s4, vcc_lo
	s_xor_b32 s4, exec_lo, s4
; %bb.61:
	v_bfe_u32 v82, v77, 16, 1
	s_delay_alu instid0(VALU_DEP_1)
	v_add3_u32 v82, v77, v82, 0x7fff
                                        ; implicit-def: $vgpr77
; %bb.62:
	s_and_not1_saveexec_b32 s4, s4
; %bb.63:
	v_and_b32_e32 v82, 0xffff, v77
	v_or_b32_e32 v83, 0x10000, v77
	s_delay_alu instid0(VALU_DEP_2) | instskip(NEXT) | instid1(VALU_DEP_2)
	v_cmp_eq_u32_e32 vcc_lo, 0, v82
	v_cndmask_b32_e32 v82, v83, v77, vcc_lo
; %bb.64:
	s_or_b32 exec_lo, exec_lo, s4
	v_and_b32_e32 v77, 0x7f800000, v78
	s_delay_alu instid0(VALU_DEP_1) | instskip(SKIP_1) | instid1(SALU_CYCLE_1)
	v_cmp_ne_u32_e32 vcc_lo, 0x7f800000, v77
                                        ; implicit-def: $vgpr77
	s_and_saveexec_b32 s4, vcc_lo
	s_xor_b32 s4, exec_lo, s4
; %bb.65:
	v_bfe_u32 v77, v78, 16, 1
	s_delay_alu instid0(VALU_DEP_1)
	v_add3_u32 v77, v78, v77, 0x7fff
                                        ; implicit-def: $vgpr78
; %bb.66:
	s_and_not1_saveexec_b32 s4, s4
; %bb.67:
	v_and_b32_e32 v77, 0xffff, v78
	v_or_b32_e32 v83, 0x10000, v78
	s_delay_alu instid0(VALU_DEP_2) | instskip(NEXT) | instid1(VALU_DEP_2)
	v_cmp_eq_u32_e32 vcc_lo, 0, v77
	v_cndmask_b32_e32 v77, v83, v78, vcc_lo
; %bb.68:
	s_or_b32 exec_lo, exec_lo, s4
	v_and_b32_e32 v78, 0x7f800000, v79
	s_delay_alu instid0(VALU_DEP_1) | instskip(SKIP_1) | instid1(SALU_CYCLE_1)
	v_cmp_ne_u32_e32 vcc_lo, 0x7f800000, v78
                                        ; implicit-def: $vgpr78
	s_and_saveexec_b32 s4, vcc_lo
	s_xor_b32 s4, exec_lo, s4
; %bb.69:
	v_bfe_u32 v78, v79, 16, 1
	s_delay_alu instid0(VALU_DEP_1)
	v_add3_u32 v78, v79, v78, 0x7fff
                                        ; implicit-def: $vgpr79
; %bb.70:
	s_and_not1_saveexec_b32 s4, s4
; %bb.71:
	v_and_b32_e32 v78, 0xffff, v79
	v_or_b32_e32 v83, 0x10000, v79
	s_delay_alu instid0(VALU_DEP_2) | instskip(NEXT) | instid1(VALU_DEP_2)
	v_cmp_eq_u32_e32 vcc_lo, 0, v78
	v_cndmask_b32_e32 v78, v83, v79, vcc_lo
; %bb.72:
	s_or_b32 exec_lo, exec_lo, s4
	v_and_b32_e32 v79, 0x7f800000, v70
	s_delay_alu instid0(VALU_DEP_1) | instskip(SKIP_1) | instid1(SALU_CYCLE_1)
	v_cmp_ne_u32_e32 vcc_lo, 0x7f800000, v79
                                        ; implicit-def: $vgpr79
	s_and_saveexec_b32 s4, vcc_lo
	s_xor_b32 s4, exec_lo, s4
; %bb.73:
	v_bfe_u32 v79, v70, 16, 1
	s_delay_alu instid0(VALU_DEP_1)
	v_add3_u32 v79, v70, v79, 0x7fff
                                        ; implicit-def: $vgpr70
; %bb.74:
	s_and_not1_saveexec_b32 s4, s4
; %bb.75:
	v_and_b32_e32 v79, 0xffff, v70
	v_or_b32_e32 v83, 0x10000, v70
	s_delay_alu instid0(VALU_DEP_2) | instskip(NEXT) | instid1(VALU_DEP_2)
	v_cmp_eq_u32_e32 vcc_lo, 0, v79
	v_cndmask_b32_e32 v79, v83, v70, vcc_lo
; %bb.76:
	s_or_b32 exec_lo, exec_lo, s4
	s_delay_alu instid0(VALU_DEP_1)
	v_perm_b32 v86, v79, v78, 0x7060302
	v_perm_b32 v85, v77, v82, 0x7060302
	;; [unrolled: 1-line block ×4, first 2 shown]
	v_lshl_or_b32 v82, v66, 11, v80
	ds_store_b128 v76, v[83:86] offset:1024
	s_waitcnt lgkmcnt(0)
	s_barrier
	buffer_gl0_inv
	ds_load_b128 v[69:72], v82
	ds_load_b128 v[83:86], v82 offset:16
	s_waitcnt lgkmcnt(1)
	v_lshrrev_b32_e32 v66, 16, v69
	s_waitcnt lgkmcnt(0)
	v_lshrrev_b32_e32 v91, 16, v83
	v_lshlrev_b32_e32 v78, 2, v74
	v_lshrrev_b32_e32 v95, 16, v70
	v_lshrrev_b32_e32 v98, 16, v84
	;; [unrolled: 1-line block ×4, first 2 shown]
	v_cmp_eq_u32_e32 vcc_lo, 1, v78
	v_lshrrev_b32_e32 v97, 16, v72
	v_lshrrev_b32_e32 v100, 16, v86
	v_cndmask_b32_e32 v87, v83, v91, vcc_lo
	v_or_b32_e32 v79, 1, v78
	v_cndmask_b32_e32 v81, v69, v66, vcc_lo
	v_cmp_eq_u32_e64 s5, 2, v78
	v_cmp_eq_u32_e64 s8, 3, v78
	;; [unrolled: 1-line block ×5, first 2 shown]
	v_cndmask_b32_e64 v81, v81, v70, s5
	v_cndmask_b32_e64 v87, v87, v84, s5
	v_cmp_eq_u32_e64 s9, 3, v79
	v_cndmask_b32_e64 v88, v69, v66, s4
	v_or_b32_e32 v77, 2, v78
	v_cndmask_b32_e64 v81, v81, v95, s8
	v_cndmask_b32_e64 v87, v87, v98, s8
	;; [unrolled: 1-line block ×4, first 2 shown]
	v_cmp_eq_u32_e64 s11, 5, v78
	v_cndmask_b32_e64 v81, v81, v71, s10
	v_cndmask_b32_e64 v87, v87, v85, s10
	v_cmp_eq_u32_e64 s12, 4, v79
	v_cndmask_b32_e64 v88, v88, v95, s9
	v_cmp_eq_u32_e64 s6, 1, v77
	v_cndmask_b32_e64 v89, v89, v84, s7
	v_cndmask_b32_e64 v81, v81, v96, s11
	v_cmp_eq_u32_e64 s13, 6, v78
	v_cndmask_b32_e64 v88, v88, v71, s12
	v_cndmask_b32_e64 v87, v87, v99, s11
	v_cmp_eq_u32_e64 s15, 5, v79
	v_cndmask_b32_e64 v90, v69, v66, s6
	v_cndmask_b32_e64 v89, v89, v98, s9
	v_cndmask_b32_e64 v81, v81, v72, s13
	v_cmp_eq_u32_e64 s16, 7, v78
	v_cndmask_b32_e64 v88, v88, v96, s15
	v_cndmask_b32_e64 v87, v87, v86, s13
	v_cmp_eq_u32_e64 s17, 6, v79
	v_cmp_eq_u32_e64 s18, 2, v77
	v_cndmask_b32_e64 v89, v89, v85, s12
	v_cndmask_b32_e64 v101, v81, v97, s16
	;; [unrolled: 1-line block ×6, first 2 shown]
	v_cmp_eq_u32_e64 s19, 7, v79
	v_cmp_eq_u32_e64 s20, 3, v77
	;; [unrolled: 1-line block ×4, first 2 shown]
	v_cndmask_b32_e64 v87, v87, v84, s18
	v_cndmask_b32_e64 v103, v88, v97, s19
	;; [unrolled: 1-line block ×4, first 2 shown]
	v_or_b32_e32 v81, 3, v78
	v_cndmask_b32_e64 v93, v87, v98, s20
	v_cmp_eq_u32_e64 s25, 6, v77
	v_cndmask_b32_e64 v104, v88, v86, s17
	v_cndmask_b32_e64 v92, v89, v71, s21
	v_cmp_eq_u32_e64 s22, 1, v81
	ds_load_b128 v[87:90], v82 offset:1024
	v_cmp_eq_u32_e64 s24, 2, v81
	v_cmp_eq_u32_e64 s26, 3, v81
	v_cndmask_b32_e64 v105, v92, v96, s23
	v_cndmask_b32_e64 v66, v69, v66, s22
	;; [unrolled: 1-line block ×4, first 2 shown]
	ds_load_b128 v[91:94], v82 offset:1040
	v_cmp_eq_u32_e64 s27, 4, v81
	v_cndmask_b32_e64 v66, v66, v70, s24
	v_cmp_eq_u32_e64 s28, 7, v77
	v_cndmask_b32_e64 v70, v83, v84, s24
	v_cndmask_b32_e64 v84, v105, v72, s25
	v_cmp_eq_u32_e64 s29, 5, v81
	v_cndmask_b32_e64 v66, v66, v95, s26
	v_cmp_eq_u32_e64 s30, 6, v81
	v_cndmask_b32_e64 v70, v70, v98, s26
	v_cndmask_b32_e64 v69, v69, v99, s23
	v_cndmask_b32_e64 v83, v104, v100, s19
	v_cndmask_b32_e64 v66, v66, v71, s27
	s_waitcnt lgkmcnt(1)
	v_lshrrev_b32_e32 v95, 16, v87
	v_cndmask_b32_e64 v70, v70, v85, s27
	v_cndmask_b32_e64 v71, v84, v97, s28
	v_cndmask_b32_e64 v69, v69, v86, s25
	v_cndmask_b32_e64 v66, v66, v96, s29
	v_cndmask_b32_e32 v84, v87, v95, vcc_lo
	v_cndmask_b32_e64 v70, v70, v99, s29
	s_waitcnt lgkmcnt(0)
	v_lshrrev_b32_e32 v85, 16, v91
	v_lshrrev_b32_e32 v96, 16, v88
	v_cndmask_b32_e64 v98, v87, v95, s4
	v_cndmask_b32_e64 v84, v84, v88, s5
	;; [unrolled: 1-line block ×3, first 2 shown]
	v_cndmask_b32_e32 v99, v91, v85, vcc_lo
	v_cmp_eq_u32_e32 vcc_lo, 7, v81
	v_cndmask_b32_e64 v66, v66, v72, s30
	v_cndmask_b32_e64 v72, v84, v96, s8
	v_cndmask_b32_e64 v84, v98, v88, s7
	v_lshrrev_b32_e32 v98, 16, v92
	v_cndmask_b32_e32 v70, v70, v100, vcc_lo
	v_cndmask_b32_e64 v86, v99, v92, s5
	v_cndmask_b32_e64 v69, v69, v100, s28
	v_lshrrev_b32_e32 v100, 16, v93
	v_cndmask_b32_e64 v72, v72, v89, s10
	v_lshrrev_b32_e32 v99, 16, v89
	v_cndmask_b32_e64 v86, v86, v98, s8
	v_perm_b32 v71, v69, v71, 0x5040100
	v_cndmask_b32_e64 v84, v84, v96, s9
	s_delay_alu instid0(VALU_DEP_3) | instskip(NEXT) | instid1(VALU_DEP_2)
	v_cndmask_b32_e64 v86, v86, v93, s10
	v_cndmask_b32_e64 v84, v84, v89, s12
	s_delay_alu instid0(VALU_DEP_2) | instskip(NEXT) | instid1(VALU_DEP_1)
	v_cndmask_b32_e64 v86, v86, v100, s11
	v_cndmask_b32_e64 v69, v86, v94, s13
	;; [unrolled: 1-line block ×5, first 2 shown]
	s_delay_alu instid0(VALU_DEP_3) | instskip(NEXT) | instid1(VALU_DEP_3)
	v_cndmask_b32_e64 v86, v86, v88, s18
	v_cndmask_b32_e64 v87, v87, v88, s24
	s_delay_alu instid0(VALU_DEP_3) | instskip(NEXT) | instid1(VALU_DEP_3)
	v_cndmask_b32_e64 v88, v95, v92, s24
	v_cndmask_b32_e64 v86, v86, v96, s20
	;; [unrolled: 3-line block ×7, first 2 shown]
	s_delay_alu instid0(VALU_DEP_3) | instskip(SKIP_2) | instid1(VALU_DEP_2)
	v_cndmask_b32_e64 v88, v88, v94, s30
	v_cndmask_b32_e32 v66, v66, v97, vcc_lo
	v_cndmask_b32_e64 v97, v72, v99, s11
	v_perm_b32 v72, v70, v66, 0x5040100
	v_perm_b32 v70, v83, v103, 0x5040100
	v_cndmask_b32_e64 v103, v91, v85, s6
	v_cndmask_b32_e64 v85, v91, v85, s4
	;; [unrolled: 1-line block ×4, first 2 shown]
	v_lshrrev_b32_e32 v97, 16, v90
	v_cndmask_b32_e64 v91, v103, v92, s18
	v_cndmask_b32_e64 v85, v85, v92, s7
	;; [unrolled: 1-line block ×3, first 2 shown]
	s_mov_b32 s4, exec_lo
	v_cndmask_b32_e64 v83, v84, v97, s16
	v_cndmask_b32_e64 v91, v91, v98, s20
	;; [unrolled: 1-line block ×3, first 2 shown]
	v_lshrrev_b32_e32 v84, 16, v94
	v_cndmask_b32_e64 v66, v66, v97, s19
	v_cndmask_b32_e64 v90, v86, v97, s28
	v_cndmask_b32_e64 v89, v91, v93, s21
	v_cndmask_b32_e64 v85, v85, v93, s12
	v_dual_cndmask_b32 v86, v87, v97 :: v_dual_cndmask_b32 v87, v88, v84
	v_cndmask_b32_e64 v91, v69, v84, s16
	s_delay_alu instid0(VALU_DEP_4) | instskip(NEXT) | instid1(VALU_DEP_4)
	v_cndmask_b32_e64 v89, v89, v100, s23
	v_cndmask_b32_e64 v85, v85, v100, s15
	v_perm_b32 v69, v102, v101, 0x5040100
	v_perm_b32 v86, v87, v86, 0x5040100
	;; [unrolled: 1-line block ×3, first 2 shown]
	v_cndmask_b32_e64 v89, v89, v94, s25
	v_cndmask_b32_e64 v85, v85, v94, s17
	s_mul_i32 s9, s37, 9
	s_delay_alu instid0(VALU_DEP_2) | instskip(NEXT) | instid1(VALU_DEP_2)
	v_cndmask_b32_e64 v88, v89, v84, s28
	v_cndmask_b32_e64 v89, v85, v84, s19
	s_delay_alu instid0(VALU_DEP_2) | instskip(NEXT) | instid1(VALU_DEP_2)
	v_perm_b32 v85, v88, v90, 0x5040100
	v_perm_b32 v84, v89, v66, 0x5040100
	ds_store_b128 v76, v[69:72]
	ds_store_b128 v76, v[83:86] offset:1024
	v_cmpx_gt_u32_e32 9, v0
	s_cbranch_execz .LBB1750_78
; %bb.77:
	s_mul_i32 s5, s9, s34
	s_load_b128 s[16:19], s[0:1], 0x58
	v_add3_u32 v69, s5, s31, v65
	s_delay_alu instid0(VALU_DEP_1) | instskip(NEXT) | instid1(VALU_DEP_1)
	v_mad_u64_u32 v[65:66], null, v69, s36, s[14:15]
	v_ashrrev_i32_e32 v66, 31, v65
	s_delay_alu instid0(VALU_DEP_1) | instskip(SKIP_1) | instid1(VALU_DEP_1)
	v_lshlrev_b64 v[65:66], 2, v[65:66]
	s_waitcnt lgkmcnt(0)
	v_add_co_u32 v69, vcc_lo, s18, v65
	s_delay_alu instid0(VALU_DEP_2)
	v_add_co_ci_u32_e32 v70, vcc_lo, s19, v66, vcc_lo
	v_add_co_u32 v65, vcc_lo, s16, v65
	v_add_co_ci_u32_e32 v66, vcc_lo, s17, v66, vcc_lo
	global_store_b32 v[69:70], v67, off
	global_store_b32 v[65:66], v68, off
.LBB1750_78:
	s_or_b32 exec_lo, exec_lo, s4
	s_waitcnt lgkmcnt(0)
	s_waitcnt_vscnt null, 0x0
	s_barrier
	buffer_gl0_inv
	ds_load_b128 v[83:86], v80
	ds_load_b128 v[87:90], v80 offset:16
	ds_load_b128 v[95:98], v80 offset:2064
	;; [unrolled: 1-line block ×3, first 2 shown]
	v_mov_b32_e32 v65, 0
	ds_load_b128 v[103:106], v80 offset:4112
	ds_load_b128 v[99:102], v80 offset:4096
	;; [unrolled: 1-line block ×4, first 2 shown]
	v_mov_b32_e32 v66, v65
	v_mov_b32_e32 v67, v65
	v_mov_b32_e32 v68, v65
	v_mov_b32_e32 v69, v65
	v_mov_b32_e32 v70, v65
	v_mov_b32_e32 v71, v65
	v_mov_b32_e32 v72, v65
	s_waitcnt lgkmcnt(6)
	s_delay_alu instid0(VALU_DEP_1)
	v_wmma_f32_16x16x16_bf16 v[65:72], v[57:64], v[83:90], v[65:72]
	ds_load_b128 v[61:64], v80 offset:8208
	ds_load_b128 v[57:60], v80 offset:8192
	s_waitcnt lgkmcnt(6)
	v_wmma_f32_16x16x16_bf16 v[65:72], v[41:48], v[91:98], v[65:72]
	ds_load_b128 v[45:48], v80 offset:10256
	ds_load_b128 v[41:44], v80 offset:10240
	s_waitcnt lgkmcnt(6)
	;; [unrolled: 4-line block ×4, first 2 shown]
	v_wmma_f32_16x16x16_bf16 v[65:72], v[1:8], v[57:64], v[65:72]
	s_waitcnt lgkmcnt(4)
	s_delay_alu instid0(VALU_DEP_1) | instskip(SKIP_1) | instid1(VALU_DEP_1)
	v_wmma_f32_16x16x16_bf16 v[65:72], v[9:16], v[41:48], v[65:72]
	s_waitcnt lgkmcnt(2)
	v_wmma_f32_16x16x16_bf16 v[65:72], v[17:24], v[33:40], v[65:72]
	s_waitcnt lgkmcnt(0)
	s_delay_alu instid0(VALU_DEP_1) | instskip(NEXT) | instid1(VALU_DEP_1)
	v_wmma_f32_16x16x16_bf16 v[65:72], v[49:56], v[25:32], v[65:72]
	v_and_b32_e32 v1, 0x7f800000, v65
	s_delay_alu instid0(VALU_DEP_1) | instskip(SKIP_1) | instid1(SALU_CYCLE_1)
	v_cmp_ne_u32_e32 vcc_lo, 0x7f800000, v1
                                        ; implicit-def: $vgpr1
	s_and_saveexec_b32 s4, vcc_lo
	s_xor_b32 s4, exec_lo, s4
; %bb.79:
	v_bfe_u32 v1, v65, 16, 1
	s_delay_alu instid0(VALU_DEP_1)
	v_add3_u32 v1, v65, v1, 0x7fff
; %bb.80:
	s_and_not1_saveexec_b32 s4, s4
; %bb.81:
	v_and_b32_e32 v1, 0xffff, v65
	v_or_b32_e32 v2, 0x10000, v65
	s_delay_alu instid0(VALU_DEP_2) | instskip(NEXT) | instid1(VALU_DEP_2)
	v_cmp_eq_u32_e32 vcc_lo, 0, v1
	v_cndmask_b32_e32 v1, v2, v65, vcc_lo
; %bb.82:
	s_or_b32 exec_lo, exec_lo, s4
	v_and_b32_e32 v2, 0x7f800000, v66
	s_delay_alu instid0(VALU_DEP_1) | instskip(SKIP_1) | instid1(SALU_CYCLE_1)
	v_cmp_ne_u32_e32 vcc_lo, 0x7f800000, v2
                                        ; implicit-def: $vgpr2
	s_and_saveexec_b32 s4, vcc_lo
	s_xor_b32 s4, exec_lo, s4
; %bb.83:
	v_bfe_u32 v2, v66, 16, 1
	s_delay_alu instid0(VALU_DEP_1)
	v_add3_u32 v2, v66, v2, 0x7fff
; %bb.84:
	s_and_not1_saveexec_b32 s4, s4
; %bb.85:
	v_and_b32_e32 v2, 0xffff, v66
	v_or_b32_e32 v3, 0x10000, v66
	s_delay_alu instid0(VALU_DEP_2) | instskip(NEXT) | instid1(VALU_DEP_2)
	v_cmp_eq_u32_e32 vcc_lo, 0, v2
	v_cndmask_b32_e32 v2, v3, v66, vcc_lo
; %bb.86:
	s_or_b32 exec_lo, exec_lo, s4
	v_and_b32_e32 v3, 0x7f800000, v67
	s_delay_alu instid0(VALU_DEP_1) | instskip(SKIP_1) | instid1(SALU_CYCLE_1)
	v_cmp_ne_u32_e32 vcc_lo, 0x7f800000, v3
                                        ; implicit-def: $vgpr3
	s_and_saveexec_b32 s4, vcc_lo
	s_xor_b32 s4, exec_lo, s4
; %bb.87:
	v_bfe_u32 v3, v67, 16, 1
	s_delay_alu instid0(VALU_DEP_1)
	v_add3_u32 v3, v67, v3, 0x7fff
; %bb.88:
	s_and_not1_saveexec_b32 s4, s4
; %bb.89:
	v_and_b32_e32 v3, 0xffff, v67
	v_or_b32_e32 v4, 0x10000, v67
	s_delay_alu instid0(VALU_DEP_2) | instskip(NEXT) | instid1(VALU_DEP_2)
	v_cmp_eq_u32_e32 vcc_lo, 0, v3
	v_cndmask_b32_e32 v3, v4, v67, vcc_lo
; %bb.90:
	s_or_b32 exec_lo, exec_lo, s4
	v_and_b32_e32 v4, 0x7f800000, v68
	s_delay_alu instid0(VALU_DEP_1) | instskip(SKIP_1) | instid1(SALU_CYCLE_1)
	v_cmp_ne_u32_e32 vcc_lo, 0x7f800000, v4
                                        ; implicit-def: $vgpr4
	s_and_saveexec_b32 s4, vcc_lo
	s_xor_b32 s4, exec_lo, s4
; %bb.91:
	v_bfe_u32 v4, v68, 16, 1
	s_delay_alu instid0(VALU_DEP_1)
	v_add3_u32 v4, v68, v4, 0x7fff
; %bb.92:
	s_and_not1_saveexec_b32 s4, s4
; %bb.93:
	v_and_b32_e32 v4, 0xffff, v68
	v_or_b32_e32 v5, 0x10000, v68
	s_delay_alu instid0(VALU_DEP_2) | instskip(NEXT) | instid1(VALU_DEP_2)
	v_cmp_eq_u32_e32 vcc_lo, 0, v4
	v_cndmask_b32_e32 v4, v5, v68, vcc_lo
; %bb.94:
	s_or_b32 exec_lo, exec_lo, s4
	v_and_b32_e32 v5, 0x7f800000, v69
	s_delay_alu instid0(VALU_DEP_1) | instskip(SKIP_1) | instid1(SALU_CYCLE_1)
	v_cmp_ne_u32_e32 vcc_lo, 0x7f800000, v5
                                        ; implicit-def: $vgpr5
	s_and_saveexec_b32 s4, vcc_lo
	s_xor_b32 s4, exec_lo, s4
; %bb.95:
	v_bfe_u32 v5, v69, 16, 1
	s_delay_alu instid0(VALU_DEP_1)
	v_add3_u32 v5, v69, v5, 0x7fff
; %bb.96:
	s_and_not1_saveexec_b32 s4, s4
; %bb.97:
	v_and_b32_e32 v5, 0xffff, v69
	v_or_b32_e32 v6, 0x10000, v69
	s_delay_alu instid0(VALU_DEP_2) | instskip(NEXT) | instid1(VALU_DEP_2)
	v_cmp_eq_u32_e32 vcc_lo, 0, v5
	v_cndmask_b32_e32 v5, v6, v69, vcc_lo
; %bb.98:
	s_or_b32 exec_lo, exec_lo, s4
	v_and_b32_e32 v6, 0x7f800000, v70
	s_delay_alu instid0(VALU_DEP_1) | instskip(SKIP_1) | instid1(SALU_CYCLE_1)
	v_cmp_ne_u32_e32 vcc_lo, 0x7f800000, v6
                                        ; implicit-def: $vgpr6
	s_and_saveexec_b32 s4, vcc_lo
	s_xor_b32 s4, exec_lo, s4
; %bb.99:
	v_bfe_u32 v6, v70, 16, 1
	s_delay_alu instid0(VALU_DEP_1)
	v_add3_u32 v6, v70, v6, 0x7fff
; %bb.100:
	s_and_not1_saveexec_b32 s4, s4
; %bb.101:
	v_and_b32_e32 v6, 0xffff, v70
	v_or_b32_e32 v7, 0x10000, v70
	s_delay_alu instid0(VALU_DEP_2) | instskip(NEXT) | instid1(VALU_DEP_2)
	v_cmp_eq_u32_e32 vcc_lo, 0, v6
	v_cndmask_b32_e32 v6, v7, v70, vcc_lo
; %bb.102:
	s_or_b32 exec_lo, exec_lo, s4
	v_and_b32_e32 v7, 0x7f800000, v71
	s_delay_alu instid0(VALU_DEP_1) | instskip(SKIP_1) | instid1(SALU_CYCLE_1)
	v_cmp_ne_u32_e32 vcc_lo, 0x7f800000, v7
                                        ; implicit-def: $vgpr7
	s_and_saveexec_b32 s4, vcc_lo
	s_xor_b32 s4, exec_lo, s4
; %bb.103:
	v_bfe_u32 v7, v71, 16, 1
	s_delay_alu instid0(VALU_DEP_1)
	v_add3_u32 v7, v71, v7, 0x7fff
; %bb.104:
	s_and_not1_saveexec_b32 s4, s4
; %bb.105:
	v_and_b32_e32 v7, 0xffff, v71
	v_or_b32_e32 v8, 0x10000, v71
	s_delay_alu instid0(VALU_DEP_2) | instskip(NEXT) | instid1(VALU_DEP_2)
	v_cmp_eq_u32_e32 vcc_lo, 0, v7
	v_cndmask_b32_e32 v7, v8, v71, vcc_lo
; %bb.106:
	s_or_b32 exec_lo, exec_lo, s4
	v_and_b32_e32 v8, 0x7f800000, v72
	s_delay_alu instid0(VALU_DEP_1) | instskip(SKIP_1) | instid1(SALU_CYCLE_1)
	v_cmp_ne_u32_e32 vcc_lo, 0x7f800000, v8
                                        ; implicit-def: $vgpr8
	s_and_saveexec_b32 s4, vcc_lo
	s_xor_b32 s4, exec_lo, s4
; %bb.107:
	v_bfe_u32 v8, v72, 16, 1
	s_delay_alu instid0(VALU_DEP_1)
	v_add3_u32 v8, v72, v8, 0x7fff
                                        ; implicit-def: $vgpr65_vgpr66_vgpr67_vgpr68_vgpr69_vgpr70_vgpr71_vgpr72
; %bb.108:
	s_and_not1_saveexec_b32 s4, s4
; %bb.109:
	v_and_b32_e32 v8, 0xffff, v72
	v_or_b32_e32 v9, 0x10000, v72
	s_delay_alu instid0(VALU_DEP_2) | instskip(NEXT) | instid1(VALU_DEP_2)
	v_cmp_eq_u32_e32 vcc_lo, 0, v8
	v_cndmask_b32_e32 v8, v9, v72, vcc_lo
; %bb.110:
	s_or_b32 exec_lo, exec_lo, s4
	s_delay_alu instid0(VALU_DEP_1)
	v_perm_b32 v7, v8, v7, 0x7060302
	v_perm_b32 v6, v6, v5, 0x7060302
	;; [unrolled: 1-line block ×4, first 2 shown]
	s_barrier
	buffer_gl0_inv
	v_cmp_eq_u32_e32 vcc_lo, 1, v78
	ds_store_b128 v76, v[4:7]
	s_waitcnt lgkmcnt(0)
	s_barrier
	buffer_gl0_inv
	ds_load_b128 v[1:4], v82
	ds_load_b128 v[5:8], v82 offset:16
	v_cmp_eq_u32_e64 s4, 1, v79
	v_cmp_eq_u32_e64 s5, 2, v78
	;; [unrolled: 1-line block ×5, first 2 shown]
	s_waitcnt lgkmcnt(1)
	v_lshrrev_b32_e32 v9, 16, v1
	s_waitcnt lgkmcnt(0)
	v_lshrrev_b32_e32 v13, 16, v5
	v_lshrrev_b32_e32 v10, 16, v2
	;; [unrolled: 1-line block ×4, first 2 shown]
	v_cndmask_b32_e64 v19, v1, v9, s4
	v_cndmask_b32_e32 v18, v5, v13, vcc_lo
	v_cndmask_b32_e64 v20, v5, v13, s4
	v_cndmask_b32_e32 v17, v1, v9, vcc_lo
	v_cmp_eq_u32_e32 vcc_lo, 2, v79
	v_lshrrev_b32_e32 v15, 16, v7
	v_cmp_eq_u32_e64 s4, 1, v77
	v_lshrrev_b32_e32 v12, 16, v4
	v_lshrrev_b32_e32 v16, 16, v8
	v_cndmask_b32_e32 v20, v20, v6, vcc_lo
	v_cndmask_b32_e64 v17, v17, v2, s5
	v_cndmask_b32_e32 v19, v19, v2, vcc_lo
	v_cndmask_b32_e64 v18, v18, v6, s5
	v_cmp_eq_u32_e32 vcc_lo, 4, v78
	v_cmp_eq_u32_e64 s5, 3, v79
	v_cndmask_b32_e64 v17, v17, v10, s6
	v_cndmask_b32_e64 v21, v1, v9, s4
	;; [unrolled: 1-line block ×5, first 2 shown]
	v_cndmask_b32_e32 v17, v17, v3, vcc_lo
	v_cndmask_b32_e64 v20, v20, v14, s5
	v_cndmask_b32_e32 v18, v18, v7, vcc_lo
	v_cmp_eq_u32_e32 vcc_lo, 4, v79
	v_cmp_eq_u32_e64 s5, 5, v79
	v_cmp_eq_u32_e64 s4, 2, v81
	v_cndmask_b32_e64 v21, v21, v2, s8
	v_cmp_eq_u32_e64 s6, 5, v78
	v_cndmask_b32_e32 v19, v19, v3, vcc_lo
	v_cndmask_b32_e32 v20, v20, v7, vcc_lo
	v_cmp_eq_u32_e32 vcc_lo, 6, v79
	s_delay_alu instid0(VALU_DEP_4) | instskip(NEXT) | instid1(VALU_DEP_4)
	v_cndmask_b32_e64 v17, v17, v11, s6
	v_cndmask_b32_e64 v19, v19, v11, s5
	s_delay_alu instid0(VALU_DEP_4) | instskip(SKIP_1) | instid1(VALU_DEP_3)
	v_cndmask_b32_e64 v20, v20, v15, s5
	v_cmp_eq_u32_e64 s5, 1, v81
	v_cndmask_b32_e32 v19, v19, v4, vcc_lo
	v_cndmask_b32_e64 v18, v18, v15, s6
	s_delay_alu instid0(VALU_DEP_3)
	v_cndmask_b32_e64 v1, v1, v9, s5
	v_cndmask_b32_e64 v5, v5, v13, s5
	v_cmp_eq_u32_e64 s5, 3, v77
	v_cndmask_b32_e64 v13, v22, v6, s8
	v_cmp_eq_u32_e64 s8, 3, v81
	v_cndmask_b32_e64 v1, v1, v2, s4
	v_cndmask_b32_e64 v2, v5, v6, s4
	;; [unrolled: 1-line block ×3, first 2 shown]
	v_cmp_eq_u32_e64 s4, 4, v77
	v_cndmask_b32_e64 v6, v13, v14, s5
	v_cndmask_b32_e64 v1, v1, v10, s8
	v_cmp_eq_u32_e64 s5, 4, v81
	v_cndmask_b32_e64 v2, v2, v14, s8
	v_cndmask_b32_e64 v5, v9, v3, s4
	;; [unrolled: 3-line block ×3, first 2 shown]
	v_cndmask_b32_e64 v2, v2, v7, s5
	v_cmp_eq_u32_e64 s4, 5, v81
	v_cmp_eq_u32_e64 s6, 6, v78
	v_cndmask_b32_e64 v5, v5, v11, s8
	v_cmp_eq_u32_e64 s5, 6, v77
	v_cndmask_b32_e64 v3, v6, v15, s8
	v_cndmask_b32_e64 v1, v1, v11, s4
	v_cmp_eq_u32_e64 s8, 6, v81
	v_cndmask_b32_e64 v2, v2, v15, s4
	v_cndmask_b32_e64 v17, v17, v4, s6
	v_cndmask_b32_e64 v18, v18, v8, s6
	v_cmp_eq_u32_e64 s6, 7, v78
	v_cndmask_b32_e64 v5, v5, v4, s5
	;; [unrolled: 4-line block ×3, first 2 shown]
	v_cmp_eq_u32_e64 s5, 7, v77
	v_cndmask_b32_e32 v4, v20, v8, vcc_lo
	v_cndmask_b32_e64 v17, v17, v12, s6
	v_cndmask_b32_e64 v19, v19, v12, s7
	;; [unrolled: 1-line block ×8, first 2 shown]
	v_cmp_gt_u32_e32 vcc_lo, 32, v0
	v_perm_b32 v4, v2, v1, 0x5040100
	v_perm_b32 v3, v3, v5, 0x5040100
	;; [unrolled: 1-line block ×4, first 2 shown]
	s_and_b32 s2, vcc_lo, s2
	ds_store_b128 v76, v[1:4]
	s_waitcnt lgkmcnt(0)
	s_barrier
	buffer_gl0_inv
	s_and_saveexec_b32 s4, s2
	s_cbranch_execz .LBB1750_2
; %bb.111:
	s_load_b64 s[4:5], s[0:1], 0x68
	v_lshlrev_b32_e32 v0, 10, v0
	v_lshlrev_b32_e32 v1, 4, v75
	s_lshl_b32 s0, s36, 6
	v_add_nc_u32_e32 v2, s31, v74
	s_mul_i32 s1, s0, s34
	s_delay_alu instid0(SALU_CYCLE_1) | instskip(SKIP_1) | instid1(VALU_DEP_2)
	s_mul_i32 s6, s1, s9
	v_and_or_b32 v0, 0x3800, v0, v1
	v_mul_lo_u32 v1, v2, s0
	s_ashr_i32 s7, s6, 31
	v_add_nc_u32_e32 v3, 2, v2
	s_lshl_b64 s[6:7], s[6:7], 1
	v_add_nc_u32_e32 v4, 4, v2
	v_add_nc_u32_e32 v5, 6, v2
	v_lshl_or_b32 v15, v74, 6, v0
	v_mul_lo_u32 v3, v3, s0
	v_ashrrev_i32_e32 v2, 31, v1
	v_mul_lo_u32 v19, v4, s0
	v_mul_lo_u32 v21, v5, s0
	s_waitcnt lgkmcnt(0)
	s_add_u32 s1, s4, s6
	s_addc_u32 s2, s5, s7
	s_lshl_b32 s4, s14, 6
	v_lshlrev_b64 v[5:6], 1, v[1:2]
	s_ashr_i32 s5, s4, 31
	v_ashrrev_i32_e32 v4, 31, v3
	s_lshl_b64 s[4:5], s[4:5], 1
	v_ashrrev_i32_e32 v20, 31, v19
	s_add_u32 s1, s1, s4
	s_addc_u32 s2, s2, s5
	v_add_co_u32 v1, s1, s1, v73
	s_delay_alu instid0(VALU_DEP_1) | instskip(SKIP_1) | instid1(VALU_DEP_3)
	v_add_co_ci_u32_e64 v2, null, s2, 0, s1
	v_lshlrev_b64 v[25:26], 1, v[3:4]
	v_add_co_u32 v23, vcc_lo, v1, v5
	s_delay_alu instid0(VALU_DEP_3)
	v_add_co_ci_u32_e32 v24, vcc_lo, v2, v6, vcc_lo
	ds_load_b128 v[3:6], v15
	ds_load_b128 v[7:10], v15 offset:128
	ds_load_b128 v[11:14], v15 offset:256
	;; [unrolled: 1-line block ×3, first 2 shown]
	v_ashrrev_i32_e32 v22, 31, v21
	v_lshlrev_b64 v[19:20], 1, v[19:20]
	v_add_co_u32 v25, vcc_lo, v1, v25
	v_add_co_ci_u32_e32 v26, vcc_lo, v2, v26, vcc_lo
	s_delay_alu instid0(VALU_DEP_4) | instskip(NEXT) | instid1(VALU_DEP_4)
	v_lshlrev_b64 v[21:22], 1, v[21:22]
	v_add_co_u32 v19, vcc_lo, v1, v19
	v_add_co_ci_u32_e32 v20, vcc_lo, v2, v20, vcc_lo
	s_delay_alu instid0(VALU_DEP_3) | instskip(NEXT) | instid1(VALU_DEP_4)
	v_add_co_u32 v21, vcc_lo, v1, v21
	v_add_co_ci_u32_e32 v22, vcc_lo, v2, v22, vcc_lo
	s_waitcnt lgkmcnt(3)
	global_store_b128 v[23:24], v[3:6], off
	s_waitcnt lgkmcnt(2)
	global_store_b128 v[25:26], v[7:10], off
	;; [unrolled: 2-line block ×4, first 2 shown]
	s_and_b32 exec_lo, exec_lo, s3
	s_cbranch_execz .LBB1750_2
; %bb.112:
	ds_load_b128 v[3:6], v0 offset:512
	s_add_i32 s1, s31, 8
	s_delay_alu instid0(SALU_CYCLE_1) | instskip(NEXT) | instid1(SALU_CYCLE_1)
	s_mul_i32 s0, s1, s0
	s_ashr_i32 s1, s0, 31
	s_delay_alu instid0(SALU_CYCLE_1) | instskip(NEXT) | instid1(SALU_CYCLE_1)
	s_lshl_b64 s[0:1], s[0:1], 1
	v_add_co_u32 v0, vcc_lo, v1, s0
	v_add_co_ci_u32_e32 v1, vcc_lo, s1, v2, vcc_lo
	s_waitcnt lgkmcnt(0)
	global_store_b128 v[0:1], v[3:6], off
	s_nop 0
	s_sendmsg sendmsg(MSG_DEALLOC_VGPRS)
	s_endpgm
	.section	.rodata,"a",@progbits
	.p2align	6, 0x0
	.amdhsa_kernel _Z39paged_attention_ll4mi_QKV_mfma16_kernelI14__hip_bfloat16hLN4vllm18Fp8KVCacheDataTypeE1EhLi32ELi64ELi256ELb0ELi9EL8MFMAType0EEvPKT_PKT0_S9_ifPKiSB_SB_iPKfiiiPfSE_PS4_PT2_iSD_SD_
		.amdhsa_group_segment_fixed_size 17472
		.amdhsa_private_segment_fixed_size 0
		.amdhsa_kernarg_size 400
		.amdhsa_user_sgpr_count 13
		.amdhsa_user_sgpr_dispatch_ptr 0
		.amdhsa_user_sgpr_queue_ptr 0
		.amdhsa_user_sgpr_kernarg_segment_ptr 1
		.amdhsa_user_sgpr_dispatch_id 0
		.amdhsa_user_sgpr_private_segment_size 0
		.amdhsa_wavefront_size32 1
		.amdhsa_uses_dynamic_stack 0
		.amdhsa_enable_private_segment 0
		.amdhsa_system_sgpr_workgroup_id_x 1
		.amdhsa_system_sgpr_workgroup_id_y 1
		.amdhsa_system_sgpr_workgroup_id_z 1
		.amdhsa_system_sgpr_workgroup_info 0
		.amdhsa_system_vgpr_workitem_id 0
		.amdhsa_next_free_vgpr 124
		.amdhsa_next_free_sgpr 42
		.amdhsa_reserve_vcc 1
		.amdhsa_float_round_mode_32 0
		.amdhsa_float_round_mode_16_64 0
		.amdhsa_float_denorm_mode_32 3
		.amdhsa_float_denorm_mode_16_64 3
		.amdhsa_dx10_clamp 1
		.amdhsa_ieee_mode 1
		.amdhsa_fp16_overflow 0
		.amdhsa_workgroup_processor_mode 1
		.amdhsa_memory_ordered 1
		.amdhsa_forward_progress 0
		.amdhsa_shared_vgpr_count 0
		.amdhsa_exception_fp_ieee_invalid_op 0
		.amdhsa_exception_fp_denorm_src 0
		.amdhsa_exception_fp_ieee_div_zero 0
		.amdhsa_exception_fp_ieee_overflow 0
		.amdhsa_exception_fp_ieee_underflow 0
		.amdhsa_exception_fp_ieee_inexact 0
		.amdhsa_exception_int_div_zero 0
	.end_amdhsa_kernel
	.section	.text._Z39paged_attention_ll4mi_QKV_mfma16_kernelI14__hip_bfloat16hLN4vllm18Fp8KVCacheDataTypeE1EhLi32ELi64ELi256ELb0ELi9EL8MFMAType0EEvPKT_PKT0_S9_ifPKiSB_SB_iPKfiiiPfSE_PS4_PT2_iSD_SD_,"axG",@progbits,_Z39paged_attention_ll4mi_QKV_mfma16_kernelI14__hip_bfloat16hLN4vllm18Fp8KVCacheDataTypeE1EhLi32ELi64ELi256ELb0ELi9EL8MFMAType0EEvPKT_PKT0_S9_ifPKiSB_SB_iPKfiiiPfSE_PS4_PT2_iSD_SD_,comdat
.Lfunc_end1750:
	.size	_Z39paged_attention_ll4mi_QKV_mfma16_kernelI14__hip_bfloat16hLN4vllm18Fp8KVCacheDataTypeE1EhLi32ELi64ELi256ELb0ELi9EL8MFMAType0EEvPKT_PKT0_S9_ifPKiSB_SB_iPKfiiiPfSE_PS4_PT2_iSD_SD_, .Lfunc_end1750-_Z39paged_attention_ll4mi_QKV_mfma16_kernelI14__hip_bfloat16hLN4vllm18Fp8KVCacheDataTypeE1EhLi32ELi64ELi256ELb0ELi9EL8MFMAType0EEvPKT_PKT0_S9_ifPKiSB_SB_iPKfiiiPfSE_PS4_PT2_iSD_SD_
                                        ; -- End function
	.section	.AMDGPU.csdata,"",@progbits
; Kernel info:
; codeLenInByte = 8856
; NumSgprs: 44
; NumVgprs: 124
; ScratchSize: 0
; MemoryBound: 0
; FloatMode: 240
; IeeeMode: 1
; LDSByteSize: 17472 bytes/workgroup (compile time only)
; SGPRBlocks: 5
; VGPRBlocks: 15
; NumSGPRsForWavesPerEU: 44
; NumVGPRsForWavesPerEU: 124
; Occupancy: 10
; WaveLimiterHint : 1
; COMPUTE_PGM_RSRC2:SCRATCH_EN: 0
; COMPUTE_PGM_RSRC2:USER_SGPR: 13
; COMPUTE_PGM_RSRC2:TRAP_HANDLER: 0
; COMPUTE_PGM_RSRC2:TGID_X_EN: 1
; COMPUTE_PGM_RSRC2:TGID_Y_EN: 1
; COMPUTE_PGM_RSRC2:TGID_Z_EN: 1
; COMPUTE_PGM_RSRC2:TIDIG_COMP_CNT: 0
	.section	.text._Z39paged_attention_ll4mi_QKV_mfma16_kernelI14__hip_bfloat16hLN4vllm18Fp8KVCacheDataTypeE1EhLi32ELi64ELi256ELb0ELi10EL8MFMAType0EEvPKT_PKT0_S9_ifPKiSB_SB_iPKfiiiPfSE_PS4_PT2_iSD_SD_,"axG",@progbits,_Z39paged_attention_ll4mi_QKV_mfma16_kernelI14__hip_bfloat16hLN4vllm18Fp8KVCacheDataTypeE1EhLi32ELi64ELi256ELb0ELi10EL8MFMAType0EEvPKT_PKT0_S9_ifPKiSB_SB_iPKfiiiPfSE_PS4_PT2_iSD_SD_,comdat
	.protected	_Z39paged_attention_ll4mi_QKV_mfma16_kernelI14__hip_bfloat16hLN4vllm18Fp8KVCacheDataTypeE1EhLi32ELi64ELi256ELb0ELi10EL8MFMAType0EEvPKT_PKT0_S9_ifPKiSB_SB_iPKfiiiPfSE_PS4_PT2_iSD_SD_ ; -- Begin function _Z39paged_attention_ll4mi_QKV_mfma16_kernelI14__hip_bfloat16hLN4vllm18Fp8KVCacheDataTypeE1EhLi32ELi64ELi256ELb0ELi10EL8MFMAType0EEvPKT_PKT0_S9_ifPKiSB_SB_iPKfiiiPfSE_PS4_PT2_iSD_SD_
	.globl	_Z39paged_attention_ll4mi_QKV_mfma16_kernelI14__hip_bfloat16hLN4vllm18Fp8KVCacheDataTypeE1EhLi32ELi64ELi256ELb0ELi10EL8MFMAType0EEvPKT_PKT0_S9_ifPKiSB_SB_iPKfiiiPfSE_PS4_PT2_iSD_SD_
	.p2align	8
	.type	_Z39paged_attention_ll4mi_QKV_mfma16_kernelI14__hip_bfloat16hLN4vllm18Fp8KVCacheDataTypeE1EhLi32ELi64ELi256ELb0ELi10EL8MFMAType0EEvPKT_PKT0_S9_ifPKiSB_SB_iPKfiiiPfSE_PS4_PT2_iSD_SD_,@function
_Z39paged_attention_ll4mi_QKV_mfma16_kernelI14__hip_bfloat16hLN4vllm18Fp8KVCacheDataTypeE1EhLi32ELi64ELi256ELb0ELi10EL8MFMAType0EEvPKT_PKT0_S9_ifPKiSB_SB_iPKfiiiPfSE_PS4_PT2_iSD_SD_: ; @_Z39paged_attention_ll4mi_QKV_mfma16_kernelI14__hip_bfloat16hLN4vllm18Fp8KVCacheDataTypeE1EhLi32ELi64ELi256ELb0ELi10EL8MFMAType0EEvPKT_PKT0_S9_ifPKiSB_SB_iPKfiiiPfSE_PS4_PT2_iSD_SD_
; %bb.0:
	s_load_b64 s[2:3], s[0:1], 0x30
	s_mov_b32 s30, s13
	s_waitcnt lgkmcnt(0)
	s_cmp_lg_u64 s[2:3], 0
	s_cselect_b32 s8, -1, 0
	s_ashr_i32 s31, s13, 31
	s_cmp_eq_u64 s[2:3], 0
	s_cbranch_scc1 .LBB1751_3
; %bb.1:
	s_lshl_b64 s[4:5], s[30:31], 2
	s_delay_alu instid0(SALU_CYCLE_1) | instskip(SKIP_4) | instid1(SALU_CYCLE_1)
	s_add_u32 s4, s2, s4
	s_addc_u32 s5, s3, s5
	s_load_b64 s[4:5], s[4:5], 0x0
	s_waitcnt lgkmcnt(0)
	s_sub_i32 s4, s5, s4
	s_cmp_eq_u32 s4, 1
	s_cselect_b32 s4, -1, 0
	s_delay_alu instid0(SALU_CYCLE_1)
	s_and_not1_b32 vcc_lo, exec_lo, s4
	s_cbranch_vccz .LBB1751_4
.LBB1751_2:
	s_endpgm
.LBB1751_3:
.LBB1751_4:
	s_load_b64 s[4:5], s[0:1], 0x28
	s_lshl_b64 s[6:7], s[30:31], 2
	s_waitcnt lgkmcnt(0)
	s_add_u32 s4, s4, s6
	s_addc_u32 s5, s5, s7
	s_lshl_b32 s12, s14, 8
	s_load_b32 s24, s[4:5], 0x0
	s_waitcnt lgkmcnt(0)
	s_cmp_ge_i32 s12, s24
	s_cbranch_scc1 .LBB1751_2
; %bb.5:
	s_clause 0x1
	s_load_b128 s[20:23], s[0:1], 0x8
	s_load_b64 s[4:5], s[0:1], 0x20
	s_and_not1_b32 vcc_lo, exec_lo, s8
	s_cbranch_vccnz .LBB1751_7
; %bb.6:
	s_add_u32 s2, s2, s6
	s_addc_u32 s3, s3, s7
	s_load_b32 s3, s[2:3], 0x0
	s_branch .LBB1751_8
.LBB1751_7:
	s_mov_b32 s3, s30
.LBB1751_8:
	s_load_b128 s[16:19], s[0:1], 0x48
	v_and_b32_e32 v65, 15, v0
	v_cmp_gt_u32_e32 vcc_lo, 0xa0, v0
	v_lshrrev_b32_e32 v66, 5, v0
	v_and_b32_e32 v67, 31, v0
	v_and_b32_e32 v75, 1, v0
	v_lshlrev_b32_e32 v1, 3, v65
	v_cmp_gt_u32_e64 s2, 8, v65
	v_bfe_u32 v74, v0, 4, 1
	s_mul_i32 s31, s15, 10
	s_delay_alu instid0(VALU_DEP_3) | instskip(NEXT) | instid1(VALU_DEP_3)
	v_lshlrev_b32_e32 v73, 1, v1
	s_and_b32 s7, vcc_lo, s2
	s_delay_alu instid0(SALU_CYCLE_1)
	s_and_saveexec_b32 s6, s7
	s_cbranch_execz .LBB1751_10
; %bb.9:
	s_load_b64 s[8:9], s[0:1], 0x0
	v_lshl_or_b32 v5, v66, 1, v74
	s_waitcnt lgkmcnt(0)
	s_mul_hi_i32 s11, s3, s16
	s_mul_i32 s10, s3, s16
	v_lshlrev_b32_e32 v6, 10, v65
	s_lshl_b64 s[10:11], s[10:11], 1
	v_add_lshl_u32 v1, v5, s31, 6
	v_lshlrev_b32_e32 v5, 6, v5
	v_lshlrev_b32_e32 v7, 10, v75
	v_and_b32_e32 v6, 0x3800, v6
	s_delay_alu instid0(VALU_DEP_4) | instskip(NEXT) | instid1(VALU_DEP_2)
	v_ashrrev_i32_e32 v2, 31, v1
	v_or3_b32 v5, v6, v7, v5
	s_delay_alu instid0(VALU_DEP_2) | instskip(SKIP_2) | instid1(VALU_DEP_1)
	v_lshlrev_b64 v[1:2], 1, v[1:2]
	s_add_u32 s3, s8, s10
	s_addc_u32 s7, s9, s11
	v_add_co_u32 v1, vcc_lo, s3, v1
	s_delay_alu instid0(VALU_DEP_2) | instskip(NEXT) | instid1(VALU_DEP_2)
	v_add_co_ci_u32_e32 v2, vcc_lo, s7, v2, vcc_lo
	v_add_co_u32 v1, vcc_lo, v1, v73
	s_delay_alu instid0(VALU_DEP_2)
	v_add_co_ci_u32_e32 v2, vcc_lo, 0, v2, vcc_lo
	global_load_b128 v[1:4], v[1:2], off
	s_waitcnt vmcnt(0)
	ds_store_b128 v5, v[1:4]
.LBB1751_10:
	s_or_b32 exec_lo, exec_lo, s6
	v_and_b32_e32 v1, 0xef, v0
	s_waitcnt lgkmcnt(0)
	s_add_i32 s3, s24, 31
	s_clause 0x1
	s_load_b32 s6, s[0:1], 0x38
	s_load_b32 s19, s[0:1], 0x1c
	s_ashr_i32 s7, s3, 31
	v_add_nc_u32_e32 v1, s12, v1
	s_lshr_b32 s7, s7, 27
	s_waitcnt lgkmcnt(0)
	s_add_i32 s3, s3, s7
	s_barrier
	v_ashrrev_i32_e32 v2, 31, v1
	v_or_b32_e32 v3, 16, v1
	s_ashr_i32 s3, s3, 5
	v_cmp_gt_i32_e32 vcc_lo, s24, v1
	s_add_i32 s3, s3, -1
	v_lshrrev_b32_e32 v2, 27, v2
	buffer_gl0_inv
	s_mul_i32 s27, s15, s18
	v_add_nc_u32_e32 v4, v1, v2
	s_mul_i32 s6, s30, s6
	s_delay_alu instid0(SALU_CYCLE_1) | instskip(NEXT) | instid1(VALU_DEP_1)
	s_ashr_i32 s7, s6, 31
	v_ashrrev_i32_e32 v4, 5, v4
	v_add_nc_u32_e32 v2, v3, v2
	s_lshl_b64 s[6:7], s[6:7], 2
	s_delay_alu instid0(SALU_CYCLE_1) | instskip(NEXT) | instid1(VALU_DEP_2)
	s_add_u32 s26, s4, s6
	v_cndmask_b32_e32 v1, s3, v4, vcc_lo
	s_delay_alu instid0(VALU_DEP_2)
	v_ashrrev_i32_e32 v2, 5, v2
	v_cmp_gt_i32_e32 vcc_lo, s24, v3
	s_addc_u32 s25, s5, s7
	s_ashr_i32 s28, s27, 31
	s_add_u32 s4, s20, s27
	s_addc_u32 s5, s21, s28
	v_cndmask_b32_e32 v3, s3, v2, vcc_lo
	v_ashrrev_i32_e32 v2, 31, v1
	s_lshl_b32 s6, s14, 3
	s_delay_alu instid0(SALU_CYCLE_1) | instskip(NEXT) | instid1(VALU_DEP_2)
	s_ashr_i32 s7, s6, 31
	v_ashrrev_i32_e32 v4, 31, v3
	s_delay_alu instid0(VALU_DEP_2) | instskip(SKIP_1) | instid1(SALU_CYCLE_1)
	v_lshlrev_b64 v[1:2], 2, v[1:2]
	s_lshl_b64 s[6:7], s[6:7], 2
	s_add_u32 s6, s26, s6
	s_delay_alu instid0(VALU_DEP_2) | instskip(SKIP_1) | instid1(VALU_DEP_2)
	v_lshlrev_b64 v[3:4], 2, v[3:4]
	s_addc_u32 s7, s25, s7
	v_add_co_u32 v1, vcc_lo, s26, v1
	v_add_co_ci_u32_e32 v2, vcc_lo, s25, v2, vcc_lo
	s_delay_alu instid0(VALU_DEP_3) | instskip(NEXT) | instid1(VALU_DEP_4)
	v_add_co_u32 v3, vcc_lo, s26, v3
	v_add_co_ci_u32_e32 v4, vcc_lo, s25, v4, vcc_lo
	s_clause 0x1
	global_load_b32 v5, v[1:2], off
	global_load_b32 v6, v[3:4], off
	s_or_b32 s8, s12, 32
	s_delay_alu instid0(SALU_CYCLE_1) | instskip(SKIP_2) | instid1(SALU_CYCLE_1)
	s_ashr_i32 s9, s8, 5
	s_cmp_lt_i32 s8, s24
	s_cselect_b32 s8, s9, s3
	s_ashr_i32 s9, s8, 31
	s_delay_alu instid0(SALU_CYCLE_1) | instskip(NEXT) | instid1(SALU_CYCLE_1)
	s_lshl_b64 s[8:9], s[8:9], 2
	s_add_u32 s8, s26, s8
	s_addc_u32 s9, s25, s9
	s_or_b32 s10, s12, 64
	s_delay_alu instid0(SALU_CYCLE_1) | instskip(SKIP_2) | instid1(SALU_CYCLE_1)
	s_ashr_i32 s11, s10, 5
	s_cmp_lt_i32 s10, s24
	s_cselect_b32 s10, s11, s3
	s_ashr_i32 s11, s10, 31
	s_delay_alu instid0(SALU_CYCLE_1) | instskip(NEXT) | instid1(SALU_CYCLE_1)
	s_lshl_b64 s[10:11], s[10:11], 2
	s_add_u32 s10, s26, s10
	s_addc_u32 s11, s25, s11
	;; [unrolled: 10-line block ×5, first 2 shown]
	s_clause 0x5
	s_load_b32 s21, s[6:7], 0x0
	s_load_b32 s13, s[8:9], 0x0
	;; [unrolled: 1-line block ×6, first 2 shown]
	s_or_b32 s8, s12, 0xc0
	s_delay_alu instid0(SALU_CYCLE_1) | instskip(SKIP_2) | instid1(SALU_CYCLE_1)
	s_ashr_i32 s9, s8, 5
	s_cmp_lt_i32 s8, s24
	s_cselect_b32 s34, s9, s3
	s_ashr_i32 s35, s34, 31
	s_delay_alu instid0(SALU_CYCLE_1) | instskip(NEXT) | instid1(SALU_CYCLE_1)
	s_lshl_b64 s[34:35], s[34:35], 2
	s_add_u32 s34, s26, s34
	s_addc_u32 s35, s25, s35
	s_or_b32 s29, s12, 0xe0
	s_delay_alu instid0(SALU_CYCLE_1)
	s_ashr_i32 s33, s29, 5
	s_cmp_lt_i32 s29, s24
	s_waitcnt vmcnt(1)
	v_mad_i64_i32 v[1:2], null, v5, s17, s[4:5]
	s_waitcnt vmcnt(0)
	v_mad_i64_i32 v[3:4], null, v6, s17, s[4:5]
	s_mov_b32 s4, 0
	s_delay_alu instid0(SALU_CYCLE_1)
	s_mov_b32 s5, s4
	s_mov_b32 s6, s4
	;; [unrolled: 1-line block ×7, first 2 shown]
	v_lshlrev_b32_e32 v5, 4, v65
	v_dual_mov_b32 v107, s11 :: v_dual_mov_b32 v102, s6
	v_mov_b32_e32 v100, s4
	v_mov_b32_e32 v106, s10
	s_delay_alu instid0(VALU_DEP_4)
	v_add_co_u32 v1, vcc_lo, v1, v5
	v_add_co_ci_u32_e32 v2, vcc_lo, 0, v2, vcc_lo
	v_add_co_u32 v3, vcc_lo, v3, v5
	v_add_co_ci_u32_e32 v4, vcc_lo, 0, v4, vcc_lo
	s_clause 0x7
	global_load_b128 v[49:52], v[1:2], off
	global_load_b128 v[53:56], v[1:2], off offset:512
	global_load_b128 v[76:79], v[3:4], off offset:256
	;; [unrolled: 1-line block ×7, first 2 shown]
	v_add_nc_u32_e32 v1, -10, v65
	v_cmp_gt_u32_e32 vcc_lo, 10, v65
	v_dual_mov_b32 v104, s8 :: v_dual_mov_b32 v103, s7
	v_dual_mov_b32 v101, s5 :: v_dual_lshlrev_b32 v2, 5, v65
	s_delay_alu instid0(VALU_DEP_4)
	v_cndmask_b32_e32 v1, v1, v65, vcc_lo
	v_mov_b32_e32 v105, s9
	s_cselect_b32 s4, s33, s3
	s_load_b32 s3, s[34:35], 0x0
	s_ashr_i32 s5, s4, 31
	v_lshlrev_b32_e32 v70, 6, v1
	s_lshl_b64 s[4:5], s[4:5], 2
	v_lshl_or_b32 v2, v66, 9, v2
	s_add_u32 s4, s26, s4
	s_addc_u32 s5, s25, s5
	ds_load_b128 v[108:111], v70
	ds_load_b128 v[112:115], v70 offset:1024
	s_load_b32 s4, s[4:5], 0x0
	s_add_u32 s6, s22, s27
	s_addc_u32 s7, s23, s28
	v_add_co_u32 v9, s6, s6, v2
	s_delay_alu instid0(VALU_DEP_1) | instskip(SKIP_1) | instid1(VALU_DEP_1)
	v_add_co_ci_u32_e64 v10, null, s7, 0, s6
	s_waitcnt lgkmcnt(0)
	v_mad_i64_i32 v[1:2], null, s21, s17, v[9:10]
	v_mad_i64_i32 v[3:4], null, s13, s17, v[9:10]
	;; [unrolled: 1-line block ×7, first 2 shown]
	s_clause 0x9
	global_load_b128 v[57:60], v[1:2], off
	global_load_b128 v[61:64], v[1:2], off offset:16
	global_load_b128 v[41:44], v[3:4], off
	global_load_b128 v[45:48], v[3:4], off offset:16
	;; [unrolled: 2-line block ×5, first 2 shown]
	v_mad_i64_i32 v[68:69], null, s4, s17, v[9:10]
	s_clause 0x3
	global_load_b128 v[9:12], v[13:14], off
	global_load_b128 v[13:16], v[13:14], off offset:16
	global_load_b128 v[17:20], v[21:22], off
	global_load_b128 v[21:24], v[21:22], off offset:16
	s_waitcnt vmcnt(20)
	v_wmma_f32_16x16x16_bf16 v[116:123], v[49:56], v[108:115], v[100:107]
	s_clause 0x1
	global_load_b128 v[49:52], v[68:69], off
	global_load_b128 v[53:56], v[68:69], off offset:16
	v_and_b32_e32 v68, 0xe0, v0
	v_mbcnt_lo_u32_b32 v69, -1, 0
	s_delay_alu instid0(VALU_DEP_2)
	v_add_nc_u32_e32 v68, s12, v68
	s_waitcnt vmcnt(20)
	v_wmma_f32_16x16x16_bf16 v[100:107], v[76:83], v[108:115], v[100:107]
	ds_load_b128 v[76:79], v70 offset:2048
	ds_load_b128 v[80:83], v70 offset:3072
	v_xor_b32_e32 v70, 16, v69
	s_waitcnt vmcnt(0) lgkmcnt(0)
	v_or_b32_e32 v68, v68, v74
	s_barrier
	buffer_gl0_inv
	v_cmp_gt_i32_e32 vcc_lo, 32, v70
	v_or_b32_e32 v71, 4, v68
	v_or_b32_e32 v72, 6, v68
	v_cmp_gt_i32_e64 s3, s24, v68
	v_or_b32_e32 v108, 8, v68
	v_or_b32_e32 v109, 10, v68
	v_cmp_gt_i32_e64 s4, s24, v71
	v_cmp_gt_i32_e64 s5, s24, v72
	s_delay_alu instid0(VALU_DEP_4) | instskip(NEXT) | instid1(VALU_DEP_4)
	v_cmp_gt_i32_e64 s6, s24, v108
	v_cmp_gt_i32_e64 s7, s24, v109
	v_wmma_f32_16x16x16_bf16 v[116:123], v[84:91], v[76:83], v[116:123]
	v_cndmask_b32_e32 v69, v69, v70, vcc_lo
	v_or_b32_e32 v70, 2, v68
	v_wmma_f32_16x16x16_bf16 v[100:107], v[92:99], v[76:83], v[100:107]
	v_or_b32_e32 v89, 22, v68
	v_dual_mul_f32 v80, s19, v121 :: v_dual_mul_f32 v81, s19, v120
	v_dual_mul_f32 v92, s19, v117 :: v_dual_mul_f32 v93, s19, v116
	s_delay_alu instid0(VALU_DEP_4)
	v_mul_f32_e32 v96, s19, v105
	v_cmp_gt_i32_e32 vcc_lo, s24, v70
	v_dual_mul_f32 v79, s19, v122 :: v_dual_mul_f32 v82, s19, v119
	v_dual_mul_f32 v83, s19, v118 :: v_dual_mul_f32 v94, s19, v107
	v_cndmask_b32_e64 v93, 0xff7fffff, v93, s3
	v_cndmask_b32_e32 v92, 0xff7fffff, v92, vcc_lo
	v_or_b32_e32 v84, 12, v68
	v_or_b32_e32 v85, 14, v68
	v_cndmask_b32_e64 v71, 0xff7fffff, v83, s4
	v_cndmask_b32_e64 v72, 0xff7fffff, v82, s5
	v_cmp_gt_i32_e64 s13, s24, v89
	v_lshlrev_b32_e32 v89, 2, v69
	v_max3_f32 v82, v93, 0xff7fffff, v92
	v_or_b32_e32 v86, 16, v68
	v_or_b32_e32 v87, 18, v68
	v_mul_f32_e32 v78, s19, v123
	v_cndmask_b32_e64 v81, 0xff7fffff, v81, s6
	v_cndmask_b32_e64 v80, 0xff7fffff, v80, s7
	v_max3_f32 v71, v82, v71, v72
	v_cmp_gt_i32_e64 s8, s24, v84
	v_cmp_gt_i32_e64 s9, s24, v85
	v_or_b32_e32 v88, 20, v68
	v_or_b32_e32 v90, 24, v68
	;; [unrolled: 1-line block ×5, first 2 shown]
	v_dual_mul_f32 v97, s19, v104 :: v_dual_mul_f32 v70, s19, v101
	v_dual_mul_f32 v99, s19, v102 :: v_dual_mul_f32 v68, s19, v100
	v_cndmask_b32_e64 v72, 0xff7fffff, v79, s8
	v_cndmask_b32_e64 v78, 0xff7fffff, v78, s9
	v_max3_f32 v71, v71, v81, v80
	v_cmp_gt_i32_e64 s10, s24, v86
	v_cmp_gt_i32_e64 s11, s24, v87
	v_dual_mul_f32 v95, s19, v106 :: v_dual_mul_f32 v98, s19, v103
	s_delay_alu instid0(VALU_DEP_4) | instskip(NEXT) | instid1(VALU_DEP_4)
	v_max3_f32 v71, v71, v72, v78
	v_cndmask_b32_e64 v68, 0xff7fffff, v68, s10
	s_delay_alu instid0(VALU_DEP_4)
	v_cndmask_b32_e64 v70, 0xff7fffff, v70, s11
	v_cmp_gt_i32_e64 s12, s24, v88
	v_cndmask_b32_e64 v78, 0xff7fffff, v98, s13
	v_cmp_gt_i32_e64 s15, s24, v90
	v_cmp_gt_i32_e64 s16, s24, v91
	v_max3_f32 v68, v71, v68, v70
	v_cndmask_b32_e64 v72, 0xff7fffff, v99, s12
	v_cmp_gt_i32_e64 s17, s24, v76
	v_cndmask_b32_e64 v70, 0xff7fffff, v97, s15
	v_cndmask_b32_e64 v71, 0xff7fffff, v96, s16
	v_cmp_gt_i32_e64 s18, s24, v77
	v_max3_f32 v68, v68, v72, v78
	v_cndmask_b32_e64 v72, 0xff7fffff, v95, s17
	s_delay_alu instid0(VALU_DEP_3) | instskip(NEXT) | instid1(VALU_DEP_3)
	v_cndmask_b32_e64 v76, 0xff7fffff, v94, s18
	v_max3_f32 v68, v68, v70, v71
	s_delay_alu instid0(VALU_DEP_1) | instskip(SKIP_3) | instid1(VALU_DEP_1)
	v_max3_f32 v68, v68, v72, v76
	ds_bpermute_b32 v69, v89, v68
	s_waitcnt lgkmcnt(0)
	v_max_f32_e32 v69, v69, v69
	v_max_f32_e32 v68, v68, v69
	s_delay_alu instid0(VALU_DEP_1) | instskip(NEXT) | instid1(VALU_DEP_1)
	v_fma_f32 v71, s19, v118, -v68
	v_mul_f32_e32 v71, 0x3fb8aa3b, v71
	v_fma_f32 v70, s19, v117, -v68
	v_fma_f32 v69, s19, v116, -v68
	;; [unrolled: 1-line block ×5, first 2 shown]
	s_delay_alu instid0(VALU_DEP_4) | instskip(SKIP_1) | instid1(VALU_DEP_3)
	v_dual_mul_f32 v70, 0x3fb8aa3b, v70 :: v_dual_mul_f32 v69, 0x3fb8aa3b, v69
	v_exp_f32_e32 v71, v71
	v_mul_f32_e32 v72, 0x3fb8aa3b, v72
	v_fma_f32 v81, s19, v105, -v68
	s_delay_alu instid0(VALU_DEP_3)
	v_exp_f32_e32 v70, v70
	v_mul_f32_e32 v77, 0x3fb8aa3b, v76
	v_exp_f32_e32 v69, v69
	v_exp_f32_e32 v72, v72
	v_mul_f32_e32 v81, 0x3fb8aa3b, v81
	v_cndmask_b32_e64 v83, 0, v71, s4
	v_fma_f32 v71, s19, v123, -v68
	s_delay_alu instid0(VALU_DEP_3) | instskip(SKIP_4) | instid1(TRANS32_DEP_3)
	v_exp_f32_e32 v81, v81
	v_cndmask_b32_e32 v76, 0, v70, vcc_lo
	v_exp_f32_e32 v77, v77
	v_cndmask_b32_e64 v80, 0, v69, s3
	v_fma_f32 v69, s19, v121, -v68
	v_cndmask_b32_e64 v85, 0, v72, s5
	v_mul_f32_e32 v71, 0x3fb8aa3b, v71
	v_fma_f32 v72, s19, v100, -v68
	s_delay_alu instid0(VALU_DEP_4) | instskip(SKIP_1) | instid1(VALU_DEP_3)
	v_dual_add_f32 v70, 0, v80 :: v_dual_mul_f32 v69, 0x3fb8aa3b, v69
	s_mov_b32 s3, exec_lo
	v_exp_f32_e32 v71, v71
	s_delay_alu instid0(TRANS32_DEP_2) | instskip(SKIP_4) | instid1(VALU_DEP_3)
	v_cndmask_b32_e64 v86, 0, v77, s6
	v_fma_f32 v77, s19, v101, -v68
	v_mul_f32_e32 v78, 0x3fb8aa3b, v78
	v_add_f32_e32 v70, v70, v76
	v_exp_f32_e32 v69, v69
	v_mul_f32_e32 v77, 0x3fb8aa3b, v77
	s_delay_alu instid0(VALU_DEP_3) | instskip(NEXT) | instid1(TRANS32_DEP_3)
	v_exp_f32_e32 v78, v78
	v_cndmask_b32_e64 v88, 0, v71, s9
	v_fma_f32 v71, s19, v104, -v68
	s_delay_alu instid0(VALU_DEP_3) | instskip(NEXT) | instid1(TRANS32_DEP_3)
	v_exp_f32_e32 v77, v77
	v_cndmask_b32_e64 v87, 0, v69, s7
	s_delay_alu instid0(VALU_DEP_2)
	v_mul_f32_e32 v71, 0x3fb8aa3b, v71
	s_waitcnt_depctr 0xfff
	v_cndmask_b32_e64 v84, 0, v78, s8
	v_add_f32_e32 v70, v70, v83
	v_fma_f32 v78, s19, v103, -v68
	v_exp_f32_e32 v82, v71
	s_delay_alu instid0(VALU_DEP_2) | instskip(SKIP_1) | instid1(VALU_DEP_3)
	v_add_f32_e32 v70, v70, v85
	v_mul_f32_e32 v72, 0x3fb8aa3b, v72
	v_mul_f32_e32 v78, 0x3fb8aa3b, v78
	s_delay_alu instid0(VALU_DEP_3) | instskip(SKIP_1) | instid1(VALU_DEP_4)
	v_add_f32_e32 v69, v70, v86
	v_fma_f32 v70, s19, v102, -v68
	v_exp_f32_e32 v72, v72
	s_delay_alu instid0(VALU_DEP_3) | instskip(NEXT) | instid1(VALU_DEP_1)
	v_exp_f32_e32 v78, v78
	v_dual_add_f32 v69, v69, v87 :: v_dual_mul_f32 v70, 0x3fb8aa3b, v70
	s_delay_alu instid0(VALU_DEP_1) | instskip(NEXT) | instid1(VALU_DEP_2)
	v_add_f32_e32 v69, v69, v84
	v_exp_f32_e32 v79, v70
	s_delay_alu instid0(TRANS32_DEP_3) | instskip(NEXT) | instid1(VALU_DEP_2)
	v_cndmask_b32_e64 v70, 0, v72, s10
	v_add_f32_e32 v72, v69, v88
	v_cndmask_b32_e64 v69, 0, v77, s11
	v_fma_f32 v77, s19, v106, -v68
	s_waitcnt_depctr 0xfff
	v_cndmask_b32_e64 v71, 0, v79, s12
	v_dual_mul_f32 v77, 0x3fb8aa3b, v77 :: v_dual_add_f32 v72, v72, v70
	s_delay_alu instid0(VALU_DEP_1) | instskip(NEXT) | instid1(VALU_DEP_1)
	v_exp_f32_e32 v90, v77
	v_add_f32_e32 v79, v72, v69
	v_cndmask_b32_e64 v72, 0, v78, s13
	v_cndmask_b32_e64 v77, 0, v82, s15
	s_delay_alu instid0(VALU_DEP_3) | instskip(SKIP_1) | instid1(VALU_DEP_1)
	v_add_f32_e32 v78, v79, v71
	v_fma_f32 v79, s19, v107, -v68
	v_dual_add_f32 v82, v78, v72 :: v_dual_mul_f32 v79, 0x3fb8aa3b, v79
	v_cndmask_b32_e64 v78, 0, v81, s16
	s_delay_alu instid0(VALU_DEP_2) | instskip(NEXT) | instid1(VALU_DEP_3)
	v_add_f32_e32 v81, v82, v77
	v_exp_f32_e32 v82, v79
	v_cndmask_b32_e64 v79, 0, v90, s17
	s_delay_alu instid0(VALU_DEP_2) | instskip(NEXT) | instid1(VALU_DEP_1)
	v_add_f32_e32 v81, v81, v78
	v_add_f32_e32 v90, v81, v79
	s_waitcnt_depctr 0xfff
	v_cndmask_b32_e64 v81, 0, v82, s18
	s_delay_alu instid0(VALU_DEP_1)
	v_add_f32_e32 v82, v90, v81
	ds_bpermute_b32 v89, v89, v82
	v_cmpx_gt_u32_e32 16, v67
	s_cbranch_execz .LBB1751_12
; %bb.11:
	v_mul_u32_u24_e32 v67, 0x44, v66
	s_delay_alu instid0(VALU_DEP_1) | instskip(SKIP_1) | instid1(VALU_DEP_1)
	v_lshl_add_u32 v67, v65, 2, v67
	s_waitcnt lgkmcnt(0)
	v_dual_add_f32 v82, v82, v89 :: v_dual_add_nc_u32 v67, 0x4000, v67
	ds_store_2addr_b32 v67, v68, v82 offset1:136
.LBB1751_12:
	s_or_b32 exec_lo, exec_lo, s3
	v_lshlrev_b32_e32 v67, 2, v65
	s_waitcnt lgkmcnt(0)
	s_barrier
	buffer_gl0_inv
	v_cmp_eq_u32_e32 vcc_lo, 1, v66
	v_add_nc_u32_e32 v82, 0x4000, v67
	v_cmp_eq_u32_e64 s3, 2, v66
	v_cmp_eq_u32_e64 s5, 7, v66
	ds_load_2addr_b32 v[89:90], v82 offset1:17
	ds_load_2addr_b32 v[91:92], v82 offset0:34 offset1:51
	ds_load_2addr_b32 v[93:94], v82 offset0:68 offset1:85
	;; [unrolled: 1-line block ×4, first 2 shown]
	s_waitcnt lgkmcnt(4)
	v_max3_f32 v67, v89, 0xff7fffff, v90
	s_waitcnt lgkmcnt(3)
	s_delay_alu instid0(VALU_DEP_1) | instskip(SKIP_1) | instid1(VALU_DEP_1)
	v_max3_f32 v67, v67, v91, v92
	s_waitcnt lgkmcnt(2)
	v_max3_f32 v67, v67, v93, v94
	s_waitcnt lgkmcnt(1)
	s_delay_alu instid0(VALU_DEP_1) | instskip(NEXT) | instid1(VALU_DEP_1)
	v_max3_f32 v67, v67, v95, v96
	v_sub_f32_e32 v93, v93, v67
	s_delay_alu instid0(VALU_DEP_1) | instskip(NEXT) | instid1(VALU_DEP_1)
	v_dual_sub_f32 v68, v89, v67 :: v_dual_mul_f32 v103, 0x3fb8aa3b, v93
	v_mul_f32_e32 v68, 0x3fb8aa3b, v68
	s_delay_alu instid0(VALU_DEP_1)
	v_exp_f32_e32 v100, v68
	v_sub_f32_e32 v68, v92, v67
	v_sub_f32_e32 v99, v90, v67
	ds_load_2addr_b32 v[89:90], v82 offset0:170 offset1:187
	v_dual_mul_f32 v102, 0x3fb8aa3b, v68 :: v_dual_mul_f32 v99, 0x3fb8aa3b, v99
	s_waitcnt lgkmcnt(1)
	v_fma_f32 v68, v100, v97, 0
	s_delay_alu instid0(VALU_DEP_2) | instskip(NEXT) | instid1(VALU_DEP_2)
	v_exp_f32_e32 v102, v102
	v_exp_f32_e32 v99, v99
	s_waitcnt_depctr 0xfff
	v_fmac_f32_e32 v68, v99, v98
	v_sub_f32_e32 v91, v91, v67
	s_delay_alu instid0(VALU_DEP_1)
	v_mul_f32_e32 v101, 0x3fb8aa3b, v91
	ds_load_2addr_b32 v[91:92], v82 offset0:204 offset1:221
	v_sub_f32_e32 v97, v94, v67
	ds_load_2addr_b32 v[93:94], v82 offset0:238 offset1:255
	s_waitcnt lgkmcnt(0)
	v_exp_f32_e32 v101, v101
	s_barrier
	buffer_gl0_inv
	v_dual_fmac_f32 v68, v101, v89 :: v_dual_sub_f32 v89, v96, v67
	v_dual_sub_f32 v82, v95, v67 :: v_dual_mul_f32 v95, 0x3fb8aa3b, v97
	v_exp_f32_e32 v97, v103
	s_delay_alu instid0(VALU_DEP_2) | instskip(NEXT) | instid1(VALU_DEP_2)
	v_dual_fmac_f32 v68, v102, v90 :: v_dual_mul_f32 v89, 0x3fb8aa3b, v89
	v_mul_f32_e32 v82, 0x3fb8aa3b, v82
	s_delay_alu instid0(VALU_DEP_3) | instskip(NEXT) | instid1(VALU_DEP_2)
	v_exp_f32_e32 v95, v95
	v_exp_f32_e32 v89, v89
	s_delay_alu instid0(VALU_DEP_1)
	v_exp_f32_e32 v82, v82
	v_fmac_f32_e32 v68, v97, v91
	s_delay_alu instid0(TRANS32_DEP_3) | instid1(VALU_DEP_1)
	v_fmac_f32_e32 v68, v95, v92
	s_waitcnt_depctr 0xfff
	v_fmac_f32_e32 v68, v82, v93
	s_delay_alu instid0(VALU_DEP_1) | instskip(NEXT) | instid1(VALU_DEP_1)
	v_fmac_f32_e32 v68, v89, v94
	v_add_f32_e32 v90, 0x358637bd, v68
	s_delay_alu instid0(VALU_DEP_1) | instskip(NEXT) | instid1(VALU_DEP_1)
	v_div_scale_f32 v91, null, v90, v90, 1.0
	v_rcp_f32_e32 v92, v91
	s_waitcnt_depctr 0xfff
	v_fma_f32 v93, -v91, v92, 1.0
	s_delay_alu instid0(VALU_DEP_1) | instskip(SKIP_1) | instid1(VALU_DEP_2)
	v_dual_fmac_f32 v92, v93, v92 :: v_dual_cndmask_b32 v93, v100, v99
	v_cmp_eq_u32_e32 vcc_lo, 3, v66
	v_cndmask_b32_e64 v93, v93, v101, s3
	v_cmp_eq_u32_e64 s3, 4, v66
	s_delay_alu instid0(VALU_DEP_2) | instskip(SKIP_1) | instid1(VALU_DEP_2)
	v_cndmask_b32_e32 v93, v93, v102, vcc_lo
	v_cmp_eq_u32_e32 vcc_lo, 5, v66
	v_cndmask_b32_e64 v93, v93, v97, s3
	v_cmp_eq_u32_e64 s3, 6, v66
	s_delay_alu instid0(VALU_DEP_2) | instskip(SKIP_1) | instid1(VALU_DEP_1)
	v_cndmask_b32_e32 v93, v93, v95, vcc_lo
	v_div_scale_f32 v94, s4, 1.0, v90, 1.0
	s_mov_b32 vcc_lo, s4
	s_delay_alu instid0(VALU_DEP_2) | instskip(NEXT) | instid1(VALU_DEP_2)
	v_cndmask_b32_e64 v82, v93, v82, s3
	v_mul_f32_e32 v96, v94, v92
	s_mov_b32 s3, exec_lo
	s_delay_alu instid0(VALU_DEP_2) | instskip(NEXT) | instid1(VALU_DEP_2)
	v_cndmask_b32_e64 v82, v82, v89, s5
	v_fma_f32 v98, -v91, v96, v94
	s_delay_alu instid0(VALU_DEP_1) | instskip(NEXT) | instid1(VALU_DEP_1)
	v_fmac_f32_e32 v96, v98, v92
	v_fma_f32 v91, -v91, v96, v94
	s_delay_alu instid0(VALU_DEP_1) | instskip(NEXT) | instid1(VALU_DEP_1)
	v_div_fmas_f32 v91, v91, v92, v96
	v_div_fixup_f32 v90, v91, v90, 1.0
	s_delay_alu instid0(VALU_DEP_1) | instskip(NEXT) | instid1(VALU_DEP_1)
	v_mul_f32_e32 v82, v82, v90
	v_mul_f32_e32 v87, v82, v87
	;; [unrolled: 1-line block ×7, first 2 shown]
	v_dual_mul_f32 v86, v82, v83 :: v_dual_and_b32 v91, 0x7f800000, v90
	v_mul_f32_e32 v85, v82, v76
                                        ; implicit-def: $vgpr76
	s_delay_alu instid0(VALU_DEP_2)
	v_cmpx_ne_u32_e32 0x7f800000, v91
	s_xor_b32 s3, exec_lo, s3
; %bb.13:
	v_bfe_u32 v76, v90, 16, 1
	s_delay_alu instid0(VALU_DEP_1)
	v_add3_u32 v76, v90, v76, 0x7fff
                                        ; implicit-def: $vgpr90
; %bb.14:
	s_and_not1_saveexec_b32 s3, s3
; %bb.15:
	v_and_b32_e32 v76, 0xffff, v90
	v_or_b32_e32 v83, 0x10000, v90
	s_delay_alu instid0(VALU_DEP_2) | instskip(NEXT) | instid1(VALU_DEP_2)
	v_cmp_eq_u32_e32 vcc_lo, 0, v76
	v_cndmask_b32_e32 v76, v83, v90, vcc_lo
; %bb.16:
	s_or_b32 exec_lo, exec_lo, s3
	v_and_b32_e32 v83, 0x7f800000, v85
	s_delay_alu instid0(VALU_DEP_1) | instskip(SKIP_1) | instid1(SALU_CYCLE_1)
	v_cmp_ne_u32_e32 vcc_lo, 0x7f800000, v83
                                        ; implicit-def: $vgpr83
	s_and_saveexec_b32 s3, vcc_lo
	s_xor_b32 s3, exec_lo, s3
; %bb.17:
	v_bfe_u32 v83, v85, 16, 1
	s_delay_alu instid0(VALU_DEP_1)
	v_add3_u32 v83, v85, v83, 0x7fff
                                        ; implicit-def: $vgpr85
; %bb.18:
	s_and_not1_saveexec_b32 s3, s3
; %bb.19:
	v_and_b32_e32 v83, 0xffff, v85
	v_or_b32_e32 v90, 0x10000, v85
	s_delay_alu instid0(VALU_DEP_2) | instskip(NEXT) | instid1(VALU_DEP_2)
	v_cmp_eq_u32_e32 vcc_lo, 0, v83
	v_cndmask_b32_e32 v83, v90, v85, vcc_lo
; %bb.20:
	s_or_b32 exec_lo, exec_lo, s3
	v_and_b32_e32 v85, 0x7f800000, v86
	s_delay_alu instid0(VALU_DEP_1) | instskip(SKIP_1) | instid1(SALU_CYCLE_1)
	v_cmp_ne_u32_e32 vcc_lo, 0x7f800000, v85
                                        ; implicit-def: $vgpr85
	s_and_saveexec_b32 s3, vcc_lo
	s_xor_b32 s3, exec_lo, s3
; %bb.21:
	v_bfe_u32 v85, v86, 16, 1
	s_delay_alu instid0(VALU_DEP_1)
	v_add3_u32 v85, v86, v85, 0x7fff
                                        ; implicit-def: $vgpr86
; %bb.22:
	s_and_not1_saveexec_b32 s3, s3
; %bb.23:
	v_and_b32_e32 v85, 0xffff, v86
	v_or_b32_e32 v90, 0x10000, v86
	s_delay_alu instid0(VALU_DEP_2) | instskip(NEXT) | instid1(VALU_DEP_2)
	v_cmp_eq_u32_e32 vcc_lo, 0, v85
	v_cndmask_b32_e32 v85, v90, v86, vcc_lo
; %bb.24:
	s_or_b32 exec_lo, exec_lo, s3
	v_and_b32_e32 v86, 0x7f800000, v89
	s_delay_alu instid0(VALU_DEP_1) | instskip(SKIP_1) | instid1(SALU_CYCLE_1)
	v_cmp_ne_u32_e32 vcc_lo, 0x7f800000, v86
                                        ; implicit-def: $vgpr86
	s_and_saveexec_b32 s3, vcc_lo
	s_xor_b32 s3, exec_lo, s3
; %bb.25:
	v_bfe_u32 v86, v89, 16, 1
	s_delay_alu instid0(VALU_DEP_1)
	v_add3_u32 v86, v89, v86, 0x7fff
                                        ; implicit-def: $vgpr89
; %bb.26:
	s_and_not1_saveexec_b32 s3, s3
; %bb.27:
	v_and_b32_e32 v86, 0xffff, v89
	v_or_b32_e32 v90, 0x10000, v89
	s_delay_alu instid0(VALU_DEP_2) | instskip(NEXT) | instid1(VALU_DEP_2)
	v_cmp_eq_u32_e32 vcc_lo, 0, v86
	v_cndmask_b32_e32 v86, v90, v89, vcc_lo
; %bb.28:
	s_or_b32 exec_lo, exec_lo, s3
	v_and_b32_e32 v89, 0x7f800000, v88
	s_delay_alu instid0(VALU_DEP_1) | instskip(SKIP_1) | instid1(SALU_CYCLE_1)
	v_cmp_ne_u32_e32 vcc_lo, 0x7f800000, v89
                                        ; implicit-def: $vgpr89
	s_and_saveexec_b32 s3, vcc_lo
	s_xor_b32 s3, exec_lo, s3
; %bb.29:
	v_bfe_u32 v89, v88, 16, 1
	s_delay_alu instid0(VALU_DEP_1)
	v_add3_u32 v89, v88, v89, 0x7fff
                                        ; implicit-def: $vgpr88
; %bb.30:
	s_and_not1_saveexec_b32 s3, s3
; %bb.31:
	v_and_b32_e32 v89, 0xffff, v88
	v_or_b32_e32 v90, 0x10000, v88
	s_delay_alu instid0(VALU_DEP_2) | instskip(NEXT) | instid1(VALU_DEP_2)
	v_cmp_eq_u32_e32 vcc_lo, 0, v89
	v_cndmask_b32_e32 v89, v90, v88, vcc_lo
; %bb.32:
	s_or_b32 exec_lo, exec_lo, s3
	v_and_b32_e32 v88, 0x7f800000, v87
	s_delay_alu instid0(VALU_DEP_1) | instskip(SKIP_1) | instid1(SALU_CYCLE_1)
	v_cmp_ne_u32_e32 vcc_lo, 0x7f800000, v88
                                        ; implicit-def: $vgpr88
	s_and_saveexec_b32 s3, vcc_lo
	s_xor_b32 s3, exec_lo, s3
; %bb.33:
	v_bfe_u32 v88, v87, 16, 1
	s_delay_alu instid0(VALU_DEP_1)
	v_add3_u32 v88, v87, v88, 0x7fff
                                        ; implicit-def: $vgpr87
; %bb.34:
	s_and_not1_saveexec_b32 s3, s3
; %bb.35:
	v_and_b32_e32 v88, 0xffff, v87
	v_or_b32_e32 v90, 0x10000, v87
	s_delay_alu instid0(VALU_DEP_2) | instskip(NEXT) | instid1(VALU_DEP_2)
	v_cmp_eq_u32_e32 vcc_lo, 0, v88
	v_cndmask_b32_e32 v88, v90, v87, vcc_lo
; %bb.36:
	s_or_b32 exec_lo, exec_lo, s3
	v_and_b32_e32 v87, 0x7f800000, v84
	s_delay_alu instid0(VALU_DEP_1) | instskip(SKIP_1) | instid1(SALU_CYCLE_1)
	v_cmp_ne_u32_e32 vcc_lo, 0x7f800000, v87
                                        ; implicit-def: $vgpr87
	s_and_saveexec_b32 s3, vcc_lo
	s_xor_b32 s3, exec_lo, s3
; %bb.37:
	v_bfe_u32 v87, v84, 16, 1
	s_delay_alu instid0(VALU_DEP_1)
	v_add3_u32 v87, v84, v87, 0x7fff
                                        ; implicit-def: $vgpr84
; %bb.38:
	s_and_not1_saveexec_b32 s3, s3
; %bb.39:
	v_and_b32_e32 v87, 0xffff, v84
	v_or_b32_e32 v90, 0x10000, v84
	s_delay_alu instid0(VALU_DEP_2) | instskip(NEXT) | instid1(VALU_DEP_2)
	v_cmp_eq_u32_e32 vcc_lo, 0, v87
	v_cndmask_b32_e32 v87, v90, v84, vcc_lo
; %bb.40:
	s_or_b32 exec_lo, exec_lo, s3
	v_and_b32_e32 v84, 0x7f800000, v80
	s_delay_alu instid0(VALU_DEP_1) | instskip(SKIP_1) | instid1(SALU_CYCLE_1)
	v_cmp_ne_u32_e32 vcc_lo, 0x7f800000, v84
                                        ; implicit-def: $vgpr84
	s_and_saveexec_b32 s3, vcc_lo
	s_xor_b32 s3, exec_lo, s3
; %bb.41:
	v_bfe_u32 v84, v80, 16, 1
	s_delay_alu instid0(VALU_DEP_1)
	v_add3_u32 v84, v80, v84, 0x7fff
                                        ; implicit-def: $vgpr80
; %bb.42:
	s_and_not1_saveexec_b32 s3, s3
; %bb.43:
	v_and_b32_e32 v84, 0xffff, v80
	v_or_b32_e32 v90, 0x10000, v80
	s_delay_alu instid0(VALU_DEP_2) | instskip(NEXT) | instid1(VALU_DEP_2)
	v_cmp_eq_u32_e32 vcc_lo, 0, v84
	v_cndmask_b32_e32 v84, v90, v80, vcc_lo
; %bb.44:
	s_or_b32 exec_lo, exec_lo, s3
	s_load_b64 s[34:35], s[0:1], 0x94
	v_lshlrev_b32_e32 v91, 4, v74
	s_delay_alu instid0(VALU_DEP_2)
	v_perm_b32 v90, v84, v87, 0x7060302
	v_dual_mul_f32 v79, v82, v79 :: v_dual_lshlrev_b32 v80, 6, v65
	v_dual_mul_f32 v77, v82, v77 :: v_dual_lshlrev_b32 v92, 11, v66
	v_mul_f32_e32 v84, v82, v70
	v_perm_b32 v89, v88, v89, 0x7060302
	v_perm_b32 v88, v86, v85, 0x7060302
	;; [unrolled: 1-line block ×3, first 2 shown]
	v_mul_f32_e32 v70, v82, v81
	v_or3_b32 v76, v91, v92, v80
	v_dual_mul_f32 v78, v82, v78 :: v_dual_and_b32 v85, 0x7f800000, v84
	v_mul_f32_e32 v83, v82, v72
	v_mul_f32_e32 v81, v82, v71
	;; [unrolled: 1-line block ×3, first 2 shown]
	s_mov_b32 s3, exec_lo
	ds_store_b128 v76, v[87:90]
                                        ; implicit-def: $vgpr69
	v_cmpx_ne_u32_e32 0x7f800000, v85
	s_xor_b32 s3, exec_lo, s3
; %bb.45:
	v_bfe_u32 v69, v84, 16, 1
	s_delay_alu instid0(VALU_DEP_1)
	v_add3_u32 v69, v84, v69, 0x7fff
                                        ; implicit-def: $vgpr84
; %bb.46:
	s_and_not1_saveexec_b32 s3, s3
; %bb.47:
	v_and_b32_e32 v69, 0xffff, v84
	v_or_b32_e32 v71, 0x10000, v84
	s_delay_alu instid0(VALU_DEP_2) | instskip(NEXT) | instid1(VALU_DEP_2)
	v_cmp_eq_u32_e32 vcc_lo, 0, v69
	v_cndmask_b32_e32 v69, v71, v84, vcc_lo
; %bb.48:
	s_or_b32 exec_lo, exec_lo, s3
	v_and_b32_e32 v71, 0x7f800000, v72
	s_delay_alu instid0(VALU_DEP_1) | instskip(SKIP_1) | instid1(SALU_CYCLE_1)
	v_cmp_ne_u32_e32 vcc_lo, 0x7f800000, v71
                                        ; implicit-def: $vgpr71
	s_and_saveexec_b32 s3, vcc_lo
	s_xor_b32 s3, exec_lo, s3
; %bb.49:
	v_bfe_u32 v71, v72, 16, 1
	s_delay_alu instid0(VALU_DEP_1)
	v_add3_u32 v71, v72, v71, 0x7fff
                                        ; implicit-def: $vgpr72
; %bb.50:
	s_and_not1_saveexec_b32 s3, s3
; %bb.51:
	v_and_b32_e32 v71, 0xffff, v72
	v_or_b32_e32 v82, 0x10000, v72
	s_delay_alu instid0(VALU_DEP_2) | instskip(NEXT) | instid1(VALU_DEP_2)
	v_cmp_eq_u32_e32 vcc_lo, 0, v71
	v_cndmask_b32_e32 v71, v82, v72, vcc_lo
; %bb.52:
	s_or_b32 exec_lo, exec_lo, s3
	v_and_b32_e32 v72, 0x7f800000, v81
	s_delay_alu instid0(VALU_DEP_1) | instskip(SKIP_1) | instid1(SALU_CYCLE_1)
	v_cmp_ne_u32_e32 vcc_lo, 0x7f800000, v72
                                        ; implicit-def: $vgpr72
	s_and_saveexec_b32 s3, vcc_lo
	s_xor_b32 s3, exec_lo, s3
; %bb.53:
	v_bfe_u32 v72, v81, 16, 1
	s_delay_alu instid0(VALU_DEP_1)
	v_add3_u32 v72, v81, v72, 0x7fff
                                        ; implicit-def: $vgpr81
; %bb.54:
	s_and_not1_saveexec_b32 s3, s3
; %bb.55:
	v_and_b32_e32 v72, 0xffff, v81
	v_or_b32_e32 v82, 0x10000, v81
	s_delay_alu instid0(VALU_DEP_2) | instskip(NEXT) | instid1(VALU_DEP_2)
	v_cmp_eq_u32_e32 vcc_lo, 0, v72
	v_cndmask_b32_e32 v72, v82, v81, vcc_lo
; %bb.56:
	s_or_b32 exec_lo, exec_lo, s3
	v_and_b32_e32 v81, 0x7f800000, v83
	s_delay_alu instid0(VALU_DEP_1) | instskip(SKIP_1) | instid1(SALU_CYCLE_1)
	v_cmp_ne_u32_e32 vcc_lo, 0x7f800000, v81
                                        ; implicit-def: $vgpr81
	s_and_saveexec_b32 s3, vcc_lo
	s_xor_b32 s3, exec_lo, s3
; %bb.57:
	v_bfe_u32 v81, v83, 16, 1
	s_delay_alu instid0(VALU_DEP_1)
	v_add3_u32 v81, v83, v81, 0x7fff
                                        ; implicit-def: $vgpr83
; %bb.58:
	s_and_not1_saveexec_b32 s3, s3
; %bb.59:
	v_and_b32_e32 v81, 0xffff, v83
	v_or_b32_e32 v82, 0x10000, v83
	s_delay_alu instid0(VALU_DEP_2) | instskip(NEXT) | instid1(VALU_DEP_2)
	v_cmp_eq_u32_e32 vcc_lo, 0, v81
	v_cndmask_b32_e32 v81, v82, v83, vcc_lo
; %bb.60:
	s_or_b32 exec_lo, exec_lo, s3
	v_and_b32_e32 v82, 0x7f800000, v77
	s_delay_alu instid0(VALU_DEP_1) | instskip(SKIP_1) | instid1(SALU_CYCLE_1)
	v_cmp_ne_u32_e32 vcc_lo, 0x7f800000, v82
                                        ; implicit-def: $vgpr82
	s_and_saveexec_b32 s3, vcc_lo
	s_xor_b32 s3, exec_lo, s3
; %bb.61:
	v_bfe_u32 v82, v77, 16, 1
	s_delay_alu instid0(VALU_DEP_1)
	v_add3_u32 v82, v77, v82, 0x7fff
                                        ; implicit-def: $vgpr77
; %bb.62:
	s_and_not1_saveexec_b32 s3, s3
; %bb.63:
	v_and_b32_e32 v82, 0xffff, v77
	v_or_b32_e32 v83, 0x10000, v77
	s_delay_alu instid0(VALU_DEP_2) | instskip(NEXT) | instid1(VALU_DEP_2)
	v_cmp_eq_u32_e32 vcc_lo, 0, v82
	v_cndmask_b32_e32 v82, v83, v77, vcc_lo
; %bb.64:
	s_or_b32 exec_lo, exec_lo, s3
	v_and_b32_e32 v77, 0x7f800000, v78
	s_delay_alu instid0(VALU_DEP_1) | instskip(SKIP_1) | instid1(SALU_CYCLE_1)
	v_cmp_ne_u32_e32 vcc_lo, 0x7f800000, v77
                                        ; implicit-def: $vgpr77
	s_and_saveexec_b32 s3, vcc_lo
	s_xor_b32 s3, exec_lo, s3
; %bb.65:
	v_bfe_u32 v77, v78, 16, 1
	s_delay_alu instid0(VALU_DEP_1)
	v_add3_u32 v77, v78, v77, 0x7fff
                                        ; implicit-def: $vgpr78
; %bb.66:
	s_and_not1_saveexec_b32 s3, s3
; %bb.67:
	v_and_b32_e32 v77, 0xffff, v78
	v_or_b32_e32 v83, 0x10000, v78
	s_delay_alu instid0(VALU_DEP_2) | instskip(NEXT) | instid1(VALU_DEP_2)
	v_cmp_eq_u32_e32 vcc_lo, 0, v77
	v_cndmask_b32_e32 v77, v83, v78, vcc_lo
; %bb.68:
	s_or_b32 exec_lo, exec_lo, s3
	v_and_b32_e32 v78, 0x7f800000, v79
	s_delay_alu instid0(VALU_DEP_1) | instskip(SKIP_1) | instid1(SALU_CYCLE_1)
	v_cmp_ne_u32_e32 vcc_lo, 0x7f800000, v78
                                        ; implicit-def: $vgpr78
	s_and_saveexec_b32 s3, vcc_lo
	s_xor_b32 s3, exec_lo, s3
; %bb.69:
	v_bfe_u32 v78, v79, 16, 1
	s_delay_alu instid0(VALU_DEP_1)
	v_add3_u32 v78, v79, v78, 0x7fff
                                        ; implicit-def: $vgpr79
; %bb.70:
	s_and_not1_saveexec_b32 s3, s3
; %bb.71:
	v_and_b32_e32 v78, 0xffff, v79
	v_or_b32_e32 v83, 0x10000, v79
	s_delay_alu instid0(VALU_DEP_2) | instskip(NEXT) | instid1(VALU_DEP_2)
	v_cmp_eq_u32_e32 vcc_lo, 0, v78
	v_cndmask_b32_e32 v78, v83, v79, vcc_lo
; %bb.72:
	s_or_b32 exec_lo, exec_lo, s3
	v_and_b32_e32 v79, 0x7f800000, v70
	s_delay_alu instid0(VALU_DEP_1) | instskip(SKIP_1) | instid1(SALU_CYCLE_1)
	v_cmp_ne_u32_e32 vcc_lo, 0x7f800000, v79
                                        ; implicit-def: $vgpr79
	s_and_saveexec_b32 s3, vcc_lo
	s_xor_b32 s3, exec_lo, s3
; %bb.73:
	v_bfe_u32 v79, v70, 16, 1
	s_delay_alu instid0(VALU_DEP_1)
	v_add3_u32 v79, v70, v79, 0x7fff
                                        ; implicit-def: $vgpr70
; %bb.74:
	s_and_not1_saveexec_b32 s3, s3
; %bb.75:
	v_and_b32_e32 v79, 0xffff, v70
	v_or_b32_e32 v83, 0x10000, v70
	s_delay_alu instid0(VALU_DEP_2) | instskip(NEXT) | instid1(VALU_DEP_2)
	v_cmp_eq_u32_e32 vcc_lo, 0, v79
	v_cndmask_b32_e32 v79, v83, v70, vcc_lo
; %bb.76:
	s_or_b32 exec_lo, exec_lo, s3
	s_delay_alu instid0(VALU_DEP_1)
	v_perm_b32 v86, v79, v78, 0x7060302
	v_perm_b32 v85, v77, v82, 0x7060302
	;; [unrolled: 1-line block ×4, first 2 shown]
	v_lshl_or_b32 v82, v66, 11, v80
	ds_store_b128 v76, v[83:86] offset:1024
	s_waitcnt lgkmcnt(0)
	s_barrier
	buffer_gl0_inv
	ds_load_b128 v[69:72], v82
	ds_load_b128 v[83:86], v82 offset:16
	s_waitcnt lgkmcnt(1)
	v_lshrrev_b32_e32 v66, 16, v69
	s_waitcnt lgkmcnt(0)
	v_lshrrev_b32_e32 v91, 16, v83
	v_lshlrev_b32_e32 v78, 2, v74
	v_lshrrev_b32_e32 v95, 16, v70
	v_lshrrev_b32_e32 v98, 16, v84
	;; [unrolled: 1-line block ×4, first 2 shown]
	v_cmp_eq_u32_e32 vcc_lo, 1, v78
	v_lshrrev_b32_e32 v97, 16, v72
	v_lshrrev_b32_e32 v100, 16, v86
	v_cndmask_b32_e32 v87, v83, v91, vcc_lo
	v_or_b32_e32 v79, 1, v78
	v_cndmask_b32_e32 v81, v69, v66, vcc_lo
	v_cmp_eq_u32_e64 s4, 2, v78
	v_cmp_eq_u32_e64 s7, 3, v78
	;; [unrolled: 1-line block ×5, first 2 shown]
	v_cndmask_b32_e64 v81, v81, v70, s4
	v_cndmask_b32_e64 v87, v87, v84, s4
	v_cmp_eq_u32_e64 s8, 3, v79
	v_cndmask_b32_e64 v88, v69, v66, s3
	v_or_b32_e32 v77, 2, v78
	v_cndmask_b32_e64 v81, v81, v95, s7
	v_cndmask_b32_e64 v87, v87, v98, s7
	;; [unrolled: 1-line block ×4, first 2 shown]
	v_cmp_eq_u32_e64 s10, 5, v78
	v_cndmask_b32_e64 v81, v81, v71, s9
	v_cndmask_b32_e64 v87, v87, v85, s9
	v_cmp_eq_u32_e64 s11, 4, v79
	v_cndmask_b32_e64 v88, v88, v95, s8
	v_cmp_eq_u32_e64 s5, 1, v77
	v_cndmask_b32_e64 v89, v89, v84, s6
	v_cndmask_b32_e64 v81, v81, v96, s10
	v_cmp_eq_u32_e64 s12, 6, v78
	v_cndmask_b32_e64 v88, v88, v71, s11
	;; [unrolled: 3-line block ×3, first 2 shown]
	v_cndmask_b32_e64 v89, v89, v98, s8
	v_cndmask_b32_e64 v81, v81, v72, s12
	v_cmp_eq_u32_e64 s15, 7, v78
	v_cndmask_b32_e64 v88, v88, v96, s13
	v_cndmask_b32_e64 v87, v87, v86, s12
	v_cmp_eq_u32_e64 s16, 6, v79
	v_cmp_eq_u32_e64 s17, 2, v77
	v_cndmask_b32_e64 v89, v89, v85, s11
	v_cndmask_b32_e64 v101, v81, v97, s15
	;; [unrolled: 1-line block ×6, first 2 shown]
	v_cmp_eq_u32_e64 s18, 7, v79
	v_cmp_eq_u32_e64 s19, 3, v77
	;; [unrolled: 1-line block ×4, first 2 shown]
	v_cndmask_b32_e64 v87, v87, v84, s17
	v_cndmask_b32_e64 v103, v88, v97, s18
	;; [unrolled: 1-line block ×4, first 2 shown]
	v_or_b32_e32 v81, 3, v78
	v_cndmask_b32_e64 v93, v87, v98, s19
	v_cmp_eq_u32_e64 s24, 6, v77
	v_cndmask_b32_e64 v104, v88, v86, s16
	v_cndmask_b32_e64 v92, v89, v71, s20
	v_cmp_eq_u32_e64 s21, 1, v81
	ds_load_b128 v[87:90], v82 offset:1024
	v_cmp_eq_u32_e64 s23, 2, v81
	v_cmp_eq_u32_e64 s25, 3, v81
	v_cndmask_b32_e64 v105, v92, v96, s22
	v_cndmask_b32_e64 v66, v69, v66, s21
	;; [unrolled: 1-line block ×4, first 2 shown]
	ds_load_b128 v[91:94], v82 offset:1040
	v_cmp_eq_u32_e64 s26, 4, v81
	v_cndmask_b32_e64 v66, v66, v70, s23
	v_cmp_eq_u32_e64 s27, 7, v77
	v_cndmask_b32_e64 v70, v83, v84, s23
	v_cndmask_b32_e64 v84, v105, v72, s24
	v_cmp_eq_u32_e64 s28, 5, v81
	v_cndmask_b32_e64 v66, v66, v95, s25
	v_cmp_eq_u32_e64 s29, 6, v81
	v_cndmask_b32_e64 v70, v70, v98, s25
	v_cndmask_b32_e64 v69, v69, v99, s22
	;; [unrolled: 1-line block ×4, first 2 shown]
	s_waitcnt lgkmcnt(1)
	v_lshrrev_b32_e32 v95, 16, v87
	v_cndmask_b32_e64 v70, v70, v85, s26
	v_cndmask_b32_e64 v71, v84, v97, s27
	;; [unrolled: 1-line block ×4, first 2 shown]
	v_cndmask_b32_e32 v84, v87, v95, vcc_lo
	v_cndmask_b32_e64 v70, v70, v99, s28
	s_waitcnt lgkmcnt(0)
	v_lshrrev_b32_e32 v85, 16, v91
	v_lshrrev_b32_e32 v96, 16, v88
	v_cndmask_b32_e64 v98, v87, v95, s3
	v_cndmask_b32_e64 v84, v84, v88, s4
	;; [unrolled: 1-line block ×3, first 2 shown]
	v_cndmask_b32_e32 v99, v91, v85, vcc_lo
	v_cmp_eq_u32_e32 vcc_lo, 7, v81
	v_cndmask_b32_e64 v66, v66, v72, s29
	v_cndmask_b32_e64 v72, v84, v96, s7
	;; [unrolled: 1-line block ×3, first 2 shown]
	v_lshrrev_b32_e32 v98, 16, v92
	v_cndmask_b32_e32 v70, v70, v100, vcc_lo
	v_cndmask_b32_e64 v86, v99, v92, s4
	v_cndmask_b32_e64 v69, v69, v100, s27
	v_lshrrev_b32_e32 v100, 16, v93
	v_cndmask_b32_e64 v72, v72, v89, s9
	v_lshrrev_b32_e32 v99, 16, v89
	v_cndmask_b32_e64 v86, v86, v98, s7
	v_perm_b32 v71, v69, v71, 0x5040100
	v_cndmask_b32_e64 v84, v84, v96, s8
	s_delay_alu instid0(VALU_DEP_3) | instskip(NEXT) | instid1(VALU_DEP_2)
	v_cndmask_b32_e64 v86, v86, v93, s9
	v_cndmask_b32_e64 v84, v84, v89, s11
	s_delay_alu instid0(VALU_DEP_2) | instskip(NEXT) | instid1(VALU_DEP_1)
	v_cndmask_b32_e64 v86, v86, v100, s10
	v_cndmask_b32_e64 v69, v86, v94, s12
	;; [unrolled: 1-line block ×5, first 2 shown]
	s_delay_alu instid0(VALU_DEP_3) | instskip(NEXT) | instid1(VALU_DEP_3)
	v_cndmask_b32_e64 v86, v86, v88, s17
	v_cndmask_b32_e64 v87, v87, v88, s23
	s_delay_alu instid0(VALU_DEP_3) | instskip(NEXT) | instid1(VALU_DEP_3)
	v_cndmask_b32_e64 v88, v95, v92, s23
	v_cndmask_b32_e64 v86, v86, v96, s19
	;; [unrolled: 3-line block ×7, first 2 shown]
	s_delay_alu instid0(VALU_DEP_3) | instskip(SKIP_2) | instid1(VALU_DEP_2)
	v_cndmask_b32_e64 v88, v88, v94, s29
	v_cndmask_b32_e32 v66, v66, v97, vcc_lo
	v_cndmask_b32_e64 v97, v72, v99, s10
	v_perm_b32 v72, v70, v66, 0x5040100
	v_perm_b32 v70, v83, v103, 0x5040100
	v_cndmask_b32_e64 v103, v91, v85, s5
	v_cndmask_b32_e64 v85, v91, v85, s3
	;; [unrolled: 1-line block ×4, first 2 shown]
	v_lshrrev_b32_e32 v97, 16, v90
	v_cndmask_b32_e64 v91, v103, v92, s17
	v_cndmask_b32_e64 v85, v85, v92, s6
	;; [unrolled: 1-line block ×3, first 2 shown]
	s_mov_b32 s3, exec_lo
	v_cndmask_b32_e64 v83, v84, v97, s15
	v_cndmask_b32_e64 v91, v91, v98, s19
	;; [unrolled: 1-line block ×3, first 2 shown]
	v_lshrrev_b32_e32 v84, 16, v94
	v_cndmask_b32_e64 v66, v66, v97, s18
	v_cndmask_b32_e64 v90, v86, v97, s27
	;; [unrolled: 1-line block ×4, first 2 shown]
	v_dual_cndmask_b32 v86, v87, v97 :: v_dual_cndmask_b32 v87, v88, v84
	v_cndmask_b32_e64 v91, v69, v84, s15
	s_delay_alu instid0(VALU_DEP_4) | instskip(NEXT) | instid1(VALU_DEP_4)
	v_cndmask_b32_e64 v89, v89, v100, s22
	v_cndmask_b32_e64 v85, v85, v100, s13
	v_perm_b32 v69, v102, v101, 0x5040100
	v_perm_b32 v86, v87, v86, 0x5040100
	;; [unrolled: 1-line block ×3, first 2 shown]
	v_cndmask_b32_e64 v89, v89, v94, s24
	v_cndmask_b32_e64 v85, v85, v94, s16
	s_mul_i32 s8, s35, 10
	s_delay_alu instid0(VALU_DEP_2) | instskip(NEXT) | instid1(VALU_DEP_2)
	v_cndmask_b32_e64 v88, v89, v84, s27
	v_cndmask_b32_e64 v89, v85, v84, s18
	s_delay_alu instid0(VALU_DEP_2) | instskip(NEXT) | instid1(VALU_DEP_2)
	v_perm_b32 v85, v88, v90, 0x5040100
	v_perm_b32 v84, v89, v66, 0x5040100
	ds_store_b128 v76, v[69:72]
	ds_store_b128 v76, v[83:86] offset:1024
	v_cmpx_gt_u32_e32 10, v0
	s_cbranch_execz .LBB1751_78
; %bb.77:
	s_mul_i32 s4, s8, s30
	s_delay_alu instid0(SALU_CYCLE_1) | instskip(SKIP_1) | instid1(VALU_DEP_1)
	v_add3_u32 v69, s4, s31, v65
	s_load_b128 s[4:7], s[0:1], 0x58
	v_mad_u64_u32 v[65:66], null, v69, s34, s[14:15]
	s_delay_alu instid0(VALU_DEP_1) | instskip(NEXT) | instid1(VALU_DEP_1)
	v_ashrrev_i32_e32 v66, 31, v65
	v_lshlrev_b64 v[65:66], 2, v[65:66]
	s_waitcnt lgkmcnt(0)
	s_delay_alu instid0(VALU_DEP_1) | instskip(NEXT) | instid1(VALU_DEP_2)
	v_add_co_u32 v69, vcc_lo, s6, v65
	v_add_co_ci_u32_e32 v70, vcc_lo, s7, v66, vcc_lo
	v_add_co_u32 v65, vcc_lo, s4, v65
	v_add_co_ci_u32_e32 v66, vcc_lo, s5, v66, vcc_lo
	global_store_b32 v[69:70], v67, off
	global_store_b32 v[65:66], v68, off
.LBB1751_78:
	s_or_b32 exec_lo, exec_lo, s3
	s_waitcnt lgkmcnt(0)
	s_waitcnt_vscnt null, 0x0
	s_barrier
	buffer_gl0_inv
	ds_load_b128 v[83:86], v80
	ds_load_b128 v[87:90], v80 offset:16
	ds_load_b128 v[95:98], v80 offset:2064
	;; [unrolled: 1-line block ×3, first 2 shown]
	v_mov_b32_e32 v65, 0
	ds_load_b128 v[103:106], v80 offset:4112
	ds_load_b128 v[99:102], v80 offset:4096
	;; [unrolled: 1-line block ×4, first 2 shown]
	v_mov_b32_e32 v66, v65
	v_mov_b32_e32 v67, v65
	;; [unrolled: 1-line block ×7, first 2 shown]
	s_waitcnt lgkmcnt(6)
	s_delay_alu instid0(VALU_DEP_1)
	v_wmma_f32_16x16x16_bf16 v[65:72], v[57:64], v[83:90], v[65:72]
	ds_load_b128 v[61:64], v80 offset:8208
	ds_load_b128 v[57:60], v80 offset:8192
	s_waitcnt lgkmcnt(6)
	v_wmma_f32_16x16x16_bf16 v[65:72], v[41:48], v[91:98], v[65:72]
	ds_load_b128 v[45:48], v80 offset:10256
	ds_load_b128 v[41:44], v80 offset:10240
	s_waitcnt lgkmcnt(6)
	;; [unrolled: 4-line block ×4, first 2 shown]
	v_wmma_f32_16x16x16_bf16 v[65:72], v[1:8], v[57:64], v[65:72]
	s_waitcnt lgkmcnt(4)
	s_delay_alu instid0(VALU_DEP_1) | instskip(SKIP_1) | instid1(VALU_DEP_1)
	v_wmma_f32_16x16x16_bf16 v[65:72], v[9:16], v[41:48], v[65:72]
	s_waitcnt lgkmcnt(2)
	v_wmma_f32_16x16x16_bf16 v[65:72], v[17:24], v[33:40], v[65:72]
	s_waitcnt lgkmcnt(0)
	s_delay_alu instid0(VALU_DEP_1) | instskip(NEXT) | instid1(VALU_DEP_1)
	v_wmma_f32_16x16x16_bf16 v[65:72], v[49:56], v[25:32], v[65:72]
	v_and_b32_e32 v1, 0x7f800000, v65
	s_delay_alu instid0(VALU_DEP_1) | instskip(SKIP_1) | instid1(SALU_CYCLE_1)
	v_cmp_ne_u32_e32 vcc_lo, 0x7f800000, v1
                                        ; implicit-def: $vgpr1
	s_and_saveexec_b32 s3, vcc_lo
	s_xor_b32 s3, exec_lo, s3
; %bb.79:
	v_bfe_u32 v1, v65, 16, 1
	s_delay_alu instid0(VALU_DEP_1)
	v_add3_u32 v1, v65, v1, 0x7fff
; %bb.80:
	s_and_not1_saveexec_b32 s3, s3
; %bb.81:
	v_and_b32_e32 v1, 0xffff, v65
	v_or_b32_e32 v2, 0x10000, v65
	s_delay_alu instid0(VALU_DEP_2) | instskip(NEXT) | instid1(VALU_DEP_2)
	v_cmp_eq_u32_e32 vcc_lo, 0, v1
	v_cndmask_b32_e32 v1, v2, v65, vcc_lo
; %bb.82:
	s_or_b32 exec_lo, exec_lo, s3
	v_and_b32_e32 v2, 0x7f800000, v66
	s_delay_alu instid0(VALU_DEP_1) | instskip(SKIP_1) | instid1(SALU_CYCLE_1)
	v_cmp_ne_u32_e32 vcc_lo, 0x7f800000, v2
                                        ; implicit-def: $vgpr2
	s_and_saveexec_b32 s3, vcc_lo
	s_xor_b32 s3, exec_lo, s3
; %bb.83:
	v_bfe_u32 v2, v66, 16, 1
	s_delay_alu instid0(VALU_DEP_1)
	v_add3_u32 v2, v66, v2, 0x7fff
; %bb.84:
	s_and_not1_saveexec_b32 s3, s3
; %bb.85:
	v_and_b32_e32 v2, 0xffff, v66
	v_or_b32_e32 v3, 0x10000, v66
	s_delay_alu instid0(VALU_DEP_2) | instskip(NEXT) | instid1(VALU_DEP_2)
	v_cmp_eq_u32_e32 vcc_lo, 0, v2
	v_cndmask_b32_e32 v2, v3, v66, vcc_lo
; %bb.86:
	s_or_b32 exec_lo, exec_lo, s3
	v_and_b32_e32 v3, 0x7f800000, v67
	s_delay_alu instid0(VALU_DEP_1) | instskip(SKIP_1) | instid1(SALU_CYCLE_1)
	v_cmp_ne_u32_e32 vcc_lo, 0x7f800000, v3
                                        ; implicit-def: $vgpr3
	s_and_saveexec_b32 s3, vcc_lo
	s_xor_b32 s3, exec_lo, s3
; %bb.87:
	v_bfe_u32 v3, v67, 16, 1
	s_delay_alu instid0(VALU_DEP_1)
	v_add3_u32 v3, v67, v3, 0x7fff
; %bb.88:
	s_and_not1_saveexec_b32 s3, s3
; %bb.89:
	v_and_b32_e32 v3, 0xffff, v67
	v_or_b32_e32 v4, 0x10000, v67
	s_delay_alu instid0(VALU_DEP_2) | instskip(NEXT) | instid1(VALU_DEP_2)
	v_cmp_eq_u32_e32 vcc_lo, 0, v3
	v_cndmask_b32_e32 v3, v4, v67, vcc_lo
; %bb.90:
	s_or_b32 exec_lo, exec_lo, s3
	v_and_b32_e32 v4, 0x7f800000, v68
	s_delay_alu instid0(VALU_DEP_1) | instskip(SKIP_1) | instid1(SALU_CYCLE_1)
	v_cmp_ne_u32_e32 vcc_lo, 0x7f800000, v4
                                        ; implicit-def: $vgpr4
	s_and_saveexec_b32 s3, vcc_lo
	s_xor_b32 s3, exec_lo, s3
; %bb.91:
	v_bfe_u32 v4, v68, 16, 1
	s_delay_alu instid0(VALU_DEP_1)
	v_add3_u32 v4, v68, v4, 0x7fff
; %bb.92:
	s_and_not1_saveexec_b32 s3, s3
; %bb.93:
	v_and_b32_e32 v4, 0xffff, v68
	v_or_b32_e32 v5, 0x10000, v68
	s_delay_alu instid0(VALU_DEP_2) | instskip(NEXT) | instid1(VALU_DEP_2)
	v_cmp_eq_u32_e32 vcc_lo, 0, v4
	v_cndmask_b32_e32 v4, v5, v68, vcc_lo
; %bb.94:
	s_or_b32 exec_lo, exec_lo, s3
	v_and_b32_e32 v5, 0x7f800000, v69
	s_delay_alu instid0(VALU_DEP_1) | instskip(SKIP_1) | instid1(SALU_CYCLE_1)
	v_cmp_ne_u32_e32 vcc_lo, 0x7f800000, v5
                                        ; implicit-def: $vgpr5
	s_and_saveexec_b32 s3, vcc_lo
	s_xor_b32 s3, exec_lo, s3
; %bb.95:
	v_bfe_u32 v5, v69, 16, 1
	s_delay_alu instid0(VALU_DEP_1)
	v_add3_u32 v5, v69, v5, 0x7fff
; %bb.96:
	s_and_not1_saveexec_b32 s3, s3
; %bb.97:
	v_and_b32_e32 v5, 0xffff, v69
	v_or_b32_e32 v6, 0x10000, v69
	s_delay_alu instid0(VALU_DEP_2) | instskip(NEXT) | instid1(VALU_DEP_2)
	v_cmp_eq_u32_e32 vcc_lo, 0, v5
	v_cndmask_b32_e32 v5, v6, v69, vcc_lo
; %bb.98:
	s_or_b32 exec_lo, exec_lo, s3
	v_and_b32_e32 v6, 0x7f800000, v70
	s_delay_alu instid0(VALU_DEP_1) | instskip(SKIP_1) | instid1(SALU_CYCLE_1)
	v_cmp_ne_u32_e32 vcc_lo, 0x7f800000, v6
                                        ; implicit-def: $vgpr6
	s_and_saveexec_b32 s3, vcc_lo
	s_xor_b32 s3, exec_lo, s3
; %bb.99:
	v_bfe_u32 v6, v70, 16, 1
	s_delay_alu instid0(VALU_DEP_1)
	v_add3_u32 v6, v70, v6, 0x7fff
; %bb.100:
	s_and_not1_saveexec_b32 s3, s3
; %bb.101:
	v_and_b32_e32 v6, 0xffff, v70
	v_or_b32_e32 v7, 0x10000, v70
	s_delay_alu instid0(VALU_DEP_2) | instskip(NEXT) | instid1(VALU_DEP_2)
	v_cmp_eq_u32_e32 vcc_lo, 0, v6
	v_cndmask_b32_e32 v6, v7, v70, vcc_lo
; %bb.102:
	s_or_b32 exec_lo, exec_lo, s3
	v_and_b32_e32 v7, 0x7f800000, v71
	s_delay_alu instid0(VALU_DEP_1) | instskip(SKIP_1) | instid1(SALU_CYCLE_1)
	v_cmp_ne_u32_e32 vcc_lo, 0x7f800000, v7
                                        ; implicit-def: $vgpr7
	s_and_saveexec_b32 s3, vcc_lo
	s_xor_b32 s3, exec_lo, s3
; %bb.103:
	v_bfe_u32 v7, v71, 16, 1
	s_delay_alu instid0(VALU_DEP_1)
	v_add3_u32 v7, v71, v7, 0x7fff
; %bb.104:
	s_and_not1_saveexec_b32 s3, s3
; %bb.105:
	v_and_b32_e32 v7, 0xffff, v71
	v_or_b32_e32 v8, 0x10000, v71
	s_delay_alu instid0(VALU_DEP_2) | instskip(NEXT) | instid1(VALU_DEP_2)
	v_cmp_eq_u32_e32 vcc_lo, 0, v7
	v_cndmask_b32_e32 v7, v8, v71, vcc_lo
; %bb.106:
	s_or_b32 exec_lo, exec_lo, s3
	v_and_b32_e32 v8, 0x7f800000, v72
	s_delay_alu instid0(VALU_DEP_1) | instskip(SKIP_1) | instid1(SALU_CYCLE_1)
	v_cmp_ne_u32_e32 vcc_lo, 0x7f800000, v8
                                        ; implicit-def: $vgpr8
	s_and_saveexec_b32 s3, vcc_lo
	s_xor_b32 s3, exec_lo, s3
; %bb.107:
	v_bfe_u32 v8, v72, 16, 1
	s_delay_alu instid0(VALU_DEP_1)
	v_add3_u32 v8, v72, v8, 0x7fff
                                        ; implicit-def: $vgpr65_vgpr66_vgpr67_vgpr68_vgpr69_vgpr70_vgpr71_vgpr72
; %bb.108:
	s_and_not1_saveexec_b32 s3, s3
; %bb.109:
	v_and_b32_e32 v8, 0xffff, v72
	v_or_b32_e32 v9, 0x10000, v72
	s_delay_alu instid0(VALU_DEP_2) | instskip(NEXT) | instid1(VALU_DEP_2)
	v_cmp_eq_u32_e32 vcc_lo, 0, v8
	v_cndmask_b32_e32 v8, v9, v72, vcc_lo
; %bb.110:
	s_or_b32 exec_lo, exec_lo, s3
	s_delay_alu instid0(VALU_DEP_1)
	v_perm_b32 v7, v8, v7, 0x7060302
	v_perm_b32 v6, v6, v5, 0x7060302
	v_perm_b32 v5, v4, v3, 0x7060302
	v_perm_b32 v4, v2, v1, 0x7060302
	s_barrier
	buffer_gl0_inv
	v_cmp_eq_u32_e32 vcc_lo, 1, v78
	ds_store_b128 v76, v[4:7]
	s_waitcnt lgkmcnt(0)
	s_barrier
	buffer_gl0_inv
	ds_load_b128 v[1:4], v82
	ds_load_b128 v[5:8], v82 offset:16
	v_cmp_eq_u32_e64 s3, 1, v79
	v_cmp_eq_u32_e64 s4, 2, v78
	;; [unrolled: 1-line block ×5, first 2 shown]
	s_waitcnt lgkmcnt(1)
	v_lshrrev_b32_e32 v9, 16, v1
	s_waitcnt lgkmcnt(0)
	v_lshrrev_b32_e32 v13, 16, v5
	v_lshrrev_b32_e32 v10, 16, v2
	v_lshrrev_b32_e32 v14, 16, v6
	v_lshrrev_b32_e32 v11, 16, v3
	v_cndmask_b32_e64 v19, v1, v9, s3
	v_cndmask_b32_e32 v18, v5, v13, vcc_lo
	v_cndmask_b32_e64 v20, v5, v13, s3
	v_cndmask_b32_e32 v17, v1, v9, vcc_lo
	v_cmp_eq_u32_e32 vcc_lo, 2, v79
	v_lshrrev_b32_e32 v15, 16, v7
	v_cmp_eq_u32_e64 s3, 1, v77
	v_lshrrev_b32_e32 v12, 16, v4
	v_lshrrev_b32_e32 v16, 16, v8
	v_cndmask_b32_e32 v20, v20, v6, vcc_lo
	v_cndmask_b32_e64 v17, v17, v2, s4
	v_cndmask_b32_e32 v19, v19, v2, vcc_lo
	v_cndmask_b32_e64 v18, v18, v6, s4
	v_cmp_eq_u32_e32 vcc_lo, 4, v78
	v_cmp_eq_u32_e64 s4, 3, v79
	v_cndmask_b32_e64 v17, v17, v10, s5
	v_cndmask_b32_e64 v21, v1, v9, s3
	;; [unrolled: 1-line block ×5, first 2 shown]
	v_cndmask_b32_e32 v17, v17, v3, vcc_lo
	v_cndmask_b32_e64 v20, v20, v14, s4
	v_cndmask_b32_e32 v18, v18, v7, vcc_lo
	v_cmp_eq_u32_e32 vcc_lo, 4, v79
	v_cmp_eq_u32_e64 s4, 5, v79
	v_cmp_eq_u32_e64 s3, 2, v81
	v_cndmask_b32_e64 v21, v21, v2, s7
	v_cmp_eq_u32_e64 s5, 5, v78
	v_cndmask_b32_e32 v19, v19, v3, vcc_lo
	v_cndmask_b32_e32 v20, v20, v7, vcc_lo
	v_cmp_eq_u32_e32 vcc_lo, 6, v79
	s_delay_alu instid0(VALU_DEP_4) | instskip(NEXT) | instid1(VALU_DEP_4)
	v_cndmask_b32_e64 v17, v17, v11, s5
	v_cndmask_b32_e64 v19, v19, v11, s4
	s_delay_alu instid0(VALU_DEP_4) | instskip(SKIP_1) | instid1(VALU_DEP_3)
	v_cndmask_b32_e64 v20, v20, v15, s4
	v_cmp_eq_u32_e64 s4, 1, v81
	v_cndmask_b32_e32 v19, v19, v4, vcc_lo
	v_cndmask_b32_e64 v18, v18, v15, s5
	s_delay_alu instid0(VALU_DEP_3)
	v_cndmask_b32_e64 v1, v1, v9, s4
	v_cndmask_b32_e64 v5, v5, v13, s4
	v_cmp_eq_u32_e64 s4, 3, v77
	v_cndmask_b32_e64 v13, v22, v6, s7
	v_cmp_eq_u32_e64 s7, 3, v81
	v_cndmask_b32_e64 v1, v1, v2, s3
	v_cndmask_b32_e64 v2, v5, v6, s3
	;; [unrolled: 1-line block ×3, first 2 shown]
	v_cmp_eq_u32_e64 s3, 4, v77
	v_cndmask_b32_e64 v6, v13, v14, s4
	v_cndmask_b32_e64 v1, v1, v10, s7
	v_cmp_eq_u32_e64 s4, 4, v81
	v_cndmask_b32_e64 v2, v2, v14, s7
	v_cndmask_b32_e64 v5, v9, v3, s3
	;; [unrolled: 3-line block ×3, first 2 shown]
	v_cndmask_b32_e64 v2, v2, v7, s4
	v_cmp_eq_u32_e64 s3, 5, v81
	v_cmp_eq_u32_e64 s5, 6, v78
	v_cndmask_b32_e64 v5, v5, v11, s7
	v_cmp_eq_u32_e64 s4, 6, v77
	v_cndmask_b32_e64 v3, v6, v15, s7
	v_cndmask_b32_e64 v1, v1, v11, s3
	v_cmp_eq_u32_e64 s7, 6, v81
	v_cndmask_b32_e64 v2, v2, v15, s3
	v_cndmask_b32_e64 v17, v17, v4, s5
	v_cndmask_b32_e64 v18, v18, v8, s5
	v_cmp_eq_u32_e64 s5, 7, v78
	v_cndmask_b32_e64 v5, v5, v4, s4
	;; [unrolled: 4-line block ×3, first 2 shown]
	v_cmp_eq_u32_e64 s4, 7, v77
	v_cndmask_b32_e32 v4, v20, v8, vcc_lo
	v_cndmask_b32_e64 v17, v17, v12, s5
	v_cndmask_b32_e64 v19, v19, v12, s6
	v_cndmask_b32_e64 v1, v1, v12, s3
	v_cndmask_b32_e64 v5, v5, v12, s4
	v_cndmask_b32_e64 v2, v2, v16, s3
	v_cndmask_b32_e64 v3, v3, v16, s4
	v_cndmask_b32_e64 v6, v4, v16, s6
	v_cndmask_b32_e64 v7, v18, v16, s5
	v_cmp_gt_u32_e32 vcc_lo, 32, v0
	v_perm_b32 v4, v2, v1, 0x5040100
	v_perm_b32 v3, v3, v5, 0x5040100
	;; [unrolled: 1-line block ×4, first 2 shown]
	s_and_b32 s2, vcc_lo, s2
	ds_store_b128 v76, v[1:4]
	s_waitcnt lgkmcnt(0)
	s_barrier
	buffer_gl0_inv
	s_and_saveexec_b32 s3, s2
	s_cbranch_execz .LBB1751_2
; %bb.111:
	s_load_b64 s[0:1], s[0:1], 0x68
	s_lshl_b32 s4, s34, 6
	v_or_b32_e32 v2, s31, v74
	s_mul_i32 s2, s4, s30
	v_lshlrev_b32_e32 v0, 10, v0
	s_mul_i32 s2, s2, s8
	v_lshlrev_b32_e32 v1, 4, v75
	s_ashr_i32 s3, s2, 31
	v_mul_lo_u32 v20, v2, s4
	s_lshl_b64 s[2:3], s[2:3], 1
	v_lshlrev_b32_e32 v3, 6, v74
	v_and_b32_e32 v0, 0x3800, v0
	s_delay_alu instid0(VALU_DEP_1) | instskip(NEXT) | instid1(VALU_DEP_4)
	v_or3_b32 v16, v0, v1, v3
	v_ashrrev_i32_e32 v21, 31, v20
	ds_load_b128 v[0:3], v16
	ds_load_b128 v[4:7], v16 offset:128
	s_waitcnt lgkmcnt(0)
	s_add_u32 s2, s0, s2
	s_addc_u32 s3, s1, s3
	s_lshl_b32 s0, s14, 6
	ds_load_b128 v[8:11], v16 offset:256
	ds_load_b128 v[12:15], v16 offset:384
	;; [unrolled: 1-line block ×3, first 2 shown]
	s_ashr_i32 s1, s0, 31
	s_delay_alu instid0(SALU_CYCLE_1) | instskip(NEXT) | instid1(SALU_CYCLE_1)
	s_lshl_b64 s[0:1], s[0:1], 1
	s_add_u32 s0, s2, s0
	s_addc_u32 s1, s3, s1
	s_lshl_b32 s2, s34, 7
	v_add_co_u32 v30, s0, s0, v73
	v_add_nc_u32_e32 v22, s2, v20
	v_lshlrev_b64 v[20:21], 1, v[20:21]
	v_add_co_ci_u32_e64 v31, null, s1, 0, s0
	s_delay_alu instid0(VALU_DEP_3) | instskip(SKIP_1) | instid1(VALU_DEP_4)
	v_add_nc_u32_e32 v24, s2, v22
	v_ashrrev_i32_e32 v23, 31, v22
	v_add_co_u32 v20, vcc_lo, v30, v20
	s_delay_alu instid0(VALU_DEP_4) | instskip(NEXT) | instid1(VALU_DEP_4)
	v_add_co_ci_u32_e32 v21, vcc_lo, v31, v21, vcc_lo
	v_add_nc_u32_e32 v26, s2, v24
	v_ashrrev_i32_e32 v25, 31, v24
	v_lshlrev_b64 v[22:23], 1, v[22:23]
	s_delay_alu instid0(VALU_DEP_3) | instskip(SKIP_1) | instid1(VALU_DEP_4)
	v_add_nc_u32_e32 v28, s2, v26
	v_ashrrev_i32_e32 v27, 31, v26
	v_lshlrev_b64 v[24:25], 1, v[24:25]
	s_delay_alu instid0(VALU_DEP_4) | instskip(NEXT) | instid1(VALU_DEP_4)
	v_add_co_u32 v22, vcc_lo, v30, v22
	v_ashrrev_i32_e32 v29, 31, v28
	s_delay_alu instid0(VALU_DEP_4) | instskip(SKIP_2) | instid1(VALU_DEP_4)
	v_lshlrev_b64 v[26:27], 1, v[26:27]
	v_add_co_ci_u32_e32 v23, vcc_lo, v31, v23, vcc_lo
	v_add_co_u32 v24, vcc_lo, v30, v24
	v_lshlrev_b64 v[28:29], 1, v[28:29]
	v_add_co_ci_u32_e32 v25, vcc_lo, v31, v25, vcc_lo
	v_add_co_u32 v26, vcc_lo, v30, v26
	v_add_co_ci_u32_e32 v27, vcc_lo, v31, v27, vcc_lo
	s_delay_alu instid0(VALU_DEP_4)
	v_add_co_u32 v28, vcc_lo, v30, v28
	v_add_co_ci_u32_e32 v29, vcc_lo, v31, v29, vcc_lo
	s_clause 0x1
	global_store_b128 v[20:21], v[0:3], off
	global_store_b128 v[22:23], v[4:7], off
	s_waitcnt lgkmcnt(2)
	global_store_b128 v[24:25], v[8:11], off
	s_waitcnt lgkmcnt(1)
	;; [unrolled: 2-line block ×3, first 2 shown]
	global_store_b128 v[28:29], v[16:19], off
	s_nop 0
	s_sendmsg sendmsg(MSG_DEALLOC_VGPRS)
	s_endpgm
	.section	.rodata,"a",@progbits
	.p2align	6, 0x0
	.amdhsa_kernel _Z39paged_attention_ll4mi_QKV_mfma16_kernelI14__hip_bfloat16hLN4vllm18Fp8KVCacheDataTypeE1EhLi32ELi64ELi256ELb0ELi10EL8MFMAType0EEvPKT_PKT0_S9_ifPKiSB_SB_iPKfiiiPfSE_PS4_PT2_iSD_SD_
		.amdhsa_group_segment_fixed_size 17472
		.amdhsa_private_segment_fixed_size 0
		.amdhsa_kernarg_size 400
		.amdhsa_user_sgpr_count 13
		.amdhsa_user_sgpr_dispatch_ptr 0
		.amdhsa_user_sgpr_queue_ptr 0
		.amdhsa_user_sgpr_kernarg_segment_ptr 1
		.amdhsa_user_sgpr_dispatch_id 0
		.amdhsa_user_sgpr_private_segment_size 0
		.amdhsa_wavefront_size32 1
		.amdhsa_uses_dynamic_stack 0
		.amdhsa_enable_private_segment 0
		.amdhsa_system_sgpr_workgroup_id_x 1
		.amdhsa_system_sgpr_workgroup_id_y 1
		.amdhsa_system_sgpr_workgroup_id_z 1
		.amdhsa_system_sgpr_workgroup_info 0
		.amdhsa_system_vgpr_workitem_id 0
		.amdhsa_next_free_vgpr 124
		.amdhsa_next_free_sgpr 40
		.amdhsa_reserve_vcc 1
		.amdhsa_float_round_mode_32 0
		.amdhsa_float_round_mode_16_64 0
		.amdhsa_float_denorm_mode_32 3
		.amdhsa_float_denorm_mode_16_64 3
		.amdhsa_dx10_clamp 1
		.amdhsa_ieee_mode 1
		.amdhsa_fp16_overflow 0
		.amdhsa_workgroup_processor_mode 1
		.amdhsa_memory_ordered 1
		.amdhsa_forward_progress 0
		.amdhsa_shared_vgpr_count 0
		.amdhsa_exception_fp_ieee_invalid_op 0
		.amdhsa_exception_fp_denorm_src 0
		.amdhsa_exception_fp_ieee_div_zero 0
		.amdhsa_exception_fp_ieee_overflow 0
		.amdhsa_exception_fp_ieee_underflow 0
		.amdhsa_exception_fp_ieee_inexact 0
		.amdhsa_exception_int_div_zero 0
	.end_amdhsa_kernel
	.section	.text._Z39paged_attention_ll4mi_QKV_mfma16_kernelI14__hip_bfloat16hLN4vllm18Fp8KVCacheDataTypeE1EhLi32ELi64ELi256ELb0ELi10EL8MFMAType0EEvPKT_PKT0_S9_ifPKiSB_SB_iPKfiiiPfSE_PS4_PT2_iSD_SD_,"axG",@progbits,_Z39paged_attention_ll4mi_QKV_mfma16_kernelI14__hip_bfloat16hLN4vllm18Fp8KVCacheDataTypeE1EhLi32ELi64ELi256ELb0ELi10EL8MFMAType0EEvPKT_PKT0_S9_ifPKiSB_SB_iPKfiiiPfSE_PS4_PT2_iSD_SD_,comdat
.Lfunc_end1751:
	.size	_Z39paged_attention_ll4mi_QKV_mfma16_kernelI14__hip_bfloat16hLN4vllm18Fp8KVCacheDataTypeE1EhLi32ELi64ELi256ELb0ELi10EL8MFMAType0EEvPKT_PKT0_S9_ifPKiSB_SB_iPKfiiiPfSE_PS4_PT2_iSD_SD_, .Lfunc_end1751-_Z39paged_attention_ll4mi_QKV_mfma16_kernelI14__hip_bfloat16hLN4vllm18Fp8KVCacheDataTypeE1EhLi32ELi64ELi256ELb0ELi10EL8MFMAType0EEvPKT_PKT0_S9_ifPKiSB_SB_iPKfiiiPfSE_PS4_PT2_iSD_SD_
                                        ; -- End function
	.section	.AMDGPU.csdata,"",@progbits
; Kernel info:
; codeLenInByte = 8824
; NumSgprs: 42
; NumVgprs: 124
; ScratchSize: 0
; MemoryBound: 0
; FloatMode: 240
; IeeeMode: 1
; LDSByteSize: 17472 bytes/workgroup (compile time only)
; SGPRBlocks: 5
; VGPRBlocks: 15
; NumSGPRsForWavesPerEU: 42
; NumVGPRsForWavesPerEU: 124
; Occupancy: 10
; WaveLimiterHint : 1
; COMPUTE_PGM_RSRC2:SCRATCH_EN: 0
; COMPUTE_PGM_RSRC2:USER_SGPR: 13
; COMPUTE_PGM_RSRC2:TRAP_HANDLER: 0
; COMPUTE_PGM_RSRC2:TGID_X_EN: 1
; COMPUTE_PGM_RSRC2:TGID_Y_EN: 1
; COMPUTE_PGM_RSRC2:TGID_Z_EN: 1
; COMPUTE_PGM_RSRC2:TIDIG_COMP_CNT: 0
	.section	.text._Z39paged_attention_ll4mi_QKV_mfma16_kernelI14__hip_bfloat16hLN4vllm18Fp8KVCacheDataTypeE1EhLi32ELi64ELi256ELb0ELi11EL8MFMAType0EEvPKT_PKT0_S9_ifPKiSB_SB_iPKfiiiPfSE_PS4_PT2_iSD_SD_,"axG",@progbits,_Z39paged_attention_ll4mi_QKV_mfma16_kernelI14__hip_bfloat16hLN4vllm18Fp8KVCacheDataTypeE1EhLi32ELi64ELi256ELb0ELi11EL8MFMAType0EEvPKT_PKT0_S9_ifPKiSB_SB_iPKfiiiPfSE_PS4_PT2_iSD_SD_,comdat
	.protected	_Z39paged_attention_ll4mi_QKV_mfma16_kernelI14__hip_bfloat16hLN4vllm18Fp8KVCacheDataTypeE1EhLi32ELi64ELi256ELb0ELi11EL8MFMAType0EEvPKT_PKT0_S9_ifPKiSB_SB_iPKfiiiPfSE_PS4_PT2_iSD_SD_ ; -- Begin function _Z39paged_attention_ll4mi_QKV_mfma16_kernelI14__hip_bfloat16hLN4vllm18Fp8KVCacheDataTypeE1EhLi32ELi64ELi256ELb0ELi11EL8MFMAType0EEvPKT_PKT0_S9_ifPKiSB_SB_iPKfiiiPfSE_PS4_PT2_iSD_SD_
	.globl	_Z39paged_attention_ll4mi_QKV_mfma16_kernelI14__hip_bfloat16hLN4vllm18Fp8KVCacheDataTypeE1EhLi32ELi64ELi256ELb0ELi11EL8MFMAType0EEvPKT_PKT0_S9_ifPKiSB_SB_iPKfiiiPfSE_PS4_PT2_iSD_SD_
	.p2align	8
	.type	_Z39paged_attention_ll4mi_QKV_mfma16_kernelI14__hip_bfloat16hLN4vllm18Fp8KVCacheDataTypeE1EhLi32ELi64ELi256ELb0ELi11EL8MFMAType0EEvPKT_PKT0_S9_ifPKiSB_SB_iPKfiiiPfSE_PS4_PT2_iSD_SD_,@function
_Z39paged_attention_ll4mi_QKV_mfma16_kernelI14__hip_bfloat16hLN4vllm18Fp8KVCacheDataTypeE1EhLi32ELi64ELi256ELb0ELi11EL8MFMAType0EEvPKT_PKT0_S9_ifPKiSB_SB_iPKfiiiPfSE_PS4_PT2_iSD_SD_: ; @_Z39paged_attention_ll4mi_QKV_mfma16_kernelI14__hip_bfloat16hLN4vllm18Fp8KVCacheDataTypeE1EhLi32ELi64ELi256ELb0ELi11EL8MFMAType0EEvPKT_PKT0_S9_ifPKiSB_SB_iPKfiiiPfSE_PS4_PT2_iSD_SD_
; %bb.0:
	s_load_b64 s[2:3], s[0:1], 0x30
	s_mov_b32 s34, s13
	s_waitcnt lgkmcnt(0)
	s_cmp_lg_u64 s[2:3], 0
	s_cselect_b32 s8, -1, 0
	s_ashr_i32 s35, s13, 31
	s_cmp_eq_u64 s[2:3], 0
	s_cbranch_scc1 .LBB1752_3
; %bb.1:
	s_lshl_b64 s[4:5], s[34:35], 2
	s_delay_alu instid0(SALU_CYCLE_1) | instskip(SKIP_4) | instid1(SALU_CYCLE_1)
	s_add_u32 s4, s2, s4
	s_addc_u32 s5, s3, s5
	s_load_b64 s[4:5], s[4:5], 0x0
	s_waitcnt lgkmcnt(0)
	s_sub_i32 s4, s5, s4
	s_cmp_eq_u32 s4, 1
	s_cselect_b32 s4, -1, 0
	s_delay_alu instid0(SALU_CYCLE_1)
	s_and_not1_b32 vcc_lo, exec_lo, s4
	s_cbranch_vccz .LBB1752_4
.LBB1752_2:
	s_nop 0
	s_sendmsg sendmsg(MSG_DEALLOC_VGPRS)
	s_endpgm
.LBB1752_3:
.LBB1752_4:
	s_load_b64 s[4:5], s[0:1], 0x28
	s_lshl_b64 s[6:7], s[34:35], 2
	s_waitcnt lgkmcnt(0)
	s_add_u32 s4, s4, s6
	s_addc_u32 s5, s5, s7
	s_lshl_b32 s12, s14, 8
	s_load_b32 s24, s[4:5], 0x0
	s_waitcnt lgkmcnt(0)
	s_cmp_ge_i32 s12, s24
	s_cbranch_scc1 .LBB1752_2
; %bb.5:
	s_clause 0x1
	s_load_b128 s[20:23], s[0:1], 0x8
	s_load_b64 s[4:5], s[0:1], 0x20
	s_and_not1_b32 vcc_lo, exec_lo, s8
	s_cbranch_vccnz .LBB1752_7
; %bb.6:
	s_add_u32 s2, s2, s6
	s_addc_u32 s3, s3, s7
	s_load_b32 s3, s[2:3], 0x0
	s_branch .LBB1752_8
.LBB1752_7:
	s_mov_b32 s3, s34
.LBB1752_8:
	s_load_b128 s[16:19], s[0:1], 0x48
	v_lshrrev_b32_e32 v66, 5, v0
	v_bfe_u32 v74, v0, 4, 1
	v_and_b32_e32 v65, 15, v0
	v_and_b32_e32 v67, 31, v0
	;; [unrolled: 1-line block ×3, first 2 shown]
	s_mul_i32 s31, s15, 11
	v_lshl_or_b32 v1, v66, 1, v74
	v_lshlrev_b32_e32 v2, 3, v65
	v_cmp_gt_u32_e64 s2, 8, v65
	s_delay_alu instid0(VALU_DEP_3) | instskip(NEXT) | instid1(VALU_DEP_3)
	v_cmp_gt_u32_e32 vcc_lo, 11, v1
	v_lshlrev_b32_e32 v73, 1, v2
	s_delay_alu instid0(VALU_DEP_3) | instskip(NEXT) | instid1(SALU_CYCLE_1)
	s_and_b32 s7, s2, vcc_lo
	s_and_saveexec_b32 s6, s7
	s_cbranch_execz .LBB1752_10
; %bb.9:
	s_load_b64 s[8:9], s[0:1], 0x0
	v_add_lshl_u32 v2, v1, s31, 6
	s_waitcnt lgkmcnt(0)
	s_mul_hi_i32 s11, s3, s16
	s_mul_i32 s10, s3, s16
	v_lshlrev_b32_e32 v6, 10, v65
	s_lshl_b64 s[10:11], s[10:11], 1
	v_ashrrev_i32_e32 v3, 31, v2
	v_lshlrev_b32_e32 v1, 6, v1
	v_lshlrev_b32_e32 v7, 10, v75
	v_and_b32_e32 v6, 0x3800, v6
	s_delay_alu instid0(VALU_DEP_4) | instskip(NEXT) | instid1(VALU_DEP_2)
	v_lshlrev_b64 v[2:3], 1, v[2:3]
	v_or3_b32 v1, v6, v7, v1
	s_add_u32 s3, s8, s10
	s_addc_u32 s7, s9, s11
	s_delay_alu instid0(VALU_DEP_2) | instskip(NEXT) | instid1(VALU_DEP_3)
	v_add_co_u32 v2, vcc_lo, s3, v2
	v_add_co_ci_u32_e32 v3, vcc_lo, s7, v3, vcc_lo
	s_delay_alu instid0(VALU_DEP_2) | instskip(NEXT) | instid1(VALU_DEP_2)
	v_add_co_u32 v2, vcc_lo, v2, v73
	v_add_co_ci_u32_e32 v3, vcc_lo, 0, v3, vcc_lo
	global_load_b128 v[2:5], v[2:3], off
	s_waitcnt vmcnt(0)
	ds_store_b128 v1, v[2:5]
.LBB1752_10:
	s_or_b32 exec_lo, exec_lo, s6
	v_and_b32_e32 v1, 0xef, v0
	s_waitcnt lgkmcnt(0)
	s_add_i32 s3, s24, 31
	s_clause 0x1
	s_load_b32 s6, s[0:1], 0x38
	s_load_b32 s19, s[0:1], 0x1c
	s_ashr_i32 s7, s3, 31
	v_add_nc_u32_e32 v1, s12, v1
	s_lshr_b32 s7, s7, 27
	s_waitcnt lgkmcnt(0)
	s_add_i32 s3, s3, s7
	s_barrier
	v_ashrrev_i32_e32 v2, 31, v1
	v_or_b32_e32 v3, 16, v1
	s_ashr_i32 s3, s3, 5
	v_cmp_gt_i32_e32 vcc_lo, s24, v1
	s_add_i32 s3, s3, -1
	v_lshrrev_b32_e32 v2, 27, v2
	buffer_gl0_inv
	s_mul_i32 s27, s15, s18
	v_add_nc_u32_e32 v4, v1, v2
	s_mul_i32 s6, s34, s6
	s_delay_alu instid0(SALU_CYCLE_1) | instskip(NEXT) | instid1(VALU_DEP_1)
	s_ashr_i32 s7, s6, 31
	v_ashrrev_i32_e32 v4, 5, v4
	v_add_nc_u32_e32 v2, v3, v2
	s_lshl_b64 s[6:7], s[6:7], 2
	s_delay_alu instid0(SALU_CYCLE_1) | instskip(NEXT) | instid1(VALU_DEP_2)
	s_add_u32 s26, s4, s6
	v_cndmask_b32_e32 v1, s3, v4, vcc_lo
	s_delay_alu instid0(VALU_DEP_2)
	v_ashrrev_i32_e32 v2, 5, v2
	v_cmp_gt_i32_e32 vcc_lo, s24, v3
	s_addc_u32 s25, s5, s7
	s_ashr_i32 s28, s27, 31
	s_add_u32 s4, s20, s27
	s_addc_u32 s5, s21, s28
	v_cndmask_b32_e32 v3, s3, v2, vcc_lo
	v_ashrrev_i32_e32 v2, 31, v1
	s_lshl_b32 s6, s14, 3
	s_delay_alu instid0(SALU_CYCLE_1) | instskip(NEXT) | instid1(VALU_DEP_2)
	s_ashr_i32 s7, s6, 31
	v_ashrrev_i32_e32 v4, 31, v3
	s_delay_alu instid0(VALU_DEP_2) | instskip(SKIP_1) | instid1(SALU_CYCLE_1)
	v_lshlrev_b64 v[1:2], 2, v[1:2]
	s_lshl_b64 s[6:7], s[6:7], 2
	s_add_u32 s6, s26, s6
	s_delay_alu instid0(VALU_DEP_2) | instskip(SKIP_1) | instid1(VALU_DEP_2)
	v_lshlrev_b64 v[3:4], 2, v[3:4]
	s_addc_u32 s7, s25, s7
	v_add_co_u32 v1, vcc_lo, s26, v1
	v_add_co_ci_u32_e32 v2, vcc_lo, s25, v2, vcc_lo
	s_delay_alu instid0(VALU_DEP_3) | instskip(NEXT) | instid1(VALU_DEP_4)
	v_add_co_u32 v3, vcc_lo, s26, v3
	v_add_co_ci_u32_e32 v4, vcc_lo, s25, v4, vcc_lo
	s_clause 0x1
	global_load_b32 v5, v[1:2], off
	global_load_b32 v6, v[3:4], off
	s_or_b32 s8, s12, 32
	s_delay_alu instid0(SALU_CYCLE_1) | instskip(SKIP_2) | instid1(SALU_CYCLE_1)
	s_ashr_i32 s9, s8, 5
	s_cmp_lt_i32 s8, s24
	s_cselect_b32 s8, s9, s3
	s_ashr_i32 s9, s8, 31
	s_delay_alu instid0(SALU_CYCLE_1) | instskip(NEXT) | instid1(SALU_CYCLE_1)
	s_lshl_b64 s[8:9], s[8:9], 2
	s_add_u32 s8, s26, s8
	s_addc_u32 s9, s25, s9
	s_or_b32 s10, s12, 64
	s_delay_alu instid0(SALU_CYCLE_1) | instskip(SKIP_2) | instid1(SALU_CYCLE_1)
	s_ashr_i32 s11, s10, 5
	s_cmp_lt_i32 s10, s24
	s_cselect_b32 s10, s11, s3
	s_ashr_i32 s11, s10, 31
	s_delay_alu instid0(SALU_CYCLE_1) | instskip(NEXT) | instid1(SALU_CYCLE_1)
	s_lshl_b64 s[10:11], s[10:11], 2
	s_add_u32 s10, s26, s10
	s_addc_u32 s11, s25, s11
	;; [unrolled: 10-line block ×5, first 2 shown]
	s_clause 0x5
	s_load_b32 s21, s[6:7], 0x0
	s_load_b32 s13, s[8:9], 0x0
	;; [unrolled: 1-line block ×6, first 2 shown]
	s_or_b32 s8, s12, 0xc0
	s_delay_alu instid0(SALU_CYCLE_1) | instskip(SKIP_2) | instid1(SALU_CYCLE_1)
	s_ashr_i32 s9, s8, 5
	s_cmp_lt_i32 s8, s24
	s_cselect_b32 s36, s9, s3
	s_ashr_i32 s37, s36, 31
	s_delay_alu instid0(SALU_CYCLE_1) | instskip(NEXT) | instid1(SALU_CYCLE_1)
	s_lshl_b64 s[36:37], s[36:37], 2
	s_add_u32 s36, s26, s36
	s_addc_u32 s37, s25, s37
	s_or_b32 s29, s12, 0xe0
	s_delay_alu instid0(SALU_CYCLE_1)
	s_ashr_i32 s30, s29, 5
	s_cmp_lt_i32 s29, s24
	s_waitcnt vmcnt(1)
	v_mad_i64_i32 v[1:2], null, v5, s17, s[4:5]
	s_waitcnt vmcnt(0)
	v_mad_i64_i32 v[3:4], null, v6, s17, s[4:5]
	s_mov_b32 s4, 0
	s_delay_alu instid0(SALU_CYCLE_1)
	s_mov_b32 s5, s4
	s_mov_b32 s6, s4
	s_mov_b32 s7, s4
	s_mov_b32 s8, s4
	s_mov_b32 s9, s4
	s_mov_b32 s10, s4
	s_mov_b32 s11, s4
	v_lshlrev_b32_e32 v5, 4, v65
	v_dual_mov_b32 v107, s11 :: v_dual_mov_b32 v102, s6
	v_mov_b32_e32 v100, s4
	v_mov_b32_e32 v106, s10
	s_delay_alu instid0(VALU_DEP_4)
	v_add_co_u32 v1, vcc_lo, v1, v5
	v_add_co_ci_u32_e32 v2, vcc_lo, 0, v2, vcc_lo
	v_add_co_u32 v3, vcc_lo, v3, v5
	v_add_co_ci_u32_e32 v4, vcc_lo, 0, v4, vcc_lo
	s_clause 0x7
	global_load_b128 v[49:52], v[1:2], off
	global_load_b128 v[53:56], v[1:2], off offset:512
	global_load_b128 v[76:79], v[3:4], off offset:256
	;; [unrolled: 1-line block ×7, first 2 shown]
	v_add_nc_u32_e32 v1, -11, v65
	v_cmp_gt_u32_e32 vcc_lo, 11, v65
	v_dual_mov_b32 v104, s8 :: v_dual_mov_b32 v103, s7
	v_dual_mov_b32 v101, s5 :: v_dual_lshlrev_b32 v2, 5, v65
	s_delay_alu instid0(VALU_DEP_4)
	v_cndmask_b32_e32 v1, v1, v65, vcc_lo
	v_mov_b32_e32 v105, s9
	s_cselect_b32 s4, s30, s3
	s_load_b32 s3, s[36:37], 0x0
	s_ashr_i32 s5, s4, 31
	v_lshlrev_b32_e32 v70, 6, v1
	s_lshl_b64 s[4:5], s[4:5], 2
	v_lshl_or_b32 v2, v66, 9, v2
	s_add_u32 s4, s26, s4
	s_addc_u32 s5, s25, s5
	ds_load_b128 v[108:111], v70
	ds_load_b128 v[112:115], v70 offset:1024
	s_load_b32 s4, s[4:5], 0x0
	s_add_u32 s6, s22, s27
	s_addc_u32 s7, s23, s28
	v_add_co_u32 v9, s6, s6, v2
	s_delay_alu instid0(VALU_DEP_1) | instskip(SKIP_1) | instid1(VALU_DEP_1)
	v_add_co_ci_u32_e64 v10, null, s7, 0, s6
	s_waitcnt lgkmcnt(0)
	v_mad_i64_i32 v[1:2], null, s21, s17, v[9:10]
	v_mad_i64_i32 v[3:4], null, s13, s17, v[9:10]
	;; [unrolled: 1-line block ×7, first 2 shown]
	s_clause 0x9
	global_load_b128 v[57:60], v[1:2], off
	global_load_b128 v[61:64], v[1:2], off offset:16
	global_load_b128 v[41:44], v[3:4], off
	global_load_b128 v[45:48], v[3:4], off offset:16
	;; [unrolled: 2-line block ×5, first 2 shown]
	v_mad_i64_i32 v[68:69], null, s4, s17, v[9:10]
	s_clause 0x3
	global_load_b128 v[9:12], v[13:14], off
	global_load_b128 v[13:16], v[13:14], off offset:16
	global_load_b128 v[17:20], v[21:22], off
	global_load_b128 v[21:24], v[21:22], off offset:16
	s_waitcnt vmcnt(20)
	v_wmma_f32_16x16x16_bf16 v[116:123], v[49:56], v[108:115], v[100:107]
	s_clause 0x1
	global_load_b128 v[49:52], v[68:69], off
	global_load_b128 v[53:56], v[68:69], off offset:16
	v_and_b32_e32 v68, 0xe0, v0
	v_mbcnt_lo_u32_b32 v69, -1, 0
	s_delay_alu instid0(VALU_DEP_2)
	v_add_nc_u32_e32 v68, s12, v68
	s_waitcnt vmcnt(20)
	v_wmma_f32_16x16x16_bf16 v[100:107], v[76:83], v[108:115], v[100:107]
	ds_load_b128 v[76:79], v70 offset:2048
	ds_load_b128 v[80:83], v70 offset:3072
	v_xor_b32_e32 v70, 16, v69
	s_waitcnt vmcnt(0) lgkmcnt(0)
	v_or_b32_e32 v68, v68, v74
	s_barrier
	buffer_gl0_inv
	v_cmp_gt_i32_e32 vcc_lo, 32, v70
	v_or_b32_e32 v71, 4, v68
	v_or_b32_e32 v72, 6, v68
	v_cmp_gt_i32_e64 s3, s24, v68
	v_or_b32_e32 v108, 8, v68
	v_or_b32_e32 v109, 10, v68
	v_cmp_gt_i32_e64 s4, s24, v71
	v_cmp_gt_i32_e64 s5, s24, v72
	s_delay_alu instid0(VALU_DEP_4) | instskip(NEXT) | instid1(VALU_DEP_4)
	v_cmp_gt_i32_e64 s6, s24, v108
	v_cmp_gt_i32_e64 s7, s24, v109
	v_wmma_f32_16x16x16_bf16 v[116:123], v[84:91], v[76:83], v[116:123]
	v_cndmask_b32_e32 v69, v69, v70, vcc_lo
	v_or_b32_e32 v70, 2, v68
	v_wmma_f32_16x16x16_bf16 v[100:107], v[92:99], v[76:83], v[100:107]
	v_or_b32_e32 v89, 22, v68
	v_dual_mul_f32 v80, s19, v121 :: v_dual_mul_f32 v81, s19, v120
	v_dual_mul_f32 v92, s19, v117 :: v_dual_mul_f32 v93, s19, v116
	s_delay_alu instid0(VALU_DEP_4)
	v_mul_f32_e32 v96, s19, v105
	v_cmp_gt_i32_e32 vcc_lo, s24, v70
	v_dual_mul_f32 v79, s19, v122 :: v_dual_mul_f32 v82, s19, v119
	v_dual_mul_f32 v83, s19, v118 :: v_dual_mul_f32 v94, s19, v107
	v_cndmask_b32_e64 v93, 0xff7fffff, v93, s3
	v_cndmask_b32_e32 v92, 0xff7fffff, v92, vcc_lo
	v_or_b32_e32 v84, 12, v68
	v_or_b32_e32 v85, 14, v68
	v_cndmask_b32_e64 v71, 0xff7fffff, v83, s4
	v_cndmask_b32_e64 v72, 0xff7fffff, v82, s5
	v_cmp_gt_i32_e64 s13, s24, v89
	v_lshlrev_b32_e32 v89, 2, v69
	v_max3_f32 v82, v93, 0xff7fffff, v92
	v_or_b32_e32 v86, 16, v68
	v_or_b32_e32 v87, 18, v68
	v_mul_f32_e32 v78, s19, v123
	v_cndmask_b32_e64 v81, 0xff7fffff, v81, s6
	v_cndmask_b32_e64 v80, 0xff7fffff, v80, s7
	v_max3_f32 v71, v82, v71, v72
	v_cmp_gt_i32_e64 s8, s24, v84
	v_cmp_gt_i32_e64 s9, s24, v85
	v_or_b32_e32 v88, 20, v68
	v_or_b32_e32 v90, 24, v68
	;; [unrolled: 1-line block ×5, first 2 shown]
	v_dual_mul_f32 v97, s19, v104 :: v_dual_mul_f32 v70, s19, v101
	v_dual_mul_f32 v99, s19, v102 :: v_dual_mul_f32 v68, s19, v100
	v_cndmask_b32_e64 v72, 0xff7fffff, v79, s8
	v_cndmask_b32_e64 v78, 0xff7fffff, v78, s9
	v_max3_f32 v71, v71, v81, v80
	v_cmp_gt_i32_e64 s10, s24, v86
	v_cmp_gt_i32_e64 s11, s24, v87
	v_dual_mul_f32 v95, s19, v106 :: v_dual_mul_f32 v98, s19, v103
	s_delay_alu instid0(VALU_DEP_4) | instskip(NEXT) | instid1(VALU_DEP_4)
	v_max3_f32 v71, v71, v72, v78
	v_cndmask_b32_e64 v68, 0xff7fffff, v68, s10
	s_delay_alu instid0(VALU_DEP_4)
	v_cndmask_b32_e64 v70, 0xff7fffff, v70, s11
	v_cmp_gt_i32_e64 s12, s24, v88
	v_cndmask_b32_e64 v78, 0xff7fffff, v98, s13
	v_cmp_gt_i32_e64 s15, s24, v90
	v_cmp_gt_i32_e64 s16, s24, v91
	v_max3_f32 v68, v71, v68, v70
	v_cndmask_b32_e64 v72, 0xff7fffff, v99, s12
	v_cmp_gt_i32_e64 s17, s24, v76
	v_cndmask_b32_e64 v70, 0xff7fffff, v97, s15
	v_cndmask_b32_e64 v71, 0xff7fffff, v96, s16
	v_cmp_gt_i32_e64 s18, s24, v77
	v_max3_f32 v68, v68, v72, v78
	v_cndmask_b32_e64 v72, 0xff7fffff, v95, s17
	s_delay_alu instid0(VALU_DEP_3) | instskip(NEXT) | instid1(VALU_DEP_3)
	v_cndmask_b32_e64 v76, 0xff7fffff, v94, s18
	v_max3_f32 v68, v68, v70, v71
	s_delay_alu instid0(VALU_DEP_1) | instskip(SKIP_3) | instid1(VALU_DEP_1)
	v_max3_f32 v68, v68, v72, v76
	ds_bpermute_b32 v69, v89, v68
	s_waitcnt lgkmcnt(0)
	v_max_f32_e32 v69, v69, v69
	v_max_f32_e32 v68, v68, v69
	s_delay_alu instid0(VALU_DEP_1) | instskip(NEXT) | instid1(VALU_DEP_1)
	v_fma_f32 v71, s19, v118, -v68
	v_mul_f32_e32 v71, 0x3fb8aa3b, v71
	v_fma_f32 v70, s19, v117, -v68
	v_fma_f32 v69, s19, v116, -v68
	;; [unrolled: 1-line block ×5, first 2 shown]
	s_delay_alu instid0(VALU_DEP_4) | instskip(SKIP_1) | instid1(VALU_DEP_3)
	v_dual_mul_f32 v70, 0x3fb8aa3b, v70 :: v_dual_mul_f32 v69, 0x3fb8aa3b, v69
	v_exp_f32_e32 v71, v71
	v_mul_f32_e32 v72, 0x3fb8aa3b, v72
	v_fma_f32 v81, s19, v105, -v68
	s_delay_alu instid0(VALU_DEP_3)
	v_exp_f32_e32 v70, v70
	v_mul_f32_e32 v77, 0x3fb8aa3b, v76
	v_exp_f32_e32 v69, v69
	v_exp_f32_e32 v72, v72
	v_mul_f32_e32 v81, 0x3fb8aa3b, v81
	v_cndmask_b32_e64 v83, 0, v71, s4
	v_fma_f32 v71, s19, v123, -v68
	s_delay_alu instid0(VALU_DEP_3) | instskip(SKIP_4) | instid1(TRANS32_DEP_3)
	v_exp_f32_e32 v81, v81
	v_cndmask_b32_e32 v76, 0, v70, vcc_lo
	v_exp_f32_e32 v77, v77
	v_cndmask_b32_e64 v80, 0, v69, s3
	v_fma_f32 v69, s19, v121, -v68
	v_cndmask_b32_e64 v85, 0, v72, s5
	v_mul_f32_e32 v71, 0x3fb8aa3b, v71
	v_fma_f32 v72, s19, v100, -v68
	s_delay_alu instid0(VALU_DEP_4) | instskip(SKIP_1) | instid1(VALU_DEP_4)
	v_dual_add_f32 v70, 0, v80 :: v_dual_mul_f32 v69, 0x3fb8aa3b, v69
	v_cmp_gt_u32_e64 s3, 16, v67
	v_exp_f32_e32 v71, v71
	s_delay_alu instid0(TRANS32_DEP_2) | instskip(SKIP_4) | instid1(VALU_DEP_3)
	v_cndmask_b32_e64 v86, 0, v77, s6
	v_fma_f32 v77, s19, v101, -v68
	v_mul_f32_e32 v78, 0x3fb8aa3b, v78
	v_add_f32_e32 v70, v70, v76
	v_exp_f32_e32 v69, v69
	v_mul_f32_e32 v77, 0x3fb8aa3b, v77
	s_delay_alu instid0(VALU_DEP_3) | instskip(NEXT) | instid1(TRANS32_DEP_3)
	v_exp_f32_e32 v78, v78
	v_cndmask_b32_e64 v88, 0, v71, s9
	v_fma_f32 v71, s19, v104, -v68
	s_delay_alu instid0(VALU_DEP_3) | instskip(NEXT) | instid1(TRANS32_DEP_3)
	v_exp_f32_e32 v77, v77
	v_cndmask_b32_e64 v87, 0, v69, s7
	s_delay_alu instid0(VALU_DEP_2)
	v_mul_f32_e32 v71, 0x3fb8aa3b, v71
	s_waitcnt_depctr 0xfff
	v_cndmask_b32_e64 v84, 0, v78, s8
	v_add_f32_e32 v70, v70, v83
	v_fma_f32 v78, s19, v103, -v68
	v_exp_f32_e32 v82, v71
	s_delay_alu instid0(VALU_DEP_2) | instskip(SKIP_1) | instid1(VALU_DEP_3)
	v_add_f32_e32 v70, v70, v85
	v_mul_f32_e32 v72, 0x3fb8aa3b, v72
	v_mul_f32_e32 v78, 0x3fb8aa3b, v78
	s_delay_alu instid0(VALU_DEP_3) | instskip(SKIP_1) | instid1(VALU_DEP_4)
	v_add_f32_e32 v69, v70, v86
	v_fma_f32 v70, s19, v102, -v68
	v_exp_f32_e32 v72, v72
	s_delay_alu instid0(VALU_DEP_3) | instskip(NEXT) | instid1(VALU_DEP_1)
	v_exp_f32_e32 v78, v78
	v_dual_add_f32 v69, v69, v87 :: v_dual_mul_f32 v70, 0x3fb8aa3b, v70
	s_delay_alu instid0(VALU_DEP_1) | instskip(NEXT) | instid1(VALU_DEP_2)
	v_add_f32_e32 v69, v69, v84
	v_exp_f32_e32 v79, v70
	s_delay_alu instid0(TRANS32_DEP_3) | instskip(NEXT) | instid1(VALU_DEP_2)
	v_cndmask_b32_e64 v70, 0, v72, s10
	v_add_f32_e32 v72, v69, v88
	v_cndmask_b32_e64 v69, 0, v77, s11
	v_fma_f32 v77, s19, v106, -v68
	s_waitcnt_depctr 0xfff
	v_cndmask_b32_e64 v71, 0, v79, s12
	v_dual_mul_f32 v77, 0x3fb8aa3b, v77 :: v_dual_add_f32 v72, v72, v70
	s_delay_alu instid0(VALU_DEP_1) | instskip(NEXT) | instid1(VALU_DEP_1)
	v_exp_f32_e32 v90, v77
	v_add_f32_e32 v79, v72, v69
	v_cndmask_b32_e64 v72, 0, v78, s13
	v_cndmask_b32_e64 v77, 0, v82, s15
	s_delay_alu instid0(VALU_DEP_3) | instskip(SKIP_1) | instid1(VALU_DEP_1)
	v_add_f32_e32 v78, v79, v71
	v_fma_f32 v79, s19, v107, -v68
	v_dual_add_f32 v82, v78, v72 :: v_dual_mul_f32 v79, 0x3fb8aa3b, v79
	v_cndmask_b32_e64 v78, 0, v81, s16
	s_delay_alu instid0(VALU_DEP_2) | instskip(NEXT) | instid1(VALU_DEP_3)
	v_add_f32_e32 v81, v82, v77
	v_exp_f32_e32 v82, v79
	v_cndmask_b32_e64 v79, 0, v90, s17
	s_delay_alu instid0(VALU_DEP_2) | instskip(NEXT) | instid1(VALU_DEP_1)
	v_add_f32_e32 v81, v81, v78
	v_add_f32_e32 v90, v81, v79
	s_waitcnt_depctr 0xfff
	v_cndmask_b32_e64 v81, 0, v82, s18
	s_delay_alu instid0(VALU_DEP_1)
	v_add_f32_e32 v82, v90, v81
	ds_bpermute_b32 v89, v89, v82
	s_and_saveexec_b32 s4, s3
	s_cbranch_execz .LBB1752_12
; %bb.11:
	v_mul_u32_u24_e32 v67, 0x44, v66
	s_delay_alu instid0(VALU_DEP_1) | instskip(SKIP_1) | instid1(VALU_DEP_1)
	v_lshl_add_u32 v67, v65, 2, v67
	s_waitcnt lgkmcnt(0)
	v_dual_add_f32 v82, v82, v89 :: v_dual_add_nc_u32 v67, 0x4000, v67
	ds_store_2addr_b32 v67, v68, v82 offset1:136
.LBB1752_12:
	s_or_b32 exec_lo, exec_lo, s4
	v_lshlrev_b32_e32 v67, 2, v65
	s_waitcnt lgkmcnt(0)
	s_barrier
	buffer_gl0_inv
	v_cmp_eq_u32_e32 vcc_lo, 1, v66
	v_add_nc_u32_e32 v82, 0x4000, v67
	v_cmp_eq_u32_e64 s4, 2, v66
	v_cmp_eq_u32_e64 s6, 7, v66
	ds_load_2addr_b32 v[89:90], v82 offset1:17
	ds_load_2addr_b32 v[91:92], v82 offset0:34 offset1:51
	ds_load_2addr_b32 v[93:94], v82 offset0:68 offset1:85
	;; [unrolled: 1-line block ×4, first 2 shown]
	s_waitcnt lgkmcnt(4)
	v_max3_f32 v67, v89, 0xff7fffff, v90
	s_waitcnt lgkmcnt(3)
	s_delay_alu instid0(VALU_DEP_1) | instskip(SKIP_1) | instid1(VALU_DEP_1)
	v_max3_f32 v67, v67, v91, v92
	s_waitcnt lgkmcnt(2)
	v_max3_f32 v67, v67, v93, v94
	s_waitcnt lgkmcnt(1)
	s_delay_alu instid0(VALU_DEP_1) | instskip(NEXT) | instid1(VALU_DEP_1)
	v_max3_f32 v67, v67, v95, v96
	v_sub_f32_e32 v93, v93, v67
	s_delay_alu instid0(VALU_DEP_1) | instskip(NEXT) | instid1(VALU_DEP_1)
	v_dual_sub_f32 v68, v89, v67 :: v_dual_mul_f32 v103, 0x3fb8aa3b, v93
	v_mul_f32_e32 v68, 0x3fb8aa3b, v68
	s_delay_alu instid0(VALU_DEP_1)
	v_exp_f32_e32 v100, v68
	v_sub_f32_e32 v68, v92, v67
	v_sub_f32_e32 v99, v90, v67
	ds_load_2addr_b32 v[89:90], v82 offset0:170 offset1:187
	v_dual_mul_f32 v102, 0x3fb8aa3b, v68 :: v_dual_mul_f32 v99, 0x3fb8aa3b, v99
	s_waitcnt lgkmcnt(1)
	v_fma_f32 v68, v100, v97, 0
	s_delay_alu instid0(VALU_DEP_2) | instskip(NEXT) | instid1(VALU_DEP_2)
	v_exp_f32_e32 v102, v102
	v_exp_f32_e32 v99, v99
	s_waitcnt_depctr 0xfff
	v_fmac_f32_e32 v68, v99, v98
	v_sub_f32_e32 v91, v91, v67
	s_delay_alu instid0(VALU_DEP_1)
	v_mul_f32_e32 v101, 0x3fb8aa3b, v91
	ds_load_2addr_b32 v[91:92], v82 offset0:204 offset1:221
	v_sub_f32_e32 v97, v94, v67
	ds_load_2addr_b32 v[93:94], v82 offset0:238 offset1:255
	s_waitcnt lgkmcnt(0)
	v_exp_f32_e32 v101, v101
	s_barrier
	buffer_gl0_inv
	v_dual_fmac_f32 v68, v101, v89 :: v_dual_sub_f32 v89, v96, v67
	v_dual_sub_f32 v82, v95, v67 :: v_dual_mul_f32 v95, 0x3fb8aa3b, v97
	v_exp_f32_e32 v97, v103
	s_delay_alu instid0(VALU_DEP_2) | instskip(NEXT) | instid1(VALU_DEP_2)
	v_dual_fmac_f32 v68, v102, v90 :: v_dual_mul_f32 v89, 0x3fb8aa3b, v89
	v_mul_f32_e32 v82, 0x3fb8aa3b, v82
	s_delay_alu instid0(VALU_DEP_3) | instskip(NEXT) | instid1(VALU_DEP_2)
	v_exp_f32_e32 v95, v95
	v_exp_f32_e32 v89, v89
	s_delay_alu instid0(VALU_DEP_1)
	v_exp_f32_e32 v82, v82
	v_fmac_f32_e32 v68, v97, v91
	s_delay_alu instid0(TRANS32_DEP_3) | instid1(VALU_DEP_1)
	v_fmac_f32_e32 v68, v95, v92
	s_waitcnt_depctr 0xfff
	v_fmac_f32_e32 v68, v82, v93
	s_delay_alu instid0(VALU_DEP_1) | instskip(NEXT) | instid1(VALU_DEP_1)
	v_fmac_f32_e32 v68, v89, v94
	v_add_f32_e32 v90, 0x358637bd, v68
	s_delay_alu instid0(VALU_DEP_1) | instskip(NEXT) | instid1(VALU_DEP_1)
	v_div_scale_f32 v91, null, v90, v90, 1.0
	v_rcp_f32_e32 v92, v91
	s_waitcnt_depctr 0xfff
	v_fma_f32 v93, -v91, v92, 1.0
	s_delay_alu instid0(VALU_DEP_1) | instskip(SKIP_1) | instid1(VALU_DEP_2)
	v_dual_fmac_f32 v92, v93, v92 :: v_dual_cndmask_b32 v93, v100, v99
	v_cmp_eq_u32_e32 vcc_lo, 3, v66
	v_cndmask_b32_e64 v93, v93, v101, s4
	v_cmp_eq_u32_e64 s4, 4, v66
	s_delay_alu instid0(VALU_DEP_2) | instskip(SKIP_1) | instid1(VALU_DEP_2)
	v_cndmask_b32_e32 v93, v93, v102, vcc_lo
	v_cmp_eq_u32_e32 vcc_lo, 5, v66
	v_cndmask_b32_e64 v93, v93, v97, s4
	v_cmp_eq_u32_e64 s4, 6, v66
	s_delay_alu instid0(VALU_DEP_2) | instskip(SKIP_1) | instid1(VALU_DEP_1)
	v_cndmask_b32_e32 v93, v93, v95, vcc_lo
	v_div_scale_f32 v94, s5, 1.0, v90, 1.0
	s_mov_b32 vcc_lo, s5
	s_delay_alu instid0(VALU_DEP_2) | instskip(NEXT) | instid1(VALU_DEP_2)
	v_cndmask_b32_e64 v82, v93, v82, s4
	v_mul_f32_e32 v96, v94, v92
	s_mov_b32 s4, exec_lo
	s_delay_alu instid0(VALU_DEP_2) | instskip(NEXT) | instid1(VALU_DEP_2)
	v_cndmask_b32_e64 v82, v82, v89, s6
	v_fma_f32 v98, -v91, v96, v94
	s_delay_alu instid0(VALU_DEP_1) | instskip(NEXT) | instid1(VALU_DEP_1)
	v_fmac_f32_e32 v96, v98, v92
	v_fma_f32 v91, -v91, v96, v94
	s_delay_alu instid0(VALU_DEP_1) | instskip(NEXT) | instid1(VALU_DEP_1)
	v_div_fmas_f32 v91, v91, v92, v96
	v_div_fixup_f32 v90, v91, v90, 1.0
	s_delay_alu instid0(VALU_DEP_1) | instskip(NEXT) | instid1(VALU_DEP_1)
	v_mul_f32_e32 v82, v82, v90
	v_mul_f32_e32 v87, v82, v87
	;; [unrolled: 1-line block ×7, first 2 shown]
	v_dual_mul_f32 v86, v82, v83 :: v_dual_and_b32 v91, 0x7f800000, v90
	v_mul_f32_e32 v85, v82, v76
                                        ; implicit-def: $vgpr76
	s_delay_alu instid0(VALU_DEP_2)
	v_cmpx_ne_u32_e32 0x7f800000, v91
	s_xor_b32 s4, exec_lo, s4
; %bb.13:
	v_bfe_u32 v76, v90, 16, 1
	s_delay_alu instid0(VALU_DEP_1)
	v_add3_u32 v76, v90, v76, 0x7fff
                                        ; implicit-def: $vgpr90
; %bb.14:
	s_and_not1_saveexec_b32 s4, s4
; %bb.15:
	v_and_b32_e32 v76, 0xffff, v90
	v_or_b32_e32 v83, 0x10000, v90
	s_delay_alu instid0(VALU_DEP_2) | instskip(NEXT) | instid1(VALU_DEP_2)
	v_cmp_eq_u32_e32 vcc_lo, 0, v76
	v_cndmask_b32_e32 v76, v83, v90, vcc_lo
; %bb.16:
	s_or_b32 exec_lo, exec_lo, s4
	v_and_b32_e32 v83, 0x7f800000, v85
	s_delay_alu instid0(VALU_DEP_1) | instskip(SKIP_1) | instid1(SALU_CYCLE_1)
	v_cmp_ne_u32_e32 vcc_lo, 0x7f800000, v83
                                        ; implicit-def: $vgpr83
	s_and_saveexec_b32 s4, vcc_lo
	s_xor_b32 s4, exec_lo, s4
; %bb.17:
	v_bfe_u32 v83, v85, 16, 1
	s_delay_alu instid0(VALU_DEP_1)
	v_add3_u32 v83, v85, v83, 0x7fff
                                        ; implicit-def: $vgpr85
; %bb.18:
	s_and_not1_saveexec_b32 s4, s4
; %bb.19:
	v_and_b32_e32 v83, 0xffff, v85
	v_or_b32_e32 v90, 0x10000, v85
	s_delay_alu instid0(VALU_DEP_2) | instskip(NEXT) | instid1(VALU_DEP_2)
	v_cmp_eq_u32_e32 vcc_lo, 0, v83
	v_cndmask_b32_e32 v83, v90, v85, vcc_lo
; %bb.20:
	s_or_b32 exec_lo, exec_lo, s4
	v_and_b32_e32 v85, 0x7f800000, v86
	s_delay_alu instid0(VALU_DEP_1) | instskip(SKIP_1) | instid1(SALU_CYCLE_1)
	v_cmp_ne_u32_e32 vcc_lo, 0x7f800000, v85
                                        ; implicit-def: $vgpr85
	s_and_saveexec_b32 s4, vcc_lo
	s_xor_b32 s4, exec_lo, s4
; %bb.21:
	v_bfe_u32 v85, v86, 16, 1
	s_delay_alu instid0(VALU_DEP_1)
	v_add3_u32 v85, v86, v85, 0x7fff
                                        ; implicit-def: $vgpr86
; %bb.22:
	s_and_not1_saveexec_b32 s4, s4
; %bb.23:
	v_and_b32_e32 v85, 0xffff, v86
	v_or_b32_e32 v90, 0x10000, v86
	s_delay_alu instid0(VALU_DEP_2) | instskip(NEXT) | instid1(VALU_DEP_2)
	v_cmp_eq_u32_e32 vcc_lo, 0, v85
	v_cndmask_b32_e32 v85, v90, v86, vcc_lo
; %bb.24:
	s_or_b32 exec_lo, exec_lo, s4
	v_and_b32_e32 v86, 0x7f800000, v89
	s_delay_alu instid0(VALU_DEP_1) | instskip(SKIP_1) | instid1(SALU_CYCLE_1)
	v_cmp_ne_u32_e32 vcc_lo, 0x7f800000, v86
                                        ; implicit-def: $vgpr86
	s_and_saveexec_b32 s4, vcc_lo
	s_xor_b32 s4, exec_lo, s4
; %bb.25:
	v_bfe_u32 v86, v89, 16, 1
	s_delay_alu instid0(VALU_DEP_1)
	v_add3_u32 v86, v89, v86, 0x7fff
                                        ; implicit-def: $vgpr89
; %bb.26:
	s_and_not1_saveexec_b32 s4, s4
; %bb.27:
	v_and_b32_e32 v86, 0xffff, v89
	v_or_b32_e32 v90, 0x10000, v89
	s_delay_alu instid0(VALU_DEP_2) | instskip(NEXT) | instid1(VALU_DEP_2)
	v_cmp_eq_u32_e32 vcc_lo, 0, v86
	v_cndmask_b32_e32 v86, v90, v89, vcc_lo
; %bb.28:
	s_or_b32 exec_lo, exec_lo, s4
	v_and_b32_e32 v89, 0x7f800000, v88
	s_delay_alu instid0(VALU_DEP_1) | instskip(SKIP_1) | instid1(SALU_CYCLE_1)
	v_cmp_ne_u32_e32 vcc_lo, 0x7f800000, v89
                                        ; implicit-def: $vgpr89
	s_and_saveexec_b32 s4, vcc_lo
	s_xor_b32 s4, exec_lo, s4
; %bb.29:
	v_bfe_u32 v89, v88, 16, 1
	s_delay_alu instid0(VALU_DEP_1)
	v_add3_u32 v89, v88, v89, 0x7fff
                                        ; implicit-def: $vgpr88
; %bb.30:
	s_and_not1_saveexec_b32 s4, s4
; %bb.31:
	v_and_b32_e32 v89, 0xffff, v88
	v_or_b32_e32 v90, 0x10000, v88
	s_delay_alu instid0(VALU_DEP_2) | instskip(NEXT) | instid1(VALU_DEP_2)
	v_cmp_eq_u32_e32 vcc_lo, 0, v89
	v_cndmask_b32_e32 v89, v90, v88, vcc_lo
; %bb.32:
	s_or_b32 exec_lo, exec_lo, s4
	v_and_b32_e32 v88, 0x7f800000, v87
	s_delay_alu instid0(VALU_DEP_1) | instskip(SKIP_1) | instid1(SALU_CYCLE_1)
	v_cmp_ne_u32_e32 vcc_lo, 0x7f800000, v88
                                        ; implicit-def: $vgpr88
	s_and_saveexec_b32 s4, vcc_lo
	s_xor_b32 s4, exec_lo, s4
; %bb.33:
	v_bfe_u32 v88, v87, 16, 1
	s_delay_alu instid0(VALU_DEP_1)
	v_add3_u32 v88, v87, v88, 0x7fff
                                        ; implicit-def: $vgpr87
; %bb.34:
	s_and_not1_saveexec_b32 s4, s4
; %bb.35:
	v_and_b32_e32 v88, 0xffff, v87
	v_or_b32_e32 v90, 0x10000, v87
	s_delay_alu instid0(VALU_DEP_2) | instskip(NEXT) | instid1(VALU_DEP_2)
	v_cmp_eq_u32_e32 vcc_lo, 0, v88
	v_cndmask_b32_e32 v88, v90, v87, vcc_lo
; %bb.36:
	s_or_b32 exec_lo, exec_lo, s4
	v_and_b32_e32 v87, 0x7f800000, v84
	s_delay_alu instid0(VALU_DEP_1) | instskip(SKIP_1) | instid1(SALU_CYCLE_1)
	v_cmp_ne_u32_e32 vcc_lo, 0x7f800000, v87
                                        ; implicit-def: $vgpr87
	s_and_saveexec_b32 s4, vcc_lo
	s_xor_b32 s4, exec_lo, s4
; %bb.37:
	v_bfe_u32 v87, v84, 16, 1
	s_delay_alu instid0(VALU_DEP_1)
	v_add3_u32 v87, v84, v87, 0x7fff
                                        ; implicit-def: $vgpr84
; %bb.38:
	s_and_not1_saveexec_b32 s4, s4
; %bb.39:
	v_and_b32_e32 v87, 0xffff, v84
	v_or_b32_e32 v90, 0x10000, v84
	s_delay_alu instid0(VALU_DEP_2) | instskip(NEXT) | instid1(VALU_DEP_2)
	v_cmp_eq_u32_e32 vcc_lo, 0, v87
	v_cndmask_b32_e32 v87, v90, v84, vcc_lo
; %bb.40:
	s_or_b32 exec_lo, exec_lo, s4
	v_and_b32_e32 v84, 0x7f800000, v80
	s_delay_alu instid0(VALU_DEP_1) | instskip(SKIP_1) | instid1(SALU_CYCLE_1)
	v_cmp_ne_u32_e32 vcc_lo, 0x7f800000, v84
                                        ; implicit-def: $vgpr84
	s_and_saveexec_b32 s4, vcc_lo
	s_xor_b32 s4, exec_lo, s4
; %bb.41:
	v_bfe_u32 v84, v80, 16, 1
	s_delay_alu instid0(VALU_DEP_1)
	v_add3_u32 v84, v80, v84, 0x7fff
                                        ; implicit-def: $vgpr80
; %bb.42:
	s_and_not1_saveexec_b32 s4, s4
; %bb.43:
	v_and_b32_e32 v84, 0xffff, v80
	v_or_b32_e32 v90, 0x10000, v80
	s_delay_alu instid0(VALU_DEP_2) | instskip(NEXT) | instid1(VALU_DEP_2)
	v_cmp_eq_u32_e32 vcc_lo, 0, v84
	v_cndmask_b32_e32 v84, v90, v80, vcc_lo
; %bb.44:
	s_or_b32 exec_lo, exec_lo, s4
	s_load_b64 s[36:37], s[0:1], 0x94
	v_lshlrev_b32_e32 v91, 4, v74
	s_delay_alu instid0(VALU_DEP_2)
	v_perm_b32 v90, v84, v87, 0x7060302
	v_dual_mul_f32 v79, v82, v79 :: v_dual_lshlrev_b32 v80, 6, v65
	v_dual_mul_f32 v77, v82, v77 :: v_dual_lshlrev_b32 v92, 11, v66
	v_mul_f32_e32 v84, v82, v70
	v_perm_b32 v89, v88, v89, 0x7060302
	v_perm_b32 v88, v86, v85, 0x7060302
	;; [unrolled: 1-line block ×3, first 2 shown]
	v_mul_f32_e32 v70, v82, v81
	v_or3_b32 v76, v91, v92, v80
	v_dual_mul_f32 v78, v82, v78 :: v_dual_and_b32 v85, 0x7f800000, v84
	v_mul_f32_e32 v83, v82, v72
	v_mul_f32_e32 v81, v82, v71
	;; [unrolled: 1-line block ×3, first 2 shown]
	s_mov_b32 s4, exec_lo
	ds_store_b128 v76, v[87:90]
                                        ; implicit-def: $vgpr69
	v_cmpx_ne_u32_e32 0x7f800000, v85
	s_xor_b32 s4, exec_lo, s4
; %bb.45:
	v_bfe_u32 v69, v84, 16, 1
	s_delay_alu instid0(VALU_DEP_1)
	v_add3_u32 v69, v84, v69, 0x7fff
                                        ; implicit-def: $vgpr84
; %bb.46:
	s_and_not1_saveexec_b32 s4, s4
; %bb.47:
	v_and_b32_e32 v69, 0xffff, v84
	v_or_b32_e32 v71, 0x10000, v84
	s_delay_alu instid0(VALU_DEP_2) | instskip(NEXT) | instid1(VALU_DEP_2)
	v_cmp_eq_u32_e32 vcc_lo, 0, v69
	v_cndmask_b32_e32 v69, v71, v84, vcc_lo
; %bb.48:
	s_or_b32 exec_lo, exec_lo, s4
	v_and_b32_e32 v71, 0x7f800000, v72
	s_delay_alu instid0(VALU_DEP_1) | instskip(SKIP_1) | instid1(SALU_CYCLE_1)
	v_cmp_ne_u32_e32 vcc_lo, 0x7f800000, v71
                                        ; implicit-def: $vgpr71
	s_and_saveexec_b32 s4, vcc_lo
	s_xor_b32 s4, exec_lo, s4
; %bb.49:
	v_bfe_u32 v71, v72, 16, 1
	s_delay_alu instid0(VALU_DEP_1)
	v_add3_u32 v71, v72, v71, 0x7fff
                                        ; implicit-def: $vgpr72
; %bb.50:
	s_and_not1_saveexec_b32 s4, s4
; %bb.51:
	v_and_b32_e32 v71, 0xffff, v72
	v_or_b32_e32 v82, 0x10000, v72
	s_delay_alu instid0(VALU_DEP_2) | instskip(NEXT) | instid1(VALU_DEP_2)
	v_cmp_eq_u32_e32 vcc_lo, 0, v71
	v_cndmask_b32_e32 v71, v82, v72, vcc_lo
; %bb.52:
	s_or_b32 exec_lo, exec_lo, s4
	v_and_b32_e32 v72, 0x7f800000, v81
	s_delay_alu instid0(VALU_DEP_1) | instskip(SKIP_1) | instid1(SALU_CYCLE_1)
	v_cmp_ne_u32_e32 vcc_lo, 0x7f800000, v72
                                        ; implicit-def: $vgpr72
	s_and_saveexec_b32 s4, vcc_lo
	s_xor_b32 s4, exec_lo, s4
; %bb.53:
	v_bfe_u32 v72, v81, 16, 1
	s_delay_alu instid0(VALU_DEP_1)
	v_add3_u32 v72, v81, v72, 0x7fff
                                        ; implicit-def: $vgpr81
; %bb.54:
	s_and_not1_saveexec_b32 s4, s4
; %bb.55:
	v_and_b32_e32 v72, 0xffff, v81
	v_or_b32_e32 v82, 0x10000, v81
	s_delay_alu instid0(VALU_DEP_2) | instskip(NEXT) | instid1(VALU_DEP_2)
	v_cmp_eq_u32_e32 vcc_lo, 0, v72
	v_cndmask_b32_e32 v72, v82, v81, vcc_lo
; %bb.56:
	s_or_b32 exec_lo, exec_lo, s4
	v_and_b32_e32 v81, 0x7f800000, v83
	s_delay_alu instid0(VALU_DEP_1) | instskip(SKIP_1) | instid1(SALU_CYCLE_1)
	v_cmp_ne_u32_e32 vcc_lo, 0x7f800000, v81
                                        ; implicit-def: $vgpr81
	s_and_saveexec_b32 s4, vcc_lo
	s_xor_b32 s4, exec_lo, s4
; %bb.57:
	v_bfe_u32 v81, v83, 16, 1
	s_delay_alu instid0(VALU_DEP_1)
	v_add3_u32 v81, v83, v81, 0x7fff
                                        ; implicit-def: $vgpr83
; %bb.58:
	s_and_not1_saveexec_b32 s4, s4
; %bb.59:
	v_and_b32_e32 v81, 0xffff, v83
	v_or_b32_e32 v82, 0x10000, v83
	s_delay_alu instid0(VALU_DEP_2) | instskip(NEXT) | instid1(VALU_DEP_2)
	v_cmp_eq_u32_e32 vcc_lo, 0, v81
	v_cndmask_b32_e32 v81, v82, v83, vcc_lo
; %bb.60:
	s_or_b32 exec_lo, exec_lo, s4
	v_and_b32_e32 v82, 0x7f800000, v77
	s_delay_alu instid0(VALU_DEP_1) | instskip(SKIP_1) | instid1(SALU_CYCLE_1)
	v_cmp_ne_u32_e32 vcc_lo, 0x7f800000, v82
                                        ; implicit-def: $vgpr82
	s_and_saveexec_b32 s4, vcc_lo
	s_xor_b32 s4, exec_lo, s4
; %bb.61:
	v_bfe_u32 v82, v77, 16, 1
	s_delay_alu instid0(VALU_DEP_1)
	v_add3_u32 v82, v77, v82, 0x7fff
                                        ; implicit-def: $vgpr77
; %bb.62:
	s_and_not1_saveexec_b32 s4, s4
; %bb.63:
	v_and_b32_e32 v82, 0xffff, v77
	v_or_b32_e32 v83, 0x10000, v77
	s_delay_alu instid0(VALU_DEP_2) | instskip(NEXT) | instid1(VALU_DEP_2)
	v_cmp_eq_u32_e32 vcc_lo, 0, v82
	v_cndmask_b32_e32 v82, v83, v77, vcc_lo
; %bb.64:
	s_or_b32 exec_lo, exec_lo, s4
	v_and_b32_e32 v77, 0x7f800000, v78
	s_delay_alu instid0(VALU_DEP_1) | instskip(SKIP_1) | instid1(SALU_CYCLE_1)
	v_cmp_ne_u32_e32 vcc_lo, 0x7f800000, v77
                                        ; implicit-def: $vgpr77
	s_and_saveexec_b32 s4, vcc_lo
	s_xor_b32 s4, exec_lo, s4
; %bb.65:
	v_bfe_u32 v77, v78, 16, 1
	s_delay_alu instid0(VALU_DEP_1)
	v_add3_u32 v77, v78, v77, 0x7fff
                                        ; implicit-def: $vgpr78
; %bb.66:
	s_and_not1_saveexec_b32 s4, s4
; %bb.67:
	v_and_b32_e32 v77, 0xffff, v78
	v_or_b32_e32 v83, 0x10000, v78
	s_delay_alu instid0(VALU_DEP_2) | instskip(NEXT) | instid1(VALU_DEP_2)
	v_cmp_eq_u32_e32 vcc_lo, 0, v77
	v_cndmask_b32_e32 v77, v83, v78, vcc_lo
; %bb.68:
	s_or_b32 exec_lo, exec_lo, s4
	v_and_b32_e32 v78, 0x7f800000, v79
	s_delay_alu instid0(VALU_DEP_1) | instskip(SKIP_1) | instid1(SALU_CYCLE_1)
	v_cmp_ne_u32_e32 vcc_lo, 0x7f800000, v78
                                        ; implicit-def: $vgpr78
	s_and_saveexec_b32 s4, vcc_lo
	s_xor_b32 s4, exec_lo, s4
; %bb.69:
	v_bfe_u32 v78, v79, 16, 1
	s_delay_alu instid0(VALU_DEP_1)
	v_add3_u32 v78, v79, v78, 0x7fff
                                        ; implicit-def: $vgpr79
; %bb.70:
	s_and_not1_saveexec_b32 s4, s4
; %bb.71:
	v_and_b32_e32 v78, 0xffff, v79
	v_or_b32_e32 v83, 0x10000, v79
	s_delay_alu instid0(VALU_DEP_2) | instskip(NEXT) | instid1(VALU_DEP_2)
	v_cmp_eq_u32_e32 vcc_lo, 0, v78
	v_cndmask_b32_e32 v78, v83, v79, vcc_lo
; %bb.72:
	s_or_b32 exec_lo, exec_lo, s4
	v_and_b32_e32 v79, 0x7f800000, v70
	s_delay_alu instid0(VALU_DEP_1) | instskip(SKIP_1) | instid1(SALU_CYCLE_1)
	v_cmp_ne_u32_e32 vcc_lo, 0x7f800000, v79
                                        ; implicit-def: $vgpr79
	s_and_saveexec_b32 s4, vcc_lo
	s_xor_b32 s4, exec_lo, s4
; %bb.73:
	v_bfe_u32 v79, v70, 16, 1
	s_delay_alu instid0(VALU_DEP_1)
	v_add3_u32 v79, v70, v79, 0x7fff
                                        ; implicit-def: $vgpr70
; %bb.74:
	s_and_not1_saveexec_b32 s4, s4
; %bb.75:
	v_and_b32_e32 v79, 0xffff, v70
	v_or_b32_e32 v83, 0x10000, v70
	s_delay_alu instid0(VALU_DEP_2) | instskip(NEXT) | instid1(VALU_DEP_2)
	v_cmp_eq_u32_e32 vcc_lo, 0, v79
	v_cndmask_b32_e32 v79, v83, v70, vcc_lo
; %bb.76:
	s_or_b32 exec_lo, exec_lo, s4
	s_delay_alu instid0(VALU_DEP_1)
	v_perm_b32 v86, v79, v78, 0x7060302
	v_perm_b32 v85, v77, v82, 0x7060302
	;; [unrolled: 1-line block ×4, first 2 shown]
	v_lshl_or_b32 v82, v66, 11, v80
	ds_store_b128 v76, v[83:86] offset:1024
	s_waitcnt lgkmcnt(0)
	s_barrier
	buffer_gl0_inv
	ds_load_b128 v[69:72], v82
	ds_load_b128 v[83:86], v82 offset:16
	s_waitcnt lgkmcnt(1)
	v_lshrrev_b32_e32 v66, 16, v69
	s_waitcnt lgkmcnt(0)
	v_lshrrev_b32_e32 v91, 16, v83
	v_lshlrev_b32_e32 v78, 2, v74
	v_lshrrev_b32_e32 v95, 16, v70
	v_lshrrev_b32_e32 v98, 16, v84
	;; [unrolled: 1-line block ×4, first 2 shown]
	v_cmp_eq_u32_e32 vcc_lo, 1, v78
	v_lshrrev_b32_e32 v97, 16, v72
	v_lshrrev_b32_e32 v100, 16, v86
	v_cndmask_b32_e32 v87, v83, v91, vcc_lo
	v_or_b32_e32 v79, 1, v78
	v_cndmask_b32_e32 v81, v69, v66, vcc_lo
	v_cmp_eq_u32_e64 s5, 2, v78
	v_cmp_eq_u32_e64 s8, 3, v78
	;; [unrolled: 1-line block ×5, first 2 shown]
	v_cndmask_b32_e64 v81, v81, v70, s5
	v_cndmask_b32_e64 v87, v87, v84, s5
	v_cmp_eq_u32_e64 s9, 3, v79
	v_cndmask_b32_e64 v88, v69, v66, s4
	v_or_b32_e32 v77, 2, v78
	v_cndmask_b32_e64 v81, v81, v95, s8
	v_cndmask_b32_e64 v87, v87, v98, s8
	;; [unrolled: 1-line block ×4, first 2 shown]
	v_cmp_eq_u32_e64 s11, 5, v78
	v_cndmask_b32_e64 v81, v81, v71, s10
	v_cndmask_b32_e64 v87, v87, v85, s10
	v_cmp_eq_u32_e64 s12, 4, v79
	v_cndmask_b32_e64 v88, v88, v95, s9
	v_cmp_eq_u32_e64 s6, 1, v77
	v_cndmask_b32_e64 v89, v89, v84, s7
	v_cndmask_b32_e64 v81, v81, v96, s11
	v_cmp_eq_u32_e64 s13, 6, v78
	v_cndmask_b32_e64 v88, v88, v71, s12
	;; [unrolled: 3-line block ×3, first 2 shown]
	v_cndmask_b32_e64 v89, v89, v98, s9
	v_cndmask_b32_e64 v81, v81, v72, s13
	v_cmp_eq_u32_e64 s16, 7, v78
	v_cndmask_b32_e64 v88, v88, v96, s15
	v_cndmask_b32_e64 v87, v87, v86, s13
	v_cmp_eq_u32_e64 s17, 6, v79
	v_cmp_eq_u32_e64 s18, 2, v77
	v_cndmask_b32_e64 v89, v89, v85, s12
	v_cndmask_b32_e64 v101, v81, v97, s16
	;; [unrolled: 1-line block ×6, first 2 shown]
	v_cmp_eq_u32_e64 s19, 7, v79
	v_cmp_eq_u32_e64 s20, 3, v77
	;; [unrolled: 1-line block ×4, first 2 shown]
	v_cndmask_b32_e64 v87, v87, v84, s18
	v_cndmask_b32_e64 v103, v88, v97, s19
	;; [unrolled: 1-line block ×4, first 2 shown]
	v_or_b32_e32 v81, 3, v78
	v_cndmask_b32_e64 v93, v87, v98, s20
	v_cmp_eq_u32_e64 s25, 6, v77
	v_cndmask_b32_e64 v104, v88, v86, s17
	v_cndmask_b32_e64 v92, v89, v71, s21
	v_cmp_eq_u32_e64 s22, 1, v81
	ds_load_b128 v[87:90], v82 offset:1024
	v_cmp_eq_u32_e64 s24, 2, v81
	v_cmp_eq_u32_e64 s26, 3, v81
	v_cndmask_b32_e64 v105, v92, v96, s23
	v_cndmask_b32_e64 v66, v69, v66, s22
	v_cndmask_b32_e64 v69, v93, v85, s21
	v_cndmask_b32_e64 v83, v83, v91, s22
	ds_load_b128 v[91:94], v82 offset:1040
	v_cmp_eq_u32_e64 s27, 4, v81
	v_cndmask_b32_e64 v66, v66, v70, s24
	v_cmp_eq_u32_e64 s28, 7, v77
	v_cndmask_b32_e64 v70, v83, v84, s24
	v_cndmask_b32_e64 v84, v105, v72, s25
	v_cmp_eq_u32_e64 s29, 5, v81
	v_cndmask_b32_e64 v66, v66, v95, s26
	v_cmp_eq_u32_e64 s30, 6, v81
	v_cndmask_b32_e64 v70, v70, v98, s26
	v_cndmask_b32_e64 v69, v69, v99, s23
	;; [unrolled: 1-line block ×4, first 2 shown]
	s_waitcnt lgkmcnt(1)
	v_lshrrev_b32_e32 v95, 16, v87
	v_cndmask_b32_e64 v70, v70, v85, s27
	v_cndmask_b32_e64 v71, v84, v97, s28
	;; [unrolled: 1-line block ×4, first 2 shown]
	v_cndmask_b32_e32 v84, v87, v95, vcc_lo
	v_cndmask_b32_e64 v70, v70, v99, s29
	s_waitcnt lgkmcnt(0)
	v_lshrrev_b32_e32 v85, 16, v91
	v_lshrrev_b32_e32 v96, 16, v88
	v_cndmask_b32_e64 v98, v87, v95, s4
	v_cndmask_b32_e64 v84, v84, v88, s5
	v_cndmask_b32_e64 v70, v70, v86, s30
	v_cndmask_b32_e32 v99, v91, v85, vcc_lo
	v_cmp_eq_u32_e32 vcc_lo, 7, v81
	v_cndmask_b32_e64 v66, v66, v72, s30
	v_cndmask_b32_e64 v72, v84, v96, s8
	;; [unrolled: 1-line block ×3, first 2 shown]
	v_lshrrev_b32_e32 v98, 16, v92
	v_cndmask_b32_e32 v70, v70, v100, vcc_lo
	v_cndmask_b32_e64 v86, v99, v92, s5
	v_cndmask_b32_e64 v69, v69, v100, s28
	v_lshrrev_b32_e32 v100, 16, v93
	v_cndmask_b32_e64 v72, v72, v89, s10
	v_lshrrev_b32_e32 v99, 16, v89
	v_cndmask_b32_e64 v86, v86, v98, s8
	v_perm_b32 v71, v69, v71, 0x5040100
	v_cndmask_b32_e64 v84, v84, v96, s9
	s_delay_alu instid0(VALU_DEP_3) | instskip(NEXT) | instid1(VALU_DEP_2)
	v_cndmask_b32_e64 v86, v86, v93, s10
	v_cndmask_b32_e64 v84, v84, v89, s12
	s_delay_alu instid0(VALU_DEP_2) | instskip(NEXT) | instid1(VALU_DEP_1)
	v_cndmask_b32_e64 v86, v86, v100, s11
	v_cndmask_b32_e64 v69, v86, v94, s13
	;; [unrolled: 1-line block ×5, first 2 shown]
	s_delay_alu instid0(VALU_DEP_3) | instskip(NEXT) | instid1(VALU_DEP_3)
	v_cndmask_b32_e64 v86, v86, v88, s18
	v_cndmask_b32_e64 v87, v87, v88, s24
	s_delay_alu instid0(VALU_DEP_3) | instskip(NEXT) | instid1(VALU_DEP_3)
	v_cndmask_b32_e64 v88, v95, v92, s24
	v_cndmask_b32_e64 v86, v86, v96, s20
	;; [unrolled: 3-line block ×7, first 2 shown]
	s_delay_alu instid0(VALU_DEP_3) | instskip(SKIP_2) | instid1(VALU_DEP_2)
	v_cndmask_b32_e64 v88, v88, v94, s30
	v_cndmask_b32_e32 v66, v66, v97, vcc_lo
	v_cndmask_b32_e64 v97, v72, v99, s11
	v_perm_b32 v72, v70, v66, 0x5040100
	v_perm_b32 v70, v83, v103, 0x5040100
	v_cndmask_b32_e64 v103, v91, v85, s6
	v_cndmask_b32_e64 v85, v91, v85, s4
	;; [unrolled: 1-line block ×4, first 2 shown]
	v_lshrrev_b32_e32 v97, 16, v90
	v_cndmask_b32_e64 v91, v103, v92, s18
	v_cndmask_b32_e64 v85, v85, v92, s7
	;; [unrolled: 1-line block ×3, first 2 shown]
	s_mov_b32 s4, exec_lo
	v_cndmask_b32_e64 v83, v84, v97, s16
	v_cndmask_b32_e64 v91, v91, v98, s20
	;; [unrolled: 1-line block ×3, first 2 shown]
	v_lshrrev_b32_e32 v84, 16, v94
	v_cndmask_b32_e64 v66, v66, v97, s19
	v_cndmask_b32_e64 v90, v86, v97, s28
	;; [unrolled: 1-line block ×4, first 2 shown]
	v_dual_cndmask_b32 v86, v87, v97 :: v_dual_cndmask_b32 v87, v88, v84
	v_cndmask_b32_e64 v91, v69, v84, s16
	s_delay_alu instid0(VALU_DEP_4) | instskip(NEXT) | instid1(VALU_DEP_4)
	v_cndmask_b32_e64 v89, v89, v100, s23
	v_cndmask_b32_e64 v85, v85, v100, s15
	v_perm_b32 v69, v102, v101, 0x5040100
	v_perm_b32 v86, v87, v86, 0x5040100
	;; [unrolled: 1-line block ×3, first 2 shown]
	v_cndmask_b32_e64 v89, v89, v94, s25
	v_cndmask_b32_e64 v85, v85, v94, s17
	s_mul_i32 s9, s37, 11
	s_delay_alu instid0(VALU_DEP_2) | instskip(NEXT) | instid1(VALU_DEP_2)
	v_cndmask_b32_e64 v88, v89, v84, s28
	v_cndmask_b32_e64 v89, v85, v84, s19
	s_delay_alu instid0(VALU_DEP_2) | instskip(NEXT) | instid1(VALU_DEP_2)
	v_perm_b32 v85, v88, v90, 0x5040100
	v_perm_b32 v84, v89, v66, 0x5040100
	ds_store_b128 v76, v[69:72]
	ds_store_b128 v76, v[83:86] offset:1024
	v_cmpx_gt_u32_e32 11, v0
	s_cbranch_execz .LBB1752_78
; %bb.77:
	s_mul_i32 s5, s9, s34
	s_load_b128 s[16:19], s[0:1], 0x58
	v_add3_u32 v69, s5, s31, v65
	s_delay_alu instid0(VALU_DEP_1) | instskip(NEXT) | instid1(VALU_DEP_1)
	v_mad_u64_u32 v[65:66], null, v69, s36, s[14:15]
	v_ashrrev_i32_e32 v66, 31, v65
	s_delay_alu instid0(VALU_DEP_1) | instskip(SKIP_1) | instid1(VALU_DEP_1)
	v_lshlrev_b64 v[65:66], 2, v[65:66]
	s_waitcnt lgkmcnt(0)
	v_add_co_u32 v69, vcc_lo, s18, v65
	s_delay_alu instid0(VALU_DEP_2)
	v_add_co_ci_u32_e32 v70, vcc_lo, s19, v66, vcc_lo
	v_add_co_u32 v65, vcc_lo, s16, v65
	v_add_co_ci_u32_e32 v66, vcc_lo, s17, v66, vcc_lo
	global_store_b32 v[69:70], v67, off
	global_store_b32 v[65:66], v68, off
.LBB1752_78:
	s_or_b32 exec_lo, exec_lo, s4
	s_waitcnt lgkmcnt(0)
	s_waitcnt_vscnt null, 0x0
	s_barrier
	buffer_gl0_inv
	ds_load_b128 v[83:86], v80
	ds_load_b128 v[87:90], v80 offset:16
	ds_load_b128 v[95:98], v80 offset:2064
	;; [unrolled: 1-line block ×3, first 2 shown]
	v_mov_b32_e32 v65, 0
	ds_load_b128 v[103:106], v80 offset:4112
	ds_load_b128 v[99:102], v80 offset:4096
	ds_load_b128 v[111:114], v80 offset:6160
	ds_load_b128 v[107:110], v80 offset:6144
	v_mov_b32_e32 v66, v65
	v_mov_b32_e32 v67, v65
	;; [unrolled: 1-line block ×7, first 2 shown]
	s_waitcnt lgkmcnt(6)
	s_delay_alu instid0(VALU_DEP_1)
	v_wmma_f32_16x16x16_bf16 v[65:72], v[57:64], v[83:90], v[65:72]
	ds_load_b128 v[61:64], v80 offset:8208
	ds_load_b128 v[57:60], v80 offset:8192
	s_waitcnt lgkmcnt(6)
	v_wmma_f32_16x16x16_bf16 v[65:72], v[41:48], v[91:98], v[65:72]
	ds_load_b128 v[45:48], v80 offset:10256
	ds_load_b128 v[41:44], v80 offset:10240
	s_waitcnt lgkmcnt(6)
	;; [unrolled: 4-line block ×4, first 2 shown]
	v_wmma_f32_16x16x16_bf16 v[65:72], v[1:8], v[57:64], v[65:72]
	s_waitcnt lgkmcnt(4)
	s_delay_alu instid0(VALU_DEP_1) | instskip(SKIP_1) | instid1(VALU_DEP_1)
	v_wmma_f32_16x16x16_bf16 v[65:72], v[9:16], v[41:48], v[65:72]
	s_waitcnt lgkmcnt(2)
	v_wmma_f32_16x16x16_bf16 v[65:72], v[17:24], v[33:40], v[65:72]
	s_waitcnt lgkmcnt(0)
	s_delay_alu instid0(VALU_DEP_1) | instskip(NEXT) | instid1(VALU_DEP_1)
	v_wmma_f32_16x16x16_bf16 v[65:72], v[49:56], v[25:32], v[65:72]
	v_and_b32_e32 v1, 0x7f800000, v65
	s_delay_alu instid0(VALU_DEP_1) | instskip(SKIP_1) | instid1(SALU_CYCLE_1)
	v_cmp_ne_u32_e32 vcc_lo, 0x7f800000, v1
                                        ; implicit-def: $vgpr1
	s_and_saveexec_b32 s4, vcc_lo
	s_xor_b32 s4, exec_lo, s4
; %bb.79:
	v_bfe_u32 v1, v65, 16, 1
	s_delay_alu instid0(VALU_DEP_1)
	v_add3_u32 v1, v65, v1, 0x7fff
; %bb.80:
	s_and_not1_saveexec_b32 s4, s4
; %bb.81:
	v_and_b32_e32 v1, 0xffff, v65
	v_or_b32_e32 v2, 0x10000, v65
	s_delay_alu instid0(VALU_DEP_2) | instskip(NEXT) | instid1(VALU_DEP_2)
	v_cmp_eq_u32_e32 vcc_lo, 0, v1
	v_cndmask_b32_e32 v1, v2, v65, vcc_lo
; %bb.82:
	s_or_b32 exec_lo, exec_lo, s4
	v_and_b32_e32 v2, 0x7f800000, v66
	s_delay_alu instid0(VALU_DEP_1) | instskip(SKIP_1) | instid1(SALU_CYCLE_1)
	v_cmp_ne_u32_e32 vcc_lo, 0x7f800000, v2
                                        ; implicit-def: $vgpr2
	s_and_saveexec_b32 s4, vcc_lo
	s_xor_b32 s4, exec_lo, s4
; %bb.83:
	v_bfe_u32 v2, v66, 16, 1
	s_delay_alu instid0(VALU_DEP_1)
	v_add3_u32 v2, v66, v2, 0x7fff
; %bb.84:
	s_and_not1_saveexec_b32 s4, s4
; %bb.85:
	v_and_b32_e32 v2, 0xffff, v66
	v_or_b32_e32 v3, 0x10000, v66
	s_delay_alu instid0(VALU_DEP_2) | instskip(NEXT) | instid1(VALU_DEP_2)
	v_cmp_eq_u32_e32 vcc_lo, 0, v2
	v_cndmask_b32_e32 v2, v3, v66, vcc_lo
; %bb.86:
	s_or_b32 exec_lo, exec_lo, s4
	v_and_b32_e32 v3, 0x7f800000, v67
	s_delay_alu instid0(VALU_DEP_1) | instskip(SKIP_1) | instid1(SALU_CYCLE_1)
	v_cmp_ne_u32_e32 vcc_lo, 0x7f800000, v3
                                        ; implicit-def: $vgpr3
	s_and_saveexec_b32 s4, vcc_lo
	s_xor_b32 s4, exec_lo, s4
; %bb.87:
	v_bfe_u32 v3, v67, 16, 1
	s_delay_alu instid0(VALU_DEP_1)
	v_add3_u32 v3, v67, v3, 0x7fff
; %bb.88:
	s_and_not1_saveexec_b32 s4, s4
; %bb.89:
	v_and_b32_e32 v3, 0xffff, v67
	v_or_b32_e32 v4, 0x10000, v67
	s_delay_alu instid0(VALU_DEP_2) | instskip(NEXT) | instid1(VALU_DEP_2)
	v_cmp_eq_u32_e32 vcc_lo, 0, v3
	v_cndmask_b32_e32 v3, v4, v67, vcc_lo
; %bb.90:
	s_or_b32 exec_lo, exec_lo, s4
	v_and_b32_e32 v4, 0x7f800000, v68
	s_delay_alu instid0(VALU_DEP_1) | instskip(SKIP_1) | instid1(SALU_CYCLE_1)
	v_cmp_ne_u32_e32 vcc_lo, 0x7f800000, v4
                                        ; implicit-def: $vgpr4
	s_and_saveexec_b32 s4, vcc_lo
	s_xor_b32 s4, exec_lo, s4
; %bb.91:
	v_bfe_u32 v4, v68, 16, 1
	s_delay_alu instid0(VALU_DEP_1)
	v_add3_u32 v4, v68, v4, 0x7fff
; %bb.92:
	s_and_not1_saveexec_b32 s4, s4
; %bb.93:
	v_and_b32_e32 v4, 0xffff, v68
	v_or_b32_e32 v5, 0x10000, v68
	s_delay_alu instid0(VALU_DEP_2) | instskip(NEXT) | instid1(VALU_DEP_2)
	v_cmp_eq_u32_e32 vcc_lo, 0, v4
	v_cndmask_b32_e32 v4, v5, v68, vcc_lo
; %bb.94:
	s_or_b32 exec_lo, exec_lo, s4
	v_and_b32_e32 v5, 0x7f800000, v69
	s_delay_alu instid0(VALU_DEP_1) | instskip(SKIP_1) | instid1(SALU_CYCLE_1)
	v_cmp_ne_u32_e32 vcc_lo, 0x7f800000, v5
                                        ; implicit-def: $vgpr5
	s_and_saveexec_b32 s4, vcc_lo
	s_xor_b32 s4, exec_lo, s4
; %bb.95:
	v_bfe_u32 v5, v69, 16, 1
	s_delay_alu instid0(VALU_DEP_1)
	v_add3_u32 v5, v69, v5, 0x7fff
; %bb.96:
	s_and_not1_saveexec_b32 s4, s4
; %bb.97:
	v_and_b32_e32 v5, 0xffff, v69
	v_or_b32_e32 v6, 0x10000, v69
	s_delay_alu instid0(VALU_DEP_2) | instskip(NEXT) | instid1(VALU_DEP_2)
	v_cmp_eq_u32_e32 vcc_lo, 0, v5
	v_cndmask_b32_e32 v5, v6, v69, vcc_lo
; %bb.98:
	s_or_b32 exec_lo, exec_lo, s4
	v_and_b32_e32 v6, 0x7f800000, v70
	s_delay_alu instid0(VALU_DEP_1) | instskip(SKIP_1) | instid1(SALU_CYCLE_1)
	v_cmp_ne_u32_e32 vcc_lo, 0x7f800000, v6
                                        ; implicit-def: $vgpr6
	s_and_saveexec_b32 s4, vcc_lo
	s_xor_b32 s4, exec_lo, s4
; %bb.99:
	v_bfe_u32 v6, v70, 16, 1
	s_delay_alu instid0(VALU_DEP_1)
	v_add3_u32 v6, v70, v6, 0x7fff
; %bb.100:
	s_and_not1_saveexec_b32 s4, s4
; %bb.101:
	v_and_b32_e32 v6, 0xffff, v70
	v_or_b32_e32 v7, 0x10000, v70
	s_delay_alu instid0(VALU_DEP_2) | instskip(NEXT) | instid1(VALU_DEP_2)
	v_cmp_eq_u32_e32 vcc_lo, 0, v6
	v_cndmask_b32_e32 v6, v7, v70, vcc_lo
; %bb.102:
	s_or_b32 exec_lo, exec_lo, s4
	v_and_b32_e32 v7, 0x7f800000, v71
	s_delay_alu instid0(VALU_DEP_1) | instskip(SKIP_1) | instid1(SALU_CYCLE_1)
	v_cmp_ne_u32_e32 vcc_lo, 0x7f800000, v7
                                        ; implicit-def: $vgpr7
	s_and_saveexec_b32 s4, vcc_lo
	s_xor_b32 s4, exec_lo, s4
; %bb.103:
	v_bfe_u32 v7, v71, 16, 1
	s_delay_alu instid0(VALU_DEP_1)
	v_add3_u32 v7, v71, v7, 0x7fff
; %bb.104:
	s_and_not1_saveexec_b32 s4, s4
; %bb.105:
	v_and_b32_e32 v7, 0xffff, v71
	v_or_b32_e32 v8, 0x10000, v71
	s_delay_alu instid0(VALU_DEP_2) | instskip(NEXT) | instid1(VALU_DEP_2)
	v_cmp_eq_u32_e32 vcc_lo, 0, v7
	v_cndmask_b32_e32 v7, v8, v71, vcc_lo
; %bb.106:
	s_or_b32 exec_lo, exec_lo, s4
	v_and_b32_e32 v8, 0x7f800000, v72
	s_delay_alu instid0(VALU_DEP_1) | instskip(SKIP_1) | instid1(SALU_CYCLE_1)
	v_cmp_ne_u32_e32 vcc_lo, 0x7f800000, v8
                                        ; implicit-def: $vgpr8
	s_and_saveexec_b32 s4, vcc_lo
	s_xor_b32 s4, exec_lo, s4
; %bb.107:
	v_bfe_u32 v8, v72, 16, 1
	s_delay_alu instid0(VALU_DEP_1)
	v_add3_u32 v8, v72, v8, 0x7fff
                                        ; implicit-def: $vgpr65_vgpr66_vgpr67_vgpr68_vgpr69_vgpr70_vgpr71_vgpr72
; %bb.108:
	s_and_not1_saveexec_b32 s4, s4
; %bb.109:
	v_and_b32_e32 v8, 0xffff, v72
	v_or_b32_e32 v9, 0x10000, v72
	s_delay_alu instid0(VALU_DEP_2) | instskip(NEXT) | instid1(VALU_DEP_2)
	v_cmp_eq_u32_e32 vcc_lo, 0, v8
	v_cndmask_b32_e32 v8, v9, v72, vcc_lo
; %bb.110:
	s_or_b32 exec_lo, exec_lo, s4
	s_delay_alu instid0(VALU_DEP_1)
	v_perm_b32 v7, v8, v7, 0x7060302
	v_perm_b32 v6, v6, v5, 0x7060302
	;; [unrolled: 1-line block ×4, first 2 shown]
	s_barrier
	buffer_gl0_inv
	v_cmp_eq_u32_e32 vcc_lo, 1, v78
	ds_store_b128 v76, v[4:7]
	s_waitcnt lgkmcnt(0)
	s_barrier
	buffer_gl0_inv
	ds_load_b128 v[1:4], v82
	ds_load_b128 v[5:8], v82 offset:16
	v_cmp_eq_u32_e64 s4, 1, v79
	v_cmp_eq_u32_e64 s5, 2, v78
	;; [unrolled: 1-line block ×5, first 2 shown]
	s_waitcnt lgkmcnt(1)
	v_lshrrev_b32_e32 v9, 16, v1
	s_waitcnt lgkmcnt(0)
	v_lshrrev_b32_e32 v13, 16, v5
	v_lshrrev_b32_e32 v10, 16, v2
	;; [unrolled: 1-line block ×4, first 2 shown]
	v_cndmask_b32_e64 v19, v1, v9, s4
	v_cndmask_b32_e32 v18, v5, v13, vcc_lo
	v_cndmask_b32_e64 v20, v5, v13, s4
	v_cndmask_b32_e32 v17, v1, v9, vcc_lo
	v_cmp_eq_u32_e32 vcc_lo, 2, v79
	v_lshrrev_b32_e32 v15, 16, v7
	v_cmp_eq_u32_e64 s4, 1, v77
	v_lshrrev_b32_e32 v12, 16, v4
	v_lshrrev_b32_e32 v16, 16, v8
	v_cndmask_b32_e32 v20, v20, v6, vcc_lo
	v_cndmask_b32_e64 v17, v17, v2, s5
	v_cndmask_b32_e32 v19, v19, v2, vcc_lo
	v_cndmask_b32_e64 v18, v18, v6, s5
	v_cmp_eq_u32_e32 vcc_lo, 4, v78
	v_cmp_eq_u32_e64 s5, 3, v79
	v_cndmask_b32_e64 v17, v17, v10, s6
	v_cndmask_b32_e64 v21, v1, v9, s4
	;; [unrolled: 1-line block ×5, first 2 shown]
	v_cndmask_b32_e32 v17, v17, v3, vcc_lo
	v_cndmask_b32_e64 v20, v20, v14, s5
	v_cndmask_b32_e32 v18, v18, v7, vcc_lo
	v_cmp_eq_u32_e32 vcc_lo, 4, v79
	v_cmp_eq_u32_e64 s5, 5, v79
	v_cmp_eq_u32_e64 s4, 2, v81
	v_cndmask_b32_e64 v21, v21, v2, s8
	v_cmp_eq_u32_e64 s6, 5, v78
	v_cndmask_b32_e32 v19, v19, v3, vcc_lo
	v_cndmask_b32_e32 v20, v20, v7, vcc_lo
	v_cmp_eq_u32_e32 vcc_lo, 6, v79
	s_delay_alu instid0(VALU_DEP_4) | instskip(NEXT) | instid1(VALU_DEP_4)
	v_cndmask_b32_e64 v17, v17, v11, s6
	v_cndmask_b32_e64 v19, v19, v11, s5
	s_delay_alu instid0(VALU_DEP_4) | instskip(SKIP_1) | instid1(VALU_DEP_3)
	v_cndmask_b32_e64 v20, v20, v15, s5
	v_cmp_eq_u32_e64 s5, 1, v81
	v_cndmask_b32_e32 v19, v19, v4, vcc_lo
	v_cndmask_b32_e64 v18, v18, v15, s6
	s_delay_alu instid0(VALU_DEP_3)
	v_cndmask_b32_e64 v1, v1, v9, s5
	v_cndmask_b32_e64 v5, v5, v13, s5
	v_cmp_eq_u32_e64 s5, 3, v77
	v_cndmask_b32_e64 v13, v22, v6, s8
	v_cmp_eq_u32_e64 s8, 3, v81
	v_cndmask_b32_e64 v1, v1, v2, s4
	v_cndmask_b32_e64 v2, v5, v6, s4
	;; [unrolled: 1-line block ×3, first 2 shown]
	v_cmp_eq_u32_e64 s4, 4, v77
	v_cndmask_b32_e64 v6, v13, v14, s5
	v_cndmask_b32_e64 v1, v1, v10, s8
	v_cmp_eq_u32_e64 s5, 4, v81
	v_cndmask_b32_e64 v2, v2, v14, s8
	v_cndmask_b32_e64 v5, v9, v3, s4
	;; [unrolled: 3-line block ×3, first 2 shown]
	v_cndmask_b32_e64 v2, v2, v7, s5
	v_cmp_eq_u32_e64 s4, 5, v81
	v_cmp_eq_u32_e64 s6, 6, v78
	v_cndmask_b32_e64 v5, v5, v11, s8
	v_cmp_eq_u32_e64 s5, 6, v77
	v_cndmask_b32_e64 v3, v6, v15, s8
	v_cndmask_b32_e64 v1, v1, v11, s4
	v_cmp_eq_u32_e64 s8, 6, v81
	v_cndmask_b32_e64 v2, v2, v15, s4
	v_cndmask_b32_e64 v17, v17, v4, s6
	v_cndmask_b32_e64 v18, v18, v8, s6
	v_cmp_eq_u32_e64 s6, 7, v78
	v_cndmask_b32_e64 v5, v5, v4, s5
	;; [unrolled: 4-line block ×3, first 2 shown]
	v_cmp_eq_u32_e64 s5, 7, v77
	v_cndmask_b32_e32 v4, v20, v8, vcc_lo
	v_cndmask_b32_e64 v17, v17, v12, s6
	v_cndmask_b32_e64 v19, v19, v12, s7
	;; [unrolled: 1-line block ×8, first 2 shown]
	v_cmp_gt_u32_e32 vcc_lo, 32, v0
	v_perm_b32 v4, v2, v1, 0x5040100
	v_perm_b32 v3, v3, v5, 0x5040100
	;; [unrolled: 1-line block ×4, first 2 shown]
	s_and_b32 s2, vcc_lo, s2
	ds_store_b128 v76, v[1:4]
	s_waitcnt lgkmcnt(0)
	s_barrier
	buffer_gl0_inv
	s_and_saveexec_b32 s4, s2
	s_cbranch_execz .LBB1752_2
; %bb.111:
	s_load_b64 s[4:5], s[0:1], 0x68
	v_lshlrev_b32_e32 v0, 10, v0
	v_lshlrev_b32_e32 v1, 4, v75
	s_lshl_b32 s0, s36, 6
	v_add_nc_u32_e32 v7, s31, v74
	s_mul_i32 s1, s0, s34
	s_delay_alu instid0(SALU_CYCLE_1) | instskip(SKIP_1) | instid1(VALU_DEP_2)
	s_mul_i32 s6, s1, s9
	v_and_or_b32 v0, 0x3800, v0, v1
	v_mul_lo_u32 v1, v7, s0
	v_add_nc_u32_e32 v2, 2, v7
	s_ashr_i32 s7, s6, 31
	v_add_nc_u32_e32 v4, 4, v7
	s_lshl_b64 s[6:7], s[6:7], 1
	v_add_nc_u32_e32 v8, 6, v7
	v_mul_lo_u32 v3, v2, s0
	v_lshl_or_b32 v19, v74, 6, v0
	v_ashrrev_i32_e32 v2, 31, v1
	v_mul_lo_u32 v11, v4, s0
	v_mul_lo_u32 v25, v8, s0
	s_waitcnt lgkmcnt(0)
	s_add_u32 s1, s4, s6
	s_addc_u32 s2, s5, s7
	s_lshl_b32 s4, s14, 6
	v_lshlrev_b64 v[5:6], 1, v[1:2]
	s_ashr_i32 s5, s4, 31
	v_ashrrev_i32_e32 v4, 31, v3
	s_lshl_b64 s[4:5], s[4:5], 1
	v_ashrrev_i32_e32 v12, 31, v11
	s_add_u32 s1, s1, s4
	s_addc_u32 s2, s2, s5
	v_add_co_u32 v1, s1, s1, v73
	s_delay_alu instid0(VALU_DEP_1) | instskip(SKIP_1) | instid1(VALU_DEP_3)
	v_add_co_ci_u32_e64 v2, null, s2, 0, s1
	v_lshlrev_b64 v[3:4], 1, v[3:4]
	v_add_co_u32 v23, vcc_lo, v1, v5
	v_add_nc_u32_e32 v5, 8, v7
	s_delay_alu instid0(VALU_DEP_4) | instskip(NEXT) | instid1(VALU_DEP_4)
	v_add_co_ci_u32_e32 v24, vcc_lo, v2, v6, vcc_lo
	v_add_co_u32 v27, vcc_lo, v1, v3
	s_delay_alu instid0(VALU_DEP_3)
	v_mul_lo_u32 v29, v5, s0
	v_add_co_ci_u32_e32 v28, vcc_lo, v2, v4, vcc_lo
	ds_load_b128 v[3:6], v19
	ds_load_b128 v[7:10], v19 offset:128
	v_lshlrev_b64 v[31:32], 1, v[11:12]
	ds_load_b128 v[11:14], v19 offset:256
	ds_load_b128 v[15:18], v19 offset:384
	;; [unrolled: 1-line block ×3, first 2 shown]
	v_ashrrev_i32_e32 v26, 31, v25
	v_ashrrev_i32_e32 v30, 31, v29
	v_add_co_u32 v31, vcc_lo, v1, v31
	s_delay_alu instid0(VALU_DEP_3) | instskip(NEXT) | instid1(VALU_DEP_3)
	v_lshlrev_b64 v[25:26], 1, v[25:26]
	v_lshlrev_b64 v[29:30], 1, v[29:30]
	v_add_co_ci_u32_e32 v32, vcc_lo, v2, v32, vcc_lo
	s_delay_alu instid0(VALU_DEP_3) | instskip(NEXT) | instid1(VALU_DEP_4)
	v_add_co_u32 v25, vcc_lo, v1, v25
	v_add_co_ci_u32_e32 v26, vcc_lo, v2, v26, vcc_lo
	s_delay_alu instid0(VALU_DEP_4)
	v_add_co_u32 v29, vcc_lo, v1, v29
	v_add_co_ci_u32_e32 v30, vcc_lo, v2, v30, vcc_lo
	s_waitcnt lgkmcnt(4)
	global_store_b128 v[23:24], v[3:6], off
	s_waitcnt lgkmcnt(3)
	global_store_b128 v[27:28], v[7:10], off
	;; [unrolled: 2-line block ×5, first 2 shown]
	s_and_b32 exec_lo, exec_lo, s3
	s_cbranch_execz .LBB1752_2
; %bb.112:
	ds_load_b128 v[3:6], v0 offset:640
	s_add_i32 s1, s31, 10
	s_delay_alu instid0(SALU_CYCLE_1) | instskip(NEXT) | instid1(SALU_CYCLE_1)
	s_mul_i32 s0, s1, s0
	s_ashr_i32 s1, s0, 31
	s_delay_alu instid0(SALU_CYCLE_1) | instskip(NEXT) | instid1(SALU_CYCLE_1)
	s_lshl_b64 s[0:1], s[0:1], 1
	v_add_co_u32 v0, vcc_lo, v1, s0
	v_add_co_ci_u32_e32 v1, vcc_lo, s1, v2, vcc_lo
	s_waitcnt lgkmcnt(0)
	global_store_b128 v[0:1], v[3:6], off
	s_nop 0
	s_sendmsg sendmsg(MSG_DEALLOC_VGPRS)
	s_endpgm
	.section	.rodata,"a",@progbits
	.p2align	6, 0x0
	.amdhsa_kernel _Z39paged_attention_ll4mi_QKV_mfma16_kernelI14__hip_bfloat16hLN4vllm18Fp8KVCacheDataTypeE1EhLi32ELi64ELi256ELb0ELi11EL8MFMAType0EEvPKT_PKT0_S9_ifPKiSB_SB_iPKfiiiPfSE_PS4_PT2_iSD_SD_
		.amdhsa_group_segment_fixed_size 17472
		.amdhsa_private_segment_fixed_size 0
		.amdhsa_kernarg_size 400
		.amdhsa_user_sgpr_count 13
		.amdhsa_user_sgpr_dispatch_ptr 0
		.amdhsa_user_sgpr_queue_ptr 0
		.amdhsa_user_sgpr_kernarg_segment_ptr 1
		.amdhsa_user_sgpr_dispatch_id 0
		.amdhsa_user_sgpr_private_segment_size 0
		.amdhsa_wavefront_size32 1
		.amdhsa_uses_dynamic_stack 0
		.amdhsa_enable_private_segment 0
		.amdhsa_system_sgpr_workgroup_id_x 1
		.amdhsa_system_sgpr_workgroup_id_y 1
		.amdhsa_system_sgpr_workgroup_id_z 1
		.amdhsa_system_sgpr_workgroup_info 0
		.amdhsa_system_vgpr_workitem_id 0
		.amdhsa_next_free_vgpr 124
		.amdhsa_next_free_sgpr 42
		.amdhsa_reserve_vcc 1
		.amdhsa_float_round_mode_32 0
		.amdhsa_float_round_mode_16_64 0
		.amdhsa_float_denorm_mode_32 3
		.amdhsa_float_denorm_mode_16_64 3
		.amdhsa_dx10_clamp 1
		.amdhsa_ieee_mode 1
		.amdhsa_fp16_overflow 0
		.amdhsa_workgroup_processor_mode 1
		.amdhsa_memory_ordered 1
		.amdhsa_forward_progress 0
		.amdhsa_shared_vgpr_count 0
		.amdhsa_exception_fp_ieee_invalid_op 0
		.amdhsa_exception_fp_denorm_src 0
		.amdhsa_exception_fp_ieee_div_zero 0
		.amdhsa_exception_fp_ieee_overflow 0
		.amdhsa_exception_fp_ieee_underflow 0
		.amdhsa_exception_fp_ieee_inexact 0
		.amdhsa_exception_int_div_zero 0
	.end_amdhsa_kernel
	.section	.text._Z39paged_attention_ll4mi_QKV_mfma16_kernelI14__hip_bfloat16hLN4vllm18Fp8KVCacheDataTypeE1EhLi32ELi64ELi256ELb0ELi11EL8MFMAType0EEvPKT_PKT0_S9_ifPKiSB_SB_iPKfiiiPfSE_PS4_PT2_iSD_SD_,"axG",@progbits,_Z39paged_attention_ll4mi_QKV_mfma16_kernelI14__hip_bfloat16hLN4vllm18Fp8KVCacheDataTypeE1EhLi32ELi64ELi256ELb0ELi11EL8MFMAType0EEvPKT_PKT0_S9_ifPKiSB_SB_iPKfiiiPfSE_PS4_PT2_iSD_SD_,comdat
.Lfunc_end1752:
	.size	_Z39paged_attention_ll4mi_QKV_mfma16_kernelI14__hip_bfloat16hLN4vllm18Fp8KVCacheDataTypeE1EhLi32ELi64ELi256ELb0ELi11EL8MFMAType0EEvPKT_PKT0_S9_ifPKiSB_SB_iPKfiiiPfSE_PS4_PT2_iSD_SD_, .Lfunc_end1752-_Z39paged_attention_ll4mi_QKV_mfma16_kernelI14__hip_bfloat16hLN4vllm18Fp8KVCacheDataTypeE1EhLi32ELi64ELi256ELb0ELi11EL8MFMAType0EEvPKT_PKT0_S9_ifPKiSB_SB_iPKfiiiPfSE_PS4_PT2_iSD_SD_
                                        ; -- End function
	.section	.AMDGPU.csdata,"",@progbits
; Kernel info:
; codeLenInByte = 8920
; NumSgprs: 44
; NumVgprs: 124
; ScratchSize: 0
; MemoryBound: 0
; FloatMode: 240
; IeeeMode: 1
; LDSByteSize: 17472 bytes/workgroup (compile time only)
; SGPRBlocks: 5
; VGPRBlocks: 15
; NumSGPRsForWavesPerEU: 44
; NumVGPRsForWavesPerEU: 124
; Occupancy: 10
; WaveLimiterHint : 1
; COMPUTE_PGM_RSRC2:SCRATCH_EN: 0
; COMPUTE_PGM_RSRC2:USER_SGPR: 13
; COMPUTE_PGM_RSRC2:TRAP_HANDLER: 0
; COMPUTE_PGM_RSRC2:TGID_X_EN: 1
; COMPUTE_PGM_RSRC2:TGID_Y_EN: 1
; COMPUTE_PGM_RSRC2:TGID_Z_EN: 1
; COMPUTE_PGM_RSRC2:TIDIG_COMP_CNT: 0
	.section	.text._Z39paged_attention_ll4mi_QKV_mfma16_kernelI14__hip_bfloat16hLN4vllm18Fp8KVCacheDataTypeE1EhLi32ELi64ELi256ELb0ELi12EL8MFMAType0EEvPKT_PKT0_S9_ifPKiSB_SB_iPKfiiiPfSE_PS4_PT2_iSD_SD_,"axG",@progbits,_Z39paged_attention_ll4mi_QKV_mfma16_kernelI14__hip_bfloat16hLN4vllm18Fp8KVCacheDataTypeE1EhLi32ELi64ELi256ELb0ELi12EL8MFMAType0EEvPKT_PKT0_S9_ifPKiSB_SB_iPKfiiiPfSE_PS4_PT2_iSD_SD_,comdat
	.protected	_Z39paged_attention_ll4mi_QKV_mfma16_kernelI14__hip_bfloat16hLN4vllm18Fp8KVCacheDataTypeE1EhLi32ELi64ELi256ELb0ELi12EL8MFMAType0EEvPKT_PKT0_S9_ifPKiSB_SB_iPKfiiiPfSE_PS4_PT2_iSD_SD_ ; -- Begin function _Z39paged_attention_ll4mi_QKV_mfma16_kernelI14__hip_bfloat16hLN4vllm18Fp8KVCacheDataTypeE1EhLi32ELi64ELi256ELb0ELi12EL8MFMAType0EEvPKT_PKT0_S9_ifPKiSB_SB_iPKfiiiPfSE_PS4_PT2_iSD_SD_
	.globl	_Z39paged_attention_ll4mi_QKV_mfma16_kernelI14__hip_bfloat16hLN4vllm18Fp8KVCacheDataTypeE1EhLi32ELi64ELi256ELb0ELi12EL8MFMAType0EEvPKT_PKT0_S9_ifPKiSB_SB_iPKfiiiPfSE_PS4_PT2_iSD_SD_
	.p2align	8
	.type	_Z39paged_attention_ll4mi_QKV_mfma16_kernelI14__hip_bfloat16hLN4vllm18Fp8KVCacheDataTypeE1EhLi32ELi64ELi256ELb0ELi12EL8MFMAType0EEvPKT_PKT0_S9_ifPKiSB_SB_iPKfiiiPfSE_PS4_PT2_iSD_SD_,@function
_Z39paged_attention_ll4mi_QKV_mfma16_kernelI14__hip_bfloat16hLN4vllm18Fp8KVCacheDataTypeE1EhLi32ELi64ELi256ELb0ELi12EL8MFMAType0EEvPKT_PKT0_S9_ifPKiSB_SB_iPKfiiiPfSE_PS4_PT2_iSD_SD_: ; @_Z39paged_attention_ll4mi_QKV_mfma16_kernelI14__hip_bfloat16hLN4vllm18Fp8KVCacheDataTypeE1EhLi32ELi64ELi256ELb0ELi12EL8MFMAType0EEvPKT_PKT0_S9_ifPKiSB_SB_iPKfiiiPfSE_PS4_PT2_iSD_SD_
; %bb.0:
	s_load_b64 s[2:3], s[0:1], 0x30
	s_mov_b32 s30, s13
	s_waitcnt lgkmcnt(0)
	s_cmp_lg_u64 s[2:3], 0
	s_cselect_b32 s8, -1, 0
	s_ashr_i32 s31, s13, 31
	s_cmp_eq_u64 s[2:3], 0
	s_cbranch_scc1 .LBB1753_3
; %bb.1:
	s_lshl_b64 s[4:5], s[30:31], 2
	s_delay_alu instid0(SALU_CYCLE_1) | instskip(SKIP_4) | instid1(SALU_CYCLE_1)
	s_add_u32 s4, s2, s4
	s_addc_u32 s5, s3, s5
	s_load_b64 s[4:5], s[4:5], 0x0
	s_waitcnt lgkmcnt(0)
	s_sub_i32 s4, s5, s4
	s_cmp_eq_u32 s4, 1
	s_cselect_b32 s4, -1, 0
	s_delay_alu instid0(SALU_CYCLE_1)
	s_and_not1_b32 vcc_lo, exec_lo, s4
	s_cbranch_vccz .LBB1753_4
.LBB1753_2:
	s_endpgm
.LBB1753_3:
.LBB1753_4:
	s_load_b64 s[4:5], s[0:1], 0x28
	s_lshl_b64 s[6:7], s[30:31], 2
	s_waitcnt lgkmcnt(0)
	s_add_u32 s4, s4, s6
	s_addc_u32 s5, s5, s7
	s_lshl_b32 s12, s14, 8
	s_load_b32 s24, s[4:5], 0x0
	s_waitcnt lgkmcnt(0)
	s_cmp_ge_i32 s12, s24
	s_cbranch_scc1 .LBB1753_2
; %bb.5:
	s_clause 0x1
	s_load_b128 s[20:23], s[0:1], 0x8
	s_load_b64 s[4:5], s[0:1], 0x20
	s_and_not1_b32 vcc_lo, exec_lo, s8
	s_cbranch_vccnz .LBB1753_7
; %bb.6:
	s_add_u32 s2, s2, s6
	s_addc_u32 s3, s3, s7
	s_load_b32 s3, s[2:3], 0x0
	s_branch .LBB1753_8
.LBB1753_7:
	s_mov_b32 s3, s30
.LBB1753_8:
	s_load_b128 s[16:19], s[0:1], 0x48
	v_and_b32_e32 v65, 15, v0
	v_cmp_gt_u32_e32 vcc_lo, 0xc0, v0
	v_lshrrev_b32_e32 v66, 5, v0
	v_and_b32_e32 v67, 31, v0
	v_and_b32_e32 v75, 1, v0
	v_lshlrev_b32_e32 v1, 3, v65
	v_cmp_gt_u32_e64 s2, 8, v65
	v_bfe_u32 v74, v0, 4, 1
	s_mul_i32 s31, s15, 12
	s_delay_alu instid0(VALU_DEP_3) | instskip(NEXT) | instid1(VALU_DEP_3)
	v_lshlrev_b32_e32 v73, 1, v1
	s_and_b32 s7, vcc_lo, s2
	s_delay_alu instid0(SALU_CYCLE_1)
	s_and_saveexec_b32 s6, s7
	s_cbranch_execz .LBB1753_10
; %bb.9:
	s_load_b64 s[8:9], s[0:1], 0x0
	v_lshl_or_b32 v5, v66, 1, v74
	s_waitcnt lgkmcnt(0)
	s_mul_hi_i32 s11, s3, s16
	s_mul_i32 s10, s3, s16
	v_lshlrev_b32_e32 v6, 10, v65
	s_lshl_b64 s[10:11], s[10:11], 1
	v_add_lshl_u32 v1, v5, s31, 6
	v_lshlrev_b32_e32 v5, 6, v5
	v_lshlrev_b32_e32 v7, 10, v75
	v_and_b32_e32 v6, 0x3800, v6
	s_delay_alu instid0(VALU_DEP_4) | instskip(NEXT) | instid1(VALU_DEP_2)
	v_ashrrev_i32_e32 v2, 31, v1
	v_or3_b32 v5, v6, v7, v5
	s_delay_alu instid0(VALU_DEP_2) | instskip(SKIP_2) | instid1(VALU_DEP_1)
	v_lshlrev_b64 v[1:2], 1, v[1:2]
	s_add_u32 s3, s8, s10
	s_addc_u32 s7, s9, s11
	v_add_co_u32 v1, vcc_lo, s3, v1
	s_delay_alu instid0(VALU_DEP_2) | instskip(NEXT) | instid1(VALU_DEP_2)
	v_add_co_ci_u32_e32 v2, vcc_lo, s7, v2, vcc_lo
	v_add_co_u32 v1, vcc_lo, v1, v73
	s_delay_alu instid0(VALU_DEP_2)
	v_add_co_ci_u32_e32 v2, vcc_lo, 0, v2, vcc_lo
	global_load_b128 v[1:4], v[1:2], off
	s_waitcnt vmcnt(0)
	ds_store_b128 v5, v[1:4]
.LBB1753_10:
	s_or_b32 exec_lo, exec_lo, s6
	v_and_b32_e32 v1, 0xef, v0
	s_waitcnt lgkmcnt(0)
	s_add_i32 s3, s24, 31
	s_clause 0x1
	s_load_b32 s6, s[0:1], 0x38
	s_load_b32 s19, s[0:1], 0x1c
	s_ashr_i32 s7, s3, 31
	v_add_nc_u32_e32 v1, s12, v1
	s_lshr_b32 s7, s7, 27
	s_waitcnt lgkmcnt(0)
	s_add_i32 s3, s3, s7
	s_barrier
	v_ashrrev_i32_e32 v2, 31, v1
	v_or_b32_e32 v3, 16, v1
	s_ashr_i32 s3, s3, 5
	v_cmp_gt_i32_e32 vcc_lo, s24, v1
	s_add_i32 s3, s3, -1
	v_lshrrev_b32_e32 v2, 27, v2
	buffer_gl0_inv
	s_mul_i32 s27, s15, s18
	v_add_nc_u32_e32 v4, v1, v2
	s_mul_i32 s6, s30, s6
	s_delay_alu instid0(SALU_CYCLE_1) | instskip(NEXT) | instid1(VALU_DEP_1)
	s_ashr_i32 s7, s6, 31
	v_ashrrev_i32_e32 v4, 5, v4
	v_add_nc_u32_e32 v2, v3, v2
	s_lshl_b64 s[6:7], s[6:7], 2
	s_delay_alu instid0(SALU_CYCLE_1) | instskip(NEXT) | instid1(VALU_DEP_2)
	s_add_u32 s26, s4, s6
	v_cndmask_b32_e32 v1, s3, v4, vcc_lo
	s_delay_alu instid0(VALU_DEP_2)
	v_ashrrev_i32_e32 v2, 5, v2
	v_cmp_gt_i32_e32 vcc_lo, s24, v3
	s_addc_u32 s25, s5, s7
	s_ashr_i32 s28, s27, 31
	s_add_u32 s4, s20, s27
	s_addc_u32 s5, s21, s28
	v_cndmask_b32_e32 v3, s3, v2, vcc_lo
	v_ashrrev_i32_e32 v2, 31, v1
	s_lshl_b32 s6, s14, 3
	s_delay_alu instid0(SALU_CYCLE_1) | instskip(NEXT) | instid1(VALU_DEP_2)
	s_ashr_i32 s7, s6, 31
	v_ashrrev_i32_e32 v4, 31, v3
	s_delay_alu instid0(VALU_DEP_2) | instskip(SKIP_1) | instid1(SALU_CYCLE_1)
	v_lshlrev_b64 v[1:2], 2, v[1:2]
	s_lshl_b64 s[6:7], s[6:7], 2
	s_add_u32 s6, s26, s6
	s_delay_alu instid0(VALU_DEP_2) | instskip(SKIP_1) | instid1(VALU_DEP_2)
	v_lshlrev_b64 v[3:4], 2, v[3:4]
	s_addc_u32 s7, s25, s7
	v_add_co_u32 v1, vcc_lo, s26, v1
	v_add_co_ci_u32_e32 v2, vcc_lo, s25, v2, vcc_lo
	s_delay_alu instid0(VALU_DEP_3) | instskip(NEXT) | instid1(VALU_DEP_4)
	v_add_co_u32 v3, vcc_lo, s26, v3
	v_add_co_ci_u32_e32 v4, vcc_lo, s25, v4, vcc_lo
	s_clause 0x1
	global_load_b32 v5, v[1:2], off
	global_load_b32 v6, v[3:4], off
	s_or_b32 s8, s12, 32
	s_delay_alu instid0(SALU_CYCLE_1) | instskip(SKIP_2) | instid1(SALU_CYCLE_1)
	s_ashr_i32 s9, s8, 5
	s_cmp_lt_i32 s8, s24
	s_cselect_b32 s8, s9, s3
	s_ashr_i32 s9, s8, 31
	s_delay_alu instid0(SALU_CYCLE_1) | instskip(NEXT) | instid1(SALU_CYCLE_1)
	s_lshl_b64 s[8:9], s[8:9], 2
	s_add_u32 s8, s26, s8
	s_addc_u32 s9, s25, s9
	s_or_b32 s10, s12, 64
	s_delay_alu instid0(SALU_CYCLE_1) | instskip(SKIP_2) | instid1(SALU_CYCLE_1)
	s_ashr_i32 s11, s10, 5
	s_cmp_lt_i32 s10, s24
	s_cselect_b32 s10, s11, s3
	s_ashr_i32 s11, s10, 31
	s_delay_alu instid0(SALU_CYCLE_1) | instskip(NEXT) | instid1(SALU_CYCLE_1)
	s_lshl_b64 s[10:11], s[10:11], 2
	s_add_u32 s10, s26, s10
	s_addc_u32 s11, s25, s11
	;; [unrolled: 10-line block ×5, first 2 shown]
	s_clause 0x5
	s_load_b32 s21, s[6:7], 0x0
	s_load_b32 s13, s[8:9], 0x0
	;; [unrolled: 1-line block ×6, first 2 shown]
	s_or_b32 s8, s12, 0xc0
	s_delay_alu instid0(SALU_CYCLE_1) | instskip(SKIP_2) | instid1(SALU_CYCLE_1)
	s_ashr_i32 s9, s8, 5
	s_cmp_lt_i32 s8, s24
	s_cselect_b32 s34, s9, s3
	s_ashr_i32 s35, s34, 31
	s_delay_alu instid0(SALU_CYCLE_1) | instskip(NEXT) | instid1(SALU_CYCLE_1)
	s_lshl_b64 s[34:35], s[34:35], 2
	s_add_u32 s34, s26, s34
	s_addc_u32 s35, s25, s35
	s_or_b32 s29, s12, 0xe0
	s_delay_alu instid0(SALU_CYCLE_1)
	s_ashr_i32 s33, s29, 5
	s_cmp_lt_i32 s29, s24
	s_waitcnt vmcnt(1)
	v_mad_i64_i32 v[1:2], null, v5, s17, s[4:5]
	s_waitcnt vmcnt(0)
	v_mad_i64_i32 v[3:4], null, v6, s17, s[4:5]
	s_mov_b32 s4, 0
	s_delay_alu instid0(SALU_CYCLE_1)
	s_mov_b32 s5, s4
	s_mov_b32 s6, s4
	;; [unrolled: 1-line block ×7, first 2 shown]
	v_lshlrev_b32_e32 v5, 4, v65
	v_dual_mov_b32 v107, s11 :: v_dual_mov_b32 v102, s6
	v_mov_b32_e32 v100, s4
	v_mov_b32_e32 v106, s10
	s_delay_alu instid0(VALU_DEP_4)
	v_add_co_u32 v1, vcc_lo, v1, v5
	v_add_co_ci_u32_e32 v2, vcc_lo, 0, v2, vcc_lo
	v_add_co_u32 v3, vcc_lo, v3, v5
	v_add_co_ci_u32_e32 v4, vcc_lo, 0, v4, vcc_lo
	s_clause 0x7
	global_load_b128 v[49:52], v[1:2], off
	global_load_b128 v[53:56], v[1:2], off offset:512
	global_load_b128 v[76:79], v[3:4], off offset:256
	;; [unrolled: 1-line block ×7, first 2 shown]
	v_add_nc_u32_e32 v1, -12, v65
	v_cmp_gt_u32_e32 vcc_lo, 12, v65
	v_dual_mov_b32 v104, s8 :: v_dual_mov_b32 v103, s7
	v_dual_mov_b32 v101, s5 :: v_dual_lshlrev_b32 v2, 5, v65
	s_delay_alu instid0(VALU_DEP_4)
	v_cndmask_b32_e32 v1, v1, v65, vcc_lo
	v_mov_b32_e32 v105, s9
	s_cselect_b32 s4, s33, s3
	s_load_b32 s3, s[34:35], 0x0
	s_ashr_i32 s5, s4, 31
	v_lshlrev_b32_e32 v70, 6, v1
	s_lshl_b64 s[4:5], s[4:5], 2
	v_lshl_or_b32 v2, v66, 9, v2
	s_add_u32 s4, s26, s4
	s_addc_u32 s5, s25, s5
	ds_load_b128 v[108:111], v70
	ds_load_b128 v[112:115], v70 offset:1024
	s_load_b32 s4, s[4:5], 0x0
	s_add_u32 s6, s22, s27
	s_addc_u32 s7, s23, s28
	v_add_co_u32 v9, s6, s6, v2
	s_delay_alu instid0(VALU_DEP_1) | instskip(SKIP_1) | instid1(VALU_DEP_1)
	v_add_co_ci_u32_e64 v10, null, s7, 0, s6
	s_waitcnt lgkmcnt(0)
	v_mad_i64_i32 v[1:2], null, s21, s17, v[9:10]
	v_mad_i64_i32 v[3:4], null, s13, s17, v[9:10]
	;; [unrolled: 1-line block ×7, first 2 shown]
	s_clause 0x9
	global_load_b128 v[57:60], v[1:2], off
	global_load_b128 v[61:64], v[1:2], off offset:16
	global_load_b128 v[41:44], v[3:4], off
	global_load_b128 v[45:48], v[3:4], off offset:16
	;; [unrolled: 2-line block ×5, first 2 shown]
	v_mad_i64_i32 v[68:69], null, s4, s17, v[9:10]
	s_clause 0x3
	global_load_b128 v[9:12], v[13:14], off
	global_load_b128 v[13:16], v[13:14], off offset:16
	global_load_b128 v[17:20], v[21:22], off
	global_load_b128 v[21:24], v[21:22], off offset:16
	s_waitcnt vmcnt(20)
	v_wmma_f32_16x16x16_bf16 v[116:123], v[49:56], v[108:115], v[100:107]
	s_clause 0x1
	global_load_b128 v[49:52], v[68:69], off
	global_load_b128 v[53:56], v[68:69], off offset:16
	v_and_b32_e32 v68, 0xe0, v0
	v_mbcnt_lo_u32_b32 v69, -1, 0
	s_delay_alu instid0(VALU_DEP_2)
	v_add_nc_u32_e32 v68, s12, v68
	s_waitcnt vmcnt(20)
	v_wmma_f32_16x16x16_bf16 v[100:107], v[76:83], v[108:115], v[100:107]
	ds_load_b128 v[76:79], v70 offset:2048
	ds_load_b128 v[80:83], v70 offset:3072
	v_xor_b32_e32 v70, 16, v69
	s_waitcnt vmcnt(0) lgkmcnt(0)
	v_or_b32_e32 v68, v68, v74
	s_barrier
	buffer_gl0_inv
	v_cmp_gt_i32_e32 vcc_lo, 32, v70
	v_or_b32_e32 v71, 4, v68
	v_or_b32_e32 v72, 6, v68
	v_cmp_gt_i32_e64 s3, s24, v68
	v_or_b32_e32 v108, 8, v68
	v_or_b32_e32 v109, 10, v68
	v_cmp_gt_i32_e64 s4, s24, v71
	v_cmp_gt_i32_e64 s5, s24, v72
	s_delay_alu instid0(VALU_DEP_4) | instskip(NEXT) | instid1(VALU_DEP_4)
	v_cmp_gt_i32_e64 s6, s24, v108
	v_cmp_gt_i32_e64 s7, s24, v109
	v_wmma_f32_16x16x16_bf16 v[116:123], v[84:91], v[76:83], v[116:123]
	v_cndmask_b32_e32 v69, v69, v70, vcc_lo
	v_or_b32_e32 v70, 2, v68
	v_wmma_f32_16x16x16_bf16 v[100:107], v[92:99], v[76:83], v[100:107]
	v_or_b32_e32 v89, 22, v68
	v_dual_mul_f32 v80, s19, v121 :: v_dual_mul_f32 v81, s19, v120
	v_dual_mul_f32 v92, s19, v117 :: v_dual_mul_f32 v93, s19, v116
	s_delay_alu instid0(VALU_DEP_4)
	v_mul_f32_e32 v96, s19, v105
	v_cmp_gt_i32_e32 vcc_lo, s24, v70
	v_dual_mul_f32 v79, s19, v122 :: v_dual_mul_f32 v82, s19, v119
	v_dual_mul_f32 v83, s19, v118 :: v_dual_mul_f32 v94, s19, v107
	v_cndmask_b32_e64 v93, 0xff7fffff, v93, s3
	v_cndmask_b32_e32 v92, 0xff7fffff, v92, vcc_lo
	v_or_b32_e32 v84, 12, v68
	v_or_b32_e32 v85, 14, v68
	v_cndmask_b32_e64 v71, 0xff7fffff, v83, s4
	v_cndmask_b32_e64 v72, 0xff7fffff, v82, s5
	v_cmp_gt_i32_e64 s13, s24, v89
	v_lshlrev_b32_e32 v89, 2, v69
	v_max3_f32 v82, v93, 0xff7fffff, v92
	v_or_b32_e32 v86, 16, v68
	v_or_b32_e32 v87, 18, v68
	v_mul_f32_e32 v78, s19, v123
	v_cndmask_b32_e64 v81, 0xff7fffff, v81, s6
	v_cndmask_b32_e64 v80, 0xff7fffff, v80, s7
	v_max3_f32 v71, v82, v71, v72
	v_cmp_gt_i32_e64 s8, s24, v84
	v_cmp_gt_i32_e64 s9, s24, v85
	v_or_b32_e32 v88, 20, v68
	v_or_b32_e32 v90, 24, v68
	;; [unrolled: 1-line block ×5, first 2 shown]
	v_dual_mul_f32 v97, s19, v104 :: v_dual_mul_f32 v70, s19, v101
	v_dual_mul_f32 v99, s19, v102 :: v_dual_mul_f32 v68, s19, v100
	v_cndmask_b32_e64 v72, 0xff7fffff, v79, s8
	v_cndmask_b32_e64 v78, 0xff7fffff, v78, s9
	v_max3_f32 v71, v71, v81, v80
	v_cmp_gt_i32_e64 s10, s24, v86
	v_cmp_gt_i32_e64 s11, s24, v87
	v_dual_mul_f32 v95, s19, v106 :: v_dual_mul_f32 v98, s19, v103
	s_delay_alu instid0(VALU_DEP_4) | instskip(NEXT) | instid1(VALU_DEP_4)
	v_max3_f32 v71, v71, v72, v78
	v_cndmask_b32_e64 v68, 0xff7fffff, v68, s10
	s_delay_alu instid0(VALU_DEP_4)
	v_cndmask_b32_e64 v70, 0xff7fffff, v70, s11
	v_cmp_gt_i32_e64 s12, s24, v88
	v_cndmask_b32_e64 v78, 0xff7fffff, v98, s13
	v_cmp_gt_i32_e64 s15, s24, v90
	v_cmp_gt_i32_e64 s16, s24, v91
	v_max3_f32 v68, v71, v68, v70
	v_cndmask_b32_e64 v72, 0xff7fffff, v99, s12
	v_cmp_gt_i32_e64 s17, s24, v76
	v_cndmask_b32_e64 v70, 0xff7fffff, v97, s15
	v_cndmask_b32_e64 v71, 0xff7fffff, v96, s16
	v_cmp_gt_i32_e64 s18, s24, v77
	v_max3_f32 v68, v68, v72, v78
	v_cndmask_b32_e64 v72, 0xff7fffff, v95, s17
	s_delay_alu instid0(VALU_DEP_3) | instskip(NEXT) | instid1(VALU_DEP_3)
	v_cndmask_b32_e64 v76, 0xff7fffff, v94, s18
	v_max3_f32 v68, v68, v70, v71
	s_delay_alu instid0(VALU_DEP_1) | instskip(SKIP_3) | instid1(VALU_DEP_1)
	v_max3_f32 v68, v68, v72, v76
	ds_bpermute_b32 v69, v89, v68
	s_waitcnt lgkmcnt(0)
	v_max_f32_e32 v69, v69, v69
	v_max_f32_e32 v68, v68, v69
	s_delay_alu instid0(VALU_DEP_1) | instskip(NEXT) | instid1(VALU_DEP_1)
	v_fma_f32 v71, s19, v118, -v68
	v_mul_f32_e32 v71, 0x3fb8aa3b, v71
	v_fma_f32 v70, s19, v117, -v68
	v_fma_f32 v69, s19, v116, -v68
	v_fma_f32 v76, s19, v120, -v68
	v_fma_f32 v72, s19, v119, -v68
	v_fma_f32 v78, s19, v122, -v68
	s_delay_alu instid0(VALU_DEP_4) | instskip(SKIP_1) | instid1(VALU_DEP_3)
	v_dual_mul_f32 v70, 0x3fb8aa3b, v70 :: v_dual_mul_f32 v69, 0x3fb8aa3b, v69
	v_exp_f32_e32 v71, v71
	v_mul_f32_e32 v72, 0x3fb8aa3b, v72
	v_fma_f32 v81, s19, v105, -v68
	s_delay_alu instid0(VALU_DEP_3)
	v_exp_f32_e32 v70, v70
	v_mul_f32_e32 v77, 0x3fb8aa3b, v76
	v_exp_f32_e32 v69, v69
	v_exp_f32_e32 v72, v72
	v_mul_f32_e32 v81, 0x3fb8aa3b, v81
	v_cndmask_b32_e64 v83, 0, v71, s4
	v_fma_f32 v71, s19, v123, -v68
	s_delay_alu instid0(VALU_DEP_3) | instskip(SKIP_4) | instid1(TRANS32_DEP_3)
	v_exp_f32_e32 v81, v81
	v_cndmask_b32_e32 v76, 0, v70, vcc_lo
	v_exp_f32_e32 v77, v77
	v_cndmask_b32_e64 v80, 0, v69, s3
	v_fma_f32 v69, s19, v121, -v68
	v_cndmask_b32_e64 v85, 0, v72, s5
	v_mul_f32_e32 v71, 0x3fb8aa3b, v71
	v_fma_f32 v72, s19, v100, -v68
	s_delay_alu instid0(VALU_DEP_4) | instskip(SKIP_1) | instid1(VALU_DEP_3)
	v_dual_add_f32 v70, 0, v80 :: v_dual_mul_f32 v69, 0x3fb8aa3b, v69
	s_mov_b32 s3, exec_lo
	v_exp_f32_e32 v71, v71
	s_delay_alu instid0(TRANS32_DEP_2) | instskip(SKIP_4) | instid1(VALU_DEP_3)
	v_cndmask_b32_e64 v86, 0, v77, s6
	v_fma_f32 v77, s19, v101, -v68
	v_mul_f32_e32 v78, 0x3fb8aa3b, v78
	v_add_f32_e32 v70, v70, v76
	v_exp_f32_e32 v69, v69
	v_mul_f32_e32 v77, 0x3fb8aa3b, v77
	s_delay_alu instid0(VALU_DEP_3) | instskip(NEXT) | instid1(TRANS32_DEP_3)
	v_exp_f32_e32 v78, v78
	v_cndmask_b32_e64 v88, 0, v71, s9
	v_fma_f32 v71, s19, v104, -v68
	s_delay_alu instid0(VALU_DEP_3) | instskip(NEXT) | instid1(TRANS32_DEP_3)
	v_exp_f32_e32 v77, v77
	v_cndmask_b32_e64 v87, 0, v69, s7
	s_delay_alu instid0(VALU_DEP_2)
	v_mul_f32_e32 v71, 0x3fb8aa3b, v71
	s_waitcnt_depctr 0xfff
	v_cndmask_b32_e64 v84, 0, v78, s8
	v_add_f32_e32 v70, v70, v83
	v_fma_f32 v78, s19, v103, -v68
	v_exp_f32_e32 v82, v71
	s_delay_alu instid0(VALU_DEP_2) | instskip(SKIP_1) | instid1(VALU_DEP_3)
	v_add_f32_e32 v70, v70, v85
	v_mul_f32_e32 v72, 0x3fb8aa3b, v72
	v_mul_f32_e32 v78, 0x3fb8aa3b, v78
	s_delay_alu instid0(VALU_DEP_3) | instskip(SKIP_1) | instid1(VALU_DEP_4)
	v_add_f32_e32 v69, v70, v86
	v_fma_f32 v70, s19, v102, -v68
	v_exp_f32_e32 v72, v72
	s_delay_alu instid0(VALU_DEP_3) | instskip(NEXT) | instid1(VALU_DEP_1)
	v_exp_f32_e32 v78, v78
	v_dual_add_f32 v69, v69, v87 :: v_dual_mul_f32 v70, 0x3fb8aa3b, v70
	s_delay_alu instid0(VALU_DEP_1) | instskip(NEXT) | instid1(VALU_DEP_2)
	v_add_f32_e32 v69, v69, v84
	v_exp_f32_e32 v79, v70
	s_delay_alu instid0(TRANS32_DEP_3) | instskip(NEXT) | instid1(VALU_DEP_2)
	v_cndmask_b32_e64 v70, 0, v72, s10
	v_add_f32_e32 v72, v69, v88
	v_cndmask_b32_e64 v69, 0, v77, s11
	v_fma_f32 v77, s19, v106, -v68
	s_waitcnt_depctr 0xfff
	v_cndmask_b32_e64 v71, 0, v79, s12
	v_dual_mul_f32 v77, 0x3fb8aa3b, v77 :: v_dual_add_f32 v72, v72, v70
	s_delay_alu instid0(VALU_DEP_1) | instskip(NEXT) | instid1(VALU_DEP_1)
	v_exp_f32_e32 v90, v77
	v_add_f32_e32 v79, v72, v69
	v_cndmask_b32_e64 v72, 0, v78, s13
	v_cndmask_b32_e64 v77, 0, v82, s15
	s_delay_alu instid0(VALU_DEP_3) | instskip(SKIP_1) | instid1(VALU_DEP_1)
	v_add_f32_e32 v78, v79, v71
	v_fma_f32 v79, s19, v107, -v68
	v_dual_add_f32 v82, v78, v72 :: v_dual_mul_f32 v79, 0x3fb8aa3b, v79
	v_cndmask_b32_e64 v78, 0, v81, s16
	s_delay_alu instid0(VALU_DEP_2) | instskip(NEXT) | instid1(VALU_DEP_3)
	v_add_f32_e32 v81, v82, v77
	v_exp_f32_e32 v82, v79
	v_cndmask_b32_e64 v79, 0, v90, s17
	s_delay_alu instid0(VALU_DEP_2) | instskip(NEXT) | instid1(VALU_DEP_1)
	v_add_f32_e32 v81, v81, v78
	v_add_f32_e32 v90, v81, v79
	s_waitcnt_depctr 0xfff
	v_cndmask_b32_e64 v81, 0, v82, s18
	s_delay_alu instid0(VALU_DEP_1)
	v_add_f32_e32 v82, v90, v81
	ds_bpermute_b32 v89, v89, v82
	v_cmpx_gt_u32_e32 16, v67
	s_cbranch_execz .LBB1753_12
; %bb.11:
	v_mul_u32_u24_e32 v67, 0x44, v66
	s_delay_alu instid0(VALU_DEP_1) | instskip(SKIP_1) | instid1(VALU_DEP_1)
	v_lshl_add_u32 v67, v65, 2, v67
	s_waitcnt lgkmcnt(0)
	v_dual_add_f32 v82, v82, v89 :: v_dual_add_nc_u32 v67, 0x4000, v67
	ds_store_2addr_b32 v67, v68, v82 offset1:136
.LBB1753_12:
	s_or_b32 exec_lo, exec_lo, s3
	v_lshlrev_b32_e32 v67, 2, v65
	s_waitcnt lgkmcnt(0)
	s_barrier
	buffer_gl0_inv
	v_cmp_eq_u32_e32 vcc_lo, 1, v66
	v_add_nc_u32_e32 v82, 0x4000, v67
	v_cmp_eq_u32_e64 s3, 2, v66
	v_cmp_eq_u32_e64 s5, 7, v66
	ds_load_2addr_b32 v[89:90], v82 offset1:17
	ds_load_2addr_b32 v[91:92], v82 offset0:34 offset1:51
	ds_load_2addr_b32 v[93:94], v82 offset0:68 offset1:85
	ds_load_2addr_b32 v[95:96], v82 offset0:102 offset1:119
	ds_load_2addr_b32 v[97:98], v82 offset0:136 offset1:153
	s_waitcnt lgkmcnt(4)
	v_max3_f32 v67, v89, 0xff7fffff, v90
	s_waitcnt lgkmcnt(3)
	s_delay_alu instid0(VALU_DEP_1) | instskip(SKIP_1) | instid1(VALU_DEP_1)
	v_max3_f32 v67, v67, v91, v92
	s_waitcnt lgkmcnt(2)
	v_max3_f32 v67, v67, v93, v94
	s_waitcnt lgkmcnt(1)
	s_delay_alu instid0(VALU_DEP_1) | instskip(NEXT) | instid1(VALU_DEP_1)
	v_max3_f32 v67, v67, v95, v96
	v_sub_f32_e32 v93, v93, v67
	s_delay_alu instid0(VALU_DEP_1) | instskip(NEXT) | instid1(VALU_DEP_1)
	v_dual_sub_f32 v68, v89, v67 :: v_dual_mul_f32 v103, 0x3fb8aa3b, v93
	v_mul_f32_e32 v68, 0x3fb8aa3b, v68
	s_delay_alu instid0(VALU_DEP_1)
	v_exp_f32_e32 v100, v68
	v_sub_f32_e32 v68, v92, v67
	v_sub_f32_e32 v99, v90, v67
	ds_load_2addr_b32 v[89:90], v82 offset0:170 offset1:187
	v_dual_mul_f32 v102, 0x3fb8aa3b, v68 :: v_dual_mul_f32 v99, 0x3fb8aa3b, v99
	s_waitcnt lgkmcnt(1)
	v_fma_f32 v68, v100, v97, 0
	s_delay_alu instid0(VALU_DEP_2) | instskip(NEXT) | instid1(VALU_DEP_2)
	v_exp_f32_e32 v102, v102
	v_exp_f32_e32 v99, v99
	s_waitcnt_depctr 0xfff
	v_fmac_f32_e32 v68, v99, v98
	v_sub_f32_e32 v91, v91, v67
	s_delay_alu instid0(VALU_DEP_1)
	v_mul_f32_e32 v101, 0x3fb8aa3b, v91
	ds_load_2addr_b32 v[91:92], v82 offset0:204 offset1:221
	v_sub_f32_e32 v97, v94, v67
	ds_load_2addr_b32 v[93:94], v82 offset0:238 offset1:255
	s_waitcnt lgkmcnt(0)
	v_exp_f32_e32 v101, v101
	s_barrier
	buffer_gl0_inv
	v_dual_fmac_f32 v68, v101, v89 :: v_dual_sub_f32 v89, v96, v67
	v_dual_sub_f32 v82, v95, v67 :: v_dual_mul_f32 v95, 0x3fb8aa3b, v97
	v_exp_f32_e32 v97, v103
	s_delay_alu instid0(VALU_DEP_2) | instskip(NEXT) | instid1(VALU_DEP_2)
	v_dual_fmac_f32 v68, v102, v90 :: v_dual_mul_f32 v89, 0x3fb8aa3b, v89
	v_mul_f32_e32 v82, 0x3fb8aa3b, v82
	s_delay_alu instid0(VALU_DEP_3) | instskip(NEXT) | instid1(VALU_DEP_2)
	v_exp_f32_e32 v95, v95
	v_exp_f32_e32 v89, v89
	s_delay_alu instid0(VALU_DEP_1)
	v_exp_f32_e32 v82, v82
	v_fmac_f32_e32 v68, v97, v91
	s_delay_alu instid0(TRANS32_DEP_3) | instid1(VALU_DEP_1)
	v_fmac_f32_e32 v68, v95, v92
	s_waitcnt_depctr 0xfff
	v_fmac_f32_e32 v68, v82, v93
	s_delay_alu instid0(VALU_DEP_1) | instskip(NEXT) | instid1(VALU_DEP_1)
	v_fmac_f32_e32 v68, v89, v94
	v_add_f32_e32 v90, 0x358637bd, v68
	s_delay_alu instid0(VALU_DEP_1) | instskip(NEXT) | instid1(VALU_DEP_1)
	v_div_scale_f32 v91, null, v90, v90, 1.0
	v_rcp_f32_e32 v92, v91
	s_waitcnt_depctr 0xfff
	v_fma_f32 v93, -v91, v92, 1.0
	s_delay_alu instid0(VALU_DEP_1) | instskip(SKIP_1) | instid1(VALU_DEP_2)
	v_dual_fmac_f32 v92, v93, v92 :: v_dual_cndmask_b32 v93, v100, v99
	v_cmp_eq_u32_e32 vcc_lo, 3, v66
	v_cndmask_b32_e64 v93, v93, v101, s3
	v_cmp_eq_u32_e64 s3, 4, v66
	s_delay_alu instid0(VALU_DEP_2) | instskip(SKIP_1) | instid1(VALU_DEP_2)
	v_cndmask_b32_e32 v93, v93, v102, vcc_lo
	v_cmp_eq_u32_e32 vcc_lo, 5, v66
	v_cndmask_b32_e64 v93, v93, v97, s3
	v_cmp_eq_u32_e64 s3, 6, v66
	s_delay_alu instid0(VALU_DEP_2) | instskip(SKIP_1) | instid1(VALU_DEP_1)
	v_cndmask_b32_e32 v93, v93, v95, vcc_lo
	v_div_scale_f32 v94, s4, 1.0, v90, 1.0
	s_mov_b32 vcc_lo, s4
	s_delay_alu instid0(VALU_DEP_2) | instskip(NEXT) | instid1(VALU_DEP_2)
	v_cndmask_b32_e64 v82, v93, v82, s3
	v_mul_f32_e32 v96, v94, v92
	s_mov_b32 s3, exec_lo
	s_delay_alu instid0(VALU_DEP_2) | instskip(NEXT) | instid1(VALU_DEP_2)
	v_cndmask_b32_e64 v82, v82, v89, s5
	v_fma_f32 v98, -v91, v96, v94
	s_delay_alu instid0(VALU_DEP_1) | instskip(NEXT) | instid1(VALU_DEP_1)
	v_fmac_f32_e32 v96, v98, v92
	v_fma_f32 v91, -v91, v96, v94
	s_delay_alu instid0(VALU_DEP_1) | instskip(NEXT) | instid1(VALU_DEP_1)
	v_div_fmas_f32 v91, v91, v92, v96
	v_div_fixup_f32 v90, v91, v90, 1.0
	s_delay_alu instid0(VALU_DEP_1) | instskip(NEXT) | instid1(VALU_DEP_1)
	v_mul_f32_e32 v82, v82, v90
	v_mul_f32_e32 v87, v82, v87
	;; [unrolled: 1-line block ×7, first 2 shown]
	v_dual_mul_f32 v86, v82, v83 :: v_dual_and_b32 v91, 0x7f800000, v90
	v_mul_f32_e32 v85, v82, v76
                                        ; implicit-def: $vgpr76
	s_delay_alu instid0(VALU_DEP_2)
	v_cmpx_ne_u32_e32 0x7f800000, v91
	s_xor_b32 s3, exec_lo, s3
; %bb.13:
	v_bfe_u32 v76, v90, 16, 1
	s_delay_alu instid0(VALU_DEP_1)
	v_add3_u32 v76, v90, v76, 0x7fff
                                        ; implicit-def: $vgpr90
; %bb.14:
	s_and_not1_saveexec_b32 s3, s3
; %bb.15:
	v_and_b32_e32 v76, 0xffff, v90
	v_or_b32_e32 v83, 0x10000, v90
	s_delay_alu instid0(VALU_DEP_2) | instskip(NEXT) | instid1(VALU_DEP_2)
	v_cmp_eq_u32_e32 vcc_lo, 0, v76
	v_cndmask_b32_e32 v76, v83, v90, vcc_lo
; %bb.16:
	s_or_b32 exec_lo, exec_lo, s3
	v_and_b32_e32 v83, 0x7f800000, v85
	s_delay_alu instid0(VALU_DEP_1) | instskip(SKIP_1) | instid1(SALU_CYCLE_1)
	v_cmp_ne_u32_e32 vcc_lo, 0x7f800000, v83
                                        ; implicit-def: $vgpr83
	s_and_saveexec_b32 s3, vcc_lo
	s_xor_b32 s3, exec_lo, s3
; %bb.17:
	v_bfe_u32 v83, v85, 16, 1
	s_delay_alu instid0(VALU_DEP_1)
	v_add3_u32 v83, v85, v83, 0x7fff
                                        ; implicit-def: $vgpr85
; %bb.18:
	s_and_not1_saveexec_b32 s3, s3
; %bb.19:
	v_and_b32_e32 v83, 0xffff, v85
	v_or_b32_e32 v90, 0x10000, v85
	s_delay_alu instid0(VALU_DEP_2) | instskip(NEXT) | instid1(VALU_DEP_2)
	v_cmp_eq_u32_e32 vcc_lo, 0, v83
	v_cndmask_b32_e32 v83, v90, v85, vcc_lo
; %bb.20:
	s_or_b32 exec_lo, exec_lo, s3
	v_and_b32_e32 v85, 0x7f800000, v86
	s_delay_alu instid0(VALU_DEP_1) | instskip(SKIP_1) | instid1(SALU_CYCLE_1)
	v_cmp_ne_u32_e32 vcc_lo, 0x7f800000, v85
                                        ; implicit-def: $vgpr85
	s_and_saveexec_b32 s3, vcc_lo
	s_xor_b32 s3, exec_lo, s3
; %bb.21:
	v_bfe_u32 v85, v86, 16, 1
	s_delay_alu instid0(VALU_DEP_1)
	v_add3_u32 v85, v86, v85, 0x7fff
                                        ; implicit-def: $vgpr86
; %bb.22:
	s_and_not1_saveexec_b32 s3, s3
; %bb.23:
	v_and_b32_e32 v85, 0xffff, v86
	v_or_b32_e32 v90, 0x10000, v86
	s_delay_alu instid0(VALU_DEP_2) | instskip(NEXT) | instid1(VALU_DEP_2)
	v_cmp_eq_u32_e32 vcc_lo, 0, v85
	v_cndmask_b32_e32 v85, v90, v86, vcc_lo
; %bb.24:
	s_or_b32 exec_lo, exec_lo, s3
	v_and_b32_e32 v86, 0x7f800000, v89
	s_delay_alu instid0(VALU_DEP_1) | instskip(SKIP_1) | instid1(SALU_CYCLE_1)
	v_cmp_ne_u32_e32 vcc_lo, 0x7f800000, v86
                                        ; implicit-def: $vgpr86
	s_and_saveexec_b32 s3, vcc_lo
	s_xor_b32 s3, exec_lo, s3
; %bb.25:
	v_bfe_u32 v86, v89, 16, 1
	s_delay_alu instid0(VALU_DEP_1)
	v_add3_u32 v86, v89, v86, 0x7fff
                                        ; implicit-def: $vgpr89
; %bb.26:
	s_and_not1_saveexec_b32 s3, s3
; %bb.27:
	v_and_b32_e32 v86, 0xffff, v89
	v_or_b32_e32 v90, 0x10000, v89
	s_delay_alu instid0(VALU_DEP_2) | instskip(NEXT) | instid1(VALU_DEP_2)
	v_cmp_eq_u32_e32 vcc_lo, 0, v86
	v_cndmask_b32_e32 v86, v90, v89, vcc_lo
; %bb.28:
	s_or_b32 exec_lo, exec_lo, s3
	v_and_b32_e32 v89, 0x7f800000, v88
	s_delay_alu instid0(VALU_DEP_1) | instskip(SKIP_1) | instid1(SALU_CYCLE_1)
	v_cmp_ne_u32_e32 vcc_lo, 0x7f800000, v89
                                        ; implicit-def: $vgpr89
	s_and_saveexec_b32 s3, vcc_lo
	s_xor_b32 s3, exec_lo, s3
; %bb.29:
	v_bfe_u32 v89, v88, 16, 1
	s_delay_alu instid0(VALU_DEP_1)
	v_add3_u32 v89, v88, v89, 0x7fff
                                        ; implicit-def: $vgpr88
; %bb.30:
	s_and_not1_saveexec_b32 s3, s3
; %bb.31:
	v_and_b32_e32 v89, 0xffff, v88
	v_or_b32_e32 v90, 0x10000, v88
	s_delay_alu instid0(VALU_DEP_2) | instskip(NEXT) | instid1(VALU_DEP_2)
	v_cmp_eq_u32_e32 vcc_lo, 0, v89
	v_cndmask_b32_e32 v89, v90, v88, vcc_lo
; %bb.32:
	s_or_b32 exec_lo, exec_lo, s3
	v_and_b32_e32 v88, 0x7f800000, v87
	s_delay_alu instid0(VALU_DEP_1) | instskip(SKIP_1) | instid1(SALU_CYCLE_1)
	v_cmp_ne_u32_e32 vcc_lo, 0x7f800000, v88
                                        ; implicit-def: $vgpr88
	s_and_saveexec_b32 s3, vcc_lo
	s_xor_b32 s3, exec_lo, s3
; %bb.33:
	v_bfe_u32 v88, v87, 16, 1
	s_delay_alu instid0(VALU_DEP_1)
	v_add3_u32 v88, v87, v88, 0x7fff
                                        ; implicit-def: $vgpr87
; %bb.34:
	s_and_not1_saveexec_b32 s3, s3
; %bb.35:
	v_and_b32_e32 v88, 0xffff, v87
	v_or_b32_e32 v90, 0x10000, v87
	s_delay_alu instid0(VALU_DEP_2) | instskip(NEXT) | instid1(VALU_DEP_2)
	v_cmp_eq_u32_e32 vcc_lo, 0, v88
	v_cndmask_b32_e32 v88, v90, v87, vcc_lo
; %bb.36:
	s_or_b32 exec_lo, exec_lo, s3
	v_and_b32_e32 v87, 0x7f800000, v84
	s_delay_alu instid0(VALU_DEP_1) | instskip(SKIP_1) | instid1(SALU_CYCLE_1)
	v_cmp_ne_u32_e32 vcc_lo, 0x7f800000, v87
                                        ; implicit-def: $vgpr87
	s_and_saveexec_b32 s3, vcc_lo
	s_xor_b32 s3, exec_lo, s3
; %bb.37:
	v_bfe_u32 v87, v84, 16, 1
	s_delay_alu instid0(VALU_DEP_1)
	v_add3_u32 v87, v84, v87, 0x7fff
                                        ; implicit-def: $vgpr84
; %bb.38:
	s_and_not1_saveexec_b32 s3, s3
; %bb.39:
	v_and_b32_e32 v87, 0xffff, v84
	v_or_b32_e32 v90, 0x10000, v84
	s_delay_alu instid0(VALU_DEP_2) | instskip(NEXT) | instid1(VALU_DEP_2)
	v_cmp_eq_u32_e32 vcc_lo, 0, v87
	v_cndmask_b32_e32 v87, v90, v84, vcc_lo
; %bb.40:
	s_or_b32 exec_lo, exec_lo, s3
	v_and_b32_e32 v84, 0x7f800000, v80
	s_delay_alu instid0(VALU_DEP_1) | instskip(SKIP_1) | instid1(SALU_CYCLE_1)
	v_cmp_ne_u32_e32 vcc_lo, 0x7f800000, v84
                                        ; implicit-def: $vgpr84
	s_and_saveexec_b32 s3, vcc_lo
	s_xor_b32 s3, exec_lo, s3
; %bb.41:
	v_bfe_u32 v84, v80, 16, 1
	s_delay_alu instid0(VALU_DEP_1)
	v_add3_u32 v84, v80, v84, 0x7fff
                                        ; implicit-def: $vgpr80
; %bb.42:
	s_and_not1_saveexec_b32 s3, s3
; %bb.43:
	v_and_b32_e32 v84, 0xffff, v80
	v_or_b32_e32 v90, 0x10000, v80
	s_delay_alu instid0(VALU_DEP_2) | instskip(NEXT) | instid1(VALU_DEP_2)
	v_cmp_eq_u32_e32 vcc_lo, 0, v84
	v_cndmask_b32_e32 v84, v90, v80, vcc_lo
; %bb.44:
	s_or_b32 exec_lo, exec_lo, s3
	s_load_b64 s[34:35], s[0:1], 0x94
	v_lshlrev_b32_e32 v91, 4, v74
	s_delay_alu instid0(VALU_DEP_2)
	v_perm_b32 v90, v84, v87, 0x7060302
	v_dual_mul_f32 v79, v82, v79 :: v_dual_lshlrev_b32 v80, 6, v65
	v_dual_mul_f32 v77, v82, v77 :: v_dual_lshlrev_b32 v92, 11, v66
	v_mul_f32_e32 v84, v82, v70
	v_perm_b32 v89, v88, v89, 0x7060302
	v_perm_b32 v88, v86, v85, 0x7060302
	;; [unrolled: 1-line block ×3, first 2 shown]
	v_mul_f32_e32 v70, v82, v81
	v_or3_b32 v76, v91, v92, v80
	v_dual_mul_f32 v78, v82, v78 :: v_dual_and_b32 v85, 0x7f800000, v84
	v_mul_f32_e32 v83, v82, v72
	v_mul_f32_e32 v81, v82, v71
	;; [unrolled: 1-line block ×3, first 2 shown]
	s_mov_b32 s3, exec_lo
	ds_store_b128 v76, v[87:90]
                                        ; implicit-def: $vgpr69
	v_cmpx_ne_u32_e32 0x7f800000, v85
	s_xor_b32 s3, exec_lo, s3
; %bb.45:
	v_bfe_u32 v69, v84, 16, 1
	s_delay_alu instid0(VALU_DEP_1)
	v_add3_u32 v69, v84, v69, 0x7fff
                                        ; implicit-def: $vgpr84
; %bb.46:
	s_and_not1_saveexec_b32 s3, s3
; %bb.47:
	v_and_b32_e32 v69, 0xffff, v84
	v_or_b32_e32 v71, 0x10000, v84
	s_delay_alu instid0(VALU_DEP_2) | instskip(NEXT) | instid1(VALU_DEP_2)
	v_cmp_eq_u32_e32 vcc_lo, 0, v69
	v_cndmask_b32_e32 v69, v71, v84, vcc_lo
; %bb.48:
	s_or_b32 exec_lo, exec_lo, s3
	v_and_b32_e32 v71, 0x7f800000, v72
	s_delay_alu instid0(VALU_DEP_1) | instskip(SKIP_1) | instid1(SALU_CYCLE_1)
	v_cmp_ne_u32_e32 vcc_lo, 0x7f800000, v71
                                        ; implicit-def: $vgpr71
	s_and_saveexec_b32 s3, vcc_lo
	s_xor_b32 s3, exec_lo, s3
; %bb.49:
	v_bfe_u32 v71, v72, 16, 1
	s_delay_alu instid0(VALU_DEP_1)
	v_add3_u32 v71, v72, v71, 0x7fff
                                        ; implicit-def: $vgpr72
; %bb.50:
	s_and_not1_saveexec_b32 s3, s3
; %bb.51:
	v_and_b32_e32 v71, 0xffff, v72
	v_or_b32_e32 v82, 0x10000, v72
	s_delay_alu instid0(VALU_DEP_2) | instskip(NEXT) | instid1(VALU_DEP_2)
	v_cmp_eq_u32_e32 vcc_lo, 0, v71
	v_cndmask_b32_e32 v71, v82, v72, vcc_lo
; %bb.52:
	s_or_b32 exec_lo, exec_lo, s3
	v_and_b32_e32 v72, 0x7f800000, v81
	s_delay_alu instid0(VALU_DEP_1) | instskip(SKIP_1) | instid1(SALU_CYCLE_1)
	v_cmp_ne_u32_e32 vcc_lo, 0x7f800000, v72
                                        ; implicit-def: $vgpr72
	s_and_saveexec_b32 s3, vcc_lo
	s_xor_b32 s3, exec_lo, s3
; %bb.53:
	v_bfe_u32 v72, v81, 16, 1
	s_delay_alu instid0(VALU_DEP_1)
	v_add3_u32 v72, v81, v72, 0x7fff
                                        ; implicit-def: $vgpr81
; %bb.54:
	s_and_not1_saveexec_b32 s3, s3
; %bb.55:
	v_and_b32_e32 v72, 0xffff, v81
	v_or_b32_e32 v82, 0x10000, v81
	s_delay_alu instid0(VALU_DEP_2) | instskip(NEXT) | instid1(VALU_DEP_2)
	v_cmp_eq_u32_e32 vcc_lo, 0, v72
	v_cndmask_b32_e32 v72, v82, v81, vcc_lo
; %bb.56:
	s_or_b32 exec_lo, exec_lo, s3
	v_and_b32_e32 v81, 0x7f800000, v83
	s_delay_alu instid0(VALU_DEP_1) | instskip(SKIP_1) | instid1(SALU_CYCLE_1)
	v_cmp_ne_u32_e32 vcc_lo, 0x7f800000, v81
                                        ; implicit-def: $vgpr81
	s_and_saveexec_b32 s3, vcc_lo
	s_xor_b32 s3, exec_lo, s3
; %bb.57:
	v_bfe_u32 v81, v83, 16, 1
	s_delay_alu instid0(VALU_DEP_1)
	v_add3_u32 v81, v83, v81, 0x7fff
                                        ; implicit-def: $vgpr83
; %bb.58:
	s_and_not1_saveexec_b32 s3, s3
; %bb.59:
	v_and_b32_e32 v81, 0xffff, v83
	v_or_b32_e32 v82, 0x10000, v83
	s_delay_alu instid0(VALU_DEP_2) | instskip(NEXT) | instid1(VALU_DEP_2)
	v_cmp_eq_u32_e32 vcc_lo, 0, v81
	v_cndmask_b32_e32 v81, v82, v83, vcc_lo
; %bb.60:
	s_or_b32 exec_lo, exec_lo, s3
	v_and_b32_e32 v82, 0x7f800000, v77
	s_delay_alu instid0(VALU_DEP_1) | instskip(SKIP_1) | instid1(SALU_CYCLE_1)
	v_cmp_ne_u32_e32 vcc_lo, 0x7f800000, v82
                                        ; implicit-def: $vgpr82
	s_and_saveexec_b32 s3, vcc_lo
	s_xor_b32 s3, exec_lo, s3
; %bb.61:
	v_bfe_u32 v82, v77, 16, 1
	s_delay_alu instid0(VALU_DEP_1)
	v_add3_u32 v82, v77, v82, 0x7fff
                                        ; implicit-def: $vgpr77
; %bb.62:
	s_and_not1_saveexec_b32 s3, s3
; %bb.63:
	v_and_b32_e32 v82, 0xffff, v77
	v_or_b32_e32 v83, 0x10000, v77
	s_delay_alu instid0(VALU_DEP_2) | instskip(NEXT) | instid1(VALU_DEP_2)
	v_cmp_eq_u32_e32 vcc_lo, 0, v82
	v_cndmask_b32_e32 v82, v83, v77, vcc_lo
; %bb.64:
	s_or_b32 exec_lo, exec_lo, s3
	v_and_b32_e32 v77, 0x7f800000, v78
	s_delay_alu instid0(VALU_DEP_1) | instskip(SKIP_1) | instid1(SALU_CYCLE_1)
	v_cmp_ne_u32_e32 vcc_lo, 0x7f800000, v77
                                        ; implicit-def: $vgpr77
	s_and_saveexec_b32 s3, vcc_lo
	s_xor_b32 s3, exec_lo, s3
; %bb.65:
	v_bfe_u32 v77, v78, 16, 1
	s_delay_alu instid0(VALU_DEP_1)
	v_add3_u32 v77, v78, v77, 0x7fff
                                        ; implicit-def: $vgpr78
; %bb.66:
	s_and_not1_saveexec_b32 s3, s3
; %bb.67:
	v_and_b32_e32 v77, 0xffff, v78
	v_or_b32_e32 v83, 0x10000, v78
	s_delay_alu instid0(VALU_DEP_2) | instskip(NEXT) | instid1(VALU_DEP_2)
	v_cmp_eq_u32_e32 vcc_lo, 0, v77
	v_cndmask_b32_e32 v77, v83, v78, vcc_lo
; %bb.68:
	s_or_b32 exec_lo, exec_lo, s3
	v_and_b32_e32 v78, 0x7f800000, v79
	s_delay_alu instid0(VALU_DEP_1) | instskip(SKIP_1) | instid1(SALU_CYCLE_1)
	v_cmp_ne_u32_e32 vcc_lo, 0x7f800000, v78
                                        ; implicit-def: $vgpr78
	s_and_saveexec_b32 s3, vcc_lo
	s_xor_b32 s3, exec_lo, s3
; %bb.69:
	v_bfe_u32 v78, v79, 16, 1
	s_delay_alu instid0(VALU_DEP_1)
	v_add3_u32 v78, v79, v78, 0x7fff
                                        ; implicit-def: $vgpr79
; %bb.70:
	s_and_not1_saveexec_b32 s3, s3
; %bb.71:
	v_and_b32_e32 v78, 0xffff, v79
	v_or_b32_e32 v83, 0x10000, v79
	s_delay_alu instid0(VALU_DEP_2) | instskip(NEXT) | instid1(VALU_DEP_2)
	v_cmp_eq_u32_e32 vcc_lo, 0, v78
	v_cndmask_b32_e32 v78, v83, v79, vcc_lo
; %bb.72:
	s_or_b32 exec_lo, exec_lo, s3
	v_and_b32_e32 v79, 0x7f800000, v70
	s_delay_alu instid0(VALU_DEP_1) | instskip(SKIP_1) | instid1(SALU_CYCLE_1)
	v_cmp_ne_u32_e32 vcc_lo, 0x7f800000, v79
                                        ; implicit-def: $vgpr79
	s_and_saveexec_b32 s3, vcc_lo
	s_xor_b32 s3, exec_lo, s3
; %bb.73:
	v_bfe_u32 v79, v70, 16, 1
	s_delay_alu instid0(VALU_DEP_1)
	v_add3_u32 v79, v70, v79, 0x7fff
                                        ; implicit-def: $vgpr70
; %bb.74:
	s_and_not1_saveexec_b32 s3, s3
; %bb.75:
	v_and_b32_e32 v79, 0xffff, v70
	v_or_b32_e32 v83, 0x10000, v70
	s_delay_alu instid0(VALU_DEP_2) | instskip(NEXT) | instid1(VALU_DEP_2)
	v_cmp_eq_u32_e32 vcc_lo, 0, v79
	v_cndmask_b32_e32 v79, v83, v70, vcc_lo
; %bb.76:
	s_or_b32 exec_lo, exec_lo, s3
	s_delay_alu instid0(VALU_DEP_1)
	v_perm_b32 v86, v79, v78, 0x7060302
	v_perm_b32 v85, v77, v82, 0x7060302
	;; [unrolled: 1-line block ×4, first 2 shown]
	v_lshl_or_b32 v82, v66, 11, v80
	ds_store_b128 v76, v[83:86] offset:1024
	s_waitcnt lgkmcnt(0)
	s_barrier
	buffer_gl0_inv
	ds_load_b128 v[69:72], v82
	ds_load_b128 v[83:86], v82 offset:16
	s_waitcnt lgkmcnt(1)
	v_lshrrev_b32_e32 v66, 16, v69
	s_waitcnt lgkmcnt(0)
	v_lshrrev_b32_e32 v91, 16, v83
	v_lshlrev_b32_e32 v78, 2, v74
	v_lshrrev_b32_e32 v95, 16, v70
	v_lshrrev_b32_e32 v98, 16, v84
	;; [unrolled: 1-line block ×4, first 2 shown]
	v_cmp_eq_u32_e32 vcc_lo, 1, v78
	v_lshrrev_b32_e32 v97, 16, v72
	v_lshrrev_b32_e32 v100, 16, v86
	v_cndmask_b32_e32 v87, v83, v91, vcc_lo
	v_or_b32_e32 v79, 1, v78
	v_cndmask_b32_e32 v81, v69, v66, vcc_lo
	v_cmp_eq_u32_e64 s4, 2, v78
	v_cmp_eq_u32_e64 s7, 3, v78
	;; [unrolled: 1-line block ×5, first 2 shown]
	v_cndmask_b32_e64 v81, v81, v70, s4
	v_cndmask_b32_e64 v87, v87, v84, s4
	v_cmp_eq_u32_e64 s8, 3, v79
	v_cndmask_b32_e64 v88, v69, v66, s3
	v_or_b32_e32 v77, 2, v78
	v_cndmask_b32_e64 v81, v81, v95, s7
	v_cndmask_b32_e64 v87, v87, v98, s7
	;; [unrolled: 1-line block ×4, first 2 shown]
	v_cmp_eq_u32_e64 s10, 5, v78
	v_cndmask_b32_e64 v81, v81, v71, s9
	v_cndmask_b32_e64 v87, v87, v85, s9
	v_cmp_eq_u32_e64 s11, 4, v79
	v_cndmask_b32_e64 v88, v88, v95, s8
	v_cmp_eq_u32_e64 s5, 1, v77
	v_cndmask_b32_e64 v89, v89, v84, s6
	v_cndmask_b32_e64 v81, v81, v96, s10
	v_cmp_eq_u32_e64 s12, 6, v78
	v_cndmask_b32_e64 v88, v88, v71, s11
	;; [unrolled: 3-line block ×3, first 2 shown]
	v_cndmask_b32_e64 v89, v89, v98, s8
	v_cndmask_b32_e64 v81, v81, v72, s12
	v_cmp_eq_u32_e64 s15, 7, v78
	v_cndmask_b32_e64 v88, v88, v96, s13
	v_cndmask_b32_e64 v87, v87, v86, s12
	v_cmp_eq_u32_e64 s16, 6, v79
	v_cmp_eq_u32_e64 s17, 2, v77
	v_cndmask_b32_e64 v89, v89, v85, s11
	v_cndmask_b32_e64 v101, v81, v97, s15
	;; [unrolled: 1-line block ×6, first 2 shown]
	v_cmp_eq_u32_e64 s18, 7, v79
	v_cmp_eq_u32_e64 s19, 3, v77
	;; [unrolled: 1-line block ×4, first 2 shown]
	v_cndmask_b32_e64 v87, v87, v84, s17
	v_cndmask_b32_e64 v103, v88, v97, s18
	;; [unrolled: 1-line block ×4, first 2 shown]
	v_or_b32_e32 v81, 3, v78
	v_cndmask_b32_e64 v93, v87, v98, s19
	v_cmp_eq_u32_e64 s24, 6, v77
	v_cndmask_b32_e64 v104, v88, v86, s16
	v_cndmask_b32_e64 v92, v89, v71, s20
	v_cmp_eq_u32_e64 s21, 1, v81
	ds_load_b128 v[87:90], v82 offset:1024
	v_cmp_eq_u32_e64 s23, 2, v81
	v_cmp_eq_u32_e64 s25, 3, v81
	v_cndmask_b32_e64 v105, v92, v96, s22
	v_cndmask_b32_e64 v66, v69, v66, s21
	;; [unrolled: 1-line block ×4, first 2 shown]
	ds_load_b128 v[91:94], v82 offset:1040
	v_cmp_eq_u32_e64 s26, 4, v81
	v_cndmask_b32_e64 v66, v66, v70, s23
	v_cmp_eq_u32_e64 s27, 7, v77
	v_cndmask_b32_e64 v70, v83, v84, s23
	v_cndmask_b32_e64 v84, v105, v72, s24
	v_cmp_eq_u32_e64 s28, 5, v81
	v_cndmask_b32_e64 v66, v66, v95, s25
	v_cmp_eq_u32_e64 s29, 6, v81
	v_cndmask_b32_e64 v70, v70, v98, s25
	v_cndmask_b32_e64 v69, v69, v99, s22
	;; [unrolled: 1-line block ×4, first 2 shown]
	s_waitcnt lgkmcnt(1)
	v_lshrrev_b32_e32 v95, 16, v87
	v_cndmask_b32_e64 v70, v70, v85, s26
	v_cndmask_b32_e64 v71, v84, v97, s27
	v_cndmask_b32_e64 v69, v69, v86, s24
	v_cndmask_b32_e64 v66, v66, v96, s28
	v_cndmask_b32_e32 v84, v87, v95, vcc_lo
	v_cndmask_b32_e64 v70, v70, v99, s28
	s_waitcnt lgkmcnt(0)
	v_lshrrev_b32_e32 v85, 16, v91
	v_lshrrev_b32_e32 v96, 16, v88
	v_cndmask_b32_e64 v98, v87, v95, s3
	v_cndmask_b32_e64 v84, v84, v88, s4
	;; [unrolled: 1-line block ×3, first 2 shown]
	v_cndmask_b32_e32 v99, v91, v85, vcc_lo
	v_cmp_eq_u32_e32 vcc_lo, 7, v81
	v_cndmask_b32_e64 v66, v66, v72, s29
	v_cndmask_b32_e64 v72, v84, v96, s7
	;; [unrolled: 1-line block ×3, first 2 shown]
	v_lshrrev_b32_e32 v98, 16, v92
	v_cndmask_b32_e32 v70, v70, v100, vcc_lo
	v_cndmask_b32_e64 v86, v99, v92, s4
	v_cndmask_b32_e64 v69, v69, v100, s27
	v_lshrrev_b32_e32 v100, 16, v93
	v_cndmask_b32_e64 v72, v72, v89, s9
	v_lshrrev_b32_e32 v99, 16, v89
	v_cndmask_b32_e64 v86, v86, v98, s7
	v_perm_b32 v71, v69, v71, 0x5040100
	v_cndmask_b32_e64 v84, v84, v96, s8
	s_delay_alu instid0(VALU_DEP_3) | instskip(NEXT) | instid1(VALU_DEP_2)
	v_cndmask_b32_e64 v86, v86, v93, s9
	v_cndmask_b32_e64 v84, v84, v89, s11
	s_delay_alu instid0(VALU_DEP_2) | instskip(NEXT) | instid1(VALU_DEP_1)
	v_cndmask_b32_e64 v86, v86, v100, s10
	v_cndmask_b32_e64 v69, v86, v94, s12
	;; [unrolled: 1-line block ×5, first 2 shown]
	s_delay_alu instid0(VALU_DEP_3) | instskip(NEXT) | instid1(VALU_DEP_3)
	v_cndmask_b32_e64 v86, v86, v88, s17
	v_cndmask_b32_e64 v87, v87, v88, s23
	s_delay_alu instid0(VALU_DEP_3) | instskip(NEXT) | instid1(VALU_DEP_3)
	v_cndmask_b32_e64 v88, v95, v92, s23
	v_cndmask_b32_e64 v86, v86, v96, s19
	;; [unrolled: 3-line block ×7, first 2 shown]
	s_delay_alu instid0(VALU_DEP_3) | instskip(SKIP_2) | instid1(VALU_DEP_2)
	v_cndmask_b32_e64 v88, v88, v94, s29
	v_cndmask_b32_e32 v66, v66, v97, vcc_lo
	v_cndmask_b32_e64 v97, v72, v99, s10
	v_perm_b32 v72, v70, v66, 0x5040100
	v_perm_b32 v70, v83, v103, 0x5040100
	v_cndmask_b32_e64 v103, v91, v85, s5
	v_cndmask_b32_e64 v85, v91, v85, s3
	;; [unrolled: 1-line block ×4, first 2 shown]
	v_lshrrev_b32_e32 v97, 16, v90
	v_cndmask_b32_e64 v91, v103, v92, s17
	v_cndmask_b32_e64 v85, v85, v92, s6
	;; [unrolled: 1-line block ×3, first 2 shown]
	s_mov_b32 s3, exec_lo
	v_cndmask_b32_e64 v83, v84, v97, s15
	v_cndmask_b32_e64 v91, v91, v98, s19
	;; [unrolled: 1-line block ×3, first 2 shown]
	v_lshrrev_b32_e32 v84, 16, v94
	v_cndmask_b32_e64 v66, v66, v97, s18
	v_cndmask_b32_e64 v90, v86, v97, s27
	;; [unrolled: 1-line block ×4, first 2 shown]
	v_dual_cndmask_b32 v86, v87, v97 :: v_dual_cndmask_b32 v87, v88, v84
	v_cndmask_b32_e64 v91, v69, v84, s15
	s_delay_alu instid0(VALU_DEP_4) | instskip(NEXT) | instid1(VALU_DEP_4)
	v_cndmask_b32_e64 v89, v89, v100, s22
	v_cndmask_b32_e64 v85, v85, v100, s13
	v_perm_b32 v69, v102, v101, 0x5040100
	v_perm_b32 v86, v87, v86, 0x5040100
	v_perm_b32 v83, v91, v83, 0x5040100
	v_cndmask_b32_e64 v89, v89, v94, s24
	v_cndmask_b32_e64 v85, v85, v94, s16
	s_mul_i32 s8, s35, 12
	s_delay_alu instid0(VALU_DEP_2) | instskip(NEXT) | instid1(VALU_DEP_2)
	v_cndmask_b32_e64 v88, v89, v84, s27
	v_cndmask_b32_e64 v89, v85, v84, s18
	s_delay_alu instid0(VALU_DEP_2) | instskip(NEXT) | instid1(VALU_DEP_2)
	v_perm_b32 v85, v88, v90, 0x5040100
	v_perm_b32 v84, v89, v66, 0x5040100
	ds_store_b128 v76, v[69:72]
	ds_store_b128 v76, v[83:86] offset:1024
	v_cmpx_gt_u32_e32 12, v0
	s_cbranch_execz .LBB1753_78
; %bb.77:
	s_mul_i32 s4, s8, s30
	s_delay_alu instid0(SALU_CYCLE_1) | instskip(SKIP_1) | instid1(VALU_DEP_1)
	v_add3_u32 v69, s4, s31, v65
	s_load_b128 s[4:7], s[0:1], 0x58
	v_mad_u64_u32 v[65:66], null, v69, s34, s[14:15]
	s_delay_alu instid0(VALU_DEP_1) | instskip(NEXT) | instid1(VALU_DEP_1)
	v_ashrrev_i32_e32 v66, 31, v65
	v_lshlrev_b64 v[65:66], 2, v[65:66]
	s_waitcnt lgkmcnt(0)
	s_delay_alu instid0(VALU_DEP_1) | instskip(NEXT) | instid1(VALU_DEP_2)
	v_add_co_u32 v69, vcc_lo, s6, v65
	v_add_co_ci_u32_e32 v70, vcc_lo, s7, v66, vcc_lo
	v_add_co_u32 v65, vcc_lo, s4, v65
	v_add_co_ci_u32_e32 v66, vcc_lo, s5, v66, vcc_lo
	global_store_b32 v[69:70], v67, off
	global_store_b32 v[65:66], v68, off
.LBB1753_78:
	s_or_b32 exec_lo, exec_lo, s3
	s_waitcnt lgkmcnt(0)
	s_waitcnt_vscnt null, 0x0
	s_barrier
	buffer_gl0_inv
	ds_load_b128 v[83:86], v80
	ds_load_b128 v[87:90], v80 offset:16
	ds_load_b128 v[95:98], v80 offset:2064
	;; [unrolled: 1-line block ×3, first 2 shown]
	v_mov_b32_e32 v65, 0
	ds_load_b128 v[103:106], v80 offset:4112
	ds_load_b128 v[99:102], v80 offset:4096
	;; [unrolled: 1-line block ×4, first 2 shown]
	v_mov_b32_e32 v66, v65
	v_mov_b32_e32 v67, v65
	;; [unrolled: 1-line block ×7, first 2 shown]
	s_waitcnt lgkmcnt(6)
	s_delay_alu instid0(VALU_DEP_1)
	v_wmma_f32_16x16x16_bf16 v[65:72], v[57:64], v[83:90], v[65:72]
	ds_load_b128 v[61:64], v80 offset:8208
	ds_load_b128 v[57:60], v80 offset:8192
	s_waitcnt lgkmcnt(6)
	v_wmma_f32_16x16x16_bf16 v[65:72], v[41:48], v[91:98], v[65:72]
	ds_load_b128 v[45:48], v80 offset:10256
	ds_load_b128 v[41:44], v80 offset:10240
	s_waitcnt lgkmcnt(6)
	;; [unrolled: 4-line block ×4, first 2 shown]
	v_wmma_f32_16x16x16_bf16 v[65:72], v[1:8], v[57:64], v[65:72]
	s_waitcnt lgkmcnt(4)
	s_delay_alu instid0(VALU_DEP_1) | instskip(SKIP_1) | instid1(VALU_DEP_1)
	v_wmma_f32_16x16x16_bf16 v[65:72], v[9:16], v[41:48], v[65:72]
	s_waitcnt lgkmcnt(2)
	v_wmma_f32_16x16x16_bf16 v[65:72], v[17:24], v[33:40], v[65:72]
	s_waitcnt lgkmcnt(0)
	s_delay_alu instid0(VALU_DEP_1) | instskip(NEXT) | instid1(VALU_DEP_1)
	v_wmma_f32_16x16x16_bf16 v[65:72], v[49:56], v[25:32], v[65:72]
	v_and_b32_e32 v1, 0x7f800000, v65
	s_delay_alu instid0(VALU_DEP_1) | instskip(SKIP_1) | instid1(SALU_CYCLE_1)
	v_cmp_ne_u32_e32 vcc_lo, 0x7f800000, v1
                                        ; implicit-def: $vgpr1
	s_and_saveexec_b32 s3, vcc_lo
	s_xor_b32 s3, exec_lo, s3
; %bb.79:
	v_bfe_u32 v1, v65, 16, 1
	s_delay_alu instid0(VALU_DEP_1)
	v_add3_u32 v1, v65, v1, 0x7fff
; %bb.80:
	s_and_not1_saveexec_b32 s3, s3
; %bb.81:
	v_and_b32_e32 v1, 0xffff, v65
	v_or_b32_e32 v2, 0x10000, v65
	s_delay_alu instid0(VALU_DEP_2) | instskip(NEXT) | instid1(VALU_DEP_2)
	v_cmp_eq_u32_e32 vcc_lo, 0, v1
	v_cndmask_b32_e32 v1, v2, v65, vcc_lo
; %bb.82:
	s_or_b32 exec_lo, exec_lo, s3
	v_and_b32_e32 v2, 0x7f800000, v66
	s_delay_alu instid0(VALU_DEP_1) | instskip(SKIP_1) | instid1(SALU_CYCLE_1)
	v_cmp_ne_u32_e32 vcc_lo, 0x7f800000, v2
                                        ; implicit-def: $vgpr2
	s_and_saveexec_b32 s3, vcc_lo
	s_xor_b32 s3, exec_lo, s3
; %bb.83:
	v_bfe_u32 v2, v66, 16, 1
	s_delay_alu instid0(VALU_DEP_1)
	v_add3_u32 v2, v66, v2, 0x7fff
; %bb.84:
	s_and_not1_saveexec_b32 s3, s3
; %bb.85:
	v_and_b32_e32 v2, 0xffff, v66
	v_or_b32_e32 v3, 0x10000, v66
	s_delay_alu instid0(VALU_DEP_2) | instskip(NEXT) | instid1(VALU_DEP_2)
	v_cmp_eq_u32_e32 vcc_lo, 0, v2
	v_cndmask_b32_e32 v2, v3, v66, vcc_lo
; %bb.86:
	s_or_b32 exec_lo, exec_lo, s3
	v_and_b32_e32 v3, 0x7f800000, v67
	s_delay_alu instid0(VALU_DEP_1) | instskip(SKIP_1) | instid1(SALU_CYCLE_1)
	v_cmp_ne_u32_e32 vcc_lo, 0x7f800000, v3
                                        ; implicit-def: $vgpr3
	s_and_saveexec_b32 s3, vcc_lo
	s_xor_b32 s3, exec_lo, s3
; %bb.87:
	v_bfe_u32 v3, v67, 16, 1
	s_delay_alu instid0(VALU_DEP_1)
	v_add3_u32 v3, v67, v3, 0x7fff
; %bb.88:
	s_and_not1_saveexec_b32 s3, s3
; %bb.89:
	v_and_b32_e32 v3, 0xffff, v67
	v_or_b32_e32 v4, 0x10000, v67
	s_delay_alu instid0(VALU_DEP_2) | instskip(NEXT) | instid1(VALU_DEP_2)
	v_cmp_eq_u32_e32 vcc_lo, 0, v3
	v_cndmask_b32_e32 v3, v4, v67, vcc_lo
; %bb.90:
	s_or_b32 exec_lo, exec_lo, s3
	v_and_b32_e32 v4, 0x7f800000, v68
	s_delay_alu instid0(VALU_DEP_1) | instskip(SKIP_1) | instid1(SALU_CYCLE_1)
	v_cmp_ne_u32_e32 vcc_lo, 0x7f800000, v4
                                        ; implicit-def: $vgpr4
	s_and_saveexec_b32 s3, vcc_lo
	s_xor_b32 s3, exec_lo, s3
; %bb.91:
	v_bfe_u32 v4, v68, 16, 1
	s_delay_alu instid0(VALU_DEP_1)
	v_add3_u32 v4, v68, v4, 0x7fff
; %bb.92:
	s_and_not1_saveexec_b32 s3, s3
; %bb.93:
	v_and_b32_e32 v4, 0xffff, v68
	v_or_b32_e32 v5, 0x10000, v68
	s_delay_alu instid0(VALU_DEP_2) | instskip(NEXT) | instid1(VALU_DEP_2)
	v_cmp_eq_u32_e32 vcc_lo, 0, v4
	v_cndmask_b32_e32 v4, v5, v68, vcc_lo
; %bb.94:
	s_or_b32 exec_lo, exec_lo, s3
	v_and_b32_e32 v5, 0x7f800000, v69
	s_delay_alu instid0(VALU_DEP_1) | instskip(SKIP_1) | instid1(SALU_CYCLE_1)
	v_cmp_ne_u32_e32 vcc_lo, 0x7f800000, v5
                                        ; implicit-def: $vgpr5
	s_and_saveexec_b32 s3, vcc_lo
	s_xor_b32 s3, exec_lo, s3
; %bb.95:
	v_bfe_u32 v5, v69, 16, 1
	s_delay_alu instid0(VALU_DEP_1)
	v_add3_u32 v5, v69, v5, 0x7fff
; %bb.96:
	s_and_not1_saveexec_b32 s3, s3
; %bb.97:
	v_and_b32_e32 v5, 0xffff, v69
	v_or_b32_e32 v6, 0x10000, v69
	s_delay_alu instid0(VALU_DEP_2) | instskip(NEXT) | instid1(VALU_DEP_2)
	v_cmp_eq_u32_e32 vcc_lo, 0, v5
	v_cndmask_b32_e32 v5, v6, v69, vcc_lo
; %bb.98:
	s_or_b32 exec_lo, exec_lo, s3
	v_and_b32_e32 v6, 0x7f800000, v70
	s_delay_alu instid0(VALU_DEP_1) | instskip(SKIP_1) | instid1(SALU_CYCLE_1)
	v_cmp_ne_u32_e32 vcc_lo, 0x7f800000, v6
                                        ; implicit-def: $vgpr6
	s_and_saveexec_b32 s3, vcc_lo
	s_xor_b32 s3, exec_lo, s3
; %bb.99:
	v_bfe_u32 v6, v70, 16, 1
	s_delay_alu instid0(VALU_DEP_1)
	v_add3_u32 v6, v70, v6, 0x7fff
; %bb.100:
	s_and_not1_saveexec_b32 s3, s3
; %bb.101:
	v_and_b32_e32 v6, 0xffff, v70
	v_or_b32_e32 v7, 0x10000, v70
	s_delay_alu instid0(VALU_DEP_2) | instskip(NEXT) | instid1(VALU_DEP_2)
	v_cmp_eq_u32_e32 vcc_lo, 0, v6
	v_cndmask_b32_e32 v6, v7, v70, vcc_lo
; %bb.102:
	s_or_b32 exec_lo, exec_lo, s3
	v_and_b32_e32 v7, 0x7f800000, v71
	s_delay_alu instid0(VALU_DEP_1) | instskip(SKIP_1) | instid1(SALU_CYCLE_1)
	v_cmp_ne_u32_e32 vcc_lo, 0x7f800000, v7
                                        ; implicit-def: $vgpr7
	s_and_saveexec_b32 s3, vcc_lo
	s_xor_b32 s3, exec_lo, s3
; %bb.103:
	v_bfe_u32 v7, v71, 16, 1
	s_delay_alu instid0(VALU_DEP_1)
	v_add3_u32 v7, v71, v7, 0x7fff
; %bb.104:
	s_and_not1_saveexec_b32 s3, s3
; %bb.105:
	v_and_b32_e32 v7, 0xffff, v71
	v_or_b32_e32 v8, 0x10000, v71
	s_delay_alu instid0(VALU_DEP_2) | instskip(NEXT) | instid1(VALU_DEP_2)
	v_cmp_eq_u32_e32 vcc_lo, 0, v7
	v_cndmask_b32_e32 v7, v8, v71, vcc_lo
; %bb.106:
	s_or_b32 exec_lo, exec_lo, s3
	v_and_b32_e32 v8, 0x7f800000, v72
	s_delay_alu instid0(VALU_DEP_1) | instskip(SKIP_1) | instid1(SALU_CYCLE_1)
	v_cmp_ne_u32_e32 vcc_lo, 0x7f800000, v8
                                        ; implicit-def: $vgpr8
	s_and_saveexec_b32 s3, vcc_lo
	s_xor_b32 s3, exec_lo, s3
; %bb.107:
	v_bfe_u32 v8, v72, 16, 1
	s_delay_alu instid0(VALU_DEP_1)
	v_add3_u32 v8, v72, v8, 0x7fff
                                        ; implicit-def: $vgpr65_vgpr66_vgpr67_vgpr68_vgpr69_vgpr70_vgpr71_vgpr72
; %bb.108:
	s_and_not1_saveexec_b32 s3, s3
; %bb.109:
	v_and_b32_e32 v8, 0xffff, v72
	v_or_b32_e32 v9, 0x10000, v72
	s_delay_alu instid0(VALU_DEP_2) | instskip(NEXT) | instid1(VALU_DEP_2)
	v_cmp_eq_u32_e32 vcc_lo, 0, v8
	v_cndmask_b32_e32 v8, v9, v72, vcc_lo
; %bb.110:
	s_or_b32 exec_lo, exec_lo, s3
	s_delay_alu instid0(VALU_DEP_1)
	v_perm_b32 v7, v8, v7, 0x7060302
	v_perm_b32 v6, v6, v5, 0x7060302
	;; [unrolled: 1-line block ×4, first 2 shown]
	s_barrier
	buffer_gl0_inv
	v_cmp_eq_u32_e32 vcc_lo, 1, v78
	ds_store_b128 v76, v[4:7]
	s_waitcnt lgkmcnt(0)
	s_barrier
	buffer_gl0_inv
	ds_load_b128 v[1:4], v82
	ds_load_b128 v[5:8], v82 offset:16
	v_cmp_eq_u32_e64 s3, 1, v79
	v_cmp_eq_u32_e64 s4, 2, v78
	;; [unrolled: 1-line block ×5, first 2 shown]
	s_waitcnt lgkmcnt(1)
	v_lshrrev_b32_e32 v9, 16, v1
	s_waitcnt lgkmcnt(0)
	v_lshrrev_b32_e32 v13, 16, v5
	v_lshrrev_b32_e32 v10, 16, v2
	;; [unrolled: 1-line block ×4, first 2 shown]
	v_cndmask_b32_e64 v19, v1, v9, s3
	v_cndmask_b32_e32 v18, v5, v13, vcc_lo
	v_cndmask_b32_e64 v20, v5, v13, s3
	v_cndmask_b32_e32 v17, v1, v9, vcc_lo
	v_cmp_eq_u32_e32 vcc_lo, 2, v79
	v_lshrrev_b32_e32 v15, 16, v7
	v_cmp_eq_u32_e64 s3, 1, v77
	v_lshrrev_b32_e32 v12, 16, v4
	v_lshrrev_b32_e32 v16, 16, v8
	v_cndmask_b32_e32 v20, v20, v6, vcc_lo
	v_cndmask_b32_e64 v17, v17, v2, s4
	v_cndmask_b32_e32 v19, v19, v2, vcc_lo
	v_cndmask_b32_e64 v18, v18, v6, s4
	v_cmp_eq_u32_e32 vcc_lo, 4, v78
	v_cmp_eq_u32_e64 s4, 3, v79
	v_cndmask_b32_e64 v17, v17, v10, s5
	v_cndmask_b32_e64 v21, v1, v9, s3
	;; [unrolled: 1-line block ×5, first 2 shown]
	v_cndmask_b32_e32 v17, v17, v3, vcc_lo
	v_cndmask_b32_e64 v20, v20, v14, s4
	v_cndmask_b32_e32 v18, v18, v7, vcc_lo
	v_cmp_eq_u32_e32 vcc_lo, 4, v79
	v_cmp_eq_u32_e64 s4, 5, v79
	v_cmp_eq_u32_e64 s3, 2, v81
	v_cndmask_b32_e64 v21, v21, v2, s7
	v_cmp_eq_u32_e64 s5, 5, v78
	v_cndmask_b32_e32 v19, v19, v3, vcc_lo
	v_cndmask_b32_e32 v20, v20, v7, vcc_lo
	v_cmp_eq_u32_e32 vcc_lo, 6, v79
	s_delay_alu instid0(VALU_DEP_4) | instskip(NEXT) | instid1(VALU_DEP_4)
	v_cndmask_b32_e64 v17, v17, v11, s5
	v_cndmask_b32_e64 v19, v19, v11, s4
	s_delay_alu instid0(VALU_DEP_4) | instskip(SKIP_1) | instid1(VALU_DEP_3)
	v_cndmask_b32_e64 v20, v20, v15, s4
	v_cmp_eq_u32_e64 s4, 1, v81
	v_cndmask_b32_e32 v19, v19, v4, vcc_lo
	v_cndmask_b32_e64 v18, v18, v15, s5
	s_delay_alu instid0(VALU_DEP_3)
	v_cndmask_b32_e64 v1, v1, v9, s4
	v_cndmask_b32_e64 v5, v5, v13, s4
	v_cmp_eq_u32_e64 s4, 3, v77
	v_cndmask_b32_e64 v13, v22, v6, s7
	v_cmp_eq_u32_e64 s7, 3, v81
	v_cndmask_b32_e64 v1, v1, v2, s3
	v_cndmask_b32_e64 v2, v5, v6, s3
	;; [unrolled: 1-line block ×3, first 2 shown]
	v_cmp_eq_u32_e64 s3, 4, v77
	v_cndmask_b32_e64 v6, v13, v14, s4
	v_cndmask_b32_e64 v1, v1, v10, s7
	v_cmp_eq_u32_e64 s4, 4, v81
	v_cndmask_b32_e64 v2, v2, v14, s7
	v_cndmask_b32_e64 v5, v9, v3, s3
	;; [unrolled: 3-line block ×3, first 2 shown]
	v_cndmask_b32_e64 v2, v2, v7, s4
	v_cmp_eq_u32_e64 s3, 5, v81
	v_cmp_eq_u32_e64 s5, 6, v78
	v_cndmask_b32_e64 v5, v5, v11, s7
	v_cmp_eq_u32_e64 s4, 6, v77
	v_cndmask_b32_e64 v3, v6, v15, s7
	v_cndmask_b32_e64 v1, v1, v11, s3
	v_cmp_eq_u32_e64 s7, 6, v81
	v_cndmask_b32_e64 v2, v2, v15, s3
	v_cndmask_b32_e64 v17, v17, v4, s5
	v_cndmask_b32_e64 v18, v18, v8, s5
	v_cmp_eq_u32_e64 s5, 7, v78
	v_cndmask_b32_e64 v5, v5, v4, s4
	;; [unrolled: 4-line block ×3, first 2 shown]
	v_cmp_eq_u32_e64 s4, 7, v77
	v_cndmask_b32_e32 v4, v20, v8, vcc_lo
	v_cndmask_b32_e64 v17, v17, v12, s5
	v_cndmask_b32_e64 v19, v19, v12, s6
	;; [unrolled: 1-line block ×8, first 2 shown]
	v_cmp_gt_u32_e32 vcc_lo, 32, v0
	v_perm_b32 v4, v2, v1, 0x5040100
	v_perm_b32 v3, v3, v5, 0x5040100
	;; [unrolled: 1-line block ×4, first 2 shown]
	s_and_b32 s2, vcc_lo, s2
	ds_store_b128 v76, v[1:4]
	s_waitcnt lgkmcnt(0)
	s_barrier
	buffer_gl0_inv
	s_and_saveexec_b32 s3, s2
	s_cbranch_execz .LBB1753_2
; %bb.111:
	s_load_b64 s[0:1], s[0:1], 0x68
	v_lshlrev_b32_e32 v0, 10, v0
	s_lshl_b32 s4, s34, 6
	v_or_b32_e32 v3, s31, v74
	s_mul_i32 s2, s4, s30
	v_lshlrev_b32_e32 v1, 4, v75
	s_mul_i32 s2, s2, s8
	v_lshlrev_b32_e32 v2, 6, v74
	v_and_b32_e32 v0, 0x3800, v0
	s_ashr_i32 s3, s2, 31
	v_mul_lo_u32 v4, v3, s4
	s_lshl_b64 s[2:3], s[2:3], 1
	s_delay_alu instid0(VALU_DEP_2) | instskip(NEXT) | instid1(VALU_DEP_2)
	v_or3_b32 v16, v0, v1, v2
	v_ashrrev_i32_e32 v5, 31, v4
	ds_load_b128 v[0:3], v16
	s_waitcnt lgkmcnt(0)
	s_add_u32 s2, s0, s2
	s_addc_u32 s3, s1, s3
	s_lshl_b32 s0, s14, 6
	v_lshlrev_b64 v[5:6], 1, v[4:5]
	s_ashr_i32 s1, s0, 31
	s_delay_alu instid0(SALU_CYCLE_1) | instskip(NEXT) | instid1(SALU_CYCLE_1)
	s_lshl_b64 s[0:1], s[0:1], 1
	s_add_u32 s0, s2, s0
	s_addc_u32 s1, s3, s1
	s_lshl_b32 s2, s34, 7
	v_add_co_u32 v30, s0, s0, v73
	v_add_nc_u32_e32 v8, s2, v4
	v_add_co_ci_u32_e64 v31, null, s1, 0, s0
	s_delay_alu instid0(VALU_DEP_3) | instskip(NEXT) | instid1(VALU_DEP_3)
	v_add_co_u32 v12, vcc_lo, v30, v5
	v_add_nc_u32_e32 v10, s2, v8
	v_ashrrev_i32_e32 v9, 31, v8
	s_delay_alu instid0(VALU_DEP_4)
	v_add_co_ci_u32_e32 v13, vcc_lo, v31, v6, vcc_lo
	ds_load_b128 v[4:7], v16 offset:128
	v_ashrrev_i32_e32 v11, 31, v10
	v_lshlrev_b64 v[8:9], 1, v[8:9]
	v_add_nc_u32_e32 v14, s2, v10
	global_store_b128 v[12:13], v[0:3], off
	v_lshlrev_b64 v[0:1], 1, v[10:11]
	v_ashrrev_i32_e32 v15, 31, v14
	v_add_co_u32 v22, vcc_lo, v30, v8
	v_add_nc_u32_e32 v20, s2, v14
	v_add_co_ci_u32_e32 v23, vcc_lo, v31, v9, vcc_lo
	v_add_co_u32 v26, vcc_lo, v30, v0
	v_lshlrev_b64 v[24:25], 1, v[14:15]
	v_add_co_ci_u32_e32 v27, vcc_lo, v31, v1, vcc_lo
	ds_load_b128 v[0:3], v16 offset:256
	ds_load_b128 v[8:11], v16 offset:384
	;; [unrolled: 1-line block ×4, first 2 shown]
	v_add_nc_u32_e32 v28, s2, v20
	v_ashrrev_i32_e32 v21, 31, v20
	v_add_co_u32 v24, vcc_lo, v30, v24
	v_add_co_ci_u32_e32 v25, vcc_lo, v31, v25, vcc_lo
	s_delay_alu instid0(VALU_DEP_4) | instskip(NEXT) | instid1(VALU_DEP_4)
	v_ashrrev_i32_e32 v29, 31, v28
	v_lshlrev_b64 v[20:21], 1, v[20:21]
	s_delay_alu instid0(VALU_DEP_2) | instskip(NEXT) | instid1(VALU_DEP_2)
	v_lshlrev_b64 v[28:29], 1, v[28:29]
	v_add_co_u32 v20, vcc_lo, v30, v20
	s_delay_alu instid0(VALU_DEP_3) | instskip(NEXT) | instid1(VALU_DEP_3)
	v_add_co_ci_u32_e32 v21, vcc_lo, v31, v21, vcc_lo
	v_add_co_u32 v28, vcc_lo, v30, v28
	s_delay_alu instid0(VALU_DEP_4)
	v_add_co_ci_u32_e32 v29, vcc_lo, v31, v29, vcc_lo
	s_waitcnt lgkmcnt(4)
	global_store_b128 v[22:23], v[4:7], off
	s_waitcnt lgkmcnt(3)
	global_store_b128 v[26:27], v[0:3], off
	;; [unrolled: 2-line block ×5, first 2 shown]
	s_nop 0
	s_sendmsg sendmsg(MSG_DEALLOC_VGPRS)
	s_endpgm
	.section	.rodata,"a",@progbits
	.p2align	6, 0x0
	.amdhsa_kernel _Z39paged_attention_ll4mi_QKV_mfma16_kernelI14__hip_bfloat16hLN4vllm18Fp8KVCacheDataTypeE1EhLi32ELi64ELi256ELb0ELi12EL8MFMAType0EEvPKT_PKT0_S9_ifPKiSB_SB_iPKfiiiPfSE_PS4_PT2_iSD_SD_
		.amdhsa_group_segment_fixed_size 17472
		.amdhsa_private_segment_fixed_size 0
		.amdhsa_kernarg_size 400
		.amdhsa_user_sgpr_count 13
		.amdhsa_user_sgpr_dispatch_ptr 0
		.amdhsa_user_sgpr_queue_ptr 0
		.amdhsa_user_sgpr_kernarg_segment_ptr 1
		.amdhsa_user_sgpr_dispatch_id 0
		.amdhsa_user_sgpr_private_segment_size 0
		.amdhsa_wavefront_size32 1
		.amdhsa_uses_dynamic_stack 0
		.amdhsa_enable_private_segment 0
		.amdhsa_system_sgpr_workgroup_id_x 1
		.amdhsa_system_sgpr_workgroup_id_y 1
		.amdhsa_system_sgpr_workgroup_id_z 1
		.amdhsa_system_sgpr_workgroup_info 0
		.amdhsa_system_vgpr_workitem_id 0
		.amdhsa_next_free_vgpr 124
		.amdhsa_next_free_sgpr 40
		.amdhsa_reserve_vcc 1
		.amdhsa_float_round_mode_32 0
		.amdhsa_float_round_mode_16_64 0
		.amdhsa_float_denorm_mode_32 3
		.amdhsa_float_denorm_mode_16_64 3
		.amdhsa_dx10_clamp 1
		.amdhsa_ieee_mode 1
		.amdhsa_fp16_overflow 0
		.amdhsa_workgroup_processor_mode 1
		.amdhsa_memory_ordered 1
		.amdhsa_forward_progress 0
		.amdhsa_shared_vgpr_count 0
		.amdhsa_exception_fp_ieee_invalid_op 0
		.amdhsa_exception_fp_denorm_src 0
		.amdhsa_exception_fp_ieee_div_zero 0
		.amdhsa_exception_fp_ieee_overflow 0
		.amdhsa_exception_fp_ieee_underflow 0
		.amdhsa_exception_fp_ieee_inexact 0
		.amdhsa_exception_int_div_zero 0
	.end_amdhsa_kernel
	.section	.text._Z39paged_attention_ll4mi_QKV_mfma16_kernelI14__hip_bfloat16hLN4vllm18Fp8KVCacheDataTypeE1EhLi32ELi64ELi256ELb0ELi12EL8MFMAType0EEvPKT_PKT0_S9_ifPKiSB_SB_iPKfiiiPfSE_PS4_PT2_iSD_SD_,"axG",@progbits,_Z39paged_attention_ll4mi_QKV_mfma16_kernelI14__hip_bfloat16hLN4vllm18Fp8KVCacheDataTypeE1EhLi32ELi64ELi256ELb0ELi12EL8MFMAType0EEvPKT_PKT0_S9_ifPKiSB_SB_iPKfiiiPfSE_PS4_PT2_iSD_SD_,comdat
.Lfunc_end1753:
	.size	_Z39paged_attention_ll4mi_QKV_mfma16_kernelI14__hip_bfloat16hLN4vllm18Fp8KVCacheDataTypeE1EhLi32ELi64ELi256ELb0ELi12EL8MFMAType0EEvPKT_PKT0_S9_ifPKiSB_SB_iPKfiiiPfSE_PS4_PT2_iSD_SD_, .Lfunc_end1753-_Z39paged_attention_ll4mi_QKV_mfma16_kernelI14__hip_bfloat16hLN4vllm18Fp8KVCacheDataTypeE1EhLi32ELi64ELi256ELb0ELi12EL8MFMAType0EEvPKT_PKT0_S9_ifPKiSB_SB_iPKfiiiPfSE_PS4_PT2_iSD_SD_
                                        ; -- End function
	.section	.AMDGPU.csdata,"",@progbits
; Kernel info:
; codeLenInByte = 8872
; NumSgprs: 42
; NumVgprs: 124
; ScratchSize: 0
; MemoryBound: 0
; FloatMode: 240
; IeeeMode: 1
; LDSByteSize: 17472 bytes/workgroup (compile time only)
; SGPRBlocks: 5
; VGPRBlocks: 15
; NumSGPRsForWavesPerEU: 42
; NumVGPRsForWavesPerEU: 124
; Occupancy: 10
; WaveLimiterHint : 1
; COMPUTE_PGM_RSRC2:SCRATCH_EN: 0
; COMPUTE_PGM_RSRC2:USER_SGPR: 13
; COMPUTE_PGM_RSRC2:TRAP_HANDLER: 0
; COMPUTE_PGM_RSRC2:TGID_X_EN: 1
; COMPUTE_PGM_RSRC2:TGID_Y_EN: 1
; COMPUTE_PGM_RSRC2:TGID_Z_EN: 1
; COMPUTE_PGM_RSRC2:TIDIG_COMP_CNT: 0
	.section	.text._Z39paged_attention_ll4mi_QKV_mfma16_kernelI14__hip_bfloat16hLN4vllm18Fp8KVCacheDataTypeE1EhLi32ELi64ELi256ELb0ELi13EL8MFMAType0EEvPKT_PKT0_S9_ifPKiSB_SB_iPKfiiiPfSE_PS4_PT2_iSD_SD_,"axG",@progbits,_Z39paged_attention_ll4mi_QKV_mfma16_kernelI14__hip_bfloat16hLN4vllm18Fp8KVCacheDataTypeE1EhLi32ELi64ELi256ELb0ELi13EL8MFMAType0EEvPKT_PKT0_S9_ifPKiSB_SB_iPKfiiiPfSE_PS4_PT2_iSD_SD_,comdat
	.protected	_Z39paged_attention_ll4mi_QKV_mfma16_kernelI14__hip_bfloat16hLN4vllm18Fp8KVCacheDataTypeE1EhLi32ELi64ELi256ELb0ELi13EL8MFMAType0EEvPKT_PKT0_S9_ifPKiSB_SB_iPKfiiiPfSE_PS4_PT2_iSD_SD_ ; -- Begin function _Z39paged_attention_ll4mi_QKV_mfma16_kernelI14__hip_bfloat16hLN4vllm18Fp8KVCacheDataTypeE1EhLi32ELi64ELi256ELb0ELi13EL8MFMAType0EEvPKT_PKT0_S9_ifPKiSB_SB_iPKfiiiPfSE_PS4_PT2_iSD_SD_
	.globl	_Z39paged_attention_ll4mi_QKV_mfma16_kernelI14__hip_bfloat16hLN4vllm18Fp8KVCacheDataTypeE1EhLi32ELi64ELi256ELb0ELi13EL8MFMAType0EEvPKT_PKT0_S9_ifPKiSB_SB_iPKfiiiPfSE_PS4_PT2_iSD_SD_
	.p2align	8
	.type	_Z39paged_attention_ll4mi_QKV_mfma16_kernelI14__hip_bfloat16hLN4vllm18Fp8KVCacheDataTypeE1EhLi32ELi64ELi256ELb0ELi13EL8MFMAType0EEvPKT_PKT0_S9_ifPKiSB_SB_iPKfiiiPfSE_PS4_PT2_iSD_SD_,@function
_Z39paged_attention_ll4mi_QKV_mfma16_kernelI14__hip_bfloat16hLN4vllm18Fp8KVCacheDataTypeE1EhLi32ELi64ELi256ELb0ELi13EL8MFMAType0EEvPKT_PKT0_S9_ifPKiSB_SB_iPKfiiiPfSE_PS4_PT2_iSD_SD_: ; @_Z39paged_attention_ll4mi_QKV_mfma16_kernelI14__hip_bfloat16hLN4vllm18Fp8KVCacheDataTypeE1EhLi32ELi64ELi256ELb0ELi13EL8MFMAType0EEvPKT_PKT0_S9_ifPKiSB_SB_iPKfiiiPfSE_PS4_PT2_iSD_SD_
; %bb.0:
	s_load_b64 s[2:3], s[0:1], 0x30
	s_mov_b32 s34, s13
	s_waitcnt lgkmcnt(0)
	s_cmp_lg_u64 s[2:3], 0
	s_cselect_b32 s8, -1, 0
	s_ashr_i32 s35, s13, 31
	s_cmp_eq_u64 s[2:3], 0
	s_cbranch_scc1 .LBB1754_3
; %bb.1:
	s_lshl_b64 s[4:5], s[34:35], 2
	s_delay_alu instid0(SALU_CYCLE_1) | instskip(SKIP_4) | instid1(SALU_CYCLE_1)
	s_add_u32 s4, s2, s4
	s_addc_u32 s5, s3, s5
	s_load_b64 s[4:5], s[4:5], 0x0
	s_waitcnt lgkmcnt(0)
	s_sub_i32 s4, s5, s4
	s_cmp_eq_u32 s4, 1
	s_cselect_b32 s4, -1, 0
	s_delay_alu instid0(SALU_CYCLE_1)
	s_and_not1_b32 vcc_lo, exec_lo, s4
	s_cbranch_vccz .LBB1754_4
.LBB1754_2:
	s_nop 0
	s_sendmsg sendmsg(MSG_DEALLOC_VGPRS)
	s_endpgm
.LBB1754_3:
.LBB1754_4:
	s_load_b64 s[4:5], s[0:1], 0x28
	s_lshl_b64 s[6:7], s[34:35], 2
	s_waitcnt lgkmcnt(0)
	s_add_u32 s4, s4, s6
	s_addc_u32 s5, s5, s7
	s_lshl_b32 s12, s14, 8
	s_load_b32 s24, s[4:5], 0x0
	s_waitcnt lgkmcnt(0)
	s_cmp_ge_i32 s12, s24
	s_cbranch_scc1 .LBB1754_2
; %bb.5:
	s_clause 0x1
	s_load_b128 s[20:23], s[0:1], 0x8
	s_load_b64 s[4:5], s[0:1], 0x20
	s_and_not1_b32 vcc_lo, exec_lo, s8
	s_cbranch_vccnz .LBB1754_7
; %bb.6:
	s_add_u32 s2, s2, s6
	s_addc_u32 s3, s3, s7
	s_load_b32 s3, s[2:3], 0x0
	s_branch .LBB1754_8
.LBB1754_7:
	s_mov_b32 s3, s34
.LBB1754_8:
	s_load_b128 s[16:19], s[0:1], 0x48
	v_lshrrev_b32_e32 v66, 5, v0
	v_bfe_u32 v74, v0, 4, 1
	v_and_b32_e32 v65, 15, v0
	v_and_b32_e32 v67, 31, v0
	;; [unrolled: 1-line block ×3, first 2 shown]
	s_mul_i32 s31, s15, 13
	v_lshl_or_b32 v1, v66, 1, v74
	v_lshlrev_b32_e32 v2, 3, v65
	v_cmp_gt_u32_e64 s2, 8, v65
	s_delay_alu instid0(VALU_DEP_3) | instskip(NEXT) | instid1(VALU_DEP_3)
	v_cmp_gt_u32_e32 vcc_lo, 13, v1
	v_lshlrev_b32_e32 v73, 1, v2
	s_delay_alu instid0(VALU_DEP_3) | instskip(NEXT) | instid1(SALU_CYCLE_1)
	s_and_b32 s7, s2, vcc_lo
	s_and_saveexec_b32 s6, s7
	s_cbranch_execz .LBB1754_10
; %bb.9:
	s_load_b64 s[8:9], s[0:1], 0x0
	v_add_lshl_u32 v2, v1, s31, 6
	s_waitcnt lgkmcnt(0)
	s_mul_hi_i32 s11, s3, s16
	s_mul_i32 s10, s3, s16
	v_lshlrev_b32_e32 v6, 10, v65
	s_lshl_b64 s[10:11], s[10:11], 1
	v_ashrrev_i32_e32 v3, 31, v2
	v_lshlrev_b32_e32 v1, 6, v1
	v_lshlrev_b32_e32 v7, 10, v75
	v_and_b32_e32 v6, 0x3800, v6
	s_delay_alu instid0(VALU_DEP_4) | instskip(NEXT) | instid1(VALU_DEP_2)
	v_lshlrev_b64 v[2:3], 1, v[2:3]
	v_or3_b32 v1, v6, v7, v1
	s_add_u32 s3, s8, s10
	s_addc_u32 s7, s9, s11
	s_delay_alu instid0(VALU_DEP_2) | instskip(NEXT) | instid1(VALU_DEP_3)
	v_add_co_u32 v2, vcc_lo, s3, v2
	v_add_co_ci_u32_e32 v3, vcc_lo, s7, v3, vcc_lo
	s_delay_alu instid0(VALU_DEP_2) | instskip(NEXT) | instid1(VALU_DEP_2)
	v_add_co_u32 v2, vcc_lo, v2, v73
	v_add_co_ci_u32_e32 v3, vcc_lo, 0, v3, vcc_lo
	global_load_b128 v[2:5], v[2:3], off
	s_waitcnt vmcnt(0)
	ds_store_b128 v1, v[2:5]
.LBB1754_10:
	s_or_b32 exec_lo, exec_lo, s6
	v_and_b32_e32 v1, 0xef, v0
	s_waitcnt lgkmcnt(0)
	s_add_i32 s3, s24, 31
	s_clause 0x1
	s_load_b32 s6, s[0:1], 0x38
	s_load_b32 s19, s[0:1], 0x1c
	s_ashr_i32 s7, s3, 31
	v_add_nc_u32_e32 v1, s12, v1
	s_lshr_b32 s7, s7, 27
	s_waitcnt lgkmcnt(0)
	s_add_i32 s3, s3, s7
	s_barrier
	v_ashrrev_i32_e32 v2, 31, v1
	v_or_b32_e32 v3, 16, v1
	s_ashr_i32 s3, s3, 5
	v_cmp_gt_i32_e32 vcc_lo, s24, v1
	s_add_i32 s3, s3, -1
	v_lshrrev_b32_e32 v2, 27, v2
	buffer_gl0_inv
	s_mul_i32 s27, s15, s18
	v_add_nc_u32_e32 v4, v1, v2
	s_mul_i32 s6, s34, s6
	s_delay_alu instid0(SALU_CYCLE_1) | instskip(NEXT) | instid1(VALU_DEP_1)
	s_ashr_i32 s7, s6, 31
	v_ashrrev_i32_e32 v4, 5, v4
	v_add_nc_u32_e32 v2, v3, v2
	s_lshl_b64 s[6:7], s[6:7], 2
	s_delay_alu instid0(SALU_CYCLE_1) | instskip(NEXT) | instid1(VALU_DEP_2)
	s_add_u32 s26, s4, s6
	v_cndmask_b32_e32 v1, s3, v4, vcc_lo
	s_delay_alu instid0(VALU_DEP_2)
	v_ashrrev_i32_e32 v2, 5, v2
	v_cmp_gt_i32_e32 vcc_lo, s24, v3
	s_addc_u32 s25, s5, s7
	s_ashr_i32 s28, s27, 31
	s_add_u32 s4, s20, s27
	s_addc_u32 s5, s21, s28
	v_cndmask_b32_e32 v3, s3, v2, vcc_lo
	v_ashrrev_i32_e32 v2, 31, v1
	s_lshl_b32 s6, s14, 3
	s_delay_alu instid0(SALU_CYCLE_1) | instskip(NEXT) | instid1(VALU_DEP_2)
	s_ashr_i32 s7, s6, 31
	v_ashrrev_i32_e32 v4, 31, v3
	s_delay_alu instid0(VALU_DEP_2) | instskip(SKIP_1) | instid1(SALU_CYCLE_1)
	v_lshlrev_b64 v[1:2], 2, v[1:2]
	s_lshl_b64 s[6:7], s[6:7], 2
	s_add_u32 s6, s26, s6
	s_delay_alu instid0(VALU_DEP_2) | instskip(SKIP_1) | instid1(VALU_DEP_2)
	v_lshlrev_b64 v[3:4], 2, v[3:4]
	s_addc_u32 s7, s25, s7
	v_add_co_u32 v1, vcc_lo, s26, v1
	v_add_co_ci_u32_e32 v2, vcc_lo, s25, v2, vcc_lo
	s_delay_alu instid0(VALU_DEP_3) | instskip(NEXT) | instid1(VALU_DEP_4)
	v_add_co_u32 v3, vcc_lo, s26, v3
	v_add_co_ci_u32_e32 v4, vcc_lo, s25, v4, vcc_lo
	s_clause 0x1
	global_load_b32 v5, v[1:2], off
	global_load_b32 v6, v[3:4], off
	s_or_b32 s8, s12, 32
	s_delay_alu instid0(SALU_CYCLE_1) | instskip(SKIP_2) | instid1(SALU_CYCLE_1)
	s_ashr_i32 s9, s8, 5
	s_cmp_lt_i32 s8, s24
	s_cselect_b32 s8, s9, s3
	s_ashr_i32 s9, s8, 31
	s_delay_alu instid0(SALU_CYCLE_1) | instskip(NEXT) | instid1(SALU_CYCLE_1)
	s_lshl_b64 s[8:9], s[8:9], 2
	s_add_u32 s8, s26, s8
	s_addc_u32 s9, s25, s9
	s_or_b32 s10, s12, 64
	s_delay_alu instid0(SALU_CYCLE_1) | instskip(SKIP_2) | instid1(SALU_CYCLE_1)
	s_ashr_i32 s11, s10, 5
	s_cmp_lt_i32 s10, s24
	s_cselect_b32 s10, s11, s3
	s_ashr_i32 s11, s10, 31
	s_delay_alu instid0(SALU_CYCLE_1) | instskip(NEXT) | instid1(SALU_CYCLE_1)
	s_lshl_b64 s[10:11], s[10:11], 2
	s_add_u32 s10, s26, s10
	s_addc_u32 s11, s25, s11
	;; [unrolled: 10-line block ×5, first 2 shown]
	s_clause 0x5
	s_load_b32 s21, s[6:7], 0x0
	s_load_b32 s13, s[8:9], 0x0
	;; [unrolled: 1-line block ×6, first 2 shown]
	s_or_b32 s8, s12, 0xc0
	s_delay_alu instid0(SALU_CYCLE_1) | instskip(SKIP_2) | instid1(SALU_CYCLE_1)
	s_ashr_i32 s9, s8, 5
	s_cmp_lt_i32 s8, s24
	s_cselect_b32 s36, s9, s3
	s_ashr_i32 s37, s36, 31
	s_delay_alu instid0(SALU_CYCLE_1) | instskip(NEXT) | instid1(SALU_CYCLE_1)
	s_lshl_b64 s[36:37], s[36:37], 2
	s_add_u32 s36, s26, s36
	s_addc_u32 s37, s25, s37
	s_or_b32 s29, s12, 0xe0
	s_delay_alu instid0(SALU_CYCLE_1)
	s_ashr_i32 s30, s29, 5
	s_cmp_lt_i32 s29, s24
	s_waitcnt vmcnt(1)
	v_mad_i64_i32 v[1:2], null, v5, s17, s[4:5]
	s_waitcnt vmcnt(0)
	v_mad_i64_i32 v[3:4], null, v6, s17, s[4:5]
	s_mov_b32 s4, 0
	s_delay_alu instid0(SALU_CYCLE_1)
	s_mov_b32 s5, s4
	s_mov_b32 s6, s4
	;; [unrolled: 1-line block ×7, first 2 shown]
	v_lshlrev_b32_e32 v5, 4, v65
	v_dual_mov_b32 v107, s11 :: v_dual_mov_b32 v102, s6
	v_mov_b32_e32 v100, s4
	v_mov_b32_e32 v106, s10
	s_delay_alu instid0(VALU_DEP_4)
	v_add_co_u32 v1, vcc_lo, v1, v5
	v_add_co_ci_u32_e32 v2, vcc_lo, 0, v2, vcc_lo
	v_add_co_u32 v3, vcc_lo, v3, v5
	v_add_co_ci_u32_e32 v4, vcc_lo, 0, v4, vcc_lo
	s_clause 0x7
	global_load_b128 v[49:52], v[1:2], off
	global_load_b128 v[53:56], v[1:2], off offset:512
	global_load_b128 v[76:79], v[3:4], off offset:256
	;; [unrolled: 1-line block ×7, first 2 shown]
	v_add_nc_u32_e32 v1, -13, v65
	v_cmp_gt_u32_e32 vcc_lo, 13, v65
	v_dual_mov_b32 v104, s8 :: v_dual_mov_b32 v103, s7
	v_dual_mov_b32 v101, s5 :: v_dual_lshlrev_b32 v2, 5, v65
	s_delay_alu instid0(VALU_DEP_4)
	v_cndmask_b32_e32 v1, v1, v65, vcc_lo
	v_mov_b32_e32 v105, s9
	s_cselect_b32 s4, s30, s3
	s_load_b32 s3, s[36:37], 0x0
	s_ashr_i32 s5, s4, 31
	v_lshlrev_b32_e32 v70, 6, v1
	s_lshl_b64 s[4:5], s[4:5], 2
	v_lshl_or_b32 v2, v66, 9, v2
	s_add_u32 s4, s26, s4
	s_addc_u32 s5, s25, s5
	ds_load_b128 v[108:111], v70
	ds_load_b128 v[112:115], v70 offset:1024
	s_load_b32 s4, s[4:5], 0x0
	s_add_u32 s6, s22, s27
	s_addc_u32 s7, s23, s28
	v_add_co_u32 v9, s6, s6, v2
	s_delay_alu instid0(VALU_DEP_1) | instskip(SKIP_1) | instid1(VALU_DEP_1)
	v_add_co_ci_u32_e64 v10, null, s7, 0, s6
	s_waitcnt lgkmcnt(0)
	v_mad_i64_i32 v[1:2], null, s21, s17, v[9:10]
	v_mad_i64_i32 v[3:4], null, s13, s17, v[9:10]
	;; [unrolled: 1-line block ×7, first 2 shown]
	s_clause 0x9
	global_load_b128 v[57:60], v[1:2], off
	global_load_b128 v[61:64], v[1:2], off offset:16
	global_load_b128 v[41:44], v[3:4], off
	global_load_b128 v[45:48], v[3:4], off offset:16
	;; [unrolled: 2-line block ×5, first 2 shown]
	v_mad_i64_i32 v[68:69], null, s4, s17, v[9:10]
	s_clause 0x3
	global_load_b128 v[9:12], v[13:14], off
	global_load_b128 v[13:16], v[13:14], off offset:16
	global_load_b128 v[17:20], v[21:22], off
	global_load_b128 v[21:24], v[21:22], off offset:16
	s_waitcnt vmcnt(20)
	v_wmma_f32_16x16x16_bf16 v[116:123], v[49:56], v[108:115], v[100:107]
	s_clause 0x1
	global_load_b128 v[49:52], v[68:69], off
	global_load_b128 v[53:56], v[68:69], off offset:16
	v_and_b32_e32 v68, 0xe0, v0
	v_mbcnt_lo_u32_b32 v69, -1, 0
	s_delay_alu instid0(VALU_DEP_2)
	v_add_nc_u32_e32 v68, s12, v68
	s_waitcnt vmcnt(20)
	v_wmma_f32_16x16x16_bf16 v[100:107], v[76:83], v[108:115], v[100:107]
	ds_load_b128 v[76:79], v70 offset:2048
	ds_load_b128 v[80:83], v70 offset:3072
	v_xor_b32_e32 v70, 16, v69
	s_waitcnt vmcnt(0) lgkmcnt(0)
	v_or_b32_e32 v68, v68, v74
	s_barrier
	buffer_gl0_inv
	v_cmp_gt_i32_e32 vcc_lo, 32, v70
	v_or_b32_e32 v71, 4, v68
	v_or_b32_e32 v72, 6, v68
	v_cmp_gt_i32_e64 s3, s24, v68
	v_or_b32_e32 v108, 8, v68
	v_or_b32_e32 v109, 10, v68
	v_cmp_gt_i32_e64 s4, s24, v71
	v_cmp_gt_i32_e64 s5, s24, v72
	s_delay_alu instid0(VALU_DEP_4) | instskip(NEXT) | instid1(VALU_DEP_4)
	v_cmp_gt_i32_e64 s6, s24, v108
	v_cmp_gt_i32_e64 s7, s24, v109
	v_wmma_f32_16x16x16_bf16 v[116:123], v[84:91], v[76:83], v[116:123]
	v_cndmask_b32_e32 v69, v69, v70, vcc_lo
	v_or_b32_e32 v70, 2, v68
	v_wmma_f32_16x16x16_bf16 v[100:107], v[92:99], v[76:83], v[100:107]
	v_or_b32_e32 v89, 22, v68
	v_dual_mul_f32 v80, s19, v121 :: v_dual_mul_f32 v81, s19, v120
	v_dual_mul_f32 v92, s19, v117 :: v_dual_mul_f32 v93, s19, v116
	s_delay_alu instid0(VALU_DEP_4)
	v_mul_f32_e32 v96, s19, v105
	v_cmp_gt_i32_e32 vcc_lo, s24, v70
	v_dual_mul_f32 v79, s19, v122 :: v_dual_mul_f32 v82, s19, v119
	v_dual_mul_f32 v83, s19, v118 :: v_dual_mul_f32 v94, s19, v107
	v_cndmask_b32_e64 v93, 0xff7fffff, v93, s3
	v_cndmask_b32_e32 v92, 0xff7fffff, v92, vcc_lo
	v_or_b32_e32 v84, 12, v68
	v_or_b32_e32 v85, 14, v68
	v_cndmask_b32_e64 v71, 0xff7fffff, v83, s4
	v_cndmask_b32_e64 v72, 0xff7fffff, v82, s5
	v_cmp_gt_i32_e64 s13, s24, v89
	v_lshlrev_b32_e32 v89, 2, v69
	v_max3_f32 v82, v93, 0xff7fffff, v92
	v_or_b32_e32 v86, 16, v68
	v_or_b32_e32 v87, 18, v68
	v_mul_f32_e32 v78, s19, v123
	v_cndmask_b32_e64 v81, 0xff7fffff, v81, s6
	v_cndmask_b32_e64 v80, 0xff7fffff, v80, s7
	v_max3_f32 v71, v82, v71, v72
	v_cmp_gt_i32_e64 s8, s24, v84
	v_cmp_gt_i32_e64 s9, s24, v85
	v_or_b32_e32 v88, 20, v68
	v_or_b32_e32 v90, 24, v68
	;; [unrolled: 1-line block ×5, first 2 shown]
	v_dual_mul_f32 v97, s19, v104 :: v_dual_mul_f32 v70, s19, v101
	v_dual_mul_f32 v99, s19, v102 :: v_dual_mul_f32 v68, s19, v100
	v_cndmask_b32_e64 v72, 0xff7fffff, v79, s8
	v_cndmask_b32_e64 v78, 0xff7fffff, v78, s9
	v_max3_f32 v71, v71, v81, v80
	v_cmp_gt_i32_e64 s10, s24, v86
	v_cmp_gt_i32_e64 s11, s24, v87
	v_dual_mul_f32 v95, s19, v106 :: v_dual_mul_f32 v98, s19, v103
	s_delay_alu instid0(VALU_DEP_4) | instskip(NEXT) | instid1(VALU_DEP_4)
	v_max3_f32 v71, v71, v72, v78
	v_cndmask_b32_e64 v68, 0xff7fffff, v68, s10
	s_delay_alu instid0(VALU_DEP_4)
	v_cndmask_b32_e64 v70, 0xff7fffff, v70, s11
	v_cmp_gt_i32_e64 s12, s24, v88
	v_cndmask_b32_e64 v78, 0xff7fffff, v98, s13
	v_cmp_gt_i32_e64 s15, s24, v90
	v_cmp_gt_i32_e64 s16, s24, v91
	v_max3_f32 v68, v71, v68, v70
	v_cndmask_b32_e64 v72, 0xff7fffff, v99, s12
	v_cmp_gt_i32_e64 s17, s24, v76
	v_cndmask_b32_e64 v70, 0xff7fffff, v97, s15
	v_cndmask_b32_e64 v71, 0xff7fffff, v96, s16
	v_cmp_gt_i32_e64 s18, s24, v77
	v_max3_f32 v68, v68, v72, v78
	v_cndmask_b32_e64 v72, 0xff7fffff, v95, s17
	s_delay_alu instid0(VALU_DEP_3) | instskip(NEXT) | instid1(VALU_DEP_3)
	v_cndmask_b32_e64 v76, 0xff7fffff, v94, s18
	v_max3_f32 v68, v68, v70, v71
	s_delay_alu instid0(VALU_DEP_1) | instskip(SKIP_3) | instid1(VALU_DEP_1)
	v_max3_f32 v68, v68, v72, v76
	ds_bpermute_b32 v69, v89, v68
	s_waitcnt lgkmcnt(0)
	v_max_f32_e32 v69, v69, v69
	v_max_f32_e32 v68, v68, v69
	s_delay_alu instid0(VALU_DEP_1) | instskip(NEXT) | instid1(VALU_DEP_1)
	v_fma_f32 v71, s19, v118, -v68
	v_mul_f32_e32 v71, 0x3fb8aa3b, v71
	v_fma_f32 v70, s19, v117, -v68
	v_fma_f32 v69, s19, v116, -v68
	;; [unrolled: 1-line block ×5, first 2 shown]
	s_delay_alu instid0(VALU_DEP_4) | instskip(SKIP_1) | instid1(VALU_DEP_3)
	v_dual_mul_f32 v70, 0x3fb8aa3b, v70 :: v_dual_mul_f32 v69, 0x3fb8aa3b, v69
	v_exp_f32_e32 v71, v71
	v_mul_f32_e32 v72, 0x3fb8aa3b, v72
	v_fma_f32 v81, s19, v105, -v68
	s_delay_alu instid0(VALU_DEP_3)
	v_exp_f32_e32 v70, v70
	v_mul_f32_e32 v77, 0x3fb8aa3b, v76
	v_exp_f32_e32 v69, v69
	v_exp_f32_e32 v72, v72
	v_mul_f32_e32 v81, 0x3fb8aa3b, v81
	v_cndmask_b32_e64 v83, 0, v71, s4
	v_fma_f32 v71, s19, v123, -v68
	s_delay_alu instid0(VALU_DEP_3) | instskip(SKIP_4) | instid1(TRANS32_DEP_3)
	v_exp_f32_e32 v81, v81
	v_cndmask_b32_e32 v76, 0, v70, vcc_lo
	v_exp_f32_e32 v77, v77
	v_cndmask_b32_e64 v80, 0, v69, s3
	v_fma_f32 v69, s19, v121, -v68
	v_cndmask_b32_e64 v85, 0, v72, s5
	v_mul_f32_e32 v71, 0x3fb8aa3b, v71
	v_fma_f32 v72, s19, v100, -v68
	s_delay_alu instid0(VALU_DEP_4) | instskip(SKIP_1) | instid1(VALU_DEP_4)
	v_dual_add_f32 v70, 0, v80 :: v_dual_mul_f32 v69, 0x3fb8aa3b, v69
	v_cmp_gt_u32_e64 s3, 16, v67
	v_exp_f32_e32 v71, v71
	s_delay_alu instid0(TRANS32_DEP_2) | instskip(SKIP_4) | instid1(VALU_DEP_3)
	v_cndmask_b32_e64 v86, 0, v77, s6
	v_fma_f32 v77, s19, v101, -v68
	v_mul_f32_e32 v78, 0x3fb8aa3b, v78
	v_add_f32_e32 v70, v70, v76
	v_exp_f32_e32 v69, v69
	v_mul_f32_e32 v77, 0x3fb8aa3b, v77
	s_delay_alu instid0(VALU_DEP_3) | instskip(NEXT) | instid1(TRANS32_DEP_3)
	v_exp_f32_e32 v78, v78
	v_cndmask_b32_e64 v88, 0, v71, s9
	v_fma_f32 v71, s19, v104, -v68
	s_delay_alu instid0(VALU_DEP_3) | instskip(NEXT) | instid1(TRANS32_DEP_3)
	v_exp_f32_e32 v77, v77
	v_cndmask_b32_e64 v87, 0, v69, s7
	s_delay_alu instid0(VALU_DEP_2)
	v_mul_f32_e32 v71, 0x3fb8aa3b, v71
	s_waitcnt_depctr 0xfff
	v_cndmask_b32_e64 v84, 0, v78, s8
	v_add_f32_e32 v70, v70, v83
	v_fma_f32 v78, s19, v103, -v68
	v_exp_f32_e32 v82, v71
	s_delay_alu instid0(VALU_DEP_2) | instskip(SKIP_1) | instid1(VALU_DEP_3)
	v_add_f32_e32 v70, v70, v85
	v_mul_f32_e32 v72, 0x3fb8aa3b, v72
	v_mul_f32_e32 v78, 0x3fb8aa3b, v78
	s_delay_alu instid0(VALU_DEP_3) | instskip(SKIP_1) | instid1(VALU_DEP_4)
	v_add_f32_e32 v69, v70, v86
	v_fma_f32 v70, s19, v102, -v68
	v_exp_f32_e32 v72, v72
	s_delay_alu instid0(VALU_DEP_3) | instskip(NEXT) | instid1(VALU_DEP_1)
	v_exp_f32_e32 v78, v78
	v_dual_add_f32 v69, v69, v87 :: v_dual_mul_f32 v70, 0x3fb8aa3b, v70
	s_delay_alu instid0(VALU_DEP_1) | instskip(NEXT) | instid1(VALU_DEP_2)
	v_add_f32_e32 v69, v69, v84
	v_exp_f32_e32 v79, v70
	s_delay_alu instid0(TRANS32_DEP_3) | instskip(NEXT) | instid1(VALU_DEP_2)
	v_cndmask_b32_e64 v70, 0, v72, s10
	v_add_f32_e32 v72, v69, v88
	v_cndmask_b32_e64 v69, 0, v77, s11
	v_fma_f32 v77, s19, v106, -v68
	s_waitcnt_depctr 0xfff
	v_cndmask_b32_e64 v71, 0, v79, s12
	v_dual_mul_f32 v77, 0x3fb8aa3b, v77 :: v_dual_add_f32 v72, v72, v70
	s_delay_alu instid0(VALU_DEP_1) | instskip(NEXT) | instid1(VALU_DEP_1)
	v_exp_f32_e32 v90, v77
	v_add_f32_e32 v79, v72, v69
	v_cndmask_b32_e64 v72, 0, v78, s13
	v_cndmask_b32_e64 v77, 0, v82, s15
	s_delay_alu instid0(VALU_DEP_3) | instskip(SKIP_1) | instid1(VALU_DEP_1)
	v_add_f32_e32 v78, v79, v71
	v_fma_f32 v79, s19, v107, -v68
	v_dual_add_f32 v82, v78, v72 :: v_dual_mul_f32 v79, 0x3fb8aa3b, v79
	v_cndmask_b32_e64 v78, 0, v81, s16
	s_delay_alu instid0(VALU_DEP_2) | instskip(NEXT) | instid1(VALU_DEP_3)
	v_add_f32_e32 v81, v82, v77
	v_exp_f32_e32 v82, v79
	v_cndmask_b32_e64 v79, 0, v90, s17
	s_delay_alu instid0(VALU_DEP_2) | instskip(NEXT) | instid1(VALU_DEP_1)
	v_add_f32_e32 v81, v81, v78
	v_add_f32_e32 v90, v81, v79
	s_waitcnt_depctr 0xfff
	v_cndmask_b32_e64 v81, 0, v82, s18
	s_delay_alu instid0(VALU_DEP_1)
	v_add_f32_e32 v82, v90, v81
	ds_bpermute_b32 v89, v89, v82
	s_and_saveexec_b32 s4, s3
	s_cbranch_execz .LBB1754_12
; %bb.11:
	v_mul_u32_u24_e32 v67, 0x44, v66
	s_delay_alu instid0(VALU_DEP_1) | instskip(SKIP_1) | instid1(VALU_DEP_1)
	v_lshl_add_u32 v67, v65, 2, v67
	s_waitcnt lgkmcnt(0)
	v_dual_add_f32 v82, v82, v89 :: v_dual_add_nc_u32 v67, 0x4000, v67
	ds_store_2addr_b32 v67, v68, v82 offset1:136
.LBB1754_12:
	s_or_b32 exec_lo, exec_lo, s4
	v_lshlrev_b32_e32 v67, 2, v65
	s_waitcnt lgkmcnt(0)
	s_barrier
	buffer_gl0_inv
	v_cmp_eq_u32_e32 vcc_lo, 1, v66
	v_add_nc_u32_e32 v82, 0x4000, v67
	v_cmp_eq_u32_e64 s4, 2, v66
	v_cmp_eq_u32_e64 s6, 7, v66
	ds_load_2addr_b32 v[89:90], v82 offset1:17
	ds_load_2addr_b32 v[91:92], v82 offset0:34 offset1:51
	ds_load_2addr_b32 v[93:94], v82 offset0:68 offset1:85
	;; [unrolled: 1-line block ×4, first 2 shown]
	s_waitcnt lgkmcnt(4)
	v_max3_f32 v67, v89, 0xff7fffff, v90
	s_waitcnt lgkmcnt(3)
	s_delay_alu instid0(VALU_DEP_1) | instskip(SKIP_1) | instid1(VALU_DEP_1)
	v_max3_f32 v67, v67, v91, v92
	s_waitcnt lgkmcnt(2)
	v_max3_f32 v67, v67, v93, v94
	s_waitcnt lgkmcnt(1)
	s_delay_alu instid0(VALU_DEP_1) | instskip(NEXT) | instid1(VALU_DEP_1)
	v_max3_f32 v67, v67, v95, v96
	v_sub_f32_e32 v93, v93, v67
	s_delay_alu instid0(VALU_DEP_1) | instskip(NEXT) | instid1(VALU_DEP_1)
	v_dual_sub_f32 v68, v89, v67 :: v_dual_mul_f32 v103, 0x3fb8aa3b, v93
	v_mul_f32_e32 v68, 0x3fb8aa3b, v68
	s_delay_alu instid0(VALU_DEP_1)
	v_exp_f32_e32 v100, v68
	v_sub_f32_e32 v68, v92, v67
	v_sub_f32_e32 v99, v90, v67
	ds_load_2addr_b32 v[89:90], v82 offset0:170 offset1:187
	v_dual_mul_f32 v102, 0x3fb8aa3b, v68 :: v_dual_mul_f32 v99, 0x3fb8aa3b, v99
	s_waitcnt lgkmcnt(1)
	v_fma_f32 v68, v100, v97, 0
	s_delay_alu instid0(VALU_DEP_2) | instskip(NEXT) | instid1(VALU_DEP_2)
	v_exp_f32_e32 v102, v102
	v_exp_f32_e32 v99, v99
	s_waitcnt_depctr 0xfff
	v_fmac_f32_e32 v68, v99, v98
	v_sub_f32_e32 v91, v91, v67
	s_delay_alu instid0(VALU_DEP_1)
	v_mul_f32_e32 v101, 0x3fb8aa3b, v91
	ds_load_2addr_b32 v[91:92], v82 offset0:204 offset1:221
	v_sub_f32_e32 v97, v94, v67
	ds_load_2addr_b32 v[93:94], v82 offset0:238 offset1:255
	s_waitcnt lgkmcnt(0)
	v_exp_f32_e32 v101, v101
	s_barrier
	buffer_gl0_inv
	v_dual_fmac_f32 v68, v101, v89 :: v_dual_sub_f32 v89, v96, v67
	v_dual_sub_f32 v82, v95, v67 :: v_dual_mul_f32 v95, 0x3fb8aa3b, v97
	v_exp_f32_e32 v97, v103
	s_delay_alu instid0(VALU_DEP_2) | instskip(NEXT) | instid1(VALU_DEP_2)
	v_dual_fmac_f32 v68, v102, v90 :: v_dual_mul_f32 v89, 0x3fb8aa3b, v89
	v_mul_f32_e32 v82, 0x3fb8aa3b, v82
	s_delay_alu instid0(VALU_DEP_3) | instskip(NEXT) | instid1(VALU_DEP_2)
	v_exp_f32_e32 v95, v95
	v_exp_f32_e32 v89, v89
	s_delay_alu instid0(VALU_DEP_1)
	v_exp_f32_e32 v82, v82
	v_fmac_f32_e32 v68, v97, v91
	s_delay_alu instid0(TRANS32_DEP_3) | instid1(VALU_DEP_1)
	v_fmac_f32_e32 v68, v95, v92
	s_waitcnt_depctr 0xfff
	v_fmac_f32_e32 v68, v82, v93
	s_delay_alu instid0(VALU_DEP_1) | instskip(NEXT) | instid1(VALU_DEP_1)
	v_fmac_f32_e32 v68, v89, v94
	v_add_f32_e32 v90, 0x358637bd, v68
	s_delay_alu instid0(VALU_DEP_1) | instskip(NEXT) | instid1(VALU_DEP_1)
	v_div_scale_f32 v91, null, v90, v90, 1.0
	v_rcp_f32_e32 v92, v91
	s_waitcnt_depctr 0xfff
	v_fma_f32 v93, -v91, v92, 1.0
	s_delay_alu instid0(VALU_DEP_1) | instskip(SKIP_1) | instid1(VALU_DEP_2)
	v_dual_fmac_f32 v92, v93, v92 :: v_dual_cndmask_b32 v93, v100, v99
	v_cmp_eq_u32_e32 vcc_lo, 3, v66
	v_cndmask_b32_e64 v93, v93, v101, s4
	v_cmp_eq_u32_e64 s4, 4, v66
	s_delay_alu instid0(VALU_DEP_2) | instskip(SKIP_1) | instid1(VALU_DEP_2)
	v_cndmask_b32_e32 v93, v93, v102, vcc_lo
	v_cmp_eq_u32_e32 vcc_lo, 5, v66
	v_cndmask_b32_e64 v93, v93, v97, s4
	v_cmp_eq_u32_e64 s4, 6, v66
	s_delay_alu instid0(VALU_DEP_2) | instskip(SKIP_1) | instid1(VALU_DEP_1)
	v_cndmask_b32_e32 v93, v93, v95, vcc_lo
	v_div_scale_f32 v94, s5, 1.0, v90, 1.0
	s_mov_b32 vcc_lo, s5
	s_delay_alu instid0(VALU_DEP_2) | instskip(NEXT) | instid1(VALU_DEP_2)
	v_cndmask_b32_e64 v82, v93, v82, s4
	v_mul_f32_e32 v96, v94, v92
	s_mov_b32 s4, exec_lo
	s_delay_alu instid0(VALU_DEP_2) | instskip(NEXT) | instid1(VALU_DEP_2)
	v_cndmask_b32_e64 v82, v82, v89, s6
	v_fma_f32 v98, -v91, v96, v94
	s_delay_alu instid0(VALU_DEP_1) | instskip(NEXT) | instid1(VALU_DEP_1)
	v_fmac_f32_e32 v96, v98, v92
	v_fma_f32 v91, -v91, v96, v94
	s_delay_alu instid0(VALU_DEP_1) | instskip(NEXT) | instid1(VALU_DEP_1)
	v_div_fmas_f32 v91, v91, v92, v96
	v_div_fixup_f32 v90, v91, v90, 1.0
	s_delay_alu instid0(VALU_DEP_1) | instskip(NEXT) | instid1(VALU_DEP_1)
	v_mul_f32_e32 v82, v82, v90
	v_mul_f32_e32 v87, v82, v87
	;; [unrolled: 1-line block ×7, first 2 shown]
	v_dual_mul_f32 v86, v82, v83 :: v_dual_and_b32 v91, 0x7f800000, v90
	v_mul_f32_e32 v85, v82, v76
                                        ; implicit-def: $vgpr76
	s_delay_alu instid0(VALU_DEP_2)
	v_cmpx_ne_u32_e32 0x7f800000, v91
	s_xor_b32 s4, exec_lo, s4
; %bb.13:
	v_bfe_u32 v76, v90, 16, 1
	s_delay_alu instid0(VALU_DEP_1)
	v_add3_u32 v76, v90, v76, 0x7fff
                                        ; implicit-def: $vgpr90
; %bb.14:
	s_and_not1_saveexec_b32 s4, s4
; %bb.15:
	v_and_b32_e32 v76, 0xffff, v90
	v_or_b32_e32 v83, 0x10000, v90
	s_delay_alu instid0(VALU_DEP_2) | instskip(NEXT) | instid1(VALU_DEP_2)
	v_cmp_eq_u32_e32 vcc_lo, 0, v76
	v_cndmask_b32_e32 v76, v83, v90, vcc_lo
; %bb.16:
	s_or_b32 exec_lo, exec_lo, s4
	v_and_b32_e32 v83, 0x7f800000, v85
	s_delay_alu instid0(VALU_DEP_1) | instskip(SKIP_1) | instid1(SALU_CYCLE_1)
	v_cmp_ne_u32_e32 vcc_lo, 0x7f800000, v83
                                        ; implicit-def: $vgpr83
	s_and_saveexec_b32 s4, vcc_lo
	s_xor_b32 s4, exec_lo, s4
; %bb.17:
	v_bfe_u32 v83, v85, 16, 1
	s_delay_alu instid0(VALU_DEP_1)
	v_add3_u32 v83, v85, v83, 0x7fff
                                        ; implicit-def: $vgpr85
; %bb.18:
	s_and_not1_saveexec_b32 s4, s4
; %bb.19:
	v_and_b32_e32 v83, 0xffff, v85
	v_or_b32_e32 v90, 0x10000, v85
	s_delay_alu instid0(VALU_DEP_2) | instskip(NEXT) | instid1(VALU_DEP_2)
	v_cmp_eq_u32_e32 vcc_lo, 0, v83
	v_cndmask_b32_e32 v83, v90, v85, vcc_lo
; %bb.20:
	s_or_b32 exec_lo, exec_lo, s4
	v_and_b32_e32 v85, 0x7f800000, v86
	s_delay_alu instid0(VALU_DEP_1) | instskip(SKIP_1) | instid1(SALU_CYCLE_1)
	v_cmp_ne_u32_e32 vcc_lo, 0x7f800000, v85
                                        ; implicit-def: $vgpr85
	s_and_saveexec_b32 s4, vcc_lo
	s_xor_b32 s4, exec_lo, s4
; %bb.21:
	v_bfe_u32 v85, v86, 16, 1
	s_delay_alu instid0(VALU_DEP_1)
	v_add3_u32 v85, v86, v85, 0x7fff
                                        ; implicit-def: $vgpr86
; %bb.22:
	s_and_not1_saveexec_b32 s4, s4
; %bb.23:
	v_and_b32_e32 v85, 0xffff, v86
	v_or_b32_e32 v90, 0x10000, v86
	s_delay_alu instid0(VALU_DEP_2) | instskip(NEXT) | instid1(VALU_DEP_2)
	v_cmp_eq_u32_e32 vcc_lo, 0, v85
	v_cndmask_b32_e32 v85, v90, v86, vcc_lo
; %bb.24:
	s_or_b32 exec_lo, exec_lo, s4
	v_and_b32_e32 v86, 0x7f800000, v89
	s_delay_alu instid0(VALU_DEP_1) | instskip(SKIP_1) | instid1(SALU_CYCLE_1)
	v_cmp_ne_u32_e32 vcc_lo, 0x7f800000, v86
                                        ; implicit-def: $vgpr86
	s_and_saveexec_b32 s4, vcc_lo
	s_xor_b32 s4, exec_lo, s4
; %bb.25:
	v_bfe_u32 v86, v89, 16, 1
	s_delay_alu instid0(VALU_DEP_1)
	v_add3_u32 v86, v89, v86, 0x7fff
                                        ; implicit-def: $vgpr89
; %bb.26:
	s_and_not1_saveexec_b32 s4, s4
; %bb.27:
	v_and_b32_e32 v86, 0xffff, v89
	v_or_b32_e32 v90, 0x10000, v89
	s_delay_alu instid0(VALU_DEP_2) | instskip(NEXT) | instid1(VALU_DEP_2)
	v_cmp_eq_u32_e32 vcc_lo, 0, v86
	v_cndmask_b32_e32 v86, v90, v89, vcc_lo
; %bb.28:
	s_or_b32 exec_lo, exec_lo, s4
	v_and_b32_e32 v89, 0x7f800000, v88
	s_delay_alu instid0(VALU_DEP_1) | instskip(SKIP_1) | instid1(SALU_CYCLE_1)
	v_cmp_ne_u32_e32 vcc_lo, 0x7f800000, v89
                                        ; implicit-def: $vgpr89
	s_and_saveexec_b32 s4, vcc_lo
	s_xor_b32 s4, exec_lo, s4
; %bb.29:
	v_bfe_u32 v89, v88, 16, 1
	s_delay_alu instid0(VALU_DEP_1)
	v_add3_u32 v89, v88, v89, 0x7fff
                                        ; implicit-def: $vgpr88
; %bb.30:
	s_and_not1_saveexec_b32 s4, s4
; %bb.31:
	v_and_b32_e32 v89, 0xffff, v88
	v_or_b32_e32 v90, 0x10000, v88
	s_delay_alu instid0(VALU_DEP_2) | instskip(NEXT) | instid1(VALU_DEP_2)
	v_cmp_eq_u32_e32 vcc_lo, 0, v89
	v_cndmask_b32_e32 v89, v90, v88, vcc_lo
; %bb.32:
	s_or_b32 exec_lo, exec_lo, s4
	v_and_b32_e32 v88, 0x7f800000, v87
	s_delay_alu instid0(VALU_DEP_1) | instskip(SKIP_1) | instid1(SALU_CYCLE_1)
	v_cmp_ne_u32_e32 vcc_lo, 0x7f800000, v88
                                        ; implicit-def: $vgpr88
	s_and_saveexec_b32 s4, vcc_lo
	s_xor_b32 s4, exec_lo, s4
; %bb.33:
	v_bfe_u32 v88, v87, 16, 1
	s_delay_alu instid0(VALU_DEP_1)
	v_add3_u32 v88, v87, v88, 0x7fff
                                        ; implicit-def: $vgpr87
; %bb.34:
	s_and_not1_saveexec_b32 s4, s4
; %bb.35:
	v_and_b32_e32 v88, 0xffff, v87
	v_or_b32_e32 v90, 0x10000, v87
	s_delay_alu instid0(VALU_DEP_2) | instskip(NEXT) | instid1(VALU_DEP_2)
	v_cmp_eq_u32_e32 vcc_lo, 0, v88
	v_cndmask_b32_e32 v88, v90, v87, vcc_lo
; %bb.36:
	s_or_b32 exec_lo, exec_lo, s4
	v_and_b32_e32 v87, 0x7f800000, v84
	s_delay_alu instid0(VALU_DEP_1) | instskip(SKIP_1) | instid1(SALU_CYCLE_1)
	v_cmp_ne_u32_e32 vcc_lo, 0x7f800000, v87
                                        ; implicit-def: $vgpr87
	s_and_saveexec_b32 s4, vcc_lo
	s_xor_b32 s4, exec_lo, s4
; %bb.37:
	v_bfe_u32 v87, v84, 16, 1
	s_delay_alu instid0(VALU_DEP_1)
	v_add3_u32 v87, v84, v87, 0x7fff
                                        ; implicit-def: $vgpr84
; %bb.38:
	s_and_not1_saveexec_b32 s4, s4
; %bb.39:
	v_and_b32_e32 v87, 0xffff, v84
	v_or_b32_e32 v90, 0x10000, v84
	s_delay_alu instid0(VALU_DEP_2) | instskip(NEXT) | instid1(VALU_DEP_2)
	v_cmp_eq_u32_e32 vcc_lo, 0, v87
	v_cndmask_b32_e32 v87, v90, v84, vcc_lo
; %bb.40:
	s_or_b32 exec_lo, exec_lo, s4
	v_and_b32_e32 v84, 0x7f800000, v80
	s_delay_alu instid0(VALU_DEP_1) | instskip(SKIP_1) | instid1(SALU_CYCLE_1)
	v_cmp_ne_u32_e32 vcc_lo, 0x7f800000, v84
                                        ; implicit-def: $vgpr84
	s_and_saveexec_b32 s4, vcc_lo
	s_xor_b32 s4, exec_lo, s4
; %bb.41:
	v_bfe_u32 v84, v80, 16, 1
	s_delay_alu instid0(VALU_DEP_1)
	v_add3_u32 v84, v80, v84, 0x7fff
                                        ; implicit-def: $vgpr80
; %bb.42:
	s_and_not1_saveexec_b32 s4, s4
; %bb.43:
	v_and_b32_e32 v84, 0xffff, v80
	v_or_b32_e32 v90, 0x10000, v80
	s_delay_alu instid0(VALU_DEP_2) | instskip(NEXT) | instid1(VALU_DEP_2)
	v_cmp_eq_u32_e32 vcc_lo, 0, v84
	v_cndmask_b32_e32 v84, v90, v80, vcc_lo
; %bb.44:
	s_or_b32 exec_lo, exec_lo, s4
	s_load_b64 s[36:37], s[0:1], 0x94
	v_lshlrev_b32_e32 v91, 4, v74
	s_delay_alu instid0(VALU_DEP_2)
	v_perm_b32 v90, v84, v87, 0x7060302
	v_dual_mul_f32 v79, v82, v79 :: v_dual_lshlrev_b32 v80, 6, v65
	v_dual_mul_f32 v77, v82, v77 :: v_dual_lshlrev_b32 v92, 11, v66
	v_mul_f32_e32 v84, v82, v70
	v_perm_b32 v89, v88, v89, 0x7060302
	v_perm_b32 v88, v86, v85, 0x7060302
	;; [unrolled: 1-line block ×3, first 2 shown]
	v_mul_f32_e32 v70, v82, v81
	v_or3_b32 v76, v91, v92, v80
	v_dual_mul_f32 v78, v82, v78 :: v_dual_and_b32 v85, 0x7f800000, v84
	v_mul_f32_e32 v83, v82, v72
	v_mul_f32_e32 v81, v82, v71
	;; [unrolled: 1-line block ×3, first 2 shown]
	s_mov_b32 s4, exec_lo
	ds_store_b128 v76, v[87:90]
                                        ; implicit-def: $vgpr69
	v_cmpx_ne_u32_e32 0x7f800000, v85
	s_xor_b32 s4, exec_lo, s4
; %bb.45:
	v_bfe_u32 v69, v84, 16, 1
	s_delay_alu instid0(VALU_DEP_1)
	v_add3_u32 v69, v84, v69, 0x7fff
                                        ; implicit-def: $vgpr84
; %bb.46:
	s_and_not1_saveexec_b32 s4, s4
; %bb.47:
	v_and_b32_e32 v69, 0xffff, v84
	v_or_b32_e32 v71, 0x10000, v84
	s_delay_alu instid0(VALU_DEP_2) | instskip(NEXT) | instid1(VALU_DEP_2)
	v_cmp_eq_u32_e32 vcc_lo, 0, v69
	v_cndmask_b32_e32 v69, v71, v84, vcc_lo
; %bb.48:
	s_or_b32 exec_lo, exec_lo, s4
	v_and_b32_e32 v71, 0x7f800000, v72
	s_delay_alu instid0(VALU_DEP_1) | instskip(SKIP_1) | instid1(SALU_CYCLE_1)
	v_cmp_ne_u32_e32 vcc_lo, 0x7f800000, v71
                                        ; implicit-def: $vgpr71
	s_and_saveexec_b32 s4, vcc_lo
	s_xor_b32 s4, exec_lo, s4
; %bb.49:
	v_bfe_u32 v71, v72, 16, 1
	s_delay_alu instid0(VALU_DEP_1)
	v_add3_u32 v71, v72, v71, 0x7fff
                                        ; implicit-def: $vgpr72
; %bb.50:
	s_and_not1_saveexec_b32 s4, s4
; %bb.51:
	v_and_b32_e32 v71, 0xffff, v72
	v_or_b32_e32 v82, 0x10000, v72
	s_delay_alu instid0(VALU_DEP_2) | instskip(NEXT) | instid1(VALU_DEP_2)
	v_cmp_eq_u32_e32 vcc_lo, 0, v71
	v_cndmask_b32_e32 v71, v82, v72, vcc_lo
; %bb.52:
	s_or_b32 exec_lo, exec_lo, s4
	v_and_b32_e32 v72, 0x7f800000, v81
	s_delay_alu instid0(VALU_DEP_1) | instskip(SKIP_1) | instid1(SALU_CYCLE_1)
	v_cmp_ne_u32_e32 vcc_lo, 0x7f800000, v72
                                        ; implicit-def: $vgpr72
	s_and_saveexec_b32 s4, vcc_lo
	s_xor_b32 s4, exec_lo, s4
; %bb.53:
	v_bfe_u32 v72, v81, 16, 1
	s_delay_alu instid0(VALU_DEP_1)
	v_add3_u32 v72, v81, v72, 0x7fff
                                        ; implicit-def: $vgpr81
; %bb.54:
	s_and_not1_saveexec_b32 s4, s4
; %bb.55:
	v_and_b32_e32 v72, 0xffff, v81
	v_or_b32_e32 v82, 0x10000, v81
	s_delay_alu instid0(VALU_DEP_2) | instskip(NEXT) | instid1(VALU_DEP_2)
	v_cmp_eq_u32_e32 vcc_lo, 0, v72
	v_cndmask_b32_e32 v72, v82, v81, vcc_lo
; %bb.56:
	s_or_b32 exec_lo, exec_lo, s4
	v_and_b32_e32 v81, 0x7f800000, v83
	s_delay_alu instid0(VALU_DEP_1) | instskip(SKIP_1) | instid1(SALU_CYCLE_1)
	v_cmp_ne_u32_e32 vcc_lo, 0x7f800000, v81
                                        ; implicit-def: $vgpr81
	s_and_saveexec_b32 s4, vcc_lo
	s_xor_b32 s4, exec_lo, s4
; %bb.57:
	v_bfe_u32 v81, v83, 16, 1
	s_delay_alu instid0(VALU_DEP_1)
	v_add3_u32 v81, v83, v81, 0x7fff
                                        ; implicit-def: $vgpr83
; %bb.58:
	s_and_not1_saveexec_b32 s4, s4
; %bb.59:
	v_and_b32_e32 v81, 0xffff, v83
	v_or_b32_e32 v82, 0x10000, v83
	s_delay_alu instid0(VALU_DEP_2) | instskip(NEXT) | instid1(VALU_DEP_2)
	v_cmp_eq_u32_e32 vcc_lo, 0, v81
	v_cndmask_b32_e32 v81, v82, v83, vcc_lo
; %bb.60:
	s_or_b32 exec_lo, exec_lo, s4
	v_and_b32_e32 v82, 0x7f800000, v77
	s_delay_alu instid0(VALU_DEP_1) | instskip(SKIP_1) | instid1(SALU_CYCLE_1)
	v_cmp_ne_u32_e32 vcc_lo, 0x7f800000, v82
                                        ; implicit-def: $vgpr82
	s_and_saveexec_b32 s4, vcc_lo
	s_xor_b32 s4, exec_lo, s4
; %bb.61:
	v_bfe_u32 v82, v77, 16, 1
	s_delay_alu instid0(VALU_DEP_1)
	v_add3_u32 v82, v77, v82, 0x7fff
                                        ; implicit-def: $vgpr77
; %bb.62:
	s_and_not1_saveexec_b32 s4, s4
; %bb.63:
	v_and_b32_e32 v82, 0xffff, v77
	v_or_b32_e32 v83, 0x10000, v77
	s_delay_alu instid0(VALU_DEP_2) | instskip(NEXT) | instid1(VALU_DEP_2)
	v_cmp_eq_u32_e32 vcc_lo, 0, v82
	v_cndmask_b32_e32 v82, v83, v77, vcc_lo
; %bb.64:
	s_or_b32 exec_lo, exec_lo, s4
	v_and_b32_e32 v77, 0x7f800000, v78
	s_delay_alu instid0(VALU_DEP_1) | instskip(SKIP_1) | instid1(SALU_CYCLE_1)
	v_cmp_ne_u32_e32 vcc_lo, 0x7f800000, v77
                                        ; implicit-def: $vgpr77
	s_and_saveexec_b32 s4, vcc_lo
	s_xor_b32 s4, exec_lo, s4
; %bb.65:
	v_bfe_u32 v77, v78, 16, 1
	s_delay_alu instid0(VALU_DEP_1)
	v_add3_u32 v77, v78, v77, 0x7fff
                                        ; implicit-def: $vgpr78
; %bb.66:
	s_and_not1_saveexec_b32 s4, s4
; %bb.67:
	v_and_b32_e32 v77, 0xffff, v78
	v_or_b32_e32 v83, 0x10000, v78
	s_delay_alu instid0(VALU_DEP_2) | instskip(NEXT) | instid1(VALU_DEP_2)
	v_cmp_eq_u32_e32 vcc_lo, 0, v77
	v_cndmask_b32_e32 v77, v83, v78, vcc_lo
; %bb.68:
	s_or_b32 exec_lo, exec_lo, s4
	v_and_b32_e32 v78, 0x7f800000, v79
	s_delay_alu instid0(VALU_DEP_1) | instskip(SKIP_1) | instid1(SALU_CYCLE_1)
	v_cmp_ne_u32_e32 vcc_lo, 0x7f800000, v78
                                        ; implicit-def: $vgpr78
	s_and_saveexec_b32 s4, vcc_lo
	s_xor_b32 s4, exec_lo, s4
; %bb.69:
	v_bfe_u32 v78, v79, 16, 1
	s_delay_alu instid0(VALU_DEP_1)
	v_add3_u32 v78, v79, v78, 0x7fff
                                        ; implicit-def: $vgpr79
; %bb.70:
	s_and_not1_saveexec_b32 s4, s4
; %bb.71:
	v_and_b32_e32 v78, 0xffff, v79
	v_or_b32_e32 v83, 0x10000, v79
	s_delay_alu instid0(VALU_DEP_2) | instskip(NEXT) | instid1(VALU_DEP_2)
	v_cmp_eq_u32_e32 vcc_lo, 0, v78
	v_cndmask_b32_e32 v78, v83, v79, vcc_lo
; %bb.72:
	s_or_b32 exec_lo, exec_lo, s4
	v_and_b32_e32 v79, 0x7f800000, v70
	s_delay_alu instid0(VALU_DEP_1) | instskip(SKIP_1) | instid1(SALU_CYCLE_1)
	v_cmp_ne_u32_e32 vcc_lo, 0x7f800000, v79
                                        ; implicit-def: $vgpr79
	s_and_saveexec_b32 s4, vcc_lo
	s_xor_b32 s4, exec_lo, s4
; %bb.73:
	v_bfe_u32 v79, v70, 16, 1
	s_delay_alu instid0(VALU_DEP_1)
	v_add3_u32 v79, v70, v79, 0x7fff
                                        ; implicit-def: $vgpr70
; %bb.74:
	s_and_not1_saveexec_b32 s4, s4
; %bb.75:
	v_and_b32_e32 v79, 0xffff, v70
	v_or_b32_e32 v83, 0x10000, v70
	s_delay_alu instid0(VALU_DEP_2) | instskip(NEXT) | instid1(VALU_DEP_2)
	v_cmp_eq_u32_e32 vcc_lo, 0, v79
	v_cndmask_b32_e32 v79, v83, v70, vcc_lo
; %bb.76:
	s_or_b32 exec_lo, exec_lo, s4
	s_delay_alu instid0(VALU_DEP_1)
	v_perm_b32 v86, v79, v78, 0x7060302
	v_perm_b32 v85, v77, v82, 0x7060302
	;; [unrolled: 1-line block ×4, first 2 shown]
	v_lshl_or_b32 v82, v66, 11, v80
	ds_store_b128 v76, v[83:86] offset:1024
	s_waitcnt lgkmcnt(0)
	s_barrier
	buffer_gl0_inv
	ds_load_b128 v[69:72], v82
	ds_load_b128 v[83:86], v82 offset:16
	s_waitcnt lgkmcnt(1)
	v_lshrrev_b32_e32 v66, 16, v69
	s_waitcnt lgkmcnt(0)
	v_lshrrev_b32_e32 v91, 16, v83
	v_lshlrev_b32_e32 v78, 2, v74
	v_lshrrev_b32_e32 v95, 16, v70
	v_lshrrev_b32_e32 v98, 16, v84
	;; [unrolled: 1-line block ×4, first 2 shown]
	v_cmp_eq_u32_e32 vcc_lo, 1, v78
	v_lshrrev_b32_e32 v97, 16, v72
	v_lshrrev_b32_e32 v100, 16, v86
	v_cndmask_b32_e32 v87, v83, v91, vcc_lo
	v_or_b32_e32 v79, 1, v78
	v_cndmask_b32_e32 v81, v69, v66, vcc_lo
	v_cmp_eq_u32_e64 s5, 2, v78
	v_cmp_eq_u32_e64 s8, 3, v78
	;; [unrolled: 1-line block ×5, first 2 shown]
	v_cndmask_b32_e64 v81, v81, v70, s5
	v_cndmask_b32_e64 v87, v87, v84, s5
	v_cmp_eq_u32_e64 s9, 3, v79
	v_cndmask_b32_e64 v88, v69, v66, s4
	v_or_b32_e32 v77, 2, v78
	v_cndmask_b32_e64 v81, v81, v95, s8
	v_cndmask_b32_e64 v87, v87, v98, s8
	;; [unrolled: 1-line block ×4, first 2 shown]
	v_cmp_eq_u32_e64 s11, 5, v78
	v_cndmask_b32_e64 v81, v81, v71, s10
	v_cndmask_b32_e64 v87, v87, v85, s10
	v_cmp_eq_u32_e64 s12, 4, v79
	v_cndmask_b32_e64 v88, v88, v95, s9
	v_cmp_eq_u32_e64 s6, 1, v77
	v_cndmask_b32_e64 v89, v89, v84, s7
	v_cndmask_b32_e64 v81, v81, v96, s11
	v_cmp_eq_u32_e64 s13, 6, v78
	v_cndmask_b32_e64 v88, v88, v71, s12
	;; [unrolled: 3-line block ×3, first 2 shown]
	v_cndmask_b32_e64 v89, v89, v98, s9
	v_cndmask_b32_e64 v81, v81, v72, s13
	v_cmp_eq_u32_e64 s16, 7, v78
	v_cndmask_b32_e64 v88, v88, v96, s15
	v_cndmask_b32_e64 v87, v87, v86, s13
	v_cmp_eq_u32_e64 s17, 6, v79
	v_cmp_eq_u32_e64 s18, 2, v77
	v_cndmask_b32_e64 v89, v89, v85, s12
	v_cndmask_b32_e64 v101, v81, v97, s16
	;; [unrolled: 1-line block ×6, first 2 shown]
	v_cmp_eq_u32_e64 s19, 7, v79
	v_cmp_eq_u32_e64 s20, 3, v77
	v_cmp_eq_u32_e64 s21, 4, v77
	v_cmp_eq_u32_e64 s23, 5, v77
	v_cndmask_b32_e64 v87, v87, v84, s18
	v_cndmask_b32_e64 v103, v88, v97, s19
	v_cndmask_b32_e64 v88, v89, v99, s15
	v_cndmask_b32_e64 v89, v81, v95, s20
	v_or_b32_e32 v81, 3, v78
	v_cndmask_b32_e64 v93, v87, v98, s20
	v_cmp_eq_u32_e64 s25, 6, v77
	v_cndmask_b32_e64 v104, v88, v86, s17
	v_cndmask_b32_e64 v92, v89, v71, s21
	v_cmp_eq_u32_e64 s22, 1, v81
	ds_load_b128 v[87:90], v82 offset:1024
	v_cmp_eq_u32_e64 s24, 2, v81
	v_cmp_eq_u32_e64 s26, 3, v81
	v_cndmask_b32_e64 v105, v92, v96, s23
	v_cndmask_b32_e64 v66, v69, v66, s22
	;; [unrolled: 1-line block ×4, first 2 shown]
	ds_load_b128 v[91:94], v82 offset:1040
	v_cmp_eq_u32_e64 s27, 4, v81
	v_cndmask_b32_e64 v66, v66, v70, s24
	v_cmp_eq_u32_e64 s28, 7, v77
	v_cndmask_b32_e64 v70, v83, v84, s24
	v_cndmask_b32_e64 v84, v105, v72, s25
	v_cmp_eq_u32_e64 s29, 5, v81
	v_cndmask_b32_e64 v66, v66, v95, s26
	v_cmp_eq_u32_e64 s30, 6, v81
	v_cndmask_b32_e64 v70, v70, v98, s26
	v_cndmask_b32_e64 v69, v69, v99, s23
	;; [unrolled: 1-line block ×4, first 2 shown]
	s_waitcnt lgkmcnt(1)
	v_lshrrev_b32_e32 v95, 16, v87
	v_cndmask_b32_e64 v70, v70, v85, s27
	v_cndmask_b32_e64 v71, v84, v97, s28
	;; [unrolled: 1-line block ×4, first 2 shown]
	v_cndmask_b32_e32 v84, v87, v95, vcc_lo
	v_cndmask_b32_e64 v70, v70, v99, s29
	s_waitcnt lgkmcnt(0)
	v_lshrrev_b32_e32 v85, 16, v91
	v_lshrrev_b32_e32 v96, 16, v88
	v_cndmask_b32_e64 v98, v87, v95, s4
	v_cndmask_b32_e64 v84, v84, v88, s5
	;; [unrolled: 1-line block ×3, first 2 shown]
	v_cndmask_b32_e32 v99, v91, v85, vcc_lo
	v_cmp_eq_u32_e32 vcc_lo, 7, v81
	v_cndmask_b32_e64 v66, v66, v72, s30
	v_cndmask_b32_e64 v72, v84, v96, s8
	;; [unrolled: 1-line block ×3, first 2 shown]
	v_lshrrev_b32_e32 v98, 16, v92
	v_cndmask_b32_e32 v70, v70, v100, vcc_lo
	v_cndmask_b32_e64 v86, v99, v92, s5
	v_cndmask_b32_e64 v69, v69, v100, s28
	v_lshrrev_b32_e32 v100, 16, v93
	v_cndmask_b32_e64 v72, v72, v89, s10
	v_lshrrev_b32_e32 v99, 16, v89
	v_cndmask_b32_e64 v86, v86, v98, s8
	v_perm_b32 v71, v69, v71, 0x5040100
	v_cndmask_b32_e64 v84, v84, v96, s9
	s_delay_alu instid0(VALU_DEP_3) | instskip(NEXT) | instid1(VALU_DEP_2)
	v_cndmask_b32_e64 v86, v86, v93, s10
	v_cndmask_b32_e64 v84, v84, v89, s12
	s_delay_alu instid0(VALU_DEP_2) | instskip(NEXT) | instid1(VALU_DEP_1)
	v_cndmask_b32_e64 v86, v86, v100, s11
	v_cndmask_b32_e64 v69, v86, v94, s13
	;; [unrolled: 1-line block ×5, first 2 shown]
	s_delay_alu instid0(VALU_DEP_3) | instskip(NEXT) | instid1(VALU_DEP_3)
	v_cndmask_b32_e64 v86, v86, v88, s18
	v_cndmask_b32_e64 v87, v87, v88, s24
	s_delay_alu instid0(VALU_DEP_3) | instskip(NEXT) | instid1(VALU_DEP_3)
	v_cndmask_b32_e64 v88, v95, v92, s24
	v_cndmask_b32_e64 v86, v86, v96, s20
	s_delay_alu instid0(VALU_DEP_3) | instskip(NEXT) | instid1(VALU_DEP_3)
	v_cndmask_b32_e64 v87, v87, v96, s26
	v_cndmask_b32_e64 v88, v88, v98, s26
	s_delay_alu instid0(VALU_DEP_3) | instskip(NEXT) | instid1(VALU_DEP_3)
	v_cndmask_b32_e64 v86, v86, v89, s21
	v_cndmask_b32_e64 v87, v87, v89, s27
	s_delay_alu instid0(VALU_DEP_3) | instskip(NEXT) | instid1(VALU_DEP_3)
	v_cndmask_b32_e64 v88, v88, v93, s27
	v_cndmask_b32_e64 v86, v86, v99, s23
	s_delay_alu instid0(VALU_DEP_3) | instskip(NEXT) | instid1(VALU_DEP_3)
	v_cndmask_b32_e64 v87, v87, v99, s29
	v_cndmask_b32_e64 v88, v88, v100, s29
	s_delay_alu instid0(VALU_DEP_3) | instskip(NEXT) | instid1(VALU_DEP_3)
	v_cndmask_b32_e64 v86, v86, v90, s25
	v_cndmask_b32_e64 v87, v87, v90, s30
	s_delay_alu instid0(VALU_DEP_3) | instskip(SKIP_2) | instid1(VALU_DEP_2)
	v_cndmask_b32_e64 v88, v88, v94, s30
	v_cndmask_b32_e32 v66, v66, v97, vcc_lo
	v_cndmask_b32_e64 v97, v72, v99, s11
	v_perm_b32 v72, v70, v66, 0x5040100
	v_perm_b32 v70, v83, v103, 0x5040100
	v_cndmask_b32_e64 v103, v91, v85, s6
	v_cndmask_b32_e64 v85, v91, v85, s4
	v_cndmask_b32_e64 v66, v84, v99, s15
	v_cndmask_b32_e64 v84, v97, v90, s13
	v_lshrrev_b32_e32 v97, 16, v90
	v_cndmask_b32_e64 v91, v103, v92, s18
	v_cndmask_b32_e64 v85, v85, v92, s7
	;; [unrolled: 1-line block ×3, first 2 shown]
	s_mov_b32 s4, exec_lo
	v_cndmask_b32_e64 v83, v84, v97, s16
	v_cndmask_b32_e64 v91, v91, v98, s20
	;; [unrolled: 1-line block ×3, first 2 shown]
	v_lshrrev_b32_e32 v84, 16, v94
	v_cndmask_b32_e64 v66, v66, v97, s19
	v_cndmask_b32_e64 v90, v86, v97, s28
	;; [unrolled: 1-line block ×4, first 2 shown]
	v_dual_cndmask_b32 v86, v87, v97 :: v_dual_cndmask_b32 v87, v88, v84
	v_cndmask_b32_e64 v91, v69, v84, s16
	s_delay_alu instid0(VALU_DEP_4) | instskip(NEXT) | instid1(VALU_DEP_4)
	v_cndmask_b32_e64 v89, v89, v100, s23
	v_cndmask_b32_e64 v85, v85, v100, s15
	v_perm_b32 v69, v102, v101, 0x5040100
	v_perm_b32 v86, v87, v86, 0x5040100
	v_perm_b32 v83, v91, v83, 0x5040100
	v_cndmask_b32_e64 v89, v89, v94, s25
	v_cndmask_b32_e64 v85, v85, v94, s17
	s_mul_i32 s9, s37, 13
	s_delay_alu instid0(VALU_DEP_2) | instskip(NEXT) | instid1(VALU_DEP_2)
	v_cndmask_b32_e64 v88, v89, v84, s28
	v_cndmask_b32_e64 v89, v85, v84, s19
	s_delay_alu instid0(VALU_DEP_2) | instskip(NEXT) | instid1(VALU_DEP_2)
	v_perm_b32 v85, v88, v90, 0x5040100
	v_perm_b32 v84, v89, v66, 0x5040100
	ds_store_b128 v76, v[69:72]
	ds_store_b128 v76, v[83:86] offset:1024
	v_cmpx_gt_u32_e32 13, v0
	s_cbranch_execz .LBB1754_78
; %bb.77:
	s_mul_i32 s5, s9, s34
	s_load_b128 s[16:19], s[0:1], 0x58
	v_add3_u32 v69, s5, s31, v65
	s_delay_alu instid0(VALU_DEP_1) | instskip(NEXT) | instid1(VALU_DEP_1)
	v_mad_u64_u32 v[65:66], null, v69, s36, s[14:15]
	v_ashrrev_i32_e32 v66, 31, v65
	s_delay_alu instid0(VALU_DEP_1) | instskip(SKIP_1) | instid1(VALU_DEP_1)
	v_lshlrev_b64 v[65:66], 2, v[65:66]
	s_waitcnt lgkmcnt(0)
	v_add_co_u32 v69, vcc_lo, s18, v65
	s_delay_alu instid0(VALU_DEP_2)
	v_add_co_ci_u32_e32 v70, vcc_lo, s19, v66, vcc_lo
	v_add_co_u32 v65, vcc_lo, s16, v65
	v_add_co_ci_u32_e32 v66, vcc_lo, s17, v66, vcc_lo
	global_store_b32 v[69:70], v67, off
	global_store_b32 v[65:66], v68, off
.LBB1754_78:
	s_or_b32 exec_lo, exec_lo, s4
	s_waitcnt lgkmcnt(0)
	s_waitcnt_vscnt null, 0x0
	s_barrier
	buffer_gl0_inv
	ds_load_b128 v[83:86], v80
	ds_load_b128 v[87:90], v80 offset:16
	ds_load_b128 v[95:98], v80 offset:2064
	;; [unrolled: 1-line block ×3, first 2 shown]
	v_mov_b32_e32 v65, 0
	ds_load_b128 v[103:106], v80 offset:4112
	ds_load_b128 v[99:102], v80 offset:4096
	;; [unrolled: 1-line block ×4, first 2 shown]
	v_mov_b32_e32 v66, v65
	v_mov_b32_e32 v67, v65
	;; [unrolled: 1-line block ×7, first 2 shown]
	s_waitcnt lgkmcnt(6)
	s_delay_alu instid0(VALU_DEP_1)
	v_wmma_f32_16x16x16_bf16 v[65:72], v[57:64], v[83:90], v[65:72]
	ds_load_b128 v[61:64], v80 offset:8208
	ds_load_b128 v[57:60], v80 offset:8192
	s_waitcnt lgkmcnt(6)
	v_wmma_f32_16x16x16_bf16 v[65:72], v[41:48], v[91:98], v[65:72]
	ds_load_b128 v[45:48], v80 offset:10256
	ds_load_b128 v[41:44], v80 offset:10240
	s_waitcnt lgkmcnt(6)
	v_wmma_f32_16x16x16_bf16 v[65:72], v[33:40], v[99:106], v[65:72]
	ds_load_b128 v[37:40], v80 offset:12304
	ds_load_b128 v[33:36], v80 offset:12288
	s_waitcnt lgkmcnt(6)
	v_wmma_f32_16x16x16_bf16 v[65:72], v[25:32], v[107:114], v[65:72]
	ds_load_b128 v[29:32], v80 offset:14352
	ds_load_b128 v[25:28], v80 offset:14336
	s_waitcnt lgkmcnt(6)
	v_wmma_f32_16x16x16_bf16 v[65:72], v[1:8], v[57:64], v[65:72]
	s_waitcnt lgkmcnt(4)
	s_delay_alu instid0(VALU_DEP_1) | instskip(SKIP_1) | instid1(VALU_DEP_1)
	v_wmma_f32_16x16x16_bf16 v[65:72], v[9:16], v[41:48], v[65:72]
	s_waitcnt lgkmcnt(2)
	v_wmma_f32_16x16x16_bf16 v[65:72], v[17:24], v[33:40], v[65:72]
	s_waitcnt lgkmcnt(0)
	s_delay_alu instid0(VALU_DEP_1) | instskip(NEXT) | instid1(VALU_DEP_1)
	v_wmma_f32_16x16x16_bf16 v[65:72], v[49:56], v[25:32], v[65:72]
	v_and_b32_e32 v1, 0x7f800000, v65
	s_delay_alu instid0(VALU_DEP_1) | instskip(SKIP_1) | instid1(SALU_CYCLE_1)
	v_cmp_ne_u32_e32 vcc_lo, 0x7f800000, v1
                                        ; implicit-def: $vgpr1
	s_and_saveexec_b32 s4, vcc_lo
	s_xor_b32 s4, exec_lo, s4
; %bb.79:
	v_bfe_u32 v1, v65, 16, 1
	s_delay_alu instid0(VALU_DEP_1)
	v_add3_u32 v1, v65, v1, 0x7fff
; %bb.80:
	s_and_not1_saveexec_b32 s4, s4
; %bb.81:
	v_and_b32_e32 v1, 0xffff, v65
	v_or_b32_e32 v2, 0x10000, v65
	s_delay_alu instid0(VALU_DEP_2) | instskip(NEXT) | instid1(VALU_DEP_2)
	v_cmp_eq_u32_e32 vcc_lo, 0, v1
	v_cndmask_b32_e32 v1, v2, v65, vcc_lo
; %bb.82:
	s_or_b32 exec_lo, exec_lo, s4
	v_and_b32_e32 v2, 0x7f800000, v66
	s_delay_alu instid0(VALU_DEP_1) | instskip(SKIP_1) | instid1(SALU_CYCLE_1)
	v_cmp_ne_u32_e32 vcc_lo, 0x7f800000, v2
                                        ; implicit-def: $vgpr2
	s_and_saveexec_b32 s4, vcc_lo
	s_xor_b32 s4, exec_lo, s4
; %bb.83:
	v_bfe_u32 v2, v66, 16, 1
	s_delay_alu instid0(VALU_DEP_1)
	v_add3_u32 v2, v66, v2, 0x7fff
; %bb.84:
	s_and_not1_saveexec_b32 s4, s4
; %bb.85:
	v_and_b32_e32 v2, 0xffff, v66
	v_or_b32_e32 v3, 0x10000, v66
	s_delay_alu instid0(VALU_DEP_2) | instskip(NEXT) | instid1(VALU_DEP_2)
	v_cmp_eq_u32_e32 vcc_lo, 0, v2
	v_cndmask_b32_e32 v2, v3, v66, vcc_lo
; %bb.86:
	s_or_b32 exec_lo, exec_lo, s4
	v_and_b32_e32 v3, 0x7f800000, v67
	s_delay_alu instid0(VALU_DEP_1) | instskip(SKIP_1) | instid1(SALU_CYCLE_1)
	v_cmp_ne_u32_e32 vcc_lo, 0x7f800000, v3
                                        ; implicit-def: $vgpr3
	s_and_saveexec_b32 s4, vcc_lo
	s_xor_b32 s4, exec_lo, s4
; %bb.87:
	v_bfe_u32 v3, v67, 16, 1
	s_delay_alu instid0(VALU_DEP_1)
	v_add3_u32 v3, v67, v3, 0x7fff
; %bb.88:
	s_and_not1_saveexec_b32 s4, s4
; %bb.89:
	v_and_b32_e32 v3, 0xffff, v67
	v_or_b32_e32 v4, 0x10000, v67
	s_delay_alu instid0(VALU_DEP_2) | instskip(NEXT) | instid1(VALU_DEP_2)
	v_cmp_eq_u32_e32 vcc_lo, 0, v3
	v_cndmask_b32_e32 v3, v4, v67, vcc_lo
; %bb.90:
	s_or_b32 exec_lo, exec_lo, s4
	v_and_b32_e32 v4, 0x7f800000, v68
	s_delay_alu instid0(VALU_DEP_1) | instskip(SKIP_1) | instid1(SALU_CYCLE_1)
	v_cmp_ne_u32_e32 vcc_lo, 0x7f800000, v4
                                        ; implicit-def: $vgpr4
	s_and_saveexec_b32 s4, vcc_lo
	s_xor_b32 s4, exec_lo, s4
; %bb.91:
	v_bfe_u32 v4, v68, 16, 1
	s_delay_alu instid0(VALU_DEP_1)
	v_add3_u32 v4, v68, v4, 0x7fff
; %bb.92:
	s_and_not1_saveexec_b32 s4, s4
; %bb.93:
	v_and_b32_e32 v4, 0xffff, v68
	v_or_b32_e32 v5, 0x10000, v68
	s_delay_alu instid0(VALU_DEP_2) | instskip(NEXT) | instid1(VALU_DEP_2)
	v_cmp_eq_u32_e32 vcc_lo, 0, v4
	v_cndmask_b32_e32 v4, v5, v68, vcc_lo
; %bb.94:
	s_or_b32 exec_lo, exec_lo, s4
	v_and_b32_e32 v5, 0x7f800000, v69
	s_delay_alu instid0(VALU_DEP_1) | instskip(SKIP_1) | instid1(SALU_CYCLE_1)
	v_cmp_ne_u32_e32 vcc_lo, 0x7f800000, v5
                                        ; implicit-def: $vgpr5
	s_and_saveexec_b32 s4, vcc_lo
	s_xor_b32 s4, exec_lo, s4
; %bb.95:
	v_bfe_u32 v5, v69, 16, 1
	s_delay_alu instid0(VALU_DEP_1)
	v_add3_u32 v5, v69, v5, 0x7fff
; %bb.96:
	s_and_not1_saveexec_b32 s4, s4
; %bb.97:
	v_and_b32_e32 v5, 0xffff, v69
	v_or_b32_e32 v6, 0x10000, v69
	s_delay_alu instid0(VALU_DEP_2) | instskip(NEXT) | instid1(VALU_DEP_2)
	v_cmp_eq_u32_e32 vcc_lo, 0, v5
	v_cndmask_b32_e32 v5, v6, v69, vcc_lo
; %bb.98:
	s_or_b32 exec_lo, exec_lo, s4
	v_and_b32_e32 v6, 0x7f800000, v70
	s_delay_alu instid0(VALU_DEP_1) | instskip(SKIP_1) | instid1(SALU_CYCLE_1)
	v_cmp_ne_u32_e32 vcc_lo, 0x7f800000, v6
                                        ; implicit-def: $vgpr6
	s_and_saveexec_b32 s4, vcc_lo
	s_xor_b32 s4, exec_lo, s4
; %bb.99:
	v_bfe_u32 v6, v70, 16, 1
	s_delay_alu instid0(VALU_DEP_1)
	v_add3_u32 v6, v70, v6, 0x7fff
; %bb.100:
	s_and_not1_saveexec_b32 s4, s4
; %bb.101:
	v_and_b32_e32 v6, 0xffff, v70
	v_or_b32_e32 v7, 0x10000, v70
	s_delay_alu instid0(VALU_DEP_2) | instskip(NEXT) | instid1(VALU_DEP_2)
	v_cmp_eq_u32_e32 vcc_lo, 0, v6
	v_cndmask_b32_e32 v6, v7, v70, vcc_lo
; %bb.102:
	s_or_b32 exec_lo, exec_lo, s4
	v_and_b32_e32 v7, 0x7f800000, v71
	s_delay_alu instid0(VALU_DEP_1) | instskip(SKIP_1) | instid1(SALU_CYCLE_1)
	v_cmp_ne_u32_e32 vcc_lo, 0x7f800000, v7
                                        ; implicit-def: $vgpr7
	s_and_saveexec_b32 s4, vcc_lo
	s_xor_b32 s4, exec_lo, s4
; %bb.103:
	v_bfe_u32 v7, v71, 16, 1
	s_delay_alu instid0(VALU_DEP_1)
	v_add3_u32 v7, v71, v7, 0x7fff
; %bb.104:
	s_and_not1_saveexec_b32 s4, s4
; %bb.105:
	v_and_b32_e32 v7, 0xffff, v71
	v_or_b32_e32 v8, 0x10000, v71
	s_delay_alu instid0(VALU_DEP_2) | instskip(NEXT) | instid1(VALU_DEP_2)
	v_cmp_eq_u32_e32 vcc_lo, 0, v7
	v_cndmask_b32_e32 v7, v8, v71, vcc_lo
; %bb.106:
	s_or_b32 exec_lo, exec_lo, s4
	v_and_b32_e32 v8, 0x7f800000, v72
	s_delay_alu instid0(VALU_DEP_1) | instskip(SKIP_1) | instid1(SALU_CYCLE_1)
	v_cmp_ne_u32_e32 vcc_lo, 0x7f800000, v8
                                        ; implicit-def: $vgpr8
	s_and_saveexec_b32 s4, vcc_lo
	s_xor_b32 s4, exec_lo, s4
; %bb.107:
	v_bfe_u32 v8, v72, 16, 1
	s_delay_alu instid0(VALU_DEP_1)
	v_add3_u32 v8, v72, v8, 0x7fff
                                        ; implicit-def: $vgpr65_vgpr66_vgpr67_vgpr68_vgpr69_vgpr70_vgpr71_vgpr72
; %bb.108:
	s_and_not1_saveexec_b32 s4, s4
; %bb.109:
	v_and_b32_e32 v8, 0xffff, v72
	v_or_b32_e32 v9, 0x10000, v72
	s_delay_alu instid0(VALU_DEP_2) | instskip(NEXT) | instid1(VALU_DEP_2)
	v_cmp_eq_u32_e32 vcc_lo, 0, v8
	v_cndmask_b32_e32 v8, v9, v72, vcc_lo
; %bb.110:
	s_or_b32 exec_lo, exec_lo, s4
	s_delay_alu instid0(VALU_DEP_1)
	v_perm_b32 v7, v8, v7, 0x7060302
	v_perm_b32 v6, v6, v5, 0x7060302
	v_perm_b32 v5, v4, v3, 0x7060302
	v_perm_b32 v4, v2, v1, 0x7060302
	s_barrier
	buffer_gl0_inv
	v_cmp_eq_u32_e32 vcc_lo, 1, v78
	ds_store_b128 v76, v[4:7]
	s_waitcnt lgkmcnt(0)
	s_barrier
	buffer_gl0_inv
	ds_load_b128 v[1:4], v82
	ds_load_b128 v[5:8], v82 offset:16
	v_cmp_eq_u32_e64 s4, 1, v79
	v_cmp_eq_u32_e64 s5, 2, v78
	;; [unrolled: 1-line block ×5, first 2 shown]
	s_waitcnt lgkmcnt(1)
	v_lshrrev_b32_e32 v9, 16, v1
	s_waitcnt lgkmcnt(0)
	v_lshrrev_b32_e32 v13, 16, v5
	v_lshrrev_b32_e32 v10, 16, v2
	;; [unrolled: 1-line block ×4, first 2 shown]
	v_cndmask_b32_e64 v19, v1, v9, s4
	v_cndmask_b32_e32 v18, v5, v13, vcc_lo
	v_cndmask_b32_e64 v20, v5, v13, s4
	v_cndmask_b32_e32 v17, v1, v9, vcc_lo
	v_cmp_eq_u32_e32 vcc_lo, 2, v79
	v_lshrrev_b32_e32 v15, 16, v7
	v_cmp_eq_u32_e64 s4, 1, v77
	v_lshrrev_b32_e32 v12, 16, v4
	v_lshrrev_b32_e32 v16, 16, v8
	v_cndmask_b32_e32 v20, v20, v6, vcc_lo
	v_cndmask_b32_e64 v17, v17, v2, s5
	v_cndmask_b32_e32 v19, v19, v2, vcc_lo
	v_cndmask_b32_e64 v18, v18, v6, s5
	v_cmp_eq_u32_e32 vcc_lo, 4, v78
	v_cmp_eq_u32_e64 s5, 3, v79
	v_cndmask_b32_e64 v17, v17, v10, s6
	v_cndmask_b32_e64 v21, v1, v9, s4
	;; [unrolled: 1-line block ×5, first 2 shown]
	v_cndmask_b32_e32 v17, v17, v3, vcc_lo
	v_cndmask_b32_e64 v20, v20, v14, s5
	v_cndmask_b32_e32 v18, v18, v7, vcc_lo
	v_cmp_eq_u32_e32 vcc_lo, 4, v79
	v_cmp_eq_u32_e64 s5, 5, v79
	v_cmp_eq_u32_e64 s4, 2, v81
	v_cndmask_b32_e64 v21, v21, v2, s8
	v_cmp_eq_u32_e64 s6, 5, v78
	v_cndmask_b32_e32 v19, v19, v3, vcc_lo
	v_cndmask_b32_e32 v20, v20, v7, vcc_lo
	v_cmp_eq_u32_e32 vcc_lo, 6, v79
	s_delay_alu instid0(VALU_DEP_4) | instskip(NEXT) | instid1(VALU_DEP_4)
	v_cndmask_b32_e64 v17, v17, v11, s6
	v_cndmask_b32_e64 v19, v19, v11, s5
	s_delay_alu instid0(VALU_DEP_4) | instskip(SKIP_1) | instid1(VALU_DEP_3)
	v_cndmask_b32_e64 v20, v20, v15, s5
	v_cmp_eq_u32_e64 s5, 1, v81
	v_cndmask_b32_e32 v19, v19, v4, vcc_lo
	v_cndmask_b32_e64 v18, v18, v15, s6
	s_delay_alu instid0(VALU_DEP_3)
	v_cndmask_b32_e64 v1, v1, v9, s5
	v_cndmask_b32_e64 v5, v5, v13, s5
	v_cmp_eq_u32_e64 s5, 3, v77
	v_cndmask_b32_e64 v13, v22, v6, s8
	v_cmp_eq_u32_e64 s8, 3, v81
	v_cndmask_b32_e64 v1, v1, v2, s4
	v_cndmask_b32_e64 v2, v5, v6, s4
	;; [unrolled: 1-line block ×3, first 2 shown]
	v_cmp_eq_u32_e64 s4, 4, v77
	v_cndmask_b32_e64 v6, v13, v14, s5
	v_cndmask_b32_e64 v1, v1, v10, s8
	v_cmp_eq_u32_e64 s5, 4, v81
	v_cndmask_b32_e64 v2, v2, v14, s8
	v_cndmask_b32_e64 v5, v9, v3, s4
	;; [unrolled: 3-line block ×3, first 2 shown]
	v_cndmask_b32_e64 v2, v2, v7, s5
	v_cmp_eq_u32_e64 s4, 5, v81
	v_cmp_eq_u32_e64 s6, 6, v78
	v_cndmask_b32_e64 v5, v5, v11, s8
	v_cmp_eq_u32_e64 s5, 6, v77
	v_cndmask_b32_e64 v3, v6, v15, s8
	v_cndmask_b32_e64 v1, v1, v11, s4
	v_cmp_eq_u32_e64 s8, 6, v81
	v_cndmask_b32_e64 v2, v2, v15, s4
	v_cndmask_b32_e64 v17, v17, v4, s6
	v_cndmask_b32_e64 v18, v18, v8, s6
	v_cmp_eq_u32_e64 s6, 7, v78
	v_cndmask_b32_e64 v5, v5, v4, s5
	;; [unrolled: 4-line block ×3, first 2 shown]
	v_cmp_eq_u32_e64 s5, 7, v77
	v_cndmask_b32_e32 v4, v20, v8, vcc_lo
	v_cndmask_b32_e64 v17, v17, v12, s6
	v_cndmask_b32_e64 v19, v19, v12, s7
	;; [unrolled: 1-line block ×8, first 2 shown]
	v_cmp_gt_u32_e32 vcc_lo, 32, v0
	v_perm_b32 v4, v2, v1, 0x5040100
	v_perm_b32 v3, v3, v5, 0x5040100
	;; [unrolled: 1-line block ×4, first 2 shown]
	s_and_b32 s2, vcc_lo, s2
	ds_store_b128 v76, v[1:4]
	s_waitcnt lgkmcnt(0)
	s_barrier
	buffer_gl0_inv
	s_and_saveexec_b32 s4, s2
	s_cbranch_execz .LBB1754_2
; %bb.111:
	s_load_b64 s[4:5], s[0:1], 0x68
	v_lshlrev_b32_e32 v0, 10, v0
	v_lshlrev_b32_e32 v1, 4, v75
	s_lshl_b32 s0, s36, 6
	v_add_nc_u32_e32 v18, s31, v74
	s_mul_i32 s1, s0, s34
	s_delay_alu instid0(VALU_DEP_2) | instskip(SKIP_1) | instid1(VALU_DEP_2)
	v_and_or_b32 v0, 0x3800, v0, v1
	s_mul_i32 s6, s1, s9
	v_mul_lo_u32 v1, v18, s0
	s_ashr_i32 s7, s6, 31
	v_add_nc_u32_e32 v2, 2, v18
	v_lshl_or_b32 v19, v74, 6, v0
	s_lshl_b64 s[6:7], s[6:7], 1
	v_add_nc_u32_e32 v8, 4, v18
	v_add_nc_u32_e32 v15, 6, v18
	v_mul_lo_u32 v7, v2, s0
	ds_load_b128 v[3:6], v19
	v_ashrrev_i32_e32 v2, 31, v1
	v_mul_lo_u32 v11, v8, s0
	s_waitcnt lgkmcnt(0)
	s_add_u32 s1, s4, s6
	s_addc_u32 s2, s5, s7
	s_lshl_b32 s4, s14, 6
	v_lshlrev_b64 v[9:10], 1, v[1:2]
	s_ashr_i32 s5, s4, 31
	v_ashrrev_i32_e32 v8, 31, v7
	s_lshl_b64 s[4:5], s[4:5], 1
	v_ashrrev_i32_e32 v12, 31, v11
	s_add_u32 s1, s1, s4
	s_addc_u32 s2, s2, s5
	v_add_co_u32 v1, s1, s1, v73
	s_delay_alu instid0(VALU_DEP_1) | instskip(SKIP_1) | instid1(VALU_DEP_3)
	v_add_co_ci_u32_e64 v2, null, s2, 0, s1
	v_mul_lo_u32 v15, v15, s0
	v_add_co_u32 v13, vcc_lo, v1, v9
	s_delay_alu instid0(VALU_DEP_3)
	v_add_co_ci_u32_e32 v14, vcc_lo, v2, v10, vcc_lo
	v_lshlrev_b64 v[16:17], 1, v[7:8]
	ds_load_b128 v[7:10], v19 offset:128
	global_store_b128 v[13:14], v[3:6], off
	v_add_nc_u32_e32 v5, 8, v18
	v_lshlrev_b64 v[3:4], 1, v[11:12]
	v_add_co_u32 v23, vcc_lo, v1, v16
	v_ashrrev_i32_e32 v16, 31, v15
	s_delay_alu instid0(VALU_DEP_4) | instskip(SKIP_3) | instid1(VALU_DEP_3)
	v_mul_lo_u32 v25, v5, s0
	v_add_nc_u32_e32 v5, 10, v18
	v_add_co_ci_u32_e32 v24, vcc_lo, v2, v17, vcc_lo
	v_add_co_u32 v27, vcc_lo, v1, v3
	v_mul_lo_u32 v29, v5, s0
	v_add_co_ci_u32_e32 v28, vcc_lo, v2, v4, vcc_lo
	v_lshlrev_b64 v[31:32], 1, v[15:16]
	ds_load_b128 v[3:6], v19 offset:256
	ds_load_b128 v[11:14], v19 offset:384
	;; [unrolled: 1-line block ×4, first 2 shown]
	v_ashrrev_i32_e32 v26, 31, v25
	v_ashrrev_i32_e32 v30, 31, v29
	v_add_co_u32 v31, vcc_lo, v1, v31
	s_delay_alu instid0(VALU_DEP_3) | instskip(SKIP_1) | instid1(VALU_DEP_4)
	v_lshlrev_b64 v[25:26], 1, v[25:26]
	v_add_co_ci_u32_e32 v32, vcc_lo, v2, v32, vcc_lo
	v_lshlrev_b64 v[29:30], 1, v[29:30]
	s_delay_alu instid0(VALU_DEP_3) | instskip(NEXT) | instid1(VALU_DEP_4)
	v_add_co_u32 v25, vcc_lo, v1, v25
	v_add_co_ci_u32_e32 v26, vcc_lo, v2, v26, vcc_lo
	s_delay_alu instid0(VALU_DEP_3) | instskip(NEXT) | instid1(VALU_DEP_4)
	v_add_co_u32 v29, vcc_lo, v1, v29
	v_add_co_ci_u32_e32 v30, vcc_lo, v2, v30, vcc_lo
	s_waitcnt lgkmcnt(4)
	global_store_b128 v[23:24], v[7:10], off
	s_waitcnt lgkmcnt(3)
	global_store_b128 v[27:28], v[3:6], off
	;; [unrolled: 2-line block ×5, first 2 shown]
	s_and_b32 exec_lo, exec_lo, s3
	s_cbranch_execz .LBB1754_2
; %bb.112:
	ds_load_b128 v[3:6], v0 offset:768
	s_add_i32 s1, s31, 12
	s_delay_alu instid0(SALU_CYCLE_1) | instskip(NEXT) | instid1(SALU_CYCLE_1)
	s_mul_i32 s0, s1, s0
	s_ashr_i32 s1, s0, 31
	s_delay_alu instid0(SALU_CYCLE_1) | instskip(NEXT) | instid1(SALU_CYCLE_1)
	s_lshl_b64 s[0:1], s[0:1], 1
	v_add_co_u32 v0, vcc_lo, v1, s0
	v_add_co_ci_u32_e32 v1, vcc_lo, s1, v2, vcc_lo
	s_waitcnt lgkmcnt(0)
	global_store_b128 v[0:1], v[3:6], off
	s_nop 0
	s_sendmsg sendmsg(MSG_DEALLOC_VGPRS)
	s_endpgm
	.section	.rodata,"a",@progbits
	.p2align	6, 0x0
	.amdhsa_kernel _Z39paged_attention_ll4mi_QKV_mfma16_kernelI14__hip_bfloat16hLN4vllm18Fp8KVCacheDataTypeE1EhLi32ELi64ELi256ELb0ELi13EL8MFMAType0EEvPKT_PKT0_S9_ifPKiSB_SB_iPKfiiiPfSE_PS4_PT2_iSD_SD_
		.amdhsa_group_segment_fixed_size 17472
		.amdhsa_private_segment_fixed_size 0
		.amdhsa_kernarg_size 400
		.amdhsa_user_sgpr_count 13
		.amdhsa_user_sgpr_dispatch_ptr 0
		.amdhsa_user_sgpr_queue_ptr 0
		.amdhsa_user_sgpr_kernarg_segment_ptr 1
		.amdhsa_user_sgpr_dispatch_id 0
		.amdhsa_user_sgpr_private_segment_size 0
		.amdhsa_wavefront_size32 1
		.amdhsa_uses_dynamic_stack 0
		.amdhsa_enable_private_segment 0
		.amdhsa_system_sgpr_workgroup_id_x 1
		.amdhsa_system_sgpr_workgroup_id_y 1
		.amdhsa_system_sgpr_workgroup_id_z 1
		.amdhsa_system_sgpr_workgroup_info 0
		.amdhsa_system_vgpr_workitem_id 0
		.amdhsa_next_free_vgpr 124
		.amdhsa_next_free_sgpr 42
		.amdhsa_reserve_vcc 1
		.amdhsa_float_round_mode_32 0
		.amdhsa_float_round_mode_16_64 0
		.amdhsa_float_denorm_mode_32 3
		.amdhsa_float_denorm_mode_16_64 3
		.amdhsa_dx10_clamp 1
		.amdhsa_ieee_mode 1
		.amdhsa_fp16_overflow 0
		.amdhsa_workgroup_processor_mode 1
		.amdhsa_memory_ordered 1
		.amdhsa_forward_progress 0
		.amdhsa_shared_vgpr_count 0
		.amdhsa_exception_fp_ieee_invalid_op 0
		.amdhsa_exception_fp_denorm_src 0
		.amdhsa_exception_fp_ieee_div_zero 0
		.amdhsa_exception_fp_ieee_overflow 0
		.amdhsa_exception_fp_ieee_underflow 0
		.amdhsa_exception_fp_ieee_inexact 0
		.amdhsa_exception_int_div_zero 0
	.end_amdhsa_kernel
	.section	.text._Z39paged_attention_ll4mi_QKV_mfma16_kernelI14__hip_bfloat16hLN4vllm18Fp8KVCacheDataTypeE1EhLi32ELi64ELi256ELb0ELi13EL8MFMAType0EEvPKT_PKT0_S9_ifPKiSB_SB_iPKfiiiPfSE_PS4_PT2_iSD_SD_,"axG",@progbits,_Z39paged_attention_ll4mi_QKV_mfma16_kernelI14__hip_bfloat16hLN4vllm18Fp8KVCacheDataTypeE1EhLi32ELi64ELi256ELb0ELi13EL8MFMAType0EEvPKT_PKT0_S9_ifPKiSB_SB_iPKfiiiPfSE_PS4_PT2_iSD_SD_,comdat
.Lfunc_end1754:
	.size	_Z39paged_attention_ll4mi_QKV_mfma16_kernelI14__hip_bfloat16hLN4vllm18Fp8KVCacheDataTypeE1EhLi32ELi64ELi256ELb0ELi13EL8MFMAType0EEvPKT_PKT0_S9_ifPKiSB_SB_iPKfiiiPfSE_PS4_PT2_iSD_SD_, .Lfunc_end1754-_Z39paged_attention_ll4mi_QKV_mfma16_kernelI14__hip_bfloat16hLN4vllm18Fp8KVCacheDataTypeE1EhLi32ELi64ELi256ELb0ELi13EL8MFMAType0EEvPKT_PKT0_S9_ifPKiSB_SB_iPKfiiiPfSE_PS4_PT2_iSD_SD_
                                        ; -- End function
	.section	.AMDGPU.csdata,"",@progbits
; Kernel info:
; codeLenInByte = 8972
; NumSgprs: 44
; NumVgprs: 124
; ScratchSize: 0
; MemoryBound: 0
; FloatMode: 240
; IeeeMode: 1
; LDSByteSize: 17472 bytes/workgroup (compile time only)
; SGPRBlocks: 5
; VGPRBlocks: 15
; NumSGPRsForWavesPerEU: 44
; NumVGPRsForWavesPerEU: 124
; Occupancy: 10
; WaveLimiterHint : 1
; COMPUTE_PGM_RSRC2:SCRATCH_EN: 0
; COMPUTE_PGM_RSRC2:USER_SGPR: 13
; COMPUTE_PGM_RSRC2:TRAP_HANDLER: 0
; COMPUTE_PGM_RSRC2:TGID_X_EN: 1
; COMPUTE_PGM_RSRC2:TGID_Y_EN: 1
; COMPUTE_PGM_RSRC2:TGID_Z_EN: 1
; COMPUTE_PGM_RSRC2:TIDIG_COMP_CNT: 0
	.section	.text._Z39paged_attention_ll4mi_QKV_mfma16_kernelI14__hip_bfloat16hLN4vllm18Fp8KVCacheDataTypeE1EhLi32ELi64ELi256ELb0ELi14EL8MFMAType0EEvPKT_PKT0_S9_ifPKiSB_SB_iPKfiiiPfSE_PS4_PT2_iSD_SD_,"axG",@progbits,_Z39paged_attention_ll4mi_QKV_mfma16_kernelI14__hip_bfloat16hLN4vllm18Fp8KVCacheDataTypeE1EhLi32ELi64ELi256ELb0ELi14EL8MFMAType0EEvPKT_PKT0_S9_ifPKiSB_SB_iPKfiiiPfSE_PS4_PT2_iSD_SD_,comdat
	.protected	_Z39paged_attention_ll4mi_QKV_mfma16_kernelI14__hip_bfloat16hLN4vllm18Fp8KVCacheDataTypeE1EhLi32ELi64ELi256ELb0ELi14EL8MFMAType0EEvPKT_PKT0_S9_ifPKiSB_SB_iPKfiiiPfSE_PS4_PT2_iSD_SD_ ; -- Begin function _Z39paged_attention_ll4mi_QKV_mfma16_kernelI14__hip_bfloat16hLN4vllm18Fp8KVCacheDataTypeE1EhLi32ELi64ELi256ELb0ELi14EL8MFMAType0EEvPKT_PKT0_S9_ifPKiSB_SB_iPKfiiiPfSE_PS4_PT2_iSD_SD_
	.globl	_Z39paged_attention_ll4mi_QKV_mfma16_kernelI14__hip_bfloat16hLN4vllm18Fp8KVCacheDataTypeE1EhLi32ELi64ELi256ELb0ELi14EL8MFMAType0EEvPKT_PKT0_S9_ifPKiSB_SB_iPKfiiiPfSE_PS4_PT2_iSD_SD_
	.p2align	8
	.type	_Z39paged_attention_ll4mi_QKV_mfma16_kernelI14__hip_bfloat16hLN4vllm18Fp8KVCacheDataTypeE1EhLi32ELi64ELi256ELb0ELi14EL8MFMAType0EEvPKT_PKT0_S9_ifPKiSB_SB_iPKfiiiPfSE_PS4_PT2_iSD_SD_,@function
_Z39paged_attention_ll4mi_QKV_mfma16_kernelI14__hip_bfloat16hLN4vllm18Fp8KVCacheDataTypeE1EhLi32ELi64ELi256ELb0ELi14EL8MFMAType0EEvPKT_PKT0_S9_ifPKiSB_SB_iPKfiiiPfSE_PS4_PT2_iSD_SD_: ; @_Z39paged_attention_ll4mi_QKV_mfma16_kernelI14__hip_bfloat16hLN4vllm18Fp8KVCacheDataTypeE1EhLi32ELi64ELi256ELb0ELi14EL8MFMAType0EEvPKT_PKT0_S9_ifPKiSB_SB_iPKfiiiPfSE_PS4_PT2_iSD_SD_
; %bb.0:
	s_load_b64 s[2:3], s[0:1], 0x30
	s_mov_b32 s30, s13
	s_waitcnt lgkmcnt(0)
	s_cmp_lg_u64 s[2:3], 0
	s_cselect_b32 s8, -1, 0
	s_ashr_i32 s31, s13, 31
	s_cmp_eq_u64 s[2:3], 0
	s_cbranch_scc1 .LBB1755_3
; %bb.1:
	s_lshl_b64 s[4:5], s[30:31], 2
	s_delay_alu instid0(SALU_CYCLE_1) | instskip(SKIP_4) | instid1(SALU_CYCLE_1)
	s_add_u32 s4, s2, s4
	s_addc_u32 s5, s3, s5
	s_load_b64 s[4:5], s[4:5], 0x0
	s_waitcnt lgkmcnt(0)
	s_sub_i32 s4, s5, s4
	s_cmp_eq_u32 s4, 1
	s_cselect_b32 s4, -1, 0
	s_delay_alu instid0(SALU_CYCLE_1)
	s_and_not1_b32 vcc_lo, exec_lo, s4
	s_cbranch_vccz .LBB1755_4
.LBB1755_2:
	s_endpgm
.LBB1755_3:
.LBB1755_4:
	s_load_b64 s[4:5], s[0:1], 0x28
	s_lshl_b64 s[6:7], s[30:31], 2
	s_waitcnt lgkmcnt(0)
	s_add_u32 s4, s4, s6
	s_addc_u32 s5, s5, s7
	s_lshl_b32 s12, s14, 8
	s_load_b32 s24, s[4:5], 0x0
	s_waitcnt lgkmcnt(0)
	s_cmp_ge_i32 s12, s24
	s_cbranch_scc1 .LBB1755_2
; %bb.5:
	s_clause 0x1
	s_load_b128 s[20:23], s[0:1], 0x8
	s_load_b64 s[4:5], s[0:1], 0x20
	s_and_not1_b32 vcc_lo, exec_lo, s8
	s_cbranch_vccnz .LBB1755_7
; %bb.6:
	s_add_u32 s2, s2, s6
	s_addc_u32 s3, s3, s7
	s_load_b32 s3, s[2:3], 0x0
	s_branch .LBB1755_8
.LBB1755_7:
	s_mov_b32 s3, s30
.LBB1755_8:
	s_load_b128 s[16:19], s[0:1], 0x48
	v_and_b32_e32 v65, 15, v0
	v_cmp_gt_u32_e32 vcc_lo, 0xe0, v0
	v_lshrrev_b32_e32 v66, 5, v0
	v_and_b32_e32 v67, 31, v0
	v_and_b32_e32 v75, 1, v0
	v_lshlrev_b32_e32 v1, 3, v65
	v_cmp_gt_u32_e64 s2, 8, v65
	v_bfe_u32 v74, v0, 4, 1
	s_mul_i32 s31, s15, 14
	s_delay_alu instid0(VALU_DEP_3) | instskip(NEXT) | instid1(VALU_DEP_3)
	v_lshlrev_b32_e32 v73, 1, v1
	s_and_b32 s7, vcc_lo, s2
	s_delay_alu instid0(SALU_CYCLE_1)
	s_and_saveexec_b32 s6, s7
	s_cbranch_execz .LBB1755_10
; %bb.9:
	s_load_b64 s[8:9], s[0:1], 0x0
	v_lshl_or_b32 v5, v66, 1, v74
	s_waitcnt lgkmcnt(0)
	s_mul_hi_i32 s11, s3, s16
	s_mul_i32 s10, s3, s16
	v_lshlrev_b32_e32 v6, 10, v65
	s_lshl_b64 s[10:11], s[10:11], 1
	v_add_lshl_u32 v1, v5, s31, 6
	v_lshlrev_b32_e32 v5, 6, v5
	v_lshlrev_b32_e32 v7, 10, v75
	v_and_b32_e32 v6, 0x3800, v6
	s_delay_alu instid0(VALU_DEP_4) | instskip(NEXT) | instid1(VALU_DEP_2)
	v_ashrrev_i32_e32 v2, 31, v1
	v_or3_b32 v5, v6, v7, v5
	s_delay_alu instid0(VALU_DEP_2) | instskip(SKIP_2) | instid1(VALU_DEP_1)
	v_lshlrev_b64 v[1:2], 1, v[1:2]
	s_add_u32 s3, s8, s10
	s_addc_u32 s7, s9, s11
	v_add_co_u32 v1, vcc_lo, s3, v1
	s_delay_alu instid0(VALU_DEP_2) | instskip(NEXT) | instid1(VALU_DEP_2)
	v_add_co_ci_u32_e32 v2, vcc_lo, s7, v2, vcc_lo
	v_add_co_u32 v1, vcc_lo, v1, v73
	s_delay_alu instid0(VALU_DEP_2)
	v_add_co_ci_u32_e32 v2, vcc_lo, 0, v2, vcc_lo
	global_load_b128 v[1:4], v[1:2], off
	s_waitcnt vmcnt(0)
	ds_store_b128 v5, v[1:4]
.LBB1755_10:
	s_or_b32 exec_lo, exec_lo, s6
	v_and_b32_e32 v1, 0xef, v0
	s_waitcnt lgkmcnt(0)
	s_add_i32 s3, s24, 31
	s_clause 0x1
	s_load_b32 s6, s[0:1], 0x38
	s_load_b32 s19, s[0:1], 0x1c
	s_ashr_i32 s7, s3, 31
	v_add_nc_u32_e32 v1, s12, v1
	s_lshr_b32 s7, s7, 27
	s_waitcnt lgkmcnt(0)
	s_add_i32 s3, s3, s7
	s_barrier
	v_ashrrev_i32_e32 v2, 31, v1
	v_or_b32_e32 v3, 16, v1
	s_ashr_i32 s3, s3, 5
	v_cmp_gt_i32_e32 vcc_lo, s24, v1
	s_add_i32 s3, s3, -1
	v_lshrrev_b32_e32 v2, 27, v2
	buffer_gl0_inv
	s_mul_i32 s27, s15, s18
	v_add_nc_u32_e32 v4, v1, v2
	s_mul_i32 s6, s30, s6
	s_delay_alu instid0(SALU_CYCLE_1) | instskip(NEXT) | instid1(VALU_DEP_1)
	s_ashr_i32 s7, s6, 31
	v_ashrrev_i32_e32 v4, 5, v4
	v_add_nc_u32_e32 v2, v3, v2
	s_lshl_b64 s[6:7], s[6:7], 2
	s_delay_alu instid0(SALU_CYCLE_1) | instskip(NEXT) | instid1(VALU_DEP_2)
	s_add_u32 s26, s4, s6
	v_cndmask_b32_e32 v1, s3, v4, vcc_lo
	s_delay_alu instid0(VALU_DEP_2)
	v_ashrrev_i32_e32 v2, 5, v2
	v_cmp_gt_i32_e32 vcc_lo, s24, v3
	s_addc_u32 s25, s5, s7
	s_ashr_i32 s28, s27, 31
	s_add_u32 s4, s20, s27
	s_addc_u32 s5, s21, s28
	v_cndmask_b32_e32 v3, s3, v2, vcc_lo
	v_ashrrev_i32_e32 v2, 31, v1
	s_lshl_b32 s6, s14, 3
	s_delay_alu instid0(SALU_CYCLE_1) | instskip(NEXT) | instid1(VALU_DEP_2)
	s_ashr_i32 s7, s6, 31
	v_ashrrev_i32_e32 v4, 31, v3
	s_delay_alu instid0(VALU_DEP_2) | instskip(SKIP_1) | instid1(SALU_CYCLE_1)
	v_lshlrev_b64 v[1:2], 2, v[1:2]
	s_lshl_b64 s[6:7], s[6:7], 2
	s_add_u32 s6, s26, s6
	s_delay_alu instid0(VALU_DEP_2) | instskip(SKIP_1) | instid1(VALU_DEP_2)
	v_lshlrev_b64 v[3:4], 2, v[3:4]
	s_addc_u32 s7, s25, s7
	v_add_co_u32 v1, vcc_lo, s26, v1
	v_add_co_ci_u32_e32 v2, vcc_lo, s25, v2, vcc_lo
	s_delay_alu instid0(VALU_DEP_3) | instskip(NEXT) | instid1(VALU_DEP_4)
	v_add_co_u32 v3, vcc_lo, s26, v3
	v_add_co_ci_u32_e32 v4, vcc_lo, s25, v4, vcc_lo
	s_clause 0x1
	global_load_b32 v5, v[1:2], off
	global_load_b32 v6, v[3:4], off
	s_or_b32 s8, s12, 32
	s_delay_alu instid0(SALU_CYCLE_1) | instskip(SKIP_2) | instid1(SALU_CYCLE_1)
	s_ashr_i32 s9, s8, 5
	s_cmp_lt_i32 s8, s24
	s_cselect_b32 s8, s9, s3
	s_ashr_i32 s9, s8, 31
	s_delay_alu instid0(SALU_CYCLE_1) | instskip(NEXT) | instid1(SALU_CYCLE_1)
	s_lshl_b64 s[8:9], s[8:9], 2
	s_add_u32 s8, s26, s8
	s_addc_u32 s9, s25, s9
	s_or_b32 s10, s12, 64
	s_delay_alu instid0(SALU_CYCLE_1) | instskip(SKIP_2) | instid1(SALU_CYCLE_1)
	s_ashr_i32 s11, s10, 5
	s_cmp_lt_i32 s10, s24
	s_cselect_b32 s10, s11, s3
	s_ashr_i32 s11, s10, 31
	s_delay_alu instid0(SALU_CYCLE_1) | instskip(NEXT) | instid1(SALU_CYCLE_1)
	s_lshl_b64 s[10:11], s[10:11], 2
	s_add_u32 s10, s26, s10
	s_addc_u32 s11, s25, s11
	s_or_b32 s13, s12, 0x60
	s_delay_alu instid0(SALU_CYCLE_1) | instskip(SKIP_2) | instid1(SALU_CYCLE_1)
	s_ashr_i32 s15, s13, 5
	s_cmp_lt_i32 s13, s24
	s_cselect_b32 s20, s15, s3
	s_ashr_i32 s21, s20, 31
	s_delay_alu instid0(SALU_CYCLE_1) | instskip(NEXT) | instid1(SALU_CYCLE_1)
	s_lshl_b64 s[20:21], s[20:21], 2
	s_add_u32 s34, s26, s20
	s_addc_u32 s35, s25, s21
	s_or_b32 s13, s12, 0x80
	s_delay_alu instid0(SALU_CYCLE_1) | instskip(SKIP_2) | instid1(SALU_CYCLE_1)
	s_ashr_i32 s15, s13, 5
	s_cmp_lt_i32 s13, s24
	s_cselect_b32 s20, s15, s3
	s_ashr_i32 s21, s20, 31
	s_delay_alu instid0(SALU_CYCLE_1) | instskip(NEXT) | instid1(SALU_CYCLE_1)
	s_lshl_b64 s[20:21], s[20:21], 2
	s_add_u32 s36, s26, s20
	s_addc_u32 s37, s25, s21
	s_or_b32 s13, s12, 0xa0
	s_delay_alu instid0(SALU_CYCLE_1) | instskip(SKIP_2) | instid1(SALU_CYCLE_1)
	s_ashr_i32 s15, s13, 5
	s_cmp_lt_i32 s13, s24
	s_cselect_b32 s20, s15, s3
	s_ashr_i32 s21, s20, 31
	s_delay_alu instid0(SALU_CYCLE_1) | instskip(NEXT) | instid1(SALU_CYCLE_1)
	s_lshl_b64 s[20:21], s[20:21], 2
	s_add_u32 s38, s26, s20
	s_addc_u32 s39, s25, s21
	s_clause 0x5
	s_load_b32 s21, s[6:7], 0x0
	s_load_b32 s13, s[8:9], 0x0
	;; [unrolled: 1-line block ×6, first 2 shown]
	s_or_b32 s8, s12, 0xc0
	s_delay_alu instid0(SALU_CYCLE_1) | instskip(SKIP_2) | instid1(SALU_CYCLE_1)
	s_ashr_i32 s9, s8, 5
	s_cmp_lt_i32 s8, s24
	s_cselect_b32 s34, s9, s3
	s_ashr_i32 s35, s34, 31
	s_delay_alu instid0(SALU_CYCLE_1) | instskip(NEXT) | instid1(SALU_CYCLE_1)
	s_lshl_b64 s[34:35], s[34:35], 2
	s_add_u32 s34, s26, s34
	s_addc_u32 s35, s25, s35
	s_or_b32 s29, s12, 0xe0
	s_delay_alu instid0(SALU_CYCLE_1)
	s_ashr_i32 s33, s29, 5
	s_cmp_lt_i32 s29, s24
	s_waitcnt vmcnt(1)
	v_mad_i64_i32 v[1:2], null, v5, s17, s[4:5]
	s_waitcnt vmcnt(0)
	v_mad_i64_i32 v[3:4], null, v6, s17, s[4:5]
	s_mov_b32 s4, 0
	s_delay_alu instid0(SALU_CYCLE_1)
	s_mov_b32 s5, s4
	s_mov_b32 s6, s4
	s_mov_b32 s7, s4
	s_mov_b32 s8, s4
	s_mov_b32 s9, s4
	s_mov_b32 s10, s4
	s_mov_b32 s11, s4
	v_lshlrev_b32_e32 v5, 4, v65
	v_dual_mov_b32 v107, s11 :: v_dual_mov_b32 v102, s6
	v_mov_b32_e32 v100, s4
	v_mov_b32_e32 v106, s10
	s_delay_alu instid0(VALU_DEP_4)
	v_add_co_u32 v1, vcc_lo, v1, v5
	v_add_co_ci_u32_e32 v2, vcc_lo, 0, v2, vcc_lo
	v_add_co_u32 v3, vcc_lo, v3, v5
	v_add_co_ci_u32_e32 v4, vcc_lo, 0, v4, vcc_lo
	s_clause 0x7
	global_load_b128 v[49:52], v[1:2], off
	global_load_b128 v[53:56], v[1:2], off offset:512
	global_load_b128 v[76:79], v[3:4], off offset:256
	;; [unrolled: 1-line block ×7, first 2 shown]
	v_add_nc_u32_e32 v1, -14, v65
	v_cmp_gt_u32_e32 vcc_lo, 14, v65
	v_dual_mov_b32 v104, s8 :: v_dual_mov_b32 v103, s7
	v_dual_mov_b32 v101, s5 :: v_dual_lshlrev_b32 v2, 5, v65
	s_delay_alu instid0(VALU_DEP_4)
	v_cndmask_b32_e32 v1, v1, v65, vcc_lo
	v_mov_b32_e32 v105, s9
	s_cselect_b32 s4, s33, s3
	s_load_b32 s3, s[34:35], 0x0
	s_ashr_i32 s5, s4, 31
	v_lshlrev_b32_e32 v70, 6, v1
	s_lshl_b64 s[4:5], s[4:5], 2
	v_lshl_or_b32 v2, v66, 9, v2
	s_add_u32 s4, s26, s4
	s_addc_u32 s5, s25, s5
	ds_load_b128 v[108:111], v70
	ds_load_b128 v[112:115], v70 offset:1024
	s_load_b32 s4, s[4:5], 0x0
	s_add_u32 s6, s22, s27
	s_addc_u32 s7, s23, s28
	v_add_co_u32 v9, s6, s6, v2
	s_delay_alu instid0(VALU_DEP_1) | instskip(SKIP_1) | instid1(VALU_DEP_1)
	v_add_co_ci_u32_e64 v10, null, s7, 0, s6
	s_waitcnt lgkmcnt(0)
	v_mad_i64_i32 v[1:2], null, s21, s17, v[9:10]
	v_mad_i64_i32 v[3:4], null, s13, s17, v[9:10]
	;; [unrolled: 1-line block ×7, first 2 shown]
	s_clause 0x9
	global_load_b128 v[57:60], v[1:2], off
	global_load_b128 v[61:64], v[1:2], off offset:16
	global_load_b128 v[41:44], v[3:4], off
	global_load_b128 v[45:48], v[3:4], off offset:16
	;; [unrolled: 2-line block ×5, first 2 shown]
	v_mad_i64_i32 v[68:69], null, s4, s17, v[9:10]
	s_clause 0x3
	global_load_b128 v[9:12], v[13:14], off
	global_load_b128 v[13:16], v[13:14], off offset:16
	global_load_b128 v[17:20], v[21:22], off
	global_load_b128 v[21:24], v[21:22], off offset:16
	s_waitcnt vmcnt(20)
	v_wmma_f32_16x16x16_bf16 v[116:123], v[49:56], v[108:115], v[100:107]
	s_clause 0x1
	global_load_b128 v[49:52], v[68:69], off
	global_load_b128 v[53:56], v[68:69], off offset:16
	v_and_b32_e32 v68, 0xe0, v0
	v_mbcnt_lo_u32_b32 v69, -1, 0
	s_delay_alu instid0(VALU_DEP_2)
	v_add_nc_u32_e32 v68, s12, v68
	s_waitcnt vmcnt(20)
	v_wmma_f32_16x16x16_bf16 v[100:107], v[76:83], v[108:115], v[100:107]
	ds_load_b128 v[76:79], v70 offset:2048
	ds_load_b128 v[80:83], v70 offset:3072
	v_xor_b32_e32 v70, 16, v69
	s_waitcnt vmcnt(0) lgkmcnt(0)
	v_or_b32_e32 v68, v68, v74
	s_barrier
	buffer_gl0_inv
	v_cmp_gt_i32_e32 vcc_lo, 32, v70
	v_or_b32_e32 v71, 4, v68
	v_or_b32_e32 v72, 6, v68
	v_cmp_gt_i32_e64 s3, s24, v68
	v_or_b32_e32 v108, 8, v68
	v_or_b32_e32 v109, 10, v68
	v_cmp_gt_i32_e64 s4, s24, v71
	v_cmp_gt_i32_e64 s5, s24, v72
	s_delay_alu instid0(VALU_DEP_4) | instskip(NEXT) | instid1(VALU_DEP_4)
	v_cmp_gt_i32_e64 s6, s24, v108
	v_cmp_gt_i32_e64 s7, s24, v109
	v_wmma_f32_16x16x16_bf16 v[116:123], v[84:91], v[76:83], v[116:123]
	v_cndmask_b32_e32 v69, v69, v70, vcc_lo
	v_or_b32_e32 v70, 2, v68
	v_wmma_f32_16x16x16_bf16 v[100:107], v[92:99], v[76:83], v[100:107]
	v_or_b32_e32 v89, 22, v68
	v_dual_mul_f32 v80, s19, v121 :: v_dual_mul_f32 v81, s19, v120
	v_dual_mul_f32 v92, s19, v117 :: v_dual_mul_f32 v93, s19, v116
	s_delay_alu instid0(VALU_DEP_4)
	v_mul_f32_e32 v96, s19, v105
	v_cmp_gt_i32_e32 vcc_lo, s24, v70
	v_dual_mul_f32 v79, s19, v122 :: v_dual_mul_f32 v82, s19, v119
	v_dual_mul_f32 v83, s19, v118 :: v_dual_mul_f32 v94, s19, v107
	v_cndmask_b32_e64 v93, 0xff7fffff, v93, s3
	v_cndmask_b32_e32 v92, 0xff7fffff, v92, vcc_lo
	v_or_b32_e32 v84, 12, v68
	v_or_b32_e32 v85, 14, v68
	v_cndmask_b32_e64 v71, 0xff7fffff, v83, s4
	v_cndmask_b32_e64 v72, 0xff7fffff, v82, s5
	v_cmp_gt_i32_e64 s13, s24, v89
	v_lshlrev_b32_e32 v89, 2, v69
	v_max3_f32 v82, v93, 0xff7fffff, v92
	v_or_b32_e32 v86, 16, v68
	v_or_b32_e32 v87, 18, v68
	v_mul_f32_e32 v78, s19, v123
	v_cndmask_b32_e64 v81, 0xff7fffff, v81, s6
	v_cndmask_b32_e64 v80, 0xff7fffff, v80, s7
	v_max3_f32 v71, v82, v71, v72
	v_cmp_gt_i32_e64 s8, s24, v84
	v_cmp_gt_i32_e64 s9, s24, v85
	v_or_b32_e32 v88, 20, v68
	v_or_b32_e32 v90, 24, v68
	;; [unrolled: 1-line block ×5, first 2 shown]
	v_dual_mul_f32 v97, s19, v104 :: v_dual_mul_f32 v70, s19, v101
	v_dual_mul_f32 v99, s19, v102 :: v_dual_mul_f32 v68, s19, v100
	v_cndmask_b32_e64 v72, 0xff7fffff, v79, s8
	v_cndmask_b32_e64 v78, 0xff7fffff, v78, s9
	v_max3_f32 v71, v71, v81, v80
	v_cmp_gt_i32_e64 s10, s24, v86
	v_cmp_gt_i32_e64 s11, s24, v87
	v_dual_mul_f32 v95, s19, v106 :: v_dual_mul_f32 v98, s19, v103
	s_delay_alu instid0(VALU_DEP_4) | instskip(NEXT) | instid1(VALU_DEP_4)
	v_max3_f32 v71, v71, v72, v78
	v_cndmask_b32_e64 v68, 0xff7fffff, v68, s10
	s_delay_alu instid0(VALU_DEP_4)
	v_cndmask_b32_e64 v70, 0xff7fffff, v70, s11
	v_cmp_gt_i32_e64 s12, s24, v88
	v_cndmask_b32_e64 v78, 0xff7fffff, v98, s13
	v_cmp_gt_i32_e64 s15, s24, v90
	v_cmp_gt_i32_e64 s16, s24, v91
	v_max3_f32 v68, v71, v68, v70
	v_cndmask_b32_e64 v72, 0xff7fffff, v99, s12
	v_cmp_gt_i32_e64 s17, s24, v76
	v_cndmask_b32_e64 v70, 0xff7fffff, v97, s15
	v_cndmask_b32_e64 v71, 0xff7fffff, v96, s16
	v_cmp_gt_i32_e64 s18, s24, v77
	v_max3_f32 v68, v68, v72, v78
	v_cndmask_b32_e64 v72, 0xff7fffff, v95, s17
	s_delay_alu instid0(VALU_DEP_3) | instskip(NEXT) | instid1(VALU_DEP_3)
	v_cndmask_b32_e64 v76, 0xff7fffff, v94, s18
	v_max3_f32 v68, v68, v70, v71
	s_delay_alu instid0(VALU_DEP_1) | instskip(SKIP_3) | instid1(VALU_DEP_1)
	v_max3_f32 v68, v68, v72, v76
	ds_bpermute_b32 v69, v89, v68
	s_waitcnt lgkmcnt(0)
	v_max_f32_e32 v69, v69, v69
	v_max_f32_e32 v68, v68, v69
	s_delay_alu instid0(VALU_DEP_1) | instskip(NEXT) | instid1(VALU_DEP_1)
	v_fma_f32 v71, s19, v118, -v68
	v_mul_f32_e32 v71, 0x3fb8aa3b, v71
	v_fma_f32 v70, s19, v117, -v68
	v_fma_f32 v69, s19, v116, -v68
	;; [unrolled: 1-line block ×5, first 2 shown]
	s_delay_alu instid0(VALU_DEP_4) | instskip(SKIP_1) | instid1(VALU_DEP_3)
	v_dual_mul_f32 v70, 0x3fb8aa3b, v70 :: v_dual_mul_f32 v69, 0x3fb8aa3b, v69
	v_exp_f32_e32 v71, v71
	v_mul_f32_e32 v72, 0x3fb8aa3b, v72
	v_fma_f32 v81, s19, v105, -v68
	s_delay_alu instid0(VALU_DEP_3)
	v_exp_f32_e32 v70, v70
	v_mul_f32_e32 v77, 0x3fb8aa3b, v76
	v_exp_f32_e32 v69, v69
	v_exp_f32_e32 v72, v72
	v_mul_f32_e32 v81, 0x3fb8aa3b, v81
	v_cndmask_b32_e64 v83, 0, v71, s4
	v_fma_f32 v71, s19, v123, -v68
	s_delay_alu instid0(VALU_DEP_3) | instskip(SKIP_4) | instid1(TRANS32_DEP_3)
	v_exp_f32_e32 v81, v81
	v_cndmask_b32_e32 v76, 0, v70, vcc_lo
	v_exp_f32_e32 v77, v77
	v_cndmask_b32_e64 v80, 0, v69, s3
	v_fma_f32 v69, s19, v121, -v68
	v_cndmask_b32_e64 v85, 0, v72, s5
	v_mul_f32_e32 v71, 0x3fb8aa3b, v71
	v_fma_f32 v72, s19, v100, -v68
	s_delay_alu instid0(VALU_DEP_4) | instskip(SKIP_1) | instid1(VALU_DEP_3)
	v_dual_add_f32 v70, 0, v80 :: v_dual_mul_f32 v69, 0x3fb8aa3b, v69
	s_mov_b32 s3, exec_lo
	v_exp_f32_e32 v71, v71
	s_delay_alu instid0(TRANS32_DEP_2) | instskip(SKIP_4) | instid1(VALU_DEP_3)
	v_cndmask_b32_e64 v86, 0, v77, s6
	v_fma_f32 v77, s19, v101, -v68
	v_mul_f32_e32 v78, 0x3fb8aa3b, v78
	v_add_f32_e32 v70, v70, v76
	v_exp_f32_e32 v69, v69
	v_mul_f32_e32 v77, 0x3fb8aa3b, v77
	s_delay_alu instid0(VALU_DEP_3) | instskip(NEXT) | instid1(TRANS32_DEP_3)
	v_exp_f32_e32 v78, v78
	v_cndmask_b32_e64 v88, 0, v71, s9
	v_fma_f32 v71, s19, v104, -v68
	s_delay_alu instid0(VALU_DEP_3) | instskip(NEXT) | instid1(TRANS32_DEP_3)
	v_exp_f32_e32 v77, v77
	v_cndmask_b32_e64 v87, 0, v69, s7
	s_delay_alu instid0(VALU_DEP_2)
	v_mul_f32_e32 v71, 0x3fb8aa3b, v71
	s_waitcnt_depctr 0xfff
	v_cndmask_b32_e64 v84, 0, v78, s8
	v_add_f32_e32 v70, v70, v83
	v_fma_f32 v78, s19, v103, -v68
	v_exp_f32_e32 v82, v71
	s_delay_alu instid0(VALU_DEP_2) | instskip(SKIP_1) | instid1(VALU_DEP_3)
	v_add_f32_e32 v70, v70, v85
	v_mul_f32_e32 v72, 0x3fb8aa3b, v72
	v_mul_f32_e32 v78, 0x3fb8aa3b, v78
	s_delay_alu instid0(VALU_DEP_3) | instskip(SKIP_1) | instid1(VALU_DEP_4)
	v_add_f32_e32 v69, v70, v86
	v_fma_f32 v70, s19, v102, -v68
	v_exp_f32_e32 v72, v72
	s_delay_alu instid0(VALU_DEP_3) | instskip(NEXT) | instid1(VALU_DEP_1)
	v_exp_f32_e32 v78, v78
	v_dual_add_f32 v69, v69, v87 :: v_dual_mul_f32 v70, 0x3fb8aa3b, v70
	s_delay_alu instid0(VALU_DEP_1) | instskip(NEXT) | instid1(VALU_DEP_2)
	v_add_f32_e32 v69, v69, v84
	v_exp_f32_e32 v79, v70
	s_delay_alu instid0(TRANS32_DEP_3) | instskip(NEXT) | instid1(VALU_DEP_2)
	v_cndmask_b32_e64 v70, 0, v72, s10
	v_add_f32_e32 v72, v69, v88
	v_cndmask_b32_e64 v69, 0, v77, s11
	v_fma_f32 v77, s19, v106, -v68
	s_waitcnt_depctr 0xfff
	v_cndmask_b32_e64 v71, 0, v79, s12
	v_dual_mul_f32 v77, 0x3fb8aa3b, v77 :: v_dual_add_f32 v72, v72, v70
	s_delay_alu instid0(VALU_DEP_1) | instskip(NEXT) | instid1(VALU_DEP_1)
	v_exp_f32_e32 v90, v77
	v_add_f32_e32 v79, v72, v69
	v_cndmask_b32_e64 v72, 0, v78, s13
	v_cndmask_b32_e64 v77, 0, v82, s15
	s_delay_alu instid0(VALU_DEP_3) | instskip(SKIP_1) | instid1(VALU_DEP_1)
	v_add_f32_e32 v78, v79, v71
	v_fma_f32 v79, s19, v107, -v68
	v_dual_add_f32 v82, v78, v72 :: v_dual_mul_f32 v79, 0x3fb8aa3b, v79
	v_cndmask_b32_e64 v78, 0, v81, s16
	s_delay_alu instid0(VALU_DEP_2) | instskip(NEXT) | instid1(VALU_DEP_3)
	v_add_f32_e32 v81, v82, v77
	v_exp_f32_e32 v82, v79
	v_cndmask_b32_e64 v79, 0, v90, s17
	s_delay_alu instid0(VALU_DEP_2) | instskip(NEXT) | instid1(VALU_DEP_1)
	v_add_f32_e32 v81, v81, v78
	v_add_f32_e32 v90, v81, v79
	s_waitcnt_depctr 0xfff
	v_cndmask_b32_e64 v81, 0, v82, s18
	s_delay_alu instid0(VALU_DEP_1)
	v_add_f32_e32 v82, v90, v81
	ds_bpermute_b32 v89, v89, v82
	v_cmpx_gt_u32_e32 16, v67
	s_cbranch_execz .LBB1755_12
; %bb.11:
	v_mul_u32_u24_e32 v67, 0x44, v66
	s_delay_alu instid0(VALU_DEP_1) | instskip(SKIP_1) | instid1(VALU_DEP_1)
	v_lshl_add_u32 v67, v65, 2, v67
	s_waitcnt lgkmcnt(0)
	v_dual_add_f32 v82, v82, v89 :: v_dual_add_nc_u32 v67, 0x4000, v67
	ds_store_2addr_b32 v67, v68, v82 offset1:136
.LBB1755_12:
	s_or_b32 exec_lo, exec_lo, s3
	v_lshlrev_b32_e32 v67, 2, v65
	s_waitcnt lgkmcnt(0)
	s_barrier
	buffer_gl0_inv
	v_cmp_eq_u32_e32 vcc_lo, 1, v66
	v_add_nc_u32_e32 v82, 0x4000, v67
	v_cmp_eq_u32_e64 s3, 2, v66
	v_cmp_eq_u32_e64 s5, 7, v66
	ds_load_2addr_b32 v[89:90], v82 offset1:17
	ds_load_2addr_b32 v[91:92], v82 offset0:34 offset1:51
	ds_load_2addr_b32 v[93:94], v82 offset0:68 offset1:85
	;; [unrolled: 1-line block ×4, first 2 shown]
	s_waitcnt lgkmcnt(4)
	v_max3_f32 v67, v89, 0xff7fffff, v90
	s_waitcnt lgkmcnt(3)
	s_delay_alu instid0(VALU_DEP_1) | instskip(SKIP_1) | instid1(VALU_DEP_1)
	v_max3_f32 v67, v67, v91, v92
	s_waitcnt lgkmcnt(2)
	v_max3_f32 v67, v67, v93, v94
	s_waitcnt lgkmcnt(1)
	s_delay_alu instid0(VALU_DEP_1) | instskip(NEXT) | instid1(VALU_DEP_1)
	v_max3_f32 v67, v67, v95, v96
	v_sub_f32_e32 v93, v93, v67
	s_delay_alu instid0(VALU_DEP_1) | instskip(NEXT) | instid1(VALU_DEP_1)
	v_dual_sub_f32 v68, v89, v67 :: v_dual_mul_f32 v103, 0x3fb8aa3b, v93
	v_mul_f32_e32 v68, 0x3fb8aa3b, v68
	s_delay_alu instid0(VALU_DEP_1)
	v_exp_f32_e32 v100, v68
	v_sub_f32_e32 v68, v92, v67
	v_sub_f32_e32 v99, v90, v67
	ds_load_2addr_b32 v[89:90], v82 offset0:170 offset1:187
	v_dual_mul_f32 v102, 0x3fb8aa3b, v68 :: v_dual_mul_f32 v99, 0x3fb8aa3b, v99
	s_waitcnt lgkmcnt(1)
	v_fma_f32 v68, v100, v97, 0
	s_delay_alu instid0(VALU_DEP_2) | instskip(NEXT) | instid1(VALU_DEP_2)
	v_exp_f32_e32 v102, v102
	v_exp_f32_e32 v99, v99
	s_waitcnt_depctr 0xfff
	v_fmac_f32_e32 v68, v99, v98
	v_sub_f32_e32 v91, v91, v67
	s_delay_alu instid0(VALU_DEP_1)
	v_mul_f32_e32 v101, 0x3fb8aa3b, v91
	ds_load_2addr_b32 v[91:92], v82 offset0:204 offset1:221
	v_sub_f32_e32 v97, v94, v67
	ds_load_2addr_b32 v[93:94], v82 offset0:238 offset1:255
	s_waitcnt lgkmcnt(0)
	v_exp_f32_e32 v101, v101
	s_barrier
	buffer_gl0_inv
	v_dual_fmac_f32 v68, v101, v89 :: v_dual_sub_f32 v89, v96, v67
	v_dual_sub_f32 v82, v95, v67 :: v_dual_mul_f32 v95, 0x3fb8aa3b, v97
	v_exp_f32_e32 v97, v103
	s_delay_alu instid0(VALU_DEP_2) | instskip(NEXT) | instid1(VALU_DEP_2)
	v_dual_fmac_f32 v68, v102, v90 :: v_dual_mul_f32 v89, 0x3fb8aa3b, v89
	v_mul_f32_e32 v82, 0x3fb8aa3b, v82
	s_delay_alu instid0(VALU_DEP_3) | instskip(NEXT) | instid1(VALU_DEP_2)
	v_exp_f32_e32 v95, v95
	v_exp_f32_e32 v89, v89
	s_delay_alu instid0(VALU_DEP_1)
	v_exp_f32_e32 v82, v82
	v_fmac_f32_e32 v68, v97, v91
	s_delay_alu instid0(TRANS32_DEP_3) | instid1(VALU_DEP_1)
	v_fmac_f32_e32 v68, v95, v92
	s_waitcnt_depctr 0xfff
	v_fmac_f32_e32 v68, v82, v93
	s_delay_alu instid0(VALU_DEP_1) | instskip(NEXT) | instid1(VALU_DEP_1)
	v_fmac_f32_e32 v68, v89, v94
	v_add_f32_e32 v90, 0x358637bd, v68
	s_delay_alu instid0(VALU_DEP_1) | instskip(NEXT) | instid1(VALU_DEP_1)
	v_div_scale_f32 v91, null, v90, v90, 1.0
	v_rcp_f32_e32 v92, v91
	s_waitcnt_depctr 0xfff
	v_fma_f32 v93, -v91, v92, 1.0
	s_delay_alu instid0(VALU_DEP_1) | instskip(SKIP_1) | instid1(VALU_DEP_2)
	v_dual_fmac_f32 v92, v93, v92 :: v_dual_cndmask_b32 v93, v100, v99
	v_cmp_eq_u32_e32 vcc_lo, 3, v66
	v_cndmask_b32_e64 v93, v93, v101, s3
	v_cmp_eq_u32_e64 s3, 4, v66
	s_delay_alu instid0(VALU_DEP_2) | instskip(SKIP_1) | instid1(VALU_DEP_2)
	v_cndmask_b32_e32 v93, v93, v102, vcc_lo
	v_cmp_eq_u32_e32 vcc_lo, 5, v66
	v_cndmask_b32_e64 v93, v93, v97, s3
	v_cmp_eq_u32_e64 s3, 6, v66
	s_delay_alu instid0(VALU_DEP_2) | instskip(SKIP_1) | instid1(VALU_DEP_1)
	v_cndmask_b32_e32 v93, v93, v95, vcc_lo
	v_div_scale_f32 v94, s4, 1.0, v90, 1.0
	s_mov_b32 vcc_lo, s4
	s_delay_alu instid0(VALU_DEP_2) | instskip(NEXT) | instid1(VALU_DEP_2)
	v_cndmask_b32_e64 v82, v93, v82, s3
	v_mul_f32_e32 v96, v94, v92
	s_mov_b32 s3, exec_lo
	s_delay_alu instid0(VALU_DEP_2) | instskip(NEXT) | instid1(VALU_DEP_2)
	v_cndmask_b32_e64 v82, v82, v89, s5
	v_fma_f32 v98, -v91, v96, v94
	s_delay_alu instid0(VALU_DEP_1) | instskip(NEXT) | instid1(VALU_DEP_1)
	v_fmac_f32_e32 v96, v98, v92
	v_fma_f32 v91, -v91, v96, v94
	s_delay_alu instid0(VALU_DEP_1) | instskip(NEXT) | instid1(VALU_DEP_1)
	v_div_fmas_f32 v91, v91, v92, v96
	v_div_fixup_f32 v90, v91, v90, 1.0
	s_delay_alu instid0(VALU_DEP_1) | instskip(NEXT) | instid1(VALU_DEP_1)
	v_mul_f32_e32 v82, v82, v90
	v_mul_f32_e32 v87, v82, v87
	;; [unrolled: 1-line block ×7, first 2 shown]
	v_dual_mul_f32 v86, v82, v83 :: v_dual_and_b32 v91, 0x7f800000, v90
	v_mul_f32_e32 v85, v82, v76
                                        ; implicit-def: $vgpr76
	s_delay_alu instid0(VALU_DEP_2)
	v_cmpx_ne_u32_e32 0x7f800000, v91
	s_xor_b32 s3, exec_lo, s3
; %bb.13:
	v_bfe_u32 v76, v90, 16, 1
	s_delay_alu instid0(VALU_DEP_1)
	v_add3_u32 v76, v90, v76, 0x7fff
                                        ; implicit-def: $vgpr90
; %bb.14:
	s_and_not1_saveexec_b32 s3, s3
; %bb.15:
	v_and_b32_e32 v76, 0xffff, v90
	v_or_b32_e32 v83, 0x10000, v90
	s_delay_alu instid0(VALU_DEP_2) | instskip(NEXT) | instid1(VALU_DEP_2)
	v_cmp_eq_u32_e32 vcc_lo, 0, v76
	v_cndmask_b32_e32 v76, v83, v90, vcc_lo
; %bb.16:
	s_or_b32 exec_lo, exec_lo, s3
	v_and_b32_e32 v83, 0x7f800000, v85
	s_delay_alu instid0(VALU_DEP_1) | instskip(SKIP_1) | instid1(SALU_CYCLE_1)
	v_cmp_ne_u32_e32 vcc_lo, 0x7f800000, v83
                                        ; implicit-def: $vgpr83
	s_and_saveexec_b32 s3, vcc_lo
	s_xor_b32 s3, exec_lo, s3
; %bb.17:
	v_bfe_u32 v83, v85, 16, 1
	s_delay_alu instid0(VALU_DEP_1)
	v_add3_u32 v83, v85, v83, 0x7fff
                                        ; implicit-def: $vgpr85
; %bb.18:
	s_and_not1_saveexec_b32 s3, s3
; %bb.19:
	v_and_b32_e32 v83, 0xffff, v85
	v_or_b32_e32 v90, 0x10000, v85
	s_delay_alu instid0(VALU_DEP_2) | instskip(NEXT) | instid1(VALU_DEP_2)
	v_cmp_eq_u32_e32 vcc_lo, 0, v83
	v_cndmask_b32_e32 v83, v90, v85, vcc_lo
; %bb.20:
	s_or_b32 exec_lo, exec_lo, s3
	v_and_b32_e32 v85, 0x7f800000, v86
	s_delay_alu instid0(VALU_DEP_1) | instskip(SKIP_1) | instid1(SALU_CYCLE_1)
	v_cmp_ne_u32_e32 vcc_lo, 0x7f800000, v85
                                        ; implicit-def: $vgpr85
	s_and_saveexec_b32 s3, vcc_lo
	s_xor_b32 s3, exec_lo, s3
; %bb.21:
	v_bfe_u32 v85, v86, 16, 1
	s_delay_alu instid0(VALU_DEP_1)
	v_add3_u32 v85, v86, v85, 0x7fff
                                        ; implicit-def: $vgpr86
; %bb.22:
	s_and_not1_saveexec_b32 s3, s3
; %bb.23:
	v_and_b32_e32 v85, 0xffff, v86
	v_or_b32_e32 v90, 0x10000, v86
	s_delay_alu instid0(VALU_DEP_2) | instskip(NEXT) | instid1(VALU_DEP_2)
	v_cmp_eq_u32_e32 vcc_lo, 0, v85
	v_cndmask_b32_e32 v85, v90, v86, vcc_lo
; %bb.24:
	s_or_b32 exec_lo, exec_lo, s3
	v_and_b32_e32 v86, 0x7f800000, v89
	s_delay_alu instid0(VALU_DEP_1) | instskip(SKIP_1) | instid1(SALU_CYCLE_1)
	v_cmp_ne_u32_e32 vcc_lo, 0x7f800000, v86
                                        ; implicit-def: $vgpr86
	s_and_saveexec_b32 s3, vcc_lo
	s_xor_b32 s3, exec_lo, s3
; %bb.25:
	v_bfe_u32 v86, v89, 16, 1
	s_delay_alu instid0(VALU_DEP_1)
	v_add3_u32 v86, v89, v86, 0x7fff
                                        ; implicit-def: $vgpr89
; %bb.26:
	s_and_not1_saveexec_b32 s3, s3
; %bb.27:
	v_and_b32_e32 v86, 0xffff, v89
	v_or_b32_e32 v90, 0x10000, v89
	s_delay_alu instid0(VALU_DEP_2) | instskip(NEXT) | instid1(VALU_DEP_2)
	v_cmp_eq_u32_e32 vcc_lo, 0, v86
	v_cndmask_b32_e32 v86, v90, v89, vcc_lo
; %bb.28:
	s_or_b32 exec_lo, exec_lo, s3
	v_and_b32_e32 v89, 0x7f800000, v88
	s_delay_alu instid0(VALU_DEP_1) | instskip(SKIP_1) | instid1(SALU_CYCLE_1)
	v_cmp_ne_u32_e32 vcc_lo, 0x7f800000, v89
                                        ; implicit-def: $vgpr89
	s_and_saveexec_b32 s3, vcc_lo
	s_xor_b32 s3, exec_lo, s3
; %bb.29:
	v_bfe_u32 v89, v88, 16, 1
	s_delay_alu instid0(VALU_DEP_1)
	v_add3_u32 v89, v88, v89, 0x7fff
                                        ; implicit-def: $vgpr88
; %bb.30:
	s_and_not1_saveexec_b32 s3, s3
; %bb.31:
	v_and_b32_e32 v89, 0xffff, v88
	v_or_b32_e32 v90, 0x10000, v88
	s_delay_alu instid0(VALU_DEP_2) | instskip(NEXT) | instid1(VALU_DEP_2)
	v_cmp_eq_u32_e32 vcc_lo, 0, v89
	v_cndmask_b32_e32 v89, v90, v88, vcc_lo
; %bb.32:
	s_or_b32 exec_lo, exec_lo, s3
	v_and_b32_e32 v88, 0x7f800000, v87
	s_delay_alu instid0(VALU_DEP_1) | instskip(SKIP_1) | instid1(SALU_CYCLE_1)
	v_cmp_ne_u32_e32 vcc_lo, 0x7f800000, v88
                                        ; implicit-def: $vgpr88
	s_and_saveexec_b32 s3, vcc_lo
	s_xor_b32 s3, exec_lo, s3
; %bb.33:
	v_bfe_u32 v88, v87, 16, 1
	s_delay_alu instid0(VALU_DEP_1)
	v_add3_u32 v88, v87, v88, 0x7fff
                                        ; implicit-def: $vgpr87
; %bb.34:
	s_and_not1_saveexec_b32 s3, s3
; %bb.35:
	v_and_b32_e32 v88, 0xffff, v87
	v_or_b32_e32 v90, 0x10000, v87
	s_delay_alu instid0(VALU_DEP_2) | instskip(NEXT) | instid1(VALU_DEP_2)
	v_cmp_eq_u32_e32 vcc_lo, 0, v88
	v_cndmask_b32_e32 v88, v90, v87, vcc_lo
; %bb.36:
	s_or_b32 exec_lo, exec_lo, s3
	v_and_b32_e32 v87, 0x7f800000, v84
	s_delay_alu instid0(VALU_DEP_1) | instskip(SKIP_1) | instid1(SALU_CYCLE_1)
	v_cmp_ne_u32_e32 vcc_lo, 0x7f800000, v87
                                        ; implicit-def: $vgpr87
	s_and_saveexec_b32 s3, vcc_lo
	s_xor_b32 s3, exec_lo, s3
; %bb.37:
	v_bfe_u32 v87, v84, 16, 1
	s_delay_alu instid0(VALU_DEP_1)
	v_add3_u32 v87, v84, v87, 0x7fff
                                        ; implicit-def: $vgpr84
; %bb.38:
	s_and_not1_saveexec_b32 s3, s3
; %bb.39:
	v_and_b32_e32 v87, 0xffff, v84
	v_or_b32_e32 v90, 0x10000, v84
	s_delay_alu instid0(VALU_DEP_2) | instskip(NEXT) | instid1(VALU_DEP_2)
	v_cmp_eq_u32_e32 vcc_lo, 0, v87
	v_cndmask_b32_e32 v87, v90, v84, vcc_lo
; %bb.40:
	s_or_b32 exec_lo, exec_lo, s3
	v_and_b32_e32 v84, 0x7f800000, v80
	s_delay_alu instid0(VALU_DEP_1) | instskip(SKIP_1) | instid1(SALU_CYCLE_1)
	v_cmp_ne_u32_e32 vcc_lo, 0x7f800000, v84
                                        ; implicit-def: $vgpr84
	s_and_saveexec_b32 s3, vcc_lo
	s_xor_b32 s3, exec_lo, s3
; %bb.41:
	v_bfe_u32 v84, v80, 16, 1
	s_delay_alu instid0(VALU_DEP_1)
	v_add3_u32 v84, v80, v84, 0x7fff
                                        ; implicit-def: $vgpr80
; %bb.42:
	s_and_not1_saveexec_b32 s3, s3
; %bb.43:
	v_and_b32_e32 v84, 0xffff, v80
	v_or_b32_e32 v90, 0x10000, v80
	s_delay_alu instid0(VALU_DEP_2) | instskip(NEXT) | instid1(VALU_DEP_2)
	v_cmp_eq_u32_e32 vcc_lo, 0, v84
	v_cndmask_b32_e32 v84, v90, v80, vcc_lo
; %bb.44:
	s_or_b32 exec_lo, exec_lo, s3
	s_load_b64 s[34:35], s[0:1], 0x94
	v_lshlrev_b32_e32 v91, 4, v74
	s_delay_alu instid0(VALU_DEP_2)
	v_perm_b32 v90, v84, v87, 0x7060302
	v_dual_mul_f32 v79, v82, v79 :: v_dual_lshlrev_b32 v80, 6, v65
	v_dual_mul_f32 v77, v82, v77 :: v_dual_lshlrev_b32 v92, 11, v66
	v_mul_f32_e32 v84, v82, v70
	v_perm_b32 v89, v88, v89, 0x7060302
	v_perm_b32 v88, v86, v85, 0x7060302
	;; [unrolled: 1-line block ×3, first 2 shown]
	v_mul_f32_e32 v70, v82, v81
	v_or3_b32 v76, v91, v92, v80
	v_dual_mul_f32 v78, v82, v78 :: v_dual_and_b32 v85, 0x7f800000, v84
	v_mul_f32_e32 v83, v82, v72
	v_mul_f32_e32 v81, v82, v71
	;; [unrolled: 1-line block ×3, first 2 shown]
	s_mov_b32 s3, exec_lo
	ds_store_b128 v76, v[87:90]
                                        ; implicit-def: $vgpr69
	v_cmpx_ne_u32_e32 0x7f800000, v85
	s_xor_b32 s3, exec_lo, s3
; %bb.45:
	v_bfe_u32 v69, v84, 16, 1
	s_delay_alu instid0(VALU_DEP_1)
	v_add3_u32 v69, v84, v69, 0x7fff
                                        ; implicit-def: $vgpr84
; %bb.46:
	s_and_not1_saveexec_b32 s3, s3
; %bb.47:
	v_and_b32_e32 v69, 0xffff, v84
	v_or_b32_e32 v71, 0x10000, v84
	s_delay_alu instid0(VALU_DEP_2) | instskip(NEXT) | instid1(VALU_DEP_2)
	v_cmp_eq_u32_e32 vcc_lo, 0, v69
	v_cndmask_b32_e32 v69, v71, v84, vcc_lo
; %bb.48:
	s_or_b32 exec_lo, exec_lo, s3
	v_and_b32_e32 v71, 0x7f800000, v72
	s_delay_alu instid0(VALU_DEP_1) | instskip(SKIP_1) | instid1(SALU_CYCLE_1)
	v_cmp_ne_u32_e32 vcc_lo, 0x7f800000, v71
                                        ; implicit-def: $vgpr71
	s_and_saveexec_b32 s3, vcc_lo
	s_xor_b32 s3, exec_lo, s3
; %bb.49:
	v_bfe_u32 v71, v72, 16, 1
	s_delay_alu instid0(VALU_DEP_1)
	v_add3_u32 v71, v72, v71, 0x7fff
                                        ; implicit-def: $vgpr72
; %bb.50:
	s_and_not1_saveexec_b32 s3, s3
; %bb.51:
	v_and_b32_e32 v71, 0xffff, v72
	v_or_b32_e32 v82, 0x10000, v72
	s_delay_alu instid0(VALU_DEP_2) | instskip(NEXT) | instid1(VALU_DEP_2)
	v_cmp_eq_u32_e32 vcc_lo, 0, v71
	v_cndmask_b32_e32 v71, v82, v72, vcc_lo
; %bb.52:
	s_or_b32 exec_lo, exec_lo, s3
	v_and_b32_e32 v72, 0x7f800000, v81
	s_delay_alu instid0(VALU_DEP_1) | instskip(SKIP_1) | instid1(SALU_CYCLE_1)
	v_cmp_ne_u32_e32 vcc_lo, 0x7f800000, v72
                                        ; implicit-def: $vgpr72
	s_and_saveexec_b32 s3, vcc_lo
	s_xor_b32 s3, exec_lo, s3
; %bb.53:
	v_bfe_u32 v72, v81, 16, 1
	s_delay_alu instid0(VALU_DEP_1)
	v_add3_u32 v72, v81, v72, 0x7fff
                                        ; implicit-def: $vgpr81
; %bb.54:
	s_and_not1_saveexec_b32 s3, s3
; %bb.55:
	v_and_b32_e32 v72, 0xffff, v81
	v_or_b32_e32 v82, 0x10000, v81
	s_delay_alu instid0(VALU_DEP_2) | instskip(NEXT) | instid1(VALU_DEP_2)
	v_cmp_eq_u32_e32 vcc_lo, 0, v72
	v_cndmask_b32_e32 v72, v82, v81, vcc_lo
; %bb.56:
	s_or_b32 exec_lo, exec_lo, s3
	v_and_b32_e32 v81, 0x7f800000, v83
	s_delay_alu instid0(VALU_DEP_1) | instskip(SKIP_1) | instid1(SALU_CYCLE_1)
	v_cmp_ne_u32_e32 vcc_lo, 0x7f800000, v81
                                        ; implicit-def: $vgpr81
	s_and_saveexec_b32 s3, vcc_lo
	s_xor_b32 s3, exec_lo, s3
; %bb.57:
	v_bfe_u32 v81, v83, 16, 1
	s_delay_alu instid0(VALU_DEP_1)
	v_add3_u32 v81, v83, v81, 0x7fff
                                        ; implicit-def: $vgpr83
; %bb.58:
	s_and_not1_saveexec_b32 s3, s3
; %bb.59:
	v_and_b32_e32 v81, 0xffff, v83
	v_or_b32_e32 v82, 0x10000, v83
	s_delay_alu instid0(VALU_DEP_2) | instskip(NEXT) | instid1(VALU_DEP_2)
	v_cmp_eq_u32_e32 vcc_lo, 0, v81
	v_cndmask_b32_e32 v81, v82, v83, vcc_lo
; %bb.60:
	s_or_b32 exec_lo, exec_lo, s3
	v_and_b32_e32 v82, 0x7f800000, v77
	s_delay_alu instid0(VALU_DEP_1) | instskip(SKIP_1) | instid1(SALU_CYCLE_1)
	v_cmp_ne_u32_e32 vcc_lo, 0x7f800000, v82
                                        ; implicit-def: $vgpr82
	s_and_saveexec_b32 s3, vcc_lo
	s_xor_b32 s3, exec_lo, s3
; %bb.61:
	v_bfe_u32 v82, v77, 16, 1
	s_delay_alu instid0(VALU_DEP_1)
	v_add3_u32 v82, v77, v82, 0x7fff
                                        ; implicit-def: $vgpr77
; %bb.62:
	s_and_not1_saveexec_b32 s3, s3
; %bb.63:
	v_and_b32_e32 v82, 0xffff, v77
	v_or_b32_e32 v83, 0x10000, v77
	s_delay_alu instid0(VALU_DEP_2) | instskip(NEXT) | instid1(VALU_DEP_2)
	v_cmp_eq_u32_e32 vcc_lo, 0, v82
	v_cndmask_b32_e32 v82, v83, v77, vcc_lo
; %bb.64:
	s_or_b32 exec_lo, exec_lo, s3
	v_and_b32_e32 v77, 0x7f800000, v78
	s_delay_alu instid0(VALU_DEP_1) | instskip(SKIP_1) | instid1(SALU_CYCLE_1)
	v_cmp_ne_u32_e32 vcc_lo, 0x7f800000, v77
                                        ; implicit-def: $vgpr77
	s_and_saveexec_b32 s3, vcc_lo
	s_xor_b32 s3, exec_lo, s3
; %bb.65:
	v_bfe_u32 v77, v78, 16, 1
	s_delay_alu instid0(VALU_DEP_1)
	v_add3_u32 v77, v78, v77, 0x7fff
                                        ; implicit-def: $vgpr78
; %bb.66:
	s_and_not1_saveexec_b32 s3, s3
; %bb.67:
	v_and_b32_e32 v77, 0xffff, v78
	v_or_b32_e32 v83, 0x10000, v78
	s_delay_alu instid0(VALU_DEP_2) | instskip(NEXT) | instid1(VALU_DEP_2)
	v_cmp_eq_u32_e32 vcc_lo, 0, v77
	v_cndmask_b32_e32 v77, v83, v78, vcc_lo
; %bb.68:
	s_or_b32 exec_lo, exec_lo, s3
	v_and_b32_e32 v78, 0x7f800000, v79
	s_delay_alu instid0(VALU_DEP_1) | instskip(SKIP_1) | instid1(SALU_CYCLE_1)
	v_cmp_ne_u32_e32 vcc_lo, 0x7f800000, v78
                                        ; implicit-def: $vgpr78
	s_and_saveexec_b32 s3, vcc_lo
	s_xor_b32 s3, exec_lo, s3
; %bb.69:
	v_bfe_u32 v78, v79, 16, 1
	s_delay_alu instid0(VALU_DEP_1)
	v_add3_u32 v78, v79, v78, 0x7fff
                                        ; implicit-def: $vgpr79
; %bb.70:
	s_and_not1_saveexec_b32 s3, s3
; %bb.71:
	v_and_b32_e32 v78, 0xffff, v79
	v_or_b32_e32 v83, 0x10000, v79
	s_delay_alu instid0(VALU_DEP_2) | instskip(NEXT) | instid1(VALU_DEP_2)
	v_cmp_eq_u32_e32 vcc_lo, 0, v78
	v_cndmask_b32_e32 v78, v83, v79, vcc_lo
; %bb.72:
	s_or_b32 exec_lo, exec_lo, s3
	v_and_b32_e32 v79, 0x7f800000, v70
	s_delay_alu instid0(VALU_DEP_1) | instskip(SKIP_1) | instid1(SALU_CYCLE_1)
	v_cmp_ne_u32_e32 vcc_lo, 0x7f800000, v79
                                        ; implicit-def: $vgpr79
	s_and_saveexec_b32 s3, vcc_lo
	s_xor_b32 s3, exec_lo, s3
; %bb.73:
	v_bfe_u32 v79, v70, 16, 1
	s_delay_alu instid0(VALU_DEP_1)
	v_add3_u32 v79, v70, v79, 0x7fff
                                        ; implicit-def: $vgpr70
; %bb.74:
	s_and_not1_saveexec_b32 s3, s3
; %bb.75:
	v_and_b32_e32 v79, 0xffff, v70
	v_or_b32_e32 v83, 0x10000, v70
	s_delay_alu instid0(VALU_DEP_2) | instskip(NEXT) | instid1(VALU_DEP_2)
	v_cmp_eq_u32_e32 vcc_lo, 0, v79
	v_cndmask_b32_e32 v79, v83, v70, vcc_lo
; %bb.76:
	s_or_b32 exec_lo, exec_lo, s3
	s_delay_alu instid0(VALU_DEP_1)
	v_perm_b32 v86, v79, v78, 0x7060302
	v_perm_b32 v85, v77, v82, 0x7060302
	;; [unrolled: 1-line block ×4, first 2 shown]
	v_lshl_or_b32 v82, v66, 11, v80
	ds_store_b128 v76, v[83:86] offset:1024
	s_waitcnt lgkmcnt(0)
	s_barrier
	buffer_gl0_inv
	ds_load_b128 v[69:72], v82
	ds_load_b128 v[83:86], v82 offset:16
	s_waitcnt lgkmcnt(1)
	v_lshrrev_b32_e32 v66, 16, v69
	s_waitcnt lgkmcnt(0)
	v_lshrrev_b32_e32 v91, 16, v83
	v_lshlrev_b32_e32 v78, 2, v74
	v_lshrrev_b32_e32 v95, 16, v70
	v_lshrrev_b32_e32 v98, 16, v84
	v_lshrrev_b32_e32 v96, 16, v71
	v_lshrrev_b32_e32 v99, 16, v85
	v_cmp_eq_u32_e32 vcc_lo, 1, v78
	v_lshrrev_b32_e32 v97, 16, v72
	v_lshrrev_b32_e32 v100, 16, v86
	v_cndmask_b32_e32 v87, v83, v91, vcc_lo
	v_or_b32_e32 v79, 1, v78
	v_cndmask_b32_e32 v81, v69, v66, vcc_lo
	v_cmp_eq_u32_e64 s4, 2, v78
	v_cmp_eq_u32_e64 s7, 3, v78
	;; [unrolled: 1-line block ×5, first 2 shown]
	v_cndmask_b32_e64 v81, v81, v70, s4
	v_cndmask_b32_e64 v87, v87, v84, s4
	v_cmp_eq_u32_e64 s8, 3, v79
	v_cndmask_b32_e64 v88, v69, v66, s3
	v_or_b32_e32 v77, 2, v78
	v_cndmask_b32_e64 v81, v81, v95, s7
	v_cndmask_b32_e64 v87, v87, v98, s7
	;; [unrolled: 1-line block ×4, first 2 shown]
	v_cmp_eq_u32_e64 s10, 5, v78
	v_cndmask_b32_e64 v81, v81, v71, s9
	v_cndmask_b32_e64 v87, v87, v85, s9
	v_cmp_eq_u32_e64 s11, 4, v79
	v_cndmask_b32_e64 v88, v88, v95, s8
	v_cmp_eq_u32_e64 s5, 1, v77
	v_cndmask_b32_e64 v89, v89, v84, s6
	v_cndmask_b32_e64 v81, v81, v96, s10
	v_cmp_eq_u32_e64 s12, 6, v78
	v_cndmask_b32_e64 v88, v88, v71, s11
	;; [unrolled: 3-line block ×3, first 2 shown]
	v_cndmask_b32_e64 v89, v89, v98, s8
	v_cndmask_b32_e64 v81, v81, v72, s12
	v_cmp_eq_u32_e64 s15, 7, v78
	v_cndmask_b32_e64 v88, v88, v96, s13
	v_cndmask_b32_e64 v87, v87, v86, s12
	v_cmp_eq_u32_e64 s16, 6, v79
	v_cmp_eq_u32_e64 s17, 2, v77
	v_cndmask_b32_e64 v89, v89, v85, s11
	v_cndmask_b32_e64 v101, v81, v97, s15
	;; [unrolled: 1-line block ×6, first 2 shown]
	v_cmp_eq_u32_e64 s18, 7, v79
	v_cmp_eq_u32_e64 s19, 3, v77
	;; [unrolled: 1-line block ×4, first 2 shown]
	v_cndmask_b32_e64 v87, v87, v84, s17
	v_cndmask_b32_e64 v103, v88, v97, s18
	;; [unrolled: 1-line block ×4, first 2 shown]
	v_or_b32_e32 v81, 3, v78
	v_cndmask_b32_e64 v93, v87, v98, s19
	v_cmp_eq_u32_e64 s24, 6, v77
	v_cndmask_b32_e64 v104, v88, v86, s16
	v_cndmask_b32_e64 v92, v89, v71, s20
	v_cmp_eq_u32_e64 s21, 1, v81
	ds_load_b128 v[87:90], v82 offset:1024
	v_cmp_eq_u32_e64 s23, 2, v81
	v_cmp_eq_u32_e64 s25, 3, v81
	v_cndmask_b32_e64 v105, v92, v96, s22
	v_cndmask_b32_e64 v66, v69, v66, s21
	;; [unrolled: 1-line block ×4, first 2 shown]
	ds_load_b128 v[91:94], v82 offset:1040
	v_cmp_eq_u32_e64 s26, 4, v81
	v_cndmask_b32_e64 v66, v66, v70, s23
	v_cmp_eq_u32_e64 s27, 7, v77
	v_cndmask_b32_e64 v70, v83, v84, s23
	v_cndmask_b32_e64 v84, v105, v72, s24
	v_cmp_eq_u32_e64 s28, 5, v81
	v_cndmask_b32_e64 v66, v66, v95, s25
	v_cmp_eq_u32_e64 s29, 6, v81
	v_cndmask_b32_e64 v70, v70, v98, s25
	v_cndmask_b32_e64 v69, v69, v99, s22
	;; [unrolled: 1-line block ×4, first 2 shown]
	s_waitcnt lgkmcnt(1)
	v_lshrrev_b32_e32 v95, 16, v87
	v_cndmask_b32_e64 v70, v70, v85, s26
	v_cndmask_b32_e64 v71, v84, v97, s27
	;; [unrolled: 1-line block ×4, first 2 shown]
	v_cndmask_b32_e32 v84, v87, v95, vcc_lo
	v_cndmask_b32_e64 v70, v70, v99, s28
	s_waitcnt lgkmcnt(0)
	v_lshrrev_b32_e32 v85, 16, v91
	v_lshrrev_b32_e32 v96, 16, v88
	v_cndmask_b32_e64 v98, v87, v95, s3
	v_cndmask_b32_e64 v84, v84, v88, s4
	;; [unrolled: 1-line block ×3, first 2 shown]
	v_cndmask_b32_e32 v99, v91, v85, vcc_lo
	v_cmp_eq_u32_e32 vcc_lo, 7, v81
	v_cndmask_b32_e64 v66, v66, v72, s29
	v_cndmask_b32_e64 v72, v84, v96, s7
	;; [unrolled: 1-line block ×3, first 2 shown]
	v_lshrrev_b32_e32 v98, 16, v92
	v_cndmask_b32_e32 v70, v70, v100, vcc_lo
	v_cndmask_b32_e64 v86, v99, v92, s4
	v_cndmask_b32_e64 v69, v69, v100, s27
	v_lshrrev_b32_e32 v100, 16, v93
	v_cndmask_b32_e64 v72, v72, v89, s9
	v_lshrrev_b32_e32 v99, 16, v89
	v_cndmask_b32_e64 v86, v86, v98, s7
	v_perm_b32 v71, v69, v71, 0x5040100
	v_cndmask_b32_e64 v84, v84, v96, s8
	s_delay_alu instid0(VALU_DEP_3) | instskip(NEXT) | instid1(VALU_DEP_2)
	v_cndmask_b32_e64 v86, v86, v93, s9
	v_cndmask_b32_e64 v84, v84, v89, s11
	s_delay_alu instid0(VALU_DEP_2) | instskip(NEXT) | instid1(VALU_DEP_1)
	v_cndmask_b32_e64 v86, v86, v100, s10
	v_cndmask_b32_e64 v69, v86, v94, s12
	;; [unrolled: 1-line block ×5, first 2 shown]
	s_delay_alu instid0(VALU_DEP_3) | instskip(NEXT) | instid1(VALU_DEP_3)
	v_cndmask_b32_e64 v86, v86, v88, s17
	v_cndmask_b32_e64 v87, v87, v88, s23
	s_delay_alu instid0(VALU_DEP_3) | instskip(NEXT) | instid1(VALU_DEP_3)
	v_cndmask_b32_e64 v88, v95, v92, s23
	v_cndmask_b32_e64 v86, v86, v96, s19
	;; [unrolled: 3-line block ×7, first 2 shown]
	s_delay_alu instid0(VALU_DEP_3) | instskip(SKIP_2) | instid1(VALU_DEP_2)
	v_cndmask_b32_e64 v88, v88, v94, s29
	v_cndmask_b32_e32 v66, v66, v97, vcc_lo
	v_cndmask_b32_e64 v97, v72, v99, s10
	v_perm_b32 v72, v70, v66, 0x5040100
	v_perm_b32 v70, v83, v103, 0x5040100
	v_cndmask_b32_e64 v103, v91, v85, s5
	v_cndmask_b32_e64 v85, v91, v85, s3
	;; [unrolled: 1-line block ×4, first 2 shown]
	v_lshrrev_b32_e32 v97, 16, v90
	v_cndmask_b32_e64 v91, v103, v92, s17
	v_cndmask_b32_e64 v85, v85, v92, s6
	;; [unrolled: 1-line block ×3, first 2 shown]
	s_mov_b32 s3, exec_lo
	v_cndmask_b32_e64 v83, v84, v97, s15
	v_cndmask_b32_e64 v91, v91, v98, s19
	;; [unrolled: 1-line block ×3, first 2 shown]
	v_lshrrev_b32_e32 v84, 16, v94
	v_cndmask_b32_e64 v66, v66, v97, s18
	v_cndmask_b32_e64 v90, v86, v97, s27
	;; [unrolled: 1-line block ×4, first 2 shown]
	v_dual_cndmask_b32 v86, v87, v97 :: v_dual_cndmask_b32 v87, v88, v84
	v_cndmask_b32_e64 v91, v69, v84, s15
	s_delay_alu instid0(VALU_DEP_4) | instskip(NEXT) | instid1(VALU_DEP_4)
	v_cndmask_b32_e64 v89, v89, v100, s22
	v_cndmask_b32_e64 v85, v85, v100, s13
	v_perm_b32 v69, v102, v101, 0x5040100
	v_perm_b32 v86, v87, v86, 0x5040100
	;; [unrolled: 1-line block ×3, first 2 shown]
	v_cndmask_b32_e64 v89, v89, v94, s24
	v_cndmask_b32_e64 v85, v85, v94, s16
	s_mul_i32 s8, s35, 14
	s_delay_alu instid0(VALU_DEP_2) | instskip(NEXT) | instid1(VALU_DEP_2)
	v_cndmask_b32_e64 v88, v89, v84, s27
	v_cndmask_b32_e64 v89, v85, v84, s18
	s_delay_alu instid0(VALU_DEP_2) | instskip(NEXT) | instid1(VALU_DEP_2)
	v_perm_b32 v85, v88, v90, 0x5040100
	v_perm_b32 v84, v89, v66, 0x5040100
	ds_store_b128 v76, v[69:72]
	ds_store_b128 v76, v[83:86] offset:1024
	v_cmpx_gt_u32_e32 14, v0
	s_cbranch_execz .LBB1755_78
; %bb.77:
	s_mul_i32 s4, s8, s30
	s_delay_alu instid0(SALU_CYCLE_1) | instskip(SKIP_1) | instid1(VALU_DEP_1)
	v_add3_u32 v69, s4, s31, v65
	s_load_b128 s[4:7], s[0:1], 0x58
	v_mad_u64_u32 v[65:66], null, v69, s34, s[14:15]
	s_delay_alu instid0(VALU_DEP_1) | instskip(NEXT) | instid1(VALU_DEP_1)
	v_ashrrev_i32_e32 v66, 31, v65
	v_lshlrev_b64 v[65:66], 2, v[65:66]
	s_waitcnt lgkmcnt(0)
	s_delay_alu instid0(VALU_DEP_1) | instskip(NEXT) | instid1(VALU_DEP_2)
	v_add_co_u32 v69, vcc_lo, s6, v65
	v_add_co_ci_u32_e32 v70, vcc_lo, s7, v66, vcc_lo
	v_add_co_u32 v65, vcc_lo, s4, v65
	v_add_co_ci_u32_e32 v66, vcc_lo, s5, v66, vcc_lo
	global_store_b32 v[69:70], v67, off
	global_store_b32 v[65:66], v68, off
.LBB1755_78:
	s_or_b32 exec_lo, exec_lo, s3
	s_waitcnt lgkmcnt(0)
	s_waitcnt_vscnt null, 0x0
	s_barrier
	buffer_gl0_inv
	ds_load_b128 v[83:86], v80
	ds_load_b128 v[87:90], v80 offset:16
	ds_load_b128 v[95:98], v80 offset:2064
	;; [unrolled: 1-line block ×3, first 2 shown]
	v_mov_b32_e32 v65, 0
	ds_load_b128 v[103:106], v80 offset:4112
	ds_load_b128 v[99:102], v80 offset:4096
	;; [unrolled: 1-line block ×4, first 2 shown]
	v_mov_b32_e32 v66, v65
	v_mov_b32_e32 v67, v65
	v_mov_b32_e32 v68, v65
	v_mov_b32_e32 v69, v65
	v_mov_b32_e32 v70, v65
	v_mov_b32_e32 v71, v65
	v_mov_b32_e32 v72, v65
	s_waitcnt lgkmcnt(6)
	s_delay_alu instid0(VALU_DEP_1)
	v_wmma_f32_16x16x16_bf16 v[65:72], v[57:64], v[83:90], v[65:72]
	ds_load_b128 v[61:64], v80 offset:8208
	ds_load_b128 v[57:60], v80 offset:8192
	s_waitcnt lgkmcnt(6)
	v_wmma_f32_16x16x16_bf16 v[65:72], v[41:48], v[91:98], v[65:72]
	ds_load_b128 v[45:48], v80 offset:10256
	ds_load_b128 v[41:44], v80 offset:10240
	s_waitcnt lgkmcnt(6)
	;; [unrolled: 4-line block ×4, first 2 shown]
	v_wmma_f32_16x16x16_bf16 v[65:72], v[1:8], v[57:64], v[65:72]
	s_waitcnt lgkmcnt(4)
	s_delay_alu instid0(VALU_DEP_1) | instskip(SKIP_1) | instid1(VALU_DEP_1)
	v_wmma_f32_16x16x16_bf16 v[65:72], v[9:16], v[41:48], v[65:72]
	s_waitcnt lgkmcnt(2)
	v_wmma_f32_16x16x16_bf16 v[65:72], v[17:24], v[33:40], v[65:72]
	s_waitcnt lgkmcnt(0)
	s_delay_alu instid0(VALU_DEP_1) | instskip(NEXT) | instid1(VALU_DEP_1)
	v_wmma_f32_16x16x16_bf16 v[65:72], v[49:56], v[25:32], v[65:72]
	v_and_b32_e32 v1, 0x7f800000, v65
	s_delay_alu instid0(VALU_DEP_1) | instskip(SKIP_1) | instid1(SALU_CYCLE_1)
	v_cmp_ne_u32_e32 vcc_lo, 0x7f800000, v1
                                        ; implicit-def: $vgpr1
	s_and_saveexec_b32 s3, vcc_lo
	s_xor_b32 s3, exec_lo, s3
; %bb.79:
	v_bfe_u32 v1, v65, 16, 1
	s_delay_alu instid0(VALU_DEP_1)
	v_add3_u32 v1, v65, v1, 0x7fff
; %bb.80:
	s_and_not1_saveexec_b32 s3, s3
; %bb.81:
	v_and_b32_e32 v1, 0xffff, v65
	v_or_b32_e32 v2, 0x10000, v65
	s_delay_alu instid0(VALU_DEP_2) | instskip(NEXT) | instid1(VALU_DEP_2)
	v_cmp_eq_u32_e32 vcc_lo, 0, v1
	v_cndmask_b32_e32 v1, v2, v65, vcc_lo
; %bb.82:
	s_or_b32 exec_lo, exec_lo, s3
	v_and_b32_e32 v2, 0x7f800000, v66
	s_delay_alu instid0(VALU_DEP_1) | instskip(SKIP_1) | instid1(SALU_CYCLE_1)
	v_cmp_ne_u32_e32 vcc_lo, 0x7f800000, v2
                                        ; implicit-def: $vgpr2
	s_and_saveexec_b32 s3, vcc_lo
	s_xor_b32 s3, exec_lo, s3
; %bb.83:
	v_bfe_u32 v2, v66, 16, 1
	s_delay_alu instid0(VALU_DEP_1)
	v_add3_u32 v2, v66, v2, 0x7fff
; %bb.84:
	s_and_not1_saveexec_b32 s3, s3
; %bb.85:
	v_and_b32_e32 v2, 0xffff, v66
	v_or_b32_e32 v3, 0x10000, v66
	s_delay_alu instid0(VALU_DEP_2) | instskip(NEXT) | instid1(VALU_DEP_2)
	v_cmp_eq_u32_e32 vcc_lo, 0, v2
	v_cndmask_b32_e32 v2, v3, v66, vcc_lo
; %bb.86:
	s_or_b32 exec_lo, exec_lo, s3
	v_and_b32_e32 v3, 0x7f800000, v67
	s_delay_alu instid0(VALU_DEP_1) | instskip(SKIP_1) | instid1(SALU_CYCLE_1)
	v_cmp_ne_u32_e32 vcc_lo, 0x7f800000, v3
                                        ; implicit-def: $vgpr3
	s_and_saveexec_b32 s3, vcc_lo
	s_xor_b32 s3, exec_lo, s3
; %bb.87:
	v_bfe_u32 v3, v67, 16, 1
	s_delay_alu instid0(VALU_DEP_1)
	v_add3_u32 v3, v67, v3, 0x7fff
; %bb.88:
	s_and_not1_saveexec_b32 s3, s3
; %bb.89:
	v_and_b32_e32 v3, 0xffff, v67
	v_or_b32_e32 v4, 0x10000, v67
	s_delay_alu instid0(VALU_DEP_2) | instskip(NEXT) | instid1(VALU_DEP_2)
	v_cmp_eq_u32_e32 vcc_lo, 0, v3
	v_cndmask_b32_e32 v3, v4, v67, vcc_lo
; %bb.90:
	s_or_b32 exec_lo, exec_lo, s3
	v_and_b32_e32 v4, 0x7f800000, v68
	s_delay_alu instid0(VALU_DEP_1) | instskip(SKIP_1) | instid1(SALU_CYCLE_1)
	v_cmp_ne_u32_e32 vcc_lo, 0x7f800000, v4
                                        ; implicit-def: $vgpr4
	s_and_saveexec_b32 s3, vcc_lo
	s_xor_b32 s3, exec_lo, s3
; %bb.91:
	v_bfe_u32 v4, v68, 16, 1
	s_delay_alu instid0(VALU_DEP_1)
	v_add3_u32 v4, v68, v4, 0x7fff
; %bb.92:
	s_and_not1_saveexec_b32 s3, s3
; %bb.93:
	v_and_b32_e32 v4, 0xffff, v68
	v_or_b32_e32 v5, 0x10000, v68
	s_delay_alu instid0(VALU_DEP_2) | instskip(NEXT) | instid1(VALU_DEP_2)
	v_cmp_eq_u32_e32 vcc_lo, 0, v4
	v_cndmask_b32_e32 v4, v5, v68, vcc_lo
; %bb.94:
	s_or_b32 exec_lo, exec_lo, s3
	v_and_b32_e32 v5, 0x7f800000, v69
	s_delay_alu instid0(VALU_DEP_1) | instskip(SKIP_1) | instid1(SALU_CYCLE_1)
	v_cmp_ne_u32_e32 vcc_lo, 0x7f800000, v5
                                        ; implicit-def: $vgpr5
	s_and_saveexec_b32 s3, vcc_lo
	s_xor_b32 s3, exec_lo, s3
; %bb.95:
	v_bfe_u32 v5, v69, 16, 1
	s_delay_alu instid0(VALU_DEP_1)
	v_add3_u32 v5, v69, v5, 0x7fff
; %bb.96:
	s_and_not1_saveexec_b32 s3, s3
; %bb.97:
	v_and_b32_e32 v5, 0xffff, v69
	v_or_b32_e32 v6, 0x10000, v69
	s_delay_alu instid0(VALU_DEP_2) | instskip(NEXT) | instid1(VALU_DEP_2)
	v_cmp_eq_u32_e32 vcc_lo, 0, v5
	v_cndmask_b32_e32 v5, v6, v69, vcc_lo
; %bb.98:
	s_or_b32 exec_lo, exec_lo, s3
	v_and_b32_e32 v6, 0x7f800000, v70
	s_delay_alu instid0(VALU_DEP_1) | instskip(SKIP_1) | instid1(SALU_CYCLE_1)
	v_cmp_ne_u32_e32 vcc_lo, 0x7f800000, v6
                                        ; implicit-def: $vgpr6
	s_and_saveexec_b32 s3, vcc_lo
	s_xor_b32 s3, exec_lo, s3
; %bb.99:
	v_bfe_u32 v6, v70, 16, 1
	s_delay_alu instid0(VALU_DEP_1)
	v_add3_u32 v6, v70, v6, 0x7fff
; %bb.100:
	s_and_not1_saveexec_b32 s3, s3
; %bb.101:
	v_and_b32_e32 v6, 0xffff, v70
	v_or_b32_e32 v7, 0x10000, v70
	s_delay_alu instid0(VALU_DEP_2) | instskip(NEXT) | instid1(VALU_DEP_2)
	v_cmp_eq_u32_e32 vcc_lo, 0, v6
	v_cndmask_b32_e32 v6, v7, v70, vcc_lo
; %bb.102:
	s_or_b32 exec_lo, exec_lo, s3
	v_and_b32_e32 v7, 0x7f800000, v71
	s_delay_alu instid0(VALU_DEP_1) | instskip(SKIP_1) | instid1(SALU_CYCLE_1)
	v_cmp_ne_u32_e32 vcc_lo, 0x7f800000, v7
                                        ; implicit-def: $vgpr7
	s_and_saveexec_b32 s3, vcc_lo
	s_xor_b32 s3, exec_lo, s3
; %bb.103:
	v_bfe_u32 v7, v71, 16, 1
	s_delay_alu instid0(VALU_DEP_1)
	v_add3_u32 v7, v71, v7, 0x7fff
; %bb.104:
	s_and_not1_saveexec_b32 s3, s3
; %bb.105:
	v_and_b32_e32 v7, 0xffff, v71
	v_or_b32_e32 v8, 0x10000, v71
	s_delay_alu instid0(VALU_DEP_2) | instskip(NEXT) | instid1(VALU_DEP_2)
	v_cmp_eq_u32_e32 vcc_lo, 0, v7
	v_cndmask_b32_e32 v7, v8, v71, vcc_lo
; %bb.106:
	s_or_b32 exec_lo, exec_lo, s3
	v_and_b32_e32 v8, 0x7f800000, v72
	s_delay_alu instid0(VALU_DEP_1) | instskip(SKIP_1) | instid1(SALU_CYCLE_1)
	v_cmp_ne_u32_e32 vcc_lo, 0x7f800000, v8
                                        ; implicit-def: $vgpr8
	s_and_saveexec_b32 s3, vcc_lo
	s_xor_b32 s3, exec_lo, s3
; %bb.107:
	v_bfe_u32 v8, v72, 16, 1
	s_delay_alu instid0(VALU_DEP_1)
	v_add3_u32 v8, v72, v8, 0x7fff
                                        ; implicit-def: $vgpr65_vgpr66_vgpr67_vgpr68_vgpr69_vgpr70_vgpr71_vgpr72
; %bb.108:
	s_and_not1_saveexec_b32 s3, s3
; %bb.109:
	v_and_b32_e32 v8, 0xffff, v72
	v_or_b32_e32 v9, 0x10000, v72
	s_delay_alu instid0(VALU_DEP_2) | instskip(NEXT) | instid1(VALU_DEP_2)
	v_cmp_eq_u32_e32 vcc_lo, 0, v8
	v_cndmask_b32_e32 v8, v9, v72, vcc_lo
; %bb.110:
	s_or_b32 exec_lo, exec_lo, s3
	s_delay_alu instid0(VALU_DEP_1)
	v_perm_b32 v7, v8, v7, 0x7060302
	v_perm_b32 v6, v6, v5, 0x7060302
	;; [unrolled: 1-line block ×4, first 2 shown]
	s_barrier
	buffer_gl0_inv
	v_cmp_eq_u32_e32 vcc_lo, 1, v78
	ds_store_b128 v76, v[4:7]
	s_waitcnt lgkmcnt(0)
	s_barrier
	buffer_gl0_inv
	ds_load_b128 v[1:4], v82
	ds_load_b128 v[5:8], v82 offset:16
	v_cmp_eq_u32_e64 s3, 1, v79
	v_cmp_eq_u32_e64 s4, 2, v78
	;; [unrolled: 1-line block ×5, first 2 shown]
	s_waitcnt lgkmcnt(1)
	v_lshrrev_b32_e32 v9, 16, v1
	s_waitcnt lgkmcnt(0)
	v_lshrrev_b32_e32 v13, 16, v5
	v_lshrrev_b32_e32 v10, 16, v2
	;; [unrolled: 1-line block ×4, first 2 shown]
	v_cndmask_b32_e64 v19, v1, v9, s3
	v_cndmask_b32_e32 v18, v5, v13, vcc_lo
	v_cndmask_b32_e64 v20, v5, v13, s3
	v_cndmask_b32_e32 v17, v1, v9, vcc_lo
	v_cmp_eq_u32_e32 vcc_lo, 2, v79
	v_lshrrev_b32_e32 v15, 16, v7
	v_cmp_eq_u32_e64 s3, 1, v77
	v_lshrrev_b32_e32 v12, 16, v4
	v_lshrrev_b32_e32 v16, 16, v8
	v_cndmask_b32_e32 v20, v20, v6, vcc_lo
	v_cndmask_b32_e64 v17, v17, v2, s4
	v_cndmask_b32_e32 v19, v19, v2, vcc_lo
	v_cndmask_b32_e64 v18, v18, v6, s4
	v_cmp_eq_u32_e32 vcc_lo, 4, v78
	v_cmp_eq_u32_e64 s4, 3, v79
	v_cndmask_b32_e64 v17, v17, v10, s5
	v_cndmask_b32_e64 v21, v1, v9, s3
	v_cndmask_b32_e64 v18, v18, v14, s5
	v_cndmask_b32_e64 v22, v5, v13, s3
	v_cndmask_b32_e64 v19, v19, v10, s4
	v_cndmask_b32_e32 v17, v17, v3, vcc_lo
	v_cndmask_b32_e64 v20, v20, v14, s4
	v_cndmask_b32_e32 v18, v18, v7, vcc_lo
	v_cmp_eq_u32_e32 vcc_lo, 4, v79
	v_cmp_eq_u32_e64 s4, 5, v79
	v_cmp_eq_u32_e64 s3, 2, v81
	v_cndmask_b32_e64 v21, v21, v2, s7
	v_cmp_eq_u32_e64 s5, 5, v78
	v_cndmask_b32_e32 v19, v19, v3, vcc_lo
	v_cndmask_b32_e32 v20, v20, v7, vcc_lo
	v_cmp_eq_u32_e32 vcc_lo, 6, v79
	s_delay_alu instid0(VALU_DEP_4) | instskip(NEXT) | instid1(VALU_DEP_4)
	v_cndmask_b32_e64 v17, v17, v11, s5
	v_cndmask_b32_e64 v19, v19, v11, s4
	s_delay_alu instid0(VALU_DEP_4) | instskip(SKIP_1) | instid1(VALU_DEP_3)
	v_cndmask_b32_e64 v20, v20, v15, s4
	v_cmp_eq_u32_e64 s4, 1, v81
	v_cndmask_b32_e32 v19, v19, v4, vcc_lo
	v_cndmask_b32_e64 v18, v18, v15, s5
	s_delay_alu instid0(VALU_DEP_3)
	v_cndmask_b32_e64 v1, v1, v9, s4
	v_cndmask_b32_e64 v5, v5, v13, s4
	v_cmp_eq_u32_e64 s4, 3, v77
	v_cndmask_b32_e64 v13, v22, v6, s7
	v_cmp_eq_u32_e64 s7, 3, v81
	v_cndmask_b32_e64 v1, v1, v2, s3
	v_cndmask_b32_e64 v2, v5, v6, s3
	;; [unrolled: 1-line block ×3, first 2 shown]
	v_cmp_eq_u32_e64 s3, 4, v77
	v_cndmask_b32_e64 v6, v13, v14, s4
	v_cndmask_b32_e64 v1, v1, v10, s7
	v_cmp_eq_u32_e64 s4, 4, v81
	v_cndmask_b32_e64 v2, v2, v14, s7
	v_cndmask_b32_e64 v5, v9, v3, s3
	;; [unrolled: 3-line block ×3, first 2 shown]
	v_cndmask_b32_e64 v2, v2, v7, s4
	v_cmp_eq_u32_e64 s3, 5, v81
	v_cmp_eq_u32_e64 s5, 6, v78
	v_cndmask_b32_e64 v5, v5, v11, s7
	v_cmp_eq_u32_e64 s4, 6, v77
	v_cndmask_b32_e64 v3, v6, v15, s7
	v_cndmask_b32_e64 v1, v1, v11, s3
	v_cmp_eq_u32_e64 s7, 6, v81
	v_cndmask_b32_e64 v2, v2, v15, s3
	v_cndmask_b32_e64 v17, v17, v4, s5
	v_cndmask_b32_e64 v18, v18, v8, s5
	v_cmp_eq_u32_e64 s5, 7, v78
	v_cndmask_b32_e64 v5, v5, v4, s4
	;; [unrolled: 4-line block ×3, first 2 shown]
	v_cmp_eq_u32_e64 s4, 7, v77
	v_cndmask_b32_e32 v4, v20, v8, vcc_lo
	v_cndmask_b32_e64 v17, v17, v12, s5
	v_cndmask_b32_e64 v19, v19, v12, s6
	;; [unrolled: 1-line block ×8, first 2 shown]
	v_cmp_gt_u32_e32 vcc_lo, 32, v0
	v_perm_b32 v4, v2, v1, 0x5040100
	v_perm_b32 v3, v3, v5, 0x5040100
	;; [unrolled: 1-line block ×4, first 2 shown]
	s_and_b32 s2, vcc_lo, s2
	ds_store_b128 v76, v[1:4]
	s_waitcnt lgkmcnt(0)
	s_barrier
	buffer_gl0_inv
	s_and_saveexec_b32 s3, s2
	s_cbranch_execz .LBB1755_2
; %bb.111:
	s_load_b64 s[0:1], s[0:1], 0x68
	v_lshlrev_b32_e32 v0, 10, v0
	s_lshl_b32 s4, s34, 6
	v_or_b32_e32 v3, s31, v74
	s_mul_i32 s2, s4, s30
	v_lshlrev_b32_e32 v1, 4, v75
	v_lshlrev_b32_e32 v2, 6, v74
	v_and_b32_e32 v0, 0x3800, v0
	s_mul_i32 s2, s2, s8
	v_mul_lo_u32 v8, v3, s4
	s_ashr_i32 s3, s2, 31
	s_delay_alu instid0(SALU_CYCLE_1)
	s_lshl_b64 s[2:3], s[2:3], 1
	v_or3_b32 v16, v0, v1, v2
	ds_load_b128 v[0:3], v16
	ds_load_b128 v[4:7], v16 offset:128
	v_ashrrev_i32_e32 v9, 31, v8
	s_waitcnt lgkmcnt(0)
	s_add_u32 s2, s0, s2
	s_addc_u32 s3, s1, s3
	s_lshl_b32 s0, s14, 6
	s_delay_alu instid0(SALU_CYCLE_1) | instskip(SKIP_2) | instid1(SALU_CYCLE_1)
	s_ashr_i32 s1, s0, 31
	v_lshlrev_b64 v[9:10], 1, v[8:9]
	s_lshl_b64 s[0:1], s[0:1], 1
	s_add_u32 s0, s2, s0
	s_addc_u32 s1, s3, s1
	s_lshl_b32 s2, s34, 7
	v_add_co_u32 v30, s0, s0, v73
	v_add_nc_u32_e32 v11, s2, v8
	v_add_co_ci_u32_e64 v31, null, s1, 0, s0
	s_delay_alu instid0(VALU_DEP_3) | instskip(NEXT) | instid1(VALU_DEP_3)
	v_add_co_u32 v9, vcc_lo, v30, v9
	v_add_nc_u32_e32 v8, s2, v11
	s_delay_alu instid0(VALU_DEP_3) | instskip(SKIP_1) | instid1(VALU_DEP_3)
	v_add_co_ci_u32_e32 v10, vcc_lo, v31, v10, vcc_lo
	v_ashrrev_i32_e32 v12, 31, v11
	v_add_nc_u32_e32 v13, s2, v8
	global_store_b128 v[9:10], v[0:3], off
	v_ashrrev_i32_e32 v9, 31, v8
	v_lshlrev_b64 v[11:12], 1, v[11:12]
	v_ashrrev_i32_e32 v14, 31, v13
	v_add_nc_u32_e32 v10, s2, v13
	s_delay_alu instid0(VALU_DEP_4) | instskip(NEXT) | instid1(VALU_DEP_4)
	v_lshlrev_b64 v[2:3], 1, v[8:9]
	v_add_co_u32 v0, vcc_lo, v30, v11
	s_delay_alu instid0(VALU_DEP_4)
	v_lshlrev_b64 v[8:9], 1, v[13:14]
	v_add_co_ci_u32_e32 v1, vcc_lo, v31, v12, vcc_lo
	v_ashrrev_i32_e32 v11, 31, v10
	v_add_co_u32 v22, vcc_lo, v30, v2
	v_add_nc_u32_e32 v20, s2, v10
	v_add_co_ci_u32_e32 v23, vcc_lo, v31, v3, vcc_lo
	v_add_co_u32 v24, vcc_lo, v30, v8
	global_store_b128 v[0:1], v[4:7], off
	v_add_co_ci_u32_e32 v25, vcc_lo, v31, v9, vcc_lo
	ds_load_b128 v[0:3], v16 offset:256
	ds_load_b128 v[4:7], v16 offset:384
	v_lshlrev_b64 v[26:27], 1, v[10:11]
	ds_load_b128 v[8:11], v16 offset:512
	ds_load_b128 v[12:15], v16 offset:640
	;; [unrolled: 1-line block ×3, first 2 shown]
	v_add_nc_u32_e32 v28, s2, v20
	v_ashrrev_i32_e32 v21, 31, v20
	v_add_co_u32 v26, vcc_lo, v30, v26
	s_delay_alu instid0(VALU_DEP_3) | instskip(NEXT) | instid1(VALU_DEP_3)
	v_ashrrev_i32_e32 v29, 31, v28
	v_lshlrev_b64 v[20:21], 1, v[20:21]
	v_add_co_ci_u32_e32 v27, vcc_lo, v31, v27, vcc_lo
	s_delay_alu instid0(VALU_DEP_3) | instskip(NEXT) | instid1(VALU_DEP_3)
	v_lshlrev_b64 v[28:29], 1, v[28:29]
	v_add_co_u32 v20, vcc_lo, v30, v20
	s_delay_alu instid0(VALU_DEP_4) | instskip(NEXT) | instid1(VALU_DEP_3)
	v_add_co_ci_u32_e32 v21, vcc_lo, v31, v21, vcc_lo
	v_add_co_u32 v28, vcc_lo, v30, v28
	s_delay_alu instid0(VALU_DEP_4)
	v_add_co_ci_u32_e32 v29, vcc_lo, v31, v29, vcc_lo
	s_waitcnt lgkmcnt(4)
	global_store_b128 v[22:23], v[0:3], off
	s_waitcnt lgkmcnt(3)
	global_store_b128 v[24:25], v[4:7], off
	;; [unrolled: 2-line block ×5, first 2 shown]
	s_nop 0
	s_sendmsg sendmsg(MSG_DEALLOC_VGPRS)
	s_endpgm
	.section	.rodata,"a",@progbits
	.p2align	6, 0x0
	.amdhsa_kernel _Z39paged_attention_ll4mi_QKV_mfma16_kernelI14__hip_bfloat16hLN4vllm18Fp8KVCacheDataTypeE1EhLi32ELi64ELi256ELb0ELi14EL8MFMAType0EEvPKT_PKT0_S9_ifPKiSB_SB_iPKfiiiPfSE_PS4_PT2_iSD_SD_
		.amdhsa_group_segment_fixed_size 17472
		.amdhsa_private_segment_fixed_size 0
		.amdhsa_kernarg_size 400
		.amdhsa_user_sgpr_count 13
		.amdhsa_user_sgpr_dispatch_ptr 0
		.amdhsa_user_sgpr_queue_ptr 0
		.amdhsa_user_sgpr_kernarg_segment_ptr 1
		.amdhsa_user_sgpr_dispatch_id 0
		.amdhsa_user_sgpr_private_segment_size 0
		.amdhsa_wavefront_size32 1
		.amdhsa_uses_dynamic_stack 0
		.amdhsa_enable_private_segment 0
		.amdhsa_system_sgpr_workgroup_id_x 1
		.amdhsa_system_sgpr_workgroup_id_y 1
		.amdhsa_system_sgpr_workgroup_id_z 1
		.amdhsa_system_sgpr_workgroup_info 0
		.amdhsa_system_vgpr_workitem_id 0
		.amdhsa_next_free_vgpr 124
		.amdhsa_next_free_sgpr 40
		.amdhsa_reserve_vcc 1
		.amdhsa_float_round_mode_32 0
		.amdhsa_float_round_mode_16_64 0
		.amdhsa_float_denorm_mode_32 3
		.amdhsa_float_denorm_mode_16_64 3
		.amdhsa_dx10_clamp 1
		.amdhsa_ieee_mode 1
		.amdhsa_fp16_overflow 0
		.amdhsa_workgroup_processor_mode 1
		.amdhsa_memory_ordered 1
		.amdhsa_forward_progress 0
		.amdhsa_shared_vgpr_count 0
		.amdhsa_exception_fp_ieee_invalid_op 0
		.amdhsa_exception_fp_denorm_src 0
		.amdhsa_exception_fp_ieee_div_zero 0
		.amdhsa_exception_fp_ieee_overflow 0
		.amdhsa_exception_fp_ieee_underflow 0
		.amdhsa_exception_fp_ieee_inexact 0
		.amdhsa_exception_int_div_zero 0
	.end_amdhsa_kernel
	.section	.text._Z39paged_attention_ll4mi_QKV_mfma16_kernelI14__hip_bfloat16hLN4vllm18Fp8KVCacheDataTypeE1EhLi32ELi64ELi256ELb0ELi14EL8MFMAType0EEvPKT_PKT0_S9_ifPKiSB_SB_iPKfiiiPfSE_PS4_PT2_iSD_SD_,"axG",@progbits,_Z39paged_attention_ll4mi_QKV_mfma16_kernelI14__hip_bfloat16hLN4vllm18Fp8KVCacheDataTypeE1EhLi32ELi64ELi256ELb0ELi14EL8MFMAType0EEvPKT_PKT0_S9_ifPKiSB_SB_iPKfiiiPfSE_PS4_PT2_iSD_SD_,comdat
.Lfunc_end1755:
	.size	_Z39paged_attention_ll4mi_QKV_mfma16_kernelI14__hip_bfloat16hLN4vllm18Fp8KVCacheDataTypeE1EhLi32ELi64ELi256ELb0ELi14EL8MFMAType0EEvPKT_PKT0_S9_ifPKiSB_SB_iPKfiiiPfSE_PS4_PT2_iSD_SD_, .Lfunc_end1755-_Z39paged_attention_ll4mi_QKV_mfma16_kernelI14__hip_bfloat16hLN4vllm18Fp8KVCacheDataTypeE1EhLi32ELi64ELi256ELb0ELi14EL8MFMAType0EEvPKT_PKT0_S9_ifPKiSB_SB_iPKfiiiPfSE_PS4_PT2_iSD_SD_
                                        ; -- End function
	.section	.AMDGPU.csdata,"",@progbits
; Kernel info:
; codeLenInByte = 8924
; NumSgprs: 42
; NumVgprs: 124
; ScratchSize: 0
; MemoryBound: 0
; FloatMode: 240
; IeeeMode: 1
; LDSByteSize: 17472 bytes/workgroup (compile time only)
; SGPRBlocks: 5
; VGPRBlocks: 15
; NumSGPRsForWavesPerEU: 42
; NumVGPRsForWavesPerEU: 124
; Occupancy: 10
; WaveLimiterHint : 1
; COMPUTE_PGM_RSRC2:SCRATCH_EN: 0
; COMPUTE_PGM_RSRC2:USER_SGPR: 13
; COMPUTE_PGM_RSRC2:TRAP_HANDLER: 0
; COMPUTE_PGM_RSRC2:TGID_X_EN: 1
; COMPUTE_PGM_RSRC2:TGID_Y_EN: 1
; COMPUTE_PGM_RSRC2:TGID_Z_EN: 1
; COMPUTE_PGM_RSRC2:TIDIG_COMP_CNT: 0
	.section	.text._Z39paged_attention_ll4mi_QKV_mfma16_kernelI14__hip_bfloat16hLN4vllm18Fp8KVCacheDataTypeE1EhLi32ELi64ELi256ELb0ELi15EL8MFMAType0EEvPKT_PKT0_S9_ifPKiSB_SB_iPKfiiiPfSE_PS4_PT2_iSD_SD_,"axG",@progbits,_Z39paged_attention_ll4mi_QKV_mfma16_kernelI14__hip_bfloat16hLN4vllm18Fp8KVCacheDataTypeE1EhLi32ELi64ELi256ELb0ELi15EL8MFMAType0EEvPKT_PKT0_S9_ifPKiSB_SB_iPKfiiiPfSE_PS4_PT2_iSD_SD_,comdat
	.protected	_Z39paged_attention_ll4mi_QKV_mfma16_kernelI14__hip_bfloat16hLN4vllm18Fp8KVCacheDataTypeE1EhLi32ELi64ELi256ELb0ELi15EL8MFMAType0EEvPKT_PKT0_S9_ifPKiSB_SB_iPKfiiiPfSE_PS4_PT2_iSD_SD_ ; -- Begin function _Z39paged_attention_ll4mi_QKV_mfma16_kernelI14__hip_bfloat16hLN4vllm18Fp8KVCacheDataTypeE1EhLi32ELi64ELi256ELb0ELi15EL8MFMAType0EEvPKT_PKT0_S9_ifPKiSB_SB_iPKfiiiPfSE_PS4_PT2_iSD_SD_
	.globl	_Z39paged_attention_ll4mi_QKV_mfma16_kernelI14__hip_bfloat16hLN4vllm18Fp8KVCacheDataTypeE1EhLi32ELi64ELi256ELb0ELi15EL8MFMAType0EEvPKT_PKT0_S9_ifPKiSB_SB_iPKfiiiPfSE_PS4_PT2_iSD_SD_
	.p2align	8
	.type	_Z39paged_attention_ll4mi_QKV_mfma16_kernelI14__hip_bfloat16hLN4vllm18Fp8KVCacheDataTypeE1EhLi32ELi64ELi256ELb0ELi15EL8MFMAType0EEvPKT_PKT0_S9_ifPKiSB_SB_iPKfiiiPfSE_PS4_PT2_iSD_SD_,@function
_Z39paged_attention_ll4mi_QKV_mfma16_kernelI14__hip_bfloat16hLN4vllm18Fp8KVCacheDataTypeE1EhLi32ELi64ELi256ELb0ELi15EL8MFMAType0EEvPKT_PKT0_S9_ifPKiSB_SB_iPKfiiiPfSE_PS4_PT2_iSD_SD_: ; @_Z39paged_attention_ll4mi_QKV_mfma16_kernelI14__hip_bfloat16hLN4vllm18Fp8KVCacheDataTypeE1EhLi32ELi64ELi256ELb0ELi15EL8MFMAType0EEvPKT_PKT0_S9_ifPKiSB_SB_iPKfiiiPfSE_PS4_PT2_iSD_SD_
; %bb.0:
	s_load_b64 s[2:3], s[0:1], 0x30
	s_mov_b32 s34, s13
	s_waitcnt lgkmcnt(0)
	s_cmp_lg_u64 s[2:3], 0
	s_cselect_b32 s8, -1, 0
	s_ashr_i32 s35, s13, 31
	s_cmp_eq_u64 s[2:3], 0
	s_cbranch_scc1 .LBB1756_3
; %bb.1:
	s_lshl_b64 s[4:5], s[34:35], 2
	s_delay_alu instid0(SALU_CYCLE_1) | instskip(SKIP_4) | instid1(SALU_CYCLE_1)
	s_add_u32 s4, s2, s4
	s_addc_u32 s5, s3, s5
	s_load_b64 s[4:5], s[4:5], 0x0
	s_waitcnt lgkmcnt(0)
	s_sub_i32 s4, s5, s4
	s_cmp_eq_u32 s4, 1
	s_cselect_b32 s4, -1, 0
	s_delay_alu instid0(SALU_CYCLE_1)
	s_and_not1_b32 vcc_lo, exec_lo, s4
	s_cbranch_vccz .LBB1756_4
.LBB1756_2:
	s_nop 0
	s_sendmsg sendmsg(MSG_DEALLOC_VGPRS)
	s_endpgm
.LBB1756_3:
.LBB1756_4:
	s_load_b64 s[4:5], s[0:1], 0x28
	s_lshl_b64 s[6:7], s[34:35], 2
	s_waitcnt lgkmcnt(0)
	s_add_u32 s4, s4, s6
	s_addc_u32 s5, s5, s7
	s_lshl_b32 s12, s14, 8
	s_load_b32 s24, s[4:5], 0x0
	s_waitcnt lgkmcnt(0)
	s_cmp_ge_i32 s12, s24
	s_cbranch_scc1 .LBB1756_2
; %bb.5:
	s_clause 0x1
	s_load_b128 s[20:23], s[0:1], 0x8
	s_load_b64 s[4:5], s[0:1], 0x20
	s_and_not1_b32 vcc_lo, exec_lo, s8
	s_cbranch_vccnz .LBB1756_7
; %bb.6:
	s_add_u32 s2, s2, s6
	s_addc_u32 s3, s3, s7
	s_load_b32 s3, s[2:3], 0x0
	s_branch .LBB1756_8
.LBB1756_7:
	s_mov_b32 s3, s34
.LBB1756_8:
	s_load_b128 s[16:19], s[0:1], 0x48
	v_lshrrev_b32_e32 v66, 5, v0
	v_bfe_u32 v74, v0, 4, 1
	v_and_b32_e32 v65, 15, v0
	v_and_b32_e32 v67, 31, v0
	;; [unrolled: 1-line block ×3, first 2 shown]
	s_mul_i32 s31, s15, 15
	v_lshl_or_b32 v1, v66, 1, v74
	v_lshlrev_b32_e32 v2, 3, v65
	v_cmp_gt_u32_e64 s2, 8, v65
	s_delay_alu instid0(VALU_DEP_3) | instskip(NEXT) | instid1(VALU_DEP_3)
	v_cmp_gt_u32_e32 vcc_lo, 15, v1
	v_lshlrev_b32_e32 v73, 1, v2
	s_delay_alu instid0(VALU_DEP_3) | instskip(NEXT) | instid1(SALU_CYCLE_1)
	s_and_b32 s7, s2, vcc_lo
	s_and_saveexec_b32 s6, s7
	s_cbranch_execz .LBB1756_10
; %bb.9:
	s_load_b64 s[8:9], s[0:1], 0x0
	v_add_lshl_u32 v2, v1, s31, 6
	s_waitcnt lgkmcnt(0)
	s_mul_hi_i32 s11, s3, s16
	s_mul_i32 s10, s3, s16
	v_lshlrev_b32_e32 v6, 10, v65
	s_lshl_b64 s[10:11], s[10:11], 1
	v_ashrrev_i32_e32 v3, 31, v2
	v_lshlrev_b32_e32 v1, 6, v1
	v_lshlrev_b32_e32 v7, 10, v75
	v_and_b32_e32 v6, 0x3800, v6
	s_delay_alu instid0(VALU_DEP_4) | instskip(NEXT) | instid1(VALU_DEP_2)
	v_lshlrev_b64 v[2:3], 1, v[2:3]
	v_or3_b32 v1, v6, v7, v1
	s_add_u32 s3, s8, s10
	s_addc_u32 s7, s9, s11
	s_delay_alu instid0(VALU_DEP_2) | instskip(NEXT) | instid1(VALU_DEP_3)
	v_add_co_u32 v2, vcc_lo, s3, v2
	v_add_co_ci_u32_e32 v3, vcc_lo, s7, v3, vcc_lo
	s_delay_alu instid0(VALU_DEP_2) | instskip(NEXT) | instid1(VALU_DEP_2)
	v_add_co_u32 v2, vcc_lo, v2, v73
	v_add_co_ci_u32_e32 v3, vcc_lo, 0, v3, vcc_lo
	global_load_b128 v[2:5], v[2:3], off
	s_waitcnt vmcnt(0)
	ds_store_b128 v1, v[2:5]
.LBB1756_10:
	s_or_b32 exec_lo, exec_lo, s6
	v_and_b32_e32 v1, 0xef, v0
	s_waitcnt lgkmcnt(0)
	s_add_i32 s3, s24, 31
	s_clause 0x1
	s_load_b32 s6, s[0:1], 0x38
	s_load_b32 s19, s[0:1], 0x1c
	s_ashr_i32 s7, s3, 31
	v_add_nc_u32_e32 v1, s12, v1
	s_lshr_b32 s7, s7, 27
	s_waitcnt lgkmcnt(0)
	s_add_i32 s3, s3, s7
	s_barrier
	v_ashrrev_i32_e32 v2, 31, v1
	v_or_b32_e32 v3, 16, v1
	s_ashr_i32 s3, s3, 5
	v_cmp_gt_i32_e32 vcc_lo, s24, v1
	s_add_i32 s3, s3, -1
	v_lshrrev_b32_e32 v2, 27, v2
	buffer_gl0_inv
	s_mul_i32 s27, s15, s18
	v_add_nc_u32_e32 v4, v1, v2
	s_mul_i32 s6, s34, s6
	s_delay_alu instid0(SALU_CYCLE_1) | instskip(NEXT) | instid1(VALU_DEP_1)
	s_ashr_i32 s7, s6, 31
	v_ashrrev_i32_e32 v4, 5, v4
	v_add_nc_u32_e32 v2, v3, v2
	s_lshl_b64 s[6:7], s[6:7], 2
	s_delay_alu instid0(SALU_CYCLE_1) | instskip(NEXT) | instid1(VALU_DEP_2)
	s_add_u32 s26, s4, s6
	v_cndmask_b32_e32 v1, s3, v4, vcc_lo
	s_delay_alu instid0(VALU_DEP_2)
	v_ashrrev_i32_e32 v2, 5, v2
	v_cmp_gt_i32_e32 vcc_lo, s24, v3
	s_addc_u32 s25, s5, s7
	s_ashr_i32 s28, s27, 31
	s_add_u32 s4, s20, s27
	s_addc_u32 s5, s21, s28
	v_cndmask_b32_e32 v3, s3, v2, vcc_lo
	v_ashrrev_i32_e32 v2, 31, v1
	s_lshl_b32 s6, s14, 3
	s_delay_alu instid0(SALU_CYCLE_1) | instskip(NEXT) | instid1(VALU_DEP_2)
	s_ashr_i32 s7, s6, 31
	v_ashrrev_i32_e32 v4, 31, v3
	s_delay_alu instid0(VALU_DEP_2) | instskip(SKIP_1) | instid1(SALU_CYCLE_1)
	v_lshlrev_b64 v[1:2], 2, v[1:2]
	s_lshl_b64 s[6:7], s[6:7], 2
	s_add_u32 s6, s26, s6
	s_delay_alu instid0(VALU_DEP_2) | instskip(SKIP_1) | instid1(VALU_DEP_2)
	v_lshlrev_b64 v[3:4], 2, v[3:4]
	s_addc_u32 s7, s25, s7
	v_add_co_u32 v1, vcc_lo, s26, v1
	v_add_co_ci_u32_e32 v2, vcc_lo, s25, v2, vcc_lo
	s_delay_alu instid0(VALU_DEP_3) | instskip(NEXT) | instid1(VALU_DEP_4)
	v_add_co_u32 v3, vcc_lo, s26, v3
	v_add_co_ci_u32_e32 v4, vcc_lo, s25, v4, vcc_lo
	s_clause 0x1
	global_load_b32 v5, v[1:2], off
	global_load_b32 v6, v[3:4], off
	s_or_b32 s8, s12, 32
	s_delay_alu instid0(SALU_CYCLE_1) | instskip(SKIP_2) | instid1(SALU_CYCLE_1)
	s_ashr_i32 s9, s8, 5
	s_cmp_lt_i32 s8, s24
	s_cselect_b32 s8, s9, s3
	s_ashr_i32 s9, s8, 31
	s_delay_alu instid0(SALU_CYCLE_1) | instskip(NEXT) | instid1(SALU_CYCLE_1)
	s_lshl_b64 s[8:9], s[8:9], 2
	s_add_u32 s8, s26, s8
	s_addc_u32 s9, s25, s9
	s_or_b32 s10, s12, 64
	s_delay_alu instid0(SALU_CYCLE_1) | instskip(SKIP_2) | instid1(SALU_CYCLE_1)
	s_ashr_i32 s11, s10, 5
	s_cmp_lt_i32 s10, s24
	s_cselect_b32 s10, s11, s3
	s_ashr_i32 s11, s10, 31
	s_delay_alu instid0(SALU_CYCLE_1) | instskip(NEXT) | instid1(SALU_CYCLE_1)
	s_lshl_b64 s[10:11], s[10:11], 2
	s_add_u32 s10, s26, s10
	s_addc_u32 s11, s25, s11
	;; [unrolled: 10-line block ×5, first 2 shown]
	s_clause 0x5
	s_load_b32 s21, s[6:7], 0x0
	s_load_b32 s13, s[8:9], 0x0
	;; [unrolled: 1-line block ×6, first 2 shown]
	s_or_b32 s7, s12, 0xc0
	s_delay_alu instid0(SALU_CYCLE_1) | instskip(SKIP_2) | instid1(SALU_CYCLE_1)
	s_ashr_i32 s8, s7, 5
	s_cmp_lt_i32 s7, s24
	s_cselect_b32 s10, s8, s3
	s_ashr_i32 s11, s10, 31
	s_delay_alu instid0(SALU_CYCLE_1) | instskip(NEXT) | instid1(SALU_CYCLE_1)
	s_lshl_b64 s[36:37], s[10:11], 2
	s_add_u32 s36, s26, s36
	s_addc_u32 s37, s25, s37
	s_or_b32 s29, s12, 0xe0
	s_delay_alu instid0(SALU_CYCLE_1)
	s_ashr_i32 s30, s29, 5
	s_cmp_lt_i32 s29, s24
	s_waitcnt vmcnt(1)
	v_mad_i64_i32 v[1:2], null, v5, s17, s[4:5]
	s_waitcnt vmcnt(0)
	v_mad_i64_i32 v[3:4], null, v6, s17, s[4:5]
	s_mov_b32 s4, 0
	s_delay_alu instid0(SALU_CYCLE_1)
	s_mov_b32 s5, s4
	s_mov_b32 s6, s4
	;; [unrolled: 1-line block ×7, first 2 shown]
	v_lshlrev_b32_e32 v5, 4, v65
	v_dual_mov_b32 v107, s11 :: v_dual_mov_b32 v100, s4
	v_mov_b32_e32 v102, s6
	v_mov_b32_e32 v106, s10
	s_delay_alu instid0(VALU_DEP_4)
	v_add_co_u32 v1, vcc_lo, v1, v5
	v_add_co_ci_u32_e32 v2, vcc_lo, 0, v2, vcc_lo
	v_add_co_u32 v3, vcc_lo, v3, v5
	v_add_co_ci_u32_e32 v4, vcc_lo, 0, v4, vcc_lo
	s_clause 0x7
	global_load_b128 v[49:52], v[1:2], off
	global_load_b128 v[53:56], v[1:2], off offset:512
	global_load_b128 v[76:79], v[3:4], off offset:256
	;; [unrolled: 1-line block ×7, first 2 shown]
	v_cmp_ne_u32_e32 vcc_lo, 15, v65
	v_dual_mov_b32 v104, s8 :: v_dual_mov_b32 v103, s7
	v_dual_mov_b32 v101, s5 :: v_dual_lshlrev_b32 v2, 5, v65
	v_cndmask_b32_e32 v1, 0, v65, vcc_lo
	v_mov_b32_e32 v105, s9
	s_cselect_b32 s4, s30, s3
	s_load_b32 s3, s[36:37], 0x0
	s_ashr_i32 s5, s4, 31
	v_lshlrev_b32_e32 v70, 6, v1
	s_lshl_b64 s[4:5], s[4:5], 2
	v_lshl_or_b32 v1, v66, 9, v2
	s_add_u32 s4, s26, s4
	s_addc_u32 s5, s25, s5
	ds_load_b128 v[108:111], v70
	ds_load_b128 v[112:115], v70 offset:1024
	s_load_b32 s4, s[4:5], 0x0
	s_add_u32 s6, s22, s27
	s_addc_u32 s7, s23, s28
	v_add_co_u32 v9, s6, s6, v1
	s_delay_alu instid0(VALU_DEP_1) | instskip(SKIP_1) | instid1(VALU_DEP_1)
	v_add_co_ci_u32_e64 v10, null, s7, 0, s6
	s_waitcnt lgkmcnt(0)
	v_mad_i64_i32 v[1:2], null, s21, s17, v[9:10]
	v_mad_i64_i32 v[3:4], null, s13, s17, v[9:10]
	;; [unrolled: 1-line block ×7, first 2 shown]
	s_clause 0x9
	global_load_b128 v[57:60], v[1:2], off
	global_load_b128 v[61:64], v[1:2], off offset:16
	global_load_b128 v[41:44], v[3:4], off
	global_load_b128 v[45:48], v[3:4], off offset:16
	;; [unrolled: 2-line block ×5, first 2 shown]
	v_mad_i64_i32 v[68:69], null, s4, s17, v[9:10]
	s_clause 0x3
	global_load_b128 v[9:12], v[13:14], off
	global_load_b128 v[13:16], v[13:14], off offset:16
	global_load_b128 v[17:20], v[21:22], off
	global_load_b128 v[21:24], v[21:22], off offset:16
	s_waitcnt vmcnt(20)
	v_wmma_f32_16x16x16_bf16 v[116:123], v[49:56], v[108:115], v[100:107]
	s_clause 0x1
	global_load_b128 v[49:52], v[68:69], off
	global_load_b128 v[53:56], v[68:69], off offset:16
	v_and_b32_e32 v68, 0xe0, v0
	v_mbcnt_lo_u32_b32 v69, -1, 0
	s_delay_alu instid0(VALU_DEP_2)
	v_add_nc_u32_e32 v68, s12, v68
	s_waitcnt vmcnt(20)
	v_wmma_f32_16x16x16_bf16 v[100:107], v[76:83], v[108:115], v[100:107]
	ds_load_b128 v[76:79], v70 offset:2048
	ds_load_b128 v[80:83], v70 offset:3072
	v_xor_b32_e32 v70, 16, v69
	s_waitcnt vmcnt(0) lgkmcnt(0)
	v_or_b32_e32 v68, v68, v74
	s_barrier
	buffer_gl0_inv
	v_cmp_gt_i32_e32 vcc_lo, 32, v70
	v_or_b32_e32 v71, 4, v68
	v_or_b32_e32 v72, 6, v68
	v_cmp_gt_i32_e64 s3, s24, v68
	v_or_b32_e32 v108, 8, v68
	v_or_b32_e32 v109, 10, v68
	v_cmp_gt_i32_e64 s4, s24, v71
	v_cmp_gt_i32_e64 s5, s24, v72
	s_delay_alu instid0(VALU_DEP_4) | instskip(NEXT) | instid1(VALU_DEP_4)
	v_cmp_gt_i32_e64 s6, s24, v108
	v_cmp_gt_i32_e64 s7, s24, v109
	v_wmma_f32_16x16x16_bf16 v[116:123], v[84:91], v[76:83], v[116:123]
	v_cndmask_b32_e32 v69, v69, v70, vcc_lo
	v_or_b32_e32 v70, 2, v68
	v_wmma_f32_16x16x16_bf16 v[100:107], v[92:99], v[76:83], v[100:107]
	v_or_b32_e32 v84, 12, v68
	v_dual_mul_f32 v78, s19, v123 :: v_dual_mul_f32 v83, s19, v118
	v_dual_mul_f32 v92, s19, v117 :: v_dual_mul_f32 v93, s19, v116
	s_delay_alu instid0(VALU_DEP_4) | instskip(SKIP_2) | instid1(VALU_DEP_4)
	v_mul_f32_e32 v94, s19, v107
	v_cmp_gt_i32_e32 vcc_lo, s24, v70
	v_dual_mul_f32 v81, s19, v120 :: v_dual_mul_f32 v82, s19, v119
	v_cndmask_b32_e64 v93, 0xff7fffff, v93, s3
	v_or_b32_e32 v85, 14, v68
	v_cndmask_b32_e32 v92, 0xff7fffff, v92, vcc_lo
	v_dual_mul_f32 v79, s19, v122 :: v_dual_mul_f32 v80, s19, v121
	v_cndmask_b32_e64 v71, 0xff7fffff, v83, s4
	v_cndmask_b32_e64 v72, 0xff7fffff, v82, s5
	s_delay_alu instid0(VALU_DEP_4)
	v_max3_f32 v82, v93, 0xff7fffff, v92
	v_or_b32_e32 v86, 16, v68
	v_or_b32_e32 v87, 18, v68
	v_cndmask_b32_e64 v81, 0xff7fffff, v81, s6
	v_cndmask_b32_e64 v80, 0xff7fffff, v80, s7
	v_max3_f32 v71, v82, v71, v72
	v_cmp_gt_i32_e64 s8, s24, v84
	v_cmp_gt_i32_e64 s9, s24, v85
	v_or_b32_e32 v88, 20, v68
	v_or_b32_e32 v89, 22, v68
	;; [unrolled: 1-line block ×6, first 2 shown]
	v_dual_mul_f32 v99, s19, v102 :: v_dual_mul_f32 v70, s19, v101
	v_mul_f32_e32 v68, s19, v100
	v_cndmask_b32_e64 v72, 0xff7fffff, v79, s8
	v_cndmask_b32_e64 v78, 0xff7fffff, v78, s9
	v_max3_f32 v71, v71, v81, v80
	v_cmp_gt_i32_e64 s10, s24, v86
	v_cmp_gt_i32_e64 s11, s24, v87
	v_dual_mul_f32 v97, s19, v104 :: v_dual_mul_f32 v98, s19, v103
	s_delay_alu instid0(VALU_DEP_4) | instskip(SKIP_1) | instid1(VALU_DEP_4)
	v_max3_f32 v71, v71, v72, v78
	v_cmp_gt_i32_e64 s12, s24, v88
	v_cndmask_b32_e64 v70, 0xff7fffff, v70, s11
	v_cmp_gt_i32_e64 s13, s24, v89
	v_lshlrev_b32_e32 v89, 2, v69
	v_cndmask_b32_e64 v68, 0xff7fffff, v68, s10
	v_dual_mul_f32 v95, s19, v106 :: v_dual_mul_f32 v96, s19, v105
	v_cndmask_b32_e64 v72, 0xff7fffff, v99, s12
	v_cndmask_b32_e64 v78, 0xff7fffff, v98, s13
	s_delay_alu instid0(VALU_DEP_4)
	v_max3_f32 v68, v71, v68, v70
	v_cmp_gt_i32_e64 s15, s24, v90
	v_cmp_gt_i32_e64 s16, s24, v91
	;; [unrolled: 1-line block ×4, first 2 shown]
	v_max3_f32 v68, v68, v72, v78
	v_cndmask_b32_e64 v70, 0xff7fffff, v97, s15
	v_cndmask_b32_e64 v71, 0xff7fffff, v96, s16
	;; [unrolled: 1-line block ×4, first 2 shown]
	s_delay_alu instid0(VALU_DEP_3) | instskip(NEXT) | instid1(VALU_DEP_1)
	v_max3_f32 v68, v68, v70, v71
	v_max3_f32 v68, v68, v72, v76
	ds_bpermute_b32 v69, v89, v68
	s_waitcnt lgkmcnt(0)
	v_max_f32_e32 v69, v69, v69
	s_delay_alu instid0(VALU_DEP_1) | instskip(NEXT) | instid1(VALU_DEP_1)
	v_max_f32_e32 v68, v68, v69
	v_fma_f32 v71, s19, v118, -v68
	s_delay_alu instid0(VALU_DEP_1)
	v_mul_f32_e32 v71, 0x3fb8aa3b, v71
	v_fma_f32 v69, s19, v116, -v68
	v_fma_f32 v70, s19, v117, -v68
	;; [unrolled: 1-line block ×4, first 2 shown]
	v_exp_f32_e32 v71, v71
	s_delay_alu instid0(VALU_DEP_3) | instskip(SKIP_2) | instid1(VALU_DEP_3)
	v_dual_mul_f32 v69, 0x3fb8aa3b, v69 :: v_dual_mul_f32 v70, 0x3fb8aa3b, v70
	v_fma_f32 v78, s19, v122, -v68
	v_fma_f32 v81, s19, v105, -v68
	v_exp_f32_e32 v69, v69
	s_delay_alu instid0(VALU_DEP_3) | instskip(SKIP_1) | instid1(VALU_DEP_2)
	v_exp_f32_e32 v70, v70
	v_mul_f32_e32 v77, 0x3fb8aa3b, v76
	v_mul_f32_e32 v81, 0x3fb8aa3b, v81
	s_delay_alu instid0(TRANS32_DEP_3) | instskip(SKIP_1) | instid1(VALU_DEP_3)
	v_cndmask_b32_e64 v83, 0, v71, s4
	v_fma_f32 v71, s19, v123, -v68
	v_exp_f32_e32 v81, v81
	s_delay_alu instid0(TRANS32_DEP_3) | instskip(NEXT) | instid1(TRANS32_DEP_2)
	v_cndmask_b32_e64 v80, 0, v69, s3
	v_cndmask_b32_e32 v76, 0, v70, vcc_lo
	v_fma_f32 v69, s19, v121, -v68
	v_mul_f32_e32 v72, 0x3fb8aa3b, v72
	v_exp_f32_e32 v77, v77
	v_dual_add_f32 v70, 0, v80 :: v_dual_mul_f32 v71, 0x3fb8aa3b, v71
	s_delay_alu instid0(VALU_DEP_3) | instskip(NEXT) | instid1(VALU_DEP_3)
	v_mul_f32_e32 v69, 0x3fb8aa3b, v69
	v_exp_f32_e32 v72, v72
	v_cmp_gt_u32_e64 s3, 16, v67
	s_delay_alu instid0(VALU_DEP_3) | instskip(NEXT) | instid1(VALU_DEP_2)
	v_exp_f32_e32 v71, v71
	v_exp_f32_e32 v69, v69
	v_cndmask_b32_e64 v86, 0, v77, s6
	v_fma_f32 v77, s19, v101, -v68
	v_add_f32_e32 v70, v70, v76
	s_delay_alu instid0(TRANS32_DEP_3) | instskip(SKIP_1) | instid1(VALU_DEP_3)
	v_cndmask_b32_e64 v85, 0, v72, s5
	v_fma_f32 v72, s19, v100, -v68
	v_dual_mul_f32 v77, 0x3fb8aa3b, v77 :: v_dual_add_f32 v70, v70, v83
	s_delay_alu instid0(TRANS32_DEP_2) | instskip(SKIP_1) | instid1(TRANS32_DEP_1)
	v_cndmask_b32_e64 v88, 0, v71, s9
	v_fma_f32 v71, s19, v104, -v68
	v_cndmask_b32_e64 v87, 0, v69, s7
	s_delay_alu instid0(VALU_DEP_4) | instskip(NEXT) | instid1(VALU_DEP_2)
	v_exp_f32_e32 v77, v77
	v_dual_add_f32 v70, v70, v85 :: v_dual_mul_f32 v71, 0x3fb8aa3b, v71
	s_delay_alu instid0(VALU_DEP_1) | instskip(SKIP_2) | instid1(VALU_DEP_3)
	v_dual_mul_f32 v72, 0x3fb8aa3b, v72 :: v_dual_add_f32 v69, v70, v86
	v_mul_f32_e32 v78, 0x3fb8aa3b, v78
	v_fma_f32 v70, s19, v102, -v68
	v_exp_f32_e32 v72, v72
	v_exp_f32_e32 v82, v71
	v_add_f32_e32 v69, v69, v87
	v_exp_f32_e32 v78, v78
	v_mul_f32_e32 v70, 0x3fb8aa3b, v70
	s_delay_alu instid0(VALU_DEP_1) | instskip(SKIP_4) | instid1(VALU_DEP_2)
	v_exp_f32_e32 v79, v70
	v_cndmask_b32_e64 v70, 0, v72, s10
	s_waitcnt_depctr 0xfff
	v_cndmask_b32_e64 v84, 0, v78, s8
	v_fma_f32 v78, s19, v103, -v68
	v_add_f32_e32 v69, v69, v84
	v_cndmask_b32_e64 v71, 0, v79, s12
	s_delay_alu instid0(VALU_DEP_2) | instskip(SKIP_2) | instid1(VALU_DEP_1)
	v_add_f32_e32 v72, v69, v88
	v_cndmask_b32_e64 v69, 0, v77, s11
	v_fma_f32 v77, s19, v106, -v68
	v_dual_mul_f32 v77, 0x3fb8aa3b, v77 :: v_dual_add_f32 v72, v72, v70
	v_mul_f32_e32 v78, 0x3fb8aa3b, v78
	s_delay_alu instid0(VALU_DEP_2) | instskip(NEXT) | instid1(VALU_DEP_2)
	v_exp_f32_e32 v90, v77
	v_add_f32_e32 v79, v72, v69
	s_delay_alu instid0(VALU_DEP_2)
	v_exp_f32_e32 v78, v78
	v_cndmask_b32_e64 v77, 0, v82, s15
	s_waitcnt_depctr 0xfff
	v_cndmask_b32_e64 v72, 0, v78, s13
	v_add_f32_e32 v78, v79, v71
	v_fma_f32 v79, s19, v107, -v68
	s_delay_alu instid0(VALU_DEP_1) | instskip(SKIP_1) | instid1(VALU_DEP_2)
	v_dual_add_f32 v82, v78, v72 :: v_dual_mul_f32 v79, 0x3fb8aa3b, v79
	v_cndmask_b32_e64 v78, 0, v81, s16
	v_add_f32_e32 v81, v82, v77
	s_delay_alu instid0(VALU_DEP_3) | instskip(SKIP_1) | instid1(VALU_DEP_2)
	v_exp_f32_e32 v82, v79
	v_cndmask_b32_e64 v79, 0, v90, s17
	v_add_f32_e32 v81, v81, v78
	s_delay_alu instid0(VALU_DEP_1) | instskip(SKIP_2) | instid1(VALU_DEP_1)
	v_add_f32_e32 v90, v81, v79
	s_waitcnt_depctr 0xfff
	v_cndmask_b32_e64 v81, 0, v82, s18
	v_add_f32_e32 v82, v90, v81
	ds_bpermute_b32 v89, v89, v82
	s_and_saveexec_b32 s4, s3
	s_cbranch_execz .LBB1756_12
; %bb.11:
	v_mul_u32_u24_e32 v67, 0x44, v66
	s_delay_alu instid0(VALU_DEP_1) | instskip(SKIP_1) | instid1(VALU_DEP_1)
	v_lshl_add_u32 v67, v65, 2, v67
	s_waitcnt lgkmcnt(0)
	v_dual_add_f32 v82, v82, v89 :: v_dual_add_nc_u32 v67, 0x4000, v67
	ds_store_2addr_b32 v67, v68, v82 offset1:136
.LBB1756_12:
	s_or_b32 exec_lo, exec_lo, s4
	v_lshlrev_b32_e32 v67, 2, v65
	s_waitcnt lgkmcnt(0)
	s_barrier
	buffer_gl0_inv
	v_cmp_eq_u32_e32 vcc_lo, 1, v66
	v_add_nc_u32_e32 v82, 0x4000, v67
	v_cmp_eq_u32_e64 s4, 2, v66
	v_cmp_eq_u32_e64 s6, 7, v66
	ds_load_2addr_b32 v[89:90], v82 offset1:17
	ds_load_2addr_b32 v[91:92], v82 offset0:34 offset1:51
	ds_load_2addr_b32 v[93:94], v82 offset0:68 offset1:85
	ds_load_2addr_b32 v[95:96], v82 offset0:102 offset1:119
	ds_load_2addr_b32 v[97:98], v82 offset0:136 offset1:153
	s_waitcnt lgkmcnt(4)
	v_max3_f32 v67, v89, 0xff7fffff, v90
	s_waitcnt lgkmcnt(3)
	s_delay_alu instid0(VALU_DEP_1) | instskip(SKIP_1) | instid1(VALU_DEP_1)
	v_max3_f32 v67, v67, v91, v92
	s_waitcnt lgkmcnt(2)
	v_max3_f32 v67, v67, v93, v94
	s_waitcnt lgkmcnt(1)
	s_delay_alu instid0(VALU_DEP_1) | instskip(NEXT) | instid1(VALU_DEP_1)
	v_max3_f32 v67, v67, v95, v96
	v_sub_f32_e32 v93, v93, v67
	s_delay_alu instid0(VALU_DEP_1) | instskip(NEXT) | instid1(VALU_DEP_1)
	v_dual_sub_f32 v68, v89, v67 :: v_dual_mul_f32 v103, 0x3fb8aa3b, v93
	v_mul_f32_e32 v68, 0x3fb8aa3b, v68
	s_delay_alu instid0(VALU_DEP_1)
	v_exp_f32_e32 v100, v68
	v_sub_f32_e32 v68, v92, v67
	v_sub_f32_e32 v99, v90, v67
	ds_load_2addr_b32 v[89:90], v82 offset0:170 offset1:187
	v_dual_mul_f32 v102, 0x3fb8aa3b, v68 :: v_dual_mul_f32 v99, 0x3fb8aa3b, v99
	s_waitcnt lgkmcnt(1)
	v_fma_f32 v68, v100, v97, 0
	s_delay_alu instid0(VALU_DEP_2) | instskip(NEXT) | instid1(VALU_DEP_2)
	v_exp_f32_e32 v102, v102
	v_exp_f32_e32 v99, v99
	s_waitcnt_depctr 0xfff
	v_fmac_f32_e32 v68, v99, v98
	v_sub_f32_e32 v91, v91, v67
	s_delay_alu instid0(VALU_DEP_1)
	v_mul_f32_e32 v101, 0x3fb8aa3b, v91
	ds_load_2addr_b32 v[91:92], v82 offset0:204 offset1:221
	v_sub_f32_e32 v97, v94, v67
	ds_load_2addr_b32 v[93:94], v82 offset0:238 offset1:255
	s_waitcnt lgkmcnt(0)
	v_exp_f32_e32 v101, v101
	s_barrier
	buffer_gl0_inv
	v_dual_fmac_f32 v68, v101, v89 :: v_dual_sub_f32 v89, v96, v67
	v_dual_sub_f32 v82, v95, v67 :: v_dual_mul_f32 v95, 0x3fb8aa3b, v97
	v_exp_f32_e32 v97, v103
	s_delay_alu instid0(VALU_DEP_2) | instskip(NEXT) | instid1(VALU_DEP_2)
	v_dual_fmac_f32 v68, v102, v90 :: v_dual_mul_f32 v89, 0x3fb8aa3b, v89
	v_mul_f32_e32 v82, 0x3fb8aa3b, v82
	s_delay_alu instid0(VALU_DEP_3) | instskip(NEXT) | instid1(VALU_DEP_2)
	v_exp_f32_e32 v95, v95
	v_exp_f32_e32 v89, v89
	s_delay_alu instid0(VALU_DEP_1)
	v_exp_f32_e32 v82, v82
	v_fmac_f32_e32 v68, v97, v91
	s_delay_alu instid0(TRANS32_DEP_3) | instid1(VALU_DEP_1)
	v_fmac_f32_e32 v68, v95, v92
	s_waitcnt_depctr 0xfff
	v_fmac_f32_e32 v68, v82, v93
	s_delay_alu instid0(VALU_DEP_1) | instskip(NEXT) | instid1(VALU_DEP_1)
	v_fmac_f32_e32 v68, v89, v94
	v_add_f32_e32 v90, 0x358637bd, v68
	s_delay_alu instid0(VALU_DEP_1) | instskip(NEXT) | instid1(VALU_DEP_1)
	v_div_scale_f32 v91, null, v90, v90, 1.0
	v_rcp_f32_e32 v92, v91
	s_waitcnt_depctr 0xfff
	v_fma_f32 v93, -v91, v92, 1.0
	s_delay_alu instid0(VALU_DEP_1) | instskip(SKIP_1) | instid1(VALU_DEP_2)
	v_dual_fmac_f32 v92, v93, v92 :: v_dual_cndmask_b32 v93, v100, v99
	v_cmp_eq_u32_e32 vcc_lo, 3, v66
	v_cndmask_b32_e64 v93, v93, v101, s4
	v_cmp_eq_u32_e64 s4, 4, v66
	s_delay_alu instid0(VALU_DEP_2) | instskip(SKIP_1) | instid1(VALU_DEP_2)
	v_cndmask_b32_e32 v93, v93, v102, vcc_lo
	v_cmp_eq_u32_e32 vcc_lo, 5, v66
	v_cndmask_b32_e64 v93, v93, v97, s4
	v_cmp_eq_u32_e64 s4, 6, v66
	s_delay_alu instid0(VALU_DEP_2) | instskip(SKIP_1) | instid1(VALU_DEP_1)
	v_cndmask_b32_e32 v93, v93, v95, vcc_lo
	v_div_scale_f32 v94, s5, 1.0, v90, 1.0
	s_mov_b32 vcc_lo, s5
	s_delay_alu instid0(VALU_DEP_2) | instskip(NEXT) | instid1(VALU_DEP_2)
	v_cndmask_b32_e64 v82, v93, v82, s4
	v_mul_f32_e32 v96, v94, v92
	s_mov_b32 s4, exec_lo
	s_delay_alu instid0(VALU_DEP_2) | instskip(NEXT) | instid1(VALU_DEP_2)
	v_cndmask_b32_e64 v82, v82, v89, s6
	v_fma_f32 v98, -v91, v96, v94
	s_delay_alu instid0(VALU_DEP_1) | instskip(NEXT) | instid1(VALU_DEP_1)
	v_fmac_f32_e32 v96, v98, v92
	v_fma_f32 v91, -v91, v96, v94
	s_delay_alu instid0(VALU_DEP_1) | instskip(NEXT) | instid1(VALU_DEP_1)
	v_div_fmas_f32 v91, v91, v92, v96
	v_div_fixup_f32 v90, v91, v90, 1.0
	s_delay_alu instid0(VALU_DEP_1) | instskip(NEXT) | instid1(VALU_DEP_1)
	v_mul_f32_e32 v82, v82, v90
	v_mul_f32_e32 v87, v82, v87
	;; [unrolled: 1-line block ×7, first 2 shown]
	v_dual_mul_f32 v86, v82, v83 :: v_dual_and_b32 v91, 0x7f800000, v90
	v_mul_f32_e32 v85, v82, v76
                                        ; implicit-def: $vgpr76
	s_delay_alu instid0(VALU_DEP_2)
	v_cmpx_ne_u32_e32 0x7f800000, v91
	s_xor_b32 s4, exec_lo, s4
; %bb.13:
	v_bfe_u32 v76, v90, 16, 1
	s_delay_alu instid0(VALU_DEP_1)
	v_add3_u32 v76, v90, v76, 0x7fff
                                        ; implicit-def: $vgpr90
; %bb.14:
	s_and_not1_saveexec_b32 s4, s4
; %bb.15:
	v_and_b32_e32 v76, 0xffff, v90
	v_or_b32_e32 v83, 0x10000, v90
	s_delay_alu instid0(VALU_DEP_2) | instskip(NEXT) | instid1(VALU_DEP_2)
	v_cmp_eq_u32_e32 vcc_lo, 0, v76
	v_cndmask_b32_e32 v76, v83, v90, vcc_lo
; %bb.16:
	s_or_b32 exec_lo, exec_lo, s4
	v_and_b32_e32 v83, 0x7f800000, v85
	s_delay_alu instid0(VALU_DEP_1) | instskip(SKIP_1) | instid1(SALU_CYCLE_1)
	v_cmp_ne_u32_e32 vcc_lo, 0x7f800000, v83
                                        ; implicit-def: $vgpr83
	s_and_saveexec_b32 s4, vcc_lo
	s_xor_b32 s4, exec_lo, s4
; %bb.17:
	v_bfe_u32 v83, v85, 16, 1
	s_delay_alu instid0(VALU_DEP_1)
	v_add3_u32 v83, v85, v83, 0x7fff
                                        ; implicit-def: $vgpr85
; %bb.18:
	s_and_not1_saveexec_b32 s4, s4
; %bb.19:
	v_and_b32_e32 v83, 0xffff, v85
	v_or_b32_e32 v90, 0x10000, v85
	s_delay_alu instid0(VALU_DEP_2) | instskip(NEXT) | instid1(VALU_DEP_2)
	v_cmp_eq_u32_e32 vcc_lo, 0, v83
	v_cndmask_b32_e32 v83, v90, v85, vcc_lo
; %bb.20:
	s_or_b32 exec_lo, exec_lo, s4
	v_and_b32_e32 v85, 0x7f800000, v86
	s_delay_alu instid0(VALU_DEP_1) | instskip(SKIP_1) | instid1(SALU_CYCLE_1)
	v_cmp_ne_u32_e32 vcc_lo, 0x7f800000, v85
                                        ; implicit-def: $vgpr85
	s_and_saveexec_b32 s4, vcc_lo
	s_xor_b32 s4, exec_lo, s4
; %bb.21:
	v_bfe_u32 v85, v86, 16, 1
	s_delay_alu instid0(VALU_DEP_1)
	v_add3_u32 v85, v86, v85, 0x7fff
                                        ; implicit-def: $vgpr86
; %bb.22:
	s_and_not1_saveexec_b32 s4, s4
; %bb.23:
	v_and_b32_e32 v85, 0xffff, v86
	v_or_b32_e32 v90, 0x10000, v86
	s_delay_alu instid0(VALU_DEP_2) | instskip(NEXT) | instid1(VALU_DEP_2)
	v_cmp_eq_u32_e32 vcc_lo, 0, v85
	v_cndmask_b32_e32 v85, v90, v86, vcc_lo
; %bb.24:
	s_or_b32 exec_lo, exec_lo, s4
	v_and_b32_e32 v86, 0x7f800000, v89
	s_delay_alu instid0(VALU_DEP_1) | instskip(SKIP_1) | instid1(SALU_CYCLE_1)
	v_cmp_ne_u32_e32 vcc_lo, 0x7f800000, v86
                                        ; implicit-def: $vgpr86
	s_and_saveexec_b32 s4, vcc_lo
	s_xor_b32 s4, exec_lo, s4
; %bb.25:
	v_bfe_u32 v86, v89, 16, 1
	s_delay_alu instid0(VALU_DEP_1)
	v_add3_u32 v86, v89, v86, 0x7fff
                                        ; implicit-def: $vgpr89
; %bb.26:
	s_and_not1_saveexec_b32 s4, s4
; %bb.27:
	v_and_b32_e32 v86, 0xffff, v89
	v_or_b32_e32 v90, 0x10000, v89
	s_delay_alu instid0(VALU_DEP_2) | instskip(NEXT) | instid1(VALU_DEP_2)
	v_cmp_eq_u32_e32 vcc_lo, 0, v86
	v_cndmask_b32_e32 v86, v90, v89, vcc_lo
; %bb.28:
	s_or_b32 exec_lo, exec_lo, s4
	v_and_b32_e32 v89, 0x7f800000, v88
	s_delay_alu instid0(VALU_DEP_1) | instskip(SKIP_1) | instid1(SALU_CYCLE_1)
	v_cmp_ne_u32_e32 vcc_lo, 0x7f800000, v89
                                        ; implicit-def: $vgpr89
	s_and_saveexec_b32 s4, vcc_lo
	s_xor_b32 s4, exec_lo, s4
; %bb.29:
	v_bfe_u32 v89, v88, 16, 1
	s_delay_alu instid0(VALU_DEP_1)
	v_add3_u32 v89, v88, v89, 0x7fff
                                        ; implicit-def: $vgpr88
; %bb.30:
	s_and_not1_saveexec_b32 s4, s4
; %bb.31:
	v_and_b32_e32 v89, 0xffff, v88
	v_or_b32_e32 v90, 0x10000, v88
	s_delay_alu instid0(VALU_DEP_2) | instskip(NEXT) | instid1(VALU_DEP_2)
	v_cmp_eq_u32_e32 vcc_lo, 0, v89
	v_cndmask_b32_e32 v89, v90, v88, vcc_lo
; %bb.32:
	s_or_b32 exec_lo, exec_lo, s4
	v_and_b32_e32 v88, 0x7f800000, v87
	s_delay_alu instid0(VALU_DEP_1) | instskip(SKIP_1) | instid1(SALU_CYCLE_1)
	v_cmp_ne_u32_e32 vcc_lo, 0x7f800000, v88
                                        ; implicit-def: $vgpr88
	s_and_saveexec_b32 s4, vcc_lo
	s_xor_b32 s4, exec_lo, s4
; %bb.33:
	v_bfe_u32 v88, v87, 16, 1
	s_delay_alu instid0(VALU_DEP_1)
	v_add3_u32 v88, v87, v88, 0x7fff
                                        ; implicit-def: $vgpr87
; %bb.34:
	s_and_not1_saveexec_b32 s4, s4
; %bb.35:
	v_and_b32_e32 v88, 0xffff, v87
	v_or_b32_e32 v90, 0x10000, v87
	s_delay_alu instid0(VALU_DEP_2) | instskip(NEXT) | instid1(VALU_DEP_2)
	v_cmp_eq_u32_e32 vcc_lo, 0, v88
	v_cndmask_b32_e32 v88, v90, v87, vcc_lo
; %bb.36:
	s_or_b32 exec_lo, exec_lo, s4
	v_and_b32_e32 v87, 0x7f800000, v84
	s_delay_alu instid0(VALU_DEP_1) | instskip(SKIP_1) | instid1(SALU_CYCLE_1)
	v_cmp_ne_u32_e32 vcc_lo, 0x7f800000, v87
                                        ; implicit-def: $vgpr87
	s_and_saveexec_b32 s4, vcc_lo
	s_xor_b32 s4, exec_lo, s4
; %bb.37:
	v_bfe_u32 v87, v84, 16, 1
	s_delay_alu instid0(VALU_DEP_1)
	v_add3_u32 v87, v84, v87, 0x7fff
                                        ; implicit-def: $vgpr84
; %bb.38:
	s_and_not1_saveexec_b32 s4, s4
; %bb.39:
	v_and_b32_e32 v87, 0xffff, v84
	v_or_b32_e32 v90, 0x10000, v84
	s_delay_alu instid0(VALU_DEP_2) | instskip(NEXT) | instid1(VALU_DEP_2)
	v_cmp_eq_u32_e32 vcc_lo, 0, v87
	v_cndmask_b32_e32 v87, v90, v84, vcc_lo
; %bb.40:
	s_or_b32 exec_lo, exec_lo, s4
	v_and_b32_e32 v84, 0x7f800000, v80
	s_delay_alu instid0(VALU_DEP_1) | instskip(SKIP_1) | instid1(SALU_CYCLE_1)
	v_cmp_ne_u32_e32 vcc_lo, 0x7f800000, v84
                                        ; implicit-def: $vgpr84
	s_and_saveexec_b32 s4, vcc_lo
	s_xor_b32 s4, exec_lo, s4
; %bb.41:
	v_bfe_u32 v84, v80, 16, 1
	s_delay_alu instid0(VALU_DEP_1)
	v_add3_u32 v84, v80, v84, 0x7fff
                                        ; implicit-def: $vgpr80
; %bb.42:
	s_and_not1_saveexec_b32 s4, s4
; %bb.43:
	v_and_b32_e32 v84, 0xffff, v80
	v_or_b32_e32 v90, 0x10000, v80
	s_delay_alu instid0(VALU_DEP_2) | instskip(NEXT) | instid1(VALU_DEP_2)
	v_cmp_eq_u32_e32 vcc_lo, 0, v84
	v_cndmask_b32_e32 v84, v90, v80, vcc_lo
; %bb.44:
	s_or_b32 exec_lo, exec_lo, s4
	s_load_b64 s[36:37], s[0:1], 0x94
	v_lshlrev_b32_e32 v91, 4, v74
	s_delay_alu instid0(VALU_DEP_2)
	v_perm_b32 v90, v84, v87, 0x7060302
	v_dual_mul_f32 v79, v82, v79 :: v_dual_lshlrev_b32 v80, 6, v65
	v_dual_mul_f32 v77, v82, v77 :: v_dual_lshlrev_b32 v92, 11, v66
	v_mul_f32_e32 v84, v82, v70
	v_perm_b32 v89, v88, v89, 0x7060302
	v_perm_b32 v88, v86, v85, 0x7060302
	;; [unrolled: 1-line block ×3, first 2 shown]
	v_mul_f32_e32 v70, v82, v81
	v_or3_b32 v76, v91, v92, v80
	v_dual_mul_f32 v78, v82, v78 :: v_dual_and_b32 v85, 0x7f800000, v84
	v_mul_f32_e32 v83, v82, v72
	v_mul_f32_e32 v81, v82, v71
	;; [unrolled: 1-line block ×3, first 2 shown]
	s_mov_b32 s4, exec_lo
	ds_store_b128 v76, v[87:90]
                                        ; implicit-def: $vgpr69
	v_cmpx_ne_u32_e32 0x7f800000, v85
	s_xor_b32 s4, exec_lo, s4
; %bb.45:
	v_bfe_u32 v69, v84, 16, 1
	s_delay_alu instid0(VALU_DEP_1)
	v_add3_u32 v69, v84, v69, 0x7fff
                                        ; implicit-def: $vgpr84
; %bb.46:
	s_and_not1_saveexec_b32 s4, s4
; %bb.47:
	v_and_b32_e32 v69, 0xffff, v84
	v_or_b32_e32 v71, 0x10000, v84
	s_delay_alu instid0(VALU_DEP_2) | instskip(NEXT) | instid1(VALU_DEP_2)
	v_cmp_eq_u32_e32 vcc_lo, 0, v69
	v_cndmask_b32_e32 v69, v71, v84, vcc_lo
; %bb.48:
	s_or_b32 exec_lo, exec_lo, s4
	v_and_b32_e32 v71, 0x7f800000, v72
	s_delay_alu instid0(VALU_DEP_1) | instskip(SKIP_1) | instid1(SALU_CYCLE_1)
	v_cmp_ne_u32_e32 vcc_lo, 0x7f800000, v71
                                        ; implicit-def: $vgpr71
	s_and_saveexec_b32 s4, vcc_lo
	s_xor_b32 s4, exec_lo, s4
; %bb.49:
	v_bfe_u32 v71, v72, 16, 1
	s_delay_alu instid0(VALU_DEP_1)
	v_add3_u32 v71, v72, v71, 0x7fff
                                        ; implicit-def: $vgpr72
; %bb.50:
	s_and_not1_saveexec_b32 s4, s4
; %bb.51:
	v_and_b32_e32 v71, 0xffff, v72
	v_or_b32_e32 v82, 0x10000, v72
	s_delay_alu instid0(VALU_DEP_2) | instskip(NEXT) | instid1(VALU_DEP_2)
	v_cmp_eq_u32_e32 vcc_lo, 0, v71
	v_cndmask_b32_e32 v71, v82, v72, vcc_lo
; %bb.52:
	s_or_b32 exec_lo, exec_lo, s4
	v_and_b32_e32 v72, 0x7f800000, v81
	s_delay_alu instid0(VALU_DEP_1) | instskip(SKIP_1) | instid1(SALU_CYCLE_1)
	v_cmp_ne_u32_e32 vcc_lo, 0x7f800000, v72
                                        ; implicit-def: $vgpr72
	s_and_saveexec_b32 s4, vcc_lo
	s_xor_b32 s4, exec_lo, s4
; %bb.53:
	v_bfe_u32 v72, v81, 16, 1
	s_delay_alu instid0(VALU_DEP_1)
	v_add3_u32 v72, v81, v72, 0x7fff
                                        ; implicit-def: $vgpr81
; %bb.54:
	s_and_not1_saveexec_b32 s4, s4
; %bb.55:
	v_and_b32_e32 v72, 0xffff, v81
	v_or_b32_e32 v82, 0x10000, v81
	s_delay_alu instid0(VALU_DEP_2) | instskip(NEXT) | instid1(VALU_DEP_2)
	v_cmp_eq_u32_e32 vcc_lo, 0, v72
	v_cndmask_b32_e32 v72, v82, v81, vcc_lo
; %bb.56:
	s_or_b32 exec_lo, exec_lo, s4
	v_and_b32_e32 v81, 0x7f800000, v83
	s_delay_alu instid0(VALU_DEP_1) | instskip(SKIP_1) | instid1(SALU_CYCLE_1)
	v_cmp_ne_u32_e32 vcc_lo, 0x7f800000, v81
                                        ; implicit-def: $vgpr81
	s_and_saveexec_b32 s4, vcc_lo
	s_xor_b32 s4, exec_lo, s4
; %bb.57:
	v_bfe_u32 v81, v83, 16, 1
	s_delay_alu instid0(VALU_DEP_1)
	v_add3_u32 v81, v83, v81, 0x7fff
                                        ; implicit-def: $vgpr83
; %bb.58:
	s_and_not1_saveexec_b32 s4, s4
; %bb.59:
	v_and_b32_e32 v81, 0xffff, v83
	v_or_b32_e32 v82, 0x10000, v83
	s_delay_alu instid0(VALU_DEP_2) | instskip(NEXT) | instid1(VALU_DEP_2)
	v_cmp_eq_u32_e32 vcc_lo, 0, v81
	v_cndmask_b32_e32 v81, v82, v83, vcc_lo
; %bb.60:
	s_or_b32 exec_lo, exec_lo, s4
	v_and_b32_e32 v82, 0x7f800000, v77
	s_delay_alu instid0(VALU_DEP_1) | instskip(SKIP_1) | instid1(SALU_CYCLE_1)
	v_cmp_ne_u32_e32 vcc_lo, 0x7f800000, v82
                                        ; implicit-def: $vgpr82
	s_and_saveexec_b32 s4, vcc_lo
	s_xor_b32 s4, exec_lo, s4
; %bb.61:
	v_bfe_u32 v82, v77, 16, 1
	s_delay_alu instid0(VALU_DEP_1)
	v_add3_u32 v82, v77, v82, 0x7fff
                                        ; implicit-def: $vgpr77
; %bb.62:
	s_and_not1_saveexec_b32 s4, s4
; %bb.63:
	v_and_b32_e32 v82, 0xffff, v77
	v_or_b32_e32 v83, 0x10000, v77
	s_delay_alu instid0(VALU_DEP_2) | instskip(NEXT) | instid1(VALU_DEP_2)
	v_cmp_eq_u32_e32 vcc_lo, 0, v82
	v_cndmask_b32_e32 v82, v83, v77, vcc_lo
; %bb.64:
	s_or_b32 exec_lo, exec_lo, s4
	v_and_b32_e32 v77, 0x7f800000, v78
	s_delay_alu instid0(VALU_DEP_1) | instskip(SKIP_1) | instid1(SALU_CYCLE_1)
	v_cmp_ne_u32_e32 vcc_lo, 0x7f800000, v77
                                        ; implicit-def: $vgpr77
	s_and_saveexec_b32 s4, vcc_lo
	s_xor_b32 s4, exec_lo, s4
; %bb.65:
	v_bfe_u32 v77, v78, 16, 1
	s_delay_alu instid0(VALU_DEP_1)
	v_add3_u32 v77, v78, v77, 0x7fff
                                        ; implicit-def: $vgpr78
; %bb.66:
	s_and_not1_saveexec_b32 s4, s4
; %bb.67:
	v_and_b32_e32 v77, 0xffff, v78
	v_or_b32_e32 v83, 0x10000, v78
	s_delay_alu instid0(VALU_DEP_2) | instskip(NEXT) | instid1(VALU_DEP_2)
	v_cmp_eq_u32_e32 vcc_lo, 0, v77
	v_cndmask_b32_e32 v77, v83, v78, vcc_lo
; %bb.68:
	s_or_b32 exec_lo, exec_lo, s4
	v_and_b32_e32 v78, 0x7f800000, v79
	s_delay_alu instid0(VALU_DEP_1) | instskip(SKIP_1) | instid1(SALU_CYCLE_1)
	v_cmp_ne_u32_e32 vcc_lo, 0x7f800000, v78
                                        ; implicit-def: $vgpr78
	s_and_saveexec_b32 s4, vcc_lo
	s_xor_b32 s4, exec_lo, s4
; %bb.69:
	v_bfe_u32 v78, v79, 16, 1
	s_delay_alu instid0(VALU_DEP_1)
	v_add3_u32 v78, v79, v78, 0x7fff
                                        ; implicit-def: $vgpr79
; %bb.70:
	s_and_not1_saveexec_b32 s4, s4
; %bb.71:
	v_and_b32_e32 v78, 0xffff, v79
	v_or_b32_e32 v83, 0x10000, v79
	s_delay_alu instid0(VALU_DEP_2) | instskip(NEXT) | instid1(VALU_DEP_2)
	v_cmp_eq_u32_e32 vcc_lo, 0, v78
	v_cndmask_b32_e32 v78, v83, v79, vcc_lo
; %bb.72:
	s_or_b32 exec_lo, exec_lo, s4
	v_and_b32_e32 v79, 0x7f800000, v70
	s_delay_alu instid0(VALU_DEP_1) | instskip(SKIP_1) | instid1(SALU_CYCLE_1)
	v_cmp_ne_u32_e32 vcc_lo, 0x7f800000, v79
                                        ; implicit-def: $vgpr79
	s_and_saveexec_b32 s4, vcc_lo
	s_xor_b32 s4, exec_lo, s4
; %bb.73:
	v_bfe_u32 v79, v70, 16, 1
	s_delay_alu instid0(VALU_DEP_1)
	v_add3_u32 v79, v70, v79, 0x7fff
                                        ; implicit-def: $vgpr70
; %bb.74:
	s_and_not1_saveexec_b32 s4, s4
; %bb.75:
	v_and_b32_e32 v79, 0xffff, v70
	v_or_b32_e32 v83, 0x10000, v70
	s_delay_alu instid0(VALU_DEP_2) | instskip(NEXT) | instid1(VALU_DEP_2)
	v_cmp_eq_u32_e32 vcc_lo, 0, v79
	v_cndmask_b32_e32 v79, v83, v70, vcc_lo
; %bb.76:
	s_or_b32 exec_lo, exec_lo, s4
	s_delay_alu instid0(VALU_DEP_1)
	v_perm_b32 v86, v79, v78, 0x7060302
	v_perm_b32 v85, v77, v82, 0x7060302
	;; [unrolled: 1-line block ×4, first 2 shown]
	v_lshl_or_b32 v82, v66, 11, v80
	ds_store_b128 v76, v[83:86] offset:1024
	s_waitcnt lgkmcnt(0)
	s_barrier
	buffer_gl0_inv
	ds_load_b128 v[69:72], v82
	ds_load_b128 v[83:86], v82 offset:16
	s_waitcnt lgkmcnt(1)
	v_lshrrev_b32_e32 v66, 16, v69
	s_waitcnt lgkmcnt(0)
	v_lshrrev_b32_e32 v91, 16, v83
	v_lshlrev_b32_e32 v78, 2, v74
	v_lshrrev_b32_e32 v95, 16, v70
	v_lshrrev_b32_e32 v98, 16, v84
	;; [unrolled: 1-line block ×4, first 2 shown]
	v_cmp_eq_u32_e32 vcc_lo, 1, v78
	v_lshrrev_b32_e32 v97, 16, v72
	v_lshrrev_b32_e32 v100, 16, v86
	v_cndmask_b32_e32 v87, v83, v91, vcc_lo
	v_or_b32_e32 v79, 1, v78
	v_cndmask_b32_e32 v81, v69, v66, vcc_lo
	v_cmp_eq_u32_e64 s5, 2, v78
	v_cmp_eq_u32_e64 s8, 3, v78
	;; [unrolled: 1-line block ×5, first 2 shown]
	v_cndmask_b32_e64 v81, v81, v70, s5
	v_cndmask_b32_e64 v87, v87, v84, s5
	v_cmp_eq_u32_e64 s9, 3, v79
	v_cndmask_b32_e64 v88, v69, v66, s4
	v_or_b32_e32 v77, 2, v78
	v_cndmask_b32_e64 v81, v81, v95, s8
	v_cndmask_b32_e64 v87, v87, v98, s8
	;; [unrolled: 1-line block ×4, first 2 shown]
	v_cmp_eq_u32_e64 s11, 5, v78
	v_cndmask_b32_e64 v81, v81, v71, s10
	v_cndmask_b32_e64 v87, v87, v85, s10
	v_cmp_eq_u32_e64 s12, 4, v79
	v_cndmask_b32_e64 v88, v88, v95, s9
	v_cmp_eq_u32_e64 s6, 1, v77
	v_cndmask_b32_e64 v89, v89, v84, s7
	v_cndmask_b32_e64 v81, v81, v96, s11
	v_cmp_eq_u32_e64 s13, 6, v78
	v_cndmask_b32_e64 v88, v88, v71, s12
	;; [unrolled: 3-line block ×3, first 2 shown]
	v_cndmask_b32_e64 v89, v89, v98, s9
	v_cndmask_b32_e64 v81, v81, v72, s13
	v_cmp_eq_u32_e64 s16, 7, v78
	v_cndmask_b32_e64 v88, v88, v96, s15
	v_cndmask_b32_e64 v87, v87, v86, s13
	v_cmp_eq_u32_e64 s17, 6, v79
	v_cmp_eq_u32_e64 s18, 2, v77
	v_cndmask_b32_e64 v89, v89, v85, s12
	v_cndmask_b32_e64 v101, v81, v97, s16
	;; [unrolled: 1-line block ×6, first 2 shown]
	v_cmp_eq_u32_e64 s19, 7, v79
	v_cmp_eq_u32_e64 s20, 3, v77
	;; [unrolled: 1-line block ×4, first 2 shown]
	v_cndmask_b32_e64 v87, v87, v84, s18
	v_cndmask_b32_e64 v103, v88, v97, s19
	;; [unrolled: 1-line block ×4, first 2 shown]
	v_or_b32_e32 v81, 3, v78
	v_cndmask_b32_e64 v93, v87, v98, s20
	v_cmp_eq_u32_e64 s25, 6, v77
	v_cndmask_b32_e64 v104, v88, v86, s17
	v_cndmask_b32_e64 v92, v89, v71, s21
	v_cmp_eq_u32_e64 s22, 1, v81
	ds_load_b128 v[87:90], v82 offset:1024
	v_cmp_eq_u32_e64 s24, 2, v81
	v_cmp_eq_u32_e64 s26, 3, v81
	v_cndmask_b32_e64 v105, v92, v96, s23
	v_cndmask_b32_e64 v66, v69, v66, s22
	;; [unrolled: 1-line block ×4, first 2 shown]
	ds_load_b128 v[91:94], v82 offset:1040
	v_cmp_eq_u32_e64 s27, 4, v81
	v_cndmask_b32_e64 v66, v66, v70, s24
	v_cmp_eq_u32_e64 s28, 7, v77
	v_cndmask_b32_e64 v70, v83, v84, s24
	v_cndmask_b32_e64 v84, v105, v72, s25
	v_cmp_eq_u32_e64 s29, 5, v81
	v_cndmask_b32_e64 v66, v66, v95, s26
	v_cmp_eq_u32_e64 s30, 6, v81
	v_cndmask_b32_e64 v70, v70, v98, s26
	v_cndmask_b32_e64 v69, v69, v99, s23
	;; [unrolled: 1-line block ×4, first 2 shown]
	s_waitcnt lgkmcnt(1)
	v_lshrrev_b32_e32 v95, 16, v87
	v_cndmask_b32_e64 v70, v70, v85, s27
	v_cndmask_b32_e64 v71, v84, v97, s28
	v_cndmask_b32_e64 v69, v69, v86, s25
	v_cndmask_b32_e64 v66, v66, v96, s29
	v_cndmask_b32_e32 v84, v87, v95, vcc_lo
	v_cndmask_b32_e64 v70, v70, v99, s29
	s_waitcnt lgkmcnt(0)
	v_lshrrev_b32_e32 v85, 16, v91
	v_lshrrev_b32_e32 v96, 16, v88
	v_cndmask_b32_e64 v98, v87, v95, s4
	v_cndmask_b32_e64 v84, v84, v88, s5
	;; [unrolled: 1-line block ×3, first 2 shown]
	v_cndmask_b32_e32 v99, v91, v85, vcc_lo
	v_cmp_eq_u32_e32 vcc_lo, 7, v81
	v_cndmask_b32_e64 v66, v66, v72, s30
	v_cndmask_b32_e64 v72, v84, v96, s8
	;; [unrolled: 1-line block ×3, first 2 shown]
	v_lshrrev_b32_e32 v98, 16, v92
	v_cndmask_b32_e32 v70, v70, v100, vcc_lo
	v_cndmask_b32_e64 v86, v99, v92, s5
	v_cndmask_b32_e64 v69, v69, v100, s28
	v_lshrrev_b32_e32 v100, 16, v93
	v_cndmask_b32_e64 v72, v72, v89, s10
	v_lshrrev_b32_e32 v99, 16, v89
	v_cndmask_b32_e64 v86, v86, v98, s8
	v_perm_b32 v71, v69, v71, 0x5040100
	v_cndmask_b32_e64 v84, v84, v96, s9
	s_delay_alu instid0(VALU_DEP_3) | instskip(NEXT) | instid1(VALU_DEP_2)
	v_cndmask_b32_e64 v86, v86, v93, s10
	v_cndmask_b32_e64 v84, v84, v89, s12
	s_delay_alu instid0(VALU_DEP_2) | instskip(NEXT) | instid1(VALU_DEP_1)
	v_cndmask_b32_e64 v86, v86, v100, s11
	v_cndmask_b32_e64 v69, v86, v94, s13
	;; [unrolled: 1-line block ×5, first 2 shown]
	s_delay_alu instid0(VALU_DEP_3) | instskip(NEXT) | instid1(VALU_DEP_3)
	v_cndmask_b32_e64 v86, v86, v88, s18
	v_cndmask_b32_e64 v87, v87, v88, s24
	s_delay_alu instid0(VALU_DEP_3) | instskip(NEXT) | instid1(VALU_DEP_3)
	v_cndmask_b32_e64 v88, v95, v92, s24
	v_cndmask_b32_e64 v86, v86, v96, s20
	;; [unrolled: 3-line block ×7, first 2 shown]
	s_delay_alu instid0(VALU_DEP_3) | instskip(SKIP_2) | instid1(VALU_DEP_2)
	v_cndmask_b32_e64 v88, v88, v94, s30
	v_cndmask_b32_e32 v66, v66, v97, vcc_lo
	v_cndmask_b32_e64 v97, v72, v99, s11
	v_perm_b32 v72, v70, v66, 0x5040100
	v_perm_b32 v70, v83, v103, 0x5040100
	v_cndmask_b32_e64 v103, v91, v85, s6
	v_cndmask_b32_e64 v85, v91, v85, s4
	;; [unrolled: 1-line block ×4, first 2 shown]
	v_lshrrev_b32_e32 v97, 16, v90
	v_cndmask_b32_e64 v91, v103, v92, s18
	v_cndmask_b32_e64 v85, v85, v92, s7
	;; [unrolled: 1-line block ×3, first 2 shown]
	s_mov_b32 s4, exec_lo
	v_cndmask_b32_e64 v83, v84, v97, s16
	v_cndmask_b32_e64 v91, v91, v98, s20
	;; [unrolled: 1-line block ×3, first 2 shown]
	v_lshrrev_b32_e32 v84, 16, v94
	v_cndmask_b32_e64 v66, v66, v97, s19
	v_cndmask_b32_e64 v90, v86, v97, s28
	;; [unrolled: 1-line block ×4, first 2 shown]
	v_dual_cndmask_b32 v86, v87, v97 :: v_dual_cndmask_b32 v87, v88, v84
	v_cndmask_b32_e64 v91, v69, v84, s16
	s_delay_alu instid0(VALU_DEP_4) | instskip(NEXT) | instid1(VALU_DEP_4)
	v_cndmask_b32_e64 v89, v89, v100, s23
	v_cndmask_b32_e64 v85, v85, v100, s15
	v_perm_b32 v69, v102, v101, 0x5040100
	v_perm_b32 v86, v87, v86, 0x5040100
	;; [unrolled: 1-line block ×3, first 2 shown]
	v_cndmask_b32_e64 v89, v89, v94, s25
	v_cndmask_b32_e64 v85, v85, v94, s17
	s_mul_i32 s9, s37, 15
	s_delay_alu instid0(VALU_DEP_2) | instskip(NEXT) | instid1(VALU_DEP_2)
	v_cndmask_b32_e64 v88, v89, v84, s28
	v_cndmask_b32_e64 v89, v85, v84, s19
	s_delay_alu instid0(VALU_DEP_2) | instskip(NEXT) | instid1(VALU_DEP_2)
	v_perm_b32 v85, v88, v90, 0x5040100
	v_perm_b32 v84, v89, v66, 0x5040100
	ds_store_b128 v76, v[69:72]
	ds_store_b128 v76, v[83:86] offset:1024
	v_cmpx_gt_u32_e32 15, v0
	s_cbranch_execz .LBB1756_78
; %bb.77:
	s_mul_i32 s5, s9, s34
	s_load_b128 s[16:19], s[0:1], 0x58
	v_add3_u32 v69, s5, s31, v65
	s_delay_alu instid0(VALU_DEP_1) | instskip(NEXT) | instid1(VALU_DEP_1)
	v_mad_u64_u32 v[65:66], null, v69, s36, s[14:15]
	v_ashrrev_i32_e32 v66, 31, v65
	s_delay_alu instid0(VALU_DEP_1) | instskip(SKIP_1) | instid1(VALU_DEP_1)
	v_lshlrev_b64 v[65:66], 2, v[65:66]
	s_waitcnt lgkmcnt(0)
	v_add_co_u32 v69, vcc_lo, s18, v65
	s_delay_alu instid0(VALU_DEP_2)
	v_add_co_ci_u32_e32 v70, vcc_lo, s19, v66, vcc_lo
	v_add_co_u32 v65, vcc_lo, s16, v65
	v_add_co_ci_u32_e32 v66, vcc_lo, s17, v66, vcc_lo
	global_store_b32 v[69:70], v67, off
	global_store_b32 v[65:66], v68, off
.LBB1756_78:
	s_or_b32 exec_lo, exec_lo, s4
	s_waitcnt lgkmcnt(0)
	s_waitcnt_vscnt null, 0x0
	s_barrier
	buffer_gl0_inv
	ds_load_b128 v[83:86], v80
	ds_load_b128 v[87:90], v80 offset:16
	ds_load_b128 v[95:98], v80 offset:2064
	;; [unrolled: 1-line block ×3, first 2 shown]
	v_mov_b32_e32 v65, 0
	ds_load_b128 v[103:106], v80 offset:4112
	ds_load_b128 v[99:102], v80 offset:4096
	;; [unrolled: 1-line block ×4, first 2 shown]
	v_mov_b32_e32 v66, v65
	v_mov_b32_e32 v67, v65
	;; [unrolled: 1-line block ×7, first 2 shown]
	s_waitcnt lgkmcnt(6)
	s_delay_alu instid0(VALU_DEP_1)
	v_wmma_f32_16x16x16_bf16 v[65:72], v[57:64], v[83:90], v[65:72]
	ds_load_b128 v[61:64], v80 offset:8208
	ds_load_b128 v[57:60], v80 offset:8192
	s_waitcnt lgkmcnt(6)
	v_wmma_f32_16x16x16_bf16 v[65:72], v[41:48], v[91:98], v[65:72]
	ds_load_b128 v[45:48], v80 offset:10256
	ds_load_b128 v[41:44], v80 offset:10240
	s_waitcnt lgkmcnt(6)
	;; [unrolled: 4-line block ×4, first 2 shown]
	v_wmma_f32_16x16x16_bf16 v[65:72], v[1:8], v[57:64], v[65:72]
	s_waitcnt lgkmcnt(4)
	s_delay_alu instid0(VALU_DEP_1) | instskip(SKIP_1) | instid1(VALU_DEP_1)
	v_wmma_f32_16x16x16_bf16 v[65:72], v[9:16], v[41:48], v[65:72]
	s_waitcnt lgkmcnt(2)
	v_wmma_f32_16x16x16_bf16 v[65:72], v[17:24], v[33:40], v[65:72]
	s_waitcnt lgkmcnt(0)
	s_delay_alu instid0(VALU_DEP_1) | instskip(NEXT) | instid1(VALU_DEP_1)
	v_wmma_f32_16x16x16_bf16 v[65:72], v[49:56], v[25:32], v[65:72]
	v_and_b32_e32 v1, 0x7f800000, v65
	s_delay_alu instid0(VALU_DEP_1) | instskip(SKIP_1) | instid1(SALU_CYCLE_1)
	v_cmp_ne_u32_e32 vcc_lo, 0x7f800000, v1
                                        ; implicit-def: $vgpr1
	s_and_saveexec_b32 s4, vcc_lo
	s_xor_b32 s4, exec_lo, s4
; %bb.79:
	v_bfe_u32 v1, v65, 16, 1
	s_delay_alu instid0(VALU_DEP_1)
	v_add3_u32 v1, v65, v1, 0x7fff
; %bb.80:
	s_and_not1_saveexec_b32 s4, s4
; %bb.81:
	v_and_b32_e32 v1, 0xffff, v65
	v_or_b32_e32 v2, 0x10000, v65
	s_delay_alu instid0(VALU_DEP_2) | instskip(NEXT) | instid1(VALU_DEP_2)
	v_cmp_eq_u32_e32 vcc_lo, 0, v1
	v_cndmask_b32_e32 v1, v2, v65, vcc_lo
; %bb.82:
	s_or_b32 exec_lo, exec_lo, s4
	v_and_b32_e32 v2, 0x7f800000, v66
	s_delay_alu instid0(VALU_DEP_1) | instskip(SKIP_1) | instid1(SALU_CYCLE_1)
	v_cmp_ne_u32_e32 vcc_lo, 0x7f800000, v2
                                        ; implicit-def: $vgpr2
	s_and_saveexec_b32 s4, vcc_lo
	s_xor_b32 s4, exec_lo, s4
; %bb.83:
	v_bfe_u32 v2, v66, 16, 1
	s_delay_alu instid0(VALU_DEP_1)
	v_add3_u32 v2, v66, v2, 0x7fff
; %bb.84:
	s_and_not1_saveexec_b32 s4, s4
; %bb.85:
	v_and_b32_e32 v2, 0xffff, v66
	v_or_b32_e32 v3, 0x10000, v66
	s_delay_alu instid0(VALU_DEP_2) | instskip(NEXT) | instid1(VALU_DEP_2)
	v_cmp_eq_u32_e32 vcc_lo, 0, v2
	v_cndmask_b32_e32 v2, v3, v66, vcc_lo
; %bb.86:
	s_or_b32 exec_lo, exec_lo, s4
	v_and_b32_e32 v3, 0x7f800000, v67
	s_delay_alu instid0(VALU_DEP_1) | instskip(SKIP_1) | instid1(SALU_CYCLE_1)
	v_cmp_ne_u32_e32 vcc_lo, 0x7f800000, v3
                                        ; implicit-def: $vgpr3
	s_and_saveexec_b32 s4, vcc_lo
	s_xor_b32 s4, exec_lo, s4
; %bb.87:
	v_bfe_u32 v3, v67, 16, 1
	s_delay_alu instid0(VALU_DEP_1)
	v_add3_u32 v3, v67, v3, 0x7fff
; %bb.88:
	s_and_not1_saveexec_b32 s4, s4
; %bb.89:
	v_and_b32_e32 v3, 0xffff, v67
	v_or_b32_e32 v4, 0x10000, v67
	s_delay_alu instid0(VALU_DEP_2) | instskip(NEXT) | instid1(VALU_DEP_2)
	v_cmp_eq_u32_e32 vcc_lo, 0, v3
	v_cndmask_b32_e32 v3, v4, v67, vcc_lo
; %bb.90:
	s_or_b32 exec_lo, exec_lo, s4
	v_and_b32_e32 v4, 0x7f800000, v68
	s_delay_alu instid0(VALU_DEP_1) | instskip(SKIP_1) | instid1(SALU_CYCLE_1)
	v_cmp_ne_u32_e32 vcc_lo, 0x7f800000, v4
                                        ; implicit-def: $vgpr4
	s_and_saveexec_b32 s4, vcc_lo
	s_xor_b32 s4, exec_lo, s4
; %bb.91:
	v_bfe_u32 v4, v68, 16, 1
	s_delay_alu instid0(VALU_DEP_1)
	v_add3_u32 v4, v68, v4, 0x7fff
; %bb.92:
	s_and_not1_saveexec_b32 s4, s4
; %bb.93:
	v_and_b32_e32 v4, 0xffff, v68
	v_or_b32_e32 v5, 0x10000, v68
	s_delay_alu instid0(VALU_DEP_2) | instskip(NEXT) | instid1(VALU_DEP_2)
	v_cmp_eq_u32_e32 vcc_lo, 0, v4
	v_cndmask_b32_e32 v4, v5, v68, vcc_lo
; %bb.94:
	s_or_b32 exec_lo, exec_lo, s4
	v_and_b32_e32 v5, 0x7f800000, v69
	s_delay_alu instid0(VALU_DEP_1) | instskip(SKIP_1) | instid1(SALU_CYCLE_1)
	v_cmp_ne_u32_e32 vcc_lo, 0x7f800000, v5
                                        ; implicit-def: $vgpr5
	s_and_saveexec_b32 s4, vcc_lo
	s_xor_b32 s4, exec_lo, s4
; %bb.95:
	v_bfe_u32 v5, v69, 16, 1
	s_delay_alu instid0(VALU_DEP_1)
	v_add3_u32 v5, v69, v5, 0x7fff
; %bb.96:
	s_and_not1_saveexec_b32 s4, s4
; %bb.97:
	v_and_b32_e32 v5, 0xffff, v69
	v_or_b32_e32 v6, 0x10000, v69
	s_delay_alu instid0(VALU_DEP_2) | instskip(NEXT) | instid1(VALU_DEP_2)
	v_cmp_eq_u32_e32 vcc_lo, 0, v5
	v_cndmask_b32_e32 v5, v6, v69, vcc_lo
; %bb.98:
	s_or_b32 exec_lo, exec_lo, s4
	v_and_b32_e32 v6, 0x7f800000, v70
	s_delay_alu instid0(VALU_DEP_1) | instskip(SKIP_1) | instid1(SALU_CYCLE_1)
	v_cmp_ne_u32_e32 vcc_lo, 0x7f800000, v6
                                        ; implicit-def: $vgpr6
	s_and_saveexec_b32 s4, vcc_lo
	s_xor_b32 s4, exec_lo, s4
; %bb.99:
	v_bfe_u32 v6, v70, 16, 1
	s_delay_alu instid0(VALU_DEP_1)
	v_add3_u32 v6, v70, v6, 0x7fff
; %bb.100:
	s_and_not1_saveexec_b32 s4, s4
; %bb.101:
	v_and_b32_e32 v6, 0xffff, v70
	v_or_b32_e32 v7, 0x10000, v70
	s_delay_alu instid0(VALU_DEP_2) | instskip(NEXT) | instid1(VALU_DEP_2)
	v_cmp_eq_u32_e32 vcc_lo, 0, v6
	v_cndmask_b32_e32 v6, v7, v70, vcc_lo
; %bb.102:
	s_or_b32 exec_lo, exec_lo, s4
	v_and_b32_e32 v7, 0x7f800000, v71
	s_delay_alu instid0(VALU_DEP_1) | instskip(SKIP_1) | instid1(SALU_CYCLE_1)
	v_cmp_ne_u32_e32 vcc_lo, 0x7f800000, v7
                                        ; implicit-def: $vgpr7
	s_and_saveexec_b32 s4, vcc_lo
	s_xor_b32 s4, exec_lo, s4
; %bb.103:
	v_bfe_u32 v7, v71, 16, 1
	s_delay_alu instid0(VALU_DEP_1)
	v_add3_u32 v7, v71, v7, 0x7fff
; %bb.104:
	s_and_not1_saveexec_b32 s4, s4
; %bb.105:
	v_and_b32_e32 v7, 0xffff, v71
	v_or_b32_e32 v8, 0x10000, v71
	s_delay_alu instid0(VALU_DEP_2) | instskip(NEXT) | instid1(VALU_DEP_2)
	v_cmp_eq_u32_e32 vcc_lo, 0, v7
	v_cndmask_b32_e32 v7, v8, v71, vcc_lo
; %bb.106:
	s_or_b32 exec_lo, exec_lo, s4
	v_and_b32_e32 v8, 0x7f800000, v72
	s_delay_alu instid0(VALU_DEP_1) | instskip(SKIP_1) | instid1(SALU_CYCLE_1)
	v_cmp_ne_u32_e32 vcc_lo, 0x7f800000, v8
                                        ; implicit-def: $vgpr8
	s_and_saveexec_b32 s4, vcc_lo
	s_xor_b32 s4, exec_lo, s4
; %bb.107:
	v_bfe_u32 v8, v72, 16, 1
	s_delay_alu instid0(VALU_DEP_1)
	v_add3_u32 v8, v72, v8, 0x7fff
                                        ; implicit-def: $vgpr65_vgpr66_vgpr67_vgpr68_vgpr69_vgpr70_vgpr71_vgpr72
; %bb.108:
	s_and_not1_saveexec_b32 s4, s4
; %bb.109:
	v_and_b32_e32 v8, 0xffff, v72
	v_or_b32_e32 v9, 0x10000, v72
	s_delay_alu instid0(VALU_DEP_2) | instskip(NEXT) | instid1(VALU_DEP_2)
	v_cmp_eq_u32_e32 vcc_lo, 0, v8
	v_cndmask_b32_e32 v8, v9, v72, vcc_lo
; %bb.110:
	s_or_b32 exec_lo, exec_lo, s4
	s_delay_alu instid0(VALU_DEP_1)
	v_perm_b32 v7, v8, v7, 0x7060302
	v_perm_b32 v6, v6, v5, 0x7060302
	;; [unrolled: 1-line block ×4, first 2 shown]
	s_barrier
	buffer_gl0_inv
	v_cmp_eq_u32_e32 vcc_lo, 1, v78
	ds_store_b128 v76, v[4:7]
	s_waitcnt lgkmcnt(0)
	s_barrier
	buffer_gl0_inv
	ds_load_b128 v[1:4], v82
	ds_load_b128 v[5:8], v82 offset:16
	v_cmp_eq_u32_e64 s4, 1, v79
	v_cmp_eq_u32_e64 s5, 2, v78
	;; [unrolled: 1-line block ×5, first 2 shown]
	s_waitcnt lgkmcnt(1)
	v_lshrrev_b32_e32 v9, 16, v1
	s_waitcnt lgkmcnt(0)
	v_lshrrev_b32_e32 v13, 16, v5
	v_lshrrev_b32_e32 v10, 16, v2
	;; [unrolled: 1-line block ×4, first 2 shown]
	v_cndmask_b32_e64 v19, v1, v9, s4
	v_cndmask_b32_e32 v18, v5, v13, vcc_lo
	v_cndmask_b32_e64 v20, v5, v13, s4
	v_cndmask_b32_e32 v17, v1, v9, vcc_lo
	v_cmp_eq_u32_e32 vcc_lo, 2, v79
	v_lshrrev_b32_e32 v15, 16, v7
	v_cmp_eq_u32_e64 s4, 1, v77
	v_lshrrev_b32_e32 v12, 16, v4
	v_lshrrev_b32_e32 v16, 16, v8
	v_cndmask_b32_e32 v20, v20, v6, vcc_lo
	v_cndmask_b32_e64 v17, v17, v2, s5
	v_cndmask_b32_e32 v19, v19, v2, vcc_lo
	v_cndmask_b32_e64 v18, v18, v6, s5
	v_cmp_eq_u32_e32 vcc_lo, 4, v78
	v_cmp_eq_u32_e64 s5, 3, v79
	v_cndmask_b32_e64 v17, v17, v10, s6
	v_cndmask_b32_e64 v21, v1, v9, s4
	;; [unrolled: 1-line block ×5, first 2 shown]
	v_cndmask_b32_e32 v17, v17, v3, vcc_lo
	v_cndmask_b32_e64 v20, v20, v14, s5
	v_cndmask_b32_e32 v18, v18, v7, vcc_lo
	v_cmp_eq_u32_e32 vcc_lo, 4, v79
	v_cmp_eq_u32_e64 s5, 5, v79
	v_cmp_eq_u32_e64 s4, 2, v81
	v_cndmask_b32_e64 v21, v21, v2, s8
	v_cmp_eq_u32_e64 s6, 5, v78
	v_cndmask_b32_e32 v19, v19, v3, vcc_lo
	v_cndmask_b32_e32 v20, v20, v7, vcc_lo
	v_cmp_eq_u32_e32 vcc_lo, 6, v79
	s_delay_alu instid0(VALU_DEP_4) | instskip(NEXT) | instid1(VALU_DEP_4)
	v_cndmask_b32_e64 v17, v17, v11, s6
	v_cndmask_b32_e64 v19, v19, v11, s5
	s_delay_alu instid0(VALU_DEP_4) | instskip(SKIP_1) | instid1(VALU_DEP_3)
	v_cndmask_b32_e64 v20, v20, v15, s5
	v_cmp_eq_u32_e64 s5, 1, v81
	v_cndmask_b32_e32 v19, v19, v4, vcc_lo
	v_cndmask_b32_e64 v18, v18, v15, s6
	s_delay_alu instid0(VALU_DEP_3)
	v_cndmask_b32_e64 v1, v1, v9, s5
	v_cndmask_b32_e64 v5, v5, v13, s5
	v_cmp_eq_u32_e64 s5, 3, v77
	v_cndmask_b32_e64 v13, v22, v6, s8
	v_cmp_eq_u32_e64 s8, 3, v81
	v_cndmask_b32_e64 v1, v1, v2, s4
	v_cndmask_b32_e64 v2, v5, v6, s4
	;; [unrolled: 1-line block ×3, first 2 shown]
	v_cmp_eq_u32_e64 s4, 4, v77
	v_cndmask_b32_e64 v6, v13, v14, s5
	v_cndmask_b32_e64 v1, v1, v10, s8
	v_cmp_eq_u32_e64 s5, 4, v81
	v_cndmask_b32_e64 v2, v2, v14, s8
	v_cndmask_b32_e64 v5, v9, v3, s4
	;; [unrolled: 3-line block ×3, first 2 shown]
	v_cndmask_b32_e64 v2, v2, v7, s5
	v_cmp_eq_u32_e64 s4, 5, v81
	v_cmp_eq_u32_e64 s6, 6, v78
	v_cndmask_b32_e64 v5, v5, v11, s8
	v_cmp_eq_u32_e64 s5, 6, v77
	v_cndmask_b32_e64 v3, v6, v15, s8
	v_cndmask_b32_e64 v1, v1, v11, s4
	v_cmp_eq_u32_e64 s8, 6, v81
	v_cndmask_b32_e64 v2, v2, v15, s4
	v_cndmask_b32_e64 v17, v17, v4, s6
	v_cndmask_b32_e64 v18, v18, v8, s6
	v_cmp_eq_u32_e64 s6, 7, v78
	v_cndmask_b32_e64 v5, v5, v4, s5
	;; [unrolled: 4-line block ×3, first 2 shown]
	v_cmp_eq_u32_e64 s5, 7, v77
	v_cndmask_b32_e32 v4, v20, v8, vcc_lo
	v_cndmask_b32_e64 v17, v17, v12, s6
	v_cndmask_b32_e64 v19, v19, v12, s7
	;; [unrolled: 1-line block ×8, first 2 shown]
	v_cmp_gt_u32_e32 vcc_lo, 32, v0
	v_perm_b32 v4, v2, v1, 0x5040100
	v_perm_b32 v3, v3, v5, 0x5040100
	;; [unrolled: 1-line block ×4, first 2 shown]
	s_and_b32 s2, vcc_lo, s2
	ds_store_b128 v76, v[1:4]
	s_waitcnt lgkmcnt(0)
	s_barrier
	buffer_gl0_inv
	s_and_saveexec_b32 s4, s2
	s_cbranch_execz .LBB1756_2
; %bb.111:
	s_load_b64 s[4:5], s[0:1], 0x68
	v_add_nc_u32_e32 v20, s31, v74
	v_lshlrev_b32_e32 v0, 10, v0
	v_lshlrev_b32_e32 v1, 4, v75
	s_lshl_b32 s0, s36, 6
	s_delay_alu instid0(SALU_CYCLE_1)
	s_mul_i32 s1, s0, s34
	v_add_nc_u32_e32 v2, 2, v20
	s_mul_i32 s6, s1, s9
	v_and_or_b32 v0, 0x3800, v0, v1
	v_mul_lo_u32 v1, v20, s0
	s_ashr_i32 s7, s6, 31
	v_mul_lo_u32 v11, v2, s0
	s_lshl_b64 s[6:7], s[6:7], 1
	v_add_nc_u32_e32 v3, 4, v20
	v_lshl_or_b32 v21, v74, 6, v0
	v_add_nc_u32_e32 v16, 6, v20
	v_ashrrev_i32_e32 v2, 31, v1
	s_delay_alu instid0(VALU_DEP_4)
	v_mul_lo_u32 v13, v3, s0
	s_waitcnt lgkmcnt(0)
	s_add_u32 s1, s4, s6
	s_addc_u32 s2, s5, s7
	s_lshl_b32 s4, s14, 6
	ds_load_b128 v[3:6], v21
	ds_load_b128 v[7:10], v21 offset:128
	s_ashr_i32 s5, s4, 31
	v_ashrrev_i32_e32 v12, 31, v11
	s_lshl_b64 s[4:5], s[4:5], 1
	v_lshlrev_b64 v[14:15], 1, v[1:2]
	s_add_u32 s1, s1, s4
	s_addc_u32 s2, s2, s5
	v_add_co_u32 v1, s1, s1, v73
	s_delay_alu instid0(VALU_DEP_1) | instskip(SKIP_1) | instid1(VALU_DEP_3)
	v_add_co_ci_u32_e64 v2, null, s2, 0, s1
	v_lshlrev_b64 v[11:12], 1, v[11:12]
	v_add_co_u32 v18, vcc_lo, v1, v14
	v_mul_lo_u32 v16, v16, s0
	s_delay_alu instid0(VALU_DEP_4) | instskip(NEXT) | instid1(VALU_DEP_4)
	v_add_co_ci_u32_e32 v19, vcc_lo, v2, v15, vcc_lo
	v_add_co_u32 v11, vcc_lo, v1, v11
	v_ashrrev_i32_e32 v14, 31, v13
	v_add_co_ci_u32_e32 v12, vcc_lo, v2, v12, vcc_lo
	v_add_nc_u32_e32 v15, 8, v20
	v_ashrrev_i32_e32 v17, 31, v16
	s_waitcnt lgkmcnt(1)
	global_store_b128 v[18:19], v[3:6], off
	v_lshlrev_b64 v[3:4], 1, v[13:14]
	s_waitcnt lgkmcnt(0)
	global_store_b128 v[11:12], v[7:10], off
	v_mul_lo_u32 v11, v15, s0
	v_add_nc_u32_e32 v7, 10, v20
	v_lshlrev_b64 v[5:6], 1, v[16:17]
	v_add_co_u32 v23, vcc_lo, v1, v3
	v_add_nc_u32_e32 v3, 12, v20
	s_delay_alu instid0(VALU_DEP_4)
	v_mul_lo_u32 v25, v7, s0
	v_ashrrev_i32_e32 v12, 31, v11
	v_add_co_ci_u32_e32 v24, vcc_lo, v2, v4, vcc_lo
	v_add_co_u32 v27, vcc_lo, v1, v5
	v_mul_lo_u32 v29, v3, s0
	v_add_co_ci_u32_e32 v28, vcc_lo, v2, v6, vcc_lo
	ds_load_b128 v[3:6], v21 offset:256
	ds_load_b128 v[7:10], v21 offset:384
	v_lshlrev_b64 v[31:32], 1, v[11:12]
	ds_load_b128 v[11:14], v21 offset:512
	ds_load_b128 v[15:18], v21 offset:640
	;; [unrolled: 1-line block ×3, first 2 shown]
	v_ashrrev_i32_e32 v26, 31, v25
	v_ashrrev_i32_e32 v30, 31, v29
	v_add_co_u32 v31, vcc_lo, v1, v31
	s_delay_alu instid0(VALU_DEP_3) | instskip(NEXT) | instid1(VALU_DEP_3)
	v_lshlrev_b64 v[25:26], 1, v[25:26]
	v_lshlrev_b64 v[29:30], 1, v[29:30]
	v_add_co_ci_u32_e32 v32, vcc_lo, v2, v32, vcc_lo
	s_delay_alu instid0(VALU_DEP_3) | instskip(NEXT) | instid1(VALU_DEP_4)
	v_add_co_u32 v25, vcc_lo, v1, v25
	v_add_co_ci_u32_e32 v26, vcc_lo, v2, v26, vcc_lo
	s_delay_alu instid0(VALU_DEP_4)
	v_add_co_u32 v29, vcc_lo, v1, v29
	v_add_co_ci_u32_e32 v30, vcc_lo, v2, v30, vcc_lo
	s_waitcnt lgkmcnt(4)
	global_store_b128 v[23:24], v[3:6], off
	s_waitcnt lgkmcnt(3)
	global_store_b128 v[27:28], v[7:10], off
	;; [unrolled: 2-line block ×5, first 2 shown]
	s_and_b32 exec_lo, exec_lo, s3
	s_cbranch_execz .LBB1756_2
; %bb.112:
	ds_load_b128 v[3:6], v0 offset:896
	s_add_i32 s1, s31, 14
	s_delay_alu instid0(SALU_CYCLE_1) | instskip(NEXT) | instid1(SALU_CYCLE_1)
	s_mul_i32 s0, s1, s0
	s_ashr_i32 s1, s0, 31
	s_delay_alu instid0(SALU_CYCLE_1) | instskip(NEXT) | instid1(SALU_CYCLE_1)
	s_lshl_b64 s[0:1], s[0:1], 1
	v_add_co_u32 v0, vcc_lo, v1, s0
	v_add_co_ci_u32_e32 v1, vcc_lo, s1, v2, vcc_lo
	s_waitcnt lgkmcnt(0)
	global_store_b128 v[0:1], v[3:6], off
	s_nop 0
	s_sendmsg sendmsg(MSG_DEALLOC_VGPRS)
	s_endpgm
	.section	.rodata,"a",@progbits
	.p2align	6, 0x0
	.amdhsa_kernel _Z39paged_attention_ll4mi_QKV_mfma16_kernelI14__hip_bfloat16hLN4vllm18Fp8KVCacheDataTypeE1EhLi32ELi64ELi256ELb0ELi15EL8MFMAType0EEvPKT_PKT0_S9_ifPKiSB_SB_iPKfiiiPfSE_PS4_PT2_iSD_SD_
		.amdhsa_group_segment_fixed_size 17472
		.amdhsa_private_segment_fixed_size 0
		.amdhsa_kernarg_size 400
		.amdhsa_user_sgpr_count 13
		.amdhsa_user_sgpr_dispatch_ptr 0
		.amdhsa_user_sgpr_queue_ptr 0
		.amdhsa_user_sgpr_kernarg_segment_ptr 1
		.amdhsa_user_sgpr_dispatch_id 0
		.amdhsa_user_sgpr_private_segment_size 0
		.amdhsa_wavefront_size32 1
		.amdhsa_uses_dynamic_stack 0
		.amdhsa_enable_private_segment 0
		.amdhsa_system_sgpr_workgroup_id_x 1
		.amdhsa_system_sgpr_workgroup_id_y 1
		.amdhsa_system_sgpr_workgroup_id_z 1
		.amdhsa_system_sgpr_workgroup_info 0
		.amdhsa_system_vgpr_workitem_id 0
		.amdhsa_next_free_vgpr 124
		.amdhsa_next_free_sgpr 42
		.amdhsa_reserve_vcc 1
		.amdhsa_float_round_mode_32 0
		.amdhsa_float_round_mode_16_64 0
		.amdhsa_float_denorm_mode_32 3
		.amdhsa_float_denorm_mode_16_64 3
		.amdhsa_dx10_clamp 1
		.amdhsa_ieee_mode 1
		.amdhsa_fp16_overflow 0
		.amdhsa_workgroup_processor_mode 1
		.amdhsa_memory_ordered 1
		.amdhsa_forward_progress 0
		.amdhsa_shared_vgpr_count 0
		.amdhsa_exception_fp_ieee_invalid_op 0
		.amdhsa_exception_fp_denorm_src 0
		.amdhsa_exception_fp_ieee_div_zero 0
		.amdhsa_exception_fp_ieee_overflow 0
		.amdhsa_exception_fp_ieee_underflow 0
		.amdhsa_exception_fp_ieee_inexact 0
		.amdhsa_exception_int_div_zero 0
	.end_amdhsa_kernel
	.section	.text._Z39paged_attention_ll4mi_QKV_mfma16_kernelI14__hip_bfloat16hLN4vllm18Fp8KVCacheDataTypeE1EhLi32ELi64ELi256ELb0ELi15EL8MFMAType0EEvPKT_PKT0_S9_ifPKiSB_SB_iPKfiiiPfSE_PS4_PT2_iSD_SD_,"axG",@progbits,_Z39paged_attention_ll4mi_QKV_mfma16_kernelI14__hip_bfloat16hLN4vllm18Fp8KVCacheDataTypeE1EhLi32ELi64ELi256ELb0ELi15EL8MFMAType0EEvPKT_PKT0_S9_ifPKiSB_SB_iPKfiiiPfSE_PS4_PT2_iSD_SD_,comdat
.Lfunc_end1756:
	.size	_Z39paged_attention_ll4mi_QKV_mfma16_kernelI14__hip_bfloat16hLN4vllm18Fp8KVCacheDataTypeE1EhLi32ELi64ELi256ELb0ELi15EL8MFMAType0EEvPKT_PKT0_S9_ifPKiSB_SB_iPKfiiiPfSE_PS4_PT2_iSD_SD_, .Lfunc_end1756-_Z39paged_attention_ll4mi_QKV_mfma16_kernelI14__hip_bfloat16hLN4vllm18Fp8KVCacheDataTypeE1EhLi32ELi64ELi256ELb0ELi15EL8MFMAType0EEvPKT_PKT0_S9_ifPKiSB_SB_iPKfiiiPfSE_PS4_PT2_iSD_SD_
                                        ; -- End function
	.section	.AMDGPU.csdata,"",@progbits
; Kernel info:
; codeLenInByte = 9028
; NumSgprs: 44
; NumVgprs: 124
; ScratchSize: 0
; MemoryBound: 0
; FloatMode: 240
; IeeeMode: 1
; LDSByteSize: 17472 bytes/workgroup (compile time only)
; SGPRBlocks: 5
; VGPRBlocks: 15
; NumSGPRsForWavesPerEU: 44
; NumVGPRsForWavesPerEU: 124
; Occupancy: 10
; WaveLimiterHint : 1
; COMPUTE_PGM_RSRC2:SCRATCH_EN: 0
; COMPUTE_PGM_RSRC2:USER_SGPR: 13
; COMPUTE_PGM_RSRC2:TRAP_HANDLER: 0
; COMPUTE_PGM_RSRC2:TGID_X_EN: 1
; COMPUTE_PGM_RSRC2:TGID_Y_EN: 1
; COMPUTE_PGM_RSRC2:TGID_Z_EN: 1
; COMPUTE_PGM_RSRC2:TIDIG_COMP_CNT: 0
	.section	.text._Z39paged_attention_ll4mi_QKV_mfma16_kernelI14__hip_bfloat16hLN4vllm18Fp8KVCacheDataTypeE1EhLi32ELi64ELi256ELb0ELi16EL8MFMAType0EEvPKT_PKT0_S9_ifPKiSB_SB_iPKfiiiPfSE_PS4_PT2_iSD_SD_,"axG",@progbits,_Z39paged_attention_ll4mi_QKV_mfma16_kernelI14__hip_bfloat16hLN4vllm18Fp8KVCacheDataTypeE1EhLi32ELi64ELi256ELb0ELi16EL8MFMAType0EEvPKT_PKT0_S9_ifPKiSB_SB_iPKfiiiPfSE_PS4_PT2_iSD_SD_,comdat
	.protected	_Z39paged_attention_ll4mi_QKV_mfma16_kernelI14__hip_bfloat16hLN4vllm18Fp8KVCacheDataTypeE1EhLi32ELi64ELi256ELb0ELi16EL8MFMAType0EEvPKT_PKT0_S9_ifPKiSB_SB_iPKfiiiPfSE_PS4_PT2_iSD_SD_ ; -- Begin function _Z39paged_attention_ll4mi_QKV_mfma16_kernelI14__hip_bfloat16hLN4vllm18Fp8KVCacheDataTypeE1EhLi32ELi64ELi256ELb0ELi16EL8MFMAType0EEvPKT_PKT0_S9_ifPKiSB_SB_iPKfiiiPfSE_PS4_PT2_iSD_SD_
	.globl	_Z39paged_attention_ll4mi_QKV_mfma16_kernelI14__hip_bfloat16hLN4vllm18Fp8KVCacheDataTypeE1EhLi32ELi64ELi256ELb0ELi16EL8MFMAType0EEvPKT_PKT0_S9_ifPKiSB_SB_iPKfiiiPfSE_PS4_PT2_iSD_SD_
	.p2align	8
	.type	_Z39paged_attention_ll4mi_QKV_mfma16_kernelI14__hip_bfloat16hLN4vllm18Fp8KVCacheDataTypeE1EhLi32ELi64ELi256ELb0ELi16EL8MFMAType0EEvPKT_PKT0_S9_ifPKiSB_SB_iPKfiiiPfSE_PS4_PT2_iSD_SD_,@function
_Z39paged_attention_ll4mi_QKV_mfma16_kernelI14__hip_bfloat16hLN4vllm18Fp8KVCacheDataTypeE1EhLi32ELi64ELi256ELb0ELi16EL8MFMAType0EEvPKT_PKT0_S9_ifPKiSB_SB_iPKfiiiPfSE_PS4_PT2_iSD_SD_: ; @_Z39paged_attention_ll4mi_QKV_mfma16_kernelI14__hip_bfloat16hLN4vllm18Fp8KVCacheDataTypeE1EhLi32ELi64ELi256ELb0ELi16EL8MFMAType0EEvPKT_PKT0_S9_ifPKiSB_SB_iPKfiiiPfSE_PS4_PT2_iSD_SD_
; %bb.0:
	s_load_b64 s[2:3], s[0:1], 0x30
	s_mov_b32 s30, s13
	s_waitcnt lgkmcnt(0)
	s_cmp_lg_u64 s[2:3], 0
	s_cselect_b32 s8, -1, 0
	s_ashr_i32 s31, s13, 31
	s_cmp_eq_u64 s[2:3], 0
	s_cbranch_scc1 .LBB1757_3
; %bb.1:
	s_lshl_b64 s[4:5], s[30:31], 2
	s_delay_alu instid0(SALU_CYCLE_1) | instskip(SKIP_4) | instid1(SALU_CYCLE_1)
	s_add_u32 s4, s2, s4
	s_addc_u32 s5, s3, s5
	s_load_b64 s[4:5], s[4:5], 0x0
	s_waitcnt lgkmcnt(0)
	s_sub_i32 s4, s5, s4
	s_cmp_eq_u32 s4, 1
	s_cselect_b32 s4, -1, 0
	s_delay_alu instid0(SALU_CYCLE_1)
	s_and_not1_b32 vcc_lo, exec_lo, s4
	s_cbranch_vccz .LBB1757_4
.LBB1757_2:
	s_endpgm
.LBB1757_3:
.LBB1757_4:
	s_load_b64 s[4:5], s[0:1], 0x28
	s_lshl_b64 s[6:7], s[30:31], 2
	s_waitcnt lgkmcnt(0)
	s_add_u32 s4, s4, s6
	s_addc_u32 s5, s5, s7
	s_lshl_b32 s12, s14, 8
	s_load_b32 s24, s[4:5], 0x0
	s_waitcnt lgkmcnt(0)
	s_cmp_ge_i32 s12, s24
	s_cbranch_scc1 .LBB1757_2
; %bb.5:
	s_clause 0x1
	s_load_b128 s[20:23], s[0:1], 0x8
	s_load_b64 s[4:5], s[0:1], 0x20
	s_and_not1_b32 vcc_lo, exec_lo, s8
	s_cbranch_vccnz .LBB1757_7
; %bb.6:
	s_add_u32 s2, s2, s6
	s_addc_u32 s3, s3, s7
	s_load_b32 s3, s[2:3], 0x0
	s_branch .LBB1757_8
.LBB1757_7:
	s_mov_b32 s3, s30
.LBB1757_8:
	s_load_b128 s[16:19], s[0:1], 0x48
	v_and_b32_e32 v66, 15, v0
	v_cmp_gt_u32_e32 vcc_lo, 0x100, v0
	v_lshrrev_b32_e32 v65, 5, v0
	v_and_b32_e32 v67, 31, v0
	v_and_b32_e32 v75, 1, v0
	v_lshlrev_b32_e32 v1, 3, v66
	v_cmp_gt_u32_e64 s2, 8, v66
	v_bfe_u32 v74, v0, 4, 1
	s_lshl_b32 s31, s15, 4
	s_delay_alu instid0(VALU_DEP_3) | instskip(NEXT) | instid1(VALU_DEP_3)
	v_lshlrev_b32_e32 v73, 1, v1
	s_and_b32 s7, vcc_lo, s2
	s_delay_alu instid0(SALU_CYCLE_1)
	s_and_saveexec_b32 s6, s7
	s_cbranch_execz .LBB1757_10
; %bb.9:
	v_lshl_or_b32 v5, v65, 1, v74
	s_load_b64 s[8:9], s[0:1], 0x0
	s_waitcnt lgkmcnt(0)
	s_mul_hi_i32 s11, s3, s16
	s_mul_i32 s10, s3, s16
	v_lshlrev_b32_e32 v6, 10, v66
	v_or_b32_e32 v1, s31, v5
	s_lshl_b64 s[10:11], s[10:11], 1
	v_lshlrev_b32_e32 v5, 6, v5
	v_lshlrev_b32_e32 v7, 10, v75
	v_and_b32_e32 v6, 0x3800, v6
	v_lshlrev_b32_e32 v1, 6, v1
	s_delay_alu instid0(VALU_DEP_2) | instskip(NEXT) | instid1(VALU_DEP_2)
	v_or3_b32 v5, v6, v7, v5
	v_ashrrev_i32_e32 v2, 31, v1
	s_delay_alu instid0(VALU_DEP_1) | instskip(SKIP_2) | instid1(VALU_DEP_1)
	v_lshlrev_b64 v[1:2], 1, v[1:2]
	s_add_u32 s3, s8, s10
	s_addc_u32 s7, s9, s11
	v_add_co_u32 v1, vcc_lo, s3, v1
	s_delay_alu instid0(VALU_DEP_2) | instskip(NEXT) | instid1(VALU_DEP_2)
	v_add_co_ci_u32_e32 v2, vcc_lo, s7, v2, vcc_lo
	v_add_co_u32 v1, vcc_lo, v1, v73
	s_delay_alu instid0(VALU_DEP_2)
	v_add_co_ci_u32_e32 v2, vcc_lo, 0, v2, vcc_lo
	global_load_b128 v[1:4], v[1:2], off
	s_waitcnt vmcnt(0)
	ds_store_b128 v5, v[1:4]
.LBB1757_10:
	s_or_b32 exec_lo, exec_lo, s6
	v_and_b32_e32 v1, 0xef, v0
	s_waitcnt lgkmcnt(0)
	s_add_i32 s3, s24, 31
	s_clause 0x1
	s_load_b32 s6, s[0:1], 0x38
	s_load_b32 s19, s[0:1], 0x1c
	s_ashr_i32 s7, s3, 31
	v_add_nc_u32_e32 v1, s12, v1
	s_lshr_b32 s7, s7, 27
	s_waitcnt lgkmcnt(0)
	s_add_i32 s3, s3, s7
	s_barrier
	v_ashrrev_i32_e32 v2, 31, v1
	v_or_b32_e32 v3, 16, v1
	s_ashr_i32 s3, s3, 5
	v_cmp_gt_i32_e32 vcc_lo, s24, v1
	s_add_i32 s3, s3, -1
	v_lshrrev_b32_e32 v2, 27, v2
	buffer_gl0_inv
	s_mul_i32 s27, s15, s18
	v_add_nc_u32_e32 v4, v1, v2
	s_mul_i32 s6, s30, s6
	s_delay_alu instid0(SALU_CYCLE_1) | instskip(NEXT) | instid1(VALU_DEP_1)
	s_ashr_i32 s7, s6, 31
	v_ashrrev_i32_e32 v4, 5, v4
	v_add_nc_u32_e32 v2, v3, v2
	s_lshl_b64 s[6:7], s[6:7], 2
	s_delay_alu instid0(SALU_CYCLE_1) | instskip(NEXT) | instid1(VALU_DEP_2)
	s_add_u32 s26, s4, s6
	v_cndmask_b32_e32 v1, s3, v4, vcc_lo
	s_delay_alu instid0(VALU_DEP_2)
	v_ashrrev_i32_e32 v2, 5, v2
	v_cmp_gt_i32_e32 vcc_lo, s24, v3
	s_addc_u32 s25, s5, s7
	s_ashr_i32 s28, s27, 31
	s_add_u32 s4, s20, s27
	s_addc_u32 s5, s21, s28
	v_cndmask_b32_e32 v3, s3, v2, vcc_lo
	v_ashrrev_i32_e32 v2, 31, v1
	s_lshl_b32 s6, s14, 3
	s_delay_alu instid0(SALU_CYCLE_1) | instskip(NEXT) | instid1(VALU_DEP_2)
	s_ashr_i32 s7, s6, 31
	v_ashrrev_i32_e32 v4, 31, v3
	s_delay_alu instid0(VALU_DEP_2) | instskip(SKIP_1) | instid1(SALU_CYCLE_1)
	v_lshlrev_b64 v[1:2], 2, v[1:2]
	s_lshl_b64 s[6:7], s[6:7], 2
	s_add_u32 s6, s26, s6
	s_delay_alu instid0(VALU_DEP_2) | instskip(SKIP_1) | instid1(VALU_DEP_2)
	v_lshlrev_b64 v[3:4], 2, v[3:4]
	s_addc_u32 s7, s25, s7
	v_add_co_u32 v1, vcc_lo, s26, v1
	v_add_co_ci_u32_e32 v2, vcc_lo, s25, v2, vcc_lo
	s_delay_alu instid0(VALU_DEP_3) | instskip(NEXT) | instid1(VALU_DEP_4)
	v_add_co_u32 v3, vcc_lo, s26, v3
	v_add_co_ci_u32_e32 v4, vcc_lo, s25, v4, vcc_lo
	s_clause 0x1
	global_load_b32 v5, v[1:2], off
	global_load_b32 v6, v[3:4], off
	s_or_b32 s8, s12, 32
	s_delay_alu instid0(SALU_CYCLE_1) | instskip(SKIP_2) | instid1(SALU_CYCLE_1)
	s_ashr_i32 s9, s8, 5
	s_cmp_lt_i32 s8, s24
	s_cselect_b32 s8, s9, s3
	s_ashr_i32 s9, s8, 31
	s_delay_alu instid0(SALU_CYCLE_1) | instskip(NEXT) | instid1(SALU_CYCLE_1)
	s_lshl_b64 s[8:9], s[8:9], 2
	s_add_u32 s8, s26, s8
	s_addc_u32 s9, s25, s9
	s_or_b32 s10, s12, 64
	s_delay_alu instid0(SALU_CYCLE_1) | instskip(SKIP_2) | instid1(SALU_CYCLE_1)
	s_ashr_i32 s11, s10, 5
	s_cmp_lt_i32 s10, s24
	s_cselect_b32 s10, s11, s3
	s_ashr_i32 s11, s10, 31
	s_delay_alu instid0(SALU_CYCLE_1) | instskip(NEXT) | instid1(SALU_CYCLE_1)
	s_lshl_b64 s[10:11], s[10:11], 2
	s_add_u32 s10, s26, s10
	s_addc_u32 s11, s25, s11
	;; [unrolled: 10-line block ×5, first 2 shown]
	s_clause 0x5
	s_load_b32 s21, s[6:7], 0x0
	s_load_b32 s13, s[8:9], 0x0
	;; [unrolled: 1-line block ×6, first 2 shown]
	s_or_b32 s6, s12, 0xc0
	s_delay_alu instid0(SALU_CYCLE_1) | instskip(SKIP_2) | instid1(SALU_CYCLE_1)
	s_ashr_i32 s7, s6, 5
	s_cmp_lt_i32 s6, s24
	s_cselect_b32 s10, s7, s3
	s_ashr_i32 s11, s10, 31
	s_delay_alu instid0(SALU_CYCLE_1) | instskip(NEXT) | instid1(SALU_CYCLE_1)
	s_lshl_b64 s[10:11], s[10:11], 2
	s_add_u32 s34, s26, s10
	s_addc_u32 s35, s25, s11
	s_or_b32 s11, s12, 0xe0
	s_delay_alu instid0(SALU_CYCLE_1) | instskip(SKIP_2) | instid1(SALU_CYCLE_1)
	s_ashr_i32 s29, s11, 5
	s_cmp_lt_i32 s11, s24
	s_cselect_b32 s36, s29, s3
	s_ashr_i32 s37, s36, 31
	s_waitcnt vmcnt(1)
	v_mad_i64_i32 v[1:2], null, v5, s17, s[4:5]
	s_waitcnt vmcnt(0)
	v_mad_i64_i32 v[3:4], null, v6, s17, s[4:5]
	s_mov_b32 s4, 0
	s_delay_alu instid0(SALU_CYCLE_1)
	s_mov_b32 s5, s4
	s_mov_b32 s6, s4
	;; [unrolled: 1-line block ×7, first 2 shown]
	s_delay_alu instid0(SALU_CYCLE_1) | instskip(SKIP_2) | instid1(VALU_DEP_3)
	v_dual_mov_b32 v108, s11 :: v_dual_lshlrev_b32 v5, 4, v66
	v_mov_b32_e32 v104, s7
	v_dual_mov_b32 v105, s8 :: v_dual_lshlrev_b32 v76, 6, v66
	v_add_co_u32 v1, vcc_lo, v1, v5
	v_add_co_ci_u32_e32 v2, vcc_lo, 0, v2, vcc_lo
	v_add_co_u32 v3, vcc_lo, v3, v5
	v_add_co_ci_u32_e32 v4, vcc_lo, 0, v4, vcc_lo
	s_clause 0x7
	global_load_b128 v[49:52], v[1:2], off
	global_load_b128 v[53:56], v[1:2], off offset:512
	global_load_b128 v[77:80], v[3:4], off offset:256
	;; [unrolled: 1-line block ×7, first 2 shown]
	v_dual_mov_b32 v102, s5 :: v_dual_lshlrev_b32 v1, 5, v66
	v_dual_mov_b32 v107, s10 :: v_dual_mov_b32 v106, s9
	v_mov_b32_e32 v103, s6
	v_mov_b32_e32 v101, s4
	s_lshl_b64 s[4:5], s[36:37], 2
	v_lshl_or_b32 v1, v65, 9, v1
	s_add_u32 s4, s26, s4
	s_addc_u32 s5, s25, s5
	s_load_b32 s3, s[34:35], 0x0
	ds_load_b128 v[109:112], v76
	ds_load_b128 v[113:116], v76 offset:1024
	s_load_b32 s4, s[4:5], 0x0
	s_add_u32 s6, s22, s27
	s_addc_u32 s7, s23, s28
	v_add_co_u32 v9, s6, s6, v1
	s_delay_alu instid0(VALU_DEP_1) | instskip(SKIP_1) | instid1(VALU_DEP_1)
	v_add_co_ci_u32_e64 v10, null, s7, 0, s6
	s_waitcnt lgkmcnt(0)
	v_mad_i64_i32 v[1:2], null, s21, s17, v[9:10]
	v_mad_i64_i32 v[3:4], null, s13, s17, v[9:10]
	;; [unrolled: 1-line block ×7, first 2 shown]
	s_clause 0x9
	global_load_b128 v[57:60], v[1:2], off
	global_load_b128 v[61:64], v[1:2], off offset:16
	global_load_b128 v[41:44], v[3:4], off
	global_load_b128 v[45:48], v[3:4], off offset:16
	;; [unrolled: 2-line block ×5, first 2 shown]
	v_mad_i64_i32 v[68:69], null, s4, s17, v[9:10]
	s_clause 0x3
	global_load_b128 v[9:12], v[13:14], off
	global_load_b128 v[13:16], v[13:14], off offset:16
	global_load_b128 v[17:20], v[21:22], off
	global_load_b128 v[21:24], v[21:22], off offset:16
	s_waitcnt vmcnt(20)
	v_wmma_f32_16x16x16_bf16 v[117:124], v[49:56], v[109:116], v[101:108]
	s_clause 0x1
	global_load_b128 v[49:52], v[68:69], off
	global_load_b128 v[53:56], v[68:69], off offset:16
	v_and_b32_e32 v68, 0xe0, v0
	v_mbcnt_lo_u32_b32 v69, -1, 0
	s_delay_alu instid0(VALU_DEP_2)
	v_add_nc_u32_e32 v68, s12, v68
	s_waitcnt vmcnt(20)
	v_wmma_f32_16x16x16_bf16 v[101:108], v[77:84], v[109:116], v[101:108]
	ds_load_b128 v[77:80], v76 offset:2048
	ds_load_b128 v[81:84], v76 offset:3072
	v_xor_b32_e32 v70, 16, v69
	s_waitcnt vmcnt(0) lgkmcnt(0)
	v_or_b32_e32 v68, v68, v74
	s_barrier
	buffer_gl0_inv
	v_cmp_gt_i32_e32 vcc_lo, 32, v70
	v_or_b32_e32 v71, 4, v68
	v_or_b32_e32 v72, 6, v68
	v_cmp_gt_i32_e64 s3, s24, v68
	v_or_b32_e32 v109, 8, v68
	s_delay_alu instid0(VALU_DEP_4) | instskip(NEXT) | instid1(VALU_DEP_4)
	v_cmp_gt_i32_e64 s4, s24, v71
	v_cmp_gt_i32_e64 s5, s24, v72
	s_delay_alu instid0(VALU_DEP_3)
	v_cmp_gt_i32_e64 s6, s24, v109
	v_wmma_f32_16x16x16_bf16 v[117:124], v[85:92], v[77:84], v[117:124]
	v_cndmask_b32_e32 v69, v69, v70, vcc_lo
	v_or_b32_e32 v70, 2, v68
	v_wmma_f32_16x16x16_bf16 v[101:108], v[93:100], v[77:84], v[101:108]
	v_or_b32_e32 v85, 10, v68
	v_dual_mul_f32 v80, s19, v124 :: v_dual_mul_f32 v93, s19, v119
	v_dual_mul_f32 v94, s19, v118 :: v_dual_mul_f32 v95, s19, v117
	s_delay_alu instid0(VALU_DEP_4) | instskip(SKIP_2) | instid1(VALU_DEP_4)
	v_mul_f32_e32 v96, s19, v108
	v_cmp_gt_i32_e32 vcc_lo, s24, v70
	v_dual_mul_f32 v83, s19, v121 :: v_dual_mul_f32 v84, s19, v120
	v_cndmask_b32_e64 v95, 0xff7fffff, v95, s3
	v_or_b32_e32 v86, 12, v68
	v_cndmask_b32_e32 v94, 0xff7fffff, v94, vcc_lo
	v_or_b32_e32 v87, 14, v68
	v_dual_mul_f32 v81, s19, v123 :: v_dual_mul_f32 v82, s19, v122
	v_cndmask_b32_e64 v93, 0xff7fffff, v93, s4
	v_cndmask_b32_e64 v72, 0xff7fffff, v84, s5
	v_max3_f32 v84, v95, 0xff7fffff, v94
	v_cmp_gt_i32_e64 s7, s24, v85
	v_or_b32_e32 v88, 16, v68
	v_or_b32_e32 v89, 18, v68
	v_cndmask_b32_e64 v83, 0xff7fffff, v83, s6
	v_max3_f32 v72, v84, v93, v72
	v_cndmask_b32_e64 v82, 0xff7fffff, v82, s7
	v_cmp_gt_i32_e64 s8, s24, v86
	v_cmp_gt_i32_e64 s9, s24, v87
	v_or_b32_e32 v90, 20, v68
	v_or_b32_e32 v91, 22, v68
	;; [unrolled: 1-line block ×6, first 2 shown]
	v_dual_mul_f32 v70, s19, v103 :: v_dual_mul_f32 v71, s19, v101
	v_mul_f32_e32 v68, s19, v102
	v_cndmask_b32_e64 v81, 0xff7fffff, v81, s8
	v_cndmask_b32_e64 v80, 0xff7fffff, v80, s9
	v_max3_f32 v72, v72, v83, v82
	v_cmp_gt_i32_e64 s10, s24, v88
	v_cmp_gt_i32_e64 s11, s24, v89
	v_dual_mul_f32 v99, s19, v105 :: v_dual_mul_f32 v100, s19, v104
	s_delay_alu instid0(VALU_DEP_4) | instskip(NEXT) | instid1(VALU_DEP_4)
	v_max3_f32 v72, v72, v81, v80
	v_cndmask_b32_e64 v71, 0xff7fffff, v71, s10
	s_delay_alu instid0(VALU_DEP_4) | instskip(SKIP_3) | instid1(VALU_DEP_4)
	v_cndmask_b32_e64 v68, 0xff7fffff, v68, s11
	v_cmp_gt_i32_e64 s12, s24, v90
	v_cmp_gt_i32_e64 s13, s24, v91
	v_dual_mul_f32 v97, s19, v107 :: v_dual_mul_f32 v98, s19, v106
	v_max3_f32 v68, v72, v71, v68
	s_delay_alu instid0(VALU_DEP_4) | instskip(NEXT) | instid1(VALU_DEP_4)
	v_cndmask_b32_e64 v70, 0xff7fffff, v70, s12
	v_cndmask_b32_e64 v80, 0xff7fffff, v100, s13
	v_cmp_gt_i32_e64 s15, s24, v92
	v_cmp_gt_i32_e64 s16, s24, v77
	;; [unrolled: 1-line block ×4, first 2 shown]
	v_max3_f32 v68, v68, v70, v80
	v_cndmask_b32_e64 v71, 0xff7fffff, v99, s15
	v_cndmask_b32_e64 v72, 0xff7fffff, v98, s16
	v_cndmask_b32_e64 v70, 0xff7fffff, v97, s17
	v_cndmask_b32_e64 v77, 0xff7fffff, v96, s18
	v_lshlrev_b32_e32 v90, 2, v69
	s_delay_alu instid0(VALU_DEP_4) | instskip(NEXT) | instid1(VALU_DEP_1)
	v_max3_f32 v68, v68, v71, v72
	v_max3_f32 v68, v68, v70, v77
	ds_bpermute_b32 v69, v90, v68
	s_waitcnt lgkmcnt(0)
	v_max_f32_e32 v69, v69, v69
	s_delay_alu instid0(VALU_DEP_1) | instskip(NEXT) | instid1(VALU_DEP_1)
	v_max_f32_e32 v81, v68, v69
	v_fma_f32 v68, s19, v117, -v81
	v_fma_f32 v69, s19, v118, -v81
	;; [unrolled: 1-line block ×5, first 2 shown]
	s_delay_alu instid0(VALU_DEP_4) | instskip(NEXT) | instid1(VALU_DEP_3)
	v_dual_mul_f32 v68, 0x3fb8aa3b, v68 :: v_dual_mul_f32 v69, 0x3fb8aa3b, v69
	v_dual_mul_f32 v70, 0x3fb8aa3b, v70 :: v_dual_mul_f32 v71, 0x3fb8aa3b, v71
	v_fma_f32 v78, s19, v123, -v81
	s_delay_alu instid0(VALU_DEP_3) | instskip(NEXT) | instid1(VALU_DEP_3)
	v_exp_f32_e32 v68, v68
	v_exp_f32_e32 v69, v69
	s_delay_alu instid0(VALU_DEP_2)
	v_exp_f32_e32 v70, v70
	v_mul_f32_e32 v72, 0x3fb8aa3b, v72
	v_exp_f32_e32 v71, v71
	v_mul_f32_e32 v78, 0x3fb8aa3b, v78
	v_fma_f32 v80, s19, v106, -v81
	v_cndmask_b32_e64 v82, 0, v68, s3
	s_delay_alu instid0(TRANS32_DEP_3) | instskip(SKIP_2) | instid1(TRANS32_DEP_3)
	v_cndmask_b32_e32 v77, 0, v69, vcc_lo
	v_fma_f32 v68, s19, v122, -v81
	v_exp_f32_e32 v72, v72
	v_cndmask_b32_e64 v83, 0, v70, s4
	v_add_f32_e32 v69, 0, v82
	v_fma_f32 v70, s19, v124, -v81
	v_mul_f32_e32 v68, 0x3fb8aa3b, v68
	v_cndmask_b32_e64 v85, 0, v71, s5
	v_fma_f32 v71, s19, v101, -v81
	s_delay_alu instid0(VALU_DEP_4) | instskip(NEXT) | instid1(VALU_DEP_4)
	v_dual_add_f32 v69, v69, v77 :: v_dual_mul_f32 v70, 0x3fb8aa3b, v70
	v_exp_f32_e32 v68, v68
	s_delay_alu instid0(TRANS32_DEP_2) | instskip(SKIP_1) | instid1(VALU_DEP_3)
	v_cndmask_b32_e64 v86, 0, v72, s6
	v_fma_f32 v72, s19, v102, -v81
	v_add_f32_e32 v69, v69, v83
	v_exp_f32_e32 v78, v78
	v_exp_f32_e32 v70, v70
	s_mov_b32 s3, exec_lo
	s_delay_alu instid0(VALU_DEP_1) | instskip(SKIP_1) | instid1(TRANS32_DEP_3)
	v_dual_mul_f32 v72, 0x3fb8aa3b, v72 :: v_dual_add_f32 v69, v69, v85
	v_mul_f32_e32 v71, 0x3fb8aa3b, v71
	v_cndmask_b32_e64 v87, 0, v68, s7
	s_delay_alu instid0(VALU_DEP_3) | instskip(NEXT) | instid1(VALU_DEP_3)
	v_exp_f32_e32 v72, v72
	v_add_f32_e32 v68, v69, v86
	v_fma_f32 v69, s19, v103, -v81
	v_exp_f32_e32 v71, v71
	v_cndmask_b32_e64 v84, 0, v78, s8
	v_fma_f32 v78, s19, v104, -v81
	s_delay_alu instid0(VALU_DEP_3) | instskip(SKIP_2) | instid1(VALU_DEP_3)
	v_dual_add_f32 v68, v68, v87 :: v_dual_mul_f32 v69, 0x3fb8aa3b, v69
	v_cndmask_b32_e64 v88, 0, v70, s9
	v_fma_f32 v70, s19, v105, -v81
	v_exp_f32_e32 v79, v69
	s_delay_alu instid0(TRANS32_DEP_2) | instskip(SKIP_1) | instid1(VALU_DEP_1)
	v_cndmask_b32_e64 v69, 0, v71, s10
	v_add_f32_e32 v68, v68, v84
	v_dual_mul_f32 v78, 0x3fb8aa3b, v78 :: v_dual_add_f32 v71, v68, v88
	s_delay_alu instid0(VALU_DEP_1) | instskip(SKIP_2) | instid1(VALU_DEP_3)
	v_exp_f32_e32 v78, v78
	v_cndmask_b32_e64 v68, 0, v72, s11
	v_fma_f32 v72, s19, v107, -v81
	v_dual_add_f32 v71, v71, v69 :: v_dual_mul_f32 v70, 0x3fb8aa3b, v70
	s_delay_alu instid0(VALU_DEP_1) | instskip(NEXT) | instid1(TRANS32_DEP_3)
	v_exp_f32_e32 v89, v70
	v_cndmask_b32_e64 v70, 0, v79, s12
	s_delay_alu instid0(VALU_DEP_2) | instskip(NEXT) | instid1(TRANS32_DEP_2)
	v_add_f32_e32 v79, v71, v68
	v_cndmask_b32_e64 v71, 0, v78, s13
	s_delay_alu instid0(VALU_DEP_2) | instskip(SKIP_2) | instid1(VALU_DEP_1)
	v_add_f32_e32 v78, v79, v70
	v_mul_f32_e32 v80, 0x3fb8aa3b, v80
	v_fma_f32 v79, s19, v108, -v81
	v_dual_mul_f32 v72, 0x3fb8aa3b, v72 :: v_dual_mul_f32 v79, 0x3fb8aa3b, v79
	s_delay_alu instid0(VALU_DEP_1) | instskip(NEXT) | instid1(TRANS32_DEP_2)
	v_exp_f32_e32 v91, v72
	v_cndmask_b32_e64 v72, 0, v89, s15
	v_add_f32_e32 v89, v78, v71
	v_exp_f32_e32 v80, v80
	s_waitcnt_depctr 0xfff
	v_cndmask_b32_e64 v78, 0, v80, s16
	v_add_f32_e32 v80, v89, v72
	v_exp_f32_e32 v89, v79
	v_cndmask_b32_e64 v79, 0, v91, s17
	s_delay_alu instid0(VALU_DEP_2) | instskip(NEXT) | instid1(VALU_DEP_1)
	v_add_f32_e32 v80, v80, v78
	v_add_f32_e32 v91, v80, v79
	s_waitcnt_depctr 0xfff
	v_cndmask_b32_e64 v80, 0, v89, s18
	s_delay_alu instid0(VALU_DEP_1)
	v_add_f32_e32 v89, v91, v80
	ds_bpermute_b32 v90, v90, v89
	v_cmpx_gt_u32_e32 16, v67
	s_cbranch_execz .LBB1757_12
; %bb.11:
	v_mul_u32_u24_e32 v67, 0x44, v65
	s_waitcnt lgkmcnt(0)
	v_add_f32_e32 v89, v89, v90
	s_delay_alu instid0(VALU_DEP_2) | instskip(NEXT) | instid1(VALU_DEP_1)
	v_lshl_add_u32 v67, v66, 2, v67
	v_add_nc_u32_e32 v67, 0x4000, v67
	ds_store_2addr_b32 v67, v81, v89 offset1:136
.LBB1757_12:
	s_or_b32 exec_lo, exec_lo, s3
	v_lshlrev_b32_e32 v66, 2, v66
	s_waitcnt lgkmcnt(0)
	s_barrier
	buffer_gl0_inv
	v_cmp_eq_u32_e32 vcc_lo, 1, v65
	v_add_nc_u32_e32 v81, 0x4000, v66
	v_cmp_eq_u32_e64 s3, 2, v65
	v_cmp_eq_u32_e64 s5, 7, v65
	ds_load_2addr_b32 v[89:90], v81 offset1:17
	ds_load_2addr_b32 v[91:92], v81 offset0:34 offset1:51
	ds_load_2addr_b32 v[93:94], v81 offset0:68 offset1:85
	;; [unrolled: 1-line block ×4, first 2 shown]
	s_waitcnt lgkmcnt(4)
	v_max3_f32 v66, v89, 0xff7fffff, v90
	s_waitcnt lgkmcnt(3)
	s_delay_alu instid0(VALU_DEP_1) | instskip(SKIP_1) | instid1(VALU_DEP_1)
	v_max3_f32 v66, v66, v91, v92
	s_waitcnt lgkmcnt(2)
	v_max3_f32 v66, v66, v93, v94
	s_waitcnt lgkmcnt(1)
	s_delay_alu instid0(VALU_DEP_1) | instskip(NEXT) | instid1(VALU_DEP_1)
	v_max3_f32 v66, v66, v95, v96
	v_sub_f32_e32 v67, v89, v66
	v_sub_f32_e32 v91, v91, v66
	;; [unrolled: 1-line block ×3, first 2 shown]
	s_delay_alu instid0(VALU_DEP_3) | instskip(NEXT) | instid1(VALU_DEP_3)
	v_mul_f32_e32 v67, 0x3fb8aa3b, v67
	v_mul_f32_e32 v101, 0x3fb8aa3b, v91
	s_delay_alu instid0(VALU_DEP_3) | instskip(NEXT) | instid1(VALU_DEP_3)
	v_mul_f32_e32 v103, 0x3fb8aa3b, v93
	v_exp_f32_e32 v100, v67
	v_sub_f32_e32 v67, v92, v66
	v_sub_f32_e32 v99, v90, v66
	ds_load_2addr_b32 v[89:90], v81 offset0:170 offset1:187
	ds_load_2addr_b32 v[91:92], v81 offset0:204 offset1:221
	v_exp_f32_e32 v101, v101
	v_mul_f32_e32 v102, 0x3fb8aa3b, v67
	v_mul_f32_e32 v99, 0x3fb8aa3b, v99
	s_waitcnt lgkmcnt(2)
	v_fma_f32 v67, v100, v97, 0
	v_sub_f32_e32 v97, v94, v66
	s_delay_alu instid0(VALU_DEP_3)
	v_exp_f32_e32 v99, v99
	v_exp_f32_e32 v102, v102
	ds_load_2addr_b32 v[93:94], v81 offset0:238 offset1:255
	v_sub_f32_e32 v81, v95, v66
	v_mul_f32_e32 v95, 0x3fb8aa3b, v97
	v_exp_f32_e32 v97, v103
	s_waitcnt lgkmcnt(0)
	s_barrier
	v_mul_f32_e32 v81, 0x3fb8aa3b, v81
	v_exp_f32_e32 v95, v95
	v_fmac_f32_e32 v67, v99, v98
	buffer_gl0_inv
	v_exp_f32_e32 v81, v81
	v_fmac_f32_e32 v67, v101, v89
	v_sub_f32_e32 v89, v96, v66
	s_delay_alu instid0(VALU_DEP_2) | instskip(NEXT) | instid1(VALU_DEP_2)
	v_fmac_f32_e32 v67, v102, v90
	v_mul_f32_e32 v89, 0x3fb8aa3b, v89
	s_delay_alu instid0(VALU_DEP_2) | instskip(NEXT) | instid1(VALU_DEP_2)
	v_fmac_f32_e32 v67, v97, v91
	v_exp_f32_e32 v89, v89
	s_delay_alu instid0(VALU_DEP_1)
	v_fmac_f32_e32 v67, v95, v92
	s_delay_alu instid0(TRANS32_DEP_2) | instid1(VALU_DEP_1)
	v_fmac_f32_e32 v67, v81, v93
	s_waitcnt_depctr 0xfff
	v_fmac_f32_e32 v67, v89, v94
	s_delay_alu instid0(VALU_DEP_1) | instskip(NEXT) | instid1(VALU_DEP_1)
	v_add_f32_e32 v90, 0x358637bd, v67
	v_div_scale_f32 v91, null, v90, v90, 1.0
	v_div_scale_f32 v94, s4, 1.0, v90, 1.0
	s_delay_alu instid0(VALU_DEP_2) | instskip(SKIP_2) | instid1(VALU_DEP_1)
	v_rcp_f32_e32 v92, v91
	s_waitcnt_depctr 0xfff
	v_fma_f32 v93, -v91, v92, 1.0
	v_dual_fmac_f32 v92, v93, v92 :: v_dual_cndmask_b32 v93, v100, v99
	v_cmp_eq_u32_e32 vcc_lo, 3, v65
	s_delay_alu instid0(VALU_DEP_2) | instskip(NEXT) | instid1(VALU_DEP_3)
	v_mul_f32_e32 v96, v94, v92
	v_cndmask_b32_e64 v93, v93, v101, s3
	v_cmp_eq_u32_e64 s3, 4, v65
	s_delay_alu instid0(VALU_DEP_3) | instskip(NEXT) | instid1(VALU_DEP_3)
	v_fma_f32 v98, -v91, v96, v94
	v_cndmask_b32_e32 v93, v93, v102, vcc_lo
	v_cmp_eq_u32_e32 vcc_lo, 5, v65
	s_delay_alu instid0(VALU_DEP_3) | instskip(NEXT) | instid1(VALU_DEP_3)
	v_fmac_f32_e32 v96, v98, v92
	v_cndmask_b32_e64 v93, v93, v97, s3
	v_cmp_eq_u32_e64 s3, 6, v65
	s_delay_alu instid0(VALU_DEP_3) | instskip(NEXT) | instid1(VALU_DEP_3)
	v_fma_f32 v91, -v91, v96, v94
	v_cndmask_b32_e32 v93, v93, v95, vcc_lo
	s_mov_b32 vcc_lo, s4
	s_delay_alu instid0(VALU_DEP_2) | instskip(NEXT) | instid1(VALU_DEP_2)
	v_div_fmas_f32 v91, v91, v92, v96
	v_cndmask_b32_e64 v81, v93, v81, s3
	s_mov_b32 s3, exec_lo
	s_delay_alu instid0(VALU_DEP_2) | instskip(NEXT) | instid1(VALU_DEP_2)
	v_div_fixup_f32 v90, v91, v90, 1.0
	v_cndmask_b32_e64 v81, v81, v89, s5
	s_delay_alu instid0(VALU_DEP_1) | instskip(NEXT) | instid1(VALU_DEP_1)
	v_mul_f32_e32 v81, v81, v90
	v_mul_f32_e32 v90, v81, v82
	;; [unrolled: 1-line block ×6, first 2 shown]
	v_dual_mul_f32 v86, v81, v83 :: v_dual_and_b32 v91, 0x7f800000, v90
	v_mul_f32_e32 v89, v81, v85
	v_mul_f32_e32 v85, v81, v77
                                        ; implicit-def: $vgpr77
	s_delay_alu instid0(VALU_DEP_3)
	v_cmpx_ne_u32_e32 0x7f800000, v91
	s_xor_b32 s3, exec_lo, s3
; %bb.13:
	v_bfe_u32 v77, v90, 16, 1
	s_delay_alu instid0(VALU_DEP_1)
	v_add3_u32 v77, v90, v77, 0x7fff
                                        ; implicit-def: $vgpr90
; %bb.14:
	s_and_not1_saveexec_b32 s3, s3
; %bb.15:
	v_and_b32_e32 v77, 0xffff, v90
	v_or_b32_e32 v83, 0x10000, v90
	s_delay_alu instid0(VALU_DEP_2) | instskip(NEXT) | instid1(VALU_DEP_2)
	v_cmp_eq_u32_e32 vcc_lo, 0, v77
	v_cndmask_b32_e32 v77, v83, v90, vcc_lo
; %bb.16:
	s_or_b32 exec_lo, exec_lo, s3
	v_and_b32_e32 v83, 0x7f800000, v85
	s_delay_alu instid0(VALU_DEP_1) | instskip(SKIP_1) | instid1(SALU_CYCLE_1)
	v_cmp_ne_u32_e32 vcc_lo, 0x7f800000, v83
                                        ; implicit-def: $vgpr83
	s_and_saveexec_b32 s3, vcc_lo
	s_xor_b32 s3, exec_lo, s3
; %bb.17:
	v_bfe_u32 v83, v85, 16, 1
	s_delay_alu instid0(VALU_DEP_1)
	v_add3_u32 v83, v85, v83, 0x7fff
                                        ; implicit-def: $vgpr85
; %bb.18:
	s_and_not1_saveexec_b32 s3, s3
; %bb.19:
	v_and_b32_e32 v83, 0xffff, v85
	v_or_b32_e32 v90, 0x10000, v85
	s_delay_alu instid0(VALU_DEP_2) | instskip(NEXT) | instid1(VALU_DEP_2)
	v_cmp_eq_u32_e32 vcc_lo, 0, v83
	v_cndmask_b32_e32 v83, v90, v85, vcc_lo
; %bb.20:
	s_or_b32 exec_lo, exec_lo, s3
	v_and_b32_e32 v85, 0x7f800000, v86
	s_delay_alu instid0(VALU_DEP_1) | instskip(SKIP_1) | instid1(SALU_CYCLE_1)
	v_cmp_ne_u32_e32 vcc_lo, 0x7f800000, v85
                                        ; implicit-def: $vgpr85
	s_and_saveexec_b32 s3, vcc_lo
	s_xor_b32 s3, exec_lo, s3
; %bb.21:
	v_bfe_u32 v85, v86, 16, 1
	s_delay_alu instid0(VALU_DEP_1)
	v_add3_u32 v85, v86, v85, 0x7fff
                                        ; implicit-def: $vgpr86
; %bb.22:
	s_and_not1_saveexec_b32 s3, s3
; %bb.23:
	v_and_b32_e32 v85, 0xffff, v86
	v_or_b32_e32 v90, 0x10000, v86
	s_delay_alu instid0(VALU_DEP_2) | instskip(NEXT) | instid1(VALU_DEP_2)
	v_cmp_eq_u32_e32 vcc_lo, 0, v85
	v_cndmask_b32_e32 v85, v90, v86, vcc_lo
; %bb.24:
	s_or_b32 exec_lo, exec_lo, s3
	v_and_b32_e32 v86, 0x7f800000, v89
	s_delay_alu instid0(VALU_DEP_1) | instskip(SKIP_1) | instid1(SALU_CYCLE_1)
	v_cmp_ne_u32_e32 vcc_lo, 0x7f800000, v86
                                        ; implicit-def: $vgpr86
	s_and_saveexec_b32 s3, vcc_lo
	s_xor_b32 s3, exec_lo, s3
; %bb.25:
	v_bfe_u32 v86, v89, 16, 1
	s_delay_alu instid0(VALU_DEP_1)
	v_add3_u32 v86, v89, v86, 0x7fff
                                        ; implicit-def: $vgpr89
; %bb.26:
	s_and_not1_saveexec_b32 s3, s3
; %bb.27:
	v_and_b32_e32 v86, 0xffff, v89
	v_or_b32_e32 v90, 0x10000, v89
	s_delay_alu instid0(VALU_DEP_2) | instskip(NEXT) | instid1(VALU_DEP_2)
	v_cmp_eq_u32_e32 vcc_lo, 0, v86
	v_cndmask_b32_e32 v86, v90, v89, vcc_lo
; %bb.28:
	s_or_b32 exec_lo, exec_lo, s3
	v_and_b32_e32 v89, 0x7f800000, v88
	s_delay_alu instid0(VALU_DEP_1) | instskip(SKIP_1) | instid1(SALU_CYCLE_1)
	v_cmp_ne_u32_e32 vcc_lo, 0x7f800000, v89
                                        ; implicit-def: $vgpr89
	s_and_saveexec_b32 s3, vcc_lo
	s_xor_b32 s3, exec_lo, s3
; %bb.29:
	v_bfe_u32 v89, v88, 16, 1
	s_delay_alu instid0(VALU_DEP_1)
	v_add3_u32 v89, v88, v89, 0x7fff
                                        ; implicit-def: $vgpr88
; %bb.30:
	s_and_not1_saveexec_b32 s3, s3
; %bb.31:
	v_and_b32_e32 v89, 0xffff, v88
	v_or_b32_e32 v90, 0x10000, v88
	s_delay_alu instid0(VALU_DEP_2) | instskip(NEXT) | instid1(VALU_DEP_2)
	v_cmp_eq_u32_e32 vcc_lo, 0, v89
	v_cndmask_b32_e32 v89, v90, v88, vcc_lo
; %bb.32:
	s_or_b32 exec_lo, exec_lo, s3
	v_and_b32_e32 v88, 0x7f800000, v87
	s_delay_alu instid0(VALU_DEP_1) | instskip(SKIP_1) | instid1(SALU_CYCLE_1)
	v_cmp_ne_u32_e32 vcc_lo, 0x7f800000, v88
                                        ; implicit-def: $vgpr88
	s_and_saveexec_b32 s3, vcc_lo
	s_xor_b32 s3, exec_lo, s3
; %bb.33:
	v_bfe_u32 v88, v87, 16, 1
	s_delay_alu instid0(VALU_DEP_1)
	v_add3_u32 v88, v87, v88, 0x7fff
                                        ; implicit-def: $vgpr87
; %bb.34:
	s_and_not1_saveexec_b32 s3, s3
; %bb.35:
	v_and_b32_e32 v88, 0xffff, v87
	v_or_b32_e32 v90, 0x10000, v87
	s_delay_alu instid0(VALU_DEP_2) | instskip(NEXT) | instid1(VALU_DEP_2)
	v_cmp_eq_u32_e32 vcc_lo, 0, v88
	v_cndmask_b32_e32 v88, v90, v87, vcc_lo
; %bb.36:
	s_or_b32 exec_lo, exec_lo, s3
	v_and_b32_e32 v87, 0x7f800000, v84
	s_delay_alu instid0(VALU_DEP_1) | instskip(SKIP_1) | instid1(SALU_CYCLE_1)
	v_cmp_ne_u32_e32 vcc_lo, 0x7f800000, v87
                                        ; implicit-def: $vgpr87
	s_and_saveexec_b32 s3, vcc_lo
	s_xor_b32 s3, exec_lo, s3
; %bb.37:
	v_bfe_u32 v87, v84, 16, 1
	s_delay_alu instid0(VALU_DEP_1)
	v_add3_u32 v87, v84, v87, 0x7fff
                                        ; implicit-def: $vgpr84
; %bb.38:
	s_and_not1_saveexec_b32 s3, s3
; %bb.39:
	v_and_b32_e32 v87, 0xffff, v84
	v_or_b32_e32 v90, 0x10000, v84
	s_delay_alu instid0(VALU_DEP_2) | instskip(NEXT) | instid1(VALU_DEP_2)
	v_cmp_eq_u32_e32 vcc_lo, 0, v87
	v_cndmask_b32_e32 v87, v90, v84, vcc_lo
; %bb.40:
	s_or_b32 exec_lo, exec_lo, s3
	v_and_b32_e32 v84, 0x7f800000, v82
	s_delay_alu instid0(VALU_DEP_1) | instskip(SKIP_1) | instid1(SALU_CYCLE_1)
	v_cmp_ne_u32_e32 vcc_lo, 0x7f800000, v84
                                        ; implicit-def: $vgpr84
	s_and_saveexec_b32 s3, vcc_lo
	s_xor_b32 s3, exec_lo, s3
; %bb.41:
	v_bfe_u32 v84, v82, 16, 1
	s_delay_alu instid0(VALU_DEP_1)
	v_add3_u32 v84, v82, v84, 0x7fff
                                        ; implicit-def: $vgpr82
; %bb.42:
	s_and_not1_saveexec_b32 s3, s3
; %bb.43:
	v_and_b32_e32 v84, 0xffff, v82
	v_or_b32_e32 v90, 0x10000, v82
	s_delay_alu instid0(VALU_DEP_2) | instskip(NEXT) | instid1(VALU_DEP_2)
	v_cmp_eq_u32_e32 vcc_lo, 0, v84
	v_cndmask_b32_e32 v84, v90, v82, vcc_lo
; %bb.44:
	s_or_b32 exec_lo, exec_lo, s3
	s_load_b64 s[34:35], s[0:1], 0x94
	v_lshlrev_b32_e32 v82, 4, v74
	s_delay_alu instid0(VALU_DEP_2)
	v_perm_b32 v90, v84, v87, 0x7060302
	v_lshlrev_b32_e32 v84, 11, v65
	v_perm_b32 v87, v83, v77, 0x7060302
	v_mul_f32_e32 v83, v81, v69
	v_mul_f32_e32 v69, v81, v80
	v_perm_b32 v89, v88, v89, 0x7060302
	v_perm_b32 v88, v86, v85, 0x7060302
	v_or3_b32 v77, v82, v84, v76
	v_mul_f32_e32 v79, v81, v79
	v_mul_f32_e32 v78, v81, v78
	v_and_b32_e32 v84, 0x7f800000, v83
	v_mul_f32_e32 v72, v81, v72
	v_mul_f32_e32 v82, v81, v71
	;; [unrolled: 1-line block ×4, first 2 shown]
	s_mov_b32 s3, exec_lo
	ds_store_b128 v77, v[87:90]
                                        ; implicit-def: $vgpr68
	v_cmpx_ne_u32_e32 0x7f800000, v84
	s_xor_b32 s3, exec_lo, s3
; %bb.45:
	v_bfe_u32 v68, v83, 16, 1
	s_delay_alu instid0(VALU_DEP_1)
	v_add3_u32 v68, v83, v68, 0x7fff
                                        ; implicit-def: $vgpr83
; %bb.46:
	s_and_not1_saveexec_b32 s3, s3
; %bb.47:
	v_and_b32_e32 v68, 0xffff, v83
	v_or_b32_e32 v70, 0x10000, v83
	s_delay_alu instid0(VALU_DEP_2) | instskip(NEXT) | instid1(VALU_DEP_2)
	v_cmp_eq_u32_e32 vcc_lo, 0, v68
	v_cndmask_b32_e32 v68, v70, v83, vcc_lo
; %bb.48:
	s_or_b32 exec_lo, exec_lo, s3
	v_and_b32_e32 v70, 0x7f800000, v71
	s_delay_alu instid0(VALU_DEP_1) | instskip(SKIP_1) | instid1(SALU_CYCLE_1)
	v_cmp_ne_u32_e32 vcc_lo, 0x7f800000, v70
                                        ; implicit-def: $vgpr70
	s_and_saveexec_b32 s3, vcc_lo
	s_xor_b32 s3, exec_lo, s3
; %bb.49:
	v_bfe_u32 v70, v71, 16, 1
	s_delay_alu instid0(VALU_DEP_1)
	v_add3_u32 v70, v71, v70, 0x7fff
                                        ; implicit-def: $vgpr71
; %bb.50:
	s_and_not1_saveexec_b32 s3, s3
; %bb.51:
	v_and_b32_e32 v70, 0xffff, v71
	v_or_b32_e32 v81, 0x10000, v71
	s_delay_alu instid0(VALU_DEP_2) | instskip(NEXT) | instid1(VALU_DEP_2)
	v_cmp_eq_u32_e32 vcc_lo, 0, v70
	v_cndmask_b32_e32 v70, v81, v71, vcc_lo
; %bb.52:
	s_or_b32 exec_lo, exec_lo, s3
	v_and_b32_e32 v71, 0x7f800000, v80
	s_delay_alu instid0(VALU_DEP_1) | instskip(SKIP_1) | instid1(SALU_CYCLE_1)
	v_cmp_ne_u32_e32 vcc_lo, 0x7f800000, v71
                                        ; implicit-def: $vgpr71
	s_and_saveexec_b32 s3, vcc_lo
	s_xor_b32 s3, exec_lo, s3
; %bb.53:
	v_bfe_u32 v71, v80, 16, 1
	s_delay_alu instid0(VALU_DEP_1)
	v_add3_u32 v71, v80, v71, 0x7fff
                                        ; implicit-def: $vgpr80
; %bb.54:
	s_and_not1_saveexec_b32 s3, s3
; %bb.55:
	v_and_b32_e32 v71, 0xffff, v80
	v_or_b32_e32 v81, 0x10000, v80
	s_delay_alu instid0(VALU_DEP_2) | instskip(NEXT) | instid1(VALU_DEP_2)
	v_cmp_eq_u32_e32 vcc_lo, 0, v71
	v_cndmask_b32_e32 v71, v81, v80, vcc_lo
; %bb.56:
	s_or_b32 exec_lo, exec_lo, s3
	v_and_b32_e32 v80, 0x7f800000, v82
	s_delay_alu instid0(VALU_DEP_1) | instskip(SKIP_1) | instid1(SALU_CYCLE_1)
	v_cmp_ne_u32_e32 vcc_lo, 0x7f800000, v80
                                        ; implicit-def: $vgpr80
	s_and_saveexec_b32 s3, vcc_lo
	s_xor_b32 s3, exec_lo, s3
; %bb.57:
	v_bfe_u32 v80, v82, 16, 1
	s_delay_alu instid0(VALU_DEP_1)
	v_add3_u32 v80, v82, v80, 0x7fff
                                        ; implicit-def: $vgpr82
; %bb.58:
	s_and_not1_saveexec_b32 s3, s3
; %bb.59:
	v_and_b32_e32 v80, 0xffff, v82
	v_or_b32_e32 v81, 0x10000, v82
	s_delay_alu instid0(VALU_DEP_2) | instskip(NEXT) | instid1(VALU_DEP_2)
	v_cmp_eq_u32_e32 vcc_lo, 0, v80
	v_cndmask_b32_e32 v80, v81, v82, vcc_lo
; %bb.60:
	s_or_b32 exec_lo, exec_lo, s3
	v_and_b32_e32 v81, 0x7f800000, v72
	s_delay_alu instid0(VALU_DEP_1) | instskip(SKIP_1) | instid1(SALU_CYCLE_1)
	v_cmp_ne_u32_e32 vcc_lo, 0x7f800000, v81
                                        ; implicit-def: $vgpr81
	s_and_saveexec_b32 s3, vcc_lo
	s_xor_b32 s3, exec_lo, s3
; %bb.61:
	v_bfe_u32 v81, v72, 16, 1
	s_delay_alu instid0(VALU_DEP_1)
	v_add3_u32 v81, v72, v81, 0x7fff
                                        ; implicit-def: $vgpr72
; %bb.62:
	s_and_not1_saveexec_b32 s3, s3
; %bb.63:
	v_and_b32_e32 v81, 0xffff, v72
	v_or_b32_e32 v82, 0x10000, v72
	s_delay_alu instid0(VALU_DEP_2) | instskip(NEXT) | instid1(VALU_DEP_2)
	v_cmp_eq_u32_e32 vcc_lo, 0, v81
	v_cndmask_b32_e32 v81, v82, v72, vcc_lo
; %bb.64:
	s_or_b32 exec_lo, exec_lo, s3
	v_and_b32_e32 v72, 0x7f800000, v78
	s_delay_alu instid0(VALU_DEP_1) | instskip(SKIP_1) | instid1(SALU_CYCLE_1)
	v_cmp_ne_u32_e32 vcc_lo, 0x7f800000, v72
                                        ; implicit-def: $vgpr72
	s_and_saveexec_b32 s3, vcc_lo
	s_xor_b32 s3, exec_lo, s3
; %bb.65:
	v_bfe_u32 v72, v78, 16, 1
	s_delay_alu instid0(VALU_DEP_1)
	v_add3_u32 v72, v78, v72, 0x7fff
                                        ; implicit-def: $vgpr78
; %bb.66:
	s_and_not1_saveexec_b32 s3, s3
; %bb.67:
	v_and_b32_e32 v72, 0xffff, v78
	v_or_b32_e32 v82, 0x10000, v78
	s_delay_alu instid0(VALU_DEP_2) | instskip(NEXT) | instid1(VALU_DEP_2)
	v_cmp_eq_u32_e32 vcc_lo, 0, v72
	v_cndmask_b32_e32 v72, v82, v78, vcc_lo
; %bb.68:
	s_or_b32 exec_lo, exec_lo, s3
	v_and_b32_e32 v78, 0x7f800000, v79
	s_delay_alu instid0(VALU_DEP_1) | instskip(SKIP_1) | instid1(SALU_CYCLE_1)
	v_cmp_ne_u32_e32 vcc_lo, 0x7f800000, v78
                                        ; implicit-def: $vgpr78
	s_and_saveexec_b32 s3, vcc_lo
	s_xor_b32 s3, exec_lo, s3
; %bb.69:
	v_bfe_u32 v78, v79, 16, 1
	s_delay_alu instid0(VALU_DEP_1)
	v_add3_u32 v78, v79, v78, 0x7fff
                                        ; implicit-def: $vgpr79
; %bb.70:
	s_and_not1_saveexec_b32 s3, s3
; %bb.71:
	v_and_b32_e32 v78, 0xffff, v79
	v_or_b32_e32 v82, 0x10000, v79
	s_delay_alu instid0(VALU_DEP_2) | instskip(NEXT) | instid1(VALU_DEP_2)
	v_cmp_eq_u32_e32 vcc_lo, 0, v78
	v_cndmask_b32_e32 v78, v82, v79, vcc_lo
; %bb.72:
	s_or_b32 exec_lo, exec_lo, s3
	v_and_b32_e32 v79, 0x7f800000, v69
	s_delay_alu instid0(VALU_DEP_1) | instskip(SKIP_1) | instid1(SALU_CYCLE_1)
	v_cmp_ne_u32_e32 vcc_lo, 0x7f800000, v79
                                        ; implicit-def: $vgpr79
	s_and_saveexec_b32 s3, vcc_lo
	s_xor_b32 s3, exec_lo, s3
; %bb.73:
	v_bfe_u32 v79, v69, 16, 1
	s_delay_alu instid0(VALU_DEP_1)
	v_add3_u32 v79, v69, v79, 0x7fff
                                        ; implicit-def: $vgpr69
; %bb.74:
	s_and_not1_saveexec_b32 s3, s3
; %bb.75:
	v_and_b32_e32 v79, 0xffff, v69
	v_or_b32_e32 v82, 0x10000, v69
	s_delay_alu instid0(VALU_DEP_2) | instskip(NEXT) | instid1(VALU_DEP_2)
	v_cmp_eq_u32_e32 vcc_lo, 0, v79
	v_cndmask_b32_e32 v79, v82, v69, vcc_lo
; %bb.76:
	s_or_b32 exec_lo, exec_lo, s3
	s_delay_alu instid0(VALU_DEP_1)
	v_perm_b32 v86, v79, v78, 0x7060302
	v_perm_b32 v85, v72, v81, 0x7060302
	;; [unrolled: 1-line block ×4, first 2 shown]
	v_lshl_or_b32 v82, v65, 11, v76
	v_lshlrev_b32_e32 v79, 2, v74
	ds_store_b128 v77, v[83:86] offset:1024
	s_waitcnt lgkmcnt(0)
	s_barrier
	buffer_gl0_inv
	ds_load_b128 v[68:71], v82
	ds_load_b128 v[83:86], v82 offset:16
	v_or_b32_e32 v80, 1, v79
	v_cmp_eq_u32_e32 vcc_lo, 1, v79
	v_cmp_eq_u32_e64 s4, 2, v79
	v_cmp_eq_u32_e64 s7, 3, v79
	;; [unrolled: 1-line block ×6, first 2 shown]
	v_or_b32_e32 v78, 2, v79
	v_cmp_eq_u32_e64 s10, 5, v79
	v_cmp_eq_u32_e64 s11, 4, v80
	;; [unrolled: 1-line block ×9, first 2 shown]
	s_waitcnt lgkmcnt(1)
	v_lshrrev_b32_e32 v65, 16, v68
	s_waitcnt lgkmcnt(0)
	v_lshrrev_b32_e32 v91, 16, v83
	v_lshrrev_b32_e32 v72, 16, v69
	;; [unrolled: 1-line block ×4, first 2 shown]
	v_cndmask_b32_e32 v81, v68, v65, vcc_lo
	v_cndmask_b32_e32 v87, v83, v91, vcc_lo
	v_cndmask_b32_e64 v88, v68, v65, s3
	v_lshrrev_b32_e32 v98, 16, v85
	v_cndmask_b32_e64 v89, v83, v91, s3
	v_cndmask_b32_e64 v81, v81, v69, s4
	v_cndmask_b32_e64 v87, v87, v84, s4
	v_cndmask_b32_e64 v88, v88, v69, s6
	v_lshrrev_b32_e32 v96, 16, v71
	v_cndmask_b32_e64 v89, v89, v84, s6
	v_cndmask_b32_e64 v81, v81, v72, s7
	v_cndmask_b32_e64 v87, v87, v97, s7
	;; [unrolled: 5-line block ×3, first 2 shown]
	v_cndmask_b32_e64 v88, v88, v70, s11
	v_cndmask_b32_e64 v89, v89, v97, s8
	v_cmp_eq_u32_e64 s19, 3, v78
	v_cndmask_b32_e64 v81, v81, v95, s10
	v_cndmask_b32_e64 v87, v87, v98, s10
	v_cndmask_b32_e64 v88, v88, v95, s13
	v_cndmask_b32_e64 v89, v89, v85, s11
	v_cmp_eq_u32_e64 s20, 4, v78
	v_cndmask_b32_e64 v81, v81, v71, s12
	v_cndmask_b32_e64 v87, v87, v86, s12
	;; [unrolled: 1-line block ×3, first 2 shown]
	v_cmp_eq_u32_e64 s22, 5, v78
	v_cmp_eq_u32_e64 s24, 6, v78
	v_cndmask_b32_e64 v100, v81, v96, s15
	v_cndmask_b32_e64 v101, v87, v99, s15
	;; [unrolled: 1-line block ×6, first 2 shown]
	v_cmp_eq_u32_e64 s27, 7, v78
	v_cndmask_b32_e64 v89, v81, v72, s19
	v_cndmask_b32_e64 v87, v87, v84, s17
	v_or_b32_e32 v81, 3, v79
	v_cndmask_b32_e64 v103, v88, v86, s16
	s_delay_alu instid0(VALU_DEP_4) | instskip(NEXT) | instid1(VALU_DEP_4)
	v_cndmask_b32_e64 v92, v89, v70, s20
	v_cndmask_b32_e64 v93, v87, v97, s19
	s_delay_alu instid0(VALU_DEP_4)
	v_cmp_eq_u32_e64 s21, 1, v81
	ds_load_b128 v[87:90], v82 offset:1024
	v_cmp_eq_u32_e64 s23, 2, v81
	v_cndmask_b32_e64 v104, v92, v95, s22
	v_cmp_eq_u32_e64 s25, 3, v81
	v_cndmask_b32_e64 v65, v68, v65, s21
	v_cndmask_b32_e64 v68, v93, v85, s20
	;; [unrolled: 1-line block ×3, first 2 shown]
	ds_load_b128 v[91:94], v82 offset:1040
	v_cmp_eq_u32_e64 s26, 4, v81
	v_cndmask_b32_e64 v65, v65, v69, s23
	v_cmp_eq_u32_e64 s28, 5, v81
	v_cndmask_b32_e64 v69, v83, v84, s23
	;; [unrolled: 2-line block ×3, first 2 shown]
	v_cndmask_b32_e64 v65, v65, v72, s25
	v_cndmask_b32_e64 v72, v104, v71, s24
	;; [unrolled: 1-line block ×6, first 2 shown]
	s_waitcnt lgkmcnt(1)
	v_lshrrev_b32_e32 v84, 16, v87
	v_cndmask_b32_e64 v69, v69, v85, s26
	v_cndmask_b32_e64 v70, v72, v96, s27
	;; [unrolled: 1-line block ×4, first 2 shown]
	v_cndmask_b32_e32 v72, v87, v84, vcc_lo
	v_cndmask_b32_e64 v69, v69, v98, s28
	s_waitcnt lgkmcnt(0)
	v_lshrrev_b32_e32 v85, 16, v91
	v_lshrrev_b32_e32 v95, 16, v88
	v_cndmask_b32_e64 v97, v87, v84, s3
	v_cndmask_b32_e64 v72, v72, v88, s4
	;; [unrolled: 1-line block ×3, first 2 shown]
	v_cndmask_b32_e32 v98, v91, v85, vcc_lo
	v_cmp_eq_u32_e32 vcc_lo, 7, v81
	v_cndmask_b32_e64 v69, v69, v86, s29
	v_cndmask_b32_e64 v71, v72, v95, s7
	;; [unrolled: 1-line block ×3, first 2 shown]
	v_lshrrev_b32_e32 v97, 16, v92
	v_cndmask_b32_e32 v65, v65, v96, vcc_lo
	v_cndmask_b32_e64 v86, v98, v92, s4
	v_cndmask_b32_e32 v69, v69, v99, vcc_lo
	v_lshrrev_b32_e32 v99, 16, v93
	v_cndmask_b32_e64 v71, v71, v89, s9
	v_lshrrev_b32_e32 v98, 16, v89
	v_cndmask_b32_e64 v86, v86, v97, s7
	v_perm_b32 v70, v68, v70, 0x5040100
	v_cndmask_b32_e64 v72, v72, v95, s8
	s_delay_alu instid0(VALU_DEP_4) | instskip(NEXT) | instid1(VALU_DEP_4)
	v_cndmask_b32_e64 v96, v71, v98, s10
	v_cndmask_b32_e64 v86, v86, v93, s9
	v_perm_b32 v71, v69, v65, 0x5040100
	v_perm_b32 v69, v83, v102, 0x5040100
	v_cndmask_b32_e64 v102, v91, v85, s5
	v_cndmask_b32_e64 v72, v72, v89, s11
	;; [unrolled: 1-line block ×3, first 2 shown]
	v_lshrrev_b32_e32 v83, 16, v94
	s_delay_alu instid0(VALU_DEP_3) | instskip(NEXT) | instid1(VALU_DEP_3)
	v_cndmask_b32_e64 v65, v72, v98, s13
	v_cndmask_b32_e64 v68, v86, v94, s12
	;; [unrolled: 1-line block ×27, first 2 shown]
	v_lshrrev_b32_e32 v96, 16, v90
	v_cndmask_b32_e64 v65, v65, v90, s16
	v_cndmask_b32_e64 v86, v86, v90, s24
	;; [unrolled: 1-line block ×9, first 2 shown]
	v_cndmask_b32_e32 v84, v84, v96, vcc_lo
	v_cndmask_b32_e32 v86, v87, v83, vcc_lo
	v_cndmask_b32_e64 v87, v88, v83, s27
	v_cndmask_b32_e64 v88, v85, v83, s18
	;; [unrolled: 1-line block ×3, first 2 shown]
	v_perm_b32 v68, v101, v100, 0x5040100
	v_perm_b32 v86, v86, v84, 0x5040100
	;; [unrolled: 1-line block ×5, first 2 shown]
	s_lshl_b32 s8, s35, 4
	s_mov_b32 s3, exec_lo
	ds_store_b128 v77, v[68:71]
	ds_store_b128 v77, v[83:86] offset:1024
	v_cmpx_gt_u32_e32 16, v0
	s_cbranch_execz .LBB1757_78
; %bb.77:
	v_or_b32_e32 v65, s31, v0
	s_load_b128 s[4:7], s[0:1], 0x58
	s_delay_alu instid0(VALU_DEP_1) | instskip(NEXT) | instid1(VALU_DEP_1)
	v_mad_u64_u32 v[68:69], null, s8, s30, v[65:66]
	v_mad_u64_u32 v[69:70], null, v68, s34, s[14:15]
	s_delay_alu instid0(VALU_DEP_1) | instskip(NEXT) | instid1(VALU_DEP_1)
	v_ashrrev_i32_e32 v70, 31, v69
	v_lshlrev_b64 v[68:69], 2, v[69:70]
	s_waitcnt lgkmcnt(0)
	s_delay_alu instid0(VALU_DEP_1) | instskip(NEXT) | instid1(VALU_DEP_2)
	v_add_co_u32 v70, vcc_lo, s6, v68
	v_add_co_ci_u32_e32 v71, vcc_lo, s7, v69, vcc_lo
	v_add_co_u32 v68, vcc_lo, s4, v68
	v_add_co_ci_u32_e32 v69, vcc_lo, s5, v69, vcc_lo
	global_store_b32 v[70:71], v66, off
	global_store_b32 v[68:69], v67, off
.LBB1757_78:
	s_or_b32 exec_lo, exec_lo, s3
	s_waitcnt lgkmcnt(0)
	s_waitcnt_vscnt null, 0x0
	s_barrier
	buffer_gl0_inv
	ds_load_b128 v[83:86], v76
	ds_load_b128 v[87:90], v76 offset:16
	ds_load_b128 v[95:98], v76 offset:2064
	;; [unrolled: 1-line block ×3, first 2 shown]
	v_mov_b32_e32 v65, 0
	ds_load_b128 v[103:106], v76 offset:4112
	ds_load_b128 v[99:102], v76 offset:4096
	;; [unrolled: 1-line block ×4, first 2 shown]
	v_mov_b32_e32 v66, v65
	v_mov_b32_e32 v67, v65
	;; [unrolled: 1-line block ×7, first 2 shown]
	s_waitcnt lgkmcnt(6)
	s_delay_alu instid0(VALU_DEP_1)
	v_wmma_f32_16x16x16_bf16 v[65:72], v[57:64], v[83:90], v[65:72]
	ds_load_b128 v[61:64], v76 offset:8208
	ds_load_b128 v[57:60], v76 offset:8192
	s_waitcnt lgkmcnt(6)
	v_wmma_f32_16x16x16_bf16 v[65:72], v[41:48], v[91:98], v[65:72]
	ds_load_b128 v[45:48], v76 offset:10256
	ds_load_b128 v[41:44], v76 offset:10240
	s_waitcnt lgkmcnt(6)
	;; [unrolled: 4-line block ×4, first 2 shown]
	v_wmma_f32_16x16x16_bf16 v[65:72], v[1:8], v[57:64], v[65:72]
	s_waitcnt lgkmcnt(4)
	s_delay_alu instid0(VALU_DEP_1) | instskip(SKIP_1) | instid1(VALU_DEP_1)
	v_wmma_f32_16x16x16_bf16 v[65:72], v[9:16], v[41:48], v[65:72]
	s_waitcnt lgkmcnt(2)
	v_wmma_f32_16x16x16_bf16 v[65:72], v[17:24], v[33:40], v[65:72]
	s_waitcnt lgkmcnt(0)
	s_delay_alu instid0(VALU_DEP_1) | instskip(NEXT) | instid1(VALU_DEP_1)
	v_wmma_f32_16x16x16_bf16 v[65:72], v[49:56], v[25:32], v[65:72]
	v_and_b32_e32 v1, 0x7f800000, v65
	s_delay_alu instid0(VALU_DEP_1) | instskip(SKIP_1) | instid1(SALU_CYCLE_1)
	v_cmp_ne_u32_e32 vcc_lo, 0x7f800000, v1
                                        ; implicit-def: $vgpr1
	s_and_saveexec_b32 s3, vcc_lo
	s_xor_b32 s3, exec_lo, s3
; %bb.79:
	v_bfe_u32 v1, v65, 16, 1
	s_delay_alu instid0(VALU_DEP_1)
	v_add3_u32 v1, v65, v1, 0x7fff
; %bb.80:
	s_and_not1_saveexec_b32 s3, s3
; %bb.81:
	v_and_b32_e32 v1, 0xffff, v65
	v_or_b32_e32 v2, 0x10000, v65
	s_delay_alu instid0(VALU_DEP_2) | instskip(NEXT) | instid1(VALU_DEP_2)
	v_cmp_eq_u32_e32 vcc_lo, 0, v1
	v_cndmask_b32_e32 v1, v2, v65, vcc_lo
; %bb.82:
	s_or_b32 exec_lo, exec_lo, s3
	v_and_b32_e32 v2, 0x7f800000, v66
	s_delay_alu instid0(VALU_DEP_1) | instskip(SKIP_1) | instid1(SALU_CYCLE_1)
	v_cmp_ne_u32_e32 vcc_lo, 0x7f800000, v2
                                        ; implicit-def: $vgpr2
	s_and_saveexec_b32 s3, vcc_lo
	s_xor_b32 s3, exec_lo, s3
; %bb.83:
	v_bfe_u32 v2, v66, 16, 1
	s_delay_alu instid0(VALU_DEP_1)
	v_add3_u32 v2, v66, v2, 0x7fff
; %bb.84:
	s_and_not1_saveexec_b32 s3, s3
; %bb.85:
	v_and_b32_e32 v2, 0xffff, v66
	v_or_b32_e32 v3, 0x10000, v66
	s_delay_alu instid0(VALU_DEP_2) | instskip(NEXT) | instid1(VALU_DEP_2)
	v_cmp_eq_u32_e32 vcc_lo, 0, v2
	v_cndmask_b32_e32 v2, v3, v66, vcc_lo
; %bb.86:
	s_or_b32 exec_lo, exec_lo, s3
	v_and_b32_e32 v3, 0x7f800000, v67
	s_delay_alu instid0(VALU_DEP_1) | instskip(SKIP_1) | instid1(SALU_CYCLE_1)
	v_cmp_ne_u32_e32 vcc_lo, 0x7f800000, v3
                                        ; implicit-def: $vgpr3
	s_and_saveexec_b32 s3, vcc_lo
	s_xor_b32 s3, exec_lo, s3
; %bb.87:
	v_bfe_u32 v3, v67, 16, 1
	s_delay_alu instid0(VALU_DEP_1)
	v_add3_u32 v3, v67, v3, 0x7fff
; %bb.88:
	s_and_not1_saveexec_b32 s3, s3
; %bb.89:
	v_and_b32_e32 v3, 0xffff, v67
	v_or_b32_e32 v4, 0x10000, v67
	s_delay_alu instid0(VALU_DEP_2) | instskip(NEXT) | instid1(VALU_DEP_2)
	v_cmp_eq_u32_e32 vcc_lo, 0, v3
	v_cndmask_b32_e32 v3, v4, v67, vcc_lo
; %bb.90:
	s_or_b32 exec_lo, exec_lo, s3
	v_and_b32_e32 v4, 0x7f800000, v68
	s_delay_alu instid0(VALU_DEP_1) | instskip(SKIP_1) | instid1(SALU_CYCLE_1)
	v_cmp_ne_u32_e32 vcc_lo, 0x7f800000, v4
                                        ; implicit-def: $vgpr4
	s_and_saveexec_b32 s3, vcc_lo
	s_xor_b32 s3, exec_lo, s3
; %bb.91:
	v_bfe_u32 v4, v68, 16, 1
	s_delay_alu instid0(VALU_DEP_1)
	v_add3_u32 v4, v68, v4, 0x7fff
; %bb.92:
	s_and_not1_saveexec_b32 s3, s3
; %bb.93:
	v_and_b32_e32 v4, 0xffff, v68
	v_or_b32_e32 v5, 0x10000, v68
	s_delay_alu instid0(VALU_DEP_2) | instskip(NEXT) | instid1(VALU_DEP_2)
	v_cmp_eq_u32_e32 vcc_lo, 0, v4
	v_cndmask_b32_e32 v4, v5, v68, vcc_lo
; %bb.94:
	s_or_b32 exec_lo, exec_lo, s3
	v_and_b32_e32 v5, 0x7f800000, v69
	s_delay_alu instid0(VALU_DEP_1) | instskip(SKIP_1) | instid1(SALU_CYCLE_1)
	v_cmp_ne_u32_e32 vcc_lo, 0x7f800000, v5
                                        ; implicit-def: $vgpr5
	s_and_saveexec_b32 s3, vcc_lo
	s_xor_b32 s3, exec_lo, s3
; %bb.95:
	v_bfe_u32 v5, v69, 16, 1
	s_delay_alu instid0(VALU_DEP_1)
	v_add3_u32 v5, v69, v5, 0x7fff
; %bb.96:
	s_and_not1_saveexec_b32 s3, s3
; %bb.97:
	v_and_b32_e32 v5, 0xffff, v69
	v_or_b32_e32 v6, 0x10000, v69
	s_delay_alu instid0(VALU_DEP_2) | instskip(NEXT) | instid1(VALU_DEP_2)
	v_cmp_eq_u32_e32 vcc_lo, 0, v5
	v_cndmask_b32_e32 v5, v6, v69, vcc_lo
; %bb.98:
	s_or_b32 exec_lo, exec_lo, s3
	v_and_b32_e32 v6, 0x7f800000, v70
	s_delay_alu instid0(VALU_DEP_1) | instskip(SKIP_1) | instid1(SALU_CYCLE_1)
	v_cmp_ne_u32_e32 vcc_lo, 0x7f800000, v6
                                        ; implicit-def: $vgpr6
	s_and_saveexec_b32 s3, vcc_lo
	s_xor_b32 s3, exec_lo, s3
; %bb.99:
	v_bfe_u32 v6, v70, 16, 1
	s_delay_alu instid0(VALU_DEP_1)
	v_add3_u32 v6, v70, v6, 0x7fff
; %bb.100:
	s_and_not1_saveexec_b32 s3, s3
; %bb.101:
	v_and_b32_e32 v6, 0xffff, v70
	v_or_b32_e32 v7, 0x10000, v70
	s_delay_alu instid0(VALU_DEP_2) | instskip(NEXT) | instid1(VALU_DEP_2)
	v_cmp_eq_u32_e32 vcc_lo, 0, v6
	v_cndmask_b32_e32 v6, v7, v70, vcc_lo
; %bb.102:
	s_or_b32 exec_lo, exec_lo, s3
	v_and_b32_e32 v7, 0x7f800000, v71
	s_delay_alu instid0(VALU_DEP_1) | instskip(SKIP_1) | instid1(SALU_CYCLE_1)
	v_cmp_ne_u32_e32 vcc_lo, 0x7f800000, v7
                                        ; implicit-def: $vgpr7
	s_and_saveexec_b32 s3, vcc_lo
	s_xor_b32 s3, exec_lo, s3
; %bb.103:
	v_bfe_u32 v7, v71, 16, 1
	s_delay_alu instid0(VALU_DEP_1)
	v_add3_u32 v7, v71, v7, 0x7fff
; %bb.104:
	s_and_not1_saveexec_b32 s3, s3
; %bb.105:
	v_and_b32_e32 v7, 0xffff, v71
	v_or_b32_e32 v8, 0x10000, v71
	s_delay_alu instid0(VALU_DEP_2) | instskip(NEXT) | instid1(VALU_DEP_2)
	v_cmp_eq_u32_e32 vcc_lo, 0, v7
	v_cndmask_b32_e32 v7, v8, v71, vcc_lo
; %bb.106:
	s_or_b32 exec_lo, exec_lo, s3
	v_and_b32_e32 v8, 0x7f800000, v72
	s_delay_alu instid0(VALU_DEP_1) | instskip(SKIP_1) | instid1(SALU_CYCLE_1)
	v_cmp_ne_u32_e32 vcc_lo, 0x7f800000, v8
                                        ; implicit-def: $vgpr8
	s_and_saveexec_b32 s3, vcc_lo
	s_xor_b32 s3, exec_lo, s3
; %bb.107:
	v_bfe_u32 v8, v72, 16, 1
	s_delay_alu instid0(VALU_DEP_1)
	v_add3_u32 v8, v72, v8, 0x7fff
                                        ; implicit-def: $vgpr65_vgpr66_vgpr67_vgpr68_vgpr69_vgpr70_vgpr71_vgpr72
; %bb.108:
	s_and_not1_saveexec_b32 s3, s3
; %bb.109:
	v_and_b32_e32 v8, 0xffff, v72
	v_or_b32_e32 v9, 0x10000, v72
	s_delay_alu instid0(VALU_DEP_2) | instskip(NEXT) | instid1(VALU_DEP_2)
	v_cmp_eq_u32_e32 vcc_lo, 0, v8
	v_cndmask_b32_e32 v8, v9, v72, vcc_lo
; %bb.110:
	s_or_b32 exec_lo, exec_lo, s3
	s_delay_alu instid0(VALU_DEP_1)
	v_perm_b32 v7, v8, v7, 0x7060302
	v_perm_b32 v6, v6, v5, 0x7060302
	;; [unrolled: 1-line block ×4, first 2 shown]
	s_barrier
	buffer_gl0_inv
	v_cmp_eq_u32_e32 vcc_lo, 1, v79
	ds_store_b128 v77, v[4:7]
	s_waitcnt lgkmcnt(0)
	s_barrier
	buffer_gl0_inv
	ds_load_b128 v[1:4], v82
	ds_load_b128 v[5:8], v82 offset:16
	v_cmp_eq_u32_e64 s3, 1, v80
	v_cmp_eq_u32_e64 s4, 2, v79
	;; [unrolled: 1-line block ×5, first 2 shown]
	s_waitcnt lgkmcnt(1)
	v_lshrrev_b32_e32 v9, 16, v1
	s_waitcnt lgkmcnt(0)
	v_lshrrev_b32_e32 v13, 16, v5
	v_lshrrev_b32_e32 v10, 16, v2
	v_lshrrev_b32_e32 v14, 16, v6
	v_lshrrev_b32_e32 v11, 16, v3
	v_cndmask_b32_e64 v19, v1, v9, s3
	v_cndmask_b32_e32 v18, v5, v13, vcc_lo
	v_cndmask_b32_e64 v20, v5, v13, s3
	v_cndmask_b32_e32 v17, v1, v9, vcc_lo
	v_cmp_eq_u32_e32 vcc_lo, 2, v80
	v_lshrrev_b32_e32 v15, 16, v7
	v_cmp_eq_u32_e64 s3, 1, v78
	v_lshrrev_b32_e32 v12, 16, v4
	v_lshrrev_b32_e32 v16, 16, v8
	v_cndmask_b32_e32 v20, v20, v6, vcc_lo
	v_cndmask_b32_e64 v17, v17, v2, s4
	v_cndmask_b32_e32 v19, v19, v2, vcc_lo
	v_cndmask_b32_e64 v18, v18, v6, s4
	v_cmp_eq_u32_e32 vcc_lo, 4, v79
	v_cmp_eq_u32_e64 s4, 3, v80
	v_cndmask_b32_e64 v17, v17, v10, s5
	v_cndmask_b32_e64 v21, v1, v9, s3
	;; [unrolled: 1-line block ×5, first 2 shown]
	v_cndmask_b32_e32 v17, v17, v3, vcc_lo
	v_cndmask_b32_e64 v20, v20, v14, s4
	v_cndmask_b32_e32 v18, v18, v7, vcc_lo
	v_cmp_eq_u32_e32 vcc_lo, 4, v80
	v_cmp_eq_u32_e64 s4, 5, v80
	v_cmp_eq_u32_e64 s3, 2, v81
	v_cndmask_b32_e64 v21, v21, v2, s7
	v_cmp_eq_u32_e64 s5, 5, v79
	v_cndmask_b32_e32 v19, v19, v3, vcc_lo
	v_cndmask_b32_e32 v20, v20, v7, vcc_lo
	v_cmp_eq_u32_e32 vcc_lo, 6, v80
	s_delay_alu instid0(VALU_DEP_4) | instskip(NEXT) | instid1(VALU_DEP_4)
	v_cndmask_b32_e64 v17, v17, v11, s5
	v_cndmask_b32_e64 v19, v19, v11, s4
	s_delay_alu instid0(VALU_DEP_4) | instskip(SKIP_1) | instid1(VALU_DEP_3)
	v_cndmask_b32_e64 v20, v20, v15, s4
	v_cmp_eq_u32_e64 s4, 1, v81
	v_cndmask_b32_e32 v19, v19, v4, vcc_lo
	v_cndmask_b32_e64 v18, v18, v15, s5
	s_delay_alu instid0(VALU_DEP_3)
	v_cndmask_b32_e64 v1, v1, v9, s4
	v_cndmask_b32_e64 v5, v5, v13, s4
	v_cmp_eq_u32_e64 s4, 3, v78
	v_cndmask_b32_e64 v13, v22, v6, s7
	v_cmp_eq_u32_e64 s7, 3, v81
	v_cndmask_b32_e64 v1, v1, v2, s3
	v_cndmask_b32_e64 v2, v5, v6, s3
	;; [unrolled: 1-line block ×3, first 2 shown]
	v_cmp_eq_u32_e64 s3, 4, v78
	v_cndmask_b32_e64 v6, v13, v14, s4
	v_cndmask_b32_e64 v1, v1, v10, s7
	v_cmp_eq_u32_e64 s4, 4, v81
	v_cndmask_b32_e64 v2, v2, v14, s7
	v_cndmask_b32_e64 v5, v9, v3, s3
	;; [unrolled: 3-line block ×3, first 2 shown]
	v_cndmask_b32_e64 v2, v2, v7, s4
	v_cmp_eq_u32_e64 s3, 5, v81
	v_cmp_eq_u32_e64 s5, 6, v79
	v_cndmask_b32_e64 v5, v5, v11, s7
	v_cmp_eq_u32_e64 s4, 6, v78
	v_cndmask_b32_e64 v3, v6, v15, s7
	v_cndmask_b32_e64 v1, v1, v11, s3
	v_cmp_eq_u32_e64 s7, 6, v81
	v_cndmask_b32_e64 v2, v2, v15, s3
	v_cndmask_b32_e64 v17, v17, v4, s5
	v_cndmask_b32_e64 v18, v18, v8, s5
	v_cmp_eq_u32_e64 s5, 7, v79
	v_cndmask_b32_e64 v5, v5, v4, s4
	;; [unrolled: 4-line block ×3, first 2 shown]
	v_cmp_eq_u32_e64 s4, 7, v78
	v_cndmask_b32_e32 v4, v20, v8, vcc_lo
	v_cndmask_b32_e64 v17, v17, v12, s5
	v_cndmask_b32_e64 v19, v19, v12, s6
	;; [unrolled: 1-line block ×8, first 2 shown]
	v_cmp_gt_u32_e32 vcc_lo, 32, v0
	v_perm_b32 v4, v2, v1, 0x5040100
	v_perm_b32 v3, v3, v5, 0x5040100
	;; [unrolled: 1-line block ×4, first 2 shown]
	s_and_b32 s2, vcc_lo, s2
	ds_store_b128 v77, v[1:4]
	s_waitcnt lgkmcnt(0)
	s_barrier
	buffer_gl0_inv
	s_and_saveexec_b32 s3, s2
	s_cbranch_execz .LBB1757_2
; %bb.111:
	s_load_b64 s[0:1], s[0:1], 0x68
	v_lshlrev_b32_e32 v0, 10, v0
	s_lshl_b32 s4, s34, 6
	v_or_b32_e32 v23, s31, v74
	s_mul_i32 s2, s4, s30
	v_lshlrev_b32_e32 v1, 4, v75
	v_lshlrev_b32_e32 v2, 6, v74
	s_mul_i32 s2, s2, s8
	v_and_b32_e32 v0, 0x3800, v0
	v_mul_lo_u32 v8, v23, s4
	s_ashr_i32 s3, s2, 31
	v_or_b32_e32 v3, 2, v23
	s_lshl_b64 s[2:3], s[2:3], 1
	v_or3_b32 v27, v0, v1, v2
	v_or_b32_e32 v11, 4, v23
	v_or_b32_e32 v18, 6, v23
	v_mul_lo_u32 v10, v3, s4
	v_ashrrev_i32_e32 v9, 31, v8
	ds_load_b128 v[0:3], v27
	ds_load_b128 v[4:7], v27 offset:128
	v_mul_lo_u32 v12, v11, s4
	s_waitcnt lgkmcnt(0)
	s_add_u32 s2, s0, s2
	s_addc_u32 s3, s1, s3
	s_lshl_b32 s0, s14, 6
	v_lshlrev_b64 v[8:9], 1, v[8:9]
	s_ashr_i32 s1, s0, 31
	v_ashrrev_i32_e32 v11, 31, v10
	s_lshl_b64 s[0:1], s[0:1], 1
	v_ashrrev_i32_e32 v13, 31, v12
	s_add_u32 s0, s2, s0
	s_addc_u32 s1, s3, s1
	v_add_co_u32 v30, s0, s0, v73
	s_delay_alu instid0(VALU_DEP_1) | instskip(SKIP_1) | instid1(VALU_DEP_3)
	v_add_co_ci_u32_e64 v31, null, s1, 0, s0
	v_lshlrev_b64 v[16:17], 1, v[10:11]
	v_add_co_u32 v14, vcc_lo, v30, v8
	s_delay_alu instid0(VALU_DEP_3)
	v_add_co_ci_u32_e32 v15, vcc_lo, v31, v9, vcc_lo
	ds_load_b128 v[8:11], v27 offset:256
	v_mul_lo_u32 v18, v18, s4
	v_or_b32_e32 v19, 8, v23
	v_add_co_u32 v16, vcc_lo, v30, v16
	global_store_b128 v[14:15], v[0:3], off
	v_lshlrev_b64 v[0:1], 1, v[12:13]
	v_add_co_ci_u32_e32 v17, vcc_lo, v31, v17, vcc_lo
	v_mul_lo_u32 v12, v19, s4
	v_ashrrev_i32_e32 v19, 31, v18
	v_or_b32_e32 v14, 10, v23
	global_store_b128 v[16:17], v[4:7], off
	v_add_co_u32 v4, vcc_lo, v30, v0
	v_add_co_ci_u32_e32 v5, vcc_lo, v31, v1, vcc_lo
	ds_load_b128 v[0:3], v27 offset:384
	v_ashrrev_i32_e32 v13, 31, v12
	v_lshlrev_b64 v[6:7], 1, v[18:19]
	v_mul_lo_u32 v14, v14, s4
	s_waitcnt lgkmcnt(1)
	global_store_b128 v[4:5], v[8:11], off
	v_or_b32_e32 v8, 12, v23
	v_lshlrev_b64 v[4:5], 1, v[12:13]
	v_add_co_u32 v20, vcc_lo, v30, v6
	v_or_b32_e32 v6, 14, v23
	v_ashrrev_i32_e32 v15, 31, v14
	v_mul_lo_u32 v22, v8, s4
	v_add_co_ci_u32_e32 v21, vcc_lo, v31, v7, vcc_lo
	v_add_co_u32 v24, vcc_lo, v30, v4
	v_mul_lo_u32 v26, v6, s4
	v_add_co_ci_u32_e32 v25, vcc_lo, v31, v5, vcc_lo
	v_lshlrev_b64 v[28:29], 1, v[14:15]
	ds_load_b128 v[4:7], v27 offset:512
	ds_load_b128 v[8:11], v27 offset:640
	;; [unrolled: 1-line block ×4, first 2 shown]
	v_ashrrev_i32_e32 v23, 31, v22
	v_ashrrev_i32_e32 v27, 31, v26
	v_add_co_u32 v28, vcc_lo, v30, v28
	s_delay_alu instid0(VALU_DEP_3) | instskip(SKIP_1) | instid1(VALU_DEP_4)
	v_lshlrev_b64 v[22:23], 1, v[22:23]
	v_add_co_ci_u32_e32 v29, vcc_lo, v31, v29, vcc_lo
	v_lshlrev_b64 v[26:27], 1, v[26:27]
	s_delay_alu instid0(VALU_DEP_3) | instskip(NEXT) | instid1(VALU_DEP_4)
	v_add_co_u32 v22, vcc_lo, v30, v22
	v_add_co_ci_u32_e32 v23, vcc_lo, v31, v23, vcc_lo
	s_delay_alu instid0(VALU_DEP_3) | instskip(NEXT) | instid1(VALU_DEP_4)
	v_add_co_u32 v26, vcc_lo, v30, v26
	v_add_co_ci_u32_e32 v27, vcc_lo, v31, v27, vcc_lo
	s_waitcnt lgkmcnt(4)
	global_store_b128 v[20:21], v[0:3], off
	s_waitcnt lgkmcnt(3)
	global_store_b128 v[24:25], v[4:7], off
	;; [unrolled: 2-line block ×5, first 2 shown]
	s_nop 0
	s_sendmsg sendmsg(MSG_DEALLOC_VGPRS)
	s_endpgm
	.section	.rodata,"a",@progbits
	.p2align	6, 0x0
	.amdhsa_kernel _Z39paged_attention_ll4mi_QKV_mfma16_kernelI14__hip_bfloat16hLN4vllm18Fp8KVCacheDataTypeE1EhLi32ELi64ELi256ELb0ELi16EL8MFMAType0EEvPKT_PKT0_S9_ifPKiSB_SB_iPKfiiiPfSE_PS4_PT2_iSD_SD_
		.amdhsa_group_segment_fixed_size 17472
		.amdhsa_private_segment_fixed_size 0
		.amdhsa_kernarg_size 400
		.amdhsa_user_sgpr_count 13
		.amdhsa_user_sgpr_dispatch_ptr 0
		.amdhsa_user_sgpr_queue_ptr 0
		.amdhsa_user_sgpr_kernarg_segment_ptr 1
		.amdhsa_user_sgpr_dispatch_id 0
		.amdhsa_user_sgpr_private_segment_size 0
		.amdhsa_wavefront_size32 1
		.amdhsa_uses_dynamic_stack 0
		.amdhsa_enable_private_segment 0
		.amdhsa_system_sgpr_workgroup_id_x 1
		.amdhsa_system_sgpr_workgroup_id_y 1
		.amdhsa_system_sgpr_workgroup_id_z 1
		.amdhsa_system_sgpr_workgroup_info 0
		.amdhsa_system_vgpr_workitem_id 0
		.amdhsa_next_free_vgpr 125
		.amdhsa_next_free_sgpr 40
		.amdhsa_reserve_vcc 1
		.amdhsa_float_round_mode_32 0
		.amdhsa_float_round_mode_16_64 0
		.amdhsa_float_denorm_mode_32 3
		.amdhsa_float_denorm_mode_16_64 3
		.amdhsa_dx10_clamp 1
		.amdhsa_ieee_mode 1
		.amdhsa_fp16_overflow 0
		.amdhsa_workgroup_processor_mode 1
		.amdhsa_memory_ordered 1
		.amdhsa_forward_progress 0
		.amdhsa_shared_vgpr_count 0
		.amdhsa_exception_fp_ieee_invalid_op 0
		.amdhsa_exception_fp_denorm_src 0
		.amdhsa_exception_fp_ieee_div_zero 0
		.amdhsa_exception_fp_ieee_overflow 0
		.amdhsa_exception_fp_ieee_underflow 0
		.amdhsa_exception_fp_ieee_inexact 0
		.amdhsa_exception_int_div_zero 0
	.end_amdhsa_kernel
	.section	.text._Z39paged_attention_ll4mi_QKV_mfma16_kernelI14__hip_bfloat16hLN4vllm18Fp8KVCacheDataTypeE1EhLi32ELi64ELi256ELb0ELi16EL8MFMAType0EEvPKT_PKT0_S9_ifPKiSB_SB_iPKfiiiPfSE_PS4_PT2_iSD_SD_,"axG",@progbits,_Z39paged_attention_ll4mi_QKV_mfma16_kernelI14__hip_bfloat16hLN4vllm18Fp8KVCacheDataTypeE1EhLi32ELi64ELi256ELb0ELi16EL8MFMAType0EEvPKT_PKT0_S9_ifPKiSB_SB_iPKfiiiPfSE_PS4_PT2_iSD_SD_,comdat
.Lfunc_end1757:
	.size	_Z39paged_attention_ll4mi_QKV_mfma16_kernelI14__hip_bfloat16hLN4vllm18Fp8KVCacheDataTypeE1EhLi32ELi64ELi256ELb0ELi16EL8MFMAType0EEvPKT_PKT0_S9_ifPKiSB_SB_iPKfiiiPfSE_PS4_PT2_iSD_SD_, .Lfunc_end1757-_Z39paged_attention_ll4mi_QKV_mfma16_kernelI14__hip_bfloat16hLN4vllm18Fp8KVCacheDataTypeE1EhLi32ELi64ELi256ELb0ELi16EL8MFMAType0EEvPKT_PKT0_S9_ifPKiSB_SB_iPKfiiiPfSE_PS4_PT2_iSD_SD_
                                        ; -- End function
	.section	.AMDGPU.csdata,"",@progbits
; Kernel info:
; codeLenInByte = 8928
; NumSgprs: 42
; NumVgprs: 125
; ScratchSize: 0
; MemoryBound: 0
; FloatMode: 240
; IeeeMode: 1
; LDSByteSize: 17472 bytes/workgroup (compile time only)
; SGPRBlocks: 5
; VGPRBlocks: 15
; NumSGPRsForWavesPerEU: 42
; NumVGPRsForWavesPerEU: 125
; Occupancy: 10
; WaveLimiterHint : 1
; COMPUTE_PGM_RSRC2:SCRATCH_EN: 0
; COMPUTE_PGM_RSRC2:USER_SGPR: 13
; COMPUTE_PGM_RSRC2:TRAP_HANDLER: 0
; COMPUTE_PGM_RSRC2:TGID_X_EN: 1
; COMPUTE_PGM_RSRC2:TGID_Y_EN: 1
; COMPUTE_PGM_RSRC2:TGID_Z_EN: 1
; COMPUTE_PGM_RSRC2:TIDIG_COMP_CNT: 0
	.section	.text._Z39paged_attention_ll4mi_QKV_mfma16_kernelI14__hip_bfloat16hLN4vllm18Fp8KVCacheDataTypeE1EhLi32ELi64ELi256ELb0ELi1EL8MFMAType0EEvPKT_PKT0_S9_ifPKiSB_SB_iPKfiiiPfSE_PS4_PT2_iSD_SD_,"axG",@progbits,_Z39paged_attention_ll4mi_QKV_mfma16_kernelI14__hip_bfloat16hLN4vllm18Fp8KVCacheDataTypeE1EhLi32ELi64ELi256ELb0ELi1EL8MFMAType0EEvPKT_PKT0_S9_ifPKiSB_SB_iPKfiiiPfSE_PS4_PT2_iSD_SD_,comdat
	.protected	_Z39paged_attention_ll4mi_QKV_mfma16_kernelI14__hip_bfloat16hLN4vllm18Fp8KVCacheDataTypeE1EhLi32ELi64ELi256ELb0ELi1EL8MFMAType0EEvPKT_PKT0_S9_ifPKiSB_SB_iPKfiiiPfSE_PS4_PT2_iSD_SD_ ; -- Begin function _Z39paged_attention_ll4mi_QKV_mfma16_kernelI14__hip_bfloat16hLN4vllm18Fp8KVCacheDataTypeE1EhLi32ELi64ELi256ELb0ELi1EL8MFMAType0EEvPKT_PKT0_S9_ifPKiSB_SB_iPKfiiiPfSE_PS4_PT2_iSD_SD_
	.globl	_Z39paged_attention_ll4mi_QKV_mfma16_kernelI14__hip_bfloat16hLN4vllm18Fp8KVCacheDataTypeE1EhLi32ELi64ELi256ELb0ELi1EL8MFMAType0EEvPKT_PKT0_S9_ifPKiSB_SB_iPKfiiiPfSE_PS4_PT2_iSD_SD_
	.p2align	8
	.type	_Z39paged_attention_ll4mi_QKV_mfma16_kernelI14__hip_bfloat16hLN4vllm18Fp8KVCacheDataTypeE1EhLi32ELi64ELi256ELb0ELi1EL8MFMAType0EEvPKT_PKT0_S9_ifPKiSB_SB_iPKfiiiPfSE_PS4_PT2_iSD_SD_,@function
_Z39paged_attention_ll4mi_QKV_mfma16_kernelI14__hip_bfloat16hLN4vllm18Fp8KVCacheDataTypeE1EhLi32ELi64ELi256ELb0ELi1EL8MFMAType0EEvPKT_PKT0_S9_ifPKiSB_SB_iPKfiiiPfSE_PS4_PT2_iSD_SD_: ; @_Z39paged_attention_ll4mi_QKV_mfma16_kernelI14__hip_bfloat16hLN4vllm18Fp8KVCacheDataTypeE1EhLi32ELi64ELi256ELb0ELi1EL8MFMAType0EEvPKT_PKT0_S9_ifPKiSB_SB_iPKfiiiPfSE_PS4_PT2_iSD_SD_
; %bb.0:
	s_load_b64 s[4:5], s[0:1], 0x30
	s_mov_b32 s34, s13
	s_waitcnt lgkmcnt(0)
	s_cmp_lg_u64 s[4:5], 0
	s_cselect_b32 s6, -1, 0
	s_ashr_i32 s35, s13, 31
	s_cmp_eq_u64 s[4:5], 0
	s_cbranch_scc1 .LBB1758_3
; %bb.1:
	s_lshl_b64 s[2:3], s[34:35], 2
	s_delay_alu instid0(SALU_CYCLE_1) | instskip(SKIP_4) | instid1(SALU_CYCLE_1)
	s_add_u32 s2, s4, s2
	s_addc_u32 s3, s5, s3
	s_load_b64 s[2:3], s[2:3], 0x0
	s_waitcnt lgkmcnt(0)
	s_sub_i32 s2, s3, s2
	s_cmp_eq_u32 s2, 1
	s_cselect_b32 s2, -1, 0
	s_delay_alu instid0(SALU_CYCLE_1)
	s_and_not1_b32 vcc_lo, exec_lo, s2
	s_cbranch_vccz .LBB1758_4
.LBB1758_2:
	s_endpgm
.LBB1758_3:
.LBB1758_4:
	s_load_b64 s[2:3], s[0:1], 0x28
	s_lshl_b64 s[8:9], s[34:35], 2
	s_waitcnt lgkmcnt(0)
	s_add_u32 s2, s2, s8
	s_addc_u32 s3, s3, s9
	s_lshl_b32 s12, s14, 8
	s_load_b32 s33, s[2:3], 0x0
	s_waitcnt lgkmcnt(0)
	s_cmp_ge_i32 s12, s33
	s_cbranch_scc1 .LBB1758_2
; %bb.5:
	s_clause 0x1
	s_load_b128 s[28:31], s[0:1], 0x8
	s_load_b64 s[2:3], s[0:1], 0x20
	s_and_not1_b32 vcc_lo, exec_lo, s6
	s_mov_b64 s[6:7], s[34:35]
	s_cbranch_vccnz .LBB1758_7
; %bb.6:
	s_add_u32 s4, s4, s8
	s_addc_u32 s5, s5, s9
	s_load_b32 s6, s[4:5], 0x0
.LBB1758_7:
	s_load_b128 s[24:27], s[0:1], 0x48
	v_and_b32_e32 v73, 15, v0
	s_mov_b32 s13, exec_lo
                                        ; implicit-def: $sgpr16
                                        ; implicit-def: $sgpr4
	s_delay_alu instid0(VALU_DEP_1)
	v_cmpx_eq_u32_e32 0, v73
	s_cbranch_execz .LBB1758_9
; %bb.8:
	s_load_b64 s[4:5], s[0:1], 0x0
	s_waitcnt lgkmcnt(0)
	s_mul_hi_i32 s7, s6, s24
	s_mul_i32 s6, s6, s24
	s_delay_alu instid0(SALU_CYCLE_1) | instskip(NEXT) | instid1(SALU_CYCLE_1)
	s_lshl_b64 s[6:7], s[6:7], 1
	s_add_u32 s6, s4, s6
	s_addc_u32 s7, s5, s7
	s_lshl_b32 s4, s15, 6
	s_delay_alu instid0(SALU_CYCLE_1) | instskip(NEXT) | instid1(SALU_CYCLE_1)
	s_ashr_i32 s5, s4, 31
	s_lshl_b64 s[4:5], s[4:5], 1
	s_delay_alu instid0(SALU_CYCLE_1)
	s_add_u32 s4, s6, s4
	s_addc_u32 s5, s7, s5
	s_clause 0x1
	s_load_b256 s[16:23], s[4:5], 0x0
	s_load_b256 s[4:11], s[4:5], 0x40
.LBB1758_9:
	s_or_b32 exec_lo, exec_lo, s13
	s_waitcnt lgkmcnt(0)
	v_dual_mov_b32 v114, s23 :: v_dual_and_b32 v1, 0xef, v0
	s_add_i32 s13, s33, 31
	s_load_b32 s27, s[0:1], 0x38
	s_ashr_i32 s24, s13, 31
	s_delay_alu instid0(VALU_DEP_1) | instskip(SKIP_3) | instid1(VALU_DEP_2)
	v_dual_mov_b32 v112, s21 :: v_dual_add_nc_u32 v1, s12, v1
	s_lshr_b32 s24, s24, 27
	v_lshrrev_b32_e32 v65, 5, v0
	s_add_i32 s13, s13, s24
	v_ashrrev_i32_e32 v2, 31, v1
	v_or_b32_e32 v3, 16, v1
	s_ashr_i32 s13, s13, 5
	v_cmp_gt_i32_e32 vcc_lo, s33, v1
	s_add_i32 s13, s13, -1
	v_lshrrev_b32_e32 v2, 27, v2
	s_load_b32 s24, s[0:1], 0x1c
	v_dual_mov_b32 v111, s20 :: v_dual_mov_b32 v108, s17
	v_mbcnt_lo_u32_b32 v67, -1, 0
	s_delay_alu instid0(VALU_DEP_3)
	v_dual_mov_b32 v113, s22 :: v_dual_add_nc_u32 v4, v1, v2
	v_lshlrev_b32_e32 v74, 4, v73
	s_waitcnt lgkmcnt(0)
	s_mul_i32 s36, s34, s27
	v_xor_b32_e32 v68, 16, v67
	v_ashrrev_i32_e32 v4, 5, v4
	v_add_nc_u32_e32 v2, v3, v2
	s_ashr_i32 s37, s36, 31
	v_mov_b32_e32 v110, s19
	s_lshl_b64 s[36:37], s[36:37], 2
	v_cndmask_b32_e32 v1, s13, v4, vcc_lo
	v_ashrrev_i32_e32 v2, 5, v2
	v_cmp_gt_i32_e32 vcc_lo, s33, v3
	s_add_u32 s36, s2, s36
	s_addc_u32 s35, s3, s37
	s_mul_i32 s37, s15, s26
	v_and_b32_e32 v66, 0xe0, v0
	v_cndmask_b32_e32 v3, s13, v2, vcc_lo
	v_ashrrev_i32_e32 v2, 31, v1
	s_ashr_i32 s38, s37, 31
	s_add_u32 s40, s28, s37
	s_addc_u32 s41, s29, s38
	v_ashrrev_i32_e32 v4, 31, v3
	v_lshlrev_b64 v[1:2], 2, v[1:2]
	s_lshl_b32 s2, s14, 3
	v_add_nc_u32_e32 v66, s12, v66
	s_ashr_i32 s3, s2, 31
	v_lshlrev_b64 v[3:4], 2, v[3:4]
	s_lshl_b64 s[2:3], s[2:3], 2
	v_add_co_u32 v1, vcc_lo, s36, v1
	v_add_co_ci_u32_e32 v2, vcc_lo, s35, v2, vcc_lo
	s_delay_alu instid0(VALU_DEP_3) | instskip(NEXT) | instid1(VALU_DEP_4)
	v_add_co_u32 v3, vcc_lo, s36, v3
	v_add_co_ci_u32_e32 v4, vcc_lo, s35, v4, vcc_lo
	s_clause 0x1
	global_load_b32 v5, v[1:2], off
	global_load_b32 v6, v[3:4], off
	s_add_u32 s2, s36, s2
	s_addc_u32 s3, s35, s3
	s_or_b32 s26, s12, 32
	s_delay_alu instid0(SALU_CYCLE_1) | instskip(SKIP_2) | instid1(SALU_CYCLE_1)
	s_ashr_i32 s27, s26, 5
	s_cmp_lt_i32 s26, s33
	s_cselect_b32 s26, s27, s13
	s_ashr_i32 s27, s26, 31
	s_delay_alu instid0(SALU_CYCLE_1) | instskip(NEXT) | instid1(SALU_CYCLE_1)
	s_lshl_b64 s[26:27], s[26:27], 2
	s_add_u32 s26, s36, s26
	s_addc_u32 s27, s35, s27
	s_or_b32 s28, s12, 64
	s_delay_alu instid0(SALU_CYCLE_1) | instskip(SKIP_2) | instid1(SALU_CYCLE_1)
	s_ashr_i32 s29, s28, 5
	s_cmp_lt_i32 s28, s33
	s_cselect_b32 s28, s29, s13
	s_ashr_i32 s29, s28, 31
	s_delay_alu instid0(SALU_CYCLE_1) | instskip(NEXT) | instid1(SALU_CYCLE_1)
	s_lshl_b64 s[28:29], s[28:29], 2
	;; [unrolled: 10-line block ×5, first 2 shown]
	s_add_u32 s48, s36, s28
	s_addc_u32 s49, s35, s29
	s_clause 0x5
	s_load_b32 s29, s[2:3], 0x0
	s_load_b32 s2, s[26:27], 0x0
	;; [unrolled: 1-line block ×6, first 2 shown]
	s_or_b32 s39, s12, 0xc0
	s_waitcnt vmcnt(1)
	v_mad_i64_i32 v[1:2], null, v5, s25, s[40:41]
	s_waitcnt vmcnt(0)
	v_mad_i64_i32 v[3:4], null, v6, s25, s[40:41]
	s_ashr_i32 s40, s39, 5
	s_cmp_lt_i32 s39, s33
	s_cselect_b32 s40, s40, s13
	s_delay_alu instid0(VALU_DEP_2) | instskip(NEXT) | instid1(VALU_DEP_3)
	v_add_co_u32 v1, vcc_lo, v1, v74
	v_add_co_ci_u32_e32 v2, vcc_lo, 0, v2, vcc_lo
	s_delay_alu instid0(VALU_DEP_3) | instskip(NEXT) | instid1(VALU_DEP_4)
	v_add_co_u32 v3, vcc_lo, v3, v74
	v_add_co_ci_u32_e32 v4, vcc_lo, 0, v4, vcc_lo
	s_clause 0x7
	global_load_b128 v[75:78], v[1:2], off
	global_load_b128 v[79:82], v[1:2], off offset:512
	global_load_b128 v[83:86], v[3:4], off offset:256
	;; [unrolled: 1-line block ×7, first 2 shown]
	s_ashr_i32 s41, s40, 31
	v_lshlrev_b32_e32 v1, 5, v73
	s_lshl_b64 s[40:41], s[40:41], 2
	v_cmp_gt_i32_e32 vcc_lo, 32, v68
	s_add_u32 s40, s36, s40
	s_addc_u32 s41, s35, s41
	s_or_b32 s39, s12, 0xe0
	v_lshl_or_b32 v1, v65, 9, v1
	s_ashr_i32 s42, s39, 5
	s_cmp_lt_i32 s39, s33
	s_cselect_b32 s42, s42, s13
	s_load_b32 s13, s[40:41], 0x0
	s_ashr_i32 s43, s42, 31
	s_delay_alu instid0(SALU_CYCLE_1) | instskip(NEXT) | instid1(SALU_CYCLE_1)
	s_lshl_b64 s[42:43], s[42:43], 2
	s_add_u32 s40, s36, s42
	s_addc_u32 s41, s35, s43
	s_add_u32 s30, s30, s37
	s_addc_u32 s31, s31, s38
	v_add_co_u32 v1, s30, s30, v1
	s_delay_alu instid0(VALU_DEP_1) | instskip(SKIP_3) | instid1(VALU_DEP_1)
	v_add_co_ci_u32_e64 v2, null, s31, 0, s30
	s_load_b32 s30, s[40:41], 0x0
	s_mov_b32 s36, 0
	s_waitcnt lgkmcnt(0)
	v_mad_i64_i32 v[3:4], null, s29, s25, v[1:2]
	v_mad_i64_i32 v[9:10], null, s26, s25, v[1:2]
	;; [unrolled: 1-line block ×7, first 2 shown]
	s_clause 0x5
	global_load_b128 v[49:52], v[3:4], off
	global_load_b128 v[53:56], v[3:4], off offset:16
	global_load_b128 v[41:44], v[5:6], off
	global_load_b128 v[45:48], v[5:6], off offset:16
	;; [unrolled: 2-line block ×3, first 2 shown]
	s_mov_b32 s43, s36
	s_mov_b32 s37, s36
	v_mad_i64_i32 v[61:62], null, s30, s25, v[1:2]
	s_clause 0x9
	global_load_b128 v[25:28], v[9:10], off
	global_load_b128 v[29:32], v[9:10], off offset:16
	global_load_b128 v[1:4], v[11:12], off
	global_load_b128 v[5:8], v[11:12], off offset:16
	;; [unrolled: 2-line block ×5, first 2 shown]
	s_mov_b32 s38, s36
	s_mov_b32 s39, s36
	;; [unrolled: 1-line block ×5, first 2 shown]
	v_dual_mov_b32 v109, s18 :: v_dual_mov_b32 v122, s43
	v_dual_mov_b32 v107, s16 :: v_dual_mov_b32 v120, s41
	;; [unrolled: 1-line block ×4, first 2 shown]
	v_mov_b32_e32 v117, s38
	v_mov_b32_e32 v115, s36
	s_waitcnt vmcnt(0)
	s_barrier
	buffer_gl0_inv
	v_wmma_f32_16x16x16_bf16 v[123:130], v[75:82], v[107:114], v[115:122]
	v_bfe_u32 v75, v0, 4, 1
	v_wmma_f32_16x16x16_bf16 v[115:122], v[83:90], v[107:114], v[115:122]
	v_dual_mov_b32 v83, s11 :: v_dual_mov_b32 v82, s10
	v_dual_mov_b32 v81, s9 :: v_dual_mov_b32 v80, s8
	s_delay_alu instid0(VALU_DEP_4) | instskip(SKIP_2) | instid1(VALU_DEP_3)
	v_or_b32_e32 v66, v66, v75
	v_dual_mov_b32 v79, s7 :: v_dual_mov_b32 v78, s6
	v_dual_mov_b32 v77, s5 :: v_dual_mov_b32 v76, s4
	v_or_b32_e32 v69, 4, v66
	v_or_b32_e32 v70, 6, v66
	;; [unrolled: 1-line block ×3, first 2 shown]
	v_cmp_gt_i32_e64 s2, s33, v66
	v_wmma_f32_16x16x16_bf16 v[123:130], v[91:98], v[76:83], v[123:130]
	v_cndmask_b32_e32 v67, v67, v68, vcc_lo
	v_or_b32_e32 v68, 2, v66
	v_wmma_f32_16x16x16_bf16 v[115:122], v[99:106], v[76:83], v[115:122]
	v_or_b32_e32 v72, 10, v66
	v_dual_mul_f32 v78, s24, v130 :: v_dual_mul_f32 v83, s24, v125
	v_dual_mul_f32 v92, s24, v124 :: v_dual_mul_f32 v93, s24, v123
	s_delay_alu instid0(VALU_DEP_4) | instskip(SKIP_2) | instid1(VALU_DEP_4)
	v_mul_f32_e32 v94, s24, v122
	v_cmp_gt_i32_e32 vcc_lo, s33, v68
	v_dual_mul_f32 v81, s24, v127 :: v_dual_mul_f32 v82, s24, v126
	v_cndmask_b32_e64 v93, 0xff7fffff, v93, s2
	v_cmp_gt_i32_e64 s3, s33, v69
	v_cndmask_b32_e32 v92, 0xff7fffff, v92, vcc_lo
	v_cmp_gt_i32_e64 s4, s33, v70
	v_cmp_gt_i32_e64 s5, s33, v71
	v_or_b32_e32 v84, 12, v66
	v_or_b32_e32 v85, 14, v66
	v_dual_mul_f32 v79, s24, v129 :: v_dual_mul_f32 v80, s24, v128
	v_cndmask_b32_e64 v69, 0xff7fffff, v83, s3
	v_cndmask_b32_e64 v70, 0xff7fffff, v82, s4
	;; [unrolled: 1-line block ×3, first 2 shown]
	v_cmp_gt_i32_e64 s6, s33, v72
	v_lshlrev_b32_e32 v81, 2, v67
	v_max3_f32 v82, v93, 0xff7fffff, v92
	v_or_b32_e32 v86, 16, v66
	v_or_b32_e32 v87, 18, v66
	v_cndmask_b32_e64 v72, 0xff7fffff, v80, s6
	v_cmp_gt_i32_e64 s7, s33, v84
	v_max3_f32 v69, v82, v69, v70
	v_cmp_gt_i32_e64 s8, s33, v85
	v_or_b32_e32 v88, 20, v66
	v_or_b32_e32 v89, 22, v66
	;; [unrolled: 1-line block ×6, first 2 shown]
	v_dual_mul_f32 v99, s24, v117 :: v_dual_mul_f32 v68, s24, v116
	v_mul_f32_e32 v66, s24, v115
	v_cndmask_b32_e64 v70, 0xff7fffff, v79, s7
	v_cndmask_b32_e64 v78, 0xff7fffff, v78, s8
	v_max3_f32 v69, v69, v71, v72
	v_cmp_gt_i32_e64 s9, s33, v86
	v_cmp_gt_i32_e64 s10, s33, v87
	v_dual_mul_f32 v97, s24, v119 :: v_dual_mul_f32 v98, s24, v118
	s_delay_alu instid0(VALU_DEP_4) | instskip(NEXT) | instid1(VALU_DEP_4)
	v_max3_f32 v69, v69, v70, v78
	v_cndmask_b32_e64 v66, 0xff7fffff, v66, s9
	s_delay_alu instid0(VALU_DEP_4) | instskip(SKIP_3) | instid1(VALU_DEP_4)
	v_cndmask_b32_e64 v68, 0xff7fffff, v68, s10
	v_cmp_gt_i32_e64 s11, s33, v88
	v_cmp_gt_i32_e64 s12, s33, v89
	v_dual_mul_f32 v95, s24, v121 :: v_dual_mul_f32 v96, s24, v120
	v_max3_f32 v66, v69, v66, v68
	s_delay_alu instid0(VALU_DEP_4) | instskip(NEXT) | instid1(VALU_DEP_4)
	v_cndmask_b32_e64 v70, 0xff7fffff, v99, s11
	v_cndmask_b32_e64 v71, 0xff7fffff, v98, s12
	v_cmp_gt_i32_e64 s13, s33, v90
	v_cmp_gt_i32_e64 s16, s33, v91
	;; [unrolled: 1-line block ×4, first 2 shown]
	v_max3_f32 v66, v66, v70, v71
	v_cndmask_b32_e64 v68, 0xff7fffff, v97, s13
	v_cndmask_b32_e64 v69, 0xff7fffff, v96, s16
	;; [unrolled: 1-line block ×4, first 2 shown]
	s_delay_alu instid0(VALU_DEP_3) | instskip(NEXT) | instid1(VALU_DEP_1)
	v_max3_f32 v66, v66, v68, v69
	v_max3_f32 v66, v66, v70, v71
	ds_bpermute_b32 v67, v81, v66
	s_waitcnt lgkmcnt(0)
	v_max_f32_e32 v67, v67, v67
	s_delay_alu instid0(VALU_DEP_1) | instskip(NEXT) | instid1(VALU_DEP_1)
	v_max_f32_e32 v66, v66, v67
	v_fma_f32 v69, s24, v125, -v66
	s_delay_alu instid0(VALU_DEP_1) | instskip(NEXT) | instid1(VALU_DEP_1)
	v_mul_f32_e32 v69, 0x3fb8aa3b, v69
	v_exp_f32_e32 v69, v69
	s_waitcnt_depctr 0xfff
	v_cndmask_b32_e64 v82, 0, v69, s3
	v_fma_f32 v69, s24, v130, -v66
	s_mov_b32 s3, exec_lo
	s_delay_alu instid0(VALU_DEP_1)
	v_mul_f32_e32 v69, 0x3fb8aa3b, v69
	v_fma_f32 v67, s24, v123, -v66
	v_fma_f32 v68, s24, v124, -v66
	;; [unrolled: 1-line block ×5, first 2 shown]
	s_delay_alu instid0(VALU_DEP_4) | instskip(NEXT) | instid1(VALU_DEP_4)
	v_dual_mul_f32 v67, 0x3fb8aa3b, v67 :: v_dual_mul_f32 v68, 0x3fb8aa3b, v68
	v_mul_f32_e32 v70, 0x3fb8aa3b, v70
	v_exp_f32_e32 v69, v69
	v_fma_f32 v77, s24, v119, -v66
	s_delay_alu instid0(VALU_DEP_3)
	v_exp_f32_e32 v67, v67
	v_exp_f32_e32 v68, v68
	v_mul_f32_e32 v71, 0x3fb8aa3b, v71
	v_exp_f32_e32 v70, v70
	v_mul_f32_e32 v77, 0x3fb8aa3b, v77
	v_fma_f32 v88, s24, v122, -v66
	v_cndmask_b32_e64 v87, 0, v69, s8
	s_delay_alu instid0(VALU_DEP_3) | instskip(SKIP_1) | instid1(TRANS32_DEP_3)
	v_exp_f32_e32 v77, v77
	v_cndmask_b32_e64 v80, 0, v67, s2
	v_cndmask_b32_e32 v76, 0, v68, vcc_lo
	v_fma_f32 v67, s24, v128, -v66
	v_exp_f32_e32 v71, v71
	s_delay_alu instid0(TRANS32_DEP_3) | instskip(SKIP_3) | instid1(VALU_DEP_1)
	v_cndmask_b32_e64 v84, 0, v70, s4
	v_add_f32_e32 v68, 0, v80
	v_fma_f32 v70, s24, v115, -v66
	v_dual_mul_f32 v67, 0x3fb8aa3b, v67 :: v_dual_mul_f32 v88, 0x3fb8aa3b, v88
	v_exp_f32_e32 v67, v67
	s_waitcnt_depctr 0xfff
	v_cndmask_b32_e64 v85, 0, v71, s5
	v_fma_f32 v71, s24, v116, -v66
	s_delay_alu instid0(VALU_DEP_1) | instskip(NEXT) | instid1(VALU_DEP_1)
	v_dual_add_f32 v68, v68, v76 :: v_dual_mul_f32 v71, 0x3fb8aa3b, v71
	v_add_f32_e32 v68, v68, v82
	v_cndmask_b32_e64 v86, 0, v67, s6
	s_delay_alu instid0(VALU_DEP_3) | instskip(NEXT) | instid1(VALU_DEP_2)
	v_exp_f32_e32 v71, v71
	v_add_f32_e32 v68, v68, v84
	s_delay_alu instid0(VALU_DEP_1) | instskip(NEXT) | instid1(VALU_DEP_1)
	v_dual_mul_f32 v72, 0x3fb8aa3b, v72 :: v_dual_add_f32 v67, v68, v85
	v_exp_f32_e32 v72, v72
	v_fma_f32 v68, s24, v117, -v66
	s_delay_alu instid0(VALU_DEP_1)
	v_dual_add_f32 v67, v67, v86 :: v_dual_mul_f32 v68, 0x3fb8aa3b, v68
	s_waitcnt_depctr 0xfff
	v_cndmask_b32_e64 v83, 0, v72, s7
	v_fma_f32 v72, s24, v118, -v66
	v_exp_f32_e32 v78, v68
	v_cndmask_b32_e64 v68, 0, v71, s10
	v_fma_f32 v71, s24, v121, -v66
	v_dual_add_f32 v67, v67, v83 :: v_dual_mul_f32 v70, 0x3fb8aa3b, v70
	s_delay_alu instid0(VALU_DEP_1) | instskip(NEXT) | instid1(VALU_DEP_2)
	v_add_f32_e32 v67, v67, v87
	v_exp_f32_e32 v70, v70
	s_waitcnt_depctr 0xfff
	v_cndmask_b32_e64 v69, 0, v70, s9
	v_mul_f32_e32 v72, 0x3fb8aa3b, v72
	v_fma_f32 v70, s24, v120, -v66
	s_delay_alu instid0(VALU_DEP_3) | instskip(NEXT) | instid1(VALU_DEP_3)
	v_add_f32_e32 v67, v67, v69
	v_exp_f32_e32 v72, v72
	s_delay_alu instid0(VALU_DEP_2) | instskip(SKIP_1) | instid1(VALU_DEP_3)
	v_mul_f32_e32 v79, 0x3fb8aa3b, v70
	v_cndmask_b32_e64 v70, 0, v78, s11
	v_dual_mul_f32 v78, 0x3fb8aa3b, v71 :: v_dual_add_f32 v67, v67, v68
	s_delay_alu instid0(VALU_DEP_3) | instskip(NEXT) | instid1(VALU_DEP_1)
	v_exp_f32_e32 v79, v79
	v_exp_f32_e32 v78, v78
	s_delay_alu instid0(VALU_DEP_1) | instskip(NEXT) | instid1(TRANS32_DEP_3)
	v_add_f32_e32 v67, v67, v70
	v_cndmask_b32_e64 v71, 0, v72, s12
	v_cndmask_b32_e64 v72, 0, v77, s13
	s_delay_alu instid0(VALU_DEP_2)
	v_add_f32_e32 v67, v67, v71
	s_waitcnt_depctr 0xfff
	v_cndmask_b32_e64 v77, 0, v79, s16
	v_exp_f32_e32 v79, v88
	v_and_b32_e32 v88, 31, v0
	v_cndmask_b32_e64 v78, 0, v78, s17
	v_add_f32_e32 v67, v67, v72
	s_delay_alu instid0(VALU_DEP_3) | instskip(NEXT) | instid1(VALU_DEP_2)
	v_cmp_lt_u32_e64 s2, 15, v88
	v_add_f32_e32 v67, v67, v77
	s_waitcnt_depctr 0xfff
	v_cndmask_b32_e64 v79, 0, v79, s18
	v_add_f32_e32 v67, v67, v78
	s_delay_alu instid0(VALU_DEP_1)
	v_add_f32_e32 v67, v67, v79
	ds_bpermute_b32 v81, v81, v67
	v_cmpx_gt_u32_e32 16, v88
	s_cbranch_execz .LBB1758_11
; %bb.10:
	v_mul_u32_u24_e32 v88, 0x44, v65
	s_waitcnt lgkmcnt(0)
	v_add_f32_e32 v67, v67, v81
	s_delay_alu instid0(VALU_DEP_2) | instskip(NEXT) | instid1(VALU_DEP_1)
	v_lshl_add_u32 v88, v73, 2, v88
	v_add_nc_u32_e32 v81, 0x4000, v88
	ds_store_2addr_b32 v81, v66, v67 offset1:136
.LBB1758_11:
	s_or_b32 exec_lo, exec_lo, s3
	v_lshlrev_b32_e32 v66, 2, v73
	s_waitcnt lgkmcnt(0)
	s_barrier
	buffer_gl0_inv
	v_cmp_eq_u32_e32 vcc_lo, 1, v65
	v_add_nc_u32_e32 v81, 0x4000, v66
	v_cmp_eq_u32_e64 s3, 2, v65
	v_cmp_eq_u32_e64 s5, 7, v65
	ds_load_2addr_b32 v[88:89], v81 offset1:17
	ds_load_2addr_b32 v[90:91], v81 offset0:34 offset1:51
	ds_load_2addr_b32 v[92:93], v81 offset0:68 offset1:85
	;; [unrolled: 1-line block ×4, first 2 shown]
	s_waitcnt lgkmcnt(4)
	v_max3_f32 v66, v88, 0xff7fffff, v89
	s_waitcnt lgkmcnt(3)
	s_delay_alu instid0(VALU_DEP_1) | instskip(SKIP_1) | instid1(VALU_DEP_1)
	v_max3_f32 v66, v66, v90, v91
	s_waitcnt lgkmcnt(2)
	v_max3_f32 v66, v66, v92, v93
	s_waitcnt lgkmcnt(1)
	s_delay_alu instid0(VALU_DEP_1) | instskip(NEXT) | instid1(VALU_DEP_1)
	v_max3_f32 v66, v66, v94, v95
	v_sub_f32_e32 v92, v92, v66
	s_delay_alu instid0(VALU_DEP_1) | instskip(NEXT) | instid1(VALU_DEP_1)
	v_dual_sub_f32 v67, v88, v66 :: v_dual_mul_f32 v102, 0x3fb8aa3b, v92
	v_mul_f32_e32 v67, 0x3fb8aa3b, v67
	s_delay_alu instid0(VALU_DEP_1)
	v_exp_f32_e32 v99, v67
	v_sub_f32_e32 v67, v91, v66
	v_sub_f32_e32 v98, v89, v66
	ds_load_2addr_b32 v[88:89], v81 offset0:170 offset1:187
	v_dual_mul_f32 v101, 0x3fb8aa3b, v67 :: v_dual_mul_f32 v98, 0x3fb8aa3b, v98
	s_waitcnt lgkmcnt(1)
	v_fma_f32 v67, v99, v96, 0
	s_delay_alu instid0(VALU_DEP_2) | instskip(NEXT) | instid1(VALU_DEP_2)
	v_exp_f32_e32 v101, v101
	v_exp_f32_e32 v98, v98
	s_waitcnt_depctr 0xfff
	v_fmac_f32_e32 v67, v98, v97
	v_sub_f32_e32 v90, v90, v66
	s_delay_alu instid0(VALU_DEP_1)
	v_mul_f32_e32 v100, 0x3fb8aa3b, v90
	ds_load_2addr_b32 v[90:91], v81 offset0:204 offset1:221
	v_sub_f32_e32 v96, v93, v66
	ds_load_2addr_b32 v[92:93], v81 offset0:238 offset1:255
	s_waitcnt lgkmcnt(0)
	v_exp_f32_e32 v100, v100
	s_barrier
	buffer_gl0_inv
	v_dual_fmac_f32 v67, v100, v88 :: v_dual_sub_f32 v88, v95, v66
	v_dual_sub_f32 v81, v94, v66 :: v_dual_mul_f32 v94, 0x3fb8aa3b, v96
	v_exp_f32_e32 v96, v102
	s_delay_alu instid0(VALU_DEP_2) | instskip(NEXT) | instid1(VALU_DEP_2)
	v_dual_fmac_f32 v67, v101, v89 :: v_dual_mul_f32 v88, 0x3fb8aa3b, v88
	v_mul_f32_e32 v81, 0x3fb8aa3b, v81
	s_delay_alu instid0(VALU_DEP_3) | instskip(NEXT) | instid1(VALU_DEP_2)
	v_exp_f32_e32 v94, v94
	v_exp_f32_e32 v88, v88
	s_delay_alu instid0(VALU_DEP_1)
	v_exp_f32_e32 v81, v81
	v_fmac_f32_e32 v67, v96, v90
	s_delay_alu instid0(TRANS32_DEP_3) | instid1(VALU_DEP_1)
	v_fmac_f32_e32 v67, v94, v91
	s_waitcnt_depctr 0xfff
	v_fmac_f32_e32 v67, v81, v92
	s_delay_alu instid0(VALU_DEP_1) | instskip(NEXT) | instid1(VALU_DEP_1)
	v_fmac_f32_e32 v67, v88, v93
	v_add_f32_e32 v89, 0x358637bd, v67
	s_delay_alu instid0(VALU_DEP_1) | instskip(NEXT) | instid1(VALU_DEP_1)
	v_div_scale_f32 v90, null, v89, v89, 1.0
	v_rcp_f32_e32 v91, v90
	s_waitcnt_depctr 0xfff
	v_fma_f32 v92, -v90, v91, 1.0
	s_delay_alu instid0(VALU_DEP_1) | instskip(SKIP_1) | instid1(VALU_DEP_2)
	v_dual_fmac_f32 v91, v92, v91 :: v_dual_cndmask_b32 v92, v99, v98
	v_cmp_eq_u32_e32 vcc_lo, 3, v65
	v_cndmask_b32_e64 v92, v92, v100, s3
	v_cmp_eq_u32_e64 s3, 4, v65
	s_delay_alu instid0(VALU_DEP_2) | instskip(SKIP_1) | instid1(VALU_DEP_2)
	v_cndmask_b32_e32 v92, v92, v101, vcc_lo
	v_cmp_eq_u32_e32 vcc_lo, 5, v65
	v_cndmask_b32_e64 v92, v92, v96, s3
	v_cmp_eq_u32_e64 s3, 6, v65
	s_delay_alu instid0(VALU_DEP_2) | instskip(SKIP_1) | instid1(VALU_DEP_1)
	v_cndmask_b32_e32 v92, v92, v94, vcc_lo
	v_div_scale_f32 v93, s4, 1.0, v89, 1.0
	s_mov_b32 vcc_lo, s4
	s_delay_alu instid0(VALU_DEP_2) | instskip(NEXT) | instid1(VALU_DEP_2)
	v_cndmask_b32_e64 v81, v92, v81, s3
	v_mul_f32_e32 v95, v93, v91
	s_mov_b32 s3, exec_lo
	s_delay_alu instid0(VALU_DEP_2) | instskip(NEXT) | instid1(VALU_DEP_2)
	v_cndmask_b32_e64 v81, v81, v88, s5
	v_fma_f32 v97, -v90, v95, v93
	s_delay_alu instid0(VALU_DEP_1) | instskip(NEXT) | instid1(VALU_DEP_1)
	v_fmac_f32_e32 v95, v97, v91
	v_fma_f32 v90, -v90, v95, v93
	s_delay_alu instid0(VALU_DEP_1) | instskip(NEXT) | instid1(VALU_DEP_1)
	v_div_fmas_f32 v90, v90, v91, v95
	v_div_fixup_f32 v89, v90, v89, 1.0
	s_delay_alu instid0(VALU_DEP_1) | instskip(NEXT) | instid1(VALU_DEP_1)
	v_mul_f32_e32 v81, v81, v89
	v_mul_f32_e32 v89, v81, v80
	;; [unrolled: 1-line block ×6, first 2 shown]
	v_and_b32_e32 v90, 0x7f800000, v89
	v_mul_f32_e32 v88, v81, v84
	v_mul_f32_e32 v85, v81, v82
	;; [unrolled: 1-line block ×3, first 2 shown]
                                        ; implicit-def: $vgpr76
	s_delay_alu instid0(VALU_DEP_4)
	v_cmpx_ne_u32_e32 0x7f800000, v90
	s_xor_b32 s3, exec_lo, s3
; %bb.12:
	v_bfe_u32 v76, v89, 16, 1
	s_delay_alu instid0(VALU_DEP_1)
	v_add3_u32 v76, v89, v76, 0x7fff
                                        ; implicit-def: $vgpr89
; %bb.13:
	s_and_not1_saveexec_b32 s3, s3
; %bb.14:
	v_and_b32_e32 v76, 0xffff, v89
	v_or_b32_e32 v82, 0x10000, v89
	s_delay_alu instid0(VALU_DEP_2) | instskip(NEXT) | instid1(VALU_DEP_2)
	v_cmp_eq_u32_e32 vcc_lo, 0, v76
	v_cndmask_b32_e32 v76, v82, v89, vcc_lo
; %bb.15:
	s_or_b32 exec_lo, exec_lo, s3
	v_and_b32_e32 v82, 0x7f800000, v84
	s_delay_alu instid0(VALU_DEP_1) | instskip(SKIP_1) | instid1(SALU_CYCLE_1)
	v_cmp_ne_u32_e32 vcc_lo, 0x7f800000, v82
                                        ; implicit-def: $vgpr82
	s_and_saveexec_b32 s3, vcc_lo
	s_xor_b32 s3, exec_lo, s3
; %bb.16:
	v_bfe_u32 v82, v84, 16, 1
	s_delay_alu instid0(VALU_DEP_1)
	v_add3_u32 v82, v84, v82, 0x7fff
                                        ; implicit-def: $vgpr84
; %bb.17:
	s_and_not1_saveexec_b32 s3, s3
; %bb.18:
	v_and_b32_e32 v82, 0xffff, v84
	v_or_b32_e32 v89, 0x10000, v84
	s_delay_alu instid0(VALU_DEP_2) | instskip(NEXT) | instid1(VALU_DEP_2)
	v_cmp_eq_u32_e32 vcc_lo, 0, v82
	v_cndmask_b32_e32 v82, v89, v84, vcc_lo
; %bb.19:
	s_or_b32 exec_lo, exec_lo, s3
	v_and_b32_e32 v84, 0x7f800000, v85
	s_delay_alu instid0(VALU_DEP_1) | instskip(SKIP_1) | instid1(SALU_CYCLE_1)
	v_cmp_ne_u32_e32 vcc_lo, 0x7f800000, v84
                                        ; implicit-def: $vgpr84
	s_and_saveexec_b32 s3, vcc_lo
	s_xor_b32 s3, exec_lo, s3
; %bb.20:
	v_bfe_u32 v84, v85, 16, 1
	s_delay_alu instid0(VALU_DEP_1)
	v_add3_u32 v84, v85, v84, 0x7fff
                                        ; implicit-def: $vgpr85
; %bb.21:
	s_and_not1_saveexec_b32 s3, s3
; %bb.22:
	v_and_b32_e32 v84, 0xffff, v85
	v_or_b32_e32 v89, 0x10000, v85
	s_delay_alu instid0(VALU_DEP_2) | instskip(NEXT) | instid1(VALU_DEP_2)
	v_cmp_eq_u32_e32 vcc_lo, 0, v84
	v_cndmask_b32_e32 v84, v89, v85, vcc_lo
; %bb.23:
	s_or_b32 exec_lo, exec_lo, s3
	v_and_b32_e32 v85, 0x7f800000, v88
	s_delay_alu instid0(VALU_DEP_1) | instskip(SKIP_1) | instid1(SALU_CYCLE_1)
	v_cmp_ne_u32_e32 vcc_lo, 0x7f800000, v85
                                        ; implicit-def: $vgpr85
	s_and_saveexec_b32 s3, vcc_lo
	s_xor_b32 s3, exec_lo, s3
; %bb.24:
	v_bfe_u32 v85, v88, 16, 1
	s_delay_alu instid0(VALU_DEP_1)
	v_add3_u32 v85, v88, v85, 0x7fff
                                        ; implicit-def: $vgpr88
; %bb.25:
	s_and_not1_saveexec_b32 s3, s3
; %bb.26:
	v_and_b32_e32 v85, 0xffff, v88
	v_or_b32_e32 v89, 0x10000, v88
	s_delay_alu instid0(VALU_DEP_2) | instskip(NEXT) | instid1(VALU_DEP_2)
	v_cmp_eq_u32_e32 vcc_lo, 0, v85
	v_cndmask_b32_e32 v85, v89, v88, vcc_lo
; %bb.27:
	s_or_b32 exec_lo, exec_lo, s3
	v_and_b32_e32 v88, 0x7f800000, v87
	s_delay_alu instid0(VALU_DEP_1) | instskip(SKIP_1) | instid1(SALU_CYCLE_1)
	v_cmp_ne_u32_e32 vcc_lo, 0x7f800000, v88
                                        ; implicit-def: $vgpr88
	s_and_saveexec_b32 s3, vcc_lo
	s_xor_b32 s3, exec_lo, s3
; %bb.28:
	v_bfe_u32 v88, v87, 16, 1
	s_delay_alu instid0(VALU_DEP_1)
	v_add3_u32 v88, v87, v88, 0x7fff
                                        ; implicit-def: $vgpr87
; %bb.29:
	s_and_not1_saveexec_b32 s3, s3
; %bb.30:
	v_and_b32_e32 v88, 0xffff, v87
	v_or_b32_e32 v89, 0x10000, v87
	s_delay_alu instid0(VALU_DEP_2) | instskip(NEXT) | instid1(VALU_DEP_2)
	v_cmp_eq_u32_e32 vcc_lo, 0, v88
	v_cndmask_b32_e32 v88, v89, v87, vcc_lo
; %bb.31:
	s_or_b32 exec_lo, exec_lo, s3
	v_and_b32_e32 v87, 0x7f800000, v86
	s_delay_alu instid0(VALU_DEP_1) | instskip(SKIP_1) | instid1(SALU_CYCLE_1)
	v_cmp_ne_u32_e32 vcc_lo, 0x7f800000, v87
                                        ; implicit-def: $vgpr87
	s_and_saveexec_b32 s3, vcc_lo
	s_xor_b32 s3, exec_lo, s3
; %bb.32:
	v_bfe_u32 v87, v86, 16, 1
	s_delay_alu instid0(VALU_DEP_1)
	v_add3_u32 v87, v86, v87, 0x7fff
                                        ; implicit-def: $vgpr86
; %bb.33:
	s_and_not1_saveexec_b32 s3, s3
; %bb.34:
	v_and_b32_e32 v87, 0xffff, v86
	v_or_b32_e32 v89, 0x10000, v86
	s_delay_alu instid0(VALU_DEP_2) | instskip(NEXT) | instid1(VALU_DEP_2)
	v_cmp_eq_u32_e32 vcc_lo, 0, v87
	v_cndmask_b32_e32 v87, v89, v86, vcc_lo
; %bb.35:
	s_or_b32 exec_lo, exec_lo, s3
	v_and_b32_e32 v86, 0x7f800000, v83
	s_delay_alu instid0(VALU_DEP_1) | instskip(SKIP_1) | instid1(SALU_CYCLE_1)
	v_cmp_ne_u32_e32 vcc_lo, 0x7f800000, v86
                                        ; implicit-def: $vgpr86
	s_and_saveexec_b32 s3, vcc_lo
	s_xor_b32 s3, exec_lo, s3
; %bb.36:
	v_bfe_u32 v86, v83, 16, 1
	s_delay_alu instid0(VALU_DEP_1)
	v_add3_u32 v86, v83, v86, 0x7fff
                                        ; implicit-def: $vgpr83
; %bb.37:
	s_and_not1_saveexec_b32 s3, s3
; %bb.38:
	v_and_b32_e32 v86, 0xffff, v83
	v_or_b32_e32 v89, 0x10000, v83
	s_delay_alu instid0(VALU_DEP_2) | instskip(NEXT) | instid1(VALU_DEP_2)
	v_cmp_eq_u32_e32 vcc_lo, 0, v86
	v_cndmask_b32_e32 v86, v89, v83, vcc_lo
; %bb.39:
	s_or_b32 exec_lo, exec_lo, s3
	v_and_b32_e32 v83, 0x7f800000, v80
	s_delay_alu instid0(VALU_DEP_1) | instskip(SKIP_1) | instid1(SALU_CYCLE_1)
	v_cmp_ne_u32_e32 vcc_lo, 0x7f800000, v83
                                        ; implicit-def: $vgpr83
	s_and_saveexec_b32 s3, vcc_lo
	s_xor_b32 s3, exec_lo, s3
; %bb.40:
	v_bfe_u32 v83, v80, 16, 1
	s_delay_alu instid0(VALU_DEP_1)
	v_add3_u32 v83, v80, v83, 0x7fff
                                        ; implicit-def: $vgpr80
; %bb.41:
	s_and_not1_saveexec_b32 s3, s3
; %bb.42:
	v_and_b32_e32 v83, 0xffff, v80
	v_or_b32_e32 v89, 0x10000, v80
	s_delay_alu instid0(VALU_DEP_2) | instskip(NEXT) | instid1(VALU_DEP_2)
	v_cmp_eq_u32_e32 vcc_lo, 0, v83
	v_cndmask_b32_e32 v83, v89, v80, vcc_lo
; %bb.43:
	s_or_b32 exec_lo, exec_lo, s3
	s_load_b64 s[36:37], s[0:1], 0x94
	v_lshlrev_b32_e32 v90, 4, v75
	s_delay_alu instid0(VALU_DEP_2)
	v_perm_b32 v89, v83, v86, 0x7060302
	v_mul_f32_e32 v83, v81, v69
	v_dual_mul_f32 v69, v81, v79 :: v_dual_lshlrev_b32 v80, 6, v73
	v_dual_mul_f32 v78, v81, v78 :: v_dual_lshlrev_b32 v91, 11, v65
	v_perm_b32 v88, v87, v88, 0x7060302
	v_perm_b32 v87, v85, v84, 0x7060302
	;; [unrolled: 1-line block ×3, first 2 shown]
	s_delay_alu instid0(VALU_DEP_4)
	v_or3_b32 v76, v90, v91, v80
	v_dual_mul_f32 v77, v81, v77 :: v_dual_and_b32 v84, 0x7f800000, v83
	v_mul_f32_e32 v72, v81, v72
	v_mul_f32_e32 v82, v81, v71
	;; [unrolled: 1-line block ×4, first 2 shown]
	s_mov_b32 s3, exec_lo
	ds_store_b128 v76, v[86:89]
                                        ; implicit-def: $vgpr68
	v_cmpx_ne_u32_e32 0x7f800000, v84
	s_xor_b32 s3, exec_lo, s3
; %bb.44:
	v_bfe_u32 v68, v83, 16, 1
	s_delay_alu instid0(VALU_DEP_1)
	v_add3_u32 v68, v83, v68, 0x7fff
                                        ; implicit-def: $vgpr83
; %bb.45:
	s_and_not1_saveexec_b32 s3, s3
; %bb.46:
	v_and_b32_e32 v68, 0xffff, v83
	v_or_b32_e32 v70, 0x10000, v83
	s_delay_alu instid0(VALU_DEP_2) | instskip(NEXT) | instid1(VALU_DEP_2)
	v_cmp_eq_u32_e32 vcc_lo, 0, v68
	v_cndmask_b32_e32 v68, v70, v83, vcc_lo
; %bb.47:
	s_or_b32 exec_lo, exec_lo, s3
	v_and_b32_e32 v70, 0x7f800000, v71
	s_delay_alu instid0(VALU_DEP_1) | instskip(SKIP_1) | instid1(SALU_CYCLE_1)
	v_cmp_ne_u32_e32 vcc_lo, 0x7f800000, v70
                                        ; implicit-def: $vgpr70
	s_and_saveexec_b32 s3, vcc_lo
	s_xor_b32 s3, exec_lo, s3
; %bb.48:
	v_bfe_u32 v70, v71, 16, 1
	s_delay_alu instid0(VALU_DEP_1)
	v_add3_u32 v70, v71, v70, 0x7fff
                                        ; implicit-def: $vgpr71
; %bb.49:
	s_and_not1_saveexec_b32 s3, s3
; %bb.50:
	v_and_b32_e32 v70, 0xffff, v71
	v_or_b32_e32 v81, 0x10000, v71
	s_delay_alu instid0(VALU_DEP_2) | instskip(NEXT) | instid1(VALU_DEP_2)
	v_cmp_eq_u32_e32 vcc_lo, 0, v70
	v_cndmask_b32_e32 v70, v81, v71, vcc_lo
; %bb.51:
	s_or_b32 exec_lo, exec_lo, s3
	v_and_b32_e32 v71, 0x7f800000, v79
	s_delay_alu instid0(VALU_DEP_1) | instskip(SKIP_1) | instid1(SALU_CYCLE_1)
	v_cmp_ne_u32_e32 vcc_lo, 0x7f800000, v71
                                        ; implicit-def: $vgpr71
	s_and_saveexec_b32 s3, vcc_lo
	s_xor_b32 s3, exec_lo, s3
; %bb.52:
	v_bfe_u32 v71, v79, 16, 1
	s_delay_alu instid0(VALU_DEP_1)
	v_add3_u32 v71, v79, v71, 0x7fff
                                        ; implicit-def: $vgpr79
; %bb.53:
	s_and_not1_saveexec_b32 s3, s3
; %bb.54:
	v_and_b32_e32 v71, 0xffff, v79
	v_or_b32_e32 v81, 0x10000, v79
	s_delay_alu instid0(VALU_DEP_2) | instskip(NEXT) | instid1(VALU_DEP_2)
	v_cmp_eq_u32_e32 vcc_lo, 0, v71
	v_cndmask_b32_e32 v71, v81, v79, vcc_lo
; %bb.55:
	s_or_b32 exec_lo, exec_lo, s3
	v_and_b32_e32 v79, 0x7f800000, v82
	s_delay_alu instid0(VALU_DEP_1) | instskip(SKIP_1) | instid1(SALU_CYCLE_1)
	v_cmp_ne_u32_e32 vcc_lo, 0x7f800000, v79
                                        ; implicit-def: $vgpr79
	s_and_saveexec_b32 s3, vcc_lo
	s_xor_b32 s3, exec_lo, s3
; %bb.56:
	v_bfe_u32 v79, v82, 16, 1
	s_delay_alu instid0(VALU_DEP_1)
	v_add3_u32 v79, v82, v79, 0x7fff
                                        ; implicit-def: $vgpr82
; %bb.57:
	s_and_not1_saveexec_b32 s3, s3
; %bb.58:
	v_and_b32_e32 v79, 0xffff, v82
	v_or_b32_e32 v81, 0x10000, v82
	s_delay_alu instid0(VALU_DEP_2) | instskip(NEXT) | instid1(VALU_DEP_2)
	v_cmp_eq_u32_e32 vcc_lo, 0, v79
	v_cndmask_b32_e32 v79, v81, v82, vcc_lo
; %bb.59:
	s_or_b32 exec_lo, exec_lo, s3
	v_and_b32_e32 v81, 0x7f800000, v72
	s_delay_alu instid0(VALU_DEP_1) | instskip(SKIP_1) | instid1(SALU_CYCLE_1)
	v_cmp_ne_u32_e32 vcc_lo, 0x7f800000, v81
                                        ; implicit-def: $vgpr81
	s_and_saveexec_b32 s3, vcc_lo
	s_xor_b32 s3, exec_lo, s3
; %bb.60:
	v_bfe_u32 v81, v72, 16, 1
	s_delay_alu instid0(VALU_DEP_1)
	v_add3_u32 v81, v72, v81, 0x7fff
                                        ; implicit-def: $vgpr72
; %bb.61:
	s_and_not1_saveexec_b32 s3, s3
; %bb.62:
	v_and_b32_e32 v81, 0xffff, v72
	v_or_b32_e32 v82, 0x10000, v72
	s_delay_alu instid0(VALU_DEP_2) | instskip(NEXT) | instid1(VALU_DEP_2)
	v_cmp_eq_u32_e32 vcc_lo, 0, v81
	v_cndmask_b32_e32 v81, v82, v72, vcc_lo
; %bb.63:
	s_or_b32 exec_lo, exec_lo, s3
	v_and_b32_e32 v72, 0x7f800000, v77
	s_delay_alu instid0(VALU_DEP_1) | instskip(SKIP_1) | instid1(SALU_CYCLE_1)
	v_cmp_ne_u32_e32 vcc_lo, 0x7f800000, v72
                                        ; implicit-def: $vgpr72
	s_and_saveexec_b32 s3, vcc_lo
	s_xor_b32 s3, exec_lo, s3
; %bb.64:
	v_bfe_u32 v72, v77, 16, 1
	s_delay_alu instid0(VALU_DEP_1)
	v_add3_u32 v72, v77, v72, 0x7fff
                                        ; implicit-def: $vgpr77
; %bb.65:
	s_and_not1_saveexec_b32 s3, s3
; %bb.66:
	v_and_b32_e32 v72, 0xffff, v77
	v_or_b32_e32 v82, 0x10000, v77
	s_delay_alu instid0(VALU_DEP_2) | instskip(NEXT) | instid1(VALU_DEP_2)
	v_cmp_eq_u32_e32 vcc_lo, 0, v72
	v_cndmask_b32_e32 v72, v82, v77, vcc_lo
; %bb.67:
	s_or_b32 exec_lo, exec_lo, s3
	v_and_b32_e32 v77, 0x7f800000, v78
	s_delay_alu instid0(VALU_DEP_1) | instskip(SKIP_1) | instid1(SALU_CYCLE_1)
	v_cmp_ne_u32_e32 vcc_lo, 0x7f800000, v77
                                        ; implicit-def: $vgpr77
	s_and_saveexec_b32 s3, vcc_lo
	s_xor_b32 s3, exec_lo, s3
; %bb.68:
	v_bfe_u32 v77, v78, 16, 1
	s_delay_alu instid0(VALU_DEP_1)
	v_add3_u32 v77, v78, v77, 0x7fff
                                        ; implicit-def: $vgpr78
; %bb.69:
	s_and_not1_saveexec_b32 s3, s3
; %bb.70:
	v_and_b32_e32 v77, 0xffff, v78
	v_or_b32_e32 v82, 0x10000, v78
	s_delay_alu instid0(VALU_DEP_2) | instskip(NEXT) | instid1(VALU_DEP_2)
	v_cmp_eq_u32_e32 vcc_lo, 0, v77
	v_cndmask_b32_e32 v77, v82, v78, vcc_lo
; %bb.71:
	s_or_b32 exec_lo, exec_lo, s3
	v_and_b32_e32 v78, 0x7f800000, v69
	s_delay_alu instid0(VALU_DEP_1) | instskip(SKIP_1) | instid1(SALU_CYCLE_1)
	v_cmp_ne_u32_e32 vcc_lo, 0x7f800000, v78
                                        ; implicit-def: $vgpr78
	s_and_saveexec_b32 s3, vcc_lo
	s_xor_b32 s3, exec_lo, s3
; %bb.72:
	v_bfe_u32 v78, v69, 16, 1
	s_delay_alu instid0(VALU_DEP_1)
	v_add3_u32 v78, v69, v78, 0x7fff
                                        ; implicit-def: $vgpr69
; %bb.73:
	s_and_not1_saveexec_b32 s3, s3
; %bb.74:
	v_and_b32_e32 v78, 0xffff, v69
	v_or_b32_e32 v82, 0x10000, v69
	s_delay_alu instid0(VALU_DEP_2) | instskip(NEXT) | instid1(VALU_DEP_2)
	v_cmp_eq_u32_e32 vcc_lo, 0, v78
	v_cndmask_b32_e32 v78, v82, v69, vcc_lo
; %bb.75:
	s_or_b32 exec_lo, exec_lo, s3
	s_delay_alu instid0(VALU_DEP_1)
	v_perm_b32 v86, v78, v77, 0x7060302
	v_perm_b32 v85, v72, v81, 0x7060302
	;; [unrolled: 1-line block ×4, first 2 shown]
	v_lshl_or_b32 v82, v65, 11, v80
	ds_store_b128 v76, v[83:86] offset:1024
	s_waitcnt lgkmcnt(0)
	s_barrier
	buffer_gl0_inv
	ds_load_b128 v[68:71], v82
	ds_load_b128 v[83:86], v82 offset:16
	s_waitcnt lgkmcnt(1)
	v_lshrrev_b32_e32 v65, 16, v68
	v_lshlrev_b32_e32 v78, 2, v75
	s_waitcnt lgkmcnt(0)
	v_lshrrev_b32_e32 v91, 16, v83
	v_lshrrev_b32_e32 v72, 16, v69
	v_lshrrev_b32_e32 v97, 16, v84
	v_lshrrev_b32_e32 v95, 16, v70
	v_cmp_eq_u32_e32 vcc_lo, 1, v78
	v_lshrrev_b32_e32 v98, 16, v85
	v_lshrrev_b32_e32 v96, 16, v71
	v_lshrrev_b32_e32 v99, 16, v86
	v_cndmask_b32_e32 v81, v68, v65, vcc_lo
	v_or_b32_e32 v79, 1, v78
	v_cmp_eq_u32_e64 s4, 2, v78
	v_cndmask_b32_e32 v87, v83, v91, vcc_lo
	v_cmp_eq_u32_e64 s7, 3, v78
	v_cmp_eq_u32_e64 s9, 4, v78
	;; [unrolled: 1-line block ×3, first 2 shown]
	v_cndmask_b32_e64 v81, v81, v69, s4
	v_cmp_eq_u32_e64 s6, 2, v79
	v_cndmask_b32_e64 v87, v87, v84, s4
	v_cmp_eq_u32_e64 s8, 3, v79
	v_cndmask_b32_e64 v88, v68, v65, s3
	v_cndmask_b32_e64 v81, v81, v72, s7
	v_or_b32_e32 v77, 2, v78
	v_cndmask_b32_e64 v87, v87, v97, s7
	v_cndmask_b32_e64 v89, v83, v91, s3
	;; [unrolled: 1-line block ×4, first 2 shown]
	v_cmp_eq_u32_e64 s10, 5, v78
	v_cndmask_b32_e64 v87, v87, v85, s9
	v_cmp_eq_u32_e64 s11, 4, v79
	v_cndmask_b32_e64 v88, v88, v72, s8
	;; [unrolled: 2-line block ×3, first 2 shown]
	v_cndmask_b32_e64 v81, v81, v95, s10
	v_cmp_eq_u32_e64 s12, 6, v78
	v_cndmask_b32_e64 v88, v88, v70, s11
	v_cndmask_b32_e64 v87, v87, v98, s10
	v_cmp_eq_u32_e64 s13, 5, v79
	v_cndmask_b32_e64 v90, v68, v65, s5
	v_cndmask_b32_e64 v89, v89, v97, s8
	;; [unrolled: 1-line block ×3, first 2 shown]
	v_cmp_eq_u32_e64 s16, 7, v78
	v_cndmask_b32_e64 v88, v88, v95, s13
	v_cndmask_b32_e64 v87, v87, v86, s12
	v_cmp_eq_u32_e64 s17, 6, v79
	v_cmp_eq_u32_e64 s18, 2, v77
	v_cndmask_b32_e64 v89, v89, v85, s11
	v_cndmask_b32_e64 v100, v81, v96, s16
	;; [unrolled: 1-line block ×6, first 2 shown]
	v_cmp_eq_u32_e64 s19, 7, v79
	v_cmp_eq_u32_e64 s20, 3, v77
	;; [unrolled: 1-line block ×4, first 2 shown]
	v_cndmask_b32_e64 v87, v87, v84, s18
	v_cndmask_b32_e64 v102, v88, v96, s19
	;; [unrolled: 1-line block ×4, first 2 shown]
	v_or_b32_e32 v81, 3, v78
	v_cndmask_b32_e64 v93, v87, v97, s20
	v_cmp_eq_u32_e64 s25, 6, v77
	v_cndmask_b32_e64 v103, v88, v86, s17
	v_cndmask_b32_e64 v92, v89, v70, s21
	v_cmp_eq_u32_e64 s22, 1, v81
	ds_load_b128 v[87:90], v82 offset:1024
	v_cmp_eq_u32_e64 s24, 2, v81
	v_cmp_eq_u32_e64 s26, 3, v81
	v_cndmask_b32_e64 v104, v92, v95, s23
	v_cndmask_b32_e64 v65, v68, v65, s22
	;; [unrolled: 1-line block ×4, first 2 shown]
	ds_load_b128 v[91:94], v82 offset:1040
	v_cmp_eq_u32_e64 s27, 4, v81
	v_cndmask_b32_e64 v65, v65, v69, s24
	v_cmp_eq_u32_e64 s29, 5, v81
	v_cndmask_b32_e64 v69, v83, v84, s24
	v_cmp_eq_u32_e64 s28, 7, v77
	v_cmp_eq_u32_e64 s30, 6, v81
	v_cndmask_b32_e64 v65, v65, v72, s26
	v_cndmask_b32_e64 v72, v104, v71, s25
	;; [unrolled: 1-line block ×6, first 2 shown]
	s_waitcnt lgkmcnt(1)
	v_lshrrev_b32_e32 v84, 16, v87
	v_cndmask_b32_e64 v69, v69, v85, s27
	v_cndmask_b32_e64 v70, v72, v96, s28
	;; [unrolled: 1-line block ×4, first 2 shown]
	v_lshrrev_b32_e32 v95, 16, v88
	v_cndmask_b32_e64 v69, v69, v98, s29
	s_waitcnt lgkmcnt(0)
	v_lshrrev_b32_e32 v85, 16, v91
	v_cndmask_b32_e64 v97, v87, v84, s3
	v_cndmask_b32_e64 v65, v65, v71, s30
	;; [unrolled: 1-line block ×4, first 2 shown]
	v_cndmask_b32_e32 v72, v87, v84, vcc_lo
	v_cndmask_b32_e32 v98, v91, v85, vcc_lo
	v_cmp_eq_u32_e32 vcc_lo, 7, v81
	v_perm_b32 v70, v68, v70, 0x5040100
	v_cndmask_b32_e32 v65, v65, v96, vcc_lo
	v_cndmask_b32_e32 v69, v69, v99, vcc_lo
	v_cndmask_b32_e64 v72, v72, v88, s4
	v_cndmask_b32_e64 v86, v98, v92, s4
	v_lshrrev_b32_e32 v99, 16, v93
	v_lshrrev_b32_e32 v98, 16, v89
	s_delay_alu instid0(VALU_DEP_4) | instskip(SKIP_2) | instid1(VALU_DEP_3)
	v_cndmask_b32_e64 v71, v72, v95, s7
	v_cndmask_b32_e64 v72, v97, v88, s6
	v_lshrrev_b32_e32 v97, 16, v92
	v_cndmask_b32_e64 v71, v71, v89, s9
	s_delay_alu instid0(VALU_DEP_3) | instskip(NEXT) | instid1(VALU_DEP_3)
	v_cndmask_b32_e64 v72, v72, v95, s8
	v_cndmask_b32_e64 v86, v86, v97, s7
	s_delay_alu instid0(VALU_DEP_3) | instskip(SKIP_1) | instid1(VALU_DEP_3)
	v_cndmask_b32_e64 v96, v71, v98, s10
	v_perm_b32 v71, v69, v65, 0x5040100
	v_cndmask_b32_e64 v86, v86, v93, s9
	v_perm_b32 v69, v83, v102, 0x5040100
	v_cndmask_b32_e64 v102, v91, v85, s5
	v_cndmask_b32_e64 v72, v72, v89, s11
	v_lshrrev_b32_e32 v83, 16, v94
	v_cndmask_b32_e64 v86, v86, v99, s10
	s_delay_alu instid0(VALU_DEP_3) | instskip(SKIP_1) | instid1(VALU_DEP_3)
	v_cndmask_b32_e64 v65, v72, v98, s13
	v_cndmask_b32_e64 v72, v96, v90, s12
	;; [unrolled: 1-line block ×7, first 2 shown]
	v_lshrrev_b32_e32 v96, 16, v90
	v_cndmask_b32_e64 v86, v86, v88, s18
	v_cndmask_b32_e64 v84, v84, v88, s24
	;; [unrolled: 1-line block ×29, first 2 shown]
	v_cndmask_b32_e32 v84, v84, v96, vcc_lo
	v_cndmask_b32_e32 v86, v87, v83, vcc_lo
	v_cndmask_b32_e64 v87, v88, v83, s28
	v_cndmask_b32_e64 v88, v85, v83, s19
	;; [unrolled: 1-line block ×3, first 2 shown]
	v_perm_b32 v68, v101, v100, 0x5040100
	v_perm_b32 v86, v86, v84, 0x5040100
	;; [unrolled: 1-line block ×5, first 2 shown]
	s_mov_b32 s3, exec_lo
	ds_store_b128 v76, v[68:71]
	ds_store_b128 v76, v[83:86] offset:1024
	v_cmpx_eq_u32_e32 0, v0
	s_cbranch_execz .LBB1758_77
; %bb.76:
	s_load_b128 s[4:7], s[0:1], 0x58
	s_mul_i32 s8, s37, s34
	v_mov_b32_e32 v65, 0
	s_add_i32 s8, s8, s15
	s_delay_alu instid0(SALU_CYCLE_1) | instskip(NEXT) | instid1(SALU_CYCLE_1)
	s_mul_i32 s8, s8, s36
	s_add_i32 s8, s8, s14
	s_delay_alu instid0(SALU_CYCLE_1) | instskip(NEXT) | instid1(SALU_CYCLE_1)
	s_ashr_i32 s9, s8, 31
	s_lshl_b64 s[8:9], s[8:9], 2
	s_waitcnt lgkmcnt(0)
	s_add_u32 s6, s6, s8
	s_addc_u32 s7, s7, s9
	s_add_u32 s4, s4, s8
	s_addc_u32 s5, s5, s9
	s_clause 0x1
	global_store_b32 v65, v66, s[6:7]
	global_store_b32 v65, v67, s[4:5]
.LBB1758_77:
	s_or_b32 exec_lo, exec_lo, s3
	s_waitcnt lgkmcnt(0)
	s_waitcnt_vscnt null, 0x0
	s_barrier
	buffer_gl0_inv
	ds_load_b128 v[83:86], v80
	ds_load_b128 v[87:90], v80 offset:16
	ds_load_b128 v[95:98], v80 offset:2064
	;; [unrolled: 1-line block ×3, first 2 shown]
	v_mov_b32_e32 v65, 0
	ds_load_b128 v[103:106], v80 offset:4112
	ds_load_b128 v[99:102], v80 offset:4096
	;; [unrolled: 1-line block ×4, first 2 shown]
	v_mov_b32_e32 v66, v65
	v_mov_b32_e32 v67, v65
	;; [unrolled: 1-line block ×7, first 2 shown]
	s_waitcnt lgkmcnt(6)
	s_delay_alu instid0(VALU_DEP_1)
	v_wmma_f32_16x16x16_bf16 v[65:72], v[49:56], v[83:90], v[65:72]
	ds_load_b128 v[53:56], v80 offset:8208
	ds_load_b128 v[49:52], v80 offset:8192
	s_waitcnt lgkmcnt(6)
	v_wmma_f32_16x16x16_bf16 v[65:72], v[41:48], v[91:98], v[65:72]
	ds_load_b128 v[45:48], v80 offset:10256
	ds_load_b128 v[41:44], v80 offset:10240
	s_waitcnt lgkmcnt(6)
	;; [unrolled: 4-line block ×4, first 2 shown]
	v_wmma_f32_16x16x16_bf16 v[65:72], v[1:8], v[49:56], v[65:72]
	s_waitcnt lgkmcnt(4)
	s_delay_alu instid0(VALU_DEP_1) | instskip(SKIP_1) | instid1(VALU_DEP_1)
	v_wmma_f32_16x16x16_bf16 v[65:72], v[9:16], v[41:48], v[65:72]
	s_waitcnt lgkmcnt(2)
	v_wmma_f32_16x16x16_bf16 v[65:72], v[17:24], v[33:40], v[65:72]
	s_waitcnt lgkmcnt(0)
	s_delay_alu instid0(VALU_DEP_1) | instskip(NEXT) | instid1(VALU_DEP_1)
	v_wmma_f32_16x16x16_bf16 v[65:72], v[57:64], v[25:32], v[65:72]
	v_and_b32_e32 v1, 0x7f800000, v65
	s_delay_alu instid0(VALU_DEP_1) | instskip(SKIP_1) | instid1(SALU_CYCLE_1)
	v_cmp_ne_u32_e32 vcc_lo, 0x7f800000, v1
                                        ; implicit-def: $vgpr1
	s_and_saveexec_b32 s3, vcc_lo
	s_xor_b32 s3, exec_lo, s3
; %bb.78:
	v_bfe_u32 v1, v65, 16, 1
	s_delay_alu instid0(VALU_DEP_1)
	v_add3_u32 v1, v65, v1, 0x7fff
; %bb.79:
	s_and_not1_saveexec_b32 s3, s3
; %bb.80:
	v_and_b32_e32 v1, 0xffff, v65
	v_or_b32_e32 v2, 0x10000, v65
	s_delay_alu instid0(VALU_DEP_2) | instskip(NEXT) | instid1(VALU_DEP_2)
	v_cmp_eq_u32_e32 vcc_lo, 0, v1
	v_cndmask_b32_e32 v1, v2, v65, vcc_lo
; %bb.81:
	s_or_b32 exec_lo, exec_lo, s3
	v_and_b32_e32 v2, 0x7f800000, v66
	s_delay_alu instid0(VALU_DEP_1) | instskip(SKIP_1) | instid1(SALU_CYCLE_1)
	v_cmp_ne_u32_e32 vcc_lo, 0x7f800000, v2
                                        ; implicit-def: $vgpr2
	s_and_saveexec_b32 s3, vcc_lo
	s_xor_b32 s3, exec_lo, s3
; %bb.82:
	v_bfe_u32 v2, v66, 16, 1
	s_delay_alu instid0(VALU_DEP_1)
	v_add3_u32 v2, v66, v2, 0x7fff
; %bb.83:
	s_and_not1_saveexec_b32 s3, s3
; %bb.84:
	v_and_b32_e32 v2, 0xffff, v66
	v_or_b32_e32 v3, 0x10000, v66
	s_delay_alu instid0(VALU_DEP_2) | instskip(NEXT) | instid1(VALU_DEP_2)
	v_cmp_eq_u32_e32 vcc_lo, 0, v2
	v_cndmask_b32_e32 v2, v3, v66, vcc_lo
; %bb.85:
	s_or_b32 exec_lo, exec_lo, s3
	v_and_b32_e32 v3, 0x7f800000, v67
	s_delay_alu instid0(VALU_DEP_1) | instskip(SKIP_1) | instid1(SALU_CYCLE_1)
	v_cmp_ne_u32_e32 vcc_lo, 0x7f800000, v3
                                        ; implicit-def: $vgpr3
	s_and_saveexec_b32 s3, vcc_lo
	s_xor_b32 s3, exec_lo, s3
; %bb.86:
	v_bfe_u32 v3, v67, 16, 1
	s_delay_alu instid0(VALU_DEP_1)
	v_add3_u32 v3, v67, v3, 0x7fff
; %bb.87:
	s_and_not1_saveexec_b32 s3, s3
; %bb.88:
	v_and_b32_e32 v3, 0xffff, v67
	v_or_b32_e32 v4, 0x10000, v67
	s_delay_alu instid0(VALU_DEP_2) | instskip(NEXT) | instid1(VALU_DEP_2)
	v_cmp_eq_u32_e32 vcc_lo, 0, v3
	v_cndmask_b32_e32 v3, v4, v67, vcc_lo
; %bb.89:
	s_or_b32 exec_lo, exec_lo, s3
	v_and_b32_e32 v4, 0x7f800000, v68
	s_delay_alu instid0(VALU_DEP_1) | instskip(SKIP_1) | instid1(SALU_CYCLE_1)
	v_cmp_ne_u32_e32 vcc_lo, 0x7f800000, v4
                                        ; implicit-def: $vgpr4
	s_and_saveexec_b32 s3, vcc_lo
	s_xor_b32 s3, exec_lo, s3
; %bb.90:
	v_bfe_u32 v4, v68, 16, 1
	s_delay_alu instid0(VALU_DEP_1)
	v_add3_u32 v4, v68, v4, 0x7fff
; %bb.91:
	s_and_not1_saveexec_b32 s3, s3
; %bb.92:
	v_and_b32_e32 v4, 0xffff, v68
	v_or_b32_e32 v5, 0x10000, v68
	s_delay_alu instid0(VALU_DEP_2) | instskip(NEXT) | instid1(VALU_DEP_2)
	v_cmp_eq_u32_e32 vcc_lo, 0, v4
	v_cndmask_b32_e32 v4, v5, v68, vcc_lo
; %bb.93:
	s_or_b32 exec_lo, exec_lo, s3
	v_and_b32_e32 v5, 0x7f800000, v69
	s_delay_alu instid0(VALU_DEP_1) | instskip(SKIP_1) | instid1(SALU_CYCLE_1)
	v_cmp_ne_u32_e32 vcc_lo, 0x7f800000, v5
                                        ; implicit-def: $vgpr5
	s_and_saveexec_b32 s3, vcc_lo
	s_xor_b32 s3, exec_lo, s3
; %bb.94:
	v_bfe_u32 v5, v69, 16, 1
	s_delay_alu instid0(VALU_DEP_1)
	v_add3_u32 v5, v69, v5, 0x7fff
; %bb.95:
	s_and_not1_saveexec_b32 s3, s3
; %bb.96:
	v_and_b32_e32 v5, 0xffff, v69
	v_or_b32_e32 v6, 0x10000, v69
	s_delay_alu instid0(VALU_DEP_2) | instskip(NEXT) | instid1(VALU_DEP_2)
	v_cmp_eq_u32_e32 vcc_lo, 0, v5
	v_cndmask_b32_e32 v5, v6, v69, vcc_lo
; %bb.97:
	s_or_b32 exec_lo, exec_lo, s3
	v_and_b32_e32 v6, 0x7f800000, v70
	s_delay_alu instid0(VALU_DEP_1) | instskip(SKIP_1) | instid1(SALU_CYCLE_1)
	v_cmp_ne_u32_e32 vcc_lo, 0x7f800000, v6
                                        ; implicit-def: $vgpr6
	s_and_saveexec_b32 s3, vcc_lo
	s_xor_b32 s3, exec_lo, s3
; %bb.98:
	v_bfe_u32 v6, v70, 16, 1
	s_delay_alu instid0(VALU_DEP_1)
	v_add3_u32 v6, v70, v6, 0x7fff
; %bb.99:
	s_and_not1_saveexec_b32 s3, s3
; %bb.100:
	v_and_b32_e32 v6, 0xffff, v70
	v_or_b32_e32 v7, 0x10000, v70
	s_delay_alu instid0(VALU_DEP_2) | instskip(NEXT) | instid1(VALU_DEP_2)
	v_cmp_eq_u32_e32 vcc_lo, 0, v6
	v_cndmask_b32_e32 v6, v7, v70, vcc_lo
; %bb.101:
	s_or_b32 exec_lo, exec_lo, s3
	v_and_b32_e32 v7, 0x7f800000, v71
	s_delay_alu instid0(VALU_DEP_1) | instskip(SKIP_1) | instid1(SALU_CYCLE_1)
	v_cmp_ne_u32_e32 vcc_lo, 0x7f800000, v7
                                        ; implicit-def: $vgpr7
	s_and_saveexec_b32 s3, vcc_lo
	s_xor_b32 s3, exec_lo, s3
; %bb.102:
	v_bfe_u32 v7, v71, 16, 1
	s_delay_alu instid0(VALU_DEP_1)
	v_add3_u32 v7, v71, v7, 0x7fff
; %bb.103:
	s_and_not1_saveexec_b32 s3, s3
; %bb.104:
	v_and_b32_e32 v7, 0xffff, v71
	v_or_b32_e32 v8, 0x10000, v71
	s_delay_alu instid0(VALU_DEP_2) | instskip(NEXT) | instid1(VALU_DEP_2)
	v_cmp_eq_u32_e32 vcc_lo, 0, v7
	v_cndmask_b32_e32 v7, v8, v71, vcc_lo
; %bb.105:
	s_or_b32 exec_lo, exec_lo, s3
	v_and_b32_e32 v8, 0x7f800000, v72
	s_delay_alu instid0(VALU_DEP_1) | instskip(SKIP_1) | instid1(SALU_CYCLE_1)
	v_cmp_ne_u32_e32 vcc_lo, 0x7f800000, v8
                                        ; implicit-def: $vgpr8
	s_and_saveexec_b32 s3, vcc_lo
	s_xor_b32 s3, exec_lo, s3
; %bb.106:
	v_bfe_u32 v8, v72, 16, 1
	s_delay_alu instid0(VALU_DEP_1)
	v_add3_u32 v8, v72, v8, 0x7fff
                                        ; implicit-def: $vgpr65_vgpr66_vgpr67_vgpr68_vgpr69_vgpr70_vgpr71_vgpr72
; %bb.107:
	s_and_not1_saveexec_b32 s3, s3
; %bb.108:
	v_and_b32_e32 v8, 0xffff, v72
	v_or_b32_e32 v9, 0x10000, v72
	s_delay_alu instid0(VALU_DEP_2) | instskip(NEXT) | instid1(VALU_DEP_2)
	v_cmp_eq_u32_e32 vcc_lo, 0, v8
	v_cndmask_b32_e32 v8, v9, v72, vcc_lo
; %bb.109:
	s_or_b32 exec_lo, exec_lo, s3
	s_delay_alu instid0(VALU_DEP_1)
	v_perm_b32 v7, v8, v7, 0x7060302
	v_perm_b32 v6, v6, v5, 0x7060302
	;; [unrolled: 1-line block ×4, first 2 shown]
	s_barrier
	buffer_gl0_inv
	v_cmp_eq_u32_e32 vcc_lo, 1, v78
	ds_store_b128 v76, v[4:7]
	s_waitcnt lgkmcnt(0)
	s_barrier
	buffer_gl0_inv
	ds_load_b128 v[1:4], v82
	ds_load_b128 v[5:8], v82 offset:16
	v_cmp_eq_u32_e64 s3, 1, v79
	v_cmp_eq_u32_e64 s4, 2, v78
	;; [unrolled: 1-line block ×5, first 2 shown]
	s_waitcnt lgkmcnt(1)
	v_lshrrev_b32_e32 v9, 16, v1
	s_waitcnt lgkmcnt(0)
	v_lshrrev_b32_e32 v13, 16, v5
	v_lshrrev_b32_e32 v10, 16, v2
	;; [unrolled: 1-line block ×4, first 2 shown]
	v_cndmask_b32_e64 v19, v1, v9, s3
	v_cndmask_b32_e32 v18, v5, v13, vcc_lo
	v_cndmask_b32_e64 v20, v5, v13, s3
	v_cndmask_b32_e32 v17, v1, v9, vcc_lo
	v_cmp_eq_u32_e32 vcc_lo, 2, v79
	v_lshrrev_b32_e32 v15, 16, v7
	v_cmp_eq_u32_e64 s3, 1, v77
	v_lshrrev_b32_e32 v12, 16, v4
	v_lshrrev_b32_e32 v16, 16, v8
	v_cndmask_b32_e32 v20, v20, v6, vcc_lo
	v_cndmask_b32_e64 v17, v17, v2, s4
	v_cndmask_b32_e32 v19, v19, v2, vcc_lo
	v_cndmask_b32_e64 v18, v18, v6, s4
	v_cmp_eq_u32_e32 vcc_lo, 4, v78
	v_cmp_eq_u32_e64 s4, 3, v79
	v_cndmask_b32_e64 v17, v17, v10, s5
	v_cndmask_b32_e64 v21, v1, v9, s3
	;; [unrolled: 1-line block ×5, first 2 shown]
	v_cndmask_b32_e32 v17, v17, v3, vcc_lo
	v_cndmask_b32_e64 v20, v20, v14, s4
	v_cndmask_b32_e32 v18, v18, v7, vcc_lo
	v_cmp_eq_u32_e32 vcc_lo, 4, v79
	v_cmp_eq_u32_e64 s4, 5, v79
	v_cmp_eq_u32_e64 s3, 2, v81
	v_cndmask_b32_e64 v21, v21, v2, s7
	v_cmp_eq_u32_e64 s5, 5, v78
	v_cndmask_b32_e32 v19, v19, v3, vcc_lo
	v_cndmask_b32_e32 v20, v20, v7, vcc_lo
	v_cmp_eq_u32_e32 vcc_lo, 6, v79
	s_delay_alu instid0(VALU_DEP_4) | instskip(NEXT) | instid1(VALU_DEP_4)
	v_cndmask_b32_e64 v17, v17, v11, s5
	v_cndmask_b32_e64 v19, v19, v11, s4
	s_delay_alu instid0(VALU_DEP_4) | instskip(SKIP_1) | instid1(VALU_DEP_3)
	v_cndmask_b32_e64 v20, v20, v15, s4
	v_cmp_eq_u32_e64 s4, 1, v81
	v_cndmask_b32_e32 v19, v19, v4, vcc_lo
	v_cndmask_b32_e64 v18, v18, v15, s5
	s_delay_alu instid0(VALU_DEP_3)
	v_cndmask_b32_e64 v1, v1, v9, s4
	v_cndmask_b32_e64 v5, v5, v13, s4
	v_cmp_eq_u32_e64 s4, 3, v77
	v_cndmask_b32_e64 v13, v22, v6, s7
	v_cmp_eq_u32_e64 s7, 3, v81
	v_cndmask_b32_e64 v1, v1, v2, s3
	v_cndmask_b32_e64 v2, v5, v6, s3
	;; [unrolled: 1-line block ×3, first 2 shown]
	v_cmp_eq_u32_e64 s3, 4, v77
	v_cndmask_b32_e64 v6, v13, v14, s4
	v_cndmask_b32_e64 v1, v1, v10, s7
	v_cmp_eq_u32_e64 s4, 4, v81
	v_cndmask_b32_e64 v2, v2, v14, s7
	v_cndmask_b32_e64 v5, v9, v3, s3
	;; [unrolled: 3-line block ×3, first 2 shown]
	v_cndmask_b32_e64 v2, v2, v7, s4
	v_cmp_eq_u32_e64 s3, 5, v81
	v_cndmask_b32_e64 v5, v5, v11, s7
	v_cndmask_b32_e64 v3, v6, v15, s7
	v_cmp_eq_u32_e64 s7, 6, v81
	v_cmp_eq_u32_e64 s5, 6, v78
	v_cndmask_b32_e64 v1, v1, v11, s3
	v_cndmask_b32_e64 v2, v2, v15, s3
	v_cmp_eq_u32_e64 s4, 6, v77
	v_cmp_eq_u32_e64 s3, 7, v81
	v_cndmask_b32_e64 v17, v17, v4, s5
	v_cndmask_b32_e64 v1, v1, v4, s7
	;; [unrolled: 1-line block ×4, first 2 shown]
	v_cmp_eq_u32_e64 s5, 7, v78
	v_cndmask_b32_e64 v5, v5, v4, s4
	v_cndmask_b32_e64 v3, v3, v8, s4
	v_cmp_eq_u32_e64 s4, 7, v77
	v_cndmask_b32_e32 v4, v20, v8, vcc_lo
	v_cndmask_b32_e64 v1, v1, v12, s3
	v_cndmask_b32_e64 v2, v2, v16, s3
	v_cmp_lt_u32_e32 vcc_lo, 31, v0
	v_cmp_lt_u32_e64 s3, 7, v73
	v_cndmask_b32_e64 v17, v17, v12, s5
	v_cndmask_b32_e64 v19, v19, v12, s6
	;; [unrolled: 1-line block ×6, first 2 shown]
	s_or_b32 s3, vcc_lo, s3
	v_perm_b32 v4, v2, v1, 0x5040100
	v_perm_b32 v3, v3, v5, 0x5040100
	;; [unrolled: 1-line block ×4, first 2 shown]
	s_or_b32 s2, s2, s3
	s_delay_alu instid0(SALU_CYCLE_1)
	s_xor_b32 s2, s2, -1
	ds_store_b128 v76, v[1:4]
	s_waitcnt lgkmcnt(0)
	s_barrier
	buffer_gl0_inv
	s_and_saveexec_b32 s3, s2
	s_cbranch_execz .LBB1758_2
; %bb.110:
	s_load_b64 s[0:1], s[0:1], 0x68
	v_lshlrev_b32_e32 v1, 10, v0
	v_and_b32_e32 v0, 1, v0
	v_lshlrev_b32_e32 v2, 6, v75
	s_lshl_b32 s4, s36, 6
	s_delay_alu instid0(VALU_DEP_3) | instskip(NEXT) | instid1(VALU_DEP_3)
	v_and_b32_e32 v1, 0x3800, v1
	v_lshlrev_b32_e32 v0, 4, v0
	s_mul_i32 s2, s4, s34
	s_delay_alu instid0(SALU_CYCLE_1) | instskip(NEXT) | instid1(VALU_DEP_1)
	s_mul_i32 s2, s2, s37
	v_or3_b32 v0, v1, v2, v0
	s_ashr_i32 s3, s2, 31
	s_delay_alu instid0(SALU_CYCLE_1)
	s_lshl_b64 s[2:3], s[2:3], 1
	ds_load_b128 v[0:3], v0
	s_waitcnt lgkmcnt(0)
	s_add_u32 s5, s0, s2
	s_addc_u32 s3, s1, s3
	s_lshl_b32 s0, s14, 6
	s_mul_i32 s2, s4, s15
	s_ashr_i32 s1, s0, 31
	s_delay_alu instid0(SALU_CYCLE_1) | instskip(NEXT) | instid1(SALU_CYCLE_1)
	s_lshl_b64 s[0:1], s[0:1], 1
	s_add_u32 s4, s5, s0
	s_addc_u32 s5, s3, s1
	s_ashr_i32 s3, s2, 31
	s_delay_alu instid0(SALU_CYCLE_1) | instskip(NEXT) | instid1(SALU_CYCLE_1)
	s_lshl_b64 s[0:1], s[2:3], 1
	s_add_u32 s0, s4, s0
	s_addc_u32 s1, s5, s1
	global_store_b128 v74, v[0:3], s[0:1]
	s_nop 0
	s_sendmsg sendmsg(MSG_DEALLOC_VGPRS)
	s_endpgm
	.section	.rodata,"a",@progbits
	.p2align	6, 0x0
	.amdhsa_kernel _Z39paged_attention_ll4mi_QKV_mfma16_kernelI14__hip_bfloat16hLN4vllm18Fp8KVCacheDataTypeE1EhLi32ELi64ELi256ELb0ELi1EL8MFMAType0EEvPKT_PKT0_S9_ifPKiSB_SB_iPKfiiiPfSE_PS4_PT2_iSD_SD_
		.amdhsa_group_segment_fixed_size 17472
		.amdhsa_private_segment_fixed_size 0
		.amdhsa_kernarg_size 400
		.amdhsa_user_sgpr_count 13
		.amdhsa_user_sgpr_dispatch_ptr 0
		.amdhsa_user_sgpr_queue_ptr 0
		.amdhsa_user_sgpr_kernarg_segment_ptr 1
		.amdhsa_user_sgpr_dispatch_id 0
		.amdhsa_user_sgpr_private_segment_size 0
		.amdhsa_wavefront_size32 1
		.amdhsa_uses_dynamic_stack 0
		.amdhsa_enable_private_segment 0
		.amdhsa_system_sgpr_workgroup_id_x 1
		.amdhsa_system_sgpr_workgroup_id_y 1
		.amdhsa_system_sgpr_workgroup_id_z 1
		.amdhsa_system_sgpr_workgroup_info 0
		.amdhsa_system_vgpr_workitem_id 0
		.amdhsa_next_free_vgpr 131
		.amdhsa_next_free_sgpr 50
		.amdhsa_reserve_vcc 1
		.amdhsa_float_round_mode_32 0
		.amdhsa_float_round_mode_16_64 0
		.amdhsa_float_denorm_mode_32 3
		.amdhsa_float_denorm_mode_16_64 3
		.amdhsa_dx10_clamp 1
		.amdhsa_ieee_mode 1
		.amdhsa_fp16_overflow 0
		.amdhsa_workgroup_processor_mode 1
		.amdhsa_memory_ordered 1
		.amdhsa_forward_progress 0
		.amdhsa_shared_vgpr_count 0
		.amdhsa_exception_fp_ieee_invalid_op 0
		.amdhsa_exception_fp_denorm_src 0
		.amdhsa_exception_fp_ieee_div_zero 0
		.amdhsa_exception_fp_ieee_overflow 0
		.amdhsa_exception_fp_ieee_underflow 0
		.amdhsa_exception_fp_ieee_inexact 0
		.amdhsa_exception_int_div_zero 0
	.end_amdhsa_kernel
	.section	.text._Z39paged_attention_ll4mi_QKV_mfma16_kernelI14__hip_bfloat16hLN4vllm18Fp8KVCacheDataTypeE1EhLi32ELi64ELi256ELb0ELi1EL8MFMAType0EEvPKT_PKT0_S9_ifPKiSB_SB_iPKfiiiPfSE_PS4_PT2_iSD_SD_,"axG",@progbits,_Z39paged_attention_ll4mi_QKV_mfma16_kernelI14__hip_bfloat16hLN4vllm18Fp8KVCacheDataTypeE1EhLi32ELi64ELi256ELb0ELi1EL8MFMAType0EEvPKT_PKT0_S9_ifPKiSB_SB_iPKfiiiPfSE_PS4_PT2_iSD_SD_,comdat
.Lfunc_end1758:
	.size	_Z39paged_attention_ll4mi_QKV_mfma16_kernelI14__hip_bfloat16hLN4vllm18Fp8KVCacheDataTypeE1EhLi32ELi64ELi256ELb0ELi1EL8MFMAType0EEvPKT_PKT0_S9_ifPKiSB_SB_iPKfiiiPfSE_PS4_PT2_iSD_SD_, .Lfunc_end1758-_Z39paged_attention_ll4mi_QKV_mfma16_kernelI14__hip_bfloat16hLN4vllm18Fp8KVCacheDataTypeE1EhLi32ELi64ELi256ELb0ELi1EL8MFMAType0EEvPKT_PKT0_S9_ifPKiSB_SB_iPKfiiiPfSE_PS4_PT2_iSD_SD_
                                        ; -- End function
	.section	.AMDGPU.csdata,"",@progbits
; Kernel info:
; codeLenInByte = 8428
; NumSgprs: 52
; NumVgprs: 131
; ScratchSize: 0
; MemoryBound: 1
; FloatMode: 240
; IeeeMode: 1
; LDSByteSize: 17472 bytes/workgroup (compile time only)
; SGPRBlocks: 6
; VGPRBlocks: 16
; NumSGPRsForWavesPerEU: 52
; NumVGPRsForWavesPerEU: 131
; Occupancy: 10
; WaveLimiterHint : 1
; COMPUTE_PGM_RSRC2:SCRATCH_EN: 0
; COMPUTE_PGM_RSRC2:USER_SGPR: 13
; COMPUTE_PGM_RSRC2:TRAP_HANDLER: 0
; COMPUTE_PGM_RSRC2:TGID_X_EN: 1
; COMPUTE_PGM_RSRC2:TGID_Y_EN: 1
; COMPUTE_PGM_RSRC2:TGID_Z_EN: 1
; COMPUTE_PGM_RSRC2:TIDIG_COMP_CNT: 0
	.section	.text._Z39paged_attention_ll4mi_QKV_mfma16_kernelI14__hip_bfloat16hLN4vllm18Fp8KVCacheDataTypeE1EhLi32ELi64ELi256ELb0ELi2EL8MFMAType0EEvPKT_PKT0_S9_ifPKiSB_SB_iPKfiiiPfSE_PS4_PT2_iSD_SD_,"axG",@progbits,_Z39paged_attention_ll4mi_QKV_mfma16_kernelI14__hip_bfloat16hLN4vllm18Fp8KVCacheDataTypeE1EhLi32ELi64ELi256ELb0ELi2EL8MFMAType0EEvPKT_PKT0_S9_ifPKiSB_SB_iPKfiiiPfSE_PS4_PT2_iSD_SD_,comdat
	.protected	_Z39paged_attention_ll4mi_QKV_mfma16_kernelI14__hip_bfloat16hLN4vllm18Fp8KVCacheDataTypeE1EhLi32ELi64ELi256ELb0ELi2EL8MFMAType0EEvPKT_PKT0_S9_ifPKiSB_SB_iPKfiiiPfSE_PS4_PT2_iSD_SD_ ; -- Begin function _Z39paged_attention_ll4mi_QKV_mfma16_kernelI14__hip_bfloat16hLN4vllm18Fp8KVCacheDataTypeE1EhLi32ELi64ELi256ELb0ELi2EL8MFMAType0EEvPKT_PKT0_S9_ifPKiSB_SB_iPKfiiiPfSE_PS4_PT2_iSD_SD_
	.globl	_Z39paged_attention_ll4mi_QKV_mfma16_kernelI14__hip_bfloat16hLN4vllm18Fp8KVCacheDataTypeE1EhLi32ELi64ELi256ELb0ELi2EL8MFMAType0EEvPKT_PKT0_S9_ifPKiSB_SB_iPKfiiiPfSE_PS4_PT2_iSD_SD_
	.p2align	8
	.type	_Z39paged_attention_ll4mi_QKV_mfma16_kernelI14__hip_bfloat16hLN4vllm18Fp8KVCacheDataTypeE1EhLi32ELi64ELi256ELb0ELi2EL8MFMAType0EEvPKT_PKT0_S9_ifPKiSB_SB_iPKfiiiPfSE_PS4_PT2_iSD_SD_,@function
_Z39paged_attention_ll4mi_QKV_mfma16_kernelI14__hip_bfloat16hLN4vllm18Fp8KVCacheDataTypeE1EhLi32ELi64ELi256ELb0ELi2EL8MFMAType0EEvPKT_PKT0_S9_ifPKiSB_SB_iPKfiiiPfSE_PS4_PT2_iSD_SD_: ; @_Z39paged_attention_ll4mi_QKV_mfma16_kernelI14__hip_bfloat16hLN4vllm18Fp8KVCacheDataTypeE1EhLi32ELi64ELi256ELb0ELi2EL8MFMAType0EEvPKT_PKT0_S9_ifPKiSB_SB_iPKfiiiPfSE_PS4_PT2_iSD_SD_
; %bb.0:
	s_load_b64 s[2:3], s[0:1], 0x30
	s_mov_b32 s30, s13
	s_waitcnt lgkmcnt(0)
	s_cmp_lg_u64 s[2:3], 0
	s_cselect_b32 s8, -1, 0
	s_ashr_i32 s31, s13, 31
	s_cmp_eq_u64 s[2:3], 0
	s_cbranch_scc1 .LBB1759_3
; %bb.1:
	s_lshl_b64 s[4:5], s[30:31], 2
	s_delay_alu instid0(SALU_CYCLE_1) | instskip(SKIP_4) | instid1(SALU_CYCLE_1)
	s_add_u32 s4, s2, s4
	s_addc_u32 s5, s3, s5
	s_load_b64 s[4:5], s[4:5], 0x0
	s_waitcnt lgkmcnt(0)
	s_sub_i32 s4, s5, s4
	s_cmp_eq_u32 s4, 1
	s_cselect_b32 s4, -1, 0
	s_delay_alu instid0(SALU_CYCLE_1)
	s_and_not1_b32 vcc_lo, exec_lo, s4
	s_cbranch_vccz .LBB1759_4
.LBB1759_2:
	s_endpgm
.LBB1759_3:
.LBB1759_4:
	s_load_b64 s[4:5], s[0:1], 0x28
	s_lshl_b64 s[6:7], s[30:31], 2
	s_waitcnt lgkmcnt(0)
	s_add_u32 s4, s4, s6
	s_addc_u32 s5, s5, s7
	s_lshl_b32 s12, s14, 8
	s_load_b32 s24, s[4:5], 0x0
	s_waitcnt lgkmcnt(0)
	s_cmp_ge_i32 s12, s24
	s_cbranch_scc1 .LBB1759_2
; %bb.5:
	s_clause 0x1
	s_load_b128 s[20:23], s[0:1], 0x8
	s_load_b64 s[4:5], s[0:1], 0x20
	s_and_not1_b32 vcc_lo, exec_lo, s8
	s_cbranch_vccnz .LBB1759_7
; %bb.6:
	s_add_u32 s2, s2, s6
	s_addc_u32 s3, s3, s7
	s_load_b32 s3, s[2:3], 0x0
	s_branch .LBB1759_8
.LBB1759_7:
	s_mov_b32 s3, s30
.LBB1759_8:
	s_load_b128 s[16:19], s[0:1], 0x48
	v_and_b32_e32 v66, 15, v0
	v_bfe_u32 v65, v0, 4, 1
	s_lshl_b32 s31, s15, 1
	v_cmp_gt_u32_e32 vcc_lo, 32, v0
	v_and_b32_e32 v68, 31, v0
	v_lshlrev_b32_e32 v1, 3, v66
	v_cmp_gt_u32_e64 s2, 8, v66
	v_and_b32_e32 v76, 1, v0
	v_or_b32_e32 v75, s31, v65
	v_lshlrev_b32_e32 v74, 6, v65
	v_lshlrev_b32_e32 v73, 1, v1
	s_and_b32 s29, vcc_lo, s2
	s_delay_alu instid0(SALU_CYCLE_1)
	s_and_saveexec_b32 s2, s29
	s_cbranch_execz .LBB1759_10
; %bb.9:
	s_load_b64 s[6:7], s[0:1], 0x0
	v_lshlrev_b32_e32 v1, 6, v75
	s_waitcnt lgkmcnt(0)
	s_mul_hi_i32 s9, s3, s16
	s_mul_i32 s8, s3, s16
	v_lshlrev_b32_e32 v5, 10, v66
	s_lshl_b64 s[8:9], s[8:9], 1
	v_ashrrev_i32_e32 v2, 31, v1
	v_lshlrev_b32_e32 v6, 10, v76
	s_delay_alu instid0(VALU_DEP_3) | instskip(NEXT) | instid1(VALU_DEP_3)
	v_and_b32_e32 v5, 0x3800, v5
	v_lshlrev_b64 v[1:2], 1, v[1:2]
	s_delay_alu instid0(VALU_DEP_2) | instskip(SKIP_2) | instid1(VALU_DEP_2)
	v_or3_b32 v5, v5, v6, v74
	s_add_u32 s3, s6, s8
	s_addc_u32 s6, s7, s9
	v_add_co_u32 v1, vcc_lo, s3, v1
	s_delay_alu instid0(VALU_DEP_3) | instskip(NEXT) | instid1(VALU_DEP_2)
	v_add_co_ci_u32_e32 v2, vcc_lo, s6, v2, vcc_lo
	v_add_co_u32 v1, vcc_lo, v1, v73
	s_delay_alu instid0(VALU_DEP_2)
	v_add_co_ci_u32_e32 v2, vcc_lo, 0, v2, vcc_lo
	global_load_b128 v[1:4], v[1:2], off
	s_waitcnt vmcnt(0)
	ds_store_b128 v5, v[1:4]
.LBB1759_10:
	s_or_b32 exec_lo, exec_lo, s2
	v_and_b32_e32 v1, 0xef, v0
	s_add_i32 s2, s24, 31
	s_waitcnt lgkmcnt(0)
	s_clause 0x1
	s_load_b32 s3, s[0:1], 0x38
	s_load_b32 s19, s[0:1], 0x1c
	s_ashr_i32 s6, s2, 31
	v_add_nc_u32_e32 v1, s12, v1
	s_lshr_b32 s6, s6, 27
	s_waitcnt lgkmcnt(0)
	s_add_i32 s2, s2, s6
	s_barrier
	v_ashrrev_i32_e32 v2, 31, v1
	v_or_b32_e32 v3, 16, v1
	s_ashr_i32 s2, s2, 5
	v_cmp_gt_i32_e32 vcc_lo, s24, v1
	s_add_i32 s2, s2, -1
	v_lshrrev_b32_e32 v2, 27, v2
	buffer_gl0_inv
	s_mul_i32 s27, s15, s18
	v_lshrrev_b32_e32 v67, 5, v0
	v_add_nc_u32_e32 v4, v1, v2
	s_mul_i32 s6, s30, s3
	s_delay_alu instid0(SALU_CYCLE_1) | instskip(NEXT) | instid1(VALU_DEP_1)
	s_ashr_i32 s7, s6, 31
	v_ashrrev_i32_e32 v4, 5, v4
	v_add_nc_u32_e32 v2, v3, v2
	s_lshl_b64 s[6:7], s[6:7], 2
	s_delay_alu instid0(SALU_CYCLE_1) | instskip(NEXT) | instid1(VALU_DEP_2)
	s_add_u32 s26, s4, s6
	v_cndmask_b32_e32 v1, s2, v4, vcc_lo
	s_delay_alu instid0(VALU_DEP_2)
	v_ashrrev_i32_e32 v2, 5, v2
	v_cmp_gt_i32_e32 vcc_lo, s24, v3
	s_addc_u32 s25, s5, s7
	s_ashr_i32 s28, s27, 31
	s_add_u32 s4, s20, s27
	s_addc_u32 s5, s21, s28
	v_cndmask_b32_e32 v3, s2, v2, vcc_lo
	v_ashrrev_i32_e32 v2, 31, v1
	s_lshl_b32 s6, s14, 3
	s_delay_alu instid0(SALU_CYCLE_1) | instskip(NEXT) | instid1(VALU_DEP_2)
	s_ashr_i32 s7, s6, 31
	v_ashrrev_i32_e32 v4, 31, v3
	s_delay_alu instid0(VALU_DEP_2) | instskip(SKIP_1) | instid1(SALU_CYCLE_1)
	v_lshlrev_b64 v[1:2], 2, v[1:2]
	s_lshl_b64 s[6:7], s[6:7], 2
	s_add_u32 s6, s26, s6
	s_delay_alu instid0(VALU_DEP_2) | instskip(SKIP_1) | instid1(VALU_DEP_2)
	v_lshlrev_b64 v[3:4], 2, v[3:4]
	s_addc_u32 s7, s25, s7
	v_add_co_u32 v1, vcc_lo, s26, v1
	v_add_co_ci_u32_e32 v2, vcc_lo, s25, v2, vcc_lo
	s_delay_alu instid0(VALU_DEP_3) | instskip(NEXT) | instid1(VALU_DEP_4)
	v_add_co_u32 v3, vcc_lo, s26, v3
	v_add_co_ci_u32_e32 v4, vcc_lo, s25, v4, vcc_lo
	s_clause 0x1
	global_load_b32 v5, v[1:2], off
	global_load_b32 v6, v[3:4], off
	s_or_b32 s3, s12, 32
	s_delay_alu instid0(SALU_CYCLE_1) | instskip(SKIP_2) | instid1(SALU_CYCLE_1)
	s_ashr_i32 s8, s3, 5
	s_cmp_lt_i32 s3, s24
	s_cselect_b32 s8, s8, s2
	s_ashr_i32 s9, s8, 31
	s_delay_alu instid0(SALU_CYCLE_1) | instskip(NEXT) | instid1(SALU_CYCLE_1)
	s_lshl_b64 s[8:9], s[8:9], 2
	s_add_u32 s8, s26, s8
	s_addc_u32 s9, s25, s9
	s_or_b32 s3, s12, 64
	s_delay_alu instid0(SALU_CYCLE_1) | instskip(SKIP_2) | instid1(SALU_CYCLE_1)
	s_ashr_i32 s10, s3, 5
	s_cmp_lt_i32 s3, s24
	s_cselect_b32 s10, s10, s2
	s_ashr_i32 s11, s10, 31
	s_delay_alu instid0(SALU_CYCLE_1) | instskip(NEXT) | instid1(SALU_CYCLE_1)
	s_lshl_b64 s[10:11], s[10:11], 2
	s_add_u32 s10, s26, s10
	s_addc_u32 s11, s25, s11
	;; [unrolled: 10-line block ×5, first 2 shown]
	s_clause 0x5
	s_load_b32 s20, s[6:7], 0x0
	s_load_b32 s3, s[8:9], 0x0
	;; [unrolled: 1-line block ×6, first 2 shown]
	s_or_b32 s6, s12, 0xc0
	s_delay_alu instid0(SALU_CYCLE_1) | instskip(SKIP_2) | instid1(SALU_CYCLE_1)
	s_ashr_i32 s7, s6, 5
	s_cmp_lt_i32 s6, s24
	s_cselect_b32 s10, s7, s2
	s_ashr_i32 s11, s10, 31
	s_delay_alu instid0(SALU_CYCLE_1) | instskip(NEXT) | instid1(SALU_CYCLE_1)
	s_lshl_b64 s[10:11], s[10:11], 2
	s_add_u32 s34, s26, s10
	s_addc_u32 s35, s25, s11
	s_or_b32 s11, s12, 0xe0
	s_delay_alu instid0(SALU_CYCLE_1) | instskip(SKIP_2) | instid1(SALU_CYCLE_1)
	s_ashr_i32 s21, s11, 5
	s_cmp_lt_i32 s11, s24
	s_cselect_b32 s36, s21, s2
	s_ashr_i32 s37, s36, 31
	s_waitcnt vmcnt(1)
	v_mad_i64_i32 v[1:2], null, v5, s17, s[4:5]
	s_waitcnt vmcnt(0)
	v_mad_i64_i32 v[3:4], null, v6, s17, s[4:5]
	s_mov_b32 s4, 0
	s_delay_alu instid0(SALU_CYCLE_1)
	s_mov_b32 s5, s4
	s_mov_b32 s6, s4
	s_mov_b32 s7, s4
	s_mov_b32 s8, s4
	s_mov_b32 s9, s4
	s_mov_b32 s10, s4
	s_mov_b32 s11, s4
	s_delay_alu instid0(SALU_CYCLE_1) | instskip(SKIP_2) | instid1(VALU_DEP_3)
	v_dual_mov_b32 v108, s11 :: v_dual_lshlrev_b32 v5, 4, v66
	v_dual_mov_b32 v104, s7 :: v_dual_lshlrev_b32 v71, 6, v76
	v_mov_b32_e32 v102, s5
	v_add_co_u32 v1, vcc_lo, v1, v5
	v_add_co_ci_u32_e32 v2, vcc_lo, 0, v2, vcc_lo
	v_add_co_u32 v3, vcc_lo, v3, v5
	v_add_co_ci_u32_e32 v4, vcc_lo, 0, v4, vcc_lo
	s_clause 0x7
	global_load_b128 v[49:52], v[1:2], off
	global_load_b128 v[53:56], v[1:2], off offset:512
	global_load_b128 v[77:80], v[3:4], off offset:256
	;; [unrolled: 1-line block ×7, first 2 shown]
	v_lshlrev_b32_e32 v1, 5, v66
	v_dual_mov_b32 v107, s10 :: v_dual_mov_b32 v106, s9
	v_mov_b32_e32 v105, s8
	v_mov_b32_e32 v103, s6
	;; [unrolled: 1-line block ×3, first 2 shown]
	s_lshl_b64 s[4:5], s[36:37], 2
	v_lshl_or_b32 v1, v67, 9, v1
	s_add_u32 s4, s26, s4
	s_addc_u32 s5, s25, s5
	s_load_b32 s2, s[34:35], 0x0
	ds_load_b128 v[109:112], v71
	ds_load_b128 v[113:116], v71 offset:1024
	s_load_b32 s4, s[4:5], 0x0
	s_add_u32 s6, s22, s27
	s_addc_u32 s7, s23, s28
	v_add_co_u32 v9, s6, s6, v1
	s_delay_alu instid0(VALU_DEP_1) | instskip(SKIP_1) | instid1(VALU_DEP_1)
	v_add_co_ci_u32_e64 v10, null, s7, 0, s6
	s_waitcnt lgkmcnt(0)
	v_mad_i64_i32 v[1:2], null, s20, s17, v[9:10]
	v_mad_i64_i32 v[3:4], null, s3, s17, v[9:10]
	v_mad_i64_i32 v[5:6], null, s13, s17, v[9:10]
	v_mad_i64_i32 v[7:8], null, s15, s17, v[9:10]
	v_mad_i64_i32 v[13:14], null, s18, s17, v[9:10]
	v_mad_i64_i32 v[11:12], null, s16, s17, v[9:10]
	v_mad_i64_i32 v[21:22], null, s2, s17, v[9:10]
	s_clause 0x9
	global_load_b128 v[57:60], v[1:2], off
	global_load_b128 v[61:64], v[1:2], off offset:16
	global_load_b128 v[41:44], v[3:4], off
	global_load_b128 v[45:48], v[3:4], off offset:16
	;; [unrolled: 2-line block ×5, first 2 shown]
	v_mad_i64_i32 v[69:70], null, s4, s17, v[9:10]
	s_clause 0x3
	global_load_b128 v[9:12], v[13:14], off
	global_load_b128 v[13:16], v[13:14], off offset:16
	global_load_b128 v[17:20], v[21:22], off
	global_load_b128 v[21:24], v[21:22], off offset:16
	s_waitcnt vmcnt(20)
	v_wmma_f32_16x16x16_bf16 v[117:124], v[49:56], v[109:116], v[101:108]
	s_clause 0x1
	global_load_b128 v[49:52], v[69:70], off
	global_load_b128 v[53:56], v[69:70], off offset:16
	s_waitcnt vmcnt(20)
	v_wmma_f32_16x16x16_bf16 v[101:108], v[77:84], v[109:116], v[101:108]
	ds_load_b128 v[77:80], v71 offset:2048
	ds_load_b128 v[81:84], v71 offset:3072
	v_mbcnt_lo_u32_b32 v70, -1, 0
	s_waitcnt vmcnt(0) lgkmcnt(0)
	s_barrier
	buffer_gl0_inv
	v_xor_b32_e32 v71, 16, v70
	s_delay_alu instid0(VALU_DEP_1) | instskip(SKIP_4) | instid1(VALU_DEP_2)
	v_cmp_gt_i32_e32 vcc_lo, 32, v71
	v_cndmask_b32_e32 v70, v70, v71, vcc_lo
	v_wmma_f32_16x16x16_bf16 v[117:124], v[85:92], v[77:84], v[117:124]
	v_and_b32_e32 v69, 0xe0, v0
	v_wmma_f32_16x16x16_bf16 v[101:108], v[93:100], v[77:84], v[101:108]
	v_dual_mul_f32 v94, s19, v118 :: v_dual_add_nc_u32 v69, s12, v69
	s_delay_alu instid0(VALU_DEP_2) | instskip(SKIP_1) | instid1(VALU_DEP_3)
	v_dual_mul_f32 v96, s19, v108 :: v_dual_mul_f32 v95, s19, v117
	v_dual_mul_f32 v84, s19, v120 :: v_dual_mul_f32 v93, s19, v119
	v_or_b32_e32 v69, v69, v65
	v_dual_mul_f32 v82, s19, v122 :: v_dual_mul_f32 v83, s19, v121
	v_mul_f32_e32 v100, s19, v104
	v_mul_f32_e32 v80, s19, v124
	s_delay_alu instid0(VALU_DEP_4)
	v_or_b32_e32 v71, 2, v69
	v_or_b32_e32 v72, 4, v69
	;; [unrolled: 1-line block ×3, first 2 shown]
	v_cmp_gt_i32_e64 s2, s24, v69
	v_or_b32_e32 v110, 8, v69
	v_cmp_gt_i32_e32 vcc_lo, s24, v71
	v_or_b32_e32 v85, 10, v69
	v_cmp_gt_i32_e64 s3, s24, v72
	v_cndmask_b32_e64 v95, 0xff7fffff, v95, s2
	v_cmp_gt_i32_e64 s4, s24, v109
	v_cndmask_b32_e32 v94, 0xff7fffff, v94, vcc_lo
	v_or_b32_e32 v86, 12, v69
	v_or_b32_e32 v87, 14, v69
	v_mul_f32_e32 v72, s19, v101
	v_cndmask_b32_e64 v93, 0xff7fffff, v93, s3
	v_cndmask_b32_e64 v84, 0xff7fffff, v84, s4
	v_max3_f32 v94, v95, 0xff7fffff, v94
	v_cmp_gt_i32_e64 s5, s24, v110
	v_cmp_gt_i32_e64 s6, s24, v85
	v_or_b32_e32 v88, 16, v69
	v_or_b32_e32 v89, 18, v69
	v_dual_mul_f32 v81, s19, v123 :: v_dual_mul_f32 v98, s19, v106
	v_cndmask_b32_e64 v83, 0xff7fffff, v83, s5
	v_cndmask_b32_e64 v82, 0xff7fffff, v82, s6
	v_max3_f32 v84, v94, v93, v84
	v_cmp_gt_i32_e64 s7, s24, v86
	v_cmp_gt_i32_e64 s8, s24, v87
	v_or_b32_e32 v90, 20, v69
	v_or_b32_e32 v91, 22, v69
	;; [unrolled: 1-line block ×6, first 2 shown]
	v_mul_f32_e32 v69, s19, v102
	v_cndmask_b32_e64 v81, 0xff7fffff, v81, s7
	v_cndmask_b32_e64 v80, 0xff7fffff, v80, s8
	v_max3_f32 v82, v84, v83, v82
	v_cmp_gt_i32_e64 s9, s24, v88
	v_cmp_gt_i32_e64 s10, s24, v89
	v_mul_f32_e32 v71, s19, v103
	v_cmp_gt_i32_e64 s11, s24, v90
	v_max3_f32 v80, v82, v81, v80
	v_cndmask_b32_e64 v72, 0xff7fffff, v72, s9
	v_cndmask_b32_e64 v69, 0xff7fffff, v69, s10
	v_cmp_gt_i32_e64 s12, s24, v91
	v_mul_f32_e32 v99, s19, v105
	v_cndmask_b32_e64 v71, 0xff7fffff, v71, s11
	v_cmp_gt_i32_e64 s13, s24, v92
	v_max3_f32 v69, v80, v72, v69
	v_cndmask_b32_e64 v81, 0xff7fffff, v100, s12
	v_cmp_gt_i32_e64 s15, s24, v77
	v_mul_f32_e32 v97, s19, v107
	v_cndmask_b32_e64 v72, 0xff7fffff, v99, s13
	v_cmp_gt_i32_e64 s16, s24, v78
	v_max3_f32 v69, v69, v71, v81
	v_cndmask_b32_e64 v77, 0xff7fffff, v98, s15
	v_cmp_gt_i32_e64 s17, s24, v79
	v_lshlrev_b32_e32 v91, 2, v70
	v_cndmask_b32_e64 v71, 0xff7fffff, v97, s16
	s_delay_alu instid0(VALU_DEP_4) | instskip(NEXT) | instid1(VALU_DEP_4)
	v_max3_f32 v69, v69, v72, v77
	v_cndmask_b32_e64 v78, 0xff7fffff, v96, s17
	s_delay_alu instid0(VALU_DEP_1) | instskip(SKIP_3) | instid1(VALU_DEP_1)
	v_max3_f32 v69, v69, v71, v78
	ds_bpermute_b32 v70, v91, v69
	s_waitcnt lgkmcnt(0)
	v_max_f32_e32 v70, v70, v70
	v_max_f32_e32 v69, v69, v70
	s_delay_alu instid0(VALU_DEP_1)
	v_fma_f32 v70, s19, v117, -v69
	v_fma_f32 v71, s19, v118, -v69
	;; [unrolled: 1-line block ×5, first 2 shown]
	v_mul_f32_e32 v70, 0x3fb8aa3b, v70
	s_delay_alu instid0(VALU_DEP_3) | instskip(NEXT) | instid1(VALU_DEP_3)
	v_dual_mul_f32 v72, 0x3fb8aa3b, v72 :: v_dual_mul_f32 v77, 0x3fb8aa3b, v77
	v_mul_f32_e32 v78, 0x3fb8aa3b, v78
	s_delay_alu instid0(VALU_DEP_3) | instskip(NEXT) | instid1(VALU_DEP_2)
	v_exp_f32_e32 v70, v70
	v_exp_f32_e32 v72, v72
	s_delay_alu instid0(VALU_DEP_2) | instskip(NEXT) | instid1(VALU_DEP_1)
	v_exp_f32_e32 v79, v77
	v_exp_f32_e32 v78, v78
	v_cndmask_b32_e64 v81, 0, v70, s2
	v_fma_f32 v70, s19, v122, -v69
	v_mul_f32_e32 v71, 0x3fb8aa3b, v71
	s_delay_alu instid0(TRANS32_DEP_3)
	v_cndmask_b32_e64 v85, 0, v72, s3
	s_waitcnt_depctr 0xfff
	v_cndmask_b32_e64 v87, 0, v79, s4
	v_cndmask_b32_e64 v88, 0, v78, s5
	v_mul_f32_e32 v70, 0x3fb8aa3b, v70
	v_exp_f32_e32 v71, v71
	s_mov_b32 s2, exec_lo
	s_delay_alu instid0(VALU_DEP_1) | instskip(SKIP_4) | instid1(VALU_DEP_2)
	v_exp_f32_e32 v70, v70
	s_waitcnt_depctr 0xfff
	v_cndmask_b32_e32 v77, 0, v71, vcc_lo
	v_add_f32_e32 v71, 0, v81
	v_cndmask_b32_e64 v89, 0, v70, s6
	v_add_f32_e32 v71, v71, v77
	s_delay_alu instid0(VALU_DEP_1) | instskip(NEXT) | instid1(VALU_DEP_1)
	v_add_f32_e32 v71, v71, v85
	v_add_f32_e32 v71, v71, v87
	s_delay_alu instid0(VALU_DEP_1) | instskip(NEXT) | instid1(VALU_DEP_1)
	v_add_f32_e32 v70, v71, v88
	v_add_f32_e32 v70, v70, v89
	v_fma_f32 v72, s19, v124, -v69
	v_fma_f32 v71, s19, v103, -v69
	;; [unrolled: 1-line block ×5, first 2 shown]
	s_delay_alu instid0(VALU_DEP_4) | instskip(NEXT) | instid1(VALU_DEP_4)
	v_dual_mul_f32 v72, 0x3fb8aa3b, v72 :: v_dual_mul_f32 v71, 0x3fb8aa3b, v71
	v_mul_f32_e32 v80, 0x3fb8aa3b, v80
	v_fma_f32 v83, s19, v106, -v69
	s_delay_alu instid0(VALU_DEP_4) | instskip(NEXT) | instid1(VALU_DEP_4)
	v_mul_f32_e32 v78, 0x3fb8aa3b, v78
	v_exp_f32_e32 v72, v72
	v_exp_f32_e32 v82, v71
	;; [unrolled: 1-line block ×3, first 2 shown]
	s_delay_alu instid0(VALU_DEP_1)
	v_exp_f32_e32 v78, v78
	v_cndmask_b32_e64 v90, 0, v72, s8
	v_fma_f32 v72, s19, v105, -v69
	s_waitcnt_depctr 0xfff
	v_cndmask_b32_e64 v86, 0, v80, s7
	v_fma_f32 v80, s19, v104, -v69
	v_mul_f32_e32 v72, 0x3fb8aa3b, v72
	s_delay_alu instid0(VALU_DEP_3) | instskip(NEXT) | instid1(VALU_DEP_3)
	v_add_f32_e32 v70, v70, v86
	v_mul_f32_e32 v80, 0x3fb8aa3b, v80
	s_delay_alu instid0(VALU_DEP_3) | instskip(SKIP_2) | instid1(VALU_DEP_3)
	v_exp_f32_e32 v84, v72
	v_cndmask_b32_e64 v72, 0, v82, s11
	v_mul_f32_e32 v79, 0x3fb8aa3b, v79
	v_exp_f32_e32 v80, v80
	s_delay_alu instid0(VALU_DEP_1) | instskip(SKIP_4) | instid1(VALU_DEP_2)
	v_exp_f32_e32 v79, v79
	s_waitcnt_depctr 0xfff
	v_cndmask_b32_e64 v71, 0, v79, s9
	v_add_f32_e32 v79, v70, v90
	v_cndmask_b32_e64 v70, 0, v78, s10
	v_add_f32_e32 v78, v79, v71
	v_fma_f32 v79, s19, v107, -v69
	s_delay_alu instid0(VALU_DEP_2) | instskip(SKIP_1) | instid1(VALU_DEP_2)
	v_add_f32_e32 v82, v78, v70
	v_cndmask_b32_e64 v78, 0, v80, s12
	v_dual_mul_f32 v79, 0x3fb8aa3b, v79 :: v_dual_add_f32 v80, v82, v72
	v_fma_f32 v82, s19, v108, -v69
	v_mul_f32_e32 v83, 0x3fb8aa3b, v83
	s_delay_alu instid0(VALU_DEP_3)
	v_exp_f32_e32 v92, v79
	v_cndmask_b32_e64 v79, 0, v84, s13
	v_add_f32_e32 v84, v80, v78
	v_mul_f32_e32 v82, 0x3fb8aa3b, v82
	v_exp_f32_e32 v83, v83
	s_waitcnt_depctr 0xfff
	v_cndmask_b32_e64 v80, 0, v83, s15
	v_add_f32_e32 v83, v84, v79
	v_exp_f32_e32 v84, v82
	v_cndmask_b32_e64 v82, 0, v92, s16
	s_delay_alu instid0(VALU_DEP_2) | instskip(NEXT) | instid1(VALU_DEP_1)
	v_add_f32_e32 v83, v83, v80
	v_add_f32_e32 v92, v83, v82
	s_waitcnt_depctr 0xfff
	v_cndmask_b32_e64 v83, 0, v84, s17
	s_delay_alu instid0(VALU_DEP_1)
	v_add_f32_e32 v84, v92, v83
	ds_bpermute_b32 v91, v91, v84
	v_cmpx_gt_u32_e32 16, v68
	s_cbranch_execz .LBB1759_12
; %bb.11:
	v_mul_u32_u24_e32 v68, 0x44, v67
	s_waitcnt lgkmcnt(0)
	v_add_f32_e32 v84, v84, v91
	s_delay_alu instid0(VALU_DEP_2) | instskip(NEXT) | instid1(VALU_DEP_1)
	v_lshl_add_u32 v68, v66, 2, v68
	v_add_nc_u32_e32 v68, 0x4000, v68
	ds_store_2addr_b32 v68, v69, v84 offset1:136
.LBB1759_12:
	s_or_b32 exec_lo, exec_lo, s2
	v_lshlrev_b32_e32 v68, 2, v66
	s_waitcnt lgkmcnt(0)
	s_barrier
	buffer_gl0_inv
	v_cmp_eq_u32_e32 vcc_lo, 1, v67
	v_add_nc_u32_e32 v84, 0x4000, v68
	v_cmp_eq_u32_e64 s2, 2, v67
	v_cmp_eq_u32_e64 s4, 7, v67
	ds_load_2addr_b32 v[91:92], v84 offset1:17
	ds_load_2addr_b32 v[93:94], v84 offset0:34 offset1:51
	ds_load_2addr_b32 v[95:96], v84 offset0:68 offset1:85
	;; [unrolled: 1-line block ×4, first 2 shown]
	s_waitcnt lgkmcnt(4)
	v_max3_f32 v68, v91, 0xff7fffff, v92
	s_waitcnt lgkmcnt(3)
	s_delay_alu instid0(VALU_DEP_1) | instskip(SKIP_1) | instid1(VALU_DEP_1)
	v_max3_f32 v68, v68, v93, v94
	s_waitcnt lgkmcnt(2)
	v_max3_f32 v68, v68, v95, v96
	s_waitcnt lgkmcnt(1)
	s_delay_alu instid0(VALU_DEP_1) | instskip(NEXT) | instid1(VALU_DEP_1)
	v_max3_f32 v68, v68, v97, v98
	v_sub_f32_e32 v69, v91, v68
	v_sub_f32_e32 v93, v93, v68
	;; [unrolled: 1-line block ×3, first 2 shown]
	s_delay_alu instid0(VALU_DEP_3) | instskip(NEXT) | instid1(VALU_DEP_3)
	v_mul_f32_e32 v69, 0x3fb8aa3b, v69
	v_mul_f32_e32 v103, 0x3fb8aa3b, v93
	s_delay_alu instid0(VALU_DEP_3) | instskip(NEXT) | instid1(VALU_DEP_3)
	v_mul_f32_e32 v105, 0x3fb8aa3b, v95
	v_exp_f32_e32 v102, v69
	v_sub_f32_e32 v69, v94, v68
	v_sub_f32_e32 v101, v92, v68
	ds_load_2addr_b32 v[91:92], v84 offset0:170 offset1:187
	v_exp_f32_e32 v103, v103
	v_mul_f32_e32 v104, 0x3fb8aa3b, v69
	v_mul_f32_e32 v101, 0x3fb8aa3b, v101
	s_waitcnt lgkmcnt(1)
	v_fma_f32 v69, v102, v99, 0
	v_sub_f32_e32 v99, v96, v68
	s_delay_alu instid0(VALU_DEP_3) | instskip(SKIP_4) | instid1(VALU_DEP_1)
	v_exp_f32_e32 v101, v101
	v_exp_f32_e32 v104, v104
	s_waitcnt_depctr 0xfff
	v_fmac_f32_e32 v69, v101, v100
	s_waitcnt lgkmcnt(0)
	v_fmac_f32_e32 v69, v103, v91
	ds_load_2addr_b32 v[93:94], v84 offset0:204 offset1:221
	ds_load_2addr_b32 v[95:96], v84 offset0:238 offset1:255
	v_dual_sub_f32 v84, v97, v68 :: v_dual_mul_f32 v97, 0x3fb8aa3b, v99
	v_exp_f32_e32 v99, v105
	v_sub_f32_e32 v91, v98, v68
	v_fmac_f32_e32 v69, v104, v92
	s_delay_alu instid0(VALU_DEP_3)
	v_mul_f32_e32 v84, 0x3fb8aa3b, v84
	v_exp_f32_e32 v97, v97
	s_waitcnt lgkmcnt(0)
	v_mul_f32_e32 v91, 0x3fb8aa3b, v91
	s_barrier
	v_exp_f32_e32 v84, v84
	buffer_gl0_inv
	v_exp_f32_e32 v91, v91
	v_fmac_f32_e32 v69, v99, v93
	s_delay_alu instid0(VALU_DEP_1) | instskip(NEXT) | instid1(VALU_DEP_1)
	v_fmac_f32_e32 v69, v97, v94
	v_fmac_f32_e32 v69, v84, v95
	s_waitcnt_depctr 0xfff
	v_fmac_f32_e32 v69, v91, v96
	s_delay_alu instid0(VALU_DEP_1) | instskip(NEXT) | instid1(VALU_DEP_1)
	v_add_f32_e32 v92, 0x358637bd, v69
	v_div_scale_f32 v93, null, v92, v92, 1.0
	v_div_scale_f32 v96, s3, 1.0, v92, 1.0
	s_delay_alu instid0(VALU_DEP_2) | instskip(SKIP_2) | instid1(VALU_DEP_1)
	v_rcp_f32_e32 v94, v93
	s_waitcnt_depctr 0xfff
	v_fma_f32 v95, -v93, v94, 1.0
	v_dual_fmac_f32 v94, v95, v94 :: v_dual_cndmask_b32 v95, v102, v101
	v_cmp_eq_u32_e32 vcc_lo, 3, v67
	s_delay_alu instid0(VALU_DEP_2) | instskip(NEXT) | instid1(VALU_DEP_3)
	v_mul_f32_e32 v98, v96, v94
	v_cndmask_b32_e64 v95, v95, v103, s2
	v_cmp_eq_u32_e64 s2, 4, v67
	s_delay_alu instid0(VALU_DEP_3) | instskip(NEXT) | instid1(VALU_DEP_3)
	v_fma_f32 v100, -v93, v98, v96
	v_cndmask_b32_e32 v95, v95, v104, vcc_lo
	v_cmp_eq_u32_e32 vcc_lo, 5, v67
	s_delay_alu instid0(VALU_DEP_3) | instskip(NEXT) | instid1(VALU_DEP_3)
	v_fmac_f32_e32 v98, v100, v94
	v_cndmask_b32_e64 v95, v95, v99, s2
	v_cmp_eq_u32_e64 s2, 6, v67
	s_delay_alu instid0(VALU_DEP_3) | instskip(NEXT) | instid1(VALU_DEP_3)
	v_fma_f32 v93, -v93, v98, v96
	v_cndmask_b32_e32 v95, v95, v97, vcc_lo
	s_mov_b32 vcc_lo, s3
	s_delay_alu instid0(VALU_DEP_2) | instskip(NEXT) | instid1(VALU_DEP_2)
	v_div_fmas_f32 v93, v93, v94, v98
	v_cndmask_b32_e64 v84, v95, v84, s2
	s_mov_b32 s2, exec_lo
	s_delay_alu instid0(VALU_DEP_2) | instskip(NEXT) | instid1(VALU_DEP_2)
	v_div_fixup_f32 v92, v93, v92, 1.0
	v_cndmask_b32_e64 v84, v84, v91, s4
	s_delay_alu instid0(VALU_DEP_1) | instskip(NEXT) | instid1(VALU_DEP_1)
	v_mul_f32_e32 v84, v84, v92
	v_mul_f32_e32 v92, v84, v81
	;; [unrolled: 1-line block ×6, first 2 shown]
	v_and_b32_e32 v93, 0x7f800000, v92
	v_mul_f32_e32 v91, v84, v87
	v_mul_f32_e32 v88, v84, v85
	;; [unrolled: 1-line block ×3, first 2 shown]
                                        ; implicit-def: $vgpr77
	s_delay_alu instid0(VALU_DEP_4)
	v_cmpx_ne_u32_e32 0x7f800000, v93
	s_xor_b32 s2, exec_lo, s2
; %bb.13:
	v_bfe_u32 v77, v92, 16, 1
	s_delay_alu instid0(VALU_DEP_1)
	v_add3_u32 v77, v92, v77, 0x7fff
                                        ; implicit-def: $vgpr92
; %bb.14:
	s_and_not1_saveexec_b32 s2, s2
; %bb.15:
	v_and_b32_e32 v77, 0xffff, v92
	v_or_b32_e32 v85, 0x10000, v92
	s_delay_alu instid0(VALU_DEP_2) | instskip(NEXT) | instid1(VALU_DEP_2)
	v_cmp_eq_u32_e32 vcc_lo, 0, v77
	v_cndmask_b32_e32 v77, v85, v92, vcc_lo
; %bb.16:
	s_or_b32 exec_lo, exec_lo, s2
	v_and_b32_e32 v85, 0x7f800000, v87
	s_delay_alu instid0(VALU_DEP_1) | instskip(SKIP_1) | instid1(SALU_CYCLE_1)
	v_cmp_ne_u32_e32 vcc_lo, 0x7f800000, v85
                                        ; implicit-def: $vgpr85
	s_and_saveexec_b32 s2, vcc_lo
	s_xor_b32 s2, exec_lo, s2
; %bb.17:
	v_bfe_u32 v85, v87, 16, 1
	s_delay_alu instid0(VALU_DEP_1)
	v_add3_u32 v85, v87, v85, 0x7fff
                                        ; implicit-def: $vgpr87
; %bb.18:
	s_and_not1_saveexec_b32 s2, s2
; %bb.19:
	v_and_b32_e32 v85, 0xffff, v87
	v_or_b32_e32 v92, 0x10000, v87
	s_delay_alu instid0(VALU_DEP_2) | instskip(NEXT) | instid1(VALU_DEP_2)
	v_cmp_eq_u32_e32 vcc_lo, 0, v85
	v_cndmask_b32_e32 v85, v92, v87, vcc_lo
; %bb.20:
	s_or_b32 exec_lo, exec_lo, s2
	v_and_b32_e32 v87, 0x7f800000, v88
	s_delay_alu instid0(VALU_DEP_1) | instskip(SKIP_1) | instid1(SALU_CYCLE_1)
	v_cmp_ne_u32_e32 vcc_lo, 0x7f800000, v87
                                        ; implicit-def: $vgpr87
	s_and_saveexec_b32 s2, vcc_lo
	s_xor_b32 s2, exec_lo, s2
; %bb.21:
	v_bfe_u32 v87, v88, 16, 1
	s_delay_alu instid0(VALU_DEP_1)
	v_add3_u32 v87, v88, v87, 0x7fff
                                        ; implicit-def: $vgpr88
; %bb.22:
	s_and_not1_saveexec_b32 s2, s2
; %bb.23:
	v_and_b32_e32 v87, 0xffff, v88
	v_or_b32_e32 v92, 0x10000, v88
	s_delay_alu instid0(VALU_DEP_2) | instskip(NEXT) | instid1(VALU_DEP_2)
	v_cmp_eq_u32_e32 vcc_lo, 0, v87
	v_cndmask_b32_e32 v87, v92, v88, vcc_lo
; %bb.24:
	s_or_b32 exec_lo, exec_lo, s2
	v_and_b32_e32 v88, 0x7f800000, v91
	s_delay_alu instid0(VALU_DEP_1) | instskip(SKIP_1) | instid1(SALU_CYCLE_1)
	v_cmp_ne_u32_e32 vcc_lo, 0x7f800000, v88
                                        ; implicit-def: $vgpr88
	s_and_saveexec_b32 s2, vcc_lo
	s_xor_b32 s2, exec_lo, s2
; %bb.25:
	v_bfe_u32 v88, v91, 16, 1
	s_delay_alu instid0(VALU_DEP_1)
	v_add3_u32 v88, v91, v88, 0x7fff
                                        ; implicit-def: $vgpr91
; %bb.26:
	s_and_not1_saveexec_b32 s2, s2
; %bb.27:
	v_and_b32_e32 v88, 0xffff, v91
	v_or_b32_e32 v92, 0x10000, v91
	s_delay_alu instid0(VALU_DEP_2) | instskip(NEXT) | instid1(VALU_DEP_2)
	v_cmp_eq_u32_e32 vcc_lo, 0, v88
	v_cndmask_b32_e32 v88, v92, v91, vcc_lo
; %bb.28:
	s_or_b32 exec_lo, exec_lo, s2
	v_and_b32_e32 v91, 0x7f800000, v90
	s_delay_alu instid0(VALU_DEP_1) | instskip(SKIP_1) | instid1(SALU_CYCLE_1)
	v_cmp_ne_u32_e32 vcc_lo, 0x7f800000, v91
                                        ; implicit-def: $vgpr91
	s_and_saveexec_b32 s2, vcc_lo
	s_xor_b32 s2, exec_lo, s2
; %bb.29:
	v_bfe_u32 v91, v90, 16, 1
	s_delay_alu instid0(VALU_DEP_1)
	v_add3_u32 v91, v90, v91, 0x7fff
                                        ; implicit-def: $vgpr90
; %bb.30:
	s_and_not1_saveexec_b32 s2, s2
; %bb.31:
	v_and_b32_e32 v91, 0xffff, v90
	v_or_b32_e32 v92, 0x10000, v90
	s_delay_alu instid0(VALU_DEP_2) | instskip(NEXT) | instid1(VALU_DEP_2)
	v_cmp_eq_u32_e32 vcc_lo, 0, v91
	v_cndmask_b32_e32 v91, v92, v90, vcc_lo
; %bb.32:
	s_or_b32 exec_lo, exec_lo, s2
	v_and_b32_e32 v90, 0x7f800000, v89
	s_delay_alu instid0(VALU_DEP_1) | instskip(SKIP_1) | instid1(SALU_CYCLE_1)
	v_cmp_ne_u32_e32 vcc_lo, 0x7f800000, v90
                                        ; implicit-def: $vgpr90
	s_and_saveexec_b32 s2, vcc_lo
	s_xor_b32 s2, exec_lo, s2
; %bb.33:
	v_bfe_u32 v90, v89, 16, 1
	s_delay_alu instid0(VALU_DEP_1)
	v_add3_u32 v90, v89, v90, 0x7fff
                                        ; implicit-def: $vgpr89
; %bb.34:
	s_and_not1_saveexec_b32 s2, s2
; %bb.35:
	v_and_b32_e32 v90, 0xffff, v89
	v_or_b32_e32 v92, 0x10000, v89
	s_delay_alu instid0(VALU_DEP_2) | instskip(NEXT) | instid1(VALU_DEP_2)
	v_cmp_eq_u32_e32 vcc_lo, 0, v90
	v_cndmask_b32_e32 v90, v92, v89, vcc_lo
; %bb.36:
	s_or_b32 exec_lo, exec_lo, s2
	v_and_b32_e32 v89, 0x7f800000, v86
	s_delay_alu instid0(VALU_DEP_1) | instskip(SKIP_1) | instid1(SALU_CYCLE_1)
	v_cmp_ne_u32_e32 vcc_lo, 0x7f800000, v89
                                        ; implicit-def: $vgpr89
	s_and_saveexec_b32 s2, vcc_lo
	s_xor_b32 s2, exec_lo, s2
; %bb.37:
	v_bfe_u32 v89, v86, 16, 1
	s_delay_alu instid0(VALU_DEP_1)
	v_add3_u32 v89, v86, v89, 0x7fff
                                        ; implicit-def: $vgpr86
; %bb.38:
	s_and_not1_saveexec_b32 s2, s2
; %bb.39:
	v_and_b32_e32 v89, 0xffff, v86
	v_or_b32_e32 v92, 0x10000, v86
	s_delay_alu instid0(VALU_DEP_2) | instskip(NEXT) | instid1(VALU_DEP_2)
	v_cmp_eq_u32_e32 vcc_lo, 0, v89
	v_cndmask_b32_e32 v89, v92, v86, vcc_lo
; %bb.40:
	s_or_b32 exec_lo, exec_lo, s2
	v_and_b32_e32 v86, 0x7f800000, v81
	s_delay_alu instid0(VALU_DEP_1) | instskip(SKIP_1) | instid1(SALU_CYCLE_1)
	v_cmp_ne_u32_e32 vcc_lo, 0x7f800000, v86
                                        ; implicit-def: $vgpr86
	s_and_saveexec_b32 s2, vcc_lo
	s_xor_b32 s2, exec_lo, s2
; %bb.41:
	v_bfe_u32 v86, v81, 16, 1
	s_delay_alu instid0(VALU_DEP_1)
	v_add3_u32 v86, v81, v86, 0x7fff
                                        ; implicit-def: $vgpr81
; %bb.42:
	s_and_not1_saveexec_b32 s2, s2
; %bb.43:
	v_and_b32_e32 v86, 0xffff, v81
	v_or_b32_e32 v92, 0x10000, v81
	s_delay_alu instid0(VALU_DEP_2) | instskip(NEXT) | instid1(VALU_DEP_2)
	v_cmp_eq_u32_e32 vcc_lo, 0, v86
	v_cndmask_b32_e32 v86, v92, v81, vcc_lo
; %bb.44:
	s_or_b32 exec_lo, exec_lo, s2
	s_load_b64 s[34:35], s[0:1], 0x94
	v_lshlrev_b32_e32 v93, 4, v65
	s_delay_alu instid0(VALU_DEP_2)
	v_perm_b32 v92, v86, v89, 0x7060302
	v_dual_mul_f32 v80, v84, v80 :: v_dual_lshlrev_b32 v81, 6, v66
	v_lshlrev_b32_e32 v66, 11, v67
	v_perm_b32 v89, v85, v77, 0x7060302
	v_mul_f32_e32 v85, v84, v71
	v_mul_f32_e32 v71, v84, v82
	v_perm_b32 v91, v90, v91, 0x7060302
	v_perm_b32 v90, v88, v87, 0x7060302
	v_or3_b32 v77, v93, v66, v81
	v_mul_f32_e32 v66, v84, v83
	v_dual_mul_f32 v79, v84, v79 :: v_dual_and_b32 v86, 0x7f800000, v85
	v_mul_f32_e32 v83, v84, v78
	v_mul_f32_e32 v82, v84, v72
	;; [unrolled: 1-line block ×3, first 2 shown]
	s_mov_b32 s2, exec_lo
	ds_store_b128 v77, v[89:92]
                                        ; implicit-def: $vgpr70
	v_cmpx_ne_u32_e32 0x7f800000, v86
	s_xor_b32 s2, exec_lo, s2
; %bb.45:
	v_bfe_u32 v70, v85, 16, 1
	s_delay_alu instid0(VALU_DEP_1)
	v_add3_u32 v70, v85, v70, 0x7fff
                                        ; implicit-def: $vgpr85
; %bb.46:
	s_and_not1_saveexec_b32 s2, s2
; %bb.47:
	v_and_b32_e32 v70, 0xffff, v85
	v_or_b32_e32 v72, 0x10000, v85
	s_delay_alu instid0(VALU_DEP_2) | instskip(NEXT) | instid1(VALU_DEP_2)
	v_cmp_eq_u32_e32 vcc_lo, 0, v70
	v_cndmask_b32_e32 v70, v72, v85, vcc_lo
; %bb.48:
	s_or_b32 exec_lo, exec_lo, s2
	v_and_b32_e32 v72, 0x7f800000, v78
	s_delay_alu instid0(VALU_DEP_1) | instskip(SKIP_1) | instid1(SALU_CYCLE_1)
	v_cmp_ne_u32_e32 vcc_lo, 0x7f800000, v72
                                        ; implicit-def: $vgpr72
	s_and_saveexec_b32 s2, vcc_lo
	s_xor_b32 s2, exec_lo, s2
; %bb.49:
	v_bfe_u32 v72, v78, 16, 1
	s_delay_alu instid0(VALU_DEP_1)
	v_add3_u32 v72, v78, v72, 0x7fff
                                        ; implicit-def: $vgpr78
; %bb.50:
	s_and_not1_saveexec_b32 s2, s2
; %bb.51:
	v_and_b32_e32 v72, 0xffff, v78
	v_or_b32_e32 v84, 0x10000, v78
	s_delay_alu instid0(VALU_DEP_2) | instskip(NEXT) | instid1(VALU_DEP_2)
	v_cmp_eq_u32_e32 vcc_lo, 0, v72
	v_cndmask_b32_e32 v72, v84, v78, vcc_lo
; %bb.52:
	s_or_b32 exec_lo, exec_lo, s2
	v_and_b32_e32 v78, 0x7f800000, v82
	s_delay_alu instid0(VALU_DEP_1) | instskip(SKIP_1) | instid1(SALU_CYCLE_1)
	v_cmp_ne_u32_e32 vcc_lo, 0x7f800000, v78
                                        ; implicit-def: $vgpr78
	s_and_saveexec_b32 s2, vcc_lo
	s_xor_b32 s2, exec_lo, s2
; %bb.53:
	v_bfe_u32 v78, v82, 16, 1
	s_delay_alu instid0(VALU_DEP_1)
	v_add3_u32 v78, v82, v78, 0x7fff
                                        ; implicit-def: $vgpr82
; %bb.54:
	s_and_not1_saveexec_b32 s2, s2
; %bb.55:
	v_and_b32_e32 v78, 0xffff, v82
	v_or_b32_e32 v84, 0x10000, v82
	s_delay_alu instid0(VALU_DEP_2) | instskip(NEXT) | instid1(VALU_DEP_2)
	v_cmp_eq_u32_e32 vcc_lo, 0, v78
	v_cndmask_b32_e32 v78, v84, v82, vcc_lo
; %bb.56:
	s_or_b32 exec_lo, exec_lo, s2
	v_and_b32_e32 v82, 0x7f800000, v83
	s_delay_alu instid0(VALU_DEP_1) | instskip(SKIP_1) | instid1(SALU_CYCLE_1)
	v_cmp_ne_u32_e32 vcc_lo, 0x7f800000, v82
                                        ; implicit-def: $vgpr82
	s_and_saveexec_b32 s2, vcc_lo
	s_xor_b32 s2, exec_lo, s2
; %bb.57:
	v_bfe_u32 v82, v83, 16, 1
	s_delay_alu instid0(VALU_DEP_1)
	v_add3_u32 v82, v83, v82, 0x7fff
                                        ; implicit-def: $vgpr83
; %bb.58:
	s_and_not1_saveexec_b32 s2, s2
; %bb.59:
	v_and_b32_e32 v82, 0xffff, v83
	v_or_b32_e32 v84, 0x10000, v83
	s_delay_alu instid0(VALU_DEP_2) | instskip(NEXT) | instid1(VALU_DEP_2)
	v_cmp_eq_u32_e32 vcc_lo, 0, v82
	v_cndmask_b32_e32 v82, v84, v83, vcc_lo
; %bb.60:
	s_or_b32 exec_lo, exec_lo, s2
	v_and_b32_e32 v83, 0x7f800000, v79
	s_delay_alu instid0(VALU_DEP_1) | instskip(SKIP_1) | instid1(SALU_CYCLE_1)
	v_cmp_ne_u32_e32 vcc_lo, 0x7f800000, v83
                                        ; implicit-def: $vgpr83
	s_and_saveexec_b32 s2, vcc_lo
	s_xor_b32 s2, exec_lo, s2
; %bb.61:
	v_bfe_u32 v83, v79, 16, 1
	s_delay_alu instid0(VALU_DEP_1)
	v_add3_u32 v83, v79, v83, 0x7fff
                                        ; implicit-def: $vgpr79
; %bb.62:
	s_and_not1_saveexec_b32 s2, s2
; %bb.63:
	v_and_b32_e32 v83, 0xffff, v79
	v_or_b32_e32 v84, 0x10000, v79
	s_delay_alu instid0(VALU_DEP_2) | instskip(NEXT) | instid1(VALU_DEP_2)
	v_cmp_eq_u32_e32 vcc_lo, 0, v83
	v_cndmask_b32_e32 v83, v84, v79, vcc_lo
; %bb.64:
	s_or_b32 exec_lo, exec_lo, s2
	v_and_b32_e32 v79, 0x7f800000, v80
	s_delay_alu instid0(VALU_DEP_1) | instskip(SKIP_1) | instid1(SALU_CYCLE_1)
	v_cmp_ne_u32_e32 vcc_lo, 0x7f800000, v79
                                        ; implicit-def: $vgpr79
	s_and_saveexec_b32 s2, vcc_lo
	s_xor_b32 s2, exec_lo, s2
; %bb.65:
	v_bfe_u32 v79, v80, 16, 1
	s_delay_alu instid0(VALU_DEP_1)
	v_add3_u32 v79, v80, v79, 0x7fff
                                        ; implicit-def: $vgpr80
; %bb.66:
	s_and_not1_saveexec_b32 s2, s2
; %bb.67:
	v_and_b32_e32 v79, 0xffff, v80
	v_or_b32_e32 v84, 0x10000, v80
	s_delay_alu instid0(VALU_DEP_2) | instskip(NEXT) | instid1(VALU_DEP_2)
	v_cmp_eq_u32_e32 vcc_lo, 0, v79
	v_cndmask_b32_e32 v79, v84, v80, vcc_lo
; %bb.68:
	s_or_b32 exec_lo, exec_lo, s2
	v_and_b32_e32 v80, 0x7f800000, v71
	s_delay_alu instid0(VALU_DEP_1) | instskip(SKIP_1) | instid1(SALU_CYCLE_1)
	v_cmp_ne_u32_e32 vcc_lo, 0x7f800000, v80
                                        ; implicit-def: $vgpr80
	s_and_saveexec_b32 s2, vcc_lo
	s_xor_b32 s2, exec_lo, s2
; %bb.69:
	v_bfe_u32 v80, v71, 16, 1
	s_delay_alu instid0(VALU_DEP_1)
	v_add3_u32 v80, v71, v80, 0x7fff
                                        ; implicit-def: $vgpr71
; %bb.70:
	s_and_not1_saveexec_b32 s2, s2
; %bb.71:
	v_and_b32_e32 v80, 0xffff, v71
	v_or_b32_e32 v84, 0x10000, v71
	s_delay_alu instid0(VALU_DEP_2) | instskip(NEXT) | instid1(VALU_DEP_2)
	v_cmp_eq_u32_e32 vcc_lo, 0, v80
	v_cndmask_b32_e32 v80, v84, v71, vcc_lo
; %bb.72:
	s_or_b32 exec_lo, exec_lo, s2
	v_and_b32_e32 v71, 0x7f800000, v66
	s_delay_alu instid0(VALU_DEP_1) | instskip(SKIP_1) | instid1(SALU_CYCLE_1)
	v_cmp_ne_u32_e32 vcc_lo, 0x7f800000, v71
                                        ; implicit-def: $vgpr71
	s_and_saveexec_b32 s2, vcc_lo
	s_xor_b32 s2, exec_lo, s2
; %bb.73:
	v_bfe_u32 v71, v66, 16, 1
	s_delay_alu instid0(VALU_DEP_1)
	v_add3_u32 v71, v66, v71, 0x7fff
                                        ; implicit-def: $vgpr66
; %bb.74:
	s_and_not1_saveexec_b32 s2, s2
; %bb.75:
	v_and_b32_e32 v71, 0xffff, v66
	v_or_b32_e32 v84, 0x10000, v66
	s_delay_alu instid0(VALU_DEP_2) | instskip(NEXT) | instid1(VALU_DEP_2)
	v_cmp_eq_u32_e32 vcc_lo, 0, v71
	v_cndmask_b32_e32 v71, v84, v66, vcc_lo
; %bb.76:
	s_or_b32 exec_lo, exec_lo, s2
	s_delay_alu instid0(VALU_DEP_1)
	v_perm_b32 v87, v71, v80, 0x7060302
	v_perm_b32 v86, v79, v83, 0x7060302
	;; [unrolled: 1-line block ×4, first 2 shown]
	v_lshl_or_b32 v83, v67, 11, v81
	ds_store_b128 v77, v[84:87] offset:1024
	s_waitcnt lgkmcnt(0)
	s_barrier
	buffer_gl0_inv
	ds_load_b128 v[84:87], v83
	ds_load_b128 v[88:91], v83 offset:16
	s_waitcnt lgkmcnt(1)
	v_lshrrev_b32_e32 v70, 16, v87
	s_waitcnt lgkmcnt(0)
	v_lshrrev_b32_e32 v71, 16, v88
	v_lshlrev_b32_e32 v79, 2, v65
	v_lshrrev_b32_e32 v65, 16, v84
	v_lshrrev_b32_e32 v66, 16, v85
	;; [unrolled: 1-line block ×4, first 2 shown]
	v_cmp_eq_u32_e32 vcc_lo, 1, v79
	v_lshrrev_b32_e32 v100, 16, v90
	v_lshrrev_b32_e32 v101, 16, v91
	v_cndmask_b32_e32 v92, v88, v71, vcc_lo
	v_or_b32_e32 v80, 1, v79
	v_cndmask_b32_e32 v82, v84, v65, vcc_lo
	v_cmp_eq_u32_e64 s3, 2, v79
	v_cmp_eq_u32_e64 s6, 3, v79
	;; [unrolled: 1-line block ×5, first 2 shown]
	v_cndmask_b32_e64 v82, v82, v85, s3
	v_cndmask_b32_e64 v92, v92, v89, s3
	v_cmp_eq_u32_e64 s7, 3, v80
	v_cndmask_b32_e64 v93, v84, v65, s2
	v_or_b32_e32 v78, 2, v79
	v_cndmask_b32_e64 v82, v82, v66, s6
	v_cndmask_b32_e64 v92, v92, v72, s6
	v_cndmask_b32_e64 v94, v88, v71, s2
	v_cndmask_b32_e64 v93, v93, v85, s5
	v_cmp_eq_u32_e64 s9, 5, v79
	v_cndmask_b32_e64 v82, v82, v86, s8
	v_cndmask_b32_e64 v92, v92, v90, s8
	v_cmp_eq_u32_e64 s10, 4, v80
	v_cndmask_b32_e64 v93, v93, v66, s7
	v_cmp_eq_u32_e64 s4, 1, v78
	v_cndmask_b32_e64 v94, v94, v89, s5
	v_cndmask_b32_e64 v82, v82, v67, s9
	v_cmp_eq_u32_e64 s11, 6, v79
	v_cndmask_b32_e64 v93, v93, v86, s10
	;; [unrolled: 3-line block ×3, first 2 shown]
	v_cndmask_b32_e64 v94, v94, v72, s7
	v_cndmask_b32_e64 v82, v82, v87, s11
	v_cmp_eq_u32_e64 s13, 7, v79
	v_cndmask_b32_e64 v93, v93, v67, s12
	v_cndmask_b32_e64 v92, v92, v91, s11
	v_cmp_eq_u32_e64 s15, 6, v80
	v_cmp_eq_u32_e64 s16, 2, v78
	v_cndmask_b32_e64 v94, v94, v90, s10
	v_cndmask_b32_e64 v102, v82, v70, s13
	;; [unrolled: 1-line block ×6, first 2 shown]
	v_cmp_eq_u32_e64 s17, 7, v80
	v_cmp_eq_u32_e64 s18, 3, v78
	;; [unrolled: 1-line block ×4, first 2 shown]
	v_cndmask_b32_e64 v92, v92, v89, s16
	v_cndmask_b32_e64 v104, v93, v70, s17
	v_cndmask_b32_e64 v93, v94, v100, s12
	v_cndmask_b32_e64 v94, v82, v66, s18
	v_or_b32_e32 v82, 3, v79
	v_cndmask_b32_e64 v97, v92, v72, s18
	v_cmp_eq_u32_e64 s23, 6, v78
	v_cndmask_b32_e64 v105, v93, v91, s15
	v_cndmask_b32_e64 v96, v94, v86, s19
	v_cmp_eq_u32_e64 s20, 1, v82
	ds_load_b128 v[92:95], v83 offset:1024
	v_cmp_eq_u32_e64 s22, 2, v82
	v_cmp_eq_u32_e64 s24, 3, v82
	v_cndmask_b32_e64 v106, v96, v67, s21
	v_cndmask_b32_e64 v65, v84, v65, s20
	;; [unrolled: 1-line block ×3, first 2 shown]
	ds_load_b128 v[96:99], v83 offset:1040
	v_cndmask_b32_e64 v71, v88, v71, s20
	v_cmp_eq_u32_e64 s25, 4, v82
	v_cndmask_b32_e64 v65, v65, v85, s22
	v_cmp_eq_u32_e64 s27, 5, v82
	v_cmp_eq_u32_e64 s28, 6, v82
	v_cndmask_b32_e64 v71, v71, v89, s22
	v_cndmask_b32_e64 v84, v84, v100, s21
	;; [unrolled: 1-line block ×4, first 2 shown]
	v_cmp_eq_u32_e64 s26, 7, v78
	v_cndmask_b32_e64 v71, v71, v72, s24
	v_cndmask_b32_e64 v84, v84, v91, s23
	;; [unrolled: 1-line block ×3, first 2 shown]
	s_waitcnt lgkmcnt(1)
	v_lshrrev_b32_e32 v72, 16, v92
	v_lshrrev_b32_e32 v88, 16, v93
	v_cndmask_b32_e64 v71, v71, v90, s25
	v_cndmask_b32_e64 v66, v66, v70, s26
	;; [unrolled: 1-line block ×6, first 2 shown]
	s_waitcnt lgkmcnt(0)
	v_lshrrev_b32_e32 v71, 16, v96
	v_cndmask_b32_e64 v65, v65, v87, s28
	v_cndmask_b32_e64 v87, v89, v93, s5
	v_lshrrev_b32_e32 v100, 16, v98
	v_cndmask_b32_e64 v67, v67, v91, s28
	v_cndmask_b32_e32 v86, v92, v72, vcc_lo
	v_cndmask_b32_e32 v90, v96, v71, vcc_lo
	v_cmp_eq_u32_e32 vcc_lo, 7, v82
	v_cndmask_b32_e64 v87, v87, v88, s7
	v_lshrrev_b32_e32 v91, 16, v94
	v_cndmask_b32_e64 v85, v105, v101, s17
	v_cndmask_b32_e64 v89, v90, v97, s3
	v_cndmask_b32_e32 v67, v67, v101, vcc_lo
	v_cndmask_b32_e64 v86, v86, v93, s3
	v_lshrrev_b32_e32 v90, 16, v97
	v_cndmask_b32_e32 v65, v65, v70, vcc_lo
	v_cndmask_b32_e64 v70, v87, v94, s10
	v_cndmask_b32_e64 v101, v96, v71, s4
	;; [unrolled: 1-line block ×4, first 2 shown]
	v_perm_b32 v87, v67, v65, 0x5040100
	v_cndmask_b32_e64 v65, v70, v91, s12
	v_lshrrev_b32_e32 v70, 16, v95
	v_cndmask_b32_e64 v86, v86, v94, s8
	v_cndmask_b32_e64 v89, v89, v98, s8
	v_perm_b32 v85, v85, v104, 0x5040100
	v_cndmask_b32_e64 v65, v65, v95, s15
	s_delay_alu instid0(VALU_DEP_4) | instskip(NEXT) | instid1(VALU_DEP_4)
	v_cndmask_b32_e64 v86, v86, v91, s9
	v_cndmask_b32_e64 v89, v89, v100, s9
	s_delay_alu instid0(VALU_DEP_3) | instskip(NEXT) | instid1(VALU_DEP_3)
	v_cndmask_b32_e64 v65, v65, v70, s17
	v_cndmask_b32_e64 v67, v86, v95, s11
	v_perm_b32 v86, v84, v66, 0x5040100
	v_lshrrev_b32_e32 v84, 16, v99
	s_delay_alu instid0(VALU_DEP_3)
	v_cndmask_b32_e64 v66, v67, v70, s13
	v_cndmask_b32_e64 v67, v89, v99, s11
	v_cndmask_b32_e64 v89, v92, v72, s4
	v_cndmask_b32_e64 v72, v92, v72, s20
	v_cndmask_b32_e64 v92, v96, v71, s20
	v_cndmask_b32_e64 v71, v96, v71, s2
	v_cndmask_b32_e64 v67, v67, v84, s13
	v_cndmask_b32_e64 v89, v89, v93, s16
	v_cndmask_b32_e64 v72, v72, v93, s22
	v_cndmask_b32_e64 v92, v92, v97, s22
	v_cndmask_b32_e64 v93, v101, v97, s16
	v_cndmask_b32_e64 v71, v71, v97, s5
	v_cndmask_b32_e64 v89, v89, v88, s18
	v_cndmask_b32_e64 v72, v72, v88, s24
	v_cndmask_b32_e64 v88, v92, v90, s24
	v_cndmask_b32_e64 v92, v93, v90, s18
	v_cndmask_b32_e64 v71, v71, v90, s7
	v_cndmask_b32_e64 v89, v89, v94, s19
	v_cndmask_b32_e64 v72, v72, v94, s25
	v_cndmask_b32_e64 v88, v88, v98, s25
	v_cndmask_b32_e64 v90, v92, v98, s19
	v_cndmask_b32_e64 v71, v71, v98, s10
	v_cndmask_b32_e64 v89, v89, v91, s21
	v_cndmask_b32_e64 v72, v72, v91, s27
	v_cndmask_b32_e64 v88, v88, v100, s27
	v_cndmask_b32_e64 v90, v90, v100, s21
	v_cndmask_b32_e64 v71, v71, v100, s12
	v_cndmask_b32_e64 v89, v89, v95, s23
	v_cndmask_b32_e64 v72, v72, v95, s28
	v_cndmask_b32_e64 v88, v88, v99, s28
	v_cndmask_b32_e64 v90, v90, v99, s23
	v_cndmask_b32_e64 v71, v71, v99, s15
	v_cndmask_b32_e64 v89, v89, v70, s26
	v_cndmask_b32_e32 v70, v72, v70, vcc_lo
	v_cndmask_b32_e32 v72, v88, v84, vcc_lo
	v_cndmask_b32_e64 v88, v90, v84, s26
	v_cndmask_b32_e64 v71, v71, v84, s17
	v_perm_b32 v84, v103, v102, 0x5040100
	s_lshl_b32 s7, s35, 1
	v_perm_b32 v91, v72, v70, 0x5040100
	v_perm_b32 v90, v88, v89, 0x5040100
	;; [unrolled: 1-line block ×4, first 2 shown]
	s_mov_b32 s2, exec_lo
	ds_store_b128 v77, v[84:87]
	ds_store_b128 v77, v[88:91] offset:1024
	v_cmpx_gt_u32_e32 2, v0
	s_cbranch_execz .LBB1759_78
; %bb.77:
	v_or_b32_e32 v65, s31, v0
	s_load_b128 s[8:11], s[0:1], 0x58
	s_delay_alu instid0(VALU_DEP_1) | instskip(NEXT) | instid1(VALU_DEP_1)
	v_mad_u64_u32 v[66:67], null, s7, s30, v[65:66]
	v_mad_u64_u32 v[70:71], null, v66, s34, s[14:15]
	s_delay_alu instid0(VALU_DEP_1) | instskip(NEXT) | instid1(VALU_DEP_1)
	v_ashrrev_i32_e32 v71, 31, v70
	v_lshlrev_b64 v[65:66], 2, v[70:71]
	s_waitcnt lgkmcnt(0)
	s_delay_alu instid0(VALU_DEP_1) | instskip(NEXT) | instid1(VALU_DEP_2)
	v_add_co_u32 v70, vcc_lo, s10, v65
	v_add_co_ci_u32_e32 v71, vcc_lo, s11, v66, vcc_lo
	v_add_co_u32 v65, vcc_lo, s8, v65
	v_add_co_ci_u32_e32 v66, vcc_lo, s9, v66, vcc_lo
	global_store_b32 v[70:71], v68, off
	global_store_b32 v[65:66], v69, off
.LBB1759_78:
	s_or_b32 exec_lo, exec_lo, s2
	s_waitcnt lgkmcnt(0)
	s_waitcnt_vscnt null, 0x0
	s_barrier
	buffer_gl0_inv
	ds_load_b128 v[84:87], v81
	ds_load_b128 v[88:91], v81 offset:16
	ds_load_b128 v[96:99], v81 offset:2064
	ds_load_b128 v[92:95], v81 offset:2048
	v_mov_b32_e32 v65, 0
	ds_load_b128 v[104:107], v81 offset:4112
	ds_load_b128 v[100:103], v81 offset:4096
	;; [unrolled: 1-line block ×4, first 2 shown]
	v_mov_b32_e32 v66, v65
	v_mov_b32_e32 v67, v65
	;; [unrolled: 1-line block ×7, first 2 shown]
	s_waitcnt lgkmcnt(6)
	s_delay_alu instid0(VALU_DEP_1)
	v_wmma_f32_16x16x16_bf16 v[65:72], v[57:64], v[84:91], v[65:72]
	ds_load_b128 v[61:64], v81 offset:8208
	ds_load_b128 v[57:60], v81 offset:8192
	s_waitcnt lgkmcnt(6)
	v_wmma_f32_16x16x16_bf16 v[65:72], v[41:48], v[92:99], v[65:72]
	ds_load_b128 v[45:48], v81 offset:10256
	ds_load_b128 v[41:44], v81 offset:10240
	s_waitcnt lgkmcnt(6)
	;; [unrolled: 4-line block ×4, first 2 shown]
	v_wmma_f32_16x16x16_bf16 v[65:72], v[1:8], v[57:64], v[65:72]
	s_waitcnt lgkmcnt(4)
	s_delay_alu instid0(VALU_DEP_1) | instskip(SKIP_1) | instid1(VALU_DEP_1)
	v_wmma_f32_16x16x16_bf16 v[65:72], v[9:16], v[41:48], v[65:72]
	s_waitcnt lgkmcnt(2)
	v_wmma_f32_16x16x16_bf16 v[65:72], v[17:24], v[33:40], v[65:72]
	s_waitcnt lgkmcnt(0)
	s_delay_alu instid0(VALU_DEP_1) | instskip(NEXT) | instid1(VALU_DEP_1)
	v_wmma_f32_16x16x16_bf16 v[65:72], v[49:56], v[25:32], v[65:72]
	v_and_b32_e32 v1, 0x7f800000, v65
	s_delay_alu instid0(VALU_DEP_1) | instskip(SKIP_1) | instid1(SALU_CYCLE_1)
	v_cmp_ne_u32_e32 vcc_lo, 0x7f800000, v1
                                        ; implicit-def: $vgpr1
	s_and_saveexec_b32 s2, vcc_lo
	s_xor_b32 s2, exec_lo, s2
; %bb.79:
	v_bfe_u32 v1, v65, 16, 1
	s_delay_alu instid0(VALU_DEP_1)
	v_add3_u32 v1, v65, v1, 0x7fff
; %bb.80:
	s_and_not1_saveexec_b32 s2, s2
; %bb.81:
	v_and_b32_e32 v1, 0xffff, v65
	v_or_b32_e32 v2, 0x10000, v65
	s_delay_alu instid0(VALU_DEP_2) | instskip(NEXT) | instid1(VALU_DEP_2)
	v_cmp_eq_u32_e32 vcc_lo, 0, v1
	v_cndmask_b32_e32 v1, v2, v65, vcc_lo
; %bb.82:
	s_or_b32 exec_lo, exec_lo, s2
	v_and_b32_e32 v2, 0x7f800000, v66
	s_delay_alu instid0(VALU_DEP_1) | instskip(SKIP_1) | instid1(SALU_CYCLE_1)
	v_cmp_ne_u32_e32 vcc_lo, 0x7f800000, v2
                                        ; implicit-def: $vgpr2
	s_and_saveexec_b32 s2, vcc_lo
	s_xor_b32 s2, exec_lo, s2
; %bb.83:
	v_bfe_u32 v2, v66, 16, 1
	s_delay_alu instid0(VALU_DEP_1)
	v_add3_u32 v2, v66, v2, 0x7fff
; %bb.84:
	s_and_not1_saveexec_b32 s2, s2
; %bb.85:
	v_and_b32_e32 v2, 0xffff, v66
	v_or_b32_e32 v3, 0x10000, v66
	s_delay_alu instid0(VALU_DEP_2) | instskip(NEXT) | instid1(VALU_DEP_2)
	v_cmp_eq_u32_e32 vcc_lo, 0, v2
	v_cndmask_b32_e32 v2, v3, v66, vcc_lo
; %bb.86:
	s_or_b32 exec_lo, exec_lo, s2
	v_and_b32_e32 v3, 0x7f800000, v67
	s_delay_alu instid0(VALU_DEP_1) | instskip(SKIP_1) | instid1(SALU_CYCLE_1)
	v_cmp_ne_u32_e32 vcc_lo, 0x7f800000, v3
                                        ; implicit-def: $vgpr3
	s_and_saveexec_b32 s2, vcc_lo
	s_xor_b32 s2, exec_lo, s2
; %bb.87:
	v_bfe_u32 v3, v67, 16, 1
	s_delay_alu instid0(VALU_DEP_1)
	v_add3_u32 v3, v67, v3, 0x7fff
; %bb.88:
	s_and_not1_saveexec_b32 s2, s2
; %bb.89:
	v_and_b32_e32 v3, 0xffff, v67
	v_or_b32_e32 v4, 0x10000, v67
	s_delay_alu instid0(VALU_DEP_2) | instskip(NEXT) | instid1(VALU_DEP_2)
	v_cmp_eq_u32_e32 vcc_lo, 0, v3
	v_cndmask_b32_e32 v3, v4, v67, vcc_lo
; %bb.90:
	s_or_b32 exec_lo, exec_lo, s2
	v_and_b32_e32 v4, 0x7f800000, v68
	s_delay_alu instid0(VALU_DEP_1) | instskip(SKIP_1) | instid1(SALU_CYCLE_1)
	v_cmp_ne_u32_e32 vcc_lo, 0x7f800000, v4
                                        ; implicit-def: $vgpr4
	s_and_saveexec_b32 s2, vcc_lo
	s_xor_b32 s2, exec_lo, s2
; %bb.91:
	v_bfe_u32 v4, v68, 16, 1
	s_delay_alu instid0(VALU_DEP_1)
	v_add3_u32 v4, v68, v4, 0x7fff
; %bb.92:
	s_and_not1_saveexec_b32 s2, s2
; %bb.93:
	v_and_b32_e32 v4, 0xffff, v68
	v_or_b32_e32 v5, 0x10000, v68
	s_delay_alu instid0(VALU_DEP_2) | instskip(NEXT) | instid1(VALU_DEP_2)
	v_cmp_eq_u32_e32 vcc_lo, 0, v4
	v_cndmask_b32_e32 v4, v5, v68, vcc_lo
; %bb.94:
	s_or_b32 exec_lo, exec_lo, s2
	v_and_b32_e32 v5, 0x7f800000, v69
	s_delay_alu instid0(VALU_DEP_1) | instskip(SKIP_1) | instid1(SALU_CYCLE_1)
	v_cmp_ne_u32_e32 vcc_lo, 0x7f800000, v5
                                        ; implicit-def: $vgpr5
	s_and_saveexec_b32 s2, vcc_lo
	s_xor_b32 s2, exec_lo, s2
; %bb.95:
	v_bfe_u32 v5, v69, 16, 1
	s_delay_alu instid0(VALU_DEP_1)
	v_add3_u32 v5, v69, v5, 0x7fff
; %bb.96:
	s_and_not1_saveexec_b32 s2, s2
; %bb.97:
	v_and_b32_e32 v5, 0xffff, v69
	v_or_b32_e32 v6, 0x10000, v69
	s_delay_alu instid0(VALU_DEP_2) | instskip(NEXT) | instid1(VALU_DEP_2)
	v_cmp_eq_u32_e32 vcc_lo, 0, v5
	v_cndmask_b32_e32 v5, v6, v69, vcc_lo
; %bb.98:
	s_or_b32 exec_lo, exec_lo, s2
	v_and_b32_e32 v6, 0x7f800000, v70
	s_delay_alu instid0(VALU_DEP_1) | instskip(SKIP_1) | instid1(SALU_CYCLE_1)
	v_cmp_ne_u32_e32 vcc_lo, 0x7f800000, v6
                                        ; implicit-def: $vgpr6
	s_and_saveexec_b32 s2, vcc_lo
	s_xor_b32 s2, exec_lo, s2
; %bb.99:
	v_bfe_u32 v6, v70, 16, 1
	s_delay_alu instid0(VALU_DEP_1)
	v_add3_u32 v6, v70, v6, 0x7fff
; %bb.100:
	s_and_not1_saveexec_b32 s2, s2
; %bb.101:
	v_and_b32_e32 v6, 0xffff, v70
	v_or_b32_e32 v7, 0x10000, v70
	s_delay_alu instid0(VALU_DEP_2) | instskip(NEXT) | instid1(VALU_DEP_2)
	v_cmp_eq_u32_e32 vcc_lo, 0, v6
	v_cndmask_b32_e32 v6, v7, v70, vcc_lo
; %bb.102:
	s_or_b32 exec_lo, exec_lo, s2
	v_and_b32_e32 v7, 0x7f800000, v71
	s_delay_alu instid0(VALU_DEP_1) | instskip(SKIP_1) | instid1(SALU_CYCLE_1)
	v_cmp_ne_u32_e32 vcc_lo, 0x7f800000, v7
                                        ; implicit-def: $vgpr7
	s_and_saveexec_b32 s2, vcc_lo
	s_xor_b32 s2, exec_lo, s2
; %bb.103:
	v_bfe_u32 v7, v71, 16, 1
	s_delay_alu instid0(VALU_DEP_1)
	v_add3_u32 v7, v71, v7, 0x7fff
; %bb.104:
	s_and_not1_saveexec_b32 s2, s2
; %bb.105:
	v_and_b32_e32 v7, 0xffff, v71
	v_or_b32_e32 v8, 0x10000, v71
	s_delay_alu instid0(VALU_DEP_2) | instskip(NEXT) | instid1(VALU_DEP_2)
	v_cmp_eq_u32_e32 vcc_lo, 0, v7
	v_cndmask_b32_e32 v7, v8, v71, vcc_lo
; %bb.106:
	s_or_b32 exec_lo, exec_lo, s2
	v_and_b32_e32 v8, 0x7f800000, v72
	s_delay_alu instid0(VALU_DEP_1) | instskip(SKIP_1) | instid1(SALU_CYCLE_1)
	v_cmp_ne_u32_e32 vcc_lo, 0x7f800000, v8
                                        ; implicit-def: $vgpr8
	s_and_saveexec_b32 s2, vcc_lo
	s_xor_b32 s2, exec_lo, s2
; %bb.107:
	v_bfe_u32 v8, v72, 16, 1
	s_delay_alu instid0(VALU_DEP_1)
	v_add3_u32 v8, v72, v8, 0x7fff
                                        ; implicit-def: $vgpr65_vgpr66_vgpr67_vgpr68_vgpr69_vgpr70_vgpr71_vgpr72
; %bb.108:
	s_and_not1_saveexec_b32 s2, s2
; %bb.109:
	v_and_b32_e32 v8, 0xffff, v72
	v_or_b32_e32 v9, 0x10000, v72
	s_delay_alu instid0(VALU_DEP_2) | instskip(NEXT) | instid1(VALU_DEP_2)
	v_cmp_eq_u32_e32 vcc_lo, 0, v8
	v_cndmask_b32_e32 v8, v9, v72, vcc_lo
; %bb.110:
	s_or_b32 exec_lo, exec_lo, s2
	s_delay_alu instid0(VALU_DEP_1)
	v_perm_b32 v7, v8, v7, 0x7060302
	v_perm_b32 v6, v6, v5, 0x7060302
	;; [unrolled: 1-line block ×4, first 2 shown]
	s_barrier
	buffer_gl0_inv
	v_cmp_eq_u32_e32 vcc_lo, 1, v79
	ds_store_b128 v77, v[4:7]
	s_waitcnt lgkmcnt(0)
	s_barrier
	buffer_gl0_inv
	ds_load_b128 v[1:4], v83
	ds_load_b128 v[5:8], v83 offset:16
	v_cmp_eq_u32_e64 s2, 1, v80
	v_cmp_eq_u32_e64 s3, 2, v79
	;; [unrolled: 1-line block ×5, first 2 shown]
	s_waitcnt lgkmcnt(1)
	v_lshrrev_b32_e32 v9, 16, v1
	s_waitcnt lgkmcnt(0)
	v_lshrrev_b32_e32 v13, 16, v5
	v_lshrrev_b32_e32 v10, 16, v2
	v_lshrrev_b32_e32 v14, 16, v6
	v_lshrrev_b32_e32 v11, 16, v3
	v_cndmask_b32_e64 v19, v1, v9, s2
	v_cndmask_b32_e32 v18, v5, v13, vcc_lo
	v_cndmask_b32_e64 v20, v5, v13, s2
	v_cndmask_b32_e32 v17, v1, v9, vcc_lo
	v_cmp_eq_u32_e32 vcc_lo, 2, v80
	v_lshrrev_b32_e32 v15, 16, v7
	v_cmp_eq_u32_e64 s2, 1, v78
	v_lshrrev_b32_e32 v12, 16, v4
	v_lshrrev_b32_e32 v16, 16, v8
	v_cndmask_b32_e32 v20, v20, v6, vcc_lo
	v_cndmask_b32_e64 v17, v17, v2, s3
	v_cndmask_b32_e32 v19, v19, v2, vcc_lo
	v_cndmask_b32_e64 v18, v18, v6, s3
	v_cmp_eq_u32_e32 vcc_lo, 4, v79
	v_cmp_eq_u32_e64 s3, 3, v80
	v_cndmask_b32_e64 v17, v17, v10, s4
	v_cndmask_b32_e64 v21, v1, v9, s2
	;; [unrolled: 1-line block ×5, first 2 shown]
	v_cndmask_b32_e32 v17, v17, v3, vcc_lo
	v_cndmask_b32_e64 v20, v20, v14, s3
	v_cndmask_b32_e32 v18, v18, v7, vcc_lo
	v_cmp_eq_u32_e32 vcc_lo, 4, v80
	v_cmp_eq_u32_e64 s3, 5, v80
	v_cmp_eq_u32_e64 s2, 2, v82
	v_cndmask_b32_e64 v21, v21, v2, s6
	v_cmp_eq_u32_e64 s4, 5, v79
	v_cndmask_b32_e32 v19, v19, v3, vcc_lo
	v_cndmask_b32_e32 v20, v20, v7, vcc_lo
	v_cmp_eq_u32_e32 vcc_lo, 6, v80
	s_delay_alu instid0(VALU_DEP_4) | instskip(NEXT) | instid1(VALU_DEP_4)
	v_cndmask_b32_e64 v17, v17, v11, s4
	v_cndmask_b32_e64 v19, v19, v11, s3
	s_delay_alu instid0(VALU_DEP_4) | instskip(SKIP_1) | instid1(VALU_DEP_3)
	v_cndmask_b32_e64 v20, v20, v15, s3
	v_cmp_eq_u32_e64 s3, 1, v82
	v_cndmask_b32_e32 v19, v19, v4, vcc_lo
	v_cndmask_b32_e64 v18, v18, v15, s4
	s_delay_alu instid0(VALU_DEP_3)
	v_cndmask_b32_e64 v1, v1, v9, s3
	v_cndmask_b32_e64 v5, v5, v13, s3
	v_cmp_eq_u32_e64 s3, 3, v78
	v_cndmask_b32_e64 v13, v22, v6, s6
	v_cmp_eq_u32_e64 s6, 3, v82
	v_cndmask_b32_e64 v1, v1, v2, s2
	v_cndmask_b32_e64 v2, v5, v6, s2
	;; [unrolled: 1-line block ×3, first 2 shown]
	v_cmp_eq_u32_e64 s2, 4, v78
	v_cndmask_b32_e64 v6, v13, v14, s3
	v_cndmask_b32_e64 v1, v1, v10, s6
	v_cmp_eq_u32_e64 s3, 4, v82
	v_cndmask_b32_e64 v2, v2, v14, s6
	v_cndmask_b32_e64 v5, v9, v3, s2
	;; [unrolled: 3-line block ×3, first 2 shown]
	v_cndmask_b32_e64 v2, v2, v7, s3
	v_cmp_eq_u32_e64 s2, 5, v82
	v_cmp_eq_u32_e64 s4, 6, v79
	v_cndmask_b32_e64 v5, v5, v11, s6
	v_cmp_eq_u32_e64 s3, 6, v78
	v_cndmask_b32_e64 v3, v6, v15, s6
	v_cndmask_b32_e64 v1, v1, v11, s2
	v_cmp_eq_u32_e64 s6, 6, v82
	v_cndmask_b32_e64 v2, v2, v15, s2
	v_cndmask_b32_e64 v17, v17, v4, s4
	v_cndmask_b32_e64 v18, v18, v8, s4
	v_cmp_eq_u32_e64 s4, 7, v79
	v_cndmask_b32_e64 v5, v5, v4, s3
	;; [unrolled: 4-line block ×3, first 2 shown]
	v_cmp_eq_u32_e64 s3, 7, v78
	v_cndmask_b32_e32 v4, v20, v8, vcc_lo
	v_cndmask_b32_e64 v17, v17, v12, s4
	v_cndmask_b32_e64 v19, v19, v12, s5
	;; [unrolled: 1-line block ×8, first 2 shown]
	s_delay_alu instid0(VALU_DEP_4) | instskip(NEXT) | instid1(VALU_DEP_4)
	v_perm_b32 v4, v2, v1, 0x5040100
	v_perm_b32 v3, v3, v5, 0x5040100
	s_delay_alu instid0(VALU_DEP_4) | instskip(NEXT) | instid1(VALU_DEP_4)
	v_perm_b32 v2, v6, v19, 0x5040100
	v_perm_b32 v1, v7, v17, 0x5040100
	ds_store_b128 v77, v[1:4]
	s_waitcnt lgkmcnt(0)
	s_barrier
	buffer_gl0_inv
	s_and_saveexec_b32 s2, s29
	s_cbranch_execz .LBB1759_2
; %bb.111:
	s_load_b64 s[0:1], s[0:1], 0x68
	v_lshlrev_b32_e32 v0, 10, v0
	s_lshl_b32 s2, s34, 6
	v_lshlrev_b32_e32 v1, 4, v76
	v_mul_lo_u32 v4, s2, v75
	s_mul_i32 s3, s2, s30
	v_and_b32_e32 v0, 0x3800, v0
	s_mul_i32 s2, s3, s7
	s_delay_alu instid0(SALU_CYCLE_1) | instskip(NEXT) | instid1(VALU_DEP_1)
	s_ashr_i32 s3, s2, 31
	v_or3_b32 v0, v0, v74, v1
	s_lshl_b64 s[2:3], s[2:3], 1
	s_delay_alu instid0(VALU_DEP_3)
	v_ashrrev_i32_e32 v5, 31, v4
	ds_load_b128 v[0:3], v0
	v_lshlrev_b64 v[4:5], 1, v[4:5]
	s_waitcnt lgkmcnt(0)
	s_add_u32 s2, s0, s2
	s_addc_u32 s3, s1, s3
	s_lshl_b32 s0, s14, 6
	s_delay_alu instid0(SALU_CYCLE_1) | instskip(NEXT) | instid1(SALU_CYCLE_1)
	s_ashr_i32 s1, s0, 31
	s_lshl_b64 s[0:1], s[0:1], 1
	s_delay_alu instid0(SALU_CYCLE_1) | instskip(SKIP_3) | instid1(VALU_DEP_2)
	s_add_u32 s0, s2, s0
	s_addc_u32 s1, s3, s1
	v_add_co_u32 v4, vcc_lo, s0, v4
	v_add_co_ci_u32_e32 v5, vcc_lo, s1, v5, vcc_lo
	v_add_co_u32 v4, vcc_lo, v4, v73
	s_delay_alu instid0(VALU_DEP_2)
	v_add_co_ci_u32_e32 v5, vcc_lo, 0, v5, vcc_lo
	global_store_b128 v[4:5], v[0:3], off
	s_nop 0
	s_sendmsg sendmsg(MSG_DEALLOC_VGPRS)
	s_endpgm
	.section	.rodata,"a",@progbits
	.p2align	6, 0x0
	.amdhsa_kernel _Z39paged_attention_ll4mi_QKV_mfma16_kernelI14__hip_bfloat16hLN4vllm18Fp8KVCacheDataTypeE1EhLi32ELi64ELi256ELb0ELi2EL8MFMAType0EEvPKT_PKT0_S9_ifPKiSB_SB_iPKfiiiPfSE_PS4_PT2_iSD_SD_
		.amdhsa_group_segment_fixed_size 17472
		.amdhsa_private_segment_fixed_size 0
		.amdhsa_kernarg_size 400
		.amdhsa_user_sgpr_count 13
		.amdhsa_user_sgpr_dispatch_ptr 0
		.amdhsa_user_sgpr_queue_ptr 0
		.amdhsa_user_sgpr_kernarg_segment_ptr 1
		.amdhsa_user_sgpr_dispatch_id 0
		.amdhsa_user_sgpr_private_segment_size 0
		.amdhsa_wavefront_size32 1
		.amdhsa_uses_dynamic_stack 0
		.amdhsa_enable_private_segment 0
		.amdhsa_system_sgpr_workgroup_id_x 1
		.amdhsa_system_sgpr_workgroup_id_y 1
		.amdhsa_system_sgpr_workgroup_id_z 1
		.amdhsa_system_sgpr_workgroup_info 0
		.amdhsa_system_vgpr_workitem_id 0
		.amdhsa_next_free_vgpr 125
		.amdhsa_next_free_sgpr 40
		.amdhsa_reserve_vcc 1
		.amdhsa_float_round_mode_32 0
		.amdhsa_float_round_mode_16_64 0
		.amdhsa_float_denorm_mode_32 3
		.amdhsa_float_denorm_mode_16_64 3
		.amdhsa_dx10_clamp 1
		.amdhsa_ieee_mode 1
		.amdhsa_fp16_overflow 0
		.amdhsa_workgroup_processor_mode 1
		.amdhsa_memory_ordered 1
		.amdhsa_forward_progress 0
		.amdhsa_shared_vgpr_count 0
		.amdhsa_exception_fp_ieee_invalid_op 0
		.amdhsa_exception_fp_denorm_src 0
		.amdhsa_exception_fp_ieee_div_zero 0
		.amdhsa_exception_fp_ieee_overflow 0
		.amdhsa_exception_fp_ieee_underflow 0
		.amdhsa_exception_fp_ieee_inexact 0
		.amdhsa_exception_int_div_zero 0
	.end_amdhsa_kernel
	.section	.text._Z39paged_attention_ll4mi_QKV_mfma16_kernelI14__hip_bfloat16hLN4vllm18Fp8KVCacheDataTypeE1EhLi32ELi64ELi256ELb0ELi2EL8MFMAType0EEvPKT_PKT0_S9_ifPKiSB_SB_iPKfiiiPfSE_PS4_PT2_iSD_SD_,"axG",@progbits,_Z39paged_attention_ll4mi_QKV_mfma16_kernelI14__hip_bfloat16hLN4vllm18Fp8KVCacheDataTypeE1EhLi32ELi64ELi256ELb0ELi2EL8MFMAType0EEvPKT_PKT0_S9_ifPKiSB_SB_iPKfiiiPfSE_PS4_PT2_iSD_SD_,comdat
.Lfunc_end1759:
	.size	_Z39paged_attention_ll4mi_QKV_mfma16_kernelI14__hip_bfloat16hLN4vllm18Fp8KVCacheDataTypeE1EhLi32ELi64ELi256ELb0ELi2EL8MFMAType0EEvPKT_PKT0_S9_ifPKiSB_SB_iPKfiiiPfSE_PS4_PT2_iSD_SD_, .Lfunc_end1759-_Z39paged_attention_ll4mi_QKV_mfma16_kernelI14__hip_bfloat16hLN4vllm18Fp8KVCacheDataTypeE1EhLi32ELi64ELi256ELb0ELi2EL8MFMAType0EEvPKT_PKT0_S9_ifPKiSB_SB_iPKfiiiPfSE_PS4_PT2_iSD_SD_
                                        ; -- End function
	.section	.AMDGPU.csdata,"",@progbits
; Kernel info:
; codeLenInByte = 8520
; NumSgprs: 42
; NumVgprs: 125
; ScratchSize: 0
; MemoryBound: 0
; FloatMode: 240
; IeeeMode: 1
; LDSByteSize: 17472 bytes/workgroup (compile time only)
; SGPRBlocks: 5
; VGPRBlocks: 15
; NumSGPRsForWavesPerEU: 42
; NumVGPRsForWavesPerEU: 125
; Occupancy: 10
; WaveLimiterHint : 1
; COMPUTE_PGM_RSRC2:SCRATCH_EN: 0
; COMPUTE_PGM_RSRC2:USER_SGPR: 13
; COMPUTE_PGM_RSRC2:TRAP_HANDLER: 0
; COMPUTE_PGM_RSRC2:TGID_X_EN: 1
; COMPUTE_PGM_RSRC2:TGID_Y_EN: 1
; COMPUTE_PGM_RSRC2:TGID_Z_EN: 1
; COMPUTE_PGM_RSRC2:TIDIG_COMP_CNT: 0
	.section	.text._Z39paged_attention_ll4mi_QKV_mfma16_kernelI14__hip_bfloat16hLN4vllm18Fp8KVCacheDataTypeE1EhLi32ELi64ELi256ELb0ELi3EL8MFMAType0EEvPKT_PKT0_S9_ifPKiSB_SB_iPKfiiiPfSE_PS4_PT2_iSD_SD_,"axG",@progbits,_Z39paged_attention_ll4mi_QKV_mfma16_kernelI14__hip_bfloat16hLN4vllm18Fp8KVCacheDataTypeE1EhLi32ELi64ELi256ELb0ELi3EL8MFMAType0EEvPKT_PKT0_S9_ifPKiSB_SB_iPKfiiiPfSE_PS4_PT2_iSD_SD_,comdat
	.protected	_Z39paged_attention_ll4mi_QKV_mfma16_kernelI14__hip_bfloat16hLN4vllm18Fp8KVCacheDataTypeE1EhLi32ELi64ELi256ELb0ELi3EL8MFMAType0EEvPKT_PKT0_S9_ifPKiSB_SB_iPKfiiiPfSE_PS4_PT2_iSD_SD_ ; -- Begin function _Z39paged_attention_ll4mi_QKV_mfma16_kernelI14__hip_bfloat16hLN4vllm18Fp8KVCacheDataTypeE1EhLi32ELi64ELi256ELb0ELi3EL8MFMAType0EEvPKT_PKT0_S9_ifPKiSB_SB_iPKfiiiPfSE_PS4_PT2_iSD_SD_
	.globl	_Z39paged_attention_ll4mi_QKV_mfma16_kernelI14__hip_bfloat16hLN4vllm18Fp8KVCacheDataTypeE1EhLi32ELi64ELi256ELb0ELi3EL8MFMAType0EEvPKT_PKT0_S9_ifPKiSB_SB_iPKfiiiPfSE_PS4_PT2_iSD_SD_
	.p2align	8
	.type	_Z39paged_attention_ll4mi_QKV_mfma16_kernelI14__hip_bfloat16hLN4vllm18Fp8KVCacheDataTypeE1EhLi32ELi64ELi256ELb0ELi3EL8MFMAType0EEvPKT_PKT0_S9_ifPKiSB_SB_iPKfiiiPfSE_PS4_PT2_iSD_SD_,@function
_Z39paged_attention_ll4mi_QKV_mfma16_kernelI14__hip_bfloat16hLN4vllm18Fp8KVCacheDataTypeE1EhLi32ELi64ELi256ELb0ELi3EL8MFMAType0EEvPKT_PKT0_S9_ifPKiSB_SB_iPKfiiiPfSE_PS4_PT2_iSD_SD_: ; @_Z39paged_attention_ll4mi_QKV_mfma16_kernelI14__hip_bfloat16hLN4vllm18Fp8KVCacheDataTypeE1EhLi32ELi64ELi256ELb0ELi3EL8MFMAType0EEvPKT_PKT0_S9_ifPKiSB_SB_iPKfiiiPfSE_PS4_PT2_iSD_SD_
; %bb.0:
	s_load_b64 s[2:3], s[0:1], 0x30
	s_mov_b32 s34, s13
	s_waitcnt lgkmcnt(0)
	s_cmp_lg_u64 s[2:3], 0
	s_cselect_b32 s8, -1, 0
	s_ashr_i32 s35, s13, 31
	s_cmp_eq_u64 s[2:3], 0
	s_cbranch_scc1 .LBB1760_3
; %bb.1:
	s_lshl_b64 s[4:5], s[34:35], 2
	s_delay_alu instid0(SALU_CYCLE_1) | instskip(SKIP_4) | instid1(SALU_CYCLE_1)
	s_add_u32 s4, s2, s4
	s_addc_u32 s5, s3, s5
	s_load_b64 s[4:5], s[4:5], 0x0
	s_waitcnt lgkmcnt(0)
	s_sub_i32 s4, s5, s4
	s_cmp_eq_u32 s4, 1
	s_cselect_b32 s4, -1, 0
	s_delay_alu instid0(SALU_CYCLE_1)
	s_and_not1_b32 vcc_lo, exec_lo, s4
	s_cbranch_vccz .LBB1760_4
.LBB1760_2:
	s_nop 0
	s_sendmsg sendmsg(MSG_DEALLOC_VGPRS)
	s_endpgm
.LBB1760_3:
.LBB1760_4:
	s_load_b64 s[4:5], s[0:1], 0x28
	s_lshl_b64 s[6:7], s[34:35], 2
	s_waitcnt lgkmcnt(0)
	s_add_u32 s4, s4, s6
	s_addc_u32 s5, s5, s7
	s_lshl_b32 s12, s14, 8
	s_load_b32 s24, s[4:5], 0x0
	s_waitcnt lgkmcnt(0)
	s_cmp_ge_i32 s12, s24
	s_cbranch_scc1 .LBB1760_2
; %bb.5:
	s_clause 0x1
	s_load_b128 s[20:23], s[0:1], 0x8
	s_load_b64 s[4:5], s[0:1], 0x20
	s_and_not1_b32 vcc_lo, exec_lo, s8
	s_cbranch_vccnz .LBB1760_7
; %bb.6:
	s_add_u32 s2, s2, s6
	s_addc_u32 s3, s3, s7
	s_load_b32 s3, s[2:3], 0x0
	s_branch .LBB1760_8
.LBB1760_7:
	s_mov_b32 s3, s34
.LBB1760_8:
	s_load_b128 s[16:19], s[0:1], 0x48
	v_lshrrev_b32_e32 v66, 5, v0
	v_bfe_u32 v74, v0, 4, 1
	v_and_b32_e32 v65, 15, v0
	v_and_b32_e32 v67, 31, v0
	;; [unrolled: 1-line block ×3, first 2 shown]
	s_mul_i32 s31, s15, 3
	v_lshl_or_b32 v1, v66, 1, v74
	v_lshlrev_b32_e32 v2, 3, v65
	v_cmp_gt_u32_e64 s2, 8, v65
	s_delay_alu instid0(VALU_DEP_3) | instskip(NEXT) | instid1(VALU_DEP_3)
	v_cmp_gt_u32_e32 vcc_lo, 3, v1
	v_lshlrev_b32_e32 v73, 1, v2
	s_delay_alu instid0(VALU_DEP_3) | instskip(NEXT) | instid1(SALU_CYCLE_1)
	s_and_b32 s7, s2, vcc_lo
	s_and_saveexec_b32 s6, s7
	s_cbranch_execz .LBB1760_10
; %bb.9:
	s_load_b64 s[8:9], s[0:1], 0x0
	v_add_lshl_u32 v2, v1, s31, 6
	s_waitcnt lgkmcnt(0)
	s_mul_hi_i32 s11, s3, s16
	s_mul_i32 s10, s3, s16
	v_lshlrev_b32_e32 v6, 10, v65
	s_lshl_b64 s[10:11], s[10:11], 1
	v_ashrrev_i32_e32 v3, 31, v2
	v_lshlrev_b32_e32 v1, 6, v1
	v_lshlrev_b32_e32 v7, 10, v75
	v_and_b32_e32 v6, 0x3800, v6
	s_delay_alu instid0(VALU_DEP_4) | instskip(NEXT) | instid1(VALU_DEP_2)
	v_lshlrev_b64 v[2:3], 1, v[2:3]
	v_or3_b32 v1, v6, v7, v1
	s_add_u32 s3, s8, s10
	s_addc_u32 s7, s9, s11
	s_delay_alu instid0(VALU_DEP_2) | instskip(NEXT) | instid1(VALU_DEP_3)
	v_add_co_u32 v2, vcc_lo, s3, v2
	v_add_co_ci_u32_e32 v3, vcc_lo, s7, v3, vcc_lo
	s_delay_alu instid0(VALU_DEP_2) | instskip(NEXT) | instid1(VALU_DEP_2)
	v_add_co_u32 v2, vcc_lo, v2, v73
	v_add_co_ci_u32_e32 v3, vcc_lo, 0, v3, vcc_lo
	global_load_b128 v[2:5], v[2:3], off
	s_waitcnt vmcnt(0)
	ds_store_b128 v1, v[2:5]
.LBB1760_10:
	s_or_b32 exec_lo, exec_lo, s6
	v_and_b32_e32 v1, 0xef, v0
	s_waitcnt lgkmcnt(0)
	s_add_i32 s3, s24, 31
	s_clause 0x1
	s_load_b32 s6, s[0:1], 0x38
	s_load_b32 s19, s[0:1], 0x1c
	s_ashr_i32 s7, s3, 31
	v_add_nc_u32_e32 v1, s12, v1
	s_lshr_b32 s7, s7, 27
	s_waitcnt lgkmcnt(0)
	s_add_i32 s3, s3, s7
	s_barrier
	v_ashrrev_i32_e32 v2, 31, v1
	v_or_b32_e32 v3, 16, v1
	s_ashr_i32 s3, s3, 5
	v_cmp_gt_i32_e32 vcc_lo, s24, v1
	s_add_i32 s3, s3, -1
	v_lshrrev_b32_e32 v2, 27, v2
	buffer_gl0_inv
	s_mul_i32 s27, s15, s18
	v_add_nc_u32_e32 v4, v1, v2
	s_mul_i32 s6, s34, s6
	s_delay_alu instid0(SALU_CYCLE_1) | instskip(NEXT) | instid1(VALU_DEP_1)
	s_ashr_i32 s7, s6, 31
	v_ashrrev_i32_e32 v4, 5, v4
	v_add_nc_u32_e32 v2, v3, v2
	s_lshl_b64 s[6:7], s[6:7], 2
	s_delay_alu instid0(SALU_CYCLE_1) | instskip(NEXT) | instid1(VALU_DEP_2)
	s_add_u32 s26, s4, s6
	v_cndmask_b32_e32 v1, s3, v4, vcc_lo
	s_delay_alu instid0(VALU_DEP_2)
	v_ashrrev_i32_e32 v2, 5, v2
	v_cmp_gt_i32_e32 vcc_lo, s24, v3
	s_addc_u32 s25, s5, s7
	s_ashr_i32 s28, s27, 31
	s_add_u32 s4, s20, s27
	s_addc_u32 s5, s21, s28
	v_cndmask_b32_e32 v3, s3, v2, vcc_lo
	v_ashrrev_i32_e32 v2, 31, v1
	s_lshl_b32 s6, s14, 3
	s_delay_alu instid0(SALU_CYCLE_1) | instskip(NEXT) | instid1(VALU_DEP_2)
	s_ashr_i32 s7, s6, 31
	v_ashrrev_i32_e32 v4, 31, v3
	s_delay_alu instid0(VALU_DEP_2) | instskip(SKIP_1) | instid1(SALU_CYCLE_1)
	v_lshlrev_b64 v[1:2], 2, v[1:2]
	s_lshl_b64 s[6:7], s[6:7], 2
	s_add_u32 s6, s26, s6
	s_delay_alu instid0(VALU_DEP_2) | instskip(SKIP_1) | instid1(VALU_DEP_2)
	v_lshlrev_b64 v[3:4], 2, v[3:4]
	s_addc_u32 s7, s25, s7
	v_add_co_u32 v1, vcc_lo, s26, v1
	v_add_co_ci_u32_e32 v2, vcc_lo, s25, v2, vcc_lo
	s_delay_alu instid0(VALU_DEP_3) | instskip(NEXT) | instid1(VALU_DEP_4)
	v_add_co_u32 v3, vcc_lo, s26, v3
	v_add_co_ci_u32_e32 v4, vcc_lo, s25, v4, vcc_lo
	s_clause 0x1
	global_load_b32 v5, v[1:2], off
	global_load_b32 v6, v[3:4], off
	s_or_b32 s8, s12, 32
	s_delay_alu instid0(SALU_CYCLE_1) | instskip(SKIP_2) | instid1(SALU_CYCLE_1)
	s_ashr_i32 s9, s8, 5
	s_cmp_lt_i32 s8, s24
	s_cselect_b32 s8, s9, s3
	s_ashr_i32 s9, s8, 31
	s_delay_alu instid0(SALU_CYCLE_1) | instskip(NEXT) | instid1(SALU_CYCLE_1)
	s_lshl_b64 s[8:9], s[8:9], 2
	s_add_u32 s8, s26, s8
	s_addc_u32 s9, s25, s9
	s_or_b32 s10, s12, 64
	s_delay_alu instid0(SALU_CYCLE_1) | instskip(SKIP_2) | instid1(SALU_CYCLE_1)
	s_ashr_i32 s11, s10, 5
	s_cmp_lt_i32 s10, s24
	s_cselect_b32 s10, s11, s3
	s_ashr_i32 s11, s10, 31
	s_delay_alu instid0(SALU_CYCLE_1) | instskip(NEXT) | instid1(SALU_CYCLE_1)
	s_lshl_b64 s[10:11], s[10:11], 2
	s_add_u32 s10, s26, s10
	s_addc_u32 s11, s25, s11
	;; [unrolled: 10-line block ×5, first 2 shown]
	s_clause 0x5
	s_load_b32 s21, s[6:7], 0x0
	s_load_b32 s13, s[8:9], 0x0
	;; [unrolled: 1-line block ×6, first 2 shown]
	s_or_b32 s9, s12, 0xc0
	s_delay_alu instid0(SALU_CYCLE_1) | instskip(SKIP_2) | instid1(SALU_CYCLE_1)
	s_ashr_i32 s10, s9, 5
	s_cmp_lt_i32 s9, s24
	s_cselect_b32 s36, s10, s3
	s_ashr_i32 s37, s36, 31
	s_delay_alu instid0(SALU_CYCLE_1) | instskip(NEXT) | instid1(SALU_CYCLE_1)
	s_lshl_b64 s[36:37], s[36:37], 2
	s_add_u32 s36, s26, s36
	s_addc_u32 s37, s25, s37
	s_or_b32 s29, s12, 0xe0
	s_delay_alu instid0(SALU_CYCLE_1)
	s_ashr_i32 s30, s29, 5
	s_cmp_lt_i32 s29, s24
	s_waitcnt vmcnt(1)
	v_mad_i64_i32 v[1:2], null, v5, s17, s[4:5]
	s_waitcnt vmcnt(0)
	v_mad_i64_i32 v[3:4], null, v6, s17, s[4:5]
	s_mov_b32 s4, 0
	s_delay_alu instid0(SALU_CYCLE_1)
	s_mov_b32 s5, s4
	s_mov_b32 s6, s4
	s_mov_b32 s7, s4
	s_mov_b32 s8, s4
	s_mov_b32 s9, s4
	s_mov_b32 s10, s4
	s_mov_b32 s11, s4
	v_lshlrev_b32_e32 v5, 4, v65
	v_dual_mov_b32 v107, s11 :: v_dual_mov_b32 v102, s6
	v_mov_b32_e32 v106, s10
	v_mov_b32_e32 v104, s8
	s_delay_alu instid0(VALU_DEP_4)
	v_add_co_u32 v1, vcc_lo, v1, v5
	v_add_co_ci_u32_e32 v2, vcc_lo, 0, v2, vcc_lo
	v_add_co_u32 v3, vcc_lo, v3, v5
	v_add_co_ci_u32_e32 v4, vcc_lo, 0, v4, vcc_lo
	s_clause 0x7
	global_load_b128 v[49:52], v[1:2], off
	global_load_b128 v[53:56], v[1:2], off offset:512
	global_load_b128 v[76:79], v[3:4], off offset:256
	;; [unrolled: 1-line block ×7, first 2 shown]
	v_mul_lo_u16 v1, 0x56, v65
	v_mov_b32_e32 v103, s7
	v_dual_mov_b32 v101, s5 :: v_dual_lshlrev_b32 v2, 5, v65
	v_mov_b32_e32 v100, s4
	s_delay_alu instid0(VALU_DEP_4) | instskip(NEXT) | instid1(VALU_DEP_3)
	v_lshrrev_b16 v1, 8, v1
	v_lshl_or_b32 v2, v66, 9, v2
	s_delay_alu instid0(VALU_DEP_2) | instskip(NEXT) | instid1(VALU_DEP_1)
	v_mul_lo_u16 v1, v1, 3
	v_sub_nc_u16 v1, v65, v1
	s_delay_alu instid0(VALU_DEP_1)
	v_and_b32_e32 v1, 0xff, v1
	v_mov_b32_e32 v105, s9
	s_cselect_b32 s4, s30, s3
	s_load_b32 s3, s[36:37], 0x0
	s_ashr_i32 s5, s4, 31
	v_lshlrev_b32_e32 v70, 6, v1
	s_lshl_b64 s[4:5], s[4:5], 2
	ds_load_b128 v[108:111], v70
	ds_load_b128 v[112:115], v70 offset:1024
	s_add_u32 s4, s26, s4
	s_addc_u32 s5, s25, s5
	s_add_u32 s6, s22, s27
	s_load_b32 s4, s[4:5], 0x0
	s_addc_u32 s7, s23, s28
	v_add_co_u32 v9, s6, s6, v2
	s_delay_alu instid0(VALU_DEP_1) | instskip(SKIP_1) | instid1(VALU_DEP_1)
	v_add_co_ci_u32_e64 v10, null, s7, 0, s6
	s_waitcnt lgkmcnt(0)
	v_mad_i64_i32 v[1:2], null, s21, s17, v[9:10]
	v_mad_i64_i32 v[3:4], null, s13, s17, v[9:10]
	;; [unrolled: 1-line block ×7, first 2 shown]
	s_clause 0x9
	global_load_b128 v[57:60], v[1:2], off
	global_load_b128 v[61:64], v[1:2], off offset:16
	global_load_b128 v[41:44], v[3:4], off
	global_load_b128 v[45:48], v[3:4], off offset:16
	;; [unrolled: 2-line block ×5, first 2 shown]
	v_mad_i64_i32 v[68:69], null, s4, s17, v[9:10]
	s_clause 0x3
	global_load_b128 v[9:12], v[13:14], off
	global_load_b128 v[13:16], v[13:14], off offset:16
	global_load_b128 v[17:20], v[21:22], off
	global_load_b128 v[21:24], v[21:22], off offset:16
	s_waitcnt vmcnt(20)
	v_wmma_f32_16x16x16_bf16 v[116:123], v[49:56], v[108:115], v[100:107]
	s_clause 0x1
	global_load_b128 v[49:52], v[68:69], off
	global_load_b128 v[53:56], v[68:69], off offset:16
	v_and_b32_e32 v68, 0xe0, v0
	v_mbcnt_lo_u32_b32 v69, -1, 0
	s_delay_alu instid0(VALU_DEP_2)
	v_add_nc_u32_e32 v68, s12, v68
	s_waitcnt vmcnt(20)
	v_wmma_f32_16x16x16_bf16 v[100:107], v[76:83], v[108:115], v[100:107]
	ds_load_b128 v[76:79], v70 offset:2048
	ds_load_b128 v[80:83], v70 offset:3072
	v_xor_b32_e32 v70, 16, v69
	s_waitcnt vmcnt(0) lgkmcnt(0)
	v_or_b32_e32 v68, v68, v74
	s_barrier
	buffer_gl0_inv
	v_cmp_gt_i32_e32 vcc_lo, 32, v70
	v_or_b32_e32 v71, 4, v68
	v_or_b32_e32 v72, 6, v68
	v_cmp_gt_i32_e64 s3, s24, v68
	v_or_b32_e32 v108, 8, v68
	v_or_b32_e32 v109, 10, v68
	v_cmp_gt_i32_e64 s4, s24, v71
	v_cmp_gt_i32_e64 s5, s24, v72
	s_delay_alu instid0(VALU_DEP_4) | instskip(NEXT) | instid1(VALU_DEP_4)
	v_cmp_gt_i32_e64 s6, s24, v108
	v_cmp_gt_i32_e64 s7, s24, v109
	v_wmma_f32_16x16x16_bf16 v[116:123], v[84:91], v[76:83], v[116:123]
	v_cndmask_b32_e32 v69, v69, v70, vcc_lo
	v_or_b32_e32 v70, 2, v68
	v_wmma_f32_16x16x16_bf16 v[100:107], v[92:99], v[76:83], v[100:107]
	v_or_b32_e32 v84, 12, v68
	v_dual_mul_f32 v78, s19, v123 :: v_dual_mul_f32 v83, s19, v118
	v_dual_mul_f32 v92, s19, v117 :: v_dual_mul_f32 v93, s19, v116
	s_delay_alu instid0(VALU_DEP_4) | instskip(SKIP_2) | instid1(VALU_DEP_4)
	v_mul_f32_e32 v94, s19, v107
	v_cmp_gt_i32_e32 vcc_lo, s24, v70
	v_dual_mul_f32 v81, s19, v120 :: v_dual_mul_f32 v82, s19, v119
	v_cndmask_b32_e64 v93, 0xff7fffff, v93, s3
	v_or_b32_e32 v85, 14, v68
	v_cndmask_b32_e32 v92, 0xff7fffff, v92, vcc_lo
	v_dual_mul_f32 v79, s19, v122 :: v_dual_mul_f32 v80, s19, v121
	v_cndmask_b32_e64 v71, 0xff7fffff, v83, s4
	v_cndmask_b32_e64 v72, 0xff7fffff, v82, s5
	s_delay_alu instid0(VALU_DEP_4)
	v_max3_f32 v82, v93, 0xff7fffff, v92
	v_or_b32_e32 v86, 16, v68
	v_or_b32_e32 v87, 18, v68
	v_cndmask_b32_e64 v81, 0xff7fffff, v81, s6
	v_cndmask_b32_e64 v80, 0xff7fffff, v80, s7
	v_max3_f32 v71, v82, v71, v72
	v_cmp_gt_i32_e64 s8, s24, v84
	v_cmp_gt_i32_e64 s9, s24, v85
	v_or_b32_e32 v88, 20, v68
	v_or_b32_e32 v89, 22, v68
	;; [unrolled: 1-line block ×6, first 2 shown]
	v_dual_mul_f32 v99, s19, v102 :: v_dual_mul_f32 v70, s19, v101
	v_mul_f32_e32 v68, s19, v100
	v_cndmask_b32_e64 v72, 0xff7fffff, v79, s8
	v_cndmask_b32_e64 v78, 0xff7fffff, v78, s9
	v_max3_f32 v71, v71, v81, v80
	v_cmp_gt_i32_e64 s10, s24, v86
	v_cmp_gt_i32_e64 s11, s24, v87
	v_dual_mul_f32 v97, s19, v104 :: v_dual_mul_f32 v98, s19, v103
	s_delay_alu instid0(VALU_DEP_4) | instskip(SKIP_1) | instid1(VALU_DEP_4)
	v_max3_f32 v71, v71, v72, v78
	v_cmp_gt_i32_e64 s12, s24, v88
	v_cndmask_b32_e64 v70, 0xff7fffff, v70, s11
	v_cmp_gt_i32_e64 s13, s24, v89
	v_lshlrev_b32_e32 v89, 2, v69
	v_cndmask_b32_e64 v68, 0xff7fffff, v68, s10
	v_dual_mul_f32 v95, s19, v106 :: v_dual_mul_f32 v96, s19, v105
	v_cndmask_b32_e64 v72, 0xff7fffff, v99, s12
	v_cndmask_b32_e64 v78, 0xff7fffff, v98, s13
	s_delay_alu instid0(VALU_DEP_4)
	v_max3_f32 v68, v71, v68, v70
	v_cmp_gt_i32_e64 s15, s24, v90
	v_cmp_gt_i32_e64 s16, s24, v91
	;; [unrolled: 1-line block ×4, first 2 shown]
	v_max3_f32 v68, v68, v72, v78
	v_cndmask_b32_e64 v70, 0xff7fffff, v97, s15
	v_cndmask_b32_e64 v71, 0xff7fffff, v96, s16
	;; [unrolled: 1-line block ×4, first 2 shown]
	s_delay_alu instid0(VALU_DEP_3) | instskip(NEXT) | instid1(VALU_DEP_1)
	v_max3_f32 v68, v68, v70, v71
	v_max3_f32 v68, v68, v72, v76
	ds_bpermute_b32 v69, v89, v68
	s_waitcnt lgkmcnt(0)
	v_max_f32_e32 v69, v69, v69
	s_delay_alu instid0(VALU_DEP_1) | instskip(NEXT) | instid1(VALU_DEP_1)
	v_max_f32_e32 v68, v68, v69
	v_fma_f32 v71, s19, v118, -v68
	s_delay_alu instid0(VALU_DEP_1)
	v_mul_f32_e32 v71, 0x3fb8aa3b, v71
	v_fma_f32 v69, s19, v116, -v68
	v_fma_f32 v70, s19, v117, -v68
	;; [unrolled: 1-line block ×4, first 2 shown]
	v_exp_f32_e32 v71, v71
	s_delay_alu instid0(VALU_DEP_3) | instskip(SKIP_2) | instid1(VALU_DEP_3)
	v_dual_mul_f32 v69, 0x3fb8aa3b, v69 :: v_dual_mul_f32 v70, 0x3fb8aa3b, v70
	v_fma_f32 v78, s19, v122, -v68
	v_fma_f32 v81, s19, v105, -v68
	v_exp_f32_e32 v69, v69
	s_delay_alu instid0(VALU_DEP_3) | instskip(SKIP_1) | instid1(VALU_DEP_2)
	v_exp_f32_e32 v70, v70
	v_mul_f32_e32 v77, 0x3fb8aa3b, v76
	v_mul_f32_e32 v81, 0x3fb8aa3b, v81
	s_delay_alu instid0(TRANS32_DEP_3) | instskip(SKIP_1) | instid1(VALU_DEP_3)
	v_cndmask_b32_e64 v83, 0, v71, s4
	v_fma_f32 v71, s19, v123, -v68
	v_exp_f32_e32 v81, v81
	s_delay_alu instid0(TRANS32_DEP_3) | instskip(NEXT) | instid1(TRANS32_DEP_2)
	v_cndmask_b32_e64 v80, 0, v69, s3
	v_cndmask_b32_e32 v76, 0, v70, vcc_lo
	v_fma_f32 v69, s19, v121, -v68
	v_mul_f32_e32 v72, 0x3fb8aa3b, v72
	v_exp_f32_e32 v77, v77
	v_dual_add_f32 v70, 0, v80 :: v_dual_mul_f32 v71, 0x3fb8aa3b, v71
	s_delay_alu instid0(VALU_DEP_3) | instskip(NEXT) | instid1(VALU_DEP_3)
	v_mul_f32_e32 v69, 0x3fb8aa3b, v69
	v_exp_f32_e32 v72, v72
	v_cmp_gt_u32_e64 s3, 16, v67
	s_delay_alu instid0(VALU_DEP_3) | instskip(NEXT) | instid1(VALU_DEP_2)
	v_exp_f32_e32 v71, v71
	v_exp_f32_e32 v69, v69
	v_cndmask_b32_e64 v86, 0, v77, s6
	v_fma_f32 v77, s19, v101, -v68
	v_add_f32_e32 v70, v70, v76
	s_delay_alu instid0(TRANS32_DEP_3) | instskip(SKIP_1) | instid1(VALU_DEP_3)
	v_cndmask_b32_e64 v85, 0, v72, s5
	v_fma_f32 v72, s19, v100, -v68
	v_dual_mul_f32 v77, 0x3fb8aa3b, v77 :: v_dual_add_f32 v70, v70, v83
	s_delay_alu instid0(TRANS32_DEP_2) | instskip(SKIP_1) | instid1(TRANS32_DEP_1)
	v_cndmask_b32_e64 v88, 0, v71, s9
	v_fma_f32 v71, s19, v104, -v68
	v_cndmask_b32_e64 v87, 0, v69, s7
	s_delay_alu instid0(VALU_DEP_4) | instskip(NEXT) | instid1(VALU_DEP_2)
	v_exp_f32_e32 v77, v77
	v_dual_add_f32 v70, v70, v85 :: v_dual_mul_f32 v71, 0x3fb8aa3b, v71
	s_delay_alu instid0(VALU_DEP_1) | instskip(SKIP_2) | instid1(VALU_DEP_3)
	v_dual_mul_f32 v72, 0x3fb8aa3b, v72 :: v_dual_add_f32 v69, v70, v86
	v_mul_f32_e32 v78, 0x3fb8aa3b, v78
	v_fma_f32 v70, s19, v102, -v68
	v_exp_f32_e32 v72, v72
	v_exp_f32_e32 v82, v71
	v_add_f32_e32 v69, v69, v87
	v_exp_f32_e32 v78, v78
	v_mul_f32_e32 v70, 0x3fb8aa3b, v70
	s_delay_alu instid0(VALU_DEP_1) | instskip(SKIP_4) | instid1(VALU_DEP_2)
	v_exp_f32_e32 v79, v70
	v_cndmask_b32_e64 v70, 0, v72, s10
	s_waitcnt_depctr 0xfff
	v_cndmask_b32_e64 v84, 0, v78, s8
	v_fma_f32 v78, s19, v103, -v68
	v_add_f32_e32 v69, v69, v84
	v_cndmask_b32_e64 v71, 0, v79, s12
	s_delay_alu instid0(VALU_DEP_2) | instskip(SKIP_2) | instid1(VALU_DEP_1)
	v_add_f32_e32 v72, v69, v88
	v_cndmask_b32_e64 v69, 0, v77, s11
	v_fma_f32 v77, s19, v106, -v68
	v_dual_mul_f32 v77, 0x3fb8aa3b, v77 :: v_dual_add_f32 v72, v72, v70
	v_mul_f32_e32 v78, 0x3fb8aa3b, v78
	s_delay_alu instid0(VALU_DEP_2) | instskip(NEXT) | instid1(VALU_DEP_2)
	v_exp_f32_e32 v90, v77
	v_add_f32_e32 v79, v72, v69
	s_delay_alu instid0(VALU_DEP_2)
	v_exp_f32_e32 v78, v78
	v_cndmask_b32_e64 v77, 0, v82, s15
	s_waitcnt_depctr 0xfff
	v_cndmask_b32_e64 v72, 0, v78, s13
	v_add_f32_e32 v78, v79, v71
	v_fma_f32 v79, s19, v107, -v68
	s_delay_alu instid0(VALU_DEP_1) | instskip(SKIP_1) | instid1(VALU_DEP_2)
	v_dual_add_f32 v82, v78, v72 :: v_dual_mul_f32 v79, 0x3fb8aa3b, v79
	v_cndmask_b32_e64 v78, 0, v81, s16
	v_add_f32_e32 v81, v82, v77
	s_delay_alu instid0(VALU_DEP_3) | instskip(SKIP_1) | instid1(VALU_DEP_2)
	v_exp_f32_e32 v82, v79
	v_cndmask_b32_e64 v79, 0, v90, s17
	v_add_f32_e32 v81, v81, v78
	s_delay_alu instid0(VALU_DEP_1) | instskip(SKIP_2) | instid1(VALU_DEP_1)
	v_add_f32_e32 v90, v81, v79
	s_waitcnt_depctr 0xfff
	v_cndmask_b32_e64 v81, 0, v82, s18
	v_add_f32_e32 v82, v90, v81
	ds_bpermute_b32 v89, v89, v82
	s_and_saveexec_b32 s4, s3
	s_cbranch_execz .LBB1760_12
; %bb.11:
	v_mul_u32_u24_e32 v67, 0x44, v66
	s_delay_alu instid0(VALU_DEP_1) | instskip(SKIP_1) | instid1(VALU_DEP_1)
	v_lshl_add_u32 v67, v65, 2, v67
	s_waitcnt lgkmcnt(0)
	v_dual_add_f32 v82, v82, v89 :: v_dual_add_nc_u32 v67, 0x4000, v67
	ds_store_2addr_b32 v67, v68, v82 offset1:136
.LBB1760_12:
	s_or_b32 exec_lo, exec_lo, s4
	v_lshlrev_b32_e32 v67, 2, v65
	s_waitcnt lgkmcnt(0)
	s_barrier
	buffer_gl0_inv
	v_cmp_eq_u32_e32 vcc_lo, 1, v66
	v_add_nc_u32_e32 v82, 0x4000, v67
	v_cmp_eq_u32_e64 s4, 2, v66
	v_cmp_eq_u32_e64 s6, 7, v66
	ds_load_2addr_b32 v[89:90], v82 offset1:17
	ds_load_2addr_b32 v[91:92], v82 offset0:34 offset1:51
	ds_load_2addr_b32 v[93:94], v82 offset0:68 offset1:85
	;; [unrolled: 1-line block ×4, first 2 shown]
	s_waitcnt lgkmcnt(4)
	v_max3_f32 v67, v89, 0xff7fffff, v90
	s_waitcnt lgkmcnt(3)
	s_delay_alu instid0(VALU_DEP_1) | instskip(SKIP_1) | instid1(VALU_DEP_1)
	v_max3_f32 v67, v67, v91, v92
	s_waitcnt lgkmcnt(2)
	v_max3_f32 v67, v67, v93, v94
	s_waitcnt lgkmcnt(1)
	s_delay_alu instid0(VALU_DEP_1) | instskip(NEXT) | instid1(VALU_DEP_1)
	v_max3_f32 v67, v67, v95, v96
	v_sub_f32_e32 v93, v93, v67
	s_delay_alu instid0(VALU_DEP_1) | instskip(NEXT) | instid1(VALU_DEP_1)
	v_dual_sub_f32 v68, v89, v67 :: v_dual_mul_f32 v103, 0x3fb8aa3b, v93
	v_mul_f32_e32 v68, 0x3fb8aa3b, v68
	s_delay_alu instid0(VALU_DEP_1)
	v_exp_f32_e32 v100, v68
	v_sub_f32_e32 v68, v92, v67
	v_sub_f32_e32 v99, v90, v67
	ds_load_2addr_b32 v[89:90], v82 offset0:170 offset1:187
	v_dual_mul_f32 v102, 0x3fb8aa3b, v68 :: v_dual_mul_f32 v99, 0x3fb8aa3b, v99
	s_waitcnt lgkmcnt(1)
	v_fma_f32 v68, v100, v97, 0
	s_delay_alu instid0(VALU_DEP_2) | instskip(NEXT) | instid1(VALU_DEP_2)
	v_exp_f32_e32 v102, v102
	v_exp_f32_e32 v99, v99
	s_waitcnt_depctr 0xfff
	v_fmac_f32_e32 v68, v99, v98
	v_sub_f32_e32 v91, v91, v67
	s_delay_alu instid0(VALU_DEP_1)
	v_mul_f32_e32 v101, 0x3fb8aa3b, v91
	ds_load_2addr_b32 v[91:92], v82 offset0:204 offset1:221
	v_sub_f32_e32 v97, v94, v67
	ds_load_2addr_b32 v[93:94], v82 offset0:238 offset1:255
	s_waitcnt lgkmcnt(0)
	v_exp_f32_e32 v101, v101
	s_barrier
	buffer_gl0_inv
	v_dual_fmac_f32 v68, v101, v89 :: v_dual_sub_f32 v89, v96, v67
	v_dual_sub_f32 v82, v95, v67 :: v_dual_mul_f32 v95, 0x3fb8aa3b, v97
	v_exp_f32_e32 v97, v103
	s_delay_alu instid0(VALU_DEP_2) | instskip(NEXT) | instid1(VALU_DEP_2)
	v_dual_fmac_f32 v68, v102, v90 :: v_dual_mul_f32 v89, 0x3fb8aa3b, v89
	v_mul_f32_e32 v82, 0x3fb8aa3b, v82
	s_delay_alu instid0(VALU_DEP_3) | instskip(NEXT) | instid1(VALU_DEP_2)
	v_exp_f32_e32 v95, v95
	v_exp_f32_e32 v89, v89
	s_delay_alu instid0(VALU_DEP_1)
	v_exp_f32_e32 v82, v82
	v_fmac_f32_e32 v68, v97, v91
	s_delay_alu instid0(TRANS32_DEP_3) | instid1(VALU_DEP_1)
	v_fmac_f32_e32 v68, v95, v92
	s_waitcnt_depctr 0xfff
	v_fmac_f32_e32 v68, v82, v93
	s_delay_alu instid0(VALU_DEP_1) | instskip(NEXT) | instid1(VALU_DEP_1)
	v_fmac_f32_e32 v68, v89, v94
	v_add_f32_e32 v90, 0x358637bd, v68
	s_delay_alu instid0(VALU_DEP_1) | instskip(NEXT) | instid1(VALU_DEP_1)
	v_div_scale_f32 v91, null, v90, v90, 1.0
	v_rcp_f32_e32 v92, v91
	s_waitcnt_depctr 0xfff
	v_fma_f32 v93, -v91, v92, 1.0
	s_delay_alu instid0(VALU_DEP_1) | instskip(SKIP_1) | instid1(VALU_DEP_2)
	v_dual_fmac_f32 v92, v93, v92 :: v_dual_cndmask_b32 v93, v100, v99
	v_cmp_eq_u32_e32 vcc_lo, 3, v66
	v_cndmask_b32_e64 v93, v93, v101, s4
	v_cmp_eq_u32_e64 s4, 4, v66
	s_delay_alu instid0(VALU_DEP_2) | instskip(SKIP_1) | instid1(VALU_DEP_2)
	v_cndmask_b32_e32 v93, v93, v102, vcc_lo
	v_cmp_eq_u32_e32 vcc_lo, 5, v66
	v_cndmask_b32_e64 v93, v93, v97, s4
	v_cmp_eq_u32_e64 s4, 6, v66
	s_delay_alu instid0(VALU_DEP_2) | instskip(SKIP_1) | instid1(VALU_DEP_1)
	v_cndmask_b32_e32 v93, v93, v95, vcc_lo
	v_div_scale_f32 v94, s5, 1.0, v90, 1.0
	s_mov_b32 vcc_lo, s5
	s_delay_alu instid0(VALU_DEP_2) | instskip(NEXT) | instid1(VALU_DEP_2)
	v_cndmask_b32_e64 v82, v93, v82, s4
	v_mul_f32_e32 v96, v94, v92
	s_mov_b32 s4, exec_lo
	s_delay_alu instid0(VALU_DEP_2) | instskip(NEXT) | instid1(VALU_DEP_2)
	v_cndmask_b32_e64 v82, v82, v89, s6
	v_fma_f32 v98, -v91, v96, v94
	s_delay_alu instid0(VALU_DEP_1) | instskip(NEXT) | instid1(VALU_DEP_1)
	v_fmac_f32_e32 v96, v98, v92
	v_fma_f32 v91, -v91, v96, v94
	s_delay_alu instid0(VALU_DEP_1) | instskip(NEXT) | instid1(VALU_DEP_1)
	v_div_fmas_f32 v91, v91, v92, v96
	v_div_fixup_f32 v90, v91, v90, 1.0
	s_delay_alu instid0(VALU_DEP_1) | instskip(NEXT) | instid1(VALU_DEP_1)
	v_mul_f32_e32 v82, v82, v90
	v_mul_f32_e32 v87, v82, v87
	;; [unrolled: 1-line block ×7, first 2 shown]
	v_dual_mul_f32 v86, v82, v83 :: v_dual_and_b32 v91, 0x7f800000, v90
	v_mul_f32_e32 v85, v82, v76
                                        ; implicit-def: $vgpr76
	s_delay_alu instid0(VALU_DEP_2)
	v_cmpx_ne_u32_e32 0x7f800000, v91
	s_xor_b32 s4, exec_lo, s4
; %bb.13:
	v_bfe_u32 v76, v90, 16, 1
	s_delay_alu instid0(VALU_DEP_1)
	v_add3_u32 v76, v90, v76, 0x7fff
                                        ; implicit-def: $vgpr90
; %bb.14:
	s_and_not1_saveexec_b32 s4, s4
; %bb.15:
	v_and_b32_e32 v76, 0xffff, v90
	v_or_b32_e32 v83, 0x10000, v90
	s_delay_alu instid0(VALU_DEP_2) | instskip(NEXT) | instid1(VALU_DEP_2)
	v_cmp_eq_u32_e32 vcc_lo, 0, v76
	v_cndmask_b32_e32 v76, v83, v90, vcc_lo
; %bb.16:
	s_or_b32 exec_lo, exec_lo, s4
	v_and_b32_e32 v83, 0x7f800000, v85
	s_delay_alu instid0(VALU_DEP_1) | instskip(SKIP_1) | instid1(SALU_CYCLE_1)
	v_cmp_ne_u32_e32 vcc_lo, 0x7f800000, v83
                                        ; implicit-def: $vgpr83
	s_and_saveexec_b32 s4, vcc_lo
	s_xor_b32 s4, exec_lo, s4
; %bb.17:
	v_bfe_u32 v83, v85, 16, 1
	s_delay_alu instid0(VALU_DEP_1)
	v_add3_u32 v83, v85, v83, 0x7fff
                                        ; implicit-def: $vgpr85
; %bb.18:
	s_and_not1_saveexec_b32 s4, s4
; %bb.19:
	v_and_b32_e32 v83, 0xffff, v85
	v_or_b32_e32 v90, 0x10000, v85
	s_delay_alu instid0(VALU_DEP_2) | instskip(NEXT) | instid1(VALU_DEP_2)
	v_cmp_eq_u32_e32 vcc_lo, 0, v83
	v_cndmask_b32_e32 v83, v90, v85, vcc_lo
; %bb.20:
	s_or_b32 exec_lo, exec_lo, s4
	v_and_b32_e32 v85, 0x7f800000, v86
	s_delay_alu instid0(VALU_DEP_1) | instskip(SKIP_1) | instid1(SALU_CYCLE_1)
	v_cmp_ne_u32_e32 vcc_lo, 0x7f800000, v85
                                        ; implicit-def: $vgpr85
	s_and_saveexec_b32 s4, vcc_lo
	s_xor_b32 s4, exec_lo, s4
; %bb.21:
	v_bfe_u32 v85, v86, 16, 1
	s_delay_alu instid0(VALU_DEP_1)
	v_add3_u32 v85, v86, v85, 0x7fff
                                        ; implicit-def: $vgpr86
; %bb.22:
	s_and_not1_saveexec_b32 s4, s4
; %bb.23:
	v_and_b32_e32 v85, 0xffff, v86
	v_or_b32_e32 v90, 0x10000, v86
	s_delay_alu instid0(VALU_DEP_2) | instskip(NEXT) | instid1(VALU_DEP_2)
	v_cmp_eq_u32_e32 vcc_lo, 0, v85
	v_cndmask_b32_e32 v85, v90, v86, vcc_lo
; %bb.24:
	s_or_b32 exec_lo, exec_lo, s4
	v_and_b32_e32 v86, 0x7f800000, v89
	s_delay_alu instid0(VALU_DEP_1) | instskip(SKIP_1) | instid1(SALU_CYCLE_1)
	v_cmp_ne_u32_e32 vcc_lo, 0x7f800000, v86
                                        ; implicit-def: $vgpr86
	s_and_saveexec_b32 s4, vcc_lo
	s_xor_b32 s4, exec_lo, s4
; %bb.25:
	v_bfe_u32 v86, v89, 16, 1
	s_delay_alu instid0(VALU_DEP_1)
	v_add3_u32 v86, v89, v86, 0x7fff
                                        ; implicit-def: $vgpr89
; %bb.26:
	s_and_not1_saveexec_b32 s4, s4
; %bb.27:
	v_and_b32_e32 v86, 0xffff, v89
	v_or_b32_e32 v90, 0x10000, v89
	s_delay_alu instid0(VALU_DEP_2) | instskip(NEXT) | instid1(VALU_DEP_2)
	v_cmp_eq_u32_e32 vcc_lo, 0, v86
	v_cndmask_b32_e32 v86, v90, v89, vcc_lo
; %bb.28:
	s_or_b32 exec_lo, exec_lo, s4
	v_and_b32_e32 v89, 0x7f800000, v88
	s_delay_alu instid0(VALU_DEP_1) | instskip(SKIP_1) | instid1(SALU_CYCLE_1)
	v_cmp_ne_u32_e32 vcc_lo, 0x7f800000, v89
                                        ; implicit-def: $vgpr89
	s_and_saveexec_b32 s4, vcc_lo
	s_xor_b32 s4, exec_lo, s4
; %bb.29:
	v_bfe_u32 v89, v88, 16, 1
	s_delay_alu instid0(VALU_DEP_1)
	v_add3_u32 v89, v88, v89, 0x7fff
                                        ; implicit-def: $vgpr88
; %bb.30:
	s_and_not1_saveexec_b32 s4, s4
; %bb.31:
	v_and_b32_e32 v89, 0xffff, v88
	v_or_b32_e32 v90, 0x10000, v88
	s_delay_alu instid0(VALU_DEP_2) | instskip(NEXT) | instid1(VALU_DEP_2)
	v_cmp_eq_u32_e32 vcc_lo, 0, v89
	v_cndmask_b32_e32 v89, v90, v88, vcc_lo
; %bb.32:
	s_or_b32 exec_lo, exec_lo, s4
	v_and_b32_e32 v88, 0x7f800000, v87
	s_delay_alu instid0(VALU_DEP_1) | instskip(SKIP_1) | instid1(SALU_CYCLE_1)
	v_cmp_ne_u32_e32 vcc_lo, 0x7f800000, v88
                                        ; implicit-def: $vgpr88
	s_and_saveexec_b32 s4, vcc_lo
	s_xor_b32 s4, exec_lo, s4
; %bb.33:
	v_bfe_u32 v88, v87, 16, 1
	s_delay_alu instid0(VALU_DEP_1)
	v_add3_u32 v88, v87, v88, 0x7fff
                                        ; implicit-def: $vgpr87
; %bb.34:
	s_and_not1_saveexec_b32 s4, s4
; %bb.35:
	v_and_b32_e32 v88, 0xffff, v87
	v_or_b32_e32 v90, 0x10000, v87
	s_delay_alu instid0(VALU_DEP_2) | instskip(NEXT) | instid1(VALU_DEP_2)
	v_cmp_eq_u32_e32 vcc_lo, 0, v88
	v_cndmask_b32_e32 v88, v90, v87, vcc_lo
; %bb.36:
	s_or_b32 exec_lo, exec_lo, s4
	v_and_b32_e32 v87, 0x7f800000, v84
	s_delay_alu instid0(VALU_DEP_1) | instskip(SKIP_1) | instid1(SALU_CYCLE_1)
	v_cmp_ne_u32_e32 vcc_lo, 0x7f800000, v87
                                        ; implicit-def: $vgpr87
	s_and_saveexec_b32 s4, vcc_lo
	s_xor_b32 s4, exec_lo, s4
; %bb.37:
	v_bfe_u32 v87, v84, 16, 1
	s_delay_alu instid0(VALU_DEP_1)
	v_add3_u32 v87, v84, v87, 0x7fff
                                        ; implicit-def: $vgpr84
; %bb.38:
	s_and_not1_saveexec_b32 s4, s4
; %bb.39:
	v_and_b32_e32 v87, 0xffff, v84
	v_or_b32_e32 v90, 0x10000, v84
	s_delay_alu instid0(VALU_DEP_2) | instskip(NEXT) | instid1(VALU_DEP_2)
	v_cmp_eq_u32_e32 vcc_lo, 0, v87
	v_cndmask_b32_e32 v87, v90, v84, vcc_lo
; %bb.40:
	s_or_b32 exec_lo, exec_lo, s4
	v_and_b32_e32 v84, 0x7f800000, v80
	s_delay_alu instid0(VALU_DEP_1) | instskip(SKIP_1) | instid1(SALU_CYCLE_1)
	v_cmp_ne_u32_e32 vcc_lo, 0x7f800000, v84
                                        ; implicit-def: $vgpr84
	s_and_saveexec_b32 s4, vcc_lo
	s_xor_b32 s4, exec_lo, s4
; %bb.41:
	v_bfe_u32 v84, v80, 16, 1
	s_delay_alu instid0(VALU_DEP_1)
	v_add3_u32 v84, v80, v84, 0x7fff
                                        ; implicit-def: $vgpr80
; %bb.42:
	s_and_not1_saveexec_b32 s4, s4
; %bb.43:
	v_and_b32_e32 v84, 0xffff, v80
	v_or_b32_e32 v90, 0x10000, v80
	s_delay_alu instid0(VALU_DEP_2) | instskip(NEXT) | instid1(VALU_DEP_2)
	v_cmp_eq_u32_e32 vcc_lo, 0, v84
	v_cndmask_b32_e32 v84, v90, v80, vcc_lo
; %bb.44:
	s_or_b32 exec_lo, exec_lo, s4
	s_load_b64 s[36:37], s[0:1], 0x94
	v_lshlrev_b32_e32 v91, 4, v74
	s_delay_alu instid0(VALU_DEP_2)
	v_perm_b32 v90, v84, v87, 0x7060302
	v_dual_mul_f32 v79, v82, v79 :: v_dual_lshlrev_b32 v80, 6, v65
	v_dual_mul_f32 v77, v82, v77 :: v_dual_lshlrev_b32 v92, 11, v66
	v_mul_f32_e32 v84, v82, v70
	v_perm_b32 v89, v88, v89, 0x7060302
	v_perm_b32 v88, v86, v85, 0x7060302
	v_perm_b32 v87, v83, v76, 0x7060302
	v_mul_f32_e32 v70, v82, v81
	v_or3_b32 v76, v91, v92, v80
	v_dual_mul_f32 v78, v82, v78 :: v_dual_and_b32 v85, 0x7f800000, v84
	v_mul_f32_e32 v83, v82, v72
	v_mul_f32_e32 v81, v82, v71
	;; [unrolled: 1-line block ×3, first 2 shown]
	s_mov_b32 s4, exec_lo
	ds_store_b128 v76, v[87:90]
                                        ; implicit-def: $vgpr69
	v_cmpx_ne_u32_e32 0x7f800000, v85
	s_xor_b32 s4, exec_lo, s4
; %bb.45:
	v_bfe_u32 v69, v84, 16, 1
	s_delay_alu instid0(VALU_DEP_1)
	v_add3_u32 v69, v84, v69, 0x7fff
                                        ; implicit-def: $vgpr84
; %bb.46:
	s_and_not1_saveexec_b32 s4, s4
; %bb.47:
	v_and_b32_e32 v69, 0xffff, v84
	v_or_b32_e32 v71, 0x10000, v84
	s_delay_alu instid0(VALU_DEP_2) | instskip(NEXT) | instid1(VALU_DEP_2)
	v_cmp_eq_u32_e32 vcc_lo, 0, v69
	v_cndmask_b32_e32 v69, v71, v84, vcc_lo
; %bb.48:
	s_or_b32 exec_lo, exec_lo, s4
	v_and_b32_e32 v71, 0x7f800000, v72
	s_delay_alu instid0(VALU_DEP_1) | instskip(SKIP_1) | instid1(SALU_CYCLE_1)
	v_cmp_ne_u32_e32 vcc_lo, 0x7f800000, v71
                                        ; implicit-def: $vgpr71
	s_and_saveexec_b32 s4, vcc_lo
	s_xor_b32 s4, exec_lo, s4
; %bb.49:
	v_bfe_u32 v71, v72, 16, 1
	s_delay_alu instid0(VALU_DEP_1)
	v_add3_u32 v71, v72, v71, 0x7fff
                                        ; implicit-def: $vgpr72
; %bb.50:
	s_and_not1_saveexec_b32 s4, s4
; %bb.51:
	v_and_b32_e32 v71, 0xffff, v72
	v_or_b32_e32 v82, 0x10000, v72
	s_delay_alu instid0(VALU_DEP_2) | instskip(NEXT) | instid1(VALU_DEP_2)
	v_cmp_eq_u32_e32 vcc_lo, 0, v71
	v_cndmask_b32_e32 v71, v82, v72, vcc_lo
; %bb.52:
	s_or_b32 exec_lo, exec_lo, s4
	v_and_b32_e32 v72, 0x7f800000, v81
	s_delay_alu instid0(VALU_DEP_1) | instskip(SKIP_1) | instid1(SALU_CYCLE_1)
	v_cmp_ne_u32_e32 vcc_lo, 0x7f800000, v72
                                        ; implicit-def: $vgpr72
	s_and_saveexec_b32 s4, vcc_lo
	s_xor_b32 s4, exec_lo, s4
; %bb.53:
	v_bfe_u32 v72, v81, 16, 1
	s_delay_alu instid0(VALU_DEP_1)
	v_add3_u32 v72, v81, v72, 0x7fff
                                        ; implicit-def: $vgpr81
; %bb.54:
	s_and_not1_saveexec_b32 s4, s4
; %bb.55:
	v_and_b32_e32 v72, 0xffff, v81
	v_or_b32_e32 v82, 0x10000, v81
	s_delay_alu instid0(VALU_DEP_2) | instskip(NEXT) | instid1(VALU_DEP_2)
	v_cmp_eq_u32_e32 vcc_lo, 0, v72
	v_cndmask_b32_e32 v72, v82, v81, vcc_lo
; %bb.56:
	s_or_b32 exec_lo, exec_lo, s4
	v_and_b32_e32 v81, 0x7f800000, v83
	s_delay_alu instid0(VALU_DEP_1) | instskip(SKIP_1) | instid1(SALU_CYCLE_1)
	v_cmp_ne_u32_e32 vcc_lo, 0x7f800000, v81
                                        ; implicit-def: $vgpr81
	s_and_saveexec_b32 s4, vcc_lo
	s_xor_b32 s4, exec_lo, s4
; %bb.57:
	v_bfe_u32 v81, v83, 16, 1
	s_delay_alu instid0(VALU_DEP_1)
	v_add3_u32 v81, v83, v81, 0x7fff
                                        ; implicit-def: $vgpr83
; %bb.58:
	s_and_not1_saveexec_b32 s4, s4
; %bb.59:
	v_and_b32_e32 v81, 0xffff, v83
	v_or_b32_e32 v82, 0x10000, v83
	s_delay_alu instid0(VALU_DEP_2) | instskip(NEXT) | instid1(VALU_DEP_2)
	v_cmp_eq_u32_e32 vcc_lo, 0, v81
	v_cndmask_b32_e32 v81, v82, v83, vcc_lo
; %bb.60:
	s_or_b32 exec_lo, exec_lo, s4
	v_and_b32_e32 v82, 0x7f800000, v77
	s_delay_alu instid0(VALU_DEP_1) | instskip(SKIP_1) | instid1(SALU_CYCLE_1)
	v_cmp_ne_u32_e32 vcc_lo, 0x7f800000, v82
                                        ; implicit-def: $vgpr82
	s_and_saveexec_b32 s4, vcc_lo
	s_xor_b32 s4, exec_lo, s4
; %bb.61:
	v_bfe_u32 v82, v77, 16, 1
	s_delay_alu instid0(VALU_DEP_1)
	v_add3_u32 v82, v77, v82, 0x7fff
                                        ; implicit-def: $vgpr77
; %bb.62:
	s_and_not1_saveexec_b32 s4, s4
; %bb.63:
	v_and_b32_e32 v82, 0xffff, v77
	v_or_b32_e32 v83, 0x10000, v77
	s_delay_alu instid0(VALU_DEP_2) | instskip(NEXT) | instid1(VALU_DEP_2)
	v_cmp_eq_u32_e32 vcc_lo, 0, v82
	v_cndmask_b32_e32 v82, v83, v77, vcc_lo
; %bb.64:
	s_or_b32 exec_lo, exec_lo, s4
	v_and_b32_e32 v77, 0x7f800000, v78
	s_delay_alu instid0(VALU_DEP_1) | instskip(SKIP_1) | instid1(SALU_CYCLE_1)
	v_cmp_ne_u32_e32 vcc_lo, 0x7f800000, v77
                                        ; implicit-def: $vgpr77
	s_and_saveexec_b32 s4, vcc_lo
	s_xor_b32 s4, exec_lo, s4
; %bb.65:
	v_bfe_u32 v77, v78, 16, 1
	s_delay_alu instid0(VALU_DEP_1)
	v_add3_u32 v77, v78, v77, 0x7fff
                                        ; implicit-def: $vgpr78
; %bb.66:
	s_and_not1_saveexec_b32 s4, s4
; %bb.67:
	v_and_b32_e32 v77, 0xffff, v78
	v_or_b32_e32 v83, 0x10000, v78
	s_delay_alu instid0(VALU_DEP_2) | instskip(NEXT) | instid1(VALU_DEP_2)
	v_cmp_eq_u32_e32 vcc_lo, 0, v77
	v_cndmask_b32_e32 v77, v83, v78, vcc_lo
; %bb.68:
	s_or_b32 exec_lo, exec_lo, s4
	v_and_b32_e32 v78, 0x7f800000, v79
	s_delay_alu instid0(VALU_DEP_1) | instskip(SKIP_1) | instid1(SALU_CYCLE_1)
	v_cmp_ne_u32_e32 vcc_lo, 0x7f800000, v78
                                        ; implicit-def: $vgpr78
	s_and_saveexec_b32 s4, vcc_lo
	s_xor_b32 s4, exec_lo, s4
; %bb.69:
	v_bfe_u32 v78, v79, 16, 1
	s_delay_alu instid0(VALU_DEP_1)
	v_add3_u32 v78, v79, v78, 0x7fff
                                        ; implicit-def: $vgpr79
; %bb.70:
	s_and_not1_saveexec_b32 s4, s4
; %bb.71:
	v_and_b32_e32 v78, 0xffff, v79
	v_or_b32_e32 v83, 0x10000, v79
	s_delay_alu instid0(VALU_DEP_2) | instskip(NEXT) | instid1(VALU_DEP_2)
	v_cmp_eq_u32_e32 vcc_lo, 0, v78
	v_cndmask_b32_e32 v78, v83, v79, vcc_lo
; %bb.72:
	s_or_b32 exec_lo, exec_lo, s4
	v_and_b32_e32 v79, 0x7f800000, v70
	s_delay_alu instid0(VALU_DEP_1) | instskip(SKIP_1) | instid1(SALU_CYCLE_1)
	v_cmp_ne_u32_e32 vcc_lo, 0x7f800000, v79
                                        ; implicit-def: $vgpr79
	s_and_saveexec_b32 s4, vcc_lo
	s_xor_b32 s4, exec_lo, s4
; %bb.73:
	v_bfe_u32 v79, v70, 16, 1
	s_delay_alu instid0(VALU_DEP_1)
	v_add3_u32 v79, v70, v79, 0x7fff
                                        ; implicit-def: $vgpr70
; %bb.74:
	s_and_not1_saveexec_b32 s4, s4
; %bb.75:
	v_and_b32_e32 v79, 0xffff, v70
	v_or_b32_e32 v83, 0x10000, v70
	s_delay_alu instid0(VALU_DEP_2) | instskip(NEXT) | instid1(VALU_DEP_2)
	v_cmp_eq_u32_e32 vcc_lo, 0, v79
	v_cndmask_b32_e32 v79, v83, v70, vcc_lo
; %bb.76:
	s_or_b32 exec_lo, exec_lo, s4
	s_delay_alu instid0(VALU_DEP_1)
	v_perm_b32 v86, v79, v78, 0x7060302
	v_perm_b32 v85, v77, v82, 0x7060302
	;; [unrolled: 1-line block ×4, first 2 shown]
	v_lshl_or_b32 v82, v66, 11, v80
	ds_store_b128 v76, v[83:86] offset:1024
	s_waitcnt lgkmcnt(0)
	s_barrier
	buffer_gl0_inv
	ds_load_b128 v[69:72], v82
	ds_load_b128 v[83:86], v82 offset:16
	s_waitcnt lgkmcnt(1)
	v_lshrrev_b32_e32 v66, 16, v69
	s_waitcnt lgkmcnt(0)
	v_lshrrev_b32_e32 v91, 16, v83
	v_lshlrev_b32_e32 v78, 2, v74
	v_lshrrev_b32_e32 v95, 16, v70
	v_lshrrev_b32_e32 v98, 16, v84
	;; [unrolled: 1-line block ×4, first 2 shown]
	v_cmp_eq_u32_e32 vcc_lo, 1, v78
	v_lshrrev_b32_e32 v97, 16, v72
	v_lshrrev_b32_e32 v100, 16, v86
	v_cndmask_b32_e32 v87, v83, v91, vcc_lo
	v_or_b32_e32 v79, 1, v78
	v_cndmask_b32_e32 v81, v69, v66, vcc_lo
	v_cmp_eq_u32_e64 s5, 2, v78
	v_cmp_eq_u32_e64 s8, 3, v78
	;; [unrolled: 1-line block ×5, first 2 shown]
	v_cndmask_b32_e64 v81, v81, v70, s5
	v_cndmask_b32_e64 v87, v87, v84, s5
	v_cmp_eq_u32_e64 s9, 3, v79
	v_cndmask_b32_e64 v88, v69, v66, s4
	v_or_b32_e32 v77, 2, v78
	v_cndmask_b32_e64 v81, v81, v95, s8
	v_cndmask_b32_e64 v87, v87, v98, s8
	;; [unrolled: 1-line block ×4, first 2 shown]
	v_cmp_eq_u32_e64 s11, 5, v78
	v_cndmask_b32_e64 v81, v81, v71, s10
	v_cndmask_b32_e64 v87, v87, v85, s10
	v_cmp_eq_u32_e64 s12, 4, v79
	v_cndmask_b32_e64 v88, v88, v95, s9
	v_cmp_eq_u32_e64 s6, 1, v77
	v_cndmask_b32_e64 v89, v89, v84, s7
	v_cndmask_b32_e64 v81, v81, v96, s11
	v_cmp_eq_u32_e64 s13, 6, v78
	v_cndmask_b32_e64 v88, v88, v71, s12
	;; [unrolled: 3-line block ×3, first 2 shown]
	v_cndmask_b32_e64 v89, v89, v98, s9
	v_cndmask_b32_e64 v81, v81, v72, s13
	v_cmp_eq_u32_e64 s16, 7, v78
	v_cndmask_b32_e64 v88, v88, v96, s15
	v_cndmask_b32_e64 v87, v87, v86, s13
	v_cmp_eq_u32_e64 s17, 6, v79
	v_cmp_eq_u32_e64 s18, 2, v77
	v_cndmask_b32_e64 v89, v89, v85, s12
	v_cndmask_b32_e64 v101, v81, v97, s16
	;; [unrolled: 1-line block ×6, first 2 shown]
	v_cmp_eq_u32_e64 s19, 7, v79
	v_cmp_eq_u32_e64 s20, 3, v77
	;; [unrolled: 1-line block ×4, first 2 shown]
	v_cndmask_b32_e64 v87, v87, v84, s18
	v_cndmask_b32_e64 v103, v88, v97, s19
	;; [unrolled: 1-line block ×4, first 2 shown]
	v_or_b32_e32 v81, 3, v78
	v_cndmask_b32_e64 v93, v87, v98, s20
	v_cmp_eq_u32_e64 s25, 6, v77
	v_cndmask_b32_e64 v104, v88, v86, s17
	v_cndmask_b32_e64 v92, v89, v71, s21
	v_cmp_eq_u32_e64 s22, 1, v81
	ds_load_b128 v[87:90], v82 offset:1024
	v_cmp_eq_u32_e64 s24, 2, v81
	v_cmp_eq_u32_e64 s26, 3, v81
	v_cndmask_b32_e64 v105, v92, v96, s23
	v_cndmask_b32_e64 v66, v69, v66, s22
	;; [unrolled: 1-line block ×4, first 2 shown]
	ds_load_b128 v[91:94], v82 offset:1040
	v_cmp_eq_u32_e64 s27, 4, v81
	v_cndmask_b32_e64 v66, v66, v70, s24
	v_cmp_eq_u32_e64 s28, 7, v77
	v_cndmask_b32_e64 v70, v83, v84, s24
	v_cndmask_b32_e64 v84, v105, v72, s25
	v_cmp_eq_u32_e64 s29, 5, v81
	v_cndmask_b32_e64 v66, v66, v95, s26
	v_cmp_eq_u32_e64 s30, 6, v81
	v_cndmask_b32_e64 v70, v70, v98, s26
	v_cndmask_b32_e64 v69, v69, v99, s23
	;; [unrolled: 1-line block ×4, first 2 shown]
	s_waitcnt lgkmcnt(1)
	v_lshrrev_b32_e32 v95, 16, v87
	v_cndmask_b32_e64 v70, v70, v85, s27
	v_cndmask_b32_e64 v71, v84, v97, s28
	;; [unrolled: 1-line block ×4, first 2 shown]
	v_cndmask_b32_e32 v84, v87, v95, vcc_lo
	v_cndmask_b32_e64 v70, v70, v99, s29
	s_waitcnt lgkmcnt(0)
	v_lshrrev_b32_e32 v85, 16, v91
	v_lshrrev_b32_e32 v96, 16, v88
	v_cndmask_b32_e64 v98, v87, v95, s4
	v_cndmask_b32_e64 v84, v84, v88, s5
	;; [unrolled: 1-line block ×3, first 2 shown]
	v_cndmask_b32_e32 v99, v91, v85, vcc_lo
	v_cmp_eq_u32_e32 vcc_lo, 7, v81
	v_cndmask_b32_e64 v66, v66, v72, s30
	v_cndmask_b32_e64 v72, v84, v96, s8
	;; [unrolled: 1-line block ×3, first 2 shown]
	v_lshrrev_b32_e32 v98, 16, v92
	v_cndmask_b32_e32 v70, v70, v100, vcc_lo
	v_cndmask_b32_e64 v86, v99, v92, s5
	v_cndmask_b32_e64 v69, v69, v100, s28
	v_lshrrev_b32_e32 v100, 16, v93
	v_cndmask_b32_e64 v72, v72, v89, s10
	v_lshrrev_b32_e32 v99, 16, v89
	v_cndmask_b32_e64 v86, v86, v98, s8
	v_perm_b32 v71, v69, v71, 0x5040100
	v_cndmask_b32_e64 v84, v84, v96, s9
	s_delay_alu instid0(VALU_DEP_3) | instskip(NEXT) | instid1(VALU_DEP_2)
	v_cndmask_b32_e64 v86, v86, v93, s10
	v_cndmask_b32_e64 v84, v84, v89, s12
	s_delay_alu instid0(VALU_DEP_2) | instskip(NEXT) | instid1(VALU_DEP_1)
	v_cndmask_b32_e64 v86, v86, v100, s11
	v_cndmask_b32_e64 v69, v86, v94, s13
	v_cndmask_b32_e64 v86, v87, v95, s6
	v_cndmask_b32_e64 v87, v87, v95, s22
	v_cndmask_b32_e64 v95, v91, v85, s22
	s_delay_alu instid0(VALU_DEP_3) | instskip(NEXT) | instid1(VALU_DEP_3)
	v_cndmask_b32_e64 v86, v86, v88, s18
	v_cndmask_b32_e64 v87, v87, v88, s24
	s_delay_alu instid0(VALU_DEP_3) | instskip(NEXT) | instid1(VALU_DEP_3)
	v_cndmask_b32_e64 v88, v95, v92, s24
	v_cndmask_b32_e64 v86, v86, v96, s20
	;; [unrolled: 3-line block ×7, first 2 shown]
	s_delay_alu instid0(VALU_DEP_3) | instskip(SKIP_2) | instid1(VALU_DEP_2)
	v_cndmask_b32_e64 v88, v88, v94, s30
	v_cndmask_b32_e32 v66, v66, v97, vcc_lo
	v_cndmask_b32_e64 v97, v72, v99, s11
	v_perm_b32 v72, v70, v66, 0x5040100
	v_perm_b32 v70, v83, v103, 0x5040100
	v_cndmask_b32_e64 v103, v91, v85, s6
	v_cndmask_b32_e64 v85, v91, v85, s4
	v_cndmask_b32_e64 v66, v84, v99, s15
	v_cndmask_b32_e64 v84, v97, v90, s13
	v_lshrrev_b32_e32 v97, 16, v90
	v_cndmask_b32_e64 v91, v103, v92, s18
	v_cndmask_b32_e64 v85, v85, v92, s7
	;; [unrolled: 1-line block ×3, first 2 shown]
	s_mov_b32 s4, exec_lo
	v_cndmask_b32_e64 v83, v84, v97, s16
	v_cndmask_b32_e64 v91, v91, v98, s20
	;; [unrolled: 1-line block ×3, first 2 shown]
	v_lshrrev_b32_e32 v84, 16, v94
	v_cndmask_b32_e64 v66, v66, v97, s19
	v_cndmask_b32_e64 v90, v86, v97, s28
	;; [unrolled: 1-line block ×4, first 2 shown]
	v_dual_cndmask_b32 v86, v87, v97 :: v_dual_cndmask_b32 v87, v88, v84
	v_cndmask_b32_e64 v91, v69, v84, s16
	s_delay_alu instid0(VALU_DEP_4) | instskip(NEXT) | instid1(VALU_DEP_4)
	v_cndmask_b32_e64 v89, v89, v100, s23
	v_cndmask_b32_e64 v85, v85, v100, s15
	v_perm_b32 v69, v102, v101, 0x5040100
	v_perm_b32 v86, v87, v86, 0x5040100
	;; [unrolled: 1-line block ×3, first 2 shown]
	v_cndmask_b32_e64 v89, v89, v94, s25
	v_cndmask_b32_e64 v85, v85, v94, s17
	s_mul_i32 s9, s37, 3
	s_delay_alu instid0(VALU_DEP_2) | instskip(NEXT) | instid1(VALU_DEP_2)
	v_cndmask_b32_e64 v88, v89, v84, s28
	v_cndmask_b32_e64 v89, v85, v84, s19
	s_delay_alu instid0(VALU_DEP_2) | instskip(NEXT) | instid1(VALU_DEP_2)
	v_perm_b32 v85, v88, v90, 0x5040100
	v_perm_b32 v84, v89, v66, 0x5040100
	ds_store_b128 v76, v[69:72]
	ds_store_b128 v76, v[83:86] offset:1024
	v_cmpx_gt_u32_e32 3, v0
	s_cbranch_execz .LBB1760_78
; %bb.77:
	s_mul_i32 s5, s9, s34
	s_load_b128 s[16:19], s[0:1], 0x58
	v_add3_u32 v69, s5, s31, v65
	s_delay_alu instid0(VALU_DEP_1) | instskip(NEXT) | instid1(VALU_DEP_1)
	v_mad_u64_u32 v[65:66], null, v69, s36, s[14:15]
	v_ashrrev_i32_e32 v66, 31, v65
	s_delay_alu instid0(VALU_DEP_1) | instskip(SKIP_1) | instid1(VALU_DEP_1)
	v_lshlrev_b64 v[65:66], 2, v[65:66]
	s_waitcnt lgkmcnt(0)
	v_add_co_u32 v69, vcc_lo, s18, v65
	s_delay_alu instid0(VALU_DEP_2)
	v_add_co_ci_u32_e32 v70, vcc_lo, s19, v66, vcc_lo
	v_add_co_u32 v65, vcc_lo, s16, v65
	v_add_co_ci_u32_e32 v66, vcc_lo, s17, v66, vcc_lo
	global_store_b32 v[69:70], v67, off
	global_store_b32 v[65:66], v68, off
.LBB1760_78:
	s_or_b32 exec_lo, exec_lo, s4
	s_waitcnt lgkmcnt(0)
	s_waitcnt_vscnt null, 0x0
	s_barrier
	buffer_gl0_inv
	ds_load_b128 v[83:86], v80
	ds_load_b128 v[87:90], v80 offset:16
	ds_load_b128 v[95:98], v80 offset:2064
	;; [unrolled: 1-line block ×3, first 2 shown]
	v_mov_b32_e32 v65, 0
	ds_load_b128 v[103:106], v80 offset:4112
	ds_load_b128 v[99:102], v80 offset:4096
	;; [unrolled: 1-line block ×4, first 2 shown]
	v_mov_b32_e32 v66, v65
	v_mov_b32_e32 v67, v65
	;; [unrolled: 1-line block ×7, first 2 shown]
	s_waitcnt lgkmcnt(6)
	s_delay_alu instid0(VALU_DEP_1)
	v_wmma_f32_16x16x16_bf16 v[65:72], v[57:64], v[83:90], v[65:72]
	ds_load_b128 v[61:64], v80 offset:8208
	ds_load_b128 v[57:60], v80 offset:8192
	s_waitcnt lgkmcnt(6)
	v_wmma_f32_16x16x16_bf16 v[65:72], v[41:48], v[91:98], v[65:72]
	ds_load_b128 v[45:48], v80 offset:10256
	ds_load_b128 v[41:44], v80 offset:10240
	s_waitcnt lgkmcnt(6)
	;; [unrolled: 4-line block ×4, first 2 shown]
	v_wmma_f32_16x16x16_bf16 v[65:72], v[1:8], v[57:64], v[65:72]
	s_waitcnt lgkmcnt(4)
	s_delay_alu instid0(VALU_DEP_1) | instskip(SKIP_1) | instid1(VALU_DEP_1)
	v_wmma_f32_16x16x16_bf16 v[65:72], v[9:16], v[41:48], v[65:72]
	s_waitcnt lgkmcnt(2)
	v_wmma_f32_16x16x16_bf16 v[65:72], v[17:24], v[33:40], v[65:72]
	s_waitcnt lgkmcnt(0)
	s_delay_alu instid0(VALU_DEP_1) | instskip(NEXT) | instid1(VALU_DEP_1)
	v_wmma_f32_16x16x16_bf16 v[65:72], v[49:56], v[25:32], v[65:72]
	v_and_b32_e32 v1, 0x7f800000, v65
	s_delay_alu instid0(VALU_DEP_1) | instskip(SKIP_1) | instid1(SALU_CYCLE_1)
	v_cmp_ne_u32_e32 vcc_lo, 0x7f800000, v1
                                        ; implicit-def: $vgpr1
	s_and_saveexec_b32 s4, vcc_lo
	s_xor_b32 s4, exec_lo, s4
; %bb.79:
	v_bfe_u32 v1, v65, 16, 1
	s_delay_alu instid0(VALU_DEP_1)
	v_add3_u32 v1, v65, v1, 0x7fff
; %bb.80:
	s_and_not1_saveexec_b32 s4, s4
; %bb.81:
	v_and_b32_e32 v1, 0xffff, v65
	v_or_b32_e32 v2, 0x10000, v65
	s_delay_alu instid0(VALU_DEP_2) | instskip(NEXT) | instid1(VALU_DEP_2)
	v_cmp_eq_u32_e32 vcc_lo, 0, v1
	v_cndmask_b32_e32 v1, v2, v65, vcc_lo
; %bb.82:
	s_or_b32 exec_lo, exec_lo, s4
	v_and_b32_e32 v2, 0x7f800000, v66
	s_delay_alu instid0(VALU_DEP_1) | instskip(SKIP_1) | instid1(SALU_CYCLE_1)
	v_cmp_ne_u32_e32 vcc_lo, 0x7f800000, v2
                                        ; implicit-def: $vgpr2
	s_and_saveexec_b32 s4, vcc_lo
	s_xor_b32 s4, exec_lo, s4
; %bb.83:
	v_bfe_u32 v2, v66, 16, 1
	s_delay_alu instid0(VALU_DEP_1)
	v_add3_u32 v2, v66, v2, 0x7fff
; %bb.84:
	s_and_not1_saveexec_b32 s4, s4
; %bb.85:
	v_and_b32_e32 v2, 0xffff, v66
	v_or_b32_e32 v3, 0x10000, v66
	s_delay_alu instid0(VALU_DEP_2) | instskip(NEXT) | instid1(VALU_DEP_2)
	v_cmp_eq_u32_e32 vcc_lo, 0, v2
	v_cndmask_b32_e32 v2, v3, v66, vcc_lo
; %bb.86:
	s_or_b32 exec_lo, exec_lo, s4
	v_and_b32_e32 v3, 0x7f800000, v67
	s_delay_alu instid0(VALU_DEP_1) | instskip(SKIP_1) | instid1(SALU_CYCLE_1)
	v_cmp_ne_u32_e32 vcc_lo, 0x7f800000, v3
                                        ; implicit-def: $vgpr3
	s_and_saveexec_b32 s4, vcc_lo
	s_xor_b32 s4, exec_lo, s4
; %bb.87:
	v_bfe_u32 v3, v67, 16, 1
	s_delay_alu instid0(VALU_DEP_1)
	v_add3_u32 v3, v67, v3, 0x7fff
; %bb.88:
	s_and_not1_saveexec_b32 s4, s4
; %bb.89:
	v_and_b32_e32 v3, 0xffff, v67
	v_or_b32_e32 v4, 0x10000, v67
	s_delay_alu instid0(VALU_DEP_2) | instskip(NEXT) | instid1(VALU_DEP_2)
	v_cmp_eq_u32_e32 vcc_lo, 0, v3
	v_cndmask_b32_e32 v3, v4, v67, vcc_lo
; %bb.90:
	s_or_b32 exec_lo, exec_lo, s4
	v_and_b32_e32 v4, 0x7f800000, v68
	s_delay_alu instid0(VALU_DEP_1) | instskip(SKIP_1) | instid1(SALU_CYCLE_1)
	v_cmp_ne_u32_e32 vcc_lo, 0x7f800000, v4
                                        ; implicit-def: $vgpr4
	s_and_saveexec_b32 s4, vcc_lo
	s_xor_b32 s4, exec_lo, s4
; %bb.91:
	v_bfe_u32 v4, v68, 16, 1
	s_delay_alu instid0(VALU_DEP_1)
	v_add3_u32 v4, v68, v4, 0x7fff
; %bb.92:
	s_and_not1_saveexec_b32 s4, s4
; %bb.93:
	v_and_b32_e32 v4, 0xffff, v68
	v_or_b32_e32 v5, 0x10000, v68
	s_delay_alu instid0(VALU_DEP_2) | instskip(NEXT) | instid1(VALU_DEP_2)
	v_cmp_eq_u32_e32 vcc_lo, 0, v4
	v_cndmask_b32_e32 v4, v5, v68, vcc_lo
; %bb.94:
	s_or_b32 exec_lo, exec_lo, s4
	v_and_b32_e32 v5, 0x7f800000, v69
	s_delay_alu instid0(VALU_DEP_1) | instskip(SKIP_1) | instid1(SALU_CYCLE_1)
	v_cmp_ne_u32_e32 vcc_lo, 0x7f800000, v5
                                        ; implicit-def: $vgpr5
	s_and_saveexec_b32 s4, vcc_lo
	s_xor_b32 s4, exec_lo, s4
; %bb.95:
	v_bfe_u32 v5, v69, 16, 1
	s_delay_alu instid0(VALU_DEP_1)
	v_add3_u32 v5, v69, v5, 0x7fff
; %bb.96:
	s_and_not1_saveexec_b32 s4, s4
; %bb.97:
	v_and_b32_e32 v5, 0xffff, v69
	v_or_b32_e32 v6, 0x10000, v69
	s_delay_alu instid0(VALU_DEP_2) | instskip(NEXT) | instid1(VALU_DEP_2)
	v_cmp_eq_u32_e32 vcc_lo, 0, v5
	v_cndmask_b32_e32 v5, v6, v69, vcc_lo
; %bb.98:
	s_or_b32 exec_lo, exec_lo, s4
	v_and_b32_e32 v6, 0x7f800000, v70
	s_delay_alu instid0(VALU_DEP_1) | instskip(SKIP_1) | instid1(SALU_CYCLE_1)
	v_cmp_ne_u32_e32 vcc_lo, 0x7f800000, v6
                                        ; implicit-def: $vgpr6
	s_and_saveexec_b32 s4, vcc_lo
	s_xor_b32 s4, exec_lo, s4
; %bb.99:
	v_bfe_u32 v6, v70, 16, 1
	s_delay_alu instid0(VALU_DEP_1)
	v_add3_u32 v6, v70, v6, 0x7fff
; %bb.100:
	s_and_not1_saveexec_b32 s4, s4
; %bb.101:
	v_and_b32_e32 v6, 0xffff, v70
	v_or_b32_e32 v7, 0x10000, v70
	s_delay_alu instid0(VALU_DEP_2) | instskip(NEXT) | instid1(VALU_DEP_2)
	v_cmp_eq_u32_e32 vcc_lo, 0, v6
	v_cndmask_b32_e32 v6, v7, v70, vcc_lo
; %bb.102:
	s_or_b32 exec_lo, exec_lo, s4
	v_and_b32_e32 v7, 0x7f800000, v71
	s_delay_alu instid0(VALU_DEP_1) | instskip(SKIP_1) | instid1(SALU_CYCLE_1)
	v_cmp_ne_u32_e32 vcc_lo, 0x7f800000, v7
                                        ; implicit-def: $vgpr7
	s_and_saveexec_b32 s4, vcc_lo
	s_xor_b32 s4, exec_lo, s4
; %bb.103:
	v_bfe_u32 v7, v71, 16, 1
	s_delay_alu instid0(VALU_DEP_1)
	v_add3_u32 v7, v71, v7, 0x7fff
; %bb.104:
	s_and_not1_saveexec_b32 s4, s4
; %bb.105:
	v_and_b32_e32 v7, 0xffff, v71
	v_or_b32_e32 v8, 0x10000, v71
	s_delay_alu instid0(VALU_DEP_2) | instskip(NEXT) | instid1(VALU_DEP_2)
	v_cmp_eq_u32_e32 vcc_lo, 0, v7
	v_cndmask_b32_e32 v7, v8, v71, vcc_lo
; %bb.106:
	s_or_b32 exec_lo, exec_lo, s4
	v_and_b32_e32 v8, 0x7f800000, v72
	s_delay_alu instid0(VALU_DEP_1) | instskip(SKIP_1) | instid1(SALU_CYCLE_1)
	v_cmp_ne_u32_e32 vcc_lo, 0x7f800000, v8
                                        ; implicit-def: $vgpr8
	s_and_saveexec_b32 s4, vcc_lo
	s_xor_b32 s4, exec_lo, s4
; %bb.107:
	v_bfe_u32 v8, v72, 16, 1
	s_delay_alu instid0(VALU_DEP_1)
	v_add3_u32 v8, v72, v8, 0x7fff
                                        ; implicit-def: $vgpr65_vgpr66_vgpr67_vgpr68_vgpr69_vgpr70_vgpr71_vgpr72
; %bb.108:
	s_and_not1_saveexec_b32 s4, s4
; %bb.109:
	v_and_b32_e32 v8, 0xffff, v72
	v_or_b32_e32 v9, 0x10000, v72
	s_delay_alu instid0(VALU_DEP_2) | instskip(NEXT) | instid1(VALU_DEP_2)
	v_cmp_eq_u32_e32 vcc_lo, 0, v8
	v_cndmask_b32_e32 v8, v9, v72, vcc_lo
; %bb.110:
	s_or_b32 exec_lo, exec_lo, s4
	s_delay_alu instid0(VALU_DEP_1)
	v_perm_b32 v7, v8, v7, 0x7060302
	v_perm_b32 v6, v6, v5, 0x7060302
	;; [unrolled: 1-line block ×4, first 2 shown]
	s_barrier
	buffer_gl0_inv
	v_cmp_eq_u32_e32 vcc_lo, 1, v78
	ds_store_b128 v76, v[4:7]
	s_waitcnt lgkmcnt(0)
	s_barrier
	buffer_gl0_inv
	ds_load_b128 v[1:4], v82
	ds_load_b128 v[5:8], v82 offset:16
	v_cmp_eq_u32_e64 s4, 1, v79
	v_cmp_eq_u32_e64 s5, 2, v78
	;; [unrolled: 1-line block ×5, first 2 shown]
	s_waitcnt lgkmcnt(1)
	v_lshrrev_b32_e32 v9, 16, v1
	s_waitcnt lgkmcnt(0)
	v_lshrrev_b32_e32 v13, 16, v5
	v_lshrrev_b32_e32 v10, 16, v2
	;; [unrolled: 1-line block ×4, first 2 shown]
	v_cndmask_b32_e64 v19, v1, v9, s4
	v_cndmask_b32_e32 v18, v5, v13, vcc_lo
	v_cndmask_b32_e64 v20, v5, v13, s4
	v_cndmask_b32_e32 v17, v1, v9, vcc_lo
	v_cmp_eq_u32_e32 vcc_lo, 2, v79
	v_lshrrev_b32_e32 v15, 16, v7
	v_cmp_eq_u32_e64 s4, 1, v77
	v_lshrrev_b32_e32 v12, 16, v4
	v_lshrrev_b32_e32 v16, 16, v8
	v_cndmask_b32_e32 v20, v20, v6, vcc_lo
	v_cndmask_b32_e64 v17, v17, v2, s5
	v_cndmask_b32_e32 v19, v19, v2, vcc_lo
	v_cndmask_b32_e64 v18, v18, v6, s5
	v_cmp_eq_u32_e32 vcc_lo, 4, v78
	v_cmp_eq_u32_e64 s5, 3, v79
	v_cndmask_b32_e64 v17, v17, v10, s6
	v_cndmask_b32_e64 v21, v1, v9, s4
	v_cndmask_b32_e64 v18, v18, v14, s6
	v_cndmask_b32_e64 v22, v5, v13, s4
	v_cndmask_b32_e64 v19, v19, v10, s5
	v_cndmask_b32_e32 v17, v17, v3, vcc_lo
	v_cndmask_b32_e64 v20, v20, v14, s5
	v_cndmask_b32_e32 v18, v18, v7, vcc_lo
	v_cmp_eq_u32_e32 vcc_lo, 4, v79
	v_cmp_eq_u32_e64 s5, 5, v79
	v_cmp_eq_u32_e64 s4, 2, v81
	v_cndmask_b32_e64 v21, v21, v2, s8
	v_cmp_eq_u32_e64 s6, 5, v78
	v_cndmask_b32_e32 v19, v19, v3, vcc_lo
	v_cndmask_b32_e32 v20, v20, v7, vcc_lo
	v_cmp_eq_u32_e32 vcc_lo, 6, v79
	s_delay_alu instid0(VALU_DEP_4) | instskip(NEXT) | instid1(VALU_DEP_4)
	v_cndmask_b32_e64 v17, v17, v11, s6
	v_cndmask_b32_e64 v19, v19, v11, s5
	s_delay_alu instid0(VALU_DEP_4) | instskip(SKIP_1) | instid1(VALU_DEP_3)
	v_cndmask_b32_e64 v20, v20, v15, s5
	v_cmp_eq_u32_e64 s5, 1, v81
	v_cndmask_b32_e32 v19, v19, v4, vcc_lo
	v_cndmask_b32_e64 v18, v18, v15, s6
	s_delay_alu instid0(VALU_DEP_3)
	v_cndmask_b32_e64 v1, v1, v9, s5
	v_cndmask_b32_e64 v5, v5, v13, s5
	v_cmp_eq_u32_e64 s5, 3, v77
	v_cndmask_b32_e64 v13, v22, v6, s8
	v_cmp_eq_u32_e64 s8, 3, v81
	v_cndmask_b32_e64 v1, v1, v2, s4
	v_cndmask_b32_e64 v2, v5, v6, s4
	;; [unrolled: 1-line block ×3, first 2 shown]
	v_cmp_eq_u32_e64 s4, 4, v77
	v_cndmask_b32_e64 v6, v13, v14, s5
	v_cndmask_b32_e64 v1, v1, v10, s8
	v_cmp_eq_u32_e64 s5, 4, v81
	v_cndmask_b32_e64 v2, v2, v14, s8
	v_cndmask_b32_e64 v5, v9, v3, s4
	v_cmp_eq_u32_e64 s8, 5, v77
	v_cndmask_b32_e64 v6, v6, v7, s4
	v_cndmask_b32_e64 v1, v1, v3, s5
	v_cndmask_b32_e64 v2, v2, v7, s5
	v_cmp_eq_u32_e64 s4, 5, v81
	v_cmp_eq_u32_e64 s6, 6, v78
	v_cndmask_b32_e64 v5, v5, v11, s8
	v_cmp_eq_u32_e64 s5, 6, v77
	v_cndmask_b32_e64 v3, v6, v15, s8
	v_cndmask_b32_e64 v1, v1, v11, s4
	v_cmp_eq_u32_e64 s8, 6, v81
	v_cndmask_b32_e64 v2, v2, v15, s4
	v_cndmask_b32_e64 v17, v17, v4, s6
	v_cndmask_b32_e64 v18, v18, v8, s6
	v_cmp_eq_u32_e64 s6, 7, v78
	v_cndmask_b32_e64 v5, v5, v4, s5
	;; [unrolled: 4-line block ×3, first 2 shown]
	v_cmp_eq_u32_e64 s5, 7, v77
	v_cndmask_b32_e32 v4, v20, v8, vcc_lo
	v_cndmask_b32_e64 v17, v17, v12, s6
	v_cndmask_b32_e64 v19, v19, v12, s7
	;; [unrolled: 1-line block ×8, first 2 shown]
	v_cmp_gt_u32_e32 vcc_lo, 32, v0
	v_perm_b32 v4, v2, v1, 0x5040100
	v_perm_b32 v3, v3, v5, 0x5040100
	;; [unrolled: 1-line block ×4, first 2 shown]
	s_and_b32 s2, vcc_lo, s2
	ds_store_b128 v76, v[1:4]
	s_waitcnt lgkmcnt(0)
	s_barrier
	buffer_gl0_inv
	s_and_saveexec_b32 s4, s2
	s_cbranch_execz .LBB1760_2
; %bb.111:
	s_load_b64 s[4:5], s[0:1], 0x68
	v_lshlrev_b32_e32 v0, 10, v0
	v_lshlrev_b32_e32 v2, 4, v75
	v_add_nc_u32_e32 v1, s31, v74
	s_lshl_b32 s0, s36, 6
	s_delay_alu instid0(SALU_CYCLE_1) | instskip(NEXT) | instid1(VALU_DEP_2)
	s_mul_i32 s1, s0, s34
	v_and_or_b32 v0, 0x3800, v0, v2
	s_mul_i32 s6, s1, s9
	v_mul_lo_u32 v1, v1, s0
	s_ashr_i32 s7, s6, 31
	s_delay_alu instid0(VALU_DEP_2) | instskip(SKIP_1) | instid1(VALU_DEP_2)
	v_lshl_or_b32 v3, v74, 6, v0
	s_lshl_b64 s[6:7], s[6:7], 1
	v_ashrrev_i32_e32 v2, 31, v1
	ds_load_b128 v[3:6], v3
	s_waitcnt lgkmcnt(0)
	s_add_u32 s1, s4, s6
	s_addc_u32 s2, s5, s7
	s_lshl_b32 s4, s14, 6
	v_lshlrev_b64 v[7:8], 1, v[1:2]
	s_ashr_i32 s5, s4, 31
	s_delay_alu instid0(SALU_CYCLE_1) | instskip(NEXT) | instid1(SALU_CYCLE_1)
	s_lshl_b64 s[4:5], s[4:5], 1
	s_add_u32 s1, s1, s4
	s_addc_u32 s2, s2, s5
	v_add_co_u32 v1, s1, s1, v73
	s_delay_alu instid0(VALU_DEP_1) | instskip(NEXT) | instid1(VALU_DEP_2)
	v_add_co_ci_u32_e64 v2, null, s2, 0, s1
	v_add_co_u32 v7, vcc_lo, v1, v7
	s_delay_alu instid0(VALU_DEP_2)
	v_add_co_ci_u32_e32 v8, vcc_lo, v2, v8, vcc_lo
	global_store_b128 v[7:8], v[3:6], off
	s_and_b32 exec_lo, exec_lo, s3
	s_cbranch_execz .LBB1760_2
; %bb.112:
	ds_load_b128 v[3:6], v0 offset:128
	s_add_i32 s1, s31, 2
	s_delay_alu instid0(SALU_CYCLE_1) | instskip(NEXT) | instid1(SALU_CYCLE_1)
	s_mul_i32 s0, s1, s0
	s_ashr_i32 s1, s0, 31
	s_delay_alu instid0(SALU_CYCLE_1) | instskip(NEXT) | instid1(SALU_CYCLE_1)
	s_lshl_b64 s[0:1], s[0:1], 1
	v_add_co_u32 v0, vcc_lo, v1, s0
	v_add_co_ci_u32_e32 v1, vcc_lo, s1, v2, vcc_lo
	s_waitcnt lgkmcnt(0)
	global_store_b128 v[0:1], v[3:6], off
	s_nop 0
	s_sendmsg sendmsg(MSG_DEALLOC_VGPRS)
	s_endpgm
	.section	.rodata,"a",@progbits
	.p2align	6, 0x0
	.amdhsa_kernel _Z39paged_attention_ll4mi_QKV_mfma16_kernelI14__hip_bfloat16hLN4vllm18Fp8KVCacheDataTypeE1EhLi32ELi64ELi256ELb0ELi3EL8MFMAType0EEvPKT_PKT0_S9_ifPKiSB_SB_iPKfiiiPfSE_PS4_PT2_iSD_SD_
		.amdhsa_group_segment_fixed_size 17472
		.amdhsa_private_segment_fixed_size 0
		.amdhsa_kernarg_size 400
		.amdhsa_user_sgpr_count 13
		.amdhsa_user_sgpr_dispatch_ptr 0
		.amdhsa_user_sgpr_queue_ptr 0
		.amdhsa_user_sgpr_kernarg_segment_ptr 1
		.amdhsa_user_sgpr_dispatch_id 0
		.amdhsa_user_sgpr_private_segment_size 0
		.amdhsa_wavefront_size32 1
		.amdhsa_uses_dynamic_stack 0
		.amdhsa_enable_private_segment 0
		.amdhsa_system_sgpr_workgroup_id_x 1
		.amdhsa_system_sgpr_workgroup_id_y 1
		.amdhsa_system_sgpr_workgroup_id_z 1
		.amdhsa_system_sgpr_workgroup_info 0
		.amdhsa_system_vgpr_workitem_id 0
		.amdhsa_next_free_vgpr 124
		.amdhsa_next_free_sgpr 42
		.amdhsa_reserve_vcc 1
		.amdhsa_float_round_mode_32 0
		.amdhsa_float_round_mode_16_64 0
		.amdhsa_float_denorm_mode_32 3
		.amdhsa_float_denorm_mode_16_64 3
		.amdhsa_dx10_clamp 1
		.amdhsa_ieee_mode 1
		.amdhsa_fp16_overflow 0
		.amdhsa_workgroup_processor_mode 1
		.amdhsa_memory_ordered 1
		.amdhsa_forward_progress 0
		.amdhsa_shared_vgpr_count 0
		.amdhsa_exception_fp_ieee_invalid_op 0
		.amdhsa_exception_fp_denorm_src 0
		.amdhsa_exception_fp_ieee_div_zero 0
		.amdhsa_exception_fp_ieee_overflow 0
		.amdhsa_exception_fp_ieee_underflow 0
		.amdhsa_exception_fp_ieee_inexact 0
		.amdhsa_exception_int_div_zero 0
	.end_amdhsa_kernel
	.section	.text._Z39paged_attention_ll4mi_QKV_mfma16_kernelI14__hip_bfloat16hLN4vllm18Fp8KVCacheDataTypeE1EhLi32ELi64ELi256ELb0ELi3EL8MFMAType0EEvPKT_PKT0_S9_ifPKiSB_SB_iPKfiiiPfSE_PS4_PT2_iSD_SD_,"axG",@progbits,_Z39paged_attention_ll4mi_QKV_mfma16_kernelI14__hip_bfloat16hLN4vllm18Fp8KVCacheDataTypeE1EhLi32ELi64ELi256ELb0ELi3EL8MFMAType0EEvPKT_PKT0_S9_ifPKiSB_SB_iPKfiiiPfSE_PS4_PT2_iSD_SD_,comdat
.Lfunc_end1760:
	.size	_Z39paged_attention_ll4mi_QKV_mfma16_kernelI14__hip_bfloat16hLN4vllm18Fp8KVCacheDataTypeE1EhLi32ELi64ELi256ELb0ELi3EL8MFMAType0EEvPKT_PKT0_S9_ifPKiSB_SB_iPKfiiiPfSE_PS4_PT2_iSD_SD_, .Lfunc_end1760-_Z39paged_attention_ll4mi_QKV_mfma16_kernelI14__hip_bfloat16hLN4vllm18Fp8KVCacheDataTypeE1EhLi32ELi64ELi256ELb0ELi3EL8MFMAType0EEvPKT_PKT0_S9_ifPKiSB_SB_iPKfiiiPfSE_PS4_PT2_iSD_SD_
                                        ; -- End function
	.section	.AMDGPU.csdata,"",@progbits
; Kernel info:
; codeLenInByte = 8724
; NumSgprs: 44
; NumVgprs: 124
; ScratchSize: 0
; MemoryBound: 0
; FloatMode: 240
; IeeeMode: 1
; LDSByteSize: 17472 bytes/workgroup (compile time only)
; SGPRBlocks: 5
; VGPRBlocks: 15
; NumSGPRsForWavesPerEU: 44
; NumVGPRsForWavesPerEU: 124
; Occupancy: 10
; WaveLimiterHint : 1
; COMPUTE_PGM_RSRC2:SCRATCH_EN: 0
; COMPUTE_PGM_RSRC2:USER_SGPR: 13
; COMPUTE_PGM_RSRC2:TRAP_HANDLER: 0
; COMPUTE_PGM_RSRC2:TGID_X_EN: 1
; COMPUTE_PGM_RSRC2:TGID_Y_EN: 1
; COMPUTE_PGM_RSRC2:TGID_Z_EN: 1
; COMPUTE_PGM_RSRC2:TIDIG_COMP_CNT: 0
	.section	.text._Z39paged_attention_ll4mi_QKV_mfma16_kernelI14__hip_bfloat16hLN4vllm18Fp8KVCacheDataTypeE1EhLi32ELi64ELi256ELb0ELi4EL8MFMAType0EEvPKT_PKT0_S9_ifPKiSB_SB_iPKfiiiPfSE_PS4_PT2_iSD_SD_,"axG",@progbits,_Z39paged_attention_ll4mi_QKV_mfma16_kernelI14__hip_bfloat16hLN4vllm18Fp8KVCacheDataTypeE1EhLi32ELi64ELi256ELb0ELi4EL8MFMAType0EEvPKT_PKT0_S9_ifPKiSB_SB_iPKfiiiPfSE_PS4_PT2_iSD_SD_,comdat
	.protected	_Z39paged_attention_ll4mi_QKV_mfma16_kernelI14__hip_bfloat16hLN4vllm18Fp8KVCacheDataTypeE1EhLi32ELi64ELi256ELb0ELi4EL8MFMAType0EEvPKT_PKT0_S9_ifPKiSB_SB_iPKfiiiPfSE_PS4_PT2_iSD_SD_ ; -- Begin function _Z39paged_attention_ll4mi_QKV_mfma16_kernelI14__hip_bfloat16hLN4vllm18Fp8KVCacheDataTypeE1EhLi32ELi64ELi256ELb0ELi4EL8MFMAType0EEvPKT_PKT0_S9_ifPKiSB_SB_iPKfiiiPfSE_PS4_PT2_iSD_SD_
	.globl	_Z39paged_attention_ll4mi_QKV_mfma16_kernelI14__hip_bfloat16hLN4vllm18Fp8KVCacheDataTypeE1EhLi32ELi64ELi256ELb0ELi4EL8MFMAType0EEvPKT_PKT0_S9_ifPKiSB_SB_iPKfiiiPfSE_PS4_PT2_iSD_SD_
	.p2align	8
	.type	_Z39paged_attention_ll4mi_QKV_mfma16_kernelI14__hip_bfloat16hLN4vllm18Fp8KVCacheDataTypeE1EhLi32ELi64ELi256ELb0ELi4EL8MFMAType0EEvPKT_PKT0_S9_ifPKiSB_SB_iPKfiiiPfSE_PS4_PT2_iSD_SD_,@function
_Z39paged_attention_ll4mi_QKV_mfma16_kernelI14__hip_bfloat16hLN4vllm18Fp8KVCacheDataTypeE1EhLi32ELi64ELi256ELb0ELi4EL8MFMAType0EEvPKT_PKT0_S9_ifPKiSB_SB_iPKfiiiPfSE_PS4_PT2_iSD_SD_: ; @_Z39paged_attention_ll4mi_QKV_mfma16_kernelI14__hip_bfloat16hLN4vllm18Fp8KVCacheDataTypeE1EhLi32ELi64ELi256ELb0ELi4EL8MFMAType0EEvPKT_PKT0_S9_ifPKiSB_SB_iPKfiiiPfSE_PS4_PT2_iSD_SD_
; %bb.0:
	s_load_b64 s[2:3], s[0:1], 0x30
	s_mov_b32 s30, s13
	s_waitcnt lgkmcnt(0)
	s_cmp_lg_u64 s[2:3], 0
	s_cselect_b32 s8, -1, 0
	s_ashr_i32 s31, s13, 31
	s_cmp_eq_u64 s[2:3], 0
	s_cbranch_scc1 .LBB1761_3
; %bb.1:
	s_lshl_b64 s[4:5], s[30:31], 2
	s_delay_alu instid0(SALU_CYCLE_1) | instskip(SKIP_4) | instid1(SALU_CYCLE_1)
	s_add_u32 s4, s2, s4
	s_addc_u32 s5, s3, s5
	s_load_b64 s[4:5], s[4:5], 0x0
	s_waitcnt lgkmcnt(0)
	s_sub_i32 s4, s5, s4
	s_cmp_eq_u32 s4, 1
	s_cselect_b32 s4, -1, 0
	s_delay_alu instid0(SALU_CYCLE_1)
	s_and_not1_b32 vcc_lo, exec_lo, s4
	s_cbranch_vccz .LBB1761_4
.LBB1761_2:
	s_endpgm
.LBB1761_3:
.LBB1761_4:
	s_load_b64 s[4:5], s[0:1], 0x28
	s_lshl_b64 s[6:7], s[30:31], 2
	s_waitcnt lgkmcnt(0)
	s_add_u32 s4, s4, s6
	s_addc_u32 s5, s5, s7
	s_lshl_b32 s12, s14, 8
	s_load_b32 s24, s[4:5], 0x0
	s_waitcnt lgkmcnt(0)
	s_cmp_ge_i32 s12, s24
	s_cbranch_scc1 .LBB1761_2
; %bb.5:
	s_clause 0x1
	s_load_b128 s[20:23], s[0:1], 0x8
	s_load_b64 s[4:5], s[0:1], 0x20
	s_and_not1_b32 vcc_lo, exec_lo, s8
	s_cbranch_vccnz .LBB1761_7
; %bb.6:
	s_add_u32 s2, s2, s6
	s_addc_u32 s3, s3, s7
	s_load_b32 s3, s[2:3], 0x0
	s_branch .LBB1761_8
.LBB1761_7:
	s_mov_b32 s3, s30
.LBB1761_8:
	s_load_b128 s[16:19], s[0:1], 0x48
	v_and_b32_e32 v66, 15, v0
	v_cmp_gt_u32_e32 vcc_lo, 64, v0
	v_lshrrev_b32_e32 v65, 5, v0
	v_and_b32_e32 v67, 31, v0
	v_and_b32_e32 v74, 1, v0
	v_lshlrev_b32_e32 v1, 3, v66
	v_cmp_gt_u32_e64 s2, 8, v66
	v_bfe_u32 v75, v0, 4, 1
	s_lshl_b32 s31, s15, 2
	s_delay_alu instid0(VALU_DEP_3) | instskip(NEXT) | instid1(VALU_DEP_3)
	v_lshlrev_b32_e32 v73, 1, v1
	s_and_b32 s7, vcc_lo, s2
	s_delay_alu instid0(SALU_CYCLE_1)
	s_and_saveexec_b32 s6, s7
	s_cbranch_execz .LBB1761_10
; %bb.9:
	v_lshl_or_b32 v5, v65, 1, v75
	s_load_b64 s[8:9], s[0:1], 0x0
	s_waitcnt lgkmcnt(0)
	s_mul_hi_i32 s11, s3, s16
	s_mul_i32 s10, s3, s16
	v_lshlrev_b32_e32 v6, 10, v66
	v_or_b32_e32 v1, s31, v5
	s_lshl_b64 s[10:11], s[10:11], 1
	v_lshlrev_b32_e32 v5, 6, v5
	v_lshlrev_b32_e32 v7, 10, v74
	v_and_b32_e32 v6, 0x3800, v6
	v_lshlrev_b32_e32 v1, 6, v1
	s_delay_alu instid0(VALU_DEP_2) | instskip(NEXT) | instid1(VALU_DEP_2)
	v_or3_b32 v5, v6, v7, v5
	v_ashrrev_i32_e32 v2, 31, v1
	s_delay_alu instid0(VALU_DEP_1) | instskip(SKIP_2) | instid1(VALU_DEP_1)
	v_lshlrev_b64 v[1:2], 1, v[1:2]
	s_add_u32 s3, s8, s10
	s_addc_u32 s7, s9, s11
	v_add_co_u32 v1, vcc_lo, s3, v1
	s_delay_alu instid0(VALU_DEP_2) | instskip(NEXT) | instid1(VALU_DEP_2)
	v_add_co_ci_u32_e32 v2, vcc_lo, s7, v2, vcc_lo
	v_add_co_u32 v1, vcc_lo, v1, v73
	s_delay_alu instid0(VALU_DEP_2)
	v_add_co_ci_u32_e32 v2, vcc_lo, 0, v2, vcc_lo
	global_load_b128 v[1:4], v[1:2], off
	s_waitcnt vmcnt(0)
	ds_store_b128 v5, v[1:4]
.LBB1761_10:
	s_or_b32 exec_lo, exec_lo, s6
	v_and_b32_e32 v1, 0xef, v0
	s_waitcnt lgkmcnt(0)
	s_add_i32 s3, s24, 31
	s_clause 0x1
	s_load_b32 s6, s[0:1], 0x38
	s_load_b32 s19, s[0:1], 0x1c
	s_ashr_i32 s7, s3, 31
	v_add_nc_u32_e32 v1, s12, v1
	s_lshr_b32 s7, s7, 27
	s_waitcnt lgkmcnt(0)
	s_add_i32 s3, s3, s7
	s_barrier
	v_ashrrev_i32_e32 v2, 31, v1
	v_or_b32_e32 v3, 16, v1
	s_ashr_i32 s3, s3, 5
	v_cmp_gt_i32_e32 vcc_lo, s24, v1
	s_add_i32 s3, s3, -1
	v_lshrrev_b32_e32 v2, 27, v2
	buffer_gl0_inv
	s_mul_i32 s27, s15, s18
	v_add_nc_u32_e32 v4, v1, v2
	s_mul_i32 s6, s30, s6
	s_delay_alu instid0(SALU_CYCLE_1) | instskip(NEXT) | instid1(VALU_DEP_1)
	s_ashr_i32 s7, s6, 31
	v_ashrrev_i32_e32 v4, 5, v4
	v_add_nc_u32_e32 v2, v3, v2
	s_lshl_b64 s[6:7], s[6:7], 2
	s_delay_alu instid0(SALU_CYCLE_1) | instskip(NEXT) | instid1(VALU_DEP_2)
	s_add_u32 s26, s4, s6
	v_cndmask_b32_e32 v1, s3, v4, vcc_lo
	s_delay_alu instid0(VALU_DEP_2)
	v_ashrrev_i32_e32 v2, 5, v2
	v_cmp_gt_i32_e32 vcc_lo, s24, v3
	s_addc_u32 s25, s5, s7
	s_ashr_i32 s28, s27, 31
	s_add_u32 s4, s20, s27
	s_addc_u32 s5, s21, s28
	v_cndmask_b32_e32 v3, s3, v2, vcc_lo
	v_ashrrev_i32_e32 v2, 31, v1
	s_lshl_b32 s6, s14, 3
	s_delay_alu instid0(SALU_CYCLE_1) | instskip(NEXT) | instid1(VALU_DEP_2)
	s_ashr_i32 s7, s6, 31
	v_ashrrev_i32_e32 v4, 31, v3
	s_delay_alu instid0(VALU_DEP_2) | instskip(SKIP_1) | instid1(SALU_CYCLE_1)
	v_lshlrev_b64 v[1:2], 2, v[1:2]
	s_lshl_b64 s[6:7], s[6:7], 2
	s_add_u32 s6, s26, s6
	s_delay_alu instid0(VALU_DEP_2) | instskip(SKIP_1) | instid1(VALU_DEP_2)
	v_lshlrev_b64 v[3:4], 2, v[3:4]
	s_addc_u32 s7, s25, s7
	v_add_co_u32 v1, vcc_lo, s26, v1
	v_add_co_ci_u32_e32 v2, vcc_lo, s25, v2, vcc_lo
	s_delay_alu instid0(VALU_DEP_3) | instskip(NEXT) | instid1(VALU_DEP_4)
	v_add_co_u32 v3, vcc_lo, s26, v3
	v_add_co_ci_u32_e32 v4, vcc_lo, s25, v4, vcc_lo
	s_clause 0x1
	global_load_b32 v5, v[1:2], off
	global_load_b32 v6, v[3:4], off
	s_or_b32 s8, s12, 32
	s_delay_alu instid0(SALU_CYCLE_1) | instskip(SKIP_2) | instid1(SALU_CYCLE_1)
	s_ashr_i32 s9, s8, 5
	s_cmp_lt_i32 s8, s24
	s_cselect_b32 s8, s9, s3
	s_ashr_i32 s9, s8, 31
	s_delay_alu instid0(SALU_CYCLE_1) | instskip(NEXT) | instid1(SALU_CYCLE_1)
	s_lshl_b64 s[8:9], s[8:9], 2
	s_add_u32 s8, s26, s8
	s_addc_u32 s9, s25, s9
	s_or_b32 s10, s12, 64
	s_delay_alu instid0(SALU_CYCLE_1) | instskip(SKIP_2) | instid1(SALU_CYCLE_1)
	s_ashr_i32 s11, s10, 5
	s_cmp_lt_i32 s10, s24
	s_cselect_b32 s10, s11, s3
	s_ashr_i32 s11, s10, 31
	s_delay_alu instid0(SALU_CYCLE_1) | instskip(NEXT) | instid1(SALU_CYCLE_1)
	s_lshl_b64 s[10:11], s[10:11], 2
	s_add_u32 s10, s26, s10
	s_addc_u32 s11, s25, s11
	;; [unrolled: 10-line block ×5, first 2 shown]
	s_clause 0x5
	s_load_b32 s21, s[6:7], 0x0
	s_load_b32 s13, s[8:9], 0x0
	;; [unrolled: 1-line block ×6, first 2 shown]
	s_or_b32 s7, s12, 0xc0
	s_delay_alu instid0(SALU_CYCLE_1) | instskip(SKIP_2) | instid1(SALU_CYCLE_1)
	s_ashr_i32 s8, s7, 5
	s_cmp_lt_i32 s7, s24
	s_cselect_b32 s10, s8, s3
	s_ashr_i32 s11, s10, 31
	s_delay_alu instid0(SALU_CYCLE_1) | instskip(NEXT) | instid1(SALU_CYCLE_1)
	s_lshl_b64 s[34:35], s[10:11], 2
	s_add_u32 s34, s26, s34
	s_addc_u32 s35, s25, s35
	s_or_b32 s29, s12, 0xe0
	s_delay_alu instid0(SALU_CYCLE_1)
	s_ashr_i32 s33, s29, 5
	s_cmp_lt_i32 s29, s24
	s_waitcnt vmcnt(1)
	v_mad_i64_i32 v[1:2], null, v5, s17, s[4:5]
	s_waitcnt vmcnt(0)
	v_mad_i64_i32 v[3:4], null, v6, s17, s[4:5]
	s_mov_b32 s4, 0
	s_delay_alu instid0(SALU_CYCLE_1)
	s_mov_b32 s5, s4
	s_mov_b32 s6, s4
	;; [unrolled: 1-line block ×7, first 2 shown]
	v_lshlrev_b32_e32 v5, 4, v66
	v_dual_mov_b32 v107, s11 :: v_dual_mov_b32 v102, s6
	v_dual_mov_b32 v106, s10 :: v_dual_mov_b32 v105, s9
	s_delay_alu instid0(VALU_DEP_3)
	v_add_co_u32 v1, vcc_lo, v1, v5
	v_add_co_ci_u32_e32 v2, vcc_lo, 0, v2, vcc_lo
	v_add_co_u32 v3, vcc_lo, v3, v5
	v_add_co_ci_u32_e32 v4, vcc_lo, 0, v4, vcc_lo
	s_clause 0x7
	global_load_b128 v[49:52], v[1:2], off
	global_load_b128 v[53:56], v[1:2], off offset:512
	global_load_b128 v[76:79], v[3:4], off offset:256
	;; [unrolled: 1-line block ×7, first 2 shown]
	v_dual_mov_b32 v100, s4 :: v_dual_and_b32 v1, 3, v0
	v_lshlrev_b32_e32 v2, 5, v66
	v_dual_mov_b32 v104, s8 :: v_dual_mov_b32 v103, s7
	v_mov_b32_e32 v101, s5
	s_cselect_b32 s4, s33, s3
	v_lshlrev_b32_e32 v70, 6, v1
	s_ashr_i32 s5, s4, 31
	v_lshl_or_b32 v1, v65, 9, v2
	s_lshl_b64 s[4:5], s[4:5], 2
	s_load_b32 s3, s[34:35], 0x0
	s_add_u32 s4, s26, s4
	s_addc_u32 s5, s25, s5
	ds_load_b128 v[108:111], v70
	ds_load_b128 v[112:115], v70 offset:1024
	s_load_b32 s4, s[4:5], 0x0
	s_add_u32 s6, s22, s27
	s_addc_u32 s7, s23, s28
	v_add_co_u32 v9, s6, s6, v1
	s_delay_alu instid0(VALU_DEP_1) | instskip(SKIP_1) | instid1(VALU_DEP_1)
	v_add_co_ci_u32_e64 v10, null, s7, 0, s6
	s_waitcnt lgkmcnt(0)
	v_mad_i64_i32 v[1:2], null, s21, s17, v[9:10]
	v_mad_i64_i32 v[3:4], null, s13, s17, v[9:10]
	;; [unrolled: 1-line block ×7, first 2 shown]
	s_clause 0x9
	global_load_b128 v[57:60], v[1:2], off
	global_load_b128 v[61:64], v[1:2], off offset:16
	global_load_b128 v[41:44], v[3:4], off
	global_load_b128 v[45:48], v[3:4], off offset:16
	;; [unrolled: 2-line block ×5, first 2 shown]
	v_mad_i64_i32 v[68:69], null, s4, s17, v[9:10]
	s_clause 0x3
	global_load_b128 v[9:12], v[13:14], off
	global_load_b128 v[13:16], v[13:14], off offset:16
	global_load_b128 v[17:20], v[21:22], off
	global_load_b128 v[21:24], v[21:22], off offset:16
	s_waitcnt vmcnt(20)
	v_wmma_f32_16x16x16_bf16 v[116:123], v[49:56], v[108:115], v[100:107]
	s_clause 0x1
	global_load_b128 v[49:52], v[68:69], off
	global_load_b128 v[53:56], v[68:69], off offset:16
	v_and_b32_e32 v68, 0xe0, v0
	v_mbcnt_lo_u32_b32 v69, -1, 0
	s_delay_alu instid0(VALU_DEP_2)
	v_add_nc_u32_e32 v68, s12, v68
	s_waitcnt vmcnt(20)
	v_wmma_f32_16x16x16_bf16 v[100:107], v[76:83], v[108:115], v[100:107]
	ds_load_b128 v[76:79], v70 offset:2048
	ds_load_b128 v[80:83], v70 offset:3072
	v_xor_b32_e32 v70, 16, v69
	s_waitcnt vmcnt(0) lgkmcnt(0)
	v_or_b32_e32 v68, v68, v75
	s_barrier
	buffer_gl0_inv
	v_cmp_gt_i32_e32 vcc_lo, 32, v70
	v_or_b32_e32 v71, 4, v68
	v_or_b32_e32 v72, 6, v68
	v_cmp_gt_i32_e64 s3, s24, v68
	v_or_b32_e32 v108, 8, v68
	v_or_b32_e32 v109, 10, v68
	v_cmp_gt_i32_e64 s4, s24, v71
	v_cmp_gt_i32_e64 s5, s24, v72
	s_delay_alu instid0(VALU_DEP_4) | instskip(NEXT) | instid1(VALU_DEP_4)
	v_cmp_gt_i32_e64 s6, s24, v108
	v_cmp_gt_i32_e64 s7, s24, v109
	v_wmma_f32_16x16x16_bf16 v[116:123], v[84:91], v[76:83], v[116:123]
	v_cndmask_b32_e32 v69, v69, v70, vcc_lo
	v_or_b32_e32 v70, 2, v68
	v_wmma_f32_16x16x16_bf16 v[100:107], v[92:99], v[76:83], v[100:107]
	v_or_b32_e32 v84, 12, v68
	v_dual_mul_f32 v78, s19, v123 :: v_dual_mul_f32 v83, s19, v118
	v_dual_mul_f32 v92, s19, v117 :: v_dual_mul_f32 v93, s19, v116
	s_delay_alu instid0(VALU_DEP_4) | instskip(SKIP_2) | instid1(VALU_DEP_4)
	v_mul_f32_e32 v94, s19, v107
	v_cmp_gt_i32_e32 vcc_lo, s24, v70
	v_dual_mul_f32 v81, s19, v120 :: v_dual_mul_f32 v82, s19, v119
	v_cndmask_b32_e64 v93, 0xff7fffff, v93, s3
	v_or_b32_e32 v85, 14, v68
	v_cndmask_b32_e32 v92, 0xff7fffff, v92, vcc_lo
	v_dual_mul_f32 v79, s19, v122 :: v_dual_mul_f32 v80, s19, v121
	v_cndmask_b32_e64 v71, 0xff7fffff, v83, s4
	v_cndmask_b32_e64 v72, 0xff7fffff, v82, s5
	s_delay_alu instid0(VALU_DEP_4)
	v_max3_f32 v82, v93, 0xff7fffff, v92
	v_or_b32_e32 v86, 16, v68
	v_or_b32_e32 v87, 18, v68
	v_cndmask_b32_e64 v81, 0xff7fffff, v81, s6
	v_cndmask_b32_e64 v80, 0xff7fffff, v80, s7
	v_max3_f32 v71, v82, v71, v72
	v_cmp_gt_i32_e64 s8, s24, v84
	v_cmp_gt_i32_e64 s9, s24, v85
	v_or_b32_e32 v88, 20, v68
	v_or_b32_e32 v89, 22, v68
	;; [unrolled: 1-line block ×6, first 2 shown]
	v_dual_mul_f32 v99, s19, v102 :: v_dual_mul_f32 v70, s19, v101
	v_mul_f32_e32 v68, s19, v100
	v_cndmask_b32_e64 v72, 0xff7fffff, v79, s8
	v_cndmask_b32_e64 v78, 0xff7fffff, v78, s9
	v_max3_f32 v71, v71, v81, v80
	v_cmp_gt_i32_e64 s10, s24, v86
	v_cmp_gt_i32_e64 s11, s24, v87
	v_dual_mul_f32 v97, s19, v104 :: v_dual_mul_f32 v98, s19, v103
	s_delay_alu instid0(VALU_DEP_4) | instskip(SKIP_1) | instid1(VALU_DEP_4)
	v_max3_f32 v71, v71, v72, v78
	v_cmp_gt_i32_e64 s12, s24, v88
	v_cndmask_b32_e64 v70, 0xff7fffff, v70, s11
	v_cmp_gt_i32_e64 s13, s24, v89
	v_lshlrev_b32_e32 v89, 2, v69
	v_cndmask_b32_e64 v68, 0xff7fffff, v68, s10
	v_dual_mul_f32 v95, s19, v106 :: v_dual_mul_f32 v96, s19, v105
	v_cndmask_b32_e64 v72, 0xff7fffff, v99, s12
	v_cndmask_b32_e64 v78, 0xff7fffff, v98, s13
	s_delay_alu instid0(VALU_DEP_4)
	v_max3_f32 v68, v71, v68, v70
	v_cmp_gt_i32_e64 s15, s24, v90
	v_cmp_gt_i32_e64 s16, s24, v91
	;; [unrolled: 1-line block ×4, first 2 shown]
	v_max3_f32 v68, v68, v72, v78
	v_cndmask_b32_e64 v70, 0xff7fffff, v97, s15
	v_cndmask_b32_e64 v71, 0xff7fffff, v96, s16
	;; [unrolled: 1-line block ×4, first 2 shown]
	s_delay_alu instid0(VALU_DEP_3) | instskip(NEXT) | instid1(VALU_DEP_1)
	v_max3_f32 v68, v68, v70, v71
	v_max3_f32 v68, v68, v72, v76
	ds_bpermute_b32 v69, v89, v68
	s_waitcnt lgkmcnt(0)
	v_max_f32_e32 v69, v69, v69
	s_delay_alu instid0(VALU_DEP_1) | instskip(NEXT) | instid1(VALU_DEP_1)
	v_max_f32_e32 v68, v68, v69
	v_fma_f32 v71, s19, v118, -v68
	s_delay_alu instid0(VALU_DEP_1)
	v_mul_f32_e32 v71, 0x3fb8aa3b, v71
	v_fma_f32 v69, s19, v116, -v68
	v_fma_f32 v70, s19, v117, -v68
	;; [unrolled: 1-line block ×4, first 2 shown]
	v_exp_f32_e32 v71, v71
	s_delay_alu instid0(VALU_DEP_3) | instskip(SKIP_2) | instid1(VALU_DEP_3)
	v_dual_mul_f32 v69, 0x3fb8aa3b, v69 :: v_dual_mul_f32 v70, 0x3fb8aa3b, v70
	v_fma_f32 v78, s19, v122, -v68
	v_fma_f32 v81, s19, v105, -v68
	v_exp_f32_e32 v69, v69
	s_delay_alu instid0(VALU_DEP_3) | instskip(SKIP_1) | instid1(VALU_DEP_2)
	v_exp_f32_e32 v70, v70
	v_mul_f32_e32 v77, 0x3fb8aa3b, v76
	v_mul_f32_e32 v81, 0x3fb8aa3b, v81
	s_delay_alu instid0(TRANS32_DEP_3) | instskip(SKIP_1) | instid1(VALU_DEP_3)
	v_cndmask_b32_e64 v83, 0, v71, s4
	v_fma_f32 v71, s19, v123, -v68
	v_exp_f32_e32 v81, v81
	s_delay_alu instid0(TRANS32_DEP_3) | instskip(NEXT) | instid1(TRANS32_DEP_2)
	v_cndmask_b32_e64 v80, 0, v69, s3
	v_cndmask_b32_e32 v76, 0, v70, vcc_lo
	v_fma_f32 v69, s19, v121, -v68
	v_mul_f32_e32 v72, 0x3fb8aa3b, v72
	v_exp_f32_e32 v77, v77
	v_dual_add_f32 v70, 0, v80 :: v_dual_mul_f32 v71, 0x3fb8aa3b, v71
	s_delay_alu instid0(VALU_DEP_3) | instskip(NEXT) | instid1(VALU_DEP_3)
	v_mul_f32_e32 v69, 0x3fb8aa3b, v69
	v_exp_f32_e32 v72, v72
	s_mov_b32 s3, exec_lo
	s_delay_alu instid0(VALU_DEP_2) | instskip(NEXT) | instid1(VALU_DEP_1)
	v_exp_f32_e32 v71, v71
	v_exp_f32_e32 v69, v69
	v_cndmask_b32_e64 v86, 0, v77, s6
	v_fma_f32 v77, s19, v101, -v68
	v_add_f32_e32 v70, v70, v76
	s_delay_alu instid0(TRANS32_DEP_3) | instskip(SKIP_1) | instid1(VALU_DEP_3)
	v_cndmask_b32_e64 v85, 0, v72, s5
	v_fma_f32 v72, s19, v100, -v68
	v_dual_mul_f32 v77, 0x3fb8aa3b, v77 :: v_dual_add_f32 v70, v70, v83
	s_delay_alu instid0(TRANS32_DEP_2) | instskip(SKIP_1) | instid1(TRANS32_DEP_1)
	v_cndmask_b32_e64 v88, 0, v71, s9
	v_fma_f32 v71, s19, v104, -v68
	v_cndmask_b32_e64 v87, 0, v69, s7
	s_delay_alu instid0(VALU_DEP_4) | instskip(NEXT) | instid1(VALU_DEP_2)
	v_exp_f32_e32 v77, v77
	v_dual_add_f32 v70, v70, v85 :: v_dual_mul_f32 v71, 0x3fb8aa3b, v71
	s_delay_alu instid0(VALU_DEP_1) | instskip(SKIP_2) | instid1(VALU_DEP_3)
	v_dual_mul_f32 v72, 0x3fb8aa3b, v72 :: v_dual_add_f32 v69, v70, v86
	v_mul_f32_e32 v78, 0x3fb8aa3b, v78
	v_fma_f32 v70, s19, v102, -v68
	v_exp_f32_e32 v72, v72
	v_exp_f32_e32 v82, v71
	v_add_f32_e32 v69, v69, v87
	v_exp_f32_e32 v78, v78
	v_mul_f32_e32 v70, 0x3fb8aa3b, v70
	s_delay_alu instid0(VALU_DEP_1) | instskip(SKIP_4) | instid1(VALU_DEP_2)
	v_exp_f32_e32 v79, v70
	v_cndmask_b32_e64 v70, 0, v72, s10
	s_waitcnt_depctr 0xfff
	v_cndmask_b32_e64 v84, 0, v78, s8
	v_fma_f32 v78, s19, v103, -v68
	v_add_f32_e32 v69, v69, v84
	v_cndmask_b32_e64 v71, 0, v79, s12
	s_delay_alu instid0(VALU_DEP_2) | instskip(SKIP_2) | instid1(VALU_DEP_1)
	v_add_f32_e32 v72, v69, v88
	v_cndmask_b32_e64 v69, 0, v77, s11
	v_fma_f32 v77, s19, v106, -v68
	v_dual_mul_f32 v77, 0x3fb8aa3b, v77 :: v_dual_add_f32 v72, v72, v70
	v_mul_f32_e32 v78, 0x3fb8aa3b, v78
	s_delay_alu instid0(VALU_DEP_2) | instskip(NEXT) | instid1(VALU_DEP_2)
	v_exp_f32_e32 v90, v77
	v_add_f32_e32 v79, v72, v69
	s_delay_alu instid0(VALU_DEP_2)
	v_exp_f32_e32 v78, v78
	v_cndmask_b32_e64 v77, 0, v82, s15
	s_waitcnt_depctr 0xfff
	v_cndmask_b32_e64 v72, 0, v78, s13
	v_add_f32_e32 v78, v79, v71
	v_fma_f32 v79, s19, v107, -v68
	s_delay_alu instid0(VALU_DEP_1) | instskip(SKIP_1) | instid1(VALU_DEP_2)
	v_dual_add_f32 v82, v78, v72 :: v_dual_mul_f32 v79, 0x3fb8aa3b, v79
	v_cndmask_b32_e64 v78, 0, v81, s16
	v_add_f32_e32 v81, v82, v77
	s_delay_alu instid0(VALU_DEP_3) | instskip(SKIP_1) | instid1(VALU_DEP_2)
	v_exp_f32_e32 v82, v79
	v_cndmask_b32_e64 v79, 0, v90, s17
	v_add_f32_e32 v81, v81, v78
	s_delay_alu instid0(VALU_DEP_1) | instskip(SKIP_2) | instid1(VALU_DEP_1)
	v_add_f32_e32 v90, v81, v79
	s_waitcnt_depctr 0xfff
	v_cndmask_b32_e64 v81, 0, v82, s18
	v_add_f32_e32 v82, v90, v81
	ds_bpermute_b32 v89, v89, v82
	v_cmpx_gt_u32_e32 16, v67
	s_cbranch_execz .LBB1761_12
; %bb.11:
	v_mul_u32_u24_e32 v67, 0x44, v65
	s_delay_alu instid0(VALU_DEP_1) | instskip(SKIP_1) | instid1(VALU_DEP_1)
	v_lshl_add_u32 v67, v66, 2, v67
	s_waitcnt lgkmcnt(0)
	v_dual_add_f32 v82, v82, v89 :: v_dual_add_nc_u32 v67, 0x4000, v67
	ds_store_2addr_b32 v67, v68, v82 offset1:136
.LBB1761_12:
	s_or_b32 exec_lo, exec_lo, s3
	v_lshlrev_b32_e32 v67, 2, v66
	s_waitcnt lgkmcnt(0)
	s_barrier
	buffer_gl0_inv
	v_cmp_eq_u32_e32 vcc_lo, 1, v65
	v_add_nc_u32_e32 v82, 0x4000, v67
	v_cmp_eq_u32_e64 s3, 2, v65
	v_cmp_eq_u32_e64 s5, 7, v65
	ds_load_2addr_b32 v[89:90], v82 offset1:17
	ds_load_2addr_b32 v[91:92], v82 offset0:34 offset1:51
	ds_load_2addr_b32 v[93:94], v82 offset0:68 offset1:85
	;; [unrolled: 1-line block ×4, first 2 shown]
	s_waitcnt lgkmcnt(4)
	v_max3_f32 v67, v89, 0xff7fffff, v90
	s_waitcnt lgkmcnt(3)
	s_delay_alu instid0(VALU_DEP_1) | instskip(SKIP_1) | instid1(VALU_DEP_1)
	v_max3_f32 v67, v67, v91, v92
	s_waitcnt lgkmcnt(2)
	v_max3_f32 v67, v67, v93, v94
	s_waitcnt lgkmcnt(1)
	s_delay_alu instid0(VALU_DEP_1) | instskip(NEXT) | instid1(VALU_DEP_1)
	v_max3_f32 v67, v67, v95, v96
	v_sub_f32_e32 v93, v93, v67
	s_delay_alu instid0(VALU_DEP_1) | instskip(NEXT) | instid1(VALU_DEP_1)
	v_dual_sub_f32 v68, v89, v67 :: v_dual_mul_f32 v103, 0x3fb8aa3b, v93
	v_mul_f32_e32 v68, 0x3fb8aa3b, v68
	s_delay_alu instid0(VALU_DEP_1)
	v_exp_f32_e32 v100, v68
	v_sub_f32_e32 v68, v92, v67
	v_sub_f32_e32 v99, v90, v67
	ds_load_2addr_b32 v[89:90], v82 offset0:170 offset1:187
	v_dual_mul_f32 v102, 0x3fb8aa3b, v68 :: v_dual_mul_f32 v99, 0x3fb8aa3b, v99
	s_waitcnt lgkmcnt(1)
	v_fma_f32 v68, v100, v97, 0
	s_delay_alu instid0(VALU_DEP_2) | instskip(NEXT) | instid1(VALU_DEP_2)
	v_exp_f32_e32 v102, v102
	v_exp_f32_e32 v99, v99
	s_waitcnt_depctr 0xfff
	v_fmac_f32_e32 v68, v99, v98
	v_sub_f32_e32 v91, v91, v67
	s_delay_alu instid0(VALU_DEP_1)
	v_mul_f32_e32 v101, 0x3fb8aa3b, v91
	ds_load_2addr_b32 v[91:92], v82 offset0:204 offset1:221
	v_sub_f32_e32 v97, v94, v67
	ds_load_2addr_b32 v[93:94], v82 offset0:238 offset1:255
	s_waitcnt lgkmcnt(0)
	v_exp_f32_e32 v101, v101
	s_barrier
	buffer_gl0_inv
	v_dual_fmac_f32 v68, v101, v89 :: v_dual_sub_f32 v89, v96, v67
	v_dual_sub_f32 v82, v95, v67 :: v_dual_mul_f32 v95, 0x3fb8aa3b, v97
	v_exp_f32_e32 v97, v103
	s_delay_alu instid0(VALU_DEP_2) | instskip(NEXT) | instid1(VALU_DEP_2)
	v_dual_fmac_f32 v68, v102, v90 :: v_dual_mul_f32 v89, 0x3fb8aa3b, v89
	v_mul_f32_e32 v82, 0x3fb8aa3b, v82
	s_delay_alu instid0(VALU_DEP_3) | instskip(NEXT) | instid1(VALU_DEP_2)
	v_exp_f32_e32 v95, v95
	v_exp_f32_e32 v89, v89
	s_delay_alu instid0(VALU_DEP_1)
	v_exp_f32_e32 v82, v82
	v_fmac_f32_e32 v68, v97, v91
	s_delay_alu instid0(TRANS32_DEP_3) | instid1(VALU_DEP_1)
	v_fmac_f32_e32 v68, v95, v92
	s_waitcnt_depctr 0xfff
	v_fmac_f32_e32 v68, v82, v93
	s_delay_alu instid0(VALU_DEP_1) | instskip(NEXT) | instid1(VALU_DEP_1)
	v_fmac_f32_e32 v68, v89, v94
	v_add_f32_e32 v90, 0x358637bd, v68
	s_delay_alu instid0(VALU_DEP_1) | instskip(NEXT) | instid1(VALU_DEP_1)
	v_div_scale_f32 v91, null, v90, v90, 1.0
	v_rcp_f32_e32 v92, v91
	s_waitcnt_depctr 0xfff
	v_fma_f32 v93, -v91, v92, 1.0
	s_delay_alu instid0(VALU_DEP_1) | instskip(SKIP_1) | instid1(VALU_DEP_2)
	v_dual_fmac_f32 v92, v93, v92 :: v_dual_cndmask_b32 v93, v100, v99
	v_cmp_eq_u32_e32 vcc_lo, 3, v65
	v_cndmask_b32_e64 v93, v93, v101, s3
	v_cmp_eq_u32_e64 s3, 4, v65
	s_delay_alu instid0(VALU_DEP_2) | instskip(SKIP_1) | instid1(VALU_DEP_2)
	v_cndmask_b32_e32 v93, v93, v102, vcc_lo
	v_cmp_eq_u32_e32 vcc_lo, 5, v65
	v_cndmask_b32_e64 v93, v93, v97, s3
	v_cmp_eq_u32_e64 s3, 6, v65
	s_delay_alu instid0(VALU_DEP_2) | instskip(SKIP_1) | instid1(VALU_DEP_1)
	v_cndmask_b32_e32 v93, v93, v95, vcc_lo
	v_div_scale_f32 v94, s4, 1.0, v90, 1.0
	s_mov_b32 vcc_lo, s4
	s_delay_alu instid0(VALU_DEP_2) | instskip(NEXT) | instid1(VALU_DEP_2)
	v_cndmask_b32_e64 v82, v93, v82, s3
	v_mul_f32_e32 v96, v94, v92
	s_mov_b32 s3, exec_lo
	s_delay_alu instid0(VALU_DEP_2) | instskip(NEXT) | instid1(VALU_DEP_2)
	v_cndmask_b32_e64 v82, v82, v89, s5
	v_fma_f32 v98, -v91, v96, v94
	s_delay_alu instid0(VALU_DEP_1) | instskip(NEXT) | instid1(VALU_DEP_1)
	v_fmac_f32_e32 v96, v98, v92
	v_fma_f32 v91, -v91, v96, v94
	s_delay_alu instid0(VALU_DEP_1) | instskip(NEXT) | instid1(VALU_DEP_1)
	v_div_fmas_f32 v91, v91, v92, v96
	v_div_fixup_f32 v90, v91, v90, 1.0
	s_delay_alu instid0(VALU_DEP_1) | instskip(NEXT) | instid1(VALU_DEP_1)
	v_mul_f32_e32 v82, v82, v90
	v_mul_f32_e32 v87, v82, v87
	;; [unrolled: 1-line block ×7, first 2 shown]
	v_dual_mul_f32 v86, v82, v83 :: v_dual_and_b32 v91, 0x7f800000, v90
	v_mul_f32_e32 v85, v82, v76
                                        ; implicit-def: $vgpr76
	s_delay_alu instid0(VALU_DEP_2)
	v_cmpx_ne_u32_e32 0x7f800000, v91
	s_xor_b32 s3, exec_lo, s3
; %bb.13:
	v_bfe_u32 v76, v90, 16, 1
	s_delay_alu instid0(VALU_DEP_1)
	v_add3_u32 v76, v90, v76, 0x7fff
                                        ; implicit-def: $vgpr90
; %bb.14:
	s_and_not1_saveexec_b32 s3, s3
; %bb.15:
	v_and_b32_e32 v76, 0xffff, v90
	v_or_b32_e32 v83, 0x10000, v90
	s_delay_alu instid0(VALU_DEP_2) | instskip(NEXT) | instid1(VALU_DEP_2)
	v_cmp_eq_u32_e32 vcc_lo, 0, v76
	v_cndmask_b32_e32 v76, v83, v90, vcc_lo
; %bb.16:
	s_or_b32 exec_lo, exec_lo, s3
	v_and_b32_e32 v83, 0x7f800000, v85
	s_delay_alu instid0(VALU_DEP_1) | instskip(SKIP_1) | instid1(SALU_CYCLE_1)
	v_cmp_ne_u32_e32 vcc_lo, 0x7f800000, v83
                                        ; implicit-def: $vgpr83
	s_and_saveexec_b32 s3, vcc_lo
	s_xor_b32 s3, exec_lo, s3
; %bb.17:
	v_bfe_u32 v83, v85, 16, 1
	s_delay_alu instid0(VALU_DEP_1)
	v_add3_u32 v83, v85, v83, 0x7fff
                                        ; implicit-def: $vgpr85
; %bb.18:
	s_and_not1_saveexec_b32 s3, s3
; %bb.19:
	v_and_b32_e32 v83, 0xffff, v85
	v_or_b32_e32 v90, 0x10000, v85
	s_delay_alu instid0(VALU_DEP_2) | instskip(NEXT) | instid1(VALU_DEP_2)
	v_cmp_eq_u32_e32 vcc_lo, 0, v83
	v_cndmask_b32_e32 v83, v90, v85, vcc_lo
; %bb.20:
	s_or_b32 exec_lo, exec_lo, s3
	v_and_b32_e32 v85, 0x7f800000, v86
	s_delay_alu instid0(VALU_DEP_1) | instskip(SKIP_1) | instid1(SALU_CYCLE_1)
	v_cmp_ne_u32_e32 vcc_lo, 0x7f800000, v85
                                        ; implicit-def: $vgpr85
	s_and_saveexec_b32 s3, vcc_lo
	s_xor_b32 s3, exec_lo, s3
; %bb.21:
	v_bfe_u32 v85, v86, 16, 1
	s_delay_alu instid0(VALU_DEP_1)
	v_add3_u32 v85, v86, v85, 0x7fff
                                        ; implicit-def: $vgpr86
; %bb.22:
	s_and_not1_saveexec_b32 s3, s3
; %bb.23:
	v_and_b32_e32 v85, 0xffff, v86
	v_or_b32_e32 v90, 0x10000, v86
	s_delay_alu instid0(VALU_DEP_2) | instskip(NEXT) | instid1(VALU_DEP_2)
	v_cmp_eq_u32_e32 vcc_lo, 0, v85
	v_cndmask_b32_e32 v85, v90, v86, vcc_lo
; %bb.24:
	s_or_b32 exec_lo, exec_lo, s3
	v_and_b32_e32 v86, 0x7f800000, v89
	s_delay_alu instid0(VALU_DEP_1) | instskip(SKIP_1) | instid1(SALU_CYCLE_1)
	v_cmp_ne_u32_e32 vcc_lo, 0x7f800000, v86
                                        ; implicit-def: $vgpr86
	s_and_saveexec_b32 s3, vcc_lo
	s_xor_b32 s3, exec_lo, s3
; %bb.25:
	v_bfe_u32 v86, v89, 16, 1
	s_delay_alu instid0(VALU_DEP_1)
	v_add3_u32 v86, v89, v86, 0x7fff
                                        ; implicit-def: $vgpr89
; %bb.26:
	s_and_not1_saveexec_b32 s3, s3
; %bb.27:
	v_and_b32_e32 v86, 0xffff, v89
	v_or_b32_e32 v90, 0x10000, v89
	s_delay_alu instid0(VALU_DEP_2) | instskip(NEXT) | instid1(VALU_DEP_2)
	v_cmp_eq_u32_e32 vcc_lo, 0, v86
	v_cndmask_b32_e32 v86, v90, v89, vcc_lo
; %bb.28:
	s_or_b32 exec_lo, exec_lo, s3
	v_and_b32_e32 v89, 0x7f800000, v88
	s_delay_alu instid0(VALU_DEP_1) | instskip(SKIP_1) | instid1(SALU_CYCLE_1)
	v_cmp_ne_u32_e32 vcc_lo, 0x7f800000, v89
                                        ; implicit-def: $vgpr89
	s_and_saveexec_b32 s3, vcc_lo
	s_xor_b32 s3, exec_lo, s3
; %bb.29:
	v_bfe_u32 v89, v88, 16, 1
	s_delay_alu instid0(VALU_DEP_1)
	v_add3_u32 v89, v88, v89, 0x7fff
                                        ; implicit-def: $vgpr88
; %bb.30:
	s_and_not1_saveexec_b32 s3, s3
; %bb.31:
	v_and_b32_e32 v89, 0xffff, v88
	v_or_b32_e32 v90, 0x10000, v88
	s_delay_alu instid0(VALU_DEP_2) | instskip(NEXT) | instid1(VALU_DEP_2)
	v_cmp_eq_u32_e32 vcc_lo, 0, v89
	v_cndmask_b32_e32 v89, v90, v88, vcc_lo
; %bb.32:
	s_or_b32 exec_lo, exec_lo, s3
	v_and_b32_e32 v88, 0x7f800000, v87
	s_delay_alu instid0(VALU_DEP_1) | instskip(SKIP_1) | instid1(SALU_CYCLE_1)
	v_cmp_ne_u32_e32 vcc_lo, 0x7f800000, v88
                                        ; implicit-def: $vgpr88
	s_and_saveexec_b32 s3, vcc_lo
	s_xor_b32 s3, exec_lo, s3
; %bb.33:
	v_bfe_u32 v88, v87, 16, 1
	s_delay_alu instid0(VALU_DEP_1)
	v_add3_u32 v88, v87, v88, 0x7fff
                                        ; implicit-def: $vgpr87
; %bb.34:
	s_and_not1_saveexec_b32 s3, s3
; %bb.35:
	v_and_b32_e32 v88, 0xffff, v87
	v_or_b32_e32 v90, 0x10000, v87
	s_delay_alu instid0(VALU_DEP_2) | instskip(NEXT) | instid1(VALU_DEP_2)
	v_cmp_eq_u32_e32 vcc_lo, 0, v88
	v_cndmask_b32_e32 v88, v90, v87, vcc_lo
; %bb.36:
	s_or_b32 exec_lo, exec_lo, s3
	v_and_b32_e32 v87, 0x7f800000, v84
	s_delay_alu instid0(VALU_DEP_1) | instskip(SKIP_1) | instid1(SALU_CYCLE_1)
	v_cmp_ne_u32_e32 vcc_lo, 0x7f800000, v87
                                        ; implicit-def: $vgpr87
	s_and_saveexec_b32 s3, vcc_lo
	s_xor_b32 s3, exec_lo, s3
; %bb.37:
	v_bfe_u32 v87, v84, 16, 1
	s_delay_alu instid0(VALU_DEP_1)
	v_add3_u32 v87, v84, v87, 0x7fff
                                        ; implicit-def: $vgpr84
; %bb.38:
	s_and_not1_saveexec_b32 s3, s3
; %bb.39:
	v_and_b32_e32 v87, 0xffff, v84
	v_or_b32_e32 v90, 0x10000, v84
	s_delay_alu instid0(VALU_DEP_2) | instskip(NEXT) | instid1(VALU_DEP_2)
	v_cmp_eq_u32_e32 vcc_lo, 0, v87
	v_cndmask_b32_e32 v87, v90, v84, vcc_lo
; %bb.40:
	s_or_b32 exec_lo, exec_lo, s3
	v_and_b32_e32 v84, 0x7f800000, v80
	s_delay_alu instid0(VALU_DEP_1) | instskip(SKIP_1) | instid1(SALU_CYCLE_1)
	v_cmp_ne_u32_e32 vcc_lo, 0x7f800000, v84
                                        ; implicit-def: $vgpr84
	s_and_saveexec_b32 s3, vcc_lo
	s_xor_b32 s3, exec_lo, s3
; %bb.41:
	v_bfe_u32 v84, v80, 16, 1
	s_delay_alu instid0(VALU_DEP_1)
	v_add3_u32 v84, v80, v84, 0x7fff
                                        ; implicit-def: $vgpr80
; %bb.42:
	s_and_not1_saveexec_b32 s3, s3
; %bb.43:
	v_and_b32_e32 v84, 0xffff, v80
	v_or_b32_e32 v90, 0x10000, v80
	s_delay_alu instid0(VALU_DEP_2) | instskip(NEXT) | instid1(VALU_DEP_2)
	v_cmp_eq_u32_e32 vcc_lo, 0, v84
	v_cndmask_b32_e32 v84, v90, v80, vcc_lo
; %bb.44:
	s_or_b32 exec_lo, exec_lo, s3
	s_load_b64 s[34:35], s[0:1], 0x94
	v_lshlrev_b32_e32 v91, 4, v75
	s_delay_alu instid0(VALU_DEP_2)
	v_perm_b32 v90, v84, v87, 0x7060302
	v_dual_mul_f32 v77, v82, v77 :: v_dual_lshlrev_b32 v80, 6, v66
	v_lshlrev_b32_e32 v66, 11, v65
	v_perm_b32 v87, v83, v76, 0x7060302
	v_mul_f32_e32 v83, v82, v70
	v_perm_b32 v89, v88, v89, 0x7060302
	v_perm_b32 v88, v86, v85, 0x7060302
	v_or3_b32 v76, v91, v66, v80
	v_mul_f32_e32 v66, v82, v81
	v_mul_f32_e32 v70, v82, v79
	;; [unrolled: 1-line block ×3, first 2 shown]
	v_dual_mul_f32 v81, v82, v72 :: v_dual_and_b32 v84, 0x7f800000, v83
	v_mul_f32_e32 v79, v82, v71
	v_mul_f32_e32 v72, v82, v69
	s_mov_b32 s3, exec_lo
	ds_store_b128 v76, v[87:90]
                                        ; implicit-def: $vgpr69
	v_cmpx_ne_u32_e32 0x7f800000, v84
	s_xor_b32 s3, exec_lo, s3
; %bb.45:
	v_bfe_u32 v69, v83, 16, 1
	s_delay_alu instid0(VALU_DEP_1)
	v_add3_u32 v69, v83, v69, 0x7fff
                                        ; implicit-def: $vgpr83
; %bb.46:
	s_and_not1_saveexec_b32 s3, s3
; %bb.47:
	v_and_b32_e32 v69, 0xffff, v83
	v_or_b32_e32 v71, 0x10000, v83
	s_delay_alu instid0(VALU_DEP_2) | instskip(NEXT) | instid1(VALU_DEP_2)
	v_cmp_eq_u32_e32 vcc_lo, 0, v69
	v_cndmask_b32_e32 v69, v71, v83, vcc_lo
; %bb.48:
	s_or_b32 exec_lo, exec_lo, s3
	v_and_b32_e32 v71, 0x7f800000, v72
	s_delay_alu instid0(VALU_DEP_1) | instskip(SKIP_1) | instid1(SALU_CYCLE_1)
	v_cmp_ne_u32_e32 vcc_lo, 0x7f800000, v71
                                        ; implicit-def: $vgpr71
	s_and_saveexec_b32 s3, vcc_lo
	s_xor_b32 s3, exec_lo, s3
; %bb.49:
	v_bfe_u32 v71, v72, 16, 1
	s_delay_alu instid0(VALU_DEP_1)
	v_add3_u32 v71, v72, v71, 0x7fff
                                        ; implicit-def: $vgpr72
; %bb.50:
	s_and_not1_saveexec_b32 s3, s3
; %bb.51:
	v_and_b32_e32 v71, 0xffff, v72
	v_or_b32_e32 v82, 0x10000, v72
	s_delay_alu instid0(VALU_DEP_2) | instskip(NEXT) | instid1(VALU_DEP_2)
	v_cmp_eq_u32_e32 vcc_lo, 0, v71
	v_cndmask_b32_e32 v71, v82, v72, vcc_lo
; %bb.52:
	s_or_b32 exec_lo, exec_lo, s3
	v_and_b32_e32 v72, 0x7f800000, v79
	s_delay_alu instid0(VALU_DEP_1) | instskip(SKIP_1) | instid1(SALU_CYCLE_1)
	v_cmp_ne_u32_e32 vcc_lo, 0x7f800000, v72
                                        ; implicit-def: $vgpr72
	s_and_saveexec_b32 s3, vcc_lo
	s_xor_b32 s3, exec_lo, s3
; %bb.53:
	v_bfe_u32 v72, v79, 16, 1
	s_delay_alu instid0(VALU_DEP_1)
	v_add3_u32 v72, v79, v72, 0x7fff
                                        ; implicit-def: $vgpr79
; %bb.54:
	s_and_not1_saveexec_b32 s3, s3
; %bb.55:
	v_and_b32_e32 v72, 0xffff, v79
	v_or_b32_e32 v82, 0x10000, v79
	s_delay_alu instid0(VALU_DEP_2) | instskip(NEXT) | instid1(VALU_DEP_2)
	v_cmp_eq_u32_e32 vcc_lo, 0, v72
	v_cndmask_b32_e32 v72, v82, v79, vcc_lo
; %bb.56:
	s_or_b32 exec_lo, exec_lo, s3
	v_and_b32_e32 v79, 0x7f800000, v81
	s_delay_alu instid0(VALU_DEP_1) | instskip(SKIP_1) | instid1(SALU_CYCLE_1)
	v_cmp_ne_u32_e32 vcc_lo, 0x7f800000, v79
                                        ; implicit-def: $vgpr79
	s_and_saveexec_b32 s3, vcc_lo
	s_xor_b32 s3, exec_lo, s3
; %bb.57:
	v_bfe_u32 v79, v81, 16, 1
	s_delay_alu instid0(VALU_DEP_1)
	v_add3_u32 v79, v81, v79, 0x7fff
                                        ; implicit-def: $vgpr81
; %bb.58:
	s_and_not1_saveexec_b32 s3, s3
; %bb.59:
	v_and_b32_e32 v79, 0xffff, v81
	v_or_b32_e32 v82, 0x10000, v81
	s_delay_alu instid0(VALU_DEP_2) | instskip(NEXT) | instid1(VALU_DEP_2)
	v_cmp_eq_u32_e32 vcc_lo, 0, v79
	v_cndmask_b32_e32 v79, v82, v81, vcc_lo
; %bb.60:
	s_or_b32 exec_lo, exec_lo, s3
	v_and_b32_e32 v81, 0x7f800000, v77
	s_delay_alu instid0(VALU_DEP_1) | instskip(SKIP_1) | instid1(SALU_CYCLE_1)
	v_cmp_ne_u32_e32 vcc_lo, 0x7f800000, v81
                                        ; implicit-def: $vgpr81
	s_and_saveexec_b32 s3, vcc_lo
	s_xor_b32 s3, exec_lo, s3
; %bb.61:
	v_bfe_u32 v81, v77, 16, 1
	s_delay_alu instid0(VALU_DEP_1)
	v_add3_u32 v81, v77, v81, 0x7fff
                                        ; implicit-def: $vgpr77
; %bb.62:
	s_and_not1_saveexec_b32 s3, s3
; %bb.63:
	v_and_b32_e32 v81, 0xffff, v77
	v_or_b32_e32 v82, 0x10000, v77
	s_delay_alu instid0(VALU_DEP_2) | instskip(NEXT) | instid1(VALU_DEP_2)
	v_cmp_eq_u32_e32 vcc_lo, 0, v81
	v_cndmask_b32_e32 v81, v82, v77, vcc_lo
; %bb.64:
	s_or_b32 exec_lo, exec_lo, s3
	v_and_b32_e32 v77, 0x7f800000, v78
	s_delay_alu instid0(VALU_DEP_1) | instskip(SKIP_1) | instid1(SALU_CYCLE_1)
	v_cmp_ne_u32_e32 vcc_lo, 0x7f800000, v77
                                        ; implicit-def: $vgpr77
	s_and_saveexec_b32 s3, vcc_lo
	s_xor_b32 s3, exec_lo, s3
; %bb.65:
	v_bfe_u32 v77, v78, 16, 1
	s_delay_alu instid0(VALU_DEP_1)
	v_add3_u32 v77, v78, v77, 0x7fff
                                        ; implicit-def: $vgpr78
; %bb.66:
	s_and_not1_saveexec_b32 s3, s3
; %bb.67:
	v_and_b32_e32 v77, 0xffff, v78
	v_or_b32_e32 v82, 0x10000, v78
	s_delay_alu instid0(VALU_DEP_2) | instskip(NEXT) | instid1(VALU_DEP_2)
	v_cmp_eq_u32_e32 vcc_lo, 0, v77
	v_cndmask_b32_e32 v77, v82, v78, vcc_lo
; %bb.68:
	s_or_b32 exec_lo, exec_lo, s3
	v_and_b32_e32 v78, 0x7f800000, v70
	s_delay_alu instid0(VALU_DEP_1) | instskip(SKIP_1) | instid1(SALU_CYCLE_1)
	v_cmp_ne_u32_e32 vcc_lo, 0x7f800000, v78
                                        ; implicit-def: $vgpr78
	s_and_saveexec_b32 s3, vcc_lo
	s_xor_b32 s3, exec_lo, s3
; %bb.69:
	v_bfe_u32 v78, v70, 16, 1
	s_delay_alu instid0(VALU_DEP_1)
	v_add3_u32 v78, v70, v78, 0x7fff
                                        ; implicit-def: $vgpr70
; %bb.70:
	s_and_not1_saveexec_b32 s3, s3
; %bb.71:
	v_and_b32_e32 v78, 0xffff, v70
	v_or_b32_e32 v82, 0x10000, v70
	s_delay_alu instid0(VALU_DEP_2) | instskip(NEXT) | instid1(VALU_DEP_2)
	v_cmp_eq_u32_e32 vcc_lo, 0, v78
	v_cndmask_b32_e32 v78, v82, v70, vcc_lo
; %bb.72:
	s_or_b32 exec_lo, exec_lo, s3
	v_and_b32_e32 v70, 0x7f800000, v66
	s_delay_alu instid0(VALU_DEP_1) | instskip(SKIP_1) | instid1(SALU_CYCLE_1)
	v_cmp_ne_u32_e32 vcc_lo, 0x7f800000, v70
                                        ; implicit-def: $vgpr70
	s_and_saveexec_b32 s3, vcc_lo
	s_xor_b32 s3, exec_lo, s3
; %bb.73:
	v_bfe_u32 v70, v66, 16, 1
	s_delay_alu instid0(VALU_DEP_1)
	v_add3_u32 v70, v66, v70, 0x7fff
                                        ; implicit-def: $vgpr66
; %bb.74:
	s_and_not1_saveexec_b32 s3, s3
; %bb.75:
	v_and_b32_e32 v70, 0xffff, v66
	v_or_b32_e32 v82, 0x10000, v66
	s_delay_alu instid0(VALU_DEP_2) | instskip(NEXT) | instid1(VALU_DEP_2)
	v_cmp_eq_u32_e32 vcc_lo, 0, v70
	v_cndmask_b32_e32 v70, v82, v66, vcc_lo
; %bb.76:
	s_or_b32 exec_lo, exec_lo, s3
	s_delay_alu instid0(VALU_DEP_1)
	v_perm_b32 v86, v70, v78, 0x7060302
	v_perm_b32 v85, v77, v81, 0x7060302
	v_perm_b32 v84, v79, v72, 0x7060302
	v_perm_b32 v83, v71, v69, 0x7060302
	v_lshl_or_b32 v82, v65, 11, v80
	ds_store_b128 v76, v[83:86] offset:1024
	s_waitcnt lgkmcnt(0)
	s_barrier
	buffer_gl0_inv
	ds_load_b128 v[69:72], v82
	ds_load_b128 v[83:86], v82 offset:16
	s_waitcnt lgkmcnt(1)
	v_lshrrev_b32_e32 v65, 16, v69
	v_lshlrev_b32_e32 v78, 2, v75
	s_waitcnt lgkmcnt(0)
	v_lshrrev_b32_e32 v91, 16, v83
	v_lshrrev_b32_e32 v66, 16, v70
	;; [unrolled: 1-line block ×4, first 2 shown]
	v_cmp_eq_u32_e32 vcc_lo, 1, v78
	v_lshrrev_b32_e32 v98, 16, v85
	v_lshrrev_b32_e32 v96, 16, v72
	;; [unrolled: 1-line block ×3, first 2 shown]
	v_cndmask_b32_e32 v81, v69, v65, vcc_lo
	v_or_b32_e32 v79, 1, v78
	v_cmp_eq_u32_e64 s4, 2, v78
	v_cndmask_b32_e32 v87, v83, v91, vcc_lo
	v_cmp_eq_u32_e64 s7, 3, v78
	v_cmp_eq_u32_e64 s9, 4, v78
	;; [unrolled: 1-line block ×3, first 2 shown]
	v_cndmask_b32_e64 v81, v81, v70, s4
	v_cmp_eq_u32_e64 s6, 2, v79
	v_cndmask_b32_e64 v87, v87, v84, s4
	v_cmp_eq_u32_e64 s8, 3, v79
	v_cndmask_b32_e64 v88, v69, v65, s3
	v_cndmask_b32_e64 v81, v81, v66, s7
	v_or_b32_e32 v77, 2, v78
	v_cndmask_b32_e64 v87, v87, v97, s7
	v_cndmask_b32_e64 v89, v83, v91, s3
	v_cndmask_b32_e64 v88, v88, v70, s6
	v_cndmask_b32_e64 v81, v81, v71, s9
	v_cmp_eq_u32_e64 s10, 5, v78
	v_cndmask_b32_e64 v87, v87, v85, s9
	v_cmp_eq_u32_e64 s11, 4, v79
	v_cndmask_b32_e64 v88, v88, v66, s8
	;; [unrolled: 2-line block ×3, first 2 shown]
	v_cndmask_b32_e64 v81, v81, v95, s10
	v_cmp_eq_u32_e64 s12, 6, v78
	v_cndmask_b32_e64 v88, v88, v71, s11
	v_cndmask_b32_e64 v87, v87, v98, s10
	v_cmp_eq_u32_e64 s13, 5, v79
	v_cndmask_b32_e64 v90, v69, v65, s5
	v_cndmask_b32_e64 v89, v89, v97, s8
	;; [unrolled: 1-line block ×3, first 2 shown]
	v_cmp_eq_u32_e64 s15, 7, v78
	v_cndmask_b32_e64 v88, v88, v95, s13
	v_cndmask_b32_e64 v87, v87, v86, s12
	v_cmp_eq_u32_e64 s16, 6, v79
	v_cmp_eq_u32_e64 s17, 2, v77
	v_cndmask_b32_e64 v89, v89, v85, s11
	v_cndmask_b32_e64 v100, v81, v96, s15
	;; [unrolled: 1-line block ×6, first 2 shown]
	v_cmp_eq_u32_e64 s18, 7, v79
	v_cmp_eq_u32_e64 s19, 3, v77
	;; [unrolled: 1-line block ×4, first 2 shown]
	v_cndmask_b32_e64 v87, v87, v84, s17
	v_cndmask_b32_e64 v102, v88, v96, s18
	;; [unrolled: 1-line block ×4, first 2 shown]
	v_or_b32_e32 v81, 3, v78
	v_cndmask_b32_e64 v93, v87, v97, s19
	v_cmp_eq_u32_e64 s24, 6, v77
	v_cndmask_b32_e64 v103, v88, v86, s16
	v_cndmask_b32_e64 v92, v89, v71, s20
	v_cmp_eq_u32_e64 s21, 1, v81
	ds_load_b128 v[87:90], v82 offset:1024
	v_cmp_eq_u32_e64 s23, 2, v81
	v_cmp_eq_u32_e64 s25, 3, v81
	v_cndmask_b32_e64 v104, v92, v95, s22
	v_cndmask_b32_e64 v65, v69, v65, s21
	;; [unrolled: 1-line block ×4, first 2 shown]
	ds_load_b128 v[91:94], v82 offset:1040
	v_cmp_eq_u32_e64 s26, 4, v81
	v_cndmask_b32_e64 v65, v65, v70, s23
	v_cmp_eq_u32_e64 s28, 5, v81
	v_cndmask_b32_e64 v70, v83, v84, s23
	;; [unrolled: 2-line block ×3, first 2 shown]
	v_cndmask_b32_e64 v65, v65, v66, s25
	v_cndmask_b32_e64 v66, v104, v72, s24
	v_cndmask_b32_e64 v70, v70, v97, s25
	v_cmp_eq_u32_e64 s27, 7, v77
	v_cndmask_b32_e64 v69, v69, v86, s24
	v_cndmask_b32_e64 v65, v65, v71, s26
	s_waitcnt lgkmcnt(1)
	v_lshrrev_b32_e32 v84, 16, v87
	v_cndmask_b32_e64 v70, v70, v85, s26
	v_cndmask_b32_e64 v83, v103, v99, s18
	v_cndmask_b32_e64 v66, v66, v96, s27
	v_cndmask_b32_e64 v65, v65, v95, s28
	v_lshrrev_b32_e32 v95, 16, v88
	v_cndmask_b32_e64 v70, v70, v98, s28
	s_waitcnt lgkmcnt(0)
	v_lshrrev_b32_e32 v85, 16, v91
	v_cndmask_b32_e64 v97, v87, v84, s3
	v_cndmask_b32_e64 v65, v65, v72, s29
	;; [unrolled: 1-line block ×4, first 2 shown]
	v_cndmask_b32_e32 v71, v87, v84, vcc_lo
	v_cndmask_b32_e32 v98, v91, v85, vcc_lo
	v_cmp_eq_u32_e32 vcc_lo, 7, v81
	v_cndmask_b32_e64 v72, v97, v88, s6
	v_lshrrev_b32_e32 v97, 16, v92
	v_lshrrev_b32_e32 v103, 16, v90
	v_dual_cndmask_b32 v65, v65, v96 :: v_dual_cndmask_b32 v70, v70, v99
	v_cndmask_b32_e64 v71, v71, v88, s4
	v_cndmask_b32_e64 v86, v98, v92, s4
	;; [unrolled: 1-line block ×3, first 2 shown]
	v_lshrrev_b32_e32 v98, 16, v89
	v_lshrrev_b32_e32 v99, 16, v93
	v_cndmask_b32_e64 v71, v71, v95, s7
	v_cndmask_b32_e64 v86, v86, v97, s7
	v_cndmask_b32_e64 v96, v72, v89, s11
	v_perm_b32 v72, v70, v65, 0x5040100
	v_perm_b32 v70, v83, v102, 0x5040100
	v_cndmask_b32_e64 v71, v71, v89, s9
	v_cndmask_b32_e64 v86, v86, v93, s9
	v_cndmask_b32_e64 v65, v96, v98, s13
	v_lshrrev_b32_e32 v83, 16, v94
	s_delay_alu instid0(VALU_DEP_4) | instskip(NEXT) | instid1(VALU_DEP_4)
	v_cndmask_b32_e64 v71, v71, v98, s10
	v_cndmask_b32_e64 v86, v86, v99, s10
	s_delay_alu instid0(VALU_DEP_4) | instskip(NEXT) | instid1(VALU_DEP_3)
	v_cndmask_b32_e64 v65, v65, v90, s16
	v_cndmask_b32_e64 v96, v71, v90, s12
	v_perm_b32 v71, v69, v66, 0x5040100
	s_delay_alu instid0(VALU_DEP_4)
	v_cndmask_b32_e64 v69, v86, v94, s12
	v_cndmask_b32_e64 v86, v87, v84, s5
	;; [unrolled: 1-line block ×34, first 2 shown]
	v_cndmask_b32_e32 v84, v84, v103, vcc_lo
	v_cndmask_b32_e32 v86, v87, v83, vcc_lo
	v_cndmask_b32_e64 v87, v88, v83, s27
	v_cndmask_b32_e64 v88, v85, v83, s18
	;; [unrolled: 1-line block ×3, first 2 shown]
	v_perm_b32 v69, v101, v100, 0x5040100
	v_perm_b32 v86, v86, v84, 0x5040100
	;; [unrolled: 1-line block ×5, first 2 shown]
	s_lshl_b32 s8, s35, 2
	s_mov_b32 s3, exec_lo
	ds_store_b128 v76, v[69:72]
	ds_store_b128 v76, v[83:86] offset:1024
	v_cmpx_gt_u32_e32 4, v0
	s_cbranch_execz .LBB1761_78
; %bb.77:
	v_or_b32_e32 v65, s31, v0
	s_load_b128 s[4:7], s[0:1], 0x58
	s_delay_alu instid0(VALU_DEP_1) | instskip(NEXT) | instid1(VALU_DEP_1)
	v_mad_u64_u32 v[69:70], null, s8, s30, v[65:66]
	v_mad_u64_u32 v[65:66], null, v69, s34, s[14:15]
	s_delay_alu instid0(VALU_DEP_1) | instskip(NEXT) | instid1(VALU_DEP_1)
	v_ashrrev_i32_e32 v66, 31, v65
	v_lshlrev_b64 v[65:66], 2, v[65:66]
	s_waitcnt lgkmcnt(0)
	s_delay_alu instid0(VALU_DEP_1) | instskip(NEXT) | instid1(VALU_DEP_2)
	v_add_co_u32 v69, vcc_lo, s6, v65
	v_add_co_ci_u32_e32 v70, vcc_lo, s7, v66, vcc_lo
	v_add_co_u32 v65, vcc_lo, s4, v65
	v_add_co_ci_u32_e32 v66, vcc_lo, s5, v66, vcc_lo
	global_store_b32 v[69:70], v67, off
	global_store_b32 v[65:66], v68, off
.LBB1761_78:
	s_or_b32 exec_lo, exec_lo, s3
	s_waitcnt lgkmcnt(0)
	s_waitcnt_vscnt null, 0x0
	s_barrier
	buffer_gl0_inv
	ds_load_b128 v[83:86], v80
	ds_load_b128 v[87:90], v80 offset:16
	ds_load_b128 v[95:98], v80 offset:2064
	;; [unrolled: 1-line block ×3, first 2 shown]
	v_mov_b32_e32 v65, 0
	ds_load_b128 v[103:106], v80 offset:4112
	ds_load_b128 v[99:102], v80 offset:4096
	;; [unrolled: 1-line block ×4, first 2 shown]
	v_mov_b32_e32 v66, v65
	v_mov_b32_e32 v67, v65
	;; [unrolled: 1-line block ×7, first 2 shown]
	s_waitcnt lgkmcnt(6)
	s_delay_alu instid0(VALU_DEP_1)
	v_wmma_f32_16x16x16_bf16 v[65:72], v[57:64], v[83:90], v[65:72]
	ds_load_b128 v[61:64], v80 offset:8208
	ds_load_b128 v[57:60], v80 offset:8192
	s_waitcnt lgkmcnt(6)
	v_wmma_f32_16x16x16_bf16 v[65:72], v[41:48], v[91:98], v[65:72]
	ds_load_b128 v[45:48], v80 offset:10256
	ds_load_b128 v[41:44], v80 offset:10240
	s_waitcnt lgkmcnt(6)
	;; [unrolled: 4-line block ×4, first 2 shown]
	v_wmma_f32_16x16x16_bf16 v[65:72], v[1:8], v[57:64], v[65:72]
	s_waitcnt lgkmcnt(4)
	s_delay_alu instid0(VALU_DEP_1) | instskip(SKIP_1) | instid1(VALU_DEP_1)
	v_wmma_f32_16x16x16_bf16 v[65:72], v[9:16], v[41:48], v[65:72]
	s_waitcnt lgkmcnt(2)
	v_wmma_f32_16x16x16_bf16 v[65:72], v[17:24], v[33:40], v[65:72]
	s_waitcnt lgkmcnt(0)
	s_delay_alu instid0(VALU_DEP_1) | instskip(NEXT) | instid1(VALU_DEP_1)
	v_wmma_f32_16x16x16_bf16 v[65:72], v[49:56], v[25:32], v[65:72]
	v_and_b32_e32 v1, 0x7f800000, v65
	s_delay_alu instid0(VALU_DEP_1) | instskip(SKIP_1) | instid1(SALU_CYCLE_1)
	v_cmp_ne_u32_e32 vcc_lo, 0x7f800000, v1
                                        ; implicit-def: $vgpr1
	s_and_saveexec_b32 s3, vcc_lo
	s_xor_b32 s3, exec_lo, s3
; %bb.79:
	v_bfe_u32 v1, v65, 16, 1
	s_delay_alu instid0(VALU_DEP_1)
	v_add3_u32 v1, v65, v1, 0x7fff
; %bb.80:
	s_and_not1_saveexec_b32 s3, s3
; %bb.81:
	v_and_b32_e32 v1, 0xffff, v65
	v_or_b32_e32 v2, 0x10000, v65
	s_delay_alu instid0(VALU_DEP_2) | instskip(NEXT) | instid1(VALU_DEP_2)
	v_cmp_eq_u32_e32 vcc_lo, 0, v1
	v_cndmask_b32_e32 v1, v2, v65, vcc_lo
; %bb.82:
	s_or_b32 exec_lo, exec_lo, s3
	v_and_b32_e32 v2, 0x7f800000, v66
	s_delay_alu instid0(VALU_DEP_1) | instskip(SKIP_1) | instid1(SALU_CYCLE_1)
	v_cmp_ne_u32_e32 vcc_lo, 0x7f800000, v2
                                        ; implicit-def: $vgpr2
	s_and_saveexec_b32 s3, vcc_lo
	s_xor_b32 s3, exec_lo, s3
; %bb.83:
	v_bfe_u32 v2, v66, 16, 1
	s_delay_alu instid0(VALU_DEP_1)
	v_add3_u32 v2, v66, v2, 0x7fff
; %bb.84:
	s_and_not1_saveexec_b32 s3, s3
; %bb.85:
	v_and_b32_e32 v2, 0xffff, v66
	v_or_b32_e32 v3, 0x10000, v66
	s_delay_alu instid0(VALU_DEP_2) | instskip(NEXT) | instid1(VALU_DEP_2)
	v_cmp_eq_u32_e32 vcc_lo, 0, v2
	v_cndmask_b32_e32 v2, v3, v66, vcc_lo
; %bb.86:
	s_or_b32 exec_lo, exec_lo, s3
	v_and_b32_e32 v3, 0x7f800000, v67
	s_delay_alu instid0(VALU_DEP_1) | instskip(SKIP_1) | instid1(SALU_CYCLE_1)
	v_cmp_ne_u32_e32 vcc_lo, 0x7f800000, v3
                                        ; implicit-def: $vgpr3
	s_and_saveexec_b32 s3, vcc_lo
	s_xor_b32 s3, exec_lo, s3
; %bb.87:
	v_bfe_u32 v3, v67, 16, 1
	s_delay_alu instid0(VALU_DEP_1)
	v_add3_u32 v3, v67, v3, 0x7fff
; %bb.88:
	s_and_not1_saveexec_b32 s3, s3
; %bb.89:
	v_and_b32_e32 v3, 0xffff, v67
	v_or_b32_e32 v4, 0x10000, v67
	s_delay_alu instid0(VALU_DEP_2) | instskip(NEXT) | instid1(VALU_DEP_2)
	v_cmp_eq_u32_e32 vcc_lo, 0, v3
	v_cndmask_b32_e32 v3, v4, v67, vcc_lo
; %bb.90:
	s_or_b32 exec_lo, exec_lo, s3
	v_and_b32_e32 v4, 0x7f800000, v68
	s_delay_alu instid0(VALU_DEP_1) | instskip(SKIP_1) | instid1(SALU_CYCLE_1)
	v_cmp_ne_u32_e32 vcc_lo, 0x7f800000, v4
                                        ; implicit-def: $vgpr4
	s_and_saveexec_b32 s3, vcc_lo
	s_xor_b32 s3, exec_lo, s3
; %bb.91:
	v_bfe_u32 v4, v68, 16, 1
	s_delay_alu instid0(VALU_DEP_1)
	v_add3_u32 v4, v68, v4, 0x7fff
; %bb.92:
	s_and_not1_saveexec_b32 s3, s3
; %bb.93:
	v_and_b32_e32 v4, 0xffff, v68
	v_or_b32_e32 v5, 0x10000, v68
	s_delay_alu instid0(VALU_DEP_2) | instskip(NEXT) | instid1(VALU_DEP_2)
	v_cmp_eq_u32_e32 vcc_lo, 0, v4
	v_cndmask_b32_e32 v4, v5, v68, vcc_lo
; %bb.94:
	s_or_b32 exec_lo, exec_lo, s3
	v_and_b32_e32 v5, 0x7f800000, v69
	s_delay_alu instid0(VALU_DEP_1) | instskip(SKIP_1) | instid1(SALU_CYCLE_1)
	v_cmp_ne_u32_e32 vcc_lo, 0x7f800000, v5
                                        ; implicit-def: $vgpr5
	s_and_saveexec_b32 s3, vcc_lo
	s_xor_b32 s3, exec_lo, s3
; %bb.95:
	v_bfe_u32 v5, v69, 16, 1
	s_delay_alu instid0(VALU_DEP_1)
	v_add3_u32 v5, v69, v5, 0x7fff
; %bb.96:
	s_and_not1_saveexec_b32 s3, s3
; %bb.97:
	v_and_b32_e32 v5, 0xffff, v69
	v_or_b32_e32 v6, 0x10000, v69
	s_delay_alu instid0(VALU_DEP_2) | instskip(NEXT) | instid1(VALU_DEP_2)
	v_cmp_eq_u32_e32 vcc_lo, 0, v5
	v_cndmask_b32_e32 v5, v6, v69, vcc_lo
; %bb.98:
	s_or_b32 exec_lo, exec_lo, s3
	v_and_b32_e32 v6, 0x7f800000, v70
	s_delay_alu instid0(VALU_DEP_1) | instskip(SKIP_1) | instid1(SALU_CYCLE_1)
	v_cmp_ne_u32_e32 vcc_lo, 0x7f800000, v6
                                        ; implicit-def: $vgpr6
	s_and_saveexec_b32 s3, vcc_lo
	s_xor_b32 s3, exec_lo, s3
; %bb.99:
	v_bfe_u32 v6, v70, 16, 1
	s_delay_alu instid0(VALU_DEP_1)
	v_add3_u32 v6, v70, v6, 0x7fff
; %bb.100:
	s_and_not1_saveexec_b32 s3, s3
; %bb.101:
	v_and_b32_e32 v6, 0xffff, v70
	v_or_b32_e32 v7, 0x10000, v70
	s_delay_alu instid0(VALU_DEP_2) | instskip(NEXT) | instid1(VALU_DEP_2)
	v_cmp_eq_u32_e32 vcc_lo, 0, v6
	v_cndmask_b32_e32 v6, v7, v70, vcc_lo
; %bb.102:
	s_or_b32 exec_lo, exec_lo, s3
	v_and_b32_e32 v7, 0x7f800000, v71
	s_delay_alu instid0(VALU_DEP_1) | instskip(SKIP_1) | instid1(SALU_CYCLE_1)
	v_cmp_ne_u32_e32 vcc_lo, 0x7f800000, v7
                                        ; implicit-def: $vgpr7
	s_and_saveexec_b32 s3, vcc_lo
	s_xor_b32 s3, exec_lo, s3
; %bb.103:
	v_bfe_u32 v7, v71, 16, 1
	s_delay_alu instid0(VALU_DEP_1)
	v_add3_u32 v7, v71, v7, 0x7fff
; %bb.104:
	s_and_not1_saveexec_b32 s3, s3
; %bb.105:
	v_and_b32_e32 v7, 0xffff, v71
	v_or_b32_e32 v8, 0x10000, v71
	s_delay_alu instid0(VALU_DEP_2) | instskip(NEXT) | instid1(VALU_DEP_2)
	v_cmp_eq_u32_e32 vcc_lo, 0, v7
	v_cndmask_b32_e32 v7, v8, v71, vcc_lo
; %bb.106:
	s_or_b32 exec_lo, exec_lo, s3
	v_and_b32_e32 v8, 0x7f800000, v72
	s_delay_alu instid0(VALU_DEP_1) | instskip(SKIP_1) | instid1(SALU_CYCLE_1)
	v_cmp_ne_u32_e32 vcc_lo, 0x7f800000, v8
                                        ; implicit-def: $vgpr8
	s_and_saveexec_b32 s3, vcc_lo
	s_xor_b32 s3, exec_lo, s3
; %bb.107:
	v_bfe_u32 v8, v72, 16, 1
	s_delay_alu instid0(VALU_DEP_1)
	v_add3_u32 v8, v72, v8, 0x7fff
                                        ; implicit-def: $vgpr65_vgpr66_vgpr67_vgpr68_vgpr69_vgpr70_vgpr71_vgpr72
; %bb.108:
	s_and_not1_saveexec_b32 s3, s3
; %bb.109:
	v_and_b32_e32 v8, 0xffff, v72
	v_or_b32_e32 v9, 0x10000, v72
	s_delay_alu instid0(VALU_DEP_2) | instskip(NEXT) | instid1(VALU_DEP_2)
	v_cmp_eq_u32_e32 vcc_lo, 0, v8
	v_cndmask_b32_e32 v8, v9, v72, vcc_lo
; %bb.110:
	s_or_b32 exec_lo, exec_lo, s3
	s_delay_alu instid0(VALU_DEP_1)
	v_perm_b32 v7, v8, v7, 0x7060302
	v_perm_b32 v6, v6, v5, 0x7060302
	;; [unrolled: 1-line block ×4, first 2 shown]
	s_barrier
	buffer_gl0_inv
	v_cmp_eq_u32_e32 vcc_lo, 1, v78
	ds_store_b128 v76, v[4:7]
	s_waitcnt lgkmcnt(0)
	s_barrier
	buffer_gl0_inv
	ds_load_b128 v[1:4], v82
	ds_load_b128 v[5:8], v82 offset:16
	v_cmp_eq_u32_e64 s3, 1, v79
	v_cmp_eq_u32_e64 s4, 2, v78
	;; [unrolled: 1-line block ×5, first 2 shown]
	s_waitcnt lgkmcnt(1)
	v_lshrrev_b32_e32 v9, 16, v1
	s_waitcnt lgkmcnt(0)
	v_lshrrev_b32_e32 v13, 16, v5
	v_lshrrev_b32_e32 v10, 16, v2
	;; [unrolled: 1-line block ×4, first 2 shown]
	v_cndmask_b32_e64 v19, v1, v9, s3
	v_cndmask_b32_e32 v18, v5, v13, vcc_lo
	v_cndmask_b32_e64 v20, v5, v13, s3
	v_cndmask_b32_e32 v17, v1, v9, vcc_lo
	v_cmp_eq_u32_e32 vcc_lo, 2, v79
	v_lshrrev_b32_e32 v15, 16, v7
	v_cmp_eq_u32_e64 s3, 1, v77
	v_lshrrev_b32_e32 v12, 16, v4
	v_lshrrev_b32_e32 v16, 16, v8
	v_cndmask_b32_e32 v20, v20, v6, vcc_lo
	v_cndmask_b32_e64 v17, v17, v2, s4
	v_cndmask_b32_e32 v19, v19, v2, vcc_lo
	v_cndmask_b32_e64 v18, v18, v6, s4
	v_cmp_eq_u32_e32 vcc_lo, 4, v78
	v_cmp_eq_u32_e64 s4, 3, v79
	v_cndmask_b32_e64 v17, v17, v10, s5
	v_cndmask_b32_e64 v21, v1, v9, s3
	v_cndmask_b32_e64 v18, v18, v14, s5
	v_cndmask_b32_e64 v22, v5, v13, s3
	v_cndmask_b32_e64 v19, v19, v10, s4
	v_cndmask_b32_e32 v17, v17, v3, vcc_lo
	v_cndmask_b32_e64 v20, v20, v14, s4
	v_cndmask_b32_e32 v18, v18, v7, vcc_lo
	v_cmp_eq_u32_e32 vcc_lo, 4, v79
	v_cmp_eq_u32_e64 s4, 5, v79
	v_cmp_eq_u32_e64 s3, 2, v81
	v_cndmask_b32_e64 v21, v21, v2, s7
	v_cmp_eq_u32_e64 s5, 5, v78
	v_cndmask_b32_e32 v19, v19, v3, vcc_lo
	v_cndmask_b32_e32 v20, v20, v7, vcc_lo
	v_cmp_eq_u32_e32 vcc_lo, 6, v79
	s_delay_alu instid0(VALU_DEP_4) | instskip(NEXT) | instid1(VALU_DEP_4)
	v_cndmask_b32_e64 v17, v17, v11, s5
	v_cndmask_b32_e64 v19, v19, v11, s4
	s_delay_alu instid0(VALU_DEP_4) | instskip(SKIP_1) | instid1(VALU_DEP_3)
	v_cndmask_b32_e64 v20, v20, v15, s4
	v_cmp_eq_u32_e64 s4, 1, v81
	v_cndmask_b32_e32 v19, v19, v4, vcc_lo
	v_cndmask_b32_e64 v18, v18, v15, s5
	s_delay_alu instid0(VALU_DEP_3)
	v_cndmask_b32_e64 v1, v1, v9, s4
	v_cndmask_b32_e64 v5, v5, v13, s4
	v_cmp_eq_u32_e64 s4, 3, v77
	v_cndmask_b32_e64 v13, v22, v6, s7
	v_cmp_eq_u32_e64 s7, 3, v81
	v_cndmask_b32_e64 v1, v1, v2, s3
	v_cndmask_b32_e64 v2, v5, v6, s3
	;; [unrolled: 1-line block ×3, first 2 shown]
	v_cmp_eq_u32_e64 s3, 4, v77
	v_cndmask_b32_e64 v6, v13, v14, s4
	v_cndmask_b32_e64 v1, v1, v10, s7
	v_cmp_eq_u32_e64 s4, 4, v81
	v_cndmask_b32_e64 v2, v2, v14, s7
	v_cndmask_b32_e64 v5, v9, v3, s3
	;; [unrolled: 3-line block ×3, first 2 shown]
	v_cndmask_b32_e64 v2, v2, v7, s4
	v_cmp_eq_u32_e64 s3, 5, v81
	v_cmp_eq_u32_e64 s5, 6, v78
	v_cndmask_b32_e64 v5, v5, v11, s7
	v_cmp_eq_u32_e64 s4, 6, v77
	v_cndmask_b32_e64 v3, v6, v15, s7
	v_cndmask_b32_e64 v1, v1, v11, s3
	v_cmp_eq_u32_e64 s7, 6, v81
	v_cndmask_b32_e64 v2, v2, v15, s3
	v_cndmask_b32_e64 v17, v17, v4, s5
	v_cndmask_b32_e64 v18, v18, v8, s5
	v_cmp_eq_u32_e64 s5, 7, v78
	v_cndmask_b32_e64 v5, v5, v4, s4
	v_cndmask_b32_e64 v3, v3, v8, s4
	v_cndmask_b32_e64 v1, v1, v4, s7
	v_cmp_eq_u32_e64 s3, 7, v81
	v_cndmask_b32_e64 v2, v2, v8, s7
	v_cmp_eq_u32_e64 s4, 7, v77
	v_cndmask_b32_e32 v4, v20, v8, vcc_lo
	v_cndmask_b32_e64 v17, v17, v12, s5
	v_cndmask_b32_e64 v19, v19, v12, s6
	;; [unrolled: 1-line block ×8, first 2 shown]
	v_cmp_gt_u32_e32 vcc_lo, 32, v0
	v_perm_b32 v4, v2, v1, 0x5040100
	v_perm_b32 v3, v3, v5, 0x5040100
	;; [unrolled: 1-line block ×4, first 2 shown]
	s_and_b32 s2, vcc_lo, s2
	ds_store_b128 v76, v[1:4]
	s_waitcnt lgkmcnt(0)
	s_barrier
	buffer_gl0_inv
	s_and_saveexec_b32 s3, s2
	s_cbranch_execz .LBB1761_2
; %bb.111:
	s_load_b64 s[0:1], s[0:1], 0x68
	v_lshlrev_b32_e32 v0, 10, v0
	v_or_b32_e32 v1, s31, v75
	s_lshl_b32 s4, s34, 6
	v_lshlrev_b32_e32 v2, 4, v74
	s_mul_i32 s2, s4, s30
	v_lshlrev_b32_e32 v3, 6, v75
	v_mul_lo_u32 v8, v1, s4
	v_and_b32_e32 v0, 0x3800, v0
	v_or_b32_e32 v1, 2, v1
	s_mul_i32 s2, s2, s8
	s_delay_alu instid0(SALU_CYCLE_1) | instskip(NEXT) | instid1(VALU_DEP_2)
	s_ashr_i32 s3, s2, 31
	v_or3_b32 v4, v0, v2, v3
	s_lshl_b64 s[2:3], s[2:3], 1
	v_mul_lo_u32 v10, v1, s4
	v_ashrrev_i32_e32 v9, 31, v8
	ds_load_b128 v[0:3], v4
	ds_load_b128 v[4:7], v4 offset:128
	s_waitcnt lgkmcnt(0)
	s_add_u32 s2, s0, s2
	s_addc_u32 s3, s1, s3
	s_lshl_b32 s0, s14, 6
	v_ashrrev_i32_e32 v11, 31, v10
	s_ashr_i32 s1, s0, 31
	v_lshlrev_b64 v[8:9], 1, v[8:9]
	s_lshl_b64 s[0:1], s[0:1], 1
	s_delay_alu instid0(SALU_CYCLE_1) | instskip(SKIP_2) | instid1(VALU_DEP_1)
	s_add_u32 s0, s2, s0
	s_addc_u32 s1, s3, s1
	v_add_co_u32 v12, s0, s0, v73
	v_add_co_ci_u32_e64 v13, null, s1, 0, s0
	v_lshlrev_b64 v[10:11], 1, v[10:11]
	s_delay_alu instid0(VALU_DEP_3) | instskip(NEXT) | instid1(VALU_DEP_3)
	v_add_co_u32 v8, vcc_lo, v12, v8
	v_add_co_ci_u32_e32 v9, vcc_lo, v13, v9, vcc_lo
	s_delay_alu instid0(VALU_DEP_3) | instskip(NEXT) | instid1(VALU_DEP_4)
	v_add_co_u32 v10, vcc_lo, v12, v10
	v_add_co_ci_u32_e32 v11, vcc_lo, v13, v11, vcc_lo
	s_clause 0x1
	global_store_b128 v[8:9], v[0:3], off
	global_store_b128 v[10:11], v[4:7], off
	s_nop 0
	s_sendmsg sendmsg(MSG_DEALLOC_VGPRS)
	s_endpgm
	.section	.rodata,"a",@progbits
	.p2align	6, 0x0
	.amdhsa_kernel _Z39paged_attention_ll4mi_QKV_mfma16_kernelI14__hip_bfloat16hLN4vllm18Fp8KVCacheDataTypeE1EhLi32ELi64ELi256ELb0ELi4EL8MFMAType0EEvPKT_PKT0_S9_ifPKiSB_SB_iPKfiiiPfSE_PS4_PT2_iSD_SD_
		.amdhsa_group_segment_fixed_size 17472
		.amdhsa_private_segment_fixed_size 0
		.amdhsa_kernarg_size 400
		.amdhsa_user_sgpr_count 13
		.amdhsa_user_sgpr_dispatch_ptr 0
		.amdhsa_user_sgpr_queue_ptr 0
		.amdhsa_user_sgpr_kernarg_segment_ptr 1
		.amdhsa_user_sgpr_dispatch_id 0
		.amdhsa_user_sgpr_private_segment_size 0
		.amdhsa_wavefront_size32 1
		.amdhsa_uses_dynamic_stack 0
		.amdhsa_enable_private_segment 0
		.amdhsa_system_sgpr_workgroup_id_x 1
		.amdhsa_system_sgpr_workgroup_id_y 1
		.amdhsa_system_sgpr_workgroup_id_z 1
		.amdhsa_system_sgpr_workgroup_info 0
		.amdhsa_system_vgpr_workitem_id 0
		.amdhsa_next_free_vgpr 124
		.amdhsa_next_free_sgpr 40
		.amdhsa_reserve_vcc 1
		.amdhsa_float_round_mode_32 0
		.amdhsa_float_round_mode_16_64 0
		.amdhsa_float_denorm_mode_32 3
		.amdhsa_float_denorm_mode_16_64 3
		.amdhsa_dx10_clamp 1
		.amdhsa_ieee_mode 1
		.amdhsa_fp16_overflow 0
		.amdhsa_workgroup_processor_mode 1
		.amdhsa_memory_ordered 1
		.amdhsa_forward_progress 0
		.amdhsa_shared_vgpr_count 0
		.amdhsa_exception_fp_ieee_invalid_op 0
		.amdhsa_exception_fp_denorm_src 0
		.amdhsa_exception_fp_ieee_div_zero 0
		.amdhsa_exception_fp_ieee_overflow 0
		.amdhsa_exception_fp_ieee_underflow 0
		.amdhsa_exception_fp_ieee_inexact 0
		.amdhsa_exception_int_div_zero 0
	.end_amdhsa_kernel
	.section	.text._Z39paged_attention_ll4mi_QKV_mfma16_kernelI14__hip_bfloat16hLN4vllm18Fp8KVCacheDataTypeE1EhLi32ELi64ELi256ELb0ELi4EL8MFMAType0EEvPKT_PKT0_S9_ifPKiSB_SB_iPKfiiiPfSE_PS4_PT2_iSD_SD_,"axG",@progbits,_Z39paged_attention_ll4mi_QKV_mfma16_kernelI14__hip_bfloat16hLN4vllm18Fp8KVCacheDataTypeE1EhLi32ELi64ELi256ELb0ELi4EL8MFMAType0EEvPKT_PKT0_S9_ifPKiSB_SB_iPKfiiiPfSE_PS4_PT2_iSD_SD_,comdat
.Lfunc_end1761:
	.size	_Z39paged_attention_ll4mi_QKV_mfma16_kernelI14__hip_bfloat16hLN4vllm18Fp8KVCacheDataTypeE1EhLi32ELi64ELi256ELb0ELi4EL8MFMAType0EEvPKT_PKT0_S9_ifPKiSB_SB_iPKfiiiPfSE_PS4_PT2_iSD_SD_, .Lfunc_end1761-_Z39paged_attention_ll4mi_QKV_mfma16_kernelI14__hip_bfloat16hLN4vllm18Fp8KVCacheDataTypeE1EhLi32ELi64ELi256ELb0ELi4EL8MFMAType0EEvPKT_PKT0_S9_ifPKiSB_SB_iPKfiiiPfSE_PS4_PT2_iSD_SD_
                                        ; -- End function
	.section	.AMDGPU.csdata,"",@progbits
; Kernel info:
; codeLenInByte = 8612
; NumSgprs: 42
; NumVgprs: 124
; ScratchSize: 0
; MemoryBound: 0
; FloatMode: 240
; IeeeMode: 1
; LDSByteSize: 17472 bytes/workgroup (compile time only)
; SGPRBlocks: 5
; VGPRBlocks: 15
; NumSGPRsForWavesPerEU: 42
; NumVGPRsForWavesPerEU: 124
; Occupancy: 10
; WaveLimiterHint : 1
; COMPUTE_PGM_RSRC2:SCRATCH_EN: 0
; COMPUTE_PGM_RSRC2:USER_SGPR: 13
; COMPUTE_PGM_RSRC2:TRAP_HANDLER: 0
; COMPUTE_PGM_RSRC2:TGID_X_EN: 1
; COMPUTE_PGM_RSRC2:TGID_Y_EN: 1
; COMPUTE_PGM_RSRC2:TGID_Z_EN: 1
; COMPUTE_PGM_RSRC2:TIDIG_COMP_CNT: 0
	.section	.text._Z39paged_attention_ll4mi_QKV_mfma16_kernelI14__hip_bfloat16hLN4vllm18Fp8KVCacheDataTypeE1ES0_Li32ELi64ELi256ELb1ELi5EL8MFMAType0EEvPKT_PKT0_S9_ifPKiSB_SB_iPKfiiiPfSE_PS4_PT2_iSD_SD_,"axG",@progbits,_Z39paged_attention_ll4mi_QKV_mfma16_kernelI14__hip_bfloat16hLN4vllm18Fp8KVCacheDataTypeE1ES0_Li32ELi64ELi256ELb1ELi5EL8MFMAType0EEvPKT_PKT0_S9_ifPKiSB_SB_iPKfiiiPfSE_PS4_PT2_iSD_SD_,comdat
	.protected	_Z39paged_attention_ll4mi_QKV_mfma16_kernelI14__hip_bfloat16hLN4vllm18Fp8KVCacheDataTypeE1ES0_Li32ELi64ELi256ELb1ELi5EL8MFMAType0EEvPKT_PKT0_S9_ifPKiSB_SB_iPKfiiiPfSE_PS4_PT2_iSD_SD_ ; -- Begin function _Z39paged_attention_ll4mi_QKV_mfma16_kernelI14__hip_bfloat16hLN4vllm18Fp8KVCacheDataTypeE1ES0_Li32ELi64ELi256ELb1ELi5EL8MFMAType0EEvPKT_PKT0_S9_ifPKiSB_SB_iPKfiiiPfSE_PS4_PT2_iSD_SD_
	.globl	_Z39paged_attention_ll4mi_QKV_mfma16_kernelI14__hip_bfloat16hLN4vllm18Fp8KVCacheDataTypeE1ES0_Li32ELi64ELi256ELb1ELi5EL8MFMAType0EEvPKT_PKT0_S9_ifPKiSB_SB_iPKfiiiPfSE_PS4_PT2_iSD_SD_
	.p2align	8
	.type	_Z39paged_attention_ll4mi_QKV_mfma16_kernelI14__hip_bfloat16hLN4vllm18Fp8KVCacheDataTypeE1ES0_Li32ELi64ELi256ELb1ELi5EL8MFMAType0EEvPKT_PKT0_S9_ifPKiSB_SB_iPKfiiiPfSE_PS4_PT2_iSD_SD_,@function
_Z39paged_attention_ll4mi_QKV_mfma16_kernelI14__hip_bfloat16hLN4vllm18Fp8KVCacheDataTypeE1ES0_Li32ELi64ELi256ELb1ELi5EL8MFMAType0EEvPKT_PKT0_S9_ifPKiSB_SB_iPKfiiiPfSE_PS4_PT2_iSD_SD_: ; @_Z39paged_attention_ll4mi_QKV_mfma16_kernelI14__hip_bfloat16hLN4vllm18Fp8KVCacheDataTypeE1ES0_Li32ELi64ELi256ELb1ELi5EL8MFMAType0EEvPKT_PKT0_S9_ifPKiSB_SB_iPKfiiiPfSE_PS4_PT2_iSD_SD_
; %bb.0:
	s_load_b64 s[2:3], s[0:1], 0x30
	s_mov_b32 s34, s13
	s_waitcnt lgkmcnt(0)
	s_cmp_lg_u64 s[2:3], 0
	s_cselect_b32 s8, -1, 0
	s_ashr_i32 s35, s13, 31
	s_cmp_eq_u64 s[2:3], 0
	s_cbranch_scc1 .LBB1762_3
; %bb.1:
	s_lshl_b64 s[4:5], s[34:35], 2
	s_delay_alu instid0(SALU_CYCLE_1) | instskip(SKIP_4) | instid1(SALU_CYCLE_1)
	s_add_u32 s4, s2, s4
	s_addc_u32 s5, s3, s5
	s_load_b64 s[4:5], s[4:5], 0x0
	s_waitcnt lgkmcnt(0)
	s_sub_i32 s4, s5, s4
	s_cmp_eq_u32 s4, 1
	s_cselect_b32 s4, -1, 0
	s_delay_alu instid0(SALU_CYCLE_1)
	s_and_not1_b32 vcc_lo, exec_lo, s4
	s_cbranch_vccz .LBB1762_4
.LBB1762_2:
	s_nop 0
	s_sendmsg sendmsg(MSG_DEALLOC_VGPRS)
	s_endpgm
.LBB1762_3:
.LBB1762_4:
	s_load_b64 s[4:5], s[0:1], 0x28
	s_lshl_b64 s[6:7], s[34:35], 2
	s_waitcnt lgkmcnt(0)
	s_add_u32 s4, s4, s6
	s_addc_u32 s5, s5, s7
	s_lshl_b32 s12, s14, 8
	s_load_b32 s24, s[4:5], 0x0
	s_waitcnt lgkmcnt(0)
	s_cmp_ge_i32 s12, s24
	s_cbranch_scc1 .LBB1762_2
; %bb.5:
	s_clause 0x1
	s_load_b128 s[20:23], s[0:1], 0x8
	s_load_b64 s[4:5], s[0:1], 0x20
	s_and_not1_b32 vcc_lo, exec_lo, s8
	s_cbranch_vccnz .LBB1762_7
; %bb.6:
	s_add_u32 s2, s2, s6
	s_addc_u32 s3, s3, s7
	s_load_b32 s3, s[2:3], 0x0
	s_branch .LBB1762_8
.LBB1762_7:
	s_mov_b32 s3, s34
.LBB1762_8:
	s_load_b128 s[16:19], s[0:1], 0x48
	v_lshrrev_b32_e32 v66, 5, v0
	v_bfe_u32 v74, v0, 4, 1
	v_and_b32_e32 v65, 15, v0
	v_and_b32_e32 v67, 31, v0
	;; [unrolled: 1-line block ×3, first 2 shown]
	s_mul_i32 s31, s15, 5
	v_lshl_or_b32 v1, v66, 1, v74
	v_lshlrev_b32_e32 v2, 3, v65
	v_cmp_gt_u32_e64 s2, 8, v65
	s_delay_alu instid0(VALU_DEP_3) | instskip(NEXT) | instid1(VALU_DEP_3)
	v_cmp_gt_u32_e32 vcc_lo, 5, v1
	v_lshlrev_b32_e32 v73, 1, v2
	s_delay_alu instid0(VALU_DEP_3) | instskip(NEXT) | instid1(SALU_CYCLE_1)
	s_and_b32 s7, s2, vcc_lo
	s_and_saveexec_b32 s6, s7
	s_cbranch_execz .LBB1762_10
; %bb.9:
	s_load_b64 s[8:9], s[0:1], 0x0
	v_add_lshl_u32 v2, v1, s31, 6
	s_waitcnt lgkmcnt(0)
	s_mul_hi_i32 s11, s3, s16
	s_mul_i32 s10, s3, s16
	v_lshlrev_b32_e32 v6, 10, v65
	s_lshl_b64 s[10:11], s[10:11], 1
	v_ashrrev_i32_e32 v3, 31, v2
	v_lshlrev_b32_e32 v1, 6, v1
	v_lshlrev_b32_e32 v7, 10, v75
	v_and_b32_e32 v6, 0x3800, v6
	s_delay_alu instid0(VALU_DEP_4) | instskip(NEXT) | instid1(VALU_DEP_2)
	v_lshlrev_b64 v[2:3], 1, v[2:3]
	v_or3_b32 v1, v6, v7, v1
	s_add_u32 s3, s8, s10
	s_addc_u32 s7, s9, s11
	s_delay_alu instid0(VALU_DEP_2) | instskip(NEXT) | instid1(VALU_DEP_3)
	v_add_co_u32 v2, vcc_lo, s3, v2
	v_add_co_ci_u32_e32 v3, vcc_lo, s7, v3, vcc_lo
	s_delay_alu instid0(VALU_DEP_2) | instskip(NEXT) | instid1(VALU_DEP_2)
	v_add_co_u32 v2, vcc_lo, v2, v73
	v_add_co_ci_u32_e32 v3, vcc_lo, 0, v3, vcc_lo
	global_load_b128 v[2:5], v[2:3], off
	s_waitcnt vmcnt(0)
	ds_store_b128 v1, v[2:5]
.LBB1762_10:
	s_or_b32 exec_lo, exec_lo, s6
	v_and_b32_e32 v1, 0xef, v0
	s_waitcnt lgkmcnt(0)
	s_add_i32 s3, s24, 31
	s_clause 0x1
	s_load_b32 s6, s[0:1], 0x38
	s_load_b32 s19, s[0:1], 0x1c
	s_ashr_i32 s7, s3, 31
	v_add_nc_u32_e32 v1, s12, v1
	s_lshr_b32 s7, s7, 27
	s_waitcnt lgkmcnt(0)
	s_add_i32 s3, s3, s7
	s_barrier
	v_ashrrev_i32_e32 v2, 31, v1
	v_or_b32_e32 v3, 16, v1
	s_ashr_i32 s3, s3, 5
	v_cmp_gt_i32_e32 vcc_lo, s24, v1
	s_add_i32 s3, s3, -1
	v_lshrrev_b32_e32 v2, 27, v2
	buffer_gl0_inv
	s_mul_i32 s27, s15, s18
	v_add_nc_u32_e32 v4, v1, v2
	s_mul_i32 s6, s34, s6
	s_delay_alu instid0(SALU_CYCLE_1) | instskip(NEXT) | instid1(VALU_DEP_1)
	s_ashr_i32 s7, s6, 31
	v_ashrrev_i32_e32 v4, 5, v4
	v_add_nc_u32_e32 v2, v3, v2
	s_lshl_b64 s[6:7], s[6:7], 2
	s_delay_alu instid0(SALU_CYCLE_1) | instskip(NEXT) | instid1(VALU_DEP_2)
	s_add_u32 s26, s4, s6
	v_cndmask_b32_e32 v1, s3, v4, vcc_lo
	s_delay_alu instid0(VALU_DEP_2)
	v_ashrrev_i32_e32 v2, 5, v2
	v_cmp_gt_i32_e32 vcc_lo, s24, v3
	s_addc_u32 s25, s5, s7
	s_ashr_i32 s28, s27, 31
	s_add_u32 s4, s20, s27
	s_addc_u32 s5, s21, s28
	v_cndmask_b32_e32 v3, s3, v2, vcc_lo
	v_ashrrev_i32_e32 v2, 31, v1
	s_lshl_b32 s6, s14, 3
	s_delay_alu instid0(SALU_CYCLE_1) | instskip(NEXT) | instid1(VALU_DEP_2)
	s_ashr_i32 s7, s6, 31
	v_ashrrev_i32_e32 v4, 31, v3
	s_delay_alu instid0(VALU_DEP_2) | instskip(SKIP_1) | instid1(SALU_CYCLE_1)
	v_lshlrev_b64 v[1:2], 2, v[1:2]
	s_lshl_b64 s[6:7], s[6:7], 2
	s_add_u32 s6, s26, s6
	s_delay_alu instid0(VALU_DEP_2) | instskip(SKIP_1) | instid1(VALU_DEP_2)
	v_lshlrev_b64 v[3:4], 2, v[3:4]
	s_addc_u32 s7, s25, s7
	v_add_co_u32 v1, vcc_lo, s26, v1
	v_add_co_ci_u32_e32 v2, vcc_lo, s25, v2, vcc_lo
	s_delay_alu instid0(VALU_DEP_3) | instskip(NEXT) | instid1(VALU_DEP_4)
	v_add_co_u32 v3, vcc_lo, s26, v3
	v_add_co_ci_u32_e32 v4, vcc_lo, s25, v4, vcc_lo
	s_clause 0x1
	global_load_b32 v5, v[1:2], off
	global_load_b32 v6, v[3:4], off
	s_or_b32 s8, s12, 32
	s_delay_alu instid0(SALU_CYCLE_1) | instskip(SKIP_2) | instid1(SALU_CYCLE_1)
	s_ashr_i32 s9, s8, 5
	s_cmp_lt_i32 s8, s24
	s_cselect_b32 s8, s9, s3
	s_ashr_i32 s9, s8, 31
	s_delay_alu instid0(SALU_CYCLE_1) | instskip(NEXT) | instid1(SALU_CYCLE_1)
	s_lshl_b64 s[8:9], s[8:9], 2
	s_add_u32 s8, s26, s8
	s_addc_u32 s9, s25, s9
	s_or_b32 s10, s12, 64
	s_delay_alu instid0(SALU_CYCLE_1) | instskip(SKIP_2) | instid1(SALU_CYCLE_1)
	s_ashr_i32 s11, s10, 5
	s_cmp_lt_i32 s10, s24
	s_cselect_b32 s10, s11, s3
	s_ashr_i32 s11, s10, 31
	s_delay_alu instid0(SALU_CYCLE_1) | instskip(NEXT) | instid1(SALU_CYCLE_1)
	s_lshl_b64 s[10:11], s[10:11], 2
	s_add_u32 s10, s26, s10
	s_addc_u32 s11, s25, s11
	;; [unrolled: 10-line block ×5, first 2 shown]
	s_clause 0x5
	s_load_b32 s21, s[6:7], 0x0
	s_load_b32 s13, s[8:9], 0x0
	;; [unrolled: 1-line block ×6, first 2 shown]
	s_or_b32 s9, s12, 0xc0
	s_delay_alu instid0(SALU_CYCLE_1) | instskip(SKIP_2) | instid1(SALU_CYCLE_1)
	s_ashr_i32 s10, s9, 5
	s_cmp_lt_i32 s9, s24
	s_cselect_b32 s36, s10, s3
	s_ashr_i32 s37, s36, 31
	s_delay_alu instid0(SALU_CYCLE_1) | instskip(NEXT) | instid1(SALU_CYCLE_1)
	s_lshl_b64 s[36:37], s[36:37], 2
	s_add_u32 s36, s26, s36
	s_addc_u32 s37, s25, s37
	s_or_b32 s29, s12, 0xe0
	s_delay_alu instid0(SALU_CYCLE_1)
	s_ashr_i32 s30, s29, 5
	s_cmp_lt_i32 s29, s24
	s_waitcnt vmcnt(1)
	v_mad_i64_i32 v[1:2], null, v5, s17, s[4:5]
	s_waitcnt vmcnt(0)
	v_mad_i64_i32 v[3:4], null, v6, s17, s[4:5]
	s_mov_b32 s4, 0
	s_delay_alu instid0(SALU_CYCLE_1)
	s_mov_b32 s5, s4
	s_mov_b32 s6, s4
	;; [unrolled: 1-line block ×7, first 2 shown]
	v_lshlrev_b32_e32 v5, 4, v65
	v_dual_mov_b32 v107, s11 :: v_dual_mov_b32 v102, s6
	v_mov_b32_e32 v106, s10
	v_mov_b32_e32 v104, s8
	s_delay_alu instid0(VALU_DEP_4)
	v_add_co_u32 v1, vcc_lo, v1, v5
	v_add_co_ci_u32_e32 v2, vcc_lo, 0, v2, vcc_lo
	v_add_co_u32 v3, vcc_lo, v3, v5
	v_add_co_ci_u32_e32 v4, vcc_lo, 0, v4, vcc_lo
	s_clause 0x7
	global_load_b128 v[49:52], v[1:2], off
	global_load_b128 v[53:56], v[1:2], off offset:512
	global_load_b128 v[76:79], v[3:4], off offset:256
	;; [unrolled: 1-line block ×7, first 2 shown]
	v_mul_lo_u16 v1, v65, 52
	v_mov_b32_e32 v103, s7
	v_dual_mov_b32 v101, s5 :: v_dual_lshlrev_b32 v2, 5, v65
	v_mov_b32_e32 v100, s4
	s_delay_alu instid0(VALU_DEP_4) | instskip(NEXT) | instid1(VALU_DEP_3)
	v_lshrrev_b16 v1, 8, v1
	v_lshl_or_b32 v2, v66, 9, v2
	s_delay_alu instid0(VALU_DEP_2) | instskip(NEXT) | instid1(VALU_DEP_1)
	v_mul_lo_u16 v1, v1, 5
	v_sub_nc_u16 v1, v65, v1
	s_delay_alu instid0(VALU_DEP_1)
	v_and_b32_e32 v1, 0xff, v1
	v_mov_b32_e32 v105, s9
	s_cselect_b32 s4, s30, s3
	s_load_b32 s3, s[36:37], 0x0
	s_ashr_i32 s5, s4, 31
	v_lshlrev_b32_e32 v70, 6, v1
	s_lshl_b64 s[4:5], s[4:5], 2
	ds_load_b128 v[108:111], v70
	ds_load_b128 v[112:115], v70 offset:1024
	s_add_u32 s4, s26, s4
	s_addc_u32 s5, s25, s5
	s_add_u32 s6, s22, s27
	s_load_b32 s4, s[4:5], 0x0
	s_addc_u32 s7, s23, s28
	v_add_co_u32 v9, s6, s6, v2
	s_delay_alu instid0(VALU_DEP_1) | instskip(SKIP_1) | instid1(VALU_DEP_1)
	v_add_co_ci_u32_e64 v10, null, s7, 0, s6
	s_waitcnt lgkmcnt(0)
	v_mad_i64_i32 v[1:2], null, s21, s17, v[9:10]
	v_mad_i64_i32 v[3:4], null, s13, s17, v[9:10]
	v_mad_i64_i32 v[5:6], null, s15, s17, v[9:10]
	v_mad_i64_i32 v[7:8], null, s16, s17, v[9:10]
	v_mad_i64_i32 v[13:14], null, s20, s17, v[9:10]
	v_mad_i64_i32 v[11:12], null, s18, s17, v[9:10]
	v_mad_i64_i32 v[21:22], null, s3, s17, v[9:10]
	s_clause 0x9
	global_load_b128 v[57:60], v[1:2], off
	global_load_b128 v[61:64], v[1:2], off offset:16
	global_load_b128 v[41:44], v[3:4], off
	global_load_b128 v[45:48], v[3:4], off offset:16
	;; [unrolled: 2-line block ×5, first 2 shown]
	v_mad_i64_i32 v[68:69], null, s4, s17, v[9:10]
	s_clause 0x3
	global_load_b128 v[9:12], v[13:14], off
	global_load_b128 v[13:16], v[13:14], off offset:16
	global_load_b128 v[17:20], v[21:22], off
	global_load_b128 v[21:24], v[21:22], off offset:16
	s_waitcnt vmcnt(20)
	v_wmma_f32_16x16x16_bf16 v[116:123], v[49:56], v[108:115], v[100:107]
	s_clause 0x1
	global_load_b128 v[49:52], v[68:69], off
	global_load_b128 v[53:56], v[68:69], off offset:16
	v_and_b32_e32 v68, 0xe0, v0
	v_mbcnt_lo_u32_b32 v69, -1, 0
	s_delay_alu instid0(VALU_DEP_2)
	v_add_nc_u32_e32 v68, s12, v68
	s_waitcnt vmcnt(20)
	v_wmma_f32_16x16x16_bf16 v[100:107], v[76:83], v[108:115], v[100:107]
	ds_load_b128 v[76:79], v70 offset:2048
	ds_load_b128 v[80:83], v70 offset:3072
	v_xor_b32_e32 v70, 16, v69
	s_waitcnt vmcnt(0) lgkmcnt(0)
	v_or_b32_e32 v68, v68, v74
	s_barrier
	buffer_gl0_inv
	v_cmp_gt_i32_e32 vcc_lo, 32, v70
	v_or_b32_e32 v71, 4, v68
	v_or_b32_e32 v72, 6, v68
	v_cmp_gt_i32_e64 s3, s24, v68
	v_or_b32_e32 v108, 8, v68
	v_or_b32_e32 v109, 10, v68
	v_cmp_gt_i32_e64 s4, s24, v71
	v_cmp_gt_i32_e64 s5, s24, v72
	s_delay_alu instid0(VALU_DEP_4) | instskip(NEXT) | instid1(VALU_DEP_4)
	v_cmp_gt_i32_e64 s6, s24, v108
	v_cmp_gt_i32_e64 s7, s24, v109
	v_wmma_f32_16x16x16_bf16 v[116:123], v[84:91], v[76:83], v[116:123]
	v_cndmask_b32_e32 v69, v69, v70, vcc_lo
	v_or_b32_e32 v70, 2, v68
	v_wmma_f32_16x16x16_bf16 v[100:107], v[92:99], v[76:83], v[100:107]
	v_or_b32_e32 v84, 12, v68
	v_dual_mul_f32 v78, s19, v123 :: v_dual_mul_f32 v83, s19, v118
	v_dual_mul_f32 v92, s19, v117 :: v_dual_mul_f32 v93, s19, v116
	s_delay_alu instid0(VALU_DEP_4) | instskip(SKIP_2) | instid1(VALU_DEP_4)
	v_mul_f32_e32 v94, s19, v107
	v_cmp_gt_i32_e32 vcc_lo, s24, v70
	v_dual_mul_f32 v81, s19, v120 :: v_dual_mul_f32 v82, s19, v119
	v_cndmask_b32_e64 v93, 0xff7fffff, v93, s3
	v_or_b32_e32 v85, 14, v68
	v_cndmask_b32_e32 v92, 0xff7fffff, v92, vcc_lo
	v_dual_mul_f32 v79, s19, v122 :: v_dual_mul_f32 v80, s19, v121
	v_cndmask_b32_e64 v71, 0xff7fffff, v83, s4
	v_cndmask_b32_e64 v72, 0xff7fffff, v82, s5
	s_delay_alu instid0(VALU_DEP_4)
	v_max3_f32 v82, v93, 0xff7fffff, v92
	v_or_b32_e32 v86, 16, v68
	v_or_b32_e32 v87, 18, v68
	v_cndmask_b32_e64 v81, 0xff7fffff, v81, s6
	v_cndmask_b32_e64 v80, 0xff7fffff, v80, s7
	v_max3_f32 v71, v82, v71, v72
	v_cmp_gt_i32_e64 s8, s24, v84
	v_cmp_gt_i32_e64 s9, s24, v85
	v_or_b32_e32 v88, 20, v68
	v_or_b32_e32 v89, 22, v68
	;; [unrolled: 1-line block ×6, first 2 shown]
	v_dual_mul_f32 v99, s19, v102 :: v_dual_mul_f32 v70, s19, v101
	v_mul_f32_e32 v68, s19, v100
	v_cndmask_b32_e64 v72, 0xff7fffff, v79, s8
	v_cndmask_b32_e64 v78, 0xff7fffff, v78, s9
	v_max3_f32 v71, v71, v81, v80
	v_cmp_gt_i32_e64 s10, s24, v86
	v_cmp_gt_i32_e64 s11, s24, v87
	v_dual_mul_f32 v97, s19, v104 :: v_dual_mul_f32 v98, s19, v103
	s_delay_alu instid0(VALU_DEP_4) | instskip(SKIP_1) | instid1(VALU_DEP_4)
	v_max3_f32 v71, v71, v72, v78
	v_cmp_gt_i32_e64 s12, s24, v88
	v_cndmask_b32_e64 v70, 0xff7fffff, v70, s11
	v_cmp_gt_i32_e64 s13, s24, v89
	v_lshlrev_b32_e32 v89, 2, v69
	v_cndmask_b32_e64 v68, 0xff7fffff, v68, s10
	v_dual_mul_f32 v95, s19, v106 :: v_dual_mul_f32 v96, s19, v105
	v_cndmask_b32_e64 v72, 0xff7fffff, v99, s12
	v_cndmask_b32_e64 v78, 0xff7fffff, v98, s13
	s_delay_alu instid0(VALU_DEP_4)
	v_max3_f32 v68, v71, v68, v70
	v_cmp_gt_i32_e64 s15, s24, v90
	v_cmp_gt_i32_e64 s16, s24, v91
	;; [unrolled: 1-line block ×4, first 2 shown]
	v_max3_f32 v68, v68, v72, v78
	v_cndmask_b32_e64 v70, 0xff7fffff, v97, s15
	v_cndmask_b32_e64 v71, 0xff7fffff, v96, s16
	;; [unrolled: 1-line block ×4, first 2 shown]
	s_delay_alu instid0(VALU_DEP_3) | instskip(NEXT) | instid1(VALU_DEP_1)
	v_max3_f32 v68, v68, v70, v71
	v_max3_f32 v68, v68, v72, v76
	ds_bpermute_b32 v69, v89, v68
	s_waitcnt lgkmcnt(0)
	v_max_f32_e32 v69, v69, v69
	s_delay_alu instid0(VALU_DEP_1) | instskip(NEXT) | instid1(VALU_DEP_1)
	v_max_f32_e32 v68, v68, v69
	v_fma_f32 v71, s19, v118, -v68
	s_delay_alu instid0(VALU_DEP_1)
	v_mul_f32_e32 v71, 0x3fb8aa3b, v71
	v_fma_f32 v69, s19, v116, -v68
	v_fma_f32 v70, s19, v117, -v68
	;; [unrolled: 1-line block ×4, first 2 shown]
	v_exp_f32_e32 v71, v71
	s_delay_alu instid0(VALU_DEP_3) | instskip(SKIP_2) | instid1(VALU_DEP_3)
	v_dual_mul_f32 v69, 0x3fb8aa3b, v69 :: v_dual_mul_f32 v70, 0x3fb8aa3b, v70
	v_fma_f32 v78, s19, v122, -v68
	v_fma_f32 v81, s19, v105, -v68
	v_exp_f32_e32 v69, v69
	s_delay_alu instid0(VALU_DEP_3) | instskip(SKIP_1) | instid1(VALU_DEP_2)
	v_exp_f32_e32 v70, v70
	v_mul_f32_e32 v77, 0x3fb8aa3b, v76
	v_mul_f32_e32 v81, 0x3fb8aa3b, v81
	s_delay_alu instid0(TRANS32_DEP_3) | instskip(SKIP_1) | instid1(VALU_DEP_3)
	v_cndmask_b32_e64 v83, 0, v71, s4
	v_fma_f32 v71, s19, v123, -v68
	v_exp_f32_e32 v81, v81
	s_delay_alu instid0(TRANS32_DEP_3) | instskip(NEXT) | instid1(TRANS32_DEP_2)
	v_cndmask_b32_e64 v80, 0, v69, s3
	v_cndmask_b32_e32 v76, 0, v70, vcc_lo
	v_fma_f32 v69, s19, v121, -v68
	v_mul_f32_e32 v72, 0x3fb8aa3b, v72
	v_exp_f32_e32 v77, v77
	v_dual_add_f32 v70, 0, v80 :: v_dual_mul_f32 v71, 0x3fb8aa3b, v71
	s_delay_alu instid0(VALU_DEP_3) | instskip(NEXT) | instid1(VALU_DEP_3)
	v_mul_f32_e32 v69, 0x3fb8aa3b, v69
	v_exp_f32_e32 v72, v72
	v_cmp_gt_u32_e64 s3, 16, v67
	s_delay_alu instid0(VALU_DEP_3) | instskip(NEXT) | instid1(VALU_DEP_2)
	v_exp_f32_e32 v71, v71
	v_exp_f32_e32 v69, v69
	v_cndmask_b32_e64 v86, 0, v77, s6
	v_fma_f32 v77, s19, v101, -v68
	v_add_f32_e32 v70, v70, v76
	s_delay_alu instid0(TRANS32_DEP_3) | instskip(SKIP_1) | instid1(VALU_DEP_3)
	v_cndmask_b32_e64 v85, 0, v72, s5
	v_fma_f32 v72, s19, v100, -v68
	v_dual_mul_f32 v77, 0x3fb8aa3b, v77 :: v_dual_add_f32 v70, v70, v83
	s_delay_alu instid0(TRANS32_DEP_2) | instskip(SKIP_1) | instid1(TRANS32_DEP_1)
	v_cndmask_b32_e64 v88, 0, v71, s9
	v_fma_f32 v71, s19, v104, -v68
	v_cndmask_b32_e64 v87, 0, v69, s7
	s_delay_alu instid0(VALU_DEP_4) | instskip(NEXT) | instid1(VALU_DEP_2)
	v_exp_f32_e32 v77, v77
	v_dual_add_f32 v70, v70, v85 :: v_dual_mul_f32 v71, 0x3fb8aa3b, v71
	s_delay_alu instid0(VALU_DEP_1) | instskip(SKIP_2) | instid1(VALU_DEP_3)
	v_dual_mul_f32 v72, 0x3fb8aa3b, v72 :: v_dual_add_f32 v69, v70, v86
	v_mul_f32_e32 v78, 0x3fb8aa3b, v78
	v_fma_f32 v70, s19, v102, -v68
	v_exp_f32_e32 v72, v72
	v_exp_f32_e32 v82, v71
	v_add_f32_e32 v69, v69, v87
	v_exp_f32_e32 v78, v78
	v_mul_f32_e32 v70, 0x3fb8aa3b, v70
	s_delay_alu instid0(VALU_DEP_1) | instskip(SKIP_4) | instid1(VALU_DEP_2)
	v_exp_f32_e32 v79, v70
	v_cndmask_b32_e64 v70, 0, v72, s10
	s_waitcnt_depctr 0xfff
	v_cndmask_b32_e64 v84, 0, v78, s8
	v_fma_f32 v78, s19, v103, -v68
	v_add_f32_e32 v69, v69, v84
	v_cndmask_b32_e64 v71, 0, v79, s12
	s_delay_alu instid0(VALU_DEP_2) | instskip(SKIP_2) | instid1(VALU_DEP_1)
	v_add_f32_e32 v72, v69, v88
	v_cndmask_b32_e64 v69, 0, v77, s11
	v_fma_f32 v77, s19, v106, -v68
	v_dual_mul_f32 v77, 0x3fb8aa3b, v77 :: v_dual_add_f32 v72, v72, v70
	v_mul_f32_e32 v78, 0x3fb8aa3b, v78
	s_delay_alu instid0(VALU_DEP_2) | instskip(NEXT) | instid1(VALU_DEP_2)
	v_exp_f32_e32 v90, v77
	v_add_f32_e32 v79, v72, v69
	s_delay_alu instid0(VALU_DEP_2)
	v_exp_f32_e32 v78, v78
	v_cndmask_b32_e64 v77, 0, v82, s15
	s_waitcnt_depctr 0xfff
	v_cndmask_b32_e64 v72, 0, v78, s13
	v_add_f32_e32 v78, v79, v71
	v_fma_f32 v79, s19, v107, -v68
	s_delay_alu instid0(VALU_DEP_1) | instskip(SKIP_1) | instid1(VALU_DEP_2)
	v_dual_add_f32 v82, v78, v72 :: v_dual_mul_f32 v79, 0x3fb8aa3b, v79
	v_cndmask_b32_e64 v78, 0, v81, s16
	v_add_f32_e32 v81, v82, v77
	s_delay_alu instid0(VALU_DEP_3) | instskip(SKIP_1) | instid1(VALU_DEP_2)
	v_exp_f32_e32 v82, v79
	v_cndmask_b32_e64 v79, 0, v90, s17
	v_add_f32_e32 v81, v81, v78
	s_delay_alu instid0(VALU_DEP_1) | instskip(SKIP_2) | instid1(VALU_DEP_1)
	v_add_f32_e32 v90, v81, v79
	s_waitcnt_depctr 0xfff
	v_cndmask_b32_e64 v81, 0, v82, s18
	v_add_f32_e32 v82, v90, v81
	ds_bpermute_b32 v89, v89, v82
	s_and_saveexec_b32 s4, s3
	s_cbranch_execz .LBB1762_12
; %bb.11:
	v_mul_u32_u24_e32 v67, 0x44, v66
	s_delay_alu instid0(VALU_DEP_1) | instskip(SKIP_1) | instid1(VALU_DEP_1)
	v_lshl_add_u32 v67, v65, 2, v67
	s_waitcnt lgkmcnt(0)
	v_dual_add_f32 v82, v82, v89 :: v_dual_add_nc_u32 v67, 0x4000, v67
	ds_store_2addr_b32 v67, v68, v82 offset1:136
.LBB1762_12:
	s_or_b32 exec_lo, exec_lo, s4
	v_lshlrev_b32_e32 v67, 2, v65
	s_waitcnt lgkmcnt(0)
	s_barrier
	buffer_gl0_inv
	v_cmp_eq_u32_e32 vcc_lo, 1, v66
	v_add_nc_u32_e32 v82, 0x4000, v67
	v_cmp_eq_u32_e64 s4, 2, v66
	v_cmp_eq_u32_e64 s6, 7, v66
	ds_load_2addr_b32 v[89:90], v82 offset1:17
	ds_load_2addr_b32 v[91:92], v82 offset0:34 offset1:51
	ds_load_2addr_b32 v[93:94], v82 offset0:68 offset1:85
	;; [unrolled: 1-line block ×4, first 2 shown]
	s_waitcnt lgkmcnt(4)
	v_max3_f32 v67, v89, 0xff7fffff, v90
	s_waitcnt lgkmcnt(3)
	s_delay_alu instid0(VALU_DEP_1) | instskip(SKIP_1) | instid1(VALU_DEP_1)
	v_max3_f32 v67, v67, v91, v92
	s_waitcnt lgkmcnt(2)
	v_max3_f32 v67, v67, v93, v94
	s_waitcnt lgkmcnt(1)
	s_delay_alu instid0(VALU_DEP_1) | instskip(NEXT) | instid1(VALU_DEP_1)
	v_max3_f32 v67, v67, v95, v96
	v_sub_f32_e32 v93, v93, v67
	s_delay_alu instid0(VALU_DEP_1) | instskip(NEXT) | instid1(VALU_DEP_1)
	v_dual_sub_f32 v68, v89, v67 :: v_dual_mul_f32 v103, 0x3fb8aa3b, v93
	v_mul_f32_e32 v68, 0x3fb8aa3b, v68
	s_delay_alu instid0(VALU_DEP_1)
	v_exp_f32_e32 v100, v68
	v_sub_f32_e32 v68, v92, v67
	v_sub_f32_e32 v99, v90, v67
	ds_load_2addr_b32 v[89:90], v82 offset0:170 offset1:187
	v_dual_mul_f32 v102, 0x3fb8aa3b, v68 :: v_dual_mul_f32 v99, 0x3fb8aa3b, v99
	s_waitcnt lgkmcnt(1)
	v_fma_f32 v68, v100, v97, 0
	s_delay_alu instid0(VALU_DEP_2) | instskip(NEXT) | instid1(VALU_DEP_2)
	v_exp_f32_e32 v102, v102
	v_exp_f32_e32 v99, v99
	s_waitcnt_depctr 0xfff
	v_fmac_f32_e32 v68, v99, v98
	v_sub_f32_e32 v91, v91, v67
	s_delay_alu instid0(VALU_DEP_1)
	v_mul_f32_e32 v101, 0x3fb8aa3b, v91
	ds_load_2addr_b32 v[91:92], v82 offset0:204 offset1:221
	v_sub_f32_e32 v97, v94, v67
	ds_load_2addr_b32 v[93:94], v82 offset0:238 offset1:255
	s_waitcnt lgkmcnt(0)
	v_exp_f32_e32 v101, v101
	s_barrier
	buffer_gl0_inv
	v_dual_fmac_f32 v68, v101, v89 :: v_dual_sub_f32 v89, v96, v67
	v_dual_sub_f32 v82, v95, v67 :: v_dual_mul_f32 v95, 0x3fb8aa3b, v97
	v_exp_f32_e32 v97, v103
	s_delay_alu instid0(VALU_DEP_2) | instskip(NEXT) | instid1(VALU_DEP_2)
	v_dual_fmac_f32 v68, v102, v90 :: v_dual_mul_f32 v89, 0x3fb8aa3b, v89
	v_mul_f32_e32 v82, 0x3fb8aa3b, v82
	s_delay_alu instid0(VALU_DEP_3) | instskip(NEXT) | instid1(VALU_DEP_2)
	v_exp_f32_e32 v95, v95
	v_exp_f32_e32 v89, v89
	s_delay_alu instid0(VALU_DEP_1)
	v_exp_f32_e32 v82, v82
	v_fmac_f32_e32 v68, v97, v91
	s_delay_alu instid0(TRANS32_DEP_3) | instid1(VALU_DEP_1)
	v_fmac_f32_e32 v68, v95, v92
	s_waitcnt_depctr 0xfff
	v_fmac_f32_e32 v68, v82, v93
	s_delay_alu instid0(VALU_DEP_1) | instskip(NEXT) | instid1(VALU_DEP_1)
	v_fmac_f32_e32 v68, v89, v94
	v_add_f32_e32 v90, 0x358637bd, v68
	s_delay_alu instid0(VALU_DEP_1) | instskip(NEXT) | instid1(VALU_DEP_1)
	v_div_scale_f32 v91, null, v90, v90, 1.0
	v_rcp_f32_e32 v92, v91
	s_waitcnt_depctr 0xfff
	v_fma_f32 v93, -v91, v92, 1.0
	s_delay_alu instid0(VALU_DEP_1) | instskip(SKIP_1) | instid1(VALU_DEP_2)
	v_dual_fmac_f32 v92, v93, v92 :: v_dual_cndmask_b32 v93, v100, v99
	v_cmp_eq_u32_e32 vcc_lo, 3, v66
	v_cndmask_b32_e64 v93, v93, v101, s4
	v_cmp_eq_u32_e64 s4, 4, v66
	s_delay_alu instid0(VALU_DEP_2) | instskip(SKIP_1) | instid1(VALU_DEP_2)
	v_cndmask_b32_e32 v93, v93, v102, vcc_lo
	v_cmp_eq_u32_e32 vcc_lo, 5, v66
	v_cndmask_b32_e64 v93, v93, v97, s4
	v_cmp_eq_u32_e64 s4, 6, v66
	s_delay_alu instid0(VALU_DEP_2) | instskip(SKIP_1) | instid1(VALU_DEP_1)
	v_cndmask_b32_e32 v93, v93, v95, vcc_lo
	v_div_scale_f32 v94, s5, 1.0, v90, 1.0
	s_mov_b32 vcc_lo, s5
	s_delay_alu instid0(VALU_DEP_2) | instskip(NEXT) | instid1(VALU_DEP_2)
	v_cndmask_b32_e64 v82, v93, v82, s4
	v_mul_f32_e32 v96, v94, v92
	s_mov_b32 s4, exec_lo
	s_delay_alu instid0(VALU_DEP_2) | instskip(NEXT) | instid1(VALU_DEP_2)
	v_cndmask_b32_e64 v82, v82, v89, s6
	v_fma_f32 v98, -v91, v96, v94
	s_delay_alu instid0(VALU_DEP_1) | instskip(NEXT) | instid1(VALU_DEP_1)
	v_fmac_f32_e32 v96, v98, v92
	v_fma_f32 v91, -v91, v96, v94
	s_delay_alu instid0(VALU_DEP_1) | instskip(NEXT) | instid1(VALU_DEP_1)
	v_div_fmas_f32 v91, v91, v92, v96
	v_div_fixup_f32 v90, v91, v90, 1.0
	s_delay_alu instid0(VALU_DEP_1) | instskip(NEXT) | instid1(VALU_DEP_1)
	v_mul_f32_e32 v82, v82, v90
	v_mul_f32_e32 v87, v82, v87
	;; [unrolled: 1-line block ×7, first 2 shown]
	v_dual_mul_f32 v86, v82, v83 :: v_dual_and_b32 v91, 0x7f800000, v90
	v_mul_f32_e32 v85, v82, v76
                                        ; implicit-def: $vgpr76
	s_delay_alu instid0(VALU_DEP_2)
	v_cmpx_ne_u32_e32 0x7f800000, v91
	s_xor_b32 s4, exec_lo, s4
; %bb.13:
	v_bfe_u32 v76, v90, 16, 1
	s_delay_alu instid0(VALU_DEP_1)
	v_add3_u32 v76, v90, v76, 0x7fff
                                        ; implicit-def: $vgpr90
; %bb.14:
	s_and_not1_saveexec_b32 s4, s4
; %bb.15:
	v_and_b32_e32 v76, 0xffff, v90
	v_or_b32_e32 v83, 0x10000, v90
	s_delay_alu instid0(VALU_DEP_2) | instskip(NEXT) | instid1(VALU_DEP_2)
	v_cmp_eq_u32_e32 vcc_lo, 0, v76
	v_cndmask_b32_e32 v76, v83, v90, vcc_lo
; %bb.16:
	s_or_b32 exec_lo, exec_lo, s4
	v_and_b32_e32 v83, 0x7f800000, v85
	s_delay_alu instid0(VALU_DEP_1) | instskip(SKIP_1) | instid1(SALU_CYCLE_1)
	v_cmp_ne_u32_e32 vcc_lo, 0x7f800000, v83
                                        ; implicit-def: $vgpr83
	s_and_saveexec_b32 s4, vcc_lo
	s_xor_b32 s4, exec_lo, s4
; %bb.17:
	v_bfe_u32 v83, v85, 16, 1
	s_delay_alu instid0(VALU_DEP_1)
	v_add3_u32 v83, v85, v83, 0x7fff
                                        ; implicit-def: $vgpr85
; %bb.18:
	s_and_not1_saveexec_b32 s4, s4
; %bb.19:
	v_and_b32_e32 v83, 0xffff, v85
	v_or_b32_e32 v90, 0x10000, v85
	s_delay_alu instid0(VALU_DEP_2) | instskip(NEXT) | instid1(VALU_DEP_2)
	v_cmp_eq_u32_e32 vcc_lo, 0, v83
	v_cndmask_b32_e32 v83, v90, v85, vcc_lo
; %bb.20:
	s_or_b32 exec_lo, exec_lo, s4
	v_and_b32_e32 v85, 0x7f800000, v86
	s_delay_alu instid0(VALU_DEP_1) | instskip(SKIP_1) | instid1(SALU_CYCLE_1)
	v_cmp_ne_u32_e32 vcc_lo, 0x7f800000, v85
                                        ; implicit-def: $vgpr85
	s_and_saveexec_b32 s4, vcc_lo
	s_xor_b32 s4, exec_lo, s4
; %bb.21:
	v_bfe_u32 v85, v86, 16, 1
	s_delay_alu instid0(VALU_DEP_1)
	v_add3_u32 v85, v86, v85, 0x7fff
                                        ; implicit-def: $vgpr86
; %bb.22:
	s_and_not1_saveexec_b32 s4, s4
; %bb.23:
	v_and_b32_e32 v85, 0xffff, v86
	v_or_b32_e32 v90, 0x10000, v86
	s_delay_alu instid0(VALU_DEP_2) | instskip(NEXT) | instid1(VALU_DEP_2)
	v_cmp_eq_u32_e32 vcc_lo, 0, v85
	v_cndmask_b32_e32 v85, v90, v86, vcc_lo
; %bb.24:
	s_or_b32 exec_lo, exec_lo, s4
	v_and_b32_e32 v86, 0x7f800000, v89
	s_delay_alu instid0(VALU_DEP_1) | instskip(SKIP_1) | instid1(SALU_CYCLE_1)
	v_cmp_ne_u32_e32 vcc_lo, 0x7f800000, v86
                                        ; implicit-def: $vgpr86
	s_and_saveexec_b32 s4, vcc_lo
	s_xor_b32 s4, exec_lo, s4
; %bb.25:
	v_bfe_u32 v86, v89, 16, 1
	s_delay_alu instid0(VALU_DEP_1)
	v_add3_u32 v86, v89, v86, 0x7fff
                                        ; implicit-def: $vgpr89
; %bb.26:
	s_and_not1_saveexec_b32 s4, s4
; %bb.27:
	v_and_b32_e32 v86, 0xffff, v89
	v_or_b32_e32 v90, 0x10000, v89
	s_delay_alu instid0(VALU_DEP_2) | instskip(NEXT) | instid1(VALU_DEP_2)
	v_cmp_eq_u32_e32 vcc_lo, 0, v86
	v_cndmask_b32_e32 v86, v90, v89, vcc_lo
; %bb.28:
	s_or_b32 exec_lo, exec_lo, s4
	v_and_b32_e32 v89, 0x7f800000, v88
	s_delay_alu instid0(VALU_DEP_1) | instskip(SKIP_1) | instid1(SALU_CYCLE_1)
	v_cmp_ne_u32_e32 vcc_lo, 0x7f800000, v89
                                        ; implicit-def: $vgpr89
	s_and_saveexec_b32 s4, vcc_lo
	s_xor_b32 s4, exec_lo, s4
; %bb.29:
	v_bfe_u32 v89, v88, 16, 1
	s_delay_alu instid0(VALU_DEP_1)
	v_add3_u32 v89, v88, v89, 0x7fff
                                        ; implicit-def: $vgpr88
; %bb.30:
	s_and_not1_saveexec_b32 s4, s4
; %bb.31:
	v_and_b32_e32 v89, 0xffff, v88
	v_or_b32_e32 v90, 0x10000, v88
	s_delay_alu instid0(VALU_DEP_2) | instskip(NEXT) | instid1(VALU_DEP_2)
	v_cmp_eq_u32_e32 vcc_lo, 0, v89
	v_cndmask_b32_e32 v89, v90, v88, vcc_lo
; %bb.32:
	s_or_b32 exec_lo, exec_lo, s4
	v_and_b32_e32 v88, 0x7f800000, v87
	s_delay_alu instid0(VALU_DEP_1) | instskip(SKIP_1) | instid1(SALU_CYCLE_1)
	v_cmp_ne_u32_e32 vcc_lo, 0x7f800000, v88
                                        ; implicit-def: $vgpr88
	s_and_saveexec_b32 s4, vcc_lo
	s_xor_b32 s4, exec_lo, s4
; %bb.33:
	v_bfe_u32 v88, v87, 16, 1
	s_delay_alu instid0(VALU_DEP_1)
	v_add3_u32 v88, v87, v88, 0x7fff
                                        ; implicit-def: $vgpr87
; %bb.34:
	s_and_not1_saveexec_b32 s4, s4
; %bb.35:
	v_and_b32_e32 v88, 0xffff, v87
	v_or_b32_e32 v90, 0x10000, v87
	s_delay_alu instid0(VALU_DEP_2) | instskip(NEXT) | instid1(VALU_DEP_2)
	v_cmp_eq_u32_e32 vcc_lo, 0, v88
	v_cndmask_b32_e32 v88, v90, v87, vcc_lo
; %bb.36:
	s_or_b32 exec_lo, exec_lo, s4
	v_and_b32_e32 v87, 0x7f800000, v84
	s_delay_alu instid0(VALU_DEP_1) | instskip(SKIP_1) | instid1(SALU_CYCLE_1)
	v_cmp_ne_u32_e32 vcc_lo, 0x7f800000, v87
                                        ; implicit-def: $vgpr87
	s_and_saveexec_b32 s4, vcc_lo
	s_xor_b32 s4, exec_lo, s4
; %bb.37:
	v_bfe_u32 v87, v84, 16, 1
	s_delay_alu instid0(VALU_DEP_1)
	v_add3_u32 v87, v84, v87, 0x7fff
                                        ; implicit-def: $vgpr84
; %bb.38:
	s_and_not1_saveexec_b32 s4, s4
; %bb.39:
	v_and_b32_e32 v87, 0xffff, v84
	v_or_b32_e32 v90, 0x10000, v84
	s_delay_alu instid0(VALU_DEP_2) | instskip(NEXT) | instid1(VALU_DEP_2)
	v_cmp_eq_u32_e32 vcc_lo, 0, v87
	v_cndmask_b32_e32 v87, v90, v84, vcc_lo
; %bb.40:
	s_or_b32 exec_lo, exec_lo, s4
	v_and_b32_e32 v84, 0x7f800000, v80
	s_delay_alu instid0(VALU_DEP_1) | instskip(SKIP_1) | instid1(SALU_CYCLE_1)
	v_cmp_ne_u32_e32 vcc_lo, 0x7f800000, v84
                                        ; implicit-def: $vgpr84
	s_and_saveexec_b32 s4, vcc_lo
	s_xor_b32 s4, exec_lo, s4
; %bb.41:
	v_bfe_u32 v84, v80, 16, 1
	s_delay_alu instid0(VALU_DEP_1)
	v_add3_u32 v84, v80, v84, 0x7fff
                                        ; implicit-def: $vgpr80
; %bb.42:
	s_and_not1_saveexec_b32 s4, s4
; %bb.43:
	v_and_b32_e32 v84, 0xffff, v80
	v_or_b32_e32 v90, 0x10000, v80
	s_delay_alu instid0(VALU_DEP_2) | instskip(NEXT) | instid1(VALU_DEP_2)
	v_cmp_eq_u32_e32 vcc_lo, 0, v84
	v_cndmask_b32_e32 v84, v90, v80, vcc_lo
; %bb.44:
	s_or_b32 exec_lo, exec_lo, s4
	s_load_b64 s[36:37], s[0:1], 0x94
	v_lshlrev_b32_e32 v91, 4, v74
	s_delay_alu instid0(VALU_DEP_2)
	v_perm_b32 v90, v84, v87, 0x7060302
	v_dual_mul_f32 v79, v82, v79 :: v_dual_lshlrev_b32 v80, 6, v65
	v_dual_mul_f32 v77, v82, v77 :: v_dual_lshlrev_b32 v92, 11, v66
	v_mul_f32_e32 v84, v82, v70
	v_perm_b32 v89, v88, v89, 0x7060302
	v_perm_b32 v88, v86, v85, 0x7060302
	;; [unrolled: 1-line block ×3, first 2 shown]
	v_mul_f32_e32 v70, v82, v81
	v_or3_b32 v76, v91, v92, v80
	v_dual_mul_f32 v78, v82, v78 :: v_dual_and_b32 v85, 0x7f800000, v84
	v_mul_f32_e32 v83, v82, v72
	v_mul_f32_e32 v81, v82, v71
	;; [unrolled: 1-line block ×3, first 2 shown]
	s_mov_b32 s4, exec_lo
	ds_store_b128 v76, v[87:90]
                                        ; implicit-def: $vgpr69
	v_cmpx_ne_u32_e32 0x7f800000, v85
	s_xor_b32 s4, exec_lo, s4
; %bb.45:
	v_bfe_u32 v69, v84, 16, 1
	s_delay_alu instid0(VALU_DEP_1)
	v_add3_u32 v69, v84, v69, 0x7fff
                                        ; implicit-def: $vgpr84
; %bb.46:
	s_and_not1_saveexec_b32 s4, s4
; %bb.47:
	v_and_b32_e32 v69, 0xffff, v84
	v_or_b32_e32 v71, 0x10000, v84
	s_delay_alu instid0(VALU_DEP_2) | instskip(NEXT) | instid1(VALU_DEP_2)
	v_cmp_eq_u32_e32 vcc_lo, 0, v69
	v_cndmask_b32_e32 v69, v71, v84, vcc_lo
; %bb.48:
	s_or_b32 exec_lo, exec_lo, s4
	v_and_b32_e32 v71, 0x7f800000, v72
	s_delay_alu instid0(VALU_DEP_1) | instskip(SKIP_1) | instid1(SALU_CYCLE_1)
	v_cmp_ne_u32_e32 vcc_lo, 0x7f800000, v71
                                        ; implicit-def: $vgpr71
	s_and_saveexec_b32 s4, vcc_lo
	s_xor_b32 s4, exec_lo, s4
; %bb.49:
	v_bfe_u32 v71, v72, 16, 1
	s_delay_alu instid0(VALU_DEP_1)
	v_add3_u32 v71, v72, v71, 0x7fff
                                        ; implicit-def: $vgpr72
; %bb.50:
	s_and_not1_saveexec_b32 s4, s4
; %bb.51:
	v_and_b32_e32 v71, 0xffff, v72
	v_or_b32_e32 v82, 0x10000, v72
	s_delay_alu instid0(VALU_DEP_2) | instskip(NEXT) | instid1(VALU_DEP_2)
	v_cmp_eq_u32_e32 vcc_lo, 0, v71
	v_cndmask_b32_e32 v71, v82, v72, vcc_lo
; %bb.52:
	s_or_b32 exec_lo, exec_lo, s4
	v_and_b32_e32 v72, 0x7f800000, v81
	s_delay_alu instid0(VALU_DEP_1) | instskip(SKIP_1) | instid1(SALU_CYCLE_1)
	v_cmp_ne_u32_e32 vcc_lo, 0x7f800000, v72
                                        ; implicit-def: $vgpr72
	s_and_saveexec_b32 s4, vcc_lo
	s_xor_b32 s4, exec_lo, s4
; %bb.53:
	v_bfe_u32 v72, v81, 16, 1
	s_delay_alu instid0(VALU_DEP_1)
	v_add3_u32 v72, v81, v72, 0x7fff
                                        ; implicit-def: $vgpr81
; %bb.54:
	s_and_not1_saveexec_b32 s4, s4
; %bb.55:
	v_and_b32_e32 v72, 0xffff, v81
	v_or_b32_e32 v82, 0x10000, v81
	s_delay_alu instid0(VALU_DEP_2) | instskip(NEXT) | instid1(VALU_DEP_2)
	v_cmp_eq_u32_e32 vcc_lo, 0, v72
	v_cndmask_b32_e32 v72, v82, v81, vcc_lo
; %bb.56:
	s_or_b32 exec_lo, exec_lo, s4
	v_and_b32_e32 v81, 0x7f800000, v83
	s_delay_alu instid0(VALU_DEP_1) | instskip(SKIP_1) | instid1(SALU_CYCLE_1)
	v_cmp_ne_u32_e32 vcc_lo, 0x7f800000, v81
                                        ; implicit-def: $vgpr81
	s_and_saveexec_b32 s4, vcc_lo
	s_xor_b32 s4, exec_lo, s4
; %bb.57:
	v_bfe_u32 v81, v83, 16, 1
	s_delay_alu instid0(VALU_DEP_1)
	v_add3_u32 v81, v83, v81, 0x7fff
                                        ; implicit-def: $vgpr83
; %bb.58:
	s_and_not1_saveexec_b32 s4, s4
; %bb.59:
	v_and_b32_e32 v81, 0xffff, v83
	v_or_b32_e32 v82, 0x10000, v83
	s_delay_alu instid0(VALU_DEP_2) | instskip(NEXT) | instid1(VALU_DEP_2)
	v_cmp_eq_u32_e32 vcc_lo, 0, v81
	v_cndmask_b32_e32 v81, v82, v83, vcc_lo
; %bb.60:
	s_or_b32 exec_lo, exec_lo, s4
	v_and_b32_e32 v82, 0x7f800000, v77
	s_delay_alu instid0(VALU_DEP_1) | instskip(SKIP_1) | instid1(SALU_CYCLE_1)
	v_cmp_ne_u32_e32 vcc_lo, 0x7f800000, v82
                                        ; implicit-def: $vgpr82
	s_and_saveexec_b32 s4, vcc_lo
	s_xor_b32 s4, exec_lo, s4
; %bb.61:
	v_bfe_u32 v82, v77, 16, 1
	s_delay_alu instid0(VALU_DEP_1)
	v_add3_u32 v82, v77, v82, 0x7fff
                                        ; implicit-def: $vgpr77
; %bb.62:
	s_and_not1_saveexec_b32 s4, s4
; %bb.63:
	v_and_b32_e32 v82, 0xffff, v77
	v_or_b32_e32 v83, 0x10000, v77
	s_delay_alu instid0(VALU_DEP_2) | instskip(NEXT) | instid1(VALU_DEP_2)
	v_cmp_eq_u32_e32 vcc_lo, 0, v82
	v_cndmask_b32_e32 v82, v83, v77, vcc_lo
; %bb.64:
	s_or_b32 exec_lo, exec_lo, s4
	v_and_b32_e32 v77, 0x7f800000, v78
	s_delay_alu instid0(VALU_DEP_1) | instskip(SKIP_1) | instid1(SALU_CYCLE_1)
	v_cmp_ne_u32_e32 vcc_lo, 0x7f800000, v77
                                        ; implicit-def: $vgpr77
	s_and_saveexec_b32 s4, vcc_lo
	s_xor_b32 s4, exec_lo, s4
; %bb.65:
	v_bfe_u32 v77, v78, 16, 1
	s_delay_alu instid0(VALU_DEP_1)
	v_add3_u32 v77, v78, v77, 0x7fff
                                        ; implicit-def: $vgpr78
; %bb.66:
	s_and_not1_saveexec_b32 s4, s4
; %bb.67:
	v_and_b32_e32 v77, 0xffff, v78
	v_or_b32_e32 v83, 0x10000, v78
	s_delay_alu instid0(VALU_DEP_2) | instskip(NEXT) | instid1(VALU_DEP_2)
	v_cmp_eq_u32_e32 vcc_lo, 0, v77
	v_cndmask_b32_e32 v77, v83, v78, vcc_lo
; %bb.68:
	s_or_b32 exec_lo, exec_lo, s4
	v_and_b32_e32 v78, 0x7f800000, v79
	s_delay_alu instid0(VALU_DEP_1) | instskip(SKIP_1) | instid1(SALU_CYCLE_1)
	v_cmp_ne_u32_e32 vcc_lo, 0x7f800000, v78
                                        ; implicit-def: $vgpr78
	s_and_saveexec_b32 s4, vcc_lo
	s_xor_b32 s4, exec_lo, s4
; %bb.69:
	v_bfe_u32 v78, v79, 16, 1
	s_delay_alu instid0(VALU_DEP_1)
	v_add3_u32 v78, v79, v78, 0x7fff
                                        ; implicit-def: $vgpr79
; %bb.70:
	s_and_not1_saveexec_b32 s4, s4
; %bb.71:
	v_and_b32_e32 v78, 0xffff, v79
	v_or_b32_e32 v83, 0x10000, v79
	s_delay_alu instid0(VALU_DEP_2) | instskip(NEXT) | instid1(VALU_DEP_2)
	v_cmp_eq_u32_e32 vcc_lo, 0, v78
	v_cndmask_b32_e32 v78, v83, v79, vcc_lo
; %bb.72:
	s_or_b32 exec_lo, exec_lo, s4
	v_and_b32_e32 v79, 0x7f800000, v70
	s_delay_alu instid0(VALU_DEP_1) | instskip(SKIP_1) | instid1(SALU_CYCLE_1)
	v_cmp_ne_u32_e32 vcc_lo, 0x7f800000, v79
                                        ; implicit-def: $vgpr79
	s_and_saveexec_b32 s4, vcc_lo
	s_xor_b32 s4, exec_lo, s4
; %bb.73:
	v_bfe_u32 v79, v70, 16, 1
	s_delay_alu instid0(VALU_DEP_1)
	v_add3_u32 v79, v70, v79, 0x7fff
                                        ; implicit-def: $vgpr70
; %bb.74:
	s_and_not1_saveexec_b32 s4, s4
; %bb.75:
	v_and_b32_e32 v79, 0xffff, v70
	v_or_b32_e32 v83, 0x10000, v70
	s_delay_alu instid0(VALU_DEP_2) | instskip(NEXT) | instid1(VALU_DEP_2)
	v_cmp_eq_u32_e32 vcc_lo, 0, v79
	v_cndmask_b32_e32 v79, v83, v70, vcc_lo
; %bb.76:
	s_or_b32 exec_lo, exec_lo, s4
	s_delay_alu instid0(VALU_DEP_1)
	v_perm_b32 v86, v79, v78, 0x7060302
	v_perm_b32 v85, v77, v82, 0x7060302
	;; [unrolled: 1-line block ×4, first 2 shown]
	v_lshl_or_b32 v82, v66, 11, v80
	ds_store_b128 v76, v[83:86] offset:1024
	s_waitcnt lgkmcnt(0)
	s_barrier
	buffer_gl0_inv
	ds_load_b128 v[69:72], v82
	ds_load_b128 v[83:86], v82 offset:16
	s_waitcnt lgkmcnt(1)
	v_lshrrev_b32_e32 v66, 16, v69
	s_waitcnt lgkmcnt(0)
	v_lshrrev_b32_e32 v91, 16, v83
	v_lshlrev_b32_e32 v78, 2, v74
	v_lshrrev_b32_e32 v95, 16, v70
	v_lshrrev_b32_e32 v98, 16, v84
	;; [unrolled: 1-line block ×4, first 2 shown]
	v_cmp_eq_u32_e32 vcc_lo, 1, v78
	v_lshrrev_b32_e32 v97, 16, v72
	v_lshrrev_b32_e32 v100, 16, v86
	v_cndmask_b32_e32 v87, v83, v91, vcc_lo
	v_or_b32_e32 v79, 1, v78
	v_cndmask_b32_e32 v81, v69, v66, vcc_lo
	v_cmp_eq_u32_e64 s5, 2, v78
	v_cmp_eq_u32_e64 s8, 3, v78
	;; [unrolled: 1-line block ×5, first 2 shown]
	v_cndmask_b32_e64 v81, v81, v70, s5
	v_cndmask_b32_e64 v87, v87, v84, s5
	v_cmp_eq_u32_e64 s9, 3, v79
	v_cndmask_b32_e64 v88, v69, v66, s4
	v_or_b32_e32 v77, 2, v78
	v_cndmask_b32_e64 v81, v81, v95, s8
	v_cndmask_b32_e64 v87, v87, v98, s8
	;; [unrolled: 1-line block ×4, first 2 shown]
	v_cmp_eq_u32_e64 s11, 5, v78
	v_cndmask_b32_e64 v81, v81, v71, s10
	v_cndmask_b32_e64 v87, v87, v85, s10
	v_cmp_eq_u32_e64 s12, 4, v79
	v_cndmask_b32_e64 v88, v88, v95, s9
	v_cmp_eq_u32_e64 s6, 1, v77
	v_cndmask_b32_e64 v89, v89, v84, s7
	v_cndmask_b32_e64 v81, v81, v96, s11
	v_cmp_eq_u32_e64 s13, 6, v78
	v_cndmask_b32_e64 v88, v88, v71, s12
	;; [unrolled: 3-line block ×3, first 2 shown]
	v_cndmask_b32_e64 v89, v89, v98, s9
	v_cndmask_b32_e64 v81, v81, v72, s13
	v_cmp_eq_u32_e64 s16, 7, v78
	v_cndmask_b32_e64 v88, v88, v96, s15
	v_cndmask_b32_e64 v87, v87, v86, s13
	v_cmp_eq_u32_e64 s17, 6, v79
	v_cmp_eq_u32_e64 s18, 2, v77
	v_cndmask_b32_e64 v89, v89, v85, s12
	v_cndmask_b32_e64 v101, v81, v97, s16
	;; [unrolled: 1-line block ×6, first 2 shown]
	v_cmp_eq_u32_e64 s19, 7, v79
	v_cmp_eq_u32_e64 s20, 3, v77
	;; [unrolled: 1-line block ×4, first 2 shown]
	v_cndmask_b32_e64 v87, v87, v84, s18
	v_cndmask_b32_e64 v103, v88, v97, s19
	;; [unrolled: 1-line block ×4, first 2 shown]
	v_or_b32_e32 v81, 3, v78
	v_cndmask_b32_e64 v93, v87, v98, s20
	v_cmp_eq_u32_e64 s25, 6, v77
	v_cndmask_b32_e64 v104, v88, v86, s17
	v_cndmask_b32_e64 v92, v89, v71, s21
	v_cmp_eq_u32_e64 s22, 1, v81
	ds_load_b128 v[87:90], v82 offset:1024
	v_cmp_eq_u32_e64 s24, 2, v81
	v_cmp_eq_u32_e64 s26, 3, v81
	v_cndmask_b32_e64 v105, v92, v96, s23
	v_cndmask_b32_e64 v66, v69, v66, s22
	;; [unrolled: 1-line block ×4, first 2 shown]
	ds_load_b128 v[91:94], v82 offset:1040
	v_cmp_eq_u32_e64 s27, 4, v81
	v_cndmask_b32_e64 v66, v66, v70, s24
	v_cmp_eq_u32_e64 s28, 7, v77
	v_cndmask_b32_e64 v70, v83, v84, s24
	v_cndmask_b32_e64 v84, v105, v72, s25
	v_cmp_eq_u32_e64 s29, 5, v81
	v_cndmask_b32_e64 v66, v66, v95, s26
	v_cmp_eq_u32_e64 s30, 6, v81
	v_cndmask_b32_e64 v70, v70, v98, s26
	v_cndmask_b32_e64 v69, v69, v99, s23
	;; [unrolled: 1-line block ×4, first 2 shown]
	s_waitcnt lgkmcnt(1)
	v_lshrrev_b32_e32 v95, 16, v87
	v_cndmask_b32_e64 v70, v70, v85, s27
	v_cndmask_b32_e64 v71, v84, v97, s28
	;; [unrolled: 1-line block ×4, first 2 shown]
	v_cndmask_b32_e32 v84, v87, v95, vcc_lo
	v_cndmask_b32_e64 v70, v70, v99, s29
	s_waitcnt lgkmcnt(0)
	v_lshrrev_b32_e32 v85, 16, v91
	v_lshrrev_b32_e32 v96, 16, v88
	v_cndmask_b32_e64 v98, v87, v95, s4
	v_cndmask_b32_e64 v84, v84, v88, s5
	;; [unrolled: 1-line block ×3, first 2 shown]
	v_cndmask_b32_e32 v99, v91, v85, vcc_lo
	v_cmp_eq_u32_e32 vcc_lo, 7, v81
	v_cndmask_b32_e64 v66, v66, v72, s30
	v_cndmask_b32_e64 v72, v84, v96, s8
	;; [unrolled: 1-line block ×3, first 2 shown]
	v_lshrrev_b32_e32 v98, 16, v92
	v_cndmask_b32_e32 v70, v70, v100, vcc_lo
	v_cndmask_b32_e64 v86, v99, v92, s5
	v_cndmask_b32_e64 v69, v69, v100, s28
	v_lshrrev_b32_e32 v100, 16, v93
	v_cndmask_b32_e64 v72, v72, v89, s10
	v_lshrrev_b32_e32 v99, 16, v89
	v_cndmask_b32_e64 v86, v86, v98, s8
	v_perm_b32 v71, v69, v71, 0x5040100
	v_cndmask_b32_e64 v84, v84, v96, s9
	s_delay_alu instid0(VALU_DEP_3) | instskip(NEXT) | instid1(VALU_DEP_2)
	v_cndmask_b32_e64 v86, v86, v93, s10
	v_cndmask_b32_e64 v84, v84, v89, s12
	s_delay_alu instid0(VALU_DEP_2) | instskip(NEXT) | instid1(VALU_DEP_1)
	v_cndmask_b32_e64 v86, v86, v100, s11
	v_cndmask_b32_e64 v69, v86, v94, s13
	;; [unrolled: 1-line block ×5, first 2 shown]
	s_delay_alu instid0(VALU_DEP_3) | instskip(NEXT) | instid1(VALU_DEP_3)
	v_cndmask_b32_e64 v86, v86, v88, s18
	v_cndmask_b32_e64 v87, v87, v88, s24
	s_delay_alu instid0(VALU_DEP_3) | instskip(NEXT) | instid1(VALU_DEP_3)
	v_cndmask_b32_e64 v88, v95, v92, s24
	v_cndmask_b32_e64 v86, v86, v96, s20
	;; [unrolled: 3-line block ×7, first 2 shown]
	s_delay_alu instid0(VALU_DEP_3) | instskip(SKIP_2) | instid1(VALU_DEP_2)
	v_cndmask_b32_e64 v88, v88, v94, s30
	v_cndmask_b32_e32 v66, v66, v97, vcc_lo
	v_cndmask_b32_e64 v97, v72, v99, s11
	v_perm_b32 v72, v70, v66, 0x5040100
	v_perm_b32 v70, v83, v103, 0x5040100
	v_cndmask_b32_e64 v103, v91, v85, s6
	v_cndmask_b32_e64 v85, v91, v85, s4
	;; [unrolled: 1-line block ×4, first 2 shown]
	v_lshrrev_b32_e32 v97, 16, v90
	v_cndmask_b32_e64 v91, v103, v92, s18
	v_cndmask_b32_e64 v85, v85, v92, s7
	;; [unrolled: 1-line block ×3, first 2 shown]
	s_mov_b32 s4, exec_lo
	v_cndmask_b32_e64 v83, v84, v97, s16
	v_cndmask_b32_e64 v91, v91, v98, s20
	;; [unrolled: 1-line block ×3, first 2 shown]
	v_lshrrev_b32_e32 v84, 16, v94
	v_cndmask_b32_e64 v66, v66, v97, s19
	v_cndmask_b32_e64 v90, v86, v97, s28
	v_cndmask_b32_e64 v89, v91, v93, s21
	v_cndmask_b32_e64 v85, v85, v93, s12
	v_dual_cndmask_b32 v86, v87, v97 :: v_dual_cndmask_b32 v87, v88, v84
	v_cndmask_b32_e64 v91, v69, v84, s16
	s_delay_alu instid0(VALU_DEP_4) | instskip(NEXT) | instid1(VALU_DEP_4)
	v_cndmask_b32_e64 v89, v89, v100, s23
	v_cndmask_b32_e64 v85, v85, v100, s15
	v_perm_b32 v69, v102, v101, 0x5040100
	v_perm_b32 v86, v87, v86, 0x5040100
	v_perm_b32 v83, v91, v83, 0x5040100
	v_cndmask_b32_e64 v89, v89, v94, s25
	v_cndmask_b32_e64 v85, v85, v94, s17
	s_mul_i32 s9, s37, 5
	s_delay_alu instid0(VALU_DEP_2) | instskip(NEXT) | instid1(VALU_DEP_2)
	v_cndmask_b32_e64 v88, v89, v84, s28
	v_cndmask_b32_e64 v89, v85, v84, s19
	s_delay_alu instid0(VALU_DEP_2) | instskip(NEXT) | instid1(VALU_DEP_2)
	v_perm_b32 v85, v88, v90, 0x5040100
	v_perm_b32 v84, v89, v66, 0x5040100
	ds_store_b128 v76, v[69:72]
	ds_store_b128 v76, v[83:86] offset:1024
	v_cmpx_gt_u32_e32 5, v0
	s_cbranch_execz .LBB1762_78
; %bb.77:
	s_mul_i32 s5, s9, s34
	s_load_b128 s[16:19], s[0:1], 0x58
	v_add3_u32 v69, s5, s31, v65
	s_delay_alu instid0(VALU_DEP_1) | instskip(NEXT) | instid1(VALU_DEP_1)
	v_mad_u64_u32 v[65:66], null, v69, s36, s[14:15]
	v_ashrrev_i32_e32 v66, 31, v65
	s_delay_alu instid0(VALU_DEP_1) | instskip(SKIP_1) | instid1(VALU_DEP_1)
	v_lshlrev_b64 v[65:66], 2, v[65:66]
	s_waitcnt lgkmcnt(0)
	v_add_co_u32 v69, vcc_lo, s18, v65
	s_delay_alu instid0(VALU_DEP_2)
	v_add_co_ci_u32_e32 v70, vcc_lo, s19, v66, vcc_lo
	v_add_co_u32 v65, vcc_lo, s16, v65
	v_add_co_ci_u32_e32 v66, vcc_lo, s17, v66, vcc_lo
	global_store_b32 v[69:70], v67, off
	global_store_b32 v[65:66], v68, off
.LBB1762_78:
	s_or_b32 exec_lo, exec_lo, s4
	s_waitcnt lgkmcnt(0)
	s_waitcnt_vscnt null, 0x0
	s_barrier
	buffer_gl0_inv
	ds_load_b128 v[83:86], v80
	ds_load_b128 v[87:90], v80 offset:16
	ds_load_b128 v[95:98], v80 offset:2064
	;; [unrolled: 1-line block ×3, first 2 shown]
	v_mov_b32_e32 v65, 0
	ds_load_b128 v[103:106], v80 offset:4112
	ds_load_b128 v[99:102], v80 offset:4096
	;; [unrolled: 1-line block ×4, first 2 shown]
	v_mov_b32_e32 v66, v65
	v_mov_b32_e32 v67, v65
	;; [unrolled: 1-line block ×7, first 2 shown]
	s_waitcnt lgkmcnt(6)
	s_delay_alu instid0(VALU_DEP_1)
	v_wmma_f32_16x16x16_bf16 v[65:72], v[57:64], v[83:90], v[65:72]
	ds_load_b128 v[61:64], v80 offset:8208
	ds_load_b128 v[57:60], v80 offset:8192
	s_waitcnt lgkmcnt(6)
	v_wmma_f32_16x16x16_bf16 v[65:72], v[41:48], v[91:98], v[65:72]
	ds_load_b128 v[45:48], v80 offset:10256
	ds_load_b128 v[41:44], v80 offset:10240
	s_waitcnt lgkmcnt(6)
	v_wmma_f32_16x16x16_bf16 v[65:72], v[33:40], v[99:106], v[65:72]
	ds_load_b128 v[37:40], v80 offset:12304
	ds_load_b128 v[33:36], v80 offset:12288
	s_waitcnt lgkmcnt(6)
	v_wmma_f32_16x16x16_bf16 v[65:72], v[25:32], v[107:114], v[65:72]
	ds_load_b128 v[29:32], v80 offset:14352
	ds_load_b128 v[25:28], v80 offset:14336
	s_waitcnt lgkmcnt(6)
	v_wmma_f32_16x16x16_bf16 v[65:72], v[1:8], v[57:64], v[65:72]
	s_waitcnt lgkmcnt(4)
	s_delay_alu instid0(VALU_DEP_1) | instskip(SKIP_1) | instid1(VALU_DEP_1)
	v_wmma_f32_16x16x16_bf16 v[65:72], v[9:16], v[41:48], v[65:72]
	s_waitcnt lgkmcnt(2)
	v_wmma_f32_16x16x16_bf16 v[65:72], v[17:24], v[33:40], v[65:72]
	s_waitcnt lgkmcnt(0)
	s_delay_alu instid0(VALU_DEP_1) | instskip(NEXT) | instid1(VALU_DEP_1)
	v_wmma_f32_16x16x16_bf16 v[65:72], v[49:56], v[25:32], v[65:72]
	v_and_b32_e32 v1, 0x7f800000, v65
	s_delay_alu instid0(VALU_DEP_1) | instskip(SKIP_1) | instid1(SALU_CYCLE_1)
	v_cmp_ne_u32_e32 vcc_lo, 0x7f800000, v1
                                        ; implicit-def: $vgpr1
	s_and_saveexec_b32 s4, vcc_lo
	s_xor_b32 s4, exec_lo, s4
; %bb.79:
	v_bfe_u32 v1, v65, 16, 1
	s_delay_alu instid0(VALU_DEP_1)
	v_add3_u32 v1, v65, v1, 0x7fff
; %bb.80:
	s_and_not1_saveexec_b32 s4, s4
; %bb.81:
	v_and_b32_e32 v1, 0xffff, v65
	v_or_b32_e32 v2, 0x10000, v65
	s_delay_alu instid0(VALU_DEP_2) | instskip(NEXT) | instid1(VALU_DEP_2)
	v_cmp_eq_u32_e32 vcc_lo, 0, v1
	v_cndmask_b32_e32 v1, v2, v65, vcc_lo
; %bb.82:
	s_or_b32 exec_lo, exec_lo, s4
	v_and_b32_e32 v2, 0x7f800000, v66
	s_delay_alu instid0(VALU_DEP_1) | instskip(SKIP_1) | instid1(SALU_CYCLE_1)
	v_cmp_ne_u32_e32 vcc_lo, 0x7f800000, v2
                                        ; implicit-def: $vgpr2
	s_and_saveexec_b32 s4, vcc_lo
	s_xor_b32 s4, exec_lo, s4
; %bb.83:
	v_bfe_u32 v2, v66, 16, 1
	s_delay_alu instid0(VALU_DEP_1)
	v_add3_u32 v2, v66, v2, 0x7fff
; %bb.84:
	s_and_not1_saveexec_b32 s4, s4
; %bb.85:
	v_and_b32_e32 v2, 0xffff, v66
	v_or_b32_e32 v3, 0x10000, v66
	s_delay_alu instid0(VALU_DEP_2) | instskip(NEXT) | instid1(VALU_DEP_2)
	v_cmp_eq_u32_e32 vcc_lo, 0, v2
	v_cndmask_b32_e32 v2, v3, v66, vcc_lo
; %bb.86:
	s_or_b32 exec_lo, exec_lo, s4
	v_and_b32_e32 v3, 0x7f800000, v67
	s_delay_alu instid0(VALU_DEP_1) | instskip(SKIP_1) | instid1(SALU_CYCLE_1)
	v_cmp_ne_u32_e32 vcc_lo, 0x7f800000, v3
                                        ; implicit-def: $vgpr3
	s_and_saveexec_b32 s4, vcc_lo
	s_xor_b32 s4, exec_lo, s4
; %bb.87:
	v_bfe_u32 v3, v67, 16, 1
	s_delay_alu instid0(VALU_DEP_1)
	v_add3_u32 v3, v67, v3, 0x7fff
; %bb.88:
	s_and_not1_saveexec_b32 s4, s4
; %bb.89:
	v_and_b32_e32 v3, 0xffff, v67
	v_or_b32_e32 v4, 0x10000, v67
	s_delay_alu instid0(VALU_DEP_2) | instskip(NEXT) | instid1(VALU_DEP_2)
	v_cmp_eq_u32_e32 vcc_lo, 0, v3
	v_cndmask_b32_e32 v3, v4, v67, vcc_lo
; %bb.90:
	s_or_b32 exec_lo, exec_lo, s4
	v_and_b32_e32 v4, 0x7f800000, v68
	s_delay_alu instid0(VALU_DEP_1) | instskip(SKIP_1) | instid1(SALU_CYCLE_1)
	v_cmp_ne_u32_e32 vcc_lo, 0x7f800000, v4
                                        ; implicit-def: $vgpr4
	s_and_saveexec_b32 s4, vcc_lo
	s_xor_b32 s4, exec_lo, s4
; %bb.91:
	v_bfe_u32 v4, v68, 16, 1
	s_delay_alu instid0(VALU_DEP_1)
	v_add3_u32 v4, v68, v4, 0x7fff
; %bb.92:
	s_and_not1_saveexec_b32 s4, s4
; %bb.93:
	v_and_b32_e32 v4, 0xffff, v68
	v_or_b32_e32 v5, 0x10000, v68
	s_delay_alu instid0(VALU_DEP_2) | instskip(NEXT) | instid1(VALU_DEP_2)
	v_cmp_eq_u32_e32 vcc_lo, 0, v4
	v_cndmask_b32_e32 v4, v5, v68, vcc_lo
; %bb.94:
	s_or_b32 exec_lo, exec_lo, s4
	v_and_b32_e32 v5, 0x7f800000, v69
	s_delay_alu instid0(VALU_DEP_1) | instskip(SKIP_1) | instid1(SALU_CYCLE_1)
	v_cmp_ne_u32_e32 vcc_lo, 0x7f800000, v5
                                        ; implicit-def: $vgpr5
	s_and_saveexec_b32 s4, vcc_lo
	s_xor_b32 s4, exec_lo, s4
; %bb.95:
	v_bfe_u32 v5, v69, 16, 1
	s_delay_alu instid0(VALU_DEP_1)
	v_add3_u32 v5, v69, v5, 0x7fff
; %bb.96:
	s_and_not1_saveexec_b32 s4, s4
; %bb.97:
	v_and_b32_e32 v5, 0xffff, v69
	v_or_b32_e32 v6, 0x10000, v69
	s_delay_alu instid0(VALU_DEP_2) | instskip(NEXT) | instid1(VALU_DEP_2)
	v_cmp_eq_u32_e32 vcc_lo, 0, v5
	v_cndmask_b32_e32 v5, v6, v69, vcc_lo
; %bb.98:
	s_or_b32 exec_lo, exec_lo, s4
	v_and_b32_e32 v6, 0x7f800000, v70
	s_delay_alu instid0(VALU_DEP_1) | instskip(SKIP_1) | instid1(SALU_CYCLE_1)
	v_cmp_ne_u32_e32 vcc_lo, 0x7f800000, v6
                                        ; implicit-def: $vgpr6
	s_and_saveexec_b32 s4, vcc_lo
	s_xor_b32 s4, exec_lo, s4
; %bb.99:
	v_bfe_u32 v6, v70, 16, 1
	s_delay_alu instid0(VALU_DEP_1)
	v_add3_u32 v6, v70, v6, 0x7fff
; %bb.100:
	s_and_not1_saveexec_b32 s4, s4
; %bb.101:
	v_and_b32_e32 v6, 0xffff, v70
	v_or_b32_e32 v7, 0x10000, v70
	s_delay_alu instid0(VALU_DEP_2) | instskip(NEXT) | instid1(VALU_DEP_2)
	v_cmp_eq_u32_e32 vcc_lo, 0, v6
	v_cndmask_b32_e32 v6, v7, v70, vcc_lo
; %bb.102:
	s_or_b32 exec_lo, exec_lo, s4
	v_and_b32_e32 v7, 0x7f800000, v71
	s_delay_alu instid0(VALU_DEP_1) | instskip(SKIP_1) | instid1(SALU_CYCLE_1)
	v_cmp_ne_u32_e32 vcc_lo, 0x7f800000, v7
                                        ; implicit-def: $vgpr7
	s_and_saveexec_b32 s4, vcc_lo
	s_xor_b32 s4, exec_lo, s4
; %bb.103:
	v_bfe_u32 v7, v71, 16, 1
	s_delay_alu instid0(VALU_DEP_1)
	v_add3_u32 v7, v71, v7, 0x7fff
; %bb.104:
	s_and_not1_saveexec_b32 s4, s4
; %bb.105:
	v_and_b32_e32 v7, 0xffff, v71
	v_or_b32_e32 v8, 0x10000, v71
	s_delay_alu instid0(VALU_DEP_2) | instskip(NEXT) | instid1(VALU_DEP_2)
	v_cmp_eq_u32_e32 vcc_lo, 0, v7
	v_cndmask_b32_e32 v7, v8, v71, vcc_lo
; %bb.106:
	s_or_b32 exec_lo, exec_lo, s4
	v_and_b32_e32 v8, 0x7f800000, v72
	s_delay_alu instid0(VALU_DEP_1) | instskip(SKIP_1) | instid1(SALU_CYCLE_1)
	v_cmp_ne_u32_e32 vcc_lo, 0x7f800000, v8
                                        ; implicit-def: $vgpr8
	s_and_saveexec_b32 s4, vcc_lo
	s_xor_b32 s4, exec_lo, s4
; %bb.107:
	v_bfe_u32 v8, v72, 16, 1
	s_delay_alu instid0(VALU_DEP_1)
	v_add3_u32 v8, v72, v8, 0x7fff
                                        ; implicit-def: $vgpr65_vgpr66_vgpr67_vgpr68_vgpr69_vgpr70_vgpr71_vgpr72
; %bb.108:
	s_and_not1_saveexec_b32 s4, s4
; %bb.109:
	v_and_b32_e32 v8, 0xffff, v72
	v_or_b32_e32 v9, 0x10000, v72
	s_delay_alu instid0(VALU_DEP_2) | instskip(NEXT) | instid1(VALU_DEP_2)
	v_cmp_eq_u32_e32 vcc_lo, 0, v8
	v_cndmask_b32_e32 v8, v9, v72, vcc_lo
; %bb.110:
	s_or_b32 exec_lo, exec_lo, s4
	s_delay_alu instid0(VALU_DEP_1)
	v_perm_b32 v7, v8, v7, 0x7060302
	v_perm_b32 v6, v6, v5, 0x7060302
	;; [unrolled: 1-line block ×4, first 2 shown]
	s_barrier
	buffer_gl0_inv
	v_cmp_eq_u32_e32 vcc_lo, 1, v78
	ds_store_b128 v76, v[4:7]
	s_waitcnt lgkmcnt(0)
	s_barrier
	buffer_gl0_inv
	ds_load_b128 v[1:4], v82
	ds_load_b128 v[5:8], v82 offset:16
	v_cmp_eq_u32_e64 s4, 1, v79
	v_cmp_eq_u32_e64 s5, 2, v78
	;; [unrolled: 1-line block ×5, first 2 shown]
	s_waitcnt lgkmcnt(1)
	v_lshrrev_b32_e32 v9, 16, v1
	s_waitcnt lgkmcnt(0)
	v_lshrrev_b32_e32 v13, 16, v5
	v_lshrrev_b32_e32 v10, 16, v2
	;; [unrolled: 1-line block ×4, first 2 shown]
	v_cndmask_b32_e64 v19, v1, v9, s4
	v_cndmask_b32_e32 v18, v5, v13, vcc_lo
	v_cndmask_b32_e64 v20, v5, v13, s4
	v_cndmask_b32_e32 v17, v1, v9, vcc_lo
	v_cmp_eq_u32_e32 vcc_lo, 2, v79
	v_lshrrev_b32_e32 v15, 16, v7
	v_cmp_eq_u32_e64 s4, 1, v77
	v_lshrrev_b32_e32 v12, 16, v4
	v_lshrrev_b32_e32 v16, 16, v8
	v_cndmask_b32_e32 v20, v20, v6, vcc_lo
	v_cndmask_b32_e64 v17, v17, v2, s5
	v_cndmask_b32_e32 v19, v19, v2, vcc_lo
	v_cndmask_b32_e64 v18, v18, v6, s5
	v_cmp_eq_u32_e32 vcc_lo, 4, v78
	v_cmp_eq_u32_e64 s5, 3, v79
	v_cndmask_b32_e64 v17, v17, v10, s6
	v_cndmask_b32_e64 v21, v1, v9, s4
	;; [unrolled: 1-line block ×5, first 2 shown]
	v_cndmask_b32_e32 v17, v17, v3, vcc_lo
	v_cndmask_b32_e64 v20, v20, v14, s5
	v_cndmask_b32_e32 v18, v18, v7, vcc_lo
	v_cmp_eq_u32_e32 vcc_lo, 4, v79
	v_cmp_eq_u32_e64 s5, 5, v79
	v_cmp_eq_u32_e64 s4, 2, v81
	v_cndmask_b32_e64 v21, v21, v2, s8
	v_cmp_eq_u32_e64 s6, 5, v78
	v_cndmask_b32_e32 v19, v19, v3, vcc_lo
	v_cndmask_b32_e32 v20, v20, v7, vcc_lo
	v_cmp_eq_u32_e32 vcc_lo, 6, v79
	s_delay_alu instid0(VALU_DEP_4) | instskip(NEXT) | instid1(VALU_DEP_4)
	v_cndmask_b32_e64 v17, v17, v11, s6
	v_cndmask_b32_e64 v19, v19, v11, s5
	s_delay_alu instid0(VALU_DEP_4) | instskip(SKIP_1) | instid1(VALU_DEP_3)
	v_cndmask_b32_e64 v20, v20, v15, s5
	v_cmp_eq_u32_e64 s5, 1, v81
	v_cndmask_b32_e32 v19, v19, v4, vcc_lo
	v_cndmask_b32_e64 v18, v18, v15, s6
	s_delay_alu instid0(VALU_DEP_3)
	v_cndmask_b32_e64 v1, v1, v9, s5
	v_cndmask_b32_e64 v5, v5, v13, s5
	v_cmp_eq_u32_e64 s5, 3, v77
	v_cndmask_b32_e64 v13, v22, v6, s8
	v_cmp_eq_u32_e64 s8, 3, v81
	v_cndmask_b32_e64 v1, v1, v2, s4
	v_cndmask_b32_e64 v2, v5, v6, s4
	;; [unrolled: 1-line block ×3, first 2 shown]
	v_cmp_eq_u32_e64 s4, 4, v77
	v_cndmask_b32_e64 v6, v13, v14, s5
	v_cndmask_b32_e64 v1, v1, v10, s8
	v_cmp_eq_u32_e64 s5, 4, v81
	v_cndmask_b32_e64 v2, v2, v14, s8
	v_cndmask_b32_e64 v5, v9, v3, s4
	;; [unrolled: 3-line block ×3, first 2 shown]
	v_cndmask_b32_e64 v2, v2, v7, s5
	v_cmp_eq_u32_e64 s4, 5, v81
	v_cmp_eq_u32_e64 s6, 6, v78
	v_cndmask_b32_e64 v5, v5, v11, s8
	v_cmp_eq_u32_e64 s5, 6, v77
	v_cndmask_b32_e64 v3, v6, v15, s8
	v_cndmask_b32_e64 v1, v1, v11, s4
	v_cmp_eq_u32_e64 s8, 6, v81
	v_cndmask_b32_e64 v2, v2, v15, s4
	v_cndmask_b32_e64 v17, v17, v4, s6
	v_cndmask_b32_e64 v18, v18, v8, s6
	v_cmp_eq_u32_e64 s6, 7, v78
	v_cndmask_b32_e64 v5, v5, v4, s5
	;; [unrolled: 4-line block ×3, first 2 shown]
	v_cmp_eq_u32_e64 s5, 7, v77
	v_cndmask_b32_e32 v4, v20, v8, vcc_lo
	v_cndmask_b32_e64 v17, v17, v12, s6
	v_cndmask_b32_e64 v19, v19, v12, s7
	;; [unrolled: 1-line block ×8, first 2 shown]
	v_cmp_gt_u32_e32 vcc_lo, 32, v0
	v_perm_b32 v4, v2, v1, 0x5040100
	v_perm_b32 v3, v3, v5, 0x5040100
	;; [unrolled: 1-line block ×4, first 2 shown]
	s_and_b32 s2, vcc_lo, s2
	ds_store_b128 v76, v[1:4]
	s_waitcnt lgkmcnt(0)
	s_barrier
	buffer_gl0_inv
	s_and_saveexec_b32 s4, s2
	s_cbranch_execz .LBB1762_2
; %bb.111:
	s_load_b64 s[4:5], s[0:1], 0x68
	v_lshlrev_b32_e32 v0, 10, v0
	v_add_nc_u32_e32 v2, s31, v74
	v_lshlrev_b32_e32 v3, 4, v75
	s_lshl_b32 s0, s36, 6
	s_delay_alu instid0(SALU_CYCLE_1) | instskip(NEXT) | instid1(VALU_DEP_2)
	s_mul_i32 s1, s0, s34
	v_mul_lo_u32 v1, v2, s0
	s_delay_alu instid0(VALU_DEP_2) | instskip(SKIP_2) | instid1(SALU_CYCLE_1)
	v_and_or_b32 v0, 0x3800, v0, v3
	v_add_nc_u32_e32 v2, 2, v2
	s_mul_i32 s6, s1, s9
	s_ashr_i32 s7, s6, 31
	s_delay_alu instid0(VALU_DEP_2)
	v_lshl_or_b32 v7, v74, 6, v0
	s_lshl_b64 s[6:7], s[6:7], 1
	v_mul_lo_u32 v11, v2, s0
	v_ashrrev_i32_e32 v2, 31, v1
	ds_load_b128 v[3:6], v7
	ds_load_b128 v[7:10], v7 offset:128
	s_waitcnt lgkmcnt(0)
	s_add_u32 s1, s4, s6
	s_addc_u32 s2, s5, s7
	s_lshl_b32 s4, s14, 6
	v_ashrrev_i32_e32 v12, 31, v11
	s_ashr_i32 s5, s4, 31
	v_lshlrev_b64 v[13:14], 1, v[1:2]
	s_lshl_b64 s[4:5], s[4:5], 1
	s_delay_alu instid0(SALU_CYCLE_1) | instskip(SKIP_2) | instid1(VALU_DEP_1)
	s_add_u32 s1, s1, s4
	s_addc_u32 s2, s2, s5
	v_add_co_u32 v1, s1, s1, v73
	v_add_co_ci_u32_e64 v2, null, s2, 0, s1
	v_lshlrev_b64 v[11:12], 1, v[11:12]
	s_delay_alu instid0(VALU_DEP_3) | instskip(NEXT) | instid1(VALU_DEP_3)
	v_add_co_u32 v13, vcc_lo, v1, v13
	v_add_co_ci_u32_e32 v14, vcc_lo, v2, v14, vcc_lo
	s_delay_alu instid0(VALU_DEP_3) | instskip(NEXT) | instid1(VALU_DEP_4)
	v_add_co_u32 v11, vcc_lo, v1, v11
	v_add_co_ci_u32_e32 v12, vcc_lo, v2, v12, vcc_lo
	s_clause 0x1
	global_store_b128 v[13:14], v[3:6], off
	global_store_b128 v[11:12], v[7:10], off
	s_and_b32 exec_lo, exec_lo, s3
	s_cbranch_execz .LBB1762_2
; %bb.112:
	ds_load_b128 v[3:6], v0 offset:256
	s_add_i32 s1, s31, 4
	s_delay_alu instid0(SALU_CYCLE_1) | instskip(NEXT) | instid1(SALU_CYCLE_1)
	s_mul_i32 s0, s1, s0
	s_ashr_i32 s1, s0, 31
	s_delay_alu instid0(SALU_CYCLE_1) | instskip(NEXT) | instid1(SALU_CYCLE_1)
	s_lshl_b64 s[0:1], s[0:1], 1
	v_add_co_u32 v0, vcc_lo, v1, s0
	v_add_co_ci_u32_e32 v1, vcc_lo, s1, v2, vcc_lo
	s_waitcnt lgkmcnt(0)
	global_store_b128 v[0:1], v[3:6], off
	s_nop 0
	s_sendmsg sendmsg(MSG_DEALLOC_VGPRS)
	s_endpgm
	.section	.rodata,"a",@progbits
	.p2align	6, 0x0
	.amdhsa_kernel _Z39paged_attention_ll4mi_QKV_mfma16_kernelI14__hip_bfloat16hLN4vllm18Fp8KVCacheDataTypeE1ES0_Li32ELi64ELi256ELb1ELi5EL8MFMAType0EEvPKT_PKT0_S9_ifPKiSB_SB_iPKfiiiPfSE_PS4_PT2_iSD_SD_
		.amdhsa_group_segment_fixed_size 17472
		.amdhsa_private_segment_fixed_size 0
		.amdhsa_kernarg_size 400
		.amdhsa_user_sgpr_count 13
		.amdhsa_user_sgpr_dispatch_ptr 0
		.amdhsa_user_sgpr_queue_ptr 0
		.amdhsa_user_sgpr_kernarg_segment_ptr 1
		.amdhsa_user_sgpr_dispatch_id 0
		.amdhsa_user_sgpr_private_segment_size 0
		.amdhsa_wavefront_size32 1
		.amdhsa_uses_dynamic_stack 0
		.amdhsa_enable_private_segment 0
		.amdhsa_system_sgpr_workgroup_id_x 1
		.amdhsa_system_sgpr_workgroup_id_y 1
		.amdhsa_system_sgpr_workgroup_id_z 1
		.amdhsa_system_sgpr_workgroup_info 0
		.amdhsa_system_vgpr_workitem_id 0
		.amdhsa_next_free_vgpr 124
		.amdhsa_next_free_sgpr 42
		.amdhsa_reserve_vcc 1
		.amdhsa_float_round_mode_32 0
		.amdhsa_float_round_mode_16_64 0
		.amdhsa_float_denorm_mode_32 3
		.amdhsa_float_denorm_mode_16_64 3
		.amdhsa_dx10_clamp 1
		.amdhsa_ieee_mode 1
		.amdhsa_fp16_overflow 0
		.amdhsa_workgroup_processor_mode 1
		.amdhsa_memory_ordered 1
		.amdhsa_forward_progress 0
		.amdhsa_shared_vgpr_count 0
		.amdhsa_exception_fp_ieee_invalid_op 0
		.amdhsa_exception_fp_denorm_src 0
		.amdhsa_exception_fp_ieee_div_zero 0
		.amdhsa_exception_fp_ieee_overflow 0
		.amdhsa_exception_fp_ieee_underflow 0
		.amdhsa_exception_fp_ieee_inexact 0
		.amdhsa_exception_int_div_zero 0
	.end_amdhsa_kernel
	.section	.text._Z39paged_attention_ll4mi_QKV_mfma16_kernelI14__hip_bfloat16hLN4vllm18Fp8KVCacheDataTypeE1ES0_Li32ELi64ELi256ELb1ELi5EL8MFMAType0EEvPKT_PKT0_S9_ifPKiSB_SB_iPKfiiiPfSE_PS4_PT2_iSD_SD_,"axG",@progbits,_Z39paged_attention_ll4mi_QKV_mfma16_kernelI14__hip_bfloat16hLN4vllm18Fp8KVCacheDataTypeE1ES0_Li32ELi64ELi256ELb1ELi5EL8MFMAType0EEvPKT_PKT0_S9_ifPKiSB_SB_iPKfiiiPfSE_PS4_PT2_iSD_SD_,comdat
.Lfunc_end1762:
	.size	_Z39paged_attention_ll4mi_QKV_mfma16_kernelI14__hip_bfloat16hLN4vllm18Fp8KVCacheDataTypeE1ES0_Li32ELi64ELi256ELb1ELi5EL8MFMAType0EEvPKT_PKT0_S9_ifPKiSB_SB_iPKfiiiPfSE_PS4_PT2_iSD_SD_, .Lfunc_end1762-_Z39paged_attention_ll4mi_QKV_mfma16_kernelI14__hip_bfloat16hLN4vllm18Fp8KVCacheDataTypeE1ES0_Li32ELi64ELi256ELb1ELi5EL8MFMAType0EEvPKT_PKT0_S9_ifPKiSB_SB_iPKfiiiPfSE_PS4_PT2_iSD_SD_
                                        ; -- End function
	.section	.AMDGPU.csdata,"",@progbits
; Kernel info:
; codeLenInByte = 8780
; NumSgprs: 44
; NumVgprs: 124
; ScratchSize: 0
; MemoryBound: 0
; FloatMode: 240
; IeeeMode: 1
; LDSByteSize: 17472 bytes/workgroup (compile time only)
; SGPRBlocks: 5
; VGPRBlocks: 15
; NumSGPRsForWavesPerEU: 44
; NumVGPRsForWavesPerEU: 124
; Occupancy: 10
; WaveLimiterHint : 1
; COMPUTE_PGM_RSRC2:SCRATCH_EN: 0
; COMPUTE_PGM_RSRC2:USER_SGPR: 13
; COMPUTE_PGM_RSRC2:TRAP_HANDLER: 0
; COMPUTE_PGM_RSRC2:TGID_X_EN: 1
; COMPUTE_PGM_RSRC2:TGID_Y_EN: 1
; COMPUTE_PGM_RSRC2:TGID_Z_EN: 1
; COMPUTE_PGM_RSRC2:TIDIG_COMP_CNT: 0
	.section	.text._Z39paged_attention_ll4mi_QKV_mfma16_kernelI14__hip_bfloat16hLN4vllm18Fp8KVCacheDataTypeE1ES0_Li32ELi64ELi256ELb1ELi6EL8MFMAType0EEvPKT_PKT0_S9_ifPKiSB_SB_iPKfiiiPfSE_PS4_PT2_iSD_SD_,"axG",@progbits,_Z39paged_attention_ll4mi_QKV_mfma16_kernelI14__hip_bfloat16hLN4vllm18Fp8KVCacheDataTypeE1ES0_Li32ELi64ELi256ELb1ELi6EL8MFMAType0EEvPKT_PKT0_S9_ifPKiSB_SB_iPKfiiiPfSE_PS4_PT2_iSD_SD_,comdat
	.protected	_Z39paged_attention_ll4mi_QKV_mfma16_kernelI14__hip_bfloat16hLN4vllm18Fp8KVCacheDataTypeE1ES0_Li32ELi64ELi256ELb1ELi6EL8MFMAType0EEvPKT_PKT0_S9_ifPKiSB_SB_iPKfiiiPfSE_PS4_PT2_iSD_SD_ ; -- Begin function _Z39paged_attention_ll4mi_QKV_mfma16_kernelI14__hip_bfloat16hLN4vllm18Fp8KVCacheDataTypeE1ES0_Li32ELi64ELi256ELb1ELi6EL8MFMAType0EEvPKT_PKT0_S9_ifPKiSB_SB_iPKfiiiPfSE_PS4_PT2_iSD_SD_
	.globl	_Z39paged_attention_ll4mi_QKV_mfma16_kernelI14__hip_bfloat16hLN4vllm18Fp8KVCacheDataTypeE1ES0_Li32ELi64ELi256ELb1ELi6EL8MFMAType0EEvPKT_PKT0_S9_ifPKiSB_SB_iPKfiiiPfSE_PS4_PT2_iSD_SD_
	.p2align	8
	.type	_Z39paged_attention_ll4mi_QKV_mfma16_kernelI14__hip_bfloat16hLN4vllm18Fp8KVCacheDataTypeE1ES0_Li32ELi64ELi256ELb1ELi6EL8MFMAType0EEvPKT_PKT0_S9_ifPKiSB_SB_iPKfiiiPfSE_PS4_PT2_iSD_SD_,@function
_Z39paged_attention_ll4mi_QKV_mfma16_kernelI14__hip_bfloat16hLN4vllm18Fp8KVCacheDataTypeE1ES0_Li32ELi64ELi256ELb1ELi6EL8MFMAType0EEvPKT_PKT0_S9_ifPKiSB_SB_iPKfiiiPfSE_PS4_PT2_iSD_SD_: ; @_Z39paged_attention_ll4mi_QKV_mfma16_kernelI14__hip_bfloat16hLN4vllm18Fp8KVCacheDataTypeE1ES0_Li32ELi64ELi256ELb1ELi6EL8MFMAType0EEvPKT_PKT0_S9_ifPKiSB_SB_iPKfiiiPfSE_PS4_PT2_iSD_SD_
; %bb.0:
	s_load_b64 s[2:3], s[0:1], 0x30
	s_mov_b32 s30, s13
	s_waitcnt lgkmcnt(0)
	s_cmp_lg_u64 s[2:3], 0
	s_cselect_b32 s8, -1, 0
	s_ashr_i32 s31, s13, 31
	s_cmp_eq_u64 s[2:3], 0
	s_cbranch_scc1 .LBB1763_3
; %bb.1:
	s_lshl_b64 s[4:5], s[30:31], 2
	s_delay_alu instid0(SALU_CYCLE_1) | instskip(SKIP_4) | instid1(SALU_CYCLE_1)
	s_add_u32 s4, s2, s4
	s_addc_u32 s5, s3, s5
	s_load_b64 s[4:5], s[4:5], 0x0
	s_waitcnt lgkmcnt(0)
	s_sub_i32 s4, s5, s4
	s_cmp_eq_u32 s4, 1
	s_cselect_b32 s4, -1, 0
	s_delay_alu instid0(SALU_CYCLE_1)
	s_and_not1_b32 vcc_lo, exec_lo, s4
	s_cbranch_vccz .LBB1763_4
.LBB1763_2:
	s_endpgm
.LBB1763_3:
.LBB1763_4:
	s_load_b64 s[4:5], s[0:1], 0x28
	s_lshl_b64 s[6:7], s[30:31], 2
	s_waitcnt lgkmcnt(0)
	s_add_u32 s4, s4, s6
	s_addc_u32 s5, s5, s7
	s_lshl_b32 s12, s14, 8
	s_load_b32 s24, s[4:5], 0x0
	s_waitcnt lgkmcnt(0)
	s_cmp_ge_i32 s12, s24
	s_cbranch_scc1 .LBB1763_2
; %bb.5:
	s_clause 0x1
	s_load_b128 s[20:23], s[0:1], 0x8
	s_load_b64 s[4:5], s[0:1], 0x20
	s_and_not1_b32 vcc_lo, exec_lo, s8
	s_cbranch_vccnz .LBB1763_7
; %bb.6:
	s_add_u32 s2, s2, s6
	s_addc_u32 s3, s3, s7
	s_load_b32 s3, s[2:3], 0x0
	s_branch .LBB1763_8
.LBB1763_7:
	s_mov_b32 s3, s30
.LBB1763_8:
	s_load_b128 s[16:19], s[0:1], 0x48
	v_and_b32_e32 v65, 15, v0
	v_cmp_gt_u32_e32 vcc_lo, 0x60, v0
	v_lshrrev_b32_e32 v66, 5, v0
	v_and_b32_e32 v67, 31, v0
	v_and_b32_e32 v75, 1, v0
	v_lshlrev_b32_e32 v1, 3, v65
	v_cmp_gt_u32_e64 s2, 8, v65
	v_bfe_u32 v74, v0, 4, 1
	s_mul_i32 s31, s15, 6
	s_delay_alu instid0(VALU_DEP_3) | instskip(NEXT) | instid1(VALU_DEP_3)
	v_lshlrev_b32_e32 v73, 1, v1
	s_and_b32 s7, vcc_lo, s2
	s_delay_alu instid0(SALU_CYCLE_1)
	s_and_saveexec_b32 s6, s7
	s_cbranch_execz .LBB1763_10
; %bb.9:
	s_load_b64 s[8:9], s[0:1], 0x0
	v_lshl_or_b32 v5, v66, 1, v74
	s_waitcnt lgkmcnt(0)
	s_mul_hi_i32 s11, s3, s16
	s_mul_i32 s10, s3, s16
	v_lshlrev_b32_e32 v6, 10, v65
	s_lshl_b64 s[10:11], s[10:11], 1
	v_add_lshl_u32 v1, v5, s31, 6
	v_lshlrev_b32_e32 v5, 6, v5
	v_lshlrev_b32_e32 v7, 10, v75
	v_and_b32_e32 v6, 0x3800, v6
	s_delay_alu instid0(VALU_DEP_4) | instskip(NEXT) | instid1(VALU_DEP_2)
	v_ashrrev_i32_e32 v2, 31, v1
	v_or3_b32 v5, v6, v7, v5
	s_delay_alu instid0(VALU_DEP_2) | instskip(SKIP_2) | instid1(VALU_DEP_1)
	v_lshlrev_b64 v[1:2], 1, v[1:2]
	s_add_u32 s3, s8, s10
	s_addc_u32 s7, s9, s11
	v_add_co_u32 v1, vcc_lo, s3, v1
	s_delay_alu instid0(VALU_DEP_2) | instskip(NEXT) | instid1(VALU_DEP_2)
	v_add_co_ci_u32_e32 v2, vcc_lo, s7, v2, vcc_lo
	v_add_co_u32 v1, vcc_lo, v1, v73
	s_delay_alu instid0(VALU_DEP_2)
	v_add_co_ci_u32_e32 v2, vcc_lo, 0, v2, vcc_lo
	global_load_b128 v[1:4], v[1:2], off
	s_waitcnt vmcnt(0)
	ds_store_b128 v5, v[1:4]
.LBB1763_10:
	s_or_b32 exec_lo, exec_lo, s6
	v_and_b32_e32 v1, 0xef, v0
	s_waitcnt lgkmcnt(0)
	s_add_i32 s3, s24, 31
	s_clause 0x1
	s_load_b32 s6, s[0:1], 0x38
	s_load_b32 s19, s[0:1], 0x1c
	s_ashr_i32 s7, s3, 31
	v_add_nc_u32_e32 v1, s12, v1
	s_lshr_b32 s7, s7, 27
	s_waitcnt lgkmcnt(0)
	s_add_i32 s3, s3, s7
	s_barrier
	v_ashrrev_i32_e32 v2, 31, v1
	v_or_b32_e32 v3, 16, v1
	s_ashr_i32 s3, s3, 5
	v_cmp_gt_i32_e32 vcc_lo, s24, v1
	s_add_i32 s3, s3, -1
	v_lshrrev_b32_e32 v2, 27, v2
	buffer_gl0_inv
	s_mul_i32 s27, s15, s18
	v_add_nc_u32_e32 v4, v1, v2
	s_mul_i32 s6, s30, s6
	s_delay_alu instid0(SALU_CYCLE_1) | instskip(NEXT) | instid1(VALU_DEP_1)
	s_ashr_i32 s7, s6, 31
	v_ashrrev_i32_e32 v4, 5, v4
	v_add_nc_u32_e32 v2, v3, v2
	s_lshl_b64 s[6:7], s[6:7], 2
	s_delay_alu instid0(SALU_CYCLE_1) | instskip(NEXT) | instid1(VALU_DEP_2)
	s_add_u32 s26, s4, s6
	v_cndmask_b32_e32 v1, s3, v4, vcc_lo
	s_delay_alu instid0(VALU_DEP_2)
	v_ashrrev_i32_e32 v2, 5, v2
	v_cmp_gt_i32_e32 vcc_lo, s24, v3
	s_addc_u32 s25, s5, s7
	s_ashr_i32 s28, s27, 31
	s_add_u32 s4, s20, s27
	s_addc_u32 s5, s21, s28
	v_cndmask_b32_e32 v3, s3, v2, vcc_lo
	v_ashrrev_i32_e32 v2, 31, v1
	s_lshl_b32 s6, s14, 3
	s_delay_alu instid0(SALU_CYCLE_1) | instskip(NEXT) | instid1(VALU_DEP_2)
	s_ashr_i32 s7, s6, 31
	v_ashrrev_i32_e32 v4, 31, v3
	s_delay_alu instid0(VALU_DEP_2) | instskip(SKIP_1) | instid1(SALU_CYCLE_1)
	v_lshlrev_b64 v[1:2], 2, v[1:2]
	s_lshl_b64 s[6:7], s[6:7], 2
	s_add_u32 s6, s26, s6
	s_delay_alu instid0(VALU_DEP_2) | instskip(SKIP_1) | instid1(VALU_DEP_2)
	v_lshlrev_b64 v[3:4], 2, v[3:4]
	s_addc_u32 s7, s25, s7
	v_add_co_u32 v1, vcc_lo, s26, v1
	v_add_co_ci_u32_e32 v2, vcc_lo, s25, v2, vcc_lo
	s_delay_alu instid0(VALU_DEP_3) | instskip(NEXT) | instid1(VALU_DEP_4)
	v_add_co_u32 v3, vcc_lo, s26, v3
	v_add_co_ci_u32_e32 v4, vcc_lo, s25, v4, vcc_lo
	s_clause 0x1
	global_load_b32 v5, v[1:2], off
	global_load_b32 v6, v[3:4], off
	s_or_b32 s8, s12, 32
	s_delay_alu instid0(SALU_CYCLE_1) | instskip(SKIP_2) | instid1(SALU_CYCLE_1)
	s_ashr_i32 s9, s8, 5
	s_cmp_lt_i32 s8, s24
	s_cselect_b32 s8, s9, s3
	s_ashr_i32 s9, s8, 31
	s_delay_alu instid0(SALU_CYCLE_1) | instskip(NEXT) | instid1(SALU_CYCLE_1)
	s_lshl_b64 s[8:9], s[8:9], 2
	s_add_u32 s8, s26, s8
	s_addc_u32 s9, s25, s9
	s_or_b32 s10, s12, 64
	s_delay_alu instid0(SALU_CYCLE_1) | instskip(SKIP_2) | instid1(SALU_CYCLE_1)
	s_ashr_i32 s11, s10, 5
	s_cmp_lt_i32 s10, s24
	s_cselect_b32 s10, s11, s3
	s_ashr_i32 s11, s10, 31
	s_delay_alu instid0(SALU_CYCLE_1) | instskip(NEXT) | instid1(SALU_CYCLE_1)
	s_lshl_b64 s[10:11], s[10:11], 2
	s_add_u32 s10, s26, s10
	s_addc_u32 s11, s25, s11
	;; [unrolled: 10-line block ×5, first 2 shown]
	s_clause 0x5
	s_load_b32 s21, s[6:7], 0x0
	s_load_b32 s13, s[8:9], 0x0
	;; [unrolled: 1-line block ×6, first 2 shown]
	s_or_b32 s9, s12, 0xc0
	s_delay_alu instid0(SALU_CYCLE_1) | instskip(SKIP_2) | instid1(SALU_CYCLE_1)
	s_ashr_i32 s10, s9, 5
	s_cmp_lt_i32 s9, s24
	s_cselect_b32 s34, s10, s3
	s_ashr_i32 s35, s34, 31
	s_delay_alu instid0(SALU_CYCLE_1) | instskip(NEXT) | instid1(SALU_CYCLE_1)
	s_lshl_b64 s[34:35], s[34:35], 2
	s_add_u32 s34, s26, s34
	s_addc_u32 s35, s25, s35
	s_or_b32 s29, s12, 0xe0
	s_delay_alu instid0(SALU_CYCLE_1)
	s_ashr_i32 s33, s29, 5
	s_cmp_lt_i32 s29, s24
	s_waitcnt vmcnt(1)
	v_mad_i64_i32 v[1:2], null, v5, s17, s[4:5]
	s_waitcnt vmcnt(0)
	v_mad_i64_i32 v[3:4], null, v6, s17, s[4:5]
	s_mov_b32 s4, 0
	s_delay_alu instid0(SALU_CYCLE_1)
	s_mov_b32 s5, s4
	s_mov_b32 s6, s4
	;; [unrolled: 1-line block ×7, first 2 shown]
	v_lshlrev_b32_e32 v5, 4, v65
	v_dual_mov_b32 v107, s11 :: v_dual_mov_b32 v102, s6
	v_mov_b32_e32 v106, s10
	v_mov_b32_e32 v104, s8
	s_delay_alu instid0(VALU_DEP_4)
	v_add_co_u32 v1, vcc_lo, v1, v5
	v_add_co_ci_u32_e32 v2, vcc_lo, 0, v2, vcc_lo
	v_add_co_u32 v3, vcc_lo, v3, v5
	v_add_co_ci_u32_e32 v4, vcc_lo, 0, v4, vcc_lo
	s_clause 0x7
	global_load_b128 v[49:52], v[1:2], off
	global_load_b128 v[53:56], v[1:2], off offset:512
	global_load_b128 v[76:79], v[3:4], off offset:256
	;; [unrolled: 1-line block ×7, first 2 shown]
	v_mul_lo_u16 v1, v65, 43
	v_mov_b32_e32 v103, s7
	v_dual_mov_b32 v101, s5 :: v_dual_lshlrev_b32 v2, 5, v65
	v_mov_b32_e32 v100, s4
	s_delay_alu instid0(VALU_DEP_4) | instskip(NEXT) | instid1(VALU_DEP_3)
	v_lshrrev_b16 v1, 8, v1
	v_lshl_or_b32 v2, v66, 9, v2
	s_delay_alu instid0(VALU_DEP_2) | instskip(NEXT) | instid1(VALU_DEP_1)
	v_mul_lo_u16 v1, v1, 6
	v_sub_nc_u16 v1, v65, v1
	s_delay_alu instid0(VALU_DEP_1)
	v_and_b32_e32 v1, 0xff, v1
	v_mov_b32_e32 v105, s9
	s_cselect_b32 s4, s33, s3
	s_load_b32 s3, s[34:35], 0x0
	s_ashr_i32 s5, s4, 31
	v_lshlrev_b32_e32 v70, 6, v1
	s_lshl_b64 s[4:5], s[4:5], 2
	ds_load_b128 v[108:111], v70
	ds_load_b128 v[112:115], v70 offset:1024
	s_add_u32 s4, s26, s4
	s_addc_u32 s5, s25, s5
	s_add_u32 s6, s22, s27
	s_load_b32 s4, s[4:5], 0x0
	s_addc_u32 s7, s23, s28
	v_add_co_u32 v9, s6, s6, v2
	s_delay_alu instid0(VALU_DEP_1) | instskip(SKIP_1) | instid1(VALU_DEP_1)
	v_add_co_ci_u32_e64 v10, null, s7, 0, s6
	s_waitcnt lgkmcnt(0)
	v_mad_i64_i32 v[1:2], null, s21, s17, v[9:10]
	v_mad_i64_i32 v[3:4], null, s13, s17, v[9:10]
	;; [unrolled: 1-line block ×7, first 2 shown]
	s_clause 0x9
	global_load_b128 v[57:60], v[1:2], off
	global_load_b128 v[61:64], v[1:2], off offset:16
	global_load_b128 v[41:44], v[3:4], off
	global_load_b128 v[45:48], v[3:4], off offset:16
	;; [unrolled: 2-line block ×5, first 2 shown]
	v_mad_i64_i32 v[68:69], null, s4, s17, v[9:10]
	s_clause 0x3
	global_load_b128 v[9:12], v[13:14], off
	global_load_b128 v[13:16], v[13:14], off offset:16
	global_load_b128 v[17:20], v[21:22], off
	global_load_b128 v[21:24], v[21:22], off offset:16
	s_waitcnt vmcnt(20)
	v_wmma_f32_16x16x16_bf16 v[116:123], v[49:56], v[108:115], v[100:107]
	s_clause 0x1
	global_load_b128 v[49:52], v[68:69], off
	global_load_b128 v[53:56], v[68:69], off offset:16
	v_and_b32_e32 v68, 0xe0, v0
	v_mbcnt_lo_u32_b32 v69, -1, 0
	s_delay_alu instid0(VALU_DEP_2)
	v_add_nc_u32_e32 v68, s12, v68
	s_waitcnt vmcnt(20)
	v_wmma_f32_16x16x16_bf16 v[100:107], v[76:83], v[108:115], v[100:107]
	ds_load_b128 v[76:79], v70 offset:2048
	ds_load_b128 v[80:83], v70 offset:3072
	v_xor_b32_e32 v70, 16, v69
	s_waitcnt vmcnt(0) lgkmcnt(0)
	v_or_b32_e32 v68, v68, v74
	s_barrier
	buffer_gl0_inv
	v_cmp_gt_i32_e32 vcc_lo, 32, v70
	v_or_b32_e32 v71, 4, v68
	v_or_b32_e32 v72, 6, v68
	v_cmp_gt_i32_e64 s3, s24, v68
	v_or_b32_e32 v108, 8, v68
	v_or_b32_e32 v109, 10, v68
	v_cmp_gt_i32_e64 s4, s24, v71
	v_cmp_gt_i32_e64 s5, s24, v72
	s_delay_alu instid0(VALU_DEP_4) | instskip(NEXT) | instid1(VALU_DEP_4)
	v_cmp_gt_i32_e64 s6, s24, v108
	v_cmp_gt_i32_e64 s7, s24, v109
	v_wmma_f32_16x16x16_bf16 v[116:123], v[84:91], v[76:83], v[116:123]
	v_cndmask_b32_e32 v69, v69, v70, vcc_lo
	v_or_b32_e32 v70, 2, v68
	v_wmma_f32_16x16x16_bf16 v[100:107], v[92:99], v[76:83], v[100:107]
	v_or_b32_e32 v84, 12, v68
	v_dual_mul_f32 v78, s19, v123 :: v_dual_mul_f32 v83, s19, v118
	v_dual_mul_f32 v92, s19, v117 :: v_dual_mul_f32 v93, s19, v116
	s_delay_alu instid0(VALU_DEP_4) | instskip(SKIP_2) | instid1(VALU_DEP_4)
	v_mul_f32_e32 v94, s19, v107
	v_cmp_gt_i32_e32 vcc_lo, s24, v70
	v_dual_mul_f32 v81, s19, v120 :: v_dual_mul_f32 v82, s19, v119
	v_cndmask_b32_e64 v93, 0xff7fffff, v93, s3
	v_or_b32_e32 v85, 14, v68
	v_cndmask_b32_e32 v92, 0xff7fffff, v92, vcc_lo
	v_dual_mul_f32 v79, s19, v122 :: v_dual_mul_f32 v80, s19, v121
	v_cndmask_b32_e64 v71, 0xff7fffff, v83, s4
	v_cndmask_b32_e64 v72, 0xff7fffff, v82, s5
	s_delay_alu instid0(VALU_DEP_4)
	v_max3_f32 v82, v93, 0xff7fffff, v92
	v_or_b32_e32 v86, 16, v68
	v_or_b32_e32 v87, 18, v68
	v_cndmask_b32_e64 v81, 0xff7fffff, v81, s6
	v_cndmask_b32_e64 v80, 0xff7fffff, v80, s7
	v_max3_f32 v71, v82, v71, v72
	v_cmp_gt_i32_e64 s8, s24, v84
	v_cmp_gt_i32_e64 s9, s24, v85
	v_or_b32_e32 v88, 20, v68
	v_or_b32_e32 v89, 22, v68
	;; [unrolled: 1-line block ×6, first 2 shown]
	v_dual_mul_f32 v99, s19, v102 :: v_dual_mul_f32 v70, s19, v101
	v_mul_f32_e32 v68, s19, v100
	v_cndmask_b32_e64 v72, 0xff7fffff, v79, s8
	v_cndmask_b32_e64 v78, 0xff7fffff, v78, s9
	v_max3_f32 v71, v71, v81, v80
	v_cmp_gt_i32_e64 s10, s24, v86
	v_cmp_gt_i32_e64 s11, s24, v87
	v_dual_mul_f32 v97, s19, v104 :: v_dual_mul_f32 v98, s19, v103
	s_delay_alu instid0(VALU_DEP_4) | instskip(SKIP_1) | instid1(VALU_DEP_4)
	v_max3_f32 v71, v71, v72, v78
	v_cmp_gt_i32_e64 s12, s24, v88
	v_cndmask_b32_e64 v70, 0xff7fffff, v70, s11
	v_cmp_gt_i32_e64 s13, s24, v89
	v_lshlrev_b32_e32 v89, 2, v69
	v_cndmask_b32_e64 v68, 0xff7fffff, v68, s10
	v_dual_mul_f32 v95, s19, v106 :: v_dual_mul_f32 v96, s19, v105
	v_cndmask_b32_e64 v72, 0xff7fffff, v99, s12
	v_cndmask_b32_e64 v78, 0xff7fffff, v98, s13
	s_delay_alu instid0(VALU_DEP_4)
	v_max3_f32 v68, v71, v68, v70
	v_cmp_gt_i32_e64 s15, s24, v90
	v_cmp_gt_i32_e64 s16, s24, v91
	;; [unrolled: 1-line block ×4, first 2 shown]
	v_max3_f32 v68, v68, v72, v78
	v_cndmask_b32_e64 v70, 0xff7fffff, v97, s15
	v_cndmask_b32_e64 v71, 0xff7fffff, v96, s16
	;; [unrolled: 1-line block ×4, first 2 shown]
	s_delay_alu instid0(VALU_DEP_3) | instskip(NEXT) | instid1(VALU_DEP_1)
	v_max3_f32 v68, v68, v70, v71
	v_max3_f32 v68, v68, v72, v76
	ds_bpermute_b32 v69, v89, v68
	s_waitcnt lgkmcnt(0)
	v_max_f32_e32 v69, v69, v69
	s_delay_alu instid0(VALU_DEP_1) | instskip(NEXT) | instid1(VALU_DEP_1)
	v_max_f32_e32 v68, v68, v69
	v_fma_f32 v71, s19, v118, -v68
	s_delay_alu instid0(VALU_DEP_1)
	v_mul_f32_e32 v71, 0x3fb8aa3b, v71
	v_fma_f32 v69, s19, v116, -v68
	v_fma_f32 v70, s19, v117, -v68
	;; [unrolled: 1-line block ×4, first 2 shown]
	v_exp_f32_e32 v71, v71
	s_delay_alu instid0(VALU_DEP_3) | instskip(SKIP_2) | instid1(VALU_DEP_3)
	v_dual_mul_f32 v69, 0x3fb8aa3b, v69 :: v_dual_mul_f32 v70, 0x3fb8aa3b, v70
	v_fma_f32 v78, s19, v122, -v68
	v_fma_f32 v81, s19, v105, -v68
	v_exp_f32_e32 v69, v69
	s_delay_alu instid0(VALU_DEP_3) | instskip(SKIP_1) | instid1(VALU_DEP_2)
	v_exp_f32_e32 v70, v70
	v_mul_f32_e32 v77, 0x3fb8aa3b, v76
	v_mul_f32_e32 v81, 0x3fb8aa3b, v81
	s_delay_alu instid0(TRANS32_DEP_3) | instskip(SKIP_1) | instid1(VALU_DEP_3)
	v_cndmask_b32_e64 v83, 0, v71, s4
	v_fma_f32 v71, s19, v123, -v68
	v_exp_f32_e32 v81, v81
	s_delay_alu instid0(TRANS32_DEP_3) | instskip(NEXT) | instid1(TRANS32_DEP_2)
	v_cndmask_b32_e64 v80, 0, v69, s3
	v_cndmask_b32_e32 v76, 0, v70, vcc_lo
	v_fma_f32 v69, s19, v121, -v68
	v_mul_f32_e32 v72, 0x3fb8aa3b, v72
	v_exp_f32_e32 v77, v77
	v_dual_add_f32 v70, 0, v80 :: v_dual_mul_f32 v71, 0x3fb8aa3b, v71
	s_delay_alu instid0(VALU_DEP_3) | instskip(NEXT) | instid1(VALU_DEP_3)
	v_mul_f32_e32 v69, 0x3fb8aa3b, v69
	v_exp_f32_e32 v72, v72
	s_mov_b32 s3, exec_lo
	s_delay_alu instid0(VALU_DEP_2) | instskip(NEXT) | instid1(VALU_DEP_1)
	v_exp_f32_e32 v71, v71
	v_exp_f32_e32 v69, v69
	v_cndmask_b32_e64 v86, 0, v77, s6
	v_fma_f32 v77, s19, v101, -v68
	v_add_f32_e32 v70, v70, v76
	s_delay_alu instid0(TRANS32_DEP_3) | instskip(SKIP_1) | instid1(VALU_DEP_3)
	v_cndmask_b32_e64 v85, 0, v72, s5
	v_fma_f32 v72, s19, v100, -v68
	v_dual_mul_f32 v77, 0x3fb8aa3b, v77 :: v_dual_add_f32 v70, v70, v83
	s_delay_alu instid0(TRANS32_DEP_2) | instskip(SKIP_1) | instid1(TRANS32_DEP_1)
	v_cndmask_b32_e64 v88, 0, v71, s9
	v_fma_f32 v71, s19, v104, -v68
	v_cndmask_b32_e64 v87, 0, v69, s7
	s_delay_alu instid0(VALU_DEP_4) | instskip(NEXT) | instid1(VALU_DEP_2)
	v_exp_f32_e32 v77, v77
	v_dual_add_f32 v70, v70, v85 :: v_dual_mul_f32 v71, 0x3fb8aa3b, v71
	s_delay_alu instid0(VALU_DEP_1) | instskip(SKIP_2) | instid1(VALU_DEP_3)
	v_dual_mul_f32 v72, 0x3fb8aa3b, v72 :: v_dual_add_f32 v69, v70, v86
	v_mul_f32_e32 v78, 0x3fb8aa3b, v78
	v_fma_f32 v70, s19, v102, -v68
	v_exp_f32_e32 v72, v72
	v_exp_f32_e32 v82, v71
	v_add_f32_e32 v69, v69, v87
	v_exp_f32_e32 v78, v78
	v_mul_f32_e32 v70, 0x3fb8aa3b, v70
	s_delay_alu instid0(VALU_DEP_1) | instskip(SKIP_4) | instid1(VALU_DEP_2)
	v_exp_f32_e32 v79, v70
	v_cndmask_b32_e64 v70, 0, v72, s10
	s_waitcnt_depctr 0xfff
	v_cndmask_b32_e64 v84, 0, v78, s8
	v_fma_f32 v78, s19, v103, -v68
	v_add_f32_e32 v69, v69, v84
	v_cndmask_b32_e64 v71, 0, v79, s12
	s_delay_alu instid0(VALU_DEP_2) | instskip(SKIP_2) | instid1(VALU_DEP_1)
	v_add_f32_e32 v72, v69, v88
	v_cndmask_b32_e64 v69, 0, v77, s11
	v_fma_f32 v77, s19, v106, -v68
	v_dual_mul_f32 v77, 0x3fb8aa3b, v77 :: v_dual_add_f32 v72, v72, v70
	v_mul_f32_e32 v78, 0x3fb8aa3b, v78
	s_delay_alu instid0(VALU_DEP_2) | instskip(NEXT) | instid1(VALU_DEP_2)
	v_exp_f32_e32 v90, v77
	v_add_f32_e32 v79, v72, v69
	s_delay_alu instid0(VALU_DEP_2)
	v_exp_f32_e32 v78, v78
	v_cndmask_b32_e64 v77, 0, v82, s15
	s_waitcnt_depctr 0xfff
	v_cndmask_b32_e64 v72, 0, v78, s13
	v_add_f32_e32 v78, v79, v71
	v_fma_f32 v79, s19, v107, -v68
	s_delay_alu instid0(VALU_DEP_1) | instskip(SKIP_1) | instid1(VALU_DEP_2)
	v_dual_add_f32 v82, v78, v72 :: v_dual_mul_f32 v79, 0x3fb8aa3b, v79
	v_cndmask_b32_e64 v78, 0, v81, s16
	v_add_f32_e32 v81, v82, v77
	s_delay_alu instid0(VALU_DEP_3) | instskip(SKIP_1) | instid1(VALU_DEP_2)
	v_exp_f32_e32 v82, v79
	v_cndmask_b32_e64 v79, 0, v90, s17
	v_add_f32_e32 v81, v81, v78
	s_delay_alu instid0(VALU_DEP_1) | instskip(SKIP_2) | instid1(VALU_DEP_1)
	v_add_f32_e32 v90, v81, v79
	s_waitcnt_depctr 0xfff
	v_cndmask_b32_e64 v81, 0, v82, s18
	v_add_f32_e32 v82, v90, v81
	ds_bpermute_b32 v89, v89, v82
	v_cmpx_gt_u32_e32 16, v67
	s_cbranch_execz .LBB1763_12
; %bb.11:
	v_mul_u32_u24_e32 v67, 0x44, v66
	s_delay_alu instid0(VALU_DEP_1) | instskip(SKIP_1) | instid1(VALU_DEP_1)
	v_lshl_add_u32 v67, v65, 2, v67
	s_waitcnt lgkmcnt(0)
	v_dual_add_f32 v82, v82, v89 :: v_dual_add_nc_u32 v67, 0x4000, v67
	ds_store_2addr_b32 v67, v68, v82 offset1:136
.LBB1763_12:
	s_or_b32 exec_lo, exec_lo, s3
	v_lshlrev_b32_e32 v67, 2, v65
	s_waitcnt lgkmcnt(0)
	s_barrier
	buffer_gl0_inv
	v_cmp_eq_u32_e32 vcc_lo, 1, v66
	v_add_nc_u32_e32 v82, 0x4000, v67
	v_cmp_eq_u32_e64 s3, 2, v66
	v_cmp_eq_u32_e64 s5, 7, v66
	ds_load_2addr_b32 v[89:90], v82 offset1:17
	ds_load_2addr_b32 v[91:92], v82 offset0:34 offset1:51
	ds_load_2addr_b32 v[93:94], v82 offset0:68 offset1:85
	;; [unrolled: 1-line block ×4, first 2 shown]
	s_waitcnt lgkmcnt(4)
	v_max3_f32 v67, v89, 0xff7fffff, v90
	s_waitcnt lgkmcnt(3)
	s_delay_alu instid0(VALU_DEP_1) | instskip(SKIP_1) | instid1(VALU_DEP_1)
	v_max3_f32 v67, v67, v91, v92
	s_waitcnt lgkmcnt(2)
	v_max3_f32 v67, v67, v93, v94
	s_waitcnt lgkmcnt(1)
	s_delay_alu instid0(VALU_DEP_1) | instskip(NEXT) | instid1(VALU_DEP_1)
	v_max3_f32 v67, v67, v95, v96
	v_sub_f32_e32 v93, v93, v67
	s_delay_alu instid0(VALU_DEP_1) | instskip(NEXT) | instid1(VALU_DEP_1)
	v_dual_sub_f32 v68, v89, v67 :: v_dual_mul_f32 v103, 0x3fb8aa3b, v93
	v_mul_f32_e32 v68, 0x3fb8aa3b, v68
	s_delay_alu instid0(VALU_DEP_1)
	v_exp_f32_e32 v100, v68
	v_sub_f32_e32 v68, v92, v67
	v_sub_f32_e32 v99, v90, v67
	ds_load_2addr_b32 v[89:90], v82 offset0:170 offset1:187
	v_dual_mul_f32 v102, 0x3fb8aa3b, v68 :: v_dual_mul_f32 v99, 0x3fb8aa3b, v99
	s_waitcnt lgkmcnt(1)
	v_fma_f32 v68, v100, v97, 0
	s_delay_alu instid0(VALU_DEP_2) | instskip(NEXT) | instid1(VALU_DEP_2)
	v_exp_f32_e32 v102, v102
	v_exp_f32_e32 v99, v99
	s_waitcnt_depctr 0xfff
	v_fmac_f32_e32 v68, v99, v98
	v_sub_f32_e32 v91, v91, v67
	s_delay_alu instid0(VALU_DEP_1)
	v_mul_f32_e32 v101, 0x3fb8aa3b, v91
	ds_load_2addr_b32 v[91:92], v82 offset0:204 offset1:221
	v_sub_f32_e32 v97, v94, v67
	ds_load_2addr_b32 v[93:94], v82 offset0:238 offset1:255
	s_waitcnt lgkmcnt(0)
	v_exp_f32_e32 v101, v101
	s_barrier
	buffer_gl0_inv
	v_dual_fmac_f32 v68, v101, v89 :: v_dual_sub_f32 v89, v96, v67
	v_dual_sub_f32 v82, v95, v67 :: v_dual_mul_f32 v95, 0x3fb8aa3b, v97
	v_exp_f32_e32 v97, v103
	s_delay_alu instid0(VALU_DEP_2) | instskip(NEXT) | instid1(VALU_DEP_2)
	v_dual_fmac_f32 v68, v102, v90 :: v_dual_mul_f32 v89, 0x3fb8aa3b, v89
	v_mul_f32_e32 v82, 0x3fb8aa3b, v82
	s_delay_alu instid0(VALU_DEP_3) | instskip(NEXT) | instid1(VALU_DEP_2)
	v_exp_f32_e32 v95, v95
	v_exp_f32_e32 v89, v89
	s_delay_alu instid0(VALU_DEP_1)
	v_exp_f32_e32 v82, v82
	v_fmac_f32_e32 v68, v97, v91
	s_delay_alu instid0(TRANS32_DEP_3) | instid1(VALU_DEP_1)
	v_fmac_f32_e32 v68, v95, v92
	s_waitcnt_depctr 0xfff
	v_fmac_f32_e32 v68, v82, v93
	s_delay_alu instid0(VALU_DEP_1) | instskip(NEXT) | instid1(VALU_DEP_1)
	v_fmac_f32_e32 v68, v89, v94
	v_add_f32_e32 v90, 0x358637bd, v68
	s_delay_alu instid0(VALU_DEP_1) | instskip(NEXT) | instid1(VALU_DEP_1)
	v_div_scale_f32 v91, null, v90, v90, 1.0
	v_rcp_f32_e32 v92, v91
	s_waitcnt_depctr 0xfff
	v_fma_f32 v93, -v91, v92, 1.0
	s_delay_alu instid0(VALU_DEP_1) | instskip(SKIP_1) | instid1(VALU_DEP_2)
	v_dual_fmac_f32 v92, v93, v92 :: v_dual_cndmask_b32 v93, v100, v99
	v_cmp_eq_u32_e32 vcc_lo, 3, v66
	v_cndmask_b32_e64 v93, v93, v101, s3
	v_cmp_eq_u32_e64 s3, 4, v66
	s_delay_alu instid0(VALU_DEP_2) | instskip(SKIP_1) | instid1(VALU_DEP_2)
	v_cndmask_b32_e32 v93, v93, v102, vcc_lo
	v_cmp_eq_u32_e32 vcc_lo, 5, v66
	v_cndmask_b32_e64 v93, v93, v97, s3
	v_cmp_eq_u32_e64 s3, 6, v66
	s_delay_alu instid0(VALU_DEP_2) | instskip(SKIP_1) | instid1(VALU_DEP_1)
	v_cndmask_b32_e32 v93, v93, v95, vcc_lo
	v_div_scale_f32 v94, s4, 1.0, v90, 1.0
	s_mov_b32 vcc_lo, s4
	s_delay_alu instid0(VALU_DEP_2) | instskip(NEXT) | instid1(VALU_DEP_2)
	v_cndmask_b32_e64 v82, v93, v82, s3
	v_mul_f32_e32 v96, v94, v92
	s_mov_b32 s3, exec_lo
	s_delay_alu instid0(VALU_DEP_2) | instskip(NEXT) | instid1(VALU_DEP_2)
	v_cndmask_b32_e64 v82, v82, v89, s5
	v_fma_f32 v98, -v91, v96, v94
	s_delay_alu instid0(VALU_DEP_1) | instskip(NEXT) | instid1(VALU_DEP_1)
	v_fmac_f32_e32 v96, v98, v92
	v_fma_f32 v91, -v91, v96, v94
	s_delay_alu instid0(VALU_DEP_1) | instskip(NEXT) | instid1(VALU_DEP_1)
	v_div_fmas_f32 v91, v91, v92, v96
	v_div_fixup_f32 v90, v91, v90, 1.0
	s_delay_alu instid0(VALU_DEP_1) | instskip(NEXT) | instid1(VALU_DEP_1)
	v_mul_f32_e32 v82, v82, v90
	v_mul_f32_e32 v87, v82, v87
	;; [unrolled: 1-line block ×7, first 2 shown]
	v_dual_mul_f32 v86, v82, v83 :: v_dual_and_b32 v91, 0x7f800000, v90
	v_mul_f32_e32 v85, v82, v76
                                        ; implicit-def: $vgpr76
	s_delay_alu instid0(VALU_DEP_2)
	v_cmpx_ne_u32_e32 0x7f800000, v91
	s_xor_b32 s3, exec_lo, s3
; %bb.13:
	v_bfe_u32 v76, v90, 16, 1
	s_delay_alu instid0(VALU_DEP_1)
	v_add3_u32 v76, v90, v76, 0x7fff
                                        ; implicit-def: $vgpr90
; %bb.14:
	s_and_not1_saveexec_b32 s3, s3
; %bb.15:
	v_and_b32_e32 v76, 0xffff, v90
	v_or_b32_e32 v83, 0x10000, v90
	s_delay_alu instid0(VALU_DEP_2) | instskip(NEXT) | instid1(VALU_DEP_2)
	v_cmp_eq_u32_e32 vcc_lo, 0, v76
	v_cndmask_b32_e32 v76, v83, v90, vcc_lo
; %bb.16:
	s_or_b32 exec_lo, exec_lo, s3
	v_and_b32_e32 v83, 0x7f800000, v85
	s_delay_alu instid0(VALU_DEP_1) | instskip(SKIP_1) | instid1(SALU_CYCLE_1)
	v_cmp_ne_u32_e32 vcc_lo, 0x7f800000, v83
                                        ; implicit-def: $vgpr83
	s_and_saveexec_b32 s3, vcc_lo
	s_xor_b32 s3, exec_lo, s3
; %bb.17:
	v_bfe_u32 v83, v85, 16, 1
	s_delay_alu instid0(VALU_DEP_1)
	v_add3_u32 v83, v85, v83, 0x7fff
                                        ; implicit-def: $vgpr85
; %bb.18:
	s_and_not1_saveexec_b32 s3, s3
; %bb.19:
	v_and_b32_e32 v83, 0xffff, v85
	v_or_b32_e32 v90, 0x10000, v85
	s_delay_alu instid0(VALU_DEP_2) | instskip(NEXT) | instid1(VALU_DEP_2)
	v_cmp_eq_u32_e32 vcc_lo, 0, v83
	v_cndmask_b32_e32 v83, v90, v85, vcc_lo
; %bb.20:
	s_or_b32 exec_lo, exec_lo, s3
	v_and_b32_e32 v85, 0x7f800000, v86
	s_delay_alu instid0(VALU_DEP_1) | instskip(SKIP_1) | instid1(SALU_CYCLE_1)
	v_cmp_ne_u32_e32 vcc_lo, 0x7f800000, v85
                                        ; implicit-def: $vgpr85
	s_and_saveexec_b32 s3, vcc_lo
	s_xor_b32 s3, exec_lo, s3
; %bb.21:
	v_bfe_u32 v85, v86, 16, 1
	s_delay_alu instid0(VALU_DEP_1)
	v_add3_u32 v85, v86, v85, 0x7fff
                                        ; implicit-def: $vgpr86
; %bb.22:
	s_and_not1_saveexec_b32 s3, s3
; %bb.23:
	v_and_b32_e32 v85, 0xffff, v86
	v_or_b32_e32 v90, 0x10000, v86
	s_delay_alu instid0(VALU_DEP_2) | instskip(NEXT) | instid1(VALU_DEP_2)
	v_cmp_eq_u32_e32 vcc_lo, 0, v85
	v_cndmask_b32_e32 v85, v90, v86, vcc_lo
; %bb.24:
	s_or_b32 exec_lo, exec_lo, s3
	v_and_b32_e32 v86, 0x7f800000, v89
	s_delay_alu instid0(VALU_DEP_1) | instskip(SKIP_1) | instid1(SALU_CYCLE_1)
	v_cmp_ne_u32_e32 vcc_lo, 0x7f800000, v86
                                        ; implicit-def: $vgpr86
	s_and_saveexec_b32 s3, vcc_lo
	s_xor_b32 s3, exec_lo, s3
; %bb.25:
	v_bfe_u32 v86, v89, 16, 1
	s_delay_alu instid0(VALU_DEP_1)
	v_add3_u32 v86, v89, v86, 0x7fff
                                        ; implicit-def: $vgpr89
; %bb.26:
	s_and_not1_saveexec_b32 s3, s3
; %bb.27:
	v_and_b32_e32 v86, 0xffff, v89
	v_or_b32_e32 v90, 0x10000, v89
	s_delay_alu instid0(VALU_DEP_2) | instskip(NEXT) | instid1(VALU_DEP_2)
	v_cmp_eq_u32_e32 vcc_lo, 0, v86
	v_cndmask_b32_e32 v86, v90, v89, vcc_lo
; %bb.28:
	s_or_b32 exec_lo, exec_lo, s3
	v_and_b32_e32 v89, 0x7f800000, v88
	s_delay_alu instid0(VALU_DEP_1) | instskip(SKIP_1) | instid1(SALU_CYCLE_1)
	v_cmp_ne_u32_e32 vcc_lo, 0x7f800000, v89
                                        ; implicit-def: $vgpr89
	s_and_saveexec_b32 s3, vcc_lo
	s_xor_b32 s3, exec_lo, s3
; %bb.29:
	v_bfe_u32 v89, v88, 16, 1
	s_delay_alu instid0(VALU_DEP_1)
	v_add3_u32 v89, v88, v89, 0x7fff
                                        ; implicit-def: $vgpr88
; %bb.30:
	s_and_not1_saveexec_b32 s3, s3
; %bb.31:
	v_and_b32_e32 v89, 0xffff, v88
	v_or_b32_e32 v90, 0x10000, v88
	s_delay_alu instid0(VALU_DEP_2) | instskip(NEXT) | instid1(VALU_DEP_2)
	v_cmp_eq_u32_e32 vcc_lo, 0, v89
	v_cndmask_b32_e32 v89, v90, v88, vcc_lo
; %bb.32:
	s_or_b32 exec_lo, exec_lo, s3
	v_and_b32_e32 v88, 0x7f800000, v87
	s_delay_alu instid0(VALU_DEP_1) | instskip(SKIP_1) | instid1(SALU_CYCLE_1)
	v_cmp_ne_u32_e32 vcc_lo, 0x7f800000, v88
                                        ; implicit-def: $vgpr88
	s_and_saveexec_b32 s3, vcc_lo
	s_xor_b32 s3, exec_lo, s3
; %bb.33:
	v_bfe_u32 v88, v87, 16, 1
	s_delay_alu instid0(VALU_DEP_1)
	v_add3_u32 v88, v87, v88, 0x7fff
                                        ; implicit-def: $vgpr87
; %bb.34:
	s_and_not1_saveexec_b32 s3, s3
; %bb.35:
	v_and_b32_e32 v88, 0xffff, v87
	v_or_b32_e32 v90, 0x10000, v87
	s_delay_alu instid0(VALU_DEP_2) | instskip(NEXT) | instid1(VALU_DEP_2)
	v_cmp_eq_u32_e32 vcc_lo, 0, v88
	v_cndmask_b32_e32 v88, v90, v87, vcc_lo
; %bb.36:
	s_or_b32 exec_lo, exec_lo, s3
	v_and_b32_e32 v87, 0x7f800000, v84
	s_delay_alu instid0(VALU_DEP_1) | instskip(SKIP_1) | instid1(SALU_CYCLE_1)
	v_cmp_ne_u32_e32 vcc_lo, 0x7f800000, v87
                                        ; implicit-def: $vgpr87
	s_and_saveexec_b32 s3, vcc_lo
	s_xor_b32 s3, exec_lo, s3
; %bb.37:
	v_bfe_u32 v87, v84, 16, 1
	s_delay_alu instid0(VALU_DEP_1)
	v_add3_u32 v87, v84, v87, 0x7fff
                                        ; implicit-def: $vgpr84
; %bb.38:
	s_and_not1_saveexec_b32 s3, s3
; %bb.39:
	v_and_b32_e32 v87, 0xffff, v84
	v_or_b32_e32 v90, 0x10000, v84
	s_delay_alu instid0(VALU_DEP_2) | instskip(NEXT) | instid1(VALU_DEP_2)
	v_cmp_eq_u32_e32 vcc_lo, 0, v87
	v_cndmask_b32_e32 v87, v90, v84, vcc_lo
; %bb.40:
	s_or_b32 exec_lo, exec_lo, s3
	v_and_b32_e32 v84, 0x7f800000, v80
	s_delay_alu instid0(VALU_DEP_1) | instskip(SKIP_1) | instid1(SALU_CYCLE_1)
	v_cmp_ne_u32_e32 vcc_lo, 0x7f800000, v84
                                        ; implicit-def: $vgpr84
	s_and_saveexec_b32 s3, vcc_lo
	s_xor_b32 s3, exec_lo, s3
; %bb.41:
	v_bfe_u32 v84, v80, 16, 1
	s_delay_alu instid0(VALU_DEP_1)
	v_add3_u32 v84, v80, v84, 0x7fff
                                        ; implicit-def: $vgpr80
; %bb.42:
	s_and_not1_saveexec_b32 s3, s3
; %bb.43:
	v_and_b32_e32 v84, 0xffff, v80
	v_or_b32_e32 v90, 0x10000, v80
	s_delay_alu instid0(VALU_DEP_2) | instskip(NEXT) | instid1(VALU_DEP_2)
	v_cmp_eq_u32_e32 vcc_lo, 0, v84
	v_cndmask_b32_e32 v84, v90, v80, vcc_lo
; %bb.44:
	s_or_b32 exec_lo, exec_lo, s3
	s_load_b64 s[34:35], s[0:1], 0x94
	v_lshlrev_b32_e32 v91, 4, v74
	s_delay_alu instid0(VALU_DEP_2)
	v_perm_b32 v90, v84, v87, 0x7060302
	v_dual_mul_f32 v79, v82, v79 :: v_dual_lshlrev_b32 v80, 6, v65
	v_dual_mul_f32 v77, v82, v77 :: v_dual_lshlrev_b32 v92, 11, v66
	v_mul_f32_e32 v84, v82, v70
	v_perm_b32 v89, v88, v89, 0x7060302
	v_perm_b32 v88, v86, v85, 0x7060302
	;; [unrolled: 1-line block ×3, first 2 shown]
	v_mul_f32_e32 v70, v82, v81
	v_or3_b32 v76, v91, v92, v80
	v_dual_mul_f32 v78, v82, v78 :: v_dual_and_b32 v85, 0x7f800000, v84
	v_mul_f32_e32 v83, v82, v72
	v_mul_f32_e32 v81, v82, v71
	;; [unrolled: 1-line block ×3, first 2 shown]
	s_mov_b32 s3, exec_lo
	ds_store_b128 v76, v[87:90]
                                        ; implicit-def: $vgpr69
	v_cmpx_ne_u32_e32 0x7f800000, v85
	s_xor_b32 s3, exec_lo, s3
; %bb.45:
	v_bfe_u32 v69, v84, 16, 1
	s_delay_alu instid0(VALU_DEP_1)
	v_add3_u32 v69, v84, v69, 0x7fff
                                        ; implicit-def: $vgpr84
; %bb.46:
	s_and_not1_saveexec_b32 s3, s3
; %bb.47:
	v_and_b32_e32 v69, 0xffff, v84
	v_or_b32_e32 v71, 0x10000, v84
	s_delay_alu instid0(VALU_DEP_2) | instskip(NEXT) | instid1(VALU_DEP_2)
	v_cmp_eq_u32_e32 vcc_lo, 0, v69
	v_cndmask_b32_e32 v69, v71, v84, vcc_lo
; %bb.48:
	s_or_b32 exec_lo, exec_lo, s3
	v_and_b32_e32 v71, 0x7f800000, v72
	s_delay_alu instid0(VALU_DEP_1) | instskip(SKIP_1) | instid1(SALU_CYCLE_1)
	v_cmp_ne_u32_e32 vcc_lo, 0x7f800000, v71
                                        ; implicit-def: $vgpr71
	s_and_saveexec_b32 s3, vcc_lo
	s_xor_b32 s3, exec_lo, s3
; %bb.49:
	v_bfe_u32 v71, v72, 16, 1
	s_delay_alu instid0(VALU_DEP_1)
	v_add3_u32 v71, v72, v71, 0x7fff
                                        ; implicit-def: $vgpr72
; %bb.50:
	s_and_not1_saveexec_b32 s3, s3
; %bb.51:
	v_and_b32_e32 v71, 0xffff, v72
	v_or_b32_e32 v82, 0x10000, v72
	s_delay_alu instid0(VALU_DEP_2) | instskip(NEXT) | instid1(VALU_DEP_2)
	v_cmp_eq_u32_e32 vcc_lo, 0, v71
	v_cndmask_b32_e32 v71, v82, v72, vcc_lo
; %bb.52:
	s_or_b32 exec_lo, exec_lo, s3
	v_and_b32_e32 v72, 0x7f800000, v81
	s_delay_alu instid0(VALU_DEP_1) | instskip(SKIP_1) | instid1(SALU_CYCLE_1)
	v_cmp_ne_u32_e32 vcc_lo, 0x7f800000, v72
                                        ; implicit-def: $vgpr72
	s_and_saveexec_b32 s3, vcc_lo
	s_xor_b32 s3, exec_lo, s3
; %bb.53:
	v_bfe_u32 v72, v81, 16, 1
	s_delay_alu instid0(VALU_DEP_1)
	v_add3_u32 v72, v81, v72, 0x7fff
                                        ; implicit-def: $vgpr81
; %bb.54:
	s_and_not1_saveexec_b32 s3, s3
; %bb.55:
	v_and_b32_e32 v72, 0xffff, v81
	v_or_b32_e32 v82, 0x10000, v81
	s_delay_alu instid0(VALU_DEP_2) | instskip(NEXT) | instid1(VALU_DEP_2)
	v_cmp_eq_u32_e32 vcc_lo, 0, v72
	v_cndmask_b32_e32 v72, v82, v81, vcc_lo
; %bb.56:
	s_or_b32 exec_lo, exec_lo, s3
	v_and_b32_e32 v81, 0x7f800000, v83
	s_delay_alu instid0(VALU_DEP_1) | instskip(SKIP_1) | instid1(SALU_CYCLE_1)
	v_cmp_ne_u32_e32 vcc_lo, 0x7f800000, v81
                                        ; implicit-def: $vgpr81
	s_and_saveexec_b32 s3, vcc_lo
	s_xor_b32 s3, exec_lo, s3
; %bb.57:
	v_bfe_u32 v81, v83, 16, 1
	s_delay_alu instid0(VALU_DEP_1)
	v_add3_u32 v81, v83, v81, 0x7fff
                                        ; implicit-def: $vgpr83
; %bb.58:
	s_and_not1_saveexec_b32 s3, s3
; %bb.59:
	v_and_b32_e32 v81, 0xffff, v83
	v_or_b32_e32 v82, 0x10000, v83
	s_delay_alu instid0(VALU_DEP_2) | instskip(NEXT) | instid1(VALU_DEP_2)
	v_cmp_eq_u32_e32 vcc_lo, 0, v81
	v_cndmask_b32_e32 v81, v82, v83, vcc_lo
; %bb.60:
	s_or_b32 exec_lo, exec_lo, s3
	v_and_b32_e32 v82, 0x7f800000, v77
	s_delay_alu instid0(VALU_DEP_1) | instskip(SKIP_1) | instid1(SALU_CYCLE_1)
	v_cmp_ne_u32_e32 vcc_lo, 0x7f800000, v82
                                        ; implicit-def: $vgpr82
	s_and_saveexec_b32 s3, vcc_lo
	s_xor_b32 s3, exec_lo, s3
; %bb.61:
	v_bfe_u32 v82, v77, 16, 1
	s_delay_alu instid0(VALU_DEP_1)
	v_add3_u32 v82, v77, v82, 0x7fff
                                        ; implicit-def: $vgpr77
; %bb.62:
	s_and_not1_saveexec_b32 s3, s3
; %bb.63:
	v_and_b32_e32 v82, 0xffff, v77
	v_or_b32_e32 v83, 0x10000, v77
	s_delay_alu instid0(VALU_DEP_2) | instskip(NEXT) | instid1(VALU_DEP_2)
	v_cmp_eq_u32_e32 vcc_lo, 0, v82
	v_cndmask_b32_e32 v82, v83, v77, vcc_lo
; %bb.64:
	s_or_b32 exec_lo, exec_lo, s3
	v_and_b32_e32 v77, 0x7f800000, v78
	s_delay_alu instid0(VALU_DEP_1) | instskip(SKIP_1) | instid1(SALU_CYCLE_1)
	v_cmp_ne_u32_e32 vcc_lo, 0x7f800000, v77
                                        ; implicit-def: $vgpr77
	s_and_saveexec_b32 s3, vcc_lo
	s_xor_b32 s3, exec_lo, s3
; %bb.65:
	v_bfe_u32 v77, v78, 16, 1
	s_delay_alu instid0(VALU_DEP_1)
	v_add3_u32 v77, v78, v77, 0x7fff
                                        ; implicit-def: $vgpr78
; %bb.66:
	s_and_not1_saveexec_b32 s3, s3
; %bb.67:
	v_and_b32_e32 v77, 0xffff, v78
	v_or_b32_e32 v83, 0x10000, v78
	s_delay_alu instid0(VALU_DEP_2) | instskip(NEXT) | instid1(VALU_DEP_2)
	v_cmp_eq_u32_e32 vcc_lo, 0, v77
	v_cndmask_b32_e32 v77, v83, v78, vcc_lo
; %bb.68:
	s_or_b32 exec_lo, exec_lo, s3
	v_and_b32_e32 v78, 0x7f800000, v79
	s_delay_alu instid0(VALU_DEP_1) | instskip(SKIP_1) | instid1(SALU_CYCLE_1)
	v_cmp_ne_u32_e32 vcc_lo, 0x7f800000, v78
                                        ; implicit-def: $vgpr78
	s_and_saveexec_b32 s3, vcc_lo
	s_xor_b32 s3, exec_lo, s3
; %bb.69:
	v_bfe_u32 v78, v79, 16, 1
	s_delay_alu instid0(VALU_DEP_1)
	v_add3_u32 v78, v79, v78, 0x7fff
                                        ; implicit-def: $vgpr79
; %bb.70:
	s_and_not1_saveexec_b32 s3, s3
; %bb.71:
	v_and_b32_e32 v78, 0xffff, v79
	v_or_b32_e32 v83, 0x10000, v79
	s_delay_alu instid0(VALU_DEP_2) | instskip(NEXT) | instid1(VALU_DEP_2)
	v_cmp_eq_u32_e32 vcc_lo, 0, v78
	v_cndmask_b32_e32 v78, v83, v79, vcc_lo
; %bb.72:
	s_or_b32 exec_lo, exec_lo, s3
	v_and_b32_e32 v79, 0x7f800000, v70
	s_delay_alu instid0(VALU_DEP_1) | instskip(SKIP_1) | instid1(SALU_CYCLE_1)
	v_cmp_ne_u32_e32 vcc_lo, 0x7f800000, v79
                                        ; implicit-def: $vgpr79
	s_and_saveexec_b32 s3, vcc_lo
	s_xor_b32 s3, exec_lo, s3
; %bb.73:
	v_bfe_u32 v79, v70, 16, 1
	s_delay_alu instid0(VALU_DEP_1)
	v_add3_u32 v79, v70, v79, 0x7fff
                                        ; implicit-def: $vgpr70
; %bb.74:
	s_and_not1_saveexec_b32 s3, s3
; %bb.75:
	v_and_b32_e32 v79, 0xffff, v70
	v_or_b32_e32 v83, 0x10000, v70
	s_delay_alu instid0(VALU_DEP_2) | instskip(NEXT) | instid1(VALU_DEP_2)
	v_cmp_eq_u32_e32 vcc_lo, 0, v79
	v_cndmask_b32_e32 v79, v83, v70, vcc_lo
; %bb.76:
	s_or_b32 exec_lo, exec_lo, s3
	s_delay_alu instid0(VALU_DEP_1)
	v_perm_b32 v86, v79, v78, 0x7060302
	v_perm_b32 v85, v77, v82, 0x7060302
	;; [unrolled: 1-line block ×4, first 2 shown]
	v_lshl_or_b32 v82, v66, 11, v80
	ds_store_b128 v76, v[83:86] offset:1024
	s_waitcnt lgkmcnt(0)
	s_barrier
	buffer_gl0_inv
	ds_load_b128 v[69:72], v82
	ds_load_b128 v[83:86], v82 offset:16
	s_waitcnt lgkmcnt(1)
	v_lshrrev_b32_e32 v66, 16, v69
	s_waitcnt lgkmcnt(0)
	v_lshrrev_b32_e32 v91, 16, v83
	v_lshlrev_b32_e32 v78, 2, v74
	v_lshrrev_b32_e32 v95, 16, v70
	v_lshrrev_b32_e32 v98, 16, v84
	;; [unrolled: 1-line block ×4, first 2 shown]
	v_cmp_eq_u32_e32 vcc_lo, 1, v78
	v_lshrrev_b32_e32 v97, 16, v72
	v_lshrrev_b32_e32 v100, 16, v86
	v_cndmask_b32_e32 v87, v83, v91, vcc_lo
	v_or_b32_e32 v79, 1, v78
	v_cndmask_b32_e32 v81, v69, v66, vcc_lo
	v_cmp_eq_u32_e64 s4, 2, v78
	v_cmp_eq_u32_e64 s7, 3, v78
	;; [unrolled: 1-line block ×5, first 2 shown]
	v_cndmask_b32_e64 v81, v81, v70, s4
	v_cndmask_b32_e64 v87, v87, v84, s4
	v_cmp_eq_u32_e64 s8, 3, v79
	v_cndmask_b32_e64 v88, v69, v66, s3
	v_or_b32_e32 v77, 2, v78
	v_cndmask_b32_e64 v81, v81, v95, s7
	v_cndmask_b32_e64 v87, v87, v98, s7
	v_cndmask_b32_e64 v89, v83, v91, s3
	v_cndmask_b32_e64 v88, v88, v70, s6
	v_cmp_eq_u32_e64 s10, 5, v78
	v_cndmask_b32_e64 v81, v81, v71, s9
	v_cndmask_b32_e64 v87, v87, v85, s9
	v_cmp_eq_u32_e64 s11, 4, v79
	v_cndmask_b32_e64 v88, v88, v95, s8
	v_cmp_eq_u32_e64 s5, 1, v77
	v_cndmask_b32_e64 v89, v89, v84, s6
	v_cndmask_b32_e64 v81, v81, v96, s10
	v_cmp_eq_u32_e64 s12, 6, v78
	v_cndmask_b32_e64 v88, v88, v71, s11
	;; [unrolled: 3-line block ×3, first 2 shown]
	v_cndmask_b32_e64 v89, v89, v98, s8
	v_cndmask_b32_e64 v81, v81, v72, s12
	v_cmp_eq_u32_e64 s15, 7, v78
	v_cndmask_b32_e64 v88, v88, v96, s13
	v_cndmask_b32_e64 v87, v87, v86, s12
	v_cmp_eq_u32_e64 s16, 6, v79
	v_cmp_eq_u32_e64 s17, 2, v77
	v_cndmask_b32_e64 v89, v89, v85, s11
	v_cndmask_b32_e64 v101, v81, v97, s15
	;; [unrolled: 1-line block ×6, first 2 shown]
	v_cmp_eq_u32_e64 s18, 7, v79
	v_cmp_eq_u32_e64 s19, 3, v77
	v_cmp_eq_u32_e64 s20, 4, v77
	v_cmp_eq_u32_e64 s22, 5, v77
	v_cndmask_b32_e64 v87, v87, v84, s17
	v_cndmask_b32_e64 v103, v88, v97, s18
	;; [unrolled: 1-line block ×4, first 2 shown]
	v_or_b32_e32 v81, 3, v78
	v_cndmask_b32_e64 v93, v87, v98, s19
	v_cmp_eq_u32_e64 s24, 6, v77
	v_cndmask_b32_e64 v104, v88, v86, s16
	v_cndmask_b32_e64 v92, v89, v71, s20
	v_cmp_eq_u32_e64 s21, 1, v81
	ds_load_b128 v[87:90], v82 offset:1024
	v_cmp_eq_u32_e64 s23, 2, v81
	v_cmp_eq_u32_e64 s25, 3, v81
	v_cndmask_b32_e64 v105, v92, v96, s22
	v_cndmask_b32_e64 v66, v69, v66, s21
	v_cndmask_b32_e64 v69, v93, v85, s20
	v_cndmask_b32_e64 v83, v83, v91, s21
	ds_load_b128 v[91:94], v82 offset:1040
	v_cmp_eq_u32_e64 s26, 4, v81
	v_cndmask_b32_e64 v66, v66, v70, s23
	v_cmp_eq_u32_e64 s27, 7, v77
	v_cndmask_b32_e64 v70, v83, v84, s23
	v_cndmask_b32_e64 v84, v105, v72, s24
	v_cmp_eq_u32_e64 s28, 5, v81
	v_cndmask_b32_e64 v66, v66, v95, s25
	v_cmp_eq_u32_e64 s29, 6, v81
	v_cndmask_b32_e64 v70, v70, v98, s25
	v_cndmask_b32_e64 v69, v69, v99, s22
	;; [unrolled: 1-line block ×4, first 2 shown]
	s_waitcnt lgkmcnt(1)
	v_lshrrev_b32_e32 v95, 16, v87
	v_cndmask_b32_e64 v70, v70, v85, s26
	v_cndmask_b32_e64 v71, v84, v97, s27
	;; [unrolled: 1-line block ×4, first 2 shown]
	v_cndmask_b32_e32 v84, v87, v95, vcc_lo
	v_cndmask_b32_e64 v70, v70, v99, s28
	s_waitcnt lgkmcnt(0)
	v_lshrrev_b32_e32 v85, 16, v91
	v_lshrrev_b32_e32 v96, 16, v88
	v_cndmask_b32_e64 v98, v87, v95, s3
	v_cndmask_b32_e64 v84, v84, v88, s4
	;; [unrolled: 1-line block ×3, first 2 shown]
	v_cndmask_b32_e32 v99, v91, v85, vcc_lo
	v_cmp_eq_u32_e32 vcc_lo, 7, v81
	v_cndmask_b32_e64 v66, v66, v72, s29
	v_cndmask_b32_e64 v72, v84, v96, s7
	;; [unrolled: 1-line block ×3, first 2 shown]
	v_lshrrev_b32_e32 v98, 16, v92
	v_cndmask_b32_e32 v70, v70, v100, vcc_lo
	v_cndmask_b32_e64 v86, v99, v92, s4
	v_cndmask_b32_e64 v69, v69, v100, s27
	v_lshrrev_b32_e32 v100, 16, v93
	v_cndmask_b32_e64 v72, v72, v89, s9
	v_lshrrev_b32_e32 v99, 16, v89
	v_cndmask_b32_e64 v86, v86, v98, s7
	v_perm_b32 v71, v69, v71, 0x5040100
	v_cndmask_b32_e64 v84, v84, v96, s8
	s_delay_alu instid0(VALU_DEP_3) | instskip(NEXT) | instid1(VALU_DEP_2)
	v_cndmask_b32_e64 v86, v86, v93, s9
	v_cndmask_b32_e64 v84, v84, v89, s11
	s_delay_alu instid0(VALU_DEP_2) | instskip(NEXT) | instid1(VALU_DEP_1)
	v_cndmask_b32_e64 v86, v86, v100, s10
	v_cndmask_b32_e64 v69, v86, v94, s12
	;; [unrolled: 1-line block ×5, first 2 shown]
	s_delay_alu instid0(VALU_DEP_3) | instskip(NEXT) | instid1(VALU_DEP_3)
	v_cndmask_b32_e64 v86, v86, v88, s17
	v_cndmask_b32_e64 v87, v87, v88, s23
	s_delay_alu instid0(VALU_DEP_3) | instskip(NEXT) | instid1(VALU_DEP_3)
	v_cndmask_b32_e64 v88, v95, v92, s23
	v_cndmask_b32_e64 v86, v86, v96, s19
	s_delay_alu instid0(VALU_DEP_3) | instskip(NEXT) | instid1(VALU_DEP_3)
	v_cndmask_b32_e64 v87, v87, v96, s25
	v_cndmask_b32_e64 v88, v88, v98, s25
	s_delay_alu instid0(VALU_DEP_3) | instskip(NEXT) | instid1(VALU_DEP_3)
	v_cndmask_b32_e64 v86, v86, v89, s20
	v_cndmask_b32_e64 v87, v87, v89, s26
	s_delay_alu instid0(VALU_DEP_3) | instskip(NEXT) | instid1(VALU_DEP_3)
	v_cndmask_b32_e64 v88, v88, v93, s26
	v_cndmask_b32_e64 v86, v86, v99, s22
	s_delay_alu instid0(VALU_DEP_3) | instskip(NEXT) | instid1(VALU_DEP_3)
	v_cndmask_b32_e64 v87, v87, v99, s28
	v_cndmask_b32_e64 v88, v88, v100, s28
	s_delay_alu instid0(VALU_DEP_3) | instskip(NEXT) | instid1(VALU_DEP_3)
	v_cndmask_b32_e64 v86, v86, v90, s24
	v_cndmask_b32_e64 v87, v87, v90, s29
	s_delay_alu instid0(VALU_DEP_3) | instskip(SKIP_2) | instid1(VALU_DEP_2)
	v_cndmask_b32_e64 v88, v88, v94, s29
	v_cndmask_b32_e32 v66, v66, v97, vcc_lo
	v_cndmask_b32_e64 v97, v72, v99, s10
	v_perm_b32 v72, v70, v66, 0x5040100
	v_perm_b32 v70, v83, v103, 0x5040100
	v_cndmask_b32_e64 v103, v91, v85, s5
	v_cndmask_b32_e64 v85, v91, v85, s3
	;; [unrolled: 1-line block ×4, first 2 shown]
	v_lshrrev_b32_e32 v97, 16, v90
	v_cndmask_b32_e64 v91, v103, v92, s17
	v_cndmask_b32_e64 v85, v85, v92, s6
	;; [unrolled: 1-line block ×3, first 2 shown]
	s_mov_b32 s3, exec_lo
	v_cndmask_b32_e64 v83, v84, v97, s15
	v_cndmask_b32_e64 v91, v91, v98, s19
	;; [unrolled: 1-line block ×3, first 2 shown]
	v_lshrrev_b32_e32 v84, 16, v94
	v_cndmask_b32_e64 v66, v66, v97, s18
	v_cndmask_b32_e64 v90, v86, v97, s27
	;; [unrolled: 1-line block ×4, first 2 shown]
	v_dual_cndmask_b32 v86, v87, v97 :: v_dual_cndmask_b32 v87, v88, v84
	v_cndmask_b32_e64 v91, v69, v84, s15
	s_delay_alu instid0(VALU_DEP_4) | instskip(NEXT) | instid1(VALU_DEP_4)
	v_cndmask_b32_e64 v89, v89, v100, s22
	v_cndmask_b32_e64 v85, v85, v100, s13
	v_perm_b32 v69, v102, v101, 0x5040100
	v_perm_b32 v86, v87, v86, 0x5040100
	;; [unrolled: 1-line block ×3, first 2 shown]
	v_cndmask_b32_e64 v89, v89, v94, s24
	v_cndmask_b32_e64 v85, v85, v94, s16
	s_mul_i32 s8, s35, 6
	s_delay_alu instid0(VALU_DEP_2) | instskip(NEXT) | instid1(VALU_DEP_2)
	v_cndmask_b32_e64 v88, v89, v84, s27
	v_cndmask_b32_e64 v89, v85, v84, s18
	s_delay_alu instid0(VALU_DEP_2) | instskip(NEXT) | instid1(VALU_DEP_2)
	v_perm_b32 v85, v88, v90, 0x5040100
	v_perm_b32 v84, v89, v66, 0x5040100
	ds_store_b128 v76, v[69:72]
	ds_store_b128 v76, v[83:86] offset:1024
	v_cmpx_gt_u32_e32 6, v0
	s_cbranch_execz .LBB1763_78
; %bb.77:
	s_mul_i32 s4, s8, s30
	s_delay_alu instid0(SALU_CYCLE_1) | instskip(SKIP_1) | instid1(VALU_DEP_1)
	v_add3_u32 v69, s4, s31, v65
	s_load_b128 s[4:7], s[0:1], 0x58
	v_mad_u64_u32 v[65:66], null, v69, s34, s[14:15]
	s_delay_alu instid0(VALU_DEP_1) | instskip(NEXT) | instid1(VALU_DEP_1)
	v_ashrrev_i32_e32 v66, 31, v65
	v_lshlrev_b64 v[65:66], 2, v[65:66]
	s_waitcnt lgkmcnt(0)
	s_delay_alu instid0(VALU_DEP_1) | instskip(NEXT) | instid1(VALU_DEP_2)
	v_add_co_u32 v69, vcc_lo, s6, v65
	v_add_co_ci_u32_e32 v70, vcc_lo, s7, v66, vcc_lo
	v_add_co_u32 v65, vcc_lo, s4, v65
	v_add_co_ci_u32_e32 v66, vcc_lo, s5, v66, vcc_lo
	global_store_b32 v[69:70], v67, off
	global_store_b32 v[65:66], v68, off
.LBB1763_78:
	s_or_b32 exec_lo, exec_lo, s3
	s_waitcnt lgkmcnt(0)
	s_waitcnt_vscnt null, 0x0
	s_barrier
	buffer_gl0_inv
	ds_load_b128 v[83:86], v80
	ds_load_b128 v[87:90], v80 offset:16
	ds_load_b128 v[95:98], v80 offset:2064
	;; [unrolled: 1-line block ×3, first 2 shown]
	v_mov_b32_e32 v65, 0
	ds_load_b128 v[103:106], v80 offset:4112
	ds_load_b128 v[99:102], v80 offset:4096
	;; [unrolled: 1-line block ×4, first 2 shown]
	v_mov_b32_e32 v66, v65
	v_mov_b32_e32 v67, v65
	;; [unrolled: 1-line block ×7, first 2 shown]
	s_waitcnt lgkmcnt(6)
	s_delay_alu instid0(VALU_DEP_1)
	v_wmma_f32_16x16x16_bf16 v[65:72], v[57:64], v[83:90], v[65:72]
	ds_load_b128 v[61:64], v80 offset:8208
	ds_load_b128 v[57:60], v80 offset:8192
	s_waitcnt lgkmcnt(6)
	v_wmma_f32_16x16x16_bf16 v[65:72], v[41:48], v[91:98], v[65:72]
	ds_load_b128 v[45:48], v80 offset:10256
	ds_load_b128 v[41:44], v80 offset:10240
	s_waitcnt lgkmcnt(6)
	;; [unrolled: 4-line block ×4, first 2 shown]
	v_wmma_f32_16x16x16_bf16 v[65:72], v[1:8], v[57:64], v[65:72]
	s_waitcnt lgkmcnt(4)
	s_delay_alu instid0(VALU_DEP_1) | instskip(SKIP_1) | instid1(VALU_DEP_1)
	v_wmma_f32_16x16x16_bf16 v[65:72], v[9:16], v[41:48], v[65:72]
	s_waitcnt lgkmcnt(2)
	v_wmma_f32_16x16x16_bf16 v[65:72], v[17:24], v[33:40], v[65:72]
	s_waitcnt lgkmcnt(0)
	s_delay_alu instid0(VALU_DEP_1) | instskip(NEXT) | instid1(VALU_DEP_1)
	v_wmma_f32_16x16x16_bf16 v[65:72], v[49:56], v[25:32], v[65:72]
	v_and_b32_e32 v1, 0x7f800000, v65
	s_delay_alu instid0(VALU_DEP_1) | instskip(SKIP_1) | instid1(SALU_CYCLE_1)
	v_cmp_ne_u32_e32 vcc_lo, 0x7f800000, v1
                                        ; implicit-def: $vgpr1
	s_and_saveexec_b32 s3, vcc_lo
	s_xor_b32 s3, exec_lo, s3
; %bb.79:
	v_bfe_u32 v1, v65, 16, 1
	s_delay_alu instid0(VALU_DEP_1)
	v_add3_u32 v1, v65, v1, 0x7fff
; %bb.80:
	s_and_not1_saveexec_b32 s3, s3
; %bb.81:
	v_and_b32_e32 v1, 0xffff, v65
	v_or_b32_e32 v2, 0x10000, v65
	s_delay_alu instid0(VALU_DEP_2) | instskip(NEXT) | instid1(VALU_DEP_2)
	v_cmp_eq_u32_e32 vcc_lo, 0, v1
	v_cndmask_b32_e32 v1, v2, v65, vcc_lo
; %bb.82:
	s_or_b32 exec_lo, exec_lo, s3
	v_and_b32_e32 v2, 0x7f800000, v66
	s_delay_alu instid0(VALU_DEP_1) | instskip(SKIP_1) | instid1(SALU_CYCLE_1)
	v_cmp_ne_u32_e32 vcc_lo, 0x7f800000, v2
                                        ; implicit-def: $vgpr2
	s_and_saveexec_b32 s3, vcc_lo
	s_xor_b32 s3, exec_lo, s3
; %bb.83:
	v_bfe_u32 v2, v66, 16, 1
	s_delay_alu instid0(VALU_DEP_1)
	v_add3_u32 v2, v66, v2, 0x7fff
; %bb.84:
	s_and_not1_saveexec_b32 s3, s3
; %bb.85:
	v_and_b32_e32 v2, 0xffff, v66
	v_or_b32_e32 v3, 0x10000, v66
	s_delay_alu instid0(VALU_DEP_2) | instskip(NEXT) | instid1(VALU_DEP_2)
	v_cmp_eq_u32_e32 vcc_lo, 0, v2
	v_cndmask_b32_e32 v2, v3, v66, vcc_lo
; %bb.86:
	s_or_b32 exec_lo, exec_lo, s3
	v_and_b32_e32 v3, 0x7f800000, v67
	s_delay_alu instid0(VALU_DEP_1) | instskip(SKIP_1) | instid1(SALU_CYCLE_1)
	v_cmp_ne_u32_e32 vcc_lo, 0x7f800000, v3
                                        ; implicit-def: $vgpr3
	s_and_saveexec_b32 s3, vcc_lo
	s_xor_b32 s3, exec_lo, s3
; %bb.87:
	v_bfe_u32 v3, v67, 16, 1
	s_delay_alu instid0(VALU_DEP_1)
	v_add3_u32 v3, v67, v3, 0x7fff
; %bb.88:
	s_and_not1_saveexec_b32 s3, s3
; %bb.89:
	v_and_b32_e32 v3, 0xffff, v67
	v_or_b32_e32 v4, 0x10000, v67
	s_delay_alu instid0(VALU_DEP_2) | instskip(NEXT) | instid1(VALU_DEP_2)
	v_cmp_eq_u32_e32 vcc_lo, 0, v3
	v_cndmask_b32_e32 v3, v4, v67, vcc_lo
; %bb.90:
	s_or_b32 exec_lo, exec_lo, s3
	v_and_b32_e32 v4, 0x7f800000, v68
	s_delay_alu instid0(VALU_DEP_1) | instskip(SKIP_1) | instid1(SALU_CYCLE_1)
	v_cmp_ne_u32_e32 vcc_lo, 0x7f800000, v4
                                        ; implicit-def: $vgpr4
	s_and_saveexec_b32 s3, vcc_lo
	s_xor_b32 s3, exec_lo, s3
; %bb.91:
	v_bfe_u32 v4, v68, 16, 1
	s_delay_alu instid0(VALU_DEP_1)
	v_add3_u32 v4, v68, v4, 0x7fff
; %bb.92:
	s_and_not1_saveexec_b32 s3, s3
; %bb.93:
	v_and_b32_e32 v4, 0xffff, v68
	v_or_b32_e32 v5, 0x10000, v68
	s_delay_alu instid0(VALU_DEP_2) | instskip(NEXT) | instid1(VALU_DEP_2)
	v_cmp_eq_u32_e32 vcc_lo, 0, v4
	v_cndmask_b32_e32 v4, v5, v68, vcc_lo
; %bb.94:
	s_or_b32 exec_lo, exec_lo, s3
	v_and_b32_e32 v5, 0x7f800000, v69
	s_delay_alu instid0(VALU_DEP_1) | instskip(SKIP_1) | instid1(SALU_CYCLE_1)
	v_cmp_ne_u32_e32 vcc_lo, 0x7f800000, v5
                                        ; implicit-def: $vgpr5
	s_and_saveexec_b32 s3, vcc_lo
	s_xor_b32 s3, exec_lo, s3
; %bb.95:
	v_bfe_u32 v5, v69, 16, 1
	s_delay_alu instid0(VALU_DEP_1)
	v_add3_u32 v5, v69, v5, 0x7fff
; %bb.96:
	s_and_not1_saveexec_b32 s3, s3
; %bb.97:
	v_and_b32_e32 v5, 0xffff, v69
	v_or_b32_e32 v6, 0x10000, v69
	s_delay_alu instid0(VALU_DEP_2) | instskip(NEXT) | instid1(VALU_DEP_2)
	v_cmp_eq_u32_e32 vcc_lo, 0, v5
	v_cndmask_b32_e32 v5, v6, v69, vcc_lo
; %bb.98:
	s_or_b32 exec_lo, exec_lo, s3
	v_and_b32_e32 v6, 0x7f800000, v70
	s_delay_alu instid0(VALU_DEP_1) | instskip(SKIP_1) | instid1(SALU_CYCLE_1)
	v_cmp_ne_u32_e32 vcc_lo, 0x7f800000, v6
                                        ; implicit-def: $vgpr6
	s_and_saveexec_b32 s3, vcc_lo
	s_xor_b32 s3, exec_lo, s3
; %bb.99:
	v_bfe_u32 v6, v70, 16, 1
	s_delay_alu instid0(VALU_DEP_1)
	v_add3_u32 v6, v70, v6, 0x7fff
; %bb.100:
	s_and_not1_saveexec_b32 s3, s3
; %bb.101:
	v_and_b32_e32 v6, 0xffff, v70
	v_or_b32_e32 v7, 0x10000, v70
	s_delay_alu instid0(VALU_DEP_2) | instskip(NEXT) | instid1(VALU_DEP_2)
	v_cmp_eq_u32_e32 vcc_lo, 0, v6
	v_cndmask_b32_e32 v6, v7, v70, vcc_lo
; %bb.102:
	s_or_b32 exec_lo, exec_lo, s3
	v_and_b32_e32 v7, 0x7f800000, v71
	s_delay_alu instid0(VALU_DEP_1) | instskip(SKIP_1) | instid1(SALU_CYCLE_1)
	v_cmp_ne_u32_e32 vcc_lo, 0x7f800000, v7
                                        ; implicit-def: $vgpr7
	s_and_saveexec_b32 s3, vcc_lo
	s_xor_b32 s3, exec_lo, s3
; %bb.103:
	v_bfe_u32 v7, v71, 16, 1
	s_delay_alu instid0(VALU_DEP_1)
	v_add3_u32 v7, v71, v7, 0x7fff
; %bb.104:
	s_and_not1_saveexec_b32 s3, s3
; %bb.105:
	v_and_b32_e32 v7, 0xffff, v71
	v_or_b32_e32 v8, 0x10000, v71
	s_delay_alu instid0(VALU_DEP_2) | instskip(NEXT) | instid1(VALU_DEP_2)
	v_cmp_eq_u32_e32 vcc_lo, 0, v7
	v_cndmask_b32_e32 v7, v8, v71, vcc_lo
; %bb.106:
	s_or_b32 exec_lo, exec_lo, s3
	v_and_b32_e32 v8, 0x7f800000, v72
	s_delay_alu instid0(VALU_DEP_1) | instskip(SKIP_1) | instid1(SALU_CYCLE_1)
	v_cmp_ne_u32_e32 vcc_lo, 0x7f800000, v8
                                        ; implicit-def: $vgpr8
	s_and_saveexec_b32 s3, vcc_lo
	s_xor_b32 s3, exec_lo, s3
; %bb.107:
	v_bfe_u32 v8, v72, 16, 1
	s_delay_alu instid0(VALU_DEP_1)
	v_add3_u32 v8, v72, v8, 0x7fff
                                        ; implicit-def: $vgpr65_vgpr66_vgpr67_vgpr68_vgpr69_vgpr70_vgpr71_vgpr72
; %bb.108:
	s_and_not1_saveexec_b32 s3, s3
; %bb.109:
	v_and_b32_e32 v8, 0xffff, v72
	v_or_b32_e32 v9, 0x10000, v72
	s_delay_alu instid0(VALU_DEP_2) | instskip(NEXT) | instid1(VALU_DEP_2)
	v_cmp_eq_u32_e32 vcc_lo, 0, v8
	v_cndmask_b32_e32 v8, v9, v72, vcc_lo
; %bb.110:
	s_or_b32 exec_lo, exec_lo, s3
	s_delay_alu instid0(VALU_DEP_1)
	v_perm_b32 v7, v8, v7, 0x7060302
	v_perm_b32 v6, v6, v5, 0x7060302
	;; [unrolled: 1-line block ×4, first 2 shown]
	s_barrier
	buffer_gl0_inv
	v_cmp_eq_u32_e32 vcc_lo, 1, v78
	ds_store_b128 v76, v[4:7]
	s_waitcnt lgkmcnt(0)
	s_barrier
	buffer_gl0_inv
	ds_load_b128 v[1:4], v82
	ds_load_b128 v[5:8], v82 offset:16
	v_cmp_eq_u32_e64 s3, 1, v79
	v_cmp_eq_u32_e64 s4, 2, v78
	;; [unrolled: 1-line block ×5, first 2 shown]
	s_waitcnt lgkmcnt(1)
	v_lshrrev_b32_e32 v9, 16, v1
	s_waitcnt lgkmcnt(0)
	v_lshrrev_b32_e32 v13, 16, v5
	v_lshrrev_b32_e32 v10, 16, v2
	;; [unrolled: 1-line block ×4, first 2 shown]
	v_cndmask_b32_e64 v19, v1, v9, s3
	v_cndmask_b32_e32 v18, v5, v13, vcc_lo
	v_cndmask_b32_e64 v20, v5, v13, s3
	v_cndmask_b32_e32 v17, v1, v9, vcc_lo
	v_cmp_eq_u32_e32 vcc_lo, 2, v79
	v_lshrrev_b32_e32 v15, 16, v7
	v_cmp_eq_u32_e64 s3, 1, v77
	v_lshrrev_b32_e32 v12, 16, v4
	v_lshrrev_b32_e32 v16, 16, v8
	v_cndmask_b32_e32 v20, v20, v6, vcc_lo
	v_cndmask_b32_e64 v17, v17, v2, s4
	v_cndmask_b32_e32 v19, v19, v2, vcc_lo
	v_cndmask_b32_e64 v18, v18, v6, s4
	v_cmp_eq_u32_e32 vcc_lo, 4, v78
	v_cmp_eq_u32_e64 s4, 3, v79
	v_cndmask_b32_e64 v17, v17, v10, s5
	v_cndmask_b32_e64 v21, v1, v9, s3
	;; [unrolled: 1-line block ×5, first 2 shown]
	v_cndmask_b32_e32 v17, v17, v3, vcc_lo
	v_cndmask_b32_e64 v20, v20, v14, s4
	v_cndmask_b32_e32 v18, v18, v7, vcc_lo
	v_cmp_eq_u32_e32 vcc_lo, 4, v79
	v_cmp_eq_u32_e64 s4, 5, v79
	v_cmp_eq_u32_e64 s3, 2, v81
	v_cndmask_b32_e64 v21, v21, v2, s7
	v_cmp_eq_u32_e64 s5, 5, v78
	v_cndmask_b32_e32 v19, v19, v3, vcc_lo
	v_cndmask_b32_e32 v20, v20, v7, vcc_lo
	v_cmp_eq_u32_e32 vcc_lo, 6, v79
	s_delay_alu instid0(VALU_DEP_4) | instskip(NEXT) | instid1(VALU_DEP_4)
	v_cndmask_b32_e64 v17, v17, v11, s5
	v_cndmask_b32_e64 v19, v19, v11, s4
	s_delay_alu instid0(VALU_DEP_4) | instskip(SKIP_1) | instid1(VALU_DEP_3)
	v_cndmask_b32_e64 v20, v20, v15, s4
	v_cmp_eq_u32_e64 s4, 1, v81
	v_cndmask_b32_e32 v19, v19, v4, vcc_lo
	v_cndmask_b32_e64 v18, v18, v15, s5
	s_delay_alu instid0(VALU_DEP_3)
	v_cndmask_b32_e64 v1, v1, v9, s4
	v_cndmask_b32_e64 v5, v5, v13, s4
	v_cmp_eq_u32_e64 s4, 3, v77
	v_cndmask_b32_e64 v13, v22, v6, s7
	v_cmp_eq_u32_e64 s7, 3, v81
	v_cndmask_b32_e64 v1, v1, v2, s3
	v_cndmask_b32_e64 v2, v5, v6, s3
	v_cndmask_b32_e64 v9, v21, v10, s4
	v_cmp_eq_u32_e64 s3, 4, v77
	v_cndmask_b32_e64 v6, v13, v14, s4
	v_cndmask_b32_e64 v1, v1, v10, s7
	v_cmp_eq_u32_e64 s4, 4, v81
	v_cndmask_b32_e64 v2, v2, v14, s7
	v_cndmask_b32_e64 v5, v9, v3, s3
	;; [unrolled: 3-line block ×3, first 2 shown]
	v_cndmask_b32_e64 v2, v2, v7, s4
	v_cmp_eq_u32_e64 s3, 5, v81
	v_cmp_eq_u32_e64 s5, 6, v78
	v_cndmask_b32_e64 v5, v5, v11, s7
	v_cmp_eq_u32_e64 s4, 6, v77
	v_cndmask_b32_e64 v3, v6, v15, s7
	v_cndmask_b32_e64 v1, v1, v11, s3
	v_cmp_eq_u32_e64 s7, 6, v81
	v_cndmask_b32_e64 v2, v2, v15, s3
	v_cndmask_b32_e64 v17, v17, v4, s5
	v_cndmask_b32_e64 v18, v18, v8, s5
	v_cmp_eq_u32_e64 s5, 7, v78
	v_cndmask_b32_e64 v5, v5, v4, s4
	;; [unrolled: 4-line block ×3, first 2 shown]
	v_cmp_eq_u32_e64 s4, 7, v77
	v_cndmask_b32_e32 v4, v20, v8, vcc_lo
	v_cndmask_b32_e64 v17, v17, v12, s5
	v_cndmask_b32_e64 v19, v19, v12, s6
	;; [unrolled: 1-line block ×8, first 2 shown]
	v_cmp_gt_u32_e32 vcc_lo, 32, v0
	v_perm_b32 v4, v2, v1, 0x5040100
	v_perm_b32 v3, v3, v5, 0x5040100
	;; [unrolled: 1-line block ×4, first 2 shown]
	s_and_b32 s2, vcc_lo, s2
	ds_store_b128 v76, v[1:4]
	s_waitcnt lgkmcnt(0)
	s_barrier
	buffer_gl0_inv
	s_and_saveexec_b32 s3, s2
	s_cbranch_execz .LBB1763_2
; %bb.111:
	s_load_b64 s[0:1], s[0:1], 0x68
	s_lshl_b32 s4, s34, 6
	v_or_b32_e32 v3, s31, v74
	s_mul_i32 s2, s4, s30
	v_lshlrev_b32_e32 v0, 10, v0
	s_mul_i32 s2, s2, s8
	v_lshlrev_b32_e32 v1, 4, v75
	s_ashr_i32 s3, s2, 31
	v_mul_lo_u32 v12, v3, s4
	s_lshl_b64 s[2:3], s[2:3], 1
	v_lshlrev_b32_e32 v2, 6, v74
	v_and_b32_e32 v0, 0x3800, v0
	s_delay_alu instid0(VALU_DEP_1) | instskip(NEXT) | instid1(VALU_DEP_4)
	v_or3_b32 v8, v0, v1, v2
	v_ashrrev_i32_e32 v13, 31, v12
	ds_load_b128 v[0:3], v8
	ds_load_b128 v[4:7], v8 offset:128
	ds_load_b128 v[8:11], v8 offset:256
	s_waitcnt lgkmcnt(0)
	s_add_u32 s2, s0, s2
	s_addc_u32 s3, s1, s3
	s_lshl_b32 s0, s14, 6
	s_delay_alu instid0(SALU_CYCLE_1) | instskip(NEXT) | instid1(SALU_CYCLE_1)
	s_ashr_i32 s1, s0, 31
	s_lshl_b64 s[0:1], s[0:1], 1
	s_delay_alu instid0(SALU_CYCLE_1)
	s_add_u32 s0, s2, s0
	s_addc_u32 s1, s3, s1
	s_lshl_b32 s2, s34, 7
	v_add_co_u32 v18, s0, s0, v73
	v_add_nc_u32_e32 v14, s2, v12
	v_lshlrev_b64 v[12:13], 1, v[12:13]
	v_add_co_ci_u32_e64 v19, null, s1, 0, s0
	s_delay_alu instid0(VALU_DEP_3) | instskip(SKIP_1) | instid1(VALU_DEP_4)
	v_add_nc_u32_e32 v16, s2, v14
	v_ashrrev_i32_e32 v15, 31, v14
	v_add_co_u32 v12, vcc_lo, v18, v12
	s_delay_alu instid0(VALU_DEP_4) | instskip(NEXT) | instid1(VALU_DEP_4)
	v_add_co_ci_u32_e32 v13, vcc_lo, v19, v13, vcc_lo
	v_ashrrev_i32_e32 v17, 31, v16
	s_delay_alu instid0(VALU_DEP_4) | instskip(NEXT) | instid1(VALU_DEP_2)
	v_lshlrev_b64 v[14:15], 1, v[14:15]
	v_lshlrev_b64 v[16:17], 1, v[16:17]
	s_delay_alu instid0(VALU_DEP_2) | instskip(NEXT) | instid1(VALU_DEP_3)
	v_add_co_u32 v14, vcc_lo, v18, v14
	v_add_co_ci_u32_e32 v15, vcc_lo, v19, v15, vcc_lo
	s_delay_alu instid0(VALU_DEP_3) | instskip(NEXT) | instid1(VALU_DEP_4)
	v_add_co_u32 v16, vcc_lo, v18, v16
	v_add_co_ci_u32_e32 v17, vcc_lo, v19, v17, vcc_lo
	s_clause 0x2
	global_store_b128 v[12:13], v[0:3], off
	global_store_b128 v[14:15], v[4:7], off
	;; [unrolled: 1-line block ×3, first 2 shown]
	s_nop 0
	s_sendmsg sendmsg(MSG_DEALLOC_VGPRS)
	s_endpgm
	.section	.rodata,"a",@progbits
	.p2align	6, 0x0
	.amdhsa_kernel _Z39paged_attention_ll4mi_QKV_mfma16_kernelI14__hip_bfloat16hLN4vllm18Fp8KVCacheDataTypeE1ES0_Li32ELi64ELi256ELb1ELi6EL8MFMAType0EEvPKT_PKT0_S9_ifPKiSB_SB_iPKfiiiPfSE_PS4_PT2_iSD_SD_
		.amdhsa_group_segment_fixed_size 17472
		.amdhsa_private_segment_fixed_size 0
		.amdhsa_kernarg_size 400
		.amdhsa_user_sgpr_count 13
		.amdhsa_user_sgpr_dispatch_ptr 0
		.amdhsa_user_sgpr_queue_ptr 0
		.amdhsa_user_sgpr_kernarg_segment_ptr 1
		.amdhsa_user_sgpr_dispatch_id 0
		.amdhsa_user_sgpr_private_segment_size 0
		.amdhsa_wavefront_size32 1
		.amdhsa_uses_dynamic_stack 0
		.amdhsa_enable_private_segment 0
		.amdhsa_system_sgpr_workgroup_id_x 1
		.amdhsa_system_sgpr_workgroup_id_y 1
		.amdhsa_system_sgpr_workgroup_id_z 1
		.amdhsa_system_sgpr_workgroup_info 0
		.amdhsa_system_vgpr_workitem_id 0
		.amdhsa_next_free_vgpr 124
		.amdhsa_next_free_sgpr 40
		.amdhsa_reserve_vcc 1
		.amdhsa_float_round_mode_32 0
		.amdhsa_float_round_mode_16_64 0
		.amdhsa_float_denorm_mode_32 3
		.amdhsa_float_denorm_mode_16_64 3
		.amdhsa_dx10_clamp 1
		.amdhsa_ieee_mode 1
		.amdhsa_fp16_overflow 0
		.amdhsa_workgroup_processor_mode 1
		.amdhsa_memory_ordered 1
		.amdhsa_forward_progress 0
		.amdhsa_shared_vgpr_count 0
		.amdhsa_exception_fp_ieee_invalid_op 0
		.amdhsa_exception_fp_denorm_src 0
		.amdhsa_exception_fp_ieee_div_zero 0
		.amdhsa_exception_fp_ieee_overflow 0
		.amdhsa_exception_fp_ieee_underflow 0
		.amdhsa_exception_fp_ieee_inexact 0
		.amdhsa_exception_int_div_zero 0
	.end_amdhsa_kernel
	.section	.text._Z39paged_attention_ll4mi_QKV_mfma16_kernelI14__hip_bfloat16hLN4vllm18Fp8KVCacheDataTypeE1ES0_Li32ELi64ELi256ELb1ELi6EL8MFMAType0EEvPKT_PKT0_S9_ifPKiSB_SB_iPKfiiiPfSE_PS4_PT2_iSD_SD_,"axG",@progbits,_Z39paged_attention_ll4mi_QKV_mfma16_kernelI14__hip_bfloat16hLN4vllm18Fp8KVCacheDataTypeE1ES0_Li32ELi64ELi256ELb1ELi6EL8MFMAType0EEvPKT_PKT0_S9_ifPKiSB_SB_iPKfiiiPfSE_PS4_PT2_iSD_SD_,comdat
.Lfunc_end1763:
	.size	_Z39paged_attention_ll4mi_QKV_mfma16_kernelI14__hip_bfloat16hLN4vllm18Fp8KVCacheDataTypeE1ES0_Li32ELi64ELi256ELb1ELi6EL8MFMAType0EEvPKT_PKT0_S9_ifPKiSB_SB_iPKfiiiPfSE_PS4_PT2_iSD_SD_, .Lfunc_end1763-_Z39paged_attention_ll4mi_QKV_mfma16_kernelI14__hip_bfloat16hLN4vllm18Fp8KVCacheDataTypeE1ES0_Li32ELi64ELi256ELb1ELi6EL8MFMAType0EEvPKT_PKT0_S9_ifPKiSB_SB_iPKfiiiPfSE_PS4_PT2_iSD_SD_
                                        ; -- End function
	.section	.AMDGPU.csdata,"",@progbits
; Kernel info:
; codeLenInByte = 8760
; NumSgprs: 42
; NumVgprs: 124
; ScratchSize: 0
; MemoryBound: 0
; FloatMode: 240
; IeeeMode: 1
; LDSByteSize: 17472 bytes/workgroup (compile time only)
; SGPRBlocks: 5
; VGPRBlocks: 15
; NumSGPRsForWavesPerEU: 42
; NumVGPRsForWavesPerEU: 124
; Occupancy: 10
; WaveLimiterHint : 1
; COMPUTE_PGM_RSRC2:SCRATCH_EN: 0
; COMPUTE_PGM_RSRC2:USER_SGPR: 13
; COMPUTE_PGM_RSRC2:TRAP_HANDLER: 0
; COMPUTE_PGM_RSRC2:TGID_X_EN: 1
; COMPUTE_PGM_RSRC2:TGID_Y_EN: 1
; COMPUTE_PGM_RSRC2:TGID_Z_EN: 1
; COMPUTE_PGM_RSRC2:TIDIG_COMP_CNT: 0
	.section	.text._Z39paged_attention_ll4mi_QKV_mfma16_kernelI14__hip_bfloat16hLN4vllm18Fp8KVCacheDataTypeE1ES0_Li32ELi64ELi256ELb1ELi7EL8MFMAType0EEvPKT_PKT0_S9_ifPKiSB_SB_iPKfiiiPfSE_PS4_PT2_iSD_SD_,"axG",@progbits,_Z39paged_attention_ll4mi_QKV_mfma16_kernelI14__hip_bfloat16hLN4vllm18Fp8KVCacheDataTypeE1ES0_Li32ELi64ELi256ELb1ELi7EL8MFMAType0EEvPKT_PKT0_S9_ifPKiSB_SB_iPKfiiiPfSE_PS4_PT2_iSD_SD_,comdat
	.protected	_Z39paged_attention_ll4mi_QKV_mfma16_kernelI14__hip_bfloat16hLN4vllm18Fp8KVCacheDataTypeE1ES0_Li32ELi64ELi256ELb1ELi7EL8MFMAType0EEvPKT_PKT0_S9_ifPKiSB_SB_iPKfiiiPfSE_PS4_PT2_iSD_SD_ ; -- Begin function _Z39paged_attention_ll4mi_QKV_mfma16_kernelI14__hip_bfloat16hLN4vllm18Fp8KVCacheDataTypeE1ES0_Li32ELi64ELi256ELb1ELi7EL8MFMAType0EEvPKT_PKT0_S9_ifPKiSB_SB_iPKfiiiPfSE_PS4_PT2_iSD_SD_
	.globl	_Z39paged_attention_ll4mi_QKV_mfma16_kernelI14__hip_bfloat16hLN4vllm18Fp8KVCacheDataTypeE1ES0_Li32ELi64ELi256ELb1ELi7EL8MFMAType0EEvPKT_PKT0_S9_ifPKiSB_SB_iPKfiiiPfSE_PS4_PT2_iSD_SD_
	.p2align	8
	.type	_Z39paged_attention_ll4mi_QKV_mfma16_kernelI14__hip_bfloat16hLN4vllm18Fp8KVCacheDataTypeE1ES0_Li32ELi64ELi256ELb1ELi7EL8MFMAType0EEvPKT_PKT0_S9_ifPKiSB_SB_iPKfiiiPfSE_PS4_PT2_iSD_SD_,@function
_Z39paged_attention_ll4mi_QKV_mfma16_kernelI14__hip_bfloat16hLN4vllm18Fp8KVCacheDataTypeE1ES0_Li32ELi64ELi256ELb1ELi7EL8MFMAType0EEvPKT_PKT0_S9_ifPKiSB_SB_iPKfiiiPfSE_PS4_PT2_iSD_SD_: ; @_Z39paged_attention_ll4mi_QKV_mfma16_kernelI14__hip_bfloat16hLN4vllm18Fp8KVCacheDataTypeE1ES0_Li32ELi64ELi256ELb1ELi7EL8MFMAType0EEvPKT_PKT0_S9_ifPKiSB_SB_iPKfiiiPfSE_PS4_PT2_iSD_SD_
; %bb.0:
	s_load_b64 s[2:3], s[0:1], 0x30
	s_mov_b32 s34, s13
	s_waitcnt lgkmcnt(0)
	s_cmp_lg_u64 s[2:3], 0
	s_cselect_b32 s8, -1, 0
	s_ashr_i32 s35, s13, 31
	s_cmp_eq_u64 s[2:3], 0
	s_cbranch_scc1 .LBB1764_3
; %bb.1:
	s_lshl_b64 s[4:5], s[34:35], 2
	s_delay_alu instid0(SALU_CYCLE_1) | instskip(SKIP_4) | instid1(SALU_CYCLE_1)
	s_add_u32 s4, s2, s4
	s_addc_u32 s5, s3, s5
	s_load_b64 s[4:5], s[4:5], 0x0
	s_waitcnt lgkmcnt(0)
	s_sub_i32 s4, s5, s4
	s_cmp_eq_u32 s4, 1
	s_cselect_b32 s4, -1, 0
	s_delay_alu instid0(SALU_CYCLE_1)
	s_and_not1_b32 vcc_lo, exec_lo, s4
	s_cbranch_vccz .LBB1764_4
.LBB1764_2:
	s_nop 0
	s_sendmsg sendmsg(MSG_DEALLOC_VGPRS)
	s_endpgm
.LBB1764_3:
.LBB1764_4:
	s_load_b64 s[4:5], s[0:1], 0x28
	s_lshl_b64 s[6:7], s[34:35], 2
	s_waitcnt lgkmcnt(0)
	s_add_u32 s4, s4, s6
	s_addc_u32 s5, s5, s7
	s_lshl_b32 s12, s14, 8
	s_load_b32 s24, s[4:5], 0x0
	s_waitcnt lgkmcnt(0)
	s_cmp_ge_i32 s12, s24
	s_cbranch_scc1 .LBB1764_2
; %bb.5:
	s_clause 0x1
	s_load_b128 s[20:23], s[0:1], 0x8
	s_load_b64 s[4:5], s[0:1], 0x20
	s_and_not1_b32 vcc_lo, exec_lo, s8
	s_cbranch_vccnz .LBB1764_7
; %bb.6:
	s_add_u32 s2, s2, s6
	s_addc_u32 s3, s3, s7
	s_load_b32 s3, s[2:3], 0x0
	s_branch .LBB1764_8
.LBB1764_7:
	s_mov_b32 s3, s34
.LBB1764_8:
	s_load_b128 s[16:19], s[0:1], 0x48
	v_lshrrev_b32_e32 v66, 5, v0
	v_bfe_u32 v74, v0, 4, 1
	v_and_b32_e32 v65, 15, v0
	v_and_b32_e32 v67, 31, v0
	;; [unrolled: 1-line block ×3, first 2 shown]
	s_mul_i32 s31, s15, 7
	v_lshl_or_b32 v1, v66, 1, v74
	v_lshlrev_b32_e32 v2, 3, v65
	v_cmp_gt_u32_e64 s2, 8, v65
	s_delay_alu instid0(VALU_DEP_3) | instskip(NEXT) | instid1(VALU_DEP_3)
	v_cmp_gt_u32_e32 vcc_lo, 7, v1
	v_lshlrev_b32_e32 v73, 1, v2
	s_delay_alu instid0(VALU_DEP_3) | instskip(NEXT) | instid1(SALU_CYCLE_1)
	s_and_b32 s7, s2, vcc_lo
	s_and_saveexec_b32 s6, s7
	s_cbranch_execz .LBB1764_10
; %bb.9:
	s_load_b64 s[8:9], s[0:1], 0x0
	v_add_lshl_u32 v2, v1, s31, 6
	s_waitcnt lgkmcnt(0)
	s_mul_hi_i32 s11, s3, s16
	s_mul_i32 s10, s3, s16
	v_lshlrev_b32_e32 v6, 10, v65
	s_lshl_b64 s[10:11], s[10:11], 1
	v_ashrrev_i32_e32 v3, 31, v2
	v_lshlrev_b32_e32 v1, 6, v1
	v_lshlrev_b32_e32 v7, 10, v75
	v_and_b32_e32 v6, 0x3800, v6
	s_delay_alu instid0(VALU_DEP_4) | instskip(NEXT) | instid1(VALU_DEP_2)
	v_lshlrev_b64 v[2:3], 1, v[2:3]
	v_or3_b32 v1, v6, v7, v1
	s_add_u32 s3, s8, s10
	s_addc_u32 s7, s9, s11
	s_delay_alu instid0(VALU_DEP_2) | instskip(NEXT) | instid1(VALU_DEP_3)
	v_add_co_u32 v2, vcc_lo, s3, v2
	v_add_co_ci_u32_e32 v3, vcc_lo, s7, v3, vcc_lo
	s_delay_alu instid0(VALU_DEP_2) | instskip(NEXT) | instid1(VALU_DEP_2)
	v_add_co_u32 v2, vcc_lo, v2, v73
	v_add_co_ci_u32_e32 v3, vcc_lo, 0, v3, vcc_lo
	global_load_b128 v[2:5], v[2:3], off
	s_waitcnt vmcnt(0)
	ds_store_b128 v1, v[2:5]
.LBB1764_10:
	s_or_b32 exec_lo, exec_lo, s6
	v_and_b32_e32 v1, 0xef, v0
	s_waitcnt lgkmcnt(0)
	s_add_i32 s3, s24, 31
	s_clause 0x1
	s_load_b32 s6, s[0:1], 0x38
	s_load_b32 s19, s[0:1], 0x1c
	s_ashr_i32 s7, s3, 31
	v_add_nc_u32_e32 v1, s12, v1
	s_lshr_b32 s7, s7, 27
	s_waitcnt lgkmcnt(0)
	s_add_i32 s3, s3, s7
	s_barrier
	v_ashrrev_i32_e32 v2, 31, v1
	v_or_b32_e32 v3, 16, v1
	s_ashr_i32 s3, s3, 5
	v_cmp_gt_i32_e32 vcc_lo, s24, v1
	s_add_i32 s3, s3, -1
	v_lshrrev_b32_e32 v2, 27, v2
	buffer_gl0_inv
	s_mul_i32 s27, s15, s18
	v_add_nc_u32_e32 v4, v1, v2
	s_mul_i32 s6, s34, s6
	s_delay_alu instid0(SALU_CYCLE_1) | instskip(NEXT) | instid1(VALU_DEP_1)
	s_ashr_i32 s7, s6, 31
	v_ashrrev_i32_e32 v4, 5, v4
	v_add_nc_u32_e32 v2, v3, v2
	s_lshl_b64 s[6:7], s[6:7], 2
	s_delay_alu instid0(SALU_CYCLE_1) | instskip(NEXT) | instid1(VALU_DEP_2)
	s_add_u32 s26, s4, s6
	v_cndmask_b32_e32 v1, s3, v4, vcc_lo
	s_delay_alu instid0(VALU_DEP_2)
	v_ashrrev_i32_e32 v2, 5, v2
	v_cmp_gt_i32_e32 vcc_lo, s24, v3
	s_addc_u32 s25, s5, s7
	s_ashr_i32 s28, s27, 31
	s_add_u32 s4, s20, s27
	s_addc_u32 s5, s21, s28
	v_cndmask_b32_e32 v3, s3, v2, vcc_lo
	v_ashrrev_i32_e32 v2, 31, v1
	s_lshl_b32 s6, s14, 3
	s_delay_alu instid0(SALU_CYCLE_1) | instskip(NEXT) | instid1(VALU_DEP_2)
	s_ashr_i32 s7, s6, 31
	v_ashrrev_i32_e32 v4, 31, v3
	s_delay_alu instid0(VALU_DEP_2) | instskip(SKIP_1) | instid1(SALU_CYCLE_1)
	v_lshlrev_b64 v[1:2], 2, v[1:2]
	s_lshl_b64 s[6:7], s[6:7], 2
	s_add_u32 s6, s26, s6
	s_delay_alu instid0(VALU_DEP_2) | instskip(SKIP_1) | instid1(VALU_DEP_2)
	v_lshlrev_b64 v[3:4], 2, v[3:4]
	s_addc_u32 s7, s25, s7
	v_add_co_u32 v1, vcc_lo, s26, v1
	v_add_co_ci_u32_e32 v2, vcc_lo, s25, v2, vcc_lo
	s_delay_alu instid0(VALU_DEP_3) | instskip(NEXT) | instid1(VALU_DEP_4)
	v_add_co_u32 v3, vcc_lo, s26, v3
	v_add_co_ci_u32_e32 v4, vcc_lo, s25, v4, vcc_lo
	s_clause 0x1
	global_load_b32 v5, v[1:2], off
	global_load_b32 v6, v[3:4], off
	s_or_b32 s8, s12, 32
	s_delay_alu instid0(SALU_CYCLE_1) | instskip(SKIP_2) | instid1(SALU_CYCLE_1)
	s_ashr_i32 s9, s8, 5
	s_cmp_lt_i32 s8, s24
	s_cselect_b32 s8, s9, s3
	s_ashr_i32 s9, s8, 31
	s_delay_alu instid0(SALU_CYCLE_1) | instskip(NEXT) | instid1(SALU_CYCLE_1)
	s_lshl_b64 s[8:9], s[8:9], 2
	s_add_u32 s8, s26, s8
	s_addc_u32 s9, s25, s9
	s_or_b32 s10, s12, 64
	s_delay_alu instid0(SALU_CYCLE_1) | instskip(SKIP_2) | instid1(SALU_CYCLE_1)
	s_ashr_i32 s11, s10, 5
	s_cmp_lt_i32 s10, s24
	s_cselect_b32 s10, s11, s3
	s_ashr_i32 s11, s10, 31
	s_delay_alu instid0(SALU_CYCLE_1) | instskip(NEXT) | instid1(SALU_CYCLE_1)
	s_lshl_b64 s[10:11], s[10:11], 2
	s_add_u32 s10, s26, s10
	s_addc_u32 s11, s25, s11
	;; [unrolled: 10-line block ×5, first 2 shown]
	s_clause 0x5
	s_load_b32 s21, s[6:7], 0x0
	s_load_b32 s13, s[8:9], 0x0
	s_load_b32 s15, s[10:11], 0x0
	s_load_b32 s16, s[36:37], 0x0
	s_load_b32 s18, s[38:39], 0x0
	s_load_b32 s20, s[40:41], 0x0
	s_or_b32 s9, s12, 0xc0
	s_delay_alu instid0(SALU_CYCLE_1) | instskip(SKIP_2) | instid1(SALU_CYCLE_1)
	s_ashr_i32 s10, s9, 5
	s_cmp_lt_i32 s9, s24
	s_cselect_b32 s36, s10, s3
	s_ashr_i32 s37, s36, 31
	s_delay_alu instid0(SALU_CYCLE_1) | instskip(NEXT) | instid1(SALU_CYCLE_1)
	s_lshl_b64 s[36:37], s[36:37], 2
	s_add_u32 s36, s26, s36
	s_addc_u32 s37, s25, s37
	s_or_b32 s29, s12, 0xe0
	s_delay_alu instid0(SALU_CYCLE_1)
	s_ashr_i32 s30, s29, 5
	s_cmp_lt_i32 s29, s24
	s_waitcnt vmcnt(1)
	v_mad_i64_i32 v[1:2], null, v5, s17, s[4:5]
	s_waitcnt vmcnt(0)
	v_mad_i64_i32 v[3:4], null, v6, s17, s[4:5]
	s_mov_b32 s4, 0
	s_delay_alu instid0(SALU_CYCLE_1)
	s_mov_b32 s5, s4
	s_mov_b32 s6, s4
	;; [unrolled: 1-line block ×7, first 2 shown]
	v_lshlrev_b32_e32 v5, 4, v65
	v_dual_mov_b32 v107, s11 :: v_dual_mov_b32 v102, s6
	v_mov_b32_e32 v106, s10
	v_mov_b32_e32 v104, s8
	s_delay_alu instid0(VALU_DEP_4)
	v_add_co_u32 v1, vcc_lo, v1, v5
	v_add_co_ci_u32_e32 v2, vcc_lo, 0, v2, vcc_lo
	v_add_co_u32 v3, vcc_lo, v3, v5
	v_add_co_ci_u32_e32 v4, vcc_lo, 0, v4, vcc_lo
	s_clause 0x7
	global_load_b128 v[49:52], v[1:2], off
	global_load_b128 v[53:56], v[1:2], off offset:512
	global_load_b128 v[76:79], v[3:4], off offset:256
	;; [unrolled: 1-line block ×7, first 2 shown]
	v_mul_lo_u16 v1, v65, 37
	v_mov_b32_e32 v103, s7
	v_dual_mov_b32 v101, s5 :: v_dual_lshlrev_b32 v2, 5, v65
	v_mov_b32_e32 v100, s4
	s_delay_alu instid0(VALU_DEP_4) | instskip(NEXT) | instid1(VALU_DEP_3)
	v_lshrrev_b16 v1, 8, v1
	v_lshl_or_b32 v2, v66, 9, v2
	s_delay_alu instid0(VALU_DEP_2) | instskip(NEXT) | instid1(VALU_DEP_1)
	v_mul_lo_u16 v1, v1, 7
	v_sub_nc_u16 v1, v65, v1
	s_delay_alu instid0(VALU_DEP_1)
	v_and_b32_e32 v1, 0xff, v1
	v_mov_b32_e32 v105, s9
	s_cselect_b32 s4, s30, s3
	s_load_b32 s3, s[36:37], 0x0
	s_ashr_i32 s5, s4, 31
	v_lshlrev_b32_e32 v70, 6, v1
	s_lshl_b64 s[4:5], s[4:5], 2
	ds_load_b128 v[108:111], v70
	ds_load_b128 v[112:115], v70 offset:1024
	s_add_u32 s4, s26, s4
	s_addc_u32 s5, s25, s5
	s_add_u32 s6, s22, s27
	s_load_b32 s4, s[4:5], 0x0
	s_addc_u32 s7, s23, s28
	v_add_co_u32 v9, s6, s6, v2
	s_delay_alu instid0(VALU_DEP_1) | instskip(SKIP_1) | instid1(VALU_DEP_1)
	v_add_co_ci_u32_e64 v10, null, s7, 0, s6
	s_waitcnt lgkmcnt(0)
	v_mad_i64_i32 v[1:2], null, s21, s17, v[9:10]
	v_mad_i64_i32 v[3:4], null, s13, s17, v[9:10]
	;; [unrolled: 1-line block ×7, first 2 shown]
	s_clause 0x9
	global_load_b128 v[57:60], v[1:2], off
	global_load_b128 v[61:64], v[1:2], off offset:16
	global_load_b128 v[41:44], v[3:4], off
	global_load_b128 v[45:48], v[3:4], off offset:16
	;; [unrolled: 2-line block ×5, first 2 shown]
	v_mad_i64_i32 v[68:69], null, s4, s17, v[9:10]
	s_clause 0x3
	global_load_b128 v[9:12], v[13:14], off
	global_load_b128 v[13:16], v[13:14], off offset:16
	global_load_b128 v[17:20], v[21:22], off
	global_load_b128 v[21:24], v[21:22], off offset:16
	s_waitcnt vmcnt(20)
	v_wmma_f32_16x16x16_bf16 v[116:123], v[49:56], v[108:115], v[100:107]
	s_clause 0x1
	global_load_b128 v[49:52], v[68:69], off
	global_load_b128 v[53:56], v[68:69], off offset:16
	v_and_b32_e32 v68, 0xe0, v0
	v_mbcnt_lo_u32_b32 v69, -1, 0
	s_delay_alu instid0(VALU_DEP_2)
	v_add_nc_u32_e32 v68, s12, v68
	s_waitcnt vmcnt(20)
	v_wmma_f32_16x16x16_bf16 v[100:107], v[76:83], v[108:115], v[100:107]
	ds_load_b128 v[76:79], v70 offset:2048
	ds_load_b128 v[80:83], v70 offset:3072
	v_xor_b32_e32 v70, 16, v69
	s_waitcnt vmcnt(0) lgkmcnt(0)
	v_or_b32_e32 v68, v68, v74
	s_barrier
	buffer_gl0_inv
	v_cmp_gt_i32_e32 vcc_lo, 32, v70
	v_or_b32_e32 v71, 4, v68
	v_or_b32_e32 v72, 6, v68
	v_cmp_gt_i32_e64 s3, s24, v68
	v_or_b32_e32 v108, 8, v68
	v_or_b32_e32 v109, 10, v68
	v_cmp_gt_i32_e64 s4, s24, v71
	v_cmp_gt_i32_e64 s5, s24, v72
	s_delay_alu instid0(VALU_DEP_4) | instskip(NEXT) | instid1(VALU_DEP_4)
	v_cmp_gt_i32_e64 s6, s24, v108
	v_cmp_gt_i32_e64 s7, s24, v109
	v_wmma_f32_16x16x16_bf16 v[116:123], v[84:91], v[76:83], v[116:123]
	v_cndmask_b32_e32 v69, v69, v70, vcc_lo
	v_or_b32_e32 v70, 2, v68
	v_wmma_f32_16x16x16_bf16 v[100:107], v[92:99], v[76:83], v[100:107]
	v_or_b32_e32 v84, 12, v68
	v_dual_mul_f32 v78, s19, v123 :: v_dual_mul_f32 v83, s19, v118
	v_dual_mul_f32 v92, s19, v117 :: v_dual_mul_f32 v93, s19, v116
	s_delay_alu instid0(VALU_DEP_4) | instskip(SKIP_2) | instid1(VALU_DEP_4)
	v_mul_f32_e32 v94, s19, v107
	v_cmp_gt_i32_e32 vcc_lo, s24, v70
	v_dual_mul_f32 v81, s19, v120 :: v_dual_mul_f32 v82, s19, v119
	v_cndmask_b32_e64 v93, 0xff7fffff, v93, s3
	v_or_b32_e32 v85, 14, v68
	v_cndmask_b32_e32 v92, 0xff7fffff, v92, vcc_lo
	v_dual_mul_f32 v79, s19, v122 :: v_dual_mul_f32 v80, s19, v121
	v_cndmask_b32_e64 v71, 0xff7fffff, v83, s4
	v_cndmask_b32_e64 v72, 0xff7fffff, v82, s5
	s_delay_alu instid0(VALU_DEP_4)
	v_max3_f32 v82, v93, 0xff7fffff, v92
	v_or_b32_e32 v86, 16, v68
	v_or_b32_e32 v87, 18, v68
	v_cndmask_b32_e64 v81, 0xff7fffff, v81, s6
	v_cndmask_b32_e64 v80, 0xff7fffff, v80, s7
	v_max3_f32 v71, v82, v71, v72
	v_cmp_gt_i32_e64 s8, s24, v84
	v_cmp_gt_i32_e64 s9, s24, v85
	v_or_b32_e32 v88, 20, v68
	v_or_b32_e32 v89, 22, v68
	;; [unrolled: 1-line block ×6, first 2 shown]
	v_dual_mul_f32 v99, s19, v102 :: v_dual_mul_f32 v70, s19, v101
	v_mul_f32_e32 v68, s19, v100
	v_cndmask_b32_e64 v72, 0xff7fffff, v79, s8
	v_cndmask_b32_e64 v78, 0xff7fffff, v78, s9
	v_max3_f32 v71, v71, v81, v80
	v_cmp_gt_i32_e64 s10, s24, v86
	v_cmp_gt_i32_e64 s11, s24, v87
	v_dual_mul_f32 v97, s19, v104 :: v_dual_mul_f32 v98, s19, v103
	s_delay_alu instid0(VALU_DEP_4) | instskip(SKIP_1) | instid1(VALU_DEP_4)
	v_max3_f32 v71, v71, v72, v78
	v_cmp_gt_i32_e64 s12, s24, v88
	v_cndmask_b32_e64 v70, 0xff7fffff, v70, s11
	v_cmp_gt_i32_e64 s13, s24, v89
	v_lshlrev_b32_e32 v89, 2, v69
	v_cndmask_b32_e64 v68, 0xff7fffff, v68, s10
	v_dual_mul_f32 v95, s19, v106 :: v_dual_mul_f32 v96, s19, v105
	v_cndmask_b32_e64 v72, 0xff7fffff, v99, s12
	v_cndmask_b32_e64 v78, 0xff7fffff, v98, s13
	s_delay_alu instid0(VALU_DEP_4)
	v_max3_f32 v68, v71, v68, v70
	v_cmp_gt_i32_e64 s15, s24, v90
	v_cmp_gt_i32_e64 s16, s24, v91
	;; [unrolled: 1-line block ×4, first 2 shown]
	v_max3_f32 v68, v68, v72, v78
	v_cndmask_b32_e64 v70, 0xff7fffff, v97, s15
	v_cndmask_b32_e64 v71, 0xff7fffff, v96, s16
	;; [unrolled: 1-line block ×4, first 2 shown]
	s_delay_alu instid0(VALU_DEP_3) | instskip(NEXT) | instid1(VALU_DEP_1)
	v_max3_f32 v68, v68, v70, v71
	v_max3_f32 v68, v68, v72, v76
	ds_bpermute_b32 v69, v89, v68
	s_waitcnt lgkmcnt(0)
	v_max_f32_e32 v69, v69, v69
	s_delay_alu instid0(VALU_DEP_1) | instskip(NEXT) | instid1(VALU_DEP_1)
	v_max_f32_e32 v68, v68, v69
	v_fma_f32 v71, s19, v118, -v68
	s_delay_alu instid0(VALU_DEP_1)
	v_mul_f32_e32 v71, 0x3fb8aa3b, v71
	v_fma_f32 v69, s19, v116, -v68
	v_fma_f32 v70, s19, v117, -v68
	;; [unrolled: 1-line block ×4, first 2 shown]
	v_exp_f32_e32 v71, v71
	s_delay_alu instid0(VALU_DEP_3) | instskip(SKIP_2) | instid1(VALU_DEP_3)
	v_dual_mul_f32 v69, 0x3fb8aa3b, v69 :: v_dual_mul_f32 v70, 0x3fb8aa3b, v70
	v_fma_f32 v78, s19, v122, -v68
	v_fma_f32 v81, s19, v105, -v68
	v_exp_f32_e32 v69, v69
	s_delay_alu instid0(VALU_DEP_3) | instskip(SKIP_1) | instid1(VALU_DEP_2)
	v_exp_f32_e32 v70, v70
	v_mul_f32_e32 v77, 0x3fb8aa3b, v76
	v_mul_f32_e32 v81, 0x3fb8aa3b, v81
	s_delay_alu instid0(TRANS32_DEP_3) | instskip(SKIP_1) | instid1(VALU_DEP_3)
	v_cndmask_b32_e64 v83, 0, v71, s4
	v_fma_f32 v71, s19, v123, -v68
	v_exp_f32_e32 v81, v81
	s_delay_alu instid0(TRANS32_DEP_3) | instskip(NEXT) | instid1(TRANS32_DEP_2)
	v_cndmask_b32_e64 v80, 0, v69, s3
	v_cndmask_b32_e32 v76, 0, v70, vcc_lo
	v_fma_f32 v69, s19, v121, -v68
	v_mul_f32_e32 v72, 0x3fb8aa3b, v72
	v_exp_f32_e32 v77, v77
	v_dual_add_f32 v70, 0, v80 :: v_dual_mul_f32 v71, 0x3fb8aa3b, v71
	s_delay_alu instid0(VALU_DEP_3) | instskip(NEXT) | instid1(VALU_DEP_3)
	v_mul_f32_e32 v69, 0x3fb8aa3b, v69
	v_exp_f32_e32 v72, v72
	v_cmp_gt_u32_e64 s3, 16, v67
	s_delay_alu instid0(VALU_DEP_3) | instskip(NEXT) | instid1(VALU_DEP_2)
	v_exp_f32_e32 v71, v71
	v_exp_f32_e32 v69, v69
	v_cndmask_b32_e64 v86, 0, v77, s6
	v_fma_f32 v77, s19, v101, -v68
	v_add_f32_e32 v70, v70, v76
	s_delay_alu instid0(TRANS32_DEP_3) | instskip(SKIP_1) | instid1(VALU_DEP_3)
	v_cndmask_b32_e64 v85, 0, v72, s5
	v_fma_f32 v72, s19, v100, -v68
	v_dual_mul_f32 v77, 0x3fb8aa3b, v77 :: v_dual_add_f32 v70, v70, v83
	s_delay_alu instid0(TRANS32_DEP_2) | instskip(SKIP_1) | instid1(TRANS32_DEP_1)
	v_cndmask_b32_e64 v88, 0, v71, s9
	v_fma_f32 v71, s19, v104, -v68
	v_cndmask_b32_e64 v87, 0, v69, s7
	s_delay_alu instid0(VALU_DEP_4) | instskip(NEXT) | instid1(VALU_DEP_2)
	v_exp_f32_e32 v77, v77
	v_dual_add_f32 v70, v70, v85 :: v_dual_mul_f32 v71, 0x3fb8aa3b, v71
	s_delay_alu instid0(VALU_DEP_1) | instskip(SKIP_2) | instid1(VALU_DEP_3)
	v_dual_mul_f32 v72, 0x3fb8aa3b, v72 :: v_dual_add_f32 v69, v70, v86
	v_mul_f32_e32 v78, 0x3fb8aa3b, v78
	v_fma_f32 v70, s19, v102, -v68
	v_exp_f32_e32 v72, v72
	v_exp_f32_e32 v82, v71
	v_add_f32_e32 v69, v69, v87
	v_exp_f32_e32 v78, v78
	v_mul_f32_e32 v70, 0x3fb8aa3b, v70
	s_delay_alu instid0(VALU_DEP_1) | instskip(SKIP_4) | instid1(VALU_DEP_2)
	v_exp_f32_e32 v79, v70
	v_cndmask_b32_e64 v70, 0, v72, s10
	s_waitcnt_depctr 0xfff
	v_cndmask_b32_e64 v84, 0, v78, s8
	v_fma_f32 v78, s19, v103, -v68
	v_add_f32_e32 v69, v69, v84
	v_cndmask_b32_e64 v71, 0, v79, s12
	s_delay_alu instid0(VALU_DEP_2) | instskip(SKIP_2) | instid1(VALU_DEP_1)
	v_add_f32_e32 v72, v69, v88
	v_cndmask_b32_e64 v69, 0, v77, s11
	v_fma_f32 v77, s19, v106, -v68
	v_dual_mul_f32 v77, 0x3fb8aa3b, v77 :: v_dual_add_f32 v72, v72, v70
	v_mul_f32_e32 v78, 0x3fb8aa3b, v78
	s_delay_alu instid0(VALU_DEP_2) | instskip(NEXT) | instid1(VALU_DEP_2)
	v_exp_f32_e32 v90, v77
	v_add_f32_e32 v79, v72, v69
	s_delay_alu instid0(VALU_DEP_2)
	v_exp_f32_e32 v78, v78
	v_cndmask_b32_e64 v77, 0, v82, s15
	s_waitcnt_depctr 0xfff
	v_cndmask_b32_e64 v72, 0, v78, s13
	v_add_f32_e32 v78, v79, v71
	v_fma_f32 v79, s19, v107, -v68
	s_delay_alu instid0(VALU_DEP_1) | instskip(SKIP_1) | instid1(VALU_DEP_2)
	v_dual_add_f32 v82, v78, v72 :: v_dual_mul_f32 v79, 0x3fb8aa3b, v79
	v_cndmask_b32_e64 v78, 0, v81, s16
	v_add_f32_e32 v81, v82, v77
	s_delay_alu instid0(VALU_DEP_3) | instskip(SKIP_1) | instid1(VALU_DEP_2)
	v_exp_f32_e32 v82, v79
	v_cndmask_b32_e64 v79, 0, v90, s17
	v_add_f32_e32 v81, v81, v78
	s_delay_alu instid0(VALU_DEP_1) | instskip(SKIP_2) | instid1(VALU_DEP_1)
	v_add_f32_e32 v90, v81, v79
	s_waitcnt_depctr 0xfff
	v_cndmask_b32_e64 v81, 0, v82, s18
	v_add_f32_e32 v82, v90, v81
	ds_bpermute_b32 v89, v89, v82
	s_and_saveexec_b32 s4, s3
	s_cbranch_execz .LBB1764_12
; %bb.11:
	v_mul_u32_u24_e32 v67, 0x44, v66
	s_delay_alu instid0(VALU_DEP_1) | instskip(SKIP_1) | instid1(VALU_DEP_1)
	v_lshl_add_u32 v67, v65, 2, v67
	s_waitcnt lgkmcnt(0)
	v_dual_add_f32 v82, v82, v89 :: v_dual_add_nc_u32 v67, 0x4000, v67
	ds_store_2addr_b32 v67, v68, v82 offset1:136
.LBB1764_12:
	s_or_b32 exec_lo, exec_lo, s4
	v_lshlrev_b32_e32 v67, 2, v65
	s_waitcnt lgkmcnt(0)
	s_barrier
	buffer_gl0_inv
	v_cmp_eq_u32_e32 vcc_lo, 1, v66
	v_add_nc_u32_e32 v82, 0x4000, v67
	v_cmp_eq_u32_e64 s4, 2, v66
	v_cmp_eq_u32_e64 s6, 7, v66
	ds_load_2addr_b32 v[89:90], v82 offset1:17
	ds_load_2addr_b32 v[91:92], v82 offset0:34 offset1:51
	ds_load_2addr_b32 v[93:94], v82 offset0:68 offset1:85
	;; [unrolled: 1-line block ×4, first 2 shown]
	s_waitcnt lgkmcnt(4)
	v_max3_f32 v67, v89, 0xff7fffff, v90
	s_waitcnt lgkmcnt(3)
	s_delay_alu instid0(VALU_DEP_1) | instskip(SKIP_1) | instid1(VALU_DEP_1)
	v_max3_f32 v67, v67, v91, v92
	s_waitcnt lgkmcnt(2)
	v_max3_f32 v67, v67, v93, v94
	s_waitcnt lgkmcnt(1)
	s_delay_alu instid0(VALU_DEP_1) | instskip(NEXT) | instid1(VALU_DEP_1)
	v_max3_f32 v67, v67, v95, v96
	v_sub_f32_e32 v93, v93, v67
	s_delay_alu instid0(VALU_DEP_1) | instskip(NEXT) | instid1(VALU_DEP_1)
	v_dual_sub_f32 v68, v89, v67 :: v_dual_mul_f32 v103, 0x3fb8aa3b, v93
	v_mul_f32_e32 v68, 0x3fb8aa3b, v68
	s_delay_alu instid0(VALU_DEP_1)
	v_exp_f32_e32 v100, v68
	v_sub_f32_e32 v68, v92, v67
	v_sub_f32_e32 v99, v90, v67
	ds_load_2addr_b32 v[89:90], v82 offset0:170 offset1:187
	v_dual_mul_f32 v102, 0x3fb8aa3b, v68 :: v_dual_mul_f32 v99, 0x3fb8aa3b, v99
	s_waitcnt lgkmcnt(1)
	v_fma_f32 v68, v100, v97, 0
	s_delay_alu instid0(VALU_DEP_2) | instskip(NEXT) | instid1(VALU_DEP_2)
	v_exp_f32_e32 v102, v102
	v_exp_f32_e32 v99, v99
	s_waitcnt_depctr 0xfff
	v_fmac_f32_e32 v68, v99, v98
	v_sub_f32_e32 v91, v91, v67
	s_delay_alu instid0(VALU_DEP_1)
	v_mul_f32_e32 v101, 0x3fb8aa3b, v91
	ds_load_2addr_b32 v[91:92], v82 offset0:204 offset1:221
	v_sub_f32_e32 v97, v94, v67
	ds_load_2addr_b32 v[93:94], v82 offset0:238 offset1:255
	s_waitcnt lgkmcnt(0)
	v_exp_f32_e32 v101, v101
	s_barrier
	buffer_gl0_inv
	v_dual_fmac_f32 v68, v101, v89 :: v_dual_sub_f32 v89, v96, v67
	v_dual_sub_f32 v82, v95, v67 :: v_dual_mul_f32 v95, 0x3fb8aa3b, v97
	v_exp_f32_e32 v97, v103
	s_delay_alu instid0(VALU_DEP_2) | instskip(NEXT) | instid1(VALU_DEP_2)
	v_dual_fmac_f32 v68, v102, v90 :: v_dual_mul_f32 v89, 0x3fb8aa3b, v89
	v_mul_f32_e32 v82, 0x3fb8aa3b, v82
	s_delay_alu instid0(VALU_DEP_3) | instskip(NEXT) | instid1(VALU_DEP_2)
	v_exp_f32_e32 v95, v95
	v_exp_f32_e32 v89, v89
	s_delay_alu instid0(VALU_DEP_1)
	v_exp_f32_e32 v82, v82
	v_fmac_f32_e32 v68, v97, v91
	s_delay_alu instid0(TRANS32_DEP_3) | instid1(VALU_DEP_1)
	v_fmac_f32_e32 v68, v95, v92
	s_waitcnt_depctr 0xfff
	v_fmac_f32_e32 v68, v82, v93
	s_delay_alu instid0(VALU_DEP_1) | instskip(NEXT) | instid1(VALU_DEP_1)
	v_fmac_f32_e32 v68, v89, v94
	v_add_f32_e32 v90, 0x358637bd, v68
	s_delay_alu instid0(VALU_DEP_1) | instskip(NEXT) | instid1(VALU_DEP_1)
	v_div_scale_f32 v91, null, v90, v90, 1.0
	v_rcp_f32_e32 v92, v91
	s_waitcnt_depctr 0xfff
	v_fma_f32 v93, -v91, v92, 1.0
	s_delay_alu instid0(VALU_DEP_1) | instskip(SKIP_1) | instid1(VALU_DEP_2)
	v_dual_fmac_f32 v92, v93, v92 :: v_dual_cndmask_b32 v93, v100, v99
	v_cmp_eq_u32_e32 vcc_lo, 3, v66
	v_cndmask_b32_e64 v93, v93, v101, s4
	v_cmp_eq_u32_e64 s4, 4, v66
	s_delay_alu instid0(VALU_DEP_2) | instskip(SKIP_1) | instid1(VALU_DEP_2)
	v_cndmask_b32_e32 v93, v93, v102, vcc_lo
	v_cmp_eq_u32_e32 vcc_lo, 5, v66
	v_cndmask_b32_e64 v93, v93, v97, s4
	v_cmp_eq_u32_e64 s4, 6, v66
	s_delay_alu instid0(VALU_DEP_2) | instskip(SKIP_1) | instid1(VALU_DEP_1)
	v_cndmask_b32_e32 v93, v93, v95, vcc_lo
	v_div_scale_f32 v94, s5, 1.0, v90, 1.0
	s_mov_b32 vcc_lo, s5
	s_delay_alu instid0(VALU_DEP_2) | instskip(NEXT) | instid1(VALU_DEP_2)
	v_cndmask_b32_e64 v82, v93, v82, s4
	v_mul_f32_e32 v96, v94, v92
	s_mov_b32 s4, exec_lo
	s_delay_alu instid0(VALU_DEP_2) | instskip(NEXT) | instid1(VALU_DEP_2)
	v_cndmask_b32_e64 v82, v82, v89, s6
	v_fma_f32 v98, -v91, v96, v94
	s_delay_alu instid0(VALU_DEP_1) | instskip(NEXT) | instid1(VALU_DEP_1)
	v_fmac_f32_e32 v96, v98, v92
	v_fma_f32 v91, -v91, v96, v94
	s_delay_alu instid0(VALU_DEP_1) | instskip(NEXT) | instid1(VALU_DEP_1)
	v_div_fmas_f32 v91, v91, v92, v96
	v_div_fixup_f32 v90, v91, v90, 1.0
	s_delay_alu instid0(VALU_DEP_1) | instskip(NEXT) | instid1(VALU_DEP_1)
	v_mul_f32_e32 v82, v82, v90
	v_mul_f32_e32 v87, v82, v87
	;; [unrolled: 1-line block ×7, first 2 shown]
	v_dual_mul_f32 v86, v82, v83 :: v_dual_and_b32 v91, 0x7f800000, v90
	v_mul_f32_e32 v85, v82, v76
                                        ; implicit-def: $vgpr76
	s_delay_alu instid0(VALU_DEP_2)
	v_cmpx_ne_u32_e32 0x7f800000, v91
	s_xor_b32 s4, exec_lo, s4
; %bb.13:
	v_bfe_u32 v76, v90, 16, 1
	s_delay_alu instid0(VALU_DEP_1)
	v_add3_u32 v76, v90, v76, 0x7fff
                                        ; implicit-def: $vgpr90
; %bb.14:
	s_and_not1_saveexec_b32 s4, s4
; %bb.15:
	v_and_b32_e32 v76, 0xffff, v90
	v_or_b32_e32 v83, 0x10000, v90
	s_delay_alu instid0(VALU_DEP_2) | instskip(NEXT) | instid1(VALU_DEP_2)
	v_cmp_eq_u32_e32 vcc_lo, 0, v76
	v_cndmask_b32_e32 v76, v83, v90, vcc_lo
; %bb.16:
	s_or_b32 exec_lo, exec_lo, s4
	v_and_b32_e32 v83, 0x7f800000, v85
	s_delay_alu instid0(VALU_DEP_1) | instskip(SKIP_1) | instid1(SALU_CYCLE_1)
	v_cmp_ne_u32_e32 vcc_lo, 0x7f800000, v83
                                        ; implicit-def: $vgpr83
	s_and_saveexec_b32 s4, vcc_lo
	s_xor_b32 s4, exec_lo, s4
; %bb.17:
	v_bfe_u32 v83, v85, 16, 1
	s_delay_alu instid0(VALU_DEP_1)
	v_add3_u32 v83, v85, v83, 0x7fff
                                        ; implicit-def: $vgpr85
; %bb.18:
	s_and_not1_saveexec_b32 s4, s4
; %bb.19:
	v_and_b32_e32 v83, 0xffff, v85
	v_or_b32_e32 v90, 0x10000, v85
	s_delay_alu instid0(VALU_DEP_2) | instskip(NEXT) | instid1(VALU_DEP_2)
	v_cmp_eq_u32_e32 vcc_lo, 0, v83
	v_cndmask_b32_e32 v83, v90, v85, vcc_lo
; %bb.20:
	s_or_b32 exec_lo, exec_lo, s4
	v_and_b32_e32 v85, 0x7f800000, v86
	s_delay_alu instid0(VALU_DEP_1) | instskip(SKIP_1) | instid1(SALU_CYCLE_1)
	v_cmp_ne_u32_e32 vcc_lo, 0x7f800000, v85
                                        ; implicit-def: $vgpr85
	s_and_saveexec_b32 s4, vcc_lo
	s_xor_b32 s4, exec_lo, s4
; %bb.21:
	v_bfe_u32 v85, v86, 16, 1
	s_delay_alu instid0(VALU_DEP_1)
	v_add3_u32 v85, v86, v85, 0x7fff
                                        ; implicit-def: $vgpr86
; %bb.22:
	s_and_not1_saveexec_b32 s4, s4
; %bb.23:
	v_and_b32_e32 v85, 0xffff, v86
	v_or_b32_e32 v90, 0x10000, v86
	s_delay_alu instid0(VALU_DEP_2) | instskip(NEXT) | instid1(VALU_DEP_2)
	v_cmp_eq_u32_e32 vcc_lo, 0, v85
	v_cndmask_b32_e32 v85, v90, v86, vcc_lo
; %bb.24:
	s_or_b32 exec_lo, exec_lo, s4
	v_and_b32_e32 v86, 0x7f800000, v89
	s_delay_alu instid0(VALU_DEP_1) | instskip(SKIP_1) | instid1(SALU_CYCLE_1)
	v_cmp_ne_u32_e32 vcc_lo, 0x7f800000, v86
                                        ; implicit-def: $vgpr86
	s_and_saveexec_b32 s4, vcc_lo
	s_xor_b32 s4, exec_lo, s4
; %bb.25:
	v_bfe_u32 v86, v89, 16, 1
	s_delay_alu instid0(VALU_DEP_1)
	v_add3_u32 v86, v89, v86, 0x7fff
                                        ; implicit-def: $vgpr89
; %bb.26:
	s_and_not1_saveexec_b32 s4, s4
; %bb.27:
	v_and_b32_e32 v86, 0xffff, v89
	v_or_b32_e32 v90, 0x10000, v89
	s_delay_alu instid0(VALU_DEP_2) | instskip(NEXT) | instid1(VALU_DEP_2)
	v_cmp_eq_u32_e32 vcc_lo, 0, v86
	v_cndmask_b32_e32 v86, v90, v89, vcc_lo
; %bb.28:
	s_or_b32 exec_lo, exec_lo, s4
	v_and_b32_e32 v89, 0x7f800000, v88
	s_delay_alu instid0(VALU_DEP_1) | instskip(SKIP_1) | instid1(SALU_CYCLE_1)
	v_cmp_ne_u32_e32 vcc_lo, 0x7f800000, v89
                                        ; implicit-def: $vgpr89
	s_and_saveexec_b32 s4, vcc_lo
	s_xor_b32 s4, exec_lo, s4
; %bb.29:
	v_bfe_u32 v89, v88, 16, 1
	s_delay_alu instid0(VALU_DEP_1)
	v_add3_u32 v89, v88, v89, 0x7fff
                                        ; implicit-def: $vgpr88
; %bb.30:
	s_and_not1_saveexec_b32 s4, s4
; %bb.31:
	v_and_b32_e32 v89, 0xffff, v88
	v_or_b32_e32 v90, 0x10000, v88
	s_delay_alu instid0(VALU_DEP_2) | instskip(NEXT) | instid1(VALU_DEP_2)
	v_cmp_eq_u32_e32 vcc_lo, 0, v89
	v_cndmask_b32_e32 v89, v90, v88, vcc_lo
; %bb.32:
	s_or_b32 exec_lo, exec_lo, s4
	v_and_b32_e32 v88, 0x7f800000, v87
	s_delay_alu instid0(VALU_DEP_1) | instskip(SKIP_1) | instid1(SALU_CYCLE_1)
	v_cmp_ne_u32_e32 vcc_lo, 0x7f800000, v88
                                        ; implicit-def: $vgpr88
	s_and_saveexec_b32 s4, vcc_lo
	s_xor_b32 s4, exec_lo, s4
; %bb.33:
	v_bfe_u32 v88, v87, 16, 1
	s_delay_alu instid0(VALU_DEP_1)
	v_add3_u32 v88, v87, v88, 0x7fff
                                        ; implicit-def: $vgpr87
; %bb.34:
	s_and_not1_saveexec_b32 s4, s4
; %bb.35:
	v_and_b32_e32 v88, 0xffff, v87
	v_or_b32_e32 v90, 0x10000, v87
	s_delay_alu instid0(VALU_DEP_2) | instskip(NEXT) | instid1(VALU_DEP_2)
	v_cmp_eq_u32_e32 vcc_lo, 0, v88
	v_cndmask_b32_e32 v88, v90, v87, vcc_lo
; %bb.36:
	s_or_b32 exec_lo, exec_lo, s4
	v_and_b32_e32 v87, 0x7f800000, v84
	s_delay_alu instid0(VALU_DEP_1) | instskip(SKIP_1) | instid1(SALU_CYCLE_1)
	v_cmp_ne_u32_e32 vcc_lo, 0x7f800000, v87
                                        ; implicit-def: $vgpr87
	s_and_saveexec_b32 s4, vcc_lo
	s_xor_b32 s4, exec_lo, s4
; %bb.37:
	v_bfe_u32 v87, v84, 16, 1
	s_delay_alu instid0(VALU_DEP_1)
	v_add3_u32 v87, v84, v87, 0x7fff
                                        ; implicit-def: $vgpr84
; %bb.38:
	s_and_not1_saveexec_b32 s4, s4
; %bb.39:
	v_and_b32_e32 v87, 0xffff, v84
	v_or_b32_e32 v90, 0x10000, v84
	s_delay_alu instid0(VALU_DEP_2) | instskip(NEXT) | instid1(VALU_DEP_2)
	v_cmp_eq_u32_e32 vcc_lo, 0, v87
	v_cndmask_b32_e32 v87, v90, v84, vcc_lo
; %bb.40:
	s_or_b32 exec_lo, exec_lo, s4
	v_and_b32_e32 v84, 0x7f800000, v80
	s_delay_alu instid0(VALU_DEP_1) | instskip(SKIP_1) | instid1(SALU_CYCLE_1)
	v_cmp_ne_u32_e32 vcc_lo, 0x7f800000, v84
                                        ; implicit-def: $vgpr84
	s_and_saveexec_b32 s4, vcc_lo
	s_xor_b32 s4, exec_lo, s4
; %bb.41:
	v_bfe_u32 v84, v80, 16, 1
	s_delay_alu instid0(VALU_DEP_1)
	v_add3_u32 v84, v80, v84, 0x7fff
                                        ; implicit-def: $vgpr80
; %bb.42:
	s_and_not1_saveexec_b32 s4, s4
; %bb.43:
	v_and_b32_e32 v84, 0xffff, v80
	v_or_b32_e32 v90, 0x10000, v80
	s_delay_alu instid0(VALU_DEP_2) | instskip(NEXT) | instid1(VALU_DEP_2)
	v_cmp_eq_u32_e32 vcc_lo, 0, v84
	v_cndmask_b32_e32 v84, v90, v80, vcc_lo
; %bb.44:
	s_or_b32 exec_lo, exec_lo, s4
	s_load_b64 s[36:37], s[0:1], 0x94
	v_lshlrev_b32_e32 v91, 4, v74
	s_delay_alu instid0(VALU_DEP_2)
	v_perm_b32 v90, v84, v87, 0x7060302
	v_dual_mul_f32 v79, v82, v79 :: v_dual_lshlrev_b32 v80, 6, v65
	v_dual_mul_f32 v77, v82, v77 :: v_dual_lshlrev_b32 v92, 11, v66
	v_mul_f32_e32 v84, v82, v70
	v_perm_b32 v89, v88, v89, 0x7060302
	v_perm_b32 v88, v86, v85, 0x7060302
	;; [unrolled: 1-line block ×3, first 2 shown]
	v_mul_f32_e32 v70, v82, v81
	v_or3_b32 v76, v91, v92, v80
	v_dual_mul_f32 v78, v82, v78 :: v_dual_and_b32 v85, 0x7f800000, v84
	v_mul_f32_e32 v83, v82, v72
	v_mul_f32_e32 v81, v82, v71
	;; [unrolled: 1-line block ×3, first 2 shown]
	s_mov_b32 s4, exec_lo
	ds_store_b128 v76, v[87:90]
                                        ; implicit-def: $vgpr69
	v_cmpx_ne_u32_e32 0x7f800000, v85
	s_xor_b32 s4, exec_lo, s4
; %bb.45:
	v_bfe_u32 v69, v84, 16, 1
	s_delay_alu instid0(VALU_DEP_1)
	v_add3_u32 v69, v84, v69, 0x7fff
                                        ; implicit-def: $vgpr84
; %bb.46:
	s_and_not1_saveexec_b32 s4, s4
; %bb.47:
	v_and_b32_e32 v69, 0xffff, v84
	v_or_b32_e32 v71, 0x10000, v84
	s_delay_alu instid0(VALU_DEP_2) | instskip(NEXT) | instid1(VALU_DEP_2)
	v_cmp_eq_u32_e32 vcc_lo, 0, v69
	v_cndmask_b32_e32 v69, v71, v84, vcc_lo
; %bb.48:
	s_or_b32 exec_lo, exec_lo, s4
	v_and_b32_e32 v71, 0x7f800000, v72
	s_delay_alu instid0(VALU_DEP_1) | instskip(SKIP_1) | instid1(SALU_CYCLE_1)
	v_cmp_ne_u32_e32 vcc_lo, 0x7f800000, v71
                                        ; implicit-def: $vgpr71
	s_and_saveexec_b32 s4, vcc_lo
	s_xor_b32 s4, exec_lo, s4
; %bb.49:
	v_bfe_u32 v71, v72, 16, 1
	s_delay_alu instid0(VALU_DEP_1)
	v_add3_u32 v71, v72, v71, 0x7fff
                                        ; implicit-def: $vgpr72
; %bb.50:
	s_and_not1_saveexec_b32 s4, s4
; %bb.51:
	v_and_b32_e32 v71, 0xffff, v72
	v_or_b32_e32 v82, 0x10000, v72
	s_delay_alu instid0(VALU_DEP_2) | instskip(NEXT) | instid1(VALU_DEP_2)
	v_cmp_eq_u32_e32 vcc_lo, 0, v71
	v_cndmask_b32_e32 v71, v82, v72, vcc_lo
; %bb.52:
	s_or_b32 exec_lo, exec_lo, s4
	v_and_b32_e32 v72, 0x7f800000, v81
	s_delay_alu instid0(VALU_DEP_1) | instskip(SKIP_1) | instid1(SALU_CYCLE_1)
	v_cmp_ne_u32_e32 vcc_lo, 0x7f800000, v72
                                        ; implicit-def: $vgpr72
	s_and_saveexec_b32 s4, vcc_lo
	s_xor_b32 s4, exec_lo, s4
; %bb.53:
	v_bfe_u32 v72, v81, 16, 1
	s_delay_alu instid0(VALU_DEP_1)
	v_add3_u32 v72, v81, v72, 0x7fff
                                        ; implicit-def: $vgpr81
; %bb.54:
	s_and_not1_saveexec_b32 s4, s4
; %bb.55:
	v_and_b32_e32 v72, 0xffff, v81
	v_or_b32_e32 v82, 0x10000, v81
	s_delay_alu instid0(VALU_DEP_2) | instskip(NEXT) | instid1(VALU_DEP_2)
	v_cmp_eq_u32_e32 vcc_lo, 0, v72
	v_cndmask_b32_e32 v72, v82, v81, vcc_lo
; %bb.56:
	s_or_b32 exec_lo, exec_lo, s4
	v_and_b32_e32 v81, 0x7f800000, v83
	s_delay_alu instid0(VALU_DEP_1) | instskip(SKIP_1) | instid1(SALU_CYCLE_1)
	v_cmp_ne_u32_e32 vcc_lo, 0x7f800000, v81
                                        ; implicit-def: $vgpr81
	s_and_saveexec_b32 s4, vcc_lo
	s_xor_b32 s4, exec_lo, s4
; %bb.57:
	v_bfe_u32 v81, v83, 16, 1
	s_delay_alu instid0(VALU_DEP_1)
	v_add3_u32 v81, v83, v81, 0x7fff
                                        ; implicit-def: $vgpr83
; %bb.58:
	s_and_not1_saveexec_b32 s4, s4
; %bb.59:
	v_and_b32_e32 v81, 0xffff, v83
	v_or_b32_e32 v82, 0x10000, v83
	s_delay_alu instid0(VALU_DEP_2) | instskip(NEXT) | instid1(VALU_DEP_2)
	v_cmp_eq_u32_e32 vcc_lo, 0, v81
	v_cndmask_b32_e32 v81, v82, v83, vcc_lo
; %bb.60:
	s_or_b32 exec_lo, exec_lo, s4
	v_and_b32_e32 v82, 0x7f800000, v77
	s_delay_alu instid0(VALU_DEP_1) | instskip(SKIP_1) | instid1(SALU_CYCLE_1)
	v_cmp_ne_u32_e32 vcc_lo, 0x7f800000, v82
                                        ; implicit-def: $vgpr82
	s_and_saveexec_b32 s4, vcc_lo
	s_xor_b32 s4, exec_lo, s4
; %bb.61:
	v_bfe_u32 v82, v77, 16, 1
	s_delay_alu instid0(VALU_DEP_1)
	v_add3_u32 v82, v77, v82, 0x7fff
                                        ; implicit-def: $vgpr77
; %bb.62:
	s_and_not1_saveexec_b32 s4, s4
; %bb.63:
	v_and_b32_e32 v82, 0xffff, v77
	v_or_b32_e32 v83, 0x10000, v77
	s_delay_alu instid0(VALU_DEP_2) | instskip(NEXT) | instid1(VALU_DEP_2)
	v_cmp_eq_u32_e32 vcc_lo, 0, v82
	v_cndmask_b32_e32 v82, v83, v77, vcc_lo
; %bb.64:
	s_or_b32 exec_lo, exec_lo, s4
	v_and_b32_e32 v77, 0x7f800000, v78
	s_delay_alu instid0(VALU_DEP_1) | instskip(SKIP_1) | instid1(SALU_CYCLE_1)
	v_cmp_ne_u32_e32 vcc_lo, 0x7f800000, v77
                                        ; implicit-def: $vgpr77
	s_and_saveexec_b32 s4, vcc_lo
	s_xor_b32 s4, exec_lo, s4
; %bb.65:
	v_bfe_u32 v77, v78, 16, 1
	s_delay_alu instid0(VALU_DEP_1)
	v_add3_u32 v77, v78, v77, 0x7fff
                                        ; implicit-def: $vgpr78
; %bb.66:
	s_and_not1_saveexec_b32 s4, s4
; %bb.67:
	v_and_b32_e32 v77, 0xffff, v78
	v_or_b32_e32 v83, 0x10000, v78
	s_delay_alu instid0(VALU_DEP_2) | instskip(NEXT) | instid1(VALU_DEP_2)
	v_cmp_eq_u32_e32 vcc_lo, 0, v77
	v_cndmask_b32_e32 v77, v83, v78, vcc_lo
; %bb.68:
	s_or_b32 exec_lo, exec_lo, s4
	v_and_b32_e32 v78, 0x7f800000, v79
	s_delay_alu instid0(VALU_DEP_1) | instskip(SKIP_1) | instid1(SALU_CYCLE_1)
	v_cmp_ne_u32_e32 vcc_lo, 0x7f800000, v78
                                        ; implicit-def: $vgpr78
	s_and_saveexec_b32 s4, vcc_lo
	s_xor_b32 s4, exec_lo, s4
; %bb.69:
	v_bfe_u32 v78, v79, 16, 1
	s_delay_alu instid0(VALU_DEP_1)
	v_add3_u32 v78, v79, v78, 0x7fff
                                        ; implicit-def: $vgpr79
; %bb.70:
	s_and_not1_saveexec_b32 s4, s4
; %bb.71:
	v_and_b32_e32 v78, 0xffff, v79
	v_or_b32_e32 v83, 0x10000, v79
	s_delay_alu instid0(VALU_DEP_2) | instskip(NEXT) | instid1(VALU_DEP_2)
	v_cmp_eq_u32_e32 vcc_lo, 0, v78
	v_cndmask_b32_e32 v78, v83, v79, vcc_lo
; %bb.72:
	s_or_b32 exec_lo, exec_lo, s4
	v_and_b32_e32 v79, 0x7f800000, v70
	s_delay_alu instid0(VALU_DEP_1) | instskip(SKIP_1) | instid1(SALU_CYCLE_1)
	v_cmp_ne_u32_e32 vcc_lo, 0x7f800000, v79
                                        ; implicit-def: $vgpr79
	s_and_saveexec_b32 s4, vcc_lo
	s_xor_b32 s4, exec_lo, s4
; %bb.73:
	v_bfe_u32 v79, v70, 16, 1
	s_delay_alu instid0(VALU_DEP_1)
	v_add3_u32 v79, v70, v79, 0x7fff
                                        ; implicit-def: $vgpr70
; %bb.74:
	s_and_not1_saveexec_b32 s4, s4
; %bb.75:
	v_and_b32_e32 v79, 0xffff, v70
	v_or_b32_e32 v83, 0x10000, v70
	s_delay_alu instid0(VALU_DEP_2) | instskip(NEXT) | instid1(VALU_DEP_2)
	v_cmp_eq_u32_e32 vcc_lo, 0, v79
	v_cndmask_b32_e32 v79, v83, v70, vcc_lo
; %bb.76:
	s_or_b32 exec_lo, exec_lo, s4
	s_delay_alu instid0(VALU_DEP_1)
	v_perm_b32 v86, v79, v78, 0x7060302
	v_perm_b32 v85, v77, v82, 0x7060302
	;; [unrolled: 1-line block ×4, first 2 shown]
	v_lshl_or_b32 v82, v66, 11, v80
	ds_store_b128 v76, v[83:86] offset:1024
	s_waitcnt lgkmcnt(0)
	s_barrier
	buffer_gl0_inv
	ds_load_b128 v[69:72], v82
	ds_load_b128 v[83:86], v82 offset:16
	s_waitcnt lgkmcnt(1)
	v_lshrrev_b32_e32 v66, 16, v69
	s_waitcnt lgkmcnt(0)
	v_lshrrev_b32_e32 v91, 16, v83
	v_lshlrev_b32_e32 v78, 2, v74
	v_lshrrev_b32_e32 v95, 16, v70
	v_lshrrev_b32_e32 v98, 16, v84
	;; [unrolled: 1-line block ×4, first 2 shown]
	v_cmp_eq_u32_e32 vcc_lo, 1, v78
	v_lshrrev_b32_e32 v97, 16, v72
	v_lshrrev_b32_e32 v100, 16, v86
	v_cndmask_b32_e32 v87, v83, v91, vcc_lo
	v_or_b32_e32 v79, 1, v78
	v_cndmask_b32_e32 v81, v69, v66, vcc_lo
	v_cmp_eq_u32_e64 s5, 2, v78
	v_cmp_eq_u32_e64 s8, 3, v78
	;; [unrolled: 1-line block ×5, first 2 shown]
	v_cndmask_b32_e64 v81, v81, v70, s5
	v_cndmask_b32_e64 v87, v87, v84, s5
	v_cmp_eq_u32_e64 s9, 3, v79
	v_cndmask_b32_e64 v88, v69, v66, s4
	v_or_b32_e32 v77, 2, v78
	v_cndmask_b32_e64 v81, v81, v95, s8
	v_cndmask_b32_e64 v87, v87, v98, s8
	;; [unrolled: 1-line block ×4, first 2 shown]
	v_cmp_eq_u32_e64 s11, 5, v78
	v_cndmask_b32_e64 v81, v81, v71, s10
	v_cndmask_b32_e64 v87, v87, v85, s10
	v_cmp_eq_u32_e64 s12, 4, v79
	v_cndmask_b32_e64 v88, v88, v95, s9
	v_cmp_eq_u32_e64 s6, 1, v77
	v_cndmask_b32_e64 v89, v89, v84, s7
	v_cndmask_b32_e64 v81, v81, v96, s11
	v_cmp_eq_u32_e64 s13, 6, v78
	v_cndmask_b32_e64 v88, v88, v71, s12
	;; [unrolled: 3-line block ×3, first 2 shown]
	v_cndmask_b32_e64 v89, v89, v98, s9
	v_cndmask_b32_e64 v81, v81, v72, s13
	v_cmp_eq_u32_e64 s16, 7, v78
	v_cndmask_b32_e64 v88, v88, v96, s15
	v_cndmask_b32_e64 v87, v87, v86, s13
	v_cmp_eq_u32_e64 s17, 6, v79
	v_cmp_eq_u32_e64 s18, 2, v77
	v_cndmask_b32_e64 v89, v89, v85, s12
	v_cndmask_b32_e64 v101, v81, v97, s16
	;; [unrolled: 1-line block ×6, first 2 shown]
	v_cmp_eq_u32_e64 s19, 7, v79
	v_cmp_eq_u32_e64 s20, 3, v77
	;; [unrolled: 1-line block ×4, first 2 shown]
	v_cndmask_b32_e64 v87, v87, v84, s18
	v_cndmask_b32_e64 v103, v88, v97, s19
	;; [unrolled: 1-line block ×4, first 2 shown]
	v_or_b32_e32 v81, 3, v78
	v_cndmask_b32_e64 v93, v87, v98, s20
	v_cmp_eq_u32_e64 s25, 6, v77
	v_cndmask_b32_e64 v104, v88, v86, s17
	v_cndmask_b32_e64 v92, v89, v71, s21
	v_cmp_eq_u32_e64 s22, 1, v81
	ds_load_b128 v[87:90], v82 offset:1024
	v_cmp_eq_u32_e64 s24, 2, v81
	v_cmp_eq_u32_e64 s26, 3, v81
	v_cndmask_b32_e64 v105, v92, v96, s23
	v_cndmask_b32_e64 v66, v69, v66, s22
	;; [unrolled: 1-line block ×4, first 2 shown]
	ds_load_b128 v[91:94], v82 offset:1040
	v_cmp_eq_u32_e64 s27, 4, v81
	v_cndmask_b32_e64 v66, v66, v70, s24
	v_cmp_eq_u32_e64 s28, 7, v77
	v_cndmask_b32_e64 v70, v83, v84, s24
	v_cndmask_b32_e64 v84, v105, v72, s25
	v_cmp_eq_u32_e64 s29, 5, v81
	v_cndmask_b32_e64 v66, v66, v95, s26
	v_cmp_eq_u32_e64 s30, 6, v81
	v_cndmask_b32_e64 v70, v70, v98, s26
	v_cndmask_b32_e64 v69, v69, v99, s23
	;; [unrolled: 1-line block ×4, first 2 shown]
	s_waitcnt lgkmcnt(1)
	v_lshrrev_b32_e32 v95, 16, v87
	v_cndmask_b32_e64 v70, v70, v85, s27
	v_cndmask_b32_e64 v71, v84, v97, s28
	;; [unrolled: 1-line block ×4, first 2 shown]
	v_cndmask_b32_e32 v84, v87, v95, vcc_lo
	v_cndmask_b32_e64 v70, v70, v99, s29
	s_waitcnt lgkmcnt(0)
	v_lshrrev_b32_e32 v85, 16, v91
	v_lshrrev_b32_e32 v96, 16, v88
	v_cndmask_b32_e64 v98, v87, v95, s4
	v_cndmask_b32_e64 v84, v84, v88, s5
	;; [unrolled: 1-line block ×3, first 2 shown]
	v_cndmask_b32_e32 v99, v91, v85, vcc_lo
	v_cmp_eq_u32_e32 vcc_lo, 7, v81
	v_cndmask_b32_e64 v66, v66, v72, s30
	v_cndmask_b32_e64 v72, v84, v96, s8
	;; [unrolled: 1-line block ×3, first 2 shown]
	v_lshrrev_b32_e32 v98, 16, v92
	v_cndmask_b32_e32 v70, v70, v100, vcc_lo
	v_cndmask_b32_e64 v86, v99, v92, s5
	v_cndmask_b32_e64 v69, v69, v100, s28
	v_lshrrev_b32_e32 v100, 16, v93
	v_cndmask_b32_e64 v72, v72, v89, s10
	v_lshrrev_b32_e32 v99, 16, v89
	v_cndmask_b32_e64 v86, v86, v98, s8
	v_perm_b32 v71, v69, v71, 0x5040100
	v_cndmask_b32_e64 v84, v84, v96, s9
	s_delay_alu instid0(VALU_DEP_3) | instskip(NEXT) | instid1(VALU_DEP_2)
	v_cndmask_b32_e64 v86, v86, v93, s10
	v_cndmask_b32_e64 v84, v84, v89, s12
	s_delay_alu instid0(VALU_DEP_2) | instskip(NEXT) | instid1(VALU_DEP_1)
	v_cndmask_b32_e64 v86, v86, v100, s11
	v_cndmask_b32_e64 v69, v86, v94, s13
	;; [unrolled: 1-line block ×5, first 2 shown]
	s_delay_alu instid0(VALU_DEP_3) | instskip(NEXT) | instid1(VALU_DEP_3)
	v_cndmask_b32_e64 v86, v86, v88, s18
	v_cndmask_b32_e64 v87, v87, v88, s24
	s_delay_alu instid0(VALU_DEP_3) | instskip(NEXT) | instid1(VALU_DEP_3)
	v_cndmask_b32_e64 v88, v95, v92, s24
	v_cndmask_b32_e64 v86, v86, v96, s20
	;; [unrolled: 3-line block ×7, first 2 shown]
	s_delay_alu instid0(VALU_DEP_3) | instskip(SKIP_2) | instid1(VALU_DEP_2)
	v_cndmask_b32_e64 v88, v88, v94, s30
	v_cndmask_b32_e32 v66, v66, v97, vcc_lo
	v_cndmask_b32_e64 v97, v72, v99, s11
	v_perm_b32 v72, v70, v66, 0x5040100
	v_perm_b32 v70, v83, v103, 0x5040100
	v_cndmask_b32_e64 v103, v91, v85, s6
	v_cndmask_b32_e64 v85, v91, v85, s4
	v_cndmask_b32_e64 v66, v84, v99, s15
	v_cndmask_b32_e64 v84, v97, v90, s13
	v_lshrrev_b32_e32 v97, 16, v90
	v_cndmask_b32_e64 v91, v103, v92, s18
	v_cndmask_b32_e64 v85, v85, v92, s7
	v_cndmask_b32_e64 v66, v66, v90, s17
	s_mov_b32 s4, exec_lo
	v_cndmask_b32_e64 v83, v84, v97, s16
	v_cndmask_b32_e64 v91, v91, v98, s20
	;; [unrolled: 1-line block ×3, first 2 shown]
	v_lshrrev_b32_e32 v84, 16, v94
	v_cndmask_b32_e64 v66, v66, v97, s19
	v_cndmask_b32_e64 v90, v86, v97, s28
	;; [unrolled: 1-line block ×4, first 2 shown]
	v_dual_cndmask_b32 v86, v87, v97 :: v_dual_cndmask_b32 v87, v88, v84
	v_cndmask_b32_e64 v91, v69, v84, s16
	s_delay_alu instid0(VALU_DEP_4) | instskip(NEXT) | instid1(VALU_DEP_4)
	v_cndmask_b32_e64 v89, v89, v100, s23
	v_cndmask_b32_e64 v85, v85, v100, s15
	v_perm_b32 v69, v102, v101, 0x5040100
	v_perm_b32 v86, v87, v86, 0x5040100
	;; [unrolled: 1-line block ×3, first 2 shown]
	v_cndmask_b32_e64 v89, v89, v94, s25
	v_cndmask_b32_e64 v85, v85, v94, s17
	s_mul_i32 s9, s37, 7
	s_delay_alu instid0(VALU_DEP_2) | instskip(NEXT) | instid1(VALU_DEP_2)
	v_cndmask_b32_e64 v88, v89, v84, s28
	v_cndmask_b32_e64 v89, v85, v84, s19
	s_delay_alu instid0(VALU_DEP_2) | instskip(NEXT) | instid1(VALU_DEP_2)
	v_perm_b32 v85, v88, v90, 0x5040100
	v_perm_b32 v84, v89, v66, 0x5040100
	ds_store_b128 v76, v[69:72]
	ds_store_b128 v76, v[83:86] offset:1024
	v_cmpx_gt_u32_e32 7, v0
	s_cbranch_execz .LBB1764_78
; %bb.77:
	s_mul_i32 s5, s9, s34
	s_load_b128 s[16:19], s[0:1], 0x58
	v_add3_u32 v69, s5, s31, v65
	s_delay_alu instid0(VALU_DEP_1) | instskip(NEXT) | instid1(VALU_DEP_1)
	v_mad_u64_u32 v[65:66], null, v69, s36, s[14:15]
	v_ashrrev_i32_e32 v66, 31, v65
	s_delay_alu instid0(VALU_DEP_1) | instskip(SKIP_1) | instid1(VALU_DEP_1)
	v_lshlrev_b64 v[65:66], 2, v[65:66]
	s_waitcnt lgkmcnt(0)
	v_add_co_u32 v69, vcc_lo, s18, v65
	s_delay_alu instid0(VALU_DEP_2)
	v_add_co_ci_u32_e32 v70, vcc_lo, s19, v66, vcc_lo
	v_add_co_u32 v65, vcc_lo, s16, v65
	v_add_co_ci_u32_e32 v66, vcc_lo, s17, v66, vcc_lo
	global_store_b32 v[69:70], v67, off
	global_store_b32 v[65:66], v68, off
.LBB1764_78:
	s_or_b32 exec_lo, exec_lo, s4
	s_waitcnt lgkmcnt(0)
	s_waitcnt_vscnt null, 0x0
	s_barrier
	buffer_gl0_inv
	ds_load_b128 v[83:86], v80
	ds_load_b128 v[87:90], v80 offset:16
	ds_load_b128 v[95:98], v80 offset:2064
	;; [unrolled: 1-line block ×3, first 2 shown]
	v_mov_b32_e32 v65, 0
	ds_load_b128 v[103:106], v80 offset:4112
	ds_load_b128 v[99:102], v80 offset:4096
	;; [unrolled: 1-line block ×4, first 2 shown]
	v_mov_b32_e32 v66, v65
	v_mov_b32_e32 v67, v65
	;; [unrolled: 1-line block ×7, first 2 shown]
	s_waitcnt lgkmcnt(6)
	s_delay_alu instid0(VALU_DEP_1)
	v_wmma_f32_16x16x16_bf16 v[65:72], v[57:64], v[83:90], v[65:72]
	ds_load_b128 v[61:64], v80 offset:8208
	ds_load_b128 v[57:60], v80 offset:8192
	s_waitcnt lgkmcnt(6)
	v_wmma_f32_16x16x16_bf16 v[65:72], v[41:48], v[91:98], v[65:72]
	ds_load_b128 v[45:48], v80 offset:10256
	ds_load_b128 v[41:44], v80 offset:10240
	s_waitcnt lgkmcnt(6)
	;; [unrolled: 4-line block ×4, first 2 shown]
	v_wmma_f32_16x16x16_bf16 v[65:72], v[1:8], v[57:64], v[65:72]
	s_waitcnt lgkmcnt(4)
	s_delay_alu instid0(VALU_DEP_1) | instskip(SKIP_1) | instid1(VALU_DEP_1)
	v_wmma_f32_16x16x16_bf16 v[65:72], v[9:16], v[41:48], v[65:72]
	s_waitcnt lgkmcnt(2)
	v_wmma_f32_16x16x16_bf16 v[65:72], v[17:24], v[33:40], v[65:72]
	s_waitcnt lgkmcnt(0)
	s_delay_alu instid0(VALU_DEP_1) | instskip(NEXT) | instid1(VALU_DEP_1)
	v_wmma_f32_16x16x16_bf16 v[65:72], v[49:56], v[25:32], v[65:72]
	v_and_b32_e32 v1, 0x7f800000, v65
	s_delay_alu instid0(VALU_DEP_1) | instskip(SKIP_1) | instid1(SALU_CYCLE_1)
	v_cmp_ne_u32_e32 vcc_lo, 0x7f800000, v1
                                        ; implicit-def: $vgpr1
	s_and_saveexec_b32 s4, vcc_lo
	s_xor_b32 s4, exec_lo, s4
; %bb.79:
	v_bfe_u32 v1, v65, 16, 1
	s_delay_alu instid0(VALU_DEP_1)
	v_add3_u32 v1, v65, v1, 0x7fff
; %bb.80:
	s_and_not1_saveexec_b32 s4, s4
; %bb.81:
	v_and_b32_e32 v1, 0xffff, v65
	v_or_b32_e32 v2, 0x10000, v65
	s_delay_alu instid0(VALU_DEP_2) | instskip(NEXT) | instid1(VALU_DEP_2)
	v_cmp_eq_u32_e32 vcc_lo, 0, v1
	v_cndmask_b32_e32 v1, v2, v65, vcc_lo
; %bb.82:
	s_or_b32 exec_lo, exec_lo, s4
	v_and_b32_e32 v2, 0x7f800000, v66
	s_delay_alu instid0(VALU_DEP_1) | instskip(SKIP_1) | instid1(SALU_CYCLE_1)
	v_cmp_ne_u32_e32 vcc_lo, 0x7f800000, v2
                                        ; implicit-def: $vgpr2
	s_and_saveexec_b32 s4, vcc_lo
	s_xor_b32 s4, exec_lo, s4
; %bb.83:
	v_bfe_u32 v2, v66, 16, 1
	s_delay_alu instid0(VALU_DEP_1)
	v_add3_u32 v2, v66, v2, 0x7fff
; %bb.84:
	s_and_not1_saveexec_b32 s4, s4
; %bb.85:
	v_and_b32_e32 v2, 0xffff, v66
	v_or_b32_e32 v3, 0x10000, v66
	s_delay_alu instid0(VALU_DEP_2) | instskip(NEXT) | instid1(VALU_DEP_2)
	v_cmp_eq_u32_e32 vcc_lo, 0, v2
	v_cndmask_b32_e32 v2, v3, v66, vcc_lo
; %bb.86:
	s_or_b32 exec_lo, exec_lo, s4
	v_and_b32_e32 v3, 0x7f800000, v67
	s_delay_alu instid0(VALU_DEP_1) | instskip(SKIP_1) | instid1(SALU_CYCLE_1)
	v_cmp_ne_u32_e32 vcc_lo, 0x7f800000, v3
                                        ; implicit-def: $vgpr3
	s_and_saveexec_b32 s4, vcc_lo
	s_xor_b32 s4, exec_lo, s4
; %bb.87:
	v_bfe_u32 v3, v67, 16, 1
	s_delay_alu instid0(VALU_DEP_1)
	v_add3_u32 v3, v67, v3, 0x7fff
; %bb.88:
	s_and_not1_saveexec_b32 s4, s4
; %bb.89:
	v_and_b32_e32 v3, 0xffff, v67
	v_or_b32_e32 v4, 0x10000, v67
	s_delay_alu instid0(VALU_DEP_2) | instskip(NEXT) | instid1(VALU_DEP_2)
	v_cmp_eq_u32_e32 vcc_lo, 0, v3
	v_cndmask_b32_e32 v3, v4, v67, vcc_lo
; %bb.90:
	s_or_b32 exec_lo, exec_lo, s4
	v_and_b32_e32 v4, 0x7f800000, v68
	s_delay_alu instid0(VALU_DEP_1) | instskip(SKIP_1) | instid1(SALU_CYCLE_1)
	v_cmp_ne_u32_e32 vcc_lo, 0x7f800000, v4
                                        ; implicit-def: $vgpr4
	s_and_saveexec_b32 s4, vcc_lo
	s_xor_b32 s4, exec_lo, s4
; %bb.91:
	v_bfe_u32 v4, v68, 16, 1
	s_delay_alu instid0(VALU_DEP_1)
	v_add3_u32 v4, v68, v4, 0x7fff
; %bb.92:
	s_and_not1_saveexec_b32 s4, s4
; %bb.93:
	v_and_b32_e32 v4, 0xffff, v68
	v_or_b32_e32 v5, 0x10000, v68
	s_delay_alu instid0(VALU_DEP_2) | instskip(NEXT) | instid1(VALU_DEP_2)
	v_cmp_eq_u32_e32 vcc_lo, 0, v4
	v_cndmask_b32_e32 v4, v5, v68, vcc_lo
; %bb.94:
	s_or_b32 exec_lo, exec_lo, s4
	v_and_b32_e32 v5, 0x7f800000, v69
	s_delay_alu instid0(VALU_DEP_1) | instskip(SKIP_1) | instid1(SALU_CYCLE_1)
	v_cmp_ne_u32_e32 vcc_lo, 0x7f800000, v5
                                        ; implicit-def: $vgpr5
	s_and_saveexec_b32 s4, vcc_lo
	s_xor_b32 s4, exec_lo, s4
; %bb.95:
	v_bfe_u32 v5, v69, 16, 1
	s_delay_alu instid0(VALU_DEP_1)
	v_add3_u32 v5, v69, v5, 0x7fff
; %bb.96:
	s_and_not1_saveexec_b32 s4, s4
; %bb.97:
	v_and_b32_e32 v5, 0xffff, v69
	v_or_b32_e32 v6, 0x10000, v69
	s_delay_alu instid0(VALU_DEP_2) | instskip(NEXT) | instid1(VALU_DEP_2)
	v_cmp_eq_u32_e32 vcc_lo, 0, v5
	v_cndmask_b32_e32 v5, v6, v69, vcc_lo
; %bb.98:
	s_or_b32 exec_lo, exec_lo, s4
	v_and_b32_e32 v6, 0x7f800000, v70
	s_delay_alu instid0(VALU_DEP_1) | instskip(SKIP_1) | instid1(SALU_CYCLE_1)
	v_cmp_ne_u32_e32 vcc_lo, 0x7f800000, v6
                                        ; implicit-def: $vgpr6
	s_and_saveexec_b32 s4, vcc_lo
	s_xor_b32 s4, exec_lo, s4
; %bb.99:
	v_bfe_u32 v6, v70, 16, 1
	s_delay_alu instid0(VALU_DEP_1)
	v_add3_u32 v6, v70, v6, 0x7fff
; %bb.100:
	s_and_not1_saveexec_b32 s4, s4
; %bb.101:
	v_and_b32_e32 v6, 0xffff, v70
	v_or_b32_e32 v7, 0x10000, v70
	s_delay_alu instid0(VALU_DEP_2) | instskip(NEXT) | instid1(VALU_DEP_2)
	v_cmp_eq_u32_e32 vcc_lo, 0, v6
	v_cndmask_b32_e32 v6, v7, v70, vcc_lo
; %bb.102:
	s_or_b32 exec_lo, exec_lo, s4
	v_and_b32_e32 v7, 0x7f800000, v71
	s_delay_alu instid0(VALU_DEP_1) | instskip(SKIP_1) | instid1(SALU_CYCLE_1)
	v_cmp_ne_u32_e32 vcc_lo, 0x7f800000, v7
                                        ; implicit-def: $vgpr7
	s_and_saveexec_b32 s4, vcc_lo
	s_xor_b32 s4, exec_lo, s4
; %bb.103:
	v_bfe_u32 v7, v71, 16, 1
	s_delay_alu instid0(VALU_DEP_1)
	v_add3_u32 v7, v71, v7, 0x7fff
; %bb.104:
	s_and_not1_saveexec_b32 s4, s4
; %bb.105:
	v_and_b32_e32 v7, 0xffff, v71
	v_or_b32_e32 v8, 0x10000, v71
	s_delay_alu instid0(VALU_DEP_2) | instskip(NEXT) | instid1(VALU_DEP_2)
	v_cmp_eq_u32_e32 vcc_lo, 0, v7
	v_cndmask_b32_e32 v7, v8, v71, vcc_lo
; %bb.106:
	s_or_b32 exec_lo, exec_lo, s4
	v_and_b32_e32 v8, 0x7f800000, v72
	s_delay_alu instid0(VALU_DEP_1) | instskip(SKIP_1) | instid1(SALU_CYCLE_1)
	v_cmp_ne_u32_e32 vcc_lo, 0x7f800000, v8
                                        ; implicit-def: $vgpr8
	s_and_saveexec_b32 s4, vcc_lo
	s_xor_b32 s4, exec_lo, s4
; %bb.107:
	v_bfe_u32 v8, v72, 16, 1
	s_delay_alu instid0(VALU_DEP_1)
	v_add3_u32 v8, v72, v8, 0x7fff
                                        ; implicit-def: $vgpr65_vgpr66_vgpr67_vgpr68_vgpr69_vgpr70_vgpr71_vgpr72
; %bb.108:
	s_and_not1_saveexec_b32 s4, s4
; %bb.109:
	v_and_b32_e32 v8, 0xffff, v72
	v_or_b32_e32 v9, 0x10000, v72
	s_delay_alu instid0(VALU_DEP_2) | instskip(NEXT) | instid1(VALU_DEP_2)
	v_cmp_eq_u32_e32 vcc_lo, 0, v8
	v_cndmask_b32_e32 v8, v9, v72, vcc_lo
; %bb.110:
	s_or_b32 exec_lo, exec_lo, s4
	s_delay_alu instid0(VALU_DEP_1)
	v_perm_b32 v7, v8, v7, 0x7060302
	v_perm_b32 v6, v6, v5, 0x7060302
	;; [unrolled: 1-line block ×4, first 2 shown]
	s_barrier
	buffer_gl0_inv
	v_cmp_eq_u32_e32 vcc_lo, 1, v78
	ds_store_b128 v76, v[4:7]
	s_waitcnt lgkmcnt(0)
	s_barrier
	buffer_gl0_inv
	ds_load_b128 v[1:4], v82
	ds_load_b128 v[5:8], v82 offset:16
	v_cmp_eq_u32_e64 s4, 1, v79
	v_cmp_eq_u32_e64 s5, 2, v78
	;; [unrolled: 1-line block ×5, first 2 shown]
	s_waitcnt lgkmcnt(1)
	v_lshrrev_b32_e32 v9, 16, v1
	s_waitcnt lgkmcnt(0)
	v_lshrrev_b32_e32 v13, 16, v5
	v_lshrrev_b32_e32 v10, 16, v2
	;; [unrolled: 1-line block ×4, first 2 shown]
	v_cndmask_b32_e64 v19, v1, v9, s4
	v_cndmask_b32_e32 v18, v5, v13, vcc_lo
	v_cndmask_b32_e64 v20, v5, v13, s4
	v_cndmask_b32_e32 v17, v1, v9, vcc_lo
	v_cmp_eq_u32_e32 vcc_lo, 2, v79
	v_lshrrev_b32_e32 v15, 16, v7
	v_cmp_eq_u32_e64 s4, 1, v77
	v_lshrrev_b32_e32 v12, 16, v4
	v_lshrrev_b32_e32 v16, 16, v8
	v_cndmask_b32_e32 v20, v20, v6, vcc_lo
	v_cndmask_b32_e64 v17, v17, v2, s5
	v_cndmask_b32_e32 v19, v19, v2, vcc_lo
	v_cndmask_b32_e64 v18, v18, v6, s5
	v_cmp_eq_u32_e32 vcc_lo, 4, v78
	v_cmp_eq_u32_e64 s5, 3, v79
	v_cndmask_b32_e64 v17, v17, v10, s6
	v_cndmask_b32_e64 v21, v1, v9, s4
	;; [unrolled: 1-line block ×5, first 2 shown]
	v_cndmask_b32_e32 v17, v17, v3, vcc_lo
	v_cndmask_b32_e64 v20, v20, v14, s5
	v_cndmask_b32_e32 v18, v18, v7, vcc_lo
	v_cmp_eq_u32_e32 vcc_lo, 4, v79
	v_cmp_eq_u32_e64 s5, 5, v79
	v_cmp_eq_u32_e64 s4, 2, v81
	v_cndmask_b32_e64 v21, v21, v2, s8
	v_cmp_eq_u32_e64 s6, 5, v78
	v_cndmask_b32_e32 v19, v19, v3, vcc_lo
	v_cndmask_b32_e32 v20, v20, v7, vcc_lo
	v_cmp_eq_u32_e32 vcc_lo, 6, v79
	s_delay_alu instid0(VALU_DEP_4) | instskip(NEXT) | instid1(VALU_DEP_4)
	v_cndmask_b32_e64 v17, v17, v11, s6
	v_cndmask_b32_e64 v19, v19, v11, s5
	s_delay_alu instid0(VALU_DEP_4) | instskip(SKIP_1) | instid1(VALU_DEP_3)
	v_cndmask_b32_e64 v20, v20, v15, s5
	v_cmp_eq_u32_e64 s5, 1, v81
	v_cndmask_b32_e32 v19, v19, v4, vcc_lo
	v_cndmask_b32_e64 v18, v18, v15, s6
	s_delay_alu instid0(VALU_DEP_3)
	v_cndmask_b32_e64 v1, v1, v9, s5
	v_cndmask_b32_e64 v5, v5, v13, s5
	v_cmp_eq_u32_e64 s5, 3, v77
	v_cndmask_b32_e64 v13, v22, v6, s8
	v_cmp_eq_u32_e64 s8, 3, v81
	v_cndmask_b32_e64 v1, v1, v2, s4
	v_cndmask_b32_e64 v2, v5, v6, s4
	;; [unrolled: 1-line block ×3, first 2 shown]
	v_cmp_eq_u32_e64 s4, 4, v77
	v_cndmask_b32_e64 v6, v13, v14, s5
	v_cndmask_b32_e64 v1, v1, v10, s8
	v_cmp_eq_u32_e64 s5, 4, v81
	v_cndmask_b32_e64 v2, v2, v14, s8
	v_cndmask_b32_e64 v5, v9, v3, s4
	;; [unrolled: 3-line block ×3, first 2 shown]
	v_cndmask_b32_e64 v2, v2, v7, s5
	v_cmp_eq_u32_e64 s4, 5, v81
	v_cmp_eq_u32_e64 s6, 6, v78
	v_cndmask_b32_e64 v5, v5, v11, s8
	v_cmp_eq_u32_e64 s5, 6, v77
	v_cndmask_b32_e64 v3, v6, v15, s8
	v_cndmask_b32_e64 v1, v1, v11, s4
	v_cmp_eq_u32_e64 s8, 6, v81
	v_cndmask_b32_e64 v2, v2, v15, s4
	v_cndmask_b32_e64 v17, v17, v4, s6
	v_cndmask_b32_e64 v18, v18, v8, s6
	v_cmp_eq_u32_e64 s6, 7, v78
	v_cndmask_b32_e64 v5, v5, v4, s5
	;; [unrolled: 4-line block ×3, first 2 shown]
	v_cmp_eq_u32_e64 s5, 7, v77
	v_cndmask_b32_e32 v4, v20, v8, vcc_lo
	v_cndmask_b32_e64 v17, v17, v12, s6
	v_cndmask_b32_e64 v19, v19, v12, s7
	v_cndmask_b32_e64 v1, v1, v12, s4
	v_cndmask_b32_e64 v5, v5, v12, s5
	v_cndmask_b32_e64 v2, v2, v16, s4
	v_cndmask_b32_e64 v3, v3, v16, s5
	v_cndmask_b32_e64 v6, v4, v16, s7
	v_cndmask_b32_e64 v7, v18, v16, s6
	v_cmp_gt_u32_e32 vcc_lo, 32, v0
	v_perm_b32 v4, v2, v1, 0x5040100
	v_perm_b32 v3, v3, v5, 0x5040100
	;; [unrolled: 1-line block ×4, first 2 shown]
	s_and_b32 s2, vcc_lo, s2
	ds_store_b128 v76, v[1:4]
	s_waitcnt lgkmcnt(0)
	s_barrier
	buffer_gl0_inv
	s_and_saveexec_b32 s4, s2
	s_cbranch_execz .LBB1764_2
; %bb.111:
	s_load_b64 s[4:5], s[0:1], 0x68
	v_lshlrev_b32_e32 v0, 10, v0
	v_add_nc_u32_e32 v2, s31, v74
	v_lshlrev_b32_e32 v3, 4, v75
	s_lshl_b32 s0, s36, 6
	s_delay_alu instid0(SALU_CYCLE_1) | instskip(NEXT) | instid1(VALU_DEP_2)
	s_mul_i32 s1, s0, s34
	v_mul_lo_u32 v1, v2, s0
	s_delay_alu instid0(VALU_DEP_2)
	v_and_or_b32 v0, 0x3800, v0, v3
	v_add_nc_u32_e32 v3, 2, v2
	s_mul_i32 s6, s1, s9
	v_add_nc_u32_e32 v4, 4, v2
	s_ashr_i32 s7, s6, 31
	v_lshl_or_b32 v11, v74, 6, v0
	s_lshl_b64 s[6:7], s[6:7], 1
	v_mul_lo_u32 v15, v3, s0
	v_mul_lo_u32 v17, v4, s0
	v_ashrrev_i32_e32 v2, 31, v1
	ds_load_b128 v[3:6], v11
	ds_load_b128 v[7:10], v11 offset:128
	ds_load_b128 v[11:14], v11 offset:256
	s_waitcnt lgkmcnt(0)
	s_add_u32 s1, s4, s6
	s_addc_u32 s2, s5, s7
	s_lshl_b32 s4, s14, 6
	v_ashrrev_i32_e32 v16, 31, v15
	s_ashr_i32 s5, s4, 31
	v_lshlrev_b64 v[19:20], 1, v[1:2]
	s_lshl_b64 s[4:5], s[4:5], 1
	v_ashrrev_i32_e32 v18, 31, v17
	s_add_u32 s1, s1, s4
	s_addc_u32 s2, s2, s5
	v_add_co_u32 v1, s1, s1, v73
	s_delay_alu instid0(VALU_DEP_1) | instskip(SKIP_1) | instid1(VALU_DEP_3)
	v_add_co_ci_u32_e64 v2, null, s2, 0, s1
	v_lshlrev_b64 v[15:16], 1, v[15:16]
	v_add_co_u32 v19, vcc_lo, v1, v19
	v_lshlrev_b64 v[17:18], 1, v[17:18]
	s_delay_alu instid0(VALU_DEP_4) | instskip(NEXT) | instid1(VALU_DEP_4)
	v_add_co_ci_u32_e32 v20, vcc_lo, v2, v20, vcc_lo
	v_add_co_u32 v15, vcc_lo, v1, v15
	v_add_co_ci_u32_e32 v16, vcc_lo, v2, v16, vcc_lo
	s_delay_alu instid0(VALU_DEP_4)
	v_add_co_u32 v17, vcc_lo, v1, v17
	v_add_co_ci_u32_e32 v18, vcc_lo, v2, v18, vcc_lo
	s_clause 0x2
	global_store_b128 v[19:20], v[3:6], off
	global_store_b128 v[15:16], v[7:10], off
	;; [unrolled: 1-line block ×3, first 2 shown]
	s_and_b32 exec_lo, exec_lo, s3
	s_cbranch_execz .LBB1764_2
; %bb.112:
	ds_load_b128 v[3:6], v0 offset:384
	s_add_i32 s1, s31, 6
	s_delay_alu instid0(SALU_CYCLE_1) | instskip(NEXT) | instid1(SALU_CYCLE_1)
	s_mul_i32 s0, s1, s0
	s_ashr_i32 s1, s0, 31
	s_delay_alu instid0(SALU_CYCLE_1) | instskip(NEXT) | instid1(SALU_CYCLE_1)
	s_lshl_b64 s[0:1], s[0:1], 1
	v_add_co_u32 v0, vcc_lo, v1, s0
	v_add_co_ci_u32_e32 v1, vcc_lo, s1, v2, vcc_lo
	s_waitcnt lgkmcnt(0)
	global_store_b128 v[0:1], v[3:6], off
	s_nop 0
	s_sendmsg sendmsg(MSG_DEALLOC_VGPRS)
	s_endpgm
	.section	.rodata,"a",@progbits
	.p2align	6, 0x0
	.amdhsa_kernel _Z39paged_attention_ll4mi_QKV_mfma16_kernelI14__hip_bfloat16hLN4vllm18Fp8KVCacheDataTypeE1ES0_Li32ELi64ELi256ELb1ELi7EL8MFMAType0EEvPKT_PKT0_S9_ifPKiSB_SB_iPKfiiiPfSE_PS4_PT2_iSD_SD_
		.amdhsa_group_segment_fixed_size 17472
		.amdhsa_private_segment_fixed_size 0
		.amdhsa_kernarg_size 400
		.amdhsa_user_sgpr_count 13
		.amdhsa_user_sgpr_dispatch_ptr 0
		.amdhsa_user_sgpr_queue_ptr 0
		.amdhsa_user_sgpr_kernarg_segment_ptr 1
		.amdhsa_user_sgpr_dispatch_id 0
		.amdhsa_user_sgpr_private_segment_size 0
		.amdhsa_wavefront_size32 1
		.amdhsa_uses_dynamic_stack 0
		.amdhsa_enable_private_segment 0
		.amdhsa_system_sgpr_workgroup_id_x 1
		.amdhsa_system_sgpr_workgroup_id_y 1
		.amdhsa_system_sgpr_workgroup_id_z 1
		.amdhsa_system_sgpr_workgroup_info 0
		.amdhsa_system_vgpr_workitem_id 0
		.amdhsa_next_free_vgpr 124
		.amdhsa_next_free_sgpr 42
		.amdhsa_reserve_vcc 1
		.amdhsa_float_round_mode_32 0
		.amdhsa_float_round_mode_16_64 0
		.amdhsa_float_denorm_mode_32 3
		.amdhsa_float_denorm_mode_16_64 3
		.amdhsa_dx10_clamp 1
		.amdhsa_ieee_mode 1
		.amdhsa_fp16_overflow 0
		.amdhsa_workgroup_processor_mode 1
		.amdhsa_memory_ordered 1
		.amdhsa_forward_progress 0
		.amdhsa_shared_vgpr_count 0
		.amdhsa_exception_fp_ieee_invalid_op 0
		.amdhsa_exception_fp_denorm_src 0
		.amdhsa_exception_fp_ieee_div_zero 0
		.amdhsa_exception_fp_ieee_overflow 0
		.amdhsa_exception_fp_ieee_underflow 0
		.amdhsa_exception_fp_ieee_inexact 0
		.amdhsa_exception_int_div_zero 0
	.end_amdhsa_kernel
	.section	.text._Z39paged_attention_ll4mi_QKV_mfma16_kernelI14__hip_bfloat16hLN4vllm18Fp8KVCacheDataTypeE1ES0_Li32ELi64ELi256ELb1ELi7EL8MFMAType0EEvPKT_PKT0_S9_ifPKiSB_SB_iPKfiiiPfSE_PS4_PT2_iSD_SD_,"axG",@progbits,_Z39paged_attention_ll4mi_QKV_mfma16_kernelI14__hip_bfloat16hLN4vllm18Fp8KVCacheDataTypeE1ES0_Li32ELi64ELi256ELb1ELi7EL8MFMAType0EEvPKT_PKT0_S9_ifPKiSB_SB_iPKfiiiPfSE_PS4_PT2_iSD_SD_,comdat
.Lfunc_end1764:
	.size	_Z39paged_attention_ll4mi_QKV_mfma16_kernelI14__hip_bfloat16hLN4vllm18Fp8KVCacheDataTypeE1ES0_Li32ELi64ELi256ELb1ELi7EL8MFMAType0EEvPKT_PKT0_S9_ifPKiSB_SB_iPKfiiiPfSE_PS4_PT2_iSD_SD_, .Lfunc_end1764-_Z39paged_attention_ll4mi_QKV_mfma16_kernelI14__hip_bfloat16hLN4vllm18Fp8KVCacheDataTypeE1ES0_Li32ELi64ELi256ELb1ELi7EL8MFMAType0EEvPKT_PKT0_S9_ifPKiSB_SB_iPKfiiiPfSE_PS4_PT2_iSD_SD_
                                        ; -- End function
	.section	.AMDGPU.csdata,"",@progbits
; Kernel info:
; codeLenInByte = 8828
; NumSgprs: 44
; NumVgprs: 124
; ScratchSize: 0
; MemoryBound: 0
; FloatMode: 240
; IeeeMode: 1
; LDSByteSize: 17472 bytes/workgroup (compile time only)
; SGPRBlocks: 5
; VGPRBlocks: 15
; NumSGPRsForWavesPerEU: 44
; NumVGPRsForWavesPerEU: 124
; Occupancy: 10
; WaveLimiterHint : 1
; COMPUTE_PGM_RSRC2:SCRATCH_EN: 0
; COMPUTE_PGM_RSRC2:USER_SGPR: 13
; COMPUTE_PGM_RSRC2:TRAP_HANDLER: 0
; COMPUTE_PGM_RSRC2:TGID_X_EN: 1
; COMPUTE_PGM_RSRC2:TGID_Y_EN: 1
; COMPUTE_PGM_RSRC2:TGID_Z_EN: 1
; COMPUTE_PGM_RSRC2:TIDIG_COMP_CNT: 0
	.section	.text._Z39paged_attention_ll4mi_QKV_mfma16_kernelI14__hip_bfloat16hLN4vllm18Fp8KVCacheDataTypeE1ES0_Li32ELi64ELi256ELb1ELi8EL8MFMAType0EEvPKT_PKT0_S9_ifPKiSB_SB_iPKfiiiPfSE_PS4_PT2_iSD_SD_,"axG",@progbits,_Z39paged_attention_ll4mi_QKV_mfma16_kernelI14__hip_bfloat16hLN4vllm18Fp8KVCacheDataTypeE1ES0_Li32ELi64ELi256ELb1ELi8EL8MFMAType0EEvPKT_PKT0_S9_ifPKiSB_SB_iPKfiiiPfSE_PS4_PT2_iSD_SD_,comdat
	.protected	_Z39paged_attention_ll4mi_QKV_mfma16_kernelI14__hip_bfloat16hLN4vllm18Fp8KVCacheDataTypeE1ES0_Li32ELi64ELi256ELb1ELi8EL8MFMAType0EEvPKT_PKT0_S9_ifPKiSB_SB_iPKfiiiPfSE_PS4_PT2_iSD_SD_ ; -- Begin function _Z39paged_attention_ll4mi_QKV_mfma16_kernelI14__hip_bfloat16hLN4vllm18Fp8KVCacheDataTypeE1ES0_Li32ELi64ELi256ELb1ELi8EL8MFMAType0EEvPKT_PKT0_S9_ifPKiSB_SB_iPKfiiiPfSE_PS4_PT2_iSD_SD_
	.globl	_Z39paged_attention_ll4mi_QKV_mfma16_kernelI14__hip_bfloat16hLN4vllm18Fp8KVCacheDataTypeE1ES0_Li32ELi64ELi256ELb1ELi8EL8MFMAType0EEvPKT_PKT0_S9_ifPKiSB_SB_iPKfiiiPfSE_PS4_PT2_iSD_SD_
	.p2align	8
	.type	_Z39paged_attention_ll4mi_QKV_mfma16_kernelI14__hip_bfloat16hLN4vllm18Fp8KVCacheDataTypeE1ES0_Li32ELi64ELi256ELb1ELi8EL8MFMAType0EEvPKT_PKT0_S9_ifPKiSB_SB_iPKfiiiPfSE_PS4_PT2_iSD_SD_,@function
_Z39paged_attention_ll4mi_QKV_mfma16_kernelI14__hip_bfloat16hLN4vllm18Fp8KVCacheDataTypeE1ES0_Li32ELi64ELi256ELb1ELi8EL8MFMAType0EEvPKT_PKT0_S9_ifPKiSB_SB_iPKfiiiPfSE_PS4_PT2_iSD_SD_: ; @_Z39paged_attention_ll4mi_QKV_mfma16_kernelI14__hip_bfloat16hLN4vllm18Fp8KVCacheDataTypeE1ES0_Li32ELi64ELi256ELb1ELi8EL8MFMAType0EEvPKT_PKT0_S9_ifPKiSB_SB_iPKfiiiPfSE_PS4_PT2_iSD_SD_
; %bb.0:
	s_load_b64 s[2:3], s[0:1], 0x30
	s_mov_b32 s30, s13
	s_waitcnt lgkmcnt(0)
	s_cmp_lg_u64 s[2:3], 0
	s_cselect_b32 s8, -1, 0
	s_ashr_i32 s31, s13, 31
	s_cmp_eq_u64 s[2:3], 0
	s_cbranch_scc1 .LBB1765_3
; %bb.1:
	s_lshl_b64 s[4:5], s[30:31], 2
	s_delay_alu instid0(SALU_CYCLE_1) | instskip(SKIP_4) | instid1(SALU_CYCLE_1)
	s_add_u32 s4, s2, s4
	s_addc_u32 s5, s3, s5
	s_load_b64 s[4:5], s[4:5], 0x0
	s_waitcnt lgkmcnt(0)
	s_sub_i32 s4, s5, s4
	s_cmp_eq_u32 s4, 1
	s_cselect_b32 s4, -1, 0
	s_delay_alu instid0(SALU_CYCLE_1)
	s_and_not1_b32 vcc_lo, exec_lo, s4
	s_cbranch_vccz .LBB1765_4
.LBB1765_2:
	s_endpgm
.LBB1765_3:
.LBB1765_4:
	s_load_b64 s[4:5], s[0:1], 0x28
	s_lshl_b64 s[6:7], s[30:31], 2
	s_waitcnt lgkmcnt(0)
	s_add_u32 s4, s4, s6
	s_addc_u32 s5, s5, s7
	s_lshl_b32 s12, s14, 8
	s_load_b32 s24, s[4:5], 0x0
	s_waitcnt lgkmcnt(0)
	s_cmp_ge_i32 s12, s24
	s_cbranch_scc1 .LBB1765_2
; %bb.5:
	s_clause 0x1
	s_load_b128 s[20:23], s[0:1], 0x8
	s_load_b64 s[4:5], s[0:1], 0x20
	s_and_not1_b32 vcc_lo, exec_lo, s8
	s_cbranch_vccnz .LBB1765_7
; %bb.6:
	s_add_u32 s2, s2, s6
	s_addc_u32 s3, s3, s7
	s_load_b32 s3, s[2:3], 0x0
	s_branch .LBB1765_8
.LBB1765_7:
	s_mov_b32 s3, s30
.LBB1765_8:
	s_load_b128 s[16:19], s[0:1], 0x48
	v_and_b32_e32 v66, 15, v0
	v_cmp_gt_u32_e32 vcc_lo, 0x80, v0
	v_lshrrev_b32_e32 v65, 5, v0
	v_and_b32_e32 v67, 31, v0
	v_and_b32_e32 v74, 1, v0
	v_lshlrev_b32_e32 v1, 3, v66
	v_cmp_gt_u32_e64 s2, 8, v66
	v_bfe_u32 v75, v0, 4, 1
	s_lshl_b32 s31, s15, 3
	s_delay_alu instid0(VALU_DEP_3) | instskip(NEXT) | instid1(VALU_DEP_3)
	v_lshlrev_b32_e32 v73, 1, v1
	s_and_b32 s7, vcc_lo, s2
	s_delay_alu instid0(SALU_CYCLE_1)
	s_and_saveexec_b32 s6, s7
	s_cbranch_execz .LBB1765_10
; %bb.9:
	v_lshl_or_b32 v5, v65, 1, v75
	s_load_b64 s[8:9], s[0:1], 0x0
	s_waitcnt lgkmcnt(0)
	s_mul_hi_i32 s11, s3, s16
	s_mul_i32 s10, s3, s16
	v_lshlrev_b32_e32 v6, 10, v66
	v_or_b32_e32 v1, s31, v5
	s_lshl_b64 s[10:11], s[10:11], 1
	v_lshlrev_b32_e32 v5, 6, v5
	v_lshlrev_b32_e32 v7, 10, v74
	v_and_b32_e32 v6, 0x3800, v6
	v_lshlrev_b32_e32 v1, 6, v1
	s_delay_alu instid0(VALU_DEP_2) | instskip(NEXT) | instid1(VALU_DEP_2)
	v_or3_b32 v5, v6, v7, v5
	v_ashrrev_i32_e32 v2, 31, v1
	s_delay_alu instid0(VALU_DEP_1) | instskip(SKIP_2) | instid1(VALU_DEP_1)
	v_lshlrev_b64 v[1:2], 1, v[1:2]
	s_add_u32 s3, s8, s10
	s_addc_u32 s7, s9, s11
	v_add_co_u32 v1, vcc_lo, s3, v1
	s_delay_alu instid0(VALU_DEP_2) | instskip(NEXT) | instid1(VALU_DEP_2)
	v_add_co_ci_u32_e32 v2, vcc_lo, s7, v2, vcc_lo
	v_add_co_u32 v1, vcc_lo, v1, v73
	s_delay_alu instid0(VALU_DEP_2)
	v_add_co_ci_u32_e32 v2, vcc_lo, 0, v2, vcc_lo
	global_load_b128 v[1:4], v[1:2], off
	s_waitcnt vmcnt(0)
	ds_store_b128 v5, v[1:4]
.LBB1765_10:
	s_or_b32 exec_lo, exec_lo, s6
	v_and_b32_e32 v1, 0xef, v0
	s_waitcnt lgkmcnt(0)
	s_add_i32 s3, s24, 31
	s_clause 0x1
	s_load_b32 s6, s[0:1], 0x38
	s_load_b32 s19, s[0:1], 0x1c
	s_ashr_i32 s7, s3, 31
	v_add_nc_u32_e32 v1, s12, v1
	s_lshr_b32 s7, s7, 27
	s_waitcnt lgkmcnt(0)
	s_add_i32 s3, s3, s7
	s_barrier
	v_ashrrev_i32_e32 v2, 31, v1
	v_or_b32_e32 v3, 16, v1
	s_ashr_i32 s3, s3, 5
	v_cmp_gt_i32_e32 vcc_lo, s24, v1
	s_add_i32 s3, s3, -1
	v_lshrrev_b32_e32 v2, 27, v2
	buffer_gl0_inv
	s_mul_i32 s27, s15, s18
	v_add_nc_u32_e32 v4, v1, v2
	s_mul_i32 s6, s30, s6
	s_delay_alu instid0(SALU_CYCLE_1) | instskip(NEXT) | instid1(VALU_DEP_1)
	s_ashr_i32 s7, s6, 31
	v_ashrrev_i32_e32 v4, 5, v4
	v_add_nc_u32_e32 v2, v3, v2
	s_lshl_b64 s[6:7], s[6:7], 2
	s_delay_alu instid0(SALU_CYCLE_1) | instskip(NEXT) | instid1(VALU_DEP_2)
	s_add_u32 s26, s4, s6
	v_cndmask_b32_e32 v1, s3, v4, vcc_lo
	s_delay_alu instid0(VALU_DEP_2)
	v_ashrrev_i32_e32 v2, 5, v2
	v_cmp_gt_i32_e32 vcc_lo, s24, v3
	s_addc_u32 s25, s5, s7
	s_ashr_i32 s28, s27, 31
	s_add_u32 s4, s20, s27
	s_addc_u32 s5, s21, s28
	v_cndmask_b32_e32 v3, s3, v2, vcc_lo
	v_ashrrev_i32_e32 v2, 31, v1
	s_lshl_b32 s6, s14, 3
	s_delay_alu instid0(SALU_CYCLE_1) | instskip(NEXT) | instid1(VALU_DEP_2)
	s_ashr_i32 s7, s6, 31
	v_ashrrev_i32_e32 v4, 31, v3
	s_delay_alu instid0(VALU_DEP_2) | instskip(SKIP_1) | instid1(SALU_CYCLE_1)
	v_lshlrev_b64 v[1:2], 2, v[1:2]
	s_lshl_b64 s[6:7], s[6:7], 2
	s_add_u32 s6, s26, s6
	s_delay_alu instid0(VALU_DEP_2) | instskip(SKIP_1) | instid1(VALU_DEP_2)
	v_lshlrev_b64 v[3:4], 2, v[3:4]
	s_addc_u32 s7, s25, s7
	v_add_co_u32 v1, vcc_lo, s26, v1
	v_add_co_ci_u32_e32 v2, vcc_lo, s25, v2, vcc_lo
	s_delay_alu instid0(VALU_DEP_3) | instskip(NEXT) | instid1(VALU_DEP_4)
	v_add_co_u32 v3, vcc_lo, s26, v3
	v_add_co_ci_u32_e32 v4, vcc_lo, s25, v4, vcc_lo
	s_clause 0x1
	global_load_b32 v5, v[1:2], off
	global_load_b32 v6, v[3:4], off
	s_or_b32 s8, s12, 32
	s_delay_alu instid0(SALU_CYCLE_1) | instskip(SKIP_2) | instid1(SALU_CYCLE_1)
	s_ashr_i32 s9, s8, 5
	s_cmp_lt_i32 s8, s24
	s_cselect_b32 s8, s9, s3
	s_ashr_i32 s9, s8, 31
	s_delay_alu instid0(SALU_CYCLE_1) | instskip(NEXT) | instid1(SALU_CYCLE_1)
	s_lshl_b64 s[8:9], s[8:9], 2
	s_add_u32 s8, s26, s8
	s_addc_u32 s9, s25, s9
	s_or_b32 s10, s12, 64
	s_delay_alu instid0(SALU_CYCLE_1) | instskip(SKIP_2) | instid1(SALU_CYCLE_1)
	s_ashr_i32 s11, s10, 5
	s_cmp_lt_i32 s10, s24
	s_cselect_b32 s10, s11, s3
	s_ashr_i32 s11, s10, 31
	s_delay_alu instid0(SALU_CYCLE_1) | instskip(NEXT) | instid1(SALU_CYCLE_1)
	s_lshl_b64 s[10:11], s[10:11], 2
	s_add_u32 s10, s26, s10
	s_addc_u32 s11, s25, s11
	;; [unrolled: 10-line block ×5, first 2 shown]
	s_clause 0x5
	s_load_b32 s21, s[6:7], 0x0
	s_load_b32 s13, s[8:9], 0x0
	s_load_b32 s15, s[10:11], 0x0
	s_load_b32 s16, s[34:35], 0x0
	s_load_b32 s18, s[36:37], 0x0
	s_load_b32 s20, s[38:39], 0x0
	s_or_b32 s7, s12, 0xc0
	s_delay_alu instid0(SALU_CYCLE_1) | instskip(SKIP_2) | instid1(SALU_CYCLE_1)
	s_ashr_i32 s8, s7, 5
	s_cmp_lt_i32 s7, s24
	s_cselect_b32 s10, s8, s3
	s_ashr_i32 s11, s10, 31
	s_delay_alu instid0(SALU_CYCLE_1) | instskip(NEXT) | instid1(SALU_CYCLE_1)
	s_lshl_b64 s[34:35], s[10:11], 2
	s_add_u32 s34, s26, s34
	s_addc_u32 s35, s25, s35
	s_or_b32 s29, s12, 0xe0
	s_delay_alu instid0(SALU_CYCLE_1)
	s_ashr_i32 s33, s29, 5
	s_cmp_lt_i32 s29, s24
	s_waitcnt vmcnt(1)
	v_mad_i64_i32 v[1:2], null, v5, s17, s[4:5]
	s_waitcnt vmcnt(0)
	v_mad_i64_i32 v[3:4], null, v6, s17, s[4:5]
	s_mov_b32 s4, 0
	s_delay_alu instid0(SALU_CYCLE_1)
	s_mov_b32 s5, s4
	s_mov_b32 s6, s4
	;; [unrolled: 1-line block ×7, first 2 shown]
	v_lshlrev_b32_e32 v5, 4, v66
	v_dual_mov_b32 v107, s11 :: v_dual_mov_b32 v102, s6
	v_dual_mov_b32 v106, s10 :: v_dual_mov_b32 v105, s9
	s_delay_alu instid0(VALU_DEP_3)
	v_add_co_u32 v1, vcc_lo, v1, v5
	v_add_co_ci_u32_e32 v2, vcc_lo, 0, v2, vcc_lo
	v_add_co_u32 v3, vcc_lo, v3, v5
	v_add_co_ci_u32_e32 v4, vcc_lo, 0, v4, vcc_lo
	s_clause 0x7
	global_load_b128 v[49:52], v[1:2], off
	global_load_b128 v[53:56], v[1:2], off offset:512
	global_load_b128 v[76:79], v[3:4], off offset:256
	;; [unrolled: 1-line block ×7, first 2 shown]
	v_dual_mov_b32 v100, s4 :: v_dual_and_b32 v1, 7, v0
	v_lshlrev_b32_e32 v2, 5, v66
	v_dual_mov_b32 v104, s8 :: v_dual_mov_b32 v103, s7
	v_mov_b32_e32 v101, s5
	s_cselect_b32 s4, s33, s3
	v_lshlrev_b32_e32 v70, 6, v1
	s_ashr_i32 s5, s4, 31
	v_lshl_or_b32 v1, v65, 9, v2
	s_lshl_b64 s[4:5], s[4:5], 2
	s_load_b32 s3, s[34:35], 0x0
	s_add_u32 s4, s26, s4
	s_addc_u32 s5, s25, s5
	ds_load_b128 v[108:111], v70
	ds_load_b128 v[112:115], v70 offset:1024
	s_load_b32 s4, s[4:5], 0x0
	s_add_u32 s6, s22, s27
	s_addc_u32 s7, s23, s28
	v_add_co_u32 v9, s6, s6, v1
	s_delay_alu instid0(VALU_DEP_1) | instskip(SKIP_1) | instid1(VALU_DEP_1)
	v_add_co_ci_u32_e64 v10, null, s7, 0, s6
	s_waitcnt lgkmcnt(0)
	v_mad_i64_i32 v[1:2], null, s21, s17, v[9:10]
	v_mad_i64_i32 v[3:4], null, s13, s17, v[9:10]
	;; [unrolled: 1-line block ×7, first 2 shown]
	s_clause 0x9
	global_load_b128 v[57:60], v[1:2], off
	global_load_b128 v[61:64], v[1:2], off offset:16
	global_load_b128 v[41:44], v[3:4], off
	global_load_b128 v[45:48], v[3:4], off offset:16
	;; [unrolled: 2-line block ×5, first 2 shown]
	v_mad_i64_i32 v[68:69], null, s4, s17, v[9:10]
	s_clause 0x3
	global_load_b128 v[9:12], v[13:14], off
	global_load_b128 v[13:16], v[13:14], off offset:16
	global_load_b128 v[17:20], v[21:22], off
	global_load_b128 v[21:24], v[21:22], off offset:16
	s_waitcnt vmcnt(20)
	v_wmma_f32_16x16x16_bf16 v[116:123], v[49:56], v[108:115], v[100:107]
	s_clause 0x1
	global_load_b128 v[49:52], v[68:69], off
	global_load_b128 v[53:56], v[68:69], off offset:16
	v_and_b32_e32 v68, 0xe0, v0
	v_mbcnt_lo_u32_b32 v69, -1, 0
	s_delay_alu instid0(VALU_DEP_2)
	v_add_nc_u32_e32 v68, s12, v68
	s_waitcnt vmcnt(20)
	v_wmma_f32_16x16x16_bf16 v[100:107], v[76:83], v[108:115], v[100:107]
	ds_load_b128 v[76:79], v70 offset:2048
	ds_load_b128 v[80:83], v70 offset:3072
	v_xor_b32_e32 v70, 16, v69
	s_waitcnt vmcnt(0) lgkmcnt(0)
	v_or_b32_e32 v68, v68, v75
	s_barrier
	buffer_gl0_inv
	v_cmp_gt_i32_e32 vcc_lo, 32, v70
	v_or_b32_e32 v71, 4, v68
	v_or_b32_e32 v72, 6, v68
	v_cmp_gt_i32_e64 s3, s24, v68
	v_or_b32_e32 v108, 8, v68
	v_or_b32_e32 v109, 10, v68
	v_cmp_gt_i32_e64 s4, s24, v71
	v_cmp_gt_i32_e64 s5, s24, v72
	s_delay_alu instid0(VALU_DEP_4) | instskip(NEXT) | instid1(VALU_DEP_4)
	v_cmp_gt_i32_e64 s6, s24, v108
	v_cmp_gt_i32_e64 s7, s24, v109
	v_wmma_f32_16x16x16_bf16 v[116:123], v[84:91], v[76:83], v[116:123]
	v_cndmask_b32_e32 v69, v69, v70, vcc_lo
	v_or_b32_e32 v70, 2, v68
	v_wmma_f32_16x16x16_bf16 v[100:107], v[92:99], v[76:83], v[100:107]
	v_or_b32_e32 v84, 12, v68
	v_dual_mul_f32 v78, s19, v123 :: v_dual_mul_f32 v83, s19, v118
	v_dual_mul_f32 v92, s19, v117 :: v_dual_mul_f32 v93, s19, v116
	s_delay_alu instid0(VALU_DEP_4) | instskip(SKIP_2) | instid1(VALU_DEP_4)
	v_mul_f32_e32 v94, s19, v107
	v_cmp_gt_i32_e32 vcc_lo, s24, v70
	v_dual_mul_f32 v81, s19, v120 :: v_dual_mul_f32 v82, s19, v119
	v_cndmask_b32_e64 v93, 0xff7fffff, v93, s3
	v_or_b32_e32 v85, 14, v68
	v_cndmask_b32_e32 v92, 0xff7fffff, v92, vcc_lo
	v_dual_mul_f32 v79, s19, v122 :: v_dual_mul_f32 v80, s19, v121
	v_cndmask_b32_e64 v71, 0xff7fffff, v83, s4
	v_cndmask_b32_e64 v72, 0xff7fffff, v82, s5
	s_delay_alu instid0(VALU_DEP_4)
	v_max3_f32 v82, v93, 0xff7fffff, v92
	v_or_b32_e32 v86, 16, v68
	v_or_b32_e32 v87, 18, v68
	v_cndmask_b32_e64 v81, 0xff7fffff, v81, s6
	v_cndmask_b32_e64 v80, 0xff7fffff, v80, s7
	v_max3_f32 v71, v82, v71, v72
	v_cmp_gt_i32_e64 s8, s24, v84
	v_cmp_gt_i32_e64 s9, s24, v85
	v_or_b32_e32 v88, 20, v68
	v_or_b32_e32 v89, 22, v68
	;; [unrolled: 1-line block ×6, first 2 shown]
	v_dual_mul_f32 v99, s19, v102 :: v_dual_mul_f32 v70, s19, v101
	v_mul_f32_e32 v68, s19, v100
	v_cndmask_b32_e64 v72, 0xff7fffff, v79, s8
	v_cndmask_b32_e64 v78, 0xff7fffff, v78, s9
	v_max3_f32 v71, v71, v81, v80
	v_cmp_gt_i32_e64 s10, s24, v86
	v_cmp_gt_i32_e64 s11, s24, v87
	v_dual_mul_f32 v97, s19, v104 :: v_dual_mul_f32 v98, s19, v103
	s_delay_alu instid0(VALU_DEP_4) | instskip(SKIP_1) | instid1(VALU_DEP_4)
	v_max3_f32 v71, v71, v72, v78
	v_cmp_gt_i32_e64 s12, s24, v88
	v_cndmask_b32_e64 v70, 0xff7fffff, v70, s11
	v_cmp_gt_i32_e64 s13, s24, v89
	v_lshlrev_b32_e32 v89, 2, v69
	v_cndmask_b32_e64 v68, 0xff7fffff, v68, s10
	v_dual_mul_f32 v95, s19, v106 :: v_dual_mul_f32 v96, s19, v105
	v_cndmask_b32_e64 v72, 0xff7fffff, v99, s12
	v_cndmask_b32_e64 v78, 0xff7fffff, v98, s13
	s_delay_alu instid0(VALU_DEP_4)
	v_max3_f32 v68, v71, v68, v70
	v_cmp_gt_i32_e64 s15, s24, v90
	v_cmp_gt_i32_e64 s16, s24, v91
	;; [unrolled: 1-line block ×4, first 2 shown]
	v_max3_f32 v68, v68, v72, v78
	v_cndmask_b32_e64 v70, 0xff7fffff, v97, s15
	v_cndmask_b32_e64 v71, 0xff7fffff, v96, s16
	;; [unrolled: 1-line block ×4, first 2 shown]
	s_delay_alu instid0(VALU_DEP_3) | instskip(NEXT) | instid1(VALU_DEP_1)
	v_max3_f32 v68, v68, v70, v71
	v_max3_f32 v68, v68, v72, v76
	ds_bpermute_b32 v69, v89, v68
	s_waitcnt lgkmcnt(0)
	v_max_f32_e32 v69, v69, v69
	s_delay_alu instid0(VALU_DEP_1) | instskip(NEXT) | instid1(VALU_DEP_1)
	v_max_f32_e32 v68, v68, v69
	v_fma_f32 v71, s19, v118, -v68
	s_delay_alu instid0(VALU_DEP_1)
	v_mul_f32_e32 v71, 0x3fb8aa3b, v71
	v_fma_f32 v69, s19, v116, -v68
	v_fma_f32 v70, s19, v117, -v68
	;; [unrolled: 1-line block ×4, first 2 shown]
	v_exp_f32_e32 v71, v71
	s_delay_alu instid0(VALU_DEP_3) | instskip(SKIP_2) | instid1(VALU_DEP_3)
	v_dual_mul_f32 v69, 0x3fb8aa3b, v69 :: v_dual_mul_f32 v70, 0x3fb8aa3b, v70
	v_fma_f32 v78, s19, v122, -v68
	v_fma_f32 v81, s19, v105, -v68
	v_exp_f32_e32 v69, v69
	s_delay_alu instid0(VALU_DEP_3) | instskip(SKIP_1) | instid1(VALU_DEP_2)
	v_exp_f32_e32 v70, v70
	v_mul_f32_e32 v77, 0x3fb8aa3b, v76
	v_mul_f32_e32 v81, 0x3fb8aa3b, v81
	s_delay_alu instid0(TRANS32_DEP_3) | instskip(SKIP_1) | instid1(VALU_DEP_3)
	v_cndmask_b32_e64 v83, 0, v71, s4
	v_fma_f32 v71, s19, v123, -v68
	v_exp_f32_e32 v81, v81
	s_delay_alu instid0(TRANS32_DEP_3) | instskip(NEXT) | instid1(TRANS32_DEP_2)
	v_cndmask_b32_e64 v80, 0, v69, s3
	v_cndmask_b32_e32 v76, 0, v70, vcc_lo
	v_fma_f32 v69, s19, v121, -v68
	v_mul_f32_e32 v72, 0x3fb8aa3b, v72
	v_exp_f32_e32 v77, v77
	v_dual_add_f32 v70, 0, v80 :: v_dual_mul_f32 v71, 0x3fb8aa3b, v71
	s_delay_alu instid0(VALU_DEP_3) | instskip(NEXT) | instid1(VALU_DEP_3)
	v_mul_f32_e32 v69, 0x3fb8aa3b, v69
	v_exp_f32_e32 v72, v72
	s_mov_b32 s3, exec_lo
	s_delay_alu instid0(VALU_DEP_2) | instskip(NEXT) | instid1(VALU_DEP_1)
	v_exp_f32_e32 v71, v71
	v_exp_f32_e32 v69, v69
	v_cndmask_b32_e64 v86, 0, v77, s6
	v_fma_f32 v77, s19, v101, -v68
	v_add_f32_e32 v70, v70, v76
	s_delay_alu instid0(TRANS32_DEP_3) | instskip(SKIP_1) | instid1(VALU_DEP_3)
	v_cndmask_b32_e64 v85, 0, v72, s5
	v_fma_f32 v72, s19, v100, -v68
	v_dual_mul_f32 v77, 0x3fb8aa3b, v77 :: v_dual_add_f32 v70, v70, v83
	s_delay_alu instid0(TRANS32_DEP_2) | instskip(SKIP_1) | instid1(TRANS32_DEP_1)
	v_cndmask_b32_e64 v88, 0, v71, s9
	v_fma_f32 v71, s19, v104, -v68
	v_cndmask_b32_e64 v87, 0, v69, s7
	s_delay_alu instid0(VALU_DEP_4) | instskip(NEXT) | instid1(VALU_DEP_2)
	v_exp_f32_e32 v77, v77
	v_dual_add_f32 v70, v70, v85 :: v_dual_mul_f32 v71, 0x3fb8aa3b, v71
	s_delay_alu instid0(VALU_DEP_1) | instskip(SKIP_2) | instid1(VALU_DEP_3)
	v_dual_mul_f32 v72, 0x3fb8aa3b, v72 :: v_dual_add_f32 v69, v70, v86
	v_mul_f32_e32 v78, 0x3fb8aa3b, v78
	v_fma_f32 v70, s19, v102, -v68
	v_exp_f32_e32 v72, v72
	v_exp_f32_e32 v82, v71
	v_add_f32_e32 v69, v69, v87
	v_exp_f32_e32 v78, v78
	v_mul_f32_e32 v70, 0x3fb8aa3b, v70
	s_delay_alu instid0(VALU_DEP_1) | instskip(SKIP_4) | instid1(VALU_DEP_2)
	v_exp_f32_e32 v79, v70
	v_cndmask_b32_e64 v70, 0, v72, s10
	s_waitcnt_depctr 0xfff
	v_cndmask_b32_e64 v84, 0, v78, s8
	v_fma_f32 v78, s19, v103, -v68
	v_add_f32_e32 v69, v69, v84
	v_cndmask_b32_e64 v71, 0, v79, s12
	s_delay_alu instid0(VALU_DEP_2) | instskip(SKIP_2) | instid1(VALU_DEP_1)
	v_add_f32_e32 v72, v69, v88
	v_cndmask_b32_e64 v69, 0, v77, s11
	v_fma_f32 v77, s19, v106, -v68
	v_dual_mul_f32 v77, 0x3fb8aa3b, v77 :: v_dual_add_f32 v72, v72, v70
	v_mul_f32_e32 v78, 0x3fb8aa3b, v78
	s_delay_alu instid0(VALU_DEP_2) | instskip(NEXT) | instid1(VALU_DEP_2)
	v_exp_f32_e32 v90, v77
	v_add_f32_e32 v79, v72, v69
	s_delay_alu instid0(VALU_DEP_2)
	v_exp_f32_e32 v78, v78
	v_cndmask_b32_e64 v77, 0, v82, s15
	s_waitcnt_depctr 0xfff
	v_cndmask_b32_e64 v72, 0, v78, s13
	v_add_f32_e32 v78, v79, v71
	v_fma_f32 v79, s19, v107, -v68
	s_delay_alu instid0(VALU_DEP_1) | instskip(SKIP_1) | instid1(VALU_DEP_2)
	v_dual_add_f32 v82, v78, v72 :: v_dual_mul_f32 v79, 0x3fb8aa3b, v79
	v_cndmask_b32_e64 v78, 0, v81, s16
	v_add_f32_e32 v81, v82, v77
	s_delay_alu instid0(VALU_DEP_3) | instskip(SKIP_1) | instid1(VALU_DEP_2)
	v_exp_f32_e32 v82, v79
	v_cndmask_b32_e64 v79, 0, v90, s17
	v_add_f32_e32 v81, v81, v78
	s_delay_alu instid0(VALU_DEP_1) | instskip(SKIP_2) | instid1(VALU_DEP_1)
	v_add_f32_e32 v90, v81, v79
	s_waitcnt_depctr 0xfff
	v_cndmask_b32_e64 v81, 0, v82, s18
	v_add_f32_e32 v82, v90, v81
	ds_bpermute_b32 v89, v89, v82
	v_cmpx_gt_u32_e32 16, v67
	s_cbranch_execz .LBB1765_12
; %bb.11:
	v_mul_u32_u24_e32 v67, 0x44, v65
	s_delay_alu instid0(VALU_DEP_1) | instskip(SKIP_1) | instid1(VALU_DEP_1)
	v_lshl_add_u32 v67, v66, 2, v67
	s_waitcnt lgkmcnt(0)
	v_dual_add_f32 v82, v82, v89 :: v_dual_add_nc_u32 v67, 0x4000, v67
	ds_store_2addr_b32 v67, v68, v82 offset1:136
.LBB1765_12:
	s_or_b32 exec_lo, exec_lo, s3
	v_lshlrev_b32_e32 v67, 2, v66
	s_waitcnt lgkmcnt(0)
	s_barrier
	buffer_gl0_inv
	v_cmp_eq_u32_e32 vcc_lo, 1, v65
	v_add_nc_u32_e32 v82, 0x4000, v67
	v_cmp_eq_u32_e64 s3, 2, v65
	v_cmp_eq_u32_e64 s5, 7, v65
	ds_load_2addr_b32 v[89:90], v82 offset1:17
	ds_load_2addr_b32 v[91:92], v82 offset0:34 offset1:51
	ds_load_2addr_b32 v[93:94], v82 offset0:68 offset1:85
	;; [unrolled: 1-line block ×4, first 2 shown]
	s_waitcnt lgkmcnt(4)
	v_max3_f32 v67, v89, 0xff7fffff, v90
	s_waitcnt lgkmcnt(3)
	s_delay_alu instid0(VALU_DEP_1) | instskip(SKIP_1) | instid1(VALU_DEP_1)
	v_max3_f32 v67, v67, v91, v92
	s_waitcnt lgkmcnt(2)
	v_max3_f32 v67, v67, v93, v94
	s_waitcnt lgkmcnt(1)
	s_delay_alu instid0(VALU_DEP_1) | instskip(NEXT) | instid1(VALU_DEP_1)
	v_max3_f32 v67, v67, v95, v96
	v_sub_f32_e32 v93, v93, v67
	s_delay_alu instid0(VALU_DEP_1) | instskip(NEXT) | instid1(VALU_DEP_1)
	v_dual_sub_f32 v68, v89, v67 :: v_dual_mul_f32 v103, 0x3fb8aa3b, v93
	v_mul_f32_e32 v68, 0x3fb8aa3b, v68
	s_delay_alu instid0(VALU_DEP_1)
	v_exp_f32_e32 v100, v68
	v_sub_f32_e32 v68, v92, v67
	v_sub_f32_e32 v99, v90, v67
	ds_load_2addr_b32 v[89:90], v82 offset0:170 offset1:187
	v_dual_mul_f32 v102, 0x3fb8aa3b, v68 :: v_dual_mul_f32 v99, 0x3fb8aa3b, v99
	s_waitcnt lgkmcnt(1)
	v_fma_f32 v68, v100, v97, 0
	s_delay_alu instid0(VALU_DEP_2) | instskip(NEXT) | instid1(VALU_DEP_2)
	v_exp_f32_e32 v102, v102
	v_exp_f32_e32 v99, v99
	s_waitcnt_depctr 0xfff
	v_fmac_f32_e32 v68, v99, v98
	v_sub_f32_e32 v91, v91, v67
	s_delay_alu instid0(VALU_DEP_1)
	v_mul_f32_e32 v101, 0x3fb8aa3b, v91
	ds_load_2addr_b32 v[91:92], v82 offset0:204 offset1:221
	v_sub_f32_e32 v97, v94, v67
	ds_load_2addr_b32 v[93:94], v82 offset0:238 offset1:255
	s_waitcnt lgkmcnt(0)
	v_exp_f32_e32 v101, v101
	s_barrier
	buffer_gl0_inv
	v_dual_fmac_f32 v68, v101, v89 :: v_dual_sub_f32 v89, v96, v67
	v_dual_sub_f32 v82, v95, v67 :: v_dual_mul_f32 v95, 0x3fb8aa3b, v97
	v_exp_f32_e32 v97, v103
	s_delay_alu instid0(VALU_DEP_2) | instskip(NEXT) | instid1(VALU_DEP_2)
	v_dual_fmac_f32 v68, v102, v90 :: v_dual_mul_f32 v89, 0x3fb8aa3b, v89
	v_mul_f32_e32 v82, 0x3fb8aa3b, v82
	s_delay_alu instid0(VALU_DEP_3) | instskip(NEXT) | instid1(VALU_DEP_2)
	v_exp_f32_e32 v95, v95
	v_exp_f32_e32 v89, v89
	s_delay_alu instid0(VALU_DEP_1)
	v_exp_f32_e32 v82, v82
	v_fmac_f32_e32 v68, v97, v91
	s_delay_alu instid0(TRANS32_DEP_3) | instid1(VALU_DEP_1)
	v_fmac_f32_e32 v68, v95, v92
	s_waitcnt_depctr 0xfff
	v_fmac_f32_e32 v68, v82, v93
	s_delay_alu instid0(VALU_DEP_1) | instskip(NEXT) | instid1(VALU_DEP_1)
	v_fmac_f32_e32 v68, v89, v94
	v_add_f32_e32 v90, 0x358637bd, v68
	s_delay_alu instid0(VALU_DEP_1) | instskip(NEXT) | instid1(VALU_DEP_1)
	v_div_scale_f32 v91, null, v90, v90, 1.0
	v_rcp_f32_e32 v92, v91
	s_waitcnt_depctr 0xfff
	v_fma_f32 v93, -v91, v92, 1.0
	s_delay_alu instid0(VALU_DEP_1) | instskip(SKIP_1) | instid1(VALU_DEP_2)
	v_dual_fmac_f32 v92, v93, v92 :: v_dual_cndmask_b32 v93, v100, v99
	v_cmp_eq_u32_e32 vcc_lo, 3, v65
	v_cndmask_b32_e64 v93, v93, v101, s3
	v_cmp_eq_u32_e64 s3, 4, v65
	s_delay_alu instid0(VALU_DEP_2) | instskip(SKIP_1) | instid1(VALU_DEP_2)
	v_cndmask_b32_e32 v93, v93, v102, vcc_lo
	v_cmp_eq_u32_e32 vcc_lo, 5, v65
	v_cndmask_b32_e64 v93, v93, v97, s3
	v_cmp_eq_u32_e64 s3, 6, v65
	s_delay_alu instid0(VALU_DEP_2) | instskip(SKIP_1) | instid1(VALU_DEP_1)
	v_cndmask_b32_e32 v93, v93, v95, vcc_lo
	v_div_scale_f32 v94, s4, 1.0, v90, 1.0
	s_mov_b32 vcc_lo, s4
	s_delay_alu instid0(VALU_DEP_2) | instskip(NEXT) | instid1(VALU_DEP_2)
	v_cndmask_b32_e64 v82, v93, v82, s3
	v_mul_f32_e32 v96, v94, v92
	s_mov_b32 s3, exec_lo
	s_delay_alu instid0(VALU_DEP_2) | instskip(NEXT) | instid1(VALU_DEP_2)
	v_cndmask_b32_e64 v82, v82, v89, s5
	v_fma_f32 v98, -v91, v96, v94
	s_delay_alu instid0(VALU_DEP_1) | instskip(NEXT) | instid1(VALU_DEP_1)
	v_fmac_f32_e32 v96, v98, v92
	v_fma_f32 v91, -v91, v96, v94
	s_delay_alu instid0(VALU_DEP_1) | instskip(NEXT) | instid1(VALU_DEP_1)
	v_div_fmas_f32 v91, v91, v92, v96
	v_div_fixup_f32 v90, v91, v90, 1.0
	s_delay_alu instid0(VALU_DEP_1) | instskip(NEXT) | instid1(VALU_DEP_1)
	v_mul_f32_e32 v82, v82, v90
	v_mul_f32_e32 v87, v82, v87
	;; [unrolled: 1-line block ×7, first 2 shown]
	v_dual_mul_f32 v86, v82, v83 :: v_dual_and_b32 v91, 0x7f800000, v90
	v_mul_f32_e32 v85, v82, v76
                                        ; implicit-def: $vgpr76
	s_delay_alu instid0(VALU_DEP_2)
	v_cmpx_ne_u32_e32 0x7f800000, v91
	s_xor_b32 s3, exec_lo, s3
; %bb.13:
	v_bfe_u32 v76, v90, 16, 1
	s_delay_alu instid0(VALU_DEP_1)
	v_add3_u32 v76, v90, v76, 0x7fff
                                        ; implicit-def: $vgpr90
; %bb.14:
	s_and_not1_saveexec_b32 s3, s3
; %bb.15:
	v_and_b32_e32 v76, 0xffff, v90
	v_or_b32_e32 v83, 0x10000, v90
	s_delay_alu instid0(VALU_DEP_2) | instskip(NEXT) | instid1(VALU_DEP_2)
	v_cmp_eq_u32_e32 vcc_lo, 0, v76
	v_cndmask_b32_e32 v76, v83, v90, vcc_lo
; %bb.16:
	s_or_b32 exec_lo, exec_lo, s3
	v_and_b32_e32 v83, 0x7f800000, v85
	s_delay_alu instid0(VALU_DEP_1) | instskip(SKIP_1) | instid1(SALU_CYCLE_1)
	v_cmp_ne_u32_e32 vcc_lo, 0x7f800000, v83
                                        ; implicit-def: $vgpr83
	s_and_saveexec_b32 s3, vcc_lo
	s_xor_b32 s3, exec_lo, s3
; %bb.17:
	v_bfe_u32 v83, v85, 16, 1
	s_delay_alu instid0(VALU_DEP_1)
	v_add3_u32 v83, v85, v83, 0x7fff
                                        ; implicit-def: $vgpr85
; %bb.18:
	s_and_not1_saveexec_b32 s3, s3
; %bb.19:
	v_and_b32_e32 v83, 0xffff, v85
	v_or_b32_e32 v90, 0x10000, v85
	s_delay_alu instid0(VALU_DEP_2) | instskip(NEXT) | instid1(VALU_DEP_2)
	v_cmp_eq_u32_e32 vcc_lo, 0, v83
	v_cndmask_b32_e32 v83, v90, v85, vcc_lo
; %bb.20:
	s_or_b32 exec_lo, exec_lo, s3
	v_and_b32_e32 v85, 0x7f800000, v86
	s_delay_alu instid0(VALU_DEP_1) | instskip(SKIP_1) | instid1(SALU_CYCLE_1)
	v_cmp_ne_u32_e32 vcc_lo, 0x7f800000, v85
                                        ; implicit-def: $vgpr85
	s_and_saveexec_b32 s3, vcc_lo
	s_xor_b32 s3, exec_lo, s3
; %bb.21:
	v_bfe_u32 v85, v86, 16, 1
	s_delay_alu instid0(VALU_DEP_1)
	v_add3_u32 v85, v86, v85, 0x7fff
                                        ; implicit-def: $vgpr86
; %bb.22:
	s_and_not1_saveexec_b32 s3, s3
; %bb.23:
	v_and_b32_e32 v85, 0xffff, v86
	v_or_b32_e32 v90, 0x10000, v86
	s_delay_alu instid0(VALU_DEP_2) | instskip(NEXT) | instid1(VALU_DEP_2)
	v_cmp_eq_u32_e32 vcc_lo, 0, v85
	v_cndmask_b32_e32 v85, v90, v86, vcc_lo
; %bb.24:
	s_or_b32 exec_lo, exec_lo, s3
	v_and_b32_e32 v86, 0x7f800000, v89
	s_delay_alu instid0(VALU_DEP_1) | instskip(SKIP_1) | instid1(SALU_CYCLE_1)
	v_cmp_ne_u32_e32 vcc_lo, 0x7f800000, v86
                                        ; implicit-def: $vgpr86
	s_and_saveexec_b32 s3, vcc_lo
	s_xor_b32 s3, exec_lo, s3
; %bb.25:
	v_bfe_u32 v86, v89, 16, 1
	s_delay_alu instid0(VALU_DEP_1)
	v_add3_u32 v86, v89, v86, 0x7fff
                                        ; implicit-def: $vgpr89
; %bb.26:
	s_and_not1_saveexec_b32 s3, s3
; %bb.27:
	v_and_b32_e32 v86, 0xffff, v89
	v_or_b32_e32 v90, 0x10000, v89
	s_delay_alu instid0(VALU_DEP_2) | instskip(NEXT) | instid1(VALU_DEP_2)
	v_cmp_eq_u32_e32 vcc_lo, 0, v86
	v_cndmask_b32_e32 v86, v90, v89, vcc_lo
; %bb.28:
	s_or_b32 exec_lo, exec_lo, s3
	v_and_b32_e32 v89, 0x7f800000, v88
	s_delay_alu instid0(VALU_DEP_1) | instskip(SKIP_1) | instid1(SALU_CYCLE_1)
	v_cmp_ne_u32_e32 vcc_lo, 0x7f800000, v89
                                        ; implicit-def: $vgpr89
	s_and_saveexec_b32 s3, vcc_lo
	s_xor_b32 s3, exec_lo, s3
; %bb.29:
	v_bfe_u32 v89, v88, 16, 1
	s_delay_alu instid0(VALU_DEP_1)
	v_add3_u32 v89, v88, v89, 0x7fff
                                        ; implicit-def: $vgpr88
; %bb.30:
	s_and_not1_saveexec_b32 s3, s3
; %bb.31:
	v_and_b32_e32 v89, 0xffff, v88
	v_or_b32_e32 v90, 0x10000, v88
	s_delay_alu instid0(VALU_DEP_2) | instskip(NEXT) | instid1(VALU_DEP_2)
	v_cmp_eq_u32_e32 vcc_lo, 0, v89
	v_cndmask_b32_e32 v89, v90, v88, vcc_lo
; %bb.32:
	s_or_b32 exec_lo, exec_lo, s3
	v_and_b32_e32 v88, 0x7f800000, v87
	s_delay_alu instid0(VALU_DEP_1) | instskip(SKIP_1) | instid1(SALU_CYCLE_1)
	v_cmp_ne_u32_e32 vcc_lo, 0x7f800000, v88
                                        ; implicit-def: $vgpr88
	s_and_saveexec_b32 s3, vcc_lo
	s_xor_b32 s3, exec_lo, s3
; %bb.33:
	v_bfe_u32 v88, v87, 16, 1
	s_delay_alu instid0(VALU_DEP_1)
	v_add3_u32 v88, v87, v88, 0x7fff
                                        ; implicit-def: $vgpr87
; %bb.34:
	s_and_not1_saveexec_b32 s3, s3
; %bb.35:
	v_and_b32_e32 v88, 0xffff, v87
	v_or_b32_e32 v90, 0x10000, v87
	s_delay_alu instid0(VALU_DEP_2) | instskip(NEXT) | instid1(VALU_DEP_2)
	v_cmp_eq_u32_e32 vcc_lo, 0, v88
	v_cndmask_b32_e32 v88, v90, v87, vcc_lo
; %bb.36:
	s_or_b32 exec_lo, exec_lo, s3
	v_and_b32_e32 v87, 0x7f800000, v84
	s_delay_alu instid0(VALU_DEP_1) | instskip(SKIP_1) | instid1(SALU_CYCLE_1)
	v_cmp_ne_u32_e32 vcc_lo, 0x7f800000, v87
                                        ; implicit-def: $vgpr87
	s_and_saveexec_b32 s3, vcc_lo
	s_xor_b32 s3, exec_lo, s3
; %bb.37:
	v_bfe_u32 v87, v84, 16, 1
	s_delay_alu instid0(VALU_DEP_1)
	v_add3_u32 v87, v84, v87, 0x7fff
                                        ; implicit-def: $vgpr84
; %bb.38:
	s_and_not1_saveexec_b32 s3, s3
; %bb.39:
	v_and_b32_e32 v87, 0xffff, v84
	v_or_b32_e32 v90, 0x10000, v84
	s_delay_alu instid0(VALU_DEP_2) | instskip(NEXT) | instid1(VALU_DEP_2)
	v_cmp_eq_u32_e32 vcc_lo, 0, v87
	v_cndmask_b32_e32 v87, v90, v84, vcc_lo
; %bb.40:
	s_or_b32 exec_lo, exec_lo, s3
	v_and_b32_e32 v84, 0x7f800000, v80
	s_delay_alu instid0(VALU_DEP_1) | instskip(SKIP_1) | instid1(SALU_CYCLE_1)
	v_cmp_ne_u32_e32 vcc_lo, 0x7f800000, v84
                                        ; implicit-def: $vgpr84
	s_and_saveexec_b32 s3, vcc_lo
	s_xor_b32 s3, exec_lo, s3
; %bb.41:
	v_bfe_u32 v84, v80, 16, 1
	s_delay_alu instid0(VALU_DEP_1)
	v_add3_u32 v84, v80, v84, 0x7fff
                                        ; implicit-def: $vgpr80
; %bb.42:
	s_and_not1_saveexec_b32 s3, s3
; %bb.43:
	v_and_b32_e32 v84, 0xffff, v80
	v_or_b32_e32 v90, 0x10000, v80
	s_delay_alu instid0(VALU_DEP_2) | instskip(NEXT) | instid1(VALU_DEP_2)
	v_cmp_eq_u32_e32 vcc_lo, 0, v84
	v_cndmask_b32_e32 v84, v90, v80, vcc_lo
; %bb.44:
	s_or_b32 exec_lo, exec_lo, s3
	s_load_b64 s[34:35], s[0:1], 0x94
	v_lshlrev_b32_e32 v91, 4, v75
	s_delay_alu instid0(VALU_DEP_2)
	v_perm_b32 v90, v84, v87, 0x7060302
	v_dual_mul_f32 v77, v82, v77 :: v_dual_lshlrev_b32 v80, 6, v66
	v_lshlrev_b32_e32 v66, 11, v65
	v_perm_b32 v87, v83, v76, 0x7060302
	v_mul_f32_e32 v83, v82, v70
	v_perm_b32 v89, v88, v89, 0x7060302
	v_perm_b32 v88, v86, v85, 0x7060302
	v_or3_b32 v76, v91, v66, v80
	v_mul_f32_e32 v66, v82, v81
	v_mul_f32_e32 v70, v82, v79
	;; [unrolled: 1-line block ×3, first 2 shown]
	v_dual_mul_f32 v81, v82, v72 :: v_dual_and_b32 v84, 0x7f800000, v83
	v_mul_f32_e32 v79, v82, v71
	v_mul_f32_e32 v72, v82, v69
	s_mov_b32 s3, exec_lo
	ds_store_b128 v76, v[87:90]
                                        ; implicit-def: $vgpr69
	v_cmpx_ne_u32_e32 0x7f800000, v84
	s_xor_b32 s3, exec_lo, s3
; %bb.45:
	v_bfe_u32 v69, v83, 16, 1
	s_delay_alu instid0(VALU_DEP_1)
	v_add3_u32 v69, v83, v69, 0x7fff
                                        ; implicit-def: $vgpr83
; %bb.46:
	s_and_not1_saveexec_b32 s3, s3
; %bb.47:
	v_and_b32_e32 v69, 0xffff, v83
	v_or_b32_e32 v71, 0x10000, v83
	s_delay_alu instid0(VALU_DEP_2) | instskip(NEXT) | instid1(VALU_DEP_2)
	v_cmp_eq_u32_e32 vcc_lo, 0, v69
	v_cndmask_b32_e32 v69, v71, v83, vcc_lo
; %bb.48:
	s_or_b32 exec_lo, exec_lo, s3
	v_and_b32_e32 v71, 0x7f800000, v72
	s_delay_alu instid0(VALU_DEP_1) | instskip(SKIP_1) | instid1(SALU_CYCLE_1)
	v_cmp_ne_u32_e32 vcc_lo, 0x7f800000, v71
                                        ; implicit-def: $vgpr71
	s_and_saveexec_b32 s3, vcc_lo
	s_xor_b32 s3, exec_lo, s3
; %bb.49:
	v_bfe_u32 v71, v72, 16, 1
	s_delay_alu instid0(VALU_DEP_1)
	v_add3_u32 v71, v72, v71, 0x7fff
                                        ; implicit-def: $vgpr72
; %bb.50:
	s_and_not1_saveexec_b32 s3, s3
; %bb.51:
	v_and_b32_e32 v71, 0xffff, v72
	v_or_b32_e32 v82, 0x10000, v72
	s_delay_alu instid0(VALU_DEP_2) | instskip(NEXT) | instid1(VALU_DEP_2)
	v_cmp_eq_u32_e32 vcc_lo, 0, v71
	v_cndmask_b32_e32 v71, v82, v72, vcc_lo
; %bb.52:
	s_or_b32 exec_lo, exec_lo, s3
	v_and_b32_e32 v72, 0x7f800000, v79
	s_delay_alu instid0(VALU_DEP_1) | instskip(SKIP_1) | instid1(SALU_CYCLE_1)
	v_cmp_ne_u32_e32 vcc_lo, 0x7f800000, v72
                                        ; implicit-def: $vgpr72
	s_and_saveexec_b32 s3, vcc_lo
	s_xor_b32 s3, exec_lo, s3
; %bb.53:
	v_bfe_u32 v72, v79, 16, 1
	s_delay_alu instid0(VALU_DEP_1)
	v_add3_u32 v72, v79, v72, 0x7fff
                                        ; implicit-def: $vgpr79
; %bb.54:
	s_and_not1_saveexec_b32 s3, s3
; %bb.55:
	v_and_b32_e32 v72, 0xffff, v79
	v_or_b32_e32 v82, 0x10000, v79
	s_delay_alu instid0(VALU_DEP_2) | instskip(NEXT) | instid1(VALU_DEP_2)
	v_cmp_eq_u32_e32 vcc_lo, 0, v72
	v_cndmask_b32_e32 v72, v82, v79, vcc_lo
; %bb.56:
	s_or_b32 exec_lo, exec_lo, s3
	v_and_b32_e32 v79, 0x7f800000, v81
	s_delay_alu instid0(VALU_DEP_1) | instskip(SKIP_1) | instid1(SALU_CYCLE_1)
	v_cmp_ne_u32_e32 vcc_lo, 0x7f800000, v79
                                        ; implicit-def: $vgpr79
	s_and_saveexec_b32 s3, vcc_lo
	s_xor_b32 s3, exec_lo, s3
; %bb.57:
	v_bfe_u32 v79, v81, 16, 1
	s_delay_alu instid0(VALU_DEP_1)
	v_add3_u32 v79, v81, v79, 0x7fff
                                        ; implicit-def: $vgpr81
; %bb.58:
	s_and_not1_saveexec_b32 s3, s3
; %bb.59:
	v_and_b32_e32 v79, 0xffff, v81
	v_or_b32_e32 v82, 0x10000, v81
	s_delay_alu instid0(VALU_DEP_2) | instskip(NEXT) | instid1(VALU_DEP_2)
	v_cmp_eq_u32_e32 vcc_lo, 0, v79
	v_cndmask_b32_e32 v79, v82, v81, vcc_lo
; %bb.60:
	s_or_b32 exec_lo, exec_lo, s3
	v_and_b32_e32 v81, 0x7f800000, v77
	s_delay_alu instid0(VALU_DEP_1) | instskip(SKIP_1) | instid1(SALU_CYCLE_1)
	v_cmp_ne_u32_e32 vcc_lo, 0x7f800000, v81
                                        ; implicit-def: $vgpr81
	s_and_saveexec_b32 s3, vcc_lo
	s_xor_b32 s3, exec_lo, s3
; %bb.61:
	v_bfe_u32 v81, v77, 16, 1
	s_delay_alu instid0(VALU_DEP_1)
	v_add3_u32 v81, v77, v81, 0x7fff
                                        ; implicit-def: $vgpr77
; %bb.62:
	s_and_not1_saveexec_b32 s3, s3
; %bb.63:
	v_and_b32_e32 v81, 0xffff, v77
	v_or_b32_e32 v82, 0x10000, v77
	s_delay_alu instid0(VALU_DEP_2) | instskip(NEXT) | instid1(VALU_DEP_2)
	v_cmp_eq_u32_e32 vcc_lo, 0, v81
	v_cndmask_b32_e32 v81, v82, v77, vcc_lo
; %bb.64:
	s_or_b32 exec_lo, exec_lo, s3
	v_and_b32_e32 v77, 0x7f800000, v78
	s_delay_alu instid0(VALU_DEP_1) | instskip(SKIP_1) | instid1(SALU_CYCLE_1)
	v_cmp_ne_u32_e32 vcc_lo, 0x7f800000, v77
                                        ; implicit-def: $vgpr77
	s_and_saveexec_b32 s3, vcc_lo
	s_xor_b32 s3, exec_lo, s3
; %bb.65:
	v_bfe_u32 v77, v78, 16, 1
	s_delay_alu instid0(VALU_DEP_1)
	v_add3_u32 v77, v78, v77, 0x7fff
                                        ; implicit-def: $vgpr78
; %bb.66:
	s_and_not1_saveexec_b32 s3, s3
; %bb.67:
	v_and_b32_e32 v77, 0xffff, v78
	v_or_b32_e32 v82, 0x10000, v78
	s_delay_alu instid0(VALU_DEP_2) | instskip(NEXT) | instid1(VALU_DEP_2)
	v_cmp_eq_u32_e32 vcc_lo, 0, v77
	v_cndmask_b32_e32 v77, v82, v78, vcc_lo
; %bb.68:
	s_or_b32 exec_lo, exec_lo, s3
	v_and_b32_e32 v78, 0x7f800000, v70
	s_delay_alu instid0(VALU_DEP_1) | instskip(SKIP_1) | instid1(SALU_CYCLE_1)
	v_cmp_ne_u32_e32 vcc_lo, 0x7f800000, v78
                                        ; implicit-def: $vgpr78
	s_and_saveexec_b32 s3, vcc_lo
	s_xor_b32 s3, exec_lo, s3
; %bb.69:
	v_bfe_u32 v78, v70, 16, 1
	s_delay_alu instid0(VALU_DEP_1)
	v_add3_u32 v78, v70, v78, 0x7fff
                                        ; implicit-def: $vgpr70
; %bb.70:
	s_and_not1_saveexec_b32 s3, s3
; %bb.71:
	v_and_b32_e32 v78, 0xffff, v70
	v_or_b32_e32 v82, 0x10000, v70
	s_delay_alu instid0(VALU_DEP_2) | instskip(NEXT) | instid1(VALU_DEP_2)
	v_cmp_eq_u32_e32 vcc_lo, 0, v78
	v_cndmask_b32_e32 v78, v82, v70, vcc_lo
; %bb.72:
	s_or_b32 exec_lo, exec_lo, s3
	v_and_b32_e32 v70, 0x7f800000, v66
	s_delay_alu instid0(VALU_DEP_1) | instskip(SKIP_1) | instid1(SALU_CYCLE_1)
	v_cmp_ne_u32_e32 vcc_lo, 0x7f800000, v70
                                        ; implicit-def: $vgpr70
	s_and_saveexec_b32 s3, vcc_lo
	s_xor_b32 s3, exec_lo, s3
; %bb.73:
	v_bfe_u32 v70, v66, 16, 1
	s_delay_alu instid0(VALU_DEP_1)
	v_add3_u32 v70, v66, v70, 0x7fff
                                        ; implicit-def: $vgpr66
; %bb.74:
	s_and_not1_saveexec_b32 s3, s3
; %bb.75:
	v_and_b32_e32 v70, 0xffff, v66
	v_or_b32_e32 v82, 0x10000, v66
	s_delay_alu instid0(VALU_DEP_2) | instskip(NEXT) | instid1(VALU_DEP_2)
	v_cmp_eq_u32_e32 vcc_lo, 0, v70
	v_cndmask_b32_e32 v70, v82, v66, vcc_lo
; %bb.76:
	s_or_b32 exec_lo, exec_lo, s3
	s_delay_alu instid0(VALU_DEP_1)
	v_perm_b32 v86, v70, v78, 0x7060302
	v_perm_b32 v85, v77, v81, 0x7060302
	;; [unrolled: 1-line block ×4, first 2 shown]
	v_lshl_or_b32 v82, v65, 11, v80
	ds_store_b128 v76, v[83:86] offset:1024
	s_waitcnt lgkmcnt(0)
	s_barrier
	buffer_gl0_inv
	ds_load_b128 v[69:72], v82
	ds_load_b128 v[83:86], v82 offset:16
	s_waitcnt lgkmcnt(1)
	v_lshrrev_b32_e32 v65, 16, v69
	v_lshlrev_b32_e32 v78, 2, v75
	s_waitcnt lgkmcnt(0)
	v_lshrrev_b32_e32 v91, 16, v83
	v_lshrrev_b32_e32 v66, 16, v70
	;; [unrolled: 1-line block ×4, first 2 shown]
	v_cmp_eq_u32_e32 vcc_lo, 1, v78
	v_lshrrev_b32_e32 v98, 16, v85
	v_lshrrev_b32_e32 v96, 16, v72
	;; [unrolled: 1-line block ×3, first 2 shown]
	v_cndmask_b32_e32 v81, v69, v65, vcc_lo
	v_or_b32_e32 v79, 1, v78
	v_cmp_eq_u32_e64 s4, 2, v78
	v_cndmask_b32_e32 v87, v83, v91, vcc_lo
	v_cmp_eq_u32_e64 s7, 3, v78
	v_cmp_eq_u32_e64 s9, 4, v78
	;; [unrolled: 1-line block ×3, first 2 shown]
	v_cndmask_b32_e64 v81, v81, v70, s4
	v_cmp_eq_u32_e64 s6, 2, v79
	v_cndmask_b32_e64 v87, v87, v84, s4
	v_cmp_eq_u32_e64 s8, 3, v79
	v_cndmask_b32_e64 v88, v69, v65, s3
	v_cndmask_b32_e64 v81, v81, v66, s7
	v_or_b32_e32 v77, 2, v78
	v_cndmask_b32_e64 v87, v87, v97, s7
	v_cndmask_b32_e64 v89, v83, v91, s3
	;; [unrolled: 1-line block ×4, first 2 shown]
	v_cmp_eq_u32_e64 s10, 5, v78
	v_cndmask_b32_e64 v87, v87, v85, s9
	v_cmp_eq_u32_e64 s11, 4, v79
	v_cndmask_b32_e64 v88, v88, v66, s8
	;; [unrolled: 2-line block ×3, first 2 shown]
	v_cndmask_b32_e64 v81, v81, v95, s10
	v_cmp_eq_u32_e64 s12, 6, v78
	v_cndmask_b32_e64 v88, v88, v71, s11
	v_cndmask_b32_e64 v87, v87, v98, s10
	v_cmp_eq_u32_e64 s13, 5, v79
	v_cndmask_b32_e64 v90, v69, v65, s5
	v_cndmask_b32_e64 v89, v89, v97, s8
	;; [unrolled: 1-line block ×3, first 2 shown]
	v_cmp_eq_u32_e64 s15, 7, v78
	v_cndmask_b32_e64 v88, v88, v95, s13
	v_cndmask_b32_e64 v87, v87, v86, s12
	v_cmp_eq_u32_e64 s16, 6, v79
	v_cmp_eq_u32_e64 s17, 2, v77
	v_cndmask_b32_e64 v89, v89, v85, s11
	v_cndmask_b32_e64 v100, v81, v96, s15
	;; [unrolled: 1-line block ×6, first 2 shown]
	v_cmp_eq_u32_e64 s18, 7, v79
	v_cmp_eq_u32_e64 s19, 3, v77
	;; [unrolled: 1-line block ×4, first 2 shown]
	v_cndmask_b32_e64 v87, v87, v84, s17
	v_cndmask_b32_e64 v102, v88, v96, s18
	;; [unrolled: 1-line block ×4, first 2 shown]
	v_or_b32_e32 v81, 3, v78
	v_cndmask_b32_e64 v93, v87, v97, s19
	v_cmp_eq_u32_e64 s24, 6, v77
	v_cndmask_b32_e64 v103, v88, v86, s16
	v_cndmask_b32_e64 v92, v89, v71, s20
	v_cmp_eq_u32_e64 s21, 1, v81
	ds_load_b128 v[87:90], v82 offset:1024
	v_cmp_eq_u32_e64 s23, 2, v81
	v_cmp_eq_u32_e64 s25, 3, v81
	v_cndmask_b32_e64 v104, v92, v95, s22
	v_cndmask_b32_e64 v65, v69, v65, s21
	v_cndmask_b32_e64 v69, v93, v85, s20
	v_cndmask_b32_e64 v83, v83, v91, s21
	ds_load_b128 v[91:94], v82 offset:1040
	v_cmp_eq_u32_e64 s26, 4, v81
	v_cndmask_b32_e64 v65, v65, v70, s23
	v_cmp_eq_u32_e64 s28, 5, v81
	v_cndmask_b32_e64 v70, v83, v84, s23
	;; [unrolled: 2-line block ×3, first 2 shown]
	v_cndmask_b32_e64 v65, v65, v66, s25
	v_cndmask_b32_e64 v66, v104, v72, s24
	;; [unrolled: 1-line block ×3, first 2 shown]
	v_cmp_eq_u32_e64 s27, 7, v77
	v_cndmask_b32_e64 v69, v69, v86, s24
	v_cndmask_b32_e64 v65, v65, v71, s26
	s_waitcnt lgkmcnt(1)
	v_lshrrev_b32_e32 v84, 16, v87
	v_cndmask_b32_e64 v70, v70, v85, s26
	v_cndmask_b32_e64 v83, v103, v99, s18
	;; [unrolled: 1-line block ×4, first 2 shown]
	v_lshrrev_b32_e32 v95, 16, v88
	v_cndmask_b32_e64 v70, v70, v98, s28
	s_waitcnt lgkmcnt(0)
	v_lshrrev_b32_e32 v85, 16, v91
	v_cndmask_b32_e64 v97, v87, v84, s3
	v_cndmask_b32_e64 v65, v65, v72, s29
	;; [unrolled: 1-line block ×4, first 2 shown]
	v_cndmask_b32_e32 v71, v87, v84, vcc_lo
	v_cndmask_b32_e32 v98, v91, v85, vcc_lo
	v_cmp_eq_u32_e32 vcc_lo, 7, v81
	v_cndmask_b32_e64 v72, v97, v88, s6
	v_lshrrev_b32_e32 v97, 16, v92
	v_lshrrev_b32_e32 v103, 16, v90
	v_dual_cndmask_b32 v65, v65, v96 :: v_dual_cndmask_b32 v70, v70, v99
	v_cndmask_b32_e64 v71, v71, v88, s4
	v_cndmask_b32_e64 v86, v98, v92, s4
	;; [unrolled: 1-line block ×3, first 2 shown]
	v_lshrrev_b32_e32 v98, 16, v89
	v_lshrrev_b32_e32 v99, 16, v93
	v_cndmask_b32_e64 v71, v71, v95, s7
	v_cndmask_b32_e64 v86, v86, v97, s7
	;; [unrolled: 1-line block ×3, first 2 shown]
	v_perm_b32 v72, v70, v65, 0x5040100
	v_perm_b32 v70, v83, v102, 0x5040100
	v_cndmask_b32_e64 v71, v71, v89, s9
	v_cndmask_b32_e64 v86, v86, v93, s9
	;; [unrolled: 1-line block ×3, first 2 shown]
	v_lshrrev_b32_e32 v83, 16, v94
	s_delay_alu instid0(VALU_DEP_4) | instskip(NEXT) | instid1(VALU_DEP_4)
	v_cndmask_b32_e64 v71, v71, v98, s10
	v_cndmask_b32_e64 v86, v86, v99, s10
	s_delay_alu instid0(VALU_DEP_4) | instskip(NEXT) | instid1(VALU_DEP_3)
	v_cndmask_b32_e64 v65, v65, v90, s16
	v_cndmask_b32_e64 v96, v71, v90, s12
	v_perm_b32 v71, v69, v66, 0x5040100
	s_delay_alu instid0(VALU_DEP_4)
	v_cndmask_b32_e64 v69, v86, v94, s12
	v_cndmask_b32_e64 v86, v87, v84, s5
	;; [unrolled: 1-line block ×34, first 2 shown]
	v_cndmask_b32_e32 v84, v84, v103, vcc_lo
	v_cndmask_b32_e32 v86, v87, v83, vcc_lo
	v_cndmask_b32_e64 v87, v88, v83, s27
	v_cndmask_b32_e64 v88, v85, v83, s18
	;; [unrolled: 1-line block ×3, first 2 shown]
	v_perm_b32 v69, v101, v100, 0x5040100
	v_perm_b32 v86, v86, v84, 0x5040100
	;; [unrolled: 1-line block ×5, first 2 shown]
	s_lshl_b32 s8, s35, 3
	s_mov_b32 s3, exec_lo
	ds_store_b128 v76, v[69:72]
	ds_store_b128 v76, v[83:86] offset:1024
	v_cmpx_gt_u32_e32 8, v0
	s_cbranch_execz .LBB1765_78
; %bb.77:
	v_or_b32_e32 v65, s31, v0
	s_load_b128 s[4:7], s[0:1], 0x58
	s_delay_alu instid0(VALU_DEP_1) | instskip(NEXT) | instid1(VALU_DEP_1)
	v_mad_u64_u32 v[69:70], null, s8, s30, v[65:66]
	v_mad_u64_u32 v[65:66], null, v69, s34, s[14:15]
	s_delay_alu instid0(VALU_DEP_1) | instskip(NEXT) | instid1(VALU_DEP_1)
	v_ashrrev_i32_e32 v66, 31, v65
	v_lshlrev_b64 v[65:66], 2, v[65:66]
	s_waitcnt lgkmcnt(0)
	s_delay_alu instid0(VALU_DEP_1) | instskip(NEXT) | instid1(VALU_DEP_2)
	v_add_co_u32 v69, vcc_lo, s6, v65
	v_add_co_ci_u32_e32 v70, vcc_lo, s7, v66, vcc_lo
	v_add_co_u32 v65, vcc_lo, s4, v65
	v_add_co_ci_u32_e32 v66, vcc_lo, s5, v66, vcc_lo
	global_store_b32 v[69:70], v67, off
	global_store_b32 v[65:66], v68, off
.LBB1765_78:
	s_or_b32 exec_lo, exec_lo, s3
	s_waitcnt lgkmcnt(0)
	s_waitcnt_vscnt null, 0x0
	s_barrier
	buffer_gl0_inv
	ds_load_b128 v[83:86], v80
	ds_load_b128 v[87:90], v80 offset:16
	ds_load_b128 v[95:98], v80 offset:2064
	;; [unrolled: 1-line block ×3, first 2 shown]
	v_mov_b32_e32 v65, 0
	ds_load_b128 v[103:106], v80 offset:4112
	ds_load_b128 v[99:102], v80 offset:4096
	;; [unrolled: 1-line block ×4, first 2 shown]
	v_mov_b32_e32 v66, v65
	v_mov_b32_e32 v67, v65
	;; [unrolled: 1-line block ×7, first 2 shown]
	s_waitcnt lgkmcnt(6)
	s_delay_alu instid0(VALU_DEP_1)
	v_wmma_f32_16x16x16_bf16 v[65:72], v[57:64], v[83:90], v[65:72]
	ds_load_b128 v[61:64], v80 offset:8208
	ds_load_b128 v[57:60], v80 offset:8192
	s_waitcnt lgkmcnt(6)
	v_wmma_f32_16x16x16_bf16 v[65:72], v[41:48], v[91:98], v[65:72]
	ds_load_b128 v[45:48], v80 offset:10256
	ds_load_b128 v[41:44], v80 offset:10240
	s_waitcnt lgkmcnt(6)
	;; [unrolled: 4-line block ×4, first 2 shown]
	v_wmma_f32_16x16x16_bf16 v[65:72], v[1:8], v[57:64], v[65:72]
	s_waitcnt lgkmcnt(4)
	s_delay_alu instid0(VALU_DEP_1) | instskip(SKIP_1) | instid1(VALU_DEP_1)
	v_wmma_f32_16x16x16_bf16 v[65:72], v[9:16], v[41:48], v[65:72]
	s_waitcnt lgkmcnt(2)
	v_wmma_f32_16x16x16_bf16 v[65:72], v[17:24], v[33:40], v[65:72]
	s_waitcnt lgkmcnt(0)
	s_delay_alu instid0(VALU_DEP_1) | instskip(NEXT) | instid1(VALU_DEP_1)
	v_wmma_f32_16x16x16_bf16 v[65:72], v[49:56], v[25:32], v[65:72]
	v_and_b32_e32 v1, 0x7f800000, v65
	s_delay_alu instid0(VALU_DEP_1) | instskip(SKIP_1) | instid1(SALU_CYCLE_1)
	v_cmp_ne_u32_e32 vcc_lo, 0x7f800000, v1
                                        ; implicit-def: $vgpr1
	s_and_saveexec_b32 s3, vcc_lo
	s_xor_b32 s3, exec_lo, s3
; %bb.79:
	v_bfe_u32 v1, v65, 16, 1
	s_delay_alu instid0(VALU_DEP_1)
	v_add3_u32 v1, v65, v1, 0x7fff
; %bb.80:
	s_and_not1_saveexec_b32 s3, s3
; %bb.81:
	v_and_b32_e32 v1, 0xffff, v65
	v_or_b32_e32 v2, 0x10000, v65
	s_delay_alu instid0(VALU_DEP_2) | instskip(NEXT) | instid1(VALU_DEP_2)
	v_cmp_eq_u32_e32 vcc_lo, 0, v1
	v_cndmask_b32_e32 v1, v2, v65, vcc_lo
; %bb.82:
	s_or_b32 exec_lo, exec_lo, s3
	v_and_b32_e32 v2, 0x7f800000, v66
	s_delay_alu instid0(VALU_DEP_1) | instskip(SKIP_1) | instid1(SALU_CYCLE_1)
	v_cmp_ne_u32_e32 vcc_lo, 0x7f800000, v2
                                        ; implicit-def: $vgpr2
	s_and_saveexec_b32 s3, vcc_lo
	s_xor_b32 s3, exec_lo, s3
; %bb.83:
	v_bfe_u32 v2, v66, 16, 1
	s_delay_alu instid0(VALU_DEP_1)
	v_add3_u32 v2, v66, v2, 0x7fff
; %bb.84:
	s_and_not1_saveexec_b32 s3, s3
; %bb.85:
	v_and_b32_e32 v2, 0xffff, v66
	v_or_b32_e32 v3, 0x10000, v66
	s_delay_alu instid0(VALU_DEP_2) | instskip(NEXT) | instid1(VALU_DEP_2)
	v_cmp_eq_u32_e32 vcc_lo, 0, v2
	v_cndmask_b32_e32 v2, v3, v66, vcc_lo
; %bb.86:
	s_or_b32 exec_lo, exec_lo, s3
	v_and_b32_e32 v3, 0x7f800000, v67
	s_delay_alu instid0(VALU_DEP_1) | instskip(SKIP_1) | instid1(SALU_CYCLE_1)
	v_cmp_ne_u32_e32 vcc_lo, 0x7f800000, v3
                                        ; implicit-def: $vgpr3
	s_and_saveexec_b32 s3, vcc_lo
	s_xor_b32 s3, exec_lo, s3
; %bb.87:
	v_bfe_u32 v3, v67, 16, 1
	s_delay_alu instid0(VALU_DEP_1)
	v_add3_u32 v3, v67, v3, 0x7fff
; %bb.88:
	s_and_not1_saveexec_b32 s3, s3
; %bb.89:
	v_and_b32_e32 v3, 0xffff, v67
	v_or_b32_e32 v4, 0x10000, v67
	s_delay_alu instid0(VALU_DEP_2) | instskip(NEXT) | instid1(VALU_DEP_2)
	v_cmp_eq_u32_e32 vcc_lo, 0, v3
	v_cndmask_b32_e32 v3, v4, v67, vcc_lo
; %bb.90:
	s_or_b32 exec_lo, exec_lo, s3
	v_and_b32_e32 v4, 0x7f800000, v68
	s_delay_alu instid0(VALU_DEP_1) | instskip(SKIP_1) | instid1(SALU_CYCLE_1)
	v_cmp_ne_u32_e32 vcc_lo, 0x7f800000, v4
                                        ; implicit-def: $vgpr4
	s_and_saveexec_b32 s3, vcc_lo
	s_xor_b32 s3, exec_lo, s3
; %bb.91:
	v_bfe_u32 v4, v68, 16, 1
	s_delay_alu instid0(VALU_DEP_1)
	v_add3_u32 v4, v68, v4, 0x7fff
; %bb.92:
	s_and_not1_saveexec_b32 s3, s3
; %bb.93:
	v_and_b32_e32 v4, 0xffff, v68
	v_or_b32_e32 v5, 0x10000, v68
	s_delay_alu instid0(VALU_DEP_2) | instskip(NEXT) | instid1(VALU_DEP_2)
	v_cmp_eq_u32_e32 vcc_lo, 0, v4
	v_cndmask_b32_e32 v4, v5, v68, vcc_lo
; %bb.94:
	s_or_b32 exec_lo, exec_lo, s3
	v_and_b32_e32 v5, 0x7f800000, v69
	s_delay_alu instid0(VALU_DEP_1) | instskip(SKIP_1) | instid1(SALU_CYCLE_1)
	v_cmp_ne_u32_e32 vcc_lo, 0x7f800000, v5
                                        ; implicit-def: $vgpr5
	s_and_saveexec_b32 s3, vcc_lo
	s_xor_b32 s3, exec_lo, s3
; %bb.95:
	v_bfe_u32 v5, v69, 16, 1
	s_delay_alu instid0(VALU_DEP_1)
	v_add3_u32 v5, v69, v5, 0x7fff
; %bb.96:
	s_and_not1_saveexec_b32 s3, s3
; %bb.97:
	v_and_b32_e32 v5, 0xffff, v69
	v_or_b32_e32 v6, 0x10000, v69
	s_delay_alu instid0(VALU_DEP_2) | instskip(NEXT) | instid1(VALU_DEP_2)
	v_cmp_eq_u32_e32 vcc_lo, 0, v5
	v_cndmask_b32_e32 v5, v6, v69, vcc_lo
; %bb.98:
	s_or_b32 exec_lo, exec_lo, s3
	v_and_b32_e32 v6, 0x7f800000, v70
	s_delay_alu instid0(VALU_DEP_1) | instskip(SKIP_1) | instid1(SALU_CYCLE_1)
	v_cmp_ne_u32_e32 vcc_lo, 0x7f800000, v6
                                        ; implicit-def: $vgpr6
	s_and_saveexec_b32 s3, vcc_lo
	s_xor_b32 s3, exec_lo, s3
; %bb.99:
	v_bfe_u32 v6, v70, 16, 1
	s_delay_alu instid0(VALU_DEP_1)
	v_add3_u32 v6, v70, v6, 0x7fff
; %bb.100:
	s_and_not1_saveexec_b32 s3, s3
; %bb.101:
	v_and_b32_e32 v6, 0xffff, v70
	v_or_b32_e32 v7, 0x10000, v70
	s_delay_alu instid0(VALU_DEP_2) | instskip(NEXT) | instid1(VALU_DEP_2)
	v_cmp_eq_u32_e32 vcc_lo, 0, v6
	v_cndmask_b32_e32 v6, v7, v70, vcc_lo
; %bb.102:
	s_or_b32 exec_lo, exec_lo, s3
	v_and_b32_e32 v7, 0x7f800000, v71
	s_delay_alu instid0(VALU_DEP_1) | instskip(SKIP_1) | instid1(SALU_CYCLE_1)
	v_cmp_ne_u32_e32 vcc_lo, 0x7f800000, v7
                                        ; implicit-def: $vgpr7
	s_and_saveexec_b32 s3, vcc_lo
	s_xor_b32 s3, exec_lo, s3
; %bb.103:
	v_bfe_u32 v7, v71, 16, 1
	s_delay_alu instid0(VALU_DEP_1)
	v_add3_u32 v7, v71, v7, 0x7fff
; %bb.104:
	s_and_not1_saveexec_b32 s3, s3
; %bb.105:
	v_and_b32_e32 v7, 0xffff, v71
	v_or_b32_e32 v8, 0x10000, v71
	s_delay_alu instid0(VALU_DEP_2) | instskip(NEXT) | instid1(VALU_DEP_2)
	v_cmp_eq_u32_e32 vcc_lo, 0, v7
	v_cndmask_b32_e32 v7, v8, v71, vcc_lo
; %bb.106:
	s_or_b32 exec_lo, exec_lo, s3
	v_and_b32_e32 v8, 0x7f800000, v72
	s_delay_alu instid0(VALU_DEP_1) | instskip(SKIP_1) | instid1(SALU_CYCLE_1)
	v_cmp_ne_u32_e32 vcc_lo, 0x7f800000, v8
                                        ; implicit-def: $vgpr8
	s_and_saveexec_b32 s3, vcc_lo
	s_xor_b32 s3, exec_lo, s3
; %bb.107:
	v_bfe_u32 v8, v72, 16, 1
	s_delay_alu instid0(VALU_DEP_1)
	v_add3_u32 v8, v72, v8, 0x7fff
                                        ; implicit-def: $vgpr65_vgpr66_vgpr67_vgpr68_vgpr69_vgpr70_vgpr71_vgpr72
; %bb.108:
	s_and_not1_saveexec_b32 s3, s3
; %bb.109:
	v_and_b32_e32 v8, 0xffff, v72
	v_or_b32_e32 v9, 0x10000, v72
	s_delay_alu instid0(VALU_DEP_2) | instskip(NEXT) | instid1(VALU_DEP_2)
	v_cmp_eq_u32_e32 vcc_lo, 0, v8
	v_cndmask_b32_e32 v8, v9, v72, vcc_lo
; %bb.110:
	s_or_b32 exec_lo, exec_lo, s3
	s_delay_alu instid0(VALU_DEP_1)
	v_perm_b32 v7, v8, v7, 0x7060302
	v_perm_b32 v6, v6, v5, 0x7060302
	;; [unrolled: 1-line block ×4, first 2 shown]
	s_barrier
	buffer_gl0_inv
	v_cmp_eq_u32_e32 vcc_lo, 1, v78
	ds_store_b128 v76, v[4:7]
	s_waitcnt lgkmcnt(0)
	s_barrier
	buffer_gl0_inv
	ds_load_b128 v[1:4], v82
	ds_load_b128 v[5:8], v82 offset:16
	v_cmp_eq_u32_e64 s3, 1, v79
	v_cmp_eq_u32_e64 s4, 2, v78
	;; [unrolled: 1-line block ×5, first 2 shown]
	s_waitcnt lgkmcnt(1)
	v_lshrrev_b32_e32 v9, 16, v1
	s_waitcnt lgkmcnt(0)
	v_lshrrev_b32_e32 v13, 16, v5
	v_lshrrev_b32_e32 v10, 16, v2
	;; [unrolled: 1-line block ×4, first 2 shown]
	v_cndmask_b32_e64 v19, v1, v9, s3
	v_cndmask_b32_e32 v18, v5, v13, vcc_lo
	v_cndmask_b32_e64 v20, v5, v13, s3
	v_cndmask_b32_e32 v17, v1, v9, vcc_lo
	v_cmp_eq_u32_e32 vcc_lo, 2, v79
	v_lshrrev_b32_e32 v15, 16, v7
	v_cmp_eq_u32_e64 s3, 1, v77
	v_lshrrev_b32_e32 v12, 16, v4
	v_lshrrev_b32_e32 v16, 16, v8
	v_cndmask_b32_e32 v20, v20, v6, vcc_lo
	v_cndmask_b32_e64 v17, v17, v2, s4
	v_cndmask_b32_e32 v19, v19, v2, vcc_lo
	v_cndmask_b32_e64 v18, v18, v6, s4
	v_cmp_eq_u32_e32 vcc_lo, 4, v78
	v_cmp_eq_u32_e64 s4, 3, v79
	v_cndmask_b32_e64 v17, v17, v10, s5
	v_cndmask_b32_e64 v21, v1, v9, s3
	;; [unrolled: 1-line block ×5, first 2 shown]
	v_cndmask_b32_e32 v17, v17, v3, vcc_lo
	v_cndmask_b32_e64 v20, v20, v14, s4
	v_cndmask_b32_e32 v18, v18, v7, vcc_lo
	v_cmp_eq_u32_e32 vcc_lo, 4, v79
	v_cmp_eq_u32_e64 s4, 5, v79
	v_cmp_eq_u32_e64 s3, 2, v81
	v_cndmask_b32_e64 v21, v21, v2, s7
	v_cmp_eq_u32_e64 s5, 5, v78
	v_cndmask_b32_e32 v19, v19, v3, vcc_lo
	v_cndmask_b32_e32 v20, v20, v7, vcc_lo
	v_cmp_eq_u32_e32 vcc_lo, 6, v79
	s_delay_alu instid0(VALU_DEP_4) | instskip(NEXT) | instid1(VALU_DEP_4)
	v_cndmask_b32_e64 v17, v17, v11, s5
	v_cndmask_b32_e64 v19, v19, v11, s4
	s_delay_alu instid0(VALU_DEP_4) | instskip(SKIP_1) | instid1(VALU_DEP_3)
	v_cndmask_b32_e64 v20, v20, v15, s4
	v_cmp_eq_u32_e64 s4, 1, v81
	v_cndmask_b32_e32 v19, v19, v4, vcc_lo
	v_cndmask_b32_e64 v18, v18, v15, s5
	s_delay_alu instid0(VALU_DEP_3)
	v_cndmask_b32_e64 v1, v1, v9, s4
	v_cndmask_b32_e64 v5, v5, v13, s4
	v_cmp_eq_u32_e64 s4, 3, v77
	v_cndmask_b32_e64 v13, v22, v6, s7
	v_cmp_eq_u32_e64 s7, 3, v81
	v_cndmask_b32_e64 v1, v1, v2, s3
	v_cndmask_b32_e64 v2, v5, v6, s3
	;; [unrolled: 1-line block ×3, first 2 shown]
	v_cmp_eq_u32_e64 s3, 4, v77
	v_cndmask_b32_e64 v6, v13, v14, s4
	v_cndmask_b32_e64 v1, v1, v10, s7
	v_cmp_eq_u32_e64 s4, 4, v81
	v_cndmask_b32_e64 v2, v2, v14, s7
	v_cndmask_b32_e64 v5, v9, v3, s3
	;; [unrolled: 3-line block ×3, first 2 shown]
	v_cndmask_b32_e64 v2, v2, v7, s4
	v_cmp_eq_u32_e64 s3, 5, v81
	v_cmp_eq_u32_e64 s5, 6, v78
	v_cndmask_b32_e64 v5, v5, v11, s7
	v_cmp_eq_u32_e64 s4, 6, v77
	v_cndmask_b32_e64 v3, v6, v15, s7
	v_cndmask_b32_e64 v1, v1, v11, s3
	v_cmp_eq_u32_e64 s7, 6, v81
	v_cndmask_b32_e64 v2, v2, v15, s3
	v_cndmask_b32_e64 v17, v17, v4, s5
	v_cndmask_b32_e64 v18, v18, v8, s5
	v_cmp_eq_u32_e64 s5, 7, v78
	v_cndmask_b32_e64 v5, v5, v4, s4
	;; [unrolled: 4-line block ×3, first 2 shown]
	v_cmp_eq_u32_e64 s4, 7, v77
	v_cndmask_b32_e32 v4, v20, v8, vcc_lo
	v_cndmask_b32_e64 v17, v17, v12, s5
	v_cndmask_b32_e64 v19, v19, v12, s6
	;; [unrolled: 1-line block ×8, first 2 shown]
	v_cmp_gt_u32_e32 vcc_lo, 32, v0
	v_perm_b32 v4, v2, v1, 0x5040100
	v_perm_b32 v3, v3, v5, 0x5040100
	;; [unrolled: 1-line block ×4, first 2 shown]
	s_and_b32 s2, vcc_lo, s2
	ds_store_b128 v76, v[1:4]
	s_waitcnt lgkmcnt(0)
	s_barrier
	buffer_gl0_inv
	s_and_saveexec_b32 s3, s2
	s_cbranch_execz .LBB1765_2
; %bb.111:
	s_load_b64 s[0:1], s[0:1], 0x68
	s_lshl_b32 s4, s34, 6
	v_or_b32_e32 v2, s31, v75
	s_mul_i32 s2, s4, s30
	v_lshlrev_b32_e32 v1, 10, v0
	s_mul_i32 s2, s2, s8
	v_lshlrev_b32_e32 v3, 4, v74
	v_mul_lo_u32 v0, v2, s4
	s_ashr_i32 s3, s2, 31
	v_lshlrev_b32_e32 v4, 6, v75
	v_and_b32_e32 v1, 0x3800, v1
	v_or_b32_e32 v5, 2, v2
	s_lshl_b64 s[2:3], s[2:3], 1
	v_or_b32_e32 v6, 4, v2
	v_or_b32_e32 v7, 6, v2
	v_or3_b32 v12, v1, v3, v4
	v_ashrrev_i32_e32 v1, 31, v0
	v_mul_lo_u32 v2, v5, s4
	v_mul_lo_u32 v16, v6, s4
	;; [unrolled: 1-line block ×3, first 2 shown]
	s_waitcnt lgkmcnt(0)
	s_add_u32 s2, s0, s2
	s_addc_u32 s3, s1, s3
	s_lshl_b32 s0, s14, 6
	v_lshlrev_b64 v[0:1], 1, v[0:1]
	s_ashr_i32 s1, s0, 31
	v_ashrrev_i32_e32 v3, 31, v2
	s_lshl_b64 s[0:1], s[0:1], 1
	v_ashrrev_i32_e32 v17, 31, v16
	s_add_u32 s0, s2, s0
	s_addc_u32 s1, s3, s1
	v_add_co_u32 v24, s0, s0, v73
	s_delay_alu instid0(VALU_DEP_1) | instskip(SKIP_1) | instid1(VALU_DEP_3)
	v_add_co_ci_u32_e64 v25, null, s1, 0, s0
	v_lshlrev_b64 v[22:23], 1, v[2:3]
	v_add_co_u32 v18, vcc_lo, v24, v0
	s_delay_alu instid0(VALU_DEP_3)
	v_add_co_ci_u32_e32 v19, vcc_lo, v25, v1, vcc_lo
	ds_load_b128 v[0:3], v12
	ds_load_b128 v[4:7], v12 offset:128
	ds_load_b128 v[8:11], v12 offset:256
	;; [unrolled: 1-line block ×3, first 2 shown]
	v_ashrrev_i32_e32 v21, 31, v20
	v_lshlrev_b64 v[16:17], 1, v[16:17]
	v_add_co_u32 v22, vcc_lo, v24, v22
	v_add_co_ci_u32_e32 v23, vcc_lo, v25, v23, vcc_lo
	s_delay_alu instid0(VALU_DEP_4) | instskip(NEXT) | instid1(VALU_DEP_4)
	v_lshlrev_b64 v[20:21], 1, v[20:21]
	v_add_co_u32 v16, vcc_lo, v24, v16
	v_add_co_ci_u32_e32 v17, vcc_lo, v25, v17, vcc_lo
	s_delay_alu instid0(VALU_DEP_3) | instskip(NEXT) | instid1(VALU_DEP_4)
	v_add_co_u32 v20, vcc_lo, v24, v20
	v_add_co_ci_u32_e32 v21, vcc_lo, v25, v21, vcc_lo
	s_waitcnt lgkmcnt(3)
	global_store_b128 v[18:19], v[0:3], off
	s_waitcnt lgkmcnt(2)
	global_store_b128 v[22:23], v[4:7], off
	;; [unrolled: 2-line block ×4, first 2 shown]
	s_nop 0
	s_sendmsg sendmsg(MSG_DEALLOC_VGPRS)
	s_endpgm
	.section	.rodata,"a",@progbits
	.p2align	6, 0x0
	.amdhsa_kernel _Z39paged_attention_ll4mi_QKV_mfma16_kernelI14__hip_bfloat16hLN4vllm18Fp8KVCacheDataTypeE1ES0_Li32ELi64ELi256ELb1ELi8EL8MFMAType0EEvPKT_PKT0_S9_ifPKiSB_SB_iPKfiiiPfSE_PS4_PT2_iSD_SD_
		.amdhsa_group_segment_fixed_size 17472
		.amdhsa_private_segment_fixed_size 0
		.amdhsa_kernarg_size 400
		.amdhsa_user_sgpr_count 13
		.amdhsa_user_sgpr_dispatch_ptr 0
		.amdhsa_user_sgpr_queue_ptr 0
		.amdhsa_user_sgpr_kernarg_segment_ptr 1
		.amdhsa_user_sgpr_dispatch_id 0
		.amdhsa_user_sgpr_private_segment_size 0
		.amdhsa_wavefront_size32 1
		.amdhsa_uses_dynamic_stack 0
		.amdhsa_enable_private_segment 0
		.amdhsa_system_sgpr_workgroup_id_x 1
		.amdhsa_system_sgpr_workgroup_id_y 1
		.amdhsa_system_sgpr_workgroup_id_z 1
		.amdhsa_system_sgpr_workgroup_info 0
		.amdhsa_system_vgpr_workitem_id 0
		.amdhsa_next_free_vgpr 124
		.amdhsa_next_free_sgpr 40
		.amdhsa_reserve_vcc 1
		.amdhsa_float_round_mode_32 0
		.amdhsa_float_round_mode_16_64 0
		.amdhsa_float_denorm_mode_32 3
		.amdhsa_float_denorm_mode_16_64 3
		.amdhsa_dx10_clamp 1
		.amdhsa_ieee_mode 1
		.amdhsa_fp16_overflow 0
		.amdhsa_workgroup_processor_mode 1
		.amdhsa_memory_ordered 1
		.amdhsa_forward_progress 0
		.amdhsa_shared_vgpr_count 0
		.amdhsa_exception_fp_ieee_invalid_op 0
		.amdhsa_exception_fp_denorm_src 0
		.amdhsa_exception_fp_ieee_div_zero 0
		.amdhsa_exception_fp_ieee_overflow 0
		.amdhsa_exception_fp_ieee_underflow 0
		.amdhsa_exception_fp_ieee_inexact 0
		.amdhsa_exception_int_div_zero 0
	.end_amdhsa_kernel
	.section	.text._Z39paged_attention_ll4mi_QKV_mfma16_kernelI14__hip_bfloat16hLN4vllm18Fp8KVCacheDataTypeE1ES0_Li32ELi64ELi256ELb1ELi8EL8MFMAType0EEvPKT_PKT0_S9_ifPKiSB_SB_iPKfiiiPfSE_PS4_PT2_iSD_SD_,"axG",@progbits,_Z39paged_attention_ll4mi_QKV_mfma16_kernelI14__hip_bfloat16hLN4vllm18Fp8KVCacheDataTypeE1ES0_Li32ELi64ELi256ELb1ELi8EL8MFMAType0EEvPKT_PKT0_S9_ifPKiSB_SB_iPKfiiiPfSE_PS4_PT2_iSD_SD_,comdat
.Lfunc_end1765:
	.size	_Z39paged_attention_ll4mi_QKV_mfma16_kernelI14__hip_bfloat16hLN4vllm18Fp8KVCacheDataTypeE1ES0_Li32ELi64ELi256ELb1ELi8EL8MFMAType0EEvPKT_PKT0_S9_ifPKiSB_SB_iPKfiiiPfSE_PS4_PT2_iSD_SD_, .Lfunc_end1765-_Z39paged_attention_ll4mi_QKV_mfma16_kernelI14__hip_bfloat16hLN4vllm18Fp8KVCacheDataTypeE1ES0_Li32ELi64ELi256ELb1ELi8EL8MFMAType0EEvPKT_PKT0_S9_ifPKiSB_SB_iPKfiiiPfSE_PS4_PT2_iSD_SD_
                                        ; -- End function
	.section	.AMDGPU.csdata,"",@progbits
; Kernel info:
; codeLenInByte = 8732
; NumSgprs: 42
; NumVgprs: 124
; ScratchSize: 0
; MemoryBound: 0
; FloatMode: 240
; IeeeMode: 1
; LDSByteSize: 17472 bytes/workgroup (compile time only)
; SGPRBlocks: 5
; VGPRBlocks: 15
; NumSGPRsForWavesPerEU: 42
; NumVGPRsForWavesPerEU: 124
; Occupancy: 10
; WaveLimiterHint : 1
; COMPUTE_PGM_RSRC2:SCRATCH_EN: 0
; COMPUTE_PGM_RSRC2:USER_SGPR: 13
; COMPUTE_PGM_RSRC2:TRAP_HANDLER: 0
; COMPUTE_PGM_RSRC2:TGID_X_EN: 1
; COMPUTE_PGM_RSRC2:TGID_Y_EN: 1
; COMPUTE_PGM_RSRC2:TGID_Z_EN: 1
; COMPUTE_PGM_RSRC2:TIDIG_COMP_CNT: 0
	.section	.text._Z39paged_attention_ll4mi_QKV_mfma16_kernelI14__hip_bfloat16hLN4vllm18Fp8KVCacheDataTypeE1ES0_Li32ELi64ELi256ELb1ELi9EL8MFMAType0EEvPKT_PKT0_S9_ifPKiSB_SB_iPKfiiiPfSE_PS4_PT2_iSD_SD_,"axG",@progbits,_Z39paged_attention_ll4mi_QKV_mfma16_kernelI14__hip_bfloat16hLN4vllm18Fp8KVCacheDataTypeE1ES0_Li32ELi64ELi256ELb1ELi9EL8MFMAType0EEvPKT_PKT0_S9_ifPKiSB_SB_iPKfiiiPfSE_PS4_PT2_iSD_SD_,comdat
	.protected	_Z39paged_attention_ll4mi_QKV_mfma16_kernelI14__hip_bfloat16hLN4vllm18Fp8KVCacheDataTypeE1ES0_Li32ELi64ELi256ELb1ELi9EL8MFMAType0EEvPKT_PKT0_S9_ifPKiSB_SB_iPKfiiiPfSE_PS4_PT2_iSD_SD_ ; -- Begin function _Z39paged_attention_ll4mi_QKV_mfma16_kernelI14__hip_bfloat16hLN4vllm18Fp8KVCacheDataTypeE1ES0_Li32ELi64ELi256ELb1ELi9EL8MFMAType0EEvPKT_PKT0_S9_ifPKiSB_SB_iPKfiiiPfSE_PS4_PT2_iSD_SD_
	.globl	_Z39paged_attention_ll4mi_QKV_mfma16_kernelI14__hip_bfloat16hLN4vllm18Fp8KVCacheDataTypeE1ES0_Li32ELi64ELi256ELb1ELi9EL8MFMAType0EEvPKT_PKT0_S9_ifPKiSB_SB_iPKfiiiPfSE_PS4_PT2_iSD_SD_
	.p2align	8
	.type	_Z39paged_attention_ll4mi_QKV_mfma16_kernelI14__hip_bfloat16hLN4vllm18Fp8KVCacheDataTypeE1ES0_Li32ELi64ELi256ELb1ELi9EL8MFMAType0EEvPKT_PKT0_S9_ifPKiSB_SB_iPKfiiiPfSE_PS4_PT2_iSD_SD_,@function
_Z39paged_attention_ll4mi_QKV_mfma16_kernelI14__hip_bfloat16hLN4vllm18Fp8KVCacheDataTypeE1ES0_Li32ELi64ELi256ELb1ELi9EL8MFMAType0EEvPKT_PKT0_S9_ifPKiSB_SB_iPKfiiiPfSE_PS4_PT2_iSD_SD_: ; @_Z39paged_attention_ll4mi_QKV_mfma16_kernelI14__hip_bfloat16hLN4vllm18Fp8KVCacheDataTypeE1ES0_Li32ELi64ELi256ELb1ELi9EL8MFMAType0EEvPKT_PKT0_S9_ifPKiSB_SB_iPKfiiiPfSE_PS4_PT2_iSD_SD_
; %bb.0:
	s_load_b64 s[2:3], s[0:1], 0x30
	s_mov_b32 s34, s13
	s_waitcnt lgkmcnt(0)
	s_cmp_lg_u64 s[2:3], 0
	s_cselect_b32 s8, -1, 0
	s_ashr_i32 s35, s13, 31
	s_cmp_eq_u64 s[2:3], 0
	s_cbranch_scc1 .LBB1766_3
; %bb.1:
	s_lshl_b64 s[4:5], s[34:35], 2
	s_delay_alu instid0(SALU_CYCLE_1) | instskip(SKIP_4) | instid1(SALU_CYCLE_1)
	s_add_u32 s4, s2, s4
	s_addc_u32 s5, s3, s5
	s_load_b64 s[4:5], s[4:5], 0x0
	s_waitcnt lgkmcnt(0)
	s_sub_i32 s4, s5, s4
	s_cmp_eq_u32 s4, 1
	s_cselect_b32 s4, -1, 0
	s_delay_alu instid0(SALU_CYCLE_1)
	s_and_not1_b32 vcc_lo, exec_lo, s4
	s_cbranch_vccz .LBB1766_4
.LBB1766_2:
	s_nop 0
	s_sendmsg sendmsg(MSG_DEALLOC_VGPRS)
	s_endpgm
.LBB1766_3:
.LBB1766_4:
	s_load_b64 s[4:5], s[0:1], 0x28
	s_lshl_b64 s[6:7], s[34:35], 2
	s_waitcnt lgkmcnt(0)
	s_add_u32 s4, s4, s6
	s_addc_u32 s5, s5, s7
	s_lshl_b32 s12, s14, 8
	s_load_b32 s24, s[4:5], 0x0
	s_waitcnt lgkmcnt(0)
	s_cmp_ge_i32 s12, s24
	s_cbranch_scc1 .LBB1766_2
; %bb.5:
	s_clause 0x1
	s_load_b128 s[20:23], s[0:1], 0x8
	s_load_b64 s[4:5], s[0:1], 0x20
	s_and_not1_b32 vcc_lo, exec_lo, s8
	s_cbranch_vccnz .LBB1766_7
; %bb.6:
	s_add_u32 s2, s2, s6
	s_addc_u32 s3, s3, s7
	s_load_b32 s3, s[2:3], 0x0
	s_branch .LBB1766_8
.LBB1766_7:
	s_mov_b32 s3, s34
.LBB1766_8:
	s_load_b128 s[16:19], s[0:1], 0x48
	v_lshrrev_b32_e32 v66, 5, v0
	v_bfe_u32 v74, v0, 4, 1
	v_and_b32_e32 v65, 15, v0
	v_and_b32_e32 v67, 31, v0
	;; [unrolled: 1-line block ×3, first 2 shown]
	s_mul_i32 s31, s15, 9
	v_lshl_or_b32 v1, v66, 1, v74
	v_lshlrev_b32_e32 v2, 3, v65
	v_cmp_gt_u32_e64 s2, 8, v65
	s_delay_alu instid0(VALU_DEP_3) | instskip(NEXT) | instid1(VALU_DEP_3)
	v_cmp_gt_u32_e32 vcc_lo, 9, v1
	v_lshlrev_b32_e32 v73, 1, v2
	s_delay_alu instid0(VALU_DEP_3) | instskip(NEXT) | instid1(SALU_CYCLE_1)
	s_and_b32 s7, s2, vcc_lo
	s_and_saveexec_b32 s6, s7
	s_cbranch_execz .LBB1766_10
; %bb.9:
	s_load_b64 s[8:9], s[0:1], 0x0
	v_add_lshl_u32 v2, v1, s31, 6
	s_waitcnt lgkmcnt(0)
	s_mul_hi_i32 s11, s3, s16
	s_mul_i32 s10, s3, s16
	v_lshlrev_b32_e32 v6, 10, v65
	s_lshl_b64 s[10:11], s[10:11], 1
	v_ashrrev_i32_e32 v3, 31, v2
	v_lshlrev_b32_e32 v1, 6, v1
	v_lshlrev_b32_e32 v7, 10, v75
	v_and_b32_e32 v6, 0x3800, v6
	s_delay_alu instid0(VALU_DEP_4) | instskip(NEXT) | instid1(VALU_DEP_2)
	v_lshlrev_b64 v[2:3], 1, v[2:3]
	v_or3_b32 v1, v6, v7, v1
	s_add_u32 s3, s8, s10
	s_addc_u32 s7, s9, s11
	s_delay_alu instid0(VALU_DEP_2) | instskip(NEXT) | instid1(VALU_DEP_3)
	v_add_co_u32 v2, vcc_lo, s3, v2
	v_add_co_ci_u32_e32 v3, vcc_lo, s7, v3, vcc_lo
	s_delay_alu instid0(VALU_DEP_2) | instskip(NEXT) | instid1(VALU_DEP_2)
	v_add_co_u32 v2, vcc_lo, v2, v73
	v_add_co_ci_u32_e32 v3, vcc_lo, 0, v3, vcc_lo
	global_load_b128 v[2:5], v[2:3], off
	s_waitcnt vmcnt(0)
	ds_store_b128 v1, v[2:5]
.LBB1766_10:
	s_or_b32 exec_lo, exec_lo, s6
	v_and_b32_e32 v1, 0xef, v0
	s_waitcnt lgkmcnt(0)
	s_add_i32 s3, s24, 31
	s_clause 0x1
	s_load_b32 s6, s[0:1], 0x38
	s_load_b32 s19, s[0:1], 0x1c
	s_ashr_i32 s7, s3, 31
	v_add_nc_u32_e32 v1, s12, v1
	s_lshr_b32 s7, s7, 27
	s_waitcnt lgkmcnt(0)
	s_add_i32 s3, s3, s7
	s_barrier
	v_ashrrev_i32_e32 v2, 31, v1
	v_or_b32_e32 v3, 16, v1
	s_ashr_i32 s3, s3, 5
	v_cmp_gt_i32_e32 vcc_lo, s24, v1
	s_add_i32 s3, s3, -1
	v_lshrrev_b32_e32 v2, 27, v2
	buffer_gl0_inv
	s_mul_i32 s27, s15, s18
	v_add_nc_u32_e32 v4, v1, v2
	s_mul_i32 s6, s34, s6
	s_delay_alu instid0(SALU_CYCLE_1) | instskip(NEXT) | instid1(VALU_DEP_1)
	s_ashr_i32 s7, s6, 31
	v_ashrrev_i32_e32 v4, 5, v4
	v_add_nc_u32_e32 v2, v3, v2
	s_lshl_b64 s[6:7], s[6:7], 2
	s_delay_alu instid0(SALU_CYCLE_1) | instskip(NEXT) | instid1(VALU_DEP_2)
	s_add_u32 s26, s4, s6
	v_cndmask_b32_e32 v1, s3, v4, vcc_lo
	s_delay_alu instid0(VALU_DEP_2)
	v_ashrrev_i32_e32 v2, 5, v2
	v_cmp_gt_i32_e32 vcc_lo, s24, v3
	s_addc_u32 s25, s5, s7
	s_ashr_i32 s28, s27, 31
	s_add_u32 s4, s20, s27
	s_addc_u32 s5, s21, s28
	v_cndmask_b32_e32 v3, s3, v2, vcc_lo
	v_ashrrev_i32_e32 v2, 31, v1
	s_lshl_b32 s6, s14, 3
	s_delay_alu instid0(SALU_CYCLE_1) | instskip(NEXT) | instid1(VALU_DEP_2)
	s_ashr_i32 s7, s6, 31
	v_ashrrev_i32_e32 v4, 31, v3
	s_delay_alu instid0(VALU_DEP_2) | instskip(SKIP_1) | instid1(SALU_CYCLE_1)
	v_lshlrev_b64 v[1:2], 2, v[1:2]
	s_lshl_b64 s[6:7], s[6:7], 2
	s_add_u32 s6, s26, s6
	s_delay_alu instid0(VALU_DEP_2) | instskip(SKIP_1) | instid1(VALU_DEP_2)
	v_lshlrev_b64 v[3:4], 2, v[3:4]
	s_addc_u32 s7, s25, s7
	v_add_co_u32 v1, vcc_lo, s26, v1
	v_add_co_ci_u32_e32 v2, vcc_lo, s25, v2, vcc_lo
	s_delay_alu instid0(VALU_DEP_3) | instskip(NEXT) | instid1(VALU_DEP_4)
	v_add_co_u32 v3, vcc_lo, s26, v3
	v_add_co_ci_u32_e32 v4, vcc_lo, s25, v4, vcc_lo
	s_clause 0x1
	global_load_b32 v5, v[1:2], off
	global_load_b32 v6, v[3:4], off
	s_or_b32 s8, s12, 32
	s_delay_alu instid0(SALU_CYCLE_1) | instskip(SKIP_2) | instid1(SALU_CYCLE_1)
	s_ashr_i32 s9, s8, 5
	s_cmp_lt_i32 s8, s24
	s_cselect_b32 s8, s9, s3
	s_ashr_i32 s9, s8, 31
	s_delay_alu instid0(SALU_CYCLE_1) | instskip(NEXT) | instid1(SALU_CYCLE_1)
	s_lshl_b64 s[8:9], s[8:9], 2
	s_add_u32 s8, s26, s8
	s_addc_u32 s9, s25, s9
	s_or_b32 s10, s12, 64
	s_delay_alu instid0(SALU_CYCLE_1) | instskip(SKIP_2) | instid1(SALU_CYCLE_1)
	s_ashr_i32 s11, s10, 5
	s_cmp_lt_i32 s10, s24
	s_cselect_b32 s10, s11, s3
	s_ashr_i32 s11, s10, 31
	s_delay_alu instid0(SALU_CYCLE_1) | instskip(NEXT) | instid1(SALU_CYCLE_1)
	s_lshl_b64 s[10:11], s[10:11], 2
	s_add_u32 s10, s26, s10
	s_addc_u32 s11, s25, s11
	;; [unrolled: 10-line block ×5, first 2 shown]
	s_clause 0x5
	s_load_b32 s21, s[6:7], 0x0
	s_load_b32 s13, s[8:9], 0x0
	;; [unrolled: 1-line block ×6, first 2 shown]
	s_or_b32 s8, s12, 0xc0
	s_delay_alu instid0(SALU_CYCLE_1) | instskip(SKIP_2) | instid1(SALU_CYCLE_1)
	s_ashr_i32 s9, s8, 5
	s_cmp_lt_i32 s8, s24
	s_cselect_b32 s36, s9, s3
	s_ashr_i32 s37, s36, 31
	s_delay_alu instid0(SALU_CYCLE_1) | instskip(NEXT) | instid1(SALU_CYCLE_1)
	s_lshl_b64 s[36:37], s[36:37], 2
	s_add_u32 s36, s26, s36
	s_addc_u32 s37, s25, s37
	s_or_b32 s29, s12, 0xe0
	s_delay_alu instid0(SALU_CYCLE_1)
	s_ashr_i32 s30, s29, 5
	s_cmp_lt_i32 s29, s24
	s_waitcnt vmcnt(1)
	v_mad_i64_i32 v[1:2], null, v5, s17, s[4:5]
	s_waitcnt vmcnt(0)
	v_mad_i64_i32 v[3:4], null, v6, s17, s[4:5]
	s_mov_b32 s4, 0
	s_delay_alu instid0(SALU_CYCLE_1)
	s_mov_b32 s5, s4
	s_mov_b32 s6, s4
	;; [unrolled: 1-line block ×7, first 2 shown]
	v_lshlrev_b32_e32 v5, 4, v65
	v_dual_mov_b32 v107, s11 :: v_dual_mov_b32 v102, s6
	v_mov_b32_e32 v100, s4
	v_mov_b32_e32 v106, s10
	s_delay_alu instid0(VALU_DEP_4)
	v_add_co_u32 v1, vcc_lo, v1, v5
	v_add_co_ci_u32_e32 v2, vcc_lo, 0, v2, vcc_lo
	v_add_co_u32 v3, vcc_lo, v3, v5
	v_add_co_ci_u32_e32 v4, vcc_lo, 0, v4, vcc_lo
	s_clause 0x7
	global_load_b128 v[49:52], v[1:2], off
	global_load_b128 v[53:56], v[1:2], off offset:512
	global_load_b128 v[76:79], v[3:4], off offset:256
	;; [unrolled: 1-line block ×7, first 2 shown]
	v_add_nc_u32_e32 v1, -9, v65
	v_cmp_gt_u32_e32 vcc_lo, 9, v65
	v_dual_mov_b32 v104, s8 :: v_dual_mov_b32 v103, s7
	v_dual_mov_b32 v101, s5 :: v_dual_lshlrev_b32 v2, 5, v65
	s_delay_alu instid0(VALU_DEP_4)
	v_cndmask_b32_e32 v1, v1, v65, vcc_lo
	v_mov_b32_e32 v105, s9
	s_cselect_b32 s4, s30, s3
	s_load_b32 s3, s[36:37], 0x0
	s_ashr_i32 s5, s4, 31
	v_lshlrev_b32_e32 v70, 6, v1
	s_lshl_b64 s[4:5], s[4:5], 2
	v_lshl_or_b32 v2, v66, 9, v2
	s_add_u32 s4, s26, s4
	s_addc_u32 s5, s25, s5
	ds_load_b128 v[108:111], v70
	ds_load_b128 v[112:115], v70 offset:1024
	s_load_b32 s4, s[4:5], 0x0
	s_add_u32 s6, s22, s27
	s_addc_u32 s7, s23, s28
	v_add_co_u32 v9, s6, s6, v2
	s_delay_alu instid0(VALU_DEP_1) | instskip(SKIP_1) | instid1(VALU_DEP_1)
	v_add_co_ci_u32_e64 v10, null, s7, 0, s6
	s_waitcnt lgkmcnt(0)
	v_mad_i64_i32 v[1:2], null, s21, s17, v[9:10]
	v_mad_i64_i32 v[3:4], null, s13, s17, v[9:10]
	;; [unrolled: 1-line block ×7, first 2 shown]
	s_clause 0x9
	global_load_b128 v[57:60], v[1:2], off
	global_load_b128 v[61:64], v[1:2], off offset:16
	global_load_b128 v[41:44], v[3:4], off
	global_load_b128 v[45:48], v[3:4], off offset:16
	;; [unrolled: 2-line block ×5, first 2 shown]
	v_mad_i64_i32 v[68:69], null, s4, s17, v[9:10]
	s_clause 0x3
	global_load_b128 v[9:12], v[13:14], off
	global_load_b128 v[13:16], v[13:14], off offset:16
	global_load_b128 v[17:20], v[21:22], off
	global_load_b128 v[21:24], v[21:22], off offset:16
	s_waitcnt vmcnt(20)
	v_wmma_f32_16x16x16_bf16 v[116:123], v[49:56], v[108:115], v[100:107]
	s_clause 0x1
	global_load_b128 v[49:52], v[68:69], off
	global_load_b128 v[53:56], v[68:69], off offset:16
	v_and_b32_e32 v68, 0xe0, v0
	v_mbcnt_lo_u32_b32 v69, -1, 0
	s_delay_alu instid0(VALU_DEP_2)
	v_add_nc_u32_e32 v68, s12, v68
	s_waitcnt vmcnt(20)
	v_wmma_f32_16x16x16_bf16 v[100:107], v[76:83], v[108:115], v[100:107]
	ds_load_b128 v[76:79], v70 offset:2048
	ds_load_b128 v[80:83], v70 offset:3072
	v_xor_b32_e32 v70, 16, v69
	s_waitcnt vmcnt(0) lgkmcnt(0)
	v_or_b32_e32 v68, v68, v74
	s_barrier
	buffer_gl0_inv
	v_cmp_gt_i32_e32 vcc_lo, 32, v70
	v_or_b32_e32 v71, 4, v68
	v_or_b32_e32 v72, 6, v68
	v_cmp_gt_i32_e64 s3, s24, v68
	v_or_b32_e32 v108, 8, v68
	v_or_b32_e32 v109, 10, v68
	v_cmp_gt_i32_e64 s4, s24, v71
	v_cmp_gt_i32_e64 s5, s24, v72
	s_delay_alu instid0(VALU_DEP_4) | instskip(NEXT) | instid1(VALU_DEP_4)
	v_cmp_gt_i32_e64 s6, s24, v108
	v_cmp_gt_i32_e64 s7, s24, v109
	v_wmma_f32_16x16x16_bf16 v[116:123], v[84:91], v[76:83], v[116:123]
	v_cndmask_b32_e32 v69, v69, v70, vcc_lo
	v_or_b32_e32 v70, 2, v68
	v_wmma_f32_16x16x16_bf16 v[100:107], v[92:99], v[76:83], v[100:107]
	v_or_b32_e32 v89, 22, v68
	v_dual_mul_f32 v80, s19, v121 :: v_dual_mul_f32 v81, s19, v120
	v_dual_mul_f32 v92, s19, v117 :: v_dual_mul_f32 v93, s19, v116
	s_delay_alu instid0(VALU_DEP_4)
	v_mul_f32_e32 v96, s19, v105
	v_cmp_gt_i32_e32 vcc_lo, s24, v70
	v_dual_mul_f32 v79, s19, v122 :: v_dual_mul_f32 v82, s19, v119
	v_dual_mul_f32 v83, s19, v118 :: v_dual_mul_f32 v94, s19, v107
	v_cndmask_b32_e64 v93, 0xff7fffff, v93, s3
	v_cndmask_b32_e32 v92, 0xff7fffff, v92, vcc_lo
	v_or_b32_e32 v84, 12, v68
	v_or_b32_e32 v85, 14, v68
	v_cndmask_b32_e64 v71, 0xff7fffff, v83, s4
	v_cndmask_b32_e64 v72, 0xff7fffff, v82, s5
	v_cmp_gt_i32_e64 s13, s24, v89
	v_lshlrev_b32_e32 v89, 2, v69
	v_max3_f32 v82, v93, 0xff7fffff, v92
	v_or_b32_e32 v86, 16, v68
	v_or_b32_e32 v87, 18, v68
	v_mul_f32_e32 v78, s19, v123
	v_cndmask_b32_e64 v81, 0xff7fffff, v81, s6
	v_cndmask_b32_e64 v80, 0xff7fffff, v80, s7
	v_max3_f32 v71, v82, v71, v72
	v_cmp_gt_i32_e64 s8, s24, v84
	v_cmp_gt_i32_e64 s9, s24, v85
	v_or_b32_e32 v88, 20, v68
	v_or_b32_e32 v90, 24, v68
	;; [unrolled: 1-line block ×5, first 2 shown]
	v_dual_mul_f32 v97, s19, v104 :: v_dual_mul_f32 v70, s19, v101
	v_dual_mul_f32 v99, s19, v102 :: v_dual_mul_f32 v68, s19, v100
	v_cndmask_b32_e64 v72, 0xff7fffff, v79, s8
	v_cndmask_b32_e64 v78, 0xff7fffff, v78, s9
	v_max3_f32 v71, v71, v81, v80
	v_cmp_gt_i32_e64 s10, s24, v86
	v_cmp_gt_i32_e64 s11, s24, v87
	v_dual_mul_f32 v95, s19, v106 :: v_dual_mul_f32 v98, s19, v103
	s_delay_alu instid0(VALU_DEP_4) | instskip(NEXT) | instid1(VALU_DEP_4)
	v_max3_f32 v71, v71, v72, v78
	v_cndmask_b32_e64 v68, 0xff7fffff, v68, s10
	s_delay_alu instid0(VALU_DEP_4)
	v_cndmask_b32_e64 v70, 0xff7fffff, v70, s11
	v_cmp_gt_i32_e64 s12, s24, v88
	v_cndmask_b32_e64 v78, 0xff7fffff, v98, s13
	v_cmp_gt_i32_e64 s15, s24, v90
	v_cmp_gt_i32_e64 s16, s24, v91
	v_max3_f32 v68, v71, v68, v70
	v_cndmask_b32_e64 v72, 0xff7fffff, v99, s12
	v_cmp_gt_i32_e64 s17, s24, v76
	v_cndmask_b32_e64 v70, 0xff7fffff, v97, s15
	v_cndmask_b32_e64 v71, 0xff7fffff, v96, s16
	v_cmp_gt_i32_e64 s18, s24, v77
	v_max3_f32 v68, v68, v72, v78
	v_cndmask_b32_e64 v72, 0xff7fffff, v95, s17
	s_delay_alu instid0(VALU_DEP_3) | instskip(NEXT) | instid1(VALU_DEP_3)
	v_cndmask_b32_e64 v76, 0xff7fffff, v94, s18
	v_max3_f32 v68, v68, v70, v71
	s_delay_alu instid0(VALU_DEP_1) | instskip(SKIP_3) | instid1(VALU_DEP_1)
	v_max3_f32 v68, v68, v72, v76
	ds_bpermute_b32 v69, v89, v68
	s_waitcnt lgkmcnt(0)
	v_max_f32_e32 v69, v69, v69
	v_max_f32_e32 v68, v68, v69
	s_delay_alu instid0(VALU_DEP_1) | instskip(NEXT) | instid1(VALU_DEP_1)
	v_fma_f32 v71, s19, v118, -v68
	v_mul_f32_e32 v71, 0x3fb8aa3b, v71
	v_fma_f32 v70, s19, v117, -v68
	v_fma_f32 v69, s19, v116, -v68
	;; [unrolled: 1-line block ×5, first 2 shown]
	s_delay_alu instid0(VALU_DEP_4) | instskip(SKIP_1) | instid1(VALU_DEP_3)
	v_dual_mul_f32 v70, 0x3fb8aa3b, v70 :: v_dual_mul_f32 v69, 0x3fb8aa3b, v69
	v_exp_f32_e32 v71, v71
	v_mul_f32_e32 v72, 0x3fb8aa3b, v72
	v_fma_f32 v81, s19, v105, -v68
	s_delay_alu instid0(VALU_DEP_3)
	v_exp_f32_e32 v70, v70
	v_mul_f32_e32 v77, 0x3fb8aa3b, v76
	v_exp_f32_e32 v69, v69
	v_exp_f32_e32 v72, v72
	v_mul_f32_e32 v81, 0x3fb8aa3b, v81
	v_cndmask_b32_e64 v83, 0, v71, s4
	v_fma_f32 v71, s19, v123, -v68
	s_delay_alu instid0(VALU_DEP_3) | instskip(SKIP_4) | instid1(TRANS32_DEP_3)
	v_exp_f32_e32 v81, v81
	v_cndmask_b32_e32 v76, 0, v70, vcc_lo
	v_exp_f32_e32 v77, v77
	v_cndmask_b32_e64 v80, 0, v69, s3
	v_fma_f32 v69, s19, v121, -v68
	v_cndmask_b32_e64 v85, 0, v72, s5
	v_mul_f32_e32 v71, 0x3fb8aa3b, v71
	v_fma_f32 v72, s19, v100, -v68
	s_delay_alu instid0(VALU_DEP_4) | instskip(SKIP_1) | instid1(VALU_DEP_4)
	v_dual_add_f32 v70, 0, v80 :: v_dual_mul_f32 v69, 0x3fb8aa3b, v69
	v_cmp_gt_u32_e64 s3, 16, v67
	v_exp_f32_e32 v71, v71
	s_delay_alu instid0(TRANS32_DEP_2) | instskip(SKIP_4) | instid1(VALU_DEP_3)
	v_cndmask_b32_e64 v86, 0, v77, s6
	v_fma_f32 v77, s19, v101, -v68
	v_mul_f32_e32 v78, 0x3fb8aa3b, v78
	v_add_f32_e32 v70, v70, v76
	v_exp_f32_e32 v69, v69
	v_mul_f32_e32 v77, 0x3fb8aa3b, v77
	s_delay_alu instid0(VALU_DEP_3) | instskip(NEXT) | instid1(TRANS32_DEP_3)
	v_exp_f32_e32 v78, v78
	v_cndmask_b32_e64 v88, 0, v71, s9
	v_fma_f32 v71, s19, v104, -v68
	s_delay_alu instid0(VALU_DEP_3) | instskip(NEXT) | instid1(TRANS32_DEP_3)
	v_exp_f32_e32 v77, v77
	v_cndmask_b32_e64 v87, 0, v69, s7
	s_delay_alu instid0(VALU_DEP_2)
	v_mul_f32_e32 v71, 0x3fb8aa3b, v71
	s_waitcnt_depctr 0xfff
	v_cndmask_b32_e64 v84, 0, v78, s8
	v_add_f32_e32 v70, v70, v83
	v_fma_f32 v78, s19, v103, -v68
	v_exp_f32_e32 v82, v71
	s_delay_alu instid0(VALU_DEP_2) | instskip(SKIP_1) | instid1(VALU_DEP_3)
	v_add_f32_e32 v70, v70, v85
	v_mul_f32_e32 v72, 0x3fb8aa3b, v72
	v_mul_f32_e32 v78, 0x3fb8aa3b, v78
	s_delay_alu instid0(VALU_DEP_3) | instskip(SKIP_1) | instid1(VALU_DEP_4)
	v_add_f32_e32 v69, v70, v86
	v_fma_f32 v70, s19, v102, -v68
	v_exp_f32_e32 v72, v72
	s_delay_alu instid0(VALU_DEP_3) | instskip(NEXT) | instid1(VALU_DEP_1)
	v_exp_f32_e32 v78, v78
	v_dual_add_f32 v69, v69, v87 :: v_dual_mul_f32 v70, 0x3fb8aa3b, v70
	s_delay_alu instid0(VALU_DEP_1) | instskip(NEXT) | instid1(VALU_DEP_2)
	v_add_f32_e32 v69, v69, v84
	v_exp_f32_e32 v79, v70
	s_delay_alu instid0(TRANS32_DEP_3) | instskip(NEXT) | instid1(VALU_DEP_2)
	v_cndmask_b32_e64 v70, 0, v72, s10
	v_add_f32_e32 v72, v69, v88
	v_cndmask_b32_e64 v69, 0, v77, s11
	v_fma_f32 v77, s19, v106, -v68
	s_waitcnt_depctr 0xfff
	v_cndmask_b32_e64 v71, 0, v79, s12
	v_dual_mul_f32 v77, 0x3fb8aa3b, v77 :: v_dual_add_f32 v72, v72, v70
	s_delay_alu instid0(VALU_DEP_1) | instskip(NEXT) | instid1(VALU_DEP_1)
	v_exp_f32_e32 v90, v77
	v_add_f32_e32 v79, v72, v69
	v_cndmask_b32_e64 v72, 0, v78, s13
	v_cndmask_b32_e64 v77, 0, v82, s15
	s_delay_alu instid0(VALU_DEP_3) | instskip(SKIP_1) | instid1(VALU_DEP_1)
	v_add_f32_e32 v78, v79, v71
	v_fma_f32 v79, s19, v107, -v68
	v_dual_add_f32 v82, v78, v72 :: v_dual_mul_f32 v79, 0x3fb8aa3b, v79
	v_cndmask_b32_e64 v78, 0, v81, s16
	s_delay_alu instid0(VALU_DEP_2) | instskip(NEXT) | instid1(VALU_DEP_3)
	v_add_f32_e32 v81, v82, v77
	v_exp_f32_e32 v82, v79
	v_cndmask_b32_e64 v79, 0, v90, s17
	s_delay_alu instid0(VALU_DEP_2) | instskip(NEXT) | instid1(VALU_DEP_1)
	v_add_f32_e32 v81, v81, v78
	v_add_f32_e32 v90, v81, v79
	s_waitcnt_depctr 0xfff
	v_cndmask_b32_e64 v81, 0, v82, s18
	s_delay_alu instid0(VALU_DEP_1)
	v_add_f32_e32 v82, v90, v81
	ds_bpermute_b32 v89, v89, v82
	s_and_saveexec_b32 s4, s3
	s_cbranch_execz .LBB1766_12
; %bb.11:
	v_mul_u32_u24_e32 v67, 0x44, v66
	s_delay_alu instid0(VALU_DEP_1) | instskip(SKIP_1) | instid1(VALU_DEP_1)
	v_lshl_add_u32 v67, v65, 2, v67
	s_waitcnt lgkmcnt(0)
	v_dual_add_f32 v82, v82, v89 :: v_dual_add_nc_u32 v67, 0x4000, v67
	ds_store_2addr_b32 v67, v68, v82 offset1:136
.LBB1766_12:
	s_or_b32 exec_lo, exec_lo, s4
	v_lshlrev_b32_e32 v67, 2, v65
	s_waitcnt lgkmcnt(0)
	s_barrier
	buffer_gl0_inv
	v_cmp_eq_u32_e32 vcc_lo, 1, v66
	v_add_nc_u32_e32 v82, 0x4000, v67
	v_cmp_eq_u32_e64 s4, 2, v66
	v_cmp_eq_u32_e64 s6, 7, v66
	ds_load_2addr_b32 v[89:90], v82 offset1:17
	ds_load_2addr_b32 v[91:92], v82 offset0:34 offset1:51
	ds_load_2addr_b32 v[93:94], v82 offset0:68 offset1:85
	;; [unrolled: 1-line block ×4, first 2 shown]
	s_waitcnt lgkmcnt(4)
	v_max3_f32 v67, v89, 0xff7fffff, v90
	s_waitcnt lgkmcnt(3)
	s_delay_alu instid0(VALU_DEP_1) | instskip(SKIP_1) | instid1(VALU_DEP_1)
	v_max3_f32 v67, v67, v91, v92
	s_waitcnt lgkmcnt(2)
	v_max3_f32 v67, v67, v93, v94
	s_waitcnt lgkmcnt(1)
	s_delay_alu instid0(VALU_DEP_1) | instskip(NEXT) | instid1(VALU_DEP_1)
	v_max3_f32 v67, v67, v95, v96
	v_sub_f32_e32 v93, v93, v67
	s_delay_alu instid0(VALU_DEP_1) | instskip(NEXT) | instid1(VALU_DEP_1)
	v_dual_sub_f32 v68, v89, v67 :: v_dual_mul_f32 v103, 0x3fb8aa3b, v93
	v_mul_f32_e32 v68, 0x3fb8aa3b, v68
	s_delay_alu instid0(VALU_DEP_1)
	v_exp_f32_e32 v100, v68
	v_sub_f32_e32 v68, v92, v67
	v_sub_f32_e32 v99, v90, v67
	ds_load_2addr_b32 v[89:90], v82 offset0:170 offset1:187
	v_dual_mul_f32 v102, 0x3fb8aa3b, v68 :: v_dual_mul_f32 v99, 0x3fb8aa3b, v99
	s_waitcnt lgkmcnt(1)
	v_fma_f32 v68, v100, v97, 0
	s_delay_alu instid0(VALU_DEP_2) | instskip(NEXT) | instid1(VALU_DEP_2)
	v_exp_f32_e32 v102, v102
	v_exp_f32_e32 v99, v99
	s_waitcnt_depctr 0xfff
	v_fmac_f32_e32 v68, v99, v98
	v_sub_f32_e32 v91, v91, v67
	s_delay_alu instid0(VALU_DEP_1)
	v_mul_f32_e32 v101, 0x3fb8aa3b, v91
	ds_load_2addr_b32 v[91:92], v82 offset0:204 offset1:221
	v_sub_f32_e32 v97, v94, v67
	ds_load_2addr_b32 v[93:94], v82 offset0:238 offset1:255
	s_waitcnt lgkmcnt(0)
	v_exp_f32_e32 v101, v101
	s_barrier
	buffer_gl0_inv
	v_dual_fmac_f32 v68, v101, v89 :: v_dual_sub_f32 v89, v96, v67
	v_dual_sub_f32 v82, v95, v67 :: v_dual_mul_f32 v95, 0x3fb8aa3b, v97
	v_exp_f32_e32 v97, v103
	s_delay_alu instid0(VALU_DEP_2) | instskip(NEXT) | instid1(VALU_DEP_2)
	v_dual_fmac_f32 v68, v102, v90 :: v_dual_mul_f32 v89, 0x3fb8aa3b, v89
	v_mul_f32_e32 v82, 0x3fb8aa3b, v82
	s_delay_alu instid0(VALU_DEP_3) | instskip(NEXT) | instid1(VALU_DEP_2)
	v_exp_f32_e32 v95, v95
	v_exp_f32_e32 v89, v89
	s_delay_alu instid0(VALU_DEP_1)
	v_exp_f32_e32 v82, v82
	v_fmac_f32_e32 v68, v97, v91
	s_delay_alu instid0(TRANS32_DEP_3) | instid1(VALU_DEP_1)
	v_fmac_f32_e32 v68, v95, v92
	s_waitcnt_depctr 0xfff
	v_fmac_f32_e32 v68, v82, v93
	s_delay_alu instid0(VALU_DEP_1) | instskip(NEXT) | instid1(VALU_DEP_1)
	v_fmac_f32_e32 v68, v89, v94
	v_add_f32_e32 v90, 0x358637bd, v68
	s_delay_alu instid0(VALU_DEP_1) | instskip(NEXT) | instid1(VALU_DEP_1)
	v_div_scale_f32 v91, null, v90, v90, 1.0
	v_rcp_f32_e32 v92, v91
	s_waitcnt_depctr 0xfff
	v_fma_f32 v93, -v91, v92, 1.0
	s_delay_alu instid0(VALU_DEP_1) | instskip(SKIP_1) | instid1(VALU_DEP_2)
	v_dual_fmac_f32 v92, v93, v92 :: v_dual_cndmask_b32 v93, v100, v99
	v_cmp_eq_u32_e32 vcc_lo, 3, v66
	v_cndmask_b32_e64 v93, v93, v101, s4
	v_cmp_eq_u32_e64 s4, 4, v66
	s_delay_alu instid0(VALU_DEP_2) | instskip(SKIP_1) | instid1(VALU_DEP_2)
	v_cndmask_b32_e32 v93, v93, v102, vcc_lo
	v_cmp_eq_u32_e32 vcc_lo, 5, v66
	v_cndmask_b32_e64 v93, v93, v97, s4
	v_cmp_eq_u32_e64 s4, 6, v66
	s_delay_alu instid0(VALU_DEP_2) | instskip(SKIP_1) | instid1(VALU_DEP_1)
	v_cndmask_b32_e32 v93, v93, v95, vcc_lo
	v_div_scale_f32 v94, s5, 1.0, v90, 1.0
	s_mov_b32 vcc_lo, s5
	s_delay_alu instid0(VALU_DEP_2) | instskip(NEXT) | instid1(VALU_DEP_2)
	v_cndmask_b32_e64 v82, v93, v82, s4
	v_mul_f32_e32 v96, v94, v92
	s_mov_b32 s4, exec_lo
	s_delay_alu instid0(VALU_DEP_2) | instskip(NEXT) | instid1(VALU_DEP_2)
	v_cndmask_b32_e64 v82, v82, v89, s6
	v_fma_f32 v98, -v91, v96, v94
	s_delay_alu instid0(VALU_DEP_1) | instskip(NEXT) | instid1(VALU_DEP_1)
	v_fmac_f32_e32 v96, v98, v92
	v_fma_f32 v91, -v91, v96, v94
	s_delay_alu instid0(VALU_DEP_1) | instskip(NEXT) | instid1(VALU_DEP_1)
	v_div_fmas_f32 v91, v91, v92, v96
	v_div_fixup_f32 v90, v91, v90, 1.0
	s_delay_alu instid0(VALU_DEP_1) | instskip(NEXT) | instid1(VALU_DEP_1)
	v_mul_f32_e32 v82, v82, v90
	v_mul_f32_e32 v87, v82, v87
	;; [unrolled: 1-line block ×7, first 2 shown]
	v_dual_mul_f32 v86, v82, v83 :: v_dual_and_b32 v91, 0x7f800000, v90
	v_mul_f32_e32 v85, v82, v76
                                        ; implicit-def: $vgpr76
	s_delay_alu instid0(VALU_DEP_2)
	v_cmpx_ne_u32_e32 0x7f800000, v91
	s_xor_b32 s4, exec_lo, s4
; %bb.13:
	v_bfe_u32 v76, v90, 16, 1
	s_delay_alu instid0(VALU_DEP_1)
	v_add3_u32 v76, v90, v76, 0x7fff
                                        ; implicit-def: $vgpr90
; %bb.14:
	s_and_not1_saveexec_b32 s4, s4
; %bb.15:
	v_and_b32_e32 v76, 0xffff, v90
	v_or_b32_e32 v83, 0x10000, v90
	s_delay_alu instid0(VALU_DEP_2) | instskip(NEXT) | instid1(VALU_DEP_2)
	v_cmp_eq_u32_e32 vcc_lo, 0, v76
	v_cndmask_b32_e32 v76, v83, v90, vcc_lo
; %bb.16:
	s_or_b32 exec_lo, exec_lo, s4
	v_and_b32_e32 v83, 0x7f800000, v85
	s_delay_alu instid0(VALU_DEP_1) | instskip(SKIP_1) | instid1(SALU_CYCLE_1)
	v_cmp_ne_u32_e32 vcc_lo, 0x7f800000, v83
                                        ; implicit-def: $vgpr83
	s_and_saveexec_b32 s4, vcc_lo
	s_xor_b32 s4, exec_lo, s4
; %bb.17:
	v_bfe_u32 v83, v85, 16, 1
	s_delay_alu instid0(VALU_DEP_1)
	v_add3_u32 v83, v85, v83, 0x7fff
                                        ; implicit-def: $vgpr85
; %bb.18:
	s_and_not1_saveexec_b32 s4, s4
; %bb.19:
	v_and_b32_e32 v83, 0xffff, v85
	v_or_b32_e32 v90, 0x10000, v85
	s_delay_alu instid0(VALU_DEP_2) | instskip(NEXT) | instid1(VALU_DEP_2)
	v_cmp_eq_u32_e32 vcc_lo, 0, v83
	v_cndmask_b32_e32 v83, v90, v85, vcc_lo
; %bb.20:
	s_or_b32 exec_lo, exec_lo, s4
	v_and_b32_e32 v85, 0x7f800000, v86
	s_delay_alu instid0(VALU_DEP_1) | instskip(SKIP_1) | instid1(SALU_CYCLE_1)
	v_cmp_ne_u32_e32 vcc_lo, 0x7f800000, v85
                                        ; implicit-def: $vgpr85
	s_and_saveexec_b32 s4, vcc_lo
	s_xor_b32 s4, exec_lo, s4
; %bb.21:
	v_bfe_u32 v85, v86, 16, 1
	s_delay_alu instid0(VALU_DEP_1)
	v_add3_u32 v85, v86, v85, 0x7fff
                                        ; implicit-def: $vgpr86
; %bb.22:
	s_and_not1_saveexec_b32 s4, s4
; %bb.23:
	v_and_b32_e32 v85, 0xffff, v86
	v_or_b32_e32 v90, 0x10000, v86
	s_delay_alu instid0(VALU_DEP_2) | instskip(NEXT) | instid1(VALU_DEP_2)
	v_cmp_eq_u32_e32 vcc_lo, 0, v85
	v_cndmask_b32_e32 v85, v90, v86, vcc_lo
; %bb.24:
	s_or_b32 exec_lo, exec_lo, s4
	v_and_b32_e32 v86, 0x7f800000, v89
	s_delay_alu instid0(VALU_DEP_1) | instskip(SKIP_1) | instid1(SALU_CYCLE_1)
	v_cmp_ne_u32_e32 vcc_lo, 0x7f800000, v86
                                        ; implicit-def: $vgpr86
	s_and_saveexec_b32 s4, vcc_lo
	s_xor_b32 s4, exec_lo, s4
; %bb.25:
	v_bfe_u32 v86, v89, 16, 1
	s_delay_alu instid0(VALU_DEP_1)
	v_add3_u32 v86, v89, v86, 0x7fff
                                        ; implicit-def: $vgpr89
; %bb.26:
	s_and_not1_saveexec_b32 s4, s4
; %bb.27:
	v_and_b32_e32 v86, 0xffff, v89
	v_or_b32_e32 v90, 0x10000, v89
	s_delay_alu instid0(VALU_DEP_2) | instskip(NEXT) | instid1(VALU_DEP_2)
	v_cmp_eq_u32_e32 vcc_lo, 0, v86
	v_cndmask_b32_e32 v86, v90, v89, vcc_lo
; %bb.28:
	s_or_b32 exec_lo, exec_lo, s4
	v_and_b32_e32 v89, 0x7f800000, v88
	s_delay_alu instid0(VALU_DEP_1) | instskip(SKIP_1) | instid1(SALU_CYCLE_1)
	v_cmp_ne_u32_e32 vcc_lo, 0x7f800000, v89
                                        ; implicit-def: $vgpr89
	s_and_saveexec_b32 s4, vcc_lo
	s_xor_b32 s4, exec_lo, s4
; %bb.29:
	v_bfe_u32 v89, v88, 16, 1
	s_delay_alu instid0(VALU_DEP_1)
	v_add3_u32 v89, v88, v89, 0x7fff
                                        ; implicit-def: $vgpr88
; %bb.30:
	s_and_not1_saveexec_b32 s4, s4
; %bb.31:
	v_and_b32_e32 v89, 0xffff, v88
	v_or_b32_e32 v90, 0x10000, v88
	s_delay_alu instid0(VALU_DEP_2) | instskip(NEXT) | instid1(VALU_DEP_2)
	v_cmp_eq_u32_e32 vcc_lo, 0, v89
	v_cndmask_b32_e32 v89, v90, v88, vcc_lo
; %bb.32:
	s_or_b32 exec_lo, exec_lo, s4
	v_and_b32_e32 v88, 0x7f800000, v87
	s_delay_alu instid0(VALU_DEP_1) | instskip(SKIP_1) | instid1(SALU_CYCLE_1)
	v_cmp_ne_u32_e32 vcc_lo, 0x7f800000, v88
                                        ; implicit-def: $vgpr88
	s_and_saveexec_b32 s4, vcc_lo
	s_xor_b32 s4, exec_lo, s4
; %bb.33:
	v_bfe_u32 v88, v87, 16, 1
	s_delay_alu instid0(VALU_DEP_1)
	v_add3_u32 v88, v87, v88, 0x7fff
                                        ; implicit-def: $vgpr87
; %bb.34:
	s_and_not1_saveexec_b32 s4, s4
; %bb.35:
	v_and_b32_e32 v88, 0xffff, v87
	v_or_b32_e32 v90, 0x10000, v87
	s_delay_alu instid0(VALU_DEP_2) | instskip(NEXT) | instid1(VALU_DEP_2)
	v_cmp_eq_u32_e32 vcc_lo, 0, v88
	v_cndmask_b32_e32 v88, v90, v87, vcc_lo
; %bb.36:
	s_or_b32 exec_lo, exec_lo, s4
	v_and_b32_e32 v87, 0x7f800000, v84
	s_delay_alu instid0(VALU_DEP_1) | instskip(SKIP_1) | instid1(SALU_CYCLE_1)
	v_cmp_ne_u32_e32 vcc_lo, 0x7f800000, v87
                                        ; implicit-def: $vgpr87
	s_and_saveexec_b32 s4, vcc_lo
	s_xor_b32 s4, exec_lo, s4
; %bb.37:
	v_bfe_u32 v87, v84, 16, 1
	s_delay_alu instid0(VALU_DEP_1)
	v_add3_u32 v87, v84, v87, 0x7fff
                                        ; implicit-def: $vgpr84
; %bb.38:
	s_and_not1_saveexec_b32 s4, s4
; %bb.39:
	v_and_b32_e32 v87, 0xffff, v84
	v_or_b32_e32 v90, 0x10000, v84
	s_delay_alu instid0(VALU_DEP_2) | instskip(NEXT) | instid1(VALU_DEP_2)
	v_cmp_eq_u32_e32 vcc_lo, 0, v87
	v_cndmask_b32_e32 v87, v90, v84, vcc_lo
; %bb.40:
	s_or_b32 exec_lo, exec_lo, s4
	v_and_b32_e32 v84, 0x7f800000, v80
	s_delay_alu instid0(VALU_DEP_1) | instskip(SKIP_1) | instid1(SALU_CYCLE_1)
	v_cmp_ne_u32_e32 vcc_lo, 0x7f800000, v84
                                        ; implicit-def: $vgpr84
	s_and_saveexec_b32 s4, vcc_lo
	s_xor_b32 s4, exec_lo, s4
; %bb.41:
	v_bfe_u32 v84, v80, 16, 1
	s_delay_alu instid0(VALU_DEP_1)
	v_add3_u32 v84, v80, v84, 0x7fff
                                        ; implicit-def: $vgpr80
; %bb.42:
	s_and_not1_saveexec_b32 s4, s4
; %bb.43:
	v_and_b32_e32 v84, 0xffff, v80
	v_or_b32_e32 v90, 0x10000, v80
	s_delay_alu instid0(VALU_DEP_2) | instskip(NEXT) | instid1(VALU_DEP_2)
	v_cmp_eq_u32_e32 vcc_lo, 0, v84
	v_cndmask_b32_e32 v84, v90, v80, vcc_lo
; %bb.44:
	s_or_b32 exec_lo, exec_lo, s4
	s_load_b64 s[36:37], s[0:1], 0x94
	v_lshlrev_b32_e32 v91, 4, v74
	s_delay_alu instid0(VALU_DEP_2)
	v_perm_b32 v90, v84, v87, 0x7060302
	v_dual_mul_f32 v79, v82, v79 :: v_dual_lshlrev_b32 v80, 6, v65
	v_dual_mul_f32 v77, v82, v77 :: v_dual_lshlrev_b32 v92, 11, v66
	v_mul_f32_e32 v84, v82, v70
	v_perm_b32 v89, v88, v89, 0x7060302
	v_perm_b32 v88, v86, v85, 0x7060302
	;; [unrolled: 1-line block ×3, first 2 shown]
	v_mul_f32_e32 v70, v82, v81
	v_or3_b32 v76, v91, v92, v80
	v_dual_mul_f32 v78, v82, v78 :: v_dual_and_b32 v85, 0x7f800000, v84
	v_mul_f32_e32 v83, v82, v72
	v_mul_f32_e32 v81, v82, v71
	;; [unrolled: 1-line block ×3, first 2 shown]
	s_mov_b32 s4, exec_lo
	ds_store_b128 v76, v[87:90]
                                        ; implicit-def: $vgpr69
	v_cmpx_ne_u32_e32 0x7f800000, v85
	s_xor_b32 s4, exec_lo, s4
; %bb.45:
	v_bfe_u32 v69, v84, 16, 1
	s_delay_alu instid0(VALU_DEP_1)
	v_add3_u32 v69, v84, v69, 0x7fff
                                        ; implicit-def: $vgpr84
; %bb.46:
	s_and_not1_saveexec_b32 s4, s4
; %bb.47:
	v_and_b32_e32 v69, 0xffff, v84
	v_or_b32_e32 v71, 0x10000, v84
	s_delay_alu instid0(VALU_DEP_2) | instskip(NEXT) | instid1(VALU_DEP_2)
	v_cmp_eq_u32_e32 vcc_lo, 0, v69
	v_cndmask_b32_e32 v69, v71, v84, vcc_lo
; %bb.48:
	s_or_b32 exec_lo, exec_lo, s4
	v_and_b32_e32 v71, 0x7f800000, v72
	s_delay_alu instid0(VALU_DEP_1) | instskip(SKIP_1) | instid1(SALU_CYCLE_1)
	v_cmp_ne_u32_e32 vcc_lo, 0x7f800000, v71
                                        ; implicit-def: $vgpr71
	s_and_saveexec_b32 s4, vcc_lo
	s_xor_b32 s4, exec_lo, s4
; %bb.49:
	v_bfe_u32 v71, v72, 16, 1
	s_delay_alu instid0(VALU_DEP_1)
	v_add3_u32 v71, v72, v71, 0x7fff
                                        ; implicit-def: $vgpr72
; %bb.50:
	s_and_not1_saveexec_b32 s4, s4
; %bb.51:
	v_and_b32_e32 v71, 0xffff, v72
	v_or_b32_e32 v82, 0x10000, v72
	s_delay_alu instid0(VALU_DEP_2) | instskip(NEXT) | instid1(VALU_DEP_2)
	v_cmp_eq_u32_e32 vcc_lo, 0, v71
	v_cndmask_b32_e32 v71, v82, v72, vcc_lo
; %bb.52:
	s_or_b32 exec_lo, exec_lo, s4
	v_and_b32_e32 v72, 0x7f800000, v81
	s_delay_alu instid0(VALU_DEP_1) | instskip(SKIP_1) | instid1(SALU_CYCLE_1)
	v_cmp_ne_u32_e32 vcc_lo, 0x7f800000, v72
                                        ; implicit-def: $vgpr72
	s_and_saveexec_b32 s4, vcc_lo
	s_xor_b32 s4, exec_lo, s4
; %bb.53:
	v_bfe_u32 v72, v81, 16, 1
	s_delay_alu instid0(VALU_DEP_1)
	v_add3_u32 v72, v81, v72, 0x7fff
                                        ; implicit-def: $vgpr81
; %bb.54:
	s_and_not1_saveexec_b32 s4, s4
; %bb.55:
	v_and_b32_e32 v72, 0xffff, v81
	v_or_b32_e32 v82, 0x10000, v81
	s_delay_alu instid0(VALU_DEP_2) | instskip(NEXT) | instid1(VALU_DEP_2)
	v_cmp_eq_u32_e32 vcc_lo, 0, v72
	v_cndmask_b32_e32 v72, v82, v81, vcc_lo
; %bb.56:
	s_or_b32 exec_lo, exec_lo, s4
	v_and_b32_e32 v81, 0x7f800000, v83
	s_delay_alu instid0(VALU_DEP_1) | instskip(SKIP_1) | instid1(SALU_CYCLE_1)
	v_cmp_ne_u32_e32 vcc_lo, 0x7f800000, v81
                                        ; implicit-def: $vgpr81
	s_and_saveexec_b32 s4, vcc_lo
	s_xor_b32 s4, exec_lo, s4
; %bb.57:
	v_bfe_u32 v81, v83, 16, 1
	s_delay_alu instid0(VALU_DEP_1)
	v_add3_u32 v81, v83, v81, 0x7fff
                                        ; implicit-def: $vgpr83
; %bb.58:
	s_and_not1_saveexec_b32 s4, s4
; %bb.59:
	v_and_b32_e32 v81, 0xffff, v83
	v_or_b32_e32 v82, 0x10000, v83
	s_delay_alu instid0(VALU_DEP_2) | instskip(NEXT) | instid1(VALU_DEP_2)
	v_cmp_eq_u32_e32 vcc_lo, 0, v81
	v_cndmask_b32_e32 v81, v82, v83, vcc_lo
; %bb.60:
	s_or_b32 exec_lo, exec_lo, s4
	v_and_b32_e32 v82, 0x7f800000, v77
	s_delay_alu instid0(VALU_DEP_1) | instskip(SKIP_1) | instid1(SALU_CYCLE_1)
	v_cmp_ne_u32_e32 vcc_lo, 0x7f800000, v82
                                        ; implicit-def: $vgpr82
	s_and_saveexec_b32 s4, vcc_lo
	s_xor_b32 s4, exec_lo, s4
; %bb.61:
	v_bfe_u32 v82, v77, 16, 1
	s_delay_alu instid0(VALU_DEP_1)
	v_add3_u32 v82, v77, v82, 0x7fff
                                        ; implicit-def: $vgpr77
; %bb.62:
	s_and_not1_saveexec_b32 s4, s4
; %bb.63:
	v_and_b32_e32 v82, 0xffff, v77
	v_or_b32_e32 v83, 0x10000, v77
	s_delay_alu instid0(VALU_DEP_2) | instskip(NEXT) | instid1(VALU_DEP_2)
	v_cmp_eq_u32_e32 vcc_lo, 0, v82
	v_cndmask_b32_e32 v82, v83, v77, vcc_lo
; %bb.64:
	s_or_b32 exec_lo, exec_lo, s4
	v_and_b32_e32 v77, 0x7f800000, v78
	s_delay_alu instid0(VALU_DEP_1) | instskip(SKIP_1) | instid1(SALU_CYCLE_1)
	v_cmp_ne_u32_e32 vcc_lo, 0x7f800000, v77
                                        ; implicit-def: $vgpr77
	s_and_saveexec_b32 s4, vcc_lo
	s_xor_b32 s4, exec_lo, s4
; %bb.65:
	v_bfe_u32 v77, v78, 16, 1
	s_delay_alu instid0(VALU_DEP_1)
	v_add3_u32 v77, v78, v77, 0x7fff
                                        ; implicit-def: $vgpr78
; %bb.66:
	s_and_not1_saveexec_b32 s4, s4
; %bb.67:
	v_and_b32_e32 v77, 0xffff, v78
	v_or_b32_e32 v83, 0x10000, v78
	s_delay_alu instid0(VALU_DEP_2) | instskip(NEXT) | instid1(VALU_DEP_2)
	v_cmp_eq_u32_e32 vcc_lo, 0, v77
	v_cndmask_b32_e32 v77, v83, v78, vcc_lo
; %bb.68:
	s_or_b32 exec_lo, exec_lo, s4
	v_and_b32_e32 v78, 0x7f800000, v79
	s_delay_alu instid0(VALU_DEP_1) | instskip(SKIP_1) | instid1(SALU_CYCLE_1)
	v_cmp_ne_u32_e32 vcc_lo, 0x7f800000, v78
                                        ; implicit-def: $vgpr78
	s_and_saveexec_b32 s4, vcc_lo
	s_xor_b32 s4, exec_lo, s4
; %bb.69:
	v_bfe_u32 v78, v79, 16, 1
	s_delay_alu instid0(VALU_DEP_1)
	v_add3_u32 v78, v79, v78, 0x7fff
                                        ; implicit-def: $vgpr79
; %bb.70:
	s_and_not1_saveexec_b32 s4, s4
; %bb.71:
	v_and_b32_e32 v78, 0xffff, v79
	v_or_b32_e32 v83, 0x10000, v79
	s_delay_alu instid0(VALU_DEP_2) | instskip(NEXT) | instid1(VALU_DEP_2)
	v_cmp_eq_u32_e32 vcc_lo, 0, v78
	v_cndmask_b32_e32 v78, v83, v79, vcc_lo
; %bb.72:
	s_or_b32 exec_lo, exec_lo, s4
	v_and_b32_e32 v79, 0x7f800000, v70
	s_delay_alu instid0(VALU_DEP_1) | instskip(SKIP_1) | instid1(SALU_CYCLE_1)
	v_cmp_ne_u32_e32 vcc_lo, 0x7f800000, v79
                                        ; implicit-def: $vgpr79
	s_and_saveexec_b32 s4, vcc_lo
	s_xor_b32 s4, exec_lo, s4
; %bb.73:
	v_bfe_u32 v79, v70, 16, 1
	s_delay_alu instid0(VALU_DEP_1)
	v_add3_u32 v79, v70, v79, 0x7fff
                                        ; implicit-def: $vgpr70
; %bb.74:
	s_and_not1_saveexec_b32 s4, s4
; %bb.75:
	v_and_b32_e32 v79, 0xffff, v70
	v_or_b32_e32 v83, 0x10000, v70
	s_delay_alu instid0(VALU_DEP_2) | instskip(NEXT) | instid1(VALU_DEP_2)
	v_cmp_eq_u32_e32 vcc_lo, 0, v79
	v_cndmask_b32_e32 v79, v83, v70, vcc_lo
; %bb.76:
	s_or_b32 exec_lo, exec_lo, s4
	s_delay_alu instid0(VALU_DEP_1)
	v_perm_b32 v86, v79, v78, 0x7060302
	v_perm_b32 v85, v77, v82, 0x7060302
	;; [unrolled: 1-line block ×4, first 2 shown]
	v_lshl_or_b32 v82, v66, 11, v80
	ds_store_b128 v76, v[83:86] offset:1024
	s_waitcnt lgkmcnt(0)
	s_barrier
	buffer_gl0_inv
	ds_load_b128 v[69:72], v82
	ds_load_b128 v[83:86], v82 offset:16
	s_waitcnt lgkmcnt(1)
	v_lshrrev_b32_e32 v66, 16, v69
	s_waitcnt lgkmcnt(0)
	v_lshrrev_b32_e32 v91, 16, v83
	v_lshlrev_b32_e32 v78, 2, v74
	v_lshrrev_b32_e32 v95, 16, v70
	v_lshrrev_b32_e32 v98, 16, v84
	;; [unrolled: 1-line block ×4, first 2 shown]
	v_cmp_eq_u32_e32 vcc_lo, 1, v78
	v_lshrrev_b32_e32 v97, 16, v72
	v_lshrrev_b32_e32 v100, 16, v86
	v_cndmask_b32_e32 v87, v83, v91, vcc_lo
	v_or_b32_e32 v79, 1, v78
	v_cndmask_b32_e32 v81, v69, v66, vcc_lo
	v_cmp_eq_u32_e64 s5, 2, v78
	v_cmp_eq_u32_e64 s8, 3, v78
	;; [unrolled: 1-line block ×5, first 2 shown]
	v_cndmask_b32_e64 v81, v81, v70, s5
	v_cndmask_b32_e64 v87, v87, v84, s5
	v_cmp_eq_u32_e64 s9, 3, v79
	v_cndmask_b32_e64 v88, v69, v66, s4
	v_or_b32_e32 v77, 2, v78
	v_cndmask_b32_e64 v81, v81, v95, s8
	v_cndmask_b32_e64 v87, v87, v98, s8
	v_cndmask_b32_e64 v89, v83, v91, s4
	v_cndmask_b32_e64 v88, v88, v70, s7
	v_cmp_eq_u32_e64 s11, 5, v78
	v_cndmask_b32_e64 v81, v81, v71, s10
	v_cndmask_b32_e64 v87, v87, v85, s10
	v_cmp_eq_u32_e64 s12, 4, v79
	v_cndmask_b32_e64 v88, v88, v95, s9
	v_cmp_eq_u32_e64 s6, 1, v77
	v_cndmask_b32_e64 v89, v89, v84, s7
	v_cndmask_b32_e64 v81, v81, v96, s11
	v_cmp_eq_u32_e64 s13, 6, v78
	v_cndmask_b32_e64 v88, v88, v71, s12
	;; [unrolled: 3-line block ×3, first 2 shown]
	v_cndmask_b32_e64 v89, v89, v98, s9
	v_cndmask_b32_e64 v81, v81, v72, s13
	v_cmp_eq_u32_e64 s16, 7, v78
	v_cndmask_b32_e64 v88, v88, v96, s15
	v_cndmask_b32_e64 v87, v87, v86, s13
	v_cmp_eq_u32_e64 s17, 6, v79
	v_cmp_eq_u32_e64 s18, 2, v77
	v_cndmask_b32_e64 v89, v89, v85, s12
	v_cndmask_b32_e64 v101, v81, v97, s16
	;; [unrolled: 1-line block ×6, first 2 shown]
	v_cmp_eq_u32_e64 s19, 7, v79
	v_cmp_eq_u32_e64 s20, 3, v77
	;; [unrolled: 1-line block ×4, first 2 shown]
	v_cndmask_b32_e64 v87, v87, v84, s18
	v_cndmask_b32_e64 v103, v88, v97, s19
	;; [unrolled: 1-line block ×4, first 2 shown]
	v_or_b32_e32 v81, 3, v78
	v_cndmask_b32_e64 v93, v87, v98, s20
	v_cmp_eq_u32_e64 s25, 6, v77
	v_cndmask_b32_e64 v104, v88, v86, s17
	v_cndmask_b32_e64 v92, v89, v71, s21
	v_cmp_eq_u32_e64 s22, 1, v81
	ds_load_b128 v[87:90], v82 offset:1024
	v_cmp_eq_u32_e64 s24, 2, v81
	v_cmp_eq_u32_e64 s26, 3, v81
	v_cndmask_b32_e64 v105, v92, v96, s23
	v_cndmask_b32_e64 v66, v69, v66, s22
	v_cndmask_b32_e64 v69, v93, v85, s21
	v_cndmask_b32_e64 v83, v83, v91, s22
	ds_load_b128 v[91:94], v82 offset:1040
	v_cmp_eq_u32_e64 s27, 4, v81
	v_cndmask_b32_e64 v66, v66, v70, s24
	v_cmp_eq_u32_e64 s28, 7, v77
	v_cndmask_b32_e64 v70, v83, v84, s24
	v_cndmask_b32_e64 v84, v105, v72, s25
	v_cmp_eq_u32_e64 s29, 5, v81
	v_cndmask_b32_e64 v66, v66, v95, s26
	v_cmp_eq_u32_e64 s30, 6, v81
	v_cndmask_b32_e64 v70, v70, v98, s26
	v_cndmask_b32_e64 v69, v69, v99, s23
	;; [unrolled: 1-line block ×4, first 2 shown]
	s_waitcnt lgkmcnt(1)
	v_lshrrev_b32_e32 v95, 16, v87
	v_cndmask_b32_e64 v70, v70, v85, s27
	v_cndmask_b32_e64 v71, v84, v97, s28
	;; [unrolled: 1-line block ×4, first 2 shown]
	v_cndmask_b32_e32 v84, v87, v95, vcc_lo
	v_cndmask_b32_e64 v70, v70, v99, s29
	s_waitcnt lgkmcnt(0)
	v_lshrrev_b32_e32 v85, 16, v91
	v_lshrrev_b32_e32 v96, 16, v88
	v_cndmask_b32_e64 v98, v87, v95, s4
	v_cndmask_b32_e64 v84, v84, v88, s5
	v_cndmask_b32_e64 v70, v70, v86, s30
	v_cndmask_b32_e32 v99, v91, v85, vcc_lo
	v_cmp_eq_u32_e32 vcc_lo, 7, v81
	v_cndmask_b32_e64 v66, v66, v72, s30
	v_cndmask_b32_e64 v72, v84, v96, s8
	;; [unrolled: 1-line block ×3, first 2 shown]
	v_lshrrev_b32_e32 v98, 16, v92
	v_cndmask_b32_e32 v70, v70, v100, vcc_lo
	v_cndmask_b32_e64 v86, v99, v92, s5
	v_cndmask_b32_e64 v69, v69, v100, s28
	v_lshrrev_b32_e32 v100, 16, v93
	v_cndmask_b32_e64 v72, v72, v89, s10
	v_lshrrev_b32_e32 v99, 16, v89
	v_cndmask_b32_e64 v86, v86, v98, s8
	v_perm_b32 v71, v69, v71, 0x5040100
	v_cndmask_b32_e64 v84, v84, v96, s9
	s_delay_alu instid0(VALU_DEP_3) | instskip(NEXT) | instid1(VALU_DEP_2)
	v_cndmask_b32_e64 v86, v86, v93, s10
	v_cndmask_b32_e64 v84, v84, v89, s12
	s_delay_alu instid0(VALU_DEP_2) | instskip(NEXT) | instid1(VALU_DEP_1)
	v_cndmask_b32_e64 v86, v86, v100, s11
	v_cndmask_b32_e64 v69, v86, v94, s13
	;; [unrolled: 1-line block ×5, first 2 shown]
	s_delay_alu instid0(VALU_DEP_3) | instskip(NEXT) | instid1(VALU_DEP_3)
	v_cndmask_b32_e64 v86, v86, v88, s18
	v_cndmask_b32_e64 v87, v87, v88, s24
	s_delay_alu instid0(VALU_DEP_3) | instskip(NEXT) | instid1(VALU_DEP_3)
	v_cndmask_b32_e64 v88, v95, v92, s24
	v_cndmask_b32_e64 v86, v86, v96, s20
	;; [unrolled: 3-line block ×7, first 2 shown]
	s_delay_alu instid0(VALU_DEP_3) | instskip(SKIP_2) | instid1(VALU_DEP_2)
	v_cndmask_b32_e64 v88, v88, v94, s30
	v_cndmask_b32_e32 v66, v66, v97, vcc_lo
	v_cndmask_b32_e64 v97, v72, v99, s11
	v_perm_b32 v72, v70, v66, 0x5040100
	v_perm_b32 v70, v83, v103, 0x5040100
	v_cndmask_b32_e64 v103, v91, v85, s6
	v_cndmask_b32_e64 v85, v91, v85, s4
	;; [unrolled: 1-line block ×4, first 2 shown]
	v_lshrrev_b32_e32 v97, 16, v90
	v_cndmask_b32_e64 v91, v103, v92, s18
	v_cndmask_b32_e64 v85, v85, v92, s7
	;; [unrolled: 1-line block ×3, first 2 shown]
	s_mov_b32 s4, exec_lo
	v_cndmask_b32_e64 v83, v84, v97, s16
	v_cndmask_b32_e64 v91, v91, v98, s20
	;; [unrolled: 1-line block ×3, first 2 shown]
	v_lshrrev_b32_e32 v84, 16, v94
	v_cndmask_b32_e64 v66, v66, v97, s19
	v_cndmask_b32_e64 v90, v86, v97, s28
	;; [unrolled: 1-line block ×4, first 2 shown]
	v_dual_cndmask_b32 v86, v87, v97 :: v_dual_cndmask_b32 v87, v88, v84
	v_cndmask_b32_e64 v91, v69, v84, s16
	s_delay_alu instid0(VALU_DEP_4) | instskip(NEXT) | instid1(VALU_DEP_4)
	v_cndmask_b32_e64 v89, v89, v100, s23
	v_cndmask_b32_e64 v85, v85, v100, s15
	v_perm_b32 v69, v102, v101, 0x5040100
	v_perm_b32 v86, v87, v86, 0x5040100
	v_perm_b32 v83, v91, v83, 0x5040100
	v_cndmask_b32_e64 v89, v89, v94, s25
	v_cndmask_b32_e64 v85, v85, v94, s17
	s_mul_i32 s9, s37, 9
	s_delay_alu instid0(VALU_DEP_2) | instskip(NEXT) | instid1(VALU_DEP_2)
	v_cndmask_b32_e64 v88, v89, v84, s28
	v_cndmask_b32_e64 v89, v85, v84, s19
	s_delay_alu instid0(VALU_DEP_2) | instskip(NEXT) | instid1(VALU_DEP_2)
	v_perm_b32 v85, v88, v90, 0x5040100
	v_perm_b32 v84, v89, v66, 0x5040100
	ds_store_b128 v76, v[69:72]
	ds_store_b128 v76, v[83:86] offset:1024
	v_cmpx_gt_u32_e32 9, v0
	s_cbranch_execz .LBB1766_78
; %bb.77:
	s_mul_i32 s5, s9, s34
	s_load_b128 s[16:19], s[0:1], 0x58
	v_add3_u32 v69, s5, s31, v65
	s_delay_alu instid0(VALU_DEP_1) | instskip(NEXT) | instid1(VALU_DEP_1)
	v_mad_u64_u32 v[65:66], null, v69, s36, s[14:15]
	v_ashrrev_i32_e32 v66, 31, v65
	s_delay_alu instid0(VALU_DEP_1) | instskip(SKIP_1) | instid1(VALU_DEP_1)
	v_lshlrev_b64 v[65:66], 2, v[65:66]
	s_waitcnt lgkmcnt(0)
	v_add_co_u32 v69, vcc_lo, s18, v65
	s_delay_alu instid0(VALU_DEP_2)
	v_add_co_ci_u32_e32 v70, vcc_lo, s19, v66, vcc_lo
	v_add_co_u32 v65, vcc_lo, s16, v65
	v_add_co_ci_u32_e32 v66, vcc_lo, s17, v66, vcc_lo
	global_store_b32 v[69:70], v67, off
	global_store_b32 v[65:66], v68, off
.LBB1766_78:
	s_or_b32 exec_lo, exec_lo, s4
	s_waitcnt lgkmcnt(0)
	s_waitcnt_vscnt null, 0x0
	s_barrier
	buffer_gl0_inv
	ds_load_b128 v[83:86], v80
	ds_load_b128 v[87:90], v80 offset:16
	ds_load_b128 v[95:98], v80 offset:2064
	ds_load_b128 v[91:94], v80 offset:2048
	v_mov_b32_e32 v65, 0
	ds_load_b128 v[103:106], v80 offset:4112
	ds_load_b128 v[99:102], v80 offset:4096
	;; [unrolled: 1-line block ×4, first 2 shown]
	v_mov_b32_e32 v66, v65
	v_mov_b32_e32 v67, v65
	;; [unrolled: 1-line block ×7, first 2 shown]
	s_waitcnt lgkmcnt(6)
	s_delay_alu instid0(VALU_DEP_1)
	v_wmma_f32_16x16x16_bf16 v[65:72], v[57:64], v[83:90], v[65:72]
	ds_load_b128 v[61:64], v80 offset:8208
	ds_load_b128 v[57:60], v80 offset:8192
	s_waitcnt lgkmcnt(6)
	v_wmma_f32_16x16x16_bf16 v[65:72], v[41:48], v[91:98], v[65:72]
	ds_load_b128 v[45:48], v80 offset:10256
	ds_load_b128 v[41:44], v80 offset:10240
	s_waitcnt lgkmcnt(6)
	;; [unrolled: 4-line block ×4, first 2 shown]
	v_wmma_f32_16x16x16_bf16 v[65:72], v[1:8], v[57:64], v[65:72]
	s_waitcnt lgkmcnt(4)
	s_delay_alu instid0(VALU_DEP_1) | instskip(SKIP_1) | instid1(VALU_DEP_1)
	v_wmma_f32_16x16x16_bf16 v[65:72], v[9:16], v[41:48], v[65:72]
	s_waitcnt lgkmcnt(2)
	v_wmma_f32_16x16x16_bf16 v[65:72], v[17:24], v[33:40], v[65:72]
	s_waitcnt lgkmcnt(0)
	s_delay_alu instid0(VALU_DEP_1) | instskip(NEXT) | instid1(VALU_DEP_1)
	v_wmma_f32_16x16x16_bf16 v[65:72], v[49:56], v[25:32], v[65:72]
	v_and_b32_e32 v1, 0x7f800000, v65
	s_delay_alu instid0(VALU_DEP_1) | instskip(SKIP_1) | instid1(SALU_CYCLE_1)
	v_cmp_ne_u32_e32 vcc_lo, 0x7f800000, v1
                                        ; implicit-def: $vgpr1
	s_and_saveexec_b32 s4, vcc_lo
	s_xor_b32 s4, exec_lo, s4
; %bb.79:
	v_bfe_u32 v1, v65, 16, 1
	s_delay_alu instid0(VALU_DEP_1)
	v_add3_u32 v1, v65, v1, 0x7fff
; %bb.80:
	s_and_not1_saveexec_b32 s4, s4
; %bb.81:
	v_and_b32_e32 v1, 0xffff, v65
	v_or_b32_e32 v2, 0x10000, v65
	s_delay_alu instid0(VALU_DEP_2) | instskip(NEXT) | instid1(VALU_DEP_2)
	v_cmp_eq_u32_e32 vcc_lo, 0, v1
	v_cndmask_b32_e32 v1, v2, v65, vcc_lo
; %bb.82:
	s_or_b32 exec_lo, exec_lo, s4
	v_and_b32_e32 v2, 0x7f800000, v66
	s_delay_alu instid0(VALU_DEP_1) | instskip(SKIP_1) | instid1(SALU_CYCLE_1)
	v_cmp_ne_u32_e32 vcc_lo, 0x7f800000, v2
                                        ; implicit-def: $vgpr2
	s_and_saveexec_b32 s4, vcc_lo
	s_xor_b32 s4, exec_lo, s4
; %bb.83:
	v_bfe_u32 v2, v66, 16, 1
	s_delay_alu instid0(VALU_DEP_1)
	v_add3_u32 v2, v66, v2, 0x7fff
; %bb.84:
	s_and_not1_saveexec_b32 s4, s4
; %bb.85:
	v_and_b32_e32 v2, 0xffff, v66
	v_or_b32_e32 v3, 0x10000, v66
	s_delay_alu instid0(VALU_DEP_2) | instskip(NEXT) | instid1(VALU_DEP_2)
	v_cmp_eq_u32_e32 vcc_lo, 0, v2
	v_cndmask_b32_e32 v2, v3, v66, vcc_lo
; %bb.86:
	s_or_b32 exec_lo, exec_lo, s4
	v_and_b32_e32 v3, 0x7f800000, v67
	s_delay_alu instid0(VALU_DEP_1) | instskip(SKIP_1) | instid1(SALU_CYCLE_1)
	v_cmp_ne_u32_e32 vcc_lo, 0x7f800000, v3
                                        ; implicit-def: $vgpr3
	s_and_saveexec_b32 s4, vcc_lo
	s_xor_b32 s4, exec_lo, s4
; %bb.87:
	v_bfe_u32 v3, v67, 16, 1
	s_delay_alu instid0(VALU_DEP_1)
	v_add3_u32 v3, v67, v3, 0x7fff
; %bb.88:
	s_and_not1_saveexec_b32 s4, s4
; %bb.89:
	v_and_b32_e32 v3, 0xffff, v67
	v_or_b32_e32 v4, 0x10000, v67
	s_delay_alu instid0(VALU_DEP_2) | instskip(NEXT) | instid1(VALU_DEP_2)
	v_cmp_eq_u32_e32 vcc_lo, 0, v3
	v_cndmask_b32_e32 v3, v4, v67, vcc_lo
; %bb.90:
	s_or_b32 exec_lo, exec_lo, s4
	v_and_b32_e32 v4, 0x7f800000, v68
	s_delay_alu instid0(VALU_DEP_1) | instskip(SKIP_1) | instid1(SALU_CYCLE_1)
	v_cmp_ne_u32_e32 vcc_lo, 0x7f800000, v4
                                        ; implicit-def: $vgpr4
	s_and_saveexec_b32 s4, vcc_lo
	s_xor_b32 s4, exec_lo, s4
; %bb.91:
	v_bfe_u32 v4, v68, 16, 1
	s_delay_alu instid0(VALU_DEP_1)
	v_add3_u32 v4, v68, v4, 0x7fff
; %bb.92:
	s_and_not1_saveexec_b32 s4, s4
; %bb.93:
	v_and_b32_e32 v4, 0xffff, v68
	v_or_b32_e32 v5, 0x10000, v68
	s_delay_alu instid0(VALU_DEP_2) | instskip(NEXT) | instid1(VALU_DEP_2)
	v_cmp_eq_u32_e32 vcc_lo, 0, v4
	v_cndmask_b32_e32 v4, v5, v68, vcc_lo
; %bb.94:
	s_or_b32 exec_lo, exec_lo, s4
	v_and_b32_e32 v5, 0x7f800000, v69
	s_delay_alu instid0(VALU_DEP_1) | instskip(SKIP_1) | instid1(SALU_CYCLE_1)
	v_cmp_ne_u32_e32 vcc_lo, 0x7f800000, v5
                                        ; implicit-def: $vgpr5
	s_and_saveexec_b32 s4, vcc_lo
	s_xor_b32 s4, exec_lo, s4
; %bb.95:
	v_bfe_u32 v5, v69, 16, 1
	s_delay_alu instid0(VALU_DEP_1)
	v_add3_u32 v5, v69, v5, 0x7fff
; %bb.96:
	s_and_not1_saveexec_b32 s4, s4
; %bb.97:
	v_and_b32_e32 v5, 0xffff, v69
	v_or_b32_e32 v6, 0x10000, v69
	s_delay_alu instid0(VALU_DEP_2) | instskip(NEXT) | instid1(VALU_DEP_2)
	v_cmp_eq_u32_e32 vcc_lo, 0, v5
	v_cndmask_b32_e32 v5, v6, v69, vcc_lo
; %bb.98:
	s_or_b32 exec_lo, exec_lo, s4
	v_and_b32_e32 v6, 0x7f800000, v70
	s_delay_alu instid0(VALU_DEP_1) | instskip(SKIP_1) | instid1(SALU_CYCLE_1)
	v_cmp_ne_u32_e32 vcc_lo, 0x7f800000, v6
                                        ; implicit-def: $vgpr6
	s_and_saveexec_b32 s4, vcc_lo
	s_xor_b32 s4, exec_lo, s4
; %bb.99:
	v_bfe_u32 v6, v70, 16, 1
	s_delay_alu instid0(VALU_DEP_1)
	v_add3_u32 v6, v70, v6, 0x7fff
; %bb.100:
	s_and_not1_saveexec_b32 s4, s4
; %bb.101:
	v_and_b32_e32 v6, 0xffff, v70
	v_or_b32_e32 v7, 0x10000, v70
	s_delay_alu instid0(VALU_DEP_2) | instskip(NEXT) | instid1(VALU_DEP_2)
	v_cmp_eq_u32_e32 vcc_lo, 0, v6
	v_cndmask_b32_e32 v6, v7, v70, vcc_lo
; %bb.102:
	s_or_b32 exec_lo, exec_lo, s4
	v_and_b32_e32 v7, 0x7f800000, v71
	s_delay_alu instid0(VALU_DEP_1) | instskip(SKIP_1) | instid1(SALU_CYCLE_1)
	v_cmp_ne_u32_e32 vcc_lo, 0x7f800000, v7
                                        ; implicit-def: $vgpr7
	s_and_saveexec_b32 s4, vcc_lo
	s_xor_b32 s4, exec_lo, s4
; %bb.103:
	v_bfe_u32 v7, v71, 16, 1
	s_delay_alu instid0(VALU_DEP_1)
	v_add3_u32 v7, v71, v7, 0x7fff
; %bb.104:
	s_and_not1_saveexec_b32 s4, s4
; %bb.105:
	v_and_b32_e32 v7, 0xffff, v71
	v_or_b32_e32 v8, 0x10000, v71
	s_delay_alu instid0(VALU_DEP_2) | instskip(NEXT) | instid1(VALU_DEP_2)
	v_cmp_eq_u32_e32 vcc_lo, 0, v7
	v_cndmask_b32_e32 v7, v8, v71, vcc_lo
; %bb.106:
	s_or_b32 exec_lo, exec_lo, s4
	v_and_b32_e32 v8, 0x7f800000, v72
	s_delay_alu instid0(VALU_DEP_1) | instskip(SKIP_1) | instid1(SALU_CYCLE_1)
	v_cmp_ne_u32_e32 vcc_lo, 0x7f800000, v8
                                        ; implicit-def: $vgpr8
	s_and_saveexec_b32 s4, vcc_lo
	s_xor_b32 s4, exec_lo, s4
; %bb.107:
	v_bfe_u32 v8, v72, 16, 1
	s_delay_alu instid0(VALU_DEP_1)
	v_add3_u32 v8, v72, v8, 0x7fff
                                        ; implicit-def: $vgpr65_vgpr66_vgpr67_vgpr68_vgpr69_vgpr70_vgpr71_vgpr72
; %bb.108:
	s_and_not1_saveexec_b32 s4, s4
; %bb.109:
	v_and_b32_e32 v8, 0xffff, v72
	v_or_b32_e32 v9, 0x10000, v72
	s_delay_alu instid0(VALU_DEP_2) | instskip(NEXT) | instid1(VALU_DEP_2)
	v_cmp_eq_u32_e32 vcc_lo, 0, v8
	v_cndmask_b32_e32 v8, v9, v72, vcc_lo
; %bb.110:
	s_or_b32 exec_lo, exec_lo, s4
	s_delay_alu instid0(VALU_DEP_1)
	v_perm_b32 v7, v8, v7, 0x7060302
	v_perm_b32 v6, v6, v5, 0x7060302
	;; [unrolled: 1-line block ×4, first 2 shown]
	s_barrier
	buffer_gl0_inv
	v_cmp_eq_u32_e32 vcc_lo, 1, v78
	ds_store_b128 v76, v[4:7]
	s_waitcnt lgkmcnt(0)
	s_barrier
	buffer_gl0_inv
	ds_load_b128 v[1:4], v82
	ds_load_b128 v[5:8], v82 offset:16
	v_cmp_eq_u32_e64 s4, 1, v79
	v_cmp_eq_u32_e64 s5, 2, v78
	;; [unrolled: 1-line block ×5, first 2 shown]
	s_waitcnt lgkmcnt(1)
	v_lshrrev_b32_e32 v9, 16, v1
	s_waitcnt lgkmcnt(0)
	v_lshrrev_b32_e32 v13, 16, v5
	v_lshrrev_b32_e32 v10, 16, v2
	;; [unrolled: 1-line block ×4, first 2 shown]
	v_cndmask_b32_e64 v19, v1, v9, s4
	v_cndmask_b32_e32 v18, v5, v13, vcc_lo
	v_cndmask_b32_e64 v20, v5, v13, s4
	v_cndmask_b32_e32 v17, v1, v9, vcc_lo
	v_cmp_eq_u32_e32 vcc_lo, 2, v79
	v_lshrrev_b32_e32 v15, 16, v7
	v_cmp_eq_u32_e64 s4, 1, v77
	v_lshrrev_b32_e32 v12, 16, v4
	v_lshrrev_b32_e32 v16, 16, v8
	v_cndmask_b32_e32 v20, v20, v6, vcc_lo
	v_cndmask_b32_e64 v17, v17, v2, s5
	v_cndmask_b32_e32 v19, v19, v2, vcc_lo
	v_cndmask_b32_e64 v18, v18, v6, s5
	v_cmp_eq_u32_e32 vcc_lo, 4, v78
	v_cmp_eq_u32_e64 s5, 3, v79
	v_cndmask_b32_e64 v17, v17, v10, s6
	v_cndmask_b32_e64 v21, v1, v9, s4
	;; [unrolled: 1-line block ×5, first 2 shown]
	v_cndmask_b32_e32 v17, v17, v3, vcc_lo
	v_cndmask_b32_e64 v20, v20, v14, s5
	v_cndmask_b32_e32 v18, v18, v7, vcc_lo
	v_cmp_eq_u32_e32 vcc_lo, 4, v79
	v_cmp_eq_u32_e64 s5, 5, v79
	v_cmp_eq_u32_e64 s4, 2, v81
	v_cndmask_b32_e64 v21, v21, v2, s8
	v_cmp_eq_u32_e64 s6, 5, v78
	v_cndmask_b32_e32 v19, v19, v3, vcc_lo
	v_cndmask_b32_e32 v20, v20, v7, vcc_lo
	v_cmp_eq_u32_e32 vcc_lo, 6, v79
	s_delay_alu instid0(VALU_DEP_4) | instskip(NEXT) | instid1(VALU_DEP_4)
	v_cndmask_b32_e64 v17, v17, v11, s6
	v_cndmask_b32_e64 v19, v19, v11, s5
	s_delay_alu instid0(VALU_DEP_4) | instskip(SKIP_1) | instid1(VALU_DEP_3)
	v_cndmask_b32_e64 v20, v20, v15, s5
	v_cmp_eq_u32_e64 s5, 1, v81
	v_cndmask_b32_e32 v19, v19, v4, vcc_lo
	v_cndmask_b32_e64 v18, v18, v15, s6
	s_delay_alu instid0(VALU_DEP_3)
	v_cndmask_b32_e64 v1, v1, v9, s5
	v_cndmask_b32_e64 v5, v5, v13, s5
	v_cmp_eq_u32_e64 s5, 3, v77
	v_cndmask_b32_e64 v13, v22, v6, s8
	v_cmp_eq_u32_e64 s8, 3, v81
	v_cndmask_b32_e64 v1, v1, v2, s4
	v_cndmask_b32_e64 v2, v5, v6, s4
	;; [unrolled: 1-line block ×3, first 2 shown]
	v_cmp_eq_u32_e64 s4, 4, v77
	v_cndmask_b32_e64 v6, v13, v14, s5
	v_cndmask_b32_e64 v1, v1, v10, s8
	v_cmp_eq_u32_e64 s5, 4, v81
	v_cndmask_b32_e64 v2, v2, v14, s8
	v_cndmask_b32_e64 v5, v9, v3, s4
	;; [unrolled: 3-line block ×3, first 2 shown]
	v_cndmask_b32_e64 v2, v2, v7, s5
	v_cmp_eq_u32_e64 s4, 5, v81
	v_cmp_eq_u32_e64 s6, 6, v78
	v_cndmask_b32_e64 v5, v5, v11, s8
	v_cmp_eq_u32_e64 s5, 6, v77
	v_cndmask_b32_e64 v3, v6, v15, s8
	v_cndmask_b32_e64 v1, v1, v11, s4
	v_cmp_eq_u32_e64 s8, 6, v81
	v_cndmask_b32_e64 v2, v2, v15, s4
	v_cndmask_b32_e64 v17, v17, v4, s6
	v_cndmask_b32_e64 v18, v18, v8, s6
	v_cmp_eq_u32_e64 s6, 7, v78
	v_cndmask_b32_e64 v5, v5, v4, s5
	;; [unrolled: 4-line block ×3, first 2 shown]
	v_cmp_eq_u32_e64 s5, 7, v77
	v_cndmask_b32_e32 v4, v20, v8, vcc_lo
	v_cndmask_b32_e64 v17, v17, v12, s6
	v_cndmask_b32_e64 v19, v19, v12, s7
	;; [unrolled: 1-line block ×8, first 2 shown]
	v_cmp_gt_u32_e32 vcc_lo, 32, v0
	v_perm_b32 v4, v2, v1, 0x5040100
	v_perm_b32 v3, v3, v5, 0x5040100
	;; [unrolled: 1-line block ×4, first 2 shown]
	s_and_b32 s2, vcc_lo, s2
	ds_store_b128 v76, v[1:4]
	s_waitcnt lgkmcnt(0)
	s_barrier
	buffer_gl0_inv
	s_and_saveexec_b32 s4, s2
	s_cbranch_execz .LBB1766_2
; %bb.111:
	s_load_b64 s[4:5], s[0:1], 0x68
	v_lshlrev_b32_e32 v0, 10, v0
	v_lshlrev_b32_e32 v1, 4, v75
	s_lshl_b32 s0, s36, 6
	v_add_nc_u32_e32 v2, s31, v74
	s_mul_i32 s1, s0, s34
	s_delay_alu instid0(SALU_CYCLE_1) | instskip(SKIP_1) | instid1(VALU_DEP_2)
	s_mul_i32 s6, s1, s9
	v_and_or_b32 v0, 0x3800, v0, v1
	v_mul_lo_u32 v1, v2, s0
	s_ashr_i32 s7, s6, 31
	v_add_nc_u32_e32 v3, 2, v2
	s_lshl_b64 s[6:7], s[6:7], 1
	v_add_nc_u32_e32 v4, 4, v2
	v_add_nc_u32_e32 v5, 6, v2
	v_lshl_or_b32 v15, v74, 6, v0
	v_mul_lo_u32 v3, v3, s0
	v_ashrrev_i32_e32 v2, 31, v1
	v_mul_lo_u32 v19, v4, s0
	v_mul_lo_u32 v21, v5, s0
	s_waitcnt lgkmcnt(0)
	s_add_u32 s1, s4, s6
	s_addc_u32 s2, s5, s7
	s_lshl_b32 s4, s14, 6
	v_lshlrev_b64 v[5:6], 1, v[1:2]
	s_ashr_i32 s5, s4, 31
	v_ashrrev_i32_e32 v4, 31, v3
	s_lshl_b64 s[4:5], s[4:5], 1
	v_ashrrev_i32_e32 v20, 31, v19
	s_add_u32 s1, s1, s4
	s_addc_u32 s2, s2, s5
	v_add_co_u32 v1, s1, s1, v73
	s_delay_alu instid0(VALU_DEP_1) | instskip(SKIP_1) | instid1(VALU_DEP_3)
	v_add_co_ci_u32_e64 v2, null, s2, 0, s1
	v_lshlrev_b64 v[25:26], 1, v[3:4]
	v_add_co_u32 v23, vcc_lo, v1, v5
	s_delay_alu instid0(VALU_DEP_3)
	v_add_co_ci_u32_e32 v24, vcc_lo, v2, v6, vcc_lo
	ds_load_b128 v[3:6], v15
	ds_load_b128 v[7:10], v15 offset:128
	ds_load_b128 v[11:14], v15 offset:256
	;; [unrolled: 1-line block ×3, first 2 shown]
	v_ashrrev_i32_e32 v22, 31, v21
	v_lshlrev_b64 v[19:20], 1, v[19:20]
	v_add_co_u32 v25, vcc_lo, v1, v25
	v_add_co_ci_u32_e32 v26, vcc_lo, v2, v26, vcc_lo
	s_delay_alu instid0(VALU_DEP_4) | instskip(NEXT) | instid1(VALU_DEP_4)
	v_lshlrev_b64 v[21:22], 1, v[21:22]
	v_add_co_u32 v19, vcc_lo, v1, v19
	v_add_co_ci_u32_e32 v20, vcc_lo, v2, v20, vcc_lo
	s_delay_alu instid0(VALU_DEP_3) | instskip(NEXT) | instid1(VALU_DEP_4)
	v_add_co_u32 v21, vcc_lo, v1, v21
	v_add_co_ci_u32_e32 v22, vcc_lo, v2, v22, vcc_lo
	s_waitcnt lgkmcnt(3)
	global_store_b128 v[23:24], v[3:6], off
	s_waitcnt lgkmcnt(2)
	global_store_b128 v[25:26], v[7:10], off
	;; [unrolled: 2-line block ×4, first 2 shown]
	s_and_b32 exec_lo, exec_lo, s3
	s_cbranch_execz .LBB1766_2
; %bb.112:
	ds_load_b128 v[3:6], v0 offset:512
	s_add_i32 s1, s31, 8
	s_delay_alu instid0(SALU_CYCLE_1) | instskip(NEXT) | instid1(SALU_CYCLE_1)
	s_mul_i32 s0, s1, s0
	s_ashr_i32 s1, s0, 31
	s_delay_alu instid0(SALU_CYCLE_1) | instskip(NEXT) | instid1(SALU_CYCLE_1)
	s_lshl_b64 s[0:1], s[0:1], 1
	v_add_co_u32 v0, vcc_lo, v1, s0
	v_add_co_ci_u32_e32 v1, vcc_lo, s1, v2, vcc_lo
	s_waitcnt lgkmcnt(0)
	global_store_b128 v[0:1], v[3:6], off
	s_nop 0
	s_sendmsg sendmsg(MSG_DEALLOC_VGPRS)
	s_endpgm
	.section	.rodata,"a",@progbits
	.p2align	6, 0x0
	.amdhsa_kernel _Z39paged_attention_ll4mi_QKV_mfma16_kernelI14__hip_bfloat16hLN4vllm18Fp8KVCacheDataTypeE1ES0_Li32ELi64ELi256ELb1ELi9EL8MFMAType0EEvPKT_PKT0_S9_ifPKiSB_SB_iPKfiiiPfSE_PS4_PT2_iSD_SD_
		.amdhsa_group_segment_fixed_size 17472
		.amdhsa_private_segment_fixed_size 0
		.amdhsa_kernarg_size 400
		.amdhsa_user_sgpr_count 13
		.amdhsa_user_sgpr_dispatch_ptr 0
		.amdhsa_user_sgpr_queue_ptr 0
		.amdhsa_user_sgpr_kernarg_segment_ptr 1
		.amdhsa_user_sgpr_dispatch_id 0
		.amdhsa_user_sgpr_private_segment_size 0
		.amdhsa_wavefront_size32 1
		.amdhsa_uses_dynamic_stack 0
		.amdhsa_enable_private_segment 0
		.amdhsa_system_sgpr_workgroup_id_x 1
		.amdhsa_system_sgpr_workgroup_id_y 1
		.amdhsa_system_sgpr_workgroup_id_z 1
		.amdhsa_system_sgpr_workgroup_info 0
		.amdhsa_system_vgpr_workitem_id 0
		.amdhsa_next_free_vgpr 124
		.amdhsa_next_free_sgpr 42
		.amdhsa_reserve_vcc 1
		.amdhsa_float_round_mode_32 0
		.amdhsa_float_round_mode_16_64 0
		.amdhsa_float_denorm_mode_32 3
		.amdhsa_float_denorm_mode_16_64 3
		.amdhsa_dx10_clamp 1
		.amdhsa_ieee_mode 1
		.amdhsa_fp16_overflow 0
		.amdhsa_workgroup_processor_mode 1
		.amdhsa_memory_ordered 1
		.amdhsa_forward_progress 0
		.amdhsa_shared_vgpr_count 0
		.amdhsa_exception_fp_ieee_invalid_op 0
		.amdhsa_exception_fp_denorm_src 0
		.amdhsa_exception_fp_ieee_div_zero 0
		.amdhsa_exception_fp_ieee_overflow 0
		.amdhsa_exception_fp_ieee_underflow 0
		.amdhsa_exception_fp_ieee_inexact 0
		.amdhsa_exception_int_div_zero 0
	.end_amdhsa_kernel
	.section	.text._Z39paged_attention_ll4mi_QKV_mfma16_kernelI14__hip_bfloat16hLN4vllm18Fp8KVCacheDataTypeE1ES0_Li32ELi64ELi256ELb1ELi9EL8MFMAType0EEvPKT_PKT0_S9_ifPKiSB_SB_iPKfiiiPfSE_PS4_PT2_iSD_SD_,"axG",@progbits,_Z39paged_attention_ll4mi_QKV_mfma16_kernelI14__hip_bfloat16hLN4vllm18Fp8KVCacheDataTypeE1ES0_Li32ELi64ELi256ELb1ELi9EL8MFMAType0EEvPKT_PKT0_S9_ifPKiSB_SB_iPKfiiiPfSE_PS4_PT2_iSD_SD_,comdat
.Lfunc_end1766:
	.size	_Z39paged_attention_ll4mi_QKV_mfma16_kernelI14__hip_bfloat16hLN4vllm18Fp8KVCacheDataTypeE1ES0_Li32ELi64ELi256ELb1ELi9EL8MFMAType0EEvPKT_PKT0_S9_ifPKiSB_SB_iPKfiiiPfSE_PS4_PT2_iSD_SD_, .Lfunc_end1766-_Z39paged_attention_ll4mi_QKV_mfma16_kernelI14__hip_bfloat16hLN4vllm18Fp8KVCacheDataTypeE1ES0_Li32ELi64ELi256ELb1ELi9EL8MFMAType0EEvPKT_PKT0_S9_ifPKiSB_SB_iPKfiiiPfSE_PS4_PT2_iSD_SD_
                                        ; -- End function
	.section	.AMDGPU.csdata,"",@progbits
; Kernel info:
; codeLenInByte = 8856
; NumSgprs: 44
; NumVgprs: 124
; ScratchSize: 0
; MemoryBound: 0
; FloatMode: 240
; IeeeMode: 1
; LDSByteSize: 17472 bytes/workgroup (compile time only)
; SGPRBlocks: 5
; VGPRBlocks: 15
; NumSGPRsForWavesPerEU: 44
; NumVGPRsForWavesPerEU: 124
; Occupancy: 10
; WaveLimiterHint : 1
; COMPUTE_PGM_RSRC2:SCRATCH_EN: 0
; COMPUTE_PGM_RSRC2:USER_SGPR: 13
; COMPUTE_PGM_RSRC2:TRAP_HANDLER: 0
; COMPUTE_PGM_RSRC2:TGID_X_EN: 1
; COMPUTE_PGM_RSRC2:TGID_Y_EN: 1
; COMPUTE_PGM_RSRC2:TGID_Z_EN: 1
; COMPUTE_PGM_RSRC2:TIDIG_COMP_CNT: 0
	.section	.text._Z39paged_attention_ll4mi_QKV_mfma16_kernelI14__hip_bfloat16hLN4vllm18Fp8KVCacheDataTypeE1ES0_Li32ELi64ELi256ELb1ELi10EL8MFMAType0EEvPKT_PKT0_S9_ifPKiSB_SB_iPKfiiiPfSE_PS4_PT2_iSD_SD_,"axG",@progbits,_Z39paged_attention_ll4mi_QKV_mfma16_kernelI14__hip_bfloat16hLN4vllm18Fp8KVCacheDataTypeE1ES0_Li32ELi64ELi256ELb1ELi10EL8MFMAType0EEvPKT_PKT0_S9_ifPKiSB_SB_iPKfiiiPfSE_PS4_PT2_iSD_SD_,comdat
	.protected	_Z39paged_attention_ll4mi_QKV_mfma16_kernelI14__hip_bfloat16hLN4vllm18Fp8KVCacheDataTypeE1ES0_Li32ELi64ELi256ELb1ELi10EL8MFMAType0EEvPKT_PKT0_S9_ifPKiSB_SB_iPKfiiiPfSE_PS4_PT2_iSD_SD_ ; -- Begin function _Z39paged_attention_ll4mi_QKV_mfma16_kernelI14__hip_bfloat16hLN4vllm18Fp8KVCacheDataTypeE1ES0_Li32ELi64ELi256ELb1ELi10EL8MFMAType0EEvPKT_PKT0_S9_ifPKiSB_SB_iPKfiiiPfSE_PS4_PT2_iSD_SD_
	.globl	_Z39paged_attention_ll4mi_QKV_mfma16_kernelI14__hip_bfloat16hLN4vllm18Fp8KVCacheDataTypeE1ES0_Li32ELi64ELi256ELb1ELi10EL8MFMAType0EEvPKT_PKT0_S9_ifPKiSB_SB_iPKfiiiPfSE_PS4_PT2_iSD_SD_
	.p2align	8
	.type	_Z39paged_attention_ll4mi_QKV_mfma16_kernelI14__hip_bfloat16hLN4vllm18Fp8KVCacheDataTypeE1ES0_Li32ELi64ELi256ELb1ELi10EL8MFMAType0EEvPKT_PKT0_S9_ifPKiSB_SB_iPKfiiiPfSE_PS4_PT2_iSD_SD_,@function
_Z39paged_attention_ll4mi_QKV_mfma16_kernelI14__hip_bfloat16hLN4vllm18Fp8KVCacheDataTypeE1ES0_Li32ELi64ELi256ELb1ELi10EL8MFMAType0EEvPKT_PKT0_S9_ifPKiSB_SB_iPKfiiiPfSE_PS4_PT2_iSD_SD_: ; @_Z39paged_attention_ll4mi_QKV_mfma16_kernelI14__hip_bfloat16hLN4vllm18Fp8KVCacheDataTypeE1ES0_Li32ELi64ELi256ELb1ELi10EL8MFMAType0EEvPKT_PKT0_S9_ifPKiSB_SB_iPKfiiiPfSE_PS4_PT2_iSD_SD_
; %bb.0:
	s_load_b64 s[2:3], s[0:1], 0x30
	s_mov_b32 s30, s13
	s_waitcnt lgkmcnt(0)
	s_cmp_lg_u64 s[2:3], 0
	s_cselect_b32 s8, -1, 0
	s_ashr_i32 s31, s13, 31
	s_cmp_eq_u64 s[2:3], 0
	s_cbranch_scc1 .LBB1767_3
; %bb.1:
	s_lshl_b64 s[4:5], s[30:31], 2
	s_delay_alu instid0(SALU_CYCLE_1) | instskip(SKIP_4) | instid1(SALU_CYCLE_1)
	s_add_u32 s4, s2, s4
	s_addc_u32 s5, s3, s5
	s_load_b64 s[4:5], s[4:5], 0x0
	s_waitcnt lgkmcnt(0)
	s_sub_i32 s4, s5, s4
	s_cmp_eq_u32 s4, 1
	s_cselect_b32 s4, -1, 0
	s_delay_alu instid0(SALU_CYCLE_1)
	s_and_not1_b32 vcc_lo, exec_lo, s4
	s_cbranch_vccz .LBB1767_4
.LBB1767_2:
	s_endpgm
.LBB1767_3:
.LBB1767_4:
	s_load_b64 s[4:5], s[0:1], 0x28
	s_lshl_b64 s[6:7], s[30:31], 2
	s_waitcnt lgkmcnt(0)
	s_add_u32 s4, s4, s6
	s_addc_u32 s5, s5, s7
	s_lshl_b32 s12, s14, 8
	s_load_b32 s24, s[4:5], 0x0
	s_waitcnt lgkmcnt(0)
	s_cmp_ge_i32 s12, s24
	s_cbranch_scc1 .LBB1767_2
; %bb.5:
	s_clause 0x1
	s_load_b128 s[20:23], s[0:1], 0x8
	s_load_b64 s[4:5], s[0:1], 0x20
	s_and_not1_b32 vcc_lo, exec_lo, s8
	s_cbranch_vccnz .LBB1767_7
; %bb.6:
	s_add_u32 s2, s2, s6
	s_addc_u32 s3, s3, s7
	s_load_b32 s3, s[2:3], 0x0
	s_branch .LBB1767_8
.LBB1767_7:
	s_mov_b32 s3, s30
.LBB1767_8:
	s_load_b128 s[16:19], s[0:1], 0x48
	v_and_b32_e32 v65, 15, v0
	v_cmp_gt_u32_e32 vcc_lo, 0xa0, v0
	v_lshrrev_b32_e32 v66, 5, v0
	v_and_b32_e32 v67, 31, v0
	v_and_b32_e32 v75, 1, v0
	v_lshlrev_b32_e32 v1, 3, v65
	v_cmp_gt_u32_e64 s2, 8, v65
	v_bfe_u32 v74, v0, 4, 1
	s_mul_i32 s31, s15, 10
	s_delay_alu instid0(VALU_DEP_3) | instskip(NEXT) | instid1(VALU_DEP_3)
	v_lshlrev_b32_e32 v73, 1, v1
	s_and_b32 s7, vcc_lo, s2
	s_delay_alu instid0(SALU_CYCLE_1)
	s_and_saveexec_b32 s6, s7
	s_cbranch_execz .LBB1767_10
; %bb.9:
	s_load_b64 s[8:9], s[0:1], 0x0
	v_lshl_or_b32 v5, v66, 1, v74
	s_waitcnt lgkmcnt(0)
	s_mul_hi_i32 s11, s3, s16
	s_mul_i32 s10, s3, s16
	v_lshlrev_b32_e32 v6, 10, v65
	s_lshl_b64 s[10:11], s[10:11], 1
	v_add_lshl_u32 v1, v5, s31, 6
	v_lshlrev_b32_e32 v5, 6, v5
	v_lshlrev_b32_e32 v7, 10, v75
	v_and_b32_e32 v6, 0x3800, v6
	s_delay_alu instid0(VALU_DEP_4) | instskip(NEXT) | instid1(VALU_DEP_2)
	v_ashrrev_i32_e32 v2, 31, v1
	v_or3_b32 v5, v6, v7, v5
	s_delay_alu instid0(VALU_DEP_2) | instskip(SKIP_2) | instid1(VALU_DEP_1)
	v_lshlrev_b64 v[1:2], 1, v[1:2]
	s_add_u32 s3, s8, s10
	s_addc_u32 s7, s9, s11
	v_add_co_u32 v1, vcc_lo, s3, v1
	s_delay_alu instid0(VALU_DEP_2) | instskip(NEXT) | instid1(VALU_DEP_2)
	v_add_co_ci_u32_e32 v2, vcc_lo, s7, v2, vcc_lo
	v_add_co_u32 v1, vcc_lo, v1, v73
	s_delay_alu instid0(VALU_DEP_2)
	v_add_co_ci_u32_e32 v2, vcc_lo, 0, v2, vcc_lo
	global_load_b128 v[1:4], v[1:2], off
	s_waitcnt vmcnt(0)
	ds_store_b128 v5, v[1:4]
.LBB1767_10:
	s_or_b32 exec_lo, exec_lo, s6
	v_and_b32_e32 v1, 0xef, v0
	s_waitcnt lgkmcnt(0)
	s_add_i32 s3, s24, 31
	s_clause 0x1
	s_load_b32 s6, s[0:1], 0x38
	s_load_b32 s19, s[0:1], 0x1c
	s_ashr_i32 s7, s3, 31
	v_add_nc_u32_e32 v1, s12, v1
	s_lshr_b32 s7, s7, 27
	s_waitcnt lgkmcnt(0)
	s_add_i32 s3, s3, s7
	s_barrier
	v_ashrrev_i32_e32 v2, 31, v1
	v_or_b32_e32 v3, 16, v1
	s_ashr_i32 s3, s3, 5
	v_cmp_gt_i32_e32 vcc_lo, s24, v1
	s_add_i32 s3, s3, -1
	v_lshrrev_b32_e32 v2, 27, v2
	buffer_gl0_inv
	s_mul_i32 s27, s15, s18
	v_add_nc_u32_e32 v4, v1, v2
	s_mul_i32 s6, s30, s6
	s_delay_alu instid0(SALU_CYCLE_1) | instskip(NEXT) | instid1(VALU_DEP_1)
	s_ashr_i32 s7, s6, 31
	v_ashrrev_i32_e32 v4, 5, v4
	v_add_nc_u32_e32 v2, v3, v2
	s_lshl_b64 s[6:7], s[6:7], 2
	s_delay_alu instid0(SALU_CYCLE_1) | instskip(NEXT) | instid1(VALU_DEP_2)
	s_add_u32 s26, s4, s6
	v_cndmask_b32_e32 v1, s3, v4, vcc_lo
	s_delay_alu instid0(VALU_DEP_2)
	v_ashrrev_i32_e32 v2, 5, v2
	v_cmp_gt_i32_e32 vcc_lo, s24, v3
	s_addc_u32 s25, s5, s7
	s_ashr_i32 s28, s27, 31
	s_add_u32 s4, s20, s27
	s_addc_u32 s5, s21, s28
	v_cndmask_b32_e32 v3, s3, v2, vcc_lo
	v_ashrrev_i32_e32 v2, 31, v1
	s_lshl_b32 s6, s14, 3
	s_delay_alu instid0(SALU_CYCLE_1) | instskip(NEXT) | instid1(VALU_DEP_2)
	s_ashr_i32 s7, s6, 31
	v_ashrrev_i32_e32 v4, 31, v3
	s_delay_alu instid0(VALU_DEP_2) | instskip(SKIP_1) | instid1(SALU_CYCLE_1)
	v_lshlrev_b64 v[1:2], 2, v[1:2]
	s_lshl_b64 s[6:7], s[6:7], 2
	s_add_u32 s6, s26, s6
	s_delay_alu instid0(VALU_DEP_2) | instskip(SKIP_1) | instid1(VALU_DEP_2)
	v_lshlrev_b64 v[3:4], 2, v[3:4]
	s_addc_u32 s7, s25, s7
	v_add_co_u32 v1, vcc_lo, s26, v1
	v_add_co_ci_u32_e32 v2, vcc_lo, s25, v2, vcc_lo
	s_delay_alu instid0(VALU_DEP_3) | instskip(NEXT) | instid1(VALU_DEP_4)
	v_add_co_u32 v3, vcc_lo, s26, v3
	v_add_co_ci_u32_e32 v4, vcc_lo, s25, v4, vcc_lo
	s_clause 0x1
	global_load_b32 v5, v[1:2], off
	global_load_b32 v6, v[3:4], off
	s_or_b32 s8, s12, 32
	s_delay_alu instid0(SALU_CYCLE_1) | instskip(SKIP_2) | instid1(SALU_CYCLE_1)
	s_ashr_i32 s9, s8, 5
	s_cmp_lt_i32 s8, s24
	s_cselect_b32 s8, s9, s3
	s_ashr_i32 s9, s8, 31
	s_delay_alu instid0(SALU_CYCLE_1) | instskip(NEXT) | instid1(SALU_CYCLE_1)
	s_lshl_b64 s[8:9], s[8:9], 2
	s_add_u32 s8, s26, s8
	s_addc_u32 s9, s25, s9
	s_or_b32 s10, s12, 64
	s_delay_alu instid0(SALU_CYCLE_1) | instskip(SKIP_2) | instid1(SALU_CYCLE_1)
	s_ashr_i32 s11, s10, 5
	s_cmp_lt_i32 s10, s24
	s_cselect_b32 s10, s11, s3
	s_ashr_i32 s11, s10, 31
	s_delay_alu instid0(SALU_CYCLE_1) | instskip(NEXT) | instid1(SALU_CYCLE_1)
	s_lshl_b64 s[10:11], s[10:11], 2
	s_add_u32 s10, s26, s10
	s_addc_u32 s11, s25, s11
	;; [unrolled: 10-line block ×5, first 2 shown]
	s_clause 0x5
	s_load_b32 s21, s[6:7], 0x0
	s_load_b32 s13, s[8:9], 0x0
	;; [unrolled: 1-line block ×6, first 2 shown]
	s_or_b32 s8, s12, 0xc0
	s_delay_alu instid0(SALU_CYCLE_1) | instskip(SKIP_2) | instid1(SALU_CYCLE_1)
	s_ashr_i32 s9, s8, 5
	s_cmp_lt_i32 s8, s24
	s_cselect_b32 s34, s9, s3
	s_ashr_i32 s35, s34, 31
	s_delay_alu instid0(SALU_CYCLE_1) | instskip(NEXT) | instid1(SALU_CYCLE_1)
	s_lshl_b64 s[34:35], s[34:35], 2
	s_add_u32 s34, s26, s34
	s_addc_u32 s35, s25, s35
	s_or_b32 s29, s12, 0xe0
	s_delay_alu instid0(SALU_CYCLE_1)
	s_ashr_i32 s33, s29, 5
	s_cmp_lt_i32 s29, s24
	s_waitcnt vmcnt(1)
	v_mad_i64_i32 v[1:2], null, v5, s17, s[4:5]
	s_waitcnt vmcnt(0)
	v_mad_i64_i32 v[3:4], null, v6, s17, s[4:5]
	s_mov_b32 s4, 0
	s_delay_alu instid0(SALU_CYCLE_1)
	s_mov_b32 s5, s4
	s_mov_b32 s6, s4
	s_mov_b32 s7, s4
	s_mov_b32 s8, s4
	s_mov_b32 s9, s4
	s_mov_b32 s10, s4
	s_mov_b32 s11, s4
	v_lshlrev_b32_e32 v5, 4, v65
	v_dual_mov_b32 v107, s11 :: v_dual_mov_b32 v102, s6
	v_mov_b32_e32 v100, s4
	v_mov_b32_e32 v106, s10
	s_delay_alu instid0(VALU_DEP_4)
	v_add_co_u32 v1, vcc_lo, v1, v5
	v_add_co_ci_u32_e32 v2, vcc_lo, 0, v2, vcc_lo
	v_add_co_u32 v3, vcc_lo, v3, v5
	v_add_co_ci_u32_e32 v4, vcc_lo, 0, v4, vcc_lo
	s_clause 0x7
	global_load_b128 v[49:52], v[1:2], off
	global_load_b128 v[53:56], v[1:2], off offset:512
	global_load_b128 v[76:79], v[3:4], off offset:256
	global_load_b128 v[80:83], v[3:4], off offset:768
	global_load_b128 v[84:87], v[1:2], off offset:1024
	global_load_b128 v[88:91], v[1:2], off offset:1536
	global_load_b128 v[92:95], v[3:4], off offset:1280
	global_load_b128 v[96:99], v[3:4], off offset:1792
	v_add_nc_u32_e32 v1, -10, v65
	v_cmp_gt_u32_e32 vcc_lo, 10, v65
	v_dual_mov_b32 v104, s8 :: v_dual_mov_b32 v103, s7
	v_dual_mov_b32 v101, s5 :: v_dual_lshlrev_b32 v2, 5, v65
	s_delay_alu instid0(VALU_DEP_4)
	v_cndmask_b32_e32 v1, v1, v65, vcc_lo
	v_mov_b32_e32 v105, s9
	s_cselect_b32 s4, s33, s3
	s_load_b32 s3, s[34:35], 0x0
	s_ashr_i32 s5, s4, 31
	v_lshlrev_b32_e32 v70, 6, v1
	s_lshl_b64 s[4:5], s[4:5], 2
	v_lshl_or_b32 v2, v66, 9, v2
	s_add_u32 s4, s26, s4
	s_addc_u32 s5, s25, s5
	ds_load_b128 v[108:111], v70
	ds_load_b128 v[112:115], v70 offset:1024
	s_load_b32 s4, s[4:5], 0x0
	s_add_u32 s6, s22, s27
	s_addc_u32 s7, s23, s28
	v_add_co_u32 v9, s6, s6, v2
	s_delay_alu instid0(VALU_DEP_1) | instskip(SKIP_1) | instid1(VALU_DEP_1)
	v_add_co_ci_u32_e64 v10, null, s7, 0, s6
	s_waitcnt lgkmcnt(0)
	v_mad_i64_i32 v[1:2], null, s21, s17, v[9:10]
	v_mad_i64_i32 v[3:4], null, s13, s17, v[9:10]
	;; [unrolled: 1-line block ×7, first 2 shown]
	s_clause 0x9
	global_load_b128 v[57:60], v[1:2], off
	global_load_b128 v[61:64], v[1:2], off offset:16
	global_load_b128 v[41:44], v[3:4], off
	global_load_b128 v[45:48], v[3:4], off offset:16
	;; [unrolled: 2-line block ×5, first 2 shown]
	v_mad_i64_i32 v[68:69], null, s4, s17, v[9:10]
	s_clause 0x3
	global_load_b128 v[9:12], v[13:14], off
	global_load_b128 v[13:16], v[13:14], off offset:16
	global_load_b128 v[17:20], v[21:22], off
	global_load_b128 v[21:24], v[21:22], off offset:16
	s_waitcnt vmcnt(20)
	v_wmma_f32_16x16x16_bf16 v[116:123], v[49:56], v[108:115], v[100:107]
	s_clause 0x1
	global_load_b128 v[49:52], v[68:69], off
	global_load_b128 v[53:56], v[68:69], off offset:16
	v_and_b32_e32 v68, 0xe0, v0
	v_mbcnt_lo_u32_b32 v69, -1, 0
	s_delay_alu instid0(VALU_DEP_2)
	v_add_nc_u32_e32 v68, s12, v68
	s_waitcnt vmcnt(20)
	v_wmma_f32_16x16x16_bf16 v[100:107], v[76:83], v[108:115], v[100:107]
	ds_load_b128 v[76:79], v70 offset:2048
	ds_load_b128 v[80:83], v70 offset:3072
	v_xor_b32_e32 v70, 16, v69
	s_waitcnt vmcnt(0) lgkmcnt(0)
	v_or_b32_e32 v68, v68, v74
	s_barrier
	buffer_gl0_inv
	v_cmp_gt_i32_e32 vcc_lo, 32, v70
	v_or_b32_e32 v71, 4, v68
	v_or_b32_e32 v72, 6, v68
	v_cmp_gt_i32_e64 s3, s24, v68
	v_or_b32_e32 v108, 8, v68
	v_or_b32_e32 v109, 10, v68
	v_cmp_gt_i32_e64 s4, s24, v71
	v_cmp_gt_i32_e64 s5, s24, v72
	s_delay_alu instid0(VALU_DEP_4) | instskip(NEXT) | instid1(VALU_DEP_4)
	v_cmp_gt_i32_e64 s6, s24, v108
	v_cmp_gt_i32_e64 s7, s24, v109
	v_wmma_f32_16x16x16_bf16 v[116:123], v[84:91], v[76:83], v[116:123]
	v_cndmask_b32_e32 v69, v69, v70, vcc_lo
	v_or_b32_e32 v70, 2, v68
	v_wmma_f32_16x16x16_bf16 v[100:107], v[92:99], v[76:83], v[100:107]
	v_or_b32_e32 v89, 22, v68
	v_dual_mul_f32 v80, s19, v121 :: v_dual_mul_f32 v81, s19, v120
	v_dual_mul_f32 v92, s19, v117 :: v_dual_mul_f32 v93, s19, v116
	s_delay_alu instid0(VALU_DEP_4)
	v_mul_f32_e32 v96, s19, v105
	v_cmp_gt_i32_e32 vcc_lo, s24, v70
	v_dual_mul_f32 v79, s19, v122 :: v_dual_mul_f32 v82, s19, v119
	v_dual_mul_f32 v83, s19, v118 :: v_dual_mul_f32 v94, s19, v107
	v_cndmask_b32_e64 v93, 0xff7fffff, v93, s3
	v_cndmask_b32_e32 v92, 0xff7fffff, v92, vcc_lo
	v_or_b32_e32 v84, 12, v68
	v_or_b32_e32 v85, 14, v68
	v_cndmask_b32_e64 v71, 0xff7fffff, v83, s4
	v_cndmask_b32_e64 v72, 0xff7fffff, v82, s5
	v_cmp_gt_i32_e64 s13, s24, v89
	v_lshlrev_b32_e32 v89, 2, v69
	v_max3_f32 v82, v93, 0xff7fffff, v92
	v_or_b32_e32 v86, 16, v68
	v_or_b32_e32 v87, 18, v68
	v_mul_f32_e32 v78, s19, v123
	v_cndmask_b32_e64 v81, 0xff7fffff, v81, s6
	v_cndmask_b32_e64 v80, 0xff7fffff, v80, s7
	v_max3_f32 v71, v82, v71, v72
	v_cmp_gt_i32_e64 s8, s24, v84
	v_cmp_gt_i32_e64 s9, s24, v85
	v_or_b32_e32 v88, 20, v68
	v_or_b32_e32 v90, 24, v68
	;; [unrolled: 1-line block ×5, first 2 shown]
	v_dual_mul_f32 v97, s19, v104 :: v_dual_mul_f32 v70, s19, v101
	v_dual_mul_f32 v99, s19, v102 :: v_dual_mul_f32 v68, s19, v100
	v_cndmask_b32_e64 v72, 0xff7fffff, v79, s8
	v_cndmask_b32_e64 v78, 0xff7fffff, v78, s9
	v_max3_f32 v71, v71, v81, v80
	v_cmp_gt_i32_e64 s10, s24, v86
	v_cmp_gt_i32_e64 s11, s24, v87
	v_dual_mul_f32 v95, s19, v106 :: v_dual_mul_f32 v98, s19, v103
	s_delay_alu instid0(VALU_DEP_4) | instskip(NEXT) | instid1(VALU_DEP_4)
	v_max3_f32 v71, v71, v72, v78
	v_cndmask_b32_e64 v68, 0xff7fffff, v68, s10
	s_delay_alu instid0(VALU_DEP_4)
	v_cndmask_b32_e64 v70, 0xff7fffff, v70, s11
	v_cmp_gt_i32_e64 s12, s24, v88
	v_cndmask_b32_e64 v78, 0xff7fffff, v98, s13
	v_cmp_gt_i32_e64 s15, s24, v90
	v_cmp_gt_i32_e64 s16, s24, v91
	v_max3_f32 v68, v71, v68, v70
	v_cndmask_b32_e64 v72, 0xff7fffff, v99, s12
	v_cmp_gt_i32_e64 s17, s24, v76
	v_cndmask_b32_e64 v70, 0xff7fffff, v97, s15
	v_cndmask_b32_e64 v71, 0xff7fffff, v96, s16
	v_cmp_gt_i32_e64 s18, s24, v77
	v_max3_f32 v68, v68, v72, v78
	v_cndmask_b32_e64 v72, 0xff7fffff, v95, s17
	s_delay_alu instid0(VALU_DEP_3) | instskip(NEXT) | instid1(VALU_DEP_3)
	v_cndmask_b32_e64 v76, 0xff7fffff, v94, s18
	v_max3_f32 v68, v68, v70, v71
	s_delay_alu instid0(VALU_DEP_1) | instskip(SKIP_3) | instid1(VALU_DEP_1)
	v_max3_f32 v68, v68, v72, v76
	ds_bpermute_b32 v69, v89, v68
	s_waitcnt lgkmcnt(0)
	v_max_f32_e32 v69, v69, v69
	v_max_f32_e32 v68, v68, v69
	s_delay_alu instid0(VALU_DEP_1) | instskip(NEXT) | instid1(VALU_DEP_1)
	v_fma_f32 v71, s19, v118, -v68
	v_mul_f32_e32 v71, 0x3fb8aa3b, v71
	v_fma_f32 v70, s19, v117, -v68
	v_fma_f32 v69, s19, v116, -v68
	;; [unrolled: 1-line block ×5, first 2 shown]
	s_delay_alu instid0(VALU_DEP_4) | instskip(SKIP_1) | instid1(VALU_DEP_3)
	v_dual_mul_f32 v70, 0x3fb8aa3b, v70 :: v_dual_mul_f32 v69, 0x3fb8aa3b, v69
	v_exp_f32_e32 v71, v71
	v_mul_f32_e32 v72, 0x3fb8aa3b, v72
	v_fma_f32 v81, s19, v105, -v68
	s_delay_alu instid0(VALU_DEP_3)
	v_exp_f32_e32 v70, v70
	v_mul_f32_e32 v77, 0x3fb8aa3b, v76
	v_exp_f32_e32 v69, v69
	v_exp_f32_e32 v72, v72
	v_mul_f32_e32 v81, 0x3fb8aa3b, v81
	v_cndmask_b32_e64 v83, 0, v71, s4
	v_fma_f32 v71, s19, v123, -v68
	s_delay_alu instid0(VALU_DEP_3) | instskip(SKIP_4) | instid1(TRANS32_DEP_3)
	v_exp_f32_e32 v81, v81
	v_cndmask_b32_e32 v76, 0, v70, vcc_lo
	v_exp_f32_e32 v77, v77
	v_cndmask_b32_e64 v80, 0, v69, s3
	v_fma_f32 v69, s19, v121, -v68
	v_cndmask_b32_e64 v85, 0, v72, s5
	v_mul_f32_e32 v71, 0x3fb8aa3b, v71
	v_fma_f32 v72, s19, v100, -v68
	s_delay_alu instid0(VALU_DEP_4) | instskip(SKIP_1) | instid1(VALU_DEP_3)
	v_dual_add_f32 v70, 0, v80 :: v_dual_mul_f32 v69, 0x3fb8aa3b, v69
	s_mov_b32 s3, exec_lo
	v_exp_f32_e32 v71, v71
	s_delay_alu instid0(TRANS32_DEP_2) | instskip(SKIP_4) | instid1(VALU_DEP_3)
	v_cndmask_b32_e64 v86, 0, v77, s6
	v_fma_f32 v77, s19, v101, -v68
	v_mul_f32_e32 v78, 0x3fb8aa3b, v78
	v_add_f32_e32 v70, v70, v76
	v_exp_f32_e32 v69, v69
	v_mul_f32_e32 v77, 0x3fb8aa3b, v77
	s_delay_alu instid0(VALU_DEP_3) | instskip(NEXT) | instid1(TRANS32_DEP_3)
	v_exp_f32_e32 v78, v78
	v_cndmask_b32_e64 v88, 0, v71, s9
	v_fma_f32 v71, s19, v104, -v68
	s_delay_alu instid0(VALU_DEP_3) | instskip(NEXT) | instid1(TRANS32_DEP_3)
	v_exp_f32_e32 v77, v77
	v_cndmask_b32_e64 v87, 0, v69, s7
	s_delay_alu instid0(VALU_DEP_2)
	v_mul_f32_e32 v71, 0x3fb8aa3b, v71
	s_waitcnt_depctr 0xfff
	v_cndmask_b32_e64 v84, 0, v78, s8
	v_add_f32_e32 v70, v70, v83
	v_fma_f32 v78, s19, v103, -v68
	v_exp_f32_e32 v82, v71
	s_delay_alu instid0(VALU_DEP_2) | instskip(SKIP_1) | instid1(VALU_DEP_3)
	v_add_f32_e32 v70, v70, v85
	v_mul_f32_e32 v72, 0x3fb8aa3b, v72
	v_mul_f32_e32 v78, 0x3fb8aa3b, v78
	s_delay_alu instid0(VALU_DEP_3) | instskip(SKIP_1) | instid1(VALU_DEP_4)
	v_add_f32_e32 v69, v70, v86
	v_fma_f32 v70, s19, v102, -v68
	v_exp_f32_e32 v72, v72
	s_delay_alu instid0(VALU_DEP_3) | instskip(NEXT) | instid1(VALU_DEP_1)
	v_exp_f32_e32 v78, v78
	v_dual_add_f32 v69, v69, v87 :: v_dual_mul_f32 v70, 0x3fb8aa3b, v70
	s_delay_alu instid0(VALU_DEP_1) | instskip(NEXT) | instid1(VALU_DEP_2)
	v_add_f32_e32 v69, v69, v84
	v_exp_f32_e32 v79, v70
	s_delay_alu instid0(TRANS32_DEP_3) | instskip(NEXT) | instid1(VALU_DEP_2)
	v_cndmask_b32_e64 v70, 0, v72, s10
	v_add_f32_e32 v72, v69, v88
	v_cndmask_b32_e64 v69, 0, v77, s11
	v_fma_f32 v77, s19, v106, -v68
	s_waitcnt_depctr 0xfff
	v_cndmask_b32_e64 v71, 0, v79, s12
	v_dual_mul_f32 v77, 0x3fb8aa3b, v77 :: v_dual_add_f32 v72, v72, v70
	s_delay_alu instid0(VALU_DEP_1) | instskip(NEXT) | instid1(VALU_DEP_1)
	v_exp_f32_e32 v90, v77
	v_add_f32_e32 v79, v72, v69
	v_cndmask_b32_e64 v72, 0, v78, s13
	v_cndmask_b32_e64 v77, 0, v82, s15
	s_delay_alu instid0(VALU_DEP_3) | instskip(SKIP_1) | instid1(VALU_DEP_1)
	v_add_f32_e32 v78, v79, v71
	v_fma_f32 v79, s19, v107, -v68
	v_dual_add_f32 v82, v78, v72 :: v_dual_mul_f32 v79, 0x3fb8aa3b, v79
	v_cndmask_b32_e64 v78, 0, v81, s16
	s_delay_alu instid0(VALU_DEP_2) | instskip(NEXT) | instid1(VALU_DEP_3)
	v_add_f32_e32 v81, v82, v77
	v_exp_f32_e32 v82, v79
	v_cndmask_b32_e64 v79, 0, v90, s17
	s_delay_alu instid0(VALU_DEP_2) | instskip(NEXT) | instid1(VALU_DEP_1)
	v_add_f32_e32 v81, v81, v78
	v_add_f32_e32 v90, v81, v79
	s_waitcnt_depctr 0xfff
	v_cndmask_b32_e64 v81, 0, v82, s18
	s_delay_alu instid0(VALU_DEP_1)
	v_add_f32_e32 v82, v90, v81
	ds_bpermute_b32 v89, v89, v82
	v_cmpx_gt_u32_e32 16, v67
	s_cbranch_execz .LBB1767_12
; %bb.11:
	v_mul_u32_u24_e32 v67, 0x44, v66
	s_delay_alu instid0(VALU_DEP_1) | instskip(SKIP_1) | instid1(VALU_DEP_1)
	v_lshl_add_u32 v67, v65, 2, v67
	s_waitcnt lgkmcnt(0)
	v_dual_add_f32 v82, v82, v89 :: v_dual_add_nc_u32 v67, 0x4000, v67
	ds_store_2addr_b32 v67, v68, v82 offset1:136
.LBB1767_12:
	s_or_b32 exec_lo, exec_lo, s3
	v_lshlrev_b32_e32 v67, 2, v65
	s_waitcnt lgkmcnt(0)
	s_barrier
	buffer_gl0_inv
	v_cmp_eq_u32_e32 vcc_lo, 1, v66
	v_add_nc_u32_e32 v82, 0x4000, v67
	v_cmp_eq_u32_e64 s3, 2, v66
	v_cmp_eq_u32_e64 s5, 7, v66
	ds_load_2addr_b32 v[89:90], v82 offset1:17
	ds_load_2addr_b32 v[91:92], v82 offset0:34 offset1:51
	ds_load_2addr_b32 v[93:94], v82 offset0:68 offset1:85
	;; [unrolled: 1-line block ×4, first 2 shown]
	s_waitcnt lgkmcnt(4)
	v_max3_f32 v67, v89, 0xff7fffff, v90
	s_waitcnt lgkmcnt(3)
	s_delay_alu instid0(VALU_DEP_1) | instskip(SKIP_1) | instid1(VALU_DEP_1)
	v_max3_f32 v67, v67, v91, v92
	s_waitcnt lgkmcnt(2)
	v_max3_f32 v67, v67, v93, v94
	s_waitcnt lgkmcnt(1)
	s_delay_alu instid0(VALU_DEP_1) | instskip(NEXT) | instid1(VALU_DEP_1)
	v_max3_f32 v67, v67, v95, v96
	v_sub_f32_e32 v93, v93, v67
	s_delay_alu instid0(VALU_DEP_1) | instskip(NEXT) | instid1(VALU_DEP_1)
	v_dual_sub_f32 v68, v89, v67 :: v_dual_mul_f32 v103, 0x3fb8aa3b, v93
	v_mul_f32_e32 v68, 0x3fb8aa3b, v68
	s_delay_alu instid0(VALU_DEP_1)
	v_exp_f32_e32 v100, v68
	v_sub_f32_e32 v68, v92, v67
	v_sub_f32_e32 v99, v90, v67
	ds_load_2addr_b32 v[89:90], v82 offset0:170 offset1:187
	v_dual_mul_f32 v102, 0x3fb8aa3b, v68 :: v_dual_mul_f32 v99, 0x3fb8aa3b, v99
	s_waitcnt lgkmcnt(1)
	v_fma_f32 v68, v100, v97, 0
	s_delay_alu instid0(VALU_DEP_2) | instskip(NEXT) | instid1(VALU_DEP_2)
	v_exp_f32_e32 v102, v102
	v_exp_f32_e32 v99, v99
	s_waitcnt_depctr 0xfff
	v_fmac_f32_e32 v68, v99, v98
	v_sub_f32_e32 v91, v91, v67
	s_delay_alu instid0(VALU_DEP_1)
	v_mul_f32_e32 v101, 0x3fb8aa3b, v91
	ds_load_2addr_b32 v[91:92], v82 offset0:204 offset1:221
	v_sub_f32_e32 v97, v94, v67
	ds_load_2addr_b32 v[93:94], v82 offset0:238 offset1:255
	s_waitcnt lgkmcnt(0)
	v_exp_f32_e32 v101, v101
	s_barrier
	buffer_gl0_inv
	v_dual_fmac_f32 v68, v101, v89 :: v_dual_sub_f32 v89, v96, v67
	v_dual_sub_f32 v82, v95, v67 :: v_dual_mul_f32 v95, 0x3fb8aa3b, v97
	v_exp_f32_e32 v97, v103
	s_delay_alu instid0(VALU_DEP_2) | instskip(NEXT) | instid1(VALU_DEP_2)
	v_dual_fmac_f32 v68, v102, v90 :: v_dual_mul_f32 v89, 0x3fb8aa3b, v89
	v_mul_f32_e32 v82, 0x3fb8aa3b, v82
	s_delay_alu instid0(VALU_DEP_3) | instskip(NEXT) | instid1(VALU_DEP_2)
	v_exp_f32_e32 v95, v95
	v_exp_f32_e32 v89, v89
	s_delay_alu instid0(VALU_DEP_1)
	v_exp_f32_e32 v82, v82
	v_fmac_f32_e32 v68, v97, v91
	s_delay_alu instid0(TRANS32_DEP_3) | instid1(VALU_DEP_1)
	v_fmac_f32_e32 v68, v95, v92
	s_waitcnt_depctr 0xfff
	v_fmac_f32_e32 v68, v82, v93
	s_delay_alu instid0(VALU_DEP_1) | instskip(NEXT) | instid1(VALU_DEP_1)
	v_fmac_f32_e32 v68, v89, v94
	v_add_f32_e32 v90, 0x358637bd, v68
	s_delay_alu instid0(VALU_DEP_1) | instskip(NEXT) | instid1(VALU_DEP_1)
	v_div_scale_f32 v91, null, v90, v90, 1.0
	v_rcp_f32_e32 v92, v91
	s_waitcnt_depctr 0xfff
	v_fma_f32 v93, -v91, v92, 1.0
	s_delay_alu instid0(VALU_DEP_1) | instskip(SKIP_1) | instid1(VALU_DEP_2)
	v_dual_fmac_f32 v92, v93, v92 :: v_dual_cndmask_b32 v93, v100, v99
	v_cmp_eq_u32_e32 vcc_lo, 3, v66
	v_cndmask_b32_e64 v93, v93, v101, s3
	v_cmp_eq_u32_e64 s3, 4, v66
	s_delay_alu instid0(VALU_DEP_2) | instskip(SKIP_1) | instid1(VALU_DEP_2)
	v_cndmask_b32_e32 v93, v93, v102, vcc_lo
	v_cmp_eq_u32_e32 vcc_lo, 5, v66
	v_cndmask_b32_e64 v93, v93, v97, s3
	v_cmp_eq_u32_e64 s3, 6, v66
	s_delay_alu instid0(VALU_DEP_2) | instskip(SKIP_1) | instid1(VALU_DEP_1)
	v_cndmask_b32_e32 v93, v93, v95, vcc_lo
	v_div_scale_f32 v94, s4, 1.0, v90, 1.0
	s_mov_b32 vcc_lo, s4
	s_delay_alu instid0(VALU_DEP_2) | instskip(NEXT) | instid1(VALU_DEP_2)
	v_cndmask_b32_e64 v82, v93, v82, s3
	v_mul_f32_e32 v96, v94, v92
	s_mov_b32 s3, exec_lo
	s_delay_alu instid0(VALU_DEP_2) | instskip(NEXT) | instid1(VALU_DEP_2)
	v_cndmask_b32_e64 v82, v82, v89, s5
	v_fma_f32 v98, -v91, v96, v94
	s_delay_alu instid0(VALU_DEP_1) | instskip(NEXT) | instid1(VALU_DEP_1)
	v_fmac_f32_e32 v96, v98, v92
	v_fma_f32 v91, -v91, v96, v94
	s_delay_alu instid0(VALU_DEP_1) | instskip(NEXT) | instid1(VALU_DEP_1)
	v_div_fmas_f32 v91, v91, v92, v96
	v_div_fixup_f32 v90, v91, v90, 1.0
	s_delay_alu instid0(VALU_DEP_1) | instskip(NEXT) | instid1(VALU_DEP_1)
	v_mul_f32_e32 v82, v82, v90
	v_mul_f32_e32 v87, v82, v87
	;; [unrolled: 1-line block ×7, first 2 shown]
	v_dual_mul_f32 v86, v82, v83 :: v_dual_and_b32 v91, 0x7f800000, v90
	v_mul_f32_e32 v85, v82, v76
                                        ; implicit-def: $vgpr76
	s_delay_alu instid0(VALU_DEP_2)
	v_cmpx_ne_u32_e32 0x7f800000, v91
	s_xor_b32 s3, exec_lo, s3
; %bb.13:
	v_bfe_u32 v76, v90, 16, 1
	s_delay_alu instid0(VALU_DEP_1)
	v_add3_u32 v76, v90, v76, 0x7fff
                                        ; implicit-def: $vgpr90
; %bb.14:
	s_and_not1_saveexec_b32 s3, s3
; %bb.15:
	v_and_b32_e32 v76, 0xffff, v90
	v_or_b32_e32 v83, 0x10000, v90
	s_delay_alu instid0(VALU_DEP_2) | instskip(NEXT) | instid1(VALU_DEP_2)
	v_cmp_eq_u32_e32 vcc_lo, 0, v76
	v_cndmask_b32_e32 v76, v83, v90, vcc_lo
; %bb.16:
	s_or_b32 exec_lo, exec_lo, s3
	v_and_b32_e32 v83, 0x7f800000, v85
	s_delay_alu instid0(VALU_DEP_1) | instskip(SKIP_1) | instid1(SALU_CYCLE_1)
	v_cmp_ne_u32_e32 vcc_lo, 0x7f800000, v83
                                        ; implicit-def: $vgpr83
	s_and_saveexec_b32 s3, vcc_lo
	s_xor_b32 s3, exec_lo, s3
; %bb.17:
	v_bfe_u32 v83, v85, 16, 1
	s_delay_alu instid0(VALU_DEP_1)
	v_add3_u32 v83, v85, v83, 0x7fff
                                        ; implicit-def: $vgpr85
; %bb.18:
	s_and_not1_saveexec_b32 s3, s3
; %bb.19:
	v_and_b32_e32 v83, 0xffff, v85
	v_or_b32_e32 v90, 0x10000, v85
	s_delay_alu instid0(VALU_DEP_2) | instskip(NEXT) | instid1(VALU_DEP_2)
	v_cmp_eq_u32_e32 vcc_lo, 0, v83
	v_cndmask_b32_e32 v83, v90, v85, vcc_lo
; %bb.20:
	s_or_b32 exec_lo, exec_lo, s3
	v_and_b32_e32 v85, 0x7f800000, v86
	s_delay_alu instid0(VALU_DEP_1) | instskip(SKIP_1) | instid1(SALU_CYCLE_1)
	v_cmp_ne_u32_e32 vcc_lo, 0x7f800000, v85
                                        ; implicit-def: $vgpr85
	s_and_saveexec_b32 s3, vcc_lo
	s_xor_b32 s3, exec_lo, s3
; %bb.21:
	v_bfe_u32 v85, v86, 16, 1
	s_delay_alu instid0(VALU_DEP_1)
	v_add3_u32 v85, v86, v85, 0x7fff
                                        ; implicit-def: $vgpr86
; %bb.22:
	s_and_not1_saveexec_b32 s3, s3
; %bb.23:
	v_and_b32_e32 v85, 0xffff, v86
	v_or_b32_e32 v90, 0x10000, v86
	s_delay_alu instid0(VALU_DEP_2) | instskip(NEXT) | instid1(VALU_DEP_2)
	v_cmp_eq_u32_e32 vcc_lo, 0, v85
	v_cndmask_b32_e32 v85, v90, v86, vcc_lo
; %bb.24:
	s_or_b32 exec_lo, exec_lo, s3
	v_and_b32_e32 v86, 0x7f800000, v89
	s_delay_alu instid0(VALU_DEP_1) | instskip(SKIP_1) | instid1(SALU_CYCLE_1)
	v_cmp_ne_u32_e32 vcc_lo, 0x7f800000, v86
                                        ; implicit-def: $vgpr86
	s_and_saveexec_b32 s3, vcc_lo
	s_xor_b32 s3, exec_lo, s3
; %bb.25:
	v_bfe_u32 v86, v89, 16, 1
	s_delay_alu instid0(VALU_DEP_1)
	v_add3_u32 v86, v89, v86, 0x7fff
                                        ; implicit-def: $vgpr89
; %bb.26:
	s_and_not1_saveexec_b32 s3, s3
; %bb.27:
	v_and_b32_e32 v86, 0xffff, v89
	v_or_b32_e32 v90, 0x10000, v89
	s_delay_alu instid0(VALU_DEP_2) | instskip(NEXT) | instid1(VALU_DEP_2)
	v_cmp_eq_u32_e32 vcc_lo, 0, v86
	v_cndmask_b32_e32 v86, v90, v89, vcc_lo
; %bb.28:
	s_or_b32 exec_lo, exec_lo, s3
	v_and_b32_e32 v89, 0x7f800000, v88
	s_delay_alu instid0(VALU_DEP_1) | instskip(SKIP_1) | instid1(SALU_CYCLE_1)
	v_cmp_ne_u32_e32 vcc_lo, 0x7f800000, v89
                                        ; implicit-def: $vgpr89
	s_and_saveexec_b32 s3, vcc_lo
	s_xor_b32 s3, exec_lo, s3
; %bb.29:
	v_bfe_u32 v89, v88, 16, 1
	s_delay_alu instid0(VALU_DEP_1)
	v_add3_u32 v89, v88, v89, 0x7fff
                                        ; implicit-def: $vgpr88
; %bb.30:
	s_and_not1_saveexec_b32 s3, s3
; %bb.31:
	v_and_b32_e32 v89, 0xffff, v88
	v_or_b32_e32 v90, 0x10000, v88
	s_delay_alu instid0(VALU_DEP_2) | instskip(NEXT) | instid1(VALU_DEP_2)
	v_cmp_eq_u32_e32 vcc_lo, 0, v89
	v_cndmask_b32_e32 v89, v90, v88, vcc_lo
; %bb.32:
	s_or_b32 exec_lo, exec_lo, s3
	v_and_b32_e32 v88, 0x7f800000, v87
	s_delay_alu instid0(VALU_DEP_1) | instskip(SKIP_1) | instid1(SALU_CYCLE_1)
	v_cmp_ne_u32_e32 vcc_lo, 0x7f800000, v88
                                        ; implicit-def: $vgpr88
	s_and_saveexec_b32 s3, vcc_lo
	s_xor_b32 s3, exec_lo, s3
; %bb.33:
	v_bfe_u32 v88, v87, 16, 1
	s_delay_alu instid0(VALU_DEP_1)
	v_add3_u32 v88, v87, v88, 0x7fff
                                        ; implicit-def: $vgpr87
; %bb.34:
	s_and_not1_saveexec_b32 s3, s3
; %bb.35:
	v_and_b32_e32 v88, 0xffff, v87
	v_or_b32_e32 v90, 0x10000, v87
	s_delay_alu instid0(VALU_DEP_2) | instskip(NEXT) | instid1(VALU_DEP_2)
	v_cmp_eq_u32_e32 vcc_lo, 0, v88
	v_cndmask_b32_e32 v88, v90, v87, vcc_lo
; %bb.36:
	s_or_b32 exec_lo, exec_lo, s3
	v_and_b32_e32 v87, 0x7f800000, v84
	s_delay_alu instid0(VALU_DEP_1) | instskip(SKIP_1) | instid1(SALU_CYCLE_1)
	v_cmp_ne_u32_e32 vcc_lo, 0x7f800000, v87
                                        ; implicit-def: $vgpr87
	s_and_saveexec_b32 s3, vcc_lo
	s_xor_b32 s3, exec_lo, s3
; %bb.37:
	v_bfe_u32 v87, v84, 16, 1
	s_delay_alu instid0(VALU_DEP_1)
	v_add3_u32 v87, v84, v87, 0x7fff
                                        ; implicit-def: $vgpr84
; %bb.38:
	s_and_not1_saveexec_b32 s3, s3
; %bb.39:
	v_and_b32_e32 v87, 0xffff, v84
	v_or_b32_e32 v90, 0x10000, v84
	s_delay_alu instid0(VALU_DEP_2) | instskip(NEXT) | instid1(VALU_DEP_2)
	v_cmp_eq_u32_e32 vcc_lo, 0, v87
	v_cndmask_b32_e32 v87, v90, v84, vcc_lo
; %bb.40:
	s_or_b32 exec_lo, exec_lo, s3
	v_and_b32_e32 v84, 0x7f800000, v80
	s_delay_alu instid0(VALU_DEP_1) | instskip(SKIP_1) | instid1(SALU_CYCLE_1)
	v_cmp_ne_u32_e32 vcc_lo, 0x7f800000, v84
                                        ; implicit-def: $vgpr84
	s_and_saveexec_b32 s3, vcc_lo
	s_xor_b32 s3, exec_lo, s3
; %bb.41:
	v_bfe_u32 v84, v80, 16, 1
	s_delay_alu instid0(VALU_DEP_1)
	v_add3_u32 v84, v80, v84, 0x7fff
                                        ; implicit-def: $vgpr80
; %bb.42:
	s_and_not1_saveexec_b32 s3, s3
; %bb.43:
	v_and_b32_e32 v84, 0xffff, v80
	v_or_b32_e32 v90, 0x10000, v80
	s_delay_alu instid0(VALU_DEP_2) | instskip(NEXT) | instid1(VALU_DEP_2)
	v_cmp_eq_u32_e32 vcc_lo, 0, v84
	v_cndmask_b32_e32 v84, v90, v80, vcc_lo
; %bb.44:
	s_or_b32 exec_lo, exec_lo, s3
	s_load_b64 s[34:35], s[0:1], 0x94
	v_lshlrev_b32_e32 v91, 4, v74
	s_delay_alu instid0(VALU_DEP_2)
	v_perm_b32 v90, v84, v87, 0x7060302
	v_dual_mul_f32 v79, v82, v79 :: v_dual_lshlrev_b32 v80, 6, v65
	v_dual_mul_f32 v77, v82, v77 :: v_dual_lshlrev_b32 v92, 11, v66
	v_mul_f32_e32 v84, v82, v70
	v_perm_b32 v89, v88, v89, 0x7060302
	v_perm_b32 v88, v86, v85, 0x7060302
	v_perm_b32 v87, v83, v76, 0x7060302
	v_mul_f32_e32 v70, v82, v81
	v_or3_b32 v76, v91, v92, v80
	v_dual_mul_f32 v78, v82, v78 :: v_dual_and_b32 v85, 0x7f800000, v84
	v_mul_f32_e32 v83, v82, v72
	v_mul_f32_e32 v81, v82, v71
	;; [unrolled: 1-line block ×3, first 2 shown]
	s_mov_b32 s3, exec_lo
	ds_store_b128 v76, v[87:90]
                                        ; implicit-def: $vgpr69
	v_cmpx_ne_u32_e32 0x7f800000, v85
	s_xor_b32 s3, exec_lo, s3
; %bb.45:
	v_bfe_u32 v69, v84, 16, 1
	s_delay_alu instid0(VALU_DEP_1)
	v_add3_u32 v69, v84, v69, 0x7fff
                                        ; implicit-def: $vgpr84
; %bb.46:
	s_and_not1_saveexec_b32 s3, s3
; %bb.47:
	v_and_b32_e32 v69, 0xffff, v84
	v_or_b32_e32 v71, 0x10000, v84
	s_delay_alu instid0(VALU_DEP_2) | instskip(NEXT) | instid1(VALU_DEP_2)
	v_cmp_eq_u32_e32 vcc_lo, 0, v69
	v_cndmask_b32_e32 v69, v71, v84, vcc_lo
; %bb.48:
	s_or_b32 exec_lo, exec_lo, s3
	v_and_b32_e32 v71, 0x7f800000, v72
	s_delay_alu instid0(VALU_DEP_1) | instskip(SKIP_1) | instid1(SALU_CYCLE_1)
	v_cmp_ne_u32_e32 vcc_lo, 0x7f800000, v71
                                        ; implicit-def: $vgpr71
	s_and_saveexec_b32 s3, vcc_lo
	s_xor_b32 s3, exec_lo, s3
; %bb.49:
	v_bfe_u32 v71, v72, 16, 1
	s_delay_alu instid0(VALU_DEP_1)
	v_add3_u32 v71, v72, v71, 0x7fff
                                        ; implicit-def: $vgpr72
; %bb.50:
	s_and_not1_saveexec_b32 s3, s3
; %bb.51:
	v_and_b32_e32 v71, 0xffff, v72
	v_or_b32_e32 v82, 0x10000, v72
	s_delay_alu instid0(VALU_DEP_2) | instskip(NEXT) | instid1(VALU_DEP_2)
	v_cmp_eq_u32_e32 vcc_lo, 0, v71
	v_cndmask_b32_e32 v71, v82, v72, vcc_lo
; %bb.52:
	s_or_b32 exec_lo, exec_lo, s3
	v_and_b32_e32 v72, 0x7f800000, v81
	s_delay_alu instid0(VALU_DEP_1) | instskip(SKIP_1) | instid1(SALU_CYCLE_1)
	v_cmp_ne_u32_e32 vcc_lo, 0x7f800000, v72
                                        ; implicit-def: $vgpr72
	s_and_saveexec_b32 s3, vcc_lo
	s_xor_b32 s3, exec_lo, s3
; %bb.53:
	v_bfe_u32 v72, v81, 16, 1
	s_delay_alu instid0(VALU_DEP_1)
	v_add3_u32 v72, v81, v72, 0x7fff
                                        ; implicit-def: $vgpr81
; %bb.54:
	s_and_not1_saveexec_b32 s3, s3
; %bb.55:
	v_and_b32_e32 v72, 0xffff, v81
	v_or_b32_e32 v82, 0x10000, v81
	s_delay_alu instid0(VALU_DEP_2) | instskip(NEXT) | instid1(VALU_DEP_2)
	v_cmp_eq_u32_e32 vcc_lo, 0, v72
	v_cndmask_b32_e32 v72, v82, v81, vcc_lo
; %bb.56:
	s_or_b32 exec_lo, exec_lo, s3
	v_and_b32_e32 v81, 0x7f800000, v83
	s_delay_alu instid0(VALU_DEP_1) | instskip(SKIP_1) | instid1(SALU_CYCLE_1)
	v_cmp_ne_u32_e32 vcc_lo, 0x7f800000, v81
                                        ; implicit-def: $vgpr81
	s_and_saveexec_b32 s3, vcc_lo
	s_xor_b32 s3, exec_lo, s3
; %bb.57:
	v_bfe_u32 v81, v83, 16, 1
	s_delay_alu instid0(VALU_DEP_1)
	v_add3_u32 v81, v83, v81, 0x7fff
                                        ; implicit-def: $vgpr83
; %bb.58:
	s_and_not1_saveexec_b32 s3, s3
; %bb.59:
	v_and_b32_e32 v81, 0xffff, v83
	v_or_b32_e32 v82, 0x10000, v83
	s_delay_alu instid0(VALU_DEP_2) | instskip(NEXT) | instid1(VALU_DEP_2)
	v_cmp_eq_u32_e32 vcc_lo, 0, v81
	v_cndmask_b32_e32 v81, v82, v83, vcc_lo
; %bb.60:
	s_or_b32 exec_lo, exec_lo, s3
	v_and_b32_e32 v82, 0x7f800000, v77
	s_delay_alu instid0(VALU_DEP_1) | instskip(SKIP_1) | instid1(SALU_CYCLE_1)
	v_cmp_ne_u32_e32 vcc_lo, 0x7f800000, v82
                                        ; implicit-def: $vgpr82
	s_and_saveexec_b32 s3, vcc_lo
	s_xor_b32 s3, exec_lo, s3
; %bb.61:
	v_bfe_u32 v82, v77, 16, 1
	s_delay_alu instid0(VALU_DEP_1)
	v_add3_u32 v82, v77, v82, 0x7fff
                                        ; implicit-def: $vgpr77
; %bb.62:
	s_and_not1_saveexec_b32 s3, s3
; %bb.63:
	v_and_b32_e32 v82, 0xffff, v77
	v_or_b32_e32 v83, 0x10000, v77
	s_delay_alu instid0(VALU_DEP_2) | instskip(NEXT) | instid1(VALU_DEP_2)
	v_cmp_eq_u32_e32 vcc_lo, 0, v82
	v_cndmask_b32_e32 v82, v83, v77, vcc_lo
; %bb.64:
	s_or_b32 exec_lo, exec_lo, s3
	v_and_b32_e32 v77, 0x7f800000, v78
	s_delay_alu instid0(VALU_DEP_1) | instskip(SKIP_1) | instid1(SALU_CYCLE_1)
	v_cmp_ne_u32_e32 vcc_lo, 0x7f800000, v77
                                        ; implicit-def: $vgpr77
	s_and_saveexec_b32 s3, vcc_lo
	s_xor_b32 s3, exec_lo, s3
; %bb.65:
	v_bfe_u32 v77, v78, 16, 1
	s_delay_alu instid0(VALU_DEP_1)
	v_add3_u32 v77, v78, v77, 0x7fff
                                        ; implicit-def: $vgpr78
; %bb.66:
	s_and_not1_saveexec_b32 s3, s3
; %bb.67:
	v_and_b32_e32 v77, 0xffff, v78
	v_or_b32_e32 v83, 0x10000, v78
	s_delay_alu instid0(VALU_DEP_2) | instskip(NEXT) | instid1(VALU_DEP_2)
	v_cmp_eq_u32_e32 vcc_lo, 0, v77
	v_cndmask_b32_e32 v77, v83, v78, vcc_lo
; %bb.68:
	s_or_b32 exec_lo, exec_lo, s3
	v_and_b32_e32 v78, 0x7f800000, v79
	s_delay_alu instid0(VALU_DEP_1) | instskip(SKIP_1) | instid1(SALU_CYCLE_1)
	v_cmp_ne_u32_e32 vcc_lo, 0x7f800000, v78
                                        ; implicit-def: $vgpr78
	s_and_saveexec_b32 s3, vcc_lo
	s_xor_b32 s3, exec_lo, s3
; %bb.69:
	v_bfe_u32 v78, v79, 16, 1
	s_delay_alu instid0(VALU_DEP_1)
	v_add3_u32 v78, v79, v78, 0x7fff
                                        ; implicit-def: $vgpr79
; %bb.70:
	s_and_not1_saveexec_b32 s3, s3
; %bb.71:
	v_and_b32_e32 v78, 0xffff, v79
	v_or_b32_e32 v83, 0x10000, v79
	s_delay_alu instid0(VALU_DEP_2) | instskip(NEXT) | instid1(VALU_DEP_2)
	v_cmp_eq_u32_e32 vcc_lo, 0, v78
	v_cndmask_b32_e32 v78, v83, v79, vcc_lo
; %bb.72:
	s_or_b32 exec_lo, exec_lo, s3
	v_and_b32_e32 v79, 0x7f800000, v70
	s_delay_alu instid0(VALU_DEP_1) | instskip(SKIP_1) | instid1(SALU_CYCLE_1)
	v_cmp_ne_u32_e32 vcc_lo, 0x7f800000, v79
                                        ; implicit-def: $vgpr79
	s_and_saveexec_b32 s3, vcc_lo
	s_xor_b32 s3, exec_lo, s3
; %bb.73:
	v_bfe_u32 v79, v70, 16, 1
	s_delay_alu instid0(VALU_DEP_1)
	v_add3_u32 v79, v70, v79, 0x7fff
                                        ; implicit-def: $vgpr70
; %bb.74:
	s_and_not1_saveexec_b32 s3, s3
; %bb.75:
	v_and_b32_e32 v79, 0xffff, v70
	v_or_b32_e32 v83, 0x10000, v70
	s_delay_alu instid0(VALU_DEP_2) | instskip(NEXT) | instid1(VALU_DEP_2)
	v_cmp_eq_u32_e32 vcc_lo, 0, v79
	v_cndmask_b32_e32 v79, v83, v70, vcc_lo
; %bb.76:
	s_or_b32 exec_lo, exec_lo, s3
	s_delay_alu instid0(VALU_DEP_1)
	v_perm_b32 v86, v79, v78, 0x7060302
	v_perm_b32 v85, v77, v82, 0x7060302
	;; [unrolled: 1-line block ×4, first 2 shown]
	v_lshl_or_b32 v82, v66, 11, v80
	ds_store_b128 v76, v[83:86] offset:1024
	s_waitcnt lgkmcnt(0)
	s_barrier
	buffer_gl0_inv
	ds_load_b128 v[69:72], v82
	ds_load_b128 v[83:86], v82 offset:16
	s_waitcnt lgkmcnt(1)
	v_lshrrev_b32_e32 v66, 16, v69
	s_waitcnt lgkmcnt(0)
	v_lshrrev_b32_e32 v91, 16, v83
	v_lshlrev_b32_e32 v78, 2, v74
	v_lshrrev_b32_e32 v95, 16, v70
	v_lshrrev_b32_e32 v98, 16, v84
	v_lshrrev_b32_e32 v96, 16, v71
	v_lshrrev_b32_e32 v99, 16, v85
	v_cmp_eq_u32_e32 vcc_lo, 1, v78
	v_lshrrev_b32_e32 v97, 16, v72
	v_lshrrev_b32_e32 v100, 16, v86
	v_cndmask_b32_e32 v87, v83, v91, vcc_lo
	v_or_b32_e32 v79, 1, v78
	v_cndmask_b32_e32 v81, v69, v66, vcc_lo
	v_cmp_eq_u32_e64 s4, 2, v78
	v_cmp_eq_u32_e64 s7, 3, v78
	;; [unrolled: 1-line block ×5, first 2 shown]
	v_cndmask_b32_e64 v81, v81, v70, s4
	v_cndmask_b32_e64 v87, v87, v84, s4
	v_cmp_eq_u32_e64 s8, 3, v79
	v_cndmask_b32_e64 v88, v69, v66, s3
	v_or_b32_e32 v77, 2, v78
	v_cndmask_b32_e64 v81, v81, v95, s7
	v_cndmask_b32_e64 v87, v87, v98, s7
	;; [unrolled: 1-line block ×4, first 2 shown]
	v_cmp_eq_u32_e64 s10, 5, v78
	v_cndmask_b32_e64 v81, v81, v71, s9
	v_cndmask_b32_e64 v87, v87, v85, s9
	v_cmp_eq_u32_e64 s11, 4, v79
	v_cndmask_b32_e64 v88, v88, v95, s8
	v_cmp_eq_u32_e64 s5, 1, v77
	v_cndmask_b32_e64 v89, v89, v84, s6
	v_cndmask_b32_e64 v81, v81, v96, s10
	v_cmp_eq_u32_e64 s12, 6, v78
	v_cndmask_b32_e64 v88, v88, v71, s11
	;; [unrolled: 3-line block ×3, first 2 shown]
	v_cndmask_b32_e64 v89, v89, v98, s8
	v_cndmask_b32_e64 v81, v81, v72, s12
	v_cmp_eq_u32_e64 s15, 7, v78
	v_cndmask_b32_e64 v88, v88, v96, s13
	v_cndmask_b32_e64 v87, v87, v86, s12
	v_cmp_eq_u32_e64 s16, 6, v79
	v_cmp_eq_u32_e64 s17, 2, v77
	v_cndmask_b32_e64 v89, v89, v85, s11
	v_cndmask_b32_e64 v101, v81, v97, s15
	;; [unrolled: 1-line block ×6, first 2 shown]
	v_cmp_eq_u32_e64 s18, 7, v79
	v_cmp_eq_u32_e64 s19, 3, v77
	;; [unrolled: 1-line block ×4, first 2 shown]
	v_cndmask_b32_e64 v87, v87, v84, s17
	v_cndmask_b32_e64 v103, v88, v97, s18
	;; [unrolled: 1-line block ×4, first 2 shown]
	v_or_b32_e32 v81, 3, v78
	v_cndmask_b32_e64 v93, v87, v98, s19
	v_cmp_eq_u32_e64 s24, 6, v77
	v_cndmask_b32_e64 v104, v88, v86, s16
	v_cndmask_b32_e64 v92, v89, v71, s20
	v_cmp_eq_u32_e64 s21, 1, v81
	ds_load_b128 v[87:90], v82 offset:1024
	v_cmp_eq_u32_e64 s23, 2, v81
	v_cmp_eq_u32_e64 s25, 3, v81
	v_cndmask_b32_e64 v105, v92, v96, s22
	v_cndmask_b32_e64 v66, v69, v66, s21
	;; [unrolled: 1-line block ×4, first 2 shown]
	ds_load_b128 v[91:94], v82 offset:1040
	v_cmp_eq_u32_e64 s26, 4, v81
	v_cndmask_b32_e64 v66, v66, v70, s23
	v_cmp_eq_u32_e64 s27, 7, v77
	v_cndmask_b32_e64 v70, v83, v84, s23
	v_cndmask_b32_e64 v84, v105, v72, s24
	v_cmp_eq_u32_e64 s28, 5, v81
	v_cndmask_b32_e64 v66, v66, v95, s25
	v_cmp_eq_u32_e64 s29, 6, v81
	v_cndmask_b32_e64 v70, v70, v98, s25
	v_cndmask_b32_e64 v69, v69, v99, s22
	;; [unrolled: 1-line block ×4, first 2 shown]
	s_waitcnt lgkmcnt(1)
	v_lshrrev_b32_e32 v95, 16, v87
	v_cndmask_b32_e64 v70, v70, v85, s26
	v_cndmask_b32_e64 v71, v84, v97, s27
	;; [unrolled: 1-line block ×4, first 2 shown]
	v_cndmask_b32_e32 v84, v87, v95, vcc_lo
	v_cndmask_b32_e64 v70, v70, v99, s28
	s_waitcnt lgkmcnt(0)
	v_lshrrev_b32_e32 v85, 16, v91
	v_lshrrev_b32_e32 v96, 16, v88
	v_cndmask_b32_e64 v98, v87, v95, s3
	v_cndmask_b32_e64 v84, v84, v88, s4
	;; [unrolled: 1-line block ×3, first 2 shown]
	v_cndmask_b32_e32 v99, v91, v85, vcc_lo
	v_cmp_eq_u32_e32 vcc_lo, 7, v81
	v_cndmask_b32_e64 v66, v66, v72, s29
	v_cndmask_b32_e64 v72, v84, v96, s7
	;; [unrolled: 1-line block ×3, first 2 shown]
	v_lshrrev_b32_e32 v98, 16, v92
	v_cndmask_b32_e32 v70, v70, v100, vcc_lo
	v_cndmask_b32_e64 v86, v99, v92, s4
	v_cndmask_b32_e64 v69, v69, v100, s27
	v_lshrrev_b32_e32 v100, 16, v93
	v_cndmask_b32_e64 v72, v72, v89, s9
	v_lshrrev_b32_e32 v99, 16, v89
	v_cndmask_b32_e64 v86, v86, v98, s7
	v_perm_b32 v71, v69, v71, 0x5040100
	v_cndmask_b32_e64 v84, v84, v96, s8
	s_delay_alu instid0(VALU_DEP_3) | instskip(NEXT) | instid1(VALU_DEP_2)
	v_cndmask_b32_e64 v86, v86, v93, s9
	v_cndmask_b32_e64 v84, v84, v89, s11
	s_delay_alu instid0(VALU_DEP_2) | instskip(NEXT) | instid1(VALU_DEP_1)
	v_cndmask_b32_e64 v86, v86, v100, s10
	v_cndmask_b32_e64 v69, v86, v94, s12
	;; [unrolled: 1-line block ×5, first 2 shown]
	s_delay_alu instid0(VALU_DEP_3) | instskip(NEXT) | instid1(VALU_DEP_3)
	v_cndmask_b32_e64 v86, v86, v88, s17
	v_cndmask_b32_e64 v87, v87, v88, s23
	s_delay_alu instid0(VALU_DEP_3) | instskip(NEXT) | instid1(VALU_DEP_3)
	v_cndmask_b32_e64 v88, v95, v92, s23
	v_cndmask_b32_e64 v86, v86, v96, s19
	;; [unrolled: 3-line block ×7, first 2 shown]
	s_delay_alu instid0(VALU_DEP_3) | instskip(SKIP_2) | instid1(VALU_DEP_2)
	v_cndmask_b32_e64 v88, v88, v94, s29
	v_cndmask_b32_e32 v66, v66, v97, vcc_lo
	v_cndmask_b32_e64 v97, v72, v99, s10
	v_perm_b32 v72, v70, v66, 0x5040100
	v_perm_b32 v70, v83, v103, 0x5040100
	v_cndmask_b32_e64 v103, v91, v85, s5
	v_cndmask_b32_e64 v85, v91, v85, s3
	;; [unrolled: 1-line block ×4, first 2 shown]
	v_lshrrev_b32_e32 v97, 16, v90
	v_cndmask_b32_e64 v91, v103, v92, s17
	v_cndmask_b32_e64 v85, v85, v92, s6
	;; [unrolled: 1-line block ×3, first 2 shown]
	s_mov_b32 s3, exec_lo
	v_cndmask_b32_e64 v83, v84, v97, s15
	v_cndmask_b32_e64 v91, v91, v98, s19
	;; [unrolled: 1-line block ×3, first 2 shown]
	v_lshrrev_b32_e32 v84, 16, v94
	v_cndmask_b32_e64 v66, v66, v97, s18
	v_cndmask_b32_e64 v90, v86, v97, s27
	;; [unrolled: 1-line block ×4, first 2 shown]
	v_dual_cndmask_b32 v86, v87, v97 :: v_dual_cndmask_b32 v87, v88, v84
	v_cndmask_b32_e64 v91, v69, v84, s15
	s_delay_alu instid0(VALU_DEP_4) | instskip(NEXT) | instid1(VALU_DEP_4)
	v_cndmask_b32_e64 v89, v89, v100, s22
	v_cndmask_b32_e64 v85, v85, v100, s13
	v_perm_b32 v69, v102, v101, 0x5040100
	v_perm_b32 v86, v87, v86, 0x5040100
	;; [unrolled: 1-line block ×3, first 2 shown]
	v_cndmask_b32_e64 v89, v89, v94, s24
	v_cndmask_b32_e64 v85, v85, v94, s16
	s_mul_i32 s8, s35, 10
	s_delay_alu instid0(VALU_DEP_2) | instskip(NEXT) | instid1(VALU_DEP_2)
	v_cndmask_b32_e64 v88, v89, v84, s27
	v_cndmask_b32_e64 v89, v85, v84, s18
	s_delay_alu instid0(VALU_DEP_2) | instskip(NEXT) | instid1(VALU_DEP_2)
	v_perm_b32 v85, v88, v90, 0x5040100
	v_perm_b32 v84, v89, v66, 0x5040100
	ds_store_b128 v76, v[69:72]
	ds_store_b128 v76, v[83:86] offset:1024
	v_cmpx_gt_u32_e32 10, v0
	s_cbranch_execz .LBB1767_78
; %bb.77:
	s_mul_i32 s4, s8, s30
	s_delay_alu instid0(SALU_CYCLE_1) | instskip(SKIP_1) | instid1(VALU_DEP_1)
	v_add3_u32 v69, s4, s31, v65
	s_load_b128 s[4:7], s[0:1], 0x58
	v_mad_u64_u32 v[65:66], null, v69, s34, s[14:15]
	s_delay_alu instid0(VALU_DEP_1) | instskip(NEXT) | instid1(VALU_DEP_1)
	v_ashrrev_i32_e32 v66, 31, v65
	v_lshlrev_b64 v[65:66], 2, v[65:66]
	s_waitcnt lgkmcnt(0)
	s_delay_alu instid0(VALU_DEP_1) | instskip(NEXT) | instid1(VALU_DEP_2)
	v_add_co_u32 v69, vcc_lo, s6, v65
	v_add_co_ci_u32_e32 v70, vcc_lo, s7, v66, vcc_lo
	v_add_co_u32 v65, vcc_lo, s4, v65
	v_add_co_ci_u32_e32 v66, vcc_lo, s5, v66, vcc_lo
	global_store_b32 v[69:70], v67, off
	global_store_b32 v[65:66], v68, off
.LBB1767_78:
	s_or_b32 exec_lo, exec_lo, s3
	s_waitcnt lgkmcnt(0)
	s_waitcnt_vscnt null, 0x0
	s_barrier
	buffer_gl0_inv
	ds_load_b128 v[83:86], v80
	ds_load_b128 v[87:90], v80 offset:16
	ds_load_b128 v[95:98], v80 offset:2064
	;; [unrolled: 1-line block ×3, first 2 shown]
	v_mov_b32_e32 v65, 0
	ds_load_b128 v[103:106], v80 offset:4112
	ds_load_b128 v[99:102], v80 offset:4096
	;; [unrolled: 1-line block ×4, first 2 shown]
	v_mov_b32_e32 v66, v65
	v_mov_b32_e32 v67, v65
	;; [unrolled: 1-line block ×7, first 2 shown]
	s_waitcnt lgkmcnt(6)
	s_delay_alu instid0(VALU_DEP_1)
	v_wmma_f32_16x16x16_bf16 v[65:72], v[57:64], v[83:90], v[65:72]
	ds_load_b128 v[61:64], v80 offset:8208
	ds_load_b128 v[57:60], v80 offset:8192
	s_waitcnt lgkmcnt(6)
	v_wmma_f32_16x16x16_bf16 v[65:72], v[41:48], v[91:98], v[65:72]
	ds_load_b128 v[45:48], v80 offset:10256
	ds_load_b128 v[41:44], v80 offset:10240
	s_waitcnt lgkmcnt(6)
	;; [unrolled: 4-line block ×4, first 2 shown]
	v_wmma_f32_16x16x16_bf16 v[65:72], v[1:8], v[57:64], v[65:72]
	s_waitcnt lgkmcnt(4)
	s_delay_alu instid0(VALU_DEP_1) | instskip(SKIP_1) | instid1(VALU_DEP_1)
	v_wmma_f32_16x16x16_bf16 v[65:72], v[9:16], v[41:48], v[65:72]
	s_waitcnt lgkmcnt(2)
	v_wmma_f32_16x16x16_bf16 v[65:72], v[17:24], v[33:40], v[65:72]
	s_waitcnt lgkmcnt(0)
	s_delay_alu instid0(VALU_DEP_1) | instskip(NEXT) | instid1(VALU_DEP_1)
	v_wmma_f32_16x16x16_bf16 v[65:72], v[49:56], v[25:32], v[65:72]
	v_and_b32_e32 v1, 0x7f800000, v65
	s_delay_alu instid0(VALU_DEP_1) | instskip(SKIP_1) | instid1(SALU_CYCLE_1)
	v_cmp_ne_u32_e32 vcc_lo, 0x7f800000, v1
                                        ; implicit-def: $vgpr1
	s_and_saveexec_b32 s3, vcc_lo
	s_xor_b32 s3, exec_lo, s3
; %bb.79:
	v_bfe_u32 v1, v65, 16, 1
	s_delay_alu instid0(VALU_DEP_1)
	v_add3_u32 v1, v65, v1, 0x7fff
; %bb.80:
	s_and_not1_saveexec_b32 s3, s3
; %bb.81:
	v_and_b32_e32 v1, 0xffff, v65
	v_or_b32_e32 v2, 0x10000, v65
	s_delay_alu instid0(VALU_DEP_2) | instskip(NEXT) | instid1(VALU_DEP_2)
	v_cmp_eq_u32_e32 vcc_lo, 0, v1
	v_cndmask_b32_e32 v1, v2, v65, vcc_lo
; %bb.82:
	s_or_b32 exec_lo, exec_lo, s3
	v_and_b32_e32 v2, 0x7f800000, v66
	s_delay_alu instid0(VALU_DEP_1) | instskip(SKIP_1) | instid1(SALU_CYCLE_1)
	v_cmp_ne_u32_e32 vcc_lo, 0x7f800000, v2
                                        ; implicit-def: $vgpr2
	s_and_saveexec_b32 s3, vcc_lo
	s_xor_b32 s3, exec_lo, s3
; %bb.83:
	v_bfe_u32 v2, v66, 16, 1
	s_delay_alu instid0(VALU_DEP_1)
	v_add3_u32 v2, v66, v2, 0x7fff
; %bb.84:
	s_and_not1_saveexec_b32 s3, s3
; %bb.85:
	v_and_b32_e32 v2, 0xffff, v66
	v_or_b32_e32 v3, 0x10000, v66
	s_delay_alu instid0(VALU_DEP_2) | instskip(NEXT) | instid1(VALU_DEP_2)
	v_cmp_eq_u32_e32 vcc_lo, 0, v2
	v_cndmask_b32_e32 v2, v3, v66, vcc_lo
; %bb.86:
	s_or_b32 exec_lo, exec_lo, s3
	v_and_b32_e32 v3, 0x7f800000, v67
	s_delay_alu instid0(VALU_DEP_1) | instskip(SKIP_1) | instid1(SALU_CYCLE_1)
	v_cmp_ne_u32_e32 vcc_lo, 0x7f800000, v3
                                        ; implicit-def: $vgpr3
	s_and_saveexec_b32 s3, vcc_lo
	s_xor_b32 s3, exec_lo, s3
; %bb.87:
	v_bfe_u32 v3, v67, 16, 1
	s_delay_alu instid0(VALU_DEP_1)
	v_add3_u32 v3, v67, v3, 0x7fff
; %bb.88:
	s_and_not1_saveexec_b32 s3, s3
; %bb.89:
	v_and_b32_e32 v3, 0xffff, v67
	v_or_b32_e32 v4, 0x10000, v67
	s_delay_alu instid0(VALU_DEP_2) | instskip(NEXT) | instid1(VALU_DEP_2)
	v_cmp_eq_u32_e32 vcc_lo, 0, v3
	v_cndmask_b32_e32 v3, v4, v67, vcc_lo
; %bb.90:
	s_or_b32 exec_lo, exec_lo, s3
	v_and_b32_e32 v4, 0x7f800000, v68
	s_delay_alu instid0(VALU_DEP_1) | instskip(SKIP_1) | instid1(SALU_CYCLE_1)
	v_cmp_ne_u32_e32 vcc_lo, 0x7f800000, v4
                                        ; implicit-def: $vgpr4
	s_and_saveexec_b32 s3, vcc_lo
	s_xor_b32 s3, exec_lo, s3
; %bb.91:
	v_bfe_u32 v4, v68, 16, 1
	s_delay_alu instid0(VALU_DEP_1)
	v_add3_u32 v4, v68, v4, 0x7fff
; %bb.92:
	s_and_not1_saveexec_b32 s3, s3
; %bb.93:
	v_and_b32_e32 v4, 0xffff, v68
	v_or_b32_e32 v5, 0x10000, v68
	s_delay_alu instid0(VALU_DEP_2) | instskip(NEXT) | instid1(VALU_DEP_2)
	v_cmp_eq_u32_e32 vcc_lo, 0, v4
	v_cndmask_b32_e32 v4, v5, v68, vcc_lo
; %bb.94:
	s_or_b32 exec_lo, exec_lo, s3
	v_and_b32_e32 v5, 0x7f800000, v69
	s_delay_alu instid0(VALU_DEP_1) | instskip(SKIP_1) | instid1(SALU_CYCLE_1)
	v_cmp_ne_u32_e32 vcc_lo, 0x7f800000, v5
                                        ; implicit-def: $vgpr5
	s_and_saveexec_b32 s3, vcc_lo
	s_xor_b32 s3, exec_lo, s3
; %bb.95:
	v_bfe_u32 v5, v69, 16, 1
	s_delay_alu instid0(VALU_DEP_1)
	v_add3_u32 v5, v69, v5, 0x7fff
; %bb.96:
	s_and_not1_saveexec_b32 s3, s3
; %bb.97:
	v_and_b32_e32 v5, 0xffff, v69
	v_or_b32_e32 v6, 0x10000, v69
	s_delay_alu instid0(VALU_DEP_2) | instskip(NEXT) | instid1(VALU_DEP_2)
	v_cmp_eq_u32_e32 vcc_lo, 0, v5
	v_cndmask_b32_e32 v5, v6, v69, vcc_lo
; %bb.98:
	s_or_b32 exec_lo, exec_lo, s3
	v_and_b32_e32 v6, 0x7f800000, v70
	s_delay_alu instid0(VALU_DEP_1) | instskip(SKIP_1) | instid1(SALU_CYCLE_1)
	v_cmp_ne_u32_e32 vcc_lo, 0x7f800000, v6
                                        ; implicit-def: $vgpr6
	s_and_saveexec_b32 s3, vcc_lo
	s_xor_b32 s3, exec_lo, s3
; %bb.99:
	v_bfe_u32 v6, v70, 16, 1
	s_delay_alu instid0(VALU_DEP_1)
	v_add3_u32 v6, v70, v6, 0x7fff
; %bb.100:
	s_and_not1_saveexec_b32 s3, s3
; %bb.101:
	v_and_b32_e32 v6, 0xffff, v70
	v_or_b32_e32 v7, 0x10000, v70
	s_delay_alu instid0(VALU_DEP_2) | instskip(NEXT) | instid1(VALU_DEP_2)
	v_cmp_eq_u32_e32 vcc_lo, 0, v6
	v_cndmask_b32_e32 v6, v7, v70, vcc_lo
; %bb.102:
	s_or_b32 exec_lo, exec_lo, s3
	v_and_b32_e32 v7, 0x7f800000, v71
	s_delay_alu instid0(VALU_DEP_1) | instskip(SKIP_1) | instid1(SALU_CYCLE_1)
	v_cmp_ne_u32_e32 vcc_lo, 0x7f800000, v7
                                        ; implicit-def: $vgpr7
	s_and_saveexec_b32 s3, vcc_lo
	s_xor_b32 s3, exec_lo, s3
; %bb.103:
	v_bfe_u32 v7, v71, 16, 1
	s_delay_alu instid0(VALU_DEP_1)
	v_add3_u32 v7, v71, v7, 0x7fff
; %bb.104:
	s_and_not1_saveexec_b32 s3, s3
; %bb.105:
	v_and_b32_e32 v7, 0xffff, v71
	v_or_b32_e32 v8, 0x10000, v71
	s_delay_alu instid0(VALU_DEP_2) | instskip(NEXT) | instid1(VALU_DEP_2)
	v_cmp_eq_u32_e32 vcc_lo, 0, v7
	v_cndmask_b32_e32 v7, v8, v71, vcc_lo
; %bb.106:
	s_or_b32 exec_lo, exec_lo, s3
	v_and_b32_e32 v8, 0x7f800000, v72
	s_delay_alu instid0(VALU_DEP_1) | instskip(SKIP_1) | instid1(SALU_CYCLE_1)
	v_cmp_ne_u32_e32 vcc_lo, 0x7f800000, v8
                                        ; implicit-def: $vgpr8
	s_and_saveexec_b32 s3, vcc_lo
	s_xor_b32 s3, exec_lo, s3
; %bb.107:
	v_bfe_u32 v8, v72, 16, 1
	s_delay_alu instid0(VALU_DEP_1)
	v_add3_u32 v8, v72, v8, 0x7fff
                                        ; implicit-def: $vgpr65_vgpr66_vgpr67_vgpr68_vgpr69_vgpr70_vgpr71_vgpr72
; %bb.108:
	s_and_not1_saveexec_b32 s3, s3
; %bb.109:
	v_and_b32_e32 v8, 0xffff, v72
	v_or_b32_e32 v9, 0x10000, v72
	s_delay_alu instid0(VALU_DEP_2) | instskip(NEXT) | instid1(VALU_DEP_2)
	v_cmp_eq_u32_e32 vcc_lo, 0, v8
	v_cndmask_b32_e32 v8, v9, v72, vcc_lo
; %bb.110:
	s_or_b32 exec_lo, exec_lo, s3
	s_delay_alu instid0(VALU_DEP_1)
	v_perm_b32 v7, v8, v7, 0x7060302
	v_perm_b32 v6, v6, v5, 0x7060302
	;; [unrolled: 1-line block ×4, first 2 shown]
	s_barrier
	buffer_gl0_inv
	v_cmp_eq_u32_e32 vcc_lo, 1, v78
	ds_store_b128 v76, v[4:7]
	s_waitcnt lgkmcnt(0)
	s_barrier
	buffer_gl0_inv
	ds_load_b128 v[1:4], v82
	ds_load_b128 v[5:8], v82 offset:16
	v_cmp_eq_u32_e64 s3, 1, v79
	v_cmp_eq_u32_e64 s4, 2, v78
	v_cmp_eq_u32_e64 s5, 3, v78
	v_cmp_eq_u32_e64 s7, 2, v77
	v_cmp_eq_u32_e64 s6, 7, v79
	s_waitcnt lgkmcnt(1)
	v_lshrrev_b32_e32 v9, 16, v1
	s_waitcnt lgkmcnt(0)
	v_lshrrev_b32_e32 v13, 16, v5
	v_lshrrev_b32_e32 v10, 16, v2
	;; [unrolled: 1-line block ×4, first 2 shown]
	v_cndmask_b32_e64 v19, v1, v9, s3
	v_cndmask_b32_e32 v18, v5, v13, vcc_lo
	v_cndmask_b32_e64 v20, v5, v13, s3
	v_cndmask_b32_e32 v17, v1, v9, vcc_lo
	v_cmp_eq_u32_e32 vcc_lo, 2, v79
	v_lshrrev_b32_e32 v15, 16, v7
	v_cmp_eq_u32_e64 s3, 1, v77
	v_lshrrev_b32_e32 v12, 16, v4
	v_lshrrev_b32_e32 v16, 16, v8
	v_cndmask_b32_e32 v20, v20, v6, vcc_lo
	v_cndmask_b32_e64 v17, v17, v2, s4
	v_cndmask_b32_e32 v19, v19, v2, vcc_lo
	v_cndmask_b32_e64 v18, v18, v6, s4
	v_cmp_eq_u32_e32 vcc_lo, 4, v78
	v_cmp_eq_u32_e64 s4, 3, v79
	v_cndmask_b32_e64 v17, v17, v10, s5
	v_cndmask_b32_e64 v21, v1, v9, s3
	;; [unrolled: 1-line block ×5, first 2 shown]
	v_cndmask_b32_e32 v17, v17, v3, vcc_lo
	v_cndmask_b32_e64 v20, v20, v14, s4
	v_cndmask_b32_e32 v18, v18, v7, vcc_lo
	v_cmp_eq_u32_e32 vcc_lo, 4, v79
	v_cmp_eq_u32_e64 s4, 5, v79
	v_cmp_eq_u32_e64 s3, 2, v81
	v_cndmask_b32_e64 v21, v21, v2, s7
	v_cmp_eq_u32_e64 s5, 5, v78
	v_cndmask_b32_e32 v19, v19, v3, vcc_lo
	v_cndmask_b32_e32 v20, v20, v7, vcc_lo
	v_cmp_eq_u32_e32 vcc_lo, 6, v79
	s_delay_alu instid0(VALU_DEP_4) | instskip(NEXT) | instid1(VALU_DEP_4)
	v_cndmask_b32_e64 v17, v17, v11, s5
	v_cndmask_b32_e64 v19, v19, v11, s4
	s_delay_alu instid0(VALU_DEP_4) | instskip(SKIP_1) | instid1(VALU_DEP_3)
	v_cndmask_b32_e64 v20, v20, v15, s4
	v_cmp_eq_u32_e64 s4, 1, v81
	v_cndmask_b32_e32 v19, v19, v4, vcc_lo
	v_cndmask_b32_e64 v18, v18, v15, s5
	s_delay_alu instid0(VALU_DEP_3)
	v_cndmask_b32_e64 v1, v1, v9, s4
	v_cndmask_b32_e64 v5, v5, v13, s4
	v_cmp_eq_u32_e64 s4, 3, v77
	v_cndmask_b32_e64 v13, v22, v6, s7
	v_cmp_eq_u32_e64 s7, 3, v81
	v_cndmask_b32_e64 v1, v1, v2, s3
	v_cndmask_b32_e64 v2, v5, v6, s3
	;; [unrolled: 1-line block ×3, first 2 shown]
	v_cmp_eq_u32_e64 s3, 4, v77
	v_cndmask_b32_e64 v6, v13, v14, s4
	v_cndmask_b32_e64 v1, v1, v10, s7
	v_cmp_eq_u32_e64 s4, 4, v81
	v_cndmask_b32_e64 v2, v2, v14, s7
	v_cndmask_b32_e64 v5, v9, v3, s3
	;; [unrolled: 3-line block ×3, first 2 shown]
	v_cndmask_b32_e64 v2, v2, v7, s4
	v_cmp_eq_u32_e64 s3, 5, v81
	v_cmp_eq_u32_e64 s5, 6, v78
	v_cndmask_b32_e64 v5, v5, v11, s7
	v_cmp_eq_u32_e64 s4, 6, v77
	v_cndmask_b32_e64 v3, v6, v15, s7
	v_cndmask_b32_e64 v1, v1, v11, s3
	v_cmp_eq_u32_e64 s7, 6, v81
	v_cndmask_b32_e64 v2, v2, v15, s3
	v_cndmask_b32_e64 v17, v17, v4, s5
	v_cndmask_b32_e64 v18, v18, v8, s5
	v_cmp_eq_u32_e64 s5, 7, v78
	v_cndmask_b32_e64 v5, v5, v4, s4
	;; [unrolled: 4-line block ×3, first 2 shown]
	v_cmp_eq_u32_e64 s4, 7, v77
	v_cndmask_b32_e32 v4, v20, v8, vcc_lo
	v_cndmask_b32_e64 v17, v17, v12, s5
	v_cndmask_b32_e64 v19, v19, v12, s6
	;; [unrolled: 1-line block ×8, first 2 shown]
	v_cmp_gt_u32_e32 vcc_lo, 32, v0
	v_perm_b32 v4, v2, v1, 0x5040100
	v_perm_b32 v3, v3, v5, 0x5040100
	;; [unrolled: 1-line block ×4, first 2 shown]
	s_and_b32 s2, vcc_lo, s2
	ds_store_b128 v76, v[1:4]
	s_waitcnt lgkmcnt(0)
	s_barrier
	buffer_gl0_inv
	s_and_saveexec_b32 s3, s2
	s_cbranch_execz .LBB1767_2
; %bb.111:
	s_load_b64 s[0:1], s[0:1], 0x68
	s_lshl_b32 s4, s34, 6
	v_or_b32_e32 v2, s31, v74
	s_mul_i32 s2, s4, s30
	v_lshlrev_b32_e32 v0, 10, v0
	s_mul_i32 s2, s2, s8
	v_lshlrev_b32_e32 v1, 4, v75
	s_ashr_i32 s3, s2, 31
	v_mul_lo_u32 v20, v2, s4
	s_lshl_b64 s[2:3], s[2:3], 1
	v_lshlrev_b32_e32 v3, 6, v74
	v_and_b32_e32 v0, 0x3800, v0
	s_delay_alu instid0(VALU_DEP_1) | instskip(NEXT) | instid1(VALU_DEP_4)
	v_or3_b32 v16, v0, v1, v3
	v_ashrrev_i32_e32 v21, 31, v20
	ds_load_b128 v[0:3], v16
	ds_load_b128 v[4:7], v16 offset:128
	s_waitcnt lgkmcnt(0)
	s_add_u32 s2, s0, s2
	s_addc_u32 s3, s1, s3
	s_lshl_b32 s0, s14, 6
	ds_load_b128 v[8:11], v16 offset:256
	ds_load_b128 v[12:15], v16 offset:384
	ds_load_b128 v[16:19], v16 offset:512
	s_ashr_i32 s1, s0, 31
	s_delay_alu instid0(SALU_CYCLE_1) | instskip(NEXT) | instid1(SALU_CYCLE_1)
	s_lshl_b64 s[0:1], s[0:1], 1
	s_add_u32 s0, s2, s0
	s_addc_u32 s1, s3, s1
	s_lshl_b32 s2, s34, 7
	v_add_co_u32 v30, s0, s0, v73
	v_add_nc_u32_e32 v22, s2, v20
	v_lshlrev_b64 v[20:21], 1, v[20:21]
	v_add_co_ci_u32_e64 v31, null, s1, 0, s0
	s_delay_alu instid0(VALU_DEP_3) | instskip(SKIP_1) | instid1(VALU_DEP_4)
	v_add_nc_u32_e32 v24, s2, v22
	v_ashrrev_i32_e32 v23, 31, v22
	v_add_co_u32 v20, vcc_lo, v30, v20
	s_delay_alu instid0(VALU_DEP_4) | instskip(NEXT) | instid1(VALU_DEP_4)
	v_add_co_ci_u32_e32 v21, vcc_lo, v31, v21, vcc_lo
	v_add_nc_u32_e32 v26, s2, v24
	v_ashrrev_i32_e32 v25, 31, v24
	v_lshlrev_b64 v[22:23], 1, v[22:23]
	s_delay_alu instid0(VALU_DEP_3) | instskip(SKIP_1) | instid1(VALU_DEP_4)
	v_add_nc_u32_e32 v28, s2, v26
	v_ashrrev_i32_e32 v27, 31, v26
	v_lshlrev_b64 v[24:25], 1, v[24:25]
	s_delay_alu instid0(VALU_DEP_4) | instskip(NEXT) | instid1(VALU_DEP_4)
	v_add_co_u32 v22, vcc_lo, v30, v22
	v_ashrrev_i32_e32 v29, 31, v28
	s_delay_alu instid0(VALU_DEP_4) | instskip(SKIP_2) | instid1(VALU_DEP_4)
	v_lshlrev_b64 v[26:27], 1, v[26:27]
	v_add_co_ci_u32_e32 v23, vcc_lo, v31, v23, vcc_lo
	v_add_co_u32 v24, vcc_lo, v30, v24
	v_lshlrev_b64 v[28:29], 1, v[28:29]
	v_add_co_ci_u32_e32 v25, vcc_lo, v31, v25, vcc_lo
	v_add_co_u32 v26, vcc_lo, v30, v26
	v_add_co_ci_u32_e32 v27, vcc_lo, v31, v27, vcc_lo
	s_delay_alu instid0(VALU_DEP_4)
	v_add_co_u32 v28, vcc_lo, v30, v28
	v_add_co_ci_u32_e32 v29, vcc_lo, v31, v29, vcc_lo
	s_clause 0x1
	global_store_b128 v[20:21], v[0:3], off
	global_store_b128 v[22:23], v[4:7], off
	s_waitcnt lgkmcnt(2)
	global_store_b128 v[24:25], v[8:11], off
	s_waitcnt lgkmcnt(1)
	global_store_b128 v[26:27], v[12:15], off
	s_waitcnt lgkmcnt(0)
	global_store_b128 v[28:29], v[16:19], off
	s_nop 0
	s_sendmsg sendmsg(MSG_DEALLOC_VGPRS)
	s_endpgm
	.section	.rodata,"a",@progbits
	.p2align	6, 0x0
	.amdhsa_kernel _Z39paged_attention_ll4mi_QKV_mfma16_kernelI14__hip_bfloat16hLN4vllm18Fp8KVCacheDataTypeE1ES0_Li32ELi64ELi256ELb1ELi10EL8MFMAType0EEvPKT_PKT0_S9_ifPKiSB_SB_iPKfiiiPfSE_PS4_PT2_iSD_SD_
		.amdhsa_group_segment_fixed_size 17472
		.amdhsa_private_segment_fixed_size 0
		.amdhsa_kernarg_size 400
		.amdhsa_user_sgpr_count 13
		.amdhsa_user_sgpr_dispatch_ptr 0
		.amdhsa_user_sgpr_queue_ptr 0
		.amdhsa_user_sgpr_kernarg_segment_ptr 1
		.amdhsa_user_sgpr_dispatch_id 0
		.amdhsa_user_sgpr_private_segment_size 0
		.amdhsa_wavefront_size32 1
		.amdhsa_uses_dynamic_stack 0
		.amdhsa_enable_private_segment 0
		.amdhsa_system_sgpr_workgroup_id_x 1
		.amdhsa_system_sgpr_workgroup_id_y 1
		.amdhsa_system_sgpr_workgroup_id_z 1
		.amdhsa_system_sgpr_workgroup_info 0
		.amdhsa_system_vgpr_workitem_id 0
		.amdhsa_next_free_vgpr 124
		.amdhsa_next_free_sgpr 40
		.amdhsa_reserve_vcc 1
		.amdhsa_float_round_mode_32 0
		.amdhsa_float_round_mode_16_64 0
		.amdhsa_float_denorm_mode_32 3
		.amdhsa_float_denorm_mode_16_64 3
		.amdhsa_dx10_clamp 1
		.amdhsa_ieee_mode 1
		.amdhsa_fp16_overflow 0
		.amdhsa_workgroup_processor_mode 1
		.amdhsa_memory_ordered 1
		.amdhsa_forward_progress 0
		.amdhsa_shared_vgpr_count 0
		.amdhsa_exception_fp_ieee_invalid_op 0
		.amdhsa_exception_fp_denorm_src 0
		.amdhsa_exception_fp_ieee_div_zero 0
		.amdhsa_exception_fp_ieee_overflow 0
		.amdhsa_exception_fp_ieee_underflow 0
		.amdhsa_exception_fp_ieee_inexact 0
		.amdhsa_exception_int_div_zero 0
	.end_amdhsa_kernel
	.section	.text._Z39paged_attention_ll4mi_QKV_mfma16_kernelI14__hip_bfloat16hLN4vllm18Fp8KVCacheDataTypeE1ES0_Li32ELi64ELi256ELb1ELi10EL8MFMAType0EEvPKT_PKT0_S9_ifPKiSB_SB_iPKfiiiPfSE_PS4_PT2_iSD_SD_,"axG",@progbits,_Z39paged_attention_ll4mi_QKV_mfma16_kernelI14__hip_bfloat16hLN4vllm18Fp8KVCacheDataTypeE1ES0_Li32ELi64ELi256ELb1ELi10EL8MFMAType0EEvPKT_PKT0_S9_ifPKiSB_SB_iPKfiiiPfSE_PS4_PT2_iSD_SD_,comdat
.Lfunc_end1767:
	.size	_Z39paged_attention_ll4mi_QKV_mfma16_kernelI14__hip_bfloat16hLN4vllm18Fp8KVCacheDataTypeE1ES0_Li32ELi64ELi256ELb1ELi10EL8MFMAType0EEvPKT_PKT0_S9_ifPKiSB_SB_iPKfiiiPfSE_PS4_PT2_iSD_SD_, .Lfunc_end1767-_Z39paged_attention_ll4mi_QKV_mfma16_kernelI14__hip_bfloat16hLN4vllm18Fp8KVCacheDataTypeE1ES0_Li32ELi64ELi256ELb1ELi10EL8MFMAType0EEvPKT_PKT0_S9_ifPKiSB_SB_iPKfiiiPfSE_PS4_PT2_iSD_SD_
                                        ; -- End function
	.section	.AMDGPU.csdata,"",@progbits
; Kernel info:
; codeLenInByte = 8824
; NumSgprs: 42
; NumVgprs: 124
; ScratchSize: 0
; MemoryBound: 0
; FloatMode: 240
; IeeeMode: 1
; LDSByteSize: 17472 bytes/workgroup (compile time only)
; SGPRBlocks: 5
; VGPRBlocks: 15
; NumSGPRsForWavesPerEU: 42
; NumVGPRsForWavesPerEU: 124
; Occupancy: 10
; WaveLimiterHint : 1
; COMPUTE_PGM_RSRC2:SCRATCH_EN: 0
; COMPUTE_PGM_RSRC2:USER_SGPR: 13
; COMPUTE_PGM_RSRC2:TRAP_HANDLER: 0
; COMPUTE_PGM_RSRC2:TGID_X_EN: 1
; COMPUTE_PGM_RSRC2:TGID_Y_EN: 1
; COMPUTE_PGM_RSRC2:TGID_Z_EN: 1
; COMPUTE_PGM_RSRC2:TIDIG_COMP_CNT: 0
	.section	.text._Z39paged_attention_ll4mi_QKV_mfma16_kernelI14__hip_bfloat16hLN4vllm18Fp8KVCacheDataTypeE1ES0_Li32ELi64ELi256ELb1ELi11EL8MFMAType0EEvPKT_PKT0_S9_ifPKiSB_SB_iPKfiiiPfSE_PS4_PT2_iSD_SD_,"axG",@progbits,_Z39paged_attention_ll4mi_QKV_mfma16_kernelI14__hip_bfloat16hLN4vllm18Fp8KVCacheDataTypeE1ES0_Li32ELi64ELi256ELb1ELi11EL8MFMAType0EEvPKT_PKT0_S9_ifPKiSB_SB_iPKfiiiPfSE_PS4_PT2_iSD_SD_,comdat
	.protected	_Z39paged_attention_ll4mi_QKV_mfma16_kernelI14__hip_bfloat16hLN4vllm18Fp8KVCacheDataTypeE1ES0_Li32ELi64ELi256ELb1ELi11EL8MFMAType0EEvPKT_PKT0_S9_ifPKiSB_SB_iPKfiiiPfSE_PS4_PT2_iSD_SD_ ; -- Begin function _Z39paged_attention_ll4mi_QKV_mfma16_kernelI14__hip_bfloat16hLN4vllm18Fp8KVCacheDataTypeE1ES0_Li32ELi64ELi256ELb1ELi11EL8MFMAType0EEvPKT_PKT0_S9_ifPKiSB_SB_iPKfiiiPfSE_PS4_PT2_iSD_SD_
	.globl	_Z39paged_attention_ll4mi_QKV_mfma16_kernelI14__hip_bfloat16hLN4vllm18Fp8KVCacheDataTypeE1ES0_Li32ELi64ELi256ELb1ELi11EL8MFMAType0EEvPKT_PKT0_S9_ifPKiSB_SB_iPKfiiiPfSE_PS4_PT2_iSD_SD_
	.p2align	8
	.type	_Z39paged_attention_ll4mi_QKV_mfma16_kernelI14__hip_bfloat16hLN4vllm18Fp8KVCacheDataTypeE1ES0_Li32ELi64ELi256ELb1ELi11EL8MFMAType0EEvPKT_PKT0_S9_ifPKiSB_SB_iPKfiiiPfSE_PS4_PT2_iSD_SD_,@function
_Z39paged_attention_ll4mi_QKV_mfma16_kernelI14__hip_bfloat16hLN4vllm18Fp8KVCacheDataTypeE1ES0_Li32ELi64ELi256ELb1ELi11EL8MFMAType0EEvPKT_PKT0_S9_ifPKiSB_SB_iPKfiiiPfSE_PS4_PT2_iSD_SD_: ; @_Z39paged_attention_ll4mi_QKV_mfma16_kernelI14__hip_bfloat16hLN4vllm18Fp8KVCacheDataTypeE1ES0_Li32ELi64ELi256ELb1ELi11EL8MFMAType0EEvPKT_PKT0_S9_ifPKiSB_SB_iPKfiiiPfSE_PS4_PT2_iSD_SD_
; %bb.0:
	s_load_b64 s[2:3], s[0:1], 0x30
	s_mov_b32 s34, s13
	s_waitcnt lgkmcnt(0)
	s_cmp_lg_u64 s[2:3], 0
	s_cselect_b32 s8, -1, 0
	s_ashr_i32 s35, s13, 31
	s_cmp_eq_u64 s[2:3], 0
	s_cbranch_scc1 .LBB1768_3
; %bb.1:
	s_lshl_b64 s[4:5], s[34:35], 2
	s_delay_alu instid0(SALU_CYCLE_1) | instskip(SKIP_4) | instid1(SALU_CYCLE_1)
	s_add_u32 s4, s2, s4
	s_addc_u32 s5, s3, s5
	s_load_b64 s[4:5], s[4:5], 0x0
	s_waitcnt lgkmcnt(0)
	s_sub_i32 s4, s5, s4
	s_cmp_eq_u32 s4, 1
	s_cselect_b32 s4, -1, 0
	s_delay_alu instid0(SALU_CYCLE_1)
	s_and_not1_b32 vcc_lo, exec_lo, s4
	s_cbranch_vccz .LBB1768_4
.LBB1768_2:
	s_nop 0
	s_sendmsg sendmsg(MSG_DEALLOC_VGPRS)
	s_endpgm
.LBB1768_3:
.LBB1768_4:
	s_load_b64 s[4:5], s[0:1], 0x28
	s_lshl_b64 s[6:7], s[34:35], 2
	s_waitcnt lgkmcnt(0)
	s_add_u32 s4, s4, s6
	s_addc_u32 s5, s5, s7
	s_lshl_b32 s12, s14, 8
	s_load_b32 s24, s[4:5], 0x0
	s_waitcnt lgkmcnt(0)
	s_cmp_ge_i32 s12, s24
	s_cbranch_scc1 .LBB1768_2
; %bb.5:
	s_clause 0x1
	s_load_b128 s[20:23], s[0:1], 0x8
	s_load_b64 s[4:5], s[0:1], 0x20
	s_and_not1_b32 vcc_lo, exec_lo, s8
	s_cbranch_vccnz .LBB1768_7
; %bb.6:
	s_add_u32 s2, s2, s6
	s_addc_u32 s3, s3, s7
	s_load_b32 s3, s[2:3], 0x0
	s_branch .LBB1768_8
.LBB1768_7:
	s_mov_b32 s3, s34
.LBB1768_8:
	s_load_b128 s[16:19], s[0:1], 0x48
	v_lshrrev_b32_e32 v66, 5, v0
	v_bfe_u32 v74, v0, 4, 1
	v_and_b32_e32 v65, 15, v0
	v_and_b32_e32 v67, 31, v0
	;; [unrolled: 1-line block ×3, first 2 shown]
	s_mul_i32 s31, s15, 11
	v_lshl_or_b32 v1, v66, 1, v74
	v_lshlrev_b32_e32 v2, 3, v65
	v_cmp_gt_u32_e64 s2, 8, v65
	s_delay_alu instid0(VALU_DEP_3) | instskip(NEXT) | instid1(VALU_DEP_3)
	v_cmp_gt_u32_e32 vcc_lo, 11, v1
	v_lshlrev_b32_e32 v73, 1, v2
	s_delay_alu instid0(VALU_DEP_3) | instskip(NEXT) | instid1(SALU_CYCLE_1)
	s_and_b32 s7, s2, vcc_lo
	s_and_saveexec_b32 s6, s7
	s_cbranch_execz .LBB1768_10
; %bb.9:
	s_load_b64 s[8:9], s[0:1], 0x0
	v_add_lshl_u32 v2, v1, s31, 6
	s_waitcnt lgkmcnt(0)
	s_mul_hi_i32 s11, s3, s16
	s_mul_i32 s10, s3, s16
	v_lshlrev_b32_e32 v6, 10, v65
	s_lshl_b64 s[10:11], s[10:11], 1
	v_ashrrev_i32_e32 v3, 31, v2
	v_lshlrev_b32_e32 v1, 6, v1
	v_lshlrev_b32_e32 v7, 10, v75
	v_and_b32_e32 v6, 0x3800, v6
	s_delay_alu instid0(VALU_DEP_4) | instskip(NEXT) | instid1(VALU_DEP_2)
	v_lshlrev_b64 v[2:3], 1, v[2:3]
	v_or3_b32 v1, v6, v7, v1
	s_add_u32 s3, s8, s10
	s_addc_u32 s7, s9, s11
	s_delay_alu instid0(VALU_DEP_2) | instskip(NEXT) | instid1(VALU_DEP_3)
	v_add_co_u32 v2, vcc_lo, s3, v2
	v_add_co_ci_u32_e32 v3, vcc_lo, s7, v3, vcc_lo
	s_delay_alu instid0(VALU_DEP_2) | instskip(NEXT) | instid1(VALU_DEP_2)
	v_add_co_u32 v2, vcc_lo, v2, v73
	v_add_co_ci_u32_e32 v3, vcc_lo, 0, v3, vcc_lo
	global_load_b128 v[2:5], v[2:3], off
	s_waitcnt vmcnt(0)
	ds_store_b128 v1, v[2:5]
.LBB1768_10:
	s_or_b32 exec_lo, exec_lo, s6
	v_and_b32_e32 v1, 0xef, v0
	s_waitcnt lgkmcnt(0)
	s_add_i32 s3, s24, 31
	s_clause 0x1
	s_load_b32 s6, s[0:1], 0x38
	s_load_b32 s19, s[0:1], 0x1c
	s_ashr_i32 s7, s3, 31
	v_add_nc_u32_e32 v1, s12, v1
	s_lshr_b32 s7, s7, 27
	s_waitcnt lgkmcnt(0)
	s_add_i32 s3, s3, s7
	s_barrier
	v_ashrrev_i32_e32 v2, 31, v1
	v_or_b32_e32 v3, 16, v1
	s_ashr_i32 s3, s3, 5
	v_cmp_gt_i32_e32 vcc_lo, s24, v1
	s_add_i32 s3, s3, -1
	v_lshrrev_b32_e32 v2, 27, v2
	buffer_gl0_inv
	s_mul_i32 s27, s15, s18
	v_add_nc_u32_e32 v4, v1, v2
	s_mul_i32 s6, s34, s6
	s_delay_alu instid0(SALU_CYCLE_1) | instskip(NEXT) | instid1(VALU_DEP_1)
	s_ashr_i32 s7, s6, 31
	v_ashrrev_i32_e32 v4, 5, v4
	v_add_nc_u32_e32 v2, v3, v2
	s_lshl_b64 s[6:7], s[6:7], 2
	s_delay_alu instid0(SALU_CYCLE_1) | instskip(NEXT) | instid1(VALU_DEP_2)
	s_add_u32 s26, s4, s6
	v_cndmask_b32_e32 v1, s3, v4, vcc_lo
	s_delay_alu instid0(VALU_DEP_2)
	v_ashrrev_i32_e32 v2, 5, v2
	v_cmp_gt_i32_e32 vcc_lo, s24, v3
	s_addc_u32 s25, s5, s7
	s_ashr_i32 s28, s27, 31
	s_add_u32 s4, s20, s27
	s_addc_u32 s5, s21, s28
	v_cndmask_b32_e32 v3, s3, v2, vcc_lo
	v_ashrrev_i32_e32 v2, 31, v1
	s_lshl_b32 s6, s14, 3
	s_delay_alu instid0(SALU_CYCLE_1) | instskip(NEXT) | instid1(VALU_DEP_2)
	s_ashr_i32 s7, s6, 31
	v_ashrrev_i32_e32 v4, 31, v3
	s_delay_alu instid0(VALU_DEP_2) | instskip(SKIP_1) | instid1(SALU_CYCLE_1)
	v_lshlrev_b64 v[1:2], 2, v[1:2]
	s_lshl_b64 s[6:7], s[6:7], 2
	s_add_u32 s6, s26, s6
	s_delay_alu instid0(VALU_DEP_2) | instskip(SKIP_1) | instid1(VALU_DEP_2)
	v_lshlrev_b64 v[3:4], 2, v[3:4]
	s_addc_u32 s7, s25, s7
	v_add_co_u32 v1, vcc_lo, s26, v1
	v_add_co_ci_u32_e32 v2, vcc_lo, s25, v2, vcc_lo
	s_delay_alu instid0(VALU_DEP_3) | instskip(NEXT) | instid1(VALU_DEP_4)
	v_add_co_u32 v3, vcc_lo, s26, v3
	v_add_co_ci_u32_e32 v4, vcc_lo, s25, v4, vcc_lo
	s_clause 0x1
	global_load_b32 v5, v[1:2], off
	global_load_b32 v6, v[3:4], off
	s_or_b32 s8, s12, 32
	s_delay_alu instid0(SALU_CYCLE_1) | instskip(SKIP_2) | instid1(SALU_CYCLE_1)
	s_ashr_i32 s9, s8, 5
	s_cmp_lt_i32 s8, s24
	s_cselect_b32 s8, s9, s3
	s_ashr_i32 s9, s8, 31
	s_delay_alu instid0(SALU_CYCLE_1) | instskip(NEXT) | instid1(SALU_CYCLE_1)
	s_lshl_b64 s[8:9], s[8:9], 2
	s_add_u32 s8, s26, s8
	s_addc_u32 s9, s25, s9
	s_or_b32 s10, s12, 64
	s_delay_alu instid0(SALU_CYCLE_1) | instskip(SKIP_2) | instid1(SALU_CYCLE_1)
	s_ashr_i32 s11, s10, 5
	s_cmp_lt_i32 s10, s24
	s_cselect_b32 s10, s11, s3
	s_ashr_i32 s11, s10, 31
	s_delay_alu instid0(SALU_CYCLE_1) | instskip(NEXT) | instid1(SALU_CYCLE_1)
	s_lshl_b64 s[10:11], s[10:11], 2
	s_add_u32 s10, s26, s10
	s_addc_u32 s11, s25, s11
	;; [unrolled: 10-line block ×5, first 2 shown]
	s_clause 0x5
	s_load_b32 s21, s[6:7], 0x0
	s_load_b32 s13, s[8:9], 0x0
	;; [unrolled: 1-line block ×6, first 2 shown]
	s_or_b32 s8, s12, 0xc0
	s_delay_alu instid0(SALU_CYCLE_1) | instskip(SKIP_2) | instid1(SALU_CYCLE_1)
	s_ashr_i32 s9, s8, 5
	s_cmp_lt_i32 s8, s24
	s_cselect_b32 s36, s9, s3
	s_ashr_i32 s37, s36, 31
	s_delay_alu instid0(SALU_CYCLE_1) | instskip(NEXT) | instid1(SALU_CYCLE_1)
	s_lshl_b64 s[36:37], s[36:37], 2
	s_add_u32 s36, s26, s36
	s_addc_u32 s37, s25, s37
	s_or_b32 s29, s12, 0xe0
	s_delay_alu instid0(SALU_CYCLE_1)
	s_ashr_i32 s30, s29, 5
	s_cmp_lt_i32 s29, s24
	s_waitcnt vmcnt(1)
	v_mad_i64_i32 v[1:2], null, v5, s17, s[4:5]
	s_waitcnt vmcnt(0)
	v_mad_i64_i32 v[3:4], null, v6, s17, s[4:5]
	s_mov_b32 s4, 0
	s_delay_alu instid0(SALU_CYCLE_1)
	s_mov_b32 s5, s4
	s_mov_b32 s6, s4
	;; [unrolled: 1-line block ×7, first 2 shown]
	v_lshlrev_b32_e32 v5, 4, v65
	v_dual_mov_b32 v107, s11 :: v_dual_mov_b32 v102, s6
	v_mov_b32_e32 v100, s4
	v_mov_b32_e32 v106, s10
	s_delay_alu instid0(VALU_DEP_4)
	v_add_co_u32 v1, vcc_lo, v1, v5
	v_add_co_ci_u32_e32 v2, vcc_lo, 0, v2, vcc_lo
	v_add_co_u32 v3, vcc_lo, v3, v5
	v_add_co_ci_u32_e32 v4, vcc_lo, 0, v4, vcc_lo
	s_clause 0x7
	global_load_b128 v[49:52], v[1:2], off
	global_load_b128 v[53:56], v[1:2], off offset:512
	global_load_b128 v[76:79], v[3:4], off offset:256
	;; [unrolled: 1-line block ×7, first 2 shown]
	v_add_nc_u32_e32 v1, -11, v65
	v_cmp_gt_u32_e32 vcc_lo, 11, v65
	v_dual_mov_b32 v104, s8 :: v_dual_mov_b32 v103, s7
	v_dual_mov_b32 v101, s5 :: v_dual_lshlrev_b32 v2, 5, v65
	s_delay_alu instid0(VALU_DEP_4)
	v_cndmask_b32_e32 v1, v1, v65, vcc_lo
	v_mov_b32_e32 v105, s9
	s_cselect_b32 s4, s30, s3
	s_load_b32 s3, s[36:37], 0x0
	s_ashr_i32 s5, s4, 31
	v_lshlrev_b32_e32 v70, 6, v1
	s_lshl_b64 s[4:5], s[4:5], 2
	v_lshl_or_b32 v2, v66, 9, v2
	s_add_u32 s4, s26, s4
	s_addc_u32 s5, s25, s5
	ds_load_b128 v[108:111], v70
	ds_load_b128 v[112:115], v70 offset:1024
	s_load_b32 s4, s[4:5], 0x0
	s_add_u32 s6, s22, s27
	s_addc_u32 s7, s23, s28
	v_add_co_u32 v9, s6, s6, v2
	s_delay_alu instid0(VALU_DEP_1) | instskip(SKIP_1) | instid1(VALU_DEP_1)
	v_add_co_ci_u32_e64 v10, null, s7, 0, s6
	s_waitcnt lgkmcnt(0)
	v_mad_i64_i32 v[1:2], null, s21, s17, v[9:10]
	v_mad_i64_i32 v[3:4], null, s13, s17, v[9:10]
	;; [unrolled: 1-line block ×7, first 2 shown]
	s_clause 0x9
	global_load_b128 v[57:60], v[1:2], off
	global_load_b128 v[61:64], v[1:2], off offset:16
	global_load_b128 v[41:44], v[3:4], off
	global_load_b128 v[45:48], v[3:4], off offset:16
	;; [unrolled: 2-line block ×5, first 2 shown]
	v_mad_i64_i32 v[68:69], null, s4, s17, v[9:10]
	s_clause 0x3
	global_load_b128 v[9:12], v[13:14], off
	global_load_b128 v[13:16], v[13:14], off offset:16
	global_load_b128 v[17:20], v[21:22], off
	global_load_b128 v[21:24], v[21:22], off offset:16
	s_waitcnt vmcnt(20)
	v_wmma_f32_16x16x16_bf16 v[116:123], v[49:56], v[108:115], v[100:107]
	s_clause 0x1
	global_load_b128 v[49:52], v[68:69], off
	global_load_b128 v[53:56], v[68:69], off offset:16
	v_and_b32_e32 v68, 0xe0, v0
	v_mbcnt_lo_u32_b32 v69, -1, 0
	s_delay_alu instid0(VALU_DEP_2)
	v_add_nc_u32_e32 v68, s12, v68
	s_waitcnt vmcnt(20)
	v_wmma_f32_16x16x16_bf16 v[100:107], v[76:83], v[108:115], v[100:107]
	ds_load_b128 v[76:79], v70 offset:2048
	ds_load_b128 v[80:83], v70 offset:3072
	v_xor_b32_e32 v70, 16, v69
	s_waitcnt vmcnt(0) lgkmcnt(0)
	v_or_b32_e32 v68, v68, v74
	s_barrier
	buffer_gl0_inv
	v_cmp_gt_i32_e32 vcc_lo, 32, v70
	v_or_b32_e32 v71, 4, v68
	v_or_b32_e32 v72, 6, v68
	v_cmp_gt_i32_e64 s3, s24, v68
	v_or_b32_e32 v108, 8, v68
	v_or_b32_e32 v109, 10, v68
	v_cmp_gt_i32_e64 s4, s24, v71
	v_cmp_gt_i32_e64 s5, s24, v72
	s_delay_alu instid0(VALU_DEP_4) | instskip(NEXT) | instid1(VALU_DEP_4)
	v_cmp_gt_i32_e64 s6, s24, v108
	v_cmp_gt_i32_e64 s7, s24, v109
	v_wmma_f32_16x16x16_bf16 v[116:123], v[84:91], v[76:83], v[116:123]
	v_cndmask_b32_e32 v69, v69, v70, vcc_lo
	v_or_b32_e32 v70, 2, v68
	v_wmma_f32_16x16x16_bf16 v[100:107], v[92:99], v[76:83], v[100:107]
	v_or_b32_e32 v89, 22, v68
	v_dual_mul_f32 v80, s19, v121 :: v_dual_mul_f32 v81, s19, v120
	v_dual_mul_f32 v92, s19, v117 :: v_dual_mul_f32 v93, s19, v116
	s_delay_alu instid0(VALU_DEP_4)
	v_mul_f32_e32 v96, s19, v105
	v_cmp_gt_i32_e32 vcc_lo, s24, v70
	v_dual_mul_f32 v79, s19, v122 :: v_dual_mul_f32 v82, s19, v119
	v_dual_mul_f32 v83, s19, v118 :: v_dual_mul_f32 v94, s19, v107
	v_cndmask_b32_e64 v93, 0xff7fffff, v93, s3
	v_cndmask_b32_e32 v92, 0xff7fffff, v92, vcc_lo
	v_or_b32_e32 v84, 12, v68
	v_or_b32_e32 v85, 14, v68
	v_cndmask_b32_e64 v71, 0xff7fffff, v83, s4
	v_cndmask_b32_e64 v72, 0xff7fffff, v82, s5
	v_cmp_gt_i32_e64 s13, s24, v89
	v_lshlrev_b32_e32 v89, 2, v69
	v_max3_f32 v82, v93, 0xff7fffff, v92
	v_or_b32_e32 v86, 16, v68
	v_or_b32_e32 v87, 18, v68
	v_mul_f32_e32 v78, s19, v123
	v_cndmask_b32_e64 v81, 0xff7fffff, v81, s6
	v_cndmask_b32_e64 v80, 0xff7fffff, v80, s7
	v_max3_f32 v71, v82, v71, v72
	v_cmp_gt_i32_e64 s8, s24, v84
	v_cmp_gt_i32_e64 s9, s24, v85
	v_or_b32_e32 v88, 20, v68
	v_or_b32_e32 v90, 24, v68
	;; [unrolled: 1-line block ×5, first 2 shown]
	v_dual_mul_f32 v97, s19, v104 :: v_dual_mul_f32 v70, s19, v101
	v_dual_mul_f32 v99, s19, v102 :: v_dual_mul_f32 v68, s19, v100
	v_cndmask_b32_e64 v72, 0xff7fffff, v79, s8
	v_cndmask_b32_e64 v78, 0xff7fffff, v78, s9
	v_max3_f32 v71, v71, v81, v80
	v_cmp_gt_i32_e64 s10, s24, v86
	v_cmp_gt_i32_e64 s11, s24, v87
	v_dual_mul_f32 v95, s19, v106 :: v_dual_mul_f32 v98, s19, v103
	s_delay_alu instid0(VALU_DEP_4) | instskip(NEXT) | instid1(VALU_DEP_4)
	v_max3_f32 v71, v71, v72, v78
	v_cndmask_b32_e64 v68, 0xff7fffff, v68, s10
	s_delay_alu instid0(VALU_DEP_4)
	v_cndmask_b32_e64 v70, 0xff7fffff, v70, s11
	v_cmp_gt_i32_e64 s12, s24, v88
	v_cndmask_b32_e64 v78, 0xff7fffff, v98, s13
	v_cmp_gt_i32_e64 s15, s24, v90
	v_cmp_gt_i32_e64 s16, s24, v91
	v_max3_f32 v68, v71, v68, v70
	v_cndmask_b32_e64 v72, 0xff7fffff, v99, s12
	v_cmp_gt_i32_e64 s17, s24, v76
	v_cndmask_b32_e64 v70, 0xff7fffff, v97, s15
	v_cndmask_b32_e64 v71, 0xff7fffff, v96, s16
	v_cmp_gt_i32_e64 s18, s24, v77
	v_max3_f32 v68, v68, v72, v78
	v_cndmask_b32_e64 v72, 0xff7fffff, v95, s17
	s_delay_alu instid0(VALU_DEP_3) | instskip(NEXT) | instid1(VALU_DEP_3)
	v_cndmask_b32_e64 v76, 0xff7fffff, v94, s18
	v_max3_f32 v68, v68, v70, v71
	s_delay_alu instid0(VALU_DEP_1) | instskip(SKIP_3) | instid1(VALU_DEP_1)
	v_max3_f32 v68, v68, v72, v76
	ds_bpermute_b32 v69, v89, v68
	s_waitcnt lgkmcnt(0)
	v_max_f32_e32 v69, v69, v69
	v_max_f32_e32 v68, v68, v69
	s_delay_alu instid0(VALU_DEP_1) | instskip(NEXT) | instid1(VALU_DEP_1)
	v_fma_f32 v71, s19, v118, -v68
	v_mul_f32_e32 v71, 0x3fb8aa3b, v71
	v_fma_f32 v70, s19, v117, -v68
	v_fma_f32 v69, s19, v116, -v68
	;; [unrolled: 1-line block ×5, first 2 shown]
	s_delay_alu instid0(VALU_DEP_4) | instskip(SKIP_1) | instid1(VALU_DEP_3)
	v_dual_mul_f32 v70, 0x3fb8aa3b, v70 :: v_dual_mul_f32 v69, 0x3fb8aa3b, v69
	v_exp_f32_e32 v71, v71
	v_mul_f32_e32 v72, 0x3fb8aa3b, v72
	v_fma_f32 v81, s19, v105, -v68
	s_delay_alu instid0(VALU_DEP_3)
	v_exp_f32_e32 v70, v70
	v_mul_f32_e32 v77, 0x3fb8aa3b, v76
	v_exp_f32_e32 v69, v69
	v_exp_f32_e32 v72, v72
	v_mul_f32_e32 v81, 0x3fb8aa3b, v81
	v_cndmask_b32_e64 v83, 0, v71, s4
	v_fma_f32 v71, s19, v123, -v68
	s_delay_alu instid0(VALU_DEP_3) | instskip(SKIP_4) | instid1(TRANS32_DEP_3)
	v_exp_f32_e32 v81, v81
	v_cndmask_b32_e32 v76, 0, v70, vcc_lo
	v_exp_f32_e32 v77, v77
	v_cndmask_b32_e64 v80, 0, v69, s3
	v_fma_f32 v69, s19, v121, -v68
	v_cndmask_b32_e64 v85, 0, v72, s5
	v_mul_f32_e32 v71, 0x3fb8aa3b, v71
	v_fma_f32 v72, s19, v100, -v68
	s_delay_alu instid0(VALU_DEP_4) | instskip(SKIP_1) | instid1(VALU_DEP_4)
	v_dual_add_f32 v70, 0, v80 :: v_dual_mul_f32 v69, 0x3fb8aa3b, v69
	v_cmp_gt_u32_e64 s3, 16, v67
	v_exp_f32_e32 v71, v71
	s_delay_alu instid0(TRANS32_DEP_2) | instskip(SKIP_4) | instid1(VALU_DEP_3)
	v_cndmask_b32_e64 v86, 0, v77, s6
	v_fma_f32 v77, s19, v101, -v68
	v_mul_f32_e32 v78, 0x3fb8aa3b, v78
	v_add_f32_e32 v70, v70, v76
	v_exp_f32_e32 v69, v69
	v_mul_f32_e32 v77, 0x3fb8aa3b, v77
	s_delay_alu instid0(VALU_DEP_3) | instskip(NEXT) | instid1(TRANS32_DEP_3)
	v_exp_f32_e32 v78, v78
	v_cndmask_b32_e64 v88, 0, v71, s9
	v_fma_f32 v71, s19, v104, -v68
	s_delay_alu instid0(VALU_DEP_3) | instskip(NEXT) | instid1(TRANS32_DEP_3)
	v_exp_f32_e32 v77, v77
	v_cndmask_b32_e64 v87, 0, v69, s7
	s_delay_alu instid0(VALU_DEP_2)
	v_mul_f32_e32 v71, 0x3fb8aa3b, v71
	s_waitcnt_depctr 0xfff
	v_cndmask_b32_e64 v84, 0, v78, s8
	v_add_f32_e32 v70, v70, v83
	v_fma_f32 v78, s19, v103, -v68
	v_exp_f32_e32 v82, v71
	s_delay_alu instid0(VALU_DEP_2) | instskip(SKIP_1) | instid1(VALU_DEP_3)
	v_add_f32_e32 v70, v70, v85
	v_mul_f32_e32 v72, 0x3fb8aa3b, v72
	v_mul_f32_e32 v78, 0x3fb8aa3b, v78
	s_delay_alu instid0(VALU_DEP_3) | instskip(SKIP_1) | instid1(VALU_DEP_4)
	v_add_f32_e32 v69, v70, v86
	v_fma_f32 v70, s19, v102, -v68
	v_exp_f32_e32 v72, v72
	s_delay_alu instid0(VALU_DEP_3) | instskip(NEXT) | instid1(VALU_DEP_1)
	v_exp_f32_e32 v78, v78
	v_dual_add_f32 v69, v69, v87 :: v_dual_mul_f32 v70, 0x3fb8aa3b, v70
	s_delay_alu instid0(VALU_DEP_1) | instskip(NEXT) | instid1(VALU_DEP_2)
	v_add_f32_e32 v69, v69, v84
	v_exp_f32_e32 v79, v70
	s_delay_alu instid0(TRANS32_DEP_3) | instskip(NEXT) | instid1(VALU_DEP_2)
	v_cndmask_b32_e64 v70, 0, v72, s10
	v_add_f32_e32 v72, v69, v88
	v_cndmask_b32_e64 v69, 0, v77, s11
	v_fma_f32 v77, s19, v106, -v68
	s_waitcnt_depctr 0xfff
	v_cndmask_b32_e64 v71, 0, v79, s12
	v_dual_mul_f32 v77, 0x3fb8aa3b, v77 :: v_dual_add_f32 v72, v72, v70
	s_delay_alu instid0(VALU_DEP_1) | instskip(NEXT) | instid1(VALU_DEP_1)
	v_exp_f32_e32 v90, v77
	v_add_f32_e32 v79, v72, v69
	v_cndmask_b32_e64 v72, 0, v78, s13
	v_cndmask_b32_e64 v77, 0, v82, s15
	s_delay_alu instid0(VALU_DEP_3) | instskip(SKIP_1) | instid1(VALU_DEP_1)
	v_add_f32_e32 v78, v79, v71
	v_fma_f32 v79, s19, v107, -v68
	v_dual_add_f32 v82, v78, v72 :: v_dual_mul_f32 v79, 0x3fb8aa3b, v79
	v_cndmask_b32_e64 v78, 0, v81, s16
	s_delay_alu instid0(VALU_DEP_2) | instskip(NEXT) | instid1(VALU_DEP_3)
	v_add_f32_e32 v81, v82, v77
	v_exp_f32_e32 v82, v79
	v_cndmask_b32_e64 v79, 0, v90, s17
	s_delay_alu instid0(VALU_DEP_2) | instskip(NEXT) | instid1(VALU_DEP_1)
	v_add_f32_e32 v81, v81, v78
	v_add_f32_e32 v90, v81, v79
	s_waitcnt_depctr 0xfff
	v_cndmask_b32_e64 v81, 0, v82, s18
	s_delay_alu instid0(VALU_DEP_1)
	v_add_f32_e32 v82, v90, v81
	ds_bpermute_b32 v89, v89, v82
	s_and_saveexec_b32 s4, s3
	s_cbranch_execz .LBB1768_12
; %bb.11:
	v_mul_u32_u24_e32 v67, 0x44, v66
	s_delay_alu instid0(VALU_DEP_1) | instskip(SKIP_1) | instid1(VALU_DEP_1)
	v_lshl_add_u32 v67, v65, 2, v67
	s_waitcnt lgkmcnt(0)
	v_dual_add_f32 v82, v82, v89 :: v_dual_add_nc_u32 v67, 0x4000, v67
	ds_store_2addr_b32 v67, v68, v82 offset1:136
.LBB1768_12:
	s_or_b32 exec_lo, exec_lo, s4
	v_lshlrev_b32_e32 v67, 2, v65
	s_waitcnt lgkmcnt(0)
	s_barrier
	buffer_gl0_inv
	v_cmp_eq_u32_e32 vcc_lo, 1, v66
	v_add_nc_u32_e32 v82, 0x4000, v67
	v_cmp_eq_u32_e64 s4, 2, v66
	v_cmp_eq_u32_e64 s6, 7, v66
	ds_load_2addr_b32 v[89:90], v82 offset1:17
	ds_load_2addr_b32 v[91:92], v82 offset0:34 offset1:51
	ds_load_2addr_b32 v[93:94], v82 offset0:68 offset1:85
	;; [unrolled: 1-line block ×4, first 2 shown]
	s_waitcnt lgkmcnt(4)
	v_max3_f32 v67, v89, 0xff7fffff, v90
	s_waitcnt lgkmcnt(3)
	s_delay_alu instid0(VALU_DEP_1) | instskip(SKIP_1) | instid1(VALU_DEP_1)
	v_max3_f32 v67, v67, v91, v92
	s_waitcnt lgkmcnt(2)
	v_max3_f32 v67, v67, v93, v94
	s_waitcnt lgkmcnt(1)
	s_delay_alu instid0(VALU_DEP_1) | instskip(NEXT) | instid1(VALU_DEP_1)
	v_max3_f32 v67, v67, v95, v96
	v_sub_f32_e32 v93, v93, v67
	s_delay_alu instid0(VALU_DEP_1) | instskip(NEXT) | instid1(VALU_DEP_1)
	v_dual_sub_f32 v68, v89, v67 :: v_dual_mul_f32 v103, 0x3fb8aa3b, v93
	v_mul_f32_e32 v68, 0x3fb8aa3b, v68
	s_delay_alu instid0(VALU_DEP_1)
	v_exp_f32_e32 v100, v68
	v_sub_f32_e32 v68, v92, v67
	v_sub_f32_e32 v99, v90, v67
	ds_load_2addr_b32 v[89:90], v82 offset0:170 offset1:187
	v_dual_mul_f32 v102, 0x3fb8aa3b, v68 :: v_dual_mul_f32 v99, 0x3fb8aa3b, v99
	s_waitcnt lgkmcnt(1)
	v_fma_f32 v68, v100, v97, 0
	s_delay_alu instid0(VALU_DEP_2) | instskip(NEXT) | instid1(VALU_DEP_2)
	v_exp_f32_e32 v102, v102
	v_exp_f32_e32 v99, v99
	s_waitcnt_depctr 0xfff
	v_fmac_f32_e32 v68, v99, v98
	v_sub_f32_e32 v91, v91, v67
	s_delay_alu instid0(VALU_DEP_1)
	v_mul_f32_e32 v101, 0x3fb8aa3b, v91
	ds_load_2addr_b32 v[91:92], v82 offset0:204 offset1:221
	v_sub_f32_e32 v97, v94, v67
	ds_load_2addr_b32 v[93:94], v82 offset0:238 offset1:255
	s_waitcnt lgkmcnt(0)
	v_exp_f32_e32 v101, v101
	s_barrier
	buffer_gl0_inv
	v_dual_fmac_f32 v68, v101, v89 :: v_dual_sub_f32 v89, v96, v67
	v_dual_sub_f32 v82, v95, v67 :: v_dual_mul_f32 v95, 0x3fb8aa3b, v97
	v_exp_f32_e32 v97, v103
	s_delay_alu instid0(VALU_DEP_2) | instskip(NEXT) | instid1(VALU_DEP_2)
	v_dual_fmac_f32 v68, v102, v90 :: v_dual_mul_f32 v89, 0x3fb8aa3b, v89
	v_mul_f32_e32 v82, 0x3fb8aa3b, v82
	s_delay_alu instid0(VALU_DEP_3) | instskip(NEXT) | instid1(VALU_DEP_2)
	v_exp_f32_e32 v95, v95
	v_exp_f32_e32 v89, v89
	s_delay_alu instid0(VALU_DEP_1)
	v_exp_f32_e32 v82, v82
	v_fmac_f32_e32 v68, v97, v91
	s_delay_alu instid0(TRANS32_DEP_3) | instid1(VALU_DEP_1)
	v_fmac_f32_e32 v68, v95, v92
	s_waitcnt_depctr 0xfff
	v_fmac_f32_e32 v68, v82, v93
	s_delay_alu instid0(VALU_DEP_1) | instskip(NEXT) | instid1(VALU_DEP_1)
	v_fmac_f32_e32 v68, v89, v94
	v_add_f32_e32 v90, 0x358637bd, v68
	s_delay_alu instid0(VALU_DEP_1) | instskip(NEXT) | instid1(VALU_DEP_1)
	v_div_scale_f32 v91, null, v90, v90, 1.0
	v_rcp_f32_e32 v92, v91
	s_waitcnt_depctr 0xfff
	v_fma_f32 v93, -v91, v92, 1.0
	s_delay_alu instid0(VALU_DEP_1) | instskip(SKIP_1) | instid1(VALU_DEP_2)
	v_dual_fmac_f32 v92, v93, v92 :: v_dual_cndmask_b32 v93, v100, v99
	v_cmp_eq_u32_e32 vcc_lo, 3, v66
	v_cndmask_b32_e64 v93, v93, v101, s4
	v_cmp_eq_u32_e64 s4, 4, v66
	s_delay_alu instid0(VALU_DEP_2) | instskip(SKIP_1) | instid1(VALU_DEP_2)
	v_cndmask_b32_e32 v93, v93, v102, vcc_lo
	v_cmp_eq_u32_e32 vcc_lo, 5, v66
	v_cndmask_b32_e64 v93, v93, v97, s4
	v_cmp_eq_u32_e64 s4, 6, v66
	s_delay_alu instid0(VALU_DEP_2) | instskip(SKIP_1) | instid1(VALU_DEP_1)
	v_cndmask_b32_e32 v93, v93, v95, vcc_lo
	v_div_scale_f32 v94, s5, 1.0, v90, 1.0
	s_mov_b32 vcc_lo, s5
	s_delay_alu instid0(VALU_DEP_2) | instskip(NEXT) | instid1(VALU_DEP_2)
	v_cndmask_b32_e64 v82, v93, v82, s4
	v_mul_f32_e32 v96, v94, v92
	s_mov_b32 s4, exec_lo
	s_delay_alu instid0(VALU_DEP_2) | instskip(NEXT) | instid1(VALU_DEP_2)
	v_cndmask_b32_e64 v82, v82, v89, s6
	v_fma_f32 v98, -v91, v96, v94
	s_delay_alu instid0(VALU_DEP_1) | instskip(NEXT) | instid1(VALU_DEP_1)
	v_fmac_f32_e32 v96, v98, v92
	v_fma_f32 v91, -v91, v96, v94
	s_delay_alu instid0(VALU_DEP_1) | instskip(NEXT) | instid1(VALU_DEP_1)
	v_div_fmas_f32 v91, v91, v92, v96
	v_div_fixup_f32 v90, v91, v90, 1.0
	s_delay_alu instid0(VALU_DEP_1) | instskip(NEXT) | instid1(VALU_DEP_1)
	v_mul_f32_e32 v82, v82, v90
	v_mul_f32_e32 v87, v82, v87
	;; [unrolled: 1-line block ×7, first 2 shown]
	v_dual_mul_f32 v86, v82, v83 :: v_dual_and_b32 v91, 0x7f800000, v90
	v_mul_f32_e32 v85, v82, v76
                                        ; implicit-def: $vgpr76
	s_delay_alu instid0(VALU_DEP_2)
	v_cmpx_ne_u32_e32 0x7f800000, v91
	s_xor_b32 s4, exec_lo, s4
; %bb.13:
	v_bfe_u32 v76, v90, 16, 1
	s_delay_alu instid0(VALU_DEP_1)
	v_add3_u32 v76, v90, v76, 0x7fff
                                        ; implicit-def: $vgpr90
; %bb.14:
	s_and_not1_saveexec_b32 s4, s4
; %bb.15:
	v_and_b32_e32 v76, 0xffff, v90
	v_or_b32_e32 v83, 0x10000, v90
	s_delay_alu instid0(VALU_DEP_2) | instskip(NEXT) | instid1(VALU_DEP_2)
	v_cmp_eq_u32_e32 vcc_lo, 0, v76
	v_cndmask_b32_e32 v76, v83, v90, vcc_lo
; %bb.16:
	s_or_b32 exec_lo, exec_lo, s4
	v_and_b32_e32 v83, 0x7f800000, v85
	s_delay_alu instid0(VALU_DEP_1) | instskip(SKIP_1) | instid1(SALU_CYCLE_1)
	v_cmp_ne_u32_e32 vcc_lo, 0x7f800000, v83
                                        ; implicit-def: $vgpr83
	s_and_saveexec_b32 s4, vcc_lo
	s_xor_b32 s4, exec_lo, s4
; %bb.17:
	v_bfe_u32 v83, v85, 16, 1
	s_delay_alu instid0(VALU_DEP_1)
	v_add3_u32 v83, v85, v83, 0x7fff
                                        ; implicit-def: $vgpr85
; %bb.18:
	s_and_not1_saveexec_b32 s4, s4
; %bb.19:
	v_and_b32_e32 v83, 0xffff, v85
	v_or_b32_e32 v90, 0x10000, v85
	s_delay_alu instid0(VALU_DEP_2) | instskip(NEXT) | instid1(VALU_DEP_2)
	v_cmp_eq_u32_e32 vcc_lo, 0, v83
	v_cndmask_b32_e32 v83, v90, v85, vcc_lo
; %bb.20:
	s_or_b32 exec_lo, exec_lo, s4
	v_and_b32_e32 v85, 0x7f800000, v86
	s_delay_alu instid0(VALU_DEP_1) | instskip(SKIP_1) | instid1(SALU_CYCLE_1)
	v_cmp_ne_u32_e32 vcc_lo, 0x7f800000, v85
                                        ; implicit-def: $vgpr85
	s_and_saveexec_b32 s4, vcc_lo
	s_xor_b32 s4, exec_lo, s4
; %bb.21:
	v_bfe_u32 v85, v86, 16, 1
	s_delay_alu instid0(VALU_DEP_1)
	v_add3_u32 v85, v86, v85, 0x7fff
                                        ; implicit-def: $vgpr86
; %bb.22:
	s_and_not1_saveexec_b32 s4, s4
; %bb.23:
	v_and_b32_e32 v85, 0xffff, v86
	v_or_b32_e32 v90, 0x10000, v86
	s_delay_alu instid0(VALU_DEP_2) | instskip(NEXT) | instid1(VALU_DEP_2)
	v_cmp_eq_u32_e32 vcc_lo, 0, v85
	v_cndmask_b32_e32 v85, v90, v86, vcc_lo
; %bb.24:
	s_or_b32 exec_lo, exec_lo, s4
	v_and_b32_e32 v86, 0x7f800000, v89
	s_delay_alu instid0(VALU_DEP_1) | instskip(SKIP_1) | instid1(SALU_CYCLE_1)
	v_cmp_ne_u32_e32 vcc_lo, 0x7f800000, v86
                                        ; implicit-def: $vgpr86
	s_and_saveexec_b32 s4, vcc_lo
	s_xor_b32 s4, exec_lo, s4
; %bb.25:
	v_bfe_u32 v86, v89, 16, 1
	s_delay_alu instid0(VALU_DEP_1)
	v_add3_u32 v86, v89, v86, 0x7fff
                                        ; implicit-def: $vgpr89
; %bb.26:
	s_and_not1_saveexec_b32 s4, s4
; %bb.27:
	v_and_b32_e32 v86, 0xffff, v89
	v_or_b32_e32 v90, 0x10000, v89
	s_delay_alu instid0(VALU_DEP_2) | instskip(NEXT) | instid1(VALU_DEP_2)
	v_cmp_eq_u32_e32 vcc_lo, 0, v86
	v_cndmask_b32_e32 v86, v90, v89, vcc_lo
; %bb.28:
	s_or_b32 exec_lo, exec_lo, s4
	v_and_b32_e32 v89, 0x7f800000, v88
	s_delay_alu instid0(VALU_DEP_1) | instskip(SKIP_1) | instid1(SALU_CYCLE_1)
	v_cmp_ne_u32_e32 vcc_lo, 0x7f800000, v89
                                        ; implicit-def: $vgpr89
	s_and_saveexec_b32 s4, vcc_lo
	s_xor_b32 s4, exec_lo, s4
; %bb.29:
	v_bfe_u32 v89, v88, 16, 1
	s_delay_alu instid0(VALU_DEP_1)
	v_add3_u32 v89, v88, v89, 0x7fff
                                        ; implicit-def: $vgpr88
; %bb.30:
	s_and_not1_saveexec_b32 s4, s4
; %bb.31:
	v_and_b32_e32 v89, 0xffff, v88
	v_or_b32_e32 v90, 0x10000, v88
	s_delay_alu instid0(VALU_DEP_2) | instskip(NEXT) | instid1(VALU_DEP_2)
	v_cmp_eq_u32_e32 vcc_lo, 0, v89
	v_cndmask_b32_e32 v89, v90, v88, vcc_lo
; %bb.32:
	s_or_b32 exec_lo, exec_lo, s4
	v_and_b32_e32 v88, 0x7f800000, v87
	s_delay_alu instid0(VALU_DEP_1) | instskip(SKIP_1) | instid1(SALU_CYCLE_1)
	v_cmp_ne_u32_e32 vcc_lo, 0x7f800000, v88
                                        ; implicit-def: $vgpr88
	s_and_saveexec_b32 s4, vcc_lo
	s_xor_b32 s4, exec_lo, s4
; %bb.33:
	v_bfe_u32 v88, v87, 16, 1
	s_delay_alu instid0(VALU_DEP_1)
	v_add3_u32 v88, v87, v88, 0x7fff
                                        ; implicit-def: $vgpr87
; %bb.34:
	s_and_not1_saveexec_b32 s4, s4
; %bb.35:
	v_and_b32_e32 v88, 0xffff, v87
	v_or_b32_e32 v90, 0x10000, v87
	s_delay_alu instid0(VALU_DEP_2) | instskip(NEXT) | instid1(VALU_DEP_2)
	v_cmp_eq_u32_e32 vcc_lo, 0, v88
	v_cndmask_b32_e32 v88, v90, v87, vcc_lo
; %bb.36:
	s_or_b32 exec_lo, exec_lo, s4
	v_and_b32_e32 v87, 0x7f800000, v84
	s_delay_alu instid0(VALU_DEP_1) | instskip(SKIP_1) | instid1(SALU_CYCLE_1)
	v_cmp_ne_u32_e32 vcc_lo, 0x7f800000, v87
                                        ; implicit-def: $vgpr87
	s_and_saveexec_b32 s4, vcc_lo
	s_xor_b32 s4, exec_lo, s4
; %bb.37:
	v_bfe_u32 v87, v84, 16, 1
	s_delay_alu instid0(VALU_DEP_1)
	v_add3_u32 v87, v84, v87, 0x7fff
                                        ; implicit-def: $vgpr84
; %bb.38:
	s_and_not1_saveexec_b32 s4, s4
; %bb.39:
	v_and_b32_e32 v87, 0xffff, v84
	v_or_b32_e32 v90, 0x10000, v84
	s_delay_alu instid0(VALU_DEP_2) | instskip(NEXT) | instid1(VALU_DEP_2)
	v_cmp_eq_u32_e32 vcc_lo, 0, v87
	v_cndmask_b32_e32 v87, v90, v84, vcc_lo
; %bb.40:
	s_or_b32 exec_lo, exec_lo, s4
	v_and_b32_e32 v84, 0x7f800000, v80
	s_delay_alu instid0(VALU_DEP_1) | instskip(SKIP_1) | instid1(SALU_CYCLE_1)
	v_cmp_ne_u32_e32 vcc_lo, 0x7f800000, v84
                                        ; implicit-def: $vgpr84
	s_and_saveexec_b32 s4, vcc_lo
	s_xor_b32 s4, exec_lo, s4
; %bb.41:
	v_bfe_u32 v84, v80, 16, 1
	s_delay_alu instid0(VALU_DEP_1)
	v_add3_u32 v84, v80, v84, 0x7fff
                                        ; implicit-def: $vgpr80
; %bb.42:
	s_and_not1_saveexec_b32 s4, s4
; %bb.43:
	v_and_b32_e32 v84, 0xffff, v80
	v_or_b32_e32 v90, 0x10000, v80
	s_delay_alu instid0(VALU_DEP_2) | instskip(NEXT) | instid1(VALU_DEP_2)
	v_cmp_eq_u32_e32 vcc_lo, 0, v84
	v_cndmask_b32_e32 v84, v90, v80, vcc_lo
; %bb.44:
	s_or_b32 exec_lo, exec_lo, s4
	s_load_b64 s[36:37], s[0:1], 0x94
	v_lshlrev_b32_e32 v91, 4, v74
	s_delay_alu instid0(VALU_DEP_2)
	v_perm_b32 v90, v84, v87, 0x7060302
	v_dual_mul_f32 v79, v82, v79 :: v_dual_lshlrev_b32 v80, 6, v65
	v_dual_mul_f32 v77, v82, v77 :: v_dual_lshlrev_b32 v92, 11, v66
	v_mul_f32_e32 v84, v82, v70
	v_perm_b32 v89, v88, v89, 0x7060302
	v_perm_b32 v88, v86, v85, 0x7060302
	v_perm_b32 v87, v83, v76, 0x7060302
	v_mul_f32_e32 v70, v82, v81
	v_or3_b32 v76, v91, v92, v80
	v_dual_mul_f32 v78, v82, v78 :: v_dual_and_b32 v85, 0x7f800000, v84
	v_mul_f32_e32 v83, v82, v72
	v_mul_f32_e32 v81, v82, v71
	;; [unrolled: 1-line block ×3, first 2 shown]
	s_mov_b32 s4, exec_lo
	ds_store_b128 v76, v[87:90]
                                        ; implicit-def: $vgpr69
	v_cmpx_ne_u32_e32 0x7f800000, v85
	s_xor_b32 s4, exec_lo, s4
; %bb.45:
	v_bfe_u32 v69, v84, 16, 1
	s_delay_alu instid0(VALU_DEP_1)
	v_add3_u32 v69, v84, v69, 0x7fff
                                        ; implicit-def: $vgpr84
; %bb.46:
	s_and_not1_saveexec_b32 s4, s4
; %bb.47:
	v_and_b32_e32 v69, 0xffff, v84
	v_or_b32_e32 v71, 0x10000, v84
	s_delay_alu instid0(VALU_DEP_2) | instskip(NEXT) | instid1(VALU_DEP_2)
	v_cmp_eq_u32_e32 vcc_lo, 0, v69
	v_cndmask_b32_e32 v69, v71, v84, vcc_lo
; %bb.48:
	s_or_b32 exec_lo, exec_lo, s4
	v_and_b32_e32 v71, 0x7f800000, v72
	s_delay_alu instid0(VALU_DEP_1) | instskip(SKIP_1) | instid1(SALU_CYCLE_1)
	v_cmp_ne_u32_e32 vcc_lo, 0x7f800000, v71
                                        ; implicit-def: $vgpr71
	s_and_saveexec_b32 s4, vcc_lo
	s_xor_b32 s4, exec_lo, s4
; %bb.49:
	v_bfe_u32 v71, v72, 16, 1
	s_delay_alu instid0(VALU_DEP_1)
	v_add3_u32 v71, v72, v71, 0x7fff
                                        ; implicit-def: $vgpr72
; %bb.50:
	s_and_not1_saveexec_b32 s4, s4
; %bb.51:
	v_and_b32_e32 v71, 0xffff, v72
	v_or_b32_e32 v82, 0x10000, v72
	s_delay_alu instid0(VALU_DEP_2) | instskip(NEXT) | instid1(VALU_DEP_2)
	v_cmp_eq_u32_e32 vcc_lo, 0, v71
	v_cndmask_b32_e32 v71, v82, v72, vcc_lo
; %bb.52:
	s_or_b32 exec_lo, exec_lo, s4
	v_and_b32_e32 v72, 0x7f800000, v81
	s_delay_alu instid0(VALU_DEP_1) | instskip(SKIP_1) | instid1(SALU_CYCLE_1)
	v_cmp_ne_u32_e32 vcc_lo, 0x7f800000, v72
                                        ; implicit-def: $vgpr72
	s_and_saveexec_b32 s4, vcc_lo
	s_xor_b32 s4, exec_lo, s4
; %bb.53:
	v_bfe_u32 v72, v81, 16, 1
	s_delay_alu instid0(VALU_DEP_1)
	v_add3_u32 v72, v81, v72, 0x7fff
                                        ; implicit-def: $vgpr81
; %bb.54:
	s_and_not1_saveexec_b32 s4, s4
; %bb.55:
	v_and_b32_e32 v72, 0xffff, v81
	v_or_b32_e32 v82, 0x10000, v81
	s_delay_alu instid0(VALU_DEP_2) | instskip(NEXT) | instid1(VALU_DEP_2)
	v_cmp_eq_u32_e32 vcc_lo, 0, v72
	v_cndmask_b32_e32 v72, v82, v81, vcc_lo
; %bb.56:
	s_or_b32 exec_lo, exec_lo, s4
	v_and_b32_e32 v81, 0x7f800000, v83
	s_delay_alu instid0(VALU_DEP_1) | instskip(SKIP_1) | instid1(SALU_CYCLE_1)
	v_cmp_ne_u32_e32 vcc_lo, 0x7f800000, v81
                                        ; implicit-def: $vgpr81
	s_and_saveexec_b32 s4, vcc_lo
	s_xor_b32 s4, exec_lo, s4
; %bb.57:
	v_bfe_u32 v81, v83, 16, 1
	s_delay_alu instid0(VALU_DEP_1)
	v_add3_u32 v81, v83, v81, 0x7fff
                                        ; implicit-def: $vgpr83
; %bb.58:
	s_and_not1_saveexec_b32 s4, s4
; %bb.59:
	v_and_b32_e32 v81, 0xffff, v83
	v_or_b32_e32 v82, 0x10000, v83
	s_delay_alu instid0(VALU_DEP_2) | instskip(NEXT) | instid1(VALU_DEP_2)
	v_cmp_eq_u32_e32 vcc_lo, 0, v81
	v_cndmask_b32_e32 v81, v82, v83, vcc_lo
; %bb.60:
	s_or_b32 exec_lo, exec_lo, s4
	v_and_b32_e32 v82, 0x7f800000, v77
	s_delay_alu instid0(VALU_DEP_1) | instskip(SKIP_1) | instid1(SALU_CYCLE_1)
	v_cmp_ne_u32_e32 vcc_lo, 0x7f800000, v82
                                        ; implicit-def: $vgpr82
	s_and_saveexec_b32 s4, vcc_lo
	s_xor_b32 s4, exec_lo, s4
; %bb.61:
	v_bfe_u32 v82, v77, 16, 1
	s_delay_alu instid0(VALU_DEP_1)
	v_add3_u32 v82, v77, v82, 0x7fff
                                        ; implicit-def: $vgpr77
; %bb.62:
	s_and_not1_saveexec_b32 s4, s4
; %bb.63:
	v_and_b32_e32 v82, 0xffff, v77
	v_or_b32_e32 v83, 0x10000, v77
	s_delay_alu instid0(VALU_DEP_2) | instskip(NEXT) | instid1(VALU_DEP_2)
	v_cmp_eq_u32_e32 vcc_lo, 0, v82
	v_cndmask_b32_e32 v82, v83, v77, vcc_lo
; %bb.64:
	s_or_b32 exec_lo, exec_lo, s4
	v_and_b32_e32 v77, 0x7f800000, v78
	s_delay_alu instid0(VALU_DEP_1) | instskip(SKIP_1) | instid1(SALU_CYCLE_1)
	v_cmp_ne_u32_e32 vcc_lo, 0x7f800000, v77
                                        ; implicit-def: $vgpr77
	s_and_saveexec_b32 s4, vcc_lo
	s_xor_b32 s4, exec_lo, s4
; %bb.65:
	v_bfe_u32 v77, v78, 16, 1
	s_delay_alu instid0(VALU_DEP_1)
	v_add3_u32 v77, v78, v77, 0x7fff
                                        ; implicit-def: $vgpr78
; %bb.66:
	s_and_not1_saveexec_b32 s4, s4
; %bb.67:
	v_and_b32_e32 v77, 0xffff, v78
	v_or_b32_e32 v83, 0x10000, v78
	s_delay_alu instid0(VALU_DEP_2) | instskip(NEXT) | instid1(VALU_DEP_2)
	v_cmp_eq_u32_e32 vcc_lo, 0, v77
	v_cndmask_b32_e32 v77, v83, v78, vcc_lo
; %bb.68:
	s_or_b32 exec_lo, exec_lo, s4
	v_and_b32_e32 v78, 0x7f800000, v79
	s_delay_alu instid0(VALU_DEP_1) | instskip(SKIP_1) | instid1(SALU_CYCLE_1)
	v_cmp_ne_u32_e32 vcc_lo, 0x7f800000, v78
                                        ; implicit-def: $vgpr78
	s_and_saveexec_b32 s4, vcc_lo
	s_xor_b32 s4, exec_lo, s4
; %bb.69:
	v_bfe_u32 v78, v79, 16, 1
	s_delay_alu instid0(VALU_DEP_1)
	v_add3_u32 v78, v79, v78, 0x7fff
                                        ; implicit-def: $vgpr79
; %bb.70:
	s_and_not1_saveexec_b32 s4, s4
; %bb.71:
	v_and_b32_e32 v78, 0xffff, v79
	v_or_b32_e32 v83, 0x10000, v79
	s_delay_alu instid0(VALU_DEP_2) | instskip(NEXT) | instid1(VALU_DEP_2)
	v_cmp_eq_u32_e32 vcc_lo, 0, v78
	v_cndmask_b32_e32 v78, v83, v79, vcc_lo
; %bb.72:
	s_or_b32 exec_lo, exec_lo, s4
	v_and_b32_e32 v79, 0x7f800000, v70
	s_delay_alu instid0(VALU_DEP_1) | instskip(SKIP_1) | instid1(SALU_CYCLE_1)
	v_cmp_ne_u32_e32 vcc_lo, 0x7f800000, v79
                                        ; implicit-def: $vgpr79
	s_and_saveexec_b32 s4, vcc_lo
	s_xor_b32 s4, exec_lo, s4
; %bb.73:
	v_bfe_u32 v79, v70, 16, 1
	s_delay_alu instid0(VALU_DEP_1)
	v_add3_u32 v79, v70, v79, 0x7fff
                                        ; implicit-def: $vgpr70
; %bb.74:
	s_and_not1_saveexec_b32 s4, s4
; %bb.75:
	v_and_b32_e32 v79, 0xffff, v70
	v_or_b32_e32 v83, 0x10000, v70
	s_delay_alu instid0(VALU_DEP_2) | instskip(NEXT) | instid1(VALU_DEP_2)
	v_cmp_eq_u32_e32 vcc_lo, 0, v79
	v_cndmask_b32_e32 v79, v83, v70, vcc_lo
; %bb.76:
	s_or_b32 exec_lo, exec_lo, s4
	s_delay_alu instid0(VALU_DEP_1)
	v_perm_b32 v86, v79, v78, 0x7060302
	v_perm_b32 v85, v77, v82, 0x7060302
	;; [unrolled: 1-line block ×4, first 2 shown]
	v_lshl_or_b32 v82, v66, 11, v80
	ds_store_b128 v76, v[83:86] offset:1024
	s_waitcnt lgkmcnt(0)
	s_barrier
	buffer_gl0_inv
	ds_load_b128 v[69:72], v82
	ds_load_b128 v[83:86], v82 offset:16
	s_waitcnt lgkmcnt(1)
	v_lshrrev_b32_e32 v66, 16, v69
	s_waitcnt lgkmcnt(0)
	v_lshrrev_b32_e32 v91, 16, v83
	v_lshlrev_b32_e32 v78, 2, v74
	v_lshrrev_b32_e32 v95, 16, v70
	v_lshrrev_b32_e32 v98, 16, v84
	v_lshrrev_b32_e32 v96, 16, v71
	v_lshrrev_b32_e32 v99, 16, v85
	v_cmp_eq_u32_e32 vcc_lo, 1, v78
	v_lshrrev_b32_e32 v97, 16, v72
	v_lshrrev_b32_e32 v100, 16, v86
	v_cndmask_b32_e32 v87, v83, v91, vcc_lo
	v_or_b32_e32 v79, 1, v78
	v_cndmask_b32_e32 v81, v69, v66, vcc_lo
	v_cmp_eq_u32_e64 s5, 2, v78
	v_cmp_eq_u32_e64 s8, 3, v78
	;; [unrolled: 1-line block ×5, first 2 shown]
	v_cndmask_b32_e64 v81, v81, v70, s5
	v_cndmask_b32_e64 v87, v87, v84, s5
	v_cmp_eq_u32_e64 s9, 3, v79
	v_cndmask_b32_e64 v88, v69, v66, s4
	v_or_b32_e32 v77, 2, v78
	v_cndmask_b32_e64 v81, v81, v95, s8
	v_cndmask_b32_e64 v87, v87, v98, s8
	;; [unrolled: 1-line block ×4, first 2 shown]
	v_cmp_eq_u32_e64 s11, 5, v78
	v_cndmask_b32_e64 v81, v81, v71, s10
	v_cndmask_b32_e64 v87, v87, v85, s10
	v_cmp_eq_u32_e64 s12, 4, v79
	v_cndmask_b32_e64 v88, v88, v95, s9
	v_cmp_eq_u32_e64 s6, 1, v77
	v_cndmask_b32_e64 v89, v89, v84, s7
	v_cndmask_b32_e64 v81, v81, v96, s11
	v_cmp_eq_u32_e64 s13, 6, v78
	v_cndmask_b32_e64 v88, v88, v71, s12
	;; [unrolled: 3-line block ×3, first 2 shown]
	v_cndmask_b32_e64 v89, v89, v98, s9
	v_cndmask_b32_e64 v81, v81, v72, s13
	v_cmp_eq_u32_e64 s16, 7, v78
	v_cndmask_b32_e64 v88, v88, v96, s15
	v_cndmask_b32_e64 v87, v87, v86, s13
	v_cmp_eq_u32_e64 s17, 6, v79
	v_cmp_eq_u32_e64 s18, 2, v77
	v_cndmask_b32_e64 v89, v89, v85, s12
	v_cndmask_b32_e64 v101, v81, v97, s16
	v_cndmask_b32_e64 v102, v87, v100, s16
	v_cndmask_b32_e64 v88, v88, v72, s17
	v_cndmask_b32_e64 v81, v90, v70, s18
	v_cndmask_b32_e64 v87, v83, v91, s6
	v_cmp_eq_u32_e64 s19, 7, v79
	v_cmp_eq_u32_e64 s20, 3, v77
	;; [unrolled: 1-line block ×4, first 2 shown]
	v_cndmask_b32_e64 v87, v87, v84, s18
	v_cndmask_b32_e64 v103, v88, v97, s19
	;; [unrolled: 1-line block ×4, first 2 shown]
	v_or_b32_e32 v81, 3, v78
	v_cndmask_b32_e64 v93, v87, v98, s20
	v_cmp_eq_u32_e64 s25, 6, v77
	v_cndmask_b32_e64 v104, v88, v86, s17
	v_cndmask_b32_e64 v92, v89, v71, s21
	v_cmp_eq_u32_e64 s22, 1, v81
	ds_load_b128 v[87:90], v82 offset:1024
	v_cmp_eq_u32_e64 s24, 2, v81
	v_cmp_eq_u32_e64 s26, 3, v81
	v_cndmask_b32_e64 v105, v92, v96, s23
	v_cndmask_b32_e64 v66, v69, v66, s22
	;; [unrolled: 1-line block ×4, first 2 shown]
	ds_load_b128 v[91:94], v82 offset:1040
	v_cmp_eq_u32_e64 s27, 4, v81
	v_cndmask_b32_e64 v66, v66, v70, s24
	v_cmp_eq_u32_e64 s28, 7, v77
	v_cndmask_b32_e64 v70, v83, v84, s24
	v_cndmask_b32_e64 v84, v105, v72, s25
	v_cmp_eq_u32_e64 s29, 5, v81
	v_cndmask_b32_e64 v66, v66, v95, s26
	v_cmp_eq_u32_e64 s30, 6, v81
	v_cndmask_b32_e64 v70, v70, v98, s26
	v_cndmask_b32_e64 v69, v69, v99, s23
	;; [unrolled: 1-line block ×4, first 2 shown]
	s_waitcnt lgkmcnt(1)
	v_lshrrev_b32_e32 v95, 16, v87
	v_cndmask_b32_e64 v70, v70, v85, s27
	v_cndmask_b32_e64 v71, v84, v97, s28
	;; [unrolled: 1-line block ×4, first 2 shown]
	v_cndmask_b32_e32 v84, v87, v95, vcc_lo
	v_cndmask_b32_e64 v70, v70, v99, s29
	s_waitcnt lgkmcnt(0)
	v_lshrrev_b32_e32 v85, 16, v91
	v_lshrrev_b32_e32 v96, 16, v88
	v_cndmask_b32_e64 v98, v87, v95, s4
	v_cndmask_b32_e64 v84, v84, v88, s5
	;; [unrolled: 1-line block ×3, first 2 shown]
	v_cndmask_b32_e32 v99, v91, v85, vcc_lo
	v_cmp_eq_u32_e32 vcc_lo, 7, v81
	v_cndmask_b32_e64 v66, v66, v72, s30
	v_cndmask_b32_e64 v72, v84, v96, s8
	;; [unrolled: 1-line block ×3, first 2 shown]
	v_lshrrev_b32_e32 v98, 16, v92
	v_cndmask_b32_e32 v70, v70, v100, vcc_lo
	v_cndmask_b32_e64 v86, v99, v92, s5
	v_cndmask_b32_e64 v69, v69, v100, s28
	v_lshrrev_b32_e32 v100, 16, v93
	v_cndmask_b32_e64 v72, v72, v89, s10
	v_lshrrev_b32_e32 v99, 16, v89
	v_cndmask_b32_e64 v86, v86, v98, s8
	v_perm_b32 v71, v69, v71, 0x5040100
	v_cndmask_b32_e64 v84, v84, v96, s9
	s_delay_alu instid0(VALU_DEP_3) | instskip(NEXT) | instid1(VALU_DEP_2)
	v_cndmask_b32_e64 v86, v86, v93, s10
	v_cndmask_b32_e64 v84, v84, v89, s12
	s_delay_alu instid0(VALU_DEP_2) | instskip(NEXT) | instid1(VALU_DEP_1)
	v_cndmask_b32_e64 v86, v86, v100, s11
	v_cndmask_b32_e64 v69, v86, v94, s13
	;; [unrolled: 1-line block ×5, first 2 shown]
	s_delay_alu instid0(VALU_DEP_3) | instskip(NEXT) | instid1(VALU_DEP_3)
	v_cndmask_b32_e64 v86, v86, v88, s18
	v_cndmask_b32_e64 v87, v87, v88, s24
	s_delay_alu instid0(VALU_DEP_3) | instskip(NEXT) | instid1(VALU_DEP_3)
	v_cndmask_b32_e64 v88, v95, v92, s24
	v_cndmask_b32_e64 v86, v86, v96, s20
	;; [unrolled: 3-line block ×7, first 2 shown]
	s_delay_alu instid0(VALU_DEP_3) | instskip(SKIP_2) | instid1(VALU_DEP_2)
	v_cndmask_b32_e64 v88, v88, v94, s30
	v_cndmask_b32_e32 v66, v66, v97, vcc_lo
	v_cndmask_b32_e64 v97, v72, v99, s11
	v_perm_b32 v72, v70, v66, 0x5040100
	v_perm_b32 v70, v83, v103, 0x5040100
	v_cndmask_b32_e64 v103, v91, v85, s6
	v_cndmask_b32_e64 v85, v91, v85, s4
	;; [unrolled: 1-line block ×4, first 2 shown]
	v_lshrrev_b32_e32 v97, 16, v90
	v_cndmask_b32_e64 v91, v103, v92, s18
	v_cndmask_b32_e64 v85, v85, v92, s7
	;; [unrolled: 1-line block ×3, first 2 shown]
	s_mov_b32 s4, exec_lo
	v_cndmask_b32_e64 v83, v84, v97, s16
	v_cndmask_b32_e64 v91, v91, v98, s20
	v_cndmask_b32_e64 v85, v85, v98, s9
	v_lshrrev_b32_e32 v84, 16, v94
	v_cndmask_b32_e64 v66, v66, v97, s19
	v_cndmask_b32_e64 v90, v86, v97, s28
	;; [unrolled: 1-line block ×4, first 2 shown]
	v_dual_cndmask_b32 v86, v87, v97 :: v_dual_cndmask_b32 v87, v88, v84
	v_cndmask_b32_e64 v91, v69, v84, s16
	s_delay_alu instid0(VALU_DEP_4) | instskip(NEXT) | instid1(VALU_DEP_4)
	v_cndmask_b32_e64 v89, v89, v100, s23
	v_cndmask_b32_e64 v85, v85, v100, s15
	v_perm_b32 v69, v102, v101, 0x5040100
	v_perm_b32 v86, v87, v86, 0x5040100
	;; [unrolled: 1-line block ×3, first 2 shown]
	v_cndmask_b32_e64 v89, v89, v94, s25
	v_cndmask_b32_e64 v85, v85, v94, s17
	s_mul_i32 s9, s37, 11
	s_delay_alu instid0(VALU_DEP_2) | instskip(NEXT) | instid1(VALU_DEP_2)
	v_cndmask_b32_e64 v88, v89, v84, s28
	v_cndmask_b32_e64 v89, v85, v84, s19
	s_delay_alu instid0(VALU_DEP_2) | instskip(NEXT) | instid1(VALU_DEP_2)
	v_perm_b32 v85, v88, v90, 0x5040100
	v_perm_b32 v84, v89, v66, 0x5040100
	ds_store_b128 v76, v[69:72]
	ds_store_b128 v76, v[83:86] offset:1024
	v_cmpx_gt_u32_e32 11, v0
	s_cbranch_execz .LBB1768_78
; %bb.77:
	s_mul_i32 s5, s9, s34
	s_load_b128 s[16:19], s[0:1], 0x58
	v_add3_u32 v69, s5, s31, v65
	s_delay_alu instid0(VALU_DEP_1) | instskip(NEXT) | instid1(VALU_DEP_1)
	v_mad_u64_u32 v[65:66], null, v69, s36, s[14:15]
	v_ashrrev_i32_e32 v66, 31, v65
	s_delay_alu instid0(VALU_DEP_1) | instskip(SKIP_1) | instid1(VALU_DEP_1)
	v_lshlrev_b64 v[65:66], 2, v[65:66]
	s_waitcnt lgkmcnt(0)
	v_add_co_u32 v69, vcc_lo, s18, v65
	s_delay_alu instid0(VALU_DEP_2)
	v_add_co_ci_u32_e32 v70, vcc_lo, s19, v66, vcc_lo
	v_add_co_u32 v65, vcc_lo, s16, v65
	v_add_co_ci_u32_e32 v66, vcc_lo, s17, v66, vcc_lo
	global_store_b32 v[69:70], v67, off
	global_store_b32 v[65:66], v68, off
.LBB1768_78:
	s_or_b32 exec_lo, exec_lo, s4
	s_waitcnt lgkmcnt(0)
	s_waitcnt_vscnt null, 0x0
	s_barrier
	buffer_gl0_inv
	ds_load_b128 v[83:86], v80
	ds_load_b128 v[87:90], v80 offset:16
	ds_load_b128 v[95:98], v80 offset:2064
	;; [unrolled: 1-line block ×3, first 2 shown]
	v_mov_b32_e32 v65, 0
	ds_load_b128 v[103:106], v80 offset:4112
	ds_load_b128 v[99:102], v80 offset:4096
	;; [unrolled: 1-line block ×4, first 2 shown]
	v_mov_b32_e32 v66, v65
	v_mov_b32_e32 v67, v65
	;; [unrolled: 1-line block ×7, first 2 shown]
	s_waitcnt lgkmcnt(6)
	s_delay_alu instid0(VALU_DEP_1)
	v_wmma_f32_16x16x16_bf16 v[65:72], v[57:64], v[83:90], v[65:72]
	ds_load_b128 v[61:64], v80 offset:8208
	ds_load_b128 v[57:60], v80 offset:8192
	s_waitcnt lgkmcnt(6)
	v_wmma_f32_16x16x16_bf16 v[65:72], v[41:48], v[91:98], v[65:72]
	ds_load_b128 v[45:48], v80 offset:10256
	ds_load_b128 v[41:44], v80 offset:10240
	s_waitcnt lgkmcnt(6)
	v_wmma_f32_16x16x16_bf16 v[65:72], v[33:40], v[99:106], v[65:72]
	ds_load_b128 v[37:40], v80 offset:12304
	ds_load_b128 v[33:36], v80 offset:12288
	s_waitcnt lgkmcnt(6)
	v_wmma_f32_16x16x16_bf16 v[65:72], v[25:32], v[107:114], v[65:72]
	ds_load_b128 v[29:32], v80 offset:14352
	ds_load_b128 v[25:28], v80 offset:14336
	s_waitcnt lgkmcnt(6)
	v_wmma_f32_16x16x16_bf16 v[65:72], v[1:8], v[57:64], v[65:72]
	s_waitcnt lgkmcnt(4)
	s_delay_alu instid0(VALU_DEP_1) | instskip(SKIP_1) | instid1(VALU_DEP_1)
	v_wmma_f32_16x16x16_bf16 v[65:72], v[9:16], v[41:48], v[65:72]
	s_waitcnt lgkmcnt(2)
	v_wmma_f32_16x16x16_bf16 v[65:72], v[17:24], v[33:40], v[65:72]
	s_waitcnt lgkmcnt(0)
	s_delay_alu instid0(VALU_DEP_1) | instskip(NEXT) | instid1(VALU_DEP_1)
	v_wmma_f32_16x16x16_bf16 v[65:72], v[49:56], v[25:32], v[65:72]
	v_and_b32_e32 v1, 0x7f800000, v65
	s_delay_alu instid0(VALU_DEP_1) | instskip(SKIP_1) | instid1(SALU_CYCLE_1)
	v_cmp_ne_u32_e32 vcc_lo, 0x7f800000, v1
                                        ; implicit-def: $vgpr1
	s_and_saveexec_b32 s4, vcc_lo
	s_xor_b32 s4, exec_lo, s4
; %bb.79:
	v_bfe_u32 v1, v65, 16, 1
	s_delay_alu instid0(VALU_DEP_1)
	v_add3_u32 v1, v65, v1, 0x7fff
; %bb.80:
	s_and_not1_saveexec_b32 s4, s4
; %bb.81:
	v_and_b32_e32 v1, 0xffff, v65
	v_or_b32_e32 v2, 0x10000, v65
	s_delay_alu instid0(VALU_DEP_2) | instskip(NEXT) | instid1(VALU_DEP_2)
	v_cmp_eq_u32_e32 vcc_lo, 0, v1
	v_cndmask_b32_e32 v1, v2, v65, vcc_lo
; %bb.82:
	s_or_b32 exec_lo, exec_lo, s4
	v_and_b32_e32 v2, 0x7f800000, v66
	s_delay_alu instid0(VALU_DEP_1) | instskip(SKIP_1) | instid1(SALU_CYCLE_1)
	v_cmp_ne_u32_e32 vcc_lo, 0x7f800000, v2
                                        ; implicit-def: $vgpr2
	s_and_saveexec_b32 s4, vcc_lo
	s_xor_b32 s4, exec_lo, s4
; %bb.83:
	v_bfe_u32 v2, v66, 16, 1
	s_delay_alu instid0(VALU_DEP_1)
	v_add3_u32 v2, v66, v2, 0x7fff
; %bb.84:
	s_and_not1_saveexec_b32 s4, s4
; %bb.85:
	v_and_b32_e32 v2, 0xffff, v66
	v_or_b32_e32 v3, 0x10000, v66
	s_delay_alu instid0(VALU_DEP_2) | instskip(NEXT) | instid1(VALU_DEP_2)
	v_cmp_eq_u32_e32 vcc_lo, 0, v2
	v_cndmask_b32_e32 v2, v3, v66, vcc_lo
; %bb.86:
	s_or_b32 exec_lo, exec_lo, s4
	v_and_b32_e32 v3, 0x7f800000, v67
	s_delay_alu instid0(VALU_DEP_1) | instskip(SKIP_1) | instid1(SALU_CYCLE_1)
	v_cmp_ne_u32_e32 vcc_lo, 0x7f800000, v3
                                        ; implicit-def: $vgpr3
	s_and_saveexec_b32 s4, vcc_lo
	s_xor_b32 s4, exec_lo, s4
; %bb.87:
	v_bfe_u32 v3, v67, 16, 1
	s_delay_alu instid0(VALU_DEP_1)
	v_add3_u32 v3, v67, v3, 0x7fff
; %bb.88:
	s_and_not1_saveexec_b32 s4, s4
; %bb.89:
	v_and_b32_e32 v3, 0xffff, v67
	v_or_b32_e32 v4, 0x10000, v67
	s_delay_alu instid0(VALU_DEP_2) | instskip(NEXT) | instid1(VALU_DEP_2)
	v_cmp_eq_u32_e32 vcc_lo, 0, v3
	v_cndmask_b32_e32 v3, v4, v67, vcc_lo
; %bb.90:
	s_or_b32 exec_lo, exec_lo, s4
	v_and_b32_e32 v4, 0x7f800000, v68
	s_delay_alu instid0(VALU_DEP_1) | instskip(SKIP_1) | instid1(SALU_CYCLE_1)
	v_cmp_ne_u32_e32 vcc_lo, 0x7f800000, v4
                                        ; implicit-def: $vgpr4
	s_and_saveexec_b32 s4, vcc_lo
	s_xor_b32 s4, exec_lo, s4
; %bb.91:
	v_bfe_u32 v4, v68, 16, 1
	s_delay_alu instid0(VALU_DEP_1)
	v_add3_u32 v4, v68, v4, 0x7fff
; %bb.92:
	s_and_not1_saveexec_b32 s4, s4
; %bb.93:
	v_and_b32_e32 v4, 0xffff, v68
	v_or_b32_e32 v5, 0x10000, v68
	s_delay_alu instid0(VALU_DEP_2) | instskip(NEXT) | instid1(VALU_DEP_2)
	v_cmp_eq_u32_e32 vcc_lo, 0, v4
	v_cndmask_b32_e32 v4, v5, v68, vcc_lo
; %bb.94:
	s_or_b32 exec_lo, exec_lo, s4
	v_and_b32_e32 v5, 0x7f800000, v69
	s_delay_alu instid0(VALU_DEP_1) | instskip(SKIP_1) | instid1(SALU_CYCLE_1)
	v_cmp_ne_u32_e32 vcc_lo, 0x7f800000, v5
                                        ; implicit-def: $vgpr5
	s_and_saveexec_b32 s4, vcc_lo
	s_xor_b32 s4, exec_lo, s4
; %bb.95:
	v_bfe_u32 v5, v69, 16, 1
	s_delay_alu instid0(VALU_DEP_1)
	v_add3_u32 v5, v69, v5, 0x7fff
; %bb.96:
	s_and_not1_saveexec_b32 s4, s4
; %bb.97:
	v_and_b32_e32 v5, 0xffff, v69
	v_or_b32_e32 v6, 0x10000, v69
	s_delay_alu instid0(VALU_DEP_2) | instskip(NEXT) | instid1(VALU_DEP_2)
	v_cmp_eq_u32_e32 vcc_lo, 0, v5
	v_cndmask_b32_e32 v5, v6, v69, vcc_lo
; %bb.98:
	s_or_b32 exec_lo, exec_lo, s4
	v_and_b32_e32 v6, 0x7f800000, v70
	s_delay_alu instid0(VALU_DEP_1) | instskip(SKIP_1) | instid1(SALU_CYCLE_1)
	v_cmp_ne_u32_e32 vcc_lo, 0x7f800000, v6
                                        ; implicit-def: $vgpr6
	s_and_saveexec_b32 s4, vcc_lo
	s_xor_b32 s4, exec_lo, s4
; %bb.99:
	v_bfe_u32 v6, v70, 16, 1
	s_delay_alu instid0(VALU_DEP_1)
	v_add3_u32 v6, v70, v6, 0x7fff
; %bb.100:
	s_and_not1_saveexec_b32 s4, s4
; %bb.101:
	v_and_b32_e32 v6, 0xffff, v70
	v_or_b32_e32 v7, 0x10000, v70
	s_delay_alu instid0(VALU_DEP_2) | instskip(NEXT) | instid1(VALU_DEP_2)
	v_cmp_eq_u32_e32 vcc_lo, 0, v6
	v_cndmask_b32_e32 v6, v7, v70, vcc_lo
; %bb.102:
	s_or_b32 exec_lo, exec_lo, s4
	v_and_b32_e32 v7, 0x7f800000, v71
	s_delay_alu instid0(VALU_DEP_1) | instskip(SKIP_1) | instid1(SALU_CYCLE_1)
	v_cmp_ne_u32_e32 vcc_lo, 0x7f800000, v7
                                        ; implicit-def: $vgpr7
	s_and_saveexec_b32 s4, vcc_lo
	s_xor_b32 s4, exec_lo, s4
; %bb.103:
	v_bfe_u32 v7, v71, 16, 1
	s_delay_alu instid0(VALU_DEP_1)
	v_add3_u32 v7, v71, v7, 0x7fff
; %bb.104:
	s_and_not1_saveexec_b32 s4, s4
; %bb.105:
	v_and_b32_e32 v7, 0xffff, v71
	v_or_b32_e32 v8, 0x10000, v71
	s_delay_alu instid0(VALU_DEP_2) | instskip(NEXT) | instid1(VALU_DEP_2)
	v_cmp_eq_u32_e32 vcc_lo, 0, v7
	v_cndmask_b32_e32 v7, v8, v71, vcc_lo
; %bb.106:
	s_or_b32 exec_lo, exec_lo, s4
	v_and_b32_e32 v8, 0x7f800000, v72
	s_delay_alu instid0(VALU_DEP_1) | instskip(SKIP_1) | instid1(SALU_CYCLE_1)
	v_cmp_ne_u32_e32 vcc_lo, 0x7f800000, v8
                                        ; implicit-def: $vgpr8
	s_and_saveexec_b32 s4, vcc_lo
	s_xor_b32 s4, exec_lo, s4
; %bb.107:
	v_bfe_u32 v8, v72, 16, 1
	s_delay_alu instid0(VALU_DEP_1)
	v_add3_u32 v8, v72, v8, 0x7fff
                                        ; implicit-def: $vgpr65_vgpr66_vgpr67_vgpr68_vgpr69_vgpr70_vgpr71_vgpr72
; %bb.108:
	s_and_not1_saveexec_b32 s4, s4
; %bb.109:
	v_and_b32_e32 v8, 0xffff, v72
	v_or_b32_e32 v9, 0x10000, v72
	s_delay_alu instid0(VALU_DEP_2) | instskip(NEXT) | instid1(VALU_DEP_2)
	v_cmp_eq_u32_e32 vcc_lo, 0, v8
	v_cndmask_b32_e32 v8, v9, v72, vcc_lo
; %bb.110:
	s_or_b32 exec_lo, exec_lo, s4
	s_delay_alu instid0(VALU_DEP_1)
	v_perm_b32 v7, v8, v7, 0x7060302
	v_perm_b32 v6, v6, v5, 0x7060302
	;; [unrolled: 1-line block ×4, first 2 shown]
	s_barrier
	buffer_gl0_inv
	v_cmp_eq_u32_e32 vcc_lo, 1, v78
	ds_store_b128 v76, v[4:7]
	s_waitcnt lgkmcnt(0)
	s_barrier
	buffer_gl0_inv
	ds_load_b128 v[1:4], v82
	ds_load_b128 v[5:8], v82 offset:16
	v_cmp_eq_u32_e64 s4, 1, v79
	v_cmp_eq_u32_e64 s5, 2, v78
	;; [unrolled: 1-line block ×5, first 2 shown]
	s_waitcnt lgkmcnt(1)
	v_lshrrev_b32_e32 v9, 16, v1
	s_waitcnt lgkmcnt(0)
	v_lshrrev_b32_e32 v13, 16, v5
	v_lshrrev_b32_e32 v10, 16, v2
	;; [unrolled: 1-line block ×4, first 2 shown]
	v_cndmask_b32_e64 v19, v1, v9, s4
	v_cndmask_b32_e32 v18, v5, v13, vcc_lo
	v_cndmask_b32_e64 v20, v5, v13, s4
	v_cndmask_b32_e32 v17, v1, v9, vcc_lo
	v_cmp_eq_u32_e32 vcc_lo, 2, v79
	v_lshrrev_b32_e32 v15, 16, v7
	v_cmp_eq_u32_e64 s4, 1, v77
	v_lshrrev_b32_e32 v12, 16, v4
	v_lshrrev_b32_e32 v16, 16, v8
	v_cndmask_b32_e32 v20, v20, v6, vcc_lo
	v_cndmask_b32_e64 v17, v17, v2, s5
	v_cndmask_b32_e32 v19, v19, v2, vcc_lo
	v_cndmask_b32_e64 v18, v18, v6, s5
	v_cmp_eq_u32_e32 vcc_lo, 4, v78
	v_cmp_eq_u32_e64 s5, 3, v79
	v_cndmask_b32_e64 v17, v17, v10, s6
	v_cndmask_b32_e64 v21, v1, v9, s4
	;; [unrolled: 1-line block ×5, first 2 shown]
	v_cndmask_b32_e32 v17, v17, v3, vcc_lo
	v_cndmask_b32_e64 v20, v20, v14, s5
	v_cndmask_b32_e32 v18, v18, v7, vcc_lo
	v_cmp_eq_u32_e32 vcc_lo, 4, v79
	v_cmp_eq_u32_e64 s5, 5, v79
	v_cmp_eq_u32_e64 s4, 2, v81
	v_cndmask_b32_e64 v21, v21, v2, s8
	v_cmp_eq_u32_e64 s6, 5, v78
	v_cndmask_b32_e32 v19, v19, v3, vcc_lo
	v_cndmask_b32_e32 v20, v20, v7, vcc_lo
	v_cmp_eq_u32_e32 vcc_lo, 6, v79
	s_delay_alu instid0(VALU_DEP_4) | instskip(NEXT) | instid1(VALU_DEP_4)
	v_cndmask_b32_e64 v17, v17, v11, s6
	v_cndmask_b32_e64 v19, v19, v11, s5
	s_delay_alu instid0(VALU_DEP_4) | instskip(SKIP_1) | instid1(VALU_DEP_3)
	v_cndmask_b32_e64 v20, v20, v15, s5
	v_cmp_eq_u32_e64 s5, 1, v81
	v_cndmask_b32_e32 v19, v19, v4, vcc_lo
	v_cndmask_b32_e64 v18, v18, v15, s6
	s_delay_alu instid0(VALU_DEP_3)
	v_cndmask_b32_e64 v1, v1, v9, s5
	v_cndmask_b32_e64 v5, v5, v13, s5
	v_cmp_eq_u32_e64 s5, 3, v77
	v_cndmask_b32_e64 v13, v22, v6, s8
	v_cmp_eq_u32_e64 s8, 3, v81
	v_cndmask_b32_e64 v1, v1, v2, s4
	v_cndmask_b32_e64 v2, v5, v6, s4
	;; [unrolled: 1-line block ×3, first 2 shown]
	v_cmp_eq_u32_e64 s4, 4, v77
	v_cndmask_b32_e64 v6, v13, v14, s5
	v_cndmask_b32_e64 v1, v1, v10, s8
	v_cmp_eq_u32_e64 s5, 4, v81
	v_cndmask_b32_e64 v2, v2, v14, s8
	v_cndmask_b32_e64 v5, v9, v3, s4
	;; [unrolled: 3-line block ×3, first 2 shown]
	v_cndmask_b32_e64 v2, v2, v7, s5
	v_cmp_eq_u32_e64 s4, 5, v81
	v_cmp_eq_u32_e64 s6, 6, v78
	v_cndmask_b32_e64 v5, v5, v11, s8
	v_cmp_eq_u32_e64 s5, 6, v77
	v_cndmask_b32_e64 v3, v6, v15, s8
	v_cndmask_b32_e64 v1, v1, v11, s4
	v_cmp_eq_u32_e64 s8, 6, v81
	v_cndmask_b32_e64 v2, v2, v15, s4
	v_cndmask_b32_e64 v17, v17, v4, s6
	v_cndmask_b32_e64 v18, v18, v8, s6
	v_cmp_eq_u32_e64 s6, 7, v78
	v_cndmask_b32_e64 v5, v5, v4, s5
	;; [unrolled: 4-line block ×3, first 2 shown]
	v_cmp_eq_u32_e64 s5, 7, v77
	v_cndmask_b32_e32 v4, v20, v8, vcc_lo
	v_cndmask_b32_e64 v17, v17, v12, s6
	v_cndmask_b32_e64 v19, v19, v12, s7
	;; [unrolled: 1-line block ×8, first 2 shown]
	v_cmp_gt_u32_e32 vcc_lo, 32, v0
	v_perm_b32 v4, v2, v1, 0x5040100
	v_perm_b32 v3, v3, v5, 0x5040100
	;; [unrolled: 1-line block ×4, first 2 shown]
	s_and_b32 s2, vcc_lo, s2
	ds_store_b128 v76, v[1:4]
	s_waitcnt lgkmcnt(0)
	s_barrier
	buffer_gl0_inv
	s_and_saveexec_b32 s4, s2
	s_cbranch_execz .LBB1768_2
; %bb.111:
	s_load_b64 s[4:5], s[0:1], 0x68
	v_lshlrev_b32_e32 v0, 10, v0
	v_lshlrev_b32_e32 v1, 4, v75
	s_lshl_b32 s0, s36, 6
	v_add_nc_u32_e32 v7, s31, v74
	s_mul_i32 s1, s0, s34
	s_delay_alu instid0(SALU_CYCLE_1) | instskip(SKIP_1) | instid1(VALU_DEP_2)
	s_mul_i32 s6, s1, s9
	v_and_or_b32 v0, 0x3800, v0, v1
	v_mul_lo_u32 v1, v7, s0
	v_add_nc_u32_e32 v2, 2, v7
	s_ashr_i32 s7, s6, 31
	v_add_nc_u32_e32 v4, 4, v7
	s_lshl_b64 s[6:7], s[6:7], 1
	v_add_nc_u32_e32 v8, 6, v7
	v_mul_lo_u32 v3, v2, s0
	v_lshl_or_b32 v19, v74, 6, v0
	v_ashrrev_i32_e32 v2, 31, v1
	v_mul_lo_u32 v11, v4, s0
	v_mul_lo_u32 v25, v8, s0
	s_waitcnt lgkmcnt(0)
	s_add_u32 s1, s4, s6
	s_addc_u32 s2, s5, s7
	s_lshl_b32 s4, s14, 6
	v_lshlrev_b64 v[5:6], 1, v[1:2]
	s_ashr_i32 s5, s4, 31
	v_ashrrev_i32_e32 v4, 31, v3
	s_lshl_b64 s[4:5], s[4:5], 1
	v_ashrrev_i32_e32 v12, 31, v11
	s_add_u32 s1, s1, s4
	s_addc_u32 s2, s2, s5
	v_add_co_u32 v1, s1, s1, v73
	s_delay_alu instid0(VALU_DEP_1) | instskip(SKIP_1) | instid1(VALU_DEP_3)
	v_add_co_ci_u32_e64 v2, null, s2, 0, s1
	v_lshlrev_b64 v[3:4], 1, v[3:4]
	v_add_co_u32 v23, vcc_lo, v1, v5
	v_add_nc_u32_e32 v5, 8, v7
	s_delay_alu instid0(VALU_DEP_4) | instskip(NEXT) | instid1(VALU_DEP_4)
	v_add_co_ci_u32_e32 v24, vcc_lo, v2, v6, vcc_lo
	v_add_co_u32 v27, vcc_lo, v1, v3
	s_delay_alu instid0(VALU_DEP_3)
	v_mul_lo_u32 v29, v5, s0
	v_add_co_ci_u32_e32 v28, vcc_lo, v2, v4, vcc_lo
	ds_load_b128 v[3:6], v19
	ds_load_b128 v[7:10], v19 offset:128
	v_lshlrev_b64 v[31:32], 1, v[11:12]
	ds_load_b128 v[11:14], v19 offset:256
	ds_load_b128 v[15:18], v19 offset:384
	;; [unrolled: 1-line block ×3, first 2 shown]
	v_ashrrev_i32_e32 v26, 31, v25
	v_ashrrev_i32_e32 v30, 31, v29
	v_add_co_u32 v31, vcc_lo, v1, v31
	s_delay_alu instid0(VALU_DEP_3) | instskip(NEXT) | instid1(VALU_DEP_3)
	v_lshlrev_b64 v[25:26], 1, v[25:26]
	v_lshlrev_b64 v[29:30], 1, v[29:30]
	v_add_co_ci_u32_e32 v32, vcc_lo, v2, v32, vcc_lo
	s_delay_alu instid0(VALU_DEP_3) | instskip(NEXT) | instid1(VALU_DEP_4)
	v_add_co_u32 v25, vcc_lo, v1, v25
	v_add_co_ci_u32_e32 v26, vcc_lo, v2, v26, vcc_lo
	s_delay_alu instid0(VALU_DEP_4)
	v_add_co_u32 v29, vcc_lo, v1, v29
	v_add_co_ci_u32_e32 v30, vcc_lo, v2, v30, vcc_lo
	s_waitcnt lgkmcnt(4)
	global_store_b128 v[23:24], v[3:6], off
	s_waitcnt lgkmcnt(3)
	global_store_b128 v[27:28], v[7:10], off
	;; [unrolled: 2-line block ×5, first 2 shown]
	s_and_b32 exec_lo, exec_lo, s3
	s_cbranch_execz .LBB1768_2
; %bb.112:
	ds_load_b128 v[3:6], v0 offset:640
	s_add_i32 s1, s31, 10
	s_delay_alu instid0(SALU_CYCLE_1) | instskip(NEXT) | instid1(SALU_CYCLE_1)
	s_mul_i32 s0, s1, s0
	s_ashr_i32 s1, s0, 31
	s_delay_alu instid0(SALU_CYCLE_1) | instskip(NEXT) | instid1(SALU_CYCLE_1)
	s_lshl_b64 s[0:1], s[0:1], 1
	v_add_co_u32 v0, vcc_lo, v1, s0
	v_add_co_ci_u32_e32 v1, vcc_lo, s1, v2, vcc_lo
	s_waitcnt lgkmcnt(0)
	global_store_b128 v[0:1], v[3:6], off
	s_nop 0
	s_sendmsg sendmsg(MSG_DEALLOC_VGPRS)
	s_endpgm
	.section	.rodata,"a",@progbits
	.p2align	6, 0x0
	.amdhsa_kernel _Z39paged_attention_ll4mi_QKV_mfma16_kernelI14__hip_bfloat16hLN4vllm18Fp8KVCacheDataTypeE1ES0_Li32ELi64ELi256ELb1ELi11EL8MFMAType0EEvPKT_PKT0_S9_ifPKiSB_SB_iPKfiiiPfSE_PS4_PT2_iSD_SD_
		.amdhsa_group_segment_fixed_size 17472
		.amdhsa_private_segment_fixed_size 0
		.amdhsa_kernarg_size 400
		.amdhsa_user_sgpr_count 13
		.amdhsa_user_sgpr_dispatch_ptr 0
		.amdhsa_user_sgpr_queue_ptr 0
		.amdhsa_user_sgpr_kernarg_segment_ptr 1
		.amdhsa_user_sgpr_dispatch_id 0
		.amdhsa_user_sgpr_private_segment_size 0
		.amdhsa_wavefront_size32 1
		.amdhsa_uses_dynamic_stack 0
		.amdhsa_enable_private_segment 0
		.amdhsa_system_sgpr_workgroup_id_x 1
		.amdhsa_system_sgpr_workgroup_id_y 1
		.amdhsa_system_sgpr_workgroup_id_z 1
		.amdhsa_system_sgpr_workgroup_info 0
		.amdhsa_system_vgpr_workitem_id 0
		.amdhsa_next_free_vgpr 124
		.amdhsa_next_free_sgpr 42
		.amdhsa_reserve_vcc 1
		.amdhsa_float_round_mode_32 0
		.amdhsa_float_round_mode_16_64 0
		.amdhsa_float_denorm_mode_32 3
		.amdhsa_float_denorm_mode_16_64 3
		.amdhsa_dx10_clamp 1
		.amdhsa_ieee_mode 1
		.amdhsa_fp16_overflow 0
		.amdhsa_workgroup_processor_mode 1
		.amdhsa_memory_ordered 1
		.amdhsa_forward_progress 0
		.amdhsa_shared_vgpr_count 0
		.amdhsa_exception_fp_ieee_invalid_op 0
		.amdhsa_exception_fp_denorm_src 0
		.amdhsa_exception_fp_ieee_div_zero 0
		.amdhsa_exception_fp_ieee_overflow 0
		.amdhsa_exception_fp_ieee_underflow 0
		.amdhsa_exception_fp_ieee_inexact 0
		.amdhsa_exception_int_div_zero 0
	.end_amdhsa_kernel
	.section	.text._Z39paged_attention_ll4mi_QKV_mfma16_kernelI14__hip_bfloat16hLN4vllm18Fp8KVCacheDataTypeE1ES0_Li32ELi64ELi256ELb1ELi11EL8MFMAType0EEvPKT_PKT0_S9_ifPKiSB_SB_iPKfiiiPfSE_PS4_PT2_iSD_SD_,"axG",@progbits,_Z39paged_attention_ll4mi_QKV_mfma16_kernelI14__hip_bfloat16hLN4vllm18Fp8KVCacheDataTypeE1ES0_Li32ELi64ELi256ELb1ELi11EL8MFMAType0EEvPKT_PKT0_S9_ifPKiSB_SB_iPKfiiiPfSE_PS4_PT2_iSD_SD_,comdat
.Lfunc_end1768:
	.size	_Z39paged_attention_ll4mi_QKV_mfma16_kernelI14__hip_bfloat16hLN4vllm18Fp8KVCacheDataTypeE1ES0_Li32ELi64ELi256ELb1ELi11EL8MFMAType0EEvPKT_PKT0_S9_ifPKiSB_SB_iPKfiiiPfSE_PS4_PT2_iSD_SD_, .Lfunc_end1768-_Z39paged_attention_ll4mi_QKV_mfma16_kernelI14__hip_bfloat16hLN4vllm18Fp8KVCacheDataTypeE1ES0_Li32ELi64ELi256ELb1ELi11EL8MFMAType0EEvPKT_PKT0_S9_ifPKiSB_SB_iPKfiiiPfSE_PS4_PT2_iSD_SD_
                                        ; -- End function
	.section	.AMDGPU.csdata,"",@progbits
; Kernel info:
; codeLenInByte = 8920
; NumSgprs: 44
; NumVgprs: 124
; ScratchSize: 0
; MemoryBound: 0
; FloatMode: 240
; IeeeMode: 1
; LDSByteSize: 17472 bytes/workgroup (compile time only)
; SGPRBlocks: 5
; VGPRBlocks: 15
; NumSGPRsForWavesPerEU: 44
; NumVGPRsForWavesPerEU: 124
; Occupancy: 10
; WaveLimiterHint : 1
; COMPUTE_PGM_RSRC2:SCRATCH_EN: 0
; COMPUTE_PGM_RSRC2:USER_SGPR: 13
; COMPUTE_PGM_RSRC2:TRAP_HANDLER: 0
; COMPUTE_PGM_RSRC2:TGID_X_EN: 1
; COMPUTE_PGM_RSRC2:TGID_Y_EN: 1
; COMPUTE_PGM_RSRC2:TGID_Z_EN: 1
; COMPUTE_PGM_RSRC2:TIDIG_COMP_CNT: 0
	.section	.text._Z39paged_attention_ll4mi_QKV_mfma16_kernelI14__hip_bfloat16hLN4vllm18Fp8KVCacheDataTypeE1ES0_Li32ELi64ELi256ELb1ELi12EL8MFMAType0EEvPKT_PKT0_S9_ifPKiSB_SB_iPKfiiiPfSE_PS4_PT2_iSD_SD_,"axG",@progbits,_Z39paged_attention_ll4mi_QKV_mfma16_kernelI14__hip_bfloat16hLN4vllm18Fp8KVCacheDataTypeE1ES0_Li32ELi64ELi256ELb1ELi12EL8MFMAType0EEvPKT_PKT0_S9_ifPKiSB_SB_iPKfiiiPfSE_PS4_PT2_iSD_SD_,comdat
	.protected	_Z39paged_attention_ll4mi_QKV_mfma16_kernelI14__hip_bfloat16hLN4vllm18Fp8KVCacheDataTypeE1ES0_Li32ELi64ELi256ELb1ELi12EL8MFMAType0EEvPKT_PKT0_S9_ifPKiSB_SB_iPKfiiiPfSE_PS4_PT2_iSD_SD_ ; -- Begin function _Z39paged_attention_ll4mi_QKV_mfma16_kernelI14__hip_bfloat16hLN4vllm18Fp8KVCacheDataTypeE1ES0_Li32ELi64ELi256ELb1ELi12EL8MFMAType0EEvPKT_PKT0_S9_ifPKiSB_SB_iPKfiiiPfSE_PS4_PT2_iSD_SD_
	.globl	_Z39paged_attention_ll4mi_QKV_mfma16_kernelI14__hip_bfloat16hLN4vllm18Fp8KVCacheDataTypeE1ES0_Li32ELi64ELi256ELb1ELi12EL8MFMAType0EEvPKT_PKT0_S9_ifPKiSB_SB_iPKfiiiPfSE_PS4_PT2_iSD_SD_
	.p2align	8
	.type	_Z39paged_attention_ll4mi_QKV_mfma16_kernelI14__hip_bfloat16hLN4vllm18Fp8KVCacheDataTypeE1ES0_Li32ELi64ELi256ELb1ELi12EL8MFMAType0EEvPKT_PKT0_S9_ifPKiSB_SB_iPKfiiiPfSE_PS4_PT2_iSD_SD_,@function
_Z39paged_attention_ll4mi_QKV_mfma16_kernelI14__hip_bfloat16hLN4vllm18Fp8KVCacheDataTypeE1ES0_Li32ELi64ELi256ELb1ELi12EL8MFMAType0EEvPKT_PKT0_S9_ifPKiSB_SB_iPKfiiiPfSE_PS4_PT2_iSD_SD_: ; @_Z39paged_attention_ll4mi_QKV_mfma16_kernelI14__hip_bfloat16hLN4vllm18Fp8KVCacheDataTypeE1ES0_Li32ELi64ELi256ELb1ELi12EL8MFMAType0EEvPKT_PKT0_S9_ifPKiSB_SB_iPKfiiiPfSE_PS4_PT2_iSD_SD_
; %bb.0:
	s_load_b64 s[2:3], s[0:1], 0x30
	s_mov_b32 s30, s13
	s_waitcnt lgkmcnt(0)
	s_cmp_lg_u64 s[2:3], 0
	s_cselect_b32 s8, -1, 0
	s_ashr_i32 s31, s13, 31
	s_cmp_eq_u64 s[2:3], 0
	s_cbranch_scc1 .LBB1769_3
; %bb.1:
	s_lshl_b64 s[4:5], s[30:31], 2
	s_delay_alu instid0(SALU_CYCLE_1) | instskip(SKIP_4) | instid1(SALU_CYCLE_1)
	s_add_u32 s4, s2, s4
	s_addc_u32 s5, s3, s5
	s_load_b64 s[4:5], s[4:5], 0x0
	s_waitcnt lgkmcnt(0)
	s_sub_i32 s4, s5, s4
	s_cmp_eq_u32 s4, 1
	s_cselect_b32 s4, -1, 0
	s_delay_alu instid0(SALU_CYCLE_1)
	s_and_not1_b32 vcc_lo, exec_lo, s4
	s_cbranch_vccz .LBB1769_4
.LBB1769_2:
	s_endpgm
.LBB1769_3:
.LBB1769_4:
	s_load_b64 s[4:5], s[0:1], 0x28
	s_lshl_b64 s[6:7], s[30:31], 2
	s_waitcnt lgkmcnt(0)
	s_add_u32 s4, s4, s6
	s_addc_u32 s5, s5, s7
	s_lshl_b32 s12, s14, 8
	s_load_b32 s24, s[4:5], 0x0
	s_waitcnt lgkmcnt(0)
	s_cmp_ge_i32 s12, s24
	s_cbranch_scc1 .LBB1769_2
; %bb.5:
	s_clause 0x1
	s_load_b128 s[20:23], s[0:1], 0x8
	s_load_b64 s[4:5], s[0:1], 0x20
	s_and_not1_b32 vcc_lo, exec_lo, s8
	s_cbranch_vccnz .LBB1769_7
; %bb.6:
	s_add_u32 s2, s2, s6
	s_addc_u32 s3, s3, s7
	s_load_b32 s3, s[2:3], 0x0
	s_branch .LBB1769_8
.LBB1769_7:
	s_mov_b32 s3, s30
.LBB1769_8:
	s_load_b128 s[16:19], s[0:1], 0x48
	v_and_b32_e32 v65, 15, v0
	v_cmp_gt_u32_e32 vcc_lo, 0xc0, v0
	v_lshrrev_b32_e32 v66, 5, v0
	v_and_b32_e32 v67, 31, v0
	v_and_b32_e32 v75, 1, v0
	v_lshlrev_b32_e32 v1, 3, v65
	v_cmp_gt_u32_e64 s2, 8, v65
	v_bfe_u32 v74, v0, 4, 1
	s_mul_i32 s31, s15, 12
	s_delay_alu instid0(VALU_DEP_3) | instskip(NEXT) | instid1(VALU_DEP_3)
	v_lshlrev_b32_e32 v73, 1, v1
	s_and_b32 s7, vcc_lo, s2
	s_delay_alu instid0(SALU_CYCLE_1)
	s_and_saveexec_b32 s6, s7
	s_cbranch_execz .LBB1769_10
; %bb.9:
	s_load_b64 s[8:9], s[0:1], 0x0
	v_lshl_or_b32 v5, v66, 1, v74
	s_waitcnt lgkmcnt(0)
	s_mul_hi_i32 s11, s3, s16
	s_mul_i32 s10, s3, s16
	v_lshlrev_b32_e32 v6, 10, v65
	s_lshl_b64 s[10:11], s[10:11], 1
	v_add_lshl_u32 v1, v5, s31, 6
	v_lshlrev_b32_e32 v5, 6, v5
	v_lshlrev_b32_e32 v7, 10, v75
	v_and_b32_e32 v6, 0x3800, v6
	s_delay_alu instid0(VALU_DEP_4) | instskip(NEXT) | instid1(VALU_DEP_2)
	v_ashrrev_i32_e32 v2, 31, v1
	v_or3_b32 v5, v6, v7, v5
	s_delay_alu instid0(VALU_DEP_2) | instskip(SKIP_2) | instid1(VALU_DEP_1)
	v_lshlrev_b64 v[1:2], 1, v[1:2]
	s_add_u32 s3, s8, s10
	s_addc_u32 s7, s9, s11
	v_add_co_u32 v1, vcc_lo, s3, v1
	s_delay_alu instid0(VALU_DEP_2) | instskip(NEXT) | instid1(VALU_DEP_2)
	v_add_co_ci_u32_e32 v2, vcc_lo, s7, v2, vcc_lo
	v_add_co_u32 v1, vcc_lo, v1, v73
	s_delay_alu instid0(VALU_DEP_2)
	v_add_co_ci_u32_e32 v2, vcc_lo, 0, v2, vcc_lo
	global_load_b128 v[1:4], v[1:2], off
	s_waitcnt vmcnt(0)
	ds_store_b128 v5, v[1:4]
.LBB1769_10:
	s_or_b32 exec_lo, exec_lo, s6
	v_and_b32_e32 v1, 0xef, v0
	s_waitcnt lgkmcnt(0)
	s_add_i32 s3, s24, 31
	s_clause 0x1
	s_load_b32 s6, s[0:1], 0x38
	s_load_b32 s19, s[0:1], 0x1c
	s_ashr_i32 s7, s3, 31
	v_add_nc_u32_e32 v1, s12, v1
	s_lshr_b32 s7, s7, 27
	s_waitcnt lgkmcnt(0)
	s_add_i32 s3, s3, s7
	s_barrier
	v_ashrrev_i32_e32 v2, 31, v1
	v_or_b32_e32 v3, 16, v1
	s_ashr_i32 s3, s3, 5
	v_cmp_gt_i32_e32 vcc_lo, s24, v1
	s_add_i32 s3, s3, -1
	v_lshrrev_b32_e32 v2, 27, v2
	buffer_gl0_inv
	s_mul_i32 s27, s15, s18
	v_add_nc_u32_e32 v4, v1, v2
	s_mul_i32 s6, s30, s6
	s_delay_alu instid0(SALU_CYCLE_1) | instskip(NEXT) | instid1(VALU_DEP_1)
	s_ashr_i32 s7, s6, 31
	v_ashrrev_i32_e32 v4, 5, v4
	v_add_nc_u32_e32 v2, v3, v2
	s_lshl_b64 s[6:7], s[6:7], 2
	s_delay_alu instid0(SALU_CYCLE_1) | instskip(NEXT) | instid1(VALU_DEP_2)
	s_add_u32 s26, s4, s6
	v_cndmask_b32_e32 v1, s3, v4, vcc_lo
	s_delay_alu instid0(VALU_DEP_2)
	v_ashrrev_i32_e32 v2, 5, v2
	v_cmp_gt_i32_e32 vcc_lo, s24, v3
	s_addc_u32 s25, s5, s7
	s_ashr_i32 s28, s27, 31
	s_add_u32 s4, s20, s27
	s_addc_u32 s5, s21, s28
	v_cndmask_b32_e32 v3, s3, v2, vcc_lo
	v_ashrrev_i32_e32 v2, 31, v1
	s_lshl_b32 s6, s14, 3
	s_delay_alu instid0(SALU_CYCLE_1) | instskip(NEXT) | instid1(VALU_DEP_2)
	s_ashr_i32 s7, s6, 31
	v_ashrrev_i32_e32 v4, 31, v3
	s_delay_alu instid0(VALU_DEP_2) | instskip(SKIP_1) | instid1(SALU_CYCLE_1)
	v_lshlrev_b64 v[1:2], 2, v[1:2]
	s_lshl_b64 s[6:7], s[6:7], 2
	s_add_u32 s6, s26, s6
	s_delay_alu instid0(VALU_DEP_2) | instskip(SKIP_1) | instid1(VALU_DEP_2)
	v_lshlrev_b64 v[3:4], 2, v[3:4]
	s_addc_u32 s7, s25, s7
	v_add_co_u32 v1, vcc_lo, s26, v1
	v_add_co_ci_u32_e32 v2, vcc_lo, s25, v2, vcc_lo
	s_delay_alu instid0(VALU_DEP_3) | instskip(NEXT) | instid1(VALU_DEP_4)
	v_add_co_u32 v3, vcc_lo, s26, v3
	v_add_co_ci_u32_e32 v4, vcc_lo, s25, v4, vcc_lo
	s_clause 0x1
	global_load_b32 v5, v[1:2], off
	global_load_b32 v6, v[3:4], off
	s_or_b32 s8, s12, 32
	s_delay_alu instid0(SALU_CYCLE_1) | instskip(SKIP_2) | instid1(SALU_CYCLE_1)
	s_ashr_i32 s9, s8, 5
	s_cmp_lt_i32 s8, s24
	s_cselect_b32 s8, s9, s3
	s_ashr_i32 s9, s8, 31
	s_delay_alu instid0(SALU_CYCLE_1) | instskip(NEXT) | instid1(SALU_CYCLE_1)
	s_lshl_b64 s[8:9], s[8:9], 2
	s_add_u32 s8, s26, s8
	s_addc_u32 s9, s25, s9
	s_or_b32 s10, s12, 64
	s_delay_alu instid0(SALU_CYCLE_1) | instskip(SKIP_2) | instid1(SALU_CYCLE_1)
	s_ashr_i32 s11, s10, 5
	s_cmp_lt_i32 s10, s24
	s_cselect_b32 s10, s11, s3
	s_ashr_i32 s11, s10, 31
	s_delay_alu instid0(SALU_CYCLE_1) | instskip(NEXT) | instid1(SALU_CYCLE_1)
	s_lshl_b64 s[10:11], s[10:11], 2
	s_add_u32 s10, s26, s10
	s_addc_u32 s11, s25, s11
	;; [unrolled: 10-line block ×5, first 2 shown]
	s_clause 0x5
	s_load_b32 s21, s[6:7], 0x0
	s_load_b32 s13, s[8:9], 0x0
	;; [unrolled: 1-line block ×6, first 2 shown]
	s_or_b32 s8, s12, 0xc0
	s_delay_alu instid0(SALU_CYCLE_1) | instskip(SKIP_2) | instid1(SALU_CYCLE_1)
	s_ashr_i32 s9, s8, 5
	s_cmp_lt_i32 s8, s24
	s_cselect_b32 s34, s9, s3
	s_ashr_i32 s35, s34, 31
	s_delay_alu instid0(SALU_CYCLE_1) | instskip(NEXT) | instid1(SALU_CYCLE_1)
	s_lshl_b64 s[34:35], s[34:35], 2
	s_add_u32 s34, s26, s34
	s_addc_u32 s35, s25, s35
	s_or_b32 s29, s12, 0xe0
	s_delay_alu instid0(SALU_CYCLE_1)
	s_ashr_i32 s33, s29, 5
	s_cmp_lt_i32 s29, s24
	s_waitcnt vmcnt(1)
	v_mad_i64_i32 v[1:2], null, v5, s17, s[4:5]
	s_waitcnt vmcnt(0)
	v_mad_i64_i32 v[3:4], null, v6, s17, s[4:5]
	s_mov_b32 s4, 0
	s_delay_alu instid0(SALU_CYCLE_1)
	s_mov_b32 s5, s4
	s_mov_b32 s6, s4
	;; [unrolled: 1-line block ×7, first 2 shown]
	v_lshlrev_b32_e32 v5, 4, v65
	v_dual_mov_b32 v107, s11 :: v_dual_mov_b32 v102, s6
	v_mov_b32_e32 v100, s4
	v_mov_b32_e32 v106, s10
	s_delay_alu instid0(VALU_DEP_4)
	v_add_co_u32 v1, vcc_lo, v1, v5
	v_add_co_ci_u32_e32 v2, vcc_lo, 0, v2, vcc_lo
	v_add_co_u32 v3, vcc_lo, v3, v5
	v_add_co_ci_u32_e32 v4, vcc_lo, 0, v4, vcc_lo
	s_clause 0x7
	global_load_b128 v[49:52], v[1:2], off
	global_load_b128 v[53:56], v[1:2], off offset:512
	global_load_b128 v[76:79], v[3:4], off offset:256
	;; [unrolled: 1-line block ×7, first 2 shown]
	v_add_nc_u32_e32 v1, -12, v65
	v_cmp_gt_u32_e32 vcc_lo, 12, v65
	v_dual_mov_b32 v104, s8 :: v_dual_mov_b32 v103, s7
	v_dual_mov_b32 v101, s5 :: v_dual_lshlrev_b32 v2, 5, v65
	s_delay_alu instid0(VALU_DEP_4)
	v_cndmask_b32_e32 v1, v1, v65, vcc_lo
	v_mov_b32_e32 v105, s9
	s_cselect_b32 s4, s33, s3
	s_load_b32 s3, s[34:35], 0x0
	s_ashr_i32 s5, s4, 31
	v_lshlrev_b32_e32 v70, 6, v1
	s_lshl_b64 s[4:5], s[4:5], 2
	v_lshl_or_b32 v2, v66, 9, v2
	s_add_u32 s4, s26, s4
	s_addc_u32 s5, s25, s5
	ds_load_b128 v[108:111], v70
	ds_load_b128 v[112:115], v70 offset:1024
	s_load_b32 s4, s[4:5], 0x0
	s_add_u32 s6, s22, s27
	s_addc_u32 s7, s23, s28
	v_add_co_u32 v9, s6, s6, v2
	s_delay_alu instid0(VALU_DEP_1) | instskip(SKIP_1) | instid1(VALU_DEP_1)
	v_add_co_ci_u32_e64 v10, null, s7, 0, s6
	s_waitcnt lgkmcnt(0)
	v_mad_i64_i32 v[1:2], null, s21, s17, v[9:10]
	v_mad_i64_i32 v[3:4], null, s13, s17, v[9:10]
	;; [unrolled: 1-line block ×7, first 2 shown]
	s_clause 0x9
	global_load_b128 v[57:60], v[1:2], off
	global_load_b128 v[61:64], v[1:2], off offset:16
	global_load_b128 v[41:44], v[3:4], off
	global_load_b128 v[45:48], v[3:4], off offset:16
	;; [unrolled: 2-line block ×5, first 2 shown]
	v_mad_i64_i32 v[68:69], null, s4, s17, v[9:10]
	s_clause 0x3
	global_load_b128 v[9:12], v[13:14], off
	global_load_b128 v[13:16], v[13:14], off offset:16
	global_load_b128 v[17:20], v[21:22], off
	global_load_b128 v[21:24], v[21:22], off offset:16
	s_waitcnt vmcnt(20)
	v_wmma_f32_16x16x16_bf16 v[116:123], v[49:56], v[108:115], v[100:107]
	s_clause 0x1
	global_load_b128 v[49:52], v[68:69], off
	global_load_b128 v[53:56], v[68:69], off offset:16
	v_and_b32_e32 v68, 0xe0, v0
	v_mbcnt_lo_u32_b32 v69, -1, 0
	s_delay_alu instid0(VALU_DEP_2)
	v_add_nc_u32_e32 v68, s12, v68
	s_waitcnt vmcnt(20)
	v_wmma_f32_16x16x16_bf16 v[100:107], v[76:83], v[108:115], v[100:107]
	ds_load_b128 v[76:79], v70 offset:2048
	ds_load_b128 v[80:83], v70 offset:3072
	v_xor_b32_e32 v70, 16, v69
	s_waitcnt vmcnt(0) lgkmcnt(0)
	v_or_b32_e32 v68, v68, v74
	s_barrier
	buffer_gl0_inv
	v_cmp_gt_i32_e32 vcc_lo, 32, v70
	v_or_b32_e32 v71, 4, v68
	v_or_b32_e32 v72, 6, v68
	v_cmp_gt_i32_e64 s3, s24, v68
	v_or_b32_e32 v108, 8, v68
	v_or_b32_e32 v109, 10, v68
	v_cmp_gt_i32_e64 s4, s24, v71
	v_cmp_gt_i32_e64 s5, s24, v72
	s_delay_alu instid0(VALU_DEP_4) | instskip(NEXT) | instid1(VALU_DEP_4)
	v_cmp_gt_i32_e64 s6, s24, v108
	v_cmp_gt_i32_e64 s7, s24, v109
	v_wmma_f32_16x16x16_bf16 v[116:123], v[84:91], v[76:83], v[116:123]
	v_cndmask_b32_e32 v69, v69, v70, vcc_lo
	v_or_b32_e32 v70, 2, v68
	v_wmma_f32_16x16x16_bf16 v[100:107], v[92:99], v[76:83], v[100:107]
	v_or_b32_e32 v89, 22, v68
	v_dual_mul_f32 v80, s19, v121 :: v_dual_mul_f32 v81, s19, v120
	v_dual_mul_f32 v92, s19, v117 :: v_dual_mul_f32 v93, s19, v116
	s_delay_alu instid0(VALU_DEP_4)
	v_mul_f32_e32 v96, s19, v105
	v_cmp_gt_i32_e32 vcc_lo, s24, v70
	v_dual_mul_f32 v79, s19, v122 :: v_dual_mul_f32 v82, s19, v119
	v_dual_mul_f32 v83, s19, v118 :: v_dual_mul_f32 v94, s19, v107
	v_cndmask_b32_e64 v93, 0xff7fffff, v93, s3
	v_cndmask_b32_e32 v92, 0xff7fffff, v92, vcc_lo
	v_or_b32_e32 v84, 12, v68
	v_or_b32_e32 v85, 14, v68
	v_cndmask_b32_e64 v71, 0xff7fffff, v83, s4
	v_cndmask_b32_e64 v72, 0xff7fffff, v82, s5
	v_cmp_gt_i32_e64 s13, s24, v89
	v_lshlrev_b32_e32 v89, 2, v69
	v_max3_f32 v82, v93, 0xff7fffff, v92
	v_or_b32_e32 v86, 16, v68
	v_or_b32_e32 v87, 18, v68
	v_mul_f32_e32 v78, s19, v123
	v_cndmask_b32_e64 v81, 0xff7fffff, v81, s6
	v_cndmask_b32_e64 v80, 0xff7fffff, v80, s7
	v_max3_f32 v71, v82, v71, v72
	v_cmp_gt_i32_e64 s8, s24, v84
	v_cmp_gt_i32_e64 s9, s24, v85
	v_or_b32_e32 v88, 20, v68
	v_or_b32_e32 v90, 24, v68
	;; [unrolled: 1-line block ×5, first 2 shown]
	v_dual_mul_f32 v97, s19, v104 :: v_dual_mul_f32 v70, s19, v101
	v_dual_mul_f32 v99, s19, v102 :: v_dual_mul_f32 v68, s19, v100
	v_cndmask_b32_e64 v72, 0xff7fffff, v79, s8
	v_cndmask_b32_e64 v78, 0xff7fffff, v78, s9
	v_max3_f32 v71, v71, v81, v80
	v_cmp_gt_i32_e64 s10, s24, v86
	v_cmp_gt_i32_e64 s11, s24, v87
	v_dual_mul_f32 v95, s19, v106 :: v_dual_mul_f32 v98, s19, v103
	s_delay_alu instid0(VALU_DEP_4) | instskip(NEXT) | instid1(VALU_DEP_4)
	v_max3_f32 v71, v71, v72, v78
	v_cndmask_b32_e64 v68, 0xff7fffff, v68, s10
	s_delay_alu instid0(VALU_DEP_4)
	v_cndmask_b32_e64 v70, 0xff7fffff, v70, s11
	v_cmp_gt_i32_e64 s12, s24, v88
	v_cndmask_b32_e64 v78, 0xff7fffff, v98, s13
	v_cmp_gt_i32_e64 s15, s24, v90
	v_cmp_gt_i32_e64 s16, s24, v91
	v_max3_f32 v68, v71, v68, v70
	v_cndmask_b32_e64 v72, 0xff7fffff, v99, s12
	v_cmp_gt_i32_e64 s17, s24, v76
	v_cndmask_b32_e64 v70, 0xff7fffff, v97, s15
	v_cndmask_b32_e64 v71, 0xff7fffff, v96, s16
	v_cmp_gt_i32_e64 s18, s24, v77
	v_max3_f32 v68, v68, v72, v78
	v_cndmask_b32_e64 v72, 0xff7fffff, v95, s17
	s_delay_alu instid0(VALU_DEP_3) | instskip(NEXT) | instid1(VALU_DEP_3)
	v_cndmask_b32_e64 v76, 0xff7fffff, v94, s18
	v_max3_f32 v68, v68, v70, v71
	s_delay_alu instid0(VALU_DEP_1) | instskip(SKIP_3) | instid1(VALU_DEP_1)
	v_max3_f32 v68, v68, v72, v76
	ds_bpermute_b32 v69, v89, v68
	s_waitcnt lgkmcnt(0)
	v_max_f32_e32 v69, v69, v69
	v_max_f32_e32 v68, v68, v69
	s_delay_alu instid0(VALU_DEP_1) | instskip(NEXT) | instid1(VALU_DEP_1)
	v_fma_f32 v71, s19, v118, -v68
	v_mul_f32_e32 v71, 0x3fb8aa3b, v71
	v_fma_f32 v70, s19, v117, -v68
	v_fma_f32 v69, s19, v116, -v68
	;; [unrolled: 1-line block ×5, first 2 shown]
	s_delay_alu instid0(VALU_DEP_4) | instskip(SKIP_1) | instid1(VALU_DEP_3)
	v_dual_mul_f32 v70, 0x3fb8aa3b, v70 :: v_dual_mul_f32 v69, 0x3fb8aa3b, v69
	v_exp_f32_e32 v71, v71
	v_mul_f32_e32 v72, 0x3fb8aa3b, v72
	v_fma_f32 v81, s19, v105, -v68
	s_delay_alu instid0(VALU_DEP_3)
	v_exp_f32_e32 v70, v70
	v_mul_f32_e32 v77, 0x3fb8aa3b, v76
	v_exp_f32_e32 v69, v69
	v_exp_f32_e32 v72, v72
	v_mul_f32_e32 v81, 0x3fb8aa3b, v81
	v_cndmask_b32_e64 v83, 0, v71, s4
	v_fma_f32 v71, s19, v123, -v68
	s_delay_alu instid0(VALU_DEP_3) | instskip(SKIP_4) | instid1(TRANS32_DEP_3)
	v_exp_f32_e32 v81, v81
	v_cndmask_b32_e32 v76, 0, v70, vcc_lo
	v_exp_f32_e32 v77, v77
	v_cndmask_b32_e64 v80, 0, v69, s3
	v_fma_f32 v69, s19, v121, -v68
	v_cndmask_b32_e64 v85, 0, v72, s5
	v_mul_f32_e32 v71, 0x3fb8aa3b, v71
	v_fma_f32 v72, s19, v100, -v68
	s_delay_alu instid0(VALU_DEP_4) | instskip(SKIP_1) | instid1(VALU_DEP_3)
	v_dual_add_f32 v70, 0, v80 :: v_dual_mul_f32 v69, 0x3fb8aa3b, v69
	s_mov_b32 s3, exec_lo
	v_exp_f32_e32 v71, v71
	s_delay_alu instid0(TRANS32_DEP_2) | instskip(SKIP_4) | instid1(VALU_DEP_3)
	v_cndmask_b32_e64 v86, 0, v77, s6
	v_fma_f32 v77, s19, v101, -v68
	v_mul_f32_e32 v78, 0x3fb8aa3b, v78
	v_add_f32_e32 v70, v70, v76
	v_exp_f32_e32 v69, v69
	v_mul_f32_e32 v77, 0x3fb8aa3b, v77
	s_delay_alu instid0(VALU_DEP_3) | instskip(NEXT) | instid1(TRANS32_DEP_3)
	v_exp_f32_e32 v78, v78
	v_cndmask_b32_e64 v88, 0, v71, s9
	v_fma_f32 v71, s19, v104, -v68
	s_delay_alu instid0(VALU_DEP_3) | instskip(NEXT) | instid1(TRANS32_DEP_3)
	v_exp_f32_e32 v77, v77
	v_cndmask_b32_e64 v87, 0, v69, s7
	s_delay_alu instid0(VALU_DEP_2)
	v_mul_f32_e32 v71, 0x3fb8aa3b, v71
	s_waitcnt_depctr 0xfff
	v_cndmask_b32_e64 v84, 0, v78, s8
	v_add_f32_e32 v70, v70, v83
	v_fma_f32 v78, s19, v103, -v68
	v_exp_f32_e32 v82, v71
	s_delay_alu instid0(VALU_DEP_2) | instskip(SKIP_1) | instid1(VALU_DEP_3)
	v_add_f32_e32 v70, v70, v85
	v_mul_f32_e32 v72, 0x3fb8aa3b, v72
	v_mul_f32_e32 v78, 0x3fb8aa3b, v78
	s_delay_alu instid0(VALU_DEP_3) | instskip(SKIP_1) | instid1(VALU_DEP_4)
	v_add_f32_e32 v69, v70, v86
	v_fma_f32 v70, s19, v102, -v68
	v_exp_f32_e32 v72, v72
	s_delay_alu instid0(VALU_DEP_3) | instskip(NEXT) | instid1(VALU_DEP_1)
	v_exp_f32_e32 v78, v78
	v_dual_add_f32 v69, v69, v87 :: v_dual_mul_f32 v70, 0x3fb8aa3b, v70
	s_delay_alu instid0(VALU_DEP_1) | instskip(NEXT) | instid1(VALU_DEP_2)
	v_add_f32_e32 v69, v69, v84
	v_exp_f32_e32 v79, v70
	s_delay_alu instid0(TRANS32_DEP_3) | instskip(NEXT) | instid1(VALU_DEP_2)
	v_cndmask_b32_e64 v70, 0, v72, s10
	v_add_f32_e32 v72, v69, v88
	v_cndmask_b32_e64 v69, 0, v77, s11
	v_fma_f32 v77, s19, v106, -v68
	s_waitcnt_depctr 0xfff
	v_cndmask_b32_e64 v71, 0, v79, s12
	v_dual_mul_f32 v77, 0x3fb8aa3b, v77 :: v_dual_add_f32 v72, v72, v70
	s_delay_alu instid0(VALU_DEP_1) | instskip(NEXT) | instid1(VALU_DEP_1)
	v_exp_f32_e32 v90, v77
	v_add_f32_e32 v79, v72, v69
	v_cndmask_b32_e64 v72, 0, v78, s13
	v_cndmask_b32_e64 v77, 0, v82, s15
	s_delay_alu instid0(VALU_DEP_3) | instskip(SKIP_1) | instid1(VALU_DEP_1)
	v_add_f32_e32 v78, v79, v71
	v_fma_f32 v79, s19, v107, -v68
	v_dual_add_f32 v82, v78, v72 :: v_dual_mul_f32 v79, 0x3fb8aa3b, v79
	v_cndmask_b32_e64 v78, 0, v81, s16
	s_delay_alu instid0(VALU_DEP_2) | instskip(NEXT) | instid1(VALU_DEP_3)
	v_add_f32_e32 v81, v82, v77
	v_exp_f32_e32 v82, v79
	v_cndmask_b32_e64 v79, 0, v90, s17
	s_delay_alu instid0(VALU_DEP_2) | instskip(NEXT) | instid1(VALU_DEP_1)
	v_add_f32_e32 v81, v81, v78
	v_add_f32_e32 v90, v81, v79
	s_waitcnt_depctr 0xfff
	v_cndmask_b32_e64 v81, 0, v82, s18
	s_delay_alu instid0(VALU_DEP_1)
	v_add_f32_e32 v82, v90, v81
	ds_bpermute_b32 v89, v89, v82
	v_cmpx_gt_u32_e32 16, v67
	s_cbranch_execz .LBB1769_12
; %bb.11:
	v_mul_u32_u24_e32 v67, 0x44, v66
	s_delay_alu instid0(VALU_DEP_1) | instskip(SKIP_1) | instid1(VALU_DEP_1)
	v_lshl_add_u32 v67, v65, 2, v67
	s_waitcnt lgkmcnt(0)
	v_dual_add_f32 v82, v82, v89 :: v_dual_add_nc_u32 v67, 0x4000, v67
	ds_store_2addr_b32 v67, v68, v82 offset1:136
.LBB1769_12:
	s_or_b32 exec_lo, exec_lo, s3
	v_lshlrev_b32_e32 v67, 2, v65
	s_waitcnt lgkmcnt(0)
	s_barrier
	buffer_gl0_inv
	v_cmp_eq_u32_e32 vcc_lo, 1, v66
	v_add_nc_u32_e32 v82, 0x4000, v67
	v_cmp_eq_u32_e64 s3, 2, v66
	v_cmp_eq_u32_e64 s5, 7, v66
	ds_load_2addr_b32 v[89:90], v82 offset1:17
	ds_load_2addr_b32 v[91:92], v82 offset0:34 offset1:51
	ds_load_2addr_b32 v[93:94], v82 offset0:68 offset1:85
	;; [unrolled: 1-line block ×4, first 2 shown]
	s_waitcnt lgkmcnt(4)
	v_max3_f32 v67, v89, 0xff7fffff, v90
	s_waitcnt lgkmcnt(3)
	s_delay_alu instid0(VALU_DEP_1) | instskip(SKIP_1) | instid1(VALU_DEP_1)
	v_max3_f32 v67, v67, v91, v92
	s_waitcnt lgkmcnt(2)
	v_max3_f32 v67, v67, v93, v94
	s_waitcnt lgkmcnt(1)
	s_delay_alu instid0(VALU_DEP_1) | instskip(NEXT) | instid1(VALU_DEP_1)
	v_max3_f32 v67, v67, v95, v96
	v_sub_f32_e32 v93, v93, v67
	s_delay_alu instid0(VALU_DEP_1) | instskip(NEXT) | instid1(VALU_DEP_1)
	v_dual_sub_f32 v68, v89, v67 :: v_dual_mul_f32 v103, 0x3fb8aa3b, v93
	v_mul_f32_e32 v68, 0x3fb8aa3b, v68
	s_delay_alu instid0(VALU_DEP_1)
	v_exp_f32_e32 v100, v68
	v_sub_f32_e32 v68, v92, v67
	v_sub_f32_e32 v99, v90, v67
	ds_load_2addr_b32 v[89:90], v82 offset0:170 offset1:187
	v_dual_mul_f32 v102, 0x3fb8aa3b, v68 :: v_dual_mul_f32 v99, 0x3fb8aa3b, v99
	s_waitcnt lgkmcnt(1)
	v_fma_f32 v68, v100, v97, 0
	s_delay_alu instid0(VALU_DEP_2) | instskip(NEXT) | instid1(VALU_DEP_2)
	v_exp_f32_e32 v102, v102
	v_exp_f32_e32 v99, v99
	s_waitcnt_depctr 0xfff
	v_fmac_f32_e32 v68, v99, v98
	v_sub_f32_e32 v91, v91, v67
	s_delay_alu instid0(VALU_DEP_1)
	v_mul_f32_e32 v101, 0x3fb8aa3b, v91
	ds_load_2addr_b32 v[91:92], v82 offset0:204 offset1:221
	v_sub_f32_e32 v97, v94, v67
	ds_load_2addr_b32 v[93:94], v82 offset0:238 offset1:255
	s_waitcnt lgkmcnt(0)
	v_exp_f32_e32 v101, v101
	s_barrier
	buffer_gl0_inv
	v_dual_fmac_f32 v68, v101, v89 :: v_dual_sub_f32 v89, v96, v67
	v_dual_sub_f32 v82, v95, v67 :: v_dual_mul_f32 v95, 0x3fb8aa3b, v97
	v_exp_f32_e32 v97, v103
	s_delay_alu instid0(VALU_DEP_2) | instskip(NEXT) | instid1(VALU_DEP_2)
	v_dual_fmac_f32 v68, v102, v90 :: v_dual_mul_f32 v89, 0x3fb8aa3b, v89
	v_mul_f32_e32 v82, 0x3fb8aa3b, v82
	s_delay_alu instid0(VALU_DEP_3) | instskip(NEXT) | instid1(VALU_DEP_2)
	v_exp_f32_e32 v95, v95
	v_exp_f32_e32 v89, v89
	s_delay_alu instid0(VALU_DEP_1)
	v_exp_f32_e32 v82, v82
	v_fmac_f32_e32 v68, v97, v91
	s_delay_alu instid0(TRANS32_DEP_3) | instid1(VALU_DEP_1)
	v_fmac_f32_e32 v68, v95, v92
	s_waitcnt_depctr 0xfff
	v_fmac_f32_e32 v68, v82, v93
	s_delay_alu instid0(VALU_DEP_1) | instskip(NEXT) | instid1(VALU_DEP_1)
	v_fmac_f32_e32 v68, v89, v94
	v_add_f32_e32 v90, 0x358637bd, v68
	s_delay_alu instid0(VALU_DEP_1) | instskip(NEXT) | instid1(VALU_DEP_1)
	v_div_scale_f32 v91, null, v90, v90, 1.0
	v_rcp_f32_e32 v92, v91
	s_waitcnt_depctr 0xfff
	v_fma_f32 v93, -v91, v92, 1.0
	s_delay_alu instid0(VALU_DEP_1) | instskip(SKIP_1) | instid1(VALU_DEP_2)
	v_dual_fmac_f32 v92, v93, v92 :: v_dual_cndmask_b32 v93, v100, v99
	v_cmp_eq_u32_e32 vcc_lo, 3, v66
	v_cndmask_b32_e64 v93, v93, v101, s3
	v_cmp_eq_u32_e64 s3, 4, v66
	s_delay_alu instid0(VALU_DEP_2) | instskip(SKIP_1) | instid1(VALU_DEP_2)
	v_cndmask_b32_e32 v93, v93, v102, vcc_lo
	v_cmp_eq_u32_e32 vcc_lo, 5, v66
	v_cndmask_b32_e64 v93, v93, v97, s3
	v_cmp_eq_u32_e64 s3, 6, v66
	s_delay_alu instid0(VALU_DEP_2) | instskip(SKIP_1) | instid1(VALU_DEP_1)
	v_cndmask_b32_e32 v93, v93, v95, vcc_lo
	v_div_scale_f32 v94, s4, 1.0, v90, 1.0
	s_mov_b32 vcc_lo, s4
	s_delay_alu instid0(VALU_DEP_2) | instskip(NEXT) | instid1(VALU_DEP_2)
	v_cndmask_b32_e64 v82, v93, v82, s3
	v_mul_f32_e32 v96, v94, v92
	s_mov_b32 s3, exec_lo
	s_delay_alu instid0(VALU_DEP_2) | instskip(NEXT) | instid1(VALU_DEP_2)
	v_cndmask_b32_e64 v82, v82, v89, s5
	v_fma_f32 v98, -v91, v96, v94
	s_delay_alu instid0(VALU_DEP_1) | instskip(NEXT) | instid1(VALU_DEP_1)
	v_fmac_f32_e32 v96, v98, v92
	v_fma_f32 v91, -v91, v96, v94
	s_delay_alu instid0(VALU_DEP_1) | instskip(NEXT) | instid1(VALU_DEP_1)
	v_div_fmas_f32 v91, v91, v92, v96
	v_div_fixup_f32 v90, v91, v90, 1.0
	s_delay_alu instid0(VALU_DEP_1) | instskip(NEXT) | instid1(VALU_DEP_1)
	v_mul_f32_e32 v82, v82, v90
	v_mul_f32_e32 v87, v82, v87
	;; [unrolled: 1-line block ×7, first 2 shown]
	v_dual_mul_f32 v86, v82, v83 :: v_dual_and_b32 v91, 0x7f800000, v90
	v_mul_f32_e32 v85, v82, v76
                                        ; implicit-def: $vgpr76
	s_delay_alu instid0(VALU_DEP_2)
	v_cmpx_ne_u32_e32 0x7f800000, v91
	s_xor_b32 s3, exec_lo, s3
; %bb.13:
	v_bfe_u32 v76, v90, 16, 1
	s_delay_alu instid0(VALU_DEP_1)
	v_add3_u32 v76, v90, v76, 0x7fff
                                        ; implicit-def: $vgpr90
; %bb.14:
	s_and_not1_saveexec_b32 s3, s3
; %bb.15:
	v_and_b32_e32 v76, 0xffff, v90
	v_or_b32_e32 v83, 0x10000, v90
	s_delay_alu instid0(VALU_DEP_2) | instskip(NEXT) | instid1(VALU_DEP_2)
	v_cmp_eq_u32_e32 vcc_lo, 0, v76
	v_cndmask_b32_e32 v76, v83, v90, vcc_lo
; %bb.16:
	s_or_b32 exec_lo, exec_lo, s3
	v_and_b32_e32 v83, 0x7f800000, v85
	s_delay_alu instid0(VALU_DEP_1) | instskip(SKIP_1) | instid1(SALU_CYCLE_1)
	v_cmp_ne_u32_e32 vcc_lo, 0x7f800000, v83
                                        ; implicit-def: $vgpr83
	s_and_saveexec_b32 s3, vcc_lo
	s_xor_b32 s3, exec_lo, s3
; %bb.17:
	v_bfe_u32 v83, v85, 16, 1
	s_delay_alu instid0(VALU_DEP_1)
	v_add3_u32 v83, v85, v83, 0x7fff
                                        ; implicit-def: $vgpr85
; %bb.18:
	s_and_not1_saveexec_b32 s3, s3
; %bb.19:
	v_and_b32_e32 v83, 0xffff, v85
	v_or_b32_e32 v90, 0x10000, v85
	s_delay_alu instid0(VALU_DEP_2) | instskip(NEXT) | instid1(VALU_DEP_2)
	v_cmp_eq_u32_e32 vcc_lo, 0, v83
	v_cndmask_b32_e32 v83, v90, v85, vcc_lo
; %bb.20:
	s_or_b32 exec_lo, exec_lo, s3
	v_and_b32_e32 v85, 0x7f800000, v86
	s_delay_alu instid0(VALU_DEP_1) | instskip(SKIP_1) | instid1(SALU_CYCLE_1)
	v_cmp_ne_u32_e32 vcc_lo, 0x7f800000, v85
                                        ; implicit-def: $vgpr85
	s_and_saveexec_b32 s3, vcc_lo
	s_xor_b32 s3, exec_lo, s3
; %bb.21:
	v_bfe_u32 v85, v86, 16, 1
	s_delay_alu instid0(VALU_DEP_1)
	v_add3_u32 v85, v86, v85, 0x7fff
                                        ; implicit-def: $vgpr86
; %bb.22:
	s_and_not1_saveexec_b32 s3, s3
; %bb.23:
	v_and_b32_e32 v85, 0xffff, v86
	v_or_b32_e32 v90, 0x10000, v86
	s_delay_alu instid0(VALU_DEP_2) | instskip(NEXT) | instid1(VALU_DEP_2)
	v_cmp_eq_u32_e32 vcc_lo, 0, v85
	v_cndmask_b32_e32 v85, v90, v86, vcc_lo
; %bb.24:
	s_or_b32 exec_lo, exec_lo, s3
	v_and_b32_e32 v86, 0x7f800000, v89
	s_delay_alu instid0(VALU_DEP_1) | instskip(SKIP_1) | instid1(SALU_CYCLE_1)
	v_cmp_ne_u32_e32 vcc_lo, 0x7f800000, v86
                                        ; implicit-def: $vgpr86
	s_and_saveexec_b32 s3, vcc_lo
	s_xor_b32 s3, exec_lo, s3
; %bb.25:
	v_bfe_u32 v86, v89, 16, 1
	s_delay_alu instid0(VALU_DEP_1)
	v_add3_u32 v86, v89, v86, 0x7fff
                                        ; implicit-def: $vgpr89
; %bb.26:
	s_and_not1_saveexec_b32 s3, s3
; %bb.27:
	v_and_b32_e32 v86, 0xffff, v89
	v_or_b32_e32 v90, 0x10000, v89
	s_delay_alu instid0(VALU_DEP_2) | instskip(NEXT) | instid1(VALU_DEP_2)
	v_cmp_eq_u32_e32 vcc_lo, 0, v86
	v_cndmask_b32_e32 v86, v90, v89, vcc_lo
; %bb.28:
	s_or_b32 exec_lo, exec_lo, s3
	v_and_b32_e32 v89, 0x7f800000, v88
	s_delay_alu instid0(VALU_DEP_1) | instskip(SKIP_1) | instid1(SALU_CYCLE_1)
	v_cmp_ne_u32_e32 vcc_lo, 0x7f800000, v89
                                        ; implicit-def: $vgpr89
	s_and_saveexec_b32 s3, vcc_lo
	s_xor_b32 s3, exec_lo, s3
; %bb.29:
	v_bfe_u32 v89, v88, 16, 1
	s_delay_alu instid0(VALU_DEP_1)
	v_add3_u32 v89, v88, v89, 0x7fff
                                        ; implicit-def: $vgpr88
; %bb.30:
	s_and_not1_saveexec_b32 s3, s3
; %bb.31:
	v_and_b32_e32 v89, 0xffff, v88
	v_or_b32_e32 v90, 0x10000, v88
	s_delay_alu instid0(VALU_DEP_2) | instskip(NEXT) | instid1(VALU_DEP_2)
	v_cmp_eq_u32_e32 vcc_lo, 0, v89
	v_cndmask_b32_e32 v89, v90, v88, vcc_lo
; %bb.32:
	s_or_b32 exec_lo, exec_lo, s3
	v_and_b32_e32 v88, 0x7f800000, v87
	s_delay_alu instid0(VALU_DEP_1) | instskip(SKIP_1) | instid1(SALU_CYCLE_1)
	v_cmp_ne_u32_e32 vcc_lo, 0x7f800000, v88
                                        ; implicit-def: $vgpr88
	s_and_saveexec_b32 s3, vcc_lo
	s_xor_b32 s3, exec_lo, s3
; %bb.33:
	v_bfe_u32 v88, v87, 16, 1
	s_delay_alu instid0(VALU_DEP_1)
	v_add3_u32 v88, v87, v88, 0x7fff
                                        ; implicit-def: $vgpr87
; %bb.34:
	s_and_not1_saveexec_b32 s3, s3
; %bb.35:
	v_and_b32_e32 v88, 0xffff, v87
	v_or_b32_e32 v90, 0x10000, v87
	s_delay_alu instid0(VALU_DEP_2) | instskip(NEXT) | instid1(VALU_DEP_2)
	v_cmp_eq_u32_e32 vcc_lo, 0, v88
	v_cndmask_b32_e32 v88, v90, v87, vcc_lo
; %bb.36:
	s_or_b32 exec_lo, exec_lo, s3
	v_and_b32_e32 v87, 0x7f800000, v84
	s_delay_alu instid0(VALU_DEP_1) | instskip(SKIP_1) | instid1(SALU_CYCLE_1)
	v_cmp_ne_u32_e32 vcc_lo, 0x7f800000, v87
                                        ; implicit-def: $vgpr87
	s_and_saveexec_b32 s3, vcc_lo
	s_xor_b32 s3, exec_lo, s3
; %bb.37:
	v_bfe_u32 v87, v84, 16, 1
	s_delay_alu instid0(VALU_DEP_1)
	v_add3_u32 v87, v84, v87, 0x7fff
                                        ; implicit-def: $vgpr84
; %bb.38:
	s_and_not1_saveexec_b32 s3, s3
; %bb.39:
	v_and_b32_e32 v87, 0xffff, v84
	v_or_b32_e32 v90, 0x10000, v84
	s_delay_alu instid0(VALU_DEP_2) | instskip(NEXT) | instid1(VALU_DEP_2)
	v_cmp_eq_u32_e32 vcc_lo, 0, v87
	v_cndmask_b32_e32 v87, v90, v84, vcc_lo
; %bb.40:
	s_or_b32 exec_lo, exec_lo, s3
	v_and_b32_e32 v84, 0x7f800000, v80
	s_delay_alu instid0(VALU_DEP_1) | instskip(SKIP_1) | instid1(SALU_CYCLE_1)
	v_cmp_ne_u32_e32 vcc_lo, 0x7f800000, v84
                                        ; implicit-def: $vgpr84
	s_and_saveexec_b32 s3, vcc_lo
	s_xor_b32 s3, exec_lo, s3
; %bb.41:
	v_bfe_u32 v84, v80, 16, 1
	s_delay_alu instid0(VALU_DEP_1)
	v_add3_u32 v84, v80, v84, 0x7fff
                                        ; implicit-def: $vgpr80
; %bb.42:
	s_and_not1_saveexec_b32 s3, s3
; %bb.43:
	v_and_b32_e32 v84, 0xffff, v80
	v_or_b32_e32 v90, 0x10000, v80
	s_delay_alu instid0(VALU_DEP_2) | instskip(NEXT) | instid1(VALU_DEP_2)
	v_cmp_eq_u32_e32 vcc_lo, 0, v84
	v_cndmask_b32_e32 v84, v90, v80, vcc_lo
; %bb.44:
	s_or_b32 exec_lo, exec_lo, s3
	s_load_b64 s[34:35], s[0:1], 0x94
	v_lshlrev_b32_e32 v91, 4, v74
	s_delay_alu instid0(VALU_DEP_2)
	v_perm_b32 v90, v84, v87, 0x7060302
	v_dual_mul_f32 v79, v82, v79 :: v_dual_lshlrev_b32 v80, 6, v65
	v_dual_mul_f32 v77, v82, v77 :: v_dual_lshlrev_b32 v92, 11, v66
	v_mul_f32_e32 v84, v82, v70
	v_perm_b32 v89, v88, v89, 0x7060302
	v_perm_b32 v88, v86, v85, 0x7060302
	;; [unrolled: 1-line block ×3, first 2 shown]
	v_mul_f32_e32 v70, v82, v81
	v_or3_b32 v76, v91, v92, v80
	v_dual_mul_f32 v78, v82, v78 :: v_dual_and_b32 v85, 0x7f800000, v84
	v_mul_f32_e32 v83, v82, v72
	v_mul_f32_e32 v81, v82, v71
	v_mul_f32_e32 v72, v82, v69
	s_mov_b32 s3, exec_lo
	ds_store_b128 v76, v[87:90]
                                        ; implicit-def: $vgpr69
	v_cmpx_ne_u32_e32 0x7f800000, v85
	s_xor_b32 s3, exec_lo, s3
; %bb.45:
	v_bfe_u32 v69, v84, 16, 1
	s_delay_alu instid0(VALU_DEP_1)
	v_add3_u32 v69, v84, v69, 0x7fff
                                        ; implicit-def: $vgpr84
; %bb.46:
	s_and_not1_saveexec_b32 s3, s3
; %bb.47:
	v_and_b32_e32 v69, 0xffff, v84
	v_or_b32_e32 v71, 0x10000, v84
	s_delay_alu instid0(VALU_DEP_2) | instskip(NEXT) | instid1(VALU_DEP_2)
	v_cmp_eq_u32_e32 vcc_lo, 0, v69
	v_cndmask_b32_e32 v69, v71, v84, vcc_lo
; %bb.48:
	s_or_b32 exec_lo, exec_lo, s3
	v_and_b32_e32 v71, 0x7f800000, v72
	s_delay_alu instid0(VALU_DEP_1) | instskip(SKIP_1) | instid1(SALU_CYCLE_1)
	v_cmp_ne_u32_e32 vcc_lo, 0x7f800000, v71
                                        ; implicit-def: $vgpr71
	s_and_saveexec_b32 s3, vcc_lo
	s_xor_b32 s3, exec_lo, s3
; %bb.49:
	v_bfe_u32 v71, v72, 16, 1
	s_delay_alu instid0(VALU_DEP_1)
	v_add3_u32 v71, v72, v71, 0x7fff
                                        ; implicit-def: $vgpr72
; %bb.50:
	s_and_not1_saveexec_b32 s3, s3
; %bb.51:
	v_and_b32_e32 v71, 0xffff, v72
	v_or_b32_e32 v82, 0x10000, v72
	s_delay_alu instid0(VALU_DEP_2) | instskip(NEXT) | instid1(VALU_DEP_2)
	v_cmp_eq_u32_e32 vcc_lo, 0, v71
	v_cndmask_b32_e32 v71, v82, v72, vcc_lo
; %bb.52:
	s_or_b32 exec_lo, exec_lo, s3
	v_and_b32_e32 v72, 0x7f800000, v81
	s_delay_alu instid0(VALU_DEP_1) | instskip(SKIP_1) | instid1(SALU_CYCLE_1)
	v_cmp_ne_u32_e32 vcc_lo, 0x7f800000, v72
                                        ; implicit-def: $vgpr72
	s_and_saveexec_b32 s3, vcc_lo
	s_xor_b32 s3, exec_lo, s3
; %bb.53:
	v_bfe_u32 v72, v81, 16, 1
	s_delay_alu instid0(VALU_DEP_1)
	v_add3_u32 v72, v81, v72, 0x7fff
                                        ; implicit-def: $vgpr81
; %bb.54:
	s_and_not1_saveexec_b32 s3, s3
; %bb.55:
	v_and_b32_e32 v72, 0xffff, v81
	v_or_b32_e32 v82, 0x10000, v81
	s_delay_alu instid0(VALU_DEP_2) | instskip(NEXT) | instid1(VALU_DEP_2)
	v_cmp_eq_u32_e32 vcc_lo, 0, v72
	v_cndmask_b32_e32 v72, v82, v81, vcc_lo
; %bb.56:
	s_or_b32 exec_lo, exec_lo, s3
	v_and_b32_e32 v81, 0x7f800000, v83
	s_delay_alu instid0(VALU_DEP_1) | instskip(SKIP_1) | instid1(SALU_CYCLE_1)
	v_cmp_ne_u32_e32 vcc_lo, 0x7f800000, v81
                                        ; implicit-def: $vgpr81
	s_and_saveexec_b32 s3, vcc_lo
	s_xor_b32 s3, exec_lo, s3
; %bb.57:
	v_bfe_u32 v81, v83, 16, 1
	s_delay_alu instid0(VALU_DEP_1)
	v_add3_u32 v81, v83, v81, 0x7fff
                                        ; implicit-def: $vgpr83
; %bb.58:
	s_and_not1_saveexec_b32 s3, s3
; %bb.59:
	v_and_b32_e32 v81, 0xffff, v83
	v_or_b32_e32 v82, 0x10000, v83
	s_delay_alu instid0(VALU_DEP_2) | instskip(NEXT) | instid1(VALU_DEP_2)
	v_cmp_eq_u32_e32 vcc_lo, 0, v81
	v_cndmask_b32_e32 v81, v82, v83, vcc_lo
; %bb.60:
	s_or_b32 exec_lo, exec_lo, s3
	v_and_b32_e32 v82, 0x7f800000, v77
	s_delay_alu instid0(VALU_DEP_1) | instskip(SKIP_1) | instid1(SALU_CYCLE_1)
	v_cmp_ne_u32_e32 vcc_lo, 0x7f800000, v82
                                        ; implicit-def: $vgpr82
	s_and_saveexec_b32 s3, vcc_lo
	s_xor_b32 s3, exec_lo, s3
; %bb.61:
	v_bfe_u32 v82, v77, 16, 1
	s_delay_alu instid0(VALU_DEP_1)
	v_add3_u32 v82, v77, v82, 0x7fff
                                        ; implicit-def: $vgpr77
; %bb.62:
	s_and_not1_saveexec_b32 s3, s3
; %bb.63:
	v_and_b32_e32 v82, 0xffff, v77
	v_or_b32_e32 v83, 0x10000, v77
	s_delay_alu instid0(VALU_DEP_2) | instskip(NEXT) | instid1(VALU_DEP_2)
	v_cmp_eq_u32_e32 vcc_lo, 0, v82
	v_cndmask_b32_e32 v82, v83, v77, vcc_lo
; %bb.64:
	s_or_b32 exec_lo, exec_lo, s3
	v_and_b32_e32 v77, 0x7f800000, v78
	s_delay_alu instid0(VALU_DEP_1) | instskip(SKIP_1) | instid1(SALU_CYCLE_1)
	v_cmp_ne_u32_e32 vcc_lo, 0x7f800000, v77
                                        ; implicit-def: $vgpr77
	s_and_saveexec_b32 s3, vcc_lo
	s_xor_b32 s3, exec_lo, s3
; %bb.65:
	v_bfe_u32 v77, v78, 16, 1
	s_delay_alu instid0(VALU_DEP_1)
	v_add3_u32 v77, v78, v77, 0x7fff
                                        ; implicit-def: $vgpr78
; %bb.66:
	s_and_not1_saveexec_b32 s3, s3
; %bb.67:
	v_and_b32_e32 v77, 0xffff, v78
	v_or_b32_e32 v83, 0x10000, v78
	s_delay_alu instid0(VALU_DEP_2) | instskip(NEXT) | instid1(VALU_DEP_2)
	v_cmp_eq_u32_e32 vcc_lo, 0, v77
	v_cndmask_b32_e32 v77, v83, v78, vcc_lo
; %bb.68:
	s_or_b32 exec_lo, exec_lo, s3
	v_and_b32_e32 v78, 0x7f800000, v79
	s_delay_alu instid0(VALU_DEP_1) | instskip(SKIP_1) | instid1(SALU_CYCLE_1)
	v_cmp_ne_u32_e32 vcc_lo, 0x7f800000, v78
                                        ; implicit-def: $vgpr78
	s_and_saveexec_b32 s3, vcc_lo
	s_xor_b32 s3, exec_lo, s3
; %bb.69:
	v_bfe_u32 v78, v79, 16, 1
	s_delay_alu instid0(VALU_DEP_1)
	v_add3_u32 v78, v79, v78, 0x7fff
                                        ; implicit-def: $vgpr79
; %bb.70:
	s_and_not1_saveexec_b32 s3, s3
; %bb.71:
	v_and_b32_e32 v78, 0xffff, v79
	v_or_b32_e32 v83, 0x10000, v79
	s_delay_alu instid0(VALU_DEP_2) | instskip(NEXT) | instid1(VALU_DEP_2)
	v_cmp_eq_u32_e32 vcc_lo, 0, v78
	v_cndmask_b32_e32 v78, v83, v79, vcc_lo
; %bb.72:
	s_or_b32 exec_lo, exec_lo, s3
	v_and_b32_e32 v79, 0x7f800000, v70
	s_delay_alu instid0(VALU_DEP_1) | instskip(SKIP_1) | instid1(SALU_CYCLE_1)
	v_cmp_ne_u32_e32 vcc_lo, 0x7f800000, v79
                                        ; implicit-def: $vgpr79
	s_and_saveexec_b32 s3, vcc_lo
	s_xor_b32 s3, exec_lo, s3
; %bb.73:
	v_bfe_u32 v79, v70, 16, 1
	s_delay_alu instid0(VALU_DEP_1)
	v_add3_u32 v79, v70, v79, 0x7fff
                                        ; implicit-def: $vgpr70
; %bb.74:
	s_and_not1_saveexec_b32 s3, s3
; %bb.75:
	v_and_b32_e32 v79, 0xffff, v70
	v_or_b32_e32 v83, 0x10000, v70
	s_delay_alu instid0(VALU_DEP_2) | instskip(NEXT) | instid1(VALU_DEP_2)
	v_cmp_eq_u32_e32 vcc_lo, 0, v79
	v_cndmask_b32_e32 v79, v83, v70, vcc_lo
; %bb.76:
	s_or_b32 exec_lo, exec_lo, s3
	s_delay_alu instid0(VALU_DEP_1)
	v_perm_b32 v86, v79, v78, 0x7060302
	v_perm_b32 v85, v77, v82, 0x7060302
	;; [unrolled: 1-line block ×4, first 2 shown]
	v_lshl_or_b32 v82, v66, 11, v80
	ds_store_b128 v76, v[83:86] offset:1024
	s_waitcnt lgkmcnt(0)
	s_barrier
	buffer_gl0_inv
	ds_load_b128 v[69:72], v82
	ds_load_b128 v[83:86], v82 offset:16
	s_waitcnt lgkmcnt(1)
	v_lshrrev_b32_e32 v66, 16, v69
	s_waitcnt lgkmcnt(0)
	v_lshrrev_b32_e32 v91, 16, v83
	v_lshlrev_b32_e32 v78, 2, v74
	v_lshrrev_b32_e32 v95, 16, v70
	v_lshrrev_b32_e32 v98, 16, v84
	;; [unrolled: 1-line block ×4, first 2 shown]
	v_cmp_eq_u32_e32 vcc_lo, 1, v78
	v_lshrrev_b32_e32 v97, 16, v72
	v_lshrrev_b32_e32 v100, 16, v86
	v_cndmask_b32_e32 v87, v83, v91, vcc_lo
	v_or_b32_e32 v79, 1, v78
	v_cndmask_b32_e32 v81, v69, v66, vcc_lo
	v_cmp_eq_u32_e64 s4, 2, v78
	v_cmp_eq_u32_e64 s7, 3, v78
	;; [unrolled: 1-line block ×5, first 2 shown]
	v_cndmask_b32_e64 v81, v81, v70, s4
	v_cndmask_b32_e64 v87, v87, v84, s4
	v_cmp_eq_u32_e64 s8, 3, v79
	v_cndmask_b32_e64 v88, v69, v66, s3
	v_or_b32_e32 v77, 2, v78
	v_cndmask_b32_e64 v81, v81, v95, s7
	v_cndmask_b32_e64 v87, v87, v98, s7
	;; [unrolled: 1-line block ×4, first 2 shown]
	v_cmp_eq_u32_e64 s10, 5, v78
	v_cndmask_b32_e64 v81, v81, v71, s9
	v_cndmask_b32_e64 v87, v87, v85, s9
	v_cmp_eq_u32_e64 s11, 4, v79
	v_cndmask_b32_e64 v88, v88, v95, s8
	v_cmp_eq_u32_e64 s5, 1, v77
	v_cndmask_b32_e64 v89, v89, v84, s6
	v_cndmask_b32_e64 v81, v81, v96, s10
	v_cmp_eq_u32_e64 s12, 6, v78
	v_cndmask_b32_e64 v88, v88, v71, s11
	;; [unrolled: 3-line block ×3, first 2 shown]
	v_cndmask_b32_e64 v89, v89, v98, s8
	v_cndmask_b32_e64 v81, v81, v72, s12
	v_cmp_eq_u32_e64 s15, 7, v78
	v_cndmask_b32_e64 v88, v88, v96, s13
	v_cndmask_b32_e64 v87, v87, v86, s12
	v_cmp_eq_u32_e64 s16, 6, v79
	v_cmp_eq_u32_e64 s17, 2, v77
	v_cndmask_b32_e64 v89, v89, v85, s11
	v_cndmask_b32_e64 v101, v81, v97, s15
	;; [unrolled: 1-line block ×6, first 2 shown]
	v_cmp_eq_u32_e64 s18, 7, v79
	v_cmp_eq_u32_e64 s19, 3, v77
	;; [unrolled: 1-line block ×4, first 2 shown]
	v_cndmask_b32_e64 v87, v87, v84, s17
	v_cndmask_b32_e64 v103, v88, v97, s18
	v_cndmask_b32_e64 v88, v89, v99, s13
	v_cndmask_b32_e64 v89, v81, v95, s19
	v_or_b32_e32 v81, 3, v78
	v_cndmask_b32_e64 v93, v87, v98, s19
	v_cmp_eq_u32_e64 s24, 6, v77
	v_cndmask_b32_e64 v104, v88, v86, s16
	v_cndmask_b32_e64 v92, v89, v71, s20
	v_cmp_eq_u32_e64 s21, 1, v81
	ds_load_b128 v[87:90], v82 offset:1024
	v_cmp_eq_u32_e64 s23, 2, v81
	v_cmp_eq_u32_e64 s25, 3, v81
	v_cndmask_b32_e64 v105, v92, v96, s22
	v_cndmask_b32_e64 v66, v69, v66, s21
	v_cndmask_b32_e64 v69, v93, v85, s20
	v_cndmask_b32_e64 v83, v83, v91, s21
	ds_load_b128 v[91:94], v82 offset:1040
	v_cmp_eq_u32_e64 s26, 4, v81
	v_cndmask_b32_e64 v66, v66, v70, s23
	v_cmp_eq_u32_e64 s27, 7, v77
	v_cndmask_b32_e64 v70, v83, v84, s23
	v_cndmask_b32_e64 v84, v105, v72, s24
	v_cmp_eq_u32_e64 s28, 5, v81
	v_cndmask_b32_e64 v66, v66, v95, s25
	v_cmp_eq_u32_e64 s29, 6, v81
	v_cndmask_b32_e64 v70, v70, v98, s25
	v_cndmask_b32_e64 v69, v69, v99, s22
	;; [unrolled: 1-line block ×4, first 2 shown]
	s_waitcnt lgkmcnt(1)
	v_lshrrev_b32_e32 v95, 16, v87
	v_cndmask_b32_e64 v70, v70, v85, s26
	v_cndmask_b32_e64 v71, v84, v97, s27
	v_cndmask_b32_e64 v69, v69, v86, s24
	v_cndmask_b32_e64 v66, v66, v96, s28
	v_cndmask_b32_e32 v84, v87, v95, vcc_lo
	v_cndmask_b32_e64 v70, v70, v99, s28
	s_waitcnt lgkmcnt(0)
	v_lshrrev_b32_e32 v85, 16, v91
	v_lshrrev_b32_e32 v96, 16, v88
	v_cndmask_b32_e64 v98, v87, v95, s3
	v_cndmask_b32_e64 v84, v84, v88, s4
	;; [unrolled: 1-line block ×3, first 2 shown]
	v_cndmask_b32_e32 v99, v91, v85, vcc_lo
	v_cmp_eq_u32_e32 vcc_lo, 7, v81
	v_cndmask_b32_e64 v66, v66, v72, s29
	v_cndmask_b32_e64 v72, v84, v96, s7
	;; [unrolled: 1-line block ×3, first 2 shown]
	v_lshrrev_b32_e32 v98, 16, v92
	v_cndmask_b32_e32 v70, v70, v100, vcc_lo
	v_cndmask_b32_e64 v86, v99, v92, s4
	v_cndmask_b32_e64 v69, v69, v100, s27
	v_lshrrev_b32_e32 v100, 16, v93
	v_cndmask_b32_e64 v72, v72, v89, s9
	v_lshrrev_b32_e32 v99, 16, v89
	v_cndmask_b32_e64 v86, v86, v98, s7
	v_perm_b32 v71, v69, v71, 0x5040100
	v_cndmask_b32_e64 v84, v84, v96, s8
	s_delay_alu instid0(VALU_DEP_3) | instskip(NEXT) | instid1(VALU_DEP_2)
	v_cndmask_b32_e64 v86, v86, v93, s9
	v_cndmask_b32_e64 v84, v84, v89, s11
	s_delay_alu instid0(VALU_DEP_2) | instskip(NEXT) | instid1(VALU_DEP_1)
	v_cndmask_b32_e64 v86, v86, v100, s10
	v_cndmask_b32_e64 v69, v86, v94, s12
	;; [unrolled: 1-line block ×5, first 2 shown]
	s_delay_alu instid0(VALU_DEP_3) | instskip(NEXT) | instid1(VALU_DEP_3)
	v_cndmask_b32_e64 v86, v86, v88, s17
	v_cndmask_b32_e64 v87, v87, v88, s23
	s_delay_alu instid0(VALU_DEP_3) | instskip(NEXT) | instid1(VALU_DEP_3)
	v_cndmask_b32_e64 v88, v95, v92, s23
	v_cndmask_b32_e64 v86, v86, v96, s19
	;; [unrolled: 3-line block ×7, first 2 shown]
	s_delay_alu instid0(VALU_DEP_3) | instskip(SKIP_2) | instid1(VALU_DEP_2)
	v_cndmask_b32_e64 v88, v88, v94, s29
	v_cndmask_b32_e32 v66, v66, v97, vcc_lo
	v_cndmask_b32_e64 v97, v72, v99, s10
	v_perm_b32 v72, v70, v66, 0x5040100
	v_perm_b32 v70, v83, v103, 0x5040100
	v_cndmask_b32_e64 v103, v91, v85, s5
	v_cndmask_b32_e64 v85, v91, v85, s3
	;; [unrolled: 1-line block ×4, first 2 shown]
	v_lshrrev_b32_e32 v97, 16, v90
	v_cndmask_b32_e64 v91, v103, v92, s17
	v_cndmask_b32_e64 v85, v85, v92, s6
	v_cndmask_b32_e64 v66, v66, v90, s16
	s_mov_b32 s3, exec_lo
	v_cndmask_b32_e64 v83, v84, v97, s15
	v_cndmask_b32_e64 v91, v91, v98, s19
	;; [unrolled: 1-line block ×3, first 2 shown]
	v_lshrrev_b32_e32 v84, 16, v94
	v_cndmask_b32_e64 v66, v66, v97, s18
	v_cndmask_b32_e64 v90, v86, v97, s27
	;; [unrolled: 1-line block ×4, first 2 shown]
	v_dual_cndmask_b32 v86, v87, v97 :: v_dual_cndmask_b32 v87, v88, v84
	v_cndmask_b32_e64 v91, v69, v84, s15
	s_delay_alu instid0(VALU_DEP_4) | instskip(NEXT) | instid1(VALU_DEP_4)
	v_cndmask_b32_e64 v89, v89, v100, s22
	v_cndmask_b32_e64 v85, v85, v100, s13
	v_perm_b32 v69, v102, v101, 0x5040100
	v_perm_b32 v86, v87, v86, 0x5040100
	;; [unrolled: 1-line block ×3, first 2 shown]
	v_cndmask_b32_e64 v89, v89, v94, s24
	v_cndmask_b32_e64 v85, v85, v94, s16
	s_mul_i32 s8, s35, 12
	s_delay_alu instid0(VALU_DEP_2) | instskip(NEXT) | instid1(VALU_DEP_2)
	v_cndmask_b32_e64 v88, v89, v84, s27
	v_cndmask_b32_e64 v89, v85, v84, s18
	s_delay_alu instid0(VALU_DEP_2) | instskip(NEXT) | instid1(VALU_DEP_2)
	v_perm_b32 v85, v88, v90, 0x5040100
	v_perm_b32 v84, v89, v66, 0x5040100
	ds_store_b128 v76, v[69:72]
	ds_store_b128 v76, v[83:86] offset:1024
	v_cmpx_gt_u32_e32 12, v0
	s_cbranch_execz .LBB1769_78
; %bb.77:
	s_mul_i32 s4, s8, s30
	s_delay_alu instid0(SALU_CYCLE_1) | instskip(SKIP_1) | instid1(VALU_DEP_1)
	v_add3_u32 v69, s4, s31, v65
	s_load_b128 s[4:7], s[0:1], 0x58
	v_mad_u64_u32 v[65:66], null, v69, s34, s[14:15]
	s_delay_alu instid0(VALU_DEP_1) | instskip(NEXT) | instid1(VALU_DEP_1)
	v_ashrrev_i32_e32 v66, 31, v65
	v_lshlrev_b64 v[65:66], 2, v[65:66]
	s_waitcnt lgkmcnt(0)
	s_delay_alu instid0(VALU_DEP_1) | instskip(NEXT) | instid1(VALU_DEP_2)
	v_add_co_u32 v69, vcc_lo, s6, v65
	v_add_co_ci_u32_e32 v70, vcc_lo, s7, v66, vcc_lo
	v_add_co_u32 v65, vcc_lo, s4, v65
	v_add_co_ci_u32_e32 v66, vcc_lo, s5, v66, vcc_lo
	global_store_b32 v[69:70], v67, off
	global_store_b32 v[65:66], v68, off
.LBB1769_78:
	s_or_b32 exec_lo, exec_lo, s3
	s_waitcnt lgkmcnt(0)
	s_waitcnt_vscnt null, 0x0
	s_barrier
	buffer_gl0_inv
	ds_load_b128 v[83:86], v80
	ds_load_b128 v[87:90], v80 offset:16
	ds_load_b128 v[95:98], v80 offset:2064
	;; [unrolled: 1-line block ×3, first 2 shown]
	v_mov_b32_e32 v65, 0
	ds_load_b128 v[103:106], v80 offset:4112
	ds_load_b128 v[99:102], v80 offset:4096
	ds_load_b128 v[111:114], v80 offset:6160
	ds_load_b128 v[107:110], v80 offset:6144
	v_mov_b32_e32 v66, v65
	v_mov_b32_e32 v67, v65
	;; [unrolled: 1-line block ×7, first 2 shown]
	s_waitcnt lgkmcnt(6)
	s_delay_alu instid0(VALU_DEP_1)
	v_wmma_f32_16x16x16_bf16 v[65:72], v[57:64], v[83:90], v[65:72]
	ds_load_b128 v[61:64], v80 offset:8208
	ds_load_b128 v[57:60], v80 offset:8192
	s_waitcnt lgkmcnt(6)
	v_wmma_f32_16x16x16_bf16 v[65:72], v[41:48], v[91:98], v[65:72]
	ds_load_b128 v[45:48], v80 offset:10256
	ds_load_b128 v[41:44], v80 offset:10240
	s_waitcnt lgkmcnt(6)
	;; [unrolled: 4-line block ×4, first 2 shown]
	v_wmma_f32_16x16x16_bf16 v[65:72], v[1:8], v[57:64], v[65:72]
	s_waitcnt lgkmcnt(4)
	s_delay_alu instid0(VALU_DEP_1) | instskip(SKIP_1) | instid1(VALU_DEP_1)
	v_wmma_f32_16x16x16_bf16 v[65:72], v[9:16], v[41:48], v[65:72]
	s_waitcnt lgkmcnt(2)
	v_wmma_f32_16x16x16_bf16 v[65:72], v[17:24], v[33:40], v[65:72]
	s_waitcnt lgkmcnt(0)
	s_delay_alu instid0(VALU_DEP_1) | instskip(NEXT) | instid1(VALU_DEP_1)
	v_wmma_f32_16x16x16_bf16 v[65:72], v[49:56], v[25:32], v[65:72]
	v_and_b32_e32 v1, 0x7f800000, v65
	s_delay_alu instid0(VALU_DEP_1) | instskip(SKIP_1) | instid1(SALU_CYCLE_1)
	v_cmp_ne_u32_e32 vcc_lo, 0x7f800000, v1
                                        ; implicit-def: $vgpr1
	s_and_saveexec_b32 s3, vcc_lo
	s_xor_b32 s3, exec_lo, s3
; %bb.79:
	v_bfe_u32 v1, v65, 16, 1
	s_delay_alu instid0(VALU_DEP_1)
	v_add3_u32 v1, v65, v1, 0x7fff
; %bb.80:
	s_and_not1_saveexec_b32 s3, s3
; %bb.81:
	v_and_b32_e32 v1, 0xffff, v65
	v_or_b32_e32 v2, 0x10000, v65
	s_delay_alu instid0(VALU_DEP_2) | instskip(NEXT) | instid1(VALU_DEP_2)
	v_cmp_eq_u32_e32 vcc_lo, 0, v1
	v_cndmask_b32_e32 v1, v2, v65, vcc_lo
; %bb.82:
	s_or_b32 exec_lo, exec_lo, s3
	v_and_b32_e32 v2, 0x7f800000, v66
	s_delay_alu instid0(VALU_DEP_1) | instskip(SKIP_1) | instid1(SALU_CYCLE_1)
	v_cmp_ne_u32_e32 vcc_lo, 0x7f800000, v2
                                        ; implicit-def: $vgpr2
	s_and_saveexec_b32 s3, vcc_lo
	s_xor_b32 s3, exec_lo, s3
; %bb.83:
	v_bfe_u32 v2, v66, 16, 1
	s_delay_alu instid0(VALU_DEP_1)
	v_add3_u32 v2, v66, v2, 0x7fff
; %bb.84:
	s_and_not1_saveexec_b32 s3, s3
; %bb.85:
	v_and_b32_e32 v2, 0xffff, v66
	v_or_b32_e32 v3, 0x10000, v66
	s_delay_alu instid0(VALU_DEP_2) | instskip(NEXT) | instid1(VALU_DEP_2)
	v_cmp_eq_u32_e32 vcc_lo, 0, v2
	v_cndmask_b32_e32 v2, v3, v66, vcc_lo
; %bb.86:
	s_or_b32 exec_lo, exec_lo, s3
	v_and_b32_e32 v3, 0x7f800000, v67
	s_delay_alu instid0(VALU_DEP_1) | instskip(SKIP_1) | instid1(SALU_CYCLE_1)
	v_cmp_ne_u32_e32 vcc_lo, 0x7f800000, v3
                                        ; implicit-def: $vgpr3
	s_and_saveexec_b32 s3, vcc_lo
	s_xor_b32 s3, exec_lo, s3
; %bb.87:
	v_bfe_u32 v3, v67, 16, 1
	s_delay_alu instid0(VALU_DEP_1)
	v_add3_u32 v3, v67, v3, 0x7fff
; %bb.88:
	s_and_not1_saveexec_b32 s3, s3
; %bb.89:
	v_and_b32_e32 v3, 0xffff, v67
	v_or_b32_e32 v4, 0x10000, v67
	s_delay_alu instid0(VALU_DEP_2) | instskip(NEXT) | instid1(VALU_DEP_2)
	v_cmp_eq_u32_e32 vcc_lo, 0, v3
	v_cndmask_b32_e32 v3, v4, v67, vcc_lo
; %bb.90:
	s_or_b32 exec_lo, exec_lo, s3
	v_and_b32_e32 v4, 0x7f800000, v68
	s_delay_alu instid0(VALU_DEP_1) | instskip(SKIP_1) | instid1(SALU_CYCLE_1)
	v_cmp_ne_u32_e32 vcc_lo, 0x7f800000, v4
                                        ; implicit-def: $vgpr4
	s_and_saveexec_b32 s3, vcc_lo
	s_xor_b32 s3, exec_lo, s3
; %bb.91:
	v_bfe_u32 v4, v68, 16, 1
	s_delay_alu instid0(VALU_DEP_1)
	v_add3_u32 v4, v68, v4, 0x7fff
; %bb.92:
	s_and_not1_saveexec_b32 s3, s3
; %bb.93:
	v_and_b32_e32 v4, 0xffff, v68
	v_or_b32_e32 v5, 0x10000, v68
	s_delay_alu instid0(VALU_DEP_2) | instskip(NEXT) | instid1(VALU_DEP_2)
	v_cmp_eq_u32_e32 vcc_lo, 0, v4
	v_cndmask_b32_e32 v4, v5, v68, vcc_lo
; %bb.94:
	s_or_b32 exec_lo, exec_lo, s3
	v_and_b32_e32 v5, 0x7f800000, v69
	s_delay_alu instid0(VALU_DEP_1) | instskip(SKIP_1) | instid1(SALU_CYCLE_1)
	v_cmp_ne_u32_e32 vcc_lo, 0x7f800000, v5
                                        ; implicit-def: $vgpr5
	s_and_saveexec_b32 s3, vcc_lo
	s_xor_b32 s3, exec_lo, s3
; %bb.95:
	v_bfe_u32 v5, v69, 16, 1
	s_delay_alu instid0(VALU_DEP_1)
	v_add3_u32 v5, v69, v5, 0x7fff
; %bb.96:
	s_and_not1_saveexec_b32 s3, s3
; %bb.97:
	v_and_b32_e32 v5, 0xffff, v69
	v_or_b32_e32 v6, 0x10000, v69
	s_delay_alu instid0(VALU_DEP_2) | instskip(NEXT) | instid1(VALU_DEP_2)
	v_cmp_eq_u32_e32 vcc_lo, 0, v5
	v_cndmask_b32_e32 v5, v6, v69, vcc_lo
; %bb.98:
	s_or_b32 exec_lo, exec_lo, s3
	v_and_b32_e32 v6, 0x7f800000, v70
	s_delay_alu instid0(VALU_DEP_1) | instskip(SKIP_1) | instid1(SALU_CYCLE_1)
	v_cmp_ne_u32_e32 vcc_lo, 0x7f800000, v6
                                        ; implicit-def: $vgpr6
	s_and_saveexec_b32 s3, vcc_lo
	s_xor_b32 s3, exec_lo, s3
; %bb.99:
	v_bfe_u32 v6, v70, 16, 1
	s_delay_alu instid0(VALU_DEP_1)
	v_add3_u32 v6, v70, v6, 0x7fff
; %bb.100:
	s_and_not1_saveexec_b32 s3, s3
; %bb.101:
	v_and_b32_e32 v6, 0xffff, v70
	v_or_b32_e32 v7, 0x10000, v70
	s_delay_alu instid0(VALU_DEP_2) | instskip(NEXT) | instid1(VALU_DEP_2)
	v_cmp_eq_u32_e32 vcc_lo, 0, v6
	v_cndmask_b32_e32 v6, v7, v70, vcc_lo
; %bb.102:
	s_or_b32 exec_lo, exec_lo, s3
	v_and_b32_e32 v7, 0x7f800000, v71
	s_delay_alu instid0(VALU_DEP_1) | instskip(SKIP_1) | instid1(SALU_CYCLE_1)
	v_cmp_ne_u32_e32 vcc_lo, 0x7f800000, v7
                                        ; implicit-def: $vgpr7
	s_and_saveexec_b32 s3, vcc_lo
	s_xor_b32 s3, exec_lo, s3
; %bb.103:
	v_bfe_u32 v7, v71, 16, 1
	s_delay_alu instid0(VALU_DEP_1)
	v_add3_u32 v7, v71, v7, 0x7fff
; %bb.104:
	s_and_not1_saveexec_b32 s3, s3
; %bb.105:
	v_and_b32_e32 v7, 0xffff, v71
	v_or_b32_e32 v8, 0x10000, v71
	s_delay_alu instid0(VALU_DEP_2) | instskip(NEXT) | instid1(VALU_DEP_2)
	v_cmp_eq_u32_e32 vcc_lo, 0, v7
	v_cndmask_b32_e32 v7, v8, v71, vcc_lo
; %bb.106:
	s_or_b32 exec_lo, exec_lo, s3
	v_and_b32_e32 v8, 0x7f800000, v72
	s_delay_alu instid0(VALU_DEP_1) | instskip(SKIP_1) | instid1(SALU_CYCLE_1)
	v_cmp_ne_u32_e32 vcc_lo, 0x7f800000, v8
                                        ; implicit-def: $vgpr8
	s_and_saveexec_b32 s3, vcc_lo
	s_xor_b32 s3, exec_lo, s3
; %bb.107:
	v_bfe_u32 v8, v72, 16, 1
	s_delay_alu instid0(VALU_DEP_1)
	v_add3_u32 v8, v72, v8, 0x7fff
                                        ; implicit-def: $vgpr65_vgpr66_vgpr67_vgpr68_vgpr69_vgpr70_vgpr71_vgpr72
; %bb.108:
	s_and_not1_saveexec_b32 s3, s3
; %bb.109:
	v_and_b32_e32 v8, 0xffff, v72
	v_or_b32_e32 v9, 0x10000, v72
	s_delay_alu instid0(VALU_DEP_2) | instskip(NEXT) | instid1(VALU_DEP_2)
	v_cmp_eq_u32_e32 vcc_lo, 0, v8
	v_cndmask_b32_e32 v8, v9, v72, vcc_lo
; %bb.110:
	s_or_b32 exec_lo, exec_lo, s3
	s_delay_alu instid0(VALU_DEP_1)
	v_perm_b32 v7, v8, v7, 0x7060302
	v_perm_b32 v6, v6, v5, 0x7060302
	;; [unrolled: 1-line block ×4, first 2 shown]
	s_barrier
	buffer_gl0_inv
	v_cmp_eq_u32_e32 vcc_lo, 1, v78
	ds_store_b128 v76, v[4:7]
	s_waitcnt lgkmcnt(0)
	s_barrier
	buffer_gl0_inv
	ds_load_b128 v[1:4], v82
	ds_load_b128 v[5:8], v82 offset:16
	v_cmp_eq_u32_e64 s3, 1, v79
	v_cmp_eq_u32_e64 s4, 2, v78
	v_cmp_eq_u32_e64 s5, 3, v78
	v_cmp_eq_u32_e64 s7, 2, v77
	v_cmp_eq_u32_e64 s6, 7, v79
	s_waitcnt lgkmcnt(1)
	v_lshrrev_b32_e32 v9, 16, v1
	s_waitcnt lgkmcnt(0)
	v_lshrrev_b32_e32 v13, 16, v5
	v_lshrrev_b32_e32 v10, 16, v2
	v_lshrrev_b32_e32 v14, 16, v6
	v_lshrrev_b32_e32 v11, 16, v3
	v_cndmask_b32_e64 v19, v1, v9, s3
	v_cndmask_b32_e32 v18, v5, v13, vcc_lo
	v_cndmask_b32_e64 v20, v5, v13, s3
	v_cndmask_b32_e32 v17, v1, v9, vcc_lo
	v_cmp_eq_u32_e32 vcc_lo, 2, v79
	v_lshrrev_b32_e32 v15, 16, v7
	v_cmp_eq_u32_e64 s3, 1, v77
	v_lshrrev_b32_e32 v12, 16, v4
	v_lshrrev_b32_e32 v16, 16, v8
	v_cndmask_b32_e32 v20, v20, v6, vcc_lo
	v_cndmask_b32_e64 v17, v17, v2, s4
	v_cndmask_b32_e32 v19, v19, v2, vcc_lo
	v_cndmask_b32_e64 v18, v18, v6, s4
	v_cmp_eq_u32_e32 vcc_lo, 4, v78
	v_cmp_eq_u32_e64 s4, 3, v79
	v_cndmask_b32_e64 v17, v17, v10, s5
	v_cndmask_b32_e64 v21, v1, v9, s3
	v_cndmask_b32_e64 v18, v18, v14, s5
	v_cndmask_b32_e64 v22, v5, v13, s3
	v_cndmask_b32_e64 v19, v19, v10, s4
	v_cndmask_b32_e32 v17, v17, v3, vcc_lo
	v_cndmask_b32_e64 v20, v20, v14, s4
	v_cndmask_b32_e32 v18, v18, v7, vcc_lo
	v_cmp_eq_u32_e32 vcc_lo, 4, v79
	v_cmp_eq_u32_e64 s4, 5, v79
	v_cmp_eq_u32_e64 s3, 2, v81
	v_cndmask_b32_e64 v21, v21, v2, s7
	v_cmp_eq_u32_e64 s5, 5, v78
	v_cndmask_b32_e32 v19, v19, v3, vcc_lo
	v_cndmask_b32_e32 v20, v20, v7, vcc_lo
	v_cmp_eq_u32_e32 vcc_lo, 6, v79
	s_delay_alu instid0(VALU_DEP_4) | instskip(NEXT) | instid1(VALU_DEP_4)
	v_cndmask_b32_e64 v17, v17, v11, s5
	v_cndmask_b32_e64 v19, v19, v11, s4
	s_delay_alu instid0(VALU_DEP_4) | instskip(SKIP_1) | instid1(VALU_DEP_3)
	v_cndmask_b32_e64 v20, v20, v15, s4
	v_cmp_eq_u32_e64 s4, 1, v81
	v_cndmask_b32_e32 v19, v19, v4, vcc_lo
	v_cndmask_b32_e64 v18, v18, v15, s5
	s_delay_alu instid0(VALU_DEP_3)
	v_cndmask_b32_e64 v1, v1, v9, s4
	v_cndmask_b32_e64 v5, v5, v13, s4
	v_cmp_eq_u32_e64 s4, 3, v77
	v_cndmask_b32_e64 v13, v22, v6, s7
	v_cmp_eq_u32_e64 s7, 3, v81
	v_cndmask_b32_e64 v1, v1, v2, s3
	v_cndmask_b32_e64 v2, v5, v6, s3
	;; [unrolled: 1-line block ×3, first 2 shown]
	v_cmp_eq_u32_e64 s3, 4, v77
	v_cndmask_b32_e64 v6, v13, v14, s4
	v_cndmask_b32_e64 v1, v1, v10, s7
	v_cmp_eq_u32_e64 s4, 4, v81
	v_cndmask_b32_e64 v2, v2, v14, s7
	v_cndmask_b32_e64 v5, v9, v3, s3
	v_cmp_eq_u32_e64 s7, 5, v77
	v_cndmask_b32_e64 v6, v6, v7, s3
	v_cndmask_b32_e64 v1, v1, v3, s4
	v_cndmask_b32_e64 v2, v2, v7, s4
	v_cmp_eq_u32_e64 s3, 5, v81
	v_cmp_eq_u32_e64 s5, 6, v78
	v_cndmask_b32_e64 v5, v5, v11, s7
	v_cmp_eq_u32_e64 s4, 6, v77
	v_cndmask_b32_e64 v3, v6, v15, s7
	v_cndmask_b32_e64 v1, v1, v11, s3
	v_cmp_eq_u32_e64 s7, 6, v81
	v_cndmask_b32_e64 v2, v2, v15, s3
	v_cndmask_b32_e64 v17, v17, v4, s5
	v_cndmask_b32_e64 v18, v18, v8, s5
	v_cmp_eq_u32_e64 s5, 7, v78
	v_cndmask_b32_e64 v5, v5, v4, s4
	;; [unrolled: 4-line block ×3, first 2 shown]
	v_cmp_eq_u32_e64 s4, 7, v77
	v_cndmask_b32_e32 v4, v20, v8, vcc_lo
	v_cndmask_b32_e64 v17, v17, v12, s5
	v_cndmask_b32_e64 v19, v19, v12, s6
	;; [unrolled: 1-line block ×8, first 2 shown]
	v_cmp_gt_u32_e32 vcc_lo, 32, v0
	v_perm_b32 v4, v2, v1, 0x5040100
	v_perm_b32 v3, v3, v5, 0x5040100
	;; [unrolled: 1-line block ×4, first 2 shown]
	s_and_b32 s2, vcc_lo, s2
	ds_store_b128 v76, v[1:4]
	s_waitcnt lgkmcnt(0)
	s_barrier
	buffer_gl0_inv
	s_and_saveexec_b32 s3, s2
	s_cbranch_execz .LBB1769_2
; %bb.111:
	s_load_b64 s[0:1], s[0:1], 0x68
	v_lshlrev_b32_e32 v0, 10, v0
	s_lshl_b32 s4, s34, 6
	v_or_b32_e32 v3, s31, v74
	s_mul_i32 s2, s4, s30
	v_lshlrev_b32_e32 v1, 4, v75
	s_mul_i32 s2, s2, s8
	v_lshlrev_b32_e32 v2, 6, v74
	v_and_b32_e32 v0, 0x3800, v0
	s_ashr_i32 s3, s2, 31
	v_mul_lo_u32 v4, v3, s4
	s_lshl_b64 s[2:3], s[2:3], 1
	s_delay_alu instid0(VALU_DEP_2) | instskip(NEXT) | instid1(VALU_DEP_2)
	v_or3_b32 v16, v0, v1, v2
	v_ashrrev_i32_e32 v5, 31, v4
	ds_load_b128 v[0:3], v16
	s_waitcnt lgkmcnt(0)
	s_add_u32 s2, s0, s2
	s_addc_u32 s3, s1, s3
	s_lshl_b32 s0, s14, 6
	v_lshlrev_b64 v[5:6], 1, v[4:5]
	s_ashr_i32 s1, s0, 31
	s_delay_alu instid0(SALU_CYCLE_1) | instskip(NEXT) | instid1(SALU_CYCLE_1)
	s_lshl_b64 s[0:1], s[0:1], 1
	s_add_u32 s0, s2, s0
	s_addc_u32 s1, s3, s1
	s_lshl_b32 s2, s34, 7
	v_add_co_u32 v30, s0, s0, v73
	v_add_nc_u32_e32 v8, s2, v4
	v_add_co_ci_u32_e64 v31, null, s1, 0, s0
	s_delay_alu instid0(VALU_DEP_3) | instskip(NEXT) | instid1(VALU_DEP_3)
	v_add_co_u32 v12, vcc_lo, v30, v5
	v_add_nc_u32_e32 v10, s2, v8
	v_ashrrev_i32_e32 v9, 31, v8
	s_delay_alu instid0(VALU_DEP_4)
	v_add_co_ci_u32_e32 v13, vcc_lo, v31, v6, vcc_lo
	ds_load_b128 v[4:7], v16 offset:128
	v_ashrrev_i32_e32 v11, 31, v10
	v_lshlrev_b64 v[8:9], 1, v[8:9]
	v_add_nc_u32_e32 v14, s2, v10
	global_store_b128 v[12:13], v[0:3], off
	v_lshlrev_b64 v[0:1], 1, v[10:11]
	v_ashrrev_i32_e32 v15, 31, v14
	v_add_co_u32 v22, vcc_lo, v30, v8
	v_add_nc_u32_e32 v20, s2, v14
	v_add_co_ci_u32_e32 v23, vcc_lo, v31, v9, vcc_lo
	v_add_co_u32 v26, vcc_lo, v30, v0
	v_lshlrev_b64 v[24:25], 1, v[14:15]
	v_add_co_ci_u32_e32 v27, vcc_lo, v31, v1, vcc_lo
	ds_load_b128 v[0:3], v16 offset:256
	ds_load_b128 v[8:11], v16 offset:384
	;; [unrolled: 1-line block ×4, first 2 shown]
	v_add_nc_u32_e32 v28, s2, v20
	v_ashrrev_i32_e32 v21, 31, v20
	v_add_co_u32 v24, vcc_lo, v30, v24
	v_add_co_ci_u32_e32 v25, vcc_lo, v31, v25, vcc_lo
	s_delay_alu instid0(VALU_DEP_4) | instskip(NEXT) | instid1(VALU_DEP_4)
	v_ashrrev_i32_e32 v29, 31, v28
	v_lshlrev_b64 v[20:21], 1, v[20:21]
	s_delay_alu instid0(VALU_DEP_2) | instskip(NEXT) | instid1(VALU_DEP_2)
	v_lshlrev_b64 v[28:29], 1, v[28:29]
	v_add_co_u32 v20, vcc_lo, v30, v20
	s_delay_alu instid0(VALU_DEP_3) | instskip(NEXT) | instid1(VALU_DEP_3)
	v_add_co_ci_u32_e32 v21, vcc_lo, v31, v21, vcc_lo
	v_add_co_u32 v28, vcc_lo, v30, v28
	s_delay_alu instid0(VALU_DEP_4)
	v_add_co_ci_u32_e32 v29, vcc_lo, v31, v29, vcc_lo
	s_waitcnt lgkmcnt(4)
	global_store_b128 v[22:23], v[4:7], off
	s_waitcnt lgkmcnt(3)
	global_store_b128 v[26:27], v[0:3], off
	;; [unrolled: 2-line block ×5, first 2 shown]
	s_nop 0
	s_sendmsg sendmsg(MSG_DEALLOC_VGPRS)
	s_endpgm
	.section	.rodata,"a",@progbits
	.p2align	6, 0x0
	.amdhsa_kernel _Z39paged_attention_ll4mi_QKV_mfma16_kernelI14__hip_bfloat16hLN4vllm18Fp8KVCacheDataTypeE1ES0_Li32ELi64ELi256ELb1ELi12EL8MFMAType0EEvPKT_PKT0_S9_ifPKiSB_SB_iPKfiiiPfSE_PS4_PT2_iSD_SD_
		.amdhsa_group_segment_fixed_size 17472
		.amdhsa_private_segment_fixed_size 0
		.amdhsa_kernarg_size 400
		.amdhsa_user_sgpr_count 13
		.amdhsa_user_sgpr_dispatch_ptr 0
		.amdhsa_user_sgpr_queue_ptr 0
		.amdhsa_user_sgpr_kernarg_segment_ptr 1
		.amdhsa_user_sgpr_dispatch_id 0
		.amdhsa_user_sgpr_private_segment_size 0
		.amdhsa_wavefront_size32 1
		.amdhsa_uses_dynamic_stack 0
		.amdhsa_enable_private_segment 0
		.amdhsa_system_sgpr_workgroup_id_x 1
		.amdhsa_system_sgpr_workgroup_id_y 1
		.amdhsa_system_sgpr_workgroup_id_z 1
		.amdhsa_system_sgpr_workgroup_info 0
		.amdhsa_system_vgpr_workitem_id 0
		.amdhsa_next_free_vgpr 124
		.amdhsa_next_free_sgpr 40
		.amdhsa_reserve_vcc 1
		.amdhsa_float_round_mode_32 0
		.amdhsa_float_round_mode_16_64 0
		.amdhsa_float_denorm_mode_32 3
		.amdhsa_float_denorm_mode_16_64 3
		.amdhsa_dx10_clamp 1
		.amdhsa_ieee_mode 1
		.amdhsa_fp16_overflow 0
		.amdhsa_workgroup_processor_mode 1
		.amdhsa_memory_ordered 1
		.amdhsa_forward_progress 0
		.amdhsa_shared_vgpr_count 0
		.amdhsa_exception_fp_ieee_invalid_op 0
		.amdhsa_exception_fp_denorm_src 0
		.amdhsa_exception_fp_ieee_div_zero 0
		.amdhsa_exception_fp_ieee_overflow 0
		.amdhsa_exception_fp_ieee_underflow 0
		.amdhsa_exception_fp_ieee_inexact 0
		.amdhsa_exception_int_div_zero 0
	.end_amdhsa_kernel
	.section	.text._Z39paged_attention_ll4mi_QKV_mfma16_kernelI14__hip_bfloat16hLN4vllm18Fp8KVCacheDataTypeE1ES0_Li32ELi64ELi256ELb1ELi12EL8MFMAType0EEvPKT_PKT0_S9_ifPKiSB_SB_iPKfiiiPfSE_PS4_PT2_iSD_SD_,"axG",@progbits,_Z39paged_attention_ll4mi_QKV_mfma16_kernelI14__hip_bfloat16hLN4vllm18Fp8KVCacheDataTypeE1ES0_Li32ELi64ELi256ELb1ELi12EL8MFMAType0EEvPKT_PKT0_S9_ifPKiSB_SB_iPKfiiiPfSE_PS4_PT2_iSD_SD_,comdat
.Lfunc_end1769:
	.size	_Z39paged_attention_ll4mi_QKV_mfma16_kernelI14__hip_bfloat16hLN4vllm18Fp8KVCacheDataTypeE1ES0_Li32ELi64ELi256ELb1ELi12EL8MFMAType0EEvPKT_PKT0_S9_ifPKiSB_SB_iPKfiiiPfSE_PS4_PT2_iSD_SD_, .Lfunc_end1769-_Z39paged_attention_ll4mi_QKV_mfma16_kernelI14__hip_bfloat16hLN4vllm18Fp8KVCacheDataTypeE1ES0_Li32ELi64ELi256ELb1ELi12EL8MFMAType0EEvPKT_PKT0_S9_ifPKiSB_SB_iPKfiiiPfSE_PS4_PT2_iSD_SD_
                                        ; -- End function
	.section	.AMDGPU.csdata,"",@progbits
; Kernel info:
; codeLenInByte = 8872
; NumSgprs: 42
; NumVgprs: 124
; ScratchSize: 0
; MemoryBound: 0
; FloatMode: 240
; IeeeMode: 1
; LDSByteSize: 17472 bytes/workgroup (compile time only)
; SGPRBlocks: 5
; VGPRBlocks: 15
; NumSGPRsForWavesPerEU: 42
; NumVGPRsForWavesPerEU: 124
; Occupancy: 10
; WaveLimiterHint : 1
; COMPUTE_PGM_RSRC2:SCRATCH_EN: 0
; COMPUTE_PGM_RSRC2:USER_SGPR: 13
; COMPUTE_PGM_RSRC2:TRAP_HANDLER: 0
; COMPUTE_PGM_RSRC2:TGID_X_EN: 1
; COMPUTE_PGM_RSRC2:TGID_Y_EN: 1
; COMPUTE_PGM_RSRC2:TGID_Z_EN: 1
; COMPUTE_PGM_RSRC2:TIDIG_COMP_CNT: 0
	.section	.text._Z39paged_attention_ll4mi_QKV_mfma16_kernelI14__hip_bfloat16hLN4vllm18Fp8KVCacheDataTypeE1ES0_Li32ELi64ELi256ELb1ELi13EL8MFMAType0EEvPKT_PKT0_S9_ifPKiSB_SB_iPKfiiiPfSE_PS4_PT2_iSD_SD_,"axG",@progbits,_Z39paged_attention_ll4mi_QKV_mfma16_kernelI14__hip_bfloat16hLN4vllm18Fp8KVCacheDataTypeE1ES0_Li32ELi64ELi256ELb1ELi13EL8MFMAType0EEvPKT_PKT0_S9_ifPKiSB_SB_iPKfiiiPfSE_PS4_PT2_iSD_SD_,comdat
	.protected	_Z39paged_attention_ll4mi_QKV_mfma16_kernelI14__hip_bfloat16hLN4vllm18Fp8KVCacheDataTypeE1ES0_Li32ELi64ELi256ELb1ELi13EL8MFMAType0EEvPKT_PKT0_S9_ifPKiSB_SB_iPKfiiiPfSE_PS4_PT2_iSD_SD_ ; -- Begin function _Z39paged_attention_ll4mi_QKV_mfma16_kernelI14__hip_bfloat16hLN4vllm18Fp8KVCacheDataTypeE1ES0_Li32ELi64ELi256ELb1ELi13EL8MFMAType0EEvPKT_PKT0_S9_ifPKiSB_SB_iPKfiiiPfSE_PS4_PT2_iSD_SD_
	.globl	_Z39paged_attention_ll4mi_QKV_mfma16_kernelI14__hip_bfloat16hLN4vllm18Fp8KVCacheDataTypeE1ES0_Li32ELi64ELi256ELb1ELi13EL8MFMAType0EEvPKT_PKT0_S9_ifPKiSB_SB_iPKfiiiPfSE_PS4_PT2_iSD_SD_
	.p2align	8
	.type	_Z39paged_attention_ll4mi_QKV_mfma16_kernelI14__hip_bfloat16hLN4vllm18Fp8KVCacheDataTypeE1ES0_Li32ELi64ELi256ELb1ELi13EL8MFMAType0EEvPKT_PKT0_S9_ifPKiSB_SB_iPKfiiiPfSE_PS4_PT2_iSD_SD_,@function
_Z39paged_attention_ll4mi_QKV_mfma16_kernelI14__hip_bfloat16hLN4vllm18Fp8KVCacheDataTypeE1ES0_Li32ELi64ELi256ELb1ELi13EL8MFMAType0EEvPKT_PKT0_S9_ifPKiSB_SB_iPKfiiiPfSE_PS4_PT2_iSD_SD_: ; @_Z39paged_attention_ll4mi_QKV_mfma16_kernelI14__hip_bfloat16hLN4vllm18Fp8KVCacheDataTypeE1ES0_Li32ELi64ELi256ELb1ELi13EL8MFMAType0EEvPKT_PKT0_S9_ifPKiSB_SB_iPKfiiiPfSE_PS4_PT2_iSD_SD_
; %bb.0:
	s_load_b64 s[2:3], s[0:1], 0x30
	s_mov_b32 s34, s13
	s_waitcnt lgkmcnt(0)
	s_cmp_lg_u64 s[2:3], 0
	s_cselect_b32 s8, -1, 0
	s_ashr_i32 s35, s13, 31
	s_cmp_eq_u64 s[2:3], 0
	s_cbranch_scc1 .LBB1770_3
; %bb.1:
	s_lshl_b64 s[4:5], s[34:35], 2
	s_delay_alu instid0(SALU_CYCLE_1) | instskip(SKIP_4) | instid1(SALU_CYCLE_1)
	s_add_u32 s4, s2, s4
	s_addc_u32 s5, s3, s5
	s_load_b64 s[4:5], s[4:5], 0x0
	s_waitcnt lgkmcnt(0)
	s_sub_i32 s4, s5, s4
	s_cmp_eq_u32 s4, 1
	s_cselect_b32 s4, -1, 0
	s_delay_alu instid0(SALU_CYCLE_1)
	s_and_not1_b32 vcc_lo, exec_lo, s4
	s_cbranch_vccz .LBB1770_4
.LBB1770_2:
	s_nop 0
	s_sendmsg sendmsg(MSG_DEALLOC_VGPRS)
	s_endpgm
.LBB1770_3:
.LBB1770_4:
	s_load_b64 s[4:5], s[0:1], 0x28
	s_lshl_b64 s[6:7], s[34:35], 2
	s_waitcnt lgkmcnt(0)
	s_add_u32 s4, s4, s6
	s_addc_u32 s5, s5, s7
	s_lshl_b32 s12, s14, 8
	s_load_b32 s24, s[4:5], 0x0
	s_waitcnt lgkmcnt(0)
	s_cmp_ge_i32 s12, s24
	s_cbranch_scc1 .LBB1770_2
; %bb.5:
	s_clause 0x1
	s_load_b128 s[20:23], s[0:1], 0x8
	s_load_b64 s[4:5], s[0:1], 0x20
	s_and_not1_b32 vcc_lo, exec_lo, s8
	s_cbranch_vccnz .LBB1770_7
; %bb.6:
	s_add_u32 s2, s2, s6
	s_addc_u32 s3, s3, s7
	s_load_b32 s3, s[2:3], 0x0
	s_branch .LBB1770_8
.LBB1770_7:
	s_mov_b32 s3, s34
.LBB1770_8:
	s_load_b128 s[16:19], s[0:1], 0x48
	v_lshrrev_b32_e32 v66, 5, v0
	v_bfe_u32 v74, v0, 4, 1
	v_and_b32_e32 v65, 15, v0
	v_and_b32_e32 v67, 31, v0
	;; [unrolled: 1-line block ×3, first 2 shown]
	s_mul_i32 s31, s15, 13
	v_lshl_or_b32 v1, v66, 1, v74
	v_lshlrev_b32_e32 v2, 3, v65
	v_cmp_gt_u32_e64 s2, 8, v65
	s_delay_alu instid0(VALU_DEP_3) | instskip(NEXT) | instid1(VALU_DEP_3)
	v_cmp_gt_u32_e32 vcc_lo, 13, v1
	v_lshlrev_b32_e32 v73, 1, v2
	s_delay_alu instid0(VALU_DEP_3) | instskip(NEXT) | instid1(SALU_CYCLE_1)
	s_and_b32 s7, s2, vcc_lo
	s_and_saveexec_b32 s6, s7
	s_cbranch_execz .LBB1770_10
; %bb.9:
	s_load_b64 s[8:9], s[0:1], 0x0
	v_add_lshl_u32 v2, v1, s31, 6
	s_waitcnt lgkmcnt(0)
	s_mul_hi_i32 s11, s3, s16
	s_mul_i32 s10, s3, s16
	v_lshlrev_b32_e32 v6, 10, v65
	s_lshl_b64 s[10:11], s[10:11], 1
	v_ashrrev_i32_e32 v3, 31, v2
	v_lshlrev_b32_e32 v1, 6, v1
	v_lshlrev_b32_e32 v7, 10, v75
	v_and_b32_e32 v6, 0x3800, v6
	s_delay_alu instid0(VALU_DEP_4) | instskip(NEXT) | instid1(VALU_DEP_2)
	v_lshlrev_b64 v[2:3], 1, v[2:3]
	v_or3_b32 v1, v6, v7, v1
	s_add_u32 s3, s8, s10
	s_addc_u32 s7, s9, s11
	s_delay_alu instid0(VALU_DEP_2) | instskip(NEXT) | instid1(VALU_DEP_3)
	v_add_co_u32 v2, vcc_lo, s3, v2
	v_add_co_ci_u32_e32 v3, vcc_lo, s7, v3, vcc_lo
	s_delay_alu instid0(VALU_DEP_2) | instskip(NEXT) | instid1(VALU_DEP_2)
	v_add_co_u32 v2, vcc_lo, v2, v73
	v_add_co_ci_u32_e32 v3, vcc_lo, 0, v3, vcc_lo
	global_load_b128 v[2:5], v[2:3], off
	s_waitcnt vmcnt(0)
	ds_store_b128 v1, v[2:5]
.LBB1770_10:
	s_or_b32 exec_lo, exec_lo, s6
	v_and_b32_e32 v1, 0xef, v0
	s_waitcnt lgkmcnt(0)
	s_add_i32 s3, s24, 31
	s_clause 0x1
	s_load_b32 s6, s[0:1], 0x38
	s_load_b32 s19, s[0:1], 0x1c
	s_ashr_i32 s7, s3, 31
	v_add_nc_u32_e32 v1, s12, v1
	s_lshr_b32 s7, s7, 27
	s_waitcnt lgkmcnt(0)
	s_add_i32 s3, s3, s7
	s_barrier
	v_ashrrev_i32_e32 v2, 31, v1
	v_or_b32_e32 v3, 16, v1
	s_ashr_i32 s3, s3, 5
	v_cmp_gt_i32_e32 vcc_lo, s24, v1
	s_add_i32 s3, s3, -1
	v_lshrrev_b32_e32 v2, 27, v2
	buffer_gl0_inv
	s_mul_i32 s27, s15, s18
	v_add_nc_u32_e32 v4, v1, v2
	s_mul_i32 s6, s34, s6
	s_delay_alu instid0(SALU_CYCLE_1) | instskip(NEXT) | instid1(VALU_DEP_1)
	s_ashr_i32 s7, s6, 31
	v_ashrrev_i32_e32 v4, 5, v4
	v_add_nc_u32_e32 v2, v3, v2
	s_lshl_b64 s[6:7], s[6:7], 2
	s_delay_alu instid0(SALU_CYCLE_1) | instskip(NEXT) | instid1(VALU_DEP_2)
	s_add_u32 s26, s4, s6
	v_cndmask_b32_e32 v1, s3, v4, vcc_lo
	s_delay_alu instid0(VALU_DEP_2)
	v_ashrrev_i32_e32 v2, 5, v2
	v_cmp_gt_i32_e32 vcc_lo, s24, v3
	s_addc_u32 s25, s5, s7
	s_ashr_i32 s28, s27, 31
	s_add_u32 s4, s20, s27
	s_addc_u32 s5, s21, s28
	v_cndmask_b32_e32 v3, s3, v2, vcc_lo
	v_ashrrev_i32_e32 v2, 31, v1
	s_lshl_b32 s6, s14, 3
	s_delay_alu instid0(SALU_CYCLE_1) | instskip(NEXT) | instid1(VALU_DEP_2)
	s_ashr_i32 s7, s6, 31
	v_ashrrev_i32_e32 v4, 31, v3
	s_delay_alu instid0(VALU_DEP_2) | instskip(SKIP_1) | instid1(SALU_CYCLE_1)
	v_lshlrev_b64 v[1:2], 2, v[1:2]
	s_lshl_b64 s[6:7], s[6:7], 2
	s_add_u32 s6, s26, s6
	s_delay_alu instid0(VALU_DEP_2) | instskip(SKIP_1) | instid1(VALU_DEP_2)
	v_lshlrev_b64 v[3:4], 2, v[3:4]
	s_addc_u32 s7, s25, s7
	v_add_co_u32 v1, vcc_lo, s26, v1
	v_add_co_ci_u32_e32 v2, vcc_lo, s25, v2, vcc_lo
	s_delay_alu instid0(VALU_DEP_3) | instskip(NEXT) | instid1(VALU_DEP_4)
	v_add_co_u32 v3, vcc_lo, s26, v3
	v_add_co_ci_u32_e32 v4, vcc_lo, s25, v4, vcc_lo
	s_clause 0x1
	global_load_b32 v5, v[1:2], off
	global_load_b32 v6, v[3:4], off
	s_or_b32 s8, s12, 32
	s_delay_alu instid0(SALU_CYCLE_1) | instskip(SKIP_2) | instid1(SALU_CYCLE_1)
	s_ashr_i32 s9, s8, 5
	s_cmp_lt_i32 s8, s24
	s_cselect_b32 s8, s9, s3
	s_ashr_i32 s9, s8, 31
	s_delay_alu instid0(SALU_CYCLE_1) | instskip(NEXT) | instid1(SALU_CYCLE_1)
	s_lshl_b64 s[8:9], s[8:9], 2
	s_add_u32 s8, s26, s8
	s_addc_u32 s9, s25, s9
	s_or_b32 s10, s12, 64
	s_delay_alu instid0(SALU_CYCLE_1) | instskip(SKIP_2) | instid1(SALU_CYCLE_1)
	s_ashr_i32 s11, s10, 5
	s_cmp_lt_i32 s10, s24
	s_cselect_b32 s10, s11, s3
	s_ashr_i32 s11, s10, 31
	s_delay_alu instid0(SALU_CYCLE_1) | instskip(NEXT) | instid1(SALU_CYCLE_1)
	s_lshl_b64 s[10:11], s[10:11], 2
	s_add_u32 s10, s26, s10
	s_addc_u32 s11, s25, s11
	s_or_b32 s13, s12, 0x60
	s_delay_alu instid0(SALU_CYCLE_1) | instskip(SKIP_2) | instid1(SALU_CYCLE_1)
	s_ashr_i32 s15, s13, 5
	s_cmp_lt_i32 s13, s24
	s_cselect_b32 s20, s15, s3
	s_ashr_i32 s21, s20, 31
	s_delay_alu instid0(SALU_CYCLE_1) | instskip(NEXT) | instid1(SALU_CYCLE_1)
	s_lshl_b64 s[20:21], s[20:21], 2
	s_add_u32 s36, s26, s20
	s_addc_u32 s37, s25, s21
	s_or_b32 s13, s12, 0x80
	s_delay_alu instid0(SALU_CYCLE_1) | instskip(SKIP_2) | instid1(SALU_CYCLE_1)
	s_ashr_i32 s15, s13, 5
	s_cmp_lt_i32 s13, s24
	s_cselect_b32 s20, s15, s3
	s_ashr_i32 s21, s20, 31
	s_delay_alu instid0(SALU_CYCLE_1) | instskip(NEXT) | instid1(SALU_CYCLE_1)
	s_lshl_b64 s[20:21], s[20:21], 2
	s_add_u32 s38, s26, s20
	s_addc_u32 s39, s25, s21
	s_or_b32 s13, s12, 0xa0
	s_delay_alu instid0(SALU_CYCLE_1) | instskip(SKIP_2) | instid1(SALU_CYCLE_1)
	s_ashr_i32 s15, s13, 5
	s_cmp_lt_i32 s13, s24
	s_cselect_b32 s20, s15, s3
	s_ashr_i32 s21, s20, 31
	s_delay_alu instid0(SALU_CYCLE_1) | instskip(NEXT) | instid1(SALU_CYCLE_1)
	s_lshl_b64 s[20:21], s[20:21], 2
	s_add_u32 s40, s26, s20
	s_addc_u32 s41, s25, s21
	s_clause 0x5
	s_load_b32 s21, s[6:7], 0x0
	s_load_b32 s13, s[8:9], 0x0
	;; [unrolled: 1-line block ×6, first 2 shown]
	s_or_b32 s8, s12, 0xc0
	s_delay_alu instid0(SALU_CYCLE_1) | instskip(SKIP_2) | instid1(SALU_CYCLE_1)
	s_ashr_i32 s9, s8, 5
	s_cmp_lt_i32 s8, s24
	s_cselect_b32 s36, s9, s3
	s_ashr_i32 s37, s36, 31
	s_delay_alu instid0(SALU_CYCLE_1) | instskip(NEXT) | instid1(SALU_CYCLE_1)
	s_lshl_b64 s[36:37], s[36:37], 2
	s_add_u32 s36, s26, s36
	s_addc_u32 s37, s25, s37
	s_or_b32 s29, s12, 0xe0
	s_delay_alu instid0(SALU_CYCLE_1)
	s_ashr_i32 s30, s29, 5
	s_cmp_lt_i32 s29, s24
	s_waitcnt vmcnt(1)
	v_mad_i64_i32 v[1:2], null, v5, s17, s[4:5]
	s_waitcnt vmcnt(0)
	v_mad_i64_i32 v[3:4], null, v6, s17, s[4:5]
	s_mov_b32 s4, 0
	s_delay_alu instid0(SALU_CYCLE_1)
	s_mov_b32 s5, s4
	s_mov_b32 s6, s4
	;; [unrolled: 1-line block ×7, first 2 shown]
	v_lshlrev_b32_e32 v5, 4, v65
	v_dual_mov_b32 v107, s11 :: v_dual_mov_b32 v102, s6
	v_mov_b32_e32 v100, s4
	v_mov_b32_e32 v106, s10
	s_delay_alu instid0(VALU_DEP_4)
	v_add_co_u32 v1, vcc_lo, v1, v5
	v_add_co_ci_u32_e32 v2, vcc_lo, 0, v2, vcc_lo
	v_add_co_u32 v3, vcc_lo, v3, v5
	v_add_co_ci_u32_e32 v4, vcc_lo, 0, v4, vcc_lo
	s_clause 0x7
	global_load_b128 v[49:52], v[1:2], off
	global_load_b128 v[53:56], v[1:2], off offset:512
	global_load_b128 v[76:79], v[3:4], off offset:256
	;; [unrolled: 1-line block ×7, first 2 shown]
	v_add_nc_u32_e32 v1, -13, v65
	v_cmp_gt_u32_e32 vcc_lo, 13, v65
	v_dual_mov_b32 v104, s8 :: v_dual_mov_b32 v103, s7
	v_dual_mov_b32 v101, s5 :: v_dual_lshlrev_b32 v2, 5, v65
	s_delay_alu instid0(VALU_DEP_4)
	v_cndmask_b32_e32 v1, v1, v65, vcc_lo
	v_mov_b32_e32 v105, s9
	s_cselect_b32 s4, s30, s3
	s_load_b32 s3, s[36:37], 0x0
	s_ashr_i32 s5, s4, 31
	v_lshlrev_b32_e32 v70, 6, v1
	s_lshl_b64 s[4:5], s[4:5], 2
	v_lshl_or_b32 v2, v66, 9, v2
	s_add_u32 s4, s26, s4
	s_addc_u32 s5, s25, s5
	ds_load_b128 v[108:111], v70
	ds_load_b128 v[112:115], v70 offset:1024
	s_load_b32 s4, s[4:5], 0x0
	s_add_u32 s6, s22, s27
	s_addc_u32 s7, s23, s28
	v_add_co_u32 v9, s6, s6, v2
	s_delay_alu instid0(VALU_DEP_1) | instskip(SKIP_1) | instid1(VALU_DEP_1)
	v_add_co_ci_u32_e64 v10, null, s7, 0, s6
	s_waitcnt lgkmcnt(0)
	v_mad_i64_i32 v[1:2], null, s21, s17, v[9:10]
	v_mad_i64_i32 v[3:4], null, s13, s17, v[9:10]
	;; [unrolled: 1-line block ×7, first 2 shown]
	s_clause 0x9
	global_load_b128 v[57:60], v[1:2], off
	global_load_b128 v[61:64], v[1:2], off offset:16
	global_load_b128 v[41:44], v[3:4], off
	global_load_b128 v[45:48], v[3:4], off offset:16
	;; [unrolled: 2-line block ×5, first 2 shown]
	v_mad_i64_i32 v[68:69], null, s4, s17, v[9:10]
	s_clause 0x3
	global_load_b128 v[9:12], v[13:14], off
	global_load_b128 v[13:16], v[13:14], off offset:16
	global_load_b128 v[17:20], v[21:22], off
	global_load_b128 v[21:24], v[21:22], off offset:16
	s_waitcnt vmcnt(20)
	v_wmma_f32_16x16x16_bf16 v[116:123], v[49:56], v[108:115], v[100:107]
	s_clause 0x1
	global_load_b128 v[49:52], v[68:69], off
	global_load_b128 v[53:56], v[68:69], off offset:16
	v_and_b32_e32 v68, 0xe0, v0
	v_mbcnt_lo_u32_b32 v69, -1, 0
	s_delay_alu instid0(VALU_DEP_2)
	v_add_nc_u32_e32 v68, s12, v68
	s_waitcnt vmcnt(20)
	v_wmma_f32_16x16x16_bf16 v[100:107], v[76:83], v[108:115], v[100:107]
	ds_load_b128 v[76:79], v70 offset:2048
	ds_load_b128 v[80:83], v70 offset:3072
	v_xor_b32_e32 v70, 16, v69
	s_waitcnt vmcnt(0) lgkmcnt(0)
	v_or_b32_e32 v68, v68, v74
	s_barrier
	buffer_gl0_inv
	v_cmp_gt_i32_e32 vcc_lo, 32, v70
	v_or_b32_e32 v71, 4, v68
	v_or_b32_e32 v72, 6, v68
	v_cmp_gt_i32_e64 s3, s24, v68
	v_or_b32_e32 v108, 8, v68
	v_or_b32_e32 v109, 10, v68
	v_cmp_gt_i32_e64 s4, s24, v71
	v_cmp_gt_i32_e64 s5, s24, v72
	s_delay_alu instid0(VALU_DEP_4) | instskip(NEXT) | instid1(VALU_DEP_4)
	v_cmp_gt_i32_e64 s6, s24, v108
	v_cmp_gt_i32_e64 s7, s24, v109
	v_wmma_f32_16x16x16_bf16 v[116:123], v[84:91], v[76:83], v[116:123]
	v_cndmask_b32_e32 v69, v69, v70, vcc_lo
	v_or_b32_e32 v70, 2, v68
	v_wmma_f32_16x16x16_bf16 v[100:107], v[92:99], v[76:83], v[100:107]
	v_or_b32_e32 v89, 22, v68
	v_dual_mul_f32 v80, s19, v121 :: v_dual_mul_f32 v81, s19, v120
	v_dual_mul_f32 v92, s19, v117 :: v_dual_mul_f32 v93, s19, v116
	s_delay_alu instid0(VALU_DEP_4)
	v_mul_f32_e32 v96, s19, v105
	v_cmp_gt_i32_e32 vcc_lo, s24, v70
	v_dual_mul_f32 v79, s19, v122 :: v_dual_mul_f32 v82, s19, v119
	v_dual_mul_f32 v83, s19, v118 :: v_dual_mul_f32 v94, s19, v107
	v_cndmask_b32_e64 v93, 0xff7fffff, v93, s3
	v_cndmask_b32_e32 v92, 0xff7fffff, v92, vcc_lo
	v_or_b32_e32 v84, 12, v68
	v_or_b32_e32 v85, 14, v68
	v_cndmask_b32_e64 v71, 0xff7fffff, v83, s4
	v_cndmask_b32_e64 v72, 0xff7fffff, v82, s5
	v_cmp_gt_i32_e64 s13, s24, v89
	v_lshlrev_b32_e32 v89, 2, v69
	v_max3_f32 v82, v93, 0xff7fffff, v92
	v_or_b32_e32 v86, 16, v68
	v_or_b32_e32 v87, 18, v68
	v_mul_f32_e32 v78, s19, v123
	v_cndmask_b32_e64 v81, 0xff7fffff, v81, s6
	v_cndmask_b32_e64 v80, 0xff7fffff, v80, s7
	v_max3_f32 v71, v82, v71, v72
	v_cmp_gt_i32_e64 s8, s24, v84
	v_cmp_gt_i32_e64 s9, s24, v85
	v_or_b32_e32 v88, 20, v68
	v_or_b32_e32 v90, 24, v68
	;; [unrolled: 1-line block ×5, first 2 shown]
	v_dual_mul_f32 v97, s19, v104 :: v_dual_mul_f32 v70, s19, v101
	v_dual_mul_f32 v99, s19, v102 :: v_dual_mul_f32 v68, s19, v100
	v_cndmask_b32_e64 v72, 0xff7fffff, v79, s8
	v_cndmask_b32_e64 v78, 0xff7fffff, v78, s9
	v_max3_f32 v71, v71, v81, v80
	v_cmp_gt_i32_e64 s10, s24, v86
	v_cmp_gt_i32_e64 s11, s24, v87
	v_dual_mul_f32 v95, s19, v106 :: v_dual_mul_f32 v98, s19, v103
	s_delay_alu instid0(VALU_DEP_4) | instskip(NEXT) | instid1(VALU_DEP_4)
	v_max3_f32 v71, v71, v72, v78
	v_cndmask_b32_e64 v68, 0xff7fffff, v68, s10
	s_delay_alu instid0(VALU_DEP_4)
	v_cndmask_b32_e64 v70, 0xff7fffff, v70, s11
	v_cmp_gt_i32_e64 s12, s24, v88
	v_cndmask_b32_e64 v78, 0xff7fffff, v98, s13
	v_cmp_gt_i32_e64 s15, s24, v90
	v_cmp_gt_i32_e64 s16, s24, v91
	v_max3_f32 v68, v71, v68, v70
	v_cndmask_b32_e64 v72, 0xff7fffff, v99, s12
	v_cmp_gt_i32_e64 s17, s24, v76
	v_cndmask_b32_e64 v70, 0xff7fffff, v97, s15
	v_cndmask_b32_e64 v71, 0xff7fffff, v96, s16
	v_cmp_gt_i32_e64 s18, s24, v77
	v_max3_f32 v68, v68, v72, v78
	v_cndmask_b32_e64 v72, 0xff7fffff, v95, s17
	s_delay_alu instid0(VALU_DEP_3) | instskip(NEXT) | instid1(VALU_DEP_3)
	v_cndmask_b32_e64 v76, 0xff7fffff, v94, s18
	v_max3_f32 v68, v68, v70, v71
	s_delay_alu instid0(VALU_DEP_1) | instskip(SKIP_3) | instid1(VALU_DEP_1)
	v_max3_f32 v68, v68, v72, v76
	ds_bpermute_b32 v69, v89, v68
	s_waitcnt lgkmcnt(0)
	v_max_f32_e32 v69, v69, v69
	v_max_f32_e32 v68, v68, v69
	s_delay_alu instid0(VALU_DEP_1) | instskip(NEXT) | instid1(VALU_DEP_1)
	v_fma_f32 v71, s19, v118, -v68
	v_mul_f32_e32 v71, 0x3fb8aa3b, v71
	v_fma_f32 v70, s19, v117, -v68
	v_fma_f32 v69, s19, v116, -v68
	;; [unrolled: 1-line block ×5, first 2 shown]
	s_delay_alu instid0(VALU_DEP_4) | instskip(SKIP_1) | instid1(VALU_DEP_3)
	v_dual_mul_f32 v70, 0x3fb8aa3b, v70 :: v_dual_mul_f32 v69, 0x3fb8aa3b, v69
	v_exp_f32_e32 v71, v71
	v_mul_f32_e32 v72, 0x3fb8aa3b, v72
	v_fma_f32 v81, s19, v105, -v68
	s_delay_alu instid0(VALU_DEP_3)
	v_exp_f32_e32 v70, v70
	v_mul_f32_e32 v77, 0x3fb8aa3b, v76
	v_exp_f32_e32 v69, v69
	v_exp_f32_e32 v72, v72
	v_mul_f32_e32 v81, 0x3fb8aa3b, v81
	v_cndmask_b32_e64 v83, 0, v71, s4
	v_fma_f32 v71, s19, v123, -v68
	s_delay_alu instid0(VALU_DEP_3) | instskip(SKIP_4) | instid1(TRANS32_DEP_3)
	v_exp_f32_e32 v81, v81
	v_cndmask_b32_e32 v76, 0, v70, vcc_lo
	v_exp_f32_e32 v77, v77
	v_cndmask_b32_e64 v80, 0, v69, s3
	v_fma_f32 v69, s19, v121, -v68
	v_cndmask_b32_e64 v85, 0, v72, s5
	v_mul_f32_e32 v71, 0x3fb8aa3b, v71
	v_fma_f32 v72, s19, v100, -v68
	s_delay_alu instid0(VALU_DEP_4) | instskip(SKIP_1) | instid1(VALU_DEP_4)
	v_dual_add_f32 v70, 0, v80 :: v_dual_mul_f32 v69, 0x3fb8aa3b, v69
	v_cmp_gt_u32_e64 s3, 16, v67
	v_exp_f32_e32 v71, v71
	s_delay_alu instid0(TRANS32_DEP_2) | instskip(SKIP_4) | instid1(VALU_DEP_3)
	v_cndmask_b32_e64 v86, 0, v77, s6
	v_fma_f32 v77, s19, v101, -v68
	v_mul_f32_e32 v78, 0x3fb8aa3b, v78
	v_add_f32_e32 v70, v70, v76
	v_exp_f32_e32 v69, v69
	v_mul_f32_e32 v77, 0x3fb8aa3b, v77
	s_delay_alu instid0(VALU_DEP_3) | instskip(NEXT) | instid1(TRANS32_DEP_3)
	v_exp_f32_e32 v78, v78
	v_cndmask_b32_e64 v88, 0, v71, s9
	v_fma_f32 v71, s19, v104, -v68
	s_delay_alu instid0(VALU_DEP_3) | instskip(NEXT) | instid1(TRANS32_DEP_3)
	v_exp_f32_e32 v77, v77
	v_cndmask_b32_e64 v87, 0, v69, s7
	s_delay_alu instid0(VALU_DEP_2)
	v_mul_f32_e32 v71, 0x3fb8aa3b, v71
	s_waitcnt_depctr 0xfff
	v_cndmask_b32_e64 v84, 0, v78, s8
	v_add_f32_e32 v70, v70, v83
	v_fma_f32 v78, s19, v103, -v68
	v_exp_f32_e32 v82, v71
	s_delay_alu instid0(VALU_DEP_2) | instskip(SKIP_1) | instid1(VALU_DEP_3)
	v_add_f32_e32 v70, v70, v85
	v_mul_f32_e32 v72, 0x3fb8aa3b, v72
	v_mul_f32_e32 v78, 0x3fb8aa3b, v78
	s_delay_alu instid0(VALU_DEP_3) | instskip(SKIP_1) | instid1(VALU_DEP_4)
	v_add_f32_e32 v69, v70, v86
	v_fma_f32 v70, s19, v102, -v68
	v_exp_f32_e32 v72, v72
	s_delay_alu instid0(VALU_DEP_3) | instskip(NEXT) | instid1(VALU_DEP_1)
	v_exp_f32_e32 v78, v78
	v_dual_add_f32 v69, v69, v87 :: v_dual_mul_f32 v70, 0x3fb8aa3b, v70
	s_delay_alu instid0(VALU_DEP_1) | instskip(NEXT) | instid1(VALU_DEP_2)
	v_add_f32_e32 v69, v69, v84
	v_exp_f32_e32 v79, v70
	s_delay_alu instid0(TRANS32_DEP_3) | instskip(NEXT) | instid1(VALU_DEP_2)
	v_cndmask_b32_e64 v70, 0, v72, s10
	v_add_f32_e32 v72, v69, v88
	v_cndmask_b32_e64 v69, 0, v77, s11
	v_fma_f32 v77, s19, v106, -v68
	s_waitcnt_depctr 0xfff
	v_cndmask_b32_e64 v71, 0, v79, s12
	v_dual_mul_f32 v77, 0x3fb8aa3b, v77 :: v_dual_add_f32 v72, v72, v70
	s_delay_alu instid0(VALU_DEP_1) | instskip(NEXT) | instid1(VALU_DEP_1)
	v_exp_f32_e32 v90, v77
	v_add_f32_e32 v79, v72, v69
	v_cndmask_b32_e64 v72, 0, v78, s13
	v_cndmask_b32_e64 v77, 0, v82, s15
	s_delay_alu instid0(VALU_DEP_3) | instskip(SKIP_1) | instid1(VALU_DEP_1)
	v_add_f32_e32 v78, v79, v71
	v_fma_f32 v79, s19, v107, -v68
	v_dual_add_f32 v82, v78, v72 :: v_dual_mul_f32 v79, 0x3fb8aa3b, v79
	v_cndmask_b32_e64 v78, 0, v81, s16
	s_delay_alu instid0(VALU_DEP_2) | instskip(NEXT) | instid1(VALU_DEP_3)
	v_add_f32_e32 v81, v82, v77
	v_exp_f32_e32 v82, v79
	v_cndmask_b32_e64 v79, 0, v90, s17
	s_delay_alu instid0(VALU_DEP_2) | instskip(NEXT) | instid1(VALU_DEP_1)
	v_add_f32_e32 v81, v81, v78
	v_add_f32_e32 v90, v81, v79
	s_waitcnt_depctr 0xfff
	v_cndmask_b32_e64 v81, 0, v82, s18
	s_delay_alu instid0(VALU_DEP_1)
	v_add_f32_e32 v82, v90, v81
	ds_bpermute_b32 v89, v89, v82
	s_and_saveexec_b32 s4, s3
	s_cbranch_execz .LBB1770_12
; %bb.11:
	v_mul_u32_u24_e32 v67, 0x44, v66
	s_delay_alu instid0(VALU_DEP_1) | instskip(SKIP_1) | instid1(VALU_DEP_1)
	v_lshl_add_u32 v67, v65, 2, v67
	s_waitcnt lgkmcnt(0)
	v_dual_add_f32 v82, v82, v89 :: v_dual_add_nc_u32 v67, 0x4000, v67
	ds_store_2addr_b32 v67, v68, v82 offset1:136
.LBB1770_12:
	s_or_b32 exec_lo, exec_lo, s4
	v_lshlrev_b32_e32 v67, 2, v65
	s_waitcnt lgkmcnt(0)
	s_barrier
	buffer_gl0_inv
	v_cmp_eq_u32_e32 vcc_lo, 1, v66
	v_add_nc_u32_e32 v82, 0x4000, v67
	v_cmp_eq_u32_e64 s4, 2, v66
	v_cmp_eq_u32_e64 s6, 7, v66
	ds_load_2addr_b32 v[89:90], v82 offset1:17
	ds_load_2addr_b32 v[91:92], v82 offset0:34 offset1:51
	ds_load_2addr_b32 v[93:94], v82 offset0:68 offset1:85
	ds_load_2addr_b32 v[95:96], v82 offset0:102 offset1:119
	ds_load_2addr_b32 v[97:98], v82 offset0:136 offset1:153
	s_waitcnt lgkmcnt(4)
	v_max3_f32 v67, v89, 0xff7fffff, v90
	s_waitcnt lgkmcnt(3)
	s_delay_alu instid0(VALU_DEP_1) | instskip(SKIP_1) | instid1(VALU_DEP_1)
	v_max3_f32 v67, v67, v91, v92
	s_waitcnt lgkmcnt(2)
	v_max3_f32 v67, v67, v93, v94
	s_waitcnt lgkmcnt(1)
	s_delay_alu instid0(VALU_DEP_1) | instskip(NEXT) | instid1(VALU_DEP_1)
	v_max3_f32 v67, v67, v95, v96
	v_sub_f32_e32 v93, v93, v67
	s_delay_alu instid0(VALU_DEP_1) | instskip(NEXT) | instid1(VALU_DEP_1)
	v_dual_sub_f32 v68, v89, v67 :: v_dual_mul_f32 v103, 0x3fb8aa3b, v93
	v_mul_f32_e32 v68, 0x3fb8aa3b, v68
	s_delay_alu instid0(VALU_DEP_1)
	v_exp_f32_e32 v100, v68
	v_sub_f32_e32 v68, v92, v67
	v_sub_f32_e32 v99, v90, v67
	ds_load_2addr_b32 v[89:90], v82 offset0:170 offset1:187
	v_dual_mul_f32 v102, 0x3fb8aa3b, v68 :: v_dual_mul_f32 v99, 0x3fb8aa3b, v99
	s_waitcnt lgkmcnt(1)
	v_fma_f32 v68, v100, v97, 0
	s_delay_alu instid0(VALU_DEP_2) | instskip(NEXT) | instid1(VALU_DEP_2)
	v_exp_f32_e32 v102, v102
	v_exp_f32_e32 v99, v99
	s_waitcnt_depctr 0xfff
	v_fmac_f32_e32 v68, v99, v98
	v_sub_f32_e32 v91, v91, v67
	s_delay_alu instid0(VALU_DEP_1)
	v_mul_f32_e32 v101, 0x3fb8aa3b, v91
	ds_load_2addr_b32 v[91:92], v82 offset0:204 offset1:221
	v_sub_f32_e32 v97, v94, v67
	ds_load_2addr_b32 v[93:94], v82 offset0:238 offset1:255
	s_waitcnt lgkmcnt(0)
	v_exp_f32_e32 v101, v101
	s_barrier
	buffer_gl0_inv
	v_dual_fmac_f32 v68, v101, v89 :: v_dual_sub_f32 v89, v96, v67
	v_dual_sub_f32 v82, v95, v67 :: v_dual_mul_f32 v95, 0x3fb8aa3b, v97
	v_exp_f32_e32 v97, v103
	s_delay_alu instid0(VALU_DEP_2) | instskip(NEXT) | instid1(VALU_DEP_2)
	v_dual_fmac_f32 v68, v102, v90 :: v_dual_mul_f32 v89, 0x3fb8aa3b, v89
	v_mul_f32_e32 v82, 0x3fb8aa3b, v82
	s_delay_alu instid0(VALU_DEP_3) | instskip(NEXT) | instid1(VALU_DEP_2)
	v_exp_f32_e32 v95, v95
	v_exp_f32_e32 v89, v89
	s_delay_alu instid0(VALU_DEP_1)
	v_exp_f32_e32 v82, v82
	v_fmac_f32_e32 v68, v97, v91
	s_delay_alu instid0(TRANS32_DEP_3) | instid1(VALU_DEP_1)
	v_fmac_f32_e32 v68, v95, v92
	s_waitcnt_depctr 0xfff
	v_fmac_f32_e32 v68, v82, v93
	s_delay_alu instid0(VALU_DEP_1) | instskip(NEXT) | instid1(VALU_DEP_1)
	v_fmac_f32_e32 v68, v89, v94
	v_add_f32_e32 v90, 0x358637bd, v68
	s_delay_alu instid0(VALU_DEP_1) | instskip(NEXT) | instid1(VALU_DEP_1)
	v_div_scale_f32 v91, null, v90, v90, 1.0
	v_rcp_f32_e32 v92, v91
	s_waitcnt_depctr 0xfff
	v_fma_f32 v93, -v91, v92, 1.0
	s_delay_alu instid0(VALU_DEP_1) | instskip(SKIP_1) | instid1(VALU_DEP_2)
	v_dual_fmac_f32 v92, v93, v92 :: v_dual_cndmask_b32 v93, v100, v99
	v_cmp_eq_u32_e32 vcc_lo, 3, v66
	v_cndmask_b32_e64 v93, v93, v101, s4
	v_cmp_eq_u32_e64 s4, 4, v66
	s_delay_alu instid0(VALU_DEP_2) | instskip(SKIP_1) | instid1(VALU_DEP_2)
	v_cndmask_b32_e32 v93, v93, v102, vcc_lo
	v_cmp_eq_u32_e32 vcc_lo, 5, v66
	v_cndmask_b32_e64 v93, v93, v97, s4
	v_cmp_eq_u32_e64 s4, 6, v66
	s_delay_alu instid0(VALU_DEP_2) | instskip(SKIP_1) | instid1(VALU_DEP_1)
	v_cndmask_b32_e32 v93, v93, v95, vcc_lo
	v_div_scale_f32 v94, s5, 1.0, v90, 1.0
	s_mov_b32 vcc_lo, s5
	s_delay_alu instid0(VALU_DEP_2) | instskip(NEXT) | instid1(VALU_DEP_2)
	v_cndmask_b32_e64 v82, v93, v82, s4
	v_mul_f32_e32 v96, v94, v92
	s_mov_b32 s4, exec_lo
	s_delay_alu instid0(VALU_DEP_2) | instskip(NEXT) | instid1(VALU_DEP_2)
	v_cndmask_b32_e64 v82, v82, v89, s6
	v_fma_f32 v98, -v91, v96, v94
	s_delay_alu instid0(VALU_DEP_1) | instskip(NEXT) | instid1(VALU_DEP_1)
	v_fmac_f32_e32 v96, v98, v92
	v_fma_f32 v91, -v91, v96, v94
	s_delay_alu instid0(VALU_DEP_1) | instskip(NEXT) | instid1(VALU_DEP_1)
	v_div_fmas_f32 v91, v91, v92, v96
	v_div_fixup_f32 v90, v91, v90, 1.0
	s_delay_alu instid0(VALU_DEP_1) | instskip(NEXT) | instid1(VALU_DEP_1)
	v_mul_f32_e32 v82, v82, v90
	v_mul_f32_e32 v87, v82, v87
	;; [unrolled: 1-line block ×7, first 2 shown]
	v_dual_mul_f32 v86, v82, v83 :: v_dual_and_b32 v91, 0x7f800000, v90
	v_mul_f32_e32 v85, v82, v76
                                        ; implicit-def: $vgpr76
	s_delay_alu instid0(VALU_DEP_2)
	v_cmpx_ne_u32_e32 0x7f800000, v91
	s_xor_b32 s4, exec_lo, s4
; %bb.13:
	v_bfe_u32 v76, v90, 16, 1
	s_delay_alu instid0(VALU_DEP_1)
	v_add3_u32 v76, v90, v76, 0x7fff
                                        ; implicit-def: $vgpr90
; %bb.14:
	s_and_not1_saveexec_b32 s4, s4
; %bb.15:
	v_and_b32_e32 v76, 0xffff, v90
	v_or_b32_e32 v83, 0x10000, v90
	s_delay_alu instid0(VALU_DEP_2) | instskip(NEXT) | instid1(VALU_DEP_2)
	v_cmp_eq_u32_e32 vcc_lo, 0, v76
	v_cndmask_b32_e32 v76, v83, v90, vcc_lo
; %bb.16:
	s_or_b32 exec_lo, exec_lo, s4
	v_and_b32_e32 v83, 0x7f800000, v85
	s_delay_alu instid0(VALU_DEP_1) | instskip(SKIP_1) | instid1(SALU_CYCLE_1)
	v_cmp_ne_u32_e32 vcc_lo, 0x7f800000, v83
                                        ; implicit-def: $vgpr83
	s_and_saveexec_b32 s4, vcc_lo
	s_xor_b32 s4, exec_lo, s4
; %bb.17:
	v_bfe_u32 v83, v85, 16, 1
	s_delay_alu instid0(VALU_DEP_1)
	v_add3_u32 v83, v85, v83, 0x7fff
                                        ; implicit-def: $vgpr85
; %bb.18:
	s_and_not1_saveexec_b32 s4, s4
; %bb.19:
	v_and_b32_e32 v83, 0xffff, v85
	v_or_b32_e32 v90, 0x10000, v85
	s_delay_alu instid0(VALU_DEP_2) | instskip(NEXT) | instid1(VALU_DEP_2)
	v_cmp_eq_u32_e32 vcc_lo, 0, v83
	v_cndmask_b32_e32 v83, v90, v85, vcc_lo
; %bb.20:
	s_or_b32 exec_lo, exec_lo, s4
	v_and_b32_e32 v85, 0x7f800000, v86
	s_delay_alu instid0(VALU_DEP_1) | instskip(SKIP_1) | instid1(SALU_CYCLE_1)
	v_cmp_ne_u32_e32 vcc_lo, 0x7f800000, v85
                                        ; implicit-def: $vgpr85
	s_and_saveexec_b32 s4, vcc_lo
	s_xor_b32 s4, exec_lo, s4
; %bb.21:
	v_bfe_u32 v85, v86, 16, 1
	s_delay_alu instid0(VALU_DEP_1)
	v_add3_u32 v85, v86, v85, 0x7fff
                                        ; implicit-def: $vgpr86
; %bb.22:
	s_and_not1_saveexec_b32 s4, s4
; %bb.23:
	v_and_b32_e32 v85, 0xffff, v86
	v_or_b32_e32 v90, 0x10000, v86
	s_delay_alu instid0(VALU_DEP_2) | instskip(NEXT) | instid1(VALU_DEP_2)
	v_cmp_eq_u32_e32 vcc_lo, 0, v85
	v_cndmask_b32_e32 v85, v90, v86, vcc_lo
; %bb.24:
	s_or_b32 exec_lo, exec_lo, s4
	v_and_b32_e32 v86, 0x7f800000, v89
	s_delay_alu instid0(VALU_DEP_1) | instskip(SKIP_1) | instid1(SALU_CYCLE_1)
	v_cmp_ne_u32_e32 vcc_lo, 0x7f800000, v86
                                        ; implicit-def: $vgpr86
	s_and_saveexec_b32 s4, vcc_lo
	s_xor_b32 s4, exec_lo, s4
; %bb.25:
	v_bfe_u32 v86, v89, 16, 1
	s_delay_alu instid0(VALU_DEP_1)
	v_add3_u32 v86, v89, v86, 0x7fff
                                        ; implicit-def: $vgpr89
; %bb.26:
	s_and_not1_saveexec_b32 s4, s4
; %bb.27:
	v_and_b32_e32 v86, 0xffff, v89
	v_or_b32_e32 v90, 0x10000, v89
	s_delay_alu instid0(VALU_DEP_2) | instskip(NEXT) | instid1(VALU_DEP_2)
	v_cmp_eq_u32_e32 vcc_lo, 0, v86
	v_cndmask_b32_e32 v86, v90, v89, vcc_lo
; %bb.28:
	s_or_b32 exec_lo, exec_lo, s4
	v_and_b32_e32 v89, 0x7f800000, v88
	s_delay_alu instid0(VALU_DEP_1) | instskip(SKIP_1) | instid1(SALU_CYCLE_1)
	v_cmp_ne_u32_e32 vcc_lo, 0x7f800000, v89
                                        ; implicit-def: $vgpr89
	s_and_saveexec_b32 s4, vcc_lo
	s_xor_b32 s4, exec_lo, s4
; %bb.29:
	v_bfe_u32 v89, v88, 16, 1
	s_delay_alu instid0(VALU_DEP_1)
	v_add3_u32 v89, v88, v89, 0x7fff
                                        ; implicit-def: $vgpr88
; %bb.30:
	s_and_not1_saveexec_b32 s4, s4
; %bb.31:
	v_and_b32_e32 v89, 0xffff, v88
	v_or_b32_e32 v90, 0x10000, v88
	s_delay_alu instid0(VALU_DEP_2) | instskip(NEXT) | instid1(VALU_DEP_2)
	v_cmp_eq_u32_e32 vcc_lo, 0, v89
	v_cndmask_b32_e32 v89, v90, v88, vcc_lo
; %bb.32:
	s_or_b32 exec_lo, exec_lo, s4
	v_and_b32_e32 v88, 0x7f800000, v87
	s_delay_alu instid0(VALU_DEP_1) | instskip(SKIP_1) | instid1(SALU_CYCLE_1)
	v_cmp_ne_u32_e32 vcc_lo, 0x7f800000, v88
                                        ; implicit-def: $vgpr88
	s_and_saveexec_b32 s4, vcc_lo
	s_xor_b32 s4, exec_lo, s4
; %bb.33:
	v_bfe_u32 v88, v87, 16, 1
	s_delay_alu instid0(VALU_DEP_1)
	v_add3_u32 v88, v87, v88, 0x7fff
                                        ; implicit-def: $vgpr87
; %bb.34:
	s_and_not1_saveexec_b32 s4, s4
; %bb.35:
	v_and_b32_e32 v88, 0xffff, v87
	v_or_b32_e32 v90, 0x10000, v87
	s_delay_alu instid0(VALU_DEP_2) | instskip(NEXT) | instid1(VALU_DEP_2)
	v_cmp_eq_u32_e32 vcc_lo, 0, v88
	v_cndmask_b32_e32 v88, v90, v87, vcc_lo
; %bb.36:
	s_or_b32 exec_lo, exec_lo, s4
	v_and_b32_e32 v87, 0x7f800000, v84
	s_delay_alu instid0(VALU_DEP_1) | instskip(SKIP_1) | instid1(SALU_CYCLE_1)
	v_cmp_ne_u32_e32 vcc_lo, 0x7f800000, v87
                                        ; implicit-def: $vgpr87
	s_and_saveexec_b32 s4, vcc_lo
	s_xor_b32 s4, exec_lo, s4
; %bb.37:
	v_bfe_u32 v87, v84, 16, 1
	s_delay_alu instid0(VALU_DEP_1)
	v_add3_u32 v87, v84, v87, 0x7fff
                                        ; implicit-def: $vgpr84
; %bb.38:
	s_and_not1_saveexec_b32 s4, s4
; %bb.39:
	v_and_b32_e32 v87, 0xffff, v84
	v_or_b32_e32 v90, 0x10000, v84
	s_delay_alu instid0(VALU_DEP_2) | instskip(NEXT) | instid1(VALU_DEP_2)
	v_cmp_eq_u32_e32 vcc_lo, 0, v87
	v_cndmask_b32_e32 v87, v90, v84, vcc_lo
; %bb.40:
	s_or_b32 exec_lo, exec_lo, s4
	v_and_b32_e32 v84, 0x7f800000, v80
	s_delay_alu instid0(VALU_DEP_1) | instskip(SKIP_1) | instid1(SALU_CYCLE_1)
	v_cmp_ne_u32_e32 vcc_lo, 0x7f800000, v84
                                        ; implicit-def: $vgpr84
	s_and_saveexec_b32 s4, vcc_lo
	s_xor_b32 s4, exec_lo, s4
; %bb.41:
	v_bfe_u32 v84, v80, 16, 1
	s_delay_alu instid0(VALU_DEP_1)
	v_add3_u32 v84, v80, v84, 0x7fff
                                        ; implicit-def: $vgpr80
; %bb.42:
	s_and_not1_saveexec_b32 s4, s4
; %bb.43:
	v_and_b32_e32 v84, 0xffff, v80
	v_or_b32_e32 v90, 0x10000, v80
	s_delay_alu instid0(VALU_DEP_2) | instskip(NEXT) | instid1(VALU_DEP_2)
	v_cmp_eq_u32_e32 vcc_lo, 0, v84
	v_cndmask_b32_e32 v84, v90, v80, vcc_lo
; %bb.44:
	s_or_b32 exec_lo, exec_lo, s4
	s_load_b64 s[36:37], s[0:1], 0x94
	v_lshlrev_b32_e32 v91, 4, v74
	s_delay_alu instid0(VALU_DEP_2)
	v_perm_b32 v90, v84, v87, 0x7060302
	v_dual_mul_f32 v79, v82, v79 :: v_dual_lshlrev_b32 v80, 6, v65
	v_dual_mul_f32 v77, v82, v77 :: v_dual_lshlrev_b32 v92, 11, v66
	v_mul_f32_e32 v84, v82, v70
	v_perm_b32 v89, v88, v89, 0x7060302
	v_perm_b32 v88, v86, v85, 0x7060302
	;; [unrolled: 1-line block ×3, first 2 shown]
	v_mul_f32_e32 v70, v82, v81
	v_or3_b32 v76, v91, v92, v80
	v_dual_mul_f32 v78, v82, v78 :: v_dual_and_b32 v85, 0x7f800000, v84
	v_mul_f32_e32 v83, v82, v72
	v_mul_f32_e32 v81, v82, v71
	;; [unrolled: 1-line block ×3, first 2 shown]
	s_mov_b32 s4, exec_lo
	ds_store_b128 v76, v[87:90]
                                        ; implicit-def: $vgpr69
	v_cmpx_ne_u32_e32 0x7f800000, v85
	s_xor_b32 s4, exec_lo, s4
; %bb.45:
	v_bfe_u32 v69, v84, 16, 1
	s_delay_alu instid0(VALU_DEP_1)
	v_add3_u32 v69, v84, v69, 0x7fff
                                        ; implicit-def: $vgpr84
; %bb.46:
	s_and_not1_saveexec_b32 s4, s4
; %bb.47:
	v_and_b32_e32 v69, 0xffff, v84
	v_or_b32_e32 v71, 0x10000, v84
	s_delay_alu instid0(VALU_DEP_2) | instskip(NEXT) | instid1(VALU_DEP_2)
	v_cmp_eq_u32_e32 vcc_lo, 0, v69
	v_cndmask_b32_e32 v69, v71, v84, vcc_lo
; %bb.48:
	s_or_b32 exec_lo, exec_lo, s4
	v_and_b32_e32 v71, 0x7f800000, v72
	s_delay_alu instid0(VALU_DEP_1) | instskip(SKIP_1) | instid1(SALU_CYCLE_1)
	v_cmp_ne_u32_e32 vcc_lo, 0x7f800000, v71
                                        ; implicit-def: $vgpr71
	s_and_saveexec_b32 s4, vcc_lo
	s_xor_b32 s4, exec_lo, s4
; %bb.49:
	v_bfe_u32 v71, v72, 16, 1
	s_delay_alu instid0(VALU_DEP_1)
	v_add3_u32 v71, v72, v71, 0x7fff
                                        ; implicit-def: $vgpr72
; %bb.50:
	s_and_not1_saveexec_b32 s4, s4
; %bb.51:
	v_and_b32_e32 v71, 0xffff, v72
	v_or_b32_e32 v82, 0x10000, v72
	s_delay_alu instid0(VALU_DEP_2) | instskip(NEXT) | instid1(VALU_DEP_2)
	v_cmp_eq_u32_e32 vcc_lo, 0, v71
	v_cndmask_b32_e32 v71, v82, v72, vcc_lo
; %bb.52:
	s_or_b32 exec_lo, exec_lo, s4
	v_and_b32_e32 v72, 0x7f800000, v81
	s_delay_alu instid0(VALU_DEP_1) | instskip(SKIP_1) | instid1(SALU_CYCLE_1)
	v_cmp_ne_u32_e32 vcc_lo, 0x7f800000, v72
                                        ; implicit-def: $vgpr72
	s_and_saveexec_b32 s4, vcc_lo
	s_xor_b32 s4, exec_lo, s4
; %bb.53:
	v_bfe_u32 v72, v81, 16, 1
	s_delay_alu instid0(VALU_DEP_1)
	v_add3_u32 v72, v81, v72, 0x7fff
                                        ; implicit-def: $vgpr81
; %bb.54:
	s_and_not1_saveexec_b32 s4, s4
; %bb.55:
	v_and_b32_e32 v72, 0xffff, v81
	v_or_b32_e32 v82, 0x10000, v81
	s_delay_alu instid0(VALU_DEP_2) | instskip(NEXT) | instid1(VALU_DEP_2)
	v_cmp_eq_u32_e32 vcc_lo, 0, v72
	v_cndmask_b32_e32 v72, v82, v81, vcc_lo
; %bb.56:
	s_or_b32 exec_lo, exec_lo, s4
	v_and_b32_e32 v81, 0x7f800000, v83
	s_delay_alu instid0(VALU_DEP_1) | instskip(SKIP_1) | instid1(SALU_CYCLE_1)
	v_cmp_ne_u32_e32 vcc_lo, 0x7f800000, v81
                                        ; implicit-def: $vgpr81
	s_and_saveexec_b32 s4, vcc_lo
	s_xor_b32 s4, exec_lo, s4
; %bb.57:
	v_bfe_u32 v81, v83, 16, 1
	s_delay_alu instid0(VALU_DEP_1)
	v_add3_u32 v81, v83, v81, 0x7fff
                                        ; implicit-def: $vgpr83
; %bb.58:
	s_and_not1_saveexec_b32 s4, s4
; %bb.59:
	v_and_b32_e32 v81, 0xffff, v83
	v_or_b32_e32 v82, 0x10000, v83
	s_delay_alu instid0(VALU_DEP_2) | instskip(NEXT) | instid1(VALU_DEP_2)
	v_cmp_eq_u32_e32 vcc_lo, 0, v81
	v_cndmask_b32_e32 v81, v82, v83, vcc_lo
; %bb.60:
	s_or_b32 exec_lo, exec_lo, s4
	v_and_b32_e32 v82, 0x7f800000, v77
	s_delay_alu instid0(VALU_DEP_1) | instskip(SKIP_1) | instid1(SALU_CYCLE_1)
	v_cmp_ne_u32_e32 vcc_lo, 0x7f800000, v82
                                        ; implicit-def: $vgpr82
	s_and_saveexec_b32 s4, vcc_lo
	s_xor_b32 s4, exec_lo, s4
; %bb.61:
	v_bfe_u32 v82, v77, 16, 1
	s_delay_alu instid0(VALU_DEP_1)
	v_add3_u32 v82, v77, v82, 0x7fff
                                        ; implicit-def: $vgpr77
; %bb.62:
	s_and_not1_saveexec_b32 s4, s4
; %bb.63:
	v_and_b32_e32 v82, 0xffff, v77
	v_or_b32_e32 v83, 0x10000, v77
	s_delay_alu instid0(VALU_DEP_2) | instskip(NEXT) | instid1(VALU_DEP_2)
	v_cmp_eq_u32_e32 vcc_lo, 0, v82
	v_cndmask_b32_e32 v82, v83, v77, vcc_lo
; %bb.64:
	s_or_b32 exec_lo, exec_lo, s4
	v_and_b32_e32 v77, 0x7f800000, v78
	s_delay_alu instid0(VALU_DEP_1) | instskip(SKIP_1) | instid1(SALU_CYCLE_1)
	v_cmp_ne_u32_e32 vcc_lo, 0x7f800000, v77
                                        ; implicit-def: $vgpr77
	s_and_saveexec_b32 s4, vcc_lo
	s_xor_b32 s4, exec_lo, s4
; %bb.65:
	v_bfe_u32 v77, v78, 16, 1
	s_delay_alu instid0(VALU_DEP_1)
	v_add3_u32 v77, v78, v77, 0x7fff
                                        ; implicit-def: $vgpr78
; %bb.66:
	s_and_not1_saveexec_b32 s4, s4
; %bb.67:
	v_and_b32_e32 v77, 0xffff, v78
	v_or_b32_e32 v83, 0x10000, v78
	s_delay_alu instid0(VALU_DEP_2) | instskip(NEXT) | instid1(VALU_DEP_2)
	v_cmp_eq_u32_e32 vcc_lo, 0, v77
	v_cndmask_b32_e32 v77, v83, v78, vcc_lo
; %bb.68:
	s_or_b32 exec_lo, exec_lo, s4
	v_and_b32_e32 v78, 0x7f800000, v79
	s_delay_alu instid0(VALU_DEP_1) | instskip(SKIP_1) | instid1(SALU_CYCLE_1)
	v_cmp_ne_u32_e32 vcc_lo, 0x7f800000, v78
                                        ; implicit-def: $vgpr78
	s_and_saveexec_b32 s4, vcc_lo
	s_xor_b32 s4, exec_lo, s4
; %bb.69:
	v_bfe_u32 v78, v79, 16, 1
	s_delay_alu instid0(VALU_DEP_1)
	v_add3_u32 v78, v79, v78, 0x7fff
                                        ; implicit-def: $vgpr79
; %bb.70:
	s_and_not1_saveexec_b32 s4, s4
; %bb.71:
	v_and_b32_e32 v78, 0xffff, v79
	v_or_b32_e32 v83, 0x10000, v79
	s_delay_alu instid0(VALU_DEP_2) | instskip(NEXT) | instid1(VALU_DEP_2)
	v_cmp_eq_u32_e32 vcc_lo, 0, v78
	v_cndmask_b32_e32 v78, v83, v79, vcc_lo
; %bb.72:
	s_or_b32 exec_lo, exec_lo, s4
	v_and_b32_e32 v79, 0x7f800000, v70
	s_delay_alu instid0(VALU_DEP_1) | instskip(SKIP_1) | instid1(SALU_CYCLE_1)
	v_cmp_ne_u32_e32 vcc_lo, 0x7f800000, v79
                                        ; implicit-def: $vgpr79
	s_and_saveexec_b32 s4, vcc_lo
	s_xor_b32 s4, exec_lo, s4
; %bb.73:
	v_bfe_u32 v79, v70, 16, 1
	s_delay_alu instid0(VALU_DEP_1)
	v_add3_u32 v79, v70, v79, 0x7fff
                                        ; implicit-def: $vgpr70
; %bb.74:
	s_and_not1_saveexec_b32 s4, s4
; %bb.75:
	v_and_b32_e32 v79, 0xffff, v70
	v_or_b32_e32 v83, 0x10000, v70
	s_delay_alu instid0(VALU_DEP_2) | instskip(NEXT) | instid1(VALU_DEP_2)
	v_cmp_eq_u32_e32 vcc_lo, 0, v79
	v_cndmask_b32_e32 v79, v83, v70, vcc_lo
; %bb.76:
	s_or_b32 exec_lo, exec_lo, s4
	s_delay_alu instid0(VALU_DEP_1)
	v_perm_b32 v86, v79, v78, 0x7060302
	v_perm_b32 v85, v77, v82, 0x7060302
	;; [unrolled: 1-line block ×4, first 2 shown]
	v_lshl_or_b32 v82, v66, 11, v80
	ds_store_b128 v76, v[83:86] offset:1024
	s_waitcnt lgkmcnt(0)
	s_barrier
	buffer_gl0_inv
	ds_load_b128 v[69:72], v82
	ds_load_b128 v[83:86], v82 offset:16
	s_waitcnt lgkmcnt(1)
	v_lshrrev_b32_e32 v66, 16, v69
	s_waitcnt lgkmcnt(0)
	v_lshrrev_b32_e32 v91, 16, v83
	v_lshlrev_b32_e32 v78, 2, v74
	v_lshrrev_b32_e32 v95, 16, v70
	v_lshrrev_b32_e32 v98, 16, v84
	;; [unrolled: 1-line block ×4, first 2 shown]
	v_cmp_eq_u32_e32 vcc_lo, 1, v78
	v_lshrrev_b32_e32 v97, 16, v72
	v_lshrrev_b32_e32 v100, 16, v86
	v_cndmask_b32_e32 v87, v83, v91, vcc_lo
	v_or_b32_e32 v79, 1, v78
	v_cndmask_b32_e32 v81, v69, v66, vcc_lo
	v_cmp_eq_u32_e64 s5, 2, v78
	v_cmp_eq_u32_e64 s8, 3, v78
	;; [unrolled: 1-line block ×5, first 2 shown]
	v_cndmask_b32_e64 v81, v81, v70, s5
	v_cndmask_b32_e64 v87, v87, v84, s5
	v_cmp_eq_u32_e64 s9, 3, v79
	v_cndmask_b32_e64 v88, v69, v66, s4
	v_or_b32_e32 v77, 2, v78
	v_cndmask_b32_e64 v81, v81, v95, s8
	v_cndmask_b32_e64 v87, v87, v98, s8
	;; [unrolled: 1-line block ×4, first 2 shown]
	v_cmp_eq_u32_e64 s11, 5, v78
	v_cndmask_b32_e64 v81, v81, v71, s10
	v_cndmask_b32_e64 v87, v87, v85, s10
	v_cmp_eq_u32_e64 s12, 4, v79
	v_cndmask_b32_e64 v88, v88, v95, s9
	v_cmp_eq_u32_e64 s6, 1, v77
	v_cndmask_b32_e64 v89, v89, v84, s7
	v_cndmask_b32_e64 v81, v81, v96, s11
	v_cmp_eq_u32_e64 s13, 6, v78
	v_cndmask_b32_e64 v88, v88, v71, s12
	;; [unrolled: 3-line block ×3, first 2 shown]
	v_cndmask_b32_e64 v89, v89, v98, s9
	v_cndmask_b32_e64 v81, v81, v72, s13
	v_cmp_eq_u32_e64 s16, 7, v78
	v_cndmask_b32_e64 v88, v88, v96, s15
	v_cndmask_b32_e64 v87, v87, v86, s13
	v_cmp_eq_u32_e64 s17, 6, v79
	v_cmp_eq_u32_e64 s18, 2, v77
	v_cndmask_b32_e64 v89, v89, v85, s12
	v_cndmask_b32_e64 v101, v81, v97, s16
	;; [unrolled: 1-line block ×6, first 2 shown]
	v_cmp_eq_u32_e64 s19, 7, v79
	v_cmp_eq_u32_e64 s20, 3, v77
	;; [unrolled: 1-line block ×4, first 2 shown]
	v_cndmask_b32_e64 v87, v87, v84, s18
	v_cndmask_b32_e64 v103, v88, v97, s19
	;; [unrolled: 1-line block ×4, first 2 shown]
	v_or_b32_e32 v81, 3, v78
	v_cndmask_b32_e64 v93, v87, v98, s20
	v_cmp_eq_u32_e64 s25, 6, v77
	v_cndmask_b32_e64 v104, v88, v86, s17
	v_cndmask_b32_e64 v92, v89, v71, s21
	v_cmp_eq_u32_e64 s22, 1, v81
	ds_load_b128 v[87:90], v82 offset:1024
	v_cmp_eq_u32_e64 s24, 2, v81
	v_cmp_eq_u32_e64 s26, 3, v81
	v_cndmask_b32_e64 v105, v92, v96, s23
	v_cndmask_b32_e64 v66, v69, v66, s22
	v_cndmask_b32_e64 v69, v93, v85, s21
	v_cndmask_b32_e64 v83, v83, v91, s22
	ds_load_b128 v[91:94], v82 offset:1040
	v_cmp_eq_u32_e64 s27, 4, v81
	v_cndmask_b32_e64 v66, v66, v70, s24
	v_cmp_eq_u32_e64 s28, 7, v77
	v_cndmask_b32_e64 v70, v83, v84, s24
	v_cndmask_b32_e64 v84, v105, v72, s25
	v_cmp_eq_u32_e64 s29, 5, v81
	v_cndmask_b32_e64 v66, v66, v95, s26
	v_cmp_eq_u32_e64 s30, 6, v81
	v_cndmask_b32_e64 v70, v70, v98, s26
	v_cndmask_b32_e64 v69, v69, v99, s23
	;; [unrolled: 1-line block ×4, first 2 shown]
	s_waitcnt lgkmcnt(1)
	v_lshrrev_b32_e32 v95, 16, v87
	v_cndmask_b32_e64 v70, v70, v85, s27
	v_cndmask_b32_e64 v71, v84, v97, s28
	;; [unrolled: 1-line block ×4, first 2 shown]
	v_cndmask_b32_e32 v84, v87, v95, vcc_lo
	v_cndmask_b32_e64 v70, v70, v99, s29
	s_waitcnt lgkmcnt(0)
	v_lshrrev_b32_e32 v85, 16, v91
	v_lshrrev_b32_e32 v96, 16, v88
	v_cndmask_b32_e64 v98, v87, v95, s4
	v_cndmask_b32_e64 v84, v84, v88, s5
	;; [unrolled: 1-line block ×3, first 2 shown]
	v_cndmask_b32_e32 v99, v91, v85, vcc_lo
	v_cmp_eq_u32_e32 vcc_lo, 7, v81
	v_cndmask_b32_e64 v66, v66, v72, s30
	v_cndmask_b32_e64 v72, v84, v96, s8
	;; [unrolled: 1-line block ×3, first 2 shown]
	v_lshrrev_b32_e32 v98, 16, v92
	v_cndmask_b32_e32 v70, v70, v100, vcc_lo
	v_cndmask_b32_e64 v86, v99, v92, s5
	v_cndmask_b32_e64 v69, v69, v100, s28
	v_lshrrev_b32_e32 v100, 16, v93
	v_cndmask_b32_e64 v72, v72, v89, s10
	v_lshrrev_b32_e32 v99, 16, v89
	v_cndmask_b32_e64 v86, v86, v98, s8
	v_perm_b32 v71, v69, v71, 0x5040100
	v_cndmask_b32_e64 v84, v84, v96, s9
	s_delay_alu instid0(VALU_DEP_3) | instskip(NEXT) | instid1(VALU_DEP_2)
	v_cndmask_b32_e64 v86, v86, v93, s10
	v_cndmask_b32_e64 v84, v84, v89, s12
	s_delay_alu instid0(VALU_DEP_2) | instskip(NEXT) | instid1(VALU_DEP_1)
	v_cndmask_b32_e64 v86, v86, v100, s11
	v_cndmask_b32_e64 v69, v86, v94, s13
	;; [unrolled: 1-line block ×5, first 2 shown]
	s_delay_alu instid0(VALU_DEP_3) | instskip(NEXT) | instid1(VALU_DEP_3)
	v_cndmask_b32_e64 v86, v86, v88, s18
	v_cndmask_b32_e64 v87, v87, v88, s24
	s_delay_alu instid0(VALU_DEP_3) | instskip(NEXT) | instid1(VALU_DEP_3)
	v_cndmask_b32_e64 v88, v95, v92, s24
	v_cndmask_b32_e64 v86, v86, v96, s20
	;; [unrolled: 3-line block ×7, first 2 shown]
	s_delay_alu instid0(VALU_DEP_3) | instskip(SKIP_2) | instid1(VALU_DEP_2)
	v_cndmask_b32_e64 v88, v88, v94, s30
	v_cndmask_b32_e32 v66, v66, v97, vcc_lo
	v_cndmask_b32_e64 v97, v72, v99, s11
	v_perm_b32 v72, v70, v66, 0x5040100
	v_perm_b32 v70, v83, v103, 0x5040100
	v_cndmask_b32_e64 v103, v91, v85, s6
	v_cndmask_b32_e64 v85, v91, v85, s4
	;; [unrolled: 1-line block ×4, first 2 shown]
	v_lshrrev_b32_e32 v97, 16, v90
	v_cndmask_b32_e64 v91, v103, v92, s18
	v_cndmask_b32_e64 v85, v85, v92, s7
	;; [unrolled: 1-line block ×3, first 2 shown]
	s_mov_b32 s4, exec_lo
	v_cndmask_b32_e64 v83, v84, v97, s16
	v_cndmask_b32_e64 v91, v91, v98, s20
	;; [unrolled: 1-line block ×3, first 2 shown]
	v_lshrrev_b32_e32 v84, 16, v94
	v_cndmask_b32_e64 v66, v66, v97, s19
	v_cndmask_b32_e64 v90, v86, v97, s28
	v_cndmask_b32_e64 v89, v91, v93, s21
	v_cndmask_b32_e64 v85, v85, v93, s12
	v_dual_cndmask_b32 v86, v87, v97 :: v_dual_cndmask_b32 v87, v88, v84
	v_cndmask_b32_e64 v91, v69, v84, s16
	s_delay_alu instid0(VALU_DEP_4) | instskip(NEXT) | instid1(VALU_DEP_4)
	v_cndmask_b32_e64 v89, v89, v100, s23
	v_cndmask_b32_e64 v85, v85, v100, s15
	v_perm_b32 v69, v102, v101, 0x5040100
	v_perm_b32 v86, v87, v86, 0x5040100
	;; [unrolled: 1-line block ×3, first 2 shown]
	v_cndmask_b32_e64 v89, v89, v94, s25
	v_cndmask_b32_e64 v85, v85, v94, s17
	s_mul_i32 s9, s37, 13
	s_delay_alu instid0(VALU_DEP_2) | instskip(NEXT) | instid1(VALU_DEP_2)
	v_cndmask_b32_e64 v88, v89, v84, s28
	v_cndmask_b32_e64 v89, v85, v84, s19
	s_delay_alu instid0(VALU_DEP_2) | instskip(NEXT) | instid1(VALU_DEP_2)
	v_perm_b32 v85, v88, v90, 0x5040100
	v_perm_b32 v84, v89, v66, 0x5040100
	ds_store_b128 v76, v[69:72]
	ds_store_b128 v76, v[83:86] offset:1024
	v_cmpx_gt_u32_e32 13, v0
	s_cbranch_execz .LBB1770_78
; %bb.77:
	s_mul_i32 s5, s9, s34
	s_load_b128 s[16:19], s[0:1], 0x58
	v_add3_u32 v69, s5, s31, v65
	s_delay_alu instid0(VALU_DEP_1) | instskip(NEXT) | instid1(VALU_DEP_1)
	v_mad_u64_u32 v[65:66], null, v69, s36, s[14:15]
	v_ashrrev_i32_e32 v66, 31, v65
	s_delay_alu instid0(VALU_DEP_1) | instskip(SKIP_1) | instid1(VALU_DEP_1)
	v_lshlrev_b64 v[65:66], 2, v[65:66]
	s_waitcnt lgkmcnt(0)
	v_add_co_u32 v69, vcc_lo, s18, v65
	s_delay_alu instid0(VALU_DEP_2)
	v_add_co_ci_u32_e32 v70, vcc_lo, s19, v66, vcc_lo
	v_add_co_u32 v65, vcc_lo, s16, v65
	v_add_co_ci_u32_e32 v66, vcc_lo, s17, v66, vcc_lo
	global_store_b32 v[69:70], v67, off
	global_store_b32 v[65:66], v68, off
.LBB1770_78:
	s_or_b32 exec_lo, exec_lo, s4
	s_waitcnt lgkmcnt(0)
	s_waitcnt_vscnt null, 0x0
	s_barrier
	buffer_gl0_inv
	ds_load_b128 v[83:86], v80
	ds_load_b128 v[87:90], v80 offset:16
	ds_load_b128 v[95:98], v80 offset:2064
	;; [unrolled: 1-line block ×3, first 2 shown]
	v_mov_b32_e32 v65, 0
	ds_load_b128 v[103:106], v80 offset:4112
	ds_load_b128 v[99:102], v80 offset:4096
	;; [unrolled: 1-line block ×4, first 2 shown]
	v_mov_b32_e32 v66, v65
	v_mov_b32_e32 v67, v65
	;; [unrolled: 1-line block ×7, first 2 shown]
	s_waitcnt lgkmcnt(6)
	s_delay_alu instid0(VALU_DEP_1)
	v_wmma_f32_16x16x16_bf16 v[65:72], v[57:64], v[83:90], v[65:72]
	ds_load_b128 v[61:64], v80 offset:8208
	ds_load_b128 v[57:60], v80 offset:8192
	s_waitcnt lgkmcnt(6)
	v_wmma_f32_16x16x16_bf16 v[65:72], v[41:48], v[91:98], v[65:72]
	ds_load_b128 v[45:48], v80 offset:10256
	ds_load_b128 v[41:44], v80 offset:10240
	s_waitcnt lgkmcnt(6)
	;; [unrolled: 4-line block ×4, first 2 shown]
	v_wmma_f32_16x16x16_bf16 v[65:72], v[1:8], v[57:64], v[65:72]
	s_waitcnt lgkmcnt(4)
	s_delay_alu instid0(VALU_DEP_1) | instskip(SKIP_1) | instid1(VALU_DEP_1)
	v_wmma_f32_16x16x16_bf16 v[65:72], v[9:16], v[41:48], v[65:72]
	s_waitcnt lgkmcnt(2)
	v_wmma_f32_16x16x16_bf16 v[65:72], v[17:24], v[33:40], v[65:72]
	s_waitcnt lgkmcnt(0)
	s_delay_alu instid0(VALU_DEP_1) | instskip(NEXT) | instid1(VALU_DEP_1)
	v_wmma_f32_16x16x16_bf16 v[65:72], v[49:56], v[25:32], v[65:72]
	v_and_b32_e32 v1, 0x7f800000, v65
	s_delay_alu instid0(VALU_DEP_1) | instskip(SKIP_1) | instid1(SALU_CYCLE_1)
	v_cmp_ne_u32_e32 vcc_lo, 0x7f800000, v1
                                        ; implicit-def: $vgpr1
	s_and_saveexec_b32 s4, vcc_lo
	s_xor_b32 s4, exec_lo, s4
; %bb.79:
	v_bfe_u32 v1, v65, 16, 1
	s_delay_alu instid0(VALU_DEP_1)
	v_add3_u32 v1, v65, v1, 0x7fff
; %bb.80:
	s_and_not1_saveexec_b32 s4, s4
; %bb.81:
	v_and_b32_e32 v1, 0xffff, v65
	v_or_b32_e32 v2, 0x10000, v65
	s_delay_alu instid0(VALU_DEP_2) | instskip(NEXT) | instid1(VALU_DEP_2)
	v_cmp_eq_u32_e32 vcc_lo, 0, v1
	v_cndmask_b32_e32 v1, v2, v65, vcc_lo
; %bb.82:
	s_or_b32 exec_lo, exec_lo, s4
	v_and_b32_e32 v2, 0x7f800000, v66
	s_delay_alu instid0(VALU_DEP_1) | instskip(SKIP_1) | instid1(SALU_CYCLE_1)
	v_cmp_ne_u32_e32 vcc_lo, 0x7f800000, v2
                                        ; implicit-def: $vgpr2
	s_and_saveexec_b32 s4, vcc_lo
	s_xor_b32 s4, exec_lo, s4
; %bb.83:
	v_bfe_u32 v2, v66, 16, 1
	s_delay_alu instid0(VALU_DEP_1)
	v_add3_u32 v2, v66, v2, 0x7fff
; %bb.84:
	s_and_not1_saveexec_b32 s4, s4
; %bb.85:
	v_and_b32_e32 v2, 0xffff, v66
	v_or_b32_e32 v3, 0x10000, v66
	s_delay_alu instid0(VALU_DEP_2) | instskip(NEXT) | instid1(VALU_DEP_2)
	v_cmp_eq_u32_e32 vcc_lo, 0, v2
	v_cndmask_b32_e32 v2, v3, v66, vcc_lo
; %bb.86:
	s_or_b32 exec_lo, exec_lo, s4
	v_and_b32_e32 v3, 0x7f800000, v67
	s_delay_alu instid0(VALU_DEP_1) | instskip(SKIP_1) | instid1(SALU_CYCLE_1)
	v_cmp_ne_u32_e32 vcc_lo, 0x7f800000, v3
                                        ; implicit-def: $vgpr3
	s_and_saveexec_b32 s4, vcc_lo
	s_xor_b32 s4, exec_lo, s4
; %bb.87:
	v_bfe_u32 v3, v67, 16, 1
	s_delay_alu instid0(VALU_DEP_1)
	v_add3_u32 v3, v67, v3, 0x7fff
; %bb.88:
	s_and_not1_saveexec_b32 s4, s4
; %bb.89:
	v_and_b32_e32 v3, 0xffff, v67
	v_or_b32_e32 v4, 0x10000, v67
	s_delay_alu instid0(VALU_DEP_2) | instskip(NEXT) | instid1(VALU_DEP_2)
	v_cmp_eq_u32_e32 vcc_lo, 0, v3
	v_cndmask_b32_e32 v3, v4, v67, vcc_lo
; %bb.90:
	s_or_b32 exec_lo, exec_lo, s4
	v_and_b32_e32 v4, 0x7f800000, v68
	s_delay_alu instid0(VALU_DEP_1) | instskip(SKIP_1) | instid1(SALU_CYCLE_1)
	v_cmp_ne_u32_e32 vcc_lo, 0x7f800000, v4
                                        ; implicit-def: $vgpr4
	s_and_saveexec_b32 s4, vcc_lo
	s_xor_b32 s4, exec_lo, s4
; %bb.91:
	v_bfe_u32 v4, v68, 16, 1
	s_delay_alu instid0(VALU_DEP_1)
	v_add3_u32 v4, v68, v4, 0x7fff
; %bb.92:
	s_and_not1_saveexec_b32 s4, s4
; %bb.93:
	v_and_b32_e32 v4, 0xffff, v68
	v_or_b32_e32 v5, 0x10000, v68
	s_delay_alu instid0(VALU_DEP_2) | instskip(NEXT) | instid1(VALU_DEP_2)
	v_cmp_eq_u32_e32 vcc_lo, 0, v4
	v_cndmask_b32_e32 v4, v5, v68, vcc_lo
; %bb.94:
	s_or_b32 exec_lo, exec_lo, s4
	v_and_b32_e32 v5, 0x7f800000, v69
	s_delay_alu instid0(VALU_DEP_1) | instskip(SKIP_1) | instid1(SALU_CYCLE_1)
	v_cmp_ne_u32_e32 vcc_lo, 0x7f800000, v5
                                        ; implicit-def: $vgpr5
	s_and_saveexec_b32 s4, vcc_lo
	s_xor_b32 s4, exec_lo, s4
; %bb.95:
	v_bfe_u32 v5, v69, 16, 1
	s_delay_alu instid0(VALU_DEP_1)
	v_add3_u32 v5, v69, v5, 0x7fff
; %bb.96:
	s_and_not1_saveexec_b32 s4, s4
; %bb.97:
	v_and_b32_e32 v5, 0xffff, v69
	v_or_b32_e32 v6, 0x10000, v69
	s_delay_alu instid0(VALU_DEP_2) | instskip(NEXT) | instid1(VALU_DEP_2)
	v_cmp_eq_u32_e32 vcc_lo, 0, v5
	v_cndmask_b32_e32 v5, v6, v69, vcc_lo
; %bb.98:
	s_or_b32 exec_lo, exec_lo, s4
	v_and_b32_e32 v6, 0x7f800000, v70
	s_delay_alu instid0(VALU_DEP_1) | instskip(SKIP_1) | instid1(SALU_CYCLE_1)
	v_cmp_ne_u32_e32 vcc_lo, 0x7f800000, v6
                                        ; implicit-def: $vgpr6
	s_and_saveexec_b32 s4, vcc_lo
	s_xor_b32 s4, exec_lo, s4
; %bb.99:
	v_bfe_u32 v6, v70, 16, 1
	s_delay_alu instid0(VALU_DEP_1)
	v_add3_u32 v6, v70, v6, 0x7fff
; %bb.100:
	s_and_not1_saveexec_b32 s4, s4
; %bb.101:
	v_and_b32_e32 v6, 0xffff, v70
	v_or_b32_e32 v7, 0x10000, v70
	s_delay_alu instid0(VALU_DEP_2) | instskip(NEXT) | instid1(VALU_DEP_2)
	v_cmp_eq_u32_e32 vcc_lo, 0, v6
	v_cndmask_b32_e32 v6, v7, v70, vcc_lo
; %bb.102:
	s_or_b32 exec_lo, exec_lo, s4
	v_and_b32_e32 v7, 0x7f800000, v71
	s_delay_alu instid0(VALU_DEP_1) | instskip(SKIP_1) | instid1(SALU_CYCLE_1)
	v_cmp_ne_u32_e32 vcc_lo, 0x7f800000, v7
                                        ; implicit-def: $vgpr7
	s_and_saveexec_b32 s4, vcc_lo
	s_xor_b32 s4, exec_lo, s4
; %bb.103:
	v_bfe_u32 v7, v71, 16, 1
	s_delay_alu instid0(VALU_DEP_1)
	v_add3_u32 v7, v71, v7, 0x7fff
; %bb.104:
	s_and_not1_saveexec_b32 s4, s4
; %bb.105:
	v_and_b32_e32 v7, 0xffff, v71
	v_or_b32_e32 v8, 0x10000, v71
	s_delay_alu instid0(VALU_DEP_2) | instskip(NEXT) | instid1(VALU_DEP_2)
	v_cmp_eq_u32_e32 vcc_lo, 0, v7
	v_cndmask_b32_e32 v7, v8, v71, vcc_lo
; %bb.106:
	s_or_b32 exec_lo, exec_lo, s4
	v_and_b32_e32 v8, 0x7f800000, v72
	s_delay_alu instid0(VALU_DEP_1) | instskip(SKIP_1) | instid1(SALU_CYCLE_1)
	v_cmp_ne_u32_e32 vcc_lo, 0x7f800000, v8
                                        ; implicit-def: $vgpr8
	s_and_saveexec_b32 s4, vcc_lo
	s_xor_b32 s4, exec_lo, s4
; %bb.107:
	v_bfe_u32 v8, v72, 16, 1
	s_delay_alu instid0(VALU_DEP_1)
	v_add3_u32 v8, v72, v8, 0x7fff
                                        ; implicit-def: $vgpr65_vgpr66_vgpr67_vgpr68_vgpr69_vgpr70_vgpr71_vgpr72
; %bb.108:
	s_and_not1_saveexec_b32 s4, s4
; %bb.109:
	v_and_b32_e32 v8, 0xffff, v72
	v_or_b32_e32 v9, 0x10000, v72
	s_delay_alu instid0(VALU_DEP_2) | instskip(NEXT) | instid1(VALU_DEP_2)
	v_cmp_eq_u32_e32 vcc_lo, 0, v8
	v_cndmask_b32_e32 v8, v9, v72, vcc_lo
; %bb.110:
	s_or_b32 exec_lo, exec_lo, s4
	s_delay_alu instid0(VALU_DEP_1)
	v_perm_b32 v7, v8, v7, 0x7060302
	v_perm_b32 v6, v6, v5, 0x7060302
	;; [unrolled: 1-line block ×4, first 2 shown]
	s_barrier
	buffer_gl0_inv
	v_cmp_eq_u32_e32 vcc_lo, 1, v78
	ds_store_b128 v76, v[4:7]
	s_waitcnt lgkmcnt(0)
	s_barrier
	buffer_gl0_inv
	ds_load_b128 v[1:4], v82
	ds_load_b128 v[5:8], v82 offset:16
	v_cmp_eq_u32_e64 s4, 1, v79
	v_cmp_eq_u32_e64 s5, 2, v78
	;; [unrolled: 1-line block ×5, first 2 shown]
	s_waitcnt lgkmcnt(1)
	v_lshrrev_b32_e32 v9, 16, v1
	s_waitcnt lgkmcnt(0)
	v_lshrrev_b32_e32 v13, 16, v5
	v_lshrrev_b32_e32 v10, 16, v2
	v_lshrrev_b32_e32 v14, 16, v6
	v_lshrrev_b32_e32 v11, 16, v3
	v_cndmask_b32_e64 v19, v1, v9, s4
	v_cndmask_b32_e32 v18, v5, v13, vcc_lo
	v_cndmask_b32_e64 v20, v5, v13, s4
	v_cndmask_b32_e32 v17, v1, v9, vcc_lo
	v_cmp_eq_u32_e32 vcc_lo, 2, v79
	v_lshrrev_b32_e32 v15, 16, v7
	v_cmp_eq_u32_e64 s4, 1, v77
	v_lshrrev_b32_e32 v12, 16, v4
	v_lshrrev_b32_e32 v16, 16, v8
	v_cndmask_b32_e32 v20, v20, v6, vcc_lo
	v_cndmask_b32_e64 v17, v17, v2, s5
	v_cndmask_b32_e32 v19, v19, v2, vcc_lo
	v_cndmask_b32_e64 v18, v18, v6, s5
	v_cmp_eq_u32_e32 vcc_lo, 4, v78
	v_cmp_eq_u32_e64 s5, 3, v79
	v_cndmask_b32_e64 v17, v17, v10, s6
	v_cndmask_b32_e64 v21, v1, v9, s4
	;; [unrolled: 1-line block ×5, first 2 shown]
	v_cndmask_b32_e32 v17, v17, v3, vcc_lo
	v_cndmask_b32_e64 v20, v20, v14, s5
	v_cndmask_b32_e32 v18, v18, v7, vcc_lo
	v_cmp_eq_u32_e32 vcc_lo, 4, v79
	v_cmp_eq_u32_e64 s5, 5, v79
	v_cmp_eq_u32_e64 s4, 2, v81
	v_cndmask_b32_e64 v21, v21, v2, s8
	v_cmp_eq_u32_e64 s6, 5, v78
	v_cndmask_b32_e32 v19, v19, v3, vcc_lo
	v_cndmask_b32_e32 v20, v20, v7, vcc_lo
	v_cmp_eq_u32_e32 vcc_lo, 6, v79
	s_delay_alu instid0(VALU_DEP_4) | instskip(NEXT) | instid1(VALU_DEP_4)
	v_cndmask_b32_e64 v17, v17, v11, s6
	v_cndmask_b32_e64 v19, v19, v11, s5
	s_delay_alu instid0(VALU_DEP_4) | instskip(SKIP_1) | instid1(VALU_DEP_3)
	v_cndmask_b32_e64 v20, v20, v15, s5
	v_cmp_eq_u32_e64 s5, 1, v81
	v_cndmask_b32_e32 v19, v19, v4, vcc_lo
	v_cndmask_b32_e64 v18, v18, v15, s6
	s_delay_alu instid0(VALU_DEP_3)
	v_cndmask_b32_e64 v1, v1, v9, s5
	v_cndmask_b32_e64 v5, v5, v13, s5
	v_cmp_eq_u32_e64 s5, 3, v77
	v_cndmask_b32_e64 v13, v22, v6, s8
	v_cmp_eq_u32_e64 s8, 3, v81
	v_cndmask_b32_e64 v1, v1, v2, s4
	v_cndmask_b32_e64 v2, v5, v6, s4
	;; [unrolled: 1-line block ×3, first 2 shown]
	v_cmp_eq_u32_e64 s4, 4, v77
	v_cndmask_b32_e64 v6, v13, v14, s5
	v_cndmask_b32_e64 v1, v1, v10, s8
	v_cmp_eq_u32_e64 s5, 4, v81
	v_cndmask_b32_e64 v2, v2, v14, s8
	v_cndmask_b32_e64 v5, v9, v3, s4
	;; [unrolled: 3-line block ×3, first 2 shown]
	v_cndmask_b32_e64 v2, v2, v7, s5
	v_cmp_eq_u32_e64 s4, 5, v81
	v_cmp_eq_u32_e64 s6, 6, v78
	v_cndmask_b32_e64 v5, v5, v11, s8
	v_cmp_eq_u32_e64 s5, 6, v77
	v_cndmask_b32_e64 v3, v6, v15, s8
	v_cndmask_b32_e64 v1, v1, v11, s4
	v_cmp_eq_u32_e64 s8, 6, v81
	v_cndmask_b32_e64 v2, v2, v15, s4
	v_cndmask_b32_e64 v17, v17, v4, s6
	v_cndmask_b32_e64 v18, v18, v8, s6
	v_cmp_eq_u32_e64 s6, 7, v78
	v_cndmask_b32_e64 v5, v5, v4, s5
	;; [unrolled: 4-line block ×3, first 2 shown]
	v_cmp_eq_u32_e64 s5, 7, v77
	v_cndmask_b32_e32 v4, v20, v8, vcc_lo
	v_cndmask_b32_e64 v17, v17, v12, s6
	v_cndmask_b32_e64 v19, v19, v12, s7
	;; [unrolled: 1-line block ×8, first 2 shown]
	v_cmp_gt_u32_e32 vcc_lo, 32, v0
	v_perm_b32 v4, v2, v1, 0x5040100
	v_perm_b32 v3, v3, v5, 0x5040100
	;; [unrolled: 1-line block ×4, first 2 shown]
	s_and_b32 s2, vcc_lo, s2
	ds_store_b128 v76, v[1:4]
	s_waitcnt lgkmcnt(0)
	s_barrier
	buffer_gl0_inv
	s_and_saveexec_b32 s4, s2
	s_cbranch_execz .LBB1770_2
; %bb.111:
	s_load_b64 s[4:5], s[0:1], 0x68
	v_lshlrev_b32_e32 v0, 10, v0
	v_lshlrev_b32_e32 v1, 4, v75
	s_lshl_b32 s0, s36, 6
	v_add_nc_u32_e32 v18, s31, v74
	s_mul_i32 s1, s0, s34
	s_delay_alu instid0(VALU_DEP_2) | instskip(SKIP_1) | instid1(VALU_DEP_2)
	v_and_or_b32 v0, 0x3800, v0, v1
	s_mul_i32 s6, s1, s9
	v_mul_lo_u32 v1, v18, s0
	s_ashr_i32 s7, s6, 31
	v_add_nc_u32_e32 v2, 2, v18
	v_lshl_or_b32 v19, v74, 6, v0
	s_lshl_b64 s[6:7], s[6:7], 1
	v_add_nc_u32_e32 v8, 4, v18
	v_add_nc_u32_e32 v15, 6, v18
	v_mul_lo_u32 v7, v2, s0
	ds_load_b128 v[3:6], v19
	v_ashrrev_i32_e32 v2, 31, v1
	v_mul_lo_u32 v11, v8, s0
	s_waitcnt lgkmcnt(0)
	s_add_u32 s1, s4, s6
	s_addc_u32 s2, s5, s7
	s_lshl_b32 s4, s14, 6
	v_lshlrev_b64 v[9:10], 1, v[1:2]
	s_ashr_i32 s5, s4, 31
	v_ashrrev_i32_e32 v8, 31, v7
	s_lshl_b64 s[4:5], s[4:5], 1
	v_ashrrev_i32_e32 v12, 31, v11
	s_add_u32 s1, s1, s4
	s_addc_u32 s2, s2, s5
	v_add_co_u32 v1, s1, s1, v73
	s_delay_alu instid0(VALU_DEP_1) | instskip(SKIP_1) | instid1(VALU_DEP_3)
	v_add_co_ci_u32_e64 v2, null, s2, 0, s1
	v_mul_lo_u32 v15, v15, s0
	v_add_co_u32 v13, vcc_lo, v1, v9
	s_delay_alu instid0(VALU_DEP_3)
	v_add_co_ci_u32_e32 v14, vcc_lo, v2, v10, vcc_lo
	v_lshlrev_b64 v[16:17], 1, v[7:8]
	ds_load_b128 v[7:10], v19 offset:128
	global_store_b128 v[13:14], v[3:6], off
	v_add_nc_u32_e32 v5, 8, v18
	v_lshlrev_b64 v[3:4], 1, v[11:12]
	v_add_co_u32 v23, vcc_lo, v1, v16
	v_ashrrev_i32_e32 v16, 31, v15
	s_delay_alu instid0(VALU_DEP_4) | instskip(SKIP_3) | instid1(VALU_DEP_3)
	v_mul_lo_u32 v25, v5, s0
	v_add_nc_u32_e32 v5, 10, v18
	v_add_co_ci_u32_e32 v24, vcc_lo, v2, v17, vcc_lo
	v_add_co_u32 v27, vcc_lo, v1, v3
	v_mul_lo_u32 v29, v5, s0
	v_add_co_ci_u32_e32 v28, vcc_lo, v2, v4, vcc_lo
	v_lshlrev_b64 v[31:32], 1, v[15:16]
	ds_load_b128 v[3:6], v19 offset:256
	ds_load_b128 v[11:14], v19 offset:384
	;; [unrolled: 1-line block ×4, first 2 shown]
	v_ashrrev_i32_e32 v26, 31, v25
	v_ashrrev_i32_e32 v30, 31, v29
	v_add_co_u32 v31, vcc_lo, v1, v31
	s_delay_alu instid0(VALU_DEP_3) | instskip(SKIP_1) | instid1(VALU_DEP_4)
	v_lshlrev_b64 v[25:26], 1, v[25:26]
	v_add_co_ci_u32_e32 v32, vcc_lo, v2, v32, vcc_lo
	v_lshlrev_b64 v[29:30], 1, v[29:30]
	s_delay_alu instid0(VALU_DEP_3) | instskip(NEXT) | instid1(VALU_DEP_4)
	v_add_co_u32 v25, vcc_lo, v1, v25
	v_add_co_ci_u32_e32 v26, vcc_lo, v2, v26, vcc_lo
	s_delay_alu instid0(VALU_DEP_3) | instskip(NEXT) | instid1(VALU_DEP_4)
	v_add_co_u32 v29, vcc_lo, v1, v29
	v_add_co_ci_u32_e32 v30, vcc_lo, v2, v30, vcc_lo
	s_waitcnt lgkmcnt(4)
	global_store_b128 v[23:24], v[7:10], off
	s_waitcnt lgkmcnt(3)
	global_store_b128 v[27:28], v[3:6], off
	;; [unrolled: 2-line block ×5, first 2 shown]
	s_and_b32 exec_lo, exec_lo, s3
	s_cbranch_execz .LBB1770_2
; %bb.112:
	ds_load_b128 v[3:6], v0 offset:768
	s_add_i32 s1, s31, 12
	s_delay_alu instid0(SALU_CYCLE_1) | instskip(NEXT) | instid1(SALU_CYCLE_1)
	s_mul_i32 s0, s1, s0
	s_ashr_i32 s1, s0, 31
	s_delay_alu instid0(SALU_CYCLE_1) | instskip(NEXT) | instid1(SALU_CYCLE_1)
	s_lshl_b64 s[0:1], s[0:1], 1
	v_add_co_u32 v0, vcc_lo, v1, s0
	v_add_co_ci_u32_e32 v1, vcc_lo, s1, v2, vcc_lo
	s_waitcnt lgkmcnt(0)
	global_store_b128 v[0:1], v[3:6], off
	s_nop 0
	s_sendmsg sendmsg(MSG_DEALLOC_VGPRS)
	s_endpgm
	.section	.rodata,"a",@progbits
	.p2align	6, 0x0
	.amdhsa_kernel _Z39paged_attention_ll4mi_QKV_mfma16_kernelI14__hip_bfloat16hLN4vllm18Fp8KVCacheDataTypeE1ES0_Li32ELi64ELi256ELb1ELi13EL8MFMAType0EEvPKT_PKT0_S9_ifPKiSB_SB_iPKfiiiPfSE_PS4_PT2_iSD_SD_
		.amdhsa_group_segment_fixed_size 17472
		.amdhsa_private_segment_fixed_size 0
		.amdhsa_kernarg_size 400
		.amdhsa_user_sgpr_count 13
		.amdhsa_user_sgpr_dispatch_ptr 0
		.amdhsa_user_sgpr_queue_ptr 0
		.amdhsa_user_sgpr_kernarg_segment_ptr 1
		.amdhsa_user_sgpr_dispatch_id 0
		.amdhsa_user_sgpr_private_segment_size 0
		.amdhsa_wavefront_size32 1
		.amdhsa_uses_dynamic_stack 0
		.amdhsa_enable_private_segment 0
		.amdhsa_system_sgpr_workgroup_id_x 1
		.amdhsa_system_sgpr_workgroup_id_y 1
		.amdhsa_system_sgpr_workgroup_id_z 1
		.amdhsa_system_sgpr_workgroup_info 0
		.amdhsa_system_vgpr_workitem_id 0
		.amdhsa_next_free_vgpr 124
		.amdhsa_next_free_sgpr 42
		.amdhsa_reserve_vcc 1
		.amdhsa_float_round_mode_32 0
		.amdhsa_float_round_mode_16_64 0
		.amdhsa_float_denorm_mode_32 3
		.amdhsa_float_denorm_mode_16_64 3
		.amdhsa_dx10_clamp 1
		.amdhsa_ieee_mode 1
		.amdhsa_fp16_overflow 0
		.amdhsa_workgroup_processor_mode 1
		.amdhsa_memory_ordered 1
		.amdhsa_forward_progress 0
		.amdhsa_shared_vgpr_count 0
		.amdhsa_exception_fp_ieee_invalid_op 0
		.amdhsa_exception_fp_denorm_src 0
		.amdhsa_exception_fp_ieee_div_zero 0
		.amdhsa_exception_fp_ieee_overflow 0
		.amdhsa_exception_fp_ieee_underflow 0
		.amdhsa_exception_fp_ieee_inexact 0
		.amdhsa_exception_int_div_zero 0
	.end_amdhsa_kernel
	.section	.text._Z39paged_attention_ll4mi_QKV_mfma16_kernelI14__hip_bfloat16hLN4vllm18Fp8KVCacheDataTypeE1ES0_Li32ELi64ELi256ELb1ELi13EL8MFMAType0EEvPKT_PKT0_S9_ifPKiSB_SB_iPKfiiiPfSE_PS4_PT2_iSD_SD_,"axG",@progbits,_Z39paged_attention_ll4mi_QKV_mfma16_kernelI14__hip_bfloat16hLN4vllm18Fp8KVCacheDataTypeE1ES0_Li32ELi64ELi256ELb1ELi13EL8MFMAType0EEvPKT_PKT0_S9_ifPKiSB_SB_iPKfiiiPfSE_PS4_PT2_iSD_SD_,comdat
.Lfunc_end1770:
	.size	_Z39paged_attention_ll4mi_QKV_mfma16_kernelI14__hip_bfloat16hLN4vllm18Fp8KVCacheDataTypeE1ES0_Li32ELi64ELi256ELb1ELi13EL8MFMAType0EEvPKT_PKT0_S9_ifPKiSB_SB_iPKfiiiPfSE_PS4_PT2_iSD_SD_, .Lfunc_end1770-_Z39paged_attention_ll4mi_QKV_mfma16_kernelI14__hip_bfloat16hLN4vllm18Fp8KVCacheDataTypeE1ES0_Li32ELi64ELi256ELb1ELi13EL8MFMAType0EEvPKT_PKT0_S9_ifPKiSB_SB_iPKfiiiPfSE_PS4_PT2_iSD_SD_
                                        ; -- End function
	.section	.AMDGPU.csdata,"",@progbits
; Kernel info:
; codeLenInByte = 8972
; NumSgprs: 44
; NumVgprs: 124
; ScratchSize: 0
; MemoryBound: 0
; FloatMode: 240
; IeeeMode: 1
; LDSByteSize: 17472 bytes/workgroup (compile time only)
; SGPRBlocks: 5
; VGPRBlocks: 15
; NumSGPRsForWavesPerEU: 44
; NumVGPRsForWavesPerEU: 124
; Occupancy: 10
; WaveLimiterHint : 1
; COMPUTE_PGM_RSRC2:SCRATCH_EN: 0
; COMPUTE_PGM_RSRC2:USER_SGPR: 13
; COMPUTE_PGM_RSRC2:TRAP_HANDLER: 0
; COMPUTE_PGM_RSRC2:TGID_X_EN: 1
; COMPUTE_PGM_RSRC2:TGID_Y_EN: 1
; COMPUTE_PGM_RSRC2:TGID_Z_EN: 1
; COMPUTE_PGM_RSRC2:TIDIG_COMP_CNT: 0
	.section	.text._Z39paged_attention_ll4mi_QKV_mfma16_kernelI14__hip_bfloat16hLN4vllm18Fp8KVCacheDataTypeE1ES0_Li32ELi64ELi256ELb1ELi14EL8MFMAType0EEvPKT_PKT0_S9_ifPKiSB_SB_iPKfiiiPfSE_PS4_PT2_iSD_SD_,"axG",@progbits,_Z39paged_attention_ll4mi_QKV_mfma16_kernelI14__hip_bfloat16hLN4vllm18Fp8KVCacheDataTypeE1ES0_Li32ELi64ELi256ELb1ELi14EL8MFMAType0EEvPKT_PKT0_S9_ifPKiSB_SB_iPKfiiiPfSE_PS4_PT2_iSD_SD_,comdat
	.protected	_Z39paged_attention_ll4mi_QKV_mfma16_kernelI14__hip_bfloat16hLN4vllm18Fp8KVCacheDataTypeE1ES0_Li32ELi64ELi256ELb1ELi14EL8MFMAType0EEvPKT_PKT0_S9_ifPKiSB_SB_iPKfiiiPfSE_PS4_PT2_iSD_SD_ ; -- Begin function _Z39paged_attention_ll4mi_QKV_mfma16_kernelI14__hip_bfloat16hLN4vllm18Fp8KVCacheDataTypeE1ES0_Li32ELi64ELi256ELb1ELi14EL8MFMAType0EEvPKT_PKT0_S9_ifPKiSB_SB_iPKfiiiPfSE_PS4_PT2_iSD_SD_
	.globl	_Z39paged_attention_ll4mi_QKV_mfma16_kernelI14__hip_bfloat16hLN4vllm18Fp8KVCacheDataTypeE1ES0_Li32ELi64ELi256ELb1ELi14EL8MFMAType0EEvPKT_PKT0_S9_ifPKiSB_SB_iPKfiiiPfSE_PS4_PT2_iSD_SD_
	.p2align	8
	.type	_Z39paged_attention_ll4mi_QKV_mfma16_kernelI14__hip_bfloat16hLN4vllm18Fp8KVCacheDataTypeE1ES0_Li32ELi64ELi256ELb1ELi14EL8MFMAType0EEvPKT_PKT0_S9_ifPKiSB_SB_iPKfiiiPfSE_PS4_PT2_iSD_SD_,@function
_Z39paged_attention_ll4mi_QKV_mfma16_kernelI14__hip_bfloat16hLN4vllm18Fp8KVCacheDataTypeE1ES0_Li32ELi64ELi256ELb1ELi14EL8MFMAType0EEvPKT_PKT0_S9_ifPKiSB_SB_iPKfiiiPfSE_PS4_PT2_iSD_SD_: ; @_Z39paged_attention_ll4mi_QKV_mfma16_kernelI14__hip_bfloat16hLN4vllm18Fp8KVCacheDataTypeE1ES0_Li32ELi64ELi256ELb1ELi14EL8MFMAType0EEvPKT_PKT0_S9_ifPKiSB_SB_iPKfiiiPfSE_PS4_PT2_iSD_SD_
; %bb.0:
	s_load_b64 s[2:3], s[0:1], 0x30
	s_mov_b32 s30, s13
	s_waitcnt lgkmcnt(0)
	s_cmp_lg_u64 s[2:3], 0
	s_cselect_b32 s8, -1, 0
	s_ashr_i32 s31, s13, 31
	s_cmp_eq_u64 s[2:3], 0
	s_cbranch_scc1 .LBB1771_3
; %bb.1:
	s_lshl_b64 s[4:5], s[30:31], 2
	s_delay_alu instid0(SALU_CYCLE_1) | instskip(SKIP_4) | instid1(SALU_CYCLE_1)
	s_add_u32 s4, s2, s4
	s_addc_u32 s5, s3, s5
	s_load_b64 s[4:5], s[4:5], 0x0
	s_waitcnt lgkmcnt(0)
	s_sub_i32 s4, s5, s4
	s_cmp_eq_u32 s4, 1
	s_cselect_b32 s4, -1, 0
	s_delay_alu instid0(SALU_CYCLE_1)
	s_and_not1_b32 vcc_lo, exec_lo, s4
	s_cbranch_vccz .LBB1771_4
.LBB1771_2:
	s_endpgm
.LBB1771_3:
.LBB1771_4:
	s_load_b64 s[4:5], s[0:1], 0x28
	s_lshl_b64 s[6:7], s[30:31], 2
	s_waitcnt lgkmcnt(0)
	s_add_u32 s4, s4, s6
	s_addc_u32 s5, s5, s7
	s_lshl_b32 s12, s14, 8
	s_load_b32 s24, s[4:5], 0x0
	s_waitcnt lgkmcnt(0)
	s_cmp_ge_i32 s12, s24
	s_cbranch_scc1 .LBB1771_2
; %bb.5:
	s_clause 0x1
	s_load_b128 s[20:23], s[0:1], 0x8
	s_load_b64 s[4:5], s[0:1], 0x20
	s_and_not1_b32 vcc_lo, exec_lo, s8
	s_cbranch_vccnz .LBB1771_7
; %bb.6:
	s_add_u32 s2, s2, s6
	s_addc_u32 s3, s3, s7
	s_load_b32 s3, s[2:3], 0x0
	s_branch .LBB1771_8
.LBB1771_7:
	s_mov_b32 s3, s30
.LBB1771_8:
	s_load_b128 s[16:19], s[0:1], 0x48
	v_and_b32_e32 v65, 15, v0
	v_cmp_gt_u32_e32 vcc_lo, 0xe0, v0
	v_lshrrev_b32_e32 v66, 5, v0
	v_and_b32_e32 v67, 31, v0
	v_and_b32_e32 v75, 1, v0
	v_lshlrev_b32_e32 v1, 3, v65
	v_cmp_gt_u32_e64 s2, 8, v65
	v_bfe_u32 v74, v0, 4, 1
	s_mul_i32 s31, s15, 14
	s_delay_alu instid0(VALU_DEP_3) | instskip(NEXT) | instid1(VALU_DEP_3)
	v_lshlrev_b32_e32 v73, 1, v1
	s_and_b32 s7, vcc_lo, s2
	s_delay_alu instid0(SALU_CYCLE_1)
	s_and_saveexec_b32 s6, s7
	s_cbranch_execz .LBB1771_10
; %bb.9:
	s_load_b64 s[8:9], s[0:1], 0x0
	v_lshl_or_b32 v5, v66, 1, v74
	s_waitcnt lgkmcnt(0)
	s_mul_hi_i32 s11, s3, s16
	s_mul_i32 s10, s3, s16
	v_lshlrev_b32_e32 v6, 10, v65
	s_lshl_b64 s[10:11], s[10:11], 1
	v_add_lshl_u32 v1, v5, s31, 6
	v_lshlrev_b32_e32 v5, 6, v5
	v_lshlrev_b32_e32 v7, 10, v75
	v_and_b32_e32 v6, 0x3800, v6
	s_delay_alu instid0(VALU_DEP_4) | instskip(NEXT) | instid1(VALU_DEP_2)
	v_ashrrev_i32_e32 v2, 31, v1
	v_or3_b32 v5, v6, v7, v5
	s_delay_alu instid0(VALU_DEP_2) | instskip(SKIP_2) | instid1(VALU_DEP_1)
	v_lshlrev_b64 v[1:2], 1, v[1:2]
	s_add_u32 s3, s8, s10
	s_addc_u32 s7, s9, s11
	v_add_co_u32 v1, vcc_lo, s3, v1
	s_delay_alu instid0(VALU_DEP_2) | instskip(NEXT) | instid1(VALU_DEP_2)
	v_add_co_ci_u32_e32 v2, vcc_lo, s7, v2, vcc_lo
	v_add_co_u32 v1, vcc_lo, v1, v73
	s_delay_alu instid0(VALU_DEP_2)
	v_add_co_ci_u32_e32 v2, vcc_lo, 0, v2, vcc_lo
	global_load_b128 v[1:4], v[1:2], off
	s_waitcnt vmcnt(0)
	ds_store_b128 v5, v[1:4]
.LBB1771_10:
	s_or_b32 exec_lo, exec_lo, s6
	v_and_b32_e32 v1, 0xef, v0
	s_waitcnt lgkmcnt(0)
	s_add_i32 s3, s24, 31
	s_clause 0x1
	s_load_b32 s6, s[0:1], 0x38
	s_load_b32 s19, s[0:1], 0x1c
	s_ashr_i32 s7, s3, 31
	v_add_nc_u32_e32 v1, s12, v1
	s_lshr_b32 s7, s7, 27
	s_waitcnt lgkmcnt(0)
	s_add_i32 s3, s3, s7
	s_barrier
	v_ashrrev_i32_e32 v2, 31, v1
	v_or_b32_e32 v3, 16, v1
	s_ashr_i32 s3, s3, 5
	v_cmp_gt_i32_e32 vcc_lo, s24, v1
	s_add_i32 s3, s3, -1
	v_lshrrev_b32_e32 v2, 27, v2
	buffer_gl0_inv
	s_mul_i32 s27, s15, s18
	v_add_nc_u32_e32 v4, v1, v2
	s_mul_i32 s6, s30, s6
	s_delay_alu instid0(SALU_CYCLE_1) | instskip(NEXT) | instid1(VALU_DEP_1)
	s_ashr_i32 s7, s6, 31
	v_ashrrev_i32_e32 v4, 5, v4
	v_add_nc_u32_e32 v2, v3, v2
	s_lshl_b64 s[6:7], s[6:7], 2
	s_delay_alu instid0(SALU_CYCLE_1) | instskip(NEXT) | instid1(VALU_DEP_2)
	s_add_u32 s26, s4, s6
	v_cndmask_b32_e32 v1, s3, v4, vcc_lo
	s_delay_alu instid0(VALU_DEP_2)
	v_ashrrev_i32_e32 v2, 5, v2
	v_cmp_gt_i32_e32 vcc_lo, s24, v3
	s_addc_u32 s25, s5, s7
	s_ashr_i32 s28, s27, 31
	s_add_u32 s4, s20, s27
	s_addc_u32 s5, s21, s28
	v_cndmask_b32_e32 v3, s3, v2, vcc_lo
	v_ashrrev_i32_e32 v2, 31, v1
	s_lshl_b32 s6, s14, 3
	s_delay_alu instid0(SALU_CYCLE_1) | instskip(NEXT) | instid1(VALU_DEP_2)
	s_ashr_i32 s7, s6, 31
	v_ashrrev_i32_e32 v4, 31, v3
	s_delay_alu instid0(VALU_DEP_2) | instskip(SKIP_1) | instid1(SALU_CYCLE_1)
	v_lshlrev_b64 v[1:2], 2, v[1:2]
	s_lshl_b64 s[6:7], s[6:7], 2
	s_add_u32 s6, s26, s6
	s_delay_alu instid0(VALU_DEP_2) | instskip(SKIP_1) | instid1(VALU_DEP_2)
	v_lshlrev_b64 v[3:4], 2, v[3:4]
	s_addc_u32 s7, s25, s7
	v_add_co_u32 v1, vcc_lo, s26, v1
	v_add_co_ci_u32_e32 v2, vcc_lo, s25, v2, vcc_lo
	s_delay_alu instid0(VALU_DEP_3) | instskip(NEXT) | instid1(VALU_DEP_4)
	v_add_co_u32 v3, vcc_lo, s26, v3
	v_add_co_ci_u32_e32 v4, vcc_lo, s25, v4, vcc_lo
	s_clause 0x1
	global_load_b32 v5, v[1:2], off
	global_load_b32 v6, v[3:4], off
	s_or_b32 s8, s12, 32
	s_delay_alu instid0(SALU_CYCLE_1) | instskip(SKIP_2) | instid1(SALU_CYCLE_1)
	s_ashr_i32 s9, s8, 5
	s_cmp_lt_i32 s8, s24
	s_cselect_b32 s8, s9, s3
	s_ashr_i32 s9, s8, 31
	s_delay_alu instid0(SALU_CYCLE_1) | instskip(NEXT) | instid1(SALU_CYCLE_1)
	s_lshl_b64 s[8:9], s[8:9], 2
	s_add_u32 s8, s26, s8
	s_addc_u32 s9, s25, s9
	s_or_b32 s10, s12, 64
	s_delay_alu instid0(SALU_CYCLE_1) | instskip(SKIP_2) | instid1(SALU_CYCLE_1)
	s_ashr_i32 s11, s10, 5
	s_cmp_lt_i32 s10, s24
	s_cselect_b32 s10, s11, s3
	s_ashr_i32 s11, s10, 31
	s_delay_alu instid0(SALU_CYCLE_1) | instskip(NEXT) | instid1(SALU_CYCLE_1)
	s_lshl_b64 s[10:11], s[10:11], 2
	s_add_u32 s10, s26, s10
	s_addc_u32 s11, s25, s11
	s_or_b32 s13, s12, 0x60
	s_delay_alu instid0(SALU_CYCLE_1) | instskip(SKIP_2) | instid1(SALU_CYCLE_1)
	s_ashr_i32 s15, s13, 5
	s_cmp_lt_i32 s13, s24
	s_cselect_b32 s20, s15, s3
	s_ashr_i32 s21, s20, 31
	s_delay_alu instid0(SALU_CYCLE_1) | instskip(NEXT) | instid1(SALU_CYCLE_1)
	s_lshl_b64 s[20:21], s[20:21], 2
	s_add_u32 s34, s26, s20
	s_addc_u32 s35, s25, s21
	s_or_b32 s13, s12, 0x80
	s_delay_alu instid0(SALU_CYCLE_1) | instskip(SKIP_2) | instid1(SALU_CYCLE_1)
	s_ashr_i32 s15, s13, 5
	s_cmp_lt_i32 s13, s24
	s_cselect_b32 s20, s15, s3
	s_ashr_i32 s21, s20, 31
	s_delay_alu instid0(SALU_CYCLE_1) | instskip(NEXT) | instid1(SALU_CYCLE_1)
	s_lshl_b64 s[20:21], s[20:21], 2
	s_add_u32 s36, s26, s20
	s_addc_u32 s37, s25, s21
	s_or_b32 s13, s12, 0xa0
	s_delay_alu instid0(SALU_CYCLE_1) | instskip(SKIP_2) | instid1(SALU_CYCLE_1)
	s_ashr_i32 s15, s13, 5
	s_cmp_lt_i32 s13, s24
	s_cselect_b32 s20, s15, s3
	s_ashr_i32 s21, s20, 31
	s_delay_alu instid0(SALU_CYCLE_1) | instskip(NEXT) | instid1(SALU_CYCLE_1)
	s_lshl_b64 s[20:21], s[20:21], 2
	s_add_u32 s38, s26, s20
	s_addc_u32 s39, s25, s21
	s_clause 0x5
	s_load_b32 s21, s[6:7], 0x0
	s_load_b32 s13, s[8:9], 0x0
	;; [unrolled: 1-line block ×6, first 2 shown]
	s_or_b32 s8, s12, 0xc0
	s_delay_alu instid0(SALU_CYCLE_1) | instskip(SKIP_2) | instid1(SALU_CYCLE_1)
	s_ashr_i32 s9, s8, 5
	s_cmp_lt_i32 s8, s24
	s_cselect_b32 s34, s9, s3
	s_ashr_i32 s35, s34, 31
	s_delay_alu instid0(SALU_CYCLE_1) | instskip(NEXT) | instid1(SALU_CYCLE_1)
	s_lshl_b64 s[34:35], s[34:35], 2
	s_add_u32 s34, s26, s34
	s_addc_u32 s35, s25, s35
	s_or_b32 s29, s12, 0xe0
	s_delay_alu instid0(SALU_CYCLE_1)
	s_ashr_i32 s33, s29, 5
	s_cmp_lt_i32 s29, s24
	s_waitcnt vmcnt(1)
	v_mad_i64_i32 v[1:2], null, v5, s17, s[4:5]
	s_waitcnt vmcnt(0)
	v_mad_i64_i32 v[3:4], null, v6, s17, s[4:5]
	s_mov_b32 s4, 0
	s_delay_alu instid0(SALU_CYCLE_1)
	s_mov_b32 s5, s4
	s_mov_b32 s6, s4
	;; [unrolled: 1-line block ×7, first 2 shown]
	v_lshlrev_b32_e32 v5, 4, v65
	v_dual_mov_b32 v107, s11 :: v_dual_mov_b32 v102, s6
	v_mov_b32_e32 v100, s4
	v_mov_b32_e32 v106, s10
	s_delay_alu instid0(VALU_DEP_4)
	v_add_co_u32 v1, vcc_lo, v1, v5
	v_add_co_ci_u32_e32 v2, vcc_lo, 0, v2, vcc_lo
	v_add_co_u32 v3, vcc_lo, v3, v5
	v_add_co_ci_u32_e32 v4, vcc_lo, 0, v4, vcc_lo
	s_clause 0x7
	global_load_b128 v[49:52], v[1:2], off
	global_load_b128 v[53:56], v[1:2], off offset:512
	global_load_b128 v[76:79], v[3:4], off offset:256
	;; [unrolled: 1-line block ×7, first 2 shown]
	v_add_nc_u32_e32 v1, -14, v65
	v_cmp_gt_u32_e32 vcc_lo, 14, v65
	v_dual_mov_b32 v104, s8 :: v_dual_mov_b32 v103, s7
	v_dual_mov_b32 v101, s5 :: v_dual_lshlrev_b32 v2, 5, v65
	s_delay_alu instid0(VALU_DEP_4)
	v_cndmask_b32_e32 v1, v1, v65, vcc_lo
	v_mov_b32_e32 v105, s9
	s_cselect_b32 s4, s33, s3
	s_load_b32 s3, s[34:35], 0x0
	s_ashr_i32 s5, s4, 31
	v_lshlrev_b32_e32 v70, 6, v1
	s_lshl_b64 s[4:5], s[4:5], 2
	v_lshl_or_b32 v2, v66, 9, v2
	s_add_u32 s4, s26, s4
	s_addc_u32 s5, s25, s5
	ds_load_b128 v[108:111], v70
	ds_load_b128 v[112:115], v70 offset:1024
	s_load_b32 s4, s[4:5], 0x0
	s_add_u32 s6, s22, s27
	s_addc_u32 s7, s23, s28
	v_add_co_u32 v9, s6, s6, v2
	s_delay_alu instid0(VALU_DEP_1) | instskip(SKIP_1) | instid1(VALU_DEP_1)
	v_add_co_ci_u32_e64 v10, null, s7, 0, s6
	s_waitcnt lgkmcnt(0)
	v_mad_i64_i32 v[1:2], null, s21, s17, v[9:10]
	v_mad_i64_i32 v[3:4], null, s13, s17, v[9:10]
	;; [unrolled: 1-line block ×7, first 2 shown]
	s_clause 0x9
	global_load_b128 v[57:60], v[1:2], off
	global_load_b128 v[61:64], v[1:2], off offset:16
	global_load_b128 v[41:44], v[3:4], off
	global_load_b128 v[45:48], v[3:4], off offset:16
	global_load_b128 v[33:36], v[5:6], off
	global_load_b128 v[37:40], v[5:6], off offset:16
	global_load_b128 v[25:28], v[7:8], off
	global_load_b128 v[29:32], v[7:8], off offset:16
	global_load_b128 v[1:4], v[11:12], off
	global_load_b128 v[5:8], v[11:12], off offset:16
	v_mad_i64_i32 v[68:69], null, s4, s17, v[9:10]
	s_clause 0x3
	global_load_b128 v[9:12], v[13:14], off
	global_load_b128 v[13:16], v[13:14], off offset:16
	global_load_b128 v[17:20], v[21:22], off
	global_load_b128 v[21:24], v[21:22], off offset:16
	s_waitcnt vmcnt(20)
	v_wmma_f32_16x16x16_bf16 v[116:123], v[49:56], v[108:115], v[100:107]
	s_clause 0x1
	global_load_b128 v[49:52], v[68:69], off
	global_load_b128 v[53:56], v[68:69], off offset:16
	v_and_b32_e32 v68, 0xe0, v0
	v_mbcnt_lo_u32_b32 v69, -1, 0
	s_delay_alu instid0(VALU_DEP_2)
	v_add_nc_u32_e32 v68, s12, v68
	s_waitcnt vmcnt(20)
	v_wmma_f32_16x16x16_bf16 v[100:107], v[76:83], v[108:115], v[100:107]
	ds_load_b128 v[76:79], v70 offset:2048
	ds_load_b128 v[80:83], v70 offset:3072
	v_xor_b32_e32 v70, 16, v69
	s_waitcnt vmcnt(0) lgkmcnt(0)
	v_or_b32_e32 v68, v68, v74
	s_barrier
	buffer_gl0_inv
	v_cmp_gt_i32_e32 vcc_lo, 32, v70
	v_or_b32_e32 v71, 4, v68
	v_or_b32_e32 v72, 6, v68
	v_cmp_gt_i32_e64 s3, s24, v68
	v_or_b32_e32 v108, 8, v68
	v_or_b32_e32 v109, 10, v68
	v_cmp_gt_i32_e64 s4, s24, v71
	v_cmp_gt_i32_e64 s5, s24, v72
	s_delay_alu instid0(VALU_DEP_4) | instskip(NEXT) | instid1(VALU_DEP_4)
	v_cmp_gt_i32_e64 s6, s24, v108
	v_cmp_gt_i32_e64 s7, s24, v109
	v_wmma_f32_16x16x16_bf16 v[116:123], v[84:91], v[76:83], v[116:123]
	v_cndmask_b32_e32 v69, v69, v70, vcc_lo
	v_or_b32_e32 v70, 2, v68
	v_wmma_f32_16x16x16_bf16 v[100:107], v[92:99], v[76:83], v[100:107]
	v_or_b32_e32 v89, 22, v68
	v_dual_mul_f32 v80, s19, v121 :: v_dual_mul_f32 v81, s19, v120
	v_dual_mul_f32 v92, s19, v117 :: v_dual_mul_f32 v93, s19, v116
	s_delay_alu instid0(VALU_DEP_4)
	v_mul_f32_e32 v96, s19, v105
	v_cmp_gt_i32_e32 vcc_lo, s24, v70
	v_dual_mul_f32 v79, s19, v122 :: v_dual_mul_f32 v82, s19, v119
	v_dual_mul_f32 v83, s19, v118 :: v_dual_mul_f32 v94, s19, v107
	v_cndmask_b32_e64 v93, 0xff7fffff, v93, s3
	v_cndmask_b32_e32 v92, 0xff7fffff, v92, vcc_lo
	v_or_b32_e32 v84, 12, v68
	v_or_b32_e32 v85, 14, v68
	v_cndmask_b32_e64 v71, 0xff7fffff, v83, s4
	v_cndmask_b32_e64 v72, 0xff7fffff, v82, s5
	v_cmp_gt_i32_e64 s13, s24, v89
	v_lshlrev_b32_e32 v89, 2, v69
	v_max3_f32 v82, v93, 0xff7fffff, v92
	v_or_b32_e32 v86, 16, v68
	v_or_b32_e32 v87, 18, v68
	v_mul_f32_e32 v78, s19, v123
	v_cndmask_b32_e64 v81, 0xff7fffff, v81, s6
	v_cndmask_b32_e64 v80, 0xff7fffff, v80, s7
	v_max3_f32 v71, v82, v71, v72
	v_cmp_gt_i32_e64 s8, s24, v84
	v_cmp_gt_i32_e64 s9, s24, v85
	v_or_b32_e32 v88, 20, v68
	v_or_b32_e32 v90, 24, v68
	;; [unrolled: 1-line block ×5, first 2 shown]
	v_dual_mul_f32 v97, s19, v104 :: v_dual_mul_f32 v70, s19, v101
	v_dual_mul_f32 v99, s19, v102 :: v_dual_mul_f32 v68, s19, v100
	v_cndmask_b32_e64 v72, 0xff7fffff, v79, s8
	v_cndmask_b32_e64 v78, 0xff7fffff, v78, s9
	v_max3_f32 v71, v71, v81, v80
	v_cmp_gt_i32_e64 s10, s24, v86
	v_cmp_gt_i32_e64 s11, s24, v87
	v_dual_mul_f32 v95, s19, v106 :: v_dual_mul_f32 v98, s19, v103
	s_delay_alu instid0(VALU_DEP_4) | instskip(NEXT) | instid1(VALU_DEP_4)
	v_max3_f32 v71, v71, v72, v78
	v_cndmask_b32_e64 v68, 0xff7fffff, v68, s10
	s_delay_alu instid0(VALU_DEP_4)
	v_cndmask_b32_e64 v70, 0xff7fffff, v70, s11
	v_cmp_gt_i32_e64 s12, s24, v88
	v_cndmask_b32_e64 v78, 0xff7fffff, v98, s13
	v_cmp_gt_i32_e64 s15, s24, v90
	v_cmp_gt_i32_e64 s16, s24, v91
	v_max3_f32 v68, v71, v68, v70
	v_cndmask_b32_e64 v72, 0xff7fffff, v99, s12
	v_cmp_gt_i32_e64 s17, s24, v76
	v_cndmask_b32_e64 v70, 0xff7fffff, v97, s15
	v_cndmask_b32_e64 v71, 0xff7fffff, v96, s16
	v_cmp_gt_i32_e64 s18, s24, v77
	v_max3_f32 v68, v68, v72, v78
	v_cndmask_b32_e64 v72, 0xff7fffff, v95, s17
	s_delay_alu instid0(VALU_DEP_3) | instskip(NEXT) | instid1(VALU_DEP_3)
	v_cndmask_b32_e64 v76, 0xff7fffff, v94, s18
	v_max3_f32 v68, v68, v70, v71
	s_delay_alu instid0(VALU_DEP_1) | instskip(SKIP_3) | instid1(VALU_DEP_1)
	v_max3_f32 v68, v68, v72, v76
	ds_bpermute_b32 v69, v89, v68
	s_waitcnt lgkmcnt(0)
	v_max_f32_e32 v69, v69, v69
	v_max_f32_e32 v68, v68, v69
	s_delay_alu instid0(VALU_DEP_1) | instskip(NEXT) | instid1(VALU_DEP_1)
	v_fma_f32 v71, s19, v118, -v68
	v_mul_f32_e32 v71, 0x3fb8aa3b, v71
	v_fma_f32 v70, s19, v117, -v68
	v_fma_f32 v69, s19, v116, -v68
	;; [unrolled: 1-line block ×5, first 2 shown]
	s_delay_alu instid0(VALU_DEP_4) | instskip(SKIP_1) | instid1(VALU_DEP_3)
	v_dual_mul_f32 v70, 0x3fb8aa3b, v70 :: v_dual_mul_f32 v69, 0x3fb8aa3b, v69
	v_exp_f32_e32 v71, v71
	v_mul_f32_e32 v72, 0x3fb8aa3b, v72
	v_fma_f32 v81, s19, v105, -v68
	s_delay_alu instid0(VALU_DEP_3)
	v_exp_f32_e32 v70, v70
	v_mul_f32_e32 v77, 0x3fb8aa3b, v76
	v_exp_f32_e32 v69, v69
	v_exp_f32_e32 v72, v72
	v_mul_f32_e32 v81, 0x3fb8aa3b, v81
	v_cndmask_b32_e64 v83, 0, v71, s4
	v_fma_f32 v71, s19, v123, -v68
	s_delay_alu instid0(VALU_DEP_3) | instskip(SKIP_4) | instid1(TRANS32_DEP_3)
	v_exp_f32_e32 v81, v81
	v_cndmask_b32_e32 v76, 0, v70, vcc_lo
	v_exp_f32_e32 v77, v77
	v_cndmask_b32_e64 v80, 0, v69, s3
	v_fma_f32 v69, s19, v121, -v68
	v_cndmask_b32_e64 v85, 0, v72, s5
	v_mul_f32_e32 v71, 0x3fb8aa3b, v71
	v_fma_f32 v72, s19, v100, -v68
	s_delay_alu instid0(VALU_DEP_4) | instskip(SKIP_1) | instid1(VALU_DEP_3)
	v_dual_add_f32 v70, 0, v80 :: v_dual_mul_f32 v69, 0x3fb8aa3b, v69
	s_mov_b32 s3, exec_lo
	v_exp_f32_e32 v71, v71
	s_delay_alu instid0(TRANS32_DEP_2) | instskip(SKIP_4) | instid1(VALU_DEP_3)
	v_cndmask_b32_e64 v86, 0, v77, s6
	v_fma_f32 v77, s19, v101, -v68
	v_mul_f32_e32 v78, 0x3fb8aa3b, v78
	v_add_f32_e32 v70, v70, v76
	v_exp_f32_e32 v69, v69
	v_mul_f32_e32 v77, 0x3fb8aa3b, v77
	s_delay_alu instid0(VALU_DEP_3) | instskip(NEXT) | instid1(TRANS32_DEP_3)
	v_exp_f32_e32 v78, v78
	v_cndmask_b32_e64 v88, 0, v71, s9
	v_fma_f32 v71, s19, v104, -v68
	s_delay_alu instid0(VALU_DEP_3) | instskip(NEXT) | instid1(TRANS32_DEP_3)
	v_exp_f32_e32 v77, v77
	v_cndmask_b32_e64 v87, 0, v69, s7
	s_delay_alu instid0(VALU_DEP_2)
	v_mul_f32_e32 v71, 0x3fb8aa3b, v71
	s_waitcnt_depctr 0xfff
	v_cndmask_b32_e64 v84, 0, v78, s8
	v_add_f32_e32 v70, v70, v83
	v_fma_f32 v78, s19, v103, -v68
	v_exp_f32_e32 v82, v71
	s_delay_alu instid0(VALU_DEP_2) | instskip(SKIP_1) | instid1(VALU_DEP_3)
	v_add_f32_e32 v70, v70, v85
	v_mul_f32_e32 v72, 0x3fb8aa3b, v72
	v_mul_f32_e32 v78, 0x3fb8aa3b, v78
	s_delay_alu instid0(VALU_DEP_3) | instskip(SKIP_1) | instid1(VALU_DEP_4)
	v_add_f32_e32 v69, v70, v86
	v_fma_f32 v70, s19, v102, -v68
	v_exp_f32_e32 v72, v72
	s_delay_alu instid0(VALU_DEP_3) | instskip(NEXT) | instid1(VALU_DEP_1)
	v_exp_f32_e32 v78, v78
	v_dual_add_f32 v69, v69, v87 :: v_dual_mul_f32 v70, 0x3fb8aa3b, v70
	s_delay_alu instid0(VALU_DEP_1) | instskip(NEXT) | instid1(VALU_DEP_2)
	v_add_f32_e32 v69, v69, v84
	v_exp_f32_e32 v79, v70
	s_delay_alu instid0(TRANS32_DEP_3) | instskip(NEXT) | instid1(VALU_DEP_2)
	v_cndmask_b32_e64 v70, 0, v72, s10
	v_add_f32_e32 v72, v69, v88
	v_cndmask_b32_e64 v69, 0, v77, s11
	v_fma_f32 v77, s19, v106, -v68
	s_waitcnt_depctr 0xfff
	v_cndmask_b32_e64 v71, 0, v79, s12
	v_dual_mul_f32 v77, 0x3fb8aa3b, v77 :: v_dual_add_f32 v72, v72, v70
	s_delay_alu instid0(VALU_DEP_1) | instskip(NEXT) | instid1(VALU_DEP_1)
	v_exp_f32_e32 v90, v77
	v_add_f32_e32 v79, v72, v69
	v_cndmask_b32_e64 v72, 0, v78, s13
	v_cndmask_b32_e64 v77, 0, v82, s15
	s_delay_alu instid0(VALU_DEP_3) | instskip(SKIP_1) | instid1(VALU_DEP_1)
	v_add_f32_e32 v78, v79, v71
	v_fma_f32 v79, s19, v107, -v68
	v_dual_add_f32 v82, v78, v72 :: v_dual_mul_f32 v79, 0x3fb8aa3b, v79
	v_cndmask_b32_e64 v78, 0, v81, s16
	s_delay_alu instid0(VALU_DEP_2) | instskip(NEXT) | instid1(VALU_DEP_3)
	v_add_f32_e32 v81, v82, v77
	v_exp_f32_e32 v82, v79
	v_cndmask_b32_e64 v79, 0, v90, s17
	s_delay_alu instid0(VALU_DEP_2) | instskip(NEXT) | instid1(VALU_DEP_1)
	v_add_f32_e32 v81, v81, v78
	v_add_f32_e32 v90, v81, v79
	s_waitcnt_depctr 0xfff
	v_cndmask_b32_e64 v81, 0, v82, s18
	s_delay_alu instid0(VALU_DEP_1)
	v_add_f32_e32 v82, v90, v81
	ds_bpermute_b32 v89, v89, v82
	v_cmpx_gt_u32_e32 16, v67
	s_cbranch_execz .LBB1771_12
; %bb.11:
	v_mul_u32_u24_e32 v67, 0x44, v66
	s_delay_alu instid0(VALU_DEP_1) | instskip(SKIP_1) | instid1(VALU_DEP_1)
	v_lshl_add_u32 v67, v65, 2, v67
	s_waitcnt lgkmcnt(0)
	v_dual_add_f32 v82, v82, v89 :: v_dual_add_nc_u32 v67, 0x4000, v67
	ds_store_2addr_b32 v67, v68, v82 offset1:136
.LBB1771_12:
	s_or_b32 exec_lo, exec_lo, s3
	v_lshlrev_b32_e32 v67, 2, v65
	s_waitcnt lgkmcnt(0)
	s_barrier
	buffer_gl0_inv
	v_cmp_eq_u32_e32 vcc_lo, 1, v66
	v_add_nc_u32_e32 v82, 0x4000, v67
	v_cmp_eq_u32_e64 s3, 2, v66
	v_cmp_eq_u32_e64 s5, 7, v66
	ds_load_2addr_b32 v[89:90], v82 offset1:17
	ds_load_2addr_b32 v[91:92], v82 offset0:34 offset1:51
	ds_load_2addr_b32 v[93:94], v82 offset0:68 offset1:85
	;; [unrolled: 1-line block ×4, first 2 shown]
	s_waitcnt lgkmcnt(4)
	v_max3_f32 v67, v89, 0xff7fffff, v90
	s_waitcnt lgkmcnt(3)
	s_delay_alu instid0(VALU_DEP_1) | instskip(SKIP_1) | instid1(VALU_DEP_1)
	v_max3_f32 v67, v67, v91, v92
	s_waitcnt lgkmcnt(2)
	v_max3_f32 v67, v67, v93, v94
	s_waitcnt lgkmcnt(1)
	s_delay_alu instid0(VALU_DEP_1) | instskip(NEXT) | instid1(VALU_DEP_1)
	v_max3_f32 v67, v67, v95, v96
	v_sub_f32_e32 v93, v93, v67
	s_delay_alu instid0(VALU_DEP_1) | instskip(NEXT) | instid1(VALU_DEP_1)
	v_dual_sub_f32 v68, v89, v67 :: v_dual_mul_f32 v103, 0x3fb8aa3b, v93
	v_mul_f32_e32 v68, 0x3fb8aa3b, v68
	s_delay_alu instid0(VALU_DEP_1)
	v_exp_f32_e32 v100, v68
	v_sub_f32_e32 v68, v92, v67
	v_sub_f32_e32 v99, v90, v67
	ds_load_2addr_b32 v[89:90], v82 offset0:170 offset1:187
	v_dual_mul_f32 v102, 0x3fb8aa3b, v68 :: v_dual_mul_f32 v99, 0x3fb8aa3b, v99
	s_waitcnt lgkmcnt(1)
	v_fma_f32 v68, v100, v97, 0
	s_delay_alu instid0(VALU_DEP_2) | instskip(NEXT) | instid1(VALU_DEP_2)
	v_exp_f32_e32 v102, v102
	v_exp_f32_e32 v99, v99
	s_waitcnt_depctr 0xfff
	v_fmac_f32_e32 v68, v99, v98
	v_sub_f32_e32 v91, v91, v67
	s_delay_alu instid0(VALU_DEP_1)
	v_mul_f32_e32 v101, 0x3fb8aa3b, v91
	ds_load_2addr_b32 v[91:92], v82 offset0:204 offset1:221
	v_sub_f32_e32 v97, v94, v67
	ds_load_2addr_b32 v[93:94], v82 offset0:238 offset1:255
	s_waitcnt lgkmcnt(0)
	v_exp_f32_e32 v101, v101
	s_barrier
	buffer_gl0_inv
	v_dual_fmac_f32 v68, v101, v89 :: v_dual_sub_f32 v89, v96, v67
	v_dual_sub_f32 v82, v95, v67 :: v_dual_mul_f32 v95, 0x3fb8aa3b, v97
	v_exp_f32_e32 v97, v103
	s_delay_alu instid0(VALU_DEP_2) | instskip(NEXT) | instid1(VALU_DEP_2)
	v_dual_fmac_f32 v68, v102, v90 :: v_dual_mul_f32 v89, 0x3fb8aa3b, v89
	v_mul_f32_e32 v82, 0x3fb8aa3b, v82
	s_delay_alu instid0(VALU_DEP_3) | instskip(NEXT) | instid1(VALU_DEP_2)
	v_exp_f32_e32 v95, v95
	v_exp_f32_e32 v89, v89
	s_delay_alu instid0(VALU_DEP_1)
	v_exp_f32_e32 v82, v82
	v_fmac_f32_e32 v68, v97, v91
	s_delay_alu instid0(TRANS32_DEP_3) | instid1(VALU_DEP_1)
	v_fmac_f32_e32 v68, v95, v92
	s_waitcnt_depctr 0xfff
	v_fmac_f32_e32 v68, v82, v93
	s_delay_alu instid0(VALU_DEP_1) | instskip(NEXT) | instid1(VALU_DEP_1)
	v_fmac_f32_e32 v68, v89, v94
	v_add_f32_e32 v90, 0x358637bd, v68
	s_delay_alu instid0(VALU_DEP_1) | instskip(NEXT) | instid1(VALU_DEP_1)
	v_div_scale_f32 v91, null, v90, v90, 1.0
	v_rcp_f32_e32 v92, v91
	s_waitcnt_depctr 0xfff
	v_fma_f32 v93, -v91, v92, 1.0
	s_delay_alu instid0(VALU_DEP_1) | instskip(SKIP_1) | instid1(VALU_DEP_2)
	v_dual_fmac_f32 v92, v93, v92 :: v_dual_cndmask_b32 v93, v100, v99
	v_cmp_eq_u32_e32 vcc_lo, 3, v66
	v_cndmask_b32_e64 v93, v93, v101, s3
	v_cmp_eq_u32_e64 s3, 4, v66
	s_delay_alu instid0(VALU_DEP_2) | instskip(SKIP_1) | instid1(VALU_DEP_2)
	v_cndmask_b32_e32 v93, v93, v102, vcc_lo
	v_cmp_eq_u32_e32 vcc_lo, 5, v66
	v_cndmask_b32_e64 v93, v93, v97, s3
	v_cmp_eq_u32_e64 s3, 6, v66
	s_delay_alu instid0(VALU_DEP_2) | instskip(SKIP_1) | instid1(VALU_DEP_1)
	v_cndmask_b32_e32 v93, v93, v95, vcc_lo
	v_div_scale_f32 v94, s4, 1.0, v90, 1.0
	s_mov_b32 vcc_lo, s4
	s_delay_alu instid0(VALU_DEP_2) | instskip(NEXT) | instid1(VALU_DEP_2)
	v_cndmask_b32_e64 v82, v93, v82, s3
	v_mul_f32_e32 v96, v94, v92
	s_mov_b32 s3, exec_lo
	s_delay_alu instid0(VALU_DEP_2) | instskip(NEXT) | instid1(VALU_DEP_2)
	v_cndmask_b32_e64 v82, v82, v89, s5
	v_fma_f32 v98, -v91, v96, v94
	s_delay_alu instid0(VALU_DEP_1) | instskip(NEXT) | instid1(VALU_DEP_1)
	v_fmac_f32_e32 v96, v98, v92
	v_fma_f32 v91, -v91, v96, v94
	s_delay_alu instid0(VALU_DEP_1) | instskip(NEXT) | instid1(VALU_DEP_1)
	v_div_fmas_f32 v91, v91, v92, v96
	v_div_fixup_f32 v90, v91, v90, 1.0
	s_delay_alu instid0(VALU_DEP_1) | instskip(NEXT) | instid1(VALU_DEP_1)
	v_mul_f32_e32 v82, v82, v90
	v_mul_f32_e32 v87, v82, v87
	;; [unrolled: 1-line block ×7, first 2 shown]
	v_dual_mul_f32 v86, v82, v83 :: v_dual_and_b32 v91, 0x7f800000, v90
	v_mul_f32_e32 v85, v82, v76
                                        ; implicit-def: $vgpr76
	s_delay_alu instid0(VALU_DEP_2)
	v_cmpx_ne_u32_e32 0x7f800000, v91
	s_xor_b32 s3, exec_lo, s3
; %bb.13:
	v_bfe_u32 v76, v90, 16, 1
	s_delay_alu instid0(VALU_DEP_1)
	v_add3_u32 v76, v90, v76, 0x7fff
                                        ; implicit-def: $vgpr90
; %bb.14:
	s_and_not1_saveexec_b32 s3, s3
; %bb.15:
	v_and_b32_e32 v76, 0xffff, v90
	v_or_b32_e32 v83, 0x10000, v90
	s_delay_alu instid0(VALU_DEP_2) | instskip(NEXT) | instid1(VALU_DEP_2)
	v_cmp_eq_u32_e32 vcc_lo, 0, v76
	v_cndmask_b32_e32 v76, v83, v90, vcc_lo
; %bb.16:
	s_or_b32 exec_lo, exec_lo, s3
	v_and_b32_e32 v83, 0x7f800000, v85
	s_delay_alu instid0(VALU_DEP_1) | instskip(SKIP_1) | instid1(SALU_CYCLE_1)
	v_cmp_ne_u32_e32 vcc_lo, 0x7f800000, v83
                                        ; implicit-def: $vgpr83
	s_and_saveexec_b32 s3, vcc_lo
	s_xor_b32 s3, exec_lo, s3
; %bb.17:
	v_bfe_u32 v83, v85, 16, 1
	s_delay_alu instid0(VALU_DEP_1)
	v_add3_u32 v83, v85, v83, 0x7fff
                                        ; implicit-def: $vgpr85
; %bb.18:
	s_and_not1_saveexec_b32 s3, s3
; %bb.19:
	v_and_b32_e32 v83, 0xffff, v85
	v_or_b32_e32 v90, 0x10000, v85
	s_delay_alu instid0(VALU_DEP_2) | instskip(NEXT) | instid1(VALU_DEP_2)
	v_cmp_eq_u32_e32 vcc_lo, 0, v83
	v_cndmask_b32_e32 v83, v90, v85, vcc_lo
; %bb.20:
	s_or_b32 exec_lo, exec_lo, s3
	v_and_b32_e32 v85, 0x7f800000, v86
	s_delay_alu instid0(VALU_DEP_1) | instskip(SKIP_1) | instid1(SALU_CYCLE_1)
	v_cmp_ne_u32_e32 vcc_lo, 0x7f800000, v85
                                        ; implicit-def: $vgpr85
	s_and_saveexec_b32 s3, vcc_lo
	s_xor_b32 s3, exec_lo, s3
; %bb.21:
	v_bfe_u32 v85, v86, 16, 1
	s_delay_alu instid0(VALU_DEP_1)
	v_add3_u32 v85, v86, v85, 0x7fff
                                        ; implicit-def: $vgpr86
; %bb.22:
	s_and_not1_saveexec_b32 s3, s3
; %bb.23:
	v_and_b32_e32 v85, 0xffff, v86
	v_or_b32_e32 v90, 0x10000, v86
	s_delay_alu instid0(VALU_DEP_2) | instskip(NEXT) | instid1(VALU_DEP_2)
	v_cmp_eq_u32_e32 vcc_lo, 0, v85
	v_cndmask_b32_e32 v85, v90, v86, vcc_lo
; %bb.24:
	s_or_b32 exec_lo, exec_lo, s3
	v_and_b32_e32 v86, 0x7f800000, v89
	s_delay_alu instid0(VALU_DEP_1) | instskip(SKIP_1) | instid1(SALU_CYCLE_1)
	v_cmp_ne_u32_e32 vcc_lo, 0x7f800000, v86
                                        ; implicit-def: $vgpr86
	s_and_saveexec_b32 s3, vcc_lo
	s_xor_b32 s3, exec_lo, s3
; %bb.25:
	v_bfe_u32 v86, v89, 16, 1
	s_delay_alu instid0(VALU_DEP_1)
	v_add3_u32 v86, v89, v86, 0x7fff
                                        ; implicit-def: $vgpr89
; %bb.26:
	s_and_not1_saveexec_b32 s3, s3
; %bb.27:
	v_and_b32_e32 v86, 0xffff, v89
	v_or_b32_e32 v90, 0x10000, v89
	s_delay_alu instid0(VALU_DEP_2) | instskip(NEXT) | instid1(VALU_DEP_2)
	v_cmp_eq_u32_e32 vcc_lo, 0, v86
	v_cndmask_b32_e32 v86, v90, v89, vcc_lo
; %bb.28:
	s_or_b32 exec_lo, exec_lo, s3
	v_and_b32_e32 v89, 0x7f800000, v88
	s_delay_alu instid0(VALU_DEP_1) | instskip(SKIP_1) | instid1(SALU_CYCLE_1)
	v_cmp_ne_u32_e32 vcc_lo, 0x7f800000, v89
                                        ; implicit-def: $vgpr89
	s_and_saveexec_b32 s3, vcc_lo
	s_xor_b32 s3, exec_lo, s3
; %bb.29:
	v_bfe_u32 v89, v88, 16, 1
	s_delay_alu instid0(VALU_DEP_1)
	v_add3_u32 v89, v88, v89, 0x7fff
                                        ; implicit-def: $vgpr88
; %bb.30:
	s_and_not1_saveexec_b32 s3, s3
; %bb.31:
	v_and_b32_e32 v89, 0xffff, v88
	v_or_b32_e32 v90, 0x10000, v88
	s_delay_alu instid0(VALU_DEP_2) | instskip(NEXT) | instid1(VALU_DEP_2)
	v_cmp_eq_u32_e32 vcc_lo, 0, v89
	v_cndmask_b32_e32 v89, v90, v88, vcc_lo
; %bb.32:
	s_or_b32 exec_lo, exec_lo, s3
	v_and_b32_e32 v88, 0x7f800000, v87
	s_delay_alu instid0(VALU_DEP_1) | instskip(SKIP_1) | instid1(SALU_CYCLE_1)
	v_cmp_ne_u32_e32 vcc_lo, 0x7f800000, v88
                                        ; implicit-def: $vgpr88
	s_and_saveexec_b32 s3, vcc_lo
	s_xor_b32 s3, exec_lo, s3
; %bb.33:
	v_bfe_u32 v88, v87, 16, 1
	s_delay_alu instid0(VALU_DEP_1)
	v_add3_u32 v88, v87, v88, 0x7fff
                                        ; implicit-def: $vgpr87
; %bb.34:
	s_and_not1_saveexec_b32 s3, s3
; %bb.35:
	v_and_b32_e32 v88, 0xffff, v87
	v_or_b32_e32 v90, 0x10000, v87
	s_delay_alu instid0(VALU_DEP_2) | instskip(NEXT) | instid1(VALU_DEP_2)
	v_cmp_eq_u32_e32 vcc_lo, 0, v88
	v_cndmask_b32_e32 v88, v90, v87, vcc_lo
; %bb.36:
	s_or_b32 exec_lo, exec_lo, s3
	v_and_b32_e32 v87, 0x7f800000, v84
	s_delay_alu instid0(VALU_DEP_1) | instskip(SKIP_1) | instid1(SALU_CYCLE_1)
	v_cmp_ne_u32_e32 vcc_lo, 0x7f800000, v87
                                        ; implicit-def: $vgpr87
	s_and_saveexec_b32 s3, vcc_lo
	s_xor_b32 s3, exec_lo, s3
; %bb.37:
	v_bfe_u32 v87, v84, 16, 1
	s_delay_alu instid0(VALU_DEP_1)
	v_add3_u32 v87, v84, v87, 0x7fff
                                        ; implicit-def: $vgpr84
; %bb.38:
	s_and_not1_saveexec_b32 s3, s3
; %bb.39:
	v_and_b32_e32 v87, 0xffff, v84
	v_or_b32_e32 v90, 0x10000, v84
	s_delay_alu instid0(VALU_DEP_2) | instskip(NEXT) | instid1(VALU_DEP_2)
	v_cmp_eq_u32_e32 vcc_lo, 0, v87
	v_cndmask_b32_e32 v87, v90, v84, vcc_lo
; %bb.40:
	s_or_b32 exec_lo, exec_lo, s3
	v_and_b32_e32 v84, 0x7f800000, v80
	s_delay_alu instid0(VALU_DEP_1) | instskip(SKIP_1) | instid1(SALU_CYCLE_1)
	v_cmp_ne_u32_e32 vcc_lo, 0x7f800000, v84
                                        ; implicit-def: $vgpr84
	s_and_saveexec_b32 s3, vcc_lo
	s_xor_b32 s3, exec_lo, s3
; %bb.41:
	v_bfe_u32 v84, v80, 16, 1
	s_delay_alu instid0(VALU_DEP_1)
	v_add3_u32 v84, v80, v84, 0x7fff
                                        ; implicit-def: $vgpr80
; %bb.42:
	s_and_not1_saveexec_b32 s3, s3
; %bb.43:
	v_and_b32_e32 v84, 0xffff, v80
	v_or_b32_e32 v90, 0x10000, v80
	s_delay_alu instid0(VALU_DEP_2) | instskip(NEXT) | instid1(VALU_DEP_2)
	v_cmp_eq_u32_e32 vcc_lo, 0, v84
	v_cndmask_b32_e32 v84, v90, v80, vcc_lo
; %bb.44:
	s_or_b32 exec_lo, exec_lo, s3
	s_load_b64 s[34:35], s[0:1], 0x94
	v_lshlrev_b32_e32 v91, 4, v74
	s_delay_alu instid0(VALU_DEP_2)
	v_perm_b32 v90, v84, v87, 0x7060302
	v_dual_mul_f32 v79, v82, v79 :: v_dual_lshlrev_b32 v80, 6, v65
	v_dual_mul_f32 v77, v82, v77 :: v_dual_lshlrev_b32 v92, 11, v66
	v_mul_f32_e32 v84, v82, v70
	v_perm_b32 v89, v88, v89, 0x7060302
	v_perm_b32 v88, v86, v85, 0x7060302
	v_perm_b32 v87, v83, v76, 0x7060302
	v_mul_f32_e32 v70, v82, v81
	v_or3_b32 v76, v91, v92, v80
	v_dual_mul_f32 v78, v82, v78 :: v_dual_and_b32 v85, 0x7f800000, v84
	v_mul_f32_e32 v83, v82, v72
	v_mul_f32_e32 v81, v82, v71
	v_mul_f32_e32 v72, v82, v69
	s_mov_b32 s3, exec_lo
	ds_store_b128 v76, v[87:90]
                                        ; implicit-def: $vgpr69
	v_cmpx_ne_u32_e32 0x7f800000, v85
	s_xor_b32 s3, exec_lo, s3
; %bb.45:
	v_bfe_u32 v69, v84, 16, 1
	s_delay_alu instid0(VALU_DEP_1)
	v_add3_u32 v69, v84, v69, 0x7fff
                                        ; implicit-def: $vgpr84
; %bb.46:
	s_and_not1_saveexec_b32 s3, s3
; %bb.47:
	v_and_b32_e32 v69, 0xffff, v84
	v_or_b32_e32 v71, 0x10000, v84
	s_delay_alu instid0(VALU_DEP_2) | instskip(NEXT) | instid1(VALU_DEP_2)
	v_cmp_eq_u32_e32 vcc_lo, 0, v69
	v_cndmask_b32_e32 v69, v71, v84, vcc_lo
; %bb.48:
	s_or_b32 exec_lo, exec_lo, s3
	v_and_b32_e32 v71, 0x7f800000, v72
	s_delay_alu instid0(VALU_DEP_1) | instskip(SKIP_1) | instid1(SALU_CYCLE_1)
	v_cmp_ne_u32_e32 vcc_lo, 0x7f800000, v71
                                        ; implicit-def: $vgpr71
	s_and_saveexec_b32 s3, vcc_lo
	s_xor_b32 s3, exec_lo, s3
; %bb.49:
	v_bfe_u32 v71, v72, 16, 1
	s_delay_alu instid0(VALU_DEP_1)
	v_add3_u32 v71, v72, v71, 0x7fff
                                        ; implicit-def: $vgpr72
; %bb.50:
	s_and_not1_saveexec_b32 s3, s3
; %bb.51:
	v_and_b32_e32 v71, 0xffff, v72
	v_or_b32_e32 v82, 0x10000, v72
	s_delay_alu instid0(VALU_DEP_2) | instskip(NEXT) | instid1(VALU_DEP_2)
	v_cmp_eq_u32_e32 vcc_lo, 0, v71
	v_cndmask_b32_e32 v71, v82, v72, vcc_lo
; %bb.52:
	s_or_b32 exec_lo, exec_lo, s3
	v_and_b32_e32 v72, 0x7f800000, v81
	s_delay_alu instid0(VALU_DEP_1) | instskip(SKIP_1) | instid1(SALU_CYCLE_1)
	v_cmp_ne_u32_e32 vcc_lo, 0x7f800000, v72
                                        ; implicit-def: $vgpr72
	s_and_saveexec_b32 s3, vcc_lo
	s_xor_b32 s3, exec_lo, s3
; %bb.53:
	v_bfe_u32 v72, v81, 16, 1
	s_delay_alu instid0(VALU_DEP_1)
	v_add3_u32 v72, v81, v72, 0x7fff
                                        ; implicit-def: $vgpr81
; %bb.54:
	s_and_not1_saveexec_b32 s3, s3
; %bb.55:
	v_and_b32_e32 v72, 0xffff, v81
	v_or_b32_e32 v82, 0x10000, v81
	s_delay_alu instid0(VALU_DEP_2) | instskip(NEXT) | instid1(VALU_DEP_2)
	v_cmp_eq_u32_e32 vcc_lo, 0, v72
	v_cndmask_b32_e32 v72, v82, v81, vcc_lo
; %bb.56:
	s_or_b32 exec_lo, exec_lo, s3
	v_and_b32_e32 v81, 0x7f800000, v83
	s_delay_alu instid0(VALU_DEP_1) | instskip(SKIP_1) | instid1(SALU_CYCLE_1)
	v_cmp_ne_u32_e32 vcc_lo, 0x7f800000, v81
                                        ; implicit-def: $vgpr81
	s_and_saveexec_b32 s3, vcc_lo
	s_xor_b32 s3, exec_lo, s3
; %bb.57:
	v_bfe_u32 v81, v83, 16, 1
	s_delay_alu instid0(VALU_DEP_1)
	v_add3_u32 v81, v83, v81, 0x7fff
                                        ; implicit-def: $vgpr83
; %bb.58:
	s_and_not1_saveexec_b32 s3, s3
; %bb.59:
	v_and_b32_e32 v81, 0xffff, v83
	v_or_b32_e32 v82, 0x10000, v83
	s_delay_alu instid0(VALU_DEP_2) | instskip(NEXT) | instid1(VALU_DEP_2)
	v_cmp_eq_u32_e32 vcc_lo, 0, v81
	v_cndmask_b32_e32 v81, v82, v83, vcc_lo
; %bb.60:
	s_or_b32 exec_lo, exec_lo, s3
	v_and_b32_e32 v82, 0x7f800000, v77
	s_delay_alu instid0(VALU_DEP_1) | instskip(SKIP_1) | instid1(SALU_CYCLE_1)
	v_cmp_ne_u32_e32 vcc_lo, 0x7f800000, v82
                                        ; implicit-def: $vgpr82
	s_and_saveexec_b32 s3, vcc_lo
	s_xor_b32 s3, exec_lo, s3
; %bb.61:
	v_bfe_u32 v82, v77, 16, 1
	s_delay_alu instid0(VALU_DEP_1)
	v_add3_u32 v82, v77, v82, 0x7fff
                                        ; implicit-def: $vgpr77
; %bb.62:
	s_and_not1_saveexec_b32 s3, s3
; %bb.63:
	v_and_b32_e32 v82, 0xffff, v77
	v_or_b32_e32 v83, 0x10000, v77
	s_delay_alu instid0(VALU_DEP_2) | instskip(NEXT) | instid1(VALU_DEP_2)
	v_cmp_eq_u32_e32 vcc_lo, 0, v82
	v_cndmask_b32_e32 v82, v83, v77, vcc_lo
; %bb.64:
	s_or_b32 exec_lo, exec_lo, s3
	v_and_b32_e32 v77, 0x7f800000, v78
	s_delay_alu instid0(VALU_DEP_1) | instskip(SKIP_1) | instid1(SALU_CYCLE_1)
	v_cmp_ne_u32_e32 vcc_lo, 0x7f800000, v77
                                        ; implicit-def: $vgpr77
	s_and_saveexec_b32 s3, vcc_lo
	s_xor_b32 s3, exec_lo, s3
; %bb.65:
	v_bfe_u32 v77, v78, 16, 1
	s_delay_alu instid0(VALU_DEP_1)
	v_add3_u32 v77, v78, v77, 0x7fff
                                        ; implicit-def: $vgpr78
; %bb.66:
	s_and_not1_saveexec_b32 s3, s3
; %bb.67:
	v_and_b32_e32 v77, 0xffff, v78
	v_or_b32_e32 v83, 0x10000, v78
	s_delay_alu instid0(VALU_DEP_2) | instskip(NEXT) | instid1(VALU_DEP_2)
	v_cmp_eq_u32_e32 vcc_lo, 0, v77
	v_cndmask_b32_e32 v77, v83, v78, vcc_lo
; %bb.68:
	s_or_b32 exec_lo, exec_lo, s3
	v_and_b32_e32 v78, 0x7f800000, v79
	s_delay_alu instid0(VALU_DEP_1) | instskip(SKIP_1) | instid1(SALU_CYCLE_1)
	v_cmp_ne_u32_e32 vcc_lo, 0x7f800000, v78
                                        ; implicit-def: $vgpr78
	s_and_saveexec_b32 s3, vcc_lo
	s_xor_b32 s3, exec_lo, s3
; %bb.69:
	v_bfe_u32 v78, v79, 16, 1
	s_delay_alu instid0(VALU_DEP_1)
	v_add3_u32 v78, v79, v78, 0x7fff
                                        ; implicit-def: $vgpr79
; %bb.70:
	s_and_not1_saveexec_b32 s3, s3
; %bb.71:
	v_and_b32_e32 v78, 0xffff, v79
	v_or_b32_e32 v83, 0x10000, v79
	s_delay_alu instid0(VALU_DEP_2) | instskip(NEXT) | instid1(VALU_DEP_2)
	v_cmp_eq_u32_e32 vcc_lo, 0, v78
	v_cndmask_b32_e32 v78, v83, v79, vcc_lo
; %bb.72:
	s_or_b32 exec_lo, exec_lo, s3
	v_and_b32_e32 v79, 0x7f800000, v70
	s_delay_alu instid0(VALU_DEP_1) | instskip(SKIP_1) | instid1(SALU_CYCLE_1)
	v_cmp_ne_u32_e32 vcc_lo, 0x7f800000, v79
                                        ; implicit-def: $vgpr79
	s_and_saveexec_b32 s3, vcc_lo
	s_xor_b32 s3, exec_lo, s3
; %bb.73:
	v_bfe_u32 v79, v70, 16, 1
	s_delay_alu instid0(VALU_DEP_1)
	v_add3_u32 v79, v70, v79, 0x7fff
                                        ; implicit-def: $vgpr70
; %bb.74:
	s_and_not1_saveexec_b32 s3, s3
; %bb.75:
	v_and_b32_e32 v79, 0xffff, v70
	v_or_b32_e32 v83, 0x10000, v70
	s_delay_alu instid0(VALU_DEP_2) | instskip(NEXT) | instid1(VALU_DEP_2)
	v_cmp_eq_u32_e32 vcc_lo, 0, v79
	v_cndmask_b32_e32 v79, v83, v70, vcc_lo
; %bb.76:
	s_or_b32 exec_lo, exec_lo, s3
	s_delay_alu instid0(VALU_DEP_1)
	v_perm_b32 v86, v79, v78, 0x7060302
	v_perm_b32 v85, v77, v82, 0x7060302
	;; [unrolled: 1-line block ×4, first 2 shown]
	v_lshl_or_b32 v82, v66, 11, v80
	ds_store_b128 v76, v[83:86] offset:1024
	s_waitcnt lgkmcnt(0)
	s_barrier
	buffer_gl0_inv
	ds_load_b128 v[69:72], v82
	ds_load_b128 v[83:86], v82 offset:16
	s_waitcnt lgkmcnt(1)
	v_lshrrev_b32_e32 v66, 16, v69
	s_waitcnt lgkmcnt(0)
	v_lshrrev_b32_e32 v91, 16, v83
	v_lshlrev_b32_e32 v78, 2, v74
	v_lshrrev_b32_e32 v95, 16, v70
	v_lshrrev_b32_e32 v98, 16, v84
	;; [unrolled: 1-line block ×4, first 2 shown]
	v_cmp_eq_u32_e32 vcc_lo, 1, v78
	v_lshrrev_b32_e32 v97, 16, v72
	v_lshrrev_b32_e32 v100, 16, v86
	v_cndmask_b32_e32 v87, v83, v91, vcc_lo
	v_or_b32_e32 v79, 1, v78
	v_cndmask_b32_e32 v81, v69, v66, vcc_lo
	v_cmp_eq_u32_e64 s4, 2, v78
	v_cmp_eq_u32_e64 s7, 3, v78
	;; [unrolled: 1-line block ×5, first 2 shown]
	v_cndmask_b32_e64 v81, v81, v70, s4
	v_cndmask_b32_e64 v87, v87, v84, s4
	v_cmp_eq_u32_e64 s8, 3, v79
	v_cndmask_b32_e64 v88, v69, v66, s3
	v_or_b32_e32 v77, 2, v78
	v_cndmask_b32_e64 v81, v81, v95, s7
	v_cndmask_b32_e64 v87, v87, v98, s7
	;; [unrolled: 1-line block ×4, first 2 shown]
	v_cmp_eq_u32_e64 s10, 5, v78
	v_cndmask_b32_e64 v81, v81, v71, s9
	v_cndmask_b32_e64 v87, v87, v85, s9
	v_cmp_eq_u32_e64 s11, 4, v79
	v_cndmask_b32_e64 v88, v88, v95, s8
	v_cmp_eq_u32_e64 s5, 1, v77
	v_cndmask_b32_e64 v89, v89, v84, s6
	v_cndmask_b32_e64 v81, v81, v96, s10
	v_cmp_eq_u32_e64 s12, 6, v78
	v_cndmask_b32_e64 v88, v88, v71, s11
	;; [unrolled: 3-line block ×3, first 2 shown]
	v_cndmask_b32_e64 v89, v89, v98, s8
	v_cndmask_b32_e64 v81, v81, v72, s12
	v_cmp_eq_u32_e64 s15, 7, v78
	v_cndmask_b32_e64 v88, v88, v96, s13
	v_cndmask_b32_e64 v87, v87, v86, s12
	v_cmp_eq_u32_e64 s16, 6, v79
	v_cmp_eq_u32_e64 s17, 2, v77
	v_cndmask_b32_e64 v89, v89, v85, s11
	v_cndmask_b32_e64 v101, v81, v97, s15
	v_cndmask_b32_e64 v102, v87, v100, s15
	v_cndmask_b32_e64 v88, v88, v72, s16
	v_cndmask_b32_e64 v81, v90, v70, s17
	v_cndmask_b32_e64 v87, v83, v91, s5
	v_cmp_eq_u32_e64 s18, 7, v79
	v_cmp_eq_u32_e64 s19, 3, v77
	;; [unrolled: 1-line block ×4, first 2 shown]
	v_cndmask_b32_e64 v87, v87, v84, s17
	v_cndmask_b32_e64 v103, v88, v97, s18
	;; [unrolled: 1-line block ×4, first 2 shown]
	v_or_b32_e32 v81, 3, v78
	v_cndmask_b32_e64 v93, v87, v98, s19
	v_cmp_eq_u32_e64 s24, 6, v77
	v_cndmask_b32_e64 v104, v88, v86, s16
	v_cndmask_b32_e64 v92, v89, v71, s20
	v_cmp_eq_u32_e64 s21, 1, v81
	ds_load_b128 v[87:90], v82 offset:1024
	v_cmp_eq_u32_e64 s23, 2, v81
	v_cmp_eq_u32_e64 s25, 3, v81
	v_cndmask_b32_e64 v105, v92, v96, s22
	v_cndmask_b32_e64 v66, v69, v66, s21
	;; [unrolled: 1-line block ×4, first 2 shown]
	ds_load_b128 v[91:94], v82 offset:1040
	v_cmp_eq_u32_e64 s26, 4, v81
	v_cndmask_b32_e64 v66, v66, v70, s23
	v_cmp_eq_u32_e64 s27, 7, v77
	v_cndmask_b32_e64 v70, v83, v84, s23
	v_cndmask_b32_e64 v84, v105, v72, s24
	v_cmp_eq_u32_e64 s28, 5, v81
	v_cndmask_b32_e64 v66, v66, v95, s25
	v_cmp_eq_u32_e64 s29, 6, v81
	v_cndmask_b32_e64 v70, v70, v98, s25
	v_cndmask_b32_e64 v69, v69, v99, s22
	;; [unrolled: 1-line block ×4, first 2 shown]
	s_waitcnt lgkmcnt(1)
	v_lshrrev_b32_e32 v95, 16, v87
	v_cndmask_b32_e64 v70, v70, v85, s26
	v_cndmask_b32_e64 v71, v84, v97, s27
	;; [unrolled: 1-line block ×4, first 2 shown]
	v_cndmask_b32_e32 v84, v87, v95, vcc_lo
	v_cndmask_b32_e64 v70, v70, v99, s28
	s_waitcnt lgkmcnt(0)
	v_lshrrev_b32_e32 v85, 16, v91
	v_lshrrev_b32_e32 v96, 16, v88
	v_cndmask_b32_e64 v98, v87, v95, s3
	v_cndmask_b32_e64 v84, v84, v88, s4
	;; [unrolled: 1-line block ×3, first 2 shown]
	v_cndmask_b32_e32 v99, v91, v85, vcc_lo
	v_cmp_eq_u32_e32 vcc_lo, 7, v81
	v_cndmask_b32_e64 v66, v66, v72, s29
	v_cndmask_b32_e64 v72, v84, v96, s7
	;; [unrolled: 1-line block ×3, first 2 shown]
	v_lshrrev_b32_e32 v98, 16, v92
	v_cndmask_b32_e32 v70, v70, v100, vcc_lo
	v_cndmask_b32_e64 v86, v99, v92, s4
	v_cndmask_b32_e64 v69, v69, v100, s27
	v_lshrrev_b32_e32 v100, 16, v93
	v_cndmask_b32_e64 v72, v72, v89, s9
	v_lshrrev_b32_e32 v99, 16, v89
	v_cndmask_b32_e64 v86, v86, v98, s7
	v_perm_b32 v71, v69, v71, 0x5040100
	v_cndmask_b32_e64 v84, v84, v96, s8
	s_delay_alu instid0(VALU_DEP_3) | instskip(NEXT) | instid1(VALU_DEP_2)
	v_cndmask_b32_e64 v86, v86, v93, s9
	v_cndmask_b32_e64 v84, v84, v89, s11
	s_delay_alu instid0(VALU_DEP_2) | instskip(NEXT) | instid1(VALU_DEP_1)
	v_cndmask_b32_e64 v86, v86, v100, s10
	v_cndmask_b32_e64 v69, v86, v94, s12
	;; [unrolled: 1-line block ×5, first 2 shown]
	s_delay_alu instid0(VALU_DEP_3) | instskip(NEXT) | instid1(VALU_DEP_3)
	v_cndmask_b32_e64 v86, v86, v88, s17
	v_cndmask_b32_e64 v87, v87, v88, s23
	s_delay_alu instid0(VALU_DEP_3) | instskip(NEXT) | instid1(VALU_DEP_3)
	v_cndmask_b32_e64 v88, v95, v92, s23
	v_cndmask_b32_e64 v86, v86, v96, s19
	;; [unrolled: 3-line block ×7, first 2 shown]
	s_delay_alu instid0(VALU_DEP_3) | instskip(SKIP_2) | instid1(VALU_DEP_2)
	v_cndmask_b32_e64 v88, v88, v94, s29
	v_cndmask_b32_e32 v66, v66, v97, vcc_lo
	v_cndmask_b32_e64 v97, v72, v99, s10
	v_perm_b32 v72, v70, v66, 0x5040100
	v_perm_b32 v70, v83, v103, 0x5040100
	v_cndmask_b32_e64 v103, v91, v85, s5
	v_cndmask_b32_e64 v85, v91, v85, s3
	;; [unrolled: 1-line block ×4, first 2 shown]
	v_lshrrev_b32_e32 v97, 16, v90
	v_cndmask_b32_e64 v91, v103, v92, s17
	v_cndmask_b32_e64 v85, v85, v92, s6
	;; [unrolled: 1-line block ×3, first 2 shown]
	s_mov_b32 s3, exec_lo
	v_cndmask_b32_e64 v83, v84, v97, s15
	v_cndmask_b32_e64 v91, v91, v98, s19
	;; [unrolled: 1-line block ×3, first 2 shown]
	v_lshrrev_b32_e32 v84, 16, v94
	v_cndmask_b32_e64 v66, v66, v97, s18
	v_cndmask_b32_e64 v90, v86, v97, s27
	v_cndmask_b32_e64 v89, v91, v93, s20
	v_cndmask_b32_e64 v85, v85, v93, s11
	v_dual_cndmask_b32 v86, v87, v97 :: v_dual_cndmask_b32 v87, v88, v84
	v_cndmask_b32_e64 v91, v69, v84, s15
	s_delay_alu instid0(VALU_DEP_4) | instskip(NEXT) | instid1(VALU_DEP_4)
	v_cndmask_b32_e64 v89, v89, v100, s22
	v_cndmask_b32_e64 v85, v85, v100, s13
	v_perm_b32 v69, v102, v101, 0x5040100
	v_perm_b32 v86, v87, v86, 0x5040100
	v_perm_b32 v83, v91, v83, 0x5040100
	v_cndmask_b32_e64 v89, v89, v94, s24
	v_cndmask_b32_e64 v85, v85, v94, s16
	s_mul_i32 s8, s35, 14
	s_delay_alu instid0(VALU_DEP_2) | instskip(NEXT) | instid1(VALU_DEP_2)
	v_cndmask_b32_e64 v88, v89, v84, s27
	v_cndmask_b32_e64 v89, v85, v84, s18
	s_delay_alu instid0(VALU_DEP_2) | instskip(NEXT) | instid1(VALU_DEP_2)
	v_perm_b32 v85, v88, v90, 0x5040100
	v_perm_b32 v84, v89, v66, 0x5040100
	ds_store_b128 v76, v[69:72]
	ds_store_b128 v76, v[83:86] offset:1024
	v_cmpx_gt_u32_e32 14, v0
	s_cbranch_execz .LBB1771_78
; %bb.77:
	s_mul_i32 s4, s8, s30
	s_delay_alu instid0(SALU_CYCLE_1) | instskip(SKIP_1) | instid1(VALU_DEP_1)
	v_add3_u32 v69, s4, s31, v65
	s_load_b128 s[4:7], s[0:1], 0x58
	v_mad_u64_u32 v[65:66], null, v69, s34, s[14:15]
	s_delay_alu instid0(VALU_DEP_1) | instskip(NEXT) | instid1(VALU_DEP_1)
	v_ashrrev_i32_e32 v66, 31, v65
	v_lshlrev_b64 v[65:66], 2, v[65:66]
	s_waitcnt lgkmcnt(0)
	s_delay_alu instid0(VALU_DEP_1) | instskip(NEXT) | instid1(VALU_DEP_2)
	v_add_co_u32 v69, vcc_lo, s6, v65
	v_add_co_ci_u32_e32 v70, vcc_lo, s7, v66, vcc_lo
	v_add_co_u32 v65, vcc_lo, s4, v65
	v_add_co_ci_u32_e32 v66, vcc_lo, s5, v66, vcc_lo
	global_store_b32 v[69:70], v67, off
	global_store_b32 v[65:66], v68, off
.LBB1771_78:
	s_or_b32 exec_lo, exec_lo, s3
	s_waitcnt lgkmcnt(0)
	s_waitcnt_vscnt null, 0x0
	s_barrier
	buffer_gl0_inv
	ds_load_b128 v[83:86], v80
	ds_load_b128 v[87:90], v80 offset:16
	ds_load_b128 v[95:98], v80 offset:2064
	;; [unrolled: 1-line block ×3, first 2 shown]
	v_mov_b32_e32 v65, 0
	ds_load_b128 v[103:106], v80 offset:4112
	ds_load_b128 v[99:102], v80 offset:4096
	ds_load_b128 v[111:114], v80 offset:6160
	ds_load_b128 v[107:110], v80 offset:6144
	v_mov_b32_e32 v66, v65
	v_mov_b32_e32 v67, v65
	;; [unrolled: 1-line block ×7, first 2 shown]
	s_waitcnt lgkmcnt(6)
	s_delay_alu instid0(VALU_DEP_1)
	v_wmma_f32_16x16x16_bf16 v[65:72], v[57:64], v[83:90], v[65:72]
	ds_load_b128 v[61:64], v80 offset:8208
	ds_load_b128 v[57:60], v80 offset:8192
	s_waitcnt lgkmcnt(6)
	v_wmma_f32_16x16x16_bf16 v[65:72], v[41:48], v[91:98], v[65:72]
	ds_load_b128 v[45:48], v80 offset:10256
	ds_load_b128 v[41:44], v80 offset:10240
	s_waitcnt lgkmcnt(6)
	;; [unrolled: 4-line block ×4, first 2 shown]
	v_wmma_f32_16x16x16_bf16 v[65:72], v[1:8], v[57:64], v[65:72]
	s_waitcnt lgkmcnt(4)
	s_delay_alu instid0(VALU_DEP_1) | instskip(SKIP_1) | instid1(VALU_DEP_1)
	v_wmma_f32_16x16x16_bf16 v[65:72], v[9:16], v[41:48], v[65:72]
	s_waitcnt lgkmcnt(2)
	v_wmma_f32_16x16x16_bf16 v[65:72], v[17:24], v[33:40], v[65:72]
	s_waitcnt lgkmcnt(0)
	s_delay_alu instid0(VALU_DEP_1) | instskip(NEXT) | instid1(VALU_DEP_1)
	v_wmma_f32_16x16x16_bf16 v[65:72], v[49:56], v[25:32], v[65:72]
	v_and_b32_e32 v1, 0x7f800000, v65
	s_delay_alu instid0(VALU_DEP_1) | instskip(SKIP_1) | instid1(SALU_CYCLE_1)
	v_cmp_ne_u32_e32 vcc_lo, 0x7f800000, v1
                                        ; implicit-def: $vgpr1
	s_and_saveexec_b32 s3, vcc_lo
	s_xor_b32 s3, exec_lo, s3
; %bb.79:
	v_bfe_u32 v1, v65, 16, 1
	s_delay_alu instid0(VALU_DEP_1)
	v_add3_u32 v1, v65, v1, 0x7fff
; %bb.80:
	s_and_not1_saveexec_b32 s3, s3
; %bb.81:
	v_and_b32_e32 v1, 0xffff, v65
	v_or_b32_e32 v2, 0x10000, v65
	s_delay_alu instid0(VALU_DEP_2) | instskip(NEXT) | instid1(VALU_DEP_2)
	v_cmp_eq_u32_e32 vcc_lo, 0, v1
	v_cndmask_b32_e32 v1, v2, v65, vcc_lo
; %bb.82:
	s_or_b32 exec_lo, exec_lo, s3
	v_and_b32_e32 v2, 0x7f800000, v66
	s_delay_alu instid0(VALU_DEP_1) | instskip(SKIP_1) | instid1(SALU_CYCLE_1)
	v_cmp_ne_u32_e32 vcc_lo, 0x7f800000, v2
                                        ; implicit-def: $vgpr2
	s_and_saveexec_b32 s3, vcc_lo
	s_xor_b32 s3, exec_lo, s3
; %bb.83:
	v_bfe_u32 v2, v66, 16, 1
	s_delay_alu instid0(VALU_DEP_1)
	v_add3_u32 v2, v66, v2, 0x7fff
; %bb.84:
	s_and_not1_saveexec_b32 s3, s3
; %bb.85:
	v_and_b32_e32 v2, 0xffff, v66
	v_or_b32_e32 v3, 0x10000, v66
	s_delay_alu instid0(VALU_DEP_2) | instskip(NEXT) | instid1(VALU_DEP_2)
	v_cmp_eq_u32_e32 vcc_lo, 0, v2
	v_cndmask_b32_e32 v2, v3, v66, vcc_lo
; %bb.86:
	s_or_b32 exec_lo, exec_lo, s3
	v_and_b32_e32 v3, 0x7f800000, v67
	s_delay_alu instid0(VALU_DEP_1) | instskip(SKIP_1) | instid1(SALU_CYCLE_1)
	v_cmp_ne_u32_e32 vcc_lo, 0x7f800000, v3
                                        ; implicit-def: $vgpr3
	s_and_saveexec_b32 s3, vcc_lo
	s_xor_b32 s3, exec_lo, s3
; %bb.87:
	v_bfe_u32 v3, v67, 16, 1
	s_delay_alu instid0(VALU_DEP_1)
	v_add3_u32 v3, v67, v3, 0x7fff
; %bb.88:
	s_and_not1_saveexec_b32 s3, s3
; %bb.89:
	v_and_b32_e32 v3, 0xffff, v67
	v_or_b32_e32 v4, 0x10000, v67
	s_delay_alu instid0(VALU_DEP_2) | instskip(NEXT) | instid1(VALU_DEP_2)
	v_cmp_eq_u32_e32 vcc_lo, 0, v3
	v_cndmask_b32_e32 v3, v4, v67, vcc_lo
; %bb.90:
	s_or_b32 exec_lo, exec_lo, s3
	v_and_b32_e32 v4, 0x7f800000, v68
	s_delay_alu instid0(VALU_DEP_1) | instskip(SKIP_1) | instid1(SALU_CYCLE_1)
	v_cmp_ne_u32_e32 vcc_lo, 0x7f800000, v4
                                        ; implicit-def: $vgpr4
	s_and_saveexec_b32 s3, vcc_lo
	s_xor_b32 s3, exec_lo, s3
; %bb.91:
	v_bfe_u32 v4, v68, 16, 1
	s_delay_alu instid0(VALU_DEP_1)
	v_add3_u32 v4, v68, v4, 0x7fff
; %bb.92:
	s_and_not1_saveexec_b32 s3, s3
; %bb.93:
	v_and_b32_e32 v4, 0xffff, v68
	v_or_b32_e32 v5, 0x10000, v68
	s_delay_alu instid0(VALU_DEP_2) | instskip(NEXT) | instid1(VALU_DEP_2)
	v_cmp_eq_u32_e32 vcc_lo, 0, v4
	v_cndmask_b32_e32 v4, v5, v68, vcc_lo
; %bb.94:
	s_or_b32 exec_lo, exec_lo, s3
	v_and_b32_e32 v5, 0x7f800000, v69
	s_delay_alu instid0(VALU_DEP_1) | instskip(SKIP_1) | instid1(SALU_CYCLE_1)
	v_cmp_ne_u32_e32 vcc_lo, 0x7f800000, v5
                                        ; implicit-def: $vgpr5
	s_and_saveexec_b32 s3, vcc_lo
	s_xor_b32 s3, exec_lo, s3
; %bb.95:
	v_bfe_u32 v5, v69, 16, 1
	s_delay_alu instid0(VALU_DEP_1)
	v_add3_u32 v5, v69, v5, 0x7fff
; %bb.96:
	s_and_not1_saveexec_b32 s3, s3
; %bb.97:
	v_and_b32_e32 v5, 0xffff, v69
	v_or_b32_e32 v6, 0x10000, v69
	s_delay_alu instid0(VALU_DEP_2) | instskip(NEXT) | instid1(VALU_DEP_2)
	v_cmp_eq_u32_e32 vcc_lo, 0, v5
	v_cndmask_b32_e32 v5, v6, v69, vcc_lo
; %bb.98:
	s_or_b32 exec_lo, exec_lo, s3
	v_and_b32_e32 v6, 0x7f800000, v70
	s_delay_alu instid0(VALU_DEP_1) | instskip(SKIP_1) | instid1(SALU_CYCLE_1)
	v_cmp_ne_u32_e32 vcc_lo, 0x7f800000, v6
                                        ; implicit-def: $vgpr6
	s_and_saveexec_b32 s3, vcc_lo
	s_xor_b32 s3, exec_lo, s3
; %bb.99:
	v_bfe_u32 v6, v70, 16, 1
	s_delay_alu instid0(VALU_DEP_1)
	v_add3_u32 v6, v70, v6, 0x7fff
; %bb.100:
	s_and_not1_saveexec_b32 s3, s3
; %bb.101:
	v_and_b32_e32 v6, 0xffff, v70
	v_or_b32_e32 v7, 0x10000, v70
	s_delay_alu instid0(VALU_DEP_2) | instskip(NEXT) | instid1(VALU_DEP_2)
	v_cmp_eq_u32_e32 vcc_lo, 0, v6
	v_cndmask_b32_e32 v6, v7, v70, vcc_lo
; %bb.102:
	s_or_b32 exec_lo, exec_lo, s3
	v_and_b32_e32 v7, 0x7f800000, v71
	s_delay_alu instid0(VALU_DEP_1) | instskip(SKIP_1) | instid1(SALU_CYCLE_1)
	v_cmp_ne_u32_e32 vcc_lo, 0x7f800000, v7
                                        ; implicit-def: $vgpr7
	s_and_saveexec_b32 s3, vcc_lo
	s_xor_b32 s3, exec_lo, s3
; %bb.103:
	v_bfe_u32 v7, v71, 16, 1
	s_delay_alu instid0(VALU_DEP_1)
	v_add3_u32 v7, v71, v7, 0x7fff
; %bb.104:
	s_and_not1_saveexec_b32 s3, s3
; %bb.105:
	v_and_b32_e32 v7, 0xffff, v71
	v_or_b32_e32 v8, 0x10000, v71
	s_delay_alu instid0(VALU_DEP_2) | instskip(NEXT) | instid1(VALU_DEP_2)
	v_cmp_eq_u32_e32 vcc_lo, 0, v7
	v_cndmask_b32_e32 v7, v8, v71, vcc_lo
; %bb.106:
	s_or_b32 exec_lo, exec_lo, s3
	v_and_b32_e32 v8, 0x7f800000, v72
	s_delay_alu instid0(VALU_DEP_1) | instskip(SKIP_1) | instid1(SALU_CYCLE_1)
	v_cmp_ne_u32_e32 vcc_lo, 0x7f800000, v8
                                        ; implicit-def: $vgpr8
	s_and_saveexec_b32 s3, vcc_lo
	s_xor_b32 s3, exec_lo, s3
; %bb.107:
	v_bfe_u32 v8, v72, 16, 1
	s_delay_alu instid0(VALU_DEP_1)
	v_add3_u32 v8, v72, v8, 0x7fff
                                        ; implicit-def: $vgpr65_vgpr66_vgpr67_vgpr68_vgpr69_vgpr70_vgpr71_vgpr72
; %bb.108:
	s_and_not1_saveexec_b32 s3, s3
; %bb.109:
	v_and_b32_e32 v8, 0xffff, v72
	v_or_b32_e32 v9, 0x10000, v72
	s_delay_alu instid0(VALU_DEP_2) | instskip(NEXT) | instid1(VALU_DEP_2)
	v_cmp_eq_u32_e32 vcc_lo, 0, v8
	v_cndmask_b32_e32 v8, v9, v72, vcc_lo
; %bb.110:
	s_or_b32 exec_lo, exec_lo, s3
	s_delay_alu instid0(VALU_DEP_1)
	v_perm_b32 v7, v8, v7, 0x7060302
	v_perm_b32 v6, v6, v5, 0x7060302
	;; [unrolled: 1-line block ×4, first 2 shown]
	s_barrier
	buffer_gl0_inv
	v_cmp_eq_u32_e32 vcc_lo, 1, v78
	ds_store_b128 v76, v[4:7]
	s_waitcnt lgkmcnt(0)
	s_barrier
	buffer_gl0_inv
	ds_load_b128 v[1:4], v82
	ds_load_b128 v[5:8], v82 offset:16
	v_cmp_eq_u32_e64 s3, 1, v79
	v_cmp_eq_u32_e64 s4, 2, v78
	;; [unrolled: 1-line block ×5, first 2 shown]
	s_waitcnt lgkmcnt(1)
	v_lshrrev_b32_e32 v9, 16, v1
	s_waitcnt lgkmcnt(0)
	v_lshrrev_b32_e32 v13, 16, v5
	v_lshrrev_b32_e32 v10, 16, v2
	v_lshrrev_b32_e32 v14, 16, v6
	v_lshrrev_b32_e32 v11, 16, v3
	v_cndmask_b32_e64 v19, v1, v9, s3
	v_cndmask_b32_e32 v18, v5, v13, vcc_lo
	v_cndmask_b32_e64 v20, v5, v13, s3
	v_cndmask_b32_e32 v17, v1, v9, vcc_lo
	v_cmp_eq_u32_e32 vcc_lo, 2, v79
	v_lshrrev_b32_e32 v15, 16, v7
	v_cmp_eq_u32_e64 s3, 1, v77
	v_lshrrev_b32_e32 v12, 16, v4
	v_lshrrev_b32_e32 v16, 16, v8
	v_cndmask_b32_e32 v20, v20, v6, vcc_lo
	v_cndmask_b32_e64 v17, v17, v2, s4
	v_cndmask_b32_e32 v19, v19, v2, vcc_lo
	v_cndmask_b32_e64 v18, v18, v6, s4
	v_cmp_eq_u32_e32 vcc_lo, 4, v78
	v_cmp_eq_u32_e64 s4, 3, v79
	v_cndmask_b32_e64 v17, v17, v10, s5
	v_cndmask_b32_e64 v21, v1, v9, s3
	;; [unrolled: 1-line block ×5, first 2 shown]
	v_cndmask_b32_e32 v17, v17, v3, vcc_lo
	v_cndmask_b32_e64 v20, v20, v14, s4
	v_cndmask_b32_e32 v18, v18, v7, vcc_lo
	v_cmp_eq_u32_e32 vcc_lo, 4, v79
	v_cmp_eq_u32_e64 s4, 5, v79
	v_cmp_eq_u32_e64 s3, 2, v81
	v_cndmask_b32_e64 v21, v21, v2, s7
	v_cmp_eq_u32_e64 s5, 5, v78
	v_cndmask_b32_e32 v19, v19, v3, vcc_lo
	v_cndmask_b32_e32 v20, v20, v7, vcc_lo
	v_cmp_eq_u32_e32 vcc_lo, 6, v79
	s_delay_alu instid0(VALU_DEP_4) | instskip(NEXT) | instid1(VALU_DEP_4)
	v_cndmask_b32_e64 v17, v17, v11, s5
	v_cndmask_b32_e64 v19, v19, v11, s4
	s_delay_alu instid0(VALU_DEP_4) | instskip(SKIP_1) | instid1(VALU_DEP_3)
	v_cndmask_b32_e64 v20, v20, v15, s4
	v_cmp_eq_u32_e64 s4, 1, v81
	v_cndmask_b32_e32 v19, v19, v4, vcc_lo
	v_cndmask_b32_e64 v18, v18, v15, s5
	s_delay_alu instid0(VALU_DEP_3)
	v_cndmask_b32_e64 v1, v1, v9, s4
	v_cndmask_b32_e64 v5, v5, v13, s4
	v_cmp_eq_u32_e64 s4, 3, v77
	v_cndmask_b32_e64 v13, v22, v6, s7
	v_cmp_eq_u32_e64 s7, 3, v81
	v_cndmask_b32_e64 v1, v1, v2, s3
	v_cndmask_b32_e64 v2, v5, v6, s3
	;; [unrolled: 1-line block ×3, first 2 shown]
	v_cmp_eq_u32_e64 s3, 4, v77
	v_cndmask_b32_e64 v6, v13, v14, s4
	v_cndmask_b32_e64 v1, v1, v10, s7
	v_cmp_eq_u32_e64 s4, 4, v81
	v_cndmask_b32_e64 v2, v2, v14, s7
	v_cndmask_b32_e64 v5, v9, v3, s3
	;; [unrolled: 3-line block ×3, first 2 shown]
	v_cndmask_b32_e64 v2, v2, v7, s4
	v_cmp_eq_u32_e64 s3, 5, v81
	v_cmp_eq_u32_e64 s5, 6, v78
	v_cndmask_b32_e64 v5, v5, v11, s7
	v_cmp_eq_u32_e64 s4, 6, v77
	v_cndmask_b32_e64 v3, v6, v15, s7
	v_cndmask_b32_e64 v1, v1, v11, s3
	v_cmp_eq_u32_e64 s7, 6, v81
	v_cndmask_b32_e64 v2, v2, v15, s3
	v_cndmask_b32_e64 v17, v17, v4, s5
	v_cndmask_b32_e64 v18, v18, v8, s5
	v_cmp_eq_u32_e64 s5, 7, v78
	v_cndmask_b32_e64 v5, v5, v4, s4
	;; [unrolled: 4-line block ×3, first 2 shown]
	v_cmp_eq_u32_e64 s4, 7, v77
	v_cndmask_b32_e32 v4, v20, v8, vcc_lo
	v_cndmask_b32_e64 v17, v17, v12, s5
	v_cndmask_b32_e64 v19, v19, v12, s6
	;; [unrolled: 1-line block ×8, first 2 shown]
	v_cmp_gt_u32_e32 vcc_lo, 32, v0
	v_perm_b32 v4, v2, v1, 0x5040100
	v_perm_b32 v3, v3, v5, 0x5040100
	;; [unrolled: 1-line block ×4, first 2 shown]
	s_and_b32 s2, vcc_lo, s2
	ds_store_b128 v76, v[1:4]
	s_waitcnt lgkmcnt(0)
	s_barrier
	buffer_gl0_inv
	s_and_saveexec_b32 s3, s2
	s_cbranch_execz .LBB1771_2
; %bb.111:
	s_load_b64 s[0:1], s[0:1], 0x68
	v_lshlrev_b32_e32 v0, 10, v0
	s_lshl_b32 s4, s34, 6
	v_or_b32_e32 v3, s31, v74
	s_mul_i32 s2, s4, s30
	v_lshlrev_b32_e32 v1, 4, v75
	v_lshlrev_b32_e32 v2, 6, v74
	v_and_b32_e32 v0, 0x3800, v0
	s_mul_i32 s2, s2, s8
	v_mul_lo_u32 v8, v3, s4
	s_ashr_i32 s3, s2, 31
	s_delay_alu instid0(SALU_CYCLE_1)
	s_lshl_b64 s[2:3], s[2:3], 1
	v_or3_b32 v16, v0, v1, v2
	ds_load_b128 v[0:3], v16
	ds_load_b128 v[4:7], v16 offset:128
	v_ashrrev_i32_e32 v9, 31, v8
	s_waitcnt lgkmcnt(0)
	s_add_u32 s2, s0, s2
	s_addc_u32 s3, s1, s3
	s_lshl_b32 s0, s14, 6
	s_delay_alu instid0(SALU_CYCLE_1) | instskip(SKIP_2) | instid1(SALU_CYCLE_1)
	s_ashr_i32 s1, s0, 31
	v_lshlrev_b64 v[9:10], 1, v[8:9]
	s_lshl_b64 s[0:1], s[0:1], 1
	s_add_u32 s0, s2, s0
	s_addc_u32 s1, s3, s1
	s_lshl_b32 s2, s34, 7
	v_add_co_u32 v30, s0, s0, v73
	v_add_nc_u32_e32 v11, s2, v8
	v_add_co_ci_u32_e64 v31, null, s1, 0, s0
	s_delay_alu instid0(VALU_DEP_3) | instskip(NEXT) | instid1(VALU_DEP_3)
	v_add_co_u32 v9, vcc_lo, v30, v9
	v_add_nc_u32_e32 v8, s2, v11
	s_delay_alu instid0(VALU_DEP_3) | instskip(SKIP_1) | instid1(VALU_DEP_3)
	v_add_co_ci_u32_e32 v10, vcc_lo, v31, v10, vcc_lo
	v_ashrrev_i32_e32 v12, 31, v11
	v_add_nc_u32_e32 v13, s2, v8
	global_store_b128 v[9:10], v[0:3], off
	v_ashrrev_i32_e32 v9, 31, v8
	v_lshlrev_b64 v[11:12], 1, v[11:12]
	v_ashrrev_i32_e32 v14, 31, v13
	v_add_nc_u32_e32 v10, s2, v13
	s_delay_alu instid0(VALU_DEP_4) | instskip(NEXT) | instid1(VALU_DEP_4)
	v_lshlrev_b64 v[2:3], 1, v[8:9]
	v_add_co_u32 v0, vcc_lo, v30, v11
	s_delay_alu instid0(VALU_DEP_4)
	v_lshlrev_b64 v[8:9], 1, v[13:14]
	v_add_co_ci_u32_e32 v1, vcc_lo, v31, v12, vcc_lo
	v_ashrrev_i32_e32 v11, 31, v10
	v_add_co_u32 v22, vcc_lo, v30, v2
	v_add_nc_u32_e32 v20, s2, v10
	v_add_co_ci_u32_e32 v23, vcc_lo, v31, v3, vcc_lo
	v_add_co_u32 v24, vcc_lo, v30, v8
	global_store_b128 v[0:1], v[4:7], off
	v_add_co_ci_u32_e32 v25, vcc_lo, v31, v9, vcc_lo
	ds_load_b128 v[0:3], v16 offset:256
	ds_load_b128 v[4:7], v16 offset:384
	v_lshlrev_b64 v[26:27], 1, v[10:11]
	ds_load_b128 v[8:11], v16 offset:512
	ds_load_b128 v[12:15], v16 offset:640
	;; [unrolled: 1-line block ×3, first 2 shown]
	v_add_nc_u32_e32 v28, s2, v20
	v_ashrrev_i32_e32 v21, 31, v20
	v_add_co_u32 v26, vcc_lo, v30, v26
	s_delay_alu instid0(VALU_DEP_3) | instskip(NEXT) | instid1(VALU_DEP_3)
	v_ashrrev_i32_e32 v29, 31, v28
	v_lshlrev_b64 v[20:21], 1, v[20:21]
	v_add_co_ci_u32_e32 v27, vcc_lo, v31, v27, vcc_lo
	s_delay_alu instid0(VALU_DEP_3) | instskip(NEXT) | instid1(VALU_DEP_3)
	v_lshlrev_b64 v[28:29], 1, v[28:29]
	v_add_co_u32 v20, vcc_lo, v30, v20
	s_delay_alu instid0(VALU_DEP_4) | instskip(NEXT) | instid1(VALU_DEP_3)
	v_add_co_ci_u32_e32 v21, vcc_lo, v31, v21, vcc_lo
	v_add_co_u32 v28, vcc_lo, v30, v28
	s_delay_alu instid0(VALU_DEP_4)
	v_add_co_ci_u32_e32 v29, vcc_lo, v31, v29, vcc_lo
	s_waitcnt lgkmcnt(4)
	global_store_b128 v[22:23], v[0:3], off
	s_waitcnt lgkmcnt(3)
	global_store_b128 v[24:25], v[4:7], off
	;; [unrolled: 2-line block ×5, first 2 shown]
	s_nop 0
	s_sendmsg sendmsg(MSG_DEALLOC_VGPRS)
	s_endpgm
	.section	.rodata,"a",@progbits
	.p2align	6, 0x0
	.amdhsa_kernel _Z39paged_attention_ll4mi_QKV_mfma16_kernelI14__hip_bfloat16hLN4vllm18Fp8KVCacheDataTypeE1ES0_Li32ELi64ELi256ELb1ELi14EL8MFMAType0EEvPKT_PKT0_S9_ifPKiSB_SB_iPKfiiiPfSE_PS4_PT2_iSD_SD_
		.amdhsa_group_segment_fixed_size 17472
		.amdhsa_private_segment_fixed_size 0
		.amdhsa_kernarg_size 400
		.amdhsa_user_sgpr_count 13
		.amdhsa_user_sgpr_dispatch_ptr 0
		.amdhsa_user_sgpr_queue_ptr 0
		.amdhsa_user_sgpr_kernarg_segment_ptr 1
		.amdhsa_user_sgpr_dispatch_id 0
		.amdhsa_user_sgpr_private_segment_size 0
		.amdhsa_wavefront_size32 1
		.amdhsa_uses_dynamic_stack 0
		.amdhsa_enable_private_segment 0
		.amdhsa_system_sgpr_workgroup_id_x 1
		.amdhsa_system_sgpr_workgroup_id_y 1
		.amdhsa_system_sgpr_workgroup_id_z 1
		.amdhsa_system_sgpr_workgroup_info 0
		.amdhsa_system_vgpr_workitem_id 0
		.amdhsa_next_free_vgpr 124
		.amdhsa_next_free_sgpr 40
		.amdhsa_reserve_vcc 1
		.amdhsa_float_round_mode_32 0
		.amdhsa_float_round_mode_16_64 0
		.amdhsa_float_denorm_mode_32 3
		.amdhsa_float_denorm_mode_16_64 3
		.amdhsa_dx10_clamp 1
		.amdhsa_ieee_mode 1
		.amdhsa_fp16_overflow 0
		.amdhsa_workgroup_processor_mode 1
		.amdhsa_memory_ordered 1
		.amdhsa_forward_progress 0
		.amdhsa_shared_vgpr_count 0
		.amdhsa_exception_fp_ieee_invalid_op 0
		.amdhsa_exception_fp_denorm_src 0
		.amdhsa_exception_fp_ieee_div_zero 0
		.amdhsa_exception_fp_ieee_overflow 0
		.amdhsa_exception_fp_ieee_underflow 0
		.amdhsa_exception_fp_ieee_inexact 0
		.amdhsa_exception_int_div_zero 0
	.end_amdhsa_kernel
	.section	.text._Z39paged_attention_ll4mi_QKV_mfma16_kernelI14__hip_bfloat16hLN4vllm18Fp8KVCacheDataTypeE1ES0_Li32ELi64ELi256ELb1ELi14EL8MFMAType0EEvPKT_PKT0_S9_ifPKiSB_SB_iPKfiiiPfSE_PS4_PT2_iSD_SD_,"axG",@progbits,_Z39paged_attention_ll4mi_QKV_mfma16_kernelI14__hip_bfloat16hLN4vllm18Fp8KVCacheDataTypeE1ES0_Li32ELi64ELi256ELb1ELi14EL8MFMAType0EEvPKT_PKT0_S9_ifPKiSB_SB_iPKfiiiPfSE_PS4_PT2_iSD_SD_,comdat
.Lfunc_end1771:
	.size	_Z39paged_attention_ll4mi_QKV_mfma16_kernelI14__hip_bfloat16hLN4vllm18Fp8KVCacheDataTypeE1ES0_Li32ELi64ELi256ELb1ELi14EL8MFMAType0EEvPKT_PKT0_S9_ifPKiSB_SB_iPKfiiiPfSE_PS4_PT2_iSD_SD_, .Lfunc_end1771-_Z39paged_attention_ll4mi_QKV_mfma16_kernelI14__hip_bfloat16hLN4vllm18Fp8KVCacheDataTypeE1ES0_Li32ELi64ELi256ELb1ELi14EL8MFMAType0EEvPKT_PKT0_S9_ifPKiSB_SB_iPKfiiiPfSE_PS4_PT2_iSD_SD_
                                        ; -- End function
	.section	.AMDGPU.csdata,"",@progbits
; Kernel info:
; codeLenInByte = 8924
; NumSgprs: 42
; NumVgprs: 124
; ScratchSize: 0
; MemoryBound: 0
; FloatMode: 240
; IeeeMode: 1
; LDSByteSize: 17472 bytes/workgroup (compile time only)
; SGPRBlocks: 5
; VGPRBlocks: 15
; NumSGPRsForWavesPerEU: 42
; NumVGPRsForWavesPerEU: 124
; Occupancy: 10
; WaveLimiterHint : 1
; COMPUTE_PGM_RSRC2:SCRATCH_EN: 0
; COMPUTE_PGM_RSRC2:USER_SGPR: 13
; COMPUTE_PGM_RSRC2:TRAP_HANDLER: 0
; COMPUTE_PGM_RSRC2:TGID_X_EN: 1
; COMPUTE_PGM_RSRC2:TGID_Y_EN: 1
; COMPUTE_PGM_RSRC2:TGID_Z_EN: 1
; COMPUTE_PGM_RSRC2:TIDIG_COMP_CNT: 0
	.section	.text._Z39paged_attention_ll4mi_QKV_mfma16_kernelI14__hip_bfloat16hLN4vllm18Fp8KVCacheDataTypeE1ES0_Li32ELi64ELi256ELb1ELi15EL8MFMAType0EEvPKT_PKT0_S9_ifPKiSB_SB_iPKfiiiPfSE_PS4_PT2_iSD_SD_,"axG",@progbits,_Z39paged_attention_ll4mi_QKV_mfma16_kernelI14__hip_bfloat16hLN4vllm18Fp8KVCacheDataTypeE1ES0_Li32ELi64ELi256ELb1ELi15EL8MFMAType0EEvPKT_PKT0_S9_ifPKiSB_SB_iPKfiiiPfSE_PS4_PT2_iSD_SD_,comdat
	.protected	_Z39paged_attention_ll4mi_QKV_mfma16_kernelI14__hip_bfloat16hLN4vllm18Fp8KVCacheDataTypeE1ES0_Li32ELi64ELi256ELb1ELi15EL8MFMAType0EEvPKT_PKT0_S9_ifPKiSB_SB_iPKfiiiPfSE_PS4_PT2_iSD_SD_ ; -- Begin function _Z39paged_attention_ll4mi_QKV_mfma16_kernelI14__hip_bfloat16hLN4vllm18Fp8KVCacheDataTypeE1ES0_Li32ELi64ELi256ELb1ELi15EL8MFMAType0EEvPKT_PKT0_S9_ifPKiSB_SB_iPKfiiiPfSE_PS4_PT2_iSD_SD_
	.globl	_Z39paged_attention_ll4mi_QKV_mfma16_kernelI14__hip_bfloat16hLN4vllm18Fp8KVCacheDataTypeE1ES0_Li32ELi64ELi256ELb1ELi15EL8MFMAType0EEvPKT_PKT0_S9_ifPKiSB_SB_iPKfiiiPfSE_PS4_PT2_iSD_SD_
	.p2align	8
	.type	_Z39paged_attention_ll4mi_QKV_mfma16_kernelI14__hip_bfloat16hLN4vllm18Fp8KVCacheDataTypeE1ES0_Li32ELi64ELi256ELb1ELi15EL8MFMAType0EEvPKT_PKT0_S9_ifPKiSB_SB_iPKfiiiPfSE_PS4_PT2_iSD_SD_,@function
_Z39paged_attention_ll4mi_QKV_mfma16_kernelI14__hip_bfloat16hLN4vllm18Fp8KVCacheDataTypeE1ES0_Li32ELi64ELi256ELb1ELi15EL8MFMAType0EEvPKT_PKT0_S9_ifPKiSB_SB_iPKfiiiPfSE_PS4_PT2_iSD_SD_: ; @_Z39paged_attention_ll4mi_QKV_mfma16_kernelI14__hip_bfloat16hLN4vllm18Fp8KVCacheDataTypeE1ES0_Li32ELi64ELi256ELb1ELi15EL8MFMAType0EEvPKT_PKT0_S9_ifPKiSB_SB_iPKfiiiPfSE_PS4_PT2_iSD_SD_
; %bb.0:
	s_load_b64 s[2:3], s[0:1], 0x30
	s_mov_b32 s34, s13
	s_waitcnt lgkmcnt(0)
	s_cmp_lg_u64 s[2:3], 0
	s_cselect_b32 s8, -1, 0
	s_ashr_i32 s35, s13, 31
	s_cmp_eq_u64 s[2:3], 0
	s_cbranch_scc1 .LBB1772_3
; %bb.1:
	s_lshl_b64 s[4:5], s[34:35], 2
	s_delay_alu instid0(SALU_CYCLE_1) | instskip(SKIP_4) | instid1(SALU_CYCLE_1)
	s_add_u32 s4, s2, s4
	s_addc_u32 s5, s3, s5
	s_load_b64 s[4:5], s[4:5], 0x0
	s_waitcnt lgkmcnt(0)
	s_sub_i32 s4, s5, s4
	s_cmp_eq_u32 s4, 1
	s_cselect_b32 s4, -1, 0
	s_delay_alu instid0(SALU_CYCLE_1)
	s_and_not1_b32 vcc_lo, exec_lo, s4
	s_cbranch_vccz .LBB1772_4
.LBB1772_2:
	s_nop 0
	s_sendmsg sendmsg(MSG_DEALLOC_VGPRS)
	s_endpgm
.LBB1772_3:
.LBB1772_4:
	s_load_b64 s[4:5], s[0:1], 0x28
	s_lshl_b64 s[6:7], s[34:35], 2
	s_waitcnt lgkmcnt(0)
	s_add_u32 s4, s4, s6
	s_addc_u32 s5, s5, s7
	s_lshl_b32 s12, s14, 8
	s_load_b32 s24, s[4:5], 0x0
	s_waitcnt lgkmcnt(0)
	s_cmp_ge_i32 s12, s24
	s_cbranch_scc1 .LBB1772_2
; %bb.5:
	s_clause 0x1
	s_load_b128 s[20:23], s[0:1], 0x8
	s_load_b64 s[4:5], s[0:1], 0x20
	s_and_not1_b32 vcc_lo, exec_lo, s8
	s_cbranch_vccnz .LBB1772_7
; %bb.6:
	s_add_u32 s2, s2, s6
	s_addc_u32 s3, s3, s7
	s_load_b32 s3, s[2:3], 0x0
	s_branch .LBB1772_8
.LBB1772_7:
	s_mov_b32 s3, s34
.LBB1772_8:
	s_load_b128 s[16:19], s[0:1], 0x48
	v_lshrrev_b32_e32 v66, 5, v0
	v_bfe_u32 v74, v0, 4, 1
	v_and_b32_e32 v65, 15, v0
	v_and_b32_e32 v67, 31, v0
	;; [unrolled: 1-line block ×3, first 2 shown]
	s_mul_i32 s31, s15, 15
	v_lshl_or_b32 v1, v66, 1, v74
	v_lshlrev_b32_e32 v2, 3, v65
	v_cmp_gt_u32_e64 s2, 8, v65
	s_delay_alu instid0(VALU_DEP_3) | instskip(NEXT) | instid1(VALU_DEP_3)
	v_cmp_gt_u32_e32 vcc_lo, 15, v1
	v_lshlrev_b32_e32 v73, 1, v2
	s_delay_alu instid0(VALU_DEP_3) | instskip(NEXT) | instid1(SALU_CYCLE_1)
	s_and_b32 s7, s2, vcc_lo
	s_and_saveexec_b32 s6, s7
	s_cbranch_execz .LBB1772_10
; %bb.9:
	s_load_b64 s[8:9], s[0:1], 0x0
	v_add_lshl_u32 v2, v1, s31, 6
	s_waitcnt lgkmcnt(0)
	s_mul_hi_i32 s11, s3, s16
	s_mul_i32 s10, s3, s16
	v_lshlrev_b32_e32 v6, 10, v65
	s_lshl_b64 s[10:11], s[10:11], 1
	v_ashrrev_i32_e32 v3, 31, v2
	v_lshlrev_b32_e32 v1, 6, v1
	v_lshlrev_b32_e32 v7, 10, v75
	v_and_b32_e32 v6, 0x3800, v6
	s_delay_alu instid0(VALU_DEP_4) | instskip(NEXT) | instid1(VALU_DEP_2)
	v_lshlrev_b64 v[2:3], 1, v[2:3]
	v_or3_b32 v1, v6, v7, v1
	s_add_u32 s3, s8, s10
	s_addc_u32 s7, s9, s11
	s_delay_alu instid0(VALU_DEP_2) | instskip(NEXT) | instid1(VALU_DEP_3)
	v_add_co_u32 v2, vcc_lo, s3, v2
	v_add_co_ci_u32_e32 v3, vcc_lo, s7, v3, vcc_lo
	s_delay_alu instid0(VALU_DEP_2) | instskip(NEXT) | instid1(VALU_DEP_2)
	v_add_co_u32 v2, vcc_lo, v2, v73
	v_add_co_ci_u32_e32 v3, vcc_lo, 0, v3, vcc_lo
	global_load_b128 v[2:5], v[2:3], off
	s_waitcnt vmcnt(0)
	ds_store_b128 v1, v[2:5]
.LBB1772_10:
	s_or_b32 exec_lo, exec_lo, s6
	v_and_b32_e32 v1, 0xef, v0
	s_waitcnt lgkmcnt(0)
	s_add_i32 s3, s24, 31
	s_clause 0x1
	s_load_b32 s6, s[0:1], 0x38
	s_load_b32 s19, s[0:1], 0x1c
	s_ashr_i32 s7, s3, 31
	v_add_nc_u32_e32 v1, s12, v1
	s_lshr_b32 s7, s7, 27
	s_waitcnt lgkmcnt(0)
	s_add_i32 s3, s3, s7
	s_barrier
	v_ashrrev_i32_e32 v2, 31, v1
	v_or_b32_e32 v3, 16, v1
	s_ashr_i32 s3, s3, 5
	v_cmp_gt_i32_e32 vcc_lo, s24, v1
	s_add_i32 s3, s3, -1
	v_lshrrev_b32_e32 v2, 27, v2
	buffer_gl0_inv
	s_mul_i32 s27, s15, s18
	v_add_nc_u32_e32 v4, v1, v2
	s_mul_i32 s6, s34, s6
	s_delay_alu instid0(SALU_CYCLE_1) | instskip(NEXT) | instid1(VALU_DEP_1)
	s_ashr_i32 s7, s6, 31
	v_ashrrev_i32_e32 v4, 5, v4
	v_add_nc_u32_e32 v2, v3, v2
	s_lshl_b64 s[6:7], s[6:7], 2
	s_delay_alu instid0(SALU_CYCLE_1) | instskip(NEXT) | instid1(VALU_DEP_2)
	s_add_u32 s26, s4, s6
	v_cndmask_b32_e32 v1, s3, v4, vcc_lo
	s_delay_alu instid0(VALU_DEP_2)
	v_ashrrev_i32_e32 v2, 5, v2
	v_cmp_gt_i32_e32 vcc_lo, s24, v3
	s_addc_u32 s25, s5, s7
	s_ashr_i32 s28, s27, 31
	s_add_u32 s4, s20, s27
	s_addc_u32 s5, s21, s28
	v_cndmask_b32_e32 v3, s3, v2, vcc_lo
	v_ashrrev_i32_e32 v2, 31, v1
	s_lshl_b32 s6, s14, 3
	s_delay_alu instid0(SALU_CYCLE_1) | instskip(NEXT) | instid1(VALU_DEP_2)
	s_ashr_i32 s7, s6, 31
	v_ashrrev_i32_e32 v4, 31, v3
	s_delay_alu instid0(VALU_DEP_2) | instskip(SKIP_1) | instid1(SALU_CYCLE_1)
	v_lshlrev_b64 v[1:2], 2, v[1:2]
	s_lshl_b64 s[6:7], s[6:7], 2
	s_add_u32 s6, s26, s6
	s_delay_alu instid0(VALU_DEP_2) | instskip(SKIP_1) | instid1(VALU_DEP_2)
	v_lshlrev_b64 v[3:4], 2, v[3:4]
	s_addc_u32 s7, s25, s7
	v_add_co_u32 v1, vcc_lo, s26, v1
	v_add_co_ci_u32_e32 v2, vcc_lo, s25, v2, vcc_lo
	s_delay_alu instid0(VALU_DEP_3) | instskip(NEXT) | instid1(VALU_DEP_4)
	v_add_co_u32 v3, vcc_lo, s26, v3
	v_add_co_ci_u32_e32 v4, vcc_lo, s25, v4, vcc_lo
	s_clause 0x1
	global_load_b32 v5, v[1:2], off
	global_load_b32 v6, v[3:4], off
	s_or_b32 s8, s12, 32
	s_delay_alu instid0(SALU_CYCLE_1) | instskip(SKIP_2) | instid1(SALU_CYCLE_1)
	s_ashr_i32 s9, s8, 5
	s_cmp_lt_i32 s8, s24
	s_cselect_b32 s8, s9, s3
	s_ashr_i32 s9, s8, 31
	s_delay_alu instid0(SALU_CYCLE_1) | instskip(NEXT) | instid1(SALU_CYCLE_1)
	s_lshl_b64 s[8:9], s[8:9], 2
	s_add_u32 s8, s26, s8
	s_addc_u32 s9, s25, s9
	s_or_b32 s10, s12, 64
	s_delay_alu instid0(SALU_CYCLE_1) | instskip(SKIP_2) | instid1(SALU_CYCLE_1)
	s_ashr_i32 s11, s10, 5
	s_cmp_lt_i32 s10, s24
	s_cselect_b32 s10, s11, s3
	s_ashr_i32 s11, s10, 31
	s_delay_alu instid0(SALU_CYCLE_1) | instskip(NEXT) | instid1(SALU_CYCLE_1)
	s_lshl_b64 s[10:11], s[10:11], 2
	s_add_u32 s10, s26, s10
	s_addc_u32 s11, s25, s11
	s_or_b32 s13, s12, 0x60
	s_delay_alu instid0(SALU_CYCLE_1) | instskip(SKIP_2) | instid1(SALU_CYCLE_1)
	s_ashr_i32 s15, s13, 5
	s_cmp_lt_i32 s13, s24
	s_cselect_b32 s20, s15, s3
	s_ashr_i32 s21, s20, 31
	s_delay_alu instid0(SALU_CYCLE_1) | instskip(NEXT) | instid1(SALU_CYCLE_1)
	s_lshl_b64 s[20:21], s[20:21], 2
	s_add_u32 s36, s26, s20
	s_addc_u32 s37, s25, s21
	s_or_b32 s13, s12, 0x80
	s_delay_alu instid0(SALU_CYCLE_1) | instskip(SKIP_2) | instid1(SALU_CYCLE_1)
	s_ashr_i32 s15, s13, 5
	s_cmp_lt_i32 s13, s24
	s_cselect_b32 s20, s15, s3
	s_ashr_i32 s21, s20, 31
	s_delay_alu instid0(SALU_CYCLE_1) | instskip(NEXT) | instid1(SALU_CYCLE_1)
	s_lshl_b64 s[20:21], s[20:21], 2
	s_add_u32 s38, s26, s20
	s_addc_u32 s39, s25, s21
	s_or_b32 s13, s12, 0xa0
	s_delay_alu instid0(SALU_CYCLE_1) | instskip(SKIP_2) | instid1(SALU_CYCLE_1)
	s_ashr_i32 s15, s13, 5
	s_cmp_lt_i32 s13, s24
	s_cselect_b32 s20, s15, s3
	s_ashr_i32 s21, s20, 31
	s_delay_alu instid0(SALU_CYCLE_1) | instskip(NEXT) | instid1(SALU_CYCLE_1)
	s_lshl_b64 s[20:21], s[20:21], 2
	s_add_u32 s40, s26, s20
	s_addc_u32 s41, s25, s21
	s_clause 0x5
	s_load_b32 s21, s[6:7], 0x0
	s_load_b32 s13, s[8:9], 0x0
	;; [unrolled: 1-line block ×6, first 2 shown]
	s_or_b32 s7, s12, 0xc0
	s_delay_alu instid0(SALU_CYCLE_1) | instskip(SKIP_2) | instid1(SALU_CYCLE_1)
	s_ashr_i32 s8, s7, 5
	s_cmp_lt_i32 s7, s24
	s_cselect_b32 s10, s8, s3
	s_ashr_i32 s11, s10, 31
	s_delay_alu instid0(SALU_CYCLE_1) | instskip(NEXT) | instid1(SALU_CYCLE_1)
	s_lshl_b64 s[36:37], s[10:11], 2
	s_add_u32 s36, s26, s36
	s_addc_u32 s37, s25, s37
	s_or_b32 s29, s12, 0xe0
	s_delay_alu instid0(SALU_CYCLE_1)
	s_ashr_i32 s30, s29, 5
	s_cmp_lt_i32 s29, s24
	s_waitcnt vmcnt(1)
	v_mad_i64_i32 v[1:2], null, v5, s17, s[4:5]
	s_waitcnt vmcnt(0)
	v_mad_i64_i32 v[3:4], null, v6, s17, s[4:5]
	s_mov_b32 s4, 0
	s_delay_alu instid0(SALU_CYCLE_1)
	s_mov_b32 s5, s4
	s_mov_b32 s6, s4
	;; [unrolled: 1-line block ×7, first 2 shown]
	v_lshlrev_b32_e32 v5, 4, v65
	v_dual_mov_b32 v107, s11 :: v_dual_mov_b32 v100, s4
	v_mov_b32_e32 v102, s6
	v_mov_b32_e32 v106, s10
	s_delay_alu instid0(VALU_DEP_4)
	v_add_co_u32 v1, vcc_lo, v1, v5
	v_add_co_ci_u32_e32 v2, vcc_lo, 0, v2, vcc_lo
	v_add_co_u32 v3, vcc_lo, v3, v5
	v_add_co_ci_u32_e32 v4, vcc_lo, 0, v4, vcc_lo
	s_clause 0x7
	global_load_b128 v[49:52], v[1:2], off
	global_load_b128 v[53:56], v[1:2], off offset:512
	global_load_b128 v[76:79], v[3:4], off offset:256
	global_load_b128 v[80:83], v[3:4], off offset:768
	global_load_b128 v[84:87], v[1:2], off offset:1024
	global_load_b128 v[88:91], v[1:2], off offset:1536
	global_load_b128 v[92:95], v[3:4], off offset:1280
	global_load_b128 v[96:99], v[3:4], off offset:1792
	v_cmp_ne_u32_e32 vcc_lo, 15, v65
	v_dual_mov_b32 v104, s8 :: v_dual_mov_b32 v103, s7
	v_dual_mov_b32 v101, s5 :: v_dual_lshlrev_b32 v2, 5, v65
	v_cndmask_b32_e32 v1, 0, v65, vcc_lo
	v_mov_b32_e32 v105, s9
	s_cselect_b32 s4, s30, s3
	s_load_b32 s3, s[36:37], 0x0
	s_ashr_i32 s5, s4, 31
	v_lshlrev_b32_e32 v70, 6, v1
	s_lshl_b64 s[4:5], s[4:5], 2
	v_lshl_or_b32 v1, v66, 9, v2
	s_add_u32 s4, s26, s4
	s_addc_u32 s5, s25, s5
	ds_load_b128 v[108:111], v70
	ds_load_b128 v[112:115], v70 offset:1024
	s_load_b32 s4, s[4:5], 0x0
	s_add_u32 s6, s22, s27
	s_addc_u32 s7, s23, s28
	v_add_co_u32 v9, s6, s6, v1
	s_delay_alu instid0(VALU_DEP_1) | instskip(SKIP_1) | instid1(VALU_DEP_1)
	v_add_co_ci_u32_e64 v10, null, s7, 0, s6
	s_waitcnt lgkmcnt(0)
	v_mad_i64_i32 v[1:2], null, s21, s17, v[9:10]
	v_mad_i64_i32 v[3:4], null, s13, s17, v[9:10]
	;; [unrolled: 1-line block ×7, first 2 shown]
	s_clause 0x9
	global_load_b128 v[57:60], v[1:2], off
	global_load_b128 v[61:64], v[1:2], off offset:16
	global_load_b128 v[41:44], v[3:4], off
	global_load_b128 v[45:48], v[3:4], off offset:16
	;; [unrolled: 2-line block ×5, first 2 shown]
	v_mad_i64_i32 v[68:69], null, s4, s17, v[9:10]
	s_clause 0x3
	global_load_b128 v[9:12], v[13:14], off
	global_load_b128 v[13:16], v[13:14], off offset:16
	global_load_b128 v[17:20], v[21:22], off
	global_load_b128 v[21:24], v[21:22], off offset:16
	s_waitcnt vmcnt(20)
	v_wmma_f32_16x16x16_bf16 v[116:123], v[49:56], v[108:115], v[100:107]
	s_clause 0x1
	global_load_b128 v[49:52], v[68:69], off
	global_load_b128 v[53:56], v[68:69], off offset:16
	v_and_b32_e32 v68, 0xe0, v0
	v_mbcnt_lo_u32_b32 v69, -1, 0
	s_delay_alu instid0(VALU_DEP_2)
	v_add_nc_u32_e32 v68, s12, v68
	s_waitcnt vmcnt(20)
	v_wmma_f32_16x16x16_bf16 v[100:107], v[76:83], v[108:115], v[100:107]
	ds_load_b128 v[76:79], v70 offset:2048
	ds_load_b128 v[80:83], v70 offset:3072
	v_xor_b32_e32 v70, 16, v69
	s_waitcnt vmcnt(0) lgkmcnt(0)
	v_or_b32_e32 v68, v68, v74
	s_barrier
	buffer_gl0_inv
	v_cmp_gt_i32_e32 vcc_lo, 32, v70
	v_or_b32_e32 v71, 4, v68
	v_or_b32_e32 v72, 6, v68
	v_cmp_gt_i32_e64 s3, s24, v68
	v_or_b32_e32 v108, 8, v68
	v_or_b32_e32 v109, 10, v68
	v_cmp_gt_i32_e64 s4, s24, v71
	v_cmp_gt_i32_e64 s5, s24, v72
	s_delay_alu instid0(VALU_DEP_4) | instskip(NEXT) | instid1(VALU_DEP_4)
	v_cmp_gt_i32_e64 s6, s24, v108
	v_cmp_gt_i32_e64 s7, s24, v109
	v_wmma_f32_16x16x16_bf16 v[116:123], v[84:91], v[76:83], v[116:123]
	v_cndmask_b32_e32 v69, v69, v70, vcc_lo
	v_or_b32_e32 v70, 2, v68
	v_wmma_f32_16x16x16_bf16 v[100:107], v[92:99], v[76:83], v[100:107]
	v_or_b32_e32 v84, 12, v68
	v_dual_mul_f32 v78, s19, v123 :: v_dual_mul_f32 v83, s19, v118
	v_dual_mul_f32 v92, s19, v117 :: v_dual_mul_f32 v93, s19, v116
	s_delay_alu instid0(VALU_DEP_4) | instskip(SKIP_2) | instid1(VALU_DEP_4)
	v_mul_f32_e32 v94, s19, v107
	v_cmp_gt_i32_e32 vcc_lo, s24, v70
	v_dual_mul_f32 v81, s19, v120 :: v_dual_mul_f32 v82, s19, v119
	v_cndmask_b32_e64 v93, 0xff7fffff, v93, s3
	v_or_b32_e32 v85, 14, v68
	v_cndmask_b32_e32 v92, 0xff7fffff, v92, vcc_lo
	v_dual_mul_f32 v79, s19, v122 :: v_dual_mul_f32 v80, s19, v121
	v_cndmask_b32_e64 v71, 0xff7fffff, v83, s4
	v_cndmask_b32_e64 v72, 0xff7fffff, v82, s5
	s_delay_alu instid0(VALU_DEP_4)
	v_max3_f32 v82, v93, 0xff7fffff, v92
	v_or_b32_e32 v86, 16, v68
	v_or_b32_e32 v87, 18, v68
	v_cndmask_b32_e64 v81, 0xff7fffff, v81, s6
	v_cndmask_b32_e64 v80, 0xff7fffff, v80, s7
	v_max3_f32 v71, v82, v71, v72
	v_cmp_gt_i32_e64 s8, s24, v84
	v_cmp_gt_i32_e64 s9, s24, v85
	v_or_b32_e32 v88, 20, v68
	v_or_b32_e32 v89, 22, v68
	;; [unrolled: 1-line block ×6, first 2 shown]
	v_dual_mul_f32 v99, s19, v102 :: v_dual_mul_f32 v70, s19, v101
	v_mul_f32_e32 v68, s19, v100
	v_cndmask_b32_e64 v72, 0xff7fffff, v79, s8
	v_cndmask_b32_e64 v78, 0xff7fffff, v78, s9
	v_max3_f32 v71, v71, v81, v80
	v_cmp_gt_i32_e64 s10, s24, v86
	v_cmp_gt_i32_e64 s11, s24, v87
	v_dual_mul_f32 v97, s19, v104 :: v_dual_mul_f32 v98, s19, v103
	s_delay_alu instid0(VALU_DEP_4) | instskip(SKIP_1) | instid1(VALU_DEP_4)
	v_max3_f32 v71, v71, v72, v78
	v_cmp_gt_i32_e64 s12, s24, v88
	v_cndmask_b32_e64 v70, 0xff7fffff, v70, s11
	v_cmp_gt_i32_e64 s13, s24, v89
	v_lshlrev_b32_e32 v89, 2, v69
	v_cndmask_b32_e64 v68, 0xff7fffff, v68, s10
	v_dual_mul_f32 v95, s19, v106 :: v_dual_mul_f32 v96, s19, v105
	v_cndmask_b32_e64 v72, 0xff7fffff, v99, s12
	v_cndmask_b32_e64 v78, 0xff7fffff, v98, s13
	s_delay_alu instid0(VALU_DEP_4)
	v_max3_f32 v68, v71, v68, v70
	v_cmp_gt_i32_e64 s15, s24, v90
	v_cmp_gt_i32_e64 s16, s24, v91
	;; [unrolled: 1-line block ×4, first 2 shown]
	v_max3_f32 v68, v68, v72, v78
	v_cndmask_b32_e64 v70, 0xff7fffff, v97, s15
	v_cndmask_b32_e64 v71, 0xff7fffff, v96, s16
	;; [unrolled: 1-line block ×4, first 2 shown]
	s_delay_alu instid0(VALU_DEP_3) | instskip(NEXT) | instid1(VALU_DEP_1)
	v_max3_f32 v68, v68, v70, v71
	v_max3_f32 v68, v68, v72, v76
	ds_bpermute_b32 v69, v89, v68
	s_waitcnt lgkmcnt(0)
	v_max_f32_e32 v69, v69, v69
	s_delay_alu instid0(VALU_DEP_1) | instskip(NEXT) | instid1(VALU_DEP_1)
	v_max_f32_e32 v68, v68, v69
	v_fma_f32 v71, s19, v118, -v68
	s_delay_alu instid0(VALU_DEP_1)
	v_mul_f32_e32 v71, 0x3fb8aa3b, v71
	v_fma_f32 v69, s19, v116, -v68
	v_fma_f32 v70, s19, v117, -v68
	;; [unrolled: 1-line block ×4, first 2 shown]
	v_exp_f32_e32 v71, v71
	s_delay_alu instid0(VALU_DEP_3) | instskip(SKIP_2) | instid1(VALU_DEP_3)
	v_dual_mul_f32 v69, 0x3fb8aa3b, v69 :: v_dual_mul_f32 v70, 0x3fb8aa3b, v70
	v_fma_f32 v78, s19, v122, -v68
	v_fma_f32 v81, s19, v105, -v68
	v_exp_f32_e32 v69, v69
	s_delay_alu instid0(VALU_DEP_3) | instskip(SKIP_1) | instid1(VALU_DEP_2)
	v_exp_f32_e32 v70, v70
	v_mul_f32_e32 v77, 0x3fb8aa3b, v76
	v_mul_f32_e32 v81, 0x3fb8aa3b, v81
	s_delay_alu instid0(TRANS32_DEP_3) | instskip(SKIP_1) | instid1(VALU_DEP_3)
	v_cndmask_b32_e64 v83, 0, v71, s4
	v_fma_f32 v71, s19, v123, -v68
	v_exp_f32_e32 v81, v81
	s_delay_alu instid0(TRANS32_DEP_3) | instskip(NEXT) | instid1(TRANS32_DEP_2)
	v_cndmask_b32_e64 v80, 0, v69, s3
	v_cndmask_b32_e32 v76, 0, v70, vcc_lo
	v_fma_f32 v69, s19, v121, -v68
	v_mul_f32_e32 v72, 0x3fb8aa3b, v72
	v_exp_f32_e32 v77, v77
	v_dual_add_f32 v70, 0, v80 :: v_dual_mul_f32 v71, 0x3fb8aa3b, v71
	s_delay_alu instid0(VALU_DEP_3) | instskip(NEXT) | instid1(VALU_DEP_3)
	v_mul_f32_e32 v69, 0x3fb8aa3b, v69
	v_exp_f32_e32 v72, v72
	v_cmp_gt_u32_e64 s3, 16, v67
	s_delay_alu instid0(VALU_DEP_3) | instskip(NEXT) | instid1(VALU_DEP_2)
	v_exp_f32_e32 v71, v71
	v_exp_f32_e32 v69, v69
	v_cndmask_b32_e64 v86, 0, v77, s6
	v_fma_f32 v77, s19, v101, -v68
	v_add_f32_e32 v70, v70, v76
	s_delay_alu instid0(TRANS32_DEP_3) | instskip(SKIP_1) | instid1(VALU_DEP_3)
	v_cndmask_b32_e64 v85, 0, v72, s5
	v_fma_f32 v72, s19, v100, -v68
	v_dual_mul_f32 v77, 0x3fb8aa3b, v77 :: v_dual_add_f32 v70, v70, v83
	s_delay_alu instid0(TRANS32_DEP_2) | instskip(SKIP_1) | instid1(TRANS32_DEP_1)
	v_cndmask_b32_e64 v88, 0, v71, s9
	v_fma_f32 v71, s19, v104, -v68
	v_cndmask_b32_e64 v87, 0, v69, s7
	s_delay_alu instid0(VALU_DEP_4) | instskip(NEXT) | instid1(VALU_DEP_2)
	v_exp_f32_e32 v77, v77
	v_dual_add_f32 v70, v70, v85 :: v_dual_mul_f32 v71, 0x3fb8aa3b, v71
	s_delay_alu instid0(VALU_DEP_1) | instskip(SKIP_2) | instid1(VALU_DEP_3)
	v_dual_mul_f32 v72, 0x3fb8aa3b, v72 :: v_dual_add_f32 v69, v70, v86
	v_mul_f32_e32 v78, 0x3fb8aa3b, v78
	v_fma_f32 v70, s19, v102, -v68
	v_exp_f32_e32 v72, v72
	v_exp_f32_e32 v82, v71
	v_add_f32_e32 v69, v69, v87
	v_exp_f32_e32 v78, v78
	v_mul_f32_e32 v70, 0x3fb8aa3b, v70
	s_delay_alu instid0(VALU_DEP_1) | instskip(SKIP_4) | instid1(VALU_DEP_2)
	v_exp_f32_e32 v79, v70
	v_cndmask_b32_e64 v70, 0, v72, s10
	s_waitcnt_depctr 0xfff
	v_cndmask_b32_e64 v84, 0, v78, s8
	v_fma_f32 v78, s19, v103, -v68
	v_add_f32_e32 v69, v69, v84
	v_cndmask_b32_e64 v71, 0, v79, s12
	s_delay_alu instid0(VALU_DEP_2) | instskip(SKIP_2) | instid1(VALU_DEP_1)
	v_add_f32_e32 v72, v69, v88
	v_cndmask_b32_e64 v69, 0, v77, s11
	v_fma_f32 v77, s19, v106, -v68
	v_dual_mul_f32 v77, 0x3fb8aa3b, v77 :: v_dual_add_f32 v72, v72, v70
	v_mul_f32_e32 v78, 0x3fb8aa3b, v78
	s_delay_alu instid0(VALU_DEP_2) | instskip(NEXT) | instid1(VALU_DEP_2)
	v_exp_f32_e32 v90, v77
	v_add_f32_e32 v79, v72, v69
	s_delay_alu instid0(VALU_DEP_2)
	v_exp_f32_e32 v78, v78
	v_cndmask_b32_e64 v77, 0, v82, s15
	s_waitcnt_depctr 0xfff
	v_cndmask_b32_e64 v72, 0, v78, s13
	v_add_f32_e32 v78, v79, v71
	v_fma_f32 v79, s19, v107, -v68
	s_delay_alu instid0(VALU_DEP_1) | instskip(SKIP_1) | instid1(VALU_DEP_2)
	v_dual_add_f32 v82, v78, v72 :: v_dual_mul_f32 v79, 0x3fb8aa3b, v79
	v_cndmask_b32_e64 v78, 0, v81, s16
	v_add_f32_e32 v81, v82, v77
	s_delay_alu instid0(VALU_DEP_3) | instskip(SKIP_1) | instid1(VALU_DEP_2)
	v_exp_f32_e32 v82, v79
	v_cndmask_b32_e64 v79, 0, v90, s17
	v_add_f32_e32 v81, v81, v78
	s_delay_alu instid0(VALU_DEP_1) | instskip(SKIP_2) | instid1(VALU_DEP_1)
	v_add_f32_e32 v90, v81, v79
	s_waitcnt_depctr 0xfff
	v_cndmask_b32_e64 v81, 0, v82, s18
	v_add_f32_e32 v82, v90, v81
	ds_bpermute_b32 v89, v89, v82
	s_and_saveexec_b32 s4, s3
	s_cbranch_execz .LBB1772_12
; %bb.11:
	v_mul_u32_u24_e32 v67, 0x44, v66
	s_delay_alu instid0(VALU_DEP_1) | instskip(SKIP_1) | instid1(VALU_DEP_1)
	v_lshl_add_u32 v67, v65, 2, v67
	s_waitcnt lgkmcnt(0)
	v_dual_add_f32 v82, v82, v89 :: v_dual_add_nc_u32 v67, 0x4000, v67
	ds_store_2addr_b32 v67, v68, v82 offset1:136
.LBB1772_12:
	s_or_b32 exec_lo, exec_lo, s4
	v_lshlrev_b32_e32 v67, 2, v65
	s_waitcnt lgkmcnt(0)
	s_barrier
	buffer_gl0_inv
	v_cmp_eq_u32_e32 vcc_lo, 1, v66
	v_add_nc_u32_e32 v82, 0x4000, v67
	v_cmp_eq_u32_e64 s4, 2, v66
	v_cmp_eq_u32_e64 s6, 7, v66
	ds_load_2addr_b32 v[89:90], v82 offset1:17
	ds_load_2addr_b32 v[91:92], v82 offset0:34 offset1:51
	ds_load_2addr_b32 v[93:94], v82 offset0:68 offset1:85
	;; [unrolled: 1-line block ×4, first 2 shown]
	s_waitcnt lgkmcnt(4)
	v_max3_f32 v67, v89, 0xff7fffff, v90
	s_waitcnt lgkmcnt(3)
	s_delay_alu instid0(VALU_DEP_1) | instskip(SKIP_1) | instid1(VALU_DEP_1)
	v_max3_f32 v67, v67, v91, v92
	s_waitcnt lgkmcnt(2)
	v_max3_f32 v67, v67, v93, v94
	s_waitcnt lgkmcnt(1)
	s_delay_alu instid0(VALU_DEP_1) | instskip(NEXT) | instid1(VALU_DEP_1)
	v_max3_f32 v67, v67, v95, v96
	v_sub_f32_e32 v93, v93, v67
	s_delay_alu instid0(VALU_DEP_1) | instskip(NEXT) | instid1(VALU_DEP_1)
	v_dual_sub_f32 v68, v89, v67 :: v_dual_mul_f32 v103, 0x3fb8aa3b, v93
	v_mul_f32_e32 v68, 0x3fb8aa3b, v68
	s_delay_alu instid0(VALU_DEP_1)
	v_exp_f32_e32 v100, v68
	v_sub_f32_e32 v68, v92, v67
	v_sub_f32_e32 v99, v90, v67
	ds_load_2addr_b32 v[89:90], v82 offset0:170 offset1:187
	v_dual_mul_f32 v102, 0x3fb8aa3b, v68 :: v_dual_mul_f32 v99, 0x3fb8aa3b, v99
	s_waitcnt lgkmcnt(1)
	v_fma_f32 v68, v100, v97, 0
	s_delay_alu instid0(VALU_DEP_2) | instskip(NEXT) | instid1(VALU_DEP_2)
	v_exp_f32_e32 v102, v102
	v_exp_f32_e32 v99, v99
	s_waitcnt_depctr 0xfff
	v_fmac_f32_e32 v68, v99, v98
	v_sub_f32_e32 v91, v91, v67
	s_delay_alu instid0(VALU_DEP_1)
	v_mul_f32_e32 v101, 0x3fb8aa3b, v91
	ds_load_2addr_b32 v[91:92], v82 offset0:204 offset1:221
	v_sub_f32_e32 v97, v94, v67
	ds_load_2addr_b32 v[93:94], v82 offset0:238 offset1:255
	s_waitcnt lgkmcnt(0)
	v_exp_f32_e32 v101, v101
	s_barrier
	buffer_gl0_inv
	v_dual_fmac_f32 v68, v101, v89 :: v_dual_sub_f32 v89, v96, v67
	v_dual_sub_f32 v82, v95, v67 :: v_dual_mul_f32 v95, 0x3fb8aa3b, v97
	v_exp_f32_e32 v97, v103
	s_delay_alu instid0(VALU_DEP_2) | instskip(NEXT) | instid1(VALU_DEP_2)
	v_dual_fmac_f32 v68, v102, v90 :: v_dual_mul_f32 v89, 0x3fb8aa3b, v89
	v_mul_f32_e32 v82, 0x3fb8aa3b, v82
	s_delay_alu instid0(VALU_DEP_3) | instskip(NEXT) | instid1(VALU_DEP_2)
	v_exp_f32_e32 v95, v95
	v_exp_f32_e32 v89, v89
	s_delay_alu instid0(VALU_DEP_1)
	v_exp_f32_e32 v82, v82
	v_fmac_f32_e32 v68, v97, v91
	s_delay_alu instid0(TRANS32_DEP_3) | instid1(VALU_DEP_1)
	v_fmac_f32_e32 v68, v95, v92
	s_waitcnt_depctr 0xfff
	v_fmac_f32_e32 v68, v82, v93
	s_delay_alu instid0(VALU_DEP_1) | instskip(NEXT) | instid1(VALU_DEP_1)
	v_fmac_f32_e32 v68, v89, v94
	v_add_f32_e32 v90, 0x358637bd, v68
	s_delay_alu instid0(VALU_DEP_1) | instskip(NEXT) | instid1(VALU_DEP_1)
	v_div_scale_f32 v91, null, v90, v90, 1.0
	v_rcp_f32_e32 v92, v91
	s_waitcnt_depctr 0xfff
	v_fma_f32 v93, -v91, v92, 1.0
	s_delay_alu instid0(VALU_DEP_1) | instskip(SKIP_1) | instid1(VALU_DEP_2)
	v_dual_fmac_f32 v92, v93, v92 :: v_dual_cndmask_b32 v93, v100, v99
	v_cmp_eq_u32_e32 vcc_lo, 3, v66
	v_cndmask_b32_e64 v93, v93, v101, s4
	v_cmp_eq_u32_e64 s4, 4, v66
	s_delay_alu instid0(VALU_DEP_2) | instskip(SKIP_1) | instid1(VALU_DEP_2)
	v_cndmask_b32_e32 v93, v93, v102, vcc_lo
	v_cmp_eq_u32_e32 vcc_lo, 5, v66
	v_cndmask_b32_e64 v93, v93, v97, s4
	v_cmp_eq_u32_e64 s4, 6, v66
	s_delay_alu instid0(VALU_DEP_2) | instskip(SKIP_1) | instid1(VALU_DEP_1)
	v_cndmask_b32_e32 v93, v93, v95, vcc_lo
	v_div_scale_f32 v94, s5, 1.0, v90, 1.0
	s_mov_b32 vcc_lo, s5
	s_delay_alu instid0(VALU_DEP_2) | instskip(NEXT) | instid1(VALU_DEP_2)
	v_cndmask_b32_e64 v82, v93, v82, s4
	v_mul_f32_e32 v96, v94, v92
	s_mov_b32 s4, exec_lo
	s_delay_alu instid0(VALU_DEP_2) | instskip(NEXT) | instid1(VALU_DEP_2)
	v_cndmask_b32_e64 v82, v82, v89, s6
	v_fma_f32 v98, -v91, v96, v94
	s_delay_alu instid0(VALU_DEP_1) | instskip(NEXT) | instid1(VALU_DEP_1)
	v_fmac_f32_e32 v96, v98, v92
	v_fma_f32 v91, -v91, v96, v94
	s_delay_alu instid0(VALU_DEP_1) | instskip(NEXT) | instid1(VALU_DEP_1)
	v_div_fmas_f32 v91, v91, v92, v96
	v_div_fixup_f32 v90, v91, v90, 1.0
	s_delay_alu instid0(VALU_DEP_1) | instskip(NEXT) | instid1(VALU_DEP_1)
	v_mul_f32_e32 v82, v82, v90
	v_mul_f32_e32 v87, v82, v87
	;; [unrolled: 1-line block ×7, first 2 shown]
	v_dual_mul_f32 v86, v82, v83 :: v_dual_and_b32 v91, 0x7f800000, v90
	v_mul_f32_e32 v85, v82, v76
                                        ; implicit-def: $vgpr76
	s_delay_alu instid0(VALU_DEP_2)
	v_cmpx_ne_u32_e32 0x7f800000, v91
	s_xor_b32 s4, exec_lo, s4
; %bb.13:
	v_bfe_u32 v76, v90, 16, 1
	s_delay_alu instid0(VALU_DEP_1)
	v_add3_u32 v76, v90, v76, 0x7fff
                                        ; implicit-def: $vgpr90
; %bb.14:
	s_and_not1_saveexec_b32 s4, s4
; %bb.15:
	v_and_b32_e32 v76, 0xffff, v90
	v_or_b32_e32 v83, 0x10000, v90
	s_delay_alu instid0(VALU_DEP_2) | instskip(NEXT) | instid1(VALU_DEP_2)
	v_cmp_eq_u32_e32 vcc_lo, 0, v76
	v_cndmask_b32_e32 v76, v83, v90, vcc_lo
; %bb.16:
	s_or_b32 exec_lo, exec_lo, s4
	v_and_b32_e32 v83, 0x7f800000, v85
	s_delay_alu instid0(VALU_DEP_1) | instskip(SKIP_1) | instid1(SALU_CYCLE_1)
	v_cmp_ne_u32_e32 vcc_lo, 0x7f800000, v83
                                        ; implicit-def: $vgpr83
	s_and_saveexec_b32 s4, vcc_lo
	s_xor_b32 s4, exec_lo, s4
; %bb.17:
	v_bfe_u32 v83, v85, 16, 1
	s_delay_alu instid0(VALU_DEP_1)
	v_add3_u32 v83, v85, v83, 0x7fff
                                        ; implicit-def: $vgpr85
; %bb.18:
	s_and_not1_saveexec_b32 s4, s4
; %bb.19:
	v_and_b32_e32 v83, 0xffff, v85
	v_or_b32_e32 v90, 0x10000, v85
	s_delay_alu instid0(VALU_DEP_2) | instskip(NEXT) | instid1(VALU_DEP_2)
	v_cmp_eq_u32_e32 vcc_lo, 0, v83
	v_cndmask_b32_e32 v83, v90, v85, vcc_lo
; %bb.20:
	s_or_b32 exec_lo, exec_lo, s4
	v_and_b32_e32 v85, 0x7f800000, v86
	s_delay_alu instid0(VALU_DEP_1) | instskip(SKIP_1) | instid1(SALU_CYCLE_1)
	v_cmp_ne_u32_e32 vcc_lo, 0x7f800000, v85
                                        ; implicit-def: $vgpr85
	s_and_saveexec_b32 s4, vcc_lo
	s_xor_b32 s4, exec_lo, s4
; %bb.21:
	v_bfe_u32 v85, v86, 16, 1
	s_delay_alu instid0(VALU_DEP_1)
	v_add3_u32 v85, v86, v85, 0x7fff
                                        ; implicit-def: $vgpr86
; %bb.22:
	s_and_not1_saveexec_b32 s4, s4
; %bb.23:
	v_and_b32_e32 v85, 0xffff, v86
	v_or_b32_e32 v90, 0x10000, v86
	s_delay_alu instid0(VALU_DEP_2) | instskip(NEXT) | instid1(VALU_DEP_2)
	v_cmp_eq_u32_e32 vcc_lo, 0, v85
	v_cndmask_b32_e32 v85, v90, v86, vcc_lo
; %bb.24:
	s_or_b32 exec_lo, exec_lo, s4
	v_and_b32_e32 v86, 0x7f800000, v89
	s_delay_alu instid0(VALU_DEP_1) | instskip(SKIP_1) | instid1(SALU_CYCLE_1)
	v_cmp_ne_u32_e32 vcc_lo, 0x7f800000, v86
                                        ; implicit-def: $vgpr86
	s_and_saveexec_b32 s4, vcc_lo
	s_xor_b32 s4, exec_lo, s4
; %bb.25:
	v_bfe_u32 v86, v89, 16, 1
	s_delay_alu instid0(VALU_DEP_1)
	v_add3_u32 v86, v89, v86, 0x7fff
                                        ; implicit-def: $vgpr89
; %bb.26:
	s_and_not1_saveexec_b32 s4, s4
; %bb.27:
	v_and_b32_e32 v86, 0xffff, v89
	v_or_b32_e32 v90, 0x10000, v89
	s_delay_alu instid0(VALU_DEP_2) | instskip(NEXT) | instid1(VALU_DEP_2)
	v_cmp_eq_u32_e32 vcc_lo, 0, v86
	v_cndmask_b32_e32 v86, v90, v89, vcc_lo
; %bb.28:
	s_or_b32 exec_lo, exec_lo, s4
	v_and_b32_e32 v89, 0x7f800000, v88
	s_delay_alu instid0(VALU_DEP_1) | instskip(SKIP_1) | instid1(SALU_CYCLE_1)
	v_cmp_ne_u32_e32 vcc_lo, 0x7f800000, v89
                                        ; implicit-def: $vgpr89
	s_and_saveexec_b32 s4, vcc_lo
	s_xor_b32 s4, exec_lo, s4
; %bb.29:
	v_bfe_u32 v89, v88, 16, 1
	s_delay_alu instid0(VALU_DEP_1)
	v_add3_u32 v89, v88, v89, 0x7fff
                                        ; implicit-def: $vgpr88
; %bb.30:
	s_and_not1_saveexec_b32 s4, s4
; %bb.31:
	v_and_b32_e32 v89, 0xffff, v88
	v_or_b32_e32 v90, 0x10000, v88
	s_delay_alu instid0(VALU_DEP_2) | instskip(NEXT) | instid1(VALU_DEP_2)
	v_cmp_eq_u32_e32 vcc_lo, 0, v89
	v_cndmask_b32_e32 v89, v90, v88, vcc_lo
; %bb.32:
	s_or_b32 exec_lo, exec_lo, s4
	v_and_b32_e32 v88, 0x7f800000, v87
	s_delay_alu instid0(VALU_DEP_1) | instskip(SKIP_1) | instid1(SALU_CYCLE_1)
	v_cmp_ne_u32_e32 vcc_lo, 0x7f800000, v88
                                        ; implicit-def: $vgpr88
	s_and_saveexec_b32 s4, vcc_lo
	s_xor_b32 s4, exec_lo, s4
; %bb.33:
	v_bfe_u32 v88, v87, 16, 1
	s_delay_alu instid0(VALU_DEP_1)
	v_add3_u32 v88, v87, v88, 0x7fff
                                        ; implicit-def: $vgpr87
; %bb.34:
	s_and_not1_saveexec_b32 s4, s4
; %bb.35:
	v_and_b32_e32 v88, 0xffff, v87
	v_or_b32_e32 v90, 0x10000, v87
	s_delay_alu instid0(VALU_DEP_2) | instskip(NEXT) | instid1(VALU_DEP_2)
	v_cmp_eq_u32_e32 vcc_lo, 0, v88
	v_cndmask_b32_e32 v88, v90, v87, vcc_lo
; %bb.36:
	s_or_b32 exec_lo, exec_lo, s4
	v_and_b32_e32 v87, 0x7f800000, v84
	s_delay_alu instid0(VALU_DEP_1) | instskip(SKIP_1) | instid1(SALU_CYCLE_1)
	v_cmp_ne_u32_e32 vcc_lo, 0x7f800000, v87
                                        ; implicit-def: $vgpr87
	s_and_saveexec_b32 s4, vcc_lo
	s_xor_b32 s4, exec_lo, s4
; %bb.37:
	v_bfe_u32 v87, v84, 16, 1
	s_delay_alu instid0(VALU_DEP_1)
	v_add3_u32 v87, v84, v87, 0x7fff
                                        ; implicit-def: $vgpr84
; %bb.38:
	s_and_not1_saveexec_b32 s4, s4
; %bb.39:
	v_and_b32_e32 v87, 0xffff, v84
	v_or_b32_e32 v90, 0x10000, v84
	s_delay_alu instid0(VALU_DEP_2) | instskip(NEXT) | instid1(VALU_DEP_2)
	v_cmp_eq_u32_e32 vcc_lo, 0, v87
	v_cndmask_b32_e32 v87, v90, v84, vcc_lo
; %bb.40:
	s_or_b32 exec_lo, exec_lo, s4
	v_and_b32_e32 v84, 0x7f800000, v80
	s_delay_alu instid0(VALU_DEP_1) | instskip(SKIP_1) | instid1(SALU_CYCLE_1)
	v_cmp_ne_u32_e32 vcc_lo, 0x7f800000, v84
                                        ; implicit-def: $vgpr84
	s_and_saveexec_b32 s4, vcc_lo
	s_xor_b32 s4, exec_lo, s4
; %bb.41:
	v_bfe_u32 v84, v80, 16, 1
	s_delay_alu instid0(VALU_DEP_1)
	v_add3_u32 v84, v80, v84, 0x7fff
                                        ; implicit-def: $vgpr80
; %bb.42:
	s_and_not1_saveexec_b32 s4, s4
; %bb.43:
	v_and_b32_e32 v84, 0xffff, v80
	v_or_b32_e32 v90, 0x10000, v80
	s_delay_alu instid0(VALU_DEP_2) | instskip(NEXT) | instid1(VALU_DEP_2)
	v_cmp_eq_u32_e32 vcc_lo, 0, v84
	v_cndmask_b32_e32 v84, v90, v80, vcc_lo
; %bb.44:
	s_or_b32 exec_lo, exec_lo, s4
	s_load_b64 s[36:37], s[0:1], 0x94
	v_lshlrev_b32_e32 v91, 4, v74
	s_delay_alu instid0(VALU_DEP_2)
	v_perm_b32 v90, v84, v87, 0x7060302
	v_dual_mul_f32 v79, v82, v79 :: v_dual_lshlrev_b32 v80, 6, v65
	v_dual_mul_f32 v77, v82, v77 :: v_dual_lshlrev_b32 v92, 11, v66
	v_mul_f32_e32 v84, v82, v70
	v_perm_b32 v89, v88, v89, 0x7060302
	v_perm_b32 v88, v86, v85, 0x7060302
	;; [unrolled: 1-line block ×3, first 2 shown]
	v_mul_f32_e32 v70, v82, v81
	v_or3_b32 v76, v91, v92, v80
	v_dual_mul_f32 v78, v82, v78 :: v_dual_and_b32 v85, 0x7f800000, v84
	v_mul_f32_e32 v83, v82, v72
	v_mul_f32_e32 v81, v82, v71
	;; [unrolled: 1-line block ×3, first 2 shown]
	s_mov_b32 s4, exec_lo
	ds_store_b128 v76, v[87:90]
                                        ; implicit-def: $vgpr69
	v_cmpx_ne_u32_e32 0x7f800000, v85
	s_xor_b32 s4, exec_lo, s4
; %bb.45:
	v_bfe_u32 v69, v84, 16, 1
	s_delay_alu instid0(VALU_DEP_1)
	v_add3_u32 v69, v84, v69, 0x7fff
                                        ; implicit-def: $vgpr84
; %bb.46:
	s_and_not1_saveexec_b32 s4, s4
; %bb.47:
	v_and_b32_e32 v69, 0xffff, v84
	v_or_b32_e32 v71, 0x10000, v84
	s_delay_alu instid0(VALU_DEP_2) | instskip(NEXT) | instid1(VALU_DEP_2)
	v_cmp_eq_u32_e32 vcc_lo, 0, v69
	v_cndmask_b32_e32 v69, v71, v84, vcc_lo
; %bb.48:
	s_or_b32 exec_lo, exec_lo, s4
	v_and_b32_e32 v71, 0x7f800000, v72
	s_delay_alu instid0(VALU_DEP_1) | instskip(SKIP_1) | instid1(SALU_CYCLE_1)
	v_cmp_ne_u32_e32 vcc_lo, 0x7f800000, v71
                                        ; implicit-def: $vgpr71
	s_and_saveexec_b32 s4, vcc_lo
	s_xor_b32 s4, exec_lo, s4
; %bb.49:
	v_bfe_u32 v71, v72, 16, 1
	s_delay_alu instid0(VALU_DEP_1)
	v_add3_u32 v71, v72, v71, 0x7fff
                                        ; implicit-def: $vgpr72
; %bb.50:
	s_and_not1_saveexec_b32 s4, s4
; %bb.51:
	v_and_b32_e32 v71, 0xffff, v72
	v_or_b32_e32 v82, 0x10000, v72
	s_delay_alu instid0(VALU_DEP_2) | instskip(NEXT) | instid1(VALU_DEP_2)
	v_cmp_eq_u32_e32 vcc_lo, 0, v71
	v_cndmask_b32_e32 v71, v82, v72, vcc_lo
; %bb.52:
	s_or_b32 exec_lo, exec_lo, s4
	v_and_b32_e32 v72, 0x7f800000, v81
	s_delay_alu instid0(VALU_DEP_1) | instskip(SKIP_1) | instid1(SALU_CYCLE_1)
	v_cmp_ne_u32_e32 vcc_lo, 0x7f800000, v72
                                        ; implicit-def: $vgpr72
	s_and_saveexec_b32 s4, vcc_lo
	s_xor_b32 s4, exec_lo, s4
; %bb.53:
	v_bfe_u32 v72, v81, 16, 1
	s_delay_alu instid0(VALU_DEP_1)
	v_add3_u32 v72, v81, v72, 0x7fff
                                        ; implicit-def: $vgpr81
; %bb.54:
	s_and_not1_saveexec_b32 s4, s4
; %bb.55:
	v_and_b32_e32 v72, 0xffff, v81
	v_or_b32_e32 v82, 0x10000, v81
	s_delay_alu instid0(VALU_DEP_2) | instskip(NEXT) | instid1(VALU_DEP_2)
	v_cmp_eq_u32_e32 vcc_lo, 0, v72
	v_cndmask_b32_e32 v72, v82, v81, vcc_lo
; %bb.56:
	s_or_b32 exec_lo, exec_lo, s4
	v_and_b32_e32 v81, 0x7f800000, v83
	s_delay_alu instid0(VALU_DEP_1) | instskip(SKIP_1) | instid1(SALU_CYCLE_1)
	v_cmp_ne_u32_e32 vcc_lo, 0x7f800000, v81
                                        ; implicit-def: $vgpr81
	s_and_saveexec_b32 s4, vcc_lo
	s_xor_b32 s4, exec_lo, s4
; %bb.57:
	v_bfe_u32 v81, v83, 16, 1
	s_delay_alu instid0(VALU_DEP_1)
	v_add3_u32 v81, v83, v81, 0x7fff
                                        ; implicit-def: $vgpr83
; %bb.58:
	s_and_not1_saveexec_b32 s4, s4
; %bb.59:
	v_and_b32_e32 v81, 0xffff, v83
	v_or_b32_e32 v82, 0x10000, v83
	s_delay_alu instid0(VALU_DEP_2) | instskip(NEXT) | instid1(VALU_DEP_2)
	v_cmp_eq_u32_e32 vcc_lo, 0, v81
	v_cndmask_b32_e32 v81, v82, v83, vcc_lo
; %bb.60:
	s_or_b32 exec_lo, exec_lo, s4
	v_and_b32_e32 v82, 0x7f800000, v77
	s_delay_alu instid0(VALU_DEP_1) | instskip(SKIP_1) | instid1(SALU_CYCLE_1)
	v_cmp_ne_u32_e32 vcc_lo, 0x7f800000, v82
                                        ; implicit-def: $vgpr82
	s_and_saveexec_b32 s4, vcc_lo
	s_xor_b32 s4, exec_lo, s4
; %bb.61:
	v_bfe_u32 v82, v77, 16, 1
	s_delay_alu instid0(VALU_DEP_1)
	v_add3_u32 v82, v77, v82, 0x7fff
                                        ; implicit-def: $vgpr77
; %bb.62:
	s_and_not1_saveexec_b32 s4, s4
; %bb.63:
	v_and_b32_e32 v82, 0xffff, v77
	v_or_b32_e32 v83, 0x10000, v77
	s_delay_alu instid0(VALU_DEP_2) | instskip(NEXT) | instid1(VALU_DEP_2)
	v_cmp_eq_u32_e32 vcc_lo, 0, v82
	v_cndmask_b32_e32 v82, v83, v77, vcc_lo
; %bb.64:
	s_or_b32 exec_lo, exec_lo, s4
	v_and_b32_e32 v77, 0x7f800000, v78
	s_delay_alu instid0(VALU_DEP_1) | instskip(SKIP_1) | instid1(SALU_CYCLE_1)
	v_cmp_ne_u32_e32 vcc_lo, 0x7f800000, v77
                                        ; implicit-def: $vgpr77
	s_and_saveexec_b32 s4, vcc_lo
	s_xor_b32 s4, exec_lo, s4
; %bb.65:
	v_bfe_u32 v77, v78, 16, 1
	s_delay_alu instid0(VALU_DEP_1)
	v_add3_u32 v77, v78, v77, 0x7fff
                                        ; implicit-def: $vgpr78
; %bb.66:
	s_and_not1_saveexec_b32 s4, s4
; %bb.67:
	v_and_b32_e32 v77, 0xffff, v78
	v_or_b32_e32 v83, 0x10000, v78
	s_delay_alu instid0(VALU_DEP_2) | instskip(NEXT) | instid1(VALU_DEP_2)
	v_cmp_eq_u32_e32 vcc_lo, 0, v77
	v_cndmask_b32_e32 v77, v83, v78, vcc_lo
; %bb.68:
	s_or_b32 exec_lo, exec_lo, s4
	v_and_b32_e32 v78, 0x7f800000, v79
	s_delay_alu instid0(VALU_DEP_1) | instskip(SKIP_1) | instid1(SALU_CYCLE_1)
	v_cmp_ne_u32_e32 vcc_lo, 0x7f800000, v78
                                        ; implicit-def: $vgpr78
	s_and_saveexec_b32 s4, vcc_lo
	s_xor_b32 s4, exec_lo, s4
; %bb.69:
	v_bfe_u32 v78, v79, 16, 1
	s_delay_alu instid0(VALU_DEP_1)
	v_add3_u32 v78, v79, v78, 0x7fff
                                        ; implicit-def: $vgpr79
; %bb.70:
	s_and_not1_saveexec_b32 s4, s4
; %bb.71:
	v_and_b32_e32 v78, 0xffff, v79
	v_or_b32_e32 v83, 0x10000, v79
	s_delay_alu instid0(VALU_DEP_2) | instskip(NEXT) | instid1(VALU_DEP_2)
	v_cmp_eq_u32_e32 vcc_lo, 0, v78
	v_cndmask_b32_e32 v78, v83, v79, vcc_lo
; %bb.72:
	s_or_b32 exec_lo, exec_lo, s4
	v_and_b32_e32 v79, 0x7f800000, v70
	s_delay_alu instid0(VALU_DEP_1) | instskip(SKIP_1) | instid1(SALU_CYCLE_1)
	v_cmp_ne_u32_e32 vcc_lo, 0x7f800000, v79
                                        ; implicit-def: $vgpr79
	s_and_saveexec_b32 s4, vcc_lo
	s_xor_b32 s4, exec_lo, s4
; %bb.73:
	v_bfe_u32 v79, v70, 16, 1
	s_delay_alu instid0(VALU_DEP_1)
	v_add3_u32 v79, v70, v79, 0x7fff
                                        ; implicit-def: $vgpr70
; %bb.74:
	s_and_not1_saveexec_b32 s4, s4
; %bb.75:
	v_and_b32_e32 v79, 0xffff, v70
	v_or_b32_e32 v83, 0x10000, v70
	s_delay_alu instid0(VALU_DEP_2) | instskip(NEXT) | instid1(VALU_DEP_2)
	v_cmp_eq_u32_e32 vcc_lo, 0, v79
	v_cndmask_b32_e32 v79, v83, v70, vcc_lo
; %bb.76:
	s_or_b32 exec_lo, exec_lo, s4
	s_delay_alu instid0(VALU_DEP_1)
	v_perm_b32 v86, v79, v78, 0x7060302
	v_perm_b32 v85, v77, v82, 0x7060302
	;; [unrolled: 1-line block ×4, first 2 shown]
	v_lshl_or_b32 v82, v66, 11, v80
	ds_store_b128 v76, v[83:86] offset:1024
	s_waitcnt lgkmcnt(0)
	s_barrier
	buffer_gl0_inv
	ds_load_b128 v[69:72], v82
	ds_load_b128 v[83:86], v82 offset:16
	s_waitcnt lgkmcnt(1)
	v_lshrrev_b32_e32 v66, 16, v69
	s_waitcnt lgkmcnt(0)
	v_lshrrev_b32_e32 v91, 16, v83
	v_lshlrev_b32_e32 v78, 2, v74
	v_lshrrev_b32_e32 v95, 16, v70
	v_lshrrev_b32_e32 v98, 16, v84
	;; [unrolled: 1-line block ×4, first 2 shown]
	v_cmp_eq_u32_e32 vcc_lo, 1, v78
	v_lshrrev_b32_e32 v97, 16, v72
	v_lshrrev_b32_e32 v100, 16, v86
	v_cndmask_b32_e32 v87, v83, v91, vcc_lo
	v_or_b32_e32 v79, 1, v78
	v_cndmask_b32_e32 v81, v69, v66, vcc_lo
	v_cmp_eq_u32_e64 s5, 2, v78
	v_cmp_eq_u32_e64 s8, 3, v78
	;; [unrolled: 1-line block ×5, first 2 shown]
	v_cndmask_b32_e64 v81, v81, v70, s5
	v_cndmask_b32_e64 v87, v87, v84, s5
	v_cmp_eq_u32_e64 s9, 3, v79
	v_cndmask_b32_e64 v88, v69, v66, s4
	v_or_b32_e32 v77, 2, v78
	v_cndmask_b32_e64 v81, v81, v95, s8
	v_cndmask_b32_e64 v87, v87, v98, s8
	;; [unrolled: 1-line block ×4, first 2 shown]
	v_cmp_eq_u32_e64 s11, 5, v78
	v_cndmask_b32_e64 v81, v81, v71, s10
	v_cndmask_b32_e64 v87, v87, v85, s10
	v_cmp_eq_u32_e64 s12, 4, v79
	v_cndmask_b32_e64 v88, v88, v95, s9
	v_cmp_eq_u32_e64 s6, 1, v77
	v_cndmask_b32_e64 v89, v89, v84, s7
	v_cndmask_b32_e64 v81, v81, v96, s11
	v_cmp_eq_u32_e64 s13, 6, v78
	v_cndmask_b32_e64 v88, v88, v71, s12
	v_cndmask_b32_e64 v87, v87, v99, s11
	v_cmp_eq_u32_e64 s15, 5, v79
	v_cndmask_b32_e64 v90, v69, v66, s6
	v_cndmask_b32_e64 v89, v89, v98, s9
	v_cndmask_b32_e64 v81, v81, v72, s13
	v_cmp_eq_u32_e64 s16, 7, v78
	v_cndmask_b32_e64 v88, v88, v96, s15
	v_cndmask_b32_e64 v87, v87, v86, s13
	v_cmp_eq_u32_e64 s17, 6, v79
	v_cmp_eq_u32_e64 s18, 2, v77
	v_cndmask_b32_e64 v89, v89, v85, s12
	v_cndmask_b32_e64 v101, v81, v97, s16
	;; [unrolled: 1-line block ×6, first 2 shown]
	v_cmp_eq_u32_e64 s19, 7, v79
	v_cmp_eq_u32_e64 s20, 3, v77
	;; [unrolled: 1-line block ×4, first 2 shown]
	v_cndmask_b32_e64 v87, v87, v84, s18
	v_cndmask_b32_e64 v103, v88, v97, s19
	v_cndmask_b32_e64 v88, v89, v99, s15
	v_cndmask_b32_e64 v89, v81, v95, s20
	v_or_b32_e32 v81, 3, v78
	v_cndmask_b32_e64 v93, v87, v98, s20
	v_cmp_eq_u32_e64 s25, 6, v77
	v_cndmask_b32_e64 v104, v88, v86, s17
	v_cndmask_b32_e64 v92, v89, v71, s21
	v_cmp_eq_u32_e64 s22, 1, v81
	ds_load_b128 v[87:90], v82 offset:1024
	v_cmp_eq_u32_e64 s24, 2, v81
	v_cmp_eq_u32_e64 s26, 3, v81
	v_cndmask_b32_e64 v105, v92, v96, s23
	v_cndmask_b32_e64 v66, v69, v66, s22
	;; [unrolled: 1-line block ×4, first 2 shown]
	ds_load_b128 v[91:94], v82 offset:1040
	v_cmp_eq_u32_e64 s27, 4, v81
	v_cndmask_b32_e64 v66, v66, v70, s24
	v_cmp_eq_u32_e64 s28, 7, v77
	v_cndmask_b32_e64 v70, v83, v84, s24
	v_cndmask_b32_e64 v84, v105, v72, s25
	v_cmp_eq_u32_e64 s29, 5, v81
	v_cndmask_b32_e64 v66, v66, v95, s26
	v_cmp_eq_u32_e64 s30, 6, v81
	v_cndmask_b32_e64 v70, v70, v98, s26
	v_cndmask_b32_e64 v69, v69, v99, s23
	;; [unrolled: 1-line block ×4, first 2 shown]
	s_waitcnt lgkmcnt(1)
	v_lshrrev_b32_e32 v95, 16, v87
	v_cndmask_b32_e64 v70, v70, v85, s27
	v_cndmask_b32_e64 v71, v84, v97, s28
	;; [unrolled: 1-line block ×4, first 2 shown]
	v_cndmask_b32_e32 v84, v87, v95, vcc_lo
	v_cndmask_b32_e64 v70, v70, v99, s29
	s_waitcnt lgkmcnt(0)
	v_lshrrev_b32_e32 v85, 16, v91
	v_lshrrev_b32_e32 v96, 16, v88
	v_cndmask_b32_e64 v98, v87, v95, s4
	v_cndmask_b32_e64 v84, v84, v88, s5
	;; [unrolled: 1-line block ×3, first 2 shown]
	v_cndmask_b32_e32 v99, v91, v85, vcc_lo
	v_cmp_eq_u32_e32 vcc_lo, 7, v81
	v_cndmask_b32_e64 v66, v66, v72, s30
	v_cndmask_b32_e64 v72, v84, v96, s8
	;; [unrolled: 1-line block ×3, first 2 shown]
	v_lshrrev_b32_e32 v98, 16, v92
	v_cndmask_b32_e32 v70, v70, v100, vcc_lo
	v_cndmask_b32_e64 v86, v99, v92, s5
	v_cndmask_b32_e64 v69, v69, v100, s28
	v_lshrrev_b32_e32 v100, 16, v93
	v_cndmask_b32_e64 v72, v72, v89, s10
	v_lshrrev_b32_e32 v99, 16, v89
	v_cndmask_b32_e64 v86, v86, v98, s8
	v_perm_b32 v71, v69, v71, 0x5040100
	v_cndmask_b32_e64 v84, v84, v96, s9
	s_delay_alu instid0(VALU_DEP_3) | instskip(NEXT) | instid1(VALU_DEP_2)
	v_cndmask_b32_e64 v86, v86, v93, s10
	v_cndmask_b32_e64 v84, v84, v89, s12
	s_delay_alu instid0(VALU_DEP_2) | instskip(NEXT) | instid1(VALU_DEP_1)
	v_cndmask_b32_e64 v86, v86, v100, s11
	v_cndmask_b32_e64 v69, v86, v94, s13
	;; [unrolled: 1-line block ×5, first 2 shown]
	s_delay_alu instid0(VALU_DEP_3) | instskip(NEXT) | instid1(VALU_DEP_3)
	v_cndmask_b32_e64 v86, v86, v88, s18
	v_cndmask_b32_e64 v87, v87, v88, s24
	s_delay_alu instid0(VALU_DEP_3) | instskip(NEXT) | instid1(VALU_DEP_3)
	v_cndmask_b32_e64 v88, v95, v92, s24
	v_cndmask_b32_e64 v86, v86, v96, s20
	;; [unrolled: 3-line block ×7, first 2 shown]
	s_delay_alu instid0(VALU_DEP_3) | instskip(SKIP_2) | instid1(VALU_DEP_2)
	v_cndmask_b32_e64 v88, v88, v94, s30
	v_cndmask_b32_e32 v66, v66, v97, vcc_lo
	v_cndmask_b32_e64 v97, v72, v99, s11
	v_perm_b32 v72, v70, v66, 0x5040100
	v_perm_b32 v70, v83, v103, 0x5040100
	v_cndmask_b32_e64 v103, v91, v85, s6
	v_cndmask_b32_e64 v85, v91, v85, s4
	;; [unrolled: 1-line block ×4, first 2 shown]
	v_lshrrev_b32_e32 v97, 16, v90
	v_cndmask_b32_e64 v91, v103, v92, s18
	v_cndmask_b32_e64 v85, v85, v92, s7
	;; [unrolled: 1-line block ×3, first 2 shown]
	s_mov_b32 s4, exec_lo
	v_cndmask_b32_e64 v83, v84, v97, s16
	v_cndmask_b32_e64 v91, v91, v98, s20
	;; [unrolled: 1-line block ×3, first 2 shown]
	v_lshrrev_b32_e32 v84, 16, v94
	v_cndmask_b32_e64 v66, v66, v97, s19
	v_cndmask_b32_e64 v90, v86, v97, s28
	;; [unrolled: 1-line block ×4, first 2 shown]
	v_dual_cndmask_b32 v86, v87, v97 :: v_dual_cndmask_b32 v87, v88, v84
	v_cndmask_b32_e64 v91, v69, v84, s16
	s_delay_alu instid0(VALU_DEP_4) | instskip(NEXT) | instid1(VALU_DEP_4)
	v_cndmask_b32_e64 v89, v89, v100, s23
	v_cndmask_b32_e64 v85, v85, v100, s15
	v_perm_b32 v69, v102, v101, 0x5040100
	v_perm_b32 v86, v87, v86, 0x5040100
	;; [unrolled: 1-line block ×3, first 2 shown]
	v_cndmask_b32_e64 v89, v89, v94, s25
	v_cndmask_b32_e64 v85, v85, v94, s17
	s_mul_i32 s9, s37, 15
	s_delay_alu instid0(VALU_DEP_2) | instskip(NEXT) | instid1(VALU_DEP_2)
	v_cndmask_b32_e64 v88, v89, v84, s28
	v_cndmask_b32_e64 v89, v85, v84, s19
	s_delay_alu instid0(VALU_DEP_2) | instskip(NEXT) | instid1(VALU_DEP_2)
	v_perm_b32 v85, v88, v90, 0x5040100
	v_perm_b32 v84, v89, v66, 0x5040100
	ds_store_b128 v76, v[69:72]
	ds_store_b128 v76, v[83:86] offset:1024
	v_cmpx_gt_u32_e32 15, v0
	s_cbranch_execz .LBB1772_78
; %bb.77:
	s_mul_i32 s5, s9, s34
	s_load_b128 s[16:19], s[0:1], 0x58
	v_add3_u32 v69, s5, s31, v65
	s_delay_alu instid0(VALU_DEP_1) | instskip(NEXT) | instid1(VALU_DEP_1)
	v_mad_u64_u32 v[65:66], null, v69, s36, s[14:15]
	v_ashrrev_i32_e32 v66, 31, v65
	s_delay_alu instid0(VALU_DEP_1) | instskip(SKIP_1) | instid1(VALU_DEP_1)
	v_lshlrev_b64 v[65:66], 2, v[65:66]
	s_waitcnt lgkmcnt(0)
	v_add_co_u32 v69, vcc_lo, s18, v65
	s_delay_alu instid0(VALU_DEP_2)
	v_add_co_ci_u32_e32 v70, vcc_lo, s19, v66, vcc_lo
	v_add_co_u32 v65, vcc_lo, s16, v65
	v_add_co_ci_u32_e32 v66, vcc_lo, s17, v66, vcc_lo
	global_store_b32 v[69:70], v67, off
	global_store_b32 v[65:66], v68, off
.LBB1772_78:
	s_or_b32 exec_lo, exec_lo, s4
	s_waitcnt lgkmcnt(0)
	s_waitcnt_vscnt null, 0x0
	s_barrier
	buffer_gl0_inv
	ds_load_b128 v[83:86], v80
	ds_load_b128 v[87:90], v80 offset:16
	ds_load_b128 v[95:98], v80 offset:2064
	;; [unrolled: 1-line block ×3, first 2 shown]
	v_mov_b32_e32 v65, 0
	ds_load_b128 v[103:106], v80 offset:4112
	ds_load_b128 v[99:102], v80 offset:4096
	;; [unrolled: 1-line block ×4, first 2 shown]
	v_mov_b32_e32 v66, v65
	v_mov_b32_e32 v67, v65
	;; [unrolled: 1-line block ×7, first 2 shown]
	s_waitcnt lgkmcnt(6)
	s_delay_alu instid0(VALU_DEP_1)
	v_wmma_f32_16x16x16_bf16 v[65:72], v[57:64], v[83:90], v[65:72]
	ds_load_b128 v[61:64], v80 offset:8208
	ds_load_b128 v[57:60], v80 offset:8192
	s_waitcnt lgkmcnt(6)
	v_wmma_f32_16x16x16_bf16 v[65:72], v[41:48], v[91:98], v[65:72]
	ds_load_b128 v[45:48], v80 offset:10256
	ds_load_b128 v[41:44], v80 offset:10240
	s_waitcnt lgkmcnt(6)
	;; [unrolled: 4-line block ×4, first 2 shown]
	v_wmma_f32_16x16x16_bf16 v[65:72], v[1:8], v[57:64], v[65:72]
	s_waitcnt lgkmcnt(4)
	s_delay_alu instid0(VALU_DEP_1) | instskip(SKIP_1) | instid1(VALU_DEP_1)
	v_wmma_f32_16x16x16_bf16 v[65:72], v[9:16], v[41:48], v[65:72]
	s_waitcnt lgkmcnt(2)
	v_wmma_f32_16x16x16_bf16 v[65:72], v[17:24], v[33:40], v[65:72]
	s_waitcnt lgkmcnt(0)
	s_delay_alu instid0(VALU_DEP_1) | instskip(NEXT) | instid1(VALU_DEP_1)
	v_wmma_f32_16x16x16_bf16 v[65:72], v[49:56], v[25:32], v[65:72]
	v_and_b32_e32 v1, 0x7f800000, v65
	s_delay_alu instid0(VALU_DEP_1) | instskip(SKIP_1) | instid1(SALU_CYCLE_1)
	v_cmp_ne_u32_e32 vcc_lo, 0x7f800000, v1
                                        ; implicit-def: $vgpr1
	s_and_saveexec_b32 s4, vcc_lo
	s_xor_b32 s4, exec_lo, s4
; %bb.79:
	v_bfe_u32 v1, v65, 16, 1
	s_delay_alu instid0(VALU_DEP_1)
	v_add3_u32 v1, v65, v1, 0x7fff
; %bb.80:
	s_and_not1_saveexec_b32 s4, s4
; %bb.81:
	v_and_b32_e32 v1, 0xffff, v65
	v_or_b32_e32 v2, 0x10000, v65
	s_delay_alu instid0(VALU_DEP_2) | instskip(NEXT) | instid1(VALU_DEP_2)
	v_cmp_eq_u32_e32 vcc_lo, 0, v1
	v_cndmask_b32_e32 v1, v2, v65, vcc_lo
; %bb.82:
	s_or_b32 exec_lo, exec_lo, s4
	v_and_b32_e32 v2, 0x7f800000, v66
	s_delay_alu instid0(VALU_DEP_1) | instskip(SKIP_1) | instid1(SALU_CYCLE_1)
	v_cmp_ne_u32_e32 vcc_lo, 0x7f800000, v2
                                        ; implicit-def: $vgpr2
	s_and_saveexec_b32 s4, vcc_lo
	s_xor_b32 s4, exec_lo, s4
; %bb.83:
	v_bfe_u32 v2, v66, 16, 1
	s_delay_alu instid0(VALU_DEP_1)
	v_add3_u32 v2, v66, v2, 0x7fff
; %bb.84:
	s_and_not1_saveexec_b32 s4, s4
; %bb.85:
	v_and_b32_e32 v2, 0xffff, v66
	v_or_b32_e32 v3, 0x10000, v66
	s_delay_alu instid0(VALU_DEP_2) | instskip(NEXT) | instid1(VALU_DEP_2)
	v_cmp_eq_u32_e32 vcc_lo, 0, v2
	v_cndmask_b32_e32 v2, v3, v66, vcc_lo
; %bb.86:
	s_or_b32 exec_lo, exec_lo, s4
	v_and_b32_e32 v3, 0x7f800000, v67
	s_delay_alu instid0(VALU_DEP_1) | instskip(SKIP_1) | instid1(SALU_CYCLE_1)
	v_cmp_ne_u32_e32 vcc_lo, 0x7f800000, v3
                                        ; implicit-def: $vgpr3
	s_and_saveexec_b32 s4, vcc_lo
	s_xor_b32 s4, exec_lo, s4
; %bb.87:
	v_bfe_u32 v3, v67, 16, 1
	s_delay_alu instid0(VALU_DEP_1)
	v_add3_u32 v3, v67, v3, 0x7fff
; %bb.88:
	s_and_not1_saveexec_b32 s4, s4
; %bb.89:
	v_and_b32_e32 v3, 0xffff, v67
	v_or_b32_e32 v4, 0x10000, v67
	s_delay_alu instid0(VALU_DEP_2) | instskip(NEXT) | instid1(VALU_DEP_2)
	v_cmp_eq_u32_e32 vcc_lo, 0, v3
	v_cndmask_b32_e32 v3, v4, v67, vcc_lo
; %bb.90:
	s_or_b32 exec_lo, exec_lo, s4
	v_and_b32_e32 v4, 0x7f800000, v68
	s_delay_alu instid0(VALU_DEP_1) | instskip(SKIP_1) | instid1(SALU_CYCLE_1)
	v_cmp_ne_u32_e32 vcc_lo, 0x7f800000, v4
                                        ; implicit-def: $vgpr4
	s_and_saveexec_b32 s4, vcc_lo
	s_xor_b32 s4, exec_lo, s4
; %bb.91:
	v_bfe_u32 v4, v68, 16, 1
	s_delay_alu instid0(VALU_DEP_1)
	v_add3_u32 v4, v68, v4, 0x7fff
; %bb.92:
	s_and_not1_saveexec_b32 s4, s4
; %bb.93:
	v_and_b32_e32 v4, 0xffff, v68
	v_or_b32_e32 v5, 0x10000, v68
	s_delay_alu instid0(VALU_DEP_2) | instskip(NEXT) | instid1(VALU_DEP_2)
	v_cmp_eq_u32_e32 vcc_lo, 0, v4
	v_cndmask_b32_e32 v4, v5, v68, vcc_lo
; %bb.94:
	s_or_b32 exec_lo, exec_lo, s4
	v_and_b32_e32 v5, 0x7f800000, v69
	s_delay_alu instid0(VALU_DEP_1) | instskip(SKIP_1) | instid1(SALU_CYCLE_1)
	v_cmp_ne_u32_e32 vcc_lo, 0x7f800000, v5
                                        ; implicit-def: $vgpr5
	s_and_saveexec_b32 s4, vcc_lo
	s_xor_b32 s4, exec_lo, s4
; %bb.95:
	v_bfe_u32 v5, v69, 16, 1
	s_delay_alu instid0(VALU_DEP_1)
	v_add3_u32 v5, v69, v5, 0x7fff
; %bb.96:
	s_and_not1_saveexec_b32 s4, s4
; %bb.97:
	v_and_b32_e32 v5, 0xffff, v69
	v_or_b32_e32 v6, 0x10000, v69
	s_delay_alu instid0(VALU_DEP_2) | instskip(NEXT) | instid1(VALU_DEP_2)
	v_cmp_eq_u32_e32 vcc_lo, 0, v5
	v_cndmask_b32_e32 v5, v6, v69, vcc_lo
; %bb.98:
	s_or_b32 exec_lo, exec_lo, s4
	v_and_b32_e32 v6, 0x7f800000, v70
	s_delay_alu instid0(VALU_DEP_1) | instskip(SKIP_1) | instid1(SALU_CYCLE_1)
	v_cmp_ne_u32_e32 vcc_lo, 0x7f800000, v6
                                        ; implicit-def: $vgpr6
	s_and_saveexec_b32 s4, vcc_lo
	s_xor_b32 s4, exec_lo, s4
; %bb.99:
	v_bfe_u32 v6, v70, 16, 1
	s_delay_alu instid0(VALU_DEP_1)
	v_add3_u32 v6, v70, v6, 0x7fff
; %bb.100:
	s_and_not1_saveexec_b32 s4, s4
; %bb.101:
	v_and_b32_e32 v6, 0xffff, v70
	v_or_b32_e32 v7, 0x10000, v70
	s_delay_alu instid0(VALU_DEP_2) | instskip(NEXT) | instid1(VALU_DEP_2)
	v_cmp_eq_u32_e32 vcc_lo, 0, v6
	v_cndmask_b32_e32 v6, v7, v70, vcc_lo
; %bb.102:
	s_or_b32 exec_lo, exec_lo, s4
	v_and_b32_e32 v7, 0x7f800000, v71
	s_delay_alu instid0(VALU_DEP_1) | instskip(SKIP_1) | instid1(SALU_CYCLE_1)
	v_cmp_ne_u32_e32 vcc_lo, 0x7f800000, v7
                                        ; implicit-def: $vgpr7
	s_and_saveexec_b32 s4, vcc_lo
	s_xor_b32 s4, exec_lo, s4
; %bb.103:
	v_bfe_u32 v7, v71, 16, 1
	s_delay_alu instid0(VALU_DEP_1)
	v_add3_u32 v7, v71, v7, 0x7fff
; %bb.104:
	s_and_not1_saveexec_b32 s4, s4
; %bb.105:
	v_and_b32_e32 v7, 0xffff, v71
	v_or_b32_e32 v8, 0x10000, v71
	s_delay_alu instid0(VALU_DEP_2) | instskip(NEXT) | instid1(VALU_DEP_2)
	v_cmp_eq_u32_e32 vcc_lo, 0, v7
	v_cndmask_b32_e32 v7, v8, v71, vcc_lo
; %bb.106:
	s_or_b32 exec_lo, exec_lo, s4
	v_and_b32_e32 v8, 0x7f800000, v72
	s_delay_alu instid0(VALU_DEP_1) | instskip(SKIP_1) | instid1(SALU_CYCLE_1)
	v_cmp_ne_u32_e32 vcc_lo, 0x7f800000, v8
                                        ; implicit-def: $vgpr8
	s_and_saveexec_b32 s4, vcc_lo
	s_xor_b32 s4, exec_lo, s4
; %bb.107:
	v_bfe_u32 v8, v72, 16, 1
	s_delay_alu instid0(VALU_DEP_1)
	v_add3_u32 v8, v72, v8, 0x7fff
                                        ; implicit-def: $vgpr65_vgpr66_vgpr67_vgpr68_vgpr69_vgpr70_vgpr71_vgpr72
; %bb.108:
	s_and_not1_saveexec_b32 s4, s4
; %bb.109:
	v_and_b32_e32 v8, 0xffff, v72
	v_or_b32_e32 v9, 0x10000, v72
	s_delay_alu instid0(VALU_DEP_2) | instskip(NEXT) | instid1(VALU_DEP_2)
	v_cmp_eq_u32_e32 vcc_lo, 0, v8
	v_cndmask_b32_e32 v8, v9, v72, vcc_lo
; %bb.110:
	s_or_b32 exec_lo, exec_lo, s4
	s_delay_alu instid0(VALU_DEP_1)
	v_perm_b32 v7, v8, v7, 0x7060302
	v_perm_b32 v6, v6, v5, 0x7060302
	;; [unrolled: 1-line block ×4, first 2 shown]
	s_barrier
	buffer_gl0_inv
	v_cmp_eq_u32_e32 vcc_lo, 1, v78
	ds_store_b128 v76, v[4:7]
	s_waitcnt lgkmcnt(0)
	s_barrier
	buffer_gl0_inv
	ds_load_b128 v[1:4], v82
	ds_load_b128 v[5:8], v82 offset:16
	v_cmp_eq_u32_e64 s4, 1, v79
	v_cmp_eq_u32_e64 s5, 2, v78
	;; [unrolled: 1-line block ×5, first 2 shown]
	s_waitcnt lgkmcnt(1)
	v_lshrrev_b32_e32 v9, 16, v1
	s_waitcnt lgkmcnt(0)
	v_lshrrev_b32_e32 v13, 16, v5
	v_lshrrev_b32_e32 v10, 16, v2
	v_lshrrev_b32_e32 v14, 16, v6
	v_lshrrev_b32_e32 v11, 16, v3
	v_cndmask_b32_e64 v19, v1, v9, s4
	v_cndmask_b32_e32 v18, v5, v13, vcc_lo
	v_cndmask_b32_e64 v20, v5, v13, s4
	v_cndmask_b32_e32 v17, v1, v9, vcc_lo
	v_cmp_eq_u32_e32 vcc_lo, 2, v79
	v_lshrrev_b32_e32 v15, 16, v7
	v_cmp_eq_u32_e64 s4, 1, v77
	v_lshrrev_b32_e32 v12, 16, v4
	v_lshrrev_b32_e32 v16, 16, v8
	v_cndmask_b32_e32 v20, v20, v6, vcc_lo
	v_cndmask_b32_e64 v17, v17, v2, s5
	v_cndmask_b32_e32 v19, v19, v2, vcc_lo
	v_cndmask_b32_e64 v18, v18, v6, s5
	v_cmp_eq_u32_e32 vcc_lo, 4, v78
	v_cmp_eq_u32_e64 s5, 3, v79
	v_cndmask_b32_e64 v17, v17, v10, s6
	v_cndmask_b32_e64 v21, v1, v9, s4
	;; [unrolled: 1-line block ×5, first 2 shown]
	v_cndmask_b32_e32 v17, v17, v3, vcc_lo
	v_cndmask_b32_e64 v20, v20, v14, s5
	v_cndmask_b32_e32 v18, v18, v7, vcc_lo
	v_cmp_eq_u32_e32 vcc_lo, 4, v79
	v_cmp_eq_u32_e64 s5, 5, v79
	v_cmp_eq_u32_e64 s4, 2, v81
	v_cndmask_b32_e64 v21, v21, v2, s8
	v_cmp_eq_u32_e64 s6, 5, v78
	v_cndmask_b32_e32 v19, v19, v3, vcc_lo
	v_cndmask_b32_e32 v20, v20, v7, vcc_lo
	v_cmp_eq_u32_e32 vcc_lo, 6, v79
	s_delay_alu instid0(VALU_DEP_4) | instskip(NEXT) | instid1(VALU_DEP_4)
	v_cndmask_b32_e64 v17, v17, v11, s6
	v_cndmask_b32_e64 v19, v19, v11, s5
	s_delay_alu instid0(VALU_DEP_4) | instskip(SKIP_1) | instid1(VALU_DEP_3)
	v_cndmask_b32_e64 v20, v20, v15, s5
	v_cmp_eq_u32_e64 s5, 1, v81
	v_cndmask_b32_e32 v19, v19, v4, vcc_lo
	v_cndmask_b32_e64 v18, v18, v15, s6
	s_delay_alu instid0(VALU_DEP_3)
	v_cndmask_b32_e64 v1, v1, v9, s5
	v_cndmask_b32_e64 v5, v5, v13, s5
	v_cmp_eq_u32_e64 s5, 3, v77
	v_cndmask_b32_e64 v13, v22, v6, s8
	v_cmp_eq_u32_e64 s8, 3, v81
	v_cndmask_b32_e64 v1, v1, v2, s4
	v_cndmask_b32_e64 v2, v5, v6, s4
	;; [unrolled: 1-line block ×3, first 2 shown]
	v_cmp_eq_u32_e64 s4, 4, v77
	v_cndmask_b32_e64 v6, v13, v14, s5
	v_cndmask_b32_e64 v1, v1, v10, s8
	v_cmp_eq_u32_e64 s5, 4, v81
	v_cndmask_b32_e64 v2, v2, v14, s8
	v_cndmask_b32_e64 v5, v9, v3, s4
	;; [unrolled: 3-line block ×3, first 2 shown]
	v_cndmask_b32_e64 v2, v2, v7, s5
	v_cmp_eq_u32_e64 s4, 5, v81
	v_cmp_eq_u32_e64 s6, 6, v78
	v_cndmask_b32_e64 v5, v5, v11, s8
	v_cmp_eq_u32_e64 s5, 6, v77
	v_cndmask_b32_e64 v3, v6, v15, s8
	v_cndmask_b32_e64 v1, v1, v11, s4
	v_cmp_eq_u32_e64 s8, 6, v81
	v_cndmask_b32_e64 v2, v2, v15, s4
	v_cndmask_b32_e64 v17, v17, v4, s6
	v_cndmask_b32_e64 v18, v18, v8, s6
	v_cmp_eq_u32_e64 s6, 7, v78
	v_cndmask_b32_e64 v5, v5, v4, s5
	;; [unrolled: 4-line block ×3, first 2 shown]
	v_cmp_eq_u32_e64 s5, 7, v77
	v_cndmask_b32_e32 v4, v20, v8, vcc_lo
	v_cndmask_b32_e64 v17, v17, v12, s6
	v_cndmask_b32_e64 v19, v19, v12, s7
	;; [unrolled: 1-line block ×8, first 2 shown]
	v_cmp_gt_u32_e32 vcc_lo, 32, v0
	v_perm_b32 v4, v2, v1, 0x5040100
	v_perm_b32 v3, v3, v5, 0x5040100
	v_perm_b32 v2, v6, v19, 0x5040100
	v_perm_b32 v1, v7, v17, 0x5040100
	s_and_b32 s2, vcc_lo, s2
	ds_store_b128 v76, v[1:4]
	s_waitcnt lgkmcnt(0)
	s_barrier
	buffer_gl0_inv
	s_and_saveexec_b32 s4, s2
	s_cbranch_execz .LBB1772_2
; %bb.111:
	s_load_b64 s[4:5], s[0:1], 0x68
	v_add_nc_u32_e32 v20, s31, v74
	v_lshlrev_b32_e32 v0, 10, v0
	v_lshlrev_b32_e32 v1, 4, v75
	s_lshl_b32 s0, s36, 6
	s_delay_alu instid0(SALU_CYCLE_1)
	s_mul_i32 s1, s0, s34
	v_add_nc_u32_e32 v2, 2, v20
	s_mul_i32 s6, s1, s9
	v_and_or_b32 v0, 0x3800, v0, v1
	v_mul_lo_u32 v1, v20, s0
	s_ashr_i32 s7, s6, 31
	v_mul_lo_u32 v11, v2, s0
	s_lshl_b64 s[6:7], s[6:7], 1
	v_add_nc_u32_e32 v3, 4, v20
	v_lshl_or_b32 v21, v74, 6, v0
	v_add_nc_u32_e32 v16, 6, v20
	v_ashrrev_i32_e32 v2, 31, v1
	s_delay_alu instid0(VALU_DEP_4)
	v_mul_lo_u32 v13, v3, s0
	s_waitcnt lgkmcnt(0)
	s_add_u32 s1, s4, s6
	s_addc_u32 s2, s5, s7
	s_lshl_b32 s4, s14, 6
	ds_load_b128 v[3:6], v21
	ds_load_b128 v[7:10], v21 offset:128
	s_ashr_i32 s5, s4, 31
	v_ashrrev_i32_e32 v12, 31, v11
	s_lshl_b64 s[4:5], s[4:5], 1
	v_lshlrev_b64 v[14:15], 1, v[1:2]
	s_add_u32 s1, s1, s4
	s_addc_u32 s2, s2, s5
	v_add_co_u32 v1, s1, s1, v73
	s_delay_alu instid0(VALU_DEP_1) | instskip(SKIP_1) | instid1(VALU_DEP_3)
	v_add_co_ci_u32_e64 v2, null, s2, 0, s1
	v_lshlrev_b64 v[11:12], 1, v[11:12]
	v_add_co_u32 v18, vcc_lo, v1, v14
	v_mul_lo_u32 v16, v16, s0
	s_delay_alu instid0(VALU_DEP_4) | instskip(NEXT) | instid1(VALU_DEP_4)
	v_add_co_ci_u32_e32 v19, vcc_lo, v2, v15, vcc_lo
	v_add_co_u32 v11, vcc_lo, v1, v11
	v_ashrrev_i32_e32 v14, 31, v13
	v_add_co_ci_u32_e32 v12, vcc_lo, v2, v12, vcc_lo
	v_add_nc_u32_e32 v15, 8, v20
	v_ashrrev_i32_e32 v17, 31, v16
	s_waitcnt lgkmcnt(1)
	global_store_b128 v[18:19], v[3:6], off
	v_lshlrev_b64 v[3:4], 1, v[13:14]
	s_waitcnt lgkmcnt(0)
	global_store_b128 v[11:12], v[7:10], off
	v_mul_lo_u32 v11, v15, s0
	v_add_nc_u32_e32 v7, 10, v20
	v_lshlrev_b64 v[5:6], 1, v[16:17]
	v_add_co_u32 v23, vcc_lo, v1, v3
	v_add_nc_u32_e32 v3, 12, v20
	s_delay_alu instid0(VALU_DEP_4)
	v_mul_lo_u32 v25, v7, s0
	v_ashrrev_i32_e32 v12, 31, v11
	v_add_co_ci_u32_e32 v24, vcc_lo, v2, v4, vcc_lo
	v_add_co_u32 v27, vcc_lo, v1, v5
	v_mul_lo_u32 v29, v3, s0
	v_add_co_ci_u32_e32 v28, vcc_lo, v2, v6, vcc_lo
	ds_load_b128 v[3:6], v21 offset:256
	ds_load_b128 v[7:10], v21 offset:384
	v_lshlrev_b64 v[31:32], 1, v[11:12]
	ds_load_b128 v[11:14], v21 offset:512
	ds_load_b128 v[15:18], v21 offset:640
	;; [unrolled: 1-line block ×3, first 2 shown]
	v_ashrrev_i32_e32 v26, 31, v25
	v_ashrrev_i32_e32 v30, 31, v29
	v_add_co_u32 v31, vcc_lo, v1, v31
	s_delay_alu instid0(VALU_DEP_3) | instskip(NEXT) | instid1(VALU_DEP_3)
	v_lshlrev_b64 v[25:26], 1, v[25:26]
	v_lshlrev_b64 v[29:30], 1, v[29:30]
	v_add_co_ci_u32_e32 v32, vcc_lo, v2, v32, vcc_lo
	s_delay_alu instid0(VALU_DEP_3) | instskip(NEXT) | instid1(VALU_DEP_4)
	v_add_co_u32 v25, vcc_lo, v1, v25
	v_add_co_ci_u32_e32 v26, vcc_lo, v2, v26, vcc_lo
	s_delay_alu instid0(VALU_DEP_4)
	v_add_co_u32 v29, vcc_lo, v1, v29
	v_add_co_ci_u32_e32 v30, vcc_lo, v2, v30, vcc_lo
	s_waitcnt lgkmcnt(4)
	global_store_b128 v[23:24], v[3:6], off
	s_waitcnt lgkmcnt(3)
	global_store_b128 v[27:28], v[7:10], off
	;; [unrolled: 2-line block ×5, first 2 shown]
	s_and_b32 exec_lo, exec_lo, s3
	s_cbranch_execz .LBB1772_2
; %bb.112:
	ds_load_b128 v[3:6], v0 offset:896
	s_add_i32 s1, s31, 14
	s_delay_alu instid0(SALU_CYCLE_1) | instskip(NEXT) | instid1(SALU_CYCLE_1)
	s_mul_i32 s0, s1, s0
	s_ashr_i32 s1, s0, 31
	s_delay_alu instid0(SALU_CYCLE_1) | instskip(NEXT) | instid1(SALU_CYCLE_1)
	s_lshl_b64 s[0:1], s[0:1], 1
	v_add_co_u32 v0, vcc_lo, v1, s0
	v_add_co_ci_u32_e32 v1, vcc_lo, s1, v2, vcc_lo
	s_waitcnt lgkmcnt(0)
	global_store_b128 v[0:1], v[3:6], off
	s_nop 0
	s_sendmsg sendmsg(MSG_DEALLOC_VGPRS)
	s_endpgm
	.section	.rodata,"a",@progbits
	.p2align	6, 0x0
	.amdhsa_kernel _Z39paged_attention_ll4mi_QKV_mfma16_kernelI14__hip_bfloat16hLN4vllm18Fp8KVCacheDataTypeE1ES0_Li32ELi64ELi256ELb1ELi15EL8MFMAType0EEvPKT_PKT0_S9_ifPKiSB_SB_iPKfiiiPfSE_PS4_PT2_iSD_SD_
		.amdhsa_group_segment_fixed_size 17472
		.amdhsa_private_segment_fixed_size 0
		.amdhsa_kernarg_size 400
		.amdhsa_user_sgpr_count 13
		.amdhsa_user_sgpr_dispatch_ptr 0
		.amdhsa_user_sgpr_queue_ptr 0
		.amdhsa_user_sgpr_kernarg_segment_ptr 1
		.amdhsa_user_sgpr_dispatch_id 0
		.amdhsa_user_sgpr_private_segment_size 0
		.amdhsa_wavefront_size32 1
		.amdhsa_uses_dynamic_stack 0
		.amdhsa_enable_private_segment 0
		.amdhsa_system_sgpr_workgroup_id_x 1
		.amdhsa_system_sgpr_workgroup_id_y 1
		.amdhsa_system_sgpr_workgroup_id_z 1
		.amdhsa_system_sgpr_workgroup_info 0
		.amdhsa_system_vgpr_workitem_id 0
		.amdhsa_next_free_vgpr 124
		.amdhsa_next_free_sgpr 42
		.amdhsa_reserve_vcc 1
		.amdhsa_float_round_mode_32 0
		.amdhsa_float_round_mode_16_64 0
		.amdhsa_float_denorm_mode_32 3
		.amdhsa_float_denorm_mode_16_64 3
		.amdhsa_dx10_clamp 1
		.amdhsa_ieee_mode 1
		.amdhsa_fp16_overflow 0
		.amdhsa_workgroup_processor_mode 1
		.amdhsa_memory_ordered 1
		.amdhsa_forward_progress 0
		.amdhsa_shared_vgpr_count 0
		.amdhsa_exception_fp_ieee_invalid_op 0
		.amdhsa_exception_fp_denorm_src 0
		.amdhsa_exception_fp_ieee_div_zero 0
		.amdhsa_exception_fp_ieee_overflow 0
		.amdhsa_exception_fp_ieee_underflow 0
		.amdhsa_exception_fp_ieee_inexact 0
		.amdhsa_exception_int_div_zero 0
	.end_amdhsa_kernel
	.section	.text._Z39paged_attention_ll4mi_QKV_mfma16_kernelI14__hip_bfloat16hLN4vllm18Fp8KVCacheDataTypeE1ES0_Li32ELi64ELi256ELb1ELi15EL8MFMAType0EEvPKT_PKT0_S9_ifPKiSB_SB_iPKfiiiPfSE_PS4_PT2_iSD_SD_,"axG",@progbits,_Z39paged_attention_ll4mi_QKV_mfma16_kernelI14__hip_bfloat16hLN4vllm18Fp8KVCacheDataTypeE1ES0_Li32ELi64ELi256ELb1ELi15EL8MFMAType0EEvPKT_PKT0_S9_ifPKiSB_SB_iPKfiiiPfSE_PS4_PT2_iSD_SD_,comdat
.Lfunc_end1772:
	.size	_Z39paged_attention_ll4mi_QKV_mfma16_kernelI14__hip_bfloat16hLN4vllm18Fp8KVCacheDataTypeE1ES0_Li32ELi64ELi256ELb1ELi15EL8MFMAType0EEvPKT_PKT0_S9_ifPKiSB_SB_iPKfiiiPfSE_PS4_PT2_iSD_SD_, .Lfunc_end1772-_Z39paged_attention_ll4mi_QKV_mfma16_kernelI14__hip_bfloat16hLN4vllm18Fp8KVCacheDataTypeE1ES0_Li32ELi64ELi256ELb1ELi15EL8MFMAType0EEvPKT_PKT0_S9_ifPKiSB_SB_iPKfiiiPfSE_PS4_PT2_iSD_SD_
                                        ; -- End function
	.section	.AMDGPU.csdata,"",@progbits
; Kernel info:
; codeLenInByte = 9028
; NumSgprs: 44
; NumVgprs: 124
; ScratchSize: 0
; MemoryBound: 0
; FloatMode: 240
; IeeeMode: 1
; LDSByteSize: 17472 bytes/workgroup (compile time only)
; SGPRBlocks: 5
; VGPRBlocks: 15
; NumSGPRsForWavesPerEU: 44
; NumVGPRsForWavesPerEU: 124
; Occupancy: 10
; WaveLimiterHint : 1
; COMPUTE_PGM_RSRC2:SCRATCH_EN: 0
; COMPUTE_PGM_RSRC2:USER_SGPR: 13
; COMPUTE_PGM_RSRC2:TRAP_HANDLER: 0
; COMPUTE_PGM_RSRC2:TGID_X_EN: 1
; COMPUTE_PGM_RSRC2:TGID_Y_EN: 1
; COMPUTE_PGM_RSRC2:TGID_Z_EN: 1
; COMPUTE_PGM_RSRC2:TIDIG_COMP_CNT: 0
	.section	.text._Z39paged_attention_ll4mi_QKV_mfma16_kernelI14__hip_bfloat16hLN4vllm18Fp8KVCacheDataTypeE1ES0_Li32ELi64ELi256ELb1ELi16EL8MFMAType0EEvPKT_PKT0_S9_ifPKiSB_SB_iPKfiiiPfSE_PS4_PT2_iSD_SD_,"axG",@progbits,_Z39paged_attention_ll4mi_QKV_mfma16_kernelI14__hip_bfloat16hLN4vllm18Fp8KVCacheDataTypeE1ES0_Li32ELi64ELi256ELb1ELi16EL8MFMAType0EEvPKT_PKT0_S9_ifPKiSB_SB_iPKfiiiPfSE_PS4_PT2_iSD_SD_,comdat
	.protected	_Z39paged_attention_ll4mi_QKV_mfma16_kernelI14__hip_bfloat16hLN4vllm18Fp8KVCacheDataTypeE1ES0_Li32ELi64ELi256ELb1ELi16EL8MFMAType0EEvPKT_PKT0_S9_ifPKiSB_SB_iPKfiiiPfSE_PS4_PT2_iSD_SD_ ; -- Begin function _Z39paged_attention_ll4mi_QKV_mfma16_kernelI14__hip_bfloat16hLN4vllm18Fp8KVCacheDataTypeE1ES0_Li32ELi64ELi256ELb1ELi16EL8MFMAType0EEvPKT_PKT0_S9_ifPKiSB_SB_iPKfiiiPfSE_PS4_PT2_iSD_SD_
	.globl	_Z39paged_attention_ll4mi_QKV_mfma16_kernelI14__hip_bfloat16hLN4vllm18Fp8KVCacheDataTypeE1ES0_Li32ELi64ELi256ELb1ELi16EL8MFMAType0EEvPKT_PKT0_S9_ifPKiSB_SB_iPKfiiiPfSE_PS4_PT2_iSD_SD_
	.p2align	8
	.type	_Z39paged_attention_ll4mi_QKV_mfma16_kernelI14__hip_bfloat16hLN4vllm18Fp8KVCacheDataTypeE1ES0_Li32ELi64ELi256ELb1ELi16EL8MFMAType0EEvPKT_PKT0_S9_ifPKiSB_SB_iPKfiiiPfSE_PS4_PT2_iSD_SD_,@function
_Z39paged_attention_ll4mi_QKV_mfma16_kernelI14__hip_bfloat16hLN4vllm18Fp8KVCacheDataTypeE1ES0_Li32ELi64ELi256ELb1ELi16EL8MFMAType0EEvPKT_PKT0_S9_ifPKiSB_SB_iPKfiiiPfSE_PS4_PT2_iSD_SD_: ; @_Z39paged_attention_ll4mi_QKV_mfma16_kernelI14__hip_bfloat16hLN4vllm18Fp8KVCacheDataTypeE1ES0_Li32ELi64ELi256ELb1ELi16EL8MFMAType0EEvPKT_PKT0_S9_ifPKiSB_SB_iPKfiiiPfSE_PS4_PT2_iSD_SD_
; %bb.0:
	s_load_b64 s[2:3], s[0:1], 0x30
	s_mov_b32 s30, s13
	s_waitcnt lgkmcnt(0)
	s_cmp_lg_u64 s[2:3], 0
	s_cselect_b32 s8, -1, 0
	s_ashr_i32 s31, s13, 31
	s_cmp_eq_u64 s[2:3], 0
	s_cbranch_scc1 .LBB1773_3
; %bb.1:
	s_lshl_b64 s[4:5], s[30:31], 2
	s_delay_alu instid0(SALU_CYCLE_1) | instskip(SKIP_4) | instid1(SALU_CYCLE_1)
	s_add_u32 s4, s2, s4
	s_addc_u32 s5, s3, s5
	s_load_b64 s[4:5], s[4:5], 0x0
	s_waitcnt lgkmcnt(0)
	s_sub_i32 s4, s5, s4
	s_cmp_eq_u32 s4, 1
	s_cselect_b32 s4, -1, 0
	s_delay_alu instid0(SALU_CYCLE_1)
	s_and_not1_b32 vcc_lo, exec_lo, s4
	s_cbranch_vccz .LBB1773_4
.LBB1773_2:
	s_endpgm
.LBB1773_3:
.LBB1773_4:
	s_load_b64 s[4:5], s[0:1], 0x28
	s_lshl_b64 s[6:7], s[30:31], 2
	s_waitcnt lgkmcnt(0)
	s_add_u32 s4, s4, s6
	s_addc_u32 s5, s5, s7
	s_lshl_b32 s12, s14, 8
	s_load_b32 s24, s[4:5], 0x0
	s_waitcnt lgkmcnt(0)
	s_cmp_ge_i32 s12, s24
	s_cbranch_scc1 .LBB1773_2
; %bb.5:
	s_clause 0x1
	s_load_b128 s[20:23], s[0:1], 0x8
	s_load_b64 s[4:5], s[0:1], 0x20
	s_and_not1_b32 vcc_lo, exec_lo, s8
	s_cbranch_vccnz .LBB1773_7
; %bb.6:
	s_add_u32 s2, s2, s6
	s_addc_u32 s3, s3, s7
	s_load_b32 s3, s[2:3], 0x0
	s_branch .LBB1773_8
.LBB1773_7:
	s_mov_b32 s3, s30
.LBB1773_8:
	s_load_b128 s[16:19], s[0:1], 0x48
	v_and_b32_e32 v66, 15, v0
	v_cmp_gt_u32_e32 vcc_lo, 0x100, v0
	v_lshrrev_b32_e32 v65, 5, v0
	v_and_b32_e32 v67, 31, v0
	v_and_b32_e32 v75, 1, v0
	v_lshlrev_b32_e32 v1, 3, v66
	v_cmp_gt_u32_e64 s2, 8, v66
	v_bfe_u32 v74, v0, 4, 1
	s_lshl_b32 s31, s15, 4
	s_delay_alu instid0(VALU_DEP_3) | instskip(NEXT) | instid1(VALU_DEP_3)
	v_lshlrev_b32_e32 v73, 1, v1
	s_and_b32 s7, vcc_lo, s2
	s_delay_alu instid0(SALU_CYCLE_1)
	s_and_saveexec_b32 s6, s7
	s_cbranch_execz .LBB1773_10
; %bb.9:
	v_lshl_or_b32 v5, v65, 1, v74
	s_load_b64 s[8:9], s[0:1], 0x0
	s_waitcnt lgkmcnt(0)
	s_mul_hi_i32 s11, s3, s16
	s_mul_i32 s10, s3, s16
	v_lshlrev_b32_e32 v6, 10, v66
	v_or_b32_e32 v1, s31, v5
	s_lshl_b64 s[10:11], s[10:11], 1
	v_lshlrev_b32_e32 v5, 6, v5
	v_lshlrev_b32_e32 v7, 10, v75
	v_and_b32_e32 v6, 0x3800, v6
	v_lshlrev_b32_e32 v1, 6, v1
	s_delay_alu instid0(VALU_DEP_2) | instskip(NEXT) | instid1(VALU_DEP_2)
	v_or3_b32 v5, v6, v7, v5
	v_ashrrev_i32_e32 v2, 31, v1
	s_delay_alu instid0(VALU_DEP_1) | instskip(SKIP_2) | instid1(VALU_DEP_1)
	v_lshlrev_b64 v[1:2], 1, v[1:2]
	s_add_u32 s3, s8, s10
	s_addc_u32 s7, s9, s11
	v_add_co_u32 v1, vcc_lo, s3, v1
	s_delay_alu instid0(VALU_DEP_2) | instskip(NEXT) | instid1(VALU_DEP_2)
	v_add_co_ci_u32_e32 v2, vcc_lo, s7, v2, vcc_lo
	v_add_co_u32 v1, vcc_lo, v1, v73
	s_delay_alu instid0(VALU_DEP_2)
	v_add_co_ci_u32_e32 v2, vcc_lo, 0, v2, vcc_lo
	global_load_b128 v[1:4], v[1:2], off
	s_waitcnt vmcnt(0)
	ds_store_b128 v5, v[1:4]
.LBB1773_10:
	s_or_b32 exec_lo, exec_lo, s6
	v_and_b32_e32 v1, 0xef, v0
	s_waitcnt lgkmcnt(0)
	s_add_i32 s3, s24, 31
	s_clause 0x1
	s_load_b32 s6, s[0:1], 0x38
	s_load_b32 s19, s[0:1], 0x1c
	s_ashr_i32 s7, s3, 31
	v_add_nc_u32_e32 v1, s12, v1
	s_lshr_b32 s7, s7, 27
	s_waitcnt lgkmcnt(0)
	s_add_i32 s3, s3, s7
	s_barrier
	v_ashrrev_i32_e32 v2, 31, v1
	v_or_b32_e32 v3, 16, v1
	s_ashr_i32 s3, s3, 5
	v_cmp_gt_i32_e32 vcc_lo, s24, v1
	s_add_i32 s3, s3, -1
	v_lshrrev_b32_e32 v2, 27, v2
	buffer_gl0_inv
	s_mul_i32 s27, s15, s18
	v_add_nc_u32_e32 v4, v1, v2
	s_mul_i32 s6, s30, s6
	s_delay_alu instid0(SALU_CYCLE_1) | instskip(NEXT) | instid1(VALU_DEP_1)
	s_ashr_i32 s7, s6, 31
	v_ashrrev_i32_e32 v4, 5, v4
	v_add_nc_u32_e32 v2, v3, v2
	s_lshl_b64 s[6:7], s[6:7], 2
	s_delay_alu instid0(SALU_CYCLE_1) | instskip(NEXT) | instid1(VALU_DEP_2)
	s_add_u32 s26, s4, s6
	v_cndmask_b32_e32 v1, s3, v4, vcc_lo
	s_delay_alu instid0(VALU_DEP_2)
	v_ashrrev_i32_e32 v2, 5, v2
	v_cmp_gt_i32_e32 vcc_lo, s24, v3
	s_addc_u32 s25, s5, s7
	s_ashr_i32 s28, s27, 31
	s_add_u32 s4, s20, s27
	s_addc_u32 s5, s21, s28
	v_cndmask_b32_e32 v3, s3, v2, vcc_lo
	v_ashrrev_i32_e32 v2, 31, v1
	s_lshl_b32 s6, s14, 3
	s_delay_alu instid0(SALU_CYCLE_1) | instskip(NEXT) | instid1(VALU_DEP_2)
	s_ashr_i32 s7, s6, 31
	v_ashrrev_i32_e32 v4, 31, v3
	s_delay_alu instid0(VALU_DEP_2) | instskip(SKIP_1) | instid1(SALU_CYCLE_1)
	v_lshlrev_b64 v[1:2], 2, v[1:2]
	s_lshl_b64 s[6:7], s[6:7], 2
	s_add_u32 s6, s26, s6
	s_delay_alu instid0(VALU_DEP_2) | instskip(SKIP_1) | instid1(VALU_DEP_2)
	v_lshlrev_b64 v[3:4], 2, v[3:4]
	s_addc_u32 s7, s25, s7
	v_add_co_u32 v1, vcc_lo, s26, v1
	v_add_co_ci_u32_e32 v2, vcc_lo, s25, v2, vcc_lo
	s_delay_alu instid0(VALU_DEP_3) | instskip(NEXT) | instid1(VALU_DEP_4)
	v_add_co_u32 v3, vcc_lo, s26, v3
	v_add_co_ci_u32_e32 v4, vcc_lo, s25, v4, vcc_lo
	s_clause 0x1
	global_load_b32 v5, v[1:2], off
	global_load_b32 v6, v[3:4], off
	s_or_b32 s8, s12, 32
	s_delay_alu instid0(SALU_CYCLE_1) | instskip(SKIP_2) | instid1(SALU_CYCLE_1)
	s_ashr_i32 s9, s8, 5
	s_cmp_lt_i32 s8, s24
	s_cselect_b32 s8, s9, s3
	s_ashr_i32 s9, s8, 31
	s_delay_alu instid0(SALU_CYCLE_1) | instskip(NEXT) | instid1(SALU_CYCLE_1)
	s_lshl_b64 s[8:9], s[8:9], 2
	s_add_u32 s8, s26, s8
	s_addc_u32 s9, s25, s9
	s_or_b32 s10, s12, 64
	s_delay_alu instid0(SALU_CYCLE_1) | instskip(SKIP_2) | instid1(SALU_CYCLE_1)
	s_ashr_i32 s11, s10, 5
	s_cmp_lt_i32 s10, s24
	s_cselect_b32 s10, s11, s3
	s_ashr_i32 s11, s10, 31
	s_delay_alu instid0(SALU_CYCLE_1) | instskip(NEXT) | instid1(SALU_CYCLE_1)
	s_lshl_b64 s[10:11], s[10:11], 2
	s_add_u32 s10, s26, s10
	s_addc_u32 s11, s25, s11
	;; [unrolled: 10-line block ×5, first 2 shown]
	s_clause 0x5
	s_load_b32 s21, s[6:7], 0x0
	s_load_b32 s13, s[8:9], 0x0
	;; [unrolled: 1-line block ×6, first 2 shown]
	s_or_b32 s6, s12, 0xc0
	s_delay_alu instid0(SALU_CYCLE_1) | instskip(SKIP_2) | instid1(SALU_CYCLE_1)
	s_ashr_i32 s7, s6, 5
	s_cmp_lt_i32 s6, s24
	s_cselect_b32 s10, s7, s3
	s_ashr_i32 s11, s10, 31
	s_delay_alu instid0(SALU_CYCLE_1) | instskip(NEXT) | instid1(SALU_CYCLE_1)
	s_lshl_b64 s[10:11], s[10:11], 2
	s_add_u32 s34, s26, s10
	s_addc_u32 s35, s25, s11
	s_or_b32 s11, s12, 0xe0
	s_delay_alu instid0(SALU_CYCLE_1) | instskip(SKIP_2) | instid1(SALU_CYCLE_1)
	s_ashr_i32 s29, s11, 5
	s_cmp_lt_i32 s11, s24
	s_cselect_b32 s36, s29, s3
	s_ashr_i32 s37, s36, 31
	s_waitcnt vmcnt(1)
	v_mad_i64_i32 v[1:2], null, v5, s17, s[4:5]
	s_waitcnt vmcnt(0)
	v_mad_i64_i32 v[3:4], null, v6, s17, s[4:5]
	s_mov_b32 s4, 0
	s_delay_alu instid0(SALU_CYCLE_1)
	s_mov_b32 s5, s4
	s_mov_b32 s6, s4
	;; [unrolled: 1-line block ×7, first 2 shown]
	s_delay_alu instid0(SALU_CYCLE_1) | instskip(SKIP_2) | instid1(VALU_DEP_3)
	v_dual_mov_b32 v108, s11 :: v_dual_lshlrev_b32 v5, 4, v66
	v_mov_b32_e32 v104, s7
	v_dual_mov_b32 v105, s8 :: v_dual_lshlrev_b32 v76, 6, v66
	v_add_co_u32 v1, vcc_lo, v1, v5
	v_add_co_ci_u32_e32 v2, vcc_lo, 0, v2, vcc_lo
	v_add_co_u32 v3, vcc_lo, v3, v5
	v_add_co_ci_u32_e32 v4, vcc_lo, 0, v4, vcc_lo
	s_clause 0x7
	global_load_b128 v[49:52], v[1:2], off
	global_load_b128 v[53:56], v[1:2], off offset:512
	global_load_b128 v[77:80], v[3:4], off offset:256
	;; [unrolled: 1-line block ×7, first 2 shown]
	v_dual_mov_b32 v102, s5 :: v_dual_lshlrev_b32 v1, 5, v66
	v_dual_mov_b32 v107, s10 :: v_dual_mov_b32 v106, s9
	v_mov_b32_e32 v103, s6
	v_mov_b32_e32 v101, s4
	s_lshl_b64 s[4:5], s[36:37], 2
	v_lshl_or_b32 v1, v65, 9, v1
	s_add_u32 s4, s26, s4
	s_addc_u32 s5, s25, s5
	s_load_b32 s3, s[34:35], 0x0
	ds_load_b128 v[109:112], v76
	ds_load_b128 v[113:116], v76 offset:1024
	s_load_b32 s4, s[4:5], 0x0
	s_add_u32 s6, s22, s27
	s_addc_u32 s7, s23, s28
	v_add_co_u32 v9, s6, s6, v1
	s_delay_alu instid0(VALU_DEP_1) | instskip(SKIP_1) | instid1(VALU_DEP_1)
	v_add_co_ci_u32_e64 v10, null, s7, 0, s6
	s_waitcnt lgkmcnt(0)
	v_mad_i64_i32 v[1:2], null, s21, s17, v[9:10]
	v_mad_i64_i32 v[3:4], null, s13, s17, v[9:10]
	;; [unrolled: 1-line block ×7, first 2 shown]
	s_clause 0x9
	global_load_b128 v[57:60], v[1:2], off
	global_load_b128 v[61:64], v[1:2], off offset:16
	global_load_b128 v[41:44], v[3:4], off
	global_load_b128 v[45:48], v[3:4], off offset:16
	;; [unrolled: 2-line block ×5, first 2 shown]
	v_mad_i64_i32 v[68:69], null, s4, s17, v[9:10]
	s_clause 0x3
	global_load_b128 v[9:12], v[13:14], off
	global_load_b128 v[13:16], v[13:14], off offset:16
	global_load_b128 v[17:20], v[21:22], off
	global_load_b128 v[21:24], v[21:22], off offset:16
	s_waitcnt vmcnt(20)
	v_wmma_f32_16x16x16_bf16 v[117:124], v[49:56], v[109:116], v[101:108]
	s_clause 0x1
	global_load_b128 v[49:52], v[68:69], off
	global_load_b128 v[53:56], v[68:69], off offset:16
	v_and_b32_e32 v68, 0xe0, v0
	v_mbcnt_lo_u32_b32 v69, -1, 0
	s_delay_alu instid0(VALU_DEP_2)
	v_add_nc_u32_e32 v68, s12, v68
	s_waitcnt vmcnt(20)
	v_wmma_f32_16x16x16_bf16 v[101:108], v[77:84], v[109:116], v[101:108]
	ds_load_b128 v[77:80], v76 offset:2048
	ds_load_b128 v[81:84], v76 offset:3072
	v_xor_b32_e32 v70, 16, v69
	s_waitcnt vmcnt(0) lgkmcnt(0)
	v_or_b32_e32 v68, v68, v74
	s_barrier
	buffer_gl0_inv
	v_cmp_gt_i32_e32 vcc_lo, 32, v70
	v_or_b32_e32 v71, 4, v68
	v_or_b32_e32 v72, 6, v68
	v_cmp_gt_i32_e64 s3, s24, v68
	v_or_b32_e32 v109, 8, v68
	s_delay_alu instid0(VALU_DEP_4) | instskip(NEXT) | instid1(VALU_DEP_4)
	v_cmp_gt_i32_e64 s4, s24, v71
	v_cmp_gt_i32_e64 s5, s24, v72
	s_delay_alu instid0(VALU_DEP_3)
	v_cmp_gt_i32_e64 s6, s24, v109
	v_wmma_f32_16x16x16_bf16 v[117:124], v[85:92], v[77:84], v[117:124]
	v_cndmask_b32_e32 v69, v69, v70, vcc_lo
	v_or_b32_e32 v70, 2, v68
	v_wmma_f32_16x16x16_bf16 v[101:108], v[93:100], v[77:84], v[101:108]
	v_or_b32_e32 v85, 10, v68
	v_dual_mul_f32 v80, s19, v124 :: v_dual_mul_f32 v93, s19, v119
	v_dual_mul_f32 v94, s19, v118 :: v_dual_mul_f32 v95, s19, v117
	s_delay_alu instid0(VALU_DEP_4) | instskip(SKIP_2) | instid1(VALU_DEP_4)
	v_mul_f32_e32 v96, s19, v108
	v_cmp_gt_i32_e32 vcc_lo, s24, v70
	v_dual_mul_f32 v83, s19, v121 :: v_dual_mul_f32 v84, s19, v120
	v_cndmask_b32_e64 v95, 0xff7fffff, v95, s3
	v_or_b32_e32 v86, 12, v68
	v_cndmask_b32_e32 v94, 0xff7fffff, v94, vcc_lo
	v_or_b32_e32 v87, 14, v68
	v_dual_mul_f32 v81, s19, v123 :: v_dual_mul_f32 v82, s19, v122
	v_cndmask_b32_e64 v93, 0xff7fffff, v93, s4
	v_cndmask_b32_e64 v72, 0xff7fffff, v84, s5
	v_max3_f32 v84, v95, 0xff7fffff, v94
	v_cmp_gt_i32_e64 s7, s24, v85
	v_or_b32_e32 v88, 16, v68
	v_or_b32_e32 v89, 18, v68
	v_cndmask_b32_e64 v83, 0xff7fffff, v83, s6
	v_max3_f32 v72, v84, v93, v72
	v_cndmask_b32_e64 v82, 0xff7fffff, v82, s7
	v_cmp_gt_i32_e64 s8, s24, v86
	v_cmp_gt_i32_e64 s9, s24, v87
	v_or_b32_e32 v90, 20, v68
	v_or_b32_e32 v91, 22, v68
	;; [unrolled: 1-line block ×6, first 2 shown]
	v_dual_mul_f32 v70, s19, v103 :: v_dual_mul_f32 v71, s19, v101
	v_mul_f32_e32 v68, s19, v102
	v_cndmask_b32_e64 v81, 0xff7fffff, v81, s8
	v_cndmask_b32_e64 v80, 0xff7fffff, v80, s9
	v_max3_f32 v72, v72, v83, v82
	v_cmp_gt_i32_e64 s10, s24, v88
	v_cmp_gt_i32_e64 s11, s24, v89
	v_dual_mul_f32 v99, s19, v105 :: v_dual_mul_f32 v100, s19, v104
	s_delay_alu instid0(VALU_DEP_4) | instskip(NEXT) | instid1(VALU_DEP_4)
	v_max3_f32 v72, v72, v81, v80
	v_cndmask_b32_e64 v71, 0xff7fffff, v71, s10
	s_delay_alu instid0(VALU_DEP_4) | instskip(SKIP_3) | instid1(VALU_DEP_4)
	v_cndmask_b32_e64 v68, 0xff7fffff, v68, s11
	v_cmp_gt_i32_e64 s12, s24, v90
	v_cmp_gt_i32_e64 s13, s24, v91
	v_dual_mul_f32 v97, s19, v107 :: v_dual_mul_f32 v98, s19, v106
	v_max3_f32 v68, v72, v71, v68
	s_delay_alu instid0(VALU_DEP_4) | instskip(NEXT) | instid1(VALU_DEP_4)
	v_cndmask_b32_e64 v70, 0xff7fffff, v70, s12
	v_cndmask_b32_e64 v80, 0xff7fffff, v100, s13
	v_cmp_gt_i32_e64 s15, s24, v92
	v_cmp_gt_i32_e64 s16, s24, v77
	;; [unrolled: 1-line block ×4, first 2 shown]
	v_max3_f32 v68, v68, v70, v80
	v_cndmask_b32_e64 v71, 0xff7fffff, v99, s15
	v_cndmask_b32_e64 v72, 0xff7fffff, v98, s16
	;; [unrolled: 1-line block ×4, first 2 shown]
	v_lshlrev_b32_e32 v90, 2, v69
	s_delay_alu instid0(VALU_DEP_4) | instskip(NEXT) | instid1(VALU_DEP_1)
	v_max3_f32 v68, v68, v71, v72
	v_max3_f32 v68, v68, v70, v77
	ds_bpermute_b32 v69, v90, v68
	s_waitcnt lgkmcnt(0)
	v_max_f32_e32 v69, v69, v69
	s_delay_alu instid0(VALU_DEP_1) | instskip(NEXT) | instid1(VALU_DEP_1)
	v_max_f32_e32 v81, v68, v69
	v_fma_f32 v68, s19, v117, -v81
	v_fma_f32 v69, s19, v118, -v81
	;; [unrolled: 1-line block ×5, first 2 shown]
	s_delay_alu instid0(VALU_DEP_4) | instskip(NEXT) | instid1(VALU_DEP_3)
	v_dual_mul_f32 v68, 0x3fb8aa3b, v68 :: v_dual_mul_f32 v69, 0x3fb8aa3b, v69
	v_dual_mul_f32 v70, 0x3fb8aa3b, v70 :: v_dual_mul_f32 v71, 0x3fb8aa3b, v71
	v_fma_f32 v78, s19, v123, -v81
	s_delay_alu instid0(VALU_DEP_3) | instskip(NEXT) | instid1(VALU_DEP_3)
	v_exp_f32_e32 v68, v68
	v_exp_f32_e32 v69, v69
	s_delay_alu instid0(VALU_DEP_2)
	v_exp_f32_e32 v70, v70
	v_mul_f32_e32 v72, 0x3fb8aa3b, v72
	v_exp_f32_e32 v71, v71
	v_mul_f32_e32 v78, 0x3fb8aa3b, v78
	v_fma_f32 v80, s19, v106, -v81
	v_cndmask_b32_e64 v82, 0, v68, s3
	s_delay_alu instid0(TRANS32_DEP_3) | instskip(SKIP_2) | instid1(TRANS32_DEP_3)
	v_cndmask_b32_e32 v77, 0, v69, vcc_lo
	v_fma_f32 v68, s19, v122, -v81
	v_exp_f32_e32 v72, v72
	v_cndmask_b32_e64 v83, 0, v70, s4
	v_add_f32_e32 v69, 0, v82
	v_fma_f32 v70, s19, v124, -v81
	v_mul_f32_e32 v68, 0x3fb8aa3b, v68
	v_cndmask_b32_e64 v85, 0, v71, s5
	v_fma_f32 v71, s19, v101, -v81
	s_delay_alu instid0(VALU_DEP_4) | instskip(NEXT) | instid1(VALU_DEP_4)
	v_dual_add_f32 v69, v69, v77 :: v_dual_mul_f32 v70, 0x3fb8aa3b, v70
	v_exp_f32_e32 v68, v68
	s_delay_alu instid0(TRANS32_DEP_2) | instskip(SKIP_1) | instid1(VALU_DEP_3)
	v_cndmask_b32_e64 v86, 0, v72, s6
	v_fma_f32 v72, s19, v102, -v81
	v_add_f32_e32 v69, v69, v83
	v_exp_f32_e32 v78, v78
	v_exp_f32_e32 v70, v70
	s_mov_b32 s3, exec_lo
	s_delay_alu instid0(VALU_DEP_1) | instskip(SKIP_1) | instid1(TRANS32_DEP_3)
	v_dual_mul_f32 v72, 0x3fb8aa3b, v72 :: v_dual_add_f32 v69, v69, v85
	v_mul_f32_e32 v71, 0x3fb8aa3b, v71
	v_cndmask_b32_e64 v87, 0, v68, s7
	s_delay_alu instid0(VALU_DEP_3) | instskip(NEXT) | instid1(VALU_DEP_3)
	v_exp_f32_e32 v72, v72
	v_add_f32_e32 v68, v69, v86
	v_fma_f32 v69, s19, v103, -v81
	v_exp_f32_e32 v71, v71
	v_cndmask_b32_e64 v84, 0, v78, s8
	v_fma_f32 v78, s19, v104, -v81
	s_delay_alu instid0(VALU_DEP_3) | instskip(SKIP_2) | instid1(VALU_DEP_3)
	v_dual_add_f32 v68, v68, v87 :: v_dual_mul_f32 v69, 0x3fb8aa3b, v69
	v_cndmask_b32_e64 v88, 0, v70, s9
	v_fma_f32 v70, s19, v105, -v81
	v_exp_f32_e32 v79, v69
	s_delay_alu instid0(TRANS32_DEP_2) | instskip(SKIP_1) | instid1(VALU_DEP_1)
	v_cndmask_b32_e64 v69, 0, v71, s10
	v_add_f32_e32 v68, v68, v84
	v_dual_mul_f32 v78, 0x3fb8aa3b, v78 :: v_dual_add_f32 v71, v68, v88
	s_delay_alu instid0(VALU_DEP_1) | instskip(SKIP_2) | instid1(VALU_DEP_3)
	v_exp_f32_e32 v78, v78
	v_cndmask_b32_e64 v68, 0, v72, s11
	v_fma_f32 v72, s19, v107, -v81
	v_dual_add_f32 v71, v71, v69 :: v_dual_mul_f32 v70, 0x3fb8aa3b, v70
	s_delay_alu instid0(VALU_DEP_1) | instskip(NEXT) | instid1(TRANS32_DEP_3)
	v_exp_f32_e32 v89, v70
	v_cndmask_b32_e64 v70, 0, v79, s12
	s_delay_alu instid0(VALU_DEP_2) | instskip(NEXT) | instid1(TRANS32_DEP_2)
	v_add_f32_e32 v79, v71, v68
	v_cndmask_b32_e64 v71, 0, v78, s13
	s_delay_alu instid0(VALU_DEP_2) | instskip(SKIP_2) | instid1(VALU_DEP_1)
	v_add_f32_e32 v78, v79, v70
	v_mul_f32_e32 v80, 0x3fb8aa3b, v80
	v_fma_f32 v79, s19, v108, -v81
	v_dual_mul_f32 v72, 0x3fb8aa3b, v72 :: v_dual_mul_f32 v79, 0x3fb8aa3b, v79
	s_delay_alu instid0(VALU_DEP_1) | instskip(NEXT) | instid1(TRANS32_DEP_2)
	v_exp_f32_e32 v91, v72
	v_cndmask_b32_e64 v72, 0, v89, s15
	v_add_f32_e32 v89, v78, v71
	v_exp_f32_e32 v80, v80
	s_waitcnt_depctr 0xfff
	v_cndmask_b32_e64 v78, 0, v80, s16
	v_add_f32_e32 v80, v89, v72
	v_exp_f32_e32 v89, v79
	v_cndmask_b32_e64 v79, 0, v91, s17
	s_delay_alu instid0(VALU_DEP_2) | instskip(NEXT) | instid1(VALU_DEP_1)
	v_add_f32_e32 v80, v80, v78
	v_add_f32_e32 v91, v80, v79
	s_waitcnt_depctr 0xfff
	v_cndmask_b32_e64 v80, 0, v89, s18
	s_delay_alu instid0(VALU_DEP_1)
	v_add_f32_e32 v89, v91, v80
	ds_bpermute_b32 v90, v90, v89
	v_cmpx_gt_u32_e32 16, v67
	s_cbranch_execz .LBB1773_12
; %bb.11:
	v_mul_u32_u24_e32 v67, 0x44, v65
	s_waitcnt lgkmcnt(0)
	v_add_f32_e32 v89, v89, v90
	s_delay_alu instid0(VALU_DEP_2) | instskip(NEXT) | instid1(VALU_DEP_1)
	v_lshl_add_u32 v67, v66, 2, v67
	v_add_nc_u32_e32 v67, 0x4000, v67
	ds_store_2addr_b32 v67, v81, v89 offset1:136
.LBB1773_12:
	s_or_b32 exec_lo, exec_lo, s3
	v_lshlrev_b32_e32 v66, 2, v66
	s_waitcnt lgkmcnt(0)
	s_barrier
	buffer_gl0_inv
	v_cmp_eq_u32_e32 vcc_lo, 1, v65
	v_add_nc_u32_e32 v81, 0x4000, v66
	v_cmp_eq_u32_e64 s3, 2, v65
	v_cmp_eq_u32_e64 s5, 7, v65
	ds_load_2addr_b32 v[89:90], v81 offset1:17
	ds_load_2addr_b32 v[91:92], v81 offset0:34 offset1:51
	ds_load_2addr_b32 v[93:94], v81 offset0:68 offset1:85
	;; [unrolled: 1-line block ×4, first 2 shown]
	s_waitcnt lgkmcnt(4)
	v_max3_f32 v66, v89, 0xff7fffff, v90
	s_waitcnt lgkmcnt(3)
	s_delay_alu instid0(VALU_DEP_1) | instskip(SKIP_1) | instid1(VALU_DEP_1)
	v_max3_f32 v66, v66, v91, v92
	s_waitcnt lgkmcnt(2)
	v_max3_f32 v66, v66, v93, v94
	s_waitcnt lgkmcnt(1)
	s_delay_alu instid0(VALU_DEP_1) | instskip(NEXT) | instid1(VALU_DEP_1)
	v_max3_f32 v66, v66, v95, v96
	v_sub_f32_e32 v67, v89, v66
	v_sub_f32_e32 v91, v91, v66
	v_sub_f32_e32 v93, v93, v66
	s_delay_alu instid0(VALU_DEP_3) | instskip(NEXT) | instid1(VALU_DEP_3)
	v_mul_f32_e32 v67, 0x3fb8aa3b, v67
	v_mul_f32_e32 v101, 0x3fb8aa3b, v91
	s_delay_alu instid0(VALU_DEP_3) | instskip(NEXT) | instid1(VALU_DEP_3)
	v_mul_f32_e32 v103, 0x3fb8aa3b, v93
	v_exp_f32_e32 v100, v67
	v_sub_f32_e32 v67, v92, v66
	v_sub_f32_e32 v99, v90, v66
	ds_load_2addr_b32 v[89:90], v81 offset0:170 offset1:187
	ds_load_2addr_b32 v[91:92], v81 offset0:204 offset1:221
	v_exp_f32_e32 v101, v101
	v_mul_f32_e32 v102, 0x3fb8aa3b, v67
	v_mul_f32_e32 v99, 0x3fb8aa3b, v99
	s_waitcnt lgkmcnt(2)
	v_fma_f32 v67, v100, v97, 0
	v_sub_f32_e32 v97, v94, v66
	s_delay_alu instid0(VALU_DEP_3)
	v_exp_f32_e32 v99, v99
	v_exp_f32_e32 v102, v102
	ds_load_2addr_b32 v[93:94], v81 offset0:238 offset1:255
	v_sub_f32_e32 v81, v95, v66
	v_mul_f32_e32 v95, 0x3fb8aa3b, v97
	v_exp_f32_e32 v97, v103
	s_waitcnt lgkmcnt(0)
	s_barrier
	v_mul_f32_e32 v81, 0x3fb8aa3b, v81
	v_exp_f32_e32 v95, v95
	v_fmac_f32_e32 v67, v99, v98
	buffer_gl0_inv
	v_exp_f32_e32 v81, v81
	v_fmac_f32_e32 v67, v101, v89
	v_sub_f32_e32 v89, v96, v66
	s_delay_alu instid0(VALU_DEP_2) | instskip(NEXT) | instid1(VALU_DEP_2)
	v_fmac_f32_e32 v67, v102, v90
	v_mul_f32_e32 v89, 0x3fb8aa3b, v89
	s_delay_alu instid0(VALU_DEP_2) | instskip(NEXT) | instid1(VALU_DEP_2)
	v_fmac_f32_e32 v67, v97, v91
	v_exp_f32_e32 v89, v89
	s_delay_alu instid0(VALU_DEP_1)
	v_fmac_f32_e32 v67, v95, v92
	s_delay_alu instid0(TRANS32_DEP_2) | instid1(VALU_DEP_1)
	v_fmac_f32_e32 v67, v81, v93
	s_waitcnt_depctr 0xfff
	v_fmac_f32_e32 v67, v89, v94
	s_delay_alu instid0(VALU_DEP_1) | instskip(NEXT) | instid1(VALU_DEP_1)
	v_add_f32_e32 v90, 0x358637bd, v67
	v_div_scale_f32 v91, null, v90, v90, 1.0
	v_div_scale_f32 v94, s4, 1.0, v90, 1.0
	s_delay_alu instid0(VALU_DEP_2) | instskip(SKIP_2) | instid1(VALU_DEP_1)
	v_rcp_f32_e32 v92, v91
	s_waitcnt_depctr 0xfff
	v_fma_f32 v93, -v91, v92, 1.0
	v_dual_fmac_f32 v92, v93, v92 :: v_dual_cndmask_b32 v93, v100, v99
	v_cmp_eq_u32_e32 vcc_lo, 3, v65
	s_delay_alu instid0(VALU_DEP_2) | instskip(NEXT) | instid1(VALU_DEP_3)
	v_mul_f32_e32 v96, v94, v92
	v_cndmask_b32_e64 v93, v93, v101, s3
	v_cmp_eq_u32_e64 s3, 4, v65
	s_delay_alu instid0(VALU_DEP_3) | instskip(NEXT) | instid1(VALU_DEP_3)
	v_fma_f32 v98, -v91, v96, v94
	v_cndmask_b32_e32 v93, v93, v102, vcc_lo
	v_cmp_eq_u32_e32 vcc_lo, 5, v65
	s_delay_alu instid0(VALU_DEP_3) | instskip(NEXT) | instid1(VALU_DEP_3)
	v_fmac_f32_e32 v96, v98, v92
	v_cndmask_b32_e64 v93, v93, v97, s3
	v_cmp_eq_u32_e64 s3, 6, v65
	s_delay_alu instid0(VALU_DEP_3) | instskip(NEXT) | instid1(VALU_DEP_3)
	v_fma_f32 v91, -v91, v96, v94
	v_cndmask_b32_e32 v93, v93, v95, vcc_lo
	s_mov_b32 vcc_lo, s4
	s_delay_alu instid0(VALU_DEP_2) | instskip(NEXT) | instid1(VALU_DEP_2)
	v_div_fmas_f32 v91, v91, v92, v96
	v_cndmask_b32_e64 v81, v93, v81, s3
	s_mov_b32 s3, exec_lo
	s_delay_alu instid0(VALU_DEP_2) | instskip(NEXT) | instid1(VALU_DEP_2)
	v_div_fixup_f32 v90, v91, v90, 1.0
	v_cndmask_b32_e64 v81, v81, v89, s5
	s_delay_alu instid0(VALU_DEP_1) | instskip(NEXT) | instid1(VALU_DEP_1)
	v_mul_f32_e32 v81, v81, v90
	v_mul_f32_e32 v90, v81, v82
	;; [unrolled: 1-line block ×6, first 2 shown]
	v_dual_mul_f32 v86, v81, v83 :: v_dual_and_b32 v91, 0x7f800000, v90
	v_mul_f32_e32 v89, v81, v85
	v_mul_f32_e32 v85, v81, v77
                                        ; implicit-def: $vgpr77
	s_delay_alu instid0(VALU_DEP_3)
	v_cmpx_ne_u32_e32 0x7f800000, v91
	s_xor_b32 s3, exec_lo, s3
; %bb.13:
	v_bfe_u32 v77, v90, 16, 1
	s_delay_alu instid0(VALU_DEP_1)
	v_add3_u32 v77, v90, v77, 0x7fff
                                        ; implicit-def: $vgpr90
; %bb.14:
	s_and_not1_saveexec_b32 s3, s3
; %bb.15:
	v_and_b32_e32 v77, 0xffff, v90
	v_or_b32_e32 v83, 0x10000, v90
	s_delay_alu instid0(VALU_DEP_2) | instskip(NEXT) | instid1(VALU_DEP_2)
	v_cmp_eq_u32_e32 vcc_lo, 0, v77
	v_cndmask_b32_e32 v77, v83, v90, vcc_lo
; %bb.16:
	s_or_b32 exec_lo, exec_lo, s3
	v_and_b32_e32 v83, 0x7f800000, v85
	s_delay_alu instid0(VALU_DEP_1) | instskip(SKIP_1) | instid1(SALU_CYCLE_1)
	v_cmp_ne_u32_e32 vcc_lo, 0x7f800000, v83
                                        ; implicit-def: $vgpr83
	s_and_saveexec_b32 s3, vcc_lo
	s_xor_b32 s3, exec_lo, s3
; %bb.17:
	v_bfe_u32 v83, v85, 16, 1
	s_delay_alu instid0(VALU_DEP_1)
	v_add3_u32 v83, v85, v83, 0x7fff
                                        ; implicit-def: $vgpr85
; %bb.18:
	s_and_not1_saveexec_b32 s3, s3
; %bb.19:
	v_and_b32_e32 v83, 0xffff, v85
	v_or_b32_e32 v90, 0x10000, v85
	s_delay_alu instid0(VALU_DEP_2) | instskip(NEXT) | instid1(VALU_DEP_2)
	v_cmp_eq_u32_e32 vcc_lo, 0, v83
	v_cndmask_b32_e32 v83, v90, v85, vcc_lo
; %bb.20:
	s_or_b32 exec_lo, exec_lo, s3
	v_and_b32_e32 v85, 0x7f800000, v86
	s_delay_alu instid0(VALU_DEP_1) | instskip(SKIP_1) | instid1(SALU_CYCLE_1)
	v_cmp_ne_u32_e32 vcc_lo, 0x7f800000, v85
                                        ; implicit-def: $vgpr85
	s_and_saveexec_b32 s3, vcc_lo
	s_xor_b32 s3, exec_lo, s3
; %bb.21:
	v_bfe_u32 v85, v86, 16, 1
	s_delay_alu instid0(VALU_DEP_1)
	v_add3_u32 v85, v86, v85, 0x7fff
                                        ; implicit-def: $vgpr86
; %bb.22:
	s_and_not1_saveexec_b32 s3, s3
; %bb.23:
	v_and_b32_e32 v85, 0xffff, v86
	v_or_b32_e32 v90, 0x10000, v86
	s_delay_alu instid0(VALU_DEP_2) | instskip(NEXT) | instid1(VALU_DEP_2)
	v_cmp_eq_u32_e32 vcc_lo, 0, v85
	v_cndmask_b32_e32 v85, v90, v86, vcc_lo
; %bb.24:
	s_or_b32 exec_lo, exec_lo, s3
	v_and_b32_e32 v86, 0x7f800000, v89
	s_delay_alu instid0(VALU_DEP_1) | instskip(SKIP_1) | instid1(SALU_CYCLE_1)
	v_cmp_ne_u32_e32 vcc_lo, 0x7f800000, v86
                                        ; implicit-def: $vgpr86
	s_and_saveexec_b32 s3, vcc_lo
	s_xor_b32 s3, exec_lo, s3
; %bb.25:
	v_bfe_u32 v86, v89, 16, 1
	s_delay_alu instid0(VALU_DEP_1)
	v_add3_u32 v86, v89, v86, 0x7fff
                                        ; implicit-def: $vgpr89
; %bb.26:
	s_and_not1_saveexec_b32 s3, s3
; %bb.27:
	v_and_b32_e32 v86, 0xffff, v89
	v_or_b32_e32 v90, 0x10000, v89
	s_delay_alu instid0(VALU_DEP_2) | instskip(NEXT) | instid1(VALU_DEP_2)
	v_cmp_eq_u32_e32 vcc_lo, 0, v86
	v_cndmask_b32_e32 v86, v90, v89, vcc_lo
; %bb.28:
	s_or_b32 exec_lo, exec_lo, s3
	v_and_b32_e32 v89, 0x7f800000, v88
	s_delay_alu instid0(VALU_DEP_1) | instskip(SKIP_1) | instid1(SALU_CYCLE_1)
	v_cmp_ne_u32_e32 vcc_lo, 0x7f800000, v89
                                        ; implicit-def: $vgpr89
	s_and_saveexec_b32 s3, vcc_lo
	s_xor_b32 s3, exec_lo, s3
; %bb.29:
	v_bfe_u32 v89, v88, 16, 1
	s_delay_alu instid0(VALU_DEP_1)
	v_add3_u32 v89, v88, v89, 0x7fff
                                        ; implicit-def: $vgpr88
; %bb.30:
	s_and_not1_saveexec_b32 s3, s3
; %bb.31:
	v_and_b32_e32 v89, 0xffff, v88
	v_or_b32_e32 v90, 0x10000, v88
	s_delay_alu instid0(VALU_DEP_2) | instskip(NEXT) | instid1(VALU_DEP_2)
	v_cmp_eq_u32_e32 vcc_lo, 0, v89
	v_cndmask_b32_e32 v89, v90, v88, vcc_lo
; %bb.32:
	s_or_b32 exec_lo, exec_lo, s3
	v_and_b32_e32 v88, 0x7f800000, v87
	s_delay_alu instid0(VALU_DEP_1) | instskip(SKIP_1) | instid1(SALU_CYCLE_1)
	v_cmp_ne_u32_e32 vcc_lo, 0x7f800000, v88
                                        ; implicit-def: $vgpr88
	s_and_saveexec_b32 s3, vcc_lo
	s_xor_b32 s3, exec_lo, s3
; %bb.33:
	v_bfe_u32 v88, v87, 16, 1
	s_delay_alu instid0(VALU_DEP_1)
	v_add3_u32 v88, v87, v88, 0x7fff
                                        ; implicit-def: $vgpr87
; %bb.34:
	s_and_not1_saveexec_b32 s3, s3
; %bb.35:
	v_and_b32_e32 v88, 0xffff, v87
	v_or_b32_e32 v90, 0x10000, v87
	s_delay_alu instid0(VALU_DEP_2) | instskip(NEXT) | instid1(VALU_DEP_2)
	v_cmp_eq_u32_e32 vcc_lo, 0, v88
	v_cndmask_b32_e32 v88, v90, v87, vcc_lo
; %bb.36:
	s_or_b32 exec_lo, exec_lo, s3
	v_and_b32_e32 v87, 0x7f800000, v84
	s_delay_alu instid0(VALU_DEP_1) | instskip(SKIP_1) | instid1(SALU_CYCLE_1)
	v_cmp_ne_u32_e32 vcc_lo, 0x7f800000, v87
                                        ; implicit-def: $vgpr87
	s_and_saveexec_b32 s3, vcc_lo
	s_xor_b32 s3, exec_lo, s3
; %bb.37:
	v_bfe_u32 v87, v84, 16, 1
	s_delay_alu instid0(VALU_DEP_1)
	v_add3_u32 v87, v84, v87, 0x7fff
                                        ; implicit-def: $vgpr84
; %bb.38:
	s_and_not1_saveexec_b32 s3, s3
; %bb.39:
	v_and_b32_e32 v87, 0xffff, v84
	v_or_b32_e32 v90, 0x10000, v84
	s_delay_alu instid0(VALU_DEP_2) | instskip(NEXT) | instid1(VALU_DEP_2)
	v_cmp_eq_u32_e32 vcc_lo, 0, v87
	v_cndmask_b32_e32 v87, v90, v84, vcc_lo
; %bb.40:
	s_or_b32 exec_lo, exec_lo, s3
	v_and_b32_e32 v84, 0x7f800000, v82
	s_delay_alu instid0(VALU_DEP_1) | instskip(SKIP_1) | instid1(SALU_CYCLE_1)
	v_cmp_ne_u32_e32 vcc_lo, 0x7f800000, v84
                                        ; implicit-def: $vgpr84
	s_and_saveexec_b32 s3, vcc_lo
	s_xor_b32 s3, exec_lo, s3
; %bb.41:
	v_bfe_u32 v84, v82, 16, 1
	s_delay_alu instid0(VALU_DEP_1)
	v_add3_u32 v84, v82, v84, 0x7fff
                                        ; implicit-def: $vgpr82
; %bb.42:
	s_and_not1_saveexec_b32 s3, s3
; %bb.43:
	v_and_b32_e32 v84, 0xffff, v82
	v_or_b32_e32 v90, 0x10000, v82
	s_delay_alu instid0(VALU_DEP_2) | instskip(NEXT) | instid1(VALU_DEP_2)
	v_cmp_eq_u32_e32 vcc_lo, 0, v84
	v_cndmask_b32_e32 v84, v90, v82, vcc_lo
; %bb.44:
	s_or_b32 exec_lo, exec_lo, s3
	s_load_b64 s[34:35], s[0:1], 0x94
	v_lshlrev_b32_e32 v82, 4, v74
	s_delay_alu instid0(VALU_DEP_2)
	v_perm_b32 v90, v84, v87, 0x7060302
	v_lshlrev_b32_e32 v84, 11, v65
	v_perm_b32 v87, v83, v77, 0x7060302
	v_mul_f32_e32 v83, v81, v69
	v_mul_f32_e32 v69, v81, v80
	v_perm_b32 v89, v88, v89, 0x7060302
	v_perm_b32 v88, v86, v85, 0x7060302
	v_or3_b32 v77, v82, v84, v76
	v_mul_f32_e32 v79, v81, v79
	v_mul_f32_e32 v78, v81, v78
	v_and_b32_e32 v84, 0x7f800000, v83
	v_mul_f32_e32 v72, v81, v72
	v_mul_f32_e32 v82, v81, v71
	;; [unrolled: 1-line block ×4, first 2 shown]
	s_mov_b32 s3, exec_lo
	ds_store_b128 v77, v[87:90]
                                        ; implicit-def: $vgpr68
	v_cmpx_ne_u32_e32 0x7f800000, v84
	s_xor_b32 s3, exec_lo, s3
; %bb.45:
	v_bfe_u32 v68, v83, 16, 1
	s_delay_alu instid0(VALU_DEP_1)
	v_add3_u32 v68, v83, v68, 0x7fff
                                        ; implicit-def: $vgpr83
; %bb.46:
	s_and_not1_saveexec_b32 s3, s3
; %bb.47:
	v_and_b32_e32 v68, 0xffff, v83
	v_or_b32_e32 v70, 0x10000, v83
	s_delay_alu instid0(VALU_DEP_2) | instskip(NEXT) | instid1(VALU_DEP_2)
	v_cmp_eq_u32_e32 vcc_lo, 0, v68
	v_cndmask_b32_e32 v68, v70, v83, vcc_lo
; %bb.48:
	s_or_b32 exec_lo, exec_lo, s3
	v_and_b32_e32 v70, 0x7f800000, v71
	s_delay_alu instid0(VALU_DEP_1) | instskip(SKIP_1) | instid1(SALU_CYCLE_1)
	v_cmp_ne_u32_e32 vcc_lo, 0x7f800000, v70
                                        ; implicit-def: $vgpr70
	s_and_saveexec_b32 s3, vcc_lo
	s_xor_b32 s3, exec_lo, s3
; %bb.49:
	v_bfe_u32 v70, v71, 16, 1
	s_delay_alu instid0(VALU_DEP_1)
	v_add3_u32 v70, v71, v70, 0x7fff
                                        ; implicit-def: $vgpr71
; %bb.50:
	s_and_not1_saveexec_b32 s3, s3
; %bb.51:
	v_and_b32_e32 v70, 0xffff, v71
	v_or_b32_e32 v81, 0x10000, v71
	s_delay_alu instid0(VALU_DEP_2) | instskip(NEXT) | instid1(VALU_DEP_2)
	v_cmp_eq_u32_e32 vcc_lo, 0, v70
	v_cndmask_b32_e32 v70, v81, v71, vcc_lo
; %bb.52:
	s_or_b32 exec_lo, exec_lo, s3
	v_and_b32_e32 v71, 0x7f800000, v80
	s_delay_alu instid0(VALU_DEP_1) | instskip(SKIP_1) | instid1(SALU_CYCLE_1)
	v_cmp_ne_u32_e32 vcc_lo, 0x7f800000, v71
                                        ; implicit-def: $vgpr71
	s_and_saveexec_b32 s3, vcc_lo
	s_xor_b32 s3, exec_lo, s3
; %bb.53:
	v_bfe_u32 v71, v80, 16, 1
	s_delay_alu instid0(VALU_DEP_1)
	v_add3_u32 v71, v80, v71, 0x7fff
                                        ; implicit-def: $vgpr80
; %bb.54:
	s_and_not1_saveexec_b32 s3, s3
; %bb.55:
	v_and_b32_e32 v71, 0xffff, v80
	v_or_b32_e32 v81, 0x10000, v80
	s_delay_alu instid0(VALU_DEP_2) | instskip(NEXT) | instid1(VALU_DEP_2)
	v_cmp_eq_u32_e32 vcc_lo, 0, v71
	v_cndmask_b32_e32 v71, v81, v80, vcc_lo
; %bb.56:
	s_or_b32 exec_lo, exec_lo, s3
	v_and_b32_e32 v80, 0x7f800000, v82
	s_delay_alu instid0(VALU_DEP_1) | instskip(SKIP_1) | instid1(SALU_CYCLE_1)
	v_cmp_ne_u32_e32 vcc_lo, 0x7f800000, v80
                                        ; implicit-def: $vgpr80
	s_and_saveexec_b32 s3, vcc_lo
	s_xor_b32 s3, exec_lo, s3
; %bb.57:
	v_bfe_u32 v80, v82, 16, 1
	s_delay_alu instid0(VALU_DEP_1)
	v_add3_u32 v80, v82, v80, 0x7fff
                                        ; implicit-def: $vgpr82
; %bb.58:
	s_and_not1_saveexec_b32 s3, s3
; %bb.59:
	v_and_b32_e32 v80, 0xffff, v82
	v_or_b32_e32 v81, 0x10000, v82
	s_delay_alu instid0(VALU_DEP_2) | instskip(NEXT) | instid1(VALU_DEP_2)
	v_cmp_eq_u32_e32 vcc_lo, 0, v80
	v_cndmask_b32_e32 v80, v81, v82, vcc_lo
; %bb.60:
	s_or_b32 exec_lo, exec_lo, s3
	v_and_b32_e32 v81, 0x7f800000, v72
	s_delay_alu instid0(VALU_DEP_1) | instskip(SKIP_1) | instid1(SALU_CYCLE_1)
	v_cmp_ne_u32_e32 vcc_lo, 0x7f800000, v81
                                        ; implicit-def: $vgpr81
	s_and_saveexec_b32 s3, vcc_lo
	s_xor_b32 s3, exec_lo, s3
; %bb.61:
	v_bfe_u32 v81, v72, 16, 1
	s_delay_alu instid0(VALU_DEP_1)
	v_add3_u32 v81, v72, v81, 0x7fff
                                        ; implicit-def: $vgpr72
; %bb.62:
	s_and_not1_saveexec_b32 s3, s3
; %bb.63:
	v_and_b32_e32 v81, 0xffff, v72
	v_or_b32_e32 v82, 0x10000, v72
	s_delay_alu instid0(VALU_DEP_2) | instskip(NEXT) | instid1(VALU_DEP_2)
	v_cmp_eq_u32_e32 vcc_lo, 0, v81
	v_cndmask_b32_e32 v81, v82, v72, vcc_lo
; %bb.64:
	s_or_b32 exec_lo, exec_lo, s3
	v_and_b32_e32 v72, 0x7f800000, v78
	s_delay_alu instid0(VALU_DEP_1) | instskip(SKIP_1) | instid1(SALU_CYCLE_1)
	v_cmp_ne_u32_e32 vcc_lo, 0x7f800000, v72
                                        ; implicit-def: $vgpr72
	s_and_saveexec_b32 s3, vcc_lo
	s_xor_b32 s3, exec_lo, s3
; %bb.65:
	v_bfe_u32 v72, v78, 16, 1
	s_delay_alu instid0(VALU_DEP_1)
	v_add3_u32 v72, v78, v72, 0x7fff
                                        ; implicit-def: $vgpr78
; %bb.66:
	s_and_not1_saveexec_b32 s3, s3
; %bb.67:
	v_and_b32_e32 v72, 0xffff, v78
	v_or_b32_e32 v82, 0x10000, v78
	s_delay_alu instid0(VALU_DEP_2) | instskip(NEXT) | instid1(VALU_DEP_2)
	v_cmp_eq_u32_e32 vcc_lo, 0, v72
	v_cndmask_b32_e32 v72, v82, v78, vcc_lo
; %bb.68:
	s_or_b32 exec_lo, exec_lo, s3
	v_and_b32_e32 v78, 0x7f800000, v79
	s_delay_alu instid0(VALU_DEP_1) | instskip(SKIP_1) | instid1(SALU_CYCLE_1)
	v_cmp_ne_u32_e32 vcc_lo, 0x7f800000, v78
                                        ; implicit-def: $vgpr78
	s_and_saveexec_b32 s3, vcc_lo
	s_xor_b32 s3, exec_lo, s3
; %bb.69:
	v_bfe_u32 v78, v79, 16, 1
	s_delay_alu instid0(VALU_DEP_1)
	v_add3_u32 v78, v79, v78, 0x7fff
                                        ; implicit-def: $vgpr79
; %bb.70:
	s_and_not1_saveexec_b32 s3, s3
; %bb.71:
	v_and_b32_e32 v78, 0xffff, v79
	v_or_b32_e32 v82, 0x10000, v79
	s_delay_alu instid0(VALU_DEP_2) | instskip(NEXT) | instid1(VALU_DEP_2)
	v_cmp_eq_u32_e32 vcc_lo, 0, v78
	v_cndmask_b32_e32 v78, v82, v79, vcc_lo
; %bb.72:
	s_or_b32 exec_lo, exec_lo, s3
	v_and_b32_e32 v79, 0x7f800000, v69
	s_delay_alu instid0(VALU_DEP_1) | instskip(SKIP_1) | instid1(SALU_CYCLE_1)
	v_cmp_ne_u32_e32 vcc_lo, 0x7f800000, v79
                                        ; implicit-def: $vgpr79
	s_and_saveexec_b32 s3, vcc_lo
	s_xor_b32 s3, exec_lo, s3
; %bb.73:
	v_bfe_u32 v79, v69, 16, 1
	s_delay_alu instid0(VALU_DEP_1)
	v_add3_u32 v79, v69, v79, 0x7fff
                                        ; implicit-def: $vgpr69
; %bb.74:
	s_and_not1_saveexec_b32 s3, s3
; %bb.75:
	v_and_b32_e32 v79, 0xffff, v69
	v_or_b32_e32 v82, 0x10000, v69
	s_delay_alu instid0(VALU_DEP_2) | instskip(NEXT) | instid1(VALU_DEP_2)
	v_cmp_eq_u32_e32 vcc_lo, 0, v79
	v_cndmask_b32_e32 v79, v82, v69, vcc_lo
; %bb.76:
	s_or_b32 exec_lo, exec_lo, s3
	s_delay_alu instid0(VALU_DEP_1)
	v_perm_b32 v86, v79, v78, 0x7060302
	v_perm_b32 v85, v72, v81, 0x7060302
	;; [unrolled: 1-line block ×4, first 2 shown]
	v_lshl_or_b32 v82, v65, 11, v76
	v_lshlrev_b32_e32 v79, 2, v74
	ds_store_b128 v77, v[83:86] offset:1024
	s_waitcnt lgkmcnt(0)
	s_barrier
	buffer_gl0_inv
	ds_load_b128 v[68:71], v82
	ds_load_b128 v[83:86], v82 offset:16
	v_or_b32_e32 v80, 1, v79
	v_cmp_eq_u32_e32 vcc_lo, 1, v79
	v_cmp_eq_u32_e64 s4, 2, v79
	v_cmp_eq_u32_e64 s7, 3, v79
	;; [unrolled: 1-line block ×6, first 2 shown]
	v_or_b32_e32 v78, 2, v79
	v_cmp_eq_u32_e64 s10, 5, v79
	v_cmp_eq_u32_e64 s11, 4, v80
	;; [unrolled: 1-line block ×9, first 2 shown]
	s_waitcnt lgkmcnt(1)
	v_lshrrev_b32_e32 v65, 16, v68
	s_waitcnt lgkmcnt(0)
	v_lshrrev_b32_e32 v91, 16, v83
	v_lshrrev_b32_e32 v72, 16, v69
	;; [unrolled: 1-line block ×4, first 2 shown]
	v_cndmask_b32_e32 v81, v68, v65, vcc_lo
	v_cndmask_b32_e32 v87, v83, v91, vcc_lo
	v_cndmask_b32_e64 v88, v68, v65, s3
	v_lshrrev_b32_e32 v98, 16, v85
	v_cndmask_b32_e64 v89, v83, v91, s3
	v_cndmask_b32_e64 v81, v81, v69, s4
	v_cndmask_b32_e64 v87, v87, v84, s4
	v_cndmask_b32_e64 v88, v88, v69, s6
	v_lshrrev_b32_e32 v96, 16, v71
	v_cndmask_b32_e64 v89, v89, v84, s6
	v_cndmask_b32_e64 v81, v81, v72, s7
	v_cndmask_b32_e64 v87, v87, v97, s7
	;; [unrolled: 5-line block ×3, first 2 shown]
	v_cndmask_b32_e64 v88, v88, v70, s11
	v_cndmask_b32_e64 v89, v89, v97, s8
	v_cmp_eq_u32_e64 s19, 3, v78
	v_cndmask_b32_e64 v81, v81, v95, s10
	v_cndmask_b32_e64 v87, v87, v98, s10
	;; [unrolled: 1-line block ×4, first 2 shown]
	v_cmp_eq_u32_e64 s20, 4, v78
	v_cndmask_b32_e64 v81, v81, v71, s12
	v_cndmask_b32_e64 v87, v87, v86, s12
	;; [unrolled: 1-line block ×3, first 2 shown]
	v_cmp_eq_u32_e64 s22, 5, v78
	v_cmp_eq_u32_e64 s24, 6, v78
	v_cndmask_b32_e64 v100, v81, v96, s15
	v_cndmask_b32_e64 v101, v87, v99, s15
	;; [unrolled: 1-line block ×6, first 2 shown]
	v_cmp_eq_u32_e64 s27, 7, v78
	v_cndmask_b32_e64 v89, v81, v72, s19
	v_cndmask_b32_e64 v87, v87, v84, s17
	v_or_b32_e32 v81, 3, v79
	v_cndmask_b32_e64 v103, v88, v86, s16
	s_delay_alu instid0(VALU_DEP_4) | instskip(NEXT) | instid1(VALU_DEP_4)
	v_cndmask_b32_e64 v92, v89, v70, s20
	v_cndmask_b32_e64 v93, v87, v97, s19
	s_delay_alu instid0(VALU_DEP_4)
	v_cmp_eq_u32_e64 s21, 1, v81
	ds_load_b128 v[87:90], v82 offset:1024
	v_cmp_eq_u32_e64 s23, 2, v81
	v_cndmask_b32_e64 v104, v92, v95, s22
	v_cmp_eq_u32_e64 s25, 3, v81
	v_cndmask_b32_e64 v65, v68, v65, s21
	v_cndmask_b32_e64 v68, v93, v85, s20
	;; [unrolled: 1-line block ×3, first 2 shown]
	ds_load_b128 v[91:94], v82 offset:1040
	v_cmp_eq_u32_e64 s26, 4, v81
	v_cndmask_b32_e64 v65, v65, v69, s23
	v_cmp_eq_u32_e64 s28, 5, v81
	v_cndmask_b32_e64 v69, v83, v84, s23
	;; [unrolled: 2-line block ×3, first 2 shown]
	v_cndmask_b32_e64 v65, v65, v72, s25
	v_cndmask_b32_e64 v72, v104, v71, s24
	;; [unrolled: 1-line block ×6, first 2 shown]
	s_waitcnt lgkmcnt(1)
	v_lshrrev_b32_e32 v84, 16, v87
	v_cndmask_b32_e64 v69, v69, v85, s26
	v_cndmask_b32_e64 v70, v72, v96, s27
	;; [unrolled: 1-line block ×4, first 2 shown]
	v_cndmask_b32_e32 v72, v87, v84, vcc_lo
	v_cndmask_b32_e64 v69, v69, v98, s28
	s_waitcnt lgkmcnt(0)
	v_lshrrev_b32_e32 v85, 16, v91
	v_lshrrev_b32_e32 v95, 16, v88
	v_cndmask_b32_e64 v97, v87, v84, s3
	v_cndmask_b32_e64 v72, v72, v88, s4
	v_cndmask_b32_e64 v65, v65, v71, s29
	v_cndmask_b32_e32 v98, v91, v85, vcc_lo
	v_cmp_eq_u32_e32 vcc_lo, 7, v81
	v_cndmask_b32_e64 v69, v69, v86, s29
	v_cndmask_b32_e64 v71, v72, v95, s7
	;; [unrolled: 1-line block ×3, first 2 shown]
	v_lshrrev_b32_e32 v97, 16, v92
	v_cndmask_b32_e32 v65, v65, v96, vcc_lo
	v_cndmask_b32_e64 v86, v98, v92, s4
	v_cndmask_b32_e32 v69, v69, v99, vcc_lo
	v_lshrrev_b32_e32 v99, 16, v93
	v_cndmask_b32_e64 v71, v71, v89, s9
	v_lshrrev_b32_e32 v98, 16, v89
	v_cndmask_b32_e64 v86, v86, v97, s7
	v_perm_b32 v70, v68, v70, 0x5040100
	v_cndmask_b32_e64 v72, v72, v95, s8
	s_delay_alu instid0(VALU_DEP_4) | instskip(NEXT) | instid1(VALU_DEP_4)
	v_cndmask_b32_e64 v96, v71, v98, s10
	v_cndmask_b32_e64 v86, v86, v93, s9
	v_perm_b32 v71, v69, v65, 0x5040100
	v_perm_b32 v69, v83, v102, 0x5040100
	v_cndmask_b32_e64 v102, v91, v85, s5
	v_cndmask_b32_e64 v72, v72, v89, s11
	;; [unrolled: 1-line block ×3, first 2 shown]
	v_lshrrev_b32_e32 v83, 16, v94
	s_delay_alu instid0(VALU_DEP_3) | instskip(NEXT) | instid1(VALU_DEP_3)
	v_cndmask_b32_e64 v65, v72, v98, s13
	v_cndmask_b32_e64 v68, v86, v94, s12
	;; [unrolled: 1-line block ×27, first 2 shown]
	v_lshrrev_b32_e32 v96, 16, v90
	v_cndmask_b32_e64 v65, v65, v90, s16
	v_cndmask_b32_e64 v86, v86, v90, s24
	;; [unrolled: 1-line block ×9, first 2 shown]
	v_cndmask_b32_e32 v84, v84, v96, vcc_lo
	v_cndmask_b32_e32 v86, v87, v83, vcc_lo
	v_cndmask_b32_e64 v87, v88, v83, s27
	v_cndmask_b32_e64 v88, v85, v83, s18
	;; [unrolled: 1-line block ×3, first 2 shown]
	v_perm_b32 v68, v101, v100, 0x5040100
	v_perm_b32 v86, v86, v84, 0x5040100
	;; [unrolled: 1-line block ×5, first 2 shown]
	s_lshl_b32 s8, s35, 4
	s_mov_b32 s3, exec_lo
	ds_store_b128 v77, v[68:71]
	ds_store_b128 v77, v[83:86] offset:1024
	v_cmpx_gt_u32_e32 16, v0
	s_cbranch_execz .LBB1773_78
; %bb.77:
	v_or_b32_e32 v65, s31, v0
	s_load_b128 s[4:7], s[0:1], 0x58
	s_delay_alu instid0(VALU_DEP_1) | instskip(NEXT) | instid1(VALU_DEP_1)
	v_mad_u64_u32 v[68:69], null, s8, s30, v[65:66]
	v_mad_u64_u32 v[69:70], null, v68, s34, s[14:15]
	s_delay_alu instid0(VALU_DEP_1) | instskip(NEXT) | instid1(VALU_DEP_1)
	v_ashrrev_i32_e32 v70, 31, v69
	v_lshlrev_b64 v[68:69], 2, v[69:70]
	s_waitcnt lgkmcnt(0)
	s_delay_alu instid0(VALU_DEP_1) | instskip(NEXT) | instid1(VALU_DEP_2)
	v_add_co_u32 v70, vcc_lo, s6, v68
	v_add_co_ci_u32_e32 v71, vcc_lo, s7, v69, vcc_lo
	v_add_co_u32 v68, vcc_lo, s4, v68
	v_add_co_ci_u32_e32 v69, vcc_lo, s5, v69, vcc_lo
	global_store_b32 v[70:71], v66, off
	global_store_b32 v[68:69], v67, off
.LBB1773_78:
	s_or_b32 exec_lo, exec_lo, s3
	s_waitcnt lgkmcnt(0)
	s_waitcnt_vscnt null, 0x0
	s_barrier
	buffer_gl0_inv
	ds_load_b128 v[83:86], v76
	ds_load_b128 v[87:90], v76 offset:16
	ds_load_b128 v[95:98], v76 offset:2064
	;; [unrolled: 1-line block ×3, first 2 shown]
	v_mov_b32_e32 v65, 0
	ds_load_b128 v[103:106], v76 offset:4112
	ds_load_b128 v[99:102], v76 offset:4096
	;; [unrolled: 1-line block ×4, first 2 shown]
	v_mov_b32_e32 v66, v65
	v_mov_b32_e32 v67, v65
	v_mov_b32_e32 v68, v65
	v_mov_b32_e32 v69, v65
	v_mov_b32_e32 v70, v65
	v_mov_b32_e32 v71, v65
	v_mov_b32_e32 v72, v65
	s_waitcnt lgkmcnt(6)
	s_delay_alu instid0(VALU_DEP_1)
	v_wmma_f32_16x16x16_bf16 v[65:72], v[57:64], v[83:90], v[65:72]
	ds_load_b128 v[61:64], v76 offset:8208
	ds_load_b128 v[57:60], v76 offset:8192
	s_waitcnt lgkmcnt(6)
	v_wmma_f32_16x16x16_bf16 v[65:72], v[41:48], v[91:98], v[65:72]
	ds_load_b128 v[45:48], v76 offset:10256
	ds_load_b128 v[41:44], v76 offset:10240
	s_waitcnt lgkmcnt(6)
	;; [unrolled: 4-line block ×4, first 2 shown]
	v_wmma_f32_16x16x16_bf16 v[65:72], v[1:8], v[57:64], v[65:72]
	s_waitcnt lgkmcnt(4)
	s_delay_alu instid0(VALU_DEP_1) | instskip(SKIP_1) | instid1(VALU_DEP_1)
	v_wmma_f32_16x16x16_bf16 v[65:72], v[9:16], v[41:48], v[65:72]
	s_waitcnt lgkmcnt(2)
	v_wmma_f32_16x16x16_bf16 v[65:72], v[17:24], v[33:40], v[65:72]
	s_waitcnt lgkmcnt(0)
	s_delay_alu instid0(VALU_DEP_1) | instskip(NEXT) | instid1(VALU_DEP_1)
	v_wmma_f32_16x16x16_bf16 v[65:72], v[49:56], v[25:32], v[65:72]
	v_and_b32_e32 v1, 0x7f800000, v65
	s_delay_alu instid0(VALU_DEP_1) | instskip(SKIP_1) | instid1(SALU_CYCLE_1)
	v_cmp_ne_u32_e32 vcc_lo, 0x7f800000, v1
                                        ; implicit-def: $vgpr1
	s_and_saveexec_b32 s3, vcc_lo
	s_xor_b32 s3, exec_lo, s3
; %bb.79:
	v_bfe_u32 v1, v65, 16, 1
	s_delay_alu instid0(VALU_DEP_1)
	v_add3_u32 v1, v65, v1, 0x7fff
; %bb.80:
	s_and_not1_saveexec_b32 s3, s3
; %bb.81:
	v_and_b32_e32 v1, 0xffff, v65
	v_or_b32_e32 v2, 0x10000, v65
	s_delay_alu instid0(VALU_DEP_2) | instskip(NEXT) | instid1(VALU_DEP_2)
	v_cmp_eq_u32_e32 vcc_lo, 0, v1
	v_cndmask_b32_e32 v1, v2, v65, vcc_lo
; %bb.82:
	s_or_b32 exec_lo, exec_lo, s3
	v_and_b32_e32 v2, 0x7f800000, v66
	s_delay_alu instid0(VALU_DEP_1) | instskip(SKIP_1) | instid1(SALU_CYCLE_1)
	v_cmp_ne_u32_e32 vcc_lo, 0x7f800000, v2
                                        ; implicit-def: $vgpr2
	s_and_saveexec_b32 s3, vcc_lo
	s_xor_b32 s3, exec_lo, s3
; %bb.83:
	v_bfe_u32 v2, v66, 16, 1
	s_delay_alu instid0(VALU_DEP_1)
	v_add3_u32 v2, v66, v2, 0x7fff
; %bb.84:
	s_and_not1_saveexec_b32 s3, s3
; %bb.85:
	v_and_b32_e32 v2, 0xffff, v66
	v_or_b32_e32 v3, 0x10000, v66
	s_delay_alu instid0(VALU_DEP_2) | instskip(NEXT) | instid1(VALU_DEP_2)
	v_cmp_eq_u32_e32 vcc_lo, 0, v2
	v_cndmask_b32_e32 v2, v3, v66, vcc_lo
; %bb.86:
	s_or_b32 exec_lo, exec_lo, s3
	v_and_b32_e32 v3, 0x7f800000, v67
	s_delay_alu instid0(VALU_DEP_1) | instskip(SKIP_1) | instid1(SALU_CYCLE_1)
	v_cmp_ne_u32_e32 vcc_lo, 0x7f800000, v3
                                        ; implicit-def: $vgpr3
	s_and_saveexec_b32 s3, vcc_lo
	s_xor_b32 s3, exec_lo, s3
; %bb.87:
	v_bfe_u32 v3, v67, 16, 1
	s_delay_alu instid0(VALU_DEP_1)
	v_add3_u32 v3, v67, v3, 0x7fff
; %bb.88:
	s_and_not1_saveexec_b32 s3, s3
; %bb.89:
	v_and_b32_e32 v3, 0xffff, v67
	v_or_b32_e32 v4, 0x10000, v67
	s_delay_alu instid0(VALU_DEP_2) | instskip(NEXT) | instid1(VALU_DEP_2)
	v_cmp_eq_u32_e32 vcc_lo, 0, v3
	v_cndmask_b32_e32 v3, v4, v67, vcc_lo
; %bb.90:
	s_or_b32 exec_lo, exec_lo, s3
	v_and_b32_e32 v4, 0x7f800000, v68
	s_delay_alu instid0(VALU_DEP_1) | instskip(SKIP_1) | instid1(SALU_CYCLE_1)
	v_cmp_ne_u32_e32 vcc_lo, 0x7f800000, v4
                                        ; implicit-def: $vgpr4
	s_and_saveexec_b32 s3, vcc_lo
	s_xor_b32 s3, exec_lo, s3
; %bb.91:
	v_bfe_u32 v4, v68, 16, 1
	s_delay_alu instid0(VALU_DEP_1)
	v_add3_u32 v4, v68, v4, 0x7fff
; %bb.92:
	s_and_not1_saveexec_b32 s3, s3
; %bb.93:
	v_and_b32_e32 v4, 0xffff, v68
	v_or_b32_e32 v5, 0x10000, v68
	s_delay_alu instid0(VALU_DEP_2) | instskip(NEXT) | instid1(VALU_DEP_2)
	v_cmp_eq_u32_e32 vcc_lo, 0, v4
	v_cndmask_b32_e32 v4, v5, v68, vcc_lo
; %bb.94:
	s_or_b32 exec_lo, exec_lo, s3
	v_and_b32_e32 v5, 0x7f800000, v69
	s_delay_alu instid0(VALU_DEP_1) | instskip(SKIP_1) | instid1(SALU_CYCLE_1)
	v_cmp_ne_u32_e32 vcc_lo, 0x7f800000, v5
                                        ; implicit-def: $vgpr5
	s_and_saveexec_b32 s3, vcc_lo
	s_xor_b32 s3, exec_lo, s3
; %bb.95:
	v_bfe_u32 v5, v69, 16, 1
	s_delay_alu instid0(VALU_DEP_1)
	v_add3_u32 v5, v69, v5, 0x7fff
; %bb.96:
	s_and_not1_saveexec_b32 s3, s3
; %bb.97:
	v_and_b32_e32 v5, 0xffff, v69
	v_or_b32_e32 v6, 0x10000, v69
	s_delay_alu instid0(VALU_DEP_2) | instskip(NEXT) | instid1(VALU_DEP_2)
	v_cmp_eq_u32_e32 vcc_lo, 0, v5
	v_cndmask_b32_e32 v5, v6, v69, vcc_lo
; %bb.98:
	s_or_b32 exec_lo, exec_lo, s3
	v_and_b32_e32 v6, 0x7f800000, v70
	s_delay_alu instid0(VALU_DEP_1) | instskip(SKIP_1) | instid1(SALU_CYCLE_1)
	v_cmp_ne_u32_e32 vcc_lo, 0x7f800000, v6
                                        ; implicit-def: $vgpr6
	s_and_saveexec_b32 s3, vcc_lo
	s_xor_b32 s3, exec_lo, s3
; %bb.99:
	v_bfe_u32 v6, v70, 16, 1
	s_delay_alu instid0(VALU_DEP_1)
	v_add3_u32 v6, v70, v6, 0x7fff
; %bb.100:
	s_and_not1_saveexec_b32 s3, s3
; %bb.101:
	v_and_b32_e32 v6, 0xffff, v70
	v_or_b32_e32 v7, 0x10000, v70
	s_delay_alu instid0(VALU_DEP_2) | instskip(NEXT) | instid1(VALU_DEP_2)
	v_cmp_eq_u32_e32 vcc_lo, 0, v6
	v_cndmask_b32_e32 v6, v7, v70, vcc_lo
; %bb.102:
	s_or_b32 exec_lo, exec_lo, s3
	v_and_b32_e32 v7, 0x7f800000, v71
	s_delay_alu instid0(VALU_DEP_1) | instskip(SKIP_1) | instid1(SALU_CYCLE_1)
	v_cmp_ne_u32_e32 vcc_lo, 0x7f800000, v7
                                        ; implicit-def: $vgpr7
	s_and_saveexec_b32 s3, vcc_lo
	s_xor_b32 s3, exec_lo, s3
; %bb.103:
	v_bfe_u32 v7, v71, 16, 1
	s_delay_alu instid0(VALU_DEP_1)
	v_add3_u32 v7, v71, v7, 0x7fff
; %bb.104:
	s_and_not1_saveexec_b32 s3, s3
; %bb.105:
	v_and_b32_e32 v7, 0xffff, v71
	v_or_b32_e32 v8, 0x10000, v71
	s_delay_alu instid0(VALU_DEP_2) | instskip(NEXT) | instid1(VALU_DEP_2)
	v_cmp_eq_u32_e32 vcc_lo, 0, v7
	v_cndmask_b32_e32 v7, v8, v71, vcc_lo
; %bb.106:
	s_or_b32 exec_lo, exec_lo, s3
	v_and_b32_e32 v8, 0x7f800000, v72
	s_delay_alu instid0(VALU_DEP_1) | instskip(SKIP_1) | instid1(SALU_CYCLE_1)
	v_cmp_ne_u32_e32 vcc_lo, 0x7f800000, v8
                                        ; implicit-def: $vgpr8
	s_and_saveexec_b32 s3, vcc_lo
	s_xor_b32 s3, exec_lo, s3
; %bb.107:
	v_bfe_u32 v8, v72, 16, 1
	s_delay_alu instid0(VALU_DEP_1)
	v_add3_u32 v8, v72, v8, 0x7fff
                                        ; implicit-def: $vgpr65_vgpr66_vgpr67_vgpr68_vgpr69_vgpr70_vgpr71_vgpr72
; %bb.108:
	s_and_not1_saveexec_b32 s3, s3
; %bb.109:
	v_and_b32_e32 v8, 0xffff, v72
	v_or_b32_e32 v9, 0x10000, v72
	s_delay_alu instid0(VALU_DEP_2) | instskip(NEXT) | instid1(VALU_DEP_2)
	v_cmp_eq_u32_e32 vcc_lo, 0, v8
	v_cndmask_b32_e32 v8, v9, v72, vcc_lo
; %bb.110:
	s_or_b32 exec_lo, exec_lo, s3
	s_delay_alu instid0(VALU_DEP_1)
	v_perm_b32 v7, v8, v7, 0x7060302
	v_perm_b32 v6, v6, v5, 0x7060302
	;; [unrolled: 1-line block ×4, first 2 shown]
	s_barrier
	buffer_gl0_inv
	v_cmp_eq_u32_e32 vcc_lo, 1, v79
	ds_store_b128 v77, v[4:7]
	s_waitcnt lgkmcnt(0)
	s_barrier
	buffer_gl0_inv
	ds_load_b128 v[1:4], v82
	ds_load_b128 v[5:8], v82 offset:16
	v_cmp_eq_u32_e64 s3, 1, v80
	v_cmp_eq_u32_e64 s4, 2, v79
	;; [unrolled: 1-line block ×5, first 2 shown]
	s_waitcnt lgkmcnt(1)
	v_lshrrev_b32_e32 v9, 16, v1
	s_waitcnt lgkmcnt(0)
	v_lshrrev_b32_e32 v13, 16, v5
	v_lshrrev_b32_e32 v10, 16, v2
	;; [unrolled: 1-line block ×4, first 2 shown]
	v_cndmask_b32_e64 v19, v1, v9, s3
	v_cndmask_b32_e32 v18, v5, v13, vcc_lo
	v_cndmask_b32_e64 v20, v5, v13, s3
	v_cndmask_b32_e32 v17, v1, v9, vcc_lo
	v_cmp_eq_u32_e32 vcc_lo, 2, v80
	v_lshrrev_b32_e32 v15, 16, v7
	v_cmp_eq_u32_e64 s3, 1, v78
	v_lshrrev_b32_e32 v12, 16, v4
	v_lshrrev_b32_e32 v16, 16, v8
	v_cndmask_b32_e32 v20, v20, v6, vcc_lo
	v_cndmask_b32_e64 v17, v17, v2, s4
	v_cndmask_b32_e32 v19, v19, v2, vcc_lo
	v_cndmask_b32_e64 v18, v18, v6, s4
	v_cmp_eq_u32_e32 vcc_lo, 4, v79
	v_cmp_eq_u32_e64 s4, 3, v80
	v_cndmask_b32_e64 v17, v17, v10, s5
	v_cndmask_b32_e64 v21, v1, v9, s3
	;; [unrolled: 1-line block ×5, first 2 shown]
	v_cndmask_b32_e32 v17, v17, v3, vcc_lo
	v_cndmask_b32_e64 v20, v20, v14, s4
	v_cndmask_b32_e32 v18, v18, v7, vcc_lo
	v_cmp_eq_u32_e32 vcc_lo, 4, v80
	v_cmp_eq_u32_e64 s4, 5, v80
	v_cmp_eq_u32_e64 s3, 2, v81
	v_cndmask_b32_e64 v21, v21, v2, s7
	v_cmp_eq_u32_e64 s5, 5, v79
	v_cndmask_b32_e32 v19, v19, v3, vcc_lo
	v_cndmask_b32_e32 v20, v20, v7, vcc_lo
	v_cmp_eq_u32_e32 vcc_lo, 6, v80
	s_delay_alu instid0(VALU_DEP_4) | instskip(NEXT) | instid1(VALU_DEP_4)
	v_cndmask_b32_e64 v17, v17, v11, s5
	v_cndmask_b32_e64 v19, v19, v11, s4
	s_delay_alu instid0(VALU_DEP_4) | instskip(SKIP_1) | instid1(VALU_DEP_3)
	v_cndmask_b32_e64 v20, v20, v15, s4
	v_cmp_eq_u32_e64 s4, 1, v81
	v_cndmask_b32_e32 v19, v19, v4, vcc_lo
	v_cndmask_b32_e64 v18, v18, v15, s5
	s_delay_alu instid0(VALU_DEP_3)
	v_cndmask_b32_e64 v1, v1, v9, s4
	v_cndmask_b32_e64 v5, v5, v13, s4
	v_cmp_eq_u32_e64 s4, 3, v78
	v_cndmask_b32_e64 v13, v22, v6, s7
	v_cmp_eq_u32_e64 s7, 3, v81
	v_cndmask_b32_e64 v1, v1, v2, s3
	v_cndmask_b32_e64 v2, v5, v6, s3
	;; [unrolled: 1-line block ×3, first 2 shown]
	v_cmp_eq_u32_e64 s3, 4, v78
	v_cndmask_b32_e64 v6, v13, v14, s4
	v_cndmask_b32_e64 v1, v1, v10, s7
	v_cmp_eq_u32_e64 s4, 4, v81
	v_cndmask_b32_e64 v2, v2, v14, s7
	v_cndmask_b32_e64 v5, v9, v3, s3
	v_cmp_eq_u32_e64 s7, 5, v78
	v_cndmask_b32_e64 v6, v6, v7, s3
	v_cndmask_b32_e64 v1, v1, v3, s4
	v_cndmask_b32_e64 v2, v2, v7, s4
	v_cmp_eq_u32_e64 s3, 5, v81
	v_cmp_eq_u32_e64 s5, 6, v79
	v_cndmask_b32_e64 v5, v5, v11, s7
	v_cmp_eq_u32_e64 s4, 6, v78
	v_cndmask_b32_e64 v3, v6, v15, s7
	v_cndmask_b32_e64 v1, v1, v11, s3
	v_cmp_eq_u32_e64 s7, 6, v81
	v_cndmask_b32_e64 v2, v2, v15, s3
	v_cndmask_b32_e64 v17, v17, v4, s5
	v_cndmask_b32_e64 v18, v18, v8, s5
	v_cmp_eq_u32_e64 s5, 7, v79
	v_cndmask_b32_e64 v5, v5, v4, s4
	;; [unrolled: 4-line block ×3, first 2 shown]
	v_cmp_eq_u32_e64 s4, 7, v78
	v_cndmask_b32_e32 v4, v20, v8, vcc_lo
	v_cndmask_b32_e64 v17, v17, v12, s5
	v_cndmask_b32_e64 v19, v19, v12, s6
	v_cndmask_b32_e64 v1, v1, v12, s3
	v_cndmask_b32_e64 v5, v5, v12, s4
	v_cndmask_b32_e64 v2, v2, v16, s3
	v_cndmask_b32_e64 v3, v3, v16, s4
	v_cndmask_b32_e64 v6, v4, v16, s6
	v_cndmask_b32_e64 v7, v18, v16, s5
	v_cmp_gt_u32_e32 vcc_lo, 32, v0
	v_perm_b32 v4, v2, v1, 0x5040100
	v_perm_b32 v3, v3, v5, 0x5040100
	;; [unrolled: 1-line block ×4, first 2 shown]
	s_and_b32 s2, vcc_lo, s2
	ds_store_b128 v77, v[1:4]
	s_waitcnt lgkmcnt(0)
	s_barrier
	buffer_gl0_inv
	s_and_saveexec_b32 s3, s2
	s_cbranch_execz .LBB1773_2
; %bb.111:
	s_load_b64 s[0:1], s[0:1], 0x68
	v_lshlrev_b32_e32 v0, 10, v0
	s_lshl_b32 s4, s34, 6
	v_or_b32_e32 v23, s31, v74
	s_mul_i32 s2, s4, s30
	v_lshlrev_b32_e32 v1, 4, v75
	v_lshlrev_b32_e32 v2, 6, v74
	s_mul_i32 s2, s2, s8
	v_and_b32_e32 v0, 0x3800, v0
	v_mul_lo_u32 v8, v23, s4
	s_ashr_i32 s3, s2, 31
	v_or_b32_e32 v3, 2, v23
	s_lshl_b64 s[2:3], s[2:3], 1
	v_or3_b32 v27, v0, v1, v2
	v_or_b32_e32 v11, 4, v23
	v_or_b32_e32 v18, 6, v23
	v_mul_lo_u32 v10, v3, s4
	v_ashrrev_i32_e32 v9, 31, v8
	ds_load_b128 v[0:3], v27
	ds_load_b128 v[4:7], v27 offset:128
	v_mul_lo_u32 v12, v11, s4
	s_waitcnt lgkmcnt(0)
	s_add_u32 s2, s0, s2
	s_addc_u32 s3, s1, s3
	s_lshl_b32 s0, s14, 6
	v_lshlrev_b64 v[8:9], 1, v[8:9]
	s_ashr_i32 s1, s0, 31
	v_ashrrev_i32_e32 v11, 31, v10
	s_lshl_b64 s[0:1], s[0:1], 1
	v_ashrrev_i32_e32 v13, 31, v12
	s_add_u32 s0, s2, s0
	s_addc_u32 s1, s3, s1
	v_add_co_u32 v30, s0, s0, v73
	s_delay_alu instid0(VALU_DEP_1) | instskip(SKIP_1) | instid1(VALU_DEP_3)
	v_add_co_ci_u32_e64 v31, null, s1, 0, s0
	v_lshlrev_b64 v[16:17], 1, v[10:11]
	v_add_co_u32 v14, vcc_lo, v30, v8
	s_delay_alu instid0(VALU_DEP_3)
	v_add_co_ci_u32_e32 v15, vcc_lo, v31, v9, vcc_lo
	ds_load_b128 v[8:11], v27 offset:256
	v_mul_lo_u32 v18, v18, s4
	v_or_b32_e32 v19, 8, v23
	v_add_co_u32 v16, vcc_lo, v30, v16
	global_store_b128 v[14:15], v[0:3], off
	v_lshlrev_b64 v[0:1], 1, v[12:13]
	v_add_co_ci_u32_e32 v17, vcc_lo, v31, v17, vcc_lo
	v_mul_lo_u32 v12, v19, s4
	v_ashrrev_i32_e32 v19, 31, v18
	v_or_b32_e32 v14, 10, v23
	global_store_b128 v[16:17], v[4:7], off
	v_add_co_u32 v4, vcc_lo, v30, v0
	v_add_co_ci_u32_e32 v5, vcc_lo, v31, v1, vcc_lo
	ds_load_b128 v[0:3], v27 offset:384
	v_ashrrev_i32_e32 v13, 31, v12
	v_lshlrev_b64 v[6:7], 1, v[18:19]
	v_mul_lo_u32 v14, v14, s4
	s_waitcnt lgkmcnt(1)
	global_store_b128 v[4:5], v[8:11], off
	v_or_b32_e32 v8, 12, v23
	v_lshlrev_b64 v[4:5], 1, v[12:13]
	v_add_co_u32 v20, vcc_lo, v30, v6
	v_or_b32_e32 v6, 14, v23
	v_ashrrev_i32_e32 v15, 31, v14
	v_mul_lo_u32 v22, v8, s4
	v_add_co_ci_u32_e32 v21, vcc_lo, v31, v7, vcc_lo
	v_add_co_u32 v24, vcc_lo, v30, v4
	v_mul_lo_u32 v26, v6, s4
	v_add_co_ci_u32_e32 v25, vcc_lo, v31, v5, vcc_lo
	v_lshlrev_b64 v[28:29], 1, v[14:15]
	ds_load_b128 v[4:7], v27 offset:512
	ds_load_b128 v[8:11], v27 offset:640
	;; [unrolled: 1-line block ×4, first 2 shown]
	v_ashrrev_i32_e32 v23, 31, v22
	v_ashrrev_i32_e32 v27, 31, v26
	v_add_co_u32 v28, vcc_lo, v30, v28
	s_delay_alu instid0(VALU_DEP_3) | instskip(SKIP_1) | instid1(VALU_DEP_4)
	v_lshlrev_b64 v[22:23], 1, v[22:23]
	v_add_co_ci_u32_e32 v29, vcc_lo, v31, v29, vcc_lo
	v_lshlrev_b64 v[26:27], 1, v[26:27]
	s_delay_alu instid0(VALU_DEP_3) | instskip(NEXT) | instid1(VALU_DEP_4)
	v_add_co_u32 v22, vcc_lo, v30, v22
	v_add_co_ci_u32_e32 v23, vcc_lo, v31, v23, vcc_lo
	s_delay_alu instid0(VALU_DEP_3) | instskip(NEXT) | instid1(VALU_DEP_4)
	v_add_co_u32 v26, vcc_lo, v30, v26
	v_add_co_ci_u32_e32 v27, vcc_lo, v31, v27, vcc_lo
	s_waitcnt lgkmcnt(4)
	global_store_b128 v[20:21], v[0:3], off
	s_waitcnt lgkmcnt(3)
	global_store_b128 v[24:25], v[4:7], off
	;; [unrolled: 2-line block ×5, first 2 shown]
	s_nop 0
	s_sendmsg sendmsg(MSG_DEALLOC_VGPRS)
	s_endpgm
	.section	.rodata,"a",@progbits
	.p2align	6, 0x0
	.amdhsa_kernel _Z39paged_attention_ll4mi_QKV_mfma16_kernelI14__hip_bfloat16hLN4vllm18Fp8KVCacheDataTypeE1ES0_Li32ELi64ELi256ELb1ELi16EL8MFMAType0EEvPKT_PKT0_S9_ifPKiSB_SB_iPKfiiiPfSE_PS4_PT2_iSD_SD_
		.amdhsa_group_segment_fixed_size 17472
		.amdhsa_private_segment_fixed_size 0
		.amdhsa_kernarg_size 400
		.amdhsa_user_sgpr_count 13
		.amdhsa_user_sgpr_dispatch_ptr 0
		.amdhsa_user_sgpr_queue_ptr 0
		.amdhsa_user_sgpr_kernarg_segment_ptr 1
		.amdhsa_user_sgpr_dispatch_id 0
		.amdhsa_user_sgpr_private_segment_size 0
		.amdhsa_wavefront_size32 1
		.amdhsa_uses_dynamic_stack 0
		.amdhsa_enable_private_segment 0
		.amdhsa_system_sgpr_workgroup_id_x 1
		.amdhsa_system_sgpr_workgroup_id_y 1
		.amdhsa_system_sgpr_workgroup_id_z 1
		.amdhsa_system_sgpr_workgroup_info 0
		.amdhsa_system_vgpr_workitem_id 0
		.amdhsa_next_free_vgpr 125
		.amdhsa_next_free_sgpr 40
		.amdhsa_reserve_vcc 1
		.amdhsa_float_round_mode_32 0
		.amdhsa_float_round_mode_16_64 0
		.amdhsa_float_denorm_mode_32 3
		.amdhsa_float_denorm_mode_16_64 3
		.amdhsa_dx10_clamp 1
		.amdhsa_ieee_mode 1
		.amdhsa_fp16_overflow 0
		.amdhsa_workgroup_processor_mode 1
		.amdhsa_memory_ordered 1
		.amdhsa_forward_progress 0
		.amdhsa_shared_vgpr_count 0
		.amdhsa_exception_fp_ieee_invalid_op 0
		.amdhsa_exception_fp_denorm_src 0
		.amdhsa_exception_fp_ieee_div_zero 0
		.amdhsa_exception_fp_ieee_overflow 0
		.amdhsa_exception_fp_ieee_underflow 0
		.amdhsa_exception_fp_ieee_inexact 0
		.amdhsa_exception_int_div_zero 0
	.end_amdhsa_kernel
	.section	.text._Z39paged_attention_ll4mi_QKV_mfma16_kernelI14__hip_bfloat16hLN4vllm18Fp8KVCacheDataTypeE1ES0_Li32ELi64ELi256ELb1ELi16EL8MFMAType0EEvPKT_PKT0_S9_ifPKiSB_SB_iPKfiiiPfSE_PS4_PT2_iSD_SD_,"axG",@progbits,_Z39paged_attention_ll4mi_QKV_mfma16_kernelI14__hip_bfloat16hLN4vllm18Fp8KVCacheDataTypeE1ES0_Li32ELi64ELi256ELb1ELi16EL8MFMAType0EEvPKT_PKT0_S9_ifPKiSB_SB_iPKfiiiPfSE_PS4_PT2_iSD_SD_,comdat
.Lfunc_end1773:
	.size	_Z39paged_attention_ll4mi_QKV_mfma16_kernelI14__hip_bfloat16hLN4vllm18Fp8KVCacheDataTypeE1ES0_Li32ELi64ELi256ELb1ELi16EL8MFMAType0EEvPKT_PKT0_S9_ifPKiSB_SB_iPKfiiiPfSE_PS4_PT2_iSD_SD_, .Lfunc_end1773-_Z39paged_attention_ll4mi_QKV_mfma16_kernelI14__hip_bfloat16hLN4vllm18Fp8KVCacheDataTypeE1ES0_Li32ELi64ELi256ELb1ELi16EL8MFMAType0EEvPKT_PKT0_S9_ifPKiSB_SB_iPKfiiiPfSE_PS4_PT2_iSD_SD_
                                        ; -- End function
	.section	.AMDGPU.csdata,"",@progbits
; Kernel info:
; codeLenInByte = 8928
; NumSgprs: 42
; NumVgprs: 125
; ScratchSize: 0
; MemoryBound: 0
; FloatMode: 240
; IeeeMode: 1
; LDSByteSize: 17472 bytes/workgroup (compile time only)
; SGPRBlocks: 5
; VGPRBlocks: 15
; NumSGPRsForWavesPerEU: 42
; NumVGPRsForWavesPerEU: 125
; Occupancy: 10
; WaveLimiterHint : 1
; COMPUTE_PGM_RSRC2:SCRATCH_EN: 0
; COMPUTE_PGM_RSRC2:USER_SGPR: 13
; COMPUTE_PGM_RSRC2:TRAP_HANDLER: 0
; COMPUTE_PGM_RSRC2:TGID_X_EN: 1
; COMPUTE_PGM_RSRC2:TGID_Y_EN: 1
; COMPUTE_PGM_RSRC2:TGID_Z_EN: 1
; COMPUTE_PGM_RSRC2:TIDIG_COMP_CNT: 0
	.section	.text._Z39paged_attention_ll4mi_QKV_mfma16_kernelI14__hip_bfloat16hLN4vllm18Fp8KVCacheDataTypeE1ES0_Li32ELi64ELi256ELb1ELi1EL8MFMAType0EEvPKT_PKT0_S9_ifPKiSB_SB_iPKfiiiPfSE_PS4_PT2_iSD_SD_,"axG",@progbits,_Z39paged_attention_ll4mi_QKV_mfma16_kernelI14__hip_bfloat16hLN4vllm18Fp8KVCacheDataTypeE1ES0_Li32ELi64ELi256ELb1ELi1EL8MFMAType0EEvPKT_PKT0_S9_ifPKiSB_SB_iPKfiiiPfSE_PS4_PT2_iSD_SD_,comdat
	.protected	_Z39paged_attention_ll4mi_QKV_mfma16_kernelI14__hip_bfloat16hLN4vllm18Fp8KVCacheDataTypeE1ES0_Li32ELi64ELi256ELb1ELi1EL8MFMAType0EEvPKT_PKT0_S9_ifPKiSB_SB_iPKfiiiPfSE_PS4_PT2_iSD_SD_ ; -- Begin function _Z39paged_attention_ll4mi_QKV_mfma16_kernelI14__hip_bfloat16hLN4vllm18Fp8KVCacheDataTypeE1ES0_Li32ELi64ELi256ELb1ELi1EL8MFMAType0EEvPKT_PKT0_S9_ifPKiSB_SB_iPKfiiiPfSE_PS4_PT2_iSD_SD_
	.globl	_Z39paged_attention_ll4mi_QKV_mfma16_kernelI14__hip_bfloat16hLN4vllm18Fp8KVCacheDataTypeE1ES0_Li32ELi64ELi256ELb1ELi1EL8MFMAType0EEvPKT_PKT0_S9_ifPKiSB_SB_iPKfiiiPfSE_PS4_PT2_iSD_SD_
	.p2align	8
	.type	_Z39paged_attention_ll4mi_QKV_mfma16_kernelI14__hip_bfloat16hLN4vllm18Fp8KVCacheDataTypeE1ES0_Li32ELi64ELi256ELb1ELi1EL8MFMAType0EEvPKT_PKT0_S9_ifPKiSB_SB_iPKfiiiPfSE_PS4_PT2_iSD_SD_,@function
_Z39paged_attention_ll4mi_QKV_mfma16_kernelI14__hip_bfloat16hLN4vllm18Fp8KVCacheDataTypeE1ES0_Li32ELi64ELi256ELb1ELi1EL8MFMAType0EEvPKT_PKT0_S9_ifPKiSB_SB_iPKfiiiPfSE_PS4_PT2_iSD_SD_: ; @_Z39paged_attention_ll4mi_QKV_mfma16_kernelI14__hip_bfloat16hLN4vllm18Fp8KVCacheDataTypeE1ES0_Li32ELi64ELi256ELb1ELi1EL8MFMAType0EEvPKT_PKT0_S9_ifPKiSB_SB_iPKfiiiPfSE_PS4_PT2_iSD_SD_
; %bb.0:
	s_load_b64 s[4:5], s[0:1], 0x30
	s_mov_b32 s34, s13
	s_waitcnt lgkmcnt(0)
	s_cmp_lg_u64 s[4:5], 0
	s_cselect_b32 s6, -1, 0
	s_ashr_i32 s35, s13, 31
	s_cmp_eq_u64 s[4:5], 0
	s_cbranch_scc1 .LBB1774_3
; %bb.1:
	s_lshl_b64 s[2:3], s[34:35], 2
	s_delay_alu instid0(SALU_CYCLE_1) | instskip(SKIP_4) | instid1(SALU_CYCLE_1)
	s_add_u32 s2, s4, s2
	s_addc_u32 s3, s5, s3
	s_load_b64 s[2:3], s[2:3], 0x0
	s_waitcnt lgkmcnt(0)
	s_sub_i32 s2, s3, s2
	s_cmp_eq_u32 s2, 1
	s_cselect_b32 s2, -1, 0
	s_delay_alu instid0(SALU_CYCLE_1)
	s_and_not1_b32 vcc_lo, exec_lo, s2
	s_cbranch_vccz .LBB1774_4
.LBB1774_2:
	s_endpgm
.LBB1774_3:
.LBB1774_4:
	s_load_b64 s[2:3], s[0:1], 0x28
	s_lshl_b64 s[8:9], s[34:35], 2
	s_waitcnt lgkmcnt(0)
	s_add_u32 s2, s2, s8
	s_addc_u32 s3, s3, s9
	s_lshl_b32 s12, s14, 8
	s_load_b32 s33, s[2:3], 0x0
	s_waitcnt lgkmcnt(0)
	s_cmp_ge_i32 s12, s33
	s_cbranch_scc1 .LBB1774_2
; %bb.5:
	s_clause 0x1
	s_load_b128 s[28:31], s[0:1], 0x8
	s_load_b64 s[2:3], s[0:1], 0x20
	s_and_not1_b32 vcc_lo, exec_lo, s6
	s_mov_b64 s[6:7], s[34:35]
	s_cbranch_vccnz .LBB1774_7
; %bb.6:
	s_add_u32 s4, s4, s8
	s_addc_u32 s5, s5, s9
	s_load_b32 s6, s[4:5], 0x0
.LBB1774_7:
	s_load_b128 s[24:27], s[0:1], 0x48
	v_and_b32_e32 v73, 15, v0
	s_mov_b32 s13, exec_lo
                                        ; implicit-def: $sgpr16
                                        ; implicit-def: $sgpr4
	s_delay_alu instid0(VALU_DEP_1)
	v_cmpx_eq_u32_e32 0, v73
	s_cbranch_execz .LBB1774_9
; %bb.8:
	s_load_b64 s[4:5], s[0:1], 0x0
	s_waitcnt lgkmcnt(0)
	s_mul_hi_i32 s7, s6, s24
	s_mul_i32 s6, s6, s24
	s_delay_alu instid0(SALU_CYCLE_1) | instskip(NEXT) | instid1(SALU_CYCLE_1)
	s_lshl_b64 s[6:7], s[6:7], 1
	s_add_u32 s6, s4, s6
	s_addc_u32 s7, s5, s7
	s_lshl_b32 s4, s15, 6
	s_delay_alu instid0(SALU_CYCLE_1) | instskip(NEXT) | instid1(SALU_CYCLE_1)
	s_ashr_i32 s5, s4, 31
	s_lshl_b64 s[4:5], s[4:5], 1
	s_delay_alu instid0(SALU_CYCLE_1)
	s_add_u32 s4, s6, s4
	s_addc_u32 s5, s7, s5
	s_clause 0x1
	s_load_b256 s[16:23], s[4:5], 0x0
	s_load_b256 s[4:11], s[4:5], 0x40
.LBB1774_9:
	s_or_b32 exec_lo, exec_lo, s13
	s_waitcnt lgkmcnt(0)
	v_dual_mov_b32 v114, s23 :: v_dual_and_b32 v1, 0xef, v0
	s_add_i32 s13, s33, 31
	s_load_b32 s27, s[0:1], 0x38
	s_ashr_i32 s24, s13, 31
	s_delay_alu instid0(VALU_DEP_1) | instskip(SKIP_3) | instid1(VALU_DEP_2)
	v_dual_mov_b32 v112, s21 :: v_dual_add_nc_u32 v1, s12, v1
	s_lshr_b32 s24, s24, 27
	v_lshrrev_b32_e32 v65, 5, v0
	s_add_i32 s13, s13, s24
	v_ashrrev_i32_e32 v2, 31, v1
	v_or_b32_e32 v3, 16, v1
	s_ashr_i32 s13, s13, 5
	v_cmp_gt_i32_e32 vcc_lo, s33, v1
	s_add_i32 s13, s13, -1
	v_lshrrev_b32_e32 v2, 27, v2
	s_load_b32 s24, s[0:1], 0x1c
	v_dual_mov_b32 v111, s20 :: v_dual_mov_b32 v108, s17
	v_mbcnt_lo_u32_b32 v67, -1, 0
	s_delay_alu instid0(VALU_DEP_3)
	v_dual_mov_b32 v113, s22 :: v_dual_add_nc_u32 v4, v1, v2
	v_lshlrev_b32_e32 v74, 4, v73
	s_waitcnt lgkmcnt(0)
	s_mul_i32 s36, s34, s27
	v_xor_b32_e32 v68, 16, v67
	v_ashrrev_i32_e32 v4, 5, v4
	v_add_nc_u32_e32 v2, v3, v2
	s_ashr_i32 s37, s36, 31
	v_mov_b32_e32 v110, s19
	s_lshl_b64 s[36:37], s[36:37], 2
	v_cndmask_b32_e32 v1, s13, v4, vcc_lo
	v_ashrrev_i32_e32 v2, 5, v2
	v_cmp_gt_i32_e32 vcc_lo, s33, v3
	s_add_u32 s36, s2, s36
	s_addc_u32 s35, s3, s37
	s_mul_i32 s37, s15, s26
	v_and_b32_e32 v66, 0xe0, v0
	v_cndmask_b32_e32 v3, s13, v2, vcc_lo
	v_ashrrev_i32_e32 v2, 31, v1
	s_ashr_i32 s38, s37, 31
	s_add_u32 s40, s28, s37
	s_addc_u32 s41, s29, s38
	v_ashrrev_i32_e32 v4, 31, v3
	v_lshlrev_b64 v[1:2], 2, v[1:2]
	s_lshl_b32 s2, s14, 3
	v_add_nc_u32_e32 v66, s12, v66
	s_ashr_i32 s3, s2, 31
	v_lshlrev_b64 v[3:4], 2, v[3:4]
	s_lshl_b64 s[2:3], s[2:3], 2
	v_add_co_u32 v1, vcc_lo, s36, v1
	v_add_co_ci_u32_e32 v2, vcc_lo, s35, v2, vcc_lo
	s_delay_alu instid0(VALU_DEP_3) | instskip(NEXT) | instid1(VALU_DEP_4)
	v_add_co_u32 v3, vcc_lo, s36, v3
	v_add_co_ci_u32_e32 v4, vcc_lo, s35, v4, vcc_lo
	s_clause 0x1
	global_load_b32 v5, v[1:2], off
	global_load_b32 v6, v[3:4], off
	s_add_u32 s2, s36, s2
	s_addc_u32 s3, s35, s3
	s_or_b32 s26, s12, 32
	s_delay_alu instid0(SALU_CYCLE_1) | instskip(SKIP_2) | instid1(SALU_CYCLE_1)
	s_ashr_i32 s27, s26, 5
	s_cmp_lt_i32 s26, s33
	s_cselect_b32 s26, s27, s13
	s_ashr_i32 s27, s26, 31
	s_delay_alu instid0(SALU_CYCLE_1) | instskip(NEXT) | instid1(SALU_CYCLE_1)
	s_lshl_b64 s[26:27], s[26:27], 2
	s_add_u32 s26, s36, s26
	s_addc_u32 s27, s35, s27
	s_or_b32 s28, s12, 64
	s_delay_alu instid0(SALU_CYCLE_1) | instskip(SKIP_2) | instid1(SALU_CYCLE_1)
	s_ashr_i32 s29, s28, 5
	s_cmp_lt_i32 s28, s33
	s_cselect_b32 s28, s29, s13
	s_ashr_i32 s29, s28, 31
	s_delay_alu instid0(SALU_CYCLE_1) | instskip(NEXT) | instid1(SALU_CYCLE_1)
	s_lshl_b64 s[28:29], s[28:29], 2
	;; [unrolled: 10-line block ×5, first 2 shown]
	s_add_u32 s48, s36, s28
	s_addc_u32 s49, s35, s29
	s_clause 0x5
	s_load_b32 s29, s[2:3], 0x0
	s_load_b32 s2, s[26:27], 0x0
	s_load_b32 s3, s[42:43], 0x0
	s_load_b32 s26, s[44:45], 0x0
	s_load_b32 s27, s[46:47], 0x0
	s_load_b32 s28, s[48:49], 0x0
	s_or_b32 s39, s12, 0xc0
	s_waitcnt vmcnt(1)
	v_mad_i64_i32 v[1:2], null, v5, s25, s[40:41]
	s_waitcnt vmcnt(0)
	v_mad_i64_i32 v[3:4], null, v6, s25, s[40:41]
	s_ashr_i32 s40, s39, 5
	s_cmp_lt_i32 s39, s33
	s_cselect_b32 s40, s40, s13
	s_delay_alu instid0(VALU_DEP_2) | instskip(NEXT) | instid1(VALU_DEP_3)
	v_add_co_u32 v1, vcc_lo, v1, v74
	v_add_co_ci_u32_e32 v2, vcc_lo, 0, v2, vcc_lo
	s_delay_alu instid0(VALU_DEP_3) | instskip(NEXT) | instid1(VALU_DEP_4)
	v_add_co_u32 v3, vcc_lo, v3, v74
	v_add_co_ci_u32_e32 v4, vcc_lo, 0, v4, vcc_lo
	s_clause 0x7
	global_load_b128 v[75:78], v[1:2], off
	global_load_b128 v[79:82], v[1:2], off offset:512
	global_load_b128 v[83:86], v[3:4], off offset:256
	;; [unrolled: 1-line block ×7, first 2 shown]
	s_ashr_i32 s41, s40, 31
	v_lshlrev_b32_e32 v1, 5, v73
	s_lshl_b64 s[40:41], s[40:41], 2
	v_cmp_gt_i32_e32 vcc_lo, 32, v68
	s_add_u32 s40, s36, s40
	s_addc_u32 s41, s35, s41
	s_or_b32 s39, s12, 0xe0
	v_lshl_or_b32 v1, v65, 9, v1
	s_ashr_i32 s42, s39, 5
	s_cmp_lt_i32 s39, s33
	s_cselect_b32 s42, s42, s13
	s_load_b32 s13, s[40:41], 0x0
	s_ashr_i32 s43, s42, 31
	s_delay_alu instid0(SALU_CYCLE_1) | instskip(NEXT) | instid1(SALU_CYCLE_1)
	s_lshl_b64 s[42:43], s[42:43], 2
	s_add_u32 s40, s36, s42
	s_addc_u32 s41, s35, s43
	s_add_u32 s30, s30, s37
	s_addc_u32 s31, s31, s38
	v_add_co_u32 v1, s30, s30, v1
	s_delay_alu instid0(VALU_DEP_1) | instskip(SKIP_3) | instid1(VALU_DEP_1)
	v_add_co_ci_u32_e64 v2, null, s31, 0, s30
	s_load_b32 s30, s[40:41], 0x0
	s_mov_b32 s36, 0
	s_waitcnt lgkmcnt(0)
	v_mad_i64_i32 v[3:4], null, s29, s25, v[1:2]
	v_mad_i64_i32 v[9:10], null, s26, s25, v[1:2]
	;; [unrolled: 1-line block ×7, first 2 shown]
	s_clause 0x5
	global_load_b128 v[49:52], v[3:4], off
	global_load_b128 v[53:56], v[3:4], off offset:16
	global_load_b128 v[41:44], v[5:6], off
	global_load_b128 v[45:48], v[5:6], off offset:16
	;; [unrolled: 2-line block ×3, first 2 shown]
	s_mov_b32 s43, s36
	s_mov_b32 s37, s36
	v_mad_i64_i32 v[61:62], null, s30, s25, v[1:2]
	s_clause 0x9
	global_load_b128 v[25:28], v[9:10], off
	global_load_b128 v[29:32], v[9:10], off offset:16
	global_load_b128 v[1:4], v[11:12], off
	global_load_b128 v[5:8], v[11:12], off offset:16
	;; [unrolled: 2-line block ×5, first 2 shown]
	s_mov_b32 s38, s36
	s_mov_b32 s39, s36
	;; [unrolled: 1-line block ×5, first 2 shown]
	v_dual_mov_b32 v109, s18 :: v_dual_mov_b32 v122, s43
	v_dual_mov_b32 v107, s16 :: v_dual_mov_b32 v120, s41
	;; [unrolled: 1-line block ×4, first 2 shown]
	v_mov_b32_e32 v117, s38
	v_mov_b32_e32 v115, s36
	s_waitcnt vmcnt(0)
	s_barrier
	buffer_gl0_inv
	v_wmma_f32_16x16x16_bf16 v[123:130], v[75:82], v[107:114], v[115:122]
	v_bfe_u32 v75, v0, 4, 1
	v_wmma_f32_16x16x16_bf16 v[115:122], v[83:90], v[107:114], v[115:122]
	v_dual_mov_b32 v83, s11 :: v_dual_mov_b32 v82, s10
	v_dual_mov_b32 v81, s9 :: v_dual_mov_b32 v80, s8
	s_delay_alu instid0(VALU_DEP_4) | instskip(SKIP_2) | instid1(VALU_DEP_3)
	v_or_b32_e32 v66, v66, v75
	v_dual_mov_b32 v79, s7 :: v_dual_mov_b32 v78, s6
	v_dual_mov_b32 v77, s5 :: v_dual_mov_b32 v76, s4
	v_or_b32_e32 v69, 4, v66
	v_or_b32_e32 v70, 6, v66
	;; [unrolled: 1-line block ×3, first 2 shown]
	v_cmp_gt_i32_e64 s2, s33, v66
	v_wmma_f32_16x16x16_bf16 v[123:130], v[91:98], v[76:83], v[123:130]
	v_cndmask_b32_e32 v67, v67, v68, vcc_lo
	v_or_b32_e32 v68, 2, v66
	v_wmma_f32_16x16x16_bf16 v[115:122], v[99:106], v[76:83], v[115:122]
	v_or_b32_e32 v72, 10, v66
	v_dual_mul_f32 v78, s24, v130 :: v_dual_mul_f32 v83, s24, v125
	v_dual_mul_f32 v92, s24, v124 :: v_dual_mul_f32 v93, s24, v123
	s_delay_alu instid0(VALU_DEP_4) | instskip(SKIP_2) | instid1(VALU_DEP_4)
	v_mul_f32_e32 v94, s24, v122
	v_cmp_gt_i32_e32 vcc_lo, s33, v68
	v_dual_mul_f32 v81, s24, v127 :: v_dual_mul_f32 v82, s24, v126
	v_cndmask_b32_e64 v93, 0xff7fffff, v93, s2
	v_cmp_gt_i32_e64 s3, s33, v69
	v_cndmask_b32_e32 v92, 0xff7fffff, v92, vcc_lo
	v_cmp_gt_i32_e64 s4, s33, v70
	v_cmp_gt_i32_e64 s5, s33, v71
	v_or_b32_e32 v84, 12, v66
	v_or_b32_e32 v85, 14, v66
	v_dual_mul_f32 v79, s24, v129 :: v_dual_mul_f32 v80, s24, v128
	v_cndmask_b32_e64 v69, 0xff7fffff, v83, s3
	v_cndmask_b32_e64 v70, 0xff7fffff, v82, s4
	;; [unrolled: 1-line block ×3, first 2 shown]
	v_cmp_gt_i32_e64 s6, s33, v72
	v_lshlrev_b32_e32 v81, 2, v67
	v_max3_f32 v82, v93, 0xff7fffff, v92
	v_or_b32_e32 v86, 16, v66
	v_or_b32_e32 v87, 18, v66
	v_cndmask_b32_e64 v72, 0xff7fffff, v80, s6
	v_cmp_gt_i32_e64 s7, s33, v84
	v_max3_f32 v69, v82, v69, v70
	v_cmp_gt_i32_e64 s8, s33, v85
	v_or_b32_e32 v88, 20, v66
	v_or_b32_e32 v89, 22, v66
	v_or_b32_e32 v90, 24, v66
	v_or_b32_e32 v91, 26, v66
	v_or_b32_e32 v76, 28, v66
	v_or_b32_e32 v77, 30, v66
	v_dual_mul_f32 v99, s24, v117 :: v_dual_mul_f32 v68, s24, v116
	v_mul_f32_e32 v66, s24, v115
	v_cndmask_b32_e64 v70, 0xff7fffff, v79, s7
	v_cndmask_b32_e64 v78, 0xff7fffff, v78, s8
	v_max3_f32 v69, v69, v71, v72
	v_cmp_gt_i32_e64 s9, s33, v86
	v_cmp_gt_i32_e64 s10, s33, v87
	v_dual_mul_f32 v97, s24, v119 :: v_dual_mul_f32 v98, s24, v118
	s_delay_alu instid0(VALU_DEP_4) | instskip(NEXT) | instid1(VALU_DEP_4)
	v_max3_f32 v69, v69, v70, v78
	v_cndmask_b32_e64 v66, 0xff7fffff, v66, s9
	s_delay_alu instid0(VALU_DEP_4) | instskip(SKIP_3) | instid1(VALU_DEP_4)
	v_cndmask_b32_e64 v68, 0xff7fffff, v68, s10
	v_cmp_gt_i32_e64 s11, s33, v88
	v_cmp_gt_i32_e64 s12, s33, v89
	v_dual_mul_f32 v95, s24, v121 :: v_dual_mul_f32 v96, s24, v120
	v_max3_f32 v66, v69, v66, v68
	s_delay_alu instid0(VALU_DEP_4) | instskip(NEXT) | instid1(VALU_DEP_4)
	v_cndmask_b32_e64 v70, 0xff7fffff, v99, s11
	v_cndmask_b32_e64 v71, 0xff7fffff, v98, s12
	v_cmp_gt_i32_e64 s13, s33, v90
	v_cmp_gt_i32_e64 s16, s33, v91
	;; [unrolled: 1-line block ×4, first 2 shown]
	v_max3_f32 v66, v66, v70, v71
	v_cndmask_b32_e64 v68, 0xff7fffff, v97, s13
	v_cndmask_b32_e64 v69, 0xff7fffff, v96, s16
	;; [unrolled: 1-line block ×4, first 2 shown]
	s_delay_alu instid0(VALU_DEP_3) | instskip(NEXT) | instid1(VALU_DEP_1)
	v_max3_f32 v66, v66, v68, v69
	v_max3_f32 v66, v66, v70, v71
	ds_bpermute_b32 v67, v81, v66
	s_waitcnt lgkmcnt(0)
	v_max_f32_e32 v67, v67, v67
	s_delay_alu instid0(VALU_DEP_1) | instskip(NEXT) | instid1(VALU_DEP_1)
	v_max_f32_e32 v66, v66, v67
	v_fma_f32 v69, s24, v125, -v66
	s_delay_alu instid0(VALU_DEP_1) | instskip(NEXT) | instid1(VALU_DEP_1)
	v_mul_f32_e32 v69, 0x3fb8aa3b, v69
	v_exp_f32_e32 v69, v69
	s_waitcnt_depctr 0xfff
	v_cndmask_b32_e64 v82, 0, v69, s3
	v_fma_f32 v69, s24, v130, -v66
	s_mov_b32 s3, exec_lo
	s_delay_alu instid0(VALU_DEP_1)
	v_mul_f32_e32 v69, 0x3fb8aa3b, v69
	v_fma_f32 v67, s24, v123, -v66
	v_fma_f32 v68, s24, v124, -v66
	;; [unrolled: 1-line block ×5, first 2 shown]
	s_delay_alu instid0(VALU_DEP_4) | instskip(NEXT) | instid1(VALU_DEP_4)
	v_dual_mul_f32 v67, 0x3fb8aa3b, v67 :: v_dual_mul_f32 v68, 0x3fb8aa3b, v68
	v_mul_f32_e32 v70, 0x3fb8aa3b, v70
	v_exp_f32_e32 v69, v69
	v_fma_f32 v77, s24, v119, -v66
	s_delay_alu instid0(VALU_DEP_3)
	v_exp_f32_e32 v67, v67
	v_exp_f32_e32 v68, v68
	v_mul_f32_e32 v71, 0x3fb8aa3b, v71
	v_exp_f32_e32 v70, v70
	v_mul_f32_e32 v77, 0x3fb8aa3b, v77
	v_fma_f32 v88, s24, v122, -v66
	v_cndmask_b32_e64 v87, 0, v69, s8
	s_delay_alu instid0(VALU_DEP_3) | instskip(SKIP_1) | instid1(TRANS32_DEP_3)
	v_exp_f32_e32 v77, v77
	v_cndmask_b32_e64 v80, 0, v67, s2
	v_cndmask_b32_e32 v76, 0, v68, vcc_lo
	v_fma_f32 v67, s24, v128, -v66
	v_exp_f32_e32 v71, v71
	s_delay_alu instid0(TRANS32_DEP_3) | instskip(SKIP_3) | instid1(VALU_DEP_1)
	v_cndmask_b32_e64 v84, 0, v70, s4
	v_add_f32_e32 v68, 0, v80
	v_fma_f32 v70, s24, v115, -v66
	v_dual_mul_f32 v67, 0x3fb8aa3b, v67 :: v_dual_mul_f32 v88, 0x3fb8aa3b, v88
	v_exp_f32_e32 v67, v67
	s_waitcnt_depctr 0xfff
	v_cndmask_b32_e64 v85, 0, v71, s5
	v_fma_f32 v71, s24, v116, -v66
	s_delay_alu instid0(VALU_DEP_1) | instskip(NEXT) | instid1(VALU_DEP_1)
	v_dual_add_f32 v68, v68, v76 :: v_dual_mul_f32 v71, 0x3fb8aa3b, v71
	v_add_f32_e32 v68, v68, v82
	v_cndmask_b32_e64 v86, 0, v67, s6
	s_delay_alu instid0(VALU_DEP_3) | instskip(NEXT) | instid1(VALU_DEP_2)
	v_exp_f32_e32 v71, v71
	v_add_f32_e32 v68, v68, v84
	s_delay_alu instid0(VALU_DEP_1) | instskip(NEXT) | instid1(VALU_DEP_1)
	v_dual_mul_f32 v72, 0x3fb8aa3b, v72 :: v_dual_add_f32 v67, v68, v85
	v_exp_f32_e32 v72, v72
	v_fma_f32 v68, s24, v117, -v66
	s_delay_alu instid0(VALU_DEP_1)
	v_dual_add_f32 v67, v67, v86 :: v_dual_mul_f32 v68, 0x3fb8aa3b, v68
	s_waitcnt_depctr 0xfff
	v_cndmask_b32_e64 v83, 0, v72, s7
	v_fma_f32 v72, s24, v118, -v66
	v_exp_f32_e32 v78, v68
	v_cndmask_b32_e64 v68, 0, v71, s10
	v_fma_f32 v71, s24, v121, -v66
	v_dual_add_f32 v67, v67, v83 :: v_dual_mul_f32 v70, 0x3fb8aa3b, v70
	s_delay_alu instid0(VALU_DEP_1) | instskip(NEXT) | instid1(VALU_DEP_2)
	v_add_f32_e32 v67, v67, v87
	v_exp_f32_e32 v70, v70
	s_waitcnt_depctr 0xfff
	v_cndmask_b32_e64 v69, 0, v70, s9
	v_mul_f32_e32 v72, 0x3fb8aa3b, v72
	v_fma_f32 v70, s24, v120, -v66
	s_delay_alu instid0(VALU_DEP_3) | instskip(NEXT) | instid1(VALU_DEP_3)
	v_add_f32_e32 v67, v67, v69
	v_exp_f32_e32 v72, v72
	s_delay_alu instid0(VALU_DEP_2) | instskip(SKIP_1) | instid1(VALU_DEP_3)
	v_mul_f32_e32 v79, 0x3fb8aa3b, v70
	v_cndmask_b32_e64 v70, 0, v78, s11
	v_dual_mul_f32 v78, 0x3fb8aa3b, v71 :: v_dual_add_f32 v67, v67, v68
	s_delay_alu instid0(VALU_DEP_3) | instskip(NEXT) | instid1(VALU_DEP_1)
	v_exp_f32_e32 v79, v79
	v_exp_f32_e32 v78, v78
	s_delay_alu instid0(VALU_DEP_1) | instskip(NEXT) | instid1(TRANS32_DEP_3)
	v_add_f32_e32 v67, v67, v70
	v_cndmask_b32_e64 v71, 0, v72, s12
	v_cndmask_b32_e64 v72, 0, v77, s13
	s_delay_alu instid0(VALU_DEP_2)
	v_add_f32_e32 v67, v67, v71
	s_waitcnt_depctr 0xfff
	v_cndmask_b32_e64 v77, 0, v79, s16
	v_exp_f32_e32 v79, v88
	v_and_b32_e32 v88, 31, v0
	v_cndmask_b32_e64 v78, 0, v78, s17
	v_add_f32_e32 v67, v67, v72
	s_delay_alu instid0(VALU_DEP_3) | instskip(NEXT) | instid1(VALU_DEP_2)
	v_cmp_lt_u32_e64 s2, 15, v88
	v_add_f32_e32 v67, v67, v77
	s_waitcnt_depctr 0xfff
	v_cndmask_b32_e64 v79, 0, v79, s18
	v_add_f32_e32 v67, v67, v78
	s_delay_alu instid0(VALU_DEP_1)
	v_add_f32_e32 v67, v67, v79
	ds_bpermute_b32 v81, v81, v67
	v_cmpx_gt_u32_e32 16, v88
	s_cbranch_execz .LBB1774_11
; %bb.10:
	v_mul_u32_u24_e32 v88, 0x44, v65
	s_waitcnt lgkmcnt(0)
	v_add_f32_e32 v67, v67, v81
	s_delay_alu instid0(VALU_DEP_2) | instskip(NEXT) | instid1(VALU_DEP_1)
	v_lshl_add_u32 v88, v73, 2, v88
	v_add_nc_u32_e32 v81, 0x4000, v88
	ds_store_2addr_b32 v81, v66, v67 offset1:136
.LBB1774_11:
	s_or_b32 exec_lo, exec_lo, s3
	v_lshlrev_b32_e32 v66, 2, v73
	s_waitcnt lgkmcnt(0)
	s_barrier
	buffer_gl0_inv
	v_cmp_eq_u32_e32 vcc_lo, 1, v65
	v_add_nc_u32_e32 v81, 0x4000, v66
	v_cmp_eq_u32_e64 s3, 2, v65
	v_cmp_eq_u32_e64 s5, 7, v65
	ds_load_2addr_b32 v[88:89], v81 offset1:17
	ds_load_2addr_b32 v[90:91], v81 offset0:34 offset1:51
	ds_load_2addr_b32 v[92:93], v81 offset0:68 offset1:85
	;; [unrolled: 1-line block ×4, first 2 shown]
	s_waitcnt lgkmcnt(4)
	v_max3_f32 v66, v88, 0xff7fffff, v89
	s_waitcnt lgkmcnt(3)
	s_delay_alu instid0(VALU_DEP_1) | instskip(SKIP_1) | instid1(VALU_DEP_1)
	v_max3_f32 v66, v66, v90, v91
	s_waitcnt lgkmcnt(2)
	v_max3_f32 v66, v66, v92, v93
	s_waitcnt lgkmcnt(1)
	s_delay_alu instid0(VALU_DEP_1) | instskip(NEXT) | instid1(VALU_DEP_1)
	v_max3_f32 v66, v66, v94, v95
	v_sub_f32_e32 v92, v92, v66
	s_delay_alu instid0(VALU_DEP_1) | instskip(NEXT) | instid1(VALU_DEP_1)
	v_dual_sub_f32 v67, v88, v66 :: v_dual_mul_f32 v102, 0x3fb8aa3b, v92
	v_mul_f32_e32 v67, 0x3fb8aa3b, v67
	s_delay_alu instid0(VALU_DEP_1)
	v_exp_f32_e32 v99, v67
	v_sub_f32_e32 v67, v91, v66
	v_sub_f32_e32 v98, v89, v66
	ds_load_2addr_b32 v[88:89], v81 offset0:170 offset1:187
	v_dual_mul_f32 v101, 0x3fb8aa3b, v67 :: v_dual_mul_f32 v98, 0x3fb8aa3b, v98
	s_waitcnt lgkmcnt(1)
	v_fma_f32 v67, v99, v96, 0
	s_delay_alu instid0(VALU_DEP_2) | instskip(NEXT) | instid1(VALU_DEP_2)
	v_exp_f32_e32 v101, v101
	v_exp_f32_e32 v98, v98
	s_waitcnt_depctr 0xfff
	v_fmac_f32_e32 v67, v98, v97
	v_sub_f32_e32 v90, v90, v66
	s_delay_alu instid0(VALU_DEP_1)
	v_mul_f32_e32 v100, 0x3fb8aa3b, v90
	ds_load_2addr_b32 v[90:91], v81 offset0:204 offset1:221
	v_sub_f32_e32 v96, v93, v66
	ds_load_2addr_b32 v[92:93], v81 offset0:238 offset1:255
	s_waitcnt lgkmcnt(0)
	v_exp_f32_e32 v100, v100
	s_barrier
	buffer_gl0_inv
	v_dual_fmac_f32 v67, v100, v88 :: v_dual_sub_f32 v88, v95, v66
	v_dual_sub_f32 v81, v94, v66 :: v_dual_mul_f32 v94, 0x3fb8aa3b, v96
	v_exp_f32_e32 v96, v102
	s_delay_alu instid0(VALU_DEP_2) | instskip(NEXT) | instid1(VALU_DEP_2)
	v_dual_fmac_f32 v67, v101, v89 :: v_dual_mul_f32 v88, 0x3fb8aa3b, v88
	v_mul_f32_e32 v81, 0x3fb8aa3b, v81
	s_delay_alu instid0(VALU_DEP_3) | instskip(NEXT) | instid1(VALU_DEP_2)
	v_exp_f32_e32 v94, v94
	v_exp_f32_e32 v88, v88
	s_delay_alu instid0(VALU_DEP_1)
	v_exp_f32_e32 v81, v81
	v_fmac_f32_e32 v67, v96, v90
	s_delay_alu instid0(TRANS32_DEP_3) | instid1(VALU_DEP_1)
	v_fmac_f32_e32 v67, v94, v91
	s_waitcnt_depctr 0xfff
	v_fmac_f32_e32 v67, v81, v92
	s_delay_alu instid0(VALU_DEP_1) | instskip(NEXT) | instid1(VALU_DEP_1)
	v_fmac_f32_e32 v67, v88, v93
	v_add_f32_e32 v89, 0x358637bd, v67
	s_delay_alu instid0(VALU_DEP_1) | instskip(NEXT) | instid1(VALU_DEP_1)
	v_div_scale_f32 v90, null, v89, v89, 1.0
	v_rcp_f32_e32 v91, v90
	s_waitcnt_depctr 0xfff
	v_fma_f32 v92, -v90, v91, 1.0
	s_delay_alu instid0(VALU_DEP_1) | instskip(SKIP_1) | instid1(VALU_DEP_2)
	v_dual_fmac_f32 v91, v92, v91 :: v_dual_cndmask_b32 v92, v99, v98
	v_cmp_eq_u32_e32 vcc_lo, 3, v65
	v_cndmask_b32_e64 v92, v92, v100, s3
	v_cmp_eq_u32_e64 s3, 4, v65
	s_delay_alu instid0(VALU_DEP_2) | instskip(SKIP_1) | instid1(VALU_DEP_2)
	v_cndmask_b32_e32 v92, v92, v101, vcc_lo
	v_cmp_eq_u32_e32 vcc_lo, 5, v65
	v_cndmask_b32_e64 v92, v92, v96, s3
	v_cmp_eq_u32_e64 s3, 6, v65
	s_delay_alu instid0(VALU_DEP_2) | instskip(SKIP_1) | instid1(VALU_DEP_1)
	v_cndmask_b32_e32 v92, v92, v94, vcc_lo
	v_div_scale_f32 v93, s4, 1.0, v89, 1.0
	s_mov_b32 vcc_lo, s4
	s_delay_alu instid0(VALU_DEP_2) | instskip(NEXT) | instid1(VALU_DEP_2)
	v_cndmask_b32_e64 v81, v92, v81, s3
	v_mul_f32_e32 v95, v93, v91
	s_mov_b32 s3, exec_lo
	s_delay_alu instid0(VALU_DEP_2) | instskip(NEXT) | instid1(VALU_DEP_2)
	v_cndmask_b32_e64 v81, v81, v88, s5
	v_fma_f32 v97, -v90, v95, v93
	s_delay_alu instid0(VALU_DEP_1) | instskip(NEXT) | instid1(VALU_DEP_1)
	v_fmac_f32_e32 v95, v97, v91
	v_fma_f32 v90, -v90, v95, v93
	s_delay_alu instid0(VALU_DEP_1) | instskip(NEXT) | instid1(VALU_DEP_1)
	v_div_fmas_f32 v90, v90, v91, v95
	v_div_fixup_f32 v89, v90, v89, 1.0
	s_delay_alu instid0(VALU_DEP_1) | instskip(NEXT) | instid1(VALU_DEP_1)
	v_mul_f32_e32 v81, v81, v89
	v_mul_f32_e32 v89, v81, v80
	;; [unrolled: 1-line block ×6, first 2 shown]
	v_and_b32_e32 v90, 0x7f800000, v89
	v_mul_f32_e32 v88, v81, v84
	v_mul_f32_e32 v85, v81, v82
	v_mul_f32_e32 v84, v81, v76
                                        ; implicit-def: $vgpr76
	s_delay_alu instid0(VALU_DEP_4)
	v_cmpx_ne_u32_e32 0x7f800000, v90
	s_xor_b32 s3, exec_lo, s3
; %bb.12:
	v_bfe_u32 v76, v89, 16, 1
	s_delay_alu instid0(VALU_DEP_1)
	v_add3_u32 v76, v89, v76, 0x7fff
                                        ; implicit-def: $vgpr89
; %bb.13:
	s_and_not1_saveexec_b32 s3, s3
; %bb.14:
	v_and_b32_e32 v76, 0xffff, v89
	v_or_b32_e32 v82, 0x10000, v89
	s_delay_alu instid0(VALU_DEP_2) | instskip(NEXT) | instid1(VALU_DEP_2)
	v_cmp_eq_u32_e32 vcc_lo, 0, v76
	v_cndmask_b32_e32 v76, v82, v89, vcc_lo
; %bb.15:
	s_or_b32 exec_lo, exec_lo, s3
	v_and_b32_e32 v82, 0x7f800000, v84
	s_delay_alu instid0(VALU_DEP_1) | instskip(SKIP_1) | instid1(SALU_CYCLE_1)
	v_cmp_ne_u32_e32 vcc_lo, 0x7f800000, v82
                                        ; implicit-def: $vgpr82
	s_and_saveexec_b32 s3, vcc_lo
	s_xor_b32 s3, exec_lo, s3
; %bb.16:
	v_bfe_u32 v82, v84, 16, 1
	s_delay_alu instid0(VALU_DEP_1)
	v_add3_u32 v82, v84, v82, 0x7fff
                                        ; implicit-def: $vgpr84
; %bb.17:
	s_and_not1_saveexec_b32 s3, s3
; %bb.18:
	v_and_b32_e32 v82, 0xffff, v84
	v_or_b32_e32 v89, 0x10000, v84
	s_delay_alu instid0(VALU_DEP_2) | instskip(NEXT) | instid1(VALU_DEP_2)
	v_cmp_eq_u32_e32 vcc_lo, 0, v82
	v_cndmask_b32_e32 v82, v89, v84, vcc_lo
; %bb.19:
	s_or_b32 exec_lo, exec_lo, s3
	v_and_b32_e32 v84, 0x7f800000, v85
	s_delay_alu instid0(VALU_DEP_1) | instskip(SKIP_1) | instid1(SALU_CYCLE_1)
	v_cmp_ne_u32_e32 vcc_lo, 0x7f800000, v84
                                        ; implicit-def: $vgpr84
	s_and_saveexec_b32 s3, vcc_lo
	s_xor_b32 s3, exec_lo, s3
; %bb.20:
	v_bfe_u32 v84, v85, 16, 1
	s_delay_alu instid0(VALU_DEP_1)
	v_add3_u32 v84, v85, v84, 0x7fff
                                        ; implicit-def: $vgpr85
; %bb.21:
	s_and_not1_saveexec_b32 s3, s3
; %bb.22:
	v_and_b32_e32 v84, 0xffff, v85
	v_or_b32_e32 v89, 0x10000, v85
	s_delay_alu instid0(VALU_DEP_2) | instskip(NEXT) | instid1(VALU_DEP_2)
	v_cmp_eq_u32_e32 vcc_lo, 0, v84
	v_cndmask_b32_e32 v84, v89, v85, vcc_lo
; %bb.23:
	s_or_b32 exec_lo, exec_lo, s3
	v_and_b32_e32 v85, 0x7f800000, v88
	s_delay_alu instid0(VALU_DEP_1) | instskip(SKIP_1) | instid1(SALU_CYCLE_1)
	v_cmp_ne_u32_e32 vcc_lo, 0x7f800000, v85
                                        ; implicit-def: $vgpr85
	s_and_saveexec_b32 s3, vcc_lo
	s_xor_b32 s3, exec_lo, s3
; %bb.24:
	v_bfe_u32 v85, v88, 16, 1
	s_delay_alu instid0(VALU_DEP_1)
	v_add3_u32 v85, v88, v85, 0x7fff
                                        ; implicit-def: $vgpr88
; %bb.25:
	s_and_not1_saveexec_b32 s3, s3
; %bb.26:
	v_and_b32_e32 v85, 0xffff, v88
	v_or_b32_e32 v89, 0x10000, v88
	s_delay_alu instid0(VALU_DEP_2) | instskip(NEXT) | instid1(VALU_DEP_2)
	v_cmp_eq_u32_e32 vcc_lo, 0, v85
	v_cndmask_b32_e32 v85, v89, v88, vcc_lo
; %bb.27:
	s_or_b32 exec_lo, exec_lo, s3
	v_and_b32_e32 v88, 0x7f800000, v87
	s_delay_alu instid0(VALU_DEP_1) | instskip(SKIP_1) | instid1(SALU_CYCLE_1)
	v_cmp_ne_u32_e32 vcc_lo, 0x7f800000, v88
                                        ; implicit-def: $vgpr88
	s_and_saveexec_b32 s3, vcc_lo
	s_xor_b32 s3, exec_lo, s3
; %bb.28:
	v_bfe_u32 v88, v87, 16, 1
	s_delay_alu instid0(VALU_DEP_1)
	v_add3_u32 v88, v87, v88, 0x7fff
                                        ; implicit-def: $vgpr87
; %bb.29:
	s_and_not1_saveexec_b32 s3, s3
; %bb.30:
	v_and_b32_e32 v88, 0xffff, v87
	v_or_b32_e32 v89, 0x10000, v87
	s_delay_alu instid0(VALU_DEP_2) | instskip(NEXT) | instid1(VALU_DEP_2)
	v_cmp_eq_u32_e32 vcc_lo, 0, v88
	v_cndmask_b32_e32 v88, v89, v87, vcc_lo
; %bb.31:
	s_or_b32 exec_lo, exec_lo, s3
	v_and_b32_e32 v87, 0x7f800000, v86
	s_delay_alu instid0(VALU_DEP_1) | instskip(SKIP_1) | instid1(SALU_CYCLE_1)
	v_cmp_ne_u32_e32 vcc_lo, 0x7f800000, v87
                                        ; implicit-def: $vgpr87
	s_and_saveexec_b32 s3, vcc_lo
	s_xor_b32 s3, exec_lo, s3
; %bb.32:
	v_bfe_u32 v87, v86, 16, 1
	s_delay_alu instid0(VALU_DEP_1)
	v_add3_u32 v87, v86, v87, 0x7fff
                                        ; implicit-def: $vgpr86
; %bb.33:
	s_and_not1_saveexec_b32 s3, s3
; %bb.34:
	v_and_b32_e32 v87, 0xffff, v86
	v_or_b32_e32 v89, 0x10000, v86
	s_delay_alu instid0(VALU_DEP_2) | instskip(NEXT) | instid1(VALU_DEP_2)
	v_cmp_eq_u32_e32 vcc_lo, 0, v87
	v_cndmask_b32_e32 v87, v89, v86, vcc_lo
; %bb.35:
	s_or_b32 exec_lo, exec_lo, s3
	v_and_b32_e32 v86, 0x7f800000, v83
	s_delay_alu instid0(VALU_DEP_1) | instskip(SKIP_1) | instid1(SALU_CYCLE_1)
	v_cmp_ne_u32_e32 vcc_lo, 0x7f800000, v86
                                        ; implicit-def: $vgpr86
	s_and_saveexec_b32 s3, vcc_lo
	s_xor_b32 s3, exec_lo, s3
; %bb.36:
	v_bfe_u32 v86, v83, 16, 1
	s_delay_alu instid0(VALU_DEP_1)
	v_add3_u32 v86, v83, v86, 0x7fff
                                        ; implicit-def: $vgpr83
; %bb.37:
	s_and_not1_saveexec_b32 s3, s3
; %bb.38:
	v_and_b32_e32 v86, 0xffff, v83
	v_or_b32_e32 v89, 0x10000, v83
	s_delay_alu instid0(VALU_DEP_2) | instskip(NEXT) | instid1(VALU_DEP_2)
	v_cmp_eq_u32_e32 vcc_lo, 0, v86
	v_cndmask_b32_e32 v86, v89, v83, vcc_lo
; %bb.39:
	s_or_b32 exec_lo, exec_lo, s3
	v_and_b32_e32 v83, 0x7f800000, v80
	s_delay_alu instid0(VALU_DEP_1) | instskip(SKIP_1) | instid1(SALU_CYCLE_1)
	v_cmp_ne_u32_e32 vcc_lo, 0x7f800000, v83
                                        ; implicit-def: $vgpr83
	s_and_saveexec_b32 s3, vcc_lo
	s_xor_b32 s3, exec_lo, s3
; %bb.40:
	v_bfe_u32 v83, v80, 16, 1
	s_delay_alu instid0(VALU_DEP_1)
	v_add3_u32 v83, v80, v83, 0x7fff
                                        ; implicit-def: $vgpr80
; %bb.41:
	s_and_not1_saveexec_b32 s3, s3
; %bb.42:
	v_and_b32_e32 v83, 0xffff, v80
	v_or_b32_e32 v89, 0x10000, v80
	s_delay_alu instid0(VALU_DEP_2) | instskip(NEXT) | instid1(VALU_DEP_2)
	v_cmp_eq_u32_e32 vcc_lo, 0, v83
	v_cndmask_b32_e32 v83, v89, v80, vcc_lo
; %bb.43:
	s_or_b32 exec_lo, exec_lo, s3
	s_load_b64 s[36:37], s[0:1], 0x94
	v_lshlrev_b32_e32 v90, 4, v75
	s_delay_alu instid0(VALU_DEP_2)
	v_perm_b32 v89, v83, v86, 0x7060302
	v_mul_f32_e32 v83, v81, v69
	v_dual_mul_f32 v69, v81, v79 :: v_dual_lshlrev_b32 v80, 6, v73
	v_dual_mul_f32 v78, v81, v78 :: v_dual_lshlrev_b32 v91, 11, v65
	v_perm_b32 v88, v87, v88, 0x7060302
	v_perm_b32 v87, v85, v84, 0x7060302
	;; [unrolled: 1-line block ×3, first 2 shown]
	s_delay_alu instid0(VALU_DEP_4)
	v_or3_b32 v76, v90, v91, v80
	v_dual_mul_f32 v77, v81, v77 :: v_dual_and_b32 v84, 0x7f800000, v83
	v_mul_f32_e32 v72, v81, v72
	v_mul_f32_e32 v82, v81, v71
	;; [unrolled: 1-line block ×4, first 2 shown]
	s_mov_b32 s3, exec_lo
	ds_store_b128 v76, v[86:89]
                                        ; implicit-def: $vgpr68
	v_cmpx_ne_u32_e32 0x7f800000, v84
	s_xor_b32 s3, exec_lo, s3
; %bb.44:
	v_bfe_u32 v68, v83, 16, 1
	s_delay_alu instid0(VALU_DEP_1)
	v_add3_u32 v68, v83, v68, 0x7fff
                                        ; implicit-def: $vgpr83
; %bb.45:
	s_and_not1_saveexec_b32 s3, s3
; %bb.46:
	v_and_b32_e32 v68, 0xffff, v83
	v_or_b32_e32 v70, 0x10000, v83
	s_delay_alu instid0(VALU_DEP_2) | instskip(NEXT) | instid1(VALU_DEP_2)
	v_cmp_eq_u32_e32 vcc_lo, 0, v68
	v_cndmask_b32_e32 v68, v70, v83, vcc_lo
; %bb.47:
	s_or_b32 exec_lo, exec_lo, s3
	v_and_b32_e32 v70, 0x7f800000, v71
	s_delay_alu instid0(VALU_DEP_1) | instskip(SKIP_1) | instid1(SALU_CYCLE_1)
	v_cmp_ne_u32_e32 vcc_lo, 0x7f800000, v70
                                        ; implicit-def: $vgpr70
	s_and_saveexec_b32 s3, vcc_lo
	s_xor_b32 s3, exec_lo, s3
; %bb.48:
	v_bfe_u32 v70, v71, 16, 1
	s_delay_alu instid0(VALU_DEP_1)
	v_add3_u32 v70, v71, v70, 0x7fff
                                        ; implicit-def: $vgpr71
; %bb.49:
	s_and_not1_saveexec_b32 s3, s3
; %bb.50:
	v_and_b32_e32 v70, 0xffff, v71
	v_or_b32_e32 v81, 0x10000, v71
	s_delay_alu instid0(VALU_DEP_2) | instskip(NEXT) | instid1(VALU_DEP_2)
	v_cmp_eq_u32_e32 vcc_lo, 0, v70
	v_cndmask_b32_e32 v70, v81, v71, vcc_lo
; %bb.51:
	s_or_b32 exec_lo, exec_lo, s3
	v_and_b32_e32 v71, 0x7f800000, v79
	s_delay_alu instid0(VALU_DEP_1) | instskip(SKIP_1) | instid1(SALU_CYCLE_1)
	v_cmp_ne_u32_e32 vcc_lo, 0x7f800000, v71
                                        ; implicit-def: $vgpr71
	s_and_saveexec_b32 s3, vcc_lo
	s_xor_b32 s3, exec_lo, s3
; %bb.52:
	v_bfe_u32 v71, v79, 16, 1
	s_delay_alu instid0(VALU_DEP_1)
	v_add3_u32 v71, v79, v71, 0x7fff
                                        ; implicit-def: $vgpr79
; %bb.53:
	s_and_not1_saveexec_b32 s3, s3
; %bb.54:
	v_and_b32_e32 v71, 0xffff, v79
	v_or_b32_e32 v81, 0x10000, v79
	s_delay_alu instid0(VALU_DEP_2) | instskip(NEXT) | instid1(VALU_DEP_2)
	v_cmp_eq_u32_e32 vcc_lo, 0, v71
	v_cndmask_b32_e32 v71, v81, v79, vcc_lo
; %bb.55:
	s_or_b32 exec_lo, exec_lo, s3
	v_and_b32_e32 v79, 0x7f800000, v82
	s_delay_alu instid0(VALU_DEP_1) | instskip(SKIP_1) | instid1(SALU_CYCLE_1)
	v_cmp_ne_u32_e32 vcc_lo, 0x7f800000, v79
                                        ; implicit-def: $vgpr79
	s_and_saveexec_b32 s3, vcc_lo
	s_xor_b32 s3, exec_lo, s3
; %bb.56:
	v_bfe_u32 v79, v82, 16, 1
	s_delay_alu instid0(VALU_DEP_1)
	v_add3_u32 v79, v82, v79, 0x7fff
                                        ; implicit-def: $vgpr82
; %bb.57:
	s_and_not1_saveexec_b32 s3, s3
; %bb.58:
	v_and_b32_e32 v79, 0xffff, v82
	v_or_b32_e32 v81, 0x10000, v82
	s_delay_alu instid0(VALU_DEP_2) | instskip(NEXT) | instid1(VALU_DEP_2)
	v_cmp_eq_u32_e32 vcc_lo, 0, v79
	v_cndmask_b32_e32 v79, v81, v82, vcc_lo
; %bb.59:
	s_or_b32 exec_lo, exec_lo, s3
	v_and_b32_e32 v81, 0x7f800000, v72
	s_delay_alu instid0(VALU_DEP_1) | instskip(SKIP_1) | instid1(SALU_CYCLE_1)
	v_cmp_ne_u32_e32 vcc_lo, 0x7f800000, v81
                                        ; implicit-def: $vgpr81
	s_and_saveexec_b32 s3, vcc_lo
	s_xor_b32 s3, exec_lo, s3
; %bb.60:
	v_bfe_u32 v81, v72, 16, 1
	s_delay_alu instid0(VALU_DEP_1)
	v_add3_u32 v81, v72, v81, 0x7fff
                                        ; implicit-def: $vgpr72
; %bb.61:
	s_and_not1_saveexec_b32 s3, s3
; %bb.62:
	v_and_b32_e32 v81, 0xffff, v72
	v_or_b32_e32 v82, 0x10000, v72
	s_delay_alu instid0(VALU_DEP_2) | instskip(NEXT) | instid1(VALU_DEP_2)
	v_cmp_eq_u32_e32 vcc_lo, 0, v81
	v_cndmask_b32_e32 v81, v82, v72, vcc_lo
; %bb.63:
	s_or_b32 exec_lo, exec_lo, s3
	v_and_b32_e32 v72, 0x7f800000, v77
	s_delay_alu instid0(VALU_DEP_1) | instskip(SKIP_1) | instid1(SALU_CYCLE_1)
	v_cmp_ne_u32_e32 vcc_lo, 0x7f800000, v72
                                        ; implicit-def: $vgpr72
	s_and_saveexec_b32 s3, vcc_lo
	s_xor_b32 s3, exec_lo, s3
; %bb.64:
	v_bfe_u32 v72, v77, 16, 1
	s_delay_alu instid0(VALU_DEP_1)
	v_add3_u32 v72, v77, v72, 0x7fff
                                        ; implicit-def: $vgpr77
; %bb.65:
	s_and_not1_saveexec_b32 s3, s3
; %bb.66:
	v_and_b32_e32 v72, 0xffff, v77
	v_or_b32_e32 v82, 0x10000, v77
	s_delay_alu instid0(VALU_DEP_2) | instskip(NEXT) | instid1(VALU_DEP_2)
	v_cmp_eq_u32_e32 vcc_lo, 0, v72
	v_cndmask_b32_e32 v72, v82, v77, vcc_lo
; %bb.67:
	s_or_b32 exec_lo, exec_lo, s3
	v_and_b32_e32 v77, 0x7f800000, v78
	s_delay_alu instid0(VALU_DEP_1) | instskip(SKIP_1) | instid1(SALU_CYCLE_1)
	v_cmp_ne_u32_e32 vcc_lo, 0x7f800000, v77
                                        ; implicit-def: $vgpr77
	s_and_saveexec_b32 s3, vcc_lo
	s_xor_b32 s3, exec_lo, s3
; %bb.68:
	v_bfe_u32 v77, v78, 16, 1
	s_delay_alu instid0(VALU_DEP_1)
	v_add3_u32 v77, v78, v77, 0x7fff
                                        ; implicit-def: $vgpr78
; %bb.69:
	s_and_not1_saveexec_b32 s3, s3
; %bb.70:
	v_and_b32_e32 v77, 0xffff, v78
	v_or_b32_e32 v82, 0x10000, v78
	s_delay_alu instid0(VALU_DEP_2) | instskip(NEXT) | instid1(VALU_DEP_2)
	v_cmp_eq_u32_e32 vcc_lo, 0, v77
	v_cndmask_b32_e32 v77, v82, v78, vcc_lo
; %bb.71:
	s_or_b32 exec_lo, exec_lo, s3
	v_and_b32_e32 v78, 0x7f800000, v69
	s_delay_alu instid0(VALU_DEP_1) | instskip(SKIP_1) | instid1(SALU_CYCLE_1)
	v_cmp_ne_u32_e32 vcc_lo, 0x7f800000, v78
                                        ; implicit-def: $vgpr78
	s_and_saveexec_b32 s3, vcc_lo
	s_xor_b32 s3, exec_lo, s3
; %bb.72:
	v_bfe_u32 v78, v69, 16, 1
	s_delay_alu instid0(VALU_DEP_1)
	v_add3_u32 v78, v69, v78, 0x7fff
                                        ; implicit-def: $vgpr69
; %bb.73:
	s_and_not1_saveexec_b32 s3, s3
; %bb.74:
	v_and_b32_e32 v78, 0xffff, v69
	v_or_b32_e32 v82, 0x10000, v69
	s_delay_alu instid0(VALU_DEP_2) | instskip(NEXT) | instid1(VALU_DEP_2)
	v_cmp_eq_u32_e32 vcc_lo, 0, v78
	v_cndmask_b32_e32 v78, v82, v69, vcc_lo
; %bb.75:
	s_or_b32 exec_lo, exec_lo, s3
	s_delay_alu instid0(VALU_DEP_1)
	v_perm_b32 v86, v78, v77, 0x7060302
	v_perm_b32 v85, v72, v81, 0x7060302
	;; [unrolled: 1-line block ×4, first 2 shown]
	v_lshl_or_b32 v82, v65, 11, v80
	ds_store_b128 v76, v[83:86] offset:1024
	s_waitcnt lgkmcnt(0)
	s_barrier
	buffer_gl0_inv
	ds_load_b128 v[68:71], v82
	ds_load_b128 v[83:86], v82 offset:16
	s_waitcnt lgkmcnt(1)
	v_lshrrev_b32_e32 v65, 16, v68
	v_lshlrev_b32_e32 v78, 2, v75
	s_waitcnt lgkmcnt(0)
	v_lshrrev_b32_e32 v91, 16, v83
	v_lshrrev_b32_e32 v72, 16, v69
	;; [unrolled: 1-line block ×4, first 2 shown]
	v_cmp_eq_u32_e32 vcc_lo, 1, v78
	v_lshrrev_b32_e32 v98, 16, v85
	v_lshrrev_b32_e32 v96, 16, v71
	;; [unrolled: 1-line block ×3, first 2 shown]
	v_cndmask_b32_e32 v81, v68, v65, vcc_lo
	v_or_b32_e32 v79, 1, v78
	v_cmp_eq_u32_e64 s4, 2, v78
	v_cndmask_b32_e32 v87, v83, v91, vcc_lo
	v_cmp_eq_u32_e64 s7, 3, v78
	v_cmp_eq_u32_e64 s9, 4, v78
	;; [unrolled: 1-line block ×3, first 2 shown]
	v_cndmask_b32_e64 v81, v81, v69, s4
	v_cmp_eq_u32_e64 s6, 2, v79
	v_cndmask_b32_e64 v87, v87, v84, s4
	v_cmp_eq_u32_e64 s8, 3, v79
	v_cndmask_b32_e64 v88, v68, v65, s3
	v_cndmask_b32_e64 v81, v81, v72, s7
	v_or_b32_e32 v77, 2, v78
	v_cndmask_b32_e64 v87, v87, v97, s7
	v_cndmask_b32_e64 v89, v83, v91, s3
	;; [unrolled: 1-line block ×4, first 2 shown]
	v_cmp_eq_u32_e64 s10, 5, v78
	v_cndmask_b32_e64 v87, v87, v85, s9
	v_cmp_eq_u32_e64 s11, 4, v79
	v_cndmask_b32_e64 v88, v88, v72, s8
	;; [unrolled: 2-line block ×3, first 2 shown]
	v_cndmask_b32_e64 v81, v81, v95, s10
	v_cmp_eq_u32_e64 s12, 6, v78
	v_cndmask_b32_e64 v88, v88, v70, s11
	v_cndmask_b32_e64 v87, v87, v98, s10
	v_cmp_eq_u32_e64 s13, 5, v79
	v_cndmask_b32_e64 v90, v68, v65, s5
	v_cndmask_b32_e64 v89, v89, v97, s8
	v_cndmask_b32_e64 v81, v81, v71, s12
	v_cmp_eq_u32_e64 s16, 7, v78
	v_cndmask_b32_e64 v88, v88, v95, s13
	v_cndmask_b32_e64 v87, v87, v86, s12
	v_cmp_eq_u32_e64 s17, 6, v79
	v_cmp_eq_u32_e64 s18, 2, v77
	v_cndmask_b32_e64 v89, v89, v85, s11
	v_cndmask_b32_e64 v100, v81, v96, s16
	;; [unrolled: 1-line block ×6, first 2 shown]
	v_cmp_eq_u32_e64 s19, 7, v79
	v_cmp_eq_u32_e64 s20, 3, v77
	v_cmp_eq_u32_e64 s21, 4, v77
	v_cmp_eq_u32_e64 s23, 5, v77
	v_cndmask_b32_e64 v87, v87, v84, s18
	v_cndmask_b32_e64 v102, v88, v96, s19
	;; [unrolled: 1-line block ×4, first 2 shown]
	v_or_b32_e32 v81, 3, v78
	v_cndmask_b32_e64 v93, v87, v97, s20
	v_cmp_eq_u32_e64 s25, 6, v77
	v_cndmask_b32_e64 v103, v88, v86, s17
	v_cndmask_b32_e64 v92, v89, v70, s21
	v_cmp_eq_u32_e64 s22, 1, v81
	ds_load_b128 v[87:90], v82 offset:1024
	v_cmp_eq_u32_e64 s24, 2, v81
	v_cmp_eq_u32_e64 s26, 3, v81
	v_cndmask_b32_e64 v104, v92, v95, s23
	v_cndmask_b32_e64 v65, v68, v65, s22
	;; [unrolled: 1-line block ×4, first 2 shown]
	ds_load_b128 v[91:94], v82 offset:1040
	v_cmp_eq_u32_e64 s27, 4, v81
	v_cndmask_b32_e64 v65, v65, v69, s24
	v_cmp_eq_u32_e64 s29, 5, v81
	v_cndmask_b32_e64 v69, v83, v84, s24
	v_cmp_eq_u32_e64 s28, 7, v77
	v_cmp_eq_u32_e64 s30, 6, v81
	v_cndmask_b32_e64 v65, v65, v72, s26
	v_cndmask_b32_e64 v72, v104, v71, s25
	;; [unrolled: 1-line block ×6, first 2 shown]
	s_waitcnt lgkmcnt(1)
	v_lshrrev_b32_e32 v84, 16, v87
	v_cndmask_b32_e64 v69, v69, v85, s27
	v_cndmask_b32_e64 v70, v72, v96, s28
	;; [unrolled: 1-line block ×4, first 2 shown]
	v_lshrrev_b32_e32 v95, 16, v88
	v_cndmask_b32_e64 v69, v69, v98, s29
	s_waitcnt lgkmcnt(0)
	v_lshrrev_b32_e32 v85, 16, v91
	v_cndmask_b32_e64 v97, v87, v84, s3
	v_cndmask_b32_e64 v65, v65, v71, s30
	;; [unrolled: 1-line block ×4, first 2 shown]
	v_cndmask_b32_e32 v72, v87, v84, vcc_lo
	v_cndmask_b32_e32 v98, v91, v85, vcc_lo
	v_cmp_eq_u32_e32 vcc_lo, 7, v81
	v_perm_b32 v70, v68, v70, 0x5040100
	v_cndmask_b32_e32 v65, v65, v96, vcc_lo
	v_cndmask_b32_e32 v69, v69, v99, vcc_lo
	v_cndmask_b32_e64 v72, v72, v88, s4
	v_cndmask_b32_e64 v86, v98, v92, s4
	v_lshrrev_b32_e32 v99, 16, v93
	v_lshrrev_b32_e32 v98, 16, v89
	s_delay_alu instid0(VALU_DEP_4) | instskip(SKIP_2) | instid1(VALU_DEP_3)
	v_cndmask_b32_e64 v71, v72, v95, s7
	v_cndmask_b32_e64 v72, v97, v88, s6
	v_lshrrev_b32_e32 v97, 16, v92
	v_cndmask_b32_e64 v71, v71, v89, s9
	s_delay_alu instid0(VALU_DEP_3) | instskip(NEXT) | instid1(VALU_DEP_3)
	v_cndmask_b32_e64 v72, v72, v95, s8
	v_cndmask_b32_e64 v86, v86, v97, s7
	s_delay_alu instid0(VALU_DEP_3) | instskip(SKIP_1) | instid1(VALU_DEP_3)
	v_cndmask_b32_e64 v96, v71, v98, s10
	v_perm_b32 v71, v69, v65, 0x5040100
	v_cndmask_b32_e64 v86, v86, v93, s9
	v_perm_b32 v69, v83, v102, 0x5040100
	v_cndmask_b32_e64 v102, v91, v85, s5
	v_cndmask_b32_e64 v72, v72, v89, s11
	v_lshrrev_b32_e32 v83, 16, v94
	v_cndmask_b32_e64 v86, v86, v99, s10
	s_delay_alu instid0(VALU_DEP_3) | instskip(SKIP_1) | instid1(VALU_DEP_3)
	v_cndmask_b32_e64 v65, v72, v98, s13
	v_cndmask_b32_e64 v72, v96, v90, s12
	;; [unrolled: 1-line block ×7, first 2 shown]
	v_lshrrev_b32_e32 v96, 16, v90
	v_cndmask_b32_e64 v86, v86, v88, s18
	v_cndmask_b32_e64 v84, v84, v88, s24
	;; [unrolled: 1-line block ×29, first 2 shown]
	v_cndmask_b32_e32 v84, v84, v96, vcc_lo
	v_cndmask_b32_e32 v86, v87, v83, vcc_lo
	v_cndmask_b32_e64 v87, v88, v83, s28
	v_cndmask_b32_e64 v88, v85, v83, s19
	;; [unrolled: 1-line block ×3, first 2 shown]
	v_perm_b32 v68, v101, v100, 0x5040100
	v_perm_b32 v86, v86, v84, 0x5040100
	v_perm_b32 v85, v87, v89, 0x5040100
	v_perm_b32 v84, v88, v65, 0x5040100
	v_perm_b32 v83, v83, v72, 0x5040100
	s_mov_b32 s3, exec_lo
	ds_store_b128 v76, v[68:71]
	ds_store_b128 v76, v[83:86] offset:1024
	v_cmpx_eq_u32_e32 0, v0
	s_cbranch_execz .LBB1774_77
; %bb.76:
	s_load_b128 s[4:7], s[0:1], 0x58
	s_mul_i32 s8, s37, s34
	v_mov_b32_e32 v65, 0
	s_add_i32 s8, s8, s15
	s_delay_alu instid0(SALU_CYCLE_1) | instskip(NEXT) | instid1(SALU_CYCLE_1)
	s_mul_i32 s8, s8, s36
	s_add_i32 s8, s8, s14
	s_delay_alu instid0(SALU_CYCLE_1) | instskip(NEXT) | instid1(SALU_CYCLE_1)
	s_ashr_i32 s9, s8, 31
	s_lshl_b64 s[8:9], s[8:9], 2
	s_waitcnt lgkmcnt(0)
	s_add_u32 s6, s6, s8
	s_addc_u32 s7, s7, s9
	s_add_u32 s4, s4, s8
	s_addc_u32 s5, s5, s9
	s_clause 0x1
	global_store_b32 v65, v66, s[6:7]
	global_store_b32 v65, v67, s[4:5]
.LBB1774_77:
	s_or_b32 exec_lo, exec_lo, s3
	s_waitcnt lgkmcnt(0)
	s_waitcnt_vscnt null, 0x0
	s_barrier
	buffer_gl0_inv
	ds_load_b128 v[83:86], v80
	ds_load_b128 v[87:90], v80 offset:16
	ds_load_b128 v[95:98], v80 offset:2064
	;; [unrolled: 1-line block ×3, first 2 shown]
	v_mov_b32_e32 v65, 0
	ds_load_b128 v[103:106], v80 offset:4112
	ds_load_b128 v[99:102], v80 offset:4096
	;; [unrolled: 1-line block ×4, first 2 shown]
	v_mov_b32_e32 v66, v65
	v_mov_b32_e32 v67, v65
	;; [unrolled: 1-line block ×7, first 2 shown]
	s_waitcnt lgkmcnt(6)
	s_delay_alu instid0(VALU_DEP_1)
	v_wmma_f32_16x16x16_bf16 v[65:72], v[49:56], v[83:90], v[65:72]
	ds_load_b128 v[53:56], v80 offset:8208
	ds_load_b128 v[49:52], v80 offset:8192
	s_waitcnt lgkmcnt(6)
	v_wmma_f32_16x16x16_bf16 v[65:72], v[41:48], v[91:98], v[65:72]
	ds_load_b128 v[45:48], v80 offset:10256
	ds_load_b128 v[41:44], v80 offset:10240
	s_waitcnt lgkmcnt(6)
	;; [unrolled: 4-line block ×4, first 2 shown]
	v_wmma_f32_16x16x16_bf16 v[65:72], v[1:8], v[49:56], v[65:72]
	s_waitcnt lgkmcnt(4)
	s_delay_alu instid0(VALU_DEP_1) | instskip(SKIP_1) | instid1(VALU_DEP_1)
	v_wmma_f32_16x16x16_bf16 v[65:72], v[9:16], v[41:48], v[65:72]
	s_waitcnt lgkmcnt(2)
	v_wmma_f32_16x16x16_bf16 v[65:72], v[17:24], v[33:40], v[65:72]
	s_waitcnt lgkmcnt(0)
	s_delay_alu instid0(VALU_DEP_1) | instskip(NEXT) | instid1(VALU_DEP_1)
	v_wmma_f32_16x16x16_bf16 v[65:72], v[57:64], v[25:32], v[65:72]
	v_and_b32_e32 v1, 0x7f800000, v65
	s_delay_alu instid0(VALU_DEP_1) | instskip(SKIP_1) | instid1(SALU_CYCLE_1)
	v_cmp_ne_u32_e32 vcc_lo, 0x7f800000, v1
                                        ; implicit-def: $vgpr1
	s_and_saveexec_b32 s3, vcc_lo
	s_xor_b32 s3, exec_lo, s3
; %bb.78:
	v_bfe_u32 v1, v65, 16, 1
	s_delay_alu instid0(VALU_DEP_1)
	v_add3_u32 v1, v65, v1, 0x7fff
; %bb.79:
	s_and_not1_saveexec_b32 s3, s3
; %bb.80:
	v_and_b32_e32 v1, 0xffff, v65
	v_or_b32_e32 v2, 0x10000, v65
	s_delay_alu instid0(VALU_DEP_2) | instskip(NEXT) | instid1(VALU_DEP_2)
	v_cmp_eq_u32_e32 vcc_lo, 0, v1
	v_cndmask_b32_e32 v1, v2, v65, vcc_lo
; %bb.81:
	s_or_b32 exec_lo, exec_lo, s3
	v_and_b32_e32 v2, 0x7f800000, v66
	s_delay_alu instid0(VALU_DEP_1) | instskip(SKIP_1) | instid1(SALU_CYCLE_1)
	v_cmp_ne_u32_e32 vcc_lo, 0x7f800000, v2
                                        ; implicit-def: $vgpr2
	s_and_saveexec_b32 s3, vcc_lo
	s_xor_b32 s3, exec_lo, s3
; %bb.82:
	v_bfe_u32 v2, v66, 16, 1
	s_delay_alu instid0(VALU_DEP_1)
	v_add3_u32 v2, v66, v2, 0x7fff
; %bb.83:
	s_and_not1_saveexec_b32 s3, s3
; %bb.84:
	v_and_b32_e32 v2, 0xffff, v66
	v_or_b32_e32 v3, 0x10000, v66
	s_delay_alu instid0(VALU_DEP_2) | instskip(NEXT) | instid1(VALU_DEP_2)
	v_cmp_eq_u32_e32 vcc_lo, 0, v2
	v_cndmask_b32_e32 v2, v3, v66, vcc_lo
; %bb.85:
	s_or_b32 exec_lo, exec_lo, s3
	v_and_b32_e32 v3, 0x7f800000, v67
	s_delay_alu instid0(VALU_DEP_1) | instskip(SKIP_1) | instid1(SALU_CYCLE_1)
	v_cmp_ne_u32_e32 vcc_lo, 0x7f800000, v3
                                        ; implicit-def: $vgpr3
	s_and_saveexec_b32 s3, vcc_lo
	s_xor_b32 s3, exec_lo, s3
; %bb.86:
	v_bfe_u32 v3, v67, 16, 1
	s_delay_alu instid0(VALU_DEP_1)
	v_add3_u32 v3, v67, v3, 0x7fff
; %bb.87:
	s_and_not1_saveexec_b32 s3, s3
; %bb.88:
	v_and_b32_e32 v3, 0xffff, v67
	v_or_b32_e32 v4, 0x10000, v67
	s_delay_alu instid0(VALU_DEP_2) | instskip(NEXT) | instid1(VALU_DEP_2)
	v_cmp_eq_u32_e32 vcc_lo, 0, v3
	v_cndmask_b32_e32 v3, v4, v67, vcc_lo
; %bb.89:
	s_or_b32 exec_lo, exec_lo, s3
	v_and_b32_e32 v4, 0x7f800000, v68
	s_delay_alu instid0(VALU_DEP_1) | instskip(SKIP_1) | instid1(SALU_CYCLE_1)
	v_cmp_ne_u32_e32 vcc_lo, 0x7f800000, v4
                                        ; implicit-def: $vgpr4
	s_and_saveexec_b32 s3, vcc_lo
	s_xor_b32 s3, exec_lo, s3
; %bb.90:
	v_bfe_u32 v4, v68, 16, 1
	s_delay_alu instid0(VALU_DEP_1)
	v_add3_u32 v4, v68, v4, 0x7fff
; %bb.91:
	s_and_not1_saveexec_b32 s3, s3
; %bb.92:
	v_and_b32_e32 v4, 0xffff, v68
	v_or_b32_e32 v5, 0x10000, v68
	s_delay_alu instid0(VALU_DEP_2) | instskip(NEXT) | instid1(VALU_DEP_2)
	v_cmp_eq_u32_e32 vcc_lo, 0, v4
	v_cndmask_b32_e32 v4, v5, v68, vcc_lo
; %bb.93:
	s_or_b32 exec_lo, exec_lo, s3
	v_and_b32_e32 v5, 0x7f800000, v69
	s_delay_alu instid0(VALU_DEP_1) | instskip(SKIP_1) | instid1(SALU_CYCLE_1)
	v_cmp_ne_u32_e32 vcc_lo, 0x7f800000, v5
                                        ; implicit-def: $vgpr5
	s_and_saveexec_b32 s3, vcc_lo
	s_xor_b32 s3, exec_lo, s3
; %bb.94:
	v_bfe_u32 v5, v69, 16, 1
	s_delay_alu instid0(VALU_DEP_1)
	v_add3_u32 v5, v69, v5, 0x7fff
; %bb.95:
	s_and_not1_saveexec_b32 s3, s3
; %bb.96:
	v_and_b32_e32 v5, 0xffff, v69
	v_or_b32_e32 v6, 0x10000, v69
	s_delay_alu instid0(VALU_DEP_2) | instskip(NEXT) | instid1(VALU_DEP_2)
	v_cmp_eq_u32_e32 vcc_lo, 0, v5
	v_cndmask_b32_e32 v5, v6, v69, vcc_lo
; %bb.97:
	s_or_b32 exec_lo, exec_lo, s3
	v_and_b32_e32 v6, 0x7f800000, v70
	s_delay_alu instid0(VALU_DEP_1) | instskip(SKIP_1) | instid1(SALU_CYCLE_1)
	v_cmp_ne_u32_e32 vcc_lo, 0x7f800000, v6
                                        ; implicit-def: $vgpr6
	s_and_saveexec_b32 s3, vcc_lo
	s_xor_b32 s3, exec_lo, s3
; %bb.98:
	v_bfe_u32 v6, v70, 16, 1
	s_delay_alu instid0(VALU_DEP_1)
	v_add3_u32 v6, v70, v6, 0x7fff
; %bb.99:
	s_and_not1_saveexec_b32 s3, s3
; %bb.100:
	v_and_b32_e32 v6, 0xffff, v70
	v_or_b32_e32 v7, 0x10000, v70
	s_delay_alu instid0(VALU_DEP_2) | instskip(NEXT) | instid1(VALU_DEP_2)
	v_cmp_eq_u32_e32 vcc_lo, 0, v6
	v_cndmask_b32_e32 v6, v7, v70, vcc_lo
; %bb.101:
	s_or_b32 exec_lo, exec_lo, s3
	v_and_b32_e32 v7, 0x7f800000, v71
	s_delay_alu instid0(VALU_DEP_1) | instskip(SKIP_1) | instid1(SALU_CYCLE_1)
	v_cmp_ne_u32_e32 vcc_lo, 0x7f800000, v7
                                        ; implicit-def: $vgpr7
	s_and_saveexec_b32 s3, vcc_lo
	s_xor_b32 s3, exec_lo, s3
; %bb.102:
	v_bfe_u32 v7, v71, 16, 1
	s_delay_alu instid0(VALU_DEP_1)
	v_add3_u32 v7, v71, v7, 0x7fff
; %bb.103:
	s_and_not1_saveexec_b32 s3, s3
; %bb.104:
	v_and_b32_e32 v7, 0xffff, v71
	v_or_b32_e32 v8, 0x10000, v71
	s_delay_alu instid0(VALU_DEP_2) | instskip(NEXT) | instid1(VALU_DEP_2)
	v_cmp_eq_u32_e32 vcc_lo, 0, v7
	v_cndmask_b32_e32 v7, v8, v71, vcc_lo
; %bb.105:
	s_or_b32 exec_lo, exec_lo, s3
	v_and_b32_e32 v8, 0x7f800000, v72
	s_delay_alu instid0(VALU_DEP_1) | instskip(SKIP_1) | instid1(SALU_CYCLE_1)
	v_cmp_ne_u32_e32 vcc_lo, 0x7f800000, v8
                                        ; implicit-def: $vgpr8
	s_and_saveexec_b32 s3, vcc_lo
	s_xor_b32 s3, exec_lo, s3
; %bb.106:
	v_bfe_u32 v8, v72, 16, 1
	s_delay_alu instid0(VALU_DEP_1)
	v_add3_u32 v8, v72, v8, 0x7fff
                                        ; implicit-def: $vgpr65_vgpr66_vgpr67_vgpr68_vgpr69_vgpr70_vgpr71_vgpr72
; %bb.107:
	s_and_not1_saveexec_b32 s3, s3
; %bb.108:
	v_and_b32_e32 v8, 0xffff, v72
	v_or_b32_e32 v9, 0x10000, v72
	s_delay_alu instid0(VALU_DEP_2) | instskip(NEXT) | instid1(VALU_DEP_2)
	v_cmp_eq_u32_e32 vcc_lo, 0, v8
	v_cndmask_b32_e32 v8, v9, v72, vcc_lo
; %bb.109:
	s_or_b32 exec_lo, exec_lo, s3
	s_delay_alu instid0(VALU_DEP_1)
	v_perm_b32 v7, v8, v7, 0x7060302
	v_perm_b32 v6, v6, v5, 0x7060302
	;; [unrolled: 1-line block ×4, first 2 shown]
	s_barrier
	buffer_gl0_inv
	v_cmp_eq_u32_e32 vcc_lo, 1, v78
	ds_store_b128 v76, v[4:7]
	s_waitcnt lgkmcnt(0)
	s_barrier
	buffer_gl0_inv
	ds_load_b128 v[1:4], v82
	ds_load_b128 v[5:8], v82 offset:16
	v_cmp_eq_u32_e64 s3, 1, v79
	v_cmp_eq_u32_e64 s4, 2, v78
	;; [unrolled: 1-line block ×5, first 2 shown]
	s_waitcnt lgkmcnt(1)
	v_lshrrev_b32_e32 v9, 16, v1
	s_waitcnt lgkmcnt(0)
	v_lshrrev_b32_e32 v13, 16, v5
	v_lshrrev_b32_e32 v10, 16, v2
	;; [unrolled: 1-line block ×4, first 2 shown]
	v_cndmask_b32_e64 v19, v1, v9, s3
	v_cndmask_b32_e32 v18, v5, v13, vcc_lo
	v_cndmask_b32_e64 v20, v5, v13, s3
	v_cndmask_b32_e32 v17, v1, v9, vcc_lo
	v_cmp_eq_u32_e32 vcc_lo, 2, v79
	v_lshrrev_b32_e32 v15, 16, v7
	v_cmp_eq_u32_e64 s3, 1, v77
	v_lshrrev_b32_e32 v12, 16, v4
	v_lshrrev_b32_e32 v16, 16, v8
	v_cndmask_b32_e32 v20, v20, v6, vcc_lo
	v_cndmask_b32_e64 v17, v17, v2, s4
	v_cndmask_b32_e32 v19, v19, v2, vcc_lo
	v_cndmask_b32_e64 v18, v18, v6, s4
	v_cmp_eq_u32_e32 vcc_lo, 4, v78
	v_cmp_eq_u32_e64 s4, 3, v79
	v_cndmask_b32_e64 v17, v17, v10, s5
	v_cndmask_b32_e64 v21, v1, v9, s3
	;; [unrolled: 1-line block ×5, first 2 shown]
	v_cndmask_b32_e32 v17, v17, v3, vcc_lo
	v_cndmask_b32_e64 v20, v20, v14, s4
	v_cndmask_b32_e32 v18, v18, v7, vcc_lo
	v_cmp_eq_u32_e32 vcc_lo, 4, v79
	v_cmp_eq_u32_e64 s4, 5, v79
	v_cmp_eq_u32_e64 s3, 2, v81
	v_cndmask_b32_e64 v21, v21, v2, s7
	v_cmp_eq_u32_e64 s5, 5, v78
	v_cndmask_b32_e32 v19, v19, v3, vcc_lo
	v_cndmask_b32_e32 v20, v20, v7, vcc_lo
	v_cmp_eq_u32_e32 vcc_lo, 6, v79
	s_delay_alu instid0(VALU_DEP_4) | instskip(NEXT) | instid1(VALU_DEP_4)
	v_cndmask_b32_e64 v17, v17, v11, s5
	v_cndmask_b32_e64 v19, v19, v11, s4
	s_delay_alu instid0(VALU_DEP_4) | instskip(SKIP_1) | instid1(VALU_DEP_3)
	v_cndmask_b32_e64 v20, v20, v15, s4
	v_cmp_eq_u32_e64 s4, 1, v81
	v_cndmask_b32_e32 v19, v19, v4, vcc_lo
	v_cndmask_b32_e64 v18, v18, v15, s5
	s_delay_alu instid0(VALU_DEP_3)
	v_cndmask_b32_e64 v1, v1, v9, s4
	v_cndmask_b32_e64 v5, v5, v13, s4
	v_cmp_eq_u32_e64 s4, 3, v77
	v_cndmask_b32_e64 v13, v22, v6, s7
	v_cmp_eq_u32_e64 s7, 3, v81
	v_cndmask_b32_e64 v1, v1, v2, s3
	v_cndmask_b32_e64 v2, v5, v6, s3
	;; [unrolled: 1-line block ×3, first 2 shown]
	v_cmp_eq_u32_e64 s3, 4, v77
	v_cndmask_b32_e64 v6, v13, v14, s4
	v_cndmask_b32_e64 v1, v1, v10, s7
	v_cmp_eq_u32_e64 s4, 4, v81
	v_cndmask_b32_e64 v2, v2, v14, s7
	v_cndmask_b32_e64 v5, v9, v3, s3
	v_cmp_eq_u32_e64 s7, 5, v77
	v_cndmask_b32_e64 v6, v6, v7, s3
	v_cndmask_b32_e64 v1, v1, v3, s4
	v_cndmask_b32_e64 v2, v2, v7, s4
	v_cmp_eq_u32_e64 s3, 5, v81
	v_cndmask_b32_e64 v5, v5, v11, s7
	v_cndmask_b32_e64 v3, v6, v15, s7
	v_cmp_eq_u32_e64 s7, 6, v81
	v_cmp_eq_u32_e64 s5, 6, v78
	v_cndmask_b32_e64 v1, v1, v11, s3
	v_cndmask_b32_e64 v2, v2, v15, s3
	v_cmp_eq_u32_e64 s4, 6, v77
	v_cmp_eq_u32_e64 s3, 7, v81
	v_cndmask_b32_e64 v17, v17, v4, s5
	v_cndmask_b32_e64 v1, v1, v4, s7
	;; [unrolled: 1-line block ×4, first 2 shown]
	v_cmp_eq_u32_e64 s5, 7, v78
	v_cndmask_b32_e64 v5, v5, v4, s4
	v_cndmask_b32_e64 v3, v3, v8, s4
	v_cmp_eq_u32_e64 s4, 7, v77
	v_cndmask_b32_e32 v4, v20, v8, vcc_lo
	v_cndmask_b32_e64 v1, v1, v12, s3
	v_cndmask_b32_e64 v2, v2, v16, s3
	v_cmp_lt_u32_e32 vcc_lo, 31, v0
	v_cmp_lt_u32_e64 s3, 7, v73
	v_cndmask_b32_e64 v17, v17, v12, s5
	v_cndmask_b32_e64 v19, v19, v12, s6
	;; [unrolled: 1-line block ×6, first 2 shown]
	s_or_b32 s3, vcc_lo, s3
	v_perm_b32 v4, v2, v1, 0x5040100
	v_perm_b32 v3, v3, v5, 0x5040100
	;; [unrolled: 1-line block ×4, first 2 shown]
	s_or_b32 s2, s2, s3
	s_delay_alu instid0(SALU_CYCLE_1)
	s_xor_b32 s2, s2, -1
	ds_store_b128 v76, v[1:4]
	s_waitcnt lgkmcnt(0)
	s_barrier
	buffer_gl0_inv
	s_and_saveexec_b32 s3, s2
	s_cbranch_execz .LBB1774_2
; %bb.110:
	s_load_b64 s[0:1], s[0:1], 0x68
	v_lshlrev_b32_e32 v1, 10, v0
	v_and_b32_e32 v0, 1, v0
	v_lshlrev_b32_e32 v2, 6, v75
	s_lshl_b32 s4, s36, 6
	s_delay_alu instid0(VALU_DEP_3) | instskip(NEXT) | instid1(VALU_DEP_3)
	v_and_b32_e32 v1, 0x3800, v1
	v_lshlrev_b32_e32 v0, 4, v0
	s_mul_i32 s2, s4, s34
	s_delay_alu instid0(SALU_CYCLE_1) | instskip(NEXT) | instid1(VALU_DEP_1)
	s_mul_i32 s2, s2, s37
	v_or3_b32 v0, v1, v2, v0
	s_ashr_i32 s3, s2, 31
	s_delay_alu instid0(SALU_CYCLE_1)
	s_lshl_b64 s[2:3], s[2:3], 1
	ds_load_b128 v[0:3], v0
	s_waitcnt lgkmcnt(0)
	s_add_u32 s5, s0, s2
	s_addc_u32 s3, s1, s3
	s_lshl_b32 s0, s14, 6
	s_mul_i32 s2, s4, s15
	s_ashr_i32 s1, s0, 31
	s_delay_alu instid0(SALU_CYCLE_1) | instskip(NEXT) | instid1(SALU_CYCLE_1)
	s_lshl_b64 s[0:1], s[0:1], 1
	s_add_u32 s4, s5, s0
	s_addc_u32 s5, s3, s1
	s_ashr_i32 s3, s2, 31
	s_delay_alu instid0(SALU_CYCLE_1) | instskip(NEXT) | instid1(SALU_CYCLE_1)
	s_lshl_b64 s[0:1], s[2:3], 1
	s_add_u32 s0, s4, s0
	s_addc_u32 s1, s5, s1
	global_store_b128 v74, v[0:3], s[0:1]
	s_nop 0
	s_sendmsg sendmsg(MSG_DEALLOC_VGPRS)
	s_endpgm
	.section	.rodata,"a",@progbits
	.p2align	6, 0x0
	.amdhsa_kernel _Z39paged_attention_ll4mi_QKV_mfma16_kernelI14__hip_bfloat16hLN4vllm18Fp8KVCacheDataTypeE1ES0_Li32ELi64ELi256ELb1ELi1EL8MFMAType0EEvPKT_PKT0_S9_ifPKiSB_SB_iPKfiiiPfSE_PS4_PT2_iSD_SD_
		.amdhsa_group_segment_fixed_size 17472
		.amdhsa_private_segment_fixed_size 0
		.amdhsa_kernarg_size 400
		.amdhsa_user_sgpr_count 13
		.amdhsa_user_sgpr_dispatch_ptr 0
		.amdhsa_user_sgpr_queue_ptr 0
		.amdhsa_user_sgpr_kernarg_segment_ptr 1
		.amdhsa_user_sgpr_dispatch_id 0
		.amdhsa_user_sgpr_private_segment_size 0
		.amdhsa_wavefront_size32 1
		.amdhsa_uses_dynamic_stack 0
		.amdhsa_enable_private_segment 0
		.amdhsa_system_sgpr_workgroup_id_x 1
		.amdhsa_system_sgpr_workgroup_id_y 1
		.amdhsa_system_sgpr_workgroup_id_z 1
		.amdhsa_system_sgpr_workgroup_info 0
		.amdhsa_system_vgpr_workitem_id 0
		.amdhsa_next_free_vgpr 131
		.amdhsa_next_free_sgpr 50
		.amdhsa_reserve_vcc 1
		.amdhsa_float_round_mode_32 0
		.amdhsa_float_round_mode_16_64 0
		.amdhsa_float_denorm_mode_32 3
		.amdhsa_float_denorm_mode_16_64 3
		.amdhsa_dx10_clamp 1
		.amdhsa_ieee_mode 1
		.amdhsa_fp16_overflow 0
		.amdhsa_workgroup_processor_mode 1
		.amdhsa_memory_ordered 1
		.amdhsa_forward_progress 0
		.amdhsa_shared_vgpr_count 0
		.amdhsa_exception_fp_ieee_invalid_op 0
		.amdhsa_exception_fp_denorm_src 0
		.amdhsa_exception_fp_ieee_div_zero 0
		.amdhsa_exception_fp_ieee_overflow 0
		.amdhsa_exception_fp_ieee_underflow 0
		.amdhsa_exception_fp_ieee_inexact 0
		.amdhsa_exception_int_div_zero 0
	.end_amdhsa_kernel
	.section	.text._Z39paged_attention_ll4mi_QKV_mfma16_kernelI14__hip_bfloat16hLN4vllm18Fp8KVCacheDataTypeE1ES0_Li32ELi64ELi256ELb1ELi1EL8MFMAType0EEvPKT_PKT0_S9_ifPKiSB_SB_iPKfiiiPfSE_PS4_PT2_iSD_SD_,"axG",@progbits,_Z39paged_attention_ll4mi_QKV_mfma16_kernelI14__hip_bfloat16hLN4vllm18Fp8KVCacheDataTypeE1ES0_Li32ELi64ELi256ELb1ELi1EL8MFMAType0EEvPKT_PKT0_S9_ifPKiSB_SB_iPKfiiiPfSE_PS4_PT2_iSD_SD_,comdat
.Lfunc_end1774:
	.size	_Z39paged_attention_ll4mi_QKV_mfma16_kernelI14__hip_bfloat16hLN4vllm18Fp8KVCacheDataTypeE1ES0_Li32ELi64ELi256ELb1ELi1EL8MFMAType0EEvPKT_PKT0_S9_ifPKiSB_SB_iPKfiiiPfSE_PS4_PT2_iSD_SD_, .Lfunc_end1774-_Z39paged_attention_ll4mi_QKV_mfma16_kernelI14__hip_bfloat16hLN4vllm18Fp8KVCacheDataTypeE1ES0_Li32ELi64ELi256ELb1ELi1EL8MFMAType0EEvPKT_PKT0_S9_ifPKiSB_SB_iPKfiiiPfSE_PS4_PT2_iSD_SD_
                                        ; -- End function
	.section	.AMDGPU.csdata,"",@progbits
; Kernel info:
; codeLenInByte = 8428
; NumSgprs: 52
; NumVgprs: 131
; ScratchSize: 0
; MemoryBound: 1
; FloatMode: 240
; IeeeMode: 1
; LDSByteSize: 17472 bytes/workgroup (compile time only)
; SGPRBlocks: 6
; VGPRBlocks: 16
; NumSGPRsForWavesPerEU: 52
; NumVGPRsForWavesPerEU: 131
; Occupancy: 10
; WaveLimiterHint : 1
; COMPUTE_PGM_RSRC2:SCRATCH_EN: 0
; COMPUTE_PGM_RSRC2:USER_SGPR: 13
; COMPUTE_PGM_RSRC2:TRAP_HANDLER: 0
; COMPUTE_PGM_RSRC2:TGID_X_EN: 1
; COMPUTE_PGM_RSRC2:TGID_Y_EN: 1
; COMPUTE_PGM_RSRC2:TGID_Z_EN: 1
; COMPUTE_PGM_RSRC2:TIDIG_COMP_CNT: 0
	.section	.text._Z39paged_attention_ll4mi_QKV_mfma16_kernelI14__hip_bfloat16hLN4vllm18Fp8KVCacheDataTypeE1ES0_Li32ELi64ELi256ELb1ELi2EL8MFMAType0EEvPKT_PKT0_S9_ifPKiSB_SB_iPKfiiiPfSE_PS4_PT2_iSD_SD_,"axG",@progbits,_Z39paged_attention_ll4mi_QKV_mfma16_kernelI14__hip_bfloat16hLN4vllm18Fp8KVCacheDataTypeE1ES0_Li32ELi64ELi256ELb1ELi2EL8MFMAType0EEvPKT_PKT0_S9_ifPKiSB_SB_iPKfiiiPfSE_PS4_PT2_iSD_SD_,comdat
	.protected	_Z39paged_attention_ll4mi_QKV_mfma16_kernelI14__hip_bfloat16hLN4vllm18Fp8KVCacheDataTypeE1ES0_Li32ELi64ELi256ELb1ELi2EL8MFMAType0EEvPKT_PKT0_S9_ifPKiSB_SB_iPKfiiiPfSE_PS4_PT2_iSD_SD_ ; -- Begin function _Z39paged_attention_ll4mi_QKV_mfma16_kernelI14__hip_bfloat16hLN4vllm18Fp8KVCacheDataTypeE1ES0_Li32ELi64ELi256ELb1ELi2EL8MFMAType0EEvPKT_PKT0_S9_ifPKiSB_SB_iPKfiiiPfSE_PS4_PT2_iSD_SD_
	.globl	_Z39paged_attention_ll4mi_QKV_mfma16_kernelI14__hip_bfloat16hLN4vllm18Fp8KVCacheDataTypeE1ES0_Li32ELi64ELi256ELb1ELi2EL8MFMAType0EEvPKT_PKT0_S9_ifPKiSB_SB_iPKfiiiPfSE_PS4_PT2_iSD_SD_
	.p2align	8
	.type	_Z39paged_attention_ll4mi_QKV_mfma16_kernelI14__hip_bfloat16hLN4vllm18Fp8KVCacheDataTypeE1ES0_Li32ELi64ELi256ELb1ELi2EL8MFMAType0EEvPKT_PKT0_S9_ifPKiSB_SB_iPKfiiiPfSE_PS4_PT2_iSD_SD_,@function
_Z39paged_attention_ll4mi_QKV_mfma16_kernelI14__hip_bfloat16hLN4vllm18Fp8KVCacheDataTypeE1ES0_Li32ELi64ELi256ELb1ELi2EL8MFMAType0EEvPKT_PKT0_S9_ifPKiSB_SB_iPKfiiiPfSE_PS4_PT2_iSD_SD_: ; @_Z39paged_attention_ll4mi_QKV_mfma16_kernelI14__hip_bfloat16hLN4vllm18Fp8KVCacheDataTypeE1ES0_Li32ELi64ELi256ELb1ELi2EL8MFMAType0EEvPKT_PKT0_S9_ifPKiSB_SB_iPKfiiiPfSE_PS4_PT2_iSD_SD_
; %bb.0:
	s_load_b64 s[2:3], s[0:1], 0x30
	s_mov_b32 s30, s13
	s_waitcnt lgkmcnt(0)
	s_cmp_lg_u64 s[2:3], 0
	s_cselect_b32 s8, -1, 0
	s_ashr_i32 s31, s13, 31
	s_cmp_eq_u64 s[2:3], 0
	s_cbranch_scc1 .LBB1775_3
; %bb.1:
	s_lshl_b64 s[4:5], s[30:31], 2
	s_delay_alu instid0(SALU_CYCLE_1) | instskip(SKIP_4) | instid1(SALU_CYCLE_1)
	s_add_u32 s4, s2, s4
	s_addc_u32 s5, s3, s5
	s_load_b64 s[4:5], s[4:5], 0x0
	s_waitcnt lgkmcnt(0)
	s_sub_i32 s4, s5, s4
	s_cmp_eq_u32 s4, 1
	s_cselect_b32 s4, -1, 0
	s_delay_alu instid0(SALU_CYCLE_1)
	s_and_not1_b32 vcc_lo, exec_lo, s4
	s_cbranch_vccz .LBB1775_4
.LBB1775_2:
	s_endpgm
.LBB1775_3:
.LBB1775_4:
	s_load_b64 s[4:5], s[0:1], 0x28
	s_lshl_b64 s[6:7], s[30:31], 2
	s_waitcnt lgkmcnt(0)
	s_add_u32 s4, s4, s6
	s_addc_u32 s5, s5, s7
	s_lshl_b32 s12, s14, 8
	s_load_b32 s24, s[4:5], 0x0
	s_waitcnt lgkmcnt(0)
	s_cmp_ge_i32 s12, s24
	s_cbranch_scc1 .LBB1775_2
; %bb.5:
	s_clause 0x1
	s_load_b128 s[20:23], s[0:1], 0x8
	s_load_b64 s[4:5], s[0:1], 0x20
	s_and_not1_b32 vcc_lo, exec_lo, s8
	s_cbranch_vccnz .LBB1775_7
; %bb.6:
	s_add_u32 s2, s2, s6
	s_addc_u32 s3, s3, s7
	s_load_b32 s3, s[2:3], 0x0
	s_branch .LBB1775_8
.LBB1775_7:
	s_mov_b32 s3, s30
.LBB1775_8:
	s_load_b128 s[16:19], s[0:1], 0x48
	v_and_b32_e32 v66, 15, v0
	v_bfe_u32 v65, v0, 4, 1
	s_lshl_b32 s31, s15, 1
	v_cmp_gt_u32_e32 vcc_lo, 32, v0
	v_and_b32_e32 v68, 31, v0
	v_lshlrev_b32_e32 v1, 3, v66
	v_cmp_gt_u32_e64 s2, 8, v66
	v_and_b32_e32 v76, 1, v0
	v_or_b32_e32 v75, s31, v65
	v_lshlrev_b32_e32 v74, 6, v65
	v_lshlrev_b32_e32 v73, 1, v1
	s_and_b32 s29, vcc_lo, s2
	s_delay_alu instid0(SALU_CYCLE_1)
	s_and_saveexec_b32 s2, s29
	s_cbranch_execz .LBB1775_10
; %bb.9:
	s_load_b64 s[6:7], s[0:1], 0x0
	v_lshlrev_b32_e32 v1, 6, v75
	s_waitcnt lgkmcnt(0)
	s_mul_hi_i32 s9, s3, s16
	s_mul_i32 s8, s3, s16
	v_lshlrev_b32_e32 v5, 10, v66
	s_lshl_b64 s[8:9], s[8:9], 1
	v_ashrrev_i32_e32 v2, 31, v1
	v_lshlrev_b32_e32 v6, 10, v76
	s_delay_alu instid0(VALU_DEP_3) | instskip(NEXT) | instid1(VALU_DEP_3)
	v_and_b32_e32 v5, 0x3800, v5
	v_lshlrev_b64 v[1:2], 1, v[1:2]
	s_delay_alu instid0(VALU_DEP_2) | instskip(SKIP_2) | instid1(VALU_DEP_2)
	v_or3_b32 v5, v5, v6, v74
	s_add_u32 s3, s6, s8
	s_addc_u32 s6, s7, s9
	v_add_co_u32 v1, vcc_lo, s3, v1
	s_delay_alu instid0(VALU_DEP_3) | instskip(NEXT) | instid1(VALU_DEP_2)
	v_add_co_ci_u32_e32 v2, vcc_lo, s6, v2, vcc_lo
	v_add_co_u32 v1, vcc_lo, v1, v73
	s_delay_alu instid0(VALU_DEP_2)
	v_add_co_ci_u32_e32 v2, vcc_lo, 0, v2, vcc_lo
	global_load_b128 v[1:4], v[1:2], off
	s_waitcnt vmcnt(0)
	ds_store_b128 v5, v[1:4]
.LBB1775_10:
	s_or_b32 exec_lo, exec_lo, s2
	v_and_b32_e32 v1, 0xef, v0
	s_add_i32 s2, s24, 31
	s_waitcnt lgkmcnt(0)
	s_clause 0x1
	s_load_b32 s3, s[0:1], 0x38
	s_load_b32 s19, s[0:1], 0x1c
	s_ashr_i32 s6, s2, 31
	v_add_nc_u32_e32 v1, s12, v1
	s_lshr_b32 s6, s6, 27
	s_waitcnt lgkmcnt(0)
	s_add_i32 s2, s2, s6
	s_barrier
	v_ashrrev_i32_e32 v2, 31, v1
	v_or_b32_e32 v3, 16, v1
	s_ashr_i32 s2, s2, 5
	v_cmp_gt_i32_e32 vcc_lo, s24, v1
	s_add_i32 s2, s2, -1
	v_lshrrev_b32_e32 v2, 27, v2
	buffer_gl0_inv
	s_mul_i32 s27, s15, s18
	v_lshrrev_b32_e32 v67, 5, v0
	v_add_nc_u32_e32 v4, v1, v2
	s_mul_i32 s6, s30, s3
	s_delay_alu instid0(SALU_CYCLE_1) | instskip(NEXT) | instid1(VALU_DEP_1)
	s_ashr_i32 s7, s6, 31
	v_ashrrev_i32_e32 v4, 5, v4
	v_add_nc_u32_e32 v2, v3, v2
	s_lshl_b64 s[6:7], s[6:7], 2
	s_delay_alu instid0(SALU_CYCLE_1) | instskip(NEXT) | instid1(VALU_DEP_2)
	s_add_u32 s26, s4, s6
	v_cndmask_b32_e32 v1, s2, v4, vcc_lo
	s_delay_alu instid0(VALU_DEP_2)
	v_ashrrev_i32_e32 v2, 5, v2
	v_cmp_gt_i32_e32 vcc_lo, s24, v3
	s_addc_u32 s25, s5, s7
	s_ashr_i32 s28, s27, 31
	s_add_u32 s4, s20, s27
	s_addc_u32 s5, s21, s28
	v_cndmask_b32_e32 v3, s2, v2, vcc_lo
	v_ashrrev_i32_e32 v2, 31, v1
	s_lshl_b32 s6, s14, 3
	s_delay_alu instid0(SALU_CYCLE_1) | instskip(NEXT) | instid1(VALU_DEP_2)
	s_ashr_i32 s7, s6, 31
	v_ashrrev_i32_e32 v4, 31, v3
	s_delay_alu instid0(VALU_DEP_2) | instskip(SKIP_1) | instid1(SALU_CYCLE_1)
	v_lshlrev_b64 v[1:2], 2, v[1:2]
	s_lshl_b64 s[6:7], s[6:7], 2
	s_add_u32 s6, s26, s6
	s_delay_alu instid0(VALU_DEP_2) | instskip(SKIP_1) | instid1(VALU_DEP_2)
	v_lshlrev_b64 v[3:4], 2, v[3:4]
	s_addc_u32 s7, s25, s7
	v_add_co_u32 v1, vcc_lo, s26, v1
	v_add_co_ci_u32_e32 v2, vcc_lo, s25, v2, vcc_lo
	s_delay_alu instid0(VALU_DEP_3) | instskip(NEXT) | instid1(VALU_DEP_4)
	v_add_co_u32 v3, vcc_lo, s26, v3
	v_add_co_ci_u32_e32 v4, vcc_lo, s25, v4, vcc_lo
	s_clause 0x1
	global_load_b32 v5, v[1:2], off
	global_load_b32 v6, v[3:4], off
	s_or_b32 s3, s12, 32
	s_delay_alu instid0(SALU_CYCLE_1) | instskip(SKIP_2) | instid1(SALU_CYCLE_1)
	s_ashr_i32 s8, s3, 5
	s_cmp_lt_i32 s3, s24
	s_cselect_b32 s8, s8, s2
	s_ashr_i32 s9, s8, 31
	s_delay_alu instid0(SALU_CYCLE_1) | instskip(NEXT) | instid1(SALU_CYCLE_1)
	s_lshl_b64 s[8:9], s[8:9], 2
	s_add_u32 s8, s26, s8
	s_addc_u32 s9, s25, s9
	s_or_b32 s3, s12, 64
	s_delay_alu instid0(SALU_CYCLE_1) | instskip(SKIP_2) | instid1(SALU_CYCLE_1)
	s_ashr_i32 s10, s3, 5
	s_cmp_lt_i32 s3, s24
	s_cselect_b32 s10, s10, s2
	s_ashr_i32 s11, s10, 31
	s_delay_alu instid0(SALU_CYCLE_1) | instskip(NEXT) | instid1(SALU_CYCLE_1)
	s_lshl_b64 s[10:11], s[10:11], 2
	s_add_u32 s10, s26, s10
	s_addc_u32 s11, s25, s11
	;; [unrolled: 10-line block ×5, first 2 shown]
	s_clause 0x5
	s_load_b32 s20, s[6:7], 0x0
	s_load_b32 s3, s[8:9], 0x0
	;; [unrolled: 1-line block ×6, first 2 shown]
	s_or_b32 s6, s12, 0xc0
	s_delay_alu instid0(SALU_CYCLE_1) | instskip(SKIP_2) | instid1(SALU_CYCLE_1)
	s_ashr_i32 s7, s6, 5
	s_cmp_lt_i32 s6, s24
	s_cselect_b32 s10, s7, s2
	s_ashr_i32 s11, s10, 31
	s_delay_alu instid0(SALU_CYCLE_1) | instskip(NEXT) | instid1(SALU_CYCLE_1)
	s_lshl_b64 s[10:11], s[10:11], 2
	s_add_u32 s34, s26, s10
	s_addc_u32 s35, s25, s11
	s_or_b32 s11, s12, 0xe0
	s_delay_alu instid0(SALU_CYCLE_1) | instskip(SKIP_2) | instid1(SALU_CYCLE_1)
	s_ashr_i32 s21, s11, 5
	s_cmp_lt_i32 s11, s24
	s_cselect_b32 s36, s21, s2
	s_ashr_i32 s37, s36, 31
	s_waitcnt vmcnt(1)
	v_mad_i64_i32 v[1:2], null, v5, s17, s[4:5]
	s_waitcnt vmcnt(0)
	v_mad_i64_i32 v[3:4], null, v6, s17, s[4:5]
	s_mov_b32 s4, 0
	s_delay_alu instid0(SALU_CYCLE_1)
	s_mov_b32 s5, s4
	s_mov_b32 s6, s4
	;; [unrolled: 1-line block ×7, first 2 shown]
	s_delay_alu instid0(SALU_CYCLE_1) | instskip(SKIP_2) | instid1(VALU_DEP_3)
	v_dual_mov_b32 v108, s11 :: v_dual_lshlrev_b32 v5, 4, v66
	v_dual_mov_b32 v104, s7 :: v_dual_lshlrev_b32 v71, 6, v76
	v_mov_b32_e32 v102, s5
	v_add_co_u32 v1, vcc_lo, v1, v5
	v_add_co_ci_u32_e32 v2, vcc_lo, 0, v2, vcc_lo
	v_add_co_u32 v3, vcc_lo, v3, v5
	v_add_co_ci_u32_e32 v4, vcc_lo, 0, v4, vcc_lo
	s_clause 0x7
	global_load_b128 v[49:52], v[1:2], off
	global_load_b128 v[53:56], v[1:2], off offset:512
	global_load_b128 v[77:80], v[3:4], off offset:256
	;; [unrolled: 1-line block ×7, first 2 shown]
	v_lshlrev_b32_e32 v1, 5, v66
	v_dual_mov_b32 v107, s10 :: v_dual_mov_b32 v106, s9
	v_mov_b32_e32 v105, s8
	v_mov_b32_e32 v103, s6
	;; [unrolled: 1-line block ×3, first 2 shown]
	s_lshl_b64 s[4:5], s[36:37], 2
	v_lshl_or_b32 v1, v67, 9, v1
	s_add_u32 s4, s26, s4
	s_addc_u32 s5, s25, s5
	s_load_b32 s2, s[34:35], 0x0
	ds_load_b128 v[109:112], v71
	ds_load_b128 v[113:116], v71 offset:1024
	s_load_b32 s4, s[4:5], 0x0
	s_add_u32 s6, s22, s27
	s_addc_u32 s7, s23, s28
	v_add_co_u32 v9, s6, s6, v1
	s_delay_alu instid0(VALU_DEP_1) | instskip(SKIP_1) | instid1(VALU_DEP_1)
	v_add_co_ci_u32_e64 v10, null, s7, 0, s6
	s_waitcnt lgkmcnt(0)
	v_mad_i64_i32 v[1:2], null, s20, s17, v[9:10]
	v_mad_i64_i32 v[3:4], null, s3, s17, v[9:10]
	;; [unrolled: 1-line block ×7, first 2 shown]
	s_clause 0x9
	global_load_b128 v[57:60], v[1:2], off
	global_load_b128 v[61:64], v[1:2], off offset:16
	global_load_b128 v[41:44], v[3:4], off
	global_load_b128 v[45:48], v[3:4], off offset:16
	;; [unrolled: 2-line block ×5, first 2 shown]
	v_mad_i64_i32 v[69:70], null, s4, s17, v[9:10]
	s_clause 0x3
	global_load_b128 v[9:12], v[13:14], off
	global_load_b128 v[13:16], v[13:14], off offset:16
	global_load_b128 v[17:20], v[21:22], off
	global_load_b128 v[21:24], v[21:22], off offset:16
	s_waitcnt vmcnt(20)
	v_wmma_f32_16x16x16_bf16 v[117:124], v[49:56], v[109:116], v[101:108]
	s_clause 0x1
	global_load_b128 v[49:52], v[69:70], off
	global_load_b128 v[53:56], v[69:70], off offset:16
	s_waitcnt vmcnt(20)
	v_wmma_f32_16x16x16_bf16 v[101:108], v[77:84], v[109:116], v[101:108]
	ds_load_b128 v[77:80], v71 offset:2048
	ds_load_b128 v[81:84], v71 offset:3072
	v_mbcnt_lo_u32_b32 v70, -1, 0
	s_waitcnt vmcnt(0) lgkmcnt(0)
	s_barrier
	buffer_gl0_inv
	v_xor_b32_e32 v71, 16, v70
	s_delay_alu instid0(VALU_DEP_1) | instskip(SKIP_4) | instid1(VALU_DEP_2)
	v_cmp_gt_i32_e32 vcc_lo, 32, v71
	v_cndmask_b32_e32 v70, v70, v71, vcc_lo
	v_wmma_f32_16x16x16_bf16 v[117:124], v[85:92], v[77:84], v[117:124]
	v_and_b32_e32 v69, 0xe0, v0
	v_wmma_f32_16x16x16_bf16 v[101:108], v[93:100], v[77:84], v[101:108]
	v_dual_mul_f32 v94, s19, v118 :: v_dual_add_nc_u32 v69, s12, v69
	s_delay_alu instid0(VALU_DEP_2) | instskip(SKIP_1) | instid1(VALU_DEP_3)
	v_dual_mul_f32 v96, s19, v108 :: v_dual_mul_f32 v95, s19, v117
	v_dual_mul_f32 v84, s19, v120 :: v_dual_mul_f32 v93, s19, v119
	v_or_b32_e32 v69, v69, v65
	v_dual_mul_f32 v82, s19, v122 :: v_dual_mul_f32 v83, s19, v121
	v_mul_f32_e32 v100, s19, v104
	v_mul_f32_e32 v80, s19, v124
	s_delay_alu instid0(VALU_DEP_4)
	v_or_b32_e32 v71, 2, v69
	v_or_b32_e32 v72, 4, v69
	;; [unrolled: 1-line block ×3, first 2 shown]
	v_cmp_gt_i32_e64 s2, s24, v69
	v_or_b32_e32 v110, 8, v69
	v_cmp_gt_i32_e32 vcc_lo, s24, v71
	v_or_b32_e32 v85, 10, v69
	v_cmp_gt_i32_e64 s3, s24, v72
	v_cndmask_b32_e64 v95, 0xff7fffff, v95, s2
	v_cmp_gt_i32_e64 s4, s24, v109
	v_cndmask_b32_e32 v94, 0xff7fffff, v94, vcc_lo
	v_or_b32_e32 v86, 12, v69
	v_or_b32_e32 v87, 14, v69
	v_mul_f32_e32 v72, s19, v101
	v_cndmask_b32_e64 v93, 0xff7fffff, v93, s3
	v_cndmask_b32_e64 v84, 0xff7fffff, v84, s4
	v_max3_f32 v94, v95, 0xff7fffff, v94
	v_cmp_gt_i32_e64 s5, s24, v110
	v_cmp_gt_i32_e64 s6, s24, v85
	v_or_b32_e32 v88, 16, v69
	v_or_b32_e32 v89, 18, v69
	v_dual_mul_f32 v81, s19, v123 :: v_dual_mul_f32 v98, s19, v106
	v_cndmask_b32_e64 v83, 0xff7fffff, v83, s5
	v_cndmask_b32_e64 v82, 0xff7fffff, v82, s6
	v_max3_f32 v84, v94, v93, v84
	v_cmp_gt_i32_e64 s7, s24, v86
	v_cmp_gt_i32_e64 s8, s24, v87
	v_or_b32_e32 v90, 20, v69
	v_or_b32_e32 v91, 22, v69
	;; [unrolled: 1-line block ×6, first 2 shown]
	v_mul_f32_e32 v69, s19, v102
	v_cndmask_b32_e64 v81, 0xff7fffff, v81, s7
	v_cndmask_b32_e64 v80, 0xff7fffff, v80, s8
	v_max3_f32 v82, v84, v83, v82
	v_cmp_gt_i32_e64 s9, s24, v88
	v_cmp_gt_i32_e64 s10, s24, v89
	v_mul_f32_e32 v71, s19, v103
	v_cmp_gt_i32_e64 s11, s24, v90
	v_max3_f32 v80, v82, v81, v80
	v_cndmask_b32_e64 v72, 0xff7fffff, v72, s9
	v_cndmask_b32_e64 v69, 0xff7fffff, v69, s10
	v_cmp_gt_i32_e64 s12, s24, v91
	v_mul_f32_e32 v99, s19, v105
	v_cndmask_b32_e64 v71, 0xff7fffff, v71, s11
	v_cmp_gt_i32_e64 s13, s24, v92
	v_max3_f32 v69, v80, v72, v69
	v_cndmask_b32_e64 v81, 0xff7fffff, v100, s12
	v_cmp_gt_i32_e64 s15, s24, v77
	v_mul_f32_e32 v97, s19, v107
	v_cndmask_b32_e64 v72, 0xff7fffff, v99, s13
	v_cmp_gt_i32_e64 s16, s24, v78
	v_max3_f32 v69, v69, v71, v81
	v_cndmask_b32_e64 v77, 0xff7fffff, v98, s15
	v_cmp_gt_i32_e64 s17, s24, v79
	v_lshlrev_b32_e32 v91, 2, v70
	v_cndmask_b32_e64 v71, 0xff7fffff, v97, s16
	s_delay_alu instid0(VALU_DEP_4) | instskip(NEXT) | instid1(VALU_DEP_4)
	v_max3_f32 v69, v69, v72, v77
	v_cndmask_b32_e64 v78, 0xff7fffff, v96, s17
	s_delay_alu instid0(VALU_DEP_1) | instskip(SKIP_3) | instid1(VALU_DEP_1)
	v_max3_f32 v69, v69, v71, v78
	ds_bpermute_b32 v70, v91, v69
	s_waitcnt lgkmcnt(0)
	v_max_f32_e32 v70, v70, v70
	v_max_f32_e32 v69, v69, v70
	s_delay_alu instid0(VALU_DEP_1)
	v_fma_f32 v70, s19, v117, -v69
	v_fma_f32 v71, s19, v118, -v69
	;; [unrolled: 1-line block ×5, first 2 shown]
	v_mul_f32_e32 v70, 0x3fb8aa3b, v70
	s_delay_alu instid0(VALU_DEP_3) | instskip(NEXT) | instid1(VALU_DEP_3)
	v_dual_mul_f32 v72, 0x3fb8aa3b, v72 :: v_dual_mul_f32 v77, 0x3fb8aa3b, v77
	v_mul_f32_e32 v78, 0x3fb8aa3b, v78
	s_delay_alu instid0(VALU_DEP_3) | instskip(NEXT) | instid1(VALU_DEP_2)
	v_exp_f32_e32 v70, v70
	v_exp_f32_e32 v72, v72
	s_delay_alu instid0(VALU_DEP_2) | instskip(NEXT) | instid1(VALU_DEP_1)
	v_exp_f32_e32 v79, v77
	v_exp_f32_e32 v78, v78
	v_cndmask_b32_e64 v81, 0, v70, s2
	v_fma_f32 v70, s19, v122, -v69
	v_mul_f32_e32 v71, 0x3fb8aa3b, v71
	s_delay_alu instid0(TRANS32_DEP_3)
	v_cndmask_b32_e64 v85, 0, v72, s3
	s_waitcnt_depctr 0xfff
	v_cndmask_b32_e64 v87, 0, v79, s4
	v_cndmask_b32_e64 v88, 0, v78, s5
	v_mul_f32_e32 v70, 0x3fb8aa3b, v70
	v_exp_f32_e32 v71, v71
	s_mov_b32 s2, exec_lo
	s_delay_alu instid0(VALU_DEP_1) | instskip(SKIP_4) | instid1(VALU_DEP_2)
	v_exp_f32_e32 v70, v70
	s_waitcnt_depctr 0xfff
	v_cndmask_b32_e32 v77, 0, v71, vcc_lo
	v_add_f32_e32 v71, 0, v81
	v_cndmask_b32_e64 v89, 0, v70, s6
	v_add_f32_e32 v71, v71, v77
	s_delay_alu instid0(VALU_DEP_1) | instskip(NEXT) | instid1(VALU_DEP_1)
	v_add_f32_e32 v71, v71, v85
	v_add_f32_e32 v71, v71, v87
	s_delay_alu instid0(VALU_DEP_1) | instskip(NEXT) | instid1(VALU_DEP_1)
	v_add_f32_e32 v70, v71, v88
	v_add_f32_e32 v70, v70, v89
	v_fma_f32 v72, s19, v124, -v69
	v_fma_f32 v71, s19, v103, -v69
	;; [unrolled: 1-line block ×5, first 2 shown]
	s_delay_alu instid0(VALU_DEP_4) | instskip(NEXT) | instid1(VALU_DEP_4)
	v_dual_mul_f32 v72, 0x3fb8aa3b, v72 :: v_dual_mul_f32 v71, 0x3fb8aa3b, v71
	v_mul_f32_e32 v80, 0x3fb8aa3b, v80
	v_fma_f32 v83, s19, v106, -v69
	s_delay_alu instid0(VALU_DEP_4) | instskip(NEXT) | instid1(VALU_DEP_4)
	v_mul_f32_e32 v78, 0x3fb8aa3b, v78
	v_exp_f32_e32 v72, v72
	v_exp_f32_e32 v82, v71
	;; [unrolled: 1-line block ×3, first 2 shown]
	s_delay_alu instid0(VALU_DEP_1)
	v_exp_f32_e32 v78, v78
	v_cndmask_b32_e64 v90, 0, v72, s8
	v_fma_f32 v72, s19, v105, -v69
	s_waitcnt_depctr 0xfff
	v_cndmask_b32_e64 v86, 0, v80, s7
	v_fma_f32 v80, s19, v104, -v69
	v_mul_f32_e32 v72, 0x3fb8aa3b, v72
	s_delay_alu instid0(VALU_DEP_3) | instskip(NEXT) | instid1(VALU_DEP_3)
	v_add_f32_e32 v70, v70, v86
	v_mul_f32_e32 v80, 0x3fb8aa3b, v80
	s_delay_alu instid0(VALU_DEP_3) | instskip(SKIP_2) | instid1(VALU_DEP_3)
	v_exp_f32_e32 v84, v72
	v_cndmask_b32_e64 v72, 0, v82, s11
	v_mul_f32_e32 v79, 0x3fb8aa3b, v79
	v_exp_f32_e32 v80, v80
	s_delay_alu instid0(VALU_DEP_1) | instskip(SKIP_4) | instid1(VALU_DEP_2)
	v_exp_f32_e32 v79, v79
	s_waitcnt_depctr 0xfff
	v_cndmask_b32_e64 v71, 0, v79, s9
	v_add_f32_e32 v79, v70, v90
	v_cndmask_b32_e64 v70, 0, v78, s10
	v_add_f32_e32 v78, v79, v71
	v_fma_f32 v79, s19, v107, -v69
	s_delay_alu instid0(VALU_DEP_2) | instskip(SKIP_1) | instid1(VALU_DEP_2)
	v_add_f32_e32 v82, v78, v70
	v_cndmask_b32_e64 v78, 0, v80, s12
	v_dual_mul_f32 v79, 0x3fb8aa3b, v79 :: v_dual_add_f32 v80, v82, v72
	v_fma_f32 v82, s19, v108, -v69
	v_mul_f32_e32 v83, 0x3fb8aa3b, v83
	s_delay_alu instid0(VALU_DEP_3)
	v_exp_f32_e32 v92, v79
	v_cndmask_b32_e64 v79, 0, v84, s13
	v_add_f32_e32 v84, v80, v78
	v_mul_f32_e32 v82, 0x3fb8aa3b, v82
	v_exp_f32_e32 v83, v83
	s_waitcnt_depctr 0xfff
	v_cndmask_b32_e64 v80, 0, v83, s15
	v_add_f32_e32 v83, v84, v79
	v_exp_f32_e32 v84, v82
	v_cndmask_b32_e64 v82, 0, v92, s16
	s_delay_alu instid0(VALU_DEP_2) | instskip(NEXT) | instid1(VALU_DEP_1)
	v_add_f32_e32 v83, v83, v80
	v_add_f32_e32 v92, v83, v82
	s_waitcnt_depctr 0xfff
	v_cndmask_b32_e64 v83, 0, v84, s17
	s_delay_alu instid0(VALU_DEP_1)
	v_add_f32_e32 v84, v92, v83
	ds_bpermute_b32 v91, v91, v84
	v_cmpx_gt_u32_e32 16, v68
	s_cbranch_execz .LBB1775_12
; %bb.11:
	v_mul_u32_u24_e32 v68, 0x44, v67
	s_waitcnt lgkmcnt(0)
	v_add_f32_e32 v84, v84, v91
	s_delay_alu instid0(VALU_DEP_2) | instskip(NEXT) | instid1(VALU_DEP_1)
	v_lshl_add_u32 v68, v66, 2, v68
	v_add_nc_u32_e32 v68, 0x4000, v68
	ds_store_2addr_b32 v68, v69, v84 offset1:136
.LBB1775_12:
	s_or_b32 exec_lo, exec_lo, s2
	v_lshlrev_b32_e32 v68, 2, v66
	s_waitcnt lgkmcnt(0)
	s_barrier
	buffer_gl0_inv
	v_cmp_eq_u32_e32 vcc_lo, 1, v67
	v_add_nc_u32_e32 v84, 0x4000, v68
	v_cmp_eq_u32_e64 s2, 2, v67
	v_cmp_eq_u32_e64 s4, 7, v67
	ds_load_2addr_b32 v[91:92], v84 offset1:17
	ds_load_2addr_b32 v[93:94], v84 offset0:34 offset1:51
	ds_load_2addr_b32 v[95:96], v84 offset0:68 offset1:85
	;; [unrolled: 1-line block ×4, first 2 shown]
	s_waitcnt lgkmcnt(4)
	v_max3_f32 v68, v91, 0xff7fffff, v92
	s_waitcnt lgkmcnt(3)
	s_delay_alu instid0(VALU_DEP_1) | instskip(SKIP_1) | instid1(VALU_DEP_1)
	v_max3_f32 v68, v68, v93, v94
	s_waitcnt lgkmcnt(2)
	v_max3_f32 v68, v68, v95, v96
	s_waitcnt lgkmcnt(1)
	s_delay_alu instid0(VALU_DEP_1) | instskip(NEXT) | instid1(VALU_DEP_1)
	v_max3_f32 v68, v68, v97, v98
	v_sub_f32_e32 v69, v91, v68
	v_sub_f32_e32 v93, v93, v68
	;; [unrolled: 1-line block ×3, first 2 shown]
	s_delay_alu instid0(VALU_DEP_3) | instskip(NEXT) | instid1(VALU_DEP_3)
	v_mul_f32_e32 v69, 0x3fb8aa3b, v69
	v_mul_f32_e32 v103, 0x3fb8aa3b, v93
	s_delay_alu instid0(VALU_DEP_3) | instskip(NEXT) | instid1(VALU_DEP_3)
	v_mul_f32_e32 v105, 0x3fb8aa3b, v95
	v_exp_f32_e32 v102, v69
	v_sub_f32_e32 v69, v94, v68
	v_sub_f32_e32 v101, v92, v68
	ds_load_2addr_b32 v[91:92], v84 offset0:170 offset1:187
	v_exp_f32_e32 v103, v103
	v_mul_f32_e32 v104, 0x3fb8aa3b, v69
	v_mul_f32_e32 v101, 0x3fb8aa3b, v101
	s_waitcnt lgkmcnt(1)
	v_fma_f32 v69, v102, v99, 0
	v_sub_f32_e32 v99, v96, v68
	s_delay_alu instid0(VALU_DEP_3) | instskip(SKIP_4) | instid1(VALU_DEP_1)
	v_exp_f32_e32 v101, v101
	v_exp_f32_e32 v104, v104
	s_waitcnt_depctr 0xfff
	v_fmac_f32_e32 v69, v101, v100
	s_waitcnt lgkmcnt(0)
	v_fmac_f32_e32 v69, v103, v91
	ds_load_2addr_b32 v[93:94], v84 offset0:204 offset1:221
	ds_load_2addr_b32 v[95:96], v84 offset0:238 offset1:255
	v_dual_sub_f32 v84, v97, v68 :: v_dual_mul_f32 v97, 0x3fb8aa3b, v99
	v_exp_f32_e32 v99, v105
	v_sub_f32_e32 v91, v98, v68
	v_fmac_f32_e32 v69, v104, v92
	s_delay_alu instid0(VALU_DEP_3)
	v_mul_f32_e32 v84, 0x3fb8aa3b, v84
	v_exp_f32_e32 v97, v97
	s_waitcnt lgkmcnt(0)
	v_mul_f32_e32 v91, 0x3fb8aa3b, v91
	s_barrier
	v_exp_f32_e32 v84, v84
	buffer_gl0_inv
	v_exp_f32_e32 v91, v91
	v_fmac_f32_e32 v69, v99, v93
	s_delay_alu instid0(VALU_DEP_1) | instskip(NEXT) | instid1(VALU_DEP_1)
	v_fmac_f32_e32 v69, v97, v94
	v_fmac_f32_e32 v69, v84, v95
	s_waitcnt_depctr 0xfff
	v_fmac_f32_e32 v69, v91, v96
	s_delay_alu instid0(VALU_DEP_1) | instskip(NEXT) | instid1(VALU_DEP_1)
	v_add_f32_e32 v92, 0x358637bd, v69
	v_div_scale_f32 v93, null, v92, v92, 1.0
	v_div_scale_f32 v96, s3, 1.0, v92, 1.0
	s_delay_alu instid0(VALU_DEP_2) | instskip(SKIP_2) | instid1(VALU_DEP_1)
	v_rcp_f32_e32 v94, v93
	s_waitcnt_depctr 0xfff
	v_fma_f32 v95, -v93, v94, 1.0
	v_dual_fmac_f32 v94, v95, v94 :: v_dual_cndmask_b32 v95, v102, v101
	v_cmp_eq_u32_e32 vcc_lo, 3, v67
	s_delay_alu instid0(VALU_DEP_2) | instskip(NEXT) | instid1(VALU_DEP_3)
	v_mul_f32_e32 v98, v96, v94
	v_cndmask_b32_e64 v95, v95, v103, s2
	v_cmp_eq_u32_e64 s2, 4, v67
	s_delay_alu instid0(VALU_DEP_3) | instskip(NEXT) | instid1(VALU_DEP_3)
	v_fma_f32 v100, -v93, v98, v96
	v_cndmask_b32_e32 v95, v95, v104, vcc_lo
	v_cmp_eq_u32_e32 vcc_lo, 5, v67
	s_delay_alu instid0(VALU_DEP_3) | instskip(NEXT) | instid1(VALU_DEP_3)
	v_fmac_f32_e32 v98, v100, v94
	v_cndmask_b32_e64 v95, v95, v99, s2
	v_cmp_eq_u32_e64 s2, 6, v67
	s_delay_alu instid0(VALU_DEP_3) | instskip(NEXT) | instid1(VALU_DEP_3)
	v_fma_f32 v93, -v93, v98, v96
	v_cndmask_b32_e32 v95, v95, v97, vcc_lo
	s_mov_b32 vcc_lo, s3
	s_delay_alu instid0(VALU_DEP_2) | instskip(NEXT) | instid1(VALU_DEP_2)
	v_div_fmas_f32 v93, v93, v94, v98
	v_cndmask_b32_e64 v84, v95, v84, s2
	s_mov_b32 s2, exec_lo
	s_delay_alu instid0(VALU_DEP_2) | instskip(NEXT) | instid1(VALU_DEP_2)
	v_div_fixup_f32 v92, v93, v92, 1.0
	v_cndmask_b32_e64 v84, v84, v91, s4
	s_delay_alu instid0(VALU_DEP_1) | instskip(NEXT) | instid1(VALU_DEP_1)
	v_mul_f32_e32 v84, v84, v92
	v_mul_f32_e32 v92, v84, v81
	;; [unrolled: 1-line block ×6, first 2 shown]
	v_and_b32_e32 v93, 0x7f800000, v92
	v_mul_f32_e32 v91, v84, v87
	v_mul_f32_e32 v88, v84, v85
	;; [unrolled: 1-line block ×3, first 2 shown]
                                        ; implicit-def: $vgpr77
	s_delay_alu instid0(VALU_DEP_4)
	v_cmpx_ne_u32_e32 0x7f800000, v93
	s_xor_b32 s2, exec_lo, s2
; %bb.13:
	v_bfe_u32 v77, v92, 16, 1
	s_delay_alu instid0(VALU_DEP_1)
	v_add3_u32 v77, v92, v77, 0x7fff
                                        ; implicit-def: $vgpr92
; %bb.14:
	s_and_not1_saveexec_b32 s2, s2
; %bb.15:
	v_and_b32_e32 v77, 0xffff, v92
	v_or_b32_e32 v85, 0x10000, v92
	s_delay_alu instid0(VALU_DEP_2) | instskip(NEXT) | instid1(VALU_DEP_2)
	v_cmp_eq_u32_e32 vcc_lo, 0, v77
	v_cndmask_b32_e32 v77, v85, v92, vcc_lo
; %bb.16:
	s_or_b32 exec_lo, exec_lo, s2
	v_and_b32_e32 v85, 0x7f800000, v87
	s_delay_alu instid0(VALU_DEP_1) | instskip(SKIP_1) | instid1(SALU_CYCLE_1)
	v_cmp_ne_u32_e32 vcc_lo, 0x7f800000, v85
                                        ; implicit-def: $vgpr85
	s_and_saveexec_b32 s2, vcc_lo
	s_xor_b32 s2, exec_lo, s2
; %bb.17:
	v_bfe_u32 v85, v87, 16, 1
	s_delay_alu instid0(VALU_DEP_1)
	v_add3_u32 v85, v87, v85, 0x7fff
                                        ; implicit-def: $vgpr87
; %bb.18:
	s_and_not1_saveexec_b32 s2, s2
; %bb.19:
	v_and_b32_e32 v85, 0xffff, v87
	v_or_b32_e32 v92, 0x10000, v87
	s_delay_alu instid0(VALU_DEP_2) | instskip(NEXT) | instid1(VALU_DEP_2)
	v_cmp_eq_u32_e32 vcc_lo, 0, v85
	v_cndmask_b32_e32 v85, v92, v87, vcc_lo
; %bb.20:
	s_or_b32 exec_lo, exec_lo, s2
	v_and_b32_e32 v87, 0x7f800000, v88
	s_delay_alu instid0(VALU_DEP_1) | instskip(SKIP_1) | instid1(SALU_CYCLE_1)
	v_cmp_ne_u32_e32 vcc_lo, 0x7f800000, v87
                                        ; implicit-def: $vgpr87
	s_and_saveexec_b32 s2, vcc_lo
	s_xor_b32 s2, exec_lo, s2
; %bb.21:
	v_bfe_u32 v87, v88, 16, 1
	s_delay_alu instid0(VALU_DEP_1)
	v_add3_u32 v87, v88, v87, 0x7fff
                                        ; implicit-def: $vgpr88
; %bb.22:
	s_and_not1_saveexec_b32 s2, s2
; %bb.23:
	v_and_b32_e32 v87, 0xffff, v88
	v_or_b32_e32 v92, 0x10000, v88
	s_delay_alu instid0(VALU_DEP_2) | instskip(NEXT) | instid1(VALU_DEP_2)
	v_cmp_eq_u32_e32 vcc_lo, 0, v87
	v_cndmask_b32_e32 v87, v92, v88, vcc_lo
; %bb.24:
	s_or_b32 exec_lo, exec_lo, s2
	v_and_b32_e32 v88, 0x7f800000, v91
	s_delay_alu instid0(VALU_DEP_1) | instskip(SKIP_1) | instid1(SALU_CYCLE_1)
	v_cmp_ne_u32_e32 vcc_lo, 0x7f800000, v88
                                        ; implicit-def: $vgpr88
	s_and_saveexec_b32 s2, vcc_lo
	s_xor_b32 s2, exec_lo, s2
; %bb.25:
	v_bfe_u32 v88, v91, 16, 1
	s_delay_alu instid0(VALU_DEP_1)
	v_add3_u32 v88, v91, v88, 0x7fff
                                        ; implicit-def: $vgpr91
; %bb.26:
	s_and_not1_saveexec_b32 s2, s2
; %bb.27:
	v_and_b32_e32 v88, 0xffff, v91
	v_or_b32_e32 v92, 0x10000, v91
	s_delay_alu instid0(VALU_DEP_2) | instskip(NEXT) | instid1(VALU_DEP_2)
	v_cmp_eq_u32_e32 vcc_lo, 0, v88
	v_cndmask_b32_e32 v88, v92, v91, vcc_lo
; %bb.28:
	s_or_b32 exec_lo, exec_lo, s2
	v_and_b32_e32 v91, 0x7f800000, v90
	s_delay_alu instid0(VALU_DEP_1) | instskip(SKIP_1) | instid1(SALU_CYCLE_1)
	v_cmp_ne_u32_e32 vcc_lo, 0x7f800000, v91
                                        ; implicit-def: $vgpr91
	s_and_saveexec_b32 s2, vcc_lo
	s_xor_b32 s2, exec_lo, s2
; %bb.29:
	v_bfe_u32 v91, v90, 16, 1
	s_delay_alu instid0(VALU_DEP_1)
	v_add3_u32 v91, v90, v91, 0x7fff
                                        ; implicit-def: $vgpr90
; %bb.30:
	s_and_not1_saveexec_b32 s2, s2
; %bb.31:
	v_and_b32_e32 v91, 0xffff, v90
	v_or_b32_e32 v92, 0x10000, v90
	s_delay_alu instid0(VALU_DEP_2) | instskip(NEXT) | instid1(VALU_DEP_2)
	v_cmp_eq_u32_e32 vcc_lo, 0, v91
	v_cndmask_b32_e32 v91, v92, v90, vcc_lo
; %bb.32:
	s_or_b32 exec_lo, exec_lo, s2
	v_and_b32_e32 v90, 0x7f800000, v89
	s_delay_alu instid0(VALU_DEP_1) | instskip(SKIP_1) | instid1(SALU_CYCLE_1)
	v_cmp_ne_u32_e32 vcc_lo, 0x7f800000, v90
                                        ; implicit-def: $vgpr90
	s_and_saveexec_b32 s2, vcc_lo
	s_xor_b32 s2, exec_lo, s2
; %bb.33:
	v_bfe_u32 v90, v89, 16, 1
	s_delay_alu instid0(VALU_DEP_1)
	v_add3_u32 v90, v89, v90, 0x7fff
                                        ; implicit-def: $vgpr89
; %bb.34:
	s_and_not1_saveexec_b32 s2, s2
; %bb.35:
	v_and_b32_e32 v90, 0xffff, v89
	v_or_b32_e32 v92, 0x10000, v89
	s_delay_alu instid0(VALU_DEP_2) | instskip(NEXT) | instid1(VALU_DEP_2)
	v_cmp_eq_u32_e32 vcc_lo, 0, v90
	v_cndmask_b32_e32 v90, v92, v89, vcc_lo
; %bb.36:
	s_or_b32 exec_lo, exec_lo, s2
	v_and_b32_e32 v89, 0x7f800000, v86
	s_delay_alu instid0(VALU_DEP_1) | instskip(SKIP_1) | instid1(SALU_CYCLE_1)
	v_cmp_ne_u32_e32 vcc_lo, 0x7f800000, v89
                                        ; implicit-def: $vgpr89
	s_and_saveexec_b32 s2, vcc_lo
	s_xor_b32 s2, exec_lo, s2
; %bb.37:
	v_bfe_u32 v89, v86, 16, 1
	s_delay_alu instid0(VALU_DEP_1)
	v_add3_u32 v89, v86, v89, 0x7fff
                                        ; implicit-def: $vgpr86
; %bb.38:
	s_and_not1_saveexec_b32 s2, s2
; %bb.39:
	v_and_b32_e32 v89, 0xffff, v86
	v_or_b32_e32 v92, 0x10000, v86
	s_delay_alu instid0(VALU_DEP_2) | instskip(NEXT) | instid1(VALU_DEP_2)
	v_cmp_eq_u32_e32 vcc_lo, 0, v89
	v_cndmask_b32_e32 v89, v92, v86, vcc_lo
; %bb.40:
	s_or_b32 exec_lo, exec_lo, s2
	v_and_b32_e32 v86, 0x7f800000, v81
	s_delay_alu instid0(VALU_DEP_1) | instskip(SKIP_1) | instid1(SALU_CYCLE_1)
	v_cmp_ne_u32_e32 vcc_lo, 0x7f800000, v86
                                        ; implicit-def: $vgpr86
	s_and_saveexec_b32 s2, vcc_lo
	s_xor_b32 s2, exec_lo, s2
; %bb.41:
	v_bfe_u32 v86, v81, 16, 1
	s_delay_alu instid0(VALU_DEP_1)
	v_add3_u32 v86, v81, v86, 0x7fff
                                        ; implicit-def: $vgpr81
; %bb.42:
	s_and_not1_saveexec_b32 s2, s2
; %bb.43:
	v_and_b32_e32 v86, 0xffff, v81
	v_or_b32_e32 v92, 0x10000, v81
	s_delay_alu instid0(VALU_DEP_2) | instskip(NEXT) | instid1(VALU_DEP_2)
	v_cmp_eq_u32_e32 vcc_lo, 0, v86
	v_cndmask_b32_e32 v86, v92, v81, vcc_lo
; %bb.44:
	s_or_b32 exec_lo, exec_lo, s2
	s_load_b64 s[34:35], s[0:1], 0x94
	v_lshlrev_b32_e32 v93, 4, v65
	s_delay_alu instid0(VALU_DEP_2)
	v_perm_b32 v92, v86, v89, 0x7060302
	v_dual_mul_f32 v80, v84, v80 :: v_dual_lshlrev_b32 v81, 6, v66
	v_lshlrev_b32_e32 v66, 11, v67
	v_perm_b32 v89, v85, v77, 0x7060302
	v_mul_f32_e32 v85, v84, v71
	v_mul_f32_e32 v71, v84, v82
	v_perm_b32 v91, v90, v91, 0x7060302
	v_perm_b32 v90, v88, v87, 0x7060302
	v_or3_b32 v77, v93, v66, v81
	v_mul_f32_e32 v66, v84, v83
	v_dual_mul_f32 v79, v84, v79 :: v_dual_and_b32 v86, 0x7f800000, v85
	v_mul_f32_e32 v83, v84, v78
	v_mul_f32_e32 v82, v84, v72
	;; [unrolled: 1-line block ×3, first 2 shown]
	s_mov_b32 s2, exec_lo
	ds_store_b128 v77, v[89:92]
                                        ; implicit-def: $vgpr70
	v_cmpx_ne_u32_e32 0x7f800000, v86
	s_xor_b32 s2, exec_lo, s2
; %bb.45:
	v_bfe_u32 v70, v85, 16, 1
	s_delay_alu instid0(VALU_DEP_1)
	v_add3_u32 v70, v85, v70, 0x7fff
                                        ; implicit-def: $vgpr85
; %bb.46:
	s_and_not1_saveexec_b32 s2, s2
; %bb.47:
	v_and_b32_e32 v70, 0xffff, v85
	v_or_b32_e32 v72, 0x10000, v85
	s_delay_alu instid0(VALU_DEP_2) | instskip(NEXT) | instid1(VALU_DEP_2)
	v_cmp_eq_u32_e32 vcc_lo, 0, v70
	v_cndmask_b32_e32 v70, v72, v85, vcc_lo
; %bb.48:
	s_or_b32 exec_lo, exec_lo, s2
	v_and_b32_e32 v72, 0x7f800000, v78
	s_delay_alu instid0(VALU_DEP_1) | instskip(SKIP_1) | instid1(SALU_CYCLE_1)
	v_cmp_ne_u32_e32 vcc_lo, 0x7f800000, v72
                                        ; implicit-def: $vgpr72
	s_and_saveexec_b32 s2, vcc_lo
	s_xor_b32 s2, exec_lo, s2
; %bb.49:
	v_bfe_u32 v72, v78, 16, 1
	s_delay_alu instid0(VALU_DEP_1)
	v_add3_u32 v72, v78, v72, 0x7fff
                                        ; implicit-def: $vgpr78
; %bb.50:
	s_and_not1_saveexec_b32 s2, s2
; %bb.51:
	v_and_b32_e32 v72, 0xffff, v78
	v_or_b32_e32 v84, 0x10000, v78
	s_delay_alu instid0(VALU_DEP_2) | instskip(NEXT) | instid1(VALU_DEP_2)
	v_cmp_eq_u32_e32 vcc_lo, 0, v72
	v_cndmask_b32_e32 v72, v84, v78, vcc_lo
; %bb.52:
	s_or_b32 exec_lo, exec_lo, s2
	v_and_b32_e32 v78, 0x7f800000, v82
	s_delay_alu instid0(VALU_DEP_1) | instskip(SKIP_1) | instid1(SALU_CYCLE_1)
	v_cmp_ne_u32_e32 vcc_lo, 0x7f800000, v78
                                        ; implicit-def: $vgpr78
	s_and_saveexec_b32 s2, vcc_lo
	s_xor_b32 s2, exec_lo, s2
; %bb.53:
	v_bfe_u32 v78, v82, 16, 1
	s_delay_alu instid0(VALU_DEP_1)
	v_add3_u32 v78, v82, v78, 0x7fff
                                        ; implicit-def: $vgpr82
; %bb.54:
	s_and_not1_saveexec_b32 s2, s2
; %bb.55:
	v_and_b32_e32 v78, 0xffff, v82
	v_or_b32_e32 v84, 0x10000, v82
	s_delay_alu instid0(VALU_DEP_2) | instskip(NEXT) | instid1(VALU_DEP_2)
	v_cmp_eq_u32_e32 vcc_lo, 0, v78
	v_cndmask_b32_e32 v78, v84, v82, vcc_lo
; %bb.56:
	s_or_b32 exec_lo, exec_lo, s2
	v_and_b32_e32 v82, 0x7f800000, v83
	s_delay_alu instid0(VALU_DEP_1) | instskip(SKIP_1) | instid1(SALU_CYCLE_1)
	v_cmp_ne_u32_e32 vcc_lo, 0x7f800000, v82
                                        ; implicit-def: $vgpr82
	s_and_saveexec_b32 s2, vcc_lo
	s_xor_b32 s2, exec_lo, s2
; %bb.57:
	v_bfe_u32 v82, v83, 16, 1
	s_delay_alu instid0(VALU_DEP_1)
	v_add3_u32 v82, v83, v82, 0x7fff
                                        ; implicit-def: $vgpr83
; %bb.58:
	s_and_not1_saveexec_b32 s2, s2
; %bb.59:
	v_and_b32_e32 v82, 0xffff, v83
	v_or_b32_e32 v84, 0x10000, v83
	s_delay_alu instid0(VALU_DEP_2) | instskip(NEXT) | instid1(VALU_DEP_2)
	v_cmp_eq_u32_e32 vcc_lo, 0, v82
	v_cndmask_b32_e32 v82, v84, v83, vcc_lo
; %bb.60:
	s_or_b32 exec_lo, exec_lo, s2
	v_and_b32_e32 v83, 0x7f800000, v79
	s_delay_alu instid0(VALU_DEP_1) | instskip(SKIP_1) | instid1(SALU_CYCLE_1)
	v_cmp_ne_u32_e32 vcc_lo, 0x7f800000, v83
                                        ; implicit-def: $vgpr83
	s_and_saveexec_b32 s2, vcc_lo
	s_xor_b32 s2, exec_lo, s2
; %bb.61:
	v_bfe_u32 v83, v79, 16, 1
	s_delay_alu instid0(VALU_DEP_1)
	v_add3_u32 v83, v79, v83, 0x7fff
                                        ; implicit-def: $vgpr79
; %bb.62:
	s_and_not1_saveexec_b32 s2, s2
; %bb.63:
	v_and_b32_e32 v83, 0xffff, v79
	v_or_b32_e32 v84, 0x10000, v79
	s_delay_alu instid0(VALU_DEP_2) | instskip(NEXT) | instid1(VALU_DEP_2)
	v_cmp_eq_u32_e32 vcc_lo, 0, v83
	v_cndmask_b32_e32 v83, v84, v79, vcc_lo
; %bb.64:
	s_or_b32 exec_lo, exec_lo, s2
	v_and_b32_e32 v79, 0x7f800000, v80
	s_delay_alu instid0(VALU_DEP_1) | instskip(SKIP_1) | instid1(SALU_CYCLE_1)
	v_cmp_ne_u32_e32 vcc_lo, 0x7f800000, v79
                                        ; implicit-def: $vgpr79
	s_and_saveexec_b32 s2, vcc_lo
	s_xor_b32 s2, exec_lo, s2
; %bb.65:
	v_bfe_u32 v79, v80, 16, 1
	s_delay_alu instid0(VALU_DEP_1)
	v_add3_u32 v79, v80, v79, 0x7fff
                                        ; implicit-def: $vgpr80
; %bb.66:
	s_and_not1_saveexec_b32 s2, s2
; %bb.67:
	v_and_b32_e32 v79, 0xffff, v80
	v_or_b32_e32 v84, 0x10000, v80
	s_delay_alu instid0(VALU_DEP_2) | instskip(NEXT) | instid1(VALU_DEP_2)
	v_cmp_eq_u32_e32 vcc_lo, 0, v79
	v_cndmask_b32_e32 v79, v84, v80, vcc_lo
; %bb.68:
	s_or_b32 exec_lo, exec_lo, s2
	v_and_b32_e32 v80, 0x7f800000, v71
	s_delay_alu instid0(VALU_DEP_1) | instskip(SKIP_1) | instid1(SALU_CYCLE_1)
	v_cmp_ne_u32_e32 vcc_lo, 0x7f800000, v80
                                        ; implicit-def: $vgpr80
	s_and_saveexec_b32 s2, vcc_lo
	s_xor_b32 s2, exec_lo, s2
; %bb.69:
	v_bfe_u32 v80, v71, 16, 1
	s_delay_alu instid0(VALU_DEP_1)
	v_add3_u32 v80, v71, v80, 0x7fff
                                        ; implicit-def: $vgpr71
; %bb.70:
	s_and_not1_saveexec_b32 s2, s2
; %bb.71:
	v_and_b32_e32 v80, 0xffff, v71
	v_or_b32_e32 v84, 0x10000, v71
	s_delay_alu instid0(VALU_DEP_2) | instskip(NEXT) | instid1(VALU_DEP_2)
	v_cmp_eq_u32_e32 vcc_lo, 0, v80
	v_cndmask_b32_e32 v80, v84, v71, vcc_lo
; %bb.72:
	s_or_b32 exec_lo, exec_lo, s2
	v_and_b32_e32 v71, 0x7f800000, v66
	s_delay_alu instid0(VALU_DEP_1) | instskip(SKIP_1) | instid1(SALU_CYCLE_1)
	v_cmp_ne_u32_e32 vcc_lo, 0x7f800000, v71
                                        ; implicit-def: $vgpr71
	s_and_saveexec_b32 s2, vcc_lo
	s_xor_b32 s2, exec_lo, s2
; %bb.73:
	v_bfe_u32 v71, v66, 16, 1
	s_delay_alu instid0(VALU_DEP_1)
	v_add3_u32 v71, v66, v71, 0x7fff
                                        ; implicit-def: $vgpr66
; %bb.74:
	s_and_not1_saveexec_b32 s2, s2
; %bb.75:
	v_and_b32_e32 v71, 0xffff, v66
	v_or_b32_e32 v84, 0x10000, v66
	s_delay_alu instid0(VALU_DEP_2) | instskip(NEXT) | instid1(VALU_DEP_2)
	v_cmp_eq_u32_e32 vcc_lo, 0, v71
	v_cndmask_b32_e32 v71, v84, v66, vcc_lo
; %bb.76:
	s_or_b32 exec_lo, exec_lo, s2
	s_delay_alu instid0(VALU_DEP_1)
	v_perm_b32 v87, v71, v80, 0x7060302
	v_perm_b32 v86, v79, v83, 0x7060302
	;; [unrolled: 1-line block ×4, first 2 shown]
	v_lshl_or_b32 v83, v67, 11, v81
	ds_store_b128 v77, v[84:87] offset:1024
	s_waitcnt lgkmcnt(0)
	s_barrier
	buffer_gl0_inv
	ds_load_b128 v[84:87], v83
	ds_load_b128 v[88:91], v83 offset:16
	s_waitcnt lgkmcnt(1)
	v_lshrrev_b32_e32 v70, 16, v87
	s_waitcnt lgkmcnt(0)
	v_lshrrev_b32_e32 v71, 16, v88
	v_lshlrev_b32_e32 v79, 2, v65
	v_lshrrev_b32_e32 v65, 16, v84
	v_lshrrev_b32_e32 v66, 16, v85
	;; [unrolled: 1-line block ×4, first 2 shown]
	v_cmp_eq_u32_e32 vcc_lo, 1, v79
	v_lshrrev_b32_e32 v100, 16, v90
	v_lshrrev_b32_e32 v101, 16, v91
	v_cndmask_b32_e32 v92, v88, v71, vcc_lo
	v_or_b32_e32 v80, 1, v79
	v_cndmask_b32_e32 v82, v84, v65, vcc_lo
	v_cmp_eq_u32_e64 s3, 2, v79
	v_cmp_eq_u32_e64 s6, 3, v79
	;; [unrolled: 1-line block ×5, first 2 shown]
	v_cndmask_b32_e64 v82, v82, v85, s3
	v_cndmask_b32_e64 v92, v92, v89, s3
	v_cmp_eq_u32_e64 s7, 3, v80
	v_cndmask_b32_e64 v93, v84, v65, s2
	v_or_b32_e32 v78, 2, v79
	v_cndmask_b32_e64 v82, v82, v66, s6
	v_cndmask_b32_e64 v92, v92, v72, s6
	;; [unrolled: 1-line block ×4, first 2 shown]
	v_cmp_eq_u32_e64 s9, 5, v79
	v_cndmask_b32_e64 v82, v82, v86, s8
	v_cndmask_b32_e64 v92, v92, v90, s8
	v_cmp_eq_u32_e64 s10, 4, v80
	v_cndmask_b32_e64 v93, v93, v66, s7
	v_cmp_eq_u32_e64 s4, 1, v78
	v_cndmask_b32_e64 v94, v94, v89, s5
	v_cndmask_b32_e64 v82, v82, v67, s9
	v_cmp_eq_u32_e64 s11, 6, v79
	v_cndmask_b32_e64 v93, v93, v86, s10
	;; [unrolled: 3-line block ×3, first 2 shown]
	v_cndmask_b32_e64 v94, v94, v72, s7
	v_cndmask_b32_e64 v82, v82, v87, s11
	v_cmp_eq_u32_e64 s13, 7, v79
	v_cndmask_b32_e64 v93, v93, v67, s12
	v_cndmask_b32_e64 v92, v92, v91, s11
	v_cmp_eq_u32_e64 s15, 6, v80
	v_cmp_eq_u32_e64 s16, 2, v78
	v_cndmask_b32_e64 v94, v94, v90, s10
	v_cndmask_b32_e64 v102, v82, v70, s13
	;; [unrolled: 1-line block ×6, first 2 shown]
	v_cmp_eq_u32_e64 s17, 7, v80
	v_cmp_eq_u32_e64 s18, 3, v78
	;; [unrolled: 1-line block ×4, first 2 shown]
	v_cndmask_b32_e64 v92, v92, v89, s16
	v_cndmask_b32_e64 v104, v93, v70, s17
	;; [unrolled: 1-line block ×4, first 2 shown]
	v_or_b32_e32 v82, 3, v79
	v_cndmask_b32_e64 v97, v92, v72, s18
	v_cmp_eq_u32_e64 s23, 6, v78
	v_cndmask_b32_e64 v105, v93, v91, s15
	v_cndmask_b32_e64 v96, v94, v86, s19
	v_cmp_eq_u32_e64 s20, 1, v82
	ds_load_b128 v[92:95], v83 offset:1024
	v_cmp_eq_u32_e64 s22, 2, v82
	v_cmp_eq_u32_e64 s24, 3, v82
	v_cndmask_b32_e64 v106, v96, v67, s21
	v_cndmask_b32_e64 v65, v84, v65, s20
	v_cndmask_b32_e64 v84, v97, v90, s19
	ds_load_b128 v[96:99], v83 offset:1040
	v_cndmask_b32_e64 v71, v88, v71, s20
	v_cmp_eq_u32_e64 s25, 4, v82
	v_cndmask_b32_e64 v65, v65, v85, s22
	v_cmp_eq_u32_e64 s27, 5, v82
	v_cmp_eq_u32_e64 s28, 6, v82
	v_cndmask_b32_e64 v71, v71, v89, s22
	v_cndmask_b32_e64 v84, v84, v100, s21
	;; [unrolled: 1-line block ×4, first 2 shown]
	v_cmp_eq_u32_e64 s26, 7, v78
	v_cndmask_b32_e64 v71, v71, v72, s24
	v_cndmask_b32_e64 v84, v84, v91, s23
	;; [unrolled: 1-line block ×3, first 2 shown]
	s_waitcnt lgkmcnt(1)
	v_lshrrev_b32_e32 v72, 16, v92
	v_lshrrev_b32_e32 v88, 16, v93
	v_cndmask_b32_e64 v71, v71, v90, s25
	v_cndmask_b32_e64 v66, v66, v70, s26
	v_cndmask_b32_e64 v65, v65, v67, s27
	v_cndmask_b32_e64 v89, v92, v72, s2
	v_cndmask_b32_e64 v84, v84, v101, s26
	v_cndmask_b32_e64 v67, v71, v100, s27
	s_waitcnt lgkmcnt(0)
	v_lshrrev_b32_e32 v71, 16, v96
	v_cndmask_b32_e64 v65, v65, v87, s28
	v_cndmask_b32_e64 v87, v89, v93, s5
	v_lshrrev_b32_e32 v100, 16, v98
	v_cndmask_b32_e64 v67, v67, v91, s28
	v_cndmask_b32_e32 v86, v92, v72, vcc_lo
	v_cndmask_b32_e32 v90, v96, v71, vcc_lo
	v_cmp_eq_u32_e32 vcc_lo, 7, v82
	v_cndmask_b32_e64 v87, v87, v88, s7
	v_lshrrev_b32_e32 v91, 16, v94
	v_cndmask_b32_e64 v85, v105, v101, s17
	v_cndmask_b32_e64 v89, v90, v97, s3
	v_cndmask_b32_e32 v67, v67, v101, vcc_lo
	v_cndmask_b32_e64 v86, v86, v93, s3
	v_lshrrev_b32_e32 v90, 16, v97
	v_cndmask_b32_e32 v65, v65, v70, vcc_lo
	v_cndmask_b32_e64 v70, v87, v94, s10
	v_cndmask_b32_e64 v101, v96, v71, s4
	;; [unrolled: 1-line block ×4, first 2 shown]
	v_perm_b32 v87, v67, v65, 0x5040100
	v_cndmask_b32_e64 v65, v70, v91, s12
	v_lshrrev_b32_e32 v70, 16, v95
	v_cndmask_b32_e64 v86, v86, v94, s8
	v_cndmask_b32_e64 v89, v89, v98, s8
	v_perm_b32 v85, v85, v104, 0x5040100
	v_cndmask_b32_e64 v65, v65, v95, s15
	s_delay_alu instid0(VALU_DEP_4) | instskip(NEXT) | instid1(VALU_DEP_4)
	v_cndmask_b32_e64 v86, v86, v91, s9
	v_cndmask_b32_e64 v89, v89, v100, s9
	s_delay_alu instid0(VALU_DEP_3) | instskip(NEXT) | instid1(VALU_DEP_3)
	v_cndmask_b32_e64 v65, v65, v70, s17
	v_cndmask_b32_e64 v67, v86, v95, s11
	v_perm_b32 v86, v84, v66, 0x5040100
	v_lshrrev_b32_e32 v84, 16, v99
	s_delay_alu instid0(VALU_DEP_3)
	v_cndmask_b32_e64 v66, v67, v70, s13
	v_cndmask_b32_e64 v67, v89, v99, s11
	v_cndmask_b32_e64 v89, v92, v72, s4
	v_cndmask_b32_e64 v72, v92, v72, s20
	v_cndmask_b32_e64 v92, v96, v71, s20
	v_cndmask_b32_e64 v71, v96, v71, s2
	v_cndmask_b32_e64 v67, v67, v84, s13
	v_cndmask_b32_e64 v89, v89, v93, s16
	v_cndmask_b32_e64 v72, v72, v93, s22
	v_cndmask_b32_e64 v92, v92, v97, s22
	v_cndmask_b32_e64 v93, v101, v97, s16
	v_cndmask_b32_e64 v71, v71, v97, s5
	v_cndmask_b32_e64 v89, v89, v88, s18
	v_cndmask_b32_e64 v72, v72, v88, s24
	v_cndmask_b32_e64 v88, v92, v90, s24
	v_cndmask_b32_e64 v92, v93, v90, s18
	v_cndmask_b32_e64 v71, v71, v90, s7
	v_cndmask_b32_e64 v89, v89, v94, s19
	v_cndmask_b32_e64 v72, v72, v94, s25
	v_cndmask_b32_e64 v88, v88, v98, s25
	v_cndmask_b32_e64 v90, v92, v98, s19
	v_cndmask_b32_e64 v71, v71, v98, s10
	v_cndmask_b32_e64 v89, v89, v91, s21
	v_cndmask_b32_e64 v72, v72, v91, s27
	v_cndmask_b32_e64 v88, v88, v100, s27
	v_cndmask_b32_e64 v90, v90, v100, s21
	v_cndmask_b32_e64 v71, v71, v100, s12
	v_cndmask_b32_e64 v89, v89, v95, s23
	v_cndmask_b32_e64 v72, v72, v95, s28
	v_cndmask_b32_e64 v88, v88, v99, s28
	v_cndmask_b32_e64 v90, v90, v99, s23
	v_cndmask_b32_e64 v71, v71, v99, s15
	v_cndmask_b32_e64 v89, v89, v70, s26
	v_cndmask_b32_e32 v70, v72, v70, vcc_lo
	v_cndmask_b32_e32 v72, v88, v84, vcc_lo
	v_cndmask_b32_e64 v88, v90, v84, s26
	v_cndmask_b32_e64 v71, v71, v84, s17
	v_perm_b32 v84, v103, v102, 0x5040100
	s_lshl_b32 s7, s35, 1
	v_perm_b32 v91, v72, v70, 0x5040100
	v_perm_b32 v90, v88, v89, 0x5040100
	;; [unrolled: 1-line block ×4, first 2 shown]
	s_mov_b32 s2, exec_lo
	ds_store_b128 v77, v[84:87]
	ds_store_b128 v77, v[88:91] offset:1024
	v_cmpx_gt_u32_e32 2, v0
	s_cbranch_execz .LBB1775_78
; %bb.77:
	v_or_b32_e32 v65, s31, v0
	s_load_b128 s[8:11], s[0:1], 0x58
	s_delay_alu instid0(VALU_DEP_1) | instskip(NEXT) | instid1(VALU_DEP_1)
	v_mad_u64_u32 v[66:67], null, s7, s30, v[65:66]
	v_mad_u64_u32 v[70:71], null, v66, s34, s[14:15]
	s_delay_alu instid0(VALU_DEP_1) | instskip(NEXT) | instid1(VALU_DEP_1)
	v_ashrrev_i32_e32 v71, 31, v70
	v_lshlrev_b64 v[65:66], 2, v[70:71]
	s_waitcnt lgkmcnt(0)
	s_delay_alu instid0(VALU_DEP_1) | instskip(NEXT) | instid1(VALU_DEP_2)
	v_add_co_u32 v70, vcc_lo, s10, v65
	v_add_co_ci_u32_e32 v71, vcc_lo, s11, v66, vcc_lo
	v_add_co_u32 v65, vcc_lo, s8, v65
	v_add_co_ci_u32_e32 v66, vcc_lo, s9, v66, vcc_lo
	global_store_b32 v[70:71], v68, off
	global_store_b32 v[65:66], v69, off
.LBB1775_78:
	s_or_b32 exec_lo, exec_lo, s2
	s_waitcnt lgkmcnt(0)
	s_waitcnt_vscnt null, 0x0
	s_barrier
	buffer_gl0_inv
	ds_load_b128 v[84:87], v81
	ds_load_b128 v[88:91], v81 offset:16
	ds_load_b128 v[96:99], v81 offset:2064
	;; [unrolled: 1-line block ×3, first 2 shown]
	v_mov_b32_e32 v65, 0
	ds_load_b128 v[104:107], v81 offset:4112
	ds_load_b128 v[100:103], v81 offset:4096
	;; [unrolled: 1-line block ×4, first 2 shown]
	v_mov_b32_e32 v66, v65
	v_mov_b32_e32 v67, v65
	;; [unrolled: 1-line block ×7, first 2 shown]
	s_waitcnt lgkmcnt(6)
	s_delay_alu instid0(VALU_DEP_1)
	v_wmma_f32_16x16x16_bf16 v[65:72], v[57:64], v[84:91], v[65:72]
	ds_load_b128 v[61:64], v81 offset:8208
	ds_load_b128 v[57:60], v81 offset:8192
	s_waitcnt lgkmcnt(6)
	v_wmma_f32_16x16x16_bf16 v[65:72], v[41:48], v[92:99], v[65:72]
	ds_load_b128 v[45:48], v81 offset:10256
	ds_load_b128 v[41:44], v81 offset:10240
	s_waitcnt lgkmcnt(6)
	;; [unrolled: 4-line block ×4, first 2 shown]
	v_wmma_f32_16x16x16_bf16 v[65:72], v[1:8], v[57:64], v[65:72]
	s_waitcnt lgkmcnt(4)
	s_delay_alu instid0(VALU_DEP_1) | instskip(SKIP_1) | instid1(VALU_DEP_1)
	v_wmma_f32_16x16x16_bf16 v[65:72], v[9:16], v[41:48], v[65:72]
	s_waitcnt lgkmcnt(2)
	v_wmma_f32_16x16x16_bf16 v[65:72], v[17:24], v[33:40], v[65:72]
	s_waitcnt lgkmcnt(0)
	s_delay_alu instid0(VALU_DEP_1) | instskip(NEXT) | instid1(VALU_DEP_1)
	v_wmma_f32_16x16x16_bf16 v[65:72], v[49:56], v[25:32], v[65:72]
	v_and_b32_e32 v1, 0x7f800000, v65
	s_delay_alu instid0(VALU_DEP_1) | instskip(SKIP_1) | instid1(SALU_CYCLE_1)
	v_cmp_ne_u32_e32 vcc_lo, 0x7f800000, v1
                                        ; implicit-def: $vgpr1
	s_and_saveexec_b32 s2, vcc_lo
	s_xor_b32 s2, exec_lo, s2
; %bb.79:
	v_bfe_u32 v1, v65, 16, 1
	s_delay_alu instid0(VALU_DEP_1)
	v_add3_u32 v1, v65, v1, 0x7fff
; %bb.80:
	s_and_not1_saveexec_b32 s2, s2
; %bb.81:
	v_and_b32_e32 v1, 0xffff, v65
	v_or_b32_e32 v2, 0x10000, v65
	s_delay_alu instid0(VALU_DEP_2) | instskip(NEXT) | instid1(VALU_DEP_2)
	v_cmp_eq_u32_e32 vcc_lo, 0, v1
	v_cndmask_b32_e32 v1, v2, v65, vcc_lo
; %bb.82:
	s_or_b32 exec_lo, exec_lo, s2
	v_and_b32_e32 v2, 0x7f800000, v66
	s_delay_alu instid0(VALU_DEP_1) | instskip(SKIP_1) | instid1(SALU_CYCLE_1)
	v_cmp_ne_u32_e32 vcc_lo, 0x7f800000, v2
                                        ; implicit-def: $vgpr2
	s_and_saveexec_b32 s2, vcc_lo
	s_xor_b32 s2, exec_lo, s2
; %bb.83:
	v_bfe_u32 v2, v66, 16, 1
	s_delay_alu instid0(VALU_DEP_1)
	v_add3_u32 v2, v66, v2, 0x7fff
; %bb.84:
	s_and_not1_saveexec_b32 s2, s2
; %bb.85:
	v_and_b32_e32 v2, 0xffff, v66
	v_or_b32_e32 v3, 0x10000, v66
	s_delay_alu instid0(VALU_DEP_2) | instskip(NEXT) | instid1(VALU_DEP_2)
	v_cmp_eq_u32_e32 vcc_lo, 0, v2
	v_cndmask_b32_e32 v2, v3, v66, vcc_lo
; %bb.86:
	s_or_b32 exec_lo, exec_lo, s2
	v_and_b32_e32 v3, 0x7f800000, v67
	s_delay_alu instid0(VALU_DEP_1) | instskip(SKIP_1) | instid1(SALU_CYCLE_1)
	v_cmp_ne_u32_e32 vcc_lo, 0x7f800000, v3
                                        ; implicit-def: $vgpr3
	s_and_saveexec_b32 s2, vcc_lo
	s_xor_b32 s2, exec_lo, s2
; %bb.87:
	v_bfe_u32 v3, v67, 16, 1
	s_delay_alu instid0(VALU_DEP_1)
	v_add3_u32 v3, v67, v3, 0x7fff
; %bb.88:
	s_and_not1_saveexec_b32 s2, s2
; %bb.89:
	v_and_b32_e32 v3, 0xffff, v67
	v_or_b32_e32 v4, 0x10000, v67
	s_delay_alu instid0(VALU_DEP_2) | instskip(NEXT) | instid1(VALU_DEP_2)
	v_cmp_eq_u32_e32 vcc_lo, 0, v3
	v_cndmask_b32_e32 v3, v4, v67, vcc_lo
; %bb.90:
	s_or_b32 exec_lo, exec_lo, s2
	v_and_b32_e32 v4, 0x7f800000, v68
	s_delay_alu instid0(VALU_DEP_1) | instskip(SKIP_1) | instid1(SALU_CYCLE_1)
	v_cmp_ne_u32_e32 vcc_lo, 0x7f800000, v4
                                        ; implicit-def: $vgpr4
	s_and_saveexec_b32 s2, vcc_lo
	s_xor_b32 s2, exec_lo, s2
; %bb.91:
	v_bfe_u32 v4, v68, 16, 1
	s_delay_alu instid0(VALU_DEP_1)
	v_add3_u32 v4, v68, v4, 0x7fff
; %bb.92:
	s_and_not1_saveexec_b32 s2, s2
; %bb.93:
	v_and_b32_e32 v4, 0xffff, v68
	v_or_b32_e32 v5, 0x10000, v68
	s_delay_alu instid0(VALU_DEP_2) | instskip(NEXT) | instid1(VALU_DEP_2)
	v_cmp_eq_u32_e32 vcc_lo, 0, v4
	v_cndmask_b32_e32 v4, v5, v68, vcc_lo
; %bb.94:
	s_or_b32 exec_lo, exec_lo, s2
	v_and_b32_e32 v5, 0x7f800000, v69
	s_delay_alu instid0(VALU_DEP_1) | instskip(SKIP_1) | instid1(SALU_CYCLE_1)
	v_cmp_ne_u32_e32 vcc_lo, 0x7f800000, v5
                                        ; implicit-def: $vgpr5
	s_and_saveexec_b32 s2, vcc_lo
	s_xor_b32 s2, exec_lo, s2
; %bb.95:
	v_bfe_u32 v5, v69, 16, 1
	s_delay_alu instid0(VALU_DEP_1)
	v_add3_u32 v5, v69, v5, 0x7fff
; %bb.96:
	s_and_not1_saveexec_b32 s2, s2
; %bb.97:
	v_and_b32_e32 v5, 0xffff, v69
	v_or_b32_e32 v6, 0x10000, v69
	s_delay_alu instid0(VALU_DEP_2) | instskip(NEXT) | instid1(VALU_DEP_2)
	v_cmp_eq_u32_e32 vcc_lo, 0, v5
	v_cndmask_b32_e32 v5, v6, v69, vcc_lo
; %bb.98:
	s_or_b32 exec_lo, exec_lo, s2
	v_and_b32_e32 v6, 0x7f800000, v70
	s_delay_alu instid0(VALU_DEP_1) | instskip(SKIP_1) | instid1(SALU_CYCLE_1)
	v_cmp_ne_u32_e32 vcc_lo, 0x7f800000, v6
                                        ; implicit-def: $vgpr6
	s_and_saveexec_b32 s2, vcc_lo
	s_xor_b32 s2, exec_lo, s2
; %bb.99:
	v_bfe_u32 v6, v70, 16, 1
	s_delay_alu instid0(VALU_DEP_1)
	v_add3_u32 v6, v70, v6, 0x7fff
; %bb.100:
	s_and_not1_saveexec_b32 s2, s2
; %bb.101:
	v_and_b32_e32 v6, 0xffff, v70
	v_or_b32_e32 v7, 0x10000, v70
	s_delay_alu instid0(VALU_DEP_2) | instskip(NEXT) | instid1(VALU_DEP_2)
	v_cmp_eq_u32_e32 vcc_lo, 0, v6
	v_cndmask_b32_e32 v6, v7, v70, vcc_lo
; %bb.102:
	s_or_b32 exec_lo, exec_lo, s2
	v_and_b32_e32 v7, 0x7f800000, v71
	s_delay_alu instid0(VALU_DEP_1) | instskip(SKIP_1) | instid1(SALU_CYCLE_1)
	v_cmp_ne_u32_e32 vcc_lo, 0x7f800000, v7
                                        ; implicit-def: $vgpr7
	s_and_saveexec_b32 s2, vcc_lo
	s_xor_b32 s2, exec_lo, s2
; %bb.103:
	v_bfe_u32 v7, v71, 16, 1
	s_delay_alu instid0(VALU_DEP_1)
	v_add3_u32 v7, v71, v7, 0x7fff
; %bb.104:
	s_and_not1_saveexec_b32 s2, s2
; %bb.105:
	v_and_b32_e32 v7, 0xffff, v71
	v_or_b32_e32 v8, 0x10000, v71
	s_delay_alu instid0(VALU_DEP_2) | instskip(NEXT) | instid1(VALU_DEP_2)
	v_cmp_eq_u32_e32 vcc_lo, 0, v7
	v_cndmask_b32_e32 v7, v8, v71, vcc_lo
; %bb.106:
	s_or_b32 exec_lo, exec_lo, s2
	v_and_b32_e32 v8, 0x7f800000, v72
	s_delay_alu instid0(VALU_DEP_1) | instskip(SKIP_1) | instid1(SALU_CYCLE_1)
	v_cmp_ne_u32_e32 vcc_lo, 0x7f800000, v8
                                        ; implicit-def: $vgpr8
	s_and_saveexec_b32 s2, vcc_lo
	s_xor_b32 s2, exec_lo, s2
; %bb.107:
	v_bfe_u32 v8, v72, 16, 1
	s_delay_alu instid0(VALU_DEP_1)
	v_add3_u32 v8, v72, v8, 0x7fff
                                        ; implicit-def: $vgpr65_vgpr66_vgpr67_vgpr68_vgpr69_vgpr70_vgpr71_vgpr72
; %bb.108:
	s_and_not1_saveexec_b32 s2, s2
; %bb.109:
	v_and_b32_e32 v8, 0xffff, v72
	v_or_b32_e32 v9, 0x10000, v72
	s_delay_alu instid0(VALU_DEP_2) | instskip(NEXT) | instid1(VALU_DEP_2)
	v_cmp_eq_u32_e32 vcc_lo, 0, v8
	v_cndmask_b32_e32 v8, v9, v72, vcc_lo
; %bb.110:
	s_or_b32 exec_lo, exec_lo, s2
	s_delay_alu instid0(VALU_DEP_1)
	v_perm_b32 v7, v8, v7, 0x7060302
	v_perm_b32 v6, v6, v5, 0x7060302
	;; [unrolled: 1-line block ×4, first 2 shown]
	s_barrier
	buffer_gl0_inv
	v_cmp_eq_u32_e32 vcc_lo, 1, v79
	ds_store_b128 v77, v[4:7]
	s_waitcnt lgkmcnt(0)
	s_barrier
	buffer_gl0_inv
	ds_load_b128 v[1:4], v83
	ds_load_b128 v[5:8], v83 offset:16
	v_cmp_eq_u32_e64 s2, 1, v80
	v_cmp_eq_u32_e64 s3, 2, v79
	;; [unrolled: 1-line block ×5, first 2 shown]
	s_waitcnt lgkmcnt(1)
	v_lshrrev_b32_e32 v9, 16, v1
	s_waitcnt lgkmcnt(0)
	v_lshrrev_b32_e32 v13, 16, v5
	v_lshrrev_b32_e32 v10, 16, v2
	;; [unrolled: 1-line block ×4, first 2 shown]
	v_cndmask_b32_e64 v19, v1, v9, s2
	v_cndmask_b32_e32 v18, v5, v13, vcc_lo
	v_cndmask_b32_e64 v20, v5, v13, s2
	v_cndmask_b32_e32 v17, v1, v9, vcc_lo
	v_cmp_eq_u32_e32 vcc_lo, 2, v80
	v_lshrrev_b32_e32 v15, 16, v7
	v_cmp_eq_u32_e64 s2, 1, v78
	v_lshrrev_b32_e32 v12, 16, v4
	v_lshrrev_b32_e32 v16, 16, v8
	v_cndmask_b32_e32 v20, v20, v6, vcc_lo
	v_cndmask_b32_e64 v17, v17, v2, s3
	v_cndmask_b32_e32 v19, v19, v2, vcc_lo
	v_cndmask_b32_e64 v18, v18, v6, s3
	v_cmp_eq_u32_e32 vcc_lo, 4, v79
	v_cmp_eq_u32_e64 s3, 3, v80
	v_cndmask_b32_e64 v17, v17, v10, s4
	v_cndmask_b32_e64 v21, v1, v9, s2
	;; [unrolled: 1-line block ×5, first 2 shown]
	v_cndmask_b32_e32 v17, v17, v3, vcc_lo
	v_cndmask_b32_e64 v20, v20, v14, s3
	v_cndmask_b32_e32 v18, v18, v7, vcc_lo
	v_cmp_eq_u32_e32 vcc_lo, 4, v80
	v_cmp_eq_u32_e64 s3, 5, v80
	v_cmp_eq_u32_e64 s2, 2, v82
	v_cndmask_b32_e64 v21, v21, v2, s6
	v_cmp_eq_u32_e64 s4, 5, v79
	v_cndmask_b32_e32 v19, v19, v3, vcc_lo
	v_cndmask_b32_e32 v20, v20, v7, vcc_lo
	v_cmp_eq_u32_e32 vcc_lo, 6, v80
	s_delay_alu instid0(VALU_DEP_4) | instskip(NEXT) | instid1(VALU_DEP_4)
	v_cndmask_b32_e64 v17, v17, v11, s4
	v_cndmask_b32_e64 v19, v19, v11, s3
	s_delay_alu instid0(VALU_DEP_4) | instskip(SKIP_1) | instid1(VALU_DEP_3)
	v_cndmask_b32_e64 v20, v20, v15, s3
	v_cmp_eq_u32_e64 s3, 1, v82
	v_cndmask_b32_e32 v19, v19, v4, vcc_lo
	v_cndmask_b32_e64 v18, v18, v15, s4
	s_delay_alu instid0(VALU_DEP_3)
	v_cndmask_b32_e64 v1, v1, v9, s3
	v_cndmask_b32_e64 v5, v5, v13, s3
	v_cmp_eq_u32_e64 s3, 3, v78
	v_cndmask_b32_e64 v13, v22, v6, s6
	v_cmp_eq_u32_e64 s6, 3, v82
	v_cndmask_b32_e64 v1, v1, v2, s2
	v_cndmask_b32_e64 v2, v5, v6, s2
	;; [unrolled: 1-line block ×3, first 2 shown]
	v_cmp_eq_u32_e64 s2, 4, v78
	v_cndmask_b32_e64 v6, v13, v14, s3
	v_cndmask_b32_e64 v1, v1, v10, s6
	v_cmp_eq_u32_e64 s3, 4, v82
	v_cndmask_b32_e64 v2, v2, v14, s6
	v_cndmask_b32_e64 v5, v9, v3, s2
	;; [unrolled: 3-line block ×3, first 2 shown]
	v_cndmask_b32_e64 v2, v2, v7, s3
	v_cmp_eq_u32_e64 s2, 5, v82
	v_cmp_eq_u32_e64 s4, 6, v79
	v_cndmask_b32_e64 v5, v5, v11, s6
	v_cmp_eq_u32_e64 s3, 6, v78
	v_cndmask_b32_e64 v3, v6, v15, s6
	v_cndmask_b32_e64 v1, v1, v11, s2
	v_cmp_eq_u32_e64 s6, 6, v82
	v_cndmask_b32_e64 v2, v2, v15, s2
	v_cndmask_b32_e64 v17, v17, v4, s4
	v_cndmask_b32_e64 v18, v18, v8, s4
	v_cmp_eq_u32_e64 s4, 7, v79
	v_cndmask_b32_e64 v5, v5, v4, s3
	;; [unrolled: 4-line block ×3, first 2 shown]
	v_cmp_eq_u32_e64 s3, 7, v78
	v_cndmask_b32_e32 v4, v20, v8, vcc_lo
	v_cndmask_b32_e64 v17, v17, v12, s4
	v_cndmask_b32_e64 v19, v19, v12, s5
	;; [unrolled: 1-line block ×8, first 2 shown]
	s_delay_alu instid0(VALU_DEP_4) | instskip(NEXT) | instid1(VALU_DEP_4)
	v_perm_b32 v4, v2, v1, 0x5040100
	v_perm_b32 v3, v3, v5, 0x5040100
	s_delay_alu instid0(VALU_DEP_4) | instskip(NEXT) | instid1(VALU_DEP_4)
	v_perm_b32 v2, v6, v19, 0x5040100
	v_perm_b32 v1, v7, v17, 0x5040100
	ds_store_b128 v77, v[1:4]
	s_waitcnt lgkmcnt(0)
	s_barrier
	buffer_gl0_inv
	s_and_saveexec_b32 s2, s29
	s_cbranch_execz .LBB1775_2
; %bb.111:
	s_load_b64 s[0:1], s[0:1], 0x68
	v_lshlrev_b32_e32 v0, 10, v0
	s_lshl_b32 s2, s34, 6
	v_lshlrev_b32_e32 v1, 4, v76
	v_mul_lo_u32 v4, s2, v75
	s_mul_i32 s3, s2, s30
	v_and_b32_e32 v0, 0x3800, v0
	s_mul_i32 s2, s3, s7
	s_delay_alu instid0(SALU_CYCLE_1) | instskip(NEXT) | instid1(VALU_DEP_1)
	s_ashr_i32 s3, s2, 31
	v_or3_b32 v0, v0, v74, v1
	s_lshl_b64 s[2:3], s[2:3], 1
	s_delay_alu instid0(VALU_DEP_3)
	v_ashrrev_i32_e32 v5, 31, v4
	ds_load_b128 v[0:3], v0
	v_lshlrev_b64 v[4:5], 1, v[4:5]
	s_waitcnt lgkmcnt(0)
	s_add_u32 s2, s0, s2
	s_addc_u32 s3, s1, s3
	s_lshl_b32 s0, s14, 6
	s_delay_alu instid0(SALU_CYCLE_1) | instskip(NEXT) | instid1(SALU_CYCLE_1)
	s_ashr_i32 s1, s0, 31
	s_lshl_b64 s[0:1], s[0:1], 1
	s_delay_alu instid0(SALU_CYCLE_1) | instskip(SKIP_3) | instid1(VALU_DEP_2)
	s_add_u32 s0, s2, s0
	s_addc_u32 s1, s3, s1
	v_add_co_u32 v4, vcc_lo, s0, v4
	v_add_co_ci_u32_e32 v5, vcc_lo, s1, v5, vcc_lo
	v_add_co_u32 v4, vcc_lo, v4, v73
	s_delay_alu instid0(VALU_DEP_2)
	v_add_co_ci_u32_e32 v5, vcc_lo, 0, v5, vcc_lo
	global_store_b128 v[4:5], v[0:3], off
	s_nop 0
	s_sendmsg sendmsg(MSG_DEALLOC_VGPRS)
	s_endpgm
	.section	.rodata,"a",@progbits
	.p2align	6, 0x0
	.amdhsa_kernel _Z39paged_attention_ll4mi_QKV_mfma16_kernelI14__hip_bfloat16hLN4vllm18Fp8KVCacheDataTypeE1ES0_Li32ELi64ELi256ELb1ELi2EL8MFMAType0EEvPKT_PKT0_S9_ifPKiSB_SB_iPKfiiiPfSE_PS4_PT2_iSD_SD_
		.amdhsa_group_segment_fixed_size 17472
		.amdhsa_private_segment_fixed_size 0
		.amdhsa_kernarg_size 400
		.amdhsa_user_sgpr_count 13
		.amdhsa_user_sgpr_dispatch_ptr 0
		.amdhsa_user_sgpr_queue_ptr 0
		.amdhsa_user_sgpr_kernarg_segment_ptr 1
		.amdhsa_user_sgpr_dispatch_id 0
		.amdhsa_user_sgpr_private_segment_size 0
		.amdhsa_wavefront_size32 1
		.amdhsa_uses_dynamic_stack 0
		.amdhsa_enable_private_segment 0
		.amdhsa_system_sgpr_workgroup_id_x 1
		.amdhsa_system_sgpr_workgroup_id_y 1
		.amdhsa_system_sgpr_workgroup_id_z 1
		.amdhsa_system_sgpr_workgroup_info 0
		.amdhsa_system_vgpr_workitem_id 0
		.amdhsa_next_free_vgpr 125
		.amdhsa_next_free_sgpr 40
		.amdhsa_reserve_vcc 1
		.amdhsa_float_round_mode_32 0
		.amdhsa_float_round_mode_16_64 0
		.amdhsa_float_denorm_mode_32 3
		.amdhsa_float_denorm_mode_16_64 3
		.amdhsa_dx10_clamp 1
		.amdhsa_ieee_mode 1
		.amdhsa_fp16_overflow 0
		.amdhsa_workgroup_processor_mode 1
		.amdhsa_memory_ordered 1
		.amdhsa_forward_progress 0
		.amdhsa_shared_vgpr_count 0
		.amdhsa_exception_fp_ieee_invalid_op 0
		.amdhsa_exception_fp_denorm_src 0
		.amdhsa_exception_fp_ieee_div_zero 0
		.amdhsa_exception_fp_ieee_overflow 0
		.amdhsa_exception_fp_ieee_underflow 0
		.amdhsa_exception_fp_ieee_inexact 0
		.amdhsa_exception_int_div_zero 0
	.end_amdhsa_kernel
	.section	.text._Z39paged_attention_ll4mi_QKV_mfma16_kernelI14__hip_bfloat16hLN4vllm18Fp8KVCacheDataTypeE1ES0_Li32ELi64ELi256ELb1ELi2EL8MFMAType0EEvPKT_PKT0_S9_ifPKiSB_SB_iPKfiiiPfSE_PS4_PT2_iSD_SD_,"axG",@progbits,_Z39paged_attention_ll4mi_QKV_mfma16_kernelI14__hip_bfloat16hLN4vllm18Fp8KVCacheDataTypeE1ES0_Li32ELi64ELi256ELb1ELi2EL8MFMAType0EEvPKT_PKT0_S9_ifPKiSB_SB_iPKfiiiPfSE_PS4_PT2_iSD_SD_,comdat
.Lfunc_end1775:
	.size	_Z39paged_attention_ll4mi_QKV_mfma16_kernelI14__hip_bfloat16hLN4vllm18Fp8KVCacheDataTypeE1ES0_Li32ELi64ELi256ELb1ELi2EL8MFMAType0EEvPKT_PKT0_S9_ifPKiSB_SB_iPKfiiiPfSE_PS4_PT2_iSD_SD_, .Lfunc_end1775-_Z39paged_attention_ll4mi_QKV_mfma16_kernelI14__hip_bfloat16hLN4vllm18Fp8KVCacheDataTypeE1ES0_Li32ELi64ELi256ELb1ELi2EL8MFMAType0EEvPKT_PKT0_S9_ifPKiSB_SB_iPKfiiiPfSE_PS4_PT2_iSD_SD_
                                        ; -- End function
	.section	.AMDGPU.csdata,"",@progbits
; Kernel info:
; codeLenInByte = 8520
; NumSgprs: 42
; NumVgprs: 125
; ScratchSize: 0
; MemoryBound: 0
; FloatMode: 240
; IeeeMode: 1
; LDSByteSize: 17472 bytes/workgroup (compile time only)
; SGPRBlocks: 5
; VGPRBlocks: 15
; NumSGPRsForWavesPerEU: 42
; NumVGPRsForWavesPerEU: 125
; Occupancy: 10
; WaveLimiterHint : 1
; COMPUTE_PGM_RSRC2:SCRATCH_EN: 0
; COMPUTE_PGM_RSRC2:USER_SGPR: 13
; COMPUTE_PGM_RSRC2:TRAP_HANDLER: 0
; COMPUTE_PGM_RSRC2:TGID_X_EN: 1
; COMPUTE_PGM_RSRC2:TGID_Y_EN: 1
; COMPUTE_PGM_RSRC2:TGID_Z_EN: 1
; COMPUTE_PGM_RSRC2:TIDIG_COMP_CNT: 0
	.section	.text._Z39paged_attention_ll4mi_QKV_mfma16_kernelI14__hip_bfloat16hLN4vllm18Fp8KVCacheDataTypeE1ES0_Li32ELi64ELi256ELb1ELi3EL8MFMAType0EEvPKT_PKT0_S9_ifPKiSB_SB_iPKfiiiPfSE_PS4_PT2_iSD_SD_,"axG",@progbits,_Z39paged_attention_ll4mi_QKV_mfma16_kernelI14__hip_bfloat16hLN4vllm18Fp8KVCacheDataTypeE1ES0_Li32ELi64ELi256ELb1ELi3EL8MFMAType0EEvPKT_PKT0_S9_ifPKiSB_SB_iPKfiiiPfSE_PS4_PT2_iSD_SD_,comdat
	.protected	_Z39paged_attention_ll4mi_QKV_mfma16_kernelI14__hip_bfloat16hLN4vllm18Fp8KVCacheDataTypeE1ES0_Li32ELi64ELi256ELb1ELi3EL8MFMAType0EEvPKT_PKT0_S9_ifPKiSB_SB_iPKfiiiPfSE_PS4_PT2_iSD_SD_ ; -- Begin function _Z39paged_attention_ll4mi_QKV_mfma16_kernelI14__hip_bfloat16hLN4vllm18Fp8KVCacheDataTypeE1ES0_Li32ELi64ELi256ELb1ELi3EL8MFMAType0EEvPKT_PKT0_S9_ifPKiSB_SB_iPKfiiiPfSE_PS4_PT2_iSD_SD_
	.globl	_Z39paged_attention_ll4mi_QKV_mfma16_kernelI14__hip_bfloat16hLN4vllm18Fp8KVCacheDataTypeE1ES0_Li32ELi64ELi256ELb1ELi3EL8MFMAType0EEvPKT_PKT0_S9_ifPKiSB_SB_iPKfiiiPfSE_PS4_PT2_iSD_SD_
	.p2align	8
	.type	_Z39paged_attention_ll4mi_QKV_mfma16_kernelI14__hip_bfloat16hLN4vllm18Fp8KVCacheDataTypeE1ES0_Li32ELi64ELi256ELb1ELi3EL8MFMAType0EEvPKT_PKT0_S9_ifPKiSB_SB_iPKfiiiPfSE_PS4_PT2_iSD_SD_,@function
_Z39paged_attention_ll4mi_QKV_mfma16_kernelI14__hip_bfloat16hLN4vllm18Fp8KVCacheDataTypeE1ES0_Li32ELi64ELi256ELb1ELi3EL8MFMAType0EEvPKT_PKT0_S9_ifPKiSB_SB_iPKfiiiPfSE_PS4_PT2_iSD_SD_: ; @_Z39paged_attention_ll4mi_QKV_mfma16_kernelI14__hip_bfloat16hLN4vllm18Fp8KVCacheDataTypeE1ES0_Li32ELi64ELi256ELb1ELi3EL8MFMAType0EEvPKT_PKT0_S9_ifPKiSB_SB_iPKfiiiPfSE_PS4_PT2_iSD_SD_
; %bb.0:
	s_load_b64 s[2:3], s[0:1], 0x30
	s_mov_b32 s34, s13
	s_waitcnt lgkmcnt(0)
	s_cmp_lg_u64 s[2:3], 0
	s_cselect_b32 s8, -1, 0
	s_ashr_i32 s35, s13, 31
	s_cmp_eq_u64 s[2:3], 0
	s_cbranch_scc1 .LBB1776_3
; %bb.1:
	s_lshl_b64 s[4:5], s[34:35], 2
	s_delay_alu instid0(SALU_CYCLE_1) | instskip(SKIP_4) | instid1(SALU_CYCLE_1)
	s_add_u32 s4, s2, s4
	s_addc_u32 s5, s3, s5
	s_load_b64 s[4:5], s[4:5], 0x0
	s_waitcnt lgkmcnt(0)
	s_sub_i32 s4, s5, s4
	s_cmp_eq_u32 s4, 1
	s_cselect_b32 s4, -1, 0
	s_delay_alu instid0(SALU_CYCLE_1)
	s_and_not1_b32 vcc_lo, exec_lo, s4
	s_cbranch_vccz .LBB1776_4
.LBB1776_2:
	s_nop 0
	s_sendmsg sendmsg(MSG_DEALLOC_VGPRS)
	s_endpgm
.LBB1776_3:
.LBB1776_4:
	s_load_b64 s[4:5], s[0:1], 0x28
	s_lshl_b64 s[6:7], s[34:35], 2
	s_waitcnt lgkmcnt(0)
	s_add_u32 s4, s4, s6
	s_addc_u32 s5, s5, s7
	s_lshl_b32 s12, s14, 8
	s_load_b32 s24, s[4:5], 0x0
	s_waitcnt lgkmcnt(0)
	s_cmp_ge_i32 s12, s24
	s_cbranch_scc1 .LBB1776_2
; %bb.5:
	s_clause 0x1
	s_load_b128 s[20:23], s[0:1], 0x8
	s_load_b64 s[4:5], s[0:1], 0x20
	s_and_not1_b32 vcc_lo, exec_lo, s8
	s_cbranch_vccnz .LBB1776_7
; %bb.6:
	s_add_u32 s2, s2, s6
	s_addc_u32 s3, s3, s7
	s_load_b32 s3, s[2:3], 0x0
	s_branch .LBB1776_8
.LBB1776_7:
	s_mov_b32 s3, s34
.LBB1776_8:
	s_load_b128 s[16:19], s[0:1], 0x48
	v_lshrrev_b32_e32 v66, 5, v0
	v_bfe_u32 v74, v0, 4, 1
	v_and_b32_e32 v65, 15, v0
	v_and_b32_e32 v67, 31, v0
	;; [unrolled: 1-line block ×3, first 2 shown]
	s_mul_i32 s31, s15, 3
	v_lshl_or_b32 v1, v66, 1, v74
	v_lshlrev_b32_e32 v2, 3, v65
	v_cmp_gt_u32_e64 s2, 8, v65
	s_delay_alu instid0(VALU_DEP_3) | instskip(NEXT) | instid1(VALU_DEP_3)
	v_cmp_gt_u32_e32 vcc_lo, 3, v1
	v_lshlrev_b32_e32 v73, 1, v2
	s_delay_alu instid0(VALU_DEP_3) | instskip(NEXT) | instid1(SALU_CYCLE_1)
	s_and_b32 s7, s2, vcc_lo
	s_and_saveexec_b32 s6, s7
	s_cbranch_execz .LBB1776_10
; %bb.9:
	s_load_b64 s[8:9], s[0:1], 0x0
	v_add_lshl_u32 v2, v1, s31, 6
	s_waitcnt lgkmcnt(0)
	s_mul_hi_i32 s11, s3, s16
	s_mul_i32 s10, s3, s16
	v_lshlrev_b32_e32 v6, 10, v65
	s_lshl_b64 s[10:11], s[10:11], 1
	v_ashrrev_i32_e32 v3, 31, v2
	v_lshlrev_b32_e32 v1, 6, v1
	v_lshlrev_b32_e32 v7, 10, v75
	v_and_b32_e32 v6, 0x3800, v6
	s_delay_alu instid0(VALU_DEP_4) | instskip(NEXT) | instid1(VALU_DEP_2)
	v_lshlrev_b64 v[2:3], 1, v[2:3]
	v_or3_b32 v1, v6, v7, v1
	s_add_u32 s3, s8, s10
	s_addc_u32 s7, s9, s11
	s_delay_alu instid0(VALU_DEP_2) | instskip(NEXT) | instid1(VALU_DEP_3)
	v_add_co_u32 v2, vcc_lo, s3, v2
	v_add_co_ci_u32_e32 v3, vcc_lo, s7, v3, vcc_lo
	s_delay_alu instid0(VALU_DEP_2) | instskip(NEXT) | instid1(VALU_DEP_2)
	v_add_co_u32 v2, vcc_lo, v2, v73
	v_add_co_ci_u32_e32 v3, vcc_lo, 0, v3, vcc_lo
	global_load_b128 v[2:5], v[2:3], off
	s_waitcnt vmcnt(0)
	ds_store_b128 v1, v[2:5]
.LBB1776_10:
	s_or_b32 exec_lo, exec_lo, s6
	v_and_b32_e32 v1, 0xef, v0
	s_waitcnt lgkmcnt(0)
	s_add_i32 s3, s24, 31
	s_clause 0x1
	s_load_b32 s6, s[0:1], 0x38
	s_load_b32 s19, s[0:1], 0x1c
	s_ashr_i32 s7, s3, 31
	v_add_nc_u32_e32 v1, s12, v1
	s_lshr_b32 s7, s7, 27
	s_waitcnt lgkmcnt(0)
	s_add_i32 s3, s3, s7
	s_barrier
	v_ashrrev_i32_e32 v2, 31, v1
	v_or_b32_e32 v3, 16, v1
	s_ashr_i32 s3, s3, 5
	v_cmp_gt_i32_e32 vcc_lo, s24, v1
	s_add_i32 s3, s3, -1
	v_lshrrev_b32_e32 v2, 27, v2
	buffer_gl0_inv
	s_mul_i32 s27, s15, s18
	v_add_nc_u32_e32 v4, v1, v2
	s_mul_i32 s6, s34, s6
	s_delay_alu instid0(SALU_CYCLE_1) | instskip(NEXT) | instid1(VALU_DEP_1)
	s_ashr_i32 s7, s6, 31
	v_ashrrev_i32_e32 v4, 5, v4
	v_add_nc_u32_e32 v2, v3, v2
	s_lshl_b64 s[6:7], s[6:7], 2
	s_delay_alu instid0(SALU_CYCLE_1) | instskip(NEXT) | instid1(VALU_DEP_2)
	s_add_u32 s26, s4, s6
	v_cndmask_b32_e32 v1, s3, v4, vcc_lo
	s_delay_alu instid0(VALU_DEP_2)
	v_ashrrev_i32_e32 v2, 5, v2
	v_cmp_gt_i32_e32 vcc_lo, s24, v3
	s_addc_u32 s25, s5, s7
	s_ashr_i32 s28, s27, 31
	s_add_u32 s4, s20, s27
	s_addc_u32 s5, s21, s28
	v_cndmask_b32_e32 v3, s3, v2, vcc_lo
	v_ashrrev_i32_e32 v2, 31, v1
	s_lshl_b32 s6, s14, 3
	s_delay_alu instid0(SALU_CYCLE_1) | instskip(NEXT) | instid1(VALU_DEP_2)
	s_ashr_i32 s7, s6, 31
	v_ashrrev_i32_e32 v4, 31, v3
	s_delay_alu instid0(VALU_DEP_2) | instskip(SKIP_1) | instid1(SALU_CYCLE_1)
	v_lshlrev_b64 v[1:2], 2, v[1:2]
	s_lshl_b64 s[6:7], s[6:7], 2
	s_add_u32 s6, s26, s6
	s_delay_alu instid0(VALU_DEP_2) | instskip(SKIP_1) | instid1(VALU_DEP_2)
	v_lshlrev_b64 v[3:4], 2, v[3:4]
	s_addc_u32 s7, s25, s7
	v_add_co_u32 v1, vcc_lo, s26, v1
	v_add_co_ci_u32_e32 v2, vcc_lo, s25, v2, vcc_lo
	s_delay_alu instid0(VALU_DEP_3) | instskip(NEXT) | instid1(VALU_DEP_4)
	v_add_co_u32 v3, vcc_lo, s26, v3
	v_add_co_ci_u32_e32 v4, vcc_lo, s25, v4, vcc_lo
	s_clause 0x1
	global_load_b32 v5, v[1:2], off
	global_load_b32 v6, v[3:4], off
	s_or_b32 s8, s12, 32
	s_delay_alu instid0(SALU_CYCLE_1) | instskip(SKIP_2) | instid1(SALU_CYCLE_1)
	s_ashr_i32 s9, s8, 5
	s_cmp_lt_i32 s8, s24
	s_cselect_b32 s8, s9, s3
	s_ashr_i32 s9, s8, 31
	s_delay_alu instid0(SALU_CYCLE_1) | instskip(NEXT) | instid1(SALU_CYCLE_1)
	s_lshl_b64 s[8:9], s[8:9], 2
	s_add_u32 s8, s26, s8
	s_addc_u32 s9, s25, s9
	s_or_b32 s10, s12, 64
	s_delay_alu instid0(SALU_CYCLE_1) | instskip(SKIP_2) | instid1(SALU_CYCLE_1)
	s_ashr_i32 s11, s10, 5
	s_cmp_lt_i32 s10, s24
	s_cselect_b32 s10, s11, s3
	s_ashr_i32 s11, s10, 31
	s_delay_alu instid0(SALU_CYCLE_1) | instskip(NEXT) | instid1(SALU_CYCLE_1)
	s_lshl_b64 s[10:11], s[10:11], 2
	s_add_u32 s10, s26, s10
	s_addc_u32 s11, s25, s11
	;; [unrolled: 10-line block ×5, first 2 shown]
	s_clause 0x5
	s_load_b32 s21, s[6:7], 0x0
	s_load_b32 s13, s[8:9], 0x0
	;; [unrolled: 1-line block ×6, first 2 shown]
	s_or_b32 s9, s12, 0xc0
	s_delay_alu instid0(SALU_CYCLE_1) | instskip(SKIP_2) | instid1(SALU_CYCLE_1)
	s_ashr_i32 s10, s9, 5
	s_cmp_lt_i32 s9, s24
	s_cselect_b32 s36, s10, s3
	s_ashr_i32 s37, s36, 31
	s_delay_alu instid0(SALU_CYCLE_1) | instskip(NEXT) | instid1(SALU_CYCLE_1)
	s_lshl_b64 s[36:37], s[36:37], 2
	s_add_u32 s36, s26, s36
	s_addc_u32 s37, s25, s37
	s_or_b32 s29, s12, 0xe0
	s_delay_alu instid0(SALU_CYCLE_1)
	s_ashr_i32 s30, s29, 5
	s_cmp_lt_i32 s29, s24
	s_waitcnt vmcnt(1)
	v_mad_i64_i32 v[1:2], null, v5, s17, s[4:5]
	s_waitcnt vmcnt(0)
	v_mad_i64_i32 v[3:4], null, v6, s17, s[4:5]
	s_mov_b32 s4, 0
	s_delay_alu instid0(SALU_CYCLE_1)
	s_mov_b32 s5, s4
	s_mov_b32 s6, s4
	;; [unrolled: 1-line block ×7, first 2 shown]
	v_lshlrev_b32_e32 v5, 4, v65
	v_dual_mov_b32 v107, s11 :: v_dual_mov_b32 v102, s6
	v_mov_b32_e32 v106, s10
	v_mov_b32_e32 v104, s8
	s_delay_alu instid0(VALU_DEP_4)
	v_add_co_u32 v1, vcc_lo, v1, v5
	v_add_co_ci_u32_e32 v2, vcc_lo, 0, v2, vcc_lo
	v_add_co_u32 v3, vcc_lo, v3, v5
	v_add_co_ci_u32_e32 v4, vcc_lo, 0, v4, vcc_lo
	s_clause 0x7
	global_load_b128 v[49:52], v[1:2], off
	global_load_b128 v[53:56], v[1:2], off offset:512
	global_load_b128 v[76:79], v[3:4], off offset:256
	global_load_b128 v[80:83], v[3:4], off offset:768
	global_load_b128 v[84:87], v[1:2], off offset:1024
	global_load_b128 v[88:91], v[1:2], off offset:1536
	global_load_b128 v[92:95], v[3:4], off offset:1280
	global_load_b128 v[96:99], v[3:4], off offset:1792
	v_mul_lo_u16 v1, 0x56, v65
	v_mov_b32_e32 v103, s7
	v_dual_mov_b32 v101, s5 :: v_dual_lshlrev_b32 v2, 5, v65
	v_mov_b32_e32 v100, s4
	s_delay_alu instid0(VALU_DEP_4) | instskip(NEXT) | instid1(VALU_DEP_3)
	v_lshrrev_b16 v1, 8, v1
	v_lshl_or_b32 v2, v66, 9, v2
	s_delay_alu instid0(VALU_DEP_2) | instskip(NEXT) | instid1(VALU_DEP_1)
	v_mul_lo_u16 v1, v1, 3
	v_sub_nc_u16 v1, v65, v1
	s_delay_alu instid0(VALU_DEP_1)
	v_and_b32_e32 v1, 0xff, v1
	v_mov_b32_e32 v105, s9
	s_cselect_b32 s4, s30, s3
	s_load_b32 s3, s[36:37], 0x0
	s_ashr_i32 s5, s4, 31
	v_lshlrev_b32_e32 v70, 6, v1
	s_lshl_b64 s[4:5], s[4:5], 2
	ds_load_b128 v[108:111], v70
	ds_load_b128 v[112:115], v70 offset:1024
	s_add_u32 s4, s26, s4
	s_addc_u32 s5, s25, s5
	s_add_u32 s6, s22, s27
	s_load_b32 s4, s[4:5], 0x0
	s_addc_u32 s7, s23, s28
	v_add_co_u32 v9, s6, s6, v2
	s_delay_alu instid0(VALU_DEP_1) | instskip(SKIP_1) | instid1(VALU_DEP_1)
	v_add_co_ci_u32_e64 v10, null, s7, 0, s6
	s_waitcnt lgkmcnt(0)
	v_mad_i64_i32 v[1:2], null, s21, s17, v[9:10]
	v_mad_i64_i32 v[3:4], null, s13, s17, v[9:10]
	;; [unrolled: 1-line block ×7, first 2 shown]
	s_clause 0x9
	global_load_b128 v[57:60], v[1:2], off
	global_load_b128 v[61:64], v[1:2], off offset:16
	global_load_b128 v[41:44], v[3:4], off
	global_load_b128 v[45:48], v[3:4], off offset:16
	;; [unrolled: 2-line block ×5, first 2 shown]
	v_mad_i64_i32 v[68:69], null, s4, s17, v[9:10]
	s_clause 0x3
	global_load_b128 v[9:12], v[13:14], off
	global_load_b128 v[13:16], v[13:14], off offset:16
	global_load_b128 v[17:20], v[21:22], off
	global_load_b128 v[21:24], v[21:22], off offset:16
	s_waitcnt vmcnt(20)
	v_wmma_f32_16x16x16_bf16 v[116:123], v[49:56], v[108:115], v[100:107]
	s_clause 0x1
	global_load_b128 v[49:52], v[68:69], off
	global_load_b128 v[53:56], v[68:69], off offset:16
	v_and_b32_e32 v68, 0xe0, v0
	v_mbcnt_lo_u32_b32 v69, -1, 0
	s_delay_alu instid0(VALU_DEP_2)
	v_add_nc_u32_e32 v68, s12, v68
	s_waitcnt vmcnt(20)
	v_wmma_f32_16x16x16_bf16 v[100:107], v[76:83], v[108:115], v[100:107]
	ds_load_b128 v[76:79], v70 offset:2048
	ds_load_b128 v[80:83], v70 offset:3072
	v_xor_b32_e32 v70, 16, v69
	s_waitcnt vmcnt(0) lgkmcnt(0)
	v_or_b32_e32 v68, v68, v74
	s_barrier
	buffer_gl0_inv
	v_cmp_gt_i32_e32 vcc_lo, 32, v70
	v_or_b32_e32 v71, 4, v68
	v_or_b32_e32 v72, 6, v68
	v_cmp_gt_i32_e64 s3, s24, v68
	v_or_b32_e32 v108, 8, v68
	v_or_b32_e32 v109, 10, v68
	v_cmp_gt_i32_e64 s4, s24, v71
	v_cmp_gt_i32_e64 s5, s24, v72
	s_delay_alu instid0(VALU_DEP_4) | instskip(NEXT) | instid1(VALU_DEP_4)
	v_cmp_gt_i32_e64 s6, s24, v108
	v_cmp_gt_i32_e64 s7, s24, v109
	v_wmma_f32_16x16x16_bf16 v[116:123], v[84:91], v[76:83], v[116:123]
	v_cndmask_b32_e32 v69, v69, v70, vcc_lo
	v_or_b32_e32 v70, 2, v68
	v_wmma_f32_16x16x16_bf16 v[100:107], v[92:99], v[76:83], v[100:107]
	v_or_b32_e32 v84, 12, v68
	v_dual_mul_f32 v78, s19, v123 :: v_dual_mul_f32 v83, s19, v118
	v_dual_mul_f32 v92, s19, v117 :: v_dual_mul_f32 v93, s19, v116
	s_delay_alu instid0(VALU_DEP_4) | instskip(SKIP_2) | instid1(VALU_DEP_4)
	v_mul_f32_e32 v94, s19, v107
	v_cmp_gt_i32_e32 vcc_lo, s24, v70
	v_dual_mul_f32 v81, s19, v120 :: v_dual_mul_f32 v82, s19, v119
	v_cndmask_b32_e64 v93, 0xff7fffff, v93, s3
	v_or_b32_e32 v85, 14, v68
	v_cndmask_b32_e32 v92, 0xff7fffff, v92, vcc_lo
	v_dual_mul_f32 v79, s19, v122 :: v_dual_mul_f32 v80, s19, v121
	v_cndmask_b32_e64 v71, 0xff7fffff, v83, s4
	v_cndmask_b32_e64 v72, 0xff7fffff, v82, s5
	s_delay_alu instid0(VALU_DEP_4)
	v_max3_f32 v82, v93, 0xff7fffff, v92
	v_or_b32_e32 v86, 16, v68
	v_or_b32_e32 v87, 18, v68
	v_cndmask_b32_e64 v81, 0xff7fffff, v81, s6
	v_cndmask_b32_e64 v80, 0xff7fffff, v80, s7
	v_max3_f32 v71, v82, v71, v72
	v_cmp_gt_i32_e64 s8, s24, v84
	v_cmp_gt_i32_e64 s9, s24, v85
	v_or_b32_e32 v88, 20, v68
	v_or_b32_e32 v89, 22, v68
	;; [unrolled: 1-line block ×6, first 2 shown]
	v_dual_mul_f32 v99, s19, v102 :: v_dual_mul_f32 v70, s19, v101
	v_mul_f32_e32 v68, s19, v100
	v_cndmask_b32_e64 v72, 0xff7fffff, v79, s8
	v_cndmask_b32_e64 v78, 0xff7fffff, v78, s9
	v_max3_f32 v71, v71, v81, v80
	v_cmp_gt_i32_e64 s10, s24, v86
	v_cmp_gt_i32_e64 s11, s24, v87
	v_dual_mul_f32 v97, s19, v104 :: v_dual_mul_f32 v98, s19, v103
	s_delay_alu instid0(VALU_DEP_4) | instskip(SKIP_1) | instid1(VALU_DEP_4)
	v_max3_f32 v71, v71, v72, v78
	v_cmp_gt_i32_e64 s12, s24, v88
	v_cndmask_b32_e64 v70, 0xff7fffff, v70, s11
	v_cmp_gt_i32_e64 s13, s24, v89
	v_lshlrev_b32_e32 v89, 2, v69
	v_cndmask_b32_e64 v68, 0xff7fffff, v68, s10
	v_dual_mul_f32 v95, s19, v106 :: v_dual_mul_f32 v96, s19, v105
	v_cndmask_b32_e64 v72, 0xff7fffff, v99, s12
	v_cndmask_b32_e64 v78, 0xff7fffff, v98, s13
	s_delay_alu instid0(VALU_DEP_4)
	v_max3_f32 v68, v71, v68, v70
	v_cmp_gt_i32_e64 s15, s24, v90
	v_cmp_gt_i32_e64 s16, s24, v91
	;; [unrolled: 1-line block ×4, first 2 shown]
	v_max3_f32 v68, v68, v72, v78
	v_cndmask_b32_e64 v70, 0xff7fffff, v97, s15
	v_cndmask_b32_e64 v71, 0xff7fffff, v96, s16
	;; [unrolled: 1-line block ×4, first 2 shown]
	s_delay_alu instid0(VALU_DEP_3) | instskip(NEXT) | instid1(VALU_DEP_1)
	v_max3_f32 v68, v68, v70, v71
	v_max3_f32 v68, v68, v72, v76
	ds_bpermute_b32 v69, v89, v68
	s_waitcnt lgkmcnt(0)
	v_max_f32_e32 v69, v69, v69
	s_delay_alu instid0(VALU_DEP_1) | instskip(NEXT) | instid1(VALU_DEP_1)
	v_max_f32_e32 v68, v68, v69
	v_fma_f32 v71, s19, v118, -v68
	s_delay_alu instid0(VALU_DEP_1)
	v_mul_f32_e32 v71, 0x3fb8aa3b, v71
	v_fma_f32 v69, s19, v116, -v68
	v_fma_f32 v70, s19, v117, -v68
	v_fma_f32 v76, s19, v120, -v68
	v_fma_f32 v72, s19, v119, -v68
	v_exp_f32_e32 v71, v71
	s_delay_alu instid0(VALU_DEP_3) | instskip(SKIP_2) | instid1(VALU_DEP_3)
	v_dual_mul_f32 v69, 0x3fb8aa3b, v69 :: v_dual_mul_f32 v70, 0x3fb8aa3b, v70
	v_fma_f32 v78, s19, v122, -v68
	v_fma_f32 v81, s19, v105, -v68
	v_exp_f32_e32 v69, v69
	s_delay_alu instid0(VALU_DEP_3) | instskip(SKIP_1) | instid1(VALU_DEP_2)
	v_exp_f32_e32 v70, v70
	v_mul_f32_e32 v77, 0x3fb8aa3b, v76
	v_mul_f32_e32 v81, 0x3fb8aa3b, v81
	s_delay_alu instid0(TRANS32_DEP_3) | instskip(SKIP_1) | instid1(VALU_DEP_3)
	v_cndmask_b32_e64 v83, 0, v71, s4
	v_fma_f32 v71, s19, v123, -v68
	v_exp_f32_e32 v81, v81
	s_delay_alu instid0(TRANS32_DEP_3) | instskip(NEXT) | instid1(TRANS32_DEP_2)
	v_cndmask_b32_e64 v80, 0, v69, s3
	v_cndmask_b32_e32 v76, 0, v70, vcc_lo
	v_fma_f32 v69, s19, v121, -v68
	v_mul_f32_e32 v72, 0x3fb8aa3b, v72
	v_exp_f32_e32 v77, v77
	v_dual_add_f32 v70, 0, v80 :: v_dual_mul_f32 v71, 0x3fb8aa3b, v71
	s_delay_alu instid0(VALU_DEP_3) | instskip(NEXT) | instid1(VALU_DEP_3)
	v_mul_f32_e32 v69, 0x3fb8aa3b, v69
	v_exp_f32_e32 v72, v72
	v_cmp_gt_u32_e64 s3, 16, v67
	s_delay_alu instid0(VALU_DEP_3) | instskip(NEXT) | instid1(VALU_DEP_2)
	v_exp_f32_e32 v71, v71
	v_exp_f32_e32 v69, v69
	v_cndmask_b32_e64 v86, 0, v77, s6
	v_fma_f32 v77, s19, v101, -v68
	v_add_f32_e32 v70, v70, v76
	s_delay_alu instid0(TRANS32_DEP_3) | instskip(SKIP_1) | instid1(VALU_DEP_3)
	v_cndmask_b32_e64 v85, 0, v72, s5
	v_fma_f32 v72, s19, v100, -v68
	v_dual_mul_f32 v77, 0x3fb8aa3b, v77 :: v_dual_add_f32 v70, v70, v83
	s_delay_alu instid0(TRANS32_DEP_2) | instskip(SKIP_1) | instid1(TRANS32_DEP_1)
	v_cndmask_b32_e64 v88, 0, v71, s9
	v_fma_f32 v71, s19, v104, -v68
	v_cndmask_b32_e64 v87, 0, v69, s7
	s_delay_alu instid0(VALU_DEP_4) | instskip(NEXT) | instid1(VALU_DEP_2)
	v_exp_f32_e32 v77, v77
	v_dual_add_f32 v70, v70, v85 :: v_dual_mul_f32 v71, 0x3fb8aa3b, v71
	s_delay_alu instid0(VALU_DEP_1) | instskip(SKIP_2) | instid1(VALU_DEP_3)
	v_dual_mul_f32 v72, 0x3fb8aa3b, v72 :: v_dual_add_f32 v69, v70, v86
	v_mul_f32_e32 v78, 0x3fb8aa3b, v78
	v_fma_f32 v70, s19, v102, -v68
	v_exp_f32_e32 v72, v72
	v_exp_f32_e32 v82, v71
	v_add_f32_e32 v69, v69, v87
	v_exp_f32_e32 v78, v78
	v_mul_f32_e32 v70, 0x3fb8aa3b, v70
	s_delay_alu instid0(VALU_DEP_1) | instskip(SKIP_4) | instid1(VALU_DEP_2)
	v_exp_f32_e32 v79, v70
	v_cndmask_b32_e64 v70, 0, v72, s10
	s_waitcnt_depctr 0xfff
	v_cndmask_b32_e64 v84, 0, v78, s8
	v_fma_f32 v78, s19, v103, -v68
	v_add_f32_e32 v69, v69, v84
	v_cndmask_b32_e64 v71, 0, v79, s12
	s_delay_alu instid0(VALU_DEP_2) | instskip(SKIP_2) | instid1(VALU_DEP_1)
	v_add_f32_e32 v72, v69, v88
	v_cndmask_b32_e64 v69, 0, v77, s11
	v_fma_f32 v77, s19, v106, -v68
	v_dual_mul_f32 v77, 0x3fb8aa3b, v77 :: v_dual_add_f32 v72, v72, v70
	v_mul_f32_e32 v78, 0x3fb8aa3b, v78
	s_delay_alu instid0(VALU_DEP_2) | instskip(NEXT) | instid1(VALU_DEP_2)
	v_exp_f32_e32 v90, v77
	v_add_f32_e32 v79, v72, v69
	s_delay_alu instid0(VALU_DEP_2)
	v_exp_f32_e32 v78, v78
	v_cndmask_b32_e64 v77, 0, v82, s15
	s_waitcnt_depctr 0xfff
	v_cndmask_b32_e64 v72, 0, v78, s13
	v_add_f32_e32 v78, v79, v71
	v_fma_f32 v79, s19, v107, -v68
	s_delay_alu instid0(VALU_DEP_1) | instskip(SKIP_1) | instid1(VALU_DEP_2)
	v_dual_add_f32 v82, v78, v72 :: v_dual_mul_f32 v79, 0x3fb8aa3b, v79
	v_cndmask_b32_e64 v78, 0, v81, s16
	v_add_f32_e32 v81, v82, v77
	s_delay_alu instid0(VALU_DEP_3) | instskip(SKIP_1) | instid1(VALU_DEP_2)
	v_exp_f32_e32 v82, v79
	v_cndmask_b32_e64 v79, 0, v90, s17
	v_add_f32_e32 v81, v81, v78
	s_delay_alu instid0(VALU_DEP_1) | instskip(SKIP_2) | instid1(VALU_DEP_1)
	v_add_f32_e32 v90, v81, v79
	s_waitcnt_depctr 0xfff
	v_cndmask_b32_e64 v81, 0, v82, s18
	v_add_f32_e32 v82, v90, v81
	ds_bpermute_b32 v89, v89, v82
	s_and_saveexec_b32 s4, s3
	s_cbranch_execz .LBB1776_12
; %bb.11:
	v_mul_u32_u24_e32 v67, 0x44, v66
	s_delay_alu instid0(VALU_DEP_1) | instskip(SKIP_1) | instid1(VALU_DEP_1)
	v_lshl_add_u32 v67, v65, 2, v67
	s_waitcnt lgkmcnt(0)
	v_dual_add_f32 v82, v82, v89 :: v_dual_add_nc_u32 v67, 0x4000, v67
	ds_store_2addr_b32 v67, v68, v82 offset1:136
.LBB1776_12:
	s_or_b32 exec_lo, exec_lo, s4
	v_lshlrev_b32_e32 v67, 2, v65
	s_waitcnt lgkmcnt(0)
	s_barrier
	buffer_gl0_inv
	v_cmp_eq_u32_e32 vcc_lo, 1, v66
	v_add_nc_u32_e32 v82, 0x4000, v67
	v_cmp_eq_u32_e64 s4, 2, v66
	v_cmp_eq_u32_e64 s6, 7, v66
	ds_load_2addr_b32 v[89:90], v82 offset1:17
	ds_load_2addr_b32 v[91:92], v82 offset0:34 offset1:51
	ds_load_2addr_b32 v[93:94], v82 offset0:68 offset1:85
	;; [unrolled: 1-line block ×4, first 2 shown]
	s_waitcnt lgkmcnt(4)
	v_max3_f32 v67, v89, 0xff7fffff, v90
	s_waitcnt lgkmcnt(3)
	s_delay_alu instid0(VALU_DEP_1) | instskip(SKIP_1) | instid1(VALU_DEP_1)
	v_max3_f32 v67, v67, v91, v92
	s_waitcnt lgkmcnt(2)
	v_max3_f32 v67, v67, v93, v94
	s_waitcnt lgkmcnt(1)
	s_delay_alu instid0(VALU_DEP_1) | instskip(NEXT) | instid1(VALU_DEP_1)
	v_max3_f32 v67, v67, v95, v96
	v_sub_f32_e32 v93, v93, v67
	s_delay_alu instid0(VALU_DEP_1) | instskip(NEXT) | instid1(VALU_DEP_1)
	v_dual_sub_f32 v68, v89, v67 :: v_dual_mul_f32 v103, 0x3fb8aa3b, v93
	v_mul_f32_e32 v68, 0x3fb8aa3b, v68
	s_delay_alu instid0(VALU_DEP_1)
	v_exp_f32_e32 v100, v68
	v_sub_f32_e32 v68, v92, v67
	v_sub_f32_e32 v99, v90, v67
	ds_load_2addr_b32 v[89:90], v82 offset0:170 offset1:187
	v_dual_mul_f32 v102, 0x3fb8aa3b, v68 :: v_dual_mul_f32 v99, 0x3fb8aa3b, v99
	s_waitcnt lgkmcnt(1)
	v_fma_f32 v68, v100, v97, 0
	s_delay_alu instid0(VALU_DEP_2) | instskip(NEXT) | instid1(VALU_DEP_2)
	v_exp_f32_e32 v102, v102
	v_exp_f32_e32 v99, v99
	s_waitcnt_depctr 0xfff
	v_fmac_f32_e32 v68, v99, v98
	v_sub_f32_e32 v91, v91, v67
	s_delay_alu instid0(VALU_DEP_1)
	v_mul_f32_e32 v101, 0x3fb8aa3b, v91
	ds_load_2addr_b32 v[91:92], v82 offset0:204 offset1:221
	v_sub_f32_e32 v97, v94, v67
	ds_load_2addr_b32 v[93:94], v82 offset0:238 offset1:255
	s_waitcnt lgkmcnt(0)
	v_exp_f32_e32 v101, v101
	s_barrier
	buffer_gl0_inv
	v_dual_fmac_f32 v68, v101, v89 :: v_dual_sub_f32 v89, v96, v67
	v_dual_sub_f32 v82, v95, v67 :: v_dual_mul_f32 v95, 0x3fb8aa3b, v97
	v_exp_f32_e32 v97, v103
	s_delay_alu instid0(VALU_DEP_2) | instskip(NEXT) | instid1(VALU_DEP_2)
	v_dual_fmac_f32 v68, v102, v90 :: v_dual_mul_f32 v89, 0x3fb8aa3b, v89
	v_mul_f32_e32 v82, 0x3fb8aa3b, v82
	s_delay_alu instid0(VALU_DEP_3) | instskip(NEXT) | instid1(VALU_DEP_2)
	v_exp_f32_e32 v95, v95
	v_exp_f32_e32 v89, v89
	s_delay_alu instid0(VALU_DEP_1)
	v_exp_f32_e32 v82, v82
	v_fmac_f32_e32 v68, v97, v91
	s_delay_alu instid0(TRANS32_DEP_3) | instid1(VALU_DEP_1)
	v_fmac_f32_e32 v68, v95, v92
	s_waitcnt_depctr 0xfff
	v_fmac_f32_e32 v68, v82, v93
	s_delay_alu instid0(VALU_DEP_1) | instskip(NEXT) | instid1(VALU_DEP_1)
	v_fmac_f32_e32 v68, v89, v94
	v_add_f32_e32 v90, 0x358637bd, v68
	s_delay_alu instid0(VALU_DEP_1) | instskip(NEXT) | instid1(VALU_DEP_1)
	v_div_scale_f32 v91, null, v90, v90, 1.0
	v_rcp_f32_e32 v92, v91
	s_waitcnt_depctr 0xfff
	v_fma_f32 v93, -v91, v92, 1.0
	s_delay_alu instid0(VALU_DEP_1) | instskip(SKIP_1) | instid1(VALU_DEP_2)
	v_dual_fmac_f32 v92, v93, v92 :: v_dual_cndmask_b32 v93, v100, v99
	v_cmp_eq_u32_e32 vcc_lo, 3, v66
	v_cndmask_b32_e64 v93, v93, v101, s4
	v_cmp_eq_u32_e64 s4, 4, v66
	s_delay_alu instid0(VALU_DEP_2) | instskip(SKIP_1) | instid1(VALU_DEP_2)
	v_cndmask_b32_e32 v93, v93, v102, vcc_lo
	v_cmp_eq_u32_e32 vcc_lo, 5, v66
	v_cndmask_b32_e64 v93, v93, v97, s4
	v_cmp_eq_u32_e64 s4, 6, v66
	s_delay_alu instid0(VALU_DEP_2) | instskip(SKIP_1) | instid1(VALU_DEP_1)
	v_cndmask_b32_e32 v93, v93, v95, vcc_lo
	v_div_scale_f32 v94, s5, 1.0, v90, 1.0
	s_mov_b32 vcc_lo, s5
	s_delay_alu instid0(VALU_DEP_2) | instskip(NEXT) | instid1(VALU_DEP_2)
	v_cndmask_b32_e64 v82, v93, v82, s4
	v_mul_f32_e32 v96, v94, v92
	s_mov_b32 s4, exec_lo
	s_delay_alu instid0(VALU_DEP_2) | instskip(NEXT) | instid1(VALU_DEP_2)
	v_cndmask_b32_e64 v82, v82, v89, s6
	v_fma_f32 v98, -v91, v96, v94
	s_delay_alu instid0(VALU_DEP_1) | instskip(NEXT) | instid1(VALU_DEP_1)
	v_fmac_f32_e32 v96, v98, v92
	v_fma_f32 v91, -v91, v96, v94
	s_delay_alu instid0(VALU_DEP_1) | instskip(NEXT) | instid1(VALU_DEP_1)
	v_div_fmas_f32 v91, v91, v92, v96
	v_div_fixup_f32 v90, v91, v90, 1.0
	s_delay_alu instid0(VALU_DEP_1) | instskip(NEXT) | instid1(VALU_DEP_1)
	v_mul_f32_e32 v82, v82, v90
	v_mul_f32_e32 v87, v82, v87
	;; [unrolled: 1-line block ×7, first 2 shown]
	v_dual_mul_f32 v86, v82, v83 :: v_dual_and_b32 v91, 0x7f800000, v90
	v_mul_f32_e32 v85, v82, v76
                                        ; implicit-def: $vgpr76
	s_delay_alu instid0(VALU_DEP_2)
	v_cmpx_ne_u32_e32 0x7f800000, v91
	s_xor_b32 s4, exec_lo, s4
; %bb.13:
	v_bfe_u32 v76, v90, 16, 1
	s_delay_alu instid0(VALU_DEP_1)
	v_add3_u32 v76, v90, v76, 0x7fff
                                        ; implicit-def: $vgpr90
; %bb.14:
	s_and_not1_saveexec_b32 s4, s4
; %bb.15:
	v_and_b32_e32 v76, 0xffff, v90
	v_or_b32_e32 v83, 0x10000, v90
	s_delay_alu instid0(VALU_DEP_2) | instskip(NEXT) | instid1(VALU_DEP_2)
	v_cmp_eq_u32_e32 vcc_lo, 0, v76
	v_cndmask_b32_e32 v76, v83, v90, vcc_lo
; %bb.16:
	s_or_b32 exec_lo, exec_lo, s4
	v_and_b32_e32 v83, 0x7f800000, v85
	s_delay_alu instid0(VALU_DEP_1) | instskip(SKIP_1) | instid1(SALU_CYCLE_1)
	v_cmp_ne_u32_e32 vcc_lo, 0x7f800000, v83
                                        ; implicit-def: $vgpr83
	s_and_saveexec_b32 s4, vcc_lo
	s_xor_b32 s4, exec_lo, s4
; %bb.17:
	v_bfe_u32 v83, v85, 16, 1
	s_delay_alu instid0(VALU_DEP_1)
	v_add3_u32 v83, v85, v83, 0x7fff
                                        ; implicit-def: $vgpr85
; %bb.18:
	s_and_not1_saveexec_b32 s4, s4
; %bb.19:
	v_and_b32_e32 v83, 0xffff, v85
	v_or_b32_e32 v90, 0x10000, v85
	s_delay_alu instid0(VALU_DEP_2) | instskip(NEXT) | instid1(VALU_DEP_2)
	v_cmp_eq_u32_e32 vcc_lo, 0, v83
	v_cndmask_b32_e32 v83, v90, v85, vcc_lo
; %bb.20:
	s_or_b32 exec_lo, exec_lo, s4
	v_and_b32_e32 v85, 0x7f800000, v86
	s_delay_alu instid0(VALU_DEP_1) | instskip(SKIP_1) | instid1(SALU_CYCLE_1)
	v_cmp_ne_u32_e32 vcc_lo, 0x7f800000, v85
                                        ; implicit-def: $vgpr85
	s_and_saveexec_b32 s4, vcc_lo
	s_xor_b32 s4, exec_lo, s4
; %bb.21:
	v_bfe_u32 v85, v86, 16, 1
	s_delay_alu instid0(VALU_DEP_1)
	v_add3_u32 v85, v86, v85, 0x7fff
                                        ; implicit-def: $vgpr86
; %bb.22:
	s_and_not1_saveexec_b32 s4, s4
; %bb.23:
	v_and_b32_e32 v85, 0xffff, v86
	v_or_b32_e32 v90, 0x10000, v86
	s_delay_alu instid0(VALU_DEP_2) | instskip(NEXT) | instid1(VALU_DEP_2)
	v_cmp_eq_u32_e32 vcc_lo, 0, v85
	v_cndmask_b32_e32 v85, v90, v86, vcc_lo
; %bb.24:
	s_or_b32 exec_lo, exec_lo, s4
	v_and_b32_e32 v86, 0x7f800000, v89
	s_delay_alu instid0(VALU_DEP_1) | instskip(SKIP_1) | instid1(SALU_CYCLE_1)
	v_cmp_ne_u32_e32 vcc_lo, 0x7f800000, v86
                                        ; implicit-def: $vgpr86
	s_and_saveexec_b32 s4, vcc_lo
	s_xor_b32 s4, exec_lo, s4
; %bb.25:
	v_bfe_u32 v86, v89, 16, 1
	s_delay_alu instid0(VALU_DEP_1)
	v_add3_u32 v86, v89, v86, 0x7fff
                                        ; implicit-def: $vgpr89
; %bb.26:
	s_and_not1_saveexec_b32 s4, s4
; %bb.27:
	v_and_b32_e32 v86, 0xffff, v89
	v_or_b32_e32 v90, 0x10000, v89
	s_delay_alu instid0(VALU_DEP_2) | instskip(NEXT) | instid1(VALU_DEP_2)
	v_cmp_eq_u32_e32 vcc_lo, 0, v86
	v_cndmask_b32_e32 v86, v90, v89, vcc_lo
; %bb.28:
	s_or_b32 exec_lo, exec_lo, s4
	v_and_b32_e32 v89, 0x7f800000, v88
	s_delay_alu instid0(VALU_DEP_1) | instskip(SKIP_1) | instid1(SALU_CYCLE_1)
	v_cmp_ne_u32_e32 vcc_lo, 0x7f800000, v89
                                        ; implicit-def: $vgpr89
	s_and_saveexec_b32 s4, vcc_lo
	s_xor_b32 s4, exec_lo, s4
; %bb.29:
	v_bfe_u32 v89, v88, 16, 1
	s_delay_alu instid0(VALU_DEP_1)
	v_add3_u32 v89, v88, v89, 0x7fff
                                        ; implicit-def: $vgpr88
; %bb.30:
	s_and_not1_saveexec_b32 s4, s4
; %bb.31:
	v_and_b32_e32 v89, 0xffff, v88
	v_or_b32_e32 v90, 0x10000, v88
	s_delay_alu instid0(VALU_DEP_2) | instskip(NEXT) | instid1(VALU_DEP_2)
	v_cmp_eq_u32_e32 vcc_lo, 0, v89
	v_cndmask_b32_e32 v89, v90, v88, vcc_lo
; %bb.32:
	s_or_b32 exec_lo, exec_lo, s4
	v_and_b32_e32 v88, 0x7f800000, v87
	s_delay_alu instid0(VALU_DEP_1) | instskip(SKIP_1) | instid1(SALU_CYCLE_1)
	v_cmp_ne_u32_e32 vcc_lo, 0x7f800000, v88
                                        ; implicit-def: $vgpr88
	s_and_saveexec_b32 s4, vcc_lo
	s_xor_b32 s4, exec_lo, s4
; %bb.33:
	v_bfe_u32 v88, v87, 16, 1
	s_delay_alu instid0(VALU_DEP_1)
	v_add3_u32 v88, v87, v88, 0x7fff
                                        ; implicit-def: $vgpr87
; %bb.34:
	s_and_not1_saveexec_b32 s4, s4
; %bb.35:
	v_and_b32_e32 v88, 0xffff, v87
	v_or_b32_e32 v90, 0x10000, v87
	s_delay_alu instid0(VALU_DEP_2) | instskip(NEXT) | instid1(VALU_DEP_2)
	v_cmp_eq_u32_e32 vcc_lo, 0, v88
	v_cndmask_b32_e32 v88, v90, v87, vcc_lo
; %bb.36:
	s_or_b32 exec_lo, exec_lo, s4
	v_and_b32_e32 v87, 0x7f800000, v84
	s_delay_alu instid0(VALU_DEP_1) | instskip(SKIP_1) | instid1(SALU_CYCLE_1)
	v_cmp_ne_u32_e32 vcc_lo, 0x7f800000, v87
                                        ; implicit-def: $vgpr87
	s_and_saveexec_b32 s4, vcc_lo
	s_xor_b32 s4, exec_lo, s4
; %bb.37:
	v_bfe_u32 v87, v84, 16, 1
	s_delay_alu instid0(VALU_DEP_1)
	v_add3_u32 v87, v84, v87, 0x7fff
                                        ; implicit-def: $vgpr84
; %bb.38:
	s_and_not1_saveexec_b32 s4, s4
; %bb.39:
	v_and_b32_e32 v87, 0xffff, v84
	v_or_b32_e32 v90, 0x10000, v84
	s_delay_alu instid0(VALU_DEP_2) | instskip(NEXT) | instid1(VALU_DEP_2)
	v_cmp_eq_u32_e32 vcc_lo, 0, v87
	v_cndmask_b32_e32 v87, v90, v84, vcc_lo
; %bb.40:
	s_or_b32 exec_lo, exec_lo, s4
	v_and_b32_e32 v84, 0x7f800000, v80
	s_delay_alu instid0(VALU_DEP_1) | instskip(SKIP_1) | instid1(SALU_CYCLE_1)
	v_cmp_ne_u32_e32 vcc_lo, 0x7f800000, v84
                                        ; implicit-def: $vgpr84
	s_and_saveexec_b32 s4, vcc_lo
	s_xor_b32 s4, exec_lo, s4
; %bb.41:
	v_bfe_u32 v84, v80, 16, 1
	s_delay_alu instid0(VALU_DEP_1)
	v_add3_u32 v84, v80, v84, 0x7fff
                                        ; implicit-def: $vgpr80
; %bb.42:
	s_and_not1_saveexec_b32 s4, s4
; %bb.43:
	v_and_b32_e32 v84, 0xffff, v80
	v_or_b32_e32 v90, 0x10000, v80
	s_delay_alu instid0(VALU_DEP_2) | instskip(NEXT) | instid1(VALU_DEP_2)
	v_cmp_eq_u32_e32 vcc_lo, 0, v84
	v_cndmask_b32_e32 v84, v90, v80, vcc_lo
; %bb.44:
	s_or_b32 exec_lo, exec_lo, s4
	s_load_b64 s[36:37], s[0:1], 0x94
	v_lshlrev_b32_e32 v91, 4, v74
	s_delay_alu instid0(VALU_DEP_2)
	v_perm_b32 v90, v84, v87, 0x7060302
	v_dual_mul_f32 v79, v82, v79 :: v_dual_lshlrev_b32 v80, 6, v65
	v_dual_mul_f32 v77, v82, v77 :: v_dual_lshlrev_b32 v92, 11, v66
	v_mul_f32_e32 v84, v82, v70
	v_perm_b32 v89, v88, v89, 0x7060302
	v_perm_b32 v88, v86, v85, 0x7060302
	;; [unrolled: 1-line block ×3, first 2 shown]
	v_mul_f32_e32 v70, v82, v81
	v_or3_b32 v76, v91, v92, v80
	v_dual_mul_f32 v78, v82, v78 :: v_dual_and_b32 v85, 0x7f800000, v84
	v_mul_f32_e32 v83, v82, v72
	v_mul_f32_e32 v81, v82, v71
	;; [unrolled: 1-line block ×3, first 2 shown]
	s_mov_b32 s4, exec_lo
	ds_store_b128 v76, v[87:90]
                                        ; implicit-def: $vgpr69
	v_cmpx_ne_u32_e32 0x7f800000, v85
	s_xor_b32 s4, exec_lo, s4
; %bb.45:
	v_bfe_u32 v69, v84, 16, 1
	s_delay_alu instid0(VALU_DEP_1)
	v_add3_u32 v69, v84, v69, 0x7fff
                                        ; implicit-def: $vgpr84
; %bb.46:
	s_and_not1_saveexec_b32 s4, s4
; %bb.47:
	v_and_b32_e32 v69, 0xffff, v84
	v_or_b32_e32 v71, 0x10000, v84
	s_delay_alu instid0(VALU_DEP_2) | instskip(NEXT) | instid1(VALU_DEP_2)
	v_cmp_eq_u32_e32 vcc_lo, 0, v69
	v_cndmask_b32_e32 v69, v71, v84, vcc_lo
; %bb.48:
	s_or_b32 exec_lo, exec_lo, s4
	v_and_b32_e32 v71, 0x7f800000, v72
	s_delay_alu instid0(VALU_DEP_1) | instskip(SKIP_1) | instid1(SALU_CYCLE_1)
	v_cmp_ne_u32_e32 vcc_lo, 0x7f800000, v71
                                        ; implicit-def: $vgpr71
	s_and_saveexec_b32 s4, vcc_lo
	s_xor_b32 s4, exec_lo, s4
; %bb.49:
	v_bfe_u32 v71, v72, 16, 1
	s_delay_alu instid0(VALU_DEP_1)
	v_add3_u32 v71, v72, v71, 0x7fff
                                        ; implicit-def: $vgpr72
; %bb.50:
	s_and_not1_saveexec_b32 s4, s4
; %bb.51:
	v_and_b32_e32 v71, 0xffff, v72
	v_or_b32_e32 v82, 0x10000, v72
	s_delay_alu instid0(VALU_DEP_2) | instskip(NEXT) | instid1(VALU_DEP_2)
	v_cmp_eq_u32_e32 vcc_lo, 0, v71
	v_cndmask_b32_e32 v71, v82, v72, vcc_lo
; %bb.52:
	s_or_b32 exec_lo, exec_lo, s4
	v_and_b32_e32 v72, 0x7f800000, v81
	s_delay_alu instid0(VALU_DEP_1) | instskip(SKIP_1) | instid1(SALU_CYCLE_1)
	v_cmp_ne_u32_e32 vcc_lo, 0x7f800000, v72
                                        ; implicit-def: $vgpr72
	s_and_saveexec_b32 s4, vcc_lo
	s_xor_b32 s4, exec_lo, s4
; %bb.53:
	v_bfe_u32 v72, v81, 16, 1
	s_delay_alu instid0(VALU_DEP_1)
	v_add3_u32 v72, v81, v72, 0x7fff
                                        ; implicit-def: $vgpr81
; %bb.54:
	s_and_not1_saveexec_b32 s4, s4
; %bb.55:
	v_and_b32_e32 v72, 0xffff, v81
	v_or_b32_e32 v82, 0x10000, v81
	s_delay_alu instid0(VALU_DEP_2) | instskip(NEXT) | instid1(VALU_DEP_2)
	v_cmp_eq_u32_e32 vcc_lo, 0, v72
	v_cndmask_b32_e32 v72, v82, v81, vcc_lo
; %bb.56:
	s_or_b32 exec_lo, exec_lo, s4
	v_and_b32_e32 v81, 0x7f800000, v83
	s_delay_alu instid0(VALU_DEP_1) | instskip(SKIP_1) | instid1(SALU_CYCLE_1)
	v_cmp_ne_u32_e32 vcc_lo, 0x7f800000, v81
                                        ; implicit-def: $vgpr81
	s_and_saveexec_b32 s4, vcc_lo
	s_xor_b32 s4, exec_lo, s4
; %bb.57:
	v_bfe_u32 v81, v83, 16, 1
	s_delay_alu instid0(VALU_DEP_1)
	v_add3_u32 v81, v83, v81, 0x7fff
                                        ; implicit-def: $vgpr83
; %bb.58:
	s_and_not1_saveexec_b32 s4, s4
; %bb.59:
	v_and_b32_e32 v81, 0xffff, v83
	v_or_b32_e32 v82, 0x10000, v83
	s_delay_alu instid0(VALU_DEP_2) | instskip(NEXT) | instid1(VALU_DEP_2)
	v_cmp_eq_u32_e32 vcc_lo, 0, v81
	v_cndmask_b32_e32 v81, v82, v83, vcc_lo
; %bb.60:
	s_or_b32 exec_lo, exec_lo, s4
	v_and_b32_e32 v82, 0x7f800000, v77
	s_delay_alu instid0(VALU_DEP_1) | instskip(SKIP_1) | instid1(SALU_CYCLE_1)
	v_cmp_ne_u32_e32 vcc_lo, 0x7f800000, v82
                                        ; implicit-def: $vgpr82
	s_and_saveexec_b32 s4, vcc_lo
	s_xor_b32 s4, exec_lo, s4
; %bb.61:
	v_bfe_u32 v82, v77, 16, 1
	s_delay_alu instid0(VALU_DEP_1)
	v_add3_u32 v82, v77, v82, 0x7fff
                                        ; implicit-def: $vgpr77
; %bb.62:
	s_and_not1_saveexec_b32 s4, s4
; %bb.63:
	v_and_b32_e32 v82, 0xffff, v77
	v_or_b32_e32 v83, 0x10000, v77
	s_delay_alu instid0(VALU_DEP_2) | instskip(NEXT) | instid1(VALU_DEP_2)
	v_cmp_eq_u32_e32 vcc_lo, 0, v82
	v_cndmask_b32_e32 v82, v83, v77, vcc_lo
; %bb.64:
	s_or_b32 exec_lo, exec_lo, s4
	v_and_b32_e32 v77, 0x7f800000, v78
	s_delay_alu instid0(VALU_DEP_1) | instskip(SKIP_1) | instid1(SALU_CYCLE_1)
	v_cmp_ne_u32_e32 vcc_lo, 0x7f800000, v77
                                        ; implicit-def: $vgpr77
	s_and_saveexec_b32 s4, vcc_lo
	s_xor_b32 s4, exec_lo, s4
; %bb.65:
	v_bfe_u32 v77, v78, 16, 1
	s_delay_alu instid0(VALU_DEP_1)
	v_add3_u32 v77, v78, v77, 0x7fff
                                        ; implicit-def: $vgpr78
; %bb.66:
	s_and_not1_saveexec_b32 s4, s4
; %bb.67:
	v_and_b32_e32 v77, 0xffff, v78
	v_or_b32_e32 v83, 0x10000, v78
	s_delay_alu instid0(VALU_DEP_2) | instskip(NEXT) | instid1(VALU_DEP_2)
	v_cmp_eq_u32_e32 vcc_lo, 0, v77
	v_cndmask_b32_e32 v77, v83, v78, vcc_lo
; %bb.68:
	s_or_b32 exec_lo, exec_lo, s4
	v_and_b32_e32 v78, 0x7f800000, v79
	s_delay_alu instid0(VALU_DEP_1) | instskip(SKIP_1) | instid1(SALU_CYCLE_1)
	v_cmp_ne_u32_e32 vcc_lo, 0x7f800000, v78
                                        ; implicit-def: $vgpr78
	s_and_saveexec_b32 s4, vcc_lo
	s_xor_b32 s4, exec_lo, s4
; %bb.69:
	v_bfe_u32 v78, v79, 16, 1
	s_delay_alu instid0(VALU_DEP_1)
	v_add3_u32 v78, v79, v78, 0x7fff
                                        ; implicit-def: $vgpr79
; %bb.70:
	s_and_not1_saveexec_b32 s4, s4
; %bb.71:
	v_and_b32_e32 v78, 0xffff, v79
	v_or_b32_e32 v83, 0x10000, v79
	s_delay_alu instid0(VALU_DEP_2) | instskip(NEXT) | instid1(VALU_DEP_2)
	v_cmp_eq_u32_e32 vcc_lo, 0, v78
	v_cndmask_b32_e32 v78, v83, v79, vcc_lo
; %bb.72:
	s_or_b32 exec_lo, exec_lo, s4
	v_and_b32_e32 v79, 0x7f800000, v70
	s_delay_alu instid0(VALU_DEP_1) | instskip(SKIP_1) | instid1(SALU_CYCLE_1)
	v_cmp_ne_u32_e32 vcc_lo, 0x7f800000, v79
                                        ; implicit-def: $vgpr79
	s_and_saveexec_b32 s4, vcc_lo
	s_xor_b32 s4, exec_lo, s4
; %bb.73:
	v_bfe_u32 v79, v70, 16, 1
	s_delay_alu instid0(VALU_DEP_1)
	v_add3_u32 v79, v70, v79, 0x7fff
                                        ; implicit-def: $vgpr70
; %bb.74:
	s_and_not1_saveexec_b32 s4, s4
; %bb.75:
	v_and_b32_e32 v79, 0xffff, v70
	v_or_b32_e32 v83, 0x10000, v70
	s_delay_alu instid0(VALU_DEP_2) | instskip(NEXT) | instid1(VALU_DEP_2)
	v_cmp_eq_u32_e32 vcc_lo, 0, v79
	v_cndmask_b32_e32 v79, v83, v70, vcc_lo
; %bb.76:
	s_or_b32 exec_lo, exec_lo, s4
	s_delay_alu instid0(VALU_DEP_1)
	v_perm_b32 v86, v79, v78, 0x7060302
	v_perm_b32 v85, v77, v82, 0x7060302
	;; [unrolled: 1-line block ×4, first 2 shown]
	v_lshl_or_b32 v82, v66, 11, v80
	ds_store_b128 v76, v[83:86] offset:1024
	s_waitcnt lgkmcnt(0)
	s_barrier
	buffer_gl0_inv
	ds_load_b128 v[69:72], v82
	ds_load_b128 v[83:86], v82 offset:16
	s_waitcnt lgkmcnt(1)
	v_lshrrev_b32_e32 v66, 16, v69
	s_waitcnt lgkmcnt(0)
	v_lshrrev_b32_e32 v91, 16, v83
	v_lshlrev_b32_e32 v78, 2, v74
	v_lshrrev_b32_e32 v95, 16, v70
	v_lshrrev_b32_e32 v98, 16, v84
	;; [unrolled: 1-line block ×4, first 2 shown]
	v_cmp_eq_u32_e32 vcc_lo, 1, v78
	v_lshrrev_b32_e32 v97, 16, v72
	v_lshrrev_b32_e32 v100, 16, v86
	v_cndmask_b32_e32 v87, v83, v91, vcc_lo
	v_or_b32_e32 v79, 1, v78
	v_cndmask_b32_e32 v81, v69, v66, vcc_lo
	v_cmp_eq_u32_e64 s5, 2, v78
	v_cmp_eq_u32_e64 s8, 3, v78
	;; [unrolled: 1-line block ×5, first 2 shown]
	v_cndmask_b32_e64 v81, v81, v70, s5
	v_cndmask_b32_e64 v87, v87, v84, s5
	v_cmp_eq_u32_e64 s9, 3, v79
	v_cndmask_b32_e64 v88, v69, v66, s4
	v_or_b32_e32 v77, 2, v78
	v_cndmask_b32_e64 v81, v81, v95, s8
	v_cndmask_b32_e64 v87, v87, v98, s8
	;; [unrolled: 1-line block ×4, first 2 shown]
	v_cmp_eq_u32_e64 s11, 5, v78
	v_cndmask_b32_e64 v81, v81, v71, s10
	v_cndmask_b32_e64 v87, v87, v85, s10
	v_cmp_eq_u32_e64 s12, 4, v79
	v_cndmask_b32_e64 v88, v88, v95, s9
	v_cmp_eq_u32_e64 s6, 1, v77
	v_cndmask_b32_e64 v89, v89, v84, s7
	v_cndmask_b32_e64 v81, v81, v96, s11
	v_cmp_eq_u32_e64 s13, 6, v78
	v_cndmask_b32_e64 v88, v88, v71, s12
	;; [unrolled: 3-line block ×3, first 2 shown]
	v_cndmask_b32_e64 v89, v89, v98, s9
	v_cndmask_b32_e64 v81, v81, v72, s13
	v_cmp_eq_u32_e64 s16, 7, v78
	v_cndmask_b32_e64 v88, v88, v96, s15
	v_cndmask_b32_e64 v87, v87, v86, s13
	v_cmp_eq_u32_e64 s17, 6, v79
	v_cmp_eq_u32_e64 s18, 2, v77
	v_cndmask_b32_e64 v89, v89, v85, s12
	v_cndmask_b32_e64 v101, v81, v97, s16
	;; [unrolled: 1-line block ×6, first 2 shown]
	v_cmp_eq_u32_e64 s19, 7, v79
	v_cmp_eq_u32_e64 s20, 3, v77
	;; [unrolled: 1-line block ×4, first 2 shown]
	v_cndmask_b32_e64 v87, v87, v84, s18
	v_cndmask_b32_e64 v103, v88, v97, s19
	;; [unrolled: 1-line block ×4, first 2 shown]
	v_or_b32_e32 v81, 3, v78
	v_cndmask_b32_e64 v93, v87, v98, s20
	v_cmp_eq_u32_e64 s25, 6, v77
	v_cndmask_b32_e64 v104, v88, v86, s17
	v_cndmask_b32_e64 v92, v89, v71, s21
	v_cmp_eq_u32_e64 s22, 1, v81
	ds_load_b128 v[87:90], v82 offset:1024
	v_cmp_eq_u32_e64 s24, 2, v81
	v_cmp_eq_u32_e64 s26, 3, v81
	v_cndmask_b32_e64 v105, v92, v96, s23
	v_cndmask_b32_e64 v66, v69, v66, s22
	v_cndmask_b32_e64 v69, v93, v85, s21
	v_cndmask_b32_e64 v83, v83, v91, s22
	ds_load_b128 v[91:94], v82 offset:1040
	v_cmp_eq_u32_e64 s27, 4, v81
	v_cndmask_b32_e64 v66, v66, v70, s24
	v_cmp_eq_u32_e64 s28, 7, v77
	v_cndmask_b32_e64 v70, v83, v84, s24
	v_cndmask_b32_e64 v84, v105, v72, s25
	v_cmp_eq_u32_e64 s29, 5, v81
	v_cndmask_b32_e64 v66, v66, v95, s26
	v_cmp_eq_u32_e64 s30, 6, v81
	v_cndmask_b32_e64 v70, v70, v98, s26
	v_cndmask_b32_e64 v69, v69, v99, s23
	;; [unrolled: 1-line block ×4, first 2 shown]
	s_waitcnt lgkmcnt(1)
	v_lshrrev_b32_e32 v95, 16, v87
	v_cndmask_b32_e64 v70, v70, v85, s27
	v_cndmask_b32_e64 v71, v84, v97, s28
	;; [unrolled: 1-line block ×4, first 2 shown]
	v_cndmask_b32_e32 v84, v87, v95, vcc_lo
	v_cndmask_b32_e64 v70, v70, v99, s29
	s_waitcnt lgkmcnt(0)
	v_lshrrev_b32_e32 v85, 16, v91
	v_lshrrev_b32_e32 v96, 16, v88
	v_cndmask_b32_e64 v98, v87, v95, s4
	v_cndmask_b32_e64 v84, v84, v88, s5
	;; [unrolled: 1-line block ×3, first 2 shown]
	v_cndmask_b32_e32 v99, v91, v85, vcc_lo
	v_cmp_eq_u32_e32 vcc_lo, 7, v81
	v_cndmask_b32_e64 v66, v66, v72, s30
	v_cndmask_b32_e64 v72, v84, v96, s8
	;; [unrolled: 1-line block ×3, first 2 shown]
	v_lshrrev_b32_e32 v98, 16, v92
	v_cndmask_b32_e32 v70, v70, v100, vcc_lo
	v_cndmask_b32_e64 v86, v99, v92, s5
	v_cndmask_b32_e64 v69, v69, v100, s28
	v_lshrrev_b32_e32 v100, 16, v93
	v_cndmask_b32_e64 v72, v72, v89, s10
	v_lshrrev_b32_e32 v99, 16, v89
	v_cndmask_b32_e64 v86, v86, v98, s8
	v_perm_b32 v71, v69, v71, 0x5040100
	v_cndmask_b32_e64 v84, v84, v96, s9
	s_delay_alu instid0(VALU_DEP_3) | instskip(NEXT) | instid1(VALU_DEP_2)
	v_cndmask_b32_e64 v86, v86, v93, s10
	v_cndmask_b32_e64 v84, v84, v89, s12
	s_delay_alu instid0(VALU_DEP_2) | instskip(NEXT) | instid1(VALU_DEP_1)
	v_cndmask_b32_e64 v86, v86, v100, s11
	v_cndmask_b32_e64 v69, v86, v94, s13
	;; [unrolled: 1-line block ×5, first 2 shown]
	s_delay_alu instid0(VALU_DEP_3) | instskip(NEXT) | instid1(VALU_DEP_3)
	v_cndmask_b32_e64 v86, v86, v88, s18
	v_cndmask_b32_e64 v87, v87, v88, s24
	s_delay_alu instid0(VALU_DEP_3) | instskip(NEXT) | instid1(VALU_DEP_3)
	v_cndmask_b32_e64 v88, v95, v92, s24
	v_cndmask_b32_e64 v86, v86, v96, s20
	;; [unrolled: 3-line block ×7, first 2 shown]
	s_delay_alu instid0(VALU_DEP_3) | instskip(SKIP_2) | instid1(VALU_DEP_2)
	v_cndmask_b32_e64 v88, v88, v94, s30
	v_cndmask_b32_e32 v66, v66, v97, vcc_lo
	v_cndmask_b32_e64 v97, v72, v99, s11
	v_perm_b32 v72, v70, v66, 0x5040100
	v_perm_b32 v70, v83, v103, 0x5040100
	v_cndmask_b32_e64 v103, v91, v85, s6
	v_cndmask_b32_e64 v85, v91, v85, s4
	;; [unrolled: 1-line block ×4, first 2 shown]
	v_lshrrev_b32_e32 v97, 16, v90
	v_cndmask_b32_e64 v91, v103, v92, s18
	v_cndmask_b32_e64 v85, v85, v92, s7
	;; [unrolled: 1-line block ×3, first 2 shown]
	s_mov_b32 s4, exec_lo
	v_cndmask_b32_e64 v83, v84, v97, s16
	v_cndmask_b32_e64 v91, v91, v98, s20
	;; [unrolled: 1-line block ×3, first 2 shown]
	v_lshrrev_b32_e32 v84, 16, v94
	v_cndmask_b32_e64 v66, v66, v97, s19
	v_cndmask_b32_e64 v90, v86, v97, s28
	;; [unrolled: 1-line block ×4, first 2 shown]
	v_dual_cndmask_b32 v86, v87, v97 :: v_dual_cndmask_b32 v87, v88, v84
	v_cndmask_b32_e64 v91, v69, v84, s16
	s_delay_alu instid0(VALU_DEP_4) | instskip(NEXT) | instid1(VALU_DEP_4)
	v_cndmask_b32_e64 v89, v89, v100, s23
	v_cndmask_b32_e64 v85, v85, v100, s15
	v_perm_b32 v69, v102, v101, 0x5040100
	v_perm_b32 v86, v87, v86, 0x5040100
	;; [unrolled: 1-line block ×3, first 2 shown]
	v_cndmask_b32_e64 v89, v89, v94, s25
	v_cndmask_b32_e64 v85, v85, v94, s17
	s_mul_i32 s9, s37, 3
	s_delay_alu instid0(VALU_DEP_2) | instskip(NEXT) | instid1(VALU_DEP_2)
	v_cndmask_b32_e64 v88, v89, v84, s28
	v_cndmask_b32_e64 v89, v85, v84, s19
	s_delay_alu instid0(VALU_DEP_2) | instskip(NEXT) | instid1(VALU_DEP_2)
	v_perm_b32 v85, v88, v90, 0x5040100
	v_perm_b32 v84, v89, v66, 0x5040100
	ds_store_b128 v76, v[69:72]
	ds_store_b128 v76, v[83:86] offset:1024
	v_cmpx_gt_u32_e32 3, v0
	s_cbranch_execz .LBB1776_78
; %bb.77:
	s_mul_i32 s5, s9, s34
	s_load_b128 s[16:19], s[0:1], 0x58
	v_add3_u32 v69, s5, s31, v65
	s_delay_alu instid0(VALU_DEP_1) | instskip(NEXT) | instid1(VALU_DEP_1)
	v_mad_u64_u32 v[65:66], null, v69, s36, s[14:15]
	v_ashrrev_i32_e32 v66, 31, v65
	s_delay_alu instid0(VALU_DEP_1) | instskip(SKIP_1) | instid1(VALU_DEP_1)
	v_lshlrev_b64 v[65:66], 2, v[65:66]
	s_waitcnt lgkmcnt(0)
	v_add_co_u32 v69, vcc_lo, s18, v65
	s_delay_alu instid0(VALU_DEP_2)
	v_add_co_ci_u32_e32 v70, vcc_lo, s19, v66, vcc_lo
	v_add_co_u32 v65, vcc_lo, s16, v65
	v_add_co_ci_u32_e32 v66, vcc_lo, s17, v66, vcc_lo
	global_store_b32 v[69:70], v67, off
	global_store_b32 v[65:66], v68, off
.LBB1776_78:
	s_or_b32 exec_lo, exec_lo, s4
	s_waitcnt lgkmcnt(0)
	s_waitcnt_vscnt null, 0x0
	s_barrier
	buffer_gl0_inv
	ds_load_b128 v[83:86], v80
	ds_load_b128 v[87:90], v80 offset:16
	ds_load_b128 v[95:98], v80 offset:2064
	;; [unrolled: 1-line block ×3, first 2 shown]
	v_mov_b32_e32 v65, 0
	ds_load_b128 v[103:106], v80 offset:4112
	ds_load_b128 v[99:102], v80 offset:4096
	;; [unrolled: 1-line block ×4, first 2 shown]
	v_mov_b32_e32 v66, v65
	v_mov_b32_e32 v67, v65
	;; [unrolled: 1-line block ×7, first 2 shown]
	s_waitcnt lgkmcnt(6)
	s_delay_alu instid0(VALU_DEP_1)
	v_wmma_f32_16x16x16_bf16 v[65:72], v[57:64], v[83:90], v[65:72]
	ds_load_b128 v[61:64], v80 offset:8208
	ds_load_b128 v[57:60], v80 offset:8192
	s_waitcnt lgkmcnt(6)
	v_wmma_f32_16x16x16_bf16 v[65:72], v[41:48], v[91:98], v[65:72]
	ds_load_b128 v[45:48], v80 offset:10256
	ds_load_b128 v[41:44], v80 offset:10240
	s_waitcnt lgkmcnt(6)
	;; [unrolled: 4-line block ×4, first 2 shown]
	v_wmma_f32_16x16x16_bf16 v[65:72], v[1:8], v[57:64], v[65:72]
	s_waitcnt lgkmcnt(4)
	s_delay_alu instid0(VALU_DEP_1) | instskip(SKIP_1) | instid1(VALU_DEP_1)
	v_wmma_f32_16x16x16_bf16 v[65:72], v[9:16], v[41:48], v[65:72]
	s_waitcnt lgkmcnt(2)
	v_wmma_f32_16x16x16_bf16 v[65:72], v[17:24], v[33:40], v[65:72]
	s_waitcnt lgkmcnt(0)
	s_delay_alu instid0(VALU_DEP_1) | instskip(NEXT) | instid1(VALU_DEP_1)
	v_wmma_f32_16x16x16_bf16 v[65:72], v[49:56], v[25:32], v[65:72]
	v_and_b32_e32 v1, 0x7f800000, v65
	s_delay_alu instid0(VALU_DEP_1) | instskip(SKIP_1) | instid1(SALU_CYCLE_1)
	v_cmp_ne_u32_e32 vcc_lo, 0x7f800000, v1
                                        ; implicit-def: $vgpr1
	s_and_saveexec_b32 s4, vcc_lo
	s_xor_b32 s4, exec_lo, s4
; %bb.79:
	v_bfe_u32 v1, v65, 16, 1
	s_delay_alu instid0(VALU_DEP_1)
	v_add3_u32 v1, v65, v1, 0x7fff
; %bb.80:
	s_and_not1_saveexec_b32 s4, s4
; %bb.81:
	v_and_b32_e32 v1, 0xffff, v65
	v_or_b32_e32 v2, 0x10000, v65
	s_delay_alu instid0(VALU_DEP_2) | instskip(NEXT) | instid1(VALU_DEP_2)
	v_cmp_eq_u32_e32 vcc_lo, 0, v1
	v_cndmask_b32_e32 v1, v2, v65, vcc_lo
; %bb.82:
	s_or_b32 exec_lo, exec_lo, s4
	v_and_b32_e32 v2, 0x7f800000, v66
	s_delay_alu instid0(VALU_DEP_1) | instskip(SKIP_1) | instid1(SALU_CYCLE_1)
	v_cmp_ne_u32_e32 vcc_lo, 0x7f800000, v2
                                        ; implicit-def: $vgpr2
	s_and_saveexec_b32 s4, vcc_lo
	s_xor_b32 s4, exec_lo, s4
; %bb.83:
	v_bfe_u32 v2, v66, 16, 1
	s_delay_alu instid0(VALU_DEP_1)
	v_add3_u32 v2, v66, v2, 0x7fff
; %bb.84:
	s_and_not1_saveexec_b32 s4, s4
; %bb.85:
	v_and_b32_e32 v2, 0xffff, v66
	v_or_b32_e32 v3, 0x10000, v66
	s_delay_alu instid0(VALU_DEP_2) | instskip(NEXT) | instid1(VALU_DEP_2)
	v_cmp_eq_u32_e32 vcc_lo, 0, v2
	v_cndmask_b32_e32 v2, v3, v66, vcc_lo
; %bb.86:
	s_or_b32 exec_lo, exec_lo, s4
	v_and_b32_e32 v3, 0x7f800000, v67
	s_delay_alu instid0(VALU_DEP_1) | instskip(SKIP_1) | instid1(SALU_CYCLE_1)
	v_cmp_ne_u32_e32 vcc_lo, 0x7f800000, v3
                                        ; implicit-def: $vgpr3
	s_and_saveexec_b32 s4, vcc_lo
	s_xor_b32 s4, exec_lo, s4
; %bb.87:
	v_bfe_u32 v3, v67, 16, 1
	s_delay_alu instid0(VALU_DEP_1)
	v_add3_u32 v3, v67, v3, 0x7fff
; %bb.88:
	s_and_not1_saveexec_b32 s4, s4
; %bb.89:
	v_and_b32_e32 v3, 0xffff, v67
	v_or_b32_e32 v4, 0x10000, v67
	s_delay_alu instid0(VALU_DEP_2) | instskip(NEXT) | instid1(VALU_DEP_2)
	v_cmp_eq_u32_e32 vcc_lo, 0, v3
	v_cndmask_b32_e32 v3, v4, v67, vcc_lo
; %bb.90:
	s_or_b32 exec_lo, exec_lo, s4
	v_and_b32_e32 v4, 0x7f800000, v68
	s_delay_alu instid0(VALU_DEP_1) | instskip(SKIP_1) | instid1(SALU_CYCLE_1)
	v_cmp_ne_u32_e32 vcc_lo, 0x7f800000, v4
                                        ; implicit-def: $vgpr4
	s_and_saveexec_b32 s4, vcc_lo
	s_xor_b32 s4, exec_lo, s4
; %bb.91:
	v_bfe_u32 v4, v68, 16, 1
	s_delay_alu instid0(VALU_DEP_1)
	v_add3_u32 v4, v68, v4, 0x7fff
; %bb.92:
	s_and_not1_saveexec_b32 s4, s4
; %bb.93:
	v_and_b32_e32 v4, 0xffff, v68
	v_or_b32_e32 v5, 0x10000, v68
	s_delay_alu instid0(VALU_DEP_2) | instskip(NEXT) | instid1(VALU_DEP_2)
	v_cmp_eq_u32_e32 vcc_lo, 0, v4
	v_cndmask_b32_e32 v4, v5, v68, vcc_lo
; %bb.94:
	s_or_b32 exec_lo, exec_lo, s4
	v_and_b32_e32 v5, 0x7f800000, v69
	s_delay_alu instid0(VALU_DEP_1) | instskip(SKIP_1) | instid1(SALU_CYCLE_1)
	v_cmp_ne_u32_e32 vcc_lo, 0x7f800000, v5
                                        ; implicit-def: $vgpr5
	s_and_saveexec_b32 s4, vcc_lo
	s_xor_b32 s4, exec_lo, s4
; %bb.95:
	v_bfe_u32 v5, v69, 16, 1
	s_delay_alu instid0(VALU_DEP_1)
	v_add3_u32 v5, v69, v5, 0x7fff
; %bb.96:
	s_and_not1_saveexec_b32 s4, s4
; %bb.97:
	v_and_b32_e32 v5, 0xffff, v69
	v_or_b32_e32 v6, 0x10000, v69
	s_delay_alu instid0(VALU_DEP_2) | instskip(NEXT) | instid1(VALU_DEP_2)
	v_cmp_eq_u32_e32 vcc_lo, 0, v5
	v_cndmask_b32_e32 v5, v6, v69, vcc_lo
; %bb.98:
	s_or_b32 exec_lo, exec_lo, s4
	v_and_b32_e32 v6, 0x7f800000, v70
	s_delay_alu instid0(VALU_DEP_1) | instskip(SKIP_1) | instid1(SALU_CYCLE_1)
	v_cmp_ne_u32_e32 vcc_lo, 0x7f800000, v6
                                        ; implicit-def: $vgpr6
	s_and_saveexec_b32 s4, vcc_lo
	s_xor_b32 s4, exec_lo, s4
; %bb.99:
	v_bfe_u32 v6, v70, 16, 1
	s_delay_alu instid0(VALU_DEP_1)
	v_add3_u32 v6, v70, v6, 0x7fff
; %bb.100:
	s_and_not1_saveexec_b32 s4, s4
; %bb.101:
	v_and_b32_e32 v6, 0xffff, v70
	v_or_b32_e32 v7, 0x10000, v70
	s_delay_alu instid0(VALU_DEP_2) | instskip(NEXT) | instid1(VALU_DEP_2)
	v_cmp_eq_u32_e32 vcc_lo, 0, v6
	v_cndmask_b32_e32 v6, v7, v70, vcc_lo
; %bb.102:
	s_or_b32 exec_lo, exec_lo, s4
	v_and_b32_e32 v7, 0x7f800000, v71
	s_delay_alu instid0(VALU_DEP_1) | instskip(SKIP_1) | instid1(SALU_CYCLE_1)
	v_cmp_ne_u32_e32 vcc_lo, 0x7f800000, v7
                                        ; implicit-def: $vgpr7
	s_and_saveexec_b32 s4, vcc_lo
	s_xor_b32 s4, exec_lo, s4
; %bb.103:
	v_bfe_u32 v7, v71, 16, 1
	s_delay_alu instid0(VALU_DEP_1)
	v_add3_u32 v7, v71, v7, 0x7fff
; %bb.104:
	s_and_not1_saveexec_b32 s4, s4
; %bb.105:
	v_and_b32_e32 v7, 0xffff, v71
	v_or_b32_e32 v8, 0x10000, v71
	s_delay_alu instid0(VALU_DEP_2) | instskip(NEXT) | instid1(VALU_DEP_2)
	v_cmp_eq_u32_e32 vcc_lo, 0, v7
	v_cndmask_b32_e32 v7, v8, v71, vcc_lo
; %bb.106:
	s_or_b32 exec_lo, exec_lo, s4
	v_and_b32_e32 v8, 0x7f800000, v72
	s_delay_alu instid0(VALU_DEP_1) | instskip(SKIP_1) | instid1(SALU_CYCLE_1)
	v_cmp_ne_u32_e32 vcc_lo, 0x7f800000, v8
                                        ; implicit-def: $vgpr8
	s_and_saveexec_b32 s4, vcc_lo
	s_xor_b32 s4, exec_lo, s4
; %bb.107:
	v_bfe_u32 v8, v72, 16, 1
	s_delay_alu instid0(VALU_DEP_1)
	v_add3_u32 v8, v72, v8, 0x7fff
                                        ; implicit-def: $vgpr65_vgpr66_vgpr67_vgpr68_vgpr69_vgpr70_vgpr71_vgpr72
; %bb.108:
	s_and_not1_saveexec_b32 s4, s4
; %bb.109:
	v_and_b32_e32 v8, 0xffff, v72
	v_or_b32_e32 v9, 0x10000, v72
	s_delay_alu instid0(VALU_DEP_2) | instskip(NEXT) | instid1(VALU_DEP_2)
	v_cmp_eq_u32_e32 vcc_lo, 0, v8
	v_cndmask_b32_e32 v8, v9, v72, vcc_lo
; %bb.110:
	s_or_b32 exec_lo, exec_lo, s4
	s_delay_alu instid0(VALU_DEP_1)
	v_perm_b32 v7, v8, v7, 0x7060302
	v_perm_b32 v6, v6, v5, 0x7060302
	;; [unrolled: 1-line block ×4, first 2 shown]
	s_barrier
	buffer_gl0_inv
	v_cmp_eq_u32_e32 vcc_lo, 1, v78
	ds_store_b128 v76, v[4:7]
	s_waitcnt lgkmcnt(0)
	s_barrier
	buffer_gl0_inv
	ds_load_b128 v[1:4], v82
	ds_load_b128 v[5:8], v82 offset:16
	v_cmp_eq_u32_e64 s4, 1, v79
	v_cmp_eq_u32_e64 s5, 2, v78
	;; [unrolled: 1-line block ×5, first 2 shown]
	s_waitcnt lgkmcnt(1)
	v_lshrrev_b32_e32 v9, 16, v1
	s_waitcnt lgkmcnt(0)
	v_lshrrev_b32_e32 v13, 16, v5
	v_lshrrev_b32_e32 v10, 16, v2
	;; [unrolled: 1-line block ×4, first 2 shown]
	v_cndmask_b32_e64 v19, v1, v9, s4
	v_cndmask_b32_e32 v18, v5, v13, vcc_lo
	v_cndmask_b32_e64 v20, v5, v13, s4
	v_cndmask_b32_e32 v17, v1, v9, vcc_lo
	v_cmp_eq_u32_e32 vcc_lo, 2, v79
	v_lshrrev_b32_e32 v15, 16, v7
	v_cmp_eq_u32_e64 s4, 1, v77
	v_lshrrev_b32_e32 v12, 16, v4
	v_lshrrev_b32_e32 v16, 16, v8
	v_cndmask_b32_e32 v20, v20, v6, vcc_lo
	v_cndmask_b32_e64 v17, v17, v2, s5
	v_cndmask_b32_e32 v19, v19, v2, vcc_lo
	v_cndmask_b32_e64 v18, v18, v6, s5
	v_cmp_eq_u32_e32 vcc_lo, 4, v78
	v_cmp_eq_u32_e64 s5, 3, v79
	v_cndmask_b32_e64 v17, v17, v10, s6
	v_cndmask_b32_e64 v21, v1, v9, s4
	;; [unrolled: 1-line block ×5, first 2 shown]
	v_cndmask_b32_e32 v17, v17, v3, vcc_lo
	v_cndmask_b32_e64 v20, v20, v14, s5
	v_cndmask_b32_e32 v18, v18, v7, vcc_lo
	v_cmp_eq_u32_e32 vcc_lo, 4, v79
	v_cmp_eq_u32_e64 s5, 5, v79
	v_cmp_eq_u32_e64 s4, 2, v81
	v_cndmask_b32_e64 v21, v21, v2, s8
	v_cmp_eq_u32_e64 s6, 5, v78
	v_cndmask_b32_e32 v19, v19, v3, vcc_lo
	v_cndmask_b32_e32 v20, v20, v7, vcc_lo
	v_cmp_eq_u32_e32 vcc_lo, 6, v79
	s_delay_alu instid0(VALU_DEP_4) | instskip(NEXT) | instid1(VALU_DEP_4)
	v_cndmask_b32_e64 v17, v17, v11, s6
	v_cndmask_b32_e64 v19, v19, v11, s5
	s_delay_alu instid0(VALU_DEP_4) | instskip(SKIP_1) | instid1(VALU_DEP_3)
	v_cndmask_b32_e64 v20, v20, v15, s5
	v_cmp_eq_u32_e64 s5, 1, v81
	v_cndmask_b32_e32 v19, v19, v4, vcc_lo
	v_cndmask_b32_e64 v18, v18, v15, s6
	s_delay_alu instid0(VALU_DEP_3)
	v_cndmask_b32_e64 v1, v1, v9, s5
	v_cndmask_b32_e64 v5, v5, v13, s5
	v_cmp_eq_u32_e64 s5, 3, v77
	v_cndmask_b32_e64 v13, v22, v6, s8
	v_cmp_eq_u32_e64 s8, 3, v81
	v_cndmask_b32_e64 v1, v1, v2, s4
	v_cndmask_b32_e64 v2, v5, v6, s4
	v_cndmask_b32_e64 v9, v21, v10, s5
	v_cmp_eq_u32_e64 s4, 4, v77
	v_cndmask_b32_e64 v6, v13, v14, s5
	v_cndmask_b32_e64 v1, v1, v10, s8
	v_cmp_eq_u32_e64 s5, 4, v81
	v_cndmask_b32_e64 v2, v2, v14, s8
	v_cndmask_b32_e64 v5, v9, v3, s4
	;; [unrolled: 3-line block ×3, first 2 shown]
	v_cndmask_b32_e64 v2, v2, v7, s5
	v_cmp_eq_u32_e64 s4, 5, v81
	v_cmp_eq_u32_e64 s6, 6, v78
	v_cndmask_b32_e64 v5, v5, v11, s8
	v_cmp_eq_u32_e64 s5, 6, v77
	v_cndmask_b32_e64 v3, v6, v15, s8
	v_cndmask_b32_e64 v1, v1, v11, s4
	v_cmp_eq_u32_e64 s8, 6, v81
	v_cndmask_b32_e64 v2, v2, v15, s4
	v_cndmask_b32_e64 v17, v17, v4, s6
	v_cndmask_b32_e64 v18, v18, v8, s6
	v_cmp_eq_u32_e64 s6, 7, v78
	v_cndmask_b32_e64 v5, v5, v4, s5
	;; [unrolled: 4-line block ×3, first 2 shown]
	v_cmp_eq_u32_e64 s5, 7, v77
	v_cndmask_b32_e32 v4, v20, v8, vcc_lo
	v_cndmask_b32_e64 v17, v17, v12, s6
	v_cndmask_b32_e64 v19, v19, v12, s7
	v_cndmask_b32_e64 v1, v1, v12, s4
	v_cndmask_b32_e64 v5, v5, v12, s5
	v_cndmask_b32_e64 v2, v2, v16, s4
	v_cndmask_b32_e64 v3, v3, v16, s5
	v_cndmask_b32_e64 v6, v4, v16, s7
	v_cndmask_b32_e64 v7, v18, v16, s6
	v_cmp_gt_u32_e32 vcc_lo, 32, v0
	v_perm_b32 v4, v2, v1, 0x5040100
	v_perm_b32 v3, v3, v5, 0x5040100
	;; [unrolled: 1-line block ×4, first 2 shown]
	s_and_b32 s2, vcc_lo, s2
	ds_store_b128 v76, v[1:4]
	s_waitcnt lgkmcnt(0)
	s_barrier
	buffer_gl0_inv
	s_and_saveexec_b32 s4, s2
	s_cbranch_execz .LBB1776_2
; %bb.111:
	s_load_b64 s[4:5], s[0:1], 0x68
	v_lshlrev_b32_e32 v0, 10, v0
	v_lshlrev_b32_e32 v2, 4, v75
	v_add_nc_u32_e32 v1, s31, v74
	s_lshl_b32 s0, s36, 6
	s_delay_alu instid0(SALU_CYCLE_1) | instskip(NEXT) | instid1(VALU_DEP_2)
	s_mul_i32 s1, s0, s34
	v_and_or_b32 v0, 0x3800, v0, v2
	s_mul_i32 s6, s1, s9
	v_mul_lo_u32 v1, v1, s0
	s_ashr_i32 s7, s6, 31
	s_delay_alu instid0(VALU_DEP_2) | instskip(SKIP_1) | instid1(VALU_DEP_2)
	v_lshl_or_b32 v3, v74, 6, v0
	s_lshl_b64 s[6:7], s[6:7], 1
	v_ashrrev_i32_e32 v2, 31, v1
	ds_load_b128 v[3:6], v3
	s_waitcnt lgkmcnt(0)
	s_add_u32 s1, s4, s6
	s_addc_u32 s2, s5, s7
	s_lshl_b32 s4, s14, 6
	v_lshlrev_b64 v[7:8], 1, v[1:2]
	s_ashr_i32 s5, s4, 31
	s_delay_alu instid0(SALU_CYCLE_1) | instskip(NEXT) | instid1(SALU_CYCLE_1)
	s_lshl_b64 s[4:5], s[4:5], 1
	s_add_u32 s1, s1, s4
	s_addc_u32 s2, s2, s5
	v_add_co_u32 v1, s1, s1, v73
	s_delay_alu instid0(VALU_DEP_1) | instskip(NEXT) | instid1(VALU_DEP_2)
	v_add_co_ci_u32_e64 v2, null, s2, 0, s1
	v_add_co_u32 v7, vcc_lo, v1, v7
	s_delay_alu instid0(VALU_DEP_2)
	v_add_co_ci_u32_e32 v8, vcc_lo, v2, v8, vcc_lo
	global_store_b128 v[7:8], v[3:6], off
	s_and_b32 exec_lo, exec_lo, s3
	s_cbranch_execz .LBB1776_2
; %bb.112:
	ds_load_b128 v[3:6], v0 offset:128
	s_add_i32 s1, s31, 2
	s_delay_alu instid0(SALU_CYCLE_1) | instskip(NEXT) | instid1(SALU_CYCLE_1)
	s_mul_i32 s0, s1, s0
	s_ashr_i32 s1, s0, 31
	s_delay_alu instid0(SALU_CYCLE_1) | instskip(NEXT) | instid1(SALU_CYCLE_1)
	s_lshl_b64 s[0:1], s[0:1], 1
	v_add_co_u32 v0, vcc_lo, v1, s0
	v_add_co_ci_u32_e32 v1, vcc_lo, s1, v2, vcc_lo
	s_waitcnt lgkmcnt(0)
	global_store_b128 v[0:1], v[3:6], off
	s_nop 0
	s_sendmsg sendmsg(MSG_DEALLOC_VGPRS)
	s_endpgm
	.section	.rodata,"a",@progbits
	.p2align	6, 0x0
	.amdhsa_kernel _Z39paged_attention_ll4mi_QKV_mfma16_kernelI14__hip_bfloat16hLN4vllm18Fp8KVCacheDataTypeE1ES0_Li32ELi64ELi256ELb1ELi3EL8MFMAType0EEvPKT_PKT0_S9_ifPKiSB_SB_iPKfiiiPfSE_PS4_PT2_iSD_SD_
		.amdhsa_group_segment_fixed_size 17472
		.amdhsa_private_segment_fixed_size 0
		.amdhsa_kernarg_size 400
		.amdhsa_user_sgpr_count 13
		.amdhsa_user_sgpr_dispatch_ptr 0
		.amdhsa_user_sgpr_queue_ptr 0
		.amdhsa_user_sgpr_kernarg_segment_ptr 1
		.amdhsa_user_sgpr_dispatch_id 0
		.amdhsa_user_sgpr_private_segment_size 0
		.amdhsa_wavefront_size32 1
		.amdhsa_uses_dynamic_stack 0
		.amdhsa_enable_private_segment 0
		.amdhsa_system_sgpr_workgroup_id_x 1
		.amdhsa_system_sgpr_workgroup_id_y 1
		.amdhsa_system_sgpr_workgroup_id_z 1
		.amdhsa_system_sgpr_workgroup_info 0
		.amdhsa_system_vgpr_workitem_id 0
		.amdhsa_next_free_vgpr 124
		.amdhsa_next_free_sgpr 42
		.amdhsa_reserve_vcc 1
		.amdhsa_float_round_mode_32 0
		.amdhsa_float_round_mode_16_64 0
		.amdhsa_float_denorm_mode_32 3
		.amdhsa_float_denorm_mode_16_64 3
		.amdhsa_dx10_clamp 1
		.amdhsa_ieee_mode 1
		.amdhsa_fp16_overflow 0
		.amdhsa_workgroup_processor_mode 1
		.amdhsa_memory_ordered 1
		.amdhsa_forward_progress 0
		.amdhsa_shared_vgpr_count 0
		.amdhsa_exception_fp_ieee_invalid_op 0
		.amdhsa_exception_fp_denorm_src 0
		.amdhsa_exception_fp_ieee_div_zero 0
		.amdhsa_exception_fp_ieee_overflow 0
		.amdhsa_exception_fp_ieee_underflow 0
		.amdhsa_exception_fp_ieee_inexact 0
		.amdhsa_exception_int_div_zero 0
	.end_amdhsa_kernel
	.section	.text._Z39paged_attention_ll4mi_QKV_mfma16_kernelI14__hip_bfloat16hLN4vllm18Fp8KVCacheDataTypeE1ES0_Li32ELi64ELi256ELb1ELi3EL8MFMAType0EEvPKT_PKT0_S9_ifPKiSB_SB_iPKfiiiPfSE_PS4_PT2_iSD_SD_,"axG",@progbits,_Z39paged_attention_ll4mi_QKV_mfma16_kernelI14__hip_bfloat16hLN4vllm18Fp8KVCacheDataTypeE1ES0_Li32ELi64ELi256ELb1ELi3EL8MFMAType0EEvPKT_PKT0_S9_ifPKiSB_SB_iPKfiiiPfSE_PS4_PT2_iSD_SD_,comdat
.Lfunc_end1776:
	.size	_Z39paged_attention_ll4mi_QKV_mfma16_kernelI14__hip_bfloat16hLN4vllm18Fp8KVCacheDataTypeE1ES0_Li32ELi64ELi256ELb1ELi3EL8MFMAType0EEvPKT_PKT0_S9_ifPKiSB_SB_iPKfiiiPfSE_PS4_PT2_iSD_SD_, .Lfunc_end1776-_Z39paged_attention_ll4mi_QKV_mfma16_kernelI14__hip_bfloat16hLN4vllm18Fp8KVCacheDataTypeE1ES0_Li32ELi64ELi256ELb1ELi3EL8MFMAType0EEvPKT_PKT0_S9_ifPKiSB_SB_iPKfiiiPfSE_PS4_PT2_iSD_SD_
                                        ; -- End function
	.section	.AMDGPU.csdata,"",@progbits
; Kernel info:
; codeLenInByte = 8724
; NumSgprs: 44
; NumVgprs: 124
; ScratchSize: 0
; MemoryBound: 0
; FloatMode: 240
; IeeeMode: 1
; LDSByteSize: 17472 bytes/workgroup (compile time only)
; SGPRBlocks: 5
; VGPRBlocks: 15
; NumSGPRsForWavesPerEU: 44
; NumVGPRsForWavesPerEU: 124
; Occupancy: 10
; WaveLimiterHint : 1
; COMPUTE_PGM_RSRC2:SCRATCH_EN: 0
; COMPUTE_PGM_RSRC2:USER_SGPR: 13
; COMPUTE_PGM_RSRC2:TRAP_HANDLER: 0
; COMPUTE_PGM_RSRC2:TGID_X_EN: 1
; COMPUTE_PGM_RSRC2:TGID_Y_EN: 1
; COMPUTE_PGM_RSRC2:TGID_Z_EN: 1
; COMPUTE_PGM_RSRC2:TIDIG_COMP_CNT: 0
	.section	.text._Z39paged_attention_ll4mi_QKV_mfma16_kernelI14__hip_bfloat16hLN4vllm18Fp8KVCacheDataTypeE1ES0_Li32ELi64ELi256ELb1ELi4EL8MFMAType0EEvPKT_PKT0_S9_ifPKiSB_SB_iPKfiiiPfSE_PS4_PT2_iSD_SD_,"axG",@progbits,_Z39paged_attention_ll4mi_QKV_mfma16_kernelI14__hip_bfloat16hLN4vllm18Fp8KVCacheDataTypeE1ES0_Li32ELi64ELi256ELb1ELi4EL8MFMAType0EEvPKT_PKT0_S9_ifPKiSB_SB_iPKfiiiPfSE_PS4_PT2_iSD_SD_,comdat
	.protected	_Z39paged_attention_ll4mi_QKV_mfma16_kernelI14__hip_bfloat16hLN4vllm18Fp8KVCacheDataTypeE1ES0_Li32ELi64ELi256ELb1ELi4EL8MFMAType0EEvPKT_PKT0_S9_ifPKiSB_SB_iPKfiiiPfSE_PS4_PT2_iSD_SD_ ; -- Begin function _Z39paged_attention_ll4mi_QKV_mfma16_kernelI14__hip_bfloat16hLN4vllm18Fp8KVCacheDataTypeE1ES0_Li32ELi64ELi256ELb1ELi4EL8MFMAType0EEvPKT_PKT0_S9_ifPKiSB_SB_iPKfiiiPfSE_PS4_PT2_iSD_SD_
	.globl	_Z39paged_attention_ll4mi_QKV_mfma16_kernelI14__hip_bfloat16hLN4vllm18Fp8KVCacheDataTypeE1ES0_Li32ELi64ELi256ELb1ELi4EL8MFMAType0EEvPKT_PKT0_S9_ifPKiSB_SB_iPKfiiiPfSE_PS4_PT2_iSD_SD_
	.p2align	8
	.type	_Z39paged_attention_ll4mi_QKV_mfma16_kernelI14__hip_bfloat16hLN4vllm18Fp8KVCacheDataTypeE1ES0_Li32ELi64ELi256ELb1ELi4EL8MFMAType0EEvPKT_PKT0_S9_ifPKiSB_SB_iPKfiiiPfSE_PS4_PT2_iSD_SD_,@function
_Z39paged_attention_ll4mi_QKV_mfma16_kernelI14__hip_bfloat16hLN4vllm18Fp8KVCacheDataTypeE1ES0_Li32ELi64ELi256ELb1ELi4EL8MFMAType0EEvPKT_PKT0_S9_ifPKiSB_SB_iPKfiiiPfSE_PS4_PT2_iSD_SD_: ; @_Z39paged_attention_ll4mi_QKV_mfma16_kernelI14__hip_bfloat16hLN4vllm18Fp8KVCacheDataTypeE1ES0_Li32ELi64ELi256ELb1ELi4EL8MFMAType0EEvPKT_PKT0_S9_ifPKiSB_SB_iPKfiiiPfSE_PS4_PT2_iSD_SD_
; %bb.0:
	s_load_b64 s[2:3], s[0:1], 0x30
	s_mov_b32 s30, s13
	s_waitcnt lgkmcnt(0)
	s_cmp_lg_u64 s[2:3], 0
	s_cselect_b32 s8, -1, 0
	s_ashr_i32 s31, s13, 31
	s_cmp_eq_u64 s[2:3], 0
	s_cbranch_scc1 .LBB1777_3
; %bb.1:
	s_lshl_b64 s[4:5], s[30:31], 2
	s_delay_alu instid0(SALU_CYCLE_1) | instskip(SKIP_4) | instid1(SALU_CYCLE_1)
	s_add_u32 s4, s2, s4
	s_addc_u32 s5, s3, s5
	s_load_b64 s[4:5], s[4:5], 0x0
	s_waitcnt lgkmcnt(0)
	s_sub_i32 s4, s5, s4
	s_cmp_eq_u32 s4, 1
	s_cselect_b32 s4, -1, 0
	s_delay_alu instid0(SALU_CYCLE_1)
	s_and_not1_b32 vcc_lo, exec_lo, s4
	s_cbranch_vccz .LBB1777_4
.LBB1777_2:
	s_endpgm
.LBB1777_3:
.LBB1777_4:
	s_load_b64 s[4:5], s[0:1], 0x28
	s_lshl_b64 s[6:7], s[30:31], 2
	s_waitcnt lgkmcnt(0)
	s_add_u32 s4, s4, s6
	s_addc_u32 s5, s5, s7
	s_lshl_b32 s12, s14, 8
	s_load_b32 s24, s[4:5], 0x0
	s_waitcnt lgkmcnt(0)
	s_cmp_ge_i32 s12, s24
	s_cbranch_scc1 .LBB1777_2
; %bb.5:
	s_clause 0x1
	s_load_b128 s[20:23], s[0:1], 0x8
	s_load_b64 s[4:5], s[0:1], 0x20
	s_and_not1_b32 vcc_lo, exec_lo, s8
	s_cbranch_vccnz .LBB1777_7
; %bb.6:
	s_add_u32 s2, s2, s6
	s_addc_u32 s3, s3, s7
	s_load_b32 s3, s[2:3], 0x0
	s_branch .LBB1777_8
.LBB1777_7:
	s_mov_b32 s3, s30
.LBB1777_8:
	s_load_b128 s[16:19], s[0:1], 0x48
	v_and_b32_e32 v66, 15, v0
	v_cmp_gt_u32_e32 vcc_lo, 64, v0
	v_lshrrev_b32_e32 v65, 5, v0
	v_and_b32_e32 v67, 31, v0
	v_and_b32_e32 v74, 1, v0
	v_lshlrev_b32_e32 v1, 3, v66
	v_cmp_gt_u32_e64 s2, 8, v66
	v_bfe_u32 v75, v0, 4, 1
	s_lshl_b32 s31, s15, 2
	s_delay_alu instid0(VALU_DEP_3) | instskip(NEXT) | instid1(VALU_DEP_3)
	v_lshlrev_b32_e32 v73, 1, v1
	s_and_b32 s7, vcc_lo, s2
	s_delay_alu instid0(SALU_CYCLE_1)
	s_and_saveexec_b32 s6, s7
	s_cbranch_execz .LBB1777_10
; %bb.9:
	v_lshl_or_b32 v5, v65, 1, v75
	s_load_b64 s[8:9], s[0:1], 0x0
	s_waitcnt lgkmcnt(0)
	s_mul_hi_i32 s11, s3, s16
	s_mul_i32 s10, s3, s16
	v_lshlrev_b32_e32 v6, 10, v66
	v_or_b32_e32 v1, s31, v5
	s_lshl_b64 s[10:11], s[10:11], 1
	v_lshlrev_b32_e32 v5, 6, v5
	v_lshlrev_b32_e32 v7, 10, v74
	v_and_b32_e32 v6, 0x3800, v6
	v_lshlrev_b32_e32 v1, 6, v1
	s_delay_alu instid0(VALU_DEP_2) | instskip(NEXT) | instid1(VALU_DEP_2)
	v_or3_b32 v5, v6, v7, v5
	v_ashrrev_i32_e32 v2, 31, v1
	s_delay_alu instid0(VALU_DEP_1) | instskip(SKIP_2) | instid1(VALU_DEP_1)
	v_lshlrev_b64 v[1:2], 1, v[1:2]
	s_add_u32 s3, s8, s10
	s_addc_u32 s7, s9, s11
	v_add_co_u32 v1, vcc_lo, s3, v1
	s_delay_alu instid0(VALU_DEP_2) | instskip(NEXT) | instid1(VALU_DEP_2)
	v_add_co_ci_u32_e32 v2, vcc_lo, s7, v2, vcc_lo
	v_add_co_u32 v1, vcc_lo, v1, v73
	s_delay_alu instid0(VALU_DEP_2)
	v_add_co_ci_u32_e32 v2, vcc_lo, 0, v2, vcc_lo
	global_load_b128 v[1:4], v[1:2], off
	s_waitcnt vmcnt(0)
	ds_store_b128 v5, v[1:4]
.LBB1777_10:
	s_or_b32 exec_lo, exec_lo, s6
	v_and_b32_e32 v1, 0xef, v0
	s_waitcnt lgkmcnt(0)
	s_add_i32 s3, s24, 31
	s_clause 0x1
	s_load_b32 s6, s[0:1], 0x38
	s_load_b32 s19, s[0:1], 0x1c
	s_ashr_i32 s7, s3, 31
	v_add_nc_u32_e32 v1, s12, v1
	s_lshr_b32 s7, s7, 27
	s_waitcnt lgkmcnt(0)
	s_add_i32 s3, s3, s7
	s_barrier
	v_ashrrev_i32_e32 v2, 31, v1
	v_or_b32_e32 v3, 16, v1
	s_ashr_i32 s3, s3, 5
	v_cmp_gt_i32_e32 vcc_lo, s24, v1
	s_add_i32 s3, s3, -1
	v_lshrrev_b32_e32 v2, 27, v2
	buffer_gl0_inv
	s_mul_i32 s27, s15, s18
	v_add_nc_u32_e32 v4, v1, v2
	s_mul_i32 s6, s30, s6
	s_delay_alu instid0(SALU_CYCLE_1) | instskip(NEXT) | instid1(VALU_DEP_1)
	s_ashr_i32 s7, s6, 31
	v_ashrrev_i32_e32 v4, 5, v4
	v_add_nc_u32_e32 v2, v3, v2
	s_lshl_b64 s[6:7], s[6:7], 2
	s_delay_alu instid0(SALU_CYCLE_1) | instskip(NEXT) | instid1(VALU_DEP_2)
	s_add_u32 s26, s4, s6
	v_cndmask_b32_e32 v1, s3, v4, vcc_lo
	s_delay_alu instid0(VALU_DEP_2)
	v_ashrrev_i32_e32 v2, 5, v2
	v_cmp_gt_i32_e32 vcc_lo, s24, v3
	s_addc_u32 s25, s5, s7
	s_ashr_i32 s28, s27, 31
	s_add_u32 s4, s20, s27
	s_addc_u32 s5, s21, s28
	v_cndmask_b32_e32 v3, s3, v2, vcc_lo
	v_ashrrev_i32_e32 v2, 31, v1
	s_lshl_b32 s6, s14, 3
	s_delay_alu instid0(SALU_CYCLE_1) | instskip(NEXT) | instid1(VALU_DEP_2)
	s_ashr_i32 s7, s6, 31
	v_ashrrev_i32_e32 v4, 31, v3
	s_delay_alu instid0(VALU_DEP_2) | instskip(SKIP_1) | instid1(SALU_CYCLE_1)
	v_lshlrev_b64 v[1:2], 2, v[1:2]
	s_lshl_b64 s[6:7], s[6:7], 2
	s_add_u32 s6, s26, s6
	s_delay_alu instid0(VALU_DEP_2) | instskip(SKIP_1) | instid1(VALU_DEP_2)
	v_lshlrev_b64 v[3:4], 2, v[3:4]
	s_addc_u32 s7, s25, s7
	v_add_co_u32 v1, vcc_lo, s26, v1
	v_add_co_ci_u32_e32 v2, vcc_lo, s25, v2, vcc_lo
	s_delay_alu instid0(VALU_DEP_3) | instskip(NEXT) | instid1(VALU_DEP_4)
	v_add_co_u32 v3, vcc_lo, s26, v3
	v_add_co_ci_u32_e32 v4, vcc_lo, s25, v4, vcc_lo
	s_clause 0x1
	global_load_b32 v5, v[1:2], off
	global_load_b32 v6, v[3:4], off
	s_or_b32 s8, s12, 32
	s_delay_alu instid0(SALU_CYCLE_1) | instskip(SKIP_2) | instid1(SALU_CYCLE_1)
	s_ashr_i32 s9, s8, 5
	s_cmp_lt_i32 s8, s24
	s_cselect_b32 s8, s9, s3
	s_ashr_i32 s9, s8, 31
	s_delay_alu instid0(SALU_CYCLE_1) | instskip(NEXT) | instid1(SALU_CYCLE_1)
	s_lshl_b64 s[8:9], s[8:9], 2
	s_add_u32 s8, s26, s8
	s_addc_u32 s9, s25, s9
	s_or_b32 s10, s12, 64
	s_delay_alu instid0(SALU_CYCLE_1) | instskip(SKIP_2) | instid1(SALU_CYCLE_1)
	s_ashr_i32 s11, s10, 5
	s_cmp_lt_i32 s10, s24
	s_cselect_b32 s10, s11, s3
	s_ashr_i32 s11, s10, 31
	s_delay_alu instid0(SALU_CYCLE_1) | instskip(NEXT) | instid1(SALU_CYCLE_1)
	s_lshl_b64 s[10:11], s[10:11], 2
	s_add_u32 s10, s26, s10
	s_addc_u32 s11, s25, s11
	s_or_b32 s13, s12, 0x60
	s_delay_alu instid0(SALU_CYCLE_1) | instskip(SKIP_2) | instid1(SALU_CYCLE_1)
	s_ashr_i32 s15, s13, 5
	s_cmp_lt_i32 s13, s24
	s_cselect_b32 s20, s15, s3
	s_ashr_i32 s21, s20, 31
	s_delay_alu instid0(SALU_CYCLE_1) | instskip(NEXT) | instid1(SALU_CYCLE_1)
	s_lshl_b64 s[20:21], s[20:21], 2
	s_add_u32 s34, s26, s20
	s_addc_u32 s35, s25, s21
	s_or_b32 s13, s12, 0x80
	s_delay_alu instid0(SALU_CYCLE_1) | instskip(SKIP_2) | instid1(SALU_CYCLE_1)
	s_ashr_i32 s15, s13, 5
	s_cmp_lt_i32 s13, s24
	s_cselect_b32 s20, s15, s3
	s_ashr_i32 s21, s20, 31
	s_delay_alu instid0(SALU_CYCLE_1) | instskip(NEXT) | instid1(SALU_CYCLE_1)
	s_lshl_b64 s[20:21], s[20:21], 2
	s_add_u32 s36, s26, s20
	s_addc_u32 s37, s25, s21
	s_or_b32 s13, s12, 0xa0
	s_delay_alu instid0(SALU_CYCLE_1) | instskip(SKIP_2) | instid1(SALU_CYCLE_1)
	s_ashr_i32 s15, s13, 5
	s_cmp_lt_i32 s13, s24
	s_cselect_b32 s20, s15, s3
	s_ashr_i32 s21, s20, 31
	s_delay_alu instid0(SALU_CYCLE_1) | instskip(NEXT) | instid1(SALU_CYCLE_1)
	s_lshl_b64 s[20:21], s[20:21], 2
	s_add_u32 s38, s26, s20
	s_addc_u32 s39, s25, s21
	s_clause 0x5
	s_load_b32 s21, s[6:7], 0x0
	s_load_b32 s13, s[8:9], 0x0
	;; [unrolled: 1-line block ×6, first 2 shown]
	s_or_b32 s7, s12, 0xc0
	s_delay_alu instid0(SALU_CYCLE_1) | instskip(SKIP_2) | instid1(SALU_CYCLE_1)
	s_ashr_i32 s8, s7, 5
	s_cmp_lt_i32 s7, s24
	s_cselect_b32 s10, s8, s3
	s_ashr_i32 s11, s10, 31
	s_delay_alu instid0(SALU_CYCLE_1) | instskip(NEXT) | instid1(SALU_CYCLE_1)
	s_lshl_b64 s[34:35], s[10:11], 2
	s_add_u32 s34, s26, s34
	s_addc_u32 s35, s25, s35
	s_or_b32 s29, s12, 0xe0
	s_delay_alu instid0(SALU_CYCLE_1)
	s_ashr_i32 s33, s29, 5
	s_cmp_lt_i32 s29, s24
	s_waitcnt vmcnt(1)
	v_mad_i64_i32 v[1:2], null, v5, s17, s[4:5]
	s_waitcnt vmcnt(0)
	v_mad_i64_i32 v[3:4], null, v6, s17, s[4:5]
	s_mov_b32 s4, 0
	s_delay_alu instid0(SALU_CYCLE_1)
	s_mov_b32 s5, s4
	s_mov_b32 s6, s4
	;; [unrolled: 1-line block ×7, first 2 shown]
	v_lshlrev_b32_e32 v5, 4, v66
	v_dual_mov_b32 v107, s11 :: v_dual_mov_b32 v102, s6
	v_dual_mov_b32 v106, s10 :: v_dual_mov_b32 v105, s9
	s_delay_alu instid0(VALU_DEP_3)
	v_add_co_u32 v1, vcc_lo, v1, v5
	v_add_co_ci_u32_e32 v2, vcc_lo, 0, v2, vcc_lo
	v_add_co_u32 v3, vcc_lo, v3, v5
	v_add_co_ci_u32_e32 v4, vcc_lo, 0, v4, vcc_lo
	s_clause 0x7
	global_load_b128 v[49:52], v[1:2], off
	global_load_b128 v[53:56], v[1:2], off offset:512
	global_load_b128 v[76:79], v[3:4], off offset:256
	;; [unrolled: 1-line block ×7, first 2 shown]
	v_dual_mov_b32 v100, s4 :: v_dual_and_b32 v1, 3, v0
	v_lshlrev_b32_e32 v2, 5, v66
	v_dual_mov_b32 v104, s8 :: v_dual_mov_b32 v103, s7
	v_mov_b32_e32 v101, s5
	s_cselect_b32 s4, s33, s3
	v_lshlrev_b32_e32 v70, 6, v1
	s_ashr_i32 s5, s4, 31
	v_lshl_or_b32 v1, v65, 9, v2
	s_lshl_b64 s[4:5], s[4:5], 2
	s_load_b32 s3, s[34:35], 0x0
	s_add_u32 s4, s26, s4
	s_addc_u32 s5, s25, s5
	ds_load_b128 v[108:111], v70
	ds_load_b128 v[112:115], v70 offset:1024
	s_load_b32 s4, s[4:5], 0x0
	s_add_u32 s6, s22, s27
	s_addc_u32 s7, s23, s28
	v_add_co_u32 v9, s6, s6, v1
	s_delay_alu instid0(VALU_DEP_1) | instskip(SKIP_1) | instid1(VALU_DEP_1)
	v_add_co_ci_u32_e64 v10, null, s7, 0, s6
	s_waitcnt lgkmcnt(0)
	v_mad_i64_i32 v[1:2], null, s21, s17, v[9:10]
	v_mad_i64_i32 v[3:4], null, s13, s17, v[9:10]
	;; [unrolled: 1-line block ×7, first 2 shown]
	s_clause 0x9
	global_load_b128 v[57:60], v[1:2], off
	global_load_b128 v[61:64], v[1:2], off offset:16
	global_load_b128 v[41:44], v[3:4], off
	global_load_b128 v[45:48], v[3:4], off offset:16
	;; [unrolled: 2-line block ×5, first 2 shown]
	v_mad_i64_i32 v[68:69], null, s4, s17, v[9:10]
	s_clause 0x3
	global_load_b128 v[9:12], v[13:14], off
	global_load_b128 v[13:16], v[13:14], off offset:16
	global_load_b128 v[17:20], v[21:22], off
	global_load_b128 v[21:24], v[21:22], off offset:16
	s_waitcnt vmcnt(20)
	v_wmma_f32_16x16x16_bf16 v[116:123], v[49:56], v[108:115], v[100:107]
	s_clause 0x1
	global_load_b128 v[49:52], v[68:69], off
	global_load_b128 v[53:56], v[68:69], off offset:16
	v_and_b32_e32 v68, 0xe0, v0
	v_mbcnt_lo_u32_b32 v69, -1, 0
	s_delay_alu instid0(VALU_DEP_2)
	v_add_nc_u32_e32 v68, s12, v68
	s_waitcnt vmcnt(20)
	v_wmma_f32_16x16x16_bf16 v[100:107], v[76:83], v[108:115], v[100:107]
	ds_load_b128 v[76:79], v70 offset:2048
	ds_load_b128 v[80:83], v70 offset:3072
	v_xor_b32_e32 v70, 16, v69
	s_waitcnt vmcnt(0) lgkmcnt(0)
	v_or_b32_e32 v68, v68, v75
	s_barrier
	buffer_gl0_inv
	v_cmp_gt_i32_e32 vcc_lo, 32, v70
	v_or_b32_e32 v71, 4, v68
	v_or_b32_e32 v72, 6, v68
	v_cmp_gt_i32_e64 s3, s24, v68
	v_or_b32_e32 v108, 8, v68
	v_or_b32_e32 v109, 10, v68
	v_cmp_gt_i32_e64 s4, s24, v71
	v_cmp_gt_i32_e64 s5, s24, v72
	s_delay_alu instid0(VALU_DEP_4) | instskip(NEXT) | instid1(VALU_DEP_4)
	v_cmp_gt_i32_e64 s6, s24, v108
	v_cmp_gt_i32_e64 s7, s24, v109
	v_wmma_f32_16x16x16_bf16 v[116:123], v[84:91], v[76:83], v[116:123]
	v_cndmask_b32_e32 v69, v69, v70, vcc_lo
	v_or_b32_e32 v70, 2, v68
	v_wmma_f32_16x16x16_bf16 v[100:107], v[92:99], v[76:83], v[100:107]
	v_or_b32_e32 v84, 12, v68
	v_dual_mul_f32 v78, s19, v123 :: v_dual_mul_f32 v83, s19, v118
	v_dual_mul_f32 v92, s19, v117 :: v_dual_mul_f32 v93, s19, v116
	s_delay_alu instid0(VALU_DEP_4) | instskip(SKIP_2) | instid1(VALU_DEP_4)
	v_mul_f32_e32 v94, s19, v107
	v_cmp_gt_i32_e32 vcc_lo, s24, v70
	v_dual_mul_f32 v81, s19, v120 :: v_dual_mul_f32 v82, s19, v119
	v_cndmask_b32_e64 v93, 0xff7fffff, v93, s3
	v_or_b32_e32 v85, 14, v68
	v_cndmask_b32_e32 v92, 0xff7fffff, v92, vcc_lo
	v_dual_mul_f32 v79, s19, v122 :: v_dual_mul_f32 v80, s19, v121
	v_cndmask_b32_e64 v71, 0xff7fffff, v83, s4
	v_cndmask_b32_e64 v72, 0xff7fffff, v82, s5
	s_delay_alu instid0(VALU_DEP_4)
	v_max3_f32 v82, v93, 0xff7fffff, v92
	v_or_b32_e32 v86, 16, v68
	v_or_b32_e32 v87, 18, v68
	v_cndmask_b32_e64 v81, 0xff7fffff, v81, s6
	v_cndmask_b32_e64 v80, 0xff7fffff, v80, s7
	v_max3_f32 v71, v82, v71, v72
	v_cmp_gt_i32_e64 s8, s24, v84
	v_cmp_gt_i32_e64 s9, s24, v85
	v_or_b32_e32 v88, 20, v68
	v_or_b32_e32 v89, 22, v68
	;; [unrolled: 1-line block ×6, first 2 shown]
	v_dual_mul_f32 v99, s19, v102 :: v_dual_mul_f32 v70, s19, v101
	v_mul_f32_e32 v68, s19, v100
	v_cndmask_b32_e64 v72, 0xff7fffff, v79, s8
	v_cndmask_b32_e64 v78, 0xff7fffff, v78, s9
	v_max3_f32 v71, v71, v81, v80
	v_cmp_gt_i32_e64 s10, s24, v86
	v_cmp_gt_i32_e64 s11, s24, v87
	v_dual_mul_f32 v97, s19, v104 :: v_dual_mul_f32 v98, s19, v103
	s_delay_alu instid0(VALU_DEP_4) | instskip(SKIP_1) | instid1(VALU_DEP_4)
	v_max3_f32 v71, v71, v72, v78
	v_cmp_gt_i32_e64 s12, s24, v88
	v_cndmask_b32_e64 v70, 0xff7fffff, v70, s11
	v_cmp_gt_i32_e64 s13, s24, v89
	v_lshlrev_b32_e32 v89, 2, v69
	v_cndmask_b32_e64 v68, 0xff7fffff, v68, s10
	v_dual_mul_f32 v95, s19, v106 :: v_dual_mul_f32 v96, s19, v105
	v_cndmask_b32_e64 v72, 0xff7fffff, v99, s12
	v_cndmask_b32_e64 v78, 0xff7fffff, v98, s13
	s_delay_alu instid0(VALU_DEP_4)
	v_max3_f32 v68, v71, v68, v70
	v_cmp_gt_i32_e64 s15, s24, v90
	v_cmp_gt_i32_e64 s16, s24, v91
	;; [unrolled: 1-line block ×4, first 2 shown]
	v_max3_f32 v68, v68, v72, v78
	v_cndmask_b32_e64 v70, 0xff7fffff, v97, s15
	v_cndmask_b32_e64 v71, 0xff7fffff, v96, s16
	;; [unrolled: 1-line block ×4, first 2 shown]
	s_delay_alu instid0(VALU_DEP_3) | instskip(NEXT) | instid1(VALU_DEP_1)
	v_max3_f32 v68, v68, v70, v71
	v_max3_f32 v68, v68, v72, v76
	ds_bpermute_b32 v69, v89, v68
	s_waitcnt lgkmcnt(0)
	v_max_f32_e32 v69, v69, v69
	s_delay_alu instid0(VALU_DEP_1) | instskip(NEXT) | instid1(VALU_DEP_1)
	v_max_f32_e32 v68, v68, v69
	v_fma_f32 v71, s19, v118, -v68
	s_delay_alu instid0(VALU_DEP_1)
	v_mul_f32_e32 v71, 0x3fb8aa3b, v71
	v_fma_f32 v69, s19, v116, -v68
	v_fma_f32 v70, s19, v117, -v68
	;; [unrolled: 1-line block ×4, first 2 shown]
	v_exp_f32_e32 v71, v71
	s_delay_alu instid0(VALU_DEP_3) | instskip(SKIP_2) | instid1(VALU_DEP_3)
	v_dual_mul_f32 v69, 0x3fb8aa3b, v69 :: v_dual_mul_f32 v70, 0x3fb8aa3b, v70
	v_fma_f32 v78, s19, v122, -v68
	v_fma_f32 v81, s19, v105, -v68
	v_exp_f32_e32 v69, v69
	s_delay_alu instid0(VALU_DEP_3) | instskip(SKIP_1) | instid1(VALU_DEP_2)
	v_exp_f32_e32 v70, v70
	v_mul_f32_e32 v77, 0x3fb8aa3b, v76
	v_mul_f32_e32 v81, 0x3fb8aa3b, v81
	s_delay_alu instid0(TRANS32_DEP_3) | instskip(SKIP_1) | instid1(VALU_DEP_3)
	v_cndmask_b32_e64 v83, 0, v71, s4
	v_fma_f32 v71, s19, v123, -v68
	v_exp_f32_e32 v81, v81
	s_delay_alu instid0(TRANS32_DEP_3) | instskip(NEXT) | instid1(TRANS32_DEP_2)
	v_cndmask_b32_e64 v80, 0, v69, s3
	v_cndmask_b32_e32 v76, 0, v70, vcc_lo
	v_fma_f32 v69, s19, v121, -v68
	v_mul_f32_e32 v72, 0x3fb8aa3b, v72
	v_exp_f32_e32 v77, v77
	v_dual_add_f32 v70, 0, v80 :: v_dual_mul_f32 v71, 0x3fb8aa3b, v71
	s_delay_alu instid0(VALU_DEP_3) | instskip(NEXT) | instid1(VALU_DEP_3)
	v_mul_f32_e32 v69, 0x3fb8aa3b, v69
	v_exp_f32_e32 v72, v72
	s_mov_b32 s3, exec_lo
	s_delay_alu instid0(VALU_DEP_2) | instskip(NEXT) | instid1(VALU_DEP_1)
	v_exp_f32_e32 v71, v71
	v_exp_f32_e32 v69, v69
	v_cndmask_b32_e64 v86, 0, v77, s6
	v_fma_f32 v77, s19, v101, -v68
	v_add_f32_e32 v70, v70, v76
	s_delay_alu instid0(TRANS32_DEP_3) | instskip(SKIP_1) | instid1(VALU_DEP_3)
	v_cndmask_b32_e64 v85, 0, v72, s5
	v_fma_f32 v72, s19, v100, -v68
	v_dual_mul_f32 v77, 0x3fb8aa3b, v77 :: v_dual_add_f32 v70, v70, v83
	s_delay_alu instid0(TRANS32_DEP_2) | instskip(SKIP_1) | instid1(TRANS32_DEP_1)
	v_cndmask_b32_e64 v88, 0, v71, s9
	v_fma_f32 v71, s19, v104, -v68
	v_cndmask_b32_e64 v87, 0, v69, s7
	s_delay_alu instid0(VALU_DEP_4) | instskip(NEXT) | instid1(VALU_DEP_2)
	v_exp_f32_e32 v77, v77
	v_dual_add_f32 v70, v70, v85 :: v_dual_mul_f32 v71, 0x3fb8aa3b, v71
	s_delay_alu instid0(VALU_DEP_1) | instskip(SKIP_2) | instid1(VALU_DEP_3)
	v_dual_mul_f32 v72, 0x3fb8aa3b, v72 :: v_dual_add_f32 v69, v70, v86
	v_mul_f32_e32 v78, 0x3fb8aa3b, v78
	v_fma_f32 v70, s19, v102, -v68
	v_exp_f32_e32 v72, v72
	v_exp_f32_e32 v82, v71
	v_add_f32_e32 v69, v69, v87
	v_exp_f32_e32 v78, v78
	v_mul_f32_e32 v70, 0x3fb8aa3b, v70
	s_delay_alu instid0(VALU_DEP_1) | instskip(SKIP_4) | instid1(VALU_DEP_2)
	v_exp_f32_e32 v79, v70
	v_cndmask_b32_e64 v70, 0, v72, s10
	s_waitcnt_depctr 0xfff
	v_cndmask_b32_e64 v84, 0, v78, s8
	v_fma_f32 v78, s19, v103, -v68
	v_add_f32_e32 v69, v69, v84
	v_cndmask_b32_e64 v71, 0, v79, s12
	s_delay_alu instid0(VALU_DEP_2) | instskip(SKIP_2) | instid1(VALU_DEP_1)
	v_add_f32_e32 v72, v69, v88
	v_cndmask_b32_e64 v69, 0, v77, s11
	v_fma_f32 v77, s19, v106, -v68
	v_dual_mul_f32 v77, 0x3fb8aa3b, v77 :: v_dual_add_f32 v72, v72, v70
	v_mul_f32_e32 v78, 0x3fb8aa3b, v78
	s_delay_alu instid0(VALU_DEP_2) | instskip(NEXT) | instid1(VALU_DEP_2)
	v_exp_f32_e32 v90, v77
	v_add_f32_e32 v79, v72, v69
	s_delay_alu instid0(VALU_DEP_2)
	v_exp_f32_e32 v78, v78
	v_cndmask_b32_e64 v77, 0, v82, s15
	s_waitcnt_depctr 0xfff
	v_cndmask_b32_e64 v72, 0, v78, s13
	v_add_f32_e32 v78, v79, v71
	v_fma_f32 v79, s19, v107, -v68
	s_delay_alu instid0(VALU_DEP_1) | instskip(SKIP_1) | instid1(VALU_DEP_2)
	v_dual_add_f32 v82, v78, v72 :: v_dual_mul_f32 v79, 0x3fb8aa3b, v79
	v_cndmask_b32_e64 v78, 0, v81, s16
	v_add_f32_e32 v81, v82, v77
	s_delay_alu instid0(VALU_DEP_3) | instskip(SKIP_1) | instid1(VALU_DEP_2)
	v_exp_f32_e32 v82, v79
	v_cndmask_b32_e64 v79, 0, v90, s17
	v_add_f32_e32 v81, v81, v78
	s_delay_alu instid0(VALU_DEP_1) | instskip(SKIP_2) | instid1(VALU_DEP_1)
	v_add_f32_e32 v90, v81, v79
	s_waitcnt_depctr 0xfff
	v_cndmask_b32_e64 v81, 0, v82, s18
	v_add_f32_e32 v82, v90, v81
	ds_bpermute_b32 v89, v89, v82
	v_cmpx_gt_u32_e32 16, v67
	s_cbranch_execz .LBB1777_12
; %bb.11:
	v_mul_u32_u24_e32 v67, 0x44, v65
	s_delay_alu instid0(VALU_DEP_1) | instskip(SKIP_1) | instid1(VALU_DEP_1)
	v_lshl_add_u32 v67, v66, 2, v67
	s_waitcnt lgkmcnt(0)
	v_dual_add_f32 v82, v82, v89 :: v_dual_add_nc_u32 v67, 0x4000, v67
	ds_store_2addr_b32 v67, v68, v82 offset1:136
.LBB1777_12:
	s_or_b32 exec_lo, exec_lo, s3
	v_lshlrev_b32_e32 v67, 2, v66
	s_waitcnt lgkmcnt(0)
	s_barrier
	buffer_gl0_inv
	v_cmp_eq_u32_e32 vcc_lo, 1, v65
	v_add_nc_u32_e32 v82, 0x4000, v67
	v_cmp_eq_u32_e64 s3, 2, v65
	v_cmp_eq_u32_e64 s5, 7, v65
	ds_load_2addr_b32 v[89:90], v82 offset1:17
	ds_load_2addr_b32 v[91:92], v82 offset0:34 offset1:51
	ds_load_2addr_b32 v[93:94], v82 offset0:68 offset1:85
	;; [unrolled: 1-line block ×4, first 2 shown]
	s_waitcnt lgkmcnt(4)
	v_max3_f32 v67, v89, 0xff7fffff, v90
	s_waitcnt lgkmcnt(3)
	s_delay_alu instid0(VALU_DEP_1) | instskip(SKIP_1) | instid1(VALU_DEP_1)
	v_max3_f32 v67, v67, v91, v92
	s_waitcnt lgkmcnt(2)
	v_max3_f32 v67, v67, v93, v94
	s_waitcnt lgkmcnt(1)
	s_delay_alu instid0(VALU_DEP_1) | instskip(NEXT) | instid1(VALU_DEP_1)
	v_max3_f32 v67, v67, v95, v96
	v_sub_f32_e32 v93, v93, v67
	s_delay_alu instid0(VALU_DEP_1) | instskip(NEXT) | instid1(VALU_DEP_1)
	v_dual_sub_f32 v68, v89, v67 :: v_dual_mul_f32 v103, 0x3fb8aa3b, v93
	v_mul_f32_e32 v68, 0x3fb8aa3b, v68
	s_delay_alu instid0(VALU_DEP_1)
	v_exp_f32_e32 v100, v68
	v_sub_f32_e32 v68, v92, v67
	v_sub_f32_e32 v99, v90, v67
	ds_load_2addr_b32 v[89:90], v82 offset0:170 offset1:187
	v_dual_mul_f32 v102, 0x3fb8aa3b, v68 :: v_dual_mul_f32 v99, 0x3fb8aa3b, v99
	s_waitcnt lgkmcnt(1)
	v_fma_f32 v68, v100, v97, 0
	s_delay_alu instid0(VALU_DEP_2) | instskip(NEXT) | instid1(VALU_DEP_2)
	v_exp_f32_e32 v102, v102
	v_exp_f32_e32 v99, v99
	s_waitcnt_depctr 0xfff
	v_fmac_f32_e32 v68, v99, v98
	v_sub_f32_e32 v91, v91, v67
	s_delay_alu instid0(VALU_DEP_1)
	v_mul_f32_e32 v101, 0x3fb8aa3b, v91
	ds_load_2addr_b32 v[91:92], v82 offset0:204 offset1:221
	v_sub_f32_e32 v97, v94, v67
	ds_load_2addr_b32 v[93:94], v82 offset0:238 offset1:255
	s_waitcnt lgkmcnt(0)
	v_exp_f32_e32 v101, v101
	s_barrier
	buffer_gl0_inv
	v_dual_fmac_f32 v68, v101, v89 :: v_dual_sub_f32 v89, v96, v67
	v_dual_sub_f32 v82, v95, v67 :: v_dual_mul_f32 v95, 0x3fb8aa3b, v97
	v_exp_f32_e32 v97, v103
	s_delay_alu instid0(VALU_DEP_2) | instskip(NEXT) | instid1(VALU_DEP_2)
	v_dual_fmac_f32 v68, v102, v90 :: v_dual_mul_f32 v89, 0x3fb8aa3b, v89
	v_mul_f32_e32 v82, 0x3fb8aa3b, v82
	s_delay_alu instid0(VALU_DEP_3) | instskip(NEXT) | instid1(VALU_DEP_2)
	v_exp_f32_e32 v95, v95
	v_exp_f32_e32 v89, v89
	s_delay_alu instid0(VALU_DEP_1)
	v_exp_f32_e32 v82, v82
	v_fmac_f32_e32 v68, v97, v91
	s_delay_alu instid0(TRANS32_DEP_3) | instid1(VALU_DEP_1)
	v_fmac_f32_e32 v68, v95, v92
	s_waitcnt_depctr 0xfff
	v_fmac_f32_e32 v68, v82, v93
	s_delay_alu instid0(VALU_DEP_1) | instskip(NEXT) | instid1(VALU_DEP_1)
	v_fmac_f32_e32 v68, v89, v94
	v_add_f32_e32 v90, 0x358637bd, v68
	s_delay_alu instid0(VALU_DEP_1) | instskip(NEXT) | instid1(VALU_DEP_1)
	v_div_scale_f32 v91, null, v90, v90, 1.0
	v_rcp_f32_e32 v92, v91
	s_waitcnt_depctr 0xfff
	v_fma_f32 v93, -v91, v92, 1.0
	s_delay_alu instid0(VALU_DEP_1) | instskip(SKIP_1) | instid1(VALU_DEP_2)
	v_dual_fmac_f32 v92, v93, v92 :: v_dual_cndmask_b32 v93, v100, v99
	v_cmp_eq_u32_e32 vcc_lo, 3, v65
	v_cndmask_b32_e64 v93, v93, v101, s3
	v_cmp_eq_u32_e64 s3, 4, v65
	s_delay_alu instid0(VALU_DEP_2) | instskip(SKIP_1) | instid1(VALU_DEP_2)
	v_cndmask_b32_e32 v93, v93, v102, vcc_lo
	v_cmp_eq_u32_e32 vcc_lo, 5, v65
	v_cndmask_b32_e64 v93, v93, v97, s3
	v_cmp_eq_u32_e64 s3, 6, v65
	s_delay_alu instid0(VALU_DEP_2) | instskip(SKIP_1) | instid1(VALU_DEP_1)
	v_cndmask_b32_e32 v93, v93, v95, vcc_lo
	v_div_scale_f32 v94, s4, 1.0, v90, 1.0
	s_mov_b32 vcc_lo, s4
	s_delay_alu instid0(VALU_DEP_2) | instskip(NEXT) | instid1(VALU_DEP_2)
	v_cndmask_b32_e64 v82, v93, v82, s3
	v_mul_f32_e32 v96, v94, v92
	s_mov_b32 s3, exec_lo
	s_delay_alu instid0(VALU_DEP_2) | instskip(NEXT) | instid1(VALU_DEP_2)
	v_cndmask_b32_e64 v82, v82, v89, s5
	v_fma_f32 v98, -v91, v96, v94
	s_delay_alu instid0(VALU_DEP_1) | instskip(NEXT) | instid1(VALU_DEP_1)
	v_fmac_f32_e32 v96, v98, v92
	v_fma_f32 v91, -v91, v96, v94
	s_delay_alu instid0(VALU_DEP_1) | instskip(NEXT) | instid1(VALU_DEP_1)
	v_div_fmas_f32 v91, v91, v92, v96
	v_div_fixup_f32 v90, v91, v90, 1.0
	s_delay_alu instid0(VALU_DEP_1) | instskip(NEXT) | instid1(VALU_DEP_1)
	v_mul_f32_e32 v82, v82, v90
	v_mul_f32_e32 v87, v82, v87
	;; [unrolled: 1-line block ×7, first 2 shown]
	v_dual_mul_f32 v86, v82, v83 :: v_dual_and_b32 v91, 0x7f800000, v90
	v_mul_f32_e32 v85, v82, v76
                                        ; implicit-def: $vgpr76
	s_delay_alu instid0(VALU_DEP_2)
	v_cmpx_ne_u32_e32 0x7f800000, v91
	s_xor_b32 s3, exec_lo, s3
; %bb.13:
	v_bfe_u32 v76, v90, 16, 1
	s_delay_alu instid0(VALU_DEP_1)
	v_add3_u32 v76, v90, v76, 0x7fff
                                        ; implicit-def: $vgpr90
; %bb.14:
	s_and_not1_saveexec_b32 s3, s3
; %bb.15:
	v_and_b32_e32 v76, 0xffff, v90
	v_or_b32_e32 v83, 0x10000, v90
	s_delay_alu instid0(VALU_DEP_2) | instskip(NEXT) | instid1(VALU_DEP_2)
	v_cmp_eq_u32_e32 vcc_lo, 0, v76
	v_cndmask_b32_e32 v76, v83, v90, vcc_lo
; %bb.16:
	s_or_b32 exec_lo, exec_lo, s3
	v_and_b32_e32 v83, 0x7f800000, v85
	s_delay_alu instid0(VALU_DEP_1) | instskip(SKIP_1) | instid1(SALU_CYCLE_1)
	v_cmp_ne_u32_e32 vcc_lo, 0x7f800000, v83
                                        ; implicit-def: $vgpr83
	s_and_saveexec_b32 s3, vcc_lo
	s_xor_b32 s3, exec_lo, s3
; %bb.17:
	v_bfe_u32 v83, v85, 16, 1
	s_delay_alu instid0(VALU_DEP_1)
	v_add3_u32 v83, v85, v83, 0x7fff
                                        ; implicit-def: $vgpr85
; %bb.18:
	s_and_not1_saveexec_b32 s3, s3
; %bb.19:
	v_and_b32_e32 v83, 0xffff, v85
	v_or_b32_e32 v90, 0x10000, v85
	s_delay_alu instid0(VALU_DEP_2) | instskip(NEXT) | instid1(VALU_DEP_2)
	v_cmp_eq_u32_e32 vcc_lo, 0, v83
	v_cndmask_b32_e32 v83, v90, v85, vcc_lo
; %bb.20:
	s_or_b32 exec_lo, exec_lo, s3
	v_and_b32_e32 v85, 0x7f800000, v86
	s_delay_alu instid0(VALU_DEP_1) | instskip(SKIP_1) | instid1(SALU_CYCLE_1)
	v_cmp_ne_u32_e32 vcc_lo, 0x7f800000, v85
                                        ; implicit-def: $vgpr85
	s_and_saveexec_b32 s3, vcc_lo
	s_xor_b32 s3, exec_lo, s3
; %bb.21:
	v_bfe_u32 v85, v86, 16, 1
	s_delay_alu instid0(VALU_DEP_1)
	v_add3_u32 v85, v86, v85, 0x7fff
                                        ; implicit-def: $vgpr86
; %bb.22:
	s_and_not1_saveexec_b32 s3, s3
; %bb.23:
	v_and_b32_e32 v85, 0xffff, v86
	v_or_b32_e32 v90, 0x10000, v86
	s_delay_alu instid0(VALU_DEP_2) | instskip(NEXT) | instid1(VALU_DEP_2)
	v_cmp_eq_u32_e32 vcc_lo, 0, v85
	v_cndmask_b32_e32 v85, v90, v86, vcc_lo
; %bb.24:
	s_or_b32 exec_lo, exec_lo, s3
	v_and_b32_e32 v86, 0x7f800000, v89
	s_delay_alu instid0(VALU_DEP_1) | instskip(SKIP_1) | instid1(SALU_CYCLE_1)
	v_cmp_ne_u32_e32 vcc_lo, 0x7f800000, v86
                                        ; implicit-def: $vgpr86
	s_and_saveexec_b32 s3, vcc_lo
	s_xor_b32 s3, exec_lo, s3
; %bb.25:
	v_bfe_u32 v86, v89, 16, 1
	s_delay_alu instid0(VALU_DEP_1)
	v_add3_u32 v86, v89, v86, 0x7fff
                                        ; implicit-def: $vgpr89
; %bb.26:
	s_and_not1_saveexec_b32 s3, s3
; %bb.27:
	v_and_b32_e32 v86, 0xffff, v89
	v_or_b32_e32 v90, 0x10000, v89
	s_delay_alu instid0(VALU_DEP_2) | instskip(NEXT) | instid1(VALU_DEP_2)
	v_cmp_eq_u32_e32 vcc_lo, 0, v86
	v_cndmask_b32_e32 v86, v90, v89, vcc_lo
; %bb.28:
	s_or_b32 exec_lo, exec_lo, s3
	v_and_b32_e32 v89, 0x7f800000, v88
	s_delay_alu instid0(VALU_DEP_1) | instskip(SKIP_1) | instid1(SALU_CYCLE_1)
	v_cmp_ne_u32_e32 vcc_lo, 0x7f800000, v89
                                        ; implicit-def: $vgpr89
	s_and_saveexec_b32 s3, vcc_lo
	s_xor_b32 s3, exec_lo, s3
; %bb.29:
	v_bfe_u32 v89, v88, 16, 1
	s_delay_alu instid0(VALU_DEP_1)
	v_add3_u32 v89, v88, v89, 0x7fff
                                        ; implicit-def: $vgpr88
; %bb.30:
	s_and_not1_saveexec_b32 s3, s3
; %bb.31:
	v_and_b32_e32 v89, 0xffff, v88
	v_or_b32_e32 v90, 0x10000, v88
	s_delay_alu instid0(VALU_DEP_2) | instskip(NEXT) | instid1(VALU_DEP_2)
	v_cmp_eq_u32_e32 vcc_lo, 0, v89
	v_cndmask_b32_e32 v89, v90, v88, vcc_lo
; %bb.32:
	s_or_b32 exec_lo, exec_lo, s3
	v_and_b32_e32 v88, 0x7f800000, v87
	s_delay_alu instid0(VALU_DEP_1) | instskip(SKIP_1) | instid1(SALU_CYCLE_1)
	v_cmp_ne_u32_e32 vcc_lo, 0x7f800000, v88
                                        ; implicit-def: $vgpr88
	s_and_saveexec_b32 s3, vcc_lo
	s_xor_b32 s3, exec_lo, s3
; %bb.33:
	v_bfe_u32 v88, v87, 16, 1
	s_delay_alu instid0(VALU_DEP_1)
	v_add3_u32 v88, v87, v88, 0x7fff
                                        ; implicit-def: $vgpr87
; %bb.34:
	s_and_not1_saveexec_b32 s3, s3
; %bb.35:
	v_and_b32_e32 v88, 0xffff, v87
	v_or_b32_e32 v90, 0x10000, v87
	s_delay_alu instid0(VALU_DEP_2) | instskip(NEXT) | instid1(VALU_DEP_2)
	v_cmp_eq_u32_e32 vcc_lo, 0, v88
	v_cndmask_b32_e32 v88, v90, v87, vcc_lo
; %bb.36:
	s_or_b32 exec_lo, exec_lo, s3
	v_and_b32_e32 v87, 0x7f800000, v84
	s_delay_alu instid0(VALU_DEP_1) | instskip(SKIP_1) | instid1(SALU_CYCLE_1)
	v_cmp_ne_u32_e32 vcc_lo, 0x7f800000, v87
                                        ; implicit-def: $vgpr87
	s_and_saveexec_b32 s3, vcc_lo
	s_xor_b32 s3, exec_lo, s3
; %bb.37:
	v_bfe_u32 v87, v84, 16, 1
	s_delay_alu instid0(VALU_DEP_1)
	v_add3_u32 v87, v84, v87, 0x7fff
                                        ; implicit-def: $vgpr84
; %bb.38:
	s_and_not1_saveexec_b32 s3, s3
; %bb.39:
	v_and_b32_e32 v87, 0xffff, v84
	v_or_b32_e32 v90, 0x10000, v84
	s_delay_alu instid0(VALU_DEP_2) | instskip(NEXT) | instid1(VALU_DEP_2)
	v_cmp_eq_u32_e32 vcc_lo, 0, v87
	v_cndmask_b32_e32 v87, v90, v84, vcc_lo
; %bb.40:
	s_or_b32 exec_lo, exec_lo, s3
	v_and_b32_e32 v84, 0x7f800000, v80
	s_delay_alu instid0(VALU_DEP_1) | instskip(SKIP_1) | instid1(SALU_CYCLE_1)
	v_cmp_ne_u32_e32 vcc_lo, 0x7f800000, v84
                                        ; implicit-def: $vgpr84
	s_and_saveexec_b32 s3, vcc_lo
	s_xor_b32 s3, exec_lo, s3
; %bb.41:
	v_bfe_u32 v84, v80, 16, 1
	s_delay_alu instid0(VALU_DEP_1)
	v_add3_u32 v84, v80, v84, 0x7fff
                                        ; implicit-def: $vgpr80
; %bb.42:
	s_and_not1_saveexec_b32 s3, s3
; %bb.43:
	v_and_b32_e32 v84, 0xffff, v80
	v_or_b32_e32 v90, 0x10000, v80
	s_delay_alu instid0(VALU_DEP_2) | instskip(NEXT) | instid1(VALU_DEP_2)
	v_cmp_eq_u32_e32 vcc_lo, 0, v84
	v_cndmask_b32_e32 v84, v90, v80, vcc_lo
; %bb.44:
	s_or_b32 exec_lo, exec_lo, s3
	s_load_b64 s[34:35], s[0:1], 0x94
	v_lshlrev_b32_e32 v91, 4, v75
	s_delay_alu instid0(VALU_DEP_2)
	v_perm_b32 v90, v84, v87, 0x7060302
	v_dual_mul_f32 v77, v82, v77 :: v_dual_lshlrev_b32 v80, 6, v66
	v_lshlrev_b32_e32 v66, 11, v65
	v_perm_b32 v87, v83, v76, 0x7060302
	v_mul_f32_e32 v83, v82, v70
	v_perm_b32 v89, v88, v89, 0x7060302
	v_perm_b32 v88, v86, v85, 0x7060302
	v_or3_b32 v76, v91, v66, v80
	v_mul_f32_e32 v66, v82, v81
	v_mul_f32_e32 v70, v82, v79
	;; [unrolled: 1-line block ×3, first 2 shown]
	v_dual_mul_f32 v81, v82, v72 :: v_dual_and_b32 v84, 0x7f800000, v83
	v_mul_f32_e32 v79, v82, v71
	v_mul_f32_e32 v72, v82, v69
	s_mov_b32 s3, exec_lo
	ds_store_b128 v76, v[87:90]
                                        ; implicit-def: $vgpr69
	v_cmpx_ne_u32_e32 0x7f800000, v84
	s_xor_b32 s3, exec_lo, s3
; %bb.45:
	v_bfe_u32 v69, v83, 16, 1
	s_delay_alu instid0(VALU_DEP_1)
	v_add3_u32 v69, v83, v69, 0x7fff
                                        ; implicit-def: $vgpr83
; %bb.46:
	s_and_not1_saveexec_b32 s3, s3
; %bb.47:
	v_and_b32_e32 v69, 0xffff, v83
	v_or_b32_e32 v71, 0x10000, v83
	s_delay_alu instid0(VALU_DEP_2) | instskip(NEXT) | instid1(VALU_DEP_2)
	v_cmp_eq_u32_e32 vcc_lo, 0, v69
	v_cndmask_b32_e32 v69, v71, v83, vcc_lo
; %bb.48:
	s_or_b32 exec_lo, exec_lo, s3
	v_and_b32_e32 v71, 0x7f800000, v72
	s_delay_alu instid0(VALU_DEP_1) | instskip(SKIP_1) | instid1(SALU_CYCLE_1)
	v_cmp_ne_u32_e32 vcc_lo, 0x7f800000, v71
                                        ; implicit-def: $vgpr71
	s_and_saveexec_b32 s3, vcc_lo
	s_xor_b32 s3, exec_lo, s3
; %bb.49:
	v_bfe_u32 v71, v72, 16, 1
	s_delay_alu instid0(VALU_DEP_1)
	v_add3_u32 v71, v72, v71, 0x7fff
                                        ; implicit-def: $vgpr72
; %bb.50:
	s_and_not1_saveexec_b32 s3, s3
; %bb.51:
	v_and_b32_e32 v71, 0xffff, v72
	v_or_b32_e32 v82, 0x10000, v72
	s_delay_alu instid0(VALU_DEP_2) | instskip(NEXT) | instid1(VALU_DEP_2)
	v_cmp_eq_u32_e32 vcc_lo, 0, v71
	v_cndmask_b32_e32 v71, v82, v72, vcc_lo
; %bb.52:
	s_or_b32 exec_lo, exec_lo, s3
	v_and_b32_e32 v72, 0x7f800000, v79
	s_delay_alu instid0(VALU_DEP_1) | instskip(SKIP_1) | instid1(SALU_CYCLE_1)
	v_cmp_ne_u32_e32 vcc_lo, 0x7f800000, v72
                                        ; implicit-def: $vgpr72
	s_and_saveexec_b32 s3, vcc_lo
	s_xor_b32 s3, exec_lo, s3
; %bb.53:
	v_bfe_u32 v72, v79, 16, 1
	s_delay_alu instid0(VALU_DEP_1)
	v_add3_u32 v72, v79, v72, 0x7fff
                                        ; implicit-def: $vgpr79
; %bb.54:
	s_and_not1_saveexec_b32 s3, s3
; %bb.55:
	v_and_b32_e32 v72, 0xffff, v79
	v_or_b32_e32 v82, 0x10000, v79
	s_delay_alu instid0(VALU_DEP_2) | instskip(NEXT) | instid1(VALU_DEP_2)
	v_cmp_eq_u32_e32 vcc_lo, 0, v72
	v_cndmask_b32_e32 v72, v82, v79, vcc_lo
; %bb.56:
	s_or_b32 exec_lo, exec_lo, s3
	v_and_b32_e32 v79, 0x7f800000, v81
	s_delay_alu instid0(VALU_DEP_1) | instskip(SKIP_1) | instid1(SALU_CYCLE_1)
	v_cmp_ne_u32_e32 vcc_lo, 0x7f800000, v79
                                        ; implicit-def: $vgpr79
	s_and_saveexec_b32 s3, vcc_lo
	s_xor_b32 s3, exec_lo, s3
; %bb.57:
	v_bfe_u32 v79, v81, 16, 1
	s_delay_alu instid0(VALU_DEP_1)
	v_add3_u32 v79, v81, v79, 0x7fff
                                        ; implicit-def: $vgpr81
; %bb.58:
	s_and_not1_saveexec_b32 s3, s3
; %bb.59:
	v_and_b32_e32 v79, 0xffff, v81
	v_or_b32_e32 v82, 0x10000, v81
	s_delay_alu instid0(VALU_DEP_2) | instskip(NEXT) | instid1(VALU_DEP_2)
	v_cmp_eq_u32_e32 vcc_lo, 0, v79
	v_cndmask_b32_e32 v79, v82, v81, vcc_lo
; %bb.60:
	s_or_b32 exec_lo, exec_lo, s3
	v_and_b32_e32 v81, 0x7f800000, v77
	s_delay_alu instid0(VALU_DEP_1) | instskip(SKIP_1) | instid1(SALU_CYCLE_1)
	v_cmp_ne_u32_e32 vcc_lo, 0x7f800000, v81
                                        ; implicit-def: $vgpr81
	s_and_saveexec_b32 s3, vcc_lo
	s_xor_b32 s3, exec_lo, s3
; %bb.61:
	v_bfe_u32 v81, v77, 16, 1
	s_delay_alu instid0(VALU_DEP_1)
	v_add3_u32 v81, v77, v81, 0x7fff
                                        ; implicit-def: $vgpr77
; %bb.62:
	s_and_not1_saveexec_b32 s3, s3
; %bb.63:
	v_and_b32_e32 v81, 0xffff, v77
	v_or_b32_e32 v82, 0x10000, v77
	s_delay_alu instid0(VALU_DEP_2) | instskip(NEXT) | instid1(VALU_DEP_2)
	v_cmp_eq_u32_e32 vcc_lo, 0, v81
	v_cndmask_b32_e32 v81, v82, v77, vcc_lo
; %bb.64:
	s_or_b32 exec_lo, exec_lo, s3
	v_and_b32_e32 v77, 0x7f800000, v78
	s_delay_alu instid0(VALU_DEP_1) | instskip(SKIP_1) | instid1(SALU_CYCLE_1)
	v_cmp_ne_u32_e32 vcc_lo, 0x7f800000, v77
                                        ; implicit-def: $vgpr77
	s_and_saveexec_b32 s3, vcc_lo
	s_xor_b32 s3, exec_lo, s3
; %bb.65:
	v_bfe_u32 v77, v78, 16, 1
	s_delay_alu instid0(VALU_DEP_1)
	v_add3_u32 v77, v78, v77, 0x7fff
                                        ; implicit-def: $vgpr78
; %bb.66:
	s_and_not1_saveexec_b32 s3, s3
; %bb.67:
	v_and_b32_e32 v77, 0xffff, v78
	v_or_b32_e32 v82, 0x10000, v78
	s_delay_alu instid0(VALU_DEP_2) | instskip(NEXT) | instid1(VALU_DEP_2)
	v_cmp_eq_u32_e32 vcc_lo, 0, v77
	v_cndmask_b32_e32 v77, v82, v78, vcc_lo
; %bb.68:
	s_or_b32 exec_lo, exec_lo, s3
	v_and_b32_e32 v78, 0x7f800000, v70
	s_delay_alu instid0(VALU_DEP_1) | instskip(SKIP_1) | instid1(SALU_CYCLE_1)
	v_cmp_ne_u32_e32 vcc_lo, 0x7f800000, v78
                                        ; implicit-def: $vgpr78
	s_and_saveexec_b32 s3, vcc_lo
	s_xor_b32 s3, exec_lo, s3
; %bb.69:
	v_bfe_u32 v78, v70, 16, 1
	s_delay_alu instid0(VALU_DEP_1)
	v_add3_u32 v78, v70, v78, 0x7fff
                                        ; implicit-def: $vgpr70
; %bb.70:
	s_and_not1_saveexec_b32 s3, s3
; %bb.71:
	v_and_b32_e32 v78, 0xffff, v70
	v_or_b32_e32 v82, 0x10000, v70
	s_delay_alu instid0(VALU_DEP_2) | instskip(NEXT) | instid1(VALU_DEP_2)
	v_cmp_eq_u32_e32 vcc_lo, 0, v78
	v_cndmask_b32_e32 v78, v82, v70, vcc_lo
; %bb.72:
	s_or_b32 exec_lo, exec_lo, s3
	v_and_b32_e32 v70, 0x7f800000, v66
	s_delay_alu instid0(VALU_DEP_1) | instskip(SKIP_1) | instid1(SALU_CYCLE_1)
	v_cmp_ne_u32_e32 vcc_lo, 0x7f800000, v70
                                        ; implicit-def: $vgpr70
	s_and_saveexec_b32 s3, vcc_lo
	s_xor_b32 s3, exec_lo, s3
; %bb.73:
	v_bfe_u32 v70, v66, 16, 1
	s_delay_alu instid0(VALU_DEP_1)
	v_add3_u32 v70, v66, v70, 0x7fff
                                        ; implicit-def: $vgpr66
; %bb.74:
	s_and_not1_saveexec_b32 s3, s3
; %bb.75:
	v_and_b32_e32 v70, 0xffff, v66
	v_or_b32_e32 v82, 0x10000, v66
	s_delay_alu instid0(VALU_DEP_2) | instskip(NEXT) | instid1(VALU_DEP_2)
	v_cmp_eq_u32_e32 vcc_lo, 0, v70
	v_cndmask_b32_e32 v70, v82, v66, vcc_lo
; %bb.76:
	s_or_b32 exec_lo, exec_lo, s3
	s_delay_alu instid0(VALU_DEP_1)
	v_perm_b32 v86, v70, v78, 0x7060302
	v_perm_b32 v85, v77, v81, 0x7060302
	;; [unrolled: 1-line block ×4, first 2 shown]
	v_lshl_or_b32 v82, v65, 11, v80
	ds_store_b128 v76, v[83:86] offset:1024
	s_waitcnt lgkmcnt(0)
	s_barrier
	buffer_gl0_inv
	ds_load_b128 v[69:72], v82
	ds_load_b128 v[83:86], v82 offset:16
	s_waitcnt lgkmcnt(1)
	v_lshrrev_b32_e32 v65, 16, v69
	v_lshlrev_b32_e32 v78, 2, v75
	s_waitcnt lgkmcnt(0)
	v_lshrrev_b32_e32 v91, 16, v83
	v_lshrrev_b32_e32 v66, 16, v70
	;; [unrolled: 1-line block ×4, first 2 shown]
	v_cmp_eq_u32_e32 vcc_lo, 1, v78
	v_lshrrev_b32_e32 v98, 16, v85
	v_lshrrev_b32_e32 v96, 16, v72
	;; [unrolled: 1-line block ×3, first 2 shown]
	v_cndmask_b32_e32 v81, v69, v65, vcc_lo
	v_or_b32_e32 v79, 1, v78
	v_cmp_eq_u32_e64 s4, 2, v78
	v_cndmask_b32_e32 v87, v83, v91, vcc_lo
	v_cmp_eq_u32_e64 s7, 3, v78
	v_cmp_eq_u32_e64 s9, 4, v78
	;; [unrolled: 1-line block ×3, first 2 shown]
	v_cndmask_b32_e64 v81, v81, v70, s4
	v_cmp_eq_u32_e64 s6, 2, v79
	v_cndmask_b32_e64 v87, v87, v84, s4
	v_cmp_eq_u32_e64 s8, 3, v79
	v_cndmask_b32_e64 v88, v69, v65, s3
	v_cndmask_b32_e64 v81, v81, v66, s7
	v_or_b32_e32 v77, 2, v78
	v_cndmask_b32_e64 v87, v87, v97, s7
	v_cndmask_b32_e64 v89, v83, v91, s3
	;; [unrolled: 1-line block ×4, first 2 shown]
	v_cmp_eq_u32_e64 s10, 5, v78
	v_cndmask_b32_e64 v87, v87, v85, s9
	v_cmp_eq_u32_e64 s11, 4, v79
	v_cndmask_b32_e64 v88, v88, v66, s8
	;; [unrolled: 2-line block ×3, first 2 shown]
	v_cndmask_b32_e64 v81, v81, v95, s10
	v_cmp_eq_u32_e64 s12, 6, v78
	v_cndmask_b32_e64 v88, v88, v71, s11
	v_cndmask_b32_e64 v87, v87, v98, s10
	v_cmp_eq_u32_e64 s13, 5, v79
	v_cndmask_b32_e64 v90, v69, v65, s5
	v_cndmask_b32_e64 v89, v89, v97, s8
	;; [unrolled: 1-line block ×3, first 2 shown]
	v_cmp_eq_u32_e64 s15, 7, v78
	v_cndmask_b32_e64 v88, v88, v95, s13
	v_cndmask_b32_e64 v87, v87, v86, s12
	v_cmp_eq_u32_e64 s16, 6, v79
	v_cmp_eq_u32_e64 s17, 2, v77
	v_cndmask_b32_e64 v89, v89, v85, s11
	v_cndmask_b32_e64 v100, v81, v96, s15
	;; [unrolled: 1-line block ×6, first 2 shown]
	v_cmp_eq_u32_e64 s18, 7, v79
	v_cmp_eq_u32_e64 s19, 3, v77
	;; [unrolled: 1-line block ×4, first 2 shown]
	v_cndmask_b32_e64 v87, v87, v84, s17
	v_cndmask_b32_e64 v102, v88, v96, s18
	;; [unrolled: 1-line block ×4, first 2 shown]
	v_or_b32_e32 v81, 3, v78
	v_cndmask_b32_e64 v93, v87, v97, s19
	v_cmp_eq_u32_e64 s24, 6, v77
	v_cndmask_b32_e64 v103, v88, v86, s16
	v_cndmask_b32_e64 v92, v89, v71, s20
	v_cmp_eq_u32_e64 s21, 1, v81
	ds_load_b128 v[87:90], v82 offset:1024
	v_cmp_eq_u32_e64 s23, 2, v81
	v_cmp_eq_u32_e64 s25, 3, v81
	v_cndmask_b32_e64 v104, v92, v95, s22
	v_cndmask_b32_e64 v65, v69, v65, s21
	;; [unrolled: 1-line block ×4, first 2 shown]
	ds_load_b128 v[91:94], v82 offset:1040
	v_cmp_eq_u32_e64 s26, 4, v81
	v_cndmask_b32_e64 v65, v65, v70, s23
	v_cmp_eq_u32_e64 s28, 5, v81
	v_cndmask_b32_e64 v70, v83, v84, s23
	;; [unrolled: 2-line block ×3, first 2 shown]
	v_cndmask_b32_e64 v65, v65, v66, s25
	v_cndmask_b32_e64 v66, v104, v72, s24
	;; [unrolled: 1-line block ×3, first 2 shown]
	v_cmp_eq_u32_e64 s27, 7, v77
	v_cndmask_b32_e64 v69, v69, v86, s24
	v_cndmask_b32_e64 v65, v65, v71, s26
	s_waitcnt lgkmcnt(1)
	v_lshrrev_b32_e32 v84, 16, v87
	v_cndmask_b32_e64 v70, v70, v85, s26
	v_cndmask_b32_e64 v83, v103, v99, s18
	;; [unrolled: 1-line block ×4, first 2 shown]
	v_lshrrev_b32_e32 v95, 16, v88
	v_cndmask_b32_e64 v70, v70, v98, s28
	s_waitcnt lgkmcnt(0)
	v_lshrrev_b32_e32 v85, 16, v91
	v_cndmask_b32_e64 v97, v87, v84, s3
	v_cndmask_b32_e64 v65, v65, v72, s29
	;; [unrolled: 1-line block ×4, first 2 shown]
	v_cndmask_b32_e32 v71, v87, v84, vcc_lo
	v_cndmask_b32_e32 v98, v91, v85, vcc_lo
	v_cmp_eq_u32_e32 vcc_lo, 7, v81
	v_cndmask_b32_e64 v72, v97, v88, s6
	v_lshrrev_b32_e32 v97, 16, v92
	v_lshrrev_b32_e32 v103, 16, v90
	v_dual_cndmask_b32 v65, v65, v96 :: v_dual_cndmask_b32 v70, v70, v99
	v_cndmask_b32_e64 v71, v71, v88, s4
	v_cndmask_b32_e64 v86, v98, v92, s4
	;; [unrolled: 1-line block ×3, first 2 shown]
	v_lshrrev_b32_e32 v98, 16, v89
	v_lshrrev_b32_e32 v99, 16, v93
	v_cndmask_b32_e64 v71, v71, v95, s7
	v_cndmask_b32_e64 v86, v86, v97, s7
	;; [unrolled: 1-line block ×3, first 2 shown]
	v_perm_b32 v72, v70, v65, 0x5040100
	v_perm_b32 v70, v83, v102, 0x5040100
	v_cndmask_b32_e64 v71, v71, v89, s9
	v_cndmask_b32_e64 v86, v86, v93, s9
	v_cndmask_b32_e64 v65, v96, v98, s13
	v_lshrrev_b32_e32 v83, 16, v94
	s_delay_alu instid0(VALU_DEP_4) | instskip(NEXT) | instid1(VALU_DEP_4)
	v_cndmask_b32_e64 v71, v71, v98, s10
	v_cndmask_b32_e64 v86, v86, v99, s10
	s_delay_alu instid0(VALU_DEP_4) | instskip(NEXT) | instid1(VALU_DEP_3)
	v_cndmask_b32_e64 v65, v65, v90, s16
	v_cndmask_b32_e64 v96, v71, v90, s12
	v_perm_b32 v71, v69, v66, 0x5040100
	s_delay_alu instid0(VALU_DEP_4)
	v_cndmask_b32_e64 v69, v86, v94, s12
	v_cndmask_b32_e64 v86, v87, v84, s5
	;; [unrolled: 1-line block ×34, first 2 shown]
	v_cndmask_b32_e32 v84, v84, v103, vcc_lo
	v_cndmask_b32_e32 v86, v87, v83, vcc_lo
	v_cndmask_b32_e64 v87, v88, v83, s27
	v_cndmask_b32_e64 v88, v85, v83, s18
	;; [unrolled: 1-line block ×3, first 2 shown]
	v_perm_b32 v69, v101, v100, 0x5040100
	v_perm_b32 v86, v86, v84, 0x5040100
	;; [unrolled: 1-line block ×5, first 2 shown]
	s_lshl_b32 s8, s35, 2
	s_mov_b32 s3, exec_lo
	ds_store_b128 v76, v[69:72]
	ds_store_b128 v76, v[83:86] offset:1024
	v_cmpx_gt_u32_e32 4, v0
	s_cbranch_execz .LBB1777_78
; %bb.77:
	v_or_b32_e32 v65, s31, v0
	s_load_b128 s[4:7], s[0:1], 0x58
	s_delay_alu instid0(VALU_DEP_1) | instskip(NEXT) | instid1(VALU_DEP_1)
	v_mad_u64_u32 v[69:70], null, s8, s30, v[65:66]
	v_mad_u64_u32 v[65:66], null, v69, s34, s[14:15]
	s_delay_alu instid0(VALU_DEP_1) | instskip(NEXT) | instid1(VALU_DEP_1)
	v_ashrrev_i32_e32 v66, 31, v65
	v_lshlrev_b64 v[65:66], 2, v[65:66]
	s_waitcnt lgkmcnt(0)
	s_delay_alu instid0(VALU_DEP_1) | instskip(NEXT) | instid1(VALU_DEP_2)
	v_add_co_u32 v69, vcc_lo, s6, v65
	v_add_co_ci_u32_e32 v70, vcc_lo, s7, v66, vcc_lo
	v_add_co_u32 v65, vcc_lo, s4, v65
	v_add_co_ci_u32_e32 v66, vcc_lo, s5, v66, vcc_lo
	global_store_b32 v[69:70], v67, off
	global_store_b32 v[65:66], v68, off
.LBB1777_78:
	s_or_b32 exec_lo, exec_lo, s3
	s_waitcnt lgkmcnt(0)
	s_waitcnt_vscnt null, 0x0
	s_barrier
	buffer_gl0_inv
	ds_load_b128 v[83:86], v80
	ds_load_b128 v[87:90], v80 offset:16
	ds_load_b128 v[95:98], v80 offset:2064
	;; [unrolled: 1-line block ×3, first 2 shown]
	v_mov_b32_e32 v65, 0
	ds_load_b128 v[103:106], v80 offset:4112
	ds_load_b128 v[99:102], v80 offset:4096
	;; [unrolled: 1-line block ×4, first 2 shown]
	v_mov_b32_e32 v66, v65
	v_mov_b32_e32 v67, v65
	;; [unrolled: 1-line block ×7, first 2 shown]
	s_waitcnt lgkmcnt(6)
	s_delay_alu instid0(VALU_DEP_1)
	v_wmma_f32_16x16x16_bf16 v[65:72], v[57:64], v[83:90], v[65:72]
	ds_load_b128 v[61:64], v80 offset:8208
	ds_load_b128 v[57:60], v80 offset:8192
	s_waitcnt lgkmcnt(6)
	v_wmma_f32_16x16x16_bf16 v[65:72], v[41:48], v[91:98], v[65:72]
	ds_load_b128 v[45:48], v80 offset:10256
	ds_load_b128 v[41:44], v80 offset:10240
	s_waitcnt lgkmcnt(6)
	;; [unrolled: 4-line block ×4, first 2 shown]
	v_wmma_f32_16x16x16_bf16 v[65:72], v[1:8], v[57:64], v[65:72]
	s_waitcnt lgkmcnt(4)
	s_delay_alu instid0(VALU_DEP_1) | instskip(SKIP_1) | instid1(VALU_DEP_1)
	v_wmma_f32_16x16x16_bf16 v[65:72], v[9:16], v[41:48], v[65:72]
	s_waitcnt lgkmcnt(2)
	v_wmma_f32_16x16x16_bf16 v[65:72], v[17:24], v[33:40], v[65:72]
	s_waitcnt lgkmcnt(0)
	s_delay_alu instid0(VALU_DEP_1) | instskip(NEXT) | instid1(VALU_DEP_1)
	v_wmma_f32_16x16x16_bf16 v[65:72], v[49:56], v[25:32], v[65:72]
	v_and_b32_e32 v1, 0x7f800000, v65
	s_delay_alu instid0(VALU_DEP_1) | instskip(SKIP_1) | instid1(SALU_CYCLE_1)
	v_cmp_ne_u32_e32 vcc_lo, 0x7f800000, v1
                                        ; implicit-def: $vgpr1
	s_and_saveexec_b32 s3, vcc_lo
	s_xor_b32 s3, exec_lo, s3
; %bb.79:
	v_bfe_u32 v1, v65, 16, 1
	s_delay_alu instid0(VALU_DEP_1)
	v_add3_u32 v1, v65, v1, 0x7fff
; %bb.80:
	s_and_not1_saveexec_b32 s3, s3
; %bb.81:
	v_and_b32_e32 v1, 0xffff, v65
	v_or_b32_e32 v2, 0x10000, v65
	s_delay_alu instid0(VALU_DEP_2) | instskip(NEXT) | instid1(VALU_DEP_2)
	v_cmp_eq_u32_e32 vcc_lo, 0, v1
	v_cndmask_b32_e32 v1, v2, v65, vcc_lo
; %bb.82:
	s_or_b32 exec_lo, exec_lo, s3
	v_and_b32_e32 v2, 0x7f800000, v66
	s_delay_alu instid0(VALU_DEP_1) | instskip(SKIP_1) | instid1(SALU_CYCLE_1)
	v_cmp_ne_u32_e32 vcc_lo, 0x7f800000, v2
                                        ; implicit-def: $vgpr2
	s_and_saveexec_b32 s3, vcc_lo
	s_xor_b32 s3, exec_lo, s3
; %bb.83:
	v_bfe_u32 v2, v66, 16, 1
	s_delay_alu instid0(VALU_DEP_1)
	v_add3_u32 v2, v66, v2, 0x7fff
; %bb.84:
	s_and_not1_saveexec_b32 s3, s3
; %bb.85:
	v_and_b32_e32 v2, 0xffff, v66
	v_or_b32_e32 v3, 0x10000, v66
	s_delay_alu instid0(VALU_DEP_2) | instskip(NEXT) | instid1(VALU_DEP_2)
	v_cmp_eq_u32_e32 vcc_lo, 0, v2
	v_cndmask_b32_e32 v2, v3, v66, vcc_lo
; %bb.86:
	s_or_b32 exec_lo, exec_lo, s3
	v_and_b32_e32 v3, 0x7f800000, v67
	s_delay_alu instid0(VALU_DEP_1) | instskip(SKIP_1) | instid1(SALU_CYCLE_1)
	v_cmp_ne_u32_e32 vcc_lo, 0x7f800000, v3
                                        ; implicit-def: $vgpr3
	s_and_saveexec_b32 s3, vcc_lo
	s_xor_b32 s3, exec_lo, s3
; %bb.87:
	v_bfe_u32 v3, v67, 16, 1
	s_delay_alu instid0(VALU_DEP_1)
	v_add3_u32 v3, v67, v3, 0x7fff
; %bb.88:
	s_and_not1_saveexec_b32 s3, s3
; %bb.89:
	v_and_b32_e32 v3, 0xffff, v67
	v_or_b32_e32 v4, 0x10000, v67
	s_delay_alu instid0(VALU_DEP_2) | instskip(NEXT) | instid1(VALU_DEP_2)
	v_cmp_eq_u32_e32 vcc_lo, 0, v3
	v_cndmask_b32_e32 v3, v4, v67, vcc_lo
; %bb.90:
	s_or_b32 exec_lo, exec_lo, s3
	v_and_b32_e32 v4, 0x7f800000, v68
	s_delay_alu instid0(VALU_DEP_1) | instskip(SKIP_1) | instid1(SALU_CYCLE_1)
	v_cmp_ne_u32_e32 vcc_lo, 0x7f800000, v4
                                        ; implicit-def: $vgpr4
	s_and_saveexec_b32 s3, vcc_lo
	s_xor_b32 s3, exec_lo, s3
; %bb.91:
	v_bfe_u32 v4, v68, 16, 1
	s_delay_alu instid0(VALU_DEP_1)
	v_add3_u32 v4, v68, v4, 0x7fff
; %bb.92:
	s_and_not1_saveexec_b32 s3, s3
; %bb.93:
	v_and_b32_e32 v4, 0xffff, v68
	v_or_b32_e32 v5, 0x10000, v68
	s_delay_alu instid0(VALU_DEP_2) | instskip(NEXT) | instid1(VALU_DEP_2)
	v_cmp_eq_u32_e32 vcc_lo, 0, v4
	v_cndmask_b32_e32 v4, v5, v68, vcc_lo
; %bb.94:
	s_or_b32 exec_lo, exec_lo, s3
	v_and_b32_e32 v5, 0x7f800000, v69
	s_delay_alu instid0(VALU_DEP_1) | instskip(SKIP_1) | instid1(SALU_CYCLE_1)
	v_cmp_ne_u32_e32 vcc_lo, 0x7f800000, v5
                                        ; implicit-def: $vgpr5
	s_and_saveexec_b32 s3, vcc_lo
	s_xor_b32 s3, exec_lo, s3
; %bb.95:
	v_bfe_u32 v5, v69, 16, 1
	s_delay_alu instid0(VALU_DEP_1)
	v_add3_u32 v5, v69, v5, 0x7fff
; %bb.96:
	s_and_not1_saveexec_b32 s3, s3
; %bb.97:
	v_and_b32_e32 v5, 0xffff, v69
	v_or_b32_e32 v6, 0x10000, v69
	s_delay_alu instid0(VALU_DEP_2) | instskip(NEXT) | instid1(VALU_DEP_2)
	v_cmp_eq_u32_e32 vcc_lo, 0, v5
	v_cndmask_b32_e32 v5, v6, v69, vcc_lo
; %bb.98:
	s_or_b32 exec_lo, exec_lo, s3
	v_and_b32_e32 v6, 0x7f800000, v70
	s_delay_alu instid0(VALU_DEP_1) | instskip(SKIP_1) | instid1(SALU_CYCLE_1)
	v_cmp_ne_u32_e32 vcc_lo, 0x7f800000, v6
                                        ; implicit-def: $vgpr6
	s_and_saveexec_b32 s3, vcc_lo
	s_xor_b32 s3, exec_lo, s3
; %bb.99:
	v_bfe_u32 v6, v70, 16, 1
	s_delay_alu instid0(VALU_DEP_1)
	v_add3_u32 v6, v70, v6, 0x7fff
; %bb.100:
	s_and_not1_saveexec_b32 s3, s3
; %bb.101:
	v_and_b32_e32 v6, 0xffff, v70
	v_or_b32_e32 v7, 0x10000, v70
	s_delay_alu instid0(VALU_DEP_2) | instskip(NEXT) | instid1(VALU_DEP_2)
	v_cmp_eq_u32_e32 vcc_lo, 0, v6
	v_cndmask_b32_e32 v6, v7, v70, vcc_lo
; %bb.102:
	s_or_b32 exec_lo, exec_lo, s3
	v_and_b32_e32 v7, 0x7f800000, v71
	s_delay_alu instid0(VALU_DEP_1) | instskip(SKIP_1) | instid1(SALU_CYCLE_1)
	v_cmp_ne_u32_e32 vcc_lo, 0x7f800000, v7
                                        ; implicit-def: $vgpr7
	s_and_saveexec_b32 s3, vcc_lo
	s_xor_b32 s3, exec_lo, s3
; %bb.103:
	v_bfe_u32 v7, v71, 16, 1
	s_delay_alu instid0(VALU_DEP_1)
	v_add3_u32 v7, v71, v7, 0x7fff
; %bb.104:
	s_and_not1_saveexec_b32 s3, s3
; %bb.105:
	v_and_b32_e32 v7, 0xffff, v71
	v_or_b32_e32 v8, 0x10000, v71
	s_delay_alu instid0(VALU_DEP_2) | instskip(NEXT) | instid1(VALU_DEP_2)
	v_cmp_eq_u32_e32 vcc_lo, 0, v7
	v_cndmask_b32_e32 v7, v8, v71, vcc_lo
; %bb.106:
	s_or_b32 exec_lo, exec_lo, s3
	v_and_b32_e32 v8, 0x7f800000, v72
	s_delay_alu instid0(VALU_DEP_1) | instskip(SKIP_1) | instid1(SALU_CYCLE_1)
	v_cmp_ne_u32_e32 vcc_lo, 0x7f800000, v8
                                        ; implicit-def: $vgpr8
	s_and_saveexec_b32 s3, vcc_lo
	s_xor_b32 s3, exec_lo, s3
; %bb.107:
	v_bfe_u32 v8, v72, 16, 1
	s_delay_alu instid0(VALU_DEP_1)
	v_add3_u32 v8, v72, v8, 0x7fff
                                        ; implicit-def: $vgpr65_vgpr66_vgpr67_vgpr68_vgpr69_vgpr70_vgpr71_vgpr72
; %bb.108:
	s_and_not1_saveexec_b32 s3, s3
; %bb.109:
	v_and_b32_e32 v8, 0xffff, v72
	v_or_b32_e32 v9, 0x10000, v72
	s_delay_alu instid0(VALU_DEP_2) | instskip(NEXT) | instid1(VALU_DEP_2)
	v_cmp_eq_u32_e32 vcc_lo, 0, v8
	v_cndmask_b32_e32 v8, v9, v72, vcc_lo
; %bb.110:
	s_or_b32 exec_lo, exec_lo, s3
	s_delay_alu instid0(VALU_DEP_1)
	v_perm_b32 v7, v8, v7, 0x7060302
	v_perm_b32 v6, v6, v5, 0x7060302
	;; [unrolled: 1-line block ×4, first 2 shown]
	s_barrier
	buffer_gl0_inv
	v_cmp_eq_u32_e32 vcc_lo, 1, v78
	ds_store_b128 v76, v[4:7]
	s_waitcnt lgkmcnt(0)
	s_barrier
	buffer_gl0_inv
	ds_load_b128 v[1:4], v82
	ds_load_b128 v[5:8], v82 offset:16
	v_cmp_eq_u32_e64 s3, 1, v79
	v_cmp_eq_u32_e64 s4, 2, v78
	;; [unrolled: 1-line block ×5, first 2 shown]
	s_waitcnt lgkmcnt(1)
	v_lshrrev_b32_e32 v9, 16, v1
	s_waitcnt lgkmcnt(0)
	v_lshrrev_b32_e32 v13, 16, v5
	v_lshrrev_b32_e32 v10, 16, v2
	;; [unrolled: 1-line block ×4, first 2 shown]
	v_cndmask_b32_e64 v19, v1, v9, s3
	v_cndmask_b32_e32 v18, v5, v13, vcc_lo
	v_cndmask_b32_e64 v20, v5, v13, s3
	v_cndmask_b32_e32 v17, v1, v9, vcc_lo
	v_cmp_eq_u32_e32 vcc_lo, 2, v79
	v_lshrrev_b32_e32 v15, 16, v7
	v_cmp_eq_u32_e64 s3, 1, v77
	v_lshrrev_b32_e32 v12, 16, v4
	v_lshrrev_b32_e32 v16, 16, v8
	v_cndmask_b32_e32 v20, v20, v6, vcc_lo
	v_cndmask_b32_e64 v17, v17, v2, s4
	v_cndmask_b32_e32 v19, v19, v2, vcc_lo
	v_cndmask_b32_e64 v18, v18, v6, s4
	v_cmp_eq_u32_e32 vcc_lo, 4, v78
	v_cmp_eq_u32_e64 s4, 3, v79
	v_cndmask_b32_e64 v17, v17, v10, s5
	v_cndmask_b32_e64 v21, v1, v9, s3
	;; [unrolled: 1-line block ×5, first 2 shown]
	v_cndmask_b32_e32 v17, v17, v3, vcc_lo
	v_cndmask_b32_e64 v20, v20, v14, s4
	v_cndmask_b32_e32 v18, v18, v7, vcc_lo
	v_cmp_eq_u32_e32 vcc_lo, 4, v79
	v_cmp_eq_u32_e64 s4, 5, v79
	v_cmp_eq_u32_e64 s3, 2, v81
	v_cndmask_b32_e64 v21, v21, v2, s7
	v_cmp_eq_u32_e64 s5, 5, v78
	v_cndmask_b32_e32 v19, v19, v3, vcc_lo
	v_cndmask_b32_e32 v20, v20, v7, vcc_lo
	v_cmp_eq_u32_e32 vcc_lo, 6, v79
	s_delay_alu instid0(VALU_DEP_4) | instskip(NEXT) | instid1(VALU_DEP_4)
	v_cndmask_b32_e64 v17, v17, v11, s5
	v_cndmask_b32_e64 v19, v19, v11, s4
	s_delay_alu instid0(VALU_DEP_4) | instskip(SKIP_1) | instid1(VALU_DEP_3)
	v_cndmask_b32_e64 v20, v20, v15, s4
	v_cmp_eq_u32_e64 s4, 1, v81
	v_cndmask_b32_e32 v19, v19, v4, vcc_lo
	v_cndmask_b32_e64 v18, v18, v15, s5
	s_delay_alu instid0(VALU_DEP_3)
	v_cndmask_b32_e64 v1, v1, v9, s4
	v_cndmask_b32_e64 v5, v5, v13, s4
	v_cmp_eq_u32_e64 s4, 3, v77
	v_cndmask_b32_e64 v13, v22, v6, s7
	v_cmp_eq_u32_e64 s7, 3, v81
	v_cndmask_b32_e64 v1, v1, v2, s3
	v_cndmask_b32_e64 v2, v5, v6, s3
	v_cndmask_b32_e64 v9, v21, v10, s4
	v_cmp_eq_u32_e64 s3, 4, v77
	v_cndmask_b32_e64 v6, v13, v14, s4
	v_cndmask_b32_e64 v1, v1, v10, s7
	v_cmp_eq_u32_e64 s4, 4, v81
	v_cndmask_b32_e64 v2, v2, v14, s7
	v_cndmask_b32_e64 v5, v9, v3, s3
	;; [unrolled: 3-line block ×3, first 2 shown]
	v_cndmask_b32_e64 v2, v2, v7, s4
	v_cmp_eq_u32_e64 s3, 5, v81
	v_cmp_eq_u32_e64 s5, 6, v78
	v_cndmask_b32_e64 v5, v5, v11, s7
	v_cmp_eq_u32_e64 s4, 6, v77
	v_cndmask_b32_e64 v3, v6, v15, s7
	v_cndmask_b32_e64 v1, v1, v11, s3
	v_cmp_eq_u32_e64 s7, 6, v81
	v_cndmask_b32_e64 v2, v2, v15, s3
	v_cndmask_b32_e64 v17, v17, v4, s5
	v_cndmask_b32_e64 v18, v18, v8, s5
	v_cmp_eq_u32_e64 s5, 7, v78
	v_cndmask_b32_e64 v5, v5, v4, s4
	;; [unrolled: 4-line block ×3, first 2 shown]
	v_cmp_eq_u32_e64 s4, 7, v77
	v_cndmask_b32_e32 v4, v20, v8, vcc_lo
	v_cndmask_b32_e64 v17, v17, v12, s5
	v_cndmask_b32_e64 v19, v19, v12, s6
	;; [unrolled: 1-line block ×8, first 2 shown]
	v_cmp_gt_u32_e32 vcc_lo, 32, v0
	v_perm_b32 v4, v2, v1, 0x5040100
	v_perm_b32 v3, v3, v5, 0x5040100
	;; [unrolled: 1-line block ×4, first 2 shown]
	s_and_b32 s2, vcc_lo, s2
	ds_store_b128 v76, v[1:4]
	s_waitcnt lgkmcnt(0)
	s_barrier
	buffer_gl0_inv
	s_and_saveexec_b32 s3, s2
	s_cbranch_execz .LBB1777_2
; %bb.111:
	s_load_b64 s[0:1], s[0:1], 0x68
	v_lshlrev_b32_e32 v0, 10, v0
	v_or_b32_e32 v1, s31, v75
	s_lshl_b32 s4, s34, 6
	v_lshlrev_b32_e32 v2, 4, v74
	s_mul_i32 s2, s4, s30
	v_lshlrev_b32_e32 v3, 6, v75
	v_mul_lo_u32 v8, v1, s4
	v_and_b32_e32 v0, 0x3800, v0
	v_or_b32_e32 v1, 2, v1
	s_mul_i32 s2, s2, s8
	s_delay_alu instid0(SALU_CYCLE_1) | instskip(NEXT) | instid1(VALU_DEP_2)
	s_ashr_i32 s3, s2, 31
	v_or3_b32 v4, v0, v2, v3
	s_lshl_b64 s[2:3], s[2:3], 1
	v_mul_lo_u32 v10, v1, s4
	v_ashrrev_i32_e32 v9, 31, v8
	ds_load_b128 v[0:3], v4
	ds_load_b128 v[4:7], v4 offset:128
	s_waitcnt lgkmcnt(0)
	s_add_u32 s2, s0, s2
	s_addc_u32 s3, s1, s3
	s_lshl_b32 s0, s14, 6
	v_ashrrev_i32_e32 v11, 31, v10
	s_ashr_i32 s1, s0, 31
	v_lshlrev_b64 v[8:9], 1, v[8:9]
	s_lshl_b64 s[0:1], s[0:1], 1
	s_delay_alu instid0(SALU_CYCLE_1) | instskip(SKIP_2) | instid1(VALU_DEP_1)
	s_add_u32 s0, s2, s0
	s_addc_u32 s1, s3, s1
	v_add_co_u32 v12, s0, s0, v73
	v_add_co_ci_u32_e64 v13, null, s1, 0, s0
	v_lshlrev_b64 v[10:11], 1, v[10:11]
	s_delay_alu instid0(VALU_DEP_3) | instskip(NEXT) | instid1(VALU_DEP_3)
	v_add_co_u32 v8, vcc_lo, v12, v8
	v_add_co_ci_u32_e32 v9, vcc_lo, v13, v9, vcc_lo
	s_delay_alu instid0(VALU_DEP_3) | instskip(NEXT) | instid1(VALU_DEP_4)
	v_add_co_u32 v10, vcc_lo, v12, v10
	v_add_co_ci_u32_e32 v11, vcc_lo, v13, v11, vcc_lo
	s_clause 0x1
	global_store_b128 v[8:9], v[0:3], off
	global_store_b128 v[10:11], v[4:7], off
	s_nop 0
	s_sendmsg sendmsg(MSG_DEALLOC_VGPRS)
	s_endpgm
	.section	.rodata,"a",@progbits
	.p2align	6, 0x0
	.amdhsa_kernel _Z39paged_attention_ll4mi_QKV_mfma16_kernelI14__hip_bfloat16hLN4vllm18Fp8KVCacheDataTypeE1ES0_Li32ELi64ELi256ELb1ELi4EL8MFMAType0EEvPKT_PKT0_S9_ifPKiSB_SB_iPKfiiiPfSE_PS4_PT2_iSD_SD_
		.amdhsa_group_segment_fixed_size 17472
		.amdhsa_private_segment_fixed_size 0
		.amdhsa_kernarg_size 400
		.amdhsa_user_sgpr_count 13
		.amdhsa_user_sgpr_dispatch_ptr 0
		.amdhsa_user_sgpr_queue_ptr 0
		.amdhsa_user_sgpr_kernarg_segment_ptr 1
		.amdhsa_user_sgpr_dispatch_id 0
		.amdhsa_user_sgpr_private_segment_size 0
		.amdhsa_wavefront_size32 1
		.amdhsa_uses_dynamic_stack 0
		.amdhsa_enable_private_segment 0
		.amdhsa_system_sgpr_workgroup_id_x 1
		.amdhsa_system_sgpr_workgroup_id_y 1
		.amdhsa_system_sgpr_workgroup_id_z 1
		.amdhsa_system_sgpr_workgroup_info 0
		.amdhsa_system_vgpr_workitem_id 0
		.amdhsa_next_free_vgpr 124
		.amdhsa_next_free_sgpr 40
		.amdhsa_reserve_vcc 1
		.amdhsa_float_round_mode_32 0
		.amdhsa_float_round_mode_16_64 0
		.amdhsa_float_denorm_mode_32 3
		.amdhsa_float_denorm_mode_16_64 3
		.amdhsa_dx10_clamp 1
		.amdhsa_ieee_mode 1
		.amdhsa_fp16_overflow 0
		.amdhsa_workgroup_processor_mode 1
		.amdhsa_memory_ordered 1
		.amdhsa_forward_progress 0
		.amdhsa_shared_vgpr_count 0
		.amdhsa_exception_fp_ieee_invalid_op 0
		.amdhsa_exception_fp_denorm_src 0
		.amdhsa_exception_fp_ieee_div_zero 0
		.amdhsa_exception_fp_ieee_overflow 0
		.amdhsa_exception_fp_ieee_underflow 0
		.amdhsa_exception_fp_ieee_inexact 0
		.amdhsa_exception_int_div_zero 0
	.end_amdhsa_kernel
	.section	.text._Z39paged_attention_ll4mi_QKV_mfma16_kernelI14__hip_bfloat16hLN4vllm18Fp8KVCacheDataTypeE1ES0_Li32ELi64ELi256ELb1ELi4EL8MFMAType0EEvPKT_PKT0_S9_ifPKiSB_SB_iPKfiiiPfSE_PS4_PT2_iSD_SD_,"axG",@progbits,_Z39paged_attention_ll4mi_QKV_mfma16_kernelI14__hip_bfloat16hLN4vllm18Fp8KVCacheDataTypeE1ES0_Li32ELi64ELi256ELb1ELi4EL8MFMAType0EEvPKT_PKT0_S9_ifPKiSB_SB_iPKfiiiPfSE_PS4_PT2_iSD_SD_,comdat
.Lfunc_end1777:
	.size	_Z39paged_attention_ll4mi_QKV_mfma16_kernelI14__hip_bfloat16hLN4vllm18Fp8KVCacheDataTypeE1ES0_Li32ELi64ELi256ELb1ELi4EL8MFMAType0EEvPKT_PKT0_S9_ifPKiSB_SB_iPKfiiiPfSE_PS4_PT2_iSD_SD_, .Lfunc_end1777-_Z39paged_attention_ll4mi_QKV_mfma16_kernelI14__hip_bfloat16hLN4vllm18Fp8KVCacheDataTypeE1ES0_Li32ELi64ELi256ELb1ELi4EL8MFMAType0EEvPKT_PKT0_S9_ifPKiSB_SB_iPKfiiiPfSE_PS4_PT2_iSD_SD_
                                        ; -- End function
	.section	.AMDGPU.csdata,"",@progbits
; Kernel info:
; codeLenInByte = 8612
; NumSgprs: 42
; NumVgprs: 124
; ScratchSize: 0
; MemoryBound: 0
; FloatMode: 240
; IeeeMode: 1
; LDSByteSize: 17472 bytes/workgroup (compile time only)
; SGPRBlocks: 5
; VGPRBlocks: 15
; NumSGPRsForWavesPerEU: 42
; NumVGPRsForWavesPerEU: 124
; Occupancy: 10
; WaveLimiterHint : 1
; COMPUTE_PGM_RSRC2:SCRATCH_EN: 0
; COMPUTE_PGM_RSRC2:USER_SGPR: 13
; COMPUTE_PGM_RSRC2:TRAP_HANDLER: 0
; COMPUTE_PGM_RSRC2:TGID_X_EN: 1
; COMPUTE_PGM_RSRC2:TGID_Y_EN: 1
; COMPUTE_PGM_RSRC2:TGID_Z_EN: 1
; COMPUTE_PGM_RSRC2:TIDIG_COMP_CNT: 0
	.section	.text._Z39paged_attention_ll4mi_QKV_mfma16_kernelI14__hip_bfloat16hLN4vllm18Fp8KVCacheDataTypeE1ES0_Li32ELi64ELi256ELb0ELi5EL8MFMAType0EEvPKT_PKT0_S9_ifPKiSB_SB_iPKfiiiPfSE_PS4_PT2_iSD_SD_,"axG",@progbits,_Z39paged_attention_ll4mi_QKV_mfma16_kernelI14__hip_bfloat16hLN4vllm18Fp8KVCacheDataTypeE1ES0_Li32ELi64ELi256ELb0ELi5EL8MFMAType0EEvPKT_PKT0_S9_ifPKiSB_SB_iPKfiiiPfSE_PS4_PT2_iSD_SD_,comdat
	.protected	_Z39paged_attention_ll4mi_QKV_mfma16_kernelI14__hip_bfloat16hLN4vllm18Fp8KVCacheDataTypeE1ES0_Li32ELi64ELi256ELb0ELi5EL8MFMAType0EEvPKT_PKT0_S9_ifPKiSB_SB_iPKfiiiPfSE_PS4_PT2_iSD_SD_ ; -- Begin function _Z39paged_attention_ll4mi_QKV_mfma16_kernelI14__hip_bfloat16hLN4vllm18Fp8KVCacheDataTypeE1ES0_Li32ELi64ELi256ELb0ELi5EL8MFMAType0EEvPKT_PKT0_S9_ifPKiSB_SB_iPKfiiiPfSE_PS4_PT2_iSD_SD_
	.globl	_Z39paged_attention_ll4mi_QKV_mfma16_kernelI14__hip_bfloat16hLN4vllm18Fp8KVCacheDataTypeE1ES0_Li32ELi64ELi256ELb0ELi5EL8MFMAType0EEvPKT_PKT0_S9_ifPKiSB_SB_iPKfiiiPfSE_PS4_PT2_iSD_SD_
	.p2align	8
	.type	_Z39paged_attention_ll4mi_QKV_mfma16_kernelI14__hip_bfloat16hLN4vllm18Fp8KVCacheDataTypeE1ES0_Li32ELi64ELi256ELb0ELi5EL8MFMAType0EEvPKT_PKT0_S9_ifPKiSB_SB_iPKfiiiPfSE_PS4_PT2_iSD_SD_,@function
_Z39paged_attention_ll4mi_QKV_mfma16_kernelI14__hip_bfloat16hLN4vllm18Fp8KVCacheDataTypeE1ES0_Li32ELi64ELi256ELb0ELi5EL8MFMAType0EEvPKT_PKT0_S9_ifPKiSB_SB_iPKfiiiPfSE_PS4_PT2_iSD_SD_: ; @_Z39paged_attention_ll4mi_QKV_mfma16_kernelI14__hip_bfloat16hLN4vllm18Fp8KVCacheDataTypeE1ES0_Li32ELi64ELi256ELb0ELi5EL8MFMAType0EEvPKT_PKT0_S9_ifPKiSB_SB_iPKfiiiPfSE_PS4_PT2_iSD_SD_
; %bb.0:
	s_load_b64 s[2:3], s[0:1], 0x30
	s_mov_b32 s34, s13
	s_waitcnt lgkmcnt(0)
	s_cmp_lg_u64 s[2:3], 0
	s_cselect_b32 s8, -1, 0
	s_ashr_i32 s35, s13, 31
	s_cmp_eq_u64 s[2:3], 0
	s_cbranch_scc1 .LBB1778_3
; %bb.1:
	s_lshl_b64 s[4:5], s[34:35], 2
	s_delay_alu instid0(SALU_CYCLE_1) | instskip(SKIP_4) | instid1(SALU_CYCLE_1)
	s_add_u32 s4, s2, s4
	s_addc_u32 s5, s3, s5
	s_load_b64 s[4:5], s[4:5], 0x0
	s_waitcnt lgkmcnt(0)
	s_sub_i32 s4, s5, s4
	s_cmp_eq_u32 s4, 1
	s_cselect_b32 s4, -1, 0
	s_delay_alu instid0(SALU_CYCLE_1)
	s_and_not1_b32 vcc_lo, exec_lo, s4
	s_cbranch_vccz .LBB1778_4
.LBB1778_2:
	s_nop 0
	s_sendmsg sendmsg(MSG_DEALLOC_VGPRS)
	s_endpgm
.LBB1778_3:
.LBB1778_4:
	s_load_b64 s[4:5], s[0:1], 0x28
	s_lshl_b64 s[6:7], s[34:35], 2
	s_waitcnt lgkmcnt(0)
	s_add_u32 s4, s4, s6
	s_addc_u32 s5, s5, s7
	s_lshl_b32 s12, s14, 8
	s_load_b32 s24, s[4:5], 0x0
	s_waitcnt lgkmcnt(0)
	s_cmp_ge_i32 s12, s24
	s_cbranch_scc1 .LBB1778_2
; %bb.5:
	s_clause 0x1
	s_load_b128 s[20:23], s[0:1], 0x8
	s_load_b64 s[4:5], s[0:1], 0x20
	s_and_not1_b32 vcc_lo, exec_lo, s8
	s_cbranch_vccnz .LBB1778_7
; %bb.6:
	s_add_u32 s2, s2, s6
	s_addc_u32 s3, s3, s7
	s_load_b32 s3, s[2:3], 0x0
	s_branch .LBB1778_8
.LBB1778_7:
	s_mov_b32 s3, s34
.LBB1778_8:
	s_load_b128 s[16:19], s[0:1], 0x48
	v_lshrrev_b32_e32 v66, 5, v0
	v_bfe_u32 v74, v0, 4, 1
	v_and_b32_e32 v65, 15, v0
	v_and_b32_e32 v67, 31, v0
	;; [unrolled: 1-line block ×3, first 2 shown]
	s_mul_i32 s31, s15, 5
	v_lshl_or_b32 v1, v66, 1, v74
	v_lshlrev_b32_e32 v2, 3, v65
	v_cmp_gt_u32_e64 s2, 8, v65
	s_delay_alu instid0(VALU_DEP_3) | instskip(NEXT) | instid1(VALU_DEP_3)
	v_cmp_gt_u32_e32 vcc_lo, 5, v1
	v_lshlrev_b32_e32 v73, 1, v2
	s_delay_alu instid0(VALU_DEP_3) | instskip(NEXT) | instid1(SALU_CYCLE_1)
	s_and_b32 s7, s2, vcc_lo
	s_and_saveexec_b32 s6, s7
	s_cbranch_execz .LBB1778_10
; %bb.9:
	s_load_b64 s[8:9], s[0:1], 0x0
	v_add_lshl_u32 v2, v1, s31, 6
	s_waitcnt lgkmcnt(0)
	s_mul_hi_i32 s11, s3, s16
	s_mul_i32 s10, s3, s16
	v_lshlrev_b32_e32 v6, 10, v65
	s_lshl_b64 s[10:11], s[10:11], 1
	v_ashrrev_i32_e32 v3, 31, v2
	v_lshlrev_b32_e32 v1, 6, v1
	v_lshlrev_b32_e32 v7, 10, v75
	v_and_b32_e32 v6, 0x3800, v6
	s_delay_alu instid0(VALU_DEP_4) | instskip(NEXT) | instid1(VALU_DEP_2)
	v_lshlrev_b64 v[2:3], 1, v[2:3]
	v_or3_b32 v1, v6, v7, v1
	s_add_u32 s3, s8, s10
	s_addc_u32 s7, s9, s11
	s_delay_alu instid0(VALU_DEP_2) | instskip(NEXT) | instid1(VALU_DEP_3)
	v_add_co_u32 v2, vcc_lo, s3, v2
	v_add_co_ci_u32_e32 v3, vcc_lo, s7, v3, vcc_lo
	s_delay_alu instid0(VALU_DEP_2) | instskip(NEXT) | instid1(VALU_DEP_2)
	v_add_co_u32 v2, vcc_lo, v2, v73
	v_add_co_ci_u32_e32 v3, vcc_lo, 0, v3, vcc_lo
	global_load_b128 v[2:5], v[2:3], off
	s_waitcnt vmcnt(0)
	ds_store_b128 v1, v[2:5]
.LBB1778_10:
	s_or_b32 exec_lo, exec_lo, s6
	v_and_b32_e32 v1, 0xef, v0
	s_waitcnt lgkmcnt(0)
	s_add_i32 s3, s24, 31
	s_clause 0x1
	s_load_b32 s6, s[0:1], 0x38
	s_load_b32 s19, s[0:1], 0x1c
	s_ashr_i32 s7, s3, 31
	v_add_nc_u32_e32 v1, s12, v1
	s_lshr_b32 s7, s7, 27
	s_waitcnt lgkmcnt(0)
	s_add_i32 s3, s3, s7
	s_barrier
	v_ashrrev_i32_e32 v2, 31, v1
	v_or_b32_e32 v3, 16, v1
	s_ashr_i32 s3, s3, 5
	v_cmp_gt_i32_e32 vcc_lo, s24, v1
	s_add_i32 s3, s3, -1
	v_lshrrev_b32_e32 v2, 27, v2
	buffer_gl0_inv
	s_mul_i32 s27, s15, s18
	v_add_nc_u32_e32 v4, v1, v2
	s_mul_i32 s6, s34, s6
	s_delay_alu instid0(SALU_CYCLE_1) | instskip(NEXT) | instid1(VALU_DEP_1)
	s_ashr_i32 s7, s6, 31
	v_ashrrev_i32_e32 v4, 5, v4
	v_add_nc_u32_e32 v2, v3, v2
	s_lshl_b64 s[6:7], s[6:7], 2
	s_delay_alu instid0(SALU_CYCLE_1) | instskip(NEXT) | instid1(VALU_DEP_2)
	s_add_u32 s26, s4, s6
	v_cndmask_b32_e32 v1, s3, v4, vcc_lo
	s_delay_alu instid0(VALU_DEP_2)
	v_ashrrev_i32_e32 v2, 5, v2
	v_cmp_gt_i32_e32 vcc_lo, s24, v3
	s_addc_u32 s25, s5, s7
	s_ashr_i32 s28, s27, 31
	s_add_u32 s4, s20, s27
	s_addc_u32 s5, s21, s28
	v_cndmask_b32_e32 v3, s3, v2, vcc_lo
	v_ashrrev_i32_e32 v2, 31, v1
	s_lshl_b32 s6, s14, 3
	s_delay_alu instid0(SALU_CYCLE_1) | instskip(NEXT) | instid1(VALU_DEP_2)
	s_ashr_i32 s7, s6, 31
	v_ashrrev_i32_e32 v4, 31, v3
	s_delay_alu instid0(VALU_DEP_2) | instskip(SKIP_1) | instid1(SALU_CYCLE_1)
	v_lshlrev_b64 v[1:2], 2, v[1:2]
	s_lshl_b64 s[6:7], s[6:7], 2
	s_add_u32 s6, s26, s6
	s_delay_alu instid0(VALU_DEP_2) | instskip(SKIP_1) | instid1(VALU_DEP_2)
	v_lshlrev_b64 v[3:4], 2, v[3:4]
	s_addc_u32 s7, s25, s7
	v_add_co_u32 v1, vcc_lo, s26, v1
	v_add_co_ci_u32_e32 v2, vcc_lo, s25, v2, vcc_lo
	s_delay_alu instid0(VALU_DEP_3) | instskip(NEXT) | instid1(VALU_DEP_4)
	v_add_co_u32 v3, vcc_lo, s26, v3
	v_add_co_ci_u32_e32 v4, vcc_lo, s25, v4, vcc_lo
	s_clause 0x1
	global_load_b32 v5, v[1:2], off
	global_load_b32 v6, v[3:4], off
	s_or_b32 s8, s12, 32
	s_delay_alu instid0(SALU_CYCLE_1) | instskip(SKIP_2) | instid1(SALU_CYCLE_1)
	s_ashr_i32 s9, s8, 5
	s_cmp_lt_i32 s8, s24
	s_cselect_b32 s8, s9, s3
	s_ashr_i32 s9, s8, 31
	s_delay_alu instid0(SALU_CYCLE_1) | instskip(NEXT) | instid1(SALU_CYCLE_1)
	s_lshl_b64 s[8:9], s[8:9], 2
	s_add_u32 s8, s26, s8
	s_addc_u32 s9, s25, s9
	s_or_b32 s10, s12, 64
	s_delay_alu instid0(SALU_CYCLE_1) | instskip(SKIP_2) | instid1(SALU_CYCLE_1)
	s_ashr_i32 s11, s10, 5
	s_cmp_lt_i32 s10, s24
	s_cselect_b32 s10, s11, s3
	s_ashr_i32 s11, s10, 31
	s_delay_alu instid0(SALU_CYCLE_1) | instskip(NEXT) | instid1(SALU_CYCLE_1)
	s_lshl_b64 s[10:11], s[10:11], 2
	s_add_u32 s10, s26, s10
	s_addc_u32 s11, s25, s11
	;; [unrolled: 10-line block ×5, first 2 shown]
	s_clause 0x5
	s_load_b32 s21, s[6:7], 0x0
	s_load_b32 s13, s[8:9], 0x0
	;; [unrolled: 1-line block ×6, first 2 shown]
	s_or_b32 s9, s12, 0xc0
	s_delay_alu instid0(SALU_CYCLE_1) | instskip(SKIP_2) | instid1(SALU_CYCLE_1)
	s_ashr_i32 s10, s9, 5
	s_cmp_lt_i32 s9, s24
	s_cselect_b32 s36, s10, s3
	s_ashr_i32 s37, s36, 31
	s_delay_alu instid0(SALU_CYCLE_1) | instskip(NEXT) | instid1(SALU_CYCLE_1)
	s_lshl_b64 s[36:37], s[36:37], 2
	s_add_u32 s36, s26, s36
	s_addc_u32 s37, s25, s37
	s_or_b32 s29, s12, 0xe0
	s_delay_alu instid0(SALU_CYCLE_1)
	s_ashr_i32 s30, s29, 5
	s_cmp_lt_i32 s29, s24
	s_waitcnt vmcnt(1)
	v_mad_i64_i32 v[1:2], null, v5, s17, s[4:5]
	s_waitcnt vmcnt(0)
	v_mad_i64_i32 v[3:4], null, v6, s17, s[4:5]
	s_mov_b32 s4, 0
	s_delay_alu instid0(SALU_CYCLE_1)
	s_mov_b32 s5, s4
	s_mov_b32 s6, s4
	;; [unrolled: 1-line block ×7, first 2 shown]
	v_lshlrev_b32_e32 v5, 4, v65
	v_dual_mov_b32 v107, s11 :: v_dual_mov_b32 v102, s6
	v_mov_b32_e32 v106, s10
	v_mov_b32_e32 v104, s8
	s_delay_alu instid0(VALU_DEP_4)
	v_add_co_u32 v1, vcc_lo, v1, v5
	v_add_co_ci_u32_e32 v2, vcc_lo, 0, v2, vcc_lo
	v_add_co_u32 v3, vcc_lo, v3, v5
	v_add_co_ci_u32_e32 v4, vcc_lo, 0, v4, vcc_lo
	s_clause 0x7
	global_load_b128 v[49:52], v[1:2], off
	global_load_b128 v[53:56], v[1:2], off offset:512
	global_load_b128 v[76:79], v[3:4], off offset:256
	global_load_b128 v[80:83], v[3:4], off offset:768
	global_load_b128 v[84:87], v[1:2], off offset:1024
	global_load_b128 v[88:91], v[1:2], off offset:1536
	global_load_b128 v[92:95], v[3:4], off offset:1280
	global_load_b128 v[96:99], v[3:4], off offset:1792
	v_mul_lo_u16 v1, v65, 52
	v_mov_b32_e32 v103, s7
	v_dual_mov_b32 v101, s5 :: v_dual_lshlrev_b32 v2, 5, v65
	v_mov_b32_e32 v100, s4
	s_delay_alu instid0(VALU_DEP_4) | instskip(NEXT) | instid1(VALU_DEP_3)
	v_lshrrev_b16 v1, 8, v1
	v_lshl_or_b32 v2, v66, 9, v2
	s_delay_alu instid0(VALU_DEP_2) | instskip(NEXT) | instid1(VALU_DEP_1)
	v_mul_lo_u16 v1, v1, 5
	v_sub_nc_u16 v1, v65, v1
	s_delay_alu instid0(VALU_DEP_1)
	v_and_b32_e32 v1, 0xff, v1
	v_mov_b32_e32 v105, s9
	s_cselect_b32 s4, s30, s3
	s_load_b32 s3, s[36:37], 0x0
	s_ashr_i32 s5, s4, 31
	v_lshlrev_b32_e32 v70, 6, v1
	s_lshl_b64 s[4:5], s[4:5], 2
	ds_load_b128 v[108:111], v70
	ds_load_b128 v[112:115], v70 offset:1024
	s_add_u32 s4, s26, s4
	s_addc_u32 s5, s25, s5
	s_add_u32 s6, s22, s27
	s_load_b32 s4, s[4:5], 0x0
	s_addc_u32 s7, s23, s28
	v_add_co_u32 v9, s6, s6, v2
	s_delay_alu instid0(VALU_DEP_1) | instskip(SKIP_1) | instid1(VALU_DEP_1)
	v_add_co_ci_u32_e64 v10, null, s7, 0, s6
	s_waitcnt lgkmcnt(0)
	v_mad_i64_i32 v[1:2], null, s21, s17, v[9:10]
	v_mad_i64_i32 v[3:4], null, s13, s17, v[9:10]
	;; [unrolled: 1-line block ×7, first 2 shown]
	s_clause 0x9
	global_load_b128 v[57:60], v[1:2], off
	global_load_b128 v[61:64], v[1:2], off offset:16
	global_load_b128 v[41:44], v[3:4], off
	global_load_b128 v[45:48], v[3:4], off offset:16
	;; [unrolled: 2-line block ×5, first 2 shown]
	v_mad_i64_i32 v[68:69], null, s4, s17, v[9:10]
	s_clause 0x3
	global_load_b128 v[9:12], v[13:14], off
	global_load_b128 v[13:16], v[13:14], off offset:16
	global_load_b128 v[17:20], v[21:22], off
	global_load_b128 v[21:24], v[21:22], off offset:16
	s_waitcnt vmcnt(20)
	v_wmma_f32_16x16x16_bf16 v[116:123], v[49:56], v[108:115], v[100:107]
	s_clause 0x1
	global_load_b128 v[49:52], v[68:69], off
	global_load_b128 v[53:56], v[68:69], off offset:16
	v_and_b32_e32 v68, 0xe0, v0
	v_mbcnt_lo_u32_b32 v69, -1, 0
	s_delay_alu instid0(VALU_DEP_2)
	v_add_nc_u32_e32 v68, s12, v68
	s_waitcnt vmcnt(20)
	v_wmma_f32_16x16x16_bf16 v[100:107], v[76:83], v[108:115], v[100:107]
	ds_load_b128 v[76:79], v70 offset:2048
	ds_load_b128 v[80:83], v70 offset:3072
	v_xor_b32_e32 v70, 16, v69
	s_waitcnt vmcnt(0) lgkmcnt(0)
	v_or_b32_e32 v68, v68, v74
	s_barrier
	buffer_gl0_inv
	v_cmp_gt_i32_e32 vcc_lo, 32, v70
	v_or_b32_e32 v71, 4, v68
	v_or_b32_e32 v72, 6, v68
	v_cmp_gt_i32_e64 s3, s24, v68
	v_or_b32_e32 v108, 8, v68
	v_or_b32_e32 v109, 10, v68
	v_cmp_gt_i32_e64 s4, s24, v71
	v_cmp_gt_i32_e64 s5, s24, v72
	s_delay_alu instid0(VALU_DEP_4) | instskip(NEXT) | instid1(VALU_DEP_4)
	v_cmp_gt_i32_e64 s6, s24, v108
	v_cmp_gt_i32_e64 s7, s24, v109
	v_wmma_f32_16x16x16_bf16 v[116:123], v[84:91], v[76:83], v[116:123]
	v_cndmask_b32_e32 v69, v69, v70, vcc_lo
	v_or_b32_e32 v70, 2, v68
	v_wmma_f32_16x16x16_bf16 v[100:107], v[92:99], v[76:83], v[100:107]
	v_or_b32_e32 v84, 12, v68
	v_dual_mul_f32 v78, s19, v123 :: v_dual_mul_f32 v83, s19, v118
	v_dual_mul_f32 v92, s19, v117 :: v_dual_mul_f32 v93, s19, v116
	s_delay_alu instid0(VALU_DEP_4) | instskip(SKIP_2) | instid1(VALU_DEP_4)
	v_mul_f32_e32 v94, s19, v107
	v_cmp_gt_i32_e32 vcc_lo, s24, v70
	v_dual_mul_f32 v81, s19, v120 :: v_dual_mul_f32 v82, s19, v119
	v_cndmask_b32_e64 v93, 0xff7fffff, v93, s3
	v_or_b32_e32 v85, 14, v68
	v_cndmask_b32_e32 v92, 0xff7fffff, v92, vcc_lo
	v_dual_mul_f32 v79, s19, v122 :: v_dual_mul_f32 v80, s19, v121
	v_cndmask_b32_e64 v71, 0xff7fffff, v83, s4
	v_cndmask_b32_e64 v72, 0xff7fffff, v82, s5
	s_delay_alu instid0(VALU_DEP_4)
	v_max3_f32 v82, v93, 0xff7fffff, v92
	v_or_b32_e32 v86, 16, v68
	v_or_b32_e32 v87, 18, v68
	v_cndmask_b32_e64 v81, 0xff7fffff, v81, s6
	v_cndmask_b32_e64 v80, 0xff7fffff, v80, s7
	v_max3_f32 v71, v82, v71, v72
	v_cmp_gt_i32_e64 s8, s24, v84
	v_cmp_gt_i32_e64 s9, s24, v85
	v_or_b32_e32 v88, 20, v68
	v_or_b32_e32 v89, 22, v68
	;; [unrolled: 1-line block ×6, first 2 shown]
	v_dual_mul_f32 v99, s19, v102 :: v_dual_mul_f32 v70, s19, v101
	v_mul_f32_e32 v68, s19, v100
	v_cndmask_b32_e64 v72, 0xff7fffff, v79, s8
	v_cndmask_b32_e64 v78, 0xff7fffff, v78, s9
	v_max3_f32 v71, v71, v81, v80
	v_cmp_gt_i32_e64 s10, s24, v86
	v_cmp_gt_i32_e64 s11, s24, v87
	v_dual_mul_f32 v97, s19, v104 :: v_dual_mul_f32 v98, s19, v103
	s_delay_alu instid0(VALU_DEP_4) | instskip(SKIP_1) | instid1(VALU_DEP_4)
	v_max3_f32 v71, v71, v72, v78
	v_cmp_gt_i32_e64 s12, s24, v88
	v_cndmask_b32_e64 v70, 0xff7fffff, v70, s11
	v_cmp_gt_i32_e64 s13, s24, v89
	v_lshlrev_b32_e32 v89, 2, v69
	v_cndmask_b32_e64 v68, 0xff7fffff, v68, s10
	v_dual_mul_f32 v95, s19, v106 :: v_dual_mul_f32 v96, s19, v105
	v_cndmask_b32_e64 v72, 0xff7fffff, v99, s12
	v_cndmask_b32_e64 v78, 0xff7fffff, v98, s13
	s_delay_alu instid0(VALU_DEP_4)
	v_max3_f32 v68, v71, v68, v70
	v_cmp_gt_i32_e64 s15, s24, v90
	v_cmp_gt_i32_e64 s16, s24, v91
	;; [unrolled: 1-line block ×4, first 2 shown]
	v_max3_f32 v68, v68, v72, v78
	v_cndmask_b32_e64 v70, 0xff7fffff, v97, s15
	v_cndmask_b32_e64 v71, 0xff7fffff, v96, s16
	;; [unrolled: 1-line block ×4, first 2 shown]
	s_delay_alu instid0(VALU_DEP_3) | instskip(NEXT) | instid1(VALU_DEP_1)
	v_max3_f32 v68, v68, v70, v71
	v_max3_f32 v68, v68, v72, v76
	ds_bpermute_b32 v69, v89, v68
	s_waitcnt lgkmcnt(0)
	v_max_f32_e32 v69, v69, v69
	s_delay_alu instid0(VALU_DEP_1) | instskip(NEXT) | instid1(VALU_DEP_1)
	v_max_f32_e32 v68, v68, v69
	v_fma_f32 v71, s19, v118, -v68
	s_delay_alu instid0(VALU_DEP_1)
	v_mul_f32_e32 v71, 0x3fb8aa3b, v71
	v_fma_f32 v69, s19, v116, -v68
	v_fma_f32 v70, s19, v117, -v68
	;; [unrolled: 1-line block ×4, first 2 shown]
	v_exp_f32_e32 v71, v71
	s_delay_alu instid0(VALU_DEP_3) | instskip(SKIP_2) | instid1(VALU_DEP_3)
	v_dual_mul_f32 v69, 0x3fb8aa3b, v69 :: v_dual_mul_f32 v70, 0x3fb8aa3b, v70
	v_fma_f32 v78, s19, v122, -v68
	v_fma_f32 v81, s19, v105, -v68
	v_exp_f32_e32 v69, v69
	s_delay_alu instid0(VALU_DEP_3) | instskip(SKIP_1) | instid1(VALU_DEP_2)
	v_exp_f32_e32 v70, v70
	v_mul_f32_e32 v77, 0x3fb8aa3b, v76
	v_mul_f32_e32 v81, 0x3fb8aa3b, v81
	s_delay_alu instid0(TRANS32_DEP_3) | instskip(SKIP_1) | instid1(VALU_DEP_3)
	v_cndmask_b32_e64 v83, 0, v71, s4
	v_fma_f32 v71, s19, v123, -v68
	v_exp_f32_e32 v81, v81
	s_delay_alu instid0(TRANS32_DEP_3) | instskip(NEXT) | instid1(TRANS32_DEP_2)
	v_cndmask_b32_e64 v80, 0, v69, s3
	v_cndmask_b32_e32 v76, 0, v70, vcc_lo
	v_fma_f32 v69, s19, v121, -v68
	v_mul_f32_e32 v72, 0x3fb8aa3b, v72
	v_exp_f32_e32 v77, v77
	v_dual_add_f32 v70, 0, v80 :: v_dual_mul_f32 v71, 0x3fb8aa3b, v71
	s_delay_alu instid0(VALU_DEP_3) | instskip(NEXT) | instid1(VALU_DEP_3)
	v_mul_f32_e32 v69, 0x3fb8aa3b, v69
	v_exp_f32_e32 v72, v72
	v_cmp_gt_u32_e64 s3, 16, v67
	s_delay_alu instid0(VALU_DEP_3) | instskip(NEXT) | instid1(VALU_DEP_2)
	v_exp_f32_e32 v71, v71
	v_exp_f32_e32 v69, v69
	v_cndmask_b32_e64 v86, 0, v77, s6
	v_fma_f32 v77, s19, v101, -v68
	v_add_f32_e32 v70, v70, v76
	s_delay_alu instid0(TRANS32_DEP_3) | instskip(SKIP_1) | instid1(VALU_DEP_3)
	v_cndmask_b32_e64 v85, 0, v72, s5
	v_fma_f32 v72, s19, v100, -v68
	v_dual_mul_f32 v77, 0x3fb8aa3b, v77 :: v_dual_add_f32 v70, v70, v83
	s_delay_alu instid0(TRANS32_DEP_2) | instskip(SKIP_1) | instid1(TRANS32_DEP_1)
	v_cndmask_b32_e64 v88, 0, v71, s9
	v_fma_f32 v71, s19, v104, -v68
	v_cndmask_b32_e64 v87, 0, v69, s7
	s_delay_alu instid0(VALU_DEP_4) | instskip(NEXT) | instid1(VALU_DEP_2)
	v_exp_f32_e32 v77, v77
	v_dual_add_f32 v70, v70, v85 :: v_dual_mul_f32 v71, 0x3fb8aa3b, v71
	s_delay_alu instid0(VALU_DEP_1) | instskip(SKIP_2) | instid1(VALU_DEP_3)
	v_dual_mul_f32 v72, 0x3fb8aa3b, v72 :: v_dual_add_f32 v69, v70, v86
	v_mul_f32_e32 v78, 0x3fb8aa3b, v78
	v_fma_f32 v70, s19, v102, -v68
	v_exp_f32_e32 v72, v72
	v_exp_f32_e32 v82, v71
	v_add_f32_e32 v69, v69, v87
	v_exp_f32_e32 v78, v78
	v_mul_f32_e32 v70, 0x3fb8aa3b, v70
	s_delay_alu instid0(VALU_DEP_1) | instskip(SKIP_4) | instid1(VALU_DEP_2)
	v_exp_f32_e32 v79, v70
	v_cndmask_b32_e64 v70, 0, v72, s10
	s_waitcnt_depctr 0xfff
	v_cndmask_b32_e64 v84, 0, v78, s8
	v_fma_f32 v78, s19, v103, -v68
	v_add_f32_e32 v69, v69, v84
	v_cndmask_b32_e64 v71, 0, v79, s12
	s_delay_alu instid0(VALU_DEP_2) | instskip(SKIP_2) | instid1(VALU_DEP_1)
	v_add_f32_e32 v72, v69, v88
	v_cndmask_b32_e64 v69, 0, v77, s11
	v_fma_f32 v77, s19, v106, -v68
	v_dual_mul_f32 v77, 0x3fb8aa3b, v77 :: v_dual_add_f32 v72, v72, v70
	v_mul_f32_e32 v78, 0x3fb8aa3b, v78
	s_delay_alu instid0(VALU_DEP_2) | instskip(NEXT) | instid1(VALU_DEP_2)
	v_exp_f32_e32 v90, v77
	v_add_f32_e32 v79, v72, v69
	s_delay_alu instid0(VALU_DEP_2)
	v_exp_f32_e32 v78, v78
	v_cndmask_b32_e64 v77, 0, v82, s15
	s_waitcnt_depctr 0xfff
	v_cndmask_b32_e64 v72, 0, v78, s13
	v_add_f32_e32 v78, v79, v71
	v_fma_f32 v79, s19, v107, -v68
	s_delay_alu instid0(VALU_DEP_1) | instskip(SKIP_1) | instid1(VALU_DEP_2)
	v_dual_add_f32 v82, v78, v72 :: v_dual_mul_f32 v79, 0x3fb8aa3b, v79
	v_cndmask_b32_e64 v78, 0, v81, s16
	v_add_f32_e32 v81, v82, v77
	s_delay_alu instid0(VALU_DEP_3) | instskip(SKIP_1) | instid1(VALU_DEP_2)
	v_exp_f32_e32 v82, v79
	v_cndmask_b32_e64 v79, 0, v90, s17
	v_add_f32_e32 v81, v81, v78
	s_delay_alu instid0(VALU_DEP_1) | instskip(SKIP_2) | instid1(VALU_DEP_1)
	v_add_f32_e32 v90, v81, v79
	s_waitcnt_depctr 0xfff
	v_cndmask_b32_e64 v81, 0, v82, s18
	v_add_f32_e32 v82, v90, v81
	ds_bpermute_b32 v89, v89, v82
	s_and_saveexec_b32 s4, s3
	s_cbranch_execz .LBB1778_12
; %bb.11:
	v_mul_u32_u24_e32 v67, 0x44, v66
	s_delay_alu instid0(VALU_DEP_1) | instskip(SKIP_1) | instid1(VALU_DEP_1)
	v_lshl_add_u32 v67, v65, 2, v67
	s_waitcnt lgkmcnt(0)
	v_dual_add_f32 v82, v82, v89 :: v_dual_add_nc_u32 v67, 0x4000, v67
	ds_store_2addr_b32 v67, v68, v82 offset1:136
.LBB1778_12:
	s_or_b32 exec_lo, exec_lo, s4
	v_lshlrev_b32_e32 v67, 2, v65
	s_waitcnt lgkmcnt(0)
	s_barrier
	buffer_gl0_inv
	v_cmp_eq_u32_e32 vcc_lo, 1, v66
	v_add_nc_u32_e32 v82, 0x4000, v67
	v_cmp_eq_u32_e64 s4, 2, v66
	v_cmp_eq_u32_e64 s6, 7, v66
	ds_load_2addr_b32 v[89:90], v82 offset1:17
	ds_load_2addr_b32 v[91:92], v82 offset0:34 offset1:51
	ds_load_2addr_b32 v[93:94], v82 offset0:68 offset1:85
	;; [unrolled: 1-line block ×4, first 2 shown]
	s_waitcnt lgkmcnt(4)
	v_max3_f32 v67, v89, 0xff7fffff, v90
	s_waitcnt lgkmcnt(3)
	s_delay_alu instid0(VALU_DEP_1) | instskip(SKIP_1) | instid1(VALU_DEP_1)
	v_max3_f32 v67, v67, v91, v92
	s_waitcnt lgkmcnt(2)
	v_max3_f32 v67, v67, v93, v94
	s_waitcnt lgkmcnt(1)
	s_delay_alu instid0(VALU_DEP_1) | instskip(NEXT) | instid1(VALU_DEP_1)
	v_max3_f32 v67, v67, v95, v96
	v_sub_f32_e32 v93, v93, v67
	s_delay_alu instid0(VALU_DEP_1) | instskip(NEXT) | instid1(VALU_DEP_1)
	v_dual_sub_f32 v68, v89, v67 :: v_dual_mul_f32 v103, 0x3fb8aa3b, v93
	v_mul_f32_e32 v68, 0x3fb8aa3b, v68
	s_delay_alu instid0(VALU_DEP_1)
	v_exp_f32_e32 v100, v68
	v_sub_f32_e32 v68, v92, v67
	v_sub_f32_e32 v99, v90, v67
	ds_load_2addr_b32 v[89:90], v82 offset0:170 offset1:187
	v_dual_mul_f32 v102, 0x3fb8aa3b, v68 :: v_dual_mul_f32 v99, 0x3fb8aa3b, v99
	s_waitcnt lgkmcnt(1)
	v_fma_f32 v68, v100, v97, 0
	s_delay_alu instid0(VALU_DEP_2) | instskip(NEXT) | instid1(VALU_DEP_2)
	v_exp_f32_e32 v102, v102
	v_exp_f32_e32 v99, v99
	s_waitcnt_depctr 0xfff
	v_fmac_f32_e32 v68, v99, v98
	v_sub_f32_e32 v91, v91, v67
	s_delay_alu instid0(VALU_DEP_1)
	v_mul_f32_e32 v101, 0x3fb8aa3b, v91
	ds_load_2addr_b32 v[91:92], v82 offset0:204 offset1:221
	v_sub_f32_e32 v97, v94, v67
	ds_load_2addr_b32 v[93:94], v82 offset0:238 offset1:255
	s_waitcnt lgkmcnt(0)
	v_exp_f32_e32 v101, v101
	s_barrier
	buffer_gl0_inv
	v_dual_fmac_f32 v68, v101, v89 :: v_dual_sub_f32 v89, v96, v67
	v_dual_sub_f32 v82, v95, v67 :: v_dual_mul_f32 v95, 0x3fb8aa3b, v97
	v_exp_f32_e32 v97, v103
	s_delay_alu instid0(VALU_DEP_2) | instskip(NEXT) | instid1(VALU_DEP_2)
	v_dual_fmac_f32 v68, v102, v90 :: v_dual_mul_f32 v89, 0x3fb8aa3b, v89
	v_mul_f32_e32 v82, 0x3fb8aa3b, v82
	s_delay_alu instid0(VALU_DEP_3) | instskip(NEXT) | instid1(VALU_DEP_2)
	v_exp_f32_e32 v95, v95
	v_exp_f32_e32 v89, v89
	s_delay_alu instid0(VALU_DEP_1)
	v_exp_f32_e32 v82, v82
	v_fmac_f32_e32 v68, v97, v91
	s_delay_alu instid0(TRANS32_DEP_3) | instid1(VALU_DEP_1)
	v_fmac_f32_e32 v68, v95, v92
	s_waitcnt_depctr 0xfff
	v_fmac_f32_e32 v68, v82, v93
	s_delay_alu instid0(VALU_DEP_1) | instskip(NEXT) | instid1(VALU_DEP_1)
	v_fmac_f32_e32 v68, v89, v94
	v_add_f32_e32 v90, 0x358637bd, v68
	s_delay_alu instid0(VALU_DEP_1) | instskip(NEXT) | instid1(VALU_DEP_1)
	v_div_scale_f32 v91, null, v90, v90, 1.0
	v_rcp_f32_e32 v92, v91
	s_waitcnt_depctr 0xfff
	v_fma_f32 v93, -v91, v92, 1.0
	s_delay_alu instid0(VALU_DEP_1) | instskip(SKIP_1) | instid1(VALU_DEP_2)
	v_dual_fmac_f32 v92, v93, v92 :: v_dual_cndmask_b32 v93, v100, v99
	v_cmp_eq_u32_e32 vcc_lo, 3, v66
	v_cndmask_b32_e64 v93, v93, v101, s4
	v_cmp_eq_u32_e64 s4, 4, v66
	s_delay_alu instid0(VALU_DEP_2) | instskip(SKIP_1) | instid1(VALU_DEP_2)
	v_cndmask_b32_e32 v93, v93, v102, vcc_lo
	v_cmp_eq_u32_e32 vcc_lo, 5, v66
	v_cndmask_b32_e64 v93, v93, v97, s4
	v_cmp_eq_u32_e64 s4, 6, v66
	s_delay_alu instid0(VALU_DEP_2) | instskip(SKIP_1) | instid1(VALU_DEP_1)
	v_cndmask_b32_e32 v93, v93, v95, vcc_lo
	v_div_scale_f32 v94, s5, 1.0, v90, 1.0
	s_mov_b32 vcc_lo, s5
	s_delay_alu instid0(VALU_DEP_2) | instskip(NEXT) | instid1(VALU_DEP_2)
	v_cndmask_b32_e64 v82, v93, v82, s4
	v_mul_f32_e32 v96, v94, v92
	s_mov_b32 s4, exec_lo
	s_delay_alu instid0(VALU_DEP_2) | instskip(NEXT) | instid1(VALU_DEP_2)
	v_cndmask_b32_e64 v82, v82, v89, s6
	v_fma_f32 v98, -v91, v96, v94
	s_delay_alu instid0(VALU_DEP_1) | instskip(NEXT) | instid1(VALU_DEP_1)
	v_fmac_f32_e32 v96, v98, v92
	v_fma_f32 v91, -v91, v96, v94
	s_delay_alu instid0(VALU_DEP_1) | instskip(NEXT) | instid1(VALU_DEP_1)
	v_div_fmas_f32 v91, v91, v92, v96
	v_div_fixup_f32 v90, v91, v90, 1.0
	s_delay_alu instid0(VALU_DEP_1) | instskip(NEXT) | instid1(VALU_DEP_1)
	v_mul_f32_e32 v82, v82, v90
	v_mul_f32_e32 v87, v82, v87
	;; [unrolled: 1-line block ×7, first 2 shown]
	v_dual_mul_f32 v86, v82, v83 :: v_dual_and_b32 v91, 0x7f800000, v90
	v_mul_f32_e32 v85, v82, v76
                                        ; implicit-def: $vgpr76
	s_delay_alu instid0(VALU_DEP_2)
	v_cmpx_ne_u32_e32 0x7f800000, v91
	s_xor_b32 s4, exec_lo, s4
; %bb.13:
	v_bfe_u32 v76, v90, 16, 1
	s_delay_alu instid0(VALU_DEP_1)
	v_add3_u32 v76, v90, v76, 0x7fff
                                        ; implicit-def: $vgpr90
; %bb.14:
	s_and_not1_saveexec_b32 s4, s4
; %bb.15:
	v_and_b32_e32 v76, 0xffff, v90
	v_or_b32_e32 v83, 0x10000, v90
	s_delay_alu instid0(VALU_DEP_2) | instskip(NEXT) | instid1(VALU_DEP_2)
	v_cmp_eq_u32_e32 vcc_lo, 0, v76
	v_cndmask_b32_e32 v76, v83, v90, vcc_lo
; %bb.16:
	s_or_b32 exec_lo, exec_lo, s4
	v_and_b32_e32 v83, 0x7f800000, v85
	s_delay_alu instid0(VALU_DEP_1) | instskip(SKIP_1) | instid1(SALU_CYCLE_1)
	v_cmp_ne_u32_e32 vcc_lo, 0x7f800000, v83
                                        ; implicit-def: $vgpr83
	s_and_saveexec_b32 s4, vcc_lo
	s_xor_b32 s4, exec_lo, s4
; %bb.17:
	v_bfe_u32 v83, v85, 16, 1
	s_delay_alu instid0(VALU_DEP_1)
	v_add3_u32 v83, v85, v83, 0x7fff
                                        ; implicit-def: $vgpr85
; %bb.18:
	s_and_not1_saveexec_b32 s4, s4
; %bb.19:
	v_and_b32_e32 v83, 0xffff, v85
	v_or_b32_e32 v90, 0x10000, v85
	s_delay_alu instid0(VALU_DEP_2) | instskip(NEXT) | instid1(VALU_DEP_2)
	v_cmp_eq_u32_e32 vcc_lo, 0, v83
	v_cndmask_b32_e32 v83, v90, v85, vcc_lo
; %bb.20:
	s_or_b32 exec_lo, exec_lo, s4
	v_and_b32_e32 v85, 0x7f800000, v86
	s_delay_alu instid0(VALU_DEP_1) | instskip(SKIP_1) | instid1(SALU_CYCLE_1)
	v_cmp_ne_u32_e32 vcc_lo, 0x7f800000, v85
                                        ; implicit-def: $vgpr85
	s_and_saveexec_b32 s4, vcc_lo
	s_xor_b32 s4, exec_lo, s4
; %bb.21:
	v_bfe_u32 v85, v86, 16, 1
	s_delay_alu instid0(VALU_DEP_1)
	v_add3_u32 v85, v86, v85, 0x7fff
                                        ; implicit-def: $vgpr86
; %bb.22:
	s_and_not1_saveexec_b32 s4, s4
; %bb.23:
	v_and_b32_e32 v85, 0xffff, v86
	v_or_b32_e32 v90, 0x10000, v86
	s_delay_alu instid0(VALU_DEP_2) | instskip(NEXT) | instid1(VALU_DEP_2)
	v_cmp_eq_u32_e32 vcc_lo, 0, v85
	v_cndmask_b32_e32 v85, v90, v86, vcc_lo
; %bb.24:
	s_or_b32 exec_lo, exec_lo, s4
	v_and_b32_e32 v86, 0x7f800000, v89
	s_delay_alu instid0(VALU_DEP_1) | instskip(SKIP_1) | instid1(SALU_CYCLE_1)
	v_cmp_ne_u32_e32 vcc_lo, 0x7f800000, v86
                                        ; implicit-def: $vgpr86
	s_and_saveexec_b32 s4, vcc_lo
	s_xor_b32 s4, exec_lo, s4
; %bb.25:
	v_bfe_u32 v86, v89, 16, 1
	s_delay_alu instid0(VALU_DEP_1)
	v_add3_u32 v86, v89, v86, 0x7fff
                                        ; implicit-def: $vgpr89
; %bb.26:
	s_and_not1_saveexec_b32 s4, s4
; %bb.27:
	v_and_b32_e32 v86, 0xffff, v89
	v_or_b32_e32 v90, 0x10000, v89
	s_delay_alu instid0(VALU_DEP_2) | instskip(NEXT) | instid1(VALU_DEP_2)
	v_cmp_eq_u32_e32 vcc_lo, 0, v86
	v_cndmask_b32_e32 v86, v90, v89, vcc_lo
; %bb.28:
	s_or_b32 exec_lo, exec_lo, s4
	v_and_b32_e32 v89, 0x7f800000, v88
	s_delay_alu instid0(VALU_DEP_1) | instskip(SKIP_1) | instid1(SALU_CYCLE_1)
	v_cmp_ne_u32_e32 vcc_lo, 0x7f800000, v89
                                        ; implicit-def: $vgpr89
	s_and_saveexec_b32 s4, vcc_lo
	s_xor_b32 s4, exec_lo, s4
; %bb.29:
	v_bfe_u32 v89, v88, 16, 1
	s_delay_alu instid0(VALU_DEP_1)
	v_add3_u32 v89, v88, v89, 0x7fff
                                        ; implicit-def: $vgpr88
; %bb.30:
	s_and_not1_saveexec_b32 s4, s4
; %bb.31:
	v_and_b32_e32 v89, 0xffff, v88
	v_or_b32_e32 v90, 0x10000, v88
	s_delay_alu instid0(VALU_DEP_2) | instskip(NEXT) | instid1(VALU_DEP_2)
	v_cmp_eq_u32_e32 vcc_lo, 0, v89
	v_cndmask_b32_e32 v89, v90, v88, vcc_lo
; %bb.32:
	s_or_b32 exec_lo, exec_lo, s4
	v_and_b32_e32 v88, 0x7f800000, v87
	s_delay_alu instid0(VALU_DEP_1) | instskip(SKIP_1) | instid1(SALU_CYCLE_1)
	v_cmp_ne_u32_e32 vcc_lo, 0x7f800000, v88
                                        ; implicit-def: $vgpr88
	s_and_saveexec_b32 s4, vcc_lo
	s_xor_b32 s4, exec_lo, s4
; %bb.33:
	v_bfe_u32 v88, v87, 16, 1
	s_delay_alu instid0(VALU_DEP_1)
	v_add3_u32 v88, v87, v88, 0x7fff
                                        ; implicit-def: $vgpr87
; %bb.34:
	s_and_not1_saveexec_b32 s4, s4
; %bb.35:
	v_and_b32_e32 v88, 0xffff, v87
	v_or_b32_e32 v90, 0x10000, v87
	s_delay_alu instid0(VALU_DEP_2) | instskip(NEXT) | instid1(VALU_DEP_2)
	v_cmp_eq_u32_e32 vcc_lo, 0, v88
	v_cndmask_b32_e32 v88, v90, v87, vcc_lo
; %bb.36:
	s_or_b32 exec_lo, exec_lo, s4
	v_and_b32_e32 v87, 0x7f800000, v84
	s_delay_alu instid0(VALU_DEP_1) | instskip(SKIP_1) | instid1(SALU_CYCLE_1)
	v_cmp_ne_u32_e32 vcc_lo, 0x7f800000, v87
                                        ; implicit-def: $vgpr87
	s_and_saveexec_b32 s4, vcc_lo
	s_xor_b32 s4, exec_lo, s4
; %bb.37:
	v_bfe_u32 v87, v84, 16, 1
	s_delay_alu instid0(VALU_DEP_1)
	v_add3_u32 v87, v84, v87, 0x7fff
                                        ; implicit-def: $vgpr84
; %bb.38:
	s_and_not1_saveexec_b32 s4, s4
; %bb.39:
	v_and_b32_e32 v87, 0xffff, v84
	v_or_b32_e32 v90, 0x10000, v84
	s_delay_alu instid0(VALU_DEP_2) | instskip(NEXT) | instid1(VALU_DEP_2)
	v_cmp_eq_u32_e32 vcc_lo, 0, v87
	v_cndmask_b32_e32 v87, v90, v84, vcc_lo
; %bb.40:
	s_or_b32 exec_lo, exec_lo, s4
	v_and_b32_e32 v84, 0x7f800000, v80
	s_delay_alu instid0(VALU_DEP_1) | instskip(SKIP_1) | instid1(SALU_CYCLE_1)
	v_cmp_ne_u32_e32 vcc_lo, 0x7f800000, v84
                                        ; implicit-def: $vgpr84
	s_and_saveexec_b32 s4, vcc_lo
	s_xor_b32 s4, exec_lo, s4
; %bb.41:
	v_bfe_u32 v84, v80, 16, 1
	s_delay_alu instid0(VALU_DEP_1)
	v_add3_u32 v84, v80, v84, 0x7fff
                                        ; implicit-def: $vgpr80
; %bb.42:
	s_and_not1_saveexec_b32 s4, s4
; %bb.43:
	v_and_b32_e32 v84, 0xffff, v80
	v_or_b32_e32 v90, 0x10000, v80
	s_delay_alu instid0(VALU_DEP_2) | instskip(NEXT) | instid1(VALU_DEP_2)
	v_cmp_eq_u32_e32 vcc_lo, 0, v84
	v_cndmask_b32_e32 v84, v90, v80, vcc_lo
; %bb.44:
	s_or_b32 exec_lo, exec_lo, s4
	s_load_b64 s[36:37], s[0:1], 0x94
	v_lshlrev_b32_e32 v91, 4, v74
	s_delay_alu instid0(VALU_DEP_2)
	v_perm_b32 v90, v84, v87, 0x7060302
	v_dual_mul_f32 v79, v82, v79 :: v_dual_lshlrev_b32 v80, 6, v65
	v_dual_mul_f32 v77, v82, v77 :: v_dual_lshlrev_b32 v92, 11, v66
	v_mul_f32_e32 v84, v82, v70
	v_perm_b32 v89, v88, v89, 0x7060302
	v_perm_b32 v88, v86, v85, 0x7060302
	;; [unrolled: 1-line block ×3, first 2 shown]
	v_mul_f32_e32 v70, v82, v81
	v_or3_b32 v76, v91, v92, v80
	v_dual_mul_f32 v78, v82, v78 :: v_dual_and_b32 v85, 0x7f800000, v84
	v_mul_f32_e32 v83, v82, v72
	v_mul_f32_e32 v81, v82, v71
	;; [unrolled: 1-line block ×3, first 2 shown]
	s_mov_b32 s4, exec_lo
	ds_store_b128 v76, v[87:90]
                                        ; implicit-def: $vgpr69
	v_cmpx_ne_u32_e32 0x7f800000, v85
	s_xor_b32 s4, exec_lo, s4
; %bb.45:
	v_bfe_u32 v69, v84, 16, 1
	s_delay_alu instid0(VALU_DEP_1)
	v_add3_u32 v69, v84, v69, 0x7fff
                                        ; implicit-def: $vgpr84
; %bb.46:
	s_and_not1_saveexec_b32 s4, s4
; %bb.47:
	v_and_b32_e32 v69, 0xffff, v84
	v_or_b32_e32 v71, 0x10000, v84
	s_delay_alu instid0(VALU_DEP_2) | instskip(NEXT) | instid1(VALU_DEP_2)
	v_cmp_eq_u32_e32 vcc_lo, 0, v69
	v_cndmask_b32_e32 v69, v71, v84, vcc_lo
; %bb.48:
	s_or_b32 exec_lo, exec_lo, s4
	v_and_b32_e32 v71, 0x7f800000, v72
	s_delay_alu instid0(VALU_DEP_1) | instskip(SKIP_1) | instid1(SALU_CYCLE_1)
	v_cmp_ne_u32_e32 vcc_lo, 0x7f800000, v71
                                        ; implicit-def: $vgpr71
	s_and_saveexec_b32 s4, vcc_lo
	s_xor_b32 s4, exec_lo, s4
; %bb.49:
	v_bfe_u32 v71, v72, 16, 1
	s_delay_alu instid0(VALU_DEP_1)
	v_add3_u32 v71, v72, v71, 0x7fff
                                        ; implicit-def: $vgpr72
; %bb.50:
	s_and_not1_saveexec_b32 s4, s4
; %bb.51:
	v_and_b32_e32 v71, 0xffff, v72
	v_or_b32_e32 v82, 0x10000, v72
	s_delay_alu instid0(VALU_DEP_2) | instskip(NEXT) | instid1(VALU_DEP_2)
	v_cmp_eq_u32_e32 vcc_lo, 0, v71
	v_cndmask_b32_e32 v71, v82, v72, vcc_lo
; %bb.52:
	s_or_b32 exec_lo, exec_lo, s4
	v_and_b32_e32 v72, 0x7f800000, v81
	s_delay_alu instid0(VALU_DEP_1) | instskip(SKIP_1) | instid1(SALU_CYCLE_1)
	v_cmp_ne_u32_e32 vcc_lo, 0x7f800000, v72
                                        ; implicit-def: $vgpr72
	s_and_saveexec_b32 s4, vcc_lo
	s_xor_b32 s4, exec_lo, s4
; %bb.53:
	v_bfe_u32 v72, v81, 16, 1
	s_delay_alu instid0(VALU_DEP_1)
	v_add3_u32 v72, v81, v72, 0x7fff
                                        ; implicit-def: $vgpr81
; %bb.54:
	s_and_not1_saveexec_b32 s4, s4
; %bb.55:
	v_and_b32_e32 v72, 0xffff, v81
	v_or_b32_e32 v82, 0x10000, v81
	s_delay_alu instid0(VALU_DEP_2) | instskip(NEXT) | instid1(VALU_DEP_2)
	v_cmp_eq_u32_e32 vcc_lo, 0, v72
	v_cndmask_b32_e32 v72, v82, v81, vcc_lo
; %bb.56:
	s_or_b32 exec_lo, exec_lo, s4
	v_and_b32_e32 v81, 0x7f800000, v83
	s_delay_alu instid0(VALU_DEP_1) | instskip(SKIP_1) | instid1(SALU_CYCLE_1)
	v_cmp_ne_u32_e32 vcc_lo, 0x7f800000, v81
                                        ; implicit-def: $vgpr81
	s_and_saveexec_b32 s4, vcc_lo
	s_xor_b32 s4, exec_lo, s4
; %bb.57:
	v_bfe_u32 v81, v83, 16, 1
	s_delay_alu instid0(VALU_DEP_1)
	v_add3_u32 v81, v83, v81, 0x7fff
                                        ; implicit-def: $vgpr83
; %bb.58:
	s_and_not1_saveexec_b32 s4, s4
; %bb.59:
	v_and_b32_e32 v81, 0xffff, v83
	v_or_b32_e32 v82, 0x10000, v83
	s_delay_alu instid0(VALU_DEP_2) | instskip(NEXT) | instid1(VALU_DEP_2)
	v_cmp_eq_u32_e32 vcc_lo, 0, v81
	v_cndmask_b32_e32 v81, v82, v83, vcc_lo
; %bb.60:
	s_or_b32 exec_lo, exec_lo, s4
	v_and_b32_e32 v82, 0x7f800000, v77
	s_delay_alu instid0(VALU_DEP_1) | instskip(SKIP_1) | instid1(SALU_CYCLE_1)
	v_cmp_ne_u32_e32 vcc_lo, 0x7f800000, v82
                                        ; implicit-def: $vgpr82
	s_and_saveexec_b32 s4, vcc_lo
	s_xor_b32 s4, exec_lo, s4
; %bb.61:
	v_bfe_u32 v82, v77, 16, 1
	s_delay_alu instid0(VALU_DEP_1)
	v_add3_u32 v82, v77, v82, 0x7fff
                                        ; implicit-def: $vgpr77
; %bb.62:
	s_and_not1_saveexec_b32 s4, s4
; %bb.63:
	v_and_b32_e32 v82, 0xffff, v77
	v_or_b32_e32 v83, 0x10000, v77
	s_delay_alu instid0(VALU_DEP_2) | instskip(NEXT) | instid1(VALU_DEP_2)
	v_cmp_eq_u32_e32 vcc_lo, 0, v82
	v_cndmask_b32_e32 v82, v83, v77, vcc_lo
; %bb.64:
	s_or_b32 exec_lo, exec_lo, s4
	v_and_b32_e32 v77, 0x7f800000, v78
	s_delay_alu instid0(VALU_DEP_1) | instskip(SKIP_1) | instid1(SALU_CYCLE_1)
	v_cmp_ne_u32_e32 vcc_lo, 0x7f800000, v77
                                        ; implicit-def: $vgpr77
	s_and_saveexec_b32 s4, vcc_lo
	s_xor_b32 s4, exec_lo, s4
; %bb.65:
	v_bfe_u32 v77, v78, 16, 1
	s_delay_alu instid0(VALU_DEP_1)
	v_add3_u32 v77, v78, v77, 0x7fff
                                        ; implicit-def: $vgpr78
; %bb.66:
	s_and_not1_saveexec_b32 s4, s4
; %bb.67:
	v_and_b32_e32 v77, 0xffff, v78
	v_or_b32_e32 v83, 0x10000, v78
	s_delay_alu instid0(VALU_DEP_2) | instskip(NEXT) | instid1(VALU_DEP_2)
	v_cmp_eq_u32_e32 vcc_lo, 0, v77
	v_cndmask_b32_e32 v77, v83, v78, vcc_lo
; %bb.68:
	s_or_b32 exec_lo, exec_lo, s4
	v_and_b32_e32 v78, 0x7f800000, v79
	s_delay_alu instid0(VALU_DEP_1) | instskip(SKIP_1) | instid1(SALU_CYCLE_1)
	v_cmp_ne_u32_e32 vcc_lo, 0x7f800000, v78
                                        ; implicit-def: $vgpr78
	s_and_saveexec_b32 s4, vcc_lo
	s_xor_b32 s4, exec_lo, s4
; %bb.69:
	v_bfe_u32 v78, v79, 16, 1
	s_delay_alu instid0(VALU_DEP_1)
	v_add3_u32 v78, v79, v78, 0x7fff
                                        ; implicit-def: $vgpr79
; %bb.70:
	s_and_not1_saveexec_b32 s4, s4
; %bb.71:
	v_and_b32_e32 v78, 0xffff, v79
	v_or_b32_e32 v83, 0x10000, v79
	s_delay_alu instid0(VALU_DEP_2) | instskip(NEXT) | instid1(VALU_DEP_2)
	v_cmp_eq_u32_e32 vcc_lo, 0, v78
	v_cndmask_b32_e32 v78, v83, v79, vcc_lo
; %bb.72:
	s_or_b32 exec_lo, exec_lo, s4
	v_and_b32_e32 v79, 0x7f800000, v70
	s_delay_alu instid0(VALU_DEP_1) | instskip(SKIP_1) | instid1(SALU_CYCLE_1)
	v_cmp_ne_u32_e32 vcc_lo, 0x7f800000, v79
                                        ; implicit-def: $vgpr79
	s_and_saveexec_b32 s4, vcc_lo
	s_xor_b32 s4, exec_lo, s4
; %bb.73:
	v_bfe_u32 v79, v70, 16, 1
	s_delay_alu instid0(VALU_DEP_1)
	v_add3_u32 v79, v70, v79, 0x7fff
                                        ; implicit-def: $vgpr70
; %bb.74:
	s_and_not1_saveexec_b32 s4, s4
; %bb.75:
	v_and_b32_e32 v79, 0xffff, v70
	v_or_b32_e32 v83, 0x10000, v70
	s_delay_alu instid0(VALU_DEP_2) | instskip(NEXT) | instid1(VALU_DEP_2)
	v_cmp_eq_u32_e32 vcc_lo, 0, v79
	v_cndmask_b32_e32 v79, v83, v70, vcc_lo
; %bb.76:
	s_or_b32 exec_lo, exec_lo, s4
	s_delay_alu instid0(VALU_DEP_1)
	v_perm_b32 v86, v79, v78, 0x7060302
	v_perm_b32 v85, v77, v82, 0x7060302
	;; [unrolled: 1-line block ×4, first 2 shown]
	v_lshl_or_b32 v82, v66, 11, v80
	ds_store_b128 v76, v[83:86] offset:1024
	s_waitcnt lgkmcnt(0)
	s_barrier
	buffer_gl0_inv
	ds_load_b128 v[69:72], v82
	ds_load_b128 v[83:86], v82 offset:16
	s_waitcnt lgkmcnt(1)
	v_lshrrev_b32_e32 v66, 16, v69
	s_waitcnt lgkmcnt(0)
	v_lshrrev_b32_e32 v91, 16, v83
	v_lshlrev_b32_e32 v78, 2, v74
	v_lshrrev_b32_e32 v95, 16, v70
	v_lshrrev_b32_e32 v98, 16, v84
	;; [unrolled: 1-line block ×4, first 2 shown]
	v_cmp_eq_u32_e32 vcc_lo, 1, v78
	v_lshrrev_b32_e32 v97, 16, v72
	v_lshrrev_b32_e32 v100, 16, v86
	v_cndmask_b32_e32 v87, v83, v91, vcc_lo
	v_or_b32_e32 v79, 1, v78
	v_cndmask_b32_e32 v81, v69, v66, vcc_lo
	v_cmp_eq_u32_e64 s5, 2, v78
	v_cmp_eq_u32_e64 s8, 3, v78
	;; [unrolled: 1-line block ×5, first 2 shown]
	v_cndmask_b32_e64 v81, v81, v70, s5
	v_cndmask_b32_e64 v87, v87, v84, s5
	v_cmp_eq_u32_e64 s9, 3, v79
	v_cndmask_b32_e64 v88, v69, v66, s4
	v_or_b32_e32 v77, 2, v78
	v_cndmask_b32_e64 v81, v81, v95, s8
	v_cndmask_b32_e64 v87, v87, v98, s8
	;; [unrolled: 1-line block ×4, first 2 shown]
	v_cmp_eq_u32_e64 s11, 5, v78
	v_cndmask_b32_e64 v81, v81, v71, s10
	v_cndmask_b32_e64 v87, v87, v85, s10
	v_cmp_eq_u32_e64 s12, 4, v79
	v_cndmask_b32_e64 v88, v88, v95, s9
	v_cmp_eq_u32_e64 s6, 1, v77
	v_cndmask_b32_e64 v89, v89, v84, s7
	v_cndmask_b32_e64 v81, v81, v96, s11
	v_cmp_eq_u32_e64 s13, 6, v78
	v_cndmask_b32_e64 v88, v88, v71, s12
	;; [unrolled: 3-line block ×3, first 2 shown]
	v_cndmask_b32_e64 v89, v89, v98, s9
	v_cndmask_b32_e64 v81, v81, v72, s13
	v_cmp_eq_u32_e64 s16, 7, v78
	v_cndmask_b32_e64 v88, v88, v96, s15
	v_cndmask_b32_e64 v87, v87, v86, s13
	v_cmp_eq_u32_e64 s17, 6, v79
	v_cmp_eq_u32_e64 s18, 2, v77
	v_cndmask_b32_e64 v89, v89, v85, s12
	v_cndmask_b32_e64 v101, v81, v97, s16
	;; [unrolled: 1-line block ×6, first 2 shown]
	v_cmp_eq_u32_e64 s19, 7, v79
	v_cmp_eq_u32_e64 s20, 3, v77
	v_cmp_eq_u32_e64 s21, 4, v77
	v_cmp_eq_u32_e64 s23, 5, v77
	v_cndmask_b32_e64 v87, v87, v84, s18
	v_cndmask_b32_e64 v103, v88, v97, s19
	v_cndmask_b32_e64 v88, v89, v99, s15
	v_cndmask_b32_e64 v89, v81, v95, s20
	v_or_b32_e32 v81, 3, v78
	v_cndmask_b32_e64 v93, v87, v98, s20
	v_cmp_eq_u32_e64 s25, 6, v77
	v_cndmask_b32_e64 v104, v88, v86, s17
	v_cndmask_b32_e64 v92, v89, v71, s21
	v_cmp_eq_u32_e64 s22, 1, v81
	ds_load_b128 v[87:90], v82 offset:1024
	v_cmp_eq_u32_e64 s24, 2, v81
	v_cmp_eq_u32_e64 s26, 3, v81
	v_cndmask_b32_e64 v105, v92, v96, s23
	v_cndmask_b32_e64 v66, v69, v66, s22
	v_cndmask_b32_e64 v69, v93, v85, s21
	v_cndmask_b32_e64 v83, v83, v91, s22
	ds_load_b128 v[91:94], v82 offset:1040
	v_cmp_eq_u32_e64 s27, 4, v81
	v_cndmask_b32_e64 v66, v66, v70, s24
	v_cmp_eq_u32_e64 s28, 7, v77
	v_cndmask_b32_e64 v70, v83, v84, s24
	v_cndmask_b32_e64 v84, v105, v72, s25
	v_cmp_eq_u32_e64 s29, 5, v81
	v_cndmask_b32_e64 v66, v66, v95, s26
	v_cmp_eq_u32_e64 s30, 6, v81
	v_cndmask_b32_e64 v70, v70, v98, s26
	v_cndmask_b32_e64 v69, v69, v99, s23
	v_cndmask_b32_e64 v83, v104, v100, s19
	v_cndmask_b32_e64 v66, v66, v71, s27
	s_waitcnt lgkmcnt(1)
	v_lshrrev_b32_e32 v95, 16, v87
	v_cndmask_b32_e64 v70, v70, v85, s27
	v_cndmask_b32_e64 v71, v84, v97, s28
	;; [unrolled: 1-line block ×4, first 2 shown]
	v_cndmask_b32_e32 v84, v87, v95, vcc_lo
	v_cndmask_b32_e64 v70, v70, v99, s29
	s_waitcnt lgkmcnt(0)
	v_lshrrev_b32_e32 v85, 16, v91
	v_lshrrev_b32_e32 v96, 16, v88
	v_cndmask_b32_e64 v98, v87, v95, s4
	v_cndmask_b32_e64 v84, v84, v88, s5
	;; [unrolled: 1-line block ×3, first 2 shown]
	v_cndmask_b32_e32 v99, v91, v85, vcc_lo
	v_cmp_eq_u32_e32 vcc_lo, 7, v81
	v_cndmask_b32_e64 v66, v66, v72, s30
	v_cndmask_b32_e64 v72, v84, v96, s8
	;; [unrolled: 1-line block ×3, first 2 shown]
	v_lshrrev_b32_e32 v98, 16, v92
	v_cndmask_b32_e32 v70, v70, v100, vcc_lo
	v_cndmask_b32_e64 v86, v99, v92, s5
	v_cndmask_b32_e64 v69, v69, v100, s28
	v_lshrrev_b32_e32 v100, 16, v93
	v_cndmask_b32_e64 v72, v72, v89, s10
	v_lshrrev_b32_e32 v99, 16, v89
	v_cndmask_b32_e64 v86, v86, v98, s8
	v_perm_b32 v71, v69, v71, 0x5040100
	v_cndmask_b32_e64 v84, v84, v96, s9
	s_delay_alu instid0(VALU_DEP_3) | instskip(NEXT) | instid1(VALU_DEP_2)
	v_cndmask_b32_e64 v86, v86, v93, s10
	v_cndmask_b32_e64 v84, v84, v89, s12
	s_delay_alu instid0(VALU_DEP_2) | instskip(NEXT) | instid1(VALU_DEP_1)
	v_cndmask_b32_e64 v86, v86, v100, s11
	v_cndmask_b32_e64 v69, v86, v94, s13
	v_cndmask_b32_e64 v86, v87, v95, s6
	v_cndmask_b32_e64 v87, v87, v95, s22
	v_cndmask_b32_e64 v95, v91, v85, s22
	s_delay_alu instid0(VALU_DEP_3) | instskip(NEXT) | instid1(VALU_DEP_3)
	v_cndmask_b32_e64 v86, v86, v88, s18
	v_cndmask_b32_e64 v87, v87, v88, s24
	s_delay_alu instid0(VALU_DEP_3) | instskip(NEXT) | instid1(VALU_DEP_3)
	v_cndmask_b32_e64 v88, v95, v92, s24
	v_cndmask_b32_e64 v86, v86, v96, s20
	;; [unrolled: 3-line block ×7, first 2 shown]
	s_delay_alu instid0(VALU_DEP_3) | instskip(SKIP_2) | instid1(VALU_DEP_2)
	v_cndmask_b32_e64 v88, v88, v94, s30
	v_cndmask_b32_e32 v66, v66, v97, vcc_lo
	v_cndmask_b32_e64 v97, v72, v99, s11
	v_perm_b32 v72, v70, v66, 0x5040100
	v_perm_b32 v70, v83, v103, 0x5040100
	v_cndmask_b32_e64 v103, v91, v85, s6
	v_cndmask_b32_e64 v85, v91, v85, s4
	;; [unrolled: 1-line block ×4, first 2 shown]
	v_lshrrev_b32_e32 v97, 16, v90
	v_cndmask_b32_e64 v91, v103, v92, s18
	v_cndmask_b32_e64 v85, v85, v92, s7
	;; [unrolled: 1-line block ×3, first 2 shown]
	s_mov_b32 s4, exec_lo
	v_cndmask_b32_e64 v83, v84, v97, s16
	v_cndmask_b32_e64 v91, v91, v98, s20
	;; [unrolled: 1-line block ×3, first 2 shown]
	v_lshrrev_b32_e32 v84, 16, v94
	v_cndmask_b32_e64 v66, v66, v97, s19
	v_cndmask_b32_e64 v90, v86, v97, s28
	;; [unrolled: 1-line block ×4, first 2 shown]
	v_dual_cndmask_b32 v86, v87, v97 :: v_dual_cndmask_b32 v87, v88, v84
	v_cndmask_b32_e64 v91, v69, v84, s16
	s_delay_alu instid0(VALU_DEP_4) | instskip(NEXT) | instid1(VALU_DEP_4)
	v_cndmask_b32_e64 v89, v89, v100, s23
	v_cndmask_b32_e64 v85, v85, v100, s15
	v_perm_b32 v69, v102, v101, 0x5040100
	v_perm_b32 v86, v87, v86, 0x5040100
	;; [unrolled: 1-line block ×3, first 2 shown]
	v_cndmask_b32_e64 v89, v89, v94, s25
	v_cndmask_b32_e64 v85, v85, v94, s17
	s_mul_i32 s9, s37, 5
	s_delay_alu instid0(VALU_DEP_2) | instskip(NEXT) | instid1(VALU_DEP_2)
	v_cndmask_b32_e64 v88, v89, v84, s28
	v_cndmask_b32_e64 v89, v85, v84, s19
	s_delay_alu instid0(VALU_DEP_2) | instskip(NEXT) | instid1(VALU_DEP_2)
	v_perm_b32 v85, v88, v90, 0x5040100
	v_perm_b32 v84, v89, v66, 0x5040100
	ds_store_b128 v76, v[69:72]
	ds_store_b128 v76, v[83:86] offset:1024
	v_cmpx_gt_u32_e32 5, v0
	s_cbranch_execz .LBB1778_78
; %bb.77:
	s_mul_i32 s5, s9, s34
	s_load_b128 s[16:19], s[0:1], 0x58
	v_add3_u32 v69, s5, s31, v65
	s_delay_alu instid0(VALU_DEP_1) | instskip(NEXT) | instid1(VALU_DEP_1)
	v_mad_u64_u32 v[65:66], null, v69, s36, s[14:15]
	v_ashrrev_i32_e32 v66, 31, v65
	s_delay_alu instid0(VALU_DEP_1) | instskip(SKIP_1) | instid1(VALU_DEP_1)
	v_lshlrev_b64 v[65:66], 2, v[65:66]
	s_waitcnt lgkmcnt(0)
	v_add_co_u32 v69, vcc_lo, s18, v65
	s_delay_alu instid0(VALU_DEP_2)
	v_add_co_ci_u32_e32 v70, vcc_lo, s19, v66, vcc_lo
	v_add_co_u32 v65, vcc_lo, s16, v65
	v_add_co_ci_u32_e32 v66, vcc_lo, s17, v66, vcc_lo
	global_store_b32 v[69:70], v67, off
	global_store_b32 v[65:66], v68, off
.LBB1778_78:
	s_or_b32 exec_lo, exec_lo, s4
	s_waitcnt lgkmcnt(0)
	s_waitcnt_vscnt null, 0x0
	s_barrier
	buffer_gl0_inv
	ds_load_b128 v[83:86], v80
	ds_load_b128 v[87:90], v80 offset:16
	ds_load_b128 v[95:98], v80 offset:2064
	;; [unrolled: 1-line block ×3, first 2 shown]
	v_mov_b32_e32 v65, 0
	ds_load_b128 v[103:106], v80 offset:4112
	ds_load_b128 v[99:102], v80 offset:4096
	;; [unrolled: 1-line block ×4, first 2 shown]
	v_mov_b32_e32 v66, v65
	v_mov_b32_e32 v67, v65
	;; [unrolled: 1-line block ×7, first 2 shown]
	s_waitcnt lgkmcnt(6)
	s_delay_alu instid0(VALU_DEP_1)
	v_wmma_f32_16x16x16_bf16 v[65:72], v[57:64], v[83:90], v[65:72]
	ds_load_b128 v[61:64], v80 offset:8208
	ds_load_b128 v[57:60], v80 offset:8192
	s_waitcnt lgkmcnt(6)
	v_wmma_f32_16x16x16_bf16 v[65:72], v[41:48], v[91:98], v[65:72]
	ds_load_b128 v[45:48], v80 offset:10256
	ds_load_b128 v[41:44], v80 offset:10240
	s_waitcnt lgkmcnt(6)
	;; [unrolled: 4-line block ×4, first 2 shown]
	v_wmma_f32_16x16x16_bf16 v[65:72], v[1:8], v[57:64], v[65:72]
	s_waitcnt lgkmcnt(4)
	s_delay_alu instid0(VALU_DEP_1) | instskip(SKIP_1) | instid1(VALU_DEP_1)
	v_wmma_f32_16x16x16_bf16 v[65:72], v[9:16], v[41:48], v[65:72]
	s_waitcnt lgkmcnt(2)
	v_wmma_f32_16x16x16_bf16 v[65:72], v[17:24], v[33:40], v[65:72]
	s_waitcnt lgkmcnt(0)
	s_delay_alu instid0(VALU_DEP_1) | instskip(NEXT) | instid1(VALU_DEP_1)
	v_wmma_f32_16x16x16_bf16 v[65:72], v[49:56], v[25:32], v[65:72]
	v_and_b32_e32 v1, 0x7f800000, v65
	s_delay_alu instid0(VALU_DEP_1) | instskip(SKIP_1) | instid1(SALU_CYCLE_1)
	v_cmp_ne_u32_e32 vcc_lo, 0x7f800000, v1
                                        ; implicit-def: $vgpr1
	s_and_saveexec_b32 s4, vcc_lo
	s_xor_b32 s4, exec_lo, s4
; %bb.79:
	v_bfe_u32 v1, v65, 16, 1
	s_delay_alu instid0(VALU_DEP_1)
	v_add3_u32 v1, v65, v1, 0x7fff
; %bb.80:
	s_and_not1_saveexec_b32 s4, s4
; %bb.81:
	v_and_b32_e32 v1, 0xffff, v65
	v_or_b32_e32 v2, 0x10000, v65
	s_delay_alu instid0(VALU_DEP_2) | instskip(NEXT) | instid1(VALU_DEP_2)
	v_cmp_eq_u32_e32 vcc_lo, 0, v1
	v_cndmask_b32_e32 v1, v2, v65, vcc_lo
; %bb.82:
	s_or_b32 exec_lo, exec_lo, s4
	v_and_b32_e32 v2, 0x7f800000, v66
	s_delay_alu instid0(VALU_DEP_1) | instskip(SKIP_1) | instid1(SALU_CYCLE_1)
	v_cmp_ne_u32_e32 vcc_lo, 0x7f800000, v2
                                        ; implicit-def: $vgpr2
	s_and_saveexec_b32 s4, vcc_lo
	s_xor_b32 s4, exec_lo, s4
; %bb.83:
	v_bfe_u32 v2, v66, 16, 1
	s_delay_alu instid0(VALU_DEP_1)
	v_add3_u32 v2, v66, v2, 0x7fff
; %bb.84:
	s_and_not1_saveexec_b32 s4, s4
; %bb.85:
	v_and_b32_e32 v2, 0xffff, v66
	v_or_b32_e32 v3, 0x10000, v66
	s_delay_alu instid0(VALU_DEP_2) | instskip(NEXT) | instid1(VALU_DEP_2)
	v_cmp_eq_u32_e32 vcc_lo, 0, v2
	v_cndmask_b32_e32 v2, v3, v66, vcc_lo
; %bb.86:
	s_or_b32 exec_lo, exec_lo, s4
	v_and_b32_e32 v3, 0x7f800000, v67
	s_delay_alu instid0(VALU_DEP_1) | instskip(SKIP_1) | instid1(SALU_CYCLE_1)
	v_cmp_ne_u32_e32 vcc_lo, 0x7f800000, v3
                                        ; implicit-def: $vgpr3
	s_and_saveexec_b32 s4, vcc_lo
	s_xor_b32 s4, exec_lo, s4
; %bb.87:
	v_bfe_u32 v3, v67, 16, 1
	s_delay_alu instid0(VALU_DEP_1)
	v_add3_u32 v3, v67, v3, 0x7fff
; %bb.88:
	s_and_not1_saveexec_b32 s4, s4
; %bb.89:
	v_and_b32_e32 v3, 0xffff, v67
	v_or_b32_e32 v4, 0x10000, v67
	s_delay_alu instid0(VALU_DEP_2) | instskip(NEXT) | instid1(VALU_DEP_2)
	v_cmp_eq_u32_e32 vcc_lo, 0, v3
	v_cndmask_b32_e32 v3, v4, v67, vcc_lo
; %bb.90:
	s_or_b32 exec_lo, exec_lo, s4
	v_and_b32_e32 v4, 0x7f800000, v68
	s_delay_alu instid0(VALU_DEP_1) | instskip(SKIP_1) | instid1(SALU_CYCLE_1)
	v_cmp_ne_u32_e32 vcc_lo, 0x7f800000, v4
                                        ; implicit-def: $vgpr4
	s_and_saveexec_b32 s4, vcc_lo
	s_xor_b32 s4, exec_lo, s4
; %bb.91:
	v_bfe_u32 v4, v68, 16, 1
	s_delay_alu instid0(VALU_DEP_1)
	v_add3_u32 v4, v68, v4, 0x7fff
; %bb.92:
	s_and_not1_saveexec_b32 s4, s4
; %bb.93:
	v_and_b32_e32 v4, 0xffff, v68
	v_or_b32_e32 v5, 0x10000, v68
	s_delay_alu instid0(VALU_DEP_2) | instskip(NEXT) | instid1(VALU_DEP_2)
	v_cmp_eq_u32_e32 vcc_lo, 0, v4
	v_cndmask_b32_e32 v4, v5, v68, vcc_lo
; %bb.94:
	s_or_b32 exec_lo, exec_lo, s4
	v_and_b32_e32 v5, 0x7f800000, v69
	s_delay_alu instid0(VALU_DEP_1) | instskip(SKIP_1) | instid1(SALU_CYCLE_1)
	v_cmp_ne_u32_e32 vcc_lo, 0x7f800000, v5
                                        ; implicit-def: $vgpr5
	s_and_saveexec_b32 s4, vcc_lo
	s_xor_b32 s4, exec_lo, s4
; %bb.95:
	v_bfe_u32 v5, v69, 16, 1
	s_delay_alu instid0(VALU_DEP_1)
	v_add3_u32 v5, v69, v5, 0x7fff
; %bb.96:
	s_and_not1_saveexec_b32 s4, s4
; %bb.97:
	v_and_b32_e32 v5, 0xffff, v69
	v_or_b32_e32 v6, 0x10000, v69
	s_delay_alu instid0(VALU_DEP_2) | instskip(NEXT) | instid1(VALU_DEP_2)
	v_cmp_eq_u32_e32 vcc_lo, 0, v5
	v_cndmask_b32_e32 v5, v6, v69, vcc_lo
; %bb.98:
	s_or_b32 exec_lo, exec_lo, s4
	v_and_b32_e32 v6, 0x7f800000, v70
	s_delay_alu instid0(VALU_DEP_1) | instskip(SKIP_1) | instid1(SALU_CYCLE_1)
	v_cmp_ne_u32_e32 vcc_lo, 0x7f800000, v6
                                        ; implicit-def: $vgpr6
	s_and_saveexec_b32 s4, vcc_lo
	s_xor_b32 s4, exec_lo, s4
; %bb.99:
	v_bfe_u32 v6, v70, 16, 1
	s_delay_alu instid0(VALU_DEP_1)
	v_add3_u32 v6, v70, v6, 0x7fff
; %bb.100:
	s_and_not1_saveexec_b32 s4, s4
; %bb.101:
	v_and_b32_e32 v6, 0xffff, v70
	v_or_b32_e32 v7, 0x10000, v70
	s_delay_alu instid0(VALU_DEP_2) | instskip(NEXT) | instid1(VALU_DEP_2)
	v_cmp_eq_u32_e32 vcc_lo, 0, v6
	v_cndmask_b32_e32 v6, v7, v70, vcc_lo
; %bb.102:
	s_or_b32 exec_lo, exec_lo, s4
	v_and_b32_e32 v7, 0x7f800000, v71
	s_delay_alu instid0(VALU_DEP_1) | instskip(SKIP_1) | instid1(SALU_CYCLE_1)
	v_cmp_ne_u32_e32 vcc_lo, 0x7f800000, v7
                                        ; implicit-def: $vgpr7
	s_and_saveexec_b32 s4, vcc_lo
	s_xor_b32 s4, exec_lo, s4
; %bb.103:
	v_bfe_u32 v7, v71, 16, 1
	s_delay_alu instid0(VALU_DEP_1)
	v_add3_u32 v7, v71, v7, 0x7fff
; %bb.104:
	s_and_not1_saveexec_b32 s4, s4
; %bb.105:
	v_and_b32_e32 v7, 0xffff, v71
	v_or_b32_e32 v8, 0x10000, v71
	s_delay_alu instid0(VALU_DEP_2) | instskip(NEXT) | instid1(VALU_DEP_2)
	v_cmp_eq_u32_e32 vcc_lo, 0, v7
	v_cndmask_b32_e32 v7, v8, v71, vcc_lo
; %bb.106:
	s_or_b32 exec_lo, exec_lo, s4
	v_and_b32_e32 v8, 0x7f800000, v72
	s_delay_alu instid0(VALU_DEP_1) | instskip(SKIP_1) | instid1(SALU_CYCLE_1)
	v_cmp_ne_u32_e32 vcc_lo, 0x7f800000, v8
                                        ; implicit-def: $vgpr8
	s_and_saveexec_b32 s4, vcc_lo
	s_xor_b32 s4, exec_lo, s4
; %bb.107:
	v_bfe_u32 v8, v72, 16, 1
	s_delay_alu instid0(VALU_DEP_1)
	v_add3_u32 v8, v72, v8, 0x7fff
                                        ; implicit-def: $vgpr65_vgpr66_vgpr67_vgpr68_vgpr69_vgpr70_vgpr71_vgpr72
; %bb.108:
	s_and_not1_saveexec_b32 s4, s4
; %bb.109:
	v_and_b32_e32 v8, 0xffff, v72
	v_or_b32_e32 v9, 0x10000, v72
	s_delay_alu instid0(VALU_DEP_2) | instskip(NEXT) | instid1(VALU_DEP_2)
	v_cmp_eq_u32_e32 vcc_lo, 0, v8
	v_cndmask_b32_e32 v8, v9, v72, vcc_lo
; %bb.110:
	s_or_b32 exec_lo, exec_lo, s4
	s_delay_alu instid0(VALU_DEP_1)
	v_perm_b32 v7, v8, v7, 0x7060302
	v_perm_b32 v6, v6, v5, 0x7060302
	;; [unrolled: 1-line block ×4, first 2 shown]
	s_barrier
	buffer_gl0_inv
	v_cmp_eq_u32_e32 vcc_lo, 1, v78
	ds_store_b128 v76, v[4:7]
	s_waitcnt lgkmcnt(0)
	s_barrier
	buffer_gl0_inv
	ds_load_b128 v[1:4], v82
	ds_load_b128 v[5:8], v82 offset:16
	v_cmp_eq_u32_e64 s4, 1, v79
	v_cmp_eq_u32_e64 s5, 2, v78
	;; [unrolled: 1-line block ×5, first 2 shown]
	s_waitcnt lgkmcnt(1)
	v_lshrrev_b32_e32 v9, 16, v1
	s_waitcnt lgkmcnt(0)
	v_lshrrev_b32_e32 v13, 16, v5
	v_lshrrev_b32_e32 v10, 16, v2
	;; [unrolled: 1-line block ×4, first 2 shown]
	v_cndmask_b32_e64 v19, v1, v9, s4
	v_cndmask_b32_e32 v18, v5, v13, vcc_lo
	v_cndmask_b32_e64 v20, v5, v13, s4
	v_cndmask_b32_e32 v17, v1, v9, vcc_lo
	v_cmp_eq_u32_e32 vcc_lo, 2, v79
	v_lshrrev_b32_e32 v15, 16, v7
	v_cmp_eq_u32_e64 s4, 1, v77
	v_lshrrev_b32_e32 v12, 16, v4
	v_lshrrev_b32_e32 v16, 16, v8
	v_cndmask_b32_e32 v20, v20, v6, vcc_lo
	v_cndmask_b32_e64 v17, v17, v2, s5
	v_cndmask_b32_e32 v19, v19, v2, vcc_lo
	v_cndmask_b32_e64 v18, v18, v6, s5
	v_cmp_eq_u32_e32 vcc_lo, 4, v78
	v_cmp_eq_u32_e64 s5, 3, v79
	v_cndmask_b32_e64 v17, v17, v10, s6
	v_cndmask_b32_e64 v21, v1, v9, s4
	;; [unrolled: 1-line block ×5, first 2 shown]
	v_cndmask_b32_e32 v17, v17, v3, vcc_lo
	v_cndmask_b32_e64 v20, v20, v14, s5
	v_cndmask_b32_e32 v18, v18, v7, vcc_lo
	v_cmp_eq_u32_e32 vcc_lo, 4, v79
	v_cmp_eq_u32_e64 s5, 5, v79
	v_cmp_eq_u32_e64 s4, 2, v81
	v_cndmask_b32_e64 v21, v21, v2, s8
	v_cmp_eq_u32_e64 s6, 5, v78
	v_cndmask_b32_e32 v19, v19, v3, vcc_lo
	v_cndmask_b32_e32 v20, v20, v7, vcc_lo
	v_cmp_eq_u32_e32 vcc_lo, 6, v79
	s_delay_alu instid0(VALU_DEP_4) | instskip(NEXT) | instid1(VALU_DEP_4)
	v_cndmask_b32_e64 v17, v17, v11, s6
	v_cndmask_b32_e64 v19, v19, v11, s5
	s_delay_alu instid0(VALU_DEP_4) | instskip(SKIP_1) | instid1(VALU_DEP_3)
	v_cndmask_b32_e64 v20, v20, v15, s5
	v_cmp_eq_u32_e64 s5, 1, v81
	v_cndmask_b32_e32 v19, v19, v4, vcc_lo
	v_cndmask_b32_e64 v18, v18, v15, s6
	s_delay_alu instid0(VALU_DEP_3)
	v_cndmask_b32_e64 v1, v1, v9, s5
	v_cndmask_b32_e64 v5, v5, v13, s5
	v_cmp_eq_u32_e64 s5, 3, v77
	v_cndmask_b32_e64 v13, v22, v6, s8
	v_cmp_eq_u32_e64 s8, 3, v81
	v_cndmask_b32_e64 v1, v1, v2, s4
	v_cndmask_b32_e64 v2, v5, v6, s4
	;; [unrolled: 1-line block ×3, first 2 shown]
	v_cmp_eq_u32_e64 s4, 4, v77
	v_cndmask_b32_e64 v6, v13, v14, s5
	v_cndmask_b32_e64 v1, v1, v10, s8
	v_cmp_eq_u32_e64 s5, 4, v81
	v_cndmask_b32_e64 v2, v2, v14, s8
	v_cndmask_b32_e64 v5, v9, v3, s4
	;; [unrolled: 3-line block ×3, first 2 shown]
	v_cndmask_b32_e64 v2, v2, v7, s5
	v_cmp_eq_u32_e64 s4, 5, v81
	v_cmp_eq_u32_e64 s6, 6, v78
	v_cndmask_b32_e64 v5, v5, v11, s8
	v_cmp_eq_u32_e64 s5, 6, v77
	v_cndmask_b32_e64 v3, v6, v15, s8
	v_cndmask_b32_e64 v1, v1, v11, s4
	v_cmp_eq_u32_e64 s8, 6, v81
	v_cndmask_b32_e64 v2, v2, v15, s4
	v_cndmask_b32_e64 v17, v17, v4, s6
	v_cndmask_b32_e64 v18, v18, v8, s6
	v_cmp_eq_u32_e64 s6, 7, v78
	v_cndmask_b32_e64 v5, v5, v4, s5
	;; [unrolled: 4-line block ×3, first 2 shown]
	v_cmp_eq_u32_e64 s5, 7, v77
	v_cndmask_b32_e32 v4, v20, v8, vcc_lo
	v_cndmask_b32_e64 v17, v17, v12, s6
	v_cndmask_b32_e64 v19, v19, v12, s7
	v_cndmask_b32_e64 v1, v1, v12, s4
	v_cndmask_b32_e64 v5, v5, v12, s5
	v_cndmask_b32_e64 v2, v2, v16, s4
	v_cndmask_b32_e64 v3, v3, v16, s5
	v_cndmask_b32_e64 v6, v4, v16, s7
	v_cndmask_b32_e64 v7, v18, v16, s6
	v_cmp_gt_u32_e32 vcc_lo, 32, v0
	v_perm_b32 v4, v2, v1, 0x5040100
	v_perm_b32 v3, v3, v5, 0x5040100
	;; [unrolled: 1-line block ×4, first 2 shown]
	s_and_b32 s2, vcc_lo, s2
	ds_store_b128 v76, v[1:4]
	s_waitcnt lgkmcnt(0)
	s_barrier
	buffer_gl0_inv
	s_and_saveexec_b32 s4, s2
	s_cbranch_execz .LBB1778_2
; %bb.111:
	s_load_b64 s[4:5], s[0:1], 0x68
	v_lshlrev_b32_e32 v0, 10, v0
	v_add_nc_u32_e32 v2, s31, v74
	v_lshlrev_b32_e32 v3, 4, v75
	s_lshl_b32 s0, s36, 6
	s_delay_alu instid0(SALU_CYCLE_1) | instskip(NEXT) | instid1(VALU_DEP_2)
	s_mul_i32 s1, s0, s34
	v_mul_lo_u32 v1, v2, s0
	s_delay_alu instid0(VALU_DEP_2) | instskip(SKIP_2) | instid1(SALU_CYCLE_1)
	v_and_or_b32 v0, 0x3800, v0, v3
	v_add_nc_u32_e32 v2, 2, v2
	s_mul_i32 s6, s1, s9
	s_ashr_i32 s7, s6, 31
	s_delay_alu instid0(VALU_DEP_2)
	v_lshl_or_b32 v7, v74, 6, v0
	s_lshl_b64 s[6:7], s[6:7], 1
	v_mul_lo_u32 v11, v2, s0
	v_ashrrev_i32_e32 v2, 31, v1
	ds_load_b128 v[3:6], v7
	ds_load_b128 v[7:10], v7 offset:128
	s_waitcnt lgkmcnt(0)
	s_add_u32 s1, s4, s6
	s_addc_u32 s2, s5, s7
	s_lshl_b32 s4, s14, 6
	v_ashrrev_i32_e32 v12, 31, v11
	s_ashr_i32 s5, s4, 31
	v_lshlrev_b64 v[13:14], 1, v[1:2]
	s_lshl_b64 s[4:5], s[4:5], 1
	s_delay_alu instid0(SALU_CYCLE_1) | instskip(SKIP_2) | instid1(VALU_DEP_1)
	s_add_u32 s1, s1, s4
	s_addc_u32 s2, s2, s5
	v_add_co_u32 v1, s1, s1, v73
	v_add_co_ci_u32_e64 v2, null, s2, 0, s1
	v_lshlrev_b64 v[11:12], 1, v[11:12]
	s_delay_alu instid0(VALU_DEP_3) | instskip(NEXT) | instid1(VALU_DEP_3)
	v_add_co_u32 v13, vcc_lo, v1, v13
	v_add_co_ci_u32_e32 v14, vcc_lo, v2, v14, vcc_lo
	s_delay_alu instid0(VALU_DEP_3) | instskip(NEXT) | instid1(VALU_DEP_4)
	v_add_co_u32 v11, vcc_lo, v1, v11
	v_add_co_ci_u32_e32 v12, vcc_lo, v2, v12, vcc_lo
	s_clause 0x1
	global_store_b128 v[13:14], v[3:6], off
	global_store_b128 v[11:12], v[7:10], off
	s_and_b32 exec_lo, exec_lo, s3
	s_cbranch_execz .LBB1778_2
; %bb.112:
	ds_load_b128 v[3:6], v0 offset:256
	s_add_i32 s1, s31, 4
	s_delay_alu instid0(SALU_CYCLE_1) | instskip(NEXT) | instid1(SALU_CYCLE_1)
	s_mul_i32 s0, s1, s0
	s_ashr_i32 s1, s0, 31
	s_delay_alu instid0(SALU_CYCLE_1) | instskip(NEXT) | instid1(SALU_CYCLE_1)
	s_lshl_b64 s[0:1], s[0:1], 1
	v_add_co_u32 v0, vcc_lo, v1, s0
	v_add_co_ci_u32_e32 v1, vcc_lo, s1, v2, vcc_lo
	s_waitcnt lgkmcnt(0)
	global_store_b128 v[0:1], v[3:6], off
	s_nop 0
	s_sendmsg sendmsg(MSG_DEALLOC_VGPRS)
	s_endpgm
	.section	.rodata,"a",@progbits
	.p2align	6, 0x0
	.amdhsa_kernel _Z39paged_attention_ll4mi_QKV_mfma16_kernelI14__hip_bfloat16hLN4vllm18Fp8KVCacheDataTypeE1ES0_Li32ELi64ELi256ELb0ELi5EL8MFMAType0EEvPKT_PKT0_S9_ifPKiSB_SB_iPKfiiiPfSE_PS4_PT2_iSD_SD_
		.amdhsa_group_segment_fixed_size 17472
		.amdhsa_private_segment_fixed_size 0
		.amdhsa_kernarg_size 400
		.amdhsa_user_sgpr_count 13
		.amdhsa_user_sgpr_dispatch_ptr 0
		.amdhsa_user_sgpr_queue_ptr 0
		.amdhsa_user_sgpr_kernarg_segment_ptr 1
		.amdhsa_user_sgpr_dispatch_id 0
		.amdhsa_user_sgpr_private_segment_size 0
		.amdhsa_wavefront_size32 1
		.amdhsa_uses_dynamic_stack 0
		.amdhsa_enable_private_segment 0
		.amdhsa_system_sgpr_workgroup_id_x 1
		.amdhsa_system_sgpr_workgroup_id_y 1
		.amdhsa_system_sgpr_workgroup_id_z 1
		.amdhsa_system_sgpr_workgroup_info 0
		.amdhsa_system_vgpr_workitem_id 0
		.amdhsa_next_free_vgpr 124
		.amdhsa_next_free_sgpr 42
		.amdhsa_reserve_vcc 1
		.amdhsa_float_round_mode_32 0
		.amdhsa_float_round_mode_16_64 0
		.amdhsa_float_denorm_mode_32 3
		.amdhsa_float_denorm_mode_16_64 3
		.amdhsa_dx10_clamp 1
		.amdhsa_ieee_mode 1
		.amdhsa_fp16_overflow 0
		.amdhsa_workgroup_processor_mode 1
		.amdhsa_memory_ordered 1
		.amdhsa_forward_progress 0
		.amdhsa_shared_vgpr_count 0
		.amdhsa_exception_fp_ieee_invalid_op 0
		.amdhsa_exception_fp_denorm_src 0
		.amdhsa_exception_fp_ieee_div_zero 0
		.amdhsa_exception_fp_ieee_overflow 0
		.amdhsa_exception_fp_ieee_underflow 0
		.amdhsa_exception_fp_ieee_inexact 0
		.amdhsa_exception_int_div_zero 0
	.end_amdhsa_kernel
	.section	.text._Z39paged_attention_ll4mi_QKV_mfma16_kernelI14__hip_bfloat16hLN4vllm18Fp8KVCacheDataTypeE1ES0_Li32ELi64ELi256ELb0ELi5EL8MFMAType0EEvPKT_PKT0_S9_ifPKiSB_SB_iPKfiiiPfSE_PS4_PT2_iSD_SD_,"axG",@progbits,_Z39paged_attention_ll4mi_QKV_mfma16_kernelI14__hip_bfloat16hLN4vllm18Fp8KVCacheDataTypeE1ES0_Li32ELi64ELi256ELb0ELi5EL8MFMAType0EEvPKT_PKT0_S9_ifPKiSB_SB_iPKfiiiPfSE_PS4_PT2_iSD_SD_,comdat
.Lfunc_end1778:
	.size	_Z39paged_attention_ll4mi_QKV_mfma16_kernelI14__hip_bfloat16hLN4vllm18Fp8KVCacheDataTypeE1ES0_Li32ELi64ELi256ELb0ELi5EL8MFMAType0EEvPKT_PKT0_S9_ifPKiSB_SB_iPKfiiiPfSE_PS4_PT2_iSD_SD_, .Lfunc_end1778-_Z39paged_attention_ll4mi_QKV_mfma16_kernelI14__hip_bfloat16hLN4vllm18Fp8KVCacheDataTypeE1ES0_Li32ELi64ELi256ELb0ELi5EL8MFMAType0EEvPKT_PKT0_S9_ifPKiSB_SB_iPKfiiiPfSE_PS4_PT2_iSD_SD_
                                        ; -- End function
	.section	.AMDGPU.csdata,"",@progbits
; Kernel info:
; codeLenInByte = 8780
; NumSgprs: 44
; NumVgprs: 124
; ScratchSize: 0
; MemoryBound: 0
; FloatMode: 240
; IeeeMode: 1
; LDSByteSize: 17472 bytes/workgroup (compile time only)
; SGPRBlocks: 5
; VGPRBlocks: 15
; NumSGPRsForWavesPerEU: 44
; NumVGPRsForWavesPerEU: 124
; Occupancy: 10
; WaveLimiterHint : 1
; COMPUTE_PGM_RSRC2:SCRATCH_EN: 0
; COMPUTE_PGM_RSRC2:USER_SGPR: 13
; COMPUTE_PGM_RSRC2:TRAP_HANDLER: 0
; COMPUTE_PGM_RSRC2:TGID_X_EN: 1
; COMPUTE_PGM_RSRC2:TGID_Y_EN: 1
; COMPUTE_PGM_RSRC2:TGID_Z_EN: 1
; COMPUTE_PGM_RSRC2:TIDIG_COMP_CNT: 0
	.section	.text._Z39paged_attention_ll4mi_QKV_mfma16_kernelI14__hip_bfloat16hLN4vllm18Fp8KVCacheDataTypeE1ES0_Li32ELi64ELi256ELb0ELi6EL8MFMAType0EEvPKT_PKT0_S9_ifPKiSB_SB_iPKfiiiPfSE_PS4_PT2_iSD_SD_,"axG",@progbits,_Z39paged_attention_ll4mi_QKV_mfma16_kernelI14__hip_bfloat16hLN4vllm18Fp8KVCacheDataTypeE1ES0_Li32ELi64ELi256ELb0ELi6EL8MFMAType0EEvPKT_PKT0_S9_ifPKiSB_SB_iPKfiiiPfSE_PS4_PT2_iSD_SD_,comdat
	.protected	_Z39paged_attention_ll4mi_QKV_mfma16_kernelI14__hip_bfloat16hLN4vllm18Fp8KVCacheDataTypeE1ES0_Li32ELi64ELi256ELb0ELi6EL8MFMAType0EEvPKT_PKT0_S9_ifPKiSB_SB_iPKfiiiPfSE_PS4_PT2_iSD_SD_ ; -- Begin function _Z39paged_attention_ll4mi_QKV_mfma16_kernelI14__hip_bfloat16hLN4vllm18Fp8KVCacheDataTypeE1ES0_Li32ELi64ELi256ELb0ELi6EL8MFMAType0EEvPKT_PKT0_S9_ifPKiSB_SB_iPKfiiiPfSE_PS4_PT2_iSD_SD_
	.globl	_Z39paged_attention_ll4mi_QKV_mfma16_kernelI14__hip_bfloat16hLN4vllm18Fp8KVCacheDataTypeE1ES0_Li32ELi64ELi256ELb0ELi6EL8MFMAType0EEvPKT_PKT0_S9_ifPKiSB_SB_iPKfiiiPfSE_PS4_PT2_iSD_SD_
	.p2align	8
	.type	_Z39paged_attention_ll4mi_QKV_mfma16_kernelI14__hip_bfloat16hLN4vllm18Fp8KVCacheDataTypeE1ES0_Li32ELi64ELi256ELb0ELi6EL8MFMAType0EEvPKT_PKT0_S9_ifPKiSB_SB_iPKfiiiPfSE_PS4_PT2_iSD_SD_,@function
_Z39paged_attention_ll4mi_QKV_mfma16_kernelI14__hip_bfloat16hLN4vllm18Fp8KVCacheDataTypeE1ES0_Li32ELi64ELi256ELb0ELi6EL8MFMAType0EEvPKT_PKT0_S9_ifPKiSB_SB_iPKfiiiPfSE_PS4_PT2_iSD_SD_: ; @_Z39paged_attention_ll4mi_QKV_mfma16_kernelI14__hip_bfloat16hLN4vllm18Fp8KVCacheDataTypeE1ES0_Li32ELi64ELi256ELb0ELi6EL8MFMAType0EEvPKT_PKT0_S9_ifPKiSB_SB_iPKfiiiPfSE_PS4_PT2_iSD_SD_
; %bb.0:
	s_load_b64 s[2:3], s[0:1], 0x30
	s_mov_b32 s30, s13
	s_waitcnt lgkmcnt(0)
	s_cmp_lg_u64 s[2:3], 0
	s_cselect_b32 s8, -1, 0
	s_ashr_i32 s31, s13, 31
	s_cmp_eq_u64 s[2:3], 0
	s_cbranch_scc1 .LBB1779_3
; %bb.1:
	s_lshl_b64 s[4:5], s[30:31], 2
	s_delay_alu instid0(SALU_CYCLE_1) | instskip(SKIP_4) | instid1(SALU_CYCLE_1)
	s_add_u32 s4, s2, s4
	s_addc_u32 s5, s3, s5
	s_load_b64 s[4:5], s[4:5], 0x0
	s_waitcnt lgkmcnt(0)
	s_sub_i32 s4, s5, s4
	s_cmp_eq_u32 s4, 1
	s_cselect_b32 s4, -1, 0
	s_delay_alu instid0(SALU_CYCLE_1)
	s_and_not1_b32 vcc_lo, exec_lo, s4
	s_cbranch_vccz .LBB1779_4
.LBB1779_2:
	s_endpgm
.LBB1779_3:
.LBB1779_4:
	s_load_b64 s[4:5], s[0:1], 0x28
	s_lshl_b64 s[6:7], s[30:31], 2
	s_waitcnt lgkmcnt(0)
	s_add_u32 s4, s4, s6
	s_addc_u32 s5, s5, s7
	s_lshl_b32 s12, s14, 8
	s_load_b32 s24, s[4:5], 0x0
	s_waitcnt lgkmcnt(0)
	s_cmp_ge_i32 s12, s24
	s_cbranch_scc1 .LBB1779_2
; %bb.5:
	s_clause 0x1
	s_load_b128 s[20:23], s[0:1], 0x8
	s_load_b64 s[4:5], s[0:1], 0x20
	s_and_not1_b32 vcc_lo, exec_lo, s8
	s_cbranch_vccnz .LBB1779_7
; %bb.6:
	s_add_u32 s2, s2, s6
	s_addc_u32 s3, s3, s7
	s_load_b32 s3, s[2:3], 0x0
	s_branch .LBB1779_8
.LBB1779_7:
	s_mov_b32 s3, s30
.LBB1779_8:
	s_load_b128 s[16:19], s[0:1], 0x48
	v_and_b32_e32 v65, 15, v0
	v_cmp_gt_u32_e32 vcc_lo, 0x60, v0
	v_lshrrev_b32_e32 v66, 5, v0
	v_and_b32_e32 v67, 31, v0
	v_and_b32_e32 v75, 1, v0
	v_lshlrev_b32_e32 v1, 3, v65
	v_cmp_gt_u32_e64 s2, 8, v65
	v_bfe_u32 v74, v0, 4, 1
	s_mul_i32 s31, s15, 6
	s_delay_alu instid0(VALU_DEP_3) | instskip(NEXT) | instid1(VALU_DEP_3)
	v_lshlrev_b32_e32 v73, 1, v1
	s_and_b32 s7, vcc_lo, s2
	s_delay_alu instid0(SALU_CYCLE_1)
	s_and_saveexec_b32 s6, s7
	s_cbranch_execz .LBB1779_10
; %bb.9:
	s_load_b64 s[8:9], s[0:1], 0x0
	v_lshl_or_b32 v5, v66, 1, v74
	s_waitcnt lgkmcnt(0)
	s_mul_hi_i32 s11, s3, s16
	s_mul_i32 s10, s3, s16
	v_lshlrev_b32_e32 v6, 10, v65
	s_lshl_b64 s[10:11], s[10:11], 1
	v_add_lshl_u32 v1, v5, s31, 6
	v_lshlrev_b32_e32 v5, 6, v5
	v_lshlrev_b32_e32 v7, 10, v75
	v_and_b32_e32 v6, 0x3800, v6
	s_delay_alu instid0(VALU_DEP_4) | instskip(NEXT) | instid1(VALU_DEP_2)
	v_ashrrev_i32_e32 v2, 31, v1
	v_or3_b32 v5, v6, v7, v5
	s_delay_alu instid0(VALU_DEP_2) | instskip(SKIP_2) | instid1(VALU_DEP_1)
	v_lshlrev_b64 v[1:2], 1, v[1:2]
	s_add_u32 s3, s8, s10
	s_addc_u32 s7, s9, s11
	v_add_co_u32 v1, vcc_lo, s3, v1
	s_delay_alu instid0(VALU_DEP_2) | instskip(NEXT) | instid1(VALU_DEP_2)
	v_add_co_ci_u32_e32 v2, vcc_lo, s7, v2, vcc_lo
	v_add_co_u32 v1, vcc_lo, v1, v73
	s_delay_alu instid0(VALU_DEP_2)
	v_add_co_ci_u32_e32 v2, vcc_lo, 0, v2, vcc_lo
	global_load_b128 v[1:4], v[1:2], off
	s_waitcnt vmcnt(0)
	ds_store_b128 v5, v[1:4]
.LBB1779_10:
	s_or_b32 exec_lo, exec_lo, s6
	v_and_b32_e32 v1, 0xef, v0
	s_waitcnt lgkmcnt(0)
	s_add_i32 s3, s24, 31
	s_clause 0x1
	s_load_b32 s6, s[0:1], 0x38
	s_load_b32 s19, s[0:1], 0x1c
	s_ashr_i32 s7, s3, 31
	v_add_nc_u32_e32 v1, s12, v1
	s_lshr_b32 s7, s7, 27
	s_waitcnt lgkmcnt(0)
	s_add_i32 s3, s3, s7
	s_barrier
	v_ashrrev_i32_e32 v2, 31, v1
	v_or_b32_e32 v3, 16, v1
	s_ashr_i32 s3, s3, 5
	v_cmp_gt_i32_e32 vcc_lo, s24, v1
	s_add_i32 s3, s3, -1
	v_lshrrev_b32_e32 v2, 27, v2
	buffer_gl0_inv
	s_mul_i32 s27, s15, s18
	v_add_nc_u32_e32 v4, v1, v2
	s_mul_i32 s6, s30, s6
	s_delay_alu instid0(SALU_CYCLE_1) | instskip(NEXT) | instid1(VALU_DEP_1)
	s_ashr_i32 s7, s6, 31
	v_ashrrev_i32_e32 v4, 5, v4
	v_add_nc_u32_e32 v2, v3, v2
	s_lshl_b64 s[6:7], s[6:7], 2
	s_delay_alu instid0(SALU_CYCLE_1) | instskip(NEXT) | instid1(VALU_DEP_2)
	s_add_u32 s26, s4, s6
	v_cndmask_b32_e32 v1, s3, v4, vcc_lo
	s_delay_alu instid0(VALU_DEP_2)
	v_ashrrev_i32_e32 v2, 5, v2
	v_cmp_gt_i32_e32 vcc_lo, s24, v3
	s_addc_u32 s25, s5, s7
	s_ashr_i32 s28, s27, 31
	s_add_u32 s4, s20, s27
	s_addc_u32 s5, s21, s28
	v_cndmask_b32_e32 v3, s3, v2, vcc_lo
	v_ashrrev_i32_e32 v2, 31, v1
	s_lshl_b32 s6, s14, 3
	s_delay_alu instid0(SALU_CYCLE_1) | instskip(NEXT) | instid1(VALU_DEP_2)
	s_ashr_i32 s7, s6, 31
	v_ashrrev_i32_e32 v4, 31, v3
	s_delay_alu instid0(VALU_DEP_2) | instskip(SKIP_1) | instid1(SALU_CYCLE_1)
	v_lshlrev_b64 v[1:2], 2, v[1:2]
	s_lshl_b64 s[6:7], s[6:7], 2
	s_add_u32 s6, s26, s6
	s_delay_alu instid0(VALU_DEP_2) | instskip(SKIP_1) | instid1(VALU_DEP_2)
	v_lshlrev_b64 v[3:4], 2, v[3:4]
	s_addc_u32 s7, s25, s7
	v_add_co_u32 v1, vcc_lo, s26, v1
	v_add_co_ci_u32_e32 v2, vcc_lo, s25, v2, vcc_lo
	s_delay_alu instid0(VALU_DEP_3) | instskip(NEXT) | instid1(VALU_DEP_4)
	v_add_co_u32 v3, vcc_lo, s26, v3
	v_add_co_ci_u32_e32 v4, vcc_lo, s25, v4, vcc_lo
	s_clause 0x1
	global_load_b32 v5, v[1:2], off
	global_load_b32 v6, v[3:4], off
	s_or_b32 s8, s12, 32
	s_delay_alu instid0(SALU_CYCLE_1) | instskip(SKIP_2) | instid1(SALU_CYCLE_1)
	s_ashr_i32 s9, s8, 5
	s_cmp_lt_i32 s8, s24
	s_cselect_b32 s8, s9, s3
	s_ashr_i32 s9, s8, 31
	s_delay_alu instid0(SALU_CYCLE_1) | instskip(NEXT) | instid1(SALU_CYCLE_1)
	s_lshl_b64 s[8:9], s[8:9], 2
	s_add_u32 s8, s26, s8
	s_addc_u32 s9, s25, s9
	s_or_b32 s10, s12, 64
	s_delay_alu instid0(SALU_CYCLE_1) | instskip(SKIP_2) | instid1(SALU_CYCLE_1)
	s_ashr_i32 s11, s10, 5
	s_cmp_lt_i32 s10, s24
	s_cselect_b32 s10, s11, s3
	s_ashr_i32 s11, s10, 31
	s_delay_alu instid0(SALU_CYCLE_1) | instskip(NEXT) | instid1(SALU_CYCLE_1)
	s_lshl_b64 s[10:11], s[10:11], 2
	s_add_u32 s10, s26, s10
	s_addc_u32 s11, s25, s11
	;; [unrolled: 10-line block ×5, first 2 shown]
	s_clause 0x5
	s_load_b32 s21, s[6:7], 0x0
	s_load_b32 s13, s[8:9], 0x0
	;; [unrolled: 1-line block ×6, first 2 shown]
	s_or_b32 s9, s12, 0xc0
	s_delay_alu instid0(SALU_CYCLE_1) | instskip(SKIP_2) | instid1(SALU_CYCLE_1)
	s_ashr_i32 s10, s9, 5
	s_cmp_lt_i32 s9, s24
	s_cselect_b32 s34, s10, s3
	s_ashr_i32 s35, s34, 31
	s_delay_alu instid0(SALU_CYCLE_1) | instskip(NEXT) | instid1(SALU_CYCLE_1)
	s_lshl_b64 s[34:35], s[34:35], 2
	s_add_u32 s34, s26, s34
	s_addc_u32 s35, s25, s35
	s_or_b32 s29, s12, 0xe0
	s_delay_alu instid0(SALU_CYCLE_1)
	s_ashr_i32 s33, s29, 5
	s_cmp_lt_i32 s29, s24
	s_waitcnt vmcnt(1)
	v_mad_i64_i32 v[1:2], null, v5, s17, s[4:5]
	s_waitcnt vmcnt(0)
	v_mad_i64_i32 v[3:4], null, v6, s17, s[4:5]
	s_mov_b32 s4, 0
	s_delay_alu instid0(SALU_CYCLE_1)
	s_mov_b32 s5, s4
	s_mov_b32 s6, s4
	;; [unrolled: 1-line block ×7, first 2 shown]
	v_lshlrev_b32_e32 v5, 4, v65
	v_dual_mov_b32 v107, s11 :: v_dual_mov_b32 v102, s6
	v_mov_b32_e32 v106, s10
	v_mov_b32_e32 v104, s8
	s_delay_alu instid0(VALU_DEP_4)
	v_add_co_u32 v1, vcc_lo, v1, v5
	v_add_co_ci_u32_e32 v2, vcc_lo, 0, v2, vcc_lo
	v_add_co_u32 v3, vcc_lo, v3, v5
	v_add_co_ci_u32_e32 v4, vcc_lo, 0, v4, vcc_lo
	s_clause 0x7
	global_load_b128 v[49:52], v[1:2], off
	global_load_b128 v[53:56], v[1:2], off offset:512
	global_load_b128 v[76:79], v[3:4], off offset:256
	;; [unrolled: 1-line block ×7, first 2 shown]
	v_mul_lo_u16 v1, v65, 43
	v_mov_b32_e32 v103, s7
	v_dual_mov_b32 v101, s5 :: v_dual_lshlrev_b32 v2, 5, v65
	v_mov_b32_e32 v100, s4
	s_delay_alu instid0(VALU_DEP_4) | instskip(NEXT) | instid1(VALU_DEP_3)
	v_lshrrev_b16 v1, 8, v1
	v_lshl_or_b32 v2, v66, 9, v2
	s_delay_alu instid0(VALU_DEP_2) | instskip(NEXT) | instid1(VALU_DEP_1)
	v_mul_lo_u16 v1, v1, 6
	v_sub_nc_u16 v1, v65, v1
	s_delay_alu instid0(VALU_DEP_1)
	v_and_b32_e32 v1, 0xff, v1
	v_mov_b32_e32 v105, s9
	s_cselect_b32 s4, s33, s3
	s_load_b32 s3, s[34:35], 0x0
	s_ashr_i32 s5, s4, 31
	v_lshlrev_b32_e32 v70, 6, v1
	s_lshl_b64 s[4:5], s[4:5], 2
	ds_load_b128 v[108:111], v70
	ds_load_b128 v[112:115], v70 offset:1024
	s_add_u32 s4, s26, s4
	s_addc_u32 s5, s25, s5
	s_add_u32 s6, s22, s27
	s_load_b32 s4, s[4:5], 0x0
	s_addc_u32 s7, s23, s28
	v_add_co_u32 v9, s6, s6, v2
	s_delay_alu instid0(VALU_DEP_1) | instskip(SKIP_1) | instid1(VALU_DEP_1)
	v_add_co_ci_u32_e64 v10, null, s7, 0, s6
	s_waitcnt lgkmcnt(0)
	v_mad_i64_i32 v[1:2], null, s21, s17, v[9:10]
	v_mad_i64_i32 v[3:4], null, s13, s17, v[9:10]
	;; [unrolled: 1-line block ×7, first 2 shown]
	s_clause 0x9
	global_load_b128 v[57:60], v[1:2], off
	global_load_b128 v[61:64], v[1:2], off offset:16
	global_load_b128 v[41:44], v[3:4], off
	global_load_b128 v[45:48], v[3:4], off offset:16
	;; [unrolled: 2-line block ×5, first 2 shown]
	v_mad_i64_i32 v[68:69], null, s4, s17, v[9:10]
	s_clause 0x3
	global_load_b128 v[9:12], v[13:14], off
	global_load_b128 v[13:16], v[13:14], off offset:16
	global_load_b128 v[17:20], v[21:22], off
	global_load_b128 v[21:24], v[21:22], off offset:16
	s_waitcnt vmcnt(20)
	v_wmma_f32_16x16x16_bf16 v[116:123], v[49:56], v[108:115], v[100:107]
	s_clause 0x1
	global_load_b128 v[49:52], v[68:69], off
	global_load_b128 v[53:56], v[68:69], off offset:16
	v_and_b32_e32 v68, 0xe0, v0
	v_mbcnt_lo_u32_b32 v69, -1, 0
	s_delay_alu instid0(VALU_DEP_2)
	v_add_nc_u32_e32 v68, s12, v68
	s_waitcnt vmcnt(20)
	v_wmma_f32_16x16x16_bf16 v[100:107], v[76:83], v[108:115], v[100:107]
	ds_load_b128 v[76:79], v70 offset:2048
	ds_load_b128 v[80:83], v70 offset:3072
	v_xor_b32_e32 v70, 16, v69
	s_waitcnt vmcnt(0) lgkmcnt(0)
	v_or_b32_e32 v68, v68, v74
	s_barrier
	buffer_gl0_inv
	v_cmp_gt_i32_e32 vcc_lo, 32, v70
	v_or_b32_e32 v71, 4, v68
	v_or_b32_e32 v72, 6, v68
	v_cmp_gt_i32_e64 s3, s24, v68
	v_or_b32_e32 v108, 8, v68
	v_or_b32_e32 v109, 10, v68
	v_cmp_gt_i32_e64 s4, s24, v71
	v_cmp_gt_i32_e64 s5, s24, v72
	s_delay_alu instid0(VALU_DEP_4) | instskip(NEXT) | instid1(VALU_DEP_4)
	v_cmp_gt_i32_e64 s6, s24, v108
	v_cmp_gt_i32_e64 s7, s24, v109
	v_wmma_f32_16x16x16_bf16 v[116:123], v[84:91], v[76:83], v[116:123]
	v_cndmask_b32_e32 v69, v69, v70, vcc_lo
	v_or_b32_e32 v70, 2, v68
	v_wmma_f32_16x16x16_bf16 v[100:107], v[92:99], v[76:83], v[100:107]
	v_or_b32_e32 v84, 12, v68
	v_dual_mul_f32 v78, s19, v123 :: v_dual_mul_f32 v83, s19, v118
	v_dual_mul_f32 v92, s19, v117 :: v_dual_mul_f32 v93, s19, v116
	s_delay_alu instid0(VALU_DEP_4) | instskip(SKIP_2) | instid1(VALU_DEP_4)
	v_mul_f32_e32 v94, s19, v107
	v_cmp_gt_i32_e32 vcc_lo, s24, v70
	v_dual_mul_f32 v81, s19, v120 :: v_dual_mul_f32 v82, s19, v119
	v_cndmask_b32_e64 v93, 0xff7fffff, v93, s3
	v_or_b32_e32 v85, 14, v68
	v_cndmask_b32_e32 v92, 0xff7fffff, v92, vcc_lo
	v_dual_mul_f32 v79, s19, v122 :: v_dual_mul_f32 v80, s19, v121
	v_cndmask_b32_e64 v71, 0xff7fffff, v83, s4
	v_cndmask_b32_e64 v72, 0xff7fffff, v82, s5
	s_delay_alu instid0(VALU_DEP_4)
	v_max3_f32 v82, v93, 0xff7fffff, v92
	v_or_b32_e32 v86, 16, v68
	v_or_b32_e32 v87, 18, v68
	v_cndmask_b32_e64 v81, 0xff7fffff, v81, s6
	v_cndmask_b32_e64 v80, 0xff7fffff, v80, s7
	v_max3_f32 v71, v82, v71, v72
	v_cmp_gt_i32_e64 s8, s24, v84
	v_cmp_gt_i32_e64 s9, s24, v85
	v_or_b32_e32 v88, 20, v68
	v_or_b32_e32 v89, 22, v68
	;; [unrolled: 1-line block ×6, first 2 shown]
	v_dual_mul_f32 v99, s19, v102 :: v_dual_mul_f32 v70, s19, v101
	v_mul_f32_e32 v68, s19, v100
	v_cndmask_b32_e64 v72, 0xff7fffff, v79, s8
	v_cndmask_b32_e64 v78, 0xff7fffff, v78, s9
	v_max3_f32 v71, v71, v81, v80
	v_cmp_gt_i32_e64 s10, s24, v86
	v_cmp_gt_i32_e64 s11, s24, v87
	v_dual_mul_f32 v97, s19, v104 :: v_dual_mul_f32 v98, s19, v103
	s_delay_alu instid0(VALU_DEP_4) | instskip(SKIP_1) | instid1(VALU_DEP_4)
	v_max3_f32 v71, v71, v72, v78
	v_cmp_gt_i32_e64 s12, s24, v88
	v_cndmask_b32_e64 v70, 0xff7fffff, v70, s11
	v_cmp_gt_i32_e64 s13, s24, v89
	v_lshlrev_b32_e32 v89, 2, v69
	v_cndmask_b32_e64 v68, 0xff7fffff, v68, s10
	v_dual_mul_f32 v95, s19, v106 :: v_dual_mul_f32 v96, s19, v105
	v_cndmask_b32_e64 v72, 0xff7fffff, v99, s12
	v_cndmask_b32_e64 v78, 0xff7fffff, v98, s13
	s_delay_alu instid0(VALU_DEP_4)
	v_max3_f32 v68, v71, v68, v70
	v_cmp_gt_i32_e64 s15, s24, v90
	v_cmp_gt_i32_e64 s16, s24, v91
	v_cmp_gt_i32_e64 s17, s24, v76
	v_cmp_gt_i32_e64 s18, s24, v77
	v_max3_f32 v68, v68, v72, v78
	v_cndmask_b32_e64 v70, 0xff7fffff, v97, s15
	v_cndmask_b32_e64 v71, 0xff7fffff, v96, s16
	;; [unrolled: 1-line block ×4, first 2 shown]
	s_delay_alu instid0(VALU_DEP_3) | instskip(NEXT) | instid1(VALU_DEP_1)
	v_max3_f32 v68, v68, v70, v71
	v_max3_f32 v68, v68, v72, v76
	ds_bpermute_b32 v69, v89, v68
	s_waitcnt lgkmcnt(0)
	v_max_f32_e32 v69, v69, v69
	s_delay_alu instid0(VALU_DEP_1) | instskip(NEXT) | instid1(VALU_DEP_1)
	v_max_f32_e32 v68, v68, v69
	v_fma_f32 v71, s19, v118, -v68
	s_delay_alu instid0(VALU_DEP_1)
	v_mul_f32_e32 v71, 0x3fb8aa3b, v71
	v_fma_f32 v69, s19, v116, -v68
	v_fma_f32 v70, s19, v117, -v68
	;; [unrolled: 1-line block ×4, first 2 shown]
	v_exp_f32_e32 v71, v71
	s_delay_alu instid0(VALU_DEP_3) | instskip(SKIP_2) | instid1(VALU_DEP_3)
	v_dual_mul_f32 v69, 0x3fb8aa3b, v69 :: v_dual_mul_f32 v70, 0x3fb8aa3b, v70
	v_fma_f32 v78, s19, v122, -v68
	v_fma_f32 v81, s19, v105, -v68
	v_exp_f32_e32 v69, v69
	s_delay_alu instid0(VALU_DEP_3) | instskip(SKIP_1) | instid1(VALU_DEP_2)
	v_exp_f32_e32 v70, v70
	v_mul_f32_e32 v77, 0x3fb8aa3b, v76
	v_mul_f32_e32 v81, 0x3fb8aa3b, v81
	s_delay_alu instid0(TRANS32_DEP_3) | instskip(SKIP_1) | instid1(VALU_DEP_3)
	v_cndmask_b32_e64 v83, 0, v71, s4
	v_fma_f32 v71, s19, v123, -v68
	v_exp_f32_e32 v81, v81
	s_delay_alu instid0(TRANS32_DEP_3) | instskip(NEXT) | instid1(TRANS32_DEP_2)
	v_cndmask_b32_e64 v80, 0, v69, s3
	v_cndmask_b32_e32 v76, 0, v70, vcc_lo
	v_fma_f32 v69, s19, v121, -v68
	v_mul_f32_e32 v72, 0x3fb8aa3b, v72
	v_exp_f32_e32 v77, v77
	v_dual_add_f32 v70, 0, v80 :: v_dual_mul_f32 v71, 0x3fb8aa3b, v71
	s_delay_alu instid0(VALU_DEP_3) | instskip(NEXT) | instid1(VALU_DEP_3)
	v_mul_f32_e32 v69, 0x3fb8aa3b, v69
	v_exp_f32_e32 v72, v72
	s_mov_b32 s3, exec_lo
	s_delay_alu instid0(VALU_DEP_2) | instskip(NEXT) | instid1(VALU_DEP_1)
	v_exp_f32_e32 v71, v71
	v_exp_f32_e32 v69, v69
	v_cndmask_b32_e64 v86, 0, v77, s6
	v_fma_f32 v77, s19, v101, -v68
	v_add_f32_e32 v70, v70, v76
	s_delay_alu instid0(TRANS32_DEP_3) | instskip(SKIP_1) | instid1(VALU_DEP_3)
	v_cndmask_b32_e64 v85, 0, v72, s5
	v_fma_f32 v72, s19, v100, -v68
	v_dual_mul_f32 v77, 0x3fb8aa3b, v77 :: v_dual_add_f32 v70, v70, v83
	s_delay_alu instid0(TRANS32_DEP_2) | instskip(SKIP_1) | instid1(TRANS32_DEP_1)
	v_cndmask_b32_e64 v88, 0, v71, s9
	v_fma_f32 v71, s19, v104, -v68
	v_cndmask_b32_e64 v87, 0, v69, s7
	s_delay_alu instid0(VALU_DEP_4) | instskip(NEXT) | instid1(VALU_DEP_2)
	v_exp_f32_e32 v77, v77
	v_dual_add_f32 v70, v70, v85 :: v_dual_mul_f32 v71, 0x3fb8aa3b, v71
	s_delay_alu instid0(VALU_DEP_1) | instskip(SKIP_2) | instid1(VALU_DEP_3)
	v_dual_mul_f32 v72, 0x3fb8aa3b, v72 :: v_dual_add_f32 v69, v70, v86
	v_mul_f32_e32 v78, 0x3fb8aa3b, v78
	v_fma_f32 v70, s19, v102, -v68
	v_exp_f32_e32 v72, v72
	v_exp_f32_e32 v82, v71
	v_add_f32_e32 v69, v69, v87
	v_exp_f32_e32 v78, v78
	v_mul_f32_e32 v70, 0x3fb8aa3b, v70
	s_delay_alu instid0(VALU_DEP_1) | instskip(SKIP_4) | instid1(VALU_DEP_2)
	v_exp_f32_e32 v79, v70
	v_cndmask_b32_e64 v70, 0, v72, s10
	s_waitcnt_depctr 0xfff
	v_cndmask_b32_e64 v84, 0, v78, s8
	v_fma_f32 v78, s19, v103, -v68
	v_add_f32_e32 v69, v69, v84
	v_cndmask_b32_e64 v71, 0, v79, s12
	s_delay_alu instid0(VALU_DEP_2) | instskip(SKIP_2) | instid1(VALU_DEP_1)
	v_add_f32_e32 v72, v69, v88
	v_cndmask_b32_e64 v69, 0, v77, s11
	v_fma_f32 v77, s19, v106, -v68
	v_dual_mul_f32 v77, 0x3fb8aa3b, v77 :: v_dual_add_f32 v72, v72, v70
	v_mul_f32_e32 v78, 0x3fb8aa3b, v78
	s_delay_alu instid0(VALU_DEP_2) | instskip(NEXT) | instid1(VALU_DEP_2)
	v_exp_f32_e32 v90, v77
	v_add_f32_e32 v79, v72, v69
	s_delay_alu instid0(VALU_DEP_2)
	v_exp_f32_e32 v78, v78
	v_cndmask_b32_e64 v77, 0, v82, s15
	s_waitcnt_depctr 0xfff
	v_cndmask_b32_e64 v72, 0, v78, s13
	v_add_f32_e32 v78, v79, v71
	v_fma_f32 v79, s19, v107, -v68
	s_delay_alu instid0(VALU_DEP_1) | instskip(SKIP_1) | instid1(VALU_DEP_2)
	v_dual_add_f32 v82, v78, v72 :: v_dual_mul_f32 v79, 0x3fb8aa3b, v79
	v_cndmask_b32_e64 v78, 0, v81, s16
	v_add_f32_e32 v81, v82, v77
	s_delay_alu instid0(VALU_DEP_3) | instskip(SKIP_1) | instid1(VALU_DEP_2)
	v_exp_f32_e32 v82, v79
	v_cndmask_b32_e64 v79, 0, v90, s17
	v_add_f32_e32 v81, v81, v78
	s_delay_alu instid0(VALU_DEP_1) | instskip(SKIP_2) | instid1(VALU_DEP_1)
	v_add_f32_e32 v90, v81, v79
	s_waitcnt_depctr 0xfff
	v_cndmask_b32_e64 v81, 0, v82, s18
	v_add_f32_e32 v82, v90, v81
	ds_bpermute_b32 v89, v89, v82
	v_cmpx_gt_u32_e32 16, v67
	s_cbranch_execz .LBB1779_12
; %bb.11:
	v_mul_u32_u24_e32 v67, 0x44, v66
	s_delay_alu instid0(VALU_DEP_1) | instskip(SKIP_1) | instid1(VALU_DEP_1)
	v_lshl_add_u32 v67, v65, 2, v67
	s_waitcnt lgkmcnt(0)
	v_dual_add_f32 v82, v82, v89 :: v_dual_add_nc_u32 v67, 0x4000, v67
	ds_store_2addr_b32 v67, v68, v82 offset1:136
.LBB1779_12:
	s_or_b32 exec_lo, exec_lo, s3
	v_lshlrev_b32_e32 v67, 2, v65
	s_waitcnt lgkmcnt(0)
	s_barrier
	buffer_gl0_inv
	v_cmp_eq_u32_e32 vcc_lo, 1, v66
	v_add_nc_u32_e32 v82, 0x4000, v67
	v_cmp_eq_u32_e64 s3, 2, v66
	v_cmp_eq_u32_e64 s5, 7, v66
	ds_load_2addr_b32 v[89:90], v82 offset1:17
	ds_load_2addr_b32 v[91:92], v82 offset0:34 offset1:51
	ds_load_2addr_b32 v[93:94], v82 offset0:68 offset1:85
	ds_load_2addr_b32 v[95:96], v82 offset0:102 offset1:119
	ds_load_2addr_b32 v[97:98], v82 offset0:136 offset1:153
	s_waitcnt lgkmcnt(4)
	v_max3_f32 v67, v89, 0xff7fffff, v90
	s_waitcnt lgkmcnt(3)
	s_delay_alu instid0(VALU_DEP_1) | instskip(SKIP_1) | instid1(VALU_DEP_1)
	v_max3_f32 v67, v67, v91, v92
	s_waitcnt lgkmcnt(2)
	v_max3_f32 v67, v67, v93, v94
	s_waitcnt lgkmcnt(1)
	s_delay_alu instid0(VALU_DEP_1) | instskip(NEXT) | instid1(VALU_DEP_1)
	v_max3_f32 v67, v67, v95, v96
	v_sub_f32_e32 v93, v93, v67
	s_delay_alu instid0(VALU_DEP_1) | instskip(NEXT) | instid1(VALU_DEP_1)
	v_dual_sub_f32 v68, v89, v67 :: v_dual_mul_f32 v103, 0x3fb8aa3b, v93
	v_mul_f32_e32 v68, 0x3fb8aa3b, v68
	s_delay_alu instid0(VALU_DEP_1)
	v_exp_f32_e32 v100, v68
	v_sub_f32_e32 v68, v92, v67
	v_sub_f32_e32 v99, v90, v67
	ds_load_2addr_b32 v[89:90], v82 offset0:170 offset1:187
	v_dual_mul_f32 v102, 0x3fb8aa3b, v68 :: v_dual_mul_f32 v99, 0x3fb8aa3b, v99
	s_waitcnt lgkmcnt(1)
	v_fma_f32 v68, v100, v97, 0
	s_delay_alu instid0(VALU_DEP_2) | instskip(NEXT) | instid1(VALU_DEP_2)
	v_exp_f32_e32 v102, v102
	v_exp_f32_e32 v99, v99
	s_waitcnt_depctr 0xfff
	v_fmac_f32_e32 v68, v99, v98
	v_sub_f32_e32 v91, v91, v67
	s_delay_alu instid0(VALU_DEP_1)
	v_mul_f32_e32 v101, 0x3fb8aa3b, v91
	ds_load_2addr_b32 v[91:92], v82 offset0:204 offset1:221
	v_sub_f32_e32 v97, v94, v67
	ds_load_2addr_b32 v[93:94], v82 offset0:238 offset1:255
	s_waitcnt lgkmcnt(0)
	v_exp_f32_e32 v101, v101
	s_barrier
	buffer_gl0_inv
	v_dual_fmac_f32 v68, v101, v89 :: v_dual_sub_f32 v89, v96, v67
	v_dual_sub_f32 v82, v95, v67 :: v_dual_mul_f32 v95, 0x3fb8aa3b, v97
	v_exp_f32_e32 v97, v103
	s_delay_alu instid0(VALU_DEP_2) | instskip(NEXT) | instid1(VALU_DEP_2)
	v_dual_fmac_f32 v68, v102, v90 :: v_dual_mul_f32 v89, 0x3fb8aa3b, v89
	v_mul_f32_e32 v82, 0x3fb8aa3b, v82
	s_delay_alu instid0(VALU_DEP_3) | instskip(NEXT) | instid1(VALU_DEP_2)
	v_exp_f32_e32 v95, v95
	v_exp_f32_e32 v89, v89
	s_delay_alu instid0(VALU_DEP_1)
	v_exp_f32_e32 v82, v82
	v_fmac_f32_e32 v68, v97, v91
	s_delay_alu instid0(TRANS32_DEP_3) | instid1(VALU_DEP_1)
	v_fmac_f32_e32 v68, v95, v92
	s_waitcnt_depctr 0xfff
	v_fmac_f32_e32 v68, v82, v93
	s_delay_alu instid0(VALU_DEP_1) | instskip(NEXT) | instid1(VALU_DEP_1)
	v_fmac_f32_e32 v68, v89, v94
	v_add_f32_e32 v90, 0x358637bd, v68
	s_delay_alu instid0(VALU_DEP_1) | instskip(NEXT) | instid1(VALU_DEP_1)
	v_div_scale_f32 v91, null, v90, v90, 1.0
	v_rcp_f32_e32 v92, v91
	s_waitcnt_depctr 0xfff
	v_fma_f32 v93, -v91, v92, 1.0
	s_delay_alu instid0(VALU_DEP_1) | instskip(SKIP_1) | instid1(VALU_DEP_2)
	v_dual_fmac_f32 v92, v93, v92 :: v_dual_cndmask_b32 v93, v100, v99
	v_cmp_eq_u32_e32 vcc_lo, 3, v66
	v_cndmask_b32_e64 v93, v93, v101, s3
	v_cmp_eq_u32_e64 s3, 4, v66
	s_delay_alu instid0(VALU_DEP_2) | instskip(SKIP_1) | instid1(VALU_DEP_2)
	v_cndmask_b32_e32 v93, v93, v102, vcc_lo
	v_cmp_eq_u32_e32 vcc_lo, 5, v66
	v_cndmask_b32_e64 v93, v93, v97, s3
	v_cmp_eq_u32_e64 s3, 6, v66
	s_delay_alu instid0(VALU_DEP_2) | instskip(SKIP_1) | instid1(VALU_DEP_1)
	v_cndmask_b32_e32 v93, v93, v95, vcc_lo
	v_div_scale_f32 v94, s4, 1.0, v90, 1.0
	s_mov_b32 vcc_lo, s4
	s_delay_alu instid0(VALU_DEP_2) | instskip(NEXT) | instid1(VALU_DEP_2)
	v_cndmask_b32_e64 v82, v93, v82, s3
	v_mul_f32_e32 v96, v94, v92
	s_mov_b32 s3, exec_lo
	s_delay_alu instid0(VALU_DEP_2) | instskip(NEXT) | instid1(VALU_DEP_2)
	v_cndmask_b32_e64 v82, v82, v89, s5
	v_fma_f32 v98, -v91, v96, v94
	s_delay_alu instid0(VALU_DEP_1) | instskip(NEXT) | instid1(VALU_DEP_1)
	v_fmac_f32_e32 v96, v98, v92
	v_fma_f32 v91, -v91, v96, v94
	s_delay_alu instid0(VALU_DEP_1) | instskip(NEXT) | instid1(VALU_DEP_1)
	v_div_fmas_f32 v91, v91, v92, v96
	v_div_fixup_f32 v90, v91, v90, 1.0
	s_delay_alu instid0(VALU_DEP_1) | instskip(NEXT) | instid1(VALU_DEP_1)
	v_mul_f32_e32 v82, v82, v90
	v_mul_f32_e32 v87, v82, v87
	;; [unrolled: 1-line block ×7, first 2 shown]
	v_dual_mul_f32 v86, v82, v83 :: v_dual_and_b32 v91, 0x7f800000, v90
	v_mul_f32_e32 v85, v82, v76
                                        ; implicit-def: $vgpr76
	s_delay_alu instid0(VALU_DEP_2)
	v_cmpx_ne_u32_e32 0x7f800000, v91
	s_xor_b32 s3, exec_lo, s3
; %bb.13:
	v_bfe_u32 v76, v90, 16, 1
	s_delay_alu instid0(VALU_DEP_1)
	v_add3_u32 v76, v90, v76, 0x7fff
                                        ; implicit-def: $vgpr90
; %bb.14:
	s_and_not1_saveexec_b32 s3, s3
; %bb.15:
	v_and_b32_e32 v76, 0xffff, v90
	v_or_b32_e32 v83, 0x10000, v90
	s_delay_alu instid0(VALU_DEP_2) | instskip(NEXT) | instid1(VALU_DEP_2)
	v_cmp_eq_u32_e32 vcc_lo, 0, v76
	v_cndmask_b32_e32 v76, v83, v90, vcc_lo
; %bb.16:
	s_or_b32 exec_lo, exec_lo, s3
	v_and_b32_e32 v83, 0x7f800000, v85
	s_delay_alu instid0(VALU_DEP_1) | instskip(SKIP_1) | instid1(SALU_CYCLE_1)
	v_cmp_ne_u32_e32 vcc_lo, 0x7f800000, v83
                                        ; implicit-def: $vgpr83
	s_and_saveexec_b32 s3, vcc_lo
	s_xor_b32 s3, exec_lo, s3
; %bb.17:
	v_bfe_u32 v83, v85, 16, 1
	s_delay_alu instid0(VALU_DEP_1)
	v_add3_u32 v83, v85, v83, 0x7fff
                                        ; implicit-def: $vgpr85
; %bb.18:
	s_and_not1_saveexec_b32 s3, s3
; %bb.19:
	v_and_b32_e32 v83, 0xffff, v85
	v_or_b32_e32 v90, 0x10000, v85
	s_delay_alu instid0(VALU_DEP_2) | instskip(NEXT) | instid1(VALU_DEP_2)
	v_cmp_eq_u32_e32 vcc_lo, 0, v83
	v_cndmask_b32_e32 v83, v90, v85, vcc_lo
; %bb.20:
	s_or_b32 exec_lo, exec_lo, s3
	v_and_b32_e32 v85, 0x7f800000, v86
	s_delay_alu instid0(VALU_DEP_1) | instskip(SKIP_1) | instid1(SALU_CYCLE_1)
	v_cmp_ne_u32_e32 vcc_lo, 0x7f800000, v85
                                        ; implicit-def: $vgpr85
	s_and_saveexec_b32 s3, vcc_lo
	s_xor_b32 s3, exec_lo, s3
; %bb.21:
	v_bfe_u32 v85, v86, 16, 1
	s_delay_alu instid0(VALU_DEP_1)
	v_add3_u32 v85, v86, v85, 0x7fff
                                        ; implicit-def: $vgpr86
; %bb.22:
	s_and_not1_saveexec_b32 s3, s3
; %bb.23:
	v_and_b32_e32 v85, 0xffff, v86
	v_or_b32_e32 v90, 0x10000, v86
	s_delay_alu instid0(VALU_DEP_2) | instskip(NEXT) | instid1(VALU_DEP_2)
	v_cmp_eq_u32_e32 vcc_lo, 0, v85
	v_cndmask_b32_e32 v85, v90, v86, vcc_lo
; %bb.24:
	s_or_b32 exec_lo, exec_lo, s3
	v_and_b32_e32 v86, 0x7f800000, v89
	s_delay_alu instid0(VALU_DEP_1) | instskip(SKIP_1) | instid1(SALU_CYCLE_1)
	v_cmp_ne_u32_e32 vcc_lo, 0x7f800000, v86
                                        ; implicit-def: $vgpr86
	s_and_saveexec_b32 s3, vcc_lo
	s_xor_b32 s3, exec_lo, s3
; %bb.25:
	v_bfe_u32 v86, v89, 16, 1
	s_delay_alu instid0(VALU_DEP_1)
	v_add3_u32 v86, v89, v86, 0x7fff
                                        ; implicit-def: $vgpr89
; %bb.26:
	s_and_not1_saveexec_b32 s3, s3
; %bb.27:
	v_and_b32_e32 v86, 0xffff, v89
	v_or_b32_e32 v90, 0x10000, v89
	s_delay_alu instid0(VALU_DEP_2) | instskip(NEXT) | instid1(VALU_DEP_2)
	v_cmp_eq_u32_e32 vcc_lo, 0, v86
	v_cndmask_b32_e32 v86, v90, v89, vcc_lo
; %bb.28:
	s_or_b32 exec_lo, exec_lo, s3
	v_and_b32_e32 v89, 0x7f800000, v88
	s_delay_alu instid0(VALU_DEP_1) | instskip(SKIP_1) | instid1(SALU_CYCLE_1)
	v_cmp_ne_u32_e32 vcc_lo, 0x7f800000, v89
                                        ; implicit-def: $vgpr89
	s_and_saveexec_b32 s3, vcc_lo
	s_xor_b32 s3, exec_lo, s3
; %bb.29:
	v_bfe_u32 v89, v88, 16, 1
	s_delay_alu instid0(VALU_DEP_1)
	v_add3_u32 v89, v88, v89, 0x7fff
                                        ; implicit-def: $vgpr88
; %bb.30:
	s_and_not1_saveexec_b32 s3, s3
; %bb.31:
	v_and_b32_e32 v89, 0xffff, v88
	v_or_b32_e32 v90, 0x10000, v88
	s_delay_alu instid0(VALU_DEP_2) | instskip(NEXT) | instid1(VALU_DEP_2)
	v_cmp_eq_u32_e32 vcc_lo, 0, v89
	v_cndmask_b32_e32 v89, v90, v88, vcc_lo
; %bb.32:
	s_or_b32 exec_lo, exec_lo, s3
	v_and_b32_e32 v88, 0x7f800000, v87
	s_delay_alu instid0(VALU_DEP_1) | instskip(SKIP_1) | instid1(SALU_CYCLE_1)
	v_cmp_ne_u32_e32 vcc_lo, 0x7f800000, v88
                                        ; implicit-def: $vgpr88
	s_and_saveexec_b32 s3, vcc_lo
	s_xor_b32 s3, exec_lo, s3
; %bb.33:
	v_bfe_u32 v88, v87, 16, 1
	s_delay_alu instid0(VALU_DEP_1)
	v_add3_u32 v88, v87, v88, 0x7fff
                                        ; implicit-def: $vgpr87
; %bb.34:
	s_and_not1_saveexec_b32 s3, s3
; %bb.35:
	v_and_b32_e32 v88, 0xffff, v87
	v_or_b32_e32 v90, 0x10000, v87
	s_delay_alu instid0(VALU_DEP_2) | instskip(NEXT) | instid1(VALU_DEP_2)
	v_cmp_eq_u32_e32 vcc_lo, 0, v88
	v_cndmask_b32_e32 v88, v90, v87, vcc_lo
; %bb.36:
	s_or_b32 exec_lo, exec_lo, s3
	v_and_b32_e32 v87, 0x7f800000, v84
	s_delay_alu instid0(VALU_DEP_1) | instskip(SKIP_1) | instid1(SALU_CYCLE_1)
	v_cmp_ne_u32_e32 vcc_lo, 0x7f800000, v87
                                        ; implicit-def: $vgpr87
	s_and_saveexec_b32 s3, vcc_lo
	s_xor_b32 s3, exec_lo, s3
; %bb.37:
	v_bfe_u32 v87, v84, 16, 1
	s_delay_alu instid0(VALU_DEP_1)
	v_add3_u32 v87, v84, v87, 0x7fff
                                        ; implicit-def: $vgpr84
; %bb.38:
	s_and_not1_saveexec_b32 s3, s3
; %bb.39:
	v_and_b32_e32 v87, 0xffff, v84
	v_or_b32_e32 v90, 0x10000, v84
	s_delay_alu instid0(VALU_DEP_2) | instskip(NEXT) | instid1(VALU_DEP_2)
	v_cmp_eq_u32_e32 vcc_lo, 0, v87
	v_cndmask_b32_e32 v87, v90, v84, vcc_lo
; %bb.40:
	s_or_b32 exec_lo, exec_lo, s3
	v_and_b32_e32 v84, 0x7f800000, v80
	s_delay_alu instid0(VALU_DEP_1) | instskip(SKIP_1) | instid1(SALU_CYCLE_1)
	v_cmp_ne_u32_e32 vcc_lo, 0x7f800000, v84
                                        ; implicit-def: $vgpr84
	s_and_saveexec_b32 s3, vcc_lo
	s_xor_b32 s3, exec_lo, s3
; %bb.41:
	v_bfe_u32 v84, v80, 16, 1
	s_delay_alu instid0(VALU_DEP_1)
	v_add3_u32 v84, v80, v84, 0x7fff
                                        ; implicit-def: $vgpr80
; %bb.42:
	s_and_not1_saveexec_b32 s3, s3
; %bb.43:
	v_and_b32_e32 v84, 0xffff, v80
	v_or_b32_e32 v90, 0x10000, v80
	s_delay_alu instid0(VALU_DEP_2) | instskip(NEXT) | instid1(VALU_DEP_2)
	v_cmp_eq_u32_e32 vcc_lo, 0, v84
	v_cndmask_b32_e32 v84, v90, v80, vcc_lo
; %bb.44:
	s_or_b32 exec_lo, exec_lo, s3
	s_load_b64 s[34:35], s[0:1], 0x94
	v_lshlrev_b32_e32 v91, 4, v74
	s_delay_alu instid0(VALU_DEP_2)
	v_perm_b32 v90, v84, v87, 0x7060302
	v_dual_mul_f32 v79, v82, v79 :: v_dual_lshlrev_b32 v80, 6, v65
	v_dual_mul_f32 v77, v82, v77 :: v_dual_lshlrev_b32 v92, 11, v66
	v_mul_f32_e32 v84, v82, v70
	v_perm_b32 v89, v88, v89, 0x7060302
	v_perm_b32 v88, v86, v85, 0x7060302
	;; [unrolled: 1-line block ×3, first 2 shown]
	v_mul_f32_e32 v70, v82, v81
	v_or3_b32 v76, v91, v92, v80
	v_dual_mul_f32 v78, v82, v78 :: v_dual_and_b32 v85, 0x7f800000, v84
	v_mul_f32_e32 v83, v82, v72
	v_mul_f32_e32 v81, v82, v71
	;; [unrolled: 1-line block ×3, first 2 shown]
	s_mov_b32 s3, exec_lo
	ds_store_b128 v76, v[87:90]
                                        ; implicit-def: $vgpr69
	v_cmpx_ne_u32_e32 0x7f800000, v85
	s_xor_b32 s3, exec_lo, s3
; %bb.45:
	v_bfe_u32 v69, v84, 16, 1
	s_delay_alu instid0(VALU_DEP_1)
	v_add3_u32 v69, v84, v69, 0x7fff
                                        ; implicit-def: $vgpr84
; %bb.46:
	s_and_not1_saveexec_b32 s3, s3
; %bb.47:
	v_and_b32_e32 v69, 0xffff, v84
	v_or_b32_e32 v71, 0x10000, v84
	s_delay_alu instid0(VALU_DEP_2) | instskip(NEXT) | instid1(VALU_DEP_2)
	v_cmp_eq_u32_e32 vcc_lo, 0, v69
	v_cndmask_b32_e32 v69, v71, v84, vcc_lo
; %bb.48:
	s_or_b32 exec_lo, exec_lo, s3
	v_and_b32_e32 v71, 0x7f800000, v72
	s_delay_alu instid0(VALU_DEP_1) | instskip(SKIP_1) | instid1(SALU_CYCLE_1)
	v_cmp_ne_u32_e32 vcc_lo, 0x7f800000, v71
                                        ; implicit-def: $vgpr71
	s_and_saveexec_b32 s3, vcc_lo
	s_xor_b32 s3, exec_lo, s3
; %bb.49:
	v_bfe_u32 v71, v72, 16, 1
	s_delay_alu instid0(VALU_DEP_1)
	v_add3_u32 v71, v72, v71, 0x7fff
                                        ; implicit-def: $vgpr72
; %bb.50:
	s_and_not1_saveexec_b32 s3, s3
; %bb.51:
	v_and_b32_e32 v71, 0xffff, v72
	v_or_b32_e32 v82, 0x10000, v72
	s_delay_alu instid0(VALU_DEP_2) | instskip(NEXT) | instid1(VALU_DEP_2)
	v_cmp_eq_u32_e32 vcc_lo, 0, v71
	v_cndmask_b32_e32 v71, v82, v72, vcc_lo
; %bb.52:
	s_or_b32 exec_lo, exec_lo, s3
	v_and_b32_e32 v72, 0x7f800000, v81
	s_delay_alu instid0(VALU_DEP_1) | instskip(SKIP_1) | instid1(SALU_CYCLE_1)
	v_cmp_ne_u32_e32 vcc_lo, 0x7f800000, v72
                                        ; implicit-def: $vgpr72
	s_and_saveexec_b32 s3, vcc_lo
	s_xor_b32 s3, exec_lo, s3
; %bb.53:
	v_bfe_u32 v72, v81, 16, 1
	s_delay_alu instid0(VALU_DEP_1)
	v_add3_u32 v72, v81, v72, 0x7fff
                                        ; implicit-def: $vgpr81
; %bb.54:
	s_and_not1_saveexec_b32 s3, s3
; %bb.55:
	v_and_b32_e32 v72, 0xffff, v81
	v_or_b32_e32 v82, 0x10000, v81
	s_delay_alu instid0(VALU_DEP_2) | instskip(NEXT) | instid1(VALU_DEP_2)
	v_cmp_eq_u32_e32 vcc_lo, 0, v72
	v_cndmask_b32_e32 v72, v82, v81, vcc_lo
; %bb.56:
	s_or_b32 exec_lo, exec_lo, s3
	v_and_b32_e32 v81, 0x7f800000, v83
	s_delay_alu instid0(VALU_DEP_1) | instskip(SKIP_1) | instid1(SALU_CYCLE_1)
	v_cmp_ne_u32_e32 vcc_lo, 0x7f800000, v81
                                        ; implicit-def: $vgpr81
	s_and_saveexec_b32 s3, vcc_lo
	s_xor_b32 s3, exec_lo, s3
; %bb.57:
	v_bfe_u32 v81, v83, 16, 1
	s_delay_alu instid0(VALU_DEP_1)
	v_add3_u32 v81, v83, v81, 0x7fff
                                        ; implicit-def: $vgpr83
; %bb.58:
	s_and_not1_saveexec_b32 s3, s3
; %bb.59:
	v_and_b32_e32 v81, 0xffff, v83
	v_or_b32_e32 v82, 0x10000, v83
	s_delay_alu instid0(VALU_DEP_2) | instskip(NEXT) | instid1(VALU_DEP_2)
	v_cmp_eq_u32_e32 vcc_lo, 0, v81
	v_cndmask_b32_e32 v81, v82, v83, vcc_lo
; %bb.60:
	s_or_b32 exec_lo, exec_lo, s3
	v_and_b32_e32 v82, 0x7f800000, v77
	s_delay_alu instid0(VALU_DEP_1) | instskip(SKIP_1) | instid1(SALU_CYCLE_1)
	v_cmp_ne_u32_e32 vcc_lo, 0x7f800000, v82
                                        ; implicit-def: $vgpr82
	s_and_saveexec_b32 s3, vcc_lo
	s_xor_b32 s3, exec_lo, s3
; %bb.61:
	v_bfe_u32 v82, v77, 16, 1
	s_delay_alu instid0(VALU_DEP_1)
	v_add3_u32 v82, v77, v82, 0x7fff
                                        ; implicit-def: $vgpr77
; %bb.62:
	s_and_not1_saveexec_b32 s3, s3
; %bb.63:
	v_and_b32_e32 v82, 0xffff, v77
	v_or_b32_e32 v83, 0x10000, v77
	s_delay_alu instid0(VALU_DEP_2) | instskip(NEXT) | instid1(VALU_DEP_2)
	v_cmp_eq_u32_e32 vcc_lo, 0, v82
	v_cndmask_b32_e32 v82, v83, v77, vcc_lo
; %bb.64:
	s_or_b32 exec_lo, exec_lo, s3
	v_and_b32_e32 v77, 0x7f800000, v78
	s_delay_alu instid0(VALU_DEP_1) | instskip(SKIP_1) | instid1(SALU_CYCLE_1)
	v_cmp_ne_u32_e32 vcc_lo, 0x7f800000, v77
                                        ; implicit-def: $vgpr77
	s_and_saveexec_b32 s3, vcc_lo
	s_xor_b32 s3, exec_lo, s3
; %bb.65:
	v_bfe_u32 v77, v78, 16, 1
	s_delay_alu instid0(VALU_DEP_1)
	v_add3_u32 v77, v78, v77, 0x7fff
                                        ; implicit-def: $vgpr78
; %bb.66:
	s_and_not1_saveexec_b32 s3, s3
; %bb.67:
	v_and_b32_e32 v77, 0xffff, v78
	v_or_b32_e32 v83, 0x10000, v78
	s_delay_alu instid0(VALU_DEP_2) | instskip(NEXT) | instid1(VALU_DEP_2)
	v_cmp_eq_u32_e32 vcc_lo, 0, v77
	v_cndmask_b32_e32 v77, v83, v78, vcc_lo
; %bb.68:
	s_or_b32 exec_lo, exec_lo, s3
	v_and_b32_e32 v78, 0x7f800000, v79
	s_delay_alu instid0(VALU_DEP_1) | instskip(SKIP_1) | instid1(SALU_CYCLE_1)
	v_cmp_ne_u32_e32 vcc_lo, 0x7f800000, v78
                                        ; implicit-def: $vgpr78
	s_and_saveexec_b32 s3, vcc_lo
	s_xor_b32 s3, exec_lo, s3
; %bb.69:
	v_bfe_u32 v78, v79, 16, 1
	s_delay_alu instid0(VALU_DEP_1)
	v_add3_u32 v78, v79, v78, 0x7fff
                                        ; implicit-def: $vgpr79
; %bb.70:
	s_and_not1_saveexec_b32 s3, s3
; %bb.71:
	v_and_b32_e32 v78, 0xffff, v79
	v_or_b32_e32 v83, 0x10000, v79
	s_delay_alu instid0(VALU_DEP_2) | instskip(NEXT) | instid1(VALU_DEP_2)
	v_cmp_eq_u32_e32 vcc_lo, 0, v78
	v_cndmask_b32_e32 v78, v83, v79, vcc_lo
; %bb.72:
	s_or_b32 exec_lo, exec_lo, s3
	v_and_b32_e32 v79, 0x7f800000, v70
	s_delay_alu instid0(VALU_DEP_1) | instskip(SKIP_1) | instid1(SALU_CYCLE_1)
	v_cmp_ne_u32_e32 vcc_lo, 0x7f800000, v79
                                        ; implicit-def: $vgpr79
	s_and_saveexec_b32 s3, vcc_lo
	s_xor_b32 s3, exec_lo, s3
; %bb.73:
	v_bfe_u32 v79, v70, 16, 1
	s_delay_alu instid0(VALU_DEP_1)
	v_add3_u32 v79, v70, v79, 0x7fff
                                        ; implicit-def: $vgpr70
; %bb.74:
	s_and_not1_saveexec_b32 s3, s3
; %bb.75:
	v_and_b32_e32 v79, 0xffff, v70
	v_or_b32_e32 v83, 0x10000, v70
	s_delay_alu instid0(VALU_DEP_2) | instskip(NEXT) | instid1(VALU_DEP_2)
	v_cmp_eq_u32_e32 vcc_lo, 0, v79
	v_cndmask_b32_e32 v79, v83, v70, vcc_lo
; %bb.76:
	s_or_b32 exec_lo, exec_lo, s3
	s_delay_alu instid0(VALU_DEP_1)
	v_perm_b32 v86, v79, v78, 0x7060302
	v_perm_b32 v85, v77, v82, 0x7060302
	;; [unrolled: 1-line block ×4, first 2 shown]
	v_lshl_or_b32 v82, v66, 11, v80
	ds_store_b128 v76, v[83:86] offset:1024
	s_waitcnt lgkmcnt(0)
	s_barrier
	buffer_gl0_inv
	ds_load_b128 v[69:72], v82
	ds_load_b128 v[83:86], v82 offset:16
	s_waitcnt lgkmcnt(1)
	v_lshrrev_b32_e32 v66, 16, v69
	s_waitcnt lgkmcnt(0)
	v_lshrrev_b32_e32 v91, 16, v83
	v_lshlrev_b32_e32 v78, 2, v74
	v_lshrrev_b32_e32 v95, 16, v70
	v_lshrrev_b32_e32 v98, 16, v84
	;; [unrolled: 1-line block ×4, first 2 shown]
	v_cmp_eq_u32_e32 vcc_lo, 1, v78
	v_lshrrev_b32_e32 v97, 16, v72
	v_lshrrev_b32_e32 v100, 16, v86
	v_cndmask_b32_e32 v87, v83, v91, vcc_lo
	v_or_b32_e32 v79, 1, v78
	v_cndmask_b32_e32 v81, v69, v66, vcc_lo
	v_cmp_eq_u32_e64 s4, 2, v78
	v_cmp_eq_u32_e64 s7, 3, v78
	;; [unrolled: 1-line block ×5, first 2 shown]
	v_cndmask_b32_e64 v81, v81, v70, s4
	v_cndmask_b32_e64 v87, v87, v84, s4
	v_cmp_eq_u32_e64 s8, 3, v79
	v_cndmask_b32_e64 v88, v69, v66, s3
	v_or_b32_e32 v77, 2, v78
	v_cndmask_b32_e64 v81, v81, v95, s7
	v_cndmask_b32_e64 v87, v87, v98, s7
	;; [unrolled: 1-line block ×4, first 2 shown]
	v_cmp_eq_u32_e64 s10, 5, v78
	v_cndmask_b32_e64 v81, v81, v71, s9
	v_cndmask_b32_e64 v87, v87, v85, s9
	v_cmp_eq_u32_e64 s11, 4, v79
	v_cndmask_b32_e64 v88, v88, v95, s8
	v_cmp_eq_u32_e64 s5, 1, v77
	v_cndmask_b32_e64 v89, v89, v84, s6
	v_cndmask_b32_e64 v81, v81, v96, s10
	v_cmp_eq_u32_e64 s12, 6, v78
	v_cndmask_b32_e64 v88, v88, v71, s11
	;; [unrolled: 3-line block ×3, first 2 shown]
	v_cndmask_b32_e64 v89, v89, v98, s8
	v_cndmask_b32_e64 v81, v81, v72, s12
	v_cmp_eq_u32_e64 s15, 7, v78
	v_cndmask_b32_e64 v88, v88, v96, s13
	v_cndmask_b32_e64 v87, v87, v86, s12
	v_cmp_eq_u32_e64 s16, 6, v79
	v_cmp_eq_u32_e64 s17, 2, v77
	v_cndmask_b32_e64 v89, v89, v85, s11
	v_cndmask_b32_e64 v101, v81, v97, s15
	;; [unrolled: 1-line block ×6, first 2 shown]
	v_cmp_eq_u32_e64 s18, 7, v79
	v_cmp_eq_u32_e64 s19, 3, v77
	;; [unrolled: 1-line block ×4, first 2 shown]
	v_cndmask_b32_e64 v87, v87, v84, s17
	v_cndmask_b32_e64 v103, v88, v97, s18
	;; [unrolled: 1-line block ×4, first 2 shown]
	v_or_b32_e32 v81, 3, v78
	v_cndmask_b32_e64 v93, v87, v98, s19
	v_cmp_eq_u32_e64 s24, 6, v77
	v_cndmask_b32_e64 v104, v88, v86, s16
	v_cndmask_b32_e64 v92, v89, v71, s20
	v_cmp_eq_u32_e64 s21, 1, v81
	ds_load_b128 v[87:90], v82 offset:1024
	v_cmp_eq_u32_e64 s23, 2, v81
	v_cmp_eq_u32_e64 s25, 3, v81
	v_cndmask_b32_e64 v105, v92, v96, s22
	v_cndmask_b32_e64 v66, v69, v66, s21
	v_cndmask_b32_e64 v69, v93, v85, s20
	v_cndmask_b32_e64 v83, v83, v91, s21
	ds_load_b128 v[91:94], v82 offset:1040
	v_cmp_eq_u32_e64 s26, 4, v81
	v_cndmask_b32_e64 v66, v66, v70, s23
	v_cmp_eq_u32_e64 s27, 7, v77
	v_cndmask_b32_e64 v70, v83, v84, s23
	v_cndmask_b32_e64 v84, v105, v72, s24
	v_cmp_eq_u32_e64 s28, 5, v81
	v_cndmask_b32_e64 v66, v66, v95, s25
	v_cmp_eq_u32_e64 s29, 6, v81
	v_cndmask_b32_e64 v70, v70, v98, s25
	v_cndmask_b32_e64 v69, v69, v99, s22
	;; [unrolled: 1-line block ×4, first 2 shown]
	s_waitcnt lgkmcnt(1)
	v_lshrrev_b32_e32 v95, 16, v87
	v_cndmask_b32_e64 v70, v70, v85, s26
	v_cndmask_b32_e64 v71, v84, v97, s27
	;; [unrolled: 1-line block ×4, first 2 shown]
	v_cndmask_b32_e32 v84, v87, v95, vcc_lo
	v_cndmask_b32_e64 v70, v70, v99, s28
	s_waitcnt lgkmcnt(0)
	v_lshrrev_b32_e32 v85, 16, v91
	v_lshrrev_b32_e32 v96, 16, v88
	v_cndmask_b32_e64 v98, v87, v95, s3
	v_cndmask_b32_e64 v84, v84, v88, s4
	;; [unrolled: 1-line block ×3, first 2 shown]
	v_cndmask_b32_e32 v99, v91, v85, vcc_lo
	v_cmp_eq_u32_e32 vcc_lo, 7, v81
	v_cndmask_b32_e64 v66, v66, v72, s29
	v_cndmask_b32_e64 v72, v84, v96, s7
	;; [unrolled: 1-line block ×3, first 2 shown]
	v_lshrrev_b32_e32 v98, 16, v92
	v_cndmask_b32_e32 v70, v70, v100, vcc_lo
	v_cndmask_b32_e64 v86, v99, v92, s4
	v_cndmask_b32_e64 v69, v69, v100, s27
	v_lshrrev_b32_e32 v100, 16, v93
	v_cndmask_b32_e64 v72, v72, v89, s9
	v_lshrrev_b32_e32 v99, 16, v89
	v_cndmask_b32_e64 v86, v86, v98, s7
	v_perm_b32 v71, v69, v71, 0x5040100
	v_cndmask_b32_e64 v84, v84, v96, s8
	s_delay_alu instid0(VALU_DEP_3) | instskip(NEXT) | instid1(VALU_DEP_2)
	v_cndmask_b32_e64 v86, v86, v93, s9
	v_cndmask_b32_e64 v84, v84, v89, s11
	s_delay_alu instid0(VALU_DEP_2) | instskip(NEXT) | instid1(VALU_DEP_1)
	v_cndmask_b32_e64 v86, v86, v100, s10
	v_cndmask_b32_e64 v69, v86, v94, s12
	;; [unrolled: 1-line block ×5, first 2 shown]
	s_delay_alu instid0(VALU_DEP_3) | instskip(NEXT) | instid1(VALU_DEP_3)
	v_cndmask_b32_e64 v86, v86, v88, s17
	v_cndmask_b32_e64 v87, v87, v88, s23
	s_delay_alu instid0(VALU_DEP_3) | instskip(NEXT) | instid1(VALU_DEP_3)
	v_cndmask_b32_e64 v88, v95, v92, s23
	v_cndmask_b32_e64 v86, v86, v96, s19
	;; [unrolled: 3-line block ×7, first 2 shown]
	s_delay_alu instid0(VALU_DEP_3) | instskip(SKIP_2) | instid1(VALU_DEP_2)
	v_cndmask_b32_e64 v88, v88, v94, s29
	v_cndmask_b32_e32 v66, v66, v97, vcc_lo
	v_cndmask_b32_e64 v97, v72, v99, s10
	v_perm_b32 v72, v70, v66, 0x5040100
	v_perm_b32 v70, v83, v103, 0x5040100
	v_cndmask_b32_e64 v103, v91, v85, s5
	v_cndmask_b32_e64 v85, v91, v85, s3
	;; [unrolled: 1-line block ×4, first 2 shown]
	v_lshrrev_b32_e32 v97, 16, v90
	v_cndmask_b32_e64 v91, v103, v92, s17
	v_cndmask_b32_e64 v85, v85, v92, s6
	;; [unrolled: 1-line block ×3, first 2 shown]
	s_mov_b32 s3, exec_lo
	v_cndmask_b32_e64 v83, v84, v97, s15
	v_cndmask_b32_e64 v91, v91, v98, s19
	;; [unrolled: 1-line block ×3, first 2 shown]
	v_lshrrev_b32_e32 v84, 16, v94
	v_cndmask_b32_e64 v66, v66, v97, s18
	v_cndmask_b32_e64 v90, v86, v97, s27
	;; [unrolled: 1-line block ×4, first 2 shown]
	v_dual_cndmask_b32 v86, v87, v97 :: v_dual_cndmask_b32 v87, v88, v84
	v_cndmask_b32_e64 v91, v69, v84, s15
	s_delay_alu instid0(VALU_DEP_4) | instskip(NEXT) | instid1(VALU_DEP_4)
	v_cndmask_b32_e64 v89, v89, v100, s22
	v_cndmask_b32_e64 v85, v85, v100, s13
	v_perm_b32 v69, v102, v101, 0x5040100
	v_perm_b32 v86, v87, v86, 0x5040100
	v_perm_b32 v83, v91, v83, 0x5040100
	v_cndmask_b32_e64 v89, v89, v94, s24
	v_cndmask_b32_e64 v85, v85, v94, s16
	s_mul_i32 s8, s35, 6
	s_delay_alu instid0(VALU_DEP_2) | instskip(NEXT) | instid1(VALU_DEP_2)
	v_cndmask_b32_e64 v88, v89, v84, s27
	v_cndmask_b32_e64 v89, v85, v84, s18
	s_delay_alu instid0(VALU_DEP_2) | instskip(NEXT) | instid1(VALU_DEP_2)
	v_perm_b32 v85, v88, v90, 0x5040100
	v_perm_b32 v84, v89, v66, 0x5040100
	ds_store_b128 v76, v[69:72]
	ds_store_b128 v76, v[83:86] offset:1024
	v_cmpx_gt_u32_e32 6, v0
	s_cbranch_execz .LBB1779_78
; %bb.77:
	s_mul_i32 s4, s8, s30
	s_delay_alu instid0(SALU_CYCLE_1) | instskip(SKIP_1) | instid1(VALU_DEP_1)
	v_add3_u32 v69, s4, s31, v65
	s_load_b128 s[4:7], s[0:1], 0x58
	v_mad_u64_u32 v[65:66], null, v69, s34, s[14:15]
	s_delay_alu instid0(VALU_DEP_1) | instskip(NEXT) | instid1(VALU_DEP_1)
	v_ashrrev_i32_e32 v66, 31, v65
	v_lshlrev_b64 v[65:66], 2, v[65:66]
	s_waitcnt lgkmcnt(0)
	s_delay_alu instid0(VALU_DEP_1) | instskip(NEXT) | instid1(VALU_DEP_2)
	v_add_co_u32 v69, vcc_lo, s6, v65
	v_add_co_ci_u32_e32 v70, vcc_lo, s7, v66, vcc_lo
	v_add_co_u32 v65, vcc_lo, s4, v65
	v_add_co_ci_u32_e32 v66, vcc_lo, s5, v66, vcc_lo
	global_store_b32 v[69:70], v67, off
	global_store_b32 v[65:66], v68, off
.LBB1779_78:
	s_or_b32 exec_lo, exec_lo, s3
	s_waitcnt lgkmcnt(0)
	s_waitcnt_vscnt null, 0x0
	s_barrier
	buffer_gl0_inv
	ds_load_b128 v[83:86], v80
	ds_load_b128 v[87:90], v80 offset:16
	ds_load_b128 v[95:98], v80 offset:2064
	;; [unrolled: 1-line block ×3, first 2 shown]
	v_mov_b32_e32 v65, 0
	ds_load_b128 v[103:106], v80 offset:4112
	ds_load_b128 v[99:102], v80 offset:4096
	;; [unrolled: 1-line block ×4, first 2 shown]
	v_mov_b32_e32 v66, v65
	v_mov_b32_e32 v67, v65
	;; [unrolled: 1-line block ×7, first 2 shown]
	s_waitcnt lgkmcnt(6)
	s_delay_alu instid0(VALU_DEP_1)
	v_wmma_f32_16x16x16_bf16 v[65:72], v[57:64], v[83:90], v[65:72]
	ds_load_b128 v[61:64], v80 offset:8208
	ds_load_b128 v[57:60], v80 offset:8192
	s_waitcnt lgkmcnt(6)
	v_wmma_f32_16x16x16_bf16 v[65:72], v[41:48], v[91:98], v[65:72]
	ds_load_b128 v[45:48], v80 offset:10256
	ds_load_b128 v[41:44], v80 offset:10240
	s_waitcnt lgkmcnt(6)
	;; [unrolled: 4-line block ×4, first 2 shown]
	v_wmma_f32_16x16x16_bf16 v[65:72], v[1:8], v[57:64], v[65:72]
	s_waitcnt lgkmcnt(4)
	s_delay_alu instid0(VALU_DEP_1) | instskip(SKIP_1) | instid1(VALU_DEP_1)
	v_wmma_f32_16x16x16_bf16 v[65:72], v[9:16], v[41:48], v[65:72]
	s_waitcnt lgkmcnt(2)
	v_wmma_f32_16x16x16_bf16 v[65:72], v[17:24], v[33:40], v[65:72]
	s_waitcnt lgkmcnt(0)
	s_delay_alu instid0(VALU_DEP_1) | instskip(NEXT) | instid1(VALU_DEP_1)
	v_wmma_f32_16x16x16_bf16 v[65:72], v[49:56], v[25:32], v[65:72]
	v_and_b32_e32 v1, 0x7f800000, v65
	s_delay_alu instid0(VALU_DEP_1) | instskip(SKIP_1) | instid1(SALU_CYCLE_1)
	v_cmp_ne_u32_e32 vcc_lo, 0x7f800000, v1
                                        ; implicit-def: $vgpr1
	s_and_saveexec_b32 s3, vcc_lo
	s_xor_b32 s3, exec_lo, s3
; %bb.79:
	v_bfe_u32 v1, v65, 16, 1
	s_delay_alu instid0(VALU_DEP_1)
	v_add3_u32 v1, v65, v1, 0x7fff
; %bb.80:
	s_and_not1_saveexec_b32 s3, s3
; %bb.81:
	v_and_b32_e32 v1, 0xffff, v65
	v_or_b32_e32 v2, 0x10000, v65
	s_delay_alu instid0(VALU_DEP_2) | instskip(NEXT) | instid1(VALU_DEP_2)
	v_cmp_eq_u32_e32 vcc_lo, 0, v1
	v_cndmask_b32_e32 v1, v2, v65, vcc_lo
; %bb.82:
	s_or_b32 exec_lo, exec_lo, s3
	v_and_b32_e32 v2, 0x7f800000, v66
	s_delay_alu instid0(VALU_DEP_1) | instskip(SKIP_1) | instid1(SALU_CYCLE_1)
	v_cmp_ne_u32_e32 vcc_lo, 0x7f800000, v2
                                        ; implicit-def: $vgpr2
	s_and_saveexec_b32 s3, vcc_lo
	s_xor_b32 s3, exec_lo, s3
; %bb.83:
	v_bfe_u32 v2, v66, 16, 1
	s_delay_alu instid0(VALU_DEP_1)
	v_add3_u32 v2, v66, v2, 0x7fff
; %bb.84:
	s_and_not1_saveexec_b32 s3, s3
; %bb.85:
	v_and_b32_e32 v2, 0xffff, v66
	v_or_b32_e32 v3, 0x10000, v66
	s_delay_alu instid0(VALU_DEP_2) | instskip(NEXT) | instid1(VALU_DEP_2)
	v_cmp_eq_u32_e32 vcc_lo, 0, v2
	v_cndmask_b32_e32 v2, v3, v66, vcc_lo
; %bb.86:
	s_or_b32 exec_lo, exec_lo, s3
	v_and_b32_e32 v3, 0x7f800000, v67
	s_delay_alu instid0(VALU_DEP_1) | instskip(SKIP_1) | instid1(SALU_CYCLE_1)
	v_cmp_ne_u32_e32 vcc_lo, 0x7f800000, v3
                                        ; implicit-def: $vgpr3
	s_and_saveexec_b32 s3, vcc_lo
	s_xor_b32 s3, exec_lo, s3
; %bb.87:
	v_bfe_u32 v3, v67, 16, 1
	s_delay_alu instid0(VALU_DEP_1)
	v_add3_u32 v3, v67, v3, 0x7fff
; %bb.88:
	s_and_not1_saveexec_b32 s3, s3
; %bb.89:
	v_and_b32_e32 v3, 0xffff, v67
	v_or_b32_e32 v4, 0x10000, v67
	s_delay_alu instid0(VALU_DEP_2) | instskip(NEXT) | instid1(VALU_DEP_2)
	v_cmp_eq_u32_e32 vcc_lo, 0, v3
	v_cndmask_b32_e32 v3, v4, v67, vcc_lo
; %bb.90:
	s_or_b32 exec_lo, exec_lo, s3
	v_and_b32_e32 v4, 0x7f800000, v68
	s_delay_alu instid0(VALU_DEP_1) | instskip(SKIP_1) | instid1(SALU_CYCLE_1)
	v_cmp_ne_u32_e32 vcc_lo, 0x7f800000, v4
                                        ; implicit-def: $vgpr4
	s_and_saveexec_b32 s3, vcc_lo
	s_xor_b32 s3, exec_lo, s3
; %bb.91:
	v_bfe_u32 v4, v68, 16, 1
	s_delay_alu instid0(VALU_DEP_1)
	v_add3_u32 v4, v68, v4, 0x7fff
; %bb.92:
	s_and_not1_saveexec_b32 s3, s3
; %bb.93:
	v_and_b32_e32 v4, 0xffff, v68
	v_or_b32_e32 v5, 0x10000, v68
	s_delay_alu instid0(VALU_DEP_2) | instskip(NEXT) | instid1(VALU_DEP_2)
	v_cmp_eq_u32_e32 vcc_lo, 0, v4
	v_cndmask_b32_e32 v4, v5, v68, vcc_lo
; %bb.94:
	s_or_b32 exec_lo, exec_lo, s3
	v_and_b32_e32 v5, 0x7f800000, v69
	s_delay_alu instid0(VALU_DEP_1) | instskip(SKIP_1) | instid1(SALU_CYCLE_1)
	v_cmp_ne_u32_e32 vcc_lo, 0x7f800000, v5
                                        ; implicit-def: $vgpr5
	s_and_saveexec_b32 s3, vcc_lo
	s_xor_b32 s3, exec_lo, s3
; %bb.95:
	v_bfe_u32 v5, v69, 16, 1
	s_delay_alu instid0(VALU_DEP_1)
	v_add3_u32 v5, v69, v5, 0x7fff
; %bb.96:
	s_and_not1_saveexec_b32 s3, s3
; %bb.97:
	v_and_b32_e32 v5, 0xffff, v69
	v_or_b32_e32 v6, 0x10000, v69
	s_delay_alu instid0(VALU_DEP_2) | instskip(NEXT) | instid1(VALU_DEP_2)
	v_cmp_eq_u32_e32 vcc_lo, 0, v5
	v_cndmask_b32_e32 v5, v6, v69, vcc_lo
; %bb.98:
	s_or_b32 exec_lo, exec_lo, s3
	v_and_b32_e32 v6, 0x7f800000, v70
	s_delay_alu instid0(VALU_DEP_1) | instskip(SKIP_1) | instid1(SALU_CYCLE_1)
	v_cmp_ne_u32_e32 vcc_lo, 0x7f800000, v6
                                        ; implicit-def: $vgpr6
	s_and_saveexec_b32 s3, vcc_lo
	s_xor_b32 s3, exec_lo, s3
; %bb.99:
	v_bfe_u32 v6, v70, 16, 1
	s_delay_alu instid0(VALU_DEP_1)
	v_add3_u32 v6, v70, v6, 0x7fff
; %bb.100:
	s_and_not1_saveexec_b32 s3, s3
; %bb.101:
	v_and_b32_e32 v6, 0xffff, v70
	v_or_b32_e32 v7, 0x10000, v70
	s_delay_alu instid0(VALU_DEP_2) | instskip(NEXT) | instid1(VALU_DEP_2)
	v_cmp_eq_u32_e32 vcc_lo, 0, v6
	v_cndmask_b32_e32 v6, v7, v70, vcc_lo
; %bb.102:
	s_or_b32 exec_lo, exec_lo, s3
	v_and_b32_e32 v7, 0x7f800000, v71
	s_delay_alu instid0(VALU_DEP_1) | instskip(SKIP_1) | instid1(SALU_CYCLE_1)
	v_cmp_ne_u32_e32 vcc_lo, 0x7f800000, v7
                                        ; implicit-def: $vgpr7
	s_and_saveexec_b32 s3, vcc_lo
	s_xor_b32 s3, exec_lo, s3
; %bb.103:
	v_bfe_u32 v7, v71, 16, 1
	s_delay_alu instid0(VALU_DEP_1)
	v_add3_u32 v7, v71, v7, 0x7fff
; %bb.104:
	s_and_not1_saveexec_b32 s3, s3
; %bb.105:
	v_and_b32_e32 v7, 0xffff, v71
	v_or_b32_e32 v8, 0x10000, v71
	s_delay_alu instid0(VALU_DEP_2) | instskip(NEXT) | instid1(VALU_DEP_2)
	v_cmp_eq_u32_e32 vcc_lo, 0, v7
	v_cndmask_b32_e32 v7, v8, v71, vcc_lo
; %bb.106:
	s_or_b32 exec_lo, exec_lo, s3
	v_and_b32_e32 v8, 0x7f800000, v72
	s_delay_alu instid0(VALU_DEP_1) | instskip(SKIP_1) | instid1(SALU_CYCLE_1)
	v_cmp_ne_u32_e32 vcc_lo, 0x7f800000, v8
                                        ; implicit-def: $vgpr8
	s_and_saveexec_b32 s3, vcc_lo
	s_xor_b32 s3, exec_lo, s3
; %bb.107:
	v_bfe_u32 v8, v72, 16, 1
	s_delay_alu instid0(VALU_DEP_1)
	v_add3_u32 v8, v72, v8, 0x7fff
                                        ; implicit-def: $vgpr65_vgpr66_vgpr67_vgpr68_vgpr69_vgpr70_vgpr71_vgpr72
; %bb.108:
	s_and_not1_saveexec_b32 s3, s3
; %bb.109:
	v_and_b32_e32 v8, 0xffff, v72
	v_or_b32_e32 v9, 0x10000, v72
	s_delay_alu instid0(VALU_DEP_2) | instskip(NEXT) | instid1(VALU_DEP_2)
	v_cmp_eq_u32_e32 vcc_lo, 0, v8
	v_cndmask_b32_e32 v8, v9, v72, vcc_lo
; %bb.110:
	s_or_b32 exec_lo, exec_lo, s3
	s_delay_alu instid0(VALU_DEP_1)
	v_perm_b32 v7, v8, v7, 0x7060302
	v_perm_b32 v6, v6, v5, 0x7060302
	v_perm_b32 v5, v4, v3, 0x7060302
	v_perm_b32 v4, v2, v1, 0x7060302
	s_barrier
	buffer_gl0_inv
	v_cmp_eq_u32_e32 vcc_lo, 1, v78
	ds_store_b128 v76, v[4:7]
	s_waitcnt lgkmcnt(0)
	s_barrier
	buffer_gl0_inv
	ds_load_b128 v[1:4], v82
	ds_load_b128 v[5:8], v82 offset:16
	v_cmp_eq_u32_e64 s3, 1, v79
	v_cmp_eq_u32_e64 s4, 2, v78
	;; [unrolled: 1-line block ×5, first 2 shown]
	s_waitcnt lgkmcnt(1)
	v_lshrrev_b32_e32 v9, 16, v1
	s_waitcnt lgkmcnt(0)
	v_lshrrev_b32_e32 v13, 16, v5
	v_lshrrev_b32_e32 v10, 16, v2
	;; [unrolled: 1-line block ×4, first 2 shown]
	v_cndmask_b32_e64 v19, v1, v9, s3
	v_cndmask_b32_e32 v18, v5, v13, vcc_lo
	v_cndmask_b32_e64 v20, v5, v13, s3
	v_cndmask_b32_e32 v17, v1, v9, vcc_lo
	v_cmp_eq_u32_e32 vcc_lo, 2, v79
	v_lshrrev_b32_e32 v15, 16, v7
	v_cmp_eq_u32_e64 s3, 1, v77
	v_lshrrev_b32_e32 v12, 16, v4
	v_lshrrev_b32_e32 v16, 16, v8
	v_cndmask_b32_e32 v20, v20, v6, vcc_lo
	v_cndmask_b32_e64 v17, v17, v2, s4
	v_cndmask_b32_e32 v19, v19, v2, vcc_lo
	v_cndmask_b32_e64 v18, v18, v6, s4
	v_cmp_eq_u32_e32 vcc_lo, 4, v78
	v_cmp_eq_u32_e64 s4, 3, v79
	v_cndmask_b32_e64 v17, v17, v10, s5
	v_cndmask_b32_e64 v21, v1, v9, s3
	;; [unrolled: 1-line block ×5, first 2 shown]
	v_cndmask_b32_e32 v17, v17, v3, vcc_lo
	v_cndmask_b32_e64 v20, v20, v14, s4
	v_cndmask_b32_e32 v18, v18, v7, vcc_lo
	v_cmp_eq_u32_e32 vcc_lo, 4, v79
	v_cmp_eq_u32_e64 s4, 5, v79
	v_cmp_eq_u32_e64 s3, 2, v81
	v_cndmask_b32_e64 v21, v21, v2, s7
	v_cmp_eq_u32_e64 s5, 5, v78
	v_cndmask_b32_e32 v19, v19, v3, vcc_lo
	v_cndmask_b32_e32 v20, v20, v7, vcc_lo
	v_cmp_eq_u32_e32 vcc_lo, 6, v79
	s_delay_alu instid0(VALU_DEP_4) | instskip(NEXT) | instid1(VALU_DEP_4)
	v_cndmask_b32_e64 v17, v17, v11, s5
	v_cndmask_b32_e64 v19, v19, v11, s4
	s_delay_alu instid0(VALU_DEP_4) | instskip(SKIP_1) | instid1(VALU_DEP_3)
	v_cndmask_b32_e64 v20, v20, v15, s4
	v_cmp_eq_u32_e64 s4, 1, v81
	v_cndmask_b32_e32 v19, v19, v4, vcc_lo
	v_cndmask_b32_e64 v18, v18, v15, s5
	s_delay_alu instid0(VALU_DEP_3)
	v_cndmask_b32_e64 v1, v1, v9, s4
	v_cndmask_b32_e64 v5, v5, v13, s4
	v_cmp_eq_u32_e64 s4, 3, v77
	v_cndmask_b32_e64 v13, v22, v6, s7
	v_cmp_eq_u32_e64 s7, 3, v81
	v_cndmask_b32_e64 v1, v1, v2, s3
	v_cndmask_b32_e64 v2, v5, v6, s3
	;; [unrolled: 1-line block ×3, first 2 shown]
	v_cmp_eq_u32_e64 s3, 4, v77
	v_cndmask_b32_e64 v6, v13, v14, s4
	v_cndmask_b32_e64 v1, v1, v10, s7
	v_cmp_eq_u32_e64 s4, 4, v81
	v_cndmask_b32_e64 v2, v2, v14, s7
	v_cndmask_b32_e64 v5, v9, v3, s3
	;; [unrolled: 3-line block ×3, first 2 shown]
	v_cndmask_b32_e64 v2, v2, v7, s4
	v_cmp_eq_u32_e64 s3, 5, v81
	v_cmp_eq_u32_e64 s5, 6, v78
	v_cndmask_b32_e64 v5, v5, v11, s7
	v_cmp_eq_u32_e64 s4, 6, v77
	v_cndmask_b32_e64 v3, v6, v15, s7
	v_cndmask_b32_e64 v1, v1, v11, s3
	v_cmp_eq_u32_e64 s7, 6, v81
	v_cndmask_b32_e64 v2, v2, v15, s3
	v_cndmask_b32_e64 v17, v17, v4, s5
	v_cndmask_b32_e64 v18, v18, v8, s5
	v_cmp_eq_u32_e64 s5, 7, v78
	v_cndmask_b32_e64 v5, v5, v4, s4
	;; [unrolled: 4-line block ×3, first 2 shown]
	v_cmp_eq_u32_e64 s4, 7, v77
	v_cndmask_b32_e32 v4, v20, v8, vcc_lo
	v_cndmask_b32_e64 v17, v17, v12, s5
	v_cndmask_b32_e64 v19, v19, v12, s6
	;; [unrolled: 1-line block ×8, first 2 shown]
	v_cmp_gt_u32_e32 vcc_lo, 32, v0
	v_perm_b32 v4, v2, v1, 0x5040100
	v_perm_b32 v3, v3, v5, 0x5040100
	;; [unrolled: 1-line block ×4, first 2 shown]
	s_and_b32 s2, vcc_lo, s2
	ds_store_b128 v76, v[1:4]
	s_waitcnt lgkmcnt(0)
	s_barrier
	buffer_gl0_inv
	s_and_saveexec_b32 s3, s2
	s_cbranch_execz .LBB1779_2
; %bb.111:
	s_load_b64 s[0:1], s[0:1], 0x68
	s_lshl_b32 s4, s34, 6
	v_or_b32_e32 v3, s31, v74
	s_mul_i32 s2, s4, s30
	v_lshlrev_b32_e32 v0, 10, v0
	s_mul_i32 s2, s2, s8
	v_lshlrev_b32_e32 v1, 4, v75
	s_ashr_i32 s3, s2, 31
	v_mul_lo_u32 v12, v3, s4
	s_lshl_b64 s[2:3], s[2:3], 1
	v_lshlrev_b32_e32 v2, 6, v74
	v_and_b32_e32 v0, 0x3800, v0
	s_delay_alu instid0(VALU_DEP_1) | instskip(NEXT) | instid1(VALU_DEP_4)
	v_or3_b32 v8, v0, v1, v2
	v_ashrrev_i32_e32 v13, 31, v12
	ds_load_b128 v[0:3], v8
	ds_load_b128 v[4:7], v8 offset:128
	ds_load_b128 v[8:11], v8 offset:256
	s_waitcnt lgkmcnt(0)
	s_add_u32 s2, s0, s2
	s_addc_u32 s3, s1, s3
	s_lshl_b32 s0, s14, 6
	s_delay_alu instid0(SALU_CYCLE_1) | instskip(NEXT) | instid1(SALU_CYCLE_1)
	s_ashr_i32 s1, s0, 31
	s_lshl_b64 s[0:1], s[0:1], 1
	s_delay_alu instid0(SALU_CYCLE_1)
	s_add_u32 s0, s2, s0
	s_addc_u32 s1, s3, s1
	s_lshl_b32 s2, s34, 7
	v_add_co_u32 v18, s0, s0, v73
	v_add_nc_u32_e32 v14, s2, v12
	v_lshlrev_b64 v[12:13], 1, v[12:13]
	v_add_co_ci_u32_e64 v19, null, s1, 0, s0
	s_delay_alu instid0(VALU_DEP_3) | instskip(SKIP_1) | instid1(VALU_DEP_4)
	v_add_nc_u32_e32 v16, s2, v14
	v_ashrrev_i32_e32 v15, 31, v14
	v_add_co_u32 v12, vcc_lo, v18, v12
	s_delay_alu instid0(VALU_DEP_4) | instskip(NEXT) | instid1(VALU_DEP_4)
	v_add_co_ci_u32_e32 v13, vcc_lo, v19, v13, vcc_lo
	v_ashrrev_i32_e32 v17, 31, v16
	s_delay_alu instid0(VALU_DEP_4) | instskip(NEXT) | instid1(VALU_DEP_2)
	v_lshlrev_b64 v[14:15], 1, v[14:15]
	v_lshlrev_b64 v[16:17], 1, v[16:17]
	s_delay_alu instid0(VALU_DEP_2) | instskip(NEXT) | instid1(VALU_DEP_3)
	v_add_co_u32 v14, vcc_lo, v18, v14
	v_add_co_ci_u32_e32 v15, vcc_lo, v19, v15, vcc_lo
	s_delay_alu instid0(VALU_DEP_3) | instskip(NEXT) | instid1(VALU_DEP_4)
	v_add_co_u32 v16, vcc_lo, v18, v16
	v_add_co_ci_u32_e32 v17, vcc_lo, v19, v17, vcc_lo
	s_clause 0x2
	global_store_b128 v[12:13], v[0:3], off
	global_store_b128 v[14:15], v[4:7], off
	;; [unrolled: 1-line block ×3, first 2 shown]
	s_nop 0
	s_sendmsg sendmsg(MSG_DEALLOC_VGPRS)
	s_endpgm
	.section	.rodata,"a",@progbits
	.p2align	6, 0x0
	.amdhsa_kernel _Z39paged_attention_ll4mi_QKV_mfma16_kernelI14__hip_bfloat16hLN4vllm18Fp8KVCacheDataTypeE1ES0_Li32ELi64ELi256ELb0ELi6EL8MFMAType0EEvPKT_PKT0_S9_ifPKiSB_SB_iPKfiiiPfSE_PS4_PT2_iSD_SD_
		.amdhsa_group_segment_fixed_size 17472
		.amdhsa_private_segment_fixed_size 0
		.amdhsa_kernarg_size 400
		.amdhsa_user_sgpr_count 13
		.amdhsa_user_sgpr_dispatch_ptr 0
		.amdhsa_user_sgpr_queue_ptr 0
		.amdhsa_user_sgpr_kernarg_segment_ptr 1
		.amdhsa_user_sgpr_dispatch_id 0
		.amdhsa_user_sgpr_private_segment_size 0
		.amdhsa_wavefront_size32 1
		.amdhsa_uses_dynamic_stack 0
		.amdhsa_enable_private_segment 0
		.amdhsa_system_sgpr_workgroup_id_x 1
		.amdhsa_system_sgpr_workgroup_id_y 1
		.amdhsa_system_sgpr_workgroup_id_z 1
		.amdhsa_system_sgpr_workgroup_info 0
		.amdhsa_system_vgpr_workitem_id 0
		.amdhsa_next_free_vgpr 124
		.amdhsa_next_free_sgpr 40
		.amdhsa_reserve_vcc 1
		.amdhsa_float_round_mode_32 0
		.amdhsa_float_round_mode_16_64 0
		.amdhsa_float_denorm_mode_32 3
		.amdhsa_float_denorm_mode_16_64 3
		.amdhsa_dx10_clamp 1
		.amdhsa_ieee_mode 1
		.amdhsa_fp16_overflow 0
		.amdhsa_workgroup_processor_mode 1
		.amdhsa_memory_ordered 1
		.amdhsa_forward_progress 0
		.amdhsa_shared_vgpr_count 0
		.amdhsa_exception_fp_ieee_invalid_op 0
		.amdhsa_exception_fp_denorm_src 0
		.amdhsa_exception_fp_ieee_div_zero 0
		.amdhsa_exception_fp_ieee_overflow 0
		.amdhsa_exception_fp_ieee_underflow 0
		.amdhsa_exception_fp_ieee_inexact 0
		.amdhsa_exception_int_div_zero 0
	.end_amdhsa_kernel
	.section	.text._Z39paged_attention_ll4mi_QKV_mfma16_kernelI14__hip_bfloat16hLN4vllm18Fp8KVCacheDataTypeE1ES0_Li32ELi64ELi256ELb0ELi6EL8MFMAType0EEvPKT_PKT0_S9_ifPKiSB_SB_iPKfiiiPfSE_PS4_PT2_iSD_SD_,"axG",@progbits,_Z39paged_attention_ll4mi_QKV_mfma16_kernelI14__hip_bfloat16hLN4vllm18Fp8KVCacheDataTypeE1ES0_Li32ELi64ELi256ELb0ELi6EL8MFMAType0EEvPKT_PKT0_S9_ifPKiSB_SB_iPKfiiiPfSE_PS4_PT2_iSD_SD_,comdat
.Lfunc_end1779:
	.size	_Z39paged_attention_ll4mi_QKV_mfma16_kernelI14__hip_bfloat16hLN4vllm18Fp8KVCacheDataTypeE1ES0_Li32ELi64ELi256ELb0ELi6EL8MFMAType0EEvPKT_PKT0_S9_ifPKiSB_SB_iPKfiiiPfSE_PS4_PT2_iSD_SD_, .Lfunc_end1779-_Z39paged_attention_ll4mi_QKV_mfma16_kernelI14__hip_bfloat16hLN4vllm18Fp8KVCacheDataTypeE1ES0_Li32ELi64ELi256ELb0ELi6EL8MFMAType0EEvPKT_PKT0_S9_ifPKiSB_SB_iPKfiiiPfSE_PS4_PT2_iSD_SD_
                                        ; -- End function
	.section	.AMDGPU.csdata,"",@progbits
; Kernel info:
; codeLenInByte = 8760
; NumSgprs: 42
; NumVgprs: 124
; ScratchSize: 0
; MemoryBound: 0
; FloatMode: 240
; IeeeMode: 1
; LDSByteSize: 17472 bytes/workgroup (compile time only)
; SGPRBlocks: 5
; VGPRBlocks: 15
; NumSGPRsForWavesPerEU: 42
; NumVGPRsForWavesPerEU: 124
; Occupancy: 10
; WaveLimiterHint : 1
; COMPUTE_PGM_RSRC2:SCRATCH_EN: 0
; COMPUTE_PGM_RSRC2:USER_SGPR: 13
; COMPUTE_PGM_RSRC2:TRAP_HANDLER: 0
; COMPUTE_PGM_RSRC2:TGID_X_EN: 1
; COMPUTE_PGM_RSRC2:TGID_Y_EN: 1
; COMPUTE_PGM_RSRC2:TGID_Z_EN: 1
; COMPUTE_PGM_RSRC2:TIDIG_COMP_CNT: 0
	.section	.text._Z39paged_attention_ll4mi_QKV_mfma16_kernelI14__hip_bfloat16hLN4vllm18Fp8KVCacheDataTypeE1ES0_Li32ELi64ELi256ELb0ELi7EL8MFMAType0EEvPKT_PKT0_S9_ifPKiSB_SB_iPKfiiiPfSE_PS4_PT2_iSD_SD_,"axG",@progbits,_Z39paged_attention_ll4mi_QKV_mfma16_kernelI14__hip_bfloat16hLN4vllm18Fp8KVCacheDataTypeE1ES0_Li32ELi64ELi256ELb0ELi7EL8MFMAType0EEvPKT_PKT0_S9_ifPKiSB_SB_iPKfiiiPfSE_PS4_PT2_iSD_SD_,comdat
	.protected	_Z39paged_attention_ll4mi_QKV_mfma16_kernelI14__hip_bfloat16hLN4vllm18Fp8KVCacheDataTypeE1ES0_Li32ELi64ELi256ELb0ELi7EL8MFMAType0EEvPKT_PKT0_S9_ifPKiSB_SB_iPKfiiiPfSE_PS4_PT2_iSD_SD_ ; -- Begin function _Z39paged_attention_ll4mi_QKV_mfma16_kernelI14__hip_bfloat16hLN4vllm18Fp8KVCacheDataTypeE1ES0_Li32ELi64ELi256ELb0ELi7EL8MFMAType0EEvPKT_PKT0_S9_ifPKiSB_SB_iPKfiiiPfSE_PS4_PT2_iSD_SD_
	.globl	_Z39paged_attention_ll4mi_QKV_mfma16_kernelI14__hip_bfloat16hLN4vllm18Fp8KVCacheDataTypeE1ES0_Li32ELi64ELi256ELb0ELi7EL8MFMAType0EEvPKT_PKT0_S9_ifPKiSB_SB_iPKfiiiPfSE_PS4_PT2_iSD_SD_
	.p2align	8
	.type	_Z39paged_attention_ll4mi_QKV_mfma16_kernelI14__hip_bfloat16hLN4vllm18Fp8KVCacheDataTypeE1ES0_Li32ELi64ELi256ELb0ELi7EL8MFMAType0EEvPKT_PKT0_S9_ifPKiSB_SB_iPKfiiiPfSE_PS4_PT2_iSD_SD_,@function
_Z39paged_attention_ll4mi_QKV_mfma16_kernelI14__hip_bfloat16hLN4vllm18Fp8KVCacheDataTypeE1ES0_Li32ELi64ELi256ELb0ELi7EL8MFMAType0EEvPKT_PKT0_S9_ifPKiSB_SB_iPKfiiiPfSE_PS4_PT2_iSD_SD_: ; @_Z39paged_attention_ll4mi_QKV_mfma16_kernelI14__hip_bfloat16hLN4vllm18Fp8KVCacheDataTypeE1ES0_Li32ELi64ELi256ELb0ELi7EL8MFMAType0EEvPKT_PKT0_S9_ifPKiSB_SB_iPKfiiiPfSE_PS4_PT2_iSD_SD_
; %bb.0:
	s_load_b64 s[2:3], s[0:1], 0x30
	s_mov_b32 s34, s13
	s_waitcnt lgkmcnt(0)
	s_cmp_lg_u64 s[2:3], 0
	s_cselect_b32 s8, -1, 0
	s_ashr_i32 s35, s13, 31
	s_cmp_eq_u64 s[2:3], 0
	s_cbranch_scc1 .LBB1780_3
; %bb.1:
	s_lshl_b64 s[4:5], s[34:35], 2
	s_delay_alu instid0(SALU_CYCLE_1) | instskip(SKIP_4) | instid1(SALU_CYCLE_1)
	s_add_u32 s4, s2, s4
	s_addc_u32 s5, s3, s5
	s_load_b64 s[4:5], s[4:5], 0x0
	s_waitcnt lgkmcnt(0)
	s_sub_i32 s4, s5, s4
	s_cmp_eq_u32 s4, 1
	s_cselect_b32 s4, -1, 0
	s_delay_alu instid0(SALU_CYCLE_1)
	s_and_not1_b32 vcc_lo, exec_lo, s4
	s_cbranch_vccz .LBB1780_4
.LBB1780_2:
	s_nop 0
	s_sendmsg sendmsg(MSG_DEALLOC_VGPRS)
	s_endpgm
.LBB1780_3:
.LBB1780_4:
	s_load_b64 s[4:5], s[0:1], 0x28
	s_lshl_b64 s[6:7], s[34:35], 2
	s_waitcnt lgkmcnt(0)
	s_add_u32 s4, s4, s6
	s_addc_u32 s5, s5, s7
	s_lshl_b32 s12, s14, 8
	s_load_b32 s24, s[4:5], 0x0
	s_waitcnt lgkmcnt(0)
	s_cmp_ge_i32 s12, s24
	s_cbranch_scc1 .LBB1780_2
; %bb.5:
	s_clause 0x1
	s_load_b128 s[20:23], s[0:1], 0x8
	s_load_b64 s[4:5], s[0:1], 0x20
	s_and_not1_b32 vcc_lo, exec_lo, s8
	s_cbranch_vccnz .LBB1780_7
; %bb.6:
	s_add_u32 s2, s2, s6
	s_addc_u32 s3, s3, s7
	s_load_b32 s3, s[2:3], 0x0
	s_branch .LBB1780_8
.LBB1780_7:
	s_mov_b32 s3, s34
.LBB1780_8:
	s_load_b128 s[16:19], s[0:1], 0x48
	v_lshrrev_b32_e32 v66, 5, v0
	v_bfe_u32 v74, v0, 4, 1
	v_and_b32_e32 v65, 15, v0
	v_and_b32_e32 v67, 31, v0
	;; [unrolled: 1-line block ×3, first 2 shown]
	s_mul_i32 s31, s15, 7
	v_lshl_or_b32 v1, v66, 1, v74
	v_lshlrev_b32_e32 v2, 3, v65
	v_cmp_gt_u32_e64 s2, 8, v65
	s_delay_alu instid0(VALU_DEP_3) | instskip(NEXT) | instid1(VALU_DEP_3)
	v_cmp_gt_u32_e32 vcc_lo, 7, v1
	v_lshlrev_b32_e32 v73, 1, v2
	s_delay_alu instid0(VALU_DEP_3) | instskip(NEXT) | instid1(SALU_CYCLE_1)
	s_and_b32 s7, s2, vcc_lo
	s_and_saveexec_b32 s6, s7
	s_cbranch_execz .LBB1780_10
; %bb.9:
	s_load_b64 s[8:9], s[0:1], 0x0
	v_add_lshl_u32 v2, v1, s31, 6
	s_waitcnt lgkmcnt(0)
	s_mul_hi_i32 s11, s3, s16
	s_mul_i32 s10, s3, s16
	v_lshlrev_b32_e32 v6, 10, v65
	s_lshl_b64 s[10:11], s[10:11], 1
	v_ashrrev_i32_e32 v3, 31, v2
	v_lshlrev_b32_e32 v1, 6, v1
	v_lshlrev_b32_e32 v7, 10, v75
	v_and_b32_e32 v6, 0x3800, v6
	s_delay_alu instid0(VALU_DEP_4) | instskip(NEXT) | instid1(VALU_DEP_2)
	v_lshlrev_b64 v[2:3], 1, v[2:3]
	v_or3_b32 v1, v6, v7, v1
	s_add_u32 s3, s8, s10
	s_addc_u32 s7, s9, s11
	s_delay_alu instid0(VALU_DEP_2) | instskip(NEXT) | instid1(VALU_DEP_3)
	v_add_co_u32 v2, vcc_lo, s3, v2
	v_add_co_ci_u32_e32 v3, vcc_lo, s7, v3, vcc_lo
	s_delay_alu instid0(VALU_DEP_2) | instskip(NEXT) | instid1(VALU_DEP_2)
	v_add_co_u32 v2, vcc_lo, v2, v73
	v_add_co_ci_u32_e32 v3, vcc_lo, 0, v3, vcc_lo
	global_load_b128 v[2:5], v[2:3], off
	s_waitcnt vmcnt(0)
	ds_store_b128 v1, v[2:5]
.LBB1780_10:
	s_or_b32 exec_lo, exec_lo, s6
	v_and_b32_e32 v1, 0xef, v0
	s_waitcnt lgkmcnt(0)
	s_add_i32 s3, s24, 31
	s_clause 0x1
	s_load_b32 s6, s[0:1], 0x38
	s_load_b32 s19, s[0:1], 0x1c
	s_ashr_i32 s7, s3, 31
	v_add_nc_u32_e32 v1, s12, v1
	s_lshr_b32 s7, s7, 27
	s_waitcnt lgkmcnt(0)
	s_add_i32 s3, s3, s7
	s_barrier
	v_ashrrev_i32_e32 v2, 31, v1
	v_or_b32_e32 v3, 16, v1
	s_ashr_i32 s3, s3, 5
	v_cmp_gt_i32_e32 vcc_lo, s24, v1
	s_add_i32 s3, s3, -1
	v_lshrrev_b32_e32 v2, 27, v2
	buffer_gl0_inv
	s_mul_i32 s27, s15, s18
	v_add_nc_u32_e32 v4, v1, v2
	s_mul_i32 s6, s34, s6
	s_delay_alu instid0(SALU_CYCLE_1) | instskip(NEXT) | instid1(VALU_DEP_1)
	s_ashr_i32 s7, s6, 31
	v_ashrrev_i32_e32 v4, 5, v4
	v_add_nc_u32_e32 v2, v3, v2
	s_lshl_b64 s[6:7], s[6:7], 2
	s_delay_alu instid0(SALU_CYCLE_1) | instskip(NEXT) | instid1(VALU_DEP_2)
	s_add_u32 s26, s4, s6
	v_cndmask_b32_e32 v1, s3, v4, vcc_lo
	s_delay_alu instid0(VALU_DEP_2)
	v_ashrrev_i32_e32 v2, 5, v2
	v_cmp_gt_i32_e32 vcc_lo, s24, v3
	s_addc_u32 s25, s5, s7
	s_ashr_i32 s28, s27, 31
	s_add_u32 s4, s20, s27
	s_addc_u32 s5, s21, s28
	v_cndmask_b32_e32 v3, s3, v2, vcc_lo
	v_ashrrev_i32_e32 v2, 31, v1
	s_lshl_b32 s6, s14, 3
	s_delay_alu instid0(SALU_CYCLE_1) | instskip(NEXT) | instid1(VALU_DEP_2)
	s_ashr_i32 s7, s6, 31
	v_ashrrev_i32_e32 v4, 31, v3
	s_delay_alu instid0(VALU_DEP_2) | instskip(SKIP_1) | instid1(SALU_CYCLE_1)
	v_lshlrev_b64 v[1:2], 2, v[1:2]
	s_lshl_b64 s[6:7], s[6:7], 2
	s_add_u32 s6, s26, s6
	s_delay_alu instid0(VALU_DEP_2) | instskip(SKIP_1) | instid1(VALU_DEP_2)
	v_lshlrev_b64 v[3:4], 2, v[3:4]
	s_addc_u32 s7, s25, s7
	v_add_co_u32 v1, vcc_lo, s26, v1
	v_add_co_ci_u32_e32 v2, vcc_lo, s25, v2, vcc_lo
	s_delay_alu instid0(VALU_DEP_3) | instskip(NEXT) | instid1(VALU_DEP_4)
	v_add_co_u32 v3, vcc_lo, s26, v3
	v_add_co_ci_u32_e32 v4, vcc_lo, s25, v4, vcc_lo
	s_clause 0x1
	global_load_b32 v5, v[1:2], off
	global_load_b32 v6, v[3:4], off
	s_or_b32 s8, s12, 32
	s_delay_alu instid0(SALU_CYCLE_1) | instskip(SKIP_2) | instid1(SALU_CYCLE_1)
	s_ashr_i32 s9, s8, 5
	s_cmp_lt_i32 s8, s24
	s_cselect_b32 s8, s9, s3
	s_ashr_i32 s9, s8, 31
	s_delay_alu instid0(SALU_CYCLE_1) | instskip(NEXT) | instid1(SALU_CYCLE_1)
	s_lshl_b64 s[8:9], s[8:9], 2
	s_add_u32 s8, s26, s8
	s_addc_u32 s9, s25, s9
	s_or_b32 s10, s12, 64
	s_delay_alu instid0(SALU_CYCLE_1) | instskip(SKIP_2) | instid1(SALU_CYCLE_1)
	s_ashr_i32 s11, s10, 5
	s_cmp_lt_i32 s10, s24
	s_cselect_b32 s10, s11, s3
	s_ashr_i32 s11, s10, 31
	s_delay_alu instid0(SALU_CYCLE_1) | instskip(NEXT) | instid1(SALU_CYCLE_1)
	s_lshl_b64 s[10:11], s[10:11], 2
	s_add_u32 s10, s26, s10
	s_addc_u32 s11, s25, s11
	;; [unrolled: 10-line block ×5, first 2 shown]
	s_clause 0x5
	s_load_b32 s21, s[6:7], 0x0
	s_load_b32 s13, s[8:9], 0x0
	;; [unrolled: 1-line block ×6, first 2 shown]
	s_or_b32 s9, s12, 0xc0
	s_delay_alu instid0(SALU_CYCLE_1) | instskip(SKIP_2) | instid1(SALU_CYCLE_1)
	s_ashr_i32 s10, s9, 5
	s_cmp_lt_i32 s9, s24
	s_cselect_b32 s36, s10, s3
	s_ashr_i32 s37, s36, 31
	s_delay_alu instid0(SALU_CYCLE_1) | instskip(NEXT) | instid1(SALU_CYCLE_1)
	s_lshl_b64 s[36:37], s[36:37], 2
	s_add_u32 s36, s26, s36
	s_addc_u32 s37, s25, s37
	s_or_b32 s29, s12, 0xe0
	s_delay_alu instid0(SALU_CYCLE_1)
	s_ashr_i32 s30, s29, 5
	s_cmp_lt_i32 s29, s24
	s_waitcnt vmcnt(1)
	v_mad_i64_i32 v[1:2], null, v5, s17, s[4:5]
	s_waitcnt vmcnt(0)
	v_mad_i64_i32 v[3:4], null, v6, s17, s[4:5]
	s_mov_b32 s4, 0
	s_delay_alu instid0(SALU_CYCLE_1)
	s_mov_b32 s5, s4
	s_mov_b32 s6, s4
	;; [unrolled: 1-line block ×7, first 2 shown]
	v_lshlrev_b32_e32 v5, 4, v65
	v_dual_mov_b32 v107, s11 :: v_dual_mov_b32 v102, s6
	v_mov_b32_e32 v106, s10
	v_mov_b32_e32 v104, s8
	s_delay_alu instid0(VALU_DEP_4)
	v_add_co_u32 v1, vcc_lo, v1, v5
	v_add_co_ci_u32_e32 v2, vcc_lo, 0, v2, vcc_lo
	v_add_co_u32 v3, vcc_lo, v3, v5
	v_add_co_ci_u32_e32 v4, vcc_lo, 0, v4, vcc_lo
	s_clause 0x7
	global_load_b128 v[49:52], v[1:2], off
	global_load_b128 v[53:56], v[1:2], off offset:512
	global_load_b128 v[76:79], v[3:4], off offset:256
	global_load_b128 v[80:83], v[3:4], off offset:768
	global_load_b128 v[84:87], v[1:2], off offset:1024
	global_load_b128 v[88:91], v[1:2], off offset:1536
	global_load_b128 v[92:95], v[3:4], off offset:1280
	global_load_b128 v[96:99], v[3:4], off offset:1792
	v_mul_lo_u16 v1, v65, 37
	v_mov_b32_e32 v103, s7
	v_dual_mov_b32 v101, s5 :: v_dual_lshlrev_b32 v2, 5, v65
	v_mov_b32_e32 v100, s4
	s_delay_alu instid0(VALU_DEP_4) | instskip(NEXT) | instid1(VALU_DEP_3)
	v_lshrrev_b16 v1, 8, v1
	v_lshl_or_b32 v2, v66, 9, v2
	s_delay_alu instid0(VALU_DEP_2) | instskip(NEXT) | instid1(VALU_DEP_1)
	v_mul_lo_u16 v1, v1, 7
	v_sub_nc_u16 v1, v65, v1
	s_delay_alu instid0(VALU_DEP_1)
	v_and_b32_e32 v1, 0xff, v1
	v_mov_b32_e32 v105, s9
	s_cselect_b32 s4, s30, s3
	s_load_b32 s3, s[36:37], 0x0
	s_ashr_i32 s5, s4, 31
	v_lshlrev_b32_e32 v70, 6, v1
	s_lshl_b64 s[4:5], s[4:5], 2
	ds_load_b128 v[108:111], v70
	ds_load_b128 v[112:115], v70 offset:1024
	s_add_u32 s4, s26, s4
	s_addc_u32 s5, s25, s5
	s_add_u32 s6, s22, s27
	s_load_b32 s4, s[4:5], 0x0
	s_addc_u32 s7, s23, s28
	v_add_co_u32 v9, s6, s6, v2
	s_delay_alu instid0(VALU_DEP_1) | instskip(SKIP_1) | instid1(VALU_DEP_1)
	v_add_co_ci_u32_e64 v10, null, s7, 0, s6
	s_waitcnt lgkmcnt(0)
	v_mad_i64_i32 v[1:2], null, s21, s17, v[9:10]
	v_mad_i64_i32 v[3:4], null, s13, s17, v[9:10]
	;; [unrolled: 1-line block ×7, first 2 shown]
	s_clause 0x9
	global_load_b128 v[57:60], v[1:2], off
	global_load_b128 v[61:64], v[1:2], off offset:16
	global_load_b128 v[41:44], v[3:4], off
	global_load_b128 v[45:48], v[3:4], off offset:16
	;; [unrolled: 2-line block ×5, first 2 shown]
	v_mad_i64_i32 v[68:69], null, s4, s17, v[9:10]
	s_clause 0x3
	global_load_b128 v[9:12], v[13:14], off
	global_load_b128 v[13:16], v[13:14], off offset:16
	global_load_b128 v[17:20], v[21:22], off
	global_load_b128 v[21:24], v[21:22], off offset:16
	s_waitcnt vmcnt(20)
	v_wmma_f32_16x16x16_bf16 v[116:123], v[49:56], v[108:115], v[100:107]
	s_clause 0x1
	global_load_b128 v[49:52], v[68:69], off
	global_load_b128 v[53:56], v[68:69], off offset:16
	v_and_b32_e32 v68, 0xe0, v0
	v_mbcnt_lo_u32_b32 v69, -1, 0
	s_delay_alu instid0(VALU_DEP_2)
	v_add_nc_u32_e32 v68, s12, v68
	s_waitcnt vmcnt(20)
	v_wmma_f32_16x16x16_bf16 v[100:107], v[76:83], v[108:115], v[100:107]
	ds_load_b128 v[76:79], v70 offset:2048
	ds_load_b128 v[80:83], v70 offset:3072
	v_xor_b32_e32 v70, 16, v69
	s_waitcnt vmcnt(0) lgkmcnt(0)
	v_or_b32_e32 v68, v68, v74
	s_barrier
	buffer_gl0_inv
	v_cmp_gt_i32_e32 vcc_lo, 32, v70
	v_or_b32_e32 v71, 4, v68
	v_or_b32_e32 v72, 6, v68
	v_cmp_gt_i32_e64 s3, s24, v68
	v_or_b32_e32 v108, 8, v68
	v_or_b32_e32 v109, 10, v68
	v_cmp_gt_i32_e64 s4, s24, v71
	v_cmp_gt_i32_e64 s5, s24, v72
	s_delay_alu instid0(VALU_DEP_4) | instskip(NEXT) | instid1(VALU_DEP_4)
	v_cmp_gt_i32_e64 s6, s24, v108
	v_cmp_gt_i32_e64 s7, s24, v109
	v_wmma_f32_16x16x16_bf16 v[116:123], v[84:91], v[76:83], v[116:123]
	v_cndmask_b32_e32 v69, v69, v70, vcc_lo
	v_or_b32_e32 v70, 2, v68
	v_wmma_f32_16x16x16_bf16 v[100:107], v[92:99], v[76:83], v[100:107]
	v_or_b32_e32 v84, 12, v68
	v_dual_mul_f32 v78, s19, v123 :: v_dual_mul_f32 v83, s19, v118
	v_dual_mul_f32 v92, s19, v117 :: v_dual_mul_f32 v93, s19, v116
	s_delay_alu instid0(VALU_DEP_4) | instskip(SKIP_2) | instid1(VALU_DEP_4)
	v_mul_f32_e32 v94, s19, v107
	v_cmp_gt_i32_e32 vcc_lo, s24, v70
	v_dual_mul_f32 v81, s19, v120 :: v_dual_mul_f32 v82, s19, v119
	v_cndmask_b32_e64 v93, 0xff7fffff, v93, s3
	v_or_b32_e32 v85, 14, v68
	v_cndmask_b32_e32 v92, 0xff7fffff, v92, vcc_lo
	v_dual_mul_f32 v79, s19, v122 :: v_dual_mul_f32 v80, s19, v121
	v_cndmask_b32_e64 v71, 0xff7fffff, v83, s4
	v_cndmask_b32_e64 v72, 0xff7fffff, v82, s5
	s_delay_alu instid0(VALU_DEP_4)
	v_max3_f32 v82, v93, 0xff7fffff, v92
	v_or_b32_e32 v86, 16, v68
	v_or_b32_e32 v87, 18, v68
	v_cndmask_b32_e64 v81, 0xff7fffff, v81, s6
	v_cndmask_b32_e64 v80, 0xff7fffff, v80, s7
	v_max3_f32 v71, v82, v71, v72
	v_cmp_gt_i32_e64 s8, s24, v84
	v_cmp_gt_i32_e64 s9, s24, v85
	v_or_b32_e32 v88, 20, v68
	v_or_b32_e32 v89, 22, v68
	;; [unrolled: 1-line block ×6, first 2 shown]
	v_dual_mul_f32 v99, s19, v102 :: v_dual_mul_f32 v70, s19, v101
	v_mul_f32_e32 v68, s19, v100
	v_cndmask_b32_e64 v72, 0xff7fffff, v79, s8
	v_cndmask_b32_e64 v78, 0xff7fffff, v78, s9
	v_max3_f32 v71, v71, v81, v80
	v_cmp_gt_i32_e64 s10, s24, v86
	v_cmp_gt_i32_e64 s11, s24, v87
	v_dual_mul_f32 v97, s19, v104 :: v_dual_mul_f32 v98, s19, v103
	s_delay_alu instid0(VALU_DEP_4) | instskip(SKIP_1) | instid1(VALU_DEP_4)
	v_max3_f32 v71, v71, v72, v78
	v_cmp_gt_i32_e64 s12, s24, v88
	v_cndmask_b32_e64 v70, 0xff7fffff, v70, s11
	v_cmp_gt_i32_e64 s13, s24, v89
	v_lshlrev_b32_e32 v89, 2, v69
	v_cndmask_b32_e64 v68, 0xff7fffff, v68, s10
	v_dual_mul_f32 v95, s19, v106 :: v_dual_mul_f32 v96, s19, v105
	v_cndmask_b32_e64 v72, 0xff7fffff, v99, s12
	v_cndmask_b32_e64 v78, 0xff7fffff, v98, s13
	s_delay_alu instid0(VALU_DEP_4)
	v_max3_f32 v68, v71, v68, v70
	v_cmp_gt_i32_e64 s15, s24, v90
	v_cmp_gt_i32_e64 s16, s24, v91
	;; [unrolled: 1-line block ×4, first 2 shown]
	v_max3_f32 v68, v68, v72, v78
	v_cndmask_b32_e64 v70, 0xff7fffff, v97, s15
	v_cndmask_b32_e64 v71, 0xff7fffff, v96, s16
	;; [unrolled: 1-line block ×4, first 2 shown]
	s_delay_alu instid0(VALU_DEP_3) | instskip(NEXT) | instid1(VALU_DEP_1)
	v_max3_f32 v68, v68, v70, v71
	v_max3_f32 v68, v68, v72, v76
	ds_bpermute_b32 v69, v89, v68
	s_waitcnt lgkmcnt(0)
	v_max_f32_e32 v69, v69, v69
	s_delay_alu instid0(VALU_DEP_1) | instskip(NEXT) | instid1(VALU_DEP_1)
	v_max_f32_e32 v68, v68, v69
	v_fma_f32 v71, s19, v118, -v68
	s_delay_alu instid0(VALU_DEP_1)
	v_mul_f32_e32 v71, 0x3fb8aa3b, v71
	v_fma_f32 v69, s19, v116, -v68
	v_fma_f32 v70, s19, v117, -v68
	;; [unrolled: 1-line block ×4, first 2 shown]
	v_exp_f32_e32 v71, v71
	s_delay_alu instid0(VALU_DEP_3) | instskip(SKIP_2) | instid1(VALU_DEP_3)
	v_dual_mul_f32 v69, 0x3fb8aa3b, v69 :: v_dual_mul_f32 v70, 0x3fb8aa3b, v70
	v_fma_f32 v78, s19, v122, -v68
	v_fma_f32 v81, s19, v105, -v68
	v_exp_f32_e32 v69, v69
	s_delay_alu instid0(VALU_DEP_3) | instskip(SKIP_1) | instid1(VALU_DEP_2)
	v_exp_f32_e32 v70, v70
	v_mul_f32_e32 v77, 0x3fb8aa3b, v76
	v_mul_f32_e32 v81, 0x3fb8aa3b, v81
	s_delay_alu instid0(TRANS32_DEP_3) | instskip(SKIP_1) | instid1(VALU_DEP_3)
	v_cndmask_b32_e64 v83, 0, v71, s4
	v_fma_f32 v71, s19, v123, -v68
	v_exp_f32_e32 v81, v81
	s_delay_alu instid0(TRANS32_DEP_3) | instskip(NEXT) | instid1(TRANS32_DEP_2)
	v_cndmask_b32_e64 v80, 0, v69, s3
	v_cndmask_b32_e32 v76, 0, v70, vcc_lo
	v_fma_f32 v69, s19, v121, -v68
	v_mul_f32_e32 v72, 0x3fb8aa3b, v72
	v_exp_f32_e32 v77, v77
	v_dual_add_f32 v70, 0, v80 :: v_dual_mul_f32 v71, 0x3fb8aa3b, v71
	s_delay_alu instid0(VALU_DEP_3) | instskip(NEXT) | instid1(VALU_DEP_3)
	v_mul_f32_e32 v69, 0x3fb8aa3b, v69
	v_exp_f32_e32 v72, v72
	v_cmp_gt_u32_e64 s3, 16, v67
	s_delay_alu instid0(VALU_DEP_3) | instskip(NEXT) | instid1(VALU_DEP_2)
	v_exp_f32_e32 v71, v71
	v_exp_f32_e32 v69, v69
	v_cndmask_b32_e64 v86, 0, v77, s6
	v_fma_f32 v77, s19, v101, -v68
	v_add_f32_e32 v70, v70, v76
	s_delay_alu instid0(TRANS32_DEP_3) | instskip(SKIP_1) | instid1(VALU_DEP_3)
	v_cndmask_b32_e64 v85, 0, v72, s5
	v_fma_f32 v72, s19, v100, -v68
	v_dual_mul_f32 v77, 0x3fb8aa3b, v77 :: v_dual_add_f32 v70, v70, v83
	s_delay_alu instid0(TRANS32_DEP_2) | instskip(SKIP_1) | instid1(TRANS32_DEP_1)
	v_cndmask_b32_e64 v88, 0, v71, s9
	v_fma_f32 v71, s19, v104, -v68
	v_cndmask_b32_e64 v87, 0, v69, s7
	s_delay_alu instid0(VALU_DEP_4) | instskip(NEXT) | instid1(VALU_DEP_2)
	v_exp_f32_e32 v77, v77
	v_dual_add_f32 v70, v70, v85 :: v_dual_mul_f32 v71, 0x3fb8aa3b, v71
	s_delay_alu instid0(VALU_DEP_1) | instskip(SKIP_2) | instid1(VALU_DEP_3)
	v_dual_mul_f32 v72, 0x3fb8aa3b, v72 :: v_dual_add_f32 v69, v70, v86
	v_mul_f32_e32 v78, 0x3fb8aa3b, v78
	v_fma_f32 v70, s19, v102, -v68
	v_exp_f32_e32 v72, v72
	v_exp_f32_e32 v82, v71
	v_add_f32_e32 v69, v69, v87
	v_exp_f32_e32 v78, v78
	v_mul_f32_e32 v70, 0x3fb8aa3b, v70
	s_delay_alu instid0(VALU_DEP_1) | instskip(SKIP_4) | instid1(VALU_DEP_2)
	v_exp_f32_e32 v79, v70
	v_cndmask_b32_e64 v70, 0, v72, s10
	s_waitcnt_depctr 0xfff
	v_cndmask_b32_e64 v84, 0, v78, s8
	v_fma_f32 v78, s19, v103, -v68
	v_add_f32_e32 v69, v69, v84
	v_cndmask_b32_e64 v71, 0, v79, s12
	s_delay_alu instid0(VALU_DEP_2) | instskip(SKIP_2) | instid1(VALU_DEP_1)
	v_add_f32_e32 v72, v69, v88
	v_cndmask_b32_e64 v69, 0, v77, s11
	v_fma_f32 v77, s19, v106, -v68
	v_dual_mul_f32 v77, 0x3fb8aa3b, v77 :: v_dual_add_f32 v72, v72, v70
	v_mul_f32_e32 v78, 0x3fb8aa3b, v78
	s_delay_alu instid0(VALU_DEP_2) | instskip(NEXT) | instid1(VALU_DEP_2)
	v_exp_f32_e32 v90, v77
	v_add_f32_e32 v79, v72, v69
	s_delay_alu instid0(VALU_DEP_2)
	v_exp_f32_e32 v78, v78
	v_cndmask_b32_e64 v77, 0, v82, s15
	s_waitcnt_depctr 0xfff
	v_cndmask_b32_e64 v72, 0, v78, s13
	v_add_f32_e32 v78, v79, v71
	v_fma_f32 v79, s19, v107, -v68
	s_delay_alu instid0(VALU_DEP_1) | instskip(SKIP_1) | instid1(VALU_DEP_2)
	v_dual_add_f32 v82, v78, v72 :: v_dual_mul_f32 v79, 0x3fb8aa3b, v79
	v_cndmask_b32_e64 v78, 0, v81, s16
	v_add_f32_e32 v81, v82, v77
	s_delay_alu instid0(VALU_DEP_3) | instskip(SKIP_1) | instid1(VALU_DEP_2)
	v_exp_f32_e32 v82, v79
	v_cndmask_b32_e64 v79, 0, v90, s17
	v_add_f32_e32 v81, v81, v78
	s_delay_alu instid0(VALU_DEP_1) | instskip(SKIP_2) | instid1(VALU_DEP_1)
	v_add_f32_e32 v90, v81, v79
	s_waitcnt_depctr 0xfff
	v_cndmask_b32_e64 v81, 0, v82, s18
	v_add_f32_e32 v82, v90, v81
	ds_bpermute_b32 v89, v89, v82
	s_and_saveexec_b32 s4, s3
	s_cbranch_execz .LBB1780_12
; %bb.11:
	v_mul_u32_u24_e32 v67, 0x44, v66
	s_delay_alu instid0(VALU_DEP_1) | instskip(SKIP_1) | instid1(VALU_DEP_1)
	v_lshl_add_u32 v67, v65, 2, v67
	s_waitcnt lgkmcnt(0)
	v_dual_add_f32 v82, v82, v89 :: v_dual_add_nc_u32 v67, 0x4000, v67
	ds_store_2addr_b32 v67, v68, v82 offset1:136
.LBB1780_12:
	s_or_b32 exec_lo, exec_lo, s4
	v_lshlrev_b32_e32 v67, 2, v65
	s_waitcnt lgkmcnt(0)
	s_barrier
	buffer_gl0_inv
	v_cmp_eq_u32_e32 vcc_lo, 1, v66
	v_add_nc_u32_e32 v82, 0x4000, v67
	v_cmp_eq_u32_e64 s4, 2, v66
	v_cmp_eq_u32_e64 s6, 7, v66
	ds_load_2addr_b32 v[89:90], v82 offset1:17
	ds_load_2addr_b32 v[91:92], v82 offset0:34 offset1:51
	ds_load_2addr_b32 v[93:94], v82 offset0:68 offset1:85
	;; [unrolled: 1-line block ×4, first 2 shown]
	s_waitcnt lgkmcnt(4)
	v_max3_f32 v67, v89, 0xff7fffff, v90
	s_waitcnt lgkmcnt(3)
	s_delay_alu instid0(VALU_DEP_1) | instskip(SKIP_1) | instid1(VALU_DEP_1)
	v_max3_f32 v67, v67, v91, v92
	s_waitcnt lgkmcnt(2)
	v_max3_f32 v67, v67, v93, v94
	s_waitcnt lgkmcnt(1)
	s_delay_alu instid0(VALU_DEP_1) | instskip(NEXT) | instid1(VALU_DEP_1)
	v_max3_f32 v67, v67, v95, v96
	v_sub_f32_e32 v93, v93, v67
	s_delay_alu instid0(VALU_DEP_1) | instskip(NEXT) | instid1(VALU_DEP_1)
	v_dual_sub_f32 v68, v89, v67 :: v_dual_mul_f32 v103, 0x3fb8aa3b, v93
	v_mul_f32_e32 v68, 0x3fb8aa3b, v68
	s_delay_alu instid0(VALU_DEP_1)
	v_exp_f32_e32 v100, v68
	v_sub_f32_e32 v68, v92, v67
	v_sub_f32_e32 v99, v90, v67
	ds_load_2addr_b32 v[89:90], v82 offset0:170 offset1:187
	v_dual_mul_f32 v102, 0x3fb8aa3b, v68 :: v_dual_mul_f32 v99, 0x3fb8aa3b, v99
	s_waitcnt lgkmcnt(1)
	v_fma_f32 v68, v100, v97, 0
	s_delay_alu instid0(VALU_DEP_2) | instskip(NEXT) | instid1(VALU_DEP_2)
	v_exp_f32_e32 v102, v102
	v_exp_f32_e32 v99, v99
	s_waitcnt_depctr 0xfff
	v_fmac_f32_e32 v68, v99, v98
	v_sub_f32_e32 v91, v91, v67
	s_delay_alu instid0(VALU_DEP_1)
	v_mul_f32_e32 v101, 0x3fb8aa3b, v91
	ds_load_2addr_b32 v[91:92], v82 offset0:204 offset1:221
	v_sub_f32_e32 v97, v94, v67
	ds_load_2addr_b32 v[93:94], v82 offset0:238 offset1:255
	s_waitcnt lgkmcnt(0)
	v_exp_f32_e32 v101, v101
	s_barrier
	buffer_gl0_inv
	v_dual_fmac_f32 v68, v101, v89 :: v_dual_sub_f32 v89, v96, v67
	v_dual_sub_f32 v82, v95, v67 :: v_dual_mul_f32 v95, 0x3fb8aa3b, v97
	v_exp_f32_e32 v97, v103
	s_delay_alu instid0(VALU_DEP_2) | instskip(NEXT) | instid1(VALU_DEP_2)
	v_dual_fmac_f32 v68, v102, v90 :: v_dual_mul_f32 v89, 0x3fb8aa3b, v89
	v_mul_f32_e32 v82, 0x3fb8aa3b, v82
	s_delay_alu instid0(VALU_DEP_3) | instskip(NEXT) | instid1(VALU_DEP_2)
	v_exp_f32_e32 v95, v95
	v_exp_f32_e32 v89, v89
	s_delay_alu instid0(VALU_DEP_1)
	v_exp_f32_e32 v82, v82
	v_fmac_f32_e32 v68, v97, v91
	s_delay_alu instid0(TRANS32_DEP_3) | instid1(VALU_DEP_1)
	v_fmac_f32_e32 v68, v95, v92
	s_waitcnt_depctr 0xfff
	v_fmac_f32_e32 v68, v82, v93
	s_delay_alu instid0(VALU_DEP_1) | instskip(NEXT) | instid1(VALU_DEP_1)
	v_fmac_f32_e32 v68, v89, v94
	v_add_f32_e32 v90, 0x358637bd, v68
	s_delay_alu instid0(VALU_DEP_1) | instskip(NEXT) | instid1(VALU_DEP_1)
	v_div_scale_f32 v91, null, v90, v90, 1.0
	v_rcp_f32_e32 v92, v91
	s_waitcnt_depctr 0xfff
	v_fma_f32 v93, -v91, v92, 1.0
	s_delay_alu instid0(VALU_DEP_1) | instskip(SKIP_1) | instid1(VALU_DEP_2)
	v_dual_fmac_f32 v92, v93, v92 :: v_dual_cndmask_b32 v93, v100, v99
	v_cmp_eq_u32_e32 vcc_lo, 3, v66
	v_cndmask_b32_e64 v93, v93, v101, s4
	v_cmp_eq_u32_e64 s4, 4, v66
	s_delay_alu instid0(VALU_DEP_2) | instskip(SKIP_1) | instid1(VALU_DEP_2)
	v_cndmask_b32_e32 v93, v93, v102, vcc_lo
	v_cmp_eq_u32_e32 vcc_lo, 5, v66
	v_cndmask_b32_e64 v93, v93, v97, s4
	v_cmp_eq_u32_e64 s4, 6, v66
	s_delay_alu instid0(VALU_DEP_2) | instskip(SKIP_1) | instid1(VALU_DEP_1)
	v_cndmask_b32_e32 v93, v93, v95, vcc_lo
	v_div_scale_f32 v94, s5, 1.0, v90, 1.0
	s_mov_b32 vcc_lo, s5
	s_delay_alu instid0(VALU_DEP_2) | instskip(NEXT) | instid1(VALU_DEP_2)
	v_cndmask_b32_e64 v82, v93, v82, s4
	v_mul_f32_e32 v96, v94, v92
	s_mov_b32 s4, exec_lo
	s_delay_alu instid0(VALU_DEP_2) | instskip(NEXT) | instid1(VALU_DEP_2)
	v_cndmask_b32_e64 v82, v82, v89, s6
	v_fma_f32 v98, -v91, v96, v94
	s_delay_alu instid0(VALU_DEP_1) | instskip(NEXT) | instid1(VALU_DEP_1)
	v_fmac_f32_e32 v96, v98, v92
	v_fma_f32 v91, -v91, v96, v94
	s_delay_alu instid0(VALU_DEP_1) | instskip(NEXT) | instid1(VALU_DEP_1)
	v_div_fmas_f32 v91, v91, v92, v96
	v_div_fixup_f32 v90, v91, v90, 1.0
	s_delay_alu instid0(VALU_DEP_1) | instskip(NEXT) | instid1(VALU_DEP_1)
	v_mul_f32_e32 v82, v82, v90
	v_mul_f32_e32 v87, v82, v87
	;; [unrolled: 1-line block ×7, first 2 shown]
	v_dual_mul_f32 v86, v82, v83 :: v_dual_and_b32 v91, 0x7f800000, v90
	v_mul_f32_e32 v85, v82, v76
                                        ; implicit-def: $vgpr76
	s_delay_alu instid0(VALU_DEP_2)
	v_cmpx_ne_u32_e32 0x7f800000, v91
	s_xor_b32 s4, exec_lo, s4
; %bb.13:
	v_bfe_u32 v76, v90, 16, 1
	s_delay_alu instid0(VALU_DEP_1)
	v_add3_u32 v76, v90, v76, 0x7fff
                                        ; implicit-def: $vgpr90
; %bb.14:
	s_and_not1_saveexec_b32 s4, s4
; %bb.15:
	v_and_b32_e32 v76, 0xffff, v90
	v_or_b32_e32 v83, 0x10000, v90
	s_delay_alu instid0(VALU_DEP_2) | instskip(NEXT) | instid1(VALU_DEP_2)
	v_cmp_eq_u32_e32 vcc_lo, 0, v76
	v_cndmask_b32_e32 v76, v83, v90, vcc_lo
; %bb.16:
	s_or_b32 exec_lo, exec_lo, s4
	v_and_b32_e32 v83, 0x7f800000, v85
	s_delay_alu instid0(VALU_DEP_1) | instskip(SKIP_1) | instid1(SALU_CYCLE_1)
	v_cmp_ne_u32_e32 vcc_lo, 0x7f800000, v83
                                        ; implicit-def: $vgpr83
	s_and_saveexec_b32 s4, vcc_lo
	s_xor_b32 s4, exec_lo, s4
; %bb.17:
	v_bfe_u32 v83, v85, 16, 1
	s_delay_alu instid0(VALU_DEP_1)
	v_add3_u32 v83, v85, v83, 0x7fff
                                        ; implicit-def: $vgpr85
; %bb.18:
	s_and_not1_saveexec_b32 s4, s4
; %bb.19:
	v_and_b32_e32 v83, 0xffff, v85
	v_or_b32_e32 v90, 0x10000, v85
	s_delay_alu instid0(VALU_DEP_2) | instskip(NEXT) | instid1(VALU_DEP_2)
	v_cmp_eq_u32_e32 vcc_lo, 0, v83
	v_cndmask_b32_e32 v83, v90, v85, vcc_lo
; %bb.20:
	s_or_b32 exec_lo, exec_lo, s4
	v_and_b32_e32 v85, 0x7f800000, v86
	s_delay_alu instid0(VALU_DEP_1) | instskip(SKIP_1) | instid1(SALU_CYCLE_1)
	v_cmp_ne_u32_e32 vcc_lo, 0x7f800000, v85
                                        ; implicit-def: $vgpr85
	s_and_saveexec_b32 s4, vcc_lo
	s_xor_b32 s4, exec_lo, s4
; %bb.21:
	v_bfe_u32 v85, v86, 16, 1
	s_delay_alu instid0(VALU_DEP_1)
	v_add3_u32 v85, v86, v85, 0x7fff
                                        ; implicit-def: $vgpr86
; %bb.22:
	s_and_not1_saveexec_b32 s4, s4
; %bb.23:
	v_and_b32_e32 v85, 0xffff, v86
	v_or_b32_e32 v90, 0x10000, v86
	s_delay_alu instid0(VALU_DEP_2) | instskip(NEXT) | instid1(VALU_DEP_2)
	v_cmp_eq_u32_e32 vcc_lo, 0, v85
	v_cndmask_b32_e32 v85, v90, v86, vcc_lo
; %bb.24:
	s_or_b32 exec_lo, exec_lo, s4
	v_and_b32_e32 v86, 0x7f800000, v89
	s_delay_alu instid0(VALU_DEP_1) | instskip(SKIP_1) | instid1(SALU_CYCLE_1)
	v_cmp_ne_u32_e32 vcc_lo, 0x7f800000, v86
                                        ; implicit-def: $vgpr86
	s_and_saveexec_b32 s4, vcc_lo
	s_xor_b32 s4, exec_lo, s4
; %bb.25:
	v_bfe_u32 v86, v89, 16, 1
	s_delay_alu instid0(VALU_DEP_1)
	v_add3_u32 v86, v89, v86, 0x7fff
                                        ; implicit-def: $vgpr89
; %bb.26:
	s_and_not1_saveexec_b32 s4, s4
; %bb.27:
	v_and_b32_e32 v86, 0xffff, v89
	v_or_b32_e32 v90, 0x10000, v89
	s_delay_alu instid0(VALU_DEP_2) | instskip(NEXT) | instid1(VALU_DEP_2)
	v_cmp_eq_u32_e32 vcc_lo, 0, v86
	v_cndmask_b32_e32 v86, v90, v89, vcc_lo
; %bb.28:
	s_or_b32 exec_lo, exec_lo, s4
	v_and_b32_e32 v89, 0x7f800000, v88
	s_delay_alu instid0(VALU_DEP_1) | instskip(SKIP_1) | instid1(SALU_CYCLE_1)
	v_cmp_ne_u32_e32 vcc_lo, 0x7f800000, v89
                                        ; implicit-def: $vgpr89
	s_and_saveexec_b32 s4, vcc_lo
	s_xor_b32 s4, exec_lo, s4
; %bb.29:
	v_bfe_u32 v89, v88, 16, 1
	s_delay_alu instid0(VALU_DEP_1)
	v_add3_u32 v89, v88, v89, 0x7fff
                                        ; implicit-def: $vgpr88
; %bb.30:
	s_and_not1_saveexec_b32 s4, s4
; %bb.31:
	v_and_b32_e32 v89, 0xffff, v88
	v_or_b32_e32 v90, 0x10000, v88
	s_delay_alu instid0(VALU_DEP_2) | instskip(NEXT) | instid1(VALU_DEP_2)
	v_cmp_eq_u32_e32 vcc_lo, 0, v89
	v_cndmask_b32_e32 v89, v90, v88, vcc_lo
; %bb.32:
	s_or_b32 exec_lo, exec_lo, s4
	v_and_b32_e32 v88, 0x7f800000, v87
	s_delay_alu instid0(VALU_DEP_1) | instskip(SKIP_1) | instid1(SALU_CYCLE_1)
	v_cmp_ne_u32_e32 vcc_lo, 0x7f800000, v88
                                        ; implicit-def: $vgpr88
	s_and_saveexec_b32 s4, vcc_lo
	s_xor_b32 s4, exec_lo, s4
; %bb.33:
	v_bfe_u32 v88, v87, 16, 1
	s_delay_alu instid0(VALU_DEP_1)
	v_add3_u32 v88, v87, v88, 0x7fff
                                        ; implicit-def: $vgpr87
; %bb.34:
	s_and_not1_saveexec_b32 s4, s4
; %bb.35:
	v_and_b32_e32 v88, 0xffff, v87
	v_or_b32_e32 v90, 0x10000, v87
	s_delay_alu instid0(VALU_DEP_2) | instskip(NEXT) | instid1(VALU_DEP_2)
	v_cmp_eq_u32_e32 vcc_lo, 0, v88
	v_cndmask_b32_e32 v88, v90, v87, vcc_lo
; %bb.36:
	s_or_b32 exec_lo, exec_lo, s4
	v_and_b32_e32 v87, 0x7f800000, v84
	s_delay_alu instid0(VALU_DEP_1) | instskip(SKIP_1) | instid1(SALU_CYCLE_1)
	v_cmp_ne_u32_e32 vcc_lo, 0x7f800000, v87
                                        ; implicit-def: $vgpr87
	s_and_saveexec_b32 s4, vcc_lo
	s_xor_b32 s4, exec_lo, s4
; %bb.37:
	v_bfe_u32 v87, v84, 16, 1
	s_delay_alu instid0(VALU_DEP_1)
	v_add3_u32 v87, v84, v87, 0x7fff
                                        ; implicit-def: $vgpr84
; %bb.38:
	s_and_not1_saveexec_b32 s4, s4
; %bb.39:
	v_and_b32_e32 v87, 0xffff, v84
	v_or_b32_e32 v90, 0x10000, v84
	s_delay_alu instid0(VALU_DEP_2) | instskip(NEXT) | instid1(VALU_DEP_2)
	v_cmp_eq_u32_e32 vcc_lo, 0, v87
	v_cndmask_b32_e32 v87, v90, v84, vcc_lo
; %bb.40:
	s_or_b32 exec_lo, exec_lo, s4
	v_and_b32_e32 v84, 0x7f800000, v80
	s_delay_alu instid0(VALU_DEP_1) | instskip(SKIP_1) | instid1(SALU_CYCLE_1)
	v_cmp_ne_u32_e32 vcc_lo, 0x7f800000, v84
                                        ; implicit-def: $vgpr84
	s_and_saveexec_b32 s4, vcc_lo
	s_xor_b32 s4, exec_lo, s4
; %bb.41:
	v_bfe_u32 v84, v80, 16, 1
	s_delay_alu instid0(VALU_DEP_1)
	v_add3_u32 v84, v80, v84, 0x7fff
                                        ; implicit-def: $vgpr80
; %bb.42:
	s_and_not1_saveexec_b32 s4, s4
; %bb.43:
	v_and_b32_e32 v84, 0xffff, v80
	v_or_b32_e32 v90, 0x10000, v80
	s_delay_alu instid0(VALU_DEP_2) | instskip(NEXT) | instid1(VALU_DEP_2)
	v_cmp_eq_u32_e32 vcc_lo, 0, v84
	v_cndmask_b32_e32 v84, v90, v80, vcc_lo
; %bb.44:
	s_or_b32 exec_lo, exec_lo, s4
	s_load_b64 s[36:37], s[0:1], 0x94
	v_lshlrev_b32_e32 v91, 4, v74
	s_delay_alu instid0(VALU_DEP_2)
	v_perm_b32 v90, v84, v87, 0x7060302
	v_dual_mul_f32 v79, v82, v79 :: v_dual_lshlrev_b32 v80, 6, v65
	v_dual_mul_f32 v77, v82, v77 :: v_dual_lshlrev_b32 v92, 11, v66
	v_mul_f32_e32 v84, v82, v70
	v_perm_b32 v89, v88, v89, 0x7060302
	v_perm_b32 v88, v86, v85, 0x7060302
	;; [unrolled: 1-line block ×3, first 2 shown]
	v_mul_f32_e32 v70, v82, v81
	v_or3_b32 v76, v91, v92, v80
	v_dual_mul_f32 v78, v82, v78 :: v_dual_and_b32 v85, 0x7f800000, v84
	v_mul_f32_e32 v83, v82, v72
	v_mul_f32_e32 v81, v82, v71
	;; [unrolled: 1-line block ×3, first 2 shown]
	s_mov_b32 s4, exec_lo
	ds_store_b128 v76, v[87:90]
                                        ; implicit-def: $vgpr69
	v_cmpx_ne_u32_e32 0x7f800000, v85
	s_xor_b32 s4, exec_lo, s4
; %bb.45:
	v_bfe_u32 v69, v84, 16, 1
	s_delay_alu instid0(VALU_DEP_1)
	v_add3_u32 v69, v84, v69, 0x7fff
                                        ; implicit-def: $vgpr84
; %bb.46:
	s_and_not1_saveexec_b32 s4, s4
; %bb.47:
	v_and_b32_e32 v69, 0xffff, v84
	v_or_b32_e32 v71, 0x10000, v84
	s_delay_alu instid0(VALU_DEP_2) | instskip(NEXT) | instid1(VALU_DEP_2)
	v_cmp_eq_u32_e32 vcc_lo, 0, v69
	v_cndmask_b32_e32 v69, v71, v84, vcc_lo
; %bb.48:
	s_or_b32 exec_lo, exec_lo, s4
	v_and_b32_e32 v71, 0x7f800000, v72
	s_delay_alu instid0(VALU_DEP_1) | instskip(SKIP_1) | instid1(SALU_CYCLE_1)
	v_cmp_ne_u32_e32 vcc_lo, 0x7f800000, v71
                                        ; implicit-def: $vgpr71
	s_and_saveexec_b32 s4, vcc_lo
	s_xor_b32 s4, exec_lo, s4
; %bb.49:
	v_bfe_u32 v71, v72, 16, 1
	s_delay_alu instid0(VALU_DEP_1)
	v_add3_u32 v71, v72, v71, 0x7fff
                                        ; implicit-def: $vgpr72
; %bb.50:
	s_and_not1_saveexec_b32 s4, s4
; %bb.51:
	v_and_b32_e32 v71, 0xffff, v72
	v_or_b32_e32 v82, 0x10000, v72
	s_delay_alu instid0(VALU_DEP_2) | instskip(NEXT) | instid1(VALU_DEP_2)
	v_cmp_eq_u32_e32 vcc_lo, 0, v71
	v_cndmask_b32_e32 v71, v82, v72, vcc_lo
; %bb.52:
	s_or_b32 exec_lo, exec_lo, s4
	v_and_b32_e32 v72, 0x7f800000, v81
	s_delay_alu instid0(VALU_DEP_1) | instskip(SKIP_1) | instid1(SALU_CYCLE_1)
	v_cmp_ne_u32_e32 vcc_lo, 0x7f800000, v72
                                        ; implicit-def: $vgpr72
	s_and_saveexec_b32 s4, vcc_lo
	s_xor_b32 s4, exec_lo, s4
; %bb.53:
	v_bfe_u32 v72, v81, 16, 1
	s_delay_alu instid0(VALU_DEP_1)
	v_add3_u32 v72, v81, v72, 0x7fff
                                        ; implicit-def: $vgpr81
; %bb.54:
	s_and_not1_saveexec_b32 s4, s4
; %bb.55:
	v_and_b32_e32 v72, 0xffff, v81
	v_or_b32_e32 v82, 0x10000, v81
	s_delay_alu instid0(VALU_DEP_2) | instskip(NEXT) | instid1(VALU_DEP_2)
	v_cmp_eq_u32_e32 vcc_lo, 0, v72
	v_cndmask_b32_e32 v72, v82, v81, vcc_lo
; %bb.56:
	s_or_b32 exec_lo, exec_lo, s4
	v_and_b32_e32 v81, 0x7f800000, v83
	s_delay_alu instid0(VALU_DEP_1) | instskip(SKIP_1) | instid1(SALU_CYCLE_1)
	v_cmp_ne_u32_e32 vcc_lo, 0x7f800000, v81
                                        ; implicit-def: $vgpr81
	s_and_saveexec_b32 s4, vcc_lo
	s_xor_b32 s4, exec_lo, s4
; %bb.57:
	v_bfe_u32 v81, v83, 16, 1
	s_delay_alu instid0(VALU_DEP_1)
	v_add3_u32 v81, v83, v81, 0x7fff
                                        ; implicit-def: $vgpr83
; %bb.58:
	s_and_not1_saveexec_b32 s4, s4
; %bb.59:
	v_and_b32_e32 v81, 0xffff, v83
	v_or_b32_e32 v82, 0x10000, v83
	s_delay_alu instid0(VALU_DEP_2) | instskip(NEXT) | instid1(VALU_DEP_2)
	v_cmp_eq_u32_e32 vcc_lo, 0, v81
	v_cndmask_b32_e32 v81, v82, v83, vcc_lo
; %bb.60:
	s_or_b32 exec_lo, exec_lo, s4
	v_and_b32_e32 v82, 0x7f800000, v77
	s_delay_alu instid0(VALU_DEP_1) | instskip(SKIP_1) | instid1(SALU_CYCLE_1)
	v_cmp_ne_u32_e32 vcc_lo, 0x7f800000, v82
                                        ; implicit-def: $vgpr82
	s_and_saveexec_b32 s4, vcc_lo
	s_xor_b32 s4, exec_lo, s4
; %bb.61:
	v_bfe_u32 v82, v77, 16, 1
	s_delay_alu instid0(VALU_DEP_1)
	v_add3_u32 v82, v77, v82, 0x7fff
                                        ; implicit-def: $vgpr77
; %bb.62:
	s_and_not1_saveexec_b32 s4, s4
; %bb.63:
	v_and_b32_e32 v82, 0xffff, v77
	v_or_b32_e32 v83, 0x10000, v77
	s_delay_alu instid0(VALU_DEP_2) | instskip(NEXT) | instid1(VALU_DEP_2)
	v_cmp_eq_u32_e32 vcc_lo, 0, v82
	v_cndmask_b32_e32 v82, v83, v77, vcc_lo
; %bb.64:
	s_or_b32 exec_lo, exec_lo, s4
	v_and_b32_e32 v77, 0x7f800000, v78
	s_delay_alu instid0(VALU_DEP_1) | instskip(SKIP_1) | instid1(SALU_CYCLE_1)
	v_cmp_ne_u32_e32 vcc_lo, 0x7f800000, v77
                                        ; implicit-def: $vgpr77
	s_and_saveexec_b32 s4, vcc_lo
	s_xor_b32 s4, exec_lo, s4
; %bb.65:
	v_bfe_u32 v77, v78, 16, 1
	s_delay_alu instid0(VALU_DEP_1)
	v_add3_u32 v77, v78, v77, 0x7fff
                                        ; implicit-def: $vgpr78
; %bb.66:
	s_and_not1_saveexec_b32 s4, s4
; %bb.67:
	v_and_b32_e32 v77, 0xffff, v78
	v_or_b32_e32 v83, 0x10000, v78
	s_delay_alu instid0(VALU_DEP_2) | instskip(NEXT) | instid1(VALU_DEP_2)
	v_cmp_eq_u32_e32 vcc_lo, 0, v77
	v_cndmask_b32_e32 v77, v83, v78, vcc_lo
; %bb.68:
	s_or_b32 exec_lo, exec_lo, s4
	v_and_b32_e32 v78, 0x7f800000, v79
	s_delay_alu instid0(VALU_DEP_1) | instskip(SKIP_1) | instid1(SALU_CYCLE_1)
	v_cmp_ne_u32_e32 vcc_lo, 0x7f800000, v78
                                        ; implicit-def: $vgpr78
	s_and_saveexec_b32 s4, vcc_lo
	s_xor_b32 s4, exec_lo, s4
; %bb.69:
	v_bfe_u32 v78, v79, 16, 1
	s_delay_alu instid0(VALU_DEP_1)
	v_add3_u32 v78, v79, v78, 0x7fff
                                        ; implicit-def: $vgpr79
; %bb.70:
	s_and_not1_saveexec_b32 s4, s4
; %bb.71:
	v_and_b32_e32 v78, 0xffff, v79
	v_or_b32_e32 v83, 0x10000, v79
	s_delay_alu instid0(VALU_DEP_2) | instskip(NEXT) | instid1(VALU_DEP_2)
	v_cmp_eq_u32_e32 vcc_lo, 0, v78
	v_cndmask_b32_e32 v78, v83, v79, vcc_lo
; %bb.72:
	s_or_b32 exec_lo, exec_lo, s4
	v_and_b32_e32 v79, 0x7f800000, v70
	s_delay_alu instid0(VALU_DEP_1) | instskip(SKIP_1) | instid1(SALU_CYCLE_1)
	v_cmp_ne_u32_e32 vcc_lo, 0x7f800000, v79
                                        ; implicit-def: $vgpr79
	s_and_saveexec_b32 s4, vcc_lo
	s_xor_b32 s4, exec_lo, s4
; %bb.73:
	v_bfe_u32 v79, v70, 16, 1
	s_delay_alu instid0(VALU_DEP_1)
	v_add3_u32 v79, v70, v79, 0x7fff
                                        ; implicit-def: $vgpr70
; %bb.74:
	s_and_not1_saveexec_b32 s4, s4
; %bb.75:
	v_and_b32_e32 v79, 0xffff, v70
	v_or_b32_e32 v83, 0x10000, v70
	s_delay_alu instid0(VALU_DEP_2) | instskip(NEXT) | instid1(VALU_DEP_2)
	v_cmp_eq_u32_e32 vcc_lo, 0, v79
	v_cndmask_b32_e32 v79, v83, v70, vcc_lo
; %bb.76:
	s_or_b32 exec_lo, exec_lo, s4
	s_delay_alu instid0(VALU_DEP_1)
	v_perm_b32 v86, v79, v78, 0x7060302
	v_perm_b32 v85, v77, v82, 0x7060302
	;; [unrolled: 1-line block ×4, first 2 shown]
	v_lshl_or_b32 v82, v66, 11, v80
	ds_store_b128 v76, v[83:86] offset:1024
	s_waitcnt lgkmcnt(0)
	s_barrier
	buffer_gl0_inv
	ds_load_b128 v[69:72], v82
	ds_load_b128 v[83:86], v82 offset:16
	s_waitcnt lgkmcnt(1)
	v_lshrrev_b32_e32 v66, 16, v69
	s_waitcnt lgkmcnt(0)
	v_lshrrev_b32_e32 v91, 16, v83
	v_lshlrev_b32_e32 v78, 2, v74
	v_lshrrev_b32_e32 v95, 16, v70
	v_lshrrev_b32_e32 v98, 16, v84
	;; [unrolled: 1-line block ×4, first 2 shown]
	v_cmp_eq_u32_e32 vcc_lo, 1, v78
	v_lshrrev_b32_e32 v97, 16, v72
	v_lshrrev_b32_e32 v100, 16, v86
	v_cndmask_b32_e32 v87, v83, v91, vcc_lo
	v_or_b32_e32 v79, 1, v78
	v_cndmask_b32_e32 v81, v69, v66, vcc_lo
	v_cmp_eq_u32_e64 s5, 2, v78
	v_cmp_eq_u32_e64 s8, 3, v78
	;; [unrolled: 1-line block ×5, first 2 shown]
	v_cndmask_b32_e64 v81, v81, v70, s5
	v_cndmask_b32_e64 v87, v87, v84, s5
	v_cmp_eq_u32_e64 s9, 3, v79
	v_cndmask_b32_e64 v88, v69, v66, s4
	v_or_b32_e32 v77, 2, v78
	v_cndmask_b32_e64 v81, v81, v95, s8
	v_cndmask_b32_e64 v87, v87, v98, s8
	;; [unrolled: 1-line block ×4, first 2 shown]
	v_cmp_eq_u32_e64 s11, 5, v78
	v_cndmask_b32_e64 v81, v81, v71, s10
	v_cndmask_b32_e64 v87, v87, v85, s10
	v_cmp_eq_u32_e64 s12, 4, v79
	v_cndmask_b32_e64 v88, v88, v95, s9
	v_cmp_eq_u32_e64 s6, 1, v77
	v_cndmask_b32_e64 v89, v89, v84, s7
	v_cndmask_b32_e64 v81, v81, v96, s11
	v_cmp_eq_u32_e64 s13, 6, v78
	v_cndmask_b32_e64 v88, v88, v71, s12
	v_cndmask_b32_e64 v87, v87, v99, s11
	v_cmp_eq_u32_e64 s15, 5, v79
	v_cndmask_b32_e64 v90, v69, v66, s6
	v_cndmask_b32_e64 v89, v89, v98, s9
	v_cndmask_b32_e64 v81, v81, v72, s13
	v_cmp_eq_u32_e64 s16, 7, v78
	v_cndmask_b32_e64 v88, v88, v96, s15
	v_cndmask_b32_e64 v87, v87, v86, s13
	v_cmp_eq_u32_e64 s17, 6, v79
	v_cmp_eq_u32_e64 s18, 2, v77
	v_cndmask_b32_e64 v89, v89, v85, s12
	v_cndmask_b32_e64 v101, v81, v97, s16
	;; [unrolled: 1-line block ×6, first 2 shown]
	v_cmp_eq_u32_e64 s19, 7, v79
	v_cmp_eq_u32_e64 s20, 3, v77
	;; [unrolled: 1-line block ×4, first 2 shown]
	v_cndmask_b32_e64 v87, v87, v84, s18
	v_cndmask_b32_e64 v103, v88, v97, s19
	;; [unrolled: 1-line block ×4, first 2 shown]
	v_or_b32_e32 v81, 3, v78
	v_cndmask_b32_e64 v93, v87, v98, s20
	v_cmp_eq_u32_e64 s25, 6, v77
	v_cndmask_b32_e64 v104, v88, v86, s17
	v_cndmask_b32_e64 v92, v89, v71, s21
	v_cmp_eq_u32_e64 s22, 1, v81
	ds_load_b128 v[87:90], v82 offset:1024
	v_cmp_eq_u32_e64 s24, 2, v81
	v_cmp_eq_u32_e64 s26, 3, v81
	v_cndmask_b32_e64 v105, v92, v96, s23
	v_cndmask_b32_e64 v66, v69, v66, s22
	;; [unrolled: 1-line block ×4, first 2 shown]
	ds_load_b128 v[91:94], v82 offset:1040
	v_cmp_eq_u32_e64 s27, 4, v81
	v_cndmask_b32_e64 v66, v66, v70, s24
	v_cmp_eq_u32_e64 s28, 7, v77
	v_cndmask_b32_e64 v70, v83, v84, s24
	v_cndmask_b32_e64 v84, v105, v72, s25
	v_cmp_eq_u32_e64 s29, 5, v81
	v_cndmask_b32_e64 v66, v66, v95, s26
	v_cmp_eq_u32_e64 s30, 6, v81
	v_cndmask_b32_e64 v70, v70, v98, s26
	v_cndmask_b32_e64 v69, v69, v99, s23
	;; [unrolled: 1-line block ×4, first 2 shown]
	s_waitcnt lgkmcnt(1)
	v_lshrrev_b32_e32 v95, 16, v87
	v_cndmask_b32_e64 v70, v70, v85, s27
	v_cndmask_b32_e64 v71, v84, v97, s28
	;; [unrolled: 1-line block ×4, first 2 shown]
	v_cndmask_b32_e32 v84, v87, v95, vcc_lo
	v_cndmask_b32_e64 v70, v70, v99, s29
	s_waitcnt lgkmcnt(0)
	v_lshrrev_b32_e32 v85, 16, v91
	v_lshrrev_b32_e32 v96, 16, v88
	v_cndmask_b32_e64 v98, v87, v95, s4
	v_cndmask_b32_e64 v84, v84, v88, s5
	;; [unrolled: 1-line block ×3, first 2 shown]
	v_cndmask_b32_e32 v99, v91, v85, vcc_lo
	v_cmp_eq_u32_e32 vcc_lo, 7, v81
	v_cndmask_b32_e64 v66, v66, v72, s30
	v_cndmask_b32_e64 v72, v84, v96, s8
	;; [unrolled: 1-line block ×3, first 2 shown]
	v_lshrrev_b32_e32 v98, 16, v92
	v_cndmask_b32_e32 v70, v70, v100, vcc_lo
	v_cndmask_b32_e64 v86, v99, v92, s5
	v_cndmask_b32_e64 v69, v69, v100, s28
	v_lshrrev_b32_e32 v100, 16, v93
	v_cndmask_b32_e64 v72, v72, v89, s10
	v_lshrrev_b32_e32 v99, 16, v89
	v_cndmask_b32_e64 v86, v86, v98, s8
	v_perm_b32 v71, v69, v71, 0x5040100
	v_cndmask_b32_e64 v84, v84, v96, s9
	s_delay_alu instid0(VALU_DEP_3) | instskip(NEXT) | instid1(VALU_DEP_2)
	v_cndmask_b32_e64 v86, v86, v93, s10
	v_cndmask_b32_e64 v84, v84, v89, s12
	s_delay_alu instid0(VALU_DEP_2) | instskip(NEXT) | instid1(VALU_DEP_1)
	v_cndmask_b32_e64 v86, v86, v100, s11
	v_cndmask_b32_e64 v69, v86, v94, s13
	;; [unrolled: 1-line block ×5, first 2 shown]
	s_delay_alu instid0(VALU_DEP_3) | instskip(NEXT) | instid1(VALU_DEP_3)
	v_cndmask_b32_e64 v86, v86, v88, s18
	v_cndmask_b32_e64 v87, v87, v88, s24
	s_delay_alu instid0(VALU_DEP_3) | instskip(NEXT) | instid1(VALU_DEP_3)
	v_cndmask_b32_e64 v88, v95, v92, s24
	v_cndmask_b32_e64 v86, v86, v96, s20
	s_delay_alu instid0(VALU_DEP_3) | instskip(NEXT) | instid1(VALU_DEP_3)
	v_cndmask_b32_e64 v87, v87, v96, s26
	v_cndmask_b32_e64 v88, v88, v98, s26
	s_delay_alu instid0(VALU_DEP_3) | instskip(NEXT) | instid1(VALU_DEP_3)
	v_cndmask_b32_e64 v86, v86, v89, s21
	v_cndmask_b32_e64 v87, v87, v89, s27
	s_delay_alu instid0(VALU_DEP_3) | instskip(NEXT) | instid1(VALU_DEP_3)
	v_cndmask_b32_e64 v88, v88, v93, s27
	v_cndmask_b32_e64 v86, v86, v99, s23
	s_delay_alu instid0(VALU_DEP_3) | instskip(NEXT) | instid1(VALU_DEP_3)
	v_cndmask_b32_e64 v87, v87, v99, s29
	v_cndmask_b32_e64 v88, v88, v100, s29
	s_delay_alu instid0(VALU_DEP_3) | instskip(NEXT) | instid1(VALU_DEP_3)
	v_cndmask_b32_e64 v86, v86, v90, s25
	v_cndmask_b32_e64 v87, v87, v90, s30
	s_delay_alu instid0(VALU_DEP_3) | instskip(SKIP_2) | instid1(VALU_DEP_2)
	v_cndmask_b32_e64 v88, v88, v94, s30
	v_cndmask_b32_e32 v66, v66, v97, vcc_lo
	v_cndmask_b32_e64 v97, v72, v99, s11
	v_perm_b32 v72, v70, v66, 0x5040100
	v_perm_b32 v70, v83, v103, 0x5040100
	v_cndmask_b32_e64 v103, v91, v85, s6
	v_cndmask_b32_e64 v85, v91, v85, s4
	;; [unrolled: 1-line block ×4, first 2 shown]
	v_lshrrev_b32_e32 v97, 16, v90
	v_cndmask_b32_e64 v91, v103, v92, s18
	v_cndmask_b32_e64 v85, v85, v92, s7
	;; [unrolled: 1-line block ×3, first 2 shown]
	s_mov_b32 s4, exec_lo
	v_cndmask_b32_e64 v83, v84, v97, s16
	v_cndmask_b32_e64 v91, v91, v98, s20
	;; [unrolled: 1-line block ×3, first 2 shown]
	v_lshrrev_b32_e32 v84, 16, v94
	v_cndmask_b32_e64 v66, v66, v97, s19
	v_cndmask_b32_e64 v90, v86, v97, s28
	;; [unrolled: 1-line block ×4, first 2 shown]
	v_dual_cndmask_b32 v86, v87, v97 :: v_dual_cndmask_b32 v87, v88, v84
	v_cndmask_b32_e64 v91, v69, v84, s16
	s_delay_alu instid0(VALU_DEP_4) | instskip(NEXT) | instid1(VALU_DEP_4)
	v_cndmask_b32_e64 v89, v89, v100, s23
	v_cndmask_b32_e64 v85, v85, v100, s15
	v_perm_b32 v69, v102, v101, 0x5040100
	v_perm_b32 v86, v87, v86, 0x5040100
	;; [unrolled: 1-line block ×3, first 2 shown]
	v_cndmask_b32_e64 v89, v89, v94, s25
	v_cndmask_b32_e64 v85, v85, v94, s17
	s_mul_i32 s9, s37, 7
	s_delay_alu instid0(VALU_DEP_2) | instskip(NEXT) | instid1(VALU_DEP_2)
	v_cndmask_b32_e64 v88, v89, v84, s28
	v_cndmask_b32_e64 v89, v85, v84, s19
	s_delay_alu instid0(VALU_DEP_2) | instskip(NEXT) | instid1(VALU_DEP_2)
	v_perm_b32 v85, v88, v90, 0x5040100
	v_perm_b32 v84, v89, v66, 0x5040100
	ds_store_b128 v76, v[69:72]
	ds_store_b128 v76, v[83:86] offset:1024
	v_cmpx_gt_u32_e32 7, v0
	s_cbranch_execz .LBB1780_78
; %bb.77:
	s_mul_i32 s5, s9, s34
	s_load_b128 s[16:19], s[0:1], 0x58
	v_add3_u32 v69, s5, s31, v65
	s_delay_alu instid0(VALU_DEP_1) | instskip(NEXT) | instid1(VALU_DEP_1)
	v_mad_u64_u32 v[65:66], null, v69, s36, s[14:15]
	v_ashrrev_i32_e32 v66, 31, v65
	s_delay_alu instid0(VALU_DEP_1) | instskip(SKIP_1) | instid1(VALU_DEP_1)
	v_lshlrev_b64 v[65:66], 2, v[65:66]
	s_waitcnt lgkmcnt(0)
	v_add_co_u32 v69, vcc_lo, s18, v65
	s_delay_alu instid0(VALU_DEP_2)
	v_add_co_ci_u32_e32 v70, vcc_lo, s19, v66, vcc_lo
	v_add_co_u32 v65, vcc_lo, s16, v65
	v_add_co_ci_u32_e32 v66, vcc_lo, s17, v66, vcc_lo
	global_store_b32 v[69:70], v67, off
	global_store_b32 v[65:66], v68, off
.LBB1780_78:
	s_or_b32 exec_lo, exec_lo, s4
	s_waitcnt lgkmcnt(0)
	s_waitcnt_vscnt null, 0x0
	s_barrier
	buffer_gl0_inv
	ds_load_b128 v[83:86], v80
	ds_load_b128 v[87:90], v80 offset:16
	ds_load_b128 v[95:98], v80 offset:2064
	;; [unrolled: 1-line block ×3, first 2 shown]
	v_mov_b32_e32 v65, 0
	ds_load_b128 v[103:106], v80 offset:4112
	ds_load_b128 v[99:102], v80 offset:4096
	;; [unrolled: 1-line block ×4, first 2 shown]
	v_mov_b32_e32 v66, v65
	v_mov_b32_e32 v67, v65
	;; [unrolled: 1-line block ×7, first 2 shown]
	s_waitcnt lgkmcnt(6)
	s_delay_alu instid0(VALU_DEP_1)
	v_wmma_f32_16x16x16_bf16 v[65:72], v[57:64], v[83:90], v[65:72]
	ds_load_b128 v[61:64], v80 offset:8208
	ds_load_b128 v[57:60], v80 offset:8192
	s_waitcnt lgkmcnt(6)
	v_wmma_f32_16x16x16_bf16 v[65:72], v[41:48], v[91:98], v[65:72]
	ds_load_b128 v[45:48], v80 offset:10256
	ds_load_b128 v[41:44], v80 offset:10240
	s_waitcnt lgkmcnt(6)
	;; [unrolled: 4-line block ×4, first 2 shown]
	v_wmma_f32_16x16x16_bf16 v[65:72], v[1:8], v[57:64], v[65:72]
	s_waitcnt lgkmcnt(4)
	s_delay_alu instid0(VALU_DEP_1) | instskip(SKIP_1) | instid1(VALU_DEP_1)
	v_wmma_f32_16x16x16_bf16 v[65:72], v[9:16], v[41:48], v[65:72]
	s_waitcnt lgkmcnt(2)
	v_wmma_f32_16x16x16_bf16 v[65:72], v[17:24], v[33:40], v[65:72]
	s_waitcnt lgkmcnt(0)
	s_delay_alu instid0(VALU_DEP_1) | instskip(NEXT) | instid1(VALU_DEP_1)
	v_wmma_f32_16x16x16_bf16 v[65:72], v[49:56], v[25:32], v[65:72]
	v_and_b32_e32 v1, 0x7f800000, v65
	s_delay_alu instid0(VALU_DEP_1) | instskip(SKIP_1) | instid1(SALU_CYCLE_1)
	v_cmp_ne_u32_e32 vcc_lo, 0x7f800000, v1
                                        ; implicit-def: $vgpr1
	s_and_saveexec_b32 s4, vcc_lo
	s_xor_b32 s4, exec_lo, s4
; %bb.79:
	v_bfe_u32 v1, v65, 16, 1
	s_delay_alu instid0(VALU_DEP_1)
	v_add3_u32 v1, v65, v1, 0x7fff
; %bb.80:
	s_and_not1_saveexec_b32 s4, s4
; %bb.81:
	v_and_b32_e32 v1, 0xffff, v65
	v_or_b32_e32 v2, 0x10000, v65
	s_delay_alu instid0(VALU_DEP_2) | instskip(NEXT) | instid1(VALU_DEP_2)
	v_cmp_eq_u32_e32 vcc_lo, 0, v1
	v_cndmask_b32_e32 v1, v2, v65, vcc_lo
; %bb.82:
	s_or_b32 exec_lo, exec_lo, s4
	v_and_b32_e32 v2, 0x7f800000, v66
	s_delay_alu instid0(VALU_DEP_1) | instskip(SKIP_1) | instid1(SALU_CYCLE_1)
	v_cmp_ne_u32_e32 vcc_lo, 0x7f800000, v2
                                        ; implicit-def: $vgpr2
	s_and_saveexec_b32 s4, vcc_lo
	s_xor_b32 s4, exec_lo, s4
; %bb.83:
	v_bfe_u32 v2, v66, 16, 1
	s_delay_alu instid0(VALU_DEP_1)
	v_add3_u32 v2, v66, v2, 0x7fff
; %bb.84:
	s_and_not1_saveexec_b32 s4, s4
; %bb.85:
	v_and_b32_e32 v2, 0xffff, v66
	v_or_b32_e32 v3, 0x10000, v66
	s_delay_alu instid0(VALU_DEP_2) | instskip(NEXT) | instid1(VALU_DEP_2)
	v_cmp_eq_u32_e32 vcc_lo, 0, v2
	v_cndmask_b32_e32 v2, v3, v66, vcc_lo
; %bb.86:
	s_or_b32 exec_lo, exec_lo, s4
	v_and_b32_e32 v3, 0x7f800000, v67
	s_delay_alu instid0(VALU_DEP_1) | instskip(SKIP_1) | instid1(SALU_CYCLE_1)
	v_cmp_ne_u32_e32 vcc_lo, 0x7f800000, v3
                                        ; implicit-def: $vgpr3
	s_and_saveexec_b32 s4, vcc_lo
	s_xor_b32 s4, exec_lo, s4
; %bb.87:
	v_bfe_u32 v3, v67, 16, 1
	s_delay_alu instid0(VALU_DEP_1)
	v_add3_u32 v3, v67, v3, 0x7fff
; %bb.88:
	s_and_not1_saveexec_b32 s4, s4
; %bb.89:
	v_and_b32_e32 v3, 0xffff, v67
	v_or_b32_e32 v4, 0x10000, v67
	s_delay_alu instid0(VALU_DEP_2) | instskip(NEXT) | instid1(VALU_DEP_2)
	v_cmp_eq_u32_e32 vcc_lo, 0, v3
	v_cndmask_b32_e32 v3, v4, v67, vcc_lo
; %bb.90:
	s_or_b32 exec_lo, exec_lo, s4
	v_and_b32_e32 v4, 0x7f800000, v68
	s_delay_alu instid0(VALU_DEP_1) | instskip(SKIP_1) | instid1(SALU_CYCLE_1)
	v_cmp_ne_u32_e32 vcc_lo, 0x7f800000, v4
                                        ; implicit-def: $vgpr4
	s_and_saveexec_b32 s4, vcc_lo
	s_xor_b32 s4, exec_lo, s4
; %bb.91:
	v_bfe_u32 v4, v68, 16, 1
	s_delay_alu instid0(VALU_DEP_1)
	v_add3_u32 v4, v68, v4, 0x7fff
; %bb.92:
	s_and_not1_saveexec_b32 s4, s4
; %bb.93:
	v_and_b32_e32 v4, 0xffff, v68
	v_or_b32_e32 v5, 0x10000, v68
	s_delay_alu instid0(VALU_DEP_2) | instskip(NEXT) | instid1(VALU_DEP_2)
	v_cmp_eq_u32_e32 vcc_lo, 0, v4
	v_cndmask_b32_e32 v4, v5, v68, vcc_lo
; %bb.94:
	s_or_b32 exec_lo, exec_lo, s4
	v_and_b32_e32 v5, 0x7f800000, v69
	s_delay_alu instid0(VALU_DEP_1) | instskip(SKIP_1) | instid1(SALU_CYCLE_1)
	v_cmp_ne_u32_e32 vcc_lo, 0x7f800000, v5
                                        ; implicit-def: $vgpr5
	s_and_saveexec_b32 s4, vcc_lo
	s_xor_b32 s4, exec_lo, s4
; %bb.95:
	v_bfe_u32 v5, v69, 16, 1
	s_delay_alu instid0(VALU_DEP_1)
	v_add3_u32 v5, v69, v5, 0x7fff
; %bb.96:
	s_and_not1_saveexec_b32 s4, s4
; %bb.97:
	v_and_b32_e32 v5, 0xffff, v69
	v_or_b32_e32 v6, 0x10000, v69
	s_delay_alu instid0(VALU_DEP_2) | instskip(NEXT) | instid1(VALU_DEP_2)
	v_cmp_eq_u32_e32 vcc_lo, 0, v5
	v_cndmask_b32_e32 v5, v6, v69, vcc_lo
; %bb.98:
	s_or_b32 exec_lo, exec_lo, s4
	v_and_b32_e32 v6, 0x7f800000, v70
	s_delay_alu instid0(VALU_DEP_1) | instskip(SKIP_1) | instid1(SALU_CYCLE_1)
	v_cmp_ne_u32_e32 vcc_lo, 0x7f800000, v6
                                        ; implicit-def: $vgpr6
	s_and_saveexec_b32 s4, vcc_lo
	s_xor_b32 s4, exec_lo, s4
; %bb.99:
	v_bfe_u32 v6, v70, 16, 1
	s_delay_alu instid0(VALU_DEP_1)
	v_add3_u32 v6, v70, v6, 0x7fff
; %bb.100:
	s_and_not1_saveexec_b32 s4, s4
; %bb.101:
	v_and_b32_e32 v6, 0xffff, v70
	v_or_b32_e32 v7, 0x10000, v70
	s_delay_alu instid0(VALU_DEP_2) | instskip(NEXT) | instid1(VALU_DEP_2)
	v_cmp_eq_u32_e32 vcc_lo, 0, v6
	v_cndmask_b32_e32 v6, v7, v70, vcc_lo
; %bb.102:
	s_or_b32 exec_lo, exec_lo, s4
	v_and_b32_e32 v7, 0x7f800000, v71
	s_delay_alu instid0(VALU_DEP_1) | instskip(SKIP_1) | instid1(SALU_CYCLE_1)
	v_cmp_ne_u32_e32 vcc_lo, 0x7f800000, v7
                                        ; implicit-def: $vgpr7
	s_and_saveexec_b32 s4, vcc_lo
	s_xor_b32 s4, exec_lo, s4
; %bb.103:
	v_bfe_u32 v7, v71, 16, 1
	s_delay_alu instid0(VALU_DEP_1)
	v_add3_u32 v7, v71, v7, 0x7fff
; %bb.104:
	s_and_not1_saveexec_b32 s4, s4
; %bb.105:
	v_and_b32_e32 v7, 0xffff, v71
	v_or_b32_e32 v8, 0x10000, v71
	s_delay_alu instid0(VALU_DEP_2) | instskip(NEXT) | instid1(VALU_DEP_2)
	v_cmp_eq_u32_e32 vcc_lo, 0, v7
	v_cndmask_b32_e32 v7, v8, v71, vcc_lo
; %bb.106:
	s_or_b32 exec_lo, exec_lo, s4
	v_and_b32_e32 v8, 0x7f800000, v72
	s_delay_alu instid0(VALU_DEP_1) | instskip(SKIP_1) | instid1(SALU_CYCLE_1)
	v_cmp_ne_u32_e32 vcc_lo, 0x7f800000, v8
                                        ; implicit-def: $vgpr8
	s_and_saveexec_b32 s4, vcc_lo
	s_xor_b32 s4, exec_lo, s4
; %bb.107:
	v_bfe_u32 v8, v72, 16, 1
	s_delay_alu instid0(VALU_DEP_1)
	v_add3_u32 v8, v72, v8, 0x7fff
                                        ; implicit-def: $vgpr65_vgpr66_vgpr67_vgpr68_vgpr69_vgpr70_vgpr71_vgpr72
; %bb.108:
	s_and_not1_saveexec_b32 s4, s4
; %bb.109:
	v_and_b32_e32 v8, 0xffff, v72
	v_or_b32_e32 v9, 0x10000, v72
	s_delay_alu instid0(VALU_DEP_2) | instskip(NEXT) | instid1(VALU_DEP_2)
	v_cmp_eq_u32_e32 vcc_lo, 0, v8
	v_cndmask_b32_e32 v8, v9, v72, vcc_lo
; %bb.110:
	s_or_b32 exec_lo, exec_lo, s4
	s_delay_alu instid0(VALU_DEP_1)
	v_perm_b32 v7, v8, v7, 0x7060302
	v_perm_b32 v6, v6, v5, 0x7060302
	;; [unrolled: 1-line block ×4, first 2 shown]
	s_barrier
	buffer_gl0_inv
	v_cmp_eq_u32_e32 vcc_lo, 1, v78
	ds_store_b128 v76, v[4:7]
	s_waitcnt lgkmcnt(0)
	s_barrier
	buffer_gl0_inv
	ds_load_b128 v[1:4], v82
	ds_load_b128 v[5:8], v82 offset:16
	v_cmp_eq_u32_e64 s4, 1, v79
	v_cmp_eq_u32_e64 s5, 2, v78
	;; [unrolled: 1-line block ×5, first 2 shown]
	s_waitcnt lgkmcnt(1)
	v_lshrrev_b32_e32 v9, 16, v1
	s_waitcnt lgkmcnt(0)
	v_lshrrev_b32_e32 v13, 16, v5
	v_lshrrev_b32_e32 v10, 16, v2
	;; [unrolled: 1-line block ×4, first 2 shown]
	v_cndmask_b32_e64 v19, v1, v9, s4
	v_cndmask_b32_e32 v18, v5, v13, vcc_lo
	v_cndmask_b32_e64 v20, v5, v13, s4
	v_cndmask_b32_e32 v17, v1, v9, vcc_lo
	v_cmp_eq_u32_e32 vcc_lo, 2, v79
	v_lshrrev_b32_e32 v15, 16, v7
	v_cmp_eq_u32_e64 s4, 1, v77
	v_lshrrev_b32_e32 v12, 16, v4
	v_lshrrev_b32_e32 v16, 16, v8
	v_cndmask_b32_e32 v20, v20, v6, vcc_lo
	v_cndmask_b32_e64 v17, v17, v2, s5
	v_cndmask_b32_e32 v19, v19, v2, vcc_lo
	v_cndmask_b32_e64 v18, v18, v6, s5
	v_cmp_eq_u32_e32 vcc_lo, 4, v78
	v_cmp_eq_u32_e64 s5, 3, v79
	v_cndmask_b32_e64 v17, v17, v10, s6
	v_cndmask_b32_e64 v21, v1, v9, s4
	;; [unrolled: 1-line block ×5, first 2 shown]
	v_cndmask_b32_e32 v17, v17, v3, vcc_lo
	v_cndmask_b32_e64 v20, v20, v14, s5
	v_cndmask_b32_e32 v18, v18, v7, vcc_lo
	v_cmp_eq_u32_e32 vcc_lo, 4, v79
	v_cmp_eq_u32_e64 s5, 5, v79
	v_cmp_eq_u32_e64 s4, 2, v81
	v_cndmask_b32_e64 v21, v21, v2, s8
	v_cmp_eq_u32_e64 s6, 5, v78
	v_cndmask_b32_e32 v19, v19, v3, vcc_lo
	v_cndmask_b32_e32 v20, v20, v7, vcc_lo
	v_cmp_eq_u32_e32 vcc_lo, 6, v79
	s_delay_alu instid0(VALU_DEP_4) | instskip(NEXT) | instid1(VALU_DEP_4)
	v_cndmask_b32_e64 v17, v17, v11, s6
	v_cndmask_b32_e64 v19, v19, v11, s5
	s_delay_alu instid0(VALU_DEP_4) | instskip(SKIP_1) | instid1(VALU_DEP_3)
	v_cndmask_b32_e64 v20, v20, v15, s5
	v_cmp_eq_u32_e64 s5, 1, v81
	v_cndmask_b32_e32 v19, v19, v4, vcc_lo
	v_cndmask_b32_e64 v18, v18, v15, s6
	s_delay_alu instid0(VALU_DEP_3)
	v_cndmask_b32_e64 v1, v1, v9, s5
	v_cndmask_b32_e64 v5, v5, v13, s5
	v_cmp_eq_u32_e64 s5, 3, v77
	v_cndmask_b32_e64 v13, v22, v6, s8
	v_cmp_eq_u32_e64 s8, 3, v81
	v_cndmask_b32_e64 v1, v1, v2, s4
	v_cndmask_b32_e64 v2, v5, v6, s4
	;; [unrolled: 1-line block ×3, first 2 shown]
	v_cmp_eq_u32_e64 s4, 4, v77
	v_cndmask_b32_e64 v6, v13, v14, s5
	v_cndmask_b32_e64 v1, v1, v10, s8
	v_cmp_eq_u32_e64 s5, 4, v81
	v_cndmask_b32_e64 v2, v2, v14, s8
	v_cndmask_b32_e64 v5, v9, v3, s4
	;; [unrolled: 3-line block ×3, first 2 shown]
	v_cndmask_b32_e64 v2, v2, v7, s5
	v_cmp_eq_u32_e64 s4, 5, v81
	v_cmp_eq_u32_e64 s6, 6, v78
	v_cndmask_b32_e64 v5, v5, v11, s8
	v_cmp_eq_u32_e64 s5, 6, v77
	v_cndmask_b32_e64 v3, v6, v15, s8
	v_cndmask_b32_e64 v1, v1, v11, s4
	v_cmp_eq_u32_e64 s8, 6, v81
	v_cndmask_b32_e64 v2, v2, v15, s4
	v_cndmask_b32_e64 v17, v17, v4, s6
	v_cndmask_b32_e64 v18, v18, v8, s6
	v_cmp_eq_u32_e64 s6, 7, v78
	v_cndmask_b32_e64 v5, v5, v4, s5
	;; [unrolled: 4-line block ×3, first 2 shown]
	v_cmp_eq_u32_e64 s5, 7, v77
	v_cndmask_b32_e32 v4, v20, v8, vcc_lo
	v_cndmask_b32_e64 v17, v17, v12, s6
	v_cndmask_b32_e64 v19, v19, v12, s7
	;; [unrolled: 1-line block ×8, first 2 shown]
	v_cmp_gt_u32_e32 vcc_lo, 32, v0
	v_perm_b32 v4, v2, v1, 0x5040100
	v_perm_b32 v3, v3, v5, 0x5040100
	;; [unrolled: 1-line block ×4, first 2 shown]
	s_and_b32 s2, vcc_lo, s2
	ds_store_b128 v76, v[1:4]
	s_waitcnt lgkmcnt(0)
	s_barrier
	buffer_gl0_inv
	s_and_saveexec_b32 s4, s2
	s_cbranch_execz .LBB1780_2
; %bb.111:
	s_load_b64 s[4:5], s[0:1], 0x68
	v_lshlrev_b32_e32 v0, 10, v0
	v_add_nc_u32_e32 v2, s31, v74
	v_lshlrev_b32_e32 v3, 4, v75
	s_lshl_b32 s0, s36, 6
	s_delay_alu instid0(SALU_CYCLE_1) | instskip(NEXT) | instid1(VALU_DEP_2)
	s_mul_i32 s1, s0, s34
	v_mul_lo_u32 v1, v2, s0
	s_delay_alu instid0(VALU_DEP_2)
	v_and_or_b32 v0, 0x3800, v0, v3
	v_add_nc_u32_e32 v3, 2, v2
	s_mul_i32 s6, s1, s9
	v_add_nc_u32_e32 v4, 4, v2
	s_ashr_i32 s7, s6, 31
	v_lshl_or_b32 v11, v74, 6, v0
	s_lshl_b64 s[6:7], s[6:7], 1
	v_mul_lo_u32 v15, v3, s0
	v_mul_lo_u32 v17, v4, s0
	v_ashrrev_i32_e32 v2, 31, v1
	ds_load_b128 v[3:6], v11
	ds_load_b128 v[7:10], v11 offset:128
	ds_load_b128 v[11:14], v11 offset:256
	s_waitcnt lgkmcnt(0)
	s_add_u32 s1, s4, s6
	s_addc_u32 s2, s5, s7
	s_lshl_b32 s4, s14, 6
	v_ashrrev_i32_e32 v16, 31, v15
	s_ashr_i32 s5, s4, 31
	v_lshlrev_b64 v[19:20], 1, v[1:2]
	s_lshl_b64 s[4:5], s[4:5], 1
	v_ashrrev_i32_e32 v18, 31, v17
	s_add_u32 s1, s1, s4
	s_addc_u32 s2, s2, s5
	v_add_co_u32 v1, s1, s1, v73
	s_delay_alu instid0(VALU_DEP_1) | instskip(SKIP_1) | instid1(VALU_DEP_3)
	v_add_co_ci_u32_e64 v2, null, s2, 0, s1
	v_lshlrev_b64 v[15:16], 1, v[15:16]
	v_add_co_u32 v19, vcc_lo, v1, v19
	v_lshlrev_b64 v[17:18], 1, v[17:18]
	s_delay_alu instid0(VALU_DEP_4) | instskip(NEXT) | instid1(VALU_DEP_4)
	v_add_co_ci_u32_e32 v20, vcc_lo, v2, v20, vcc_lo
	v_add_co_u32 v15, vcc_lo, v1, v15
	v_add_co_ci_u32_e32 v16, vcc_lo, v2, v16, vcc_lo
	s_delay_alu instid0(VALU_DEP_4)
	v_add_co_u32 v17, vcc_lo, v1, v17
	v_add_co_ci_u32_e32 v18, vcc_lo, v2, v18, vcc_lo
	s_clause 0x2
	global_store_b128 v[19:20], v[3:6], off
	global_store_b128 v[15:16], v[7:10], off
	;; [unrolled: 1-line block ×3, first 2 shown]
	s_and_b32 exec_lo, exec_lo, s3
	s_cbranch_execz .LBB1780_2
; %bb.112:
	ds_load_b128 v[3:6], v0 offset:384
	s_add_i32 s1, s31, 6
	s_delay_alu instid0(SALU_CYCLE_1) | instskip(NEXT) | instid1(SALU_CYCLE_1)
	s_mul_i32 s0, s1, s0
	s_ashr_i32 s1, s0, 31
	s_delay_alu instid0(SALU_CYCLE_1) | instskip(NEXT) | instid1(SALU_CYCLE_1)
	s_lshl_b64 s[0:1], s[0:1], 1
	v_add_co_u32 v0, vcc_lo, v1, s0
	v_add_co_ci_u32_e32 v1, vcc_lo, s1, v2, vcc_lo
	s_waitcnt lgkmcnt(0)
	global_store_b128 v[0:1], v[3:6], off
	s_nop 0
	s_sendmsg sendmsg(MSG_DEALLOC_VGPRS)
	s_endpgm
	.section	.rodata,"a",@progbits
	.p2align	6, 0x0
	.amdhsa_kernel _Z39paged_attention_ll4mi_QKV_mfma16_kernelI14__hip_bfloat16hLN4vllm18Fp8KVCacheDataTypeE1ES0_Li32ELi64ELi256ELb0ELi7EL8MFMAType0EEvPKT_PKT0_S9_ifPKiSB_SB_iPKfiiiPfSE_PS4_PT2_iSD_SD_
		.amdhsa_group_segment_fixed_size 17472
		.amdhsa_private_segment_fixed_size 0
		.amdhsa_kernarg_size 400
		.amdhsa_user_sgpr_count 13
		.amdhsa_user_sgpr_dispatch_ptr 0
		.amdhsa_user_sgpr_queue_ptr 0
		.amdhsa_user_sgpr_kernarg_segment_ptr 1
		.amdhsa_user_sgpr_dispatch_id 0
		.amdhsa_user_sgpr_private_segment_size 0
		.amdhsa_wavefront_size32 1
		.amdhsa_uses_dynamic_stack 0
		.amdhsa_enable_private_segment 0
		.amdhsa_system_sgpr_workgroup_id_x 1
		.amdhsa_system_sgpr_workgroup_id_y 1
		.amdhsa_system_sgpr_workgroup_id_z 1
		.amdhsa_system_sgpr_workgroup_info 0
		.amdhsa_system_vgpr_workitem_id 0
		.amdhsa_next_free_vgpr 124
		.amdhsa_next_free_sgpr 42
		.amdhsa_reserve_vcc 1
		.amdhsa_float_round_mode_32 0
		.amdhsa_float_round_mode_16_64 0
		.amdhsa_float_denorm_mode_32 3
		.amdhsa_float_denorm_mode_16_64 3
		.amdhsa_dx10_clamp 1
		.amdhsa_ieee_mode 1
		.amdhsa_fp16_overflow 0
		.amdhsa_workgroup_processor_mode 1
		.amdhsa_memory_ordered 1
		.amdhsa_forward_progress 0
		.amdhsa_shared_vgpr_count 0
		.amdhsa_exception_fp_ieee_invalid_op 0
		.amdhsa_exception_fp_denorm_src 0
		.amdhsa_exception_fp_ieee_div_zero 0
		.amdhsa_exception_fp_ieee_overflow 0
		.amdhsa_exception_fp_ieee_underflow 0
		.amdhsa_exception_fp_ieee_inexact 0
		.amdhsa_exception_int_div_zero 0
	.end_amdhsa_kernel
	.section	.text._Z39paged_attention_ll4mi_QKV_mfma16_kernelI14__hip_bfloat16hLN4vllm18Fp8KVCacheDataTypeE1ES0_Li32ELi64ELi256ELb0ELi7EL8MFMAType0EEvPKT_PKT0_S9_ifPKiSB_SB_iPKfiiiPfSE_PS4_PT2_iSD_SD_,"axG",@progbits,_Z39paged_attention_ll4mi_QKV_mfma16_kernelI14__hip_bfloat16hLN4vllm18Fp8KVCacheDataTypeE1ES0_Li32ELi64ELi256ELb0ELi7EL8MFMAType0EEvPKT_PKT0_S9_ifPKiSB_SB_iPKfiiiPfSE_PS4_PT2_iSD_SD_,comdat
.Lfunc_end1780:
	.size	_Z39paged_attention_ll4mi_QKV_mfma16_kernelI14__hip_bfloat16hLN4vllm18Fp8KVCacheDataTypeE1ES0_Li32ELi64ELi256ELb0ELi7EL8MFMAType0EEvPKT_PKT0_S9_ifPKiSB_SB_iPKfiiiPfSE_PS4_PT2_iSD_SD_, .Lfunc_end1780-_Z39paged_attention_ll4mi_QKV_mfma16_kernelI14__hip_bfloat16hLN4vllm18Fp8KVCacheDataTypeE1ES0_Li32ELi64ELi256ELb0ELi7EL8MFMAType0EEvPKT_PKT0_S9_ifPKiSB_SB_iPKfiiiPfSE_PS4_PT2_iSD_SD_
                                        ; -- End function
	.section	.AMDGPU.csdata,"",@progbits
; Kernel info:
; codeLenInByte = 8828
; NumSgprs: 44
; NumVgprs: 124
; ScratchSize: 0
; MemoryBound: 0
; FloatMode: 240
; IeeeMode: 1
; LDSByteSize: 17472 bytes/workgroup (compile time only)
; SGPRBlocks: 5
; VGPRBlocks: 15
; NumSGPRsForWavesPerEU: 44
; NumVGPRsForWavesPerEU: 124
; Occupancy: 10
; WaveLimiterHint : 1
; COMPUTE_PGM_RSRC2:SCRATCH_EN: 0
; COMPUTE_PGM_RSRC2:USER_SGPR: 13
; COMPUTE_PGM_RSRC2:TRAP_HANDLER: 0
; COMPUTE_PGM_RSRC2:TGID_X_EN: 1
; COMPUTE_PGM_RSRC2:TGID_Y_EN: 1
; COMPUTE_PGM_RSRC2:TGID_Z_EN: 1
; COMPUTE_PGM_RSRC2:TIDIG_COMP_CNT: 0
	.section	.text._Z39paged_attention_ll4mi_QKV_mfma16_kernelI14__hip_bfloat16hLN4vllm18Fp8KVCacheDataTypeE1ES0_Li32ELi64ELi256ELb0ELi8EL8MFMAType0EEvPKT_PKT0_S9_ifPKiSB_SB_iPKfiiiPfSE_PS4_PT2_iSD_SD_,"axG",@progbits,_Z39paged_attention_ll4mi_QKV_mfma16_kernelI14__hip_bfloat16hLN4vllm18Fp8KVCacheDataTypeE1ES0_Li32ELi64ELi256ELb0ELi8EL8MFMAType0EEvPKT_PKT0_S9_ifPKiSB_SB_iPKfiiiPfSE_PS4_PT2_iSD_SD_,comdat
	.protected	_Z39paged_attention_ll4mi_QKV_mfma16_kernelI14__hip_bfloat16hLN4vllm18Fp8KVCacheDataTypeE1ES0_Li32ELi64ELi256ELb0ELi8EL8MFMAType0EEvPKT_PKT0_S9_ifPKiSB_SB_iPKfiiiPfSE_PS4_PT2_iSD_SD_ ; -- Begin function _Z39paged_attention_ll4mi_QKV_mfma16_kernelI14__hip_bfloat16hLN4vllm18Fp8KVCacheDataTypeE1ES0_Li32ELi64ELi256ELb0ELi8EL8MFMAType0EEvPKT_PKT0_S9_ifPKiSB_SB_iPKfiiiPfSE_PS4_PT2_iSD_SD_
	.globl	_Z39paged_attention_ll4mi_QKV_mfma16_kernelI14__hip_bfloat16hLN4vllm18Fp8KVCacheDataTypeE1ES0_Li32ELi64ELi256ELb0ELi8EL8MFMAType0EEvPKT_PKT0_S9_ifPKiSB_SB_iPKfiiiPfSE_PS4_PT2_iSD_SD_
	.p2align	8
	.type	_Z39paged_attention_ll4mi_QKV_mfma16_kernelI14__hip_bfloat16hLN4vllm18Fp8KVCacheDataTypeE1ES0_Li32ELi64ELi256ELb0ELi8EL8MFMAType0EEvPKT_PKT0_S9_ifPKiSB_SB_iPKfiiiPfSE_PS4_PT2_iSD_SD_,@function
_Z39paged_attention_ll4mi_QKV_mfma16_kernelI14__hip_bfloat16hLN4vllm18Fp8KVCacheDataTypeE1ES0_Li32ELi64ELi256ELb0ELi8EL8MFMAType0EEvPKT_PKT0_S9_ifPKiSB_SB_iPKfiiiPfSE_PS4_PT2_iSD_SD_: ; @_Z39paged_attention_ll4mi_QKV_mfma16_kernelI14__hip_bfloat16hLN4vllm18Fp8KVCacheDataTypeE1ES0_Li32ELi64ELi256ELb0ELi8EL8MFMAType0EEvPKT_PKT0_S9_ifPKiSB_SB_iPKfiiiPfSE_PS4_PT2_iSD_SD_
; %bb.0:
	s_load_b64 s[2:3], s[0:1], 0x30
	s_mov_b32 s30, s13
	s_waitcnt lgkmcnt(0)
	s_cmp_lg_u64 s[2:3], 0
	s_cselect_b32 s8, -1, 0
	s_ashr_i32 s31, s13, 31
	s_cmp_eq_u64 s[2:3], 0
	s_cbranch_scc1 .LBB1781_3
; %bb.1:
	s_lshl_b64 s[4:5], s[30:31], 2
	s_delay_alu instid0(SALU_CYCLE_1) | instskip(SKIP_4) | instid1(SALU_CYCLE_1)
	s_add_u32 s4, s2, s4
	s_addc_u32 s5, s3, s5
	s_load_b64 s[4:5], s[4:5], 0x0
	s_waitcnt lgkmcnt(0)
	s_sub_i32 s4, s5, s4
	s_cmp_eq_u32 s4, 1
	s_cselect_b32 s4, -1, 0
	s_delay_alu instid0(SALU_CYCLE_1)
	s_and_not1_b32 vcc_lo, exec_lo, s4
	s_cbranch_vccz .LBB1781_4
.LBB1781_2:
	s_endpgm
.LBB1781_3:
.LBB1781_4:
	s_load_b64 s[4:5], s[0:1], 0x28
	s_lshl_b64 s[6:7], s[30:31], 2
	s_waitcnt lgkmcnt(0)
	s_add_u32 s4, s4, s6
	s_addc_u32 s5, s5, s7
	s_lshl_b32 s12, s14, 8
	s_load_b32 s24, s[4:5], 0x0
	s_waitcnt lgkmcnt(0)
	s_cmp_ge_i32 s12, s24
	s_cbranch_scc1 .LBB1781_2
; %bb.5:
	s_clause 0x1
	s_load_b128 s[20:23], s[0:1], 0x8
	s_load_b64 s[4:5], s[0:1], 0x20
	s_and_not1_b32 vcc_lo, exec_lo, s8
	s_cbranch_vccnz .LBB1781_7
; %bb.6:
	s_add_u32 s2, s2, s6
	s_addc_u32 s3, s3, s7
	s_load_b32 s3, s[2:3], 0x0
	s_branch .LBB1781_8
.LBB1781_7:
	s_mov_b32 s3, s30
.LBB1781_8:
	s_load_b128 s[16:19], s[0:1], 0x48
	v_and_b32_e32 v66, 15, v0
	v_cmp_gt_u32_e32 vcc_lo, 0x80, v0
	v_lshrrev_b32_e32 v65, 5, v0
	v_and_b32_e32 v67, 31, v0
	v_and_b32_e32 v74, 1, v0
	v_lshlrev_b32_e32 v1, 3, v66
	v_cmp_gt_u32_e64 s2, 8, v66
	v_bfe_u32 v75, v0, 4, 1
	s_lshl_b32 s31, s15, 3
	s_delay_alu instid0(VALU_DEP_3) | instskip(NEXT) | instid1(VALU_DEP_3)
	v_lshlrev_b32_e32 v73, 1, v1
	s_and_b32 s7, vcc_lo, s2
	s_delay_alu instid0(SALU_CYCLE_1)
	s_and_saveexec_b32 s6, s7
	s_cbranch_execz .LBB1781_10
; %bb.9:
	v_lshl_or_b32 v5, v65, 1, v75
	s_load_b64 s[8:9], s[0:1], 0x0
	s_waitcnt lgkmcnt(0)
	s_mul_hi_i32 s11, s3, s16
	s_mul_i32 s10, s3, s16
	v_lshlrev_b32_e32 v6, 10, v66
	v_or_b32_e32 v1, s31, v5
	s_lshl_b64 s[10:11], s[10:11], 1
	v_lshlrev_b32_e32 v5, 6, v5
	v_lshlrev_b32_e32 v7, 10, v74
	v_and_b32_e32 v6, 0x3800, v6
	v_lshlrev_b32_e32 v1, 6, v1
	s_delay_alu instid0(VALU_DEP_2) | instskip(NEXT) | instid1(VALU_DEP_2)
	v_or3_b32 v5, v6, v7, v5
	v_ashrrev_i32_e32 v2, 31, v1
	s_delay_alu instid0(VALU_DEP_1) | instskip(SKIP_2) | instid1(VALU_DEP_1)
	v_lshlrev_b64 v[1:2], 1, v[1:2]
	s_add_u32 s3, s8, s10
	s_addc_u32 s7, s9, s11
	v_add_co_u32 v1, vcc_lo, s3, v1
	s_delay_alu instid0(VALU_DEP_2) | instskip(NEXT) | instid1(VALU_DEP_2)
	v_add_co_ci_u32_e32 v2, vcc_lo, s7, v2, vcc_lo
	v_add_co_u32 v1, vcc_lo, v1, v73
	s_delay_alu instid0(VALU_DEP_2)
	v_add_co_ci_u32_e32 v2, vcc_lo, 0, v2, vcc_lo
	global_load_b128 v[1:4], v[1:2], off
	s_waitcnt vmcnt(0)
	ds_store_b128 v5, v[1:4]
.LBB1781_10:
	s_or_b32 exec_lo, exec_lo, s6
	v_and_b32_e32 v1, 0xef, v0
	s_waitcnt lgkmcnt(0)
	s_add_i32 s3, s24, 31
	s_clause 0x1
	s_load_b32 s6, s[0:1], 0x38
	s_load_b32 s19, s[0:1], 0x1c
	s_ashr_i32 s7, s3, 31
	v_add_nc_u32_e32 v1, s12, v1
	s_lshr_b32 s7, s7, 27
	s_waitcnt lgkmcnt(0)
	s_add_i32 s3, s3, s7
	s_barrier
	v_ashrrev_i32_e32 v2, 31, v1
	v_or_b32_e32 v3, 16, v1
	s_ashr_i32 s3, s3, 5
	v_cmp_gt_i32_e32 vcc_lo, s24, v1
	s_add_i32 s3, s3, -1
	v_lshrrev_b32_e32 v2, 27, v2
	buffer_gl0_inv
	s_mul_i32 s27, s15, s18
	v_add_nc_u32_e32 v4, v1, v2
	s_mul_i32 s6, s30, s6
	s_delay_alu instid0(SALU_CYCLE_1) | instskip(NEXT) | instid1(VALU_DEP_1)
	s_ashr_i32 s7, s6, 31
	v_ashrrev_i32_e32 v4, 5, v4
	v_add_nc_u32_e32 v2, v3, v2
	s_lshl_b64 s[6:7], s[6:7], 2
	s_delay_alu instid0(SALU_CYCLE_1) | instskip(NEXT) | instid1(VALU_DEP_2)
	s_add_u32 s26, s4, s6
	v_cndmask_b32_e32 v1, s3, v4, vcc_lo
	s_delay_alu instid0(VALU_DEP_2)
	v_ashrrev_i32_e32 v2, 5, v2
	v_cmp_gt_i32_e32 vcc_lo, s24, v3
	s_addc_u32 s25, s5, s7
	s_ashr_i32 s28, s27, 31
	s_add_u32 s4, s20, s27
	s_addc_u32 s5, s21, s28
	v_cndmask_b32_e32 v3, s3, v2, vcc_lo
	v_ashrrev_i32_e32 v2, 31, v1
	s_lshl_b32 s6, s14, 3
	s_delay_alu instid0(SALU_CYCLE_1) | instskip(NEXT) | instid1(VALU_DEP_2)
	s_ashr_i32 s7, s6, 31
	v_ashrrev_i32_e32 v4, 31, v3
	s_delay_alu instid0(VALU_DEP_2) | instskip(SKIP_1) | instid1(SALU_CYCLE_1)
	v_lshlrev_b64 v[1:2], 2, v[1:2]
	s_lshl_b64 s[6:7], s[6:7], 2
	s_add_u32 s6, s26, s6
	s_delay_alu instid0(VALU_DEP_2) | instskip(SKIP_1) | instid1(VALU_DEP_2)
	v_lshlrev_b64 v[3:4], 2, v[3:4]
	s_addc_u32 s7, s25, s7
	v_add_co_u32 v1, vcc_lo, s26, v1
	v_add_co_ci_u32_e32 v2, vcc_lo, s25, v2, vcc_lo
	s_delay_alu instid0(VALU_DEP_3) | instskip(NEXT) | instid1(VALU_DEP_4)
	v_add_co_u32 v3, vcc_lo, s26, v3
	v_add_co_ci_u32_e32 v4, vcc_lo, s25, v4, vcc_lo
	s_clause 0x1
	global_load_b32 v5, v[1:2], off
	global_load_b32 v6, v[3:4], off
	s_or_b32 s8, s12, 32
	s_delay_alu instid0(SALU_CYCLE_1) | instskip(SKIP_2) | instid1(SALU_CYCLE_1)
	s_ashr_i32 s9, s8, 5
	s_cmp_lt_i32 s8, s24
	s_cselect_b32 s8, s9, s3
	s_ashr_i32 s9, s8, 31
	s_delay_alu instid0(SALU_CYCLE_1) | instskip(NEXT) | instid1(SALU_CYCLE_1)
	s_lshl_b64 s[8:9], s[8:9], 2
	s_add_u32 s8, s26, s8
	s_addc_u32 s9, s25, s9
	s_or_b32 s10, s12, 64
	s_delay_alu instid0(SALU_CYCLE_1) | instskip(SKIP_2) | instid1(SALU_CYCLE_1)
	s_ashr_i32 s11, s10, 5
	s_cmp_lt_i32 s10, s24
	s_cselect_b32 s10, s11, s3
	s_ashr_i32 s11, s10, 31
	s_delay_alu instid0(SALU_CYCLE_1) | instskip(NEXT) | instid1(SALU_CYCLE_1)
	s_lshl_b64 s[10:11], s[10:11], 2
	s_add_u32 s10, s26, s10
	s_addc_u32 s11, s25, s11
	;; [unrolled: 10-line block ×5, first 2 shown]
	s_clause 0x5
	s_load_b32 s21, s[6:7], 0x0
	s_load_b32 s13, s[8:9], 0x0
	;; [unrolled: 1-line block ×6, first 2 shown]
	s_or_b32 s7, s12, 0xc0
	s_delay_alu instid0(SALU_CYCLE_1) | instskip(SKIP_2) | instid1(SALU_CYCLE_1)
	s_ashr_i32 s8, s7, 5
	s_cmp_lt_i32 s7, s24
	s_cselect_b32 s10, s8, s3
	s_ashr_i32 s11, s10, 31
	s_delay_alu instid0(SALU_CYCLE_1) | instskip(NEXT) | instid1(SALU_CYCLE_1)
	s_lshl_b64 s[34:35], s[10:11], 2
	s_add_u32 s34, s26, s34
	s_addc_u32 s35, s25, s35
	s_or_b32 s29, s12, 0xe0
	s_delay_alu instid0(SALU_CYCLE_1)
	s_ashr_i32 s33, s29, 5
	s_cmp_lt_i32 s29, s24
	s_waitcnt vmcnt(1)
	v_mad_i64_i32 v[1:2], null, v5, s17, s[4:5]
	s_waitcnt vmcnt(0)
	v_mad_i64_i32 v[3:4], null, v6, s17, s[4:5]
	s_mov_b32 s4, 0
	s_delay_alu instid0(SALU_CYCLE_1)
	s_mov_b32 s5, s4
	s_mov_b32 s6, s4
	;; [unrolled: 1-line block ×7, first 2 shown]
	v_lshlrev_b32_e32 v5, 4, v66
	v_dual_mov_b32 v107, s11 :: v_dual_mov_b32 v102, s6
	v_dual_mov_b32 v106, s10 :: v_dual_mov_b32 v105, s9
	s_delay_alu instid0(VALU_DEP_3)
	v_add_co_u32 v1, vcc_lo, v1, v5
	v_add_co_ci_u32_e32 v2, vcc_lo, 0, v2, vcc_lo
	v_add_co_u32 v3, vcc_lo, v3, v5
	v_add_co_ci_u32_e32 v4, vcc_lo, 0, v4, vcc_lo
	s_clause 0x7
	global_load_b128 v[49:52], v[1:2], off
	global_load_b128 v[53:56], v[1:2], off offset:512
	global_load_b128 v[76:79], v[3:4], off offset:256
	;; [unrolled: 1-line block ×7, first 2 shown]
	v_dual_mov_b32 v100, s4 :: v_dual_and_b32 v1, 7, v0
	v_lshlrev_b32_e32 v2, 5, v66
	v_dual_mov_b32 v104, s8 :: v_dual_mov_b32 v103, s7
	v_mov_b32_e32 v101, s5
	s_cselect_b32 s4, s33, s3
	v_lshlrev_b32_e32 v70, 6, v1
	s_ashr_i32 s5, s4, 31
	v_lshl_or_b32 v1, v65, 9, v2
	s_lshl_b64 s[4:5], s[4:5], 2
	s_load_b32 s3, s[34:35], 0x0
	s_add_u32 s4, s26, s4
	s_addc_u32 s5, s25, s5
	ds_load_b128 v[108:111], v70
	ds_load_b128 v[112:115], v70 offset:1024
	s_load_b32 s4, s[4:5], 0x0
	s_add_u32 s6, s22, s27
	s_addc_u32 s7, s23, s28
	v_add_co_u32 v9, s6, s6, v1
	s_delay_alu instid0(VALU_DEP_1) | instskip(SKIP_1) | instid1(VALU_DEP_1)
	v_add_co_ci_u32_e64 v10, null, s7, 0, s6
	s_waitcnt lgkmcnt(0)
	v_mad_i64_i32 v[1:2], null, s21, s17, v[9:10]
	v_mad_i64_i32 v[3:4], null, s13, s17, v[9:10]
	;; [unrolled: 1-line block ×7, first 2 shown]
	s_clause 0x9
	global_load_b128 v[57:60], v[1:2], off
	global_load_b128 v[61:64], v[1:2], off offset:16
	global_load_b128 v[41:44], v[3:4], off
	global_load_b128 v[45:48], v[3:4], off offset:16
	;; [unrolled: 2-line block ×5, first 2 shown]
	v_mad_i64_i32 v[68:69], null, s4, s17, v[9:10]
	s_clause 0x3
	global_load_b128 v[9:12], v[13:14], off
	global_load_b128 v[13:16], v[13:14], off offset:16
	global_load_b128 v[17:20], v[21:22], off
	global_load_b128 v[21:24], v[21:22], off offset:16
	s_waitcnt vmcnt(20)
	v_wmma_f32_16x16x16_bf16 v[116:123], v[49:56], v[108:115], v[100:107]
	s_clause 0x1
	global_load_b128 v[49:52], v[68:69], off
	global_load_b128 v[53:56], v[68:69], off offset:16
	v_and_b32_e32 v68, 0xe0, v0
	v_mbcnt_lo_u32_b32 v69, -1, 0
	s_delay_alu instid0(VALU_DEP_2)
	v_add_nc_u32_e32 v68, s12, v68
	s_waitcnt vmcnt(20)
	v_wmma_f32_16x16x16_bf16 v[100:107], v[76:83], v[108:115], v[100:107]
	ds_load_b128 v[76:79], v70 offset:2048
	ds_load_b128 v[80:83], v70 offset:3072
	v_xor_b32_e32 v70, 16, v69
	s_waitcnt vmcnt(0) lgkmcnt(0)
	v_or_b32_e32 v68, v68, v75
	s_barrier
	buffer_gl0_inv
	v_cmp_gt_i32_e32 vcc_lo, 32, v70
	v_or_b32_e32 v71, 4, v68
	v_or_b32_e32 v72, 6, v68
	v_cmp_gt_i32_e64 s3, s24, v68
	v_or_b32_e32 v108, 8, v68
	v_or_b32_e32 v109, 10, v68
	v_cmp_gt_i32_e64 s4, s24, v71
	v_cmp_gt_i32_e64 s5, s24, v72
	s_delay_alu instid0(VALU_DEP_4) | instskip(NEXT) | instid1(VALU_DEP_4)
	v_cmp_gt_i32_e64 s6, s24, v108
	v_cmp_gt_i32_e64 s7, s24, v109
	v_wmma_f32_16x16x16_bf16 v[116:123], v[84:91], v[76:83], v[116:123]
	v_cndmask_b32_e32 v69, v69, v70, vcc_lo
	v_or_b32_e32 v70, 2, v68
	v_wmma_f32_16x16x16_bf16 v[100:107], v[92:99], v[76:83], v[100:107]
	v_or_b32_e32 v84, 12, v68
	v_dual_mul_f32 v78, s19, v123 :: v_dual_mul_f32 v83, s19, v118
	v_dual_mul_f32 v92, s19, v117 :: v_dual_mul_f32 v93, s19, v116
	s_delay_alu instid0(VALU_DEP_4) | instskip(SKIP_2) | instid1(VALU_DEP_4)
	v_mul_f32_e32 v94, s19, v107
	v_cmp_gt_i32_e32 vcc_lo, s24, v70
	v_dual_mul_f32 v81, s19, v120 :: v_dual_mul_f32 v82, s19, v119
	v_cndmask_b32_e64 v93, 0xff7fffff, v93, s3
	v_or_b32_e32 v85, 14, v68
	v_cndmask_b32_e32 v92, 0xff7fffff, v92, vcc_lo
	v_dual_mul_f32 v79, s19, v122 :: v_dual_mul_f32 v80, s19, v121
	v_cndmask_b32_e64 v71, 0xff7fffff, v83, s4
	v_cndmask_b32_e64 v72, 0xff7fffff, v82, s5
	s_delay_alu instid0(VALU_DEP_4)
	v_max3_f32 v82, v93, 0xff7fffff, v92
	v_or_b32_e32 v86, 16, v68
	v_or_b32_e32 v87, 18, v68
	v_cndmask_b32_e64 v81, 0xff7fffff, v81, s6
	v_cndmask_b32_e64 v80, 0xff7fffff, v80, s7
	v_max3_f32 v71, v82, v71, v72
	v_cmp_gt_i32_e64 s8, s24, v84
	v_cmp_gt_i32_e64 s9, s24, v85
	v_or_b32_e32 v88, 20, v68
	v_or_b32_e32 v89, 22, v68
	;; [unrolled: 1-line block ×6, first 2 shown]
	v_dual_mul_f32 v99, s19, v102 :: v_dual_mul_f32 v70, s19, v101
	v_mul_f32_e32 v68, s19, v100
	v_cndmask_b32_e64 v72, 0xff7fffff, v79, s8
	v_cndmask_b32_e64 v78, 0xff7fffff, v78, s9
	v_max3_f32 v71, v71, v81, v80
	v_cmp_gt_i32_e64 s10, s24, v86
	v_cmp_gt_i32_e64 s11, s24, v87
	v_dual_mul_f32 v97, s19, v104 :: v_dual_mul_f32 v98, s19, v103
	s_delay_alu instid0(VALU_DEP_4) | instskip(SKIP_1) | instid1(VALU_DEP_4)
	v_max3_f32 v71, v71, v72, v78
	v_cmp_gt_i32_e64 s12, s24, v88
	v_cndmask_b32_e64 v70, 0xff7fffff, v70, s11
	v_cmp_gt_i32_e64 s13, s24, v89
	v_lshlrev_b32_e32 v89, 2, v69
	v_cndmask_b32_e64 v68, 0xff7fffff, v68, s10
	v_dual_mul_f32 v95, s19, v106 :: v_dual_mul_f32 v96, s19, v105
	v_cndmask_b32_e64 v72, 0xff7fffff, v99, s12
	v_cndmask_b32_e64 v78, 0xff7fffff, v98, s13
	s_delay_alu instid0(VALU_DEP_4)
	v_max3_f32 v68, v71, v68, v70
	v_cmp_gt_i32_e64 s15, s24, v90
	v_cmp_gt_i32_e64 s16, s24, v91
	;; [unrolled: 1-line block ×4, first 2 shown]
	v_max3_f32 v68, v68, v72, v78
	v_cndmask_b32_e64 v70, 0xff7fffff, v97, s15
	v_cndmask_b32_e64 v71, 0xff7fffff, v96, s16
	;; [unrolled: 1-line block ×4, first 2 shown]
	s_delay_alu instid0(VALU_DEP_3) | instskip(NEXT) | instid1(VALU_DEP_1)
	v_max3_f32 v68, v68, v70, v71
	v_max3_f32 v68, v68, v72, v76
	ds_bpermute_b32 v69, v89, v68
	s_waitcnt lgkmcnt(0)
	v_max_f32_e32 v69, v69, v69
	s_delay_alu instid0(VALU_DEP_1) | instskip(NEXT) | instid1(VALU_DEP_1)
	v_max_f32_e32 v68, v68, v69
	v_fma_f32 v71, s19, v118, -v68
	s_delay_alu instid0(VALU_DEP_1)
	v_mul_f32_e32 v71, 0x3fb8aa3b, v71
	v_fma_f32 v69, s19, v116, -v68
	v_fma_f32 v70, s19, v117, -v68
	;; [unrolled: 1-line block ×4, first 2 shown]
	v_exp_f32_e32 v71, v71
	s_delay_alu instid0(VALU_DEP_3) | instskip(SKIP_2) | instid1(VALU_DEP_3)
	v_dual_mul_f32 v69, 0x3fb8aa3b, v69 :: v_dual_mul_f32 v70, 0x3fb8aa3b, v70
	v_fma_f32 v78, s19, v122, -v68
	v_fma_f32 v81, s19, v105, -v68
	v_exp_f32_e32 v69, v69
	s_delay_alu instid0(VALU_DEP_3) | instskip(SKIP_1) | instid1(VALU_DEP_2)
	v_exp_f32_e32 v70, v70
	v_mul_f32_e32 v77, 0x3fb8aa3b, v76
	v_mul_f32_e32 v81, 0x3fb8aa3b, v81
	s_delay_alu instid0(TRANS32_DEP_3) | instskip(SKIP_1) | instid1(VALU_DEP_3)
	v_cndmask_b32_e64 v83, 0, v71, s4
	v_fma_f32 v71, s19, v123, -v68
	v_exp_f32_e32 v81, v81
	s_delay_alu instid0(TRANS32_DEP_3) | instskip(NEXT) | instid1(TRANS32_DEP_2)
	v_cndmask_b32_e64 v80, 0, v69, s3
	v_cndmask_b32_e32 v76, 0, v70, vcc_lo
	v_fma_f32 v69, s19, v121, -v68
	v_mul_f32_e32 v72, 0x3fb8aa3b, v72
	v_exp_f32_e32 v77, v77
	v_dual_add_f32 v70, 0, v80 :: v_dual_mul_f32 v71, 0x3fb8aa3b, v71
	s_delay_alu instid0(VALU_DEP_3) | instskip(NEXT) | instid1(VALU_DEP_3)
	v_mul_f32_e32 v69, 0x3fb8aa3b, v69
	v_exp_f32_e32 v72, v72
	s_mov_b32 s3, exec_lo
	s_delay_alu instid0(VALU_DEP_2) | instskip(NEXT) | instid1(VALU_DEP_1)
	v_exp_f32_e32 v71, v71
	v_exp_f32_e32 v69, v69
	v_cndmask_b32_e64 v86, 0, v77, s6
	v_fma_f32 v77, s19, v101, -v68
	v_add_f32_e32 v70, v70, v76
	s_delay_alu instid0(TRANS32_DEP_3) | instskip(SKIP_1) | instid1(VALU_DEP_3)
	v_cndmask_b32_e64 v85, 0, v72, s5
	v_fma_f32 v72, s19, v100, -v68
	v_dual_mul_f32 v77, 0x3fb8aa3b, v77 :: v_dual_add_f32 v70, v70, v83
	s_delay_alu instid0(TRANS32_DEP_2) | instskip(SKIP_1) | instid1(TRANS32_DEP_1)
	v_cndmask_b32_e64 v88, 0, v71, s9
	v_fma_f32 v71, s19, v104, -v68
	v_cndmask_b32_e64 v87, 0, v69, s7
	s_delay_alu instid0(VALU_DEP_4) | instskip(NEXT) | instid1(VALU_DEP_2)
	v_exp_f32_e32 v77, v77
	v_dual_add_f32 v70, v70, v85 :: v_dual_mul_f32 v71, 0x3fb8aa3b, v71
	s_delay_alu instid0(VALU_DEP_1) | instskip(SKIP_2) | instid1(VALU_DEP_3)
	v_dual_mul_f32 v72, 0x3fb8aa3b, v72 :: v_dual_add_f32 v69, v70, v86
	v_mul_f32_e32 v78, 0x3fb8aa3b, v78
	v_fma_f32 v70, s19, v102, -v68
	v_exp_f32_e32 v72, v72
	v_exp_f32_e32 v82, v71
	v_add_f32_e32 v69, v69, v87
	v_exp_f32_e32 v78, v78
	v_mul_f32_e32 v70, 0x3fb8aa3b, v70
	s_delay_alu instid0(VALU_DEP_1) | instskip(SKIP_4) | instid1(VALU_DEP_2)
	v_exp_f32_e32 v79, v70
	v_cndmask_b32_e64 v70, 0, v72, s10
	s_waitcnt_depctr 0xfff
	v_cndmask_b32_e64 v84, 0, v78, s8
	v_fma_f32 v78, s19, v103, -v68
	v_add_f32_e32 v69, v69, v84
	v_cndmask_b32_e64 v71, 0, v79, s12
	s_delay_alu instid0(VALU_DEP_2) | instskip(SKIP_2) | instid1(VALU_DEP_1)
	v_add_f32_e32 v72, v69, v88
	v_cndmask_b32_e64 v69, 0, v77, s11
	v_fma_f32 v77, s19, v106, -v68
	v_dual_mul_f32 v77, 0x3fb8aa3b, v77 :: v_dual_add_f32 v72, v72, v70
	v_mul_f32_e32 v78, 0x3fb8aa3b, v78
	s_delay_alu instid0(VALU_DEP_2) | instskip(NEXT) | instid1(VALU_DEP_2)
	v_exp_f32_e32 v90, v77
	v_add_f32_e32 v79, v72, v69
	s_delay_alu instid0(VALU_DEP_2)
	v_exp_f32_e32 v78, v78
	v_cndmask_b32_e64 v77, 0, v82, s15
	s_waitcnt_depctr 0xfff
	v_cndmask_b32_e64 v72, 0, v78, s13
	v_add_f32_e32 v78, v79, v71
	v_fma_f32 v79, s19, v107, -v68
	s_delay_alu instid0(VALU_DEP_1) | instskip(SKIP_1) | instid1(VALU_DEP_2)
	v_dual_add_f32 v82, v78, v72 :: v_dual_mul_f32 v79, 0x3fb8aa3b, v79
	v_cndmask_b32_e64 v78, 0, v81, s16
	v_add_f32_e32 v81, v82, v77
	s_delay_alu instid0(VALU_DEP_3) | instskip(SKIP_1) | instid1(VALU_DEP_2)
	v_exp_f32_e32 v82, v79
	v_cndmask_b32_e64 v79, 0, v90, s17
	v_add_f32_e32 v81, v81, v78
	s_delay_alu instid0(VALU_DEP_1) | instskip(SKIP_2) | instid1(VALU_DEP_1)
	v_add_f32_e32 v90, v81, v79
	s_waitcnt_depctr 0xfff
	v_cndmask_b32_e64 v81, 0, v82, s18
	v_add_f32_e32 v82, v90, v81
	ds_bpermute_b32 v89, v89, v82
	v_cmpx_gt_u32_e32 16, v67
	s_cbranch_execz .LBB1781_12
; %bb.11:
	v_mul_u32_u24_e32 v67, 0x44, v65
	s_delay_alu instid0(VALU_DEP_1) | instskip(SKIP_1) | instid1(VALU_DEP_1)
	v_lshl_add_u32 v67, v66, 2, v67
	s_waitcnt lgkmcnt(0)
	v_dual_add_f32 v82, v82, v89 :: v_dual_add_nc_u32 v67, 0x4000, v67
	ds_store_2addr_b32 v67, v68, v82 offset1:136
.LBB1781_12:
	s_or_b32 exec_lo, exec_lo, s3
	v_lshlrev_b32_e32 v67, 2, v66
	s_waitcnt lgkmcnt(0)
	s_barrier
	buffer_gl0_inv
	v_cmp_eq_u32_e32 vcc_lo, 1, v65
	v_add_nc_u32_e32 v82, 0x4000, v67
	v_cmp_eq_u32_e64 s3, 2, v65
	v_cmp_eq_u32_e64 s5, 7, v65
	ds_load_2addr_b32 v[89:90], v82 offset1:17
	ds_load_2addr_b32 v[91:92], v82 offset0:34 offset1:51
	ds_load_2addr_b32 v[93:94], v82 offset0:68 offset1:85
	;; [unrolled: 1-line block ×4, first 2 shown]
	s_waitcnt lgkmcnt(4)
	v_max3_f32 v67, v89, 0xff7fffff, v90
	s_waitcnt lgkmcnt(3)
	s_delay_alu instid0(VALU_DEP_1) | instskip(SKIP_1) | instid1(VALU_DEP_1)
	v_max3_f32 v67, v67, v91, v92
	s_waitcnt lgkmcnt(2)
	v_max3_f32 v67, v67, v93, v94
	s_waitcnt lgkmcnt(1)
	s_delay_alu instid0(VALU_DEP_1) | instskip(NEXT) | instid1(VALU_DEP_1)
	v_max3_f32 v67, v67, v95, v96
	v_sub_f32_e32 v93, v93, v67
	s_delay_alu instid0(VALU_DEP_1) | instskip(NEXT) | instid1(VALU_DEP_1)
	v_dual_sub_f32 v68, v89, v67 :: v_dual_mul_f32 v103, 0x3fb8aa3b, v93
	v_mul_f32_e32 v68, 0x3fb8aa3b, v68
	s_delay_alu instid0(VALU_DEP_1)
	v_exp_f32_e32 v100, v68
	v_sub_f32_e32 v68, v92, v67
	v_sub_f32_e32 v99, v90, v67
	ds_load_2addr_b32 v[89:90], v82 offset0:170 offset1:187
	v_dual_mul_f32 v102, 0x3fb8aa3b, v68 :: v_dual_mul_f32 v99, 0x3fb8aa3b, v99
	s_waitcnt lgkmcnt(1)
	v_fma_f32 v68, v100, v97, 0
	s_delay_alu instid0(VALU_DEP_2) | instskip(NEXT) | instid1(VALU_DEP_2)
	v_exp_f32_e32 v102, v102
	v_exp_f32_e32 v99, v99
	s_waitcnt_depctr 0xfff
	v_fmac_f32_e32 v68, v99, v98
	v_sub_f32_e32 v91, v91, v67
	s_delay_alu instid0(VALU_DEP_1)
	v_mul_f32_e32 v101, 0x3fb8aa3b, v91
	ds_load_2addr_b32 v[91:92], v82 offset0:204 offset1:221
	v_sub_f32_e32 v97, v94, v67
	ds_load_2addr_b32 v[93:94], v82 offset0:238 offset1:255
	s_waitcnt lgkmcnt(0)
	v_exp_f32_e32 v101, v101
	s_barrier
	buffer_gl0_inv
	v_dual_fmac_f32 v68, v101, v89 :: v_dual_sub_f32 v89, v96, v67
	v_dual_sub_f32 v82, v95, v67 :: v_dual_mul_f32 v95, 0x3fb8aa3b, v97
	v_exp_f32_e32 v97, v103
	s_delay_alu instid0(VALU_DEP_2) | instskip(NEXT) | instid1(VALU_DEP_2)
	v_dual_fmac_f32 v68, v102, v90 :: v_dual_mul_f32 v89, 0x3fb8aa3b, v89
	v_mul_f32_e32 v82, 0x3fb8aa3b, v82
	s_delay_alu instid0(VALU_DEP_3) | instskip(NEXT) | instid1(VALU_DEP_2)
	v_exp_f32_e32 v95, v95
	v_exp_f32_e32 v89, v89
	s_delay_alu instid0(VALU_DEP_1)
	v_exp_f32_e32 v82, v82
	v_fmac_f32_e32 v68, v97, v91
	s_delay_alu instid0(TRANS32_DEP_3) | instid1(VALU_DEP_1)
	v_fmac_f32_e32 v68, v95, v92
	s_waitcnt_depctr 0xfff
	v_fmac_f32_e32 v68, v82, v93
	s_delay_alu instid0(VALU_DEP_1) | instskip(NEXT) | instid1(VALU_DEP_1)
	v_fmac_f32_e32 v68, v89, v94
	v_add_f32_e32 v90, 0x358637bd, v68
	s_delay_alu instid0(VALU_DEP_1) | instskip(NEXT) | instid1(VALU_DEP_1)
	v_div_scale_f32 v91, null, v90, v90, 1.0
	v_rcp_f32_e32 v92, v91
	s_waitcnt_depctr 0xfff
	v_fma_f32 v93, -v91, v92, 1.0
	s_delay_alu instid0(VALU_DEP_1) | instskip(SKIP_1) | instid1(VALU_DEP_2)
	v_dual_fmac_f32 v92, v93, v92 :: v_dual_cndmask_b32 v93, v100, v99
	v_cmp_eq_u32_e32 vcc_lo, 3, v65
	v_cndmask_b32_e64 v93, v93, v101, s3
	v_cmp_eq_u32_e64 s3, 4, v65
	s_delay_alu instid0(VALU_DEP_2) | instskip(SKIP_1) | instid1(VALU_DEP_2)
	v_cndmask_b32_e32 v93, v93, v102, vcc_lo
	v_cmp_eq_u32_e32 vcc_lo, 5, v65
	v_cndmask_b32_e64 v93, v93, v97, s3
	v_cmp_eq_u32_e64 s3, 6, v65
	s_delay_alu instid0(VALU_DEP_2) | instskip(SKIP_1) | instid1(VALU_DEP_1)
	v_cndmask_b32_e32 v93, v93, v95, vcc_lo
	v_div_scale_f32 v94, s4, 1.0, v90, 1.0
	s_mov_b32 vcc_lo, s4
	s_delay_alu instid0(VALU_DEP_2) | instskip(NEXT) | instid1(VALU_DEP_2)
	v_cndmask_b32_e64 v82, v93, v82, s3
	v_mul_f32_e32 v96, v94, v92
	s_mov_b32 s3, exec_lo
	s_delay_alu instid0(VALU_DEP_2) | instskip(NEXT) | instid1(VALU_DEP_2)
	v_cndmask_b32_e64 v82, v82, v89, s5
	v_fma_f32 v98, -v91, v96, v94
	s_delay_alu instid0(VALU_DEP_1) | instskip(NEXT) | instid1(VALU_DEP_1)
	v_fmac_f32_e32 v96, v98, v92
	v_fma_f32 v91, -v91, v96, v94
	s_delay_alu instid0(VALU_DEP_1) | instskip(NEXT) | instid1(VALU_DEP_1)
	v_div_fmas_f32 v91, v91, v92, v96
	v_div_fixup_f32 v90, v91, v90, 1.0
	s_delay_alu instid0(VALU_DEP_1) | instskip(NEXT) | instid1(VALU_DEP_1)
	v_mul_f32_e32 v82, v82, v90
	v_mul_f32_e32 v87, v82, v87
	;; [unrolled: 1-line block ×7, first 2 shown]
	v_dual_mul_f32 v86, v82, v83 :: v_dual_and_b32 v91, 0x7f800000, v90
	v_mul_f32_e32 v85, v82, v76
                                        ; implicit-def: $vgpr76
	s_delay_alu instid0(VALU_DEP_2)
	v_cmpx_ne_u32_e32 0x7f800000, v91
	s_xor_b32 s3, exec_lo, s3
; %bb.13:
	v_bfe_u32 v76, v90, 16, 1
	s_delay_alu instid0(VALU_DEP_1)
	v_add3_u32 v76, v90, v76, 0x7fff
                                        ; implicit-def: $vgpr90
; %bb.14:
	s_and_not1_saveexec_b32 s3, s3
; %bb.15:
	v_and_b32_e32 v76, 0xffff, v90
	v_or_b32_e32 v83, 0x10000, v90
	s_delay_alu instid0(VALU_DEP_2) | instskip(NEXT) | instid1(VALU_DEP_2)
	v_cmp_eq_u32_e32 vcc_lo, 0, v76
	v_cndmask_b32_e32 v76, v83, v90, vcc_lo
; %bb.16:
	s_or_b32 exec_lo, exec_lo, s3
	v_and_b32_e32 v83, 0x7f800000, v85
	s_delay_alu instid0(VALU_DEP_1) | instskip(SKIP_1) | instid1(SALU_CYCLE_1)
	v_cmp_ne_u32_e32 vcc_lo, 0x7f800000, v83
                                        ; implicit-def: $vgpr83
	s_and_saveexec_b32 s3, vcc_lo
	s_xor_b32 s3, exec_lo, s3
; %bb.17:
	v_bfe_u32 v83, v85, 16, 1
	s_delay_alu instid0(VALU_DEP_1)
	v_add3_u32 v83, v85, v83, 0x7fff
                                        ; implicit-def: $vgpr85
; %bb.18:
	s_and_not1_saveexec_b32 s3, s3
; %bb.19:
	v_and_b32_e32 v83, 0xffff, v85
	v_or_b32_e32 v90, 0x10000, v85
	s_delay_alu instid0(VALU_DEP_2) | instskip(NEXT) | instid1(VALU_DEP_2)
	v_cmp_eq_u32_e32 vcc_lo, 0, v83
	v_cndmask_b32_e32 v83, v90, v85, vcc_lo
; %bb.20:
	s_or_b32 exec_lo, exec_lo, s3
	v_and_b32_e32 v85, 0x7f800000, v86
	s_delay_alu instid0(VALU_DEP_1) | instskip(SKIP_1) | instid1(SALU_CYCLE_1)
	v_cmp_ne_u32_e32 vcc_lo, 0x7f800000, v85
                                        ; implicit-def: $vgpr85
	s_and_saveexec_b32 s3, vcc_lo
	s_xor_b32 s3, exec_lo, s3
; %bb.21:
	v_bfe_u32 v85, v86, 16, 1
	s_delay_alu instid0(VALU_DEP_1)
	v_add3_u32 v85, v86, v85, 0x7fff
                                        ; implicit-def: $vgpr86
; %bb.22:
	s_and_not1_saveexec_b32 s3, s3
; %bb.23:
	v_and_b32_e32 v85, 0xffff, v86
	v_or_b32_e32 v90, 0x10000, v86
	s_delay_alu instid0(VALU_DEP_2) | instskip(NEXT) | instid1(VALU_DEP_2)
	v_cmp_eq_u32_e32 vcc_lo, 0, v85
	v_cndmask_b32_e32 v85, v90, v86, vcc_lo
; %bb.24:
	s_or_b32 exec_lo, exec_lo, s3
	v_and_b32_e32 v86, 0x7f800000, v89
	s_delay_alu instid0(VALU_DEP_1) | instskip(SKIP_1) | instid1(SALU_CYCLE_1)
	v_cmp_ne_u32_e32 vcc_lo, 0x7f800000, v86
                                        ; implicit-def: $vgpr86
	s_and_saveexec_b32 s3, vcc_lo
	s_xor_b32 s3, exec_lo, s3
; %bb.25:
	v_bfe_u32 v86, v89, 16, 1
	s_delay_alu instid0(VALU_DEP_1)
	v_add3_u32 v86, v89, v86, 0x7fff
                                        ; implicit-def: $vgpr89
; %bb.26:
	s_and_not1_saveexec_b32 s3, s3
; %bb.27:
	v_and_b32_e32 v86, 0xffff, v89
	v_or_b32_e32 v90, 0x10000, v89
	s_delay_alu instid0(VALU_DEP_2) | instskip(NEXT) | instid1(VALU_DEP_2)
	v_cmp_eq_u32_e32 vcc_lo, 0, v86
	v_cndmask_b32_e32 v86, v90, v89, vcc_lo
; %bb.28:
	s_or_b32 exec_lo, exec_lo, s3
	v_and_b32_e32 v89, 0x7f800000, v88
	s_delay_alu instid0(VALU_DEP_1) | instskip(SKIP_1) | instid1(SALU_CYCLE_1)
	v_cmp_ne_u32_e32 vcc_lo, 0x7f800000, v89
                                        ; implicit-def: $vgpr89
	s_and_saveexec_b32 s3, vcc_lo
	s_xor_b32 s3, exec_lo, s3
; %bb.29:
	v_bfe_u32 v89, v88, 16, 1
	s_delay_alu instid0(VALU_DEP_1)
	v_add3_u32 v89, v88, v89, 0x7fff
                                        ; implicit-def: $vgpr88
; %bb.30:
	s_and_not1_saveexec_b32 s3, s3
; %bb.31:
	v_and_b32_e32 v89, 0xffff, v88
	v_or_b32_e32 v90, 0x10000, v88
	s_delay_alu instid0(VALU_DEP_2) | instskip(NEXT) | instid1(VALU_DEP_2)
	v_cmp_eq_u32_e32 vcc_lo, 0, v89
	v_cndmask_b32_e32 v89, v90, v88, vcc_lo
; %bb.32:
	s_or_b32 exec_lo, exec_lo, s3
	v_and_b32_e32 v88, 0x7f800000, v87
	s_delay_alu instid0(VALU_DEP_1) | instskip(SKIP_1) | instid1(SALU_CYCLE_1)
	v_cmp_ne_u32_e32 vcc_lo, 0x7f800000, v88
                                        ; implicit-def: $vgpr88
	s_and_saveexec_b32 s3, vcc_lo
	s_xor_b32 s3, exec_lo, s3
; %bb.33:
	v_bfe_u32 v88, v87, 16, 1
	s_delay_alu instid0(VALU_DEP_1)
	v_add3_u32 v88, v87, v88, 0x7fff
                                        ; implicit-def: $vgpr87
; %bb.34:
	s_and_not1_saveexec_b32 s3, s3
; %bb.35:
	v_and_b32_e32 v88, 0xffff, v87
	v_or_b32_e32 v90, 0x10000, v87
	s_delay_alu instid0(VALU_DEP_2) | instskip(NEXT) | instid1(VALU_DEP_2)
	v_cmp_eq_u32_e32 vcc_lo, 0, v88
	v_cndmask_b32_e32 v88, v90, v87, vcc_lo
; %bb.36:
	s_or_b32 exec_lo, exec_lo, s3
	v_and_b32_e32 v87, 0x7f800000, v84
	s_delay_alu instid0(VALU_DEP_1) | instskip(SKIP_1) | instid1(SALU_CYCLE_1)
	v_cmp_ne_u32_e32 vcc_lo, 0x7f800000, v87
                                        ; implicit-def: $vgpr87
	s_and_saveexec_b32 s3, vcc_lo
	s_xor_b32 s3, exec_lo, s3
; %bb.37:
	v_bfe_u32 v87, v84, 16, 1
	s_delay_alu instid0(VALU_DEP_1)
	v_add3_u32 v87, v84, v87, 0x7fff
                                        ; implicit-def: $vgpr84
; %bb.38:
	s_and_not1_saveexec_b32 s3, s3
; %bb.39:
	v_and_b32_e32 v87, 0xffff, v84
	v_or_b32_e32 v90, 0x10000, v84
	s_delay_alu instid0(VALU_DEP_2) | instskip(NEXT) | instid1(VALU_DEP_2)
	v_cmp_eq_u32_e32 vcc_lo, 0, v87
	v_cndmask_b32_e32 v87, v90, v84, vcc_lo
; %bb.40:
	s_or_b32 exec_lo, exec_lo, s3
	v_and_b32_e32 v84, 0x7f800000, v80
	s_delay_alu instid0(VALU_DEP_1) | instskip(SKIP_1) | instid1(SALU_CYCLE_1)
	v_cmp_ne_u32_e32 vcc_lo, 0x7f800000, v84
                                        ; implicit-def: $vgpr84
	s_and_saveexec_b32 s3, vcc_lo
	s_xor_b32 s3, exec_lo, s3
; %bb.41:
	v_bfe_u32 v84, v80, 16, 1
	s_delay_alu instid0(VALU_DEP_1)
	v_add3_u32 v84, v80, v84, 0x7fff
                                        ; implicit-def: $vgpr80
; %bb.42:
	s_and_not1_saveexec_b32 s3, s3
; %bb.43:
	v_and_b32_e32 v84, 0xffff, v80
	v_or_b32_e32 v90, 0x10000, v80
	s_delay_alu instid0(VALU_DEP_2) | instskip(NEXT) | instid1(VALU_DEP_2)
	v_cmp_eq_u32_e32 vcc_lo, 0, v84
	v_cndmask_b32_e32 v84, v90, v80, vcc_lo
; %bb.44:
	s_or_b32 exec_lo, exec_lo, s3
	s_load_b64 s[34:35], s[0:1], 0x94
	v_lshlrev_b32_e32 v91, 4, v75
	s_delay_alu instid0(VALU_DEP_2)
	v_perm_b32 v90, v84, v87, 0x7060302
	v_dual_mul_f32 v77, v82, v77 :: v_dual_lshlrev_b32 v80, 6, v66
	v_lshlrev_b32_e32 v66, 11, v65
	v_perm_b32 v87, v83, v76, 0x7060302
	v_mul_f32_e32 v83, v82, v70
	v_perm_b32 v89, v88, v89, 0x7060302
	v_perm_b32 v88, v86, v85, 0x7060302
	v_or3_b32 v76, v91, v66, v80
	v_mul_f32_e32 v66, v82, v81
	v_mul_f32_e32 v70, v82, v79
	;; [unrolled: 1-line block ×3, first 2 shown]
	v_dual_mul_f32 v81, v82, v72 :: v_dual_and_b32 v84, 0x7f800000, v83
	v_mul_f32_e32 v79, v82, v71
	v_mul_f32_e32 v72, v82, v69
	s_mov_b32 s3, exec_lo
	ds_store_b128 v76, v[87:90]
                                        ; implicit-def: $vgpr69
	v_cmpx_ne_u32_e32 0x7f800000, v84
	s_xor_b32 s3, exec_lo, s3
; %bb.45:
	v_bfe_u32 v69, v83, 16, 1
	s_delay_alu instid0(VALU_DEP_1)
	v_add3_u32 v69, v83, v69, 0x7fff
                                        ; implicit-def: $vgpr83
; %bb.46:
	s_and_not1_saveexec_b32 s3, s3
; %bb.47:
	v_and_b32_e32 v69, 0xffff, v83
	v_or_b32_e32 v71, 0x10000, v83
	s_delay_alu instid0(VALU_DEP_2) | instskip(NEXT) | instid1(VALU_DEP_2)
	v_cmp_eq_u32_e32 vcc_lo, 0, v69
	v_cndmask_b32_e32 v69, v71, v83, vcc_lo
; %bb.48:
	s_or_b32 exec_lo, exec_lo, s3
	v_and_b32_e32 v71, 0x7f800000, v72
	s_delay_alu instid0(VALU_DEP_1) | instskip(SKIP_1) | instid1(SALU_CYCLE_1)
	v_cmp_ne_u32_e32 vcc_lo, 0x7f800000, v71
                                        ; implicit-def: $vgpr71
	s_and_saveexec_b32 s3, vcc_lo
	s_xor_b32 s3, exec_lo, s3
; %bb.49:
	v_bfe_u32 v71, v72, 16, 1
	s_delay_alu instid0(VALU_DEP_1)
	v_add3_u32 v71, v72, v71, 0x7fff
                                        ; implicit-def: $vgpr72
; %bb.50:
	s_and_not1_saveexec_b32 s3, s3
; %bb.51:
	v_and_b32_e32 v71, 0xffff, v72
	v_or_b32_e32 v82, 0x10000, v72
	s_delay_alu instid0(VALU_DEP_2) | instskip(NEXT) | instid1(VALU_DEP_2)
	v_cmp_eq_u32_e32 vcc_lo, 0, v71
	v_cndmask_b32_e32 v71, v82, v72, vcc_lo
; %bb.52:
	s_or_b32 exec_lo, exec_lo, s3
	v_and_b32_e32 v72, 0x7f800000, v79
	s_delay_alu instid0(VALU_DEP_1) | instskip(SKIP_1) | instid1(SALU_CYCLE_1)
	v_cmp_ne_u32_e32 vcc_lo, 0x7f800000, v72
                                        ; implicit-def: $vgpr72
	s_and_saveexec_b32 s3, vcc_lo
	s_xor_b32 s3, exec_lo, s3
; %bb.53:
	v_bfe_u32 v72, v79, 16, 1
	s_delay_alu instid0(VALU_DEP_1)
	v_add3_u32 v72, v79, v72, 0x7fff
                                        ; implicit-def: $vgpr79
; %bb.54:
	s_and_not1_saveexec_b32 s3, s3
; %bb.55:
	v_and_b32_e32 v72, 0xffff, v79
	v_or_b32_e32 v82, 0x10000, v79
	s_delay_alu instid0(VALU_DEP_2) | instskip(NEXT) | instid1(VALU_DEP_2)
	v_cmp_eq_u32_e32 vcc_lo, 0, v72
	v_cndmask_b32_e32 v72, v82, v79, vcc_lo
; %bb.56:
	s_or_b32 exec_lo, exec_lo, s3
	v_and_b32_e32 v79, 0x7f800000, v81
	s_delay_alu instid0(VALU_DEP_1) | instskip(SKIP_1) | instid1(SALU_CYCLE_1)
	v_cmp_ne_u32_e32 vcc_lo, 0x7f800000, v79
                                        ; implicit-def: $vgpr79
	s_and_saveexec_b32 s3, vcc_lo
	s_xor_b32 s3, exec_lo, s3
; %bb.57:
	v_bfe_u32 v79, v81, 16, 1
	s_delay_alu instid0(VALU_DEP_1)
	v_add3_u32 v79, v81, v79, 0x7fff
                                        ; implicit-def: $vgpr81
; %bb.58:
	s_and_not1_saveexec_b32 s3, s3
; %bb.59:
	v_and_b32_e32 v79, 0xffff, v81
	v_or_b32_e32 v82, 0x10000, v81
	s_delay_alu instid0(VALU_DEP_2) | instskip(NEXT) | instid1(VALU_DEP_2)
	v_cmp_eq_u32_e32 vcc_lo, 0, v79
	v_cndmask_b32_e32 v79, v82, v81, vcc_lo
; %bb.60:
	s_or_b32 exec_lo, exec_lo, s3
	v_and_b32_e32 v81, 0x7f800000, v77
	s_delay_alu instid0(VALU_DEP_1) | instskip(SKIP_1) | instid1(SALU_CYCLE_1)
	v_cmp_ne_u32_e32 vcc_lo, 0x7f800000, v81
                                        ; implicit-def: $vgpr81
	s_and_saveexec_b32 s3, vcc_lo
	s_xor_b32 s3, exec_lo, s3
; %bb.61:
	v_bfe_u32 v81, v77, 16, 1
	s_delay_alu instid0(VALU_DEP_1)
	v_add3_u32 v81, v77, v81, 0x7fff
                                        ; implicit-def: $vgpr77
; %bb.62:
	s_and_not1_saveexec_b32 s3, s3
; %bb.63:
	v_and_b32_e32 v81, 0xffff, v77
	v_or_b32_e32 v82, 0x10000, v77
	s_delay_alu instid0(VALU_DEP_2) | instskip(NEXT) | instid1(VALU_DEP_2)
	v_cmp_eq_u32_e32 vcc_lo, 0, v81
	v_cndmask_b32_e32 v81, v82, v77, vcc_lo
; %bb.64:
	s_or_b32 exec_lo, exec_lo, s3
	v_and_b32_e32 v77, 0x7f800000, v78
	s_delay_alu instid0(VALU_DEP_1) | instskip(SKIP_1) | instid1(SALU_CYCLE_1)
	v_cmp_ne_u32_e32 vcc_lo, 0x7f800000, v77
                                        ; implicit-def: $vgpr77
	s_and_saveexec_b32 s3, vcc_lo
	s_xor_b32 s3, exec_lo, s3
; %bb.65:
	v_bfe_u32 v77, v78, 16, 1
	s_delay_alu instid0(VALU_DEP_1)
	v_add3_u32 v77, v78, v77, 0x7fff
                                        ; implicit-def: $vgpr78
; %bb.66:
	s_and_not1_saveexec_b32 s3, s3
; %bb.67:
	v_and_b32_e32 v77, 0xffff, v78
	v_or_b32_e32 v82, 0x10000, v78
	s_delay_alu instid0(VALU_DEP_2) | instskip(NEXT) | instid1(VALU_DEP_2)
	v_cmp_eq_u32_e32 vcc_lo, 0, v77
	v_cndmask_b32_e32 v77, v82, v78, vcc_lo
; %bb.68:
	s_or_b32 exec_lo, exec_lo, s3
	v_and_b32_e32 v78, 0x7f800000, v70
	s_delay_alu instid0(VALU_DEP_1) | instskip(SKIP_1) | instid1(SALU_CYCLE_1)
	v_cmp_ne_u32_e32 vcc_lo, 0x7f800000, v78
                                        ; implicit-def: $vgpr78
	s_and_saveexec_b32 s3, vcc_lo
	s_xor_b32 s3, exec_lo, s3
; %bb.69:
	v_bfe_u32 v78, v70, 16, 1
	s_delay_alu instid0(VALU_DEP_1)
	v_add3_u32 v78, v70, v78, 0x7fff
                                        ; implicit-def: $vgpr70
; %bb.70:
	s_and_not1_saveexec_b32 s3, s3
; %bb.71:
	v_and_b32_e32 v78, 0xffff, v70
	v_or_b32_e32 v82, 0x10000, v70
	s_delay_alu instid0(VALU_DEP_2) | instskip(NEXT) | instid1(VALU_DEP_2)
	v_cmp_eq_u32_e32 vcc_lo, 0, v78
	v_cndmask_b32_e32 v78, v82, v70, vcc_lo
; %bb.72:
	s_or_b32 exec_lo, exec_lo, s3
	v_and_b32_e32 v70, 0x7f800000, v66
	s_delay_alu instid0(VALU_DEP_1) | instskip(SKIP_1) | instid1(SALU_CYCLE_1)
	v_cmp_ne_u32_e32 vcc_lo, 0x7f800000, v70
                                        ; implicit-def: $vgpr70
	s_and_saveexec_b32 s3, vcc_lo
	s_xor_b32 s3, exec_lo, s3
; %bb.73:
	v_bfe_u32 v70, v66, 16, 1
	s_delay_alu instid0(VALU_DEP_1)
	v_add3_u32 v70, v66, v70, 0x7fff
                                        ; implicit-def: $vgpr66
; %bb.74:
	s_and_not1_saveexec_b32 s3, s3
; %bb.75:
	v_and_b32_e32 v70, 0xffff, v66
	v_or_b32_e32 v82, 0x10000, v66
	s_delay_alu instid0(VALU_DEP_2) | instskip(NEXT) | instid1(VALU_DEP_2)
	v_cmp_eq_u32_e32 vcc_lo, 0, v70
	v_cndmask_b32_e32 v70, v82, v66, vcc_lo
; %bb.76:
	s_or_b32 exec_lo, exec_lo, s3
	s_delay_alu instid0(VALU_DEP_1)
	v_perm_b32 v86, v70, v78, 0x7060302
	v_perm_b32 v85, v77, v81, 0x7060302
	;; [unrolled: 1-line block ×4, first 2 shown]
	v_lshl_or_b32 v82, v65, 11, v80
	ds_store_b128 v76, v[83:86] offset:1024
	s_waitcnt lgkmcnt(0)
	s_barrier
	buffer_gl0_inv
	ds_load_b128 v[69:72], v82
	ds_load_b128 v[83:86], v82 offset:16
	s_waitcnt lgkmcnt(1)
	v_lshrrev_b32_e32 v65, 16, v69
	v_lshlrev_b32_e32 v78, 2, v75
	s_waitcnt lgkmcnt(0)
	v_lshrrev_b32_e32 v91, 16, v83
	v_lshrrev_b32_e32 v66, 16, v70
	;; [unrolled: 1-line block ×4, first 2 shown]
	v_cmp_eq_u32_e32 vcc_lo, 1, v78
	v_lshrrev_b32_e32 v98, 16, v85
	v_lshrrev_b32_e32 v96, 16, v72
	;; [unrolled: 1-line block ×3, first 2 shown]
	v_cndmask_b32_e32 v81, v69, v65, vcc_lo
	v_or_b32_e32 v79, 1, v78
	v_cmp_eq_u32_e64 s4, 2, v78
	v_cndmask_b32_e32 v87, v83, v91, vcc_lo
	v_cmp_eq_u32_e64 s7, 3, v78
	v_cmp_eq_u32_e64 s9, 4, v78
	;; [unrolled: 1-line block ×3, first 2 shown]
	v_cndmask_b32_e64 v81, v81, v70, s4
	v_cmp_eq_u32_e64 s6, 2, v79
	v_cndmask_b32_e64 v87, v87, v84, s4
	v_cmp_eq_u32_e64 s8, 3, v79
	v_cndmask_b32_e64 v88, v69, v65, s3
	v_cndmask_b32_e64 v81, v81, v66, s7
	v_or_b32_e32 v77, 2, v78
	v_cndmask_b32_e64 v87, v87, v97, s7
	v_cndmask_b32_e64 v89, v83, v91, s3
	;; [unrolled: 1-line block ×4, first 2 shown]
	v_cmp_eq_u32_e64 s10, 5, v78
	v_cndmask_b32_e64 v87, v87, v85, s9
	v_cmp_eq_u32_e64 s11, 4, v79
	v_cndmask_b32_e64 v88, v88, v66, s8
	;; [unrolled: 2-line block ×3, first 2 shown]
	v_cndmask_b32_e64 v81, v81, v95, s10
	v_cmp_eq_u32_e64 s12, 6, v78
	v_cndmask_b32_e64 v88, v88, v71, s11
	v_cndmask_b32_e64 v87, v87, v98, s10
	v_cmp_eq_u32_e64 s13, 5, v79
	v_cndmask_b32_e64 v90, v69, v65, s5
	v_cndmask_b32_e64 v89, v89, v97, s8
	;; [unrolled: 1-line block ×3, first 2 shown]
	v_cmp_eq_u32_e64 s15, 7, v78
	v_cndmask_b32_e64 v88, v88, v95, s13
	v_cndmask_b32_e64 v87, v87, v86, s12
	v_cmp_eq_u32_e64 s16, 6, v79
	v_cmp_eq_u32_e64 s17, 2, v77
	v_cndmask_b32_e64 v89, v89, v85, s11
	v_cndmask_b32_e64 v100, v81, v96, s15
	;; [unrolled: 1-line block ×6, first 2 shown]
	v_cmp_eq_u32_e64 s18, 7, v79
	v_cmp_eq_u32_e64 s19, 3, v77
	;; [unrolled: 1-line block ×4, first 2 shown]
	v_cndmask_b32_e64 v87, v87, v84, s17
	v_cndmask_b32_e64 v102, v88, v96, s18
	;; [unrolled: 1-line block ×4, first 2 shown]
	v_or_b32_e32 v81, 3, v78
	v_cndmask_b32_e64 v93, v87, v97, s19
	v_cmp_eq_u32_e64 s24, 6, v77
	v_cndmask_b32_e64 v103, v88, v86, s16
	v_cndmask_b32_e64 v92, v89, v71, s20
	v_cmp_eq_u32_e64 s21, 1, v81
	ds_load_b128 v[87:90], v82 offset:1024
	v_cmp_eq_u32_e64 s23, 2, v81
	v_cmp_eq_u32_e64 s25, 3, v81
	v_cndmask_b32_e64 v104, v92, v95, s22
	v_cndmask_b32_e64 v65, v69, v65, s21
	;; [unrolled: 1-line block ×4, first 2 shown]
	ds_load_b128 v[91:94], v82 offset:1040
	v_cmp_eq_u32_e64 s26, 4, v81
	v_cndmask_b32_e64 v65, v65, v70, s23
	v_cmp_eq_u32_e64 s28, 5, v81
	v_cndmask_b32_e64 v70, v83, v84, s23
	;; [unrolled: 2-line block ×3, first 2 shown]
	v_cndmask_b32_e64 v65, v65, v66, s25
	v_cndmask_b32_e64 v66, v104, v72, s24
	;; [unrolled: 1-line block ×3, first 2 shown]
	v_cmp_eq_u32_e64 s27, 7, v77
	v_cndmask_b32_e64 v69, v69, v86, s24
	v_cndmask_b32_e64 v65, v65, v71, s26
	s_waitcnt lgkmcnt(1)
	v_lshrrev_b32_e32 v84, 16, v87
	v_cndmask_b32_e64 v70, v70, v85, s26
	v_cndmask_b32_e64 v83, v103, v99, s18
	;; [unrolled: 1-line block ×4, first 2 shown]
	v_lshrrev_b32_e32 v95, 16, v88
	v_cndmask_b32_e64 v70, v70, v98, s28
	s_waitcnt lgkmcnt(0)
	v_lshrrev_b32_e32 v85, 16, v91
	v_cndmask_b32_e64 v97, v87, v84, s3
	v_cndmask_b32_e64 v65, v65, v72, s29
	;; [unrolled: 1-line block ×4, first 2 shown]
	v_cndmask_b32_e32 v71, v87, v84, vcc_lo
	v_cndmask_b32_e32 v98, v91, v85, vcc_lo
	v_cmp_eq_u32_e32 vcc_lo, 7, v81
	v_cndmask_b32_e64 v72, v97, v88, s6
	v_lshrrev_b32_e32 v97, 16, v92
	v_lshrrev_b32_e32 v103, 16, v90
	v_dual_cndmask_b32 v65, v65, v96 :: v_dual_cndmask_b32 v70, v70, v99
	v_cndmask_b32_e64 v71, v71, v88, s4
	v_cndmask_b32_e64 v86, v98, v92, s4
	v_cndmask_b32_e64 v72, v72, v95, s8
	v_lshrrev_b32_e32 v98, 16, v89
	v_lshrrev_b32_e32 v99, 16, v93
	v_cndmask_b32_e64 v71, v71, v95, s7
	v_cndmask_b32_e64 v86, v86, v97, s7
	;; [unrolled: 1-line block ×3, first 2 shown]
	v_perm_b32 v72, v70, v65, 0x5040100
	v_perm_b32 v70, v83, v102, 0x5040100
	v_cndmask_b32_e64 v71, v71, v89, s9
	v_cndmask_b32_e64 v86, v86, v93, s9
	;; [unrolled: 1-line block ×3, first 2 shown]
	v_lshrrev_b32_e32 v83, 16, v94
	s_delay_alu instid0(VALU_DEP_4) | instskip(NEXT) | instid1(VALU_DEP_4)
	v_cndmask_b32_e64 v71, v71, v98, s10
	v_cndmask_b32_e64 v86, v86, v99, s10
	s_delay_alu instid0(VALU_DEP_4) | instskip(NEXT) | instid1(VALU_DEP_3)
	v_cndmask_b32_e64 v65, v65, v90, s16
	v_cndmask_b32_e64 v96, v71, v90, s12
	v_perm_b32 v71, v69, v66, 0x5040100
	s_delay_alu instid0(VALU_DEP_4)
	v_cndmask_b32_e64 v69, v86, v94, s12
	v_cndmask_b32_e64 v86, v87, v84, s5
	;; [unrolled: 1-line block ×34, first 2 shown]
	v_cndmask_b32_e32 v84, v84, v103, vcc_lo
	v_cndmask_b32_e32 v86, v87, v83, vcc_lo
	v_cndmask_b32_e64 v87, v88, v83, s27
	v_cndmask_b32_e64 v88, v85, v83, s18
	;; [unrolled: 1-line block ×3, first 2 shown]
	v_perm_b32 v69, v101, v100, 0x5040100
	v_perm_b32 v86, v86, v84, 0x5040100
	v_perm_b32 v85, v87, v89, 0x5040100
	v_perm_b32 v84, v88, v65, 0x5040100
	v_perm_b32 v83, v83, v66, 0x5040100
	s_lshl_b32 s8, s35, 3
	s_mov_b32 s3, exec_lo
	ds_store_b128 v76, v[69:72]
	ds_store_b128 v76, v[83:86] offset:1024
	v_cmpx_gt_u32_e32 8, v0
	s_cbranch_execz .LBB1781_78
; %bb.77:
	v_or_b32_e32 v65, s31, v0
	s_load_b128 s[4:7], s[0:1], 0x58
	s_delay_alu instid0(VALU_DEP_1) | instskip(NEXT) | instid1(VALU_DEP_1)
	v_mad_u64_u32 v[69:70], null, s8, s30, v[65:66]
	v_mad_u64_u32 v[65:66], null, v69, s34, s[14:15]
	s_delay_alu instid0(VALU_DEP_1) | instskip(NEXT) | instid1(VALU_DEP_1)
	v_ashrrev_i32_e32 v66, 31, v65
	v_lshlrev_b64 v[65:66], 2, v[65:66]
	s_waitcnt lgkmcnt(0)
	s_delay_alu instid0(VALU_DEP_1) | instskip(NEXT) | instid1(VALU_DEP_2)
	v_add_co_u32 v69, vcc_lo, s6, v65
	v_add_co_ci_u32_e32 v70, vcc_lo, s7, v66, vcc_lo
	v_add_co_u32 v65, vcc_lo, s4, v65
	v_add_co_ci_u32_e32 v66, vcc_lo, s5, v66, vcc_lo
	global_store_b32 v[69:70], v67, off
	global_store_b32 v[65:66], v68, off
.LBB1781_78:
	s_or_b32 exec_lo, exec_lo, s3
	s_waitcnt lgkmcnt(0)
	s_waitcnt_vscnt null, 0x0
	s_barrier
	buffer_gl0_inv
	ds_load_b128 v[83:86], v80
	ds_load_b128 v[87:90], v80 offset:16
	ds_load_b128 v[95:98], v80 offset:2064
	;; [unrolled: 1-line block ×3, first 2 shown]
	v_mov_b32_e32 v65, 0
	ds_load_b128 v[103:106], v80 offset:4112
	ds_load_b128 v[99:102], v80 offset:4096
	;; [unrolled: 1-line block ×4, first 2 shown]
	v_mov_b32_e32 v66, v65
	v_mov_b32_e32 v67, v65
	;; [unrolled: 1-line block ×7, first 2 shown]
	s_waitcnt lgkmcnt(6)
	s_delay_alu instid0(VALU_DEP_1)
	v_wmma_f32_16x16x16_bf16 v[65:72], v[57:64], v[83:90], v[65:72]
	ds_load_b128 v[61:64], v80 offset:8208
	ds_load_b128 v[57:60], v80 offset:8192
	s_waitcnt lgkmcnt(6)
	v_wmma_f32_16x16x16_bf16 v[65:72], v[41:48], v[91:98], v[65:72]
	ds_load_b128 v[45:48], v80 offset:10256
	ds_load_b128 v[41:44], v80 offset:10240
	s_waitcnt lgkmcnt(6)
	;; [unrolled: 4-line block ×4, first 2 shown]
	v_wmma_f32_16x16x16_bf16 v[65:72], v[1:8], v[57:64], v[65:72]
	s_waitcnt lgkmcnt(4)
	s_delay_alu instid0(VALU_DEP_1) | instskip(SKIP_1) | instid1(VALU_DEP_1)
	v_wmma_f32_16x16x16_bf16 v[65:72], v[9:16], v[41:48], v[65:72]
	s_waitcnt lgkmcnt(2)
	v_wmma_f32_16x16x16_bf16 v[65:72], v[17:24], v[33:40], v[65:72]
	s_waitcnt lgkmcnt(0)
	s_delay_alu instid0(VALU_DEP_1) | instskip(NEXT) | instid1(VALU_DEP_1)
	v_wmma_f32_16x16x16_bf16 v[65:72], v[49:56], v[25:32], v[65:72]
	v_and_b32_e32 v1, 0x7f800000, v65
	s_delay_alu instid0(VALU_DEP_1) | instskip(SKIP_1) | instid1(SALU_CYCLE_1)
	v_cmp_ne_u32_e32 vcc_lo, 0x7f800000, v1
                                        ; implicit-def: $vgpr1
	s_and_saveexec_b32 s3, vcc_lo
	s_xor_b32 s3, exec_lo, s3
; %bb.79:
	v_bfe_u32 v1, v65, 16, 1
	s_delay_alu instid0(VALU_DEP_1)
	v_add3_u32 v1, v65, v1, 0x7fff
; %bb.80:
	s_and_not1_saveexec_b32 s3, s3
; %bb.81:
	v_and_b32_e32 v1, 0xffff, v65
	v_or_b32_e32 v2, 0x10000, v65
	s_delay_alu instid0(VALU_DEP_2) | instskip(NEXT) | instid1(VALU_DEP_2)
	v_cmp_eq_u32_e32 vcc_lo, 0, v1
	v_cndmask_b32_e32 v1, v2, v65, vcc_lo
; %bb.82:
	s_or_b32 exec_lo, exec_lo, s3
	v_and_b32_e32 v2, 0x7f800000, v66
	s_delay_alu instid0(VALU_DEP_1) | instskip(SKIP_1) | instid1(SALU_CYCLE_1)
	v_cmp_ne_u32_e32 vcc_lo, 0x7f800000, v2
                                        ; implicit-def: $vgpr2
	s_and_saveexec_b32 s3, vcc_lo
	s_xor_b32 s3, exec_lo, s3
; %bb.83:
	v_bfe_u32 v2, v66, 16, 1
	s_delay_alu instid0(VALU_DEP_1)
	v_add3_u32 v2, v66, v2, 0x7fff
; %bb.84:
	s_and_not1_saveexec_b32 s3, s3
; %bb.85:
	v_and_b32_e32 v2, 0xffff, v66
	v_or_b32_e32 v3, 0x10000, v66
	s_delay_alu instid0(VALU_DEP_2) | instskip(NEXT) | instid1(VALU_DEP_2)
	v_cmp_eq_u32_e32 vcc_lo, 0, v2
	v_cndmask_b32_e32 v2, v3, v66, vcc_lo
; %bb.86:
	s_or_b32 exec_lo, exec_lo, s3
	v_and_b32_e32 v3, 0x7f800000, v67
	s_delay_alu instid0(VALU_DEP_1) | instskip(SKIP_1) | instid1(SALU_CYCLE_1)
	v_cmp_ne_u32_e32 vcc_lo, 0x7f800000, v3
                                        ; implicit-def: $vgpr3
	s_and_saveexec_b32 s3, vcc_lo
	s_xor_b32 s3, exec_lo, s3
; %bb.87:
	v_bfe_u32 v3, v67, 16, 1
	s_delay_alu instid0(VALU_DEP_1)
	v_add3_u32 v3, v67, v3, 0x7fff
; %bb.88:
	s_and_not1_saveexec_b32 s3, s3
; %bb.89:
	v_and_b32_e32 v3, 0xffff, v67
	v_or_b32_e32 v4, 0x10000, v67
	s_delay_alu instid0(VALU_DEP_2) | instskip(NEXT) | instid1(VALU_DEP_2)
	v_cmp_eq_u32_e32 vcc_lo, 0, v3
	v_cndmask_b32_e32 v3, v4, v67, vcc_lo
; %bb.90:
	s_or_b32 exec_lo, exec_lo, s3
	v_and_b32_e32 v4, 0x7f800000, v68
	s_delay_alu instid0(VALU_DEP_1) | instskip(SKIP_1) | instid1(SALU_CYCLE_1)
	v_cmp_ne_u32_e32 vcc_lo, 0x7f800000, v4
                                        ; implicit-def: $vgpr4
	s_and_saveexec_b32 s3, vcc_lo
	s_xor_b32 s3, exec_lo, s3
; %bb.91:
	v_bfe_u32 v4, v68, 16, 1
	s_delay_alu instid0(VALU_DEP_1)
	v_add3_u32 v4, v68, v4, 0x7fff
; %bb.92:
	s_and_not1_saveexec_b32 s3, s3
; %bb.93:
	v_and_b32_e32 v4, 0xffff, v68
	v_or_b32_e32 v5, 0x10000, v68
	s_delay_alu instid0(VALU_DEP_2) | instskip(NEXT) | instid1(VALU_DEP_2)
	v_cmp_eq_u32_e32 vcc_lo, 0, v4
	v_cndmask_b32_e32 v4, v5, v68, vcc_lo
; %bb.94:
	s_or_b32 exec_lo, exec_lo, s3
	v_and_b32_e32 v5, 0x7f800000, v69
	s_delay_alu instid0(VALU_DEP_1) | instskip(SKIP_1) | instid1(SALU_CYCLE_1)
	v_cmp_ne_u32_e32 vcc_lo, 0x7f800000, v5
                                        ; implicit-def: $vgpr5
	s_and_saveexec_b32 s3, vcc_lo
	s_xor_b32 s3, exec_lo, s3
; %bb.95:
	v_bfe_u32 v5, v69, 16, 1
	s_delay_alu instid0(VALU_DEP_1)
	v_add3_u32 v5, v69, v5, 0x7fff
; %bb.96:
	s_and_not1_saveexec_b32 s3, s3
; %bb.97:
	v_and_b32_e32 v5, 0xffff, v69
	v_or_b32_e32 v6, 0x10000, v69
	s_delay_alu instid0(VALU_DEP_2) | instskip(NEXT) | instid1(VALU_DEP_2)
	v_cmp_eq_u32_e32 vcc_lo, 0, v5
	v_cndmask_b32_e32 v5, v6, v69, vcc_lo
; %bb.98:
	s_or_b32 exec_lo, exec_lo, s3
	v_and_b32_e32 v6, 0x7f800000, v70
	s_delay_alu instid0(VALU_DEP_1) | instskip(SKIP_1) | instid1(SALU_CYCLE_1)
	v_cmp_ne_u32_e32 vcc_lo, 0x7f800000, v6
                                        ; implicit-def: $vgpr6
	s_and_saveexec_b32 s3, vcc_lo
	s_xor_b32 s3, exec_lo, s3
; %bb.99:
	v_bfe_u32 v6, v70, 16, 1
	s_delay_alu instid0(VALU_DEP_1)
	v_add3_u32 v6, v70, v6, 0x7fff
; %bb.100:
	s_and_not1_saveexec_b32 s3, s3
; %bb.101:
	v_and_b32_e32 v6, 0xffff, v70
	v_or_b32_e32 v7, 0x10000, v70
	s_delay_alu instid0(VALU_DEP_2) | instskip(NEXT) | instid1(VALU_DEP_2)
	v_cmp_eq_u32_e32 vcc_lo, 0, v6
	v_cndmask_b32_e32 v6, v7, v70, vcc_lo
; %bb.102:
	s_or_b32 exec_lo, exec_lo, s3
	v_and_b32_e32 v7, 0x7f800000, v71
	s_delay_alu instid0(VALU_DEP_1) | instskip(SKIP_1) | instid1(SALU_CYCLE_1)
	v_cmp_ne_u32_e32 vcc_lo, 0x7f800000, v7
                                        ; implicit-def: $vgpr7
	s_and_saveexec_b32 s3, vcc_lo
	s_xor_b32 s3, exec_lo, s3
; %bb.103:
	v_bfe_u32 v7, v71, 16, 1
	s_delay_alu instid0(VALU_DEP_1)
	v_add3_u32 v7, v71, v7, 0x7fff
; %bb.104:
	s_and_not1_saveexec_b32 s3, s3
; %bb.105:
	v_and_b32_e32 v7, 0xffff, v71
	v_or_b32_e32 v8, 0x10000, v71
	s_delay_alu instid0(VALU_DEP_2) | instskip(NEXT) | instid1(VALU_DEP_2)
	v_cmp_eq_u32_e32 vcc_lo, 0, v7
	v_cndmask_b32_e32 v7, v8, v71, vcc_lo
; %bb.106:
	s_or_b32 exec_lo, exec_lo, s3
	v_and_b32_e32 v8, 0x7f800000, v72
	s_delay_alu instid0(VALU_DEP_1) | instskip(SKIP_1) | instid1(SALU_CYCLE_1)
	v_cmp_ne_u32_e32 vcc_lo, 0x7f800000, v8
                                        ; implicit-def: $vgpr8
	s_and_saveexec_b32 s3, vcc_lo
	s_xor_b32 s3, exec_lo, s3
; %bb.107:
	v_bfe_u32 v8, v72, 16, 1
	s_delay_alu instid0(VALU_DEP_1)
	v_add3_u32 v8, v72, v8, 0x7fff
                                        ; implicit-def: $vgpr65_vgpr66_vgpr67_vgpr68_vgpr69_vgpr70_vgpr71_vgpr72
; %bb.108:
	s_and_not1_saveexec_b32 s3, s3
; %bb.109:
	v_and_b32_e32 v8, 0xffff, v72
	v_or_b32_e32 v9, 0x10000, v72
	s_delay_alu instid0(VALU_DEP_2) | instskip(NEXT) | instid1(VALU_DEP_2)
	v_cmp_eq_u32_e32 vcc_lo, 0, v8
	v_cndmask_b32_e32 v8, v9, v72, vcc_lo
; %bb.110:
	s_or_b32 exec_lo, exec_lo, s3
	s_delay_alu instid0(VALU_DEP_1)
	v_perm_b32 v7, v8, v7, 0x7060302
	v_perm_b32 v6, v6, v5, 0x7060302
	;; [unrolled: 1-line block ×4, first 2 shown]
	s_barrier
	buffer_gl0_inv
	v_cmp_eq_u32_e32 vcc_lo, 1, v78
	ds_store_b128 v76, v[4:7]
	s_waitcnt lgkmcnt(0)
	s_barrier
	buffer_gl0_inv
	ds_load_b128 v[1:4], v82
	ds_load_b128 v[5:8], v82 offset:16
	v_cmp_eq_u32_e64 s3, 1, v79
	v_cmp_eq_u32_e64 s4, 2, v78
	;; [unrolled: 1-line block ×5, first 2 shown]
	s_waitcnt lgkmcnt(1)
	v_lshrrev_b32_e32 v9, 16, v1
	s_waitcnt lgkmcnt(0)
	v_lshrrev_b32_e32 v13, 16, v5
	v_lshrrev_b32_e32 v10, 16, v2
	;; [unrolled: 1-line block ×4, first 2 shown]
	v_cndmask_b32_e64 v19, v1, v9, s3
	v_cndmask_b32_e32 v18, v5, v13, vcc_lo
	v_cndmask_b32_e64 v20, v5, v13, s3
	v_cndmask_b32_e32 v17, v1, v9, vcc_lo
	v_cmp_eq_u32_e32 vcc_lo, 2, v79
	v_lshrrev_b32_e32 v15, 16, v7
	v_cmp_eq_u32_e64 s3, 1, v77
	v_lshrrev_b32_e32 v12, 16, v4
	v_lshrrev_b32_e32 v16, 16, v8
	v_cndmask_b32_e32 v20, v20, v6, vcc_lo
	v_cndmask_b32_e64 v17, v17, v2, s4
	v_cndmask_b32_e32 v19, v19, v2, vcc_lo
	v_cndmask_b32_e64 v18, v18, v6, s4
	v_cmp_eq_u32_e32 vcc_lo, 4, v78
	v_cmp_eq_u32_e64 s4, 3, v79
	v_cndmask_b32_e64 v17, v17, v10, s5
	v_cndmask_b32_e64 v21, v1, v9, s3
	;; [unrolled: 1-line block ×5, first 2 shown]
	v_cndmask_b32_e32 v17, v17, v3, vcc_lo
	v_cndmask_b32_e64 v20, v20, v14, s4
	v_cndmask_b32_e32 v18, v18, v7, vcc_lo
	v_cmp_eq_u32_e32 vcc_lo, 4, v79
	v_cmp_eq_u32_e64 s4, 5, v79
	v_cmp_eq_u32_e64 s3, 2, v81
	v_cndmask_b32_e64 v21, v21, v2, s7
	v_cmp_eq_u32_e64 s5, 5, v78
	v_cndmask_b32_e32 v19, v19, v3, vcc_lo
	v_cndmask_b32_e32 v20, v20, v7, vcc_lo
	v_cmp_eq_u32_e32 vcc_lo, 6, v79
	s_delay_alu instid0(VALU_DEP_4) | instskip(NEXT) | instid1(VALU_DEP_4)
	v_cndmask_b32_e64 v17, v17, v11, s5
	v_cndmask_b32_e64 v19, v19, v11, s4
	s_delay_alu instid0(VALU_DEP_4) | instskip(SKIP_1) | instid1(VALU_DEP_3)
	v_cndmask_b32_e64 v20, v20, v15, s4
	v_cmp_eq_u32_e64 s4, 1, v81
	v_cndmask_b32_e32 v19, v19, v4, vcc_lo
	v_cndmask_b32_e64 v18, v18, v15, s5
	s_delay_alu instid0(VALU_DEP_3)
	v_cndmask_b32_e64 v1, v1, v9, s4
	v_cndmask_b32_e64 v5, v5, v13, s4
	v_cmp_eq_u32_e64 s4, 3, v77
	v_cndmask_b32_e64 v13, v22, v6, s7
	v_cmp_eq_u32_e64 s7, 3, v81
	v_cndmask_b32_e64 v1, v1, v2, s3
	v_cndmask_b32_e64 v2, v5, v6, s3
	;; [unrolled: 1-line block ×3, first 2 shown]
	v_cmp_eq_u32_e64 s3, 4, v77
	v_cndmask_b32_e64 v6, v13, v14, s4
	v_cndmask_b32_e64 v1, v1, v10, s7
	v_cmp_eq_u32_e64 s4, 4, v81
	v_cndmask_b32_e64 v2, v2, v14, s7
	v_cndmask_b32_e64 v5, v9, v3, s3
	;; [unrolled: 3-line block ×3, first 2 shown]
	v_cndmask_b32_e64 v2, v2, v7, s4
	v_cmp_eq_u32_e64 s3, 5, v81
	v_cmp_eq_u32_e64 s5, 6, v78
	v_cndmask_b32_e64 v5, v5, v11, s7
	v_cmp_eq_u32_e64 s4, 6, v77
	v_cndmask_b32_e64 v3, v6, v15, s7
	v_cndmask_b32_e64 v1, v1, v11, s3
	v_cmp_eq_u32_e64 s7, 6, v81
	v_cndmask_b32_e64 v2, v2, v15, s3
	v_cndmask_b32_e64 v17, v17, v4, s5
	v_cndmask_b32_e64 v18, v18, v8, s5
	v_cmp_eq_u32_e64 s5, 7, v78
	v_cndmask_b32_e64 v5, v5, v4, s4
	;; [unrolled: 4-line block ×3, first 2 shown]
	v_cmp_eq_u32_e64 s4, 7, v77
	v_cndmask_b32_e32 v4, v20, v8, vcc_lo
	v_cndmask_b32_e64 v17, v17, v12, s5
	v_cndmask_b32_e64 v19, v19, v12, s6
	;; [unrolled: 1-line block ×8, first 2 shown]
	v_cmp_gt_u32_e32 vcc_lo, 32, v0
	v_perm_b32 v4, v2, v1, 0x5040100
	v_perm_b32 v3, v3, v5, 0x5040100
	;; [unrolled: 1-line block ×4, first 2 shown]
	s_and_b32 s2, vcc_lo, s2
	ds_store_b128 v76, v[1:4]
	s_waitcnt lgkmcnt(0)
	s_barrier
	buffer_gl0_inv
	s_and_saveexec_b32 s3, s2
	s_cbranch_execz .LBB1781_2
; %bb.111:
	s_load_b64 s[0:1], s[0:1], 0x68
	s_lshl_b32 s4, s34, 6
	v_or_b32_e32 v2, s31, v75
	s_mul_i32 s2, s4, s30
	v_lshlrev_b32_e32 v1, 10, v0
	s_mul_i32 s2, s2, s8
	v_lshlrev_b32_e32 v3, 4, v74
	v_mul_lo_u32 v0, v2, s4
	s_ashr_i32 s3, s2, 31
	v_lshlrev_b32_e32 v4, 6, v75
	v_and_b32_e32 v1, 0x3800, v1
	v_or_b32_e32 v5, 2, v2
	s_lshl_b64 s[2:3], s[2:3], 1
	v_or_b32_e32 v6, 4, v2
	v_or_b32_e32 v7, 6, v2
	v_or3_b32 v12, v1, v3, v4
	v_ashrrev_i32_e32 v1, 31, v0
	v_mul_lo_u32 v2, v5, s4
	v_mul_lo_u32 v16, v6, s4
	;; [unrolled: 1-line block ×3, first 2 shown]
	s_waitcnt lgkmcnt(0)
	s_add_u32 s2, s0, s2
	s_addc_u32 s3, s1, s3
	s_lshl_b32 s0, s14, 6
	v_lshlrev_b64 v[0:1], 1, v[0:1]
	s_ashr_i32 s1, s0, 31
	v_ashrrev_i32_e32 v3, 31, v2
	s_lshl_b64 s[0:1], s[0:1], 1
	v_ashrrev_i32_e32 v17, 31, v16
	s_add_u32 s0, s2, s0
	s_addc_u32 s1, s3, s1
	v_add_co_u32 v24, s0, s0, v73
	s_delay_alu instid0(VALU_DEP_1) | instskip(SKIP_1) | instid1(VALU_DEP_3)
	v_add_co_ci_u32_e64 v25, null, s1, 0, s0
	v_lshlrev_b64 v[22:23], 1, v[2:3]
	v_add_co_u32 v18, vcc_lo, v24, v0
	s_delay_alu instid0(VALU_DEP_3)
	v_add_co_ci_u32_e32 v19, vcc_lo, v25, v1, vcc_lo
	ds_load_b128 v[0:3], v12
	ds_load_b128 v[4:7], v12 offset:128
	ds_load_b128 v[8:11], v12 offset:256
	;; [unrolled: 1-line block ×3, first 2 shown]
	v_ashrrev_i32_e32 v21, 31, v20
	v_lshlrev_b64 v[16:17], 1, v[16:17]
	v_add_co_u32 v22, vcc_lo, v24, v22
	v_add_co_ci_u32_e32 v23, vcc_lo, v25, v23, vcc_lo
	s_delay_alu instid0(VALU_DEP_4) | instskip(NEXT) | instid1(VALU_DEP_4)
	v_lshlrev_b64 v[20:21], 1, v[20:21]
	v_add_co_u32 v16, vcc_lo, v24, v16
	v_add_co_ci_u32_e32 v17, vcc_lo, v25, v17, vcc_lo
	s_delay_alu instid0(VALU_DEP_3) | instskip(NEXT) | instid1(VALU_DEP_4)
	v_add_co_u32 v20, vcc_lo, v24, v20
	v_add_co_ci_u32_e32 v21, vcc_lo, v25, v21, vcc_lo
	s_waitcnt lgkmcnt(3)
	global_store_b128 v[18:19], v[0:3], off
	s_waitcnt lgkmcnt(2)
	global_store_b128 v[22:23], v[4:7], off
	;; [unrolled: 2-line block ×4, first 2 shown]
	s_nop 0
	s_sendmsg sendmsg(MSG_DEALLOC_VGPRS)
	s_endpgm
	.section	.rodata,"a",@progbits
	.p2align	6, 0x0
	.amdhsa_kernel _Z39paged_attention_ll4mi_QKV_mfma16_kernelI14__hip_bfloat16hLN4vllm18Fp8KVCacheDataTypeE1ES0_Li32ELi64ELi256ELb0ELi8EL8MFMAType0EEvPKT_PKT0_S9_ifPKiSB_SB_iPKfiiiPfSE_PS4_PT2_iSD_SD_
		.amdhsa_group_segment_fixed_size 17472
		.amdhsa_private_segment_fixed_size 0
		.amdhsa_kernarg_size 400
		.amdhsa_user_sgpr_count 13
		.amdhsa_user_sgpr_dispatch_ptr 0
		.amdhsa_user_sgpr_queue_ptr 0
		.amdhsa_user_sgpr_kernarg_segment_ptr 1
		.amdhsa_user_sgpr_dispatch_id 0
		.amdhsa_user_sgpr_private_segment_size 0
		.amdhsa_wavefront_size32 1
		.amdhsa_uses_dynamic_stack 0
		.amdhsa_enable_private_segment 0
		.amdhsa_system_sgpr_workgroup_id_x 1
		.amdhsa_system_sgpr_workgroup_id_y 1
		.amdhsa_system_sgpr_workgroup_id_z 1
		.amdhsa_system_sgpr_workgroup_info 0
		.amdhsa_system_vgpr_workitem_id 0
		.amdhsa_next_free_vgpr 124
		.amdhsa_next_free_sgpr 40
		.amdhsa_reserve_vcc 1
		.amdhsa_float_round_mode_32 0
		.amdhsa_float_round_mode_16_64 0
		.amdhsa_float_denorm_mode_32 3
		.amdhsa_float_denorm_mode_16_64 3
		.amdhsa_dx10_clamp 1
		.amdhsa_ieee_mode 1
		.amdhsa_fp16_overflow 0
		.amdhsa_workgroup_processor_mode 1
		.amdhsa_memory_ordered 1
		.amdhsa_forward_progress 0
		.amdhsa_shared_vgpr_count 0
		.amdhsa_exception_fp_ieee_invalid_op 0
		.amdhsa_exception_fp_denorm_src 0
		.amdhsa_exception_fp_ieee_div_zero 0
		.amdhsa_exception_fp_ieee_overflow 0
		.amdhsa_exception_fp_ieee_underflow 0
		.amdhsa_exception_fp_ieee_inexact 0
		.amdhsa_exception_int_div_zero 0
	.end_amdhsa_kernel
	.section	.text._Z39paged_attention_ll4mi_QKV_mfma16_kernelI14__hip_bfloat16hLN4vllm18Fp8KVCacheDataTypeE1ES0_Li32ELi64ELi256ELb0ELi8EL8MFMAType0EEvPKT_PKT0_S9_ifPKiSB_SB_iPKfiiiPfSE_PS4_PT2_iSD_SD_,"axG",@progbits,_Z39paged_attention_ll4mi_QKV_mfma16_kernelI14__hip_bfloat16hLN4vllm18Fp8KVCacheDataTypeE1ES0_Li32ELi64ELi256ELb0ELi8EL8MFMAType0EEvPKT_PKT0_S9_ifPKiSB_SB_iPKfiiiPfSE_PS4_PT2_iSD_SD_,comdat
.Lfunc_end1781:
	.size	_Z39paged_attention_ll4mi_QKV_mfma16_kernelI14__hip_bfloat16hLN4vllm18Fp8KVCacheDataTypeE1ES0_Li32ELi64ELi256ELb0ELi8EL8MFMAType0EEvPKT_PKT0_S9_ifPKiSB_SB_iPKfiiiPfSE_PS4_PT2_iSD_SD_, .Lfunc_end1781-_Z39paged_attention_ll4mi_QKV_mfma16_kernelI14__hip_bfloat16hLN4vllm18Fp8KVCacheDataTypeE1ES0_Li32ELi64ELi256ELb0ELi8EL8MFMAType0EEvPKT_PKT0_S9_ifPKiSB_SB_iPKfiiiPfSE_PS4_PT2_iSD_SD_
                                        ; -- End function
	.section	.AMDGPU.csdata,"",@progbits
; Kernel info:
; codeLenInByte = 8732
; NumSgprs: 42
; NumVgprs: 124
; ScratchSize: 0
; MemoryBound: 0
; FloatMode: 240
; IeeeMode: 1
; LDSByteSize: 17472 bytes/workgroup (compile time only)
; SGPRBlocks: 5
; VGPRBlocks: 15
; NumSGPRsForWavesPerEU: 42
; NumVGPRsForWavesPerEU: 124
; Occupancy: 10
; WaveLimiterHint : 1
; COMPUTE_PGM_RSRC2:SCRATCH_EN: 0
; COMPUTE_PGM_RSRC2:USER_SGPR: 13
; COMPUTE_PGM_RSRC2:TRAP_HANDLER: 0
; COMPUTE_PGM_RSRC2:TGID_X_EN: 1
; COMPUTE_PGM_RSRC2:TGID_Y_EN: 1
; COMPUTE_PGM_RSRC2:TGID_Z_EN: 1
; COMPUTE_PGM_RSRC2:TIDIG_COMP_CNT: 0
	.section	.text._Z39paged_attention_ll4mi_QKV_mfma16_kernelI14__hip_bfloat16hLN4vllm18Fp8KVCacheDataTypeE1ES0_Li32ELi64ELi256ELb0ELi9EL8MFMAType0EEvPKT_PKT0_S9_ifPKiSB_SB_iPKfiiiPfSE_PS4_PT2_iSD_SD_,"axG",@progbits,_Z39paged_attention_ll4mi_QKV_mfma16_kernelI14__hip_bfloat16hLN4vllm18Fp8KVCacheDataTypeE1ES0_Li32ELi64ELi256ELb0ELi9EL8MFMAType0EEvPKT_PKT0_S9_ifPKiSB_SB_iPKfiiiPfSE_PS4_PT2_iSD_SD_,comdat
	.protected	_Z39paged_attention_ll4mi_QKV_mfma16_kernelI14__hip_bfloat16hLN4vllm18Fp8KVCacheDataTypeE1ES0_Li32ELi64ELi256ELb0ELi9EL8MFMAType0EEvPKT_PKT0_S9_ifPKiSB_SB_iPKfiiiPfSE_PS4_PT2_iSD_SD_ ; -- Begin function _Z39paged_attention_ll4mi_QKV_mfma16_kernelI14__hip_bfloat16hLN4vllm18Fp8KVCacheDataTypeE1ES0_Li32ELi64ELi256ELb0ELi9EL8MFMAType0EEvPKT_PKT0_S9_ifPKiSB_SB_iPKfiiiPfSE_PS4_PT2_iSD_SD_
	.globl	_Z39paged_attention_ll4mi_QKV_mfma16_kernelI14__hip_bfloat16hLN4vllm18Fp8KVCacheDataTypeE1ES0_Li32ELi64ELi256ELb0ELi9EL8MFMAType0EEvPKT_PKT0_S9_ifPKiSB_SB_iPKfiiiPfSE_PS4_PT2_iSD_SD_
	.p2align	8
	.type	_Z39paged_attention_ll4mi_QKV_mfma16_kernelI14__hip_bfloat16hLN4vllm18Fp8KVCacheDataTypeE1ES0_Li32ELi64ELi256ELb0ELi9EL8MFMAType0EEvPKT_PKT0_S9_ifPKiSB_SB_iPKfiiiPfSE_PS4_PT2_iSD_SD_,@function
_Z39paged_attention_ll4mi_QKV_mfma16_kernelI14__hip_bfloat16hLN4vllm18Fp8KVCacheDataTypeE1ES0_Li32ELi64ELi256ELb0ELi9EL8MFMAType0EEvPKT_PKT0_S9_ifPKiSB_SB_iPKfiiiPfSE_PS4_PT2_iSD_SD_: ; @_Z39paged_attention_ll4mi_QKV_mfma16_kernelI14__hip_bfloat16hLN4vllm18Fp8KVCacheDataTypeE1ES0_Li32ELi64ELi256ELb0ELi9EL8MFMAType0EEvPKT_PKT0_S9_ifPKiSB_SB_iPKfiiiPfSE_PS4_PT2_iSD_SD_
; %bb.0:
	s_load_b64 s[2:3], s[0:1], 0x30
	s_mov_b32 s34, s13
	s_waitcnt lgkmcnt(0)
	s_cmp_lg_u64 s[2:3], 0
	s_cselect_b32 s8, -1, 0
	s_ashr_i32 s35, s13, 31
	s_cmp_eq_u64 s[2:3], 0
	s_cbranch_scc1 .LBB1782_3
; %bb.1:
	s_lshl_b64 s[4:5], s[34:35], 2
	s_delay_alu instid0(SALU_CYCLE_1) | instskip(SKIP_4) | instid1(SALU_CYCLE_1)
	s_add_u32 s4, s2, s4
	s_addc_u32 s5, s3, s5
	s_load_b64 s[4:5], s[4:5], 0x0
	s_waitcnt lgkmcnt(0)
	s_sub_i32 s4, s5, s4
	s_cmp_eq_u32 s4, 1
	s_cselect_b32 s4, -1, 0
	s_delay_alu instid0(SALU_CYCLE_1)
	s_and_not1_b32 vcc_lo, exec_lo, s4
	s_cbranch_vccz .LBB1782_4
.LBB1782_2:
	s_nop 0
	s_sendmsg sendmsg(MSG_DEALLOC_VGPRS)
	s_endpgm
.LBB1782_3:
.LBB1782_4:
	s_load_b64 s[4:5], s[0:1], 0x28
	s_lshl_b64 s[6:7], s[34:35], 2
	s_waitcnt lgkmcnt(0)
	s_add_u32 s4, s4, s6
	s_addc_u32 s5, s5, s7
	s_lshl_b32 s12, s14, 8
	s_load_b32 s24, s[4:5], 0x0
	s_waitcnt lgkmcnt(0)
	s_cmp_ge_i32 s12, s24
	s_cbranch_scc1 .LBB1782_2
; %bb.5:
	s_clause 0x1
	s_load_b128 s[20:23], s[0:1], 0x8
	s_load_b64 s[4:5], s[0:1], 0x20
	s_and_not1_b32 vcc_lo, exec_lo, s8
	s_cbranch_vccnz .LBB1782_7
; %bb.6:
	s_add_u32 s2, s2, s6
	s_addc_u32 s3, s3, s7
	s_load_b32 s3, s[2:3], 0x0
	s_branch .LBB1782_8
.LBB1782_7:
	s_mov_b32 s3, s34
.LBB1782_8:
	s_load_b128 s[16:19], s[0:1], 0x48
	v_lshrrev_b32_e32 v66, 5, v0
	v_bfe_u32 v74, v0, 4, 1
	v_and_b32_e32 v65, 15, v0
	v_and_b32_e32 v67, 31, v0
	;; [unrolled: 1-line block ×3, first 2 shown]
	s_mul_i32 s31, s15, 9
	v_lshl_or_b32 v1, v66, 1, v74
	v_lshlrev_b32_e32 v2, 3, v65
	v_cmp_gt_u32_e64 s2, 8, v65
	s_delay_alu instid0(VALU_DEP_3) | instskip(NEXT) | instid1(VALU_DEP_3)
	v_cmp_gt_u32_e32 vcc_lo, 9, v1
	v_lshlrev_b32_e32 v73, 1, v2
	s_delay_alu instid0(VALU_DEP_3) | instskip(NEXT) | instid1(SALU_CYCLE_1)
	s_and_b32 s7, s2, vcc_lo
	s_and_saveexec_b32 s6, s7
	s_cbranch_execz .LBB1782_10
; %bb.9:
	s_load_b64 s[8:9], s[0:1], 0x0
	v_add_lshl_u32 v2, v1, s31, 6
	s_waitcnt lgkmcnt(0)
	s_mul_hi_i32 s11, s3, s16
	s_mul_i32 s10, s3, s16
	v_lshlrev_b32_e32 v6, 10, v65
	s_lshl_b64 s[10:11], s[10:11], 1
	v_ashrrev_i32_e32 v3, 31, v2
	v_lshlrev_b32_e32 v1, 6, v1
	v_lshlrev_b32_e32 v7, 10, v75
	v_and_b32_e32 v6, 0x3800, v6
	s_delay_alu instid0(VALU_DEP_4) | instskip(NEXT) | instid1(VALU_DEP_2)
	v_lshlrev_b64 v[2:3], 1, v[2:3]
	v_or3_b32 v1, v6, v7, v1
	s_add_u32 s3, s8, s10
	s_addc_u32 s7, s9, s11
	s_delay_alu instid0(VALU_DEP_2) | instskip(NEXT) | instid1(VALU_DEP_3)
	v_add_co_u32 v2, vcc_lo, s3, v2
	v_add_co_ci_u32_e32 v3, vcc_lo, s7, v3, vcc_lo
	s_delay_alu instid0(VALU_DEP_2) | instskip(NEXT) | instid1(VALU_DEP_2)
	v_add_co_u32 v2, vcc_lo, v2, v73
	v_add_co_ci_u32_e32 v3, vcc_lo, 0, v3, vcc_lo
	global_load_b128 v[2:5], v[2:3], off
	s_waitcnt vmcnt(0)
	ds_store_b128 v1, v[2:5]
.LBB1782_10:
	s_or_b32 exec_lo, exec_lo, s6
	v_and_b32_e32 v1, 0xef, v0
	s_waitcnt lgkmcnt(0)
	s_add_i32 s3, s24, 31
	s_clause 0x1
	s_load_b32 s6, s[0:1], 0x38
	s_load_b32 s19, s[0:1], 0x1c
	s_ashr_i32 s7, s3, 31
	v_add_nc_u32_e32 v1, s12, v1
	s_lshr_b32 s7, s7, 27
	s_waitcnt lgkmcnt(0)
	s_add_i32 s3, s3, s7
	s_barrier
	v_ashrrev_i32_e32 v2, 31, v1
	v_or_b32_e32 v3, 16, v1
	s_ashr_i32 s3, s3, 5
	v_cmp_gt_i32_e32 vcc_lo, s24, v1
	s_add_i32 s3, s3, -1
	v_lshrrev_b32_e32 v2, 27, v2
	buffer_gl0_inv
	s_mul_i32 s27, s15, s18
	v_add_nc_u32_e32 v4, v1, v2
	s_mul_i32 s6, s34, s6
	s_delay_alu instid0(SALU_CYCLE_1) | instskip(NEXT) | instid1(VALU_DEP_1)
	s_ashr_i32 s7, s6, 31
	v_ashrrev_i32_e32 v4, 5, v4
	v_add_nc_u32_e32 v2, v3, v2
	s_lshl_b64 s[6:7], s[6:7], 2
	s_delay_alu instid0(SALU_CYCLE_1) | instskip(NEXT) | instid1(VALU_DEP_2)
	s_add_u32 s26, s4, s6
	v_cndmask_b32_e32 v1, s3, v4, vcc_lo
	s_delay_alu instid0(VALU_DEP_2)
	v_ashrrev_i32_e32 v2, 5, v2
	v_cmp_gt_i32_e32 vcc_lo, s24, v3
	s_addc_u32 s25, s5, s7
	s_ashr_i32 s28, s27, 31
	s_add_u32 s4, s20, s27
	s_addc_u32 s5, s21, s28
	v_cndmask_b32_e32 v3, s3, v2, vcc_lo
	v_ashrrev_i32_e32 v2, 31, v1
	s_lshl_b32 s6, s14, 3
	s_delay_alu instid0(SALU_CYCLE_1) | instskip(NEXT) | instid1(VALU_DEP_2)
	s_ashr_i32 s7, s6, 31
	v_ashrrev_i32_e32 v4, 31, v3
	s_delay_alu instid0(VALU_DEP_2) | instskip(SKIP_1) | instid1(SALU_CYCLE_1)
	v_lshlrev_b64 v[1:2], 2, v[1:2]
	s_lshl_b64 s[6:7], s[6:7], 2
	s_add_u32 s6, s26, s6
	s_delay_alu instid0(VALU_DEP_2) | instskip(SKIP_1) | instid1(VALU_DEP_2)
	v_lshlrev_b64 v[3:4], 2, v[3:4]
	s_addc_u32 s7, s25, s7
	v_add_co_u32 v1, vcc_lo, s26, v1
	v_add_co_ci_u32_e32 v2, vcc_lo, s25, v2, vcc_lo
	s_delay_alu instid0(VALU_DEP_3) | instskip(NEXT) | instid1(VALU_DEP_4)
	v_add_co_u32 v3, vcc_lo, s26, v3
	v_add_co_ci_u32_e32 v4, vcc_lo, s25, v4, vcc_lo
	s_clause 0x1
	global_load_b32 v5, v[1:2], off
	global_load_b32 v6, v[3:4], off
	s_or_b32 s8, s12, 32
	s_delay_alu instid0(SALU_CYCLE_1) | instskip(SKIP_2) | instid1(SALU_CYCLE_1)
	s_ashr_i32 s9, s8, 5
	s_cmp_lt_i32 s8, s24
	s_cselect_b32 s8, s9, s3
	s_ashr_i32 s9, s8, 31
	s_delay_alu instid0(SALU_CYCLE_1) | instskip(NEXT) | instid1(SALU_CYCLE_1)
	s_lshl_b64 s[8:9], s[8:9], 2
	s_add_u32 s8, s26, s8
	s_addc_u32 s9, s25, s9
	s_or_b32 s10, s12, 64
	s_delay_alu instid0(SALU_CYCLE_1) | instskip(SKIP_2) | instid1(SALU_CYCLE_1)
	s_ashr_i32 s11, s10, 5
	s_cmp_lt_i32 s10, s24
	s_cselect_b32 s10, s11, s3
	s_ashr_i32 s11, s10, 31
	s_delay_alu instid0(SALU_CYCLE_1) | instskip(NEXT) | instid1(SALU_CYCLE_1)
	s_lshl_b64 s[10:11], s[10:11], 2
	s_add_u32 s10, s26, s10
	s_addc_u32 s11, s25, s11
	;; [unrolled: 10-line block ×5, first 2 shown]
	s_clause 0x5
	s_load_b32 s21, s[6:7], 0x0
	s_load_b32 s13, s[8:9], 0x0
	;; [unrolled: 1-line block ×6, first 2 shown]
	s_or_b32 s8, s12, 0xc0
	s_delay_alu instid0(SALU_CYCLE_1) | instskip(SKIP_2) | instid1(SALU_CYCLE_1)
	s_ashr_i32 s9, s8, 5
	s_cmp_lt_i32 s8, s24
	s_cselect_b32 s36, s9, s3
	s_ashr_i32 s37, s36, 31
	s_delay_alu instid0(SALU_CYCLE_1) | instskip(NEXT) | instid1(SALU_CYCLE_1)
	s_lshl_b64 s[36:37], s[36:37], 2
	s_add_u32 s36, s26, s36
	s_addc_u32 s37, s25, s37
	s_or_b32 s29, s12, 0xe0
	s_delay_alu instid0(SALU_CYCLE_1)
	s_ashr_i32 s30, s29, 5
	s_cmp_lt_i32 s29, s24
	s_waitcnt vmcnt(1)
	v_mad_i64_i32 v[1:2], null, v5, s17, s[4:5]
	s_waitcnt vmcnt(0)
	v_mad_i64_i32 v[3:4], null, v6, s17, s[4:5]
	s_mov_b32 s4, 0
	s_delay_alu instid0(SALU_CYCLE_1)
	s_mov_b32 s5, s4
	s_mov_b32 s6, s4
	;; [unrolled: 1-line block ×7, first 2 shown]
	v_lshlrev_b32_e32 v5, 4, v65
	v_dual_mov_b32 v107, s11 :: v_dual_mov_b32 v102, s6
	v_mov_b32_e32 v100, s4
	v_mov_b32_e32 v106, s10
	s_delay_alu instid0(VALU_DEP_4)
	v_add_co_u32 v1, vcc_lo, v1, v5
	v_add_co_ci_u32_e32 v2, vcc_lo, 0, v2, vcc_lo
	v_add_co_u32 v3, vcc_lo, v3, v5
	v_add_co_ci_u32_e32 v4, vcc_lo, 0, v4, vcc_lo
	s_clause 0x7
	global_load_b128 v[49:52], v[1:2], off
	global_load_b128 v[53:56], v[1:2], off offset:512
	global_load_b128 v[76:79], v[3:4], off offset:256
	;; [unrolled: 1-line block ×7, first 2 shown]
	v_add_nc_u32_e32 v1, -9, v65
	v_cmp_gt_u32_e32 vcc_lo, 9, v65
	v_dual_mov_b32 v104, s8 :: v_dual_mov_b32 v103, s7
	v_dual_mov_b32 v101, s5 :: v_dual_lshlrev_b32 v2, 5, v65
	s_delay_alu instid0(VALU_DEP_4)
	v_cndmask_b32_e32 v1, v1, v65, vcc_lo
	v_mov_b32_e32 v105, s9
	s_cselect_b32 s4, s30, s3
	s_load_b32 s3, s[36:37], 0x0
	s_ashr_i32 s5, s4, 31
	v_lshlrev_b32_e32 v70, 6, v1
	s_lshl_b64 s[4:5], s[4:5], 2
	v_lshl_or_b32 v2, v66, 9, v2
	s_add_u32 s4, s26, s4
	s_addc_u32 s5, s25, s5
	ds_load_b128 v[108:111], v70
	ds_load_b128 v[112:115], v70 offset:1024
	s_load_b32 s4, s[4:5], 0x0
	s_add_u32 s6, s22, s27
	s_addc_u32 s7, s23, s28
	v_add_co_u32 v9, s6, s6, v2
	s_delay_alu instid0(VALU_DEP_1) | instskip(SKIP_1) | instid1(VALU_DEP_1)
	v_add_co_ci_u32_e64 v10, null, s7, 0, s6
	s_waitcnt lgkmcnt(0)
	v_mad_i64_i32 v[1:2], null, s21, s17, v[9:10]
	v_mad_i64_i32 v[3:4], null, s13, s17, v[9:10]
	;; [unrolled: 1-line block ×7, first 2 shown]
	s_clause 0x9
	global_load_b128 v[57:60], v[1:2], off
	global_load_b128 v[61:64], v[1:2], off offset:16
	global_load_b128 v[41:44], v[3:4], off
	global_load_b128 v[45:48], v[3:4], off offset:16
	;; [unrolled: 2-line block ×5, first 2 shown]
	v_mad_i64_i32 v[68:69], null, s4, s17, v[9:10]
	s_clause 0x3
	global_load_b128 v[9:12], v[13:14], off
	global_load_b128 v[13:16], v[13:14], off offset:16
	global_load_b128 v[17:20], v[21:22], off
	global_load_b128 v[21:24], v[21:22], off offset:16
	s_waitcnt vmcnt(20)
	v_wmma_f32_16x16x16_bf16 v[116:123], v[49:56], v[108:115], v[100:107]
	s_clause 0x1
	global_load_b128 v[49:52], v[68:69], off
	global_load_b128 v[53:56], v[68:69], off offset:16
	v_and_b32_e32 v68, 0xe0, v0
	v_mbcnt_lo_u32_b32 v69, -1, 0
	s_delay_alu instid0(VALU_DEP_2)
	v_add_nc_u32_e32 v68, s12, v68
	s_waitcnt vmcnt(20)
	v_wmma_f32_16x16x16_bf16 v[100:107], v[76:83], v[108:115], v[100:107]
	ds_load_b128 v[76:79], v70 offset:2048
	ds_load_b128 v[80:83], v70 offset:3072
	v_xor_b32_e32 v70, 16, v69
	s_waitcnt vmcnt(0) lgkmcnt(0)
	v_or_b32_e32 v68, v68, v74
	s_barrier
	buffer_gl0_inv
	v_cmp_gt_i32_e32 vcc_lo, 32, v70
	v_or_b32_e32 v71, 4, v68
	v_or_b32_e32 v72, 6, v68
	v_cmp_gt_i32_e64 s3, s24, v68
	v_or_b32_e32 v108, 8, v68
	v_or_b32_e32 v109, 10, v68
	v_cmp_gt_i32_e64 s4, s24, v71
	v_cmp_gt_i32_e64 s5, s24, v72
	s_delay_alu instid0(VALU_DEP_4) | instskip(NEXT) | instid1(VALU_DEP_4)
	v_cmp_gt_i32_e64 s6, s24, v108
	v_cmp_gt_i32_e64 s7, s24, v109
	v_wmma_f32_16x16x16_bf16 v[116:123], v[84:91], v[76:83], v[116:123]
	v_cndmask_b32_e32 v69, v69, v70, vcc_lo
	v_or_b32_e32 v70, 2, v68
	v_wmma_f32_16x16x16_bf16 v[100:107], v[92:99], v[76:83], v[100:107]
	v_or_b32_e32 v89, 22, v68
	v_dual_mul_f32 v80, s19, v121 :: v_dual_mul_f32 v81, s19, v120
	v_dual_mul_f32 v92, s19, v117 :: v_dual_mul_f32 v93, s19, v116
	s_delay_alu instid0(VALU_DEP_4)
	v_mul_f32_e32 v96, s19, v105
	v_cmp_gt_i32_e32 vcc_lo, s24, v70
	v_dual_mul_f32 v79, s19, v122 :: v_dual_mul_f32 v82, s19, v119
	v_dual_mul_f32 v83, s19, v118 :: v_dual_mul_f32 v94, s19, v107
	v_cndmask_b32_e64 v93, 0xff7fffff, v93, s3
	v_cndmask_b32_e32 v92, 0xff7fffff, v92, vcc_lo
	v_or_b32_e32 v84, 12, v68
	v_or_b32_e32 v85, 14, v68
	v_cndmask_b32_e64 v71, 0xff7fffff, v83, s4
	v_cndmask_b32_e64 v72, 0xff7fffff, v82, s5
	v_cmp_gt_i32_e64 s13, s24, v89
	v_lshlrev_b32_e32 v89, 2, v69
	v_max3_f32 v82, v93, 0xff7fffff, v92
	v_or_b32_e32 v86, 16, v68
	v_or_b32_e32 v87, 18, v68
	v_mul_f32_e32 v78, s19, v123
	v_cndmask_b32_e64 v81, 0xff7fffff, v81, s6
	v_cndmask_b32_e64 v80, 0xff7fffff, v80, s7
	v_max3_f32 v71, v82, v71, v72
	v_cmp_gt_i32_e64 s8, s24, v84
	v_cmp_gt_i32_e64 s9, s24, v85
	v_or_b32_e32 v88, 20, v68
	v_or_b32_e32 v90, 24, v68
	v_or_b32_e32 v91, 26, v68
	v_or_b32_e32 v76, 28, v68
	v_or_b32_e32 v77, 30, v68
	v_dual_mul_f32 v97, s19, v104 :: v_dual_mul_f32 v70, s19, v101
	v_dual_mul_f32 v99, s19, v102 :: v_dual_mul_f32 v68, s19, v100
	v_cndmask_b32_e64 v72, 0xff7fffff, v79, s8
	v_cndmask_b32_e64 v78, 0xff7fffff, v78, s9
	v_max3_f32 v71, v71, v81, v80
	v_cmp_gt_i32_e64 s10, s24, v86
	v_cmp_gt_i32_e64 s11, s24, v87
	v_dual_mul_f32 v95, s19, v106 :: v_dual_mul_f32 v98, s19, v103
	s_delay_alu instid0(VALU_DEP_4) | instskip(NEXT) | instid1(VALU_DEP_4)
	v_max3_f32 v71, v71, v72, v78
	v_cndmask_b32_e64 v68, 0xff7fffff, v68, s10
	s_delay_alu instid0(VALU_DEP_4)
	v_cndmask_b32_e64 v70, 0xff7fffff, v70, s11
	v_cmp_gt_i32_e64 s12, s24, v88
	v_cndmask_b32_e64 v78, 0xff7fffff, v98, s13
	v_cmp_gt_i32_e64 s15, s24, v90
	v_cmp_gt_i32_e64 s16, s24, v91
	v_max3_f32 v68, v71, v68, v70
	v_cndmask_b32_e64 v72, 0xff7fffff, v99, s12
	v_cmp_gt_i32_e64 s17, s24, v76
	v_cndmask_b32_e64 v70, 0xff7fffff, v97, s15
	v_cndmask_b32_e64 v71, 0xff7fffff, v96, s16
	v_cmp_gt_i32_e64 s18, s24, v77
	v_max3_f32 v68, v68, v72, v78
	v_cndmask_b32_e64 v72, 0xff7fffff, v95, s17
	s_delay_alu instid0(VALU_DEP_3) | instskip(NEXT) | instid1(VALU_DEP_3)
	v_cndmask_b32_e64 v76, 0xff7fffff, v94, s18
	v_max3_f32 v68, v68, v70, v71
	s_delay_alu instid0(VALU_DEP_1) | instskip(SKIP_3) | instid1(VALU_DEP_1)
	v_max3_f32 v68, v68, v72, v76
	ds_bpermute_b32 v69, v89, v68
	s_waitcnt lgkmcnt(0)
	v_max_f32_e32 v69, v69, v69
	v_max_f32_e32 v68, v68, v69
	s_delay_alu instid0(VALU_DEP_1) | instskip(NEXT) | instid1(VALU_DEP_1)
	v_fma_f32 v71, s19, v118, -v68
	v_mul_f32_e32 v71, 0x3fb8aa3b, v71
	v_fma_f32 v70, s19, v117, -v68
	v_fma_f32 v69, s19, v116, -v68
	;; [unrolled: 1-line block ×5, first 2 shown]
	s_delay_alu instid0(VALU_DEP_4) | instskip(SKIP_1) | instid1(VALU_DEP_3)
	v_dual_mul_f32 v70, 0x3fb8aa3b, v70 :: v_dual_mul_f32 v69, 0x3fb8aa3b, v69
	v_exp_f32_e32 v71, v71
	v_mul_f32_e32 v72, 0x3fb8aa3b, v72
	v_fma_f32 v81, s19, v105, -v68
	s_delay_alu instid0(VALU_DEP_3)
	v_exp_f32_e32 v70, v70
	v_mul_f32_e32 v77, 0x3fb8aa3b, v76
	v_exp_f32_e32 v69, v69
	v_exp_f32_e32 v72, v72
	v_mul_f32_e32 v81, 0x3fb8aa3b, v81
	v_cndmask_b32_e64 v83, 0, v71, s4
	v_fma_f32 v71, s19, v123, -v68
	s_delay_alu instid0(VALU_DEP_3) | instskip(SKIP_4) | instid1(TRANS32_DEP_3)
	v_exp_f32_e32 v81, v81
	v_cndmask_b32_e32 v76, 0, v70, vcc_lo
	v_exp_f32_e32 v77, v77
	v_cndmask_b32_e64 v80, 0, v69, s3
	v_fma_f32 v69, s19, v121, -v68
	v_cndmask_b32_e64 v85, 0, v72, s5
	v_mul_f32_e32 v71, 0x3fb8aa3b, v71
	v_fma_f32 v72, s19, v100, -v68
	s_delay_alu instid0(VALU_DEP_4) | instskip(SKIP_1) | instid1(VALU_DEP_4)
	v_dual_add_f32 v70, 0, v80 :: v_dual_mul_f32 v69, 0x3fb8aa3b, v69
	v_cmp_gt_u32_e64 s3, 16, v67
	v_exp_f32_e32 v71, v71
	s_delay_alu instid0(TRANS32_DEP_2) | instskip(SKIP_4) | instid1(VALU_DEP_3)
	v_cndmask_b32_e64 v86, 0, v77, s6
	v_fma_f32 v77, s19, v101, -v68
	v_mul_f32_e32 v78, 0x3fb8aa3b, v78
	v_add_f32_e32 v70, v70, v76
	v_exp_f32_e32 v69, v69
	v_mul_f32_e32 v77, 0x3fb8aa3b, v77
	s_delay_alu instid0(VALU_DEP_3) | instskip(NEXT) | instid1(TRANS32_DEP_3)
	v_exp_f32_e32 v78, v78
	v_cndmask_b32_e64 v88, 0, v71, s9
	v_fma_f32 v71, s19, v104, -v68
	s_delay_alu instid0(VALU_DEP_3) | instskip(NEXT) | instid1(TRANS32_DEP_3)
	v_exp_f32_e32 v77, v77
	v_cndmask_b32_e64 v87, 0, v69, s7
	s_delay_alu instid0(VALU_DEP_2)
	v_mul_f32_e32 v71, 0x3fb8aa3b, v71
	s_waitcnt_depctr 0xfff
	v_cndmask_b32_e64 v84, 0, v78, s8
	v_add_f32_e32 v70, v70, v83
	v_fma_f32 v78, s19, v103, -v68
	v_exp_f32_e32 v82, v71
	s_delay_alu instid0(VALU_DEP_2) | instskip(SKIP_1) | instid1(VALU_DEP_3)
	v_add_f32_e32 v70, v70, v85
	v_mul_f32_e32 v72, 0x3fb8aa3b, v72
	v_mul_f32_e32 v78, 0x3fb8aa3b, v78
	s_delay_alu instid0(VALU_DEP_3) | instskip(SKIP_1) | instid1(VALU_DEP_4)
	v_add_f32_e32 v69, v70, v86
	v_fma_f32 v70, s19, v102, -v68
	v_exp_f32_e32 v72, v72
	s_delay_alu instid0(VALU_DEP_3) | instskip(NEXT) | instid1(VALU_DEP_1)
	v_exp_f32_e32 v78, v78
	v_dual_add_f32 v69, v69, v87 :: v_dual_mul_f32 v70, 0x3fb8aa3b, v70
	s_delay_alu instid0(VALU_DEP_1) | instskip(NEXT) | instid1(VALU_DEP_2)
	v_add_f32_e32 v69, v69, v84
	v_exp_f32_e32 v79, v70
	s_delay_alu instid0(TRANS32_DEP_3) | instskip(NEXT) | instid1(VALU_DEP_2)
	v_cndmask_b32_e64 v70, 0, v72, s10
	v_add_f32_e32 v72, v69, v88
	v_cndmask_b32_e64 v69, 0, v77, s11
	v_fma_f32 v77, s19, v106, -v68
	s_waitcnt_depctr 0xfff
	v_cndmask_b32_e64 v71, 0, v79, s12
	v_dual_mul_f32 v77, 0x3fb8aa3b, v77 :: v_dual_add_f32 v72, v72, v70
	s_delay_alu instid0(VALU_DEP_1) | instskip(NEXT) | instid1(VALU_DEP_1)
	v_exp_f32_e32 v90, v77
	v_add_f32_e32 v79, v72, v69
	v_cndmask_b32_e64 v72, 0, v78, s13
	v_cndmask_b32_e64 v77, 0, v82, s15
	s_delay_alu instid0(VALU_DEP_3) | instskip(SKIP_1) | instid1(VALU_DEP_1)
	v_add_f32_e32 v78, v79, v71
	v_fma_f32 v79, s19, v107, -v68
	v_dual_add_f32 v82, v78, v72 :: v_dual_mul_f32 v79, 0x3fb8aa3b, v79
	v_cndmask_b32_e64 v78, 0, v81, s16
	s_delay_alu instid0(VALU_DEP_2) | instskip(NEXT) | instid1(VALU_DEP_3)
	v_add_f32_e32 v81, v82, v77
	v_exp_f32_e32 v82, v79
	v_cndmask_b32_e64 v79, 0, v90, s17
	s_delay_alu instid0(VALU_DEP_2) | instskip(NEXT) | instid1(VALU_DEP_1)
	v_add_f32_e32 v81, v81, v78
	v_add_f32_e32 v90, v81, v79
	s_waitcnt_depctr 0xfff
	v_cndmask_b32_e64 v81, 0, v82, s18
	s_delay_alu instid0(VALU_DEP_1)
	v_add_f32_e32 v82, v90, v81
	ds_bpermute_b32 v89, v89, v82
	s_and_saveexec_b32 s4, s3
	s_cbranch_execz .LBB1782_12
; %bb.11:
	v_mul_u32_u24_e32 v67, 0x44, v66
	s_delay_alu instid0(VALU_DEP_1) | instskip(SKIP_1) | instid1(VALU_DEP_1)
	v_lshl_add_u32 v67, v65, 2, v67
	s_waitcnt lgkmcnt(0)
	v_dual_add_f32 v82, v82, v89 :: v_dual_add_nc_u32 v67, 0x4000, v67
	ds_store_2addr_b32 v67, v68, v82 offset1:136
.LBB1782_12:
	s_or_b32 exec_lo, exec_lo, s4
	v_lshlrev_b32_e32 v67, 2, v65
	s_waitcnt lgkmcnt(0)
	s_barrier
	buffer_gl0_inv
	v_cmp_eq_u32_e32 vcc_lo, 1, v66
	v_add_nc_u32_e32 v82, 0x4000, v67
	v_cmp_eq_u32_e64 s4, 2, v66
	v_cmp_eq_u32_e64 s6, 7, v66
	ds_load_2addr_b32 v[89:90], v82 offset1:17
	ds_load_2addr_b32 v[91:92], v82 offset0:34 offset1:51
	ds_load_2addr_b32 v[93:94], v82 offset0:68 offset1:85
	;; [unrolled: 1-line block ×4, first 2 shown]
	s_waitcnt lgkmcnt(4)
	v_max3_f32 v67, v89, 0xff7fffff, v90
	s_waitcnt lgkmcnt(3)
	s_delay_alu instid0(VALU_DEP_1) | instskip(SKIP_1) | instid1(VALU_DEP_1)
	v_max3_f32 v67, v67, v91, v92
	s_waitcnt lgkmcnt(2)
	v_max3_f32 v67, v67, v93, v94
	s_waitcnt lgkmcnt(1)
	s_delay_alu instid0(VALU_DEP_1) | instskip(NEXT) | instid1(VALU_DEP_1)
	v_max3_f32 v67, v67, v95, v96
	v_sub_f32_e32 v93, v93, v67
	s_delay_alu instid0(VALU_DEP_1) | instskip(NEXT) | instid1(VALU_DEP_1)
	v_dual_sub_f32 v68, v89, v67 :: v_dual_mul_f32 v103, 0x3fb8aa3b, v93
	v_mul_f32_e32 v68, 0x3fb8aa3b, v68
	s_delay_alu instid0(VALU_DEP_1)
	v_exp_f32_e32 v100, v68
	v_sub_f32_e32 v68, v92, v67
	v_sub_f32_e32 v99, v90, v67
	ds_load_2addr_b32 v[89:90], v82 offset0:170 offset1:187
	v_dual_mul_f32 v102, 0x3fb8aa3b, v68 :: v_dual_mul_f32 v99, 0x3fb8aa3b, v99
	s_waitcnt lgkmcnt(1)
	v_fma_f32 v68, v100, v97, 0
	s_delay_alu instid0(VALU_DEP_2) | instskip(NEXT) | instid1(VALU_DEP_2)
	v_exp_f32_e32 v102, v102
	v_exp_f32_e32 v99, v99
	s_waitcnt_depctr 0xfff
	v_fmac_f32_e32 v68, v99, v98
	v_sub_f32_e32 v91, v91, v67
	s_delay_alu instid0(VALU_DEP_1)
	v_mul_f32_e32 v101, 0x3fb8aa3b, v91
	ds_load_2addr_b32 v[91:92], v82 offset0:204 offset1:221
	v_sub_f32_e32 v97, v94, v67
	ds_load_2addr_b32 v[93:94], v82 offset0:238 offset1:255
	s_waitcnt lgkmcnt(0)
	v_exp_f32_e32 v101, v101
	s_barrier
	buffer_gl0_inv
	v_dual_fmac_f32 v68, v101, v89 :: v_dual_sub_f32 v89, v96, v67
	v_dual_sub_f32 v82, v95, v67 :: v_dual_mul_f32 v95, 0x3fb8aa3b, v97
	v_exp_f32_e32 v97, v103
	s_delay_alu instid0(VALU_DEP_2) | instskip(NEXT) | instid1(VALU_DEP_2)
	v_dual_fmac_f32 v68, v102, v90 :: v_dual_mul_f32 v89, 0x3fb8aa3b, v89
	v_mul_f32_e32 v82, 0x3fb8aa3b, v82
	s_delay_alu instid0(VALU_DEP_3) | instskip(NEXT) | instid1(VALU_DEP_2)
	v_exp_f32_e32 v95, v95
	v_exp_f32_e32 v89, v89
	s_delay_alu instid0(VALU_DEP_1)
	v_exp_f32_e32 v82, v82
	v_fmac_f32_e32 v68, v97, v91
	s_delay_alu instid0(TRANS32_DEP_3) | instid1(VALU_DEP_1)
	v_fmac_f32_e32 v68, v95, v92
	s_waitcnt_depctr 0xfff
	v_fmac_f32_e32 v68, v82, v93
	s_delay_alu instid0(VALU_DEP_1) | instskip(NEXT) | instid1(VALU_DEP_1)
	v_fmac_f32_e32 v68, v89, v94
	v_add_f32_e32 v90, 0x358637bd, v68
	s_delay_alu instid0(VALU_DEP_1) | instskip(NEXT) | instid1(VALU_DEP_1)
	v_div_scale_f32 v91, null, v90, v90, 1.0
	v_rcp_f32_e32 v92, v91
	s_waitcnt_depctr 0xfff
	v_fma_f32 v93, -v91, v92, 1.0
	s_delay_alu instid0(VALU_DEP_1) | instskip(SKIP_1) | instid1(VALU_DEP_2)
	v_dual_fmac_f32 v92, v93, v92 :: v_dual_cndmask_b32 v93, v100, v99
	v_cmp_eq_u32_e32 vcc_lo, 3, v66
	v_cndmask_b32_e64 v93, v93, v101, s4
	v_cmp_eq_u32_e64 s4, 4, v66
	s_delay_alu instid0(VALU_DEP_2) | instskip(SKIP_1) | instid1(VALU_DEP_2)
	v_cndmask_b32_e32 v93, v93, v102, vcc_lo
	v_cmp_eq_u32_e32 vcc_lo, 5, v66
	v_cndmask_b32_e64 v93, v93, v97, s4
	v_cmp_eq_u32_e64 s4, 6, v66
	s_delay_alu instid0(VALU_DEP_2) | instskip(SKIP_1) | instid1(VALU_DEP_1)
	v_cndmask_b32_e32 v93, v93, v95, vcc_lo
	v_div_scale_f32 v94, s5, 1.0, v90, 1.0
	s_mov_b32 vcc_lo, s5
	s_delay_alu instid0(VALU_DEP_2) | instskip(NEXT) | instid1(VALU_DEP_2)
	v_cndmask_b32_e64 v82, v93, v82, s4
	v_mul_f32_e32 v96, v94, v92
	s_mov_b32 s4, exec_lo
	s_delay_alu instid0(VALU_DEP_2) | instskip(NEXT) | instid1(VALU_DEP_2)
	v_cndmask_b32_e64 v82, v82, v89, s6
	v_fma_f32 v98, -v91, v96, v94
	s_delay_alu instid0(VALU_DEP_1) | instskip(NEXT) | instid1(VALU_DEP_1)
	v_fmac_f32_e32 v96, v98, v92
	v_fma_f32 v91, -v91, v96, v94
	s_delay_alu instid0(VALU_DEP_1) | instskip(NEXT) | instid1(VALU_DEP_1)
	v_div_fmas_f32 v91, v91, v92, v96
	v_div_fixup_f32 v90, v91, v90, 1.0
	s_delay_alu instid0(VALU_DEP_1) | instskip(NEXT) | instid1(VALU_DEP_1)
	v_mul_f32_e32 v82, v82, v90
	v_mul_f32_e32 v87, v82, v87
	;; [unrolled: 1-line block ×7, first 2 shown]
	v_dual_mul_f32 v86, v82, v83 :: v_dual_and_b32 v91, 0x7f800000, v90
	v_mul_f32_e32 v85, v82, v76
                                        ; implicit-def: $vgpr76
	s_delay_alu instid0(VALU_DEP_2)
	v_cmpx_ne_u32_e32 0x7f800000, v91
	s_xor_b32 s4, exec_lo, s4
; %bb.13:
	v_bfe_u32 v76, v90, 16, 1
	s_delay_alu instid0(VALU_DEP_1)
	v_add3_u32 v76, v90, v76, 0x7fff
                                        ; implicit-def: $vgpr90
; %bb.14:
	s_and_not1_saveexec_b32 s4, s4
; %bb.15:
	v_and_b32_e32 v76, 0xffff, v90
	v_or_b32_e32 v83, 0x10000, v90
	s_delay_alu instid0(VALU_DEP_2) | instskip(NEXT) | instid1(VALU_DEP_2)
	v_cmp_eq_u32_e32 vcc_lo, 0, v76
	v_cndmask_b32_e32 v76, v83, v90, vcc_lo
; %bb.16:
	s_or_b32 exec_lo, exec_lo, s4
	v_and_b32_e32 v83, 0x7f800000, v85
	s_delay_alu instid0(VALU_DEP_1) | instskip(SKIP_1) | instid1(SALU_CYCLE_1)
	v_cmp_ne_u32_e32 vcc_lo, 0x7f800000, v83
                                        ; implicit-def: $vgpr83
	s_and_saveexec_b32 s4, vcc_lo
	s_xor_b32 s4, exec_lo, s4
; %bb.17:
	v_bfe_u32 v83, v85, 16, 1
	s_delay_alu instid0(VALU_DEP_1)
	v_add3_u32 v83, v85, v83, 0x7fff
                                        ; implicit-def: $vgpr85
; %bb.18:
	s_and_not1_saveexec_b32 s4, s4
; %bb.19:
	v_and_b32_e32 v83, 0xffff, v85
	v_or_b32_e32 v90, 0x10000, v85
	s_delay_alu instid0(VALU_DEP_2) | instskip(NEXT) | instid1(VALU_DEP_2)
	v_cmp_eq_u32_e32 vcc_lo, 0, v83
	v_cndmask_b32_e32 v83, v90, v85, vcc_lo
; %bb.20:
	s_or_b32 exec_lo, exec_lo, s4
	v_and_b32_e32 v85, 0x7f800000, v86
	s_delay_alu instid0(VALU_DEP_1) | instskip(SKIP_1) | instid1(SALU_CYCLE_1)
	v_cmp_ne_u32_e32 vcc_lo, 0x7f800000, v85
                                        ; implicit-def: $vgpr85
	s_and_saveexec_b32 s4, vcc_lo
	s_xor_b32 s4, exec_lo, s4
; %bb.21:
	v_bfe_u32 v85, v86, 16, 1
	s_delay_alu instid0(VALU_DEP_1)
	v_add3_u32 v85, v86, v85, 0x7fff
                                        ; implicit-def: $vgpr86
; %bb.22:
	s_and_not1_saveexec_b32 s4, s4
; %bb.23:
	v_and_b32_e32 v85, 0xffff, v86
	v_or_b32_e32 v90, 0x10000, v86
	s_delay_alu instid0(VALU_DEP_2) | instskip(NEXT) | instid1(VALU_DEP_2)
	v_cmp_eq_u32_e32 vcc_lo, 0, v85
	v_cndmask_b32_e32 v85, v90, v86, vcc_lo
; %bb.24:
	s_or_b32 exec_lo, exec_lo, s4
	v_and_b32_e32 v86, 0x7f800000, v89
	s_delay_alu instid0(VALU_DEP_1) | instskip(SKIP_1) | instid1(SALU_CYCLE_1)
	v_cmp_ne_u32_e32 vcc_lo, 0x7f800000, v86
                                        ; implicit-def: $vgpr86
	s_and_saveexec_b32 s4, vcc_lo
	s_xor_b32 s4, exec_lo, s4
; %bb.25:
	v_bfe_u32 v86, v89, 16, 1
	s_delay_alu instid0(VALU_DEP_1)
	v_add3_u32 v86, v89, v86, 0x7fff
                                        ; implicit-def: $vgpr89
; %bb.26:
	s_and_not1_saveexec_b32 s4, s4
; %bb.27:
	v_and_b32_e32 v86, 0xffff, v89
	v_or_b32_e32 v90, 0x10000, v89
	s_delay_alu instid0(VALU_DEP_2) | instskip(NEXT) | instid1(VALU_DEP_2)
	v_cmp_eq_u32_e32 vcc_lo, 0, v86
	v_cndmask_b32_e32 v86, v90, v89, vcc_lo
; %bb.28:
	s_or_b32 exec_lo, exec_lo, s4
	v_and_b32_e32 v89, 0x7f800000, v88
	s_delay_alu instid0(VALU_DEP_1) | instskip(SKIP_1) | instid1(SALU_CYCLE_1)
	v_cmp_ne_u32_e32 vcc_lo, 0x7f800000, v89
                                        ; implicit-def: $vgpr89
	s_and_saveexec_b32 s4, vcc_lo
	s_xor_b32 s4, exec_lo, s4
; %bb.29:
	v_bfe_u32 v89, v88, 16, 1
	s_delay_alu instid0(VALU_DEP_1)
	v_add3_u32 v89, v88, v89, 0x7fff
                                        ; implicit-def: $vgpr88
; %bb.30:
	s_and_not1_saveexec_b32 s4, s4
; %bb.31:
	v_and_b32_e32 v89, 0xffff, v88
	v_or_b32_e32 v90, 0x10000, v88
	s_delay_alu instid0(VALU_DEP_2) | instskip(NEXT) | instid1(VALU_DEP_2)
	v_cmp_eq_u32_e32 vcc_lo, 0, v89
	v_cndmask_b32_e32 v89, v90, v88, vcc_lo
; %bb.32:
	s_or_b32 exec_lo, exec_lo, s4
	v_and_b32_e32 v88, 0x7f800000, v87
	s_delay_alu instid0(VALU_DEP_1) | instskip(SKIP_1) | instid1(SALU_CYCLE_1)
	v_cmp_ne_u32_e32 vcc_lo, 0x7f800000, v88
                                        ; implicit-def: $vgpr88
	s_and_saveexec_b32 s4, vcc_lo
	s_xor_b32 s4, exec_lo, s4
; %bb.33:
	v_bfe_u32 v88, v87, 16, 1
	s_delay_alu instid0(VALU_DEP_1)
	v_add3_u32 v88, v87, v88, 0x7fff
                                        ; implicit-def: $vgpr87
; %bb.34:
	s_and_not1_saveexec_b32 s4, s4
; %bb.35:
	v_and_b32_e32 v88, 0xffff, v87
	v_or_b32_e32 v90, 0x10000, v87
	s_delay_alu instid0(VALU_DEP_2) | instskip(NEXT) | instid1(VALU_DEP_2)
	v_cmp_eq_u32_e32 vcc_lo, 0, v88
	v_cndmask_b32_e32 v88, v90, v87, vcc_lo
; %bb.36:
	s_or_b32 exec_lo, exec_lo, s4
	v_and_b32_e32 v87, 0x7f800000, v84
	s_delay_alu instid0(VALU_DEP_1) | instskip(SKIP_1) | instid1(SALU_CYCLE_1)
	v_cmp_ne_u32_e32 vcc_lo, 0x7f800000, v87
                                        ; implicit-def: $vgpr87
	s_and_saveexec_b32 s4, vcc_lo
	s_xor_b32 s4, exec_lo, s4
; %bb.37:
	v_bfe_u32 v87, v84, 16, 1
	s_delay_alu instid0(VALU_DEP_1)
	v_add3_u32 v87, v84, v87, 0x7fff
                                        ; implicit-def: $vgpr84
; %bb.38:
	s_and_not1_saveexec_b32 s4, s4
; %bb.39:
	v_and_b32_e32 v87, 0xffff, v84
	v_or_b32_e32 v90, 0x10000, v84
	s_delay_alu instid0(VALU_DEP_2) | instskip(NEXT) | instid1(VALU_DEP_2)
	v_cmp_eq_u32_e32 vcc_lo, 0, v87
	v_cndmask_b32_e32 v87, v90, v84, vcc_lo
; %bb.40:
	s_or_b32 exec_lo, exec_lo, s4
	v_and_b32_e32 v84, 0x7f800000, v80
	s_delay_alu instid0(VALU_DEP_1) | instskip(SKIP_1) | instid1(SALU_CYCLE_1)
	v_cmp_ne_u32_e32 vcc_lo, 0x7f800000, v84
                                        ; implicit-def: $vgpr84
	s_and_saveexec_b32 s4, vcc_lo
	s_xor_b32 s4, exec_lo, s4
; %bb.41:
	v_bfe_u32 v84, v80, 16, 1
	s_delay_alu instid0(VALU_DEP_1)
	v_add3_u32 v84, v80, v84, 0x7fff
                                        ; implicit-def: $vgpr80
; %bb.42:
	s_and_not1_saveexec_b32 s4, s4
; %bb.43:
	v_and_b32_e32 v84, 0xffff, v80
	v_or_b32_e32 v90, 0x10000, v80
	s_delay_alu instid0(VALU_DEP_2) | instskip(NEXT) | instid1(VALU_DEP_2)
	v_cmp_eq_u32_e32 vcc_lo, 0, v84
	v_cndmask_b32_e32 v84, v90, v80, vcc_lo
; %bb.44:
	s_or_b32 exec_lo, exec_lo, s4
	s_load_b64 s[36:37], s[0:1], 0x94
	v_lshlrev_b32_e32 v91, 4, v74
	s_delay_alu instid0(VALU_DEP_2)
	v_perm_b32 v90, v84, v87, 0x7060302
	v_dual_mul_f32 v79, v82, v79 :: v_dual_lshlrev_b32 v80, 6, v65
	v_dual_mul_f32 v77, v82, v77 :: v_dual_lshlrev_b32 v92, 11, v66
	v_mul_f32_e32 v84, v82, v70
	v_perm_b32 v89, v88, v89, 0x7060302
	v_perm_b32 v88, v86, v85, 0x7060302
	;; [unrolled: 1-line block ×3, first 2 shown]
	v_mul_f32_e32 v70, v82, v81
	v_or3_b32 v76, v91, v92, v80
	v_dual_mul_f32 v78, v82, v78 :: v_dual_and_b32 v85, 0x7f800000, v84
	v_mul_f32_e32 v83, v82, v72
	v_mul_f32_e32 v81, v82, v71
	;; [unrolled: 1-line block ×3, first 2 shown]
	s_mov_b32 s4, exec_lo
	ds_store_b128 v76, v[87:90]
                                        ; implicit-def: $vgpr69
	v_cmpx_ne_u32_e32 0x7f800000, v85
	s_xor_b32 s4, exec_lo, s4
; %bb.45:
	v_bfe_u32 v69, v84, 16, 1
	s_delay_alu instid0(VALU_DEP_1)
	v_add3_u32 v69, v84, v69, 0x7fff
                                        ; implicit-def: $vgpr84
; %bb.46:
	s_and_not1_saveexec_b32 s4, s4
; %bb.47:
	v_and_b32_e32 v69, 0xffff, v84
	v_or_b32_e32 v71, 0x10000, v84
	s_delay_alu instid0(VALU_DEP_2) | instskip(NEXT) | instid1(VALU_DEP_2)
	v_cmp_eq_u32_e32 vcc_lo, 0, v69
	v_cndmask_b32_e32 v69, v71, v84, vcc_lo
; %bb.48:
	s_or_b32 exec_lo, exec_lo, s4
	v_and_b32_e32 v71, 0x7f800000, v72
	s_delay_alu instid0(VALU_DEP_1) | instskip(SKIP_1) | instid1(SALU_CYCLE_1)
	v_cmp_ne_u32_e32 vcc_lo, 0x7f800000, v71
                                        ; implicit-def: $vgpr71
	s_and_saveexec_b32 s4, vcc_lo
	s_xor_b32 s4, exec_lo, s4
; %bb.49:
	v_bfe_u32 v71, v72, 16, 1
	s_delay_alu instid0(VALU_DEP_1)
	v_add3_u32 v71, v72, v71, 0x7fff
                                        ; implicit-def: $vgpr72
; %bb.50:
	s_and_not1_saveexec_b32 s4, s4
; %bb.51:
	v_and_b32_e32 v71, 0xffff, v72
	v_or_b32_e32 v82, 0x10000, v72
	s_delay_alu instid0(VALU_DEP_2) | instskip(NEXT) | instid1(VALU_DEP_2)
	v_cmp_eq_u32_e32 vcc_lo, 0, v71
	v_cndmask_b32_e32 v71, v82, v72, vcc_lo
; %bb.52:
	s_or_b32 exec_lo, exec_lo, s4
	v_and_b32_e32 v72, 0x7f800000, v81
	s_delay_alu instid0(VALU_DEP_1) | instskip(SKIP_1) | instid1(SALU_CYCLE_1)
	v_cmp_ne_u32_e32 vcc_lo, 0x7f800000, v72
                                        ; implicit-def: $vgpr72
	s_and_saveexec_b32 s4, vcc_lo
	s_xor_b32 s4, exec_lo, s4
; %bb.53:
	v_bfe_u32 v72, v81, 16, 1
	s_delay_alu instid0(VALU_DEP_1)
	v_add3_u32 v72, v81, v72, 0x7fff
                                        ; implicit-def: $vgpr81
; %bb.54:
	s_and_not1_saveexec_b32 s4, s4
; %bb.55:
	v_and_b32_e32 v72, 0xffff, v81
	v_or_b32_e32 v82, 0x10000, v81
	s_delay_alu instid0(VALU_DEP_2) | instskip(NEXT) | instid1(VALU_DEP_2)
	v_cmp_eq_u32_e32 vcc_lo, 0, v72
	v_cndmask_b32_e32 v72, v82, v81, vcc_lo
; %bb.56:
	s_or_b32 exec_lo, exec_lo, s4
	v_and_b32_e32 v81, 0x7f800000, v83
	s_delay_alu instid0(VALU_DEP_1) | instskip(SKIP_1) | instid1(SALU_CYCLE_1)
	v_cmp_ne_u32_e32 vcc_lo, 0x7f800000, v81
                                        ; implicit-def: $vgpr81
	s_and_saveexec_b32 s4, vcc_lo
	s_xor_b32 s4, exec_lo, s4
; %bb.57:
	v_bfe_u32 v81, v83, 16, 1
	s_delay_alu instid0(VALU_DEP_1)
	v_add3_u32 v81, v83, v81, 0x7fff
                                        ; implicit-def: $vgpr83
; %bb.58:
	s_and_not1_saveexec_b32 s4, s4
; %bb.59:
	v_and_b32_e32 v81, 0xffff, v83
	v_or_b32_e32 v82, 0x10000, v83
	s_delay_alu instid0(VALU_DEP_2) | instskip(NEXT) | instid1(VALU_DEP_2)
	v_cmp_eq_u32_e32 vcc_lo, 0, v81
	v_cndmask_b32_e32 v81, v82, v83, vcc_lo
; %bb.60:
	s_or_b32 exec_lo, exec_lo, s4
	v_and_b32_e32 v82, 0x7f800000, v77
	s_delay_alu instid0(VALU_DEP_1) | instskip(SKIP_1) | instid1(SALU_CYCLE_1)
	v_cmp_ne_u32_e32 vcc_lo, 0x7f800000, v82
                                        ; implicit-def: $vgpr82
	s_and_saveexec_b32 s4, vcc_lo
	s_xor_b32 s4, exec_lo, s4
; %bb.61:
	v_bfe_u32 v82, v77, 16, 1
	s_delay_alu instid0(VALU_DEP_1)
	v_add3_u32 v82, v77, v82, 0x7fff
                                        ; implicit-def: $vgpr77
; %bb.62:
	s_and_not1_saveexec_b32 s4, s4
; %bb.63:
	v_and_b32_e32 v82, 0xffff, v77
	v_or_b32_e32 v83, 0x10000, v77
	s_delay_alu instid0(VALU_DEP_2) | instskip(NEXT) | instid1(VALU_DEP_2)
	v_cmp_eq_u32_e32 vcc_lo, 0, v82
	v_cndmask_b32_e32 v82, v83, v77, vcc_lo
; %bb.64:
	s_or_b32 exec_lo, exec_lo, s4
	v_and_b32_e32 v77, 0x7f800000, v78
	s_delay_alu instid0(VALU_DEP_1) | instskip(SKIP_1) | instid1(SALU_CYCLE_1)
	v_cmp_ne_u32_e32 vcc_lo, 0x7f800000, v77
                                        ; implicit-def: $vgpr77
	s_and_saveexec_b32 s4, vcc_lo
	s_xor_b32 s4, exec_lo, s4
; %bb.65:
	v_bfe_u32 v77, v78, 16, 1
	s_delay_alu instid0(VALU_DEP_1)
	v_add3_u32 v77, v78, v77, 0x7fff
                                        ; implicit-def: $vgpr78
; %bb.66:
	s_and_not1_saveexec_b32 s4, s4
; %bb.67:
	v_and_b32_e32 v77, 0xffff, v78
	v_or_b32_e32 v83, 0x10000, v78
	s_delay_alu instid0(VALU_DEP_2) | instskip(NEXT) | instid1(VALU_DEP_2)
	v_cmp_eq_u32_e32 vcc_lo, 0, v77
	v_cndmask_b32_e32 v77, v83, v78, vcc_lo
; %bb.68:
	s_or_b32 exec_lo, exec_lo, s4
	v_and_b32_e32 v78, 0x7f800000, v79
	s_delay_alu instid0(VALU_DEP_1) | instskip(SKIP_1) | instid1(SALU_CYCLE_1)
	v_cmp_ne_u32_e32 vcc_lo, 0x7f800000, v78
                                        ; implicit-def: $vgpr78
	s_and_saveexec_b32 s4, vcc_lo
	s_xor_b32 s4, exec_lo, s4
; %bb.69:
	v_bfe_u32 v78, v79, 16, 1
	s_delay_alu instid0(VALU_DEP_1)
	v_add3_u32 v78, v79, v78, 0x7fff
                                        ; implicit-def: $vgpr79
; %bb.70:
	s_and_not1_saveexec_b32 s4, s4
; %bb.71:
	v_and_b32_e32 v78, 0xffff, v79
	v_or_b32_e32 v83, 0x10000, v79
	s_delay_alu instid0(VALU_DEP_2) | instskip(NEXT) | instid1(VALU_DEP_2)
	v_cmp_eq_u32_e32 vcc_lo, 0, v78
	v_cndmask_b32_e32 v78, v83, v79, vcc_lo
; %bb.72:
	s_or_b32 exec_lo, exec_lo, s4
	v_and_b32_e32 v79, 0x7f800000, v70
	s_delay_alu instid0(VALU_DEP_1) | instskip(SKIP_1) | instid1(SALU_CYCLE_1)
	v_cmp_ne_u32_e32 vcc_lo, 0x7f800000, v79
                                        ; implicit-def: $vgpr79
	s_and_saveexec_b32 s4, vcc_lo
	s_xor_b32 s4, exec_lo, s4
; %bb.73:
	v_bfe_u32 v79, v70, 16, 1
	s_delay_alu instid0(VALU_DEP_1)
	v_add3_u32 v79, v70, v79, 0x7fff
                                        ; implicit-def: $vgpr70
; %bb.74:
	s_and_not1_saveexec_b32 s4, s4
; %bb.75:
	v_and_b32_e32 v79, 0xffff, v70
	v_or_b32_e32 v83, 0x10000, v70
	s_delay_alu instid0(VALU_DEP_2) | instskip(NEXT) | instid1(VALU_DEP_2)
	v_cmp_eq_u32_e32 vcc_lo, 0, v79
	v_cndmask_b32_e32 v79, v83, v70, vcc_lo
; %bb.76:
	s_or_b32 exec_lo, exec_lo, s4
	s_delay_alu instid0(VALU_DEP_1)
	v_perm_b32 v86, v79, v78, 0x7060302
	v_perm_b32 v85, v77, v82, 0x7060302
	;; [unrolled: 1-line block ×4, first 2 shown]
	v_lshl_or_b32 v82, v66, 11, v80
	ds_store_b128 v76, v[83:86] offset:1024
	s_waitcnt lgkmcnt(0)
	s_barrier
	buffer_gl0_inv
	ds_load_b128 v[69:72], v82
	ds_load_b128 v[83:86], v82 offset:16
	s_waitcnt lgkmcnt(1)
	v_lshrrev_b32_e32 v66, 16, v69
	s_waitcnt lgkmcnt(0)
	v_lshrrev_b32_e32 v91, 16, v83
	v_lshlrev_b32_e32 v78, 2, v74
	v_lshrrev_b32_e32 v95, 16, v70
	v_lshrrev_b32_e32 v98, 16, v84
	;; [unrolled: 1-line block ×4, first 2 shown]
	v_cmp_eq_u32_e32 vcc_lo, 1, v78
	v_lshrrev_b32_e32 v97, 16, v72
	v_lshrrev_b32_e32 v100, 16, v86
	v_cndmask_b32_e32 v87, v83, v91, vcc_lo
	v_or_b32_e32 v79, 1, v78
	v_cndmask_b32_e32 v81, v69, v66, vcc_lo
	v_cmp_eq_u32_e64 s5, 2, v78
	v_cmp_eq_u32_e64 s8, 3, v78
	;; [unrolled: 1-line block ×5, first 2 shown]
	v_cndmask_b32_e64 v81, v81, v70, s5
	v_cndmask_b32_e64 v87, v87, v84, s5
	v_cmp_eq_u32_e64 s9, 3, v79
	v_cndmask_b32_e64 v88, v69, v66, s4
	v_or_b32_e32 v77, 2, v78
	v_cndmask_b32_e64 v81, v81, v95, s8
	v_cndmask_b32_e64 v87, v87, v98, s8
	;; [unrolled: 1-line block ×4, first 2 shown]
	v_cmp_eq_u32_e64 s11, 5, v78
	v_cndmask_b32_e64 v81, v81, v71, s10
	v_cndmask_b32_e64 v87, v87, v85, s10
	v_cmp_eq_u32_e64 s12, 4, v79
	v_cndmask_b32_e64 v88, v88, v95, s9
	v_cmp_eq_u32_e64 s6, 1, v77
	v_cndmask_b32_e64 v89, v89, v84, s7
	v_cndmask_b32_e64 v81, v81, v96, s11
	v_cmp_eq_u32_e64 s13, 6, v78
	v_cndmask_b32_e64 v88, v88, v71, s12
	;; [unrolled: 3-line block ×3, first 2 shown]
	v_cndmask_b32_e64 v89, v89, v98, s9
	v_cndmask_b32_e64 v81, v81, v72, s13
	v_cmp_eq_u32_e64 s16, 7, v78
	v_cndmask_b32_e64 v88, v88, v96, s15
	v_cndmask_b32_e64 v87, v87, v86, s13
	v_cmp_eq_u32_e64 s17, 6, v79
	v_cmp_eq_u32_e64 s18, 2, v77
	v_cndmask_b32_e64 v89, v89, v85, s12
	v_cndmask_b32_e64 v101, v81, v97, s16
	;; [unrolled: 1-line block ×6, first 2 shown]
	v_cmp_eq_u32_e64 s19, 7, v79
	v_cmp_eq_u32_e64 s20, 3, v77
	;; [unrolled: 1-line block ×4, first 2 shown]
	v_cndmask_b32_e64 v87, v87, v84, s18
	v_cndmask_b32_e64 v103, v88, v97, s19
	;; [unrolled: 1-line block ×4, first 2 shown]
	v_or_b32_e32 v81, 3, v78
	v_cndmask_b32_e64 v93, v87, v98, s20
	v_cmp_eq_u32_e64 s25, 6, v77
	v_cndmask_b32_e64 v104, v88, v86, s17
	v_cndmask_b32_e64 v92, v89, v71, s21
	v_cmp_eq_u32_e64 s22, 1, v81
	ds_load_b128 v[87:90], v82 offset:1024
	v_cmp_eq_u32_e64 s24, 2, v81
	v_cmp_eq_u32_e64 s26, 3, v81
	v_cndmask_b32_e64 v105, v92, v96, s23
	v_cndmask_b32_e64 v66, v69, v66, s22
	v_cndmask_b32_e64 v69, v93, v85, s21
	v_cndmask_b32_e64 v83, v83, v91, s22
	ds_load_b128 v[91:94], v82 offset:1040
	v_cmp_eq_u32_e64 s27, 4, v81
	v_cndmask_b32_e64 v66, v66, v70, s24
	v_cmp_eq_u32_e64 s28, 7, v77
	v_cndmask_b32_e64 v70, v83, v84, s24
	v_cndmask_b32_e64 v84, v105, v72, s25
	v_cmp_eq_u32_e64 s29, 5, v81
	v_cndmask_b32_e64 v66, v66, v95, s26
	v_cmp_eq_u32_e64 s30, 6, v81
	v_cndmask_b32_e64 v70, v70, v98, s26
	v_cndmask_b32_e64 v69, v69, v99, s23
	;; [unrolled: 1-line block ×4, first 2 shown]
	s_waitcnt lgkmcnt(1)
	v_lshrrev_b32_e32 v95, 16, v87
	v_cndmask_b32_e64 v70, v70, v85, s27
	v_cndmask_b32_e64 v71, v84, v97, s28
	;; [unrolled: 1-line block ×4, first 2 shown]
	v_cndmask_b32_e32 v84, v87, v95, vcc_lo
	v_cndmask_b32_e64 v70, v70, v99, s29
	s_waitcnt lgkmcnt(0)
	v_lshrrev_b32_e32 v85, 16, v91
	v_lshrrev_b32_e32 v96, 16, v88
	v_cndmask_b32_e64 v98, v87, v95, s4
	v_cndmask_b32_e64 v84, v84, v88, s5
	v_cndmask_b32_e64 v70, v70, v86, s30
	v_cndmask_b32_e32 v99, v91, v85, vcc_lo
	v_cmp_eq_u32_e32 vcc_lo, 7, v81
	v_cndmask_b32_e64 v66, v66, v72, s30
	v_cndmask_b32_e64 v72, v84, v96, s8
	;; [unrolled: 1-line block ×3, first 2 shown]
	v_lshrrev_b32_e32 v98, 16, v92
	v_cndmask_b32_e32 v70, v70, v100, vcc_lo
	v_cndmask_b32_e64 v86, v99, v92, s5
	v_cndmask_b32_e64 v69, v69, v100, s28
	v_lshrrev_b32_e32 v100, 16, v93
	v_cndmask_b32_e64 v72, v72, v89, s10
	v_lshrrev_b32_e32 v99, 16, v89
	v_cndmask_b32_e64 v86, v86, v98, s8
	v_perm_b32 v71, v69, v71, 0x5040100
	v_cndmask_b32_e64 v84, v84, v96, s9
	s_delay_alu instid0(VALU_DEP_3) | instskip(NEXT) | instid1(VALU_DEP_2)
	v_cndmask_b32_e64 v86, v86, v93, s10
	v_cndmask_b32_e64 v84, v84, v89, s12
	s_delay_alu instid0(VALU_DEP_2) | instskip(NEXT) | instid1(VALU_DEP_1)
	v_cndmask_b32_e64 v86, v86, v100, s11
	v_cndmask_b32_e64 v69, v86, v94, s13
	v_cndmask_b32_e64 v86, v87, v95, s6
	v_cndmask_b32_e64 v87, v87, v95, s22
	v_cndmask_b32_e64 v95, v91, v85, s22
	s_delay_alu instid0(VALU_DEP_3) | instskip(NEXT) | instid1(VALU_DEP_3)
	v_cndmask_b32_e64 v86, v86, v88, s18
	v_cndmask_b32_e64 v87, v87, v88, s24
	s_delay_alu instid0(VALU_DEP_3) | instskip(NEXT) | instid1(VALU_DEP_3)
	v_cndmask_b32_e64 v88, v95, v92, s24
	v_cndmask_b32_e64 v86, v86, v96, s20
	;; [unrolled: 3-line block ×7, first 2 shown]
	s_delay_alu instid0(VALU_DEP_3) | instskip(SKIP_2) | instid1(VALU_DEP_2)
	v_cndmask_b32_e64 v88, v88, v94, s30
	v_cndmask_b32_e32 v66, v66, v97, vcc_lo
	v_cndmask_b32_e64 v97, v72, v99, s11
	v_perm_b32 v72, v70, v66, 0x5040100
	v_perm_b32 v70, v83, v103, 0x5040100
	v_cndmask_b32_e64 v103, v91, v85, s6
	v_cndmask_b32_e64 v85, v91, v85, s4
	;; [unrolled: 1-line block ×4, first 2 shown]
	v_lshrrev_b32_e32 v97, 16, v90
	v_cndmask_b32_e64 v91, v103, v92, s18
	v_cndmask_b32_e64 v85, v85, v92, s7
	;; [unrolled: 1-line block ×3, first 2 shown]
	s_mov_b32 s4, exec_lo
	v_cndmask_b32_e64 v83, v84, v97, s16
	v_cndmask_b32_e64 v91, v91, v98, s20
	;; [unrolled: 1-line block ×3, first 2 shown]
	v_lshrrev_b32_e32 v84, 16, v94
	v_cndmask_b32_e64 v66, v66, v97, s19
	v_cndmask_b32_e64 v90, v86, v97, s28
	;; [unrolled: 1-line block ×4, first 2 shown]
	v_dual_cndmask_b32 v86, v87, v97 :: v_dual_cndmask_b32 v87, v88, v84
	v_cndmask_b32_e64 v91, v69, v84, s16
	s_delay_alu instid0(VALU_DEP_4) | instskip(NEXT) | instid1(VALU_DEP_4)
	v_cndmask_b32_e64 v89, v89, v100, s23
	v_cndmask_b32_e64 v85, v85, v100, s15
	v_perm_b32 v69, v102, v101, 0x5040100
	v_perm_b32 v86, v87, v86, 0x5040100
	;; [unrolled: 1-line block ×3, first 2 shown]
	v_cndmask_b32_e64 v89, v89, v94, s25
	v_cndmask_b32_e64 v85, v85, v94, s17
	s_mul_i32 s9, s37, 9
	s_delay_alu instid0(VALU_DEP_2) | instskip(NEXT) | instid1(VALU_DEP_2)
	v_cndmask_b32_e64 v88, v89, v84, s28
	v_cndmask_b32_e64 v89, v85, v84, s19
	s_delay_alu instid0(VALU_DEP_2) | instskip(NEXT) | instid1(VALU_DEP_2)
	v_perm_b32 v85, v88, v90, 0x5040100
	v_perm_b32 v84, v89, v66, 0x5040100
	ds_store_b128 v76, v[69:72]
	ds_store_b128 v76, v[83:86] offset:1024
	v_cmpx_gt_u32_e32 9, v0
	s_cbranch_execz .LBB1782_78
; %bb.77:
	s_mul_i32 s5, s9, s34
	s_load_b128 s[16:19], s[0:1], 0x58
	v_add3_u32 v69, s5, s31, v65
	s_delay_alu instid0(VALU_DEP_1) | instskip(NEXT) | instid1(VALU_DEP_1)
	v_mad_u64_u32 v[65:66], null, v69, s36, s[14:15]
	v_ashrrev_i32_e32 v66, 31, v65
	s_delay_alu instid0(VALU_DEP_1) | instskip(SKIP_1) | instid1(VALU_DEP_1)
	v_lshlrev_b64 v[65:66], 2, v[65:66]
	s_waitcnt lgkmcnt(0)
	v_add_co_u32 v69, vcc_lo, s18, v65
	s_delay_alu instid0(VALU_DEP_2)
	v_add_co_ci_u32_e32 v70, vcc_lo, s19, v66, vcc_lo
	v_add_co_u32 v65, vcc_lo, s16, v65
	v_add_co_ci_u32_e32 v66, vcc_lo, s17, v66, vcc_lo
	global_store_b32 v[69:70], v67, off
	global_store_b32 v[65:66], v68, off
.LBB1782_78:
	s_or_b32 exec_lo, exec_lo, s4
	s_waitcnt lgkmcnt(0)
	s_waitcnt_vscnt null, 0x0
	s_barrier
	buffer_gl0_inv
	ds_load_b128 v[83:86], v80
	ds_load_b128 v[87:90], v80 offset:16
	ds_load_b128 v[95:98], v80 offset:2064
	;; [unrolled: 1-line block ×3, first 2 shown]
	v_mov_b32_e32 v65, 0
	ds_load_b128 v[103:106], v80 offset:4112
	ds_load_b128 v[99:102], v80 offset:4096
	;; [unrolled: 1-line block ×4, first 2 shown]
	v_mov_b32_e32 v66, v65
	v_mov_b32_e32 v67, v65
	;; [unrolled: 1-line block ×7, first 2 shown]
	s_waitcnt lgkmcnt(6)
	s_delay_alu instid0(VALU_DEP_1)
	v_wmma_f32_16x16x16_bf16 v[65:72], v[57:64], v[83:90], v[65:72]
	ds_load_b128 v[61:64], v80 offset:8208
	ds_load_b128 v[57:60], v80 offset:8192
	s_waitcnt lgkmcnt(6)
	v_wmma_f32_16x16x16_bf16 v[65:72], v[41:48], v[91:98], v[65:72]
	ds_load_b128 v[45:48], v80 offset:10256
	ds_load_b128 v[41:44], v80 offset:10240
	s_waitcnt lgkmcnt(6)
	;; [unrolled: 4-line block ×4, first 2 shown]
	v_wmma_f32_16x16x16_bf16 v[65:72], v[1:8], v[57:64], v[65:72]
	s_waitcnt lgkmcnt(4)
	s_delay_alu instid0(VALU_DEP_1) | instskip(SKIP_1) | instid1(VALU_DEP_1)
	v_wmma_f32_16x16x16_bf16 v[65:72], v[9:16], v[41:48], v[65:72]
	s_waitcnt lgkmcnt(2)
	v_wmma_f32_16x16x16_bf16 v[65:72], v[17:24], v[33:40], v[65:72]
	s_waitcnt lgkmcnt(0)
	s_delay_alu instid0(VALU_DEP_1) | instskip(NEXT) | instid1(VALU_DEP_1)
	v_wmma_f32_16x16x16_bf16 v[65:72], v[49:56], v[25:32], v[65:72]
	v_and_b32_e32 v1, 0x7f800000, v65
	s_delay_alu instid0(VALU_DEP_1) | instskip(SKIP_1) | instid1(SALU_CYCLE_1)
	v_cmp_ne_u32_e32 vcc_lo, 0x7f800000, v1
                                        ; implicit-def: $vgpr1
	s_and_saveexec_b32 s4, vcc_lo
	s_xor_b32 s4, exec_lo, s4
; %bb.79:
	v_bfe_u32 v1, v65, 16, 1
	s_delay_alu instid0(VALU_DEP_1)
	v_add3_u32 v1, v65, v1, 0x7fff
; %bb.80:
	s_and_not1_saveexec_b32 s4, s4
; %bb.81:
	v_and_b32_e32 v1, 0xffff, v65
	v_or_b32_e32 v2, 0x10000, v65
	s_delay_alu instid0(VALU_DEP_2) | instskip(NEXT) | instid1(VALU_DEP_2)
	v_cmp_eq_u32_e32 vcc_lo, 0, v1
	v_cndmask_b32_e32 v1, v2, v65, vcc_lo
; %bb.82:
	s_or_b32 exec_lo, exec_lo, s4
	v_and_b32_e32 v2, 0x7f800000, v66
	s_delay_alu instid0(VALU_DEP_1) | instskip(SKIP_1) | instid1(SALU_CYCLE_1)
	v_cmp_ne_u32_e32 vcc_lo, 0x7f800000, v2
                                        ; implicit-def: $vgpr2
	s_and_saveexec_b32 s4, vcc_lo
	s_xor_b32 s4, exec_lo, s4
; %bb.83:
	v_bfe_u32 v2, v66, 16, 1
	s_delay_alu instid0(VALU_DEP_1)
	v_add3_u32 v2, v66, v2, 0x7fff
; %bb.84:
	s_and_not1_saveexec_b32 s4, s4
; %bb.85:
	v_and_b32_e32 v2, 0xffff, v66
	v_or_b32_e32 v3, 0x10000, v66
	s_delay_alu instid0(VALU_DEP_2) | instskip(NEXT) | instid1(VALU_DEP_2)
	v_cmp_eq_u32_e32 vcc_lo, 0, v2
	v_cndmask_b32_e32 v2, v3, v66, vcc_lo
; %bb.86:
	s_or_b32 exec_lo, exec_lo, s4
	v_and_b32_e32 v3, 0x7f800000, v67
	s_delay_alu instid0(VALU_DEP_1) | instskip(SKIP_1) | instid1(SALU_CYCLE_1)
	v_cmp_ne_u32_e32 vcc_lo, 0x7f800000, v3
                                        ; implicit-def: $vgpr3
	s_and_saveexec_b32 s4, vcc_lo
	s_xor_b32 s4, exec_lo, s4
; %bb.87:
	v_bfe_u32 v3, v67, 16, 1
	s_delay_alu instid0(VALU_DEP_1)
	v_add3_u32 v3, v67, v3, 0x7fff
; %bb.88:
	s_and_not1_saveexec_b32 s4, s4
; %bb.89:
	v_and_b32_e32 v3, 0xffff, v67
	v_or_b32_e32 v4, 0x10000, v67
	s_delay_alu instid0(VALU_DEP_2) | instskip(NEXT) | instid1(VALU_DEP_2)
	v_cmp_eq_u32_e32 vcc_lo, 0, v3
	v_cndmask_b32_e32 v3, v4, v67, vcc_lo
; %bb.90:
	s_or_b32 exec_lo, exec_lo, s4
	v_and_b32_e32 v4, 0x7f800000, v68
	s_delay_alu instid0(VALU_DEP_1) | instskip(SKIP_1) | instid1(SALU_CYCLE_1)
	v_cmp_ne_u32_e32 vcc_lo, 0x7f800000, v4
                                        ; implicit-def: $vgpr4
	s_and_saveexec_b32 s4, vcc_lo
	s_xor_b32 s4, exec_lo, s4
; %bb.91:
	v_bfe_u32 v4, v68, 16, 1
	s_delay_alu instid0(VALU_DEP_1)
	v_add3_u32 v4, v68, v4, 0x7fff
; %bb.92:
	s_and_not1_saveexec_b32 s4, s4
; %bb.93:
	v_and_b32_e32 v4, 0xffff, v68
	v_or_b32_e32 v5, 0x10000, v68
	s_delay_alu instid0(VALU_DEP_2) | instskip(NEXT) | instid1(VALU_DEP_2)
	v_cmp_eq_u32_e32 vcc_lo, 0, v4
	v_cndmask_b32_e32 v4, v5, v68, vcc_lo
; %bb.94:
	s_or_b32 exec_lo, exec_lo, s4
	v_and_b32_e32 v5, 0x7f800000, v69
	s_delay_alu instid0(VALU_DEP_1) | instskip(SKIP_1) | instid1(SALU_CYCLE_1)
	v_cmp_ne_u32_e32 vcc_lo, 0x7f800000, v5
                                        ; implicit-def: $vgpr5
	s_and_saveexec_b32 s4, vcc_lo
	s_xor_b32 s4, exec_lo, s4
; %bb.95:
	v_bfe_u32 v5, v69, 16, 1
	s_delay_alu instid0(VALU_DEP_1)
	v_add3_u32 v5, v69, v5, 0x7fff
; %bb.96:
	s_and_not1_saveexec_b32 s4, s4
; %bb.97:
	v_and_b32_e32 v5, 0xffff, v69
	v_or_b32_e32 v6, 0x10000, v69
	s_delay_alu instid0(VALU_DEP_2) | instskip(NEXT) | instid1(VALU_DEP_2)
	v_cmp_eq_u32_e32 vcc_lo, 0, v5
	v_cndmask_b32_e32 v5, v6, v69, vcc_lo
; %bb.98:
	s_or_b32 exec_lo, exec_lo, s4
	v_and_b32_e32 v6, 0x7f800000, v70
	s_delay_alu instid0(VALU_DEP_1) | instskip(SKIP_1) | instid1(SALU_CYCLE_1)
	v_cmp_ne_u32_e32 vcc_lo, 0x7f800000, v6
                                        ; implicit-def: $vgpr6
	s_and_saveexec_b32 s4, vcc_lo
	s_xor_b32 s4, exec_lo, s4
; %bb.99:
	v_bfe_u32 v6, v70, 16, 1
	s_delay_alu instid0(VALU_DEP_1)
	v_add3_u32 v6, v70, v6, 0x7fff
; %bb.100:
	s_and_not1_saveexec_b32 s4, s4
; %bb.101:
	v_and_b32_e32 v6, 0xffff, v70
	v_or_b32_e32 v7, 0x10000, v70
	s_delay_alu instid0(VALU_DEP_2) | instskip(NEXT) | instid1(VALU_DEP_2)
	v_cmp_eq_u32_e32 vcc_lo, 0, v6
	v_cndmask_b32_e32 v6, v7, v70, vcc_lo
; %bb.102:
	s_or_b32 exec_lo, exec_lo, s4
	v_and_b32_e32 v7, 0x7f800000, v71
	s_delay_alu instid0(VALU_DEP_1) | instskip(SKIP_1) | instid1(SALU_CYCLE_1)
	v_cmp_ne_u32_e32 vcc_lo, 0x7f800000, v7
                                        ; implicit-def: $vgpr7
	s_and_saveexec_b32 s4, vcc_lo
	s_xor_b32 s4, exec_lo, s4
; %bb.103:
	v_bfe_u32 v7, v71, 16, 1
	s_delay_alu instid0(VALU_DEP_1)
	v_add3_u32 v7, v71, v7, 0x7fff
; %bb.104:
	s_and_not1_saveexec_b32 s4, s4
; %bb.105:
	v_and_b32_e32 v7, 0xffff, v71
	v_or_b32_e32 v8, 0x10000, v71
	s_delay_alu instid0(VALU_DEP_2) | instskip(NEXT) | instid1(VALU_DEP_2)
	v_cmp_eq_u32_e32 vcc_lo, 0, v7
	v_cndmask_b32_e32 v7, v8, v71, vcc_lo
; %bb.106:
	s_or_b32 exec_lo, exec_lo, s4
	v_and_b32_e32 v8, 0x7f800000, v72
	s_delay_alu instid0(VALU_DEP_1) | instskip(SKIP_1) | instid1(SALU_CYCLE_1)
	v_cmp_ne_u32_e32 vcc_lo, 0x7f800000, v8
                                        ; implicit-def: $vgpr8
	s_and_saveexec_b32 s4, vcc_lo
	s_xor_b32 s4, exec_lo, s4
; %bb.107:
	v_bfe_u32 v8, v72, 16, 1
	s_delay_alu instid0(VALU_DEP_1)
	v_add3_u32 v8, v72, v8, 0x7fff
                                        ; implicit-def: $vgpr65_vgpr66_vgpr67_vgpr68_vgpr69_vgpr70_vgpr71_vgpr72
; %bb.108:
	s_and_not1_saveexec_b32 s4, s4
; %bb.109:
	v_and_b32_e32 v8, 0xffff, v72
	v_or_b32_e32 v9, 0x10000, v72
	s_delay_alu instid0(VALU_DEP_2) | instskip(NEXT) | instid1(VALU_DEP_2)
	v_cmp_eq_u32_e32 vcc_lo, 0, v8
	v_cndmask_b32_e32 v8, v9, v72, vcc_lo
; %bb.110:
	s_or_b32 exec_lo, exec_lo, s4
	s_delay_alu instid0(VALU_DEP_1)
	v_perm_b32 v7, v8, v7, 0x7060302
	v_perm_b32 v6, v6, v5, 0x7060302
	;; [unrolled: 1-line block ×4, first 2 shown]
	s_barrier
	buffer_gl0_inv
	v_cmp_eq_u32_e32 vcc_lo, 1, v78
	ds_store_b128 v76, v[4:7]
	s_waitcnt lgkmcnt(0)
	s_barrier
	buffer_gl0_inv
	ds_load_b128 v[1:4], v82
	ds_load_b128 v[5:8], v82 offset:16
	v_cmp_eq_u32_e64 s4, 1, v79
	v_cmp_eq_u32_e64 s5, 2, v78
	;; [unrolled: 1-line block ×5, first 2 shown]
	s_waitcnt lgkmcnt(1)
	v_lshrrev_b32_e32 v9, 16, v1
	s_waitcnt lgkmcnt(0)
	v_lshrrev_b32_e32 v13, 16, v5
	v_lshrrev_b32_e32 v10, 16, v2
	;; [unrolled: 1-line block ×4, first 2 shown]
	v_cndmask_b32_e64 v19, v1, v9, s4
	v_cndmask_b32_e32 v18, v5, v13, vcc_lo
	v_cndmask_b32_e64 v20, v5, v13, s4
	v_cndmask_b32_e32 v17, v1, v9, vcc_lo
	v_cmp_eq_u32_e32 vcc_lo, 2, v79
	v_lshrrev_b32_e32 v15, 16, v7
	v_cmp_eq_u32_e64 s4, 1, v77
	v_lshrrev_b32_e32 v12, 16, v4
	v_lshrrev_b32_e32 v16, 16, v8
	v_cndmask_b32_e32 v20, v20, v6, vcc_lo
	v_cndmask_b32_e64 v17, v17, v2, s5
	v_cndmask_b32_e32 v19, v19, v2, vcc_lo
	v_cndmask_b32_e64 v18, v18, v6, s5
	v_cmp_eq_u32_e32 vcc_lo, 4, v78
	v_cmp_eq_u32_e64 s5, 3, v79
	v_cndmask_b32_e64 v17, v17, v10, s6
	v_cndmask_b32_e64 v21, v1, v9, s4
	;; [unrolled: 1-line block ×5, first 2 shown]
	v_cndmask_b32_e32 v17, v17, v3, vcc_lo
	v_cndmask_b32_e64 v20, v20, v14, s5
	v_cndmask_b32_e32 v18, v18, v7, vcc_lo
	v_cmp_eq_u32_e32 vcc_lo, 4, v79
	v_cmp_eq_u32_e64 s5, 5, v79
	v_cmp_eq_u32_e64 s4, 2, v81
	v_cndmask_b32_e64 v21, v21, v2, s8
	v_cmp_eq_u32_e64 s6, 5, v78
	v_cndmask_b32_e32 v19, v19, v3, vcc_lo
	v_cndmask_b32_e32 v20, v20, v7, vcc_lo
	v_cmp_eq_u32_e32 vcc_lo, 6, v79
	s_delay_alu instid0(VALU_DEP_4) | instskip(NEXT) | instid1(VALU_DEP_4)
	v_cndmask_b32_e64 v17, v17, v11, s6
	v_cndmask_b32_e64 v19, v19, v11, s5
	s_delay_alu instid0(VALU_DEP_4) | instskip(SKIP_1) | instid1(VALU_DEP_3)
	v_cndmask_b32_e64 v20, v20, v15, s5
	v_cmp_eq_u32_e64 s5, 1, v81
	v_cndmask_b32_e32 v19, v19, v4, vcc_lo
	v_cndmask_b32_e64 v18, v18, v15, s6
	s_delay_alu instid0(VALU_DEP_3)
	v_cndmask_b32_e64 v1, v1, v9, s5
	v_cndmask_b32_e64 v5, v5, v13, s5
	v_cmp_eq_u32_e64 s5, 3, v77
	v_cndmask_b32_e64 v13, v22, v6, s8
	v_cmp_eq_u32_e64 s8, 3, v81
	v_cndmask_b32_e64 v1, v1, v2, s4
	v_cndmask_b32_e64 v2, v5, v6, s4
	;; [unrolled: 1-line block ×3, first 2 shown]
	v_cmp_eq_u32_e64 s4, 4, v77
	v_cndmask_b32_e64 v6, v13, v14, s5
	v_cndmask_b32_e64 v1, v1, v10, s8
	v_cmp_eq_u32_e64 s5, 4, v81
	v_cndmask_b32_e64 v2, v2, v14, s8
	v_cndmask_b32_e64 v5, v9, v3, s4
	;; [unrolled: 3-line block ×3, first 2 shown]
	v_cndmask_b32_e64 v2, v2, v7, s5
	v_cmp_eq_u32_e64 s4, 5, v81
	v_cmp_eq_u32_e64 s6, 6, v78
	v_cndmask_b32_e64 v5, v5, v11, s8
	v_cmp_eq_u32_e64 s5, 6, v77
	v_cndmask_b32_e64 v3, v6, v15, s8
	v_cndmask_b32_e64 v1, v1, v11, s4
	v_cmp_eq_u32_e64 s8, 6, v81
	v_cndmask_b32_e64 v2, v2, v15, s4
	v_cndmask_b32_e64 v17, v17, v4, s6
	v_cndmask_b32_e64 v18, v18, v8, s6
	v_cmp_eq_u32_e64 s6, 7, v78
	v_cndmask_b32_e64 v5, v5, v4, s5
	;; [unrolled: 4-line block ×3, first 2 shown]
	v_cmp_eq_u32_e64 s5, 7, v77
	v_cndmask_b32_e32 v4, v20, v8, vcc_lo
	v_cndmask_b32_e64 v17, v17, v12, s6
	v_cndmask_b32_e64 v19, v19, v12, s7
	;; [unrolled: 1-line block ×8, first 2 shown]
	v_cmp_gt_u32_e32 vcc_lo, 32, v0
	v_perm_b32 v4, v2, v1, 0x5040100
	v_perm_b32 v3, v3, v5, 0x5040100
	;; [unrolled: 1-line block ×4, first 2 shown]
	s_and_b32 s2, vcc_lo, s2
	ds_store_b128 v76, v[1:4]
	s_waitcnt lgkmcnt(0)
	s_barrier
	buffer_gl0_inv
	s_and_saveexec_b32 s4, s2
	s_cbranch_execz .LBB1782_2
; %bb.111:
	s_load_b64 s[4:5], s[0:1], 0x68
	v_lshlrev_b32_e32 v0, 10, v0
	v_lshlrev_b32_e32 v1, 4, v75
	s_lshl_b32 s0, s36, 6
	v_add_nc_u32_e32 v2, s31, v74
	s_mul_i32 s1, s0, s34
	s_delay_alu instid0(SALU_CYCLE_1) | instskip(SKIP_1) | instid1(VALU_DEP_2)
	s_mul_i32 s6, s1, s9
	v_and_or_b32 v0, 0x3800, v0, v1
	v_mul_lo_u32 v1, v2, s0
	s_ashr_i32 s7, s6, 31
	v_add_nc_u32_e32 v3, 2, v2
	s_lshl_b64 s[6:7], s[6:7], 1
	v_add_nc_u32_e32 v4, 4, v2
	v_add_nc_u32_e32 v5, 6, v2
	v_lshl_or_b32 v15, v74, 6, v0
	v_mul_lo_u32 v3, v3, s0
	v_ashrrev_i32_e32 v2, 31, v1
	v_mul_lo_u32 v19, v4, s0
	v_mul_lo_u32 v21, v5, s0
	s_waitcnt lgkmcnt(0)
	s_add_u32 s1, s4, s6
	s_addc_u32 s2, s5, s7
	s_lshl_b32 s4, s14, 6
	v_lshlrev_b64 v[5:6], 1, v[1:2]
	s_ashr_i32 s5, s4, 31
	v_ashrrev_i32_e32 v4, 31, v3
	s_lshl_b64 s[4:5], s[4:5], 1
	v_ashrrev_i32_e32 v20, 31, v19
	s_add_u32 s1, s1, s4
	s_addc_u32 s2, s2, s5
	v_add_co_u32 v1, s1, s1, v73
	s_delay_alu instid0(VALU_DEP_1) | instskip(SKIP_1) | instid1(VALU_DEP_3)
	v_add_co_ci_u32_e64 v2, null, s2, 0, s1
	v_lshlrev_b64 v[25:26], 1, v[3:4]
	v_add_co_u32 v23, vcc_lo, v1, v5
	s_delay_alu instid0(VALU_DEP_3)
	v_add_co_ci_u32_e32 v24, vcc_lo, v2, v6, vcc_lo
	ds_load_b128 v[3:6], v15
	ds_load_b128 v[7:10], v15 offset:128
	ds_load_b128 v[11:14], v15 offset:256
	;; [unrolled: 1-line block ×3, first 2 shown]
	v_ashrrev_i32_e32 v22, 31, v21
	v_lshlrev_b64 v[19:20], 1, v[19:20]
	v_add_co_u32 v25, vcc_lo, v1, v25
	v_add_co_ci_u32_e32 v26, vcc_lo, v2, v26, vcc_lo
	s_delay_alu instid0(VALU_DEP_4) | instskip(NEXT) | instid1(VALU_DEP_4)
	v_lshlrev_b64 v[21:22], 1, v[21:22]
	v_add_co_u32 v19, vcc_lo, v1, v19
	v_add_co_ci_u32_e32 v20, vcc_lo, v2, v20, vcc_lo
	s_delay_alu instid0(VALU_DEP_3) | instskip(NEXT) | instid1(VALU_DEP_4)
	v_add_co_u32 v21, vcc_lo, v1, v21
	v_add_co_ci_u32_e32 v22, vcc_lo, v2, v22, vcc_lo
	s_waitcnt lgkmcnt(3)
	global_store_b128 v[23:24], v[3:6], off
	s_waitcnt lgkmcnt(2)
	global_store_b128 v[25:26], v[7:10], off
	;; [unrolled: 2-line block ×4, first 2 shown]
	s_and_b32 exec_lo, exec_lo, s3
	s_cbranch_execz .LBB1782_2
; %bb.112:
	ds_load_b128 v[3:6], v0 offset:512
	s_add_i32 s1, s31, 8
	s_delay_alu instid0(SALU_CYCLE_1) | instskip(NEXT) | instid1(SALU_CYCLE_1)
	s_mul_i32 s0, s1, s0
	s_ashr_i32 s1, s0, 31
	s_delay_alu instid0(SALU_CYCLE_1) | instskip(NEXT) | instid1(SALU_CYCLE_1)
	s_lshl_b64 s[0:1], s[0:1], 1
	v_add_co_u32 v0, vcc_lo, v1, s0
	v_add_co_ci_u32_e32 v1, vcc_lo, s1, v2, vcc_lo
	s_waitcnt lgkmcnt(0)
	global_store_b128 v[0:1], v[3:6], off
	s_nop 0
	s_sendmsg sendmsg(MSG_DEALLOC_VGPRS)
	s_endpgm
	.section	.rodata,"a",@progbits
	.p2align	6, 0x0
	.amdhsa_kernel _Z39paged_attention_ll4mi_QKV_mfma16_kernelI14__hip_bfloat16hLN4vllm18Fp8KVCacheDataTypeE1ES0_Li32ELi64ELi256ELb0ELi9EL8MFMAType0EEvPKT_PKT0_S9_ifPKiSB_SB_iPKfiiiPfSE_PS4_PT2_iSD_SD_
		.amdhsa_group_segment_fixed_size 17472
		.amdhsa_private_segment_fixed_size 0
		.amdhsa_kernarg_size 400
		.amdhsa_user_sgpr_count 13
		.amdhsa_user_sgpr_dispatch_ptr 0
		.amdhsa_user_sgpr_queue_ptr 0
		.amdhsa_user_sgpr_kernarg_segment_ptr 1
		.amdhsa_user_sgpr_dispatch_id 0
		.amdhsa_user_sgpr_private_segment_size 0
		.amdhsa_wavefront_size32 1
		.amdhsa_uses_dynamic_stack 0
		.amdhsa_enable_private_segment 0
		.amdhsa_system_sgpr_workgroup_id_x 1
		.amdhsa_system_sgpr_workgroup_id_y 1
		.amdhsa_system_sgpr_workgroup_id_z 1
		.amdhsa_system_sgpr_workgroup_info 0
		.amdhsa_system_vgpr_workitem_id 0
		.amdhsa_next_free_vgpr 124
		.amdhsa_next_free_sgpr 42
		.amdhsa_reserve_vcc 1
		.amdhsa_float_round_mode_32 0
		.amdhsa_float_round_mode_16_64 0
		.amdhsa_float_denorm_mode_32 3
		.amdhsa_float_denorm_mode_16_64 3
		.amdhsa_dx10_clamp 1
		.amdhsa_ieee_mode 1
		.amdhsa_fp16_overflow 0
		.amdhsa_workgroup_processor_mode 1
		.amdhsa_memory_ordered 1
		.amdhsa_forward_progress 0
		.amdhsa_shared_vgpr_count 0
		.amdhsa_exception_fp_ieee_invalid_op 0
		.amdhsa_exception_fp_denorm_src 0
		.amdhsa_exception_fp_ieee_div_zero 0
		.amdhsa_exception_fp_ieee_overflow 0
		.amdhsa_exception_fp_ieee_underflow 0
		.amdhsa_exception_fp_ieee_inexact 0
		.amdhsa_exception_int_div_zero 0
	.end_amdhsa_kernel
	.section	.text._Z39paged_attention_ll4mi_QKV_mfma16_kernelI14__hip_bfloat16hLN4vllm18Fp8KVCacheDataTypeE1ES0_Li32ELi64ELi256ELb0ELi9EL8MFMAType0EEvPKT_PKT0_S9_ifPKiSB_SB_iPKfiiiPfSE_PS4_PT2_iSD_SD_,"axG",@progbits,_Z39paged_attention_ll4mi_QKV_mfma16_kernelI14__hip_bfloat16hLN4vllm18Fp8KVCacheDataTypeE1ES0_Li32ELi64ELi256ELb0ELi9EL8MFMAType0EEvPKT_PKT0_S9_ifPKiSB_SB_iPKfiiiPfSE_PS4_PT2_iSD_SD_,comdat
.Lfunc_end1782:
	.size	_Z39paged_attention_ll4mi_QKV_mfma16_kernelI14__hip_bfloat16hLN4vllm18Fp8KVCacheDataTypeE1ES0_Li32ELi64ELi256ELb0ELi9EL8MFMAType0EEvPKT_PKT0_S9_ifPKiSB_SB_iPKfiiiPfSE_PS4_PT2_iSD_SD_, .Lfunc_end1782-_Z39paged_attention_ll4mi_QKV_mfma16_kernelI14__hip_bfloat16hLN4vllm18Fp8KVCacheDataTypeE1ES0_Li32ELi64ELi256ELb0ELi9EL8MFMAType0EEvPKT_PKT0_S9_ifPKiSB_SB_iPKfiiiPfSE_PS4_PT2_iSD_SD_
                                        ; -- End function
	.section	.AMDGPU.csdata,"",@progbits
; Kernel info:
; codeLenInByte = 8856
; NumSgprs: 44
; NumVgprs: 124
; ScratchSize: 0
; MemoryBound: 0
; FloatMode: 240
; IeeeMode: 1
; LDSByteSize: 17472 bytes/workgroup (compile time only)
; SGPRBlocks: 5
; VGPRBlocks: 15
; NumSGPRsForWavesPerEU: 44
; NumVGPRsForWavesPerEU: 124
; Occupancy: 10
; WaveLimiterHint : 1
; COMPUTE_PGM_RSRC2:SCRATCH_EN: 0
; COMPUTE_PGM_RSRC2:USER_SGPR: 13
; COMPUTE_PGM_RSRC2:TRAP_HANDLER: 0
; COMPUTE_PGM_RSRC2:TGID_X_EN: 1
; COMPUTE_PGM_RSRC2:TGID_Y_EN: 1
; COMPUTE_PGM_RSRC2:TGID_Z_EN: 1
; COMPUTE_PGM_RSRC2:TIDIG_COMP_CNT: 0
	.section	.text._Z39paged_attention_ll4mi_QKV_mfma16_kernelI14__hip_bfloat16hLN4vllm18Fp8KVCacheDataTypeE1ES0_Li32ELi64ELi256ELb0ELi10EL8MFMAType0EEvPKT_PKT0_S9_ifPKiSB_SB_iPKfiiiPfSE_PS4_PT2_iSD_SD_,"axG",@progbits,_Z39paged_attention_ll4mi_QKV_mfma16_kernelI14__hip_bfloat16hLN4vllm18Fp8KVCacheDataTypeE1ES0_Li32ELi64ELi256ELb0ELi10EL8MFMAType0EEvPKT_PKT0_S9_ifPKiSB_SB_iPKfiiiPfSE_PS4_PT2_iSD_SD_,comdat
	.protected	_Z39paged_attention_ll4mi_QKV_mfma16_kernelI14__hip_bfloat16hLN4vllm18Fp8KVCacheDataTypeE1ES0_Li32ELi64ELi256ELb0ELi10EL8MFMAType0EEvPKT_PKT0_S9_ifPKiSB_SB_iPKfiiiPfSE_PS4_PT2_iSD_SD_ ; -- Begin function _Z39paged_attention_ll4mi_QKV_mfma16_kernelI14__hip_bfloat16hLN4vllm18Fp8KVCacheDataTypeE1ES0_Li32ELi64ELi256ELb0ELi10EL8MFMAType0EEvPKT_PKT0_S9_ifPKiSB_SB_iPKfiiiPfSE_PS4_PT2_iSD_SD_
	.globl	_Z39paged_attention_ll4mi_QKV_mfma16_kernelI14__hip_bfloat16hLN4vllm18Fp8KVCacheDataTypeE1ES0_Li32ELi64ELi256ELb0ELi10EL8MFMAType0EEvPKT_PKT0_S9_ifPKiSB_SB_iPKfiiiPfSE_PS4_PT2_iSD_SD_
	.p2align	8
	.type	_Z39paged_attention_ll4mi_QKV_mfma16_kernelI14__hip_bfloat16hLN4vllm18Fp8KVCacheDataTypeE1ES0_Li32ELi64ELi256ELb0ELi10EL8MFMAType0EEvPKT_PKT0_S9_ifPKiSB_SB_iPKfiiiPfSE_PS4_PT2_iSD_SD_,@function
_Z39paged_attention_ll4mi_QKV_mfma16_kernelI14__hip_bfloat16hLN4vllm18Fp8KVCacheDataTypeE1ES0_Li32ELi64ELi256ELb0ELi10EL8MFMAType0EEvPKT_PKT0_S9_ifPKiSB_SB_iPKfiiiPfSE_PS4_PT2_iSD_SD_: ; @_Z39paged_attention_ll4mi_QKV_mfma16_kernelI14__hip_bfloat16hLN4vllm18Fp8KVCacheDataTypeE1ES0_Li32ELi64ELi256ELb0ELi10EL8MFMAType0EEvPKT_PKT0_S9_ifPKiSB_SB_iPKfiiiPfSE_PS4_PT2_iSD_SD_
; %bb.0:
	s_load_b64 s[2:3], s[0:1], 0x30
	s_mov_b32 s30, s13
	s_waitcnt lgkmcnt(0)
	s_cmp_lg_u64 s[2:3], 0
	s_cselect_b32 s8, -1, 0
	s_ashr_i32 s31, s13, 31
	s_cmp_eq_u64 s[2:3], 0
	s_cbranch_scc1 .LBB1783_3
; %bb.1:
	s_lshl_b64 s[4:5], s[30:31], 2
	s_delay_alu instid0(SALU_CYCLE_1) | instskip(SKIP_4) | instid1(SALU_CYCLE_1)
	s_add_u32 s4, s2, s4
	s_addc_u32 s5, s3, s5
	s_load_b64 s[4:5], s[4:5], 0x0
	s_waitcnt lgkmcnt(0)
	s_sub_i32 s4, s5, s4
	s_cmp_eq_u32 s4, 1
	s_cselect_b32 s4, -1, 0
	s_delay_alu instid0(SALU_CYCLE_1)
	s_and_not1_b32 vcc_lo, exec_lo, s4
	s_cbranch_vccz .LBB1783_4
.LBB1783_2:
	s_endpgm
.LBB1783_3:
.LBB1783_4:
	s_load_b64 s[4:5], s[0:1], 0x28
	s_lshl_b64 s[6:7], s[30:31], 2
	s_waitcnt lgkmcnt(0)
	s_add_u32 s4, s4, s6
	s_addc_u32 s5, s5, s7
	s_lshl_b32 s12, s14, 8
	s_load_b32 s24, s[4:5], 0x0
	s_waitcnt lgkmcnt(0)
	s_cmp_ge_i32 s12, s24
	s_cbranch_scc1 .LBB1783_2
; %bb.5:
	s_clause 0x1
	s_load_b128 s[20:23], s[0:1], 0x8
	s_load_b64 s[4:5], s[0:1], 0x20
	s_and_not1_b32 vcc_lo, exec_lo, s8
	s_cbranch_vccnz .LBB1783_7
; %bb.6:
	s_add_u32 s2, s2, s6
	s_addc_u32 s3, s3, s7
	s_load_b32 s3, s[2:3], 0x0
	s_branch .LBB1783_8
.LBB1783_7:
	s_mov_b32 s3, s30
.LBB1783_8:
	s_load_b128 s[16:19], s[0:1], 0x48
	v_and_b32_e32 v65, 15, v0
	v_cmp_gt_u32_e32 vcc_lo, 0xa0, v0
	v_lshrrev_b32_e32 v66, 5, v0
	v_and_b32_e32 v67, 31, v0
	v_and_b32_e32 v75, 1, v0
	v_lshlrev_b32_e32 v1, 3, v65
	v_cmp_gt_u32_e64 s2, 8, v65
	v_bfe_u32 v74, v0, 4, 1
	s_mul_i32 s31, s15, 10
	s_delay_alu instid0(VALU_DEP_3) | instskip(NEXT) | instid1(VALU_DEP_3)
	v_lshlrev_b32_e32 v73, 1, v1
	s_and_b32 s7, vcc_lo, s2
	s_delay_alu instid0(SALU_CYCLE_1)
	s_and_saveexec_b32 s6, s7
	s_cbranch_execz .LBB1783_10
; %bb.9:
	s_load_b64 s[8:9], s[0:1], 0x0
	v_lshl_or_b32 v5, v66, 1, v74
	s_waitcnt lgkmcnt(0)
	s_mul_hi_i32 s11, s3, s16
	s_mul_i32 s10, s3, s16
	v_lshlrev_b32_e32 v6, 10, v65
	s_lshl_b64 s[10:11], s[10:11], 1
	v_add_lshl_u32 v1, v5, s31, 6
	v_lshlrev_b32_e32 v5, 6, v5
	v_lshlrev_b32_e32 v7, 10, v75
	v_and_b32_e32 v6, 0x3800, v6
	s_delay_alu instid0(VALU_DEP_4) | instskip(NEXT) | instid1(VALU_DEP_2)
	v_ashrrev_i32_e32 v2, 31, v1
	v_or3_b32 v5, v6, v7, v5
	s_delay_alu instid0(VALU_DEP_2) | instskip(SKIP_2) | instid1(VALU_DEP_1)
	v_lshlrev_b64 v[1:2], 1, v[1:2]
	s_add_u32 s3, s8, s10
	s_addc_u32 s7, s9, s11
	v_add_co_u32 v1, vcc_lo, s3, v1
	s_delay_alu instid0(VALU_DEP_2) | instskip(NEXT) | instid1(VALU_DEP_2)
	v_add_co_ci_u32_e32 v2, vcc_lo, s7, v2, vcc_lo
	v_add_co_u32 v1, vcc_lo, v1, v73
	s_delay_alu instid0(VALU_DEP_2)
	v_add_co_ci_u32_e32 v2, vcc_lo, 0, v2, vcc_lo
	global_load_b128 v[1:4], v[1:2], off
	s_waitcnt vmcnt(0)
	ds_store_b128 v5, v[1:4]
.LBB1783_10:
	s_or_b32 exec_lo, exec_lo, s6
	v_and_b32_e32 v1, 0xef, v0
	s_waitcnt lgkmcnt(0)
	s_add_i32 s3, s24, 31
	s_clause 0x1
	s_load_b32 s6, s[0:1], 0x38
	s_load_b32 s19, s[0:1], 0x1c
	s_ashr_i32 s7, s3, 31
	v_add_nc_u32_e32 v1, s12, v1
	s_lshr_b32 s7, s7, 27
	s_waitcnt lgkmcnt(0)
	s_add_i32 s3, s3, s7
	s_barrier
	v_ashrrev_i32_e32 v2, 31, v1
	v_or_b32_e32 v3, 16, v1
	s_ashr_i32 s3, s3, 5
	v_cmp_gt_i32_e32 vcc_lo, s24, v1
	s_add_i32 s3, s3, -1
	v_lshrrev_b32_e32 v2, 27, v2
	buffer_gl0_inv
	s_mul_i32 s27, s15, s18
	v_add_nc_u32_e32 v4, v1, v2
	s_mul_i32 s6, s30, s6
	s_delay_alu instid0(SALU_CYCLE_1) | instskip(NEXT) | instid1(VALU_DEP_1)
	s_ashr_i32 s7, s6, 31
	v_ashrrev_i32_e32 v4, 5, v4
	v_add_nc_u32_e32 v2, v3, v2
	s_lshl_b64 s[6:7], s[6:7], 2
	s_delay_alu instid0(SALU_CYCLE_1) | instskip(NEXT) | instid1(VALU_DEP_2)
	s_add_u32 s26, s4, s6
	v_cndmask_b32_e32 v1, s3, v4, vcc_lo
	s_delay_alu instid0(VALU_DEP_2)
	v_ashrrev_i32_e32 v2, 5, v2
	v_cmp_gt_i32_e32 vcc_lo, s24, v3
	s_addc_u32 s25, s5, s7
	s_ashr_i32 s28, s27, 31
	s_add_u32 s4, s20, s27
	s_addc_u32 s5, s21, s28
	v_cndmask_b32_e32 v3, s3, v2, vcc_lo
	v_ashrrev_i32_e32 v2, 31, v1
	s_lshl_b32 s6, s14, 3
	s_delay_alu instid0(SALU_CYCLE_1) | instskip(NEXT) | instid1(VALU_DEP_2)
	s_ashr_i32 s7, s6, 31
	v_ashrrev_i32_e32 v4, 31, v3
	s_delay_alu instid0(VALU_DEP_2) | instskip(SKIP_1) | instid1(SALU_CYCLE_1)
	v_lshlrev_b64 v[1:2], 2, v[1:2]
	s_lshl_b64 s[6:7], s[6:7], 2
	s_add_u32 s6, s26, s6
	s_delay_alu instid0(VALU_DEP_2) | instskip(SKIP_1) | instid1(VALU_DEP_2)
	v_lshlrev_b64 v[3:4], 2, v[3:4]
	s_addc_u32 s7, s25, s7
	v_add_co_u32 v1, vcc_lo, s26, v1
	v_add_co_ci_u32_e32 v2, vcc_lo, s25, v2, vcc_lo
	s_delay_alu instid0(VALU_DEP_3) | instskip(NEXT) | instid1(VALU_DEP_4)
	v_add_co_u32 v3, vcc_lo, s26, v3
	v_add_co_ci_u32_e32 v4, vcc_lo, s25, v4, vcc_lo
	s_clause 0x1
	global_load_b32 v5, v[1:2], off
	global_load_b32 v6, v[3:4], off
	s_or_b32 s8, s12, 32
	s_delay_alu instid0(SALU_CYCLE_1) | instskip(SKIP_2) | instid1(SALU_CYCLE_1)
	s_ashr_i32 s9, s8, 5
	s_cmp_lt_i32 s8, s24
	s_cselect_b32 s8, s9, s3
	s_ashr_i32 s9, s8, 31
	s_delay_alu instid0(SALU_CYCLE_1) | instskip(NEXT) | instid1(SALU_CYCLE_1)
	s_lshl_b64 s[8:9], s[8:9], 2
	s_add_u32 s8, s26, s8
	s_addc_u32 s9, s25, s9
	s_or_b32 s10, s12, 64
	s_delay_alu instid0(SALU_CYCLE_1) | instskip(SKIP_2) | instid1(SALU_CYCLE_1)
	s_ashr_i32 s11, s10, 5
	s_cmp_lt_i32 s10, s24
	s_cselect_b32 s10, s11, s3
	s_ashr_i32 s11, s10, 31
	s_delay_alu instid0(SALU_CYCLE_1) | instskip(NEXT) | instid1(SALU_CYCLE_1)
	s_lshl_b64 s[10:11], s[10:11], 2
	s_add_u32 s10, s26, s10
	s_addc_u32 s11, s25, s11
	;; [unrolled: 10-line block ×5, first 2 shown]
	s_clause 0x5
	s_load_b32 s21, s[6:7], 0x0
	s_load_b32 s13, s[8:9], 0x0
	;; [unrolled: 1-line block ×6, first 2 shown]
	s_or_b32 s8, s12, 0xc0
	s_delay_alu instid0(SALU_CYCLE_1) | instskip(SKIP_2) | instid1(SALU_CYCLE_1)
	s_ashr_i32 s9, s8, 5
	s_cmp_lt_i32 s8, s24
	s_cselect_b32 s34, s9, s3
	s_ashr_i32 s35, s34, 31
	s_delay_alu instid0(SALU_CYCLE_1) | instskip(NEXT) | instid1(SALU_CYCLE_1)
	s_lshl_b64 s[34:35], s[34:35], 2
	s_add_u32 s34, s26, s34
	s_addc_u32 s35, s25, s35
	s_or_b32 s29, s12, 0xe0
	s_delay_alu instid0(SALU_CYCLE_1)
	s_ashr_i32 s33, s29, 5
	s_cmp_lt_i32 s29, s24
	s_waitcnt vmcnt(1)
	v_mad_i64_i32 v[1:2], null, v5, s17, s[4:5]
	s_waitcnt vmcnt(0)
	v_mad_i64_i32 v[3:4], null, v6, s17, s[4:5]
	s_mov_b32 s4, 0
	s_delay_alu instid0(SALU_CYCLE_1)
	s_mov_b32 s5, s4
	s_mov_b32 s6, s4
	;; [unrolled: 1-line block ×7, first 2 shown]
	v_lshlrev_b32_e32 v5, 4, v65
	v_dual_mov_b32 v107, s11 :: v_dual_mov_b32 v102, s6
	v_mov_b32_e32 v100, s4
	v_mov_b32_e32 v106, s10
	s_delay_alu instid0(VALU_DEP_4)
	v_add_co_u32 v1, vcc_lo, v1, v5
	v_add_co_ci_u32_e32 v2, vcc_lo, 0, v2, vcc_lo
	v_add_co_u32 v3, vcc_lo, v3, v5
	v_add_co_ci_u32_e32 v4, vcc_lo, 0, v4, vcc_lo
	s_clause 0x7
	global_load_b128 v[49:52], v[1:2], off
	global_load_b128 v[53:56], v[1:2], off offset:512
	global_load_b128 v[76:79], v[3:4], off offset:256
	;; [unrolled: 1-line block ×7, first 2 shown]
	v_add_nc_u32_e32 v1, -10, v65
	v_cmp_gt_u32_e32 vcc_lo, 10, v65
	v_dual_mov_b32 v104, s8 :: v_dual_mov_b32 v103, s7
	v_dual_mov_b32 v101, s5 :: v_dual_lshlrev_b32 v2, 5, v65
	s_delay_alu instid0(VALU_DEP_4)
	v_cndmask_b32_e32 v1, v1, v65, vcc_lo
	v_mov_b32_e32 v105, s9
	s_cselect_b32 s4, s33, s3
	s_load_b32 s3, s[34:35], 0x0
	s_ashr_i32 s5, s4, 31
	v_lshlrev_b32_e32 v70, 6, v1
	s_lshl_b64 s[4:5], s[4:5], 2
	v_lshl_or_b32 v2, v66, 9, v2
	s_add_u32 s4, s26, s4
	s_addc_u32 s5, s25, s5
	ds_load_b128 v[108:111], v70
	ds_load_b128 v[112:115], v70 offset:1024
	s_load_b32 s4, s[4:5], 0x0
	s_add_u32 s6, s22, s27
	s_addc_u32 s7, s23, s28
	v_add_co_u32 v9, s6, s6, v2
	s_delay_alu instid0(VALU_DEP_1) | instskip(SKIP_1) | instid1(VALU_DEP_1)
	v_add_co_ci_u32_e64 v10, null, s7, 0, s6
	s_waitcnt lgkmcnt(0)
	v_mad_i64_i32 v[1:2], null, s21, s17, v[9:10]
	v_mad_i64_i32 v[3:4], null, s13, s17, v[9:10]
	;; [unrolled: 1-line block ×7, first 2 shown]
	s_clause 0x9
	global_load_b128 v[57:60], v[1:2], off
	global_load_b128 v[61:64], v[1:2], off offset:16
	global_load_b128 v[41:44], v[3:4], off
	global_load_b128 v[45:48], v[3:4], off offset:16
	;; [unrolled: 2-line block ×5, first 2 shown]
	v_mad_i64_i32 v[68:69], null, s4, s17, v[9:10]
	s_clause 0x3
	global_load_b128 v[9:12], v[13:14], off
	global_load_b128 v[13:16], v[13:14], off offset:16
	global_load_b128 v[17:20], v[21:22], off
	global_load_b128 v[21:24], v[21:22], off offset:16
	s_waitcnt vmcnt(20)
	v_wmma_f32_16x16x16_bf16 v[116:123], v[49:56], v[108:115], v[100:107]
	s_clause 0x1
	global_load_b128 v[49:52], v[68:69], off
	global_load_b128 v[53:56], v[68:69], off offset:16
	v_and_b32_e32 v68, 0xe0, v0
	v_mbcnt_lo_u32_b32 v69, -1, 0
	s_delay_alu instid0(VALU_DEP_2)
	v_add_nc_u32_e32 v68, s12, v68
	s_waitcnt vmcnt(20)
	v_wmma_f32_16x16x16_bf16 v[100:107], v[76:83], v[108:115], v[100:107]
	ds_load_b128 v[76:79], v70 offset:2048
	ds_load_b128 v[80:83], v70 offset:3072
	v_xor_b32_e32 v70, 16, v69
	s_waitcnt vmcnt(0) lgkmcnt(0)
	v_or_b32_e32 v68, v68, v74
	s_barrier
	buffer_gl0_inv
	v_cmp_gt_i32_e32 vcc_lo, 32, v70
	v_or_b32_e32 v71, 4, v68
	v_or_b32_e32 v72, 6, v68
	v_cmp_gt_i32_e64 s3, s24, v68
	v_or_b32_e32 v108, 8, v68
	v_or_b32_e32 v109, 10, v68
	v_cmp_gt_i32_e64 s4, s24, v71
	v_cmp_gt_i32_e64 s5, s24, v72
	s_delay_alu instid0(VALU_DEP_4) | instskip(NEXT) | instid1(VALU_DEP_4)
	v_cmp_gt_i32_e64 s6, s24, v108
	v_cmp_gt_i32_e64 s7, s24, v109
	v_wmma_f32_16x16x16_bf16 v[116:123], v[84:91], v[76:83], v[116:123]
	v_cndmask_b32_e32 v69, v69, v70, vcc_lo
	v_or_b32_e32 v70, 2, v68
	v_wmma_f32_16x16x16_bf16 v[100:107], v[92:99], v[76:83], v[100:107]
	v_or_b32_e32 v89, 22, v68
	v_dual_mul_f32 v80, s19, v121 :: v_dual_mul_f32 v81, s19, v120
	v_dual_mul_f32 v92, s19, v117 :: v_dual_mul_f32 v93, s19, v116
	s_delay_alu instid0(VALU_DEP_4)
	v_mul_f32_e32 v96, s19, v105
	v_cmp_gt_i32_e32 vcc_lo, s24, v70
	v_dual_mul_f32 v79, s19, v122 :: v_dual_mul_f32 v82, s19, v119
	v_dual_mul_f32 v83, s19, v118 :: v_dual_mul_f32 v94, s19, v107
	v_cndmask_b32_e64 v93, 0xff7fffff, v93, s3
	v_cndmask_b32_e32 v92, 0xff7fffff, v92, vcc_lo
	v_or_b32_e32 v84, 12, v68
	v_or_b32_e32 v85, 14, v68
	v_cndmask_b32_e64 v71, 0xff7fffff, v83, s4
	v_cndmask_b32_e64 v72, 0xff7fffff, v82, s5
	v_cmp_gt_i32_e64 s13, s24, v89
	v_lshlrev_b32_e32 v89, 2, v69
	v_max3_f32 v82, v93, 0xff7fffff, v92
	v_or_b32_e32 v86, 16, v68
	v_or_b32_e32 v87, 18, v68
	v_mul_f32_e32 v78, s19, v123
	v_cndmask_b32_e64 v81, 0xff7fffff, v81, s6
	v_cndmask_b32_e64 v80, 0xff7fffff, v80, s7
	v_max3_f32 v71, v82, v71, v72
	v_cmp_gt_i32_e64 s8, s24, v84
	v_cmp_gt_i32_e64 s9, s24, v85
	v_or_b32_e32 v88, 20, v68
	v_or_b32_e32 v90, 24, v68
	;; [unrolled: 1-line block ×5, first 2 shown]
	v_dual_mul_f32 v97, s19, v104 :: v_dual_mul_f32 v70, s19, v101
	v_dual_mul_f32 v99, s19, v102 :: v_dual_mul_f32 v68, s19, v100
	v_cndmask_b32_e64 v72, 0xff7fffff, v79, s8
	v_cndmask_b32_e64 v78, 0xff7fffff, v78, s9
	v_max3_f32 v71, v71, v81, v80
	v_cmp_gt_i32_e64 s10, s24, v86
	v_cmp_gt_i32_e64 s11, s24, v87
	v_dual_mul_f32 v95, s19, v106 :: v_dual_mul_f32 v98, s19, v103
	s_delay_alu instid0(VALU_DEP_4) | instskip(NEXT) | instid1(VALU_DEP_4)
	v_max3_f32 v71, v71, v72, v78
	v_cndmask_b32_e64 v68, 0xff7fffff, v68, s10
	s_delay_alu instid0(VALU_DEP_4)
	v_cndmask_b32_e64 v70, 0xff7fffff, v70, s11
	v_cmp_gt_i32_e64 s12, s24, v88
	v_cndmask_b32_e64 v78, 0xff7fffff, v98, s13
	v_cmp_gt_i32_e64 s15, s24, v90
	v_cmp_gt_i32_e64 s16, s24, v91
	v_max3_f32 v68, v71, v68, v70
	v_cndmask_b32_e64 v72, 0xff7fffff, v99, s12
	v_cmp_gt_i32_e64 s17, s24, v76
	v_cndmask_b32_e64 v70, 0xff7fffff, v97, s15
	v_cndmask_b32_e64 v71, 0xff7fffff, v96, s16
	v_cmp_gt_i32_e64 s18, s24, v77
	v_max3_f32 v68, v68, v72, v78
	v_cndmask_b32_e64 v72, 0xff7fffff, v95, s17
	s_delay_alu instid0(VALU_DEP_3) | instskip(NEXT) | instid1(VALU_DEP_3)
	v_cndmask_b32_e64 v76, 0xff7fffff, v94, s18
	v_max3_f32 v68, v68, v70, v71
	s_delay_alu instid0(VALU_DEP_1) | instskip(SKIP_3) | instid1(VALU_DEP_1)
	v_max3_f32 v68, v68, v72, v76
	ds_bpermute_b32 v69, v89, v68
	s_waitcnt lgkmcnt(0)
	v_max_f32_e32 v69, v69, v69
	v_max_f32_e32 v68, v68, v69
	s_delay_alu instid0(VALU_DEP_1) | instskip(NEXT) | instid1(VALU_DEP_1)
	v_fma_f32 v71, s19, v118, -v68
	v_mul_f32_e32 v71, 0x3fb8aa3b, v71
	v_fma_f32 v70, s19, v117, -v68
	v_fma_f32 v69, s19, v116, -v68
	;; [unrolled: 1-line block ×5, first 2 shown]
	s_delay_alu instid0(VALU_DEP_4) | instskip(SKIP_1) | instid1(VALU_DEP_3)
	v_dual_mul_f32 v70, 0x3fb8aa3b, v70 :: v_dual_mul_f32 v69, 0x3fb8aa3b, v69
	v_exp_f32_e32 v71, v71
	v_mul_f32_e32 v72, 0x3fb8aa3b, v72
	v_fma_f32 v81, s19, v105, -v68
	s_delay_alu instid0(VALU_DEP_3)
	v_exp_f32_e32 v70, v70
	v_mul_f32_e32 v77, 0x3fb8aa3b, v76
	v_exp_f32_e32 v69, v69
	v_exp_f32_e32 v72, v72
	v_mul_f32_e32 v81, 0x3fb8aa3b, v81
	v_cndmask_b32_e64 v83, 0, v71, s4
	v_fma_f32 v71, s19, v123, -v68
	s_delay_alu instid0(VALU_DEP_3) | instskip(SKIP_4) | instid1(TRANS32_DEP_3)
	v_exp_f32_e32 v81, v81
	v_cndmask_b32_e32 v76, 0, v70, vcc_lo
	v_exp_f32_e32 v77, v77
	v_cndmask_b32_e64 v80, 0, v69, s3
	v_fma_f32 v69, s19, v121, -v68
	v_cndmask_b32_e64 v85, 0, v72, s5
	v_mul_f32_e32 v71, 0x3fb8aa3b, v71
	v_fma_f32 v72, s19, v100, -v68
	s_delay_alu instid0(VALU_DEP_4) | instskip(SKIP_1) | instid1(VALU_DEP_3)
	v_dual_add_f32 v70, 0, v80 :: v_dual_mul_f32 v69, 0x3fb8aa3b, v69
	s_mov_b32 s3, exec_lo
	v_exp_f32_e32 v71, v71
	s_delay_alu instid0(TRANS32_DEP_2) | instskip(SKIP_4) | instid1(VALU_DEP_3)
	v_cndmask_b32_e64 v86, 0, v77, s6
	v_fma_f32 v77, s19, v101, -v68
	v_mul_f32_e32 v78, 0x3fb8aa3b, v78
	v_add_f32_e32 v70, v70, v76
	v_exp_f32_e32 v69, v69
	v_mul_f32_e32 v77, 0x3fb8aa3b, v77
	s_delay_alu instid0(VALU_DEP_3) | instskip(NEXT) | instid1(TRANS32_DEP_3)
	v_exp_f32_e32 v78, v78
	v_cndmask_b32_e64 v88, 0, v71, s9
	v_fma_f32 v71, s19, v104, -v68
	s_delay_alu instid0(VALU_DEP_3) | instskip(NEXT) | instid1(TRANS32_DEP_3)
	v_exp_f32_e32 v77, v77
	v_cndmask_b32_e64 v87, 0, v69, s7
	s_delay_alu instid0(VALU_DEP_2)
	v_mul_f32_e32 v71, 0x3fb8aa3b, v71
	s_waitcnt_depctr 0xfff
	v_cndmask_b32_e64 v84, 0, v78, s8
	v_add_f32_e32 v70, v70, v83
	v_fma_f32 v78, s19, v103, -v68
	v_exp_f32_e32 v82, v71
	s_delay_alu instid0(VALU_DEP_2) | instskip(SKIP_1) | instid1(VALU_DEP_3)
	v_add_f32_e32 v70, v70, v85
	v_mul_f32_e32 v72, 0x3fb8aa3b, v72
	v_mul_f32_e32 v78, 0x3fb8aa3b, v78
	s_delay_alu instid0(VALU_DEP_3) | instskip(SKIP_1) | instid1(VALU_DEP_4)
	v_add_f32_e32 v69, v70, v86
	v_fma_f32 v70, s19, v102, -v68
	v_exp_f32_e32 v72, v72
	s_delay_alu instid0(VALU_DEP_3) | instskip(NEXT) | instid1(VALU_DEP_1)
	v_exp_f32_e32 v78, v78
	v_dual_add_f32 v69, v69, v87 :: v_dual_mul_f32 v70, 0x3fb8aa3b, v70
	s_delay_alu instid0(VALU_DEP_1) | instskip(NEXT) | instid1(VALU_DEP_2)
	v_add_f32_e32 v69, v69, v84
	v_exp_f32_e32 v79, v70
	s_delay_alu instid0(TRANS32_DEP_3) | instskip(NEXT) | instid1(VALU_DEP_2)
	v_cndmask_b32_e64 v70, 0, v72, s10
	v_add_f32_e32 v72, v69, v88
	v_cndmask_b32_e64 v69, 0, v77, s11
	v_fma_f32 v77, s19, v106, -v68
	s_waitcnt_depctr 0xfff
	v_cndmask_b32_e64 v71, 0, v79, s12
	v_dual_mul_f32 v77, 0x3fb8aa3b, v77 :: v_dual_add_f32 v72, v72, v70
	s_delay_alu instid0(VALU_DEP_1) | instskip(NEXT) | instid1(VALU_DEP_1)
	v_exp_f32_e32 v90, v77
	v_add_f32_e32 v79, v72, v69
	v_cndmask_b32_e64 v72, 0, v78, s13
	v_cndmask_b32_e64 v77, 0, v82, s15
	s_delay_alu instid0(VALU_DEP_3) | instskip(SKIP_1) | instid1(VALU_DEP_1)
	v_add_f32_e32 v78, v79, v71
	v_fma_f32 v79, s19, v107, -v68
	v_dual_add_f32 v82, v78, v72 :: v_dual_mul_f32 v79, 0x3fb8aa3b, v79
	v_cndmask_b32_e64 v78, 0, v81, s16
	s_delay_alu instid0(VALU_DEP_2) | instskip(NEXT) | instid1(VALU_DEP_3)
	v_add_f32_e32 v81, v82, v77
	v_exp_f32_e32 v82, v79
	v_cndmask_b32_e64 v79, 0, v90, s17
	s_delay_alu instid0(VALU_DEP_2) | instskip(NEXT) | instid1(VALU_DEP_1)
	v_add_f32_e32 v81, v81, v78
	v_add_f32_e32 v90, v81, v79
	s_waitcnt_depctr 0xfff
	v_cndmask_b32_e64 v81, 0, v82, s18
	s_delay_alu instid0(VALU_DEP_1)
	v_add_f32_e32 v82, v90, v81
	ds_bpermute_b32 v89, v89, v82
	v_cmpx_gt_u32_e32 16, v67
	s_cbranch_execz .LBB1783_12
; %bb.11:
	v_mul_u32_u24_e32 v67, 0x44, v66
	s_delay_alu instid0(VALU_DEP_1) | instskip(SKIP_1) | instid1(VALU_DEP_1)
	v_lshl_add_u32 v67, v65, 2, v67
	s_waitcnt lgkmcnt(0)
	v_dual_add_f32 v82, v82, v89 :: v_dual_add_nc_u32 v67, 0x4000, v67
	ds_store_2addr_b32 v67, v68, v82 offset1:136
.LBB1783_12:
	s_or_b32 exec_lo, exec_lo, s3
	v_lshlrev_b32_e32 v67, 2, v65
	s_waitcnt lgkmcnt(0)
	s_barrier
	buffer_gl0_inv
	v_cmp_eq_u32_e32 vcc_lo, 1, v66
	v_add_nc_u32_e32 v82, 0x4000, v67
	v_cmp_eq_u32_e64 s3, 2, v66
	v_cmp_eq_u32_e64 s5, 7, v66
	ds_load_2addr_b32 v[89:90], v82 offset1:17
	ds_load_2addr_b32 v[91:92], v82 offset0:34 offset1:51
	ds_load_2addr_b32 v[93:94], v82 offset0:68 offset1:85
	;; [unrolled: 1-line block ×4, first 2 shown]
	s_waitcnt lgkmcnt(4)
	v_max3_f32 v67, v89, 0xff7fffff, v90
	s_waitcnt lgkmcnt(3)
	s_delay_alu instid0(VALU_DEP_1) | instskip(SKIP_1) | instid1(VALU_DEP_1)
	v_max3_f32 v67, v67, v91, v92
	s_waitcnt lgkmcnt(2)
	v_max3_f32 v67, v67, v93, v94
	s_waitcnt lgkmcnt(1)
	s_delay_alu instid0(VALU_DEP_1) | instskip(NEXT) | instid1(VALU_DEP_1)
	v_max3_f32 v67, v67, v95, v96
	v_sub_f32_e32 v93, v93, v67
	s_delay_alu instid0(VALU_DEP_1) | instskip(NEXT) | instid1(VALU_DEP_1)
	v_dual_sub_f32 v68, v89, v67 :: v_dual_mul_f32 v103, 0x3fb8aa3b, v93
	v_mul_f32_e32 v68, 0x3fb8aa3b, v68
	s_delay_alu instid0(VALU_DEP_1)
	v_exp_f32_e32 v100, v68
	v_sub_f32_e32 v68, v92, v67
	v_sub_f32_e32 v99, v90, v67
	ds_load_2addr_b32 v[89:90], v82 offset0:170 offset1:187
	v_dual_mul_f32 v102, 0x3fb8aa3b, v68 :: v_dual_mul_f32 v99, 0x3fb8aa3b, v99
	s_waitcnt lgkmcnt(1)
	v_fma_f32 v68, v100, v97, 0
	s_delay_alu instid0(VALU_DEP_2) | instskip(NEXT) | instid1(VALU_DEP_2)
	v_exp_f32_e32 v102, v102
	v_exp_f32_e32 v99, v99
	s_waitcnt_depctr 0xfff
	v_fmac_f32_e32 v68, v99, v98
	v_sub_f32_e32 v91, v91, v67
	s_delay_alu instid0(VALU_DEP_1)
	v_mul_f32_e32 v101, 0x3fb8aa3b, v91
	ds_load_2addr_b32 v[91:92], v82 offset0:204 offset1:221
	v_sub_f32_e32 v97, v94, v67
	ds_load_2addr_b32 v[93:94], v82 offset0:238 offset1:255
	s_waitcnt lgkmcnt(0)
	v_exp_f32_e32 v101, v101
	s_barrier
	buffer_gl0_inv
	v_dual_fmac_f32 v68, v101, v89 :: v_dual_sub_f32 v89, v96, v67
	v_dual_sub_f32 v82, v95, v67 :: v_dual_mul_f32 v95, 0x3fb8aa3b, v97
	v_exp_f32_e32 v97, v103
	s_delay_alu instid0(VALU_DEP_2) | instskip(NEXT) | instid1(VALU_DEP_2)
	v_dual_fmac_f32 v68, v102, v90 :: v_dual_mul_f32 v89, 0x3fb8aa3b, v89
	v_mul_f32_e32 v82, 0x3fb8aa3b, v82
	s_delay_alu instid0(VALU_DEP_3) | instskip(NEXT) | instid1(VALU_DEP_2)
	v_exp_f32_e32 v95, v95
	v_exp_f32_e32 v89, v89
	s_delay_alu instid0(VALU_DEP_1)
	v_exp_f32_e32 v82, v82
	v_fmac_f32_e32 v68, v97, v91
	s_delay_alu instid0(TRANS32_DEP_3) | instid1(VALU_DEP_1)
	v_fmac_f32_e32 v68, v95, v92
	s_waitcnt_depctr 0xfff
	v_fmac_f32_e32 v68, v82, v93
	s_delay_alu instid0(VALU_DEP_1) | instskip(NEXT) | instid1(VALU_DEP_1)
	v_fmac_f32_e32 v68, v89, v94
	v_add_f32_e32 v90, 0x358637bd, v68
	s_delay_alu instid0(VALU_DEP_1) | instskip(NEXT) | instid1(VALU_DEP_1)
	v_div_scale_f32 v91, null, v90, v90, 1.0
	v_rcp_f32_e32 v92, v91
	s_waitcnt_depctr 0xfff
	v_fma_f32 v93, -v91, v92, 1.0
	s_delay_alu instid0(VALU_DEP_1) | instskip(SKIP_1) | instid1(VALU_DEP_2)
	v_dual_fmac_f32 v92, v93, v92 :: v_dual_cndmask_b32 v93, v100, v99
	v_cmp_eq_u32_e32 vcc_lo, 3, v66
	v_cndmask_b32_e64 v93, v93, v101, s3
	v_cmp_eq_u32_e64 s3, 4, v66
	s_delay_alu instid0(VALU_DEP_2) | instskip(SKIP_1) | instid1(VALU_DEP_2)
	v_cndmask_b32_e32 v93, v93, v102, vcc_lo
	v_cmp_eq_u32_e32 vcc_lo, 5, v66
	v_cndmask_b32_e64 v93, v93, v97, s3
	v_cmp_eq_u32_e64 s3, 6, v66
	s_delay_alu instid0(VALU_DEP_2) | instskip(SKIP_1) | instid1(VALU_DEP_1)
	v_cndmask_b32_e32 v93, v93, v95, vcc_lo
	v_div_scale_f32 v94, s4, 1.0, v90, 1.0
	s_mov_b32 vcc_lo, s4
	s_delay_alu instid0(VALU_DEP_2) | instskip(NEXT) | instid1(VALU_DEP_2)
	v_cndmask_b32_e64 v82, v93, v82, s3
	v_mul_f32_e32 v96, v94, v92
	s_mov_b32 s3, exec_lo
	s_delay_alu instid0(VALU_DEP_2) | instskip(NEXT) | instid1(VALU_DEP_2)
	v_cndmask_b32_e64 v82, v82, v89, s5
	v_fma_f32 v98, -v91, v96, v94
	s_delay_alu instid0(VALU_DEP_1) | instskip(NEXT) | instid1(VALU_DEP_1)
	v_fmac_f32_e32 v96, v98, v92
	v_fma_f32 v91, -v91, v96, v94
	s_delay_alu instid0(VALU_DEP_1) | instskip(NEXT) | instid1(VALU_DEP_1)
	v_div_fmas_f32 v91, v91, v92, v96
	v_div_fixup_f32 v90, v91, v90, 1.0
	s_delay_alu instid0(VALU_DEP_1) | instskip(NEXT) | instid1(VALU_DEP_1)
	v_mul_f32_e32 v82, v82, v90
	v_mul_f32_e32 v87, v82, v87
	;; [unrolled: 1-line block ×7, first 2 shown]
	v_dual_mul_f32 v86, v82, v83 :: v_dual_and_b32 v91, 0x7f800000, v90
	v_mul_f32_e32 v85, v82, v76
                                        ; implicit-def: $vgpr76
	s_delay_alu instid0(VALU_DEP_2)
	v_cmpx_ne_u32_e32 0x7f800000, v91
	s_xor_b32 s3, exec_lo, s3
; %bb.13:
	v_bfe_u32 v76, v90, 16, 1
	s_delay_alu instid0(VALU_DEP_1)
	v_add3_u32 v76, v90, v76, 0x7fff
                                        ; implicit-def: $vgpr90
; %bb.14:
	s_and_not1_saveexec_b32 s3, s3
; %bb.15:
	v_and_b32_e32 v76, 0xffff, v90
	v_or_b32_e32 v83, 0x10000, v90
	s_delay_alu instid0(VALU_DEP_2) | instskip(NEXT) | instid1(VALU_DEP_2)
	v_cmp_eq_u32_e32 vcc_lo, 0, v76
	v_cndmask_b32_e32 v76, v83, v90, vcc_lo
; %bb.16:
	s_or_b32 exec_lo, exec_lo, s3
	v_and_b32_e32 v83, 0x7f800000, v85
	s_delay_alu instid0(VALU_DEP_1) | instskip(SKIP_1) | instid1(SALU_CYCLE_1)
	v_cmp_ne_u32_e32 vcc_lo, 0x7f800000, v83
                                        ; implicit-def: $vgpr83
	s_and_saveexec_b32 s3, vcc_lo
	s_xor_b32 s3, exec_lo, s3
; %bb.17:
	v_bfe_u32 v83, v85, 16, 1
	s_delay_alu instid0(VALU_DEP_1)
	v_add3_u32 v83, v85, v83, 0x7fff
                                        ; implicit-def: $vgpr85
; %bb.18:
	s_and_not1_saveexec_b32 s3, s3
; %bb.19:
	v_and_b32_e32 v83, 0xffff, v85
	v_or_b32_e32 v90, 0x10000, v85
	s_delay_alu instid0(VALU_DEP_2) | instskip(NEXT) | instid1(VALU_DEP_2)
	v_cmp_eq_u32_e32 vcc_lo, 0, v83
	v_cndmask_b32_e32 v83, v90, v85, vcc_lo
; %bb.20:
	s_or_b32 exec_lo, exec_lo, s3
	v_and_b32_e32 v85, 0x7f800000, v86
	s_delay_alu instid0(VALU_DEP_1) | instskip(SKIP_1) | instid1(SALU_CYCLE_1)
	v_cmp_ne_u32_e32 vcc_lo, 0x7f800000, v85
                                        ; implicit-def: $vgpr85
	s_and_saveexec_b32 s3, vcc_lo
	s_xor_b32 s3, exec_lo, s3
; %bb.21:
	v_bfe_u32 v85, v86, 16, 1
	s_delay_alu instid0(VALU_DEP_1)
	v_add3_u32 v85, v86, v85, 0x7fff
                                        ; implicit-def: $vgpr86
; %bb.22:
	s_and_not1_saveexec_b32 s3, s3
; %bb.23:
	v_and_b32_e32 v85, 0xffff, v86
	v_or_b32_e32 v90, 0x10000, v86
	s_delay_alu instid0(VALU_DEP_2) | instskip(NEXT) | instid1(VALU_DEP_2)
	v_cmp_eq_u32_e32 vcc_lo, 0, v85
	v_cndmask_b32_e32 v85, v90, v86, vcc_lo
; %bb.24:
	s_or_b32 exec_lo, exec_lo, s3
	v_and_b32_e32 v86, 0x7f800000, v89
	s_delay_alu instid0(VALU_DEP_1) | instskip(SKIP_1) | instid1(SALU_CYCLE_1)
	v_cmp_ne_u32_e32 vcc_lo, 0x7f800000, v86
                                        ; implicit-def: $vgpr86
	s_and_saveexec_b32 s3, vcc_lo
	s_xor_b32 s3, exec_lo, s3
; %bb.25:
	v_bfe_u32 v86, v89, 16, 1
	s_delay_alu instid0(VALU_DEP_1)
	v_add3_u32 v86, v89, v86, 0x7fff
                                        ; implicit-def: $vgpr89
; %bb.26:
	s_and_not1_saveexec_b32 s3, s3
; %bb.27:
	v_and_b32_e32 v86, 0xffff, v89
	v_or_b32_e32 v90, 0x10000, v89
	s_delay_alu instid0(VALU_DEP_2) | instskip(NEXT) | instid1(VALU_DEP_2)
	v_cmp_eq_u32_e32 vcc_lo, 0, v86
	v_cndmask_b32_e32 v86, v90, v89, vcc_lo
; %bb.28:
	s_or_b32 exec_lo, exec_lo, s3
	v_and_b32_e32 v89, 0x7f800000, v88
	s_delay_alu instid0(VALU_DEP_1) | instskip(SKIP_1) | instid1(SALU_CYCLE_1)
	v_cmp_ne_u32_e32 vcc_lo, 0x7f800000, v89
                                        ; implicit-def: $vgpr89
	s_and_saveexec_b32 s3, vcc_lo
	s_xor_b32 s3, exec_lo, s3
; %bb.29:
	v_bfe_u32 v89, v88, 16, 1
	s_delay_alu instid0(VALU_DEP_1)
	v_add3_u32 v89, v88, v89, 0x7fff
                                        ; implicit-def: $vgpr88
; %bb.30:
	s_and_not1_saveexec_b32 s3, s3
; %bb.31:
	v_and_b32_e32 v89, 0xffff, v88
	v_or_b32_e32 v90, 0x10000, v88
	s_delay_alu instid0(VALU_DEP_2) | instskip(NEXT) | instid1(VALU_DEP_2)
	v_cmp_eq_u32_e32 vcc_lo, 0, v89
	v_cndmask_b32_e32 v89, v90, v88, vcc_lo
; %bb.32:
	s_or_b32 exec_lo, exec_lo, s3
	v_and_b32_e32 v88, 0x7f800000, v87
	s_delay_alu instid0(VALU_DEP_1) | instskip(SKIP_1) | instid1(SALU_CYCLE_1)
	v_cmp_ne_u32_e32 vcc_lo, 0x7f800000, v88
                                        ; implicit-def: $vgpr88
	s_and_saveexec_b32 s3, vcc_lo
	s_xor_b32 s3, exec_lo, s3
; %bb.33:
	v_bfe_u32 v88, v87, 16, 1
	s_delay_alu instid0(VALU_DEP_1)
	v_add3_u32 v88, v87, v88, 0x7fff
                                        ; implicit-def: $vgpr87
; %bb.34:
	s_and_not1_saveexec_b32 s3, s3
; %bb.35:
	v_and_b32_e32 v88, 0xffff, v87
	v_or_b32_e32 v90, 0x10000, v87
	s_delay_alu instid0(VALU_DEP_2) | instskip(NEXT) | instid1(VALU_DEP_2)
	v_cmp_eq_u32_e32 vcc_lo, 0, v88
	v_cndmask_b32_e32 v88, v90, v87, vcc_lo
; %bb.36:
	s_or_b32 exec_lo, exec_lo, s3
	v_and_b32_e32 v87, 0x7f800000, v84
	s_delay_alu instid0(VALU_DEP_1) | instskip(SKIP_1) | instid1(SALU_CYCLE_1)
	v_cmp_ne_u32_e32 vcc_lo, 0x7f800000, v87
                                        ; implicit-def: $vgpr87
	s_and_saveexec_b32 s3, vcc_lo
	s_xor_b32 s3, exec_lo, s3
; %bb.37:
	v_bfe_u32 v87, v84, 16, 1
	s_delay_alu instid0(VALU_DEP_1)
	v_add3_u32 v87, v84, v87, 0x7fff
                                        ; implicit-def: $vgpr84
; %bb.38:
	s_and_not1_saveexec_b32 s3, s3
; %bb.39:
	v_and_b32_e32 v87, 0xffff, v84
	v_or_b32_e32 v90, 0x10000, v84
	s_delay_alu instid0(VALU_DEP_2) | instskip(NEXT) | instid1(VALU_DEP_2)
	v_cmp_eq_u32_e32 vcc_lo, 0, v87
	v_cndmask_b32_e32 v87, v90, v84, vcc_lo
; %bb.40:
	s_or_b32 exec_lo, exec_lo, s3
	v_and_b32_e32 v84, 0x7f800000, v80
	s_delay_alu instid0(VALU_DEP_1) | instskip(SKIP_1) | instid1(SALU_CYCLE_1)
	v_cmp_ne_u32_e32 vcc_lo, 0x7f800000, v84
                                        ; implicit-def: $vgpr84
	s_and_saveexec_b32 s3, vcc_lo
	s_xor_b32 s3, exec_lo, s3
; %bb.41:
	v_bfe_u32 v84, v80, 16, 1
	s_delay_alu instid0(VALU_DEP_1)
	v_add3_u32 v84, v80, v84, 0x7fff
                                        ; implicit-def: $vgpr80
; %bb.42:
	s_and_not1_saveexec_b32 s3, s3
; %bb.43:
	v_and_b32_e32 v84, 0xffff, v80
	v_or_b32_e32 v90, 0x10000, v80
	s_delay_alu instid0(VALU_DEP_2) | instskip(NEXT) | instid1(VALU_DEP_2)
	v_cmp_eq_u32_e32 vcc_lo, 0, v84
	v_cndmask_b32_e32 v84, v90, v80, vcc_lo
; %bb.44:
	s_or_b32 exec_lo, exec_lo, s3
	s_load_b64 s[34:35], s[0:1], 0x94
	v_lshlrev_b32_e32 v91, 4, v74
	s_delay_alu instid0(VALU_DEP_2)
	v_perm_b32 v90, v84, v87, 0x7060302
	v_dual_mul_f32 v79, v82, v79 :: v_dual_lshlrev_b32 v80, 6, v65
	v_dual_mul_f32 v77, v82, v77 :: v_dual_lshlrev_b32 v92, 11, v66
	v_mul_f32_e32 v84, v82, v70
	v_perm_b32 v89, v88, v89, 0x7060302
	v_perm_b32 v88, v86, v85, 0x7060302
	;; [unrolled: 1-line block ×3, first 2 shown]
	v_mul_f32_e32 v70, v82, v81
	v_or3_b32 v76, v91, v92, v80
	v_dual_mul_f32 v78, v82, v78 :: v_dual_and_b32 v85, 0x7f800000, v84
	v_mul_f32_e32 v83, v82, v72
	v_mul_f32_e32 v81, v82, v71
	;; [unrolled: 1-line block ×3, first 2 shown]
	s_mov_b32 s3, exec_lo
	ds_store_b128 v76, v[87:90]
                                        ; implicit-def: $vgpr69
	v_cmpx_ne_u32_e32 0x7f800000, v85
	s_xor_b32 s3, exec_lo, s3
; %bb.45:
	v_bfe_u32 v69, v84, 16, 1
	s_delay_alu instid0(VALU_DEP_1)
	v_add3_u32 v69, v84, v69, 0x7fff
                                        ; implicit-def: $vgpr84
; %bb.46:
	s_and_not1_saveexec_b32 s3, s3
; %bb.47:
	v_and_b32_e32 v69, 0xffff, v84
	v_or_b32_e32 v71, 0x10000, v84
	s_delay_alu instid0(VALU_DEP_2) | instskip(NEXT) | instid1(VALU_DEP_2)
	v_cmp_eq_u32_e32 vcc_lo, 0, v69
	v_cndmask_b32_e32 v69, v71, v84, vcc_lo
; %bb.48:
	s_or_b32 exec_lo, exec_lo, s3
	v_and_b32_e32 v71, 0x7f800000, v72
	s_delay_alu instid0(VALU_DEP_1) | instskip(SKIP_1) | instid1(SALU_CYCLE_1)
	v_cmp_ne_u32_e32 vcc_lo, 0x7f800000, v71
                                        ; implicit-def: $vgpr71
	s_and_saveexec_b32 s3, vcc_lo
	s_xor_b32 s3, exec_lo, s3
; %bb.49:
	v_bfe_u32 v71, v72, 16, 1
	s_delay_alu instid0(VALU_DEP_1)
	v_add3_u32 v71, v72, v71, 0x7fff
                                        ; implicit-def: $vgpr72
; %bb.50:
	s_and_not1_saveexec_b32 s3, s3
; %bb.51:
	v_and_b32_e32 v71, 0xffff, v72
	v_or_b32_e32 v82, 0x10000, v72
	s_delay_alu instid0(VALU_DEP_2) | instskip(NEXT) | instid1(VALU_DEP_2)
	v_cmp_eq_u32_e32 vcc_lo, 0, v71
	v_cndmask_b32_e32 v71, v82, v72, vcc_lo
; %bb.52:
	s_or_b32 exec_lo, exec_lo, s3
	v_and_b32_e32 v72, 0x7f800000, v81
	s_delay_alu instid0(VALU_DEP_1) | instskip(SKIP_1) | instid1(SALU_CYCLE_1)
	v_cmp_ne_u32_e32 vcc_lo, 0x7f800000, v72
                                        ; implicit-def: $vgpr72
	s_and_saveexec_b32 s3, vcc_lo
	s_xor_b32 s3, exec_lo, s3
; %bb.53:
	v_bfe_u32 v72, v81, 16, 1
	s_delay_alu instid0(VALU_DEP_1)
	v_add3_u32 v72, v81, v72, 0x7fff
                                        ; implicit-def: $vgpr81
; %bb.54:
	s_and_not1_saveexec_b32 s3, s3
; %bb.55:
	v_and_b32_e32 v72, 0xffff, v81
	v_or_b32_e32 v82, 0x10000, v81
	s_delay_alu instid0(VALU_DEP_2) | instskip(NEXT) | instid1(VALU_DEP_2)
	v_cmp_eq_u32_e32 vcc_lo, 0, v72
	v_cndmask_b32_e32 v72, v82, v81, vcc_lo
; %bb.56:
	s_or_b32 exec_lo, exec_lo, s3
	v_and_b32_e32 v81, 0x7f800000, v83
	s_delay_alu instid0(VALU_DEP_1) | instskip(SKIP_1) | instid1(SALU_CYCLE_1)
	v_cmp_ne_u32_e32 vcc_lo, 0x7f800000, v81
                                        ; implicit-def: $vgpr81
	s_and_saveexec_b32 s3, vcc_lo
	s_xor_b32 s3, exec_lo, s3
; %bb.57:
	v_bfe_u32 v81, v83, 16, 1
	s_delay_alu instid0(VALU_DEP_1)
	v_add3_u32 v81, v83, v81, 0x7fff
                                        ; implicit-def: $vgpr83
; %bb.58:
	s_and_not1_saveexec_b32 s3, s3
; %bb.59:
	v_and_b32_e32 v81, 0xffff, v83
	v_or_b32_e32 v82, 0x10000, v83
	s_delay_alu instid0(VALU_DEP_2) | instskip(NEXT) | instid1(VALU_DEP_2)
	v_cmp_eq_u32_e32 vcc_lo, 0, v81
	v_cndmask_b32_e32 v81, v82, v83, vcc_lo
; %bb.60:
	s_or_b32 exec_lo, exec_lo, s3
	v_and_b32_e32 v82, 0x7f800000, v77
	s_delay_alu instid0(VALU_DEP_1) | instskip(SKIP_1) | instid1(SALU_CYCLE_1)
	v_cmp_ne_u32_e32 vcc_lo, 0x7f800000, v82
                                        ; implicit-def: $vgpr82
	s_and_saveexec_b32 s3, vcc_lo
	s_xor_b32 s3, exec_lo, s3
; %bb.61:
	v_bfe_u32 v82, v77, 16, 1
	s_delay_alu instid0(VALU_DEP_1)
	v_add3_u32 v82, v77, v82, 0x7fff
                                        ; implicit-def: $vgpr77
; %bb.62:
	s_and_not1_saveexec_b32 s3, s3
; %bb.63:
	v_and_b32_e32 v82, 0xffff, v77
	v_or_b32_e32 v83, 0x10000, v77
	s_delay_alu instid0(VALU_DEP_2) | instskip(NEXT) | instid1(VALU_DEP_2)
	v_cmp_eq_u32_e32 vcc_lo, 0, v82
	v_cndmask_b32_e32 v82, v83, v77, vcc_lo
; %bb.64:
	s_or_b32 exec_lo, exec_lo, s3
	v_and_b32_e32 v77, 0x7f800000, v78
	s_delay_alu instid0(VALU_DEP_1) | instskip(SKIP_1) | instid1(SALU_CYCLE_1)
	v_cmp_ne_u32_e32 vcc_lo, 0x7f800000, v77
                                        ; implicit-def: $vgpr77
	s_and_saveexec_b32 s3, vcc_lo
	s_xor_b32 s3, exec_lo, s3
; %bb.65:
	v_bfe_u32 v77, v78, 16, 1
	s_delay_alu instid0(VALU_DEP_1)
	v_add3_u32 v77, v78, v77, 0x7fff
                                        ; implicit-def: $vgpr78
; %bb.66:
	s_and_not1_saveexec_b32 s3, s3
; %bb.67:
	v_and_b32_e32 v77, 0xffff, v78
	v_or_b32_e32 v83, 0x10000, v78
	s_delay_alu instid0(VALU_DEP_2) | instskip(NEXT) | instid1(VALU_DEP_2)
	v_cmp_eq_u32_e32 vcc_lo, 0, v77
	v_cndmask_b32_e32 v77, v83, v78, vcc_lo
; %bb.68:
	s_or_b32 exec_lo, exec_lo, s3
	v_and_b32_e32 v78, 0x7f800000, v79
	s_delay_alu instid0(VALU_DEP_1) | instskip(SKIP_1) | instid1(SALU_CYCLE_1)
	v_cmp_ne_u32_e32 vcc_lo, 0x7f800000, v78
                                        ; implicit-def: $vgpr78
	s_and_saveexec_b32 s3, vcc_lo
	s_xor_b32 s3, exec_lo, s3
; %bb.69:
	v_bfe_u32 v78, v79, 16, 1
	s_delay_alu instid0(VALU_DEP_1)
	v_add3_u32 v78, v79, v78, 0x7fff
                                        ; implicit-def: $vgpr79
; %bb.70:
	s_and_not1_saveexec_b32 s3, s3
; %bb.71:
	v_and_b32_e32 v78, 0xffff, v79
	v_or_b32_e32 v83, 0x10000, v79
	s_delay_alu instid0(VALU_DEP_2) | instskip(NEXT) | instid1(VALU_DEP_2)
	v_cmp_eq_u32_e32 vcc_lo, 0, v78
	v_cndmask_b32_e32 v78, v83, v79, vcc_lo
; %bb.72:
	s_or_b32 exec_lo, exec_lo, s3
	v_and_b32_e32 v79, 0x7f800000, v70
	s_delay_alu instid0(VALU_DEP_1) | instskip(SKIP_1) | instid1(SALU_CYCLE_1)
	v_cmp_ne_u32_e32 vcc_lo, 0x7f800000, v79
                                        ; implicit-def: $vgpr79
	s_and_saveexec_b32 s3, vcc_lo
	s_xor_b32 s3, exec_lo, s3
; %bb.73:
	v_bfe_u32 v79, v70, 16, 1
	s_delay_alu instid0(VALU_DEP_1)
	v_add3_u32 v79, v70, v79, 0x7fff
                                        ; implicit-def: $vgpr70
; %bb.74:
	s_and_not1_saveexec_b32 s3, s3
; %bb.75:
	v_and_b32_e32 v79, 0xffff, v70
	v_or_b32_e32 v83, 0x10000, v70
	s_delay_alu instid0(VALU_DEP_2) | instskip(NEXT) | instid1(VALU_DEP_2)
	v_cmp_eq_u32_e32 vcc_lo, 0, v79
	v_cndmask_b32_e32 v79, v83, v70, vcc_lo
; %bb.76:
	s_or_b32 exec_lo, exec_lo, s3
	s_delay_alu instid0(VALU_DEP_1)
	v_perm_b32 v86, v79, v78, 0x7060302
	v_perm_b32 v85, v77, v82, 0x7060302
	;; [unrolled: 1-line block ×4, first 2 shown]
	v_lshl_or_b32 v82, v66, 11, v80
	ds_store_b128 v76, v[83:86] offset:1024
	s_waitcnt lgkmcnt(0)
	s_barrier
	buffer_gl0_inv
	ds_load_b128 v[69:72], v82
	ds_load_b128 v[83:86], v82 offset:16
	s_waitcnt lgkmcnt(1)
	v_lshrrev_b32_e32 v66, 16, v69
	s_waitcnt lgkmcnt(0)
	v_lshrrev_b32_e32 v91, 16, v83
	v_lshlrev_b32_e32 v78, 2, v74
	v_lshrrev_b32_e32 v95, 16, v70
	v_lshrrev_b32_e32 v98, 16, v84
	;; [unrolled: 1-line block ×4, first 2 shown]
	v_cmp_eq_u32_e32 vcc_lo, 1, v78
	v_lshrrev_b32_e32 v97, 16, v72
	v_lshrrev_b32_e32 v100, 16, v86
	v_cndmask_b32_e32 v87, v83, v91, vcc_lo
	v_or_b32_e32 v79, 1, v78
	v_cndmask_b32_e32 v81, v69, v66, vcc_lo
	v_cmp_eq_u32_e64 s4, 2, v78
	v_cmp_eq_u32_e64 s7, 3, v78
	;; [unrolled: 1-line block ×5, first 2 shown]
	v_cndmask_b32_e64 v81, v81, v70, s4
	v_cndmask_b32_e64 v87, v87, v84, s4
	v_cmp_eq_u32_e64 s8, 3, v79
	v_cndmask_b32_e64 v88, v69, v66, s3
	v_or_b32_e32 v77, 2, v78
	v_cndmask_b32_e64 v81, v81, v95, s7
	v_cndmask_b32_e64 v87, v87, v98, s7
	;; [unrolled: 1-line block ×4, first 2 shown]
	v_cmp_eq_u32_e64 s10, 5, v78
	v_cndmask_b32_e64 v81, v81, v71, s9
	v_cndmask_b32_e64 v87, v87, v85, s9
	v_cmp_eq_u32_e64 s11, 4, v79
	v_cndmask_b32_e64 v88, v88, v95, s8
	v_cmp_eq_u32_e64 s5, 1, v77
	v_cndmask_b32_e64 v89, v89, v84, s6
	v_cndmask_b32_e64 v81, v81, v96, s10
	v_cmp_eq_u32_e64 s12, 6, v78
	v_cndmask_b32_e64 v88, v88, v71, s11
	;; [unrolled: 3-line block ×3, first 2 shown]
	v_cndmask_b32_e64 v89, v89, v98, s8
	v_cndmask_b32_e64 v81, v81, v72, s12
	v_cmp_eq_u32_e64 s15, 7, v78
	v_cndmask_b32_e64 v88, v88, v96, s13
	v_cndmask_b32_e64 v87, v87, v86, s12
	v_cmp_eq_u32_e64 s16, 6, v79
	v_cmp_eq_u32_e64 s17, 2, v77
	v_cndmask_b32_e64 v89, v89, v85, s11
	v_cndmask_b32_e64 v101, v81, v97, s15
	;; [unrolled: 1-line block ×6, first 2 shown]
	v_cmp_eq_u32_e64 s18, 7, v79
	v_cmp_eq_u32_e64 s19, 3, v77
	;; [unrolled: 1-line block ×4, first 2 shown]
	v_cndmask_b32_e64 v87, v87, v84, s17
	v_cndmask_b32_e64 v103, v88, v97, s18
	;; [unrolled: 1-line block ×4, first 2 shown]
	v_or_b32_e32 v81, 3, v78
	v_cndmask_b32_e64 v93, v87, v98, s19
	v_cmp_eq_u32_e64 s24, 6, v77
	v_cndmask_b32_e64 v104, v88, v86, s16
	v_cndmask_b32_e64 v92, v89, v71, s20
	v_cmp_eq_u32_e64 s21, 1, v81
	ds_load_b128 v[87:90], v82 offset:1024
	v_cmp_eq_u32_e64 s23, 2, v81
	v_cmp_eq_u32_e64 s25, 3, v81
	v_cndmask_b32_e64 v105, v92, v96, s22
	v_cndmask_b32_e64 v66, v69, v66, s21
	;; [unrolled: 1-line block ×4, first 2 shown]
	ds_load_b128 v[91:94], v82 offset:1040
	v_cmp_eq_u32_e64 s26, 4, v81
	v_cndmask_b32_e64 v66, v66, v70, s23
	v_cmp_eq_u32_e64 s27, 7, v77
	v_cndmask_b32_e64 v70, v83, v84, s23
	v_cndmask_b32_e64 v84, v105, v72, s24
	v_cmp_eq_u32_e64 s28, 5, v81
	v_cndmask_b32_e64 v66, v66, v95, s25
	v_cmp_eq_u32_e64 s29, 6, v81
	v_cndmask_b32_e64 v70, v70, v98, s25
	v_cndmask_b32_e64 v69, v69, v99, s22
	;; [unrolled: 1-line block ×4, first 2 shown]
	s_waitcnt lgkmcnt(1)
	v_lshrrev_b32_e32 v95, 16, v87
	v_cndmask_b32_e64 v70, v70, v85, s26
	v_cndmask_b32_e64 v71, v84, v97, s27
	;; [unrolled: 1-line block ×4, first 2 shown]
	v_cndmask_b32_e32 v84, v87, v95, vcc_lo
	v_cndmask_b32_e64 v70, v70, v99, s28
	s_waitcnt lgkmcnt(0)
	v_lshrrev_b32_e32 v85, 16, v91
	v_lshrrev_b32_e32 v96, 16, v88
	v_cndmask_b32_e64 v98, v87, v95, s3
	v_cndmask_b32_e64 v84, v84, v88, s4
	;; [unrolled: 1-line block ×3, first 2 shown]
	v_cndmask_b32_e32 v99, v91, v85, vcc_lo
	v_cmp_eq_u32_e32 vcc_lo, 7, v81
	v_cndmask_b32_e64 v66, v66, v72, s29
	v_cndmask_b32_e64 v72, v84, v96, s7
	;; [unrolled: 1-line block ×3, first 2 shown]
	v_lshrrev_b32_e32 v98, 16, v92
	v_cndmask_b32_e32 v70, v70, v100, vcc_lo
	v_cndmask_b32_e64 v86, v99, v92, s4
	v_cndmask_b32_e64 v69, v69, v100, s27
	v_lshrrev_b32_e32 v100, 16, v93
	v_cndmask_b32_e64 v72, v72, v89, s9
	v_lshrrev_b32_e32 v99, 16, v89
	v_cndmask_b32_e64 v86, v86, v98, s7
	v_perm_b32 v71, v69, v71, 0x5040100
	v_cndmask_b32_e64 v84, v84, v96, s8
	s_delay_alu instid0(VALU_DEP_3) | instskip(NEXT) | instid1(VALU_DEP_2)
	v_cndmask_b32_e64 v86, v86, v93, s9
	v_cndmask_b32_e64 v84, v84, v89, s11
	s_delay_alu instid0(VALU_DEP_2) | instskip(NEXT) | instid1(VALU_DEP_1)
	v_cndmask_b32_e64 v86, v86, v100, s10
	v_cndmask_b32_e64 v69, v86, v94, s12
	;; [unrolled: 1-line block ×5, first 2 shown]
	s_delay_alu instid0(VALU_DEP_3) | instskip(NEXT) | instid1(VALU_DEP_3)
	v_cndmask_b32_e64 v86, v86, v88, s17
	v_cndmask_b32_e64 v87, v87, v88, s23
	s_delay_alu instid0(VALU_DEP_3) | instskip(NEXT) | instid1(VALU_DEP_3)
	v_cndmask_b32_e64 v88, v95, v92, s23
	v_cndmask_b32_e64 v86, v86, v96, s19
	;; [unrolled: 3-line block ×7, first 2 shown]
	s_delay_alu instid0(VALU_DEP_3) | instskip(SKIP_2) | instid1(VALU_DEP_2)
	v_cndmask_b32_e64 v88, v88, v94, s29
	v_cndmask_b32_e32 v66, v66, v97, vcc_lo
	v_cndmask_b32_e64 v97, v72, v99, s10
	v_perm_b32 v72, v70, v66, 0x5040100
	v_perm_b32 v70, v83, v103, 0x5040100
	v_cndmask_b32_e64 v103, v91, v85, s5
	v_cndmask_b32_e64 v85, v91, v85, s3
	;; [unrolled: 1-line block ×4, first 2 shown]
	v_lshrrev_b32_e32 v97, 16, v90
	v_cndmask_b32_e64 v91, v103, v92, s17
	v_cndmask_b32_e64 v85, v85, v92, s6
	;; [unrolled: 1-line block ×3, first 2 shown]
	s_mov_b32 s3, exec_lo
	v_cndmask_b32_e64 v83, v84, v97, s15
	v_cndmask_b32_e64 v91, v91, v98, s19
	;; [unrolled: 1-line block ×3, first 2 shown]
	v_lshrrev_b32_e32 v84, 16, v94
	v_cndmask_b32_e64 v66, v66, v97, s18
	v_cndmask_b32_e64 v90, v86, v97, s27
	;; [unrolled: 1-line block ×4, first 2 shown]
	v_dual_cndmask_b32 v86, v87, v97 :: v_dual_cndmask_b32 v87, v88, v84
	v_cndmask_b32_e64 v91, v69, v84, s15
	s_delay_alu instid0(VALU_DEP_4) | instskip(NEXT) | instid1(VALU_DEP_4)
	v_cndmask_b32_e64 v89, v89, v100, s22
	v_cndmask_b32_e64 v85, v85, v100, s13
	v_perm_b32 v69, v102, v101, 0x5040100
	v_perm_b32 v86, v87, v86, 0x5040100
	;; [unrolled: 1-line block ×3, first 2 shown]
	v_cndmask_b32_e64 v89, v89, v94, s24
	v_cndmask_b32_e64 v85, v85, v94, s16
	s_mul_i32 s8, s35, 10
	s_delay_alu instid0(VALU_DEP_2) | instskip(NEXT) | instid1(VALU_DEP_2)
	v_cndmask_b32_e64 v88, v89, v84, s27
	v_cndmask_b32_e64 v89, v85, v84, s18
	s_delay_alu instid0(VALU_DEP_2) | instskip(NEXT) | instid1(VALU_DEP_2)
	v_perm_b32 v85, v88, v90, 0x5040100
	v_perm_b32 v84, v89, v66, 0x5040100
	ds_store_b128 v76, v[69:72]
	ds_store_b128 v76, v[83:86] offset:1024
	v_cmpx_gt_u32_e32 10, v0
	s_cbranch_execz .LBB1783_78
; %bb.77:
	s_mul_i32 s4, s8, s30
	s_delay_alu instid0(SALU_CYCLE_1) | instskip(SKIP_1) | instid1(VALU_DEP_1)
	v_add3_u32 v69, s4, s31, v65
	s_load_b128 s[4:7], s[0:1], 0x58
	v_mad_u64_u32 v[65:66], null, v69, s34, s[14:15]
	s_delay_alu instid0(VALU_DEP_1) | instskip(NEXT) | instid1(VALU_DEP_1)
	v_ashrrev_i32_e32 v66, 31, v65
	v_lshlrev_b64 v[65:66], 2, v[65:66]
	s_waitcnt lgkmcnt(0)
	s_delay_alu instid0(VALU_DEP_1) | instskip(NEXT) | instid1(VALU_DEP_2)
	v_add_co_u32 v69, vcc_lo, s6, v65
	v_add_co_ci_u32_e32 v70, vcc_lo, s7, v66, vcc_lo
	v_add_co_u32 v65, vcc_lo, s4, v65
	v_add_co_ci_u32_e32 v66, vcc_lo, s5, v66, vcc_lo
	global_store_b32 v[69:70], v67, off
	global_store_b32 v[65:66], v68, off
.LBB1783_78:
	s_or_b32 exec_lo, exec_lo, s3
	s_waitcnt lgkmcnt(0)
	s_waitcnt_vscnt null, 0x0
	s_barrier
	buffer_gl0_inv
	ds_load_b128 v[83:86], v80
	ds_load_b128 v[87:90], v80 offset:16
	ds_load_b128 v[95:98], v80 offset:2064
	;; [unrolled: 1-line block ×3, first 2 shown]
	v_mov_b32_e32 v65, 0
	ds_load_b128 v[103:106], v80 offset:4112
	ds_load_b128 v[99:102], v80 offset:4096
	;; [unrolled: 1-line block ×4, first 2 shown]
	v_mov_b32_e32 v66, v65
	v_mov_b32_e32 v67, v65
	;; [unrolled: 1-line block ×7, first 2 shown]
	s_waitcnt lgkmcnt(6)
	s_delay_alu instid0(VALU_DEP_1)
	v_wmma_f32_16x16x16_bf16 v[65:72], v[57:64], v[83:90], v[65:72]
	ds_load_b128 v[61:64], v80 offset:8208
	ds_load_b128 v[57:60], v80 offset:8192
	s_waitcnt lgkmcnt(6)
	v_wmma_f32_16x16x16_bf16 v[65:72], v[41:48], v[91:98], v[65:72]
	ds_load_b128 v[45:48], v80 offset:10256
	ds_load_b128 v[41:44], v80 offset:10240
	s_waitcnt lgkmcnt(6)
	;; [unrolled: 4-line block ×4, first 2 shown]
	v_wmma_f32_16x16x16_bf16 v[65:72], v[1:8], v[57:64], v[65:72]
	s_waitcnt lgkmcnt(4)
	s_delay_alu instid0(VALU_DEP_1) | instskip(SKIP_1) | instid1(VALU_DEP_1)
	v_wmma_f32_16x16x16_bf16 v[65:72], v[9:16], v[41:48], v[65:72]
	s_waitcnt lgkmcnt(2)
	v_wmma_f32_16x16x16_bf16 v[65:72], v[17:24], v[33:40], v[65:72]
	s_waitcnt lgkmcnt(0)
	s_delay_alu instid0(VALU_DEP_1) | instskip(NEXT) | instid1(VALU_DEP_1)
	v_wmma_f32_16x16x16_bf16 v[65:72], v[49:56], v[25:32], v[65:72]
	v_and_b32_e32 v1, 0x7f800000, v65
	s_delay_alu instid0(VALU_DEP_1) | instskip(SKIP_1) | instid1(SALU_CYCLE_1)
	v_cmp_ne_u32_e32 vcc_lo, 0x7f800000, v1
                                        ; implicit-def: $vgpr1
	s_and_saveexec_b32 s3, vcc_lo
	s_xor_b32 s3, exec_lo, s3
; %bb.79:
	v_bfe_u32 v1, v65, 16, 1
	s_delay_alu instid0(VALU_DEP_1)
	v_add3_u32 v1, v65, v1, 0x7fff
; %bb.80:
	s_and_not1_saveexec_b32 s3, s3
; %bb.81:
	v_and_b32_e32 v1, 0xffff, v65
	v_or_b32_e32 v2, 0x10000, v65
	s_delay_alu instid0(VALU_DEP_2) | instskip(NEXT) | instid1(VALU_DEP_2)
	v_cmp_eq_u32_e32 vcc_lo, 0, v1
	v_cndmask_b32_e32 v1, v2, v65, vcc_lo
; %bb.82:
	s_or_b32 exec_lo, exec_lo, s3
	v_and_b32_e32 v2, 0x7f800000, v66
	s_delay_alu instid0(VALU_DEP_1) | instskip(SKIP_1) | instid1(SALU_CYCLE_1)
	v_cmp_ne_u32_e32 vcc_lo, 0x7f800000, v2
                                        ; implicit-def: $vgpr2
	s_and_saveexec_b32 s3, vcc_lo
	s_xor_b32 s3, exec_lo, s3
; %bb.83:
	v_bfe_u32 v2, v66, 16, 1
	s_delay_alu instid0(VALU_DEP_1)
	v_add3_u32 v2, v66, v2, 0x7fff
; %bb.84:
	s_and_not1_saveexec_b32 s3, s3
; %bb.85:
	v_and_b32_e32 v2, 0xffff, v66
	v_or_b32_e32 v3, 0x10000, v66
	s_delay_alu instid0(VALU_DEP_2) | instskip(NEXT) | instid1(VALU_DEP_2)
	v_cmp_eq_u32_e32 vcc_lo, 0, v2
	v_cndmask_b32_e32 v2, v3, v66, vcc_lo
; %bb.86:
	s_or_b32 exec_lo, exec_lo, s3
	v_and_b32_e32 v3, 0x7f800000, v67
	s_delay_alu instid0(VALU_DEP_1) | instskip(SKIP_1) | instid1(SALU_CYCLE_1)
	v_cmp_ne_u32_e32 vcc_lo, 0x7f800000, v3
                                        ; implicit-def: $vgpr3
	s_and_saveexec_b32 s3, vcc_lo
	s_xor_b32 s3, exec_lo, s3
; %bb.87:
	v_bfe_u32 v3, v67, 16, 1
	s_delay_alu instid0(VALU_DEP_1)
	v_add3_u32 v3, v67, v3, 0x7fff
; %bb.88:
	s_and_not1_saveexec_b32 s3, s3
; %bb.89:
	v_and_b32_e32 v3, 0xffff, v67
	v_or_b32_e32 v4, 0x10000, v67
	s_delay_alu instid0(VALU_DEP_2) | instskip(NEXT) | instid1(VALU_DEP_2)
	v_cmp_eq_u32_e32 vcc_lo, 0, v3
	v_cndmask_b32_e32 v3, v4, v67, vcc_lo
; %bb.90:
	s_or_b32 exec_lo, exec_lo, s3
	v_and_b32_e32 v4, 0x7f800000, v68
	s_delay_alu instid0(VALU_DEP_1) | instskip(SKIP_1) | instid1(SALU_CYCLE_1)
	v_cmp_ne_u32_e32 vcc_lo, 0x7f800000, v4
                                        ; implicit-def: $vgpr4
	s_and_saveexec_b32 s3, vcc_lo
	s_xor_b32 s3, exec_lo, s3
; %bb.91:
	v_bfe_u32 v4, v68, 16, 1
	s_delay_alu instid0(VALU_DEP_1)
	v_add3_u32 v4, v68, v4, 0x7fff
; %bb.92:
	s_and_not1_saveexec_b32 s3, s3
; %bb.93:
	v_and_b32_e32 v4, 0xffff, v68
	v_or_b32_e32 v5, 0x10000, v68
	s_delay_alu instid0(VALU_DEP_2) | instskip(NEXT) | instid1(VALU_DEP_2)
	v_cmp_eq_u32_e32 vcc_lo, 0, v4
	v_cndmask_b32_e32 v4, v5, v68, vcc_lo
; %bb.94:
	s_or_b32 exec_lo, exec_lo, s3
	v_and_b32_e32 v5, 0x7f800000, v69
	s_delay_alu instid0(VALU_DEP_1) | instskip(SKIP_1) | instid1(SALU_CYCLE_1)
	v_cmp_ne_u32_e32 vcc_lo, 0x7f800000, v5
                                        ; implicit-def: $vgpr5
	s_and_saveexec_b32 s3, vcc_lo
	s_xor_b32 s3, exec_lo, s3
; %bb.95:
	v_bfe_u32 v5, v69, 16, 1
	s_delay_alu instid0(VALU_DEP_1)
	v_add3_u32 v5, v69, v5, 0x7fff
; %bb.96:
	s_and_not1_saveexec_b32 s3, s3
; %bb.97:
	v_and_b32_e32 v5, 0xffff, v69
	v_or_b32_e32 v6, 0x10000, v69
	s_delay_alu instid0(VALU_DEP_2) | instskip(NEXT) | instid1(VALU_DEP_2)
	v_cmp_eq_u32_e32 vcc_lo, 0, v5
	v_cndmask_b32_e32 v5, v6, v69, vcc_lo
; %bb.98:
	s_or_b32 exec_lo, exec_lo, s3
	v_and_b32_e32 v6, 0x7f800000, v70
	s_delay_alu instid0(VALU_DEP_1) | instskip(SKIP_1) | instid1(SALU_CYCLE_1)
	v_cmp_ne_u32_e32 vcc_lo, 0x7f800000, v6
                                        ; implicit-def: $vgpr6
	s_and_saveexec_b32 s3, vcc_lo
	s_xor_b32 s3, exec_lo, s3
; %bb.99:
	v_bfe_u32 v6, v70, 16, 1
	s_delay_alu instid0(VALU_DEP_1)
	v_add3_u32 v6, v70, v6, 0x7fff
; %bb.100:
	s_and_not1_saveexec_b32 s3, s3
; %bb.101:
	v_and_b32_e32 v6, 0xffff, v70
	v_or_b32_e32 v7, 0x10000, v70
	s_delay_alu instid0(VALU_DEP_2) | instskip(NEXT) | instid1(VALU_DEP_2)
	v_cmp_eq_u32_e32 vcc_lo, 0, v6
	v_cndmask_b32_e32 v6, v7, v70, vcc_lo
; %bb.102:
	s_or_b32 exec_lo, exec_lo, s3
	v_and_b32_e32 v7, 0x7f800000, v71
	s_delay_alu instid0(VALU_DEP_1) | instskip(SKIP_1) | instid1(SALU_CYCLE_1)
	v_cmp_ne_u32_e32 vcc_lo, 0x7f800000, v7
                                        ; implicit-def: $vgpr7
	s_and_saveexec_b32 s3, vcc_lo
	s_xor_b32 s3, exec_lo, s3
; %bb.103:
	v_bfe_u32 v7, v71, 16, 1
	s_delay_alu instid0(VALU_DEP_1)
	v_add3_u32 v7, v71, v7, 0x7fff
; %bb.104:
	s_and_not1_saveexec_b32 s3, s3
; %bb.105:
	v_and_b32_e32 v7, 0xffff, v71
	v_or_b32_e32 v8, 0x10000, v71
	s_delay_alu instid0(VALU_DEP_2) | instskip(NEXT) | instid1(VALU_DEP_2)
	v_cmp_eq_u32_e32 vcc_lo, 0, v7
	v_cndmask_b32_e32 v7, v8, v71, vcc_lo
; %bb.106:
	s_or_b32 exec_lo, exec_lo, s3
	v_and_b32_e32 v8, 0x7f800000, v72
	s_delay_alu instid0(VALU_DEP_1) | instskip(SKIP_1) | instid1(SALU_CYCLE_1)
	v_cmp_ne_u32_e32 vcc_lo, 0x7f800000, v8
                                        ; implicit-def: $vgpr8
	s_and_saveexec_b32 s3, vcc_lo
	s_xor_b32 s3, exec_lo, s3
; %bb.107:
	v_bfe_u32 v8, v72, 16, 1
	s_delay_alu instid0(VALU_DEP_1)
	v_add3_u32 v8, v72, v8, 0x7fff
                                        ; implicit-def: $vgpr65_vgpr66_vgpr67_vgpr68_vgpr69_vgpr70_vgpr71_vgpr72
; %bb.108:
	s_and_not1_saveexec_b32 s3, s3
; %bb.109:
	v_and_b32_e32 v8, 0xffff, v72
	v_or_b32_e32 v9, 0x10000, v72
	s_delay_alu instid0(VALU_DEP_2) | instskip(NEXT) | instid1(VALU_DEP_2)
	v_cmp_eq_u32_e32 vcc_lo, 0, v8
	v_cndmask_b32_e32 v8, v9, v72, vcc_lo
; %bb.110:
	s_or_b32 exec_lo, exec_lo, s3
	s_delay_alu instid0(VALU_DEP_1)
	v_perm_b32 v7, v8, v7, 0x7060302
	v_perm_b32 v6, v6, v5, 0x7060302
	;; [unrolled: 1-line block ×4, first 2 shown]
	s_barrier
	buffer_gl0_inv
	v_cmp_eq_u32_e32 vcc_lo, 1, v78
	ds_store_b128 v76, v[4:7]
	s_waitcnt lgkmcnt(0)
	s_barrier
	buffer_gl0_inv
	ds_load_b128 v[1:4], v82
	ds_load_b128 v[5:8], v82 offset:16
	v_cmp_eq_u32_e64 s3, 1, v79
	v_cmp_eq_u32_e64 s4, 2, v78
	;; [unrolled: 1-line block ×5, first 2 shown]
	s_waitcnt lgkmcnt(1)
	v_lshrrev_b32_e32 v9, 16, v1
	s_waitcnt lgkmcnt(0)
	v_lshrrev_b32_e32 v13, 16, v5
	v_lshrrev_b32_e32 v10, 16, v2
	;; [unrolled: 1-line block ×4, first 2 shown]
	v_cndmask_b32_e64 v19, v1, v9, s3
	v_cndmask_b32_e32 v18, v5, v13, vcc_lo
	v_cndmask_b32_e64 v20, v5, v13, s3
	v_cndmask_b32_e32 v17, v1, v9, vcc_lo
	v_cmp_eq_u32_e32 vcc_lo, 2, v79
	v_lshrrev_b32_e32 v15, 16, v7
	v_cmp_eq_u32_e64 s3, 1, v77
	v_lshrrev_b32_e32 v12, 16, v4
	v_lshrrev_b32_e32 v16, 16, v8
	v_cndmask_b32_e32 v20, v20, v6, vcc_lo
	v_cndmask_b32_e64 v17, v17, v2, s4
	v_cndmask_b32_e32 v19, v19, v2, vcc_lo
	v_cndmask_b32_e64 v18, v18, v6, s4
	v_cmp_eq_u32_e32 vcc_lo, 4, v78
	v_cmp_eq_u32_e64 s4, 3, v79
	v_cndmask_b32_e64 v17, v17, v10, s5
	v_cndmask_b32_e64 v21, v1, v9, s3
	;; [unrolled: 1-line block ×5, first 2 shown]
	v_cndmask_b32_e32 v17, v17, v3, vcc_lo
	v_cndmask_b32_e64 v20, v20, v14, s4
	v_cndmask_b32_e32 v18, v18, v7, vcc_lo
	v_cmp_eq_u32_e32 vcc_lo, 4, v79
	v_cmp_eq_u32_e64 s4, 5, v79
	v_cmp_eq_u32_e64 s3, 2, v81
	v_cndmask_b32_e64 v21, v21, v2, s7
	v_cmp_eq_u32_e64 s5, 5, v78
	v_cndmask_b32_e32 v19, v19, v3, vcc_lo
	v_cndmask_b32_e32 v20, v20, v7, vcc_lo
	v_cmp_eq_u32_e32 vcc_lo, 6, v79
	s_delay_alu instid0(VALU_DEP_4) | instskip(NEXT) | instid1(VALU_DEP_4)
	v_cndmask_b32_e64 v17, v17, v11, s5
	v_cndmask_b32_e64 v19, v19, v11, s4
	s_delay_alu instid0(VALU_DEP_4) | instskip(SKIP_1) | instid1(VALU_DEP_3)
	v_cndmask_b32_e64 v20, v20, v15, s4
	v_cmp_eq_u32_e64 s4, 1, v81
	v_cndmask_b32_e32 v19, v19, v4, vcc_lo
	v_cndmask_b32_e64 v18, v18, v15, s5
	s_delay_alu instid0(VALU_DEP_3)
	v_cndmask_b32_e64 v1, v1, v9, s4
	v_cndmask_b32_e64 v5, v5, v13, s4
	v_cmp_eq_u32_e64 s4, 3, v77
	v_cndmask_b32_e64 v13, v22, v6, s7
	v_cmp_eq_u32_e64 s7, 3, v81
	v_cndmask_b32_e64 v1, v1, v2, s3
	v_cndmask_b32_e64 v2, v5, v6, s3
	;; [unrolled: 1-line block ×3, first 2 shown]
	v_cmp_eq_u32_e64 s3, 4, v77
	v_cndmask_b32_e64 v6, v13, v14, s4
	v_cndmask_b32_e64 v1, v1, v10, s7
	v_cmp_eq_u32_e64 s4, 4, v81
	v_cndmask_b32_e64 v2, v2, v14, s7
	v_cndmask_b32_e64 v5, v9, v3, s3
	v_cmp_eq_u32_e64 s7, 5, v77
	v_cndmask_b32_e64 v6, v6, v7, s3
	v_cndmask_b32_e64 v1, v1, v3, s4
	v_cndmask_b32_e64 v2, v2, v7, s4
	v_cmp_eq_u32_e64 s3, 5, v81
	v_cmp_eq_u32_e64 s5, 6, v78
	v_cndmask_b32_e64 v5, v5, v11, s7
	v_cmp_eq_u32_e64 s4, 6, v77
	v_cndmask_b32_e64 v3, v6, v15, s7
	v_cndmask_b32_e64 v1, v1, v11, s3
	v_cmp_eq_u32_e64 s7, 6, v81
	v_cndmask_b32_e64 v2, v2, v15, s3
	v_cndmask_b32_e64 v17, v17, v4, s5
	v_cndmask_b32_e64 v18, v18, v8, s5
	v_cmp_eq_u32_e64 s5, 7, v78
	v_cndmask_b32_e64 v5, v5, v4, s4
	;; [unrolled: 4-line block ×3, first 2 shown]
	v_cmp_eq_u32_e64 s4, 7, v77
	v_cndmask_b32_e32 v4, v20, v8, vcc_lo
	v_cndmask_b32_e64 v17, v17, v12, s5
	v_cndmask_b32_e64 v19, v19, v12, s6
	;; [unrolled: 1-line block ×8, first 2 shown]
	v_cmp_gt_u32_e32 vcc_lo, 32, v0
	v_perm_b32 v4, v2, v1, 0x5040100
	v_perm_b32 v3, v3, v5, 0x5040100
	;; [unrolled: 1-line block ×4, first 2 shown]
	s_and_b32 s2, vcc_lo, s2
	ds_store_b128 v76, v[1:4]
	s_waitcnt lgkmcnt(0)
	s_barrier
	buffer_gl0_inv
	s_and_saveexec_b32 s3, s2
	s_cbranch_execz .LBB1783_2
; %bb.111:
	s_load_b64 s[0:1], s[0:1], 0x68
	s_lshl_b32 s4, s34, 6
	v_or_b32_e32 v2, s31, v74
	s_mul_i32 s2, s4, s30
	v_lshlrev_b32_e32 v0, 10, v0
	s_mul_i32 s2, s2, s8
	v_lshlrev_b32_e32 v1, 4, v75
	s_ashr_i32 s3, s2, 31
	v_mul_lo_u32 v20, v2, s4
	s_lshl_b64 s[2:3], s[2:3], 1
	v_lshlrev_b32_e32 v3, 6, v74
	v_and_b32_e32 v0, 0x3800, v0
	s_delay_alu instid0(VALU_DEP_1) | instskip(NEXT) | instid1(VALU_DEP_4)
	v_or3_b32 v16, v0, v1, v3
	v_ashrrev_i32_e32 v21, 31, v20
	ds_load_b128 v[0:3], v16
	ds_load_b128 v[4:7], v16 offset:128
	s_waitcnt lgkmcnt(0)
	s_add_u32 s2, s0, s2
	s_addc_u32 s3, s1, s3
	s_lshl_b32 s0, s14, 6
	ds_load_b128 v[8:11], v16 offset:256
	ds_load_b128 v[12:15], v16 offset:384
	;; [unrolled: 1-line block ×3, first 2 shown]
	s_ashr_i32 s1, s0, 31
	s_delay_alu instid0(SALU_CYCLE_1) | instskip(NEXT) | instid1(SALU_CYCLE_1)
	s_lshl_b64 s[0:1], s[0:1], 1
	s_add_u32 s0, s2, s0
	s_addc_u32 s1, s3, s1
	s_lshl_b32 s2, s34, 7
	v_add_co_u32 v30, s0, s0, v73
	v_add_nc_u32_e32 v22, s2, v20
	v_lshlrev_b64 v[20:21], 1, v[20:21]
	v_add_co_ci_u32_e64 v31, null, s1, 0, s0
	s_delay_alu instid0(VALU_DEP_3) | instskip(SKIP_1) | instid1(VALU_DEP_4)
	v_add_nc_u32_e32 v24, s2, v22
	v_ashrrev_i32_e32 v23, 31, v22
	v_add_co_u32 v20, vcc_lo, v30, v20
	s_delay_alu instid0(VALU_DEP_4) | instskip(NEXT) | instid1(VALU_DEP_4)
	v_add_co_ci_u32_e32 v21, vcc_lo, v31, v21, vcc_lo
	v_add_nc_u32_e32 v26, s2, v24
	v_ashrrev_i32_e32 v25, 31, v24
	v_lshlrev_b64 v[22:23], 1, v[22:23]
	s_delay_alu instid0(VALU_DEP_3) | instskip(SKIP_1) | instid1(VALU_DEP_4)
	v_add_nc_u32_e32 v28, s2, v26
	v_ashrrev_i32_e32 v27, 31, v26
	v_lshlrev_b64 v[24:25], 1, v[24:25]
	s_delay_alu instid0(VALU_DEP_4) | instskip(NEXT) | instid1(VALU_DEP_4)
	v_add_co_u32 v22, vcc_lo, v30, v22
	v_ashrrev_i32_e32 v29, 31, v28
	s_delay_alu instid0(VALU_DEP_4) | instskip(SKIP_2) | instid1(VALU_DEP_4)
	v_lshlrev_b64 v[26:27], 1, v[26:27]
	v_add_co_ci_u32_e32 v23, vcc_lo, v31, v23, vcc_lo
	v_add_co_u32 v24, vcc_lo, v30, v24
	v_lshlrev_b64 v[28:29], 1, v[28:29]
	v_add_co_ci_u32_e32 v25, vcc_lo, v31, v25, vcc_lo
	v_add_co_u32 v26, vcc_lo, v30, v26
	v_add_co_ci_u32_e32 v27, vcc_lo, v31, v27, vcc_lo
	s_delay_alu instid0(VALU_DEP_4)
	v_add_co_u32 v28, vcc_lo, v30, v28
	v_add_co_ci_u32_e32 v29, vcc_lo, v31, v29, vcc_lo
	s_clause 0x1
	global_store_b128 v[20:21], v[0:3], off
	global_store_b128 v[22:23], v[4:7], off
	s_waitcnt lgkmcnt(2)
	global_store_b128 v[24:25], v[8:11], off
	s_waitcnt lgkmcnt(1)
	;; [unrolled: 2-line block ×3, first 2 shown]
	global_store_b128 v[28:29], v[16:19], off
	s_nop 0
	s_sendmsg sendmsg(MSG_DEALLOC_VGPRS)
	s_endpgm
	.section	.rodata,"a",@progbits
	.p2align	6, 0x0
	.amdhsa_kernel _Z39paged_attention_ll4mi_QKV_mfma16_kernelI14__hip_bfloat16hLN4vllm18Fp8KVCacheDataTypeE1ES0_Li32ELi64ELi256ELb0ELi10EL8MFMAType0EEvPKT_PKT0_S9_ifPKiSB_SB_iPKfiiiPfSE_PS4_PT2_iSD_SD_
		.amdhsa_group_segment_fixed_size 17472
		.amdhsa_private_segment_fixed_size 0
		.amdhsa_kernarg_size 400
		.amdhsa_user_sgpr_count 13
		.amdhsa_user_sgpr_dispatch_ptr 0
		.amdhsa_user_sgpr_queue_ptr 0
		.amdhsa_user_sgpr_kernarg_segment_ptr 1
		.amdhsa_user_sgpr_dispatch_id 0
		.amdhsa_user_sgpr_private_segment_size 0
		.amdhsa_wavefront_size32 1
		.amdhsa_uses_dynamic_stack 0
		.amdhsa_enable_private_segment 0
		.amdhsa_system_sgpr_workgroup_id_x 1
		.amdhsa_system_sgpr_workgroup_id_y 1
		.amdhsa_system_sgpr_workgroup_id_z 1
		.amdhsa_system_sgpr_workgroup_info 0
		.amdhsa_system_vgpr_workitem_id 0
		.amdhsa_next_free_vgpr 124
		.amdhsa_next_free_sgpr 40
		.amdhsa_reserve_vcc 1
		.amdhsa_float_round_mode_32 0
		.amdhsa_float_round_mode_16_64 0
		.amdhsa_float_denorm_mode_32 3
		.amdhsa_float_denorm_mode_16_64 3
		.amdhsa_dx10_clamp 1
		.amdhsa_ieee_mode 1
		.amdhsa_fp16_overflow 0
		.amdhsa_workgroup_processor_mode 1
		.amdhsa_memory_ordered 1
		.amdhsa_forward_progress 0
		.amdhsa_shared_vgpr_count 0
		.amdhsa_exception_fp_ieee_invalid_op 0
		.amdhsa_exception_fp_denorm_src 0
		.amdhsa_exception_fp_ieee_div_zero 0
		.amdhsa_exception_fp_ieee_overflow 0
		.amdhsa_exception_fp_ieee_underflow 0
		.amdhsa_exception_fp_ieee_inexact 0
		.amdhsa_exception_int_div_zero 0
	.end_amdhsa_kernel
	.section	.text._Z39paged_attention_ll4mi_QKV_mfma16_kernelI14__hip_bfloat16hLN4vllm18Fp8KVCacheDataTypeE1ES0_Li32ELi64ELi256ELb0ELi10EL8MFMAType0EEvPKT_PKT0_S9_ifPKiSB_SB_iPKfiiiPfSE_PS4_PT2_iSD_SD_,"axG",@progbits,_Z39paged_attention_ll4mi_QKV_mfma16_kernelI14__hip_bfloat16hLN4vllm18Fp8KVCacheDataTypeE1ES0_Li32ELi64ELi256ELb0ELi10EL8MFMAType0EEvPKT_PKT0_S9_ifPKiSB_SB_iPKfiiiPfSE_PS4_PT2_iSD_SD_,comdat
.Lfunc_end1783:
	.size	_Z39paged_attention_ll4mi_QKV_mfma16_kernelI14__hip_bfloat16hLN4vllm18Fp8KVCacheDataTypeE1ES0_Li32ELi64ELi256ELb0ELi10EL8MFMAType0EEvPKT_PKT0_S9_ifPKiSB_SB_iPKfiiiPfSE_PS4_PT2_iSD_SD_, .Lfunc_end1783-_Z39paged_attention_ll4mi_QKV_mfma16_kernelI14__hip_bfloat16hLN4vllm18Fp8KVCacheDataTypeE1ES0_Li32ELi64ELi256ELb0ELi10EL8MFMAType0EEvPKT_PKT0_S9_ifPKiSB_SB_iPKfiiiPfSE_PS4_PT2_iSD_SD_
                                        ; -- End function
	.section	.AMDGPU.csdata,"",@progbits
; Kernel info:
; codeLenInByte = 8824
; NumSgprs: 42
; NumVgprs: 124
; ScratchSize: 0
; MemoryBound: 0
; FloatMode: 240
; IeeeMode: 1
; LDSByteSize: 17472 bytes/workgroup (compile time only)
; SGPRBlocks: 5
; VGPRBlocks: 15
; NumSGPRsForWavesPerEU: 42
; NumVGPRsForWavesPerEU: 124
; Occupancy: 10
; WaveLimiterHint : 1
; COMPUTE_PGM_RSRC2:SCRATCH_EN: 0
; COMPUTE_PGM_RSRC2:USER_SGPR: 13
; COMPUTE_PGM_RSRC2:TRAP_HANDLER: 0
; COMPUTE_PGM_RSRC2:TGID_X_EN: 1
; COMPUTE_PGM_RSRC2:TGID_Y_EN: 1
; COMPUTE_PGM_RSRC2:TGID_Z_EN: 1
; COMPUTE_PGM_RSRC2:TIDIG_COMP_CNT: 0
	.section	.text._Z39paged_attention_ll4mi_QKV_mfma16_kernelI14__hip_bfloat16hLN4vllm18Fp8KVCacheDataTypeE1ES0_Li32ELi64ELi256ELb0ELi11EL8MFMAType0EEvPKT_PKT0_S9_ifPKiSB_SB_iPKfiiiPfSE_PS4_PT2_iSD_SD_,"axG",@progbits,_Z39paged_attention_ll4mi_QKV_mfma16_kernelI14__hip_bfloat16hLN4vllm18Fp8KVCacheDataTypeE1ES0_Li32ELi64ELi256ELb0ELi11EL8MFMAType0EEvPKT_PKT0_S9_ifPKiSB_SB_iPKfiiiPfSE_PS4_PT2_iSD_SD_,comdat
	.protected	_Z39paged_attention_ll4mi_QKV_mfma16_kernelI14__hip_bfloat16hLN4vllm18Fp8KVCacheDataTypeE1ES0_Li32ELi64ELi256ELb0ELi11EL8MFMAType0EEvPKT_PKT0_S9_ifPKiSB_SB_iPKfiiiPfSE_PS4_PT2_iSD_SD_ ; -- Begin function _Z39paged_attention_ll4mi_QKV_mfma16_kernelI14__hip_bfloat16hLN4vllm18Fp8KVCacheDataTypeE1ES0_Li32ELi64ELi256ELb0ELi11EL8MFMAType0EEvPKT_PKT0_S9_ifPKiSB_SB_iPKfiiiPfSE_PS4_PT2_iSD_SD_
	.globl	_Z39paged_attention_ll4mi_QKV_mfma16_kernelI14__hip_bfloat16hLN4vllm18Fp8KVCacheDataTypeE1ES0_Li32ELi64ELi256ELb0ELi11EL8MFMAType0EEvPKT_PKT0_S9_ifPKiSB_SB_iPKfiiiPfSE_PS4_PT2_iSD_SD_
	.p2align	8
	.type	_Z39paged_attention_ll4mi_QKV_mfma16_kernelI14__hip_bfloat16hLN4vllm18Fp8KVCacheDataTypeE1ES0_Li32ELi64ELi256ELb0ELi11EL8MFMAType0EEvPKT_PKT0_S9_ifPKiSB_SB_iPKfiiiPfSE_PS4_PT2_iSD_SD_,@function
_Z39paged_attention_ll4mi_QKV_mfma16_kernelI14__hip_bfloat16hLN4vllm18Fp8KVCacheDataTypeE1ES0_Li32ELi64ELi256ELb0ELi11EL8MFMAType0EEvPKT_PKT0_S9_ifPKiSB_SB_iPKfiiiPfSE_PS4_PT2_iSD_SD_: ; @_Z39paged_attention_ll4mi_QKV_mfma16_kernelI14__hip_bfloat16hLN4vllm18Fp8KVCacheDataTypeE1ES0_Li32ELi64ELi256ELb0ELi11EL8MFMAType0EEvPKT_PKT0_S9_ifPKiSB_SB_iPKfiiiPfSE_PS4_PT2_iSD_SD_
; %bb.0:
	s_load_b64 s[2:3], s[0:1], 0x30
	s_mov_b32 s34, s13
	s_waitcnt lgkmcnt(0)
	s_cmp_lg_u64 s[2:3], 0
	s_cselect_b32 s8, -1, 0
	s_ashr_i32 s35, s13, 31
	s_cmp_eq_u64 s[2:3], 0
	s_cbranch_scc1 .LBB1784_3
; %bb.1:
	s_lshl_b64 s[4:5], s[34:35], 2
	s_delay_alu instid0(SALU_CYCLE_1) | instskip(SKIP_4) | instid1(SALU_CYCLE_1)
	s_add_u32 s4, s2, s4
	s_addc_u32 s5, s3, s5
	s_load_b64 s[4:5], s[4:5], 0x0
	s_waitcnt lgkmcnt(0)
	s_sub_i32 s4, s5, s4
	s_cmp_eq_u32 s4, 1
	s_cselect_b32 s4, -1, 0
	s_delay_alu instid0(SALU_CYCLE_1)
	s_and_not1_b32 vcc_lo, exec_lo, s4
	s_cbranch_vccz .LBB1784_4
.LBB1784_2:
	s_nop 0
	s_sendmsg sendmsg(MSG_DEALLOC_VGPRS)
	s_endpgm
.LBB1784_3:
.LBB1784_4:
	s_load_b64 s[4:5], s[0:1], 0x28
	s_lshl_b64 s[6:7], s[34:35], 2
	s_waitcnt lgkmcnt(0)
	s_add_u32 s4, s4, s6
	s_addc_u32 s5, s5, s7
	s_lshl_b32 s12, s14, 8
	s_load_b32 s24, s[4:5], 0x0
	s_waitcnt lgkmcnt(0)
	s_cmp_ge_i32 s12, s24
	s_cbranch_scc1 .LBB1784_2
; %bb.5:
	s_clause 0x1
	s_load_b128 s[20:23], s[0:1], 0x8
	s_load_b64 s[4:5], s[0:1], 0x20
	s_and_not1_b32 vcc_lo, exec_lo, s8
	s_cbranch_vccnz .LBB1784_7
; %bb.6:
	s_add_u32 s2, s2, s6
	s_addc_u32 s3, s3, s7
	s_load_b32 s3, s[2:3], 0x0
	s_branch .LBB1784_8
.LBB1784_7:
	s_mov_b32 s3, s34
.LBB1784_8:
	s_load_b128 s[16:19], s[0:1], 0x48
	v_lshrrev_b32_e32 v66, 5, v0
	v_bfe_u32 v74, v0, 4, 1
	v_and_b32_e32 v65, 15, v0
	v_and_b32_e32 v67, 31, v0
	;; [unrolled: 1-line block ×3, first 2 shown]
	s_mul_i32 s31, s15, 11
	v_lshl_or_b32 v1, v66, 1, v74
	v_lshlrev_b32_e32 v2, 3, v65
	v_cmp_gt_u32_e64 s2, 8, v65
	s_delay_alu instid0(VALU_DEP_3) | instskip(NEXT) | instid1(VALU_DEP_3)
	v_cmp_gt_u32_e32 vcc_lo, 11, v1
	v_lshlrev_b32_e32 v73, 1, v2
	s_delay_alu instid0(VALU_DEP_3) | instskip(NEXT) | instid1(SALU_CYCLE_1)
	s_and_b32 s7, s2, vcc_lo
	s_and_saveexec_b32 s6, s7
	s_cbranch_execz .LBB1784_10
; %bb.9:
	s_load_b64 s[8:9], s[0:1], 0x0
	v_add_lshl_u32 v2, v1, s31, 6
	s_waitcnt lgkmcnt(0)
	s_mul_hi_i32 s11, s3, s16
	s_mul_i32 s10, s3, s16
	v_lshlrev_b32_e32 v6, 10, v65
	s_lshl_b64 s[10:11], s[10:11], 1
	v_ashrrev_i32_e32 v3, 31, v2
	v_lshlrev_b32_e32 v1, 6, v1
	v_lshlrev_b32_e32 v7, 10, v75
	v_and_b32_e32 v6, 0x3800, v6
	s_delay_alu instid0(VALU_DEP_4) | instskip(NEXT) | instid1(VALU_DEP_2)
	v_lshlrev_b64 v[2:3], 1, v[2:3]
	v_or3_b32 v1, v6, v7, v1
	s_add_u32 s3, s8, s10
	s_addc_u32 s7, s9, s11
	s_delay_alu instid0(VALU_DEP_2) | instskip(NEXT) | instid1(VALU_DEP_3)
	v_add_co_u32 v2, vcc_lo, s3, v2
	v_add_co_ci_u32_e32 v3, vcc_lo, s7, v3, vcc_lo
	s_delay_alu instid0(VALU_DEP_2) | instskip(NEXT) | instid1(VALU_DEP_2)
	v_add_co_u32 v2, vcc_lo, v2, v73
	v_add_co_ci_u32_e32 v3, vcc_lo, 0, v3, vcc_lo
	global_load_b128 v[2:5], v[2:3], off
	s_waitcnt vmcnt(0)
	ds_store_b128 v1, v[2:5]
.LBB1784_10:
	s_or_b32 exec_lo, exec_lo, s6
	v_and_b32_e32 v1, 0xef, v0
	s_waitcnt lgkmcnt(0)
	s_add_i32 s3, s24, 31
	s_clause 0x1
	s_load_b32 s6, s[0:1], 0x38
	s_load_b32 s19, s[0:1], 0x1c
	s_ashr_i32 s7, s3, 31
	v_add_nc_u32_e32 v1, s12, v1
	s_lshr_b32 s7, s7, 27
	s_waitcnt lgkmcnt(0)
	s_add_i32 s3, s3, s7
	s_barrier
	v_ashrrev_i32_e32 v2, 31, v1
	v_or_b32_e32 v3, 16, v1
	s_ashr_i32 s3, s3, 5
	v_cmp_gt_i32_e32 vcc_lo, s24, v1
	s_add_i32 s3, s3, -1
	v_lshrrev_b32_e32 v2, 27, v2
	buffer_gl0_inv
	s_mul_i32 s27, s15, s18
	v_add_nc_u32_e32 v4, v1, v2
	s_mul_i32 s6, s34, s6
	s_delay_alu instid0(SALU_CYCLE_1) | instskip(NEXT) | instid1(VALU_DEP_1)
	s_ashr_i32 s7, s6, 31
	v_ashrrev_i32_e32 v4, 5, v4
	v_add_nc_u32_e32 v2, v3, v2
	s_lshl_b64 s[6:7], s[6:7], 2
	s_delay_alu instid0(SALU_CYCLE_1) | instskip(NEXT) | instid1(VALU_DEP_2)
	s_add_u32 s26, s4, s6
	v_cndmask_b32_e32 v1, s3, v4, vcc_lo
	s_delay_alu instid0(VALU_DEP_2)
	v_ashrrev_i32_e32 v2, 5, v2
	v_cmp_gt_i32_e32 vcc_lo, s24, v3
	s_addc_u32 s25, s5, s7
	s_ashr_i32 s28, s27, 31
	s_add_u32 s4, s20, s27
	s_addc_u32 s5, s21, s28
	v_cndmask_b32_e32 v3, s3, v2, vcc_lo
	v_ashrrev_i32_e32 v2, 31, v1
	s_lshl_b32 s6, s14, 3
	s_delay_alu instid0(SALU_CYCLE_1) | instskip(NEXT) | instid1(VALU_DEP_2)
	s_ashr_i32 s7, s6, 31
	v_ashrrev_i32_e32 v4, 31, v3
	s_delay_alu instid0(VALU_DEP_2) | instskip(SKIP_1) | instid1(SALU_CYCLE_1)
	v_lshlrev_b64 v[1:2], 2, v[1:2]
	s_lshl_b64 s[6:7], s[6:7], 2
	s_add_u32 s6, s26, s6
	s_delay_alu instid0(VALU_DEP_2) | instskip(SKIP_1) | instid1(VALU_DEP_2)
	v_lshlrev_b64 v[3:4], 2, v[3:4]
	s_addc_u32 s7, s25, s7
	v_add_co_u32 v1, vcc_lo, s26, v1
	v_add_co_ci_u32_e32 v2, vcc_lo, s25, v2, vcc_lo
	s_delay_alu instid0(VALU_DEP_3) | instskip(NEXT) | instid1(VALU_DEP_4)
	v_add_co_u32 v3, vcc_lo, s26, v3
	v_add_co_ci_u32_e32 v4, vcc_lo, s25, v4, vcc_lo
	s_clause 0x1
	global_load_b32 v5, v[1:2], off
	global_load_b32 v6, v[3:4], off
	s_or_b32 s8, s12, 32
	s_delay_alu instid0(SALU_CYCLE_1) | instskip(SKIP_2) | instid1(SALU_CYCLE_1)
	s_ashr_i32 s9, s8, 5
	s_cmp_lt_i32 s8, s24
	s_cselect_b32 s8, s9, s3
	s_ashr_i32 s9, s8, 31
	s_delay_alu instid0(SALU_CYCLE_1) | instskip(NEXT) | instid1(SALU_CYCLE_1)
	s_lshl_b64 s[8:9], s[8:9], 2
	s_add_u32 s8, s26, s8
	s_addc_u32 s9, s25, s9
	s_or_b32 s10, s12, 64
	s_delay_alu instid0(SALU_CYCLE_1) | instskip(SKIP_2) | instid1(SALU_CYCLE_1)
	s_ashr_i32 s11, s10, 5
	s_cmp_lt_i32 s10, s24
	s_cselect_b32 s10, s11, s3
	s_ashr_i32 s11, s10, 31
	s_delay_alu instid0(SALU_CYCLE_1) | instskip(NEXT) | instid1(SALU_CYCLE_1)
	s_lshl_b64 s[10:11], s[10:11], 2
	s_add_u32 s10, s26, s10
	s_addc_u32 s11, s25, s11
	;; [unrolled: 10-line block ×5, first 2 shown]
	s_clause 0x5
	s_load_b32 s21, s[6:7], 0x0
	s_load_b32 s13, s[8:9], 0x0
	;; [unrolled: 1-line block ×6, first 2 shown]
	s_or_b32 s8, s12, 0xc0
	s_delay_alu instid0(SALU_CYCLE_1) | instskip(SKIP_2) | instid1(SALU_CYCLE_1)
	s_ashr_i32 s9, s8, 5
	s_cmp_lt_i32 s8, s24
	s_cselect_b32 s36, s9, s3
	s_ashr_i32 s37, s36, 31
	s_delay_alu instid0(SALU_CYCLE_1) | instskip(NEXT) | instid1(SALU_CYCLE_1)
	s_lshl_b64 s[36:37], s[36:37], 2
	s_add_u32 s36, s26, s36
	s_addc_u32 s37, s25, s37
	s_or_b32 s29, s12, 0xe0
	s_delay_alu instid0(SALU_CYCLE_1)
	s_ashr_i32 s30, s29, 5
	s_cmp_lt_i32 s29, s24
	s_waitcnt vmcnt(1)
	v_mad_i64_i32 v[1:2], null, v5, s17, s[4:5]
	s_waitcnt vmcnt(0)
	v_mad_i64_i32 v[3:4], null, v6, s17, s[4:5]
	s_mov_b32 s4, 0
	s_delay_alu instid0(SALU_CYCLE_1)
	s_mov_b32 s5, s4
	s_mov_b32 s6, s4
	;; [unrolled: 1-line block ×7, first 2 shown]
	v_lshlrev_b32_e32 v5, 4, v65
	v_dual_mov_b32 v107, s11 :: v_dual_mov_b32 v102, s6
	v_mov_b32_e32 v100, s4
	v_mov_b32_e32 v106, s10
	s_delay_alu instid0(VALU_DEP_4)
	v_add_co_u32 v1, vcc_lo, v1, v5
	v_add_co_ci_u32_e32 v2, vcc_lo, 0, v2, vcc_lo
	v_add_co_u32 v3, vcc_lo, v3, v5
	v_add_co_ci_u32_e32 v4, vcc_lo, 0, v4, vcc_lo
	s_clause 0x7
	global_load_b128 v[49:52], v[1:2], off
	global_load_b128 v[53:56], v[1:2], off offset:512
	global_load_b128 v[76:79], v[3:4], off offset:256
	;; [unrolled: 1-line block ×7, first 2 shown]
	v_add_nc_u32_e32 v1, -11, v65
	v_cmp_gt_u32_e32 vcc_lo, 11, v65
	v_dual_mov_b32 v104, s8 :: v_dual_mov_b32 v103, s7
	v_dual_mov_b32 v101, s5 :: v_dual_lshlrev_b32 v2, 5, v65
	s_delay_alu instid0(VALU_DEP_4)
	v_cndmask_b32_e32 v1, v1, v65, vcc_lo
	v_mov_b32_e32 v105, s9
	s_cselect_b32 s4, s30, s3
	s_load_b32 s3, s[36:37], 0x0
	s_ashr_i32 s5, s4, 31
	v_lshlrev_b32_e32 v70, 6, v1
	s_lshl_b64 s[4:5], s[4:5], 2
	v_lshl_or_b32 v2, v66, 9, v2
	s_add_u32 s4, s26, s4
	s_addc_u32 s5, s25, s5
	ds_load_b128 v[108:111], v70
	ds_load_b128 v[112:115], v70 offset:1024
	s_load_b32 s4, s[4:5], 0x0
	s_add_u32 s6, s22, s27
	s_addc_u32 s7, s23, s28
	v_add_co_u32 v9, s6, s6, v2
	s_delay_alu instid0(VALU_DEP_1) | instskip(SKIP_1) | instid1(VALU_DEP_1)
	v_add_co_ci_u32_e64 v10, null, s7, 0, s6
	s_waitcnt lgkmcnt(0)
	v_mad_i64_i32 v[1:2], null, s21, s17, v[9:10]
	v_mad_i64_i32 v[3:4], null, s13, s17, v[9:10]
	;; [unrolled: 1-line block ×7, first 2 shown]
	s_clause 0x9
	global_load_b128 v[57:60], v[1:2], off
	global_load_b128 v[61:64], v[1:2], off offset:16
	global_load_b128 v[41:44], v[3:4], off
	global_load_b128 v[45:48], v[3:4], off offset:16
	;; [unrolled: 2-line block ×5, first 2 shown]
	v_mad_i64_i32 v[68:69], null, s4, s17, v[9:10]
	s_clause 0x3
	global_load_b128 v[9:12], v[13:14], off
	global_load_b128 v[13:16], v[13:14], off offset:16
	global_load_b128 v[17:20], v[21:22], off
	global_load_b128 v[21:24], v[21:22], off offset:16
	s_waitcnt vmcnt(20)
	v_wmma_f32_16x16x16_bf16 v[116:123], v[49:56], v[108:115], v[100:107]
	s_clause 0x1
	global_load_b128 v[49:52], v[68:69], off
	global_load_b128 v[53:56], v[68:69], off offset:16
	v_and_b32_e32 v68, 0xe0, v0
	v_mbcnt_lo_u32_b32 v69, -1, 0
	s_delay_alu instid0(VALU_DEP_2)
	v_add_nc_u32_e32 v68, s12, v68
	s_waitcnt vmcnt(20)
	v_wmma_f32_16x16x16_bf16 v[100:107], v[76:83], v[108:115], v[100:107]
	ds_load_b128 v[76:79], v70 offset:2048
	ds_load_b128 v[80:83], v70 offset:3072
	v_xor_b32_e32 v70, 16, v69
	s_waitcnt vmcnt(0) lgkmcnt(0)
	v_or_b32_e32 v68, v68, v74
	s_barrier
	buffer_gl0_inv
	v_cmp_gt_i32_e32 vcc_lo, 32, v70
	v_or_b32_e32 v71, 4, v68
	v_or_b32_e32 v72, 6, v68
	v_cmp_gt_i32_e64 s3, s24, v68
	v_or_b32_e32 v108, 8, v68
	v_or_b32_e32 v109, 10, v68
	v_cmp_gt_i32_e64 s4, s24, v71
	v_cmp_gt_i32_e64 s5, s24, v72
	s_delay_alu instid0(VALU_DEP_4) | instskip(NEXT) | instid1(VALU_DEP_4)
	v_cmp_gt_i32_e64 s6, s24, v108
	v_cmp_gt_i32_e64 s7, s24, v109
	v_wmma_f32_16x16x16_bf16 v[116:123], v[84:91], v[76:83], v[116:123]
	v_cndmask_b32_e32 v69, v69, v70, vcc_lo
	v_or_b32_e32 v70, 2, v68
	v_wmma_f32_16x16x16_bf16 v[100:107], v[92:99], v[76:83], v[100:107]
	v_or_b32_e32 v89, 22, v68
	v_dual_mul_f32 v80, s19, v121 :: v_dual_mul_f32 v81, s19, v120
	v_dual_mul_f32 v92, s19, v117 :: v_dual_mul_f32 v93, s19, v116
	s_delay_alu instid0(VALU_DEP_4)
	v_mul_f32_e32 v96, s19, v105
	v_cmp_gt_i32_e32 vcc_lo, s24, v70
	v_dual_mul_f32 v79, s19, v122 :: v_dual_mul_f32 v82, s19, v119
	v_dual_mul_f32 v83, s19, v118 :: v_dual_mul_f32 v94, s19, v107
	v_cndmask_b32_e64 v93, 0xff7fffff, v93, s3
	v_cndmask_b32_e32 v92, 0xff7fffff, v92, vcc_lo
	v_or_b32_e32 v84, 12, v68
	v_or_b32_e32 v85, 14, v68
	v_cndmask_b32_e64 v71, 0xff7fffff, v83, s4
	v_cndmask_b32_e64 v72, 0xff7fffff, v82, s5
	v_cmp_gt_i32_e64 s13, s24, v89
	v_lshlrev_b32_e32 v89, 2, v69
	v_max3_f32 v82, v93, 0xff7fffff, v92
	v_or_b32_e32 v86, 16, v68
	v_or_b32_e32 v87, 18, v68
	v_mul_f32_e32 v78, s19, v123
	v_cndmask_b32_e64 v81, 0xff7fffff, v81, s6
	v_cndmask_b32_e64 v80, 0xff7fffff, v80, s7
	v_max3_f32 v71, v82, v71, v72
	v_cmp_gt_i32_e64 s8, s24, v84
	v_cmp_gt_i32_e64 s9, s24, v85
	v_or_b32_e32 v88, 20, v68
	v_or_b32_e32 v90, 24, v68
	;; [unrolled: 1-line block ×5, first 2 shown]
	v_dual_mul_f32 v97, s19, v104 :: v_dual_mul_f32 v70, s19, v101
	v_dual_mul_f32 v99, s19, v102 :: v_dual_mul_f32 v68, s19, v100
	v_cndmask_b32_e64 v72, 0xff7fffff, v79, s8
	v_cndmask_b32_e64 v78, 0xff7fffff, v78, s9
	v_max3_f32 v71, v71, v81, v80
	v_cmp_gt_i32_e64 s10, s24, v86
	v_cmp_gt_i32_e64 s11, s24, v87
	v_dual_mul_f32 v95, s19, v106 :: v_dual_mul_f32 v98, s19, v103
	s_delay_alu instid0(VALU_DEP_4) | instskip(NEXT) | instid1(VALU_DEP_4)
	v_max3_f32 v71, v71, v72, v78
	v_cndmask_b32_e64 v68, 0xff7fffff, v68, s10
	s_delay_alu instid0(VALU_DEP_4)
	v_cndmask_b32_e64 v70, 0xff7fffff, v70, s11
	v_cmp_gt_i32_e64 s12, s24, v88
	v_cndmask_b32_e64 v78, 0xff7fffff, v98, s13
	v_cmp_gt_i32_e64 s15, s24, v90
	v_cmp_gt_i32_e64 s16, s24, v91
	v_max3_f32 v68, v71, v68, v70
	v_cndmask_b32_e64 v72, 0xff7fffff, v99, s12
	v_cmp_gt_i32_e64 s17, s24, v76
	v_cndmask_b32_e64 v70, 0xff7fffff, v97, s15
	v_cndmask_b32_e64 v71, 0xff7fffff, v96, s16
	v_cmp_gt_i32_e64 s18, s24, v77
	v_max3_f32 v68, v68, v72, v78
	v_cndmask_b32_e64 v72, 0xff7fffff, v95, s17
	s_delay_alu instid0(VALU_DEP_3) | instskip(NEXT) | instid1(VALU_DEP_3)
	v_cndmask_b32_e64 v76, 0xff7fffff, v94, s18
	v_max3_f32 v68, v68, v70, v71
	s_delay_alu instid0(VALU_DEP_1) | instskip(SKIP_3) | instid1(VALU_DEP_1)
	v_max3_f32 v68, v68, v72, v76
	ds_bpermute_b32 v69, v89, v68
	s_waitcnt lgkmcnt(0)
	v_max_f32_e32 v69, v69, v69
	v_max_f32_e32 v68, v68, v69
	s_delay_alu instid0(VALU_DEP_1) | instskip(NEXT) | instid1(VALU_DEP_1)
	v_fma_f32 v71, s19, v118, -v68
	v_mul_f32_e32 v71, 0x3fb8aa3b, v71
	v_fma_f32 v70, s19, v117, -v68
	v_fma_f32 v69, s19, v116, -v68
	v_fma_f32 v76, s19, v120, -v68
	v_fma_f32 v72, s19, v119, -v68
	v_fma_f32 v78, s19, v122, -v68
	s_delay_alu instid0(VALU_DEP_4) | instskip(SKIP_1) | instid1(VALU_DEP_3)
	v_dual_mul_f32 v70, 0x3fb8aa3b, v70 :: v_dual_mul_f32 v69, 0x3fb8aa3b, v69
	v_exp_f32_e32 v71, v71
	v_mul_f32_e32 v72, 0x3fb8aa3b, v72
	v_fma_f32 v81, s19, v105, -v68
	s_delay_alu instid0(VALU_DEP_3)
	v_exp_f32_e32 v70, v70
	v_mul_f32_e32 v77, 0x3fb8aa3b, v76
	v_exp_f32_e32 v69, v69
	v_exp_f32_e32 v72, v72
	v_mul_f32_e32 v81, 0x3fb8aa3b, v81
	v_cndmask_b32_e64 v83, 0, v71, s4
	v_fma_f32 v71, s19, v123, -v68
	s_delay_alu instid0(VALU_DEP_3) | instskip(SKIP_4) | instid1(TRANS32_DEP_3)
	v_exp_f32_e32 v81, v81
	v_cndmask_b32_e32 v76, 0, v70, vcc_lo
	v_exp_f32_e32 v77, v77
	v_cndmask_b32_e64 v80, 0, v69, s3
	v_fma_f32 v69, s19, v121, -v68
	v_cndmask_b32_e64 v85, 0, v72, s5
	v_mul_f32_e32 v71, 0x3fb8aa3b, v71
	v_fma_f32 v72, s19, v100, -v68
	s_delay_alu instid0(VALU_DEP_4) | instskip(SKIP_1) | instid1(VALU_DEP_4)
	v_dual_add_f32 v70, 0, v80 :: v_dual_mul_f32 v69, 0x3fb8aa3b, v69
	v_cmp_gt_u32_e64 s3, 16, v67
	v_exp_f32_e32 v71, v71
	s_delay_alu instid0(TRANS32_DEP_2) | instskip(SKIP_4) | instid1(VALU_DEP_3)
	v_cndmask_b32_e64 v86, 0, v77, s6
	v_fma_f32 v77, s19, v101, -v68
	v_mul_f32_e32 v78, 0x3fb8aa3b, v78
	v_add_f32_e32 v70, v70, v76
	v_exp_f32_e32 v69, v69
	v_mul_f32_e32 v77, 0x3fb8aa3b, v77
	s_delay_alu instid0(VALU_DEP_3) | instskip(NEXT) | instid1(TRANS32_DEP_3)
	v_exp_f32_e32 v78, v78
	v_cndmask_b32_e64 v88, 0, v71, s9
	v_fma_f32 v71, s19, v104, -v68
	s_delay_alu instid0(VALU_DEP_3) | instskip(NEXT) | instid1(TRANS32_DEP_3)
	v_exp_f32_e32 v77, v77
	v_cndmask_b32_e64 v87, 0, v69, s7
	s_delay_alu instid0(VALU_DEP_2)
	v_mul_f32_e32 v71, 0x3fb8aa3b, v71
	s_waitcnt_depctr 0xfff
	v_cndmask_b32_e64 v84, 0, v78, s8
	v_add_f32_e32 v70, v70, v83
	v_fma_f32 v78, s19, v103, -v68
	v_exp_f32_e32 v82, v71
	s_delay_alu instid0(VALU_DEP_2) | instskip(SKIP_1) | instid1(VALU_DEP_3)
	v_add_f32_e32 v70, v70, v85
	v_mul_f32_e32 v72, 0x3fb8aa3b, v72
	v_mul_f32_e32 v78, 0x3fb8aa3b, v78
	s_delay_alu instid0(VALU_DEP_3) | instskip(SKIP_1) | instid1(VALU_DEP_4)
	v_add_f32_e32 v69, v70, v86
	v_fma_f32 v70, s19, v102, -v68
	v_exp_f32_e32 v72, v72
	s_delay_alu instid0(VALU_DEP_3) | instskip(NEXT) | instid1(VALU_DEP_1)
	v_exp_f32_e32 v78, v78
	v_dual_add_f32 v69, v69, v87 :: v_dual_mul_f32 v70, 0x3fb8aa3b, v70
	s_delay_alu instid0(VALU_DEP_1) | instskip(NEXT) | instid1(VALU_DEP_2)
	v_add_f32_e32 v69, v69, v84
	v_exp_f32_e32 v79, v70
	s_delay_alu instid0(TRANS32_DEP_3) | instskip(NEXT) | instid1(VALU_DEP_2)
	v_cndmask_b32_e64 v70, 0, v72, s10
	v_add_f32_e32 v72, v69, v88
	v_cndmask_b32_e64 v69, 0, v77, s11
	v_fma_f32 v77, s19, v106, -v68
	s_waitcnt_depctr 0xfff
	v_cndmask_b32_e64 v71, 0, v79, s12
	v_dual_mul_f32 v77, 0x3fb8aa3b, v77 :: v_dual_add_f32 v72, v72, v70
	s_delay_alu instid0(VALU_DEP_1) | instskip(NEXT) | instid1(VALU_DEP_1)
	v_exp_f32_e32 v90, v77
	v_add_f32_e32 v79, v72, v69
	v_cndmask_b32_e64 v72, 0, v78, s13
	v_cndmask_b32_e64 v77, 0, v82, s15
	s_delay_alu instid0(VALU_DEP_3) | instskip(SKIP_1) | instid1(VALU_DEP_1)
	v_add_f32_e32 v78, v79, v71
	v_fma_f32 v79, s19, v107, -v68
	v_dual_add_f32 v82, v78, v72 :: v_dual_mul_f32 v79, 0x3fb8aa3b, v79
	v_cndmask_b32_e64 v78, 0, v81, s16
	s_delay_alu instid0(VALU_DEP_2) | instskip(NEXT) | instid1(VALU_DEP_3)
	v_add_f32_e32 v81, v82, v77
	v_exp_f32_e32 v82, v79
	v_cndmask_b32_e64 v79, 0, v90, s17
	s_delay_alu instid0(VALU_DEP_2) | instskip(NEXT) | instid1(VALU_DEP_1)
	v_add_f32_e32 v81, v81, v78
	v_add_f32_e32 v90, v81, v79
	s_waitcnt_depctr 0xfff
	v_cndmask_b32_e64 v81, 0, v82, s18
	s_delay_alu instid0(VALU_DEP_1)
	v_add_f32_e32 v82, v90, v81
	ds_bpermute_b32 v89, v89, v82
	s_and_saveexec_b32 s4, s3
	s_cbranch_execz .LBB1784_12
; %bb.11:
	v_mul_u32_u24_e32 v67, 0x44, v66
	s_delay_alu instid0(VALU_DEP_1) | instskip(SKIP_1) | instid1(VALU_DEP_1)
	v_lshl_add_u32 v67, v65, 2, v67
	s_waitcnt lgkmcnt(0)
	v_dual_add_f32 v82, v82, v89 :: v_dual_add_nc_u32 v67, 0x4000, v67
	ds_store_2addr_b32 v67, v68, v82 offset1:136
.LBB1784_12:
	s_or_b32 exec_lo, exec_lo, s4
	v_lshlrev_b32_e32 v67, 2, v65
	s_waitcnt lgkmcnt(0)
	s_barrier
	buffer_gl0_inv
	v_cmp_eq_u32_e32 vcc_lo, 1, v66
	v_add_nc_u32_e32 v82, 0x4000, v67
	v_cmp_eq_u32_e64 s4, 2, v66
	v_cmp_eq_u32_e64 s6, 7, v66
	ds_load_2addr_b32 v[89:90], v82 offset1:17
	ds_load_2addr_b32 v[91:92], v82 offset0:34 offset1:51
	ds_load_2addr_b32 v[93:94], v82 offset0:68 offset1:85
	;; [unrolled: 1-line block ×4, first 2 shown]
	s_waitcnt lgkmcnt(4)
	v_max3_f32 v67, v89, 0xff7fffff, v90
	s_waitcnt lgkmcnt(3)
	s_delay_alu instid0(VALU_DEP_1) | instskip(SKIP_1) | instid1(VALU_DEP_1)
	v_max3_f32 v67, v67, v91, v92
	s_waitcnt lgkmcnt(2)
	v_max3_f32 v67, v67, v93, v94
	s_waitcnt lgkmcnt(1)
	s_delay_alu instid0(VALU_DEP_1) | instskip(NEXT) | instid1(VALU_DEP_1)
	v_max3_f32 v67, v67, v95, v96
	v_sub_f32_e32 v93, v93, v67
	s_delay_alu instid0(VALU_DEP_1) | instskip(NEXT) | instid1(VALU_DEP_1)
	v_dual_sub_f32 v68, v89, v67 :: v_dual_mul_f32 v103, 0x3fb8aa3b, v93
	v_mul_f32_e32 v68, 0x3fb8aa3b, v68
	s_delay_alu instid0(VALU_DEP_1)
	v_exp_f32_e32 v100, v68
	v_sub_f32_e32 v68, v92, v67
	v_sub_f32_e32 v99, v90, v67
	ds_load_2addr_b32 v[89:90], v82 offset0:170 offset1:187
	v_dual_mul_f32 v102, 0x3fb8aa3b, v68 :: v_dual_mul_f32 v99, 0x3fb8aa3b, v99
	s_waitcnt lgkmcnt(1)
	v_fma_f32 v68, v100, v97, 0
	s_delay_alu instid0(VALU_DEP_2) | instskip(NEXT) | instid1(VALU_DEP_2)
	v_exp_f32_e32 v102, v102
	v_exp_f32_e32 v99, v99
	s_waitcnt_depctr 0xfff
	v_fmac_f32_e32 v68, v99, v98
	v_sub_f32_e32 v91, v91, v67
	s_delay_alu instid0(VALU_DEP_1)
	v_mul_f32_e32 v101, 0x3fb8aa3b, v91
	ds_load_2addr_b32 v[91:92], v82 offset0:204 offset1:221
	v_sub_f32_e32 v97, v94, v67
	ds_load_2addr_b32 v[93:94], v82 offset0:238 offset1:255
	s_waitcnt lgkmcnt(0)
	v_exp_f32_e32 v101, v101
	s_barrier
	buffer_gl0_inv
	v_dual_fmac_f32 v68, v101, v89 :: v_dual_sub_f32 v89, v96, v67
	v_dual_sub_f32 v82, v95, v67 :: v_dual_mul_f32 v95, 0x3fb8aa3b, v97
	v_exp_f32_e32 v97, v103
	s_delay_alu instid0(VALU_DEP_2) | instskip(NEXT) | instid1(VALU_DEP_2)
	v_dual_fmac_f32 v68, v102, v90 :: v_dual_mul_f32 v89, 0x3fb8aa3b, v89
	v_mul_f32_e32 v82, 0x3fb8aa3b, v82
	s_delay_alu instid0(VALU_DEP_3) | instskip(NEXT) | instid1(VALU_DEP_2)
	v_exp_f32_e32 v95, v95
	v_exp_f32_e32 v89, v89
	s_delay_alu instid0(VALU_DEP_1)
	v_exp_f32_e32 v82, v82
	v_fmac_f32_e32 v68, v97, v91
	s_delay_alu instid0(TRANS32_DEP_3) | instid1(VALU_DEP_1)
	v_fmac_f32_e32 v68, v95, v92
	s_waitcnt_depctr 0xfff
	v_fmac_f32_e32 v68, v82, v93
	s_delay_alu instid0(VALU_DEP_1) | instskip(NEXT) | instid1(VALU_DEP_1)
	v_fmac_f32_e32 v68, v89, v94
	v_add_f32_e32 v90, 0x358637bd, v68
	s_delay_alu instid0(VALU_DEP_1) | instskip(NEXT) | instid1(VALU_DEP_1)
	v_div_scale_f32 v91, null, v90, v90, 1.0
	v_rcp_f32_e32 v92, v91
	s_waitcnt_depctr 0xfff
	v_fma_f32 v93, -v91, v92, 1.0
	s_delay_alu instid0(VALU_DEP_1) | instskip(SKIP_1) | instid1(VALU_DEP_2)
	v_dual_fmac_f32 v92, v93, v92 :: v_dual_cndmask_b32 v93, v100, v99
	v_cmp_eq_u32_e32 vcc_lo, 3, v66
	v_cndmask_b32_e64 v93, v93, v101, s4
	v_cmp_eq_u32_e64 s4, 4, v66
	s_delay_alu instid0(VALU_DEP_2) | instskip(SKIP_1) | instid1(VALU_DEP_2)
	v_cndmask_b32_e32 v93, v93, v102, vcc_lo
	v_cmp_eq_u32_e32 vcc_lo, 5, v66
	v_cndmask_b32_e64 v93, v93, v97, s4
	v_cmp_eq_u32_e64 s4, 6, v66
	s_delay_alu instid0(VALU_DEP_2) | instskip(SKIP_1) | instid1(VALU_DEP_1)
	v_cndmask_b32_e32 v93, v93, v95, vcc_lo
	v_div_scale_f32 v94, s5, 1.0, v90, 1.0
	s_mov_b32 vcc_lo, s5
	s_delay_alu instid0(VALU_DEP_2) | instskip(NEXT) | instid1(VALU_DEP_2)
	v_cndmask_b32_e64 v82, v93, v82, s4
	v_mul_f32_e32 v96, v94, v92
	s_mov_b32 s4, exec_lo
	s_delay_alu instid0(VALU_DEP_2) | instskip(NEXT) | instid1(VALU_DEP_2)
	v_cndmask_b32_e64 v82, v82, v89, s6
	v_fma_f32 v98, -v91, v96, v94
	s_delay_alu instid0(VALU_DEP_1) | instskip(NEXT) | instid1(VALU_DEP_1)
	v_fmac_f32_e32 v96, v98, v92
	v_fma_f32 v91, -v91, v96, v94
	s_delay_alu instid0(VALU_DEP_1) | instskip(NEXT) | instid1(VALU_DEP_1)
	v_div_fmas_f32 v91, v91, v92, v96
	v_div_fixup_f32 v90, v91, v90, 1.0
	s_delay_alu instid0(VALU_DEP_1) | instskip(NEXT) | instid1(VALU_DEP_1)
	v_mul_f32_e32 v82, v82, v90
	v_mul_f32_e32 v87, v82, v87
	;; [unrolled: 1-line block ×7, first 2 shown]
	v_dual_mul_f32 v86, v82, v83 :: v_dual_and_b32 v91, 0x7f800000, v90
	v_mul_f32_e32 v85, v82, v76
                                        ; implicit-def: $vgpr76
	s_delay_alu instid0(VALU_DEP_2)
	v_cmpx_ne_u32_e32 0x7f800000, v91
	s_xor_b32 s4, exec_lo, s4
; %bb.13:
	v_bfe_u32 v76, v90, 16, 1
	s_delay_alu instid0(VALU_DEP_1)
	v_add3_u32 v76, v90, v76, 0x7fff
                                        ; implicit-def: $vgpr90
; %bb.14:
	s_and_not1_saveexec_b32 s4, s4
; %bb.15:
	v_and_b32_e32 v76, 0xffff, v90
	v_or_b32_e32 v83, 0x10000, v90
	s_delay_alu instid0(VALU_DEP_2) | instskip(NEXT) | instid1(VALU_DEP_2)
	v_cmp_eq_u32_e32 vcc_lo, 0, v76
	v_cndmask_b32_e32 v76, v83, v90, vcc_lo
; %bb.16:
	s_or_b32 exec_lo, exec_lo, s4
	v_and_b32_e32 v83, 0x7f800000, v85
	s_delay_alu instid0(VALU_DEP_1) | instskip(SKIP_1) | instid1(SALU_CYCLE_1)
	v_cmp_ne_u32_e32 vcc_lo, 0x7f800000, v83
                                        ; implicit-def: $vgpr83
	s_and_saveexec_b32 s4, vcc_lo
	s_xor_b32 s4, exec_lo, s4
; %bb.17:
	v_bfe_u32 v83, v85, 16, 1
	s_delay_alu instid0(VALU_DEP_1)
	v_add3_u32 v83, v85, v83, 0x7fff
                                        ; implicit-def: $vgpr85
; %bb.18:
	s_and_not1_saveexec_b32 s4, s4
; %bb.19:
	v_and_b32_e32 v83, 0xffff, v85
	v_or_b32_e32 v90, 0x10000, v85
	s_delay_alu instid0(VALU_DEP_2) | instskip(NEXT) | instid1(VALU_DEP_2)
	v_cmp_eq_u32_e32 vcc_lo, 0, v83
	v_cndmask_b32_e32 v83, v90, v85, vcc_lo
; %bb.20:
	s_or_b32 exec_lo, exec_lo, s4
	v_and_b32_e32 v85, 0x7f800000, v86
	s_delay_alu instid0(VALU_DEP_1) | instskip(SKIP_1) | instid1(SALU_CYCLE_1)
	v_cmp_ne_u32_e32 vcc_lo, 0x7f800000, v85
                                        ; implicit-def: $vgpr85
	s_and_saveexec_b32 s4, vcc_lo
	s_xor_b32 s4, exec_lo, s4
; %bb.21:
	v_bfe_u32 v85, v86, 16, 1
	s_delay_alu instid0(VALU_DEP_1)
	v_add3_u32 v85, v86, v85, 0x7fff
                                        ; implicit-def: $vgpr86
; %bb.22:
	s_and_not1_saveexec_b32 s4, s4
; %bb.23:
	v_and_b32_e32 v85, 0xffff, v86
	v_or_b32_e32 v90, 0x10000, v86
	s_delay_alu instid0(VALU_DEP_2) | instskip(NEXT) | instid1(VALU_DEP_2)
	v_cmp_eq_u32_e32 vcc_lo, 0, v85
	v_cndmask_b32_e32 v85, v90, v86, vcc_lo
; %bb.24:
	s_or_b32 exec_lo, exec_lo, s4
	v_and_b32_e32 v86, 0x7f800000, v89
	s_delay_alu instid0(VALU_DEP_1) | instskip(SKIP_1) | instid1(SALU_CYCLE_1)
	v_cmp_ne_u32_e32 vcc_lo, 0x7f800000, v86
                                        ; implicit-def: $vgpr86
	s_and_saveexec_b32 s4, vcc_lo
	s_xor_b32 s4, exec_lo, s4
; %bb.25:
	v_bfe_u32 v86, v89, 16, 1
	s_delay_alu instid0(VALU_DEP_1)
	v_add3_u32 v86, v89, v86, 0x7fff
                                        ; implicit-def: $vgpr89
; %bb.26:
	s_and_not1_saveexec_b32 s4, s4
; %bb.27:
	v_and_b32_e32 v86, 0xffff, v89
	v_or_b32_e32 v90, 0x10000, v89
	s_delay_alu instid0(VALU_DEP_2) | instskip(NEXT) | instid1(VALU_DEP_2)
	v_cmp_eq_u32_e32 vcc_lo, 0, v86
	v_cndmask_b32_e32 v86, v90, v89, vcc_lo
; %bb.28:
	s_or_b32 exec_lo, exec_lo, s4
	v_and_b32_e32 v89, 0x7f800000, v88
	s_delay_alu instid0(VALU_DEP_1) | instskip(SKIP_1) | instid1(SALU_CYCLE_1)
	v_cmp_ne_u32_e32 vcc_lo, 0x7f800000, v89
                                        ; implicit-def: $vgpr89
	s_and_saveexec_b32 s4, vcc_lo
	s_xor_b32 s4, exec_lo, s4
; %bb.29:
	v_bfe_u32 v89, v88, 16, 1
	s_delay_alu instid0(VALU_DEP_1)
	v_add3_u32 v89, v88, v89, 0x7fff
                                        ; implicit-def: $vgpr88
; %bb.30:
	s_and_not1_saveexec_b32 s4, s4
; %bb.31:
	v_and_b32_e32 v89, 0xffff, v88
	v_or_b32_e32 v90, 0x10000, v88
	s_delay_alu instid0(VALU_DEP_2) | instskip(NEXT) | instid1(VALU_DEP_2)
	v_cmp_eq_u32_e32 vcc_lo, 0, v89
	v_cndmask_b32_e32 v89, v90, v88, vcc_lo
; %bb.32:
	s_or_b32 exec_lo, exec_lo, s4
	v_and_b32_e32 v88, 0x7f800000, v87
	s_delay_alu instid0(VALU_DEP_1) | instskip(SKIP_1) | instid1(SALU_CYCLE_1)
	v_cmp_ne_u32_e32 vcc_lo, 0x7f800000, v88
                                        ; implicit-def: $vgpr88
	s_and_saveexec_b32 s4, vcc_lo
	s_xor_b32 s4, exec_lo, s4
; %bb.33:
	v_bfe_u32 v88, v87, 16, 1
	s_delay_alu instid0(VALU_DEP_1)
	v_add3_u32 v88, v87, v88, 0x7fff
                                        ; implicit-def: $vgpr87
; %bb.34:
	s_and_not1_saveexec_b32 s4, s4
; %bb.35:
	v_and_b32_e32 v88, 0xffff, v87
	v_or_b32_e32 v90, 0x10000, v87
	s_delay_alu instid0(VALU_DEP_2) | instskip(NEXT) | instid1(VALU_DEP_2)
	v_cmp_eq_u32_e32 vcc_lo, 0, v88
	v_cndmask_b32_e32 v88, v90, v87, vcc_lo
; %bb.36:
	s_or_b32 exec_lo, exec_lo, s4
	v_and_b32_e32 v87, 0x7f800000, v84
	s_delay_alu instid0(VALU_DEP_1) | instskip(SKIP_1) | instid1(SALU_CYCLE_1)
	v_cmp_ne_u32_e32 vcc_lo, 0x7f800000, v87
                                        ; implicit-def: $vgpr87
	s_and_saveexec_b32 s4, vcc_lo
	s_xor_b32 s4, exec_lo, s4
; %bb.37:
	v_bfe_u32 v87, v84, 16, 1
	s_delay_alu instid0(VALU_DEP_1)
	v_add3_u32 v87, v84, v87, 0x7fff
                                        ; implicit-def: $vgpr84
; %bb.38:
	s_and_not1_saveexec_b32 s4, s4
; %bb.39:
	v_and_b32_e32 v87, 0xffff, v84
	v_or_b32_e32 v90, 0x10000, v84
	s_delay_alu instid0(VALU_DEP_2) | instskip(NEXT) | instid1(VALU_DEP_2)
	v_cmp_eq_u32_e32 vcc_lo, 0, v87
	v_cndmask_b32_e32 v87, v90, v84, vcc_lo
; %bb.40:
	s_or_b32 exec_lo, exec_lo, s4
	v_and_b32_e32 v84, 0x7f800000, v80
	s_delay_alu instid0(VALU_DEP_1) | instskip(SKIP_1) | instid1(SALU_CYCLE_1)
	v_cmp_ne_u32_e32 vcc_lo, 0x7f800000, v84
                                        ; implicit-def: $vgpr84
	s_and_saveexec_b32 s4, vcc_lo
	s_xor_b32 s4, exec_lo, s4
; %bb.41:
	v_bfe_u32 v84, v80, 16, 1
	s_delay_alu instid0(VALU_DEP_1)
	v_add3_u32 v84, v80, v84, 0x7fff
                                        ; implicit-def: $vgpr80
; %bb.42:
	s_and_not1_saveexec_b32 s4, s4
; %bb.43:
	v_and_b32_e32 v84, 0xffff, v80
	v_or_b32_e32 v90, 0x10000, v80
	s_delay_alu instid0(VALU_DEP_2) | instskip(NEXT) | instid1(VALU_DEP_2)
	v_cmp_eq_u32_e32 vcc_lo, 0, v84
	v_cndmask_b32_e32 v84, v90, v80, vcc_lo
; %bb.44:
	s_or_b32 exec_lo, exec_lo, s4
	s_load_b64 s[36:37], s[0:1], 0x94
	v_lshlrev_b32_e32 v91, 4, v74
	s_delay_alu instid0(VALU_DEP_2)
	v_perm_b32 v90, v84, v87, 0x7060302
	v_dual_mul_f32 v79, v82, v79 :: v_dual_lshlrev_b32 v80, 6, v65
	v_dual_mul_f32 v77, v82, v77 :: v_dual_lshlrev_b32 v92, 11, v66
	v_mul_f32_e32 v84, v82, v70
	v_perm_b32 v89, v88, v89, 0x7060302
	v_perm_b32 v88, v86, v85, 0x7060302
	;; [unrolled: 1-line block ×3, first 2 shown]
	v_mul_f32_e32 v70, v82, v81
	v_or3_b32 v76, v91, v92, v80
	v_dual_mul_f32 v78, v82, v78 :: v_dual_and_b32 v85, 0x7f800000, v84
	v_mul_f32_e32 v83, v82, v72
	v_mul_f32_e32 v81, v82, v71
	;; [unrolled: 1-line block ×3, first 2 shown]
	s_mov_b32 s4, exec_lo
	ds_store_b128 v76, v[87:90]
                                        ; implicit-def: $vgpr69
	v_cmpx_ne_u32_e32 0x7f800000, v85
	s_xor_b32 s4, exec_lo, s4
; %bb.45:
	v_bfe_u32 v69, v84, 16, 1
	s_delay_alu instid0(VALU_DEP_1)
	v_add3_u32 v69, v84, v69, 0x7fff
                                        ; implicit-def: $vgpr84
; %bb.46:
	s_and_not1_saveexec_b32 s4, s4
; %bb.47:
	v_and_b32_e32 v69, 0xffff, v84
	v_or_b32_e32 v71, 0x10000, v84
	s_delay_alu instid0(VALU_DEP_2) | instskip(NEXT) | instid1(VALU_DEP_2)
	v_cmp_eq_u32_e32 vcc_lo, 0, v69
	v_cndmask_b32_e32 v69, v71, v84, vcc_lo
; %bb.48:
	s_or_b32 exec_lo, exec_lo, s4
	v_and_b32_e32 v71, 0x7f800000, v72
	s_delay_alu instid0(VALU_DEP_1) | instskip(SKIP_1) | instid1(SALU_CYCLE_1)
	v_cmp_ne_u32_e32 vcc_lo, 0x7f800000, v71
                                        ; implicit-def: $vgpr71
	s_and_saveexec_b32 s4, vcc_lo
	s_xor_b32 s4, exec_lo, s4
; %bb.49:
	v_bfe_u32 v71, v72, 16, 1
	s_delay_alu instid0(VALU_DEP_1)
	v_add3_u32 v71, v72, v71, 0x7fff
                                        ; implicit-def: $vgpr72
; %bb.50:
	s_and_not1_saveexec_b32 s4, s4
; %bb.51:
	v_and_b32_e32 v71, 0xffff, v72
	v_or_b32_e32 v82, 0x10000, v72
	s_delay_alu instid0(VALU_DEP_2) | instskip(NEXT) | instid1(VALU_DEP_2)
	v_cmp_eq_u32_e32 vcc_lo, 0, v71
	v_cndmask_b32_e32 v71, v82, v72, vcc_lo
; %bb.52:
	s_or_b32 exec_lo, exec_lo, s4
	v_and_b32_e32 v72, 0x7f800000, v81
	s_delay_alu instid0(VALU_DEP_1) | instskip(SKIP_1) | instid1(SALU_CYCLE_1)
	v_cmp_ne_u32_e32 vcc_lo, 0x7f800000, v72
                                        ; implicit-def: $vgpr72
	s_and_saveexec_b32 s4, vcc_lo
	s_xor_b32 s4, exec_lo, s4
; %bb.53:
	v_bfe_u32 v72, v81, 16, 1
	s_delay_alu instid0(VALU_DEP_1)
	v_add3_u32 v72, v81, v72, 0x7fff
                                        ; implicit-def: $vgpr81
; %bb.54:
	s_and_not1_saveexec_b32 s4, s4
; %bb.55:
	v_and_b32_e32 v72, 0xffff, v81
	v_or_b32_e32 v82, 0x10000, v81
	s_delay_alu instid0(VALU_DEP_2) | instskip(NEXT) | instid1(VALU_DEP_2)
	v_cmp_eq_u32_e32 vcc_lo, 0, v72
	v_cndmask_b32_e32 v72, v82, v81, vcc_lo
; %bb.56:
	s_or_b32 exec_lo, exec_lo, s4
	v_and_b32_e32 v81, 0x7f800000, v83
	s_delay_alu instid0(VALU_DEP_1) | instskip(SKIP_1) | instid1(SALU_CYCLE_1)
	v_cmp_ne_u32_e32 vcc_lo, 0x7f800000, v81
                                        ; implicit-def: $vgpr81
	s_and_saveexec_b32 s4, vcc_lo
	s_xor_b32 s4, exec_lo, s4
; %bb.57:
	v_bfe_u32 v81, v83, 16, 1
	s_delay_alu instid0(VALU_DEP_1)
	v_add3_u32 v81, v83, v81, 0x7fff
                                        ; implicit-def: $vgpr83
; %bb.58:
	s_and_not1_saveexec_b32 s4, s4
; %bb.59:
	v_and_b32_e32 v81, 0xffff, v83
	v_or_b32_e32 v82, 0x10000, v83
	s_delay_alu instid0(VALU_DEP_2) | instskip(NEXT) | instid1(VALU_DEP_2)
	v_cmp_eq_u32_e32 vcc_lo, 0, v81
	v_cndmask_b32_e32 v81, v82, v83, vcc_lo
; %bb.60:
	s_or_b32 exec_lo, exec_lo, s4
	v_and_b32_e32 v82, 0x7f800000, v77
	s_delay_alu instid0(VALU_DEP_1) | instskip(SKIP_1) | instid1(SALU_CYCLE_1)
	v_cmp_ne_u32_e32 vcc_lo, 0x7f800000, v82
                                        ; implicit-def: $vgpr82
	s_and_saveexec_b32 s4, vcc_lo
	s_xor_b32 s4, exec_lo, s4
; %bb.61:
	v_bfe_u32 v82, v77, 16, 1
	s_delay_alu instid0(VALU_DEP_1)
	v_add3_u32 v82, v77, v82, 0x7fff
                                        ; implicit-def: $vgpr77
; %bb.62:
	s_and_not1_saveexec_b32 s4, s4
; %bb.63:
	v_and_b32_e32 v82, 0xffff, v77
	v_or_b32_e32 v83, 0x10000, v77
	s_delay_alu instid0(VALU_DEP_2) | instskip(NEXT) | instid1(VALU_DEP_2)
	v_cmp_eq_u32_e32 vcc_lo, 0, v82
	v_cndmask_b32_e32 v82, v83, v77, vcc_lo
; %bb.64:
	s_or_b32 exec_lo, exec_lo, s4
	v_and_b32_e32 v77, 0x7f800000, v78
	s_delay_alu instid0(VALU_DEP_1) | instskip(SKIP_1) | instid1(SALU_CYCLE_1)
	v_cmp_ne_u32_e32 vcc_lo, 0x7f800000, v77
                                        ; implicit-def: $vgpr77
	s_and_saveexec_b32 s4, vcc_lo
	s_xor_b32 s4, exec_lo, s4
; %bb.65:
	v_bfe_u32 v77, v78, 16, 1
	s_delay_alu instid0(VALU_DEP_1)
	v_add3_u32 v77, v78, v77, 0x7fff
                                        ; implicit-def: $vgpr78
; %bb.66:
	s_and_not1_saveexec_b32 s4, s4
; %bb.67:
	v_and_b32_e32 v77, 0xffff, v78
	v_or_b32_e32 v83, 0x10000, v78
	s_delay_alu instid0(VALU_DEP_2) | instskip(NEXT) | instid1(VALU_DEP_2)
	v_cmp_eq_u32_e32 vcc_lo, 0, v77
	v_cndmask_b32_e32 v77, v83, v78, vcc_lo
; %bb.68:
	s_or_b32 exec_lo, exec_lo, s4
	v_and_b32_e32 v78, 0x7f800000, v79
	s_delay_alu instid0(VALU_DEP_1) | instskip(SKIP_1) | instid1(SALU_CYCLE_1)
	v_cmp_ne_u32_e32 vcc_lo, 0x7f800000, v78
                                        ; implicit-def: $vgpr78
	s_and_saveexec_b32 s4, vcc_lo
	s_xor_b32 s4, exec_lo, s4
; %bb.69:
	v_bfe_u32 v78, v79, 16, 1
	s_delay_alu instid0(VALU_DEP_1)
	v_add3_u32 v78, v79, v78, 0x7fff
                                        ; implicit-def: $vgpr79
; %bb.70:
	s_and_not1_saveexec_b32 s4, s4
; %bb.71:
	v_and_b32_e32 v78, 0xffff, v79
	v_or_b32_e32 v83, 0x10000, v79
	s_delay_alu instid0(VALU_DEP_2) | instskip(NEXT) | instid1(VALU_DEP_2)
	v_cmp_eq_u32_e32 vcc_lo, 0, v78
	v_cndmask_b32_e32 v78, v83, v79, vcc_lo
; %bb.72:
	s_or_b32 exec_lo, exec_lo, s4
	v_and_b32_e32 v79, 0x7f800000, v70
	s_delay_alu instid0(VALU_DEP_1) | instskip(SKIP_1) | instid1(SALU_CYCLE_1)
	v_cmp_ne_u32_e32 vcc_lo, 0x7f800000, v79
                                        ; implicit-def: $vgpr79
	s_and_saveexec_b32 s4, vcc_lo
	s_xor_b32 s4, exec_lo, s4
; %bb.73:
	v_bfe_u32 v79, v70, 16, 1
	s_delay_alu instid0(VALU_DEP_1)
	v_add3_u32 v79, v70, v79, 0x7fff
                                        ; implicit-def: $vgpr70
; %bb.74:
	s_and_not1_saveexec_b32 s4, s4
; %bb.75:
	v_and_b32_e32 v79, 0xffff, v70
	v_or_b32_e32 v83, 0x10000, v70
	s_delay_alu instid0(VALU_DEP_2) | instskip(NEXT) | instid1(VALU_DEP_2)
	v_cmp_eq_u32_e32 vcc_lo, 0, v79
	v_cndmask_b32_e32 v79, v83, v70, vcc_lo
; %bb.76:
	s_or_b32 exec_lo, exec_lo, s4
	s_delay_alu instid0(VALU_DEP_1)
	v_perm_b32 v86, v79, v78, 0x7060302
	v_perm_b32 v85, v77, v82, 0x7060302
	;; [unrolled: 1-line block ×4, first 2 shown]
	v_lshl_or_b32 v82, v66, 11, v80
	ds_store_b128 v76, v[83:86] offset:1024
	s_waitcnt lgkmcnt(0)
	s_barrier
	buffer_gl0_inv
	ds_load_b128 v[69:72], v82
	ds_load_b128 v[83:86], v82 offset:16
	s_waitcnt lgkmcnt(1)
	v_lshrrev_b32_e32 v66, 16, v69
	s_waitcnt lgkmcnt(0)
	v_lshrrev_b32_e32 v91, 16, v83
	v_lshlrev_b32_e32 v78, 2, v74
	v_lshrrev_b32_e32 v95, 16, v70
	v_lshrrev_b32_e32 v98, 16, v84
	;; [unrolled: 1-line block ×4, first 2 shown]
	v_cmp_eq_u32_e32 vcc_lo, 1, v78
	v_lshrrev_b32_e32 v97, 16, v72
	v_lshrrev_b32_e32 v100, 16, v86
	v_cndmask_b32_e32 v87, v83, v91, vcc_lo
	v_or_b32_e32 v79, 1, v78
	v_cndmask_b32_e32 v81, v69, v66, vcc_lo
	v_cmp_eq_u32_e64 s5, 2, v78
	v_cmp_eq_u32_e64 s8, 3, v78
	v_cmp_eq_u32_e64 s10, 4, v78
	v_cmp_eq_u32_e64 s4, 1, v79
	v_cmp_eq_u32_e64 s7, 2, v79
	v_cndmask_b32_e64 v81, v81, v70, s5
	v_cndmask_b32_e64 v87, v87, v84, s5
	v_cmp_eq_u32_e64 s9, 3, v79
	v_cndmask_b32_e64 v88, v69, v66, s4
	v_or_b32_e32 v77, 2, v78
	v_cndmask_b32_e64 v81, v81, v95, s8
	v_cndmask_b32_e64 v87, v87, v98, s8
	;; [unrolled: 1-line block ×4, first 2 shown]
	v_cmp_eq_u32_e64 s11, 5, v78
	v_cndmask_b32_e64 v81, v81, v71, s10
	v_cndmask_b32_e64 v87, v87, v85, s10
	v_cmp_eq_u32_e64 s12, 4, v79
	v_cndmask_b32_e64 v88, v88, v95, s9
	v_cmp_eq_u32_e64 s6, 1, v77
	v_cndmask_b32_e64 v89, v89, v84, s7
	v_cndmask_b32_e64 v81, v81, v96, s11
	v_cmp_eq_u32_e64 s13, 6, v78
	v_cndmask_b32_e64 v88, v88, v71, s12
	;; [unrolled: 3-line block ×3, first 2 shown]
	v_cndmask_b32_e64 v89, v89, v98, s9
	v_cndmask_b32_e64 v81, v81, v72, s13
	v_cmp_eq_u32_e64 s16, 7, v78
	v_cndmask_b32_e64 v88, v88, v96, s15
	v_cndmask_b32_e64 v87, v87, v86, s13
	v_cmp_eq_u32_e64 s17, 6, v79
	v_cmp_eq_u32_e64 s18, 2, v77
	v_cndmask_b32_e64 v89, v89, v85, s12
	v_cndmask_b32_e64 v101, v81, v97, s16
	;; [unrolled: 1-line block ×6, first 2 shown]
	v_cmp_eq_u32_e64 s19, 7, v79
	v_cmp_eq_u32_e64 s20, 3, v77
	;; [unrolled: 1-line block ×4, first 2 shown]
	v_cndmask_b32_e64 v87, v87, v84, s18
	v_cndmask_b32_e64 v103, v88, v97, s19
	;; [unrolled: 1-line block ×4, first 2 shown]
	v_or_b32_e32 v81, 3, v78
	v_cndmask_b32_e64 v93, v87, v98, s20
	v_cmp_eq_u32_e64 s25, 6, v77
	v_cndmask_b32_e64 v104, v88, v86, s17
	v_cndmask_b32_e64 v92, v89, v71, s21
	v_cmp_eq_u32_e64 s22, 1, v81
	ds_load_b128 v[87:90], v82 offset:1024
	v_cmp_eq_u32_e64 s24, 2, v81
	v_cmp_eq_u32_e64 s26, 3, v81
	v_cndmask_b32_e64 v105, v92, v96, s23
	v_cndmask_b32_e64 v66, v69, v66, s22
	;; [unrolled: 1-line block ×4, first 2 shown]
	ds_load_b128 v[91:94], v82 offset:1040
	v_cmp_eq_u32_e64 s27, 4, v81
	v_cndmask_b32_e64 v66, v66, v70, s24
	v_cmp_eq_u32_e64 s28, 7, v77
	v_cndmask_b32_e64 v70, v83, v84, s24
	v_cndmask_b32_e64 v84, v105, v72, s25
	v_cmp_eq_u32_e64 s29, 5, v81
	v_cndmask_b32_e64 v66, v66, v95, s26
	v_cmp_eq_u32_e64 s30, 6, v81
	v_cndmask_b32_e64 v70, v70, v98, s26
	v_cndmask_b32_e64 v69, v69, v99, s23
	;; [unrolled: 1-line block ×4, first 2 shown]
	s_waitcnt lgkmcnt(1)
	v_lshrrev_b32_e32 v95, 16, v87
	v_cndmask_b32_e64 v70, v70, v85, s27
	v_cndmask_b32_e64 v71, v84, v97, s28
	;; [unrolled: 1-line block ×4, first 2 shown]
	v_cndmask_b32_e32 v84, v87, v95, vcc_lo
	v_cndmask_b32_e64 v70, v70, v99, s29
	s_waitcnt lgkmcnt(0)
	v_lshrrev_b32_e32 v85, 16, v91
	v_lshrrev_b32_e32 v96, 16, v88
	v_cndmask_b32_e64 v98, v87, v95, s4
	v_cndmask_b32_e64 v84, v84, v88, s5
	;; [unrolled: 1-line block ×3, first 2 shown]
	v_cndmask_b32_e32 v99, v91, v85, vcc_lo
	v_cmp_eq_u32_e32 vcc_lo, 7, v81
	v_cndmask_b32_e64 v66, v66, v72, s30
	v_cndmask_b32_e64 v72, v84, v96, s8
	v_cndmask_b32_e64 v84, v98, v88, s7
	v_lshrrev_b32_e32 v98, 16, v92
	v_cndmask_b32_e32 v70, v70, v100, vcc_lo
	v_cndmask_b32_e64 v86, v99, v92, s5
	v_cndmask_b32_e64 v69, v69, v100, s28
	v_lshrrev_b32_e32 v100, 16, v93
	v_cndmask_b32_e64 v72, v72, v89, s10
	v_lshrrev_b32_e32 v99, 16, v89
	v_cndmask_b32_e64 v86, v86, v98, s8
	v_perm_b32 v71, v69, v71, 0x5040100
	v_cndmask_b32_e64 v84, v84, v96, s9
	s_delay_alu instid0(VALU_DEP_3) | instskip(NEXT) | instid1(VALU_DEP_2)
	v_cndmask_b32_e64 v86, v86, v93, s10
	v_cndmask_b32_e64 v84, v84, v89, s12
	s_delay_alu instid0(VALU_DEP_2) | instskip(NEXT) | instid1(VALU_DEP_1)
	v_cndmask_b32_e64 v86, v86, v100, s11
	v_cndmask_b32_e64 v69, v86, v94, s13
	;; [unrolled: 1-line block ×5, first 2 shown]
	s_delay_alu instid0(VALU_DEP_3) | instskip(NEXT) | instid1(VALU_DEP_3)
	v_cndmask_b32_e64 v86, v86, v88, s18
	v_cndmask_b32_e64 v87, v87, v88, s24
	s_delay_alu instid0(VALU_DEP_3) | instskip(NEXT) | instid1(VALU_DEP_3)
	v_cndmask_b32_e64 v88, v95, v92, s24
	v_cndmask_b32_e64 v86, v86, v96, s20
	;; [unrolled: 3-line block ×7, first 2 shown]
	s_delay_alu instid0(VALU_DEP_3) | instskip(SKIP_2) | instid1(VALU_DEP_2)
	v_cndmask_b32_e64 v88, v88, v94, s30
	v_cndmask_b32_e32 v66, v66, v97, vcc_lo
	v_cndmask_b32_e64 v97, v72, v99, s11
	v_perm_b32 v72, v70, v66, 0x5040100
	v_perm_b32 v70, v83, v103, 0x5040100
	v_cndmask_b32_e64 v103, v91, v85, s6
	v_cndmask_b32_e64 v85, v91, v85, s4
	;; [unrolled: 1-line block ×4, first 2 shown]
	v_lshrrev_b32_e32 v97, 16, v90
	v_cndmask_b32_e64 v91, v103, v92, s18
	v_cndmask_b32_e64 v85, v85, v92, s7
	;; [unrolled: 1-line block ×3, first 2 shown]
	s_mov_b32 s4, exec_lo
	v_cndmask_b32_e64 v83, v84, v97, s16
	v_cndmask_b32_e64 v91, v91, v98, s20
	;; [unrolled: 1-line block ×3, first 2 shown]
	v_lshrrev_b32_e32 v84, 16, v94
	v_cndmask_b32_e64 v66, v66, v97, s19
	v_cndmask_b32_e64 v90, v86, v97, s28
	;; [unrolled: 1-line block ×4, first 2 shown]
	v_dual_cndmask_b32 v86, v87, v97 :: v_dual_cndmask_b32 v87, v88, v84
	v_cndmask_b32_e64 v91, v69, v84, s16
	s_delay_alu instid0(VALU_DEP_4) | instskip(NEXT) | instid1(VALU_DEP_4)
	v_cndmask_b32_e64 v89, v89, v100, s23
	v_cndmask_b32_e64 v85, v85, v100, s15
	v_perm_b32 v69, v102, v101, 0x5040100
	v_perm_b32 v86, v87, v86, 0x5040100
	;; [unrolled: 1-line block ×3, first 2 shown]
	v_cndmask_b32_e64 v89, v89, v94, s25
	v_cndmask_b32_e64 v85, v85, v94, s17
	s_mul_i32 s9, s37, 11
	s_delay_alu instid0(VALU_DEP_2) | instskip(NEXT) | instid1(VALU_DEP_2)
	v_cndmask_b32_e64 v88, v89, v84, s28
	v_cndmask_b32_e64 v89, v85, v84, s19
	s_delay_alu instid0(VALU_DEP_2) | instskip(NEXT) | instid1(VALU_DEP_2)
	v_perm_b32 v85, v88, v90, 0x5040100
	v_perm_b32 v84, v89, v66, 0x5040100
	ds_store_b128 v76, v[69:72]
	ds_store_b128 v76, v[83:86] offset:1024
	v_cmpx_gt_u32_e32 11, v0
	s_cbranch_execz .LBB1784_78
; %bb.77:
	s_mul_i32 s5, s9, s34
	s_load_b128 s[16:19], s[0:1], 0x58
	v_add3_u32 v69, s5, s31, v65
	s_delay_alu instid0(VALU_DEP_1) | instskip(NEXT) | instid1(VALU_DEP_1)
	v_mad_u64_u32 v[65:66], null, v69, s36, s[14:15]
	v_ashrrev_i32_e32 v66, 31, v65
	s_delay_alu instid0(VALU_DEP_1) | instskip(SKIP_1) | instid1(VALU_DEP_1)
	v_lshlrev_b64 v[65:66], 2, v[65:66]
	s_waitcnt lgkmcnt(0)
	v_add_co_u32 v69, vcc_lo, s18, v65
	s_delay_alu instid0(VALU_DEP_2)
	v_add_co_ci_u32_e32 v70, vcc_lo, s19, v66, vcc_lo
	v_add_co_u32 v65, vcc_lo, s16, v65
	v_add_co_ci_u32_e32 v66, vcc_lo, s17, v66, vcc_lo
	global_store_b32 v[69:70], v67, off
	global_store_b32 v[65:66], v68, off
.LBB1784_78:
	s_or_b32 exec_lo, exec_lo, s4
	s_waitcnt lgkmcnt(0)
	s_waitcnt_vscnt null, 0x0
	s_barrier
	buffer_gl0_inv
	ds_load_b128 v[83:86], v80
	ds_load_b128 v[87:90], v80 offset:16
	ds_load_b128 v[95:98], v80 offset:2064
	;; [unrolled: 1-line block ×3, first 2 shown]
	v_mov_b32_e32 v65, 0
	ds_load_b128 v[103:106], v80 offset:4112
	ds_load_b128 v[99:102], v80 offset:4096
	;; [unrolled: 1-line block ×4, first 2 shown]
	v_mov_b32_e32 v66, v65
	v_mov_b32_e32 v67, v65
	;; [unrolled: 1-line block ×7, first 2 shown]
	s_waitcnt lgkmcnt(6)
	s_delay_alu instid0(VALU_DEP_1)
	v_wmma_f32_16x16x16_bf16 v[65:72], v[57:64], v[83:90], v[65:72]
	ds_load_b128 v[61:64], v80 offset:8208
	ds_load_b128 v[57:60], v80 offset:8192
	s_waitcnt lgkmcnt(6)
	v_wmma_f32_16x16x16_bf16 v[65:72], v[41:48], v[91:98], v[65:72]
	ds_load_b128 v[45:48], v80 offset:10256
	ds_load_b128 v[41:44], v80 offset:10240
	s_waitcnt lgkmcnt(6)
	;; [unrolled: 4-line block ×4, first 2 shown]
	v_wmma_f32_16x16x16_bf16 v[65:72], v[1:8], v[57:64], v[65:72]
	s_waitcnt lgkmcnt(4)
	s_delay_alu instid0(VALU_DEP_1) | instskip(SKIP_1) | instid1(VALU_DEP_1)
	v_wmma_f32_16x16x16_bf16 v[65:72], v[9:16], v[41:48], v[65:72]
	s_waitcnt lgkmcnt(2)
	v_wmma_f32_16x16x16_bf16 v[65:72], v[17:24], v[33:40], v[65:72]
	s_waitcnt lgkmcnt(0)
	s_delay_alu instid0(VALU_DEP_1) | instskip(NEXT) | instid1(VALU_DEP_1)
	v_wmma_f32_16x16x16_bf16 v[65:72], v[49:56], v[25:32], v[65:72]
	v_and_b32_e32 v1, 0x7f800000, v65
	s_delay_alu instid0(VALU_DEP_1) | instskip(SKIP_1) | instid1(SALU_CYCLE_1)
	v_cmp_ne_u32_e32 vcc_lo, 0x7f800000, v1
                                        ; implicit-def: $vgpr1
	s_and_saveexec_b32 s4, vcc_lo
	s_xor_b32 s4, exec_lo, s4
; %bb.79:
	v_bfe_u32 v1, v65, 16, 1
	s_delay_alu instid0(VALU_DEP_1)
	v_add3_u32 v1, v65, v1, 0x7fff
; %bb.80:
	s_and_not1_saveexec_b32 s4, s4
; %bb.81:
	v_and_b32_e32 v1, 0xffff, v65
	v_or_b32_e32 v2, 0x10000, v65
	s_delay_alu instid0(VALU_DEP_2) | instskip(NEXT) | instid1(VALU_DEP_2)
	v_cmp_eq_u32_e32 vcc_lo, 0, v1
	v_cndmask_b32_e32 v1, v2, v65, vcc_lo
; %bb.82:
	s_or_b32 exec_lo, exec_lo, s4
	v_and_b32_e32 v2, 0x7f800000, v66
	s_delay_alu instid0(VALU_DEP_1) | instskip(SKIP_1) | instid1(SALU_CYCLE_1)
	v_cmp_ne_u32_e32 vcc_lo, 0x7f800000, v2
                                        ; implicit-def: $vgpr2
	s_and_saveexec_b32 s4, vcc_lo
	s_xor_b32 s4, exec_lo, s4
; %bb.83:
	v_bfe_u32 v2, v66, 16, 1
	s_delay_alu instid0(VALU_DEP_1)
	v_add3_u32 v2, v66, v2, 0x7fff
; %bb.84:
	s_and_not1_saveexec_b32 s4, s4
; %bb.85:
	v_and_b32_e32 v2, 0xffff, v66
	v_or_b32_e32 v3, 0x10000, v66
	s_delay_alu instid0(VALU_DEP_2) | instskip(NEXT) | instid1(VALU_DEP_2)
	v_cmp_eq_u32_e32 vcc_lo, 0, v2
	v_cndmask_b32_e32 v2, v3, v66, vcc_lo
; %bb.86:
	s_or_b32 exec_lo, exec_lo, s4
	v_and_b32_e32 v3, 0x7f800000, v67
	s_delay_alu instid0(VALU_DEP_1) | instskip(SKIP_1) | instid1(SALU_CYCLE_1)
	v_cmp_ne_u32_e32 vcc_lo, 0x7f800000, v3
                                        ; implicit-def: $vgpr3
	s_and_saveexec_b32 s4, vcc_lo
	s_xor_b32 s4, exec_lo, s4
; %bb.87:
	v_bfe_u32 v3, v67, 16, 1
	s_delay_alu instid0(VALU_DEP_1)
	v_add3_u32 v3, v67, v3, 0x7fff
; %bb.88:
	s_and_not1_saveexec_b32 s4, s4
; %bb.89:
	v_and_b32_e32 v3, 0xffff, v67
	v_or_b32_e32 v4, 0x10000, v67
	s_delay_alu instid0(VALU_DEP_2) | instskip(NEXT) | instid1(VALU_DEP_2)
	v_cmp_eq_u32_e32 vcc_lo, 0, v3
	v_cndmask_b32_e32 v3, v4, v67, vcc_lo
; %bb.90:
	s_or_b32 exec_lo, exec_lo, s4
	v_and_b32_e32 v4, 0x7f800000, v68
	s_delay_alu instid0(VALU_DEP_1) | instskip(SKIP_1) | instid1(SALU_CYCLE_1)
	v_cmp_ne_u32_e32 vcc_lo, 0x7f800000, v4
                                        ; implicit-def: $vgpr4
	s_and_saveexec_b32 s4, vcc_lo
	s_xor_b32 s4, exec_lo, s4
; %bb.91:
	v_bfe_u32 v4, v68, 16, 1
	s_delay_alu instid0(VALU_DEP_1)
	v_add3_u32 v4, v68, v4, 0x7fff
; %bb.92:
	s_and_not1_saveexec_b32 s4, s4
; %bb.93:
	v_and_b32_e32 v4, 0xffff, v68
	v_or_b32_e32 v5, 0x10000, v68
	s_delay_alu instid0(VALU_DEP_2) | instskip(NEXT) | instid1(VALU_DEP_2)
	v_cmp_eq_u32_e32 vcc_lo, 0, v4
	v_cndmask_b32_e32 v4, v5, v68, vcc_lo
; %bb.94:
	s_or_b32 exec_lo, exec_lo, s4
	v_and_b32_e32 v5, 0x7f800000, v69
	s_delay_alu instid0(VALU_DEP_1) | instskip(SKIP_1) | instid1(SALU_CYCLE_1)
	v_cmp_ne_u32_e32 vcc_lo, 0x7f800000, v5
                                        ; implicit-def: $vgpr5
	s_and_saveexec_b32 s4, vcc_lo
	s_xor_b32 s4, exec_lo, s4
; %bb.95:
	v_bfe_u32 v5, v69, 16, 1
	s_delay_alu instid0(VALU_DEP_1)
	v_add3_u32 v5, v69, v5, 0x7fff
; %bb.96:
	s_and_not1_saveexec_b32 s4, s4
; %bb.97:
	v_and_b32_e32 v5, 0xffff, v69
	v_or_b32_e32 v6, 0x10000, v69
	s_delay_alu instid0(VALU_DEP_2) | instskip(NEXT) | instid1(VALU_DEP_2)
	v_cmp_eq_u32_e32 vcc_lo, 0, v5
	v_cndmask_b32_e32 v5, v6, v69, vcc_lo
; %bb.98:
	s_or_b32 exec_lo, exec_lo, s4
	v_and_b32_e32 v6, 0x7f800000, v70
	s_delay_alu instid0(VALU_DEP_1) | instskip(SKIP_1) | instid1(SALU_CYCLE_1)
	v_cmp_ne_u32_e32 vcc_lo, 0x7f800000, v6
                                        ; implicit-def: $vgpr6
	s_and_saveexec_b32 s4, vcc_lo
	s_xor_b32 s4, exec_lo, s4
; %bb.99:
	v_bfe_u32 v6, v70, 16, 1
	s_delay_alu instid0(VALU_DEP_1)
	v_add3_u32 v6, v70, v6, 0x7fff
; %bb.100:
	s_and_not1_saveexec_b32 s4, s4
; %bb.101:
	v_and_b32_e32 v6, 0xffff, v70
	v_or_b32_e32 v7, 0x10000, v70
	s_delay_alu instid0(VALU_DEP_2) | instskip(NEXT) | instid1(VALU_DEP_2)
	v_cmp_eq_u32_e32 vcc_lo, 0, v6
	v_cndmask_b32_e32 v6, v7, v70, vcc_lo
; %bb.102:
	s_or_b32 exec_lo, exec_lo, s4
	v_and_b32_e32 v7, 0x7f800000, v71
	s_delay_alu instid0(VALU_DEP_1) | instskip(SKIP_1) | instid1(SALU_CYCLE_1)
	v_cmp_ne_u32_e32 vcc_lo, 0x7f800000, v7
                                        ; implicit-def: $vgpr7
	s_and_saveexec_b32 s4, vcc_lo
	s_xor_b32 s4, exec_lo, s4
; %bb.103:
	v_bfe_u32 v7, v71, 16, 1
	s_delay_alu instid0(VALU_DEP_1)
	v_add3_u32 v7, v71, v7, 0x7fff
; %bb.104:
	s_and_not1_saveexec_b32 s4, s4
; %bb.105:
	v_and_b32_e32 v7, 0xffff, v71
	v_or_b32_e32 v8, 0x10000, v71
	s_delay_alu instid0(VALU_DEP_2) | instskip(NEXT) | instid1(VALU_DEP_2)
	v_cmp_eq_u32_e32 vcc_lo, 0, v7
	v_cndmask_b32_e32 v7, v8, v71, vcc_lo
; %bb.106:
	s_or_b32 exec_lo, exec_lo, s4
	v_and_b32_e32 v8, 0x7f800000, v72
	s_delay_alu instid0(VALU_DEP_1) | instskip(SKIP_1) | instid1(SALU_CYCLE_1)
	v_cmp_ne_u32_e32 vcc_lo, 0x7f800000, v8
                                        ; implicit-def: $vgpr8
	s_and_saveexec_b32 s4, vcc_lo
	s_xor_b32 s4, exec_lo, s4
; %bb.107:
	v_bfe_u32 v8, v72, 16, 1
	s_delay_alu instid0(VALU_DEP_1)
	v_add3_u32 v8, v72, v8, 0x7fff
                                        ; implicit-def: $vgpr65_vgpr66_vgpr67_vgpr68_vgpr69_vgpr70_vgpr71_vgpr72
; %bb.108:
	s_and_not1_saveexec_b32 s4, s4
; %bb.109:
	v_and_b32_e32 v8, 0xffff, v72
	v_or_b32_e32 v9, 0x10000, v72
	s_delay_alu instid0(VALU_DEP_2) | instskip(NEXT) | instid1(VALU_DEP_2)
	v_cmp_eq_u32_e32 vcc_lo, 0, v8
	v_cndmask_b32_e32 v8, v9, v72, vcc_lo
; %bb.110:
	s_or_b32 exec_lo, exec_lo, s4
	s_delay_alu instid0(VALU_DEP_1)
	v_perm_b32 v7, v8, v7, 0x7060302
	v_perm_b32 v6, v6, v5, 0x7060302
	;; [unrolled: 1-line block ×4, first 2 shown]
	s_barrier
	buffer_gl0_inv
	v_cmp_eq_u32_e32 vcc_lo, 1, v78
	ds_store_b128 v76, v[4:7]
	s_waitcnt lgkmcnt(0)
	s_barrier
	buffer_gl0_inv
	ds_load_b128 v[1:4], v82
	ds_load_b128 v[5:8], v82 offset:16
	v_cmp_eq_u32_e64 s4, 1, v79
	v_cmp_eq_u32_e64 s5, 2, v78
	;; [unrolled: 1-line block ×5, first 2 shown]
	s_waitcnt lgkmcnt(1)
	v_lshrrev_b32_e32 v9, 16, v1
	s_waitcnt lgkmcnt(0)
	v_lshrrev_b32_e32 v13, 16, v5
	v_lshrrev_b32_e32 v10, 16, v2
	v_lshrrev_b32_e32 v14, 16, v6
	v_lshrrev_b32_e32 v11, 16, v3
	v_cndmask_b32_e64 v19, v1, v9, s4
	v_cndmask_b32_e32 v18, v5, v13, vcc_lo
	v_cndmask_b32_e64 v20, v5, v13, s4
	v_cndmask_b32_e32 v17, v1, v9, vcc_lo
	v_cmp_eq_u32_e32 vcc_lo, 2, v79
	v_lshrrev_b32_e32 v15, 16, v7
	v_cmp_eq_u32_e64 s4, 1, v77
	v_lshrrev_b32_e32 v12, 16, v4
	v_lshrrev_b32_e32 v16, 16, v8
	v_cndmask_b32_e32 v20, v20, v6, vcc_lo
	v_cndmask_b32_e64 v17, v17, v2, s5
	v_cndmask_b32_e32 v19, v19, v2, vcc_lo
	v_cndmask_b32_e64 v18, v18, v6, s5
	v_cmp_eq_u32_e32 vcc_lo, 4, v78
	v_cmp_eq_u32_e64 s5, 3, v79
	v_cndmask_b32_e64 v17, v17, v10, s6
	v_cndmask_b32_e64 v21, v1, v9, s4
	;; [unrolled: 1-line block ×5, first 2 shown]
	v_cndmask_b32_e32 v17, v17, v3, vcc_lo
	v_cndmask_b32_e64 v20, v20, v14, s5
	v_cndmask_b32_e32 v18, v18, v7, vcc_lo
	v_cmp_eq_u32_e32 vcc_lo, 4, v79
	v_cmp_eq_u32_e64 s5, 5, v79
	v_cmp_eq_u32_e64 s4, 2, v81
	v_cndmask_b32_e64 v21, v21, v2, s8
	v_cmp_eq_u32_e64 s6, 5, v78
	v_cndmask_b32_e32 v19, v19, v3, vcc_lo
	v_cndmask_b32_e32 v20, v20, v7, vcc_lo
	v_cmp_eq_u32_e32 vcc_lo, 6, v79
	s_delay_alu instid0(VALU_DEP_4) | instskip(NEXT) | instid1(VALU_DEP_4)
	v_cndmask_b32_e64 v17, v17, v11, s6
	v_cndmask_b32_e64 v19, v19, v11, s5
	s_delay_alu instid0(VALU_DEP_4) | instskip(SKIP_1) | instid1(VALU_DEP_3)
	v_cndmask_b32_e64 v20, v20, v15, s5
	v_cmp_eq_u32_e64 s5, 1, v81
	v_cndmask_b32_e32 v19, v19, v4, vcc_lo
	v_cndmask_b32_e64 v18, v18, v15, s6
	s_delay_alu instid0(VALU_DEP_3)
	v_cndmask_b32_e64 v1, v1, v9, s5
	v_cndmask_b32_e64 v5, v5, v13, s5
	v_cmp_eq_u32_e64 s5, 3, v77
	v_cndmask_b32_e64 v13, v22, v6, s8
	v_cmp_eq_u32_e64 s8, 3, v81
	v_cndmask_b32_e64 v1, v1, v2, s4
	v_cndmask_b32_e64 v2, v5, v6, s4
	;; [unrolled: 1-line block ×3, first 2 shown]
	v_cmp_eq_u32_e64 s4, 4, v77
	v_cndmask_b32_e64 v6, v13, v14, s5
	v_cndmask_b32_e64 v1, v1, v10, s8
	v_cmp_eq_u32_e64 s5, 4, v81
	v_cndmask_b32_e64 v2, v2, v14, s8
	v_cndmask_b32_e64 v5, v9, v3, s4
	;; [unrolled: 3-line block ×3, first 2 shown]
	v_cndmask_b32_e64 v2, v2, v7, s5
	v_cmp_eq_u32_e64 s4, 5, v81
	v_cmp_eq_u32_e64 s6, 6, v78
	v_cndmask_b32_e64 v5, v5, v11, s8
	v_cmp_eq_u32_e64 s5, 6, v77
	v_cndmask_b32_e64 v3, v6, v15, s8
	v_cndmask_b32_e64 v1, v1, v11, s4
	v_cmp_eq_u32_e64 s8, 6, v81
	v_cndmask_b32_e64 v2, v2, v15, s4
	v_cndmask_b32_e64 v17, v17, v4, s6
	v_cndmask_b32_e64 v18, v18, v8, s6
	v_cmp_eq_u32_e64 s6, 7, v78
	v_cndmask_b32_e64 v5, v5, v4, s5
	v_cndmask_b32_e64 v3, v3, v8, s5
	v_cndmask_b32_e64 v1, v1, v4, s8
	v_cmp_eq_u32_e64 s4, 7, v81
	v_cndmask_b32_e64 v2, v2, v8, s8
	v_cmp_eq_u32_e64 s5, 7, v77
	v_cndmask_b32_e32 v4, v20, v8, vcc_lo
	v_cndmask_b32_e64 v17, v17, v12, s6
	v_cndmask_b32_e64 v19, v19, v12, s7
	;; [unrolled: 1-line block ×8, first 2 shown]
	v_cmp_gt_u32_e32 vcc_lo, 32, v0
	v_perm_b32 v4, v2, v1, 0x5040100
	v_perm_b32 v3, v3, v5, 0x5040100
	;; [unrolled: 1-line block ×4, first 2 shown]
	s_and_b32 s2, vcc_lo, s2
	ds_store_b128 v76, v[1:4]
	s_waitcnt lgkmcnt(0)
	s_barrier
	buffer_gl0_inv
	s_and_saveexec_b32 s4, s2
	s_cbranch_execz .LBB1784_2
; %bb.111:
	s_load_b64 s[4:5], s[0:1], 0x68
	v_lshlrev_b32_e32 v0, 10, v0
	v_lshlrev_b32_e32 v1, 4, v75
	s_lshl_b32 s0, s36, 6
	v_add_nc_u32_e32 v7, s31, v74
	s_mul_i32 s1, s0, s34
	s_delay_alu instid0(SALU_CYCLE_1) | instskip(SKIP_1) | instid1(VALU_DEP_2)
	s_mul_i32 s6, s1, s9
	v_and_or_b32 v0, 0x3800, v0, v1
	v_mul_lo_u32 v1, v7, s0
	v_add_nc_u32_e32 v2, 2, v7
	s_ashr_i32 s7, s6, 31
	v_add_nc_u32_e32 v4, 4, v7
	s_lshl_b64 s[6:7], s[6:7], 1
	v_add_nc_u32_e32 v8, 6, v7
	v_mul_lo_u32 v3, v2, s0
	v_lshl_or_b32 v19, v74, 6, v0
	v_ashrrev_i32_e32 v2, 31, v1
	v_mul_lo_u32 v11, v4, s0
	v_mul_lo_u32 v25, v8, s0
	s_waitcnt lgkmcnt(0)
	s_add_u32 s1, s4, s6
	s_addc_u32 s2, s5, s7
	s_lshl_b32 s4, s14, 6
	v_lshlrev_b64 v[5:6], 1, v[1:2]
	s_ashr_i32 s5, s4, 31
	v_ashrrev_i32_e32 v4, 31, v3
	s_lshl_b64 s[4:5], s[4:5], 1
	v_ashrrev_i32_e32 v12, 31, v11
	s_add_u32 s1, s1, s4
	s_addc_u32 s2, s2, s5
	v_add_co_u32 v1, s1, s1, v73
	s_delay_alu instid0(VALU_DEP_1) | instskip(SKIP_1) | instid1(VALU_DEP_3)
	v_add_co_ci_u32_e64 v2, null, s2, 0, s1
	v_lshlrev_b64 v[3:4], 1, v[3:4]
	v_add_co_u32 v23, vcc_lo, v1, v5
	v_add_nc_u32_e32 v5, 8, v7
	s_delay_alu instid0(VALU_DEP_4) | instskip(NEXT) | instid1(VALU_DEP_4)
	v_add_co_ci_u32_e32 v24, vcc_lo, v2, v6, vcc_lo
	v_add_co_u32 v27, vcc_lo, v1, v3
	s_delay_alu instid0(VALU_DEP_3)
	v_mul_lo_u32 v29, v5, s0
	v_add_co_ci_u32_e32 v28, vcc_lo, v2, v4, vcc_lo
	ds_load_b128 v[3:6], v19
	ds_load_b128 v[7:10], v19 offset:128
	v_lshlrev_b64 v[31:32], 1, v[11:12]
	ds_load_b128 v[11:14], v19 offset:256
	ds_load_b128 v[15:18], v19 offset:384
	;; [unrolled: 1-line block ×3, first 2 shown]
	v_ashrrev_i32_e32 v26, 31, v25
	v_ashrrev_i32_e32 v30, 31, v29
	v_add_co_u32 v31, vcc_lo, v1, v31
	s_delay_alu instid0(VALU_DEP_3) | instskip(NEXT) | instid1(VALU_DEP_3)
	v_lshlrev_b64 v[25:26], 1, v[25:26]
	v_lshlrev_b64 v[29:30], 1, v[29:30]
	v_add_co_ci_u32_e32 v32, vcc_lo, v2, v32, vcc_lo
	s_delay_alu instid0(VALU_DEP_3) | instskip(NEXT) | instid1(VALU_DEP_4)
	v_add_co_u32 v25, vcc_lo, v1, v25
	v_add_co_ci_u32_e32 v26, vcc_lo, v2, v26, vcc_lo
	s_delay_alu instid0(VALU_DEP_4)
	v_add_co_u32 v29, vcc_lo, v1, v29
	v_add_co_ci_u32_e32 v30, vcc_lo, v2, v30, vcc_lo
	s_waitcnt lgkmcnt(4)
	global_store_b128 v[23:24], v[3:6], off
	s_waitcnt lgkmcnt(3)
	global_store_b128 v[27:28], v[7:10], off
	;; [unrolled: 2-line block ×5, first 2 shown]
	s_and_b32 exec_lo, exec_lo, s3
	s_cbranch_execz .LBB1784_2
; %bb.112:
	ds_load_b128 v[3:6], v0 offset:640
	s_add_i32 s1, s31, 10
	s_delay_alu instid0(SALU_CYCLE_1) | instskip(NEXT) | instid1(SALU_CYCLE_1)
	s_mul_i32 s0, s1, s0
	s_ashr_i32 s1, s0, 31
	s_delay_alu instid0(SALU_CYCLE_1) | instskip(NEXT) | instid1(SALU_CYCLE_1)
	s_lshl_b64 s[0:1], s[0:1], 1
	v_add_co_u32 v0, vcc_lo, v1, s0
	v_add_co_ci_u32_e32 v1, vcc_lo, s1, v2, vcc_lo
	s_waitcnt lgkmcnt(0)
	global_store_b128 v[0:1], v[3:6], off
	s_nop 0
	s_sendmsg sendmsg(MSG_DEALLOC_VGPRS)
	s_endpgm
	.section	.rodata,"a",@progbits
	.p2align	6, 0x0
	.amdhsa_kernel _Z39paged_attention_ll4mi_QKV_mfma16_kernelI14__hip_bfloat16hLN4vllm18Fp8KVCacheDataTypeE1ES0_Li32ELi64ELi256ELb0ELi11EL8MFMAType0EEvPKT_PKT0_S9_ifPKiSB_SB_iPKfiiiPfSE_PS4_PT2_iSD_SD_
		.amdhsa_group_segment_fixed_size 17472
		.amdhsa_private_segment_fixed_size 0
		.amdhsa_kernarg_size 400
		.amdhsa_user_sgpr_count 13
		.amdhsa_user_sgpr_dispatch_ptr 0
		.amdhsa_user_sgpr_queue_ptr 0
		.amdhsa_user_sgpr_kernarg_segment_ptr 1
		.amdhsa_user_sgpr_dispatch_id 0
		.amdhsa_user_sgpr_private_segment_size 0
		.amdhsa_wavefront_size32 1
		.amdhsa_uses_dynamic_stack 0
		.amdhsa_enable_private_segment 0
		.amdhsa_system_sgpr_workgroup_id_x 1
		.amdhsa_system_sgpr_workgroup_id_y 1
		.amdhsa_system_sgpr_workgroup_id_z 1
		.amdhsa_system_sgpr_workgroup_info 0
		.amdhsa_system_vgpr_workitem_id 0
		.amdhsa_next_free_vgpr 124
		.amdhsa_next_free_sgpr 42
		.amdhsa_reserve_vcc 1
		.amdhsa_float_round_mode_32 0
		.amdhsa_float_round_mode_16_64 0
		.amdhsa_float_denorm_mode_32 3
		.amdhsa_float_denorm_mode_16_64 3
		.amdhsa_dx10_clamp 1
		.amdhsa_ieee_mode 1
		.amdhsa_fp16_overflow 0
		.amdhsa_workgroup_processor_mode 1
		.amdhsa_memory_ordered 1
		.amdhsa_forward_progress 0
		.amdhsa_shared_vgpr_count 0
		.amdhsa_exception_fp_ieee_invalid_op 0
		.amdhsa_exception_fp_denorm_src 0
		.amdhsa_exception_fp_ieee_div_zero 0
		.amdhsa_exception_fp_ieee_overflow 0
		.amdhsa_exception_fp_ieee_underflow 0
		.amdhsa_exception_fp_ieee_inexact 0
		.amdhsa_exception_int_div_zero 0
	.end_amdhsa_kernel
	.section	.text._Z39paged_attention_ll4mi_QKV_mfma16_kernelI14__hip_bfloat16hLN4vllm18Fp8KVCacheDataTypeE1ES0_Li32ELi64ELi256ELb0ELi11EL8MFMAType0EEvPKT_PKT0_S9_ifPKiSB_SB_iPKfiiiPfSE_PS4_PT2_iSD_SD_,"axG",@progbits,_Z39paged_attention_ll4mi_QKV_mfma16_kernelI14__hip_bfloat16hLN4vllm18Fp8KVCacheDataTypeE1ES0_Li32ELi64ELi256ELb0ELi11EL8MFMAType0EEvPKT_PKT0_S9_ifPKiSB_SB_iPKfiiiPfSE_PS4_PT2_iSD_SD_,comdat
.Lfunc_end1784:
	.size	_Z39paged_attention_ll4mi_QKV_mfma16_kernelI14__hip_bfloat16hLN4vllm18Fp8KVCacheDataTypeE1ES0_Li32ELi64ELi256ELb0ELi11EL8MFMAType0EEvPKT_PKT0_S9_ifPKiSB_SB_iPKfiiiPfSE_PS4_PT2_iSD_SD_, .Lfunc_end1784-_Z39paged_attention_ll4mi_QKV_mfma16_kernelI14__hip_bfloat16hLN4vllm18Fp8KVCacheDataTypeE1ES0_Li32ELi64ELi256ELb0ELi11EL8MFMAType0EEvPKT_PKT0_S9_ifPKiSB_SB_iPKfiiiPfSE_PS4_PT2_iSD_SD_
                                        ; -- End function
	.section	.AMDGPU.csdata,"",@progbits
; Kernel info:
; codeLenInByte = 8920
; NumSgprs: 44
; NumVgprs: 124
; ScratchSize: 0
; MemoryBound: 0
; FloatMode: 240
; IeeeMode: 1
; LDSByteSize: 17472 bytes/workgroup (compile time only)
; SGPRBlocks: 5
; VGPRBlocks: 15
; NumSGPRsForWavesPerEU: 44
; NumVGPRsForWavesPerEU: 124
; Occupancy: 10
; WaveLimiterHint : 1
; COMPUTE_PGM_RSRC2:SCRATCH_EN: 0
; COMPUTE_PGM_RSRC2:USER_SGPR: 13
; COMPUTE_PGM_RSRC2:TRAP_HANDLER: 0
; COMPUTE_PGM_RSRC2:TGID_X_EN: 1
; COMPUTE_PGM_RSRC2:TGID_Y_EN: 1
; COMPUTE_PGM_RSRC2:TGID_Z_EN: 1
; COMPUTE_PGM_RSRC2:TIDIG_COMP_CNT: 0
	.section	.text._Z39paged_attention_ll4mi_QKV_mfma16_kernelI14__hip_bfloat16hLN4vllm18Fp8KVCacheDataTypeE1ES0_Li32ELi64ELi256ELb0ELi12EL8MFMAType0EEvPKT_PKT0_S9_ifPKiSB_SB_iPKfiiiPfSE_PS4_PT2_iSD_SD_,"axG",@progbits,_Z39paged_attention_ll4mi_QKV_mfma16_kernelI14__hip_bfloat16hLN4vllm18Fp8KVCacheDataTypeE1ES0_Li32ELi64ELi256ELb0ELi12EL8MFMAType0EEvPKT_PKT0_S9_ifPKiSB_SB_iPKfiiiPfSE_PS4_PT2_iSD_SD_,comdat
	.protected	_Z39paged_attention_ll4mi_QKV_mfma16_kernelI14__hip_bfloat16hLN4vllm18Fp8KVCacheDataTypeE1ES0_Li32ELi64ELi256ELb0ELi12EL8MFMAType0EEvPKT_PKT0_S9_ifPKiSB_SB_iPKfiiiPfSE_PS4_PT2_iSD_SD_ ; -- Begin function _Z39paged_attention_ll4mi_QKV_mfma16_kernelI14__hip_bfloat16hLN4vllm18Fp8KVCacheDataTypeE1ES0_Li32ELi64ELi256ELb0ELi12EL8MFMAType0EEvPKT_PKT0_S9_ifPKiSB_SB_iPKfiiiPfSE_PS4_PT2_iSD_SD_
	.globl	_Z39paged_attention_ll4mi_QKV_mfma16_kernelI14__hip_bfloat16hLN4vllm18Fp8KVCacheDataTypeE1ES0_Li32ELi64ELi256ELb0ELi12EL8MFMAType0EEvPKT_PKT0_S9_ifPKiSB_SB_iPKfiiiPfSE_PS4_PT2_iSD_SD_
	.p2align	8
	.type	_Z39paged_attention_ll4mi_QKV_mfma16_kernelI14__hip_bfloat16hLN4vllm18Fp8KVCacheDataTypeE1ES0_Li32ELi64ELi256ELb0ELi12EL8MFMAType0EEvPKT_PKT0_S9_ifPKiSB_SB_iPKfiiiPfSE_PS4_PT2_iSD_SD_,@function
_Z39paged_attention_ll4mi_QKV_mfma16_kernelI14__hip_bfloat16hLN4vllm18Fp8KVCacheDataTypeE1ES0_Li32ELi64ELi256ELb0ELi12EL8MFMAType0EEvPKT_PKT0_S9_ifPKiSB_SB_iPKfiiiPfSE_PS4_PT2_iSD_SD_: ; @_Z39paged_attention_ll4mi_QKV_mfma16_kernelI14__hip_bfloat16hLN4vllm18Fp8KVCacheDataTypeE1ES0_Li32ELi64ELi256ELb0ELi12EL8MFMAType0EEvPKT_PKT0_S9_ifPKiSB_SB_iPKfiiiPfSE_PS4_PT2_iSD_SD_
; %bb.0:
	s_load_b64 s[2:3], s[0:1], 0x30
	s_mov_b32 s30, s13
	s_waitcnt lgkmcnt(0)
	s_cmp_lg_u64 s[2:3], 0
	s_cselect_b32 s8, -1, 0
	s_ashr_i32 s31, s13, 31
	s_cmp_eq_u64 s[2:3], 0
	s_cbranch_scc1 .LBB1785_3
; %bb.1:
	s_lshl_b64 s[4:5], s[30:31], 2
	s_delay_alu instid0(SALU_CYCLE_1) | instskip(SKIP_4) | instid1(SALU_CYCLE_1)
	s_add_u32 s4, s2, s4
	s_addc_u32 s5, s3, s5
	s_load_b64 s[4:5], s[4:5], 0x0
	s_waitcnt lgkmcnt(0)
	s_sub_i32 s4, s5, s4
	s_cmp_eq_u32 s4, 1
	s_cselect_b32 s4, -1, 0
	s_delay_alu instid0(SALU_CYCLE_1)
	s_and_not1_b32 vcc_lo, exec_lo, s4
	s_cbranch_vccz .LBB1785_4
.LBB1785_2:
	s_endpgm
.LBB1785_3:
.LBB1785_4:
	s_load_b64 s[4:5], s[0:1], 0x28
	s_lshl_b64 s[6:7], s[30:31], 2
	s_waitcnt lgkmcnt(0)
	s_add_u32 s4, s4, s6
	s_addc_u32 s5, s5, s7
	s_lshl_b32 s12, s14, 8
	s_load_b32 s24, s[4:5], 0x0
	s_waitcnt lgkmcnt(0)
	s_cmp_ge_i32 s12, s24
	s_cbranch_scc1 .LBB1785_2
; %bb.5:
	s_clause 0x1
	s_load_b128 s[20:23], s[0:1], 0x8
	s_load_b64 s[4:5], s[0:1], 0x20
	s_and_not1_b32 vcc_lo, exec_lo, s8
	s_cbranch_vccnz .LBB1785_7
; %bb.6:
	s_add_u32 s2, s2, s6
	s_addc_u32 s3, s3, s7
	s_load_b32 s3, s[2:3], 0x0
	s_branch .LBB1785_8
.LBB1785_7:
	s_mov_b32 s3, s30
.LBB1785_8:
	s_load_b128 s[16:19], s[0:1], 0x48
	v_and_b32_e32 v65, 15, v0
	v_cmp_gt_u32_e32 vcc_lo, 0xc0, v0
	v_lshrrev_b32_e32 v66, 5, v0
	v_and_b32_e32 v67, 31, v0
	v_and_b32_e32 v75, 1, v0
	v_lshlrev_b32_e32 v1, 3, v65
	v_cmp_gt_u32_e64 s2, 8, v65
	v_bfe_u32 v74, v0, 4, 1
	s_mul_i32 s31, s15, 12
	s_delay_alu instid0(VALU_DEP_3) | instskip(NEXT) | instid1(VALU_DEP_3)
	v_lshlrev_b32_e32 v73, 1, v1
	s_and_b32 s7, vcc_lo, s2
	s_delay_alu instid0(SALU_CYCLE_1)
	s_and_saveexec_b32 s6, s7
	s_cbranch_execz .LBB1785_10
; %bb.9:
	s_load_b64 s[8:9], s[0:1], 0x0
	v_lshl_or_b32 v5, v66, 1, v74
	s_waitcnt lgkmcnt(0)
	s_mul_hi_i32 s11, s3, s16
	s_mul_i32 s10, s3, s16
	v_lshlrev_b32_e32 v6, 10, v65
	s_lshl_b64 s[10:11], s[10:11], 1
	v_add_lshl_u32 v1, v5, s31, 6
	v_lshlrev_b32_e32 v5, 6, v5
	v_lshlrev_b32_e32 v7, 10, v75
	v_and_b32_e32 v6, 0x3800, v6
	s_delay_alu instid0(VALU_DEP_4) | instskip(NEXT) | instid1(VALU_DEP_2)
	v_ashrrev_i32_e32 v2, 31, v1
	v_or3_b32 v5, v6, v7, v5
	s_delay_alu instid0(VALU_DEP_2) | instskip(SKIP_2) | instid1(VALU_DEP_1)
	v_lshlrev_b64 v[1:2], 1, v[1:2]
	s_add_u32 s3, s8, s10
	s_addc_u32 s7, s9, s11
	v_add_co_u32 v1, vcc_lo, s3, v1
	s_delay_alu instid0(VALU_DEP_2) | instskip(NEXT) | instid1(VALU_DEP_2)
	v_add_co_ci_u32_e32 v2, vcc_lo, s7, v2, vcc_lo
	v_add_co_u32 v1, vcc_lo, v1, v73
	s_delay_alu instid0(VALU_DEP_2)
	v_add_co_ci_u32_e32 v2, vcc_lo, 0, v2, vcc_lo
	global_load_b128 v[1:4], v[1:2], off
	s_waitcnt vmcnt(0)
	ds_store_b128 v5, v[1:4]
.LBB1785_10:
	s_or_b32 exec_lo, exec_lo, s6
	v_and_b32_e32 v1, 0xef, v0
	s_waitcnt lgkmcnt(0)
	s_add_i32 s3, s24, 31
	s_clause 0x1
	s_load_b32 s6, s[0:1], 0x38
	s_load_b32 s19, s[0:1], 0x1c
	s_ashr_i32 s7, s3, 31
	v_add_nc_u32_e32 v1, s12, v1
	s_lshr_b32 s7, s7, 27
	s_waitcnt lgkmcnt(0)
	s_add_i32 s3, s3, s7
	s_barrier
	v_ashrrev_i32_e32 v2, 31, v1
	v_or_b32_e32 v3, 16, v1
	s_ashr_i32 s3, s3, 5
	v_cmp_gt_i32_e32 vcc_lo, s24, v1
	s_add_i32 s3, s3, -1
	v_lshrrev_b32_e32 v2, 27, v2
	buffer_gl0_inv
	s_mul_i32 s27, s15, s18
	v_add_nc_u32_e32 v4, v1, v2
	s_mul_i32 s6, s30, s6
	s_delay_alu instid0(SALU_CYCLE_1) | instskip(NEXT) | instid1(VALU_DEP_1)
	s_ashr_i32 s7, s6, 31
	v_ashrrev_i32_e32 v4, 5, v4
	v_add_nc_u32_e32 v2, v3, v2
	s_lshl_b64 s[6:7], s[6:7], 2
	s_delay_alu instid0(SALU_CYCLE_1) | instskip(NEXT) | instid1(VALU_DEP_2)
	s_add_u32 s26, s4, s6
	v_cndmask_b32_e32 v1, s3, v4, vcc_lo
	s_delay_alu instid0(VALU_DEP_2)
	v_ashrrev_i32_e32 v2, 5, v2
	v_cmp_gt_i32_e32 vcc_lo, s24, v3
	s_addc_u32 s25, s5, s7
	s_ashr_i32 s28, s27, 31
	s_add_u32 s4, s20, s27
	s_addc_u32 s5, s21, s28
	v_cndmask_b32_e32 v3, s3, v2, vcc_lo
	v_ashrrev_i32_e32 v2, 31, v1
	s_lshl_b32 s6, s14, 3
	s_delay_alu instid0(SALU_CYCLE_1) | instskip(NEXT) | instid1(VALU_DEP_2)
	s_ashr_i32 s7, s6, 31
	v_ashrrev_i32_e32 v4, 31, v3
	s_delay_alu instid0(VALU_DEP_2) | instskip(SKIP_1) | instid1(SALU_CYCLE_1)
	v_lshlrev_b64 v[1:2], 2, v[1:2]
	s_lshl_b64 s[6:7], s[6:7], 2
	s_add_u32 s6, s26, s6
	s_delay_alu instid0(VALU_DEP_2) | instskip(SKIP_1) | instid1(VALU_DEP_2)
	v_lshlrev_b64 v[3:4], 2, v[3:4]
	s_addc_u32 s7, s25, s7
	v_add_co_u32 v1, vcc_lo, s26, v1
	v_add_co_ci_u32_e32 v2, vcc_lo, s25, v2, vcc_lo
	s_delay_alu instid0(VALU_DEP_3) | instskip(NEXT) | instid1(VALU_DEP_4)
	v_add_co_u32 v3, vcc_lo, s26, v3
	v_add_co_ci_u32_e32 v4, vcc_lo, s25, v4, vcc_lo
	s_clause 0x1
	global_load_b32 v5, v[1:2], off
	global_load_b32 v6, v[3:4], off
	s_or_b32 s8, s12, 32
	s_delay_alu instid0(SALU_CYCLE_1) | instskip(SKIP_2) | instid1(SALU_CYCLE_1)
	s_ashr_i32 s9, s8, 5
	s_cmp_lt_i32 s8, s24
	s_cselect_b32 s8, s9, s3
	s_ashr_i32 s9, s8, 31
	s_delay_alu instid0(SALU_CYCLE_1) | instskip(NEXT) | instid1(SALU_CYCLE_1)
	s_lshl_b64 s[8:9], s[8:9], 2
	s_add_u32 s8, s26, s8
	s_addc_u32 s9, s25, s9
	s_or_b32 s10, s12, 64
	s_delay_alu instid0(SALU_CYCLE_1) | instskip(SKIP_2) | instid1(SALU_CYCLE_1)
	s_ashr_i32 s11, s10, 5
	s_cmp_lt_i32 s10, s24
	s_cselect_b32 s10, s11, s3
	s_ashr_i32 s11, s10, 31
	s_delay_alu instid0(SALU_CYCLE_1) | instskip(NEXT) | instid1(SALU_CYCLE_1)
	s_lshl_b64 s[10:11], s[10:11], 2
	s_add_u32 s10, s26, s10
	s_addc_u32 s11, s25, s11
	;; [unrolled: 10-line block ×5, first 2 shown]
	s_clause 0x5
	s_load_b32 s21, s[6:7], 0x0
	s_load_b32 s13, s[8:9], 0x0
	;; [unrolled: 1-line block ×6, first 2 shown]
	s_or_b32 s8, s12, 0xc0
	s_delay_alu instid0(SALU_CYCLE_1) | instskip(SKIP_2) | instid1(SALU_CYCLE_1)
	s_ashr_i32 s9, s8, 5
	s_cmp_lt_i32 s8, s24
	s_cselect_b32 s34, s9, s3
	s_ashr_i32 s35, s34, 31
	s_delay_alu instid0(SALU_CYCLE_1) | instskip(NEXT) | instid1(SALU_CYCLE_1)
	s_lshl_b64 s[34:35], s[34:35], 2
	s_add_u32 s34, s26, s34
	s_addc_u32 s35, s25, s35
	s_or_b32 s29, s12, 0xe0
	s_delay_alu instid0(SALU_CYCLE_1)
	s_ashr_i32 s33, s29, 5
	s_cmp_lt_i32 s29, s24
	s_waitcnt vmcnt(1)
	v_mad_i64_i32 v[1:2], null, v5, s17, s[4:5]
	s_waitcnt vmcnt(0)
	v_mad_i64_i32 v[3:4], null, v6, s17, s[4:5]
	s_mov_b32 s4, 0
	s_delay_alu instid0(SALU_CYCLE_1)
	s_mov_b32 s5, s4
	s_mov_b32 s6, s4
	s_mov_b32 s7, s4
	s_mov_b32 s8, s4
	s_mov_b32 s9, s4
	s_mov_b32 s10, s4
	s_mov_b32 s11, s4
	v_lshlrev_b32_e32 v5, 4, v65
	v_dual_mov_b32 v107, s11 :: v_dual_mov_b32 v102, s6
	v_mov_b32_e32 v100, s4
	v_mov_b32_e32 v106, s10
	s_delay_alu instid0(VALU_DEP_4)
	v_add_co_u32 v1, vcc_lo, v1, v5
	v_add_co_ci_u32_e32 v2, vcc_lo, 0, v2, vcc_lo
	v_add_co_u32 v3, vcc_lo, v3, v5
	v_add_co_ci_u32_e32 v4, vcc_lo, 0, v4, vcc_lo
	s_clause 0x7
	global_load_b128 v[49:52], v[1:2], off
	global_load_b128 v[53:56], v[1:2], off offset:512
	global_load_b128 v[76:79], v[3:4], off offset:256
	;; [unrolled: 1-line block ×7, first 2 shown]
	v_add_nc_u32_e32 v1, -12, v65
	v_cmp_gt_u32_e32 vcc_lo, 12, v65
	v_dual_mov_b32 v104, s8 :: v_dual_mov_b32 v103, s7
	v_dual_mov_b32 v101, s5 :: v_dual_lshlrev_b32 v2, 5, v65
	s_delay_alu instid0(VALU_DEP_4)
	v_cndmask_b32_e32 v1, v1, v65, vcc_lo
	v_mov_b32_e32 v105, s9
	s_cselect_b32 s4, s33, s3
	s_load_b32 s3, s[34:35], 0x0
	s_ashr_i32 s5, s4, 31
	v_lshlrev_b32_e32 v70, 6, v1
	s_lshl_b64 s[4:5], s[4:5], 2
	v_lshl_or_b32 v2, v66, 9, v2
	s_add_u32 s4, s26, s4
	s_addc_u32 s5, s25, s5
	ds_load_b128 v[108:111], v70
	ds_load_b128 v[112:115], v70 offset:1024
	s_load_b32 s4, s[4:5], 0x0
	s_add_u32 s6, s22, s27
	s_addc_u32 s7, s23, s28
	v_add_co_u32 v9, s6, s6, v2
	s_delay_alu instid0(VALU_DEP_1) | instskip(SKIP_1) | instid1(VALU_DEP_1)
	v_add_co_ci_u32_e64 v10, null, s7, 0, s6
	s_waitcnt lgkmcnt(0)
	v_mad_i64_i32 v[1:2], null, s21, s17, v[9:10]
	v_mad_i64_i32 v[3:4], null, s13, s17, v[9:10]
	;; [unrolled: 1-line block ×7, first 2 shown]
	s_clause 0x9
	global_load_b128 v[57:60], v[1:2], off
	global_load_b128 v[61:64], v[1:2], off offset:16
	global_load_b128 v[41:44], v[3:4], off
	global_load_b128 v[45:48], v[3:4], off offset:16
	;; [unrolled: 2-line block ×5, first 2 shown]
	v_mad_i64_i32 v[68:69], null, s4, s17, v[9:10]
	s_clause 0x3
	global_load_b128 v[9:12], v[13:14], off
	global_load_b128 v[13:16], v[13:14], off offset:16
	global_load_b128 v[17:20], v[21:22], off
	global_load_b128 v[21:24], v[21:22], off offset:16
	s_waitcnt vmcnt(20)
	v_wmma_f32_16x16x16_bf16 v[116:123], v[49:56], v[108:115], v[100:107]
	s_clause 0x1
	global_load_b128 v[49:52], v[68:69], off
	global_load_b128 v[53:56], v[68:69], off offset:16
	v_and_b32_e32 v68, 0xe0, v0
	v_mbcnt_lo_u32_b32 v69, -1, 0
	s_delay_alu instid0(VALU_DEP_2)
	v_add_nc_u32_e32 v68, s12, v68
	s_waitcnt vmcnt(20)
	v_wmma_f32_16x16x16_bf16 v[100:107], v[76:83], v[108:115], v[100:107]
	ds_load_b128 v[76:79], v70 offset:2048
	ds_load_b128 v[80:83], v70 offset:3072
	v_xor_b32_e32 v70, 16, v69
	s_waitcnt vmcnt(0) lgkmcnt(0)
	v_or_b32_e32 v68, v68, v74
	s_barrier
	buffer_gl0_inv
	v_cmp_gt_i32_e32 vcc_lo, 32, v70
	v_or_b32_e32 v71, 4, v68
	v_or_b32_e32 v72, 6, v68
	v_cmp_gt_i32_e64 s3, s24, v68
	v_or_b32_e32 v108, 8, v68
	v_or_b32_e32 v109, 10, v68
	v_cmp_gt_i32_e64 s4, s24, v71
	v_cmp_gt_i32_e64 s5, s24, v72
	s_delay_alu instid0(VALU_DEP_4) | instskip(NEXT) | instid1(VALU_DEP_4)
	v_cmp_gt_i32_e64 s6, s24, v108
	v_cmp_gt_i32_e64 s7, s24, v109
	v_wmma_f32_16x16x16_bf16 v[116:123], v[84:91], v[76:83], v[116:123]
	v_cndmask_b32_e32 v69, v69, v70, vcc_lo
	v_or_b32_e32 v70, 2, v68
	v_wmma_f32_16x16x16_bf16 v[100:107], v[92:99], v[76:83], v[100:107]
	v_or_b32_e32 v89, 22, v68
	v_dual_mul_f32 v80, s19, v121 :: v_dual_mul_f32 v81, s19, v120
	v_dual_mul_f32 v92, s19, v117 :: v_dual_mul_f32 v93, s19, v116
	s_delay_alu instid0(VALU_DEP_4)
	v_mul_f32_e32 v96, s19, v105
	v_cmp_gt_i32_e32 vcc_lo, s24, v70
	v_dual_mul_f32 v79, s19, v122 :: v_dual_mul_f32 v82, s19, v119
	v_dual_mul_f32 v83, s19, v118 :: v_dual_mul_f32 v94, s19, v107
	v_cndmask_b32_e64 v93, 0xff7fffff, v93, s3
	v_cndmask_b32_e32 v92, 0xff7fffff, v92, vcc_lo
	v_or_b32_e32 v84, 12, v68
	v_or_b32_e32 v85, 14, v68
	v_cndmask_b32_e64 v71, 0xff7fffff, v83, s4
	v_cndmask_b32_e64 v72, 0xff7fffff, v82, s5
	v_cmp_gt_i32_e64 s13, s24, v89
	v_lshlrev_b32_e32 v89, 2, v69
	v_max3_f32 v82, v93, 0xff7fffff, v92
	v_or_b32_e32 v86, 16, v68
	v_or_b32_e32 v87, 18, v68
	v_mul_f32_e32 v78, s19, v123
	v_cndmask_b32_e64 v81, 0xff7fffff, v81, s6
	v_cndmask_b32_e64 v80, 0xff7fffff, v80, s7
	v_max3_f32 v71, v82, v71, v72
	v_cmp_gt_i32_e64 s8, s24, v84
	v_cmp_gt_i32_e64 s9, s24, v85
	v_or_b32_e32 v88, 20, v68
	v_or_b32_e32 v90, 24, v68
	;; [unrolled: 1-line block ×5, first 2 shown]
	v_dual_mul_f32 v97, s19, v104 :: v_dual_mul_f32 v70, s19, v101
	v_dual_mul_f32 v99, s19, v102 :: v_dual_mul_f32 v68, s19, v100
	v_cndmask_b32_e64 v72, 0xff7fffff, v79, s8
	v_cndmask_b32_e64 v78, 0xff7fffff, v78, s9
	v_max3_f32 v71, v71, v81, v80
	v_cmp_gt_i32_e64 s10, s24, v86
	v_cmp_gt_i32_e64 s11, s24, v87
	v_dual_mul_f32 v95, s19, v106 :: v_dual_mul_f32 v98, s19, v103
	s_delay_alu instid0(VALU_DEP_4) | instskip(NEXT) | instid1(VALU_DEP_4)
	v_max3_f32 v71, v71, v72, v78
	v_cndmask_b32_e64 v68, 0xff7fffff, v68, s10
	s_delay_alu instid0(VALU_DEP_4)
	v_cndmask_b32_e64 v70, 0xff7fffff, v70, s11
	v_cmp_gt_i32_e64 s12, s24, v88
	v_cndmask_b32_e64 v78, 0xff7fffff, v98, s13
	v_cmp_gt_i32_e64 s15, s24, v90
	v_cmp_gt_i32_e64 s16, s24, v91
	v_max3_f32 v68, v71, v68, v70
	v_cndmask_b32_e64 v72, 0xff7fffff, v99, s12
	v_cmp_gt_i32_e64 s17, s24, v76
	v_cndmask_b32_e64 v70, 0xff7fffff, v97, s15
	v_cndmask_b32_e64 v71, 0xff7fffff, v96, s16
	v_cmp_gt_i32_e64 s18, s24, v77
	v_max3_f32 v68, v68, v72, v78
	v_cndmask_b32_e64 v72, 0xff7fffff, v95, s17
	s_delay_alu instid0(VALU_DEP_3) | instskip(NEXT) | instid1(VALU_DEP_3)
	v_cndmask_b32_e64 v76, 0xff7fffff, v94, s18
	v_max3_f32 v68, v68, v70, v71
	s_delay_alu instid0(VALU_DEP_1) | instskip(SKIP_3) | instid1(VALU_DEP_1)
	v_max3_f32 v68, v68, v72, v76
	ds_bpermute_b32 v69, v89, v68
	s_waitcnt lgkmcnt(0)
	v_max_f32_e32 v69, v69, v69
	v_max_f32_e32 v68, v68, v69
	s_delay_alu instid0(VALU_DEP_1) | instskip(NEXT) | instid1(VALU_DEP_1)
	v_fma_f32 v71, s19, v118, -v68
	v_mul_f32_e32 v71, 0x3fb8aa3b, v71
	v_fma_f32 v70, s19, v117, -v68
	v_fma_f32 v69, s19, v116, -v68
	;; [unrolled: 1-line block ×5, first 2 shown]
	s_delay_alu instid0(VALU_DEP_4) | instskip(SKIP_1) | instid1(VALU_DEP_3)
	v_dual_mul_f32 v70, 0x3fb8aa3b, v70 :: v_dual_mul_f32 v69, 0x3fb8aa3b, v69
	v_exp_f32_e32 v71, v71
	v_mul_f32_e32 v72, 0x3fb8aa3b, v72
	v_fma_f32 v81, s19, v105, -v68
	s_delay_alu instid0(VALU_DEP_3)
	v_exp_f32_e32 v70, v70
	v_mul_f32_e32 v77, 0x3fb8aa3b, v76
	v_exp_f32_e32 v69, v69
	v_exp_f32_e32 v72, v72
	v_mul_f32_e32 v81, 0x3fb8aa3b, v81
	v_cndmask_b32_e64 v83, 0, v71, s4
	v_fma_f32 v71, s19, v123, -v68
	s_delay_alu instid0(VALU_DEP_3) | instskip(SKIP_4) | instid1(TRANS32_DEP_3)
	v_exp_f32_e32 v81, v81
	v_cndmask_b32_e32 v76, 0, v70, vcc_lo
	v_exp_f32_e32 v77, v77
	v_cndmask_b32_e64 v80, 0, v69, s3
	v_fma_f32 v69, s19, v121, -v68
	v_cndmask_b32_e64 v85, 0, v72, s5
	v_mul_f32_e32 v71, 0x3fb8aa3b, v71
	v_fma_f32 v72, s19, v100, -v68
	s_delay_alu instid0(VALU_DEP_4) | instskip(SKIP_1) | instid1(VALU_DEP_3)
	v_dual_add_f32 v70, 0, v80 :: v_dual_mul_f32 v69, 0x3fb8aa3b, v69
	s_mov_b32 s3, exec_lo
	v_exp_f32_e32 v71, v71
	s_delay_alu instid0(TRANS32_DEP_2) | instskip(SKIP_4) | instid1(VALU_DEP_3)
	v_cndmask_b32_e64 v86, 0, v77, s6
	v_fma_f32 v77, s19, v101, -v68
	v_mul_f32_e32 v78, 0x3fb8aa3b, v78
	v_add_f32_e32 v70, v70, v76
	v_exp_f32_e32 v69, v69
	v_mul_f32_e32 v77, 0x3fb8aa3b, v77
	s_delay_alu instid0(VALU_DEP_3) | instskip(NEXT) | instid1(TRANS32_DEP_3)
	v_exp_f32_e32 v78, v78
	v_cndmask_b32_e64 v88, 0, v71, s9
	v_fma_f32 v71, s19, v104, -v68
	s_delay_alu instid0(VALU_DEP_3) | instskip(NEXT) | instid1(TRANS32_DEP_3)
	v_exp_f32_e32 v77, v77
	v_cndmask_b32_e64 v87, 0, v69, s7
	s_delay_alu instid0(VALU_DEP_2)
	v_mul_f32_e32 v71, 0x3fb8aa3b, v71
	s_waitcnt_depctr 0xfff
	v_cndmask_b32_e64 v84, 0, v78, s8
	v_add_f32_e32 v70, v70, v83
	v_fma_f32 v78, s19, v103, -v68
	v_exp_f32_e32 v82, v71
	s_delay_alu instid0(VALU_DEP_2) | instskip(SKIP_1) | instid1(VALU_DEP_3)
	v_add_f32_e32 v70, v70, v85
	v_mul_f32_e32 v72, 0x3fb8aa3b, v72
	v_mul_f32_e32 v78, 0x3fb8aa3b, v78
	s_delay_alu instid0(VALU_DEP_3) | instskip(SKIP_1) | instid1(VALU_DEP_4)
	v_add_f32_e32 v69, v70, v86
	v_fma_f32 v70, s19, v102, -v68
	v_exp_f32_e32 v72, v72
	s_delay_alu instid0(VALU_DEP_3) | instskip(NEXT) | instid1(VALU_DEP_1)
	v_exp_f32_e32 v78, v78
	v_dual_add_f32 v69, v69, v87 :: v_dual_mul_f32 v70, 0x3fb8aa3b, v70
	s_delay_alu instid0(VALU_DEP_1) | instskip(NEXT) | instid1(VALU_DEP_2)
	v_add_f32_e32 v69, v69, v84
	v_exp_f32_e32 v79, v70
	s_delay_alu instid0(TRANS32_DEP_3) | instskip(NEXT) | instid1(VALU_DEP_2)
	v_cndmask_b32_e64 v70, 0, v72, s10
	v_add_f32_e32 v72, v69, v88
	v_cndmask_b32_e64 v69, 0, v77, s11
	v_fma_f32 v77, s19, v106, -v68
	s_waitcnt_depctr 0xfff
	v_cndmask_b32_e64 v71, 0, v79, s12
	v_dual_mul_f32 v77, 0x3fb8aa3b, v77 :: v_dual_add_f32 v72, v72, v70
	s_delay_alu instid0(VALU_DEP_1) | instskip(NEXT) | instid1(VALU_DEP_1)
	v_exp_f32_e32 v90, v77
	v_add_f32_e32 v79, v72, v69
	v_cndmask_b32_e64 v72, 0, v78, s13
	v_cndmask_b32_e64 v77, 0, v82, s15
	s_delay_alu instid0(VALU_DEP_3) | instskip(SKIP_1) | instid1(VALU_DEP_1)
	v_add_f32_e32 v78, v79, v71
	v_fma_f32 v79, s19, v107, -v68
	v_dual_add_f32 v82, v78, v72 :: v_dual_mul_f32 v79, 0x3fb8aa3b, v79
	v_cndmask_b32_e64 v78, 0, v81, s16
	s_delay_alu instid0(VALU_DEP_2) | instskip(NEXT) | instid1(VALU_DEP_3)
	v_add_f32_e32 v81, v82, v77
	v_exp_f32_e32 v82, v79
	v_cndmask_b32_e64 v79, 0, v90, s17
	s_delay_alu instid0(VALU_DEP_2) | instskip(NEXT) | instid1(VALU_DEP_1)
	v_add_f32_e32 v81, v81, v78
	v_add_f32_e32 v90, v81, v79
	s_waitcnt_depctr 0xfff
	v_cndmask_b32_e64 v81, 0, v82, s18
	s_delay_alu instid0(VALU_DEP_1)
	v_add_f32_e32 v82, v90, v81
	ds_bpermute_b32 v89, v89, v82
	v_cmpx_gt_u32_e32 16, v67
	s_cbranch_execz .LBB1785_12
; %bb.11:
	v_mul_u32_u24_e32 v67, 0x44, v66
	s_delay_alu instid0(VALU_DEP_1) | instskip(SKIP_1) | instid1(VALU_DEP_1)
	v_lshl_add_u32 v67, v65, 2, v67
	s_waitcnt lgkmcnt(0)
	v_dual_add_f32 v82, v82, v89 :: v_dual_add_nc_u32 v67, 0x4000, v67
	ds_store_2addr_b32 v67, v68, v82 offset1:136
.LBB1785_12:
	s_or_b32 exec_lo, exec_lo, s3
	v_lshlrev_b32_e32 v67, 2, v65
	s_waitcnt lgkmcnt(0)
	s_barrier
	buffer_gl0_inv
	v_cmp_eq_u32_e32 vcc_lo, 1, v66
	v_add_nc_u32_e32 v82, 0x4000, v67
	v_cmp_eq_u32_e64 s3, 2, v66
	v_cmp_eq_u32_e64 s5, 7, v66
	ds_load_2addr_b32 v[89:90], v82 offset1:17
	ds_load_2addr_b32 v[91:92], v82 offset0:34 offset1:51
	ds_load_2addr_b32 v[93:94], v82 offset0:68 offset1:85
	;; [unrolled: 1-line block ×4, first 2 shown]
	s_waitcnt lgkmcnt(4)
	v_max3_f32 v67, v89, 0xff7fffff, v90
	s_waitcnt lgkmcnt(3)
	s_delay_alu instid0(VALU_DEP_1) | instskip(SKIP_1) | instid1(VALU_DEP_1)
	v_max3_f32 v67, v67, v91, v92
	s_waitcnt lgkmcnt(2)
	v_max3_f32 v67, v67, v93, v94
	s_waitcnt lgkmcnt(1)
	s_delay_alu instid0(VALU_DEP_1) | instskip(NEXT) | instid1(VALU_DEP_1)
	v_max3_f32 v67, v67, v95, v96
	v_sub_f32_e32 v93, v93, v67
	s_delay_alu instid0(VALU_DEP_1) | instskip(NEXT) | instid1(VALU_DEP_1)
	v_dual_sub_f32 v68, v89, v67 :: v_dual_mul_f32 v103, 0x3fb8aa3b, v93
	v_mul_f32_e32 v68, 0x3fb8aa3b, v68
	s_delay_alu instid0(VALU_DEP_1)
	v_exp_f32_e32 v100, v68
	v_sub_f32_e32 v68, v92, v67
	v_sub_f32_e32 v99, v90, v67
	ds_load_2addr_b32 v[89:90], v82 offset0:170 offset1:187
	v_dual_mul_f32 v102, 0x3fb8aa3b, v68 :: v_dual_mul_f32 v99, 0x3fb8aa3b, v99
	s_waitcnt lgkmcnt(1)
	v_fma_f32 v68, v100, v97, 0
	s_delay_alu instid0(VALU_DEP_2) | instskip(NEXT) | instid1(VALU_DEP_2)
	v_exp_f32_e32 v102, v102
	v_exp_f32_e32 v99, v99
	s_waitcnt_depctr 0xfff
	v_fmac_f32_e32 v68, v99, v98
	v_sub_f32_e32 v91, v91, v67
	s_delay_alu instid0(VALU_DEP_1)
	v_mul_f32_e32 v101, 0x3fb8aa3b, v91
	ds_load_2addr_b32 v[91:92], v82 offset0:204 offset1:221
	v_sub_f32_e32 v97, v94, v67
	ds_load_2addr_b32 v[93:94], v82 offset0:238 offset1:255
	s_waitcnt lgkmcnt(0)
	v_exp_f32_e32 v101, v101
	s_barrier
	buffer_gl0_inv
	v_dual_fmac_f32 v68, v101, v89 :: v_dual_sub_f32 v89, v96, v67
	v_dual_sub_f32 v82, v95, v67 :: v_dual_mul_f32 v95, 0x3fb8aa3b, v97
	v_exp_f32_e32 v97, v103
	s_delay_alu instid0(VALU_DEP_2) | instskip(NEXT) | instid1(VALU_DEP_2)
	v_dual_fmac_f32 v68, v102, v90 :: v_dual_mul_f32 v89, 0x3fb8aa3b, v89
	v_mul_f32_e32 v82, 0x3fb8aa3b, v82
	s_delay_alu instid0(VALU_DEP_3) | instskip(NEXT) | instid1(VALU_DEP_2)
	v_exp_f32_e32 v95, v95
	v_exp_f32_e32 v89, v89
	s_delay_alu instid0(VALU_DEP_1)
	v_exp_f32_e32 v82, v82
	v_fmac_f32_e32 v68, v97, v91
	s_delay_alu instid0(TRANS32_DEP_3) | instid1(VALU_DEP_1)
	v_fmac_f32_e32 v68, v95, v92
	s_waitcnt_depctr 0xfff
	v_fmac_f32_e32 v68, v82, v93
	s_delay_alu instid0(VALU_DEP_1) | instskip(NEXT) | instid1(VALU_DEP_1)
	v_fmac_f32_e32 v68, v89, v94
	v_add_f32_e32 v90, 0x358637bd, v68
	s_delay_alu instid0(VALU_DEP_1) | instskip(NEXT) | instid1(VALU_DEP_1)
	v_div_scale_f32 v91, null, v90, v90, 1.0
	v_rcp_f32_e32 v92, v91
	s_waitcnt_depctr 0xfff
	v_fma_f32 v93, -v91, v92, 1.0
	s_delay_alu instid0(VALU_DEP_1) | instskip(SKIP_1) | instid1(VALU_DEP_2)
	v_dual_fmac_f32 v92, v93, v92 :: v_dual_cndmask_b32 v93, v100, v99
	v_cmp_eq_u32_e32 vcc_lo, 3, v66
	v_cndmask_b32_e64 v93, v93, v101, s3
	v_cmp_eq_u32_e64 s3, 4, v66
	s_delay_alu instid0(VALU_DEP_2) | instskip(SKIP_1) | instid1(VALU_DEP_2)
	v_cndmask_b32_e32 v93, v93, v102, vcc_lo
	v_cmp_eq_u32_e32 vcc_lo, 5, v66
	v_cndmask_b32_e64 v93, v93, v97, s3
	v_cmp_eq_u32_e64 s3, 6, v66
	s_delay_alu instid0(VALU_DEP_2) | instskip(SKIP_1) | instid1(VALU_DEP_1)
	v_cndmask_b32_e32 v93, v93, v95, vcc_lo
	v_div_scale_f32 v94, s4, 1.0, v90, 1.0
	s_mov_b32 vcc_lo, s4
	s_delay_alu instid0(VALU_DEP_2) | instskip(NEXT) | instid1(VALU_DEP_2)
	v_cndmask_b32_e64 v82, v93, v82, s3
	v_mul_f32_e32 v96, v94, v92
	s_mov_b32 s3, exec_lo
	s_delay_alu instid0(VALU_DEP_2) | instskip(NEXT) | instid1(VALU_DEP_2)
	v_cndmask_b32_e64 v82, v82, v89, s5
	v_fma_f32 v98, -v91, v96, v94
	s_delay_alu instid0(VALU_DEP_1) | instskip(NEXT) | instid1(VALU_DEP_1)
	v_fmac_f32_e32 v96, v98, v92
	v_fma_f32 v91, -v91, v96, v94
	s_delay_alu instid0(VALU_DEP_1) | instskip(NEXT) | instid1(VALU_DEP_1)
	v_div_fmas_f32 v91, v91, v92, v96
	v_div_fixup_f32 v90, v91, v90, 1.0
	s_delay_alu instid0(VALU_DEP_1) | instskip(NEXT) | instid1(VALU_DEP_1)
	v_mul_f32_e32 v82, v82, v90
	v_mul_f32_e32 v87, v82, v87
	;; [unrolled: 1-line block ×7, first 2 shown]
	v_dual_mul_f32 v86, v82, v83 :: v_dual_and_b32 v91, 0x7f800000, v90
	v_mul_f32_e32 v85, v82, v76
                                        ; implicit-def: $vgpr76
	s_delay_alu instid0(VALU_DEP_2)
	v_cmpx_ne_u32_e32 0x7f800000, v91
	s_xor_b32 s3, exec_lo, s3
; %bb.13:
	v_bfe_u32 v76, v90, 16, 1
	s_delay_alu instid0(VALU_DEP_1)
	v_add3_u32 v76, v90, v76, 0x7fff
                                        ; implicit-def: $vgpr90
; %bb.14:
	s_and_not1_saveexec_b32 s3, s3
; %bb.15:
	v_and_b32_e32 v76, 0xffff, v90
	v_or_b32_e32 v83, 0x10000, v90
	s_delay_alu instid0(VALU_DEP_2) | instskip(NEXT) | instid1(VALU_DEP_2)
	v_cmp_eq_u32_e32 vcc_lo, 0, v76
	v_cndmask_b32_e32 v76, v83, v90, vcc_lo
; %bb.16:
	s_or_b32 exec_lo, exec_lo, s3
	v_and_b32_e32 v83, 0x7f800000, v85
	s_delay_alu instid0(VALU_DEP_1) | instskip(SKIP_1) | instid1(SALU_CYCLE_1)
	v_cmp_ne_u32_e32 vcc_lo, 0x7f800000, v83
                                        ; implicit-def: $vgpr83
	s_and_saveexec_b32 s3, vcc_lo
	s_xor_b32 s3, exec_lo, s3
; %bb.17:
	v_bfe_u32 v83, v85, 16, 1
	s_delay_alu instid0(VALU_DEP_1)
	v_add3_u32 v83, v85, v83, 0x7fff
                                        ; implicit-def: $vgpr85
; %bb.18:
	s_and_not1_saveexec_b32 s3, s3
; %bb.19:
	v_and_b32_e32 v83, 0xffff, v85
	v_or_b32_e32 v90, 0x10000, v85
	s_delay_alu instid0(VALU_DEP_2) | instskip(NEXT) | instid1(VALU_DEP_2)
	v_cmp_eq_u32_e32 vcc_lo, 0, v83
	v_cndmask_b32_e32 v83, v90, v85, vcc_lo
; %bb.20:
	s_or_b32 exec_lo, exec_lo, s3
	v_and_b32_e32 v85, 0x7f800000, v86
	s_delay_alu instid0(VALU_DEP_1) | instskip(SKIP_1) | instid1(SALU_CYCLE_1)
	v_cmp_ne_u32_e32 vcc_lo, 0x7f800000, v85
                                        ; implicit-def: $vgpr85
	s_and_saveexec_b32 s3, vcc_lo
	s_xor_b32 s3, exec_lo, s3
; %bb.21:
	v_bfe_u32 v85, v86, 16, 1
	s_delay_alu instid0(VALU_DEP_1)
	v_add3_u32 v85, v86, v85, 0x7fff
                                        ; implicit-def: $vgpr86
; %bb.22:
	s_and_not1_saveexec_b32 s3, s3
; %bb.23:
	v_and_b32_e32 v85, 0xffff, v86
	v_or_b32_e32 v90, 0x10000, v86
	s_delay_alu instid0(VALU_DEP_2) | instskip(NEXT) | instid1(VALU_DEP_2)
	v_cmp_eq_u32_e32 vcc_lo, 0, v85
	v_cndmask_b32_e32 v85, v90, v86, vcc_lo
; %bb.24:
	s_or_b32 exec_lo, exec_lo, s3
	v_and_b32_e32 v86, 0x7f800000, v89
	s_delay_alu instid0(VALU_DEP_1) | instskip(SKIP_1) | instid1(SALU_CYCLE_1)
	v_cmp_ne_u32_e32 vcc_lo, 0x7f800000, v86
                                        ; implicit-def: $vgpr86
	s_and_saveexec_b32 s3, vcc_lo
	s_xor_b32 s3, exec_lo, s3
; %bb.25:
	v_bfe_u32 v86, v89, 16, 1
	s_delay_alu instid0(VALU_DEP_1)
	v_add3_u32 v86, v89, v86, 0x7fff
                                        ; implicit-def: $vgpr89
; %bb.26:
	s_and_not1_saveexec_b32 s3, s3
; %bb.27:
	v_and_b32_e32 v86, 0xffff, v89
	v_or_b32_e32 v90, 0x10000, v89
	s_delay_alu instid0(VALU_DEP_2) | instskip(NEXT) | instid1(VALU_DEP_2)
	v_cmp_eq_u32_e32 vcc_lo, 0, v86
	v_cndmask_b32_e32 v86, v90, v89, vcc_lo
; %bb.28:
	s_or_b32 exec_lo, exec_lo, s3
	v_and_b32_e32 v89, 0x7f800000, v88
	s_delay_alu instid0(VALU_DEP_1) | instskip(SKIP_1) | instid1(SALU_CYCLE_1)
	v_cmp_ne_u32_e32 vcc_lo, 0x7f800000, v89
                                        ; implicit-def: $vgpr89
	s_and_saveexec_b32 s3, vcc_lo
	s_xor_b32 s3, exec_lo, s3
; %bb.29:
	v_bfe_u32 v89, v88, 16, 1
	s_delay_alu instid0(VALU_DEP_1)
	v_add3_u32 v89, v88, v89, 0x7fff
                                        ; implicit-def: $vgpr88
; %bb.30:
	s_and_not1_saveexec_b32 s3, s3
; %bb.31:
	v_and_b32_e32 v89, 0xffff, v88
	v_or_b32_e32 v90, 0x10000, v88
	s_delay_alu instid0(VALU_DEP_2) | instskip(NEXT) | instid1(VALU_DEP_2)
	v_cmp_eq_u32_e32 vcc_lo, 0, v89
	v_cndmask_b32_e32 v89, v90, v88, vcc_lo
; %bb.32:
	s_or_b32 exec_lo, exec_lo, s3
	v_and_b32_e32 v88, 0x7f800000, v87
	s_delay_alu instid0(VALU_DEP_1) | instskip(SKIP_1) | instid1(SALU_CYCLE_1)
	v_cmp_ne_u32_e32 vcc_lo, 0x7f800000, v88
                                        ; implicit-def: $vgpr88
	s_and_saveexec_b32 s3, vcc_lo
	s_xor_b32 s3, exec_lo, s3
; %bb.33:
	v_bfe_u32 v88, v87, 16, 1
	s_delay_alu instid0(VALU_DEP_1)
	v_add3_u32 v88, v87, v88, 0x7fff
                                        ; implicit-def: $vgpr87
; %bb.34:
	s_and_not1_saveexec_b32 s3, s3
; %bb.35:
	v_and_b32_e32 v88, 0xffff, v87
	v_or_b32_e32 v90, 0x10000, v87
	s_delay_alu instid0(VALU_DEP_2) | instskip(NEXT) | instid1(VALU_DEP_2)
	v_cmp_eq_u32_e32 vcc_lo, 0, v88
	v_cndmask_b32_e32 v88, v90, v87, vcc_lo
; %bb.36:
	s_or_b32 exec_lo, exec_lo, s3
	v_and_b32_e32 v87, 0x7f800000, v84
	s_delay_alu instid0(VALU_DEP_1) | instskip(SKIP_1) | instid1(SALU_CYCLE_1)
	v_cmp_ne_u32_e32 vcc_lo, 0x7f800000, v87
                                        ; implicit-def: $vgpr87
	s_and_saveexec_b32 s3, vcc_lo
	s_xor_b32 s3, exec_lo, s3
; %bb.37:
	v_bfe_u32 v87, v84, 16, 1
	s_delay_alu instid0(VALU_DEP_1)
	v_add3_u32 v87, v84, v87, 0x7fff
                                        ; implicit-def: $vgpr84
; %bb.38:
	s_and_not1_saveexec_b32 s3, s3
; %bb.39:
	v_and_b32_e32 v87, 0xffff, v84
	v_or_b32_e32 v90, 0x10000, v84
	s_delay_alu instid0(VALU_DEP_2) | instskip(NEXT) | instid1(VALU_DEP_2)
	v_cmp_eq_u32_e32 vcc_lo, 0, v87
	v_cndmask_b32_e32 v87, v90, v84, vcc_lo
; %bb.40:
	s_or_b32 exec_lo, exec_lo, s3
	v_and_b32_e32 v84, 0x7f800000, v80
	s_delay_alu instid0(VALU_DEP_1) | instskip(SKIP_1) | instid1(SALU_CYCLE_1)
	v_cmp_ne_u32_e32 vcc_lo, 0x7f800000, v84
                                        ; implicit-def: $vgpr84
	s_and_saveexec_b32 s3, vcc_lo
	s_xor_b32 s3, exec_lo, s3
; %bb.41:
	v_bfe_u32 v84, v80, 16, 1
	s_delay_alu instid0(VALU_DEP_1)
	v_add3_u32 v84, v80, v84, 0x7fff
                                        ; implicit-def: $vgpr80
; %bb.42:
	s_and_not1_saveexec_b32 s3, s3
; %bb.43:
	v_and_b32_e32 v84, 0xffff, v80
	v_or_b32_e32 v90, 0x10000, v80
	s_delay_alu instid0(VALU_DEP_2) | instskip(NEXT) | instid1(VALU_DEP_2)
	v_cmp_eq_u32_e32 vcc_lo, 0, v84
	v_cndmask_b32_e32 v84, v90, v80, vcc_lo
; %bb.44:
	s_or_b32 exec_lo, exec_lo, s3
	s_load_b64 s[34:35], s[0:1], 0x94
	v_lshlrev_b32_e32 v91, 4, v74
	s_delay_alu instid0(VALU_DEP_2)
	v_perm_b32 v90, v84, v87, 0x7060302
	v_dual_mul_f32 v79, v82, v79 :: v_dual_lshlrev_b32 v80, 6, v65
	v_dual_mul_f32 v77, v82, v77 :: v_dual_lshlrev_b32 v92, 11, v66
	v_mul_f32_e32 v84, v82, v70
	v_perm_b32 v89, v88, v89, 0x7060302
	v_perm_b32 v88, v86, v85, 0x7060302
	;; [unrolled: 1-line block ×3, first 2 shown]
	v_mul_f32_e32 v70, v82, v81
	v_or3_b32 v76, v91, v92, v80
	v_dual_mul_f32 v78, v82, v78 :: v_dual_and_b32 v85, 0x7f800000, v84
	v_mul_f32_e32 v83, v82, v72
	v_mul_f32_e32 v81, v82, v71
	;; [unrolled: 1-line block ×3, first 2 shown]
	s_mov_b32 s3, exec_lo
	ds_store_b128 v76, v[87:90]
                                        ; implicit-def: $vgpr69
	v_cmpx_ne_u32_e32 0x7f800000, v85
	s_xor_b32 s3, exec_lo, s3
; %bb.45:
	v_bfe_u32 v69, v84, 16, 1
	s_delay_alu instid0(VALU_DEP_1)
	v_add3_u32 v69, v84, v69, 0x7fff
                                        ; implicit-def: $vgpr84
; %bb.46:
	s_and_not1_saveexec_b32 s3, s3
; %bb.47:
	v_and_b32_e32 v69, 0xffff, v84
	v_or_b32_e32 v71, 0x10000, v84
	s_delay_alu instid0(VALU_DEP_2) | instskip(NEXT) | instid1(VALU_DEP_2)
	v_cmp_eq_u32_e32 vcc_lo, 0, v69
	v_cndmask_b32_e32 v69, v71, v84, vcc_lo
; %bb.48:
	s_or_b32 exec_lo, exec_lo, s3
	v_and_b32_e32 v71, 0x7f800000, v72
	s_delay_alu instid0(VALU_DEP_1) | instskip(SKIP_1) | instid1(SALU_CYCLE_1)
	v_cmp_ne_u32_e32 vcc_lo, 0x7f800000, v71
                                        ; implicit-def: $vgpr71
	s_and_saveexec_b32 s3, vcc_lo
	s_xor_b32 s3, exec_lo, s3
; %bb.49:
	v_bfe_u32 v71, v72, 16, 1
	s_delay_alu instid0(VALU_DEP_1)
	v_add3_u32 v71, v72, v71, 0x7fff
                                        ; implicit-def: $vgpr72
; %bb.50:
	s_and_not1_saveexec_b32 s3, s3
; %bb.51:
	v_and_b32_e32 v71, 0xffff, v72
	v_or_b32_e32 v82, 0x10000, v72
	s_delay_alu instid0(VALU_DEP_2) | instskip(NEXT) | instid1(VALU_DEP_2)
	v_cmp_eq_u32_e32 vcc_lo, 0, v71
	v_cndmask_b32_e32 v71, v82, v72, vcc_lo
; %bb.52:
	s_or_b32 exec_lo, exec_lo, s3
	v_and_b32_e32 v72, 0x7f800000, v81
	s_delay_alu instid0(VALU_DEP_1) | instskip(SKIP_1) | instid1(SALU_CYCLE_1)
	v_cmp_ne_u32_e32 vcc_lo, 0x7f800000, v72
                                        ; implicit-def: $vgpr72
	s_and_saveexec_b32 s3, vcc_lo
	s_xor_b32 s3, exec_lo, s3
; %bb.53:
	v_bfe_u32 v72, v81, 16, 1
	s_delay_alu instid0(VALU_DEP_1)
	v_add3_u32 v72, v81, v72, 0x7fff
                                        ; implicit-def: $vgpr81
; %bb.54:
	s_and_not1_saveexec_b32 s3, s3
; %bb.55:
	v_and_b32_e32 v72, 0xffff, v81
	v_or_b32_e32 v82, 0x10000, v81
	s_delay_alu instid0(VALU_DEP_2) | instskip(NEXT) | instid1(VALU_DEP_2)
	v_cmp_eq_u32_e32 vcc_lo, 0, v72
	v_cndmask_b32_e32 v72, v82, v81, vcc_lo
; %bb.56:
	s_or_b32 exec_lo, exec_lo, s3
	v_and_b32_e32 v81, 0x7f800000, v83
	s_delay_alu instid0(VALU_DEP_1) | instskip(SKIP_1) | instid1(SALU_CYCLE_1)
	v_cmp_ne_u32_e32 vcc_lo, 0x7f800000, v81
                                        ; implicit-def: $vgpr81
	s_and_saveexec_b32 s3, vcc_lo
	s_xor_b32 s3, exec_lo, s3
; %bb.57:
	v_bfe_u32 v81, v83, 16, 1
	s_delay_alu instid0(VALU_DEP_1)
	v_add3_u32 v81, v83, v81, 0x7fff
                                        ; implicit-def: $vgpr83
; %bb.58:
	s_and_not1_saveexec_b32 s3, s3
; %bb.59:
	v_and_b32_e32 v81, 0xffff, v83
	v_or_b32_e32 v82, 0x10000, v83
	s_delay_alu instid0(VALU_DEP_2) | instskip(NEXT) | instid1(VALU_DEP_2)
	v_cmp_eq_u32_e32 vcc_lo, 0, v81
	v_cndmask_b32_e32 v81, v82, v83, vcc_lo
; %bb.60:
	s_or_b32 exec_lo, exec_lo, s3
	v_and_b32_e32 v82, 0x7f800000, v77
	s_delay_alu instid0(VALU_DEP_1) | instskip(SKIP_1) | instid1(SALU_CYCLE_1)
	v_cmp_ne_u32_e32 vcc_lo, 0x7f800000, v82
                                        ; implicit-def: $vgpr82
	s_and_saveexec_b32 s3, vcc_lo
	s_xor_b32 s3, exec_lo, s3
; %bb.61:
	v_bfe_u32 v82, v77, 16, 1
	s_delay_alu instid0(VALU_DEP_1)
	v_add3_u32 v82, v77, v82, 0x7fff
                                        ; implicit-def: $vgpr77
; %bb.62:
	s_and_not1_saveexec_b32 s3, s3
; %bb.63:
	v_and_b32_e32 v82, 0xffff, v77
	v_or_b32_e32 v83, 0x10000, v77
	s_delay_alu instid0(VALU_DEP_2) | instskip(NEXT) | instid1(VALU_DEP_2)
	v_cmp_eq_u32_e32 vcc_lo, 0, v82
	v_cndmask_b32_e32 v82, v83, v77, vcc_lo
; %bb.64:
	s_or_b32 exec_lo, exec_lo, s3
	v_and_b32_e32 v77, 0x7f800000, v78
	s_delay_alu instid0(VALU_DEP_1) | instskip(SKIP_1) | instid1(SALU_CYCLE_1)
	v_cmp_ne_u32_e32 vcc_lo, 0x7f800000, v77
                                        ; implicit-def: $vgpr77
	s_and_saveexec_b32 s3, vcc_lo
	s_xor_b32 s3, exec_lo, s3
; %bb.65:
	v_bfe_u32 v77, v78, 16, 1
	s_delay_alu instid0(VALU_DEP_1)
	v_add3_u32 v77, v78, v77, 0x7fff
                                        ; implicit-def: $vgpr78
; %bb.66:
	s_and_not1_saveexec_b32 s3, s3
; %bb.67:
	v_and_b32_e32 v77, 0xffff, v78
	v_or_b32_e32 v83, 0x10000, v78
	s_delay_alu instid0(VALU_DEP_2) | instskip(NEXT) | instid1(VALU_DEP_2)
	v_cmp_eq_u32_e32 vcc_lo, 0, v77
	v_cndmask_b32_e32 v77, v83, v78, vcc_lo
; %bb.68:
	s_or_b32 exec_lo, exec_lo, s3
	v_and_b32_e32 v78, 0x7f800000, v79
	s_delay_alu instid0(VALU_DEP_1) | instskip(SKIP_1) | instid1(SALU_CYCLE_1)
	v_cmp_ne_u32_e32 vcc_lo, 0x7f800000, v78
                                        ; implicit-def: $vgpr78
	s_and_saveexec_b32 s3, vcc_lo
	s_xor_b32 s3, exec_lo, s3
; %bb.69:
	v_bfe_u32 v78, v79, 16, 1
	s_delay_alu instid0(VALU_DEP_1)
	v_add3_u32 v78, v79, v78, 0x7fff
                                        ; implicit-def: $vgpr79
; %bb.70:
	s_and_not1_saveexec_b32 s3, s3
; %bb.71:
	v_and_b32_e32 v78, 0xffff, v79
	v_or_b32_e32 v83, 0x10000, v79
	s_delay_alu instid0(VALU_DEP_2) | instskip(NEXT) | instid1(VALU_DEP_2)
	v_cmp_eq_u32_e32 vcc_lo, 0, v78
	v_cndmask_b32_e32 v78, v83, v79, vcc_lo
; %bb.72:
	s_or_b32 exec_lo, exec_lo, s3
	v_and_b32_e32 v79, 0x7f800000, v70
	s_delay_alu instid0(VALU_DEP_1) | instskip(SKIP_1) | instid1(SALU_CYCLE_1)
	v_cmp_ne_u32_e32 vcc_lo, 0x7f800000, v79
                                        ; implicit-def: $vgpr79
	s_and_saveexec_b32 s3, vcc_lo
	s_xor_b32 s3, exec_lo, s3
; %bb.73:
	v_bfe_u32 v79, v70, 16, 1
	s_delay_alu instid0(VALU_DEP_1)
	v_add3_u32 v79, v70, v79, 0x7fff
                                        ; implicit-def: $vgpr70
; %bb.74:
	s_and_not1_saveexec_b32 s3, s3
; %bb.75:
	v_and_b32_e32 v79, 0xffff, v70
	v_or_b32_e32 v83, 0x10000, v70
	s_delay_alu instid0(VALU_DEP_2) | instskip(NEXT) | instid1(VALU_DEP_2)
	v_cmp_eq_u32_e32 vcc_lo, 0, v79
	v_cndmask_b32_e32 v79, v83, v70, vcc_lo
; %bb.76:
	s_or_b32 exec_lo, exec_lo, s3
	s_delay_alu instid0(VALU_DEP_1)
	v_perm_b32 v86, v79, v78, 0x7060302
	v_perm_b32 v85, v77, v82, 0x7060302
	;; [unrolled: 1-line block ×4, first 2 shown]
	v_lshl_or_b32 v82, v66, 11, v80
	ds_store_b128 v76, v[83:86] offset:1024
	s_waitcnt lgkmcnt(0)
	s_barrier
	buffer_gl0_inv
	ds_load_b128 v[69:72], v82
	ds_load_b128 v[83:86], v82 offset:16
	s_waitcnt lgkmcnt(1)
	v_lshrrev_b32_e32 v66, 16, v69
	s_waitcnt lgkmcnt(0)
	v_lshrrev_b32_e32 v91, 16, v83
	v_lshlrev_b32_e32 v78, 2, v74
	v_lshrrev_b32_e32 v95, 16, v70
	v_lshrrev_b32_e32 v98, 16, v84
	;; [unrolled: 1-line block ×4, first 2 shown]
	v_cmp_eq_u32_e32 vcc_lo, 1, v78
	v_lshrrev_b32_e32 v97, 16, v72
	v_lshrrev_b32_e32 v100, 16, v86
	v_cndmask_b32_e32 v87, v83, v91, vcc_lo
	v_or_b32_e32 v79, 1, v78
	v_cndmask_b32_e32 v81, v69, v66, vcc_lo
	v_cmp_eq_u32_e64 s4, 2, v78
	v_cmp_eq_u32_e64 s7, 3, v78
	;; [unrolled: 1-line block ×5, first 2 shown]
	v_cndmask_b32_e64 v81, v81, v70, s4
	v_cndmask_b32_e64 v87, v87, v84, s4
	v_cmp_eq_u32_e64 s8, 3, v79
	v_cndmask_b32_e64 v88, v69, v66, s3
	v_or_b32_e32 v77, 2, v78
	v_cndmask_b32_e64 v81, v81, v95, s7
	v_cndmask_b32_e64 v87, v87, v98, s7
	;; [unrolled: 1-line block ×4, first 2 shown]
	v_cmp_eq_u32_e64 s10, 5, v78
	v_cndmask_b32_e64 v81, v81, v71, s9
	v_cndmask_b32_e64 v87, v87, v85, s9
	v_cmp_eq_u32_e64 s11, 4, v79
	v_cndmask_b32_e64 v88, v88, v95, s8
	v_cmp_eq_u32_e64 s5, 1, v77
	v_cndmask_b32_e64 v89, v89, v84, s6
	v_cndmask_b32_e64 v81, v81, v96, s10
	v_cmp_eq_u32_e64 s12, 6, v78
	v_cndmask_b32_e64 v88, v88, v71, s11
	;; [unrolled: 3-line block ×3, first 2 shown]
	v_cndmask_b32_e64 v89, v89, v98, s8
	v_cndmask_b32_e64 v81, v81, v72, s12
	v_cmp_eq_u32_e64 s15, 7, v78
	v_cndmask_b32_e64 v88, v88, v96, s13
	v_cndmask_b32_e64 v87, v87, v86, s12
	v_cmp_eq_u32_e64 s16, 6, v79
	v_cmp_eq_u32_e64 s17, 2, v77
	v_cndmask_b32_e64 v89, v89, v85, s11
	v_cndmask_b32_e64 v101, v81, v97, s15
	;; [unrolled: 1-line block ×6, first 2 shown]
	v_cmp_eq_u32_e64 s18, 7, v79
	v_cmp_eq_u32_e64 s19, 3, v77
	v_cmp_eq_u32_e64 s20, 4, v77
	v_cmp_eq_u32_e64 s22, 5, v77
	v_cndmask_b32_e64 v87, v87, v84, s17
	v_cndmask_b32_e64 v103, v88, v97, s18
	;; [unrolled: 1-line block ×4, first 2 shown]
	v_or_b32_e32 v81, 3, v78
	v_cndmask_b32_e64 v93, v87, v98, s19
	v_cmp_eq_u32_e64 s24, 6, v77
	v_cndmask_b32_e64 v104, v88, v86, s16
	v_cndmask_b32_e64 v92, v89, v71, s20
	v_cmp_eq_u32_e64 s21, 1, v81
	ds_load_b128 v[87:90], v82 offset:1024
	v_cmp_eq_u32_e64 s23, 2, v81
	v_cmp_eq_u32_e64 s25, 3, v81
	v_cndmask_b32_e64 v105, v92, v96, s22
	v_cndmask_b32_e64 v66, v69, v66, s21
	;; [unrolled: 1-line block ×4, first 2 shown]
	ds_load_b128 v[91:94], v82 offset:1040
	v_cmp_eq_u32_e64 s26, 4, v81
	v_cndmask_b32_e64 v66, v66, v70, s23
	v_cmp_eq_u32_e64 s27, 7, v77
	v_cndmask_b32_e64 v70, v83, v84, s23
	v_cndmask_b32_e64 v84, v105, v72, s24
	v_cmp_eq_u32_e64 s28, 5, v81
	v_cndmask_b32_e64 v66, v66, v95, s25
	v_cmp_eq_u32_e64 s29, 6, v81
	v_cndmask_b32_e64 v70, v70, v98, s25
	v_cndmask_b32_e64 v69, v69, v99, s22
	;; [unrolled: 1-line block ×4, first 2 shown]
	s_waitcnt lgkmcnt(1)
	v_lshrrev_b32_e32 v95, 16, v87
	v_cndmask_b32_e64 v70, v70, v85, s26
	v_cndmask_b32_e64 v71, v84, v97, s27
	;; [unrolled: 1-line block ×4, first 2 shown]
	v_cndmask_b32_e32 v84, v87, v95, vcc_lo
	v_cndmask_b32_e64 v70, v70, v99, s28
	s_waitcnt lgkmcnt(0)
	v_lshrrev_b32_e32 v85, 16, v91
	v_lshrrev_b32_e32 v96, 16, v88
	v_cndmask_b32_e64 v98, v87, v95, s3
	v_cndmask_b32_e64 v84, v84, v88, s4
	v_cndmask_b32_e64 v70, v70, v86, s29
	v_cndmask_b32_e32 v99, v91, v85, vcc_lo
	v_cmp_eq_u32_e32 vcc_lo, 7, v81
	v_cndmask_b32_e64 v66, v66, v72, s29
	v_cndmask_b32_e64 v72, v84, v96, s7
	;; [unrolled: 1-line block ×3, first 2 shown]
	v_lshrrev_b32_e32 v98, 16, v92
	v_cndmask_b32_e32 v70, v70, v100, vcc_lo
	v_cndmask_b32_e64 v86, v99, v92, s4
	v_cndmask_b32_e64 v69, v69, v100, s27
	v_lshrrev_b32_e32 v100, 16, v93
	v_cndmask_b32_e64 v72, v72, v89, s9
	v_lshrrev_b32_e32 v99, 16, v89
	v_cndmask_b32_e64 v86, v86, v98, s7
	v_perm_b32 v71, v69, v71, 0x5040100
	v_cndmask_b32_e64 v84, v84, v96, s8
	s_delay_alu instid0(VALU_DEP_3) | instskip(NEXT) | instid1(VALU_DEP_2)
	v_cndmask_b32_e64 v86, v86, v93, s9
	v_cndmask_b32_e64 v84, v84, v89, s11
	s_delay_alu instid0(VALU_DEP_2) | instskip(NEXT) | instid1(VALU_DEP_1)
	v_cndmask_b32_e64 v86, v86, v100, s10
	v_cndmask_b32_e64 v69, v86, v94, s12
	;; [unrolled: 1-line block ×5, first 2 shown]
	s_delay_alu instid0(VALU_DEP_3) | instskip(NEXT) | instid1(VALU_DEP_3)
	v_cndmask_b32_e64 v86, v86, v88, s17
	v_cndmask_b32_e64 v87, v87, v88, s23
	s_delay_alu instid0(VALU_DEP_3) | instskip(NEXT) | instid1(VALU_DEP_3)
	v_cndmask_b32_e64 v88, v95, v92, s23
	v_cndmask_b32_e64 v86, v86, v96, s19
	;; [unrolled: 3-line block ×7, first 2 shown]
	s_delay_alu instid0(VALU_DEP_3) | instskip(SKIP_2) | instid1(VALU_DEP_2)
	v_cndmask_b32_e64 v88, v88, v94, s29
	v_cndmask_b32_e32 v66, v66, v97, vcc_lo
	v_cndmask_b32_e64 v97, v72, v99, s10
	v_perm_b32 v72, v70, v66, 0x5040100
	v_perm_b32 v70, v83, v103, 0x5040100
	v_cndmask_b32_e64 v103, v91, v85, s5
	v_cndmask_b32_e64 v85, v91, v85, s3
	;; [unrolled: 1-line block ×4, first 2 shown]
	v_lshrrev_b32_e32 v97, 16, v90
	v_cndmask_b32_e64 v91, v103, v92, s17
	v_cndmask_b32_e64 v85, v85, v92, s6
	;; [unrolled: 1-line block ×3, first 2 shown]
	s_mov_b32 s3, exec_lo
	v_cndmask_b32_e64 v83, v84, v97, s15
	v_cndmask_b32_e64 v91, v91, v98, s19
	;; [unrolled: 1-line block ×3, first 2 shown]
	v_lshrrev_b32_e32 v84, 16, v94
	v_cndmask_b32_e64 v66, v66, v97, s18
	v_cndmask_b32_e64 v90, v86, v97, s27
	;; [unrolled: 1-line block ×4, first 2 shown]
	v_dual_cndmask_b32 v86, v87, v97 :: v_dual_cndmask_b32 v87, v88, v84
	v_cndmask_b32_e64 v91, v69, v84, s15
	s_delay_alu instid0(VALU_DEP_4) | instskip(NEXT) | instid1(VALU_DEP_4)
	v_cndmask_b32_e64 v89, v89, v100, s22
	v_cndmask_b32_e64 v85, v85, v100, s13
	v_perm_b32 v69, v102, v101, 0x5040100
	v_perm_b32 v86, v87, v86, 0x5040100
	;; [unrolled: 1-line block ×3, first 2 shown]
	v_cndmask_b32_e64 v89, v89, v94, s24
	v_cndmask_b32_e64 v85, v85, v94, s16
	s_mul_i32 s8, s35, 12
	s_delay_alu instid0(VALU_DEP_2) | instskip(NEXT) | instid1(VALU_DEP_2)
	v_cndmask_b32_e64 v88, v89, v84, s27
	v_cndmask_b32_e64 v89, v85, v84, s18
	s_delay_alu instid0(VALU_DEP_2) | instskip(NEXT) | instid1(VALU_DEP_2)
	v_perm_b32 v85, v88, v90, 0x5040100
	v_perm_b32 v84, v89, v66, 0x5040100
	ds_store_b128 v76, v[69:72]
	ds_store_b128 v76, v[83:86] offset:1024
	v_cmpx_gt_u32_e32 12, v0
	s_cbranch_execz .LBB1785_78
; %bb.77:
	s_mul_i32 s4, s8, s30
	s_delay_alu instid0(SALU_CYCLE_1) | instskip(SKIP_1) | instid1(VALU_DEP_1)
	v_add3_u32 v69, s4, s31, v65
	s_load_b128 s[4:7], s[0:1], 0x58
	v_mad_u64_u32 v[65:66], null, v69, s34, s[14:15]
	s_delay_alu instid0(VALU_DEP_1) | instskip(NEXT) | instid1(VALU_DEP_1)
	v_ashrrev_i32_e32 v66, 31, v65
	v_lshlrev_b64 v[65:66], 2, v[65:66]
	s_waitcnt lgkmcnt(0)
	s_delay_alu instid0(VALU_DEP_1) | instskip(NEXT) | instid1(VALU_DEP_2)
	v_add_co_u32 v69, vcc_lo, s6, v65
	v_add_co_ci_u32_e32 v70, vcc_lo, s7, v66, vcc_lo
	v_add_co_u32 v65, vcc_lo, s4, v65
	v_add_co_ci_u32_e32 v66, vcc_lo, s5, v66, vcc_lo
	global_store_b32 v[69:70], v67, off
	global_store_b32 v[65:66], v68, off
.LBB1785_78:
	s_or_b32 exec_lo, exec_lo, s3
	s_waitcnt lgkmcnt(0)
	s_waitcnt_vscnt null, 0x0
	s_barrier
	buffer_gl0_inv
	ds_load_b128 v[83:86], v80
	ds_load_b128 v[87:90], v80 offset:16
	ds_load_b128 v[95:98], v80 offset:2064
	;; [unrolled: 1-line block ×3, first 2 shown]
	v_mov_b32_e32 v65, 0
	ds_load_b128 v[103:106], v80 offset:4112
	ds_load_b128 v[99:102], v80 offset:4096
	;; [unrolled: 1-line block ×4, first 2 shown]
	v_mov_b32_e32 v66, v65
	v_mov_b32_e32 v67, v65
	;; [unrolled: 1-line block ×7, first 2 shown]
	s_waitcnt lgkmcnt(6)
	s_delay_alu instid0(VALU_DEP_1)
	v_wmma_f32_16x16x16_bf16 v[65:72], v[57:64], v[83:90], v[65:72]
	ds_load_b128 v[61:64], v80 offset:8208
	ds_load_b128 v[57:60], v80 offset:8192
	s_waitcnt lgkmcnt(6)
	v_wmma_f32_16x16x16_bf16 v[65:72], v[41:48], v[91:98], v[65:72]
	ds_load_b128 v[45:48], v80 offset:10256
	ds_load_b128 v[41:44], v80 offset:10240
	s_waitcnt lgkmcnt(6)
	;; [unrolled: 4-line block ×4, first 2 shown]
	v_wmma_f32_16x16x16_bf16 v[65:72], v[1:8], v[57:64], v[65:72]
	s_waitcnt lgkmcnt(4)
	s_delay_alu instid0(VALU_DEP_1) | instskip(SKIP_1) | instid1(VALU_DEP_1)
	v_wmma_f32_16x16x16_bf16 v[65:72], v[9:16], v[41:48], v[65:72]
	s_waitcnt lgkmcnt(2)
	v_wmma_f32_16x16x16_bf16 v[65:72], v[17:24], v[33:40], v[65:72]
	s_waitcnt lgkmcnt(0)
	s_delay_alu instid0(VALU_DEP_1) | instskip(NEXT) | instid1(VALU_DEP_1)
	v_wmma_f32_16x16x16_bf16 v[65:72], v[49:56], v[25:32], v[65:72]
	v_and_b32_e32 v1, 0x7f800000, v65
	s_delay_alu instid0(VALU_DEP_1) | instskip(SKIP_1) | instid1(SALU_CYCLE_1)
	v_cmp_ne_u32_e32 vcc_lo, 0x7f800000, v1
                                        ; implicit-def: $vgpr1
	s_and_saveexec_b32 s3, vcc_lo
	s_xor_b32 s3, exec_lo, s3
; %bb.79:
	v_bfe_u32 v1, v65, 16, 1
	s_delay_alu instid0(VALU_DEP_1)
	v_add3_u32 v1, v65, v1, 0x7fff
; %bb.80:
	s_and_not1_saveexec_b32 s3, s3
; %bb.81:
	v_and_b32_e32 v1, 0xffff, v65
	v_or_b32_e32 v2, 0x10000, v65
	s_delay_alu instid0(VALU_DEP_2) | instskip(NEXT) | instid1(VALU_DEP_2)
	v_cmp_eq_u32_e32 vcc_lo, 0, v1
	v_cndmask_b32_e32 v1, v2, v65, vcc_lo
; %bb.82:
	s_or_b32 exec_lo, exec_lo, s3
	v_and_b32_e32 v2, 0x7f800000, v66
	s_delay_alu instid0(VALU_DEP_1) | instskip(SKIP_1) | instid1(SALU_CYCLE_1)
	v_cmp_ne_u32_e32 vcc_lo, 0x7f800000, v2
                                        ; implicit-def: $vgpr2
	s_and_saveexec_b32 s3, vcc_lo
	s_xor_b32 s3, exec_lo, s3
; %bb.83:
	v_bfe_u32 v2, v66, 16, 1
	s_delay_alu instid0(VALU_DEP_1)
	v_add3_u32 v2, v66, v2, 0x7fff
; %bb.84:
	s_and_not1_saveexec_b32 s3, s3
; %bb.85:
	v_and_b32_e32 v2, 0xffff, v66
	v_or_b32_e32 v3, 0x10000, v66
	s_delay_alu instid0(VALU_DEP_2) | instskip(NEXT) | instid1(VALU_DEP_2)
	v_cmp_eq_u32_e32 vcc_lo, 0, v2
	v_cndmask_b32_e32 v2, v3, v66, vcc_lo
; %bb.86:
	s_or_b32 exec_lo, exec_lo, s3
	v_and_b32_e32 v3, 0x7f800000, v67
	s_delay_alu instid0(VALU_DEP_1) | instskip(SKIP_1) | instid1(SALU_CYCLE_1)
	v_cmp_ne_u32_e32 vcc_lo, 0x7f800000, v3
                                        ; implicit-def: $vgpr3
	s_and_saveexec_b32 s3, vcc_lo
	s_xor_b32 s3, exec_lo, s3
; %bb.87:
	v_bfe_u32 v3, v67, 16, 1
	s_delay_alu instid0(VALU_DEP_1)
	v_add3_u32 v3, v67, v3, 0x7fff
; %bb.88:
	s_and_not1_saveexec_b32 s3, s3
; %bb.89:
	v_and_b32_e32 v3, 0xffff, v67
	v_or_b32_e32 v4, 0x10000, v67
	s_delay_alu instid0(VALU_DEP_2) | instskip(NEXT) | instid1(VALU_DEP_2)
	v_cmp_eq_u32_e32 vcc_lo, 0, v3
	v_cndmask_b32_e32 v3, v4, v67, vcc_lo
; %bb.90:
	s_or_b32 exec_lo, exec_lo, s3
	v_and_b32_e32 v4, 0x7f800000, v68
	s_delay_alu instid0(VALU_DEP_1) | instskip(SKIP_1) | instid1(SALU_CYCLE_1)
	v_cmp_ne_u32_e32 vcc_lo, 0x7f800000, v4
                                        ; implicit-def: $vgpr4
	s_and_saveexec_b32 s3, vcc_lo
	s_xor_b32 s3, exec_lo, s3
; %bb.91:
	v_bfe_u32 v4, v68, 16, 1
	s_delay_alu instid0(VALU_DEP_1)
	v_add3_u32 v4, v68, v4, 0x7fff
; %bb.92:
	s_and_not1_saveexec_b32 s3, s3
; %bb.93:
	v_and_b32_e32 v4, 0xffff, v68
	v_or_b32_e32 v5, 0x10000, v68
	s_delay_alu instid0(VALU_DEP_2) | instskip(NEXT) | instid1(VALU_DEP_2)
	v_cmp_eq_u32_e32 vcc_lo, 0, v4
	v_cndmask_b32_e32 v4, v5, v68, vcc_lo
; %bb.94:
	s_or_b32 exec_lo, exec_lo, s3
	v_and_b32_e32 v5, 0x7f800000, v69
	s_delay_alu instid0(VALU_DEP_1) | instskip(SKIP_1) | instid1(SALU_CYCLE_1)
	v_cmp_ne_u32_e32 vcc_lo, 0x7f800000, v5
                                        ; implicit-def: $vgpr5
	s_and_saveexec_b32 s3, vcc_lo
	s_xor_b32 s3, exec_lo, s3
; %bb.95:
	v_bfe_u32 v5, v69, 16, 1
	s_delay_alu instid0(VALU_DEP_1)
	v_add3_u32 v5, v69, v5, 0x7fff
; %bb.96:
	s_and_not1_saveexec_b32 s3, s3
; %bb.97:
	v_and_b32_e32 v5, 0xffff, v69
	v_or_b32_e32 v6, 0x10000, v69
	s_delay_alu instid0(VALU_DEP_2) | instskip(NEXT) | instid1(VALU_DEP_2)
	v_cmp_eq_u32_e32 vcc_lo, 0, v5
	v_cndmask_b32_e32 v5, v6, v69, vcc_lo
; %bb.98:
	s_or_b32 exec_lo, exec_lo, s3
	v_and_b32_e32 v6, 0x7f800000, v70
	s_delay_alu instid0(VALU_DEP_1) | instskip(SKIP_1) | instid1(SALU_CYCLE_1)
	v_cmp_ne_u32_e32 vcc_lo, 0x7f800000, v6
                                        ; implicit-def: $vgpr6
	s_and_saveexec_b32 s3, vcc_lo
	s_xor_b32 s3, exec_lo, s3
; %bb.99:
	v_bfe_u32 v6, v70, 16, 1
	s_delay_alu instid0(VALU_DEP_1)
	v_add3_u32 v6, v70, v6, 0x7fff
; %bb.100:
	s_and_not1_saveexec_b32 s3, s3
; %bb.101:
	v_and_b32_e32 v6, 0xffff, v70
	v_or_b32_e32 v7, 0x10000, v70
	s_delay_alu instid0(VALU_DEP_2) | instskip(NEXT) | instid1(VALU_DEP_2)
	v_cmp_eq_u32_e32 vcc_lo, 0, v6
	v_cndmask_b32_e32 v6, v7, v70, vcc_lo
; %bb.102:
	s_or_b32 exec_lo, exec_lo, s3
	v_and_b32_e32 v7, 0x7f800000, v71
	s_delay_alu instid0(VALU_DEP_1) | instskip(SKIP_1) | instid1(SALU_CYCLE_1)
	v_cmp_ne_u32_e32 vcc_lo, 0x7f800000, v7
                                        ; implicit-def: $vgpr7
	s_and_saveexec_b32 s3, vcc_lo
	s_xor_b32 s3, exec_lo, s3
; %bb.103:
	v_bfe_u32 v7, v71, 16, 1
	s_delay_alu instid0(VALU_DEP_1)
	v_add3_u32 v7, v71, v7, 0x7fff
; %bb.104:
	s_and_not1_saveexec_b32 s3, s3
; %bb.105:
	v_and_b32_e32 v7, 0xffff, v71
	v_or_b32_e32 v8, 0x10000, v71
	s_delay_alu instid0(VALU_DEP_2) | instskip(NEXT) | instid1(VALU_DEP_2)
	v_cmp_eq_u32_e32 vcc_lo, 0, v7
	v_cndmask_b32_e32 v7, v8, v71, vcc_lo
; %bb.106:
	s_or_b32 exec_lo, exec_lo, s3
	v_and_b32_e32 v8, 0x7f800000, v72
	s_delay_alu instid0(VALU_DEP_1) | instskip(SKIP_1) | instid1(SALU_CYCLE_1)
	v_cmp_ne_u32_e32 vcc_lo, 0x7f800000, v8
                                        ; implicit-def: $vgpr8
	s_and_saveexec_b32 s3, vcc_lo
	s_xor_b32 s3, exec_lo, s3
; %bb.107:
	v_bfe_u32 v8, v72, 16, 1
	s_delay_alu instid0(VALU_DEP_1)
	v_add3_u32 v8, v72, v8, 0x7fff
                                        ; implicit-def: $vgpr65_vgpr66_vgpr67_vgpr68_vgpr69_vgpr70_vgpr71_vgpr72
; %bb.108:
	s_and_not1_saveexec_b32 s3, s3
; %bb.109:
	v_and_b32_e32 v8, 0xffff, v72
	v_or_b32_e32 v9, 0x10000, v72
	s_delay_alu instid0(VALU_DEP_2) | instskip(NEXT) | instid1(VALU_DEP_2)
	v_cmp_eq_u32_e32 vcc_lo, 0, v8
	v_cndmask_b32_e32 v8, v9, v72, vcc_lo
; %bb.110:
	s_or_b32 exec_lo, exec_lo, s3
	s_delay_alu instid0(VALU_DEP_1)
	v_perm_b32 v7, v8, v7, 0x7060302
	v_perm_b32 v6, v6, v5, 0x7060302
	;; [unrolled: 1-line block ×4, first 2 shown]
	s_barrier
	buffer_gl0_inv
	v_cmp_eq_u32_e32 vcc_lo, 1, v78
	ds_store_b128 v76, v[4:7]
	s_waitcnt lgkmcnt(0)
	s_barrier
	buffer_gl0_inv
	ds_load_b128 v[1:4], v82
	ds_load_b128 v[5:8], v82 offset:16
	v_cmp_eq_u32_e64 s3, 1, v79
	v_cmp_eq_u32_e64 s4, 2, v78
	v_cmp_eq_u32_e64 s5, 3, v78
	v_cmp_eq_u32_e64 s7, 2, v77
	v_cmp_eq_u32_e64 s6, 7, v79
	s_waitcnt lgkmcnt(1)
	v_lshrrev_b32_e32 v9, 16, v1
	s_waitcnt lgkmcnt(0)
	v_lshrrev_b32_e32 v13, 16, v5
	v_lshrrev_b32_e32 v10, 16, v2
	;; [unrolled: 1-line block ×4, first 2 shown]
	v_cndmask_b32_e64 v19, v1, v9, s3
	v_cndmask_b32_e32 v18, v5, v13, vcc_lo
	v_cndmask_b32_e64 v20, v5, v13, s3
	v_cndmask_b32_e32 v17, v1, v9, vcc_lo
	v_cmp_eq_u32_e32 vcc_lo, 2, v79
	v_lshrrev_b32_e32 v15, 16, v7
	v_cmp_eq_u32_e64 s3, 1, v77
	v_lshrrev_b32_e32 v12, 16, v4
	v_lshrrev_b32_e32 v16, 16, v8
	v_cndmask_b32_e32 v20, v20, v6, vcc_lo
	v_cndmask_b32_e64 v17, v17, v2, s4
	v_cndmask_b32_e32 v19, v19, v2, vcc_lo
	v_cndmask_b32_e64 v18, v18, v6, s4
	v_cmp_eq_u32_e32 vcc_lo, 4, v78
	v_cmp_eq_u32_e64 s4, 3, v79
	v_cndmask_b32_e64 v17, v17, v10, s5
	v_cndmask_b32_e64 v21, v1, v9, s3
	;; [unrolled: 1-line block ×5, first 2 shown]
	v_cndmask_b32_e32 v17, v17, v3, vcc_lo
	v_cndmask_b32_e64 v20, v20, v14, s4
	v_cndmask_b32_e32 v18, v18, v7, vcc_lo
	v_cmp_eq_u32_e32 vcc_lo, 4, v79
	v_cmp_eq_u32_e64 s4, 5, v79
	v_cmp_eq_u32_e64 s3, 2, v81
	v_cndmask_b32_e64 v21, v21, v2, s7
	v_cmp_eq_u32_e64 s5, 5, v78
	v_cndmask_b32_e32 v19, v19, v3, vcc_lo
	v_cndmask_b32_e32 v20, v20, v7, vcc_lo
	v_cmp_eq_u32_e32 vcc_lo, 6, v79
	s_delay_alu instid0(VALU_DEP_4) | instskip(NEXT) | instid1(VALU_DEP_4)
	v_cndmask_b32_e64 v17, v17, v11, s5
	v_cndmask_b32_e64 v19, v19, v11, s4
	s_delay_alu instid0(VALU_DEP_4) | instskip(SKIP_1) | instid1(VALU_DEP_3)
	v_cndmask_b32_e64 v20, v20, v15, s4
	v_cmp_eq_u32_e64 s4, 1, v81
	v_cndmask_b32_e32 v19, v19, v4, vcc_lo
	v_cndmask_b32_e64 v18, v18, v15, s5
	s_delay_alu instid0(VALU_DEP_3)
	v_cndmask_b32_e64 v1, v1, v9, s4
	v_cndmask_b32_e64 v5, v5, v13, s4
	v_cmp_eq_u32_e64 s4, 3, v77
	v_cndmask_b32_e64 v13, v22, v6, s7
	v_cmp_eq_u32_e64 s7, 3, v81
	v_cndmask_b32_e64 v1, v1, v2, s3
	v_cndmask_b32_e64 v2, v5, v6, s3
	v_cndmask_b32_e64 v9, v21, v10, s4
	v_cmp_eq_u32_e64 s3, 4, v77
	v_cndmask_b32_e64 v6, v13, v14, s4
	v_cndmask_b32_e64 v1, v1, v10, s7
	v_cmp_eq_u32_e64 s4, 4, v81
	v_cndmask_b32_e64 v2, v2, v14, s7
	v_cndmask_b32_e64 v5, v9, v3, s3
	;; [unrolled: 3-line block ×3, first 2 shown]
	v_cndmask_b32_e64 v2, v2, v7, s4
	v_cmp_eq_u32_e64 s3, 5, v81
	v_cmp_eq_u32_e64 s5, 6, v78
	v_cndmask_b32_e64 v5, v5, v11, s7
	v_cmp_eq_u32_e64 s4, 6, v77
	v_cndmask_b32_e64 v3, v6, v15, s7
	v_cndmask_b32_e64 v1, v1, v11, s3
	v_cmp_eq_u32_e64 s7, 6, v81
	v_cndmask_b32_e64 v2, v2, v15, s3
	v_cndmask_b32_e64 v17, v17, v4, s5
	v_cndmask_b32_e64 v18, v18, v8, s5
	v_cmp_eq_u32_e64 s5, 7, v78
	v_cndmask_b32_e64 v5, v5, v4, s4
	;; [unrolled: 4-line block ×3, first 2 shown]
	v_cmp_eq_u32_e64 s4, 7, v77
	v_cndmask_b32_e32 v4, v20, v8, vcc_lo
	v_cndmask_b32_e64 v17, v17, v12, s5
	v_cndmask_b32_e64 v19, v19, v12, s6
	;; [unrolled: 1-line block ×8, first 2 shown]
	v_cmp_gt_u32_e32 vcc_lo, 32, v0
	v_perm_b32 v4, v2, v1, 0x5040100
	v_perm_b32 v3, v3, v5, 0x5040100
	;; [unrolled: 1-line block ×4, first 2 shown]
	s_and_b32 s2, vcc_lo, s2
	ds_store_b128 v76, v[1:4]
	s_waitcnt lgkmcnt(0)
	s_barrier
	buffer_gl0_inv
	s_and_saveexec_b32 s3, s2
	s_cbranch_execz .LBB1785_2
; %bb.111:
	s_load_b64 s[0:1], s[0:1], 0x68
	v_lshlrev_b32_e32 v0, 10, v0
	s_lshl_b32 s4, s34, 6
	v_or_b32_e32 v3, s31, v74
	s_mul_i32 s2, s4, s30
	v_lshlrev_b32_e32 v1, 4, v75
	s_mul_i32 s2, s2, s8
	v_lshlrev_b32_e32 v2, 6, v74
	v_and_b32_e32 v0, 0x3800, v0
	s_ashr_i32 s3, s2, 31
	v_mul_lo_u32 v4, v3, s4
	s_lshl_b64 s[2:3], s[2:3], 1
	s_delay_alu instid0(VALU_DEP_2) | instskip(NEXT) | instid1(VALU_DEP_2)
	v_or3_b32 v16, v0, v1, v2
	v_ashrrev_i32_e32 v5, 31, v4
	ds_load_b128 v[0:3], v16
	s_waitcnt lgkmcnt(0)
	s_add_u32 s2, s0, s2
	s_addc_u32 s3, s1, s3
	s_lshl_b32 s0, s14, 6
	v_lshlrev_b64 v[5:6], 1, v[4:5]
	s_ashr_i32 s1, s0, 31
	s_delay_alu instid0(SALU_CYCLE_1) | instskip(NEXT) | instid1(SALU_CYCLE_1)
	s_lshl_b64 s[0:1], s[0:1], 1
	s_add_u32 s0, s2, s0
	s_addc_u32 s1, s3, s1
	s_lshl_b32 s2, s34, 7
	v_add_co_u32 v30, s0, s0, v73
	v_add_nc_u32_e32 v8, s2, v4
	v_add_co_ci_u32_e64 v31, null, s1, 0, s0
	s_delay_alu instid0(VALU_DEP_3) | instskip(NEXT) | instid1(VALU_DEP_3)
	v_add_co_u32 v12, vcc_lo, v30, v5
	v_add_nc_u32_e32 v10, s2, v8
	v_ashrrev_i32_e32 v9, 31, v8
	s_delay_alu instid0(VALU_DEP_4)
	v_add_co_ci_u32_e32 v13, vcc_lo, v31, v6, vcc_lo
	ds_load_b128 v[4:7], v16 offset:128
	v_ashrrev_i32_e32 v11, 31, v10
	v_lshlrev_b64 v[8:9], 1, v[8:9]
	v_add_nc_u32_e32 v14, s2, v10
	global_store_b128 v[12:13], v[0:3], off
	v_lshlrev_b64 v[0:1], 1, v[10:11]
	v_ashrrev_i32_e32 v15, 31, v14
	v_add_co_u32 v22, vcc_lo, v30, v8
	v_add_nc_u32_e32 v20, s2, v14
	v_add_co_ci_u32_e32 v23, vcc_lo, v31, v9, vcc_lo
	v_add_co_u32 v26, vcc_lo, v30, v0
	v_lshlrev_b64 v[24:25], 1, v[14:15]
	v_add_co_ci_u32_e32 v27, vcc_lo, v31, v1, vcc_lo
	ds_load_b128 v[0:3], v16 offset:256
	ds_load_b128 v[8:11], v16 offset:384
	;; [unrolled: 1-line block ×4, first 2 shown]
	v_add_nc_u32_e32 v28, s2, v20
	v_ashrrev_i32_e32 v21, 31, v20
	v_add_co_u32 v24, vcc_lo, v30, v24
	v_add_co_ci_u32_e32 v25, vcc_lo, v31, v25, vcc_lo
	s_delay_alu instid0(VALU_DEP_4) | instskip(NEXT) | instid1(VALU_DEP_4)
	v_ashrrev_i32_e32 v29, 31, v28
	v_lshlrev_b64 v[20:21], 1, v[20:21]
	s_delay_alu instid0(VALU_DEP_2) | instskip(NEXT) | instid1(VALU_DEP_2)
	v_lshlrev_b64 v[28:29], 1, v[28:29]
	v_add_co_u32 v20, vcc_lo, v30, v20
	s_delay_alu instid0(VALU_DEP_3) | instskip(NEXT) | instid1(VALU_DEP_3)
	v_add_co_ci_u32_e32 v21, vcc_lo, v31, v21, vcc_lo
	v_add_co_u32 v28, vcc_lo, v30, v28
	s_delay_alu instid0(VALU_DEP_4)
	v_add_co_ci_u32_e32 v29, vcc_lo, v31, v29, vcc_lo
	s_waitcnt lgkmcnt(4)
	global_store_b128 v[22:23], v[4:7], off
	s_waitcnt lgkmcnt(3)
	global_store_b128 v[26:27], v[0:3], off
	;; [unrolled: 2-line block ×5, first 2 shown]
	s_nop 0
	s_sendmsg sendmsg(MSG_DEALLOC_VGPRS)
	s_endpgm
	.section	.rodata,"a",@progbits
	.p2align	6, 0x0
	.amdhsa_kernel _Z39paged_attention_ll4mi_QKV_mfma16_kernelI14__hip_bfloat16hLN4vllm18Fp8KVCacheDataTypeE1ES0_Li32ELi64ELi256ELb0ELi12EL8MFMAType0EEvPKT_PKT0_S9_ifPKiSB_SB_iPKfiiiPfSE_PS4_PT2_iSD_SD_
		.amdhsa_group_segment_fixed_size 17472
		.amdhsa_private_segment_fixed_size 0
		.amdhsa_kernarg_size 400
		.amdhsa_user_sgpr_count 13
		.amdhsa_user_sgpr_dispatch_ptr 0
		.amdhsa_user_sgpr_queue_ptr 0
		.amdhsa_user_sgpr_kernarg_segment_ptr 1
		.amdhsa_user_sgpr_dispatch_id 0
		.amdhsa_user_sgpr_private_segment_size 0
		.amdhsa_wavefront_size32 1
		.amdhsa_uses_dynamic_stack 0
		.amdhsa_enable_private_segment 0
		.amdhsa_system_sgpr_workgroup_id_x 1
		.amdhsa_system_sgpr_workgroup_id_y 1
		.amdhsa_system_sgpr_workgroup_id_z 1
		.amdhsa_system_sgpr_workgroup_info 0
		.amdhsa_system_vgpr_workitem_id 0
		.amdhsa_next_free_vgpr 124
		.amdhsa_next_free_sgpr 40
		.amdhsa_reserve_vcc 1
		.amdhsa_float_round_mode_32 0
		.amdhsa_float_round_mode_16_64 0
		.amdhsa_float_denorm_mode_32 3
		.amdhsa_float_denorm_mode_16_64 3
		.amdhsa_dx10_clamp 1
		.amdhsa_ieee_mode 1
		.amdhsa_fp16_overflow 0
		.amdhsa_workgroup_processor_mode 1
		.amdhsa_memory_ordered 1
		.amdhsa_forward_progress 0
		.amdhsa_shared_vgpr_count 0
		.amdhsa_exception_fp_ieee_invalid_op 0
		.amdhsa_exception_fp_denorm_src 0
		.amdhsa_exception_fp_ieee_div_zero 0
		.amdhsa_exception_fp_ieee_overflow 0
		.amdhsa_exception_fp_ieee_underflow 0
		.amdhsa_exception_fp_ieee_inexact 0
		.amdhsa_exception_int_div_zero 0
	.end_amdhsa_kernel
	.section	.text._Z39paged_attention_ll4mi_QKV_mfma16_kernelI14__hip_bfloat16hLN4vllm18Fp8KVCacheDataTypeE1ES0_Li32ELi64ELi256ELb0ELi12EL8MFMAType0EEvPKT_PKT0_S9_ifPKiSB_SB_iPKfiiiPfSE_PS4_PT2_iSD_SD_,"axG",@progbits,_Z39paged_attention_ll4mi_QKV_mfma16_kernelI14__hip_bfloat16hLN4vllm18Fp8KVCacheDataTypeE1ES0_Li32ELi64ELi256ELb0ELi12EL8MFMAType0EEvPKT_PKT0_S9_ifPKiSB_SB_iPKfiiiPfSE_PS4_PT2_iSD_SD_,comdat
.Lfunc_end1785:
	.size	_Z39paged_attention_ll4mi_QKV_mfma16_kernelI14__hip_bfloat16hLN4vllm18Fp8KVCacheDataTypeE1ES0_Li32ELi64ELi256ELb0ELi12EL8MFMAType0EEvPKT_PKT0_S9_ifPKiSB_SB_iPKfiiiPfSE_PS4_PT2_iSD_SD_, .Lfunc_end1785-_Z39paged_attention_ll4mi_QKV_mfma16_kernelI14__hip_bfloat16hLN4vllm18Fp8KVCacheDataTypeE1ES0_Li32ELi64ELi256ELb0ELi12EL8MFMAType0EEvPKT_PKT0_S9_ifPKiSB_SB_iPKfiiiPfSE_PS4_PT2_iSD_SD_
                                        ; -- End function
	.section	.AMDGPU.csdata,"",@progbits
; Kernel info:
; codeLenInByte = 8872
; NumSgprs: 42
; NumVgprs: 124
; ScratchSize: 0
; MemoryBound: 0
; FloatMode: 240
; IeeeMode: 1
; LDSByteSize: 17472 bytes/workgroup (compile time only)
; SGPRBlocks: 5
; VGPRBlocks: 15
; NumSGPRsForWavesPerEU: 42
; NumVGPRsForWavesPerEU: 124
; Occupancy: 10
; WaveLimiterHint : 1
; COMPUTE_PGM_RSRC2:SCRATCH_EN: 0
; COMPUTE_PGM_RSRC2:USER_SGPR: 13
; COMPUTE_PGM_RSRC2:TRAP_HANDLER: 0
; COMPUTE_PGM_RSRC2:TGID_X_EN: 1
; COMPUTE_PGM_RSRC2:TGID_Y_EN: 1
; COMPUTE_PGM_RSRC2:TGID_Z_EN: 1
; COMPUTE_PGM_RSRC2:TIDIG_COMP_CNT: 0
	.section	.text._Z39paged_attention_ll4mi_QKV_mfma16_kernelI14__hip_bfloat16hLN4vllm18Fp8KVCacheDataTypeE1ES0_Li32ELi64ELi256ELb0ELi13EL8MFMAType0EEvPKT_PKT0_S9_ifPKiSB_SB_iPKfiiiPfSE_PS4_PT2_iSD_SD_,"axG",@progbits,_Z39paged_attention_ll4mi_QKV_mfma16_kernelI14__hip_bfloat16hLN4vllm18Fp8KVCacheDataTypeE1ES0_Li32ELi64ELi256ELb0ELi13EL8MFMAType0EEvPKT_PKT0_S9_ifPKiSB_SB_iPKfiiiPfSE_PS4_PT2_iSD_SD_,comdat
	.protected	_Z39paged_attention_ll4mi_QKV_mfma16_kernelI14__hip_bfloat16hLN4vllm18Fp8KVCacheDataTypeE1ES0_Li32ELi64ELi256ELb0ELi13EL8MFMAType0EEvPKT_PKT0_S9_ifPKiSB_SB_iPKfiiiPfSE_PS4_PT2_iSD_SD_ ; -- Begin function _Z39paged_attention_ll4mi_QKV_mfma16_kernelI14__hip_bfloat16hLN4vllm18Fp8KVCacheDataTypeE1ES0_Li32ELi64ELi256ELb0ELi13EL8MFMAType0EEvPKT_PKT0_S9_ifPKiSB_SB_iPKfiiiPfSE_PS4_PT2_iSD_SD_
	.globl	_Z39paged_attention_ll4mi_QKV_mfma16_kernelI14__hip_bfloat16hLN4vllm18Fp8KVCacheDataTypeE1ES0_Li32ELi64ELi256ELb0ELi13EL8MFMAType0EEvPKT_PKT0_S9_ifPKiSB_SB_iPKfiiiPfSE_PS4_PT2_iSD_SD_
	.p2align	8
	.type	_Z39paged_attention_ll4mi_QKV_mfma16_kernelI14__hip_bfloat16hLN4vllm18Fp8KVCacheDataTypeE1ES0_Li32ELi64ELi256ELb0ELi13EL8MFMAType0EEvPKT_PKT0_S9_ifPKiSB_SB_iPKfiiiPfSE_PS4_PT2_iSD_SD_,@function
_Z39paged_attention_ll4mi_QKV_mfma16_kernelI14__hip_bfloat16hLN4vllm18Fp8KVCacheDataTypeE1ES0_Li32ELi64ELi256ELb0ELi13EL8MFMAType0EEvPKT_PKT0_S9_ifPKiSB_SB_iPKfiiiPfSE_PS4_PT2_iSD_SD_: ; @_Z39paged_attention_ll4mi_QKV_mfma16_kernelI14__hip_bfloat16hLN4vllm18Fp8KVCacheDataTypeE1ES0_Li32ELi64ELi256ELb0ELi13EL8MFMAType0EEvPKT_PKT0_S9_ifPKiSB_SB_iPKfiiiPfSE_PS4_PT2_iSD_SD_
; %bb.0:
	s_load_b64 s[2:3], s[0:1], 0x30
	s_mov_b32 s34, s13
	s_waitcnt lgkmcnt(0)
	s_cmp_lg_u64 s[2:3], 0
	s_cselect_b32 s8, -1, 0
	s_ashr_i32 s35, s13, 31
	s_cmp_eq_u64 s[2:3], 0
	s_cbranch_scc1 .LBB1786_3
; %bb.1:
	s_lshl_b64 s[4:5], s[34:35], 2
	s_delay_alu instid0(SALU_CYCLE_1) | instskip(SKIP_4) | instid1(SALU_CYCLE_1)
	s_add_u32 s4, s2, s4
	s_addc_u32 s5, s3, s5
	s_load_b64 s[4:5], s[4:5], 0x0
	s_waitcnt lgkmcnt(0)
	s_sub_i32 s4, s5, s4
	s_cmp_eq_u32 s4, 1
	s_cselect_b32 s4, -1, 0
	s_delay_alu instid0(SALU_CYCLE_1)
	s_and_not1_b32 vcc_lo, exec_lo, s4
	s_cbranch_vccz .LBB1786_4
.LBB1786_2:
	s_nop 0
	s_sendmsg sendmsg(MSG_DEALLOC_VGPRS)
	s_endpgm
.LBB1786_3:
.LBB1786_4:
	s_load_b64 s[4:5], s[0:1], 0x28
	s_lshl_b64 s[6:7], s[34:35], 2
	s_waitcnt lgkmcnt(0)
	s_add_u32 s4, s4, s6
	s_addc_u32 s5, s5, s7
	s_lshl_b32 s12, s14, 8
	s_load_b32 s24, s[4:5], 0x0
	s_waitcnt lgkmcnt(0)
	s_cmp_ge_i32 s12, s24
	s_cbranch_scc1 .LBB1786_2
; %bb.5:
	s_clause 0x1
	s_load_b128 s[20:23], s[0:1], 0x8
	s_load_b64 s[4:5], s[0:1], 0x20
	s_and_not1_b32 vcc_lo, exec_lo, s8
	s_cbranch_vccnz .LBB1786_7
; %bb.6:
	s_add_u32 s2, s2, s6
	s_addc_u32 s3, s3, s7
	s_load_b32 s3, s[2:3], 0x0
	s_branch .LBB1786_8
.LBB1786_7:
	s_mov_b32 s3, s34
.LBB1786_8:
	s_load_b128 s[16:19], s[0:1], 0x48
	v_lshrrev_b32_e32 v66, 5, v0
	v_bfe_u32 v74, v0, 4, 1
	v_and_b32_e32 v65, 15, v0
	v_and_b32_e32 v67, 31, v0
	;; [unrolled: 1-line block ×3, first 2 shown]
	s_mul_i32 s31, s15, 13
	v_lshl_or_b32 v1, v66, 1, v74
	v_lshlrev_b32_e32 v2, 3, v65
	v_cmp_gt_u32_e64 s2, 8, v65
	s_delay_alu instid0(VALU_DEP_3) | instskip(NEXT) | instid1(VALU_DEP_3)
	v_cmp_gt_u32_e32 vcc_lo, 13, v1
	v_lshlrev_b32_e32 v73, 1, v2
	s_delay_alu instid0(VALU_DEP_3) | instskip(NEXT) | instid1(SALU_CYCLE_1)
	s_and_b32 s7, s2, vcc_lo
	s_and_saveexec_b32 s6, s7
	s_cbranch_execz .LBB1786_10
; %bb.9:
	s_load_b64 s[8:9], s[0:1], 0x0
	v_add_lshl_u32 v2, v1, s31, 6
	s_waitcnt lgkmcnt(0)
	s_mul_hi_i32 s11, s3, s16
	s_mul_i32 s10, s3, s16
	v_lshlrev_b32_e32 v6, 10, v65
	s_lshl_b64 s[10:11], s[10:11], 1
	v_ashrrev_i32_e32 v3, 31, v2
	v_lshlrev_b32_e32 v1, 6, v1
	v_lshlrev_b32_e32 v7, 10, v75
	v_and_b32_e32 v6, 0x3800, v6
	s_delay_alu instid0(VALU_DEP_4) | instskip(NEXT) | instid1(VALU_DEP_2)
	v_lshlrev_b64 v[2:3], 1, v[2:3]
	v_or3_b32 v1, v6, v7, v1
	s_add_u32 s3, s8, s10
	s_addc_u32 s7, s9, s11
	s_delay_alu instid0(VALU_DEP_2) | instskip(NEXT) | instid1(VALU_DEP_3)
	v_add_co_u32 v2, vcc_lo, s3, v2
	v_add_co_ci_u32_e32 v3, vcc_lo, s7, v3, vcc_lo
	s_delay_alu instid0(VALU_DEP_2) | instskip(NEXT) | instid1(VALU_DEP_2)
	v_add_co_u32 v2, vcc_lo, v2, v73
	v_add_co_ci_u32_e32 v3, vcc_lo, 0, v3, vcc_lo
	global_load_b128 v[2:5], v[2:3], off
	s_waitcnt vmcnt(0)
	ds_store_b128 v1, v[2:5]
.LBB1786_10:
	s_or_b32 exec_lo, exec_lo, s6
	v_and_b32_e32 v1, 0xef, v0
	s_waitcnt lgkmcnt(0)
	s_add_i32 s3, s24, 31
	s_clause 0x1
	s_load_b32 s6, s[0:1], 0x38
	s_load_b32 s19, s[0:1], 0x1c
	s_ashr_i32 s7, s3, 31
	v_add_nc_u32_e32 v1, s12, v1
	s_lshr_b32 s7, s7, 27
	s_waitcnt lgkmcnt(0)
	s_add_i32 s3, s3, s7
	s_barrier
	v_ashrrev_i32_e32 v2, 31, v1
	v_or_b32_e32 v3, 16, v1
	s_ashr_i32 s3, s3, 5
	v_cmp_gt_i32_e32 vcc_lo, s24, v1
	s_add_i32 s3, s3, -1
	v_lshrrev_b32_e32 v2, 27, v2
	buffer_gl0_inv
	s_mul_i32 s27, s15, s18
	v_add_nc_u32_e32 v4, v1, v2
	s_mul_i32 s6, s34, s6
	s_delay_alu instid0(SALU_CYCLE_1) | instskip(NEXT) | instid1(VALU_DEP_1)
	s_ashr_i32 s7, s6, 31
	v_ashrrev_i32_e32 v4, 5, v4
	v_add_nc_u32_e32 v2, v3, v2
	s_lshl_b64 s[6:7], s[6:7], 2
	s_delay_alu instid0(SALU_CYCLE_1) | instskip(NEXT) | instid1(VALU_DEP_2)
	s_add_u32 s26, s4, s6
	v_cndmask_b32_e32 v1, s3, v4, vcc_lo
	s_delay_alu instid0(VALU_DEP_2)
	v_ashrrev_i32_e32 v2, 5, v2
	v_cmp_gt_i32_e32 vcc_lo, s24, v3
	s_addc_u32 s25, s5, s7
	s_ashr_i32 s28, s27, 31
	s_add_u32 s4, s20, s27
	s_addc_u32 s5, s21, s28
	v_cndmask_b32_e32 v3, s3, v2, vcc_lo
	v_ashrrev_i32_e32 v2, 31, v1
	s_lshl_b32 s6, s14, 3
	s_delay_alu instid0(SALU_CYCLE_1) | instskip(NEXT) | instid1(VALU_DEP_2)
	s_ashr_i32 s7, s6, 31
	v_ashrrev_i32_e32 v4, 31, v3
	s_delay_alu instid0(VALU_DEP_2) | instskip(SKIP_1) | instid1(SALU_CYCLE_1)
	v_lshlrev_b64 v[1:2], 2, v[1:2]
	s_lshl_b64 s[6:7], s[6:7], 2
	s_add_u32 s6, s26, s6
	s_delay_alu instid0(VALU_DEP_2) | instskip(SKIP_1) | instid1(VALU_DEP_2)
	v_lshlrev_b64 v[3:4], 2, v[3:4]
	s_addc_u32 s7, s25, s7
	v_add_co_u32 v1, vcc_lo, s26, v1
	v_add_co_ci_u32_e32 v2, vcc_lo, s25, v2, vcc_lo
	s_delay_alu instid0(VALU_DEP_3) | instskip(NEXT) | instid1(VALU_DEP_4)
	v_add_co_u32 v3, vcc_lo, s26, v3
	v_add_co_ci_u32_e32 v4, vcc_lo, s25, v4, vcc_lo
	s_clause 0x1
	global_load_b32 v5, v[1:2], off
	global_load_b32 v6, v[3:4], off
	s_or_b32 s8, s12, 32
	s_delay_alu instid0(SALU_CYCLE_1) | instskip(SKIP_2) | instid1(SALU_CYCLE_1)
	s_ashr_i32 s9, s8, 5
	s_cmp_lt_i32 s8, s24
	s_cselect_b32 s8, s9, s3
	s_ashr_i32 s9, s8, 31
	s_delay_alu instid0(SALU_CYCLE_1) | instskip(NEXT) | instid1(SALU_CYCLE_1)
	s_lshl_b64 s[8:9], s[8:9], 2
	s_add_u32 s8, s26, s8
	s_addc_u32 s9, s25, s9
	s_or_b32 s10, s12, 64
	s_delay_alu instid0(SALU_CYCLE_1) | instskip(SKIP_2) | instid1(SALU_CYCLE_1)
	s_ashr_i32 s11, s10, 5
	s_cmp_lt_i32 s10, s24
	s_cselect_b32 s10, s11, s3
	s_ashr_i32 s11, s10, 31
	s_delay_alu instid0(SALU_CYCLE_1) | instskip(NEXT) | instid1(SALU_CYCLE_1)
	s_lshl_b64 s[10:11], s[10:11], 2
	s_add_u32 s10, s26, s10
	s_addc_u32 s11, s25, s11
	;; [unrolled: 10-line block ×5, first 2 shown]
	s_clause 0x5
	s_load_b32 s21, s[6:7], 0x0
	s_load_b32 s13, s[8:9], 0x0
	;; [unrolled: 1-line block ×6, first 2 shown]
	s_or_b32 s8, s12, 0xc0
	s_delay_alu instid0(SALU_CYCLE_1) | instskip(SKIP_2) | instid1(SALU_CYCLE_1)
	s_ashr_i32 s9, s8, 5
	s_cmp_lt_i32 s8, s24
	s_cselect_b32 s36, s9, s3
	s_ashr_i32 s37, s36, 31
	s_delay_alu instid0(SALU_CYCLE_1) | instskip(NEXT) | instid1(SALU_CYCLE_1)
	s_lshl_b64 s[36:37], s[36:37], 2
	s_add_u32 s36, s26, s36
	s_addc_u32 s37, s25, s37
	s_or_b32 s29, s12, 0xe0
	s_delay_alu instid0(SALU_CYCLE_1)
	s_ashr_i32 s30, s29, 5
	s_cmp_lt_i32 s29, s24
	s_waitcnt vmcnt(1)
	v_mad_i64_i32 v[1:2], null, v5, s17, s[4:5]
	s_waitcnt vmcnt(0)
	v_mad_i64_i32 v[3:4], null, v6, s17, s[4:5]
	s_mov_b32 s4, 0
	s_delay_alu instid0(SALU_CYCLE_1)
	s_mov_b32 s5, s4
	s_mov_b32 s6, s4
	;; [unrolled: 1-line block ×7, first 2 shown]
	v_lshlrev_b32_e32 v5, 4, v65
	v_dual_mov_b32 v107, s11 :: v_dual_mov_b32 v102, s6
	v_mov_b32_e32 v100, s4
	v_mov_b32_e32 v106, s10
	s_delay_alu instid0(VALU_DEP_4)
	v_add_co_u32 v1, vcc_lo, v1, v5
	v_add_co_ci_u32_e32 v2, vcc_lo, 0, v2, vcc_lo
	v_add_co_u32 v3, vcc_lo, v3, v5
	v_add_co_ci_u32_e32 v4, vcc_lo, 0, v4, vcc_lo
	s_clause 0x7
	global_load_b128 v[49:52], v[1:2], off
	global_load_b128 v[53:56], v[1:2], off offset:512
	global_load_b128 v[76:79], v[3:4], off offset:256
	;; [unrolled: 1-line block ×7, first 2 shown]
	v_add_nc_u32_e32 v1, -13, v65
	v_cmp_gt_u32_e32 vcc_lo, 13, v65
	v_dual_mov_b32 v104, s8 :: v_dual_mov_b32 v103, s7
	v_dual_mov_b32 v101, s5 :: v_dual_lshlrev_b32 v2, 5, v65
	s_delay_alu instid0(VALU_DEP_4)
	v_cndmask_b32_e32 v1, v1, v65, vcc_lo
	v_mov_b32_e32 v105, s9
	s_cselect_b32 s4, s30, s3
	s_load_b32 s3, s[36:37], 0x0
	s_ashr_i32 s5, s4, 31
	v_lshlrev_b32_e32 v70, 6, v1
	s_lshl_b64 s[4:5], s[4:5], 2
	v_lshl_or_b32 v2, v66, 9, v2
	s_add_u32 s4, s26, s4
	s_addc_u32 s5, s25, s5
	ds_load_b128 v[108:111], v70
	ds_load_b128 v[112:115], v70 offset:1024
	s_load_b32 s4, s[4:5], 0x0
	s_add_u32 s6, s22, s27
	s_addc_u32 s7, s23, s28
	v_add_co_u32 v9, s6, s6, v2
	s_delay_alu instid0(VALU_DEP_1) | instskip(SKIP_1) | instid1(VALU_DEP_1)
	v_add_co_ci_u32_e64 v10, null, s7, 0, s6
	s_waitcnt lgkmcnt(0)
	v_mad_i64_i32 v[1:2], null, s21, s17, v[9:10]
	v_mad_i64_i32 v[3:4], null, s13, s17, v[9:10]
	;; [unrolled: 1-line block ×7, first 2 shown]
	s_clause 0x9
	global_load_b128 v[57:60], v[1:2], off
	global_load_b128 v[61:64], v[1:2], off offset:16
	global_load_b128 v[41:44], v[3:4], off
	global_load_b128 v[45:48], v[3:4], off offset:16
	;; [unrolled: 2-line block ×5, first 2 shown]
	v_mad_i64_i32 v[68:69], null, s4, s17, v[9:10]
	s_clause 0x3
	global_load_b128 v[9:12], v[13:14], off
	global_load_b128 v[13:16], v[13:14], off offset:16
	global_load_b128 v[17:20], v[21:22], off
	global_load_b128 v[21:24], v[21:22], off offset:16
	s_waitcnt vmcnt(20)
	v_wmma_f32_16x16x16_bf16 v[116:123], v[49:56], v[108:115], v[100:107]
	s_clause 0x1
	global_load_b128 v[49:52], v[68:69], off
	global_load_b128 v[53:56], v[68:69], off offset:16
	v_and_b32_e32 v68, 0xe0, v0
	v_mbcnt_lo_u32_b32 v69, -1, 0
	s_delay_alu instid0(VALU_DEP_2)
	v_add_nc_u32_e32 v68, s12, v68
	s_waitcnt vmcnt(20)
	v_wmma_f32_16x16x16_bf16 v[100:107], v[76:83], v[108:115], v[100:107]
	ds_load_b128 v[76:79], v70 offset:2048
	ds_load_b128 v[80:83], v70 offset:3072
	v_xor_b32_e32 v70, 16, v69
	s_waitcnt vmcnt(0) lgkmcnt(0)
	v_or_b32_e32 v68, v68, v74
	s_barrier
	buffer_gl0_inv
	v_cmp_gt_i32_e32 vcc_lo, 32, v70
	v_or_b32_e32 v71, 4, v68
	v_or_b32_e32 v72, 6, v68
	v_cmp_gt_i32_e64 s3, s24, v68
	v_or_b32_e32 v108, 8, v68
	v_or_b32_e32 v109, 10, v68
	v_cmp_gt_i32_e64 s4, s24, v71
	v_cmp_gt_i32_e64 s5, s24, v72
	s_delay_alu instid0(VALU_DEP_4) | instskip(NEXT) | instid1(VALU_DEP_4)
	v_cmp_gt_i32_e64 s6, s24, v108
	v_cmp_gt_i32_e64 s7, s24, v109
	v_wmma_f32_16x16x16_bf16 v[116:123], v[84:91], v[76:83], v[116:123]
	v_cndmask_b32_e32 v69, v69, v70, vcc_lo
	v_or_b32_e32 v70, 2, v68
	v_wmma_f32_16x16x16_bf16 v[100:107], v[92:99], v[76:83], v[100:107]
	v_or_b32_e32 v89, 22, v68
	v_dual_mul_f32 v80, s19, v121 :: v_dual_mul_f32 v81, s19, v120
	v_dual_mul_f32 v92, s19, v117 :: v_dual_mul_f32 v93, s19, v116
	s_delay_alu instid0(VALU_DEP_4)
	v_mul_f32_e32 v96, s19, v105
	v_cmp_gt_i32_e32 vcc_lo, s24, v70
	v_dual_mul_f32 v79, s19, v122 :: v_dual_mul_f32 v82, s19, v119
	v_dual_mul_f32 v83, s19, v118 :: v_dual_mul_f32 v94, s19, v107
	v_cndmask_b32_e64 v93, 0xff7fffff, v93, s3
	v_cndmask_b32_e32 v92, 0xff7fffff, v92, vcc_lo
	v_or_b32_e32 v84, 12, v68
	v_or_b32_e32 v85, 14, v68
	v_cndmask_b32_e64 v71, 0xff7fffff, v83, s4
	v_cndmask_b32_e64 v72, 0xff7fffff, v82, s5
	v_cmp_gt_i32_e64 s13, s24, v89
	v_lshlrev_b32_e32 v89, 2, v69
	v_max3_f32 v82, v93, 0xff7fffff, v92
	v_or_b32_e32 v86, 16, v68
	v_or_b32_e32 v87, 18, v68
	v_mul_f32_e32 v78, s19, v123
	v_cndmask_b32_e64 v81, 0xff7fffff, v81, s6
	v_cndmask_b32_e64 v80, 0xff7fffff, v80, s7
	v_max3_f32 v71, v82, v71, v72
	v_cmp_gt_i32_e64 s8, s24, v84
	v_cmp_gt_i32_e64 s9, s24, v85
	v_or_b32_e32 v88, 20, v68
	v_or_b32_e32 v90, 24, v68
	;; [unrolled: 1-line block ×5, first 2 shown]
	v_dual_mul_f32 v97, s19, v104 :: v_dual_mul_f32 v70, s19, v101
	v_dual_mul_f32 v99, s19, v102 :: v_dual_mul_f32 v68, s19, v100
	v_cndmask_b32_e64 v72, 0xff7fffff, v79, s8
	v_cndmask_b32_e64 v78, 0xff7fffff, v78, s9
	v_max3_f32 v71, v71, v81, v80
	v_cmp_gt_i32_e64 s10, s24, v86
	v_cmp_gt_i32_e64 s11, s24, v87
	v_dual_mul_f32 v95, s19, v106 :: v_dual_mul_f32 v98, s19, v103
	s_delay_alu instid0(VALU_DEP_4) | instskip(NEXT) | instid1(VALU_DEP_4)
	v_max3_f32 v71, v71, v72, v78
	v_cndmask_b32_e64 v68, 0xff7fffff, v68, s10
	s_delay_alu instid0(VALU_DEP_4)
	v_cndmask_b32_e64 v70, 0xff7fffff, v70, s11
	v_cmp_gt_i32_e64 s12, s24, v88
	v_cndmask_b32_e64 v78, 0xff7fffff, v98, s13
	v_cmp_gt_i32_e64 s15, s24, v90
	v_cmp_gt_i32_e64 s16, s24, v91
	v_max3_f32 v68, v71, v68, v70
	v_cndmask_b32_e64 v72, 0xff7fffff, v99, s12
	v_cmp_gt_i32_e64 s17, s24, v76
	v_cndmask_b32_e64 v70, 0xff7fffff, v97, s15
	v_cndmask_b32_e64 v71, 0xff7fffff, v96, s16
	v_cmp_gt_i32_e64 s18, s24, v77
	v_max3_f32 v68, v68, v72, v78
	v_cndmask_b32_e64 v72, 0xff7fffff, v95, s17
	s_delay_alu instid0(VALU_DEP_3) | instskip(NEXT) | instid1(VALU_DEP_3)
	v_cndmask_b32_e64 v76, 0xff7fffff, v94, s18
	v_max3_f32 v68, v68, v70, v71
	s_delay_alu instid0(VALU_DEP_1) | instskip(SKIP_3) | instid1(VALU_DEP_1)
	v_max3_f32 v68, v68, v72, v76
	ds_bpermute_b32 v69, v89, v68
	s_waitcnt lgkmcnt(0)
	v_max_f32_e32 v69, v69, v69
	v_max_f32_e32 v68, v68, v69
	s_delay_alu instid0(VALU_DEP_1) | instskip(NEXT) | instid1(VALU_DEP_1)
	v_fma_f32 v71, s19, v118, -v68
	v_mul_f32_e32 v71, 0x3fb8aa3b, v71
	v_fma_f32 v70, s19, v117, -v68
	v_fma_f32 v69, s19, v116, -v68
	;; [unrolled: 1-line block ×5, first 2 shown]
	s_delay_alu instid0(VALU_DEP_4) | instskip(SKIP_1) | instid1(VALU_DEP_3)
	v_dual_mul_f32 v70, 0x3fb8aa3b, v70 :: v_dual_mul_f32 v69, 0x3fb8aa3b, v69
	v_exp_f32_e32 v71, v71
	v_mul_f32_e32 v72, 0x3fb8aa3b, v72
	v_fma_f32 v81, s19, v105, -v68
	s_delay_alu instid0(VALU_DEP_3)
	v_exp_f32_e32 v70, v70
	v_mul_f32_e32 v77, 0x3fb8aa3b, v76
	v_exp_f32_e32 v69, v69
	v_exp_f32_e32 v72, v72
	v_mul_f32_e32 v81, 0x3fb8aa3b, v81
	v_cndmask_b32_e64 v83, 0, v71, s4
	v_fma_f32 v71, s19, v123, -v68
	s_delay_alu instid0(VALU_DEP_3) | instskip(SKIP_4) | instid1(TRANS32_DEP_3)
	v_exp_f32_e32 v81, v81
	v_cndmask_b32_e32 v76, 0, v70, vcc_lo
	v_exp_f32_e32 v77, v77
	v_cndmask_b32_e64 v80, 0, v69, s3
	v_fma_f32 v69, s19, v121, -v68
	v_cndmask_b32_e64 v85, 0, v72, s5
	v_mul_f32_e32 v71, 0x3fb8aa3b, v71
	v_fma_f32 v72, s19, v100, -v68
	s_delay_alu instid0(VALU_DEP_4) | instskip(SKIP_1) | instid1(VALU_DEP_4)
	v_dual_add_f32 v70, 0, v80 :: v_dual_mul_f32 v69, 0x3fb8aa3b, v69
	v_cmp_gt_u32_e64 s3, 16, v67
	v_exp_f32_e32 v71, v71
	s_delay_alu instid0(TRANS32_DEP_2) | instskip(SKIP_4) | instid1(VALU_DEP_3)
	v_cndmask_b32_e64 v86, 0, v77, s6
	v_fma_f32 v77, s19, v101, -v68
	v_mul_f32_e32 v78, 0x3fb8aa3b, v78
	v_add_f32_e32 v70, v70, v76
	v_exp_f32_e32 v69, v69
	v_mul_f32_e32 v77, 0x3fb8aa3b, v77
	s_delay_alu instid0(VALU_DEP_3) | instskip(NEXT) | instid1(TRANS32_DEP_3)
	v_exp_f32_e32 v78, v78
	v_cndmask_b32_e64 v88, 0, v71, s9
	v_fma_f32 v71, s19, v104, -v68
	s_delay_alu instid0(VALU_DEP_3) | instskip(NEXT) | instid1(TRANS32_DEP_3)
	v_exp_f32_e32 v77, v77
	v_cndmask_b32_e64 v87, 0, v69, s7
	s_delay_alu instid0(VALU_DEP_2)
	v_mul_f32_e32 v71, 0x3fb8aa3b, v71
	s_waitcnt_depctr 0xfff
	v_cndmask_b32_e64 v84, 0, v78, s8
	v_add_f32_e32 v70, v70, v83
	v_fma_f32 v78, s19, v103, -v68
	v_exp_f32_e32 v82, v71
	s_delay_alu instid0(VALU_DEP_2) | instskip(SKIP_1) | instid1(VALU_DEP_3)
	v_add_f32_e32 v70, v70, v85
	v_mul_f32_e32 v72, 0x3fb8aa3b, v72
	v_mul_f32_e32 v78, 0x3fb8aa3b, v78
	s_delay_alu instid0(VALU_DEP_3) | instskip(SKIP_1) | instid1(VALU_DEP_4)
	v_add_f32_e32 v69, v70, v86
	v_fma_f32 v70, s19, v102, -v68
	v_exp_f32_e32 v72, v72
	s_delay_alu instid0(VALU_DEP_3) | instskip(NEXT) | instid1(VALU_DEP_1)
	v_exp_f32_e32 v78, v78
	v_dual_add_f32 v69, v69, v87 :: v_dual_mul_f32 v70, 0x3fb8aa3b, v70
	s_delay_alu instid0(VALU_DEP_1) | instskip(NEXT) | instid1(VALU_DEP_2)
	v_add_f32_e32 v69, v69, v84
	v_exp_f32_e32 v79, v70
	s_delay_alu instid0(TRANS32_DEP_3) | instskip(NEXT) | instid1(VALU_DEP_2)
	v_cndmask_b32_e64 v70, 0, v72, s10
	v_add_f32_e32 v72, v69, v88
	v_cndmask_b32_e64 v69, 0, v77, s11
	v_fma_f32 v77, s19, v106, -v68
	s_waitcnt_depctr 0xfff
	v_cndmask_b32_e64 v71, 0, v79, s12
	v_dual_mul_f32 v77, 0x3fb8aa3b, v77 :: v_dual_add_f32 v72, v72, v70
	s_delay_alu instid0(VALU_DEP_1) | instskip(NEXT) | instid1(VALU_DEP_1)
	v_exp_f32_e32 v90, v77
	v_add_f32_e32 v79, v72, v69
	v_cndmask_b32_e64 v72, 0, v78, s13
	v_cndmask_b32_e64 v77, 0, v82, s15
	s_delay_alu instid0(VALU_DEP_3) | instskip(SKIP_1) | instid1(VALU_DEP_1)
	v_add_f32_e32 v78, v79, v71
	v_fma_f32 v79, s19, v107, -v68
	v_dual_add_f32 v82, v78, v72 :: v_dual_mul_f32 v79, 0x3fb8aa3b, v79
	v_cndmask_b32_e64 v78, 0, v81, s16
	s_delay_alu instid0(VALU_DEP_2) | instskip(NEXT) | instid1(VALU_DEP_3)
	v_add_f32_e32 v81, v82, v77
	v_exp_f32_e32 v82, v79
	v_cndmask_b32_e64 v79, 0, v90, s17
	s_delay_alu instid0(VALU_DEP_2) | instskip(NEXT) | instid1(VALU_DEP_1)
	v_add_f32_e32 v81, v81, v78
	v_add_f32_e32 v90, v81, v79
	s_waitcnt_depctr 0xfff
	v_cndmask_b32_e64 v81, 0, v82, s18
	s_delay_alu instid0(VALU_DEP_1)
	v_add_f32_e32 v82, v90, v81
	ds_bpermute_b32 v89, v89, v82
	s_and_saveexec_b32 s4, s3
	s_cbranch_execz .LBB1786_12
; %bb.11:
	v_mul_u32_u24_e32 v67, 0x44, v66
	s_delay_alu instid0(VALU_DEP_1) | instskip(SKIP_1) | instid1(VALU_DEP_1)
	v_lshl_add_u32 v67, v65, 2, v67
	s_waitcnt lgkmcnt(0)
	v_dual_add_f32 v82, v82, v89 :: v_dual_add_nc_u32 v67, 0x4000, v67
	ds_store_2addr_b32 v67, v68, v82 offset1:136
.LBB1786_12:
	s_or_b32 exec_lo, exec_lo, s4
	v_lshlrev_b32_e32 v67, 2, v65
	s_waitcnt lgkmcnt(0)
	s_barrier
	buffer_gl0_inv
	v_cmp_eq_u32_e32 vcc_lo, 1, v66
	v_add_nc_u32_e32 v82, 0x4000, v67
	v_cmp_eq_u32_e64 s4, 2, v66
	v_cmp_eq_u32_e64 s6, 7, v66
	ds_load_2addr_b32 v[89:90], v82 offset1:17
	ds_load_2addr_b32 v[91:92], v82 offset0:34 offset1:51
	ds_load_2addr_b32 v[93:94], v82 offset0:68 offset1:85
	;; [unrolled: 1-line block ×4, first 2 shown]
	s_waitcnt lgkmcnt(4)
	v_max3_f32 v67, v89, 0xff7fffff, v90
	s_waitcnt lgkmcnt(3)
	s_delay_alu instid0(VALU_DEP_1) | instskip(SKIP_1) | instid1(VALU_DEP_1)
	v_max3_f32 v67, v67, v91, v92
	s_waitcnt lgkmcnt(2)
	v_max3_f32 v67, v67, v93, v94
	s_waitcnt lgkmcnt(1)
	s_delay_alu instid0(VALU_DEP_1) | instskip(NEXT) | instid1(VALU_DEP_1)
	v_max3_f32 v67, v67, v95, v96
	v_sub_f32_e32 v93, v93, v67
	s_delay_alu instid0(VALU_DEP_1) | instskip(NEXT) | instid1(VALU_DEP_1)
	v_dual_sub_f32 v68, v89, v67 :: v_dual_mul_f32 v103, 0x3fb8aa3b, v93
	v_mul_f32_e32 v68, 0x3fb8aa3b, v68
	s_delay_alu instid0(VALU_DEP_1)
	v_exp_f32_e32 v100, v68
	v_sub_f32_e32 v68, v92, v67
	v_sub_f32_e32 v99, v90, v67
	ds_load_2addr_b32 v[89:90], v82 offset0:170 offset1:187
	v_dual_mul_f32 v102, 0x3fb8aa3b, v68 :: v_dual_mul_f32 v99, 0x3fb8aa3b, v99
	s_waitcnt lgkmcnt(1)
	v_fma_f32 v68, v100, v97, 0
	s_delay_alu instid0(VALU_DEP_2) | instskip(NEXT) | instid1(VALU_DEP_2)
	v_exp_f32_e32 v102, v102
	v_exp_f32_e32 v99, v99
	s_waitcnt_depctr 0xfff
	v_fmac_f32_e32 v68, v99, v98
	v_sub_f32_e32 v91, v91, v67
	s_delay_alu instid0(VALU_DEP_1)
	v_mul_f32_e32 v101, 0x3fb8aa3b, v91
	ds_load_2addr_b32 v[91:92], v82 offset0:204 offset1:221
	v_sub_f32_e32 v97, v94, v67
	ds_load_2addr_b32 v[93:94], v82 offset0:238 offset1:255
	s_waitcnt lgkmcnt(0)
	v_exp_f32_e32 v101, v101
	s_barrier
	buffer_gl0_inv
	v_dual_fmac_f32 v68, v101, v89 :: v_dual_sub_f32 v89, v96, v67
	v_dual_sub_f32 v82, v95, v67 :: v_dual_mul_f32 v95, 0x3fb8aa3b, v97
	v_exp_f32_e32 v97, v103
	s_delay_alu instid0(VALU_DEP_2) | instskip(NEXT) | instid1(VALU_DEP_2)
	v_dual_fmac_f32 v68, v102, v90 :: v_dual_mul_f32 v89, 0x3fb8aa3b, v89
	v_mul_f32_e32 v82, 0x3fb8aa3b, v82
	s_delay_alu instid0(VALU_DEP_3) | instskip(NEXT) | instid1(VALU_DEP_2)
	v_exp_f32_e32 v95, v95
	v_exp_f32_e32 v89, v89
	s_delay_alu instid0(VALU_DEP_1)
	v_exp_f32_e32 v82, v82
	v_fmac_f32_e32 v68, v97, v91
	s_delay_alu instid0(TRANS32_DEP_3) | instid1(VALU_DEP_1)
	v_fmac_f32_e32 v68, v95, v92
	s_waitcnt_depctr 0xfff
	v_fmac_f32_e32 v68, v82, v93
	s_delay_alu instid0(VALU_DEP_1) | instskip(NEXT) | instid1(VALU_DEP_1)
	v_fmac_f32_e32 v68, v89, v94
	v_add_f32_e32 v90, 0x358637bd, v68
	s_delay_alu instid0(VALU_DEP_1) | instskip(NEXT) | instid1(VALU_DEP_1)
	v_div_scale_f32 v91, null, v90, v90, 1.0
	v_rcp_f32_e32 v92, v91
	s_waitcnt_depctr 0xfff
	v_fma_f32 v93, -v91, v92, 1.0
	s_delay_alu instid0(VALU_DEP_1) | instskip(SKIP_1) | instid1(VALU_DEP_2)
	v_dual_fmac_f32 v92, v93, v92 :: v_dual_cndmask_b32 v93, v100, v99
	v_cmp_eq_u32_e32 vcc_lo, 3, v66
	v_cndmask_b32_e64 v93, v93, v101, s4
	v_cmp_eq_u32_e64 s4, 4, v66
	s_delay_alu instid0(VALU_DEP_2) | instskip(SKIP_1) | instid1(VALU_DEP_2)
	v_cndmask_b32_e32 v93, v93, v102, vcc_lo
	v_cmp_eq_u32_e32 vcc_lo, 5, v66
	v_cndmask_b32_e64 v93, v93, v97, s4
	v_cmp_eq_u32_e64 s4, 6, v66
	s_delay_alu instid0(VALU_DEP_2) | instskip(SKIP_1) | instid1(VALU_DEP_1)
	v_cndmask_b32_e32 v93, v93, v95, vcc_lo
	v_div_scale_f32 v94, s5, 1.0, v90, 1.0
	s_mov_b32 vcc_lo, s5
	s_delay_alu instid0(VALU_DEP_2) | instskip(NEXT) | instid1(VALU_DEP_2)
	v_cndmask_b32_e64 v82, v93, v82, s4
	v_mul_f32_e32 v96, v94, v92
	s_mov_b32 s4, exec_lo
	s_delay_alu instid0(VALU_DEP_2) | instskip(NEXT) | instid1(VALU_DEP_2)
	v_cndmask_b32_e64 v82, v82, v89, s6
	v_fma_f32 v98, -v91, v96, v94
	s_delay_alu instid0(VALU_DEP_1) | instskip(NEXT) | instid1(VALU_DEP_1)
	v_fmac_f32_e32 v96, v98, v92
	v_fma_f32 v91, -v91, v96, v94
	s_delay_alu instid0(VALU_DEP_1) | instskip(NEXT) | instid1(VALU_DEP_1)
	v_div_fmas_f32 v91, v91, v92, v96
	v_div_fixup_f32 v90, v91, v90, 1.0
	s_delay_alu instid0(VALU_DEP_1) | instskip(NEXT) | instid1(VALU_DEP_1)
	v_mul_f32_e32 v82, v82, v90
	v_mul_f32_e32 v87, v82, v87
	;; [unrolled: 1-line block ×7, first 2 shown]
	v_dual_mul_f32 v86, v82, v83 :: v_dual_and_b32 v91, 0x7f800000, v90
	v_mul_f32_e32 v85, v82, v76
                                        ; implicit-def: $vgpr76
	s_delay_alu instid0(VALU_DEP_2)
	v_cmpx_ne_u32_e32 0x7f800000, v91
	s_xor_b32 s4, exec_lo, s4
; %bb.13:
	v_bfe_u32 v76, v90, 16, 1
	s_delay_alu instid0(VALU_DEP_1)
	v_add3_u32 v76, v90, v76, 0x7fff
                                        ; implicit-def: $vgpr90
; %bb.14:
	s_and_not1_saveexec_b32 s4, s4
; %bb.15:
	v_and_b32_e32 v76, 0xffff, v90
	v_or_b32_e32 v83, 0x10000, v90
	s_delay_alu instid0(VALU_DEP_2) | instskip(NEXT) | instid1(VALU_DEP_2)
	v_cmp_eq_u32_e32 vcc_lo, 0, v76
	v_cndmask_b32_e32 v76, v83, v90, vcc_lo
; %bb.16:
	s_or_b32 exec_lo, exec_lo, s4
	v_and_b32_e32 v83, 0x7f800000, v85
	s_delay_alu instid0(VALU_DEP_1) | instskip(SKIP_1) | instid1(SALU_CYCLE_1)
	v_cmp_ne_u32_e32 vcc_lo, 0x7f800000, v83
                                        ; implicit-def: $vgpr83
	s_and_saveexec_b32 s4, vcc_lo
	s_xor_b32 s4, exec_lo, s4
; %bb.17:
	v_bfe_u32 v83, v85, 16, 1
	s_delay_alu instid0(VALU_DEP_1)
	v_add3_u32 v83, v85, v83, 0x7fff
                                        ; implicit-def: $vgpr85
; %bb.18:
	s_and_not1_saveexec_b32 s4, s4
; %bb.19:
	v_and_b32_e32 v83, 0xffff, v85
	v_or_b32_e32 v90, 0x10000, v85
	s_delay_alu instid0(VALU_DEP_2) | instskip(NEXT) | instid1(VALU_DEP_2)
	v_cmp_eq_u32_e32 vcc_lo, 0, v83
	v_cndmask_b32_e32 v83, v90, v85, vcc_lo
; %bb.20:
	s_or_b32 exec_lo, exec_lo, s4
	v_and_b32_e32 v85, 0x7f800000, v86
	s_delay_alu instid0(VALU_DEP_1) | instskip(SKIP_1) | instid1(SALU_CYCLE_1)
	v_cmp_ne_u32_e32 vcc_lo, 0x7f800000, v85
                                        ; implicit-def: $vgpr85
	s_and_saveexec_b32 s4, vcc_lo
	s_xor_b32 s4, exec_lo, s4
; %bb.21:
	v_bfe_u32 v85, v86, 16, 1
	s_delay_alu instid0(VALU_DEP_1)
	v_add3_u32 v85, v86, v85, 0x7fff
                                        ; implicit-def: $vgpr86
; %bb.22:
	s_and_not1_saveexec_b32 s4, s4
; %bb.23:
	v_and_b32_e32 v85, 0xffff, v86
	v_or_b32_e32 v90, 0x10000, v86
	s_delay_alu instid0(VALU_DEP_2) | instskip(NEXT) | instid1(VALU_DEP_2)
	v_cmp_eq_u32_e32 vcc_lo, 0, v85
	v_cndmask_b32_e32 v85, v90, v86, vcc_lo
; %bb.24:
	s_or_b32 exec_lo, exec_lo, s4
	v_and_b32_e32 v86, 0x7f800000, v89
	s_delay_alu instid0(VALU_DEP_1) | instskip(SKIP_1) | instid1(SALU_CYCLE_1)
	v_cmp_ne_u32_e32 vcc_lo, 0x7f800000, v86
                                        ; implicit-def: $vgpr86
	s_and_saveexec_b32 s4, vcc_lo
	s_xor_b32 s4, exec_lo, s4
; %bb.25:
	v_bfe_u32 v86, v89, 16, 1
	s_delay_alu instid0(VALU_DEP_1)
	v_add3_u32 v86, v89, v86, 0x7fff
                                        ; implicit-def: $vgpr89
; %bb.26:
	s_and_not1_saveexec_b32 s4, s4
; %bb.27:
	v_and_b32_e32 v86, 0xffff, v89
	v_or_b32_e32 v90, 0x10000, v89
	s_delay_alu instid0(VALU_DEP_2) | instskip(NEXT) | instid1(VALU_DEP_2)
	v_cmp_eq_u32_e32 vcc_lo, 0, v86
	v_cndmask_b32_e32 v86, v90, v89, vcc_lo
; %bb.28:
	s_or_b32 exec_lo, exec_lo, s4
	v_and_b32_e32 v89, 0x7f800000, v88
	s_delay_alu instid0(VALU_DEP_1) | instskip(SKIP_1) | instid1(SALU_CYCLE_1)
	v_cmp_ne_u32_e32 vcc_lo, 0x7f800000, v89
                                        ; implicit-def: $vgpr89
	s_and_saveexec_b32 s4, vcc_lo
	s_xor_b32 s4, exec_lo, s4
; %bb.29:
	v_bfe_u32 v89, v88, 16, 1
	s_delay_alu instid0(VALU_DEP_1)
	v_add3_u32 v89, v88, v89, 0x7fff
                                        ; implicit-def: $vgpr88
; %bb.30:
	s_and_not1_saveexec_b32 s4, s4
; %bb.31:
	v_and_b32_e32 v89, 0xffff, v88
	v_or_b32_e32 v90, 0x10000, v88
	s_delay_alu instid0(VALU_DEP_2) | instskip(NEXT) | instid1(VALU_DEP_2)
	v_cmp_eq_u32_e32 vcc_lo, 0, v89
	v_cndmask_b32_e32 v89, v90, v88, vcc_lo
; %bb.32:
	s_or_b32 exec_lo, exec_lo, s4
	v_and_b32_e32 v88, 0x7f800000, v87
	s_delay_alu instid0(VALU_DEP_1) | instskip(SKIP_1) | instid1(SALU_CYCLE_1)
	v_cmp_ne_u32_e32 vcc_lo, 0x7f800000, v88
                                        ; implicit-def: $vgpr88
	s_and_saveexec_b32 s4, vcc_lo
	s_xor_b32 s4, exec_lo, s4
; %bb.33:
	v_bfe_u32 v88, v87, 16, 1
	s_delay_alu instid0(VALU_DEP_1)
	v_add3_u32 v88, v87, v88, 0x7fff
                                        ; implicit-def: $vgpr87
; %bb.34:
	s_and_not1_saveexec_b32 s4, s4
; %bb.35:
	v_and_b32_e32 v88, 0xffff, v87
	v_or_b32_e32 v90, 0x10000, v87
	s_delay_alu instid0(VALU_DEP_2) | instskip(NEXT) | instid1(VALU_DEP_2)
	v_cmp_eq_u32_e32 vcc_lo, 0, v88
	v_cndmask_b32_e32 v88, v90, v87, vcc_lo
; %bb.36:
	s_or_b32 exec_lo, exec_lo, s4
	v_and_b32_e32 v87, 0x7f800000, v84
	s_delay_alu instid0(VALU_DEP_1) | instskip(SKIP_1) | instid1(SALU_CYCLE_1)
	v_cmp_ne_u32_e32 vcc_lo, 0x7f800000, v87
                                        ; implicit-def: $vgpr87
	s_and_saveexec_b32 s4, vcc_lo
	s_xor_b32 s4, exec_lo, s4
; %bb.37:
	v_bfe_u32 v87, v84, 16, 1
	s_delay_alu instid0(VALU_DEP_1)
	v_add3_u32 v87, v84, v87, 0x7fff
                                        ; implicit-def: $vgpr84
; %bb.38:
	s_and_not1_saveexec_b32 s4, s4
; %bb.39:
	v_and_b32_e32 v87, 0xffff, v84
	v_or_b32_e32 v90, 0x10000, v84
	s_delay_alu instid0(VALU_DEP_2) | instskip(NEXT) | instid1(VALU_DEP_2)
	v_cmp_eq_u32_e32 vcc_lo, 0, v87
	v_cndmask_b32_e32 v87, v90, v84, vcc_lo
; %bb.40:
	s_or_b32 exec_lo, exec_lo, s4
	v_and_b32_e32 v84, 0x7f800000, v80
	s_delay_alu instid0(VALU_DEP_1) | instskip(SKIP_1) | instid1(SALU_CYCLE_1)
	v_cmp_ne_u32_e32 vcc_lo, 0x7f800000, v84
                                        ; implicit-def: $vgpr84
	s_and_saveexec_b32 s4, vcc_lo
	s_xor_b32 s4, exec_lo, s4
; %bb.41:
	v_bfe_u32 v84, v80, 16, 1
	s_delay_alu instid0(VALU_DEP_1)
	v_add3_u32 v84, v80, v84, 0x7fff
                                        ; implicit-def: $vgpr80
; %bb.42:
	s_and_not1_saveexec_b32 s4, s4
; %bb.43:
	v_and_b32_e32 v84, 0xffff, v80
	v_or_b32_e32 v90, 0x10000, v80
	s_delay_alu instid0(VALU_DEP_2) | instskip(NEXT) | instid1(VALU_DEP_2)
	v_cmp_eq_u32_e32 vcc_lo, 0, v84
	v_cndmask_b32_e32 v84, v90, v80, vcc_lo
; %bb.44:
	s_or_b32 exec_lo, exec_lo, s4
	s_load_b64 s[36:37], s[0:1], 0x94
	v_lshlrev_b32_e32 v91, 4, v74
	s_delay_alu instid0(VALU_DEP_2)
	v_perm_b32 v90, v84, v87, 0x7060302
	v_dual_mul_f32 v79, v82, v79 :: v_dual_lshlrev_b32 v80, 6, v65
	v_dual_mul_f32 v77, v82, v77 :: v_dual_lshlrev_b32 v92, 11, v66
	v_mul_f32_e32 v84, v82, v70
	v_perm_b32 v89, v88, v89, 0x7060302
	v_perm_b32 v88, v86, v85, 0x7060302
	v_perm_b32 v87, v83, v76, 0x7060302
	v_mul_f32_e32 v70, v82, v81
	v_or3_b32 v76, v91, v92, v80
	v_dual_mul_f32 v78, v82, v78 :: v_dual_and_b32 v85, 0x7f800000, v84
	v_mul_f32_e32 v83, v82, v72
	v_mul_f32_e32 v81, v82, v71
	;; [unrolled: 1-line block ×3, first 2 shown]
	s_mov_b32 s4, exec_lo
	ds_store_b128 v76, v[87:90]
                                        ; implicit-def: $vgpr69
	v_cmpx_ne_u32_e32 0x7f800000, v85
	s_xor_b32 s4, exec_lo, s4
; %bb.45:
	v_bfe_u32 v69, v84, 16, 1
	s_delay_alu instid0(VALU_DEP_1)
	v_add3_u32 v69, v84, v69, 0x7fff
                                        ; implicit-def: $vgpr84
; %bb.46:
	s_and_not1_saveexec_b32 s4, s4
; %bb.47:
	v_and_b32_e32 v69, 0xffff, v84
	v_or_b32_e32 v71, 0x10000, v84
	s_delay_alu instid0(VALU_DEP_2) | instskip(NEXT) | instid1(VALU_DEP_2)
	v_cmp_eq_u32_e32 vcc_lo, 0, v69
	v_cndmask_b32_e32 v69, v71, v84, vcc_lo
; %bb.48:
	s_or_b32 exec_lo, exec_lo, s4
	v_and_b32_e32 v71, 0x7f800000, v72
	s_delay_alu instid0(VALU_DEP_1) | instskip(SKIP_1) | instid1(SALU_CYCLE_1)
	v_cmp_ne_u32_e32 vcc_lo, 0x7f800000, v71
                                        ; implicit-def: $vgpr71
	s_and_saveexec_b32 s4, vcc_lo
	s_xor_b32 s4, exec_lo, s4
; %bb.49:
	v_bfe_u32 v71, v72, 16, 1
	s_delay_alu instid0(VALU_DEP_1)
	v_add3_u32 v71, v72, v71, 0x7fff
                                        ; implicit-def: $vgpr72
; %bb.50:
	s_and_not1_saveexec_b32 s4, s4
; %bb.51:
	v_and_b32_e32 v71, 0xffff, v72
	v_or_b32_e32 v82, 0x10000, v72
	s_delay_alu instid0(VALU_DEP_2) | instskip(NEXT) | instid1(VALU_DEP_2)
	v_cmp_eq_u32_e32 vcc_lo, 0, v71
	v_cndmask_b32_e32 v71, v82, v72, vcc_lo
; %bb.52:
	s_or_b32 exec_lo, exec_lo, s4
	v_and_b32_e32 v72, 0x7f800000, v81
	s_delay_alu instid0(VALU_DEP_1) | instskip(SKIP_1) | instid1(SALU_CYCLE_1)
	v_cmp_ne_u32_e32 vcc_lo, 0x7f800000, v72
                                        ; implicit-def: $vgpr72
	s_and_saveexec_b32 s4, vcc_lo
	s_xor_b32 s4, exec_lo, s4
; %bb.53:
	v_bfe_u32 v72, v81, 16, 1
	s_delay_alu instid0(VALU_DEP_1)
	v_add3_u32 v72, v81, v72, 0x7fff
                                        ; implicit-def: $vgpr81
; %bb.54:
	s_and_not1_saveexec_b32 s4, s4
; %bb.55:
	v_and_b32_e32 v72, 0xffff, v81
	v_or_b32_e32 v82, 0x10000, v81
	s_delay_alu instid0(VALU_DEP_2) | instskip(NEXT) | instid1(VALU_DEP_2)
	v_cmp_eq_u32_e32 vcc_lo, 0, v72
	v_cndmask_b32_e32 v72, v82, v81, vcc_lo
; %bb.56:
	s_or_b32 exec_lo, exec_lo, s4
	v_and_b32_e32 v81, 0x7f800000, v83
	s_delay_alu instid0(VALU_DEP_1) | instskip(SKIP_1) | instid1(SALU_CYCLE_1)
	v_cmp_ne_u32_e32 vcc_lo, 0x7f800000, v81
                                        ; implicit-def: $vgpr81
	s_and_saveexec_b32 s4, vcc_lo
	s_xor_b32 s4, exec_lo, s4
; %bb.57:
	v_bfe_u32 v81, v83, 16, 1
	s_delay_alu instid0(VALU_DEP_1)
	v_add3_u32 v81, v83, v81, 0x7fff
                                        ; implicit-def: $vgpr83
; %bb.58:
	s_and_not1_saveexec_b32 s4, s4
; %bb.59:
	v_and_b32_e32 v81, 0xffff, v83
	v_or_b32_e32 v82, 0x10000, v83
	s_delay_alu instid0(VALU_DEP_2) | instskip(NEXT) | instid1(VALU_DEP_2)
	v_cmp_eq_u32_e32 vcc_lo, 0, v81
	v_cndmask_b32_e32 v81, v82, v83, vcc_lo
; %bb.60:
	s_or_b32 exec_lo, exec_lo, s4
	v_and_b32_e32 v82, 0x7f800000, v77
	s_delay_alu instid0(VALU_DEP_1) | instskip(SKIP_1) | instid1(SALU_CYCLE_1)
	v_cmp_ne_u32_e32 vcc_lo, 0x7f800000, v82
                                        ; implicit-def: $vgpr82
	s_and_saveexec_b32 s4, vcc_lo
	s_xor_b32 s4, exec_lo, s4
; %bb.61:
	v_bfe_u32 v82, v77, 16, 1
	s_delay_alu instid0(VALU_DEP_1)
	v_add3_u32 v82, v77, v82, 0x7fff
                                        ; implicit-def: $vgpr77
; %bb.62:
	s_and_not1_saveexec_b32 s4, s4
; %bb.63:
	v_and_b32_e32 v82, 0xffff, v77
	v_or_b32_e32 v83, 0x10000, v77
	s_delay_alu instid0(VALU_DEP_2) | instskip(NEXT) | instid1(VALU_DEP_2)
	v_cmp_eq_u32_e32 vcc_lo, 0, v82
	v_cndmask_b32_e32 v82, v83, v77, vcc_lo
; %bb.64:
	s_or_b32 exec_lo, exec_lo, s4
	v_and_b32_e32 v77, 0x7f800000, v78
	s_delay_alu instid0(VALU_DEP_1) | instskip(SKIP_1) | instid1(SALU_CYCLE_1)
	v_cmp_ne_u32_e32 vcc_lo, 0x7f800000, v77
                                        ; implicit-def: $vgpr77
	s_and_saveexec_b32 s4, vcc_lo
	s_xor_b32 s4, exec_lo, s4
; %bb.65:
	v_bfe_u32 v77, v78, 16, 1
	s_delay_alu instid0(VALU_DEP_1)
	v_add3_u32 v77, v78, v77, 0x7fff
                                        ; implicit-def: $vgpr78
; %bb.66:
	s_and_not1_saveexec_b32 s4, s4
; %bb.67:
	v_and_b32_e32 v77, 0xffff, v78
	v_or_b32_e32 v83, 0x10000, v78
	s_delay_alu instid0(VALU_DEP_2) | instskip(NEXT) | instid1(VALU_DEP_2)
	v_cmp_eq_u32_e32 vcc_lo, 0, v77
	v_cndmask_b32_e32 v77, v83, v78, vcc_lo
; %bb.68:
	s_or_b32 exec_lo, exec_lo, s4
	v_and_b32_e32 v78, 0x7f800000, v79
	s_delay_alu instid0(VALU_DEP_1) | instskip(SKIP_1) | instid1(SALU_CYCLE_1)
	v_cmp_ne_u32_e32 vcc_lo, 0x7f800000, v78
                                        ; implicit-def: $vgpr78
	s_and_saveexec_b32 s4, vcc_lo
	s_xor_b32 s4, exec_lo, s4
; %bb.69:
	v_bfe_u32 v78, v79, 16, 1
	s_delay_alu instid0(VALU_DEP_1)
	v_add3_u32 v78, v79, v78, 0x7fff
                                        ; implicit-def: $vgpr79
; %bb.70:
	s_and_not1_saveexec_b32 s4, s4
; %bb.71:
	v_and_b32_e32 v78, 0xffff, v79
	v_or_b32_e32 v83, 0x10000, v79
	s_delay_alu instid0(VALU_DEP_2) | instskip(NEXT) | instid1(VALU_DEP_2)
	v_cmp_eq_u32_e32 vcc_lo, 0, v78
	v_cndmask_b32_e32 v78, v83, v79, vcc_lo
; %bb.72:
	s_or_b32 exec_lo, exec_lo, s4
	v_and_b32_e32 v79, 0x7f800000, v70
	s_delay_alu instid0(VALU_DEP_1) | instskip(SKIP_1) | instid1(SALU_CYCLE_1)
	v_cmp_ne_u32_e32 vcc_lo, 0x7f800000, v79
                                        ; implicit-def: $vgpr79
	s_and_saveexec_b32 s4, vcc_lo
	s_xor_b32 s4, exec_lo, s4
; %bb.73:
	v_bfe_u32 v79, v70, 16, 1
	s_delay_alu instid0(VALU_DEP_1)
	v_add3_u32 v79, v70, v79, 0x7fff
                                        ; implicit-def: $vgpr70
; %bb.74:
	s_and_not1_saveexec_b32 s4, s4
; %bb.75:
	v_and_b32_e32 v79, 0xffff, v70
	v_or_b32_e32 v83, 0x10000, v70
	s_delay_alu instid0(VALU_DEP_2) | instskip(NEXT) | instid1(VALU_DEP_2)
	v_cmp_eq_u32_e32 vcc_lo, 0, v79
	v_cndmask_b32_e32 v79, v83, v70, vcc_lo
; %bb.76:
	s_or_b32 exec_lo, exec_lo, s4
	s_delay_alu instid0(VALU_DEP_1)
	v_perm_b32 v86, v79, v78, 0x7060302
	v_perm_b32 v85, v77, v82, 0x7060302
	;; [unrolled: 1-line block ×4, first 2 shown]
	v_lshl_or_b32 v82, v66, 11, v80
	ds_store_b128 v76, v[83:86] offset:1024
	s_waitcnt lgkmcnt(0)
	s_barrier
	buffer_gl0_inv
	ds_load_b128 v[69:72], v82
	ds_load_b128 v[83:86], v82 offset:16
	s_waitcnt lgkmcnt(1)
	v_lshrrev_b32_e32 v66, 16, v69
	s_waitcnt lgkmcnt(0)
	v_lshrrev_b32_e32 v91, 16, v83
	v_lshlrev_b32_e32 v78, 2, v74
	v_lshrrev_b32_e32 v95, 16, v70
	v_lshrrev_b32_e32 v98, 16, v84
	;; [unrolled: 1-line block ×4, first 2 shown]
	v_cmp_eq_u32_e32 vcc_lo, 1, v78
	v_lshrrev_b32_e32 v97, 16, v72
	v_lshrrev_b32_e32 v100, 16, v86
	v_cndmask_b32_e32 v87, v83, v91, vcc_lo
	v_or_b32_e32 v79, 1, v78
	v_cndmask_b32_e32 v81, v69, v66, vcc_lo
	v_cmp_eq_u32_e64 s5, 2, v78
	v_cmp_eq_u32_e64 s8, 3, v78
	;; [unrolled: 1-line block ×5, first 2 shown]
	v_cndmask_b32_e64 v81, v81, v70, s5
	v_cndmask_b32_e64 v87, v87, v84, s5
	v_cmp_eq_u32_e64 s9, 3, v79
	v_cndmask_b32_e64 v88, v69, v66, s4
	v_or_b32_e32 v77, 2, v78
	v_cndmask_b32_e64 v81, v81, v95, s8
	v_cndmask_b32_e64 v87, v87, v98, s8
	;; [unrolled: 1-line block ×4, first 2 shown]
	v_cmp_eq_u32_e64 s11, 5, v78
	v_cndmask_b32_e64 v81, v81, v71, s10
	v_cndmask_b32_e64 v87, v87, v85, s10
	v_cmp_eq_u32_e64 s12, 4, v79
	v_cndmask_b32_e64 v88, v88, v95, s9
	v_cmp_eq_u32_e64 s6, 1, v77
	v_cndmask_b32_e64 v89, v89, v84, s7
	v_cndmask_b32_e64 v81, v81, v96, s11
	v_cmp_eq_u32_e64 s13, 6, v78
	v_cndmask_b32_e64 v88, v88, v71, s12
	;; [unrolled: 3-line block ×3, first 2 shown]
	v_cndmask_b32_e64 v89, v89, v98, s9
	v_cndmask_b32_e64 v81, v81, v72, s13
	v_cmp_eq_u32_e64 s16, 7, v78
	v_cndmask_b32_e64 v88, v88, v96, s15
	v_cndmask_b32_e64 v87, v87, v86, s13
	v_cmp_eq_u32_e64 s17, 6, v79
	v_cmp_eq_u32_e64 s18, 2, v77
	v_cndmask_b32_e64 v89, v89, v85, s12
	v_cndmask_b32_e64 v101, v81, v97, s16
	;; [unrolled: 1-line block ×6, first 2 shown]
	v_cmp_eq_u32_e64 s19, 7, v79
	v_cmp_eq_u32_e64 s20, 3, v77
	;; [unrolled: 1-line block ×4, first 2 shown]
	v_cndmask_b32_e64 v87, v87, v84, s18
	v_cndmask_b32_e64 v103, v88, v97, s19
	;; [unrolled: 1-line block ×4, first 2 shown]
	v_or_b32_e32 v81, 3, v78
	v_cndmask_b32_e64 v93, v87, v98, s20
	v_cmp_eq_u32_e64 s25, 6, v77
	v_cndmask_b32_e64 v104, v88, v86, s17
	v_cndmask_b32_e64 v92, v89, v71, s21
	v_cmp_eq_u32_e64 s22, 1, v81
	ds_load_b128 v[87:90], v82 offset:1024
	v_cmp_eq_u32_e64 s24, 2, v81
	v_cmp_eq_u32_e64 s26, 3, v81
	v_cndmask_b32_e64 v105, v92, v96, s23
	v_cndmask_b32_e64 v66, v69, v66, s22
	v_cndmask_b32_e64 v69, v93, v85, s21
	v_cndmask_b32_e64 v83, v83, v91, s22
	ds_load_b128 v[91:94], v82 offset:1040
	v_cmp_eq_u32_e64 s27, 4, v81
	v_cndmask_b32_e64 v66, v66, v70, s24
	v_cmp_eq_u32_e64 s28, 7, v77
	v_cndmask_b32_e64 v70, v83, v84, s24
	v_cndmask_b32_e64 v84, v105, v72, s25
	v_cmp_eq_u32_e64 s29, 5, v81
	v_cndmask_b32_e64 v66, v66, v95, s26
	v_cmp_eq_u32_e64 s30, 6, v81
	v_cndmask_b32_e64 v70, v70, v98, s26
	v_cndmask_b32_e64 v69, v69, v99, s23
	;; [unrolled: 1-line block ×4, first 2 shown]
	s_waitcnt lgkmcnt(1)
	v_lshrrev_b32_e32 v95, 16, v87
	v_cndmask_b32_e64 v70, v70, v85, s27
	v_cndmask_b32_e64 v71, v84, v97, s28
	;; [unrolled: 1-line block ×4, first 2 shown]
	v_cndmask_b32_e32 v84, v87, v95, vcc_lo
	v_cndmask_b32_e64 v70, v70, v99, s29
	s_waitcnt lgkmcnt(0)
	v_lshrrev_b32_e32 v85, 16, v91
	v_lshrrev_b32_e32 v96, 16, v88
	v_cndmask_b32_e64 v98, v87, v95, s4
	v_cndmask_b32_e64 v84, v84, v88, s5
	;; [unrolled: 1-line block ×3, first 2 shown]
	v_cndmask_b32_e32 v99, v91, v85, vcc_lo
	v_cmp_eq_u32_e32 vcc_lo, 7, v81
	v_cndmask_b32_e64 v66, v66, v72, s30
	v_cndmask_b32_e64 v72, v84, v96, s8
	;; [unrolled: 1-line block ×3, first 2 shown]
	v_lshrrev_b32_e32 v98, 16, v92
	v_cndmask_b32_e32 v70, v70, v100, vcc_lo
	v_cndmask_b32_e64 v86, v99, v92, s5
	v_cndmask_b32_e64 v69, v69, v100, s28
	v_lshrrev_b32_e32 v100, 16, v93
	v_cndmask_b32_e64 v72, v72, v89, s10
	v_lshrrev_b32_e32 v99, 16, v89
	v_cndmask_b32_e64 v86, v86, v98, s8
	v_perm_b32 v71, v69, v71, 0x5040100
	v_cndmask_b32_e64 v84, v84, v96, s9
	s_delay_alu instid0(VALU_DEP_3) | instskip(NEXT) | instid1(VALU_DEP_2)
	v_cndmask_b32_e64 v86, v86, v93, s10
	v_cndmask_b32_e64 v84, v84, v89, s12
	s_delay_alu instid0(VALU_DEP_2) | instskip(NEXT) | instid1(VALU_DEP_1)
	v_cndmask_b32_e64 v86, v86, v100, s11
	v_cndmask_b32_e64 v69, v86, v94, s13
	;; [unrolled: 1-line block ×5, first 2 shown]
	s_delay_alu instid0(VALU_DEP_3) | instskip(NEXT) | instid1(VALU_DEP_3)
	v_cndmask_b32_e64 v86, v86, v88, s18
	v_cndmask_b32_e64 v87, v87, v88, s24
	s_delay_alu instid0(VALU_DEP_3) | instskip(NEXT) | instid1(VALU_DEP_3)
	v_cndmask_b32_e64 v88, v95, v92, s24
	v_cndmask_b32_e64 v86, v86, v96, s20
	;; [unrolled: 3-line block ×7, first 2 shown]
	s_delay_alu instid0(VALU_DEP_3) | instskip(SKIP_2) | instid1(VALU_DEP_2)
	v_cndmask_b32_e64 v88, v88, v94, s30
	v_cndmask_b32_e32 v66, v66, v97, vcc_lo
	v_cndmask_b32_e64 v97, v72, v99, s11
	v_perm_b32 v72, v70, v66, 0x5040100
	v_perm_b32 v70, v83, v103, 0x5040100
	v_cndmask_b32_e64 v103, v91, v85, s6
	v_cndmask_b32_e64 v85, v91, v85, s4
	;; [unrolled: 1-line block ×4, first 2 shown]
	v_lshrrev_b32_e32 v97, 16, v90
	v_cndmask_b32_e64 v91, v103, v92, s18
	v_cndmask_b32_e64 v85, v85, v92, s7
	v_cndmask_b32_e64 v66, v66, v90, s17
	s_mov_b32 s4, exec_lo
	v_cndmask_b32_e64 v83, v84, v97, s16
	v_cndmask_b32_e64 v91, v91, v98, s20
	;; [unrolled: 1-line block ×3, first 2 shown]
	v_lshrrev_b32_e32 v84, 16, v94
	v_cndmask_b32_e64 v66, v66, v97, s19
	v_cndmask_b32_e64 v90, v86, v97, s28
	;; [unrolled: 1-line block ×4, first 2 shown]
	v_dual_cndmask_b32 v86, v87, v97 :: v_dual_cndmask_b32 v87, v88, v84
	v_cndmask_b32_e64 v91, v69, v84, s16
	s_delay_alu instid0(VALU_DEP_4) | instskip(NEXT) | instid1(VALU_DEP_4)
	v_cndmask_b32_e64 v89, v89, v100, s23
	v_cndmask_b32_e64 v85, v85, v100, s15
	v_perm_b32 v69, v102, v101, 0x5040100
	v_perm_b32 v86, v87, v86, 0x5040100
	;; [unrolled: 1-line block ×3, first 2 shown]
	v_cndmask_b32_e64 v89, v89, v94, s25
	v_cndmask_b32_e64 v85, v85, v94, s17
	s_mul_i32 s9, s37, 13
	s_delay_alu instid0(VALU_DEP_2) | instskip(NEXT) | instid1(VALU_DEP_2)
	v_cndmask_b32_e64 v88, v89, v84, s28
	v_cndmask_b32_e64 v89, v85, v84, s19
	s_delay_alu instid0(VALU_DEP_2) | instskip(NEXT) | instid1(VALU_DEP_2)
	v_perm_b32 v85, v88, v90, 0x5040100
	v_perm_b32 v84, v89, v66, 0x5040100
	ds_store_b128 v76, v[69:72]
	ds_store_b128 v76, v[83:86] offset:1024
	v_cmpx_gt_u32_e32 13, v0
	s_cbranch_execz .LBB1786_78
; %bb.77:
	s_mul_i32 s5, s9, s34
	s_load_b128 s[16:19], s[0:1], 0x58
	v_add3_u32 v69, s5, s31, v65
	s_delay_alu instid0(VALU_DEP_1) | instskip(NEXT) | instid1(VALU_DEP_1)
	v_mad_u64_u32 v[65:66], null, v69, s36, s[14:15]
	v_ashrrev_i32_e32 v66, 31, v65
	s_delay_alu instid0(VALU_DEP_1) | instskip(SKIP_1) | instid1(VALU_DEP_1)
	v_lshlrev_b64 v[65:66], 2, v[65:66]
	s_waitcnt lgkmcnt(0)
	v_add_co_u32 v69, vcc_lo, s18, v65
	s_delay_alu instid0(VALU_DEP_2)
	v_add_co_ci_u32_e32 v70, vcc_lo, s19, v66, vcc_lo
	v_add_co_u32 v65, vcc_lo, s16, v65
	v_add_co_ci_u32_e32 v66, vcc_lo, s17, v66, vcc_lo
	global_store_b32 v[69:70], v67, off
	global_store_b32 v[65:66], v68, off
.LBB1786_78:
	s_or_b32 exec_lo, exec_lo, s4
	s_waitcnt lgkmcnt(0)
	s_waitcnt_vscnt null, 0x0
	s_barrier
	buffer_gl0_inv
	ds_load_b128 v[83:86], v80
	ds_load_b128 v[87:90], v80 offset:16
	ds_load_b128 v[95:98], v80 offset:2064
	;; [unrolled: 1-line block ×3, first 2 shown]
	v_mov_b32_e32 v65, 0
	ds_load_b128 v[103:106], v80 offset:4112
	ds_load_b128 v[99:102], v80 offset:4096
	;; [unrolled: 1-line block ×4, first 2 shown]
	v_mov_b32_e32 v66, v65
	v_mov_b32_e32 v67, v65
	v_mov_b32_e32 v68, v65
	v_mov_b32_e32 v69, v65
	v_mov_b32_e32 v70, v65
	v_mov_b32_e32 v71, v65
	v_mov_b32_e32 v72, v65
	s_waitcnt lgkmcnt(6)
	s_delay_alu instid0(VALU_DEP_1)
	v_wmma_f32_16x16x16_bf16 v[65:72], v[57:64], v[83:90], v[65:72]
	ds_load_b128 v[61:64], v80 offset:8208
	ds_load_b128 v[57:60], v80 offset:8192
	s_waitcnt lgkmcnt(6)
	v_wmma_f32_16x16x16_bf16 v[65:72], v[41:48], v[91:98], v[65:72]
	ds_load_b128 v[45:48], v80 offset:10256
	ds_load_b128 v[41:44], v80 offset:10240
	s_waitcnt lgkmcnt(6)
	;; [unrolled: 4-line block ×4, first 2 shown]
	v_wmma_f32_16x16x16_bf16 v[65:72], v[1:8], v[57:64], v[65:72]
	s_waitcnt lgkmcnt(4)
	s_delay_alu instid0(VALU_DEP_1) | instskip(SKIP_1) | instid1(VALU_DEP_1)
	v_wmma_f32_16x16x16_bf16 v[65:72], v[9:16], v[41:48], v[65:72]
	s_waitcnt lgkmcnt(2)
	v_wmma_f32_16x16x16_bf16 v[65:72], v[17:24], v[33:40], v[65:72]
	s_waitcnt lgkmcnt(0)
	s_delay_alu instid0(VALU_DEP_1) | instskip(NEXT) | instid1(VALU_DEP_1)
	v_wmma_f32_16x16x16_bf16 v[65:72], v[49:56], v[25:32], v[65:72]
	v_and_b32_e32 v1, 0x7f800000, v65
	s_delay_alu instid0(VALU_DEP_1) | instskip(SKIP_1) | instid1(SALU_CYCLE_1)
	v_cmp_ne_u32_e32 vcc_lo, 0x7f800000, v1
                                        ; implicit-def: $vgpr1
	s_and_saveexec_b32 s4, vcc_lo
	s_xor_b32 s4, exec_lo, s4
; %bb.79:
	v_bfe_u32 v1, v65, 16, 1
	s_delay_alu instid0(VALU_DEP_1)
	v_add3_u32 v1, v65, v1, 0x7fff
; %bb.80:
	s_and_not1_saveexec_b32 s4, s4
; %bb.81:
	v_and_b32_e32 v1, 0xffff, v65
	v_or_b32_e32 v2, 0x10000, v65
	s_delay_alu instid0(VALU_DEP_2) | instskip(NEXT) | instid1(VALU_DEP_2)
	v_cmp_eq_u32_e32 vcc_lo, 0, v1
	v_cndmask_b32_e32 v1, v2, v65, vcc_lo
; %bb.82:
	s_or_b32 exec_lo, exec_lo, s4
	v_and_b32_e32 v2, 0x7f800000, v66
	s_delay_alu instid0(VALU_DEP_1) | instskip(SKIP_1) | instid1(SALU_CYCLE_1)
	v_cmp_ne_u32_e32 vcc_lo, 0x7f800000, v2
                                        ; implicit-def: $vgpr2
	s_and_saveexec_b32 s4, vcc_lo
	s_xor_b32 s4, exec_lo, s4
; %bb.83:
	v_bfe_u32 v2, v66, 16, 1
	s_delay_alu instid0(VALU_DEP_1)
	v_add3_u32 v2, v66, v2, 0x7fff
; %bb.84:
	s_and_not1_saveexec_b32 s4, s4
; %bb.85:
	v_and_b32_e32 v2, 0xffff, v66
	v_or_b32_e32 v3, 0x10000, v66
	s_delay_alu instid0(VALU_DEP_2) | instskip(NEXT) | instid1(VALU_DEP_2)
	v_cmp_eq_u32_e32 vcc_lo, 0, v2
	v_cndmask_b32_e32 v2, v3, v66, vcc_lo
; %bb.86:
	s_or_b32 exec_lo, exec_lo, s4
	v_and_b32_e32 v3, 0x7f800000, v67
	s_delay_alu instid0(VALU_DEP_1) | instskip(SKIP_1) | instid1(SALU_CYCLE_1)
	v_cmp_ne_u32_e32 vcc_lo, 0x7f800000, v3
                                        ; implicit-def: $vgpr3
	s_and_saveexec_b32 s4, vcc_lo
	s_xor_b32 s4, exec_lo, s4
; %bb.87:
	v_bfe_u32 v3, v67, 16, 1
	s_delay_alu instid0(VALU_DEP_1)
	v_add3_u32 v3, v67, v3, 0x7fff
; %bb.88:
	s_and_not1_saveexec_b32 s4, s4
; %bb.89:
	v_and_b32_e32 v3, 0xffff, v67
	v_or_b32_e32 v4, 0x10000, v67
	s_delay_alu instid0(VALU_DEP_2) | instskip(NEXT) | instid1(VALU_DEP_2)
	v_cmp_eq_u32_e32 vcc_lo, 0, v3
	v_cndmask_b32_e32 v3, v4, v67, vcc_lo
; %bb.90:
	s_or_b32 exec_lo, exec_lo, s4
	v_and_b32_e32 v4, 0x7f800000, v68
	s_delay_alu instid0(VALU_DEP_1) | instskip(SKIP_1) | instid1(SALU_CYCLE_1)
	v_cmp_ne_u32_e32 vcc_lo, 0x7f800000, v4
                                        ; implicit-def: $vgpr4
	s_and_saveexec_b32 s4, vcc_lo
	s_xor_b32 s4, exec_lo, s4
; %bb.91:
	v_bfe_u32 v4, v68, 16, 1
	s_delay_alu instid0(VALU_DEP_1)
	v_add3_u32 v4, v68, v4, 0x7fff
; %bb.92:
	s_and_not1_saveexec_b32 s4, s4
; %bb.93:
	v_and_b32_e32 v4, 0xffff, v68
	v_or_b32_e32 v5, 0x10000, v68
	s_delay_alu instid0(VALU_DEP_2) | instskip(NEXT) | instid1(VALU_DEP_2)
	v_cmp_eq_u32_e32 vcc_lo, 0, v4
	v_cndmask_b32_e32 v4, v5, v68, vcc_lo
; %bb.94:
	s_or_b32 exec_lo, exec_lo, s4
	v_and_b32_e32 v5, 0x7f800000, v69
	s_delay_alu instid0(VALU_DEP_1) | instskip(SKIP_1) | instid1(SALU_CYCLE_1)
	v_cmp_ne_u32_e32 vcc_lo, 0x7f800000, v5
                                        ; implicit-def: $vgpr5
	s_and_saveexec_b32 s4, vcc_lo
	s_xor_b32 s4, exec_lo, s4
; %bb.95:
	v_bfe_u32 v5, v69, 16, 1
	s_delay_alu instid0(VALU_DEP_1)
	v_add3_u32 v5, v69, v5, 0x7fff
; %bb.96:
	s_and_not1_saveexec_b32 s4, s4
; %bb.97:
	v_and_b32_e32 v5, 0xffff, v69
	v_or_b32_e32 v6, 0x10000, v69
	s_delay_alu instid0(VALU_DEP_2) | instskip(NEXT) | instid1(VALU_DEP_2)
	v_cmp_eq_u32_e32 vcc_lo, 0, v5
	v_cndmask_b32_e32 v5, v6, v69, vcc_lo
; %bb.98:
	s_or_b32 exec_lo, exec_lo, s4
	v_and_b32_e32 v6, 0x7f800000, v70
	s_delay_alu instid0(VALU_DEP_1) | instskip(SKIP_1) | instid1(SALU_CYCLE_1)
	v_cmp_ne_u32_e32 vcc_lo, 0x7f800000, v6
                                        ; implicit-def: $vgpr6
	s_and_saveexec_b32 s4, vcc_lo
	s_xor_b32 s4, exec_lo, s4
; %bb.99:
	v_bfe_u32 v6, v70, 16, 1
	s_delay_alu instid0(VALU_DEP_1)
	v_add3_u32 v6, v70, v6, 0x7fff
; %bb.100:
	s_and_not1_saveexec_b32 s4, s4
; %bb.101:
	v_and_b32_e32 v6, 0xffff, v70
	v_or_b32_e32 v7, 0x10000, v70
	s_delay_alu instid0(VALU_DEP_2) | instskip(NEXT) | instid1(VALU_DEP_2)
	v_cmp_eq_u32_e32 vcc_lo, 0, v6
	v_cndmask_b32_e32 v6, v7, v70, vcc_lo
; %bb.102:
	s_or_b32 exec_lo, exec_lo, s4
	v_and_b32_e32 v7, 0x7f800000, v71
	s_delay_alu instid0(VALU_DEP_1) | instskip(SKIP_1) | instid1(SALU_CYCLE_1)
	v_cmp_ne_u32_e32 vcc_lo, 0x7f800000, v7
                                        ; implicit-def: $vgpr7
	s_and_saveexec_b32 s4, vcc_lo
	s_xor_b32 s4, exec_lo, s4
; %bb.103:
	v_bfe_u32 v7, v71, 16, 1
	s_delay_alu instid0(VALU_DEP_1)
	v_add3_u32 v7, v71, v7, 0x7fff
; %bb.104:
	s_and_not1_saveexec_b32 s4, s4
; %bb.105:
	v_and_b32_e32 v7, 0xffff, v71
	v_or_b32_e32 v8, 0x10000, v71
	s_delay_alu instid0(VALU_DEP_2) | instskip(NEXT) | instid1(VALU_DEP_2)
	v_cmp_eq_u32_e32 vcc_lo, 0, v7
	v_cndmask_b32_e32 v7, v8, v71, vcc_lo
; %bb.106:
	s_or_b32 exec_lo, exec_lo, s4
	v_and_b32_e32 v8, 0x7f800000, v72
	s_delay_alu instid0(VALU_DEP_1) | instskip(SKIP_1) | instid1(SALU_CYCLE_1)
	v_cmp_ne_u32_e32 vcc_lo, 0x7f800000, v8
                                        ; implicit-def: $vgpr8
	s_and_saveexec_b32 s4, vcc_lo
	s_xor_b32 s4, exec_lo, s4
; %bb.107:
	v_bfe_u32 v8, v72, 16, 1
	s_delay_alu instid0(VALU_DEP_1)
	v_add3_u32 v8, v72, v8, 0x7fff
                                        ; implicit-def: $vgpr65_vgpr66_vgpr67_vgpr68_vgpr69_vgpr70_vgpr71_vgpr72
; %bb.108:
	s_and_not1_saveexec_b32 s4, s4
; %bb.109:
	v_and_b32_e32 v8, 0xffff, v72
	v_or_b32_e32 v9, 0x10000, v72
	s_delay_alu instid0(VALU_DEP_2) | instskip(NEXT) | instid1(VALU_DEP_2)
	v_cmp_eq_u32_e32 vcc_lo, 0, v8
	v_cndmask_b32_e32 v8, v9, v72, vcc_lo
; %bb.110:
	s_or_b32 exec_lo, exec_lo, s4
	s_delay_alu instid0(VALU_DEP_1)
	v_perm_b32 v7, v8, v7, 0x7060302
	v_perm_b32 v6, v6, v5, 0x7060302
	;; [unrolled: 1-line block ×4, first 2 shown]
	s_barrier
	buffer_gl0_inv
	v_cmp_eq_u32_e32 vcc_lo, 1, v78
	ds_store_b128 v76, v[4:7]
	s_waitcnt lgkmcnt(0)
	s_barrier
	buffer_gl0_inv
	ds_load_b128 v[1:4], v82
	ds_load_b128 v[5:8], v82 offset:16
	v_cmp_eq_u32_e64 s4, 1, v79
	v_cmp_eq_u32_e64 s5, 2, v78
	;; [unrolled: 1-line block ×5, first 2 shown]
	s_waitcnt lgkmcnt(1)
	v_lshrrev_b32_e32 v9, 16, v1
	s_waitcnt lgkmcnt(0)
	v_lshrrev_b32_e32 v13, 16, v5
	v_lshrrev_b32_e32 v10, 16, v2
	v_lshrrev_b32_e32 v14, 16, v6
	v_lshrrev_b32_e32 v11, 16, v3
	v_cndmask_b32_e64 v19, v1, v9, s4
	v_cndmask_b32_e32 v18, v5, v13, vcc_lo
	v_cndmask_b32_e64 v20, v5, v13, s4
	v_cndmask_b32_e32 v17, v1, v9, vcc_lo
	v_cmp_eq_u32_e32 vcc_lo, 2, v79
	v_lshrrev_b32_e32 v15, 16, v7
	v_cmp_eq_u32_e64 s4, 1, v77
	v_lshrrev_b32_e32 v12, 16, v4
	v_lshrrev_b32_e32 v16, 16, v8
	v_cndmask_b32_e32 v20, v20, v6, vcc_lo
	v_cndmask_b32_e64 v17, v17, v2, s5
	v_cndmask_b32_e32 v19, v19, v2, vcc_lo
	v_cndmask_b32_e64 v18, v18, v6, s5
	v_cmp_eq_u32_e32 vcc_lo, 4, v78
	v_cmp_eq_u32_e64 s5, 3, v79
	v_cndmask_b32_e64 v17, v17, v10, s6
	v_cndmask_b32_e64 v21, v1, v9, s4
	;; [unrolled: 1-line block ×5, first 2 shown]
	v_cndmask_b32_e32 v17, v17, v3, vcc_lo
	v_cndmask_b32_e64 v20, v20, v14, s5
	v_cndmask_b32_e32 v18, v18, v7, vcc_lo
	v_cmp_eq_u32_e32 vcc_lo, 4, v79
	v_cmp_eq_u32_e64 s5, 5, v79
	v_cmp_eq_u32_e64 s4, 2, v81
	v_cndmask_b32_e64 v21, v21, v2, s8
	v_cmp_eq_u32_e64 s6, 5, v78
	v_cndmask_b32_e32 v19, v19, v3, vcc_lo
	v_cndmask_b32_e32 v20, v20, v7, vcc_lo
	v_cmp_eq_u32_e32 vcc_lo, 6, v79
	s_delay_alu instid0(VALU_DEP_4) | instskip(NEXT) | instid1(VALU_DEP_4)
	v_cndmask_b32_e64 v17, v17, v11, s6
	v_cndmask_b32_e64 v19, v19, v11, s5
	s_delay_alu instid0(VALU_DEP_4) | instskip(SKIP_1) | instid1(VALU_DEP_3)
	v_cndmask_b32_e64 v20, v20, v15, s5
	v_cmp_eq_u32_e64 s5, 1, v81
	v_cndmask_b32_e32 v19, v19, v4, vcc_lo
	v_cndmask_b32_e64 v18, v18, v15, s6
	s_delay_alu instid0(VALU_DEP_3)
	v_cndmask_b32_e64 v1, v1, v9, s5
	v_cndmask_b32_e64 v5, v5, v13, s5
	v_cmp_eq_u32_e64 s5, 3, v77
	v_cndmask_b32_e64 v13, v22, v6, s8
	v_cmp_eq_u32_e64 s8, 3, v81
	v_cndmask_b32_e64 v1, v1, v2, s4
	v_cndmask_b32_e64 v2, v5, v6, s4
	v_cndmask_b32_e64 v9, v21, v10, s5
	v_cmp_eq_u32_e64 s4, 4, v77
	v_cndmask_b32_e64 v6, v13, v14, s5
	v_cndmask_b32_e64 v1, v1, v10, s8
	v_cmp_eq_u32_e64 s5, 4, v81
	v_cndmask_b32_e64 v2, v2, v14, s8
	v_cndmask_b32_e64 v5, v9, v3, s4
	;; [unrolled: 3-line block ×3, first 2 shown]
	v_cndmask_b32_e64 v2, v2, v7, s5
	v_cmp_eq_u32_e64 s4, 5, v81
	v_cmp_eq_u32_e64 s6, 6, v78
	v_cndmask_b32_e64 v5, v5, v11, s8
	v_cmp_eq_u32_e64 s5, 6, v77
	v_cndmask_b32_e64 v3, v6, v15, s8
	v_cndmask_b32_e64 v1, v1, v11, s4
	v_cmp_eq_u32_e64 s8, 6, v81
	v_cndmask_b32_e64 v2, v2, v15, s4
	v_cndmask_b32_e64 v17, v17, v4, s6
	v_cndmask_b32_e64 v18, v18, v8, s6
	v_cmp_eq_u32_e64 s6, 7, v78
	v_cndmask_b32_e64 v5, v5, v4, s5
	;; [unrolled: 4-line block ×3, first 2 shown]
	v_cmp_eq_u32_e64 s5, 7, v77
	v_cndmask_b32_e32 v4, v20, v8, vcc_lo
	v_cndmask_b32_e64 v17, v17, v12, s6
	v_cndmask_b32_e64 v19, v19, v12, s7
	;; [unrolled: 1-line block ×8, first 2 shown]
	v_cmp_gt_u32_e32 vcc_lo, 32, v0
	v_perm_b32 v4, v2, v1, 0x5040100
	v_perm_b32 v3, v3, v5, 0x5040100
	v_perm_b32 v2, v6, v19, 0x5040100
	v_perm_b32 v1, v7, v17, 0x5040100
	s_and_b32 s2, vcc_lo, s2
	ds_store_b128 v76, v[1:4]
	s_waitcnt lgkmcnt(0)
	s_barrier
	buffer_gl0_inv
	s_and_saveexec_b32 s4, s2
	s_cbranch_execz .LBB1786_2
; %bb.111:
	s_load_b64 s[4:5], s[0:1], 0x68
	v_lshlrev_b32_e32 v0, 10, v0
	v_lshlrev_b32_e32 v1, 4, v75
	s_lshl_b32 s0, s36, 6
	v_add_nc_u32_e32 v18, s31, v74
	s_mul_i32 s1, s0, s34
	s_delay_alu instid0(VALU_DEP_2) | instskip(SKIP_1) | instid1(VALU_DEP_2)
	v_and_or_b32 v0, 0x3800, v0, v1
	s_mul_i32 s6, s1, s9
	v_mul_lo_u32 v1, v18, s0
	s_ashr_i32 s7, s6, 31
	v_add_nc_u32_e32 v2, 2, v18
	v_lshl_or_b32 v19, v74, 6, v0
	s_lshl_b64 s[6:7], s[6:7], 1
	v_add_nc_u32_e32 v8, 4, v18
	v_add_nc_u32_e32 v15, 6, v18
	v_mul_lo_u32 v7, v2, s0
	ds_load_b128 v[3:6], v19
	v_ashrrev_i32_e32 v2, 31, v1
	v_mul_lo_u32 v11, v8, s0
	s_waitcnt lgkmcnt(0)
	s_add_u32 s1, s4, s6
	s_addc_u32 s2, s5, s7
	s_lshl_b32 s4, s14, 6
	v_lshlrev_b64 v[9:10], 1, v[1:2]
	s_ashr_i32 s5, s4, 31
	v_ashrrev_i32_e32 v8, 31, v7
	s_lshl_b64 s[4:5], s[4:5], 1
	v_ashrrev_i32_e32 v12, 31, v11
	s_add_u32 s1, s1, s4
	s_addc_u32 s2, s2, s5
	v_add_co_u32 v1, s1, s1, v73
	s_delay_alu instid0(VALU_DEP_1) | instskip(SKIP_1) | instid1(VALU_DEP_3)
	v_add_co_ci_u32_e64 v2, null, s2, 0, s1
	v_mul_lo_u32 v15, v15, s0
	v_add_co_u32 v13, vcc_lo, v1, v9
	s_delay_alu instid0(VALU_DEP_3)
	v_add_co_ci_u32_e32 v14, vcc_lo, v2, v10, vcc_lo
	v_lshlrev_b64 v[16:17], 1, v[7:8]
	ds_load_b128 v[7:10], v19 offset:128
	global_store_b128 v[13:14], v[3:6], off
	v_add_nc_u32_e32 v5, 8, v18
	v_lshlrev_b64 v[3:4], 1, v[11:12]
	v_add_co_u32 v23, vcc_lo, v1, v16
	v_ashrrev_i32_e32 v16, 31, v15
	s_delay_alu instid0(VALU_DEP_4) | instskip(SKIP_3) | instid1(VALU_DEP_3)
	v_mul_lo_u32 v25, v5, s0
	v_add_nc_u32_e32 v5, 10, v18
	v_add_co_ci_u32_e32 v24, vcc_lo, v2, v17, vcc_lo
	v_add_co_u32 v27, vcc_lo, v1, v3
	v_mul_lo_u32 v29, v5, s0
	v_add_co_ci_u32_e32 v28, vcc_lo, v2, v4, vcc_lo
	v_lshlrev_b64 v[31:32], 1, v[15:16]
	ds_load_b128 v[3:6], v19 offset:256
	ds_load_b128 v[11:14], v19 offset:384
	;; [unrolled: 1-line block ×4, first 2 shown]
	v_ashrrev_i32_e32 v26, 31, v25
	v_ashrrev_i32_e32 v30, 31, v29
	v_add_co_u32 v31, vcc_lo, v1, v31
	s_delay_alu instid0(VALU_DEP_3) | instskip(SKIP_1) | instid1(VALU_DEP_4)
	v_lshlrev_b64 v[25:26], 1, v[25:26]
	v_add_co_ci_u32_e32 v32, vcc_lo, v2, v32, vcc_lo
	v_lshlrev_b64 v[29:30], 1, v[29:30]
	s_delay_alu instid0(VALU_DEP_3) | instskip(NEXT) | instid1(VALU_DEP_4)
	v_add_co_u32 v25, vcc_lo, v1, v25
	v_add_co_ci_u32_e32 v26, vcc_lo, v2, v26, vcc_lo
	s_delay_alu instid0(VALU_DEP_3) | instskip(NEXT) | instid1(VALU_DEP_4)
	v_add_co_u32 v29, vcc_lo, v1, v29
	v_add_co_ci_u32_e32 v30, vcc_lo, v2, v30, vcc_lo
	s_waitcnt lgkmcnt(4)
	global_store_b128 v[23:24], v[7:10], off
	s_waitcnt lgkmcnt(3)
	global_store_b128 v[27:28], v[3:6], off
	;; [unrolled: 2-line block ×5, first 2 shown]
	s_and_b32 exec_lo, exec_lo, s3
	s_cbranch_execz .LBB1786_2
; %bb.112:
	ds_load_b128 v[3:6], v0 offset:768
	s_add_i32 s1, s31, 12
	s_delay_alu instid0(SALU_CYCLE_1) | instskip(NEXT) | instid1(SALU_CYCLE_1)
	s_mul_i32 s0, s1, s0
	s_ashr_i32 s1, s0, 31
	s_delay_alu instid0(SALU_CYCLE_1) | instskip(NEXT) | instid1(SALU_CYCLE_1)
	s_lshl_b64 s[0:1], s[0:1], 1
	v_add_co_u32 v0, vcc_lo, v1, s0
	v_add_co_ci_u32_e32 v1, vcc_lo, s1, v2, vcc_lo
	s_waitcnt lgkmcnt(0)
	global_store_b128 v[0:1], v[3:6], off
	s_nop 0
	s_sendmsg sendmsg(MSG_DEALLOC_VGPRS)
	s_endpgm
	.section	.rodata,"a",@progbits
	.p2align	6, 0x0
	.amdhsa_kernel _Z39paged_attention_ll4mi_QKV_mfma16_kernelI14__hip_bfloat16hLN4vllm18Fp8KVCacheDataTypeE1ES0_Li32ELi64ELi256ELb0ELi13EL8MFMAType0EEvPKT_PKT0_S9_ifPKiSB_SB_iPKfiiiPfSE_PS4_PT2_iSD_SD_
		.amdhsa_group_segment_fixed_size 17472
		.amdhsa_private_segment_fixed_size 0
		.amdhsa_kernarg_size 400
		.amdhsa_user_sgpr_count 13
		.amdhsa_user_sgpr_dispatch_ptr 0
		.amdhsa_user_sgpr_queue_ptr 0
		.amdhsa_user_sgpr_kernarg_segment_ptr 1
		.amdhsa_user_sgpr_dispatch_id 0
		.amdhsa_user_sgpr_private_segment_size 0
		.amdhsa_wavefront_size32 1
		.amdhsa_uses_dynamic_stack 0
		.amdhsa_enable_private_segment 0
		.amdhsa_system_sgpr_workgroup_id_x 1
		.amdhsa_system_sgpr_workgroup_id_y 1
		.amdhsa_system_sgpr_workgroup_id_z 1
		.amdhsa_system_sgpr_workgroup_info 0
		.amdhsa_system_vgpr_workitem_id 0
		.amdhsa_next_free_vgpr 124
		.amdhsa_next_free_sgpr 42
		.amdhsa_reserve_vcc 1
		.amdhsa_float_round_mode_32 0
		.amdhsa_float_round_mode_16_64 0
		.amdhsa_float_denorm_mode_32 3
		.amdhsa_float_denorm_mode_16_64 3
		.amdhsa_dx10_clamp 1
		.amdhsa_ieee_mode 1
		.amdhsa_fp16_overflow 0
		.amdhsa_workgroup_processor_mode 1
		.amdhsa_memory_ordered 1
		.amdhsa_forward_progress 0
		.amdhsa_shared_vgpr_count 0
		.amdhsa_exception_fp_ieee_invalid_op 0
		.amdhsa_exception_fp_denorm_src 0
		.amdhsa_exception_fp_ieee_div_zero 0
		.amdhsa_exception_fp_ieee_overflow 0
		.amdhsa_exception_fp_ieee_underflow 0
		.amdhsa_exception_fp_ieee_inexact 0
		.amdhsa_exception_int_div_zero 0
	.end_amdhsa_kernel
	.section	.text._Z39paged_attention_ll4mi_QKV_mfma16_kernelI14__hip_bfloat16hLN4vllm18Fp8KVCacheDataTypeE1ES0_Li32ELi64ELi256ELb0ELi13EL8MFMAType0EEvPKT_PKT0_S9_ifPKiSB_SB_iPKfiiiPfSE_PS4_PT2_iSD_SD_,"axG",@progbits,_Z39paged_attention_ll4mi_QKV_mfma16_kernelI14__hip_bfloat16hLN4vllm18Fp8KVCacheDataTypeE1ES0_Li32ELi64ELi256ELb0ELi13EL8MFMAType0EEvPKT_PKT0_S9_ifPKiSB_SB_iPKfiiiPfSE_PS4_PT2_iSD_SD_,comdat
.Lfunc_end1786:
	.size	_Z39paged_attention_ll4mi_QKV_mfma16_kernelI14__hip_bfloat16hLN4vllm18Fp8KVCacheDataTypeE1ES0_Li32ELi64ELi256ELb0ELi13EL8MFMAType0EEvPKT_PKT0_S9_ifPKiSB_SB_iPKfiiiPfSE_PS4_PT2_iSD_SD_, .Lfunc_end1786-_Z39paged_attention_ll4mi_QKV_mfma16_kernelI14__hip_bfloat16hLN4vllm18Fp8KVCacheDataTypeE1ES0_Li32ELi64ELi256ELb0ELi13EL8MFMAType0EEvPKT_PKT0_S9_ifPKiSB_SB_iPKfiiiPfSE_PS4_PT2_iSD_SD_
                                        ; -- End function
	.section	.AMDGPU.csdata,"",@progbits
; Kernel info:
; codeLenInByte = 8972
; NumSgprs: 44
; NumVgprs: 124
; ScratchSize: 0
; MemoryBound: 0
; FloatMode: 240
; IeeeMode: 1
; LDSByteSize: 17472 bytes/workgroup (compile time only)
; SGPRBlocks: 5
; VGPRBlocks: 15
; NumSGPRsForWavesPerEU: 44
; NumVGPRsForWavesPerEU: 124
; Occupancy: 10
; WaveLimiterHint : 1
; COMPUTE_PGM_RSRC2:SCRATCH_EN: 0
; COMPUTE_PGM_RSRC2:USER_SGPR: 13
; COMPUTE_PGM_RSRC2:TRAP_HANDLER: 0
; COMPUTE_PGM_RSRC2:TGID_X_EN: 1
; COMPUTE_PGM_RSRC2:TGID_Y_EN: 1
; COMPUTE_PGM_RSRC2:TGID_Z_EN: 1
; COMPUTE_PGM_RSRC2:TIDIG_COMP_CNT: 0
	.section	.text._Z39paged_attention_ll4mi_QKV_mfma16_kernelI14__hip_bfloat16hLN4vllm18Fp8KVCacheDataTypeE1ES0_Li32ELi64ELi256ELb0ELi14EL8MFMAType0EEvPKT_PKT0_S9_ifPKiSB_SB_iPKfiiiPfSE_PS4_PT2_iSD_SD_,"axG",@progbits,_Z39paged_attention_ll4mi_QKV_mfma16_kernelI14__hip_bfloat16hLN4vllm18Fp8KVCacheDataTypeE1ES0_Li32ELi64ELi256ELb0ELi14EL8MFMAType0EEvPKT_PKT0_S9_ifPKiSB_SB_iPKfiiiPfSE_PS4_PT2_iSD_SD_,comdat
	.protected	_Z39paged_attention_ll4mi_QKV_mfma16_kernelI14__hip_bfloat16hLN4vllm18Fp8KVCacheDataTypeE1ES0_Li32ELi64ELi256ELb0ELi14EL8MFMAType0EEvPKT_PKT0_S9_ifPKiSB_SB_iPKfiiiPfSE_PS4_PT2_iSD_SD_ ; -- Begin function _Z39paged_attention_ll4mi_QKV_mfma16_kernelI14__hip_bfloat16hLN4vllm18Fp8KVCacheDataTypeE1ES0_Li32ELi64ELi256ELb0ELi14EL8MFMAType0EEvPKT_PKT0_S9_ifPKiSB_SB_iPKfiiiPfSE_PS4_PT2_iSD_SD_
	.globl	_Z39paged_attention_ll4mi_QKV_mfma16_kernelI14__hip_bfloat16hLN4vllm18Fp8KVCacheDataTypeE1ES0_Li32ELi64ELi256ELb0ELi14EL8MFMAType0EEvPKT_PKT0_S9_ifPKiSB_SB_iPKfiiiPfSE_PS4_PT2_iSD_SD_
	.p2align	8
	.type	_Z39paged_attention_ll4mi_QKV_mfma16_kernelI14__hip_bfloat16hLN4vllm18Fp8KVCacheDataTypeE1ES0_Li32ELi64ELi256ELb0ELi14EL8MFMAType0EEvPKT_PKT0_S9_ifPKiSB_SB_iPKfiiiPfSE_PS4_PT2_iSD_SD_,@function
_Z39paged_attention_ll4mi_QKV_mfma16_kernelI14__hip_bfloat16hLN4vllm18Fp8KVCacheDataTypeE1ES0_Li32ELi64ELi256ELb0ELi14EL8MFMAType0EEvPKT_PKT0_S9_ifPKiSB_SB_iPKfiiiPfSE_PS4_PT2_iSD_SD_: ; @_Z39paged_attention_ll4mi_QKV_mfma16_kernelI14__hip_bfloat16hLN4vllm18Fp8KVCacheDataTypeE1ES0_Li32ELi64ELi256ELb0ELi14EL8MFMAType0EEvPKT_PKT0_S9_ifPKiSB_SB_iPKfiiiPfSE_PS4_PT2_iSD_SD_
; %bb.0:
	s_load_b64 s[2:3], s[0:1], 0x30
	s_mov_b32 s30, s13
	s_waitcnt lgkmcnt(0)
	s_cmp_lg_u64 s[2:3], 0
	s_cselect_b32 s8, -1, 0
	s_ashr_i32 s31, s13, 31
	s_cmp_eq_u64 s[2:3], 0
	s_cbranch_scc1 .LBB1787_3
; %bb.1:
	s_lshl_b64 s[4:5], s[30:31], 2
	s_delay_alu instid0(SALU_CYCLE_1) | instskip(SKIP_4) | instid1(SALU_CYCLE_1)
	s_add_u32 s4, s2, s4
	s_addc_u32 s5, s3, s5
	s_load_b64 s[4:5], s[4:5], 0x0
	s_waitcnt lgkmcnt(0)
	s_sub_i32 s4, s5, s4
	s_cmp_eq_u32 s4, 1
	s_cselect_b32 s4, -1, 0
	s_delay_alu instid0(SALU_CYCLE_1)
	s_and_not1_b32 vcc_lo, exec_lo, s4
	s_cbranch_vccz .LBB1787_4
.LBB1787_2:
	s_endpgm
.LBB1787_3:
.LBB1787_4:
	s_load_b64 s[4:5], s[0:1], 0x28
	s_lshl_b64 s[6:7], s[30:31], 2
	s_waitcnt lgkmcnt(0)
	s_add_u32 s4, s4, s6
	s_addc_u32 s5, s5, s7
	s_lshl_b32 s12, s14, 8
	s_load_b32 s24, s[4:5], 0x0
	s_waitcnt lgkmcnt(0)
	s_cmp_ge_i32 s12, s24
	s_cbranch_scc1 .LBB1787_2
; %bb.5:
	s_clause 0x1
	s_load_b128 s[20:23], s[0:1], 0x8
	s_load_b64 s[4:5], s[0:1], 0x20
	s_and_not1_b32 vcc_lo, exec_lo, s8
	s_cbranch_vccnz .LBB1787_7
; %bb.6:
	s_add_u32 s2, s2, s6
	s_addc_u32 s3, s3, s7
	s_load_b32 s3, s[2:3], 0x0
	s_branch .LBB1787_8
.LBB1787_7:
	s_mov_b32 s3, s30
.LBB1787_8:
	s_load_b128 s[16:19], s[0:1], 0x48
	v_and_b32_e32 v65, 15, v0
	v_cmp_gt_u32_e32 vcc_lo, 0xe0, v0
	v_lshrrev_b32_e32 v66, 5, v0
	v_and_b32_e32 v67, 31, v0
	v_and_b32_e32 v75, 1, v0
	v_lshlrev_b32_e32 v1, 3, v65
	v_cmp_gt_u32_e64 s2, 8, v65
	v_bfe_u32 v74, v0, 4, 1
	s_mul_i32 s31, s15, 14
	s_delay_alu instid0(VALU_DEP_3) | instskip(NEXT) | instid1(VALU_DEP_3)
	v_lshlrev_b32_e32 v73, 1, v1
	s_and_b32 s7, vcc_lo, s2
	s_delay_alu instid0(SALU_CYCLE_1)
	s_and_saveexec_b32 s6, s7
	s_cbranch_execz .LBB1787_10
; %bb.9:
	s_load_b64 s[8:9], s[0:1], 0x0
	v_lshl_or_b32 v5, v66, 1, v74
	s_waitcnt lgkmcnt(0)
	s_mul_hi_i32 s11, s3, s16
	s_mul_i32 s10, s3, s16
	v_lshlrev_b32_e32 v6, 10, v65
	s_lshl_b64 s[10:11], s[10:11], 1
	v_add_lshl_u32 v1, v5, s31, 6
	v_lshlrev_b32_e32 v5, 6, v5
	v_lshlrev_b32_e32 v7, 10, v75
	v_and_b32_e32 v6, 0x3800, v6
	s_delay_alu instid0(VALU_DEP_4) | instskip(NEXT) | instid1(VALU_DEP_2)
	v_ashrrev_i32_e32 v2, 31, v1
	v_or3_b32 v5, v6, v7, v5
	s_delay_alu instid0(VALU_DEP_2) | instskip(SKIP_2) | instid1(VALU_DEP_1)
	v_lshlrev_b64 v[1:2], 1, v[1:2]
	s_add_u32 s3, s8, s10
	s_addc_u32 s7, s9, s11
	v_add_co_u32 v1, vcc_lo, s3, v1
	s_delay_alu instid0(VALU_DEP_2) | instskip(NEXT) | instid1(VALU_DEP_2)
	v_add_co_ci_u32_e32 v2, vcc_lo, s7, v2, vcc_lo
	v_add_co_u32 v1, vcc_lo, v1, v73
	s_delay_alu instid0(VALU_DEP_2)
	v_add_co_ci_u32_e32 v2, vcc_lo, 0, v2, vcc_lo
	global_load_b128 v[1:4], v[1:2], off
	s_waitcnt vmcnt(0)
	ds_store_b128 v5, v[1:4]
.LBB1787_10:
	s_or_b32 exec_lo, exec_lo, s6
	v_and_b32_e32 v1, 0xef, v0
	s_waitcnt lgkmcnt(0)
	s_add_i32 s3, s24, 31
	s_clause 0x1
	s_load_b32 s6, s[0:1], 0x38
	s_load_b32 s19, s[0:1], 0x1c
	s_ashr_i32 s7, s3, 31
	v_add_nc_u32_e32 v1, s12, v1
	s_lshr_b32 s7, s7, 27
	s_waitcnt lgkmcnt(0)
	s_add_i32 s3, s3, s7
	s_barrier
	v_ashrrev_i32_e32 v2, 31, v1
	v_or_b32_e32 v3, 16, v1
	s_ashr_i32 s3, s3, 5
	v_cmp_gt_i32_e32 vcc_lo, s24, v1
	s_add_i32 s3, s3, -1
	v_lshrrev_b32_e32 v2, 27, v2
	buffer_gl0_inv
	s_mul_i32 s27, s15, s18
	v_add_nc_u32_e32 v4, v1, v2
	s_mul_i32 s6, s30, s6
	s_delay_alu instid0(SALU_CYCLE_1) | instskip(NEXT) | instid1(VALU_DEP_1)
	s_ashr_i32 s7, s6, 31
	v_ashrrev_i32_e32 v4, 5, v4
	v_add_nc_u32_e32 v2, v3, v2
	s_lshl_b64 s[6:7], s[6:7], 2
	s_delay_alu instid0(SALU_CYCLE_1) | instskip(NEXT) | instid1(VALU_DEP_2)
	s_add_u32 s26, s4, s6
	v_cndmask_b32_e32 v1, s3, v4, vcc_lo
	s_delay_alu instid0(VALU_DEP_2)
	v_ashrrev_i32_e32 v2, 5, v2
	v_cmp_gt_i32_e32 vcc_lo, s24, v3
	s_addc_u32 s25, s5, s7
	s_ashr_i32 s28, s27, 31
	s_add_u32 s4, s20, s27
	s_addc_u32 s5, s21, s28
	v_cndmask_b32_e32 v3, s3, v2, vcc_lo
	v_ashrrev_i32_e32 v2, 31, v1
	s_lshl_b32 s6, s14, 3
	s_delay_alu instid0(SALU_CYCLE_1) | instskip(NEXT) | instid1(VALU_DEP_2)
	s_ashr_i32 s7, s6, 31
	v_ashrrev_i32_e32 v4, 31, v3
	s_delay_alu instid0(VALU_DEP_2) | instskip(SKIP_1) | instid1(SALU_CYCLE_1)
	v_lshlrev_b64 v[1:2], 2, v[1:2]
	s_lshl_b64 s[6:7], s[6:7], 2
	s_add_u32 s6, s26, s6
	s_delay_alu instid0(VALU_DEP_2) | instskip(SKIP_1) | instid1(VALU_DEP_2)
	v_lshlrev_b64 v[3:4], 2, v[3:4]
	s_addc_u32 s7, s25, s7
	v_add_co_u32 v1, vcc_lo, s26, v1
	v_add_co_ci_u32_e32 v2, vcc_lo, s25, v2, vcc_lo
	s_delay_alu instid0(VALU_DEP_3) | instskip(NEXT) | instid1(VALU_DEP_4)
	v_add_co_u32 v3, vcc_lo, s26, v3
	v_add_co_ci_u32_e32 v4, vcc_lo, s25, v4, vcc_lo
	s_clause 0x1
	global_load_b32 v5, v[1:2], off
	global_load_b32 v6, v[3:4], off
	s_or_b32 s8, s12, 32
	s_delay_alu instid0(SALU_CYCLE_1) | instskip(SKIP_2) | instid1(SALU_CYCLE_1)
	s_ashr_i32 s9, s8, 5
	s_cmp_lt_i32 s8, s24
	s_cselect_b32 s8, s9, s3
	s_ashr_i32 s9, s8, 31
	s_delay_alu instid0(SALU_CYCLE_1) | instskip(NEXT) | instid1(SALU_CYCLE_1)
	s_lshl_b64 s[8:9], s[8:9], 2
	s_add_u32 s8, s26, s8
	s_addc_u32 s9, s25, s9
	s_or_b32 s10, s12, 64
	s_delay_alu instid0(SALU_CYCLE_1) | instskip(SKIP_2) | instid1(SALU_CYCLE_1)
	s_ashr_i32 s11, s10, 5
	s_cmp_lt_i32 s10, s24
	s_cselect_b32 s10, s11, s3
	s_ashr_i32 s11, s10, 31
	s_delay_alu instid0(SALU_CYCLE_1) | instskip(NEXT) | instid1(SALU_CYCLE_1)
	s_lshl_b64 s[10:11], s[10:11], 2
	s_add_u32 s10, s26, s10
	s_addc_u32 s11, s25, s11
	;; [unrolled: 10-line block ×5, first 2 shown]
	s_clause 0x5
	s_load_b32 s21, s[6:7], 0x0
	s_load_b32 s13, s[8:9], 0x0
	;; [unrolled: 1-line block ×6, first 2 shown]
	s_or_b32 s8, s12, 0xc0
	s_delay_alu instid0(SALU_CYCLE_1) | instskip(SKIP_2) | instid1(SALU_CYCLE_1)
	s_ashr_i32 s9, s8, 5
	s_cmp_lt_i32 s8, s24
	s_cselect_b32 s34, s9, s3
	s_ashr_i32 s35, s34, 31
	s_delay_alu instid0(SALU_CYCLE_1) | instskip(NEXT) | instid1(SALU_CYCLE_1)
	s_lshl_b64 s[34:35], s[34:35], 2
	s_add_u32 s34, s26, s34
	s_addc_u32 s35, s25, s35
	s_or_b32 s29, s12, 0xe0
	s_delay_alu instid0(SALU_CYCLE_1)
	s_ashr_i32 s33, s29, 5
	s_cmp_lt_i32 s29, s24
	s_waitcnt vmcnt(1)
	v_mad_i64_i32 v[1:2], null, v5, s17, s[4:5]
	s_waitcnt vmcnt(0)
	v_mad_i64_i32 v[3:4], null, v6, s17, s[4:5]
	s_mov_b32 s4, 0
	s_delay_alu instid0(SALU_CYCLE_1)
	s_mov_b32 s5, s4
	s_mov_b32 s6, s4
	;; [unrolled: 1-line block ×7, first 2 shown]
	v_lshlrev_b32_e32 v5, 4, v65
	v_dual_mov_b32 v107, s11 :: v_dual_mov_b32 v102, s6
	v_mov_b32_e32 v100, s4
	v_mov_b32_e32 v106, s10
	s_delay_alu instid0(VALU_DEP_4)
	v_add_co_u32 v1, vcc_lo, v1, v5
	v_add_co_ci_u32_e32 v2, vcc_lo, 0, v2, vcc_lo
	v_add_co_u32 v3, vcc_lo, v3, v5
	v_add_co_ci_u32_e32 v4, vcc_lo, 0, v4, vcc_lo
	s_clause 0x7
	global_load_b128 v[49:52], v[1:2], off
	global_load_b128 v[53:56], v[1:2], off offset:512
	global_load_b128 v[76:79], v[3:4], off offset:256
	;; [unrolled: 1-line block ×7, first 2 shown]
	v_add_nc_u32_e32 v1, -14, v65
	v_cmp_gt_u32_e32 vcc_lo, 14, v65
	v_dual_mov_b32 v104, s8 :: v_dual_mov_b32 v103, s7
	v_dual_mov_b32 v101, s5 :: v_dual_lshlrev_b32 v2, 5, v65
	s_delay_alu instid0(VALU_DEP_4)
	v_cndmask_b32_e32 v1, v1, v65, vcc_lo
	v_mov_b32_e32 v105, s9
	s_cselect_b32 s4, s33, s3
	s_load_b32 s3, s[34:35], 0x0
	s_ashr_i32 s5, s4, 31
	v_lshlrev_b32_e32 v70, 6, v1
	s_lshl_b64 s[4:5], s[4:5], 2
	v_lshl_or_b32 v2, v66, 9, v2
	s_add_u32 s4, s26, s4
	s_addc_u32 s5, s25, s5
	ds_load_b128 v[108:111], v70
	ds_load_b128 v[112:115], v70 offset:1024
	s_load_b32 s4, s[4:5], 0x0
	s_add_u32 s6, s22, s27
	s_addc_u32 s7, s23, s28
	v_add_co_u32 v9, s6, s6, v2
	s_delay_alu instid0(VALU_DEP_1) | instskip(SKIP_1) | instid1(VALU_DEP_1)
	v_add_co_ci_u32_e64 v10, null, s7, 0, s6
	s_waitcnt lgkmcnt(0)
	v_mad_i64_i32 v[1:2], null, s21, s17, v[9:10]
	v_mad_i64_i32 v[3:4], null, s13, s17, v[9:10]
	;; [unrolled: 1-line block ×7, first 2 shown]
	s_clause 0x9
	global_load_b128 v[57:60], v[1:2], off
	global_load_b128 v[61:64], v[1:2], off offset:16
	global_load_b128 v[41:44], v[3:4], off
	global_load_b128 v[45:48], v[3:4], off offset:16
	;; [unrolled: 2-line block ×5, first 2 shown]
	v_mad_i64_i32 v[68:69], null, s4, s17, v[9:10]
	s_clause 0x3
	global_load_b128 v[9:12], v[13:14], off
	global_load_b128 v[13:16], v[13:14], off offset:16
	global_load_b128 v[17:20], v[21:22], off
	global_load_b128 v[21:24], v[21:22], off offset:16
	s_waitcnt vmcnt(20)
	v_wmma_f32_16x16x16_bf16 v[116:123], v[49:56], v[108:115], v[100:107]
	s_clause 0x1
	global_load_b128 v[49:52], v[68:69], off
	global_load_b128 v[53:56], v[68:69], off offset:16
	v_and_b32_e32 v68, 0xe0, v0
	v_mbcnt_lo_u32_b32 v69, -1, 0
	s_delay_alu instid0(VALU_DEP_2)
	v_add_nc_u32_e32 v68, s12, v68
	s_waitcnt vmcnt(20)
	v_wmma_f32_16x16x16_bf16 v[100:107], v[76:83], v[108:115], v[100:107]
	ds_load_b128 v[76:79], v70 offset:2048
	ds_load_b128 v[80:83], v70 offset:3072
	v_xor_b32_e32 v70, 16, v69
	s_waitcnt vmcnt(0) lgkmcnt(0)
	v_or_b32_e32 v68, v68, v74
	s_barrier
	buffer_gl0_inv
	v_cmp_gt_i32_e32 vcc_lo, 32, v70
	v_or_b32_e32 v71, 4, v68
	v_or_b32_e32 v72, 6, v68
	v_cmp_gt_i32_e64 s3, s24, v68
	v_or_b32_e32 v108, 8, v68
	v_or_b32_e32 v109, 10, v68
	v_cmp_gt_i32_e64 s4, s24, v71
	v_cmp_gt_i32_e64 s5, s24, v72
	s_delay_alu instid0(VALU_DEP_4) | instskip(NEXT) | instid1(VALU_DEP_4)
	v_cmp_gt_i32_e64 s6, s24, v108
	v_cmp_gt_i32_e64 s7, s24, v109
	v_wmma_f32_16x16x16_bf16 v[116:123], v[84:91], v[76:83], v[116:123]
	v_cndmask_b32_e32 v69, v69, v70, vcc_lo
	v_or_b32_e32 v70, 2, v68
	v_wmma_f32_16x16x16_bf16 v[100:107], v[92:99], v[76:83], v[100:107]
	v_or_b32_e32 v89, 22, v68
	v_dual_mul_f32 v80, s19, v121 :: v_dual_mul_f32 v81, s19, v120
	v_dual_mul_f32 v92, s19, v117 :: v_dual_mul_f32 v93, s19, v116
	s_delay_alu instid0(VALU_DEP_4)
	v_mul_f32_e32 v96, s19, v105
	v_cmp_gt_i32_e32 vcc_lo, s24, v70
	v_dual_mul_f32 v79, s19, v122 :: v_dual_mul_f32 v82, s19, v119
	v_dual_mul_f32 v83, s19, v118 :: v_dual_mul_f32 v94, s19, v107
	v_cndmask_b32_e64 v93, 0xff7fffff, v93, s3
	v_cndmask_b32_e32 v92, 0xff7fffff, v92, vcc_lo
	v_or_b32_e32 v84, 12, v68
	v_or_b32_e32 v85, 14, v68
	v_cndmask_b32_e64 v71, 0xff7fffff, v83, s4
	v_cndmask_b32_e64 v72, 0xff7fffff, v82, s5
	v_cmp_gt_i32_e64 s13, s24, v89
	v_lshlrev_b32_e32 v89, 2, v69
	v_max3_f32 v82, v93, 0xff7fffff, v92
	v_or_b32_e32 v86, 16, v68
	v_or_b32_e32 v87, 18, v68
	v_mul_f32_e32 v78, s19, v123
	v_cndmask_b32_e64 v81, 0xff7fffff, v81, s6
	v_cndmask_b32_e64 v80, 0xff7fffff, v80, s7
	v_max3_f32 v71, v82, v71, v72
	v_cmp_gt_i32_e64 s8, s24, v84
	v_cmp_gt_i32_e64 s9, s24, v85
	v_or_b32_e32 v88, 20, v68
	v_or_b32_e32 v90, 24, v68
	;; [unrolled: 1-line block ×5, first 2 shown]
	v_dual_mul_f32 v97, s19, v104 :: v_dual_mul_f32 v70, s19, v101
	v_dual_mul_f32 v99, s19, v102 :: v_dual_mul_f32 v68, s19, v100
	v_cndmask_b32_e64 v72, 0xff7fffff, v79, s8
	v_cndmask_b32_e64 v78, 0xff7fffff, v78, s9
	v_max3_f32 v71, v71, v81, v80
	v_cmp_gt_i32_e64 s10, s24, v86
	v_cmp_gt_i32_e64 s11, s24, v87
	v_dual_mul_f32 v95, s19, v106 :: v_dual_mul_f32 v98, s19, v103
	s_delay_alu instid0(VALU_DEP_4) | instskip(NEXT) | instid1(VALU_DEP_4)
	v_max3_f32 v71, v71, v72, v78
	v_cndmask_b32_e64 v68, 0xff7fffff, v68, s10
	s_delay_alu instid0(VALU_DEP_4)
	v_cndmask_b32_e64 v70, 0xff7fffff, v70, s11
	v_cmp_gt_i32_e64 s12, s24, v88
	v_cndmask_b32_e64 v78, 0xff7fffff, v98, s13
	v_cmp_gt_i32_e64 s15, s24, v90
	v_cmp_gt_i32_e64 s16, s24, v91
	v_max3_f32 v68, v71, v68, v70
	v_cndmask_b32_e64 v72, 0xff7fffff, v99, s12
	v_cmp_gt_i32_e64 s17, s24, v76
	v_cndmask_b32_e64 v70, 0xff7fffff, v97, s15
	v_cndmask_b32_e64 v71, 0xff7fffff, v96, s16
	v_cmp_gt_i32_e64 s18, s24, v77
	v_max3_f32 v68, v68, v72, v78
	v_cndmask_b32_e64 v72, 0xff7fffff, v95, s17
	s_delay_alu instid0(VALU_DEP_3) | instskip(NEXT) | instid1(VALU_DEP_3)
	v_cndmask_b32_e64 v76, 0xff7fffff, v94, s18
	v_max3_f32 v68, v68, v70, v71
	s_delay_alu instid0(VALU_DEP_1) | instskip(SKIP_3) | instid1(VALU_DEP_1)
	v_max3_f32 v68, v68, v72, v76
	ds_bpermute_b32 v69, v89, v68
	s_waitcnt lgkmcnt(0)
	v_max_f32_e32 v69, v69, v69
	v_max_f32_e32 v68, v68, v69
	s_delay_alu instid0(VALU_DEP_1) | instskip(NEXT) | instid1(VALU_DEP_1)
	v_fma_f32 v71, s19, v118, -v68
	v_mul_f32_e32 v71, 0x3fb8aa3b, v71
	v_fma_f32 v70, s19, v117, -v68
	v_fma_f32 v69, s19, v116, -v68
	;; [unrolled: 1-line block ×5, first 2 shown]
	s_delay_alu instid0(VALU_DEP_4) | instskip(SKIP_1) | instid1(VALU_DEP_3)
	v_dual_mul_f32 v70, 0x3fb8aa3b, v70 :: v_dual_mul_f32 v69, 0x3fb8aa3b, v69
	v_exp_f32_e32 v71, v71
	v_mul_f32_e32 v72, 0x3fb8aa3b, v72
	v_fma_f32 v81, s19, v105, -v68
	s_delay_alu instid0(VALU_DEP_3)
	v_exp_f32_e32 v70, v70
	v_mul_f32_e32 v77, 0x3fb8aa3b, v76
	v_exp_f32_e32 v69, v69
	v_exp_f32_e32 v72, v72
	v_mul_f32_e32 v81, 0x3fb8aa3b, v81
	v_cndmask_b32_e64 v83, 0, v71, s4
	v_fma_f32 v71, s19, v123, -v68
	s_delay_alu instid0(VALU_DEP_3) | instskip(SKIP_4) | instid1(TRANS32_DEP_3)
	v_exp_f32_e32 v81, v81
	v_cndmask_b32_e32 v76, 0, v70, vcc_lo
	v_exp_f32_e32 v77, v77
	v_cndmask_b32_e64 v80, 0, v69, s3
	v_fma_f32 v69, s19, v121, -v68
	v_cndmask_b32_e64 v85, 0, v72, s5
	v_mul_f32_e32 v71, 0x3fb8aa3b, v71
	v_fma_f32 v72, s19, v100, -v68
	s_delay_alu instid0(VALU_DEP_4) | instskip(SKIP_1) | instid1(VALU_DEP_3)
	v_dual_add_f32 v70, 0, v80 :: v_dual_mul_f32 v69, 0x3fb8aa3b, v69
	s_mov_b32 s3, exec_lo
	v_exp_f32_e32 v71, v71
	s_delay_alu instid0(TRANS32_DEP_2) | instskip(SKIP_4) | instid1(VALU_DEP_3)
	v_cndmask_b32_e64 v86, 0, v77, s6
	v_fma_f32 v77, s19, v101, -v68
	v_mul_f32_e32 v78, 0x3fb8aa3b, v78
	v_add_f32_e32 v70, v70, v76
	v_exp_f32_e32 v69, v69
	v_mul_f32_e32 v77, 0x3fb8aa3b, v77
	s_delay_alu instid0(VALU_DEP_3) | instskip(NEXT) | instid1(TRANS32_DEP_3)
	v_exp_f32_e32 v78, v78
	v_cndmask_b32_e64 v88, 0, v71, s9
	v_fma_f32 v71, s19, v104, -v68
	s_delay_alu instid0(VALU_DEP_3) | instskip(NEXT) | instid1(TRANS32_DEP_3)
	v_exp_f32_e32 v77, v77
	v_cndmask_b32_e64 v87, 0, v69, s7
	s_delay_alu instid0(VALU_DEP_2)
	v_mul_f32_e32 v71, 0x3fb8aa3b, v71
	s_waitcnt_depctr 0xfff
	v_cndmask_b32_e64 v84, 0, v78, s8
	v_add_f32_e32 v70, v70, v83
	v_fma_f32 v78, s19, v103, -v68
	v_exp_f32_e32 v82, v71
	s_delay_alu instid0(VALU_DEP_2) | instskip(SKIP_1) | instid1(VALU_DEP_3)
	v_add_f32_e32 v70, v70, v85
	v_mul_f32_e32 v72, 0x3fb8aa3b, v72
	v_mul_f32_e32 v78, 0x3fb8aa3b, v78
	s_delay_alu instid0(VALU_DEP_3) | instskip(SKIP_1) | instid1(VALU_DEP_4)
	v_add_f32_e32 v69, v70, v86
	v_fma_f32 v70, s19, v102, -v68
	v_exp_f32_e32 v72, v72
	s_delay_alu instid0(VALU_DEP_3) | instskip(NEXT) | instid1(VALU_DEP_1)
	v_exp_f32_e32 v78, v78
	v_dual_add_f32 v69, v69, v87 :: v_dual_mul_f32 v70, 0x3fb8aa3b, v70
	s_delay_alu instid0(VALU_DEP_1) | instskip(NEXT) | instid1(VALU_DEP_2)
	v_add_f32_e32 v69, v69, v84
	v_exp_f32_e32 v79, v70
	s_delay_alu instid0(TRANS32_DEP_3) | instskip(NEXT) | instid1(VALU_DEP_2)
	v_cndmask_b32_e64 v70, 0, v72, s10
	v_add_f32_e32 v72, v69, v88
	v_cndmask_b32_e64 v69, 0, v77, s11
	v_fma_f32 v77, s19, v106, -v68
	s_waitcnt_depctr 0xfff
	v_cndmask_b32_e64 v71, 0, v79, s12
	v_dual_mul_f32 v77, 0x3fb8aa3b, v77 :: v_dual_add_f32 v72, v72, v70
	s_delay_alu instid0(VALU_DEP_1) | instskip(NEXT) | instid1(VALU_DEP_1)
	v_exp_f32_e32 v90, v77
	v_add_f32_e32 v79, v72, v69
	v_cndmask_b32_e64 v72, 0, v78, s13
	v_cndmask_b32_e64 v77, 0, v82, s15
	s_delay_alu instid0(VALU_DEP_3) | instskip(SKIP_1) | instid1(VALU_DEP_1)
	v_add_f32_e32 v78, v79, v71
	v_fma_f32 v79, s19, v107, -v68
	v_dual_add_f32 v82, v78, v72 :: v_dual_mul_f32 v79, 0x3fb8aa3b, v79
	v_cndmask_b32_e64 v78, 0, v81, s16
	s_delay_alu instid0(VALU_DEP_2) | instskip(NEXT) | instid1(VALU_DEP_3)
	v_add_f32_e32 v81, v82, v77
	v_exp_f32_e32 v82, v79
	v_cndmask_b32_e64 v79, 0, v90, s17
	s_delay_alu instid0(VALU_DEP_2) | instskip(NEXT) | instid1(VALU_DEP_1)
	v_add_f32_e32 v81, v81, v78
	v_add_f32_e32 v90, v81, v79
	s_waitcnt_depctr 0xfff
	v_cndmask_b32_e64 v81, 0, v82, s18
	s_delay_alu instid0(VALU_DEP_1)
	v_add_f32_e32 v82, v90, v81
	ds_bpermute_b32 v89, v89, v82
	v_cmpx_gt_u32_e32 16, v67
	s_cbranch_execz .LBB1787_12
; %bb.11:
	v_mul_u32_u24_e32 v67, 0x44, v66
	s_delay_alu instid0(VALU_DEP_1) | instskip(SKIP_1) | instid1(VALU_DEP_1)
	v_lshl_add_u32 v67, v65, 2, v67
	s_waitcnt lgkmcnt(0)
	v_dual_add_f32 v82, v82, v89 :: v_dual_add_nc_u32 v67, 0x4000, v67
	ds_store_2addr_b32 v67, v68, v82 offset1:136
.LBB1787_12:
	s_or_b32 exec_lo, exec_lo, s3
	v_lshlrev_b32_e32 v67, 2, v65
	s_waitcnt lgkmcnt(0)
	s_barrier
	buffer_gl0_inv
	v_cmp_eq_u32_e32 vcc_lo, 1, v66
	v_add_nc_u32_e32 v82, 0x4000, v67
	v_cmp_eq_u32_e64 s3, 2, v66
	v_cmp_eq_u32_e64 s5, 7, v66
	ds_load_2addr_b32 v[89:90], v82 offset1:17
	ds_load_2addr_b32 v[91:92], v82 offset0:34 offset1:51
	ds_load_2addr_b32 v[93:94], v82 offset0:68 offset1:85
	;; [unrolled: 1-line block ×4, first 2 shown]
	s_waitcnt lgkmcnt(4)
	v_max3_f32 v67, v89, 0xff7fffff, v90
	s_waitcnt lgkmcnt(3)
	s_delay_alu instid0(VALU_DEP_1) | instskip(SKIP_1) | instid1(VALU_DEP_1)
	v_max3_f32 v67, v67, v91, v92
	s_waitcnt lgkmcnt(2)
	v_max3_f32 v67, v67, v93, v94
	s_waitcnt lgkmcnt(1)
	s_delay_alu instid0(VALU_DEP_1) | instskip(NEXT) | instid1(VALU_DEP_1)
	v_max3_f32 v67, v67, v95, v96
	v_sub_f32_e32 v93, v93, v67
	s_delay_alu instid0(VALU_DEP_1) | instskip(NEXT) | instid1(VALU_DEP_1)
	v_dual_sub_f32 v68, v89, v67 :: v_dual_mul_f32 v103, 0x3fb8aa3b, v93
	v_mul_f32_e32 v68, 0x3fb8aa3b, v68
	s_delay_alu instid0(VALU_DEP_1)
	v_exp_f32_e32 v100, v68
	v_sub_f32_e32 v68, v92, v67
	v_sub_f32_e32 v99, v90, v67
	ds_load_2addr_b32 v[89:90], v82 offset0:170 offset1:187
	v_dual_mul_f32 v102, 0x3fb8aa3b, v68 :: v_dual_mul_f32 v99, 0x3fb8aa3b, v99
	s_waitcnt lgkmcnt(1)
	v_fma_f32 v68, v100, v97, 0
	s_delay_alu instid0(VALU_DEP_2) | instskip(NEXT) | instid1(VALU_DEP_2)
	v_exp_f32_e32 v102, v102
	v_exp_f32_e32 v99, v99
	s_waitcnt_depctr 0xfff
	v_fmac_f32_e32 v68, v99, v98
	v_sub_f32_e32 v91, v91, v67
	s_delay_alu instid0(VALU_DEP_1)
	v_mul_f32_e32 v101, 0x3fb8aa3b, v91
	ds_load_2addr_b32 v[91:92], v82 offset0:204 offset1:221
	v_sub_f32_e32 v97, v94, v67
	ds_load_2addr_b32 v[93:94], v82 offset0:238 offset1:255
	s_waitcnt lgkmcnt(0)
	v_exp_f32_e32 v101, v101
	s_barrier
	buffer_gl0_inv
	v_dual_fmac_f32 v68, v101, v89 :: v_dual_sub_f32 v89, v96, v67
	v_dual_sub_f32 v82, v95, v67 :: v_dual_mul_f32 v95, 0x3fb8aa3b, v97
	v_exp_f32_e32 v97, v103
	s_delay_alu instid0(VALU_DEP_2) | instskip(NEXT) | instid1(VALU_DEP_2)
	v_dual_fmac_f32 v68, v102, v90 :: v_dual_mul_f32 v89, 0x3fb8aa3b, v89
	v_mul_f32_e32 v82, 0x3fb8aa3b, v82
	s_delay_alu instid0(VALU_DEP_3) | instskip(NEXT) | instid1(VALU_DEP_2)
	v_exp_f32_e32 v95, v95
	v_exp_f32_e32 v89, v89
	s_delay_alu instid0(VALU_DEP_1)
	v_exp_f32_e32 v82, v82
	v_fmac_f32_e32 v68, v97, v91
	s_delay_alu instid0(TRANS32_DEP_3) | instid1(VALU_DEP_1)
	v_fmac_f32_e32 v68, v95, v92
	s_waitcnt_depctr 0xfff
	v_fmac_f32_e32 v68, v82, v93
	s_delay_alu instid0(VALU_DEP_1) | instskip(NEXT) | instid1(VALU_DEP_1)
	v_fmac_f32_e32 v68, v89, v94
	v_add_f32_e32 v90, 0x358637bd, v68
	s_delay_alu instid0(VALU_DEP_1) | instskip(NEXT) | instid1(VALU_DEP_1)
	v_div_scale_f32 v91, null, v90, v90, 1.0
	v_rcp_f32_e32 v92, v91
	s_waitcnt_depctr 0xfff
	v_fma_f32 v93, -v91, v92, 1.0
	s_delay_alu instid0(VALU_DEP_1) | instskip(SKIP_1) | instid1(VALU_DEP_2)
	v_dual_fmac_f32 v92, v93, v92 :: v_dual_cndmask_b32 v93, v100, v99
	v_cmp_eq_u32_e32 vcc_lo, 3, v66
	v_cndmask_b32_e64 v93, v93, v101, s3
	v_cmp_eq_u32_e64 s3, 4, v66
	s_delay_alu instid0(VALU_DEP_2) | instskip(SKIP_1) | instid1(VALU_DEP_2)
	v_cndmask_b32_e32 v93, v93, v102, vcc_lo
	v_cmp_eq_u32_e32 vcc_lo, 5, v66
	v_cndmask_b32_e64 v93, v93, v97, s3
	v_cmp_eq_u32_e64 s3, 6, v66
	s_delay_alu instid0(VALU_DEP_2) | instskip(SKIP_1) | instid1(VALU_DEP_1)
	v_cndmask_b32_e32 v93, v93, v95, vcc_lo
	v_div_scale_f32 v94, s4, 1.0, v90, 1.0
	s_mov_b32 vcc_lo, s4
	s_delay_alu instid0(VALU_DEP_2) | instskip(NEXT) | instid1(VALU_DEP_2)
	v_cndmask_b32_e64 v82, v93, v82, s3
	v_mul_f32_e32 v96, v94, v92
	s_mov_b32 s3, exec_lo
	s_delay_alu instid0(VALU_DEP_2) | instskip(NEXT) | instid1(VALU_DEP_2)
	v_cndmask_b32_e64 v82, v82, v89, s5
	v_fma_f32 v98, -v91, v96, v94
	s_delay_alu instid0(VALU_DEP_1) | instskip(NEXT) | instid1(VALU_DEP_1)
	v_fmac_f32_e32 v96, v98, v92
	v_fma_f32 v91, -v91, v96, v94
	s_delay_alu instid0(VALU_DEP_1) | instskip(NEXT) | instid1(VALU_DEP_1)
	v_div_fmas_f32 v91, v91, v92, v96
	v_div_fixup_f32 v90, v91, v90, 1.0
	s_delay_alu instid0(VALU_DEP_1) | instskip(NEXT) | instid1(VALU_DEP_1)
	v_mul_f32_e32 v82, v82, v90
	v_mul_f32_e32 v87, v82, v87
	;; [unrolled: 1-line block ×7, first 2 shown]
	v_dual_mul_f32 v86, v82, v83 :: v_dual_and_b32 v91, 0x7f800000, v90
	v_mul_f32_e32 v85, v82, v76
                                        ; implicit-def: $vgpr76
	s_delay_alu instid0(VALU_DEP_2)
	v_cmpx_ne_u32_e32 0x7f800000, v91
	s_xor_b32 s3, exec_lo, s3
; %bb.13:
	v_bfe_u32 v76, v90, 16, 1
	s_delay_alu instid0(VALU_DEP_1)
	v_add3_u32 v76, v90, v76, 0x7fff
                                        ; implicit-def: $vgpr90
; %bb.14:
	s_and_not1_saveexec_b32 s3, s3
; %bb.15:
	v_and_b32_e32 v76, 0xffff, v90
	v_or_b32_e32 v83, 0x10000, v90
	s_delay_alu instid0(VALU_DEP_2) | instskip(NEXT) | instid1(VALU_DEP_2)
	v_cmp_eq_u32_e32 vcc_lo, 0, v76
	v_cndmask_b32_e32 v76, v83, v90, vcc_lo
; %bb.16:
	s_or_b32 exec_lo, exec_lo, s3
	v_and_b32_e32 v83, 0x7f800000, v85
	s_delay_alu instid0(VALU_DEP_1) | instskip(SKIP_1) | instid1(SALU_CYCLE_1)
	v_cmp_ne_u32_e32 vcc_lo, 0x7f800000, v83
                                        ; implicit-def: $vgpr83
	s_and_saveexec_b32 s3, vcc_lo
	s_xor_b32 s3, exec_lo, s3
; %bb.17:
	v_bfe_u32 v83, v85, 16, 1
	s_delay_alu instid0(VALU_DEP_1)
	v_add3_u32 v83, v85, v83, 0x7fff
                                        ; implicit-def: $vgpr85
; %bb.18:
	s_and_not1_saveexec_b32 s3, s3
; %bb.19:
	v_and_b32_e32 v83, 0xffff, v85
	v_or_b32_e32 v90, 0x10000, v85
	s_delay_alu instid0(VALU_DEP_2) | instskip(NEXT) | instid1(VALU_DEP_2)
	v_cmp_eq_u32_e32 vcc_lo, 0, v83
	v_cndmask_b32_e32 v83, v90, v85, vcc_lo
; %bb.20:
	s_or_b32 exec_lo, exec_lo, s3
	v_and_b32_e32 v85, 0x7f800000, v86
	s_delay_alu instid0(VALU_DEP_1) | instskip(SKIP_1) | instid1(SALU_CYCLE_1)
	v_cmp_ne_u32_e32 vcc_lo, 0x7f800000, v85
                                        ; implicit-def: $vgpr85
	s_and_saveexec_b32 s3, vcc_lo
	s_xor_b32 s3, exec_lo, s3
; %bb.21:
	v_bfe_u32 v85, v86, 16, 1
	s_delay_alu instid0(VALU_DEP_1)
	v_add3_u32 v85, v86, v85, 0x7fff
                                        ; implicit-def: $vgpr86
; %bb.22:
	s_and_not1_saveexec_b32 s3, s3
; %bb.23:
	v_and_b32_e32 v85, 0xffff, v86
	v_or_b32_e32 v90, 0x10000, v86
	s_delay_alu instid0(VALU_DEP_2) | instskip(NEXT) | instid1(VALU_DEP_2)
	v_cmp_eq_u32_e32 vcc_lo, 0, v85
	v_cndmask_b32_e32 v85, v90, v86, vcc_lo
; %bb.24:
	s_or_b32 exec_lo, exec_lo, s3
	v_and_b32_e32 v86, 0x7f800000, v89
	s_delay_alu instid0(VALU_DEP_1) | instskip(SKIP_1) | instid1(SALU_CYCLE_1)
	v_cmp_ne_u32_e32 vcc_lo, 0x7f800000, v86
                                        ; implicit-def: $vgpr86
	s_and_saveexec_b32 s3, vcc_lo
	s_xor_b32 s3, exec_lo, s3
; %bb.25:
	v_bfe_u32 v86, v89, 16, 1
	s_delay_alu instid0(VALU_DEP_1)
	v_add3_u32 v86, v89, v86, 0x7fff
                                        ; implicit-def: $vgpr89
; %bb.26:
	s_and_not1_saveexec_b32 s3, s3
; %bb.27:
	v_and_b32_e32 v86, 0xffff, v89
	v_or_b32_e32 v90, 0x10000, v89
	s_delay_alu instid0(VALU_DEP_2) | instskip(NEXT) | instid1(VALU_DEP_2)
	v_cmp_eq_u32_e32 vcc_lo, 0, v86
	v_cndmask_b32_e32 v86, v90, v89, vcc_lo
; %bb.28:
	s_or_b32 exec_lo, exec_lo, s3
	v_and_b32_e32 v89, 0x7f800000, v88
	s_delay_alu instid0(VALU_DEP_1) | instskip(SKIP_1) | instid1(SALU_CYCLE_1)
	v_cmp_ne_u32_e32 vcc_lo, 0x7f800000, v89
                                        ; implicit-def: $vgpr89
	s_and_saveexec_b32 s3, vcc_lo
	s_xor_b32 s3, exec_lo, s3
; %bb.29:
	v_bfe_u32 v89, v88, 16, 1
	s_delay_alu instid0(VALU_DEP_1)
	v_add3_u32 v89, v88, v89, 0x7fff
                                        ; implicit-def: $vgpr88
; %bb.30:
	s_and_not1_saveexec_b32 s3, s3
; %bb.31:
	v_and_b32_e32 v89, 0xffff, v88
	v_or_b32_e32 v90, 0x10000, v88
	s_delay_alu instid0(VALU_DEP_2) | instskip(NEXT) | instid1(VALU_DEP_2)
	v_cmp_eq_u32_e32 vcc_lo, 0, v89
	v_cndmask_b32_e32 v89, v90, v88, vcc_lo
; %bb.32:
	s_or_b32 exec_lo, exec_lo, s3
	v_and_b32_e32 v88, 0x7f800000, v87
	s_delay_alu instid0(VALU_DEP_1) | instskip(SKIP_1) | instid1(SALU_CYCLE_1)
	v_cmp_ne_u32_e32 vcc_lo, 0x7f800000, v88
                                        ; implicit-def: $vgpr88
	s_and_saveexec_b32 s3, vcc_lo
	s_xor_b32 s3, exec_lo, s3
; %bb.33:
	v_bfe_u32 v88, v87, 16, 1
	s_delay_alu instid0(VALU_DEP_1)
	v_add3_u32 v88, v87, v88, 0x7fff
                                        ; implicit-def: $vgpr87
; %bb.34:
	s_and_not1_saveexec_b32 s3, s3
; %bb.35:
	v_and_b32_e32 v88, 0xffff, v87
	v_or_b32_e32 v90, 0x10000, v87
	s_delay_alu instid0(VALU_DEP_2) | instskip(NEXT) | instid1(VALU_DEP_2)
	v_cmp_eq_u32_e32 vcc_lo, 0, v88
	v_cndmask_b32_e32 v88, v90, v87, vcc_lo
; %bb.36:
	s_or_b32 exec_lo, exec_lo, s3
	v_and_b32_e32 v87, 0x7f800000, v84
	s_delay_alu instid0(VALU_DEP_1) | instskip(SKIP_1) | instid1(SALU_CYCLE_1)
	v_cmp_ne_u32_e32 vcc_lo, 0x7f800000, v87
                                        ; implicit-def: $vgpr87
	s_and_saveexec_b32 s3, vcc_lo
	s_xor_b32 s3, exec_lo, s3
; %bb.37:
	v_bfe_u32 v87, v84, 16, 1
	s_delay_alu instid0(VALU_DEP_1)
	v_add3_u32 v87, v84, v87, 0x7fff
                                        ; implicit-def: $vgpr84
; %bb.38:
	s_and_not1_saveexec_b32 s3, s3
; %bb.39:
	v_and_b32_e32 v87, 0xffff, v84
	v_or_b32_e32 v90, 0x10000, v84
	s_delay_alu instid0(VALU_DEP_2) | instskip(NEXT) | instid1(VALU_DEP_2)
	v_cmp_eq_u32_e32 vcc_lo, 0, v87
	v_cndmask_b32_e32 v87, v90, v84, vcc_lo
; %bb.40:
	s_or_b32 exec_lo, exec_lo, s3
	v_and_b32_e32 v84, 0x7f800000, v80
	s_delay_alu instid0(VALU_DEP_1) | instskip(SKIP_1) | instid1(SALU_CYCLE_1)
	v_cmp_ne_u32_e32 vcc_lo, 0x7f800000, v84
                                        ; implicit-def: $vgpr84
	s_and_saveexec_b32 s3, vcc_lo
	s_xor_b32 s3, exec_lo, s3
; %bb.41:
	v_bfe_u32 v84, v80, 16, 1
	s_delay_alu instid0(VALU_DEP_1)
	v_add3_u32 v84, v80, v84, 0x7fff
                                        ; implicit-def: $vgpr80
; %bb.42:
	s_and_not1_saveexec_b32 s3, s3
; %bb.43:
	v_and_b32_e32 v84, 0xffff, v80
	v_or_b32_e32 v90, 0x10000, v80
	s_delay_alu instid0(VALU_DEP_2) | instskip(NEXT) | instid1(VALU_DEP_2)
	v_cmp_eq_u32_e32 vcc_lo, 0, v84
	v_cndmask_b32_e32 v84, v90, v80, vcc_lo
; %bb.44:
	s_or_b32 exec_lo, exec_lo, s3
	s_load_b64 s[34:35], s[0:1], 0x94
	v_lshlrev_b32_e32 v91, 4, v74
	s_delay_alu instid0(VALU_DEP_2)
	v_perm_b32 v90, v84, v87, 0x7060302
	v_dual_mul_f32 v79, v82, v79 :: v_dual_lshlrev_b32 v80, 6, v65
	v_dual_mul_f32 v77, v82, v77 :: v_dual_lshlrev_b32 v92, 11, v66
	v_mul_f32_e32 v84, v82, v70
	v_perm_b32 v89, v88, v89, 0x7060302
	v_perm_b32 v88, v86, v85, 0x7060302
	;; [unrolled: 1-line block ×3, first 2 shown]
	v_mul_f32_e32 v70, v82, v81
	v_or3_b32 v76, v91, v92, v80
	v_dual_mul_f32 v78, v82, v78 :: v_dual_and_b32 v85, 0x7f800000, v84
	v_mul_f32_e32 v83, v82, v72
	v_mul_f32_e32 v81, v82, v71
	;; [unrolled: 1-line block ×3, first 2 shown]
	s_mov_b32 s3, exec_lo
	ds_store_b128 v76, v[87:90]
                                        ; implicit-def: $vgpr69
	v_cmpx_ne_u32_e32 0x7f800000, v85
	s_xor_b32 s3, exec_lo, s3
; %bb.45:
	v_bfe_u32 v69, v84, 16, 1
	s_delay_alu instid0(VALU_DEP_1)
	v_add3_u32 v69, v84, v69, 0x7fff
                                        ; implicit-def: $vgpr84
; %bb.46:
	s_and_not1_saveexec_b32 s3, s3
; %bb.47:
	v_and_b32_e32 v69, 0xffff, v84
	v_or_b32_e32 v71, 0x10000, v84
	s_delay_alu instid0(VALU_DEP_2) | instskip(NEXT) | instid1(VALU_DEP_2)
	v_cmp_eq_u32_e32 vcc_lo, 0, v69
	v_cndmask_b32_e32 v69, v71, v84, vcc_lo
; %bb.48:
	s_or_b32 exec_lo, exec_lo, s3
	v_and_b32_e32 v71, 0x7f800000, v72
	s_delay_alu instid0(VALU_DEP_1) | instskip(SKIP_1) | instid1(SALU_CYCLE_1)
	v_cmp_ne_u32_e32 vcc_lo, 0x7f800000, v71
                                        ; implicit-def: $vgpr71
	s_and_saveexec_b32 s3, vcc_lo
	s_xor_b32 s3, exec_lo, s3
; %bb.49:
	v_bfe_u32 v71, v72, 16, 1
	s_delay_alu instid0(VALU_DEP_1)
	v_add3_u32 v71, v72, v71, 0x7fff
                                        ; implicit-def: $vgpr72
; %bb.50:
	s_and_not1_saveexec_b32 s3, s3
; %bb.51:
	v_and_b32_e32 v71, 0xffff, v72
	v_or_b32_e32 v82, 0x10000, v72
	s_delay_alu instid0(VALU_DEP_2) | instskip(NEXT) | instid1(VALU_DEP_2)
	v_cmp_eq_u32_e32 vcc_lo, 0, v71
	v_cndmask_b32_e32 v71, v82, v72, vcc_lo
; %bb.52:
	s_or_b32 exec_lo, exec_lo, s3
	v_and_b32_e32 v72, 0x7f800000, v81
	s_delay_alu instid0(VALU_DEP_1) | instskip(SKIP_1) | instid1(SALU_CYCLE_1)
	v_cmp_ne_u32_e32 vcc_lo, 0x7f800000, v72
                                        ; implicit-def: $vgpr72
	s_and_saveexec_b32 s3, vcc_lo
	s_xor_b32 s3, exec_lo, s3
; %bb.53:
	v_bfe_u32 v72, v81, 16, 1
	s_delay_alu instid0(VALU_DEP_1)
	v_add3_u32 v72, v81, v72, 0x7fff
                                        ; implicit-def: $vgpr81
; %bb.54:
	s_and_not1_saveexec_b32 s3, s3
; %bb.55:
	v_and_b32_e32 v72, 0xffff, v81
	v_or_b32_e32 v82, 0x10000, v81
	s_delay_alu instid0(VALU_DEP_2) | instskip(NEXT) | instid1(VALU_DEP_2)
	v_cmp_eq_u32_e32 vcc_lo, 0, v72
	v_cndmask_b32_e32 v72, v82, v81, vcc_lo
; %bb.56:
	s_or_b32 exec_lo, exec_lo, s3
	v_and_b32_e32 v81, 0x7f800000, v83
	s_delay_alu instid0(VALU_DEP_1) | instskip(SKIP_1) | instid1(SALU_CYCLE_1)
	v_cmp_ne_u32_e32 vcc_lo, 0x7f800000, v81
                                        ; implicit-def: $vgpr81
	s_and_saveexec_b32 s3, vcc_lo
	s_xor_b32 s3, exec_lo, s3
; %bb.57:
	v_bfe_u32 v81, v83, 16, 1
	s_delay_alu instid0(VALU_DEP_1)
	v_add3_u32 v81, v83, v81, 0x7fff
                                        ; implicit-def: $vgpr83
; %bb.58:
	s_and_not1_saveexec_b32 s3, s3
; %bb.59:
	v_and_b32_e32 v81, 0xffff, v83
	v_or_b32_e32 v82, 0x10000, v83
	s_delay_alu instid0(VALU_DEP_2) | instskip(NEXT) | instid1(VALU_DEP_2)
	v_cmp_eq_u32_e32 vcc_lo, 0, v81
	v_cndmask_b32_e32 v81, v82, v83, vcc_lo
; %bb.60:
	s_or_b32 exec_lo, exec_lo, s3
	v_and_b32_e32 v82, 0x7f800000, v77
	s_delay_alu instid0(VALU_DEP_1) | instskip(SKIP_1) | instid1(SALU_CYCLE_1)
	v_cmp_ne_u32_e32 vcc_lo, 0x7f800000, v82
                                        ; implicit-def: $vgpr82
	s_and_saveexec_b32 s3, vcc_lo
	s_xor_b32 s3, exec_lo, s3
; %bb.61:
	v_bfe_u32 v82, v77, 16, 1
	s_delay_alu instid0(VALU_DEP_1)
	v_add3_u32 v82, v77, v82, 0x7fff
                                        ; implicit-def: $vgpr77
; %bb.62:
	s_and_not1_saveexec_b32 s3, s3
; %bb.63:
	v_and_b32_e32 v82, 0xffff, v77
	v_or_b32_e32 v83, 0x10000, v77
	s_delay_alu instid0(VALU_DEP_2) | instskip(NEXT) | instid1(VALU_DEP_2)
	v_cmp_eq_u32_e32 vcc_lo, 0, v82
	v_cndmask_b32_e32 v82, v83, v77, vcc_lo
; %bb.64:
	s_or_b32 exec_lo, exec_lo, s3
	v_and_b32_e32 v77, 0x7f800000, v78
	s_delay_alu instid0(VALU_DEP_1) | instskip(SKIP_1) | instid1(SALU_CYCLE_1)
	v_cmp_ne_u32_e32 vcc_lo, 0x7f800000, v77
                                        ; implicit-def: $vgpr77
	s_and_saveexec_b32 s3, vcc_lo
	s_xor_b32 s3, exec_lo, s3
; %bb.65:
	v_bfe_u32 v77, v78, 16, 1
	s_delay_alu instid0(VALU_DEP_1)
	v_add3_u32 v77, v78, v77, 0x7fff
                                        ; implicit-def: $vgpr78
; %bb.66:
	s_and_not1_saveexec_b32 s3, s3
; %bb.67:
	v_and_b32_e32 v77, 0xffff, v78
	v_or_b32_e32 v83, 0x10000, v78
	s_delay_alu instid0(VALU_DEP_2) | instskip(NEXT) | instid1(VALU_DEP_2)
	v_cmp_eq_u32_e32 vcc_lo, 0, v77
	v_cndmask_b32_e32 v77, v83, v78, vcc_lo
; %bb.68:
	s_or_b32 exec_lo, exec_lo, s3
	v_and_b32_e32 v78, 0x7f800000, v79
	s_delay_alu instid0(VALU_DEP_1) | instskip(SKIP_1) | instid1(SALU_CYCLE_1)
	v_cmp_ne_u32_e32 vcc_lo, 0x7f800000, v78
                                        ; implicit-def: $vgpr78
	s_and_saveexec_b32 s3, vcc_lo
	s_xor_b32 s3, exec_lo, s3
; %bb.69:
	v_bfe_u32 v78, v79, 16, 1
	s_delay_alu instid0(VALU_DEP_1)
	v_add3_u32 v78, v79, v78, 0x7fff
                                        ; implicit-def: $vgpr79
; %bb.70:
	s_and_not1_saveexec_b32 s3, s3
; %bb.71:
	v_and_b32_e32 v78, 0xffff, v79
	v_or_b32_e32 v83, 0x10000, v79
	s_delay_alu instid0(VALU_DEP_2) | instskip(NEXT) | instid1(VALU_DEP_2)
	v_cmp_eq_u32_e32 vcc_lo, 0, v78
	v_cndmask_b32_e32 v78, v83, v79, vcc_lo
; %bb.72:
	s_or_b32 exec_lo, exec_lo, s3
	v_and_b32_e32 v79, 0x7f800000, v70
	s_delay_alu instid0(VALU_DEP_1) | instskip(SKIP_1) | instid1(SALU_CYCLE_1)
	v_cmp_ne_u32_e32 vcc_lo, 0x7f800000, v79
                                        ; implicit-def: $vgpr79
	s_and_saveexec_b32 s3, vcc_lo
	s_xor_b32 s3, exec_lo, s3
; %bb.73:
	v_bfe_u32 v79, v70, 16, 1
	s_delay_alu instid0(VALU_DEP_1)
	v_add3_u32 v79, v70, v79, 0x7fff
                                        ; implicit-def: $vgpr70
; %bb.74:
	s_and_not1_saveexec_b32 s3, s3
; %bb.75:
	v_and_b32_e32 v79, 0xffff, v70
	v_or_b32_e32 v83, 0x10000, v70
	s_delay_alu instid0(VALU_DEP_2) | instskip(NEXT) | instid1(VALU_DEP_2)
	v_cmp_eq_u32_e32 vcc_lo, 0, v79
	v_cndmask_b32_e32 v79, v83, v70, vcc_lo
; %bb.76:
	s_or_b32 exec_lo, exec_lo, s3
	s_delay_alu instid0(VALU_DEP_1)
	v_perm_b32 v86, v79, v78, 0x7060302
	v_perm_b32 v85, v77, v82, 0x7060302
	;; [unrolled: 1-line block ×4, first 2 shown]
	v_lshl_or_b32 v82, v66, 11, v80
	ds_store_b128 v76, v[83:86] offset:1024
	s_waitcnt lgkmcnt(0)
	s_barrier
	buffer_gl0_inv
	ds_load_b128 v[69:72], v82
	ds_load_b128 v[83:86], v82 offset:16
	s_waitcnt lgkmcnt(1)
	v_lshrrev_b32_e32 v66, 16, v69
	s_waitcnt lgkmcnt(0)
	v_lshrrev_b32_e32 v91, 16, v83
	v_lshlrev_b32_e32 v78, 2, v74
	v_lshrrev_b32_e32 v95, 16, v70
	v_lshrrev_b32_e32 v98, 16, v84
	;; [unrolled: 1-line block ×4, first 2 shown]
	v_cmp_eq_u32_e32 vcc_lo, 1, v78
	v_lshrrev_b32_e32 v97, 16, v72
	v_lshrrev_b32_e32 v100, 16, v86
	v_cndmask_b32_e32 v87, v83, v91, vcc_lo
	v_or_b32_e32 v79, 1, v78
	v_cndmask_b32_e32 v81, v69, v66, vcc_lo
	v_cmp_eq_u32_e64 s4, 2, v78
	v_cmp_eq_u32_e64 s7, 3, v78
	;; [unrolled: 1-line block ×5, first 2 shown]
	v_cndmask_b32_e64 v81, v81, v70, s4
	v_cndmask_b32_e64 v87, v87, v84, s4
	v_cmp_eq_u32_e64 s8, 3, v79
	v_cndmask_b32_e64 v88, v69, v66, s3
	v_or_b32_e32 v77, 2, v78
	v_cndmask_b32_e64 v81, v81, v95, s7
	v_cndmask_b32_e64 v87, v87, v98, s7
	;; [unrolled: 1-line block ×4, first 2 shown]
	v_cmp_eq_u32_e64 s10, 5, v78
	v_cndmask_b32_e64 v81, v81, v71, s9
	v_cndmask_b32_e64 v87, v87, v85, s9
	v_cmp_eq_u32_e64 s11, 4, v79
	v_cndmask_b32_e64 v88, v88, v95, s8
	v_cmp_eq_u32_e64 s5, 1, v77
	v_cndmask_b32_e64 v89, v89, v84, s6
	v_cndmask_b32_e64 v81, v81, v96, s10
	v_cmp_eq_u32_e64 s12, 6, v78
	v_cndmask_b32_e64 v88, v88, v71, s11
	;; [unrolled: 3-line block ×3, first 2 shown]
	v_cndmask_b32_e64 v89, v89, v98, s8
	v_cndmask_b32_e64 v81, v81, v72, s12
	v_cmp_eq_u32_e64 s15, 7, v78
	v_cndmask_b32_e64 v88, v88, v96, s13
	v_cndmask_b32_e64 v87, v87, v86, s12
	v_cmp_eq_u32_e64 s16, 6, v79
	v_cmp_eq_u32_e64 s17, 2, v77
	v_cndmask_b32_e64 v89, v89, v85, s11
	v_cndmask_b32_e64 v101, v81, v97, s15
	;; [unrolled: 1-line block ×6, first 2 shown]
	v_cmp_eq_u32_e64 s18, 7, v79
	v_cmp_eq_u32_e64 s19, 3, v77
	;; [unrolled: 1-line block ×4, first 2 shown]
	v_cndmask_b32_e64 v87, v87, v84, s17
	v_cndmask_b32_e64 v103, v88, v97, s18
	;; [unrolled: 1-line block ×4, first 2 shown]
	v_or_b32_e32 v81, 3, v78
	v_cndmask_b32_e64 v93, v87, v98, s19
	v_cmp_eq_u32_e64 s24, 6, v77
	v_cndmask_b32_e64 v104, v88, v86, s16
	v_cndmask_b32_e64 v92, v89, v71, s20
	v_cmp_eq_u32_e64 s21, 1, v81
	ds_load_b128 v[87:90], v82 offset:1024
	v_cmp_eq_u32_e64 s23, 2, v81
	v_cmp_eq_u32_e64 s25, 3, v81
	v_cndmask_b32_e64 v105, v92, v96, s22
	v_cndmask_b32_e64 v66, v69, v66, s21
	;; [unrolled: 1-line block ×4, first 2 shown]
	ds_load_b128 v[91:94], v82 offset:1040
	v_cmp_eq_u32_e64 s26, 4, v81
	v_cndmask_b32_e64 v66, v66, v70, s23
	v_cmp_eq_u32_e64 s27, 7, v77
	v_cndmask_b32_e64 v70, v83, v84, s23
	v_cndmask_b32_e64 v84, v105, v72, s24
	v_cmp_eq_u32_e64 s28, 5, v81
	v_cndmask_b32_e64 v66, v66, v95, s25
	v_cmp_eq_u32_e64 s29, 6, v81
	v_cndmask_b32_e64 v70, v70, v98, s25
	v_cndmask_b32_e64 v69, v69, v99, s22
	;; [unrolled: 1-line block ×4, first 2 shown]
	s_waitcnt lgkmcnt(1)
	v_lshrrev_b32_e32 v95, 16, v87
	v_cndmask_b32_e64 v70, v70, v85, s26
	v_cndmask_b32_e64 v71, v84, v97, s27
	;; [unrolled: 1-line block ×4, first 2 shown]
	v_cndmask_b32_e32 v84, v87, v95, vcc_lo
	v_cndmask_b32_e64 v70, v70, v99, s28
	s_waitcnt lgkmcnt(0)
	v_lshrrev_b32_e32 v85, 16, v91
	v_lshrrev_b32_e32 v96, 16, v88
	v_cndmask_b32_e64 v98, v87, v95, s3
	v_cndmask_b32_e64 v84, v84, v88, s4
	;; [unrolled: 1-line block ×3, first 2 shown]
	v_cndmask_b32_e32 v99, v91, v85, vcc_lo
	v_cmp_eq_u32_e32 vcc_lo, 7, v81
	v_cndmask_b32_e64 v66, v66, v72, s29
	v_cndmask_b32_e64 v72, v84, v96, s7
	v_cndmask_b32_e64 v84, v98, v88, s6
	v_lshrrev_b32_e32 v98, 16, v92
	v_cndmask_b32_e32 v70, v70, v100, vcc_lo
	v_cndmask_b32_e64 v86, v99, v92, s4
	v_cndmask_b32_e64 v69, v69, v100, s27
	v_lshrrev_b32_e32 v100, 16, v93
	v_cndmask_b32_e64 v72, v72, v89, s9
	v_lshrrev_b32_e32 v99, 16, v89
	v_cndmask_b32_e64 v86, v86, v98, s7
	v_perm_b32 v71, v69, v71, 0x5040100
	v_cndmask_b32_e64 v84, v84, v96, s8
	s_delay_alu instid0(VALU_DEP_3) | instskip(NEXT) | instid1(VALU_DEP_2)
	v_cndmask_b32_e64 v86, v86, v93, s9
	v_cndmask_b32_e64 v84, v84, v89, s11
	s_delay_alu instid0(VALU_DEP_2) | instskip(NEXT) | instid1(VALU_DEP_1)
	v_cndmask_b32_e64 v86, v86, v100, s10
	v_cndmask_b32_e64 v69, v86, v94, s12
	;; [unrolled: 1-line block ×5, first 2 shown]
	s_delay_alu instid0(VALU_DEP_3) | instskip(NEXT) | instid1(VALU_DEP_3)
	v_cndmask_b32_e64 v86, v86, v88, s17
	v_cndmask_b32_e64 v87, v87, v88, s23
	s_delay_alu instid0(VALU_DEP_3) | instskip(NEXT) | instid1(VALU_DEP_3)
	v_cndmask_b32_e64 v88, v95, v92, s23
	v_cndmask_b32_e64 v86, v86, v96, s19
	;; [unrolled: 3-line block ×7, first 2 shown]
	s_delay_alu instid0(VALU_DEP_3) | instskip(SKIP_2) | instid1(VALU_DEP_2)
	v_cndmask_b32_e64 v88, v88, v94, s29
	v_cndmask_b32_e32 v66, v66, v97, vcc_lo
	v_cndmask_b32_e64 v97, v72, v99, s10
	v_perm_b32 v72, v70, v66, 0x5040100
	v_perm_b32 v70, v83, v103, 0x5040100
	v_cndmask_b32_e64 v103, v91, v85, s5
	v_cndmask_b32_e64 v85, v91, v85, s3
	;; [unrolled: 1-line block ×4, first 2 shown]
	v_lshrrev_b32_e32 v97, 16, v90
	v_cndmask_b32_e64 v91, v103, v92, s17
	v_cndmask_b32_e64 v85, v85, v92, s6
	v_cndmask_b32_e64 v66, v66, v90, s16
	s_mov_b32 s3, exec_lo
	v_cndmask_b32_e64 v83, v84, v97, s15
	v_cndmask_b32_e64 v91, v91, v98, s19
	;; [unrolled: 1-line block ×3, first 2 shown]
	v_lshrrev_b32_e32 v84, 16, v94
	v_cndmask_b32_e64 v66, v66, v97, s18
	v_cndmask_b32_e64 v90, v86, v97, s27
	;; [unrolled: 1-line block ×4, first 2 shown]
	v_dual_cndmask_b32 v86, v87, v97 :: v_dual_cndmask_b32 v87, v88, v84
	v_cndmask_b32_e64 v91, v69, v84, s15
	s_delay_alu instid0(VALU_DEP_4) | instskip(NEXT) | instid1(VALU_DEP_4)
	v_cndmask_b32_e64 v89, v89, v100, s22
	v_cndmask_b32_e64 v85, v85, v100, s13
	v_perm_b32 v69, v102, v101, 0x5040100
	v_perm_b32 v86, v87, v86, 0x5040100
	;; [unrolled: 1-line block ×3, first 2 shown]
	v_cndmask_b32_e64 v89, v89, v94, s24
	v_cndmask_b32_e64 v85, v85, v94, s16
	s_mul_i32 s8, s35, 14
	s_delay_alu instid0(VALU_DEP_2) | instskip(NEXT) | instid1(VALU_DEP_2)
	v_cndmask_b32_e64 v88, v89, v84, s27
	v_cndmask_b32_e64 v89, v85, v84, s18
	s_delay_alu instid0(VALU_DEP_2) | instskip(NEXT) | instid1(VALU_DEP_2)
	v_perm_b32 v85, v88, v90, 0x5040100
	v_perm_b32 v84, v89, v66, 0x5040100
	ds_store_b128 v76, v[69:72]
	ds_store_b128 v76, v[83:86] offset:1024
	v_cmpx_gt_u32_e32 14, v0
	s_cbranch_execz .LBB1787_78
; %bb.77:
	s_mul_i32 s4, s8, s30
	s_delay_alu instid0(SALU_CYCLE_1) | instskip(SKIP_1) | instid1(VALU_DEP_1)
	v_add3_u32 v69, s4, s31, v65
	s_load_b128 s[4:7], s[0:1], 0x58
	v_mad_u64_u32 v[65:66], null, v69, s34, s[14:15]
	s_delay_alu instid0(VALU_DEP_1) | instskip(NEXT) | instid1(VALU_DEP_1)
	v_ashrrev_i32_e32 v66, 31, v65
	v_lshlrev_b64 v[65:66], 2, v[65:66]
	s_waitcnt lgkmcnt(0)
	s_delay_alu instid0(VALU_DEP_1) | instskip(NEXT) | instid1(VALU_DEP_2)
	v_add_co_u32 v69, vcc_lo, s6, v65
	v_add_co_ci_u32_e32 v70, vcc_lo, s7, v66, vcc_lo
	v_add_co_u32 v65, vcc_lo, s4, v65
	v_add_co_ci_u32_e32 v66, vcc_lo, s5, v66, vcc_lo
	global_store_b32 v[69:70], v67, off
	global_store_b32 v[65:66], v68, off
.LBB1787_78:
	s_or_b32 exec_lo, exec_lo, s3
	s_waitcnt lgkmcnt(0)
	s_waitcnt_vscnt null, 0x0
	s_barrier
	buffer_gl0_inv
	ds_load_b128 v[83:86], v80
	ds_load_b128 v[87:90], v80 offset:16
	ds_load_b128 v[95:98], v80 offset:2064
	;; [unrolled: 1-line block ×3, first 2 shown]
	v_mov_b32_e32 v65, 0
	ds_load_b128 v[103:106], v80 offset:4112
	ds_load_b128 v[99:102], v80 offset:4096
	;; [unrolled: 1-line block ×4, first 2 shown]
	v_mov_b32_e32 v66, v65
	v_mov_b32_e32 v67, v65
	;; [unrolled: 1-line block ×7, first 2 shown]
	s_waitcnt lgkmcnt(6)
	s_delay_alu instid0(VALU_DEP_1)
	v_wmma_f32_16x16x16_bf16 v[65:72], v[57:64], v[83:90], v[65:72]
	ds_load_b128 v[61:64], v80 offset:8208
	ds_load_b128 v[57:60], v80 offset:8192
	s_waitcnt lgkmcnt(6)
	v_wmma_f32_16x16x16_bf16 v[65:72], v[41:48], v[91:98], v[65:72]
	ds_load_b128 v[45:48], v80 offset:10256
	ds_load_b128 v[41:44], v80 offset:10240
	s_waitcnt lgkmcnt(6)
	;; [unrolled: 4-line block ×4, first 2 shown]
	v_wmma_f32_16x16x16_bf16 v[65:72], v[1:8], v[57:64], v[65:72]
	s_waitcnt lgkmcnt(4)
	s_delay_alu instid0(VALU_DEP_1) | instskip(SKIP_1) | instid1(VALU_DEP_1)
	v_wmma_f32_16x16x16_bf16 v[65:72], v[9:16], v[41:48], v[65:72]
	s_waitcnt lgkmcnt(2)
	v_wmma_f32_16x16x16_bf16 v[65:72], v[17:24], v[33:40], v[65:72]
	s_waitcnt lgkmcnt(0)
	s_delay_alu instid0(VALU_DEP_1) | instskip(NEXT) | instid1(VALU_DEP_1)
	v_wmma_f32_16x16x16_bf16 v[65:72], v[49:56], v[25:32], v[65:72]
	v_and_b32_e32 v1, 0x7f800000, v65
	s_delay_alu instid0(VALU_DEP_1) | instskip(SKIP_1) | instid1(SALU_CYCLE_1)
	v_cmp_ne_u32_e32 vcc_lo, 0x7f800000, v1
                                        ; implicit-def: $vgpr1
	s_and_saveexec_b32 s3, vcc_lo
	s_xor_b32 s3, exec_lo, s3
; %bb.79:
	v_bfe_u32 v1, v65, 16, 1
	s_delay_alu instid0(VALU_DEP_1)
	v_add3_u32 v1, v65, v1, 0x7fff
; %bb.80:
	s_and_not1_saveexec_b32 s3, s3
; %bb.81:
	v_and_b32_e32 v1, 0xffff, v65
	v_or_b32_e32 v2, 0x10000, v65
	s_delay_alu instid0(VALU_DEP_2) | instskip(NEXT) | instid1(VALU_DEP_2)
	v_cmp_eq_u32_e32 vcc_lo, 0, v1
	v_cndmask_b32_e32 v1, v2, v65, vcc_lo
; %bb.82:
	s_or_b32 exec_lo, exec_lo, s3
	v_and_b32_e32 v2, 0x7f800000, v66
	s_delay_alu instid0(VALU_DEP_1) | instskip(SKIP_1) | instid1(SALU_CYCLE_1)
	v_cmp_ne_u32_e32 vcc_lo, 0x7f800000, v2
                                        ; implicit-def: $vgpr2
	s_and_saveexec_b32 s3, vcc_lo
	s_xor_b32 s3, exec_lo, s3
; %bb.83:
	v_bfe_u32 v2, v66, 16, 1
	s_delay_alu instid0(VALU_DEP_1)
	v_add3_u32 v2, v66, v2, 0x7fff
; %bb.84:
	s_and_not1_saveexec_b32 s3, s3
; %bb.85:
	v_and_b32_e32 v2, 0xffff, v66
	v_or_b32_e32 v3, 0x10000, v66
	s_delay_alu instid0(VALU_DEP_2) | instskip(NEXT) | instid1(VALU_DEP_2)
	v_cmp_eq_u32_e32 vcc_lo, 0, v2
	v_cndmask_b32_e32 v2, v3, v66, vcc_lo
; %bb.86:
	s_or_b32 exec_lo, exec_lo, s3
	v_and_b32_e32 v3, 0x7f800000, v67
	s_delay_alu instid0(VALU_DEP_1) | instskip(SKIP_1) | instid1(SALU_CYCLE_1)
	v_cmp_ne_u32_e32 vcc_lo, 0x7f800000, v3
                                        ; implicit-def: $vgpr3
	s_and_saveexec_b32 s3, vcc_lo
	s_xor_b32 s3, exec_lo, s3
; %bb.87:
	v_bfe_u32 v3, v67, 16, 1
	s_delay_alu instid0(VALU_DEP_1)
	v_add3_u32 v3, v67, v3, 0x7fff
; %bb.88:
	s_and_not1_saveexec_b32 s3, s3
; %bb.89:
	v_and_b32_e32 v3, 0xffff, v67
	v_or_b32_e32 v4, 0x10000, v67
	s_delay_alu instid0(VALU_DEP_2) | instskip(NEXT) | instid1(VALU_DEP_2)
	v_cmp_eq_u32_e32 vcc_lo, 0, v3
	v_cndmask_b32_e32 v3, v4, v67, vcc_lo
; %bb.90:
	s_or_b32 exec_lo, exec_lo, s3
	v_and_b32_e32 v4, 0x7f800000, v68
	s_delay_alu instid0(VALU_DEP_1) | instskip(SKIP_1) | instid1(SALU_CYCLE_1)
	v_cmp_ne_u32_e32 vcc_lo, 0x7f800000, v4
                                        ; implicit-def: $vgpr4
	s_and_saveexec_b32 s3, vcc_lo
	s_xor_b32 s3, exec_lo, s3
; %bb.91:
	v_bfe_u32 v4, v68, 16, 1
	s_delay_alu instid0(VALU_DEP_1)
	v_add3_u32 v4, v68, v4, 0x7fff
; %bb.92:
	s_and_not1_saveexec_b32 s3, s3
; %bb.93:
	v_and_b32_e32 v4, 0xffff, v68
	v_or_b32_e32 v5, 0x10000, v68
	s_delay_alu instid0(VALU_DEP_2) | instskip(NEXT) | instid1(VALU_DEP_2)
	v_cmp_eq_u32_e32 vcc_lo, 0, v4
	v_cndmask_b32_e32 v4, v5, v68, vcc_lo
; %bb.94:
	s_or_b32 exec_lo, exec_lo, s3
	v_and_b32_e32 v5, 0x7f800000, v69
	s_delay_alu instid0(VALU_DEP_1) | instskip(SKIP_1) | instid1(SALU_CYCLE_1)
	v_cmp_ne_u32_e32 vcc_lo, 0x7f800000, v5
                                        ; implicit-def: $vgpr5
	s_and_saveexec_b32 s3, vcc_lo
	s_xor_b32 s3, exec_lo, s3
; %bb.95:
	v_bfe_u32 v5, v69, 16, 1
	s_delay_alu instid0(VALU_DEP_1)
	v_add3_u32 v5, v69, v5, 0x7fff
; %bb.96:
	s_and_not1_saveexec_b32 s3, s3
; %bb.97:
	v_and_b32_e32 v5, 0xffff, v69
	v_or_b32_e32 v6, 0x10000, v69
	s_delay_alu instid0(VALU_DEP_2) | instskip(NEXT) | instid1(VALU_DEP_2)
	v_cmp_eq_u32_e32 vcc_lo, 0, v5
	v_cndmask_b32_e32 v5, v6, v69, vcc_lo
; %bb.98:
	s_or_b32 exec_lo, exec_lo, s3
	v_and_b32_e32 v6, 0x7f800000, v70
	s_delay_alu instid0(VALU_DEP_1) | instskip(SKIP_1) | instid1(SALU_CYCLE_1)
	v_cmp_ne_u32_e32 vcc_lo, 0x7f800000, v6
                                        ; implicit-def: $vgpr6
	s_and_saveexec_b32 s3, vcc_lo
	s_xor_b32 s3, exec_lo, s3
; %bb.99:
	v_bfe_u32 v6, v70, 16, 1
	s_delay_alu instid0(VALU_DEP_1)
	v_add3_u32 v6, v70, v6, 0x7fff
; %bb.100:
	s_and_not1_saveexec_b32 s3, s3
; %bb.101:
	v_and_b32_e32 v6, 0xffff, v70
	v_or_b32_e32 v7, 0x10000, v70
	s_delay_alu instid0(VALU_DEP_2) | instskip(NEXT) | instid1(VALU_DEP_2)
	v_cmp_eq_u32_e32 vcc_lo, 0, v6
	v_cndmask_b32_e32 v6, v7, v70, vcc_lo
; %bb.102:
	s_or_b32 exec_lo, exec_lo, s3
	v_and_b32_e32 v7, 0x7f800000, v71
	s_delay_alu instid0(VALU_DEP_1) | instskip(SKIP_1) | instid1(SALU_CYCLE_1)
	v_cmp_ne_u32_e32 vcc_lo, 0x7f800000, v7
                                        ; implicit-def: $vgpr7
	s_and_saveexec_b32 s3, vcc_lo
	s_xor_b32 s3, exec_lo, s3
; %bb.103:
	v_bfe_u32 v7, v71, 16, 1
	s_delay_alu instid0(VALU_DEP_1)
	v_add3_u32 v7, v71, v7, 0x7fff
; %bb.104:
	s_and_not1_saveexec_b32 s3, s3
; %bb.105:
	v_and_b32_e32 v7, 0xffff, v71
	v_or_b32_e32 v8, 0x10000, v71
	s_delay_alu instid0(VALU_DEP_2) | instskip(NEXT) | instid1(VALU_DEP_2)
	v_cmp_eq_u32_e32 vcc_lo, 0, v7
	v_cndmask_b32_e32 v7, v8, v71, vcc_lo
; %bb.106:
	s_or_b32 exec_lo, exec_lo, s3
	v_and_b32_e32 v8, 0x7f800000, v72
	s_delay_alu instid0(VALU_DEP_1) | instskip(SKIP_1) | instid1(SALU_CYCLE_1)
	v_cmp_ne_u32_e32 vcc_lo, 0x7f800000, v8
                                        ; implicit-def: $vgpr8
	s_and_saveexec_b32 s3, vcc_lo
	s_xor_b32 s3, exec_lo, s3
; %bb.107:
	v_bfe_u32 v8, v72, 16, 1
	s_delay_alu instid0(VALU_DEP_1)
	v_add3_u32 v8, v72, v8, 0x7fff
                                        ; implicit-def: $vgpr65_vgpr66_vgpr67_vgpr68_vgpr69_vgpr70_vgpr71_vgpr72
; %bb.108:
	s_and_not1_saveexec_b32 s3, s3
; %bb.109:
	v_and_b32_e32 v8, 0xffff, v72
	v_or_b32_e32 v9, 0x10000, v72
	s_delay_alu instid0(VALU_DEP_2) | instskip(NEXT) | instid1(VALU_DEP_2)
	v_cmp_eq_u32_e32 vcc_lo, 0, v8
	v_cndmask_b32_e32 v8, v9, v72, vcc_lo
; %bb.110:
	s_or_b32 exec_lo, exec_lo, s3
	s_delay_alu instid0(VALU_DEP_1)
	v_perm_b32 v7, v8, v7, 0x7060302
	v_perm_b32 v6, v6, v5, 0x7060302
	;; [unrolled: 1-line block ×4, first 2 shown]
	s_barrier
	buffer_gl0_inv
	v_cmp_eq_u32_e32 vcc_lo, 1, v78
	ds_store_b128 v76, v[4:7]
	s_waitcnt lgkmcnt(0)
	s_barrier
	buffer_gl0_inv
	ds_load_b128 v[1:4], v82
	ds_load_b128 v[5:8], v82 offset:16
	v_cmp_eq_u32_e64 s3, 1, v79
	v_cmp_eq_u32_e64 s4, 2, v78
	;; [unrolled: 1-line block ×5, first 2 shown]
	s_waitcnt lgkmcnt(1)
	v_lshrrev_b32_e32 v9, 16, v1
	s_waitcnt lgkmcnt(0)
	v_lshrrev_b32_e32 v13, 16, v5
	v_lshrrev_b32_e32 v10, 16, v2
	;; [unrolled: 1-line block ×4, first 2 shown]
	v_cndmask_b32_e64 v19, v1, v9, s3
	v_cndmask_b32_e32 v18, v5, v13, vcc_lo
	v_cndmask_b32_e64 v20, v5, v13, s3
	v_cndmask_b32_e32 v17, v1, v9, vcc_lo
	v_cmp_eq_u32_e32 vcc_lo, 2, v79
	v_lshrrev_b32_e32 v15, 16, v7
	v_cmp_eq_u32_e64 s3, 1, v77
	v_lshrrev_b32_e32 v12, 16, v4
	v_lshrrev_b32_e32 v16, 16, v8
	v_cndmask_b32_e32 v20, v20, v6, vcc_lo
	v_cndmask_b32_e64 v17, v17, v2, s4
	v_cndmask_b32_e32 v19, v19, v2, vcc_lo
	v_cndmask_b32_e64 v18, v18, v6, s4
	v_cmp_eq_u32_e32 vcc_lo, 4, v78
	v_cmp_eq_u32_e64 s4, 3, v79
	v_cndmask_b32_e64 v17, v17, v10, s5
	v_cndmask_b32_e64 v21, v1, v9, s3
	v_cndmask_b32_e64 v18, v18, v14, s5
	v_cndmask_b32_e64 v22, v5, v13, s3
	v_cndmask_b32_e64 v19, v19, v10, s4
	v_cndmask_b32_e32 v17, v17, v3, vcc_lo
	v_cndmask_b32_e64 v20, v20, v14, s4
	v_cndmask_b32_e32 v18, v18, v7, vcc_lo
	v_cmp_eq_u32_e32 vcc_lo, 4, v79
	v_cmp_eq_u32_e64 s4, 5, v79
	v_cmp_eq_u32_e64 s3, 2, v81
	v_cndmask_b32_e64 v21, v21, v2, s7
	v_cmp_eq_u32_e64 s5, 5, v78
	v_cndmask_b32_e32 v19, v19, v3, vcc_lo
	v_cndmask_b32_e32 v20, v20, v7, vcc_lo
	v_cmp_eq_u32_e32 vcc_lo, 6, v79
	s_delay_alu instid0(VALU_DEP_4) | instskip(NEXT) | instid1(VALU_DEP_4)
	v_cndmask_b32_e64 v17, v17, v11, s5
	v_cndmask_b32_e64 v19, v19, v11, s4
	s_delay_alu instid0(VALU_DEP_4) | instskip(SKIP_1) | instid1(VALU_DEP_3)
	v_cndmask_b32_e64 v20, v20, v15, s4
	v_cmp_eq_u32_e64 s4, 1, v81
	v_cndmask_b32_e32 v19, v19, v4, vcc_lo
	v_cndmask_b32_e64 v18, v18, v15, s5
	s_delay_alu instid0(VALU_DEP_3)
	v_cndmask_b32_e64 v1, v1, v9, s4
	v_cndmask_b32_e64 v5, v5, v13, s4
	v_cmp_eq_u32_e64 s4, 3, v77
	v_cndmask_b32_e64 v13, v22, v6, s7
	v_cmp_eq_u32_e64 s7, 3, v81
	v_cndmask_b32_e64 v1, v1, v2, s3
	v_cndmask_b32_e64 v2, v5, v6, s3
	;; [unrolled: 1-line block ×3, first 2 shown]
	v_cmp_eq_u32_e64 s3, 4, v77
	v_cndmask_b32_e64 v6, v13, v14, s4
	v_cndmask_b32_e64 v1, v1, v10, s7
	v_cmp_eq_u32_e64 s4, 4, v81
	v_cndmask_b32_e64 v2, v2, v14, s7
	v_cndmask_b32_e64 v5, v9, v3, s3
	;; [unrolled: 3-line block ×3, first 2 shown]
	v_cndmask_b32_e64 v2, v2, v7, s4
	v_cmp_eq_u32_e64 s3, 5, v81
	v_cmp_eq_u32_e64 s5, 6, v78
	v_cndmask_b32_e64 v5, v5, v11, s7
	v_cmp_eq_u32_e64 s4, 6, v77
	v_cndmask_b32_e64 v3, v6, v15, s7
	v_cndmask_b32_e64 v1, v1, v11, s3
	v_cmp_eq_u32_e64 s7, 6, v81
	v_cndmask_b32_e64 v2, v2, v15, s3
	v_cndmask_b32_e64 v17, v17, v4, s5
	v_cndmask_b32_e64 v18, v18, v8, s5
	v_cmp_eq_u32_e64 s5, 7, v78
	v_cndmask_b32_e64 v5, v5, v4, s4
	;; [unrolled: 4-line block ×3, first 2 shown]
	v_cmp_eq_u32_e64 s4, 7, v77
	v_cndmask_b32_e32 v4, v20, v8, vcc_lo
	v_cndmask_b32_e64 v17, v17, v12, s5
	v_cndmask_b32_e64 v19, v19, v12, s6
	v_cndmask_b32_e64 v1, v1, v12, s3
	v_cndmask_b32_e64 v5, v5, v12, s4
	v_cndmask_b32_e64 v2, v2, v16, s3
	v_cndmask_b32_e64 v3, v3, v16, s4
	v_cndmask_b32_e64 v6, v4, v16, s6
	v_cndmask_b32_e64 v7, v18, v16, s5
	v_cmp_gt_u32_e32 vcc_lo, 32, v0
	v_perm_b32 v4, v2, v1, 0x5040100
	v_perm_b32 v3, v3, v5, 0x5040100
	;; [unrolled: 1-line block ×4, first 2 shown]
	s_and_b32 s2, vcc_lo, s2
	ds_store_b128 v76, v[1:4]
	s_waitcnt lgkmcnt(0)
	s_barrier
	buffer_gl0_inv
	s_and_saveexec_b32 s3, s2
	s_cbranch_execz .LBB1787_2
; %bb.111:
	s_load_b64 s[0:1], s[0:1], 0x68
	v_lshlrev_b32_e32 v0, 10, v0
	s_lshl_b32 s4, s34, 6
	v_or_b32_e32 v3, s31, v74
	s_mul_i32 s2, s4, s30
	v_lshlrev_b32_e32 v1, 4, v75
	v_lshlrev_b32_e32 v2, 6, v74
	v_and_b32_e32 v0, 0x3800, v0
	s_mul_i32 s2, s2, s8
	v_mul_lo_u32 v8, v3, s4
	s_ashr_i32 s3, s2, 31
	s_delay_alu instid0(SALU_CYCLE_1)
	s_lshl_b64 s[2:3], s[2:3], 1
	v_or3_b32 v16, v0, v1, v2
	ds_load_b128 v[0:3], v16
	ds_load_b128 v[4:7], v16 offset:128
	v_ashrrev_i32_e32 v9, 31, v8
	s_waitcnt lgkmcnt(0)
	s_add_u32 s2, s0, s2
	s_addc_u32 s3, s1, s3
	s_lshl_b32 s0, s14, 6
	s_delay_alu instid0(SALU_CYCLE_1) | instskip(SKIP_2) | instid1(SALU_CYCLE_1)
	s_ashr_i32 s1, s0, 31
	v_lshlrev_b64 v[9:10], 1, v[8:9]
	s_lshl_b64 s[0:1], s[0:1], 1
	s_add_u32 s0, s2, s0
	s_addc_u32 s1, s3, s1
	s_lshl_b32 s2, s34, 7
	v_add_co_u32 v30, s0, s0, v73
	v_add_nc_u32_e32 v11, s2, v8
	v_add_co_ci_u32_e64 v31, null, s1, 0, s0
	s_delay_alu instid0(VALU_DEP_3) | instskip(NEXT) | instid1(VALU_DEP_3)
	v_add_co_u32 v9, vcc_lo, v30, v9
	v_add_nc_u32_e32 v8, s2, v11
	s_delay_alu instid0(VALU_DEP_3) | instskip(SKIP_1) | instid1(VALU_DEP_3)
	v_add_co_ci_u32_e32 v10, vcc_lo, v31, v10, vcc_lo
	v_ashrrev_i32_e32 v12, 31, v11
	v_add_nc_u32_e32 v13, s2, v8
	global_store_b128 v[9:10], v[0:3], off
	v_ashrrev_i32_e32 v9, 31, v8
	v_lshlrev_b64 v[11:12], 1, v[11:12]
	v_ashrrev_i32_e32 v14, 31, v13
	v_add_nc_u32_e32 v10, s2, v13
	s_delay_alu instid0(VALU_DEP_4) | instskip(NEXT) | instid1(VALU_DEP_4)
	v_lshlrev_b64 v[2:3], 1, v[8:9]
	v_add_co_u32 v0, vcc_lo, v30, v11
	s_delay_alu instid0(VALU_DEP_4)
	v_lshlrev_b64 v[8:9], 1, v[13:14]
	v_add_co_ci_u32_e32 v1, vcc_lo, v31, v12, vcc_lo
	v_ashrrev_i32_e32 v11, 31, v10
	v_add_co_u32 v22, vcc_lo, v30, v2
	v_add_nc_u32_e32 v20, s2, v10
	v_add_co_ci_u32_e32 v23, vcc_lo, v31, v3, vcc_lo
	v_add_co_u32 v24, vcc_lo, v30, v8
	global_store_b128 v[0:1], v[4:7], off
	v_add_co_ci_u32_e32 v25, vcc_lo, v31, v9, vcc_lo
	ds_load_b128 v[0:3], v16 offset:256
	ds_load_b128 v[4:7], v16 offset:384
	v_lshlrev_b64 v[26:27], 1, v[10:11]
	ds_load_b128 v[8:11], v16 offset:512
	ds_load_b128 v[12:15], v16 offset:640
	;; [unrolled: 1-line block ×3, first 2 shown]
	v_add_nc_u32_e32 v28, s2, v20
	v_ashrrev_i32_e32 v21, 31, v20
	v_add_co_u32 v26, vcc_lo, v30, v26
	s_delay_alu instid0(VALU_DEP_3) | instskip(NEXT) | instid1(VALU_DEP_3)
	v_ashrrev_i32_e32 v29, 31, v28
	v_lshlrev_b64 v[20:21], 1, v[20:21]
	v_add_co_ci_u32_e32 v27, vcc_lo, v31, v27, vcc_lo
	s_delay_alu instid0(VALU_DEP_3) | instskip(NEXT) | instid1(VALU_DEP_3)
	v_lshlrev_b64 v[28:29], 1, v[28:29]
	v_add_co_u32 v20, vcc_lo, v30, v20
	s_delay_alu instid0(VALU_DEP_4) | instskip(NEXT) | instid1(VALU_DEP_3)
	v_add_co_ci_u32_e32 v21, vcc_lo, v31, v21, vcc_lo
	v_add_co_u32 v28, vcc_lo, v30, v28
	s_delay_alu instid0(VALU_DEP_4)
	v_add_co_ci_u32_e32 v29, vcc_lo, v31, v29, vcc_lo
	s_waitcnt lgkmcnt(4)
	global_store_b128 v[22:23], v[0:3], off
	s_waitcnt lgkmcnt(3)
	global_store_b128 v[24:25], v[4:7], off
	;; [unrolled: 2-line block ×5, first 2 shown]
	s_nop 0
	s_sendmsg sendmsg(MSG_DEALLOC_VGPRS)
	s_endpgm
	.section	.rodata,"a",@progbits
	.p2align	6, 0x0
	.amdhsa_kernel _Z39paged_attention_ll4mi_QKV_mfma16_kernelI14__hip_bfloat16hLN4vllm18Fp8KVCacheDataTypeE1ES0_Li32ELi64ELi256ELb0ELi14EL8MFMAType0EEvPKT_PKT0_S9_ifPKiSB_SB_iPKfiiiPfSE_PS4_PT2_iSD_SD_
		.amdhsa_group_segment_fixed_size 17472
		.amdhsa_private_segment_fixed_size 0
		.amdhsa_kernarg_size 400
		.amdhsa_user_sgpr_count 13
		.amdhsa_user_sgpr_dispatch_ptr 0
		.amdhsa_user_sgpr_queue_ptr 0
		.amdhsa_user_sgpr_kernarg_segment_ptr 1
		.amdhsa_user_sgpr_dispatch_id 0
		.amdhsa_user_sgpr_private_segment_size 0
		.amdhsa_wavefront_size32 1
		.amdhsa_uses_dynamic_stack 0
		.amdhsa_enable_private_segment 0
		.amdhsa_system_sgpr_workgroup_id_x 1
		.amdhsa_system_sgpr_workgroup_id_y 1
		.amdhsa_system_sgpr_workgroup_id_z 1
		.amdhsa_system_sgpr_workgroup_info 0
		.amdhsa_system_vgpr_workitem_id 0
		.amdhsa_next_free_vgpr 124
		.amdhsa_next_free_sgpr 40
		.amdhsa_reserve_vcc 1
		.amdhsa_float_round_mode_32 0
		.amdhsa_float_round_mode_16_64 0
		.amdhsa_float_denorm_mode_32 3
		.amdhsa_float_denorm_mode_16_64 3
		.amdhsa_dx10_clamp 1
		.amdhsa_ieee_mode 1
		.amdhsa_fp16_overflow 0
		.amdhsa_workgroup_processor_mode 1
		.amdhsa_memory_ordered 1
		.amdhsa_forward_progress 0
		.amdhsa_shared_vgpr_count 0
		.amdhsa_exception_fp_ieee_invalid_op 0
		.amdhsa_exception_fp_denorm_src 0
		.amdhsa_exception_fp_ieee_div_zero 0
		.amdhsa_exception_fp_ieee_overflow 0
		.amdhsa_exception_fp_ieee_underflow 0
		.amdhsa_exception_fp_ieee_inexact 0
		.amdhsa_exception_int_div_zero 0
	.end_amdhsa_kernel
	.section	.text._Z39paged_attention_ll4mi_QKV_mfma16_kernelI14__hip_bfloat16hLN4vllm18Fp8KVCacheDataTypeE1ES0_Li32ELi64ELi256ELb0ELi14EL8MFMAType0EEvPKT_PKT0_S9_ifPKiSB_SB_iPKfiiiPfSE_PS4_PT2_iSD_SD_,"axG",@progbits,_Z39paged_attention_ll4mi_QKV_mfma16_kernelI14__hip_bfloat16hLN4vllm18Fp8KVCacheDataTypeE1ES0_Li32ELi64ELi256ELb0ELi14EL8MFMAType0EEvPKT_PKT0_S9_ifPKiSB_SB_iPKfiiiPfSE_PS4_PT2_iSD_SD_,comdat
.Lfunc_end1787:
	.size	_Z39paged_attention_ll4mi_QKV_mfma16_kernelI14__hip_bfloat16hLN4vllm18Fp8KVCacheDataTypeE1ES0_Li32ELi64ELi256ELb0ELi14EL8MFMAType0EEvPKT_PKT0_S9_ifPKiSB_SB_iPKfiiiPfSE_PS4_PT2_iSD_SD_, .Lfunc_end1787-_Z39paged_attention_ll4mi_QKV_mfma16_kernelI14__hip_bfloat16hLN4vllm18Fp8KVCacheDataTypeE1ES0_Li32ELi64ELi256ELb0ELi14EL8MFMAType0EEvPKT_PKT0_S9_ifPKiSB_SB_iPKfiiiPfSE_PS4_PT2_iSD_SD_
                                        ; -- End function
	.section	.AMDGPU.csdata,"",@progbits
; Kernel info:
; codeLenInByte = 8924
; NumSgprs: 42
; NumVgprs: 124
; ScratchSize: 0
; MemoryBound: 0
; FloatMode: 240
; IeeeMode: 1
; LDSByteSize: 17472 bytes/workgroup (compile time only)
; SGPRBlocks: 5
; VGPRBlocks: 15
; NumSGPRsForWavesPerEU: 42
; NumVGPRsForWavesPerEU: 124
; Occupancy: 10
; WaveLimiterHint : 1
; COMPUTE_PGM_RSRC2:SCRATCH_EN: 0
; COMPUTE_PGM_RSRC2:USER_SGPR: 13
; COMPUTE_PGM_RSRC2:TRAP_HANDLER: 0
; COMPUTE_PGM_RSRC2:TGID_X_EN: 1
; COMPUTE_PGM_RSRC2:TGID_Y_EN: 1
; COMPUTE_PGM_RSRC2:TGID_Z_EN: 1
; COMPUTE_PGM_RSRC2:TIDIG_COMP_CNT: 0
	.section	.text._Z39paged_attention_ll4mi_QKV_mfma16_kernelI14__hip_bfloat16hLN4vllm18Fp8KVCacheDataTypeE1ES0_Li32ELi64ELi256ELb0ELi15EL8MFMAType0EEvPKT_PKT0_S9_ifPKiSB_SB_iPKfiiiPfSE_PS4_PT2_iSD_SD_,"axG",@progbits,_Z39paged_attention_ll4mi_QKV_mfma16_kernelI14__hip_bfloat16hLN4vllm18Fp8KVCacheDataTypeE1ES0_Li32ELi64ELi256ELb0ELi15EL8MFMAType0EEvPKT_PKT0_S9_ifPKiSB_SB_iPKfiiiPfSE_PS4_PT2_iSD_SD_,comdat
	.protected	_Z39paged_attention_ll4mi_QKV_mfma16_kernelI14__hip_bfloat16hLN4vllm18Fp8KVCacheDataTypeE1ES0_Li32ELi64ELi256ELb0ELi15EL8MFMAType0EEvPKT_PKT0_S9_ifPKiSB_SB_iPKfiiiPfSE_PS4_PT2_iSD_SD_ ; -- Begin function _Z39paged_attention_ll4mi_QKV_mfma16_kernelI14__hip_bfloat16hLN4vllm18Fp8KVCacheDataTypeE1ES0_Li32ELi64ELi256ELb0ELi15EL8MFMAType0EEvPKT_PKT0_S9_ifPKiSB_SB_iPKfiiiPfSE_PS4_PT2_iSD_SD_
	.globl	_Z39paged_attention_ll4mi_QKV_mfma16_kernelI14__hip_bfloat16hLN4vllm18Fp8KVCacheDataTypeE1ES0_Li32ELi64ELi256ELb0ELi15EL8MFMAType0EEvPKT_PKT0_S9_ifPKiSB_SB_iPKfiiiPfSE_PS4_PT2_iSD_SD_
	.p2align	8
	.type	_Z39paged_attention_ll4mi_QKV_mfma16_kernelI14__hip_bfloat16hLN4vllm18Fp8KVCacheDataTypeE1ES0_Li32ELi64ELi256ELb0ELi15EL8MFMAType0EEvPKT_PKT0_S9_ifPKiSB_SB_iPKfiiiPfSE_PS4_PT2_iSD_SD_,@function
_Z39paged_attention_ll4mi_QKV_mfma16_kernelI14__hip_bfloat16hLN4vllm18Fp8KVCacheDataTypeE1ES0_Li32ELi64ELi256ELb0ELi15EL8MFMAType0EEvPKT_PKT0_S9_ifPKiSB_SB_iPKfiiiPfSE_PS4_PT2_iSD_SD_: ; @_Z39paged_attention_ll4mi_QKV_mfma16_kernelI14__hip_bfloat16hLN4vllm18Fp8KVCacheDataTypeE1ES0_Li32ELi64ELi256ELb0ELi15EL8MFMAType0EEvPKT_PKT0_S9_ifPKiSB_SB_iPKfiiiPfSE_PS4_PT2_iSD_SD_
; %bb.0:
	s_load_b64 s[2:3], s[0:1], 0x30
	s_mov_b32 s34, s13
	s_waitcnt lgkmcnt(0)
	s_cmp_lg_u64 s[2:3], 0
	s_cselect_b32 s8, -1, 0
	s_ashr_i32 s35, s13, 31
	s_cmp_eq_u64 s[2:3], 0
	s_cbranch_scc1 .LBB1788_3
; %bb.1:
	s_lshl_b64 s[4:5], s[34:35], 2
	s_delay_alu instid0(SALU_CYCLE_1) | instskip(SKIP_4) | instid1(SALU_CYCLE_1)
	s_add_u32 s4, s2, s4
	s_addc_u32 s5, s3, s5
	s_load_b64 s[4:5], s[4:5], 0x0
	s_waitcnt lgkmcnt(0)
	s_sub_i32 s4, s5, s4
	s_cmp_eq_u32 s4, 1
	s_cselect_b32 s4, -1, 0
	s_delay_alu instid0(SALU_CYCLE_1)
	s_and_not1_b32 vcc_lo, exec_lo, s4
	s_cbranch_vccz .LBB1788_4
.LBB1788_2:
	s_nop 0
	s_sendmsg sendmsg(MSG_DEALLOC_VGPRS)
	s_endpgm
.LBB1788_3:
.LBB1788_4:
	s_load_b64 s[4:5], s[0:1], 0x28
	s_lshl_b64 s[6:7], s[34:35], 2
	s_waitcnt lgkmcnt(0)
	s_add_u32 s4, s4, s6
	s_addc_u32 s5, s5, s7
	s_lshl_b32 s12, s14, 8
	s_load_b32 s24, s[4:5], 0x0
	s_waitcnt lgkmcnt(0)
	s_cmp_ge_i32 s12, s24
	s_cbranch_scc1 .LBB1788_2
; %bb.5:
	s_clause 0x1
	s_load_b128 s[20:23], s[0:1], 0x8
	s_load_b64 s[4:5], s[0:1], 0x20
	s_and_not1_b32 vcc_lo, exec_lo, s8
	s_cbranch_vccnz .LBB1788_7
; %bb.6:
	s_add_u32 s2, s2, s6
	s_addc_u32 s3, s3, s7
	s_load_b32 s3, s[2:3], 0x0
	s_branch .LBB1788_8
.LBB1788_7:
	s_mov_b32 s3, s34
.LBB1788_8:
	s_load_b128 s[16:19], s[0:1], 0x48
	v_lshrrev_b32_e32 v66, 5, v0
	v_bfe_u32 v74, v0, 4, 1
	v_and_b32_e32 v65, 15, v0
	v_and_b32_e32 v67, 31, v0
	;; [unrolled: 1-line block ×3, first 2 shown]
	s_mul_i32 s31, s15, 15
	v_lshl_or_b32 v1, v66, 1, v74
	v_lshlrev_b32_e32 v2, 3, v65
	v_cmp_gt_u32_e64 s2, 8, v65
	s_delay_alu instid0(VALU_DEP_3) | instskip(NEXT) | instid1(VALU_DEP_3)
	v_cmp_gt_u32_e32 vcc_lo, 15, v1
	v_lshlrev_b32_e32 v73, 1, v2
	s_delay_alu instid0(VALU_DEP_3) | instskip(NEXT) | instid1(SALU_CYCLE_1)
	s_and_b32 s7, s2, vcc_lo
	s_and_saveexec_b32 s6, s7
	s_cbranch_execz .LBB1788_10
; %bb.9:
	s_load_b64 s[8:9], s[0:1], 0x0
	v_add_lshl_u32 v2, v1, s31, 6
	s_waitcnt lgkmcnt(0)
	s_mul_hi_i32 s11, s3, s16
	s_mul_i32 s10, s3, s16
	v_lshlrev_b32_e32 v6, 10, v65
	s_lshl_b64 s[10:11], s[10:11], 1
	v_ashrrev_i32_e32 v3, 31, v2
	v_lshlrev_b32_e32 v1, 6, v1
	v_lshlrev_b32_e32 v7, 10, v75
	v_and_b32_e32 v6, 0x3800, v6
	s_delay_alu instid0(VALU_DEP_4) | instskip(NEXT) | instid1(VALU_DEP_2)
	v_lshlrev_b64 v[2:3], 1, v[2:3]
	v_or3_b32 v1, v6, v7, v1
	s_add_u32 s3, s8, s10
	s_addc_u32 s7, s9, s11
	s_delay_alu instid0(VALU_DEP_2) | instskip(NEXT) | instid1(VALU_DEP_3)
	v_add_co_u32 v2, vcc_lo, s3, v2
	v_add_co_ci_u32_e32 v3, vcc_lo, s7, v3, vcc_lo
	s_delay_alu instid0(VALU_DEP_2) | instskip(NEXT) | instid1(VALU_DEP_2)
	v_add_co_u32 v2, vcc_lo, v2, v73
	v_add_co_ci_u32_e32 v3, vcc_lo, 0, v3, vcc_lo
	global_load_b128 v[2:5], v[2:3], off
	s_waitcnt vmcnt(0)
	ds_store_b128 v1, v[2:5]
.LBB1788_10:
	s_or_b32 exec_lo, exec_lo, s6
	v_and_b32_e32 v1, 0xef, v0
	s_waitcnt lgkmcnt(0)
	s_add_i32 s3, s24, 31
	s_clause 0x1
	s_load_b32 s6, s[0:1], 0x38
	s_load_b32 s19, s[0:1], 0x1c
	s_ashr_i32 s7, s3, 31
	v_add_nc_u32_e32 v1, s12, v1
	s_lshr_b32 s7, s7, 27
	s_waitcnt lgkmcnt(0)
	s_add_i32 s3, s3, s7
	s_barrier
	v_ashrrev_i32_e32 v2, 31, v1
	v_or_b32_e32 v3, 16, v1
	s_ashr_i32 s3, s3, 5
	v_cmp_gt_i32_e32 vcc_lo, s24, v1
	s_add_i32 s3, s3, -1
	v_lshrrev_b32_e32 v2, 27, v2
	buffer_gl0_inv
	s_mul_i32 s27, s15, s18
	v_add_nc_u32_e32 v4, v1, v2
	s_mul_i32 s6, s34, s6
	s_delay_alu instid0(SALU_CYCLE_1) | instskip(NEXT) | instid1(VALU_DEP_1)
	s_ashr_i32 s7, s6, 31
	v_ashrrev_i32_e32 v4, 5, v4
	v_add_nc_u32_e32 v2, v3, v2
	s_lshl_b64 s[6:7], s[6:7], 2
	s_delay_alu instid0(SALU_CYCLE_1) | instskip(NEXT) | instid1(VALU_DEP_2)
	s_add_u32 s26, s4, s6
	v_cndmask_b32_e32 v1, s3, v4, vcc_lo
	s_delay_alu instid0(VALU_DEP_2)
	v_ashrrev_i32_e32 v2, 5, v2
	v_cmp_gt_i32_e32 vcc_lo, s24, v3
	s_addc_u32 s25, s5, s7
	s_ashr_i32 s28, s27, 31
	s_add_u32 s4, s20, s27
	s_addc_u32 s5, s21, s28
	v_cndmask_b32_e32 v3, s3, v2, vcc_lo
	v_ashrrev_i32_e32 v2, 31, v1
	s_lshl_b32 s6, s14, 3
	s_delay_alu instid0(SALU_CYCLE_1) | instskip(NEXT) | instid1(VALU_DEP_2)
	s_ashr_i32 s7, s6, 31
	v_ashrrev_i32_e32 v4, 31, v3
	s_delay_alu instid0(VALU_DEP_2) | instskip(SKIP_1) | instid1(SALU_CYCLE_1)
	v_lshlrev_b64 v[1:2], 2, v[1:2]
	s_lshl_b64 s[6:7], s[6:7], 2
	s_add_u32 s6, s26, s6
	s_delay_alu instid0(VALU_DEP_2) | instskip(SKIP_1) | instid1(VALU_DEP_2)
	v_lshlrev_b64 v[3:4], 2, v[3:4]
	s_addc_u32 s7, s25, s7
	v_add_co_u32 v1, vcc_lo, s26, v1
	v_add_co_ci_u32_e32 v2, vcc_lo, s25, v2, vcc_lo
	s_delay_alu instid0(VALU_DEP_3) | instskip(NEXT) | instid1(VALU_DEP_4)
	v_add_co_u32 v3, vcc_lo, s26, v3
	v_add_co_ci_u32_e32 v4, vcc_lo, s25, v4, vcc_lo
	s_clause 0x1
	global_load_b32 v5, v[1:2], off
	global_load_b32 v6, v[3:4], off
	s_or_b32 s8, s12, 32
	s_delay_alu instid0(SALU_CYCLE_1) | instskip(SKIP_2) | instid1(SALU_CYCLE_1)
	s_ashr_i32 s9, s8, 5
	s_cmp_lt_i32 s8, s24
	s_cselect_b32 s8, s9, s3
	s_ashr_i32 s9, s8, 31
	s_delay_alu instid0(SALU_CYCLE_1) | instskip(NEXT) | instid1(SALU_CYCLE_1)
	s_lshl_b64 s[8:9], s[8:9], 2
	s_add_u32 s8, s26, s8
	s_addc_u32 s9, s25, s9
	s_or_b32 s10, s12, 64
	s_delay_alu instid0(SALU_CYCLE_1) | instskip(SKIP_2) | instid1(SALU_CYCLE_1)
	s_ashr_i32 s11, s10, 5
	s_cmp_lt_i32 s10, s24
	s_cselect_b32 s10, s11, s3
	s_ashr_i32 s11, s10, 31
	s_delay_alu instid0(SALU_CYCLE_1) | instskip(NEXT) | instid1(SALU_CYCLE_1)
	s_lshl_b64 s[10:11], s[10:11], 2
	s_add_u32 s10, s26, s10
	s_addc_u32 s11, s25, s11
	;; [unrolled: 10-line block ×5, first 2 shown]
	s_clause 0x5
	s_load_b32 s21, s[6:7], 0x0
	s_load_b32 s13, s[8:9], 0x0
	;; [unrolled: 1-line block ×6, first 2 shown]
	s_or_b32 s7, s12, 0xc0
	s_delay_alu instid0(SALU_CYCLE_1) | instskip(SKIP_2) | instid1(SALU_CYCLE_1)
	s_ashr_i32 s8, s7, 5
	s_cmp_lt_i32 s7, s24
	s_cselect_b32 s10, s8, s3
	s_ashr_i32 s11, s10, 31
	s_delay_alu instid0(SALU_CYCLE_1) | instskip(NEXT) | instid1(SALU_CYCLE_1)
	s_lshl_b64 s[36:37], s[10:11], 2
	s_add_u32 s36, s26, s36
	s_addc_u32 s37, s25, s37
	s_or_b32 s29, s12, 0xe0
	s_delay_alu instid0(SALU_CYCLE_1)
	s_ashr_i32 s30, s29, 5
	s_cmp_lt_i32 s29, s24
	s_waitcnt vmcnt(1)
	v_mad_i64_i32 v[1:2], null, v5, s17, s[4:5]
	s_waitcnt vmcnt(0)
	v_mad_i64_i32 v[3:4], null, v6, s17, s[4:5]
	s_mov_b32 s4, 0
	s_delay_alu instid0(SALU_CYCLE_1)
	s_mov_b32 s5, s4
	s_mov_b32 s6, s4
	;; [unrolled: 1-line block ×7, first 2 shown]
	v_lshlrev_b32_e32 v5, 4, v65
	v_dual_mov_b32 v107, s11 :: v_dual_mov_b32 v100, s4
	v_mov_b32_e32 v102, s6
	v_mov_b32_e32 v106, s10
	s_delay_alu instid0(VALU_DEP_4)
	v_add_co_u32 v1, vcc_lo, v1, v5
	v_add_co_ci_u32_e32 v2, vcc_lo, 0, v2, vcc_lo
	v_add_co_u32 v3, vcc_lo, v3, v5
	v_add_co_ci_u32_e32 v4, vcc_lo, 0, v4, vcc_lo
	s_clause 0x7
	global_load_b128 v[49:52], v[1:2], off
	global_load_b128 v[53:56], v[1:2], off offset:512
	global_load_b128 v[76:79], v[3:4], off offset:256
	;; [unrolled: 1-line block ×7, first 2 shown]
	v_cmp_ne_u32_e32 vcc_lo, 15, v65
	v_dual_mov_b32 v104, s8 :: v_dual_mov_b32 v103, s7
	v_dual_mov_b32 v101, s5 :: v_dual_lshlrev_b32 v2, 5, v65
	v_cndmask_b32_e32 v1, 0, v65, vcc_lo
	v_mov_b32_e32 v105, s9
	s_cselect_b32 s4, s30, s3
	s_load_b32 s3, s[36:37], 0x0
	s_ashr_i32 s5, s4, 31
	v_lshlrev_b32_e32 v70, 6, v1
	s_lshl_b64 s[4:5], s[4:5], 2
	v_lshl_or_b32 v1, v66, 9, v2
	s_add_u32 s4, s26, s4
	s_addc_u32 s5, s25, s5
	ds_load_b128 v[108:111], v70
	ds_load_b128 v[112:115], v70 offset:1024
	s_load_b32 s4, s[4:5], 0x0
	s_add_u32 s6, s22, s27
	s_addc_u32 s7, s23, s28
	v_add_co_u32 v9, s6, s6, v1
	s_delay_alu instid0(VALU_DEP_1) | instskip(SKIP_1) | instid1(VALU_DEP_1)
	v_add_co_ci_u32_e64 v10, null, s7, 0, s6
	s_waitcnt lgkmcnt(0)
	v_mad_i64_i32 v[1:2], null, s21, s17, v[9:10]
	v_mad_i64_i32 v[3:4], null, s13, s17, v[9:10]
	;; [unrolled: 1-line block ×7, first 2 shown]
	s_clause 0x9
	global_load_b128 v[57:60], v[1:2], off
	global_load_b128 v[61:64], v[1:2], off offset:16
	global_load_b128 v[41:44], v[3:4], off
	global_load_b128 v[45:48], v[3:4], off offset:16
	;; [unrolled: 2-line block ×5, first 2 shown]
	v_mad_i64_i32 v[68:69], null, s4, s17, v[9:10]
	s_clause 0x3
	global_load_b128 v[9:12], v[13:14], off
	global_load_b128 v[13:16], v[13:14], off offset:16
	global_load_b128 v[17:20], v[21:22], off
	global_load_b128 v[21:24], v[21:22], off offset:16
	s_waitcnt vmcnt(20)
	v_wmma_f32_16x16x16_bf16 v[116:123], v[49:56], v[108:115], v[100:107]
	s_clause 0x1
	global_load_b128 v[49:52], v[68:69], off
	global_load_b128 v[53:56], v[68:69], off offset:16
	v_and_b32_e32 v68, 0xe0, v0
	v_mbcnt_lo_u32_b32 v69, -1, 0
	s_delay_alu instid0(VALU_DEP_2)
	v_add_nc_u32_e32 v68, s12, v68
	s_waitcnt vmcnt(20)
	v_wmma_f32_16x16x16_bf16 v[100:107], v[76:83], v[108:115], v[100:107]
	ds_load_b128 v[76:79], v70 offset:2048
	ds_load_b128 v[80:83], v70 offset:3072
	v_xor_b32_e32 v70, 16, v69
	s_waitcnt vmcnt(0) lgkmcnt(0)
	v_or_b32_e32 v68, v68, v74
	s_barrier
	buffer_gl0_inv
	v_cmp_gt_i32_e32 vcc_lo, 32, v70
	v_or_b32_e32 v71, 4, v68
	v_or_b32_e32 v72, 6, v68
	v_cmp_gt_i32_e64 s3, s24, v68
	v_or_b32_e32 v108, 8, v68
	v_or_b32_e32 v109, 10, v68
	v_cmp_gt_i32_e64 s4, s24, v71
	v_cmp_gt_i32_e64 s5, s24, v72
	s_delay_alu instid0(VALU_DEP_4) | instskip(NEXT) | instid1(VALU_DEP_4)
	v_cmp_gt_i32_e64 s6, s24, v108
	v_cmp_gt_i32_e64 s7, s24, v109
	v_wmma_f32_16x16x16_bf16 v[116:123], v[84:91], v[76:83], v[116:123]
	v_cndmask_b32_e32 v69, v69, v70, vcc_lo
	v_or_b32_e32 v70, 2, v68
	v_wmma_f32_16x16x16_bf16 v[100:107], v[92:99], v[76:83], v[100:107]
	v_or_b32_e32 v84, 12, v68
	v_dual_mul_f32 v78, s19, v123 :: v_dual_mul_f32 v83, s19, v118
	v_dual_mul_f32 v92, s19, v117 :: v_dual_mul_f32 v93, s19, v116
	s_delay_alu instid0(VALU_DEP_4) | instskip(SKIP_2) | instid1(VALU_DEP_4)
	v_mul_f32_e32 v94, s19, v107
	v_cmp_gt_i32_e32 vcc_lo, s24, v70
	v_dual_mul_f32 v81, s19, v120 :: v_dual_mul_f32 v82, s19, v119
	v_cndmask_b32_e64 v93, 0xff7fffff, v93, s3
	v_or_b32_e32 v85, 14, v68
	v_cndmask_b32_e32 v92, 0xff7fffff, v92, vcc_lo
	v_dual_mul_f32 v79, s19, v122 :: v_dual_mul_f32 v80, s19, v121
	v_cndmask_b32_e64 v71, 0xff7fffff, v83, s4
	v_cndmask_b32_e64 v72, 0xff7fffff, v82, s5
	s_delay_alu instid0(VALU_DEP_4)
	v_max3_f32 v82, v93, 0xff7fffff, v92
	v_or_b32_e32 v86, 16, v68
	v_or_b32_e32 v87, 18, v68
	v_cndmask_b32_e64 v81, 0xff7fffff, v81, s6
	v_cndmask_b32_e64 v80, 0xff7fffff, v80, s7
	v_max3_f32 v71, v82, v71, v72
	v_cmp_gt_i32_e64 s8, s24, v84
	v_cmp_gt_i32_e64 s9, s24, v85
	v_or_b32_e32 v88, 20, v68
	v_or_b32_e32 v89, 22, v68
	;; [unrolled: 1-line block ×6, first 2 shown]
	v_dual_mul_f32 v99, s19, v102 :: v_dual_mul_f32 v70, s19, v101
	v_mul_f32_e32 v68, s19, v100
	v_cndmask_b32_e64 v72, 0xff7fffff, v79, s8
	v_cndmask_b32_e64 v78, 0xff7fffff, v78, s9
	v_max3_f32 v71, v71, v81, v80
	v_cmp_gt_i32_e64 s10, s24, v86
	v_cmp_gt_i32_e64 s11, s24, v87
	v_dual_mul_f32 v97, s19, v104 :: v_dual_mul_f32 v98, s19, v103
	s_delay_alu instid0(VALU_DEP_4) | instskip(SKIP_1) | instid1(VALU_DEP_4)
	v_max3_f32 v71, v71, v72, v78
	v_cmp_gt_i32_e64 s12, s24, v88
	v_cndmask_b32_e64 v70, 0xff7fffff, v70, s11
	v_cmp_gt_i32_e64 s13, s24, v89
	v_lshlrev_b32_e32 v89, 2, v69
	v_cndmask_b32_e64 v68, 0xff7fffff, v68, s10
	v_dual_mul_f32 v95, s19, v106 :: v_dual_mul_f32 v96, s19, v105
	v_cndmask_b32_e64 v72, 0xff7fffff, v99, s12
	v_cndmask_b32_e64 v78, 0xff7fffff, v98, s13
	s_delay_alu instid0(VALU_DEP_4)
	v_max3_f32 v68, v71, v68, v70
	v_cmp_gt_i32_e64 s15, s24, v90
	v_cmp_gt_i32_e64 s16, s24, v91
	;; [unrolled: 1-line block ×4, first 2 shown]
	v_max3_f32 v68, v68, v72, v78
	v_cndmask_b32_e64 v70, 0xff7fffff, v97, s15
	v_cndmask_b32_e64 v71, 0xff7fffff, v96, s16
	;; [unrolled: 1-line block ×4, first 2 shown]
	s_delay_alu instid0(VALU_DEP_3) | instskip(NEXT) | instid1(VALU_DEP_1)
	v_max3_f32 v68, v68, v70, v71
	v_max3_f32 v68, v68, v72, v76
	ds_bpermute_b32 v69, v89, v68
	s_waitcnt lgkmcnt(0)
	v_max_f32_e32 v69, v69, v69
	s_delay_alu instid0(VALU_DEP_1) | instskip(NEXT) | instid1(VALU_DEP_1)
	v_max_f32_e32 v68, v68, v69
	v_fma_f32 v71, s19, v118, -v68
	s_delay_alu instid0(VALU_DEP_1)
	v_mul_f32_e32 v71, 0x3fb8aa3b, v71
	v_fma_f32 v69, s19, v116, -v68
	v_fma_f32 v70, s19, v117, -v68
	;; [unrolled: 1-line block ×4, first 2 shown]
	v_exp_f32_e32 v71, v71
	s_delay_alu instid0(VALU_DEP_3) | instskip(SKIP_2) | instid1(VALU_DEP_3)
	v_dual_mul_f32 v69, 0x3fb8aa3b, v69 :: v_dual_mul_f32 v70, 0x3fb8aa3b, v70
	v_fma_f32 v78, s19, v122, -v68
	v_fma_f32 v81, s19, v105, -v68
	v_exp_f32_e32 v69, v69
	s_delay_alu instid0(VALU_DEP_3) | instskip(SKIP_1) | instid1(VALU_DEP_2)
	v_exp_f32_e32 v70, v70
	v_mul_f32_e32 v77, 0x3fb8aa3b, v76
	v_mul_f32_e32 v81, 0x3fb8aa3b, v81
	s_delay_alu instid0(TRANS32_DEP_3) | instskip(SKIP_1) | instid1(VALU_DEP_3)
	v_cndmask_b32_e64 v83, 0, v71, s4
	v_fma_f32 v71, s19, v123, -v68
	v_exp_f32_e32 v81, v81
	s_delay_alu instid0(TRANS32_DEP_3) | instskip(NEXT) | instid1(TRANS32_DEP_2)
	v_cndmask_b32_e64 v80, 0, v69, s3
	v_cndmask_b32_e32 v76, 0, v70, vcc_lo
	v_fma_f32 v69, s19, v121, -v68
	v_mul_f32_e32 v72, 0x3fb8aa3b, v72
	v_exp_f32_e32 v77, v77
	v_dual_add_f32 v70, 0, v80 :: v_dual_mul_f32 v71, 0x3fb8aa3b, v71
	s_delay_alu instid0(VALU_DEP_3) | instskip(NEXT) | instid1(VALU_DEP_3)
	v_mul_f32_e32 v69, 0x3fb8aa3b, v69
	v_exp_f32_e32 v72, v72
	v_cmp_gt_u32_e64 s3, 16, v67
	s_delay_alu instid0(VALU_DEP_3) | instskip(NEXT) | instid1(VALU_DEP_2)
	v_exp_f32_e32 v71, v71
	v_exp_f32_e32 v69, v69
	v_cndmask_b32_e64 v86, 0, v77, s6
	v_fma_f32 v77, s19, v101, -v68
	v_add_f32_e32 v70, v70, v76
	s_delay_alu instid0(TRANS32_DEP_3) | instskip(SKIP_1) | instid1(VALU_DEP_3)
	v_cndmask_b32_e64 v85, 0, v72, s5
	v_fma_f32 v72, s19, v100, -v68
	v_dual_mul_f32 v77, 0x3fb8aa3b, v77 :: v_dual_add_f32 v70, v70, v83
	s_delay_alu instid0(TRANS32_DEP_2) | instskip(SKIP_1) | instid1(TRANS32_DEP_1)
	v_cndmask_b32_e64 v88, 0, v71, s9
	v_fma_f32 v71, s19, v104, -v68
	v_cndmask_b32_e64 v87, 0, v69, s7
	s_delay_alu instid0(VALU_DEP_4) | instskip(NEXT) | instid1(VALU_DEP_2)
	v_exp_f32_e32 v77, v77
	v_dual_add_f32 v70, v70, v85 :: v_dual_mul_f32 v71, 0x3fb8aa3b, v71
	s_delay_alu instid0(VALU_DEP_1) | instskip(SKIP_2) | instid1(VALU_DEP_3)
	v_dual_mul_f32 v72, 0x3fb8aa3b, v72 :: v_dual_add_f32 v69, v70, v86
	v_mul_f32_e32 v78, 0x3fb8aa3b, v78
	v_fma_f32 v70, s19, v102, -v68
	v_exp_f32_e32 v72, v72
	v_exp_f32_e32 v82, v71
	v_add_f32_e32 v69, v69, v87
	v_exp_f32_e32 v78, v78
	v_mul_f32_e32 v70, 0x3fb8aa3b, v70
	s_delay_alu instid0(VALU_DEP_1) | instskip(SKIP_4) | instid1(VALU_DEP_2)
	v_exp_f32_e32 v79, v70
	v_cndmask_b32_e64 v70, 0, v72, s10
	s_waitcnt_depctr 0xfff
	v_cndmask_b32_e64 v84, 0, v78, s8
	v_fma_f32 v78, s19, v103, -v68
	v_add_f32_e32 v69, v69, v84
	v_cndmask_b32_e64 v71, 0, v79, s12
	s_delay_alu instid0(VALU_DEP_2) | instskip(SKIP_2) | instid1(VALU_DEP_1)
	v_add_f32_e32 v72, v69, v88
	v_cndmask_b32_e64 v69, 0, v77, s11
	v_fma_f32 v77, s19, v106, -v68
	v_dual_mul_f32 v77, 0x3fb8aa3b, v77 :: v_dual_add_f32 v72, v72, v70
	v_mul_f32_e32 v78, 0x3fb8aa3b, v78
	s_delay_alu instid0(VALU_DEP_2) | instskip(NEXT) | instid1(VALU_DEP_2)
	v_exp_f32_e32 v90, v77
	v_add_f32_e32 v79, v72, v69
	s_delay_alu instid0(VALU_DEP_2)
	v_exp_f32_e32 v78, v78
	v_cndmask_b32_e64 v77, 0, v82, s15
	s_waitcnt_depctr 0xfff
	v_cndmask_b32_e64 v72, 0, v78, s13
	v_add_f32_e32 v78, v79, v71
	v_fma_f32 v79, s19, v107, -v68
	s_delay_alu instid0(VALU_DEP_1) | instskip(SKIP_1) | instid1(VALU_DEP_2)
	v_dual_add_f32 v82, v78, v72 :: v_dual_mul_f32 v79, 0x3fb8aa3b, v79
	v_cndmask_b32_e64 v78, 0, v81, s16
	v_add_f32_e32 v81, v82, v77
	s_delay_alu instid0(VALU_DEP_3) | instskip(SKIP_1) | instid1(VALU_DEP_2)
	v_exp_f32_e32 v82, v79
	v_cndmask_b32_e64 v79, 0, v90, s17
	v_add_f32_e32 v81, v81, v78
	s_delay_alu instid0(VALU_DEP_1) | instskip(SKIP_2) | instid1(VALU_DEP_1)
	v_add_f32_e32 v90, v81, v79
	s_waitcnt_depctr 0xfff
	v_cndmask_b32_e64 v81, 0, v82, s18
	v_add_f32_e32 v82, v90, v81
	ds_bpermute_b32 v89, v89, v82
	s_and_saveexec_b32 s4, s3
	s_cbranch_execz .LBB1788_12
; %bb.11:
	v_mul_u32_u24_e32 v67, 0x44, v66
	s_delay_alu instid0(VALU_DEP_1) | instskip(SKIP_1) | instid1(VALU_DEP_1)
	v_lshl_add_u32 v67, v65, 2, v67
	s_waitcnt lgkmcnt(0)
	v_dual_add_f32 v82, v82, v89 :: v_dual_add_nc_u32 v67, 0x4000, v67
	ds_store_2addr_b32 v67, v68, v82 offset1:136
.LBB1788_12:
	s_or_b32 exec_lo, exec_lo, s4
	v_lshlrev_b32_e32 v67, 2, v65
	s_waitcnt lgkmcnt(0)
	s_barrier
	buffer_gl0_inv
	v_cmp_eq_u32_e32 vcc_lo, 1, v66
	v_add_nc_u32_e32 v82, 0x4000, v67
	v_cmp_eq_u32_e64 s4, 2, v66
	v_cmp_eq_u32_e64 s6, 7, v66
	ds_load_2addr_b32 v[89:90], v82 offset1:17
	ds_load_2addr_b32 v[91:92], v82 offset0:34 offset1:51
	ds_load_2addr_b32 v[93:94], v82 offset0:68 offset1:85
	;; [unrolled: 1-line block ×4, first 2 shown]
	s_waitcnt lgkmcnt(4)
	v_max3_f32 v67, v89, 0xff7fffff, v90
	s_waitcnt lgkmcnt(3)
	s_delay_alu instid0(VALU_DEP_1) | instskip(SKIP_1) | instid1(VALU_DEP_1)
	v_max3_f32 v67, v67, v91, v92
	s_waitcnt lgkmcnt(2)
	v_max3_f32 v67, v67, v93, v94
	s_waitcnt lgkmcnt(1)
	s_delay_alu instid0(VALU_DEP_1) | instskip(NEXT) | instid1(VALU_DEP_1)
	v_max3_f32 v67, v67, v95, v96
	v_sub_f32_e32 v93, v93, v67
	s_delay_alu instid0(VALU_DEP_1) | instskip(NEXT) | instid1(VALU_DEP_1)
	v_dual_sub_f32 v68, v89, v67 :: v_dual_mul_f32 v103, 0x3fb8aa3b, v93
	v_mul_f32_e32 v68, 0x3fb8aa3b, v68
	s_delay_alu instid0(VALU_DEP_1)
	v_exp_f32_e32 v100, v68
	v_sub_f32_e32 v68, v92, v67
	v_sub_f32_e32 v99, v90, v67
	ds_load_2addr_b32 v[89:90], v82 offset0:170 offset1:187
	v_dual_mul_f32 v102, 0x3fb8aa3b, v68 :: v_dual_mul_f32 v99, 0x3fb8aa3b, v99
	s_waitcnt lgkmcnt(1)
	v_fma_f32 v68, v100, v97, 0
	s_delay_alu instid0(VALU_DEP_2) | instskip(NEXT) | instid1(VALU_DEP_2)
	v_exp_f32_e32 v102, v102
	v_exp_f32_e32 v99, v99
	s_waitcnt_depctr 0xfff
	v_fmac_f32_e32 v68, v99, v98
	v_sub_f32_e32 v91, v91, v67
	s_delay_alu instid0(VALU_DEP_1)
	v_mul_f32_e32 v101, 0x3fb8aa3b, v91
	ds_load_2addr_b32 v[91:92], v82 offset0:204 offset1:221
	v_sub_f32_e32 v97, v94, v67
	ds_load_2addr_b32 v[93:94], v82 offset0:238 offset1:255
	s_waitcnt lgkmcnt(0)
	v_exp_f32_e32 v101, v101
	s_barrier
	buffer_gl0_inv
	v_dual_fmac_f32 v68, v101, v89 :: v_dual_sub_f32 v89, v96, v67
	v_dual_sub_f32 v82, v95, v67 :: v_dual_mul_f32 v95, 0x3fb8aa3b, v97
	v_exp_f32_e32 v97, v103
	s_delay_alu instid0(VALU_DEP_2) | instskip(NEXT) | instid1(VALU_DEP_2)
	v_dual_fmac_f32 v68, v102, v90 :: v_dual_mul_f32 v89, 0x3fb8aa3b, v89
	v_mul_f32_e32 v82, 0x3fb8aa3b, v82
	s_delay_alu instid0(VALU_DEP_3) | instskip(NEXT) | instid1(VALU_DEP_2)
	v_exp_f32_e32 v95, v95
	v_exp_f32_e32 v89, v89
	s_delay_alu instid0(VALU_DEP_1)
	v_exp_f32_e32 v82, v82
	v_fmac_f32_e32 v68, v97, v91
	s_delay_alu instid0(TRANS32_DEP_3) | instid1(VALU_DEP_1)
	v_fmac_f32_e32 v68, v95, v92
	s_waitcnt_depctr 0xfff
	v_fmac_f32_e32 v68, v82, v93
	s_delay_alu instid0(VALU_DEP_1) | instskip(NEXT) | instid1(VALU_DEP_1)
	v_fmac_f32_e32 v68, v89, v94
	v_add_f32_e32 v90, 0x358637bd, v68
	s_delay_alu instid0(VALU_DEP_1) | instskip(NEXT) | instid1(VALU_DEP_1)
	v_div_scale_f32 v91, null, v90, v90, 1.0
	v_rcp_f32_e32 v92, v91
	s_waitcnt_depctr 0xfff
	v_fma_f32 v93, -v91, v92, 1.0
	s_delay_alu instid0(VALU_DEP_1) | instskip(SKIP_1) | instid1(VALU_DEP_2)
	v_dual_fmac_f32 v92, v93, v92 :: v_dual_cndmask_b32 v93, v100, v99
	v_cmp_eq_u32_e32 vcc_lo, 3, v66
	v_cndmask_b32_e64 v93, v93, v101, s4
	v_cmp_eq_u32_e64 s4, 4, v66
	s_delay_alu instid0(VALU_DEP_2) | instskip(SKIP_1) | instid1(VALU_DEP_2)
	v_cndmask_b32_e32 v93, v93, v102, vcc_lo
	v_cmp_eq_u32_e32 vcc_lo, 5, v66
	v_cndmask_b32_e64 v93, v93, v97, s4
	v_cmp_eq_u32_e64 s4, 6, v66
	s_delay_alu instid0(VALU_DEP_2) | instskip(SKIP_1) | instid1(VALU_DEP_1)
	v_cndmask_b32_e32 v93, v93, v95, vcc_lo
	v_div_scale_f32 v94, s5, 1.0, v90, 1.0
	s_mov_b32 vcc_lo, s5
	s_delay_alu instid0(VALU_DEP_2) | instskip(NEXT) | instid1(VALU_DEP_2)
	v_cndmask_b32_e64 v82, v93, v82, s4
	v_mul_f32_e32 v96, v94, v92
	s_mov_b32 s4, exec_lo
	s_delay_alu instid0(VALU_DEP_2) | instskip(NEXT) | instid1(VALU_DEP_2)
	v_cndmask_b32_e64 v82, v82, v89, s6
	v_fma_f32 v98, -v91, v96, v94
	s_delay_alu instid0(VALU_DEP_1) | instskip(NEXT) | instid1(VALU_DEP_1)
	v_fmac_f32_e32 v96, v98, v92
	v_fma_f32 v91, -v91, v96, v94
	s_delay_alu instid0(VALU_DEP_1) | instskip(NEXT) | instid1(VALU_DEP_1)
	v_div_fmas_f32 v91, v91, v92, v96
	v_div_fixup_f32 v90, v91, v90, 1.0
	s_delay_alu instid0(VALU_DEP_1) | instskip(NEXT) | instid1(VALU_DEP_1)
	v_mul_f32_e32 v82, v82, v90
	v_mul_f32_e32 v87, v82, v87
	;; [unrolled: 1-line block ×7, first 2 shown]
	v_dual_mul_f32 v86, v82, v83 :: v_dual_and_b32 v91, 0x7f800000, v90
	v_mul_f32_e32 v85, v82, v76
                                        ; implicit-def: $vgpr76
	s_delay_alu instid0(VALU_DEP_2)
	v_cmpx_ne_u32_e32 0x7f800000, v91
	s_xor_b32 s4, exec_lo, s4
; %bb.13:
	v_bfe_u32 v76, v90, 16, 1
	s_delay_alu instid0(VALU_DEP_1)
	v_add3_u32 v76, v90, v76, 0x7fff
                                        ; implicit-def: $vgpr90
; %bb.14:
	s_and_not1_saveexec_b32 s4, s4
; %bb.15:
	v_and_b32_e32 v76, 0xffff, v90
	v_or_b32_e32 v83, 0x10000, v90
	s_delay_alu instid0(VALU_DEP_2) | instskip(NEXT) | instid1(VALU_DEP_2)
	v_cmp_eq_u32_e32 vcc_lo, 0, v76
	v_cndmask_b32_e32 v76, v83, v90, vcc_lo
; %bb.16:
	s_or_b32 exec_lo, exec_lo, s4
	v_and_b32_e32 v83, 0x7f800000, v85
	s_delay_alu instid0(VALU_DEP_1) | instskip(SKIP_1) | instid1(SALU_CYCLE_1)
	v_cmp_ne_u32_e32 vcc_lo, 0x7f800000, v83
                                        ; implicit-def: $vgpr83
	s_and_saveexec_b32 s4, vcc_lo
	s_xor_b32 s4, exec_lo, s4
; %bb.17:
	v_bfe_u32 v83, v85, 16, 1
	s_delay_alu instid0(VALU_DEP_1)
	v_add3_u32 v83, v85, v83, 0x7fff
                                        ; implicit-def: $vgpr85
; %bb.18:
	s_and_not1_saveexec_b32 s4, s4
; %bb.19:
	v_and_b32_e32 v83, 0xffff, v85
	v_or_b32_e32 v90, 0x10000, v85
	s_delay_alu instid0(VALU_DEP_2) | instskip(NEXT) | instid1(VALU_DEP_2)
	v_cmp_eq_u32_e32 vcc_lo, 0, v83
	v_cndmask_b32_e32 v83, v90, v85, vcc_lo
; %bb.20:
	s_or_b32 exec_lo, exec_lo, s4
	v_and_b32_e32 v85, 0x7f800000, v86
	s_delay_alu instid0(VALU_DEP_1) | instskip(SKIP_1) | instid1(SALU_CYCLE_1)
	v_cmp_ne_u32_e32 vcc_lo, 0x7f800000, v85
                                        ; implicit-def: $vgpr85
	s_and_saveexec_b32 s4, vcc_lo
	s_xor_b32 s4, exec_lo, s4
; %bb.21:
	v_bfe_u32 v85, v86, 16, 1
	s_delay_alu instid0(VALU_DEP_1)
	v_add3_u32 v85, v86, v85, 0x7fff
                                        ; implicit-def: $vgpr86
; %bb.22:
	s_and_not1_saveexec_b32 s4, s4
; %bb.23:
	v_and_b32_e32 v85, 0xffff, v86
	v_or_b32_e32 v90, 0x10000, v86
	s_delay_alu instid0(VALU_DEP_2) | instskip(NEXT) | instid1(VALU_DEP_2)
	v_cmp_eq_u32_e32 vcc_lo, 0, v85
	v_cndmask_b32_e32 v85, v90, v86, vcc_lo
; %bb.24:
	s_or_b32 exec_lo, exec_lo, s4
	v_and_b32_e32 v86, 0x7f800000, v89
	s_delay_alu instid0(VALU_DEP_1) | instskip(SKIP_1) | instid1(SALU_CYCLE_1)
	v_cmp_ne_u32_e32 vcc_lo, 0x7f800000, v86
                                        ; implicit-def: $vgpr86
	s_and_saveexec_b32 s4, vcc_lo
	s_xor_b32 s4, exec_lo, s4
; %bb.25:
	v_bfe_u32 v86, v89, 16, 1
	s_delay_alu instid0(VALU_DEP_1)
	v_add3_u32 v86, v89, v86, 0x7fff
                                        ; implicit-def: $vgpr89
; %bb.26:
	s_and_not1_saveexec_b32 s4, s4
; %bb.27:
	v_and_b32_e32 v86, 0xffff, v89
	v_or_b32_e32 v90, 0x10000, v89
	s_delay_alu instid0(VALU_DEP_2) | instskip(NEXT) | instid1(VALU_DEP_2)
	v_cmp_eq_u32_e32 vcc_lo, 0, v86
	v_cndmask_b32_e32 v86, v90, v89, vcc_lo
; %bb.28:
	s_or_b32 exec_lo, exec_lo, s4
	v_and_b32_e32 v89, 0x7f800000, v88
	s_delay_alu instid0(VALU_DEP_1) | instskip(SKIP_1) | instid1(SALU_CYCLE_1)
	v_cmp_ne_u32_e32 vcc_lo, 0x7f800000, v89
                                        ; implicit-def: $vgpr89
	s_and_saveexec_b32 s4, vcc_lo
	s_xor_b32 s4, exec_lo, s4
; %bb.29:
	v_bfe_u32 v89, v88, 16, 1
	s_delay_alu instid0(VALU_DEP_1)
	v_add3_u32 v89, v88, v89, 0x7fff
                                        ; implicit-def: $vgpr88
; %bb.30:
	s_and_not1_saveexec_b32 s4, s4
; %bb.31:
	v_and_b32_e32 v89, 0xffff, v88
	v_or_b32_e32 v90, 0x10000, v88
	s_delay_alu instid0(VALU_DEP_2) | instskip(NEXT) | instid1(VALU_DEP_2)
	v_cmp_eq_u32_e32 vcc_lo, 0, v89
	v_cndmask_b32_e32 v89, v90, v88, vcc_lo
; %bb.32:
	s_or_b32 exec_lo, exec_lo, s4
	v_and_b32_e32 v88, 0x7f800000, v87
	s_delay_alu instid0(VALU_DEP_1) | instskip(SKIP_1) | instid1(SALU_CYCLE_1)
	v_cmp_ne_u32_e32 vcc_lo, 0x7f800000, v88
                                        ; implicit-def: $vgpr88
	s_and_saveexec_b32 s4, vcc_lo
	s_xor_b32 s4, exec_lo, s4
; %bb.33:
	v_bfe_u32 v88, v87, 16, 1
	s_delay_alu instid0(VALU_DEP_1)
	v_add3_u32 v88, v87, v88, 0x7fff
                                        ; implicit-def: $vgpr87
; %bb.34:
	s_and_not1_saveexec_b32 s4, s4
; %bb.35:
	v_and_b32_e32 v88, 0xffff, v87
	v_or_b32_e32 v90, 0x10000, v87
	s_delay_alu instid0(VALU_DEP_2) | instskip(NEXT) | instid1(VALU_DEP_2)
	v_cmp_eq_u32_e32 vcc_lo, 0, v88
	v_cndmask_b32_e32 v88, v90, v87, vcc_lo
; %bb.36:
	s_or_b32 exec_lo, exec_lo, s4
	v_and_b32_e32 v87, 0x7f800000, v84
	s_delay_alu instid0(VALU_DEP_1) | instskip(SKIP_1) | instid1(SALU_CYCLE_1)
	v_cmp_ne_u32_e32 vcc_lo, 0x7f800000, v87
                                        ; implicit-def: $vgpr87
	s_and_saveexec_b32 s4, vcc_lo
	s_xor_b32 s4, exec_lo, s4
; %bb.37:
	v_bfe_u32 v87, v84, 16, 1
	s_delay_alu instid0(VALU_DEP_1)
	v_add3_u32 v87, v84, v87, 0x7fff
                                        ; implicit-def: $vgpr84
; %bb.38:
	s_and_not1_saveexec_b32 s4, s4
; %bb.39:
	v_and_b32_e32 v87, 0xffff, v84
	v_or_b32_e32 v90, 0x10000, v84
	s_delay_alu instid0(VALU_DEP_2) | instskip(NEXT) | instid1(VALU_DEP_2)
	v_cmp_eq_u32_e32 vcc_lo, 0, v87
	v_cndmask_b32_e32 v87, v90, v84, vcc_lo
; %bb.40:
	s_or_b32 exec_lo, exec_lo, s4
	v_and_b32_e32 v84, 0x7f800000, v80
	s_delay_alu instid0(VALU_DEP_1) | instskip(SKIP_1) | instid1(SALU_CYCLE_1)
	v_cmp_ne_u32_e32 vcc_lo, 0x7f800000, v84
                                        ; implicit-def: $vgpr84
	s_and_saveexec_b32 s4, vcc_lo
	s_xor_b32 s4, exec_lo, s4
; %bb.41:
	v_bfe_u32 v84, v80, 16, 1
	s_delay_alu instid0(VALU_DEP_1)
	v_add3_u32 v84, v80, v84, 0x7fff
                                        ; implicit-def: $vgpr80
; %bb.42:
	s_and_not1_saveexec_b32 s4, s4
; %bb.43:
	v_and_b32_e32 v84, 0xffff, v80
	v_or_b32_e32 v90, 0x10000, v80
	s_delay_alu instid0(VALU_DEP_2) | instskip(NEXT) | instid1(VALU_DEP_2)
	v_cmp_eq_u32_e32 vcc_lo, 0, v84
	v_cndmask_b32_e32 v84, v90, v80, vcc_lo
; %bb.44:
	s_or_b32 exec_lo, exec_lo, s4
	s_load_b64 s[36:37], s[0:1], 0x94
	v_lshlrev_b32_e32 v91, 4, v74
	s_delay_alu instid0(VALU_DEP_2)
	v_perm_b32 v90, v84, v87, 0x7060302
	v_dual_mul_f32 v79, v82, v79 :: v_dual_lshlrev_b32 v80, 6, v65
	v_dual_mul_f32 v77, v82, v77 :: v_dual_lshlrev_b32 v92, 11, v66
	v_mul_f32_e32 v84, v82, v70
	v_perm_b32 v89, v88, v89, 0x7060302
	v_perm_b32 v88, v86, v85, 0x7060302
	;; [unrolled: 1-line block ×3, first 2 shown]
	v_mul_f32_e32 v70, v82, v81
	v_or3_b32 v76, v91, v92, v80
	v_dual_mul_f32 v78, v82, v78 :: v_dual_and_b32 v85, 0x7f800000, v84
	v_mul_f32_e32 v83, v82, v72
	v_mul_f32_e32 v81, v82, v71
	;; [unrolled: 1-line block ×3, first 2 shown]
	s_mov_b32 s4, exec_lo
	ds_store_b128 v76, v[87:90]
                                        ; implicit-def: $vgpr69
	v_cmpx_ne_u32_e32 0x7f800000, v85
	s_xor_b32 s4, exec_lo, s4
; %bb.45:
	v_bfe_u32 v69, v84, 16, 1
	s_delay_alu instid0(VALU_DEP_1)
	v_add3_u32 v69, v84, v69, 0x7fff
                                        ; implicit-def: $vgpr84
; %bb.46:
	s_and_not1_saveexec_b32 s4, s4
; %bb.47:
	v_and_b32_e32 v69, 0xffff, v84
	v_or_b32_e32 v71, 0x10000, v84
	s_delay_alu instid0(VALU_DEP_2) | instskip(NEXT) | instid1(VALU_DEP_2)
	v_cmp_eq_u32_e32 vcc_lo, 0, v69
	v_cndmask_b32_e32 v69, v71, v84, vcc_lo
; %bb.48:
	s_or_b32 exec_lo, exec_lo, s4
	v_and_b32_e32 v71, 0x7f800000, v72
	s_delay_alu instid0(VALU_DEP_1) | instskip(SKIP_1) | instid1(SALU_CYCLE_1)
	v_cmp_ne_u32_e32 vcc_lo, 0x7f800000, v71
                                        ; implicit-def: $vgpr71
	s_and_saveexec_b32 s4, vcc_lo
	s_xor_b32 s4, exec_lo, s4
; %bb.49:
	v_bfe_u32 v71, v72, 16, 1
	s_delay_alu instid0(VALU_DEP_1)
	v_add3_u32 v71, v72, v71, 0x7fff
                                        ; implicit-def: $vgpr72
; %bb.50:
	s_and_not1_saveexec_b32 s4, s4
; %bb.51:
	v_and_b32_e32 v71, 0xffff, v72
	v_or_b32_e32 v82, 0x10000, v72
	s_delay_alu instid0(VALU_DEP_2) | instskip(NEXT) | instid1(VALU_DEP_2)
	v_cmp_eq_u32_e32 vcc_lo, 0, v71
	v_cndmask_b32_e32 v71, v82, v72, vcc_lo
; %bb.52:
	s_or_b32 exec_lo, exec_lo, s4
	v_and_b32_e32 v72, 0x7f800000, v81
	s_delay_alu instid0(VALU_DEP_1) | instskip(SKIP_1) | instid1(SALU_CYCLE_1)
	v_cmp_ne_u32_e32 vcc_lo, 0x7f800000, v72
                                        ; implicit-def: $vgpr72
	s_and_saveexec_b32 s4, vcc_lo
	s_xor_b32 s4, exec_lo, s4
; %bb.53:
	v_bfe_u32 v72, v81, 16, 1
	s_delay_alu instid0(VALU_DEP_1)
	v_add3_u32 v72, v81, v72, 0x7fff
                                        ; implicit-def: $vgpr81
; %bb.54:
	s_and_not1_saveexec_b32 s4, s4
; %bb.55:
	v_and_b32_e32 v72, 0xffff, v81
	v_or_b32_e32 v82, 0x10000, v81
	s_delay_alu instid0(VALU_DEP_2) | instskip(NEXT) | instid1(VALU_DEP_2)
	v_cmp_eq_u32_e32 vcc_lo, 0, v72
	v_cndmask_b32_e32 v72, v82, v81, vcc_lo
; %bb.56:
	s_or_b32 exec_lo, exec_lo, s4
	v_and_b32_e32 v81, 0x7f800000, v83
	s_delay_alu instid0(VALU_DEP_1) | instskip(SKIP_1) | instid1(SALU_CYCLE_1)
	v_cmp_ne_u32_e32 vcc_lo, 0x7f800000, v81
                                        ; implicit-def: $vgpr81
	s_and_saveexec_b32 s4, vcc_lo
	s_xor_b32 s4, exec_lo, s4
; %bb.57:
	v_bfe_u32 v81, v83, 16, 1
	s_delay_alu instid0(VALU_DEP_1)
	v_add3_u32 v81, v83, v81, 0x7fff
                                        ; implicit-def: $vgpr83
; %bb.58:
	s_and_not1_saveexec_b32 s4, s4
; %bb.59:
	v_and_b32_e32 v81, 0xffff, v83
	v_or_b32_e32 v82, 0x10000, v83
	s_delay_alu instid0(VALU_DEP_2) | instskip(NEXT) | instid1(VALU_DEP_2)
	v_cmp_eq_u32_e32 vcc_lo, 0, v81
	v_cndmask_b32_e32 v81, v82, v83, vcc_lo
; %bb.60:
	s_or_b32 exec_lo, exec_lo, s4
	v_and_b32_e32 v82, 0x7f800000, v77
	s_delay_alu instid0(VALU_DEP_1) | instskip(SKIP_1) | instid1(SALU_CYCLE_1)
	v_cmp_ne_u32_e32 vcc_lo, 0x7f800000, v82
                                        ; implicit-def: $vgpr82
	s_and_saveexec_b32 s4, vcc_lo
	s_xor_b32 s4, exec_lo, s4
; %bb.61:
	v_bfe_u32 v82, v77, 16, 1
	s_delay_alu instid0(VALU_DEP_1)
	v_add3_u32 v82, v77, v82, 0x7fff
                                        ; implicit-def: $vgpr77
; %bb.62:
	s_and_not1_saveexec_b32 s4, s4
; %bb.63:
	v_and_b32_e32 v82, 0xffff, v77
	v_or_b32_e32 v83, 0x10000, v77
	s_delay_alu instid0(VALU_DEP_2) | instskip(NEXT) | instid1(VALU_DEP_2)
	v_cmp_eq_u32_e32 vcc_lo, 0, v82
	v_cndmask_b32_e32 v82, v83, v77, vcc_lo
; %bb.64:
	s_or_b32 exec_lo, exec_lo, s4
	v_and_b32_e32 v77, 0x7f800000, v78
	s_delay_alu instid0(VALU_DEP_1) | instskip(SKIP_1) | instid1(SALU_CYCLE_1)
	v_cmp_ne_u32_e32 vcc_lo, 0x7f800000, v77
                                        ; implicit-def: $vgpr77
	s_and_saveexec_b32 s4, vcc_lo
	s_xor_b32 s4, exec_lo, s4
; %bb.65:
	v_bfe_u32 v77, v78, 16, 1
	s_delay_alu instid0(VALU_DEP_1)
	v_add3_u32 v77, v78, v77, 0x7fff
                                        ; implicit-def: $vgpr78
; %bb.66:
	s_and_not1_saveexec_b32 s4, s4
; %bb.67:
	v_and_b32_e32 v77, 0xffff, v78
	v_or_b32_e32 v83, 0x10000, v78
	s_delay_alu instid0(VALU_DEP_2) | instskip(NEXT) | instid1(VALU_DEP_2)
	v_cmp_eq_u32_e32 vcc_lo, 0, v77
	v_cndmask_b32_e32 v77, v83, v78, vcc_lo
; %bb.68:
	s_or_b32 exec_lo, exec_lo, s4
	v_and_b32_e32 v78, 0x7f800000, v79
	s_delay_alu instid0(VALU_DEP_1) | instskip(SKIP_1) | instid1(SALU_CYCLE_1)
	v_cmp_ne_u32_e32 vcc_lo, 0x7f800000, v78
                                        ; implicit-def: $vgpr78
	s_and_saveexec_b32 s4, vcc_lo
	s_xor_b32 s4, exec_lo, s4
; %bb.69:
	v_bfe_u32 v78, v79, 16, 1
	s_delay_alu instid0(VALU_DEP_1)
	v_add3_u32 v78, v79, v78, 0x7fff
                                        ; implicit-def: $vgpr79
; %bb.70:
	s_and_not1_saveexec_b32 s4, s4
; %bb.71:
	v_and_b32_e32 v78, 0xffff, v79
	v_or_b32_e32 v83, 0x10000, v79
	s_delay_alu instid0(VALU_DEP_2) | instskip(NEXT) | instid1(VALU_DEP_2)
	v_cmp_eq_u32_e32 vcc_lo, 0, v78
	v_cndmask_b32_e32 v78, v83, v79, vcc_lo
; %bb.72:
	s_or_b32 exec_lo, exec_lo, s4
	v_and_b32_e32 v79, 0x7f800000, v70
	s_delay_alu instid0(VALU_DEP_1) | instskip(SKIP_1) | instid1(SALU_CYCLE_1)
	v_cmp_ne_u32_e32 vcc_lo, 0x7f800000, v79
                                        ; implicit-def: $vgpr79
	s_and_saveexec_b32 s4, vcc_lo
	s_xor_b32 s4, exec_lo, s4
; %bb.73:
	v_bfe_u32 v79, v70, 16, 1
	s_delay_alu instid0(VALU_DEP_1)
	v_add3_u32 v79, v70, v79, 0x7fff
                                        ; implicit-def: $vgpr70
; %bb.74:
	s_and_not1_saveexec_b32 s4, s4
; %bb.75:
	v_and_b32_e32 v79, 0xffff, v70
	v_or_b32_e32 v83, 0x10000, v70
	s_delay_alu instid0(VALU_DEP_2) | instskip(NEXT) | instid1(VALU_DEP_2)
	v_cmp_eq_u32_e32 vcc_lo, 0, v79
	v_cndmask_b32_e32 v79, v83, v70, vcc_lo
; %bb.76:
	s_or_b32 exec_lo, exec_lo, s4
	s_delay_alu instid0(VALU_DEP_1)
	v_perm_b32 v86, v79, v78, 0x7060302
	v_perm_b32 v85, v77, v82, 0x7060302
	;; [unrolled: 1-line block ×4, first 2 shown]
	v_lshl_or_b32 v82, v66, 11, v80
	ds_store_b128 v76, v[83:86] offset:1024
	s_waitcnt lgkmcnt(0)
	s_barrier
	buffer_gl0_inv
	ds_load_b128 v[69:72], v82
	ds_load_b128 v[83:86], v82 offset:16
	s_waitcnt lgkmcnt(1)
	v_lshrrev_b32_e32 v66, 16, v69
	s_waitcnt lgkmcnt(0)
	v_lshrrev_b32_e32 v91, 16, v83
	v_lshlrev_b32_e32 v78, 2, v74
	v_lshrrev_b32_e32 v95, 16, v70
	v_lshrrev_b32_e32 v98, 16, v84
	;; [unrolled: 1-line block ×4, first 2 shown]
	v_cmp_eq_u32_e32 vcc_lo, 1, v78
	v_lshrrev_b32_e32 v97, 16, v72
	v_lshrrev_b32_e32 v100, 16, v86
	v_cndmask_b32_e32 v87, v83, v91, vcc_lo
	v_or_b32_e32 v79, 1, v78
	v_cndmask_b32_e32 v81, v69, v66, vcc_lo
	v_cmp_eq_u32_e64 s5, 2, v78
	v_cmp_eq_u32_e64 s8, 3, v78
	;; [unrolled: 1-line block ×5, first 2 shown]
	v_cndmask_b32_e64 v81, v81, v70, s5
	v_cndmask_b32_e64 v87, v87, v84, s5
	v_cmp_eq_u32_e64 s9, 3, v79
	v_cndmask_b32_e64 v88, v69, v66, s4
	v_or_b32_e32 v77, 2, v78
	v_cndmask_b32_e64 v81, v81, v95, s8
	v_cndmask_b32_e64 v87, v87, v98, s8
	;; [unrolled: 1-line block ×4, first 2 shown]
	v_cmp_eq_u32_e64 s11, 5, v78
	v_cndmask_b32_e64 v81, v81, v71, s10
	v_cndmask_b32_e64 v87, v87, v85, s10
	v_cmp_eq_u32_e64 s12, 4, v79
	v_cndmask_b32_e64 v88, v88, v95, s9
	v_cmp_eq_u32_e64 s6, 1, v77
	v_cndmask_b32_e64 v89, v89, v84, s7
	v_cndmask_b32_e64 v81, v81, v96, s11
	v_cmp_eq_u32_e64 s13, 6, v78
	v_cndmask_b32_e64 v88, v88, v71, s12
	;; [unrolled: 3-line block ×3, first 2 shown]
	v_cndmask_b32_e64 v89, v89, v98, s9
	v_cndmask_b32_e64 v81, v81, v72, s13
	v_cmp_eq_u32_e64 s16, 7, v78
	v_cndmask_b32_e64 v88, v88, v96, s15
	v_cndmask_b32_e64 v87, v87, v86, s13
	v_cmp_eq_u32_e64 s17, 6, v79
	v_cmp_eq_u32_e64 s18, 2, v77
	v_cndmask_b32_e64 v89, v89, v85, s12
	v_cndmask_b32_e64 v101, v81, v97, s16
	;; [unrolled: 1-line block ×6, first 2 shown]
	v_cmp_eq_u32_e64 s19, 7, v79
	v_cmp_eq_u32_e64 s20, 3, v77
	;; [unrolled: 1-line block ×4, first 2 shown]
	v_cndmask_b32_e64 v87, v87, v84, s18
	v_cndmask_b32_e64 v103, v88, v97, s19
	;; [unrolled: 1-line block ×4, first 2 shown]
	v_or_b32_e32 v81, 3, v78
	v_cndmask_b32_e64 v93, v87, v98, s20
	v_cmp_eq_u32_e64 s25, 6, v77
	v_cndmask_b32_e64 v104, v88, v86, s17
	v_cndmask_b32_e64 v92, v89, v71, s21
	v_cmp_eq_u32_e64 s22, 1, v81
	ds_load_b128 v[87:90], v82 offset:1024
	v_cmp_eq_u32_e64 s24, 2, v81
	v_cmp_eq_u32_e64 s26, 3, v81
	v_cndmask_b32_e64 v105, v92, v96, s23
	v_cndmask_b32_e64 v66, v69, v66, s22
	;; [unrolled: 1-line block ×4, first 2 shown]
	ds_load_b128 v[91:94], v82 offset:1040
	v_cmp_eq_u32_e64 s27, 4, v81
	v_cndmask_b32_e64 v66, v66, v70, s24
	v_cmp_eq_u32_e64 s28, 7, v77
	v_cndmask_b32_e64 v70, v83, v84, s24
	v_cndmask_b32_e64 v84, v105, v72, s25
	v_cmp_eq_u32_e64 s29, 5, v81
	v_cndmask_b32_e64 v66, v66, v95, s26
	v_cmp_eq_u32_e64 s30, 6, v81
	v_cndmask_b32_e64 v70, v70, v98, s26
	v_cndmask_b32_e64 v69, v69, v99, s23
	;; [unrolled: 1-line block ×4, first 2 shown]
	s_waitcnt lgkmcnt(1)
	v_lshrrev_b32_e32 v95, 16, v87
	v_cndmask_b32_e64 v70, v70, v85, s27
	v_cndmask_b32_e64 v71, v84, v97, s28
	;; [unrolled: 1-line block ×4, first 2 shown]
	v_cndmask_b32_e32 v84, v87, v95, vcc_lo
	v_cndmask_b32_e64 v70, v70, v99, s29
	s_waitcnt lgkmcnt(0)
	v_lshrrev_b32_e32 v85, 16, v91
	v_lshrrev_b32_e32 v96, 16, v88
	v_cndmask_b32_e64 v98, v87, v95, s4
	v_cndmask_b32_e64 v84, v84, v88, s5
	;; [unrolled: 1-line block ×3, first 2 shown]
	v_cndmask_b32_e32 v99, v91, v85, vcc_lo
	v_cmp_eq_u32_e32 vcc_lo, 7, v81
	v_cndmask_b32_e64 v66, v66, v72, s30
	v_cndmask_b32_e64 v72, v84, v96, s8
	;; [unrolled: 1-line block ×3, first 2 shown]
	v_lshrrev_b32_e32 v98, 16, v92
	v_cndmask_b32_e32 v70, v70, v100, vcc_lo
	v_cndmask_b32_e64 v86, v99, v92, s5
	v_cndmask_b32_e64 v69, v69, v100, s28
	v_lshrrev_b32_e32 v100, 16, v93
	v_cndmask_b32_e64 v72, v72, v89, s10
	v_lshrrev_b32_e32 v99, 16, v89
	v_cndmask_b32_e64 v86, v86, v98, s8
	v_perm_b32 v71, v69, v71, 0x5040100
	v_cndmask_b32_e64 v84, v84, v96, s9
	s_delay_alu instid0(VALU_DEP_3) | instskip(NEXT) | instid1(VALU_DEP_2)
	v_cndmask_b32_e64 v86, v86, v93, s10
	v_cndmask_b32_e64 v84, v84, v89, s12
	s_delay_alu instid0(VALU_DEP_2) | instskip(NEXT) | instid1(VALU_DEP_1)
	v_cndmask_b32_e64 v86, v86, v100, s11
	v_cndmask_b32_e64 v69, v86, v94, s13
	;; [unrolled: 1-line block ×5, first 2 shown]
	s_delay_alu instid0(VALU_DEP_3) | instskip(NEXT) | instid1(VALU_DEP_3)
	v_cndmask_b32_e64 v86, v86, v88, s18
	v_cndmask_b32_e64 v87, v87, v88, s24
	s_delay_alu instid0(VALU_DEP_3) | instskip(NEXT) | instid1(VALU_DEP_3)
	v_cndmask_b32_e64 v88, v95, v92, s24
	v_cndmask_b32_e64 v86, v86, v96, s20
	;; [unrolled: 3-line block ×7, first 2 shown]
	s_delay_alu instid0(VALU_DEP_3) | instskip(SKIP_2) | instid1(VALU_DEP_2)
	v_cndmask_b32_e64 v88, v88, v94, s30
	v_cndmask_b32_e32 v66, v66, v97, vcc_lo
	v_cndmask_b32_e64 v97, v72, v99, s11
	v_perm_b32 v72, v70, v66, 0x5040100
	v_perm_b32 v70, v83, v103, 0x5040100
	v_cndmask_b32_e64 v103, v91, v85, s6
	v_cndmask_b32_e64 v85, v91, v85, s4
	;; [unrolled: 1-line block ×4, first 2 shown]
	v_lshrrev_b32_e32 v97, 16, v90
	v_cndmask_b32_e64 v91, v103, v92, s18
	v_cndmask_b32_e64 v85, v85, v92, s7
	;; [unrolled: 1-line block ×3, first 2 shown]
	s_mov_b32 s4, exec_lo
	v_cndmask_b32_e64 v83, v84, v97, s16
	v_cndmask_b32_e64 v91, v91, v98, s20
	;; [unrolled: 1-line block ×3, first 2 shown]
	v_lshrrev_b32_e32 v84, 16, v94
	v_cndmask_b32_e64 v66, v66, v97, s19
	v_cndmask_b32_e64 v90, v86, v97, s28
	;; [unrolled: 1-line block ×4, first 2 shown]
	v_dual_cndmask_b32 v86, v87, v97 :: v_dual_cndmask_b32 v87, v88, v84
	v_cndmask_b32_e64 v91, v69, v84, s16
	s_delay_alu instid0(VALU_DEP_4) | instskip(NEXT) | instid1(VALU_DEP_4)
	v_cndmask_b32_e64 v89, v89, v100, s23
	v_cndmask_b32_e64 v85, v85, v100, s15
	v_perm_b32 v69, v102, v101, 0x5040100
	v_perm_b32 v86, v87, v86, 0x5040100
	;; [unrolled: 1-line block ×3, first 2 shown]
	v_cndmask_b32_e64 v89, v89, v94, s25
	v_cndmask_b32_e64 v85, v85, v94, s17
	s_mul_i32 s9, s37, 15
	s_delay_alu instid0(VALU_DEP_2) | instskip(NEXT) | instid1(VALU_DEP_2)
	v_cndmask_b32_e64 v88, v89, v84, s28
	v_cndmask_b32_e64 v89, v85, v84, s19
	s_delay_alu instid0(VALU_DEP_2) | instskip(NEXT) | instid1(VALU_DEP_2)
	v_perm_b32 v85, v88, v90, 0x5040100
	v_perm_b32 v84, v89, v66, 0x5040100
	ds_store_b128 v76, v[69:72]
	ds_store_b128 v76, v[83:86] offset:1024
	v_cmpx_gt_u32_e32 15, v0
	s_cbranch_execz .LBB1788_78
; %bb.77:
	s_mul_i32 s5, s9, s34
	s_load_b128 s[16:19], s[0:1], 0x58
	v_add3_u32 v69, s5, s31, v65
	s_delay_alu instid0(VALU_DEP_1) | instskip(NEXT) | instid1(VALU_DEP_1)
	v_mad_u64_u32 v[65:66], null, v69, s36, s[14:15]
	v_ashrrev_i32_e32 v66, 31, v65
	s_delay_alu instid0(VALU_DEP_1) | instskip(SKIP_1) | instid1(VALU_DEP_1)
	v_lshlrev_b64 v[65:66], 2, v[65:66]
	s_waitcnt lgkmcnt(0)
	v_add_co_u32 v69, vcc_lo, s18, v65
	s_delay_alu instid0(VALU_DEP_2)
	v_add_co_ci_u32_e32 v70, vcc_lo, s19, v66, vcc_lo
	v_add_co_u32 v65, vcc_lo, s16, v65
	v_add_co_ci_u32_e32 v66, vcc_lo, s17, v66, vcc_lo
	global_store_b32 v[69:70], v67, off
	global_store_b32 v[65:66], v68, off
.LBB1788_78:
	s_or_b32 exec_lo, exec_lo, s4
	s_waitcnt lgkmcnt(0)
	s_waitcnt_vscnt null, 0x0
	s_barrier
	buffer_gl0_inv
	ds_load_b128 v[83:86], v80
	ds_load_b128 v[87:90], v80 offset:16
	ds_load_b128 v[95:98], v80 offset:2064
	;; [unrolled: 1-line block ×3, first 2 shown]
	v_mov_b32_e32 v65, 0
	ds_load_b128 v[103:106], v80 offset:4112
	ds_load_b128 v[99:102], v80 offset:4096
	;; [unrolled: 1-line block ×4, first 2 shown]
	v_mov_b32_e32 v66, v65
	v_mov_b32_e32 v67, v65
	;; [unrolled: 1-line block ×7, first 2 shown]
	s_waitcnt lgkmcnt(6)
	s_delay_alu instid0(VALU_DEP_1)
	v_wmma_f32_16x16x16_bf16 v[65:72], v[57:64], v[83:90], v[65:72]
	ds_load_b128 v[61:64], v80 offset:8208
	ds_load_b128 v[57:60], v80 offset:8192
	s_waitcnt lgkmcnt(6)
	v_wmma_f32_16x16x16_bf16 v[65:72], v[41:48], v[91:98], v[65:72]
	ds_load_b128 v[45:48], v80 offset:10256
	ds_load_b128 v[41:44], v80 offset:10240
	s_waitcnt lgkmcnt(6)
	;; [unrolled: 4-line block ×4, first 2 shown]
	v_wmma_f32_16x16x16_bf16 v[65:72], v[1:8], v[57:64], v[65:72]
	s_waitcnt lgkmcnt(4)
	s_delay_alu instid0(VALU_DEP_1) | instskip(SKIP_1) | instid1(VALU_DEP_1)
	v_wmma_f32_16x16x16_bf16 v[65:72], v[9:16], v[41:48], v[65:72]
	s_waitcnt lgkmcnt(2)
	v_wmma_f32_16x16x16_bf16 v[65:72], v[17:24], v[33:40], v[65:72]
	s_waitcnt lgkmcnt(0)
	s_delay_alu instid0(VALU_DEP_1) | instskip(NEXT) | instid1(VALU_DEP_1)
	v_wmma_f32_16x16x16_bf16 v[65:72], v[49:56], v[25:32], v[65:72]
	v_and_b32_e32 v1, 0x7f800000, v65
	s_delay_alu instid0(VALU_DEP_1) | instskip(SKIP_1) | instid1(SALU_CYCLE_1)
	v_cmp_ne_u32_e32 vcc_lo, 0x7f800000, v1
                                        ; implicit-def: $vgpr1
	s_and_saveexec_b32 s4, vcc_lo
	s_xor_b32 s4, exec_lo, s4
; %bb.79:
	v_bfe_u32 v1, v65, 16, 1
	s_delay_alu instid0(VALU_DEP_1)
	v_add3_u32 v1, v65, v1, 0x7fff
; %bb.80:
	s_and_not1_saveexec_b32 s4, s4
; %bb.81:
	v_and_b32_e32 v1, 0xffff, v65
	v_or_b32_e32 v2, 0x10000, v65
	s_delay_alu instid0(VALU_DEP_2) | instskip(NEXT) | instid1(VALU_DEP_2)
	v_cmp_eq_u32_e32 vcc_lo, 0, v1
	v_cndmask_b32_e32 v1, v2, v65, vcc_lo
; %bb.82:
	s_or_b32 exec_lo, exec_lo, s4
	v_and_b32_e32 v2, 0x7f800000, v66
	s_delay_alu instid0(VALU_DEP_1) | instskip(SKIP_1) | instid1(SALU_CYCLE_1)
	v_cmp_ne_u32_e32 vcc_lo, 0x7f800000, v2
                                        ; implicit-def: $vgpr2
	s_and_saveexec_b32 s4, vcc_lo
	s_xor_b32 s4, exec_lo, s4
; %bb.83:
	v_bfe_u32 v2, v66, 16, 1
	s_delay_alu instid0(VALU_DEP_1)
	v_add3_u32 v2, v66, v2, 0x7fff
; %bb.84:
	s_and_not1_saveexec_b32 s4, s4
; %bb.85:
	v_and_b32_e32 v2, 0xffff, v66
	v_or_b32_e32 v3, 0x10000, v66
	s_delay_alu instid0(VALU_DEP_2) | instskip(NEXT) | instid1(VALU_DEP_2)
	v_cmp_eq_u32_e32 vcc_lo, 0, v2
	v_cndmask_b32_e32 v2, v3, v66, vcc_lo
; %bb.86:
	s_or_b32 exec_lo, exec_lo, s4
	v_and_b32_e32 v3, 0x7f800000, v67
	s_delay_alu instid0(VALU_DEP_1) | instskip(SKIP_1) | instid1(SALU_CYCLE_1)
	v_cmp_ne_u32_e32 vcc_lo, 0x7f800000, v3
                                        ; implicit-def: $vgpr3
	s_and_saveexec_b32 s4, vcc_lo
	s_xor_b32 s4, exec_lo, s4
; %bb.87:
	v_bfe_u32 v3, v67, 16, 1
	s_delay_alu instid0(VALU_DEP_1)
	v_add3_u32 v3, v67, v3, 0x7fff
; %bb.88:
	s_and_not1_saveexec_b32 s4, s4
; %bb.89:
	v_and_b32_e32 v3, 0xffff, v67
	v_or_b32_e32 v4, 0x10000, v67
	s_delay_alu instid0(VALU_DEP_2) | instskip(NEXT) | instid1(VALU_DEP_2)
	v_cmp_eq_u32_e32 vcc_lo, 0, v3
	v_cndmask_b32_e32 v3, v4, v67, vcc_lo
; %bb.90:
	s_or_b32 exec_lo, exec_lo, s4
	v_and_b32_e32 v4, 0x7f800000, v68
	s_delay_alu instid0(VALU_DEP_1) | instskip(SKIP_1) | instid1(SALU_CYCLE_1)
	v_cmp_ne_u32_e32 vcc_lo, 0x7f800000, v4
                                        ; implicit-def: $vgpr4
	s_and_saveexec_b32 s4, vcc_lo
	s_xor_b32 s4, exec_lo, s4
; %bb.91:
	v_bfe_u32 v4, v68, 16, 1
	s_delay_alu instid0(VALU_DEP_1)
	v_add3_u32 v4, v68, v4, 0x7fff
; %bb.92:
	s_and_not1_saveexec_b32 s4, s4
; %bb.93:
	v_and_b32_e32 v4, 0xffff, v68
	v_or_b32_e32 v5, 0x10000, v68
	s_delay_alu instid0(VALU_DEP_2) | instskip(NEXT) | instid1(VALU_DEP_2)
	v_cmp_eq_u32_e32 vcc_lo, 0, v4
	v_cndmask_b32_e32 v4, v5, v68, vcc_lo
; %bb.94:
	s_or_b32 exec_lo, exec_lo, s4
	v_and_b32_e32 v5, 0x7f800000, v69
	s_delay_alu instid0(VALU_DEP_1) | instskip(SKIP_1) | instid1(SALU_CYCLE_1)
	v_cmp_ne_u32_e32 vcc_lo, 0x7f800000, v5
                                        ; implicit-def: $vgpr5
	s_and_saveexec_b32 s4, vcc_lo
	s_xor_b32 s4, exec_lo, s4
; %bb.95:
	v_bfe_u32 v5, v69, 16, 1
	s_delay_alu instid0(VALU_DEP_1)
	v_add3_u32 v5, v69, v5, 0x7fff
; %bb.96:
	s_and_not1_saveexec_b32 s4, s4
; %bb.97:
	v_and_b32_e32 v5, 0xffff, v69
	v_or_b32_e32 v6, 0x10000, v69
	s_delay_alu instid0(VALU_DEP_2) | instskip(NEXT) | instid1(VALU_DEP_2)
	v_cmp_eq_u32_e32 vcc_lo, 0, v5
	v_cndmask_b32_e32 v5, v6, v69, vcc_lo
; %bb.98:
	s_or_b32 exec_lo, exec_lo, s4
	v_and_b32_e32 v6, 0x7f800000, v70
	s_delay_alu instid0(VALU_DEP_1) | instskip(SKIP_1) | instid1(SALU_CYCLE_1)
	v_cmp_ne_u32_e32 vcc_lo, 0x7f800000, v6
                                        ; implicit-def: $vgpr6
	s_and_saveexec_b32 s4, vcc_lo
	s_xor_b32 s4, exec_lo, s4
; %bb.99:
	v_bfe_u32 v6, v70, 16, 1
	s_delay_alu instid0(VALU_DEP_1)
	v_add3_u32 v6, v70, v6, 0x7fff
; %bb.100:
	s_and_not1_saveexec_b32 s4, s4
; %bb.101:
	v_and_b32_e32 v6, 0xffff, v70
	v_or_b32_e32 v7, 0x10000, v70
	s_delay_alu instid0(VALU_DEP_2) | instskip(NEXT) | instid1(VALU_DEP_2)
	v_cmp_eq_u32_e32 vcc_lo, 0, v6
	v_cndmask_b32_e32 v6, v7, v70, vcc_lo
; %bb.102:
	s_or_b32 exec_lo, exec_lo, s4
	v_and_b32_e32 v7, 0x7f800000, v71
	s_delay_alu instid0(VALU_DEP_1) | instskip(SKIP_1) | instid1(SALU_CYCLE_1)
	v_cmp_ne_u32_e32 vcc_lo, 0x7f800000, v7
                                        ; implicit-def: $vgpr7
	s_and_saveexec_b32 s4, vcc_lo
	s_xor_b32 s4, exec_lo, s4
; %bb.103:
	v_bfe_u32 v7, v71, 16, 1
	s_delay_alu instid0(VALU_DEP_1)
	v_add3_u32 v7, v71, v7, 0x7fff
; %bb.104:
	s_and_not1_saveexec_b32 s4, s4
; %bb.105:
	v_and_b32_e32 v7, 0xffff, v71
	v_or_b32_e32 v8, 0x10000, v71
	s_delay_alu instid0(VALU_DEP_2) | instskip(NEXT) | instid1(VALU_DEP_2)
	v_cmp_eq_u32_e32 vcc_lo, 0, v7
	v_cndmask_b32_e32 v7, v8, v71, vcc_lo
; %bb.106:
	s_or_b32 exec_lo, exec_lo, s4
	v_and_b32_e32 v8, 0x7f800000, v72
	s_delay_alu instid0(VALU_DEP_1) | instskip(SKIP_1) | instid1(SALU_CYCLE_1)
	v_cmp_ne_u32_e32 vcc_lo, 0x7f800000, v8
                                        ; implicit-def: $vgpr8
	s_and_saveexec_b32 s4, vcc_lo
	s_xor_b32 s4, exec_lo, s4
; %bb.107:
	v_bfe_u32 v8, v72, 16, 1
	s_delay_alu instid0(VALU_DEP_1)
	v_add3_u32 v8, v72, v8, 0x7fff
                                        ; implicit-def: $vgpr65_vgpr66_vgpr67_vgpr68_vgpr69_vgpr70_vgpr71_vgpr72
; %bb.108:
	s_and_not1_saveexec_b32 s4, s4
; %bb.109:
	v_and_b32_e32 v8, 0xffff, v72
	v_or_b32_e32 v9, 0x10000, v72
	s_delay_alu instid0(VALU_DEP_2) | instskip(NEXT) | instid1(VALU_DEP_2)
	v_cmp_eq_u32_e32 vcc_lo, 0, v8
	v_cndmask_b32_e32 v8, v9, v72, vcc_lo
; %bb.110:
	s_or_b32 exec_lo, exec_lo, s4
	s_delay_alu instid0(VALU_DEP_1)
	v_perm_b32 v7, v8, v7, 0x7060302
	v_perm_b32 v6, v6, v5, 0x7060302
	;; [unrolled: 1-line block ×4, first 2 shown]
	s_barrier
	buffer_gl0_inv
	v_cmp_eq_u32_e32 vcc_lo, 1, v78
	ds_store_b128 v76, v[4:7]
	s_waitcnt lgkmcnt(0)
	s_barrier
	buffer_gl0_inv
	ds_load_b128 v[1:4], v82
	ds_load_b128 v[5:8], v82 offset:16
	v_cmp_eq_u32_e64 s4, 1, v79
	v_cmp_eq_u32_e64 s5, 2, v78
	;; [unrolled: 1-line block ×5, first 2 shown]
	s_waitcnt lgkmcnt(1)
	v_lshrrev_b32_e32 v9, 16, v1
	s_waitcnt lgkmcnt(0)
	v_lshrrev_b32_e32 v13, 16, v5
	v_lshrrev_b32_e32 v10, 16, v2
	;; [unrolled: 1-line block ×4, first 2 shown]
	v_cndmask_b32_e64 v19, v1, v9, s4
	v_cndmask_b32_e32 v18, v5, v13, vcc_lo
	v_cndmask_b32_e64 v20, v5, v13, s4
	v_cndmask_b32_e32 v17, v1, v9, vcc_lo
	v_cmp_eq_u32_e32 vcc_lo, 2, v79
	v_lshrrev_b32_e32 v15, 16, v7
	v_cmp_eq_u32_e64 s4, 1, v77
	v_lshrrev_b32_e32 v12, 16, v4
	v_lshrrev_b32_e32 v16, 16, v8
	v_cndmask_b32_e32 v20, v20, v6, vcc_lo
	v_cndmask_b32_e64 v17, v17, v2, s5
	v_cndmask_b32_e32 v19, v19, v2, vcc_lo
	v_cndmask_b32_e64 v18, v18, v6, s5
	v_cmp_eq_u32_e32 vcc_lo, 4, v78
	v_cmp_eq_u32_e64 s5, 3, v79
	v_cndmask_b32_e64 v17, v17, v10, s6
	v_cndmask_b32_e64 v21, v1, v9, s4
	;; [unrolled: 1-line block ×5, first 2 shown]
	v_cndmask_b32_e32 v17, v17, v3, vcc_lo
	v_cndmask_b32_e64 v20, v20, v14, s5
	v_cndmask_b32_e32 v18, v18, v7, vcc_lo
	v_cmp_eq_u32_e32 vcc_lo, 4, v79
	v_cmp_eq_u32_e64 s5, 5, v79
	v_cmp_eq_u32_e64 s4, 2, v81
	v_cndmask_b32_e64 v21, v21, v2, s8
	v_cmp_eq_u32_e64 s6, 5, v78
	v_cndmask_b32_e32 v19, v19, v3, vcc_lo
	v_cndmask_b32_e32 v20, v20, v7, vcc_lo
	v_cmp_eq_u32_e32 vcc_lo, 6, v79
	s_delay_alu instid0(VALU_DEP_4) | instskip(NEXT) | instid1(VALU_DEP_4)
	v_cndmask_b32_e64 v17, v17, v11, s6
	v_cndmask_b32_e64 v19, v19, v11, s5
	s_delay_alu instid0(VALU_DEP_4) | instskip(SKIP_1) | instid1(VALU_DEP_3)
	v_cndmask_b32_e64 v20, v20, v15, s5
	v_cmp_eq_u32_e64 s5, 1, v81
	v_cndmask_b32_e32 v19, v19, v4, vcc_lo
	v_cndmask_b32_e64 v18, v18, v15, s6
	s_delay_alu instid0(VALU_DEP_3)
	v_cndmask_b32_e64 v1, v1, v9, s5
	v_cndmask_b32_e64 v5, v5, v13, s5
	v_cmp_eq_u32_e64 s5, 3, v77
	v_cndmask_b32_e64 v13, v22, v6, s8
	v_cmp_eq_u32_e64 s8, 3, v81
	v_cndmask_b32_e64 v1, v1, v2, s4
	v_cndmask_b32_e64 v2, v5, v6, s4
	;; [unrolled: 1-line block ×3, first 2 shown]
	v_cmp_eq_u32_e64 s4, 4, v77
	v_cndmask_b32_e64 v6, v13, v14, s5
	v_cndmask_b32_e64 v1, v1, v10, s8
	v_cmp_eq_u32_e64 s5, 4, v81
	v_cndmask_b32_e64 v2, v2, v14, s8
	v_cndmask_b32_e64 v5, v9, v3, s4
	;; [unrolled: 3-line block ×3, first 2 shown]
	v_cndmask_b32_e64 v2, v2, v7, s5
	v_cmp_eq_u32_e64 s4, 5, v81
	v_cmp_eq_u32_e64 s6, 6, v78
	v_cndmask_b32_e64 v5, v5, v11, s8
	v_cmp_eq_u32_e64 s5, 6, v77
	v_cndmask_b32_e64 v3, v6, v15, s8
	v_cndmask_b32_e64 v1, v1, v11, s4
	v_cmp_eq_u32_e64 s8, 6, v81
	v_cndmask_b32_e64 v2, v2, v15, s4
	v_cndmask_b32_e64 v17, v17, v4, s6
	v_cndmask_b32_e64 v18, v18, v8, s6
	v_cmp_eq_u32_e64 s6, 7, v78
	v_cndmask_b32_e64 v5, v5, v4, s5
	;; [unrolled: 4-line block ×3, first 2 shown]
	v_cmp_eq_u32_e64 s5, 7, v77
	v_cndmask_b32_e32 v4, v20, v8, vcc_lo
	v_cndmask_b32_e64 v17, v17, v12, s6
	v_cndmask_b32_e64 v19, v19, v12, s7
	;; [unrolled: 1-line block ×8, first 2 shown]
	v_cmp_gt_u32_e32 vcc_lo, 32, v0
	v_perm_b32 v4, v2, v1, 0x5040100
	v_perm_b32 v3, v3, v5, 0x5040100
	;; [unrolled: 1-line block ×4, first 2 shown]
	s_and_b32 s2, vcc_lo, s2
	ds_store_b128 v76, v[1:4]
	s_waitcnt lgkmcnt(0)
	s_barrier
	buffer_gl0_inv
	s_and_saveexec_b32 s4, s2
	s_cbranch_execz .LBB1788_2
; %bb.111:
	s_load_b64 s[4:5], s[0:1], 0x68
	v_add_nc_u32_e32 v20, s31, v74
	v_lshlrev_b32_e32 v0, 10, v0
	v_lshlrev_b32_e32 v1, 4, v75
	s_lshl_b32 s0, s36, 6
	s_delay_alu instid0(SALU_CYCLE_1)
	s_mul_i32 s1, s0, s34
	v_add_nc_u32_e32 v2, 2, v20
	s_mul_i32 s6, s1, s9
	v_and_or_b32 v0, 0x3800, v0, v1
	v_mul_lo_u32 v1, v20, s0
	s_ashr_i32 s7, s6, 31
	v_mul_lo_u32 v11, v2, s0
	s_lshl_b64 s[6:7], s[6:7], 1
	v_add_nc_u32_e32 v3, 4, v20
	v_lshl_or_b32 v21, v74, 6, v0
	v_add_nc_u32_e32 v16, 6, v20
	v_ashrrev_i32_e32 v2, 31, v1
	s_delay_alu instid0(VALU_DEP_4)
	v_mul_lo_u32 v13, v3, s0
	s_waitcnt lgkmcnt(0)
	s_add_u32 s1, s4, s6
	s_addc_u32 s2, s5, s7
	s_lshl_b32 s4, s14, 6
	ds_load_b128 v[3:6], v21
	ds_load_b128 v[7:10], v21 offset:128
	s_ashr_i32 s5, s4, 31
	v_ashrrev_i32_e32 v12, 31, v11
	s_lshl_b64 s[4:5], s[4:5], 1
	v_lshlrev_b64 v[14:15], 1, v[1:2]
	s_add_u32 s1, s1, s4
	s_addc_u32 s2, s2, s5
	v_add_co_u32 v1, s1, s1, v73
	s_delay_alu instid0(VALU_DEP_1) | instskip(SKIP_1) | instid1(VALU_DEP_3)
	v_add_co_ci_u32_e64 v2, null, s2, 0, s1
	v_lshlrev_b64 v[11:12], 1, v[11:12]
	v_add_co_u32 v18, vcc_lo, v1, v14
	v_mul_lo_u32 v16, v16, s0
	s_delay_alu instid0(VALU_DEP_4) | instskip(NEXT) | instid1(VALU_DEP_4)
	v_add_co_ci_u32_e32 v19, vcc_lo, v2, v15, vcc_lo
	v_add_co_u32 v11, vcc_lo, v1, v11
	v_ashrrev_i32_e32 v14, 31, v13
	v_add_co_ci_u32_e32 v12, vcc_lo, v2, v12, vcc_lo
	v_add_nc_u32_e32 v15, 8, v20
	v_ashrrev_i32_e32 v17, 31, v16
	s_waitcnt lgkmcnt(1)
	global_store_b128 v[18:19], v[3:6], off
	v_lshlrev_b64 v[3:4], 1, v[13:14]
	s_waitcnt lgkmcnt(0)
	global_store_b128 v[11:12], v[7:10], off
	v_mul_lo_u32 v11, v15, s0
	v_add_nc_u32_e32 v7, 10, v20
	v_lshlrev_b64 v[5:6], 1, v[16:17]
	v_add_co_u32 v23, vcc_lo, v1, v3
	v_add_nc_u32_e32 v3, 12, v20
	s_delay_alu instid0(VALU_DEP_4)
	v_mul_lo_u32 v25, v7, s0
	v_ashrrev_i32_e32 v12, 31, v11
	v_add_co_ci_u32_e32 v24, vcc_lo, v2, v4, vcc_lo
	v_add_co_u32 v27, vcc_lo, v1, v5
	v_mul_lo_u32 v29, v3, s0
	v_add_co_ci_u32_e32 v28, vcc_lo, v2, v6, vcc_lo
	ds_load_b128 v[3:6], v21 offset:256
	ds_load_b128 v[7:10], v21 offset:384
	v_lshlrev_b64 v[31:32], 1, v[11:12]
	ds_load_b128 v[11:14], v21 offset:512
	ds_load_b128 v[15:18], v21 offset:640
	;; [unrolled: 1-line block ×3, first 2 shown]
	v_ashrrev_i32_e32 v26, 31, v25
	v_ashrrev_i32_e32 v30, 31, v29
	v_add_co_u32 v31, vcc_lo, v1, v31
	s_delay_alu instid0(VALU_DEP_3) | instskip(NEXT) | instid1(VALU_DEP_3)
	v_lshlrev_b64 v[25:26], 1, v[25:26]
	v_lshlrev_b64 v[29:30], 1, v[29:30]
	v_add_co_ci_u32_e32 v32, vcc_lo, v2, v32, vcc_lo
	s_delay_alu instid0(VALU_DEP_3) | instskip(NEXT) | instid1(VALU_DEP_4)
	v_add_co_u32 v25, vcc_lo, v1, v25
	v_add_co_ci_u32_e32 v26, vcc_lo, v2, v26, vcc_lo
	s_delay_alu instid0(VALU_DEP_4)
	v_add_co_u32 v29, vcc_lo, v1, v29
	v_add_co_ci_u32_e32 v30, vcc_lo, v2, v30, vcc_lo
	s_waitcnt lgkmcnt(4)
	global_store_b128 v[23:24], v[3:6], off
	s_waitcnt lgkmcnt(3)
	global_store_b128 v[27:28], v[7:10], off
	;; [unrolled: 2-line block ×5, first 2 shown]
	s_and_b32 exec_lo, exec_lo, s3
	s_cbranch_execz .LBB1788_2
; %bb.112:
	ds_load_b128 v[3:6], v0 offset:896
	s_add_i32 s1, s31, 14
	s_delay_alu instid0(SALU_CYCLE_1) | instskip(NEXT) | instid1(SALU_CYCLE_1)
	s_mul_i32 s0, s1, s0
	s_ashr_i32 s1, s0, 31
	s_delay_alu instid0(SALU_CYCLE_1) | instskip(NEXT) | instid1(SALU_CYCLE_1)
	s_lshl_b64 s[0:1], s[0:1], 1
	v_add_co_u32 v0, vcc_lo, v1, s0
	v_add_co_ci_u32_e32 v1, vcc_lo, s1, v2, vcc_lo
	s_waitcnt lgkmcnt(0)
	global_store_b128 v[0:1], v[3:6], off
	s_nop 0
	s_sendmsg sendmsg(MSG_DEALLOC_VGPRS)
	s_endpgm
	.section	.rodata,"a",@progbits
	.p2align	6, 0x0
	.amdhsa_kernel _Z39paged_attention_ll4mi_QKV_mfma16_kernelI14__hip_bfloat16hLN4vllm18Fp8KVCacheDataTypeE1ES0_Li32ELi64ELi256ELb0ELi15EL8MFMAType0EEvPKT_PKT0_S9_ifPKiSB_SB_iPKfiiiPfSE_PS4_PT2_iSD_SD_
		.amdhsa_group_segment_fixed_size 17472
		.amdhsa_private_segment_fixed_size 0
		.amdhsa_kernarg_size 400
		.amdhsa_user_sgpr_count 13
		.amdhsa_user_sgpr_dispatch_ptr 0
		.amdhsa_user_sgpr_queue_ptr 0
		.amdhsa_user_sgpr_kernarg_segment_ptr 1
		.amdhsa_user_sgpr_dispatch_id 0
		.amdhsa_user_sgpr_private_segment_size 0
		.amdhsa_wavefront_size32 1
		.amdhsa_uses_dynamic_stack 0
		.amdhsa_enable_private_segment 0
		.amdhsa_system_sgpr_workgroup_id_x 1
		.amdhsa_system_sgpr_workgroup_id_y 1
		.amdhsa_system_sgpr_workgroup_id_z 1
		.amdhsa_system_sgpr_workgroup_info 0
		.amdhsa_system_vgpr_workitem_id 0
		.amdhsa_next_free_vgpr 124
		.amdhsa_next_free_sgpr 42
		.amdhsa_reserve_vcc 1
		.amdhsa_float_round_mode_32 0
		.amdhsa_float_round_mode_16_64 0
		.amdhsa_float_denorm_mode_32 3
		.amdhsa_float_denorm_mode_16_64 3
		.amdhsa_dx10_clamp 1
		.amdhsa_ieee_mode 1
		.amdhsa_fp16_overflow 0
		.amdhsa_workgroup_processor_mode 1
		.amdhsa_memory_ordered 1
		.amdhsa_forward_progress 0
		.amdhsa_shared_vgpr_count 0
		.amdhsa_exception_fp_ieee_invalid_op 0
		.amdhsa_exception_fp_denorm_src 0
		.amdhsa_exception_fp_ieee_div_zero 0
		.amdhsa_exception_fp_ieee_overflow 0
		.amdhsa_exception_fp_ieee_underflow 0
		.amdhsa_exception_fp_ieee_inexact 0
		.amdhsa_exception_int_div_zero 0
	.end_amdhsa_kernel
	.section	.text._Z39paged_attention_ll4mi_QKV_mfma16_kernelI14__hip_bfloat16hLN4vllm18Fp8KVCacheDataTypeE1ES0_Li32ELi64ELi256ELb0ELi15EL8MFMAType0EEvPKT_PKT0_S9_ifPKiSB_SB_iPKfiiiPfSE_PS4_PT2_iSD_SD_,"axG",@progbits,_Z39paged_attention_ll4mi_QKV_mfma16_kernelI14__hip_bfloat16hLN4vllm18Fp8KVCacheDataTypeE1ES0_Li32ELi64ELi256ELb0ELi15EL8MFMAType0EEvPKT_PKT0_S9_ifPKiSB_SB_iPKfiiiPfSE_PS4_PT2_iSD_SD_,comdat
.Lfunc_end1788:
	.size	_Z39paged_attention_ll4mi_QKV_mfma16_kernelI14__hip_bfloat16hLN4vllm18Fp8KVCacheDataTypeE1ES0_Li32ELi64ELi256ELb0ELi15EL8MFMAType0EEvPKT_PKT0_S9_ifPKiSB_SB_iPKfiiiPfSE_PS4_PT2_iSD_SD_, .Lfunc_end1788-_Z39paged_attention_ll4mi_QKV_mfma16_kernelI14__hip_bfloat16hLN4vllm18Fp8KVCacheDataTypeE1ES0_Li32ELi64ELi256ELb0ELi15EL8MFMAType0EEvPKT_PKT0_S9_ifPKiSB_SB_iPKfiiiPfSE_PS4_PT2_iSD_SD_
                                        ; -- End function
	.section	.AMDGPU.csdata,"",@progbits
; Kernel info:
; codeLenInByte = 9028
; NumSgprs: 44
; NumVgprs: 124
; ScratchSize: 0
; MemoryBound: 0
; FloatMode: 240
; IeeeMode: 1
; LDSByteSize: 17472 bytes/workgroup (compile time only)
; SGPRBlocks: 5
; VGPRBlocks: 15
; NumSGPRsForWavesPerEU: 44
; NumVGPRsForWavesPerEU: 124
; Occupancy: 10
; WaveLimiterHint : 1
; COMPUTE_PGM_RSRC2:SCRATCH_EN: 0
; COMPUTE_PGM_RSRC2:USER_SGPR: 13
; COMPUTE_PGM_RSRC2:TRAP_HANDLER: 0
; COMPUTE_PGM_RSRC2:TGID_X_EN: 1
; COMPUTE_PGM_RSRC2:TGID_Y_EN: 1
; COMPUTE_PGM_RSRC2:TGID_Z_EN: 1
; COMPUTE_PGM_RSRC2:TIDIG_COMP_CNT: 0
	.section	.text._Z39paged_attention_ll4mi_QKV_mfma16_kernelI14__hip_bfloat16hLN4vllm18Fp8KVCacheDataTypeE1ES0_Li32ELi64ELi256ELb0ELi16EL8MFMAType0EEvPKT_PKT0_S9_ifPKiSB_SB_iPKfiiiPfSE_PS4_PT2_iSD_SD_,"axG",@progbits,_Z39paged_attention_ll4mi_QKV_mfma16_kernelI14__hip_bfloat16hLN4vllm18Fp8KVCacheDataTypeE1ES0_Li32ELi64ELi256ELb0ELi16EL8MFMAType0EEvPKT_PKT0_S9_ifPKiSB_SB_iPKfiiiPfSE_PS4_PT2_iSD_SD_,comdat
	.protected	_Z39paged_attention_ll4mi_QKV_mfma16_kernelI14__hip_bfloat16hLN4vllm18Fp8KVCacheDataTypeE1ES0_Li32ELi64ELi256ELb0ELi16EL8MFMAType0EEvPKT_PKT0_S9_ifPKiSB_SB_iPKfiiiPfSE_PS4_PT2_iSD_SD_ ; -- Begin function _Z39paged_attention_ll4mi_QKV_mfma16_kernelI14__hip_bfloat16hLN4vllm18Fp8KVCacheDataTypeE1ES0_Li32ELi64ELi256ELb0ELi16EL8MFMAType0EEvPKT_PKT0_S9_ifPKiSB_SB_iPKfiiiPfSE_PS4_PT2_iSD_SD_
	.globl	_Z39paged_attention_ll4mi_QKV_mfma16_kernelI14__hip_bfloat16hLN4vllm18Fp8KVCacheDataTypeE1ES0_Li32ELi64ELi256ELb0ELi16EL8MFMAType0EEvPKT_PKT0_S9_ifPKiSB_SB_iPKfiiiPfSE_PS4_PT2_iSD_SD_
	.p2align	8
	.type	_Z39paged_attention_ll4mi_QKV_mfma16_kernelI14__hip_bfloat16hLN4vllm18Fp8KVCacheDataTypeE1ES0_Li32ELi64ELi256ELb0ELi16EL8MFMAType0EEvPKT_PKT0_S9_ifPKiSB_SB_iPKfiiiPfSE_PS4_PT2_iSD_SD_,@function
_Z39paged_attention_ll4mi_QKV_mfma16_kernelI14__hip_bfloat16hLN4vllm18Fp8KVCacheDataTypeE1ES0_Li32ELi64ELi256ELb0ELi16EL8MFMAType0EEvPKT_PKT0_S9_ifPKiSB_SB_iPKfiiiPfSE_PS4_PT2_iSD_SD_: ; @_Z39paged_attention_ll4mi_QKV_mfma16_kernelI14__hip_bfloat16hLN4vllm18Fp8KVCacheDataTypeE1ES0_Li32ELi64ELi256ELb0ELi16EL8MFMAType0EEvPKT_PKT0_S9_ifPKiSB_SB_iPKfiiiPfSE_PS4_PT2_iSD_SD_
; %bb.0:
	s_load_b64 s[2:3], s[0:1], 0x30
	s_mov_b32 s30, s13
	s_waitcnt lgkmcnt(0)
	s_cmp_lg_u64 s[2:3], 0
	s_cselect_b32 s8, -1, 0
	s_ashr_i32 s31, s13, 31
	s_cmp_eq_u64 s[2:3], 0
	s_cbranch_scc1 .LBB1789_3
; %bb.1:
	s_lshl_b64 s[4:5], s[30:31], 2
	s_delay_alu instid0(SALU_CYCLE_1) | instskip(SKIP_4) | instid1(SALU_CYCLE_1)
	s_add_u32 s4, s2, s4
	s_addc_u32 s5, s3, s5
	s_load_b64 s[4:5], s[4:5], 0x0
	s_waitcnt lgkmcnt(0)
	s_sub_i32 s4, s5, s4
	s_cmp_eq_u32 s4, 1
	s_cselect_b32 s4, -1, 0
	s_delay_alu instid0(SALU_CYCLE_1)
	s_and_not1_b32 vcc_lo, exec_lo, s4
	s_cbranch_vccz .LBB1789_4
.LBB1789_2:
	s_endpgm
.LBB1789_3:
.LBB1789_4:
	s_load_b64 s[4:5], s[0:1], 0x28
	s_lshl_b64 s[6:7], s[30:31], 2
	s_waitcnt lgkmcnt(0)
	s_add_u32 s4, s4, s6
	s_addc_u32 s5, s5, s7
	s_lshl_b32 s12, s14, 8
	s_load_b32 s24, s[4:5], 0x0
	s_waitcnt lgkmcnt(0)
	s_cmp_ge_i32 s12, s24
	s_cbranch_scc1 .LBB1789_2
; %bb.5:
	s_clause 0x1
	s_load_b128 s[20:23], s[0:1], 0x8
	s_load_b64 s[4:5], s[0:1], 0x20
	s_and_not1_b32 vcc_lo, exec_lo, s8
	s_cbranch_vccnz .LBB1789_7
; %bb.6:
	s_add_u32 s2, s2, s6
	s_addc_u32 s3, s3, s7
	s_load_b32 s3, s[2:3], 0x0
	s_branch .LBB1789_8
.LBB1789_7:
	s_mov_b32 s3, s30
.LBB1789_8:
	s_load_b128 s[16:19], s[0:1], 0x48
	v_and_b32_e32 v66, 15, v0
	v_cmp_gt_u32_e32 vcc_lo, 0x100, v0
	v_lshrrev_b32_e32 v65, 5, v0
	v_and_b32_e32 v67, 31, v0
	v_and_b32_e32 v75, 1, v0
	v_lshlrev_b32_e32 v1, 3, v66
	v_cmp_gt_u32_e64 s2, 8, v66
	v_bfe_u32 v74, v0, 4, 1
	s_lshl_b32 s31, s15, 4
	s_delay_alu instid0(VALU_DEP_3) | instskip(NEXT) | instid1(VALU_DEP_3)
	v_lshlrev_b32_e32 v73, 1, v1
	s_and_b32 s7, vcc_lo, s2
	s_delay_alu instid0(SALU_CYCLE_1)
	s_and_saveexec_b32 s6, s7
	s_cbranch_execz .LBB1789_10
; %bb.9:
	v_lshl_or_b32 v5, v65, 1, v74
	s_load_b64 s[8:9], s[0:1], 0x0
	s_waitcnt lgkmcnt(0)
	s_mul_hi_i32 s11, s3, s16
	s_mul_i32 s10, s3, s16
	v_lshlrev_b32_e32 v6, 10, v66
	v_or_b32_e32 v1, s31, v5
	s_lshl_b64 s[10:11], s[10:11], 1
	v_lshlrev_b32_e32 v5, 6, v5
	v_lshlrev_b32_e32 v7, 10, v75
	v_and_b32_e32 v6, 0x3800, v6
	v_lshlrev_b32_e32 v1, 6, v1
	s_delay_alu instid0(VALU_DEP_2) | instskip(NEXT) | instid1(VALU_DEP_2)
	v_or3_b32 v5, v6, v7, v5
	v_ashrrev_i32_e32 v2, 31, v1
	s_delay_alu instid0(VALU_DEP_1) | instskip(SKIP_2) | instid1(VALU_DEP_1)
	v_lshlrev_b64 v[1:2], 1, v[1:2]
	s_add_u32 s3, s8, s10
	s_addc_u32 s7, s9, s11
	v_add_co_u32 v1, vcc_lo, s3, v1
	s_delay_alu instid0(VALU_DEP_2) | instskip(NEXT) | instid1(VALU_DEP_2)
	v_add_co_ci_u32_e32 v2, vcc_lo, s7, v2, vcc_lo
	v_add_co_u32 v1, vcc_lo, v1, v73
	s_delay_alu instid0(VALU_DEP_2)
	v_add_co_ci_u32_e32 v2, vcc_lo, 0, v2, vcc_lo
	global_load_b128 v[1:4], v[1:2], off
	s_waitcnt vmcnt(0)
	ds_store_b128 v5, v[1:4]
.LBB1789_10:
	s_or_b32 exec_lo, exec_lo, s6
	v_and_b32_e32 v1, 0xef, v0
	s_waitcnt lgkmcnt(0)
	s_add_i32 s3, s24, 31
	s_clause 0x1
	s_load_b32 s6, s[0:1], 0x38
	s_load_b32 s19, s[0:1], 0x1c
	s_ashr_i32 s7, s3, 31
	v_add_nc_u32_e32 v1, s12, v1
	s_lshr_b32 s7, s7, 27
	s_waitcnt lgkmcnt(0)
	s_add_i32 s3, s3, s7
	s_barrier
	v_ashrrev_i32_e32 v2, 31, v1
	v_or_b32_e32 v3, 16, v1
	s_ashr_i32 s3, s3, 5
	v_cmp_gt_i32_e32 vcc_lo, s24, v1
	s_add_i32 s3, s3, -1
	v_lshrrev_b32_e32 v2, 27, v2
	buffer_gl0_inv
	s_mul_i32 s27, s15, s18
	v_add_nc_u32_e32 v4, v1, v2
	s_mul_i32 s6, s30, s6
	s_delay_alu instid0(SALU_CYCLE_1) | instskip(NEXT) | instid1(VALU_DEP_1)
	s_ashr_i32 s7, s6, 31
	v_ashrrev_i32_e32 v4, 5, v4
	v_add_nc_u32_e32 v2, v3, v2
	s_lshl_b64 s[6:7], s[6:7], 2
	s_delay_alu instid0(SALU_CYCLE_1) | instskip(NEXT) | instid1(VALU_DEP_2)
	s_add_u32 s26, s4, s6
	v_cndmask_b32_e32 v1, s3, v4, vcc_lo
	s_delay_alu instid0(VALU_DEP_2)
	v_ashrrev_i32_e32 v2, 5, v2
	v_cmp_gt_i32_e32 vcc_lo, s24, v3
	s_addc_u32 s25, s5, s7
	s_ashr_i32 s28, s27, 31
	s_add_u32 s4, s20, s27
	s_addc_u32 s5, s21, s28
	v_cndmask_b32_e32 v3, s3, v2, vcc_lo
	v_ashrrev_i32_e32 v2, 31, v1
	s_lshl_b32 s6, s14, 3
	s_delay_alu instid0(SALU_CYCLE_1) | instskip(NEXT) | instid1(VALU_DEP_2)
	s_ashr_i32 s7, s6, 31
	v_ashrrev_i32_e32 v4, 31, v3
	s_delay_alu instid0(VALU_DEP_2) | instskip(SKIP_1) | instid1(SALU_CYCLE_1)
	v_lshlrev_b64 v[1:2], 2, v[1:2]
	s_lshl_b64 s[6:7], s[6:7], 2
	s_add_u32 s6, s26, s6
	s_delay_alu instid0(VALU_DEP_2) | instskip(SKIP_1) | instid1(VALU_DEP_2)
	v_lshlrev_b64 v[3:4], 2, v[3:4]
	s_addc_u32 s7, s25, s7
	v_add_co_u32 v1, vcc_lo, s26, v1
	v_add_co_ci_u32_e32 v2, vcc_lo, s25, v2, vcc_lo
	s_delay_alu instid0(VALU_DEP_3) | instskip(NEXT) | instid1(VALU_DEP_4)
	v_add_co_u32 v3, vcc_lo, s26, v3
	v_add_co_ci_u32_e32 v4, vcc_lo, s25, v4, vcc_lo
	s_clause 0x1
	global_load_b32 v5, v[1:2], off
	global_load_b32 v6, v[3:4], off
	s_or_b32 s8, s12, 32
	s_delay_alu instid0(SALU_CYCLE_1) | instskip(SKIP_2) | instid1(SALU_CYCLE_1)
	s_ashr_i32 s9, s8, 5
	s_cmp_lt_i32 s8, s24
	s_cselect_b32 s8, s9, s3
	s_ashr_i32 s9, s8, 31
	s_delay_alu instid0(SALU_CYCLE_1) | instskip(NEXT) | instid1(SALU_CYCLE_1)
	s_lshl_b64 s[8:9], s[8:9], 2
	s_add_u32 s8, s26, s8
	s_addc_u32 s9, s25, s9
	s_or_b32 s10, s12, 64
	s_delay_alu instid0(SALU_CYCLE_1) | instskip(SKIP_2) | instid1(SALU_CYCLE_1)
	s_ashr_i32 s11, s10, 5
	s_cmp_lt_i32 s10, s24
	s_cselect_b32 s10, s11, s3
	s_ashr_i32 s11, s10, 31
	s_delay_alu instid0(SALU_CYCLE_1) | instskip(NEXT) | instid1(SALU_CYCLE_1)
	s_lshl_b64 s[10:11], s[10:11], 2
	s_add_u32 s10, s26, s10
	s_addc_u32 s11, s25, s11
	s_or_b32 s13, s12, 0x60
	s_delay_alu instid0(SALU_CYCLE_1) | instskip(SKIP_2) | instid1(SALU_CYCLE_1)
	s_ashr_i32 s15, s13, 5
	s_cmp_lt_i32 s13, s24
	s_cselect_b32 s20, s15, s3
	s_ashr_i32 s21, s20, 31
	s_delay_alu instid0(SALU_CYCLE_1) | instskip(NEXT) | instid1(SALU_CYCLE_1)
	s_lshl_b64 s[20:21], s[20:21], 2
	s_add_u32 s34, s26, s20
	s_addc_u32 s35, s25, s21
	s_or_b32 s13, s12, 0x80
	s_delay_alu instid0(SALU_CYCLE_1) | instskip(SKIP_2) | instid1(SALU_CYCLE_1)
	s_ashr_i32 s15, s13, 5
	s_cmp_lt_i32 s13, s24
	s_cselect_b32 s20, s15, s3
	s_ashr_i32 s21, s20, 31
	s_delay_alu instid0(SALU_CYCLE_1) | instskip(NEXT) | instid1(SALU_CYCLE_1)
	s_lshl_b64 s[20:21], s[20:21], 2
	s_add_u32 s36, s26, s20
	s_addc_u32 s37, s25, s21
	s_or_b32 s13, s12, 0xa0
	s_delay_alu instid0(SALU_CYCLE_1) | instskip(SKIP_2) | instid1(SALU_CYCLE_1)
	s_ashr_i32 s15, s13, 5
	s_cmp_lt_i32 s13, s24
	s_cselect_b32 s20, s15, s3
	s_ashr_i32 s21, s20, 31
	s_delay_alu instid0(SALU_CYCLE_1) | instskip(NEXT) | instid1(SALU_CYCLE_1)
	s_lshl_b64 s[20:21], s[20:21], 2
	s_add_u32 s38, s26, s20
	s_addc_u32 s39, s25, s21
	s_clause 0x5
	s_load_b32 s21, s[6:7], 0x0
	s_load_b32 s13, s[8:9], 0x0
	;; [unrolled: 1-line block ×6, first 2 shown]
	s_or_b32 s6, s12, 0xc0
	s_delay_alu instid0(SALU_CYCLE_1) | instskip(SKIP_2) | instid1(SALU_CYCLE_1)
	s_ashr_i32 s7, s6, 5
	s_cmp_lt_i32 s6, s24
	s_cselect_b32 s10, s7, s3
	s_ashr_i32 s11, s10, 31
	s_delay_alu instid0(SALU_CYCLE_1) | instskip(NEXT) | instid1(SALU_CYCLE_1)
	s_lshl_b64 s[10:11], s[10:11], 2
	s_add_u32 s34, s26, s10
	s_addc_u32 s35, s25, s11
	s_or_b32 s11, s12, 0xe0
	s_delay_alu instid0(SALU_CYCLE_1) | instskip(SKIP_2) | instid1(SALU_CYCLE_1)
	s_ashr_i32 s29, s11, 5
	s_cmp_lt_i32 s11, s24
	s_cselect_b32 s36, s29, s3
	s_ashr_i32 s37, s36, 31
	s_waitcnt vmcnt(1)
	v_mad_i64_i32 v[1:2], null, v5, s17, s[4:5]
	s_waitcnt vmcnt(0)
	v_mad_i64_i32 v[3:4], null, v6, s17, s[4:5]
	s_mov_b32 s4, 0
	s_delay_alu instid0(SALU_CYCLE_1)
	s_mov_b32 s5, s4
	s_mov_b32 s6, s4
	s_mov_b32 s7, s4
	s_mov_b32 s8, s4
	s_mov_b32 s9, s4
	s_mov_b32 s10, s4
	s_mov_b32 s11, s4
	s_delay_alu instid0(SALU_CYCLE_1) | instskip(SKIP_2) | instid1(VALU_DEP_3)
	v_dual_mov_b32 v108, s11 :: v_dual_lshlrev_b32 v5, 4, v66
	v_mov_b32_e32 v104, s7
	v_dual_mov_b32 v105, s8 :: v_dual_lshlrev_b32 v76, 6, v66
	v_add_co_u32 v1, vcc_lo, v1, v5
	v_add_co_ci_u32_e32 v2, vcc_lo, 0, v2, vcc_lo
	v_add_co_u32 v3, vcc_lo, v3, v5
	v_add_co_ci_u32_e32 v4, vcc_lo, 0, v4, vcc_lo
	s_clause 0x7
	global_load_b128 v[49:52], v[1:2], off
	global_load_b128 v[53:56], v[1:2], off offset:512
	global_load_b128 v[77:80], v[3:4], off offset:256
	;; [unrolled: 1-line block ×7, first 2 shown]
	v_dual_mov_b32 v102, s5 :: v_dual_lshlrev_b32 v1, 5, v66
	v_dual_mov_b32 v107, s10 :: v_dual_mov_b32 v106, s9
	v_mov_b32_e32 v103, s6
	v_mov_b32_e32 v101, s4
	s_lshl_b64 s[4:5], s[36:37], 2
	v_lshl_or_b32 v1, v65, 9, v1
	s_add_u32 s4, s26, s4
	s_addc_u32 s5, s25, s5
	s_load_b32 s3, s[34:35], 0x0
	ds_load_b128 v[109:112], v76
	ds_load_b128 v[113:116], v76 offset:1024
	s_load_b32 s4, s[4:5], 0x0
	s_add_u32 s6, s22, s27
	s_addc_u32 s7, s23, s28
	v_add_co_u32 v9, s6, s6, v1
	s_delay_alu instid0(VALU_DEP_1) | instskip(SKIP_1) | instid1(VALU_DEP_1)
	v_add_co_ci_u32_e64 v10, null, s7, 0, s6
	s_waitcnt lgkmcnt(0)
	v_mad_i64_i32 v[1:2], null, s21, s17, v[9:10]
	v_mad_i64_i32 v[3:4], null, s13, s17, v[9:10]
	v_mad_i64_i32 v[5:6], null, s15, s17, v[9:10]
	v_mad_i64_i32 v[7:8], null, s16, s17, v[9:10]
	v_mad_i64_i32 v[13:14], null, s20, s17, v[9:10]
	v_mad_i64_i32 v[11:12], null, s18, s17, v[9:10]
	v_mad_i64_i32 v[21:22], null, s3, s17, v[9:10]
	s_clause 0x9
	global_load_b128 v[57:60], v[1:2], off
	global_load_b128 v[61:64], v[1:2], off offset:16
	global_load_b128 v[41:44], v[3:4], off
	global_load_b128 v[45:48], v[3:4], off offset:16
	;; [unrolled: 2-line block ×5, first 2 shown]
	v_mad_i64_i32 v[68:69], null, s4, s17, v[9:10]
	s_clause 0x3
	global_load_b128 v[9:12], v[13:14], off
	global_load_b128 v[13:16], v[13:14], off offset:16
	global_load_b128 v[17:20], v[21:22], off
	global_load_b128 v[21:24], v[21:22], off offset:16
	s_waitcnt vmcnt(20)
	v_wmma_f32_16x16x16_bf16 v[117:124], v[49:56], v[109:116], v[101:108]
	s_clause 0x1
	global_load_b128 v[49:52], v[68:69], off
	global_load_b128 v[53:56], v[68:69], off offset:16
	v_and_b32_e32 v68, 0xe0, v0
	v_mbcnt_lo_u32_b32 v69, -1, 0
	s_delay_alu instid0(VALU_DEP_2)
	v_add_nc_u32_e32 v68, s12, v68
	s_waitcnt vmcnt(20)
	v_wmma_f32_16x16x16_bf16 v[101:108], v[77:84], v[109:116], v[101:108]
	ds_load_b128 v[77:80], v76 offset:2048
	ds_load_b128 v[81:84], v76 offset:3072
	v_xor_b32_e32 v70, 16, v69
	s_waitcnt vmcnt(0) lgkmcnt(0)
	v_or_b32_e32 v68, v68, v74
	s_barrier
	buffer_gl0_inv
	v_cmp_gt_i32_e32 vcc_lo, 32, v70
	v_or_b32_e32 v71, 4, v68
	v_or_b32_e32 v72, 6, v68
	v_cmp_gt_i32_e64 s3, s24, v68
	v_or_b32_e32 v109, 8, v68
	s_delay_alu instid0(VALU_DEP_4) | instskip(NEXT) | instid1(VALU_DEP_4)
	v_cmp_gt_i32_e64 s4, s24, v71
	v_cmp_gt_i32_e64 s5, s24, v72
	s_delay_alu instid0(VALU_DEP_3)
	v_cmp_gt_i32_e64 s6, s24, v109
	v_wmma_f32_16x16x16_bf16 v[117:124], v[85:92], v[77:84], v[117:124]
	v_cndmask_b32_e32 v69, v69, v70, vcc_lo
	v_or_b32_e32 v70, 2, v68
	v_wmma_f32_16x16x16_bf16 v[101:108], v[93:100], v[77:84], v[101:108]
	v_or_b32_e32 v85, 10, v68
	v_dual_mul_f32 v80, s19, v124 :: v_dual_mul_f32 v93, s19, v119
	v_dual_mul_f32 v94, s19, v118 :: v_dual_mul_f32 v95, s19, v117
	s_delay_alu instid0(VALU_DEP_4) | instskip(SKIP_2) | instid1(VALU_DEP_4)
	v_mul_f32_e32 v96, s19, v108
	v_cmp_gt_i32_e32 vcc_lo, s24, v70
	v_dual_mul_f32 v83, s19, v121 :: v_dual_mul_f32 v84, s19, v120
	v_cndmask_b32_e64 v95, 0xff7fffff, v95, s3
	v_or_b32_e32 v86, 12, v68
	v_cndmask_b32_e32 v94, 0xff7fffff, v94, vcc_lo
	v_or_b32_e32 v87, 14, v68
	v_dual_mul_f32 v81, s19, v123 :: v_dual_mul_f32 v82, s19, v122
	v_cndmask_b32_e64 v93, 0xff7fffff, v93, s4
	v_cndmask_b32_e64 v72, 0xff7fffff, v84, s5
	v_max3_f32 v84, v95, 0xff7fffff, v94
	v_cmp_gt_i32_e64 s7, s24, v85
	v_or_b32_e32 v88, 16, v68
	v_or_b32_e32 v89, 18, v68
	v_cndmask_b32_e64 v83, 0xff7fffff, v83, s6
	v_max3_f32 v72, v84, v93, v72
	v_cndmask_b32_e64 v82, 0xff7fffff, v82, s7
	v_cmp_gt_i32_e64 s8, s24, v86
	v_cmp_gt_i32_e64 s9, s24, v87
	v_or_b32_e32 v90, 20, v68
	v_or_b32_e32 v91, 22, v68
	;; [unrolled: 1-line block ×6, first 2 shown]
	v_dual_mul_f32 v70, s19, v103 :: v_dual_mul_f32 v71, s19, v101
	v_mul_f32_e32 v68, s19, v102
	v_cndmask_b32_e64 v81, 0xff7fffff, v81, s8
	v_cndmask_b32_e64 v80, 0xff7fffff, v80, s9
	v_max3_f32 v72, v72, v83, v82
	v_cmp_gt_i32_e64 s10, s24, v88
	v_cmp_gt_i32_e64 s11, s24, v89
	v_dual_mul_f32 v99, s19, v105 :: v_dual_mul_f32 v100, s19, v104
	s_delay_alu instid0(VALU_DEP_4) | instskip(NEXT) | instid1(VALU_DEP_4)
	v_max3_f32 v72, v72, v81, v80
	v_cndmask_b32_e64 v71, 0xff7fffff, v71, s10
	s_delay_alu instid0(VALU_DEP_4) | instskip(SKIP_3) | instid1(VALU_DEP_4)
	v_cndmask_b32_e64 v68, 0xff7fffff, v68, s11
	v_cmp_gt_i32_e64 s12, s24, v90
	v_cmp_gt_i32_e64 s13, s24, v91
	v_dual_mul_f32 v97, s19, v107 :: v_dual_mul_f32 v98, s19, v106
	v_max3_f32 v68, v72, v71, v68
	s_delay_alu instid0(VALU_DEP_4) | instskip(NEXT) | instid1(VALU_DEP_4)
	v_cndmask_b32_e64 v70, 0xff7fffff, v70, s12
	v_cndmask_b32_e64 v80, 0xff7fffff, v100, s13
	v_cmp_gt_i32_e64 s15, s24, v92
	v_cmp_gt_i32_e64 s16, s24, v77
	;; [unrolled: 1-line block ×4, first 2 shown]
	v_max3_f32 v68, v68, v70, v80
	v_cndmask_b32_e64 v71, 0xff7fffff, v99, s15
	v_cndmask_b32_e64 v72, 0xff7fffff, v98, s16
	;; [unrolled: 1-line block ×4, first 2 shown]
	v_lshlrev_b32_e32 v90, 2, v69
	s_delay_alu instid0(VALU_DEP_4) | instskip(NEXT) | instid1(VALU_DEP_1)
	v_max3_f32 v68, v68, v71, v72
	v_max3_f32 v68, v68, v70, v77
	ds_bpermute_b32 v69, v90, v68
	s_waitcnt lgkmcnt(0)
	v_max_f32_e32 v69, v69, v69
	s_delay_alu instid0(VALU_DEP_1) | instskip(NEXT) | instid1(VALU_DEP_1)
	v_max_f32_e32 v81, v68, v69
	v_fma_f32 v68, s19, v117, -v81
	v_fma_f32 v69, s19, v118, -v81
	;; [unrolled: 1-line block ×5, first 2 shown]
	s_delay_alu instid0(VALU_DEP_4) | instskip(NEXT) | instid1(VALU_DEP_3)
	v_dual_mul_f32 v68, 0x3fb8aa3b, v68 :: v_dual_mul_f32 v69, 0x3fb8aa3b, v69
	v_dual_mul_f32 v70, 0x3fb8aa3b, v70 :: v_dual_mul_f32 v71, 0x3fb8aa3b, v71
	v_fma_f32 v78, s19, v123, -v81
	s_delay_alu instid0(VALU_DEP_3) | instskip(NEXT) | instid1(VALU_DEP_3)
	v_exp_f32_e32 v68, v68
	v_exp_f32_e32 v69, v69
	s_delay_alu instid0(VALU_DEP_2)
	v_exp_f32_e32 v70, v70
	v_mul_f32_e32 v72, 0x3fb8aa3b, v72
	v_exp_f32_e32 v71, v71
	v_mul_f32_e32 v78, 0x3fb8aa3b, v78
	v_fma_f32 v80, s19, v106, -v81
	v_cndmask_b32_e64 v82, 0, v68, s3
	s_delay_alu instid0(TRANS32_DEP_3) | instskip(SKIP_2) | instid1(TRANS32_DEP_3)
	v_cndmask_b32_e32 v77, 0, v69, vcc_lo
	v_fma_f32 v68, s19, v122, -v81
	v_exp_f32_e32 v72, v72
	v_cndmask_b32_e64 v83, 0, v70, s4
	v_add_f32_e32 v69, 0, v82
	v_fma_f32 v70, s19, v124, -v81
	v_mul_f32_e32 v68, 0x3fb8aa3b, v68
	v_cndmask_b32_e64 v85, 0, v71, s5
	v_fma_f32 v71, s19, v101, -v81
	s_delay_alu instid0(VALU_DEP_4) | instskip(NEXT) | instid1(VALU_DEP_4)
	v_dual_add_f32 v69, v69, v77 :: v_dual_mul_f32 v70, 0x3fb8aa3b, v70
	v_exp_f32_e32 v68, v68
	s_delay_alu instid0(TRANS32_DEP_2) | instskip(SKIP_1) | instid1(VALU_DEP_3)
	v_cndmask_b32_e64 v86, 0, v72, s6
	v_fma_f32 v72, s19, v102, -v81
	v_add_f32_e32 v69, v69, v83
	v_exp_f32_e32 v78, v78
	v_exp_f32_e32 v70, v70
	s_mov_b32 s3, exec_lo
	s_delay_alu instid0(VALU_DEP_1) | instskip(SKIP_1) | instid1(TRANS32_DEP_3)
	v_dual_mul_f32 v72, 0x3fb8aa3b, v72 :: v_dual_add_f32 v69, v69, v85
	v_mul_f32_e32 v71, 0x3fb8aa3b, v71
	v_cndmask_b32_e64 v87, 0, v68, s7
	s_delay_alu instid0(VALU_DEP_3) | instskip(NEXT) | instid1(VALU_DEP_3)
	v_exp_f32_e32 v72, v72
	v_add_f32_e32 v68, v69, v86
	v_fma_f32 v69, s19, v103, -v81
	v_exp_f32_e32 v71, v71
	v_cndmask_b32_e64 v84, 0, v78, s8
	v_fma_f32 v78, s19, v104, -v81
	s_delay_alu instid0(VALU_DEP_3) | instskip(SKIP_2) | instid1(VALU_DEP_3)
	v_dual_add_f32 v68, v68, v87 :: v_dual_mul_f32 v69, 0x3fb8aa3b, v69
	v_cndmask_b32_e64 v88, 0, v70, s9
	v_fma_f32 v70, s19, v105, -v81
	v_exp_f32_e32 v79, v69
	s_delay_alu instid0(TRANS32_DEP_2) | instskip(SKIP_1) | instid1(VALU_DEP_1)
	v_cndmask_b32_e64 v69, 0, v71, s10
	v_add_f32_e32 v68, v68, v84
	v_dual_mul_f32 v78, 0x3fb8aa3b, v78 :: v_dual_add_f32 v71, v68, v88
	s_delay_alu instid0(VALU_DEP_1) | instskip(SKIP_2) | instid1(VALU_DEP_3)
	v_exp_f32_e32 v78, v78
	v_cndmask_b32_e64 v68, 0, v72, s11
	v_fma_f32 v72, s19, v107, -v81
	v_dual_add_f32 v71, v71, v69 :: v_dual_mul_f32 v70, 0x3fb8aa3b, v70
	s_delay_alu instid0(VALU_DEP_1) | instskip(NEXT) | instid1(TRANS32_DEP_3)
	v_exp_f32_e32 v89, v70
	v_cndmask_b32_e64 v70, 0, v79, s12
	s_delay_alu instid0(VALU_DEP_2) | instskip(NEXT) | instid1(TRANS32_DEP_2)
	v_add_f32_e32 v79, v71, v68
	v_cndmask_b32_e64 v71, 0, v78, s13
	s_delay_alu instid0(VALU_DEP_2) | instskip(SKIP_2) | instid1(VALU_DEP_1)
	v_add_f32_e32 v78, v79, v70
	v_mul_f32_e32 v80, 0x3fb8aa3b, v80
	v_fma_f32 v79, s19, v108, -v81
	v_dual_mul_f32 v72, 0x3fb8aa3b, v72 :: v_dual_mul_f32 v79, 0x3fb8aa3b, v79
	s_delay_alu instid0(VALU_DEP_1) | instskip(NEXT) | instid1(TRANS32_DEP_2)
	v_exp_f32_e32 v91, v72
	v_cndmask_b32_e64 v72, 0, v89, s15
	v_add_f32_e32 v89, v78, v71
	v_exp_f32_e32 v80, v80
	s_waitcnt_depctr 0xfff
	v_cndmask_b32_e64 v78, 0, v80, s16
	v_add_f32_e32 v80, v89, v72
	v_exp_f32_e32 v89, v79
	v_cndmask_b32_e64 v79, 0, v91, s17
	s_delay_alu instid0(VALU_DEP_2) | instskip(NEXT) | instid1(VALU_DEP_1)
	v_add_f32_e32 v80, v80, v78
	v_add_f32_e32 v91, v80, v79
	s_waitcnt_depctr 0xfff
	v_cndmask_b32_e64 v80, 0, v89, s18
	s_delay_alu instid0(VALU_DEP_1)
	v_add_f32_e32 v89, v91, v80
	ds_bpermute_b32 v90, v90, v89
	v_cmpx_gt_u32_e32 16, v67
	s_cbranch_execz .LBB1789_12
; %bb.11:
	v_mul_u32_u24_e32 v67, 0x44, v65
	s_waitcnt lgkmcnt(0)
	v_add_f32_e32 v89, v89, v90
	s_delay_alu instid0(VALU_DEP_2) | instskip(NEXT) | instid1(VALU_DEP_1)
	v_lshl_add_u32 v67, v66, 2, v67
	v_add_nc_u32_e32 v67, 0x4000, v67
	ds_store_2addr_b32 v67, v81, v89 offset1:136
.LBB1789_12:
	s_or_b32 exec_lo, exec_lo, s3
	v_lshlrev_b32_e32 v66, 2, v66
	s_waitcnt lgkmcnt(0)
	s_barrier
	buffer_gl0_inv
	v_cmp_eq_u32_e32 vcc_lo, 1, v65
	v_add_nc_u32_e32 v81, 0x4000, v66
	v_cmp_eq_u32_e64 s3, 2, v65
	v_cmp_eq_u32_e64 s5, 7, v65
	ds_load_2addr_b32 v[89:90], v81 offset1:17
	ds_load_2addr_b32 v[91:92], v81 offset0:34 offset1:51
	ds_load_2addr_b32 v[93:94], v81 offset0:68 offset1:85
	;; [unrolled: 1-line block ×4, first 2 shown]
	s_waitcnt lgkmcnt(4)
	v_max3_f32 v66, v89, 0xff7fffff, v90
	s_waitcnt lgkmcnt(3)
	s_delay_alu instid0(VALU_DEP_1) | instskip(SKIP_1) | instid1(VALU_DEP_1)
	v_max3_f32 v66, v66, v91, v92
	s_waitcnt lgkmcnt(2)
	v_max3_f32 v66, v66, v93, v94
	s_waitcnt lgkmcnt(1)
	s_delay_alu instid0(VALU_DEP_1) | instskip(NEXT) | instid1(VALU_DEP_1)
	v_max3_f32 v66, v66, v95, v96
	v_sub_f32_e32 v67, v89, v66
	v_sub_f32_e32 v91, v91, v66
	;; [unrolled: 1-line block ×3, first 2 shown]
	s_delay_alu instid0(VALU_DEP_3) | instskip(NEXT) | instid1(VALU_DEP_3)
	v_mul_f32_e32 v67, 0x3fb8aa3b, v67
	v_mul_f32_e32 v101, 0x3fb8aa3b, v91
	s_delay_alu instid0(VALU_DEP_3) | instskip(NEXT) | instid1(VALU_DEP_3)
	v_mul_f32_e32 v103, 0x3fb8aa3b, v93
	v_exp_f32_e32 v100, v67
	v_sub_f32_e32 v67, v92, v66
	v_sub_f32_e32 v99, v90, v66
	ds_load_2addr_b32 v[89:90], v81 offset0:170 offset1:187
	ds_load_2addr_b32 v[91:92], v81 offset0:204 offset1:221
	v_exp_f32_e32 v101, v101
	v_mul_f32_e32 v102, 0x3fb8aa3b, v67
	v_mul_f32_e32 v99, 0x3fb8aa3b, v99
	s_waitcnt lgkmcnt(2)
	v_fma_f32 v67, v100, v97, 0
	v_sub_f32_e32 v97, v94, v66
	s_delay_alu instid0(VALU_DEP_3)
	v_exp_f32_e32 v99, v99
	v_exp_f32_e32 v102, v102
	ds_load_2addr_b32 v[93:94], v81 offset0:238 offset1:255
	v_sub_f32_e32 v81, v95, v66
	v_mul_f32_e32 v95, 0x3fb8aa3b, v97
	v_exp_f32_e32 v97, v103
	s_waitcnt lgkmcnt(0)
	s_barrier
	v_mul_f32_e32 v81, 0x3fb8aa3b, v81
	v_exp_f32_e32 v95, v95
	v_fmac_f32_e32 v67, v99, v98
	buffer_gl0_inv
	v_exp_f32_e32 v81, v81
	v_fmac_f32_e32 v67, v101, v89
	v_sub_f32_e32 v89, v96, v66
	s_delay_alu instid0(VALU_DEP_2) | instskip(NEXT) | instid1(VALU_DEP_2)
	v_fmac_f32_e32 v67, v102, v90
	v_mul_f32_e32 v89, 0x3fb8aa3b, v89
	s_delay_alu instid0(VALU_DEP_2) | instskip(NEXT) | instid1(VALU_DEP_2)
	v_fmac_f32_e32 v67, v97, v91
	v_exp_f32_e32 v89, v89
	s_delay_alu instid0(VALU_DEP_1)
	v_fmac_f32_e32 v67, v95, v92
	s_delay_alu instid0(TRANS32_DEP_2) | instid1(VALU_DEP_1)
	v_fmac_f32_e32 v67, v81, v93
	s_waitcnt_depctr 0xfff
	v_fmac_f32_e32 v67, v89, v94
	s_delay_alu instid0(VALU_DEP_1) | instskip(NEXT) | instid1(VALU_DEP_1)
	v_add_f32_e32 v90, 0x358637bd, v67
	v_div_scale_f32 v91, null, v90, v90, 1.0
	v_div_scale_f32 v94, s4, 1.0, v90, 1.0
	s_delay_alu instid0(VALU_DEP_2) | instskip(SKIP_2) | instid1(VALU_DEP_1)
	v_rcp_f32_e32 v92, v91
	s_waitcnt_depctr 0xfff
	v_fma_f32 v93, -v91, v92, 1.0
	v_dual_fmac_f32 v92, v93, v92 :: v_dual_cndmask_b32 v93, v100, v99
	v_cmp_eq_u32_e32 vcc_lo, 3, v65
	s_delay_alu instid0(VALU_DEP_2) | instskip(NEXT) | instid1(VALU_DEP_3)
	v_mul_f32_e32 v96, v94, v92
	v_cndmask_b32_e64 v93, v93, v101, s3
	v_cmp_eq_u32_e64 s3, 4, v65
	s_delay_alu instid0(VALU_DEP_3) | instskip(NEXT) | instid1(VALU_DEP_3)
	v_fma_f32 v98, -v91, v96, v94
	v_cndmask_b32_e32 v93, v93, v102, vcc_lo
	v_cmp_eq_u32_e32 vcc_lo, 5, v65
	s_delay_alu instid0(VALU_DEP_3) | instskip(NEXT) | instid1(VALU_DEP_3)
	v_fmac_f32_e32 v96, v98, v92
	v_cndmask_b32_e64 v93, v93, v97, s3
	v_cmp_eq_u32_e64 s3, 6, v65
	s_delay_alu instid0(VALU_DEP_3) | instskip(NEXT) | instid1(VALU_DEP_3)
	v_fma_f32 v91, -v91, v96, v94
	v_cndmask_b32_e32 v93, v93, v95, vcc_lo
	s_mov_b32 vcc_lo, s4
	s_delay_alu instid0(VALU_DEP_2) | instskip(NEXT) | instid1(VALU_DEP_2)
	v_div_fmas_f32 v91, v91, v92, v96
	v_cndmask_b32_e64 v81, v93, v81, s3
	s_mov_b32 s3, exec_lo
	s_delay_alu instid0(VALU_DEP_2) | instskip(NEXT) | instid1(VALU_DEP_2)
	v_div_fixup_f32 v90, v91, v90, 1.0
	v_cndmask_b32_e64 v81, v81, v89, s5
	s_delay_alu instid0(VALU_DEP_1) | instskip(NEXT) | instid1(VALU_DEP_1)
	v_mul_f32_e32 v81, v81, v90
	v_mul_f32_e32 v90, v81, v82
	v_mul_f32_e32 v82, v81, v88
	v_mul_f32_e32 v84, v81, v84
	v_mul_f32_e32 v87, v81, v87
	v_mul_f32_e32 v88, v81, v86
	v_dual_mul_f32 v86, v81, v83 :: v_dual_and_b32 v91, 0x7f800000, v90
	v_mul_f32_e32 v89, v81, v85
	v_mul_f32_e32 v85, v81, v77
                                        ; implicit-def: $vgpr77
	s_delay_alu instid0(VALU_DEP_3)
	v_cmpx_ne_u32_e32 0x7f800000, v91
	s_xor_b32 s3, exec_lo, s3
; %bb.13:
	v_bfe_u32 v77, v90, 16, 1
	s_delay_alu instid0(VALU_DEP_1)
	v_add3_u32 v77, v90, v77, 0x7fff
                                        ; implicit-def: $vgpr90
; %bb.14:
	s_and_not1_saveexec_b32 s3, s3
; %bb.15:
	v_and_b32_e32 v77, 0xffff, v90
	v_or_b32_e32 v83, 0x10000, v90
	s_delay_alu instid0(VALU_DEP_2) | instskip(NEXT) | instid1(VALU_DEP_2)
	v_cmp_eq_u32_e32 vcc_lo, 0, v77
	v_cndmask_b32_e32 v77, v83, v90, vcc_lo
; %bb.16:
	s_or_b32 exec_lo, exec_lo, s3
	v_and_b32_e32 v83, 0x7f800000, v85
	s_delay_alu instid0(VALU_DEP_1) | instskip(SKIP_1) | instid1(SALU_CYCLE_1)
	v_cmp_ne_u32_e32 vcc_lo, 0x7f800000, v83
                                        ; implicit-def: $vgpr83
	s_and_saveexec_b32 s3, vcc_lo
	s_xor_b32 s3, exec_lo, s3
; %bb.17:
	v_bfe_u32 v83, v85, 16, 1
	s_delay_alu instid0(VALU_DEP_1)
	v_add3_u32 v83, v85, v83, 0x7fff
                                        ; implicit-def: $vgpr85
; %bb.18:
	s_and_not1_saveexec_b32 s3, s3
; %bb.19:
	v_and_b32_e32 v83, 0xffff, v85
	v_or_b32_e32 v90, 0x10000, v85
	s_delay_alu instid0(VALU_DEP_2) | instskip(NEXT) | instid1(VALU_DEP_2)
	v_cmp_eq_u32_e32 vcc_lo, 0, v83
	v_cndmask_b32_e32 v83, v90, v85, vcc_lo
; %bb.20:
	s_or_b32 exec_lo, exec_lo, s3
	v_and_b32_e32 v85, 0x7f800000, v86
	s_delay_alu instid0(VALU_DEP_1) | instskip(SKIP_1) | instid1(SALU_CYCLE_1)
	v_cmp_ne_u32_e32 vcc_lo, 0x7f800000, v85
                                        ; implicit-def: $vgpr85
	s_and_saveexec_b32 s3, vcc_lo
	s_xor_b32 s3, exec_lo, s3
; %bb.21:
	v_bfe_u32 v85, v86, 16, 1
	s_delay_alu instid0(VALU_DEP_1)
	v_add3_u32 v85, v86, v85, 0x7fff
                                        ; implicit-def: $vgpr86
; %bb.22:
	s_and_not1_saveexec_b32 s3, s3
; %bb.23:
	v_and_b32_e32 v85, 0xffff, v86
	v_or_b32_e32 v90, 0x10000, v86
	s_delay_alu instid0(VALU_DEP_2) | instskip(NEXT) | instid1(VALU_DEP_2)
	v_cmp_eq_u32_e32 vcc_lo, 0, v85
	v_cndmask_b32_e32 v85, v90, v86, vcc_lo
; %bb.24:
	s_or_b32 exec_lo, exec_lo, s3
	v_and_b32_e32 v86, 0x7f800000, v89
	s_delay_alu instid0(VALU_DEP_1) | instskip(SKIP_1) | instid1(SALU_CYCLE_1)
	v_cmp_ne_u32_e32 vcc_lo, 0x7f800000, v86
                                        ; implicit-def: $vgpr86
	s_and_saveexec_b32 s3, vcc_lo
	s_xor_b32 s3, exec_lo, s3
; %bb.25:
	v_bfe_u32 v86, v89, 16, 1
	s_delay_alu instid0(VALU_DEP_1)
	v_add3_u32 v86, v89, v86, 0x7fff
                                        ; implicit-def: $vgpr89
; %bb.26:
	s_and_not1_saveexec_b32 s3, s3
; %bb.27:
	v_and_b32_e32 v86, 0xffff, v89
	v_or_b32_e32 v90, 0x10000, v89
	s_delay_alu instid0(VALU_DEP_2) | instskip(NEXT) | instid1(VALU_DEP_2)
	v_cmp_eq_u32_e32 vcc_lo, 0, v86
	v_cndmask_b32_e32 v86, v90, v89, vcc_lo
; %bb.28:
	s_or_b32 exec_lo, exec_lo, s3
	v_and_b32_e32 v89, 0x7f800000, v88
	s_delay_alu instid0(VALU_DEP_1) | instskip(SKIP_1) | instid1(SALU_CYCLE_1)
	v_cmp_ne_u32_e32 vcc_lo, 0x7f800000, v89
                                        ; implicit-def: $vgpr89
	s_and_saveexec_b32 s3, vcc_lo
	s_xor_b32 s3, exec_lo, s3
; %bb.29:
	v_bfe_u32 v89, v88, 16, 1
	s_delay_alu instid0(VALU_DEP_1)
	v_add3_u32 v89, v88, v89, 0x7fff
                                        ; implicit-def: $vgpr88
; %bb.30:
	s_and_not1_saveexec_b32 s3, s3
; %bb.31:
	v_and_b32_e32 v89, 0xffff, v88
	v_or_b32_e32 v90, 0x10000, v88
	s_delay_alu instid0(VALU_DEP_2) | instskip(NEXT) | instid1(VALU_DEP_2)
	v_cmp_eq_u32_e32 vcc_lo, 0, v89
	v_cndmask_b32_e32 v89, v90, v88, vcc_lo
; %bb.32:
	s_or_b32 exec_lo, exec_lo, s3
	v_and_b32_e32 v88, 0x7f800000, v87
	s_delay_alu instid0(VALU_DEP_1) | instskip(SKIP_1) | instid1(SALU_CYCLE_1)
	v_cmp_ne_u32_e32 vcc_lo, 0x7f800000, v88
                                        ; implicit-def: $vgpr88
	s_and_saveexec_b32 s3, vcc_lo
	s_xor_b32 s3, exec_lo, s3
; %bb.33:
	v_bfe_u32 v88, v87, 16, 1
	s_delay_alu instid0(VALU_DEP_1)
	v_add3_u32 v88, v87, v88, 0x7fff
                                        ; implicit-def: $vgpr87
; %bb.34:
	s_and_not1_saveexec_b32 s3, s3
; %bb.35:
	v_and_b32_e32 v88, 0xffff, v87
	v_or_b32_e32 v90, 0x10000, v87
	s_delay_alu instid0(VALU_DEP_2) | instskip(NEXT) | instid1(VALU_DEP_2)
	v_cmp_eq_u32_e32 vcc_lo, 0, v88
	v_cndmask_b32_e32 v88, v90, v87, vcc_lo
; %bb.36:
	s_or_b32 exec_lo, exec_lo, s3
	v_and_b32_e32 v87, 0x7f800000, v84
	s_delay_alu instid0(VALU_DEP_1) | instskip(SKIP_1) | instid1(SALU_CYCLE_1)
	v_cmp_ne_u32_e32 vcc_lo, 0x7f800000, v87
                                        ; implicit-def: $vgpr87
	s_and_saveexec_b32 s3, vcc_lo
	s_xor_b32 s3, exec_lo, s3
; %bb.37:
	v_bfe_u32 v87, v84, 16, 1
	s_delay_alu instid0(VALU_DEP_1)
	v_add3_u32 v87, v84, v87, 0x7fff
                                        ; implicit-def: $vgpr84
; %bb.38:
	s_and_not1_saveexec_b32 s3, s3
; %bb.39:
	v_and_b32_e32 v87, 0xffff, v84
	v_or_b32_e32 v90, 0x10000, v84
	s_delay_alu instid0(VALU_DEP_2) | instskip(NEXT) | instid1(VALU_DEP_2)
	v_cmp_eq_u32_e32 vcc_lo, 0, v87
	v_cndmask_b32_e32 v87, v90, v84, vcc_lo
; %bb.40:
	s_or_b32 exec_lo, exec_lo, s3
	v_and_b32_e32 v84, 0x7f800000, v82
	s_delay_alu instid0(VALU_DEP_1) | instskip(SKIP_1) | instid1(SALU_CYCLE_1)
	v_cmp_ne_u32_e32 vcc_lo, 0x7f800000, v84
                                        ; implicit-def: $vgpr84
	s_and_saveexec_b32 s3, vcc_lo
	s_xor_b32 s3, exec_lo, s3
; %bb.41:
	v_bfe_u32 v84, v82, 16, 1
	s_delay_alu instid0(VALU_DEP_1)
	v_add3_u32 v84, v82, v84, 0x7fff
                                        ; implicit-def: $vgpr82
; %bb.42:
	s_and_not1_saveexec_b32 s3, s3
; %bb.43:
	v_and_b32_e32 v84, 0xffff, v82
	v_or_b32_e32 v90, 0x10000, v82
	s_delay_alu instid0(VALU_DEP_2) | instskip(NEXT) | instid1(VALU_DEP_2)
	v_cmp_eq_u32_e32 vcc_lo, 0, v84
	v_cndmask_b32_e32 v84, v90, v82, vcc_lo
; %bb.44:
	s_or_b32 exec_lo, exec_lo, s3
	s_load_b64 s[34:35], s[0:1], 0x94
	v_lshlrev_b32_e32 v82, 4, v74
	s_delay_alu instid0(VALU_DEP_2)
	v_perm_b32 v90, v84, v87, 0x7060302
	v_lshlrev_b32_e32 v84, 11, v65
	v_perm_b32 v87, v83, v77, 0x7060302
	v_mul_f32_e32 v83, v81, v69
	v_mul_f32_e32 v69, v81, v80
	v_perm_b32 v89, v88, v89, 0x7060302
	v_perm_b32 v88, v86, v85, 0x7060302
	v_or3_b32 v77, v82, v84, v76
	v_mul_f32_e32 v79, v81, v79
	v_mul_f32_e32 v78, v81, v78
	v_and_b32_e32 v84, 0x7f800000, v83
	v_mul_f32_e32 v72, v81, v72
	v_mul_f32_e32 v82, v81, v71
	;; [unrolled: 1-line block ×4, first 2 shown]
	s_mov_b32 s3, exec_lo
	ds_store_b128 v77, v[87:90]
                                        ; implicit-def: $vgpr68
	v_cmpx_ne_u32_e32 0x7f800000, v84
	s_xor_b32 s3, exec_lo, s3
; %bb.45:
	v_bfe_u32 v68, v83, 16, 1
	s_delay_alu instid0(VALU_DEP_1)
	v_add3_u32 v68, v83, v68, 0x7fff
                                        ; implicit-def: $vgpr83
; %bb.46:
	s_and_not1_saveexec_b32 s3, s3
; %bb.47:
	v_and_b32_e32 v68, 0xffff, v83
	v_or_b32_e32 v70, 0x10000, v83
	s_delay_alu instid0(VALU_DEP_2) | instskip(NEXT) | instid1(VALU_DEP_2)
	v_cmp_eq_u32_e32 vcc_lo, 0, v68
	v_cndmask_b32_e32 v68, v70, v83, vcc_lo
; %bb.48:
	s_or_b32 exec_lo, exec_lo, s3
	v_and_b32_e32 v70, 0x7f800000, v71
	s_delay_alu instid0(VALU_DEP_1) | instskip(SKIP_1) | instid1(SALU_CYCLE_1)
	v_cmp_ne_u32_e32 vcc_lo, 0x7f800000, v70
                                        ; implicit-def: $vgpr70
	s_and_saveexec_b32 s3, vcc_lo
	s_xor_b32 s3, exec_lo, s3
; %bb.49:
	v_bfe_u32 v70, v71, 16, 1
	s_delay_alu instid0(VALU_DEP_1)
	v_add3_u32 v70, v71, v70, 0x7fff
                                        ; implicit-def: $vgpr71
; %bb.50:
	s_and_not1_saveexec_b32 s3, s3
; %bb.51:
	v_and_b32_e32 v70, 0xffff, v71
	v_or_b32_e32 v81, 0x10000, v71
	s_delay_alu instid0(VALU_DEP_2) | instskip(NEXT) | instid1(VALU_DEP_2)
	v_cmp_eq_u32_e32 vcc_lo, 0, v70
	v_cndmask_b32_e32 v70, v81, v71, vcc_lo
; %bb.52:
	s_or_b32 exec_lo, exec_lo, s3
	v_and_b32_e32 v71, 0x7f800000, v80
	s_delay_alu instid0(VALU_DEP_1) | instskip(SKIP_1) | instid1(SALU_CYCLE_1)
	v_cmp_ne_u32_e32 vcc_lo, 0x7f800000, v71
                                        ; implicit-def: $vgpr71
	s_and_saveexec_b32 s3, vcc_lo
	s_xor_b32 s3, exec_lo, s3
; %bb.53:
	v_bfe_u32 v71, v80, 16, 1
	s_delay_alu instid0(VALU_DEP_1)
	v_add3_u32 v71, v80, v71, 0x7fff
                                        ; implicit-def: $vgpr80
; %bb.54:
	s_and_not1_saveexec_b32 s3, s3
; %bb.55:
	v_and_b32_e32 v71, 0xffff, v80
	v_or_b32_e32 v81, 0x10000, v80
	s_delay_alu instid0(VALU_DEP_2) | instskip(NEXT) | instid1(VALU_DEP_2)
	v_cmp_eq_u32_e32 vcc_lo, 0, v71
	v_cndmask_b32_e32 v71, v81, v80, vcc_lo
; %bb.56:
	s_or_b32 exec_lo, exec_lo, s3
	v_and_b32_e32 v80, 0x7f800000, v82
	s_delay_alu instid0(VALU_DEP_1) | instskip(SKIP_1) | instid1(SALU_CYCLE_1)
	v_cmp_ne_u32_e32 vcc_lo, 0x7f800000, v80
                                        ; implicit-def: $vgpr80
	s_and_saveexec_b32 s3, vcc_lo
	s_xor_b32 s3, exec_lo, s3
; %bb.57:
	v_bfe_u32 v80, v82, 16, 1
	s_delay_alu instid0(VALU_DEP_1)
	v_add3_u32 v80, v82, v80, 0x7fff
                                        ; implicit-def: $vgpr82
; %bb.58:
	s_and_not1_saveexec_b32 s3, s3
; %bb.59:
	v_and_b32_e32 v80, 0xffff, v82
	v_or_b32_e32 v81, 0x10000, v82
	s_delay_alu instid0(VALU_DEP_2) | instskip(NEXT) | instid1(VALU_DEP_2)
	v_cmp_eq_u32_e32 vcc_lo, 0, v80
	v_cndmask_b32_e32 v80, v81, v82, vcc_lo
; %bb.60:
	s_or_b32 exec_lo, exec_lo, s3
	v_and_b32_e32 v81, 0x7f800000, v72
	s_delay_alu instid0(VALU_DEP_1) | instskip(SKIP_1) | instid1(SALU_CYCLE_1)
	v_cmp_ne_u32_e32 vcc_lo, 0x7f800000, v81
                                        ; implicit-def: $vgpr81
	s_and_saveexec_b32 s3, vcc_lo
	s_xor_b32 s3, exec_lo, s3
; %bb.61:
	v_bfe_u32 v81, v72, 16, 1
	s_delay_alu instid0(VALU_DEP_1)
	v_add3_u32 v81, v72, v81, 0x7fff
                                        ; implicit-def: $vgpr72
; %bb.62:
	s_and_not1_saveexec_b32 s3, s3
; %bb.63:
	v_and_b32_e32 v81, 0xffff, v72
	v_or_b32_e32 v82, 0x10000, v72
	s_delay_alu instid0(VALU_DEP_2) | instskip(NEXT) | instid1(VALU_DEP_2)
	v_cmp_eq_u32_e32 vcc_lo, 0, v81
	v_cndmask_b32_e32 v81, v82, v72, vcc_lo
; %bb.64:
	s_or_b32 exec_lo, exec_lo, s3
	v_and_b32_e32 v72, 0x7f800000, v78
	s_delay_alu instid0(VALU_DEP_1) | instskip(SKIP_1) | instid1(SALU_CYCLE_1)
	v_cmp_ne_u32_e32 vcc_lo, 0x7f800000, v72
                                        ; implicit-def: $vgpr72
	s_and_saveexec_b32 s3, vcc_lo
	s_xor_b32 s3, exec_lo, s3
; %bb.65:
	v_bfe_u32 v72, v78, 16, 1
	s_delay_alu instid0(VALU_DEP_1)
	v_add3_u32 v72, v78, v72, 0x7fff
                                        ; implicit-def: $vgpr78
; %bb.66:
	s_and_not1_saveexec_b32 s3, s3
; %bb.67:
	v_and_b32_e32 v72, 0xffff, v78
	v_or_b32_e32 v82, 0x10000, v78
	s_delay_alu instid0(VALU_DEP_2) | instskip(NEXT) | instid1(VALU_DEP_2)
	v_cmp_eq_u32_e32 vcc_lo, 0, v72
	v_cndmask_b32_e32 v72, v82, v78, vcc_lo
; %bb.68:
	s_or_b32 exec_lo, exec_lo, s3
	v_and_b32_e32 v78, 0x7f800000, v79
	s_delay_alu instid0(VALU_DEP_1) | instskip(SKIP_1) | instid1(SALU_CYCLE_1)
	v_cmp_ne_u32_e32 vcc_lo, 0x7f800000, v78
                                        ; implicit-def: $vgpr78
	s_and_saveexec_b32 s3, vcc_lo
	s_xor_b32 s3, exec_lo, s3
; %bb.69:
	v_bfe_u32 v78, v79, 16, 1
	s_delay_alu instid0(VALU_DEP_1)
	v_add3_u32 v78, v79, v78, 0x7fff
                                        ; implicit-def: $vgpr79
; %bb.70:
	s_and_not1_saveexec_b32 s3, s3
; %bb.71:
	v_and_b32_e32 v78, 0xffff, v79
	v_or_b32_e32 v82, 0x10000, v79
	s_delay_alu instid0(VALU_DEP_2) | instskip(NEXT) | instid1(VALU_DEP_2)
	v_cmp_eq_u32_e32 vcc_lo, 0, v78
	v_cndmask_b32_e32 v78, v82, v79, vcc_lo
; %bb.72:
	s_or_b32 exec_lo, exec_lo, s3
	v_and_b32_e32 v79, 0x7f800000, v69
	s_delay_alu instid0(VALU_DEP_1) | instskip(SKIP_1) | instid1(SALU_CYCLE_1)
	v_cmp_ne_u32_e32 vcc_lo, 0x7f800000, v79
                                        ; implicit-def: $vgpr79
	s_and_saveexec_b32 s3, vcc_lo
	s_xor_b32 s3, exec_lo, s3
; %bb.73:
	v_bfe_u32 v79, v69, 16, 1
	s_delay_alu instid0(VALU_DEP_1)
	v_add3_u32 v79, v69, v79, 0x7fff
                                        ; implicit-def: $vgpr69
; %bb.74:
	s_and_not1_saveexec_b32 s3, s3
; %bb.75:
	v_and_b32_e32 v79, 0xffff, v69
	v_or_b32_e32 v82, 0x10000, v69
	s_delay_alu instid0(VALU_DEP_2) | instskip(NEXT) | instid1(VALU_DEP_2)
	v_cmp_eq_u32_e32 vcc_lo, 0, v79
	v_cndmask_b32_e32 v79, v82, v69, vcc_lo
; %bb.76:
	s_or_b32 exec_lo, exec_lo, s3
	s_delay_alu instid0(VALU_DEP_1)
	v_perm_b32 v86, v79, v78, 0x7060302
	v_perm_b32 v85, v72, v81, 0x7060302
	;; [unrolled: 1-line block ×4, first 2 shown]
	v_lshl_or_b32 v82, v65, 11, v76
	v_lshlrev_b32_e32 v79, 2, v74
	ds_store_b128 v77, v[83:86] offset:1024
	s_waitcnt lgkmcnt(0)
	s_barrier
	buffer_gl0_inv
	ds_load_b128 v[68:71], v82
	ds_load_b128 v[83:86], v82 offset:16
	v_or_b32_e32 v80, 1, v79
	v_cmp_eq_u32_e32 vcc_lo, 1, v79
	v_cmp_eq_u32_e64 s4, 2, v79
	v_cmp_eq_u32_e64 s7, 3, v79
	;; [unrolled: 1-line block ×6, first 2 shown]
	v_or_b32_e32 v78, 2, v79
	v_cmp_eq_u32_e64 s10, 5, v79
	v_cmp_eq_u32_e64 s11, 4, v80
	;; [unrolled: 1-line block ×9, first 2 shown]
	s_waitcnt lgkmcnt(1)
	v_lshrrev_b32_e32 v65, 16, v68
	s_waitcnt lgkmcnt(0)
	v_lshrrev_b32_e32 v91, 16, v83
	v_lshrrev_b32_e32 v72, 16, v69
	;; [unrolled: 1-line block ×4, first 2 shown]
	v_cndmask_b32_e32 v81, v68, v65, vcc_lo
	v_cndmask_b32_e32 v87, v83, v91, vcc_lo
	v_cndmask_b32_e64 v88, v68, v65, s3
	v_lshrrev_b32_e32 v98, 16, v85
	v_cndmask_b32_e64 v89, v83, v91, s3
	v_cndmask_b32_e64 v81, v81, v69, s4
	v_cndmask_b32_e64 v87, v87, v84, s4
	v_cndmask_b32_e64 v88, v88, v69, s6
	v_lshrrev_b32_e32 v96, 16, v71
	v_cndmask_b32_e64 v89, v89, v84, s6
	v_cndmask_b32_e64 v81, v81, v72, s7
	v_cndmask_b32_e64 v87, v87, v97, s7
	;; [unrolled: 5-line block ×3, first 2 shown]
	v_cndmask_b32_e64 v88, v88, v70, s11
	v_cndmask_b32_e64 v89, v89, v97, s8
	v_cmp_eq_u32_e64 s19, 3, v78
	v_cndmask_b32_e64 v81, v81, v95, s10
	v_cndmask_b32_e64 v87, v87, v98, s10
	;; [unrolled: 1-line block ×4, first 2 shown]
	v_cmp_eq_u32_e64 s20, 4, v78
	v_cndmask_b32_e64 v81, v81, v71, s12
	v_cndmask_b32_e64 v87, v87, v86, s12
	;; [unrolled: 1-line block ×3, first 2 shown]
	v_cmp_eq_u32_e64 s22, 5, v78
	v_cmp_eq_u32_e64 s24, 6, v78
	v_cndmask_b32_e64 v100, v81, v96, s15
	v_cndmask_b32_e64 v101, v87, v99, s15
	;; [unrolled: 1-line block ×6, first 2 shown]
	v_cmp_eq_u32_e64 s27, 7, v78
	v_cndmask_b32_e64 v89, v81, v72, s19
	v_cndmask_b32_e64 v87, v87, v84, s17
	v_or_b32_e32 v81, 3, v79
	v_cndmask_b32_e64 v103, v88, v86, s16
	s_delay_alu instid0(VALU_DEP_4) | instskip(NEXT) | instid1(VALU_DEP_4)
	v_cndmask_b32_e64 v92, v89, v70, s20
	v_cndmask_b32_e64 v93, v87, v97, s19
	s_delay_alu instid0(VALU_DEP_4)
	v_cmp_eq_u32_e64 s21, 1, v81
	ds_load_b128 v[87:90], v82 offset:1024
	v_cmp_eq_u32_e64 s23, 2, v81
	v_cndmask_b32_e64 v104, v92, v95, s22
	v_cmp_eq_u32_e64 s25, 3, v81
	v_cndmask_b32_e64 v65, v68, v65, s21
	v_cndmask_b32_e64 v68, v93, v85, s20
	;; [unrolled: 1-line block ×3, first 2 shown]
	ds_load_b128 v[91:94], v82 offset:1040
	v_cmp_eq_u32_e64 s26, 4, v81
	v_cndmask_b32_e64 v65, v65, v69, s23
	v_cmp_eq_u32_e64 s28, 5, v81
	v_cndmask_b32_e64 v69, v83, v84, s23
	;; [unrolled: 2-line block ×3, first 2 shown]
	v_cndmask_b32_e64 v65, v65, v72, s25
	v_cndmask_b32_e64 v72, v104, v71, s24
	;; [unrolled: 1-line block ×6, first 2 shown]
	s_waitcnt lgkmcnt(1)
	v_lshrrev_b32_e32 v84, 16, v87
	v_cndmask_b32_e64 v69, v69, v85, s26
	v_cndmask_b32_e64 v70, v72, v96, s27
	v_cndmask_b32_e64 v68, v68, v99, s27
	v_cndmask_b32_e64 v65, v65, v95, s28
	v_cndmask_b32_e32 v72, v87, v84, vcc_lo
	v_cndmask_b32_e64 v69, v69, v98, s28
	s_waitcnt lgkmcnt(0)
	v_lshrrev_b32_e32 v85, 16, v91
	v_lshrrev_b32_e32 v95, 16, v88
	v_cndmask_b32_e64 v97, v87, v84, s3
	v_cndmask_b32_e64 v72, v72, v88, s4
	;; [unrolled: 1-line block ×3, first 2 shown]
	v_cndmask_b32_e32 v98, v91, v85, vcc_lo
	v_cmp_eq_u32_e32 vcc_lo, 7, v81
	v_cndmask_b32_e64 v69, v69, v86, s29
	v_cndmask_b32_e64 v71, v72, v95, s7
	v_cndmask_b32_e64 v72, v97, v88, s6
	v_lshrrev_b32_e32 v97, 16, v92
	v_cndmask_b32_e32 v65, v65, v96, vcc_lo
	v_cndmask_b32_e64 v86, v98, v92, s4
	v_cndmask_b32_e32 v69, v69, v99, vcc_lo
	v_lshrrev_b32_e32 v99, 16, v93
	v_cndmask_b32_e64 v71, v71, v89, s9
	v_lshrrev_b32_e32 v98, 16, v89
	v_cndmask_b32_e64 v86, v86, v97, s7
	v_perm_b32 v70, v68, v70, 0x5040100
	v_cndmask_b32_e64 v72, v72, v95, s8
	s_delay_alu instid0(VALU_DEP_4) | instskip(NEXT) | instid1(VALU_DEP_4)
	v_cndmask_b32_e64 v96, v71, v98, s10
	v_cndmask_b32_e64 v86, v86, v93, s9
	v_perm_b32 v71, v69, v65, 0x5040100
	v_perm_b32 v69, v83, v102, 0x5040100
	v_cndmask_b32_e64 v102, v91, v85, s5
	v_cndmask_b32_e64 v72, v72, v89, s11
	;; [unrolled: 1-line block ×3, first 2 shown]
	v_lshrrev_b32_e32 v83, 16, v94
	s_delay_alu instid0(VALU_DEP_3) | instskip(NEXT) | instid1(VALU_DEP_3)
	v_cndmask_b32_e64 v65, v72, v98, s13
	v_cndmask_b32_e64 v68, v86, v94, s12
	;; [unrolled: 1-line block ×27, first 2 shown]
	v_lshrrev_b32_e32 v96, 16, v90
	v_cndmask_b32_e64 v65, v65, v90, s16
	v_cndmask_b32_e64 v86, v86, v90, s24
	;; [unrolled: 1-line block ×9, first 2 shown]
	v_cndmask_b32_e32 v84, v84, v96, vcc_lo
	v_cndmask_b32_e32 v86, v87, v83, vcc_lo
	v_cndmask_b32_e64 v87, v88, v83, s27
	v_cndmask_b32_e64 v88, v85, v83, s18
	;; [unrolled: 1-line block ×3, first 2 shown]
	v_perm_b32 v68, v101, v100, 0x5040100
	v_perm_b32 v86, v86, v84, 0x5040100
	;; [unrolled: 1-line block ×5, first 2 shown]
	s_lshl_b32 s8, s35, 4
	s_mov_b32 s3, exec_lo
	ds_store_b128 v77, v[68:71]
	ds_store_b128 v77, v[83:86] offset:1024
	v_cmpx_gt_u32_e32 16, v0
	s_cbranch_execz .LBB1789_78
; %bb.77:
	v_or_b32_e32 v65, s31, v0
	s_load_b128 s[4:7], s[0:1], 0x58
	s_delay_alu instid0(VALU_DEP_1) | instskip(NEXT) | instid1(VALU_DEP_1)
	v_mad_u64_u32 v[68:69], null, s8, s30, v[65:66]
	v_mad_u64_u32 v[69:70], null, v68, s34, s[14:15]
	s_delay_alu instid0(VALU_DEP_1) | instskip(NEXT) | instid1(VALU_DEP_1)
	v_ashrrev_i32_e32 v70, 31, v69
	v_lshlrev_b64 v[68:69], 2, v[69:70]
	s_waitcnt lgkmcnt(0)
	s_delay_alu instid0(VALU_DEP_1) | instskip(NEXT) | instid1(VALU_DEP_2)
	v_add_co_u32 v70, vcc_lo, s6, v68
	v_add_co_ci_u32_e32 v71, vcc_lo, s7, v69, vcc_lo
	v_add_co_u32 v68, vcc_lo, s4, v68
	v_add_co_ci_u32_e32 v69, vcc_lo, s5, v69, vcc_lo
	global_store_b32 v[70:71], v66, off
	global_store_b32 v[68:69], v67, off
.LBB1789_78:
	s_or_b32 exec_lo, exec_lo, s3
	s_waitcnt lgkmcnt(0)
	s_waitcnt_vscnt null, 0x0
	s_barrier
	buffer_gl0_inv
	ds_load_b128 v[83:86], v76
	ds_load_b128 v[87:90], v76 offset:16
	ds_load_b128 v[95:98], v76 offset:2064
	;; [unrolled: 1-line block ×3, first 2 shown]
	v_mov_b32_e32 v65, 0
	ds_load_b128 v[103:106], v76 offset:4112
	ds_load_b128 v[99:102], v76 offset:4096
	;; [unrolled: 1-line block ×4, first 2 shown]
	v_mov_b32_e32 v66, v65
	v_mov_b32_e32 v67, v65
	;; [unrolled: 1-line block ×7, first 2 shown]
	s_waitcnt lgkmcnt(6)
	s_delay_alu instid0(VALU_DEP_1)
	v_wmma_f32_16x16x16_bf16 v[65:72], v[57:64], v[83:90], v[65:72]
	ds_load_b128 v[61:64], v76 offset:8208
	ds_load_b128 v[57:60], v76 offset:8192
	s_waitcnt lgkmcnt(6)
	v_wmma_f32_16x16x16_bf16 v[65:72], v[41:48], v[91:98], v[65:72]
	ds_load_b128 v[45:48], v76 offset:10256
	ds_load_b128 v[41:44], v76 offset:10240
	s_waitcnt lgkmcnt(6)
	;; [unrolled: 4-line block ×4, first 2 shown]
	v_wmma_f32_16x16x16_bf16 v[65:72], v[1:8], v[57:64], v[65:72]
	s_waitcnt lgkmcnt(4)
	s_delay_alu instid0(VALU_DEP_1) | instskip(SKIP_1) | instid1(VALU_DEP_1)
	v_wmma_f32_16x16x16_bf16 v[65:72], v[9:16], v[41:48], v[65:72]
	s_waitcnt lgkmcnt(2)
	v_wmma_f32_16x16x16_bf16 v[65:72], v[17:24], v[33:40], v[65:72]
	s_waitcnt lgkmcnt(0)
	s_delay_alu instid0(VALU_DEP_1) | instskip(NEXT) | instid1(VALU_DEP_1)
	v_wmma_f32_16x16x16_bf16 v[65:72], v[49:56], v[25:32], v[65:72]
	v_and_b32_e32 v1, 0x7f800000, v65
	s_delay_alu instid0(VALU_DEP_1) | instskip(SKIP_1) | instid1(SALU_CYCLE_1)
	v_cmp_ne_u32_e32 vcc_lo, 0x7f800000, v1
                                        ; implicit-def: $vgpr1
	s_and_saveexec_b32 s3, vcc_lo
	s_xor_b32 s3, exec_lo, s3
; %bb.79:
	v_bfe_u32 v1, v65, 16, 1
	s_delay_alu instid0(VALU_DEP_1)
	v_add3_u32 v1, v65, v1, 0x7fff
; %bb.80:
	s_and_not1_saveexec_b32 s3, s3
; %bb.81:
	v_and_b32_e32 v1, 0xffff, v65
	v_or_b32_e32 v2, 0x10000, v65
	s_delay_alu instid0(VALU_DEP_2) | instskip(NEXT) | instid1(VALU_DEP_2)
	v_cmp_eq_u32_e32 vcc_lo, 0, v1
	v_cndmask_b32_e32 v1, v2, v65, vcc_lo
; %bb.82:
	s_or_b32 exec_lo, exec_lo, s3
	v_and_b32_e32 v2, 0x7f800000, v66
	s_delay_alu instid0(VALU_DEP_1) | instskip(SKIP_1) | instid1(SALU_CYCLE_1)
	v_cmp_ne_u32_e32 vcc_lo, 0x7f800000, v2
                                        ; implicit-def: $vgpr2
	s_and_saveexec_b32 s3, vcc_lo
	s_xor_b32 s3, exec_lo, s3
; %bb.83:
	v_bfe_u32 v2, v66, 16, 1
	s_delay_alu instid0(VALU_DEP_1)
	v_add3_u32 v2, v66, v2, 0x7fff
; %bb.84:
	s_and_not1_saveexec_b32 s3, s3
; %bb.85:
	v_and_b32_e32 v2, 0xffff, v66
	v_or_b32_e32 v3, 0x10000, v66
	s_delay_alu instid0(VALU_DEP_2) | instskip(NEXT) | instid1(VALU_DEP_2)
	v_cmp_eq_u32_e32 vcc_lo, 0, v2
	v_cndmask_b32_e32 v2, v3, v66, vcc_lo
; %bb.86:
	s_or_b32 exec_lo, exec_lo, s3
	v_and_b32_e32 v3, 0x7f800000, v67
	s_delay_alu instid0(VALU_DEP_1) | instskip(SKIP_1) | instid1(SALU_CYCLE_1)
	v_cmp_ne_u32_e32 vcc_lo, 0x7f800000, v3
                                        ; implicit-def: $vgpr3
	s_and_saveexec_b32 s3, vcc_lo
	s_xor_b32 s3, exec_lo, s3
; %bb.87:
	v_bfe_u32 v3, v67, 16, 1
	s_delay_alu instid0(VALU_DEP_1)
	v_add3_u32 v3, v67, v3, 0x7fff
; %bb.88:
	s_and_not1_saveexec_b32 s3, s3
; %bb.89:
	v_and_b32_e32 v3, 0xffff, v67
	v_or_b32_e32 v4, 0x10000, v67
	s_delay_alu instid0(VALU_DEP_2) | instskip(NEXT) | instid1(VALU_DEP_2)
	v_cmp_eq_u32_e32 vcc_lo, 0, v3
	v_cndmask_b32_e32 v3, v4, v67, vcc_lo
; %bb.90:
	s_or_b32 exec_lo, exec_lo, s3
	v_and_b32_e32 v4, 0x7f800000, v68
	s_delay_alu instid0(VALU_DEP_1) | instskip(SKIP_1) | instid1(SALU_CYCLE_1)
	v_cmp_ne_u32_e32 vcc_lo, 0x7f800000, v4
                                        ; implicit-def: $vgpr4
	s_and_saveexec_b32 s3, vcc_lo
	s_xor_b32 s3, exec_lo, s3
; %bb.91:
	v_bfe_u32 v4, v68, 16, 1
	s_delay_alu instid0(VALU_DEP_1)
	v_add3_u32 v4, v68, v4, 0x7fff
; %bb.92:
	s_and_not1_saveexec_b32 s3, s3
; %bb.93:
	v_and_b32_e32 v4, 0xffff, v68
	v_or_b32_e32 v5, 0x10000, v68
	s_delay_alu instid0(VALU_DEP_2) | instskip(NEXT) | instid1(VALU_DEP_2)
	v_cmp_eq_u32_e32 vcc_lo, 0, v4
	v_cndmask_b32_e32 v4, v5, v68, vcc_lo
; %bb.94:
	s_or_b32 exec_lo, exec_lo, s3
	v_and_b32_e32 v5, 0x7f800000, v69
	s_delay_alu instid0(VALU_DEP_1) | instskip(SKIP_1) | instid1(SALU_CYCLE_1)
	v_cmp_ne_u32_e32 vcc_lo, 0x7f800000, v5
                                        ; implicit-def: $vgpr5
	s_and_saveexec_b32 s3, vcc_lo
	s_xor_b32 s3, exec_lo, s3
; %bb.95:
	v_bfe_u32 v5, v69, 16, 1
	s_delay_alu instid0(VALU_DEP_1)
	v_add3_u32 v5, v69, v5, 0x7fff
; %bb.96:
	s_and_not1_saveexec_b32 s3, s3
; %bb.97:
	v_and_b32_e32 v5, 0xffff, v69
	v_or_b32_e32 v6, 0x10000, v69
	s_delay_alu instid0(VALU_DEP_2) | instskip(NEXT) | instid1(VALU_DEP_2)
	v_cmp_eq_u32_e32 vcc_lo, 0, v5
	v_cndmask_b32_e32 v5, v6, v69, vcc_lo
; %bb.98:
	s_or_b32 exec_lo, exec_lo, s3
	v_and_b32_e32 v6, 0x7f800000, v70
	s_delay_alu instid0(VALU_DEP_1) | instskip(SKIP_1) | instid1(SALU_CYCLE_1)
	v_cmp_ne_u32_e32 vcc_lo, 0x7f800000, v6
                                        ; implicit-def: $vgpr6
	s_and_saveexec_b32 s3, vcc_lo
	s_xor_b32 s3, exec_lo, s3
; %bb.99:
	v_bfe_u32 v6, v70, 16, 1
	s_delay_alu instid0(VALU_DEP_1)
	v_add3_u32 v6, v70, v6, 0x7fff
; %bb.100:
	s_and_not1_saveexec_b32 s3, s3
; %bb.101:
	v_and_b32_e32 v6, 0xffff, v70
	v_or_b32_e32 v7, 0x10000, v70
	s_delay_alu instid0(VALU_DEP_2) | instskip(NEXT) | instid1(VALU_DEP_2)
	v_cmp_eq_u32_e32 vcc_lo, 0, v6
	v_cndmask_b32_e32 v6, v7, v70, vcc_lo
; %bb.102:
	s_or_b32 exec_lo, exec_lo, s3
	v_and_b32_e32 v7, 0x7f800000, v71
	s_delay_alu instid0(VALU_DEP_1) | instskip(SKIP_1) | instid1(SALU_CYCLE_1)
	v_cmp_ne_u32_e32 vcc_lo, 0x7f800000, v7
                                        ; implicit-def: $vgpr7
	s_and_saveexec_b32 s3, vcc_lo
	s_xor_b32 s3, exec_lo, s3
; %bb.103:
	v_bfe_u32 v7, v71, 16, 1
	s_delay_alu instid0(VALU_DEP_1)
	v_add3_u32 v7, v71, v7, 0x7fff
; %bb.104:
	s_and_not1_saveexec_b32 s3, s3
; %bb.105:
	v_and_b32_e32 v7, 0xffff, v71
	v_or_b32_e32 v8, 0x10000, v71
	s_delay_alu instid0(VALU_DEP_2) | instskip(NEXT) | instid1(VALU_DEP_2)
	v_cmp_eq_u32_e32 vcc_lo, 0, v7
	v_cndmask_b32_e32 v7, v8, v71, vcc_lo
; %bb.106:
	s_or_b32 exec_lo, exec_lo, s3
	v_and_b32_e32 v8, 0x7f800000, v72
	s_delay_alu instid0(VALU_DEP_1) | instskip(SKIP_1) | instid1(SALU_CYCLE_1)
	v_cmp_ne_u32_e32 vcc_lo, 0x7f800000, v8
                                        ; implicit-def: $vgpr8
	s_and_saveexec_b32 s3, vcc_lo
	s_xor_b32 s3, exec_lo, s3
; %bb.107:
	v_bfe_u32 v8, v72, 16, 1
	s_delay_alu instid0(VALU_DEP_1)
	v_add3_u32 v8, v72, v8, 0x7fff
                                        ; implicit-def: $vgpr65_vgpr66_vgpr67_vgpr68_vgpr69_vgpr70_vgpr71_vgpr72
; %bb.108:
	s_and_not1_saveexec_b32 s3, s3
; %bb.109:
	v_and_b32_e32 v8, 0xffff, v72
	v_or_b32_e32 v9, 0x10000, v72
	s_delay_alu instid0(VALU_DEP_2) | instskip(NEXT) | instid1(VALU_DEP_2)
	v_cmp_eq_u32_e32 vcc_lo, 0, v8
	v_cndmask_b32_e32 v8, v9, v72, vcc_lo
; %bb.110:
	s_or_b32 exec_lo, exec_lo, s3
	s_delay_alu instid0(VALU_DEP_1)
	v_perm_b32 v7, v8, v7, 0x7060302
	v_perm_b32 v6, v6, v5, 0x7060302
	;; [unrolled: 1-line block ×4, first 2 shown]
	s_barrier
	buffer_gl0_inv
	v_cmp_eq_u32_e32 vcc_lo, 1, v79
	ds_store_b128 v77, v[4:7]
	s_waitcnt lgkmcnt(0)
	s_barrier
	buffer_gl0_inv
	ds_load_b128 v[1:4], v82
	ds_load_b128 v[5:8], v82 offset:16
	v_cmp_eq_u32_e64 s3, 1, v80
	v_cmp_eq_u32_e64 s4, 2, v79
	;; [unrolled: 1-line block ×5, first 2 shown]
	s_waitcnt lgkmcnt(1)
	v_lshrrev_b32_e32 v9, 16, v1
	s_waitcnt lgkmcnt(0)
	v_lshrrev_b32_e32 v13, 16, v5
	v_lshrrev_b32_e32 v10, 16, v2
	;; [unrolled: 1-line block ×4, first 2 shown]
	v_cndmask_b32_e64 v19, v1, v9, s3
	v_cndmask_b32_e32 v18, v5, v13, vcc_lo
	v_cndmask_b32_e64 v20, v5, v13, s3
	v_cndmask_b32_e32 v17, v1, v9, vcc_lo
	v_cmp_eq_u32_e32 vcc_lo, 2, v80
	v_lshrrev_b32_e32 v15, 16, v7
	v_cmp_eq_u32_e64 s3, 1, v78
	v_lshrrev_b32_e32 v12, 16, v4
	v_lshrrev_b32_e32 v16, 16, v8
	v_cndmask_b32_e32 v20, v20, v6, vcc_lo
	v_cndmask_b32_e64 v17, v17, v2, s4
	v_cndmask_b32_e32 v19, v19, v2, vcc_lo
	v_cndmask_b32_e64 v18, v18, v6, s4
	v_cmp_eq_u32_e32 vcc_lo, 4, v79
	v_cmp_eq_u32_e64 s4, 3, v80
	v_cndmask_b32_e64 v17, v17, v10, s5
	v_cndmask_b32_e64 v21, v1, v9, s3
	v_cndmask_b32_e64 v18, v18, v14, s5
	v_cndmask_b32_e64 v22, v5, v13, s3
	v_cndmask_b32_e64 v19, v19, v10, s4
	v_cndmask_b32_e32 v17, v17, v3, vcc_lo
	v_cndmask_b32_e64 v20, v20, v14, s4
	v_cndmask_b32_e32 v18, v18, v7, vcc_lo
	v_cmp_eq_u32_e32 vcc_lo, 4, v80
	v_cmp_eq_u32_e64 s4, 5, v80
	v_cmp_eq_u32_e64 s3, 2, v81
	v_cndmask_b32_e64 v21, v21, v2, s7
	v_cmp_eq_u32_e64 s5, 5, v79
	v_cndmask_b32_e32 v19, v19, v3, vcc_lo
	v_cndmask_b32_e32 v20, v20, v7, vcc_lo
	v_cmp_eq_u32_e32 vcc_lo, 6, v80
	s_delay_alu instid0(VALU_DEP_4) | instskip(NEXT) | instid1(VALU_DEP_4)
	v_cndmask_b32_e64 v17, v17, v11, s5
	v_cndmask_b32_e64 v19, v19, v11, s4
	s_delay_alu instid0(VALU_DEP_4) | instskip(SKIP_1) | instid1(VALU_DEP_3)
	v_cndmask_b32_e64 v20, v20, v15, s4
	v_cmp_eq_u32_e64 s4, 1, v81
	v_cndmask_b32_e32 v19, v19, v4, vcc_lo
	v_cndmask_b32_e64 v18, v18, v15, s5
	s_delay_alu instid0(VALU_DEP_3)
	v_cndmask_b32_e64 v1, v1, v9, s4
	v_cndmask_b32_e64 v5, v5, v13, s4
	v_cmp_eq_u32_e64 s4, 3, v78
	v_cndmask_b32_e64 v13, v22, v6, s7
	v_cmp_eq_u32_e64 s7, 3, v81
	v_cndmask_b32_e64 v1, v1, v2, s3
	v_cndmask_b32_e64 v2, v5, v6, s3
	;; [unrolled: 1-line block ×3, first 2 shown]
	v_cmp_eq_u32_e64 s3, 4, v78
	v_cndmask_b32_e64 v6, v13, v14, s4
	v_cndmask_b32_e64 v1, v1, v10, s7
	v_cmp_eq_u32_e64 s4, 4, v81
	v_cndmask_b32_e64 v2, v2, v14, s7
	v_cndmask_b32_e64 v5, v9, v3, s3
	;; [unrolled: 3-line block ×3, first 2 shown]
	v_cndmask_b32_e64 v2, v2, v7, s4
	v_cmp_eq_u32_e64 s3, 5, v81
	v_cmp_eq_u32_e64 s5, 6, v79
	v_cndmask_b32_e64 v5, v5, v11, s7
	v_cmp_eq_u32_e64 s4, 6, v78
	v_cndmask_b32_e64 v3, v6, v15, s7
	v_cndmask_b32_e64 v1, v1, v11, s3
	v_cmp_eq_u32_e64 s7, 6, v81
	v_cndmask_b32_e64 v2, v2, v15, s3
	v_cndmask_b32_e64 v17, v17, v4, s5
	v_cndmask_b32_e64 v18, v18, v8, s5
	v_cmp_eq_u32_e64 s5, 7, v79
	v_cndmask_b32_e64 v5, v5, v4, s4
	;; [unrolled: 4-line block ×3, first 2 shown]
	v_cmp_eq_u32_e64 s4, 7, v78
	v_cndmask_b32_e32 v4, v20, v8, vcc_lo
	v_cndmask_b32_e64 v17, v17, v12, s5
	v_cndmask_b32_e64 v19, v19, v12, s6
	;; [unrolled: 1-line block ×8, first 2 shown]
	v_cmp_gt_u32_e32 vcc_lo, 32, v0
	v_perm_b32 v4, v2, v1, 0x5040100
	v_perm_b32 v3, v3, v5, 0x5040100
	v_perm_b32 v2, v6, v19, 0x5040100
	v_perm_b32 v1, v7, v17, 0x5040100
	s_and_b32 s2, vcc_lo, s2
	ds_store_b128 v77, v[1:4]
	s_waitcnt lgkmcnt(0)
	s_barrier
	buffer_gl0_inv
	s_and_saveexec_b32 s3, s2
	s_cbranch_execz .LBB1789_2
; %bb.111:
	s_load_b64 s[0:1], s[0:1], 0x68
	v_lshlrev_b32_e32 v0, 10, v0
	s_lshl_b32 s4, s34, 6
	v_or_b32_e32 v23, s31, v74
	s_mul_i32 s2, s4, s30
	v_lshlrev_b32_e32 v1, 4, v75
	v_lshlrev_b32_e32 v2, 6, v74
	s_mul_i32 s2, s2, s8
	v_and_b32_e32 v0, 0x3800, v0
	v_mul_lo_u32 v8, v23, s4
	s_ashr_i32 s3, s2, 31
	v_or_b32_e32 v3, 2, v23
	s_lshl_b64 s[2:3], s[2:3], 1
	v_or3_b32 v27, v0, v1, v2
	v_or_b32_e32 v11, 4, v23
	v_or_b32_e32 v18, 6, v23
	v_mul_lo_u32 v10, v3, s4
	v_ashrrev_i32_e32 v9, 31, v8
	ds_load_b128 v[0:3], v27
	ds_load_b128 v[4:7], v27 offset:128
	v_mul_lo_u32 v12, v11, s4
	s_waitcnt lgkmcnt(0)
	s_add_u32 s2, s0, s2
	s_addc_u32 s3, s1, s3
	s_lshl_b32 s0, s14, 6
	v_lshlrev_b64 v[8:9], 1, v[8:9]
	s_ashr_i32 s1, s0, 31
	v_ashrrev_i32_e32 v11, 31, v10
	s_lshl_b64 s[0:1], s[0:1], 1
	v_ashrrev_i32_e32 v13, 31, v12
	s_add_u32 s0, s2, s0
	s_addc_u32 s1, s3, s1
	v_add_co_u32 v30, s0, s0, v73
	s_delay_alu instid0(VALU_DEP_1) | instskip(SKIP_1) | instid1(VALU_DEP_3)
	v_add_co_ci_u32_e64 v31, null, s1, 0, s0
	v_lshlrev_b64 v[16:17], 1, v[10:11]
	v_add_co_u32 v14, vcc_lo, v30, v8
	s_delay_alu instid0(VALU_DEP_3)
	v_add_co_ci_u32_e32 v15, vcc_lo, v31, v9, vcc_lo
	ds_load_b128 v[8:11], v27 offset:256
	v_mul_lo_u32 v18, v18, s4
	v_or_b32_e32 v19, 8, v23
	v_add_co_u32 v16, vcc_lo, v30, v16
	global_store_b128 v[14:15], v[0:3], off
	v_lshlrev_b64 v[0:1], 1, v[12:13]
	v_add_co_ci_u32_e32 v17, vcc_lo, v31, v17, vcc_lo
	v_mul_lo_u32 v12, v19, s4
	v_ashrrev_i32_e32 v19, 31, v18
	v_or_b32_e32 v14, 10, v23
	global_store_b128 v[16:17], v[4:7], off
	v_add_co_u32 v4, vcc_lo, v30, v0
	v_add_co_ci_u32_e32 v5, vcc_lo, v31, v1, vcc_lo
	ds_load_b128 v[0:3], v27 offset:384
	v_ashrrev_i32_e32 v13, 31, v12
	v_lshlrev_b64 v[6:7], 1, v[18:19]
	v_mul_lo_u32 v14, v14, s4
	s_waitcnt lgkmcnt(1)
	global_store_b128 v[4:5], v[8:11], off
	v_or_b32_e32 v8, 12, v23
	v_lshlrev_b64 v[4:5], 1, v[12:13]
	v_add_co_u32 v20, vcc_lo, v30, v6
	v_or_b32_e32 v6, 14, v23
	v_ashrrev_i32_e32 v15, 31, v14
	v_mul_lo_u32 v22, v8, s4
	v_add_co_ci_u32_e32 v21, vcc_lo, v31, v7, vcc_lo
	v_add_co_u32 v24, vcc_lo, v30, v4
	v_mul_lo_u32 v26, v6, s4
	v_add_co_ci_u32_e32 v25, vcc_lo, v31, v5, vcc_lo
	v_lshlrev_b64 v[28:29], 1, v[14:15]
	ds_load_b128 v[4:7], v27 offset:512
	ds_load_b128 v[8:11], v27 offset:640
	;; [unrolled: 1-line block ×4, first 2 shown]
	v_ashrrev_i32_e32 v23, 31, v22
	v_ashrrev_i32_e32 v27, 31, v26
	v_add_co_u32 v28, vcc_lo, v30, v28
	s_delay_alu instid0(VALU_DEP_3) | instskip(SKIP_1) | instid1(VALU_DEP_4)
	v_lshlrev_b64 v[22:23], 1, v[22:23]
	v_add_co_ci_u32_e32 v29, vcc_lo, v31, v29, vcc_lo
	v_lshlrev_b64 v[26:27], 1, v[26:27]
	s_delay_alu instid0(VALU_DEP_3) | instskip(NEXT) | instid1(VALU_DEP_4)
	v_add_co_u32 v22, vcc_lo, v30, v22
	v_add_co_ci_u32_e32 v23, vcc_lo, v31, v23, vcc_lo
	s_delay_alu instid0(VALU_DEP_3) | instskip(NEXT) | instid1(VALU_DEP_4)
	v_add_co_u32 v26, vcc_lo, v30, v26
	v_add_co_ci_u32_e32 v27, vcc_lo, v31, v27, vcc_lo
	s_waitcnt lgkmcnt(4)
	global_store_b128 v[20:21], v[0:3], off
	s_waitcnt lgkmcnt(3)
	global_store_b128 v[24:25], v[4:7], off
	;; [unrolled: 2-line block ×5, first 2 shown]
	s_nop 0
	s_sendmsg sendmsg(MSG_DEALLOC_VGPRS)
	s_endpgm
	.section	.rodata,"a",@progbits
	.p2align	6, 0x0
	.amdhsa_kernel _Z39paged_attention_ll4mi_QKV_mfma16_kernelI14__hip_bfloat16hLN4vllm18Fp8KVCacheDataTypeE1ES0_Li32ELi64ELi256ELb0ELi16EL8MFMAType0EEvPKT_PKT0_S9_ifPKiSB_SB_iPKfiiiPfSE_PS4_PT2_iSD_SD_
		.amdhsa_group_segment_fixed_size 17472
		.amdhsa_private_segment_fixed_size 0
		.amdhsa_kernarg_size 400
		.amdhsa_user_sgpr_count 13
		.amdhsa_user_sgpr_dispatch_ptr 0
		.amdhsa_user_sgpr_queue_ptr 0
		.amdhsa_user_sgpr_kernarg_segment_ptr 1
		.amdhsa_user_sgpr_dispatch_id 0
		.amdhsa_user_sgpr_private_segment_size 0
		.amdhsa_wavefront_size32 1
		.amdhsa_uses_dynamic_stack 0
		.amdhsa_enable_private_segment 0
		.amdhsa_system_sgpr_workgroup_id_x 1
		.amdhsa_system_sgpr_workgroup_id_y 1
		.amdhsa_system_sgpr_workgroup_id_z 1
		.amdhsa_system_sgpr_workgroup_info 0
		.amdhsa_system_vgpr_workitem_id 0
		.amdhsa_next_free_vgpr 125
		.amdhsa_next_free_sgpr 40
		.amdhsa_reserve_vcc 1
		.amdhsa_float_round_mode_32 0
		.amdhsa_float_round_mode_16_64 0
		.amdhsa_float_denorm_mode_32 3
		.amdhsa_float_denorm_mode_16_64 3
		.amdhsa_dx10_clamp 1
		.amdhsa_ieee_mode 1
		.amdhsa_fp16_overflow 0
		.amdhsa_workgroup_processor_mode 1
		.amdhsa_memory_ordered 1
		.amdhsa_forward_progress 0
		.amdhsa_shared_vgpr_count 0
		.amdhsa_exception_fp_ieee_invalid_op 0
		.amdhsa_exception_fp_denorm_src 0
		.amdhsa_exception_fp_ieee_div_zero 0
		.amdhsa_exception_fp_ieee_overflow 0
		.amdhsa_exception_fp_ieee_underflow 0
		.amdhsa_exception_fp_ieee_inexact 0
		.amdhsa_exception_int_div_zero 0
	.end_amdhsa_kernel
	.section	.text._Z39paged_attention_ll4mi_QKV_mfma16_kernelI14__hip_bfloat16hLN4vllm18Fp8KVCacheDataTypeE1ES0_Li32ELi64ELi256ELb0ELi16EL8MFMAType0EEvPKT_PKT0_S9_ifPKiSB_SB_iPKfiiiPfSE_PS4_PT2_iSD_SD_,"axG",@progbits,_Z39paged_attention_ll4mi_QKV_mfma16_kernelI14__hip_bfloat16hLN4vllm18Fp8KVCacheDataTypeE1ES0_Li32ELi64ELi256ELb0ELi16EL8MFMAType0EEvPKT_PKT0_S9_ifPKiSB_SB_iPKfiiiPfSE_PS4_PT2_iSD_SD_,comdat
.Lfunc_end1789:
	.size	_Z39paged_attention_ll4mi_QKV_mfma16_kernelI14__hip_bfloat16hLN4vllm18Fp8KVCacheDataTypeE1ES0_Li32ELi64ELi256ELb0ELi16EL8MFMAType0EEvPKT_PKT0_S9_ifPKiSB_SB_iPKfiiiPfSE_PS4_PT2_iSD_SD_, .Lfunc_end1789-_Z39paged_attention_ll4mi_QKV_mfma16_kernelI14__hip_bfloat16hLN4vllm18Fp8KVCacheDataTypeE1ES0_Li32ELi64ELi256ELb0ELi16EL8MFMAType0EEvPKT_PKT0_S9_ifPKiSB_SB_iPKfiiiPfSE_PS4_PT2_iSD_SD_
                                        ; -- End function
	.section	.AMDGPU.csdata,"",@progbits
; Kernel info:
; codeLenInByte = 8928
; NumSgprs: 42
; NumVgprs: 125
; ScratchSize: 0
; MemoryBound: 0
; FloatMode: 240
; IeeeMode: 1
; LDSByteSize: 17472 bytes/workgroup (compile time only)
; SGPRBlocks: 5
; VGPRBlocks: 15
; NumSGPRsForWavesPerEU: 42
; NumVGPRsForWavesPerEU: 125
; Occupancy: 10
; WaveLimiterHint : 1
; COMPUTE_PGM_RSRC2:SCRATCH_EN: 0
; COMPUTE_PGM_RSRC2:USER_SGPR: 13
; COMPUTE_PGM_RSRC2:TRAP_HANDLER: 0
; COMPUTE_PGM_RSRC2:TGID_X_EN: 1
; COMPUTE_PGM_RSRC2:TGID_Y_EN: 1
; COMPUTE_PGM_RSRC2:TGID_Z_EN: 1
; COMPUTE_PGM_RSRC2:TIDIG_COMP_CNT: 0
	.section	.text._Z39paged_attention_ll4mi_QKV_mfma16_kernelI14__hip_bfloat16hLN4vllm18Fp8KVCacheDataTypeE1ES0_Li32ELi64ELi256ELb0ELi1EL8MFMAType0EEvPKT_PKT0_S9_ifPKiSB_SB_iPKfiiiPfSE_PS4_PT2_iSD_SD_,"axG",@progbits,_Z39paged_attention_ll4mi_QKV_mfma16_kernelI14__hip_bfloat16hLN4vllm18Fp8KVCacheDataTypeE1ES0_Li32ELi64ELi256ELb0ELi1EL8MFMAType0EEvPKT_PKT0_S9_ifPKiSB_SB_iPKfiiiPfSE_PS4_PT2_iSD_SD_,comdat
	.protected	_Z39paged_attention_ll4mi_QKV_mfma16_kernelI14__hip_bfloat16hLN4vllm18Fp8KVCacheDataTypeE1ES0_Li32ELi64ELi256ELb0ELi1EL8MFMAType0EEvPKT_PKT0_S9_ifPKiSB_SB_iPKfiiiPfSE_PS4_PT2_iSD_SD_ ; -- Begin function _Z39paged_attention_ll4mi_QKV_mfma16_kernelI14__hip_bfloat16hLN4vllm18Fp8KVCacheDataTypeE1ES0_Li32ELi64ELi256ELb0ELi1EL8MFMAType0EEvPKT_PKT0_S9_ifPKiSB_SB_iPKfiiiPfSE_PS4_PT2_iSD_SD_
	.globl	_Z39paged_attention_ll4mi_QKV_mfma16_kernelI14__hip_bfloat16hLN4vllm18Fp8KVCacheDataTypeE1ES0_Li32ELi64ELi256ELb0ELi1EL8MFMAType0EEvPKT_PKT0_S9_ifPKiSB_SB_iPKfiiiPfSE_PS4_PT2_iSD_SD_
	.p2align	8
	.type	_Z39paged_attention_ll4mi_QKV_mfma16_kernelI14__hip_bfloat16hLN4vllm18Fp8KVCacheDataTypeE1ES0_Li32ELi64ELi256ELb0ELi1EL8MFMAType0EEvPKT_PKT0_S9_ifPKiSB_SB_iPKfiiiPfSE_PS4_PT2_iSD_SD_,@function
_Z39paged_attention_ll4mi_QKV_mfma16_kernelI14__hip_bfloat16hLN4vllm18Fp8KVCacheDataTypeE1ES0_Li32ELi64ELi256ELb0ELi1EL8MFMAType0EEvPKT_PKT0_S9_ifPKiSB_SB_iPKfiiiPfSE_PS4_PT2_iSD_SD_: ; @_Z39paged_attention_ll4mi_QKV_mfma16_kernelI14__hip_bfloat16hLN4vllm18Fp8KVCacheDataTypeE1ES0_Li32ELi64ELi256ELb0ELi1EL8MFMAType0EEvPKT_PKT0_S9_ifPKiSB_SB_iPKfiiiPfSE_PS4_PT2_iSD_SD_
; %bb.0:
	s_load_b64 s[4:5], s[0:1], 0x30
	s_mov_b32 s34, s13
	s_waitcnt lgkmcnt(0)
	s_cmp_lg_u64 s[4:5], 0
	s_cselect_b32 s6, -1, 0
	s_ashr_i32 s35, s13, 31
	s_cmp_eq_u64 s[4:5], 0
	s_cbranch_scc1 .LBB1790_3
; %bb.1:
	s_lshl_b64 s[2:3], s[34:35], 2
	s_delay_alu instid0(SALU_CYCLE_1) | instskip(SKIP_4) | instid1(SALU_CYCLE_1)
	s_add_u32 s2, s4, s2
	s_addc_u32 s3, s5, s3
	s_load_b64 s[2:3], s[2:3], 0x0
	s_waitcnt lgkmcnt(0)
	s_sub_i32 s2, s3, s2
	s_cmp_eq_u32 s2, 1
	s_cselect_b32 s2, -1, 0
	s_delay_alu instid0(SALU_CYCLE_1)
	s_and_not1_b32 vcc_lo, exec_lo, s2
	s_cbranch_vccz .LBB1790_4
.LBB1790_2:
	s_endpgm
.LBB1790_3:
.LBB1790_4:
	s_load_b64 s[2:3], s[0:1], 0x28
	s_lshl_b64 s[8:9], s[34:35], 2
	s_waitcnt lgkmcnt(0)
	s_add_u32 s2, s2, s8
	s_addc_u32 s3, s3, s9
	s_lshl_b32 s12, s14, 8
	s_load_b32 s33, s[2:3], 0x0
	s_waitcnt lgkmcnt(0)
	s_cmp_ge_i32 s12, s33
	s_cbranch_scc1 .LBB1790_2
; %bb.5:
	s_clause 0x1
	s_load_b128 s[28:31], s[0:1], 0x8
	s_load_b64 s[2:3], s[0:1], 0x20
	s_and_not1_b32 vcc_lo, exec_lo, s6
	s_mov_b64 s[6:7], s[34:35]
	s_cbranch_vccnz .LBB1790_7
; %bb.6:
	s_add_u32 s4, s4, s8
	s_addc_u32 s5, s5, s9
	s_load_b32 s6, s[4:5], 0x0
.LBB1790_7:
	s_load_b128 s[24:27], s[0:1], 0x48
	v_and_b32_e32 v73, 15, v0
	s_mov_b32 s13, exec_lo
                                        ; implicit-def: $sgpr16
                                        ; implicit-def: $sgpr4
	s_delay_alu instid0(VALU_DEP_1)
	v_cmpx_eq_u32_e32 0, v73
	s_cbranch_execz .LBB1790_9
; %bb.8:
	s_load_b64 s[4:5], s[0:1], 0x0
	s_waitcnt lgkmcnt(0)
	s_mul_hi_i32 s7, s6, s24
	s_mul_i32 s6, s6, s24
	s_delay_alu instid0(SALU_CYCLE_1) | instskip(NEXT) | instid1(SALU_CYCLE_1)
	s_lshl_b64 s[6:7], s[6:7], 1
	s_add_u32 s6, s4, s6
	s_addc_u32 s7, s5, s7
	s_lshl_b32 s4, s15, 6
	s_delay_alu instid0(SALU_CYCLE_1) | instskip(NEXT) | instid1(SALU_CYCLE_1)
	s_ashr_i32 s5, s4, 31
	s_lshl_b64 s[4:5], s[4:5], 1
	s_delay_alu instid0(SALU_CYCLE_1)
	s_add_u32 s4, s6, s4
	s_addc_u32 s5, s7, s5
	s_clause 0x1
	s_load_b256 s[16:23], s[4:5], 0x0
	s_load_b256 s[4:11], s[4:5], 0x40
.LBB1790_9:
	s_or_b32 exec_lo, exec_lo, s13
	s_waitcnt lgkmcnt(0)
	v_dual_mov_b32 v114, s23 :: v_dual_and_b32 v1, 0xef, v0
	s_add_i32 s13, s33, 31
	s_load_b32 s27, s[0:1], 0x38
	s_ashr_i32 s24, s13, 31
	s_delay_alu instid0(VALU_DEP_1) | instskip(SKIP_3) | instid1(VALU_DEP_2)
	v_dual_mov_b32 v112, s21 :: v_dual_add_nc_u32 v1, s12, v1
	s_lshr_b32 s24, s24, 27
	v_lshrrev_b32_e32 v65, 5, v0
	s_add_i32 s13, s13, s24
	v_ashrrev_i32_e32 v2, 31, v1
	v_or_b32_e32 v3, 16, v1
	s_ashr_i32 s13, s13, 5
	v_cmp_gt_i32_e32 vcc_lo, s33, v1
	s_add_i32 s13, s13, -1
	v_lshrrev_b32_e32 v2, 27, v2
	s_load_b32 s24, s[0:1], 0x1c
	v_dual_mov_b32 v111, s20 :: v_dual_mov_b32 v108, s17
	v_mbcnt_lo_u32_b32 v67, -1, 0
	s_delay_alu instid0(VALU_DEP_3)
	v_dual_mov_b32 v113, s22 :: v_dual_add_nc_u32 v4, v1, v2
	v_lshlrev_b32_e32 v74, 4, v73
	s_waitcnt lgkmcnt(0)
	s_mul_i32 s36, s34, s27
	v_xor_b32_e32 v68, 16, v67
	v_ashrrev_i32_e32 v4, 5, v4
	v_add_nc_u32_e32 v2, v3, v2
	s_ashr_i32 s37, s36, 31
	v_mov_b32_e32 v110, s19
	s_lshl_b64 s[36:37], s[36:37], 2
	v_cndmask_b32_e32 v1, s13, v4, vcc_lo
	v_ashrrev_i32_e32 v2, 5, v2
	v_cmp_gt_i32_e32 vcc_lo, s33, v3
	s_add_u32 s36, s2, s36
	s_addc_u32 s35, s3, s37
	s_mul_i32 s37, s15, s26
	v_and_b32_e32 v66, 0xe0, v0
	v_cndmask_b32_e32 v3, s13, v2, vcc_lo
	v_ashrrev_i32_e32 v2, 31, v1
	s_ashr_i32 s38, s37, 31
	s_add_u32 s40, s28, s37
	s_addc_u32 s41, s29, s38
	v_ashrrev_i32_e32 v4, 31, v3
	v_lshlrev_b64 v[1:2], 2, v[1:2]
	s_lshl_b32 s2, s14, 3
	v_add_nc_u32_e32 v66, s12, v66
	s_ashr_i32 s3, s2, 31
	v_lshlrev_b64 v[3:4], 2, v[3:4]
	s_lshl_b64 s[2:3], s[2:3], 2
	v_add_co_u32 v1, vcc_lo, s36, v1
	v_add_co_ci_u32_e32 v2, vcc_lo, s35, v2, vcc_lo
	s_delay_alu instid0(VALU_DEP_3) | instskip(NEXT) | instid1(VALU_DEP_4)
	v_add_co_u32 v3, vcc_lo, s36, v3
	v_add_co_ci_u32_e32 v4, vcc_lo, s35, v4, vcc_lo
	s_clause 0x1
	global_load_b32 v5, v[1:2], off
	global_load_b32 v6, v[3:4], off
	s_add_u32 s2, s36, s2
	s_addc_u32 s3, s35, s3
	s_or_b32 s26, s12, 32
	s_delay_alu instid0(SALU_CYCLE_1) | instskip(SKIP_2) | instid1(SALU_CYCLE_1)
	s_ashr_i32 s27, s26, 5
	s_cmp_lt_i32 s26, s33
	s_cselect_b32 s26, s27, s13
	s_ashr_i32 s27, s26, 31
	s_delay_alu instid0(SALU_CYCLE_1) | instskip(NEXT) | instid1(SALU_CYCLE_1)
	s_lshl_b64 s[26:27], s[26:27], 2
	s_add_u32 s26, s36, s26
	s_addc_u32 s27, s35, s27
	s_or_b32 s28, s12, 64
	s_delay_alu instid0(SALU_CYCLE_1) | instskip(SKIP_2) | instid1(SALU_CYCLE_1)
	s_ashr_i32 s29, s28, 5
	s_cmp_lt_i32 s28, s33
	s_cselect_b32 s28, s29, s13
	s_ashr_i32 s29, s28, 31
	s_delay_alu instid0(SALU_CYCLE_1) | instskip(NEXT) | instid1(SALU_CYCLE_1)
	s_lshl_b64 s[28:29], s[28:29], 2
	;; [unrolled: 10-line block ×5, first 2 shown]
	s_add_u32 s48, s36, s28
	s_addc_u32 s49, s35, s29
	s_clause 0x5
	s_load_b32 s29, s[2:3], 0x0
	s_load_b32 s2, s[26:27], 0x0
	;; [unrolled: 1-line block ×6, first 2 shown]
	s_or_b32 s39, s12, 0xc0
	s_waitcnt vmcnt(1)
	v_mad_i64_i32 v[1:2], null, v5, s25, s[40:41]
	s_waitcnt vmcnt(0)
	v_mad_i64_i32 v[3:4], null, v6, s25, s[40:41]
	s_ashr_i32 s40, s39, 5
	s_cmp_lt_i32 s39, s33
	s_cselect_b32 s40, s40, s13
	s_delay_alu instid0(VALU_DEP_2) | instskip(NEXT) | instid1(VALU_DEP_3)
	v_add_co_u32 v1, vcc_lo, v1, v74
	v_add_co_ci_u32_e32 v2, vcc_lo, 0, v2, vcc_lo
	s_delay_alu instid0(VALU_DEP_3) | instskip(NEXT) | instid1(VALU_DEP_4)
	v_add_co_u32 v3, vcc_lo, v3, v74
	v_add_co_ci_u32_e32 v4, vcc_lo, 0, v4, vcc_lo
	s_clause 0x7
	global_load_b128 v[75:78], v[1:2], off
	global_load_b128 v[79:82], v[1:2], off offset:512
	global_load_b128 v[83:86], v[3:4], off offset:256
	;; [unrolled: 1-line block ×7, first 2 shown]
	s_ashr_i32 s41, s40, 31
	v_lshlrev_b32_e32 v1, 5, v73
	s_lshl_b64 s[40:41], s[40:41], 2
	v_cmp_gt_i32_e32 vcc_lo, 32, v68
	s_add_u32 s40, s36, s40
	s_addc_u32 s41, s35, s41
	s_or_b32 s39, s12, 0xe0
	v_lshl_or_b32 v1, v65, 9, v1
	s_ashr_i32 s42, s39, 5
	s_cmp_lt_i32 s39, s33
	s_cselect_b32 s42, s42, s13
	s_load_b32 s13, s[40:41], 0x0
	s_ashr_i32 s43, s42, 31
	s_delay_alu instid0(SALU_CYCLE_1) | instskip(NEXT) | instid1(SALU_CYCLE_1)
	s_lshl_b64 s[42:43], s[42:43], 2
	s_add_u32 s40, s36, s42
	s_addc_u32 s41, s35, s43
	s_add_u32 s30, s30, s37
	s_addc_u32 s31, s31, s38
	v_add_co_u32 v1, s30, s30, v1
	s_delay_alu instid0(VALU_DEP_1) | instskip(SKIP_3) | instid1(VALU_DEP_1)
	v_add_co_ci_u32_e64 v2, null, s31, 0, s30
	s_load_b32 s30, s[40:41], 0x0
	s_mov_b32 s36, 0
	s_waitcnt lgkmcnt(0)
	v_mad_i64_i32 v[3:4], null, s29, s25, v[1:2]
	v_mad_i64_i32 v[9:10], null, s26, s25, v[1:2]
	;; [unrolled: 1-line block ×7, first 2 shown]
	s_clause 0x5
	global_load_b128 v[49:52], v[3:4], off
	global_load_b128 v[53:56], v[3:4], off offset:16
	global_load_b128 v[41:44], v[5:6], off
	global_load_b128 v[45:48], v[5:6], off offset:16
	;; [unrolled: 2-line block ×3, first 2 shown]
	s_mov_b32 s43, s36
	s_mov_b32 s37, s36
	v_mad_i64_i32 v[61:62], null, s30, s25, v[1:2]
	s_clause 0x9
	global_load_b128 v[25:28], v[9:10], off
	global_load_b128 v[29:32], v[9:10], off offset:16
	global_load_b128 v[1:4], v[11:12], off
	global_load_b128 v[5:8], v[11:12], off offset:16
	;; [unrolled: 2-line block ×5, first 2 shown]
	s_mov_b32 s38, s36
	s_mov_b32 s39, s36
	;; [unrolled: 1-line block ×5, first 2 shown]
	v_dual_mov_b32 v109, s18 :: v_dual_mov_b32 v122, s43
	v_dual_mov_b32 v107, s16 :: v_dual_mov_b32 v120, s41
	;; [unrolled: 1-line block ×4, first 2 shown]
	v_mov_b32_e32 v117, s38
	v_mov_b32_e32 v115, s36
	s_waitcnt vmcnt(0)
	s_barrier
	buffer_gl0_inv
	v_wmma_f32_16x16x16_bf16 v[123:130], v[75:82], v[107:114], v[115:122]
	v_bfe_u32 v75, v0, 4, 1
	v_wmma_f32_16x16x16_bf16 v[115:122], v[83:90], v[107:114], v[115:122]
	v_dual_mov_b32 v83, s11 :: v_dual_mov_b32 v82, s10
	v_dual_mov_b32 v81, s9 :: v_dual_mov_b32 v80, s8
	s_delay_alu instid0(VALU_DEP_4) | instskip(SKIP_2) | instid1(VALU_DEP_3)
	v_or_b32_e32 v66, v66, v75
	v_dual_mov_b32 v79, s7 :: v_dual_mov_b32 v78, s6
	v_dual_mov_b32 v77, s5 :: v_dual_mov_b32 v76, s4
	v_or_b32_e32 v69, 4, v66
	v_or_b32_e32 v70, 6, v66
	;; [unrolled: 1-line block ×3, first 2 shown]
	v_cmp_gt_i32_e64 s2, s33, v66
	v_wmma_f32_16x16x16_bf16 v[123:130], v[91:98], v[76:83], v[123:130]
	v_cndmask_b32_e32 v67, v67, v68, vcc_lo
	v_or_b32_e32 v68, 2, v66
	v_wmma_f32_16x16x16_bf16 v[115:122], v[99:106], v[76:83], v[115:122]
	v_or_b32_e32 v72, 10, v66
	v_dual_mul_f32 v78, s24, v130 :: v_dual_mul_f32 v83, s24, v125
	v_dual_mul_f32 v92, s24, v124 :: v_dual_mul_f32 v93, s24, v123
	s_delay_alu instid0(VALU_DEP_4) | instskip(SKIP_2) | instid1(VALU_DEP_4)
	v_mul_f32_e32 v94, s24, v122
	v_cmp_gt_i32_e32 vcc_lo, s33, v68
	v_dual_mul_f32 v81, s24, v127 :: v_dual_mul_f32 v82, s24, v126
	v_cndmask_b32_e64 v93, 0xff7fffff, v93, s2
	v_cmp_gt_i32_e64 s3, s33, v69
	v_cndmask_b32_e32 v92, 0xff7fffff, v92, vcc_lo
	v_cmp_gt_i32_e64 s4, s33, v70
	v_cmp_gt_i32_e64 s5, s33, v71
	v_or_b32_e32 v84, 12, v66
	v_or_b32_e32 v85, 14, v66
	v_dual_mul_f32 v79, s24, v129 :: v_dual_mul_f32 v80, s24, v128
	v_cndmask_b32_e64 v69, 0xff7fffff, v83, s3
	v_cndmask_b32_e64 v70, 0xff7fffff, v82, s4
	;; [unrolled: 1-line block ×3, first 2 shown]
	v_cmp_gt_i32_e64 s6, s33, v72
	v_lshlrev_b32_e32 v81, 2, v67
	v_max3_f32 v82, v93, 0xff7fffff, v92
	v_or_b32_e32 v86, 16, v66
	v_or_b32_e32 v87, 18, v66
	v_cndmask_b32_e64 v72, 0xff7fffff, v80, s6
	v_cmp_gt_i32_e64 s7, s33, v84
	v_max3_f32 v69, v82, v69, v70
	v_cmp_gt_i32_e64 s8, s33, v85
	v_or_b32_e32 v88, 20, v66
	v_or_b32_e32 v89, 22, v66
	;; [unrolled: 1-line block ×6, first 2 shown]
	v_dual_mul_f32 v99, s24, v117 :: v_dual_mul_f32 v68, s24, v116
	v_mul_f32_e32 v66, s24, v115
	v_cndmask_b32_e64 v70, 0xff7fffff, v79, s7
	v_cndmask_b32_e64 v78, 0xff7fffff, v78, s8
	v_max3_f32 v69, v69, v71, v72
	v_cmp_gt_i32_e64 s9, s33, v86
	v_cmp_gt_i32_e64 s10, s33, v87
	v_dual_mul_f32 v97, s24, v119 :: v_dual_mul_f32 v98, s24, v118
	s_delay_alu instid0(VALU_DEP_4) | instskip(NEXT) | instid1(VALU_DEP_4)
	v_max3_f32 v69, v69, v70, v78
	v_cndmask_b32_e64 v66, 0xff7fffff, v66, s9
	s_delay_alu instid0(VALU_DEP_4) | instskip(SKIP_3) | instid1(VALU_DEP_4)
	v_cndmask_b32_e64 v68, 0xff7fffff, v68, s10
	v_cmp_gt_i32_e64 s11, s33, v88
	v_cmp_gt_i32_e64 s12, s33, v89
	v_dual_mul_f32 v95, s24, v121 :: v_dual_mul_f32 v96, s24, v120
	v_max3_f32 v66, v69, v66, v68
	s_delay_alu instid0(VALU_DEP_4) | instskip(NEXT) | instid1(VALU_DEP_4)
	v_cndmask_b32_e64 v70, 0xff7fffff, v99, s11
	v_cndmask_b32_e64 v71, 0xff7fffff, v98, s12
	v_cmp_gt_i32_e64 s13, s33, v90
	v_cmp_gt_i32_e64 s16, s33, v91
	;; [unrolled: 1-line block ×4, first 2 shown]
	v_max3_f32 v66, v66, v70, v71
	v_cndmask_b32_e64 v68, 0xff7fffff, v97, s13
	v_cndmask_b32_e64 v69, 0xff7fffff, v96, s16
	;; [unrolled: 1-line block ×4, first 2 shown]
	s_delay_alu instid0(VALU_DEP_3) | instskip(NEXT) | instid1(VALU_DEP_1)
	v_max3_f32 v66, v66, v68, v69
	v_max3_f32 v66, v66, v70, v71
	ds_bpermute_b32 v67, v81, v66
	s_waitcnt lgkmcnt(0)
	v_max_f32_e32 v67, v67, v67
	s_delay_alu instid0(VALU_DEP_1) | instskip(NEXT) | instid1(VALU_DEP_1)
	v_max_f32_e32 v66, v66, v67
	v_fma_f32 v69, s24, v125, -v66
	s_delay_alu instid0(VALU_DEP_1) | instskip(NEXT) | instid1(VALU_DEP_1)
	v_mul_f32_e32 v69, 0x3fb8aa3b, v69
	v_exp_f32_e32 v69, v69
	s_waitcnt_depctr 0xfff
	v_cndmask_b32_e64 v82, 0, v69, s3
	v_fma_f32 v69, s24, v130, -v66
	s_mov_b32 s3, exec_lo
	s_delay_alu instid0(VALU_DEP_1)
	v_mul_f32_e32 v69, 0x3fb8aa3b, v69
	v_fma_f32 v67, s24, v123, -v66
	v_fma_f32 v68, s24, v124, -v66
	;; [unrolled: 1-line block ×5, first 2 shown]
	s_delay_alu instid0(VALU_DEP_4) | instskip(NEXT) | instid1(VALU_DEP_4)
	v_dual_mul_f32 v67, 0x3fb8aa3b, v67 :: v_dual_mul_f32 v68, 0x3fb8aa3b, v68
	v_mul_f32_e32 v70, 0x3fb8aa3b, v70
	v_exp_f32_e32 v69, v69
	v_fma_f32 v77, s24, v119, -v66
	s_delay_alu instid0(VALU_DEP_3)
	v_exp_f32_e32 v67, v67
	v_exp_f32_e32 v68, v68
	v_mul_f32_e32 v71, 0x3fb8aa3b, v71
	v_exp_f32_e32 v70, v70
	v_mul_f32_e32 v77, 0x3fb8aa3b, v77
	v_fma_f32 v88, s24, v122, -v66
	v_cndmask_b32_e64 v87, 0, v69, s8
	s_delay_alu instid0(VALU_DEP_3) | instskip(SKIP_1) | instid1(TRANS32_DEP_3)
	v_exp_f32_e32 v77, v77
	v_cndmask_b32_e64 v80, 0, v67, s2
	v_cndmask_b32_e32 v76, 0, v68, vcc_lo
	v_fma_f32 v67, s24, v128, -v66
	v_exp_f32_e32 v71, v71
	s_delay_alu instid0(TRANS32_DEP_3) | instskip(SKIP_3) | instid1(VALU_DEP_1)
	v_cndmask_b32_e64 v84, 0, v70, s4
	v_add_f32_e32 v68, 0, v80
	v_fma_f32 v70, s24, v115, -v66
	v_dual_mul_f32 v67, 0x3fb8aa3b, v67 :: v_dual_mul_f32 v88, 0x3fb8aa3b, v88
	v_exp_f32_e32 v67, v67
	s_waitcnt_depctr 0xfff
	v_cndmask_b32_e64 v85, 0, v71, s5
	v_fma_f32 v71, s24, v116, -v66
	s_delay_alu instid0(VALU_DEP_1) | instskip(NEXT) | instid1(VALU_DEP_1)
	v_dual_add_f32 v68, v68, v76 :: v_dual_mul_f32 v71, 0x3fb8aa3b, v71
	v_add_f32_e32 v68, v68, v82
	v_cndmask_b32_e64 v86, 0, v67, s6
	s_delay_alu instid0(VALU_DEP_3) | instskip(NEXT) | instid1(VALU_DEP_2)
	v_exp_f32_e32 v71, v71
	v_add_f32_e32 v68, v68, v84
	s_delay_alu instid0(VALU_DEP_1) | instskip(NEXT) | instid1(VALU_DEP_1)
	v_dual_mul_f32 v72, 0x3fb8aa3b, v72 :: v_dual_add_f32 v67, v68, v85
	v_exp_f32_e32 v72, v72
	v_fma_f32 v68, s24, v117, -v66
	s_delay_alu instid0(VALU_DEP_1)
	v_dual_add_f32 v67, v67, v86 :: v_dual_mul_f32 v68, 0x3fb8aa3b, v68
	s_waitcnt_depctr 0xfff
	v_cndmask_b32_e64 v83, 0, v72, s7
	v_fma_f32 v72, s24, v118, -v66
	v_exp_f32_e32 v78, v68
	v_cndmask_b32_e64 v68, 0, v71, s10
	v_fma_f32 v71, s24, v121, -v66
	v_dual_add_f32 v67, v67, v83 :: v_dual_mul_f32 v70, 0x3fb8aa3b, v70
	s_delay_alu instid0(VALU_DEP_1) | instskip(NEXT) | instid1(VALU_DEP_2)
	v_add_f32_e32 v67, v67, v87
	v_exp_f32_e32 v70, v70
	s_waitcnt_depctr 0xfff
	v_cndmask_b32_e64 v69, 0, v70, s9
	v_mul_f32_e32 v72, 0x3fb8aa3b, v72
	v_fma_f32 v70, s24, v120, -v66
	s_delay_alu instid0(VALU_DEP_3) | instskip(NEXT) | instid1(VALU_DEP_3)
	v_add_f32_e32 v67, v67, v69
	v_exp_f32_e32 v72, v72
	s_delay_alu instid0(VALU_DEP_2) | instskip(SKIP_1) | instid1(VALU_DEP_3)
	v_mul_f32_e32 v79, 0x3fb8aa3b, v70
	v_cndmask_b32_e64 v70, 0, v78, s11
	v_dual_mul_f32 v78, 0x3fb8aa3b, v71 :: v_dual_add_f32 v67, v67, v68
	s_delay_alu instid0(VALU_DEP_3) | instskip(NEXT) | instid1(VALU_DEP_1)
	v_exp_f32_e32 v79, v79
	v_exp_f32_e32 v78, v78
	s_delay_alu instid0(VALU_DEP_1) | instskip(NEXT) | instid1(TRANS32_DEP_3)
	v_add_f32_e32 v67, v67, v70
	v_cndmask_b32_e64 v71, 0, v72, s12
	v_cndmask_b32_e64 v72, 0, v77, s13
	s_delay_alu instid0(VALU_DEP_2)
	v_add_f32_e32 v67, v67, v71
	s_waitcnt_depctr 0xfff
	v_cndmask_b32_e64 v77, 0, v79, s16
	v_exp_f32_e32 v79, v88
	v_and_b32_e32 v88, 31, v0
	v_cndmask_b32_e64 v78, 0, v78, s17
	v_add_f32_e32 v67, v67, v72
	s_delay_alu instid0(VALU_DEP_3) | instskip(NEXT) | instid1(VALU_DEP_2)
	v_cmp_lt_u32_e64 s2, 15, v88
	v_add_f32_e32 v67, v67, v77
	s_waitcnt_depctr 0xfff
	v_cndmask_b32_e64 v79, 0, v79, s18
	v_add_f32_e32 v67, v67, v78
	s_delay_alu instid0(VALU_DEP_1)
	v_add_f32_e32 v67, v67, v79
	ds_bpermute_b32 v81, v81, v67
	v_cmpx_gt_u32_e32 16, v88
	s_cbranch_execz .LBB1790_11
; %bb.10:
	v_mul_u32_u24_e32 v88, 0x44, v65
	s_waitcnt lgkmcnt(0)
	v_add_f32_e32 v67, v67, v81
	s_delay_alu instid0(VALU_DEP_2) | instskip(NEXT) | instid1(VALU_DEP_1)
	v_lshl_add_u32 v88, v73, 2, v88
	v_add_nc_u32_e32 v81, 0x4000, v88
	ds_store_2addr_b32 v81, v66, v67 offset1:136
.LBB1790_11:
	s_or_b32 exec_lo, exec_lo, s3
	v_lshlrev_b32_e32 v66, 2, v73
	s_waitcnt lgkmcnt(0)
	s_barrier
	buffer_gl0_inv
	v_cmp_eq_u32_e32 vcc_lo, 1, v65
	v_add_nc_u32_e32 v81, 0x4000, v66
	v_cmp_eq_u32_e64 s3, 2, v65
	v_cmp_eq_u32_e64 s5, 7, v65
	ds_load_2addr_b32 v[88:89], v81 offset1:17
	ds_load_2addr_b32 v[90:91], v81 offset0:34 offset1:51
	ds_load_2addr_b32 v[92:93], v81 offset0:68 offset1:85
	;; [unrolled: 1-line block ×4, first 2 shown]
	s_waitcnt lgkmcnt(4)
	v_max3_f32 v66, v88, 0xff7fffff, v89
	s_waitcnt lgkmcnt(3)
	s_delay_alu instid0(VALU_DEP_1) | instskip(SKIP_1) | instid1(VALU_DEP_1)
	v_max3_f32 v66, v66, v90, v91
	s_waitcnt lgkmcnt(2)
	v_max3_f32 v66, v66, v92, v93
	s_waitcnt lgkmcnt(1)
	s_delay_alu instid0(VALU_DEP_1) | instskip(NEXT) | instid1(VALU_DEP_1)
	v_max3_f32 v66, v66, v94, v95
	v_sub_f32_e32 v92, v92, v66
	s_delay_alu instid0(VALU_DEP_1) | instskip(NEXT) | instid1(VALU_DEP_1)
	v_dual_sub_f32 v67, v88, v66 :: v_dual_mul_f32 v102, 0x3fb8aa3b, v92
	v_mul_f32_e32 v67, 0x3fb8aa3b, v67
	s_delay_alu instid0(VALU_DEP_1)
	v_exp_f32_e32 v99, v67
	v_sub_f32_e32 v67, v91, v66
	v_sub_f32_e32 v98, v89, v66
	ds_load_2addr_b32 v[88:89], v81 offset0:170 offset1:187
	v_dual_mul_f32 v101, 0x3fb8aa3b, v67 :: v_dual_mul_f32 v98, 0x3fb8aa3b, v98
	s_waitcnt lgkmcnt(1)
	v_fma_f32 v67, v99, v96, 0
	s_delay_alu instid0(VALU_DEP_2) | instskip(NEXT) | instid1(VALU_DEP_2)
	v_exp_f32_e32 v101, v101
	v_exp_f32_e32 v98, v98
	s_waitcnt_depctr 0xfff
	v_fmac_f32_e32 v67, v98, v97
	v_sub_f32_e32 v90, v90, v66
	s_delay_alu instid0(VALU_DEP_1)
	v_mul_f32_e32 v100, 0x3fb8aa3b, v90
	ds_load_2addr_b32 v[90:91], v81 offset0:204 offset1:221
	v_sub_f32_e32 v96, v93, v66
	ds_load_2addr_b32 v[92:93], v81 offset0:238 offset1:255
	s_waitcnt lgkmcnt(0)
	v_exp_f32_e32 v100, v100
	s_barrier
	buffer_gl0_inv
	v_dual_fmac_f32 v67, v100, v88 :: v_dual_sub_f32 v88, v95, v66
	v_dual_sub_f32 v81, v94, v66 :: v_dual_mul_f32 v94, 0x3fb8aa3b, v96
	v_exp_f32_e32 v96, v102
	s_delay_alu instid0(VALU_DEP_2) | instskip(NEXT) | instid1(VALU_DEP_2)
	v_dual_fmac_f32 v67, v101, v89 :: v_dual_mul_f32 v88, 0x3fb8aa3b, v88
	v_mul_f32_e32 v81, 0x3fb8aa3b, v81
	s_delay_alu instid0(VALU_DEP_3) | instskip(NEXT) | instid1(VALU_DEP_2)
	v_exp_f32_e32 v94, v94
	v_exp_f32_e32 v88, v88
	s_delay_alu instid0(VALU_DEP_1)
	v_exp_f32_e32 v81, v81
	v_fmac_f32_e32 v67, v96, v90
	s_delay_alu instid0(TRANS32_DEP_3) | instid1(VALU_DEP_1)
	v_fmac_f32_e32 v67, v94, v91
	s_waitcnt_depctr 0xfff
	v_fmac_f32_e32 v67, v81, v92
	s_delay_alu instid0(VALU_DEP_1) | instskip(NEXT) | instid1(VALU_DEP_1)
	v_fmac_f32_e32 v67, v88, v93
	v_add_f32_e32 v89, 0x358637bd, v67
	s_delay_alu instid0(VALU_DEP_1) | instskip(NEXT) | instid1(VALU_DEP_1)
	v_div_scale_f32 v90, null, v89, v89, 1.0
	v_rcp_f32_e32 v91, v90
	s_waitcnt_depctr 0xfff
	v_fma_f32 v92, -v90, v91, 1.0
	s_delay_alu instid0(VALU_DEP_1) | instskip(SKIP_1) | instid1(VALU_DEP_2)
	v_dual_fmac_f32 v91, v92, v91 :: v_dual_cndmask_b32 v92, v99, v98
	v_cmp_eq_u32_e32 vcc_lo, 3, v65
	v_cndmask_b32_e64 v92, v92, v100, s3
	v_cmp_eq_u32_e64 s3, 4, v65
	s_delay_alu instid0(VALU_DEP_2) | instskip(SKIP_1) | instid1(VALU_DEP_2)
	v_cndmask_b32_e32 v92, v92, v101, vcc_lo
	v_cmp_eq_u32_e32 vcc_lo, 5, v65
	v_cndmask_b32_e64 v92, v92, v96, s3
	v_cmp_eq_u32_e64 s3, 6, v65
	s_delay_alu instid0(VALU_DEP_2) | instskip(SKIP_1) | instid1(VALU_DEP_1)
	v_cndmask_b32_e32 v92, v92, v94, vcc_lo
	v_div_scale_f32 v93, s4, 1.0, v89, 1.0
	s_mov_b32 vcc_lo, s4
	s_delay_alu instid0(VALU_DEP_2) | instskip(NEXT) | instid1(VALU_DEP_2)
	v_cndmask_b32_e64 v81, v92, v81, s3
	v_mul_f32_e32 v95, v93, v91
	s_mov_b32 s3, exec_lo
	s_delay_alu instid0(VALU_DEP_2) | instskip(NEXT) | instid1(VALU_DEP_2)
	v_cndmask_b32_e64 v81, v81, v88, s5
	v_fma_f32 v97, -v90, v95, v93
	s_delay_alu instid0(VALU_DEP_1) | instskip(NEXT) | instid1(VALU_DEP_1)
	v_fmac_f32_e32 v95, v97, v91
	v_fma_f32 v90, -v90, v95, v93
	s_delay_alu instid0(VALU_DEP_1) | instskip(NEXT) | instid1(VALU_DEP_1)
	v_div_fmas_f32 v90, v90, v91, v95
	v_div_fixup_f32 v89, v90, v89, 1.0
	s_delay_alu instid0(VALU_DEP_1) | instskip(NEXT) | instid1(VALU_DEP_1)
	v_mul_f32_e32 v81, v81, v89
	v_mul_f32_e32 v89, v81, v80
	;; [unrolled: 1-line block ×6, first 2 shown]
	v_and_b32_e32 v90, 0x7f800000, v89
	v_mul_f32_e32 v88, v81, v84
	v_mul_f32_e32 v85, v81, v82
	;; [unrolled: 1-line block ×3, first 2 shown]
                                        ; implicit-def: $vgpr76
	s_delay_alu instid0(VALU_DEP_4)
	v_cmpx_ne_u32_e32 0x7f800000, v90
	s_xor_b32 s3, exec_lo, s3
; %bb.12:
	v_bfe_u32 v76, v89, 16, 1
	s_delay_alu instid0(VALU_DEP_1)
	v_add3_u32 v76, v89, v76, 0x7fff
                                        ; implicit-def: $vgpr89
; %bb.13:
	s_and_not1_saveexec_b32 s3, s3
; %bb.14:
	v_and_b32_e32 v76, 0xffff, v89
	v_or_b32_e32 v82, 0x10000, v89
	s_delay_alu instid0(VALU_DEP_2) | instskip(NEXT) | instid1(VALU_DEP_2)
	v_cmp_eq_u32_e32 vcc_lo, 0, v76
	v_cndmask_b32_e32 v76, v82, v89, vcc_lo
; %bb.15:
	s_or_b32 exec_lo, exec_lo, s3
	v_and_b32_e32 v82, 0x7f800000, v84
	s_delay_alu instid0(VALU_DEP_1) | instskip(SKIP_1) | instid1(SALU_CYCLE_1)
	v_cmp_ne_u32_e32 vcc_lo, 0x7f800000, v82
                                        ; implicit-def: $vgpr82
	s_and_saveexec_b32 s3, vcc_lo
	s_xor_b32 s3, exec_lo, s3
; %bb.16:
	v_bfe_u32 v82, v84, 16, 1
	s_delay_alu instid0(VALU_DEP_1)
	v_add3_u32 v82, v84, v82, 0x7fff
                                        ; implicit-def: $vgpr84
; %bb.17:
	s_and_not1_saveexec_b32 s3, s3
; %bb.18:
	v_and_b32_e32 v82, 0xffff, v84
	v_or_b32_e32 v89, 0x10000, v84
	s_delay_alu instid0(VALU_DEP_2) | instskip(NEXT) | instid1(VALU_DEP_2)
	v_cmp_eq_u32_e32 vcc_lo, 0, v82
	v_cndmask_b32_e32 v82, v89, v84, vcc_lo
; %bb.19:
	s_or_b32 exec_lo, exec_lo, s3
	v_and_b32_e32 v84, 0x7f800000, v85
	s_delay_alu instid0(VALU_DEP_1) | instskip(SKIP_1) | instid1(SALU_CYCLE_1)
	v_cmp_ne_u32_e32 vcc_lo, 0x7f800000, v84
                                        ; implicit-def: $vgpr84
	s_and_saveexec_b32 s3, vcc_lo
	s_xor_b32 s3, exec_lo, s3
; %bb.20:
	v_bfe_u32 v84, v85, 16, 1
	s_delay_alu instid0(VALU_DEP_1)
	v_add3_u32 v84, v85, v84, 0x7fff
                                        ; implicit-def: $vgpr85
; %bb.21:
	s_and_not1_saveexec_b32 s3, s3
; %bb.22:
	v_and_b32_e32 v84, 0xffff, v85
	v_or_b32_e32 v89, 0x10000, v85
	s_delay_alu instid0(VALU_DEP_2) | instskip(NEXT) | instid1(VALU_DEP_2)
	v_cmp_eq_u32_e32 vcc_lo, 0, v84
	v_cndmask_b32_e32 v84, v89, v85, vcc_lo
; %bb.23:
	s_or_b32 exec_lo, exec_lo, s3
	v_and_b32_e32 v85, 0x7f800000, v88
	s_delay_alu instid0(VALU_DEP_1) | instskip(SKIP_1) | instid1(SALU_CYCLE_1)
	v_cmp_ne_u32_e32 vcc_lo, 0x7f800000, v85
                                        ; implicit-def: $vgpr85
	s_and_saveexec_b32 s3, vcc_lo
	s_xor_b32 s3, exec_lo, s3
; %bb.24:
	v_bfe_u32 v85, v88, 16, 1
	s_delay_alu instid0(VALU_DEP_1)
	v_add3_u32 v85, v88, v85, 0x7fff
                                        ; implicit-def: $vgpr88
; %bb.25:
	s_and_not1_saveexec_b32 s3, s3
; %bb.26:
	v_and_b32_e32 v85, 0xffff, v88
	v_or_b32_e32 v89, 0x10000, v88
	s_delay_alu instid0(VALU_DEP_2) | instskip(NEXT) | instid1(VALU_DEP_2)
	v_cmp_eq_u32_e32 vcc_lo, 0, v85
	v_cndmask_b32_e32 v85, v89, v88, vcc_lo
; %bb.27:
	s_or_b32 exec_lo, exec_lo, s3
	v_and_b32_e32 v88, 0x7f800000, v87
	s_delay_alu instid0(VALU_DEP_1) | instskip(SKIP_1) | instid1(SALU_CYCLE_1)
	v_cmp_ne_u32_e32 vcc_lo, 0x7f800000, v88
                                        ; implicit-def: $vgpr88
	s_and_saveexec_b32 s3, vcc_lo
	s_xor_b32 s3, exec_lo, s3
; %bb.28:
	v_bfe_u32 v88, v87, 16, 1
	s_delay_alu instid0(VALU_DEP_1)
	v_add3_u32 v88, v87, v88, 0x7fff
                                        ; implicit-def: $vgpr87
; %bb.29:
	s_and_not1_saveexec_b32 s3, s3
; %bb.30:
	v_and_b32_e32 v88, 0xffff, v87
	v_or_b32_e32 v89, 0x10000, v87
	s_delay_alu instid0(VALU_DEP_2) | instskip(NEXT) | instid1(VALU_DEP_2)
	v_cmp_eq_u32_e32 vcc_lo, 0, v88
	v_cndmask_b32_e32 v88, v89, v87, vcc_lo
; %bb.31:
	s_or_b32 exec_lo, exec_lo, s3
	v_and_b32_e32 v87, 0x7f800000, v86
	s_delay_alu instid0(VALU_DEP_1) | instskip(SKIP_1) | instid1(SALU_CYCLE_1)
	v_cmp_ne_u32_e32 vcc_lo, 0x7f800000, v87
                                        ; implicit-def: $vgpr87
	s_and_saveexec_b32 s3, vcc_lo
	s_xor_b32 s3, exec_lo, s3
; %bb.32:
	v_bfe_u32 v87, v86, 16, 1
	s_delay_alu instid0(VALU_DEP_1)
	v_add3_u32 v87, v86, v87, 0x7fff
                                        ; implicit-def: $vgpr86
; %bb.33:
	s_and_not1_saveexec_b32 s3, s3
; %bb.34:
	v_and_b32_e32 v87, 0xffff, v86
	v_or_b32_e32 v89, 0x10000, v86
	s_delay_alu instid0(VALU_DEP_2) | instskip(NEXT) | instid1(VALU_DEP_2)
	v_cmp_eq_u32_e32 vcc_lo, 0, v87
	v_cndmask_b32_e32 v87, v89, v86, vcc_lo
; %bb.35:
	s_or_b32 exec_lo, exec_lo, s3
	v_and_b32_e32 v86, 0x7f800000, v83
	s_delay_alu instid0(VALU_DEP_1) | instskip(SKIP_1) | instid1(SALU_CYCLE_1)
	v_cmp_ne_u32_e32 vcc_lo, 0x7f800000, v86
                                        ; implicit-def: $vgpr86
	s_and_saveexec_b32 s3, vcc_lo
	s_xor_b32 s3, exec_lo, s3
; %bb.36:
	v_bfe_u32 v86, v83, 16, 1
	s_delay_alu instid0(VALU_DEP_1)
	v_add3_u32 v86, v83, v86, 0x7fff
                                        ; implicit-def: $vgpr83
; %bb.37:
	s_and_not1_saveexec_b32 s3, s3
; %bb.38:
	v_and_b32_e32 v86, 0xffff, v83
	v_or_b32_e32 v89, 0x10000, v83
	s_delay_alu instid0(VALU_DEP_2) | instskip(NEXT) | instid1(VALU_DEP_2)
	v_cmp_eq_u32_e32 vcc_lo, 0, v86
	v_cndmask_b32_e32 v86, v89, v83, vcc_lo
; %bb.39:
	s_or_b32 exec_lo, exec_lo, s3
	v_and_b32_e32 v83, 0x7f800000, v80
	s_delay_alu instid0(VALU_DEP_1) | instskip(SKIP_1) | instid1(SALU_CYCLE_1)
	v_cmp_ne_u32_e32 vcc_lo, 0x7f800000, v83
                                        ; implicit-def: $vgpr83
	s_and_saveexec_b32 s3, vcc_lo
	s_xor_b32 s3, exec_lo, s3
; %bb.40:
	v_bfe_u32 v83, v80, 16, 1
	s_delay_alu instid0(VALU_DEP_1)
	v_add3_u32 v83, v80, v83, 0x7fff
                                        ; implicit-def: $vgpr80
; %bb.41:
	s_and_not1_saveexec_b32 s3, s3
; %bb.42:
	v_and_b32_e32 v83, 0xffff, v80
	v_or_b32_e32 v89, 0x10000, v80
	s_delay_alu instid0(VALU_DEP_2) | instskip(NEXT) | instid1(VALU_DEP_2)
	v_cmp_eq_u32_e32 vcc_lo, 0, v83
	v_cndmask_b32_e32 v83, v89, v80, vcc_lo
; %bb.43:
	s_or_b32 exec_lo, exec_lo, s3
	s_load_b64 s[36:37], s[0:1], 0x94
	v_lshlrev_b32_e32 v90, 4, v75
	s_delay_alu instid0(VALU_DEP_2)
	v_perm_b32 v89, v83, v86, 0x7060302
	v_mul_f32_e32 v83, v81, v69
	v_dual_mul_f32 v69, v81, v79 :: v_dual_lshlrev_b32 v80, 6, v73
	v_dual_mul_f32 v78, v81, v78 :: v_dual_lshlrev_b32 v91, 11, v65
	v_perm_b32 v88, v87, v88, 0x7060302
	v_perm_b32 v87, v85, v84, 0x7060302
	;; [unrolled: 1-line block ×3, first 2 shown]
	s_delay_alu instid0(VALU_DEP_4)
	v_or3_b32 v76, v90, v91, v80
	v_dual_mul_f32 v77, v81, v77 :: v_dual_and_b32 v84, 0x7f800000, v83
	v_mul_f32_e32 v72, v81, v72
	v_mul_f32_e32 v82, v81, v71
	;; [unrolled: 1-line block ×4, first 2 shown]
	s_mov_b32 s3, exec_lo
	ds_store_b128 v76, v[86:89]
                                        ; implicit-def: $vgpr68
	v_cmpx_ne_u32_e32 0x7f800000, v84
	s_xor_b32 s3, exec_lo, s3
; %bb.44:
	v_bfe_u32 v68, v83, 16, 1
	s_delay_alu instid0(VALU_DEP_1)
	v_add3_u32 v68, v83, v68, 0x7fff
                                        ; implicit-def: $vgpr83
; %bb.45:
	s_and_not1_saveexec_b32 s3, s3
; %bb.46:
	v_and_b32_e32 v68, 0xffff, v83
	v_or_b32_e32 v70, 0x10000, v83
	s_delay_alu instid0(VALU_DEP_2) | instskip(NEXT) | instid1(VALU_DEP_2)
	v_cmp_eq_u32_e32 vcc_lo, 0, v68
	v_cndmask_b32_e32 v68, v70, v83, vcc_lo
; %bb.47:
	s_or_b32 exec_lo, exec_lo, s3
	v_and_b32_e32 v70, 0x7f800000, v71
	s_delay_alu instid0(VALU_DEP_1) | instskip(SKIP_1) | instid1(SALU_CYCLE_1)
	v_cmp_ne_u32_e32 vcc_lo, 0x7f800000, v70
                                        ; implicit-def: $vgpr70
	s_and_saveexec_b32 s3, vcc_lo
	s_xor_b32 s3, exec_lo, s3
; %bb.48:
	v_bfe_u32 v70, v71, 16, 1
	s_delay_alu instid0(VALU_DEP_1)
	v_add3_u32 v70, v71, v70, 0x7fff
                                        ; implicit-def: $vgpr71
; %bb.49:
	s_and_not1_saveexec_b32 s3, s3
; %bb.50:
	v_and_b32_e32 v70, 0xffff, v71
	v_or_b32_e32 v81, 0x10000, v71
	s_delay_alu instid0(VALU_DEP_2) | instskip(NEXT) | instid1(VALU_DEP_2)
	v_cmp_eq_u32_e32 vcc_lo, 0, v70
	v_cndmask_b32_e32 v70, v81, v71, vcc_lo
; %bb.51:
	s_or_b32 exec_lo, exec_lo, s3
	v_and_b32_e32 v71, 0x7f800000, v79
	s_delay_alu instid0(VALU_DEP_1) | instskip(SKIP_1) | instid1(SALU_CYCLE_1)
	v_cmp_ne_u32_e32 vcc_lo, 0x7f800000, v71
                                        ; implicit-def: $vgpr71
	s_and_saveexec_b32 s3, vcc_lo
	s_xor_b32 s3, exec_lo, s3
; %bb.52:
	v_bfe_u32 v71, v79, 16, 1
	s_delay_alu instid0(VALU_DEP_1)
	v_add3_u32 v71, v79, v71, 0x7fff
                                        ; implicit-def: $vgpr79
; %bb.53:
	s_and_not1_saveexec_b32 s3, s3
; %bb.54:
	v_and_b32_e32 v71, 0xffff, v79
	v_or_b32_e32 v81, 0x10000, v79
	s_delay_alu instid0(VALU_DEP_2) | instskip(NEXT) | instid1(VALU_DEP_2)
	v_cmp_eq_u32_e32 vcc_lo, 0, v71
	v_cndmask_b32_e32 v71, v81, v79, vcc_lo
; %bb.55:
	s_or_b32 exec_lo, exec_lo, s3
	v_and_b32_e32 v79, 0x7f800000, v82
	s_delay_alu instid0(VALU_DEP_1) | instskip(SKIP_1) | instid1(SALU_CYCLE_1)
	v_cmp_ne_u32_e32 vcc_lo, 0x7f800000, v79
                                        ; implicit-def: $vgpr79
	s_and_saveexec_b32 s3, vcc_lo
	s_xor_b32 s3, exec_lo, s3
; %bb.56:
	v_bfe_u32 v79, v82, 16, 1
	s_delay_alu instid0(VALU_DEP_1)
	v_add3_u32 v79, v82, v79, 0x7fff
                                        ; implicit-def: $vgpr82
; %bb.57:
	s_and_not1_saveexec_b32 s3, s3
; %bb.58:
	v_and_b32_e32 v79, 0xffff, v82
	v_or_b32_e32 v81, 0x10000, v82
	s_delay_alu instid0(VALU_DEP_2) | instskip(NEXT) | instid1(VALU_DEP_2)
	v_cmp_eq_u32_e32 vcc_lo, 0, v79
	v_cndmask_b32_e32 v79, v81, v82, vcc_lo
; %bb.59:
	s_or_b32 exec_lo, exec_lo, s3
	v_and_b32_e32 v81, 0x7f800000, v72
	s_delay_alu instid0(VALU_DEP_1) | instskip(SKIP_1) | instid1(SALU_CYCLE_1)
	v_cmp_ne_u32_e32 vcc_lo, 0x7f800000, v81
                                        ; implicit-def: $vgpr81
	s_and_saveexec_b32 s3, vcc_lo
	s_xor_b32 s3, exec_lo, s3
; %bb.60:
	v_bfe_u32 v81, v72, 16, 1
	s_delay_alu instid0(VALU_DEP_1)
	v_add3_u32 v81, v72, v81, 0x7fff
                                        ; implicit-def: $vgpr72
; %bb.61:
	s_and_not1_saveexec_b32 s3, s3
; %bb.62:
	v_and_b32_e32 v81, 0xffff, v72
	v_or_b32_e32 v82, 0x10000, v72
	s_delay_alu instid0(VALU_DEP_2) | instskip(NEXT) | instid1(VALU_DEP_2)
	v_cmp_eq_u32_e32 vcc_lo, 0, v81
	v_cndmask_b32_e32 v81, v82, v72, vcc_lo
; %bb.63:
	s_or_b32 exec_lo, exec_lo, s3
	v_and_b32_e32 v72, 0x7f800000, v77
	s_delay_alu instid0(VALU_DEP_1) | instskip(SKIP_1) | instid1(SALU_CYCLE_1)
	v_cmp_ne_u32_e32 vcc_lo, 0x7f800000, v72
                                        ; implicit-def: $vgpr72
	s_and_saveexec_b32 s3, vcc_lo
	s_xor_b32 s3, exec_lo, s3
; %bb.64:
	v_bfe_u32 v72, v77, 16, 1
	s_delay_alu instid0(VALU_DEP_1)
	v_add3_u32 v72, v77, v72, 0x7fff
                                        ; implicit-def: $vgpr77
; %bb.65:
	s_and_not1_saveexec_b32 s3, s3
; %bb.66:
	v_and_b32_e32 v72, 0xffff, v77
	v_or_b32_e32 v82, 0x10000, v77
	s_delay_alu instid0(VALU_DEP_2) | instskip(NEXT) | instid1(VALU_DEP_2)
	v_cmp_eq_u32_e32 vcc_lo, 0, v72
	v_cndmask_b32_e32 v72, v82, v77, vcc_lo
; %bb.67:
	s_or_b32 exec_lo, exec_lo, s3
	v_and_b32_e32 v77, 0x7f800000, v78
	s_delay_alu instid0(VALU_DEP_1) | instskip(SKIP_1) | instid1(SALU_CYCLE_1)
	v_cmp_ne_u32_e32 vcc_lo, 0x7f800000, v77
                                        ; implicit-def: $vgpr77
	s_and_saveexec_b32 s3, vcc_lo
	s_xor_b32 s3, exec_lo, s3
; %bb.68:
	v_bfe_u32 v77, v78, 16, 1
	s_delay_alu instid0(VALU_DEP_1)
	v_add3_u32 v77, v78, v77, 0x7fff
                                        ; implicit-def: $vgpr78
; %bb.69:
	s_and_not1_saveexec_b32 s3, s3
; %bb.70:
	v_and_b32_e32 v77, 0xffff, v78
	v_or_b32_e32 v82, 0x10000, v78
	s_delay_alu instid0(VALU_DEP_2) | instskip(NEXT) | instid1(VALU_DEP_2)
	v_cmp_eq_u32_e32 vcc_lo, 0, v77
	v_cndmask_b32_e32 v77, v82, v78, vcc_lo
; %bb.71:
	s_or_b32 exec_lo, exec_lo, s3
	v_and_b32_e32 v78, 0x7f800000, v69
	s_delay_alu instid0(VALU_DEP_1) | instskip(SKIP_1) | instid1(SALU_CYCLE_1)
	v_cmp_ne_u32_e32 vcc_lo, 0x7f800000, v78
                                        ; implicit-def: $vgpr78
	s_and_saveexec_b32 s3, vcc_lo
	s_xor_b32 s3, exec_lo, s3
; %bb.72:
	v_bfe_u32 v78, v69, 16, 1
	s_delay_alu instid0(VALU_DEP_1)
	v_add3_u32 v78, v69, v78, 0x7fff
                                        ; implicit-def: $vgpr69
; %bb.73:
	s_and_not1_saveexec_b32 s3, s3
; %bb.74:
	v_and_b32_e32 v78, 0xffff, v69
	v_or_b32_e32 v82, 0x10000, v69
	s_delay_alu instid0(VALU_DEP_2) | instskip(NEXT) | instid1(VALU_DEP_2)
	v_cmp_eq_u32_e32 vcc_lo, 0, v78
	v_cndmask_b32_e32 v78, v82, v69, vcc_lo
; %bb.75:
	s_or_b32 exec_lo, exec_lo, s3
	s_delay_alu instid0(VALU_DEP_1)
	v_perm_b32 v86, v78, v77, 0x7060302
	v_perm_b32 v85, v72, v81, 0x7060302
	;; [unrolled: 1-line block ×4, first 2 shown]
	v_lshl_or_b32 v82, v65, 11, v80
	ds_store_b128 v76, v[83:86] offset:1024
	s_waitcnt lgkmcnt(0)
	s_barrier
	buffer_gl0_inv
	ds_load_b128 v[68:71], v82
	ds_load_b128 v[83:86], v82 offset:16
	s_waitcnt lgkmcnt(1)
	v_lshrrev_b32_e32 v65, 16, v68
	v_lshlrev_b32_e32 v78, 2, v75
	s_waitcnt lgkmcnt(0)
	v_lshrrev_b32_e32 v91, 16, v83
	v_lshrrev_b32_e32 v72, 16, v69
	;; [unrolled: 1-line block ×4, first 2 shown]
	v_cmp_eq_u32_e32 vcc_lo, 1, v78
	v_lshrrev_b32_e32 v98, 16, v85
	v_lshrrev_b32_e32 v96, 16, v71
	;; [unrolled: 1-line block ×3, first 2 shown]
	v_cndmask_b32_e32 v81, v68, v65, vcc_lo
	v_or_b32_e32 v79, 1, v78
	v_cmp_eq_u32_e64 s4, 2, v78
	v_cndmask_b32_e32 v87, v83, v91, vcc_lo
	v_cmp_eq_u32_e64 s7, 3, v78
	v_cmp_eq_u32_e64 s9, 4, v78
	;; [unrolled: 1-line block ×3, first 2 shown]
	v_cndmask_b32_e64 v81, v81, v69, s4
	v_cmp_eq_u32_e64 s6, 2, v79
	v_cndmask_b32_e64 v87, v87, v84, s4
	v_cmp_eq_u32_e64 s8, 3, v79
	v_cndmask_b32_e64 v88, v68, v65, s3
	v_cndmask_b32_e64 v81, v81, v72, s7
	v_or_b32_e32 v77, 2, v78
	v_cndmask_b32_e64 v87, v87, v97, s7
	v_cndmask_b32_e64 v89, v83, v91, s3
	;; [unrolled: 1-line block ×4, first 2 shown]
	v_cmp_eq_u32_e64 s10, 5, v78
	v_cndmask_b32_e64 v87, v87, v85, s9
	v_cmp_eq_u32_e64 s11, 4, v79
	v_cndmask_b32_e64 v88, v88, v72, s8
	v_cmp_eq_u32_e64 s5, 1, v77
	v_cndmask_b32_e64 v89, v89, v84, s6
	v_cndmask_b32_e64 v81, v81, v95, s10
	v_cmp_eq_u32_e64 s12, 6, v78
	v_cndmask_b32_e64 v88, v88, v70, s11
	v_cndmask_b32_e64 v87, v87, v98, s10
	v_cmp_eq_u32_e64 s13, 5, v79
	v_cndmask_b32_e64 v90, v68, v65, s5
	v_cndmask_b32_e64 v89, v89, v97, s8
	;; [unrolled: 1-line block ×3, first 2 shown]
	v_cmp_eq_u32_e64 s16, 7, v78
	v_cndmask_b32_e64 v88, v88, v95, s13
	v_cndmask_b32_e64 v87, v87, v86, s12
	v_cmp_eq_u32_e64 s17, 6, v79
	v_cmp_eq_u32_e64 s18, 2, v77
	v_cndmask_b32_e64 v89, v89, v85, s11
	v_cndmask_b32_e64 v100, v81, v96, s16
	;; [unrolled: 1-line block ×6, first 2 shown]
	v_cmp_eq_u32_e64 s19, 7, v79
	v_cmp_eq_u32_e64 s20, 3, v77
	;; [unrolled: 1-line block ×4, first 2 shown]
	v_cndmask_b32_e64 v87, v87, v84, s18
	v_cndmask_b32_e64 v102, v88, v96, s19
	;; [unrolled: 1-line block ×4, first 2 shown]
	v_or_b32_e32 v81, 3, v78
	v_cndmask_b32_e64 v93, v87, v97, s20
	v_cmp_eq_u32_e64 s25, 6, v77
	v_cndmask_b32_e64 v103, v88, v86, s17
	v_cndmask_b32_e64 v92, v89, v70, s21
	v_cmp_eq_u32_e64 s22, 1, v81
	ds_load_b128 v[87:90], v82 offset:1024
	v_cmp_eq_u32_e64 s24, 2, v81
	v_cmp_eq_u32_e64 s26, 3, v81
	v_cndmask_b32_e64 v104, v92, v95, s23
	v_cndmask_b32_e64 v65, v68, v65, s22
	;; [unrolled: 1-line block ×4, first 2 shown]
	ds_load_b128 v[91:94], v82 offset:1040
	v_cmp_eq_u32_e64 s27, 4, v81
	v_cndmask_b32_e64 v65, v65, v69, s24
	v_cmp_eq_u32_e64 s29, 5, v81
	v_cndmask_b32_e64 v69, v83, v84, s24
	v_cmp_eq_u32_e64 s28, 7, v77
	v_cmp_eq_u32_e64 s30, 6, v81
	v_cndmask_b32_e64 v65, v65, v72, s26
	v_cndmask_b32_e64 v72, v104, v71, s25
	;; [unrolled: 1-line block ×6, first 2 shown]
	s_waitcnt lgkmcnt(1)
	v_lshrrev_b32_e32 v84, 16, v87
	v_cndmask_b32_e64 v69, v69, v85, s27
	v_cndmask_b32_e64 v70, v72, v96, s28
	;; [unrolled: 1-line block ×4, first 2 shown]
	v_lshrrev_b32_e32 v95, 16, v88
	v_cndmask_b32_e64 v69, v69, v98, s29
	s_waitcnt lgkmcnt(0)
	v_lshrrev_b32_e32 v85, 16, v91
	v_cndmask_b32_e64 v97, v87, v84, s3
	v_cndmask_b32_e64 v65, v65, v71, s30
	;; [unrolled: 1-line block ×4, first 2 shown]
	v_cndmask_b32_e32 v72, v87, v84, vcc_lo
	v_cndmask_b32_e32 v98, v91, v85, vcc_lo
	v_cmp_eq_u32_e32 vcc_lo, 7, v81
	v_perm_b32 v70, v68, v70, 0x5040100
	v_cndmask_b32_e32 v65, v65, v96, vcc_lo
	v_cndmask_b32_e32 v69, v69, v99, vcc_lo
	v_cndmask_b32_e64 v72, v72, v88, s4
	v_cndmask_b32_e64 v86, v98, v92, s4
	v_lshrrev_b32_e32 v99, 16, v93
	v_lshrrev_b32_e32 v98, 16, v89
	s_delay_alu instid0(VALU_DEP_4) | instskip(SKIP_2) | instid1(VALU_DEP_3)
	v_cndmask_b32_e64 v71, v72, v95, s7
	v_cndmask_b32_e64 v72, v97, v88, s6
	v_lshrrev_b32_e32 v97, 16, v92
	v_cndmask_b32_e64 v71, v71, v89, s9
	s_delay_alu instid0(VALU_DEP_3) | instskip(NEXT) | instid1(VALU_DEP_3)
	v_cndmask_b32_e64 v72, v72, v95, s8
	v_cndmask_b32_e64 v86, v86, v97, s7
	s_delay_alu instid0(VALU_DEP_3) | instskip(SKIP_1) | instid1(VALU_DEP_3)
	v_cndmask_b32_e64 v96, v71, v98, s10
	v_perm_b32 v71, v69, v65, 0x5040100
	v_cndmask_b32_e64 v86, v86, v93, s9
	v_perm_b32 v69, v83, v102, 0x5040100
	v_cndmask_b32_e64 v102, v91, v85, s5
	v_cndmask_b32_e64 v72, v72, v89, s11
	v_lshrrev_b32_e32 v83, 16, v94
	v_cndmask_b32_e64 v86, v86, v99, s10
	s_delay_alu instid0(VALU_DEP_3) | instskip(SKIP_1) | instid1(VALU_DEP_3)
	v_cndmask_b32_e64 v65, v72, v98, s13
	v_cndmask_b32_e64 v72, v96, v90, s12
	;; [unrolled: 1-line block ×7, first 2 shown]
	v_lshrrev_b32_e32 v96, 16, v90
	v_cndmask_b32_e64 v86, v86, v88, s18
	v_cndmask_b32_e64 v84, v84, v88, s24
	;; [unrolled: 1-line block ×29, first 2 shown]
	v_cndmask_b32_e32 v84, v84, v96, vcc_lo
	v_cndmask_b32_e32 v86, v87, v83, vcc_lo
	v_cndmask_b32_e64 v87, v88, v83, s28
	v_cndmask_b32_e64 v88, v85, v83, s19
	;; [unrolled: 1-line block ×3, first 2 shown]
	v_perm_b32 v68, v101, v100, 0x5040100
	v_perm_b32 v86, v86, v84, 0x5040100
	v_perm_b32 v85, v87, v89, 0x5040100
	v_perm_b32 v84, v88, v65, 0x5040100
	v_perm_b32 v83, v83, v72, 0x5040100
	s_mov_b32 s3, exec_lo
	ds_store_b128 v76, v[68:71]
	ds_store_b128 v76, v[83:86] offset:1024
	v_cmpx_eq_u32_e32 0, v0
	s_cbranch_execz .LBB1790_77
; %bb.76:
	s_load_b128 s[4:7], s[0:1], 0x58
	s_mul_i32 s8, s37, s34
	v_mov_b32_e32 v65, 0
	s_add_i32 s8, s8, s15
	s_delay_alu instid0(SALU_CYCLE_1) | instskip(NEXT) | instid1(SALU_CYCLE_1)
	s_mul_i32 s8, s8, s36
	s_add_i32 s8, s8, s14
	s_delay_alu instid0(SALU_CYCLE_1) | instskip(NEXT) | instid1(SALU_CYCLE_1)
	s_ashr_i32 s9, s8, 31
	s_lshl_b64 s[8:9], s[8:9], 2
	s_waitcnt lgkmcnt(0)
	s_add_u32 s6, s6, s8
	s_addc_u32 s7, s7, s9
	s_add_u32 s4, s4, s8
	s_addc_u32 s5, s5, s9
	s_clause 0x1
	global_store_b32 v65, v66, s[6:7]
	global_store_b32 v65, v67, s[4:5]
.LBB1790_77:
	s_or_b32 exec_lo, exec_lo, s3
	s_waitcnt lgkmcnt(0)
	s_waitcnt_vscnt null, 0x0
	s_barrier
	buffer_gl0_inv
	ds_load_b128 v[83:86], v80
	ds_load_b128 v[87:90], v80 offset:16
	ds_load_b128 v[95:98], v80 offset:2064
	;; [unrolled: 1-line block ×3, first 2 shown]
	v_mov_b32_e32 v65, 0
	ds_load_b128 v[103:106], v80 offset:4112
	ds_load_b128 v[99:102], v80 offset:4096
	;; [unrolled: 1-line block ×4, first 2 shown]
	v_mov_b32_e32 v66, v65
	v_mov_b32_e32 v67, v65
	;; [unrolled: 1-line block ×7, first 2 shown]
	s_waitcnt lgkmcnt(6)
	s_delay_alu instid0(VALU_DEP_1)
	v_wmma_f32_16x16x16_bf16 v[65:72], v[49:56], v[83:90], v[65:72]
	ds_load_b128 v[53:56], v80 offset:8208
	ds_load_b128 v[49:52], v80 offset:8192
	s_waitcnt lgkmcnt(6)
	v_wmma_f32_16x16x16_bf16 v[65:72], v[41:48], v[91:98], v[65:72]
	ds_load_b128 v[45:48], v80 offset:10256
	ds_load_b128 v[41:44], v80 offset:10240
	s_waitcnt lgkmcnt(6)
	;; [unrolled: 4-line block ×4, first 2 shown]
	v_wmma_f32_16x16x16_bf16 v[65:72], v[1:8], v[49:56], v[65:72]
	s_waitcnt lgkmcnt(4)
	s_delay_alu instid0(VALU_DEP_1) | instskip(SKIP_1) | instid1(VALU_DEP_1)
	v_wmma_f32_16x16x16_bf16 v[65:72], v[9:16], v[41:48], v[65:72]
	s_waitcnt lgkmcnt(2)
	v_wmma_f32_16x16x16_bf16 v[65:72], v[17:24], v[33:40], v[65:72]
	s_waitcnt lgkmcnt(0)
	s_delay_alu instid0(VALU_DEP_1) | instskip(NEXT) | instid1(VALU_DEP_1)
	v_wmma_f32_16x16x16_bf16 v[65:72], v[57:64], v[25:32], v[65:72]
	v_and_b32_e32 v1, 0x7f800000, v65
	s_delay_alu instid0(VALU_DEP_1) | instskip(SKIP_1) | instid1(SALU_CYCLE_1)
	v_cmp_ne_u32_e32 vcc_lo, 0x7f800000, v1
                                        ; implicit-def: $vgpr1
	s_and_saveexec_b32 s3, vcc_lo
	s_xor_b32 s3, exec_lo, s3
; %bb.78:
	v_bfe_u32 v1, v65, 16, 1
	s_delay_alu instid0(VALU_DEP_1)
	v_add3_u32 v1, v65, v1, 0x7fff
; %bb.79:
	s_and_not1_saveexec_b32 s3, s3
; %bb.80:
	v_and_b32_e32 v1, 0xffff, v65
	v_or_b32_e32 v2, 0x10000, v65
	s_delay_alu instid0(VALU_DEP_2) | instskip(NEXT) | instid1(VALU_DEP_2)
	v_cmp_eq_u32_e32 vcc_lo, 0, v1
	v_cndmask_b32_e32 v1, v2, v65, vcc_lo
; %bb.81:
	s_or_b32 exec_lo, exec_lo, s3
	v_and_b32_e32 v2, 0x7f800000, v66
	s_delay_alu instid0(VALU_DEP_1) | instskip(SKIP_1) | instid1(SALU_CYCLE_1)
	v_cmp_ne_u32_e32 vcc_lo, 0x7f800000, v2
                                        ; implicit-def: $vgpr2
	s_and_saveexec_b32 s3, vcc_lo
	s_xor_b32 s3, exec_lo, s3
; %bb.82:
	v_bfe_u32 v2, v66, 16, 1
	s_delay_alu instid0(VALU_DEP_1)
	v_add3_u32 v2, v66, v2, 0x7fff
; %bb.83:
	s_and_not1_saveexec_b32 s3, s3
; %bb.84:
	v_and_b32_e32 v2, 0xffff, v66
	v_or_b32_e32 v3, 0x10000, v66
	s_delay_alu instid0(VALU_DEP_2) | instskip(NEXT) | instid1(VALU_DEP_2)
	v_cmp_eq_u32_e32 vcc_lo, 0, v2
	v_cndmask_b32_e32 v2, v3, v66, vcc_lo
; %bb.85:
	s_or_b32 exec_lo, exec_lo, s3
	v_and_b32_e32 v3, 0x7f800000, v67
	s_delay_alu instid0(VALU_DEP_1) | instskip(SKIP_1) | instid1(SALU_CYCLE_1)
	v_cmp_ne_u32_e32 vcc_lo, 0x7f800000, v3
                                        ; implicit-def: $vgpr3
	s_and_saveexec_b32 s3, vcc_lo
	s_xor_b32 s3, exec_lo, s3
; %bb.86:
	v_bfe_u32 v3, v67, 16, 1
	s_delay_alu instid0(VALU_DEP_1)
	v_add3_u32 v3, v67, v3, 0x7fff
; %bb.87:
	s_and_not1_saveexec_b32 s3, s3
; %bb.88:
	v_and_b32_e32 v3, 0xffff, v67
	v_or_b32_e32 v4, 0x10000, v67
	s_delay_alu instid0(VALU_DEP_2) | instskip(NEXT) | instid1(VALU_DEP_2)
	v_cmp_eq_u32_e32 vcc_lo, 0, v3
	v_cndmask_b32_e32 v3, v4, v67, vcc_lo
; %bb.89:
	s_or_b32 exec_lo, exec_lo, s3
	v_and_b32_e32 v4, 0x7f800000, v68
	s_delay_alu instid0(VALU_DEP_1) | instskip(SKIP_1) | instid1(SALU_CYCLE_1)
	v_cmp_ne_u32_e32 vcc_lo, 0x7f800000, v4
                                        ; implicit-def: $vgpr4
	s_and_saveexec_b32 s3, vcc_lo
	s_xor_b32 s3, exec_lo, s3
; %bb.90:
	v_bfe_u32 v4, v68, 16, 1
	s_delay_alu instid0(VALU_DEP_1)
	v_add3_u32 v4, v68, v4, 0x7fff
; %bb.91:
	s_and_not1_saveexec_b32 s3, s3
; %bb.92:
	v_and_b32_e32 v4, 0xffff, v68
	v_or_b32_e32 v5, 0x10000, v68
	s_delay_alu instid0(VALU_DEP_2) | instskip(NEXT) | instid1(VALU_DEP_2)
	v_cmp_eq_u32_e32 vcc_lo, 0, v4
	v_cndmask_b32_e32 v4, v5, v68, vcc_lo
; %bb.93:
	s_or_b32 exec_lo, exec_lo, s3
	v_and_b32_e32 v5, 0x7f800000, v69
	s_delay_alu instid0(VALU_DEP_1) | instskip(SKIP_1) | instid1(SALU_CYCLE_1)
	v_cmp_ne_u32_e32 vcc_lo, 0x7f800000, v5
                                        ; implicit-def: $vgpr5
	s_and_saveexec_b32 s3, vcc_lo
	s_xor_b32 s3, exec_lo, s3
; %bb.94:
	v_bfe_u32 v5, v69, 16, 1
	s_delay_alu instid0(VALU_DEP_1)
	v_add3_u32 v5, v69, v5, 0x7fff
; %bb.95:
	s_and_not1_saveexec_b32 s3, s3
; %bb.96:
	v_and_b32_e32 v5, 0xffff, v69
	v_or_b32_e32 v6, 0x10000, v69
	s_delay_alu instid0(VALU_DEP_2) | instskip(NEXT) | instid1(VALU_DEP_2)
	v_cmp_eq_u32_e32 vcc_lo, 0, v5
	v_cndmask_b32_e32 v5, v6, v69, vcc_lo
; %bb.97:
	s_or_b32 exec_lo, exec_lo, s3
	v_and_b32_e32 v6, 0x7f800000, v70
	s_delay_alu instid0(VALU_DEP_1) | instskip(SKIP_1) | instid1(SALU_CYCLE_1)
	v_cmp_ne_u32_e32 vcc_lo, 0x7f800000, v6
                                        ; implicit-def: $vgpr6
	s_and_saveexec_b32 s3, vcc_lo
	s_xor_b32 s3, exec_lo, s3
; %bb.98:
	v_bfe_u32 v6, v70, 16, 1
	s_delay_alu instid0(VALU_DEP_1)
	v_add3_u32 v6, v70, v6, 0x7fff
; %bb.99:
	s_and_not1_saveexec_b32 s3, s3
; %bb.100:
	v_and_b32_e32 v6, 0xffff, v70
	v_or_b32_e32 v7, 0x10000, v70
	s_delay_alu instid0(VALU_DEP_2) | instskip(NEXT) | instid1(VALU_DEP_2)
	v_cmp_eq_u32_e32 vcc_lo, 0, v6
	v_cndmask_b32_e32 v6, v7, v70, vcc_lo
; %bb.101:
	s_or_b32 exec_lo, exec_lo, s3
	v_and_b32_e32 v7, 0x7f800000, v71
	s_delay_alu instid0(VALU_DEP_1) | instskip(SKIP_1) | instid1(SALU_CYCLE_1)
	v_cmp_ne_u32_e32 vcc_lo, 0x7f800000, v7
                                        ; implicit-def: $vgpr7
	s_and_saveexec_b32 s3, vcc_lo
	s_xor_b32 s3, exec_lo, s3
; %bb.102:
	v_bfe_u32 v7, v71, 16, 1
	s_delay_alu instid0(VALU_DEP_1)
	v_add3_u32 v7, v71, v7, 0x7fff
; %bb.103:
	s_and_not1_saveexec_b32 s3, s3
; %bb.104:
	v_and_b32_e32 v7, 0xffff, v71
	v_or_b32_e32 v8, 0x10000, v71
	s_delay_alu instid0(VALU_DEP_2) | instskip(NEXT) | instid1(VALU_DEP_2)
	v_cmp_eq_u32_e32 vcc_lo, 0, v7
	v_cndmask_b32_e32 v7, v8, v71, vcc_lo
; %bb.105:
	s_or_b32 exec_lo, exec_lo, s3
	v_and_b32_e32 v8, 0x7f800000, v72
	s_delay_alu instid0(VALU_DEP_1) | instskip(SKIP_1) | instid1(SALU_CYCLE_1)
	v_cmp_ne_u32_e32 vcc_lo, 0x7f800000, v8
                                        ; implicit-def: $vgpr8
	s_and_saveexec_b32 s3, vcc_lo
	s_xor_b32 s3, exec_lo, s3
; %bb.106:
	v_bfe_u32 v8, v72, 16, 1
	s_delay_alu instid0(VALU_DEP_1)
	v_add3_u32 v8, v72, v8, 0x7fff
                                        ; implicit-def: $vgpr65_vgpr66_vgpr67_vgpr68_vgpr69_vgpr70_vgpr71_vgpr72
; %bb.107:
	s_and_not1_saveexec_b32 s3, s3
; %bb.108:
	v_and_b32_e32 v8, 0xffff, v72
	v_or_b32_e32 v9, 0x10000, v72
	s_delay_alu instid0(VALU_DEP_2) | instskip(NEXT) | instid1(VALU_DEP_2)
	v_cmp_eq_u32_e32 vcc_lo, 0, v8
	v_cndmask_b32_e32 v8, v9, v72, vcc_lo
; %bb.109:
	s_or_b32 exec_lo, exec_lo, s3
	s_delay_alu instid0(VALU_DEP_1)
	v_perm_b32 v7, v8, v7, 0x7060302
	v_perm_b32 v6, v6, v5, 0x7060302
	v_perm_b32 v5, v4, v3, 0x7060302
	v_perm_b32 v4, v2, v1, 0x7060302
	s_barrier
	buffer_gl0_inv
	v_cmp_eq_u32_e32 vcc_lo, 1, v78
	ds_store_b128 v76, v[4:7]
	s_waitcnt lgkmcnt(0)
	s_barrier
	buffer_gl0_inv
	ds_load_b128 v[1:4], v82
	ds_load_b128 v[5:8], v82 offset:16
	v_cmp_eq_u32_e64 s3, 1, v79
	v_cmp_eq_u32_e64 s4, 2, v78
	;; [unrolled: 1-line block ×5, first 2 shown]
	s_waitcnt lgkmcnt(1)
	v_lshrrev_b32_e32 v9, 16, v1
	s_waitcnt lgkmcnt(0)
	v_lshrrev_b32_e32 v13, 16, v5
	v_lshrrev_b32_e32 v10, 16, v2
	;; [unrolled: 1-line block ×4, first 2 shown]
	v_cndmask_b32_e64 v19, v1, v9, s3
	v_cndmask_b32_e32 v18, v5, v13, vcc_lo
	v_cndmask_b32_e64 v20, v5, v13, s3
	v_cndmask_b32_e32 v17, v1, v9, vcc_lo
	v_cmp_eq_u32_e32 vcc_lo, 2, v79
	v_lshrrev_b32_e32 v15, 16, v7
	v_cmp_eq_u32_e64 s3, 1, v77
	v_lshrrev_b32_e32 v12, 16, v4
	v_lshrrev_b32_e32 v16, 16, v8
	v_cndmask_b32_e32 v20, v20, v6, vcc_lo
	v_cndmask_b32_e64 v17, v17, v2, s4
	v_cndmask_b32_e32 v19, v19, v2, vcc_lo
	v_cndmask_b32_e64 v18, v18, v6, s4
	v_cmp_eq_u32_e32 vcc_lo, 4, v78
	v_cmp_eq_u32_e64 s4, 3, v79
	v_cndmask_b32_e64 v17, v17, v10, s5
	v_cndmask_b32_e64 v21, v1, v9, s3
	;; [unrolled: 1-line block ×5, first 2 shown]
	v_cndmask_b32_e32 v17, v17, v3, vcc_lo
	v_cndmask_b32_e64 v20, v20, v14, s4
	v_cndmask_b32_e32 v18, v18, v7, vcc_lo
	v_cmp_eq_u32_e32 vcc_lo, 4, v79
	v_cmp_eq_u32_e64 s4, 5, v79
	v_cmp_eq_u32_e64 s3, 2, v81
	v_cndmask_b32_e64 v21, v21, v2, s7
	v_cmp_eq_u32_e64 s5, 5, v78
	v_cndmask_b32_e32 v19, v19, v3, vcc_lo
	v_cndmask_b32_e32 v20, v20, v7, vcc_lo
	v_cmp_eq_u32_e32 vcc_lo, 6, v79
	s_delay_alu instid0(VALU_DEP_4) | instskip(NEXT) | instid1(VALU_DEP_4)
	v_cndmask_b32_e64 v17, v17, v11, s5
	v_cndmask_b32_e64 v19, v19, v11, s4
	s_delay_alu instid0(VALU_DEP_4) | instskip(SKIP_1) | instid1(VALU_DEP_3)
	v_cndmask_b32_e64 v20, v20, v15, s4
	v_cmp_eq_u32_e64 s4, 1, v81
	v_cndmask_b32_e32 v19, v19, v4, vcc_lo
	v_cndmask_b32_e64 v18, v18, v15, s5
	s_delay_alu instid0(VALU_DEP_3)
	v_cndmask_b32_e64 v1, v1, v9, s4
	v_cndmask_b32_e64 v5, v5, v13, s4
	v_cmp_eq_u32_e64 s4, 3, v77
	v_cndmask_b32_e64 v13, v22, v6, s7
	v_cmp_eq_u32_e64 s7, 3, v81
	v_cndmask_b32_e64 v1, v1, v2, s3
	v_cndmask_b32_e64 v2, v5, v6, s3
	;; [unrolled: 1-line block ×3, first 2 shown]
	v_cmp_eq_u32_e64 s3, 4, v77
	v_cndmask_b32_e64 v6, v13, v14, s4
	v_cndmask_b32_e64 v1, v1, v10, s7
	v_cmp_eq_u32_e64 s4, 4, v81
	v_cndmask_b32_e64 v2, v2, v14, s7
	v_cndmask_b32_e64 v5, v9, v3, s3
	;; [unrolled: 3-line block ×3, first 2 shown]
	v_cndmask_b32_e64 v2, v2, v7, s4
	v_cmp_eq_u32_e64 s3, 5, v81
	v_cndmask_b32_e64 v5, v5, v11, s7
	v_cndmask_b32_e64 v3, v6, v15, s7
	v_cmp_eq_u32_e64 s7, 6, v81
	v_cmp_eq_u32_e64 s5, 6, v78
	v_cndmask_b32_e64 v1, v1, v11, s3
	v_cndmask_b32_e64 v2, v2, v15, s3
	v_cmp_eq_u32_e64 s4, 6, v77
	v_cmp_eq_u32_e64 s3, 7, v81
	v_cndmask_b32_e64 v17, v17, v4, s5
	v_cndmask_b32_e64 v1, v1, v4, s7
	;; [unrolled: 1-line block ×4, first 2 shown]
	v_cmp_eq_u32_e64 s5, 7, v78
	v_cndmask_b32_e64 v5, v5, v4, s4
	v_cndmask_b32_e64 v3, v3, v8, s4
	v_cmp_eq_u32_e64 s4, 7, v77
	v_cndmask_b32_e32 v4, v20, v8, vcc_lo
	v_cndmask_b32_e64 v1, v1, v12, s3
	v_cndmask_b32_e64 v2, v2, v16, s3
	v_cmp_lt_u32_e32 vcc_lo, 31, v0
	v_cmp_lt_u32_e64 s3, 7, v73
	v_cndmask_b32_e64 v17, v17, v12, s5
	v_cndmask_b32_e64 v19, v19, v12, s6
	;; [unrolled: 1-line block ×6, first 2 shown]
	s_or_b32 s3, vcc_lo, s3
	v_perm_b32 v4, v2, v1, 0x5040100
	v_perm_b32 v3, v3, v5, 0x5040100
	;; [unrolled: 1-line block ×4, first 2 shown]
	s_or_b32 s2, s2, s3
	s_delay_alu instid0(SALU_CYCLE_1)
	s_xor_b32 s2, s2, -1
	ds_store_b128 v76, v[1:4]
	s_waitcnt lgkmcnt(0)
	s_barrier
	buffer_gl0_inv
	s_and_saveexec_b32 s3, s2
	s_cbranch_execz .LBB1790_2
; %bb.110:
	s_load_b64 s[0:1], s[0:1], 0x68
	v_lshlrev_b32_e32 v1, 10, v0
	v_and_b32_e32 v0, 1, v0
	v_lshlrev_b32_e32 v2, 6, v75
	s_lshl_b32 s4, s36, 6
	s_delay_alu instid0(VALU_DEP_3) | instskip(NEXT) | instid1(VALU_DEP_3)
	v_and_b32_e32 v1, 0x3800, v1
	v_lshlrev_b32_e32 v0, 4, v0
	s_mul_i32 s2, s4, s34
	s_delay_alu instid0(SALU_CYCLE_1) | instskip(NEXT) | instid1(VALU_DEP_1)
	s_mul_i32 s2, s2, s37
	v_or3_b32 v0, v1, v2, v0
	s_ashr_i32 s3, s2, 31
	s_delay_alu instid0(SALU_CYCLE_1)
	s_lshl_b64 s[2:3], s[2:3], 1
	ds_load_b128 v[0:3], v0
	s_waitcnt lgkmcnt(0)
	s_add_u32 s5, s0, s2
	s_addc_u32 s3, s1, s3
	s_lshl_b32 s0, s14, 6
	s_mul_i32 s2, s4, s15
	s_ashr_i32 s1, s0, 31
	s_delay_alu instid0(SALU_CYCLE_1) | instskip(NEXT) | instid1(SALU_CYCLE_1)
	s_lshl_b64 s[0:1], s[0:1], 1
	s_add_u32 s4, s5, s0
	s_addc_u32 s5, s3, s1
	s_ashr_i32 s3, s2, 31
	s_delay_alu instid0(SALU_CYCLE_1) | instskip(NEXT) | instid1(SALU_CYCLE_1)
	s_lshl_b64 s[0:1], s[2:3], 1
	s_add_u32 s0, s4, s0
	s_addc_u32 s1, s5, s1
	global_store_b128 v74, v[0:3], s[0:1]
	s_nop 0
	s_sendmsg sendmsg(MSG_DEALLOC_VGPRS)
	s_endpgm
	.section	.rodata,"a",@progbits
	.p2align	6, 0x0
	.amdhsa_kernel _Z39paged_attention_ll4mi_QKV_mfma16_kernelI14__hip_bfloat16hLN4vllm18Fp8KVCacheDataTypeE1ES0_Li32ELi64ELi256ELb0ELi1EL8MFMAType0EEvPKT_PKT0_S9_ifPKiSB_SB_iPKfiiiPfSE_PS4_PT2_iSD_SD_
		.amdhsa_group_segment_fixed_size 17472
		.amdhsa_private_segment_fixed_size 0
		.amdhsa_kernarg_size 400
		.amdhsa_user_sgpr_count 13
		.amdhsa_user_sgpr_dispatch_ptr 0
		.amdhsa_user_sgpr_queue_ptr 0
		.amdhsa_user_sgpr_kernarg_segment_ptr 1
		.amdhsa_user_sgpr_dispatch_id 0
		.amdhsa_user_sgpr_private_segment_size 0
		.amdhsa_wavefront_size32 1
		.amdhsa_uses_dynamic_stack 0
		.amdhsa_enable_private_segment 0
		.amdhsa_system_sgpr_workgroup_id_x 1
		.amdhsa_system_sgpr_workgroup_id_y 1
		.amdhsa_system_sgpr_workgroup_id_z 1
		.amdhsa_system_sgpr_workgroup_info 0
		.amdhsa_system_vgpr_workitem_id 0
		.amdhsa_next_free_vgpr 131
		.amdhsa_next_free_sgpr 50
		.amdhsa_reserve_vcc 1
		.amdhsa_float_round_mode_32 0
		.amdhsa_float_round_mode_16_64 0
		.amdhsa_float_denorm_mode_32 3
		.amdhsa_float_denorm_mode_16_64 3
		.amdhsa_dx10_clamp 1
		.amdhsa_ieee_mode 1
		.amdhsa_fp16_overflow 0
		.amdhsa_workgroup_processor_mode 1
		.amdhsa_memory_ordered 1
		.amdhsa_forward_progress 0
		.amdhsa_shared_vgpr_count 0
		.amdhsa_exception_fp_ieee_invalid_op 0
		.amdhsa_exception_fp_denorm_src 0
		.amdhsa_exception_fp_ieee_div_zero 0
		.amdhsa_exception_fp_ieee_overflow 0
		.amdhsa_exception_fp_ieee_underflow 0
		.amdhsa_exception_fp_ieee_inexact 0
		.amdhsa_exception_int_div_zero 0
	.end_amdhsa_kernel
	.section	.text._Z39paged_attention_ll4mi_QKV_mfma16_kernelI14__hip_bfloat16hLN4vllm18Fp8KVCacheDataTypeE1ES0_Li32ELi64ELi256ELb0ELi1EL8MFMAType0EEvPKT_PKT0_S9_ifPKiSB_SB_iPKfiiiPfSE_PS4_PT2_iSD_SD_,"axG",@progbits,_Z39paged_attention_ll4mi_QKV_mfma16_kernelI14__hip_bfloat16hLN4vllm18Fp8KVCacheDataTypeE1ES0_Li32ELi64ELi256ELb0ELi1EL8MFMAType0EEvPKT_PKT0_S9_ifPKiSB_SB_iPKfiiiPfSE_PS4_PT2_iSD_SD_,comdat
.Lfunc_end1790:
	.size	_Z39paged_attention_ll4mi_QKV_mfma16_kernelI14__hip_bfloat16hLN4vllm18Fp8KVCacheDataTypeE1ES0_Li32ELi64ELi256ELb0ELi1EL8MFMAType0EEvPKT_PKT0_S9_ifPKiSB_SB_iPKfiiiPfSE_PS4_PT2_iSD_SD_, .Lfunc_end1790-_Z39paged_attention_ll4mi_QKV_mfma16_kernelI14__hip_bfloat16hLN4vllm18Fp8KVCacheDataTypeE1ES0_Li32ELi64ELi256ELb0ELi1EL8MFMAType0EEvPKT_PKT0_S9_ifPKiSB_SB_iPKfiiiPfSE_PS4_PT2_iSD_SD_
                                        ; -- End function
	.section	.AMDGPU.csdata,"",@progbits
; Kernel info:
; codeLenInByte = 8428
; NumSgprs: 52
; NumVgprs: 131
; ScratchSize: 0
; MemoryBound: 1
; FloatMode: 240
; IeeeMode: 1
; LDSByteSize: 17472 bytes/workgroup (compile time only)
; SGPRBlocks: 6
; VGPRBlocks: 16
; NumSGPRsForWavesPerEU: 52
; NumVGPRsForWavesPerEU: 131
; Occupancy: 10
; WaveLimiterHint : 1
; COMPUTE_PGM_RSRC2:SCRATCH_EN: 0
; COMPUTE_PGM_RSRC2:USER_SGPR: 13
; COMPUTE_PGM_RSRC2:TRAP_HANDLER: 0
; COMPUTE_PGM_RSRC2:TGID_X_EN: 1
; COMPUTE_PGM_RSRC2:TGID_Y_EN: 1
; COMPUTE_PGM_RSRC2:TGID_Z_EN: 1
; COMPUTE_PGM_RSRC2:TIDIG_COMP_CNT: 0
	.section	.text._Z39paged_attention_ll4mi_QKV_mfma16_kernelI14__hip_bfloat16hLN4vllm18Fp8KVCacheDataTypeE1ES0_Li32ELi64ELi256ELb0ELi2EL8MFMAType0EEvPKT_PKT0_S9_ifPKiSB_SB_iPKfiiiPfSE_PS4_PT2_iSD_SD_,"axG",@progbits,_Z39paged_attention_ll4mi_QKV_mfma16_kernelI14__hip_bfloat16hLN4vllm18Fp8KVCacheDataTypeE1ES0_Li32ELi64ELi256ELb0ELi2EL8MFMAType0EEvPKT_PKT0_S9_ifPKiSB_SB_iPKfiiiPfSE_PS4_PT2_iSD_SD_,comdat
	.protected	_Z39paged_attention_ll4mi_QKV_mfma16_kernelI14__hip_bfloat16hLN4vllm18Fp8KVCacheDataTypeE1ES0_Li32ELi64ELi256ELb0ELi2EL8MFMAType0EEvPKT_PKT0_S9_ifPKiSB_SB_iPKfiiiPfSE_PS4_PT2_iSD_SD_ ; -- Begin function _Z39paged_attention_ll4mi_QKV_mfma16_kernelI14__hip_bfloat16hLN4vllm18Fp8KVCacheDataTypeE1ES0_Li32ELi64ELi256ELb0ELi2EL8MFMAType0EEvPKT_PKT0_S9_ifPKiSB_SB_iPKfiiiPfSE_PS4_PT2_iSD_SD_
	.globl	_Z39paged_attention_ll4mi_QKV_mfma16_kernelI14__hip_bfloat16hLN4vllm18Fp8KVCacheDataTypeE1ES0_Li32ELi64ELi256ELb0ELi2EL8MFMAType0EEvPKT_PKT0_S9_ifPKiSB_SB_iPKfiiiPfSE_PS4_PT2_iSD_SD_
	.p2align	8
	.type	_Z39paged_attention_ll4mi_QKV_mfma16_kernelI14__hip_bfloat16hLN4vllm18Fp8KVCacheDataTypeE1ES0_Li32ELi64ELi256ELb0ELi2EL8MFMAType0EEvPKT_PKT0_S9_ifPKiSB_SB_iPKfiiiPfSE_PS4_PT2_iSD_SD_,@function
_Z39paged_attention_ll4mi_QKV_mfma16_kernelI14__hip_bfloat16hLN4vllm18Fp8KVCacheDataTypeE1ES0_Li32ELi64ELi256ELb0ELi2EL8MFMAType0EEvPKT_PKT0_S9_ifPKiSB_SB_iPKfiiiPfSE_PS4_PT2_iSD_SD_: ; @_Z39paged_attention_ll4mi_QKV_mfma16_kernelI14__hip_bfloat16hLN4vllm18Fp8KVCacheDataTypeE1ES0_Li32ELi64ELi256ELb0ELi2EL8MFMAType0EEvPKT_PKT0_S9_ifPKiSB_SB_iPKfiiiPfSE_PS4_PT2_iSD_SD_
; %bb.0:
	s_load_b64 s[2:3], s[0:1], 0x30
	s_mov_b32 s30, s13
	s_waitcnt lgkmcnt(0)
	s_cmp_lg_u64 s[2:3], 0
	s_cselect_b32 s8, -1, 0
	s_ashr_i32 s31, s13, 31
	s_cmp_eq_u64 s[2:3], 0
	s_cbranch_scc1 .LBB1791_3
; %bb.1:
	s_lshl_b64 s[4:5], s[30:31], 2
	s_delay_alu instid0(SALU_CYCLE_1) | instskip(SKIP_4) | instid1(SALU_CYCLE_1)
	s_add_u32 s4, s2, s4
	s_addc_u32 s5, s3, s5
	s_load_b64 s[4:5], s[4:5], 0x0
	s_waitcnt lgkmcnt(0)
	s_sub_i32 s4, s5, s4
	s_cmp_eq_u32 s4, 1
	s_cselect_b32 s4, -1, 0
	s_delay_alu instid0(SALU_CYCLE_1)
	s_and_not1_b32 vcc_lo, exec_lo, s4
	s_cbranch_vccz .LBB1791_4
.LBB1791_2:
	s_endpgm
.LBB1791_3:
.LBB1791_4:
	s_load_b64 s[4:5], s[0:1], 0x28
	s_lshl_b64 s[6:7], s[30:31], 2
	s_waitcnt lgkmcnt(0)
	s_add_u32 s4, s4, s6
	s_addc_u32 s5, s5, s7
	s_lshl_b32 s12, s14, 8
	s_load_b32 s24, s[4:5], 0x0
	s_waitcnt lgkmcnt(0)
	s_cmp_ge_i32 s12, s24
	s_cbranch_scc1 .LBB1791_2
; %bb.5:
	s_clause 0x1
	s_load_b128 s[20:23], s[0:1], 0x8
	s_load_b64 s[4:5], s[0:1], 0x20
	s_and_not1_b32 vcc_lo, exec_lo, s8
	s_cbranch_vccnz .LBB1791_7
; %bb.6:
	s_add_u32 s2, s2, s6
	s_addc_u32 s3, s3, s7
	s_load_b32 s3, s[2:3], 0x0
	s_branch .LBB1791_8
.LBB1791_7:
	s_mov_b32 s3, s30
.LBB1791_8:
	s_load_b128 s[16:19], s[0:1], 0x48
	v_and_b32_e32 v66, 15, v0
	v_bfe_u32 v65, v0, 4, 1
	s_lshl_b32 s31, s15, 1
	v_cmp_gt_u32_e32 vcc_lo, 32, v0
	v_and_b32_e32 v68, 31, v0
	v_lshlrev_b32_e32 v1, 3, v66
	v_cmp_gt_u32_e64 s2, 8, v66
	v_and_b32_e32 v76, 1, v0
	v_or_b32_e32 v75, s31, v65
	v_lshlrev_b32_e32 v74, 6, v65
	v_lshlrev_b32_e32 v73, 1, v1
	s_and_b32 s29, vcc_lo, s2
	s_delay_alu instid0(SALU_CYCLE_1)
	s_and_saveexec_b32 s2, s29
	s_cbranch_execz .LBB1791_10
; %bb.9:
	s_load_b64 s[6:7], s[0:1], 0x0
	v_lshlrev_b32_e32 v1, 6, v75
	s_waitcnt lgkmcnt(0)
	s_mul_hi_i32 s9, s3, s16
	s_mul_i32 s8, s3, s16
	v_lshlrev_b32_e32 v5, 10, v66
	s_lshl_b64 s[8:9], s[8:9], 1
	v_ashrrev_i32_e32 v2, 31, v1
	v_lshlrev_b32_e32 v6, 10, v76
	s_delay_alu instid0(VALU_DEP_3) | instskip(NEXT) | instid1(VALU_DEP_3)
	v_and_b32_e32 v5, 0x3800, v5
	v_lshlrev_b64 v[1:2], 1, v[1:2]
	s_delay_alu instid0(VALU_DEP_2) | instskip(SKIP_2) | instid1(VALU_DEP_2)
	v_or3_b32 v5, v5, v6, v74
	s_add_u32 s3, s6, s8
	s_addc_u32 s6, s7, s9
	v_add_co_u32 v1, vcc_lo, s3, v1
	s_delay_alu instid0(VALU_DEP_3) | instskip(NEXT) | instid1(VALU_DEP_2)
	v_add_co_ci_u32_e32 v2, vcc_lo, s6, v2, vcc_lo
	v_add_co_u32 v1, vcc_lo, v1, v73
	s_delay_alu instid0(VALU_DEP_2)
	v_add_co_ci_u32_e32 v2, vcc_lo, 0, v2, vcc_lo
	global_load_b128 v[1:4], v[1:2], off
	s_waitcnt vmcnt(0)
	ds_store_b128 v5, v[1:4]
.LBB1791_10:
	s_or_b32 exec_lo, exec_lo, s2
	v_and_b32_e32 v1, 0xef, v0
	s_add_i32 s2, s24, 31
	s_waitcnt lgkmcnt(0)
	s_clause 0x1
	s_load_b32 s3, s[0:1], 0x38
	s_load_b32 s19, s[0:1], 0x1c
	s_ashr_i32 s6, s2, 31
	v_add_nc_u32_e32 v1, s12, v1
	s_lshr_b32 s6, s6, 27
	s_waitcnt lgkmcnt(0)
	s_add_i32 s2, s2, s6
	s_barrier
	v_ashrrev_i32_e32 v2, 31, v1
	v_or_b32_e32 v3, 16, v1
	s_ashr_i32 s2, s2, 5
	v_cmp_gt_i32_e32 vcc_lo, s24, v1
	s_add_i32 s2, s2, -1
	v_lshrrev_b32_e32 v2, 27, v2
	buffer_gl0_inv
	s_mul_i32 s27, s15, s18
	v_lshrrev_b32_e32 v67, 5, v0
	v_add_nc_u32_e32 v4, v1, v2
	s_mul_i32 s6, s30, s3
	s_delay_alu instid0(SALU_CYCLE_1) | instskip(NEXT) | instid1(VALU_DEP_1)
	s_ashr_i32 s7, s6, 31
	v_ashrrev_i32_e32 v4, 5, v4
	v_add_nc_u32_e32 v2, v3, v2
	s_lshl_b64 s[6:7], s[6:7], 2
	s_delay_alu instid0(SALU_CYCLE_1) | instskip(NEXT) | instid1(VALU_DEP_2)
	s_add_u32 s26, s4, s6
	v_cndmask_b32_e32 v1, s2, v4, vcc_lo
	s_delay_alu instid0(VALU_DEP_2)
	v_ashrrev_i32_e32 v2, 5, v2
	v_cmp_gt_i32_e32 vcc_lo, s24, v3
	s_addc_u32 s25, s5, s7
	s_ashr_i32 s28, s27, 31
	s_add_u32 s4, s20, s27
	s_addc_u32 s5, s21, s28
	v_cndmask_b32_e32 v3, s2, v2, vcc_lo
	v_ashrrev_i32_e32 v2, 31, v1
	s_lshl_b32 s6, s14, 3
	s_delay_alu instid0(SALU_CYCLE_1) | instskip(NEXT) | instid1(VALU_DEP_2)
	s_ashr_i32 s7, s6, 31
	v_ashrrev_i32_e32 v4, 31, v3
	s_delay_alu instid0(VALU_DEP_2) | instskip(SKIP_1) | instid1(SALU_CYCLE_1)
	v_lshlrev_b64 v[1:2], 2, v[1:2]
	s_lshl_b64 s[6:7], s[6:7], 2
	s_add_u32 s6, s26, s6
	s_delay_alu instid0(VALU_DEP_2) | instskip(SKIP_1) | instid1(VALU_DEP_2)
	v_lshlrev_b64 v[3:4], 2, v[3:4]
	s_addc_u32 s7, s25, s7
	v_add_co_u32 v1, vcc_lo, s26, v1
	v_add_co_ci_u32_e32 v2, vcc_lo, s25, v2, vcc_lo
	s_delay_alu instid0(VALU_DEP_3) | instskip(NEXT) | instid1(VALU_DEP_4)
	v_add_co_u32 v3, vcc_lo, s26, v3
	v_add_co_ci_u32_e32 v4, vcc_lo, s25, v4, vcc_lo
	s_clause 0x1
	global_load_b32 v5, v[1:2], off
	global_load_b32 v6, v[3:4], off
	s_or_b32 s3, s12, 32
	s_delay_alu instid0(SALU_CYCLE_1) | instskip(SKIP_2) | instid1(SALU_CYCLE_1)
	s_ashr_i32 s8, s3, 5
	s_cmp_lt_i32 s3, s24
	s_cselect_b32 s8, s8, s2
	s_ashr_i32 s9, s8, 31
	s_delay_alu instid0(SALU_CYCLE_1) | instskip(NEXT) | instid1(SALU_CYCLE_1)
	s_lshl_b64 s[8:9], s[8:9], 2
	s_add_u32 s8, s26, s8
	s_addc_u32 s9, s25, s9
	s_or_b32 s3, s12, 64
	s_delay_alu instid0(SALU_CYCLE_1) | instskip(SKIP_2) | instid1(SALU_CYCLE_1)
	s_ashr_i32 s10, s3, 5
	s_cmp_lt_i32 s3, s24
	s_cselect_b32 s10, s10, s2
	s_ashr_i32 s11, s10, 31
	s_delay_alu instid0(SALU_CYCLE_1) | instskip(NEXT) | instid1(SALU_CYCLE_1)
	s_lshl_b64 s[10:11], s[10:11], 2
	s_add_u32 s10, s26, s10
	s_addc_u32 s11, s25, s11
	;; [unrolled: 10-line block ×5, first 2 shown]
	s_clause 0x5
	s_load_b32 s20, s[6:7], 0x0
	s_load_b32 s3, s[8:9], 0x0
	;; [unrolled: 1-line block ×6, first 2 shown]
	s_or_b32 s6, s12, 0xc0
	s_delay_alu instid0(SALU_CYCLE_1) | instskip(SKIP_2) | instid1(SALU_CYCLE_1)
	s_ashr_i32 s7, s6, 5
	s_cmp_lt_i32 s6, s24
	s_cselect_b32 s10, s7, s2
	s_ashr_i32 s11, s10, 31
	s_delay_alu instid0(SALU_CYCLE_1) | instskip(NEXT) | instid1(SALU_CYCLE_1)
	s_lshl_b64 s[10:11], s[10:11], 2
	s_add_u32 s34, s26, s10
	s_addc_u32 s35, s25, s11
	s_or_b32 s11, s12, 0xe0
	s_delay_alu instid0(SALU_CYCLE_1) | instskip(SKIP_2) | instid1(SALU_CYCLE_1)
	s_ashr_i32 s21, s11, 5
	s_cmp_lt_i32 s11, s24
	s_cselect_b32 s36, s21, s2
	s_ashr_i32 s37, s36, 31
	s_waitcnt vmcnt(1)
	v_mad_i64_i32 v[1:2], null, v5, s17, s[4:5]
	s_waitcnt vmcnt(0)
	v_mad_i64_i32 v[3:4], null, v6, s17, s[4:5]
	s_mov_b32 s4, 0
	s_delay_alu instid0(SALU_CYCLE_1)
	s_mov_b32 s5, s4
	s_mov_b32 s6, s4
	;; [unrolled: 1-line block ×7, first 2 shown]
	s_delay_alu instid0(SALU_CYCLE_1) | instskip(SKIP_2) | instid1(VALU_DEP_3)
	v_dual_mov_b32 v108, s11 :: v_dual_lshlrev_b32 v5, 4, v66
	v_dual_mov_b32 v104, s7 :: v_dual_lshlrev_b32 v71, 6, v76
	v_mov_b32_e32 v102, s5
	v_add_co_u32 v1, vcc_lo, v1, v5
	v_add_co_ci_u32_e32 v2, vcc_lo, 0, v2, vcc_lo
	v_add_co_u32 v3, vcc_lo, v3, v5
	v_add_co_ci_u32_e32 v4, vcc_lo, 0, v4, vcc_lo
	s_clause 0x7
	global_load_b128 v[49:52], v[1:2], off
	global_load_b128 v[53:56], v[1:2], off offset:512
	global_load_b128 v[77:80], v[3:4], off offset:256
	global_load_b128 v[81:84], v[3:4], off offset:768
	global_load_b128 v[85:88], v[1:2], off offset:1024
	global_load_b128 v[89:92], v[1:2], off offset:1536
	global_load_b128 v[93:96], v[3:4], off offset:1280
	global_load_b128 v[97:100], v[3:4], off offset:1792
	v_lshlrev_b32_e32 v1, 5, v66
	v_dual_mov_b32 v107, s10 :: v_dual_mov_b32 v106, s9
	v_mov_b32_e32 v105, s8
	v_mov_b32_e32 v103, s6
	;; [unrolled: 1-line block ×3, first 2 shown]
	s_lshl_b64 s[4:5], s[36:37], 2
	v_lshl_or_b32 v1, v67, 9, v1
	s_add_u32 s4, s26, s4
	s_addc_u32 s5, s25, s5
	s_load_b32 s2, s[34:35], 0x0
	ds_load_b128 v[109:112], v71
	ds_load_b128 v[113:116], v71 offset:1024
	s_load_b32 s4, s[4:5], 0x0
	s_add_u32 s6, s22, s27
	s_addc_u32 s7, s23, s28
	v_add_co_u32 v9, s6, s6, v1
	s_delay_alu instid0(VALU_DEP_1) | instskip(SKIP_1) | instid1(VALU_DEP_1)
	v_add_co_ci_u32_e64 v10, null, s7, 0, s6
	s_waitcnt lgkmcnt(0)
	v_mad_i64_i32 v[1:2], null, s20, s17, v[9:10]
	v_mad_i64_i32 v[3:4], null, s3, s17, v[9:10]
	;; [unrolled: 1-line block ×7, first 2 shown]
	s_clause 0x9
	global_load_b128 v[57:60], v[1:2], off
	global_load_b128 v[61:64], v[1:2], off offset:16
	global_load_b128 v[41:44], v[3:4], off
	global_load_b128 v[45:48], v[3:4], off offset:16
	global_load_b128 v[33:36], v[5:6], off
	global_load_b128 v[37:40], v[5:6], off offset:16
	global_load_b128 v[25:28], v[7:8], off
	global_load_b128 v[29:32], v[7:8], off offset:16
	global_load_b128 v[1:4], v[11:12], off
	global_load_b128 v[5:8], v[11:12], off offset:16
	v_mad_i64_i32 v[69:70], null, s4, s17, v[9:10]
	s_clause 0x3
	global_load_b128 v[9:12], v[13:14], off
	global_load_b128 v[13:16], v[13:14], off offset:16
	global_load_b128 v[17:20], v[21:22], off
	global_load_b128 v[21:24], v[21:22], off offset:16
	s_waitcnt vmcnt(20)
	v_wmma_f32_16x16x16_bf16 v[117:124], v[49:56], v[109:116], v[101:108]
	s_clause 0x1
	global_load_b128 v[49:52], v[69:70], off
	global_load_b128 v[53:56], v[69:70], off offset:16
	s_waitcnt vmcnt(20)
	v_wmma_f32_16x16x16_bf16 v[101:108], v[77:84], v[109:116], v[101:108]
	ds_load_b128 v[77:80], v71 offset:2048
	ds_load_b128 v[81:84], v71 offset:3072
	v_mbcnt_lo_u32_b32 v70, -1, 0
	s_waitcnt vmcnt(0) lgkmcnt(0)
	s_barrier
	buffer_gl0_inv
	v_xor_b32_e32 v71, 16, v70
	s_delay_alu instid0(VALU_DEP_1) | instskip(SKIP_4) | instid1(VALU_DEP_2)
	v_cmp_gt_i32_e32 vcc_lo, 32, v71
	v_cndmask_b32_e32 v70, v70, v71, vcc_lo
	v_wmma_f32_16x16x16_bf16 v[117:124], v[85:92], v[77:84], v[117:124]
	v_and_b32_e32 v69, 0xe0, v0
	v_wmma_f32_16x16x16_bf16 v[101:108], v[93:100], v[77:84], v[101:108]
	v_dual_mul_f32 v94, s19, v118 :: v_dual_add_nc_u32 v69, s12, v69
	s_delay_alu instid0(VALU_DEP_2) | instskip(SKIP_1) | instid1(VALU_DEP_3)
	v_dual_mul_f32 v96, s19, v108 :: v_dual_mul_f32 v95, s19, v117
	v_dual_mul_f32 v84, s19, v120 :: v_dual_mul_f32 v93, s19, v119
	v_or_b32_e32 v69, v69, v65
	v_dual_mul_f32 v82, s19, v122 :: v_dual_mul_f32 v83, s19, v121
	v_mul_f32_e32 v100, s19, v104
	v_mul_f32_e32 v80, s19, v124
	s_delay_alu instid0(VALU_DEP_4)
	v_or_b32_e32 v71, 2, v69
	v_or_b32_e32 v72, 4, v69
	;; [unrolled: 1-line block ×3, first 2 shown]
	v_cmp_gt_i32_e64 s2, s24, v69
	v_or_b32_e32 v110, 8, v69
	v_cmp_gt_i32_e32 vcc_lo, s24, v71
	v_or_b32_e32 v85, 10, v69
	v_cmp_gt_i32_e64 s3, s24, v72
	v_cndmask_b32_e64 v95, 0xff7fffff, v95, s2
	v_cmp_gt_i32_e64 s4, s24, v109
	v_cndmask_b32_e32 v94, 0xff7fffff, v94, vcc_lo
	v_or_b32_e32 v86, 12, v69
	v_or_b32_e32 v87, 14, v69
	v_mul_f32_e32 v72, s19, v101
	v_cndmask_b32_e64 v93, 0xff7fffff, v93, s3
	v_cndmask_b32_e64 v84, 0xff7fffff, v84, s4
	v_max3_f32 v94, v95, 0xff7fffff, v94
	v_cmp_gt_i32_e64 s5, s24, v110
	v_cmp_gt_i32_e64 s6, s24, v85
	v_or_b32_e32 v88, 16, v69
	v_or_b32_e32 v89, 18, v69
	v_dual_mul_f32 v81, s19, v123 :: v_dual_mul_f32 v98, s19, v106
	v_cndmask_b32_e64 v83, 0xff7fffff, v83, s5
	v_cndmask_b32_e64 v82, 0xff7fffff, v82, s6
	v_max3_f32 v84, v94, v93, v84
	v_cmp_gt_i32_e64 s7, s24, v86
	v_cmp_gt_i32_e64 s8, s24, v87
	v_or_b32_e32 v90, 20, v69
	v_or_b32_e32 v91, 22, v69
	v_or_b32_e32 v92, 24, v69
	v_or_b32_e32 v77, 26, v69
	v_or_b32_e32 v78, 28, v69
	v_or_b32_e32 v79, 30, v69
	v_mul_f32_e32 v69, s19, v102
	v_cndmask_b32_e64 v81, 0xff7fffff, v81, s7
	v_cndmask_b32_e64 v80, 0xff7fffff, v80, s8
	v_max3_f32 v82, v84, v83, v82
	v_cmp_gt_i32_e64 s9, s24, v88
	v_cmp_gt_i32_e64 s10, s24, v89
	v_mul_f32_e32 v71, s19, v103
	v_cmp_gt_i32_e64 s11, s24, v90
	v_max3_f32 v80, v82, v81, v80
	v_cndmask_b32_e64 v72, 0xff7fffff, v72, s9
	v_cndmask_b32_e64 v69, 0xff7fffff, v69, s10
	v_cmp_gt_i32_e64 s12, s24, v91
	v_mul_f32_e32 v99, s19, v105
	v_cndmask_b32_e64 v71, 0xff7fffff, v71, s11
	v_cmp_gt_i32_e64 s13, s24, v92
	v_max3_f32 v69, v80, v72, v69
	v_cndmask_b32_e64 v81, 0xff7fffff, v100, s12
	v_cmp_gt_i32_e64 s15, s24, v77
	v_mul_f32_e32 v97, s19, v107
	v_cndmask_b32_e64 v72, 0xff7fffff, v99, s13
	v_cmp_gt_i32_e64 s16, s24, v78
	v_max3_f32 v69, v69, v71, v81
	v_cndmask_b32_e64 v77, 0xff7fffff, v98, s15
	v_cmp_gt_i32_e64 s17, s24, v79
	v_lshlrev_b32_e32 v91, 2, v70
	v_cndmask_b32_e64 v71, 0xff7fffff, v97, s16
	s_delay_alu instid0(VALU_DEP_4) | instskip(NEXT) | instid1(VALU_DEP_4)
	v_max3_f32 v69, v69, v72, v77
	v_cndmask_b32_e64 v78, 0xff7fffff, v96, s17
	s_delay_alu instid0(VALU_DEP_1) | instskip(SKIP_3) | instid1(VALU_DEP_1)
	v_max3_f32 v69, v69, v71, v78
	ds_bpermute_b32 v70, v91, v69
	s_waitcnt lgkmcnt(0)
	v_max_f32_e32 v70, v70, v70
	v_max_f32_e32 v69, v69, v70
	s_delay_alu instid0(VALU_DEP_1)
	v_fma_f32 v70, s19, v117, -v69
	v_fma_f32 v71, s19, v118, -v69
	;; [unrolled: 1-line block ×5, first 2 shown]
	v_mul_f32_e32 v70, 0x3fb8aa3b, v70
	s_delay_alu instid0(VALU_DEP_3) | instskip(NEXT) | instid1(VALU_DEP_3)
	v_dual_mul_f32 v72, 0x3fb8aa3b, v72 :: v_dual_mul_f32 v77, 0x3fb8aa3b, v77
	v_mul_f32_e32 v78, 0x3fb8aa3b, v78
	s_delay_alu instid0(VALU_DEP_3) | instskip(NEXT) | instid1(VALU_DEP_2)
	v_exp_f32_e32 v70, v70
	v_exp_f32_e32 v72, v72
	s_delay_alu instid0(VALU_DEP_2) | instskip(NEXT) | instid1(VALU_DEP_1)
	v_exp_f32_e32 v79, v77
	v_exp_f32_e32 v78, v78
	v_cndmask_b32_e64 v81, 0, v70, s2
	v_fma_f32 v70, s19, v122, -v69
	v_mul_f32_e32 v71, 0x3fb8aa3b, v71
	s_delay_alu instid0(TRANS32_DEP_3)
	v_cndmask_b32_e64 v85, 0, v72, s3
	s_waitcnt_depctr 0xfff
	v_cndmask_b32_e64 v87, 0, v79, s4
	v_cndmask_b32_e64 v88, 0, v78, s5
	v_mul_f32_e32 v70, 0x3fb8aa3b, v70
	v_exp_f32_e32 v71, v71
	s_mov_b32 s2, exec_lo
	s_delay_alu instid0(VALU_DEP_1) | instskip(SKIP_4) | instid1(VALU_DEP_2)
	v_exp_f32_e32 v70, v70
	s_waitcnt_depctr 0xfff
	v_cndmask_b32_e32 v77, 0, v71, vcc_lo
	v_add_f32_e32 v71, 0, v81
	v_cndmask_b32_e64 v89, 0, v70, s6
	v_add_f32_e32 v71, v71, v77
	s_delay_alu instid0(VALU_DEP_1) | instskip(NEXT) | instid1(VALU_DEP_1)
	v_add_f32_e32 v71, v71, v85
	v_add_f32_e32 v71, v71, v87
	s_delay_alu instid0(VALU_DEP_1) | instskip(NEXT) | instid1(VALU_DEP_1)
	v_add_f32_e32 v70, v71, v88
	v_add_f32_e32 v70, v70, v89
	v_fma_f32 v72, s19, v124, -v69
	v_fma_f32 v71, s19, v103, -v69
	;; [unrolled: 1-line block ×5, first 2 shown]
	s_delay_alu instid0(VALU_DEP_4) | instskip(NEXT) | instid1(VALU_DEP_4)
	v_dual_mul_f32 v72, 0x3fb8aa3b, v72 :: v_dual_mul_f32 v71, 0x3fb8aa3b, v71
	v_mul_f32_e32 v80, 0x3fb8aa3b, v80
	v_fma_f32 v83, s19, v106, -v69
	s_delay_alu instid0(VALU_DEP_4) | instskip(NEXT) | instid1(VALU_DEP_4)
	v_mul_f32_e32 v78, 0x3fb8aa3b, v78
	v_exp_f32_e32 v72, v72
	v_exp_f32_e32 v82, v71
	;; [unrolled: 1-line block ×3, first 2 shown]
	s_delay_alu instid0(VALU_DEP_1)
	v_exp_f32_e32 v78, v78
	v_cndmask_b32_e64 v90, 0, v72, s8
	v_fma_f32 v72, s19, v105, -v69
	s_waitcnt_depctr 0xfff
	v_cndmask_b32_e64 v86, 0, v80, s7
	v_fma_f32 v80, s19, v104, -v69
	v_mul_f32_e32 v72, 0x3fb8aa3b, v72
	s_delay_alu instid0(VALU_DEP_3) | instskip(NEXT) | instid1(VALU_DEP_3)
	v_add_f32_e32 v70, v70, v86
	v_mul_f32_e32 v80, 0x3fb8aa3b, v80
	s_delay_alu instid0(VALU_DEP_3) | instskip(SKIP_2) | instid1(VALU_DEP_3)
	v_exp_f32_e32 v84, v72
	v_cndmask_b32_e64 v72, 0, v82, s11
	v_mul_f32_e32 v79, 0x3fb8aa3b, v79
	v_exp_f32_e32 v80, v80
	s_delay_alu instid0(VALU_DEP_1) | instskip(SKIP_4) | instid1(VALU_DEP_2)
	v_exp_f32_e32 v79, v79
	s_waitcnt_depctr 0xfff
	v_cndmask_b32_e64 v71, 0, v79, s9
	v_add_f32_e32 v79, v70, v90
	v_cndmask_b32_e64 v70, 0, v78, s10
	v_add_f32_e32 v78, v79, v71
	v_fma_f32 v79, s19, v107, -v69
	s_delay_alu instid0(VALU_DEP_2) | instskip(SKIP_1) | instid1(VALU_DEP_2)
	v_add_f32_e32 v82, v78, v70
	v_cndmask_b32_e64 v78, 0, v80, s12
	v_dual_mul_f32 v79, 0x3fb8aa3b, v79 :: v_dual_add_f32 v80, v82, v72
	v_fma_f32 v82, s19, v108, -v69
	v_mul_f32_e32 v83, 0x3fb8aa3b, v83
	s_delay_alu instid0(VALU_DEP_3)
	v_exp_f32_e32 v92, v79
	v_cndmask_b32_e64 v79, 0, v84, s13
	v_add_f32_e32 v84, v80, v78
	v_mul_f32_e32 v82, 0x3fb8aa3b, v82
	v_exp_f32_e32 v83, v83
	s_waitcnt_depctr 0xfff
	v_cndmask_b32_e64 v80, 0, v83, s15
	v_add_f32_e32 v83, v84, v79
	v_exp_f32_e32 v84, v82
	v_cndmask_b32_e64 v82, 0, v92, s16
	s_delay_alu instid0(VALU_DEP_2) | instskip(NEXT) | instid1(VALU_DEP_1)
	v_add_f32_e32 v83, v83, v80
	v_add_f32_e32 v92, v83, v82
	s_waitcnt_depctr 0xfff
	v_cndmask_b32_e64 v83, 0, v84, s17
	s_delay_alu instid0(VALU_DEP_1)
	v_add_f32_e32 v84, v92, v83
	ds_bpermute_b32 v91, v91, v84
	v_cmpx_gt_u32_e32 16, v68
	s_cbranch_execz .LBB1791_12
; %bb.11:
	v_mul_u32_u24_e32 v68, 0x44, v67
	s_waitcnt lgkmcnt(0)
	v_add_f32_e32 v84, v84, v91
	s_delay_alu instid0(VALU_DEP_2) | instskip(NEXT) | instid1(VALU_DEP_1)
	v_lshl_add_u32 v68, v66, 2, v68
	v_add_nc_u32_e32 v68, 0x4000, v68
	ds_store_2addr_b32 v68, v69, v84 offset1:136
.LBB1791_12:
	s_or_b32 exec_lo, exec_lo, s2
	v_lshlrev_b32_e32 v68, 2, v66
	s_waitcnt lgkmcnt(0)
	s_barrier
	buffer_gl0_inv
	v_cmp_eq_u32_e32 vcc_lo, 1, v67
	v_add_nc_u32_e32 v84, 0x4000, v68
	v_cmp_eq_u32_e64 s2, 2, v67
	v_cmp_eq_u32_e64 s4, 7, v67
	ds_load_2addr_b32 v[91:92], v84 offset1:17
	ds_load_2addr_b32 v[93:94], v84 offset0:34 offset1:51
	ds_load_2addr_b32 v[95:96], v84 offset0:68 offset1:85
	;; [unrolled: 1-line block ×4, first 2 shown]
	s_waitcnt lgkmcnt(4)
	v_max3_f32 v68, v91, 0xff7fffff, v92
	s_waitcnt lgkmcnt(3)
	s_delay_alu instid0(VALU_DEP_1) | instskip(SKIP_1) | instid1(VALU_DEP_1)
	v_max3_f32 v68, v68, v93, v94
	s_waitcnt lgkmcnt(2)
	v_max3_f32 v68, v68, v95, v96
	s_waitcnt lgkmcnt(1)
	s_delay_alu instid0(VALU_DEP_1) | instskip(NEXT) | instid1(VALU_DEP_1)
	v_max3_f32 v68, v68, v97, v98
	v_sub_f32_e32 v69, v91, v68
	v_sub_f32_e32 v93, v93, v68
	;; [unrolled: 1-line block ×3, first 2 shown]
	s_delay_alu instid0(VALU_DEP_3) | instskip(NEXT) | instid1(VALU_DEP_3)
	v_mul_f32_e32 v69, 0x3fb8aa3b, v69
	v_mul_f32_e32 v103, 0x3fb8aa3b, v93
	s_delay_alu instid0(VALU_DEP_3) | instskip(NEXT) | instid1(VALU_DEP_3)
	v_mul_f32_e32 v105, 0x3fb8aa3b, v95
	v_exp_f32_e32 v102, v69
	v_sub_f32_e32 v69, v94, v68
	v_sub_f32_e32 v101, v92, v68
	ds_load_2addr_b32 v[91:92], v84 offset0:170 offset1:187
	v_exp_f32_e32 v103, v103
	v_mul_f32_e32 v104, 0x3fb8aa3b, v69
	v_mul_f32_e32 v101, 0x3fb8aa3b, v101
	s_waitcnt lgkmcnt(1)
	v_fma_f32 v69, v102, v99, 0
	v_sub_f32_e32 v99, v96, v68
	s_delay_alu instid0(VALU_DEP_3) | instskip(SKIP_4) | instid1(VALU_DEP_1)
	v_exp_f32_e32 v101, v101
	v_exp_f32_e32 v104, v104
	s_waitcnt_depctr 0xfff
	v_fmac_f32_e32 v69, v101, v100
	s_waitcnt lgkmcnt(0)
	v_fmac_f32_e32 v69, v103, v91
	ds_load_2addr_b32 v[93:94], v84 offset0:204 offset1:221
	ds_load_2addr_b32 v[95:96], v84 offset0:238 offset1:255
	v_dual_sub_f32 v84, v97, v68 :: v_dual_mul_f32 v97, 0x3fb8aa3b, v99
	v_exp_f32_e32 v99, v105
	v_sub_f32_e32 v91, v98, v68
	v_fmac_f32_e32 v69, v104, v92
	s_delay_alu instid0(VALU_DEP_3)
	v_mul_f32_e32 v84, 0x3fb8aa3b, v84
	v_exp_f32_e32 v97, v97
	s_waitcnt lgkmcnt(0)
	v_mul_f32_e32 v91, 0x3fb8aa3b, v91
	s_barrier
	v_exp_f32_e32 v84, v84
	buffer_gl0_inv
	v_exp_f32_e32 v91, v91
	v_fmac_f32_e32 v69, v99, v93
	s_delay_alu instid0(VALU_DEP_1) | instskip(NEXT) | instid1(VALU_DEP_1)
	v_fmac_f32_e32 v69, v97, v94
	v_fmac_f32_e32 v69, v84, v95
	s_waitcnt_depctr 0xfff
	v_fmac_f32_e32 v69, v91, v96
	s_delay_alu instid0(VALU_DEP_1) | instskip(NEXT) | instid1(VALU_DEP_1)
	v_add_f32_e32 v92, 0x358637bd, v69
	v_div_scale_f32 v93, null, v92, v92, 1.0
	v_div_scale_f32 v96, s3, 1.0, v92, 1.0
	s_delay_alu instid0(VALU_DEP_2) | instskip(SKIP_2) | instid1(VALU_DEP_1)
	v_rcp_f32_e32 v94, v93
	s_waitcnt_depctr 0xfff
	v_fma_f32 v95, -v93, v94, 1.0
	v_dual_fmac_f32 v94, v95, v94 :: v_dual_cndmask_b32 v95, v102, v101
	v_cmp_eq_u32_e32 vcc_lo, 3, v67
	s_delay_alu instid0(VALU_DEP_2) | instskip(NEXT) | instid1(VALU_DEP_3)
	v_mul_f32_e32 v98, v96, v94
	v_cndmask_b32_e64 v95, v95, v103, s2
	v_cmp_eq_u32_e64 s2, 4, v67
	s_delay_alu instid0(VALU_DEP_3) | instskip(NEXT) | instid1(VALU_DEP_3)
	v_fma_f32 v100, -v93, v98, v96
	v_cndmask_b32_e32 v95, v95, v104, vcc_lo
	v_cmp_eq_u32_e32 vcc_lo, 5, v67
	s_delay_alu instid0(VALU_DEP_3) | instskip(NEXT) | instid1(VALU_DEP_3)
	v_fmac_f32_e32 v98, v100, v94
	v_cndmask_b32_e64 v95, v95, v99, s2
	v_cmp_eq_u32_e64 s2, 6, v67
	s_delay_alu instid0(VALU_DEP_3) | instskip(NEXT) | instid1(VALU_DEP_3)
	v_fma_f32 v93, -v93, v98, v96
	v_cndmask_b32_e32 v95, v95, v97, vcc_lo
	s_mov_b32 vcc_lo, s3
	s_delay_alu instid0(VALU_DEP_2) | instskip(NEXT) | instid1(VALU_DEP_2)
	v_div_fmas_f32 v93, v93, v94, v98
	v_cndmask_b32_e64 v84, v95, v84, s2
	s_mov_b32 s2, exec_lo
	s_delay_alu instid0(VALU_DEP_2) | instskip(NEXT) | instid1(VALU_DEP_2)
	v_div_fixup_f32 v92, v93, v92, 1.0
	v_cndmask_b32_e64 v84, v84, v91, s4
	s_delay_alu instid0(VALU_DEP_1) | instskip(NEXT) | instid1(VALU_DEP_1)
	v_mul_f32_e32 v84, v84, v92
	v_mul_f32_e32 v92, v84, v81
	;; [unrolled: 1-line block ×6, first 2 shown]
	v_and_b32_e32 v93, 0x7f800000, v92
	v_mul_f32_e32 v91, v84, v87
	v_mul_f32_e32 v88, v84, v85
	;; [unrolled: 1-line block ×3, first 2 shown]
                                        ; implicit-def: $vgpr77
	s_delay_alu instid0(VALU_DEP_4)
	v_cmpx_ne_u32_e32 0x7f800000, v93
	s_xor_b32 s2, exec_lo, s2
; %bb.13:
	v_bfe_u32 v77, v92, 16, 1
	s_delay_alu instid0(VALU_DEP_1)
	v_add3_u32 v77, v92, v77, 0x7fff
                                        ; implicit-def: $vgpr92
; %bb.14:
	s_and_not1_saveexec_b32 s2, s2
; %bb.15:
	v_and_b32_e32 v77, 0xffff, v92
	v_or_b32_e32 v85, 0x10000, v92
	s_delay_alu instid0(VALU_DEP_2) | instskip(NEXT) | instid1(VALU_DEP_2)
	v_cmp_eq_u32_e32 vcc_lo, 0, v77
	v_cndmask_b32_e32 v77, v85, v92, vcc_lo
; %bb.16:
	s_or_b32 exec_lo, exec_lo, s2
	v_and_b32_e32 v85, 0x7f800000, v87
	s_delay_alu instid0(VALU_DEP_1) | instskip(SKIP_1) | instid1(SALU_CYCLE_1)
	v_cmp_ne_u32_e32 vcc_lo, 0x7f800000, v85
                                        ; implicit-def: $vgpr85
	s_and_saveexec_b32 s2, vcc_lo
	s_xor_b32 s2, exec_lo, s2
; %bb.17:
	v_bfe_u32 v85, v87, 16, 1
	s_delay_alu instid0(VALU_DEP_1)
	v_add3_u32 v85, v87, v85, 0x7fff
                                        ; implicit-def: $vgpr87
; %bb.18:
	s_and_not1_saveexec_b32 s2, s2
; %bb.19:
	v_and_b32_e32 v85, 0xffff, v87
	v_or_b32_e32 v92, 0x10000, v87
	s_delay_alu instid0(VALU_DEP_2) | instskip(NEXT) | instid1(VALU_DEP_2)
	v_cmp_eq_u32_e32 vcc_lo, 0, v85
	v_cndmask_b32_e32 v85, v92, v87, vcc_lo
; %bb.20:
	s_or_b32 exec_lo, exec_lo, s2
	v_and_b32_e32 v87, 0x7f800000, v88
	s_delay_alu instid0(VALU_DEP_1) | instskip(SKIP_1) | instid1(SALU_CYCLE_1)
	v_cmp_ne_u32_e32 vcc_lo, 0x7f800000, v87
                                        ; implicit-def: $vgpr87
	s_and_saveexec_b32 s2, vcc_lo
	s_xor_b32 s2, exec_lo, s2
; %bb.21:
	v_bfe_u32 v87, v88, 16, 1
	s_delay_alu instid0(VALU_DEP_1)
	v_add3_u32 v87, v88, v87, 0x7fff
                                        ; implicit-def: $vgpr88
; %bb.22:
	s_and_not1_saveexec_b32 s2, s2
; %bb.23:
	v_and_b32_e32 v87, 0xffff, v88
	v_or_b32_e32 v92, 0x10000, v88
	s_delay_alu instid0(VALU_DEP_2) | instskip(NEXT) | instid1(VALU_DEP_2)
	v_cmp_eq_u32_e32 vcc_lo, 0, v87
	v_cndmask_b32_e32 v87, v92, v88, vcc_lo
; %bb.24:
	s_or_b32 exec_lo, exec_lo, s2
	v_and_b32_e32 v88, 0x7f800000, v91
	s_delay_alu instid0(VALU_DEP_1) | instskip(SKIP_1) | instid1(SALU_CYCLE_1)
	v_cmp_ne_u32_e32 vcc_lo, 0x7f800000, v88
                                        ; implicit-def: $vgpr88
	s_and_saveexec_b32 s2, vcc_lo
	s_xor_b32 s2, exec_lo, s2
; %bb.25:
	v_bfe_u32 v88, v91, 16, 1
	s_delay_alu instid0(VALU_DEP_1)
	v_add3_u32 v88, v91, v88, 0x7fff
                                        ; implicit-def: $vgpr91
; %bb.26:
	s_and_not1_saveexec_b32 s2, s2
; %bb.27:
	v_and_b32_e32 v88, 0xffff, v91
	v_or_b32_e32 v92, 0x10000, v91
	s_delay_alu instid0(VALU_DEP_2) | instskip(NEXT) | instid1(VALU_DEP_2)
	v_cmp_eq_u32_e32 vcc_lo, 0, v88
	v_cndmask_b32_e32 v88, v92, v91, vcc_lo
; %bb.28:
	s_or_b32 exec_lo, exec_lo, s2
	v_and_b32_e32 v91, 0x7f800000, v90
	s_delay_alu instid0(VALU_DEP_1) | instskip(SKIP_1) | instid1(SALU_CYCLE_1)
	v_cmp_ne_u32_e32 vcc_lo, 0x7f800000, v91
                                        ; implicit-def: $vgpr91
	s_and_saveexec_b32 s2, vcc_lo
	s_xor_b32 s2, exec_lo, s2
; %bb.29:
	v_bfe_u32 v91, v90, 16, 1
	s_delay_alu instid0(VALU_DEP_1)
	v_add3_u32 v91, v90, v91, 0x7fff
                                        ; implicit-def: $vgpr90
; %bb.30:
	s_and_not1_saveexec_b32 s2, s2
; %bb.31:
	v_and_b32_e32 v91, 0xffff, v90
	v_or_b32_e32 v92, 0x10000, v90
	s_delay_alu instid0(VALU_DEP_2) | instskip(NEXT) | instid1(VALU_DEP_2)
	v_cmp_eq_u32_e32 vcc_lo, 0, v91
	v_cndmask_b32_e32 v91, v92, v90, vcc_lo
; %bb.32:
	s_or_b32 exec_lo, exec_lo, s2
	v_and_b32_e32 v90, 0x7f800000, v89
	s_delay_alu instid0(VALU_DEP_1) | instskip(SKIP_1) | instid1(SALU_CYCLE_1)
	v_cmp_ne_u32_e32 vcc_lo, 0x7f800000, v90
                                        ; implicit-def: $vgpr90
	s_and_saveexec_b32 s2, vcc_lo
	s_xor_b32 s2, exec_lo, s2
; %bb.33:
	v_bfe_u32 v90, v89, 16, 1
	s_delay_alu instid0(VALU_DEP_1)
	v_add3_u32 v90, v89, v90, 0x7fff
                                        ; implicit-def: $vgpr89
; %bb.34:
	s_and_not1_saveexec_b32 s2, s2
; %bb.35:
	v_and_b32_e32 v90, 0xffff, v89
	v_or_b32_e32 v92, 0x10000, v89
	s_delay_alu instid0(VALU_DEP_2) | instskip(NEXT) | instid1(VALU_DEP_2)
	v_cmp_eq_u32_e32 vcc_lo, 0, v90
	v_cndmask_b32_e32 v90, v92, v89, vcc_lo
; %bb.36:
	s_or_b32 exec_lo, exec_lo, s2
	v_and_b32_e32 v89, 0x7f800000, v86
	s_delay_alu instid0(VALU_DEP_1) | instskip(SKIP_1) | instid1(SALU_CYCLE_1)
	v_cmp_ne_u32_e32 vcc_lo, 0x7f800000, v89
                                        ; implicit-def: $vgpr89
	s_and_saveexec_b32 s2, vcc_lo
	s_xor_b32 s2, exec_lo, s2
; %bb.37:
	v_bfe_u32 v89, v86, 16, 1
	s_delay_alu instid0(VALU_DEP_1)
	v_add3_u32 v89, v86, v89, 0x7fff
                                        ; implicit-def: $vgpr86
; %bb.38:
	s_and_not1_saveexec_b32 s2, s2
; %bb.39:
	v_and_b32_e32 v89, 0xffff, v86
	v_or_b32_e32 v92, 0x10000, v86
	s_delay_alu instid0(VALU_DEP_2) | instskip(NEXT) | instid1(VALU_DEP_2)
	v_cmp_eq_u32_e32 vcc_lo, 0, v89
	v_cndmask_b32_e32 v89, v92, v86, vcc_lo
; %bb.40:
	s_or_b32 exec_lo, exec_lo, s2
	v_and_b32_e32 v86, 0x7f800000, v81
	s_delay_alu instid0(VALU_DEP_1) | instskip(SKIP_1) | instid1(SALU_CYCLE_1)
	v_cmp_ne_u32_e32 vcc_lo, 0x7f800000, v86
                                        ; implicit-def: $vgpr86
	s_and_saveexec_b32 s2, vcc_lo
	s_xor_b32 s2, exec_lo, s2
; %bb.41:
	v_bfe_u32 v86, v81, 16, 1
	s_delay_alu instid0(VALU_DEP_1)
	v_add3_u32 v86, v81, v86, 0x7fff
                                        ; implicit-def: $vgpr81
; %bb.42:
	s_and_not1_saveexec_b32 s2, s2
; %bb.43:
	v_and_b32_e32 v86, 0xffff, v81
	v_or_b32_e32 v92, 0x10000, v81
	s_delay_alu instid0(VALU_DEP_2) | instskip(NEXT) | instid1(VALU_DEP_2)
	v_cmp_eq_u32_e32 vcc_lo, 0, v86
	v_cndmask_b32_e32 v86, v92, v81, vcc_lo
; %bb.44:
	s_or_b32 exec_lo, exec_lo, s2
	s_load_b64 s[34:35], s[0:1], 0x94
	v_lshlrev_b32_e32 v93, 4, v65
	s_delay_alu instid0(VALU_DEP_2)
	v_perm_b32 v92, v86, v89, 0x7060302
	v_dual_mul_f32 v80, v84, v80 :: v_dual_lshlrev_b32 v81, 6, v66
	v_lshlrev_b32_e32 v66, 11, v67
	v_perm_b32 v89, v85, v77, 0x7060302
	v_mul_f32_e32 v85, v84, v71
	v_mul_f32_e32 v71, v84, v82
	v_perm_b32 v91, v90, v91, 0x7060302
	v_perm_b32 v90, v88, v87, 0x7060302
	v_or3_b32 v77, v93, v66, v81
	v_mul_f32_e32 v66, v84, v83
	v_dual_mul_f32 v79, v84, v79 :: v_dual_and_b32 v86, 0x7f800000, v85
	v_mul_f32_e32 v83, v84, v78
	v_mul_f32_e32 v82, v84, v72
	;; [unrolled: 1-line block ×3, first 2 shown]
	s_mov_b32 s2, exec_lo
	ds_store_b128 v77, v[89:92]
                                        ; implicit-def: $vgpr70
	v_cmpx_ne_u32_e32 0x7f800000, v86
	s_xor_b32 s2, exec_lo, s2
; %bb.45:
	v_bfe_u32 v70, v85, 16, 1
	s_delay_alu instid0(VALU_DEP_1)
	v_add3_u32 v70, v85, v70, 0x7fff
                                        ; implicit-def: $vgpr85
; %bb.46:
	s_and_not1_saveexec_b32 s2, s2
; %bb.47:
	v_and_b32_e32 v70, 0xffff, v85
	v_or_b32_e32 v72, 0x10000, v85
	s_delay_alu instid0(VALU_DEP_2) | instskip(NEXT) | instid1(VALU_DEP_2)
	v_cmp_eq_u32_e32 vcc_lo, 0, v70
	v_cndmask_b32_e32 v70, v72, v85, vcc_lo
; %bb.48:
	s_or_b32 exec_lo, exec_lo, s2
	v_and_b32_e32 v72, 0x7f800000, v78
	s_delay_alu instid0(VALU_DEP_1) | instskip(SKIP_1) | instid1(SALU_CYCLE_1)
	v_cmp_ne_u32_e32 vcc_lo, 0x7f800000, v72
                                        ; implicit-def: $vgpr72
	s_and_saveexec_b32 s2, vcc_lo
	s_xor_b32 s2, exec_lo, s2
; %bb.49:
	v_bfe_u32 v72, v78, 16, 1
	s_delay_alu instid0(VALU_DEP_1)
	v_add3_u32 v72, v78, v72, 0x7fff
                                        ; implicit-def: $vgpr78
; %bb.50:
	s_and_not1_saveexec_b32 s2, s2
; %bb.51:
	v_and_b32_e32 v72, 0xffff, v78
	v_or_b32_e32 v84, 0x10000, v78
	s_delay_alu instid0(VALU_DEP_2) | instskip(NEXT) | instid1(VALU_DEP_2)
	v_cmp_eq_u32_e32 vcc_lo, 0, v72
	v_cndmask_b32_e32 v72, v84, v78, vcc_lo
; %bb.52:
	s_or_b32 exec_lo, exec_lo, s2
	v_and_b32_e32 v78, 0x7f800000, v82
	s_delay_alu instid0(VALU_DEP_1) | instskip(SKIP_1) | instid1(SALU_CYCLE_1)
	v_cmp_ne_u32_e32 vcc_lo, 0x7f800000, v78
                                        ; implicit-def: $vgpr78
	s_and_saveexec_b32 s2, vcc_lo
	s_xor_b32 s2, exec_lo, s2
; %bb.53:
	v_bfe_u32 v78, v82, 16, 1
	s_delay_alu instid0(VALU_DEP_1)
	v_add3_u32 v78, v82, v78, 0x7fff
                                        ; implicit-def: $vgpr82
; %bb.54:
	s_and_not1_saveexec_b32 s2, s2
; %bb.55:
	v_and_b32_e32 v78, 0xffff, v82
	v_or_b32_e32 v84, 0x10000, v82
	s_delay_alu instid0(VALU_DEP_2) | instskip(NEXT) | instid1(VALU_DEP_2)
	v_cmp_eq_u32_e32 vcc_lo, 0, v78
	v_cndmask_b32_e32 v78, v84, v82, vcc_lo
; %bb.56:
	s_or_b32 exec_lo, exec_lo, s2
	v_and_b32_e32 v82, 0x7f800000, v83
	s_delay_alu instid0(VALU_DEP_1) | instskip(SKIP_1) | instid1(SALU_CYCLE_1)
	v_cmp_ne_u32_e32 vcc_lo, 0x7f800000, v82
                                        ; implicit-def: $vgpr82
	s_and_saveexec_b32 s2, vcc_lo
	s_xor_b32 s2, exec_lo, s2
; %bb.57:
	v_bfe_u32 v82, v83, 16, 1
	s_delay_alu instid0(VALU_DEP_1)
	v_add3_u32 v82, v83, v82, 0x7fff
                                        ; implicit-def: $vgpr83
; %bb.58:
	s_and_not1_saveexec_b32 s2, s2
; %bb.59:
	v_and_b32_e32 v82, 0xffff, v83
	v_or_b32_e32 v84, 0x10000, v83
	s_delay_alu instid0(VALU_DEP_2) | instskip(NEXT) | instid1(VALU_DEP_2)
	v_cmp_eq_u32_e32 vcc_lo, 0, v82
	v_cndmask_b32_e32 v82, v84, v83, vcc_lo
; %bb.60:
	s_or_b32 exec_lo, exec_lo, s2
	v_and_b32_e32 v83, 0x7f800000, v79
	s_delay_alu instid0(VALU_DEP_1) | instskip(SKIP_1) | instid1(SALU_CYCLE_1)
	v_cmp_ne_u32_e32 vcc_lo, 0x7f800000, v83
                                        ; implicit-def: $vgpr83
	s_and_saveexec_b32 s2, vcc_lo
	s_xor_b32 s2, exec_lo, s2
; %bb.61:
	v_bfe_u32 v83, v79, 16, 1
	s_delay_alu instid0(VALU_DEP_1)
	v_add3_u32 v83, v79, v83, 0x7fff
                                        ; implicit-def: $vgpr79
; %bb.62:
	s_and_not1_saveexec_b32 s2, s2
; %bb.63:
	v_and_b32_e32 v83, 0xffff, v79
	v_or_b32_e32 v84, 0x10000, v79
	s_delay_alu instid0(VALU_DEP_2) | instskip(NEXT) | instid1(VALU_DEP_2)
	v_cmp_eq_u32_e32 vcc_lo, 0, v83
	v_cndmask_b32_e32 v83, v84, v79, vcc_lo
; %bb.64:
	s_or_b32 exec_lo, exec_lo, s2
	v_and_b32_e32 v79, 0x7f800000, v80
	s_delay_alu instid0(VALU_DEP_1) | instskip(SKIP_1) | instid1(SALU_CYCLE_1)
	v_cmp_ne_u32_e32 vcc_lo, 0x7f800000, v79
                                        ; implicit-def: $vgpr79
	s_and_saveexec_b32 s2, vcc_lo
	s_xor_b32 s2, exec_lo, s2
; %bb.65:
	v_bfe_u32 v79, v80, 16, 1
	s_delay_alu instid0(VALU_DEP_1)
	v_add3_u32 v79, v80, v79, 0x7fff
                                        ; implicit-def: $vgpr80
; %bb.66:
	s_and_not1_saveexec_b32 s2, s2
; %bb.67:
	v_and_b32_e32 v79, 0xffff, v80
	v_or_b32_e32 v84, 0x10000, v80
	s_delay_alu instid0(VALU_DEP_2) | instskip(NEXT) | instid1(VALU_DEP_2)
	v_cmp_eq_u32_e32 vcc_lo, 0, v79
	v_cndmask_b32_e32 v79, v84, v80, vcc_lo
; %bb.68:
	s_or_b32 exec_lo, exec_lo, s2
	v_and_b32_e32 v80, 0x7f800000, v71
	s_delay_alu instid0(VALU_DEP_1) | instskip(SKIP_1) | instid1(SALU_CYCLE_1)
	v_cmp_ne_u32_e32 vcc_lo, 0x7f800000, v80
                                        ; implicit-def: $vgpr80
	s_and_saveexec_b32 s2, vcc_lo
	s_xor_b32 s2, exec_lo, s2
; %bb.69:
	v_bfe_u32 v80, v71, 16, 1
	s_delay_alu instid0(VALU_DEP_1)
	v_add3_u32 v80, v71, v80, 0x7fff
                                        ; implicit-def: $vgpr71
; %bb.70:
	s_and_not1_saveexec_b32 s2, s2
; %bb.71:
	v_and_b32_e32 v80, 0xffff, v71
	v_or_b32_e32 v84, 0x10000, v71
	s_delay_alu instid0(VALU_DEP_2) | instskip(NEXT) | instid1(VALU_DEP_2)
	v_cmp_eq_u32_e32 vcc_lo, 0, v80
	v_cndmask_b32_e32 v80, v84, v71, vcc_lo
; %bb.72:
	s_or_b32 exec_lo, exec_lo, s2
	v_and_b32_e32 v71, 0x7f800000, v66
	s_delay_alu instid0(VALU_DEP_1) | instskip(SKIP_1) | instid1(SALU_CYCLE_1)
	v_cmp_ne_u32_e32 vcc_lo, 0x7f800000, v71
                                        ; implicit-def: $vgpr71
	s_and_saveexec_b32 s2, vcc_lo
	s_xor_b32 s2, exec_lo, s2
; %bb.73:
	v_bfe_u32 v71, v66, 16, 1
	s_delay_alu instid0(VALU_DEP_1)
	v_add3_u32 v71, v66, v71, 0x7fff
                                        ; implicit-def: $vgpr66
; %bb.74:
	s_and_not1_saveexec_b32 s2, s2
; %bb.75:
	v_and_b32_e32 v71, 0xffff, v66
	v_or_b32_e32 v84, 0x10000, v66
	s_delay_alu instid0(VALU_DEP_2) | instskip(NEXT) | instid1(VALU_DEP_2)
	v_cmp_eq_u32_e32 vcc_lo, 0, v71
	v_cndmask_b32_e32 v71, v84, v66, vcc_lo
; %bb.76:
	s_or_b32 exec_lo, exec_lo, s2
	s_delay_alu instid0(VALU_DEP_1)
	v_perm_b32 v87, v71, v80, 0x7060302
	v_perm_b32 v86, v79, v83, 0x7060302
	;; [unrolled: 1-line block ×4, first 2 shown]
	v_lshl_or_b32 v83, v67, 11, v81
	ds_store_b128 v77, v[84:87] offset:1024
	s_waitcnt lgkmcnt(0)
	s_barrier
	buffer_gl0_inv
	ds_load_b128 v[84:87], v83
	ds_load_b128 v[88:91], v83 offset:16
	s_waitcnt lgkmcnt(1)
	v_lshrrev_b32_e32 v70, 16, v87
	s_waitcnt lgkmcnt(0)
	v_lshrrev_b32_e32 v71, 16, v88
	v_lshlrev_b32_e32 v79, 2, v65
	v_lshrrev_b32_e32 v65, 16, v84
	v_lshrrev_b32_e32 v66, 16, v85
	;; [unrolled: 1-line block ×4, first 2 shown]
	v_cmp_eq_u32_e32 vcc_lo, 1, v79
	v_lshrrev_b32_e32 v100, 16, v90
	v_lshrrev_b32_e32 v101, 16, v91
	v_cndmask_b32_e32 v92, v88, v71, vcc_lo
	v_or_b32_e32 v80, 1, v79
	v_cndmask_b32_e32 v82, v84, v65, vcc_lo
	v_cmp_eq_u32_e64 s3, 2, v79
	v_cmp_eq_u32_e64 s6, 3, v79
	;; [unrolled: 1-line block ×5, first 2 shown]
	v_cndmask_b32_e64 v82, v82, v85, s3
	v_cndmask_b32_e64 v92, v92, v89, s3
	v_cmp_eq_u32_e64 s7, 3, v80
	v_cndmask_b32_e64 v93, v84, v65, s2
	v_or_b32_e32 v78, 2, v79
	v_cndmask_b32_e64 v82, v82, v66, s6
	v_cndmask_b32_e64 v92, v92, v72, s6
	;; [unrolled: 1-line block ×4, first 2 shown]
	v_cmp_eq_u32_e64 s9, 5, v79
	v_cndmask_b32_e64 v82, v82, v86, s8
	v_cndmask_b32_e64 v92, v92, v90, s8
	v_cmp_eq_u32_e64 s10, 4, v80
	v_cndmask_b32_e64 v93, v93, v66, s7
	v_cmp_eq_u32_e64 s4, 1, v78
	v_cndmask_b32_e64 v94, v94, v89, s5
	v_cndmask_b32_e64 v82, v82, v67, s9
	v_cmp_eq_u32_e64 s11, 6, v79
	v_cndmask_b32_e64 v93, v93, v86, s10
	;; [unrolled: 3-line block ×3, first 2 shown]
	v_cndmask_b32_e64 v94, v94, v72, s7
	v_cndmask_b32_e64 v82, v82, v87, s11
	v_cmp_eq_u32_e64 s13, 7, v79
	v_cndmask_b32_e64 v93, v93, v67, s12
	v_cndmask_b32_e64 v92, v92, v91, s11
	v_cmp_eq_u32_e64 s15, 6, v80
	v_cmp_eq_u32_e64 s16, 2, v78
	v_cndmask_b32_e64 v94, v94, v90, s10
	v_cndmask_b32_e64 v102, v82, v70, s13
	;; [unrolled: 1-line block ×6, first 2 shown]
	v_cmp_eq_u32_e64 s17, 7, v80
	v_cmp_eq_u32_e64 s18, 3, v78
	v_cmp_eq_u32_e64 s19, 4, v78
	v_cmp_eq_u32_e64 s21, 5, v78
	v_cndmask_b32_e64 v92, v92, v89, s16
	v_cndmask_b32_e64 v104, v93, v70, s17
	;; [unrolled: 1-line block ×4, first 2 shown]
	v_or_b32_e32 v82, 3, v79
	v_cndmask_b32_e64 v97, v92, v72, s18
	v_cmp_eq_u32_e64 s23, 6, v78
	v_cndmask_b32_e64 v105, v93, v91, s15
	v_cndmask_b32_e64 v96, v94, v86, s19
	v_cmp_eq_u32_e64 s20, 1, v82
	ds_load_b128 v[92:95], v83 offset:1024
	v_cmp_eq_u32_e64 s22, 2, v82
	v_cmp_eq_u32_e64 s24, 3, v82
	v_cndmask_b32_e64 v106, v96, v67, s21
	v_cndmask_b32_e64 v65, v84, v65, s20
	;; [unrolled: 1-line block ×3, first 2 shown]
	ds_load_b128 v[96:99], v83 offset:1040
	v_cndmask_b32_e64 v71, v88, v71, s20
	v_cmp_eq_u32_e64 s25, 4, v82
	v_cndmask_b32_e64 v65, v65, v85, s22
	v_cmp_eq_u32_e64 s27, 5, v82
	v_cmp_eq_u32_e64 s28, 6, v82
	v_cndmask_b32_e64 v71, v71, v89, s22
	v_cndmask_b32_e64 v84, v84, v100, s21
	;; [unrolled: 1-line block ×4, first 2 shown]
	v_cmp_eq_u32_e64 s26, 7, v78
	v_cndmask_b32_e64 v71, v71, v72, s24
	v_cndmask_b32_e64 v84, v84, v91, s23
	;; [unrolled: 1-line block ×3, first 2 shown]
	s_waitcnt lgkmcnt(1)
	v_lshrrev_b32_e32 v72, 16, v92
	v_lshrrev_b32_e32 v88, 16, v93
	v_cndmask_b32_e64 v71, v71, v90, s25
	v_cndmask_b32_e64 v66, v66, v70, s26
	;; [unrolled: 1-line block ×6, first 2 shown]
	s_waitcnt lgkmcnt(0)
	v_lshrrev_b32_e32 v71, 16, v96
	v_cndmask_b32_e64 v65, v65, v87, s28
	v_cndmask_b32_e64 v87, v89, v93, s5
	v_lshrrev_b32_e32 v100, 16, v98
	v_cndmask_b32_e64 v67, v67, v91, s28
	v_cndmask_b32_e32 v86, v92, v72, vcc_lo
	v_cndmask_b32_e32 v90, v96, v71, vcc_lo
	v_cmp_eq_u32_e32 vcc_lo, 7, v82
	v_cndmask_b32_e64 v87, v87, v88, s7
	v_lshrrev_b32_e32 v91, 16, v94
	v_cndmask_b32_e64 v85, v105, v101, s17
	v_cndmask_b32_e64 v89, v90, v97, s3
	v_cndmask_b32_e32 v67, v67, v101, vcc_lo
	v_cndmask_b32_e64 v86, v86, v93, s3
	v_lshrrev_b32_e32 v90, 16, v97
	v_cndmask_b32_e32 v65, v65, v70, vcc_lo
	v_cndmask_b32_e64 v70, v87, v94, s10
	v_cndmask_b32_e64 v101, v96, v71, s4
	;; [unrolled: 1-line block ×4, first 2 shown]
	v_perm_b32 v87, v67, v65, 0x5040100
	v_cndmask_b32_e64 v65, v70, v91, s12
	v_lshrrev_b32_e32 v70, 16, v95
	v_cndmask_b32_e64 v86, v86, v94, s8
	v_cndmask_b32_e64 v89, v89, v98, s8
	v_perm_b32 v85, v85, v104, 0x5040100
	v_cndmask_b32_e64 v65, v65, v95, s15
	s_delay_alu instid0(VALU_DEP_4) | instskip(NEXT) | instid1(VALU_DEP_4)
	v_cndmask_b32_e64 v86, v86, v91, s9
	v_cndmask_b32_e64 v89, v89, v100, s9
	s_delay_alu instid0(VALU_DEP_3) | instskip(NEXT) | instid1(VALU_DEP_3)
	v_cndmask_b32_e64 v65, v65, v70, s17
	v_cndmask_b32_e64 v67, v86, v95, s11
	v_perm_b32 v86, v84, v66, 0x5040100
	v_lshrrev_b32_e32 v84, 16, v99
	s_delay_alu instid0(VALU_DEP_3)
	v_cndmask_b32_e64 v66, v67, v70, s13
	v_cndmask_b32_e64 v67, v89, v99, s11
	;; [unrolled: 1-line block ×33, first 2 shown]
	v_cndmask_b32_e32 v70, v72, v70, vcc_lo
	v_cndmask_b32_e32 v72, v88, v84, vcc_lo
	v_cndmask_b32_e64 v88, v90, v84, s26
	v_cndmask_b32_e64 v71, v71, v84, s17
	v_perm_b32 v84, v103, v102, 0x5040100
	s_lshl_b32 s7, s35, 1
	v_perm_b32 v91, v72, v70, 0x5040100
	v_perm_b32 v90, v88, v89, 0x5040100
	;; [unrolled: 1-line block ×4, first 2 shown]
	s_mov_b32 s2, exec_lo
	ds_store_b128 v77, v[84:87]
	ds_store_b128 v77, v[88:91] offset:1024
	v_cmpx_gt_u32_e32 2, v0
	s_cbranch_execz .LBB1791_78
; %bb.77:
	v_or_b32_e32 v65, s31, v0
	s_load_b128 s[8:11], s[0:1], 0x58
	s_delay_alu instid0(VALU_DEP_1) | instskip(NEXT) | instid1(VALU_DEP_1)
	v_mad_u64_u32 v[66:67], null, s7, s30, v[65:66]
	v_mad_u64_u32 v[70:71], null, v66, s34, s[14:15]
	s_delay_alu instid0(VALU_DEP_1) | instskip(NEXT) | instid1(VALU_DEP_1)
	v_ashrrev_i32_e32 v71, 31, v70
	v_lshlrev_b64 v[65:66], 2, v[70:71]
	s_waitcnt lgkmcnt(0)
	s_delay_alu instid0(VALU_DEP_1) | instskip(NEXT) | instid1(VALU_DEP_2)
	v_add_co_u32 v70, vcc_lo, s10, v65
	v_add_co_ci_u32_e32 v71, vcc_lo, s11, v66, vcc_lo
	v_add_co_u32 v65, vcc_lo, s8, v65
	v_add_co_ci_u32_e32 v66, vcc_lo, s9, v66, vcc_lo
	global_store_b32 v[70:71], v68, off
	global_store_b32 v[65:66], v69, off
.LBB1791_78:
	s_or_b32 exec_lo, exec_lo, s2
	s_waitcnt lgkmcnt(0)
	s_waitcnt_vscnt null, 0x0
	s_barrier
	buffer_gl0_inv
	ds_load_b128 v[84:87], v81
	ds_load_b128 v[88:91], v81 offset:16
	ds_load_b128 v[96:99], v81 offset:2064
	;; [unrolled: 1-line block ×3, first 2 shown]
	v_mov_b32_e32 v65, 0
	ds_load_b128 v[104:107], v81 offset:4112
	ds_load_b128 v[100:103], v81 offset:4096
	;; [unrolled: 1-line block ×4, first 2 shown]
	v_mov_b32_e32 v66, v65
	v_mov_b32_e32 v67, v65
	v_mov_b32_e32 v68, v65
	v_mov_b32_e32 v69, v65
	v_mov_b32_e32 v70, v65
	v_mov_b32_e32 v71, v65
	v_mov_b32_e32 v72, v65
	s_waitcnt lgkmcnt(6)
	s_delay_alu instid0(VALU_DEP_1)
	v_wmma_f32_16x16x16_bf16 v[65:72], v[57:64], v[84:91], v[65:72]
	ds_load_b128 v[61:64], v81 offset:8208
	ds_load_b128 v[57:60], v81 offset:8192
	s_waitcnt lgkmcnt(6)
	v_wmma_f32_16x16x16_bf16 v[65:72], v[41:48], v[92:99], v[65:72]
	ds_load_b128 v[45:48], v81 offset:10256
	ds_load_b128 v[41:44], v81 offset:10240
	s_waitcnt lgkmcnt(6)
	;; [unrolled: 4-line block ×4, first 2 shown]
	v_wmma_f32_16x16x16_bf16 v[65:72], v[1:8], v[57:64], v[65:72]
	s_waitcnt lgkmcnt(4)
	s_delay_alu instid0(VALU_DEP_1) | instskip(SKIP_1) | instid1(VALU_DEP_1)
	v_wmma_f32_16x16x16_bf16 v[65:72], v[9:16], v[41:48], v[65:72]
	s_waitcnt lgkmcnt(2)
	v_wmma_f32_16x16x16_bf16 v[65:72], v[17:24], v[33:40], v[65:72]
	s_waitcnt lgkmcnt(0)
	s_delay_alu instid0(VALU_DEP_1) | instskip(NEXT) | instid1(VALU_DEP_1)
	v_wmma_f32_16x16x16_bf16 v[65:72], v[49:56], v[25:32], v[65:72]
	v_and_b32_e32 v1, 0x7f800000, v65
	s_delay_alu instid0(VALU_DEP_1) | instskip(SKIP_1) | instid1(SALU_CYCLE_1)
	v_cmp_ne_u32_e32 vcc_lo, 0x7f800000, v1
                                        ; implicit-def: $vgpr1
	s_and_saveexec_b32 s2, vcc_lo
	s_xor_b32 s2, exec_lo, s2
; %bb.79:
	v_bfe_u32 v1, v65, 16, 1
	s_delay_alu instid0(VALU_DEP_1)
	v_add3_u32 v1, v65, v1, 0x7fff
; %bb.80:
	s_and_not1_saveexec_b32 s2, s2
; %bb.81:
	v_and_b32_e32 v1, 0xffff, v65
	v_or_b32_e32 v2, 0x10000, v65
	s_delay_alu instid0(VALU_DEP_2) | instskip(NEXT) | instid1(VALU_DEP_2)
	v_cmp_eq_u32_e32 vcc_lo, 0, v1
	v_cndmask_b32_e32 v1, v2, v65, vcc_lo
; %bb.82:
	s_or_b32 exec_lo, exec_lo, s2
	v_and_b32_e32 v2, 0x7f800000, v66
	s_delay_alu instid0(VALU_DEP_1) | instskip(SKIP_1) | instid1(SALU_CYCLE_1)
	v_cmp_ne_u32_e32 vcc_lo, 0x7f800000, v2
                                        ; implicit-def: $vgpr2
	s_and_saveexec_b32 s2, vcc_lo
	s_xor_b32 s2, exec_lo, s2
; %bb.83:
	v_bfe_u32 v2, v66, 16, 1
	s_delay_alu instid0(VALU_DEP_1)
	v_add3_u32 v2, v66, v2, 0x7fff
; %bb.84:
	s_and_not1_saveexec_b32 s2, s2
; %bb.85:
	v_and_b32_e32 v2, 0xffff, v66
	v_or_b32_e32 v3, 0x10000, v66
	s_delay_alu instid0(VALU_DEP_2) | instskip(NEXT) | instid1(VALU_DEP_2)
	v_cmp_eq_u32_e32 vcc_lo, 0, v2
	v_cndmask_b32_e32 v2, v3, v66, vcc_lo
; %bb.86:
	s_or_b32 exec_lo, exec_lo, s2
	v_and_b32_e32 v3, 0x7f800000, v67
	s_delay_alu instid0(VALU_DEP_1) | instskip(SKIP_1) | instid1(SALU_CYCLE_1)
	v_cmp_ne_u32_e32 vcc_lo, 0x7f800000, v3
                                        ; implicit-def: $vgpr3
	s_and_saveexec_b32 s2, vcc_lo
	s_xor_b32 s2, exec_lo, s2
; %bb.87:
	v_bfe_u32 v3, v67, 16, 1
	s_delay_alu instid0(VALU_DEP_1)
	v_add3_u32 v3, v67, v3, 0x7fff
; %bb.88:
	s_and_not1_saveexec_b32 s2, s2
; %bb.89:
	v_and_b32_e32 v3, 0xffff, v67
	v_or_b32_e32 v4, 0x10000, v67
	s_delay_alu instid0(VALU_DEP_2) | instskip(NEXT) | instid1(VALU_DEP_2)
	v_cmp_eq_u32_e32 vcc_lo, 0, v3
	v_cndmask_b32_e32 v3, v4, v67, vcc_lo
; %bb.90:
	s_or_b32 exec_lo, exec_lo, s2
	v_and_b32_e32 v4, 0x7f800000, v68
	s_delay_alu instid0(VALU_DEP_1) | instskip(SKIP_1) | instid1(SALU_CYCLE_1)
	v_cmp_ne_u32_e32 vcc_lo, 0x7f800000, v4
                                        ; implicit-def: $vgpr4
	s_and_saveexec_b32 s2, vcc_lo
	s_xor_b32 s2, exec_lo, s2
; %bb.91:
	v_bfe_u32 v4, v68, 16, 1
	s_delay_alu instid0(VALU_DEP_1)
	v_add3_u32 v4, v68, v4, 0x7fff
; %bb.92:
	s_and_not1_saveexec_b32 s2, s2
; %bb.93:
	v_and_b32_e32 v4, 0xffff, v68
	v_or_b32_e32 v5, 0x10000, v68
	s_delay_alu instid0(VALU_DEP_2) | instskip(NEXT) | instid1(VALU_DEP_2)
	v_cmp_eq_u32_e32 vcc_lo, 0, v4
	v_cndmask_b32_e32 v4, v5, v68, vcc_lo
; %bb.94:
	s_or_b32 exec_lo, exec_lo, s2
	v_and_b32_e32 v5, 0x7f800000, v69
	s_delay_alu instid0(VALU_DEP_1) | instskip(SKIP_1) | instid1(SALU_CYCLE_1)
	v_cmp_ne_u32_e32 vcc_lo, 0x7f800000, v5
                                        ; implicit-def: $vgpr5
	s_and_saveexec_b32 s2, vcc_lo
	s_xor_b32 s2, exec_lo, s2
; %bb.95:
	v_bfe_u32 v5, v69, 16, 1
	s_delay_alu instid0(VALU_DEP_1)
	v_add3_u32 v5, v69, v5, 0x7fff
; %bb.96:
	s_and_not1_saveexec_b32 s2, s2
; %bb.97:
	v_and_b32_e32 v5, 0xffff, v69
	v_or_b32_e32 v6, 0x10000, v69
	s_delay_alu instid0(VALU_DEP_2) | instskip(NEXT) | instid1(VALU_DEP_2)
	v_cmp_eq_u32_e32 vcc_lo, 0, v5
	v_cndmask_b32_e32 v5, v6, v69, vcc_lo
; %bb.98:
	s_or_b32 exec_lo, exec_lo, s2
	v_and_b32_e32 v6, 0x7f800000, v70
	s_delay_alu instid0(VALU_DEP_1) | instskip(SKIP_1) | instid1(SALU_CYCLE_1)
	v_cmp_ne_u32_e32 vcc_lo, 0x7f800000, v6
                                        ; implicit-def: $vgpr6
	s_and_saveexec_b32 s2, vcc_lo
	s_xor_b32 s2, exec_lo, s2
; %bb.99:
	v_bfe_u32 v6, v70, 16, 1
	s_delay_alu instid0(VALU_DEP_1)
	v_add3_u32 v6, v70, v6, 0x7fff
; %bb.100:
	s_and_not1_saveexec_b32 s2, s2
; %bb.101:
	v_and_b32_e32 v6, 0xffff, v70
	v_or_b32_e32 v7, 0x10000, v70
	s_delay_alu instid0(VALU_DEP_2) | instskip(NEXT) | instid1(VALU_DEP_2)
	v_cmp_eq_u32_e32 vcc_lo, 0, v6
	v_cndmask_b32_e32 v6, v7, v70, vcc_lo
; %bb.102:
	s_or_b32 exec_lo, exec_lo, s2
	v_and_b32_e32 v7, 0x7f800000, v71
	s_delay_alu instid0(VALU_DEP_1) | instskip(SKIP_1) | instid1(SALU_CYCLE_1)
	v_cmp_ne_u32_e32 vcc_lo, 0x7f800000, v7
                                        ; implicit-def: $vgpr7
	s_and_saveexec_b32 s2, vcc_lo
	s_xor_b32 s2, exec_lo, s2
; %bb.103:
	v_bfe_u32 v7, v71, 16, 1
	s_delay_alu instid0(VALU_DEP_1)
	v_add3_u32 v7, v71, v7, 0x7fff
; %bb.104:
	s_and_not1_saveexec_b32 s2, s2
; %bb.105:
	v_and_b32_e32 v7, 0xffff, v71
	v_or_b32_e32 v8, 0x10000, v71
	s_delay_alu instid0(VALU_DEP_2) | instskip(NEXT) | instid1(VALU_DEP_2)
	v_cmp_eq_u32_e32 vcc_lo, 0, v7
	v_cndmask_b32_e32 v7, v8, v71, vcc_lo
; %bb.106:
	s_or_b32 exec_lo, exec_lo, s2
	v_and_b32_e32 v8, 0x7f800000, v72
	s_delay_alu instid0(VALU_DEP_1) | instskip(SKIP_1) | instid1(SALU_CYCLE_1)
	v_cmp_ne_u32_e32 vcc_lo, 0x7f800000, v8
                                        ; implicit-def: $vgpr8
	s_and_saveexec_b32 s2, vcc_lo
	s_xor_b32 s2, exec_lo, s2
; %bb.107:
	v_bfe_u32 v8, v72, 16, 1
	s_delay_alu instid0(VALU_DEP_1)
	v_add3_u32 v8, v72, v8, 0x7fff
                                        ; implicit-def: $vgpr65_vgpr66_vgpr67_vgpr68_vgpr69_vgpr70_vgpr71_vgpr72
; %bb.108:
	s_and_not1_saveexec_b32 s2, s2
; %bb.109:
	v_and_b32_e32 v8, 0xffff, v72
	v_or_b32_e32 v9, 0x10000, v72
	s_delay_alu instid0(VALU_DEP_2) | instskip(NEXT) | instid1(VALU_DEP_2)
	v_cmp_eq_u32_e32 vcc_lo, 0, v8
	v_cndmask_b32_e32 v8, v9, v72, vcc_lo
; %bb.110:
	s_or_b32 exec_lo, exec_lo, s2
	s_delay_alu instid0(VALU_DEP_1)
	v_perm_b32 v7, v8, v7, 0x7060302
	v_perm_b32 v6, v6, v5, 0x7060302
	;; [unrolled: 1-line block ×4, first 2 shown]
	s_barrier
	buffer_gl0_inv
	v_cmp_eq_u32_e32 vcc_lo, 1, v79
	ds_store_b128 v77, v[4:7]
	s_waitcnt lgkmcnt(0)
	s_barrier
	buffer_gl0_inv
	ds_load_b128 v[1:4], v83
	ds_load_b128 v[5:8], v83 offset:16
	v_cmp_eq_u32_e64 s2, 1, v80
	v_cmp_eq_u32_e64 s3, 2, v79
	;; [unrolled: 1-line block ×5, first 2 shown]
	s_waitcnt lgkmcnt(1)
	v_lshrrev_b32_e32 v9, 16, v1
	s_waitcnt lgkmcnt(0)
	v_lshrrev_b32_e32 v13, 16, v5
	v_lshrrev_b32_e32 v10, 16, v2
	;; [unrolled: 1-line block ×4, first 2 shown]
	v_cndmask_b32_e64 v19, v1, v9, s2
	v_cndmask_b32_e32 v18, v5, v13, vcc_lo
	v_cndmask_b32_e64 v20, v5, v13, s2
	v_cndmask_b32_e32 v17, v1, v9, vcc_lo
	v_cmp_eq_u32_e32 vcc_lo, 2, v80
	v_lshrrev_b32_e32 v15, 16, v7
	v_cmp_eq_u32_e64 s2, 1, v78
	v_lshrrev_b32_e32 v12, 16, v4
	v_lshrrev_b32_e32 v16, 16, v8
	v_cndmask_b32_e32 v20, v20, v6, vcc_lo
	v_cndmask_b32_e64 v17, v17, v2, s3
	v_cndmask_b32_e32 v19, v19, v2, vcc_lo
	v_cndmask_b32_e64 v18, v18, v6, s3
	v_cmp_eq_u32_e32 vcc_lo, 4, v79
	v_cmp_eq_u32_e64 s3, 3, v80
	v_cndmask_b32_e64 v17, v17, v10, s4
	v_cndmask_b32_e64 v21, v1, v9, s2
	v_cndmask_b32_e64 v18, v18, v14, s4
	v_cndmask_b32_e64 v22, v5, v13, s2
	v_cndmask_b32_e64 v19, v19, v10, s3
	v_cndmask_b32_e32 v17, v17, v3, vcc_lo
	v_cndmask_b32_e64 v20, v20, v14, s3
	v_cndmask_b32_e32 v18, v18, v7, vcc_lo
	v_cmp_eq_u32_e32 vcc_lo, 4, v80
	v_cmp_eq_u32_e64 s3, 5, v80
	v_cmp_eq_u32_e64 s2, 2, v82
	v_cndmask_b32_e64 v21, v21, v2, s6
	v_cmp_eq_u32_e64 s4, 5, v79
	v_cndmask_b32_e32 v19, v19, v3, vcc_lo
	v_cndmask_b32_e32 v20, v20, v7, vcc_lo
	v_cmp_eq_u32_e32 vcc_lo, 6, v80
	s_delay_alu instid0(VALU_DEP_4) | instskip(NEXT) | instid1(VALU_DEP_4)
	v_cndmask_b32_e64 v17, v17, v11, s4
	v_cndmask_b32_e64 v19, v19, v11, s3
	s_delay_alu instid0(VALU_DEP_4) | instskip(SKIP_1) | instid1(VALU_DEP_3)
	v_cndmask_b32_e64 v20, v20, v15, s3
	v_cmp_eq_u32_e64 s3, 1, v82
	v_cndmask_b32_e32 v19, v19, v4, vcc_lo
	v_cndmask_b32_e64 v18, v18, v15, s4
	s_delay_alu instid0(VALU_DEP_3)
	v_cndmask_b32_e64 v1, v1, v9, s3
	v_cndmask_b32_e64 v5, v5, v13, s3
	v_cmp_eq_u32_e64 s3, 3, v78
	v_cndmask_b32_e64 v13, v22, v6, s6
	v_cmp_eq_u32_e64 s6, 3, v82
	v_cndmask_b32_e64 v1, v1, v2, s2
	v_cndmask_b32_e64 v2, v5, v6, s2
	;; [unrolled: 1-line block ×3, first 2 shown]
	v_cmp_eq_u32_e64 s2, 4, v78
	v_cndmask_b32_e64 v6, v13, v14, s3
	v_cndmask_b32_e64 v1, v1, v10, s6
	v_cmp_eq_u32_e64 s3, 4, v82
	v_cndmask_b32_e64 v2, v2, v14, s6
	v_cndmask_b32_e64 v5, v9, v3, s2
	;; [unrolled: 3-line block ×3, first 2 shown]
	v_cndmask_b32_e64 v2, v2, v7, s3
	v_cmp_eq_u32_e64 s2, 5, v82
	v_cmp_eq_u32_e64 s4, 6, v79
	v_cndmask_b32_e64 v5, v5, v11, s6
	v_cmp_eq_u32_e64 s3, 6, v78
	v_cndmask_b32_e64 v3, v6, v15, s6
	v_cndmask_b32_e64 v1, v1, v11, s2
	v_cmp_eq_u32_e64 s6, 6, v82
	v_cndmask_b32_e64 v2, v2, v15, s2
	v_cndmask_b32_e64 v17, v17, v4, s4
	v_cndmask_b32_e64 v18, v18, v8, s4
	v_cmp_eq_u32_e64 s4, 7, v79
	v_cndmask_b32_e64 v5, v5, v4, s3
	;; [unrolled: 4-line block ×3, first 2 shown]
	v_cmp_eq_u32_e64 s3, 7, v78
	v_cndmask_b32_e32 v4, v20, v8, vcc_lo
	v_cndmask_b32_e64 v17, v17, v12, s4
	v_cndmask_b32_e64 v19, v19, v12, s5
	;; [unrolled: 1-line block ×8, first 2 shown]
	s_delay_alu instid0(VALU_DEP_4) | instskip(NEXT) | instid1(VALU_DEP_4)
	v_perm_b32 v4, v2, v1, 0x5040100
	v_perm_b32 v3, v3, v5, 0x5040100
	s_delay_alu instid0(VALU_DEP_4) | instskip(NEXT) | instid1(VALU_DEP_4)
	v_perm_b32 v2, v6, v19, 0x5040100
	v_perm_b32 v1, v7, v17, 0x5040100
	ds_store_b128 v77, v[1:4]
	s_waitcnt lgkmcnt(0)
	s_barrier
	buffer_gl0_inv
	s_and_saveexec_b32 s2, s29
	s_cbranch_execz .LBB1791_2
; %bb.111:
	s_load_b64 s[0:1], s[0:1], 0x68
	v_lshlrev_b32_e32 v0, 10, v0
	s_lshl_b32 s2, s34, 6
	v_lshlrev_b32_e32 v1, 4, v76
	v_mul_lo_u32 v4, s2, v75
	s_mul_i32 s3, s2, s30
	v_and_b32_e32 v0, 0x3800, v0
	s_mul_i32 s2, s3, s7
	s_delay_alu instid0(SALU_CYCLE_1) | instskip(NEXT) | instid1(VALU_DEP_1)
	s_ashr_i32 s3, s2, 31
	v_or3_b32 v0, v0, v74, v1
	s_lshl_b64 s[2:3], s[2:3], 1
	s_delay_alu instid0(VALU_DEP_3)
	v_ashrrev_i32_e32 v5, 31, v4
	ds_load_b128 v[0:3], v0
	v_lshlrev_b64 v[4:5], 1, v[4:5]
	s_waitcnt lgkmcnt(0)
	s_add_u32 s2, s0, s2
	s_addc_u32 s3, s1, s3
	s_lshl_b32 s0, s14, 6
	s_delay_alu instid0(SALU_CYCLE_1) | instskip(NEXT) | instid1(SALU_CYCLE_1)
	s_ashr_i32 s1, s0, 31
	s_lshl_b64 s[0:1], s[0:1], 1
	s_delay_alu instid0(SALU_CYCLE_1) | instskip(SKIP_3) | instid1(VALU_DEP_2)
	s_add_u32 s0, s2, s0
	s_addc_u32 s1, s3, s1
	v_add_co_u32 v4, vcc_lo, s0, v4
	v_add_co_ci_u32_e32 v5, vcc_lo, s1, v5, vcc_lo
	v_add_co_u32 v4, vcc_lo, v4, v73
	s_delay_alu instid0(VALU_DEP_2)
	v_add_co_ci_u32_e32 v5, vcc_lo, 0, v5, vcc_lo
	global_store_b128 v[4:5], v[0:3], off
	s_nop 0
	s_sendmsg sendmsg(MSG_DEALLOC_VGPRS)
	s_endpgm
	.section	.rodata,"a",@progbits
	.p2align	6, 0x0
	.amdhsa_kernel _Z39paged_attention_ll4mi_QKV_mfma16_kernelI14__hip_bfloat16hLN4vllm18Fp8KVCacheDataTypeE1ES0_Li32ELi64ELi256ELb0ELi2EL8MFMAType0EEvPKT_PKT0_S9_ifPKiSB_SB_iPKfiiiPfSE_PS4_PT2_iSD_SD_
		.amdhsa_group_segment_fixed_size 17472
		.amdhsa_private_segment_fixed_size 0
		.amdhsa_kernarg_size 400
		.amdhsa_user_sgpr_count 13
		.amdhsa_user_sgpr_dispatch_ptr 0
		.amdhsa_user_sgpr_queue_ptr 0
		.amdhsa_user_sgpr_kernarg_segment_ptr 1
		.amdhsa_user_sgpr_dispatch_id 0
		.amdhsa_user_sgpr_private_segment_size 0
		.amdhsa_wavefront_size32 1
		.amdhsa_uses_dynamic_stack 0
		.amdhsa_enable_private_segment 0
		.amdhsa_system_sgpr_workgroup_id_x 1
		.amdhsa_system_sgpr_workgroup_id_y 1
		.amdhsa_system_sgpr_workgroup_id_z 1
		.amdhsa_system_sgpr_workgroup_info 0
		.amdhsa_system_vgpr_workitem_id 0
		.amdhsa_next_free_vgpr 125
		.amdhsa_next_free_sgpr 40
		.amdhsa_reserve_vcc 1
		.amdhsa_float_round_mode_32 0
		.amdhsa_float_round_mode_16_64 0
		.amdhsa_float_denorm_mode_32 3
		.amdhsa_float_denorm_mode_16_64 3
		.amdhsa_dx10_clamp 1
		.amdhsa_ieee_mode 1
		.amdhsa_fp16_overflow 0
		.amdhsa_workgroup_processor_mode 1
		.amdhsa_memory_ordered 1
		.amdhsa_forward_progress 0
		.amdhsa_shared_vgpr_count 0
		.amdhsa_exception_fp_ieee_invalid_op 0
		.amdhsa_exception_fp_denorm_src 0
		.amdhsa_exception_fp_ieee_div_zero 0
		.amdhsa_exception_fp_ieee_overflow 0
		.amdhsa_exception_fp_ieee_underflow 0
		.amdhsa_exception_fp_ieee_inexact 0
		.amdhsa_exception_int_div_zero 0
	.end_amdhsa_kernel
	.section	.text._Z39paged_attention_ll4mi_QKV_mfma16_kernelI14__hip_bfloat16hLN4vllm18Fp8KVCacheDataTypeE1ES0_Li32ELi64ELi256ELb0ELi2EL8MFMAType0EEvPKT_PKT0_S9_ifPKiSB_SB_iPKfiiiPfSE_PS4_PT2_iSD_SD_,"axG",@progbits,_Z39paged_attention_ll4mi_QKV_mfma16_kernelI14__hip_bfloat16hLN4vllm18Fp8KVCacheDataTypeE1ES0_Li32ELi64ELi256ELb0ELi2EL8MFMAType0EEvPKT_PKT0_S9_ifPKiSB_SB_iPKfiiiPfSE_PS4_PT2_iSD_SD_,comdat
.Lfunc_end1791:
	.size	_Z39paged_attention_ll4mi_QKV_mfma16_kernelI14__hip_bfloat16hLN4vllm18Fp8KVCacheDataTypeE1ES0_Li32ELi64ELi256ELb0ELi2EL8MFMAType0EEvPKT_PKT0_S9_ifPKiSB_SB_iPKfiiiPfSE_PS4_PT2_iSD_SD_, .Lfunc_end1791-_Z39paged_attention_ll4mi_QKV_mfma16_kernelI14__hip_bfloat16hLN4vllm18Fp8KVCacheDataTypeE1ES0_Li32ELi64ELi256ELb0ELi2EL8MFMAType0EEvPKT_PKT0_S9_ifPKiSB_SB_iPKfiiiPfSE_PS4_PT2_iSD_SD_
                                        ; -- End function
	.section	.AMDGPU.csdata,"",@progbits
; Kernel info:
; codeLenInByte = 8520
; NumSgprs: 42
; NumVgprs: 125
; ScratchSize: 0
; MemoryBound: 0
; FloatMode: 240
; IeeeMode: 1
; LDSByteSize: 17472 bytes/workgroup (compile time only)
; SGPRBlocks: 5
; VGPRBlocks: 15
; NumSGPRsForWavesPerEU: 42
; NumVGPRsForWavesPerEU: 125
; Occupancy: 10
; WaveLimiterHint : 1
; COMPUTE_PGM_RSRC2:SCRATCH_EN: 0
; COMPUTE_PGM_RSRC2:USER_SGPR: 13
; COMPUTE_PGM_RSRC2:TRAP_HANDLER: 0
; COMPUTE_PGM_RSRC2:TGID_X_EN: 1
; COMPUTE_PGM_RSRC2:TGID_Y_EN: 1
; COMPUTE_PGM_RSRC2:TGID_Z_EN: 1
; COMPUTE_PGM_RSRC2:TIDIG_COMP_CNT: 0
	.section	.text._Z39paged_attention_ll4mi_QKV_mfma16_kernelI14__hip_bfloat16hLN4vllm18Fp8KVCacheDataTypeE1ES0_Li32ELi64ELi256ELb0ELi3EL8MFMAType0EEvPKT_PKT0_S9_ifPKiSB_SB_iPKfiiiPfSE_PS4_PT2_iSD_SD_,"axG",@progbits,_Z39paged_attention_ll4mi_QKV_mfma16_kernelI14__hip_bfloat16hLN4vllm18Fp8KVCacheDataTypeE1ES0_Li32ELi64ELi256ELb0ELi3EL8MFMAType0EEvPKT_PKT0_S9_ifPKiSB_SB_iPKfiiiPfSE_PS4_PT2_iSD_SD_,comdat
	.protected	_Z39paged_attention_ll4mi_QKV_mfma16_kernelI14__hip_bfloat16hLN4vllm18Fp8KVCacheDataTypeE1ES0_Li32ELi64ELi256ELb0ELi3EL8MFMAType0EEvPKT_PKT0_S9_ifPKiSB_SB_iPKfiiiPfSE_PS4_PT2_iSD_SD_ ; -- Begin function _Z39paged_attention_ll4mi_QKV_mfma16_kernelI14__hip_bfloat16hLN4vllm18Fp8KVCacheDataTypeE1ES0_Li32ELi64ELi256ELb0ELi3EL8MFMAType0EEvPKT_PKT0_S9_ifPKiSB_SB_iPKfiiiPfSE_PS4_PT2_iSD_SD_
	.globl	_Z39paged_attention_ll4mi_QKV_mfma16_kernelI14__hip_bfloat16hLN4vllm18Fp8KVCacheDataTypeE1ES0_Li32ELi64ELi256ELb0ELi3EL8MFMAType0EEvPKT_PKT0_S9_ifPKiSB_SB_iPKfiiiPfSE_PS4_PT2_iSD_SD_
	.p2align	8
	.type	_Z39paged_attention_ll4mi_QKV_mfma16_kernelI14__hip_bfloat16hLN4vllm18Fp8KVCacheDataTypeE1ES0_Li32ELi64ELi256ELb0ELi3EL8MFMAType0EEvPKT_PKT0_S9_ifPKiSB_SB_iPKfiiiPfSE_PS4_PT2_iSD_SD_,@function
_Z39paged_attention_ll4mi_QKV_mfma16_kernelI14__hip_bfloat16hLN4vllm18Fp8KVCacheDataTypeE1ES0_Li32ELi64ELi256ELb0ELi3EL8MFMAType0EEvPKT_PKT0_S9_ifPKiSB_SB_iPKfiiiPfSE_PS4_PT2_iSD_SD_: ; @_Z39paged_attention_ll4mi_QKV_mfma16_kernelI14__hip_bfloat16hLN4vllm18Fp8KVCacheDataTypeE1ES0_Li32ELi64ELi256ELb0ELi3EL8MFMAType0EEvPKT_PKT0_S9_ifPKiSB_SB_iPKfiiiPfSE_PS4_PT2_iSD_SD_
; %bb.0:
	s_load_b64 s[2:3], s[0:1], 0x30
	s_mov_b32 s34, s13
	s_waitcnt lgkmcnt(0)
	s_cmp_lg_u64 s[2:3], 0
	s_cselect_b32 s8, -1, 0
	s_ashr_i32 s35, s13, 31
	s_cmp_eq_u64 s[2:3], 0
	s_cbranch_scc1 .LBB1792_3
; %bb.1:
	s_lshl_b64 s[4:5], s[34:35], 2
	s_delay_alu instid0(SALU_CYCLE_1) | instskip(SKIP_4) | instid1(SALU_CYCLE_1)
	s_add_u32 s4, s2, s4
	s_addc_u32 s5, s3, s5
	s_load_b64 s[4:5], s[4:5], 0x0
	s_waitcnt lgkmcnt(0)
	s_sub_i32 s4, s5, s4
	s_cmp_eq_u32 s4, 1
	s_cselect_b32 s4, -1, 0
	s_delay_alu instid0(SALU_CYCLE_1)
	s_and_not1_b32 vcc_lo, exec_lo, s4
	s_cbranch_vccz .LBB1792_4
.LBB1792_2:
	s_nop 0
	s_sendmsg sendmsg(MSG_DEALLOC_VGPRS)
	s_endpgm
.LBB1792_3:
.LBB1792_4:
	s_load_b64 s[4:5], s[0:1], 0x28
	s_lshl_b64 s[6:7], s[34:35], 2
	s_waitcnt lgkmcnt(0)
	s_add_u32 s4, s4, s6
	s_addc_u32 s5, s5, s7
	s_lshl_b32 s12, s14, 8
	s_load_b32 s24, s[4:5], 0x0
	s_waitcnt lgkmcnt(0)
	s_cmp_ge_i32 s12, s24
	s_cbranch_scc1 .LBB1792_2
; %bb.5:
	s_clause 0x1
	s_load_b128 s[20:23], s[0:1], 0x8
	s_load_b64 s[4:5], s[0:1], 0x20
	s_and_not1_b32 vcc_lo, exec_lo, s8
	s_cbranch_vccnz .LBB1792_7
; %bb.6:
	s_add_u32 s2, s2, s6
	s_addc_u32 s3, s3, s7
	s_load_b32 s3, s[2:3], 0x0
	s_branch .LBB1792_8
.LBB1792_7:
	s_mov_b32 s3, s34
.LBB1792_8:
	s_load_b128 s[16:19], s[0:1], 0x48
	v_lshrrev_b32_e32 v66, 5, v0
	v_bfe_u32 v74, v0, 4, 1
	v_and_b32_e32 v65, 15, v0
	v_and_b32_e32 v67, 31, v0
	;; [unrolled: 1-line block ×3, first 2 shown]
	s_mul_i32 s31, s15, 3
	v_lshl_or_b32 v1, v66, 1, v74
	v_lshlrev_b32_e32 v2, 3, v65
	v_cmp_gt_u32_e64 s2, 8, v65
	s_delay_alu instid0(VALU_DEP_3) | instskip(NEXT) | instid1(VALU_DEP_3)
	v_cmp_gt_u32_e32 vcc_lo, 3, v1
	v_lshlrev_b32_e32 v73, 1, v2
	s_delay_alu instid0(VALU_DEP_3) | instskip(NEXT) | instid1(SALU_CYCLE_1)
	s_and_b32 s7, s2, vcc_lo
	s_and_saveexec_b32 s6, s7
	s_cbranch_execz .LBB1792_10
; %bb.9:
	s_load_b64 s[8:9], s[0:1], 0x0
	v_add_lshl_u32 v2, v1, s31, 6
	s_waitcnt lgkmcnt(0)
	s_mul_hi_i32 s11, s3, s16
	s_mul_i32 s10, s3, s16
	v_lshlrev_b32_e32 v6, 10, v65
	s_lshl_b64 s[10:11], s[10:11], 1
	v_ashrrev_i32_e32 v3, 31, v2
	v_lshlrev_b32_e32 v1, 6, v1
	v_lshlrev_b32_e32 v7, 10, v75
	v_and_b32_e32 v6, 0x3800, v6
	s_delay_alu instid0(VALU_DEP_4) | instskip(NEXT) | instid1(VALU_DEP_2)
	v_lshlrev_b64 v[2:3], 1, v[2:3]
	v_or3_b32 v1, v6, v7, v1
	s_add_u32 s3, s8, s10
	s_addc_u32 s7, s9, s11
	s_delay_alu instid0(VALU_DEP_2) | instskip(NEXT) | instid1(VALU_DEP_3)
	v_add_co_u32 v2, vcc_lo, s3, v2
	v_add_co_ci_u32_e32 v3, vcc_lo, s7, v3, vcc_lo
	s_delay_alu instid0(VALU_DEP_2) | instskip(NEXT) | instid1(VALU_DEP_2)
	v_add_co_u32 v2, vcc_lo, v2, v73
	v_add_co_ci_u32_e32 v3, vcc_lo, 0, v3, vcc_lo
	global_load_b128 v[2:5], v[2:3], off
	s_waitcnt vmcnt(0)
	ds_store_b128 v1, v[2:5]
.LBB1792_10:
	s_or_b32 exec_lo, exec_lo, s6
	v_and_b32_e32 v1, 0xef, v0
	s_waitcnt lgkmcnt(0)
	s_add_i32 s3, s24, 31
	s_clause 0x1
	s_load_b32 s6, s[0:1], 0x38
	s_load_b32 s19, s[0:1], 0x1c
	s_ashr_i32 s7, s3, 31
	v_add_nc_u32_e32 v1, s12, v1
	s_lshr_b32 s7, s7, 27
	s_waitcnt lgkmcnt(0)
	s_add_i32 s3, s3, s7
	s_barrier
	v_ashrrev_i32_e32 v2, 31, v1
	v_or_b32_e32 v3, 16, v1
	s_ashr_i32 s3, s3, 5
	v_cmp_gt_i32_e32 vcc_lo, s24, v1
	s_add_i32 s3, s3, -1
	v_lshrrev_b32_e32 v2, 27, v2
	buffer_gl0_inv
	s_mul_i32 s27, s15, s18
	v_add_nc_u32_e32 v4, v1, v2
	s_mul_i32 s6, s34, s6
	s_delay_alu instid0(SALU_CYCLE_1) | instskip(NEXT) | instid1(VALU_DEP_1)
	s_ashr_i32 s7, s6, 31
	v_ashrrev_i32_e32 v4, 5, v4
	v_add_nc_u32_e32 v2, v3, v2
	s_lshl_b64 s[6:7], s[6:7], 2
	s_delay_alu instid0(SALU_CYCLE_1) | instskip(NEXT) | instid1(VALU_DEP_2)
	s_add_u32 s26, s4, s6
	v_cndmask_b32_e32 v1, s3, v4, vcc_lo
	s_delay_alu instid0(VALU_DEP_2)
	v_ashrrev_i32_e32 v2, 5, v2
	v_cmp_gt_i32_e32 vcc_lo, s24, v3
	s_addc_u32 s25, s5, s7
	s_ashr_i32 s28, s27, 31
	s_add_u32 s4, s20, s27
	s_addc_u32 s5, s21, s28
	v_cndmask_b32_e32 v3, s3, v2, vcc_lo
	v_ashrrev_i32_e32 v2, 31, v1
	s_lshl_b32 s6, s14, 3
	s_delay_alu instid0(SALU_CYCLE_1) | instskip(NEXT) | instid1(VALU_DEP_2)
	s_ashr_i32 s7, s6, 31
	v_ashrrev_i32_e32 v4, 31, v3
	s_delay_alu instid0(VALU_DEP_2) | instskip(SKIP_1) | instid1(SALU_CYCLE_1)
	v_lshlrev_b64 v[1:2], 2, v[1:2]
	s_lshl_b64 s[6:7], s[6:7], 2
	s_add_u32 s6, s26, s6
	s_delay_alu instid0(VALU_DEP_2) | instskip(SKIP_1) | instid1(VALU_DEP_2)
	v_lshlrev_b64 v[3:4], 2, v[3:4]
	s_addc_u32 s7, s25, s7
	v_add_co_u32 v1, vcc_lo, s26, v1
	v_add_co_ci_u32_e32 v2, vcc_lo, s25, v2, vcc_lo
	s_delay_alu instid0(VALU_DEP_3) | instskip(NEXT) | instid1(VALU_DEP_4)
	v_add_co_u32 v3, vcc_lo, s26, v3
	v_add_co_ci_u32_e32 v4, vcc_lo, s25, v4, vcc_lo
	s_clause 0x1
	global_load_b32 v5, v[1:2], off
	global_load_b32 v6, v[3:4], off
	s_or_b32 s8, s12, 32
	s_delay_alu instid0(SALU_CYCLE_1) | instskip(SKIP_2) | instid1(SALU_CYCLE_1)
	s_ashr_i32 s9, s8, 5
	s_cmp_lt_i32 s8, s24
	s_cselect_b32 s8, s9, s3
	s_ashr_i32 s9, s8, 31
	s_delay_alu instid0(SALU_CYCLE_1) | instskip(NEXT) | instid1(SALU_CYCLE_1)
	s_lshl_b64 s[8:9], s[8:9], 2
	s_add_u32 s8, s26, s8
	s_addc_u32 s9, s25, s9
	s_or_b32 s10, s12, 64
	s_delay_alu instid0(SALU_CYCLE_1) | instskip(SKIP_2) | instid1(SALU_CYCLE_1)
	s_ashr_i32 s11, s10, 5
	s_cmp_lt_i32 s10, s24
	s_cselect_b32 s10, s11, s3
	s_ashr_i32 s11, s10, 31
	s_delay_alu instid0(SALU_CYCLE_1) | instskip(NEXT) | instid1(SALU_CYCLE_1)
	s_lshl_b64 s[10:11], s[10:11], 2
	s_add_u32 s10, s26, s10
	s_addc_u32 s11, s25, s11
	;; [unrolled: 10-line block ×5, first 2 shown]
	s_clause 0x5
	s_load_b32 s21, s[6:7], 0x0
	s_load_b32 s13, s[8:9], 0x0
	;; [unrolled: 1-line block ×6, first 2 shown]
	s_or_b32 s9, s12, 0xc0
	s_delay_alu instid0(SALU_CYCLE_1) | instskip(SKIP_2) | instid1(SALU_CYCLE_1)
	s_ashr_i32 s10, s9, 5
	s_cmp_lt_i32 s9, s24
	s_cselect_b32 s36, s10, s3
	s_ashr_i32 s37, s36, 31
	s_delay_alu instid0(SALU_CYCLE_1) | instskip(NEXT) | instid1(SALU_CYCLE_1)
	s_lshl_b64 s[36:37], s[36:37], 2
	s_add_u32 s36, s26, s36
	s_addc_u32 s37, s25, s37
	s_or_b32 s29, s12, 0xe0
	s_delay_alu instid0(SALU_CYCLE_1)
	s_ashr_i32 s30, s29, 5
	s_cmp_lt_i32 s29, s24
	s_waitcnt vmcnt(1)
	v_mad_i64_i32 v[1:2], null, v5, s17, s[4:5]
	s_waitcnt vmcnt(0)
	v_mad_i64_i32 v[3:4], null, v6, s17, s[4:5]
	s_mov_b32 s4, 0
	s_delay_alu instid0(SALU_CYCLE_1)
	s_mov_b32 s5, s4
	s_mov_b32 s6, s4
	;; [unrolled: 1-line block ×7, first 2 shown]
	v_lshlrev_b32_e32 v5, 4, v65
	v_dual_mov_b32 v107, s11 :: v_dual_mov_b32 v102, s6
	v_mov_b32_e32 v106, s10
	v_mov_b32_e32 v104, s8
	s_delay_alu instid0(VALU_DEP_4)
	v_add_co_u32 v1, vcc_lo, v1, v5
	v_add_co_ci_u32_e32 v2, vcc_lo, 0, v2, vcc_lo
	v_add_co_u32 v3, vcc_lo, v3, v5
	v_add_co_ci_u32_e32 v4, vcc_lo, 0, v4, vcc_lo
	s_clause 0x7
	global_load_b128 v[49:52], v[1:2], off
	global_load_b128 v[53:56], v[1:2], off offset:512
	global_load_b128 v[76:79], v[3:4], off offset:256
	global_load_b128 v[80:83], v[3:4], off offset:768
	global_load_b128 v[84:87], v[1:2], off offset:1024
	global_load_b128 v[88:91], v[1:2], off offset:1536
	global_load_b128 v[92:95], v[3:4], off offset:1280
	global_load_b128 v[96:99], v[3:4], off offset:1792
	v_mul_lo_u16 v1, 0x56, v65
	v_mov_b32_e32 v103, s7
	v_dual_mov_b32 v101, s5 :: v_dual_lshlrev_b32 v2, 5, v65
	v_mov_b32_e32 v100, s4
	s_delay_alu instid0(VALU_DEP_4) | instskip(NEXT) | instid1(VALU_DEP_3)
	v_lshrrev_b16 v1, 8, v1
	v_lshl_or_b32 v2, v66, 9, v2
	s_delay_alu instid0(VALU_DEP_2) | instskip(NEXT) | instid1(VALU_DEP_1)
	v_mul_lo_u16 v1, v1, 3
	v_sub_nc_u16 v1, v65, v1
	s_delay_alu instid0(VALU_DEP_1)
	v_and_b32_e32 v1, 0xff, v1
	v_mov_b32_e32 v105, s9
	s_cselect_b32 s4, s30, s3
	s_load_b32 s3, s[36:37], 0x0
	s_ashr_i32 s5, s4, 31
	v_lshlrev_b32_e32 v70, 6, v1
	s_lshl_b64 s[4:5], s[4:5], 2
	ds_load_b128 v[108:111], v70
	ds_load_b128 v[112:115], v70 offset:1024
	s_add_u32 s4, s26, s4
	s_addc_u32 s5, s25, s5
	s_add_u32 s6, s22, s27
	s_load_b32 s4, s[4:5], 0x0
	s_addc_u32 s7, s23, s28
	v_add_co_u32 v9, s6, s6, v2
	s_delay_alu instid0(VALU_DEP_1) | instskip(SKIP_1) | instid1(VALU_DEP_1)
	v_add_co_ci_u32_e64 v10, null, s7, 0, s6
	s_waitcnt lgkmcnt(0)
	v_mad_i64_i32 v[1:2], null, s21, s17, v[9:10]
	v_mad_i64_i32 v[3:4], null, s13, s17, v[9:10]
	;; [unrolled: 1-line block ×7, first 2 shown]
	s_clause 0x9
	global_load_b128 v[57:60], v[1:2], off
	global_load_b128 v[61:64], v[1:2], off offset:16
	global_load_b128 v[41:44], v[3:4], off
	global_load_b128 v[45:48], v[3:4], off offset:16
	;; [unrolled: 2-line block ×5, first 2 shown]
	v_mad_i64_i32 v[68:69], null, s4, s17, v[9:10]
	s_clause 0x3
	global_load_b128 v[9:12], v[13:14], off
	global_load_b128 v[13:16], v[13:14], off offset:16
	global_load_b128 v[17:20], v[21:22], off
	global_load_b128 v[21:24], v[21:22], off offset:16
	s_waitcnt vmcnt(20)
	v_wmma_f32_16x16x16_bf16 v[116:123], v[49:56], v[108:115], v[100:107]
	s_clause 0x1
	global_load_b128 v[49:52], v[68:69], off
	global_load_b128 v[53:56], v[68:69], off offset:16
	v_and_b32_e32 v68, 0xe0, v0
	v_mbcnt_lo_u32_b32 v69, -1, 0
	s_delay_alu instid0(VALU_DEP_2)
	v_add_nc_u32_e32 v68, s12, v68
	s_waitcnt vmcnt(20)
	v_wmma_f32_16x16x16_bf16 v[100:107], v[76:83], v[108:115], v[100:107]
	ds_load_b128 v[76:79], v70 offset:2048
	ds_load_b128 v[80:83], v70 offset:3072
	v_xor_b32_e32 v70, 16, v69
	s_waitcnt vmcnt(0) lgkmcnt(0)
	v_or_b32_e32 v68, v68, v74
	s_barrier
	buffer_gl0_inv
	v_cmp_gt_i32_e32 vcc_lo, 32, v70
	v_or_b32_e32 v71, 4, v68
	v_or_b32_e32 v72, 6, v68
	v_cmp_gt_i32_e64 s3, s24, v68
	v_or_b32_e32 v108, 8, v68
	v_or_b32_e32 v109, 10, v68
	v_cmp_gt_i32_e64 s4, s24, v71
	v_cmp_gt_i32_e64 s5, s24, v72
	s_delay_alu instid0(VALU_DEP_4) | instskip(NEXT) | instid1(VALU_DEP_4)
	v_cmp_gt_i32_e64 s6, s24, v108
	v_cmp_gt_i32_e64 s7, s24, v109
	v_wmma_f32_16x16x16_bf16 v[116:123], v[84:91], v[76:83], v[116:123]
	v_cndmask_b32_e32 v69, v69, v70, vcc_lo
	v_or_b32_e32 v70, 2, v68
	v_wmma_f32_16x16x16_bf16 v[100:107], v[92:99], v[76:83], v[100:107]
	v_or_b32_e32 v84, 12, v68
	v_dual_mul_f32 v78, s19, v123 :: v_dual_mul_f32 v83, s19, v118
	v_dual_mul_f32 v92, s19, v117 :: v_dual_mul_f32 v93, s19, v116
	s_delay_alu instid0(VALU_DEP_4) | instskip(SKIP_2) | instid1(VALU_DEP_4)
	v_mul_f32_e32 v94, s19, v107
	v_cmp_gt_i32_e32 vcc_lo, s24, v70
	v_dual_mul_f32 v81, s19, v120 :: v_dual_mul_f32 v82, s19, v119
	v_cndmask_b32_e64 v93, 0xff7fffff, v93, s3
	v_or_b32_e32 v85, 14, v68
	v_cndmask_b32_e32 v92, 0xff7fffff, v92, vcc_lo
	v_dual_mul_f32 v79, s19, v122 :: v_dual_mul_f32 v80, s19, v121
	v_cndmask_b32_e64 v71, 0xff7fffff, v83, s4
	v_cndmask_b32_e64 v72, 0xff7fffff, v82, s5
	s_delay_alu instid0(VALU_DEP_4)
	v_max3_f32 v82, v93, 0xff7fffff, v92
	v_or_b32_e32 v86, 16, v68
	v_or_b32_e32 v87, 18, v68
	v_cndmask_b32_e64 v81, 0xff7fffff, v81, s6
	v_cndmask_b32_e64 v80, 0xff7fffff, v80, s7
	v_max3_f32 v71, v82, v71, v72
	v_cmp_gt_i32_e64 s8, s24, v84
	v_cmp_gt_i32_e64 s9, s24, v85
	v_or_b32_e32 v88, 20, v68
	v_or_b32_e32 v89, 22, v68
	;; [unrolled: 1-line block ×6, first 2 shown]
	v_dual_mul_f32 v99, s19, v102 :: v_dual_mul_f32 v70, s19, v101
	v_mul_f32_e32 v68, s19, v100
	v_cndmask_b32_e64 v72, 0xff7fffff, v79, s8
	v_cndmask_b32_e64 v78, 0xff7fffff, v78, s9
	v_max3_f32 v71, v71, v81, v80
	v_cmp_gt_i32_e64 s10, s24, v86
	v_cmp_gt_i32_e64 s11, s24, v87
	v_dual_mul_f32 v97, s19, v104 :: v_dual_mul_f32 v98, s19, v103
	s_delay_alu instid0(VALU_DEP_4) | instskip(SKIP_1) | instid1(VALU_DEP_4)
	v_max3_f32 v71, v71, v72, v78
	v_cmp_gt_i32_e64 s12, s24, v88
	v_cndmask_b32_e64 v70, 0xff7fffff, v70, s11
	v_cmp_gt_i32_e64 s13, s24, v89
	v_lshlrev_b32_e32 v89, 2, v69
	v_cndmask_b32_e64 v68, 0xff7fffff, v68, s10
	v_dual_mul_f32 v95, s19, v106 :: v_dual_mul_f32 v96, s19, v105
	v_cndmask_b32_e64 v72, 0xff7fffff, v99, s12
	v_cndmask_b32_e64 v78, 0xff7fffff, v98, s13
	s_delay_alu instid0(VALU_DEP_4)
	v_max3_f32 v68, v71, v68, v70
	v_cmp_gt_i32_e64 s15, s24, v90
	v_cmp_gt_i32_e64 s16, s24, v91
	;; [unrolled: 1-line block ×4, first 2 shown]
	v_max3_f32 v68, v68, v72, v78
	v_cndmask_b32_e64 v70, 0xff7fffff, v97, s15
	v_cndmask_b32_e64 v71, 0xff7fffff, v96, s16
	;; [unrolled: 1-line block ×4, first 2 shown]
	s_delay_alu instid0(VALU_DEP_3) | instskip(NEXT) | instid1(VALU_DEP_1)
	v_max3_f32 v68, v68, v70, v71
	v_max3_f32 v68, v68, v72, v76
	ds_bpermute_b32 v69, v89, v68
	s_waitcnt lgkmcnt(0)
	v_max_f32_e32 v69, v69, v69
	s_delay_alu instid0(VALU_DEP_1) | instskip(NEXT) | instid1(VALU_DEP_1)
	v_max_f32_e32 v68, v68, v69
	v_fma_f32 v71, s19, v118, -v68
	s_delay_alu instid0(VALU_DEP_1)
	v_mul_f32_e32 v71, 0x3fb8aa3b, v71
	v_fma_f32 v69, s19, v116, -v68
	v_fma_f32 v70, s19, v117, -v68
	;; [unrolled: 1-line block ×4, first 2 shown]
	v_exp_f32_e32 v71, v71
	s_delay_alu instid0(VALU_DEP_3) | instskip(SKIP_2) | instid1(VALU_DEP_3)
	v_dual_mul_f32 v69, 0x3fb8aa3b, v69 :: v_dual_mul_f32 v70, 0x3fb8aa3b, v70
	v_fma_f32 v78, s19, v122, -v68
	v_fma_f32 v81, s19, v105, -v68
	v_exp_f32_e32 v69, v69
	s_delay_alu instid0(VALU_DEP_3) | instskip(SKIP_1) | instid1(VALU_DEP_2)
	v_exp_f32_e32 v70, v70
	v_mul_f32_e32 v77, 0x3fb8aa3b, v76
	v_mul_f32_e32 v81, 0x3fb8aa3b, v81
	s_delay_alu instid0(TRANS32_DEP_3) | instskip(SKIP_1) | instid1(VALU_DEP_3)
	v_cndmask_b32_e64 v83, 0, v71, s4
	v_fma_f32 v71, s19, v123, -v68
	v_exp_f32_e32 v81, v81
	s_delay_alu instid0(TRANS32_DEP_3) | instskip(NEXT) | instid1(TRANS32_DEP_2)
	v_cndmask_b32_e64 v80, 0, v69, s3
	v_cndmask_b32_e32 v76, 0, v70, vcc_lo
	v_fma_f32 v69, s19, v121, -v68
	v_mul_f32_e32 v72, 0x3fb8aa3b, v72
	v_exp_f32_e32 v77, v77
	v_dual_add_f32 v70, 0, v80 :: v_dual_mul_f32 v71, 0x3fb8aa3b, v71
	s_delay_alu instid0(VALU_DEP_3) | instskip(NEXT) | instid1(VALU_DEP_3)
	v_mul_f32_e32 v69, 0x3fb8aa3b, v69
	v_exp_f32_e32 v72, v72
	v_cmp_gt_u32_e64 s3, 16, v67
	s_delay_alu instid0(VALU_DEP_3) | instskip(NEXT) | instid1(VALU_DEP_2)
	v_exp_f32_e32 v71, v71
	v_exp_f32_e32 v69, v69
	v_cndmask_b32_e64 v86, 0, v77, s6
	v_fma_f32 v77, s19, v101, -v68
	v_add_f32_e32 v70, v70, v76
	s_delay_alu instid0(TRANS32_DEP_3) | instskip(SKIP_1) | instid1(VALU_DEP_3)
	v_cndmask_b32_e64 v85, 0, v72, s5
	v_fma_f32 v72, s19, v100, -v68
	v_dual_mul_f32 v77, 0x3fb8aa3b, v77 :: v_dual_add_f32 v70, v70, v83
	s_delay_alu instid0(TRANS32_DEP_2) | instskip(SKIP_1) | instid1(TRANS32_DEP_1)
	v_cndmask_b32_e64 v88, 0, v71, s9
	v_fma_f32 v71, s19, v104, -v68
	v_cndmask_b32_e64 v87, 0, v69, s7
	s_delay_alu instid0(VALU_DEP_4) | instskip(NEXT) | instid1(VALU_DEP_2)
	v_exp_f32_e32 v77, v77
	v_dual_add_f32 v70, v70, v85 :: v_dual_mul_f32 v71, 0x3fb8aa3b, v71
	s_delay_alu instid0(VALU_DEP_1) | instskip(SKIP_2) | instid1(VALU_DEP_3)
	v_dual_mul_f32 v72, 0x3fb8aa3b, v72 :: v_dual_add_f32 v69, v70, v86
	v_mul_f32_e32 v78, 0x3fb8aa3b, v78
	v_fma_f32 v70, s19, v102, -v68
	v_exp_f32_e32 v72, v72
	v_exp_f32_e32 v82, v71
	v_add_f32_e32 v69, v69, v87
	v_exp_f32_e32 v78, v78
	v_mul_f32_e32 v70, 0x3fb8aa3b, v70
	s_delay_alu instid0(VALU_DEP_1) | instskip(SKIP_4) | instid1(VALU_DEP_2)
	v_exp_f32_e32 v79, v70
	v_cndmask_b32_e64 v70, 0, v72, s10
	s_waitcnt_depctr 0xfff
	v_cndmask_b32_e64 v84, 0, v78, s8
	v_fma_f32 v78, s19, v103, -v68
	v_add_f32_e32 v69, v69, v84
	v_cndmask_b32_e64 v71, 0, v79, s12
	s_delay_alu instid0(VALU_DEP_2) | instskip(SKIP_2) | instid1(VALU_DEP_1)
	v_add_f32_e32 v72, v69, v88
	v_cndmask_b32_e64 v69, 0, v77, s11
	v_fma_f32 v77, s19, v106, -v68
	v_dual_mul_f32 v77, 0x3fb8aa3b, v77 :: v_dual_add_f32 v72, v72, v70
	v_mul_f32_e32 v78, 0x3fb8aa3b, v78
	s_delay_alu instid0(VALU_DEP_2) | instskip(NEXT) | instid1(VALU_DEP_2)
	v_exp_f32_e32 v90, v77
	v_add_f32_e32 v79, v72, v69
	s_delay_alu instid0(VALU_DEP_2)
	v_exp_f32_e32 v78, v78
	v_cndmask_b32_e64 v77, 0, v82, s15
	s_waitcnt_depctr 0xfff
	v_cndmask_b32_e64 v72, 0, v78, s13
	v_add_f32_e32 v78, v79, v71
	v_fma_f32 v79, s19, v107, -v68
	s_delay_alu instid0(VALU_DEP_1) | instskip(SKIP_1) | instid1(VALU_DEP_2)
	v_dual_add_f32 v82, v78, v72 :: v_dual_mul_f32 v79, 0x3fb8aa3b, v79
	v_cndmask_b32_e64 v78, 0, v81, s16
	v_add_f32_e32 v81, v82, v77
	s_delay_alu instid0(VALU_DEP_3) | instskip(SKIP_1) | instid1(VALU_DEP_2)
	v_exp_f32_e32 v82, v79
	v_cndmask_b32_e64 v79, 0, v90, s17
	v_add_f32_e32 v81, v81, v78
	s_delay_alu instid0(VALU_DEP_1) | instskip(SKIP_2) | instid1(VALU_DEP_1)
	v_add_f32_e32 v90, v81, v79
	s_waitcnt_depctr 0xfff
	v_cndmask_b32_e64 v81, 0, v82, s18
	v_add_f32_e32 v82, v90, v81
	ds_bpermute_b32 v89, v89, v82
	s_and_saveexec_b32 s4, s3
	s_cbranch_execz .LBB1792_12
; %bb.11:
	v_mul_u32_u24_e32 v67, 0x44, v66
	s_delay_alu instid0(VALU_DEP_1) | instskip(SKIP_1) | instid1(VALU_DEP_1)
	v_lshl_add_u32 v67, v65, 2, v67
	s_waitcnt lgkmcnt(0)
	v_dual_add_f32 v82, v82, v89 :: v_dual_add_nc_u32 v67, 0x4000, v67
	ds_store_2addr_b32 v67, v68, v82 offset1:136
.LBB1792_12:
	s_or_b32 exec_lo, exec_lo, s4
	v_lshlrev_b32_e32 v67, 2, v65
	s_waitcnt lgkmcnt(0)
	s_barrier
	buffer_gl0_inv
	v_cmp_eq_u32_e32 vcc_lo, 1, v66
	v_add_nc_u32_e32 v82, 0x4000, v67
	v_cmp_eq_u32_e64 s4, 2, v66
	v_cmp_eq_u32_e64 s6, 7, v66
	ds_load_2addr_b32 v[89:90], v82 offset1:17
	ds_load_2addr_b32 v[91:92], v82 offset0:34 offset1:51
	ds_load_2addr_b32 v[93:94], v82 offset0:68 offset1:85
	;; [unrolled: 1-line block ×4, first 2 shown]
	s_waitcnt lgkmcnt(4)
	v_max3_f32 v67, v89, 0xff7fffff, v90
	s_waitcnt lgkmcnt(3)
	s_delay_alu instid0(VALU_DEP_1) | instskip(SKIP_1) | instid1(VALU_DEP_1)
	v_max3_f32 v67, v67, v91, v92
	s_waitcnt lgkmcnt(2)
	v_max3_f32 v67, v67, v93, v94
	s_waitcnt lgkmcnt(1)
	s_delay_alu instid0(VALU_DEP_1) | instskip(NEXT) | instid1(VALU_DEP_1)
	v_max3_f32 v67, v67, v95, v96
	v_sub_f32_e32 v93, v93, v67
	s_delay_alu instid0(VALU_DEP_1) | instskip(NEXT) | instid1(VALU_DEP_1)
	v_dual_sub_f32 v68, v89, v67 :: v_dual_mul_f32 v103, 0x3fb8aa3b, v93
	v_mul_f32_e32 v68, 0x3fb8aa3b, v68
	s_delay_alu instid0(VALU_DEP_1)
	v_exp_f32_e32 v100, v68
	v_sub_f32_e32 v68, v92, v67
	v_sub_f32_e32 v99, v90, v67
	ds_load_2addr_b32 v[89:90], v82 offset0:170 offset1:187
	v_dual_mul_f32 v102, 0x3fb8aa3b, v68 :: v_dual_mul_f32 v99, 0x3fb8aa3b, v99
	s_waitcnt lgkmcnt(1)
	v_fma_f32 v68, v100, v97, 0
	s_delay_alu instid0(VALU_DEP_2) | instskip(NEXT) | instid1(VALU_DEP_2)
	v_exp_f32_e32 v102, v102
	v_exp_f32_e32 v99, v99
	s_waitcnt_depctr 0xfff
	v_fmac_f32_e32 v68, v99, v98
	v_sub_f32_e32 v91, v91, v67
	s_delay_alu instid0(VALU_DEP_1)
	v_mul_f32_e32 v101, 0x3fb8aa3b, v91
	ds_load_2addr_b32 v[91:92], v82 offset0:204 offset1:221
	v_sub_f32_e32 v97, v94, v67
	ds_load_2addr_b32 v[93:94], v82 offset0:238 offset1:255
	s_waitcnt lgkmcnt(0)
	v_exp_f32_e32 v101, v101
	s_barrier
	buffer_gl0_inv
	v_dual_fmac_f32 v68, v101, v89 :: v_dual_sub_f32 v89, v96, v67
	v_dual_sub_f32 v82, v95, v67 :: v_dual_mul_f32 v95, 0x3fb8aa3b, v97
	v_exp_f32_e32 v97, v103
	s_delay_alu instid0(VALU_DEP_2) | instskip(NEXT) | instid1(VALU_DEP_2)
	v_dual_fmac_f32 v68, v102, v90 :: v_dual_mul_f32 v89, 0x3fb8aa3b, v89
	v_mul_f32_e32 v82, 0x3fb8aa3b, v82
	s_delay_alu instid0(VALU_DEP_3) | instskip(NEXT) | instid1(VALU_DEP_2)
	v_exp_f32_e32 v95, v95
	v_exp_f32_e32 v89, v89
	s_delay_alu instid0(VALU_DEP_1)
	v_exp_f32_e32 v82, v82
	v_fmac_f32_e32 v68, v97, v91
	s_delay_alu instid0(TRANS32_DEP_3) | instid1(VALU_DEP_1)
	v_fmac_f32_e32 v68, v95, v92
	s_waitcnt_depctr 0xfff
	v_fmac_f32_e32 v68, v82, v93
	s_delay_alu instid0(VALU_DEP_1) | instskip(NEXT) | instid1(VALU_DEP_1)
	v_fmac_f32_e32 v68, v89, v94
	v_add_f32_e32 v90, 0x358637bd, v68
	s_delay_alu instid0(VALU_DEP_1) | instskip(NEXT) | instid1(VALU_DEP_1)
	v_div_scale_f32 v91, null, v90, v90, 1.0
	v_rcp_f32_e32 v92, v91
	s_waitcnt_depctr 0xfff
	v_fma_f32 v93, -v91, v92, 1.0
	s_delay_alu instid0(VALU_DEP_1) | instskip(SKIP_1) | instid1(VALU_DEP_2)
	v_dual_fmac_f32 v92, v93, v92 :: v_dual_cndmask_b32 v93, v100, v99
	v_cmp_eq_u32_e32 vcc_lo, 3, v66
	v_cndmask_b32_e64 v93, v93, v101, s4
	v_cmp_eq_u32_e64 s4, 4, v66
	s_delay_alu instid0(VALU_DEP_2) | instskip(SKIP_1) | instid1(VALU_DEP_2)
	v_cndmask_b32_e32 v93, v93, v102, vcc_lo
	v_cmp_eq_u32_e32 vcc_lo, 5, v66
	v_cndmask_b32_e64 v93, v93, v97, s4
	v_cmp_eq_u32_e64 s4, 6, v66
	s_delay_alu instid0(VALU_DEP_2) | instskip(SKIP_1) | instid1(VALU_DEP_1)
	v_cndmask_b32_e32 v93, v93, v95, vcc_lo
	v_div_scale_f32 v94, s5, 1.0, v90, 1.0
	s_mov_b32 vcc_lo, s5
	s_delay_alu instid0(VALU_DEP_2) | instskip(NEXT) | instid1(VALU_DEP_2)
	v_cndmask_b32_e64 v82, v93, v82, s4
	v_mul_f32_e32 v96, v94, v92
	s_mov_b32 s4, exec_lo
	s_delay_alu instid0(VALU_DEP_2) | instskip(NEXT) | instid1(VALU_DEP_2)
	v_cndmask_b32_e64 v82, v82, v89, s6
	v_fma_f32 v98, -v91, v96, v94
	s_delay_alu instid0(VALU_DEP_1) | instskip(NEXT) | instid1(VALU_DEP_1)
	v_fmac_f32_e32 v96, v98, v92
	v_fma_f32 v91, -v91, v96, v94
	s_delay_alu instid0(VALU_DEP_1) | instskip(NEXT) | instid1(VALU_DEP_1)
	v_div_fmas_f32 v91, v91, v92, v96
	v_div_fixup_f32 v90, v91, v90, 1.0
	s_delay_alu instid0(VALU_DEP_1) | instskip(NEXT) | instid1(VALU_DEP_1)
	v_mul_f32_e32 v82, v82, v90
	v_mul_f32_e32 v87, v82, v87
	;; [unrolled: 1-line block ×7, first 2 shown]
	v_dual_mul_f32 v86, v82, v83 :: v_dual_and_b32 v91, 0x7f800000, v90
	v_mul_f32_e32 v85, v82, v76
                                        ; implicit-def: $vgpr76
	s_delay_alu instid0(VALU_DEP_2)
	v_cmpx_ne_u32_e32 0x7f800000, v91
	s_xor_b32 s4, exec_lo, s4
; %bb.13:
	v_bfe_u32 v76, v90, 16, 1
	s_delay_alu instid0(VALU_DEP_1)
	v_add3_u32 v76, v90, v76, 0x7fff
                                        ; implicit-def: $vgpr90
; %bb.14:
	s_and_not1_saveexec_b32 s4, s4
; %bb.15:
	v_and_b32_e32 v76, 0xffff, v90
	v_or_b32_e32 v83, 0x10000, v90
	s_delay_alu instid0(VALU_DEP_2) | instskip(NEXT) | instid1(VALU_DEP_2)
	v_cmp_eq_u32_e32 vcc_lo, 0, v76
	v_cndmask_b32_e32 v76, v83, v90, vcc_lo
; %bb.16:
	s_or_b32 exec_lo, exec_lo, s4
	v_and_b32_e32 v83, 0x7f800000, v85
	s_delay_alu instid0(VALU_DEP_1) | instskip(SKIP_1) | instid1(SALU_CYCLE_1)
	v_cmp_ne_u32_e32 vcc_lo, 0x7f800000, v83
                                        ; implicit-def: $vgpr83
	s_and_saveexec_b32 s4, vcc_lo
	s_xor_b32 s4, exec_lo, s4
; %bb.17:
	v_bfe_u32 v83, v85, 16, 1
	s_delay_alu instid0(VALU_DEP_1)
	v_add3_u32 v83, v85, v83, 0x7fff
                                        ; implicit-def: $vgpr85
; %bb.18:
	s_and_not1_saveexec_b32 s4, s4
; %bb.19:
	v_and_b32_e32 v83, 0xffff, v85
	v_or_b32_e32 v90, 0x10000, v85
	s_delay_alu instid0(VALU_DEP_2) | instskip(NEXT) | instid1(VALU_DEP_2)
	v_cmp_eq_u32_e32 vcc_lo, 0, v83
	v_cndmask_b32_e32 v83, v90, v85, vcc_lo
; %bb.20:
	s_or_b32 exec_lo, exec_lo, s4
	v_and_b32_e32 v85, 0x7f800000, v86
	s_delay_alu instid0(VALU_DEP_1) | instskip(SKIP_1) | instid1(SALU_CYCLE_1)
	v_cmp_ne_u32_e32 vcc_lo, 0x7f800000, v85
                                        ; implicit-def: $vgpr85
	s_and_saveexec_b32 s4, vcc_lo
	s_xor_b32 s4, exec_lo, s4
; %bb.21:
	v_bfe_u32 v85, v86, 16, 1
	s_delay_alu instid0(VALU_DEP_1)
	v_add3_u32 v85, v86, v85, 0x7fff
                                        ; implicit-def: $vgpr86
; %bb.22:
	s_and_not1_saveexec_b32 s4, s4
; %bb.23:
	v_and_b32_e32 v85, 0xffff, v86
	v_or_b32_e32 v90, 0x10000, v86
	s_delay_alu instid0(VALU_DEP_2) | instskip(NEXT) | instid1(VALU_DEP_2)
	v_cmp_eq_u32_e32 vcc_lo, 0, v85
	v_cndmask_b32_e32 v85, v90, v86, vcc_lo
; %bb.24:
	s_or_b32 exec_lo, exec_lo, s4
	v_and_b32_e32 v86, 0x7f800000, v89
	s_delay_alu instid0(VALU_DEP_1) | instskip(SKIP_1) | instid1(SALU_CYCLE_1)
	v_cmp_ne_u32_e32 vcc_lo, 0x7f800000, v86
                                        ; implicit-def: $vgpr86
	s_and_saveexec_b32 s4, vcc_lo
	s_xor_b32 s4, exec_lo, s4
; %bb.25:
	v_bfe_u32 v86, v89, 16, 1
	s_delay_alu instid0(VALU_DEP_1)
	v_add3_u32 v86, v89, v86, 0x7fff
                                        ; implicit-def: $vgpr89
; %bb.26:
	s_and_not1_saveexec_b32 s4, s4
; %bb.27:
	v_and_b32_e32 v86, 0xffff, v89
	v_or_b32_e32 v90, 0x10000, v89
	s_delay_alu instid0(VALU_DEP_2) | instskip(NEXT) | instid1(VALU_DEP_2)
	v_cmp_eq_u32_e32 vcc_lo, 0, v86
	v_cndmask_b32_e32 v86, v90, v89, vcc_lo
; %bb.28:
	s_or_b32 exec_lo, exec_lo, s4
	v_and_b32_e32 v89, 0x7f800000, v88
	s_delay_alu instid0(VALU_DEP_1) | instskip(SKIP_1) | instid1(SALU_CYCLE_1)
	v_cmp_ne_u32_e32 vcc_lo, 0x7f800000, v89
                                        ; implicit-def: $vgpr89
	s_and_saveexec_b32 s4, vcc_lo
	s_xor_b32 s4, exec_lo, s4
; %bb.29:
	v_bfe_u32 v89, v88, 16, 1
	s_delay_alu instid0(VALU_DEP_1)
	v_add3_u32 v89, v88, v89, 0x7fff
                                        ; implicit-def: $vgpr88
; %bb.30:
	s_and_not1_saveexec_b32 s4, s4
; %bb.31:
	v_and_b32_e32 v89, 0xffff, v88
	v_or_b32_e32 v90, 0x10000, v88
	s_delay_alu instid0(VALU_DEP_2) | instskip(NEXT) | instid1(VALU_DEP_2)
	v_cmp_eq_u32_e32 vcc_lo, 0, v89
	v_cndmask_b32_e32 v89, v90, v88, vcc_lo
; %bb.32:
	s_or_b32 exec_lo, exec_lo, s4
	v_and_b32_e32 v88, 0x7f800000, v87
	s_delay_alu instid0(VALU_DEP_1) | instskip(SKIP_1) | instid1(SALU_CYCLE_1)
	v_cmp_ne_u32_e32 vcc_lo, 0x7f800000, v88
                                        ; implicit-def: $vgpr88
	s_and_saveexec_b32 s4, vcc_lo
	s_xor_b32 s4, exec_lo, s4
; %bb.33:
	v_bfe_u32 v88, v87, 16, 1
	s_delay_alu instid0(VALU_DEP_1)
	v_add3_u32 v88, v87, v88, 0x7fff
                                        ; implicit-def: $vgpr87
; %bb.34:
	s_and_not1_saveexec_b32 s4, s4
; %bb.35:
	v_and_b32_e32 v88, 0xffff, v87
	v_or_b32_e32 v90, 0x10000, v87
	s_delay_alu instid0(VALU_DEP_2) | instskip(NEXT) | instid1(VALU_DEP_2)
	v_cmp_eq_u32_e32 vcc_lo, 0, v88
	v_cndmask_b32_e32 v88, v90, v87, vcc_lo
; %bb.36:
	s_or_b32 exec_lo, exec_lo, s4
	v_and_b32_e32 v87, 0x7f800000, v84
	s_delay_alu instid0(VALU_DEP_1) | instskip(SKIP_1) | instid1(SALU_CYCLE_1)
	v_cmp_ne_u32_e32 vcc_lo, 0x7f800000, v87
                                        ; implicit-def: $vgpr87
	s_and_saveexec_b32 s4, vcc_lo
	s_xor_b32 s4, exec_lo, s4
; %bb.37:
	v_bfe_u32 v87, v84, 16, 1
	s_delay_alu instid0(VALU_DEP_1)
	v_add3_u32 v87, v84, v87, 0x7fff
                                        ; implicit-def: $vgpr84
; %bb.38:
	s_and_not1_saveexec_b32 s4, s4
; %bb.39:
	v_and_b32_e32 v87, 0xffff, v84
	v_or_b32_e32 v90, 0x10000, v84
	s_delay_alu instid0(VALU_DEP_2) | instskip(NEXT) | instid1(VALU_DEP_2)
	v_cmp_eq_u32_e32 vcc_lo, 0, v87
	v_cndmask_b32_e32 v87, v90, v84, vcc_lo
; %bb.40:
	s_or_b32 exec_lo, exec_lo, s4
	v_and_b32_e32 v84, 0x7f800000, v80
	s_delay_alu instid0(VALU_DEP_1) | instskip(SKIP_1) | instid1(SALU_CYCLE_1)
	v_cmp_ne_u32_e32 vcc_lo, 0x7f800000, v84
                                        ; implicit-def: $vgpr84
	s_and_saveexec_b32 s4, vcc_lo
	s_xor_b32 s4, exec_lo, s4
; %bb.41:
	v_bfe_u32 v84, v80, 16, 1
	s_delay_alu instid0(VALU_DEP_1)
	v_add3_u32 v84, v80, v84, 0x7fff
                                        ; implicit-def: $vgpr80
; %bb.42:
	s_and_not1_saveexec_b32 s4, s4
; %bb.43:
	v_and_b32_e32 v84, 0xffff, v80
	v_or_b32_e32 v90, 0x10000, v80
	s_delay_alu instid0(VALU_DEP_2) | instskip(NEXT) | instid1(VALU_DEP_2)
	v_cmp_eq_u32_e32 vcc_lo, 0, v84
	v_cndmask_b32_e32 v84, v90, v80, vcc_lo
; %bb.44:
	s_or_b32 exec_lo, exec_lo, s4
	s_load_b64 s[36:37], s[0:1], 0x94
	v_lshlrev_b32_e32 v91, 4, v74
	s_delay_alu instid0(VALU_DEP_2)
	v_perm_b32 v90, v84, v87, 0x7060302
	v_dual_mul_f32 v79, v82, v79 :: v_dual_lshlrev_b32 v80, 6, v65
	v_dual_mul_f32 v77, v82, v77 :: v_dual_lshlrev_b32 v92, 11, v66
	v_mul_f32_e32 v84, v82, v70
	v_perm_b32 v89, v88, v89, 0x7060302
	v_perm_b32 v88, v86, v85, 0x7060302
	;; [unrolled: 1-line block ×3, first 2 shown]
	v_mul_f32_e32 v70, v82, v81
	v_or3_b32 v76, v91, v92, v80
	v_dual_mul_f32 v78, v82, v78 :: v_dual_and_b32 v85, 0x7f800000, v84
	v_mul_f32_e32 v83, v82, v72
	v_mul_f32_e32 v81, v82, v71
	;; [unrolled: 1-line block ×3, first 2 shown]
	s_mov_b32 s4, exec_lo
	ds_store_b128 v76, v[87:90]
                                        ; implicit-def: $vgpr69
	v_cmpx_ne_u32_e32 0x7f800000, v85
	s_xor_b32 s4, exec_lo, s4
; %bb.45:
	v_bfe_u32 v69, v84, 16, 1
	s_delay_alu instid0(VALU_DEP_1)
	v_add3_u32 v69, v84, v69, 0x7fff
                                        ; implicit-def: $vgpr84
; %bb.46:
	s_and_not1_saveexec_b32 s4, s4
; %bb.47:
	v_and_b32_e32 v69, 0xffff, v84
	v_or_b32_e32 v71, 0x10000, v84
	s_delay_alu instid0(VALU_DEP_2) | instskip(NEXT) | instid1(VALU_DEP_2)
	v_cmp_eq_u32_e32 vcc_lo, 0, v69
	v_cndmask_b32_e32 v69, v71, v84, vcc_lo
; %bb.48:
	s_or_b32 exec_lo, exec_lo, s4
	v_and_b32_e32 v71, 0x7f800000, v72
	s_delay_alu instid0(VALU_DEP_1) | instskip(SKIP_1) | instid1(SALU_CYCLE_1)
	v_cmp_ne_u32_e32 vcc_lo, 0x7f800000, v71
                                        ; implicit-def: $vgpr71
	s_and_saveexec_b32 s4, vcc_lo
	s_xor_b32 s4, exec_lo, s4
; %bb.49:
	v_bfe_u32 v71, v72, 16, 1
	s_delay_alu instid0(VALU_DEP_1)
	v_add3_u32 v71, v72, v71, 0x7fff
                                        ; implicit-def: $vgpr72
; %bb.50:
	s_and_not1_saveexec_b32 s4, s4
; %bb.51:
	v_and_b32_e32 v71, 0xffff, v72
	v_or_b32_e32 v82, 0x10000, v72
	s_delay_alu instid0(VALU_DEP_2) | instskip(NEXT) | instid1(VALU_DEP_2)
	v_cmp_eq_u32_e32 vcc_lo, 0, v71
	v_cndmask_b32_e32 v71, v82, v72, vcc_lo
; %bb.52:
	s_or_b32 exec_lo, exec_lo, s4
	v_and_b32_e32 v72, 0x7f800000, v81
	s_delay_alu instid0(VALU_DEP_1) | instskip(SKIP_1) | instid1(SALU_CYCLE_1)
	v_cmp_ne_u32_e32 vcc_lo, 0x7f800000, v72
                                        ; implicit-def: $vgpr72
	s_and_saveexec_b32 s4, vcc_lo
	s_xor_b32 s4, exec_lo, s4
; %bb.53:
	v_bfe_u32 v72, v81, 16, 1
	s_delay_alu instid0(VALU_DEP_1)
	v_add3_u32 v72, v81, v72, 0x7fff
                                        ; implicit-def: $vgpr81
; %bb.54:
	s_and_not1_saveexec_b32 s4, s4
; %bb.55:
	v_and_b32_e32 v72, 0xffff, v81
	v_or_b32_e32 v82, 0x10000, v81
	s_delay_alu instid0(VALU_DEP_2) | instskip(NEXT) | instid1(VALU_DEP_2)
	v_cmp_eq_u32_e32 vcc_lo, 0, v72
	v_cndmask_b32_e32 v72, v82, v81, vcc_lo
; %bb.56:
	s_or_b32 exec_lo, exec_lo, s4
	v_and_b32_e32 v81, 0x7f800000, v83
	s_delay_alu instid0(VALU_DEP_1) | instskip(SKIP_1) | instid1(SALU_CYCLE_1)
	v_cmp_ne_u32_e32 vcc_lo, 0x7f800000, v81
                                        ; implicit-def: $vgpr81
	s_and_saveexec_b32 s4, vcc_lo
	s_xor_b32 s4, exec_lo, s4
; %bb.57:
	v_bfe_u32 v81, v83, 16, 1
	s_delay_alu instid0(VALU_DEP_1)
	v_add3_u32 v81, v83, v81, 0x7fff
                                        ; implicit-def: $vgpr83
; %bb.58:
	s_and_not1_saveexec_b32 s4, s4
; %bb.59:
	v_and_b32_e32 v81, 0xffff, v83
	v_or_b32_e32 v82, 0x10000, v83
	s_delay_alu instid0(VALU_DEP_2) | instskip(NEXT) | instid1(VALU_DEP_2)
	v_cmp_eq_u32_e32 vcc_lo, 0, v81
	v_cndmask_b32_e32 v81, v82, v83, vcc_lo
; %bb.60:
	s_or_b32 exec_lo, exec_lo, s4
	v_and_b32_e32 v82, 0x7f800000, v77
	s_delay_alu instid0(VALU_DEP_1) | instskip(SKIP_1) | instid1(SALU_CYCLE_1)
	v_cmp_ne_u32_e32 vcc_lo, 0x7f800000, v82
                                        ; implicit-def: $vgpr82
	s_and_saveexec_b32 s4, vcc_lo
	s_xor_b32 s4, exec_lo, s4
; %bb.61:
	v_bfe_u32 v82, v77, 16, 1
	s_delay_alu instid0(VALU_DEP_1)
	v_add3_u32 v82, v77, v82, 0x7fff
                                        ; implicit-def: $vgpr77
; %bb.62:
	s_and_not1_saveexec_b32 s4, s4
; %bb.63:
	v_and_b32_e32 v82, 0xffff, v77
	v_or_b32_e32 v83, 0x10000, v77
	s_delay_alu instid0(VALU_DEP_2) | instskip(NEXT) | instid1(VALU_DEP_2)
	v_cmp_eq_u32_e32 vcc_lo, 0, v82
	v_cndmask_b32_e32 v82, v83, v77, vcc_lo
; %bb.64:
	s_or_b32 exec_lo, exec_lo, s4
	v_and_b32_e32 v77, 0x7f800000, v78
	s_delay_alu instid0(VALU_DEP_1) | instskip(SKIP_1) | instid1(SALU_CYCLE_1)
	v_cmp_ne_u32_e32 vcc_lo, 0x7f800000, v77
                                        ; implicit-def: $vgpr77
	s_and_saveexec_b32 s4, vcc_lo
	s_xor_b32 s4, exec_lo, s4
; %bb.65:
	v_bfe_u32 v77, v78, 16, 1
	s_delay_alu instid0(VALU_DEP_1)
	v_add3_u32 v77, v78, v77, 0x7fff
                                        ; implicit-def: $vgpr78
; %bb.66:
	s_and_not1_saveexec_b32 s4, s4
; %bb.67:
	v_and_b32_e32 v77, 0xffff, v78
	v_or_b32_e32 v83, 0x10000, v78
	s_delay_alu instid0(VALU_DEP_2) | instskip(NEXT) | instid1(VALU_DEP_2)
	v_cmp_eq_u32_e32 vcc_lo, 0, v77
	v_cndmask_b32_e32 v77, v83, v78, vcc_lo
; %bb.68:
	s_or_b32 exec_lo, exec_lo, s4
	v_and_b32_e32 v78, 0x7f800000, v79
	s_delay_alu instid0(VALU_DEP_1) | instskip(SKIP_1) | instid1(SALU_CYCLE_1)
	v_cmp_ne_u32_e32 vcc_lo, 0x7f800000, v78
                                        ; implicit-def: $vgpr78
	s_and_saveexec_b32 s4, vcc_lo
	s_xor_b32 s4, exec_lo, s4
; %bb.69:
	v_bfe_u32 v78, v79, 16, 1
	s_delay_alu instid0(VALU_DEP_1)
	v_add3_u32 v78, v79, v78, 0x7fff
                                        ; implicit-def: $vgpr79
; %bb.70:
	s_and_not1_saveexec_b32 s4, s4
; %bb.71:
	v_and_b32_e32 v78, 0xffff, v79
	v_or_b32_e32 v83, 0x10000, v79
	s_delay_alu instid0(VALU_DEP_2) | instskip(NEXT) | instid1(VALU_DEP_2)
	v_cmp_eq_u32_e32 vcc_lo, 0, v78
	v_cndmask_b32_e32 v78, v83, v79, vcc_lo
; %bb.72:
	s_or_b32 exec_lo, exec_lo, s4
	v_and_b32_e32 v79, 0x7f800000, v70
	s_delay_alu instid0(VALU_DEP_1) | instskip(SKIP_1) | instid1(SALU_CYCLE_1)
	v_cmp_ne_u32_e32 vcc_lo, 0x7f800000, v79
                                        ; implicit-def: $vgpr79
	s_and_saveexec_b32 s4, vcc_lo
	s_xor_b32 s4, exec_lo, s4
; %bb.73:
	v_bfe_u32 v79, v70, 16, 1
	s_delay_alu instid0(VALU_DEP_1)
	v_add3_u32 v79, v70, v79, 0x7fff
                                        ; implicit-def: $vgpr70
; %bb.74:
	s_and_not1_saveexec_b32 s4, s4
; %bb.75:
	v_and_b32_e32 v79, 0xffff, v70
	v_or_b32_e32 v83, 0x10000, v70
	s_delay_alu instid0(VALU_DEP_2) | instskip(NEXT) | instid1(VALU_DEP_2)
	v_cmp_eq_u32_e32 vcc_lo, 0, v79
	v_cndmask_b32_e32 v79, v83, v70, vcc_lo
; %bb.76:
	s_or_b32 exec_lo, exec_lo, s4
	s_delay_alu instid0(VALU_DEP_1)
	v_perm_b32 v86, v79, v78, 0x7060302
	v_perm_b32 v85, v77, v82, 0x7060302
	;; [unrolled: 1-line block ×4, first 2 shown]
	v_lshl_or_b32 v82, v66, 11, v80
	ds_store_b128 v76, v[83:86] offset:1024
	s_waitcnt lgkmcnt(0)
	s_barrier
	buffer_gl0_inv
	ds_load_b128 v[69:72], v82
	ds_load_b128 v[83:86], v82 offset:16
	s_waitcnt lgkmcnt(1)
	v_lshrrev_b32_e32 v66, 16, v69
	s_waitcnt lgkmcnt(0)
	v_lshrrev_b32_e32 v91, 16, v83
	v_lshlrev_b32_e32 v78, 2, v74
	v_lshrrev_b32_e32 v95, 16, v70
	v_lshrrev_b32_e32 v98, 16, v84
	v_lshrrev_b32_e32 v96, 16, v71
	v_lshrrev_b32_e32 v99, 16, v85
	v_cmp_eq_u32_e32 vcc_lo, 1, v78
	v_lshrrev_b32_e32 v97, 16, v72
	v_lshrrev_b32_e32 v100, 16, v86
	v_cndmask_b32_e32 v87, v83, v91, vcc_lo
	v_or_b32_e32 v79, 1, v78
	v_cndmask_b32_e32 v81, v69, v66, vcc_lo
	v_cmp_eq_u32_e64 s5, 2, v78
	v_cmp_eq_u32_e64 s8, 3, v78
	;; [unrolled: 1-line block ×5, first 2 shown]
	v_cndmask_b32_e64 v81, v81, v70, s5
	v_cndmask_b32_e64 v87, v87, v84, s5
	v_cmp_eq_u32_e64 s9, 3, v79
	v_cndmask_b32_e64 v88, v69, v66, s4
	v_or_b32_e32 v77, 2, v78
	v_cndmask_b32_e64 v81, v81, v95, s8
	v_cndmask_b32_e64 v87, v87, v98, s8
	;; [unrolled: 1-line block ×4, first 2 shown]
	v_cmp_eq_u32_e64 s11, 5, v78
	v_cndmask_b32_e64 v81, v81, v71, s10
	v_cndmask_b32_e64 v87, v87, v85, s10
	v_cmp_eq_u32_e64 s12, 4, v79
	v_cndmask_b32_e64 v88, v88, v95, s9
	v_cmp_eq_u32_e64 s6, 1, v77
	v_cndmask_b32_e64 v89, v89, v84, s7
	v_cndmask_b32_e64 v81, v81, v96, s11
	v_cmp_eq_u32_e64 s13, 6, v78
	v_cndmask_b32_e64 v88, v88, v71, s12
	;; [unrolled: 3-line block ×3, first 2 shown]
	v_cndmask_b32_e64 v89, v89, v98, s9
	v_cndmask_b32_e64 v81, v81, v72, s13
	v_cmp_eq_u32_e64 s16, 7, v78
	v_cndmask_b32_e64 v88, v88, v96, s15
	v_cndmask_b32_e64 v87, v87, v86, s13
	v_cmp_eq_u32_e64 s17, 6, v79
	v_cmp_eq_u32_e64 s18, 2, v77
	v_cndmask_b32_e64 v89, v89, v85, s12
	v_cndmask_b32_e64 v101, v81, v97, s16
	;; [unrolled: 1-line block ×6, first 2 shown]
	v_cmp_eq_u32_e64 s19, 7, v79
	v_cmp_eq_u32_e64 s20, 3, v77
	;; [unrolled: 1-line block ×4, first 2 shown]
	v_cndmask_b32_e64 v87, v87, v84, s18
	v_cndmask_b32_e64 v103, v88, v97, s19
	;; [unrolled: 1-line block ×4, first 2 shown]
	v_or_b32_e32 v81, 3, v78
	v_cndmask_b32_e64 v93, v87, v98, s20
	v_cmp_eq_u32_e64 s25, 6, v77
	v_cndmask_b32_e64 v104, v88, v86, s17
	v_cndmask_b32_e64 v92, v89, v71, s21
	v_cmp_eq_u32_e64 s22, 1, v81
	ds_load_b128 v[87:90], v82 offset:1024
	v_cmp_eq_u32_e64 s24, 2, v81
	v_cmp_eq_u32_e64 s26, 3, v81
	v_cndmask_b32_e64 v105, v92, v96, s23
	v_cndmask_b32_e64 v66, v69, v66, s22
	;; [unrolled: 1-line block ×4, first 2 shown]
	ds_load_b128 v[91:94], v82 offset:1040
	v_cmp_eq_u32_e64 s27, 4, v81
	v_cndmask_b32_e64 v66, v66, v70, s24
	v_cmp_eq_u32_e64 s28, 7, v77
	v_cndmask_b32_e64 v70, v83, v84, s24
	v_cndmask_b32_e64 v84, v105, v72, s25
	v_cmp_eq_u32_e64 s29, 5, v81
	v_cndmask_b32_e64 v66, v66, v95, s26
	v_cmp_eq_u32_e64 s30, 6, v81
	v_cndmask_b32_e64 v70, v70, v98, s26
	v_cndmask_b32_e64 v69, v69, v99, s23
	;; [unrolled: 1-line block ×4, first 2 shown]
	s_waitcnt lgkmcnt(1)
	v_lshrrev_b32_e32 v95, 16, v87
	v_cndmask_b32_e64 v70, v70, v85, s27
	v_cndmask_b32_e64 v71, v84, v97, s28
	;; [unrolled: 1-line block ×4, first 2 shown]
	v_cndmask_b32_e32 v84, v87, v95, vcc_lo
	v_cndmask_b32_e64 v70, v70, v99, s29
	s_waitcnt lgkmcnt(0)
	v_lshrrev_b32_e32 v85, 16, v91
	v_lshrrev_b32_e32 v96, 16, v88
	v_cndmask_b32_e64 v98, v87, v95, s4
	v_cndmask_b32_e64 v84, v84, v88, s5
	;; [unrolled: 1-line block ×3, first 2 shown]
	v_cndmask_b32_e32 v99, v91, v85, vcc_lo
	v_cmp_eq_u32_e32 vcc_lo, 7, v81
	v_cndmask_b32_e64 v66, v66, v72, s30
	v_cndmask_b32_e64 v72, v84, v96, s8
	;; [unrolled: 1-line block ×3, first 2 shown]
	v_lshrrev_b32_e32 v98, 16, v92
	v_cndmask_b32_e32 v70, v70, v100, vcc_lo
	v_cndmask_b32_e64 v86, v99, v92, s5
	v_cndmask_b32_e64 v69, v69, v100, s28
	v_lshrrev_b32_e32 v100, 16, v93
	v_cndmask_b32_e64 v72, v72, v89, s10
	v_lshrrev_b32_e32 v99, 16, v89
	v_cndmask_b32_e64 v86, v86, v98, s8
	v_perm_b32 v71, v69, v71, 0x5040100
	v_cndmask_b32_e64 v84, v84, v96, s9
	s_delay_alu instid0(VALU_DEP_3) | instskip(NEXT) | instid1(VALU_DEP_2)
	v_cndmask_b32_e64 v86, v86, v93, s10
	v_cndmask_b32_e64 v84, v84, v89, s12
	s_delay_alu instid0(VALU_DEP_2) | instskip(NEXT) | instid1(VALU_DEP_1)
	v_cndmask_b32_e64 v86, v86, v100, s11
	v_cndmask_b32_e64 v69, v86, v94, s13
	;; [unrolled: 1-line block ×5, first 2 shown]
	s_delay_alu instid0(VALU_DEP_3) | instskip(NEXT) | instid1(VALU_DEP_3)
	v_cndmask_b32_e64 v86, v86, v88, s18
	v_cndmask_b32_e64 v87, v87, v88, s24
	s_delay_alu instid0(VALU_DEP_3) | instskip(NEXT) | instid1(VALU_DEP_3)
	v_cndmask_b32_e64 v88, v95, v92, s24
	v_cndmask_b32_e64 v86, v86, v96, s20
	;; [unrolled: 3-line block ×7, first 2 shown]
	s_delay_alu instid0(VALU_DEP_3) | instskip(SKIP_2) | instid1(VALU_DEP_2)
	v_cndmask_b32_e64 v88, v88, v94, s30
	v_cndmask_b32_e32 v66, v66, v97, vcc_lo
	v_cndmask_b32_e64 v97, v72, v99, s11
	v_perm_b32 v72, v70, v66, 0x5040100
	v_perm_b32 v70, v83, v103, 0x5040100
	v_cndmask_b32_e64 v103, v91, v85, s6
	v_cndmask_b32_e64 v85, v91, v85, s4
	;; [unrolled: 1-line block ×4, first 2 shown]
	v_lshrrev_b32_e32 v97, 16, v90
	v_cndmask_b32_e64 v91, v103, v92, s18
	v_cndmask_b32_e64 v85, v85, v92, s7
	;; [unrolled: 1-line block ×3, first 2 shown]
	s_mov_b32 s4, exec_lo
	v_cndmask_b32_e64 v83, v84, v97, s16
	v_cndmask_b32_e64 v91, v91, v98, s20
	;; [unrolled: 1-line block ×3, first 2 shown]
	v_lshrrev_b32_e32 v84, 16, v94
	v_cndmask_b32_e64 v66, v66, v97, s19
	v_cndmask_b32_e64 v90, v86, v97, s28
	;; [unrolled: 1-line block ×4, first 2 shown]
	v_dual_cndmask_b32 v86, v87, v97 :: v_dual_cndmask_b32 v87, v88, v84
	v_cndmask_b32_e64 v91, v69, v84, s16
	s_delay_alu instid0(VALU_DEP_4) | instskip(NEXT) | instid1(VALU_DEP_4)
	v_cndmask_b32_e64 v89, v89, v100, s23
	v_cndmask_b32_e64 v85, v85, v100, s15
	v_perm_b32 v69, v102, v101, 0x5040100
	v_perm_b32 v86, v87, v86, 0x5040100
	;; [unrolled: 1-line block ×3, first 2 shown]
	v_cndmask_b32_e64 v89, v89, v94, s25
	v_cndmask_b32_e64 v85, v85, v94, s17
	s_mul_i32 s9, s37, 3
	s_delay_alu instid0(VALU_DEP_2) | instskip(NEXT) | instid1(VALU_DEP_2)
	v_cndmask_b32_e64 v88, v89, v84, s28
	v_cndmask_b32_e64 v89, v85, v84, s19
	s_delay_alu instid0(VALU_DEP_2) | instskip(NEXT) | instid1(VALU_DEP_2)
	v_perm_b32 v85, v88, v90, 0x5040100
	v_perm_b32 v84, v89, v66, 0x5040100
	ds_store_b128 v76, v[69:72]
	ds_store_b128 v76, v[83:86] offset:1024
	v_cmpx_gt_u32_e32 3, v0
	s_cbranch_execz .LBB1792_78
; %bb.77:
	s_mul_i32 s5, s9, s34
	s_load_b128 s[16:19], s[0:1], 0x58
	v_add3_u32 v69, s5, s31, v65
	s_delay_alu instid0(VALU_DEP_1) | instskip(NEXT) | instid1(VALU_DEP_1)
	v_mad_u64_u32 v[65:66], null, v69, s36, s[14:15]
	v_ashrrev_i32_e32 v66, 31, v65
	s_delay_alu instid0(VALU_DEP_1) | instskip(SKIP_1) | instid1(VALU_DEP_1)
	v_lshlrev_b64 v[65:66], 2, v[65:66]
	s_waitcnt lgkmcnt(0)
	v_add_co_u32 v69, vcc_lo, s18, v65
	s_delay_alu instid0(VALU_DEP_2)
	v_add_co_ci_u32_e32 v70, vcc_lo, s19, v66, vcc_lo
	v_add_co_u32 v65, vcc_lo, s16, v65
	v_add_co_ci_u32_e32 v66, vcc_lo, s17, v66, vcc_lo
	global_store_b32 v[69:70], v67, off
	global_store_b32 v[65:66], v68, off
.LBB1792_78:
	s_or_b32 exec_lo, exec_lo, s4
	s_waitcnt lgkmcnt(0)
	s_waitcnt_vscnt null, 0x0
	s_barrier
	buffer_gl0_inv
	ds_load_b128 v[83:86], v80
	ds_load_b128 v[87:90], v80 offset:16
	ds_load_b128 v[95:98], v80 offset:2064
	ds_load_b128 v[91:94], v80 offset:2048
	v_mov_b32_e32 v65, 0
	ds_load_b128 v[103:106], v80 offset:4112
	ds_load_b128 v[99:102], v80 offset:4096
	;; [unrolled: 1-line block ×4, first 2 shown]
	v_mov_b32_e32 v66, v65
	v_mov_b32_e32 v67, v65
	;; [unrolled: 1-line block ×7, first 2 shown]
	s_waitcnt lgkmcnt(6)
	s_delay_alu instid0(VALU_DEP_1)
	v_wmma_f32_16x16x16_bf16 v[65:72], v[57:64], v[83:90], v[65:72]
	ds_load_b128 v[61:64], v80 offset:8208
	ds_load_b128 v[57:60], v80 offset:8192
	s_waitcnt lgkmcnt(6)
	v_wmma_f32_16x16x16_bf16 v[65:72], v[41:48], v[91:98], v[65:72]
	ds_load_b128 v[45:48], v80 offset:10256
	ds_load_b128 v[41:44], v80 offset:10240
	s_waitcnt lgkmcnt(6)
	;; [unrolled: 4-line block ×4, first 2 shown]
	v_wmma_f32_16x16x16_bf16 v[65:72], v[1:8], v[57:64], v[65:72]
	s_waitcnt lgkmcnt(4)
	s_delay_alu instid0(VALU_DEP_1) | instskip(SKIP_1) | instid1(VALU_DEP_1)
	v_wmma_f32_16x16x16_bf16 v[65:72], v[9:16], v[41:48], v[65:72]
	s_waitcnt lgkmcnt(2)
	v_wmma_f32_16x16x16_bf16 v[65:72], v[17:24], v[33:40], v[65:72]
	s_waitcnt lgkmcnt(0)
	s_delay_alu instid0(VALU_DEP_1) | instskip(NEXT) | instid1(VALU_DEP_1)
	v_wmma_f32_16x16x16_bf16 v[65:72], v[49:56], v[25:32], v[65:72]
	v_and_b32_e32 v1, 0x7f800000, v65
	s_delay_alu instid0(VALU_DEP_1) | instskip(SKIP_1) | instid1(SALU_CYCLE_1)
	v_cmp_ne_u32_e32 vcc_lo, 0x7f800000, v1
                                        ; implicit-def: $vgpr1
	s_and_saveexec_b32 s4, vcc_lo
	s_xor_b32 s4, exec_lo, s4
; %bb.79:
	v_bfe_u32 v1, v65, 16, 1
	s_delay_alu instid0(VALU_DEP_1)
	v_add3_u32 v1, v65, v1, 0x7fff
; %bb.80:
	s_and_not1_saveexec_b32 s4, s4
; %bb.81:
	v_and_b32_e32 v1, 0xffff, v65
	v_or_b32_e32 v2, 0x10000, v65
	s_delay_alu instid0(VALU_DEP_2) | instskip(NEXT) | instid1(VALU_DEP_2)
	v_cmp_eq_u32_e32 vcc_lo, 0, v1
	v_cndmask_b32_e32 v1, v2, v65, vcc_lo
; %bb.82:
	s_or_b32 exec_lo, exec_lo, s4
	v_and_b32_e32 v2, 0x7f800000, v66
	s_delay_alu instid0(VALU_DEP_1) | instskip(SKIP_1) | instid1(SALU_CYCLE_1)
	v_cmp_ne_u32_e32 vcc_lo, 0x7f800000, v2
                                        ; implicit-def: $vgpr2
	s_and_saveexec_b32 s4, vcc_lo
	s_xor_b32 s4, exec_lo, s4
; %bb.83:
	v_bfe_u32 v2, v66, 16, 1
	s_delay_alu instid0(VALU_DEP_1)
	v_add3_u32 v2, v66, v2, 0x7fff
; %bb.84:
	s_and_not1_saveexec_b32 s4, s4
; %bb.85:
	v_and_b32_e32 v2, 0xffff, v66
	v_or_b32_e32 v3, 0x10000, v66
	s_delay_alu instid0(VALU_DEP_2) | instskip(NEXT) | instid1(VALU_DEP_2)
	v_cmp_eq_u32_e32 vcc_lo, 0, v2
	v_cndmask_b32_e32 v2, v3, v66, vcc_lo
; %bb.86:
	s_or_b32 exec_lo, exec_lo, s4
	v_and_b32_e32 v3, 0x7f800000, v67
	s_delay_alu instid0(VALU_DEP_1) | instskip(SKIP_1) | instid1(SALU_CYCLE_1)
	v_cmp_ne_u32_e32 vcc_lo, 0x7f800000, v3
                                        ; implicit-def: $vgpr3
	s_and_saveexec_b32 s4, vcc_lo
	s_xor_b32 s4, exec_lo, s4
; %bb.87:
	v_bfe_u32 v3, v67, 16, 1
	s_delay_alu instid0(VALU_DEP_1)
	v_add3_u32 v3, v67, v3, 0x7fff
; %bb.88:
	s_and_not1_saveexec_b32 s4, s4
; %bb.89:
	v_and_b32_e32 v3, 0xffff, v67
	v_or_b32_e32 v4, 0x10000, v67
	s_delay_alu instid0(VALU_DEP_2) | instskip(NEXT) | instid1(VALU_DEP_2)
	v_cmp_eq_u32_e32 vcc_lo, 0, v3
	v_cndmask_b32_e32 v3, v4, v67, vcc_lo
; %bb.90:
	s_or_b32 exec_lo, exec_lo, s4
	v_and_b32_e32 v4, 0x7f800000, v68
	s_delay_alu instid0(VALU_DEP_1) | instskip(SKIP_1) | instid1(SALU_CYCLE_1)
	v_cmp_ne_u32_e32 vcc_lo, 0x7f800000, v4
                                        ; implicit-def: $vgpr4
	s_and_saveexec_b32 s4, vcc_lo
	s_xor_b32 s4, exec_lo, s4
; %bb.91:
	v_bfe_u32 v4, v68, 16, 1
	s_delay_alu instid0(VALU_DEP_1)
	v_add3_u32 v4, v68, v4, 0x7fff
; %bb.92:
	s_and_not1_saveexec_b32 s4, s4
; %bb.93:
	v_and_b32_e32 v4, 0xffff, v68
	v_or_b32_e32 v5, 0x10000, v68
	s_delay_alu instid0(VALU_DEP_2) | instskip(NEXT) | instid1(VALU_DEP_2)
	v_cmp_eq_u32_e32 vcc_lo, 0, v4
	v_cndmask_b32_e32 v4, v5, v68, vcc_lo
; %bb.94:
	s_or_b32 exec_lo, exec_lo, s4
	v_and_b32_e32 v5, 0x7f800000, v69
	s_delay_alu instid0(VALU_DEP_1) | instskip(SKIP_1) | instid1(SALU_CYCLE_1)
	v_cmp_ne_u32_e32 vcc_lo, 0x7f800000, v5
                                        ; implicit-def: $vgpr5
	s_and_saveexec_b32 s4, vcc_lo
	s_xor_b32 s4, exec_lo, s4
; %bb.95:
	v_bfe_u32 v5, v69, 16, 1
	s_delay_alu instid0(VALU_DEP_1)
	v_add3_u32 v5, v69, v5, 0x7fff
; %bb.96:
	s_and_not1_saveexec_b32 s4, s4
; %bb.97:
	v_and_b32_e32 v5, 0xffff, v69
	v_or_b32_e32 v6, 0x10000, v69
	s_delay_alu instid0(VALU_DEP_2) | instskip(NEXT) | instid1(VALU_DEP_2)
	v_cmp_eq_u32_e32 vcc_lo, 0, v5
	v_cndmask_b32_e32 v5, v6, v69, vcc_lo
; %bb.98:
	s_or_b32 exec_lo, exec_lo, s4
	v_and_b32_e32 v6, 0x7f800000, v70
	s_delay_alu instid0(VALU_DEP_1) | instskip(SKIP_1) | instid1(SALU_CYCLE_1)
	v_cmp_ne_u32_e32 vcc_lo, 0x7f800000, v6
                                        ; implicit-def: $vgpr6
	s_and_saveexec_b32 s4, vcc_lo
	s_xor_b32 s4, exec_lo, s4
; %bb.99:
	v_bfe_u32 v6, v70, 16, 1
	s_delay_alu instid0(VALU_DEP_1)
	v_add3_u32 v6, v70, v6, 0x7fff
; %bb.100:
	s_and_not1_saveexec_b32 s4, s4
; %bb.101:
	v_and_b32_e32 v6, 0xffff, v70
	v_or_b32_e32 v7, 0x10000, v70
	s_delay_alu instid0(VALU_DEP_2) | instskip(NEXT) | instid1(VALU_DEP_2)
	v_cmp_eq_u32_e32 vcc_lo, 0, v6
	v_cndmask_b32_e32 v6, v7, v70, vcc_lo
; %bb.102:
	s_or_b32 exec_lo, exec_lo, s4
	v_and_b32_e32 v7, 0x7f800000, v71
	s_delay_alu instid0(VALU_DEP_1) | instskip(SKIP_1) | instid1(SALU_CYCLE_1)
	v_cmp_ne_u32_e32 vcc_lo, 0x7f800000, v7
                                        ; implicit-def: $vgpr7
	s_and_saveexec_b32 s4, vcc_lo
	s_xor_b32 s4, exec_lo, s4
; %bb.103:
	v_bfe_u32 v7, v71, 16, 1
	s_delay_alu instid0(VALU_DEP_1)
	v_add3_u32 v7, v71, v7, 0x7fff
; %bb.104:
	s_and_not1_saveexec_b32 s4, s4
; %bb.105:
	v_and_b32_e32 v7, 0xffff, v71
	v_or_b32_e32 v8, 0x10000, v71
	s_delay_alu instid0(VALU_DEP_2) | instskip(NEXT) | instid1(VALU_DEP_2)
	v_cmp_eq_u32_e32 vcc_lo, 0, v7
	v_cndmask_b32_e32 v7, v8, v71, vcc_lo
; %bb.106:
	s_or_b32 exec_lo, exec_lo, s4
	v_and_b32_e32 v8, 0x7f800000, v72
	s_delay_alu instid0(VALU_DEP_1) | instskip(SKIP_1) | instid1(SALU_CYCLE_1)
	v_cmp_ne_u32_e32 vcc_lo, 0x7f800000, v8
                                        ; implicit-def: $vgpr8
	s_and_saveexec_b32 s4, vcc_lo
	s_xor_b32 s4, exec_lo, s4
; %bb.107:
	v_bfe_u32 v8, v72, 16, 1
	s_delay_alu instid0(VALU_DEP_1)
	v_add3_u32 v8, v72, v8, 0x7fff
                                        ; implicit-def: $vgpr65_vgpr66_vgpr67_vgpr68_vgpr69_vgpr70_vgpr71_vgpr72
; %bb.108:
	s_and_not1_saveexec_b32 s4, s4
; %bb.109:
	v_and_b32_e32 v8, 0xffff, v72
	v_or_b32_e32 v9, 0x10000, v72
	s_delay_alu instid0(VALU_DEP_2) | instskip(NEXT) | instid1(VALU_DEP_2)
	v_cmp_eq_u32_e32 vcc_lo, 0, v8
	v_cndmask_b32_e32 v8, v9, v72, vcc_lo
; %bb.110:
	s_or_b32 exec_lo, exec_lo, s4
	s_delay_alu instid0(VALU_DEP_1)
	v_perm_b32 v7, v8, v7, 0x7060302
	v_perm_b32 v6, v6, v5, 0x7060302
	;; [unrolled: 1-line block ×4, first 2 shown]
	s_barrier
	buffer_gl0_inv
	v_cmp_eq_u32_e32 vcc_lo, 1, v78
	ds_store_b128 v76, v[4:7]
	s_waitcnt lgkmcnt(0)
	s_barrier
	buffer_gl0_inv
	ds_load_b128 v[1:4], v82
	ds_load_b128 v[5:8], v82 offset:16
	v_cmp_eq_u32_e64 s4, 1, v79
	v_cmp_eq_u32_e64 s5, 2, v78
	;; [unrolled: 1-line block ×5, first 2 shown]
	s_waitcnt lgkmcnt(1)
	v_lshrrev_b32_e32 v9, 16, v1
	s_waitcnt lgkmcnt(0)
	v_lshrrev_b32_e32 v13, 16, v5
	v_lshrrev_b32_e32 v10, 16, v2
	;; [unrolled: 1-line block ×4, first 2 shown]
	v_cndmask_b32_e64 v19, v1, v9, s4
	v_cndmask_b32_e32 v18, v5, v13, vcc_lo
	v_cndmask_b32_e64 v20, v5, v13, s4
	v_cndmask_b32_e32 v17, v1, v9, vcc_lo
	v_cmp_eq_u32_e32 vcc_lo, 2, v79
	v_lshrrev_b32_e32 v15, 16, v7
	v_cmp_eq_u32_e64 s4, 1, v77
	v_lshrrev_b32_e32 v12, 16, v4
	v_lshrrev_b32_e32 v16, 16, v8
	v_cndmask_b32_e32 v20, v20, v6, vcc_lo
	v_cndmask_b32_e64 v17, v17, v2, s5
	v_cndmask_b32_e32 v19, v19, v2, vcc_lo
	v_cndmask_b32_e64 v18, v18, v6, s5
	v_cmp_eq_u32_e32 vcc_lo, 4, v78
	v_cmp_eq_u32_e64 s5, 3, v79
	v_cndmask_b32_e64 v17, v17, v10, s6
	v_cndmask_b32_e64 v21, v1, v9, s4
	;; [unrolled: 1-line block ×5, first 2 shown]
	v_cndmask_b32_e32 v17, v17, v3, vcc_lo
	v_cndmask_b32_e64 v20, v20, v14, s5
	v_cndmask_b32_e32 v18, v18, v7, vcc_lo
	v_cmp_eq_u32_e32 vcc_lo, 4, v79
	v_cmp_eq_u32_e64 s5, 5, v79
	v_cmp_eq_u32_e64 s4, 2, v81
	v_cndmask_b32_e64 v21, v21, v2, s8
	v_cmp_eq_u32_e64 s6, 5, v78
	v_cndmask_b32_e32 v19, v19, v3, vcc_lo
	v_cndmask_b32_e32 v20, v20, v7, vcc_lo
	v_cmp_eq_u32_e32 vcc_lo, 6, v79
	s_delay_alu instid0(VALU_DEP_4) | instskip(NEXT) | instid1(VALU_DEP_4)
	v_cndmask_b32_e64 v17, v17, v11, s6
	v_cndmask_b32_e64 v19, v19, v11, s5
	s_delay_alu instid0(VALU_DEP_4) | instskip(SKIP_1) | instid1(VALU_DEP_3)
	v_cndmask_b32_e64 v20, v20, v15, s5
	v_cmp_eq_u32_e64 s5, 1, v81
	v_cndmask_b32_e32 v19, v19, v4, vcc_lo
	v_cndmask_b32_e64 v18, v18, v15, s6
	s_delay_alu instid0(VALU_DEP_3)
	v_cndmask_b32_e64 v1, v1, v9, s5
	v_cndmask_b32_e64 v5, v5, v13, s5
	v_cmp_eq_u32_e64 s5, 3, v77
	v_cndmask_b32_e64 v13, v22, v6, s8
	v_cmp_eq_u32_e64 s8, 3, v81
	v_cndmask_b32_e64 v1, v1, v2, s4
	v_cndmask_b32_e64 v2, v5, v6, s4
	v_cndmask_b32_e64 v9, v21, v10, s5
	v_cmp_eq_u32_e64 s4, 4, v77
	v_cndmask_b32_e64 v6, v13, v14, s5
	v_cndmask_b32_e64 v1, v1, v10, s8
	v_cmp_eq_u32_e64 s5, 4, v81
	v_cndmask_b32_e64 v2, v2, v14, s8
	v_cndmask_b32_e64 v5, v9, v3, s4
	;; [unrolled: 3-line block ×3, first 2 shown]
	v_cndmask_b32_e64 v2, v2, v7, s5
	v_cmp_eq_u32_e64 s4, 5, v81
	v_cmp_eq_u32_e64 s6, 6, v78
	v_cndmask_b32_e64 v5, v5, v11, s8
	v_cmp_eq_u32_e64 s5, 6, v77
	v_cndmask_b32_e64 v3, v6, v15, s8
	v_cndmask_b32_e64 v1, v1, v11, s4
	v_cmp_eq_u32_e64 s8, 6, v81
	v_cndmask_b32_e64 v2, v2, v15, s4
	v_cndmask_b32_e64 v17, v17, v4, s6
	v_cndmask_b32_e64 v18, v18, v8, s6
	v_cmp_eq_u32_e64 s6, 7, v78
	v_cndmask_b32_e64 v5, v5, v4, s5
	;; [unrolled: 4-line block ×3, first 2 shown]
	v_cmp_eq_u32_e64 s5, 7, v77
	v_cndmask_b32_e32 v4, v20, v8, vcc_lo
	v_cndmask_b32_e64 v17, v17, v12, s6
	v_cndmask_b32_e64 v19, v19, v12, s7
	;; [unrolled: 1-line block ×8, first 2 shown]
	v_cmp_gt_u32_e32 vcc_lo, 32, v0
	v_perm_b32 v4, v2, v1, 0x5040100
	v_perm_b32 v3, v3, v5, 0x5040100
	;; [unrolled: 1-line block ×4, first 2 shown]
	s_and_b32 s2, vcc_lo, s2
	ds_store_b128 v76, v[1:4]
	s_waitcnt lgkmcnt(0)
	s_barrier
	buffer_gl0_inv
	s_and_saveexec_b32 s4, s2
	s_cbranch_execz .LBB1792_2
; %bb.111:
	s_load_b64 s[4:5], s[0:1], 0x68
	v_lshlrev_b32_e32 v0, 10, v0
	v_lshlrev_b32_e32 v2, 4, v75
	v_add_nc_u32_e32 v1, s31, v74
	s_lshl_b32 s0, s36, 6
	s_delay_alu instid0(SALU_CYCLE_1) | instskip(NEXT) | instid1(VALU_DEP_2)
	s_mul_i32 s1, s0, s34
	v_and_or_b32 v0, 0x3800, v0, v2
	s_mul_i32 s6, s1, s9
	v_mul_lo_u32 v1, v1, s0
	s_ashr_i32 s7, s6, 31
	s_delay_alu instid0(VALU_DEP_2) | instskip(SKIP_1) | instid1(VALU_DEP_2)
	v_lshl_or_b32 v3, v74, 6, v0
	s_lshl_b64 s[6:7], s[6:7], 1
	v_ashrrev_i32_e32 v2, 31, v1
	ds_load_b128 v[3:6], v3
	s_waitcnt lgkmcnt(0)
	s_add_u32 s1, s4, s6
	s_addc_u32 s2, s5, s7
	s_lshl_b32 s4, s14, 6
	v_lshlrev_b64 v[7:8], 1, v[1:2]
	s_ashr_i32 s5, s4, 31
	s_delay_alu instid0(SALU_CYCLE_1) | instskip(NEXT) | instid1(SALU_CYCLE_1)
	s_lshl_b64 s[4:5], s[4:5], 1
	s_add_u32 s1, s1, s4
	s_addc_u32 s2, s2, s5
	v_add_co_u32 v1, s1, s1, v73
	s_delay_alu instid0(VALU_DEP_1) | instskip(NEXT) | instid1(VALU_DEP_2)
	v_add_co_ci_u32_e64 v2, null, s2, 0, s1
	v_add_co_u32 v7, vcc_lo, v1, v7
	s_delay_alu instid0(VALU_DEP_2)
	v_add_co_ci_u32_e32 v8, vcc_lo, v2, v8, vcc_lo
	global_store_b128 v[7:8], v[3:6], off
	s_and_b32 exec_lo, exec_lo, s3
	s_cbranch_execz .LBB1792_2
; %bb.112:
	ds_load_b128 v[3:6], v0 offset:128
	s_add_i32 s1, s31, 2
	s_delay_alu instid0(SALU_CYCLE_1) | instskip(NEXT) | instid1(SALU_CYCLE_1)
	s_mul_i32 s0, s1, s0
	s_ashr_i32 s1, s0, 31
	s_delay_alu instid0(SALU_CYCLE_1) | instskip(NEXT) | instid1(SALU_CYCLE_1)
	s_lshl_b64 s[0:1], s[0:1], 1
	v_add_co_u32 v0, vcc_lo, v1, s0
	v_add_co_ci_u32_e32 v1, vcc_lo, s1, v2, vcc_lo
	s_waitcnt lgkmcnt(0)
	global_store_b128 v[0:1], v[3:6], off
	s_nop 0
	s_sendmsg sendmsg(MSG_DEALLOC_VGPRS)
	s_endpgm
	.section	.rodata,"a",@progbits
	.p2align	6, 0x0
	.amdhsa_kernel _Z39paged_attention_ll4mi_QKV_mfma16_kernelI14__hip_bfloat16hLN4vllm18Fp8KVCacheDataTypeE1ES0_Li32ELi64ELi256ELb0ELi3EL8MFMAType0EEvPKT_PKT0_S9_ifPKiSB_SB_iPKfiiiPfSE_PS4_PT2_iSD_SD_
		.amdhsa_group_segment_fixed_size 17472
		.amdhsa_private_segment_fixed_size 0
		.amdhsa_kernarg_size 400
		.amdhsa_user_sgpr_count 13
		.amdhsa_user_sgpr_dispatch_ptr 0
		.amdhsa_user_sgpr_queue_ptr 0
		.amdhsa_user_sgpr_kernarg_segment_ptr 1
		.amdhsa_user_sgpr_dispatch_id 0
		.amdhsa_user_sgpr_private_segment_size 0
		.amdhsa_wavefront_size32 1
		.amdhsa_uses_dynamic_stack 0
		.amdhsa_enable_private_segment 0
		.amdhsa_system_sgpr_workgroup_id_x 1
		.amdhsa_system_sgpr_workgroup_id_y 1
		.amdhsa_system_sgpr_workgroup_id_z 1
		.amdhsa_system_sgpr_workgroup_info 0
		.amdhsa_system_vgpr_workitem_id 0
		.amdhsa_next_free_vgpr 124
		.amdhsa_next_free_sgpr 42
		.amdhsa_reserve_vcc 1
		.amdhsa_float_round_mode_32 0
		.amdhsa_float_round_mode_16_64 0
		.amdhsa_float_denorm_mode_32 3
		.amdhsa_float_denorm_mode_16_64 3
		.amdhsa_dx10_clamp 1
		.amdhsa_ieee_mode 1
		.amdhsa_fp16_overflow 0
		.amdhsa_workgroup_processor_mode 1
		.amdhsa_memory_ordered 1
		.amdhsa_forward_progress 0
		.amdhsa_shared_vgpr_count 0
		.amdhsa_exception_fp_ieee_invalid_op 0
		.amdhsa_exception_fp_denorm_src 0
		.amdhsa_exception_fp_ieee_div_zero 0
		.amdhsa_exception_fp_ieee_overflow 0
		.amdhsa_exception_fp_ieee_underflow 0
		.amdhsa_exception_fp_ieee_inexact 0
		.amdhsa_exception_int_div_zero 0
	.end_amdhsa_kernel
	.section	.text._Z39paged_attention_ll4mi_QKV_mfma16_kernelI14__hip_bfloat16hLN4vllm18Fp8KVCacheDataTypeE1ES0_Li32ELi64ELi256ELb0ELi3EL8MFMAType0EEvPKT_PKT0_S9_ifPKiSB_SB_iPKfiiiPfSE_PS4_PT2_iSD_SD_,"axG",@progbits,_Z39paged_attention_ll4mi_QKV_mfma16_kernelI14__hip_bfloat16hLN4vllm18Fp8KVCacheDataTypeE1ES0_Li32ELi64ELi256ELb0ELi3EL8MFMAType0EEvPKT_PKT0_S9_ifPKiSB_SB_iPKfiiiPfSE_PS4_PT2_iSD_SD_,comdat
.Lfunc_end1792:
	.size	_Z39paged_attention_ll4mi_QKV_mfma16_kernelI14__hip_bfloat16hLN4vllm18Fp8KVCacheDataTypeE1ES0_Li32ELi64ELi256ELb0ELi3EL8MFMAType0EEvPKT_PKT0_S9_ifPKiSB_SB_iPKfiiiPfSE_PS4_PT2_iSD_SD_, .Lfunc_end1792-_Z39paged_attention_ll4mi_QKV_mfma16_kernelI14__hip_bfloat16hLN4vllm18Fp8KVCacheDataTypeE1ES0_Li32ELi64ELi256ELb0ELi3EL8MFMAType0EEvPKT_PKT0_S9_ifPKiSB_SB_iPKfiiiPfSE_PS4_PT2_iSD_SD_
                                        ; -- End function
	.section	.AMDGPU.csdata,"",@progbits
; Kernel info:
; codeLenInByte = 8724
; NumSgprs: 44
; NumVgprs: 124
; ScratchSize: 0
; MemoryBound: 0
; FloatMode: 240
; IeeeMode: 1
; LDSByteSize: 17472 bytes/workgroup (compile time only)
; SGPRBlocks: 5
; VGPRBlocks: 15
; NumSGPRsForWavesPerEU: 44
; NumVGPRsForWavesPerEU: 124
; Occupancy: 10
; WaveLimiterHint : 1
; COMPUTE_PGM_RSRC2:SCRATCH_EN: 0
; COMPUTE_PGM_RSRC2:USER_SGPR: 13
; COMPUTE_PGM_RSRC2:TRAP_HANDLER: 0
; COMPUTE_PGM_RSRC2:TGID_X_EN: 1
; COMPUTE_PGM_RSRC2:TGID_Y_EN: 1
; COMPUTE_PGM_RSRC2:TGID_Z_EN: 1
; COMPUTE_PGM_RSRC2:TIDIG_COMP_CNT: 0
	.section	.text._Z39paged_attention_ll4mi_QKV_mfma16_kernelI14__hip_bfloat16hLN4vllm18Fp8KVCacheDataTypeE1ES0_Li32ELi64ELi256ELb0ELi4EL8MFMAType0EEvPKT_PKT0_S9_ifPKiSB_SB_iPKfiiiPfSE_PS4_PT2_iSD_SD_,"axG",@progbits,_Z39paged_attention_ll4mi_QKV_mfma16_kernelI14__hip_bfloat16hLN4vllm18Fp8KVCacheDataTypeE1ES0_Li32ELi64ELi256ELb0ELi4EL8MFMAType0EEvPKT_PKT0_S9_ifPKiSB_SB_iPKfiiiPfSE_PS4_PT2_iSD_SD_,comdat
	.protected	_Z39paged_attention_ll4mi_QKV_mfma16_kernelI14__hip_bfloat16hLN4vllm18Fp8KVCacheDataTypeE1ES0_Li32ELi64ELi256ELb0ELi4EL8MFMAType0EEvPKT_PKT0_S9_ifPKiSB_SB_iPKfiiiPfSE_PS4_PT2_iSD_SD_ ; -- Begin function _Z39paged_attention_ll4mi_QKV_mfma16_kernelI14__hip_bfloat16hLN4vllm18Fp8KVCacheDataTypeE1ES0_Li32ELi64ELi256ELb0ELi4EL8MFMAType0EEvPKT_PKT0_S9_ifPKiSB_SB_iPKfiiiPfSE_PS4_PT2_iSD_SD_
	.globl	_Z39paged_attention_ll4mi_QKV_mfma16_kernelI14__hip_bfloat16hLN4vllm18Fp8KVCacheDataTypeE1ES0_Li32ELi64ELi256ELb0ELi4EL8MFMAType0EEvPKT_PKT0_S9_ifPKiSB_SB_iPKfiiiPfSE_PS4_PT2_iSD_SD_
	.p2align	8
	.type	_Z39paged_attention_ll4mi_QKV_mfma16_kernelI14__hip_bfloat16hLN4vllm18Fp8KVCacheDataTypeE1ES0_Li32ELi64ELi256ELb0ELi4EL8MFMAType0EEvPKT_PKT0_S9_ifPKiSB_SB_iPKfiiiPfSE_PS4_PT2_iSD_SD_,@function
_Z39paged_attention_ll4mi_QKV_mfma16_kernelI14__hip_bfloat16hLN4vllm18Fp8KVCacheDataTypeE1ES0_Li32ELi64ELi256ELb0ELi4EL8MFMAType0EEvPKT_PKT0_S9_ifPKiSB_SB_iPKfiiiPfSE_PS4_PT2_iSD_SD_: ; @_Z39paged_attention_ll4mi_QKV_mfma16_kernelI14__hip_bfloat16hLN4vllm18Fp8KVCacheDataTypeE1ES0_Li32ELi64ELi256ELb0ELi4EL8MFMAType0EEvPKT_PKT0_S9_ifPKiSB_SB_iPKfiiiPfSE_PS4_PT2_iSD_SD_
; %bb.0:
	s_load_b64 s[2:3], s[0:1], 0x30
	s_mov_b32 s30, s13
	s_waitcnt lgkmcnt(0)
	s_cmp_lg_u64 s[2:3], 0
	s_cselect_b32 s8, -1, 0
	s_ashr_i32 s31, s13, 31
	s_cmp_eq_u64 s[2:3], 0
	s_cbranch_scc1 .LBB1793_3
; %bb.1:
	s_lshl_b64 s[4:5], s[30:31], 2
	s_delay_alu instid0(SALU_CYCLE_1) | instskip(SKIP_4) | instid1(SALU_CYCLE_1)
	s_add_u32 s4, s2, s4
	s_addc_u32 s5, s3, s5
	s_load_b64 s[4:5], s[4:5], 0x0
	s_waitcnt lgkmcnt(0)
	s_sub_i32 s4, s5, s4
	s_cmp_eq_u32 s4, 1
	s_cselect_b32 s4, -1, 0
	s_delay_alu instid0(SALU_CYCLE_1)
	s_and_not1_b32 vcc_lo, exec_lo, s4
	s_cbranch_vccz .LBB1793_4
.LBB1793_2:
	s_endpgm
.LBB1793_3:
.LBB1793_4:
	s_load_b64 s[4:5], s[0:1], 0x28
	s_lshl_b64 s[6:7], s[30:31], 2
	s_waitcnt lgkmcnt(0)
	s_add_u32 s4, s4, s6
	s_addc_u32 s5, s5, s7
	s_lshl_b32 s12, s14, 8
	s_load_b32 s24, s[4:5], 0x0
	s_waitcnt lgkmcnt(0)
	s_cmp_ge_i32 s12, s24
	s_cbranch_scc1 .LBB1793_2
; %bb.5:
	s_clause 0x1
	s_load_b128 s[20:23], s[0:1], 0x8
	s_load_b64 s[4:5], s[0:1], 0x20
	s_and_not1_b32 vcc_lo, exec_lo, s8
	s_cbranch_vccnz .LBB1793_7
; %bb.6:
	s_add_u32 s2, s2, s6
	s_addc_u32 s3, s3, s7
	s_load_b32 s3, s[2:3], 0x0
	s_branch .LBB1793_8
.LBB1793_7:
	s_mov_b32 s3, s30
.LBB1793_8:
	s_load_b128 s[16:19], s[0:1], 0x48
	v_and_b32_e32 v66, 15, v0
	v_cmp_gt_u32_e32 vcc_lo, 64, v0
	v_lshrrev_b32_e32 v65, 5, v0
	v_and_b32_e32 v67, 31, v0
	v_and_b32_e32 v74, 1, v0
	v_lshlrev_b32_e32 v1, 3, v66
	v_cmp_gt_u32_e64 s2, 8, v66
	v_bfe_u32 v75, v0, 4, 1
	s_lshl_b32 s31, s15, 2
	s_delay_alu instid0(VALU_DEP_3) | instskip(NEXT) | instid1(VALU_DEP_3)
	v_lshlrev_b32_e32 v73, 1, v1
	s_and_b32 s7, vcc_lo, s2
	s_delay_alu instid0(SALU_CYCLE_1)
	s_and_saveexec_b32 s6, s7
	s_cbranch_execz .LBB1793_10
; %bb.9:
	v_lshl_or_b32 v5, v65, 1, v75
	s_load_b64 s[8:9], s[0:1], 0x0
	s_waitcnt lgkmcnt(0)
	s_mul_hi_i32 s11, s3, s16
	s_mul_i32 s10, s3, s16
	v_lshlrev_b32_e32 v6, 10, v66
	v_or_b32_e32 v1, s31, v5
	s_lshl_b64 s[10:11], s[10:11], 1
	v_lshlrev_b32_e32 v5, 6, v5
	v_lshlrev_b32_e32 v7, 10, v74
	v_and_b32_e32 v6, 0x3800, v6
	v_lshlrev_b32_e32 v1, 6, v1
	s_delay_alu instid0(VALU_DEP_2) | instskip(NEXT) | instid1(VALU_DEP_2)
	v_or3_b32 v5, v6, v7, v5
	v_ashrrev_i32_e32 v2, 31, v1
	s_delay_alu instid0(VALU_DEP_1) | instskip(SKIP_2) | instid1(VALU_DEP_1)
	v_lshlrev_b64 v[1:2], 1, v[1:2]
	s_add_u32 s3, s8, s10
	s_addc_u32 s7, s9, s11
	v_add_co_u32 v1, vcc_lo, s3, v1
	s_delay_alu instid0(VALU_DEP_2) | instskip(NEXT) | instid1(VALU_DEP_2)
	v_add_co_ci_u32_e32 v2, vcc_lo, s7, v2, vcc_lo
	v_add_co_u32 v1, vcc_lo, v1, v73
	s_delay_alu instid0(VALU_DEP_2)
	v_add_co_ci_u32_e32 v2, vcc_lo, 0, v2, vcc_lo
	global_load_b128 v[1:4], v[1:2], off
	s_waitcnt vmcnt(0)
	ds_store_b128 v5, v[1:4]
.LBB1793_10:
	s_or_b32 exec_lo, exec_lo, s6
	v_and_b32_e32 v1, 0xef, v0
	s_waitcnt lgkmcnt(0)
	s_add_i32 s3, s24, 31
	s_clause 0x1
	s_load_b32 s6, s[0:1], 0x38
	s_load_b32 s19, s[0:1], 0x1c
	s_ashr_i32 s7, s3, 31
	v_add_nc_u32_e32 v1, s12, v1
	s_lshr_b32 s7, s7, 27
	s_waitcnt lgkmcnt(0)
	s_add_i32 s3, s3, s7
	s_barrier
	v_ashrrev_i32_e32 v2, 31, v1
	v_or_b32_e32 v3, 16, v1
	s_ashr_i32 s3, s3, 5
	v_cmp_gt_i32_e32 vcc_lo, s24, v1
	s_add_i32 s3, s3, -1
	v_lshrrev_b32_e32 v2, 27, v2
	buffer_gl0_inv
	s_mul_i32 s27, s15, s18
	v_add_nc_u32_e32 v4, v1, v2
	s_mul_i32 s6, s30, s6
	s_delay_alu instid0(SALU_CYCLE_1) | instskip(NEXT) | instid1(VALU_DEP_1)
	s_ashr_i32 s7, s6, 31
	v_ashrrev_i32_e32 v4, 5, v4
	v_add_nc_u32_e32 v2, v3, v2
	s_lshl_b64 s[6:7], s[6:7], 2
	s_delay_alu instid0(SALU_CYCLE_1) | instskip(NEXT) | instid1(VALU_DEP_2)
	s_add_u32 s26, s4, s6
	v_cndmask_b32_e32 v1, s3, v4, vcc_lo
	s_delay_alu instid0(VALU_DEP_2)
	v_ashrrev_i32_e32 v2, 5, v2
	v_cmp_gt_i32_e32 vcc_lo, s24, v3
	s_addc_u32 s25, s5, s7
	s_ashr_i32 s28, s27, 31
	s_add_u32 s4, s20, s27
	s_addc_u32 s5, s21, s28
	v_cndmask_b32_e32 v3, s3, v2, vcc_lo
	v_ashrrev_i32_e32 v2, 31, v1
	s_lshl_b32 s6, s14, 3
	s_delay_alu instid0(SALU_CYCLE_1) | instskip(NEXT) | instid1(VALU_DEP_2)
	s_ashr_i32 s7, s6, 31
	v_ashrrev_i32_e32 v4, 31, v3
	s_delay_alu instid0(VALU_DEP_2) | instskip(SKIP_1) | instid1(SALU_CYCLE_1)
	v_lshlrev_b64 v[1:2], 2, v[1:2]
	s_lshl_b64 s[6:7], s[6:7], 2
	s_add_u32 s6, s26, s6
	s_delay_alu instid0(VALU_DEP_2) | instskip(SKIP_1) | instid1(VALU_DEP_2)
	v_lshlrev_b64 v[3:4], 2, v[3:4]
	s_addc_u32 s7, s25, s7
	v_add_co_u32 v1, vcc_lo, s26, v1
	v_add_co_ci_u32_e32 v2, vcc_lo, s25, v2, vcc_lo
	s_delay_alu instid0(VALU_DEP_3) | instskip(NEXT) | instid1(VALU_DEP_4)
	v_add_co_u32 v3, vcc_lo, s26, v3
	v_add_co_ci_u32_e32 v4, vcc_lo, s25, v4, vcc_lo
	s_clause 0x1
	global_load_b32 v5, v[1:2], off
	global_load_b32 v6, v[3:4], off
	s_or_b32 s8, s12, 32
	s_delay_alu instid0(SALU_CYCLE_1) | instskip(SKIP_2) | instid1(SALU_CYCLE_1)
	s_ashr_i32 s9, s8, 5
	s_cmp_lt_i32 s8, s24
	s_cselect_b32 s8, s9, s3
	s_ashr_i32 s9, s8, 31
	s_delay_alu instid0(SALU_CYCLE_1) | instskip(NEXT) | instid1(SALU_CYCLE_1)
	s_lshl_b64 s[8:9], s[8:9], 2
	s_add_u32 s8, s26, s8
	s_addc_u32 s9, s25, s9
	s_or_b32 s10, s12, 64
	s_delay_alu instid0(SALU_CYCLE_1) | instskip(SKIP_2) | instid1(SALU_CYCLE_1)
	s_ashr_i32 s11, s10, 5
	s_cmp_lt_i32 s10, s24
	s_cselect_b32 s10, s11, s3
	s_ashr_i32 s11, s10, 31
	s_delay_alu instid0(SALU_CYCLE_1) | instskip(NEXT) | instid1(SALU_CYCLE_1)
	s_lshl_b64 s[10:11], s[10:11], 2
	s_add_u32 s10, s26, s10
	s_addc_u32 s11, s25, s11
	;; [unrolled: 10-line block ×5, first 2 shown]
	s_clause 0x5
	s_load_b32 s21, s[6:7], 0x0
	s_load_b32 s13, s[8:9], 0x0
	;; [unrolled: 1-line block ×6, first 2 shown]
	s_or_b32 s7, s12, 0xc0
	s_delay_alu instid0(SALU_CYCLE_1) | instskip(SKIP_2) | instid1(SALU_CYCLE_1)
	s_ashr_i32 s8, s7, 5
	s_cmp_lt_i32 s7, s24
	s_cselect_b32 s10, s8, s3
	s_ashr_i32 s11, s10, 31
	s_delay_alu instid0(SALU_CYCLE_1) | instskip(NEXT) | instid1(SALU_CYCLE_1)
	s_lshl_b64 s[34:35], s[10:11], 2
	s_add_u32 s34, s26, s34
	s_addc_u32 s35, s25, s35
	s_or_b32 s29, s12, 0xe0
	s_delay_alu instid0(SALU_CYCLE_1)
	s_ashr_i32 s33, s29, 5
	s_cmp_lt_i32 s29, s24
	s_waitcnt vmcnt(1)
	v_mad_i64_i32 v[1:2], null, v5, s17, s[4:5]
	s_waitcnt vmcnt(0)
	v_mad_i64_i32 v[3:4], null, v6, s17, s[4:5]
	s_mov_b32 s4, 0
	s_delay_alu instid0(SALU_CYCLE_1)
	s_mov_b32 s5, s4
	s_mov_b32 s6, s4
	;; [unrolled: 1-line block ×7, first 2 shown]
	v_lshlrev_b32_e32 v5, 4, v66
	v_dual_mov_b32 v107, s11 :: v_dual_mov_b32 v102, s6
	v_dual_mov_b32 v106, s10 :: v_dual_mov_b32 v105, s9
	s_delay_alu instid0(VALU_DEP_3)
	v_add_co_u32 v1, vcc_lo, v1, v5
	v_add_co_ci_u32_e32 v2, vcc_lo, 0, v2, vcc_lo
	v_add_co_u32 v3, vcc_lo, v3, v5
	v_add_co_ci_u32_e32 v4, vcc_lo, 0, v4, vcc_lo
	s_clause 0x7
	global_load_b128 v[49:52], v[1:2], off
	global_load_b128 v[53:56], v[1:2], off offset:512
	global_load_b128 v[76:79], v[3:4], off offset:256
	global_load_b128 v[80:83], v[3:4], off offset:768
	global_load_b128 v[84:87], v[1:2], off offset:1024
	global_load_b128 v[88:91], v[1:2], off offset:1536
	global_load_b128 v[92:95], v[3:4], off offset:1280
	global_load_b128 v[96:99], v[3:4], off offset:1792
	v_dual_mov_b32 v100, s4 :: v_dual_and_b32 v1, 3, v0
	v_lshlrev_b32_e32 v2, 5, v66
	v_dual_mov_b32 v104, s8 :: v_dual_mov_b32 v103, s7
	v_mov_b32_e32 v101, s5
	s_cselect_b32 s4, s33, s3
	v_lshlrev_b32_e32 v70, 6, v1
	s_ashr_i32 s5, s4, 31
	v_lshl_or_b32 v1, v65, 9, v2
	s_lshl_b64 s[4:5], s[4:5], 2
	s_load_b32 s3, s[34:35], 0x0
	s_add_u32 s4, s26, s4
	s_addc_u32 s5, s25, s5
	ds_load_b128 v[108:111], v70
	ds_load_b128 v[112:115], v70 offset:1024
	s_load_b32 s4, s[4:5], 0x0
	s_add_u32 s6, s22, s27
	s_addc_u32 s7, s23, s28
	v_add_co_u32 v9, s6, s6, v1
	s_delay_alu instid0(VALU_DEP_1) | instskip(SKIP_1) | instid1(VALU_DEP_1)
	v_add_co_ci_u32_e64 v10, null, s7, 0, s6
	s_waitcnt lgkmcnt(0)
	v_mad_i64_i32 v[1:2], null, s21, s17, v[9:10]
	v_mad_i64_i32 v[3:4], null, s13, s17, v[9:10]
	;; [unrolled: 1-line block ×7, first 2 shown]
	s_clause 0x9
	global_load_b128 v[57:60], v[1:2], off
	global_load_b128 v[61:64], v[1:2], off offset:16
	global_load_b128 v[41:44], v[3:4], off
	global_load_b128 v[45:48], v[3:4], off offset:16
	;; [unrolled: 2-line block ×5, first 2 shown]
	v_mad_i64_i32 v[68:69], null, s4, s17, v[9:10]
	s_clause 0x3
	global_load_b128 v[9:12], v[13:14], off
	global_load_b128 v[13:16], v[13:14], off offset:16
	global_load_b128 v[17:20], v[21:22], off
	global_load_b128 v[21:24], v[21:22], off offset:16
	s_waitcnt vmcnt(20)
	v_wmma_f32_16x16x16_bf16 v[116:123], v[49:56], v[108:115], v[100:107]
	s_clause 0x1
	global_load_b128 v[49:52], v[68:69], off
	global_load_b128 v[53:56], v[68:69], off offset:16
	v_and_b32_e32 v68, 0xe0, v0
	v_mbcnt_lo_u32_b32 v69, -1, 0
	s_delay_alu instid0(VALU_DEP_2)
	v_add_nc_u32_e32 v68, s12, v68
	s_waitcnt vmcnt(20)
	v_wmma_f32_16x16x16_bf16 v[100:107], v[76:83], v[108:115], v[100:107]
	ds_load_b128 v[76:79], v70 offset:2048
	ds_load_b128 v[80:83], v70 offset:3072
	v_xor_b32_e32 v70, 16, v69
	s_waitcnt vmcnt(0) lgkmcnt(0)
	v_or_b32_e32 v68, v68, v75
	s_barrier
	buffer_gl0_inv
	v_cmp_gt_i32_e32 vcc_lo, 32, v70
	v_or_b32_e32 v71, 4, v68
	v_or_b32_e32 v72, 6, v68
	v_cmp_gt_i32_e64 s3, s24, v68
	v_or_b32_e32 v108, 8, v68
	v_or_b32_e32 v109, 10, v68
	v_cmp_gt_i32_e64 s4, s24, v71
	v_cmp_gt_i32_e64 s5, s24, v72
	s_delay_alu instid0(VALU_DEP_4) | instskip(NEXT) | instid1(VALU_DEP_4)
	v_cmp_gt_i32_e64 s6, s24, v108
	v_cmp_gt_i32_e64 s7, s24, v109
	v_wmma_f32_16x16x16_bf16 v[116:123], v[84:91], v[76:83], v[116:123]
	v_cndmask_b32_e32 v69, v69, v70, vcc_lo
	v_or_b32_e32 v70, 2, v68
	v_wmma_f32_16x16x16_bf16 v[100:107], v[92:99], v[76:83], v[100:107]
	v_or_b32_e32 v84, 12, v68
	v_dual_mul_f32 v78, s19, v123 :: v_dual_mul_f32 v83, s19, v118
	v_dual_mul_f32 v92, s19, v117 :: v_dual_mul_f32 v93, s19, v116
	s_delay_alu instid0(VALU_DEP_4) | instskip(SKIP_2) | instid1(VALU_DEP_4)
	v_mul_f32_e32 v94, s19, v107
	v_cmp_gt_i32_e32 vcc_lo, s24, v70
	v_dual_mul_f32 v81, s19, v120 :: v_dual_mul_f32 v82, s19, v119
	v_cndmask_b32_e64 v93, 0xff7fffff, v93, s3
	v_or_b32_e32 v85, 14, v68
	v_cndmask_b32_e32 v92, 0xff7fffff, v92, vcc_lo
	v_dual_mul_f32 v79, s19, v122 :: v_dual_mul_f32 v80, s19, v121
	v_cndmask_b32_e64 v71, 0xff7fffff, v83, s4
	v_cndmask_b32_e64 v72, 0xff7fffff, v82, s5
	s_delay_alu instid0(VALU_DEP_4)
	v_max3_f32 v82, v93, 0xff7fffff, v92
	v_or_b32_e32 v86, 16, v68
	v_or_b32_e32 v87, 18, v68
	v_cndmask_b32_e64 v81, 0xff7fffff, v81, s6
	v_cndmask_b32_e64 v80, 0xff7fffff, v80, s7
	v_max3_f32 v71, v82, v71, v72
	v_cmp_gt_i32_e64 s8, s24, v84
	v_cmp_gt_i32_e64 s9, s24, v85
	v_or_b32_e32 v88, 20, v68
	v_or_b32_e32 v89, 22, v68
	;; [unrolled: 1-line block ×6, first 2 shown]
	v_dual_mul_f32 v99, s19, v102 :: v_dual_mul_f32 v70, s19, v101
	v_mul_f32_e32 v68, s19, v100
	v_cndmask_b32_e64 v72, 0xff7fffff, v79, s8
	v_cndmask_b32_e64 v78, 0xff7fffff, v78, s9
	v_max3_f32 v71, v71, v81, v80
	v_cmp_gt_i32_e64 s10, s24, v86
	v_cmp_gt_i32_e64 s11, s24, v87
	v_dual_mul_f32 v97, s19, v104 :: v_dual_mul_f32 v98, s19, v103
	s_delay_alu instid0(VALU_DEP_4) | instskip(SKIP_1) | instid1(VALU_DEP_4)
	v_max3_f32 v71, v71, v72, v78
	v_cmp_gt_i32_e64 s12, s24, v88
	v_cndmask_b32_e64 v70, 0xff7fffff, v70, s11
	v_cmp_gt_i32_e64 s13, s24, v89
	v_lshlrev_b32_e32 v89, 2, v69
	v_cndmask_b32_e64 v68, 0xff7fffff, v68, s10
	v_dual_mul_f32 v95, s19, v106 :: v_dual_mul_f32 v96, s19, v105
	v_cndmask_b32_e64 v72, 0xff7fffff, v99, s12
	v_cndmask_b32_e64 v78, 0xff7fffff, v98, s13
	s_delay_alu instid0(VALU_DEP_4)
	v_max3_f32 v68, v71, v68, v70
	v_cmp_gt_i32_e64 s15, s24, v90
	v_cmp_gt_i32_e64 s16, s24, v91
	;; [unrolled: 1-line block ×4, first 2 shown]
	v_max3_f32 v68, v68, v72, v78
	v_cndmask_b32_e64 v70, 0xff7fffff, v97, s15
	v_cndmask_b32_e64 v71, 0xff7fffff, v96, s16
	;; [unrolled: 1-line block ×4, first 2 shown]
	s_delay_alu instid0(VALU_DEP_3) | instskip(NEXT) | instid1(VALU_DEP_1)
	v_max3_f32 v68, v68, v70, v71
	v_max3_f32 v68, v68, v72, v76
	ds_bpermute_b32 v69, v89, v68
	s_waitcnt lgkmcnt(0)
	v_max_f32_e32 v69, v69, v69
	s_delay_alu instid0(VALU_DEP_1) | instskip(NEXT) | instid1(VALU_DEP_1)
	v_max_f32_e32 v68, v68, v69
	v_fma_f32 v71, s19, v118, -v68
	s_delay_alu instid0(VALU_DEP_1)
	v_mul_f32_e32 v71, 0x3fb8aa3b, v71
	v_fma_f32 v69, s19, v116, -v68
	v_fma_f32 v70, s19, v117, -v68
	;; [unrolled: 1-line block ×4, first 2 shown]
	v_exp_f32_e32 v71, v71
	s_delay_alu instid0(VALU_DEP_3) | instskip(SKIP_2) | instid1(VALU_DEP_3)
	v_dual_mul_f32 v69, 0x3fb8aa3b, v69 :: v_dual_mul_f32 v70, 0x3fb8aa3b, v70
	v_fma_f32 v78, s19, v122, -v68
	v_fma_f32 v81, s19, v105, -v68
	v_exp_f32_e32 v69, v69
	s_delay_alu instid0(VALU_DEP_3) | instskip(SKIP_1) | instid1(VALU_DEP_2)
	v_exp_f32_e32 v70, v70
	v_mul_f32_e32 v77, 0x3fb8aa3b, v76
	v_mul_f32_e32 v81, 0x3fb8aa3b, v81
	s_delay_alu instid0(TRANS32_DEP_3) | instskip(SKIP_1) | instid1(VALU_DEP_3)
	v_cndmask_b32_e64 v83, 0, v71, s4
	v_fma_f32 v71, s19, v123, -v68
	v_exp_f32_e32 v81, v81
	s_delay_alu instid0(TRANS32_DEP_3) | instskip(NEXT) | instid1(TRANS32_DEP_2)
	v_cndmask_b32_e64 v80, 0, v69, s3
	v_cndmask_b32_e32 v76, 0, v70, vcc_lo
	v_fma_f32 v69, s19, v121, -v68
	v_mul_f32_e32 v72, 0x3fb8aa3b, v72
	v_exp_f32_e32 v77, v77
	v_dual_add_f32 v70, 0, v80 :: v_dual_mul_f32 v71, 0x3fb8aa3b, v71
	s_delay_alu instid0(VALU_DEP_3) | instskip(NEXT) | instid1(VALU_DEP_3)
	v_mul_f32_e32 v69, 0x3fb8aa3b, v69
	v_exp_f32_e32 v72, v72
	s_mov_b32 s3, exec_lo
	s_delay_alu instid0(VALU_DEP_2) | instskip(NEXT) | instid1(VALU_DEP_1)
	v_exp_f32_e32 v71, v71
	v_exp_f32_e32 v69, v69
	v_cndmask_b32_e64 v86, 0, v77, s6
	v_fma_f32 v77, s19, v101, -v68
	v_add_f32_e32 v70, v70, v76
	s_delay_alu instid0(TRANS32_DEP_3) | instskip(SKIP_1) | instid1(VALU_DEP_3)
	v_cndmask_b32_e64 v85, 0, v72, s5
	v_fma_f32 v72, s19, v100, -v68
	v_dual_mul_f32 v77, 0x3fb8aa3b, v77 :: v_dual_add_f32 v70, v70, v83
	s_delay_alu instid0(TRANS32_DEP_2) | instskip(SKIP_1) | instid1(TRANS32_DEP_1)
	v_cndmask_b32_e64 v88, 0, v71, s9
	v_fma_f32 v71, s19, v104, -v68
	v_cndmask_b32_e64 v87, 0, v69, s7
	s_delay_alu instid0(VALU_DEP_4) | instskip(NEXT) | instid1(VALU_DEP_2)
	v_exp_f32_e32 v77, v77
	v_dual_add_f32 v70, v70, v85 :: v_dual_mul_f32 v71, 0x3fb8aa3b, v71
	s_delay_alu instid0(VALU_DEP_1) | instskip(SKIP_2) | instid1(VALU_DEP_3)
	v_dual_mul_f32 v72, 0x3fb8aa3b, v72 :: v_dual_add_f32 v69, v70, v86
	v_mul_f32_e32 v78, 0x3fb8aa3b, v78
	v_fma_f32 v70, s19, v102, -v68
	v_exp_f32_e32 v72, v72
	v_exp_f32_e32 v82, v71
	v_add_f32_e32 v69, v69, v87
	v_exp_f32_e32 v78, v78
	v_mul_f32_e32 v70, 0x3fb8aa3b, v70
	s_delay_alu instid0(VALU_DEP_1) | instskip(SKIP_4) | instid1(VALU_DEP_2)
	v_exp_f32_e32 v79, v70
	v_cndmask_b32_e64 v70, 0, v72, s10
	s_waitcnt_depctr 0xfff
	v_cndmask_b32_e64 v84, 0, v78, s8
	v_fma_f32 v78, s19, v103, -v68
	v_add_f32_e32 v69, v69, v84
	v_cndmask_b32_e64 v71, 0, v79, s12
	s_delay_alu instid0(VALU_DEP_2) | instskip(SKIP_2) | instid1(VALU_DEP_1)
	v_add_f32_e32 v72, v69, v88
	v_cndmask_b32_e64 v69, 0, v77, s11
	v_fma_f32 v77, s19, v106, -v68
	v_dual_mul_f32 v77, 0x3fb8aa3b, v77 :: v_dual_add_f32 v72, v72, v70
	v_mul_f32_e32 v78, 0x3fb8aa3b, v78
	s_delay_alu instid0(VALU_DEP_2) | instskip(NEXT) | instid1(VALU_DEP_2)
	v_exp_f32_e32 v90, v77
	v_add_f32_e32 v79, v72, v69
	s_delay_alu instid0(VALU_DEP_2)
	v_exp_f32_e32 v78, v78
	v_cndmask_b32_e64 v77, 0, v82, s15
	s_waitcnt_depctr 0xfff
	v_cndmask_b32_e64 v72, 0, v78, s13
	v_add_f32_e32 v78, v79, v71
	v_fma_f32 v79, s19, v107, -v68
	s_delay_alu instid0(VALU_DEP_1) | instskip(SKIP_1) | instid1(VALU_DEP_2)
	v_dual_add_f32 v82, v78, v72 :: v_dual_mul_f32 v79, 0x3fb8aa3b, v79
	v_cndmask_b32_e64 v78, 0, v81, s16
	v_add_f32_e32 v81, v82, v77
	s_delay_alu instid0(VALU_DEP_3) | instskip(SKIP_1) | instid1(VALU_DEP_2)
	v_exp_f32_e32 v82, v79
	v_cndmask_b32_e64 v79, 0, v90, s17
	v_add_f32_e32 v81, v81, v78
	s_delay_alu instid0(VALU_DEP_1) | instskip(SKIP_2) | instid1(VALU_DEP_1)
	v_add_f32_e32 v90, v81, v79
	s_waitcnt_depctr 0xfff
	v_cndmask_b32_e64 v81, 0, v82, s18
	v_add_f32_e32 v82, v90, v81
	ds_bpermute_b32 v89, v89, v82
	v_cmpx_gt_u32_e32 16, v67
	s_cbranch_execz .LBB1793_12
; %bb.11:
	v_mul_u32_u24_e32 v67, 0x44, v65
	s_delay_alu instid0(VALU_DEP_1) | instskip(SKIP_1) | instid1(VALU_DEP_1)
	v_lshl_add_u32 v67, v66, 2, v67
	s_waitcnt lgkmcnt(0)
	v_dual_add_f32 v82, v82, v89 :: v_dual_add_nc_u32 v67, 0x4000, v67
	ds_store_2addr_b32 v67, v68, v82 offset1:136
.LBB1793_12:
	s_or_b32 exec_lo, exec_lo, s3
	v_lshlrev_b32_e32 v67, 2, v66
	s_waitcnt lgkmcnt(0)
	s_barrier
	buffer_gl0_inv
	v_cmp_eq_u32_e32 vcc_lo, 1, v65
	v_add_nc_u32_e32 v82, 0x4000, v67
	v_cmp_eq_u32_e64 s3, 2, v65
	v_cmp_eq_u32_e64 s5, 7, v65
	ds_load_2addr_b32 v[89:90], v82 offset1:17
	ds_load_2addr_b32 v[91:92], v82 offset0:34 offset1:51
	ds_load_2addr_b32 v[93:94], v82 offset0:68 offset1:85
	;; [unrolled: 1-line block ×4, first 2 shown]
	s_waitcnt lgkmcnt(4)
	v_max3_f32 v67, v89, 0xff7fffff, v90
	s_waitcnt lgkmcnt(3)
	s_delay_alu instid0(VALU_DEP_1) | instskip(SKIP_1) | instid1(VALU_DEP_1)
	v_max3_f32 v67, v67, v91, v92
	s_waitcnt lgkmcnt(2)
	v_max3_f32 v67, v67, v93, v94
	s_waitcnt lgkmcnt(1)
	s_delay_alu instid0(VALU_DEP_1) | instskip(NEXT) | instid1(VALU_DEP_1)
	v_max3_f32 v67, v67, v95, v96
	v_sub_f32_e32 v93, v93, v67
	s_delay_alu instid0(VALU_DEP_1) | instskip(NEXT) | instid1(VALU_DEP_1)
	v_dual_sub_f32 v68, v89, v67 :: v_dual_mul_f32 v103, 0x3fb8aa3b, v93
	v_mul_f32_e32 v68, 0x3fb8aa3b, v68
	s_delay_alu instid0(VALU_DEP_1)
	v_exp_f32_e32 v100, v68
	v_sub_f32_e32 v68, v92, v67
	v_sub_f32_e32 v99, v90, v67
	ds_load_2addr_b32 v[89:90], v82 offset0:170 offset1:187
	v_dual_mul_f32 v102, 0x3fb8aa3b, v68 :: v_dual_mul_f32 v99, 0x3fb8aa3b, v99
	s_waitcnt lgkmcnt(1)
	v_fma_f32 v68, v100, v97, 0
	s_delay_alu instid0(VALU_DEP_2) | instskip(NEXT) | instid1(VALU_DEP_2)
	v_exp_f32_e32 v102, v102
	v_exp_f32_e32 v99, v99
	s_waitcnt_depctr 0xfff
	v_fmac_f32_e32 v68, v99, v98
	v_sub_f32_e32 v91, v91, v67
	s_delay_alu instid0(VALU_DEP_1)
	v_mul_f32_e32 v101, 0x3fb8aa3b, v91
	ds_load_2addr_b32 v[91:92], v82 offset0:204 offset1:221
	v_sub_f32_e32 v97, v94, v67
	ds_load_2addr_b32 v[93:94], v82 offset0:238 offset1:255
	s_waitcnt lgkmcnt(0)
	v_exp_f32_e32 v101, v101
	s_barrier
	buffer_gl0_inv
	v_dual_fmac_f32 v68, v101, v89 :: v_dual_sub_f32 v89, v96, v67
	v_dual_sub_f32 v82, v95, v67 :: v_dual_mul_f32 v95, 0x3fb8aa3b, v97
	v_exp_f32_e32 v97, v103
	s_delay_alu instid0(VALU_DEP_2) | instskip(NEXT) | instid1(VALU_DEP_2)
	v_dual_fmac_f32 v68, v102, v90 :: v_dual_mul_f32 v89, 0x3fb8aa3b, v89
	v_mul_f32_e32 v82, 0x3fb8aa3b, v82
	s_delay_alu instid0(VALU_DEP_3) | instskip(NEXT) | instid1(VALU_DEP_2)
	v_exp_f32_e32 v95, v95
	v_exp_f32_e32 v89, v89
	s_delay_alu instid0(VALU_DEP_1)
	v_exp_f32_e32 v82, v82
	v_fmac_f32_e32 v68, v97, v91
	s_delay_alu instid0(TRANS32_DEP_3) | instid1(VALU_DEP_1)
	v_fmac_f32_e32 v68, v95, v92
	s_waitcnt_depctr 0xfff
	v_fmac_f32_e32 v68, v82, v93
	s_delay_alu instid0(VALU_DEP_1) | instskip(NEXT) | instid1(VALU_DEP_1)
	v_fmac_f32_e32 v68, v89, v94
	v_add_f32_e32 v90, 0x358637bd, v68
	s_delay_alu instid0(VALU_DEP_1) | instskip(NEXT) | instid1(VALU_DEP_1)
	v_div_scale_f32 v91, null, v90, v90, 1.0
	v_rcp_f32_e32 v92, v91
	s_waitcnt_depctr 0xfff
	v_fma_f32 v93, -v91, v92, 1.0
	s_delay_alu instid0(VALU_DEP_1) | instskip(SKIP_1) | instid1(VALU_DEP_2)
	v_dual_fmac_f32 v92, v93, v92 :: v_dual_cndmask_b32 v93, v100, v99
	v_cmp_eq_u32_e32 vcc_lo, 3, v65
	v_cndmask_b32_e64 v93, v93, v101, s3
	v_cmp_eq_u32_e64 s3, 4, v65
	s_delay_alu instid0(VALU_DEP_2) | instskip(SKIP_1) | instid1(VALU_DEP_2)
	v_cndmask_b32_e32 v93, v93, v102, vcc_lo
	v_cmp_eq_u32_e32 vcc_lo, 5, v65
	v_cndmask_b32_e64 v93, v93, v97, s3
	v_cmp_eq_u32_e64 s3, 6, v65
	s_delay_alu instid0(VALU_DEP_2) | instskip(SKIP_1) | instid1(VALU_DEP_1)
	v_cndmask_b32_e32 v93, v93, v95, vcc_lo
	v_div_scale_f32 v94, s4, 1.0, v90, 1.0
	s_mov_b32 vcc_lo, s4
	s_delay_alu instid0(VALU_DEP_2) | instskip(NEXT) | instid1(VALU_DEP_2)
	v_cndmask_b32_e64 v82, v93, v82, s3
	v_mul_f32_e32 v96, v94, v92
	s_mov_b32 s3, exec_lo
	s_delay_alu instid0(VALU_DEP_2) | instskip(NEXT) | instid1(VALU_DEP_2)
	v_cndmask_b32_e64 v82, v82, v89, s5
	v_fma_f32 v98, -v91, v96, v94
	s_delay_alu instid0(VALU_DEP_1) | instskip(NEXT) | instid1(VALU_DEP_1)
	v_fmac_f32_e32 v96, v98, v92
	v_fma_f32 v91, -v91, v96, v94
	s_delay_alu instid0(VALU_DEP_1) | instskip(NEXT) | instid1(VALU_DEP_1)
	v_div_fmas_f32 v91, v91, v92, v96
	v_div_fixup_f32 v90, v91, v90, 1.0
	s_delay_alu instid0(VALU_DEP_1) | instskip(NEXT) | instid1(VALU_DEP_1)
	v_mul_f32_e32 v82, v82, v90
	v_mul_f32_e32 v87, v82, v87
	;; [unrolled: 1-line block ×7, first 2 shown]
	v_dual_mul_f32 v86, v82, v83 :: v_dual_and_b32 v91, 0x7f800000, v90
	v_mul_f32_e32 v85, v82, v76
                                        ; implicit-def: $vgpr76
	s_delay_alu instid0(VALU_DEP_2)
	v_cmpx_ne_u32_e32 0x7f800000, v91
	s_xor_b32 s3, exec_lo, s3
; %bb.13:
	v_bfe_u32 v76, v90, 16, 1
	s_delay_alu instid0(VALU_DEP_1)
	v_add3_u32 v76, v90, v76, 0x7fff
                                        ; implicit-def: $vgpr90
; %bb.14:
	s_and_not1_saveexec_b32 s3, s3
; %bb.15:
	v_and_b32_e32 v76, 0xffff, v90
	v_or_b32_e32 v83, 0x10000, v90
	s_delay_alu instid0(VALU_DEP_2) | instskip(NEXT) | instid1(VALU_DEP_2)
	v_cmp_eq_u32_e32 vcc_lo, 0, v76
	v_cndmask_b32_e32 v76, v83, v90, vcc_lo
; %bb.16:
	s_or_b32 exec_lo, exec_lo, s3
	v_and_b32_e32 v83, 0x7f800000, v85
	s_delay_alu instid0(VALU_DEP_1) | instskip(SKIP_1) | instid1(SALU_CYCLE_1)
	v_cmp_ne_u32_e32 vcc_lo, 0x7f800000, v83
                                        ; implicit-def: $vgpr83
	s_and_saveexec_b32 s3, vcc_lo
	s_xor_b32 s3, exec_lo, s3
; %bb.17:
	v_bfe_u32 v83, v85, 16, 1
	s_delay_alu instid0(VALU_DEP_1)
	v_add3_u32 v83, v85, v83, 0x7fff
                                        ; implicit-def: $vgpr85
; %bb.18:
	s_and_not1_saveexec_b32 s3, s3
; %bb.19:
	v_and_b32_e32 v83, 0xffff, v85
	v_or_b32_e32 v90, 0x10000, v85
	s_delay_alu instid0(VALU_DEP_2) | instskip(NEXT) | instid1(VALU_DEP_2)
	v_cmp_eq_u32_e32 vcc_lo, 0, v83
	v_cndmask_b32_e32 v83, v90, v85, vcc_lo
; %bb.20:
	s_or_b32 exec_lo, exec_lo, s3
	v_and_b32_e32 v85, 0x7f800000, v86
	s_delay_alu instid0(VALU_DEP_1) | instskip(SKIP_1) | instid1(SALU_CYCLE_1)
	v_cmp_ne_u32_e32 vcc_lo, 0x7f800000, v85
                                        ; implicit-def: $vgpr85
	s_and_saveexec_b32 s3, vcc_lo
	s_xor_b32 s3, exec_lo, s3
; %bb.21:
	v_bfe_u32 v85, v86, 16, 1
	s_delay_alu instid0(VALU_DEP_1)
	v_add3_u32 v85, v86, v85, 0x7fff
                                        ; implicit-def: $vgpr86
; %bb.22:
	s_and_not1_saveexec_b32 s3, s3
; %bb.23:
	v_and_b32_e32 v85, 0xffff, v86
	v_or_b32_e32 v90, 0x10000, v86
	s_delay_alu instid0(VALU_DEP_2) | instskip(NEXT) | instid1(VALU_DEP_2)
	v_cmp_eq_u32_e32 vcc_lo, 0, v85
	v_cndmask_b32_e32 v85, v90, v86, vcc_lo
; %bb.24:
	s_or_b32 exec_lo, exec_lo, s3
	v_and_b32_e32 v86, 0x7f800000, v89
	s_delay_alu instid0(VALU_DEP_1) | instskip(SKIP_1) | instid1(SALU_CYCLE_1)
	v_cmp_ne_u32_e32 vcc_lo, 0x7f800000, v86
                                        ; implicit-def: $vgpr86
	s_and_saveexec_b32 s3, vcc_lo
	s_xor_b32 s3, exec_lo, s3
; %bb.25:
	v_bfe_u32 v86, v89, 16, 1
	s_delay_alu instid0(VALU_DEP_1)
	v_add3_u32 v86, v89, v86, 0x7fff
                                        ; implicit-def: $vgpr89
; %bb.26:
	s_and_not1_saveexec_b32 s3, s3
; %bb.27:
	v_and_b32_e32 v86, 0xffff, v89
	v_or_b32_e32 v90, 0x10000, v89
	s_delay_alu instid0(VALU_DEP_2) | instskip(NEXT) | instid1(VALU_DEP_2)
	v_cmp_eq_u32_e32 vcc_lo, 0, v86
	v_cndmask_b32_e32 v86, v90, v89, vcc_lo
; %bb.28:
	s_or_b32 exec_lo, exec_lo, s3
	v_and_b32_e32 v89, 0x7f800000, v88
	s_delay_alu instid0(VALU_DEP_1) | instskip(SKIP_1) | instid1(SALU_CYCLE_1)
	v_cmp_ne_u32_e32 vcc_lo, 0x7f800000, v89
                                        ; implicit-def: $vgpr89
	s_and_saveexec_b32 s3, vcc_lo
	s_xor_b32 s3, exec_lo, s3
; %bb.29:
	v_bfe_u32 v89, v88, 16, 1
	s_delay_alu instid0(VALU_DEP_1)
	v_add3_u32 v89, v88, v89, 0x7fff
                                        ; implicit-def: $vgpr88
; %bb.30:
	s_and_not1_saveexec_b32 s3, s3
; %bb.31:
	v_and_b32_e32 v89, 0xffff, v88
	v_or_b32_e32 v90, 0x10000, v88
	s_delay_alu instid0(VALU_DEP_2) | instskip(NEXT) | instid1(VALU_DEP_2)
	v_cmp_eq_u32_e32 vcc_lo, 0, v89
	v_cndmask_b32_e32 v89, v90, v88, vcc_lo
; %bb.32:
	s_or_b32 exec_lo, exec_lo, s3
	v_and_b32_e32 v88, 0x7f800000, v87
	s_delay_alu instid0(VALU_DEP_1) | instskip(SKIP_1) | instid1(SALU_CYCLE_1)
	v_cmp_ne_u32_e32 vcc_lo, 0x7f800000, v88
                                        ; implicit-def: $vgpr88
	s_and_saveexec_b32 s3, vcc_lo
	s_xor_b32 s3, exec_lo, s3
; %bb.33:
	v_bfe_u32 v88, v87, 16, 1
	s_delay_alu instid0(VALU_DEP_1)
	v_add3_u32 v88, v87, v88, 0x7fff
                                        ; implicit-def: $vgpr87
; %bb.34:
	s_and_not1_saveexec_b32 s3, s3
; %bb.35:
	v_and_b32_e32 v88, 0xffff, v87
	v_or_b32_e32 v90, 0x10000, v87
	s_delay_alu instid0(VALU_DEP_2) | instskip(NEXT) | instid1(VALU_DEP_2)
	v_cmp_eq_u32_e32 vcc_lo, 0, v88
	v_cndmask_b32_e32 v88, v90, v87, vcc_lo
; %bb.36:
	s_or_b32 exec_lo, exec_lo, s3
	v_and_b32_e32 v87, 0x7f800000, v84
	s_delay_alu instid0(VALU_DEP_1) | instskip(SKIP_1) | instid1(SALU_CYCLE_1)
	v_cmp_ne_u32_e32 vcc_lo, 0x7f800000, v87
                                        ; implicit-def: $vgpr87
	s_and_saveexec_b32 s3, vcc_lo
	s_xor_b32 s3, exec_lo, s3
; %bb.37:
	v_bfe_u32 v87, v84, 16, 1
	s_delay_alu instid0(VALU_DEP_1)
	v_add3_u32 v87, v84, v87, 0x7fff
                                        ; implicit-def: $vgpr84
; %bb.38:
	s_and_not1_saveexec_b32 s3, s3
; %bb.39:
	v_and_b32_e32 v87, 0xffff, v84
	v_or_b32_e32 v90, 0x10000, v84
	s_delay_alu instid0(VALU_DEP_2) | instskip(NEXT) | instid1(VALU_DEP_2)
	v_cmp_eq_u32_e32 vcc_lo, 0, v87
	v_cndmask_b32_e32 v87, v90, v84, vcc_lo
; %bb.40:
	s_or_b32 exec_lo, exec_lo, s3
	v_and_b32_e32 v84, 0x7f800000, v80
	s_delay_alu instid0(VALU_DEP_1) | instskip(SKIP_1) | instid1(SALU_CYCLE_1)
	v_cmp_ne_u32_e32 vcc_lo, 0x7f800000, v84
                                        ; implicit-def: $vgpr84
	s_and_saveexec_b32 s3, vcc_lo
	s_xor_b32 s3, exec_lo, s3
; %bb.41:
	v_bfe_u32 v84, v80, 16, 1
	s_delay_alu instid0(VALU_DEP_1)
	v_add3_u32 v84, v80, v84, 0x7fff
                                        ; implicit-def: $vgpr80
; %bb.42:
	s_and_not1_saveexec_b32 s3, s3
; %bb.43:
	v_and_b32_e32 v84, 0xffff, v80
	v_or_b32_e32 v90, 0x10000, v80
	s_delay_alu instid0(VALU_DEP_2) | instskip(NEXT) | instid1(VALU_DEP_2)
	v_cmp_eq_u32_e32 vcc_lo, 0, v84
	v_cndmask_b32_e32 v84, v90, v80, vcc_lo
; %bb.44:
	s_or_b32 exec_lo, exec_lo, s3
	s_load_b64 s[34:35], s[0:1], 0x94
	v_lshlrev_b32_e32 v91, 4, v75
	s_delay_alu instid0(VALU_DEP_2)
	v_perm_b32 v90, v84, v87, 0x7060302
	v_dual_mul_f32 v77, v82, v77 :: v_dual_lshlrev_b32 v80, 6, v66
	v_lshlrev_b32_e32 v66, 11, v65
	v_perm_b32 v87, v83, v76, 0x7060302
	v_mul_f32_e32 v83, v82, v70
	v_perm_b32 v89, v88, v89, 0x7060302
	v_perm_b32 v88, v86, v85, 0x7060302
	v_or3_b32 v76, v91, v66, v80
	v_mul_f32_e32 v66, v82, v81
	v_mul_f32_e32 v70, v82, v79
	v_mul_f32_e32 v78, v82, v78
	v_dual_mul_f32 v81, v82, v72 :: v_dual_and_b32 v84, 0x7f800000, v83
	v_mul_f32_e32 v79, v82, v71
	v_mul_f32_e32 v72, v82, v69
	s_mov_b32 s3, exec_lo
	ds_store_b128 v76, v[87:90]
                                        ; implicit-def: $vgpr69
	v_cmpx_ne_u32_e32 0x7f800000, v84
	s_xor_b32 s3, exec_lo, s3
; %bb.45:
	v_bfe_u32 v69, v83, 16, 1
	s_delay_alu instid0(VALU_DEP_1)
	v_add3_u32 v69, v83, v69, 0x7fff
                                        ; implicit-def: $vgpr83
; %bb.46:
	s_and_not1_saveexec_b32 s3, s3
; %bb.47:
	v_and_b32_e32 v69, 0xffff, v83
	v_or_b32_e32 v71, 0x10000, v83
	s_delay_alu instid0(VALU_DEP_2) | instskip(NEXT) | instid1(VALU_DEP_2)
	v_cmp_eq_u32_e32 vcc_lo, 0, v69
	v_cndmask_b32_e32 v69, v71, v83, vcc_lo
; %bb.48:
	s_or_b32 exec_lo, exec_lo, s3
	v_and_b32_e32 v71, 0x7f800000, v72
	s_delay_alu instid0(VALU_DEP_1) | instskip(SKIP_1) | instid1(SALU_CYCLE_1)
	v_cmp_ne_u32_e32 vcc_lo, 0x7f800000, v71
                                        ; implicit-def: $vgpr71
	s_and_saveexec_b32 s3, vcc_lo
	s_xor_b32 s3, exec_lo, s3
; %bb.49:
	v_bfe_u32 v71, v72, 16, 1
	s_delay_alu instid0(VALU_DEP_1)
	v_add3_u32 v71, v72, v71, 0x7fff
                                        ; implicit-def: $vgpr72
; %bb.50:
	s_and_not1_saveexec_b32 s3, s3
; %bb.51:
	v_and_b32_e32 v71, 0xffff, v72
	v_or_b32_e32 v82, 0x10000, v72
	s_delay_alu instid0(VALU_DEP_2) | instskip(NEXT) | instid1(VALU_DEP_2)
	v_cmp_eq_u32_e32 vcc_lo, 0, v71
	v_cndmask_b32_e32 v71, v82, v72, vcc_lo
; %bb.52:
	s_or_b32 exec_lo, exec_lo, s3
	v_and_b32_e32 v72, 0x7f800000, v79
	s_delay_alu instid0(VALU_DEP_1) | instskip(SKIP_1) | instid1(SALU_CYCLE_1)
	v_cmp_ne_u32_e32 vcc_lo, 0x7f800000, v72
                                        ; implicit-def: $vgpr72
	s_and_saveexec_b32 s3, vcc_lo
	s_xor_b32 s3, exec_lo, s3
; %bb.53:
	v_bfe_u32 v72, v79, 16, 1
	s_delay_alu instid0(VALU_DEP_1)
	v_add3_u32 v72, v79, v72, 0x7fff
                                        ; implicit-def: $vgpr79
; %bb.54:
	s_and_not1_saveexec_b32 s3, s3
; %bb.55:
	v_and_b32_e32 v72, 0xffff, v79
	v_or_b32_e32 v82, 0x10000, v79
	s_delay_alu instid0(VALU_DEP_2) | instskip(NEXT) | instid1(VALU_DEP_2)
	v_cmp_eq_u32_e32 vcc_lo, 0, v72
	v_cndmask_b32_e32 v72, v82, v79, vcc_lo
; %bb.56:
	s_or_b32 exec_lo, exec_lo, s3
	v_and_b32_e32 v79, 0x7f800000, v81
	s_delay_alu instid0(VALU_DEP_1) | instskip(SKIP_1) | instid1(SALU_CYCLE_1)
	v_cmp_ne_u32_e32 vcc_lo, 0x7f800000, v79
                                        ; implicit-def: $vgpr79
	s_and_saveexec_b32 s3, vcc_lo
	s_xor_b32 s3, exec_lo, s3
; %bb.57:
	v_bfe_u32 v79, v81, 16, 1
	s_delay_alu instid0(VALU_DEP_1)
	v_add3_u32 v79, v81, v79, 0x7fff
                                        ; implicit-def: $vgpr81
; %bb.58:
	s_and_not1_saveexec_b32 s3, s3
; %bb.59:
	v_and_b32_e32 v79, 0xffff, v81
	v_or_b32_e32 v82, 0x10000, v81
	s_delay_alu instid0(VALU_DEP_2) | instskip(NEXT) | instid1(VALU_DEP_2)
	v_cmp_eq_u32_e32 vcc_lo, 0, v79
	v_cndmask_b32_e32 v79, v82, v81, vcc_lo
; %bb.60:
	s_or_b32 exec_lo, exec_lo, s3
	v_and_b32_e32 v81, 0x7f800000, v77
	s_delay_alu instid0(VALU_DEP_1) | instskip(SKIP_1) | instid1(SALU_CYCLE_1)
	v_cmp_ne_u32_e32 vcc_lo, 0x7f800000, v81
                                        ; implicit-def: $vgpr81
	s_and_saveexec_b32 s3, vcc_lo
	s_xor_b32 s3, exec_lo, s3
; %bb.61:
	v_bfe_u32 v81, v77, 16, 1
	s_delay_alu instid0(VALU_DEP_1)
	v_add3_u32 v81, v77, v81, 0x7fff
                                        ; implicit-def: $vgpr77
; %bb.62:
	s_and_not1_saveexec_b32 s3, s3
; %bb.63:
	v_and_b32_e32 v81, 0xffff, v77
	v_or_b32_e32 v82, 0x10000, v77
	s_delay_alu instid0(VALU_DEP_2) | instskip(NEXT) | instid1(VALU_DEP_2)
	v_cmp_eq_u32_e32 vcc_lo, 0, v81
	v_cndmask_b32_e32 v81, v82, v77, vcc_lo
; %bb.64:
	s_or_b32 exec_lo, exec_lo, s3
	v_and_b32_e32 v77, 0x7f800000, v78
	s_delay_alu instid0(VALU_DEP_1) | instskip(SKIP_1) | instid1(SALU_CYCLE_1)
	v_cmp_ne_u32_e32 vcc_lo, 0x7f800000, v77
                                        ; implicit-def: $vgpr77
	s_and_saveexec_b32 s3, vcc_lo
	s_xor_b32 s3, exec_lo, s3
; %bb.65:
	v_bfe_u32 v77, v78, 16, 1
	s_delay_alu instid0(VALU_DEP_1)
	v_add3_u32 v77, v78, v77, 0x7fff
                                        ; implicit-def: $vgpr78
; %bb.66:
	s_and_not1_saveexec_b32 s3, s3
; %bb.67:
	v_and_b32_e32 v77, 0xffff, v78
	v_or_b32_e32 v82, 0x10000, v78
	s_delay_alu instid0(VALU_DEP_2) | instskip(NEXT) | instid1(VALU_DEP_2)
	v_cmp_eq_u32_e32 vcc_lo, 0, v77
	v_cndmask_b32_e32 v77, v82, v78, vcc_lo
; %bb.68:
	s_or_b32 exec_lo, exec_lo, s3
	v_and_b32_e32 v78, 0x7f800000, v70
	s_delay_alu instid0(VALU_DEP_1) | instskip(SKIP_1) | instid1(SALU_CYCLE_1)
	v_cmp_ne_u32_e32 vcc_lo, 0x7f800000, v78
                                        ; implicit-def: $vgpr78
	s_and_saveexec_b32 s3, vcc_lo
	s_xor_b32 s3, exec_lo, s3
; %bb.69:
	v_bfe_u32 v78, v70, 16, 1
	s_delay_alu instid0(VALU_DEP_1)
	v_add3_u32 v78, v70, v78, 0x7fff
                                        ; implicit-def: $vgpr70
; %bb.70:
	s_and_not1_saveexec_b32 s3, s3
; %bb.71:
	v_and_b32_e32 v78, 0xffff, v70
	v_or_b32_e32 v82, 0x10000, v70
	s_delay_alu instid0(VALU_DEP_2) | instskip(NEXT) | instid1(VALU_DEP_2)
	v_cmp_eq_u32_e32 vcc_lo, 0, v78
	v_cndmask_b32_e32 v78, v82, v70, vcc_lo
; %bb.72:
	s_or_b32 exec_lo, exec_lo, s3
	v_and_b32_e32 v70, 0x7f800000, v66
	s_delay_alu instid0(VALU_DEP_1) | instskip(SKIP_1) | instid1(SALU_CYCLE_1)
	v_cmp_ne_u32_e32 vcc_lo, 0x7f800000, v70
                                        ; implicit-def: $vgpr70
	s_and_saveexec_b32 s3, vcc_lo
	s_xor_b32 s3, exec_lo, s3
; %bb.73:
	v_bfe_u32 v70, v66, 16, 1
	s_delay_alu instid0(VALU_DEP_1)
	v_add3_u32 v70, v66, v70, 0x7fff
                                        ; implicit-def: $vgpr66
; %bb.74:
	s_and_not1_saveexec_b32 s3, s3
; %bb.75:
	v_and_b32_e32 v70, 0xffff, v66
	v_or_b32_e32 v82, 0x10000, v66
	s_delay_alu instid0(VALU_DEP_2) | instskip(NEXT) | instid1(VALU_DEP_2)
	v_cmp_eq_u32_e32 vcc_lo, 0, v70
	v_cndmask_b32_e32 v70, v82, v66, vcc_lo
; %bb.76:
	s_or_b32 exec_lo, exec_lo, s3
	s_delay_alu instid0(VALU_DEP_1)
	v_perm_b32 v86, v70, v78, 0x7060302
	v_perm_b32 v85, v77, v81, 0x7060302
	;; [unrolled: 1-line block ×4, first 2 shown]
	v_lshl_or_b32 v82, v65, 11, v80
	ds_store_b128 v76, v[83:86] offset:1024
	s_waitcnt lgkmcnt(0)
	s_barrier
	buffer_gl0_inv
	ds_load_b128 v[69:72], v82
	ds_load_b128 v[83:86], v82 offset:16
	s_waitcnt lgkmcnt(1)
	v_lshrrev_b32_e32 v65, 16, v69
	v_lshlrev_b32_e32 v78, 2, v75
	s_waitcnt lgkmcnt(0)
	v_lshrrev_b32_e32 v91, 16, v83
	v_lshrrev_b32_e32 v66, 16, v70
	;; [unrolled: 1-line block ×4, first 2 shown]
	v_cmp_eq_u32_e32 vcc_lo, 1, v78
	v_lshrrev_b32_e32 v98, 16, v85
	v_lshrrev_b32_e32 v96, 16, v72
	;; [unrolled: 1-line block ×3, first 2 shown]
	v_cndmask_b32_e32 v81, v69, v65, vcc_lo
	v_or_b32_e32 v79, 1, v78
	v_cmp_eq_u32_e64 s4, 2, v78
	v_cndmask_b32_e32 v87, v83, v91, vcc_lo
	v_cmp_eq_u32_e64 s7, 3, v78
	v_cmp_eq_u32_e64 s9, 4, v78
	;; [unrolled: 1-line block ×3, first 2 shown]
	v_cndmask_b32_e64 v81, v81, v70, s4
	v_cmp_eq_u32_e64 s6, 2, v79
	v_cndmask_b32_e64 v87, v87, v84, s4
	v_cmp_eq_u32_e64 s8, 3, v79
	v_cndmask_b32_e64 v88, v69, v65, s3
	v_cndmask_b32_e64 v81, v81, v66, s7
	v_or_b32_e32 v77, 2, v78
	v_cndmask_b32_e64 v87, v87, v97, s7
	v_cndmask_b32_e64 v89, v83, v91, s3
	v_cndmask_b32_e64 v88, v88, v70, s6
	v_cndmask_b32_e64 v81, v81, v71, s9
	v_cmp_eq_u32_e64 s10, 5, v78
	v_cndmask_b32_e64 v87, v87, v85, s9
	v_cmp_eq_u32_e64 s11, 4, v79
	v_cndmask_b32_e64 v88, v88, v66, s8
	;; [unrolled: 2-line block ×3, first 2 shown]
	v_cndmask_b32_e64 v81, v81, v95, s10
	v_cmp_eq_u32_e64 s12, 6, v78
	v_cndmask_b32_e64 v88, v88, v71, s11
	v_cndmask_b32_e64 v87, v87, v98, s10
	v_cmp_eq_u32_e64 s13, 5, v79
	v_cndmask_b32_e64 v90, v69, v65, s5
	v_cndmask_b32_e64 v89, v89, v97, s8
	;; [unrolled: 1-line block ×3, first 2 shown]
	v_cmp_eq_u32_e64 s15, 7, v78
	v_cndmask_b32_e64 v88, v88, v95, s13
	v_cndmask_b32_e64 v87, v87, v86, s12
	v_cmp_eq_u32_e64 s16, 6, v79
	v_cmp_eq_u32_e64 s17, 2, v77
	v_cndmask_b32_e64 v89, v89, v85, s11
	v_cndmask_b32_e64 v100, v81, v96, s15
	;; [unrolled: 1-line block ×6, first 2 shown]
	v_cmp_eq_u32_e64 s18, 7, v79
	v_cmp_eq_u32_e64 s19, 3, v77
	;; [unrolled: 1-line block ×4, first 2 shown]
	v_cndmask_b32_e64 v87, v87, v84, s17
	v_cndmask_b32_e64 v102, v88, v96, s18
	;; [unrolled: 1-line block ×4, first 2 shown]
	v_or_b32_e32 v81, 3, v78
	v_cndmask_b32_e64 v93, v87, v97, s19
	v_cmp_eq_u32_e64 s24, 6, v77
	v_cndmask_b32_e64 v103, v88, v86, s16
	v_cndmask_b32_e64 v92, v89, v71, s20
	v_cmp_eq_u32_e64 s21, 1, v81
	ds_load_b128 v[87:90], v82 offset:1024
	v_cmp_eq_u32_e64 s23, 2, v81
	v_cmp_eq_u32_e64 s25, 3, v81
	v_cndmask_b32_e64 v104, v92, v95, s22
	v_cndmask_b32_e64 v65, v69, v65, s21
	;; [unrolled: 1-line block ×4, first 2 shown]
	ds_load_b128 v[91:94], v82 offset:1040
	v_cmp_eq_u32_e64 s26, 4, v81
	v_cndmask_b32_e64 v65, v65, v70, s23
	v_cmp_eq_u32_e64 s28, 5, v81
	v_cndmask_b32_e64 v70, v83, v84, s23
	;; [unrolled: 2-line block ×3, first 2 shown]
	v_cndmask_b32_e64 v65, v65, v66, s25
	v_cndmask_b32_e64 v66, v104, v72, s24
	;; [unrolled: 1-line block ×3, first 2 shown]
	v_cmp_eq_u32_e64 s27, 7, v77
	v_cndmask_b32_e64 v69, v69, v86, s24
	v_cndmask_b32_e64 v65, v65, v71, s26
	s_waitcnt lgkmcnt(1)
	v_lshrrev_b32_e32 v84, 16, v87
	v_cndmask_b32_e64 v70, v70, v85, s26
	v_cndmask_b32_e64 v83, v103, v99, s18
	;; [unrolled: 1-line block ×4, first 2 shown]
	v_lshrrev_b32_e32 v95, 16, v88
	v_cndmask_b32_e64 v70, v70, v98, s28
	s_waitcnt lgkmcnt(0)
	v_lshrrev_b32_e32 v85, 16, v91
	v_cndmask_b32_e64 v97, v87, v84, s3
	v_cndmask_b32_e64 v65, v65, v72, s29
	;; [unrolled: 1-line block ×4, first 2 shown]
	v_cndmask_b32_e32 v71, v87, v84, vcc_lo
	v_cndmask_b32_e32 v98, v91, v85, vcc_lo
	v_cmp_eq_u32_e32 vcc_lo, 7, v81
	v_cndmask_b32_e64 v72, v97, v88, s6
	v_lshrrev_b32_e32 v97, 16, v92
	v_lshrrev_b32_e32 v103, 16, v90
	v_dual_cndmask_b32 v65, v65, v96 :: v_dual_cndmask_b32 v70, v70, v99
	v_cndmask_b32_e64 v71, v71, v88, s4
	v_cndmask_b32_e64 v86, v98, v92, s4
	v_cndmask_b32_e64 v72, v72, v95, s8
	v_lshrrev_b32_e32 v98, 16, v89
	v_lshrrev_b32_e32 v99, 16, v93
	v_cndmask_b32_e64 v71, v71, v95, s7
	v_cndmask_b32_e64 v86, v86, v97, s7
	;; [unrolled: 1-line block ×3, first 2 shown]
	v_perm_b32 v72, v70, v65, 0x5040100
	v_perm_b32 v70, v83, v102, 0x5040100
	v_cndmask_b32_e64 v71, v71, v89, s9
	v_cndmask_b32_e64 v86, v86, v93, s9
	;; [unrolled: 1-line block ×3, first 2 shown]
	v_lshrrev_b32_e32 v83, 16, v94
	s_delay_alu instid0(VALU_DEP_4) | instskip(NEXT) | instid1(VALU_DEP_4)
	v_cndmask_b32_e64 v71, v71, v98, s10
	v_cndmask_b32_e64 v86, v86, v99, s10
	s_delay_alu instid0(VALU_DEP_4) | instskip(NEXT) | instid1(VALU_DEP_3)
	v_cndmask_b32_e64 v65, v65, v90, s16
	v_cndmask_b32_e64 v96, v71, v90, s12
	v_perm_b32 v71, v69, v66, 0x5040100
	s_delay_alu instid0(VALU_DEP_4)
	v_cndmask_b32_e64 v69, v86, v94, s12
	v_cndmask_b32_e64 v86, v87, v84, s5
	;; [unrolled: 1-line block ×34, first 2 shown]
	v_cndmask_b32_e32 v84, v84, v103, vcc_lo
	v_cndmask_b32_e32 v86, v87, v83, vcc_lo
	v_cndmask_b32_e64 v87, v88, v83, s27
	v_cndmask_b32_e64 v88, v85, v83, s18
	v_cndmask_b32_e64 v83, v69, v83, s15
	v_perm_b32 v69, v101, v100, 0x5040100
	v_perm_b32 v86, v86, v84, 0x5040100
	;; [unrolled: 1-line block ×5, first 2 shown]
	s_lshl_b32 s8, s35, 2
	s_mov_b32 s3, exec_lo
	ds_store_b128 v76, v[69:72]
	ds_store_b128 v76, v[83:86] offset:1024
	v_cmpx_gt_u32_e32 4, v0
	s_cbranch_execz .LBB1793_78
; %bb.77:
	v_or_b32_e32 v65, s31, v0
	s_load_b128 s[4:7], s[0:1], 0x58
	s_delay_alu instid0(VALU_DEP_1) | instskip(NEXT) | instid1(VALU_DEP_1)
	v_mad_u64_u32 v[69:70], null, s8, s30, v[65:66]
	v_mad_u64_u32 v[65:66], null, v69, s34, s[14:15]
	s_delay_alu instid0(VALU_DEP_1) | instskip(NEXT) | instid1(VALU_DEP_1)
	v_ashrrev_i32_e32 v66, 31, v65
	v_lshlrev_b64 v[65:66], 2, v[65:66]
	s_waitcnt lgkmcnt(0)
	s_delay_alu instid0(VALU_DEP_1) | instskip(NEXT) | instid1(VALU_DEP_2)
	v_add_co_u32 v69, vcc_lo, s6, v65
	v_add_co_ci_u32_e32 v70, vcc_lo, s7, v66, vcc_lo
	v_add_co_u32 v65, vcc_lo, s4, v65
	v_add_co_ci_u32_e32 v66, vcc_lo, s5, v66, vcc_lo
	global_store_b32 v[69:70], v67, off
	global_store_b32 v[65:66], v68, off
.LBB1793_78:
	s_or_b32 exec_lo, exec_lo, s3
	s_waitcnt lgkmcnt(0)
	s_waitcnt_vscnt null, 0x0
	s_barrier
	buffer_gl0_inv
	ds_load_b128 v[83:86], v80
	ds_load_b128 v[87:90], v80 offset:16
	ds_load_b128 v[95:98], v80 offset:2064
	;; [unrolled: 1-line block ×3, first 2 shown]
	v_mov_b32_e32 v65, 0
	ds_load_b128 v[103:106], v80 offset:4112
	ds_load_b128 v[99:102], v80 offset:4096
	ds_load_b128 v[111:114], v80 offset:6160
	ds_load_b128 v[107:110], v80 offset:6144
	v_mov_b32_e32 v66, v65
	v_mov_b32_e32 v67, v65
	;; [unrolled: 1-line block ×7, first 2 shown]
	s_waitcnt lgkmcnt(6)
	s_delay_alu instid0(VALU_DEP_1)
	v_wmma_f32_16x16x16_bf16 v[65:72], v[57:64], v[83:90], v[65:72]
	ds_load_b128 v[61:64], v80 offset:8208
	ds_load_b128 v[57:60], v80 offset:8192
	s_waitcnt lgkmcnt(6)
	v_wmma_f32_16x16x16_bf16 v[65:72], v[41:48], v[91:98], v[65:72]
	ds_load_b128 v[45:48], v80 offset:10256
	ds_load_b128 v[41:44], v80 offset:10240
	s_waitcnt lgkmcnt(6)
	;; [unrolled: 4-line block ×4, first 2 shown]
	v_wmma_f32_16x16x16_bf16 v[65:72], v[1:8], v[57:64], v[65:72]
	s_waitcnt lgkmcnt(4)
	s_delay_alu instid0(VALU_DEP_1) | instskip(SKIP_1) | instid1(VALU_DEP_1)
	v_wmma_f32_16x16x16_bf16 v[65:72], v[9:16], v[41:48], v[65:72]
	s_waitcnt lgkmcnt(2)
	v_wmma_f32_16x16x16_bf16 v[65:72], v[17:24], v[33:40], v[65:72]
	s_waitcnt lgkmcnt(0)
	s_delay_alu instid0(VALU_DEP_1) | instskip(NEXT) | instid1(VALU_DEP_1)
	v_wmma_f32_16x16x16_bf16 v[65:72], v[49:56], v[25:32], v[65:72]
	v_and_b32_e32 v1, 0x7f800000, v65
	s_delay_alu instid0(VALU_DEP_1) | instskip(SKIP_1) | instid1(SALU_CYCLE_1)
	v_cmp_ne_u32_e32 vcc_lo, 0x7f800000, v1
                                        ; implicit-def: $vgpr1
	s_and_saveexec_b32 s3, vcc_lo
	s_xor_b32 s3, exec_lo, s3
; %bb.79:
	v_bfe_u32 v1, v65, 16, 1
	s_delay_alu instid0(VALU_DEP_1)
	v_add3_u32 v1, v65, v1, 0x7fff
; %bb.80:
	s_and_not1_saveexec_b32 s3, s3
; %bb.81:
	v_and_b32_e32 v1, 0xffff, v65
	v_or_b32_e32 v2, 0x10000, v65
	s_delay_alu instid0(VALU_DEP_2) | instskip(NEXT) | instid1(VALU_DEP_2)
	v_cmp_eq_u32_e32 vcc_lo, 0, v1
	v_cndmask_b32_e32 v1, v2, v65, vcc_lo
; %bb.82:
	s_or_b32 exec_lo, exec_lo, s3
	v_and_b32_e32 v2, 0x7f800000, v66
	s_delay_alu instid0(VALU_DEP_1) | instskip(SKIP_1) | instid1(SALU_CYCLE_1)
	v_cmp_ne_u32_e32 vcc_lo, 0x7f800000, v2
                                        ; implicit-def: $vgpr2
	s_and_saveexec_b32 s3, vcc_lo
	s_xor_b32 s3, exec_lo, s3
; %bb.83:
	v_bfe_u32 v2, v66, 16, 1
	s_delay_alu instid0(VALU_DEP_1)
	v_add3_u32 v2, v66, v2, 0x7fff
; %bb.84:
	s_and_not1_saveexec_b32 s3, s3
; %bb.85:
	v_and_b32_e32 v2, 0xffff, v66
	v_or_b32_e32 v3, 0x10000, v66
	s_delay_alu instid0(VALU_DEP_2) | instskip(NEXT) | instid1(VALU_DEP_2)
	v_cmp_eq_u32_e32 vcc_lo, 0, v2
	v_cndmask_b32_e32 v2, v3, v66, vcc_lo
; %bb.86:
	s_or_b32 exec_lo, exec_lo, s3
	v_and_b32_e32 v3, 0x7f800000, v67
	s_delay_alu instid0(VALU_DEP_1) | instskip(SKIP_1) | instid1(SALU_CYCLE_1)
	v_cmp_ne_u32_e32 vcc_lo, 0x7f800000, v3
                                        ; implicit-def: $vgpr3
	s_and_saveexec_b32 s3, vcc_lo
	s_xor_b32 s3, exec_lo, s3
; %bb.87:
	v_bfe_u32 v3, v67, 16, 1
	s_delay_alu instid0(VALU_DEP_1)
	v_add3_u32 v3, v67, v3, 0x7fff
; %bb.88:
	s_and_not1_saveexec_b32 s3, s3
; %bb.89:
	v_and_b32_e32 v3, 0xffff, v67
	v_or_b32_e32 v4, 0x10000, v67
	s_delay_alu instid0(VALU_DEP_2) | instskip(NEXT) | instid1(VALU_DEP_2)
	v_cmp_eq_u32_e32 vcc_lo, 0, v3
	v_cndmask_b32_e32 v3, v4, v67, vcc_lo
; %bb.90:
	s_or_b32 exec_lo, exec_lo, s3
	v_and_b32_e32 v4, 0x7f800000, v68
	s_delay_alu instid0(VALU_DEP_1) | instskip(SKIP_1) | instid1(SALU_CYCLE_1)
	v_cmp_ne_u32_e32 vcc_lo, 0x7f800000, v4
                                        ; implicit-def: $vgpr4
	s_and_saveexec_b32 s3, vcc_lo
	s_xor_b32 s3, exec_lo, s3
; %bb.91:
	v_bfe_u32 v4, v68, 16, 1
	s_delay_alu instid0(VALU_DEP_1)
	v_add3_u32 v4, v68, v4, 0x7fff
; %bb.92:
	s_and_not1_saveexec_b32 s3, s3
; %bb.93:
	v_and_b32_e32 v4, 0xffff, v68
	v_or_b32_e32 v5, 0x10000, v68
	s_delay_alu instid0(VALU_DEP_2) | instskip(NEXT) | instid1(VALU_DEP_2)
	v_cmp_eq_u32_e32 vcc_lo, 0, v4
	v_cndmask_b32_e32 v4, v5, v68, vcc_lo
; %bb.94:
	s_or_b32 exec_lo, exec_lo, s3
	v_and_b32_e32 v5, 0x7f800000, v69
	s_delay_alu instid0(VALU_DEP_1) | instskip(SKIP_1) | instid1(SALU_CYCLE_1)
	v_cmp_ne_u32_e32 vcc_lo, 0x7f800000, v5
                                        ; implicit-def: $vgpr5
	s_and_saveexec_b32 s3, vcc_lo
	s_xor_b32 s3, exec_lo, s3
; %bb.95:
	v_bfe_u32 v5, v69, 16, 1
	s_delay_alu instid0(VALU_DEP_1)
	v_add3_u32 v5, v69, v5, 0x7fff
; %bb.96:
	s_and_not1_saveexec_b32 s3, s3
; %bb.97:
	v_and_b32_e32 v5, 0xffff, v69
	v_or_b32_e32 v6, 0x10000, v69
	s_delay_alu instid0(VALU_DEP_2) | instskip(NEXT) | instid1(VALU_DEP_2)
	v_cmp_eq_u32_e32 vcc_lo, 0, v5
	v_cndmask_b32_e32 v5, v6, v69, vcc_lo
; %bb.98:
	s_or_b32 exec_lo, exec_lo, s3
	v_and_b32_e32 v6, 0x7f800000, v70
	s_delay_alu instid0(VALU_DEP_1) | instskip(SKIP_1) | instid1(SALU_CYCLE_1)
	v_cmp_ne_u32_e32 vcc_lo, 0x7f800000, v6
                                        ; implicit-def: $vgpr6
	s_and_saveexec_b32 s3, vcc_lo
	s_xor_b32 s3, exec_lo, s3
; %bb.99:
	v_bfe_u32 v6, v70, 16, 1
	s_delay_alu instid0(VALU_DEP_1)
	v_add3_u32 v6, v70, v6, 0x7fff
; %bb.100:
	s_and_not1_saveexec_b32 s3, s3
; %bb.101:
	v_and_b32_e32 v6, 0xffff, v70
	v_or_b32_e32 v7, 0x10000, v70
	s_delay_alu instid0(VALU_DEP_2) | instskip(NEXT) | instid1(VALU_DEP_2)
	v_cmp_eq_u32_e32 vcc_lo, 0, v6
	v_cndmask_b32_e32 v6, v7, v70, vcc_lo
; %bb.102:
	s_or_b32 exec_lo, exec_lo, s3
	v_and_b32_e32 v7, 0x7f800000, v71
	s_delay_alu instid0(VALU_DEP_1) | instskip(SKIP_1) | instid1(SALU_CYCLE_1)
	v_cmp_ne_u32_e32 vcc_lo, 0x7f800000, v7
                                        ; implicit-def: $vgpr7
	s_and_saveexec_b32 s3, vcc_lo
	s_xor_b32 s3, exec_lo, s3
; %bb.103:
	v_bfe_u32 v7, v71, 16, 1
	s_delay_alu instid0(VALU_DEP_1)
	v_add3_u32 v7, v71, v7, 0x7fff
; %bb.104:
	s_and_not1_saveexec_b32 s3, s3
; %bb.105:
	v_and_b32_e32 v7, 0xffff, v71
	v_or_b32_e32 v8, 0x10000, v71
	s_delay_alu instid0(VALU_DEP_2) | instskip(NEXT) | instid1(VALU_DEP_2)
	v_cmp_eq_u32_e32 vcc_lo, 0, v7
	v_cndmask_b32_e32 v7, v8, v71, vcc_lo
; %bb.106:
	s_or_b32 exec_lo, exec_lo, s3
	v_and_b32_e32 v8, 0x7f800000, v72
	s_delay_alu instid0(VALU_DEP_1) | instskip(SKIP_1) | instid1(SALU_CYCLE_1)
	v_cmp_ne_u32_e32 vcc_lo, 0x7f800000, v8
                                        ; implicit-def: $vgpr8
	s_and_saveexec_b32 s3, vcc_lo
	s_xor_b32 s3, exec_lo, s3
; %bb.107:
	v_bfe_u32 v8, v72, 16, 1
	s_delay_alu instid0(VALU_DEP_1)
	v_add3_u32 v8, v72, v8, 0x7fff
                                        ; implicit-def: $vgpr65_vgpr66_vgpr67_vgpr68_vgpr69_vgpr70_vgpr71_vgpr72
; %bb.108:
	s_and_not1_saveexec_b32 s3, s3
; %bb.109:
	v_and_b32_e32 v8, 0xffff, v72
	v_or_b32_e32 v9, 0x10000, v72
	s_delay_alu instid0(VALU_DEP_2) | instskip(NEXT) | instid1(VALU_DEP_2)
	v_cmp_eq_u32_e32 vcc_lo, 0, v8
	v_cndmask_b32_e32 v8, v9, v72, vcc_lo
; %bb.110:
	s_or_b32 exec_lo, exec_lo, s3
	s_delay_alu instid0(VALU_DEP_1)
	v_perm_b32 v7, v8, v7, 0x7060302
	v_perm_b32 v6, v6, v5, 0x7060302
	;; [unrolled: 1-line block ×4, first 2 shown]
	s_barrier
	buffer_gl0_inv
	v_cmp_eq_u32_e32 vcc_lo, 1, v78
	ds_store_b128 v76, v[4:7]
	s_waitcnt lgkmcnt(0)
	s_barrier
	buffer_gl0_inv
	ds_load_b128 v[1:4], v82
	ds_load_b128 v[5:8], v82 offset:16
	v_cmp_eq_u32_e64 s3, 1, v79
	v_cmp_eq_u32_e64 s4, 2, v78
	;; [unrolled: 1-line block ×5, first 2 shown]
	s_waitcnt lgkmcnt(1)
	v_lshrrev_b32_e32 v9, 16, v1
	s_waitcnt lgkmcnt(0)
	v_lshrrev_b32_e32 v13, 16, v5
	v_lshrrev_b32_e32 v10, 16, v2
	;; [unrolled: 1-line block ×4, first 2 shown]
	v_cndmask_b32_e64 v19, v1, v9, s3
	v_cndmask_b32_e32 v18, v5, v13, vcc_lo
	v_cndmask_b32_e64 v20, v5, v13, s3
	v_cndmask_b32_e32 v17, v1, v9, vcc_lo
	v_cmp_eq_u32_e32 vcc_lo, 2, v79
	v_lshrrev_b32_e32 v15, 16, v7
	v_cmp_eq_u32_e64 s3, 1, v77
	v_lshrrev_b32_e32 v12, 16, v4
	v_lshrrev_b32_e32 v16, 16, v8
	v_cndmask_b32_e32 v20, v20, v6, vcc_lo
	v_cndmask_b32_e64 v17, v17, v2, s4
	v_cndmask_b32_e32 v19, v19, v2, vcc_lo
	v_cndmask_b32_e64 v18, v18, v6, s4
	v_cmp_eq_u32_e32 vcc_lo, 4, v78
	v_cmp_eq_u32_e64 s4, 3, v79
	v_cndmask_b32_e64 v17, v17, v10, s5
	v_cndmask_b32_e64 v21, v1, v9, s3
	;; [unrolled: 1-line block ×5, first 2 shown]
	v_cndmask_b32_e32 v17, v17, v3, vcc_lo
	v_cndmask_b32_e64 v20, v20, v14, s4
	v_cndmask_b32_e32 v18, v18, v7, vcc_lo
	v_cmp_eq_u32_e32 vcc_lo, 4, v79
	v_cmp_eq_u32_e64 s4, 5, v79
	v_cmp_eq_u32_e64 s3, 2, v81
	v_cndmask_b32_e64 v21, v21, v2, s7
	v_cmp_eq_u32_e64 s5, 5, v78
	v_cndmask_b32_e32 v19, v19, v3, vcc_lo
	v_cndmask_b32_e32 v20, v20, v7, vcc_lo
	v_cmp_eq_u32_e32 vcc_lo, 6, v79
	s_delay_alu instid0(VALU_DEP_4) | instskip(NEXT) | instid1(VALU_DEP_4)
	v_cndmask_b32_e64 v17, v17, v11, s5
	v_cndmask_b32_e64 v19, v19, v11, s4
	s_delay_alu instid0(VALU_DEP_4) | instskip(SKIP_1) | instid1(VALU_DEP_3)
	v_cndmask_b32_e64 v20, v20, v15, s4
	v_cmp_eq_u32_e64 s4, 1, v81
	v_cndmask_b32_e32 v19, v19, v4, vcc_lo
	v_cndmask_b32_e64 v18, v18, v15, s5
	s_delay_alu instid0(VALU_DEP_3)
	v_cndmask_b32_e64 v1, v1, v9, s4
	v_cndmask_b32_e64 v5, v5, v13, s4
	v_cmp_eq_u32_e64 s4, 3, v77
	v_cndmask_b32_e64 v13, v22, v6, s7
	v_cmp_eq_u32_e64 s7, 3, v81
	v_cndmask_b32_e64 v1, v1, v2, s3
	v_cndmask_b32_e64 v2, v5, v6, s3
	;; [unrolled: 1-line block ×3, first 2 shown]
	v_cmp_eq_u32_e64 s3, 4, v77
	v_cndmask_b32_e64 v6, v13, v14, s4
	v_cndmask_b32_e64 v1, v1, v10, s7
	v_cmp_eq_u32_e64 s4, 4, v81
	v_cndmask_b32_e64 v2, v2, v14, s7
	v_cndmask_b32_e64 v5, v9, v3, s3
	;; [unrolled: 3-line block ×3, first 2 shown]
	v_cndmask_b32_e64 v2, v2, v7, s4
	v_cmp_eq_u32_e64 s3, 5, v81
	v_cmp_eq_u32_e64 s5, 6, v78
	v_cndmask_b32_e64 v5, v5, v11, s7
	v_cmp_eq_u32_e64 s4, 6, v77
	v_cndmask_b32_e64 v3, v6, v15, s7
	v_cndmask_b32_e64 v1, v1, v11, s3
	v_cmp_eq_u32_e64 s7, 6, v81
	v_cndmask_b32_e64 v2, v2, v15, s3
	v_cndmask_b32_e64 v17, v17, v4, s5
	v_cndmask_b32_e64 v18, v18, v8, s5
	v_cmp_eq_u32_e64 s5, 7, v78
	v_cndmask_b32_e64 v5, v5, v4, s4
	;; [unrolled: 4-line block ×3, first 2 shown]
	v_cmp_eq_u32_e64 s4, 7, v77
	v_cndmask_b32_e32 v4, v20, v8, vcc_lo
	v_cndmask_b32_e64 v17, v17, v12, s5
	v_cndmask_b32_e64 v19, v19, v12, s6
	;; [unrolled: 1-line block ×8, first 2 shown]
	v_cmp_gt_u32_e32 vcc_lo, 32, v0
	v_perm_b32 v4, v2, v1, 0x5040100
	v_perm_b32 v3, v3, v5, 0x5040100
	;; [unrolled: 1-line block ×4, first 2 shown]
	s_and_b32 s2, vcc_lo, s2
	ds_store_b128 v76, v[1:4]
	s_waitcnt lgkmcnt(0)
	s_barrier
	buffer_gl0_inv
	s_and_saveexec_b32 s3, s2
	s_cbranch_execz .LBB1793_2
; %bb.111:
	s_load_b64 s[0:1], s[0:1], 0x68
	v_lshlrev_b32_e32 v0, 10, v0
	v_or_b32_e32 v1, s31, v75
	s_lshl_b32 s4, s34, 6
	v_lshlrev_b32_e32 v2, 4, v74
	s_mul_i32 s2, s4, s30
	v_lshlrev_b32_e32 v3, 6, v75
	v_mul_lo_u32 v8, v1, s4
	v_and_b32_e32 v0, 0x3800, v0
	v_or_b32_e32 v1, 2, v1
	s_mul_i32 s2, s2, s8
	s_delay_alu instid0(SALU_CYCLE_1) | instskip(NEXT) | instid1(VALU_DEP_2)
	s_ashr_i32 s3, s2, 31
	v_or3_b32 v4, v0, v2, v3
	s_lshl_b64 s[2:3], s[2:3], 1
	v_mul_lo_u32 v10, v1, s4
	v_ashrrev_i32_e32 v9, 31, v8
	ds_load_b128 v[0:3], v4
	ds_load_b128 v[4:7], v4 offset:128
	s_waitcnt lgkmcnt(0)
	s_add_u32 s2, s0, s2
	s_addc_u32 s3, s1, s3
	s_lshl_b32 s0, s14, 6
	v_ashrrev_i32_e32 v11, 31, v10
	s_ashr_i32 s1, s0, 31
	v_lshlrev_b64 v[8:9], 1, v[8:9]
	s_lshl_b64 s[0:1], s[0:1], 1
	s_delay_alu instid0(SALU_CYCLE_1) | instskip(SKIP_2) | instid1(VALU_DEP_1)
	s_add_u32 s0, s2, s0
	s_addc_u32 s1, s3, s1
	v_add_co_u32 v12, s0, s0, v73
	v_add_co_ci_u32_e64 v13, null, s1, 0, s0
	v_lshlrev_b64 v[10:11], 1, v[10:11]
	s_delay_alu instid0(VALU_DEP_3) | instskip(NEXT) | instid1(VALU_DEP_3)
	v_add_co_u32 v8, vcc_lo, v12, v8
	v_add_co_ci_u32_e32 v9, vcc_lo, v13, v9, vcc_lo
	s_delay_alu instid0(VALU_DEP_3) | instskip(NEXT) | instid1(VALU_DEP_4)
	v_add_co_u32 v10, vcc_lo, v12, v10
	v_add_co_ci_u32_e32 v11, vcc_lo, v13, v11, vcc_lo
	s_clause 0x1
	global_store_b128 v[8:9], v[0:3], off
	global_store_b128 v[10:11], v[4:7], off
	s_nop 0
	s_sendmsg sendmsg(MSG_DEALLOC_VGPRS)
	s_endpgm
	.section	.rodata,"a",@progbits
	.p2align	6, 0x0
	.amdhsa_kernel _Z39paged_attention_ll4mi_QKV_mfma16_kernelI14__hip_bfloat16hLN4vllm18Fp8KVCacheDataTypeE1ES0_Li32ELi64ELi256ELb0ELi4EL8MFMAType0EEvPKT_PKT0_S9_ifPKiSB_SB_iPKfiiiPfSE_PS4_PT2_iSD_SD_
		.amdhsa_group_segment_fixed_size 17472
		.amdhsa_private_segment_fixed_size 0
		.amdhsa_kernarg_size 400
		.amdhsa_user_sgpr_count 13
		.amdhsa_user_sgpr_dispatch_ptr 0
		.amdhsa_user_sgpr_queue_ptr 0
		.amdhsa_user_sgpr_kernarg_segment_ptr 1
		.amdhsa_user_sgpr_dispatch_id 0
		.amdhsa_user_sgpr_private_segment_size 0
		.amdhsa_wavefront_size32 1
		.amdhsa_uses_dynamic_stack 0
		.amdhsa_enable_private_segment 0
		.amdhsa_system_sgpr_workgroup_id_x 1
		.amdhsa_system_sgpr_workgroup_id_y 1
		.amdhsa_system_sgpr_workgroup_id_z 1
		.amdhsa_system_sgpr_workgroup_info 0
		.amdhsa_system_vgpr_workitem_id 0
		.amdhsa_next_free_vgpr 124
		.amdhsa_next_free_sgpr 40
		.amdhsa_reserve_vcc 1
		.amdhsa_float_round_mode_32 0
		.amdhsa_float_round_mode_16_64 0
		.amdhsa_float_denorm_mode_32 3
		.amdhsa_float_denorm_mode_16_64 3
		.amdhsa_dx10_clamp 1
		.amdhsa_ieee_mode 1
		.amdhsa_fp16_overflow 0
		.amdhsa_workgroup_processor_mode 1
		.amdhsa_memory_ordered 1
		.amdhsa_forward_progress 0
		.amdhsa_shared_vgpr_count 0
		.amdhsa_exception_fp_ieee_invalid_op 0
		.amdhsa_exception_fp_denorm_src 0
		.amdhsa_exception_fp_ieee_div_zero 0
		.amdhsa_exception_fp_ieee_overflow 0
		.amdhsa_exception_fp_ieee_underflow 0
		.amdhsa_exception_fp_ieee_inexact 0
		.amdhsa_exception_int_div_zero 0
	.end_amdhsa_kernel
	.section	.text._Z39paged_attention_ll4mi_QKV_mfma16_kernelI14__hip_bfloat16hLN4vllm18Fp8KVCacheDataTypeE1ES0_Li32ELi64ELi256ELb0ELi4EL8MFMAType0EEvPKT_PKT0_S9_ifPKiSB_SB_iPKfiiiPfSE_PS4_PT2_iSD_SD_,"axG",@progbits,_Z39paged_attention_ll4mi_QKV_mfma16_kernelI14__hip_bfloat16hLN4vllm18Fp8KVCacheDataTypeE1ES0_Li32ELi64ELi256ELb0ELi4EL8MFMAType0EEvPKT_PKT0_S9_ifPKiSB_SB_iPKfiiiPfSE_PS4_PT2_iSD_SD_,comdat
.Lfunc_end1793:
	.size	_Z39paged_attention_ll4mi_QKV_mfma16_kernelI14__hip_bfloat16hLN4vllm18Fp8KVCacheDataTypeE1ES0_Li32ELi64ELi256ELb0ELi4EL8MFMAType0EEvPKT_PKT0_S9_ifPKiSB_SB_iPKfiiiPfSE_PS4_PT2_iSD_SD_, .Lfunc_end1793-_Z39paged_attention_ll4mi_QKV_mfma16_kernelI14__hip_bfloat16hLN4vllm18Fp8KVCacheDataTypeE1ES0_Li32ELi64ELi256ELb0ELi4EL8MFMAType0EEvPKT_PKT0_S9_ifPKiSB_SB_iPKfiiiPfSE_PS4_PT2_iSD_SD_
                                        ; -- End function
	.section	.AMDGPU.csdata,"",@progbits
; Kernel info:
; codeLenInByte = 8612
; NumSgprs: 42
; NumVgprs: 124
; ScratchSize: 0
; MemoryBound: 0
; FloatMode: 240
; IeeeMode: 1
; LDSByteSize: 17472 bytes/workgroup (compile time only)
; SGPRBlocks: 5
; VGPRBlocks: 15
; NumSGPRsForWavesPerEU: 42
; NumVGPRsForWavesPerEU: 124
; Occupancy: 10
; WaveLimiterHint : 1
; COMPUTE_PGM_RSRC2:SCRATCH_EN: 0
; COMPUTE_PGM_RSRC2:USER_SGPR: 13
; COMPUTE_PGM_RSRC2:TRAP_HANDLER: 0
; COMPUTE_PGM_RSRC2:TGID_X_EN: 1
; COMPUTE_PGM_RSRC2:TGID_Y_EN: 1
; COMPUTE_PGM_RSRC2:TGID_Z_EN: 1
; COMPUTE_PGM_RSRC2:TIDIG_COMP_CNT: 0
	.section	.text._Z39paged_attention_ll4mi_QKV_mfma16_kernelI14__hip_bfloat16hLN4vllm18Fp8KVCacheDataTypeE1EhLi16ELi128ELi256ELb1ELi5EL8MFMAType0EEvPKT_PKT0_S9_ifPKiSB_SB_iPKfiiiPfSE_PS4_PT2_iSD_SD_,"axG",@progbits,_Z39paged_attention_ll4mi_QKV_mfma16_kernelI14__hip_bfloat16hLN4vllm18Fp8KVCacheDataTypeE1EhLi16ELi128ELi256ELb1ELi5EL8MFMAType0EEvPKT_PKT0_S9_ifPKiSB_SB_iPKfiiiPfSE_PS4_PT2_iSD_SD_,comdat
	.protected	_Z39paged_attention_ll4mi_QKV_mfma16_kernelI14__hip_bfloat16hLN4vllm18Fp8KVCacheDataTypeE1EhLi16ELi128ELi256ELb1ELi5EL8MFMAType0EEvPKT_PKT0_S9_ifPKiSB_SB_iPKfiiiPfSE_PS4_PT2_iSD_SD_ ; -- Begin function _Z39paged_attention_ll4mi_QKV_mfma16_kernelI14__hip_bfloat16hLN4vllm18Fp8KVCacheDataTypeE1EhLi16ELi128ELi256ELb1ELi5EL8MFMAType0EEvPKT_PKT0_S9_ifPKiSB_SB_iPKfiiiPfSE_PS4_PT2_iSD_SD_
	.globl	_Z39paged_attention_ll4mi_QKV_mfma16_kernelI14__hip_bfloat16hLN4vllm18Fp8KVCacheDataTypeE1EhLi16ELi128ELi256ELb1ELi5EL8MFMAType0EEvPKT_PKT0_S9_ifPKiSB_SB_iPKfiiiPfSE_PS4_PT2_iSD_SD_
	.p2align	8
	.type	_Z39paged_attention_ll4mi_QKV_mfma16_kernelI14__hip_bfloat16hLN4vllm18Fp8KVCacheDataTypeE1EhLi16ELi128ELi256ELb1ELi5EL8MFMAType0EEvPKT_PKT0_S9_ifPKiSB_SB_iPKfiiiPfSE_PS4_PT2_iSD_SD_,@function
_Z39paged_attention_ll4mi_QKV_mfma16_kernelI14__hip_bfloat16hLN4vllm18Fp8KVCacheDataTypeE1EhLi16ELi128ELi256ELb1ELi5EL8MFMAType0EEvPKT_PKT0_S9_ifPKiSB_SB_iPKfiiiPfSE_PS4_PT2_iSD_SD_: ; @_Z39paged_attention_ll4mi_QKV_mfma16_kernelI14__hip_bfloat16hLN4vllm18Fp8KVCacheDataTypeE1EhLi16ELi128ELi256ELb1ELi5EL8MFMAType0EEvPKT_PKT0_S9_ifPKiSB_SB_iPKfiiiPfSE_PS4_PT2_iSD_SD_
; %bb.0:
	s_load_b64 s[4:5], s[0:1], 0x30
	s_mov_b32 s30, s13
	s_waitcnt lgkmcnt(0)
	s_cmp_lg_u64 s[4:5], 0
	s_cselect_b32 s13, -1, 0
	s_ashr_i32 s31, s30, 31
	s_cmp_eq_u64 s[4:5], 0
	s_cbranch_scc1 .LBB1794_3
; %bb.1:
	s_lshl_b64 s[2:3], s[30:31], 2
	s_delay_alu instid0(SALU_CYCLE_1) | instskip(SKIP_4) | instid1(SALU_CYCLE_1)
	s_add_u32 s2, s4, s2
	s_addc_u32 s3, s5, s3
	s_load_b64 s[2:3], s[2:3], 0x0
	s_waitcnt lgkmcnt(0)
	s_sub_i32 s2, s3, s2
	s_cmp_eq_u32 s2, 1
	s_cselect_b32 s2, -1, 0
	s_delay_alu instid0(SALU_CYCLE_1)
	s_and_not1_b32 vcc_lo, exec_lo, s2
	s_cbranch_vccz .LBB1794_4
.LBB1794_2:
	s_nop 0
	s_sendmsg sendmsg(MSG_DEALLOC_VGPRS)
	s_endpgm
.LBB1794_3:
.LBB1794_4:
	s_load_b64 s[2:3], s[0:1], 0x28
	s_lshl_b64 s[6:7], s[30:31], 2
	s_waitcnt lgkmcnt(0)
	s_add_u32 s2, s2, s6
	s_addc_u32 s3, s3, s7
	s_lshl_b32 s12, s14, 8
	s_load_b32 s17, s[2:3], 0x0
	s_waitcnt lgkmcnt(0)
	s_cmp_ge_i32 s12, s17
	s_cbranch_scc1 .LBB1794_2
; %bb.5:
	s_clause 0x1
	s_load_b128 s[8:11], s[0:1], 0x8
	s_load_b64 s[2:3], s[0:1], 0x20
	s_and_not1_b32 vcc_lo, exec_lo, s13
	s_cbranch_vccnz .LBB1794_7
; %bb.6:
	s_add_u32 s4, s4, s6
	s_addc_u32 s5, s5, s7
	s_load_b32 s13, s[4:5], 0x0
	s_branch .LBB1794_8
.LBB1794_7:
	s_mov_b32 s13, s30
.LBB1794_8:
	s_load_b128 s[4:7], s[0:1], 0x48
	v_and_b32_e32 v65, 15, v0
	v_lshrrev_b32_e32 v66, 5, v0
	v_bfe_u32 v74, v0, 4, 1
	v_and_b32_e32 v67, 31, v0
	v_and_b32_e32 v75, 1, v0
	v_lshlrev_b32_e32 v2, 3, v65
	s_mul_i32 s31, s15, 5
	v_lshl_or_b32 v1, v66, 1, v74
	s_waitcnt lgkmcnt(0)
	s_mov_b32 s7, exec_lo
	v_lshlrev_b32_e32 v73, 1, v2
	s_delay_alu instid0(VALU_DEP_2)
	v_cmpx_gt_u32_e32 5, v1
	s_cbranch_execz .LBB1794_10
; %bb.9:
	s_load_b64 s[18:19], s[0:1], 0x0
	v_add_lshl_u32 v2, v1, s31, 7
	s_mul_hi_i32 s21, s13, s4
	s_mul_i32 s20, s13, s4
	v_lshlrev_b32_e32 v6, 10, v65
	s_lshl_b64 s[20:21], s[20:21], 1
	v_ashrrev_i32_e32 v3, 31, v2
	v_lshlrev_b32_e32 v1, 6, v1
	v_lshlrev_b32_e32 v7, 10, v75
	v_and_b32_e32 v6, 0x3800, v6
	s_delay_alu instid0(VALU_DEP_4) | instskip(NEXT) | instid1(VALU_DEP_2)
	v_lshlrev_b64 v[2:3], 1, v[2:3]
	v_or3_b32 v1, v6, v7, v1
	s_waitcnt lgkmcnt(0)
	s_add_u32 s4, s18, s20
	s_addc_u32 s13, s19, s21
	s_delay_alu instid0(VALU_DEP_2) | instskip(SKIP_1) | instid1(VALU_DEP_2)
	v_add_co_u32 v2, vcc_lo, s4, v2
	v_add_co_ci_u32_e32 v3, vcc_lo, s13, v3, vcc_lo
	v_add_co_u32 v2, vcc_lo, v2, v73
	s_delay_alu instid0(VALU_DEP_2)
	v_add_co_ci_u32_e32 v3, vcc_lo, 0, v3, vcc_lo
	global_load_b128 v[2:5], v[2:3], off
	s_waitcnt vmcnt(0)
	ds_store_b128 v1, v[2:5]
.LBB1794_10:
	s_or_b32 exec_lo, exec_lo, s7
	v_and_b32_e32 v1, 0xef, v0
	s_add_i32 s4, s17, 15
	s_clause 0x1
	s_load_b32 s7, s[0:1], 0x38
	s_load_b32 s18, s[0:1], 0x1c
	s_ashr_i32 s13, s4, 31
	v_add_nc_u32_e32 v2, s12, v1
	s_lshr_b32 s13, s13, 28
	s_waitcnt lgkmcnt(0)
	s_add_i32 s4, s4, s13
	s_barrier
	v_ashrrev_i32_e32 v1, 31, v2
	s_ashr_i32 s4, s4, 4
	v_cmp_gt_i32_e32 vcc_lo, s17, v2
	s_add_i32 s4, s4, -1
	buffer_gl0_inv
	v_lshrrev_b32_e32 v3, 28, v1
	v_or_b32_e32 v1, 16, v2
	s_mul_i32 s15, s15, s6
	s_delay_alu instid0(VALU_DEP_2) | instskip(SKIP_1) | instid1(SALU_CYCLE_1)
	v_add_nc_u32_e32 v4, v2, v3
	s_mul_i32 s20, s30, s7
	s_ashr_i32 s21, s20, 31
	s_delay_alu instid0(VALU_DEP_1) | instskip(SKIP_2) | instid1(SALU_CYCLE_1)
	v_ashrrev_i32_e32 v4, 4, v4
	v_add_nc_u32_e32 v3, v1, v3
	s_lshl_b64 s[20:21], s[20:21], 2
	s_add_u32 s2, s2, s20
	s_delay_alu instid0(VALU_DEP_2) | instskip(NEXT) | instid1(VALU_DEP_2)
	v_cndmask_b32_e32 v2, s4, v4, vcc_lo
	v_ashrrev_i32_e32 v3, 4, v3
	v_cmp_gt_i32_e32 vcc_lo, s17, v1
	s_addc_u32 s3, s3, s21
	s_ashr_i32 s6, s15, 31
	s_add_u32 s7, s8, s15
	s_addc_u32 s13, s9, s6
	v_cndmask_b32_e32 v4, s4, v3, vcc_lo
	v_ashrrev_i32_e32 v3, 31, v2
	s_lshl_b32 s8, s14, 4
	s_delay_alu instid0(SALU_CYCLE_1) | instskip(NEXT) | instid1(VALU_DEP_2)
	s_ashr_i32 s9, s8, 31
	v_ashrrev_i32_e32 v5, 31, v4
	s_delay_alu instid0(VALU_DEP_2) | instskip(SKIP_1) | instid1(SALU_CYCLE_1)
	v_lshlrev_b64 v[1:2], 2, v[2:3]
	s_lshl_b64 s[8:9], s[8:9], 2
	s_add_u32 s8, s2, s8
	s_delay_alu instid0(VALU_DEP_2) | instskip(SKIP_1) | instid1(VALU_DEP_2)
	v_lshlrev_b64 v[3:4], 2, v[4:5]
	s_addc_u32 s9, s3, s9
	v_add_co_u32 v1, vcc_lo, s2, v1
	v_add_co_ci_u32_e32 v2, vcc_lo, s3, v2, vcc_lo
	s_delay_alu instid0(VALU_DEP_3) | instskip(NEXT) | instid1(VALU_DEP_4)
	v_add_co_u32 v3, vcc_lo, s2, v3
	v_add_co_ci_u32_e32 v4, vcc_lo, s3, v4, vcc_lo
	s_clause 0x1
	global_load_b32 v5, v[1:2], off
	global_load_b32 v3, v[3:4], off
	v_lshlrev_b32_e32 v1, 4, v0
	s_or_b32 s16, s12, 32
	s_delay_alu instid0(SALU_CYCLE_1) | instskip(SKIP_1) | instid1(VALU_DEP_1)
	s_ashr_i32 s19, s16, 4
	s_cmp_lt_i32 s16, s17
	v_and_b32_e32 v1, 0xf0, v1
	s_cselect_b32 s20, s19, s4
	s_delay_alu instid0(SALU_CYCLE_1) | instskip(NEXT) | instid1(SALU_CYCLE_1)
	s_ashr_i32 s21, s20, 31
	s_lshl_b64 s[20:21], s[20:21], 2
	s_delay_alu instid0(VALU_DEP_1)
	v_add_co_u32 v1, s7, s7, v1
	s_add_u32 s20, s2, s20
	s_addc_u32 s21, s3, s21
	s_or_b32 s16, s12, 64
	v_add_co_ci_u32_e64 v2, null, s13, 0, s7
	s_ashr_i32 s19, s16, 4
	s_cmp_lt_i32 s16, s17
	s_cselect_b32 s22, s19, s4
	s_delay_alu instid0(SALU_CYCLE_1) | instskip(NEXT) | instid1(SALU_CYCLE_1)
	s_ashr_i32 s23, s22, 31
	s_lshl_b64 s[22:23], s[22:23], 2
	s_delay_alu instid0(SALU_CYCLE_1) | instskip(SKIP_2) | instid1(SALU_CYCLE_1)
	s_add_u32 s22, s2, s22
	s_addc_u32 s23, s3, s23
	s_or_b32 s16, s12, 0x60
	s_ashr_i32 s19, s16, 4
	s_cmp_lt_i32 s16, s17
	s_cselect_b32 s24, s19, s4
	s_delay_alu instid0(SALU_CYCLE_1) | instskip(NEXT) | instid1(SALU_CYCLE_1)
	s_ashr_i32 s25, s24, 31
	s_lshl_b64 s[24:25], s[24:25], 2
	s_delay_alu instid0(SALU_CYCLE_1) | instskip(SKIP_2) | instid1(SALU_CYCLE_1)
	s_add_u32 s24, s2, s24
	s_addc_u32 s25, s3, s25
	s_or_b32 s16, s12, 0x80
	;; [unrolled: 10-line block ×3, first 2 shown]
	s_ashr_i32 s19, s16, 4
	s_cmp_lt_i32 s16, s17
	s_cselect_b32 s28, s19, s4
	s_delay_alu instid0(SALU_CYCLE_1) | instskip(NEXT) | instid1(SALU_CYCLE_1)
	s_ashr_i32 s29, s28, 31
	s_lshl_b64 s[28:29], s[28:29], 2
	s_delay_alu instid0(SALU_CYCLE_1)
	s_add_u32 s28, s2, s28
	s_addc_u32 s29, s3, s29
	s_clause 0x5
	s_load_b32 s7, s[8:9], 0x0
	s_load_b32 s13, s[20:21], 0x0
	s_load_b32 s16, s[22:23], 0x0
	s_load_b32 s19, s[24:25], 0x0
	s_load_b32 s33, s[26:27], 0x0
	s_load_b32 s28, s[28:29], 0x0
	s_or_b32 s8, s12, 0xc0
	s_mov_b32 s20, 0
	s_ashr_i32 s9, s8, 4
	s_cmp_lt_i32 s8, s17
	s_mov_b32 s27, s20
	s_cselect_b32 s8, s9, s4
	s_mov_b32 s21, s20
	s_ashr_i32 s9, s8, 31
	s_mov_b32 s22, s20
	s_lshl_b64 s[8:9], s[8:9], 2
	s_mov_b32 s23, s20
	s_mov_b32 s24, s20
	;; [unrolled: 1-line block ×4, first 2 shown]
	v_dual_mov_b32 v107, s27 :: v_dual_mov_b32 v104, s24
	s_add_u32 s8, s2, s8
	v_dual_mov_b32 v106, s26 :: v_dual_mov_b32 v105, s25
	v_dual_mov_b32 v101, s21 :: v_dual_mov_b32 v100, s20
	s_addc_u32 s9, s3, s9
	v_dual_mov_b32 v103, s23 :: v_dual_mov_b32 v102, s22
	s_or_b32 s20, s12, 0xe0
	s_delay_alu instid0(SALU_CYCLE_1) | instskip(SKIP_2) | instid1(SALU_CYCLE_1)
	s_ashr_i32 s21, s20, 4
	s_cmp_lt_i32 s20, s17
	s_cselect_b32 s20, s21, s4
	s_ashr_i32 s21, s20, 31
	s_delay_alu instid0(SALU_CYCLE_1) | instskip(NEXT) | instid1(SALU_CYCLE_1)
	s_lshl_b64 s[20:21], s[20:21], 2
	s_add_u32 s2, s2, s20
	s_addc_u32 s3, s3, s21
	s_waitcnt vmcnt(1)
	v_mad_i64_i32 v[25:26], null, v5, s5, v[1:2]
	s_waitcnt vmcnt(0)
	v_mad_i64_i32 v[27:28], null, v3, s5, v[1:2]
	s_clause 0xf
	global_load_b128 v[1:4], v[25:26], off
	global_load_b128 v[5:8], v[25:26], off offset:256
	global_load_b128 v[9:12], v[27:28], off
	global_load_b128 v[13:16], v[27:28], off offset:256
	global_load_b128 v[17:20], v[25:26], off offset:512
	;; [unrolled: 1-line block ×13, first 2 shown]
	v_mul_lo_u16 v25, v65, 52
	v_lshlrev_b32_e32 v26, 4, v65
	s_delay_alu instid0(VALU_DEP_2) | instskip(NEXT) | instid1(VALU_DEP_2)
	v_lshrrev_b16 v25, 8, v25
	v_lshl_or_b32 v33, v66, 8, v26
	s_delay_alu instid0(VALU_DEP_2) | instskip(NEXT) | instid1(VALU_DEP_1)
	v_mul_lo_u16 v25, v25, 5
	v_sub_nc_u16 v25, v65, v25
	s_delay_alu instid0(VALU_DEP_1) | instskip(NEXT) | instid1(VALU_DEP_1)
	v_and_b32_e32 v25, 0xff, v25
	v_lshlrev_b32_e32 v72, 6, v25
	ds_load_b128 v[25:28], v72
	ds_load_b128 v[29:32], v72 offset:1024
	ds_load_b128 v[108:111], v72 offset:2048
	;; [unrolled: 1-line block ×3, first 2 shown]
	s_load_b32 s4, s[8:9], 0x0
	ds_load_b128 v[116:119], v72 offset:4096
	ds_load_b128 v[120:123], v72 offset:5120
	s_load_b32 s2, s[2:3], 0x0
	s_add_u32 s8, s10, s15
	s_addc_u32 s6, s11, s6
	v_add_co_u32 v68, s8, s8, v33
	s_delay_alu instid0(VALU_DEP_1) | instskip(SKIP_1) | instid1(VALU_DEP_1)
	v_add_co_ci_u32_e64 v69, null, s6, 0, s8
	s_waitcnt lgkmcnt(0)
	v_mad_i64_i32 v[33:34], null, s7, s5, v[68:69]
	v_mad_i64_i32 v[70:71], null, s16, s5, v[68:69]
	;; [unrolled: 1-line block ×7, first 2 shown]
	s_clause 0x3
	global_load_b128 v[41:44], v[33:34], off
	global_load_b128 v[45:48], v[33:34], off offset:16
	global_load_b128 v[33:36], v[37:38], off
	global_load_b128 v[37:40], v[37:38], off offset:16
	s_waitcnt vmcnt(18)
	v_wmma_f32_16x16x16_bf16 v[124:131], v[1:8], v[25:32], v[100:107]
	s_waitcnt vmcnt(16)
	v_wmma_f32_16x16x16_bf16 v[100:107], v[9:16], v[25:32], v[100:107]
	s_clause 0x1
	global_load_b128 v[25:28], v[70:71], off
	global_load_b128 v[29:32], v[70:71], off offset:16
	s_waitcnt vmcnt(16)
	v_wmma_f32_16x16x16_bf16 v[124:131], v[17:24], v[108:115], v[124:131]
	s_clause 0x1
	global_load_b128 v[17:20], v[132:133], off
	global_load_b128 v[21:24], v[132:133], off offset:16
	s_waitcnt vmcnt(16)
	v_wmma_f32_16x16x16_bf16 v[100:107], v[49:56], v[108:115], v[100:107]
	v_mad_i64_i32 v[53:54], null, s2, s5, v[68:69]
	s_clause 0x3
	global_load_b128 v[1:4], v[134:135], off
	global_load_b128 v[5:8], v[134:135], off offset:16
	global_load_b128 v[9:12], v[136:137], off
	global_load_b128 v[13:16], v[136:137], off offset:16
	s_waitcnt vmcnt(18)
	v_wmma_f32_16x16x16_bf16 v[124:131], v[57:64], v[116:123], v[124:131]
	s_clause 0x3
	global_load_b128 v[57:60], v[138:139], off
	global_load_b128 v[61:64], v[138:139], off offset:16
	global_load_b128 v[49:52], v[53:54], off
	global_load_b128 v[53:56], v[53:54], off offset:16
	v_mbcnt_lo_u32_b32 v69, -1, 0
	s_waitcnt vmcnt(20)
	v_wmma_f32_16x16x16_bf16 v[100:107], v[76:83], v[116:123], v[100:107]
	s_delay_alu instid0(VALU_DEP_2) | instskip(NEXT) | instid1(VALU_DEP_1)
	v_xor_b32_e32 v70, 16, v69
	v_cmp_gt_i32_e32 vcc_lo, 32, v70
	v_cndmask_b32_e32 v69, v69, v70, vcc_lo
	ds_load_b128 v[76:79], v72 offset:6144
	ds_load_b128 v[80:83], v72 offset:7168
	s_waitcnt vmcnt(0) lgkmcnt(0)
	s_barrier
	buffer_gl0_inv
	v_wmma_f32_16x16x16_bf16 v[124:131], v[84:91], v[76:83], v[124:131]
	v_and_b32_e32 v68, 0xe0, v0
	v_wmma_f32_16x16x16_bf16 v[100:107], v[92:99], v[76:83], v[100:107]
	s_delay_alu instid0(VALU_DEP_2) | instskip(NEXT) | instid1(VALU_DEP_4)
	v_dual_mul_f32 v79, s18, v127 :: v_dual_add_nc_u32 v68, s12, v68
	v_mul_f32_e32 v81, s18, v129
	v_dual_mul_f32 v78, s18, v125 :: v_dual_mul_f32 v83, s18, v131
	s_delay_alu instid0(VALU_DEP_4) | instskip(NEXT) | instid1(VALU_DEP_4)
	v_dual_mul_f32 v80, s18, v126 :: v_dual_mul_f32 v95, s18, v103
	v_or_b32_e32 v68, v68, v74
	v_dual_mul_f32 v93, s18, v101 :: v_dual_mul_f32 v82, s18, v128
	v_dual_mul_f32 v97, s18, v105 :: v_dual_mul_f32 v92, s18, v130
	v_mul_f32_e32 v99, s18, v107
	s_delay_alu instid0(VALU_DEP_4)
	v_or_b32_e32 v70, 2, v68
	v_or_b32_e32 v71, 4, v68
	;; [unrolled: 1-line block ×3, first 2 shown]
	v_cmp_gt_i32_e64 s2, s17, v68
	v_or_b32_e32 v108, 8, v68
	v_cmp_gt_i32_e32 vcc_lo, s17, v70
	v_mul_f32_e32 v70, s18, v124
	v_or_b32_e32 v109, 10, v68
	v_cmp_gt_i32_e64 s3, s17, v71
	v_cmp_gt_i32_e64 s4, s17, v72
	v_cndmask_b32_e32 v78, 0xff7fffff, v78, vcc_lo
	v_cndmask_b32_e64 v70, 0xff7fffff, v70, s2
	v_or_b32_e32 v84, 12, v68
	v_or_b32_e32 v85, 14, v68
	v_cndmask_b32_e64 v71, 0xff7fffff, v80, s3
	v_cndmask_b32_e64 v72, 0xff7fffff, v79, s4
	v_max3_f32 v70, v70, 0xff7fffff, v78
	v_cmp_gt_i32_e64 s5, s17, v108
	v_cmp_gt_i32_e64 s6, s17, v109
	v_or_b32_e32 v86, 16, v68
	v_or_b32_e32 v87, 18, v68
	v_max3_f32 v70, v70, v71, v72
	v_cndmask_b32_e64 v78, 0xff7fffff, v82, s5
	v_cndmask_b32_e64 v79, 0xff7fffff, v81, s6
	v_cmp_gt_i32_e64 s7, s17, v84
	v_cmp_gt_i32_e64 s8, s17, v85
	v_or_b32_e32 v88, 20, v68
	v_or_b32_e32 v89, 22, v68
	v_mul_f32_e32 v94, s18, v100
	v_cndmask_b32_e64 v71, 0xff7fffff, v92, s7
	v_cndmask_b32_e64 v72, 0xff7fffff, v83, s8
	v_max3_f32 v70, v70, v78, v79
	v_cmp_gt_i32_e64 s9, s17, v86
	v_cmp_gt_i32_e64 s10, s17, v87
	v_or_b32_e32 v90, 24, v68
	v_or_b32_e32 v91, 26, v68
	v_mul_f32_e32 v96, s18, v102
	v_max3_f32 v70, v70, v71, v72
	v_cndmask_b32_e64 v79, 0xff7fffff, v93, s10
	v_cmp_gt_i32_e64 s11, s17, v88
	v_cmp_gt_i32_e64 s12, s17, v89
	v_lshlrev_b32_e32 v89, 2, v69
	v_cndmask_b32_e64 v78, 0xff7fffff, v94, s9
	v_or_b32_e32 v76, 28, v68
	v_or_b32_e32 v77, 30, v68
	v_mul_f32_e32 v98, s18, v104
	v_cndmask_b32_e64 v71, 0xff7fffff, v96, s11
	v_cndmask_b32_e64 v72, 0xff7fffff, v95, s12
	v_max3_f32 v70, v70, v78, v79
	v_cmp_gt_i32_e64 s13, s17, v90
	v_cmp_gt_i32_e64 s15, s17, v91
	v_mul_f32_e32 v68, s18, v106
	v_cmp_gt_i32_e64 s16, s17, v76
	v_max3_f32 v70, v70, v71, v72
	v_cndmask_b32_e64 v78, 0xff7fffff, v98, s13
	v_cndmask_b32_e64 v79, 0xff7fffff, v97, s15
	v_cmp_gt_i32_e64 s17, s17, v77
	v_cndmask_b32_e64 v68, 0xff7fffff, v68, s16
	s_delay_alu instid0(VALU_DEP_3) | instskip(NEXT) | instid1(VALU_DEP_3)
	v_max3_f32 v70, v70, v78, v79
	v_cndmask_b32_e64 v71, 0xff7fffff, v99, s17
	s_delay_alu instid0(VALU_DEP_1) | instskip(SKIP_3) | instid1(VALU_DEP_1)
	v_max3_f32 v68, v70, v68, v71
	ds_bpermute_b32 v69, v89, v68
	s_waitcnt lgkmcnt(0)
	v_max_f32_e32 v69, v69, v69
	v_max_f32_e32 v68, v68, v69
	s_delay_alu instid0(VALU_DEP_1) | instskip(NEXT) | instid1(VALU_DEP_1)
	v_fma_f32 v76, s18, v128, -v68
	v_mul_f32_e32 v77, 0x3fb8aa3b, v76
	v_fma_f32 v71, s18, v126, -v68
	v_fma_f32 v69, s18, v124, -v68
	;; [unrolled: 1-line block ×4, first 2 shown]
	v_exp_f32_e32 v77, v77
	v_mul_f32_e32 v71, 0x3fb8aa3b, v71
	v_mul_f32_e32 v69, 0x3fb8aa3b, v69
	v_fma_f32 v81, s18, v105, -v68
	v_fma_f32 v78, s18, v130, -v68
	s_delay_alu instid0(VALU_DEP_4) | instskip(NEXT) | instid1(VALU_DEP_3)
	v_exp_f32_e32 v71, v71
	v_exp_f32_e32 v69, v69
	s_delay_alu instid0(VALU_DEP_2) | instskip(NEXT) | instid1(TRANS32_DEP_3)
	v_mul_f32_e32 v81, 0x3fb8aa3b, v81
	v_cndmask_b32_e64 v86, 0, v77, s5
	v_fma_f32 v77, s18, v101, -v68
	s_delay_alu instid0(VALU_DEP_3) | instskip(NEXT) | instid1(TRANS32_DEP_3)
	v_exp_f32_e32 v81, v81
	v_cndmask_b32_e64 v83, 0, v71, s3
	v_fma_f32 v71, s18, v131, -v68
	v_mul_f32_e32 v72, 0x3fb8aa3b, v72
	s_delay_alu instid0(TRANS32_DEP_2) | instskip(SKIP_1) | instid1(VALU_DEP_4)
	v_cndmask_b32_e64 v80, 0, v69, s2
	v_fma_f32 v69, s18, v129, -v68
	v_dual_mul_f32 v70, 0x3fb8aa3b, v70 :: v_dual_mul_f32 v71, 0x3fb8aa3b, v71
	s_delay_alu instid0(VALU_DEP_4) | instskip(SKIP_1) | instid1(VALU_DEP_3)
	v_exp_f32_e32 v72, v72
	v_mul_f32_e32 v77, 0x3fb8aa3b, v77
	v_mul_f32_e32 v69, 0x3fb8aa3b, v69
	s_delay_alu instid0(VALU_DEP_3)
	v_exp_f32_e32 v70, v70
	v_exp_f32_e32 v71, v71
	v_cmp_gt_u32_e64 s2, 16, v67
	v_exp_f32_e32 v77, v77
	v_exp_f32_e32 v69, v69
	v_cndmask_b32_e64 v85, 0, v72, s4
	v_fma_f32 v72, s18, v100, -v68
	v_cndmask_b32_e32 v76, 0, v70, vcc_lo
	s_delay_alu instid0(TRANS32_DEP_3) | instskip(SKIP_2) | instid1(TRANS32_DEP_1)
	v_cndmask_b32_e64 v88, 0, v71, s8
	v_fma_f32 v71, s18, v104, -v68
	v_add_f32_e32 v70, 0, v80
	v_cndmask_b32_e64 v87, 0, v69, s6
	s_delay_alu instid0(VALU_DEP_2) | instskip(NEXT) | instid1(VALU_DEP_1)
	v_dual_mul_f32 v71, 0x3fb8aa3b, v71 :: v_dual_add_f32 v70, v70, v76
	v_exp_f32_e32 v82, v71
	s_delay_alu instid0(VALU_DEP_1) | instskip(NEXT) | instid1(VALU_DEP_1)
	v_add_f32_e32 v70, v70, v83
	v_add_f32_e32 v70, v70, v85
	s_delay_alu instid0(VALU_DEP_1) | instskip(SKIP_1) | instid1(VALU_DEP_2)
	v_dual_mul_f32 v72, 0x3fb8aa3b, v72 :: v_dual_add_f32 v69, v70, v86
	v_fma_f32 v70, s18, v102, -v68
	v_exp_f32_e32 v72, v72
	s_delay_alu instid0(VALU_DEP_2) | instskip(NEXT) | instid1(VALU_DEP_2)
	v_dual_add_f32 v69, v69, v87 :: v_dual_mul_f32 v78, 0x3fb8aa3b, v78
	v_mul_f32_e32 v70, 0x3fb8aa3b, v70
	s_delay_alu instid0(VALU_DEP_2) | instskip(NEXT) | instid1(VALU_DEP_1)
	v_exp_f32_e32 v78, v78
	v_exp_f32_e32 v79, v70
	s_delay_alu instid0(TRANS32_DEP_3) | instskip(SKIP_4) | instid1(VALU_DEP_3)
	v_cndmask_b32_e64 v70, 0, v72, s9
	s_waitcnt_depctr 0xfff
	v_cndmask_b32_e64 v84, 0, v78, s7
	v_fma_f32 v78, s18, v103, -v68
	v_cndmask_b32_e64 v71, 0, v79, s11
	v_add_f32_e32 v69, v69, v84
	s_delay_alu instid0(VALU_DEP_1) | instskip(SKIP_2) | instid1(VALU_DEP_1)
	v_add_f32_e32 v72, v69, v88
	v_cndmask_b32_e64 v69, 0, v77, s10
	v_fma_f32 v77, s18, v106, -v68
	v_dual_add_f32 v72, v72, v70 :: v_dual_mul_f32 v77, 0x3fb8aa3b, v77
	s_delay_alu instid0(VALU_DEP_1) | instskip(NEXT) | instid1(VALU_DEP_2)
	v_add_f32_e32 v79, v72, v69
	v_exp_f32_e32 v90, v77
	v_cndmask_b32_e64 v77, 0, v82, s13
	v_mul_f32_e32 v78, 0x3fb8aa3b, v78
	s_delay_alu instid0(VALU_DEP_1) | instskip(SKIP_4) | instid1(VALU_DEP_1)
	v_exp_f32_e32 v78, v78
	s_waitcnt_depctr 0xfff
	v_cndmask_b32_e64 v72, 0, v78, s12
	v_add_f32_e32 v78, v79, v71
	v_fma_f32 v79, s18, v107, -v68
	v_dual_add_f32 v82, v78, v72 :: v_dual_mul_f32 v79, 0x3fb8aa3b, v79
	v_cndmask_b32_e64 v78, 0, v81, s15
	s_delay_alu instid0(VALU_DEP_2) | instskip(NEXT) | instid1(VALU_DEP_3)
	v_add_f32_e32 v81, v82, v77
	v_exp_f32_e32 v82, v79
	v_cndmask_b32_e64 v79, 0, v90, s16
	s_delay_alu instid0(VALU_DEP_2) | instskip(NEXT) | instid1(VALU_DEP_1)
	v_add_f32_e32 v81, v81, v78
	v_add_f32_e32 v90, v81, v79
	s_waitcnt_depctr 0xfff
	v_cndmask_b32_e64 v81, 0, v82, s17
	s_delay_alu instid0(VALU_DEP_1)
	v_add_f32_e32 v82, v90, v81
	ds_bpermute_b32 v89, v89, v82
	s_and_saveexec_b32 s3, s2
	s_cbranch_execz .LBB1794_12
; %bb.11:
	v_mul_u32_u24_e32 v67, 0x44, v66
	s_delay_alu instid0(VALU_DEP_1) | instskip(SKIP_1) | instid1(VALU_DEP_1)
	v_lshl_add_u32 v67, v65, 2, v67
	s_waitcnt lgkmcnt(0)
	v_dual_add_f32 v82, v82, v89 :: v_dual_add_nc_u32 v67, 0x4000, v67
	ds_store_2addr_b32 v67, v68, v82 offset1:136
.LBB1794_12:
	s_or_b32 exec_lo, exec_lo, s3
	v_lshlrev_b32_e32 v67, 2, v65
	s_waitcnt lgkmcnt(0)
	s_barrier
	buffer_gl0_inv
	v_cmp_eq_u32_e32 vcc_lo, 1, v66
	v_add_nc_u32_e32 v82, 0x4000, v67
	v_cmp_eq_u32_e64 s3, 2, v66
	v_cmp_eq_u32_e64 s5, 7, v66
	ds_load_2addr_b32 v[89:90], v82 offset1:17
	ds_load_2addr_b32 v[91:92], v82 offset0:34 offset1:51
	ds_load_2addr_b32 v[93:94], v82 offset0:68 offset1:85
	;; [unrolled: 1-line block ×4, first 2 shown]
	s_waitcnt lgkmcnt(4)
	v_max3_f32 v67, v89, 0xff7fffff, v90
	s_waitcnt lgkmcnt(3)
	s_delay_alu instid0(VALU_DEP_1) | instskip(SKIP_1) | instid1(VALU_DEP_1)
	v_max3_f32 v67, v67, v91, v92
	s_waitcnt lgkmcnt(2)
	v_max3_f32 v67, v67, v93, v94
	s_waitcnt lgkmcnt(1)
	s_delay_alu instid0(VALU_DEP_1) | instskip(NEXT) | instid1(VALU_DEP_1)
	v_max3_f32 v67, v67, v95, v96
	v_sub_f32_e32 v93, v93, v67
	s_delay_alu instid0(VALU_DEP_1) | instskip(NEXT) | instid1(VALU_DEP_1)
	v_dual_sub_f32 v68, v89, v67 :: v_dual_mul_f32 v103, 0x3fb8aa3b, v93
	v_mul_f32_e32 v68, 0x3fb8aa3b, v68
	s_delay_alu instid0(VALU_DEP_1)
	v_exp_f32_e32 v100, v68
	v_sub_f32_e32 v68, v92, v67
	v_sub_f32_e32 v99, v90, v67
	ds_load_2addr_b32 v[89:90], v82 offset0:170 offset1:187
	v_dual_mul_f32 v102, 0x3fb8aa3b, v68 :: v_dual_mul_f32 v99, 0x3fb8aa3b, v99
	s_waitcnt lgkmcnt(1)
	v_fma_f32 v68, v100, v97, 0
	s_delay_alu instid0(VALU_DEP_2) | instskip(NEXT) | instid1(VALU_DEP_2)
	v_exp_f32_e32 v102, v102
	v_exp_f32_e32 v99, v99
	s_waitcnt_depctr 0xfff
	v_fmac_f32_e32 v68, v99, v98
	v_sub_f32_e32 v91, v91, v67
	s_delay_alu instid0(VALU_DEP_1)
	v_mul_f32_e32 v101, 0x3fb8aa3b, v91
	ds_load_2addr_b32 v[91:92], v82 offset0:204 offset1:221
	v_sub_f32_e32 v97, v94, v67
	ds_load_2addr_b32 v[93:94], v82 offset0:238 offset1:255
	s_waitcnt lgkmcnt(0)
	v_exp_f32_e32 v101, v101
	s_barrier
	buffer_gl0_inv
	v_dual_fmac_f32 v68, v101, v89 :: v_dual_sub_f32 v89, v96, v67
	v_dual_sub_f32 v82, v95, v67 :: v_dual_mul_f32 v95, 0x3fb8aa3b, v97
	v_exp_f32_e32 v97, v103
	s_delay_alu instid0(VALU_DEP_2) | instskip(NEXT) | instid1(VALU_DEP_2)
	v_dual_fmac_f32 v68, v102, v90 :: v_dual_mul_f32 v89, 0x3fb8aa3b, v89
	v_mul_f32_e32 v82, 0x3fb8aa3b, v82
	s_delay_alu instid0(VALU_DEP_3) | instskip(NEXT) | instid1(VALU_DEP_2)
	v_exp_f32_e32 v95, v95
	v_exp_f32_e32 v89, v89
	s_delay_alu instid0(VALU_DEP_1)
	v_exp_f32_e32 v82, v82
	v_fmac_f32_e32 v68, v97, v91
	s_delay_alu instid0(TRANS32_DEP_3) | instid1(VALU_DEP_1)
	v_fmac_f32_e32 v68, v95, v92
	s_waitcnt_depctr 0xfff
	v_fmac_f32_e32 v68, v82, v93
	s_delay_alu instid0(VALU_DEP_1) | instskip(NEXT) | instid1(VALU_DEP_1)
	v_fmac_f32_e32 v68, v89, v94
	v_add_f32_e32 v90, 0x358637bd, v68
	s_delay_alu instid0(VALU_DEP_1) | instskip(NEXT) | instid1(VALU_DEP_1)
	v_div_scale_f32 v91, null, v90, v90, 1.0
	v_rcp_f32_e32 v92, v91
	s_waitcnt_depctr 0xfff
	v_fma_f32 v93, -v91, v92, 1.0
	s_delay_alu instid0(VALU_DEP_1) | instskip(SKIP_1) | instid1(VALU_DEP_2)
	v_dual_fmac_f32 v92, v93, v92 :: v_dual_cndmask_b32 v93, v100, v99
	v_cmp_eq_u32_e32 vcc_lo, 3, v66
	v_cndmask_b32_e64 v93, v93, v101, s3
	v_cmp_eq_u32_e64 s3, 4, v66
	s_delay_alu instid0(VALU_DEP_2) | instskip(SKIP_1) | instid1(VALU_DEP_2)
	v_cndmask_b32_e32 v93, v93, v102, vcc_lo
	v_cmp_eq_u32_e32 vcc_lo, 5, v66
	v_cndmask_b32_e64 v93, v93, v97, s3
	v_cmp_eq_u32_e64 s3, 6, v66
	s_delay_alu instid0(VALU_DEP_2) | instskip(SKIP_1) | instid1(VALU_DEP_1)
	v_cndmask_b32_e32 v93, v93, v95, vcc_lo
	v_div_scale_f32 v94, s4, 1.0, v90, 1.0
	s_mov_b32 vcc_lo, s4
	s_delay_alu instid0(VALU_DEP_2) | instskip(NEXT) | instid1(VALU_DEP_2)
	v_cndmask_b32_e64 v82, v93, v82, s3
	v_mul_f32_e32 v96, v94, v92
	s_mov_b32 s3, exec_lo
	s_delay_alu instid0(VALU_DEP_2) | instskip(NEXT) | instid1(VALU_DEP_2)
	v_cndmask_b32_e64 v82, v82, v89, s5
	v_fma_f32 v98, -v91, v96, v94
	s_delay_alu instid0(VALU_DEP_1) | instskip(NEXT) | instid1(VALU_DEP_1)
	v_fmac_f32_e32 v96, v98, v92
	v_fma_f32 v91, -v91, v96, v94
	s_delay_alu instid0(VALU_DEP_1) | instskip(NEXT) | instid1(VALU_DEP_1)
	v_div_fmas_f32 v91, v91, v92, v96
	v_div_fixup_f32 v90, v91, v90, 1.0
	s_delay_alu instid0(VALU_DEP_1) | instskip(NEXT) | instid1(VALU_DEP_1)
	v_mul_f32_e32 v82, v82, v90
	v_mul_f32_e32 v87, v82, v87
	v_mul_f32_e32 v90, v82, v80
	v_mul_f32_e32 v80, v82, v88
	v_mul_f32_e32 v84, v82, v84
	v_mul_f32_e32 v88, v82, v86
	v_mul_f32_e32 v89, v82, v85
	v_dual_mul_f32 v86, v82, v83 :: v_dual_and_b32 v91, 0x7f800000, v90
	v_mul_f32_e32 v85, v82, v76
                                        ; implicit-def: $vgpr76
	s_delay_alu instid0(VALU_DEP_2)
	v_cmpx_ne_u32_e32 0x7f800000, v91
	s_xor_b32 s3, exec_lo, s3
; %bb.13:
	v_bfe_u32 v76, v90, 16, 1
	s_delay_alu instid0(VALU_DEP_1)
	v_add3_u32 v76, v90, v76, 0x7fff
                                        ; implicit-def: $vgpr90
; %bb.14:
	s_and_not1_saveexec_b32 s3, s3
; %bb.15:
	v_and_b32_e32 v76, 0xffff, v90
	v_or_b32_e32 v83, 0x10000, v90
	s_delay_alu instid0(VALU_DEP_2) | instskip(NEXT) | instid1(VALU_DEP_2)
	v_cmp_eq_u32_e32 vcc_lo, 0, v76
	v_cndmask_b32_e32 v76, v83, v90, vcc_lo
; %bb.16:
	s_or_b32 exec_lo, exec_lo, s3
	v_and_b32_e32 v83, 0x7f800000, v85
	s_delay_alu instid0(VALU_DEP_1) | instskip(SKIP_1) | instid1(SALU_CYCLE_1)
	v_cmp_ne_u32_e32 vcc_lo, 0x7f800000, v83
                                        ; implicit-def: $vgpr83
	s_and_saveexec_b32 s3, vcc_lo
	s_xor_b32 s3, exec_lo, s3
; %bb.17:
	v_bfe_u32 v83, v85, 16, 1
	s_delay_alu instid0(VALU_DEP_1)
	v_add3_u32 v83, v85, v83, 0x7fff
                                        ; implicit-def: $vgpr85
; %bb.18:
	s_and_not1_saveexec_b32 s3, s3
; %bb.19:
	v_and_b32_e32 v83, 0xffff, v85
	v_or_b32_e32 v90, 0x10000, v85
	s_delay_alu instid0(VALU_DEP_2) | instskip(NEXT) | instid1(VALU_DEP_2)
	v_cmp_eq_u32_e32 vcc_lo, 0, v83
	v_cndmask_b32_e32 v83, v90, v85, vcc_lo
; %bb.20:
	s_or_b32 exec_lo, exec_lo, s3
	v_and_b32_e32 v85, 0x7f800000, v86
	s_delay_alu instid0(VALU_DEP_1) | instskip(SKIP_1) | instid1(SALU_CYCLE_1)
	v_cmp_ne_u32_e32 vcc_lo, 0x7f800000, v85
                                        ; implicit-def: $vgpr85
	s_and_saveexec_b32 s3, vcc_lo
	s_xor_b32 s3, exec_lo, s3
; %bb.21:
	v_bfe_u32 v85, v86, 16, 1
	s_delay_alu instid0(VALU_DEP_1)
	v_add3_u32 v85, v86, v85, 0x7fff
                                        ; implicit-def: $vgpr86
; %bb.22:
	s_and_not1_saveexec_b32 s3, s3
; %bb.23:
	v_and_b32_e32 v85, 0xffff, v86
	v_or_b32_e32 v90, 0x10000, v86
	s_delay_alu instid0(VALU_DEP_2) | instskip(NEXT) | instid1(VALU_DEP_2)
	v_cmp_eq_u32_e32 vcc_lo, 0, v85
	v_cndmask_b32_e32 v85, v90, v86, vcc_lo
; %bb.24:
	s_or_b32 exec_lo, exec_lo, s3
	v_and_b32_e32 v86, 0x7f800000, v89
	s_delay_alu instid0(VALU_DEP_1) | instskip(SKIP_1) | instid1(SALU_CYCLE_1)
	v_cmp_ne_u32_e32 vcc_lo, 0x7f800000, v86
                                        ; implicit-def: $vgpr86
	s_and_saveexec_b32 s3, vcc_lo
	s_xor_b32 s3, exec_lo, s3
; %bb.25:
	v_bfe_u32 v86, v89, 16, 1
	s_delay_alu instid0(VALU_DEP_1)
	v_add3_u32 v86, v89, v86, 0x7fff
                                        ; implicit-def: $vgpr89
; %bb.26:
	s_and_not1_saveexec_b32 s3, s3
; %bb.27:
	v_and_b32_e32 v86, 0xffff, v89
	v_or_b32_e32 v90, 0x10000, v89
	s_delay_alu instid0(VALU_DEP_2) | instskip(NEXT) | instid1(VALU_DEP_2)
	v_cmp_eq_u32_e32 vcc_lo, 0, v86
	v_cndmask_b32_e32 v86, v90, v89, vcc_lo
; %bb.28:
	s_or_b32 exec_lo, exec_lo, s3
	v_and_b32_e32 v89, 0x7f800000, v88
	s_delay_alu instid0(VALU_DEP_1) | instskip(SKIP_1) | instid1(SALU_CYCLE_1)
	v_cmp_ne_u32_e32 vcc_lo, 0x7f800000, v89
                                        ; implicit-def: $vgpr89
	s_and_saveexec_b32 s3, vcc_lo
	s_xor_b32 s3, exec_lo, s3
; %bb.29:
	v_bfe_u32 v89, v88, 16, 1
	s_delay_alu instid0(VALU_DEP_1)
	v_add3_u32 v89, v88, v89, 0x7fff
                                        ; implicit-def: $vgpr88
; %bb.30:
	s_and_not1_saveexec_b32 s3, s3
; %bb.31:
	v_and_b32_e32 v89, 0xffff, v88
	v_or_b32_e32 v90, 0x10000, v88
	s_delay_alu instid0(VALU_DEP_2) | instskip(NEXT) | instid1(VALU_DEP_2)
	v_cmp_eq_u32_e32 vcc_lo, 0, v89
	v_cndmask_b32_e32 v89, v90, v88, vcc_lo
; %bb.32:
	s_or_b32 exec_lo, exec_lo, s3
	v_and_b32_e32 v88, 0x7f800000, v87
	s_delay_alu instid0(VALU_DEP_1) | instskip(SKIP_1) | instid1(SALU_CYCLE_1)
	v_cmp_ne_u32_e32 vcc_lo, 0x7f800000, v88
                                        ; implicit-def: $vgpr88
	s_and_saveexec_b32 s3, vcc_lo
	s_xor_b32 s3, exec_lo, s3
; %bb.33:
	v_bfe_u32 v88, v87, 16, 1
	s_delay_alu instid0(VALU_DEP_1)
	v_add3_u32 v88, v87, v88, 0x7fff
                                        ; implicit-def: $vgpr87
; %bb.34:
	s_and_not1_saveexec_b32 s3, s3
; %bb.35:
	v_and_b32_e32 v88, 0xffff, v87
	v_or_b32_e32 v90, 0x10000, v87
	s_delay_alu instid0(VALU_DEP_2) | instskip(NEXT) | instid1(VALU_DEP_2)
	v_cmp_eq_u32_e32 vcc_lo, 0, v88
	v_cndmask_b32_e32 v88, v90, v87, vcc_lo
; %bb.36:
	s_or_b32 exec_lo, exec_lo, s3
	v_and_b32_e32 v87, 0x7f800000, v84
	s_delay_alu instid0(VALU_DEP_1) | instskip(SKIP_1) | instid1(SALU_CYCLE_1)
	v_cmp_ne_u32_e32 vcc_lo, 0x7f800000, v87
                                        ; implicit-def: $vgpr87
	s_and_saveexec_b32 s3, vcc_lo
	s_xor_b32 s3, exec_lo, s3
; %bb.37:
	v_bfe_u32 v87, v84, 16, 1
	s_delay_alu instid0(VALU_DEP_1)
	v_add3_u32 v87, v84, v87, 0x7fff
                                        ; implicit-def: $vgpr84
; %bb.38:
	s_and_not1_saveexec_b32 s3, s3
; %bb.39:
	v_and_b32_e32 v87, 0xffff, v84
	v_or_b32_e32 v90, 0x10000, v84
	s_delay_alu instid0(VALU_DEP_2) | instskip(NEXT) | instid1(VALU_DEP_2)
	v_cmp_eq_u32_e32 vcc_lo, 0, v87
	v_cndmask_b32_e32 v87, v90, v84, vcc_lo
; %bb.40:
	s_or_b32 exec_lo, exec_lo, s3
	v_and_b32_e32 v84, 0x7f800000, v80
	s_delay_alu instid0(VALU_DEP_1) | instskip(SKIP_1) | instid1(SALU_CYCLE_1)
	v_cmp_ne_u32_e32 vcc_lo, 0x7f800000, v84
                                        ; implicit-def: $vgpr84
	s_and_saveexec_b32 s3, vcc_lo
	s_xor_b32 s3, exec_lo, s3
; %bb.41:
	v_bfe_u32 v84, v80, 16, 1
	s_delay_alu instid0(VALU_DEP_1)
	v_add3_u32 v84, v80, v84, 0x7fff
                                        ; implicit-def: $vgpr80
; %bb.42:
	s_and_not1_saveexec_b32 s3, s3
; %bb.43:
	v_and_b32_e32 v84, 0xffff, v80
	v_or_b32_e32 v90, 0x10000, v80
	s_delay_alu instid0(VALU_DEP_2) | instskip(NEXT) | instid1(VALU_DEP_2)
	v_cmp_eq_u32_e32 vcc_lo, 0, v84
	v_cndmask_b32_e32 v84, v90, v80, vcc_lo
; %bb.44:
	s_or_b32 exec_lo, exec_lo, s3
	s_load_b64 s[34:35], s[0:1], 0x94
	v_lshlrev_b32_e32 v91, 4, v74
	s_delay_alu instid0(VALU_DEP_2)
	v_perm_b32 v90, v84, v87, 0x7060302
	v_dual_mul_f32 v79, v82, v79 :: v_dual_lshlrev_b32 v80, 6, v65
	v_dual_mul_f32 v77, v82, v77 :: v_dual_lshlrev_b32 v92, 11, v66
	v_mul_f32_e32 v84, v82, v70
	v_perm_b32 v89, v88, v89, 0x7060302
	v_perm_b32 v88, v86, v85, 0x7060302
	;; [unrolled: 1-line block ×3, first 2 shown]
	v_mul_f32_e32 v70, v82, v81
	v_or3_b32 v76, v91, v92, v80
	v_dual_mul_f32 v78, v82, v78 :: v_dual_and_b32 v85, 0x7f800000, v84
	v_mul_f32_e32 v83, v82, v72
	v_mul_f32_e32 v81, v82, v71
	;; [unrolled: 1-line block ×3, first 2 shown]
	s_mov_b32 s3, exec_lo
	ds_store_b128 v76, v[87:90]
                                        ; implicit-def: $vgpr69
	v_cmpx_ne_u32_e32 0x7f800000, v85
	s_xor_b32 s3, exec_lo, s3
; %bb.45:
	v_bfe_u32 v69, v84, 16, 1
	s_delay_alu instid0(VALU_DEP_1)
	v_add3_u32 v69, v84, v69, 0x7fff
                                        ; implicit-def: $vgpr84
; %bb.46:
	s_and_not1_saveexec_b32 s3, s3
; %bb.47:
	v_and_b32_e32 v69, 0xffff, v84
	v_or_b32_e32 v71, 0x10000, v84
	s_delay_alu instid0(VALU_DEP_2) | instskip(NEXT) | instid1(VALU_DEP_2)
	v_cmp_eq_u32_e32 vcc_lo, 0, v69
	v_cndmask_b32_e32 v69, v71, v84, vcc_lo
; %bb.48:
	s_or_b32 exec_lo, exec_lo, s3
	v_and_b32_e32 v71, 0x7f800000, v72
	s_delay_alu instid0(VALU_DEP_1) | instskip(SKIP_1) | instid1(SALU_CYCLE_1)
	v_cmp_ne_u32_e32 vcc_lo, 0x7f800000, v71
                                        ; implicit-def: $vgpr71
	s_and_saveexec_b32 s3, vcc_lo
	s_xor_b32 s3, exec_lo, s3
; %bb.49:
	v_bfe_u32 v71, v72, 16, 1
	s_delay_alu instid0(VALU_DEP_1)
	v_add3_u32 v71, v72, v71, 0x7fff
                                        ; implicit-def: $vgpr72
; %bb.50:
	s_and_not1_saveexec_b32 s3, s3
; %bb.51:
	v_and_b32_e32 v71, 0xffff, v72
	v_or_b32_e32 v82, 0x10000, v72
	s_delay_alu instid0(VALU_DEP_2) | instskip(NEXT) | instid1(VALU_DEP_2)
	v_cmp_eq_u32_e32 vcc_lo, 0, v71
	v_cndmask_b32_e32 v71, v82, v72, vcc_lo
; %bb.52:
	s_or_b32 exec_lo, exec_lo, s3
	v_and_b32_e32 v72, 0x7f800000, v81
	s_delay_alu instid0(VALU_DEP_1) | instskip(SKIP_1) | instid1(SALU_CYCLE_1)
	v_cmp_ne_u32_e32 vcc_lo, 0x7f800000, v72
                                        ; implicit-def: $vgpr72
	s_and_saveexec_b32 s3, vcc_lo
	s_xor_b32 s3, exec_lo, s3
; %bb.53:
	v_bfe_u32 v72, v81, 16, 1
	s_delay_alu instid0(VALU_DEP_1)
	v_add3_u32 v72, v81, v72, 0x7fff
                                        ; implicit-def: $vgpr81
; %bb.54:
	s_and_not1_saveexec_b32 s3, s3
; %bb.55:
	v_and_b32_e32 v72, 0xffff, v81
	v_or_b32_e32 v82, 0x10000, v81
	s_delay_alu instid0(VALU_DEP_2) | instskip(NEXT) | instid1(VALU_DEP_2)
	v_cmp_eq_u32_e32 vcc_lo, 0, v72
	v_cndmask_b32_e32 v72, v82, v81, vcc_lo
; %bb.56:
	s_or_b32 exec_lo, exec_lo, s3
	v_and_b32_e32 v81, 0x7f800000, v83
	s_delay_alu instid0(VALU_DEP_1) | instskip(SKIP_1) | instid1(SALU_CYCLE_1)
	v_cmp_ne_u32_e32 vcc_lo, 0x7f800000, v81
                                        ; implicit-def: $vgpr81
	s_and_saveexec_b32 s3, vcc_lo
	s_xor_b32 s3, exec_lo, s3
; %bb.57:
	v_bfe_u32 v81, v83, 16, 1
	s_delay_alu instid0(VALU_DEP_1)
	v_add3_u32 v81, v83, v81, 0x7fff
                                        ; implicit-def: $vgpr83
; %bb.58:
	s_and_not1_saveexec_b32 s3, s3
; %bb.59:
	v_and_b32_e32 v81, 0xffff, v83
	v_or_b32_e32 v82, 0x10000, v83
	s_delay_alu instid0(VALU_DEP_2) | instskip(NEXT) | instid1(VALU_DEP_2)
	v_cmp_eq_u32_e32 vcc_lo, 0, v81
	v_cndmask_b32_e32 v81, v82, v83, vcc_lo
; %bb.60:
	s_or_b32 exec_lo, exec_lo, s3
	v_and_b32_e32 v82, 0x7f800000, v77
	s_delay_alu instid0(VALU_DEP_1) | instskip(SKIP_1) | instid1(SALU_CYCLE_1)
	v_cmp_ne_u32_e32 vcc_lo, 0x7f800000, v82
                                        ; implicit-def: $vgpr82
	s_and_saveexec_b32 s3, vcc_lo
	s_xor_b32 s3, exec_lo, s3
; %bb.61:
	v_bfe_u32 v82, v77, 16, 1
	s_delay_alu instid0(VALU_DEP_1)
	v_add3_u32 v82, v77, v82, 0x7fff
                                        ; implicit-def: $vgpr77
; %bb.62:
	s_and_not1_saveexec_b32 s3, s3
; %bb.63:
	v_and_b32_e32 v82, 0xffff, v77
	v_or_b32_e32 v83, 0x10000, v77
	s_delay_alu instid0(VALU_DEP_2) | instskip(NEXT) | instid1(VALU_DEP_2)
	v_cmp_eq_u32_e32 vcc_lo, 0, v82
	v_cndmask_b32_e32 v82, v83, v77, vcc_lo
; %bb.64:
	s_or_b32 exec_lo, exec_lo, s3
	v_and_b32_e32 v77, 0x7f800000, v78
	s_delay_alu instid0(VALU_DEP_1) | instskip(SKIP_1) | instid1(SALU_CYCLE_1)
	v_cmp_ne_u32_e32 vcc_lo, 0x7f800000, v77
                                        ; implicit-def: $vgpr77
	s_and_saveexec_b32 s3, vcc_lo
	s_xor_b32 s3, exec_lo, s3
; %bb.65:
	v_bfe_u32 v77, v78, 16, 1
	s_delay_alu instid0(VALU_DEP_1)
	v_add3_u32 v77, v78, v77, 0x7fff
                                        ; implicit-def: $vgpr78
; %bb.66:
	s_and_not1_saveexec_b32 s3, s3
; %bb.67:
	v_and_b32_e32 v77, 0xffff, v78
	v_or_b32_e32 v83, 0x10000, v78
	s_delay_alu instid0(VALU_DEP_2) | instskip(NEXT) | instid1(VALU_DEP_2)
	v_cmp_eq_u32_e32 vcc_lo, 0, v77
	v_cndmask_b32_e32 v77, v83, v78, vcc_lo
; %bb.68:
	s_or_b32 exec_lo, exec_lo, s3
	v_and_b32_e32 v78, 0x7f800000, v79
	s_delay_alu instid0(VALU_DEP_1) | instskip(SKIP_1) | instid1(SALU_CYCLE_1)
	v_cmp_ne_u32_e32 vcc_lo, 0x7f800000, v78
                                        ; implicit-def: $vgpr78
	s_and_saveexec_b32 s3, vcc_lo
	s_xor_b32 s3, exec_lo, s3
; %bb.69:
	v_bfe_u32 v78, v79, 16, 1
	s_delay_alu instid0(VALU_DEP_1)
	v_add3_u32 v78, v79, v78, 0x7fff
                                        ; implicit-def: $vgpr79
; %bb.70:
	s_and_not1_saveexec_b32 s3, s3
; %bb.71:
	v_and_b32_e32 v78, 0xffff, v79
	v_or_b32_e32 v83, 0x10000, v79
	s_delay_alu instid0(VALU_DEP_2) | instskip(NEXT) | instid1(VALU_DEP_2)
	v_cmp_eq_u32_e32 vcc_lo, 0, v78
	v_cndmask_b32_e32 v78, v83, v79, vcc_lo
; %bb.72:
	s_or_b32 exec_lo, exec_lo, s3
	v_and_b32_e32 v79, 0x7f800000, v70
	s_delay_alu instid0(VALU_DEP_1) | instskip(SKIP_1) | instid1(SALU_CYCLE_1)
	v_cmp_ne_u32_e32 vcc_lo, 0x7f800000, v79
                                        ; implicit-def: $vgpr79
	s_and_saveexec_b32 s3, vcc_lo
	s_xor_b32 s3, exec_lo, s3
; %bb.73:
	v_bfe_u32 v79, v70, 16, 1
	s_delay_alu instid0(VALU_DEP_1)
	v_add3_u32 v79, v70, v79, 0x7fff
                                        ; implicit-def: $vgpr70
; %bb.74:
	s_and_not1_saveexec_b32 s3, s3
; %bb.75:
	v_and_b32_e32 v79, 0xffff, v70
	v_or_b32_e32 v83, 0x10000, v70
	s_delay_alu instid0(VALU_DEP_2) | instskip(NEXT) | instid1(VALU_DEP_2)
	v_cmp_eq_u32_e32 vcc_lo, 0, v79
	v_cndmask_b32_e32 v79, v83, v70, vcc_lo
; %bb.76:
	s_or_b32 exec_lo, exec_lo, s3
	s_delay_alu instid0(VALU_DEP_1)
	v_perm_b32 v86, v79, v78, 0x7060302
	v_perm_b32 v85, v77, v82, 0x7060302
	;; [unrolled: 1-line block ×4, first 2 shown]
	v_lshl_or_b32 v82, v66, 11, v80
	ds_store_b128 v76, v[83:86] offset:1024
	s_waitcnt lgkmcnt(0)
	s_barrier
	buffer_gl0_inv
	ds_load_b128 v[69:72], v82
	ds_load_b128 v[83:86], v82 offset:16
	s_waitcnt lgkmcnt(1)
	v_lshrrev_b32_e32 v66, 16, v69
	s_waitcnt lgkmcnt(0)
	v_lshrrev_b32_e32 v91, 16, v83
	v_lshlrev_b32_e32 v78, 2, v74
	v_lshrrev_b32_e32 v95, 16, v70
	v_lshrrev_b32_e32 v98, 16, v84
	;; [unrolled: 1-line block ×4, first 2 shown]
	v_cmp_eq_u32_e32 vcc_lo, 1, v78
	v_lshrrev_b32_e32 v97, 16, v72
	v_lshrrev_b32_e32 v100, 16, v86
	v_cndmask_b32_e32 v87, v83, v91, vcc_lo
	v_or_b32_e32 v79, 1, v78
	v_cndmask_b32_e32 v81, v69, v66, vcc_lo
	v_cmp_eq_u32_e64 s4, 2, v78
	v_cmp_eq_u32_e64 s7, 3, v78
	;; [unrolled: 1-line block ×5, first 2 shown]
	v_cndmask_b32_e64 v81, v81, v70, s4
	v_cndmask_b32_e64 v87, v87, v84, s4
	v_cmp_eq_u32_e64 s8, 3, v79
	v_cndmask_b32_e64 v88, v69, v66, s3
	v_or_b32_e32 v77, 2, v78
	v_cndmask_b32_e64 v81, v81, v95, s7
	v_cndmask_b32_e64 v87, v87, v98, s7
	;; [unrolled: 1-line block ×4, first 2 shown]
	v_cmp_eq_u32_e64 s10, 5, v78
	v_cndmask_b32_e64 v81, v81, v71, s9
	v_cndmask_b32_e64 v87, v87, v85, s9
	v_cmp_eq_u32_e64 s11, 4, v79
	v_cndmask_b32_e64 v88, v88, v95, s8
	v_cmp_eq_u32_e64 s5, 1, v77
	v_cndmask_b32_e64 v89, v89, v84, s6
	v_cndmask_b32_e64 v81, v81, v96, s10
	v_cmp_eq_u32_e64 s12, 6, v78
	v_cndmask_b32_e64 v88, v88, v71, s11
	;; [unrolled: 3-line block ×3, first 2 shown]
	v_cndmask_b32_e64 v89, v89, v98, s8
	v_cndmask_b32_e64 v81, v81, v72, s12
	v_cmp_eq_u32_e64 s15, 7, v78
	v_cndmask_b32_e64 v88, v88, v96, s13
	v_cndmask_b32_e64 v87, v87, v86, s12
	v_cmp_eq_u32_e64 s16, 6, v79
	v_cmp_eq_u32_e64 s17, 2, v77
	v_cndmask_b32_e64 v89, v89, v85, s11
	v_cndmask_b32_e64 v101, v81, v97, s15
	v_cndmask_b32_e64 v102, v87, v100, s15
	v_cndmask_b32_e64 v88, v88, v72, s16
	v_cndmask_b32_e64 v81, v90, v70, s17
	v_cndmask_b32_e64 v87, v83, v91, s5
	v_cmp_eq_u32_e64 s18, 7, v79
	v_cmp_eq_u32_e64 s19, 3, v77
	;; [unrolled: 1-line block ×4, first 2 shown]
	v_cndmask_b32_e64 v87, v87, v84, s17
	v_cndmask_b32_e64 v103, v88, v97, s18
	;; [unrolled: 1-line block ×4, first 2 shown]
	v_or_b32_e32 v81, 3, v78
	v_cndmask_b32_e64 v93, v87, v98, s19
	v_cmp_eq_u32_e64 s24, 6, v77
	v_cndmask_b32_e64 v104, v88, v86, s16
	v_cndmask_b32_e64 v92, v89, v71, s20
	v_cmp_eq_u32_e64 s21, 1, v81
	ds_load_b128 v[87:90], v82 offset:1024
	v_cmp_eq_u32_e64 s23, 2, v81
	v_cmp_eq_u32_e64 s25, 3, v81
	v_cndmask_b32_e64 v105, v92, v96, s22
	v_cndmask_b32_e64 v66, v69, v66, s21
	;; [unrolled: 1-line block ×4, first 2 shown]
	ds_load_b128 v[91:94], v82 offset:1040
	v_cmp_eq_u32_e64 s26, 4, v81
	v_cndmask_b32_e64 v66, v66, v70, s23
	v_cmp_eq_u32_e64 s27, 7, v77
	v_cndmask_b32_e64 v70, v83, v84, s23
	v_cndmask_b32_e64 v84, v105, v72, s24
	v_cmp_eq_u32_e64 s28, 5, v81
	v_cndmask_b32_e64 v66, v66, v95, s25
	v_cmp_eq_u32_e64 s29, 6, v81
	v_cndmask_b32_e64 v70, v70, v98, s25
	v_cndmask_b32_e64 v69, v69, v99, s22
	;; [unrolled: 1-line block ×4, first 2 shown]
	s_waitcnt lgkmcnt(1)
	v_lshrrev_b32_e32 v95, 16, v87
	v_cndmask_b32_e64 v70, v70, v85, s26
	v_cndmask_b32_e64 v71, v84, v97, s27
	;; [unrolled: 1-line block ×4, first 2 shown]
	v_cndmask_b32_e32 v84, v87, v95, vcc_lo
	v_cndmask_b32_e64 v70, v70, v99, s28
	s_waitcnt lgkmcnt(0)
	v_lshrrev_b32_e32 v85, 16, v91
	v_lshrrev_b32_e32 v96, 16, v88
	v_cndmask_b32_e64 v98, v87, v95, s3
	v_cndmask_b32_e64 v84, v84, v88, s4
	;; [unrolled: 1-line block ×3, first 2 shown]
	v_cndmask_b32_e32 v99, v91, v85, vcc_lo
	v_cmp_eq_u32_e32 vcc_lo, 7, v81
	v_cndmask_b32_e64 v66, v66, v72, s29
	v_cndmask_b32_e64 v72, v84, v96, s7
	;; [unrolled: 1-line block ×3, first 2 shown]
	v_lshrrev_b32_e32 v98, 16, v92
	v_cndmask_b32_e32 v70, v70, v100, vcc_lo
	v_cndmask_b32_e64 v86, v99, v92, s4
	v_cndmask_b32_e64 v69, v69, v100, s27
	v_lshrrev_b32_e32 v100, 16, v93
	v_cndmask_b32_e64 v72, v72, v89, s9
	v_lshrrev_b32_e32 v99, 16, v89
	v_cndmask_b32_e64 v86, v86, v98, s7
	v_perm_b32 v71, v69, v71, 0x5040100
	v_cndmask_b32_e64 v84, v84, v96, s8
	s_delay_alu instid0(VALU_DEP_3) | instskip(NEXT) | instid1(VALU_DEP_2)
	v_cndmask_b32_e64 v86, v86, v93, s9
	v_cndmask_b32_e64 v84, v84, v89, s11
	s_delay_alu instid0(VALU_DEP_2) | instskip(NEXT) | instid1(VALU_DEP_1)
	v_cndmask_b32_e64 v86, v86, v100, s10
	v_cndmask_b32_e64 v69, v86, v94, s12
	;; [unrolled: 1-line block ×5, first 2 shown]
	s_delay_alu instid0(VALU_DEP_3) | instskip(NEXT) | instid1(VALU_DEP_3)
	v_cndmask_b32_e64 v86, v86, v88, s17
	v_cndmask_b32_e64 v87, v87, v88, s23
	s_delay_alu instid0(VALU_DEP_3) | instskip(NEXT) | instid1(VALU_DEP_3)
	v_cndmask_b32_e64 v88, v95, v92, s23
	v_cndmask_b32_e64 v86, v86, v96, s19
	;; [unrolled: 3-line block ×7, first 2 shown]
	s_delay_alu instid0(VALU_DEP_3) | instskip(SKIP_2) | instid1(VALU_DEP_2)
	v_cndmask_b32_e64 v88, v88, v94, s29
	v_cndmask_b32_e32 v66, v66, v97, vcc_lo
	v_cndmask_b32_e64 v97, v72, v99, s10
	v_perm_b32 v72, v70, v66, 0x5040100
	v_perm_b32 v70, v83, v103, 0x5040100
	v_cndmask_b32_e64 v103, v91, v85, s5
	v_cndmask_b32_e64 v85, v91, v85, s3
	;; [unrolled: 1-line block ×4, first 2 shown]
	v_lshrrev_b32_e32 v97, 16, v90
	v_cndmask_b32_e64 v91, v103, v92, s17
	v_cndmask_b32_e64 v85, v85, v92, s6
	v_cndmask_b32_e64 v66, v66, v90, s16
	s_mov_b32 s3, exec_lo
	v_cndmask_b32_e64 v83, v84, v97, s15
	v_cndmask_b32_e64 v91, v91, v98, s19
	;; [unrolled: 1-line block ×3, first 2 shown]
	v_lshrrev_b32_e32 v84, 16, v94
	v_cndmask_b32_e64 v66, v66, v97, s18
	v_cndmask_b32_e64 v90, v86, v97, s27
	;; [unrolled: 1-line block ×4, first 2 shown]
	v_dual_cndmask_b32 v86, v87, v97 :: v_dual_cndmask_b32 v87, v88, v84
	v_cndmask_b32_e64 v91, v69, v84, s15
	s_delay_alu instid0(VALU_DEP_4) | instskip(NEXT) | instid1(VALU_DEP_4)
	v_cndmask_b32_e64 v89, v89, v100, s22
	v_cndmask_b32_e64 v85, v85, v100, s13
	v_perm_b32 v69, v102, v101, 0x5040100
	v_perm_b32 v86, v87, v86, 0x5040100
	;; [unrolled: 1-line block ×3, first 2 shown]
	v_cndmask_b32_e64 v89, v89, v94, s24
	v_cndmask_b32_e64 v85, v85, v94, s16
	s_mul_i32 s8, s35, 5
	s_delay_alu instid0(VALU_DEP_2) | instskip(NEXT) | instid1(VALU_DEP_2)
	v_cndmask_b32_e64 v88, v89, v84, s27
	v_cndmask_b32_e64 v89, v85, v84, s18
	s_delay_alu instid0(VALU_DEP_2) | instskip(NEXT) | instid1(VALU_DEP_2)
	v_perm_b32 v85, v88, v90, 0x5040100
	v_perm_b32 v84, v89, v66, 0x5040100
	ds_store_b128 v76, v[69:72]
	ds_store_b128 v76, v[83:86] offset:1024
	v_cmpx_gt_u32_e32 5, v0
	s_cbranch_execz .LBB1794_78
; %bb.77:
	s_mul_i32 s4, s8, s30
	s_delay_alu instid0(SALU_CYCLE_1) | instskip(SKIP_1) | instid1(VALU_DEP_1)
	v_add3_u32 v69, s4, s31, v65
	s_load_b128 s[4:7], s[0:1], 0x58
	v_mad_u64_u32 v[65:66], null, v69, s34, s[14:15]
	s_delay_alu instid0(VALU_DEP_1) | instskip(NEXT) | instid1(VALU_DEP_1)
	v_ashrrev_i32_e32 v66, 31, v65
	v_lshlrev_b64 v[65:66], 2, v[65:66]
	s_waitcnt lgkmcnt(0)
	s_delay_alu instid0(VALU_DEP_1) | instskip(NEXT) | instid1(VALU_DEP_2)
	v_add_co_u32 v69, vcc_lo, s6, v65
	v_add_co_ci_u32_e32 v70, vcc_lo, s7, v66, vcc_lo
	v_add_co_u32 v65, vcc_lo, s4, v65
	v_add_co_ci_u32_e32 v66, vcc_lo, s5, v66, vcc_lo
	global_store_b32 v[69:70], v67, off
	global_store_b32 v[65:66], v68, off
.LBB1794_78:
	s_or_b32 exec_lo, exec_lo, s3
	s_waitcnt lgkmcnt(0)
	s_waitcnt_vscnt null, 0x0
	s_barrier
	buffer_gl0_inv
	ds_load_b128 v[83:86], v80
	ds_load_b128 v[87:90], v80 offset:16
	ds_load_b128 v[95:98], v80 offset:2064
	ds_load_b128 v[91:94], v80 offset:2048
	v_mov_b32_e32 v65, 0
	ds_load_b128 v[103:106], v80 offset:4112
	ds_load_b128 v[99:102], v80 offset:4096
	;; [unrolled: 1-line block ×4, first 2 shown]
	v_mov_b32_e32 v66, v65
	v_mov_b32_e32 v67, v65
	;; [unrolled: 1-line block ×7, first 2 shown]
	s_waitcnt lgkmcnt(6)
	s_delay_alu instid0(VALU_DEP_1)
	v_wmma_f32_16x16x16_bf16 v[65:72], v[41:48], v[83:90], v[65:72]
	ds_load_b128 v[45:48], v80 offset:8208
	ds_load_b128 v[41:44], v80 offset:8192
	s_waitcnt lgkmcnt(6)
	v_wmma_f32_16x16x16_bf16 v[65:72], v[33:40], v[91:98], v[65:72]
	ds_load_b128 v[37:40], v80 offset:10256
	ds_load_b128 v[33:36], v80 offset:10240
	s_waitcnt lgkmcnt(6)
	;; [unrolled: 4-line block ×4, first 2 shown]
	v_wmma_f32_16x16x16_bf16 v[65:72], v[1:8], v[41:48], v[65:72]
	s_waitcnt lgkmcnt(4)
	s_delay_alu instid0(VALU_DEP_1) | instskip(SKIP_1) | instid1(VALU_DEP_1)
	v_wmma_f32_16x16x16_bf16 v[65:72], v[9:16], v[33:40], v[65:72]
	s_waitcnt lgkmcnt(2)
	v_wmma_f32_16x16x16_bf16 v[65:72], v[57:64], v[25:32], v[65:72]
	s_waitcnt lgkmcnt(0)
	s_delay_alu instid0(VALU_DEP_1) | instskip(NEXT) | instid1(VALU_DEP_1)
	v_wmma_f32_16x16x16_bf16 v[65:72], v[49:56], v[17:24], v[65:72]
	v_and_b32_e32 v1, 0x7f800000, v65
	s_delay_alu instid0(VALU_DEP_1) | instskip(SKIP_1) | instid1(SALU_CYCLE_1)
	v_cmp_ne_u32_e32 vcc_lo, 0x7f800000, v1
                                        ; implicit-def: $vgpr1
	s_and_saveexec_b32 s3, vcc_lo
	s_xor_b32 s3, exec_lo, s3
; %bb.79:
	v_bfe_u32 v1, v65, 16, 1
	s_delay_alu instid0(VALU_DEP_1)
	v_add3_u32 v1, v65, v1, 0x7fff
; %bb.80:
	s_and_not1_saveexec_b32 s3, s3
; %bb.81:
	v_and_b32_e32 v1, 0xffff, v65
	v_or_b32_e32 v2, 0x10000, v65
	s_delay_alu instid0(VALU_DEP_2) | instskip(NEXT) | instid1(VALU_DEP_2)
	v_cmp_eq_u32_e32 vcc_lo, 0, v1
	v_cndmask_b32_e32 v1, v2, v65, vcc_lo
; %bb.82:
	s_or_b32 exec_lo, exec_lo, s3
	v_and_b32_e32 v2, 0x7f800000, v66
	s_delay_alu instid0(VALU_DEP_1) | instskip(SKIP_1) | instid1(SALU_CYCLE_1)
	v_cmp_ne_u32_e32 vcc_lo, 0x7f800000, v2
                                        ; implicit-def: $vgpr2
	s_and_saveexec_b32 s3, vcc_lo
	s_xor_b32 s3, exec_lo, s3
; %bb.83:
	v_bfe_u32 v2, v66, 16, 1
	s_delay_alu instid0(VALU_DEP_1)
	v_add3_u32 v2, v66, v2, 0x7fff
; %bb.84:
	s_and_not1_saveexec_b32 s3, s3
; %bb.85:
	v_and_b32_e32 v2, 0xffff, v66
	v_or_b32_e32 v3, 0x10000, v66
	s_delay_alu instid0(VALU_DEP_2) | instskip(NEXT) | instid1(VALU_DEP_2)
	v_cmp_eq_u32_e32 vcc_lo, 0, v2
	v_cndmask_b32_e32 v2, v3, v66, vcc_lo
; %bb.86:
	s_or_b32 exec_lo, exec_lo, s3
	v_and_b32_e32 v3, 0x7f800000, v67
	s_delay_alu instid0(VALU_DEP_1) | instskip(SKIP_1) | instid1(SALU_CYCLE_1)
	v_cmp_ne_u32_e32 vcc_lo, 0x7f800000, v3
                                        ; implicit-def: $vgpr3
	s_and_saveexec_b32 s3, vcc_lo
	s_xor_b32 s3, exec_lo, s3
; %bb.87:
	v_bfe_u32 v3, v67, 16, 1
	s_delay_alu instid0(VALU_DEP_1)
	v_add3_u32 v3, v67, v3, 0x7fff
; %bb.88:
	s_and_not1_saveexec_b32 s3, s3
; %bb.89:
	v_and_b32_e32 v3, 0xffff, v67
	v_or_b32_e32 v4, 0x10000, v67
	s_delay_alu instid0(VALU_DEP_2) | instskip(NEXT) | instid1(VALU_DEP_2)
	v_cmp_eq_u32_e32 vcc_lo, 0, v3
	v_cndmask_b32_e32 v3, v4, v67, vcc_lo
; %bb.90:
	s_or_b32 exec_lo, exec_lo, s3
	v_and_b32_e32 v4, 0x7f800000, v68
	s_delay_alu instid0(VALU_DEP_1) | instskip(SKIP_1) | instid1(SALU_CYCLE_1)
	v_cmp_ne_u32_e32 vcc_lo, 0x7f800000, v4
                                        ; implicit-def: $vgpr4
	s_and_saveexec_b32 s3, vcc_lo
	s_xor_b32 s3, exec_lo, s3
; %bb.91:
	v_bfe_u32 v4, v68, 16, 1
	s_delay_alu instid0(VALU_DEP_1)
	v_add3_u32 v4, v68, v4, 0x7fff
; %bb.92:
	s_and_not1_saveexec_b32 s3, s3
; %bb.93:
	v_and_b32_e32 v4, 0xffff, v68
	v_or_b32_e32 v5, 0x10000, v68
	s_delay_alu instid0(VALU_DEP_2) | instskip(NEXT) | instid1(VALU_DEP_2)
	v_cmp_eq_u32_e32 vcc_lo, 0, v4
	v_cndmask_b32_e32 v4, v5, v68, vcc_lo
; %bb.94:
	s_or_b32 exec_lo, exec_lo, s3
	v_and_b32_e32 v5, 0x7f800000, v69
	s_delay_alu instid0(VALU_DEP_1) | instskip(SKIP_1) | instid1(SALU_CYCLE_1)
	v_cmp_ne_u32_e32 vcc_lo, 0x7f800000, v5
                                        ; implicit-def: $vgpr5
	s_and_saveexec_b32 s3, vcc_lo
	s_xor_b32 s3, exec_lo, s3
; %bb.95:
	v_bfe_u32 v5, v69, 16, 1
	s_delay_alu instid0(VALU_DEP_1)
	v_add3_u32 v5, v69, v5, 0x7fff
; %bb.96:
	s_and_not1_saveexec_b32 s3, s3
; %bb.97:
	v_and_b32_e32 v5, 0xffff, v69
	v_or_b32_e32 v6, 0x10000, v69
	s_delay_alu instid0(VALU_DEP_2) | instskip(NEXT) | instid1(VALU_DEP_2)
	v_cmp_eq_u32_e32 vcc_lo, 0, v5
	v_cndmask_b32_e32 v5, v6, v69, vcc_lo
; %bb.98:
	s_or_b32 exec_lo, exec_lo, s3
	v_and_b32_e32 v6, 0x7f800000, v70
	s_delay_alu instid0(VALU_DEP_1) | instskip(SKIP_1) | instid1(SALU_CYCLE_1)
	v_cmp_ne_u32_e32 vcc_lo, 0x7f800000, v6
                                        ; implicit-def: $vgpr6
	s_and_saveexec_b32 s3, vcc_lo
	s_xor_b32 s3, exec_lo, s3
; %bb.99:
	v_bfe_u32 v6, v70, 16, 1
	s_delay_alu instid0(VALU_DEP_1)
	v_add3_u32 v6, v70, v6, 0x7fff
; %bb.100:
	s_and_not1_saveexec_b32 s3, s3
; %bb.101:
	v_and_b32_e32 v6, 0xffff, v70
	v_or_b32_e32 v7, 0x10000, v70
	s_delay_alu instid0(VALU_DEP_2) | instskip(NEXT) | instid1(VALU_DEP_2)
	v_cmp_eq_u32_e32 vcc_lo, 0, v6
	v_cndmask_b32_e32 v6, v7, v70, vcc_lo
; %bb.102:
	s_or_b32 exec_lo, exec_lo, s3
	v_and_b32_e32 v7, 0x7f800000, v71
	s_delay_alu instid0(VALU_DEP_1) | instskip(SKIP_1) | instid1(SALU_CYCLE_1)
	v_cmp_ne_u32_e32 vcc_lo, 0x7f800000, v7
                                        ; implicit-def: $vgpr7
	s_and_saveexec_b32 s3, vcc_lo
	s_xor_b32 s3, exec_lo, s3
; %bb.103:
	v_bfe_u32 v7, v71, 16, 1
	s_delay_alu instid0(VALU_DEP_1)
	v_add3_u32 v7, v71, v7, 0x7fff
; %bb.104:
	s_and_not1_saveexec_b32 s3, s3
; %bb.105:
	v_and_b32_e32 v7, 0xffff, v71
	v_or_b32_e32 v8, 0x10000, v71
	s_delay_alu instid0(VALU_DEP_2) | instskip(NEXT) | instid1(VALU_DEP_2)
	v_cmp_eq_u32_e32 vcc_lo, 0, v7
	v_cndmask_b32_e32 v7, v8, v71, vcc_lo
; %bb.106:
	s_or_b32 exec_lo, exec_lo, s3
	v_and_b32_e32 v8, 0x7f800000, v72
	s_delay_alu instid0(VALU_DEP_1) | instskip(SKIP_1) | instid1(SALU_CYCLE_1)
	v_cmp_ne_u32_e32 vcc_lo, 0x7f800000, v8
                                        ; implicit-def: $vgpr8
	s_and_saveexec_b32 s3, vcc_lo
	s_xor_b32 s3, exec_lo, s3
; %bb.107:
	v_bfe_u32 v8, v72, 16, 1
	s_delay_alu instid0(VALU_DEP_1)
	v_add3_u32 v8, v72, v8, 0x7fff
                                        ; implicit-def: $vgpr65_vgpr66_vgpr67_vgpr68_vgpr69_vgpr70_vgpr71_vgpr72
; %bb.108:
	s_and_not1_saveexec_b32 s3, s3
; %bb.109:
	v_and_b32_e32 v8, 0xffff, v72
	v_or_b32_e32 v9, 0x10000, v72
	s_delay_alu instid0(VALU_DEP_2) | instskip(NEXT) | instid1(VALU_DEP_2)
	v_cmp_eq_u32_e32 vcc_lo, 0, v8
	v_cndmask_b32_e32 v8, v9, v72, vcc_lo
; %bb.110:
	s_or_b32 exec_lo, exec_lo, s3
	s_delay_alu instid0(VALU_DEP_1)
	v_perm_b32 v7, v8, v7, 0x7060302
	v_perm_b32 v6, v6, v5, 0x7060302
	;; [unrolled: 1-line block ×4, first 2 shown]
	s_barrier
	buffer_gl0_inv
	v_cmp_eq_u32_e32 vcc_lo, 1, v78
	ds_store_b128 v76, v[4:7]
	s_waitcnt lgkmcnt(0)
	s_barrier
	buffer_gl0_inv
	ds_load_b128 v[1:4], v82
	ds_load_b128 v[5:8], v82 offset:16
	v_cmp_eq_u32_e64 s3, 1, v79
	v_cmp_eq_u32_e64 s4, 2, v78
	;; [unrolled: 1-line block ×5, first 2 shown]
	s_waitcnt lgkmcnt(1)
	v_lshrrev_b32_e32 v9, 16, v1
	s_waitcnt lgkmcnt(0)
	v_lshrrev_b32_e32 v13, 16, v5
	v_lshrrev_b32_e32 v10, 16, v2
	;; [unrolled: 1-line block ×4, first 2 shown]
	v_cndmask_b32_e64 v19, v1, v9, s3
	v_cndmask_b32_e32 v18, v5, v13, vcc_lo
	v_cndmask_b32_e64 v20, v5, v13, s3
	v_cndmask_b32_e32 v17, v1, v9, vcc_lo
	v_cmp_eq_u32_e32 vcc_lo, 2, v79
	v_lshrrev_b32_e32 v15, 16, v7
	v_cmp_eq_u32_e64 s3, 1, v77
	v_lshrrev_b32_e32 v12, 16, v4
	v_lshrrev_b32_e32 v16, 16, v8
	v_cndmask_b32_e32 v20, v20, v6, vcc_lo
	v_cndmask_b32_e64 v17, v17, v2, s4
	v_cndmask_b32_e32 v19, v19, v2, vcc_lo
	v_cndmask_b32_e64 v18, v18, v6, s4
	v_cmp_eq_u32_e32 vcc_lo, 4, v78
	v_cmp_eq_u32_e64 s4, 3, v79
	v_cndmask_b32_e64 v17, v17, v10, s5
	v_cndmask_b32_e64 v21, v1, v9, s3
	;; [unrolled: 1-line block ×5, first 2 shown]
	v_cndmask_b32_e32 v17, v17, v3, vcc_lo
	v_cndmask_b32_e64 v20, v20, v14, s4
	v_cndmask_b32_e32 v18, v18, v7, vcc_lo
	v_cmp_eq_u32_e32 vcc_lo, 4, v79
	v_cmp_eq_u32_e64 s4, 5, v79
	v_cmp_eq_u32_e64 s3, 2, v81
	v_cndmask_b32_e64 v21, v21, v2, s7
	v_cmp_eq_u32_e64 s5, 5, v78
	v_cndmask_b32_e32 v19, v19, v3, vcc_lo
	v_cndmask_b32_e32 v20, v20, v7, vcc_lo
	v_cmp_eq_u32_e32 vcc_lo, 6, v79
	s_delay_alu instid0(VALU_DEP_4) | instskip(NEXT) | instid1(VALU_DEP_4)
	v_cndmask_b32_e64 v17, v17, v11, s5
	v_cndmask_b32_e64 v19, v19, v11, s4
	s_delay_alu instid0(VALU_DEP_4) | instskip(SKIP_1) | instid1(VALU_DEP_3)
	v_cndmask_b32_e64 v20, v20, v15, s4
	v_cmp_eq_u32_e64 s4, 1, v81
	v_cndmask_b32_e32 v19, v19, v4, vcc_lo
	v_cndmask_b32_e64 v18, v18, v15, s5
	s_delay_alu instid0(VALU_DEP_3)
	v_cndmask_b32_e64 v1, v1, v9, s4
	v_cndmask_b32_e64 v5, v5, v13, s4
	v_cmp_eq_u32_e64 s4, 3, v77
	v_cndmask_b32_e64 v13, v22, v6, s7
	v_cmp_eq_u32_e64 s7, 3, v81
	v_cndmask_b32_e64 v1, v1, v2, s3
	v_cndmask_b32_e64 v2, v5, v6, s3
	;; [unrolled: 1-line block ×3, first 2 shown]
	v_cmp_eq_u32_e64 s3, 4, v77
	v_cndmask_b32_e64 v6, v13, v14, s4
	v_cndmask_b32_e64 v1, v1, v10, s7
	v_cmp_eq_u32_e64 s4, 4, v81
	v_cndmask_b32_e64 v2, v2, v14, s7
	v_cndmask_b32_e64 v5, v9, v3, s3
	;; [unrolled: 3-line block ×3, first 2 shown]
	v_cndmask_b32_e64 v2, v2, v7, s4
	v_cmp_eq_u32_e64 s3, 5, v81
	v_cmp_eq_u32_e64 s5, 6, v78
	v_cndmask_b32_e64 v5, v5, v11, s7
	v_cmp_eq_u32_e64 s4, 6, v77
	v_cndmask_b32_e64 v3, v6, v15, s7
	v_cndmask_b32_e64 v1, v1, v11, s3
	v_cmp_eq_u32_e64 s7, 6, v81
	v_cndmask_b32_e64 v2, v2, v15, s3
	v_cndmask_b32_e64 v17, v17, v4, s5
	v_cndmask_b32_e64 v18, v18, v8, s5
	v_cmp_eq_u32_e64 s5, 7, v78
	v_cndmask_b32_e64 v5, v5, v4, s4
	;; [unrolled: 4-line block ×3, first 2 shown]
	v_cmp_eq_u32_e64 s4, 7, v77
	v_cndmask_b32_e32 v4, v20, v8, vcc_lo
	v_cndmask_b32_e64 v17, v17, v12, s5
	v_cndmask_b32_e64 v19, v19, v12, s6
	;; [unrolled: 1-line block ×8, first 2 shown]
	s_mov_b32 s3, exec_lo
	v_perm_b32 v4, v2, v1, 0x5040100
	v_perm_b32 v3, v3, v5, 0x5040100
	;; [unrolled: 1-line block ×4, first 2 shown]
	ds_store_b128 v76, v[1:4]
	s_waitcnt lgkmcnt(0)
	s_barrier
	buffer_gl0_inv
	v_cmpx_gt_u32_e32 32, v0
	s_cbranch_execz .LBB1794_2
; %bb.111:
	s_load_b64 s[4:5], s[0:1], 0x68
	v_lshlrev_b32_e32 v0, 10, v0
	v_add_nc_u32_e32 v2, s31, v74
	v_lshlrev_b32_e32 v3, 4, v75
	s_lshl_b32 s0, s34, 7
	s_delay_alu instid0(SALU_CYCLE_1) | instskip(NEXT) | instid1(VALU_DEP_2)
	s_mul_i32 s1, s0, s30
	v_mul_lo_u32 v1, v2, s0
	s_delay_alu instid0(VALU_DEP_2) | instskip(SKIP_2) | instid1(SALU_CYCLE_1)
	v_and_or_b32 v0, 0x3800, v0, v3
	v_add_nc_u32_e32 v2, 2, v2
	s_mul_i32 s6, s1, s8
	s_ashr_i32 s7, s6, 31
	s_delay_alu instid0(VALU_DEP_2)
	v_lshl_or_b32 v7, v74, 6, v0
	s_lshl_b64 s[6:7], s[6:7], 1
	v_mul_lo_u32 v11, v2, s0
	v_ashrrev_i32_e32 v2, 31, v1
	ds_load_b128 v[3:6], v7
	ds_load_b128 v[7:10], v7 offset:128
	s_waitcnt lgkmcnt(0)
	s_add_u32 s1, s4, s6
	s_addc_u32 s3, s5, s7
	s_lshl_b32 s4, s14, 7
	v_ashrrev_i32_e32 v12, 31, v11
	s_ashr_i32 s5, s4, 31
	v_lshlrev_b64 v[13:14], 1, v[1:2]
	s_lshl_b64 s[4:5], s[4:5], 1
	s_delay_alu instid0(SALU_CYCLE_1) | instskip(SKIP_2) | instid1(VALU_DEP_1)
	s_add_u32 s1, s1, s4
	s_addc_u32 s3, s3, s5
	v_add_co_u32 v1, s1, s1, v73
	v_add_co_ci_u32_e64 v2, null, s3, 0, s1
	v_lshlrev_b64 v[11:12], 1, v[11:12]
	s_delay_alu instid0(VALU_DEP_3) | instskip(NEXT) | instid1(VALU_DEP_3)
	v_add_co_u32 v13, vcc_lo, v1, v13
	v_add_co_ci_u32_e32 v14, vcc_lo, v2, v14, vcc_lo
	s_delay_alu instid0(VALU_DEP_3) | instskip(NEXT) | instid1(VALU_DEP_4)
	v_add_co_u32 v11, vcc_lo, v1, v11
	v_add_co_ci_u32_e32 v12, vcc_lo, v2, v12, vcc_lo
	s_clause 0x1
	global_store_b128 v[13:14], v[3:6], off
	global_store_b128 v[11:12], v[7:10], off
	s_and_b32 exec_lo, exec_lo, s2
	s_cbranch_execz .LBB1794_2
; %bb.112:
	ds_load_b128 v[3:6], v0 offset:256
	s_add_i32 s1, s31, 4
	s_delay_alu instid0(SALU_CYCLE_1) | instskip(NEXT) | instid1(SALU_CYCLE_1)
	s_mul_i32 s0, s1, s0
	s_ashr_i32 s1, s0, 31
	s_delay_alu instid0(SALU_CYCLE_1) | instskip(NEXT) | instid1(SALU_CYCLE_1)
	s_lshl_b64 s[0:1], s[0:1], 1
	v_add_co_u32 v0, vcc_lo, v1, s0
	v_add_co_ci_u32_e32 v1, vcc_lo, s1, v2, vcc_lo
	s_waitcnt lgkmcnt(0)
	global_store_b128 v[0:1], v[3:6], off
	s_nop 0
	s_sendmsg sendmsg(MSG_DEALLOC_VGPRS)
	s_endpgm
	.section	.rodata,"a",@progbits
	.p2align	6, 0x0
	.amdhsa_kernel _Z39paged_attention_ll4mi_QKV_mfma16_kernelI14__hip_bfloat16hLN4vllm18Fp8KVCacheDataTypeE1EhLi16ELi128ELi256ELb1ELi5EL8MFMAType0EEvPKT_PKT0_S9_ifPKiSB_SB_iPKfiiiPfSE_PS4_PT2_iSD_SD_
		.amdhsa_group_segment_fixed_size 17472
		.amdhsa_private_segment_fixed_size 0
		.amdhsa_kernarg_size 400
		.amdhsa_user_sgpr_count 13
		.amdhsa_user_sgpr_dispatch_ptr 0
		.amdhsa_user_sgpr_queue_ptr 0
		.amdhsa_user_sgpr_kernarg_segment_ptr 1
		.amdhsa_user_sgpr_dispatch_id 0
		.amdhsa_user_sgpr_private_segment_size 0
		.amdhsa_wavefront_size32 1
		.amdhsa_uses_dynamic_stack 0
		.amdhsa_enable_private_segment 0
		.amdhsa_system_sgpr_workgroup_id_x 1
		.amdhsa_system_sgpr_workgroup_id_y 1
		.amdhsa_system_sgpr_workgroup_id_z 1
		.amdhsa_system_sgpr_workgroup_info 0
		.amdhsa_system_vgpr_workitem_id 0
		.amdhsa_next_free_vgpr 140
		.amdhsa_next_free_sgpr 36
		.amdhsa_reserve_vcc 1
		.amdhsa_float_round_mode_32 0
		.amdhsa_float_round_mode_16_64 0
		.amdhsa_float_denorm_mode_32 3
		.amdhsa_float_denorm_mode_16_64 3
		.amdhsa_dx10_clamp 1
		.amdhsa_ieee_mode 1
		.amdhsa_fp16_overflow 0
		.amdhsa_workgroup_processor_mode 1
		.amdhsa_memory_ordered 1
		.amdhsa_forward_progress 0
		.amdhsa_shared_vgpr_count 0
		.amdhsa_exception_fp_ieee_invalid_op 0
		.amdhsa_exception_fp_denorm_src 0
		.amdhsa_exception_fp_ieee_div_zero 0
		.amdhsa_exception_fp_ieee_overflow 0
		.amdhsa_exception_fp_ieee_underflow 0
		.amdhsa_exception_fp_ieee_inexact 0
		.amdhsa_exception_int_div_zero 0
	.end_amdhsa_kernel
	.section	.text._Z39paged_attention_ll4mi_QKV_mfma16_kernelI14__hip_bfloat16hLN4vllm18Fp8KVCacheDataTypeE1EhLi16ELi128ELi256ELb1ELi5EL8MFMAType0EEvPKT_PKT0_S9_ifPKiSB_SB_iPKfiiiPfSE_PS4_PT2_iSD_SD_,"axG",@progbits,_Z39paged_attention_ll4mi_QKV_mfma16_kernelI14__hip_bfloat16hLN4vllm18Fp8KVCacheDataTypeE1EhLi16ELi128ELi256ELb1ELi5EL8MFMAType0EEvPKT_PKT0_S9_ifPKiSB_SB_iPKfiiiPfSE_PS4_PT2_iSD_SD_,comdat
.Lfunc_end1794:
	.size	_Z39paged_attention_ll4mi_QKV_mfma16_kernelI14__hip_bfloat16hLN4vllm18Fp8KVCacheDataTypeE1EhLi16ELi128ELi256ELb1ELi5EL8MFMAType0EEvPKT_PKT0_S9_ifPKiSB_SB_iPKfiiiPfSE_PS4_PT2_iSD_SD_, .Lfunc_end1794-_Z39paged_attention_ll4mi_QKV_mfma16_kernelI14__hip_bfloat16hLN4vllm18Fp8KVCacheDataTypeE1EhLi16ELi128ELi256ELb1ELi5EL8MFMAType0EEvPKT_PKT0_S9_ifPKiSB_SB_iPKfiiiPfSE_PS4_PT2_iSD_SD_
                                        ; -- End function
	.section	.AMDGPU.csdata,"",@progbits
; Kernel info:
; codeLenInByte = 8904
; NumSgprs: 38
; NumVgprs: 140
; ScratchSize: 0
; MemoryBound: 0
; FloatMode: 240
; IeeeMode: 1
; LDSByteSize: 17472 bytes/workgroup (compile time only)
; SGPRBlocks: 4
; VGPRBlocks: 17
; NumSGPRsForWavesPerEU: 38
; NumVGPRsForWavesPerEU: 140
; Occupancy: 10
; WaveLimiterHint : 1
; COMPUTE_PGM_RSRC2:SCRATCH_EN: 0
; COMPUTE_PGM_RSRC2:USER_SGPR: 13
; COMPUTE_PGM_RSRC2:TRAP_HANDLER: 0
; COMPUTE_PGM_RSRC2:TGID_X_EN: 1
; COMPUTE_PGM_RSRC2:TGID_Y_EN: 1
; COMPUTE_PGM_RSRC2:TGID_Z_EN: 1
; COMPUTE_PGM_RSRC2:TIDIG_COMP_CNT: 0
	.section	.text._Z39paged_attention_ll4mi_QKV_mfma16_kernelI14__hip_bfloat16hLN4vllm18Fp8KVCacheDataTypeE1EhLi16ELi128ELi256ELb1ELi6EL8MFMAType0EEvPKT_PKT0_S9_ifPKiSB_SB_iPKfiiiPfSE_PS4_PT2_iSD_SD_,"axG",@progbits,_Z39paged_attention_ll4mi_QKV_mfma16_kernelI14__hip_bfloat16hLN4vllm18Fp8KVCacheDataTypeE1EhLi16ELi128ELi256ELb1ELi6EL8MFMAType0EEvPKT_PKT0_S9_ifPKiSB_SB_iPKfiiiPfSE_PS4_PT2_iSD_SD_,comdat
	.protected	_Z39paged_attention_ll4mi_QKV_mfma16_kernelI14__hip_bfloat16hLN4vllm18Fp8KVCacheDataTypeE1EhLi16ELi128ELi256ELb1ELi6EL8MFMAType0EEvPKT_PKT0_S9_ifPKiSB_SB_iPKfiiiPfSE_PS4_PT2_iSD_SD_ ; -- Begin function _Z39paged_attention_ll4mi_QKV_mfma16_kernelI14__hip_bfloat16hLN4vllm18Fp8KVCacheDataTypeE1EhLi16ELi128ELi256ELb1ELi6EL8MFMAType0EEvPKT_PKT0_S9_ifPKiSB_SB_iPKfiiiPfSE_PS4_PT2_iSD_SD_
	.globl	_Z39paged_attention_ll4mi_QKV_mfma16_kernelI14__hip_bfloat16hLN4vllm18Fp8KVCacheDataTypeE1EhLi16ELi128ELi256ELb1ELi6EL8MFMAType0EEvPKT_PKT0_S9_ifPKiSB_SB_iPKfiiiPfSE_PS4_PT2_iSD_SD_
	.p2align	8
	.type	_Z39paged_attention_ll4mi_QKV_mfma16_kernelI14__hip_bfloat16hLN4vllm18Fp8KVCacheDataTypeE1EhLi16ELi128ELi256ELb1ELi6EL8MFMAType0EEvPKT_PKT0_S9_ifPKiSB_SB_iPKfiiiPfSE_PS4_PT2_iSD_SD_,@function
_Z39paged_attention_ll4mi_QKV_mfma16_kernelI14__hip_bfloat16hLN4vllm18Fp8KVCacheDataTypeE1EhLi16ELi128ELi256ELb1ELi6EL8MFMAType0EEvPKT_PKT0_S9_ifPKiSB_SB_iPKfiiiPfSE_PS4_PT2_iSD_SD_: ; @_Z39paged_attention_ll4mi_QKV_mfma16_kernelI14__hip_bfloat16hLN4vllm18Fp8KVCacheDataTypeE1EhLi16ELi128ELi256ELb1ELi6EL8MFMAType0EEvPKT_PKT0_S9_ifPKiSB_SB_iPKfiiiPfSE_PS4_PT2_iSD_SD_
; %bb.0:
	s_load_b64 s[4:5], s[0:1], 0x30
	s_mov_b32 s30, s13
	s_waitcnt lgkmcnt(0)
	s_cmp_lg_u64 s[4:5], 0
	s_cselect_b32 s13, -1, 0
	s_ashr_i32 s31, s30, 31
	s_cmp_eq_u64 s[4:5], 0
	s_cbranch_scc1 .LBB1795_3
; %bb.1:
	s_lshl_b64 s[2:3], s[30:31], 2
	s_delay_alu instid0(SALU_CYCLE_1) | instskip(SKIP_4) | instid1(SALU_CYCLE_1)
	s_add_u32 s2, s4, s2
	s_addc_u32 s3, s5, s3
	s_load_b64 s[2:3], s[2:3], 0x0
	s_waitcnt lgkmcnt(0)
	s_sub_i32 s2, s3, s2
	s_cmp_eq_u32 s2, 1
	s_cselect_b32 s2, -1, 0
	s_delay_alu instid0(SALU_CYCLE_1)
	s_and_not1_b32 vcc_lo, exec_lo, s2
	s_cbranch_vccz .LBB1795_4
.LBB1795_2:
	s_endpgm
.LBB1795_3:
.LBB1795_4:
	s_load_b64 s[2:3], s[0:1], 0x28
	s_lshl_b64 s[6:7], s[30:31], 2
	s_waitcnt lgkmcnt(0)
	s_add_u32 s2, s2, s6
	s_addc_u32 s3, s3, s7
	s_lshl_b32 s12, s14, 8
	s_load_b32 s17, s[2:3], 0x0
	s_waitcnt lgkmcnt(0)
	s_cmp_ge_i32 s12, s17
	s_cbranch_scc1 .LBB1795_2
; %bb.5:
	s_clause 0x1
	s_load_b128 s[8:11], s[0:1], 0x8
	s_load_b64 s[2:3], s[0:1], 0x20
	s_and_not1_b32 vcc_lo, exec_lo, s13
	s_cbranch_vccnz .LBB1795_7
; %bb.6:
	s_add_u32 s4, s4, s6
	s_addc_u32 s5, s5, s7
	s_load_b32 s13, s[4:5], 0x0
	s_branch .LBB1795_8
.LBB1795_7:
	s_mov_b32 s13, s30
.LBB1795_8:
	s_load_b128 s[4:7], s[0:1], 0x48
	v_and_b32_e32 v65, 15, v0
	v_lshrrev_b32_e32 v66, 5, v0
	v_and_b32_e32 v67, 31, v0
	v_and_b32_e32 v75, 1, v0
	v_bfe_u32 v74, v0, 4, 1
	v_lshlrev_b32_e32 v1, 3, v65
	s_mul_i32 s29, s15, 6
	s_waitcnt lgkmcnt(0)
	s_mov_b32 s7, exec_lo
	s_delay_alu instid0(VALU_DEP_1)
	v_lshlrev_b32_e32 v73, 1, v1
	v_cmpx_gt_u32_e32 0x60, v0
	s_cbranch_execz .LBB1795_10
; %bb.9:
	s_load_b64 s[18:19], s[0:1], 0x0
	v_lshl_or_b32 v5, v66, 1, v74
	s_mul_hi_i32 s21, s13, s4
	s_mul_i32 s20, s13, s4
	v_lshlrev_b32_e32 v6, 10, v65
	s_lshl_b64 s[20:21], s[20:21], 1
	v_add_lshl_u32 v1, v5, s29, 7
	v_lshlrev_b32_e32 v5, 6, v5
	v_lshlrev_b32_e32 v7, 10, v75
	v_and_b32_e32 v6, 0x3800, v6
	s_delay_alu instid0(VALU_DEP_4) | instskip(NEXT) | instid1(VALU_DEP_2)
	v_ashrrev_i32_e32 v2, 31, v1
	v_or3_b32 v5, v6, v7, v5
	s_delay_alu instid0(VALU_DEP_2) | instskip(SKIP_3) | instid1(VALU_DEP_1)
	v_lshlrev_b64 v[1:2], 1, v[1:2]
	s_waitcnt lgkmcnt(0)
	s_add_u32 s4, s18, s20
	s_addc_u32 s13, s19, s21
	v_add_co_u32 v1, vcc_lo, s4, v1
	s_delay_alu instid0(VALU_DEP_2) | instskip(NEXT) | instid1(VALU_DEP_2)
	v_add_co_ci_u32_e32 v2, vcc_lo, s13, v2, vcc_lo
	v_add_co_u32 v1, vcc_lo, v1, v73
	s_delay_alu instid0(VALU_DEP_2)
	v_add_co_ci_u32_e32 v2, vcc_lo, 0, v2, vcc_lo
	global_load_b128 v[1:4], v[1:2], off
	s_waitcnt vmcnt(0)
	ds_store_b128 v5, v[1:4]
.LBB1795_10:
	s_or_b32 exec_lo, exec_lo, s7
	v_and_b32_e32 v1, 0xef, v0
	s_add_i32 s4, s17, 15
	s_clause 0x1
	s_load_b32 s7, s[0:1], 0x38
	s_load_b32 s18, s[0:1], 0x1c
	s_ashr_i32 s13, s4, 31
	v_add_nc_u32_e32 v2, s12, v1
	s_lshr_b32 s13, s13, 28
	s_waitcnt lgkmcnt(0)
	s_add_i32 s4, s4, s13
	s_barrier
	v_ashrrev_i32_e32 v1, 31, v2
	s_ashr_i32 s4, s4, 4
	v_cmp_gt_i32_e32 vcc_lo, s17, v2
	s_add_i32 s4, s4, -1
	buffer_gl0_inv
	v_lshrrev_b32_e32 v3, 28, v1
	v_or_b32_e32 v1, 16, v2
	s_mul_i32 s15, s15, s6
	s_delay_alu instid0(VALU_DEP_2) | instskip(SKIP_1) | instid1(SALU_CYCLE_1)
	v_add_nc_u32_e32 v4, v2, v3
	s_mul_i32 s20, s30, s7
	s_ashr_i32 s21, s20, 31
	s_delay_alu instid0(VALU_DEP_1) | instskip(SKIP_2) | instid1(SALU_CYCLE_1)
	v_ashrrev_i32_e32 v4, 4, v4
	v_add_nc_u32_e32 v3, v1, v3
	s_lshl_b64 s[20:21], s[20:21], 2
	s_add_u32 s2, s2, s20
	s_delay_alu instid0(VALU_DEP_2) | instskip(NEXT) | instid1(VALU_DEP_2)
	v_cndmask_b32_e32 v2, s4, v4, vcc_lo
	v_ashrrev_i32_e32 v3, 4, v3
	v_cmp_gt_i32_e32 vcc_lo, s17, v1
	s_addc_u32 s3, s3, s21
	s_ashr_i32 s6, s15, 31
	s_add_u32 s7, s8, s15
	s_addc_u32 s13, s9, s6
	v_cndmask_b32_e32 v4, s4, v3, vcc_lo
	v_ashrrev_i32_e32 v3, 31, v2
	s_lshl_b32 s8, s14, 4
	s_delay_alu instid0(SALU_CYCLE_1) | instskip(NEXT) | instid1(VALU_DEP_2)
	s_ashr_i32 s9, s8, 31
	v_ashrrev_i32_e32 v5, 31, v4
	s_delay_alu instid0(VALU_DEP_2) | instskip(SKIP_1) | instid1(SALU_CYCLE_1)
	v_lshlrev_b64 v[1:2], 2, v[2:3]
	s_lshl_b64 s[8:9], s[8:9], 2
	s_add_u32 s8, s2, s8
	s_delay_alu instid0(VALU_DEP_2) | instskip(SKIP_1) | instid1(VALU_DEP_2)
	v_lshlrev_b64 v[3:4], 2, v[4:5]
	s_addc_u32 s9, s3, s9
	v_add_co_u32 v1, vcc_lo, s2, v1
	v_add_co_ci_u32_e32 v2, vcc_lo, s3, v2, vcc_lo
	s_delay_alu instid0(VALU_DEP_3) | instskip(NEXT) | instid1(VALU_DEP_4)
	v_add_co_u32 v3, vcc_lo, s2, v3
	v_add_co_ci_u32_e32 v4, vcc_lo, s3, v4, vcc_lo
	s_clause 0x1
	global_load_b32 v5, v[1:2], off
	global_load_b32 v3, v[3:4], off
	v_lshlrev_b32_e32 v1, 4, v0
	s_or_b32 s16, s12, 32
	s_delay_alu instid0(SALU_CYCLE_1) | instskip(SKIP_1) | instid1(VALU_DEP_1)
	s_ashr_i32 s19, s16, 4
	s_cmp_lt_i32 s16, s17
	v_and_b32_e32 v1, 0xf0, v1
	s_cselect_b32 s20, s19, s4
	s_delay_alu instid0(SALU_CYCLE_1) | instskip(NEXT) | instid1(SALU_CYCLE_1)
	s_ashr_i32 s21, s20, 31
	s_lshl_b64 s[20:21], s[20:21], 2
	s_delay_alu instid0(VALU_DEP_1)
	v_add_co_u32 v1, s7, s7, v1
	s_add_u32 s20, s2, s20
	s_addc_u32 s21, s3, s21
	s_or_b32 s16, s12, 64
	v_add_co_ci_u32_e64 v2, null, s13, 0, s7
	s_ashr_i32 s19, s16, 4
	s_cmp_lt_i32 s16, s17
	s_cselect_b32 s22, s19, s4
	s_delay_alu instid0(SALU_CYCLE_1) | instskip(NEXT) | instid1(SALU_CYCLE_1)
	s_ashr_i32 s23, s22, 31
	s_lshl_b64 s[22:23], s[22:23], 2
	s_delay_alu instid0(SALU_CYCLE_1) | instskip(SKIP_2) | instid1(SALU_CYCLE_1)
	s_add_u32 s22, s2, s22
	s_addc_u32 s23, s3, s23
	s_or_b32 s16, s12, 0x60
	s_ashr_i32 s19, s16, 4
	s_cmp_lt_i32 s16, s17
	s_cselect_b32 s24, s19, s4
	s_delay_alu instid0(SALU_CYCLE_1) | instskip(NEXT) | instid1(SALU_CYCLE_1)
	s_ashr_i32 s25, s24, 31
	s_lshl_b64 s[24:25], s[24:25], 2
	s_delay_alu instid0(SALU_CYCLE_1) | instskip(SKIP_2) | instid1(SALU_CYCLE_1)
	s_add_u32 s24, s2, s24
	s_addc_u32 s25, s3, s25
	s_or_b32 s16, s12, 0x80
	;; [unrolled: 10-line block ×3, first 2 shown]
	s_ashr_i32 s19, s16, 4
	s_cmp_lt_i32 s16, s17
	s_cselect_b32 s34, s19, s4
	s_delay_alu instid0(SALU_CYCLE_1) | instskip(NEXT) | instid1(SALU_CYCLE_1)
	s_ashr_i32 s35, s34, 31
	s_lshl_b64 s[34:35], s[34:35], 2
	s_delay_alu instid0(SALU_CYCLE_1)
	s_add_u32 s34, s2, s34
	s_addc_u32 s35, s3, s35
	s_clause 0x5
	s_load_b32 s7, s[8:9], 0x0
	s_load_b32 s13, s[20:21], 0x0
	;; [unrolled: 1-line block ×6, first 2 shown]
	s_or_b32 s8, s12, 0xc0
	s_mov_b32 s20, 0
	s_ashr_i32 s9, s8, 4
	s_cmp_lt_i32 s8, s17
	s_mov_b32 s27, s20
	s_cselect_b32 s8, s9, s4
	s_mov_b32 s21, s20
	s_ashr_i32 s9, s8, 31
	s_mov_b32 s22, s20
	s_lshl_b64 s[8:9], s[8:9], 2
	s_mov_b32 s23, s20
	s_mov_b32 s24, s20
	;; [unrolled: 1-line block ×4, first 2 shown]
	v_dual_mov_b32 v107, s27 :: v_dual_mov_b32 v104, s24
	s_add_u32 s8, s2, s8
	v_dual_mov_b32 v106, s26 :: v_dual_mov_b32 v105, s25
	v_dual_mov_b32 v101, s21 :: v_dual_mov_b32 v100, s20
	s_addc_u32 s9, s3, s9
	v_dual_mov_b32 v103, s23 :: v_dual_mov_b32 v102, s22
	s_or_b32 s20, s12, 0xe0
	s_delay_alu instid0(SALU_CYCLE_1) | instskip(SKIP_2) | instid1(SALU_CYCLE_1)
	s_ashr_i32 s21, s20, 4
	s_cmp_lt_i32 s20, s17
	s_cselect_b32 s20, s21, s4
	s_ashr_i32 s21, s20, 31
	s_delay_alu instid0(SALU_CYCLE_1) | instskip(NEXT) | instid1(SALU_CYCLE_1)
	s_lshl_b64 s[20:21], s[20:21], 2
	s_add_u32 s2, s2, s20
	s_addc_u32 s3, s3, s21
	s_waitcnt vmcnt(1)
	v_mad_i64_i32 v[25:26], null, v5, s5, v[1:2]
	s_waitcnt vmcnt(0)
	v_mad_i64_i32 v[27:28], null, v3, s5, v[1:2]
	s_clause 0xf
	global_load_b128 v[1:4], v[25:26], off
	global_load_b128 v[5:8], v[25:26], off offset:256
	global_load_b128 v[9:12], v[27:28], off
	global_load_b128 v[13:16], v[27:28], off offset:256
	global_load_b128 v[17:20], v[25:26], off offset:512
	;; [unrolled: 1-line block ×13, first 2 shown]
	v_mul_lo_u16 v25, v65, 43
	v_lshlrev_b32_e32 v26, 4, v65
	s_delay_alu instid0(VALU_DEP_2) | instskip(NEXT) | instid1(VALU_DEP_2)
	v_lshrrev_b16 v25, 8, v25
	v_lshl_or_b32 v33, v66, 8, v26
	s_delay_alu instid0(VALU_DEP_2) | instskip(NEXT) | instid1(VALU_DEP_1)
	v_mul_lo_u16 v25, v25, 6
	v_sub_nc_u16 v25, v65, v25
	s_delay_alu instid0(VALU_DEP_1) | instskip(NEXT) | instid1(VALU_DEP_1)
	v_and_b32_e32 v25, 0xff, v25
	v_lshlrev_b32_e32 v72, 6, v25
	ds_load_b128 v[25:28], v72
	ds_load_b128 v[29:32], v72 offset:1024
	ds_load_b128 v[108:111], v72 offset:2048
	;; [unrolled: 1-line block ×3, first 2 shown]
	s_load_b32 s4, s[8:9], 0x0
	ds_load_b128 v[116:119], v72 offset:4096
	ds_load_b128 v[120:123], v72 offset:5120
	s_load_b32 s2, s[2:3], 0x0
	s_add_u32 s8, s10, s15
	s_addc_u32 s6, s11, s6
	v_add_co_u32 v68, s8, s8, v33
	s_delay_alu instid0(VALU_DEP_1) | instskip(SKIP_1) | instid1(VALU_DEP_1)
	v_add_co_ci_u32_e64 v69, null, s6, 0, s8
	s_waitcnt lgkmcnt(0)
	v_mad_i64_i32 v[33:34], null, s7, s5, v[68:69]
	v_mad_i64_i32 v[70:71], null, s16, s5, v[68:69]
	;; [unrolled: 1-line block ×7, first 2 shown]
	s_clause 0x3
	global_load_b128 v[41:44], v[33:34], off
	global_load_b128 v[45:48], v[33:34], off offset:16
	global_load_b128 v[33:36], v[37:38], off
	global_load_b128 v[37:40], v[37:38], off offset:16
	s_waitcnt vmcnt(18)
	v_wmma_f32_16x16x16_bf16 v[124:131], v[1:8], v[25:32], v[100:107]
	s_waitcnt vmcnt(16)
	v_wmma_f32_16x16x16_bf16 v[100:107], v[9:16], v[25:32], v[100:107]
	s_clause 0x1
	global_load_b128 v[25:28], v[70:71], off
	global_load_b128 v[29:32], v[70:71], off offset:16
	s_waitcnt vmcnt(16)
	v_wmma_f32_16x16x16_bf16 v[124:131], v[17:24], v[108:115], v[124:131]
	s_clause 0x1
	global_load_b128 v[17:20], v[132:133], off
	global_load_b128 v[21:24], v[132:133], off offset:16
	s_waitcnt vmcnt(16)
	v_wmma_f32_16x16x16_bf16 v[100:107], v[49:56], v[108:115], v[100:107]
	v_mad_i64_i32 v[53:54], null, s2, s5, v[68:69]
	s_clause 0x3
	global_load_b128 v[1:4], v[134:135], off
	global_load_b128 v[5:8], v[134:135], off offset:16
	global_load_b128 v[9:12], v[136:137], off
	global_load_b128 v[13:16], v[136:137], off offset:16
	s_waitcnt vmcnt(18)
	v_wmma_f32_16x16x16_bf16 v[124:131], v[57:64], v[116:123], v[124:131]
	s_clause 0x3
	global_load_b128 v[57:60], v[138:139], off
	global_load_b128 v[61:64], v[138:139], off offset:16
	global_load_b128 v[49:52], v[53:54], off
	global_load_b128 v[53:56], v[53:54], off offset:16
	v_mbcnt_lo_u32_b32 v69, -1, 0
	s_waitcnt vmcnt(20)
	v_wmma_f32_16x16x16_bf16 v[100:107], v[76:83], v[116:123], v[100:107]
	s_delay_alu instid0(VALU_DEP_2) | instskip(NEXT) | instid1(VALU_DEP_1)
	v_xor_b32_e32 v70, 16, v69
	v_cmp_gt_i32_e32 vcc_lo, 32, v70
	v_cndmask_b32_e32 v69, v69, v70, vcc_lo
	ds_load_b128 v[76:79], v72 offset:6144
	ds_load_b128 v[80:83], v72 offset:7168
	s_waitcnt vmcnt(0) lgkmcnt(0)
	s_barrier
	buffer_gl0_inv
	v_wmma_f32_16x16x16_bf16 v[124:131], v[84:91], v[76:83], v[124:131]
	v_and_b32_e32 v68, 0xe0, v0
	v_wmma_f32_16x16x16_bf16 v[100:107], v[92:99], v[76:83], v[100:107]
	s_delay_alu instid0(VALU_DEP_2) | instskip(NEXT) | instid1(VALU_DEP_4)
	v_dual_mul_f32 v79, s18, v127 :: v_dual_add_nc_u32 v68, s12, v68
	v_mul_f32_e32 v81, s18, v129
	v_dual_mul_f32 v78, s18, v125 :: v_dual_mul_f32 v83, s18, v131
	s_delay_alu instid0(VALU_DEP_4) | instskip(NEXT) | instid1(VALU_DEP_4)
	v_dual_mul_f32 v80, s18, v126 :: v_dual_mul_f32 v95, s18, v103
	v_or_b32_e32 v68, v68, v74
	v_dual_mul_f32 v93, s18, v101 :: v_dual_mul_f32 v82, s18, v128
	v_dual_mul_f32 v97, s18, v105 :: v_dual_mul_f32 v92, s18, v130
	v_mul_f32_e32 v99, s18, v107
	s_delay_alu instid0(VALU_DEP_4)
	v_or_b32_e32 v70, 2, v68
	v_or_b32_e32 v71, 4, v68
	;; [unrolled: 1-line block ×3, first 2 shown]
	v_cmp_gt_i32_e64 s2, s17, v68
	v_or_b32_e32 v108, 8, v68
	v_cmp_gt_i32_e32 vcc_lo, s17, v70
	v_mul_f32_e32 v70, s18, v124
	v_or_b32_e32 v109, 10, v68
	v_cmp_gt_i32_e64 s3, s17, v71
	v_cmp_gt_i32_e64 s4, s17, v72
	v_cndmask_b32_e32 v78, 0xff7fffff, v78, vcc_lo
	v_cndmask_b32_e64 v70, 0xff7fffff, v70, s2
	v_or_b32_e32 v84, 12, v68
	v_or_b32_e32 v85, 14, v68
	v_cndmask_b32_e64 v71, 0xff7fffff, v80, s3
	v_cndmask_b32_e64 v72, 0xff7fffff, v79, s4
	v_max3_f32 v70, v70, 0xff7fffff, v78
	v_cmp_gt_i32_e64 s5, s17, v108
	v_cmp_gt_i32_e64 s6, s17, v109
	v_or_b32_e32 v86, 16, v68
	v_or_b32_e32 v87, 18, v68
	v_max3_f32 v70, v70, v71, v72
	v_cndmask_b32_e64 v78, 0xff7fffff, v82, s5
	v_cndmask_b32_e64 v79, 0xff7fffff, v81, s6
	v_cmp_gt_i32_e64 s7, s17, v84
	v_cmp_gt_i32_e64 s8, s17, v85
	v_or_b32_e32 v88, 20, v68
	v_or_b32_e32 v89, 22, v68
	v_mul_f32_e32 v94, s18, v100
	v_cndmask_b32_e64 v71, 0xff7fffff, v92, s7
	v_cndmask_b32_e64 v72, 0xff7fffff, v83, s8
	v_max3_f32 v70, v70, v78, v79
	v_cmp_gt_i32_e64 s9, s17, v86
	v_cmp_gt_i32_e64 s10, s17, v87
	v_or_b32_e32 v90, 24, v68
	v_or_b32_e32 v91, 26, v68
	v_mul_f32_e32 v96, s18, v102
	v_max3_f32 v70, v70, v71, v72
	v_cndmask_b32_e64 v79, 0xff7fffff, v93, s10
	v_cmp_gt_i32_e64 s11, s17, v88
	v_cmp_gt_i32_e64 s12, s17, v89
	v_lshlrev_b32_e32 v89, 2, v69
	v_cndmask_b32_e64 v78, 0xff7fffff, v94, s9
	v_or_b32_e32 v76, 28, v68
	v_or_b32_e32 v77, 30, v68
	v_mul_f32_e32 v98, s18, v104
	v_cndmask_b32_e64 v71, 0xff7fffff, v96, s11
	v_cndmask_b32_e64 v72, 0xff7fffff, v95, s12
	v_max3_f32 v70, v70, v78, v79
	v_cmp_gt_i32_e64 s13, s17, v90
	v_cmp_gt_i32_e64 s15, s17, v91
	v_mul_f32_e32 v68, s18, v106
	v_cmp_gt_i32_e64 s16, s17, v76
	v_max3_f32 v70, v70, v71, v72
	v_cndmask_b32_e64 v78, 0xff7fffff, v98, s13
	v_cndmask_b32_e64 v79, 0xff7fffff, v97, s15
	v_cmp_gt_i32_e64 s17, s17, v77
	v_cndmask_b32_e64 v68, 0xff7fffff, v68, s16
	s_delay_alu instid0(VALU_DEP_3) | instskip(NEXT) | instid1(VALU_DEP_3)
	v_max3_f32 v70, v70, v78, v79
	v_cndmask_b32_e64 v71, 0xff7fffff, v99, s17
	s_delay_alu instid0(VALU_DEP_1) | instskip(SKIP_3) | instid1(VALU_DEP_1)
	v_max3_f32 v68, v70, v68, v71
	ds_bpermute_b32 v69, v89, v68
	s_waitcnt lgkmcnt(0)
	v_max_f32_e32 v69, v69, v69
	v_max_f32_e32 v68, v68, v69
	s_delay_alu instid0(VALU_DEP_1) | instskip(NEXT) | instid1(VALU_DEP_1)
	v_fma_f32 v76, s18, v128, -v68
	v_mul_f32_e32 v77, 0x3fb8aa3b, v76
	v_fma_f32 v71, s18, v126, -v68
	v_fma_f32 v69, s18, v124, -v68
	;; [unrolled: 1-line block ×4, first 2 shown]
	v_exp_f32_e32 v77, v77
	v_mul_f32_e32 v71, 0x3fb8aa3b, v71
	v_mul_f32_e32 v69, 0x3fb8aa3b, v69
	v_fma_f32 v81, s18, v105, -v68
	v_fma_f32 v78, s18, v130, -v68
	s_delay_alu instid0(VALU_DEP_4) | instskip(NEXT) | instid1(VALU_DEP_3)
	v_exp_f32_e32 v71, v71
	v_exp_f32_e32 v69, v69
	s_delay_alu instid0(VALU_DEP_2) | instskip(NEXT) | instid1(TRANS32_DEP_3)
	v_mul_f32_e32 v81, 0x3fb8aa3b, v81
	v_cndmask_b32_e64 v86, 0, v77, s5
	v_fma_f32 v77, s18, v101, -v68
	s_delay_alu instid0(VALU_DEP_3) | instskip(NEXT) | instid1(TRANS32_DEP_3)
	v_exp_f32_e32 v81, v81
	v_cndmask_b32_e64 v83, 0, v71, s3
	v_fma_f32 v71, s18, v131, -v68
	v_mul_f32_e32 v72, 0x3fb8aa3b, v72
	s_delay_alu instid0(TRANS32_DEP_2) | instskip(SKIP_1) | instid1(VALU_DEP_4)
	v_cndmask_b32_e64 v80, 0, v69, s2
	v_fma_f32 v69, s18, v129, -v68
	v_dual_mul_f32 v70, 0x3fb8aa3b, v70 :: v_dual_mul_f32 v71, 0x3fb8aa3b, v71
	s_delay_alu instid0(VALU_DEP_4) | instskip(SKIP_1) | instid1(VALU_DEP_3)
	v_exp_f32_e32 v72, v72
	v_mul_f32_e32 v77, 0x3fb8aa3b, v77
	v_mul_f32_e32 v69, 0x3fb8aa3b, v69
	s_delay_alu instid0(VALU_DEP_3)
	v_exp_f32_e32 v70, v70
	v_exp_f32_e32 v71, v71
	s_mov_b32 s2, exec_lo
	v_exp_f32_e32 v77, v77
	v_exp_f32_e32 v69, v69
	v_cndmask_b32_e64 v85, 0, v72, s4
	v_fma_f32 v72, s18, v100, -v68
	v_cndmask_b32_e32 v76, 0, v70, vcc_lo
	s_delay_alu instid0(TRANS32_DEP_3) | instskip(SKIP_2) | instid1(TRANS32_DEP_1)
	v_cndmask_b32_e64 v88, 0, v71, s8
	v_fma_f32 v71, s18, v104, -v68
	v_add_f32_e32 v70, 0, v80
	v_cndmask_b32_e64 v87, 0, v69, s6
	s_delay_alu instid0(VALU_DEP_2) | instskip(NEXT) | instid1(VALU_DEP_1)
	v_dual_mul_f32 v71, 0x3fb8aa3b, v71 :: v_dual_add_f32 v70, v70, v76
	v_exp_f32_e32 v82, v71
	s_delay_alu instid0(VALU_DEP_1) | instskip(NEXT) | instid1(VALU_DEP_1)
	v_add_f32_e32 v70, v70, v83
	v_add_f32_e32 v70, v70, v85
	s_delay_alu instid0(VALU_DEP_1) | instskip(SKIP_1) | instid1(VALU_DEP_2)
	v_dual_mul_f32 v72, 0x3fb8aa3b, v72 :: v_dual_add_f32 v69, v70, v86
	v_fma_f32 v70, s18, v102, -v68
	v_exp_f32_e32 v72, v72
	s_delay_alu instid0(VALU_DEP_2) | instskip(NEXT) | instid1(VALU_DEP_2)
	v_dual_add_f32 v69, v69, v87 :: v_dual_mul_f32 v78, 0x3fb8aa3b, v78
	v_mul_f32_e32 v70, 0x3fb8aa3b, v70
	s_delay_alu instid0(VALU_DEP_2) | instskip(NEXT) | instid1(VALU_DEP_1)
	v_exp_f32_e32 v78, v78
	v_exp_f32_e32 v79, v70
	s_delay_alu instid0(TRANS32_DEP_3) | instskip(SKIP_4) | instid1(VALU_DEP_3)
	v_cndmask_b32_e64 v70, 0, v72, s9
	s_waitcnt_depctr 0xfff
	v_cndmask_b32_e64 v84, 0, v78, s7
	v_fma_f32 v78, s18, v103, -v68
	v_cndmask_b32_e64 v71, 0, v79, s11
	v_add_f32_e32 v69, v69, v84
	s_delay_alu instid0(VALU_DEP_1) | instskip(SKIP_2) | instid1(VALU_DEP_1)
	v_add_f32_e32 v72, v69, v88
	v_cndmask_b32_e64 v69, 0, v77, s10
	v_fma_f32 v77, s18, v106, -v68
	v_dual_add_f32 v72, v72, v70 :: v_dual_mul_f32 v77, 0x3fb8aa3b, v77
	s_delay_alu instid0(VALU_DEP_1) | instskip(NEXT) | instid1(VALU_DEP_2)
	v_add_f32_e32 v79, v72, v69
	v_exp_f32_e32 v90, v77
	v_cndmask_b32_e64 v77, 0, v82, s13
	v_mul_f32_e32 v78, 0x3fb8aa3b, v78
	s_delay_alu instid0(VALU_DEP_1) | instskip(SKIP_4) | instid1(VALU_DEP_1)
	v_exp_f32_e32 v78, v78
	s_waitcnt_depctr 0xfff
	v_cndmask_b32_e64 v72, 0, v78, s12
	v_add_f32_e32 v78, v79, v71
	v_fma_f32 v79, s18, v107, -v68
	v_dual_add_f32 v82, v78, v72 :: v_dual_mul_f32 v79, 0x3fb8aa3b, v79
	v_cndmask_b32_e64 v78, 0, v81, s15
	s_delay_alu instid0(VALU_DEP_2) | instskip(NEXT) | instid1(VALU_DEP_3)
	v_add_f32_e32 v81, v82, v77
	v_exp_f32_e32 v82, v79
	v_cndmask_b32_e64 v79, 0, v90, s16
	s_delay_alu instid0(VALU_DEP_2) | instskip(NEXT) | instid1(VALU_DEP_1)
	v_add_f32_e32 v81, v81, v78
	v_add_f32_e32 v90, v81, v79
	s_waitcnt_depctr 0xfff
	v_cndmask_b32_e64 v81, 0, v82, s17
	s_delay_alu instid0(VALU_DEP_1)
	v_add_f32_e32 v82, v90, v81
	ds_bpermute_b32 v89, v89, v82
	v_cmpx_gt_u32_e32 16, v67
	s_cbranch_execz .LBB1795_12
; %bb.11:
	v_mul_u32_u24_e32 v67, 0x44, v66
	s_delay_alu instid0(VALU_DEP_1) | instskip(SKIP_1) | instid1(VALU_DEP_1)
	v_lshl_add_u32 v67, v65, 2, v67
	s_waitcnt lgkmcnt(0)
	v_dual_add_f32 v82, v82, v89 :: v_dual_add_nc_u32 v67, 0x4000, v67
	ds_store_2addr_b32 v67, v68, v82 offset1:136
.LBB1795_12:
	s_or_b32 exec_lo, exec_lo, s2
	v_lshlrev_b32_e32 v67, 2, v65
	s_waitcnt lgkmcnt(0)
	s_barrier
	buffer_gl0_inv
	v_cmp_eq_u32_e32 vcc_lo, 1, v66
	v_add_nc_u32_e32 v82, 0x4000, v67
	v_cmp_eq_u32_e64 s2, 2, v66
	v_cmp_eq_u32_e64 s4, 7, v66
	ds_load_2addr_b32 v[89:90], v82 offset1:17
	ds_load_2addr_b32 v[91:92], v82 offset0:34 offset1:51
	ds_load_2addr_b32 v[93:94], v82 offset0:68 offset1:85
	;; [unrolled: 1-line block ×4, first 2 shown]
	s_waitcnt lgkmcnt(4)
	v_max3_f32 v67, v89, 0xff7fffff, v90
	s_waitcnt lgkmcnt(3)
	s_delay_alu instid0(VALU_DEP_1) | instskip(SKIP_1) | instid1(VALU_DEP_1)
	v_max3_f32 v67, v67, v91, v92
	s_waitcnt lgkmcnt(2)
	v_max3_f32 v67, v67, v93, v94
	s_waitcnt lgkmcnt(1)
	s_delay_alu instid0(VALU_DEP_1) | instskip(NEXT) | instid1(VALU_DEP_1)
	v_max3_f32 v67, v67, v95, v96
	v_sub_f32_e32 v93, v93, v67
	s_delay_alu instid0(VALU_DEP_1) | instskip(NEXT) | instid1(VALU_DEP_1)
	v_dual_sub_f32 v68, v89, v67 :: v_dual_mul_f32 v103, 0x3fb8aa3b, v93
	v_mul_f32_e32 v68, 0x3fb8aa3b, v68
	s_delay_alu instid0(VALU_DEP_1)
	v_exp_f32_e32 v100, v68
	v_sub_f32_e32 v68, v92, v67
	v_sub_f32_e32 v99, v90, v67
	ds_load_2addr_b32 v[89:90], v82 offset0:170 offset1:187
	v_dual_mul_f32 v102, 0x3fb8aa3b, v68 :: v_dual_mul_f32 v99, 0x3fb8aa3b, v99
	s_waitcnt lgkmcnt(1)
	v_fma_f32 v68, v100, v97, 0
	s_delay_alu instid0(VALU_DEP_2) | instskip(NEXT) | instid1(VALU_DEP_2)
	v_exp_f32_e32 v102, v102
	v_exp_f32_e32 v99, v99
	s_waitcnt_depctr 0xfff
	v_fmac_f32_e32 v68, v99, v98
	v_sub_f32_e32 v91, v91, v67
	s_delay_alu instid0(VALU_DEP_1)
	v_mul_f32_e32 v101, 0x3fb8aa3b, v91
	ds_load_2addr_b32 v[91:92], v82 offset0:204 offset1:221
	v_sub_f32_e32 v97, v94, v67
	ds_load_2addr_b32 v[93:94], v82 offset0:238 offset1:255
	s_waitcnt lgkmcnt(0)
	v_exp_f32_e32 v101, v101
	s_barrier
	buffer_gl0_inv
	v_dual_fmac_f32 v68, v101, v89 :: v_dual_sub_f32 v89, v96, v67
	v_dual_sub_f32 v82, v95, v67 :: v_dual_mul_f32 v95, 0x3fb8aa3b, v97
	v_exp_f32_e32 v97, v103
	s_delay_alu instid0(VALU_DEP_2) | instskip(NEXT) | instid1(VALU_DEP_2)
	v_dual_fmac_f32 v68, v102, v90 :: v_dual_mul_f32 v89, 0x3fb8aa3b, v89
	v_mul_f32_e32 v82, 0x3fb8aa3b, v82
	s_delay_alu instid0(VALU_DEP_3) | instskip(NEXT) | instid1(VALU_DEP_2)
	v_exp_f32_e32 v95, v95
	v_exp_f32_e32 v89, v89
	s_delay_alu instid0(VALU_DEP_1)
	v_exp_f32_e32 v82, v82
	v_fmac_f32_e32 v68, v97, v91
	s_delay_alu instid0(TRANS32_DEP_3) | instid1(VALU_DEP_1)
	v_fmac_f32_e32 v68, v95, v92
	s_waitcnt_depctr 0xfff
	v_fmac_f32_e32 v68, v82, v93
	s_delay_alu instid0(VALU_DEP_1) | instskip(NEXT) | instid1(VALU_DEP_1)
	v_fmac_f32_e32 v68, v89, v94
	v_add_f32_e32 v90, 0x358637bd, v68
	s_delay_alu instid0(VALU_DEP_1) | instskip(NEXT) | instid1(VALU_DEP_1)
	v_div_scale_f32 v91, null, v90, v90, 1.0
	v_rcp_f32_e32 v92, v91
	s_waitcnt_depctr 0xfff
	v_fma_f32 v93, -v91, v92, 1.0
	s_delay_alu instid0(VALU_DEP_1) | instskip(SKIP_1) | instid1(VALU_DEP_2)
	v_dual_fmac_f32 v92, v93, v92 :: v_dual_cndmask_b32 v93, v100, v99
	v_cmp_eq_u32_e32 vcc_lo, 3, v66
	v_cndmask_b32_e64 v93, v93, v101, s2
	v_cmp_eq_u32_e64 s2, 4, v66
	s_delay_alu instid0(VALU_DEP_2) | instskip(SKIP_1) | instid1(VALU_DEP_2)
	v_cndmask_b32_e32 v93, v93, v102, vcc_lo
	v_cmp_eq_u32_e32 vcc_lo, 5, v66
	v_cndmask_b32_e64 v93, v93, v97, s2
	v_cmp_eq_u32_e64 s2, 6, v66
	s_delay_alu instid0(VALU_DEP_2) | instskip(SKIP_1) | instid1(VALU_DEP_1)
	v_cndmask_b32_e32 v93, v93, v95, vcc_lo
	v_div_scale_f32 v94, s3, 1.0, v90, 1.0
	s_mov_b32 vcc_lo, s3
	s_delay_alu instid0(VALU_DEP_2) | instskip(NEXT) | instid1(VALU_DEP_2)
	v_cndmask_b32_e64 v82, v93, v82, s2
	v_mul_f32_e32 v96, v94, v92
	s_mov_b32 s2, exec_lo
	s_delay_alu instid0(VALU_DEP_2) | instskip(NEXT) | instid1(VALU_DEP_2)
	v_cndmask_b32_e64 v82, v82, v89, s4
	v_fma_f32 v98, -v91, v96, v94
	s_delay_alu instid0(VALU_DEP_1) | instskip(NEXT) | instid1(VALU_DEP_1)
	v_fmac_f32_e32 v96, v98, v92
	v_fma_f32 v91, -v91, v96, v94
	s_delay_alu instid0(VALU_DEP_1) | instskip(NEXT) | instid1(VALU_DEP_1)
	v_div_fmas_f32 v91, v91, v92, v96
	v_div_fixup_f32 v90, v91, v90, 1.0
	s_delay_alu instid0(VALU_DEP_1) | instskip(NEXT) | instid1(VALU_DEP_1)
	v_mul_f32_e32 v82, v82, v90
	v_mul_f32_e32 v87, v82, v87
	;; [unrolled: 1-line block ×7, first 2 shown]
	v_dual_mul_f32 v86, v82, v83 :: v_dual_and_b32 v91, 0x7f800000, v90
	v_mul_f32_e32 v85, v82, v76
                                        ; implicit-def: $vgpr76
	s_delay_alu instid0(VALU_DEP_2)
	v_cmpx_ne_u32_e32 0x7f800000, v91
	s_xor_b32 s2, exec_lo, s2
; %bb.13:
	v_bfe_u32 v76, v90, 16, 1
	s_delay_alu instid0(VALU_DEP_1)
	v_add3_u32 v76, v90, v76, 0x7fff
                                        ; implicit-def: $vgpr90
; %bb.14:
	s_and_not1_saveexec_b32 s2, s2
; %bb.15:
	v_and_b32_e32 v76, 0xffff, v90
	v_or_b32_e32 v83, 0x10000, v90
	s_delay_alu instid0(VALU_DEP_2) | instskip(NEXT) | instid1(VALU_DEP_2)
	v_cmp_eq_u32_e32 vcc_lo, 0, v76
	v_cndmask_b32_e32 v76, v83, v90, vcc_lo
; %bb.16:
	s_or_b32 exec_lo, exec_lo, s2
	v_and_b32_e32 v83, 0x7f800000, v85
	s_delay_alu instid0(VALU_DEP_1) | instskip(SKIP_1) | instid1(SALU_CYCLE_1)
	v_cmp_ne_u32_e32 vcc_lo, 0x7f800000, v83
                                        ; implicit-def: $vgpr83
	s_and_saveexec_b32 s2, vcc_lo
	s_xor_b32 s2, exec_lo, s2
; %bb.17:
	v_bfe_u32 v83, v85, 16, 1
	s_delay_alu instid0(VALU_DEP_1)
	v_add3_u32 v83, v85, v83, 0x7fff
                                        ; implicit-def: $vgpr85
; %bb.18:
	s_and_not1_saveexec_b32 s2, s2
; %bb.19:
	v_and_b32_e32 v83, 0xffff, v85
	v_or_b32_e32 v90, 0x10000, v85
	s_delay_alu instid0(VALU_DEP_2) | instskip(NEXT) | instid1(VALU_DEP_2)
	v_cmp_eq_u32_e32 vcc_lo, 0, v83
	v_cndmask_b32_e32 v83, v90, v85, vcc_lo
; %bb.20:
	s_or_b32 exec_lo, exec_lo, s2
	v_and_b32_e32 v85, 0x7f800000, v86
	s_delay_alu instid0(VALU_DEP_1) | instskip(SKIP_1) | instid1(SALU_CYCLE_1)
	v_cmp_ne_u32_e32 vcc_lo, 0x7f800000, v85
                                        ; implicit-def: $vgpr85
	s_and_saveexec_b32 s2, vcc_lo
	s_xor_b32 s2, exec_lo, s2
; %bb.21:
	v_bfe_u32 v85, v86, 16, 1
	s_delay_alu instid0(VALU_DEP_1)
	v_add3_u32 v85, v86, v85, 0x7fff
                                        ; implicit-def: $vgpr86
; %bb.22:
	s_and_not1_saveexec_b32 s2, s2
; %bb.23:
	v_and_b32_e32 v85, 0xffff, v86
	v_or_b32_e32 v90, 0x10000, v86
	s_delay_alu instid0(VALU_DEP_2) | instskip(NEXT) | instid1(VALU_DEP_2)
	v_cmp_eq_u32_e32 vcc_lo, 0, v85
	v_cndmask_b32_e32 v85, v90, v86, vcc_lo
; %bb.24:
	s_or_b32 exec_lo, exec_lo, s2
	v_and_b32_e32 v86, 0x7f800000, v89
	s_delay_alu instid0(VALU_DEP_1) | instskip(SKIP_1) | instid1(SALU_CYCLE_1)
	v_cmp_ne_u32_e32 vcc_lo, 0x7f800000, v86
                                        ; implicit-def: $vgpr86
	s_and_saveexec_b32 s2, vcc_lo
	s_xor_b32 s2, exec_lo, s2
; %bb.25:
	v_bfe_u32 v86, v89, 16, 1
	s_delay_alu instid0(VALU_DEP_1)
	v_add3_u32 v86, v89, v86, 0x7fff
                                        ; implicit-def: $vgpr89
; %bb.26:
	s_and_not1_saveexec_b32 s2, s2
; %bb.27:
	v_and_b32_e32 v86, 0xffff, v89
	v_or_b32_e32 v90, 0x10000, v89
	s_delay_alu instid0(VALU_DEP_2) | instskip(NEXT) | instid1(VALU_DEP_2)
	v_cmp_eq_u32_e32 vcc_lo, 0, v86
	v_cndmask_b32_e32 v86, v90, v89, vcc_lo
; %bb.28:
	s_or_b32 exec_lo, exec_lo, s2
	v_and_b32_e32 v89, 0x7f800000, v88
	s_delay_alu instid0(VALU_DEP_1) | instskip(SKIP_1) | instid1(SALU_CYCLE_1)
	v_cmp_ne_u32_e32 vcc_lo, 0x7f800000, v89
                                        ; implicit-def: $vgpr89
	s_and_saveexec_b32 s2, vcc_lo
	s_xor_b32 s2, exec_lo, s2
; %bb.29:
	v_bfe_u32 v89, v88, 16, 1
	s_delay_alu instid0(VALU_DEP_1)
	v_add3_u32 v89, v88, v89, 0x7fff
                                        ; implicit-def: $vgpr88
; %bb.30:
	s_and_not1_saveexec_b32 s2, s2
; %bb.31:
	v_and_b32_e32 v89, 0xffff, v88
	v_or_b32_e32 v90, 0x10000, v88
	s_delay_alu instid0(VALU_DEP_2) | instskip(NEXT) | instid1(VALU_DEP_2)
	v_cmp_eq_u32_e32 vcc_lo, 0, v89
	v_cndmask_b32_e32 v89, v90, v88, vcc_lo
; %bb.32:
	s_or_b32 exec_lo, exec_lo, s2
	v_and_b32_e32 v88, 0x7f800000, v87
	s_delay_alu instid0(VALU_DEP_1) | instskip(SKIP_1) | instid1(SALU_CYCLE_1)
	v_cmp_ne_u32_e32 vcc_lo, 0x7f800000, v88
                                        ; implicit-def: $vgpr88
	s_and_saveexec_b32 s2, vcc_lo
	s_xor_b32 s2, exec_lo, s2
; %bb.33:
	v_bfe_u32 v88, v87, 16, 1
	s_delay_alu instid0(VALU_DEP_1)
	v_add3_u32 v88, v87, v88, 0x7fff
                                        ; implicit-def: $vgpr87
; %bb.34:
	s_and_not1_saveexec_b32 s2, s2
; %bb.35:
	v_and_b32_e32 v88, 0xffff, v87
	v_or_b32_e32 v90, 0x10000, v87
	s_delay_alu instid0(VALU_DEP_2) | instskip(NEXT) | instid1(VALU_DEP_2)
	v_cmp_eq_u32_e32 vcc_lo, 0, v88
	v_cndmask_b32_e32 v88, v90, v87, vcc_lo
; %bb.36:
	s_or_b32 exec_lo, exec_lo, s2
	v_and_b32_e32 v87, 0x7f800000, v84
	s_delay_alu instid0(VALU_DEP_1) | instskip(SKIP_1) | instid1(SALU_CYCLE_1)
	v_cmp_ne_u32_e32 vcc_lo, 0x7f800000, v87
                                        ; implicit-def: $vgpr87
	s_and_saveexec_b32 s2, vcc_lo
	s_xor_b32 s2, exec_lo, s2
; %bb.37:
	v_bfe_u32 v87, v84, 16, 1
	s_delay_alu instid0(VALU_DEP_1)
	v_add3_u32 v87, v84, v87, 0x7fff
                                        ; implicit-def: $vgpr84
; %bb.38:
	s_and_not1_saveexec_b32 s2, s2
; %bb.39:
	v_and_b32_e32 v87, 0xffff, v84
	v_or_b32_e32 v90, 0x10000, v84
	s_delay_alu instid0(VALU_DEP_2) | instskip(NEXT) | instid1(VALU_DEP_2)
	v_cmp_eq_u32_e32 vcc_lo, 0, v87
	v_cndmask_b32_e32 v87, v90, v84, vcc_lo
; %bb.40:
	s_or_b32 exec_lo, exec_lo, s2
	v_and_b32_e32 v84, 0x7f800000, v80
	s_delay_alu instid0(VALU_DEP_1) | instskip(SKIP_1) | instid1(SALU_CYCLE_1)
	v_cmp_ne_u32_e32 vcc_lo, 0x7f800000, v84
                                        ; implicit-def: $vgpr84
	s_and_saveexec_b32 s2, vcc_lo
	s_xor_b32 s2, exec_lo, s2
; %bb.41:
	v_bfe_u32 v84, v80, 16, 1
	s_delay_alu instid0(VALU_DEP_1)
	v_add3_u32 v84, v80, v84, 0x7fff
                                        ; implicit-def: $vgpr80
; %bb.42:
	s_and_not1_saveexec_b32 s2, s2
; %bb.43:
	v_and_b32_e32 v84, 0xffff, v80
	v_or_b32_e32 v90, 0x10000, v80
	s_delay_alu instid0(VALU_DEP_2) | instskip(NEXT) | instid1(VALU_DEP_2)
	v_cmp_eq_u32_e32 vcc_lo, 0, v84
	v_cndmask_b32_e32 v84, v90, v80, vcc_lo
; %bb.44:
	s_or_b32 exec_lo, exec_lo, s2
	s_load_b64 s[34:35], s[0:1], 0x94
	v_lshlrev_b32_e32 v91, 4, v74
	s_delay_alu instid0(VALU_DEP_2)
	v_perm_b32 v90, v84, v87, 0x7060302
	v_dual_mul_f32 v79, v82, v79 :: v_dual_lshlrev_b32 v80, 6, v65
	v_dual_mul_f32 v77, v82, v77 :: v_dual_lshlrev_b32 v92, 11, v66
	v_mul_f32_e32 v84, v82, v70
	v_perm_b32 v89, v88, v89, 0x7060302
	v_perm_b32 v88, v86, v85, 0x7060302
	;; [unrolled: 1-line block ×3, first 2 shown]
	v_mul_f32_e32 v70, v82, v81
	v_or3_b32 v76, v91, v92, v80
	v_dual_mul_f32 v78, v82, v78 :: v_dual_and_b32 v85, 0x7f800000, v84
	v_mul_f32_e32 v83, v82, v72
	v_mul_f32_e32 v81, v82, v71
	v_mul_f32_e32 v72, v82, v69
	s_mov_b32 s2, exec_lo
	ds_store_b128 v76, v[87:90]
                                        ; implicit-def: $vgpr69
	v_cmpx_ne_u32_e32 0x7f800000, v85
	s_xor_b32 s2, exec_lo, s2
; %bb.45:
	v_bfe_u32 v69, v84, 16, 1
	s_delay_alu instid0(VALU_DEP_1)
	v_add3_u32 v69, v84, v69, 0x7fff
                                        ; implicit-def: $vgpr84
; %bb.46:
	s_and_not1_saveexec_b32 s2, s2
; %bb.47:
	v_and_b32_e32 v69, 0xffff, v84
	v_or_b32_e32 v71, 0x10000, v84
	s_delay_alu instid0(VALU_DEP_2) | instskip(NEXT) | instid1(VALU_DEP_2)
	v_cmp_eq_u32_e32 vcc_lo, 0, v69
	v_cndmask_b32_e32 v69, v71, v84, vcc_lo
; %bb.48:
	s_or_b32 exec_lo, exec_lo, s2
	v_and_b32_e32 v71, 0x7f800000, v72
	s_delay_alu instid0(VALU_DEP_1) | instskip(SKIP_1) | instid1(SALU_CYCLE_1)
	v_cmp_ne_u32_e32 vcc_lo, 0x7f800000, v71
                                        ; implicit-def: $vgpr71
	s_and_saveexec_b32 s2, vcc_lo
	s_xor_b32 s2, exec_lo, s2
; %bb.49:
	v_bfe_u32 v71, v72, 16, 1
	s_delay_alu instid0(VALU_DEP_1)
	v_add3_u32 v71, v72, v71, 0x7fff
                                        ; implicit-def: $vgpr72
; %bb.50:
	s_and_not1_saveexec_b32 s2, s2
; %bb.51:
	v_and_b32_e32 v71, 0xffff, v72
	v_or_b32_e32 v82, 0x10000, v72
	s_delay_alu instid0(VALU_DEP_2) | instskip(NEXT) | instid1(VALU_DEP_2)
	v_cmp_eq_u32_e32 vcc_lo, 0, v71
	v_cndmask_b32_e32 v71, v82, v72, vcc_lo
; %bb.52:
	s_or_b32 exec_lo, exec_lo, s2
	v_and_b32_e32 v72, 0x7f800000, v81
	s_delay_alu instid0(VALU_DEP_1) | instskip(SKIP_1) | instid1(SALU_CYCLE_1)
	v_cmp_ne_u32_e32 vcc_lo, 0x7f800000, v72
                                        ; implicit-def: $vgpr72
	s_and_saveexec_b32 s2, vcc_lo
	s_xor_b32 s2, exec_lo, s2
; %bb.53:
	v_bfe_u32 v72, v81, 16, 1
	s_delay_alu instid0(VALU_DEP_1)
	v_add3_u32 v72, v81, v72, 0x7fff
                                        ; implicit-def: $vgpr81
; %bb.54:
	s_and_not1_saveexec_b32 s2, s2
; %bb.55:
	v_and_b32_e32 v72, 0xffff, v81
	v_or_b32_e32 v82, 0x10000, v81
	s_delay_alu instid0(VALU_DEP_2) | instskip(NEXT) | instid1(VALU_DEP_2)
	v_cmp_eq_u32_e32 vcc_lo, 0, v72
	v_cndmask_b32_e32 v72, v82, v81, vcc_lo
; %bb.56:
	s_or_b32 exec_lo, exec_lo, s2
	v_and_b32_e32 v81, 0x7f800000, v83
	s_delay_alu instid0(VALU_DEP_1) | instskip(SKIP_1) | instid1(SALU_CYCLE_1)
	v_cmp_ne_u32_e32 vcc_lo, 0x7f800000, v81
                                        ; implicit-def: $vgpr81
	s_and_saveexec_b32 s2, vcc_lo
	s_xor_b32 s2, exec_lo, s2
; %bb.57:
	v_bfe_u32 v81, v83, 16, 1
	s_delay_alu instid0(VALU_DEP_1)
	v_add3_u32 v81, v83, v81, 0x7fff
                                        ; implicit-def: $vgpr83
; %bb.58:
	s_and_not1_saveexec_b32 s2, s2
; %bb.59:
	v_and_b32_e32 v81, 0xffff, v83
	v_or_b32_e32 v82, 0x10000, v83
	s_delay_alu instid0(VALU_DEP_2) | instskip(NEXT) | instid1(VALU_DEP_2)
	v_cmp_eq_u32_e32 vcc_lo, 0, v81
	v_cndmask_b32_e32 v81, v82, v83, vcc_lo
; %bb.60:
	s_or_b32 exec_lo, exec_lo, s2
	v_and_b32_e32 v82, 0x7f800000, v77
	s_delay_alu instid0(VALU_DEP_1) | instskip(SKIP_1) | instid1(SALU_CYCLE_1)
	v_cmp_ne_u32_e32 vcc_lo, 0x7f800000, v82
                                        ; implicit-def: $vgpr82
	s_and_saveexec_b32 s2, vcc_lo
	s_xor_b32 s2, exec_lo, s2
; %bb.61:
	v_bfe_u32 v82, v77, 16, 1
	s_delay_alu instid0(VALU_DEP_1)
	v_add3_u32 v82, v77, v82, 0x7fff
                                        ; implicit-def: $vgpr77
; %bb.62:
	s_and_not1_saveexec_b32 s2, s2
; %bb.63:
	v_and_b32_e32 v82, 0xffff, v77
	v_or_b32_e32 v83, 0x10000, v77
	s_delay_alu instid0(VALU_DEP_2) | instskip(NEXT) | instid1(VALU_DEP_2)
	v_cmp_eq_u32_e32 vcc_lo, 0, v82
	v_cndmask_b32_e32 v82, v83, v77, vcc_lo
; %bb.64:
	s_or_b32 exec_lo, exec_lo, s2
	v_and_b32_e32 v77, 0x7f800000, v78
	s_delay_alu instid0(VALU_DEP_1) | instskip(SKIP_1) | instid1(SALU_CYCLE_1)
	v_cmp_ne_u32_e32 vcc_lo, 0x7f800000, v77
                                        ; implicit-def: $vgpr77
	s_and_saveexec_b32 s2, vcc_lo
	s_xor_b32 s2, exec_lo, s2
; %bb.65:
	v_bfe_u32 v77, v78, 16, 1
	s_delay_alu instid0(VALU_DEP_1)
	v_add3_u32 v77, v78, v77, 0x7fff
                                        ; implicit-def: $vgpr78
; %bb.66:
	s_and_not1_saveexec_b32 s2, s2
; %bb.67:
	v_and_b32_e32 v77, 0xffff, v78
	v_or_b32_e32 v83, 0x10000, v78
	s_delay_alu instid0(VALU_DEP_2) | instskip(NEXT) | instid1(VALU_DEP_2)
	v_cmp_eq_u32_e32 vcc_lo, 0, v77
	v_cndmask_b32_e32 v77, v83, v78, vcc_lo
; %bb.68:
	s_or_b32 exec_lo, exec_lo, s2
	v_and_b32_e32 v78, 0x7f800000, v79
	s_delay_alu instid0(VALU_DEP_1) | instskip(SKIP_1) | instid1(SALU_CYCLE_1)
	v_cmp_ne_u32_e32 vcc_lo, 0x7f800000, v78
                                        ; implicit-def: $vgpr78
	s_and_saveexec_b32 s2, vcc_lo
	s_xor_b32 s2, exec_lo, s2
; %bb.69:
	v_bfe_u32 v78, v79, 16, 1
	s_delay_alu instid0(VALU_DEP_1)
	v_add3_u32 v78, v79, v78, 0x7fff
                                        ; implicit-def: $vgpr79
; %bb.70:
	s_and_not1_saveexec_b32 s2, s2
; %bb.71:
	v_and_b32_e32 v78, 0xffff, v79
	v_or_b32_e32 v83, 0x10000, v79
	s_delay_alu instid0(VALU_DEP_2) | instskip(NEXT) | instid1(VALU_DEP_2)
	v_cmp_eq_u32_e32 vcc_lo, 0, v78
	v_cndmask_b32_e32 v78, v83, v79, vcc_lo
; %bb.72:
	s_or_b32 exec_lo, exec_lo, s2
	v_and_b32_e32 v79, 0x7f800000, v70
	s_delay_alu instid0(VALU_DEP_1) | instskip(SKIP_1) | instid1(SALU_CYCLE_1)
	v_cmp_ne_u32_e32 vcc_lo, 0x7f800000, v79
                                        ; implicit-def: $vgpr79
	s_and_saveexec_b32 s2, vcc_lo
	s_xor_b32 s2, exec_lo, s2
; %bb.73:
	v_bfe_u32 v79, v70, 16, 1
	s_delay_alu instid0(VALU_DEP_1)
	v_add3_u32 v79, v70, v79, 0x7fff
                                        ; implicit-def: $vgpr70
; %bb.74:
	s_and_not1_saveexec_b32 s2, s2
; %bb.75:
	v_and_b32_e32 v79, 0xffff, v70
	v_or_b32_e32 v83, 0x10000, v70
	s_delay_alu instid0(VALU_DEP_2) | instskip(NEXT) | instid1(VALU_DEP_2)
	v_cmp_eq_u32_e32 vcc_lo, 0, v79
	v_cndmask_b32_e32 v79, v83, v70, vcc_lo
; %bb.76:
	s_or_b32 exec_lo, exec_lo, s2
	s_delay_alu instid0(VALU_DEP_1)
	v_perm_b32 v86, v79, v78, 0x7060302
	v_perm_b32 v85, v77, v82, 0x7060302
	;; [unrolled: 1-line block ×4, first 2 shown]
	v_lshl_or_b32 v82, v66, 11, v80
	ds_store_b128 v76, v[83:86] offset:1024
	s_waitcnt lgkmcnt(0)
	s_barrier
	buffer_gl0_inv
	ds_load_b128 v[69:72], v82
	ds_load_b128 v[83:86], v82 offset:16
	s_waitcnt lgkmcnt(1)
	v_lshrrev_b32_e32 v66, 16, v69
	s_waitcnt lgkmcnt(0)
	v_lshrrev_b32_e32 v91, 16, v83
	v_lshlrev_b32_e32 v78, 2, v74
	v_lshrrev_b32_e32 v95, 16, v70
	v_lshrrev_b32_e32 v98, 16, v84
	;; [unrolled: 1-line block ×4, first 2 shown]
	v_cmp_eq_u32_e32 vcc_lo, 1, v78
	v_lshrrev_b32_e32 v97, 16, v72
	v_lshrrev_b32_e32 v100, 16, v86
	v_cndmask_b32_e32 v87, v83, v91, vcc_lo
	v_or_b32_e32 v79, 1, v78
	v_cndmask_b32_e32 v81, v69, v66, vcc_lo
	v_cmp_eq_u32_e64 s3, 2, v78
	v_cmp_eq_u32_e64 s6, 3, v78
	;; [unrolled: 1-line block ×5, first 2 shown]
	v_cndmask_b32_e64 v81, v81, v70, s3
	v_cndmask_b32_e64 v87, v87, v84, s3
	v_cmp_eq_u32_e64 s7, 3, v79
	v_cndmask_b32_e64 v88, v69, v66, s2
	v_or_b32_e32 v77, 2, v78
	v_cndmask_b32_e64 v81, v81, v95, s6
	v_cndmask_b32_e64 v87, v87, v98, s6
	;; [unrolled: 1-line block ×4, first 2 shown]
	v_cmp_eq_u32_e64 s9, 5, v78
	v_cndmask_b32_e64 v81, v81, v71, s8
	v_cndmask_b32_e64 v87, v87, v85, s8
	v_cmp_eq_u32_e64 s10, 4, v79
	v_cndmask_b32_e64 v88, v88, v95, s7
	v_cmp_eq_u32_e64 s4, 1, v77
	v_cndmask_b32_e64 v89, v89, v84, s5
	v_cndmask_b32_e64 v81, v81, v96, s9
	v_cmp_eq_u32_e64 s11, 6, v78
	v_cndmask_b32_e64 v88, v88, v71, s10
	;; [unrolled: 3-line block ×3, first 2 shown]
	v_cndmask_b32_e64 v89, v89, v98, s7
	v_cndmask_b32_e64 v81, v81, v72, s11
	v_cmp_eq_u32_e64 s13, 7, v78
	v_cndmask_b32_e64 v88, v88, v96, s12
	v_cndmask_b32_e64 v87, v87, v86, s11
	v_cmp_eq_u32_e64 s15, 6, v79
	v_cmp_eq_u32_e64 s16, 2, v77
	v_cndmask_b32_e64 v89, v89, v85, s10
	v_cndmask_b32_e64 v101, v81, v97, s13
	;; [unrolled: 1-line block ×6, first 2 shown]
	v_cmp_eq_u32_e64 s17, 7, v79
	v_cmp_eq_u32_e64 s18, 3, v77
	;; [unrolled: 1-line block ×4, first 2 shown]
	v_cndmask_b32_e64 v87, v87, v84, s16
	v_cndmask_b32_e64 v103, v88, v97, s17
	;; [unrolled: 1-line block ×4, first 2 shown]
	v_or_b32_e32 v81, 3, v78
	v_cndmask_b32_e64 v93, v87, v98, s18
	v_cmp_eq_u32_e64 s23, 6, v77
	v_cndmask_b32_e64 v104, v88, v86, s15
	v_cndmask_b32_e64 v92, v89, v71, s19
	v_cmp_eq_u32_e64 s20, 1, v81
	ds_load_b128 v[87:90], v82 offset:1024
	v_cmp_eq_u32_e64 s22, 2, v81
	v_cmp_eq_u32_e64 s24, 3, v81
	v_cndmask_b32_e64 v105, v92, v96, s21
	v_cndmask_b32_e64 v66, v69, v66, s20
	;; [unrolled: 1-line block ×4, first 2 shown]
	ds_load_b128 v[91:94], v82 offset:1040
	v_cmp_eq_u32_e64 s25, 4, v81
	v_cndmask_b32_e64 v66, v66, v70, s22
	v_cmp_eq_u32_e64 s26, 7, v77
	v_cndmask_b32_e64 v70, v83, v84, s22
	v_cndmask_b32_e64 v84, v105, v72, s23
	v_cmp_eq_u32_e64 s27, 5, v81
	v_cndmask_b32_e64 v66, v66, v95, s24
	v_cmp_eq_u32_e64 s28, 6, v81
	v_cndmask_b32_e64 v70, v70, v98, s24
	v_cndmask_b32_e64 v69, v69, v99, s21
	;; [unrolled: 1-line block ×4, first 2 shown]
	s_waitcnt lgkmcnt(1)
	v_lshrrev_b32_e32 v95, 16, v87
	v_cndmask_b32_e64 v70, v70, v85, s25
	v_cndmask_b32_e64 v71, v84, v97, s26
	v_cndmask_b32_e64 v69, v69, v86, s23
	v_cndmask_b32_e64 v66, v66, v96, s27
	v_cndmask_b32_e32 v84, v87, v95, vcc_lo
	v_cndmask_b32_e64 v70, v70, v99, s27
	s_waitcnt lgkmcnt(0)
	v_lshrrev_b32_e32 v85, 16, v91
	v_lshrrev_b32_e32 v96, 16, v88
	v_cndmask_b32_e64 v98, v87, v95, s2
	v_cndmask_b32_e64 v84, v84, v88, s3
	;; [unrolled: 1-line block ×3, first 2 shown]
	v_cndmask_b32_e32 v99, v91, v85, vcc_lo
	v_cmp_eq_u32_e32 vcc_lo, 7, v81
	v_cndmask_b32_e64 v66, v66, v72, s28
	v_cndmask_b32_e64 v72, v84, v96, s6
	;; [unrolled: 1-line block ×3, first 2 shown]
	v_lshrrev_b32_e32 v98, 16, v92
	v_cndmask_b32_e32 v70, v70, v100, vcc_lo
	v_cndmask_b32_e64 v86, v99, v92, s3
	v_cndmask_b32_e64 v69, v69, v100, s26
	v_lshrrev_b32_e32 v100, 16, v93
	v_cndmask_b32_e64 v72, v72, v89, s8
	v_lshrrev_b32_e32 v99, 16, v89
	v_cndmask_b32_e64 v86, v86, v98, s6
	v_perm_b32 v71, v69, v71, 0x5040100
	v_cndmask_b32_e64 v84, v84, v96, s7
	s_delay_alu instid0(VALU_DEP_3) | instskip(NEXT) | instid1(VALU_DEP_2)
	v_cndmask_b32_e64 v86, v86, v93, s8
	v_cndmask_b32_e64 v84, v84, v89, s10
	s_delay_alu instid0(VALU_DEP_2) | instskip(NEXT) | instid1(VALU_DEP_1)
	v_cndmask_b32_e64 v86, v86, v100, s9
	v_cndmask_b32_e64 v69, v86, v94, s11
	;; [unrolled: 1-line block ×5, first 2 shown]
	s_delay_alu instid0(VALU_DEP_3) | instskip(NEXT) | instid1(VALU_DEP_3)
	v_cndmask_b32_e64 v86, v86, v88, s16
	v_cndmask_b32_e64 v87, v87, v88, s22
	s_delay_alu instid0(VALU_DEP_3) | instskip(NEXT) | instid1(VALU_DEP_3)
	v_cndmask_b32_e64 v88, v95, v92, s22
	v_cndmask_b32_e64 v86, v86, v96, s18
	;; [unrolled: 3-line block ×7, first 2 shown]
	s_delay_alu instid0(VALU_DEP_3) | instskip(SKIP_2) | instid1(VALU_DEP_2)
	v_cndmask_b32_e64 v88, v88, v94, s28
	v_cndmask_b32_e32 v66, v66, v97, vcc_lo
	v_cndmask_b32_e64 v97, v72, v99, s9
	v_perm_b32 v72, v70, v66, 0x5040100
	v_perm_b32 v70, v83, v103, 0x5040100
	v_cndmask_b32_e64 v103, v91, v85, s4
	v_cndmask_b32_e64 v85, v91, v85, s2
	v_cndmask_b32_e64 v66, v84, v99, s12
	v_cndmask_b32_e64 v84, v97, v90, s11
	v_lshrrev_b32_e32 v97, 16, v90
	v_cndmask_b32_e64 v91, v103, v92, s16
	v_cndmask_b32_e64 v85, v85, v92, s5
	;; [unrolled: 1-line block ×3, first 2 shown]
	s_mov_b32 s2, exec_lo
	v_cndmask_b32_e64 v83, v84, v97, s13
	v_cndmask_b32_e64 v91, v91, v98, s18
	;; [unrolled: 1-line block ×3, first 2 shown]
	v_lshrrev_b32_e32 v84, 16, v94
	v_cndmask_b32_e64 v66, v66, v97, s17
	v_cndmask_b32_e64 v90, v86, v97, s26
	v_cndmask_b32_e64 v89, v91, v93, s19
	v_cndmask_b32_e64 v85, v85, v93, s10
	v_dual_cndmask_b32 v86, v87, v97 :: v_dual_cndmask_b32 v87, v88, v84
	v_cndmask_b32_e64 v91, v69, v84, s13
	s_delay_alu instid0(VALU_DEP_4) | instskip(NEXT) | instid1(VALU_DEP_4)
	v_cndmask_b32_e64 v89, v89, v100, s21
	v_cndmask_b32_e64 v85, v85, v100, s12
	v_perm_b32 v69, v102, v101, 0x5040100
	v_perm_b32 v86, v87, v86, 0x5040100
	;; [unrolled: 1-line block ×3, first 2 shown]
	v_cndmask_b32_e64 v89, v89, v94, s23
	v_cndmask_b32_e64 v85, v85, v94, s15
	s_mul_i32 s7, s35, 6
	s_delay_alu instid0(VALU_DEP_2) | instskip(NEXT) | instid1(VALU_DEP_2)
	v_cndmask_b32_e64 v88, v89, v84, s26
	v_cndmask_b32_e64 v89, v85, v84, s17
	s_delay_alu instid0(VALU_DEP_2) | instskip(NEXT) | instid1(VALU_DEP_2)
	v_perm_b32 v85, v88, v90, 0x5040100
	v_perm_b32 v84, v89, v66, 0x5040100
	ds_store_b128 v76, v[69:72]
	ds_store_b128 v76, v[83:86] offset:1024
	v_cmpx_gt_u32_e32 6, v0
	s_cbranch_execz .LBB1795_78
; %bb.77:
	s_mul_i32 s3, s7, s30
	s_load_b128 s[8:11], s[0:1], 0x58
	v_add3_u32 v69, s3, s29, v65
	s_delay_alu instid0(VALU_DEP_1) | instskip(NEXT) | instid1(VALU_DEP_1)
	v_mad_u64_u32 v[65:66], null, v69, s34, s[14:15]
	v_ashrrev_i32_e32 v66, 31, v65
	s_delay_alu instid0(VALU_DEP_1) | instskip(SKIP_1) | instid1(VALU_DEP_1)
	v_lshlrev_b64 v[65:66], 2, v[65:66]
	s_waitcnt lgkmcnt(0)
	v_add_co_u32 v69, vcc_lo, s10, v65
	s_delay_alu instid0(VALU_DEP_2)
	v_add_co_ci_u32_e32 v70, vcc_lo, s11, v66, vcc_lo
	v_add_co_u32 v65, vcc_lo, s8, v65
	v_add_co_ci_u32_e32 v66, vcc_lo, s9, v66, vcc_lo
	global_store_b32 v[69:70], v67, off
	global_store_b32 v[65:66], v68, off
.LBB1795_78:
	s_or_b32 exec_lo, exec_lo, s2
	s_waitcnt lgkmcnt(0)
	s_waitcnt_vscnt null, 0x0
	s_barrier
	buffer_gl0_inv
	ds_load_b128 v[83:86], v80
	ds_load_b128 v[87:90], v80 offset:16
	ds_load_b128 v[95:98], v80 offset:2064
	;; [unrolled: 1-line block ×3, first 2 shown]
	v_mov_b32_e32 v65, 0
	ds_load_b128 v[103:106], v80 offset:4112
	ds_load_b128 v[99:102], v80 offset:4096
	;; [unrolled: 1-line block ×4, first 2 shown]
	v_mov_b32_e32 v66, v65
	v_mov_b32_e32 v67, v65
	;; [unrolled: 1-line block ×7, first 2 shown]
	s_waitcnt lgkmcnt(6)
	s_delay_alu instid0(VALU_DEP_1)
	v_wmma_f32_16x16x16_bf16 v[65:72], v[41:48], v[83:90], v[65:72]
	ds_load_b128 v[45:48], v80 offset:8208
	ds_load_b128 v[41:44], v80 offset:8192
	s_waitcnt lgkmcnt(6)
	v_wmma_f32_16x16x16_bf16 v[65:72], v[33:40], v[91:98], v[65:72]
	ds_load_b128 v[37:40], v80 offset:10256
	ds_load_b128 v[33:36], v80 offset:10240
	s_waitcnt lgkmcnt(6)
	;; [unrolled: 4-line block ×4, first 2 shown]
	v_wmma_f32_16x16x16_bf16 v[65:72], v[1:8], v[41:48], v[65:72]
	s_waitcnt lgkmcnt(4)
	s_delay_alu instid0(VALU_DEP_1) | instskip(SKIP_1) | instid1(VALU_DEP_1)
	v_wmma_f32_16x16x16_bf16 v[65:72], v[9:16], v[33:40], v[65:72]
	s_waitcnt lgkmcnt(2)
	v_wmma_f32_16x16x16_bf16 v[65:72], v[57:64], v[25:32], v[65:72]
	s_waitcnt lgkmcnt(0)
	s_delay_alu instid0(VALU_DEP_1) | instskip(NEXT) | instid1(VALU_DEP_1)
	v_wmma_f32_16x16x16_bf16 v[65:72], v[49:56], v[17:24], v[65:72]
	v_and_b32_e32 v1, 0x7f800000, v65
	s_delay_alu instid0(VALU_DEP_1) | instskip(SKIP_1) | instid1(SALU_CYCLE_1)
	v_cmp_ne_u32_e32 vcc_lo, 0x7f800000, v1
                                        ; implicit-def: $vgpr1
	s_and_saveexec_b32 s2, vcc_lo
	s_xor_b32 s2, exec_lo, s2
; %bb.79:
	v_bfe_u32 v1, v65, 16, 1
	s_delay_alu instid0(VALU_DEP_1)
	v_add3_u32 v1, v65, v1, 0x7fff
; %bb.80:
	s_and_not1_saveexec_b32 s2, s2
; %bb.81:
	v_and_b32_e32 v1, 0xffff, v65
	v_or_b32_e32 v2, 0x10000, v65
	s_delay_alu instid0(VALU_DEP_2) | instskip(NEXT) | instid1(VALU_DEP_2)
	v_cmp_eq_u32_e32 vcc_lo, 0, v1
	v_cndmask_b32_e32 v1, v2, v65, vcc_lo
; %bb.82:
	s_or_b32 exec_lo, exec_lo, s2
	v_and_b32_e32 v2, 0x7f800000, v66
	s_delay_alu instid0(VALU_DEP_1) | instskip(SKIP_1) | instid1(SALU_CYCLE_1)
	v_cmp_ne_u32_e32 vcc_lo, 0x7f800000, v2
                                        ; implicit-def: $vgpr2
	s_and_saveexec_b32 s2, vcc_lo
	s_xor_b32 s2, exec_lo, s2
; %bb.83:
	v_bfe_u32 v2, v66, 16, 1
	s_delay_alu instid0(VALU_DEP_1)
	v_add3_u32 v2, v66, v2, 0x7fff
; %bb.84:
	s_and_not1_saveexec_b32 s2, s2
; %bb.85:
	v_and_b32_e32 v2, 0xffff, v66
	v_or_b32_e32 v3, 0x10000, v66
	s_delay_alu instid0(VALU_DEP_2) | instskip(NEXT) | instid1(VALU_DEP_2)
	v_cmp_eq_u32_e32 vcc_lo, 0, v2
	v_cndmask_b32_e32 v2, v3, v66, vcc_lo
; %bb.86:
	s_or_b32 exec_lo, exec_lo, s2
	v_and_b32_e32 v3, 0x7f800000, v67
	s_delay_alu instid0(VALU_DEP_1) | instskip(SKIP_1) | instid1(SALU_CYCLE_1)
	v_cmp_ne_u32_e32 vcc_lo, 0x7f800000, v3
                                        ; implicit-def: $vgpr3
	s_and_saveexec_b32 s2, vcc_lo
	s_xor_b32 s2, exec_lo, s2
; %bb.87:
	v_bfe_u32 v3, v67, 16, 1
	s_delay_alu instid0(VALU_DEP_1)
	v_add3_u32 v3, v67, v3, 0x7fff
; %bb.88:
	s_and_not1_saveexec_b32 s2, s2
; %bb.89:
	v_and_b32_e32 v3, 0xffff, v67
	v_or_b32_e32 v4, 0x10000, v67
	s_delay_alu instid0(VALU_DEP_2) | instskip(NEXT) | instid1(VALU_DEP_2)
	v_cmp_eq_u32_e32 vcc_lo, 0, v3
	v_cndmask_b32_e32 v3, v4, v67, vcc_lo
; %bb.90:
	s_or_b32 exec_lo, exec_lo, s2
	v_and_b32_e32 v4, 0x7f800000, v68
	s_delay_alu instid0(VALU_DEP_1) | instskip(SKIP_1) | instid1(SALU_CYCLE_1)
	v_cmp_ne_u32_e32 vcc_lo, 0x7f800000, v4
                                        ; implicit-def: $vgpr4
	s_and_saveexec_b32 s2, vcc_lo
	s_xor_b32 s2, exec_lo, s2
; %bb.91:
	v_bfe_u32 v4, v68, 16, 1
	s_delay_alu instid0(VALU_DEP_1)
	v_add3_u32 v4, v68, v4, 0x7fff
; %bb.92:
	s_and_not1_saveexec_b32 s2, s2
; %bb.93:
	v_and_b32_e32 v4, 0xffff, v68
	v_or_b32_e32 v5, 0x10000, v68
	s_delay_alu instid0(VALU_DEP_2) | instskip(NEXT) | instid1(VALU_DEP_2)
	v_cmp_eq_u32_e32 vcc_lo, 0, v4
	v_cndmask_b32_e32 v4, v5, v68, vcc_lo
; %bb.94:
	s_or_b32 exec_lo, exec_lo, s2
	v_and_b32_e32 v5, 0x7f800000, v69
	s_delay_alu instid0(VALU_DEP_1) | instskip(SKIP_1) | instid1(SALU_CYCLE_1)
	v_cmp_ne_u32_e32 vcc_lo, 0x7f800000, v5
                                        ; implicit-def: $vgpr5
	s_and_saveexec_b32 s2, vcc_lo
	s_xor_b32 s2, exec_lo, s2
; %bb.95:
	v_bfe_u32 v5, v69, 16, 1
	s_delay_alu instid0(VALU_DEP_1)
	v_add3_u32 v5, v69, v5, 0x7fff
; %bb.96:
	s_and_not1_saveexec_b32 s2, s2
; %bb.97:
	v_and_b32_e32 v5, 0xffff, v69
	v_or_b32_e32 v6, 0x10000, v69
	s_delay_alu instid0(VALU_DEP_2) | instskip(NEXT) | instid1(VALU_DEP_2)
	v_cmp_eq_u32_e32 vcc_lo, 0, v5
	v_cndmask_b32_e32 v5, v6, v69, vcc_lo
; %bb.98:
	s_or_b32 exec_lo, exec_lo, s2
	v_and_b32_e32 v6, 0x7f800000, v70
	s_delay_alu instid0(VALU_DEP_1) | instskip(SKIP_1) | instid1(SALU_CYCLE_1)
	v_cmp_ne_u32_e32 vcc_lo, 0x7f800000, v6
                                        ; implicit-def: $vgpr6
	s_and_saveexec_b32 s2, vcc_lo
	s_xor_b32 s2, exec_lo, s2
; %bb.99:
	v_bfe_u32 v6, v70, 16, 1
	s_delay_alu instid0(VALU_DEP_1)
	v_add3_u32 v6, v70, v6, 0x7fff
; %bb.100:
	s_and_not1_saveexec_b32 s2, s2
; %bb.101:
	v_and_b32_e32 v6, 0xffff, v70
	v_or_b32_e32 v7, 0x10000, v70
	s_delay_alu instid0(VALU_DEP_2) | instskip(NEXT) | instid1(VALU_DEP_2)
	v_cmp_eq_u32_e32 vcc_lo, 0, v6
	v_cndmask_b32_e32 v6, v7, v70, vcc_lo
; %bb.102:
	s_or_b32 exec_lo, exec_lo, s2
	v_and_b32_e32 v7, 0x7f800000, v71
	s_delay_alu instid0(VALU_DEP_1) | instskip(SKIP_1) | instid1(SALU_CYCLE_1)
	v_cmp_ne_u32_e32 vcc_lo, 0x7f800000, v7
                                        ; implicit-def: $vgpr7
	s_and_saveexec_b32 s2, vcc_lo
	s_xor_b32 s2, exec_lo, s2
; %bb.103:
	v_bfe_u32 v7, v71, 16, 1
	s_delay_alu instid0(VALU_DEP_1)
	v_add3_u32 v7, v71, v7, 0x7fff
; %bb.104:
	s_and_not1_saveexec_b32 s2, s2
; %bb.105:
	v_and_b32_e32 v7, 0xffff, v71
	v_or_b32_e32 v8, 0x10000, v71
	s_delay_alu instid0(VALU_DEP_2) | instskip(NEXT) | instid1(VALU_DEP_2)
	v_cmp_eq_u32_e32 vcc_lo, 0, v7
	v_cndmask_b32_e32 v7, v8, v71, vcc_lo
; %bb.106:
	s_or_b32 exec_lo, exec_lo, s2
	v_and_b32_e32 v8, 0x7f800000, v72
	s_delay_alu instid0(VALU_DEP_1) | instskip(SKIP_1) | instid1(SALU_CYCLE_1)
	v_cmp_ne_u32_e32 vcc_lo, 0x7f800000, v8
                                        ; implicit-def: $vgpr8
	s_and_saveexec_b32 s2, vcc_lo
	s_xor_b32 s2, exec_lo, s2
; %bb.107:
	v_bfe_u32 v8, v72, 16, 1
	s_delay_alu instid0(VALU_DEP_1)
	v_add3_u32 v8, v72, v8, 0x7fff
                                        ; implicit-def: $vgpr65_vgpr66_vgpr67_vgpr68_vgpr69_vgpr70_vgpr71_vgpr72
; %bb.108:
	s_and_not1_saveexec_b32 s2, s2
; %bb.109:
	v_and_b32_e32 v8, 0xffff, v72
	v_or_b32_e32 v9, 0x10000, v72
	s_delay_alu instid0(VALU_DEP_2) | instskip(NEXT) | instid1(VALU_DEP_2)
	v_cmp_eq_u32_e32 vcc_lo, 0, v8
	v_cndmask_b32_e32 v8, v9, v72, vcc_lo
; %bb.110:
	s_or_b32 exec_lo, exec_lo, s2
	s_delay_alu instid0(VALU_DEP_1)
	v_perm_b32 v7, v8, v7, 0x7060302
	v_perm_b32 v6, v6, v5, 0x7060302
	;; [unrolled: 1-line block ×4, first 2 shown]
	s_barrier
	buffer_gl0_inv
	v_cmp_eq_u32_e32 vcc_lo, 1, v78
	ds_store_b128 v76, v[4:7]
	s_waitcnt lgkmcnt(0)
	s_barrier
	buffer_gl0_inv
	ds_load_b128 v[1:4], v82
	ds_load_b128 v[5:8], v82 offset:16
	v_cmp_eq_u32_e64 s2, 1, v79
	v_cmp_eq_u32_e64 s3, 2, v78
	;; [unrolled: 1-line block ×5, first 2 shown]
	s_waitcnt lgkmcnt(1)
	v_lshrrev_b32_e32 v9, 16, v1
	s_waitcnt lgkmcnt(0)
	v_lshrrev_b32_e32 v13, 16, v5
	v_lshrrev_b32_e32 v10, 16, v2
	;; [unrolled: 1-line block ×4, first 2 shown]
	v_cndmask_b32_e64 v19, v1, v9, s2
	v_cndmask_b32_e32 v18, v5, v13, vcc_lo
	v_cndmask_b32_e64 v20, v5, v13, s2
	v_cndmask_b32_e32 v17, v1, v9, vcc_lo
	v_cmp_eq_u32_e32 vcc_lo, 2, v79
	v_lshrrev_b32_e32 v15, 16, v7
	v_cmp_eq_u32_e64 s2, 1, v77
	v_lshrrev_b32_e32 v12, 16, v4
	v_lshrrev_b32_e32 v16, 16, v8
	v_cndmask_b32_e32 v20, v20, v6, vcc_lo
	v_cndmask_b32_e64 v17, v17, v2, s3
	v_cndmask_b32_e32 v19, v19, v2, vcc_lo
	v_cndmask_b32_e64 v18, v18, v6, s3
	v_cmp_eq_u32_e32 vcc_lo, 4, v78
	v_cmp_eq_u32_e64 s3, 3, v79
	v_cndmask_b32_e64 v17, v17, v10, s4
	v_cndmask_b32_e64 v21, v1, v9, s2
	;; [unrolled: 1-line block ×5, first 2 shown]
	v_cndmask_b32_e32 v17, v17, v3, vcc_lo
	v_cndmask_b32_e64 v20, v20, v14, s3
	v_cndmask_b32_e32 v18, v18, v7, vcc_lo
	v_cmp_eq_u32_e32 vcc_lo, 4, v79
	v_cmp_eq_u32_e64 s3, 5, v79
	v_cmp_eq_u32_e64 s2, 2, v81
	v_cndmask_b32_e64 v21, v21, v2, s6
	v_cmp_eq_u32_e64 s4, 5, v78
	v_cndmask_b32_e32 v19, v19, v3, vcc_lo
	v_cndmask_b32_e32 v20, v20, v7, vcc_lo
	v_cmp_eq_u32_e32 vcc_lo, 6, v79
	s_delay_alu instid0(VALU_DEP_4) | instskip(NEXT) | instid1(VALU_DEP_4)
	v_cndmask_b32_e64 v17, v17, v11, s4
	v_cndmask_b32_e64 v19, v19, v11, s3
	s_delay_alu instid0(VALU_DEP_4) | instskip(SKIP_1) | instid1(VALU_DEP_3)
	v_cndmask_b32_e64 v20, v20, v15, s3
	v_cmp_eq_u32_e64 s3, 1, v81
	v_cndmask_b32_e32 v19, v19, v4, vcc_lo
	v_cndmask_b32_e64 v18, v18, v15, s4
	s_delay_alu instid0(VALU_DEP_3)
	v_cndmask_b32_e64 v1, v1, v9, s3
	v_cndmask_b32_e64 v5, v5, v13, s3
	v_cmp_eq_u32_e64 s3, 3, v77
	v_cndmask_b32_e64 v13, v22, v6, s6
	v_cmp_eq_u32_e64 s6, 3, v81
	v_cndmask_b32_e64 v1, v1, v2, s2
	v_cndmask_b32_e64 v2, v5, v6, s2
	;; [unrolled: 1-line block ×3, first 2 shown]
	v_cmp_eq_u32_e64 s2, 4, v77
	v_cndmask_b32_e64 v6, v13, v14, s3
	v_cndmask_b32_e64 v1, v1, v10, s6
	v_cmp_eq_u32_e64 s3, 4, v81
	v_cndmask_b32_e64 v2, v2, v14, s6
	v_cndmask_b32_e64 v5, v9, v3, s2
	;; [unrolled: 3-line block ×3, first 2 shown]
	v_cndmask_b32_e64 v2, v2, v7, s3
	v_cmp_eq_u32_e64 s2, 5, v81
	v_cmp_eq_u32_e64 s4, 6, v78
	v_cndmask_b32_e64 v5, v5, v11, s6
	v_cmp_eq_u32_e64 s3, 6, v77
	v_cndmask_b32_e64 v3, v6, v15, s6
	v_cndmask_b32_e64 v1, v1, v11, s2
	v_cmp_eq_u32_e64 s6, 6, v81
	v_cndmask_b32_e64 v2, v2, v15, s2
	v_cndmask_b32_e64 v17, v17, v4, s4
	v_cndmask_b32_e64 v18, v18, v8, s4
	v_cmp_eq_u32_e64 s4, 7, v78
	v_cndmask_b32_e64 v5, v5, v4, s3
	;; [unrolled: 4-line block ×3, first 2 shown]
	v_cmp_eq_u32_e64 s3, 7, v77
	v_cndmask_b32_e32 v4, v20, v8, vcc_lo
	v_cndmask_b32_e64 v17, v17, v12, s4
	v_cndmask_b32_e64 v19, v19, v12, s5
	;; [unrolled: 1-line block ×8, first 2 shown]
	s_mov_b32 s2, exec_lo
	v_perm_b32 v4, v2, v1, 0x5040100
	v_perm_b32 v3, v3, v5, 0x5040100
	;; [unrolled: 1-line block ×4, first 2 shown]
	ds_store_b128 v76, v[1:4]
	s_waitcnt lgkmcnt(0)
	s_barrier
	buffer_gl0_inv
	v_cmpx_gt_u32_e32 32, v0
	s_cbranch_execz .LBB1795_2
; %bb.111:
	s_load_b64 s[0:1], s[0:1], 0x68
	s_lshl_b32 s4, s34, 7
	v_or_b32_e32 v3, s29, v74
	s_mul_i32 s2, s4, s30
	v_lshlrev_b32_e32 v0, 10, v0
	s_mul_i32 s2, s2, s7
	v_lshlrev_b32_e32 v1, 4, v75
	s_ashr_i32 s3, s2, 31
	v_mul_lo_u32 v12, v3, s4
	s_lshl_b64 s[2:3], s[2:3], 1
	v_lshlrev_b32_e32 v2, 6, v74
	v_and_b32_e32 v0, 0x3800, v0
	s_delay_alu instid0(VALU_DEP_1) | instskip(NEXT) | instid1(VALU_DEP_4)
	v_or3_b32 v8, v0, v1, v2
	v_ashrrev_i32_e32 v13, 31, v12
	ds_load_b128 v[0:3], v8
	ds_load_b128 v[4:7], v8 offset:128
	ds_load_b128 v[8:11], v8 offset:256
	s_waitcnt lgkmcnt(0)
	s_add_u32 s2, s0, s2
	s_addc_u32 s3, s1, s3
	s_lshl_b32 s0, s14, 7
	s_delay_alu instid0(SALU_CYCLE_1) | instskip(NEXT) | instid1(SALU_CYCLE_1)
	s_ashr_i32 s1, s0, 31
	s_lshl_b64 s[0:1], s[0:1], 1
	s_delay_alu instid0(SALU_CYCLE_1)
	s_add_u32 s0, s2, s0
	s_addc_u32 s1, s3, s1
	s_lshl_b32 s2, s34, 8
	v_add_co_u32 v18, s0, s0, v73
	v_add_nc_u32_e32 v14, s2, v12
	v_lshlrev_b64 v[12:13], 1, v[12:13]
	v_add_co_ci_u32_e64 v19, null, s1, 0, s0
	s_delay_alu instid0(VALU_DEP_3) | instskip(SKIP_1) | instid1(VALU_DEP_4)
	v_add_nc_u32_e32 v16, s2, v14
	v_ashrrev_i32_e32 v15, 31, v14
	v_add_co_u32 v12, vcc_lo, v18, v12
	s_delay_alu instid0(VALU_DEP_4) | instskip(NEXT) | instid1(VALU_DEP_4)
	v_add_co_ci_u32_e32 v13, vcc_lo, v19, v13, vcc_lo
	v_ashrrev_i32_e32 v17, 31, v16
	s_delay_alu instid0(VALU_DEP_4) | instskip(NEXT) | instid1(VALU_DEP_2)
	v_lshlrev_b64 v[14:15], 1, v[14:15]
	v_lshlrev_b64 v[16:17], 1, v[16:17]
	s_delay_alu instid0(VALU_DEP_2) | instskip(NEXT) | instid1(VALU_DEP_3)
	v_add_co_u32 v14, vcc_lo, v18, v14
	v_add_co_ci_u32_e32 v15, vcc_lo, v19, v15, vcc_lo
	s_delay_alu instid0(VALU_DEP_3) | instskip(NEXT) | instid1(VALU_DEP_4)
	v_add_co_u32 v16, vcc_lo, v18, v16
	v_add_co_ci_u32_e32 v17, vcc_lo, v19, v17, vcc_lo
	s_clause 0x2
	global_store_b128 v[12:13], v[0:3], off
	global_store_b128 v[14:15], v[4:7], off
	;; [unrolled: 1-line block ×3, first 2 shown]
	s_nop 0
	s_sendmsg sendmsg(MSG_DEALLOC_VGPRS)
	s_endpgm
	.section	.rodata,"a",@progbits
	.p2align	6, 0x0
	.amdhsa_kernel _Z39paged_attention_ll4mi_QKV_mfma16_kernelI14__hip_bfloat16hLN4vllm18Fp8KVCacheDataTypeE1EhLi16ELi128ELi256ELb1ELi6EL8MFMAType0EEvPKT_PKT0_S9_ifPKiSB_SB_iPKfiiiPfSE_PS4_PT2_iSD_SD_
		.amdhsa_group_segment_fixed_size 17472
		.amdhsa_private_segment_fixed_size 0
		.amdhsa_kernarg_size 400
		.amdhsa_user_sgpr_count 13
		.amdhsa_user_sgpr_dispatch_ptr 0
		.amdhsa_user_sgpr_queue_ptr 0
		.amdhsa_user_sgpr_kernarg_segment_ptr 1
		.amdhsa_user_sgpr_dispatch_id 0
		.amdhsa_user_sgpr_private_segment_size 0
		.amdhsa_wavefront_size32 1
		.amdhsa_uses_dynamic_stack 0
		.amdhsa_enable_private_segment 0
		.amdhsa_system_sgpr_workgroup_id_x 1
		.amdhsa_system_sgpr_workgroup_id_y 1
		.amdhsa_system_sgpr_workgroup_id_z 1
		.amdhsa_system_sgpr_workgroup_info 0
		.amdhsa_system_vgpr_workitem_id 0
		.amdhsa_next_free_vgpr 140
		.amdhsa_next_free_sgpr 36
		.amdhsa_reserve_vcc 1
		.amdhsa_float_round_mode_32 0
		.amdhsa_float_round_mode_16_64 0
		.amdhsa_float_denorm_mode_32 3
		.amdhsa_float_denorm_mode_16_64 3
		.amdhsa_dx10_clamp 1
		.amdhsa_ieee_mode 1
		.amdhsa_fp16_overflow 0
		.amdhsa_workgroup_processor_mode 1
		.amdhsa_memory_ordered 1
		.amdhsa_forward_progress 0
		.amdhsa_shared_vgpr_count 0
		.amdhsa_exception_fp_ieee_invalid_op 0
		.amdhsa_exception_fp_denorm_src 0
		.amdhsa_exception_fp_ieee_div_zero 0
		.amdhsa_exception_fp_ieee_overflow 0
		.amdhsa_exception_fp_ieee_underflow 0
		.amdhsa_exception_fp_ieee_inexact 0
		.amdhsa_exception_int_div_zero 0
	.end_amdhsa_kernel
	.section	.text._Z39paged_attention_ll4mi_QKV_mfma16_kernelI14__hip_bfloat16hLN4vllm18Fp8KVCacheDataTypeE1EhLi16ELi128ELi256ELb1ELi6EL8MFMAType0EEvPKT_PKT0_S9_ifPKiSB_SB_iPKfiiiPfSE_PS4_PT2_iSD_SD_,"axG",@progbits,_Z39paged_attention_ll4mi_QKV_mfma16_kernelI14__hip_bfloat16hLN4vllm18Fp8KVCacheDataTypeE1EhLi16ELi128ELi256ELb1ELi6EL8MFMAType0EEvPKT_PKT0_S9_ifPKiSB_SB_iPKfiiiPfSE_PS4_PT2_iSD_SD_,comdat
.Lfunc_end1795:
	.size	_Z39paged_attention_ll4mi_QKV_mfma16_kernelI14__hip_bfloat16hLN4vllm18Fp8KVCacheDataTypeE1EhLi16ELi128ELi256ELb1ELi6EL8MFMAType0EEvPKT_PKT0_S9_ifPKiSB_SB_iPKfiiiPfSE_PS4_PT2_iSD_SD_, .Lfunc_end1795-_Z39paged_attention_ll4mi_QKV_mfma16_kernelI14__hip_bfloat16hLN4vllm18Fp8KVCacheDataTypeE1EhLi16ELi128ELi256ELb1ELi6EL8MFMAType0EEvPKT_PKT0_S9_ifPKiSB_SB_iPKfiiiPfSE_PS4_PT2_iSD_SD_
                                        ; -- End function
	.section	.AMDGPU.csdata,"",@progbits
; Kernel info:
; codeLenInByte = 8884
; NumSgprs: 38
; NumVgprs: 140
; ScratchSize: 0
; MemoryBound: 0
; FloatMode: 240
; IeeeMode: 1
; LDSByteSize: 17472 bytes/workgroup (compile time only)
; SGPRBlocks: 4
; VGPRBlocks: 17
; NumSGPRsForWavesPerEU: 38
; NumVGPRsForWavesPerEU: 140
; Occupancy: 10
; WaveLimiterHint : 1
; COMPUTE_PGM_RSRC2:SCRATCH_EN: 0
; COMPUTE_PGM_RSRC2:USER_SGPR: 13
; COMPUTE_PGM_RSRC2:TRAP_HANDLER: 0
; COMPUTE_PGM_RSRC2:TGID_X_EN: 1
; COMPUTE_PGM_RSRC2:TGID_Y_EN: 1
; COMPUTE_PGM_RSRC2:TGID_Z_EN: 1
; COMPUTE_PGM_RSRC2:TIDIG_COMP_CNT: 0
	.section	.text._Z39paged_attention_ll4mi_QKV_mfma16_kernelI14__hip_bfloat16hLN4vllm18Fp8KVCacheDataTypeE1EhLi16ELi128ELi256ELb1ELi7EL8MFMAType0EEvPKT_PKT0_S9_ifPKiSB_SB_iPKfiiiPfSE_PS4_PT2_iSD_SD_,"axG",@progbits,_Z39paged_attention_ll4mi_QKV_mfma16_kernelI14__hip_bfloat16hLN4vllm18Fp8KVCacheDataTypeE1EhLi16ELi128ELi256ELb1ELi7EL8MFMAType0EEvPKT_PKT0_S9_ifPKiSB_SB_iPKfiiiPfSE_PS4_PT2_iSD_SD_,comdat
	.protected	_Z39paged_attention_ll4mi_QKV_mfma16_kernelI14__hip_bfloat16hLN4vllm18Fp8KVCacheDataTypeE1EhLi16ELi128ELi256ELb1ELi7EL8MFMAType0EEvPKT_PKT0_S9_ifPKiSB_SB_iPKfiiiPfSE_PS4_PT2_iSD_SD_ ; -- Begin function _Z39paged_attention_ll4mi_QKV_mfma16_kernelI14__hip_bfloat16hLN4vllm18Fp8KVCacheDataTypeE1EhLi16ELi128ELi256ELb1ELi7EL8MFMAType0EEvPKT_PKT0_S9_ifPKiSB_SB_iPKfiiiPfSE_PS4_PT2_iSD_SD_
	.globl	_Z39paged_attention_ll4mi_QKV_mfma16_kernelI14__hip_bfloat16hLN4vllm18Fp8KVCacheDataTypeE1EhLi16ELi128ELi256ELb1ELi7EL8MFMAType0EEvPKT_PKT0_S9_ifPKiSB_SB_iPKfiiiPfSE_PS4_PT2_iSD_SD_
	.p2align	8
	.type	_Z39paged_attention_ll4mi_QKV_mfma16_kernelI14__hip_bfloat16hLN4vllm18Fp8KVCacheDataTypeE1EhLi16ELi128ELi256ELb1ELi7EL8MFMAType0EEvPKT_PKT0_S9_ifPKiSB_SB_iPKfiiiPfSE_PS4_PT2_iSD_SD_,@function
_Z39paged_attention_ll4mi_QKV_mfma16_kernelI14__hip_bfloat16hLN4vllm18Fp8KVCacheDataTypeE1EhLi16ELi128ELi256ELb1ELi7EL8MFMAType0EEvPKT_PKT0_S9_ifPKiSB_SB_iPKfiiiPfSE_PS4_PT2_iSD_SD_: ; @_Z39paged_attention_ll4mi_QKV_mfma16_kernelI14__hip_bfloat16hLN4vllm18Fp8KVCacheDataTypeE1EhLi16ELi128ELi256ELb1ELi7EL8MFMAType0EEvPKT_PKT0_S9_ifPKiSB_SB_iPKfiiiPfSE_PS4_PT2_iSD_SD_
; %bb.0:
	s_load_b64 s[4:5], s[0:1], 0x30
	s_mov_b32 s30, s13
	s_waitcnt lgkmcnt(0)
	s_cmp_lg_u64 s[4:5], 0
	s_cselect_b32 s13, -1, 0
	s_ashr_i32 s31, s30, 31
	s_cmp_eq_u64 s[4:5], 0
	s_cbranch_scc1 .LBB1796_3
; %bb.1:
	s_lshl_b64 s[2:3], s[30:31], 2
	s_delay_alu instid0(SALU_CYCLE_1) | instskip(SKIP_4) | instid1(SALU_CYCLE_1)
	s_add_u32 s2, s4, s2
	s_addc_u32 s3, s5, s3
	s_load_b64 s[2:3], s[2:3], 0x0
	s_waitcnt lgkmcnt(0)
	s_sub_i32 s2, s3, s2
	s_cmp_eq_u32 s2, 1
	s_cselect_b32 s2, -1, 0
	s_delay_alu instid0(SALU_CYCLE_1)
	s_and_not1_b32 vcc_lo, exec_lo, s2
	s_cbranch_vccz .LBB1796_4
.LBB1796_2:
	s_nop 0
	s_sendmsg sendmsg(MSG_DEALLOC_VGPRS)
	s_endpgm
.LBB1796_3:
.LBB1796_4:
	s_load_b64 s[2:3], s[0:1], 0x28
	s_lshl_b64 s[6:7], s[30:31], 2
	s_waitcnt lgkmcnt(0)
	s_add_u32 s2, s2, s6
	s_addc_u32 s3, s3, s7
	s_lshl_b32 s12, s14, 8
	s_load_b32 s17, s[2:3], 0x0
	s_waitcnt lgkmcnt(0)
	s_cmp_ge_i32 s12, s17
	s_cbranch_scc1 .LBB1796_2
; %bb.5:
	s_clause 0x1
	s_load_b128 s[8:11], s[0:1], 0x8
	s_load_b64 s[2:3], s[0:1], 0x20
	s_and_not1_b32 vcc_lo, exec_lo, s13
	s_cbranch_vccnz .LBB1796_7
; %bb.6:
	s_add_u32 s4, s4, s6
	s_addc_u32 s5, s5, s7
	s_load_b32 s13, s[4:5], 0x0
	s_branch .LBB1796_8
.LBB1796_7:
	s_mov_b32 s13, s30
.LBB1796_8:
	s_load_b128 s[4:7], s[0:1], 0x48
	v_and_b32_e32 v65, 15, v0
	v_lshrrev_b32_e32 v66, 5, v0
	v_bfe_u32 v74, v0, 4, 1
	v_and_b32_e32 v67, 31, v0
	v_and_b32_e32 v75, 1, v0
	v_lshlrev_b32_e32 v2, 3, v65
	s_mul_i32 s31, s15, 7
	v_lshl_or_b32 v1, v66, 1, v74
	s_waitcnt lgkmcnt(0)
	s_mov_b32 s7, exec_lo
	v_lshlrev_b32_e32 v73, 1, v2
	s_delay_alu instid0(VALU_DEP_2)
	v_cmpx_gt_u32_e32 7, v1
	s_cbranch_execz .LBB1796_10
; %bb.9:
	s_load_b64 s[18:19], s[0:1], 0x0
	v_add_lshl_u32 v2, v1, s31, 7
	s_mul_hi_i32 s21, s13, s4
	s_mul_i32 s20, s13, s4
	v_lshlrev_b32_e32 v6, 10, v65
	s_lshl_b64 s[20:21], s[20:21], 1
	v_ashrrev_i32_e32 v3, 31, v2
	v_lshlrev_b32_e32 v1, 6, v1
	v_lshlrev_b32_e32 v7, 10, v75
	v_and_b32_e32 v6, 0x3800, v6
	s_delay_alu instid0(VALU_DEP_4) | instskip(NEXT) | instid1(VALU_DEP_2)
	v_lshlrev_b64 v[2:3], 1, v[2:3]
	v_or3_b32 v1, v6, v7, v1
	s_waitcnt lgkmcnt(0)
	s_add_u32 s4, s18, s20
	s_addc_u32 s13, s19, s21
	s_delay_alu instid0(VALU_DEP_2) | instskip(SKIP_1) | instid1(VALU_DEP_2)
	v_add_co_u32 v2, vcc_lo, s4, v2
	v_add_co_ci_u32_e32 v3, vcc_lo, s13, v3, vcc_lo
	v_add_co_u32 v2, vcc_lo, v2, v73
	s_delay_alu instid0(VALU_DEP_2)
	v_add_co_ci_u32_e32 v3, vcc_lo, 0, v3, vcc_lo
	global_load_b128 v[2:5], v[2:3], off
	s_waitcnt vmcnt(0)
	ds_store_b128 v1, v[2:5]
.LBB1796_10:
	s_or_b32 exec_lo, exec_lo, s7
	v_and_b32_e32 v1, 0xef, v0
	s_add_i32 s4, s17, 15
	s_clause 0x1
	s_load_b32 s7, s[0:1], 0x38
	s_load_b32 s18, s[0:1], 0x1c
	s_ashr_i32 s13, s4, 31
	v_add_nc_u32_e32 v2, s12, v1
	s_lshr_b32 s13, s13, 28
	s_waitcnt lgkmcnt(0)
	s_add_i32 s4, s4, s13
	s_barrier
	v_ashrrev_i32_e32 v1, 31, v2
	s_ashr_i32 s4, s4, 4
	v_cmp_gt_i32_e32 vcc_lo, s17, v2
	s_add_i32 s4, s4, -1
	buffer_gl0_inv
	v_lshrrev_b32_e32 v3, 28, v1
	v_or_b32_e32 v1, 16, v2
	s_mul_i32 s15, s15, s6
	s_delay_alu instid0(VALU_DEP_2) | instskip(SKIP_1) | instid1(SALU_CYCLE_1)
	v_add_nc_u32_e32 v4, v2, v3
	s_mul_i32 s20, s30, s7
	s_ashr_i32 s21, s20, 31
	s_delay_alu instid0(VALU_DEP_1) | instskip(SKIP_2) | instid1(SALU_CYCLE_1)
	v_ashrrev_i32_e32 v4, 4, v4
	v_add_nc_u32_e32 v3, v1, v3
	s_lshl_b64 s[20:21], s[20:21], 2
	s_add_u32 s2, s2, s20
	s_delay_alu instid0(VALU_DEP_2) | instskip(NEXT) | instid1(VALU_DEP_2)
	v_cndmask_b32_e32 v2, s4, v4, vcc_lo
	v_ashrrev_i32_e32 v3, 4, v3
	v_cmp_gt_i32_e32 vcc_lo, s17, v1
	s_addc_u32 s3, s3, s21
	s_ashr_i32 s6, s15, 31
	s_add_u32 s7, s8, s15
	s_addc_u32 s13, s9, s6
	v_cndmask_b32_e32 v4, s4, v3, vcc_lo
	v_ashrrev_i32_e32 v3, 31, v2
	s_lshl_b32 s8, s14, 4
	s_delay_alu instid0(SALU_CYCLE_1) | instskip(NEXT) | instid1(VALU_DEP_2)
	s_ashr_i32 s9, s8, 31
	v_ashrrev_i32_e32 v5, 31, v4
	s_delay_alu instid0(VALU_DEP_2) | instskip(SKIP_1) | instid1(SALU_CYCLE_1)
	v_lshlrev_b64 v[1:2], 2, v[2:3]
	s_lshl_b64 s[8:9], s[8:9], 2
	s_add_u32 s8, s2, s8
	s_delay_alu instid0(VALU_DEP_2) | instskip(SKIP_1) | instid1(VALU_DEP_2)
	v_lshlrev_b64 v[3:4], 2, v[4:5]
	s_addc_u32 s9, s3, s9
	v_add_co_u32 v1, vcc_lo, s2, v1
	v_add_co_ci_u32_e32 v2, vcc_lo, s3, v2, vcc_lo
	s_delay_alu instid0(VALU_DEP_3) | instskip(NEXT) | instid1(VALU_DEP_4)
	v_add_co_u32 v3, vcc_lo, s2, v3
	v_add_co_ci_u32_e32 v4, vcc_lo, s3, v4, vcc_lo
	s_clause 0x1
	global_load_b32 v5, v[1:2], off
	global_load_b32 v3, v[3:4], off
	v_lshlrev_b32_e32 v1, 4, v0
	s_or_b32 s16, s12, 32
	s_delay_alu instid0(SALU_CYCLE_1) | instskip(SKIP_1) | instid1(VALU_DEP_1)
	s_ashr_i32 s19, s16, 4
	s_cmp_lt_i32 s16, s17
	v_and_b32_e32 v1, 0xf0, v1
	s_cselect_b32 s20, s19, s4
	s_delay_alu instid0(SALU_CYCLE_1) | instskip(NEXT) | instid1(SALU_CYCLE_1)
	s_ashr_i32 s21, s20, 31
	s_lshl_b64 s[20:21], s[20:21], 2
	s_delay_alu instid0(VALU_DEP_1)
	v_add_co_u32 v1, s7, s7, v1
	s_add_u32 s20, s2, s20
	s_addc_u32 s21, s3, s21
	s_or_b32 s16, s12, 64
	v_add_co_ci_u32_e64 v2, null, s13, 0, s7
	s_ashr_i32 s19, s16, 4
	s_cmp_lt_i32 s16, s17
	s_cselect_b32 s22, s19, s4
	s_delay_alu instid0(SALU_CYCLE_1) | instskip(NEXT) | instid1(SALU_CYCLE_1)
	s_ashr_i32 s23, s22, 31
	s_lshl_b64 s[22:23], s[22:23], 2
	s_delay_alu instid0(SALU_CYCLE_1) | instskip(SKIP_2) | instid1(SALU_CYCLE_1)
	s_add_u32 s22, s2, s22
	s_addc_u32 s23, s3, s23
	s_or_b32 s16, s12, 0x60
	s_ashr_i32 s19, s16, 4
	s_cmp_lt_i32 s16, s17
	s_cselect_b32 s24, s19, s4
	s_delay_alu instid0(SALU_CYCLE_1) | instskip(NEXT) | instid1(SALU_CYCLE_1)
	s_ashr_i32 s25, s24, 31
	s_lshl_b64 s[24:25], s[24:25], 2
	s_delay_alu instid0(SALU_CYCLE_1) | instskip(SKIP_2) | instid1(SALU_CYCLE_1)
	s_add_u32 s24, s2, s24
	s_addc_u32 s25, s3, s25
	s_or_b32 s16, s12, 0x80
	;; [unrolled: 10-line block ×3, first 2 shown]
	s_ashr_i32 s19, s16, 4
	s_cmp_lt_i32 s16, s17
	s_cselect_b32 s28, s19, s4
	s_delay_alu instid0(SALU_CYCLE_1) | instskip(NEXT) | instid1(SALU_CYCLE_1)
	s_ashr_i32 s29, s28, 31
	s_lshl_b64 s[28:29], s[28:29], 2
	s_delay_alu instid0(SALU_CYCLE_1)
	s_add_u32 s28, s2, s28
	s_addc_u32 s29, s3, s29
	s_clause 0x5
	s_load_b32 s7, s[8:9], 0x0
	s_load_b32 s13, s[20:21], 0x0
	s_load_b32 s16, s[22:23], 0x0
	s_load_b32 s19, s[24:25], 0x0
	s_load_b32 s33, s[26:27], 0x0
	s_load_b32 s28, s[28:29], 0x0
	s_or_b32 s8, s12, 0xc0
	s_mov_b32 s20, 0
	s_ashr_i32 s9, s8, 4
	s_cmp_lt_i32 s8, s17
	s_mov_b32 s27, s20
	s_cselect_b32 s8, s9, s4
	s_mov_b32 s21, s20
	s_ashr_i32 s9, s8, 31
	s_mov_b32 s22, s20
	s_lshl_b64 s[8:9], s[8:9], 2
	s_mov_b32 s23, s20
	s_mov_b32 s24, s20
	;; [unrolled: 1-line block ×4, first 2 shown]
	v_dual_mov_b32 v107, s27 :: v_dual_mov_b32 v104, s24
	s_add_u32 s8, s2, s8
	v_dual_mov_b32 v106, s26 :: v_dual_mov_b32 v105, s25
	v_dual_mov_b32 v101, s21 :: v_dual_mov_b32 v100, s20
	s_addc_u32 s9, s3, s9
	v_dual_mov_b32 v103, s23 :: v_dual_mov_b32 v102, s22
	s_or_b32 s20, s12, 0xe0
	s_delay_alu instid0(SALU_CYCLE_1) | instskip(SKIP_2) | instid1(SALU_CYCLE_1)
	s_ashr_i32 s21, s20, 4
	s_cmp_lt_i32 s20, s17
	s_cselect_b32 s20, s21, s4
	s_ashr_i32 s21, s20, 31
	s_delay_alu instid0(SALU_CYCLE_1) | instskip(NEXT) | instid1(SALU_CYCLE_1)
	s_lshl_b64 s[20:21], s[20:21], 2
	s_add_u32 s2, s2, s20
	s_addc_u32 s3, s3, s21
	s_waitcnt vmcnt(1)
	v_mad_i64_i32 v[25:26], null, v5, s5, v[1:2]
	s_waitcnt vmcnt(0)
	v_mad_i64_i32 v[27:28], null, v3, s5, v[1:2]
	s_clause 0xf
	global_load_b128 v[1:4], v[25:26], off
	global_load_b128 v[5:8], v[25:26], off offset:256
	global_load_b128 v[9:12], v[27:28], off
	global_load_b128 v[13:16], v[27:28], off offset:256
	global_load_b128 v[17:20], v[25:26], off offset:512
	;; [unrolled: 1-line block ×13, first 2 shown]
	v_mul_lo_u16 v25, v65, 37
	v_lshlrev_b32_e32 v26, 4, v65
	s_delay_alu instid0(VALU_DEP_2) | instskip(NEXT) | instid1(VALU_DEP_2)
	v_lshrrev_b16 v25, 8, v25
	v_lshl_or_b32 v33, v66, 8, v26
	s_delay_alu instid0(VALU_DEP_2) | instskip(NEXT) | instid1(VALU_DEP_1)
	v_mul_lo_u16 v25, v25, 7
	v_sub_nc_u16 v25, v65, v25
	s_delay_alu instid0(VALU_DEP_1) | instskip(NEXT) | instid1(VALU_DEP_1)
	v_and_b32_e32 v25, 0xff, v25
	v_lshlrev_b32_e32 v72, 6, v25
	ds_load_b128 v[25:28], v72
	ds_load_b128 v[29:32], v72 offset:1024
	ds_load_b128 v[108:111], v72 offset:2048
	;; [unrolled: 1-line block ×3, first 2 shown]
	s_load_b32 s4, s[8:9], 0x0
	ds_load_b128 v[116:119], v72 offset:4096
	ds_load_b128 v[120:123], v72 offset:5120
	s_load_b32 s2, s[2:3], 0x0
	s_add_u32 s8, s10, s15
	s_addc_u32 s6, s11, s6
	v_add_co_u32 v68, s8, s8, v33
	s_delay_alu instid0(VALU_DEP_1) | instskip(SKIP_1) | instid1(VALU_DEP_1)
	v_add_co_ci_u32_e64 v69, null, s6, 0, s8
	s_waitcnt lgkmcnt(0)
	v_mad_i64_i32 v[33:34], null, s7, s5, v[68:69]
	v_mad_i64_i32 v[70:71], null, s16, s5, v[68:69]
	;; [unrolled: 1-line block ×7, first 2 shown]
	s_clause 0x3
	global_load_b128 v[41:44], v[33:34], off
	global_load_b128 v[45:48], v[33:34], off offset:16
	global_load_b128 v[33:36], v[37:38], off
	global_load_b128 v[37:40], v[37:38], off offset:16
	s_waitcnt vmcnt(18)
	v_wmma_f32_16x16x16_bf16 v[124:131], v[1:8], v[25:32], v[100:107]
	s_waitcnt vmcnt(16)
	v_wmma_f32_16x16x16_bf16 v[100:107], v[9:16], v[25:32], v[100:107]
	s_clause 0x1
	global_load_b128 v[25:28], v[70:71], off
	global_load_b128 v[29:32], v[70:71], off offset:16
	s_waitcnt vmcnt(16)
	v_wmma_f32_16x16x16_bf16 v[124:131], v[17:24], v[108:115], v[124:131]
	s_clause 0x1
	global_load_b128 v[17:20], v[132:133], off
	global_load_b128 v[21:24], v[132:133], off offset:16
	s_waitcnt vmcnt(16)
	v_wmma_f32_16x16x16_bf16 v[100:107], v[49:56], v[108:115], v[100:107]
	v_mad_i64_i32 v[53:54], null, s2, s5, v[68:69]
	s_clause 0x3
	global_load_b128 v[1:4], v[134:135], off
	global_load_b128 v[5:8], v[134:135], off offset:16
	global_load_b128 v[9:12], v[136:137], off
	global_load_b128 v[13:16], v[136:137], off offset:16
	s_waitcnt vmcnt(18)
	v_wmma_f32_16x16x16_bf16 v[124:131], v[57:64], v[116:123], v[124:131]
	s_clause 0x3
	global_load_b128 v[57:60], v[138:139], off
	global_load_b128 v[61:64], v[138:139], off offset:16
	global_load_b128 v[49:52], v[53:54], off
	global_load_b128 v[53:56], v[53:54], off offset:16
	v_mbcnt_lo_u32_b32 v69, -1, 0
	s_waitcnt vmcnt(20)
	v_wmma_f32_16x16x16_bf16 v[100:107], v[76:83], v[116:123], v[100:107]
	s_delay_alu instid0(VALU_DEP_2) | instskip(NEXT) | instid1(VALU_DEP_1)
	v_xor_b32_e32 v70, 16, v69
	v_cmp_gt_i32_e32 vcc_lo, 32, v70
	v_cndmask_b32_e32 v69, v69, v70, vcc_lo
	ds_load_b128 v[76:79], v72 offset:6144
	ds_load_b128 v[80:83], v72 offset:7168
	s_waitcnt vmcnt(0) lgkmcnt(0)
	s_barrier
	buffer_gl0_inv
	v_wmma_f32_16x16x16_bf16 v[124:131], v[84:91], v[76:83], v[124:131]
	v_and_b32_e32 v68, 0xe0, v0
	v_wmma_f32_16x16x16_bf16 v[100:107], v[92:99], v[76:83], v[100:107]
	s_delay_alu instid0(VALU_DEP_2) | instskip(NEXT) | instid1(VALU_DEP_4)
	v_dual_mul_f32 v79, s18, v127 :: v_dual_add_nc_u32 v68, s12, v68
	v_mul_f32_e32 v81, s18, v129
	v_dual_mul_f32 v78, s18, v125 :: v_dual_mul_f32 v83, s18, v131
	s_delay_alu instid0(VALU_DEP_4) | instskip(NEXT) | instid1(VALU_DEP_4)
	v_dual_mul_f32 v80, s18, v126 :: v_dual_mul_f32 v95, s18, v103
	v_or_b32_e32 v68, v68, v74
	v_dual_mul_f32 v93, s18, v101 :: v_dual_mul_f32 v82, s18, v128
	v_dual_mul_f32 v97, s18, v105 :: v_dual_mul_f32 v92, s18, v130
	v_mul_f32_e32 v99, s18, v107
	s_delay_alu instid0(VALU_DEP_4)
	v_or_b32_e32 v70, 2, v68
	v_or_b32_e32 v71, 4, v68
	v_or_b32_e32 v72, 6, v68
	v_cmp_gt_i32_e64 s2, s17, v68
	v_or_b32_e32 v108, 8, v68
	v_cmp_gt_i32_e32 vcc_lo, s17, v70
	v_mul_f32_e32 v70, s18, v124
	v_or_b32_e32 v109, 10, v68
	v_cmp_gt_i32_e64 s3, s17, v71
	v_cmp_gt_i32_e64 s4, s17, v72
	v_cndmask_b32_e32 v78, 0xff7fffff, v78, vcc_lo
	v_cndmask_b32_e64 v70, 0xff7fffff, v70, s2
	v_or_b32_e32 v84, 12, v68
	v_or_b32_e32 v85, 14, v68
	v_cndmask_b32_e64 v71, 0xff7fffff, v80, s3
	v_cndmask_b32_e64 v72, 0xff7fffff, v79, s4
	v_max3_f32 v70, v70, 0xff7fffff, v78
	v_cmp_gt_i32_e64 s5, s17, v108
	v_cmp_gt_i32_e64 s6, s17, v109
	v_or_b32_e32 v86, 16, v68
	v_or_b32_e32 v87, 18, v68
	v_max3_f32 v70, v70, v71, v72
	v_cndmask_b32_e64 v78, 0xff7fffff, v82, s5
	v_cndmask_b32_e64 v79, 0xff7fffff, v81, s6
	v_cmp_gt_i32_e64 s7, s17, v84
	v_cmp_gt_i32_e64 s8, s17, v85
	v_or_b32_e32 v88, 20, v68
	v_or_b32_e32 v89, 22, v68
	v_mul_f32_e32 v94, s18, v100
	v_cndmask_b32_e64 v71, 0xff7fffff, v92, s7
	v_cndmask_b32_e64 v72, 0xff7fffff, v83, s8
	v_max3_f32 v70, v70, v78, v79
	v_cmp_gt_i32_e64 s9, s17, v86
	v_cmp_gt_i32_e64 s10, s17, v87
	v_or_b32_e32 v90, 24, v68
	v_or_b32_e32 v91, 26, v68
	v_mul_f32_e32 v96, s18, v102
	v_max3_f32 v70, v70, v71, v72
	v_cndmask_b32_e64 v79, 0xff7fffff, v93, s10
	v_cmp_gt_i32_e64 s11, s17, v88
	v_cmp_gt_i32_e64 s12, s17, v89
	v_lshlrev_b32_e32 v89, 2, v69
	v_cndmask_b32_e64 v78, 0xff7fffff, v94, s9
	v_or_b32_e32 v76, 28, v68
	v_or_b32_e32 v77, 30, v68
	v_mul_f32_e32 v98, s18, v104
	v_cndmask_b32_e64 v71, 0xff7fffff, v96, s11
	v_cndmask_b32_e64 v72, 0xff7fffff, v95, s12
	v_max3_f32 v70, v70, v78, v79
	v_cmp_gt_i32_e64 s13, s17, v90
	v_cmp_gt_i32_e64 s15, s17, v91
	v_mul_f32_e32 v68, s18, v106
	v_cmp_gt_i32_e64 s16, s17, v76
	v_max3_f32 v70, v70, v71, v72
	v_cndmask_b32_e64 v78, 0xff7fffff, v98, s13
	v_cndmask_b32_e64 v79, 0xff7fffff, v97, s15
	v_cmp_gt_i32_e64 s17, s17, v77
	v_cndmask_b32_e64 v68, 0xff7fffff, v68, s16
	s_delay_alu instid0(VALU_DEP_3) | instskip(NEXT) | instid1(VALU_DEP_3)
	v_max3_f32 v70, v70, v78, v79
	v_cndmask_b32_e64 v71, 0xff7fffff, v99, s17
	s_delay_alu instid0(VALU_DEP_1) | instskip(SKIP_3) | instid1(VALU_DEP_1)
	v_max3_f32 v68, v70, v68, v71
	ds_bpermute_b32 v69, v89, v68
	s_waitcnt lgkmcnt(0)
	v_max_f32_e32 v69, v69, v69
	v_max_f32_e32 v68, v68, v69
	s_delay_alu instid0(VALU_DEP_1) | instskip(NEXT) | instid1(VALU_DEP_1)
	v_fma_f32 v76, s18, v128, -v68
	v_mul_f32_e32 v77, 0x3fb8aa3b, v76
	v_fma_f32 v71, s18, v126, -v68
	v_fma_f32 v69, s18, v124, -v68
	;; [unrolled: 1-line block ×4, first 2 shown]
	v_exp_f32_e32 v77, v77
	v_mul_f32_e32 v71, 0x3fb8aa3b, v71
	v_mul_f32_e32 v69, 0x3fb8aa3b, v69
	v_fma_f32 v81, s18, v105, -v68
	v_fma_f32 v78, s18, v130, -v68
	s_delay_alu instid0(VALU_DEP_4) | instskip(NEXT) | instid1(VALU_DEP_3)
	v_exp_f32_e32 v71, v71
	v_exp_f32_e32 v69, v69
	s_delay_alu instid0(VALU_DEP_2) | instskip(NEXT) | instid1(TRANS32_DEP_3)
	v_mul_f32_e32 v81, 0x3fb8aa3b, v81
	v_cndmask_b32_e64 v86, 0, v77, s5
	v_fma_f32 v77, s18, v101, -v68
	s_delay_alu instid0(VALU_DEP_3) | instskip(NEXT) | instid1(TRANS32_DEP_3)
	v_exp_f32_e32 v81, v81
	v_cndmask_b32_e64 v83, 0, v71, s3
	v_fma_f32 v71, s18, v131, -v68
	v_mul_f32_e32 v72, 0x3fb8aa3b, v72
	s_delay_alu instid0(TRANS32_DEP_2) | instskip(SKIP_1) | instid1(VALU_DEP_4)
	v_cndmask_b32_e64 v80, 0, v69, s2
	v_fma_f32 v69, s18, v129, -v68
	v_dual_mul_f32 v70, 0x3fb8aa3b, v70 :: v_dual_mul_f32 v71, 0x3fb8aa3b, v71
	s_delay_alu instid0(VALU_DEP_4) | instskip(SKIP_1) | instid1(VALU_DEP_3)
	v_exp_f32_e32 v72, v72
	v_mul_f32_e32 v77, 0x3fb8aa3b, v77
	v_mul_f32_e32 v69, 0x3fb8aa3b, v69
	s_delay_alu instid0(VALU_DEP_3)
	v_exp_f32_e32 v70, v70
	v_exp_f32_e32 v71, v71
	v_cmp_gt_u32_e64 s2, 16, v67
	v_exp_f32_e32 v77, v77
	v_exp_f32_e32 v69, v69
	v_cndmask_b32_e64 v85, 0, v72, s4
	v_fma_f32 v72, s18, v100, -v68
	v_cndmask_b32_e32 v76, 0, v70, vcc_lo
	s_delay_alu instid0(TRANS32_DEP_3) | instskip(SKIP_2) | instid1(TRANS32_DEP_1)
	v_cndmask_b32_e64 v88, 0, v71, s8
	v_fma_f32 v71, s18, v104, -v68
	v_add_f32_e32 v70, 0, v80
	v_cndmask_b32_e64 v87, 0, v69, s6
	s_delay_alu instid0(VALU_DEP_2) | instskip(NEXT) | instid1(VALU_DEP_1)
	v_dual_mul_f32 v71, 0x3fb8aa3b, v71 :: v_dual_add_f32 v70, v70, v76
	v_exp_f32_e32 v82, v71
	s_delay_alu instid0(VALU_DEP_1) | instskip(NEXT) | instid1(VALU_DEP_1)
	v_add_f32_e32 v70, v70, v83
	v_add_f32_e32 v70, v70, v85
	s_delay_alu instid0(VALU_DEP_1) | instskip(SKIP_1) | instid1(VALU_DEP_2)
	v_dual_mul_f32 v72, 0x3fb8aa3b, v72 :: v_dual_add_f32 v69, v70, v86
	v_fma_f32 v70, s18, v102, -v68
	v_exp_f32_e32 v72, v72
	s_delay_alu instid0(VALU_DEP_2) | instskip(NEXT) | instid1(VALU_DEP_2)
	v_dual_add_f32 v69, v69, v87 :: v_dual_mul_f32 v78, 0x3fb8aa3b, v78
	v_mul_f32_e32 v70, 0x3fb8aa3b, v70
	s_delay_alu instid0(VALU_DEP_2) | instskip(NEXT) | instid1(VALU_DEP_1)
	v_exp_f32_e32 v78, v78
	v_exp_f32_e32 v79, v70
	s_delay_alu instid0(TRANS32_DEP_3) | instskip(SKIP_4) | instid1(VALU_DEP_3)
	v_cndmask_b32_e64 v70, 0, v72, s9
	s_waitcnt_depctr 0xfff
	v_cndmask_b32_e64 v84, 0, v78, s7
	v_fma_f32 v78, s18, v103, -v68
	v_cndmask_b32_e64 v71, 0, v79, s11
	v_add_f32_e32 v69, v69, v84
	s_delay_alu instid0(VALU_DEP_1) | instskip(SKIP_2) | instid1(VALU_DEP_1)
	v_add_f32_e32 v72, v69, v88
	v_cndmask_b32_e64 v69, 0, v77, s10
	v_fma_f32 v77, s18, v106, -v68
	v_dual_add_f32 v72, v72, v70 :: v_dual_mul_f32 v77, 0x3fb8aa3b, v77
	s_delay_alu instid0(VALU_DEP_1) | instskip(NEXT) | instid1(VALU_DEP_2)
	v_add_f32_e32 v79, v72, v69
	v_exp_f32_e32 v90, v77
	v_cndmask_b32_e64 v77, 0, v82, s13
	v_mul_f32_e32 v78, 0x3fb8aa3b, v78
	s_delay_alu instid0(VALU_DEP_1) | instskip(SKIP_4) | instid1(VALU_DEP_1)
	v_exp_f32_e32 v78, v78
	s_waitcnt_depctr 0xfff
	v_cndmask_b32_e64 v72, 0, v78, s12
	v_add_f32_e32 v78, v79, v71
	v_fma_f32 v79, s18, v107, -v68
	v_dual_add_f32 v82, v78, v72 :: v_dual_mul_f32 v79, 0x3fb8aa3b, v79
	v_cndmask_b32_e64 v78, 0, v81, s15
	s_delay_alu instid0(VALU_DEP_2) | instskip(NEXT) | instid1(VALU_DEP_3)
	v_add_f32_e32 v81, v82, v77
	v_exp_f32_e32 v82, v79
	v_cndmask_b32_e64 v79, 0, v90, s16
	s_delay_alu instid0(VALU_DEP_2) | instskip(NEXT) | instid1(VALU_DEP_1)
	v_add_f32_e32 v81, v81, v78
	v_add_f32_e32 v90, v81, v79
	s_waitcnt_depctr 0xfff
	v_cndmask_b32_e64 v81, 0, v82, s17
	s_delay_alu instid0(VALU_DEP_1)
	v_add_f32_e32 v82, v90, v81
	ds_bpermute_b32 v89, v89, v82
	s_and_saveexec_b32 s3, s2
	s_cbranch_execz .LBB1796_12
; %bb.11:
	v_mul_u32_u24_e32 v67, 0x44, v66
	s_delay_alu instid0(VALU_DEP_1) | instskip(SKIP_1) | instid1(VALU_DEP_1)
	v_lshl_add_u32 v67, v65, 2, v67
	s_waitcnt lgkmcnt(0)
	v_dual_add_f32 v82, v82, v89 :: v_dual_add_nc_u32 v67, 0x4000, v67
	ds_store_2addr_b32 v67, v68, v82 offset1:136
.LBB1796_12:
	s_or_b32 exec_lo, exec_lo, s3
	v_lshlrev_b32_e32 v67, 2, v65
	s_waitcnt lgkmcnt(0)
	s_barrier
	buffer_gl0_inv
	v_cmp_eq_u32_e32 vcc_lo, 1, v66
	v_add_nc_u32_e32 v82, 0x4000, v67
	v_cmp_eq_u32_e64 s3, 2, v66
	v_cmp_eq_u32_e64 s5, 7, v66
	ds_load_2addr_b32 v[89:90], v82 offset1:17
	ds_load_2addr_b32 v[91:92], v82 offset0:34 offset1:51
	ds_load_2addr_b32 v[93:94], v82 offset0:68 offset1:85
	ds_load_2addr_b32 v[95:96], v82 offset0:102 offset1:119
	ds_load_2addr_b32 v[97:98], v82 offset0:136 offset1:153
	s_waitcnt lgkmcnt(4)
	v_max3_f32 v67, v89, 0xff7fffff, v90
	s_waitcnt lgkmcnt(3)
	s_delay_alu instid0(VALU_DEP_1) | instskip(SKIP_1) | instid1(VALU_DEP_1)
	v_max3_f32 v67, v67, v91, v92
	s_waitcnt lgkmcnt(2)
	v_max3_f32 v67, v67, v93, v94
	s_waitcnt lgkmcnt(1)
	s_delay_alu instid0(VALU_DEP_1) | instskip(NEXT) | instid1(VALU_DEP_1)
	v_max3_f32 v67, v67, v95, v96
	v_sub_f32_e32 v93, v93, v67
	s_delay_alu instid0(VALU_DEP_1) | instskip(NEXT) | instid1(VALU_DEP_1)
	v_dual_sub_f32 v68, v89, v67 :: v_dual_mul_f32 v103, 0x3fb8aa3b, v93
	v_mul_f32_e32 v68, 0x3fb8aa3b, v68
	s_delay_alu instid0(VALU_DEP_1)
	v_exp_f32_e32 v100, v68
	v_sub_f32_e32 v68, v92, v67
	v_sub_f32_e32 v99, v90, v67
	ds_load_2addr_b32 v[89:90], v82 offset0:170 offset1:187
	v_dual_mul_f32 v102, 0x3fb8aa3b, v68 :: v_dual_mul_f32 v99, 0x3fb8aa3b, v99
	s_waitcnt lgkmcnt(1)
	v_fma_f32 v68, v100, v97, 0
	s_delay_alu instid0(VALU_DEP_2) | instskip(NEXT) | instid1(VALU_DEP_2)
	v_exp_f32_e32 v102, v102
	v_exp_f32_e32 v99, v99
	s_waitcnt_depctr 0xfff
	v_fmac_f32_e32 v68, v99, v98
	v_sub_f32_e32 v91, v91, v67
	s_delay_alu instid0(VALU_DEP_1)
	v_mul_f32_e32 v101, 0x3fb8aa3b, v91
	ds_load_2addr_b32 v[91:92], v82 offset0:204 offset1:221
	v_sub_f32_e32 v97, v94, v67
	ds_load_2addr_b32 v[93:94], v82 offset0:238 offset1:255
	s_waitcnt lgkmcnt(0)
	v_exp_f32_e32 v101, v101
	s_barrier
	buffer_gl0_inv
	v_dual_fmac_f32 v68, v101, v89 :: v_dual_sub_f32 v89, v96, v67
	v_dual_sub_f32 v82, v95, v67 :: v_dual_mul_f32 v95, 0x3fb8aa3b, v97
	v_exp_f32_e32 v97, v103
	s_delay_alu instid0(VALU_DEP_2) | instskip(NEXT) | instid1(VALU_DEP_2)
	v_dual_fmac_f32 v68, v102, v90 :: v_dual_mul_f32 v89, 0x3fb8aa3b, v89
	v_mul_f32_e32 v82, 0x3fb8aa3b, v82
	s_delay_alu instid0(VALU_DEP_3) | instskip(NEXT) | instid1(VALU_DEP_2)
	v_exp_f32_e32 v95, v95
	v_exp_f32_e32 v89, v89
	s_delay_alu instid0(VALU_DEP_1)
	v_exp_f32_e32 v82, v82
	v_fmac_f32_e32 v68, v97, v91
	s_delay_alu instid0(TRANS32_DEP_3) | instid1(VALU_DEP_1)
	v_fmac_f32_e32 v68, v95, v92
	s_waitcnt_depctr 0xfff
	v_fmac_f32_e32 v68, v82, v93
	s_delay_alu instid0(VALU_DEP_1) | instskip(NEXT) | instid1(VALU_DEP_1)
	v_fmac_f32_e32 v68, v89, v94
	v_add_f32_e32 v90, 0x358637bd, v68
	s_delay_alu instid0(VALU_DEP_1) | instskip(NEXT) | instid1(VALU_DEP_1)
	v_div_scale_f32 v91, null, v90, v90, 1.0
	v_rcp_f32_e32 v92, v91
	s_waitcnt_depctr 0xfff
	v_fma_f32 v93, -v91, v92, 1.0
	s_delay_alu instid0(VALU_DEP_1) | instskip(SKIP_1) | instid1(VALU_DEP_2)
	v_dual_fmac_f32 v92, v93, v92 :: v_dual_cndmask_b32 v93, v100, v99
	v_cmp_eq_u32_e32 vcc_lo, 3, v66
	v_cndmask_b32_e64 v93, v93, v101, s3
	v_cmp_eq_u32_e64 s3, 4, v66
	s_delay_alu instid0(VALU_DEP_2) | instskip(SKIP_1) | instid1(VALU_DEP_2)
	v_cndmask_b32_e32 v93, v93, v102, vcc_lo
	v_cmp_eq_u32_e32 vcc_lo, 5, v66
	v_cndmask_b32_e64 v93, v93, v97, s3
	v_cmp_eq_u32_e64 s3, 6, v66
	s_delay_alu instid0(VALU_DEP_2) | instskip(SKIP_1) | instid1(VALU_DEP_1)
	v_cndmask_b32_e32 v93, v93, v95, vcc_lo
	v_div_scale_f32 v94, s4, 1.0, v90, 1.0
	s_mov_b32 vcc_lo, s4
	s_delay_alu instid0(VALU_DEP_2) | instskip(NEXT) | instid1(VALU_DEP_2)
	v_cndmask_b32_e64 v82, v93, v82, s3
	v_mul_f32_e32 v96, v94, v92
	s_mov_b32 s3, exec_lo
	s_delay_alu instid0(VALU_DEP_2) | instskip(NEXT) | instid1(VALU_DEP_2)
	v_cndmask_b32_e64 v82, v82, v89, s5
	v_fma_f32 v98, -v91, v96, v94
	s_delay_alu instid0(VALU_DEP_1) | instskip(NEXT) | instid1(VALU_DEP_1)
	v_fmac_f32_e32 v96, v98, v92
	v_fma_f32 v91, -v91, v96, v94
	s_delay_alu instid0(VALU_DEP_1) | instskip(NEXT) | instid1(VALU_DEP_1)
	v_div_fmas_f32 v91, v91, v92, v96
	v_div_fixup_f32 v90, v91, v90, 1.0
	s_delay_alu instid0(VALU_DEP_1) | instskip(NEXT) | instid1(VALU_DEP_1)
	v_mul_f32_e32 v82, v82, v90
	v_mul_f32_e32 v87, v82, v87
	v_mul_f32_e32 v90, v82, v80
	v_mul_f32_e32 v80, v82, v88
	v_mul_f32_e32 v84, v82, v84
	v_mul_f32_e32 v88, v82, v86
	v_mul_f32_e32 v89, v82, v85
	v_dual_mul_f32 v86, v82, v83 :: v_dual_and_b32 v91, 0x7f800000, v90
	v_mul_f32_e32 v85, v82, v76
                                        ; implicit-def: $vgpr76
	s_delay_alu instid0(VALU_DEP_2)
	v_cmpx_ne_u32_e32 0x7f800000, v91
	s_xor_b32 s3, exec_lo, s3
; %bb.13:
	v_bfe_u32 v76, v90, 16, 1
	s_delay_alu instid0(VALU_DEP_1)
	v_add3_u32 v76, v90, v76, 0x7fff
                                        ; implicit-def: $vgpr90
; %bb.14:
	s_and_not1_saveexec_b32 s3, s3
; %bb.15:
	v_and_b32_e32 v76, 0xffff, v90
	v_or_b32_e32 v83, 0x10000, v90
	s_delay_alu instid0(VALU_DEP_2) | instskip(NEXT) | instid1(VALU_DEP_2)
	v_cmp_eq_u32_e32 vcc_lo, 0, v76
	v_cndmask_b32_e32 v76, v83, v90, vcc_lo
; %bb.16:
	s_or_b32 exec_lo, exec_lo, s3
	v_and_b32_e32 v83, 0x7f800000, v85
	s_delay_alu instid0(VALU_DEP_1) | instskip(SKIP_1) | instid1(SALU_CYCLE_1)
	v_cmp_ne_u32_e32 vcc_lo, 0x7f800000, v83
                                        ; implicit-def: $vgpr83
	s_and_saveexec_b32 s3, vcc_lo
	s_xor_b32 s3, exec_lo, s3
; %bb.17:
	v_bfe_u32 v83, v85, 16, 1
	s_delay_alu instid0(VALU_DEP_1)
	v_add3_u32 v83, v85, v83, 0x7fff
                                        ; implicit-def: $vgpr85
; %bb.18:
	s_and_not1_saveexec_b32 s3, s3
; %bb.19:
	v_and_b32_e32 v83, 0xffff, v85
	v_or_b32_e32 v90, 0x10000, v85
	s_delay_alu instid0(VALU_DEP_2) | instskip(NEXT) | instid1(VALU_DEP_2)
	v_cmp_eq_u32_e32 vcc_lo, 0, v83
	v_cndmask_b32_e32 v83, v90, v85, vcc_lo
; %bb.20:
	s_or_b32 exec_lo, exec_lo, s3
	v_and_b32_e32 v85, 0x7f800000, v86
	s_delay_alu instid0(VALU_DEP_1) | instskip(SKIP_1) | instid1(SALU_CYCLE_1)
	v_cmp_ne_u32_e32 vcc_lo, 0x7f800000, v85
                                        ; implicit-def: $vgpr85
	s_and_saveexec_b32 s3, vcc_lo
	s_xor_b32 s3, exec_lo, s3
; %bb.21:
	v_bfe_u32 v85, v86, 16, 1
	s_delay_alu instid0(VALU_DEP_1)
	v_add3_u32 v85, v86, v85, 0x7fff
                                        ; implicit-def: $vgpr86
; %bb.22:
	s_and_not1_saveexec_b32 s3, s3
; %bb.23:
	v_and_b32_e32 v85, 0xffff, v86
	v_or_b32_e32 v90, 0x10000, v86
	s_delay_alu instid0(VALU_DEP_2) | instskip(NEXT) | instid1(VALU_DEP_2)
	v_cmp_eq_u32_e32 vcc_lo, 0, v85
	v_cndmask_b32_e32 v85, v90, v86, vcc_lo
; %bb.24:
	s_or_b32 exec_lo, exec_lo, s3
	v_and_b32_e32 v86, 0x7f800000, v89
	s_delay_alu instid0(VALU_DEP_1) | instskip(SKIP_1) | instid1(SALU_CYCLE_1)
	v_cmp_ne_u32_e32 vcc_lo, 0x7f800000, v86
                                        ; implicit-def: $vgpr86
	s_and_saveexec_b32 s3, vcc_lo
	s_xor_b32 s3, exec_lo, s3
; %bb.25:
	v_bfe_u32 v86, v89, 16, 1
	s_delay_alu instid0(VALU_DEP_1)
	v_add3_u32 v86, v89, v86, 0x7fff
                                        ; implicit-def: $vgpr89
; %bb.26:
	s_and_not1_saveexec_b32 s3, s3
; %bb.27:
	v_and_b32_e32 v86, 0xffff, v89
	v_or_b32_e32 v90, 0x10000, v89
	s_delay_alu instid0(VALU_DEP_2) | instskip(NEXT) | instid1(VALU_DEP_2)
	v_cmp_eq_u32_e32 vcc_lo, 0, v86
	v_cndmask_b32_e32 v86, v90, v89, vcc_lo
; %bb.28:
	s_or_b32 exec_lo, exec_lo, s3
	v_and_b32_e32 v89, 0x7f800000, v88
	s_delay_alu instid0(VALU_DEP_1) | instskip(SKIP_1) | instid1(SALU_CYCLE_1)
	v_cmp_ne_u32_e32 vcc_lo, 0x7f800000, v89
                                        ; implicit-def: $vgpr89
	s_and_saveexec_b32 s3, vcc_lo
	s_xor_b32 s3, exec_lo, s3
; %bb.29:
	v_bfe_u32 v89, v88, 16, 1
	s_delay_alu instid0(VALU_DEP_1)
	v_add3_u32 v89, v88, v89, 0x7fff
                                        ; implicit-def: $vgpr88
; %bb.30:
	s_and_not1_saveexec_b32 s3, s3
; %bb.31:
	v_and_b32_e32 v89, 0xffff, v88
	v_or_b32_e32 v90, 0x10000, v88
	s_delay_alu instid0(VALU_DEP_2) | instskip(NEXT) | instid1(VALU_DEP_2)
	v_cmp_eq_u32_e32 vcc_lo, 0, v89
	v_cndmask_b32_e32 v89, v90, v88, vcc_lo
; %bb.32:
	s_or_b32 exec_lo, exec_lo, s3
	v_and_b32_e32 v88, 0x7f800000, v87
	s_delay_alu instid0(VALU_DEP_1) | instskip(SKIP_1) | instid1(SALU_CYCLE_1)
	v_cmp_ne_u32_e32 vcc_lo, 0x7f800000, v88
                                        ; implicit-def: $vgpr88
	s_and_saveexec_b32 s3, vcc_lo
	s_xor_b32 s3, exec_lo, s3
; %bb.33:
	v_bfe_u32 v88, v87, 16, 1
	s_delay_alu instid0(VALU_DEP_1)
	v_add3_u32 v88, v87, v88, 0x7fff
                                        ; implicit-def: $vgpr87
; %bb.34:
	s_and_not1_saveexec_b32 s3, s3
; %bb.35:
	v_and_b32_e32 v88, 0xffff, v87
	v_or_b32_e32 v90, 0x10000, v87
	s_delay_alu instid0(VALU_DEP_2) | instskip(NEXT) | instid1(VALU_DEP_2)
	v_cmp_eq_u32_e32 vcc_lo, 0, v88
	v_cndmask_b32_e32 v88, v90, v87, vcc_lo
; %bb.36:
	s_or_b32 exec_lo, exec_lo, s3
	v_and_b32_e32 v87, 0x7f800000, v84
	s_delay_alu instid0(VALU_DEP_1) | instskip(SKIP_1) | instid1(SALU_CYCLE_1)
	v_cmp_ne_u32_e32 vcc_lo, 0x7f800000, v87
                                        ; implicit-def: $vgpr87
	s_and_saveexec_b32 s3, vcc_lo
	s_xor_b32 s3, exec_lo, s3
; %bb.37:
	v_bfe_u32 v87, v84, 16, 1
	s_delay_alu instid0(VALU_DEP_1)
	v_add3_u32 v87, v84, v87, 0x7fff
                                        ; implicit-def: $vgpr84
; %bb.38:
	s_and_not1_saveexec_b32 s3, s3
; %bb.39:
	v_and_b32_e32 v87, 0xffff, v84
	v_or_b32_e32 v90, 0x10000, v84
	s_delay_alu instid0(VALU_DEP_2) | instskip(NEXT) | instid1(VALU_DEP_2)
	v_cmp_eq_u32_e32 vcc_lo, 0, v87
	v_cndmask_b32_e32 v87, v90, v84, vcc_lo
; %bb.40:
	s_or_b32 exec_lo, exec_lo, s3
	v_and_b32_e32 v84, 0x7f800000, v80
	s_delay_alu instid0(VALU_DEP_1) | instskip(SKIP_1) | instid1(SALU_CYCLE_1)
	v_cmp_ne_u32_e32 vcc_lo, 0x7f800000, v84
                                        ; implicit-def: $vgpr84
	s_and_saveexec_b32 s3, vcc_lo
	s_xor_b32 s3, exec_lo, s3
; %bb.41:
	v_bfe_u32 v84, v80, 16, 1
	s_delay_alu instid0(VALU_DEP_1)
	v_add3_u32 v84, v80, v84, 0x7fff
                                        ; implicit-def: $vgpr80
; %bb.42:
	s_and_not1_saveexec_b32 s3, s3
; %bb.43:
	v_and_b32_e32 v84, 0xffff, v80
	v_or_b32_e32 v90, 0x10000, v80
	s_delay_alu instid0(VALU_DEP_2) | instskip(NEXT) | instid1(VALU_DEP_2)
	v_cmp_eq_u32_e32 vcc_lo, 0, v84
	v_cndmask_b32_e32 v84, v90, v80, vcc_lo
; %bb.44:
	s_or_b32 exec_lo, exec_lo, s3
	s_load_b64 s[34:35], s[0:1], 0x94
	v_lshlrev_b32_e32 v91, 4, v74
	s_delay_alu instid0(VALU_DEP_2)
	v_perm_b32 v90, v84, v87, 0x7060302
	v_dual_mul_f32 v79, v82, v79 :: v_dual_lshlrev_b32 v80, 6, v65
	v_dual_mul_f32 v77, v82, v77 :: v_dual_lshlrev_b32 v92, 11, v66
	v_mul_f32_e32 v84, v82, v70
	v_perm_b32 v89, v88, v89, 0x7060302
	v_perm_b32 v88, v86, v85, 0x7060302
	;; [unrolled: 1-line block ×3, first 2 shown]
	v_mul_f32_e32 v70, v82, v81
	v_or3_b32 v76, v91, v92, v80
	v_dual_mul_f32 v78, v82, v78 :: v_dual_and_b32 v85, 0x7f800000, v84
	v_mul_f32_e32 v83, v82, v72
	v_mul_f32_e32 v81, v82, v71
	;; [unrolled: 1-line block ×3, first 2 shown]
	s_mov_b32 s3, exec_lo
	ds_store_b128 v76, v[87:90]
                                        ; implicit-def: $vgpr69
	v_cmpx_ne_u32_e32 0x7f800000, v85
	s_xor_b32 s3, exec_lo, s3
; %bb.45:
	v_bfe_u32 v69, v84, 16, 1
	s_delay_alu instid0(VALU_DEP_1)
	v_add3_u32 v69, v84, v69, 0x7fff
                                        ; implicit-def: $vgpr84
; %bb.46:
	s_and_not1_saveexec_b32 s3, s3
; %bb.47:
	v_and_b32_e32 v69, 0xffff, v84
	v_or_b32_e32 v71, 0x10000, v84
	s_delay_alu instid0(VALU_DEP_2) | instskip(NEXT) | instid1(VALU_DEP_2)
	v_cmp_eq_u32_e32 vcc_lo, 0, v69
	v_cndmask_b32_e32 v69, v71, v84, vcc_lo
; %bb.48:
	s_or_b32 exec_lo, exec_lo, s3
	v_and_b32_e32 v71, 0x7f800000, v72
	s_delay_alu instid0(VALU_DEP_1) | instskip(SKIP_1) | instid1(SALU_CYCLE_1)
	v_cmp_ne_u32_e32 vcc_lo, 0x7f800000, v71
                                        ; implicit-def: $vgpr71
	s_and_saveexec_b32 s3, vcc_lo
	s_xor_b32 s3, exec_lo, s3
; %bb.49:
	v_bfe_u32 v71, v72, 16, 1
	s_delay_alu instid0(VALU_DEP_1)
	v_add3_u32 v71, v72, v71, 0x7fff
                                        ; implicit-def: $vgpr72
; %bb.50:
	s_and_not1_saveexec_b32 s3, s3
; %bb.51:
	v_and_b32_e32 v71, 0xffff, v72
	v_or_b32_e32 v82, 0x10000, v72
	s_delay_alu instid0(VALU_DEP_2) | instskip(NEXT) | instid1(VALU_DEP_2)
	v_cmp_eq_u32_e32 vcc_lo, 0, v71
	v_cndmask_b32_e32 v71, v82, v72, vcc_lo
; %bb.52:
	s_or_b32 exec_lo, exec_lo, s3
	v_and_b32_e32 v72, 0x7f800000, v81
	s_delay_alu instid0(VALU_DEP_1) | instskip(SKIP_1) | instid1(SALU_CYCLE_1)
	v_cmp_ne_u32_e32 vcc_lo, 0x7f800000, v72
                                        ; implicit-def: $vgpr72
	s_and_saveexec_b32 s3, vcc_lo
	s_xor_b32 s3, exec_lo, s3
; %bb.53:
	v_bfe_u32 v72, v81, 16, 1
	s_delay_alu instid0(VALU_DEP_1)
	v_add3_u32 v72, v81, v72, 0x7fff
                                        ; implicit-def: $vgpr81
; %bb.54:
	s_and_not1_saveexec_b32 s3, s3
; %bb.55:
	v_and_b32_e32 v72, 0xffff, v81
	v_or_b32_e32 v82, 0x10000, v81
	s_delay_alu instid0(VALU_DEP_2) | instskip(NEXT) | instid1(VALU_DEP_2)
	v_cmp_eq_u32_e32 vcc_lo, 0, v72
	v_cndmask_b32_e32 v72, v82, v81, vcc_lo
; %bb.56:
	s_or_b32 exec_lo, exec_lo, s3
	v_and_b32_e32 v81, 0x7f800000, v83
	s_delay_alu instid0(VALU_DEP_1) | instskip(SKIP_1) | instid1(SALU_CYCLE_1)
	v_cmp_ne_u32_e32 vcc_lo, 0x7f800000, v81
                                        ; implicit-def: $vgpr81
	s_and_saveexec_b32 s3, vcc_lo
	s_xor_b32 s3, exec_lo, s3
; %bb.57:
	v_bfe_u32 v81, v83, 16, 1
	s_delay_alu instid0(VALU_DEP_1)
	v_add3_u32 v81, v83, v81, 0x7fff
                                        ; implicit-def: $vgpr83
; %bb.58:
	s_and_not1_saveexec_b32 s3, s3
; %bb.59:
	v_and_b32_e32 v81, 0xffff, v83
	v_or_b32_e32 v82, 0x10000, v83
	s_delay_alu instid0(VALU_DEP_2) | instskip(NEXT) | instid1(VALU_DEP_2)
	v_cmp_eq_u32_e32 vcc_lo, 0, v81
	v_cndmask_b32_e32 v81, v82, v83, vcc_lo
; %bb.60:
	s_or_b32 exec_lo, exec_lo, s3
	v_and_b32_e32 v82, 0x7f800000, v77
	s_delay_alu instid0(VALU_DEP_1) | instskip(SKIP_1) | instid1(SALU_CYCLE_1)
	v_cmp_ne_u32_e32 vcc_lo, 0x7f800000, v82
                                        ; implicit-def: $vgpr82
	s_and_saveexec_b32 s3, vcc_lo
	s_xor_b32 s3, exec_lo, s3
; %bb.61:
	v_bfe_u32 v82, v77, 16, 1
	s_delay_alu instid0(VALU_DEP_1)
	v_add3_u32 v82, v77, v82, 0x7fff
                                        ; implicit-def: $vgpr77
; %bb.62:
	s_and_not1_saveexec_b32 s3, s3
; %bb.63:
	v_and_b32_e32 v82, 0xffff, v77
	v_or_b32_e32 v83, 0x10000, v77
	s_delay_alu instid0(VALU_DEP_2) | instskip(NEXT) | instid1(VALU_DEP_2)
	v_cmp_eq_u32_e32 vcc_lo, 0, v82
	v_cndmask_b32_e32 v82, v83, v77, vcc_lo
; %bb.64:
	s_or_b32 exec_lo, exec_lo, s3
	v_and_b32_e32 v77, 0x7f800000, v78
	s_delay_alu instid0(VALU_DEP_1) | instskip(SKIP_1) | instid1(SALU_CYCLE_1)
	v_cmp_ne_u32_e32 vcc_lo, 0x7f800000, v77
                                        ; implicit-def: $vgpr77
	s_and_saveexec_b32 s3, vcc_lo
	s_xor_b32 s3, exec_lo, s3
; %bb.65:
	v_bfe_u32 v77, v78, 16, 1
	s_delay_alu instid0(VALU_DEP_1)
	v_add3_u32 v77, v78, v77, 0x7fff
                                        ; implicit-def: $vgpr78
; %bb.66:
	s_and_not1_saveexec_b32 s3, s3
; %bb.67:
	v_and_b32_e32 v77, 0xffff, v78
	v_or_b32_e32 v83, 0x10000, v78
	s_delay_alu instid0(VALU_DEP_2) | instskip(NEXT) | instid1(VALU_DEP_2)
	v_cmp_eq_u32_e32 vcc_lo, 0, v77
	v_cndmask_b32_e32 v77, v83, v78, vcc_lo
; %bb.68:
	s_or_b32 exec_lo, exec_lo, s3
	v_and_b32_e32 v78, 0x7f800000, v79
	s_delay_alu instid0(VALU_DEP_1) | instskip(SKIP_1) | instid1(SALU_CYCLE_1)
	v_cmp_ne_u32_e32 vcc_lo, 0x7f800000, v78
                                        ; implicit-def: $vgpr78
	s_and_saveexec_b32 s3, vcc_lo
	s_xor_b32 s3, exec_lo, s3
; %bb.69:
	v_bfe_u32 v78, v79, 16, 1
	s_delay_alu instid0(VALU_DEP_1)
	v_add3_u32 v78, v79, v78, 0x7fff
                                        ; implicit-def: $vgpr79
; %bb.70:
	s_and_not1_saveexec_b32 s3, s3
; %bb.71:
	v_and_b32_e32 v78, 0xffff, v79
	v_or_b32_e32 v83, 0x10000, v79
	s_delay_alu instid0(VALU_DEP_2) | instskip(NEXT) | instid1(VALU_DEP_2)
	v_cmp_eq_u32_e32 vcc_lo, 0, v78
	v_cndmask_b32_e32 v78, v83, v79, vcc_lo
; %bb.72:
	s_or_b32 exec_lo, exec_lo, s3
	v_and_b32_e32 v79, 0x7f800000, v70
	s_delay_alu instid0(VALU_DEP_1) | instskip(SKIP_1) | instid1(SALU_CYCLE_1)
	v_cmp_ne_u32_e32 vcc_lo, 0x7f800000, v79
                                        ; implicit-def: $vgpr79
	s_and_saveexec_b32 s3, vcc_lo
	s_xor_b32 s3, exec_lo, s3
; %bb.73:
	v_bfe_u32 v79, v70, 16, 1
	s_delay_alu instid0(VALU_DEP_1)
	v_add3_u32 v79, v70, v79, 0x7fff
                                        ; implicit-def: $vgpr70
; %bb.74:
	s_and_not1_saveexec_b32 s3, s3
; %bb.75:
	v_and_b32_e32 v79, 0xffff, v70
	v_or_b32_e32 v83, 0x10000, v70
	s_delay_alu instid0(VALU_DEP_2) | instskip(NEXT) | instid1(VALU_DEP_2)
	v_cmp_eq_u32_e32 vcc_lo, 0, v79
	v_cndmask_b32_e32 v79, v83, v70, vcc_lo
; %bb.76:
	s_or_b32 exec_lo, exec_lo, s3
	s_delay_alu instid0(VALU_DEP_1)
	v_perm_b32 v86, v79, v78, 0x7060302
	v_perm_b32 v85, v77, v82, 0x7060302
	;; [unrolled: 1-line block ×4, first 2 shown]
	v_lshl_or_b32 v82, v66, 11, v80
	ds_store_b128 v76, v[83:86] offset:1024
	s_waitcnt lgkmcnt(0)
	s_barrier
	buffer_gl0_inv
	ds_load_b128 v[69:72], v82
	ds_load_b128 v[83:86], v82 offset:16
	s_waitcnt lgkmcnt(1)
	v_lshrrev_b32_e32 v66, 16, v69
	s_waitcnt lgkmcnt(0)
	v_lshrrev_b32_e32 v91, 16, v83
	v_lshlrev_b32_e32 v78, 2, v74
	v_lshrrev_b32_e32 v95, 16, v70
	v_lshrrev_b32_e32 v98, 16, v84
	;; [unrolled: 1-line block ×4, first 2 shown]
	v_cmp_eq_u32_e32 vcc_lo, 1, v78
	v_lshrrev_b32_e32 v97, 16, v72
	v_lshrrev_b32_e32 v100, 16, v86
	v_cndmask_b32_e32 v87, v83, v91, vcc_lo
	v_or_b32_e32 v79, 1, v78
	v_cndmask_b32_e32 v81, v69, v66, vcc_lo
	v_cmp_eq_u32_e64 s4, 2, v78
	v_cmp_eq_u32_e64 s7, 3, v78
	;; [unrolled: 1-line block ×5, first 2 shown]
	v_cndmask_b32_e64 v81, v81, v70, s4
	v_cndmask_b32_e64 v87, v87, v84, s4
	v_cmp_eq_u32_e64 s8, 3, v79
	v_cndmask_b32_e64 v88, v69, v66, s3
	v_or_b32_e32 v77, 2, v78
	v_cndmask_b32_e64 v81, v81, v95, s7
	v_cndmask_b32_e64 v87, v87, v98, s7
	;; [unrolled: 1-line block ×4, first 2 shown]
	v_cmp_eq_u32_e64 s10, 5, v78
	v_cndmask_b32_e64 v81, v81, v71, s9
	v_cndmask_b32_e64 v87, v87, v85, s9
	v_cmp_eq_u32_e64 s11, 4, v79
	v_cndmask_b32_e64 v88, v88, v95, s8
	v_cmp_eq_u32_e64 s5, 1, v77
	v_cndmask_b32_e64 v89, v89, v84, s6
	v_cndmask_b32_e64 v81, v81, v96, s10
	v_cmp_eq_u32_e64 s12, 6, v78
	v_cndmask_b32_e64 v88, v88, v71, s11
	v_cndmask_b32_e64 v87, v87, v99, s10
	v_cmp_eq_u32_e64 s13, 5, v79
	v_cndmask_b32_e64 v90, v69, v66, s5
	v_cndmask_b32_e64 v89, v89, v98, s8
	v_cndmask_b32_e64 v81, v81, v72, s12
	v_cmp_eq_u32_e64 s15, 7, v78
	v_cndmask_b32_e64 v88, v88, v96, s13
	v_cndmask_b32_e64 v87, v87, v86, s12
	v_cmp_eq_u32_e64 s16, 6, v79
	v_cmp_eq_u32_e64 s17, 2, v77
	v_cndmask_b32_e64 v89, v89, v85, s11
	v_cndmask_b32_e64 v101, v81, v97, s15
	;; [unrolled: 1-line block ×6, first 2 shown]
	v_cmp_eq_u32_e64 s18, 7, v79
	v_cmp_eq_u32_e64 s19, 3, v77
	;; [unrolled: 1-line block ×4, first 2 shown]
	v_cndmask_b32_e64 v87, v87, v84, s17
	v_cndmask_b32_e64 v103, v88, v97, s18
	;; [unrolled: 1-line block ×4, first 2 shown]
	v_or_b32_e32 v81, 3, v78
	v_cndmask_b32_e64 v93, v87, v98, s19
	v_cmp_eq_u32_e64 s24, 6, v77
	v_cndmask_b32_e64 v104, v88, v86, s16
	v_cndmask_b32_e64 v92, v89, v71, s20
	v_cmp_eq_u32_e64 s21, 1, v81
	ds_load_b128 v[87:90], v82 offset:1024
	v_cmp_eq_u32_e64 s23, 2, v81
	v_cmp_eq_u32_e64 s25, 3, v81
	v_cndmask_b32_e64 v105, v92, v96, s22
	v_cndmask_b32_e64 v66, v69, v66, s21
	;; [unrolled: 1-line block ×4, first 2 shown]
	ds_load_b128 v[91:94], v82 offset:1040
	v_cmp_eq_u32_e64 s26, 4, v81
	v_cndmask_b32_e64 v66, v66, v70, s23
	v_cmp_eq_u32_e64 s27, 7, v77
	v_cndmask_b32_e64 v70, v83, v84, s23
	v_cndmask_b32_e64 v84, v105, v72, s24
	v_cmp_eq_u32_e64 s28, 5, v81
	v_cndmask_b32_e64 v66, v66, v95, s25
	v_cmp_eq_u32_e64 s29, 6, v81
	v_cndmask_b32_e64 v70, v70, v98, s25
	v_cndmask_b32_e64 v69, v69, v99, s22
	v_cndmask_b32_e64 v83, v104, v100, s18
	v_cndmask_b32_e64 v66, v66, v71, s26
	s_waitcnt lgkmcnt(1)
	v_lshrrev_b32_e32 v95, 16, v87
	v_cndmask_b32_e64 v70, v70, v85, s26
	v_cndmask_b32_e64 v71, v84, v97, s27
	;; [unrolled: 1-line block ×4, first 2 shown]
	v_cndmask_b32_e32 v84, v87, v95, vcc_lo
	v_cndmask_b32_e64 v70, v70, v99, s28
	s_waitcnt lgkmcnt(0)
	v_lshrrev_b32_e32 v85, 16, v91
	v_lshrrev_b32_e32 v96, 16, v88
	v_cndmask_b32_e64 v98, v87, v95, s3
	v_cndmask_b32_e64 v84, v84, v88, s4
	v_cndmask_b32_e64 v70, v70, v86, s29
	v_cndmask_b32_e32 v99, v91, v85, vcc_lo
	v_cmp_eq_u32_e32 vcc_lo, 7, v81
	v_cndmask_b32_e64 v66, v66, v72, s29
	v_cndmask_b32_e64 v72, v84, v96, s7
	v_cndmask_b32_e64 v84, v98, v88, s6
	v_lshrrev_b32_e32 v98, 16, v92
	v_cndmask_b32_e32 v70, v70, v100, vcc_lo
	v_cndmask_b32_e64 v86, v99, v92, s4
	v_cndmask_b32_e64 v69, v69, v100, s27
	v_lshrrev_b32_e32 v100, 16, v93
	v_cndmask_b32_e64 v72, v72, v89, s9
	v_lshrrev_b32_e32 v99, 16, v89
	v_cndmask_b32_e64 v86, v86, v98, s7
	v_perm_b32 v71, v69, v71, 0x5040100
	v_cndmask_b32_e64 v84, v84, v96, s8
	s_delay_alu instid0(VALU_DEP_3) | instskip(NEXT) | instid1(VALU_DEP_2)
	v_cndmask_b32_e64 v86, v86, v93, s9
	v_cndmask_b32_e64 v84, v84, v89, s11
	s_delay_alu instid0(VALU_DEP_2) | instskip(NEXT) | instid1(VALU_DEP_1)
	v_cndmask_b32_e64 v86, v86, v100, s10
	v_cndmask_b32_e64 v69, v86, v94, s12
	;; [unrolled: 1-line block ×5, first 2 shown]
	s_delay_alu instid0(VALU_DEP_3) | instskip(NEXT) | instid1(VALU_DEP_3)
	v_cndmask_b32_e64 v86, v86, v88, s17
	v_cndmask_b32_e64 v87, v87, v88, s23
	s_delay_alu instid0(VALU_DEP_3) | instskip(NEXT) | instid1(VALU_DEP_3)
	v_cndmask_b32_e64 v88, v95, v92, s23
	v_cndmask_b32_e64 v86, v86, v96, s19
	;; [unrolled: 3-line block ×7, first 2 shown]
	s_delay_alu instid0(VALU_DEP_3) | instskip(SKIP_2) | instid1(VALU_DEP_2)
	v_cndmask_b32_e64 v88, v88, v94, s29
	v_cndmask_b32_e32 v66, v66, v97, vcc_lo
	v_cndmask_b32_e64 v97, v72, v99, s10
	v_perm_b32 v72, v70, v66, 0x5040100
	v_perm_b32 v70, v83, v103, 0x5040100
	v_cndmask_b32_e64 v103, v91, v85, s5
	v_cndmask_b32_e64 v85, v91, v85, s3
	;; [unrolled: 1-line block ×4, first 2 shown]
	v_lshrrev_b32_e32 v97, 16, v90
	v_cndmask_b32_e64 v91, v103, v92, s17
	v_cndmask_b32_e64 v85, v85, v92, s6
	;; [unrolled: 1-line block ×3, first 2 shown]
	s_mov_b32 s3, exec_lo
	v_cndmask_b32_e64 v83, v84, v97, s15
	v_cndmask_b32_e64 v91, v91, v98, s19
	;; [unrolled: 1-line block ×3, first 2 shown]
	v_lshrrev_b32_e32 v84, 16, v94
	v_cndmask_b32_e64 v66, v66, v97, s18
	v_cndmask_b32_e64 v90, v86, v97, s27
	;; [unrolled: 1-line block ×4, first 2 shown]
	v_dual_cndmask_b32 v86, v87, v97 :: v_dual_cndmask_b32 v87, v88, v84
	v_cndmask_b32_e64 v91, v69, v84, s15
	s_delay_alu instid0(VALU_DEP_4) | instskip(NEXT) | instid1(VALU_DEP_4)
	v_cndmask_b32_e64 v89, v89, v100, s22
	v_cndmask_b32_e64 v85, v85, v100, s13
	v_perm_b32 v69, v102, v101, 0x5040100
	v_perm_b32 v86, v87, v86, 0x5040100
	;; [unrolled: 1-line block ×3, first 2 shown]
	v_cndmask_b32_e64 v89, v89, v94, s24
	v_cndmask_b32_e64 v85, v85, v94, s16
	s_mul_i32 s8, s35, 7
	s_delay_alu instid0(VALU_DEP_2) | instskip(NEXT) | instid1(VALU_DEP_2)
	v_cndmask_b32_e64 v88, v89, v84, s27
	v_cndmask_b32_e64 v89, v85, v84, s18
	s_delay_alu instid0(VALU_DEP_2) | instskip(NEXT) | instid1(VALU_DEP_2)
	v_perm_b32 v85, v88, v90, 0x5040100
	v_perm_b32 v84, v89, v66, 0x5040100
	ds_store_b128 v76, v[69:72]
	ds_store_b128 v76, v[83:86] offset:1024
	v_cmpx_gt_u32_e32 7, v0
	s_cbranch_execz .LBB1796_78
; %bb.77:
	s_mul_i32 s4, s8, s30
	s_delay_alu instid0(SALU_CYCLE_1) | instskip(SKIP_1) | instid1(VALU_DEP_1)
	v_add3_u32 v69, s4, s31, v65
	s_load_b128 s[4:7], s[0:1], 0x58
	v_mad_u64_u32 v[65:66], null, v69, s34, s[14:15]
	s_delay_alu instid0(VALU_DEP_1) | instskip(NEXT) | instid1(VALU_DEP_1)
	v_ashrrev_i32_e32 v66, 31, v65
	v_lshlrev_b64 v[65:66], 2, v[65:66]
	s_waitcnt lgkmcnt(0)
	s_delay_alu instid0(VALU_DEP_1) | instskip(NEXT) | instid1(VALU_DEP_2)
	v_add_co_u32 v69, vcc_lo, s6, v65
	v_add_co_ci_u32_e32 v70, vcc_lo, s7, v66, vcc_lo
	v_add_co_u32 v65, vcc_lo, s4, v65
	v_add_co_ci_u32_e32 v66, vcc_lo, s5, v66, vcc_lo
	global_store_b32 v[69:70], v67, off
	global_store_b32 v[65:66], v68, off
.LBB1796_78:
	s_or_b32 exec_lo, exec_lo, s3
	s_waitcnt lgkmcnt(0)
	s_waitcnt_vscnt null, 0x0
	s_barrier
	buffer_gl0_inv
	ds_load_b128 v[83:86], v80
	ds_load_b128 v[87:90], v80 offset:16
	ds_load_b128 v[95:98], v80 offset:2064
	;; [unrolled: 1-line block ×3, first 2 shown]
	v_mov_b32_e32 v65, 0
	ds_load_b128 v[103:106], v80 offset:4112
	ds_load_b128 v[99:102], v80 offset:4096
	;; [unrolled: 1-line block ×4, first 2 shown]
	v_mov_b32_e32 v66, v65
	v_mov_b32_e32 v67, v65
	v_mov_b32_e32 v68, v65
	v_mov_b32_e32 v69, v65
	v_mov_b32_e32 v70, v65
	v_mov_b32_e32 v71, v65
	v_mov_b32_e32 v72, v65
	s_waitcnt lgkmcnt(6)
	s_delay_alu instid0(VALU_DEP_1)
	v_wmma_f32_16x16x16_bf16 v[65:72], v[41:48], v[83:90], v[65:72]
	ds_load_b128 v[45:48], v80 offset:8208
	ds_load_b128 v[41:44], v80 offset:8192
	s_waitcnt lgkmcnt(6)
	v_wmma_f32_16x16x16_bf16 v[65:72], v[33:40], v[91:98], v[65:72]
	ds_load_b128 v[37:40], v80 offset:10256
	ds_load_b128 v[33:36], v80 offset:10240
	s_waitcnt lgkmcnt(6)
	;; [unrolled: 4-line block ×4, first 2 shown]
	v_wmma_f32_16x16x16_bf16 v[65:72], v[1:8], v[41:48], v[65:72]
	s_waitcnt lgkmcnt(4)
	s_delay_alu instid0(VALU_DEP_1) | instskip(SKIP_1) | instid1(VALU_DEP_1)
	v_wmma_f32_16x16x16_bf16 v[65:72], v[9:16], v[33:40], v[65:72]
	s_waitcnt lgkmcnt(2)
	v_wmma_f32_16x16x16_bf16 v[65:72], v[57:64], v[25:32], v[65:72]
	s_waitcnt lgkmcnt(0)
	s_delay_alu instid0(VALU_DEP_1) | instskip(NEXT) | instid1(VALU_DEP_1)
	v_wmma_f32_16x16x16_bf16 v[65:72], v[49:56], v[17:24], v[65:72]
	v_and_b32_e32 v1, 0x7f800000, v65
	s_delay_alu instid0(VALU_DEP_1) | instskip(SKIP_1) | instid1(SALU_CYCLE_1)
	v_cmp_ne_u32_e32 vcc_lo, 0x7f800000, v1
                                        ; implicit-def: $vgpr1
	s_and_saveexec_b32 s3, vcc_lo
	s_xor_b32 s3, exec_lo, s3
; %bb.79:
	v_bfe_u32 v1, v65, 16, 1
	s_delay_alu instid0(VALU_DEP_1)
	v_add3_u32 v1, v65, v1, 0x7fff
; %bb.80:
	s_and_not1_saveexec_b32 s3, s3
; %bb.81:
	v_and_b32_e32 v1, 0xffff, v65
	v_or_b32_e32 v2, 0x10000, v65
	s_delay_alu instid0(VALU_DEP_2) | instskip(NEXT) | instid1(VALU_DEP_2)
	v_cmp_eq_u32_e32 vcc_lo, 0, v1
	v_cndmask_b32_e32 v1, v2, v65, vcc_lo
; %bb.82:
	s_or_b32 exec_lo, exec_lo, s3
	v_and_b32_e32 v2, 0x7f800000, v66
	s_delay_alu instid0(VALU_DEP_1) | instskip(SKIP_1) | instid1(SALU_CYCLE_1)
	v_cmp_ne_u32_e32 vcc_lo, 0x7f800000, v2
                                        ; implicit-def: $vgpr2
	s_and_saveexec_b32 s3, vcc_lo
	s_xor_b32 s3, exec_lo, s3
; %bb.83:
	v_bfe_u32 v2, v66, 16, 1
	s_delay_alu instid0(VALU_DEP_1)
	v_add3_u32 v2, v66, v2, 0x7fff
; %bb.84:
	s_and_not1_saveexec_b32 s3, s3
; %bb.85:
	v_and_b32_e32 v2, 0xffff, v66
	v_or_b32_e32 v3, 0x10000, v66
	s_delay_alu instid0(VALU_DEP_2) | instskip(NEXT) | instid1(VALU_DEP_2)
	v_cmp_eq_u32_e32 vcc_lo, 0, v2
	v_cndmask_b32_e32 v2, v3, v66, vcc_lo
; %bb.86:
	s_or_b32 exec_lo, exec_lo, s3
	v_and_b32_e32 v3, 0x7f800000, v67
	s_delay_alu instid0(VALU_DEP_1) | instskip(SKIP_1) | instid1(SALU_CYCLE_1)
	v_cmp_ne_u32_e32 vcc_lo, 0x7f800000, v3
                                        ; implicit-def: $vgpr3
	s_and_saveexec_b32 s3, vcc_lo
	s_xor_b32 s3, exec_lo, s3
; %bb.87:
	v_bfe_u32 v3, v67, 16, 1
	s_delay_alu instid0(VALU_DEP_1)
	v_add3_u32 v3, v67, v3, 0x7fff
; %bb.88:
	s_and_not1_saveexec_b32 s3, s3
; %bb.89:
	v_and_b32_e32 v3, 0xffff, v67
	v_or_b32_e32 v4, 0x10000, v67
	s_delay_alu instid0(VALU_DEP_2) | instskip(NEXT) | instid1(VALU_DEP_2)
	v_cmp_eq_u32_e32 vcc_lo, 0, v3
	v_cndmask_b32_e32 v3, v4, v67, vcc_lo
; %bb.90:
	s_or_b32 exec_lo, exec_lo, s3
	v_and_b32_e32 v4, 0x7f800000, v68
	s_delay_alu instid0(VALU_DEP_1) | instskip(SKIP_1) | instid1(SALU_CYCLE_1)
	v_cmp_ne_u32_e32 vcc_lo, 0x7f800000, v4
                                        ; implicit-def: $vgpr4
	s_and_saveexec_b32 s3, vcc_lo
	s_xor_b32 s3, exec_lo, s3
; %bb.91:
	v_bfe_u32 v4, v68, 16, 1
	s_delay_alu instid0(VALU_DEP_1)
	v_add3_u32 v4, v68, v4, 0x7fff
; %bb.92:
	s_and_not1_saveexec_b32 s3, s3
; %bb.93:
	v_and_b32_e32 v4, 0xffff, v68
	v_or_b32_e32 v5, 0x10000, v68
	s_delay_alu instid0(VALU_DEP_2) | instskip(NEXT) | instid1(VALU_DEP_2)
	v_cmp_eq_u32_e32 vcc_lo, 0, v4
	v_cndmask_b32_e32 v4, v5, v68, vcc_lo
; %bb.94:
	s_or_b32 exec_lo, exec_lo, s3
	v_and_b32_e32 v5, 0x7f800000, v69
	s_delay_alu instid0(VALU_DEP_1) | instskip(SKIP_1) | instid1(SALU_CYCLE_1)
	v_cmp_ne_u32_e32 vcc_lo, 0x7f800000, v5
                                        ; implicit-def: $vgpr5
	s_and_saveexec_b32 s3, vcc_lo
	s_xor_b32 s3, exec_lo, s3
; %bb.95:
	v_bfe_u32 v5, v69, 16, 1
	s_delay_alu instid0(VALU_DEP_1)
	v_add3_u32 v5, v69, v5, 0x7fff
; %bb.96:
	s_and_not1_saveexec_b32 s3, s3
; %bb.97:
	v_and_b32_e32 v5, 0xffff, v69
	v_or_b32_e32 v6, 0x10000, v69
	s_delay_alu instid0(VALU_DEP_2) | instskip(NEXT) | instid1(VALU_DEP_2)
	v_cmp_eq_u32_e32 vcc_lo, 0, v5
	v_cndmask_b32_e32 v5, v6, v69, vcc_lo
; %bb.98:
	s_or_b32 exec_lo, exec_lo, s3
	v_and_b32_e32 v6, 0x7f800000, v70
	s_delay_alu instid0(VALU_DEP_1) | instskip(SKIP_1) | instid1(SALU_CYCLE_1)
	v_cmp_ne_u32_e32 vcc_lo, 0x7f800000, v6
                                        ; implicit-def: $vgpr6
	s_and_saveexec_b32 s3, vcc_lo
	s_xor_b32 s3, exec_lo, s3
; %bb.99:
	v_bfe_u32 v6, v70, 16, 1
	s_delay_alu instid0(VALU_DEP_1)
	v_add3_u32 v6, v70, v6, 0x7fff
; %bb.100:
	s_and_not1_saveexec_b32 s3, s3
; %bb.101:
	v_and_b32_e32 v6, 0xffff, v70
	v_or_b32_e32 v7, 0x10000, v70
	s_delay_alu instid0(VALU_DEP_2) | instskip(NEXT) | instid1(VALU_DEP_2)
	v_cmp_eq_u32_e32 vcc_lo, 0, v6
	v_cndmask_b32_e32 v6, v7, v70, vcc_lo
; %bb.102:
	s_or_b32 exec_lo, exec_lo, s3
	v_and_b32_e32 v7, 0x7f800000, v71
	s_delay_alu instid0(VALU_DEP_1) | instskip(SKIP_1) | instid1(SALU_CYCLE_1)
	v_cmp_ne_u32_e32 vcc_lo, 0x7f800000, v7
                                        ; implicit-def: $vgpr7
	s_and_saveexec_b32 s3, vcc_lo
	s_xor_b32 s3, exec_lo, s3
; %bb.103:
	v_bfe_u32 v7, v71, 16, 1
	s_delay_alu instid0(VALU_DEP_1)
	v_add3_u32 v7, v71, v7, 0x7fff
; %bb.104:
	s_and_not1_saveexec_b32 s3, s3
; %bb.105:
	v_and_b32_e32 v7, 0xffff, v71
	v_or_b32_e32 v8, 0x10000, v71
	s_delay_alu instid0(VALU_DEP_2) | instskip(NEXT) | instid1(VALU_DEP_2)
	v_cmp_eq_u32_e32 vcc_lo, 0, v7
	v_cndmask_b32_e32 v7, v8, v71, vcc_lo
; %bb.106:
	s_or_b32 exec_lo, exec_lo, s3
	v_and_b32_e32 v8, 0x7f800000, v72
	s_delay_alu instid0(VALU_DEP_1) | instskip(SKIP_1) | instid1(SALU_CYCLE_1)
	v_cmp_ne_u32_e32 vcc_lo, 0x7f800000, v8
                                        ; implicit-def: $vgpr8
	s_and_saveexec_b32 s3, vcc_lo
	s_xor_b32 s3, exec_lo, s3
; %bb.107:
	v_bfe_u32 v8, v72, 16, 1
	s_delay_alu instid0(VALU_DEP_1)
	v_add3_u32 v8, v72, v8, 0x7fff
                                        ; implicit-def: $vgpr65_vgpr66_vgpr67_vgpr68_vgpr69_vgpr70_vgpr71_vgpr72
; %bb.108:
	s_and_not1_saveexec_b32 s3, s3
; %bb.109:
	v_and_b32_e32 v8, 0xffff, v72
	v_or_b32_e32 v9, 0x10000, v72
	s_delay_alu instid0(VALU_DEP_2) | instskip(NEXT) | instid1(VALU_DEP_2)
	v_cmp_eq_u32_e32 vcc_lo, 0, v8
	v_cndmask_b32_e32 v8, v9, v72, vcc_lo
; %bb.110:
	s_or_b32 exec_lo, exec_lo, s3
	s_delay_alu instid0(VALU_DEP_1)
	v_perm_b32 v7, v8, v7, 0x7060302
	v_perm_b32 v6, v6, v5, 0x7060302
	v_perm_b32 v5, v4, v3, 0x7060302
	v_perm_b32 v4, v2, v1, 0x7060302
	s_barrier
	buffer_gl0_inv
	v_cmp_eq_u32_e32 vcc_lo, 1, v78
	ds_store_b128 v76, v[4:7]
	s_waitcnt lgkmcnt(0)
	s_barrier
	buffer_gl0_inv
	ds_load_b128 v[1:4], v82
	ds_load_b128 v[5:8], v82 offset:16
	v_cmp_eq_u32_e64 s3, 1, v79
	v_cmp_eq_u32_e64 s4, 2, v78
	;; [unrolled: 1-line block ×5, first 2 shown]
	s_waitcnt lgkmcnt(1)
	v_lshrrev_b32_e32 v9, 16, v1
	s_waitcnt lgkmcnt(0)
	v_lshrrev_b32_e32 v13, 16, v5
	v_lshrrev_b32_e32 v10, 16, v2
	;; [unrolled: 1-line block ×4, first 2 shown]
	v_cndmask_b32_e64 v19, v1, v9, s3
	v_cndmask_b32_e32 v18, v5, v13, vcc_lo
	v_cndmask_b32_e64 v20, v5, v13, s3
	v_cndmask_b32_e32 v17, v1, v9, vcc_lo
	v_cmp_eq_u32_e32 vcc_lo, 2, v79
	v_lshrrev_b32_e32 v15, 16, v7
	v_cmp_eq_u32_e64 s3, 1, v77
	v_lshrrev_b32_e32 v12, 16, v4
	v_lshrrev_b32_e32 v16, 16, v8
	v_cndmask_b32_e32 v20, v20, v6, vcc_lo
	v_cndmask_b32_e64 v17, v17, v2, s4
	v_cndmask_b32_e32 v19, v19, v2, vcc_lo
	v_cndmask_b32_e64 v18, v18, v6, s4
	v_cmp_eq_u32_e32 vcc_lo, 4, v78
	v_cmp_eq_u32_e64 s4, 3, v79
	v_cndmask_b32_e64 v17, v17, v10, s5
	v_cndmask_b32_e64 v21, v1, v9, s3
	;; [unrolled: 1-line block ×5, first 2 shown]
	v_cndmask_b32_e32 v17, v17, v3, vcc_lo
	v_cndmask_b32_e64 v20, v20, v14, s4
	v_cndmask_b32_e32 v18, v18, v7, vcc_lo
	v_cmp_eq_u32_e32 vcc_lo, 4, v79
	v_cmp_eq_u32_e64 s4, 5, v79
	v_cmp_eq_u32_e64 s3, 2, v81
	v_cndmask_b32_e64 v21, v21, v2, s7
	v_cmp_eq_u32_e64 s5, 5, v78
	v_cndmask_b32_e32 v19, v19, v3, vcc_lo
	v_cndmask_b32_e32 v20, v20, v7, vcc_lo
	v_cmp_eq_u32_e32 vcc_lo, 6, v79
	s_delay_alu instid0(VALU_DEP_4) | instskip(NEXT) | instid1(VALU_DEP_4)
	v_cndmask_b32_e64 v17, v17, v11, s5
	v_cndmask_b32_e64 v19, v19, v11, s4
	s_delay_alu instid0(VALU_DEP_4) | instskip(SKIP_1) | instid1(VALU_DEP_3)
	v_cndmask_b32_e64 v20, v20, v15, s4
	v_cmp_eq_u32_e64 s4, 1, v81
	v_cndmask_b32_e32 v19, v19, v4, vcc_lo
	v_cndmask_b32_e64 v18, v18, v15, s5
	s_delay_alu instid0(VALU_DEP_3)
	v_cndmask_b32_e64 v1, v1, v9, s4
	v_cndmask_b32_e64 v5, v5, v13, s4
	v_cmp_eq_u32_e64 s4, 3, v77
	v_cndmask_b32_e64 v13, v22, v6, s7
	v_cmp_eq_u32_e64 s7, 3, v81
	v_cndmask_b32_e64 v1, v1, v2, s3
	v_cndmask_b32_e64 v2, v5, v6, s3
	;; [unrolled: 1-line block ×3, first 2 shown]
	v_cmp_eq_u32_e64 s3, 4, v77
	v_cndmask_b32_e64 v6, v13, v14, s4
	v_cndmask_b32_e64 v1, v1, v10, s7
	v_cmp_eq_u32_e64 s4, 4, v81
	v_cndmask_b32_e64 v2, v2, v14, s7
	v_cndmask_b32_e64 v5, v9, v3, s3
	;; [unrolled: 3-line block ×3, first 2 shown]
	v_cndmask_b32_e64 v2, v2, v7, s4
	v_cmp_eq_u32_e64 s3, 5, v81
	v_cmp_eq_u32_e64 s5, 6, v78
	v_cndmask_b32_e64 v5, v5, v11, s7
	v_cmp_eq_u32_e64 s4, 6, v77
	v_cndmask_b32_e64 v3, v6, v15, s7
	v_cndmask_b32_e64 v1, v1, v11, s3
	v_cmp_eq_u32_e64 s7, 6, v81
	v_cndmask_b32_e64 v2, v2, v15, s3
	v_cndmask_b32_e64 v17, v17, v4, s5
	v_cndmask_b32_e64 v18, v18, v8, s5
	v_cmp_eq_u32_e64 s5, 7, v78
	v_cndmask_b32_e64 v5, v5, v4, s4
	;; [unrolled: 4-line block ×3, first 2 shown]
	v_cmp_eq_u32_e64 s4, 7, v77
	v_cndmask_b32_e32 v4, v20, v8, vcc_lo
	v_cndmask_b32_e64 v17, v17, v12, s5
	v_cndmask_b32_e64 v19, v19, v12, s6
	;; [unrolled: 1-line block ×8, first 2 shown]
	s_mov_b32 s3, exec_lo
	v_perm_b32 v4, v2, v1, 0x5040100
	v_perm_b32 v3, v3, v5, 0x5040100
	;; [unrolled: 1-line block ×4, first 2 shown]
	ds_store_b128 v76, v[1:4]
	s_waitcnt lgkmcnt(0)
	s_barrier
	buffer_gl0_inv
	v_cmpx_gt_u32_e32 32, v0
	s_cbranch_execz .LBB1796_2
; %bb.111:
	s_load_b64 s[4:5], s[0:1], 0x68
	v_lshlrev_b32_e32 v0, 10, v0
	v_add_nc_u32_e32 v2, s31, v74
	v_lshlrev_b32_e32 v3, 4, v75
	s_lshl_b32 s0, s34, 7
	s_delay_alu instid0(SALU_CYCLE_1) | instskip(NEXT) | instid1(VALU_DEP_2)
	s_mul_i32 s1, s0, s30
	v_mul_lo_u32 v1, v2, s0
	s_delay_alu instid0(VALU_DEP_2)
	v_and_or_b32 v0, 0x3800, v0, v3
	v_add_nc_u32_e32 v3, 2, v2
	s_mul_i32 s6, s1, s8
	v_add_nc_u32_e32 v4, 4, v2
	s_ashr_i32 s7, s6, 31
	v_lshl_or_b32 v11, v74, 6, v0
	s_lshl_b64 s[6:7], s[6:7], 1
	v_mul_lo_u32 v15, v3, s0
	v_mul_lo_u32 v17, v4, s0
	v_ashrrev_i32_e32 v2, 31, v1
	ds_load_b128 v[3:6], v11
	ds_load_b128 v[7:10], v11 offset:128
	ds_load_b128 v[11:14], v11 offset:256
	s_waitcnt lgkmcnt(0)
	s_add_u32 s1, s4, s6
	s_addc_u32 s3, s5, s7
	s_lshl_b32 s4, s14, 7
	v_ashrrev_i32_e32 v16, 31, v15
	s_ashr_i32 s5, s4, 31
	v_lshlrev_b64 v[19:20], 1, v[1:2]
	s_lshl_b64 s[4:5], s[4:5], 1
	v_ashrrev_i32_e32 v18, 31, v17
	s_add_u32 s1, s1, s4
	s_addc_u32 s3, s3, s5
	v_add_co_u32 v1, s1, s1, v73
	s_delay_alu instid0(VALU_DEP_1) | instskip(SKIP_1) | instid1(VALU_DEP_3)
	v_add_co_ci_u32_e64 v2, null, s3, 0, s1
	v_lshlrev_b64 v[15:16], 1, v[15:16]
	v_add_co_u32 v19, vcc_lo, v1, v19
	v_lshlrev_b64 v[17:18], 1, v[17:18]
	s_delay_alu instid0(VALU_DEP_4) | instskip(NEXT) | instid1(VALU_DEP_4)
	v_add_co_ci_u32_e32 v20, vcc_lo, v2, v20, vcc_lo
	v_add_co_u32 v15, vcc_lo, v1, v15
	v_add_co_ci_u32_e32 v16, vcc_lo, v2, v16, vcc_lo
	s_delay_alu instid0(VALU_DEP_4)
	v_add_co_u32 v17, vcc_lo, v1, v17
	v_add_co_ci_u32_e32 v18, vcc_lo, v2, v18, vcc_lo
	s_clause 0x2
	global_store_b128 v[19:20], v[3:6], off
	global_store_b128 v[15:16], v[7:10], off
	;; [unrolled: 1-line block ×3, first 2 shown]
	s_and_b32 exec_lo, exec_lo, s2
	s_cbranch_execz .LBB1796_2
; %bb.112:
	ds_load_b128 v[3:6], v0 offset:384
	s_add_i32 s1, s31, 6
	s_delay_alu instid0(SALU_CYCLE_1) | instskip(NEXT) | instid1(SALU_CYCLE_1)
	s_mul_i32 s0, s1, s0
	s_ashr_i32 s1, s0, 31
	s_delay_alu instid0(SALU_CYCLE_1) | instskip(NEXT) | instid1(SALU_CYCLE_1)
	s_lshl_b64 s[0:1], s[0:1], 1
	v_add_co_u32 v0, vcc_lo, v1, s0
	v_add_co_ci_u32_e32 v1, vcc_lo, s1, v2, vcc_lo
	s_waitcnt lgkmcnt(0)
	global_store_b128 v[0:1], v[3:6], off
	s_nop 0
	s_sendmsg sendmsg(MSG_DEALLOC_VGPRS)
	s_endpgm
	.section	.rodata,"a",@progbits
	.p2align	6, 0x0
	.amdhsa_kernel _Z39paged_attention_ll4mi_QKV_mfma16_kernelI14__hip_bfloat16hLN4vllm18Fp8KVCacheDataTypeE1EhLi16ELi128ELi256ELb1ELi7EL8MFMAType0EEvPKT_PKT0_S9_ifPKiSB_SB_iPKfiiiPfSE_PS4_PT2_iSD_SD_
		.amdhsa_group_segment_fixed_size 17472
		.amdhsa_private_segment_fixed_size 0
		.amdhsa_kernarg_size 400
		.amdhsa_user_sgpr_count 13
		.amdhsa_user_sgpr_dispatch_ptr 0
		.amdhsa_user_sgpr_queue_ptr 0
		.amdhsa_user_sgpr_kernarg_segment_ptr 1
		.amdhsa_user_sgpr_dispatch_id 0
		.amdhsa_user_sgpr_private_segment_size 0
		.amdhsa_wavefront_size32 1
		.amdhsa_uses_dynamic_stack 0
		.amdhsa_enable_private_segment 0
		.amdhsa_system_sgpr_workgroup_id_x 1
		.amdhsa_system_sgpr_workgroup_id_y 1
		.amdhsa_system_sgpr_workgroup_id_z 1
		.amdhsa_system_sgpr_workgroup_info 0
		.amdhsa_system_vgpr_workitem_id 0
		.amdhsa_next_free_vgpr 140
		.amdhsa_next_free_sgpr 36
		.amdhsa_reserve_vcc 1
		.amdhsa_float_round_mode_32 0
		.amdhsa_float_round_mode_16_64 0
		.amdhsa_float_denorm_mode_32 3
		.amdhsa_float_denorm_mode_16_64 3
		.amdhsa_dx10_clamp 1
		.amdhsa_ieee_mode 1
		.amdhsa_fp16_overflow 0
		.amdhsa_workgroup_processor_mode 1
		.amdhsa_memory_ordered 1
		.amdhsa_forward_progress 0
		.amdhsa_shared_vgpr_count 0
		.amdhsa_exception_fp_ieee_invalid_op 0
		.amdhsa_exception_fp_denorm_src 0
		.amdhsa_exception_fp_ieee_div_zero 0
		.amdhsa_exception_fp_ieee_overflow 0
		.amdhsa_exception_fp_ieee_underflow 0
		.amdhsa_exception_fp_ieee_inexact 0
		.amdhsa_exception_int_div_zero 0
	.end_amdhsa_kernel
	.section	.text._Z39paged_attention_ll4mi_QKV_mfma16_kernelI14__hip_bfloat16hLN4vllm18Fp8KVCacheDataTypeE1EhLi16ELi128ELi256ELb1ELi7EL8MFMAType0EEvPKT_PKT0_S9_ifPKiSB_SB_iPKfiiiPfSE_PS4_PT2_iSD_SD_,"axG",@progbits,_Z39paged_attention_ll4mi_QKV_mfma16_kernelI14__hip_bfloat16hLN4vllm18Fp8KVCacheDataTypeE1EhLi16ELi128ELi256ELb1ELi7EL8MFMAType0EEvPKT_PKT0_S9_ifPKiSB_SB_iPKfiiiPfSE_PS4_PT2_iSD_SD_,comdat
.Lfunc_end1796:
	.size	_Z39paged_attention_ll4mi_QKV_mfma16_kernelI14__hip_bfloat16hLN4vllm18Fp8KVCacheDataTypeE1EhLi16ELi128ELi256ELb1ELi7EL8MFMAType0EEvPKT_PKT0_S9_ifPKiSB_SB_iPKfiiiPfSE_PS4_PT2_iSD_SD_, .Lfunc_end1796-_Z39paged_attention_ll4mi_QKV_mfma16_kernelI14__hip_bfloat16hLN4vllm18Fp8KVCacheDataTypeE1EhLi16ELi128ELi256ELb1ELi7EL8MFMAType0EEvPKT_PKT0_S9_ifPKiSB_SB_iPKfiiiPfSE_PS4_PT2_iSD_SD_
                                        ; -- End function
	.section	.AMDGPU.csdata,"",@progbits
; Kernel info:
; codeLenInByte = 8952
; NumSgprs: 38
; NumVgprs: 140
; ScratchSize: 0
; MemoryBound: 0
; FloatMode: 240
; IeeeMode: 1
; LDSByteSize: 17472 bytes/workgroup (compile time only)
; SGPRBlocks: 4
; VGPRBlocks: 17
; NumSGPRsForWavesPerEU: 38
; NumVGPRsForWavesPerEU: 140
; Occupancy: 10
; WaveLimiterHint : 1
; COMPUTE_PGM_RSRC2:SCRATCH_EN: 0
; COMPUTE_PGM_RSRC2:USER_SGPR: 13
; COMPUTE_PGM_RSRC2:TRAP_HANDLER: 0
; COMPUTE_PGM_RSRC2:TGID_X_EN: 1
; COMPUTE_PGM_RSRC2:TGID_Y_EN: 1
; COMPUTE_PGM_RSRC2:TGID_Z_EN: 1
; COMPUTE_PGM_RSRC2:TIDIG_COMP_CNT: 0
	.section	.text._Z39paged_attention_ll4mi_QKV_mfma16_kernelI14__hip_bfloat16hLN4vllm18Fp8KVCacheDataTypeE1EhLi16ELi128ELi256ELb1ELi8EL8MFMAType0EEvPKT_PKT0_S9_ifPKiSB_SB_iPKfiiiPfSE_PS4_PT2_iSD_SD_,"axG",@progbits,_Z39paged_attention_ll4mi_QKV_mfma16_kernelI14__hip_bfloat16hLN4vllm18Fp8KVCacheDataTypeE1EhLi16ELi128ELi256ELb1ELi8EL8MFMAType0EEvPKT_PKT0_S9_ifPKiSB_SB_iPKfiiiPfSE_PS4_PT2_iSD_SD_,comdat
	.protected	_Z39paged_attention_ll4mi_QKV_mfma16_kernelI14__hip_bfloat16hLN4vllm18Fp8KVCacheDataTypeE1EhLi16ELi128ELi256ELb1ELi8EL8MFMAType0EEvPKT_PKT0_S9_ifPKiSB_SB_iPKfiiiPfSE_PS4_PT2_iSD_SD_ ; -- Begin function _Z39paged_attention_ll4mi_QKV_mfma16_kernelI14__hip_bfloat16hLN4vllm18Fp8KVCacheDataTypeE1EhLi16ELi128ELi256ELb1ELi8EL8MFMAType0EEvPKT_PKT0_S9_ifPKiSB_SB_iPKfiiiPfSE_PS4_PT2_iSD_SD_
	.globl	_Z39paged_attention_ll4mi_QKV_mfma16_kernelI14__hip_bfloat16hLN4vllm18Fp8KVCacheDataTypeE1EhLi16ELi128ELi256ELb1ELi8EL8MFMAType0EEvPKT_PKT0_S9_ifPKiSB_SB_iPKfiiiPfSE_PS4_PT2_iSD_SD_
	.p2align	8
	.type	_Z39paged_attention_ll4mi_QKV_mfma16_kernelI14__hip_bfloat16hLN4vllm18Fp8KVCacheDataTypeE1EhLi16ELi128ELi256ELb1ELi8EL8MFMAType0EEvPKT_PKT0_S9_ifPKiSB_SB_iPKfiiiPfSE_PS4_PT2_iSD_SD_,@function
_Z39paged_attention_ll4mi_QKV_mfma16_kernelI14__hip_bfloat16hLN4vllm18Fp8KVCacheDataTypeE1EhLi16ELi128ELi256ELb1ELi8EL8MFMAType0EEvPKT_PKT0_S9_ifPKiSB_SB_iPKfiiiPfSE_PS4_PT2_iSD_SD_: ; @_Z39paged_attention_ll4mi_QKV_mfma16_kernelI14__hip_bfloat16hLN4vllm18Fp8KVCacheDataTypeE1EhLi16ELi128ELi256ELb1ELi8EL8MFMAType0EEvPKT_PKT0_S9_ifPKiSB_SB_iPKfiiiPfSE_PS4_PT2_iSD_SD_
; %bb.0:
	s_load_b64 s[4:5], s[0:1], 0x30
	s_mov_b32 s30, s13
	s_waitcnt lgkmcnt(0)
	s_cmp_lg_u64 s[4:5], 0
	s_cselect_b32 s13, -1, 0
	s_ashr_i32 s31, s30, 31
	s_cmp_eq_u64 s[4:5], 0
	s_cbranch_scc1 .LBB1797_3
; %bb.1:
	s_lshl_b64 s[2:3], s[30:31], 2
	s_delay_alu instid0(SALU_CYCLE_1) | instskip(SKIP_4) | instid1(SALU_CYCLE_1)
	s_add_u32 s2, s4, s2
	s_addc_u32 s3, s5, s3
	s_load_b64 s[2:3], s[2:3], 0x0
	s_waitcnt lgkmcnt(0)
	s_sub_i32 s2, s3, s2
	s_cmp_eq_u32 s2, 1
	s_cselect_b32 s2, -1, 0
	s_delay_alu instid0(SALU_CYCLE_1)
	s_and_not1_b32 vcc_lo, exec_lo, s2
	s_cbranch_vccz .LBB1797_4
.LBB1797_2:
	s_endpgm
.LBB1797_3:
.LBB1797_4:
	s_load_b64 s[2:3], s[0:1], 0x28
	s_lshl_b64 s[6:7], s[30:31], 2
	s_waitcnt lgkmcnt(0)
	s_add_u32 s2, s2, s6
	s_addc_u32 s3, s3, s7
	s_lshl_b32 s12, s14, 8
	s_load_b32 s17, s[2:3], 0x0
	s_waitcnt lgkmcnt(0)
	s_cmp_ge_i32 s12, s17
	s_cbranch_scc1 .LBB1797_2
; %bb.5:
	s_clause 0x1
	s_load_b128 s[8:11], s[0:1], 0x8
	s_load_b64 s[2:3], s[0:1], 0x20
	s_and_not1_b32 vcc_lo, exec_lo, s13
	s_cbranch_vccnz .LBB1797_7
; %bb.6:
	s_add_u32 s4, s4, s6
	s_addc_u32 s5, s5, s7
	s_load_b32 s13, s[4:5], 0x0
	s_branch .LBB1797_8
.LBB1797_7:
	s_mov_b32 s13, s30
.LBB1797_8:
	s_load_b128 s[4:7], s[0:1], 0x48
	v_and_b32_e32 v66, 15, v0
	v_lshrrev_b32_e32 v65, 5, v0
	v_and_b32_e32 v67, 31, v0
	v_and_b32_e32 v75, 1, v0
	v_bfe_u32 v74, v0, 4, 1
	v_lshlrev_b32_e32 v1, 3, v66
	s_lshl_b32 s29, s15, 3
	s_waitcnt lgkmcnt(0)
	s_mov_b32 s7, exec_lo
	s_delay_alu instid0(VALU_DEP_1)
	v_lshlrev_b32_e32 v73, 1, v1
	v_cmpx_gt_u32_e32 0x80, v0
	s_cbranch_execz .LBB1797_10
; %bb.9:
	v_lshl_or_b32 v5, v65, 1, v74
	s_load_b64 s[18:19], s[0:1], 0x0
	s_mul_hi_i32 s21, s13, s4
	s_mul_i32 s20, s13, s4
	v_lshlrev_b32_e32 v6, 10, v66
	v_or_b32_e32 v1, s29, v5
	s_lshl_b64 s[20:21], s[20:21], 1
	v_lshlrev_b32_e32 v5, 6, v5
	v_lshlrev_b32_e32 v7, 10, v75
	v_and_b32_e32 v6, 0x3800, v6
	v_lshlrev_b32_e32 v1, 7, v1
	s_delay_alu instid0(VALU_DEP_2) | instskip(NEXT) | instid1(VALU_DEP_2)
	v_or3_b32 v5, v6, v7, v5
	v_ashrrev_i32_e32 v2, 31, v1
	s_delay_alu instid0(VALU_DEP_1) | instskip(SKIP_3) | instid1(VALU_DEP_1)
	v_lshlrev_b64 v[1:2], 1, v[1:2]
	s_waitcnt lgkmcnt(0)
	s_add_u32 s4, s18, s20
	s_addc_u32 s13, s19, s21
	v_add_co_u32 v1, vcc_lo, s4, v1
	s_delay_alu instid0(VALU_DEP_2) | instskip(NEXT) | instid1(VALU_DEP_2)
	v_add_co_ci_u32_e32 v2, vcc_lo, s13, v2, vcc_lo
	v_add_co_u32 v1, vcc_lo, v1, v73
	s_delay_alu instid0(VALU_DEP_2)
	v_add_co_ci_u32_e32 v2, vcc_lo, 0, v2, vcc_lo
	global_load_b128 v[1:4], v[1:2], off
	s_waitcnt vmcnt(0)
	ds_store_b128 v5, v[1:4]
.LBB1797_10:
	s_or_b32 exec_lo, exec_lo, s7
	v_and_b32_e32 v1, 0xef, v0
	s_add_i32 s4, s17, 15
	s_clause 0x1
	s_load_b32 s7, s[0:1], 0x38
	s_load_b32 s18, s[0:1], 0x1c
	s_ashr_i32 s13, s4, 31
	v_add_nc_u32_e32 v1, s12, v1
	s_lshr_b32 s13, s13, 28
	s_waitcnt lgkmcnt(0)
	s_add_i32 s4, s4, s13
	s_barrier
	v_ashrrev_i32_e32 v2, 31, v1
	v_or_b32_e32 v3, 16, v1
	s_ashr_i32 s4, s4, 4
	v_cmp_gt_i32_e32 vcc_lo, s17, v1
	s_add_i32 s4, s4, -1
	v_lshrrev_b32_e32 v2, 28, v2
	buffer_gl0_inv
	s_mul_i32 s15, s15, s6
	v_add_nc_u32_e32 v4, v1, v2
	s_mul_i32 s20, s30, s7
	s_delay_alu instid0(SALU_CYCLE_1) | instskip(NEXT) | instid1(VALU_DEP_1)
	s_ashr_i32 s21, s20, 31
	v_ashrrev_i32_e32 v4, 4, v4
	v_add_nc_u32_e32 v2, v3, v2
	s_lshl_b64 s[20:21], s[20:21], 2
	s_delay_alu instid0(SALU_CYCLE_1) | instskip(NEXT) | instid1(VALU_DEP_2)
	s_add_u32 s13, s2, s20
	v_cndmask_b32_e32 v1, s4, v4, vcc_lo
	s_delay_alu instid0(VALU_DEP_2)
	v_ashrrev_i32_e32 v2, 4, v2
	v_cmp_gt_i32_e32 vcc_lo, s17, v3
	s_addc_u32 s16, s3, s21
	s_ashr_i32 s19, s15, 31
	s_add_u32 s26, s8, s15
	s_addc_u32 s27, s9, s19
	v_cndmask_b32_e32 v3, s4, v2, vcc_lo
	v_ashrrev_i32_e32 v2, 31, v1
	s_lshl_b32 s2, s14, 4
	s_delay_alu instid0(SALU_CYCLE_1) | instskip(NEXT) | instid1(VALU_DEP_2)
	s_ashr_i32 s3, s2, 31
	v_ashrrev_i32_e32 v4, 31, v3
	s_delay_alu instid0(VALU_DEP_2) | instskip(SKIP_1) | instid1(SALU_CYCLE_1)
	v_lshlrev_b64 v[1:2], 2, v[1:2]
	s_lshl_b64 s[2:3], s[2:3], 2
	s_add_u32 s2, s13, s2
	s_delay_alu instid0(VALU_DEP_2) | instskip(SKIP_1) | instid1(VALU_DEP_2)
	v_lshlrev_b64 v[3:4], 2, v[3:4]
	s_addc_u32 s3, s16, s3
	v_add_co_u32 v1, vcc_lo, s13, v1
	v_add_co_ci_u32_e32 v2, vcc_lo, s16, v2, vcc_lo
	s_delay_alu instid0(VALU_DEP_3) | instskip(NEXT) | instid1(VALU_DEP_4)
	v_add_co_u32 v3, vcc_lo, s13, v3
	v_add_co_ci_u32_e32 v4, vcc_lo, s16, v4, vcc_lo
	s_clause 0x1
	global_load_b32 v5, v[1:2], off
	global_load_b32 v3, v[3:4], off
	s_or_b32 s6, s12, 32
	s_delay_alu instid0(SALU_CYCLE_1) | instskip(SKIP_2) | instid1(SALU_CYCLE_1)
	s_ashr_i32 s7, s6, 4
	s_cmp_lt_i32 s6, s17
	s_cselect_b32 s6, s7, s4
	s_ashr_i32 s7, s6, 31
	s_delay_alu instid0(SALU_CYCLE_1) | instskip(NEXT) | instid1(SALU_CYCLE_1)
	s_lshl_b64 s[6:7], s[6:7], 2
	s_add_u32 s6, s13, s6
	s_addc_u32 s7, s16, s7
	s_or_b32 s8, s12, 64
	s_delay_alu instid0(SALU_CYCLE_1) | instskip(SKIP_2) | instid1(SALU_CYCLE_1)
	s_ashr_i32 s9, s8, 4
	s_cmp_lt_i32 s8, s17
	s_cselect_b32 s8, s9, s4
	s_ashr_i32 s9, s8, 31
	s_delay_alu instid0(SALU_CYCLE_1) | instskip(NEXT) | instid1(SALU_CYCLE_1)
	s_lshl_b64 s[8:9], s[8:9], 2
	s_add_u32 s8, s13, s8
	s_addc_u32 s9, s16, s9
	;; [unrolled: 10-line block ×5, first 2 shown]
	s_clause 0x5
	s_load_b32 s28, s[2:3], 0x0
	s_load_b32 s31, s[6:7], 0x0
	;; [unrolled: 1-line block ×6, first 2 shown]
	s_mov_b32 s20, 0
	s_or_b32 s2, s12, 0xc0
	s_mov_b32 s21, s20
	s_mov_b32 s22, s20
	;; [unrolled: 1-line block ×5, first 2 shown]
	v_lshlrev_b32_e32 v1, 4, v0
	s_ashr_i32 s3, s2, 4
	s_cmp_lt_i32 s2, s17
	s_cselect_b32 s2, s3, s4
	s_delay_alu instid0(VALU_DEP_1) | instskip(SKIP_1) | instid1(SALU_CYCLE_1)
	v_and_b32_e32 v1, 0xf0, v1
	s_ashr_i32 s3, s2, 31
	s_lshl_b64 s[2:3], s[2:3], 2
	s_delay_alu instid0(VALU_DEP_1) | instskip(NEXT) | instid1(VALU_DEP_1)
	v_add_co_u32 v1, s26, s26, v1
	v_add_co_ci_u32_e64 v2, null, s27, 0, s26
	s_add_u32 s2, s13, s2
	s_addc_u32 s3, s16, s3
	s_or_b32 s6, s12, 0xe0
	s_mov_b32 s26, s20
	s_ashr_i32 s7, s6, 4
	s_cmp_lt_i32 s6, s17
	s_mov_b32 s27, s20
	s_cselect_b32 s6, s7, s4
	v_dual_mov_b32 v107, s27 :: v_dual_mov_b32 v100, s20
	s_ashr_i32 s7, s6, 31
	v_mov_b32_e32 v106, s26
	s_lshl_b64 s[6:7], s[6:7], 2
	v_dual_mov_b32 v104, s24 :: v_dual_mov_b32 v103, s23
	v_dual_mov_b32 v102, s22 :: v_dual_mov_b32 v101, s21
	v_mov_b32_e32 v105, s25
	s_waitcnt vmcnt(1)
	v_mad_i64_i32 v[33:34], null, v5, s5, v[1:2]
	s_waitcnt vmcnt(0)
	v_mad_i64_i32 v[35:36], null, v3, s5, v[1:2]
	s_clause 0xf
	global_load_b128 v[1:4], v[33:34], off
	global_load_b128 v[5:8], v[33:34], off offset:256
	global_load_b128 v[9:12], v[35:36], off
	global_load_b128 v[13:16], v[35:36], off offset:256
	global_load_b128 v[17:20], v[33:34], off offset:512
	;; [unrolled: 1-line block ×13, first 2 shown]
	v_and_b32_e32 v33, 7, v0
	v_lshlrev_b32_e32 v34, 4, v66
	s_delay_alu instid0(VALU_DEP_2) | instskip(NEXT) | instid1(VALU_DEP_2)
	v_lshlrev_b32_e32 v72, 6, v33
	v_lshl_or_b32 v41, v65, 8, v34
	ds_load_b128 v[33:36], v72
	ds_load_b128 v[37:40], v72 offset:1024
	ds_load_b128 v[108:111], v72 offset:2048
	;; [unrolled: 1-line block ×3, first 2 shown]
	s_load_b32 s4, s[2:3], 0x0
	s_add_u32 s2, s13, s6
	s_addc_u32 s3, s16, s7
	ds_load_b128 v[116:119], v72 offset:4096
	ds_load_b128 v[120:123], v72 offset:5120
	s_load_b32 s2, s[2:3], 0x0
	s_add_u32 s6, s10, s15
	s_addc_u32 s7, s11, s19
	v_add_co_u32 v68, s6, s6, v41
	s_delay_alu instid0(VALU_DEP_1) | instskip(SKIP_1) | instid1(VALU_DEP_1)
	v_add_co_ci_u32_e64 v69, null, s7, 0, s6
	s_waitcnt lgkmcnt(0)
	v_mad_i64_i32 v[41:42], null, s28, s5, v[68:69]
	v_mad_i64_i32 v[70:71], null, s8, s5, v[68:69]
	;; [unrolled: 1-line block ×7, first 2 shown]
	s_clause 0x3
	global_load_b128 v[49:52], v[41:42], off
	global_load_b128 v[53:56], v[41:42], off offset:16
	global_load_b128 v[41:44], v[45:46], off
	global_load_b128 v[45:48], v[45:46], off offset:16
	s_waitcnt vmcnt(18)
	v_wmma_f32_16x16x16_bf16 v[124:131], v[1:8], v[33:40], v[100:107]
	s_waitcnt vmcnt(16)
	v_wmma_f32_16x16x16_bf16 v[100:107], v[9:16], v[33:40], v[100:107]
	s_clause 0x1
	global_load_b128 v[33:36], v[70:71], off
	global_load_b128 v[37:40], v[70:71], off offset:16
	v_mad_i64_i32 v[70:71], null, s2, s5, v[68:69]
	s_waitcnt vmcnt(16)
	v_wmma_f32_16x16x16_bf16 v[124:131], v[17:24], v[108:115], v[124:131]
	s_waitcnt vmcnt(14)
	v_wmma_f32_16x16x16_bf16 v[100:107], v[25:32], v[108:115], v[100:107]
	s_clause 0x7
	global_load_b128 v[25:28], v[132:133], off
	global_load_b128 v[29:32], v[132:133], off offset:16
	global_load_b128 v[1:4], v[134:135], off
	global_load_b128 v[5:8], v[134:135], off offset:16
	;; [unrolled: 2-line block ×4, first 2 shown]
	s_waitcnt vmcnt(20)
	v_wmma_f32_16x16x16_bf16 v[124:131], v[57:64], v[116:123], v[124:131]
	s_clause 0x1
	global_load_b128 v[57:60], v[70:71], off
	global_load_b128 v[61:64], v[70:71], off offset:16
	s_waitcnt vmcnt(20)
	v_wmma_f32_16x16x16_bf16 v[100:107], v[76:83], v[116:123], v[100:107]
	ds_load_b128 v[76:79], v72 offset:6144
	ds_load_b128 v[80:83], v72 offset:7168
	v_and_b32_e32 v68, 0xe0, v0
	v_mbcnt_lo_u32_b32 v69, -1, 0
	s_waitcnt vmcnt(0) lgkmcnt(0)
	s_barrier
	buffer_gl0_inv
	v_add_nc_u32_e32 v68, s12, v68
	v_xor_b32_e32 v70, 16, v69
	s_delay_alu instid0(VALU_DEP_2) | instskip(NEXT) | instid1(VALU_DEP_2)
	v_or_b32_e32 v68, v68, v74
	v_cmp_gt_i32_e32 vcc_lo, 32, v70
	s_delay_alu instid0(VALU_DEP_2)
	v_or_b32_e32 v71, 4, v68
	v_or_b32_e32 v72, 6, v68
	v_cmp_gt_i32_e64 s2, s17, v68
	v_or_b32_e32 v108, 8, v68
	v_wmma_f32_16x16x16_bf16 v[124:131], v[84:91], v[76:83], v[124:131]
	v_cndmask_b32_e32 v69, v69, v70, vcc_lo
	v_or_b32_e32 v70, 2, v68
	v_wmma_f32_16x16x16_bf16 v[100:107], v[92:99], v[76:83], v[100:107]
	v_or_b32_e32 v109, 10, v68
	v_dual_mul_f32 v80, s18, v129 :: v_dual_mul_f32 v81, s18, v128
	v_dual_mul_f32 v92, s18, v125 :: v_dual_mul_f32 v93, s18, v124
	s_delay_alu instid0(VALU_DEP_4)
	v_mul_f32_e32 v96, s18, v105
	v_cmp_gt_i32_e32 vcc_lo, s17, v70
	v_or_b32_e32 v89, 22, v68
	v_dual_mul_f32 v79, s18, v130 :: v_dual_mul_f32 v82, s18, v127
	v_dual_mul_f32 v83, s18, v126 :: v_dual_mul_f32 v94, s18, v107
	v_cndmask_b32_e64 v93, 0xff7fffff, v93, s2
	v_cndmask_b32_e32 v92, 0xff7fffff, v92, vcc_lo
	v_cmp_gt_i32_e64 s3, s17, v71
	v_cmp_gt_i32_e64 s4, s17, v72
	v_or_b32_e32 v84, 12, v68
	v_or_b32_e32 v85, 14, v68
	v_cmp_gt_i32_e64 s5, s17, v108
	v_cndmask_b32_e64 v71, 0xff7fffff, v83, s3
	v_cndmask_b32_e64 v72, 0xff7fffff, v82, s4
	v_cmp_gt_i32_e64 s6, s17, v109
	v_cmp_gt_i32_e64 s12, s17, v89
	v_lshlrev_b32_e32 v89, 2, v69
	v_max3_f32 v82, v93, 0xff7fffff, v92
	v_or_b32_e32 v86, 16, v68
	v_or_b32_e32 v87, 18, v68
	v_mul_f32_e32 v78, s18, v131
	v_cndmask_b32_e64 v81, 0xff7fffff, v81, s5
	v_cndmask_b32_e64 v80, 0xff7fffff, v80, s6
	v_max3_f32 v71, v82, v71, v72
	v_cmp_gt_i32_e64 s7, s17, v84
	v_cmp_gt_i32_e64 s8, s17, v85
	v_or_b32_e32 v88, 20, v68
	v_or_b32_e32 v90, 24, v68
	;; [unrolled: 1-line block ×5, first 2 shown]
	v_dual_mul_f32 v97, s18, v104 :: v_dual_mul_f32 v70, s18, v101
	v_dual_mul_f32 v99, s18, v102 :: v_dual_mul_f32 v68, s18, v100
	v_cndmask_b32_e64 v72, 0xff7fffff, v79, s7
	v_cndmask_b32_e64 v78, 0xff7fffff, v78, s8
	v_max3_f32 v71, v71, v81, v80
	v_cmp_gt_i32_e64 s9, s17, v86
	v_cmp_gt_i32_e64 s10, s17, v87
	v_dual_mul_f32 v95, s18, v106 :: v_dual_mul_f32 v98, s18, v103
	s_delay_alu instid0(VALU_DEP_4) | instskip(NEXT) | instid1(VALU_DEP_4)
	v_max3_f32 v71, v71, v72, v78
	v_cndmask_b32_e64 v68, 0xff7fffff, v68, s9
	s_delay_alu instid0(VALU_DEP_4)
	v_cndmask_b32_e64 v70, 0xff7fffff, v70, s10
	v_cmp_gt_i32_e64 s11, s17, v88
	v_cndmask_b32_e64 v78, 0xff7fffff, v98, s12
	v_cmp_gt_i32_e64 s13, s17, v90
	v_cmp_gt_i32_e64 s15, s17, v91
	v_max3_f32 v68, v71, v68, v70
	v_cndmask_b32_e64 v72, 0xff7fffff, v99, s11
	v_cmp_gt_i32_e64 s16, s17, v76
	v_cndmask_b32_e64 v70, 0xff7fffff, v97, s13
	v_cndmask_b32_e64 v71, 0xff7fffff, v96, s15
	v_cmp_gt_i32_e64 s17, s17, v77
	v_max3_f32 v68, v68, v72, v78
	v_cndmask_b32_e64 v72, 0xff7fffff, v95, s16
	s_delay_alu instid0(VALU_DEP_3) | instskip(NEXT) | instid1(VALU_DEP_3)
	v_cndmask_b32_e64 v76, 0xff7fffff, v94, s17
	v_max3_f32 v68, v68, v70, v71
	s_delay_alu instid0(VALU_DEP_1) | instskip(SKIP_3) | instid1(VALU_DEP_1)
	v_max3_f32 v68, v68, v72, v76
	ds_bpermute_b32 v69, v89, v68
	s_waitcnt lgkmcnt(0)
	v_max_f32_e32 v69, v69, v69
	v_max_f32_e32 v68, v68, v69
	s_delay_alu instid0(VALU_DEP_1) | instskip(NEXT) | instid1(VALU_DEP_1)
	v_fma_f32 v71, s18, v126, -v68
	v_mul_f32_e32 v71, 0x3fb8aa3b, v71
	v_fma_f32 v70, s18, v125, -v68
	v_fma_f32 v69, s18, v124, -v68
	;; [unrolled: 1-line block ×5, first 2 shown]
	s_delay_alu instid0(VALU_DEP_4) | instskip(SKIP_1) | instid1(VALU_DEP_3)
	v_dual_mul_f32 v70, 0x3fb8aa3b, v70 :: v_dual_mul_f32 v69, 0x3fb8aa3b, v69
	v_exp_f32_e32 v71, v71
	v_mul_f32_e32 v72, 0x3fb8aa3b, v72
	v_fma_f32 v81, s18, v105, -v68
	s_delay_alu instid0(VALU_DEP_3)
	v_exp_f32_e32 v70, v70
	v_mul_f32_e32 v77, 0x3fb8aa3b, v76
	v_exp_f32_e32 v69, v69
	v_exp_f32_e32 v72, v72
	v_mul_f32_e32 v81, 0x3fb8aa3b, v81
	v_cndmask_b32_e64 v83, 0, v71, s3
	v_fma_f32 v71, s18, v131, -v68
	s_delay_alu instid0(VALU_DEP_3) | instskip(SKIP_4) | instid1(TRANS32_DEP_3)
	v_exp_f32_e32 v81, v81
	v_cndmask_b32_e32 v76, 0, v70, vcc_lo
	v_exp_f32_e32 v77, v77
	v_cndmask_b32_e64 v80, 0, v69, s2
	v_fma_f32 v69, s18, v129, -v68
	v_cndmask_b32_e64 v85, 0, v72, s4
	v_mul_f32_e32 v71, 0x3fb8aa3b, v71
	v_fma_f32 v72, s18, v100, -v68
	s_delay_alu instid0(VALU_DEP_4) | instskip(SKIP_1) | instid1(VALU_DEP_3)
	v_dual_add_f32 v70, 0, v80 :: v_dual_mul_f32 v69, 0x3fb8aa3b, v69
	s_mov_b32 s2, exec_lo
	v_exp_f32_e32 v71, v71
	s_delay_alu instid0(TRANS32_DEP_2) | instskip(SKIP_4) | instid1(VALU_DEP_3)
	v_cndmask_b32_e64 v86, 0, v77, s5
	v_fma_f32 v77, s18, v101, -v68
	v_mul_f32_e32 v78, 0x3fb8aa3b, v78
	v_add_f32_e32 v70, v70, v76
	v_exp_f32_e32 v69, v69
	v_mul_f32_e32 v77, 0x3fb8aa3b, v77
	s_delay_alu instid0(VALU_DEP_3) | instskip(NEXT) | instid1(TRANS32_DEP_3)
	v_exp_f32_e32 v78, v78
	v_cndmask_b32_e64 v88, 0, v71, s8
	v_fma_f32 v71, s18, v104, -v68
	s_delay_alu instid0(VALU_DEP_3) | instskip(NEXT) | instid1(TRANS32_DEP_3)
	v_exp_f32_e32 v77, v77
	v_cndmask_b32_e64 v87, 0, v69, s6
	s_delay_alu instid0(VALU_DEP_2)
	v_mul_f32_e32 v71, 0x3fb8aa3b, v71
	s_waitcnt_depctr 0xfff
	v_cndmask_b32_e64 v84, 0, v78, s7
	v_add_f32_e32 v70, v70, v83
	v_fma_f32 v78, s18, v103, -v68
	v_exp_f32_e32 v82, v71
	s_delay_alu instid0(VALU_DEP_2) | instskip(SKIP_1) | instid1(VALU_DEP_3)
	v_add_f32_e32 v70, v70, v85
	v_mul_f32_e32 v72, 0x3fb8aa3b, v72
	v_mul_f32_e32 v78, 0x3fb8aa3b, v78
	s_delay_alu instid0(VALU_DEP_3) | instskip(SKIP_1) | instid1(VALU_DEP_4)
	v_add_f32_e32 v69, v70, v86
	v_fma_f32 v70, s18, v102, -v68
	v_exp_f32_e32 v72, v72
	s_delay_alu instid0(VALU_DEP_3) | instskip(NEXT) | instid1(VALU_DEP_1)
	v_exp_f32_e32 v78, v78
	v_dual_add_f32 v69, v69, v87 :: v_dual_mul_f32 v70, 0x3fb8aa3b, v70
	s_delay_alu instid0(VALU_DEP_1) | instskip(NEXT) | instid1(VALU_DEP_2)
	v_add_f32_e32 v69, v69, v84
	v_exp_f32_e32 v79, v70
	s_delay_alu instid0(TRANS32_DEP_3) | instskip(NEXT) | instid1(VALU_DEP_2)
	v_cndmask_b32_e64 v70, 0, v72, s9
	v_add_f32_e32 v72, v69, v88
	v_cndmask_b32_e64 v69, 0, v77, s10
	v_fma_f32 v77, s18, v106, -v68
	s_waitcnt_depctr 0xfff
	v_cndmask_b32_e64 v71, 0, v79, s11
	v_dual_mul_f32 v77, 0x3fb8aa3b, v77 :: v_dual_add_f32 v72, v72, v70
	s_delay_alu instid0(VALU_DEP_1) | instskip(NEXT) | instid1(VALU_DEP_1)
	v_exp_f32_e32 v90, v77
	v_add_f32_e32 v79, v72, v69
	v_cndmask_b32_e64 v72, 0, v78, s12
	v_cndmask_b32_e64 v77, 0, v82, s13
	s_delay_alu instid0(VALU_DEP_3) | instskip(SKIP_1) | instid1(VALU_DEP_1)
	v_add_f32_e32 v78, v79, v71
	v_fma_f32 v79, s18, v107, -v68
	v_dual_add_f32 v82, v78, v72 :: v_dual_mul_f32 v79, 0x3fb8aa3b, v79
	v_cndmask_b32_e64 v78, 0, v81, s15
	s_delay_alu instid0(VALU_DEP_2) | instskip(NEXT) | instid1(VALU_DEP_3)
	v_add_f32_e32 v81, v82, v77
	v_exp_f32_e32 v82, v79
	v_cndmask_b32_e64 v79, 0, v90, s16
	s_delay_alu instid0(VALU_DEP_2) | instskip(NEXT) | instid1(VALU_DEP_1)
	v_add_f32_e32 v81, v81, v78
	v_add_f32_e32 v90, v81, v79
	s_waitcnt_depctr 0xfff
	v_cndmask_b32_e64 v81, 0, v82, s17
	s_delay_alu instid0(VALU_DEP_1)
	v_add_f32_e32 v82, v90, v81
	ds_bpermute_b32 v89, v89, v82
	v_cmpx_gt_u32_e32 16, v67
	s_cbranch_execz .LBB1797_12
; %bb.11:
	v_mul_u32_u24_e32 v67, 0x44, v65
	s_delay_alu instid0(VALU_DEP_1) | instskip(SKIP_1) | instid1(VALU_DEP_1)
	v_lshl_add_u32 v67, v66, 2, v67
	s_waitcnt lgkmcnt(0)
	v_dual_add_f32 v82, v82, v89 :: v_dual_add_nc_u32 v67, 0x4000, v67
	ds_store_2addr_b32 v67, v68, v82 offset1:136
.LBB1797_12:
	s_or_b32 exec_lo, exec_lo, s2
	v_lshlrev_b32_e32 v67, 2, v66
	s_waitcnt lgkmcnt(0)
	s_barrier
	buffer_gl0_inv
	v_cmp_eq_u32_e32 vcc_lo, 1, v65
	v_add_nc_u32_e32 v82, 0x4000, v67
	v_cmp_eq_u32_e64 s2, 2, v65
	v_cmp_eq_u32_e64 s4, 7, v65
	ds_load_2addr_b32 v[89:90], v82 offset1:17
	ds_load_2addr_b32 v[91:92], v82 offset0:34 offset1:51
	ds_load_2addr_b32 v[93:94], v82 offset0:68 offset1:85
	ds_load_2addr_b32 v[95:96], v82 offset0:102 offset1:119
	ds_load_2addr_b32 v[97:98], v82 offset0:136 offset1:153
	s_waitcnt lgkmcnt(4)
	v_max3_f32 v67, v89, 0xff7fffff, v90
	s_waitcnt lgkmcnt(3)
	s_delay_alu instid0(VALU_DEP_1) | instskip(SKIP_1) | instid1(VALU_DEP_1)
	v_max3_f32 v67, v67, v91, v92
	s_waitcnt lgkmcnt(2)
	v_max3_f32 v67, v67, v93, v94
	s_waitcnt lgkmcnt(1)
	s_delay_alu instid0(VALU_DEP_1) | instskip(NEXT) | instid1(VALU_DEP_1)
	v_max3_f32 v67, v67, v95, v96
	v_sub_f32_e32 v93, v93, v67
	s_delay_alu instid0(VALU_DEP_1) | instskip(NEXT) | instid1(VALU_DEP_1)
	v_dual_sub_f32 v68, v89, v67 :: v_dual_mul_f32 v103, 0x3fb8aa3b, v93
	v_mul_f32_e32 v68, 0x3fb8aa3b, v68
	s_delay_alu instid0(VALU_DEP_1)
	v_exp_f32_e32 v100, v68
	v_sub_f32_e32 v68, v92, v67
	v_sub_f32_e32 v99, v90, v67
	ds_load_2addr_b32 v[89:90], v82 offset0:170 offset1:187
	v_dual_mul_f32 v102, 0x3fb8aa3b, v68 :: v_dual_mul_f32 v99, 0x3fb8aa3b, v99
	s_waitcnt lgkmcnt(1)
	v_fma_f32 v68, v100, v97, 0
	s_delay_alu instid0(VALU_DEP_2) | instskip(NEXT) | instid1(VALU_DEP_2)
	v_exp_f32_e32 v102, v102
	v_exp_f32_e32 v99, v99
	s_waitcnt_depctr 0xfff
	v_fmac_f32_e32 v68, v99, v98
	v_sub_f32_e32 v91, v91, v67
	s_delay_alu instid0(VALU_DEP_1)
	v_mul_f32_e32 v101, 0x3fb8aa3b, v91
	ds_load_2addr_b32 v[91:92], v82 offset0:204 offset1:221
	v_sub_f32_e32 v97, v94, v67
	ds_load_2addr_b32 v[93:94], v82 offset0:238 offset1:255
	s_waitcnt lgkmcnt(0)
	v_exp_f32_e32 v101, v101
	s_barrier
	buffer_gl0_inv
	v_dual_fmac_f32 v68, v101, v89 :: v_dual_sub_f32 v89, v96, v67
	v_dual_sub_f32 v82, v95, v67 :: v_dual_mul_f32 v95, 0x3fb8aa3b, v97
	v_exp_f32_e32 v97, v103
	s_delay_alu instid0(VALU_DEP_2) | instskip(NEXT) | instid1(VALU_DEP_2)
	v_dual_fmac_f32 v68, v102, v90 :: v_dual_mul_f32 v89, 0x3fb8aa3b, v89
	v_mul_f32_e32 v82, 0x3fb8aa3b, v82
	s_delay_alu instid0(VALU_DEP_3) | instskip(NEXT) | instid1(VALU_DEP_2)
	v_exp_f32_e32 v95, v95
	v_exp_f32_e32 v89, v89
	s_delay_alu instid0(VALU_DEP_1)
	v_exp_f32_e32 v82, v82
	v_fmac_f32_e32 v68, v97, v91
	s_delay_alu instid0(TRANS32_DEP_3) | instid1(VALU_DEP_1)
	v_fmac_f32_e32 v68, v95, v92
	s_waitcnt_depctr 0xfff
	v_fmac_f32_e32 v68, v82, v93
	s_delay_alu instid0(VALU_DEP_1) | instskip(NEXT) | instid1(VALU_DEP_1)
	v_fmac_f32_e32 v68, v89, v94
	v_add_f32_e32 v90, 0x358637bd, v68
	s_delay_alu instid0(VALU_DEP_1) | instskip(NEXT) | instid1(VALU_DEP_1)
	v_div_scale_f32 v91, null, v90, v90, 1.0
	v_rcp_f32_e32 v92, v91
	s_waitcnt_depctr 0xfff
	v_fma_f32 v93, -v91, v92, 1.0
	s_delay_alu instid0(VALU_DEP_1) | instskip(SKIP_1) | instid1(VALU_DEP_2)
	v_dual_fmac_f32 v92, v93, v92 :: v_dual_cndmask_b32 v93, v100, v99
	v_cmp_eq_u32_e32 vcc_lo, 3, v65
	v_cndmask_b32_e64 v93, v93, v101, s2
	v_cmp_eq_u32_e64 s2, 4, v65
	s_delay_alu instid0(VALU_DEP_2) | instskip(SKIP_1) | instid1(VALU_DEP_2)
	v_cndmask_b32_e32 v93, v93, v102, vcc_lo
	v_cmp_eq_u32_e32 vcc_lo, 5, v65
	v_cndmask_b32_e64 v93, v93, v97, s2
	v_cmp_eq_u32_e64 s2, 6, v65
	s_delay_alu instid0(VALU_DEP_2) | instskip(SKIP_1) | instid1(VALU_DEP_1)
	v_cndmask_b32_e32 v93, v93, v95, vcc_lo
	v_div_scale_f32 v94, s3, 1.0, v90, 1.0
	s_mov_b32 vcc_lo, s3
	s_delay_alu instid0(VALU_DEP_2) | instskip(NEXT) | instid1(VALU_DEP_2)
	v_cndmask_b32_e64 v82, v93, v82, s2
	v_mul_f32_e32 v96, v94, v92
	s_mov_b32 s2, exec_lo
	s_delay_alu instid0(VALU_DEP_2) | instskip(NEXT) | instid1(VALU_DEP_2)
	v_cndmask_b32_e64 v82, v82, v89, s4
	v_fma_f32 v98, -v91, v96, v94
	s_delay_alu instid0(VALU_DEP_1) | instskip(NEXT) | instid1(VALU_DEP_1)
	v_fmac_f32_e32 v96, v98, v92
	v_fma_f32 v91, -v91, v96, v94
	s_delay_alu instid0(VALU_DEP_1) | instskip(NEXT) | instid1(VALU_DEP_1)
	v_div_fmas_f32 v91, v91, v92, v96
	v_div_fixup_f32 v90, v91, v90, 1.0
	s_delay_alu instid0(VALU_DEP_1) | instskip(NEXT) | instid1(VALU_DEP_1)
	v_mul_f32_e32 v82, v82, v90
	v_mul_f32_e32 v87, v82, v87
	;; [unrolled: 1-line block ×7, first 2 shown]
	v_dual_mul_f32 v86, v82, v83 :: v_dual_and_b32 v91, 0x7f800000, v90
	v_mul_f32_e32 v85, v82, v76
                                        ; implicit-def: $vgpr76
	s_delay_alu instid0(VALU_DEP_2)
	v_cmpx_ne_u32_e32 0x7f800000, v91
	s_xor_b32 s2, exec_lo, s2
; %bb.13:
	v_bfe_u32 v76, v90, 16, 1
	s_delay_alu instid0(VALU_DEP_1)
	v_add3_u32 v76, v90, v76, 0x7fff
                                        ; implicit-def: $vgpr90
; %bb.14:
	s_and_not1_saveexec_b32 s2, s2
; %bb.15:
	v_and_b32_e32 v76, 0xffff, v90
	v_or_b32_e32 v83, 0x10000, v90
	s_delay_alu instid0(VALU_DEP_2) | instskip(NEXT) | instid1(VALU_DEP_2)
	v_cmp_eq_u32_e32 vcc_lo, 0, v76
	v_cndmask_b32_e32 v76, v83, v90, vcc_lo
; %bb.16:
	s_or_b32 exec_lo, exec_lo, s2
	v_and_b32_e32 v83, 0x7f800000, v85
	s_delay_alu instid0(VALU_DEP_1) | instskip(SKIP_1) | instid1(SALU_CYCLE_1)
	v_cmp_ne_u32_e32 vcc_lo, 0x7f800000, v83
                                        ; implicit-def: $vgpr83
	s_and_saveexec_b32 s2, vcc_lo
	s_xor_b32 s2, exec_lo, s2
; %bb.17:
	v_bfe_u32 v83, v85, 16, 1
	s_delay_alu instid0(VALU_DEP_1)
	v_add3_u32 v83, v85, v83, 0x7fff
                                        ; implicit-def: $vgpr85
; %bb.18:
	s_and_not1_saveexec_b32 s2, s2
; %bb.19:
	v_and_b32_e32 v83, 0xffff, v85
	v_or_b32_e32 v90, 0x10000, v85
	s_delay_alu instid0(VALU_DEP_2) | instskip(NEXT) | instid1(VALU_DEP_2)
	v_cmp_eq_u32_e32 vcc_lo, 0, v83
	v_cndmask_b32_e32 v83, v90, v85, vcc_lo
; %bb.20:
	s_or_b32 exec_lo, exec_lo, s2
	v_and_b32_e32 v85, 0x7f800000, v86
	s_delay_alu instid0(VALU_DEP_1) | instskip(SKIP_1) | instid1(SALU_CYCLE_1)
	v_cmp_ne_u32_e32 vcc_lo, 0x7f800000, v85
                                        ; implicit-def: $vgpr85
	s_and_saveexec_b32 s2, vcc_lo
	s_xor_b32 s2, exec_lo, s2
; %bb.21:
	v_bfe_u32 v85, v86, 16, 1
	s_delay_alu instid0(VALU_DEP_1)
	v_add3_u32 v85, v86, v85, 0x7fff
                                        ; implicit-def: $vgpr86
; %bb.22:
	s_and_not1_saveexec_b32 s2, s2
; %bb.23:
	v_and_b32_e32 v85, 0xffff, v86
	v_or_b32_e32 v90, 0x10000, v86
	s_delay_alu instid0(VALU_DEP_2) | instskip(NEXT) | instid1(VALU_DEP_2)
	v_cmp_eq_u32_e32 vcc_lo, 0, v85
	v_cndmask_b32_e32 v85, v90, v86, vcc_lo
; %bb.24:
	s_or_b32 exec_lo, exec_lo, s2
	v_and_b32_e32 v86, 0x7f800000, v89
	s_delay_alu instid0(VALU_DEP_1) | instskip(SKIP_1) | instid1(SALU_CYCLE_1)
	v_cmp_ne_u32_e32 vcc_lo, 0x7f800000, v86
                                        ; implicit-def: $vgpr86
	s_and_saveexec_b32 s2, vcc_lo
	s_xor_b32 s2, exec_lo, s2
; %bb.25:
	v_bfe_u32 v86, v89, 16, 1
	s_delay_alu instid0(VALU_DEP_1)
	v_add3_u32 v86, v89, v86, 0x7fff
                                        ; implicit-def: $vgpr89
; %bb.26:
	s_and_not1_saveexec_b32 s2, s2
; %bb.27:
	v_and_b32_e32 v86, 0xffff, v89
	v_or_b32_e32 v90, 0x10000, v89
	s_delay_alu instid0(VALU_DEP_2) | instskip(NEXT) | instid1(VALU_DEP_2)
	v_cmp_eq_u32_e32 vcc_lo, 0, v86
	v_cndmask_b32_e32 v86, v90, v89, vcc_lo
; %bb.28:
	s_or_b32 exec_lo, exec_lo, s2
	v_and_b32_e32 v89, 0x7f800000, v88
	s_delay_alu instid0(VALU_DEP_1) | instskip(SKIP_1) | instid1(SALU_CYCLE_1)
	v_cmp_ne_u32_e32 vcc_lo, 0x7f800000, v89
                                        ; implicit-def: $vgpr89
	s_and_saveexec_b32 s2, vcc_lo
	s_xor_b32 s2, exec_lo, s2
; %bb.29:
	v_bfe_u32 v89, v88, 16, 1
	s_delay_alu instid0(VALU_DEP_1)
	v_add3_u32 v89, v88, v89, 0x7fff
                                        ; implicit-def: $vgpr88
; %bb.30:
	s_and_not1_saveexec_b32 s2, s2
; %bb.31:
	v_and_b32_e32 v89, 0xffff, v88
	v_or_b32_e32 v90, 0x10000, v88
	s_delay_alu instid0(VALU_DEP_2) | instskip(NEXT) | instid1(VALU_DEP_2)
	v_cmp_eq_u32_e32 vcc_lo, 0, v89
	v_cndmask_b32_e32 v89, v90, v88, vcc_lo
; %bb.32:
	s_or_b32 exec_lo, exec_lo, s2
	v_and_b32_e32 v88, 0x7f800000, v87
	s_delay_alu instid0(VALU_DEP_1) | instskip(SKIP_1) | instid1(SALU_CYCLE_1)
	v_cmp_ne_u32_e32 vcc_lo, 0x7f800000, v88
                                        ; implicit-def: $vgpr88
	s_and_saveexec_b32 s2, vcc_lo
	s_xor_b32 s2, exec_lo, s2
; %bb.33:
	v_bfe_u32 v88, v87, 16, 1
	s_delay_alu instid0(VALU_DEP_1)
	v_add3_u32 v88, v87, v88, 0x7fff
                                        ; implicit-def: $vgpr87
; %bb.34:
	s_and_not1_saveexec_b32 s2, s2
; %bb.35:
	v_and_b32_e32 v88, 0xffff, v87
	v_or_b32_e32 v90, 0x10000, v87
	s_delay_alu instid0(VALU_DEP_2) | instskip(NEXT) | instid1(VALU_DEP_2)
	v_cmp_eq_u32_e32 vcc_lo, 0, v88
	v_cndmask_b32_e32 v88, v90, v87, vcc_lo
; %bb.36:
	s_or_b32 exec_lo, exec_lo, s2
	v_and_b32_e32 v87, 0x7f800000, v84
	s_delay_alu instid0(VALU_DEP_1) | instskip(SKIP_1) | instid1(SALU_CYCLE_1)
	v_cmp_ne_u32_e32 vcc_lo, 0x7f800000, v87
                                        ; implicit-def: $vgpr87
	s_and_saveexec_b32 s2, vcc_lo
	s_xor_b32 s2, exec_lo, s2
; %bb.37:
	v_bfe_u32 v87, v84, 16, 1
	s_delay_alu instid0(VALU_DEP_1)
	v_add3_u32 v87, v84, v87, 0x7fff
                                        ; implicit-def: $vgpr84
; %bb.38:
	s_and_not1_saveexec_b32 s2, s2
; %bb.39:
	v_and_b32_e32 v87, 0xffff, v84
	v_or_b32_e32 v90, 0x10000, v84
	s_delay_alu instid0(VALU_DEP_2) | instskip(NEXT) | instid1(VALU_DEP_2)
	v_cmp_eq_u32_e32 vcc_lo, 0, v87
	v_cndmask_b32_e32 v87, v90, v84, vcc_lo
; %bb.40:
	s_or_b32 exec_lo, exec_lo, s2
	v_and_b32_e32 v84, 0x7f800000, v80
	s_delay_alu instid0(VALU_DEP_1) | instskip(SKIP_1) | instid1(SALU_CYCLE_1)
	v_cmp_ne_u32_e32 vcc_lo, 0x7f800000, v84
                                        ; implicit-def: $vgpr84
	s_and_saveexec_b32 s2, vcc_lo
	s_xor_b32 s2, exec_lo, s2
; %bb.41:
	v_bfe_u32 v84, v80, 16, 1
	s_delay_alu instid0(VALU_DEP_1)
	v_add3_u32 v84, v80, v84, 0x7fff
                                        ; implicit-def: $vgpr80
; %bb.42:
	s_and_not1_saveexec_b32 s2, s2
; %bb.43:
	v_and_b32_e32 v84, 0xffff, v80
	v_or_b32_e32 v90, 0x10000, v80
	s_delay_alu instid0(VALU_DEP_2) | instskip(NEXT) | instid1(VALU_DEP_2)
	v_cmp_eq_u32_e32 vcc_lo, 0, v84
	v_cndmask_b32_e32 v84, v90, v80, vcc_lo
; %bb.44:
	s_or_b32 exec_lo, exec_lo, s2
	s_load_b64 s[34:35], s[0:1], 0x94
	v_lshlrev_b32_e32 v91, 4, v74
	s_delay_alu instid0(VALU_DEP_2)
	v_perm_b32 v90, v84, v87, 0x7060302
	v_dual_mul_f32 v77, v82, v77 :: v_dual_lshlrev_b32 v80, 6, v66
	v_lshlrev_b32_e32 v66, 11, v65
	v_perm_b32 v87, v83, v76, 0x7060302
	v_mul_f32_e32 v83, v82, v70
	v_perm_b32 v89, v88, v89, 0x7060302
	v_perm_b32 v88, v86, v85, 0x7060302
	v_or3_b32 v76, v91, v66, v80
	v_mul_f32_e32 v66, v82, v81
	v_mul_f32_e32 v70, v82, v79
	v_mul_f32_e32 v78, v82, v78
	v_dual_mul_f32 v81, v82, v72 :: v_dual_and_b32 v84, 0x7f800000, v83
	v_mul_f32_e32 v79, v82, v71
	v_mul_f32_e32 v72, v82, v69
	s_mov_b32 s2, exec_lo
	ds_store_b128 v76, v[87:90]
                                        ; implicit-def: $vgpr69
	v_cmpx_ne_u32_e32 0x7f800000, v84
	s_xor_b32 s2, exec_lo, s2
; %bb.45:
	v_bfe_u32 v69, v83, 16, 1
	s_delay_alu instid0(VALU_DEP_1)
	v_add3_u32 v69, v83, v69, 0x7fff
                                        ; implicit-def: $vgpr83
; %bb.46:
	s_and_not1_saveexec_b32 s2, s2
; %bb.47:
	v_and_b32_e32 v69, 0xffff, v83
	v_or_b32_e32 v71, 0x10000, v83
	s_delay_alu instid0(VALU_DEP_2) | instskip(NEXT) | instid1(VALU_DEP_2)
	v_cmp_eq_u32_e32 vcc_lo, 0, v69
	v_cndmask_b32_e32 v69, v71, v83, vcc_lo
; %bb.48:
	s_or_b32 exec_lo, exec_lo, s2
	v_and_b32_e32 v71, 0x7f800000, v72
	s_delay_alu instid0(VALU_DEP_1) | instskip(SKIP_1) | instid1(SALU_CYCLE_1)
	v_cmp_ne_u32_e32 vcc_lo, 0x7f800000, v71
                                        ; implicit-def: $vgpr71
	s_and_saveexec_b32 s2, vcc_lo
	s_xor_b32 s2, exec_lo, s2
; %bb.49:
	v_bfe_u32 v71, v72, 16, 1
	s_delay_alu instid0(VALU_DEP_1)
	v_add3_u32 v71, v72, v71, 0x7fff
                                        ; implicit-def: $vgpr72
; %bb.50:
	s_and_not1_saveexec_b32 s2, s2
; %bb.51:
	v_and_b32_e32 v71, 0xffff, v72
	v_or_b32_e32 v82, 0x10000, v72
	s_delay_alu instid0(VALU_DEP_2) | instskip(NEXT) | instid1(VALU_DEP_2)
	v_cmp_eq_u32_e32 vcc_lo, 0, v71
	v_cndmask_b32_e32 v71, v82, v72, vcc_lo
; %bb.52:
	s_or_b32 exec_lo, exec_lo, s2
	v_and_b32_e32 v72, 0x7f800000, v79
	s_delay_alu instid0(VALU_DEP_1) | instskip(SKIP_1) | instid1(SALU_CYCLE_1)
	v_cmp_ne_u32_e32 vcc_lo, 0x7f800000, v72
                                        ; implicit-def: $vgpr72
	s_and_saveexec_b32 s2, vcc_lo
	s_xor_b32 s2, exec_lo, s2
; %bb.53:
	v_bfe_u32 v72, v79, 16, 1
	s_delay_alu instid0(VALU_DEP_1)
	v_add3_u32 v72, v79, v72, 0x7fff
                                        ; implicit-def: $vgpr79
; %bb.54:
	s_and_not1_saveexec_b32 s2, s2
; %bb.55:
	v_and_b32_e32 v72, 0xffff, v79
	v_or_b32_e32 v82, 0x10000, v79
	s_delay_alu instid0(VALU_DEP_2) | instskip(NEXT) | instid1(VALU_DEP_2)
	v_cmp_eq_u32_e32 vcc_lo, 0, v72
	v_cndmask_b32_e32 v72, v82, v79, vcc_lo
; %bb.56:
	s_or_b32 exec_lo, exec_lo, s2
	v_and_b32_e32 v79, 0x7f800000, v81
	s_delay_alu instid0(VALU_DEP_1) | instskip(SKIP_1) | instid1(SALU_CYCLE_1)
	v_cmp_ne_u32_e32 vcc_lo, 0x7f800000, v79
                                        ; implicit-def: $vgpr79
	s_and_saveexec_b32 s2, vcc_lo
	s_xor_b32 s2, exec_lo, s2
; %bb.57:
	v_bfe_u32 v79, v81, 16, 1
	s_delay_alu instid0(VALU_DEP_1)
	v_add3_u32 v79, v81, v79, 0x7fff
                                        ; implicit-def: $vgpr81
; %bb.58:
	s_and_not1_saveexec_b32 s2, s2
; %bb.59:
	v_and_b32_e32 v79, 0xffff, v81
	v_or_b32_e32 v82, 0x10000, v81
	s_delay_alu instid0(VALU_DEP_2) | instskip(NEXT) | instid1(VALU_DEP_2)
	v_cmp_eq_u32_e32 vcc_lo, 0, v79
	v_cndmask_b32_e32 v79, v82, v81, vcc_lo
; %bb.60:
	s_or_b32 exec_lo, exec_lo, s2
	v_and_b32_e32 v81, 0x7f800000, v77
	s_delay_alu instid0(VALU_DEP_1) | instskip(SKIP_1) | instid1(SALU_CYCLE_1)
	v_cmp_ne_u32_e32 vcc_lo, 0x7f800000, v81
                                        ; implicit-def: $vgpr81
	s_and_saveexec_b32 s2, vcc_lo
	s_xor_b32 s2, exec_lo, s2
; %bb.61:
	v_bfe_u32 v81, v77, 16, 1
	s_delay_alu instid0(VALU_DEP_1)
	v_add3_u32 v81, v77, v81, 0x7fff
                                        ; implicit-def: $vgpr77
; %bb.62:
	s_and_not1_saveexec_b32 s2, s2
; %bb.63:
	v_and_b32_e32 v81, 0xffff, v77
	v_or_b32_e32 v82, 0x10000, v77
	s_delay_alu instid0(VALU_DEP_2) | instskip(NEXT) | instid1(VALU_DEP_2)
	v_cmp_eq_u32_e32 vcc_lo, 0, v81
	v_cndmask_b32_e32 v81, v82, v77, vcc_lo
; %bb.64:
	s_or_b32 exec_lo, exec_lo, s2
	v_and_b32_e32 v77, 0x7f800000, v78
	s_delay_alu instid0(VALU_DEP_1) | instskip(SKIP_1) | instid1(SALU_CYCLE_1)
	v_cmp_ne_u32_e32 vcc_lo, 0x7f800000, v77
                                        ; implicit-def: $vgpr77
	s_and_saveexec_b32 s2, vcc_lo
	s_xor_b32 s2, exec_lo, s2
; %bb.65:
	v_bfe_u32 v77, v78, 16, 1
	s_delay_alu instid0(VALU_DEP_1)
	v_add3_u32 v77, v78, v77, 0x7fff
                                        ; implicit-def: $vgpr78
; %bb.66:
	s_and_not1_saveexec_b32 s2, s2
; %bb.67:
	v_and_b32_e32 v77, 0xffff, v78
	v_or_b32_e32 v82, 0x10000, v78
	s_delay_alu instid0(VALU_DEP_2) | instskip(NEXT) | instid1(VALU_DEP_2)
	v_cmp_eq_u32_e32 vcc_lo, 0, v77
	v_cndmask_b32_e32 v77, v82, v78, vcc_lo
; %bb.68:
	s_or_b32 exec_lo, exec_lo, s2
	v_and_b32_e32 v78, 0x7f800000, v70
	s_delay_alu instid0(VALU_DEP_1) | instskip(SKIP_1) | instid1(SALU_CYCLE_1)
	v_cmp_ne_u32_e32 vcc_lo, 0x7f800000, v78
                                        ; implicit-def: $vgpr78
	s_and_saveexec_b32 s2, vcc_lo
	s_xor_b32 s2, exec_lo, s2
; %bb.69:
	v_bfe_u32 v78, v70, 16, 1
	s_delay_alu instid0(VALU_DEP_1)
	v_add3_u32 v78, v70, v78, 0x7fff
                                        ; implicit-def: $vgpr70
; %bb.70:
	s_and_not1_saveexec_b32 s2, s2
; %bb.71:
	v_and_b32_e32 v78, 0xffff, v70
	v_or_b32_e32 v82, 0x10000, v70
	s_delay_alu instid0(VALU_DEP_2) | instskip(NEXT) | instid1(VALU_DEP_2)
	v_cmp_eq_u32_e32 vcc_lo, 0, v78
	v_cndmask_b32_e32 v78, v82, v70, vcc_lo
; %bb.72:
	s_or_b32 exec_lo, exec_lo, s2
	v_and_b32_e32 v70, 0x7f800000, v66
	s_delay_alu instid0(VALU_DEP_1) | instskip(SKIP_1) | instid1(SALU_CYCLE_1)
	v_cmp_ne_u32_e32 vcc_lo, 0x7f800000, v70
                                        ; implicit-def: $vgpr70
	s_and_saveexec_b32 s2, vcc_lo
	s_xor_b32 s2, exec_lo, s2
; %bb.73:
	v_bfe_u32 v70, v66, 16, 1
	s_delay_alu instid0(VALU_DEP_1)
	v_add3_u32 v70, v66, v70, 0x7fff
                                        ; implicit-def: $vgpr66
; %bb.74:
	s_and_not1_saveexec_b32 s2, s2
; %bb.75:
	v_and_b32_e32 v70, 0xffff, v66
	v_or_b32_e32 v82, 0x10000, v66
	s_delay_alu instid0(VALU_DEP_2) | instskip(NEXT) | instid1(VALU_DEP_2)
	v_cmp_eq_u32_e32 vcc_lo, 0, v70
	v_cndmask_b32_e32 v70, v82, v66, vcc_lo
; %bb.76:
	s_or_b32 exec_lo, exec_lo, s2
	s_delay_alu instid0(VALU_DEP_1)
	v_perm_b32 v86, v70, v78, 0x7060302
	v_perm_b32 v85, v77, v81, 0x7060302
	;; [unrolled: 1-line block ×4, first 2 shown]
	v_lshl_or_b32 v82, v65, 11, v80
	ds_store_b128 v76, v[83:86] offset:1024
	s_waitcnt lgkmcnt(0)
	s_barrier
	buffer_gl0_inv
	ds_load_b128 v[69:72], v82
	ds_load_b128 v[83:86], v82 offset:16
	s_waitcnt lgkmcnt(1)
	v_lshrrev_b32_e32 v65, 16, v69
	v_lshlrev_b32_e32 v78, 2, v74
	s_waitcnt lgkmcnt(0)
	v_lshrrev_b32_e32 v91, 16, v83
	v_lshrrev_b32_e32 v66, 16, v70
	;; [unrolled: 1-line block ×4, first 2 shown]
	v_cmp_eq_u32_e32 vcc_lo, 1, v78
	v_lshrrev_b32_e32 v98, 16, v85
	v_lshrrev_b32_e32 v96, 16, v72
	;; [unrolled: 1-line block ×3, first 2 shown]
	v_cndmask_b32_e32 v81, v69, v65, vcc_lo
	v_or_b32_e32 v79, 1, v78
	v_cmp_eq_u32_e64 s3, 2, v78
	v_cndmask_b32_e32 v87, v83, v91, vcc_lo
	v_cmp_eq_u32_e64 s6, 3, v78
	v_cmp_eq_u32_e64 s8, 4, v78
	;; [unrolled: 1-line block ×3, first 2 shown]
	v_cndmask_b32_e64 v81, v81, v70, s3
	v_cmp_eq_u32_e64 s5, 2, v79
	v_cndmask_b32_e64 v87, v87, v84, s3
	v_cmp_eq_u32_e64 s7, 3, v79
	v_cndmask_b32_e64 v88, v69, v65, s2
	v_cndmask_b32_e64 v81, v81, v66, s6
	v_or_b32_e32 v77, 2, v78
	v_cndmask_b32_e64 v87, v87, v97, s6
	v_cndmask_b32_e64 v89, v83, v91, s2
	;; [unrolled: 1-line block ×4, first 2 shown]
	v_cmp_eq_u32_e64 s9, 5, v78
	v_cndmask_b32_e64 v87, v87, v85, s8
	v_cmp_eq_u32_e64 s10, 4, v79
	v_cndmask_b32_e64 v88, v88, v66, s7
	;; [unrolled: 2-line block ×3, first 2 shown]
	v_cndmask_b32_e64 v81, v81, v95, s9
	v_cmp_eq_u32_e64 s11, 6, v78
	v_cndmask_b32_e64 v88, v88, v71, s10
	v_cndmask_b32_e64 v87, v87, v98, s9
	v_cmp_eq_u32_e64 s12, 5, v79
	v_cndmask_b32_e64 v90, v69, v65, s4
	v_cndmask_b32_e64 v89, v89, v97, s7
	;; [unrolled: 1-line block ×3, first 2 shown]
	v_cmp_eq_u32_e64 s13, 7, v78
	v_cndmask_b32_e64 v88, v88, v95, s12
	v_cndmask_b32_e64 v87, v87, v86, s11
	v_cmp_eq_u32_e64 s15, 6, v79
	v_cmp_eq_u32_e64 s16, 2, v77
	v_cndmask_b32_e64 v89, v89, v85, s10
	v_cndmask_b32_e64 v100, v81, v96, s13
	;; [unrolled: 1-line block ×6, first 2 shown]
	v_cmp_eq_u32_e64 s17, 7, v79
	v_cmp_eq_u32_e64 s18, 3, v77
	;; [unrolled: 1-line block ×4, first 2 shown]
	v_cndmask_b32_e64 v87, v87, v84, s16
	v_cndmask_b32_e64 v102, v88, v96, s17
	v_cndmask_b32_e64 v88, v89, v98, s12
	v_cndmask_b32_e64 v89, v81, v66, s18
	v_or_b32_e32 v81, 3, v78
	v_cndmask_b32_e64 v93, v87, v97, s18
	v_cmp_eq_u32_e64 s23, 6, v77
	v_cndmask_b32_e64 v103, v88, v86, s15
	v_cndmask_b32_e64 v92, v89, v71, s19
	v_cmp_eq_u32_e64 s20, 1, v81
	ds_load_b128 v[87:90], v82 offset:1024
	v_cmp_eq_u32_e64 s22, 2, v81
	v_cmp_eq_u32_e64 s24, 3, v81
	v_cndmask_b32_e64 v104, v92, v95, s21
	v_cndmask_b32_e64 v65, v69, v65, s20
	;; [unrolled: 1-line block ×4, first 2 shown]
	ds_load_b128 v[91:94], v82 offset:1040
	v_cmp_eq_u32_e64 s25, 4, v81
	v_cndmask_b32_e64 v65, v65, v70, s22
	v_cmp_eq_u32_e64 s27, 5, v81
	v_cndmask_b32_e64 v70, v83, v84, s22
	;; [unrolled: 2-line block ×3, first 2 shown]
	v_cndmask_b32_e64 v65, v65, v66, s24
	v_cndmask_b32_e64 v66, v104, v72, s23
	v_cndmask_b32_e64 v70, v70, v97, s24
	v_cmp_eq_u32_e64 s26, 7, v77
	v_cndmask_b32_e64 v69, v69, v86, s23
	v_cndmask_b32_e64 v65, v65, v71, s25
	s_waitcnt lgkmcnt(1)
	v_lshrrev_b32_e32 v84, 16, v87
	v_cndmask_b32_e64 v70, v70, v85, s25
	v_cndmask_b32_e64 v83, v103, v99, s17
	v_cndmask_b32_e64 v66, v66, v96, s26
	v_cndmask_b32_e64 v65, v65, v95, s27
	v_lshrrev_b32_e32 v95, 16, v88
	v_cndmask_b32_e64 v70, v70, v98, s27
	s_waitcnt lgkmcnt(0)
	v_lshrrev_b32_e32 v85, 16, v91
	v_cndmask_b32_e64 v97, v87, v84, s2
	v_cndmask_b32_e64 v65, v65, v72, s28
	;; [unrolled: 1-line block ×4, first 2 shown]
	v_cndmask_b32_e32 v71, v87, v84, vcc_lo
	v_cndmask_b32_e32 v98, v91, v85, vcc_lo
	v_cmp_eq_u32_e32 vcc_lo, 7, v81
	v_cndmask_b32_e64 v72, v97, v88, s5
	v_lshrrev_b32_e32 v97, 16, v92
	v_lshrrev_b32_e32 v103, 16, v90
	v_dual_cndmask_b32 v65, v65, v96 :: v_dual_cndmask_b32 v70, v70, v99
	v_cndmask_b32_e64 v71, v71, v88, s3
	v_cndmask_b32_e64 v86, v98, v92, s3
	;; [unrolled: 1-line block ×3, first 2 shown]
	v_lshrrev_b32_e32 v98, 16, v89
	v_lshrrev_b32_e32 v99, 16, v93
	v_cndmask_b32_e64 v71, v71, v95, s6
	v_cndmask_b32_e64 v86, v86, v97, s6
	;; [unrolled: 1-line block ×3, first 2 shown]
	v_perm_b32 v72, v70, v65, 0x5040100
	v_perm_b32 v70, v83, v102, 0x5040100
	v_cndmask_b32_e64 v71, v71, v89, s8
	v_cndmask_b32_e64 v86, v86, v93, s8
	;; [unrolled: 1-line block ×3, first 2 shown]
	v_lshrrev_b32_e32 v83, 16, v94
	s_delay_alu instid0(VALU_DEP_4) | instskip(NEXT) | instid1(VALU_DEP_4)
	v_cndmask_b32_e64 v71, v71, v98, s9
	v_cndmask_b32_e64 v86, v86, v99, s9
	s_delay_alu instid0(VALU_DEP_4) | instskip(NEXT) | instid1(VALU_DEP_3)
	v_cndmask_b32_e64 v65, v65, v90, s15
	v_cndmask_b32_e64 v96, v71, v90, s11
	v_perm_b32 v71, v69, v66, 0x5040100
	s_delay_alu instid0(VALU_DEP_4)
	v_cndmask_b32_e64 v69, v86, v94, s11
	v_cndmask_b32_e64 v86, v87, v84, s4
	;; [unrolled: 1-line block ×34, first 2 shown]
	v_cndmask_b32_e32 v84, v84, v103, vcc_lo
	v_cndmask_b32_e32 v86, v87, v83, vcc_lo
	v_cndmask_b32_e64 v87, v88, v83, s26
	v_cndmask_b32_e64 v88, v85, v83, s17
	;; [unrolled: 1-line block ×3, first 2 shown]
	v_perm_b32 v69, v101, v100, 0x5040100
	v_perm_b32 v86, v86, v84, 0x5040100
	;; [unrolled: 1-line block ×5, first 2 shown]
	s_lshl_b32 s7, s35, 3
	s_mov_b32 s2, exec_lo
	ds_store_b128 v76, v[69:72]
	ds_store_b128 v76, v[83:86] offset:1024
	v_cmpx_gt_u32_e32 8, v0
	s_cbranch_execz .LBB1797_78
; %bb.77:
	v_or_b32_e32 v65, s29, v0
	s_load_b128 s[8:11], s[0:1], 0x58
	s_delay_alu instid0(VALU_DEP_1) | instskip(NEXT) | instid1(VALU_DEP_1)
	v_mad_u64_u32 v[69:70], null, s7, s30, v[65:66]
	v_mad_u64_u32 v[65:66], null, v69, s34, s[14:15]
	s_delay_alu instid0(VALU_DEP_1) | instskip(NEXT) | instid1(VALU_DEP_1)
	v_ashrrev_i32_e32 v66, 31, v65
	v_lshlrev_b64 v[65:66], 2, v[65:66]
	s_waitcnt lgkmcnt(0)
	s_delay_alu instid0(VALU_DEP_1) | instskip(NEXT) | instid1(VALU_DEP_2)
	v_add_co_u32 v69, vcc_lo, s10, v65
	v_add_co_ci_u32_e32 v70, vcc_lo, s11, v66, vcc_lo
	v_add_co_u32 v65, vcc_lo, s8, v65
	v_add_co_ci_u32_e32 v66, vcc_lo, s9, v66, vcc_lo
	global_store_b32 v[69:70], v67, off
	global_store_b32 v[65:66], v68, off
.LBB1797_78:
	s_or_b32 exec_lo, exec_lo, s2
	s_waitcnt lgkmcnt(0)
	s_waitcnt_vscnt null, 0x0
	s_barrier
	buffer_gl0_inv
	ds_load_b128 v[83:86], v80
	ds_load_b128 v[87:90], v80 offset:16
	ds_load_b128 v[95:98], v80 offset:2064
	;; [unrolled: 1-line block ×3, first 2 shown]
	v_mov_b32_e32 v65, 0
	ds_load_b128 v[103:106], v80 offset:4112
	ds_load_b128 v[99:102], v80 offset:4096
	;; [unrolled: 1-line block ×4, first 2 shown]
	v_mov_b32_e32 v66, v65
	v_mov_b32_e32 v67, v65
	;; [unrolled: 1-line block ×7, first 2 shown]
	s_waitcnt lgkmcnt(6)
	s_delay_alu instid0(VALU_DEP_1)
	v_wmma_f32_16x16x16_bf16 v[65:72], v[49:56], v[83:90], v[65:72]
	ds_load_b128 v[53:56], v80 offset:8208
	ds_load_b128 v[49:52], v80 offset:8192
	s_waitcnt lgkmcnt(6)
	v_wmma_f32_16x16x16_bf16 v[65:72], v[41:48], v[91:98], v[65:72]
	ds_load_b128 v[45:48], v80 offset:10256
	ds_load_b128 v[41:44], v80 offset:10240
	s_waitcnt lgkmcnt(6)
	;; [unrolled: 4-line block ×4, first 2 shown]
	v_wmma_f32_16x16x16_bf16 v[65:72], v[1:8], v[49:56], v[65:72]
	s_waitcnt lgkmcnt(4)
	s_delay_alu instid0(VALU_DEP_1) | instskip(SKIP_1) | instid1(VALU_DEP_1)
	v_wmma_f32_16x16x16_bf16 v[65:72], v[9:16], v[41:48], v[65:72]
	s_waitcnt lgkmcnt(2)
	v_wmma_f32_16x16x16_bf16 v[65:72], v[17:24], v[33:40], v[65:72]
	s_waitcnt lgkmcnt(0)
	s_delay_alu instid0(VALU_DEP_1) | instskip(NEXT) | instid1(VALU_DEP_1)
	v_wmma_f32_16x16x16_bf16 v[65:72], v[57:64], v[25:32], v[65:72]
	v_and_b32_e32 v1, 0x7f800000, v65
	s_delay_alu instid0(VALU_DEP_1) | instskip(SKIP_1) | instid1(SALU_CYCLE_1)
	v_cmp_ne_u32_e32 vcc_lo, 0x7f800000, v1
                                        ; implicit-def: $vgpr1
	s_and_saveexec_b32 s2, vcc_lo
	s_xor_b32 s2, exec_lo, s2
; %bb.79:
	v_bfe_u32 v1, v65, 16, 1
	s_delay_alu instid0(VALU_DEP_1)
	v_add3_u32 v1, v65, v1, 0x7fff
; %bb.80:
	s_and_not1_saveexec_b32 s2, s2
; %bb.81:
	v_and_b32_e32 v1, 0xffff, v65
	v_or_b32_e32 v2, 0x10000, v65
	s_delay_alu instid0(VALU_DEP_2) | instskip(NEXT) | instid1(VALU_DEP_2)
	v_cmp_eq_u32_e32 vcc_lo, 0, v1
	v_cndmask_b32_e32 v1, v2, v65, vcc_lo
; %bb.82:
	s_or_b32 exec_lo, exec_lo, s2
	v_and_b32_e32 v2, 0x7f800000, v66
	s_delay_alu instid0(VALU_DEP_1) | instskip(SKIP_1) | instid1(SALU_CYCLE_1)
	v_cmp_ne_u32_e32 vcc_lo, 0x7f800000, v2
                                        ; implicit-def: $vgpr2
	s_and_saveexec_b32 s2, vcc_lo
	s_xor_b32 s2, exec_lo, s2
; %bb.83:
	v_bfe_u32 v2, v66, 16, 1
	s_delay_alu instid0(VALU_DEP_1)
	v_add3_u32 v2, v66, v2, 0x7fff
; %bb.84:
	s_and_not1_saveexec_b32 s2, s2
; %bb.85:
	v_and_b32_e32 v2, 0xffff, v66
	v_or_b32_e32 v3, 0x10000, v66
	s_delay_alu instid0(VALU_DEP_2) | instskip(NEXT) | instid1(VALU_DEP_2)
	v_cmp_eq_u32_e32 vcc_lo, 0, v2
	v_cndmask_b32_e32 v2, v3, v66, vcc_lo
; %bb.86:
	s_or_b32 exec_lo, exec_lo, s2
	v_and_b32_e32 v3, 0x7f800000, v67
	s_delay_alu instid0(VALU_DEP_1) | instskip(SKIP_1) | instid1(SALU_CYCLE_1)
	v_cmp_ne_u32_e32 vcc_lo, 0x7f800000, v3
                                        ; implicit-def: $vgpr3
	s_and_saveexec_b32 s2, vcc_lo
	s_xor_b32 s2, exec_lo, s2
; %bb.87:
	v_bfe_u32 v3, v67, 16, 1
	s_delay_alu instid0(VALU_DEP_1)
	v_add3_u32 v3, v67, v3, 0x7fff
; %bb.88:
	s_and_not1_saveexec_b32 s2, s2
; %bb.89:
	v_and_b32_e32 v3, 0xffff, v67
	v_or_b32_e32 v4, 0x10000, v67
	s_delay_alu instid0(VALU_DEP_2) | instskip(NEXT) | instid1(VALU_DEP_2)
	v_cmp_eq_u32_e32 vcc_lo, 0, v3
	v_cndmask_b32_e32 v3, v4, v67, vcc_lo
; %bb.90:
	s_or_b32 exec_lo, exec_lo, s2
	v_and_b32_e32 v4, 0x7f800000, v68
	s_delay_alu instid0(VALU_DEP_1) | instskip(SKIP_1) | instid1(SALU_CYCLE_1)
	v_cmp_ne_u32_e32 vcc_lo, 0x7f800000, v4
                                        ; implicit-def: $vgpr4
	s_and_saveexec_b32 s2, vcc_lo
	s_xor_b32 s2, exec_lo, s2
; %bb.91:
	v_bfe_u32 v4, v68, 16, 1
	s_delay_alu instid0(VALU_DEP_1)
	v_add3_u32 v4, v68, v4, 0x7fff
; %bb.92:
	s_and_not1_saveexec_b32 s2, s2
; %bb.93:
	v_and_b32_e32 v4, 0xffff, v68
	v_or_b32_e32 v5, 0x10000, v68
	s_delay_alu instid0(VALU_DEP_2) | instskip(NEXT) | instid1(VALU_DEP_2)
	v_cmp_eq_u32_e32 vcc_lo, 0, v4
	v_cndmask_b32_e32 v4, v5, v68, vcc_lo
; %bb.94:
	s_or_b32 exec_lo, exec_lo, s2
	v_and_b32_e32 v5, 0x7f800000, v69
	s_delay_alu instid0(VALU_DEP_1) | instskip(SKIP_1) | instid1(SALU_CYCLE_1)
	v_cmp_ne_u32_e32 vcc_lo, 0x7f800000, v5
                                        ; implicit-def: $vgpr5
	s_and_saveexec_b32 s2, vcc_lo
	s_xor_b32 s2, exec_lo, s2
; %bb.95:
	v_bfe_u32 v5, v69, 16, 1
	s_delay_alu instid0(VALU_DEP_1)
	v_add3_u32 v5, v69, v5, 0x7fff
; %bb.96:
	s_and_not1_saveexec_b32 s2, s2
; %bb.97:
	v_and_b32_e32 v5, 0xffff, v69
	v_or_b32_e32 v6, 0x10000, v69
	s_delay_alu instid0(VALU_DEP_2) | instskip(NEXT) | instid1(VALU_DEP_2)
	v_cmp_eq_u32_e32 vcc_lo, 0, v5
	v_cndmask_b32_e32 v5, v6, v69, vcc_lo
; %bb.98:
	s_or_b32 exec_lo, exec_lo, s2
	v_and_b32_e32 v6, 0x7f800000, v70
	s_delay_alu instid0(VALU_DEP_1) | instskip(SKIP_1) | instid1(SALU_CYCLE_1)
	v_cmp_ne_u32_e32 vcc_lo, 0x7f800000, v6
                                        ; implicit-def: $vgpr6
	s_and_saveexec_b32 s2, vcc_lo
	s_xor_b32 s2, exec_lo, s2
; %bb.99:
	v_bfe_u32 v6, v70, 16, 1
	s_delay_alu instid0(VALU_DEP_1)
	v_add3_u32 v6, v70, v6, 0x7fff
; %bb.100:
	s_and_not1_saveexec_b32 s2, s2
; %bb.101:
	v_and_b32_e32 v6, 0xffff, v70
	v_or_b32_e32 v7, 0x10000, v70
	s_delay_alu instid0(VALU_DEP_2) | instskip(NEXT) | instid1(VALU_DEP_2)
	v_cmp_eq_u32_e32 vcc_lo, 0, v6
	v_cndmask_b32_e32 v6, v7, v70, vcc_lo
; %bb.102:
	s_or_b32 exec_lo, exec_lo, s2
	v_and_b32_e32 v7, 0x7f800000, v71
	s_delay_alu instid0(VALU_DEP_1) | instskip(SKIP_1) | instid1(SALU_CYCLE_1)
	v_cmp_ne_u32_e32 vcc_lo, 0x7f800000, v7
                                        ; implicit-def: $vgpr7
	s_and_saveexec_b32 s2, vcc_lo
	s_xor_b32 s2, exec_lo, s2
; %bb.103:
	v_bfe_u32 v7, v71, 16, 1
	s_delay_alu instid0(VALU_DEP_1)
	v_add3_u32 v7, v71, v7, 0x7fff
; %bb.104:
	s_and_not1_saveexec_b32 s2, s2
; %bb.105:
	v_and_b32_e32 v7, 0xffff, v71
	v_or_b32_e32 v8, 0x10000, v71
	s_delay_alu instid0(VALU_DEP_2) | instskip(NEXT) | instid1(VALU_DEP_2)
	v_cmp_eq_u32_e32 vcc_lo, 0, v7
	v_cndmask_b32_e32 v7, v8, v71, vcc_lo
; %bb.106:
	s_or_b32 exec_lo, exec_lo, s2
	v_and_b32_e32 v8, 0x7f800000, v72
	s_delay_alu instid0(VALU_DEP_1) | instskip(SKIP_1) | instid1(SALU_CYCLE_1)
	v_cmp_ne_u32_e32 vcc_lo, 0x7f800000, v8
                                        ; implicit-def: $vgpr8
	s_and_saveexec_b32 s2, vcc_lo
	s_xor_b32 s2, exec_lo, s2
; %bb.107:
	v_bfe_u32 v8, v72, 16, 1
	s_delay_alu instid0(VALU_DEP_1)
	v_add3_u32 v8, v72, v8, 0x7fff
                                        ; implicit-def: $vgpr65_vgpr66_vgpr67_vgpr68_vgpr69_vgpr70_vgpr71_vgpr72
; %bb.108:
	s_and_not1_saveexec_b32 s2, s2
; %bb.109:
	v_and_b32_e32 v8, 0xffff, v72
	v_or_b32_e32 v9, 0x10000, v72
	s_delay_alu instid0(VALU_DEP_2) | instskip(NEXT) | instid1(VALU_DEP_2)
	v_cmp_eq_u32_e32 vcc_lo, 0, v8
	v_cndmask_b32_e32 v8, v9, v72, vcc_lo
; %bb.110:
	s_or_b32 exec_lo, exec_lo, s2
	s_delay_alu instid0(VALU_DEP_1)
	v_perm_b32 v7, v8, v7, 0x7060302
	v_perm_b32 v6, v6, v5, 0x7060302
	;; [unrolled: 1-line block ×4, first 2 shown]
	s_barrier
	buffer_gl0_inv
	v_cmp_eq_u32_e32 vcc_lo, 1, v78
	ds_store_b128 v76, v[4:7]
	s_waitcnt lgkmcnt(0)
	s_barrier
	buffer_gl0_inv
	ds_load_b128 v[1:4], v82
	ds_load_b128 v[5:8], v82 offset:16
	v_cmp_eq_u32_e64 s2, 1, v79
	v_cmp_eq_u32_e64 s3, 2, v78
	;; [unrolled: 1-line block ×5, first 2 shown]
	s_waitcnt lgkmcnt(1)
	v_lshrrev_b32_e32 v9, 16, v1
	s_waitcnt lgkmcnt(0)
	v_lshrrev_b32_e32 v13, 16, v5
	v_lshrrev_b32_e32 v10, 16, v2
	;; [unrolled: 1-line block ×4, first 2 shown]
	v_cndmask_b32_e64 v19, v1, v9, s2
	v_cndmask_b32_e32 v18, v5, v13, vcc_lo
	v_cndmask_b32_e64 v20, v5, v13, s2
	v_cndmask_b32_e32 v17, v1, v9, vcc_lo
	v_cmp_eq_u32_e32 vcc_lo, 2, v79
	v_lshrrev_b32_e32 v15, 16, v7
	v_cmp_eq_u32_e64 s2, 1, v77
	v_lshrrev_b32_e32 v12, 16, v4
	v_lshrrev_b32_e32 v16, 16, v8
	v_cndmask_b32_e32 v20, v20, v6, vcc_lo
	v_cndmask_b32_e64 v17, v17, v2, s3
	v_cndmask_b32_e32 v19, v19, v2, vcc_lo
	v_cndmask_b32_e64 v18, v18, v6, s3
	v_cmp_eq_u32_e32 vcc_lo, 4, v78
	v_cmp_eq_u32_e64 s3, 3, v79
	v_cndmask_b32_e64 v17, v17, v10, s4
	v_cndmask_b32_e64 v21, v1, v9, s2
	;; [unrolled: 1-line block ×5, first 2 shown]
	v_cndmask_b32_e32 v17, v17, v3, vcc_lo
	v_cndmask_b32_e64 v20, v20, v14, s3
	v_cndmask_b32_e32 v18, v18, v7, vcc_lo
	v_cmp_eq_u32_e32 vcc_lo, 4, v79
	v_cmp_eq_u32_e64 s3, 5, v79
	v_cmp_eq_u32_e64 s2, 2, v81
	v_cndmask_b32_e64 v21, v21, v2, s6
	v_cmp_eq_u32_e64 s4, 5, v78
	v_cndmask_b32_e32 v19, v19, v3, vcc_lo
	v_cndmask_b32_e32 v20, v20, v7, vcc_lo
	v_cmp_eq_u32_e32 vcc_lo, 6, v79
	s_delay_alu instid0(VALU_DEP_4) | instskip(NEXT) | instid1(VALU_DEP_4)
	v_cndmask_b32_e64 v17, v17, v11, s4
	v_cndmask_b32_e64 v19, v19, v11, s3
	s_delay_alu instid0(VALU_DEP_4) | instskip(SKIP_1) | instid1(VALU_DEP_3)
	v_cndmask_b32_e64 v20, v20, v15, s3
	v_cmp_eq_u32_e64 s3, 1, v81
	v_cndmask_b32_e32 v19, v19, v4, vcc_lo
	v_cndmask_b32_e64 v18, v18, v15, s4
	s_delay_alu instid0(VALU_DEP_3)
	v_cndmask_b32_e64 v1, v1, v9, s3
	v_cndmask_b32_e64 v5, v5, v13, s3
	v_cmp_eq_u32_e64 s3, 3, v77
	v_cndmask_b32_e64 v13, v22, v6, s6
	v_cmp_eq_u32_e64 s6, 3, v81
	v_cndmask_b32_e64 v1, v1, v2, s2
	v_cndmask_b32_e64 v2, v5, v6, s2
	;; [unrolled: 1-line block ×3, first 2 shown]
	v_cmp_eq_u32_e64 s2, 4, v77
	v_cndmask_b32_e64 v6, v13, v14, s3
	v_cndmask_b32_e64 v1, v1, v10, s6
	v_cmp_eq_u32_e64 s3, 4, v81
	v_cndmask_b32_e64 v2, v2, v14, s6
	v_cndmask_b32_e64 v5, v9, v3, s2
	;; [unrolled: 3-line block ×3, first 2 shown]
	v_cndmask_b32_e64 v2, v2, v7, s3
	v_cmp_eq_u32_e64 s2, 5, v81
	v_cmp_eq_u32_e64 s4, 6, v78
	v_cndmask_b32_e64 v5, v5, v11, s6
	v_cmp_eq_u32_e64 s3, 6, v77
	v_cndmask_b32_e64 v3, v6, v15, s6
	v_cndmask_b32_e64 v1, v1, v11, s2
	v_cmp_eq_u32_e64 s6, 6, v81
	v_cndmask_b32_e64 v2, v2, v15, s2
	v_cndmask_b32_e64 v17, v17, v4, s4
	v_cndmask_b32_e64 v18, v18, v8, s4
	v_cmp_eq_u32_e64 s4, 7, v78
	v_cndmask_b32_e64 v5, v5, v4, s3
	;; [unrolled: 4-line block ×3, first 2 shown]
	v_cmp_eq_u32_e64 s3, 7, v77
	v_cndmask_b32_e32 v4, v20, v8, vcc_lo
	v_cndmask_b32_e64 v17, v17, v12, s4
	v_cndmask_b32_e64 v19, v19, v12, s5
	;; [unrolled: 1-line block ×8, first 2 shown]
	s_mov_b32 s2, exec_lo
	v_perm_b32 v4, v2, v1, 0x5040100
	v_perm_b32 v3, v3, v5, 0x5040100
	;; [unrolled: 1-line block ×4, first 2 shown]
	ds_store_b128 v76, v[1:4]
	s_waitcnt lgkmcnt(0)
	s_barrier
	buffer_gl0_inv
	v_cmpx_gt_u32_e32 32, v0
	s_cbranch_execz .LBB1797_2
; %bb.111:
	s_load_b64 s[0:1], s[0:1], 0x68
	s_lshl_b32 s4, s34, 7
	v_or_b32_e32 v2, s29, v74
	s_mul_i32 s2, s4, s30
	v_lshlrev_b32_e32 v1, 10, v0
	s_mul_i32 s2, s2, s7
	v_lshlrev_b32_e32 v3, 4, v75
	v_mul_lo_u32 v0, v2, s4
	s_ashr_i32 s3, s2, 31
	v_lshlrev_b32_e32 v4, 6, v74
	v_and_b32_e32 v1, 0x3800, v1
	v_or_b32_e32 v5, 2, v2
	s_lshl_b64 s[2:3], s[2:3], 1
	v_or_b32_e32 v6, 4, v2
	v_or_b32_e32 v7, 6, v2
	v_or3_b32 v12, v1, v3, v4
	v_ashrrev_i32_e32 v1, 31, v0
	v_mul_lo_u32 v2, v5, s4
	v_mul_lo_u32 v16, v6, s4
	;; [unrolled: 1-line block ×3, first 2 shown]
	s_waitcnt lgkmcnt(0)
	s_add_u32 s2, s0, s2
	s_addc_u32 s3, s1, s3
	s_lshl_b32 s0, s14, 7
	v_lshlrev_b64 v[0:1], 1, v[0:1]
	s_ashr_i32 s1, s0, 31
	v_ashrrev_i32_e32 v3, 31, v2
	s_lshl_b64 s[0:1], s[0:1], 1
	v_ashrrev_i32_e32 v17, 31, v16
	s_add_u32 s0, s2, s0
	s_addc_u32 s1, s3, s1
	v_add_co_u32 v24, s0, s0, v73
	s_delay_alu instid0(VALU_DEP_1) | instskip(SKIP_1) | instid1(VALU_DEP_3)
	v_add_co_ci_u32_e64 v25, null, s1, 0, s0
	v_lshlrev_b64 v[22:23], 1, v[2:3]
	v_add_co_u32 v18, vcc_lo, v24, v0
	s_delay_alu instid0(VALU_DEP_3)
	v_add_co_ci_u32_e32 v19, vcc_lo, v25, v1, vcc_lo
	ds_load_b128 v[0:3], v12
	ds_load_b128 v[4:7], v12 offset:128
	ds_load_b128 v[8:11], v12 offset:256
	;; [unrolled: 1-line block ×3, first 2 shown]
	v_ashrrev_i32_e32 v21, 31, v20
	v_lshlrev_b64 v[16:17], 1, v[16:17]
	v_add_co_u32 v22, vcc_lo, v24, v22
	v_add_co_ci_u32_e32 v23, vcc_lo, v25, v23, vcc_lo
	s_delay_alu instid0(VALU_DEP_4) | instskip(NEXT) | instid1(VALU_DEP_4)
	v_lshlrev_b64 v[20:21], 1, v[20:21]
	v_add_co_u32 v16, vcc_lo, v24, v16
	v_add_co_ci_u32_e32 v17, vcc_lo, v25, v17, vcc_lo
	s_delay_alu instid0(VALU_DEP_3) | instskip(NEXT) | instid1(VALU_DEP_4)
	v_add_co_u32 v20, vcc_lo, v24, v20
	v_add_co_ci_u32_e32 v21, vcc_lo, v25, v21, vcc_lo
	s_waitcnt lgkmcnt(3)
	global_store_b128 v[18:19], v[0:3], off
	s_waitcnt lgkmcnt(2)
	global_store_b128 v[22:23], v[4:7], off
	s_waitcnt lgkmcnt(1)
	global_store_b128 v[16:17], v[8:11], off
	s_waitcnt lgkmcnt(0)
	global_store_b128 v[20:21], v[12:15], off
	s_nop 0
	s_sendmsg sendmsg(MSG_DEALLOC_VGPRS)
	s_endpgm
	.section	.rodata,"a",@progbits
	.p2align	6, 0x0
	.amdhsa_kernel _Z39paged_attention_ll4mi_QKV_mfma16_kernelI14__hip_bfloat16hLN4vllm18Fp8KVCacheDataTypeE1EhLi16ELi128ELi256ELb1ELi8EL8MFMAType0EEvPKT_PKT0_S9_ifPKiSB_SB_iPKfiiiPfSE_PS4_PT2_iSD_SD_
		.amdhsa_group_segment_fixed_size 17472
		.amdhsa_private_segment_fixed_size 0
		.amdhsa_kernarg_size 400
		.amdhsa_user_sgpr_count 13
		.amdhsa_user_sgpr_dispatch_ptr 0
		.amdhsa_user_sgpr_queue_ptr 0
		.amdhsa_user_sgpr_kernarg_segment_ptr 1
		.amdhsa_user_sgpr_dispatch_id 0
		.amdhsa_user_sgpr_private_segment_size 0
		.amdhsa_wavefront_size32 1
		.amdhsa_uses_dynamic_stack 0
		.amdhsa_enable_private_segment 0
		.amdhsa_system_sgpr_workgroup_id_x 1
		.amdhsa_system_sgpr_workgroup_id_y 1
		.amdhsa_system_sgpr_workgroup_id_z 1
		.amdhsa_system_sgpr_workgroup_info 0
		.amdhsa_system_vgpr_workitem_id 0
		.amdhsa_next_free_vgpr 140
		.amdhsa_next_free_sgpr 36
		.amdhsa_reserve_vcc 1
		.amdhsa_float_round_mode_32 0
		.amdhsa_float_round_mode_16_64 0
		.amdhsa_float_denorm_mode_32 3
		.amdhsa_float_denorm_mode_16_64 3
		.amdhsa_dx10_clamp 1
		.amdhsa_ieee_mode 1
		.amdhsa_fp16_overflow 0
		.amdhsa_workgroup_processor_mode 1
		.amdhsa_memory_ordered 1
		.amdhsa_forward_progress 0
		.amdhsa_shared_vgpr_count 0
		.amdhsa_exception_fp_ieee_invalid_op 0
		.amdhsa_exception_fp_denorm_src 0
		.amdhsa_exception_fp_ieee_div_zero 0
		.amdhsa_exception_fp_ieee_overflow 0
		.amdhsa_exception_fp_ieee_underflow 0
		.amdhsa_exception_fp_ieee_inexact 0
		.amdhsa_exception_int_div_zero 0
	.end_amdhsa_kernel
	.section	.text._Z39paged_attention_ll4mi_QKV_mfma16_kernelI14__hip_bfloat16hLN4vllm18Fp8KVCacheDataTypeE1EhLi16ELi128ELi256ELb1ELi8EL8MFMAType0EEvPKT_PKT0_S9_ifPKiSB_SB_iPKfiiiPfSE_PS4_PT2_iSD_SD_,"axG",@progbits,_Z39paged_attention_ll4mi_QKV_mfma16_kernelI14__hip_bfloat16hLN4vllm18Fp8KVCacheDataTypeE1EhLi16ELi128ELi256ELb1ELi8EL8MFMAType0EEvPKT_PKT0_S9_ifPKiSB_SB_iPKfiiiPfSE_PS4_PT2_iSD_SD_,comdat
.Lfunc_end1797:
	.size	_Z39paged_attention_ll4mi_QKV_mfma16_kernelI14__hip_bfloat16hLN4vllm18Fp8KVCacheDataTypeE1EhLi16ELi128ELi256ELb1ELi8EL8MFMAType0EEvPKT_PKT0_S9_ifPKiSB_SB_iPKfiiiPfSE_PS4_PT2_iSD_SD_, .Lfunc_end1797-_Z39paged_attention_ll4mi_QKV_mfma16_kernelI14__hip_bfloat16hLN4vllm18Fp8KVCacheDataTypeE1EhLi16ELi128ELi256ELb1ELi8EL8MFMAType0EEvPKT_PKT0_S9_ifPKiSB_SB_iPKfiiiPfSE_PS4_PT2_iSD_SD_
                                        ; -- End function
	.section	.AMDGPU.csdata,"",@progbits
; Kernel info:
; codeLenInByte = 8852
; NumSgprs: 38
; NumVgprs: 140
; ScratchSize: 0
; MemoryBound: 0
; FloatMode: 240
; IeeeMode: 1
; LDSByteSize: 17472 bytes/workgroup (compile time only)
; SGPRBlocks: 4
; VGPRBlocks: 17
; NumSGPRsForWavesPerEU: 38
; NumVGPRsForWavesPerEU: 140
; Occupancy: 10
; WaveLimiterHint : 1
; COMPUTE_PGM_RSRC2:SCRATCH_EN: 0
; COMPUTE_PGM_RSRC2:USER_SGPR: 13
; COMPUTE_PGM_RSRC2:TRAP_HANDLER: 0
; COMPUTE_PGM_RSRC2:TGID_X_EN: 1
; COMPUTE_PGM_RSRC2:TGID_Y_EN: 1
; COMPUTE_PGM_RSRC2:TGID_Z_EN: 1
; COMPUTE_PGM_RSRC2:TIDIG_COMP_CNT: 0
	.section	.text._Z39paged_attention_ll4mi_QKV_mfma16_kernelI14__hip_bfloat16hLN4vllm18Fp8KVCacheDataTypeE1EhLi16ELi128ELi256ELb1ELi9EL8MFMAType0EEvPKT_PKT0_S9_ifPKiSB_SB_iPKfiiiPfSE_PS4_PT2_iSD_SD_,"axG",@progbits,_Z39paged_attention_ll4mi_QKV_mfma16_kernelI14__hip_bfloat16hLN4vllm18Fp8KVCacheDataTypeE1EhLi16ELi128ELi256ELb1ELi9EL8MFMAType0EEvPKT_PKT0_S9_ifPKiSB_SB_iPKfiiiPfSE_PS4_PT2_iSD_SD_,comdat
	.protected	_Z39paged_attention_ll4mi_QKV_mfma16_kernelI14__hip_bfloat16hLN4vllm18Fp8KVCacheDataTypeE1EhLi16ELi128ELi256ELb1ELi9EL8MFMAType0EEvPKT_PKT0_S9_ifPKiSB_SB_iPKfiiiPfSE_PS4_PT2_iSD_SD_ ; -- Begin function _Z39paged_attention_ll4mi_QKV_mfma16_kernelI14__hip_bfloat16hLN4vllm18Fp8KVCacheDataTypeE1EhLi16ELi128ELi256ELb1ELi9EL8MFMAType0EEvPKT_PKT0_S9_ifPKiSB_SB_iPKfiiiPfSE_PS4_PT2_iSD_SD_
	.globl	_Z39paged_attention_ll4mi_QKV_mfma16_kernelI14__hip_bfloat16hLN4vllm18Fp8KVCacheDataTypeE1EhLi16ELi128ELi256ELb1ELi9EL8MFMAType0EEvPKT_PKT0_S9_ifPKiSB_SB_iPKfiiiPfSE_PS4_PT2_iSD_SD_
	.p2align	8
	.type	_Z39paged_attention_ll4mi_QKV_mfma16_kernelI14__hip_bfloat16hLN4vllm18Fp8KVCacheDataTypeE1EhLi16ELi128ELi256ELb1ELi9EL8MFMAType0EEvPKT_PKT0_S9_ifPKiSB_SB_iPKfiiiPfSE_PS4_PT2_iSD_SD_,@function
_Z39paged_attention_ll4mi_QKV_mfma16_kernelI14__hip_bfloat16hLN4vllm18Fp8KVCacheDataTypeE1EhLi16ELi128ELi256ELb1ELi9EL8MFMAType0EEvPKT_PKT0_S9_ifPKiSB_SB_iPKfiiiPfSE_PS4_PT2_iSD_SD_: ; @_Z39paged_attention_ll4mi_QKV_mfma16_kernelI14__hip_bfloat16hLN4vllm18Fp8KVCacheDataTypeE1EhLi16ELi128ELi256ELb1ELi9EL8MFMAType0EEvPKT_PKT0_S9_ifPKiSB_SB_iPKfiiiPfSE_PS4_PT2_iSD_SD_
; %bb.0:
	s_load_b64 s[4:5], s[0:1], 0x30
	s_mov_b32 s30, s13
	s_waitcnt lgkmcnt(0)
	s_cmp_lg_u64 s[4:5], 0
	s_cselect_b32 s13, -1, 0
	s_ashr_i32 s31, s30, 31
	s_cmp_eq_u64 s[4:5], 0
	s_cbranch_scc1 .LBB1798_3
; %bb.1:
	s_lshl_b64 s[2:3], s[30:31], 2
	s_delay_alu instid0(SALU_CYCLE_1) | instskip(SKIP_4) | instid1(SALU_CYCLE_1)
	s_add_u32 s2, s4, s2
	s_addc_u32 s3, s5, s3
	s_load_b64 s[2:3], s[2:3], 0x0
	s_waitcnt lgkmcnt(0)
	s_sub_i32 s2, s3, s2
	s_cmp_eq_u32 s2, 1
	s_cselect_b32 s2, -1, 0
	s_delay_alu instid0(SALU_CYCLE_1)
	s_and_not1_b32 vcc_lo, exec_lo, s2
	s_cbranch_vccz .LBB1798_4
.LBB1798_2:
	s_nop 0
	s_sendmsg sendmsg(MSG_DEALLOC_VGPRS)
	s_endpgm
.LBB1798_3:
.LBB1798_4:
	s_load_b64 s[2:3], s[0:1], 0x28
	s_lshl_b64 s[6:7], s[30:31], 2
	s_waitcnt lgkmcnt(0)
	s_add_u32 s2, s2, s6
	s_addc_u32 s3, s3, s7
	s_lshl_b32 s12, s14, 8
	s_load_b32 s17, s[2:3], 0x0
	s_waitcnt lgkmcnt(0)
	s_cmp_ge_i32 s12, s17
	s_cbranch_scc1 .LBB1798_2
; %bb.5:
	s_clause 0x1
	s_load_b128 s[8:11], s[0:1], 0x8
	s_load_b64 s[2:3], s[0:1], 0x20
	s_and_not1_b32 vcc_lo, exec_lo, s13
	s_cbranch_vccnz .LBB1798_7
; %bb.6:
	s_add_u32 s4, s4, s6
	s_addc_u32 s5, s5, s7
	s_load_b32 s13, s[4:5], 0x0
	s_branch .LBB1798_8
.LBB1798_7:
	s_mov_b32 s13, s30
.LBB1798_8:
	s_load_b128 s[4:7], s[0:1], 0x48
	v_and_b32_e32 v65, 15, v0
	v_lshrrev_b32_e32 v66, 5, v0
	v_bfe_u32 v74, v0, 4, 1
	v_and_b32_e32 v67, 31, v0
	v_and_b32_e32 v75, 1, v0
	v_lshlrev_b32_e32 v2, 3, v65
	s_mul_i32 s31, s15, 9
	v_lshl_or_b32 v1, v66, 1, v74
	s_waitcnt lgkmcnt(0)
	s_mov_b32 s7, exec_lo
	v_lshlrev_b32_e32 v73, 1, v2
	s_delay_alu instid0(VALU_DEP_2)
	v_cmpx_gt_u32_e32 9, v1
	s_cbranch_execz .LBB1798_10
; %bb.9:
	s_load_b64 s[18:19], s[0:1], 0x0
	v_add_lshl_u32 v2, v1, s31, 7
	s_mul_hi_i32 s21, s13, s4
	s_mul_i32 s20, s13, s4
	v_lshlrev_b32_e32 v6, 10, v65
	s_lshl_b64 s[20:21], s[20:21], 1
	v_ashrrev_i32_e32 v3, 31, v2
	v_lshlrev_b32_e32 v1, 6, v1
	v_lshlrev_b32_e32 v7, 10, v75
	v_and_b32_e32 v6, 0x3800, v6
	s_delay_alu instid0(VALU_DEP_4) | instskip(NEXT) | instid1(VALU_DEP_2)
	v_lshlrev_b64 v[2:3], 1, v[2:3]
	v_or3_b32 v1, v6, v7, v1
	s_waitcnt lgkmcnt(0)
	s_add_u32 s4, s18, s20
	s_addc_u32 s13, s19, s21
	s_delay_alu instid0(VALU_DEP_2) | instskip(SKIP_1) | instid1(VALU_DEP_2)
	v_add_co_u32 v2, vcc_lo, s4, v2
	v_add_co_ci_u32_e32 v3, vcc_lo, s13, v3, vcc_lo
	v_add_co_u32 v2, vcc_lo, v2, v73
	s_delay_alu instid0(VALU_DEP_2)
	v_add_co_ci_u32_e32 v3, vcc_lo, 0, v3, vcc_lo
	global_load_b128 v[2:5], v[2:3], off
	s_waitcnt vmcnt(0)
	ds_store_b128 v1, v[2:5]
.LBB1798_10:
	s_or_b32 exec_lo, exec_lo, s7
	v_and_b32_e32 v1, 0xef, v0
	s_add_i32 s4, s17, 15
	s_clause 0x1
	s_load_b32 s7, s[0:1], 0x38
	s_load_b32 s18, s[0:1], 0x1c
	s_ashr_i32 s13, s4, 31
	v_add_nc_u32_e32 v1, s12, v1
	s_lshr_b32 s13, s13, 28
	s_waitcnt lgkmcnt(0)
	s_add_i32 s4, s4, s13
	s_barrier
	v_ashrrev_i32_e32 v2, 31, v1
	v_or_b32_e32 v3, 16, v1
	s_ashr_i32 s4, s4, 4
	v_cmp_gt_i32_e32 vcc_lo, s17, v1
	s_add_i32 s4, s4, -1
	v_lshrrev_b32_e32 v2, 28, v2
	buffer_gl0_inv
	s_mul_i32 s15, s15, s6
	v_add_nc_u32_e32 v4, v1, v2
	s_mul_i32 s20, s30, s7
	s_delay_alu instid0(SALU_CYCLE_1) | instskip(NEXT) | instid1(VALU_DEP_1)
	s_ashr_i32 s21, s20, 31
	v_ashrrev_i32_e32 v4, 4, v4
	v_add_nc_u32_e32 v2, v3, v2
	s_lshl_b64 s[20:21], s[20:21], 2
	s_delay_alu instid0(SALU_CYCLE_1) | instskip(NEXT) | instid1(VALU_DEP_2)
	s_add_u32 s13, s2, s20
	v_cndmask_b32_e32 v1, s4, v4, vcc_lo
	s_delay_alu instid0(VALU_DEP_2)
	v_ashrrev_i32_e32 v2, 4, v2
	v_cmp_gt_i32_e32 vcc_lo, s17, v3
	s_addc_u32 s16, s3, s21
	s_ashr_i32 s19, s15, 31
	s_add_u32 s26, s8, s15
	s_addc_u32 s27, s9, s19
	v_cndmask_b32_e32 v3, s4, v2, vcc_lo
	v_ashrrev_i32_e32 v2, 31, v1
	s_lshl_b32 s2, s14, 4
	s_delay_alu instid0(SALU_CYCLE_1) | instskip(NEXT) | instid1(VALU_DEP_2)
	s_ashr_i32 s3, s2, 31
	v_ashrrev_i32_e32 v4, 31, v3
	s_delay_alu instid0(VALU_DEP_2) | instskip(SKIP_1) | instid1(SALU_CYCLE_1)
	v_lshlrev_b64 v[1:2], 2, v[1:2]
	s_lshl_b64 s[2:3], s[2:3], 2
	s_add_u32 s2, s13, s2
	s_delay_alu instid0(VALU_DEP_2) | instskip(SKIP_1) | instid1(VALU_DEP_2)
	v_lshlrev_b64 v[3:4], 2, v[3:4]
	s_addc_u32 s3, s16, s3
	v_add_co_u32 v1, vcc_lo, s13, v1
	v_add_co_ci_u32_e32 v2, vcc_lo, s16, v2, vcc_lo
	s_delay_alu instid0(VALU_DEP_3) | instskip(NEXT) | instid1(VALU_DEP_4)
	v_add_co_u32 v3, vcc_lo, s13, v3
	v_add_co_ci_u32_e32 v4, vcc_lo, s16, v4, vcc_lo
	s_clause 0x1
	global_load_b32 v5, v[1:2], off
	global_load_b32 v3, v[3:4], off
	s_or_b32 s6, s12, 32
	v_cmp_gt_u32_e32 vcc_lo, 9, v65
	s_ashr_i32 s7, s6, 4
	s_cmp_lt_i32 s6, s17
	s_cselect_b32 s6, s7, s4
	s_delay_alu instid0(SALU_CYCLE_1) | instskip(NEXT) | instid1(SALU_CYCLE_1)
	s_ashr_i32 s7, s6, 31
	s_lshl_b64 s[6:7], s[6:7], 2
	s_delay_alu instid0(SALU_CYCLE_1) | instskip(SKIP_2) | instid1(SALU_CYCLE_1)
	s_add_u32 s6, s13, s6
	s_addc_u32 s7, s16, s7
	s_or_b32 s8, s12, 64
	s_ashr_i32 s9, s8, 4
	s_cmp_lt_i32 s8, s17
	s_cselect_b32 s8, s9, s4
	s_delay_alu instid0(SALU_CYCLE_1) | instskip(NEXT) | instid1(SALU_CYCLE_1)
	s_ashr_i32 s9, s8, 31
	s_lshl_b64 s[8:9], s[8:9], 2
	s_delay_alu instid0(SALU_CYCLE_1) | instskip(SKIP_2) | instid1(SALU_CYCLE_1)
	s_add_u32 s8, s13, s8
	s_addc_u32 s9, s16, s9
	s_or_b32 s20, s12, 0x60
	;; [unrolled: 10-line block ×4, first 2 shown]
	s_ashr_i32 s25, s24, 4
	s_cmp_lt_i32 s24, s17
	s_cselect_b32 s24, s25, s4
	s_delay_alu instid0(SALU_CYCLE_1) | instskip(NEXT) | instid1(SALU_CYCLE_1)
	s_ashr_i32 s25, s24, 31
	s_lshl_b64 s[24:25], s[24:25], 2
	s_delay_alu instid0(SALU_CYCLE_1)
	s_add_u32 s24, s13, s24
	s_addc_u32 s25, s16, s25
	s_clause 0x5
	s_load_b32 s28, s[2:3], 0x0
	s_load_b32 s29, s[6:7], 0x0
	;; [unrolled: 1-line block ×6, first 2 shown]
	s_mov_b32 s20, 0
	s_or_b32 s2, s12, 0xc0
	s_mov_b32 s21, s20
	s_mov_b32 s22, s20
	;; [unrolled: 1-line block ×5, first 2 shown]
	v_lshlrev_b32_e32 v1, 4, v0
	s_ashr_i32 s3, s2, 4
	s_cmp_lt_i32 s2, s17
	s_cselect_b32 s2, s3, s4
	s_delay_alu instid0(VALU_DEP_1) | instskip(SKIP_1) | instid1(SALU_CYCLE_1)
	v_and_b32_e32 v1, 0xf0, v1
	s_ashr_i32 s3, s2, 31
	s_lshl_b64 s[2:3], s[2:3], 2
	s_delay_alu instid0(VALU_DEP_1) | instskip(NEXT) | instid1(VALU_DEP_1)
	v_add_co_u32 v1, s26, s26, v1
	v_add_co_ci_u32_e64 v2, null, s27, 0, s26
	s_add_u32 s2, s13, s2
	s_addc_u32 s3, s16, s3
	s_or_b32 s6, s12, 0xe0
	s_mov_b32 s27, s20
	s_ashr_i32 s7, s6, 4
	s_cmp_lt_i32 s6, s17
	s_mov_b32 s26, s20
	v_dual_mov_b32 v107, s27 :: v_dual_mov_b32 v100, s20
	s_cselect_b32 s6, s7, s4
	v_mov_b32_e32 v106, s26
	s_ashr_i32 s7, s6, 31
	v_mov_b32_e32 v104, s24
	s_lshl_b64 s[6:7], s[6:7], 2
	v_dual_mov_b32 v103, s23 :: v_dual_mov_b32 v102, s22
	v_mov_b32_e32 v101, s21
	s_waitcnt vmcnt(1)
	v_mad_i64_i32 v[33:34], null, v5, s5, v[1:2]
	s_waitcnt vmcnt(0)
	v_mad_i64_i32 v[35:36], null, v3, s5, v[1:2]
	s_clause 0xf
	global_load_b128 v[1:4], v[33:34], off
	global_load_b128 v[5:8], v[33:34], off offset:256
	global_load_b128 v[9:12], v[35:36], off
	global_load_b128 v[13:16], v[35:36], off offset:256
	global_load_b128 v[17:20], v[33:34], off offset:512
	;; [unrolled: 1-line block ×13, first 2 shown]
	v_add_nc_u32_e32 v33, -9, v65
	v_lshlrev_b32_e32 v34, 4, v65
	s_delay_alu instid0(VALU_DEP_2) | instskip(SKIP_1) | instid1(VALU_DEP_3)
	v_cndmask_b32_e32 v33, v33, v65, vcc_lo
	v_mov_b32_e32 v105, s25
	v_lshl_or_b32 v41, v66, 8, v34
	s_delay_alu instid0(VALU_DEP_3)
	v_lshlrev_b32_e32 v72, 6, v33
	ds_load_b128 v[33:36], v72
	ds_load_b128 v[37:40], v72 offset:1024
	ds_load_b128 v[108:111], v72 offset:2048
	;; [unrolled: 1-line block ×3, first 2 shown]
	s_load_b32 s4, s[2:3], 0x0
	s_add_u32 s2, s13, s6
	s_addc_u32 s3, s16, s7
	ds_load_b128 v[116:119], v72 offset:4096
	ds_load_b128 v[120:123], v72 offset:5120
	s_load_b32 s2, s[2:3], 0x0
	s_add_u32 s6, s10, s15
	s_addc_u32 s7, s11, s19
	v_add_co_u32 v68, s6, s6, v41
	s_delay_alu instid0(VALU_DEP_1) | instskip(SKIP_1) | instid1(VALU_DEP_1)
	v_add_co_ci_u32_e64 v69, null, s7, 0, s6
	s_waitcnt lgkmcnt(0)
	v_mad_i64_i32 v[41:42], null, s28, s5, v[68:69]
	v_mad_i64_i32 v[70:71], null, s8, s5, v[68:69]
	;; [unrolled: 1-line block ×7, first 2 shown]
	s_clause 0x3
	global_load_b128 v[49:52], v[41:42], off
	global_load_b128 v[53:56], v[41:42], off offset:16
	global_load_b128 v[41:44], v[45:46], off
	global_load_b128 v[45:48], v[45:46], off offset:16
	s_waitcnt vmcnt(18)
	v_wmma_f32_16x16x16_bf16 v[124:131], v[1:8], v[33:40], v[100:107]
	s_waitcnt vmcnt(16)
	v_wmma_f32_16x16x16_bf16 v[100:107], v[9:16], v[33:40], v[100:107]
	s_clause 0x1
	global_load_b128 v[33:36], v[70:71], off
	global_load_b128 v[37:40], v[70:71], off offset:16
	v_mad_i64_i32 v[70:71], null, s2, s5, v[68:69]
	s_waitcnt vmcnt(16)
	v_wmma_f32_16x16x16_bf16 v[124:131], v[17:24], v[108:115], v[124:131]
	s_waitcnt vmcnt(14)
	v_wmma_f32_16x16x16_bf16 v[100:107], v[25:32], v[108:115], v[100:107]
	s_clause 0x7
	global_load_b128 v[25:28], v[132:133], off
	global_load_b128 v[29:32], v[132:133], off offset:16
	global_load_b128 v[1:4], v[134:135], off
	global_load_b128 v[5:8], v[134:135], off offset:16
	;; [unrolled: 2-line block ×4, first 2 shown]
	s_waitcnt vmcnt(20)
	v_wmma_f32_16x16x16_bf16 v[124:131], v[57:64], v[116:123], v[124:131]
	s_clause 0x1
	global_load_b128 v[57:60], v[70:71], off
	global_load_b128 v[61:64], v[70:71], off offset:16
	s_waitcnt vmcnt(20)
	v_wmma_f32_16x16x16_bf16 v[100:107], v[76:83], v[116:123], v[100:107]
	ds_load_b128 v[76:79], v72 offset:6144
	ds_load_b128 v[80:83], v72 offset:7168
	v_and_b32_e32 v68, 0xe0, v0
	v_mbcnt_lo_u32_b32 v69, -1, 0
	s_waitcnt vmcnt(0) lgkmcnt(0)
	s_barrier
	buffer_gl0_inv
	v_add_nc_u32_e32 v68, s12, v68
	v_xor_b32_e32 v70, 16, v69
	s_delay_alu instid0(VALU_DEP_2) | instskip(NEXT) | instid1(VALU_DEP_2)
	v_or_b32_e32 v68, v68, v74
	v_cmp_gt_i32_e32 vcc_lo, 32, v70
	s_delay_alu instid0(VALU_DEP_2)
	v_or_b32_e32 v71, 4, v68
	v_or_b32_e32 v72, 6, v68
	v_cmp_gt_i32_e64 s2, s17, v68
	v_or_b32_e32 v108, 8, v68
	v_wmma_f32_16x16x16_bf16 v[124:131], v[84:91], v[76:83], v[124:131]
	v_cndmask_b32_e32 v69, v69, v70, vcc_lo
	v_or_b32_e32 v70, 2, v68
	v_wmma_f32_16x16x16_bf16 v[100:107], v[92:99], v[76:83], v[100:107]
	v_or_b32_e32 v109, 10, v68
	v_dual_mul_f32 v82, s18, v127 :: v_dual_mul_f32 v79, s18, v130
	v_dual_mul_f32 v92, s18, v125 :: v_dual_mul_f32 v93, s18, v124
	s_delay_alu instid0(VALU_DEP_4)
	v_mul_f32_e32 v98, s18, v103
	v_cmp_gt_i32_e32 vcc_lo, s17, v70
	v_or_b32_e32 v89, 22, v68
	v_dual_mul_f32 v83, s18, v126 :: v_dual_mul_f32 v96, s18, v105
	v_cndmask_b32_e64 v93, 0xff7fffff, v93, s2
	v_cndmask_b32_e32 v92, 0xff7fffff, v92, vcc_lo
	v_cmp_gt_i32_e64 s3, s17, v71
	v_cmp_gt_i32_e64 s4, s17, v72
	v_or_b32_e32 v84, 12, v68
	v_or_b32_e32 v85, 14, v68
	v_dual_mul_f32 v80, s18, v129 :: v_dual_mul_f32 v81, s18, v128
	v_mul_f32_e32 v94, s18, v107
	v_cndmask_b32_e64 v71, 0xff7fffff, v83, s3
	v_cndmask_b32_e64 v72, 0xff7fffff, v82, s4
	v_cmp_gt_i32_e64 s5, s17, v108
	v_cmp_gt_i32_e64 s6, s17, v109
	;; [unrolled: 1-line block ×3, first 2 shown]
	v_lshlrev_b32_e32 v89, 2, v69
	v_max3_f32 v82, v93, 0xff7fffff, v92
	v_or_b32_e32 v86, 16, v68
	v_or_b32_e32 v87, 18, v68
	v_mul_f32_e32 v78, s18, v131
	v_cndmask_b32_e64 v81, 0xff7fffff, v81, s5
	v_cndmask_b32_e64 v80, 0xff7fffff, v80, s6
	v_max3_f32 v71, v82, v71, v72
	v_cmp_gt_i32_e64 s7, s17, v84
	v_cmp_gt_i32_e64 s8, s17, v85
	v_or_b32_e32 v88, 20, v68
	v_or_b32_e32 v90, 24, v68
	;; [unrolled: 1-line block ×5, first 2 shown]
	v_dual_mul_f32 v95, s18, v106 :: v_dual_mul_f32 v70, s18, v101
	v_dual_mul_f32 v99, s18, v102 :: v_dual_mul_f32 v68, s18, v100
	v_cndmask_b32_e64 v72, 0xff7fffff, v79, s7
	v_cndmask_b32_e64 v78, 0xff7fffff, v78, s8
	v_max3_f32 v71, v71, v81, v80
	v_cmp_gt_i32_e64 s9, s17, v86
	v_cmp_gt_i32_e64 s10, s17, v87
	v_cmp_gt_i32_e64 s11, s17, v88
	v_mul_f32_e32 v97, s18, v104
	v_max3_f32 v71, v71, v72, v78
	v_cndmask_b32_e64 v68, 0xff7fffff, v68, s9
	v_cndmask_b32_e64 v70, 0xff7fffff, v70, s10
	;; [unrolled: 1-line block ×4, first 2 shown]
	v_cmp_gt_i32_e64 s13, s17, v90
	v_cmp_gt_i32_e64 s15, s17, v91
	v_max3_f32 v68, v71, v68, v70
	v_cmp_gt_i32_e64 s16, s17, v76
	v_cmp_gt_i32_e64 s17, s17, v77
	v_cndmask_b32_e64 v70, 0xff7fffff, v97, s13
	v_cndmask_b32_e64 v71, 0xff7fffff, v96, s15
	v_max3_f32 v68, v68, v72, v78
	v_cndmask_b32_e64 v72, 0xff7fffff, v95, s16
	v_cndmask_b32_e64 v76, 0xff7fffff, v94, s17
	s_delay_alu instid0(VALU_DEP_3) | instskip(NEXT) | instid1(VALU_DEP_1)
	v_max3_f32 v68, v68, v70, v71
	v_max3_f32 v68, v68, v72, v76
	ds_bpermute_b32 v69, v89, v68
	s_waitcnt lgkmcnt(0)
	v_max_f32_e32 v69, v69, v69
	s_delay_alu instid0(VALU_DEP_1) | instskip(NEXT) | instid1(VALU_DEP_1)
	v_max_f32_e32 v68, v68, v69
	v_fma_f32 v69, s18, v124, -v68
	v_fma_f32 v70, s18, v125, -v68
	;; [unrolled: 1-line block ×5, first 2 shown]
	s_delay_alu instid0(VALU_DEP_4) | instskip(NEXT) | instid1(VALU_DEP_4)
	v_dual_mul_f32 v69, 0x3fb8aa3b, v69 :: v_dual_mul_f32 v70, 0x3fb8aa3b, v70
	v_mul_f32_e32 v72, 0x3fb8aa3b, v72
	v_fma_f32 v78, s18, v130, -v68
	s_delay_alu instid0(VALU_DEP_4) | instskip(NEXT) | instid1(VALU_DEP_4)
	v_mul_f32_e32 v77, 0x3fb8aa3b, v76
	v_exp_f32_e32 v69, v69
	v_exp_f32_e32 v70, v70
	v_mul_f32_e32 v71, 0x3fb8aa3b, v71
	v_exp_f32_e32 v72, v72
	v_mul_f32_e32 v78, 0x3fb8aa3b, v78
	v_exp_f32_e32 v77, v77
	v_fma_f32 v81, s18, v105, -v68
	s_delay_alu instid0(VALU_DEP_2)
	v_exp_f32_e32 v78, v78
	v_cndmask_b32_e64 v80, 0, v69, s2
	v_cndmask_b32_e32 v76, 0, v70, vcc_lo
	v_exp_f32_e32 v71, v71
	v_fma_f32 v69, s18, v129, -v68
	v_cndmask_b32_e64 v85, 0, v72, s4
	v_add_f32_e32 v70, 0, v80
	s_delay_alu instid0(TRANS32_DEP_3)
	v_cndmask_b32_e64 v86, 0, v77, s5
	v_fma_f32 v77, s18, v101, -v68
	v_mul_f32_e32 v69, 0x3fb8aa3b, v69
	v_fma_f32 v72, s18, v100, -v68
	v_cndmask_b32_e64 v84, 0, v78, s7
	v_fma_f32 v78, s18, v103, -v68
	v_cndmask_b32_e64 v83, 0, v71, s3
	v_fma_f32 v71, s18, v131, -v68
	v_add_f32_e32 v70, v70, v76
	v_exp_f32_e32 v69, v69
	v_mul_f32_e32 v77, 0x3fb8aa3b, v77
	v_mul_f32_e32 v81, 0x3fb8aa3b, v81
	;; [unrolled: 1-line block ×3, first 2 shown]
	v_add_f32_e32 v70, v70, v83
	v_cmp_gt_u32_e64 s2, 16, v67
	v_exp_f32_e32 v77, v77
	v_exp_f32_e32 v81, v81
	;; [unrolled: 1-line block ×3, first 2 shown]
	v_cndmask_b32_e64 v87, 0, v69, s6
	v_add_f32_e32 v70, v70, v85
	s_delay_alu instid0(VALU_DEP_1) | instskip(SKIP_1) | instid1(VALU_DEP_2)
	v_dual_mul_f32 v72, 0x3fb8aa3b, v72 :: v_dual_add_f32 v69, v70, v86
	v_fma_f32 v70, s18, v102, -v68
	v_exp_f32_e32 v72, v72
	s_waitcnt_depctr 0xfff
	v_cndmask_b32_e64 v88, 0, v71, s8
	v_fma_f32 v71, s18, v104, -v68
	v_dual_add_f32 v69, v69, v87 :: v_dual_mul_f32 v70, 0x3fb8aa3b, v70
	s_delay_alu instid0(VALU_DEP_2) | instskip(NEXT) | instid1(VALU_DEP_2)
	v_dual_mul_f32 v78, 0x3fb8aa3b, v78 :: v_dual_mul_f32 v71, 0x3fb8aa3b, v71
	v_add_f32_e32 v69, v69, v84
	s_delay_alu instid0(VALU_DEP_3) | instskip(SKIP_1) | instid1(VALU_DEP_3)
	v_exp_f32_e32 v79, v70
	v_cndmask_b32_e64 v70, 0, v72, s9
	v_exp_f32_e32 v78, v78
	v_exp_f32_e32 v82, v71
	v_add_f32_e32 v72, v69, v88
	v_cndmask_b32_e64 v69, 0, v77, s10
	v_fma_f32 v77, s18, v106, -v68
	s_delay_alu instid0(VALU_DEP_3) | instskip(NEXT) | instid1(TRANS32_DEP_3)
	v_add_f32_e32 v72, v72, v70
	v_cndmask_b32_e64 v71, 0, v79, s11
	s_delay_alu instid0(VALU_DEP_3) | instskip(NEXT) | instid1(VALU_DEP_3)
	v_mul_f32_e32 v77, 0x3fb8aa3b, v77
	v_add_f32_e32 v79, v72, v69
	s_delay_alu instid0(TRANS32_DEP_2) | instskip(NEXT) | instid1(VALU_DEP_3)
	v_cndmask_b32_e64 v72, 0, v78, s12
	v_exp_f32_e32 v90, v77
	v_cndmask_b32_e64 v77, 0, v82, s13
	s_delay_alu instid0(VALU_DEP_3) | instskip(SKIP_1) | instid1(VALU_DEP_1)
	v_add_f32_e32 v78, v79, v71
	v_fma_f32 v79, s18, v107, -v68
	v_dual_add_f32 v82, v78, v72 :: v_dual_mul_f32 v79, 0x3fb8aa3b, v79
	v_cndmask_b32_e64 v78, 0, v81, s15
	s_delay_alu instid0(VALU_DEP_2) | instskip(NEXT) | instid1(VALU_DEP_3)
	v_add_f32_e32 v81, v82, v77
	v_exp_f32_e32 v82, v79
	s_delay_alu instid0(TRANS32_DEP_2) | instskip(NEXT) | instid1(VALU_DEP_2)
	v_cndmask_b32_e64 v79, 0, v90, s16
	v_add_f32_e32 v81, v81, v78
	s_delay_alu instid0(VALU_DEP_1) | instskip(SKIP_2) | instid1(VALU_DEP_1)
	v_add_f32_e32 v90, v81, v79
	s_waitcnt_depctr 0xfff
	v_cndmask_b32_e64 v81, 0, v82, s17
	v_add_f32_e32 v82, v90, v81
	ds_bpermute_b32 v89, v89, v82
	s_and_saveexec_b32 s3, s2
	s_cbranch_execz .LBB1798_12
; %bb.11:
	v_mul_u32_u24_e32 v67, 0x44, v66
	s_delay_alu instid0(VALU_DEP_1) | instskip(SKIP_1) | instid1(VALU_DEP_1)
	v_lshl_add_u32 v67, v65, 2, v67
	s_waitcnt lgkmcnt(0)
	v_dual_add_f32 v82, v82, v89 :: v_dual_add_nc_u32 v67, 0x4000, v67
	ds_store_2addr_b32 v67, v68, v82 offset1:136
.LBB1798_12:
	s_or_b32 exec_lo, exec_lo, s3
	v_lshlrev_b32_e32 v67, 2, v65
	s_waitcnt lgkmcnt(0)
	s_barrier
	buffer_gl0_inv
	v_cmp_eq_u32_e32 vcc_lo, 1, v66
	v_add_nc_u32_e32 v82, 0x4000, v67
	v_cmp_eq_u32_e64 s3, 2, v66
	v_cmp_eq_u32_e64 s5, 7, v66
	ds_load_2addr_b32 v[89:90], v82 offset1:17
	ds_load_2addr_b32 v[91:92], v82 offset0:34 offset1:51
	ds_load_2addr_b32 v[93:94], v82 offset0:68 offset1:85
	;; [unrolled: 1-line block ×4, first 2 shown]
	s_waitcnt lgkmcnt(4)
	v_max3_f32 v67, v89, 0xff7fffff, v90
	s_waitcnt lgkmcnt(3)
	s_delay_alu instid0(VALU_DEP_1) | instskip(SKIP_1) | instid1(VALU_DEP_1)
	v_max3_f32 v67, v67, v91, v92
	s_waitcnt lgkmcnt(2)
	v_max3_f32 v67, v67, v93, v94
	s_waitcnt lgkmcnt(1)
	s_delay_alu instid0(VALU_DEP_1) | instskip(NEXT) | instid1(VALU_DEP_1)
	v_max3_f32 v67, v67, v95, v96
	v_sub_f32_e32 v93, v93, v67
	s_delay_alu instid0(VALU_DEP_1) | instskip(NEXT) | instid1(VALU_DEP_1)
	v_dual_sub_f32 v68, v89, v67 :: v_dual_mul_f32 v103, 0x3fb8aa3b, v93
	v_mul_f32_e32 v68, 0x3fb8aa3b, v68
	s_delay_alu instid0(VALU_DEP_1)
	v_exp_f32_e32 v100, v68
	v_sub_f32_e32 v68, v92, v67
	v_sub_f32_e32 v99, v90, v67
	ds_load_2addr_b32 v[89:90], v82 offset0:170 offset1:187
	v_dual_mul_f32 v102, 0x3fb8aa3b, v68 :: v_dual_mul_f32 v99, 0x3fb8aa3b, v99
	s_waitcnt lgkmcnt(1)
	v_fma_f32 v68, v100, v97, 0
	s_delay_alu instid0(VALU_DEP_2) | instskip(NEXT) | instid1(VALU_DEP_2)
	v_exp_f32_e32 v102, v102
	v_exp_f32_e32 v99, v99
	s_waitcnt_depctr 0xfff
	v_fmac_f32_e32 v68, v99, v98
	v_sub_f32_e32 v91, v91, v67
	s_delay_alu instid0(VALU_DEP_1)
	v_mul_f32_e32 v101, 0x3fb8aa3b, v91
	ds_load_2addr_b32 v[91:92], v82 offset0:204 offset1:221
	v_sub_f32_e32 v97, v94, v67
	ds_load_2addr_b32 v[93:94], v82 offset0:238 offset1:255
	s_waitcnt lgkmcnt(0)
	v_exp_f32_e32 v101, v101
	s_barrier
	buffer_gl0_inv
	v_dual_fmac_f32 v68, v101, v89 :: v_dual_sub_f32 v89, v96, v67
	v_dual_sub_f32 v82, v95, v67 :: v_dual_mul_f32 v95, 0x3fb8aa3b, v97
	v_exp_f32_e32 v97, v103
	s_delay_alu instid0(VALU_DEP_2) | instskip(NEXT) | instid1(VALU_DEP_2)
	v_dual_fmac_f32 v68, v102, v90 :: v_dual_mul_f32 v89, 0x3fb8aa3b, v89
	v_mul_f32_e32 v82, 0x3fb8aa3b, v82
	s_delay_alu instid0(VALU_DEP_3) | instskip(NEXT) | instid1(VALU_DEP_2)
	v_exp_f32_e32 v95, v95
	v_exp_f32_e32 v89, v89
	s_delay_alu instid0(VALU_DEP_1)
	v_exp_f32_e32 v82, v82
	v_fmac_f32_e32 v68, v97, v91
	s_delay_alu instid0(TRANS32_DEP_3) | instid1(VALU_DEP_1)
	v_fmac_f32_e32 v68, v95, v92
	s_waitcnt_depctr 0xfff
	v_fmac_f32_e32 v68, v82, v93
	s_delay_alu instid0(VALU_DEP_1) | instskip(NEXT) | instid1(VALU_DEP_1)
	v_fmac_f32_e32 v68, v89, v94
	v_add_f32_e32 v90, 0x358637bd, v68
	s_delay_alu instid0(VALU_DEP_1) | instskip(NEXT) | instid1(VALU_DEP_1)
	v_div_scale_f32 v91, null, v90, v90, 1.0
	v_rcp_f32_e32 v92, v91
	s_waitcnt_depctr 0xfff
	v_fma_f32 v93, -v91, v92, 1.0
	s_delay_alu instid0(VALU_DEP_1) | instskip(SKIP_1) | instid1(VALU_DEP_2)
	v_dual_fmac_f32 v92, v93, v92 :: v_dual_cndmask_b32 v93, v100, v99
	v_cmp_eq_u32_e32 vcc_lo, 3, v66
	v_cndmask_b32_e64 v93, v93, v101, s3
	v_cmp_eq_u32_e64 s3, 4, v66
	s_delay_alu instid0(VALU_DEP_2) | instskip(SKIP_1) | instid1(VALU_DEP_2)
	v_cndmask_b32_e32 v93, v93, v102, vcc_lo
	v_cmp_eq_u32_e32 vcc_lo, 5, v66
	v_cndmask_b32_e64 v93, v93, v97, s3
	v_cmp_eq_u32_e64 s3, 6, v66
	s_delay_alu instid0(VALU_DEP_2) | instskip(SKIP_1) | instid1(VALU_DEP_1)
	v_cndmask_b32_e32 v93, v93, v95, vcc_lo
	v_div_scale_f32 v94, s4, 1.0, v90, 1.0
	s_mov_b32 vcc_lo, s4
	s_delay_alu instid0(VALU_DEP_2) | instskip(NEXT) | instid1(VALU_DEP_2)
	v_cndmask_b32_e64 v82, v93, v82, s3
	v_mul_f32_e32 v96, v94, v92
	s_mov_b32 s3, exec_lo
	s_delay_alu instid0(VALU_DEP_2) | instskip(NEXT) | instid1(VALU_DEP_2)
	v_cndmask_b32_e64 v82, v82, v89, s5
	v_fma_f32 v98, -v91, v96, v94
	s_delay_alu instid0(VALU_DEP_1) | instskip(NEXT) | instid1(VALU_DEP_1)
	v_fmac_f32_e32 v96, v98, v92
	v_fma_f32 v91, -v91, v96, v94
	s_delay_alu instid0(VALU_DEP_1) | instskip(NEXT) | instid1(VALU_DEP_1)
	v_div_fmas_f32 v91, v91, v92, v96
	v_div_fixup_f32 v90, v91, v90, 1.0
	s_delay_alu instid0(VALU_DEP_1) | instskip(NEXT) | instid1(VALU_DEP_1)
	v_mul_f32_e32 v82, v82, v90
	v_mul_f32_e32 v87, v82, v87
	;; [unrolled: 1-line block ×7, first 2 shown]
	v_dual_mul_f32 v86, v82, v83 :: v_dual_and_b32 v91, 0x7f800000, v90
	v_mul_f32_e32 v85, v82, v76
                                        ; implicit-def: $vgpr76
	s_delay_alu instid0(VALU_DEP_2)
	v_cmpx_ne_u32_e32 0x7f800000, v91
	s_xor_b32 s3, exec_lo, s3
; %bb.13:
	v_bfe_u32 v76, v90, 16, 1
	s_delay_alu instid0(VALU_DEP_1)
	v_add3_u32 v76, v90, v76, 0x7fff
                                        ; implicit-def: $vgpr90
; %bb.14:
	s_and_not1_saveexec_b32 s3, s3
; %bb.15:
	v_and_b32_e32 v76, 0xffff, v90
	v_or_b32_e32 v83, 0x10000, v90
	s_delay_alu instid0(VALU_DEP_2) | instskip(NEXT) | instid1(VALU_DEP_2)
	v_cmp_eq_u32_e32 vcc_lo, 0, v76
	v_cndmask_b32_e32 v76, v83, v90, vcc_lo
; %bb.16:
	s_or_b32 exec_lo, exec_lo, s3
	v_and_b32_e32 v83, 0x7f800000, v85
	s_delay_alu instid0(VALU_DEP_1) | instskip(SKIP_1) | instid1(SALU_CYCLE_1)
	v_cmp_ne_u32_e32 vcc_lo, 0x7f800000, v83
                                        ; implicit-def: $vgpr83
	s_and_saveexec_b32 s3, vcc_lo
	s_xor_b32 s3, exec_lo, s3
; %bb.17:
	v_bfe_u32 v83, v85, 16, 1
	s_delay_alu instid0(VALU_DEP_1)
	v_add3_u32 v83, v85, v83, 0x7fff
                                        ; implicit-def: $vgpr85
; %bb.18:
	s_and_not1_saveexec_b32 s3, s3
; %bb.19:
	v_and_b32_e32 v83, 0xffff, v85
	v_or_b32_e32 v90, 0x10000, v85
	s_delay_alu instid0(VALU_DEP_2) | instskip(NEXT) | instid1(VALU_DEP_2)
	v_cmp_eq_u32_e32 vcc_lo, 0, v83
	v_cndmask_b32_e32 v83, v90, v85, vcc_lo
; %bb.20:
	s_or_b32 exec_lo, exec_lo, s3
	v_and_b32_e32 v85, 0x7f800000, v86
	s_delay_alu instid0(VALU_DEP_1) | instskip(SKIP_1) | instid1(SALU_CYCLE_1)
	v_cmp_ne_u32_e32 vcc_lo, 0x7f800000, v85
                                        ; implicit-def: $vgpr85
	s_and_saveexec_b32 s3, vcc_lo
	s_xor_b32 s3, exec_lo, s3
; %bb.21:
	v_bfe_u32 v85, v86, 16, 1
	s_delay_alu instid0(VALU_DEP_1)
	v_add3_u32 v85, v86, v85, 0x7fff
                                        ; implicit-def: $vgpr86
; %bb.22:
	s_and_not1_saveexec_b32 s3, s3
; %bb.23:
	v_and_b32_e32 v85, 0xffff, v86
	v_or_b32_e32 v90, 0x10000, v86
	s_delay_alu instid0(VALU_DEP_2) | instskip(NEXT) | instid1(VALU_DEP_2)
	v_cmp_eq_u32_e32 vcc_lo, 0, v85
	v_cndmask_b32_e32 v85, v90, v86, vcc_lo
; %bb.24:
	s_or_b32 exec_lo, exec_lo, s3
	v_and_b32_e32 v86, 0x7f800000, v89
	s_delay_alu instid0(VALU_DEP_1) | instskip(SKIP_1) | instid1(SALU_CYCLE_1)
	v_cmp_ne_u32_e32 vcc_lo, 0x7f800000, v86
                                        ; implicit-def: $vgpr86
	s_and_saveexec_b32 s3, vcc_lo
	s_xor_b32 s3, exec_lo, s3
; %bb.25:
	v_bfe_u32 v86, v89, 16, 1
	s_delay_alu instid0(VALU_DEP_1)
	v_add3_u32 v86, v89, v86, 0x7fff
                                        ; implicit-def: $vgpr89
; %bb.26:
	s_and_not1_saveexec_b32 s3, s3
; %bb.27:
	v_and_b32_e32 v86, 0xffff, v89
	v_or_b32_e32 v90, 0x10000, v89
	s_delay_alu instid0(VALU_DEP_2) | instskip(NEXT) | instid1(VALU_DEP_2)
	v_cmp_eq_u32_e32 vcc_lo, 0, v86
	v_cndmask_b32_e32 v86, v90, v89, vcc_lo
; %bb.28:
	s_or_b32 exec_lo, exec_lo, s3
	v_and_b32_e32 v89, 0x7f800000, v88
	s_delay_alu instid0(VALU_DEP_1) | instskip(SKIP_1) | instid1(SALU_CYCLE_1)
	v_cmp_ne_u32_e32 vcc_lo, 0x7f800000, v89
                                        ; implicit-def: $vgpr89
	s_and_saveexec_b32 s3, vcc_lo
	s_xor_b32 s3, exec_lo, s3
; %bb.29:
	v_bfe_u32 v89, v88, 16, 1
	s_delay_alu instid0(VALU_DEP_1)
	v_add3_u32 v89, v88, v89, 0x7fff
                                        ; implicit-def: $vgpr88
; %bb.30:
	s_and_not1_saveexec_b32 s3, s3
; %bb.31:
	v_and_b32_e32 v89, 0xffff, v88
	v_or_b32_e32 v90, 0x10000, v88
	s_delay_alu instid0(VALU_DEP_2) | instskip(NEXT) | instid1(VALU_DEP_2)
	v_cmp_eq_u32_e32 vcc_lo, 0, v89
	v_cndmask_b32_e32 v89, v90, v88, vcc_lo
; %bb.32:
	s_or_b32 exec_lo, exec_lo, s3
	v_and_b32_e32 v88, 0x7f800000, v87
	s_delay_alu instid0(VALU_DEP_1) | instskip(SKIP_1) | instid1(SALU_CYCLE_1)
	v_cmp_ne_u32_e32 vcc_lo, 0x7f800000, v88
                                        ; implicit-def: $vgpr88
	s_and_saveexec_b32 s3, vcc_lo
	s_xor_b32 s3, exec_lo, s3
; %bb.33:
	v_bfe_u32 v88, v87, 16, 1
	s_delay_alu instid0(VALU_DEP_1)
	v_add3_u32 v88, v87, v88, 0x7fff
                                        ; implicit-def: $vgpr87
; %bb.34:
	s_and_not1_saveexec_b32 s3, s3
; %bb.35:
	v_and_b32_e32 v88, 0xffff, v87
	v_or_b32_e32 v90, 0x10000, v87
	s_delay_alu instid0(VALU_DEP_2) | instskip(NEXT) | instid1(VALU_DEP_2)
	v_cmp_eq_u32_e32 vcc_lo, 0, v88
	v_cndmask_b32_e32 v88, v90, v87, vcc_lo
; %bb.36:
	s_or_b32 exec_lo, exec_lo, s3
	v_and_b32_e32 v87, 0x7f800000, v84
	s_delay_alu instid0(VALU_DEP_1) | instskip(SKIP_1) | instid1(SALU_CYCLE_1)
	v_cmp_ne_u32_e32 vcc_lo, 0x7f800000, v87
                                        ; implicit-def: $vgpr87
	s_and_saveexec_b32 s3, vcc_lo
	s_xor_b32 s3, exec_lo, s3
; %bb.37:
	v_bfe_u32 v87, v84, 16, 1
	s_delay_alu instid0(VALU_DEP_1)
	v_add3_u32 v87, v84, v87, 0x7fff
                                        ; implicit-def: $vgpr84
; %bb.38:
	s_and_not1_saveexec_b32 s3, s3
; %bb.39:
	v_and_b32_e32 v87, 0xffff, v84
	v_or_b32_e32 v90, 0x10000, v84
	s_delay_alu instid0(VALU_DEP_2) | instskip(NEXT) | instid1(VALU_DEP_2)
	v_cmp_eq_u32_e32 vcc_lo, 0, v87
	v_cndmask_b32_e32 v87, v90, v84, vcc_lo
; %bb.40:
	s_or_b32 exec_lo, exec_lo, s3
	v_and_b32_e32 v84, 0x7f800000, v80
	s_delay_alu instid0(VALU_DEP_1) | instskip(SKIP_1) | instid1(SALU_CYCLE_1)
	v_cmp_ne_u32_e32 vcc_lo, 0x7f800000, v84
                                        ; implicit-def: $vgpr84
	s_and_saveexec_b32 s3, vcc_lo
	s_xor_b32 s3, exec_lo, s3
; %bb.41:
	v_bfe_u32 v84, v80, 16, 1
	s_delay_alu instid0(VALU_DEP_1)
	v_add3_u32 v84, v80, v84, 0x7fff
                                        ; implicit-def: $vgpr80
; %bb.42:
	s_and_not1_saveexec_b32 s3, s3
; %bb.43:
	v_and_b32_e32 v84, 0xffff, v80
	v_or_b32_e32 v90, 0x10000, v80
	s_delay_alu instid0(VALU_DEP_2) | instskip(NEXT) | instid1(VALU_DEP_2)
	v_cmp_eq_u32_e32 vcc_lo, 0, v84
	v_cndmask_b32_e32 v84, v90, v80, vcc_lo
; %bb.44:
	s_or_b32 exec_lo, exec_lo, s3
	s_load_b64 s[34:35], s[0:1], 0x94
	v_lshlrev_b32_e32 v91, 4, v74
	s_delay_alu instid0(VALU_DEP_2)
	v_perm_b32 v90, v84, v87, 0x7060302
	v_dual_mul_f32 v79, v82, v79 :: v_dual_lshlrev_b32 v80, 6, v65
	v_dual_mul_f32 v77, v82, v77 :: v_dual_lshlrev_b32 v92, 11, v66
	v_mul_f32_e32 v84, v82, v70
	v_perm_b32 v89, v88, v89, 0x7060302
	v_perm_b32 v88, v86, v85, 0x7060302
	;; [unrolled: 1-line block ×3, first 2 shown]
	v_mul_f32_e32 v70, v82, v81
	v_or3_b32 v76, v91, v92, v80
	v_dual_mul_f32 v78, v82, v78 :: v_dual_and_b32 v85, 0x7f800000, v84
	v_mul_f32_e32 v83, v82, v72
	v_mul_f32_e32 v81, v82, v71
	;; [unrolled: 1-line block ×3, first 2 shown]
	s_mov_b32 s3, exec_lo
	ds_store_b128 v76, v[87:90]
                                        ; implicit-def: $vgpr69
	v_cmpx_ne_u32_e32 0x7f800000, v85
	s_xor_b32 s3, exec_lo, s3
; %bb.45:
	v_bfe_u32 v69, v84, 16, 1
	s_delay_alu instid0(VALU_DEP_1)
	v_add3_u32 v69, v84, v69, 0x7fff
                                        ; implicit-def: $vgpr84
; %bb.46:
	s_and_not1_saveexec_b32 s3, s3
; %bb.47:
	v_and_b32_e32 v69, 0xffff, v84
	v_or_b32_e32 v71, 0x10000, v84
	s_delay_alu instid0(VALU_DEP_2) | instskip(NEXT) | instid1(VALU_DEP_2)
	v_cmp_eq_u32_e32 vcc_lo, 0, v69
	v_cndmask_b32_e32 v69, v71, v84, vcc_lo
; %bb.48:
	s_or_b32 exec_lo, exec_lo, s3
	v_and_b32_e32 v71, 0x7f800000, v72
	s_delay_alu instid0(VALU_DEP_1) | instskip(SKIP_1) | instid1(SALU_CYCLE_1)
	v_cmp_ne_u32_e32 vcc_lo, 0x7f800000, v71
                                        ; implicit-def: $vgpr71
	s_and_saveexec_b32 s3, vcc_lo
	s_xor_b32 s3, exec_lo, s3
; %bb.49:
	v_bfe_u32 v71, v72, 16, 1
	s_delay_alu instid0(VALU_DEP_1)
	v_add3_u32 v71, v72, v71, 0x7fff
                                        ; implicit-def: $vgpr72
; %bb.50:
	s_and_not1_saveexec_b32 s3, s3
; %bb.51:
	v_and_b32_e32 v71, 0xffff, v72
	v_or_b32_e32 v82, 0x10000, v72
	s_delay_alu instid0(VALU_DEP_2) | instskip(NEXT) | instid1(VALU_DEP_2)
	v_cmp_eq_u32_e32 vcc_lo, 0, v71
	v_cndmask_b32_e32 v71, v82, v72, vcc_lo
; %bb.52:
	s_or_b32 exec_lo, exec_lo, s3
	v_and_b32_e32 v72, 0x7f800000, v81
	s_delay_alu instid0(VALU_DEP_1) | instskip(SKIP_1) | instid1(SALU_CYCLE_1)
	v_cmp_ne_u32_e32 vcc_lo, 0x7f800000, v72
                                        ; implicit-def: $vgpr72
	s_and_saveexec_b32 s3, vcc_lo
	s_xor_b32 s3, exec_lo, s3
; %bb.53:
	v_bfe_u32 v72, v81, 16, 1
	s_delay_alu instid0(VALU_DEP_1)
	v_add3_u32 v72, v81, v72, 0x7fff
                                        ; implicit-def: $vgpr81
; %bb.54:
	s_and_not1_saveexec_b32 s3, s3
; %bb.55:
	v_and_b32_e32 v72, 0xffff, v81
	v_or_b32_e32 v82, 0x10000, v81
	s_delay_alu instid0(VALU_DEP_2) | instskip(NEXT) | instid1(VALU_DEP_2)
	v_cmp_eq_u32_e32 vcc_lo, 0, v72
	v_cndmask_b32_e32 v72, v82, v81, vcc_lo
; %bb.56:
	s_or_b32 exec_lo, exec_lo, s3
	v_and_b32_e32 v81, 0x7f800000, v83
	s_delay_alu instid0(VALU_DEP_1) | instskip(SKIP_1) | instid1(SALU_CYCLE_1)
	v_cmp_ne_u32_e32 vcc_lo, 0x7f800000, v81
                                        ; implicit-def: $vgpr81
	s_and_saveexec_b32 s3, vcc_lo
	s_xor_b32 s3, exec_lo, s3
; %bb.57:
	v_bfe_u32 v81, v83, 16, 1
	s_delay_alu instid0(VALU_DEP_1)
	v_add3_u32 v81, v83, v81, 0x7fff
                                        ; implicit-def: $vgpr83
; %bb.58:
	s_and_not1_saveexec_b32 s3, s3
; %bb.59:
	v_and_b32_e32 v81, 0xffff, v83
	v_or_b32_e32 v82, 0x10000, v83
	s_delay_alu instid0(VALU_DEP_2) | instskip(NEXT) | instid1(VALU_DEP_2)
	v_cmp_eq_u32_e32 vcc_lo, 0, v81
	v_cndmask_b32_e32 v81, v82, v83, vcc_lo
; %bb.60:
	s_or_b32 exec_lo, exec_lo, s3
	v_and_b32_e32 v82, 0x7f800000, v77
	s_delay_alu instid0(VALU_DEP_1) | instskip(SKIP_1) | instid1(SALU_CYCLE_1)
	v_cmp_ne_u32_e32 vcc_lo, 0x7f800000, v82
                                        ; implicit-def: $vgpr82
	s_and_saveexec_b32 s3, vcc_lo
	s_xor_b32 s3, exec_lo, s3
; %bb.61:
	v_bfe_u32 v82, v77, 16, 1
	s_delay_alu instid0(VALU_DEP_1)
	v_add3_u32 v82, v77, v82, 0x7fff
                                        ; implicit-def: $vgpr77
; %bb.62:
	s_and_not1_saveexec_b32 s3, s3
; %bb.63:
	v_and_b32_e32 v82, 0xffff, v77
	v_or_b32_e32 v83, 0x10000, v77
	s_delay_alu instid0(VALU_DEP_2) | instskip(NEXT) | instid1(VALU_DEP_2)
	v_cmp_eq_u32_e32 vcc_lo, 0, v82
	v_cndmask_b32_e32 v82, v83, v77, vcc_lo
; %bb.64:
	s_or_b32 exec_lo, exec_lo, s3
	v_and_b32_e32 v77, 0x7f800000, v78
	s_delay_alu instid0(VALU_DEP_1) | instskip(SKIP_1) | instid1(SALU_CYCLE_1)
	v_cmp_ne_u32_e32 vcc_lo, 0x7f800000, v77
                                        ; implicit-def: $vgpr77
	s_and_saveexec_b32 s3, vcc_lo
	s_xor_b32 s3, exec_lo, s3
; %bb.65:
	v_bfe_u32 v77, v78, 16, 1
	s_delay_alu instid0(VALU_DEP_1)
	v_add3_u32 v77, v78, v77, 0x7fff
                                        ; implicit-def: $vgpr78
; %bb.66:
	s_and_not1_saveexec_b32 s3, s3
; %bb.67:
	v_and_b32_e32 v77, 0xffff, v78
	v_or_b32_e32 v83, 0x10000, v78
	s_delay_alu instid0(VALU_DEP_2) | instskip(NEXT) | instid1(VALU_DEP_2)
	v_cmp_eq_u32_e32 vcc_lo, 0, v77
	v_cndmask_b32_e32 v77, v83, v78, vcc_lo
; %bb.68:
	s_or_b32 exec_lo, exec_lo, s3
	v_and_b32_e32 v78, 0x7f800000, v79
	s_delay_alu instid0(VALU_DEP_1) | instskip(SKIP_1) | instid1(SALU_CYCLE_1)
	v_cmp_ne_u32_e32 vcc_lo, 0x7f800000, v78
                                        ; implicit-def: $vgpr78
	s_and_saveexec_b32 s3, vcc_lo
	s_xor_b32 s3, exec_lo, s3
; %bb.69:
	v_bfe_u32 v78, v79, 16, 1
	s_delay_alu instid0(VALU_DEP_1)
	v_add3_u32 v78, v79, v78, 0x7fff
                                        ; implicit-def: $vgpr79
; %bb.70:
	s_and_not1_saveexec_b32 s3, s3
; %bb.71:
	v_and_b32_e32 v78, 0xffff, v79
	v_or_b32_e32 v83, 0x10000, v79
	s_delay_alu instid0(VALU_DEP_2) | instskip(NEXT) | instid1(VALU_DEP_2)
	v_cmp_eq_u32_e32 vcc_lo, 0, v78
	v_cndmask_b32_e32 v78, v83, v79, vcc_lo
; %bb.72:
	s_or_b32 exec_lo, exec_lo, s3
	v_and_b32_e32 v79, 0x7f800000, v70
	s_delay_alu instid0(VALU_DEP_1) | instskip(SKIP_1) | instid1(SALU_CYCLE_1)
	v_cmp_ne_u32_e32 vcc_lo, 0x7f800000, v79
                                        ; implicit-def: $vgpr79
	s_and_saveexec_b32 s3, vcc_lo
	s_xor_b32 s3, exec_lo, s3
; %bb.73:
	v_bfe_u32 v79, v70, 16, 1
	s_delay_alu instid0(VALU_DEP_1)
	v_add3_u32 v79, v70, v79, 0x7fff
                                        ; implicit-def: $vgpr70
; %bb.74:
	s_and_not1_saveexec_b32 s3, s3
; %bb.75:
	v_and_b32_e32 v79, 0xffff, v70
	v_or_b32_e32 v83, 0x10000, v70
	s_delay_alu instid0(VALU_DEP_2) | instskip(NEXT) | instid1(VALU_DEP_2)
	v_cmp_eq_u32_e32 vcc_lo, 0, v79
	v_cndmask_b32_e32 v79, v83, v70, vcc_lo
; %bb.76:
	s_or_b32 exec_lo, exec_lo, s3
	s_delay_alu instid0(VALU_DEP_1)
	v_perm_b32 v86, v79, v78, 0x7060302
	v_perm_b32 v85, v77, v82, 0x7060302
	;; [unrolled: 1-line block ×4, first 2 shown]
	v_lshl_or_b32 v82, v66, 11, v80
	ds_store_b128 v76, v[83:86] offset:1024
	s_waitcnt lgkmcnt(0)
	s_barrier
	buffer_gl0_inv
	ds_load_b128 v[69:72], v82
	ds_load_b128 v[83:86], v82 offset:16
	s_waitcnt lgkmcnt(1)
	v_lshrrev_b32_e32 v66, 16, v69
	s_waitcnt lgkmcnt(0)
	v_lshrrev_b32_e32 v91, 16, v83
	v_lshlrev_b32_e32 v78, 2, v74
	v_lshrrev_b32_e32 v95, 16, v70
	v_lshrrev_b32_e32 v98, 16, v84
	;; [unrolled: 1-line block ×4, first 2 shown]
	v_cmp_eq_u32_e32 vcc_lo, 1, v78
	v_lshrrev_b32_e32 v97, 16, v72
	v_lshrrev_b32_e32 v100, 16, v86
	v_cndmask_b32_e32 v87, v83, v91, vcc_lo
	v_or_b32_e32 v79, 1, v78
	v_cndmask_b32_e32 v81, v69, v66, vcc_lo
	v_cmp_eq_u32_e64 s4, 2, v78
	v_cmp_eq_u32_e64 s7, 3, v78
	v_cmp_eq_u32_e64 s9, 4, v78
	v_cmp_eq_u32_e64 s3, 1, v79
	v_cmp_eq_u32_e64 s6, 2, v79
	v_cndmask_b32_e64 v81, v81, v70, s4
	v_cndmask_b32_e64 v87, v87, v84, s4
	v_cmp_eq_u32_e64 s8, 3, v79
	v_cndmask_b32_e64 v88, v69, v66, s3
	v_or_b32_e32 v77, 2, v78
	v_cndmask_b32_e64 v81, v81, v95, s7
	v_cndmask_b32_e64 v87, v87, v98, s7
	;; [unrolled: 1-line block ×4, first 2 shown]
	v_cmp_eq_u32_e64 s10, 5, v78
	v_cndmask_b32_e64 v81, v81, v71, s9
	v_cndmask_b32_e64 v87, v87, v85, s9
	v_cmp_eq_u32_e64 s11, 4, v79
	v_cndmask_b32_e64 v88, v88, v95, s8
	v_cmp_eq_u32_e64 s5, 1, v77
	v_cndmask_b32_e64 v89, v89, v84, s6
	v_cndmask_b32_e64 v81, v81, v96, s10
	v_cmp_eq_u32_e64 s12, 6, v78
	v_cndmask_b32_e64 v88, v88, v71, s11
	;; [unrolled: 3-line block ×3, first 2 shown]
	v_cndmask_b32_e64 v89, v89, v98, s8
	v_cndmask_b32_e64 v81, v81, v72, s12
	v_cmp_eq_u32_e64 s15, 7, v78
	v_cndmask_b32_e64 v88, v88, v96, s13
	v_cndmask_b32_e64 v87, v87, v86, s12
	v_cmp_eq_u32_e64 s16, 6, v79
	v_cmp_eq_u32_e64 s17, 2, v77
	v_cndmask_b32_e64 v89, v89, v85, s11
	v_cndmask_b32_e64 v101, v81, v97, s15
	;; [unrolled: 1-line block ×6, first 2 shown]
	v_cmp_eq_u32_e64 s18, 7, v79
	v_cmp_eq_u32_e64 s19, 3, v77
	;; [unrolled: 1-line block ×4, first 2 shown]
	v_cndmask_b32_e64 v87, v87, v84, s17
	v_cndmask_b32_e64 v103, v88, v97, s18
	;; [unrolled: 1-line block ×4, first 2 shown]
	v_or_b32_e32 v81, 3, v78
	v_cndmask_b32_e64 v93, v87, v98, s19
	v_cmp_eq_u32_e64 s24, 6, v77
	v_cndmask_b32_e64 v104, v88, v86, s16
	v_cndmask_b32_e64 v92, v89, v71, s20
	v_cmp_eq_u32_e64 s21, 1, v81
	ds_load_b128 v[87:90], v82 offset:1024
	v_cmp_eq_u32_e64 s23, 2, v81
	v_cmp_eq_u32_e64 s25, 3, v81
	v_cndmask_b32_e64 v105, v92, v96, s22
	v_cndmask_b32_e64 v66, v69, v66, s21
	;; [unrolled: 1-line block ×4, first 2 shown]
	ds_load_b128 v[91:94], v82 offset:1040
	v_cmp_eq_u32_e64 s26, 4, v81
	v_cndmask_b32_e64 v66, v66, v70, s23
	v_cmp_eq_u32_e64 s27, 7, v77
	v_cndmask_b32_e64 v70, v83, v84, s23
	v_cndmask_b32_e64 v84, v105, v72, s24
	v_cmp_eq_u32_e64 s28, 5, v81
	v_cndmask_b32_e64 v66, v66, v95, s25
	v_cmp_eq_u32_e64 s29, 6, v81
	v_cndmask_b32_e64 v70, v70, v98, s25
	v_cndmask_b32_e64 v69, v69, v99, s22
	;; [unrolled: 1-line block ×4, first 2 shown]
	s_waitcnt lgkmcnt(1)
	v_lshrrev_b32_e32 v95, 16, v87
	v_cndmask_b32_e64 v70, v70, v85, s26
	v_cndmask_b32_e64 v71, v84, v97, s27
	;; [unrolled: 1-line block ×4, first 2 shown]
	v_cndmask_b32_e32 v84, v87, v95, vcc_lo
	v_cndmask_b32_e64 v70, v70, v99, s28
	s_waitcnt lgkmcnt(0)
	v_lshrrev_b32_e32 v85, 16, v91
	v_lshrrev_b32_e32 v96, 16, v88
	v_cndmask_b32_e64 v98, v87, v95, s3
	v_cndmask_b32_e64 v84, v84, v88, s4
	;; [unrolled: 1-line block ×3, first 2 shown]
	v_cndmask_b32_e32 v99, v91, v85, vcc_lo
	v_cmp_eq_u32_e32 vcc_lo, 7, v81
	v_cndmask_b32_e64 v66, v66, v72, s29
	v_cndmask_b32_e64 v72, v84, v96, s7
	;; [unrolled: 1-line block ×3, first 2 shown]
	v_lshrrev_b32_e32 v98, 16, v92
	v_cndmask_b32_e32 v70, v70, v100, vcc_lo
	v_cndmask_b32_e64 v86, v99, v92, s4
	v_cndmask_b32_e64 v69, v69, v100, s27
	v_lshrrev_b32_e32 v100, 16, v93
	v_cndmask_b32_e64 v72, v72, v89, s9
	v_lshrrev_b32_e32 v99, 16, v89
	v_cndmask_b32_e64 v86, v86, v98, s7
	v_perm_b32 v71, v69, v71, 0x5040100
	v_cndmask_b32_e64 v84, v84, v96, s8
	s_delay_alu instid0(VALU_DEP_3) | instskip(NEXT) | instid1(VALU_DEP_2)
	v_cndmask_b32_e64 v86, v86, v93, s9
	v_cndmask_b32_e64 v84, v84, v89, s11
	s_delay_alu instid0(VALU_DEP_2) | instskip(NEXT) | instid1(VALU_DEP_1)
	v_cndmask_b32_e64 v86, v86, v100, s10
	v_cndmask_b32_e64 v69, v86, v94, s12
	v_cndmask_b32_e64 v86, v87, v95, s5
	v_cndmask_b32_e64 v87, v87, v95, s21
	v_cndmask_b32_e64 v95, v91, v85, s21
	s_delay_alu instid0(VALU_DEP_3) | instskip(NEXT) | instid1(VALU_DEP_3)
	v_cndmask_b32_e64 v86, v86, v88, s17
	v_cndmask_b32_e64 v87, v87, v88, s23
	s_delay_alu instid0(VALU_DEP_3) | instskip(NEXT) | instid1(VALU_DEP_3)
	v_cndmask_b32_e64 v88, v95, v92, s23
	v_cndmask_b32_e64 v86, v86, v96, s19
	;; [unrolled: 3-line block ×7, first 2 shown]
	s_delay_alu instid0(VALU_DEP_3) | instskip(SKIP_2) | instid1(VALU_DEP_2)
	v_cndmask_b32_e64 v88, v88, v94, s29
	v_cndmask_b32_e32 v66, v66, v97, vcc_lo
	v_cndmask_b32_e64 v97, v72, v99, s10
	v_perm_b32 v72, v70, v66, 0x5040100
	v_perm_b32 v70, v83, v103, 0x5040100
	v_cndmask_b32_e64 v103, v91, v85, s5
	v_cndmask_b32_e64 v85, v91, v85, s3
	;; [unrolled: 1-line block ×4, first 2 shown]
	v_lshrrev_b32_e32 v97, 16, v90
	v_cndmask_b32_e64 v91, v103, v92, s17
	v_cndmask_b32_e64 v85, v85, v92, s6
	;; [unrolled: 1-line block ×3, first 2 shown]
	s_mov_b32 s3, exec_lo
	v_cndmask_b32_e64 v83, v84, v97, s15
	v_cndmask_b32_e64 v91, v91, v98, s19
	;; [unrolled: 1-line block ×3, first 2 shown]
	v_lshrrev_b32_e32 v84, 16, v94
	v_cndmask_b32_e64 v66, v66, v97, s18
	v_cndmask_b32_e64 v90, v86, v97, s27
	;; [unrolled: 1-line block ×4, first 2 shown]
	v_dual_cndmask_b32 v86, v87, v97 :: v_dual_cndmask_b32 v87, v88, v84
	v_cndmask_b32_e64 v91, v69, v84, s15
	s_delay_alu instid0(VALU_DEP_4) | instskip(NEXT) | instid1(VALU_DEP_4)
	v_cndmask_b32_e64 v89, v89, v100, s22
	v_cndmask_b32_e64 v85, v85, v100, s13
	v_perm_b32 v69, v102, v101, 0x5040100
	v_perm_b32 v86, v87, v86, 0x5040100
	;; [unrolled: 1-line block ×3, first 2 shown]
	v_cndmask_b32_e64 v89, v89, v94, s24
	v_cndmask_b32_e64 v85, v85, v94, s16
	s_mul_i32 s8, s35, 9
	s_delay_alu instid0(VALU_DEP_2) | instskip(NEXT) | instid1(VALU_DEP_2)
	v_cndmask_b32_e64 v88, v89, v84, s27
	v_cndmask_b32_e64 v89, v85, v84, s18
	s_delay_alu instid0(VALU_DEP_2) | instskip(NEXT) | instid1(VALU_DEP_2)
	v_perm_b32 v85, v88, v90, 0x5040100
	v_perm_b32 v84, v89, v66, 0x5040100
	ds_store_b128 v76, v[69:72]
	ds_store_b128 v76, v[83:86] offset:1024
	v_cmpx_gt_u32_e32 9, v0
	s_cbranch_execz .LBB1798_78
; %bb.77:
	s_mul_i32 s4, s8, s30
	s_delay_alu instid0(SALU_CYCLE_1) | instskip(SKIP_1) | instid1(VALU_DEP_1)
	v_add3_u32 v69, s4, s31, v65
	s_load_b128 s[4:7], s[0:1], 0x58
	v_mad_u64_u32 v[65:66], null, v69, s34, s[14:15]
	s_delay_alu instid0(VALU_DEP_1) | instskip(NEXT) | instid1(VALU_DEP_1)
	v_ashrrev_i32_e32 v66, 31, v65
	v_lshlrev_b64 v[65:66], 2, v[65:66]
	s_waitcnt lgkmcnt(0)
	s_delay_alu instid0(VALU_DEP_1) | instskip(NEXT) | instid1(VALU_DEP_2)
	v_add_co_u32 v69, vcc_lo, s6, v65
	v_add_co_ci_u32_e32 v70, vcc_lo, s7, v66, vcc_lo
	v_add_co_u32 v65, vcc_lo, s4, v65
	v_add_co_ci_u32_e32 v66, vcc_lo, s5, v66, vcc_lo
	global_store_b32 v[69:70], v67, off
	global_store_b32 v[65:66], v68, off
.LBB1798_78:
	s_or_b32 exec_lo, exec_lo, s3
	s_waitcnt lgkmcnt(0)
	s_waitcnt_vscnt null, 0x0
	s_barrier
	buffer_gl0_inv
	ds_load_b128 v[83:86], v80
	ds_load_b128 v[87:90], v80 offset:16
	ds_load_b128 v[95:98], v80 offset:2064
	ds_load_b128 v[91:94], v80 offset:2048
	v_mov_b32_e32 v65, 0
	ds_load_b128 v[103:106], v80 offset:4112
	ds_load_b128 v[99:102], v80 offset:4096
	;; [unrolled: 1-line block ×4, first 2 shown]
	v_mov_b32_e32 v66, v65
	v_mov_b32_e32 v67, v65
	v_mov_b32_e32 v68, v65
	v_mov_b32_e32 v69, v65
	v_mov_b32_e32 v70, v65
	v_mov_b32_e32 v71, v65
	v_mov_b32_e32 v72, v65
	s_waitcnt lgkmcnt(6)
	s_delay_alu instid0(VALU_DEP_1)
	v_wmma_f32_16x16x16_bf16 v[65:72], v[49:56], v[83:90], v[65:72]
	ds_load_b128 v[53:56], v80 offset:8208
	ds_load_b128 v[49:52], v80 offset:8192
	s_waitcnt lgkmcnt(6)
	v_wmma_f32_16x16x16_bf16 v[65:72], v[41:48], v[91:98], v[65:72]
	ds_load_b128 v[45:48], v80 offset:10256
	ds_load_b128 v[41:44], v80 offset:10240
	s_waitcnt lgkmcnt(6)
	;; [unrolled: 4-line block ×4, first 2 shown]
	v_wmma_f32_16x16x16_bf16 v[65:72], v[1:8], v[49:56], v[65:72]
	s_waitcnt lgkmcnt(4)
	s_delay_alu instid0(VALU_DEP_1) | instskip(SKIP_1) | instid1(VALU_DEP_1)
	v_wmma_f32_16x16x16_bf16 v[65:72], v[9:16], v[41:48], v[65:72]
	s_waitcnt lgkmcnt(2)
	v_wmma_f32_16x16x16_bf16 v[65:72], v[17:24], v[33:40], v[65:72]
	s_waitcnt lgkmcnt(0)
	s_delay_alu instid0(VALU_DEP_1) | instskip(NEXT) | instid1(VALU_DEP_1)
	v_wmma_f32_16x16x16_bf16 v[65:72], v[57:64], v[25:32], v[65:72]
	v_and_b32_e32 v1, 0x7f800000, v65
	s_delay_alu instid0(VALU_DEP_1) | instskip(SKIP_1) | instid1(SALU_CYCLE_1)
	v_cmp_ne_u32_e32 vcc_lo, 0x7f800000, v1
                                        ; implicit-def: $vgpr1
	s_and_saveexec_b32 s3, vcc_lo
	s_xor_b32 s3, exec_lo, s3
; %bb.79:
	v_bfe_u32 v1, v65, 16, 1
	s_delay_alu instid0(VALU_DEP_1)
	v_add3_u32 v1, v65, v1, 0x7fff
; %bb.80:
	s_and_not1_saveexec_b32 s3, s3
; %bb.81:
	v_and_b32_e32 v1, 0xffff, v65
	v_or_b32_e32 v2, 0x10000, v65
	s_delay_alu instid0(VALU_DEP_2) | instskip(NEXT) | instid1(VALU_DEP_2)
	v_cmp_eq_u32_e32 vcc_lo, 0, v1
	v_cndmask_b32_e32 v1, v2, v65, vcc_lo
; %bb.82:
	s_or_b32 exec_lo, exec_lo, s3
	v_and_b32_e32 v2, 0x7f800000, v66
	s_delay_alu instid0(VALU_DEP_1) | instskip(SKIP_1) | instid1(SALU_CYCLE_1)
	v_cmp_ne_u32_e32 vcc_lo, 0x7f800000, v2
                                        ; implicit-def: $vgpr2
	s_and_saveexec_b32 s3, vcc_lo
	s_xor_b32 s3, exec_lo, s3
; %bb.83:
	v_bfe_u32 v2, v66, 16, 1
	s_delay_alu instid0(VALU_DEP_1)
	v_add3_u32 v2, v66, v2, 0x7fff
; %bb.84:
	s_and_not1_saveexec_b32 s3, s3
; %bb.85:
	v_and_b32_e32 v2, 0xffff, v66
	v_or_b32_e32 v3, 0x10000, v66
	s_delay_alu instid0(VALU_DEP_2) | instskip(NEXT) | instid1(VALU_DEP_2)
	v_cmp_eq_u32_e32 vcc_lo, 0, v2
	v_cndmask_b32_e32 v2, v3, v66, vcc_lo
; %bb.86:
	s_or_b32 exec_lo, exec_lo, s3
	v_and_b32_e32 v3, 0x7f800000, v67
	s_delay_alu instid0(VALU_DEP_1) | instskip(SKIP_1) | instid1(SALU_CYCLE_1)
	v_cmp_ne_u32_e32 vcc_lo, 0x7f800000, v3
                                        ; implicit-def: $vgpr3
	s_and_saveexec_b32 s3, vcc_lo
	s_xor_b32 s3, exec_lo, s3
; %bb.87:
	v_bfe_u32 v3, v67, 16, 1
	s_delay_alu instid0(VALU_DEP_1)
	v_add3_u32 v3, v67, v3, 0x7fff
; %bb.88:
	s_and_not1_saveexec_b32 s3, s3
; %bb.89:
	v_and_b32_e32 v3, 0xffff, v67
	v_or_b32_e32 v4, 0x10000, v67
	s_delay_alu instid0(VALU_DEP_2) | instskip(NEXT) | instid1(VALU_DEP_2)
	v_cmp_eq_u32_e32 vcc_lo, 0, v3
	v_cndmask_b32_e32 v3, v4, v67, vcc_lo
; %bb.90:
	s_or_b32 exec_lo, exec_lo, s3
	v_and_b32_e32 v4, 0x7f800000, v68
	s_delay_alu instid0(VALU_DEP_1) | instskip(SKIP_1) | instid1(SALU_CYCLE_1)
	v_cmp_ne_u32_e32 vcc_lo, 0x7f800000, v4
                                        ; implicit-def: $vgpr4
	s_and_saveexec_b32 s3, vcc_lo
	s_xor_b32 s3, exec_lo, s3
; %bb.91:
	v_bfe_u32 v4, v68, 16, 1
	s_delay_alu instid0(VALU_DEP_1)
	v_add3_u32 v4, v68, v4, 0x7fff
; %bb.92:
	s_and_not1_saveexec_b32 s3, s3
; %bb.93:
	v_and_b32_e32 v4, 0xffff, v68
	v_or_b32_e32 v5, 0x10000, v68
	s_delay_alu instid0(VALU_DEP_2) | instskip(NEXT) | instid1(VALU_DEP_2)
	v_cmp_eq_u32_e32 vcc_lo, 0, v4
	v_cndmask_b32_e32 v4, v5, v68, vcc_lo
; %bb.94:
	s_or_b32 exec_lo, exec_lo, s3
	v_and_b32_e32 v5, 0x7f800000, v69
	s_delay_alu instid0(VALU_DEP_1) | instskip(SKIP_1) | instid1(SALU_CYCLE_1)
	v_cmp_ne_u32_e32 vcc_lo, 0x7f800000, v5
                                        ; implicit-def: $vgpr5
	s_and_saveexec_b32 s3, vcc_lo
	s_xor_b32 s3, exec_lo, s3
; %bb.95:
	v_bfe_u32 v5, v69, 16, 1
	s_delay_alu instid0(VALU_DEP_1)
	v_add3_u32 v5, v69, v5, 0x7fff
; %bb.96:
	s_and_not1_saveexec_b32 s3, s3
; %bb.97:
	v_and_b32_e32 v5, 0xffff, v69
	v_or_b32_e32 v6, 0x10000, v69
	s_delay_alu instid0(VALU_DEP_2) | instskip(NEXT) | instid1(VALU_DEP_2)
	v_cmp_eq_u32_e32 vcc_lo, 0, v5
	v_cndmask_b32_e32 v5, v6, v69, vcc_lo
; %bb.98:
	s_or_b32 exec_lo, exec_lo, s3
	v_and_b32_e32 v6, 0x7f800000, v70
	s_delay_alu instid0(VALU_DEP_1) | instskip(SKIP_1) | instid1(SALU_CYCLE_1)
	v_cmp_ne_u32_e32 vcc_lo, 0x7f800000, v6
                                        ; implicit-def: $vgpr6
	s_and_saveexec_b32 s3, vcc_lo
	s_xor_b32 s3, exec_lo, s3
; %bb.99:
	v_bfe_u32 v6, v70, 16, 1
	s_delay_alu instid0(VALU_DEP_1)
	v_add3_u32 v6, v70, v6, 0x7fff
; %bb.100:
	s_and_not1_saveexec_b32 s3, s3
; %bb.101:
	v_and_b32_e32 v6, 0xffff, v70
	v_or_b32_e32 v7, 0x10000, v70
	s_delay_alu instid0(VALU_DEP_2) | instskip(NEXT) | instid1(VALU_DEP_2)
	v_cmp_eq_u32_e32 vcc_lo, 0, v6
	v_cndmask_b32_e32 v6, v7, v70, vcc_lo
; %bb.102:
	s_or_b32 exec_lo, exec_lo, s3
	v_and_b32_e32 v7, 0x7f800000, v71
	s_delay_alu instid0(VALU_DEP_1) | instskip(SKIP_1) | instid1(SALU_CYCLE_1)
	v_cmp_ne_u32_e32 vcc_lo, 0x7f800000, v7
                                        ; implicit-def: $vgpr7
	s_and_saveexec_b32 s3, vcc_lo
	s_xor_b32 s3, exec_lo, s3
; %bb.103:
	v_bfe_u32 v7, v71, 16, 1
	s_delay_alu instid0(VALU_DEP_1)
	v_add3_u32 v7, v71, v7, 0x7fff
; %bb.104:
	s_and_not1_saveexec_b32 s3, s3
; %bb.105:
	v_and_b32_e32 v7, 0xffff, v71
	v_or_b32_e32 v8, 0x10000, v71
	s_delay_alu instid0(VALU_DEP_2) | instskip(NEXT) | instid1(VALU_DEP_2)
	v_cmp_eq_u32_e32 vcc_lo, 0, v7
	v_cndmask_b32_e32 v7, v8, v71, vcc_lo
; %bb.106:
	s_or_b32 exec_lo, exec_lo, s3
	v_and_b32_e32 v8, 0x7f800000, v72
	s_delay_alu instid0(VALU_DEP_1) | instskip(SKIP_1) | instid1(SALU_CYCLE_1)
	v_cmp_ne_u32_e32 vcc_lo, 0x7f800000, v8
                                        ; implicit-def: $vgpr8
	s_and_saveexec_b32 s3, vcc_lo
	s_xor_b32 s3, exec_lo, s3
; %bb.107:
	v_bfe_u32 v8, v72, 16, 1
	s_delay_alu instid0(VALU_DEP_1)
	v_add3_u32 v8, v72, v8, 0x7fff
                                        ; implicit-def: $vgpr65_vgpr66_vgpr67_vgpr68_vgpr69_vgpr70_vgpr71_vgpr72
; %bb.108:
	s_and_not1_saveexec_b32 s3, s3
; %bb.109:
	v_and_b32_e32 v8, 0xffff, v72
	v_or_b32_e32 v9, 0x10000, v72
	s_delay_alu instid0(VALU_DEP_2) | instskip(NEXT) | instid1(VALU_DEP_2)
	v_cmp_eq_u32_e32 vcc_lo, 0, v8
	v_cndmask_b32_e32 v8, v9, v72, vcc_lo
; %bb.110:
	s_or_b32 exec_lo, exec_lo, s3
	s_delay_alu instid0(VALU_DEP_1)
	v_perm_b32 v7, v8, v7, 0x7060302
	v_perm_b32 v6, v6, v5, 0x7060302
	;; [unrolled: 1-line block ×4, first 2 shown]
	s_barrier
	buffer_gl0_inv
	v_cmp_eq_u32_e32 vcc_lo, 1, v78
	ds_store_b128 v76, v[4:7]
	s_waitcnt lgkmcnt(0)
	s_barrier
	buffer_gl0_inv
	ds_load_b128 v[1:4], v82
	ds_load_b128 v[5:8], v82 offset:16
	v_cmp_eq_u32_e64 s3, 1, v79
	v_cmp_eq_u32_e64 s4, 2, v78
	v_cmp_eq_u32_e64 s5, 3, v78
	v_cmp_eq_u32_e64 s7, 2, v77
	v_cmp_eq_u32_e64 s6, 7, v79
	s_waitcnt lgkmcnt(1)
	v_lshrrev_b32_e32 v9, 16, v1
	s_waitcnt lgkmcnt(0)
	v_lshrrev_b32_e32 v13, 16, v5
	v_lshrrev_b32_e32 v10, 16, v2
	;; [unrolled: 1-line block ×4, first 2 shown]
	v_cndmask_b32_e64 v19, v1, v9, s3
	v_cndmask_b32_e32 v18, v5, v13, vcc_lo
	v_cndmask_b32_e64 v20, v5, v13, s3
	v_cndmask_b32_e32 v17, v1, v9, vcc_lo
	v_cmp_eq_u32_e32 vcc_lo, 2, v79
	v_lshrrev_b32_e32 v15, 16, v7
	v_cmp_eq_u32_e64 s3, 1, v77
	v_lshrrev_b32_e32 v12, 16, v4
	v_lshrrev_b32_e32 v16, 16, v8
	v_cndmask_b32_e32 v20, v20, v6, vcc_lo
	v_cndmask_b32_e64 v17, v17, v2, s4
	v_cndmask_b32_e32 v19, v19, v2, vcc_lo
	v_cndmask_b32_e64 v18, v18, v6, s4
	v_cmp_eq_u32_e32 vcc_lo, 4, v78
	v_cmp_eq_u32_e64 s4, 3, v79
	v_cndmask_b32_e64 v17, v17, v10, s5
	v_cndmask_b32_e64 v21, v1, v9, s3
	;; [unrolled: 1-line block ×5, first 2 shown]
	v_cndmask_b32_e32 v17, v17, v3, vcc_lo
	v_cndmask_b32_e64 v20, v20, v14, s4
	v_cndmask_b32_e32 v18, v18, v7, vcc_lo
	v_cmp_eq_u32_e32 vcc_lo, 4, v79
	v_cmp_eq_u32_e64 s4, 5, v79
	v_cmp_eq_u32_e64 s3, 2, v81
	v_cndmask_b32_e64 v21, v21, v2, s7
	v_cmp_eq_u32_e64 s5, 5, v78
	v_cndmask_b32_e32 v19, v19, v3, vcc_lo
	v_cndmask_b32_e32 v20, v20, v7, vcc_lo
	v_cmp_eq_u32_e32 vcc_lo, 6, v79
	s_delay_alu instid0(VALU_DEP_4) | instskip(NEXT) | instid1(VALU_DEP_4)
	v_cndmask_b32_e64 v17, v17, v11, s5
	v_cndmask_b32_e64 v19, v19, v11, s4
	s_delay_alu instid0(VALU_DEP_4) | instskip(SKIP_1) | instid1(VALU_DEP_3)
	v_cndmask_b32_e64 v20, v20, v15, s4
	v_cmp_eq_u32_e64 s4, 1, v81
	v_cndmask_b32_e32 v19, v19, v4, vcc_lo
	v_cndmask_b32_e64 v18, v18, v15, s5
	s_delay_alu instid0(VALU_DEP_3)
	v_cndmask_b32_e64 v1, v1, v9, s4
	v_cndmask_b32_e64 v5, v5, v13, s4
	v_cmp_eq_u32_e64 s4, 3, v77
	v_cndmask_b32_e64 v13, v22, v6, s7
	v_cmp_eq_u32_e64 s7, 3, v81
	v_cndmask_b32_e64 v1, v1, v2, s3
	v_cndmask_b32_e64 v2, v5, v6, s3
	;; [unrolled: 1-line block ×3, first 2 shown]
	v_cmp_eq_u32_e64 s3, 4, v77
	v_cndmask_b32_e64 v6, v13, v14, s4
	v_cndmask_b32_e64 v1, v1, v10, s7
	v_cmp_eq_u32_e64 s4, 4, v81
	v_cndmask_b32_e64 v2, v2, v14, s7
	v_cndmask_b32_e64 v5, v9, v3, s3
	;; [unrolled: 3-line block ×3, first 2 shown]
	v_cndmask_b32_e64 v2, v2, v7, s4
	v_cmp_eq_u32_e64 s3, 5, v81
	v_cmp_eq_u32_e64 s5, 6, v78
	v_cndmask_b32_e64 v5, v5, v11, s7
	v_cmp_eq_u32_e64 s4, 6, v77
	v_cndmask_b32_e64 v3, v6, v15, s7
	v_cndmask_b32_e64 v1, v1, v11, s3
	v_cmp_eq_u32_e64 s7, 6, v81
	v_cndmask_b32_e64 v2, v2, v15, s3
	v_cndmask_b32_e64 v17, v17, v4, s5
	v_cndmask_b32_e64 v18, v18, v8, s5
	v_cmp_eq_u32_e64 s5, 7, v78
	v_cndmask_b32_e64 v5, v5, v4, s4
	;; [unrolled: 4-line block ×3, first 2 shown]
	v_cmp_eq_u32_e64 s4, 7, v77
	v_cndmask_b32_e32 v4, v20, v8, vcc_lo
	v_cndmask_b32_e64 v17, v17, v12, s5
	v_cndmask_b32_e64 v19, v19, v12, s6
	;; [unrolled: 1-line block ×8, first 2 shown]
	s_mov_b32 s3, exec_lo
	v_perm_b32 v4, v2, v1, 0x5040100
	v_perm_b32 v3, v3, v5, 0x5040100
	;; [unrolled: 1-line block ×4, first 2 shown]
	ds_store_b128 v76, v[1:4]
	s_waitcnt lgkmcnt(0)
	s_barrier
	buffer_gl0_inv
	v_cmpx_gt_u32_e32 32, v0
	s_cbranch_execz .LBB1798_2
; %bb.111:
	s_load_b64 s[4:5], s[0:1], 0x68
	v_lshlrev_b32_e32 v0, 10, v0
	v_lshlrev_b32_e32 v1, 4, v75
	s_lshl_b32 s0, s34, 7
	v_add_nc_u32_e32 v2, s31, v74
	s_mul_i32 s1, s0, s30
	s_delay_alu instid0(SALU_CYCLE_1) | instskip(SKIP_1) | instid1(VALU_DEP_2)
	s_mul_i32 s6, s1, s8
	v_and_or_b32 v0, 0x3800, v0, v1
	v_mul_lo_u32 v1, v2, s0
	s_ashr_i32 s7, s6, 31
	v_add_nc_u32_e32 v3, 2, v2
	s_lshl_b64 s[6:7], s[6:7], 1
	v_add_nc_u32_e32 v4, 4, v2
	v_add_nc_u32_e32 v5, 6, v2
	v_lshl_or_b32 v15, v74, 6, v0
	v_mul_lo_u32 v3, v3, s0
	v_ashrrev_i32_e32 v2, 31, v1
	v_mul_lo_u32 v19, v4, s0
	v_mul_lo_u32 v21, v5, s0
	s_waitcnt lgkmcnt(0)
	s_add_u32 s1, s4, s6
	s_addc_u32 s3, s5, s7
	s_lshl_b32 s4, s14, 7
	v_lshlrev_b64 v[5:6], 1, v[1:2]
	s_ashr_i32 s5, s4, 31
	v_ashrrev_i32_e32 v4, 31, v3
	s_lshl_b64 s[4:5], s[4:5], 1
	v_ashrrev_i32_e32 v20, 31, v19
	s_add_u32 s1, s1, s4
	s_addc_u32 s3, s3, s5
	v_add_co_u32 v1, s1, s1, v73
	s_delay_alu instid0(VALU_DEP_1) | instskip(SKIP_1) | instid1(VALU_DEP_3)
	v_add_co_ci_u32_e64 v2, null, s3, 0, s1
	v_lshlrev_b64 v[25:26], 1, v[3:4]
	v_add_co_u32 v23, vcc_lo, v1, v5
	s_delay_alu instid0(VALU_DEP_3)
	v_add_co_ci_u32_e32 v24, vcc_lo, v2, v6, vcc_lo
	ds_load_b128 v[3:6], v15
	ds_load_b128 v[7:10], v15 offset:128
	ds_load_b128 v[11:14], v15 offset:256
	;; [unrolled: 1-line block ×3, first 2 shown]
	v_ashrrev_i32_e32 v22, 31, v21
	v_lshlrev_b64 v[19:20], 1, v[19:20]
	v_add_co_u32 v25, vcc_lo, v1, v25
	v_add_co_ci_u32_e32 v26, vcc_lo, v2, v26, vcc_lo
	s_delay_alu instid0(VALU_DEP_4) | instskip(NEXT) | instid1(VALU_DEP_4)
	v_lshlrev_b64 v[21:22], 1, v[21:22]
	v_add_co_u32 v19, vcc_lo, v1, v19
	v_add_co_ci_u32_e32 v20, vcc_lo, v2, v20, vcc_lo
	s_delay_alu instid0(VALU_DEP_3) | instskip(NEXT) | instid1(VALU_DEP_4)
	v_add_co_u32 v21, vcc_lo, v1, v21
	v_add_co_ci_u32_e32 v22, vcc_lo, v2, v22, vcc_lo
	s_waitcnt lgkmcnt(3)
	global_store_b128 v[23:24], v[3:6], off
	s_waitcnt lgkmcnt(2)
	global_store_b128 v[25:26], v[7:10], off
	;; [unrolled: 2-line block ×4, first 2 shown]
	s_and_b32 exec_lo, exec_lo, s2
	s_cbranch_execz .LBB1798_2
; %bb.112:
	ds_load_b128 v[3:6], v0 offset:512
	s_add_i32 s1, s31, 8
	s_delay_alu instid0(SALU_CYCLE_1) | instskip(NEXT) | instid1(SALU_CYCLE_1)
	s_mul_i32 s0, s1, s0
	s_ashr_i32 s1, s0, 31
	s_delay_alu instid0(SALU_CYCLE_1) | instskip(NEXT) | instid1(SALU_CYCLE_1)
	s_lshl_b64 s[0:1], s[0:1], 1
	v_add_co_u32 v0, vcc_lo, v1, s0
	v_add_co_ci_u32_e32 v1, vcc_lo, s1, v2, vcc_lo
	s_waitcnt lgkmcnt(0)
	global_store_b128 v[0:1], v[3:6], off
	s_nop 0
	s_sendmsg sendmsg(MSG_DEALLOC_VGPRS)
	s_endpgm
	.section	.rodata,"a",@progbits
	.p2align	6, 0x0
	.amdhsa_kernel _Z39paged_attention_ll4mi_QKV_mfma16_kernelI14__hip_bfloat16hLN4vllm18Fp8KVCacheDataTypeE1EhLi16ELi128ELi256ELb1ELi9EL8MFMAType0EEvPKT_PKT0_S9_ifPKiSB_SB_iPKfiiiPfSE_PS4_PT2_iSD_SD_
		.amdhsa_group_segment_fixed_size 17472
		.amdhsa_private_segment_fixed_size 0
		.amdhsa_kernarg_size 400
		.amdhsa_user_sgpr_count 13
		.amdhsa_user_sgpr_dispatch_ptr 0
		.amdhsa_user_sgpr_queue_ptr 0
		.amdhsa_user_sgpr_kernarg_segment_ptr 1
		.amdhsa_user_sgpr_dispatch_id 0
		.amdhsa_user_sgpr_private_segment_size 0
		.amdhsa_wavefront_size32 1
		.amdhsa_uses_dynamic_stack 0
		.amdhsa_enable_private_segment 0
		.amdhsa_system_sgpr_workgroup_id_x 1
		.amdhsa_system_sgpr_workgroup_id_y 1
		.amdhsa_system_sgpr_workgroup_id_z 1
		.amdhsa_system_sgpr_workgroup_info 0
		.amdhsa_system_vgpr_workitem_id 0
		.amdhsa_next_free_vgpr 140
		.amdhsa_next_free_sgpr 36
		.amdhsa_reserve_vcc 1
		.amdhsa_float_round_mode_32 0
		.amdhsa_float_round_mode_16_64 0
		.amdhsa_float_denorm_mode_32 3
		.amdhsa_float_denorm_mode_16_64 3
		.amdhsa_dx10_clamp 1
		.amdhsa_ieee_mode 1
		.amdhsa_fp16_overflow 0
		.amdhsa_workgroup_processor_mode 1
		.amdhsa_memory_ordered 1
		.amdhsa_forward_progress 0
		.amdhsa_shared_vgpr_count 0
		.amdhsa_exception_fp_ieee_invalid_op 0
		.amdhsa_exception_fp_denorm_src 0
		.amdhsa_exception_fp_ieee_div_zero 0
		.amdhsa_exception_fp_ieee_overflow 0
		.amdhsa_exception_fp_ieee_underflow 0
		.amdhsa_exception_fp_ieee_inexact 0
		.amdhsa_exception_int_div_zero 0
	.end_amdhsa_kernel
	.section	.text._Z39paged_attention_ll4mi_QKV_mfma16_kernelI14__hip_bfloat16hLN4vllm18Fp8KVCacheDataTypeE1EhLi16ELi128ELi256ELb1ELi9EL8MFMAType0EEvPKT_PKT0_S9_ifPKiSB_SB_iPKfiiiPfSE_PS4_PT2_iSD_SD_,"axG",@progbits,_Z39paged_attention_ll4mi_QKV_mfma16_kernelI14__hip_bfloat16hLN4vllm18Fp8KVCacheDataTypeE1EhLi16ELi128ELi256ELb1ELi9EL8MFMAType0EEvPKT_PKT0_S9_ifPKiSB_SB_iPKfiiiPfSE_PS4_PT2_iSD_SD_,comdat
.Lfunc_end1798:
	.size	_Z39paged_attention_ll4mi_QKV_mfma16_kernelI14__hip_bfloat16hLN4vllm18Fp8KVCacheDataTypeE1EhLi16ELi128ELi256ELb1ELi9EL8MFMAType0EEvPKT_PKT0_S9_ifPKiSB_SB_iPKfiiiPfSE_PS4_PT2_iSD_SD_, .Lfunc_end1798-_Z39paged_attention_ll4mi_QKV_mfma16_kernelI14__hip_bfloat16hLN4vllm18Fp8KVCacheDataTypeE1EhLi16ELi128ELi256ELb1ELi9EL8MFMAType0EEvPKT_PKT0_S9_ifPKiSB_SB_iPKfiiiPfSE_PS4_PT2_iSD_SD_
                                        ; -- End function
	.section	.AMDGPU.csdata,"",@progbits
; Kernel info:
; codeLenInByte = 8940
; NumSgprs: 38
; NumVgprs: 140
; ScratchSize: 0
; MemoryBound: 0
; FloatMode: 240
; IeeeMode: 1
; LDSByteSize: 17472 bytes/workgroup (compile time only)
; SGPRBlocks: 4
; VGPRBlocks: 17
; NumSGPRsForWavesPerEU: 38
; NumVGPRsForWavesPerEU: 140
; Occupancy: 10
; WaveLimiterHint : 1
; COMPUTE_PGM_RSRC2:SCRATCH_EN: 0
; COMPUTE_PGM_RSRC2:USER_SGPR: 13
; COMPUTE_PGM_RSRC2:TRAP_HANDLER: 0
; COMPUTE_PGM_RSRC2:TGID_X_EN: 1
; COMPUTE_PGM_RSRC2:TGID_Y_EN: 1
; COMPUTE_PGM_RSRC2:TGID_Z_EN: 1
; COMPUTE_PGM_RSRC2:TIDIG_COMP_CNT: 0
	.section	.text._Z39paged_attention_ll4mi_QKV_mfma16_kernelI14__hip_bfloat16hLN4vllm18Fp8KVCacheDataTypeE1EhLi16ELi128ELi256ELb1ELi10EL8MFMAType0EEvPKT_PKT0_S9_ifPKiSB_SB_iPKfiiiPfSE_PS4_PT2_iSD_SD_,"axG",@progbits,_Z39paged_attention_ll4mi_QKV_mfma16_kernelI14__hip_bfloat16hLN4vllm18Fp8KVCacheDataTypeE1EhLi16ELi128ELi256ELb1ELi10EL8MFMAType0EEvPKT_PKT0_S9_ifPKiSB_SB_iPKfiiiPfSE_PS4_PT2_iSD_SD_,comdat
	.protected	_Z39paged_attention_ll4mi_QKV_mfma16_kernelI14__hip_bfloat16hLN4vllm18Fp8KVCacheDataTypeE1EhLi16ELi128ELi256ELb1ELi10EL8MFMAType0EEvPKT_PKT0_S9_ifPKiSB_SB_iPKfiiiPfSE_PS4_PT2_iSD_SD_ ; -- Begin function _Z39paged_attention_ll4mi_QKV_mfma16_kernelI14__hip_bfloat16hLN4vllm18Fp8KVCacheDataTypeE1EhLi16ELi128ELi256ELb1ELi10EL8MFMAType0EEvPKT_PKT0_S9_ifPKiSB_SB_iPKfiiiPfSE_PS4_PT2_iSD_SD_
	.globl	_Z39paged_attention_ll4mi_QKV_mfma16_kernelI14__hip_bfloat16hLN4vllm18Fp8KVCacheDataTypeE1EhLi16ELi128ELi256ELb1ELi10EL8MFMAType0EEvPKT_PKT0_S9_ifPKiSB_SB_iPKfiiiPfSE_PS4_PT2_iSD_SD_
	.p2align	8
	.type	_Z39paged_attention_ll4mi_QKV_mfma16_kernelI14__hip_bfloat16hLN4vllm18Fp8KVCacheDataTypeE1EhLi16ELi128ELi256ELb1ELi10EL8MFMAType0EEvPKT_PKT0_S9_ifPKiSB_SB_iPKfiiiPfSE_PS4_PT2_iSD_SD_,@function
_Z39paged_attention_ll4mi_QKV_mfma16_kernelI14__hip_bfloat16hLN4vllm18Fp8KVCacheDataTypeE1EhLi16ELi128ELi256ELb1ELi10EL8MFMAType0EEvPKT_PKT0_S9_ifPKiSB_SB_iPKfiiiPfSE_PS4_PT2_iSD_SD_: ; @_Z39paged_attention_ll4mi_QKV_mfma16_kernelI14__hip_bfloat16hLN4vllm18Fp8KVCacheDataTypeE1EhLi16ELi128ELi256ELb1ELi10EL8MFMAType0EEvPKT_PKT0_S9_ifPKiSB_SB_iPKfiiiPfSE_PS4_PT2_iSD_SD_
; %bb.0:
	s_load_b64 s[4:5], s[0:1], 0x30
	s_mov_b32 s30, s13
	s_waitcnt lgkmcnt(0)
	s_cmp_lg_u64 s[4:5], 0
	s_cselect_b32 s13, -1, 0
	s_ashr_i32 s31, s30, 31
	s_cmp_eq_u64 s[4:5], 0
	s_cbranch_scc1 .LBB1799_3
; %bb.1:
	s_lshl_b64 s[2:3], s[30:31], 2
	s_delay_alu instid0(SALU_CYCLE_1) | instskip(SKIP_4) | instid1(SALU_CYCLE_1)
	s_add_u32 s2, s4, s2
	s_addc_u32 s3, s5, s3
	s_load_b64 s[2:3], s[2:3], 0x0
	s_waitcnt lgkmcnt(0)
	s_sub_i32 s2, s3, s2
	s_cmp_eq_u32 s2, 1
	s_cselect_b32 s2, -1, 0
	s_delay_alu instid0(SALU_CYCLE_1)
	s_and_not1_b32 vcc_lo, exec_lo, s2
	s_cbranch_vccz .LBB1799_4
.LBB1799_2:
	s_endpgm
.LBB1799_3:
.LBB1799_4:
	s_load_b64 s[2:3], s[0:1], 0x28
	s_lshl_b64 s[6:7], s[30:31], 2
	s_waitcnt lgkmcnt(0)
	s_add_u32 s2, s2, s6
	s_addc_u32 s3, s3, s7
	s_lshl_b32 s12, s14, 8
	s_load_b32 s17, s[2:3], 0x0
	s_waitcnt lgkmcnt(0)
	s_cmp_ge_i32 s12, s17
	s_cbranch_scc1 .LBB1799_2
; %bb.5:
	s_clause 0x1
	s_load_b128 s[8:11], s[0:1], 0x8
	s_load_b64 s[2:3], s[0:1], 0x20
	s_and_not1_b32 vcc_lo, exec_lo, s13
	s_cbranch_vccnz .LBB1799_7
; %bb.6:
	s_add_u32 s4, s4, s6
	s_addc_u32 s5, s5, s7
	s_load_b32 s13, s[4:5], 0x0
	s_branch .LBB1799_8
.LBB1799_7:
	s_mov_b32 s13, s30
.LBB1799_8:
	s_load_b128 s[4:7], s[0:1], 0x48
	v_and_b32_e32 v65, 15, v0
	v_lshrrev_b32_e32 v66, 5, v0
	v_and_b32_e32 v67, 31, v0
	v_and_b32_e32 v75, 1, v0
	v_bfe_u32 v74, v0, 4, 1
	v_lshlrev_b32_e32 v1, 3, v65
	s_mul_i32 s29, s15, 10
	s_waitcnt lgkmcnt(0)
	s_mov_b32 s7, exec_lo
	s_delay_alu instid0(VALU_DEP_1)
	v_lshlrev_b32_e32 v73, 1, v1
	v_cmpx_gt_u32_e32 0xa0, v0
	s_cbranch_execz .LBB1799_10
; %bb.9:
	s_load_b64 s[18:19], s[0:1], 0x0
	v_lshl_or_b32 v5, v66, 1, v74
	s_mul_hi_i32 s21, s13, s4
	s_mul_i32 s20, s13, s4
	v_lshlrev_b32_e32 v6, 10, v65
	s_lshl_b64 s[20:21], s[20:21], 1
	v_add_lshl_u32 v1, v5, s29, 7
	v_lshlrev_b32_e32 v5, 6, v5
	v_lshlrev_b32_e32 v7, 10, v75
	v_and_b32_e32 v6, 0x3800, v6
	s_delay_alu instid0(VALU_DEP_4) | instskip(NEXT) | instid1(VALU_DEP_2)
	v_ashrrev_i32_e32 v2, 31, v1
	v_or3_b32 v5, v6, v7, v5
	s_delay_alu instid0(VALU_DEP_2) | instskip(SKIP_3) | instid1(VALU_DEP_1)
	v_lshlrev_b64 v[1:2], 1, v[1:2]
	s_waitcnt lgkmcnt(0)
	s_add_u32 s4, s18, s20
	s_addc_u32 s13, s19, s21
	v_add_co_u32 v1, vcc_lo, s4, v1
	s_delay_alu instid0(VALU_DEP_2) | instskip(NEXT) | instid1(VALU_DEP_2)
	v_add_co_ci_u32_e32 v2, vcc_lo, s13, v2, vcc_lo
	v_add_co_u32 v1, vcc_lo, v1, v73
	s_delay_alu instid0(VALU_DEP_2)
	v_add_co_ci_u32_e32 v2, vcc_lo, 0, v2, vcc_lo
	global_load_b128 v[1:4], v[1:2], off
	s_waitcnt vmcnt(0)
	ds_store_b128 v5, v[1:4]
.LBB1799_10:
	s_or_b32 exec_lo, exec_lo, s7
	v_and_b32_e32 v1, 0xef, v0
	s_add_i32 s4, s17, 15
	s_clause 0x1
	s_load_b32 s7, s[0:1], 0x38
	s_load_b32 s18, s[0:1], 0x1c
	s_ashr_i32 s13, s4, 31
	v_add_nc_u32_e32 v1, s12, v1
	s_lshr_b32 s13, s13, 28
	s_waitcnt lgkmcnt(0)
	s_add_i32 s4, s4, s13
	s_barrier
	v_ashrrev_i32_e32 v2, 31, v1
	v_or_b32_e32 v3, 16, v1
	s_ashr_i32 s4, s4, 4
	v_cmp_gt_i32_e32 vcc_lo, s17, v1
	s_add_i32 s4, s4, -1
	v_lshrrev_b32_e32 v2, 28, v2
	buffer_gl0_inv
	s_mul_i32 s15, s15, s6
	v_add_nc_u32_e32 v4, v1, v2
	s_mul_i32 s20, s30, s7
	s_delay_alu instid0(SALU_CYCLE_1) | instskip(NEXT) | instid1(VALU_DEP_1)
	s_ashr_i32 s21, s20, 31
	v_ashrrev_i32_e32 v4, 4, v4
	v_add_nc_u32_e32 v2, v3, v2
	s_lshl_b64 s[20:21], s[20:21], 2
	s_delay_alu instid0(SALU_CYCLE_1) | instskip(NEXT) | instid1(VALU_DEP_2)
	s_add_u32 s13, s2, s20
	v_cndmask_b32_e32 v1, s4, v4, vcc_lo
	s_delay_alu instid0(VALU_DEP_2)
	v_ashrrev_i32_e32 v2, 4, v2
	v_cmp_gt_i32_e32 vcc_lo, s17, v3
	s_addc_u32 s16, s3, s21
	s_ashr_i32 s19, s15, 31
	s_add_u32 s26, s8, s15
	s_addc_u32 s27, s9, s19
	v_cndmask_b32_e32 v3, s4, v2, vcc_lo
	v_ashrrev_i32_e32 v2, 31, v1
	s_lshl_b32 s2, s14, 4
	s_delay_alu instid0(SALU_CYCLE_1) | instskip(NEXT) | instid1(VALU_DEP_2)
	s_ashr_i32 s3, s2, 31
	v_ashrrev_i32_e32 v4, 31, v3
	s_delay_alu instid0(VALU_DEP_2) | instskip(SKIP_1) | instid1(SALU_CYCLE_1)
	v_lshlrev_b64 v[1:2], 2, v[1:2]
	s_lshl_b64 s[2:3], s[2:3], 2
	s_add_u32 s2, s13, s2
	s_delay_alu instid0(VALU_DEP_2) | instskip(SKIP_1) | instid1(VALU_DEP_2)
	v_lshlrev_b64 v[3:4], 2, v[3:4]
	s_addc_u32 s3, s16, s3
	v_add_co_u32 v1, vcc_lo, s13, v1
	v_add_co_ci_u32_e32 v2, vcc_lo, s16, v2, vcc_lo
	s_delay_alu instid0(VALU_DEP_3) | instskip(NEXT) | instid1(VALU_DEP_4)
	v_add_co_u32 v3, vcc_lo, s13, v3
	v_add_co_ci_u32_e32 v4, vcc_lo, s16, v4, vcc_lo
	s_clause 0x1
	global_load_b32 v5, v[1:2], off
	global_load_b32 v3, v[3:4], off
	s_or_b32 s6, s12, 32
	v_cmp_gt_u32_e32 vcc_lo, 10, v65
	s_ashr_i32 s7, s6, 4
	s_cmp_lt_i32 s6, s17
	s_cselect_b32 s6, s7, s4
	s_delay_alu instid0(SALU_CYCLE_1) | instskip(NEXT) | instid1(SALU_CYCLE_1)
	s_ashr_i32 s7, s6, 31
	s_lshl_b64 s[6:7], s[6:7], 2
	s_delay_alu instid0(SALU_CYCLE_1) | instskip(SKIP_2) | instid1(SALU_CYCLE_1)
	s_add_u32 s6, s13, s6
	s_addc_u32 s7, s16, s7
	s_or_b32 s8, s12, 64
	s_ashr_i32 s9, s8, 4
	s_cmp_lt_i32 s8, s17
	s_cselect_b32 s8, s9, s4
	s_delay_alu instid0(SALU_CYCLE_1) | instskip(NEXT) | instid1(SALU_CYCLE_1)
	s_ashr_i32 s9, s8, 31
	s_lshl_b64 s[8:9], s[8:9], 2
	s_delay_alu instid0(SALU_CYCLE_1) | instskip(SKIP_2) | instid1(SALU_CYCLE_1)
	s_add_u32 s8, s13, s8
	s_addc_u32 s9, s16, s9
	s_or_b32 s20, s12, 0x60
	;; [unrolled: 10-line block ×4, first 2 shown]
	s_ashr_i32 s25, s24, 4
	s_cmp_lt_i32 s24, s17
	s_cselect_b32 s24, s25, s4
	s_delay_alu instid0(SALU_CYCLE_1) | instskip(NEXT) | instid1(SALU_CYCLE_1)
	s_ashr_i32 s25, s24, 31
	s_lshl_b64 s[24:25], s[24:25], 2
	s_delay_alu instid0(SALU_CYCLE_1)
	s_add_u32 s24, s13, s24
	s_addc_u32 s25, s16, s25
	s_clause 0x5
	s_load_b32 s28, s[2:3], 0x0
	s_load_b32 s31, s[6:7], 0x0
	;; [unrolled: 1-line block ×6, first 2 shown]
	s_mov_b32 s20, 0
	s_or_b32 s2, s12, 0xc0
	s_mov_b32 s21, s20
	s_mov_b32 s22, s20
	;; [unrolled: 1-line block ×5, first 2 shown]
	v_lshlrev_b32_e32 v1, 4, v0
	s_ashr_i32 s3, s2, 4
	s_cmp_lt_i32 s2, s17
	s_cselect_b32 s2, s3, s4
	s_delay_alu instid0(VALU_DEP_1) | instskip(SKIP_1) | instid1(SALU_CYCLE_1)
	v_and_b32_e32 v1, 0xf0, v1
	s_ashr_i32 s3, s2, 31
	s_lshl_b64 s[2:3], s[2:3], 2
	s_delay_alu instid0(VALU_DEP_1) | instskip(NEXT) | instid1(VALU_DEP_1)
	v_add_co_u32 v1, s26, s26, v1
	v_add_co_ci_u32_e64 v2, null, s27, 0, s26
	s_add_u32 s2, s13, s2
	s_addc_u32 s3, s16, s3
	s_or_b32 s6, s12, 0xe0
	s_mov_b32 s27, s20
	s_ashr_i32 s7, s6, 4
	s_cmp_lt_i32 s6, s17
	s_mov_b32 s26, s20
	v_dual_mov_b32 v107, s27 :: v_dual_mov_b32 v100, s20
	s_cselect_b32 s6, s7, s4
	v_mov_b32_e32 v106, s26
	s_ashr_i32 s7, s6, 31
	v_mov_b32_e32 v104, s24
	s_lshl_b64 s[6:7], s[6:7], 2
	v_dual_mov_b32 v103, s23 :: v_dual_mov_b32 v102, s22
	v_mov_b32_e32 v101, s21
	s_waitcnt vmcnt(1)
	v_mad_i64_i32 v[33:34], null, v5, s5, v[1:2]
	s_waitcnt vmcnt(0)
	v_mad_i64_i32 v[35:36], null, v3, s5, v[1:2]
	s_clause 0xf
	global_load_b128 v[1:4], v[33:34], off
	global_load_b128 v[5:8], v[33:34], off offset:256
	global_load_b128 v[9:12], v[35:36], off
	global_load_b128 v[13:16], v[35:36], off offset:256
	global_load_b128 v[17:20], v[33:34], off offset:512
	;; [unrolled: 1-line block ×13, first 2 shown]
	v_add_nc_u32_e32 v33, -10, v65
	v_lshlrev_b32_e32 v34, 4, v65
	s_delay_alu instid0(VALU_DEP_2) | instskip(SKIP_1) | instid1(VALU_DEP_3)
	v_cndmask_b32_e32 v33, v33, v65, vcc_lo
	v_mov_b32_e32 v105, s25
	v_lshl_or_b32 v41, v66, 8, v34
	s_delay_alu instid0(VALU_DEP_3)
	v_lshlrev_b32_e32 v72, 6, v33
	ds_load_b128 v[33:36], v72
	ds_load_b128 v[37:40], v72 offset:1024
	ds_load_b128 v[108:111], v72 offset:2048
	;; [unrolled: 1-line block ×3, first 2 shown]
	s_load_b32 s4, s[2:3], 0x0
	s_add_u32 s2, s13, s6
	s_addc_u32 s3, s16, s7
	ds_load_b128 v[116:119], v72 offset:4096
	ds_load_b128 v[120:123], v72 offset:5120
	s_load_b32 s2, s[2:3], 0x0
	s_add_u32 s6, s10, s15
	s_addc_u32 s7, s11, s19
	v_add_co_u32 v68, s6, s6, v41
	s_delay_alu instid0(VALU_DEP_1) | instskip(SKIP_1) | instid1(VALU_DEP_1)
	v_add_co_ci_u32_e64 v69, null, s7, 0, s6
	s_waitcnt lgkmcnt(0)
	v_mad_i64_i32 v[41:42], null, s28, s5, v[68:69]
	v_mad_i64_i32 v[70:71], null, s8, s5, v[68:69]
	;; [unrolled: 1-line block ×7, first 2 shown]
	s_clause 0x3
	global_load_b128 v[49:52], v[41:42], off
	global_load_b128 v[53:56], v[41:42], off offset:16
	global_load_b128 v[41:44], v[45:46], off
	global_load_b128 v[45:48], v[45:46], off offset:16
	s_waitcnt vmcnt(18)
	v_wmma_f32_16x16x16_bf16 v[124:131], v[1:8], v[33:40], v[100:107]
	s_waitcnt vmcnt(16)
	v_wmma_f32_16x16x16_bf16 v[100:107], v[9:16], v[33:40], v[100:107]
	s_clause 0x1
	global_load_b128 v[33:36], v[70:71], off
	global_load_b128 v[37:40], v[70:71], off offset:16
	v_mad_i64_i32 v[70:71], null, s2, s5, v[68:69]
	s_waitcnt vmcnt(16)
	v_wmma_f32_16x16x16_bf16 v[124:131], v[17:24], v[108:115], v[124:131]
	s_waitcnt vmcnt(14)
	v_wmma_f32_16x16x16_bf16 v[100:107], v[25:32], v[108:115], v[100:107]
	s_clause 0x7
	global_load_b128 v[25:28], v[132:133], off
	global_load_b128 v[29:32], v[132:133], off offset:16
	global_load_b128 v[1:4], v[134:135], off
	global_load_b128 v[5:8], v[134:135], off offset:16
	;; [unrolled: 2-line block ×4, first 2 shown]
	s_waitcnt vmcnt(20)
	v_wmma_f32_16x16x16_bf16 v[124:131], v[57:64], v[116:123], v[124:131]
	s_clause 0x1
	global_load_b128 v[57:60], v[70:71], off
	global_load_b128 v[61:64], v[70:71], off offset:16
	s_waitcnt vmcnt(20)
	v_wmma_f32_16x16x16_bf16 v[100:107], v[76:83], v[116:123], v[100:107]
	ds_load_b128 v[76:79], v72 offset:6144
	ds_load_b128 v[80:83], v72 offset:7168
	v_and_b32_e32 v68, 0xe0, v0
	v_mbcnt_lo_u32_b32 v69, -1, 0
	s_waitcnt vmcnt(0) lgkmcnt(0)
	s_barrier
	buffer_gl0_inv
	v_add_nc_u32_e32 v68, s12, v68
	v_xor_b32_e32 v70, 16, v69
	s_delay_alu instid0(VALU_DEP_2) | instskip(NEXT) | instid1(VALU_DEP_2)
	v_or_b32_e32 v68, v68, v74
	v_cmp_gt_i32_e32 vcc_lo, 32, v70
	s_delay_alu instid0(VALU_DEP_2)
	v_or_b32_e32 v71, 4, v68
	v_or_b32_e32 v72, 6, v68
	v_cmp_gt_i32_e64 s2, s17, v68
	v_or_b32_e32 v108, 8, v68
	v_wmma_f32_16x16x16_bf16 v[124:131], v[84:91], v[76:83], v[124:131]
	v_cndmask_b32_e32 v69, v69, v70, vcc_lo
	v_or_b32_e32 v70, 2, v68
	v_wmma_f32_16x16x16_bf16 v[100:107], v[92:99], v[76:83], v[100:107]
	v_or_b32_e32 v109, 10, v68
	v_dual_mul_f32 v82, s18, v127 :: v_dual_mul_f32 v79, s18, v130
	v_dual_mul_f32 v92, s18, v125 :: v_dual_mul_f32 v93, s18, v124
	s_delay_alu instid0(VALU_DEP_4)
	v_mul_f32_e32 v98, s18, v103
	v_cmp_gt_i32_e32 vcc_lo, s17, v70
	v_or_b32_e32 v89, 22, v68
	v_dual_mul_f32 v83, s18, v126 :: v_dual_mul_f32 v96, s18, v105
	v_cndmask_b32_e64 v93, 0xff7fffff, v93, s2
	v_cndmask_b32_e32 v92, 0xff7fffff, v92, vcc_lo
	v_cmp_gt_i32_e64 s3, s17, v71
	v_cmp_gt_i32_e64 s4, s17, v72
	v_or_b32_e32 v84, 12, v68
	v_or_b32_e32 v85, 14, v68
	v_dual_mul_f32 v80, s18, v129 :: v_dual_mul_f32 v81, s18, v128
	v_mul_f32_e32 v94, s18, v107
	v_cndmask_b32_e64 v71, 0xff7fffff, v83, s3
	v_cndmask_b32_e64 v72, 0xff7fffff, v82, s4
	v_cmp_gt_i32_e64 s5, s17, v108
	v_cmp_gt_i32_e64 s6, s17, v109
	;; [unrolled: 1-line block ×3, first 2 shown]
	v_lshlrev_b32_e32 v89, 2, v69
	v_max3_f32 v82, v93, 0xff7fffff, v92
	v_or_b32_e32 v86, 16, v68
	v_or_b32_e32 v87, 18, v68
	v_mul_f32_e32 v78, s18, v131
	v_cndmask_b32_e64 v81, 0xff7fffff, v81, s5
	v_cndmask_b32_e64 v80, 0xff7fffff, v80, s6
	v_max3_f32 v71, v82, v71, v72
	v_cmp_gt_i32_e64 s7, s17, v84
	v_cmp_gt_i32_e64 s8, s17, v85
	v_or_b32_e32 v88, 20, v68
	v_or_b32_e32 v90, 24, v68
	;; [unrolled: 1-line block ×5, first 2 shown]
	v_dual_mul_f32 v95, s18, v106 :: v_dual_mul_f32 v70, s18, v101
	v_dual_mul_f32 v99, s18, v102 :: v_dual_mul_f32 v68, s18, v100
	v_cndmask_b32_e64 v72, 0xff7fffff, v79, s7
	v_cndmask_b32_e64 v78, 0xff7fffff, v78, s8
	v_max3_f32 v71, v71, v81, v80
	v_cmp_gt_i32_e64 s9, s17, v86
	v_cmp_gt_i32_e64 s10, s17, v87
	;; [unrolled: 1-line block ×3, first 2 shown]
	v_mul_f32_e32 v97, s18, v104
	v_max3_f32 v71, v71, v72, v78
	v_cndmask_b32_e64 v68, 0xff7fffff, v68, s9
	v_cndmask_b32_e64 v70, 0xff7fffff, v70, s10
	;; [unrolled: 1-line block ×4, first 2 shown]
	v_cmp_gt_i32_e64 s13, s17, v90
	v_cmp_gt_i32_e64 s15, s17, v91
	v_max3_f32 v68, v71, v68, v70
	v_cmp_gt_i32_e64 s16, s17, v76
	v_cmp_gt_i32_e64 s17, s17, v77
	v_cndmask_b32_e64 v70, 0xff7fffff, v97, s13
	v_cndmask_b32_e64 v71, 0xff7fffff, v96, s15
	v_max3_f32 v68, v68, v72, v78
	v_cndmask_b32_e64 v72, 0xff7fffff, v95, s16
	v_cndmask_b32_e64 v76, 0xff7fffff, v94, s17
	s_delay_alu instid0(VALU_DEP_3) | instskip(NEXT) | instid1(VALU_DEP_1)
	v_max3_f32 v68, v68, v70, v71
	v_max3_f32 v68, v68, v72, v76
	ds_bpermute_b32 v69, v89, v68
	s_waitcnt lgkmcnt(0)
	v_max_f32_e32 v69, v69, v69
	s_delay_alu instid0(VALU_DEP_1) | instskip(NEXT) | instid1(VALU_DEP_1)
	v_max_f32_e32 v68, v68, v69
	v_fma_f32 v69, s18, v124, -v68
	v_fma_f32 v70, s18, v125, -v68
	;; [unrolled: 1-line block ×5, first 2 shown]
	s_delay_alu instid0(VALU_DEP_4) | instskip(NEXT) | instid1(VALU_DEP_4)
	v_dual_mul_f32 v69, 0x3fb8aa3b, v69 :: v_dual_mul_f32 v70, 0x3fb8aa3b, v70
	v_mul_f32_e32 v72, 0x3fb8aa3b, v72
	v_fma_f32 v78, s18, v130, -v68
	s_delay_alu instid0(VALU_DEP_4) | instskip(NEXT) | instid1(VALU_DEP_4)
	v_mul_f32_e32 v77, 0x3fb8aa3b, v76
	v_exp_f32_e32 v69, v69
	v_exp_f32_e32 v70, v70
	v_mul_f32_e32 v71, 0x3fb8aa3b, v71
	v_exp_f32_e32 v72, v72
	v_mul_f32_e32 v78, 0x3fb8aa3b, v78
	v_exp_f32_e32 v77, v77
	v_fma_f32 v81, s18, v105, -v68
	s_delay_alu instid0(VALU_DEP_2)
	v_exp_f32_e32 v78, v78
	v_cndmask_b32_e64 v80, 0, v69, s2
	v_cndmask_b32_e32 v76, 0, v70, vcc_lo
	v_exp_f32_e32 v71, v71
	v_fma_f32 v69, s18, v129, -v68
	v_cndmask_b32_e64 v85, 0, v72, s4
	v_add_f32_e32 v70, 0, v80
	s_delay_alu instid0(TRANS32_DEP_3)
	v_cndmask_b32_e64 v86, 0, v77, s5
	v_fma_f32 v77, s18, v101, -v68
	v_mul_f32_e32 v69, 0x3fb8aa3b, v69
	v_fma_f32 v72, s18, v100, -v68
	v_cndmask_b32_e64 v84, 0, v78, s7
	v_fma_f32 v78, s18, v103, -v68
	v_cndmask_b32_e64 v83, 0, v71, s3
	v_fma_f32 v71, s18, v131, -v68
	v_add_f32_e32 v70, v70, v76
	v_exp_f32_e32 v69, v69
	v_mul_f32_e32 v77, 0x3fb8aa3b, v77
	v_mul_f32_e32 v81, 0x3fb8aa3b, v81
	;; [unrolled: 1-line block ×3, first 2 shown]
	v_add_f32_e32 v70, v70, v83
	s_mov_b32 s2, exec_lo
	v_exp_f32_e32 v77, v77
	v_exp_f32_e32 v81, v81
	;; [unrolled: 1-line block ×3, first 2 shown]
	v_cndmask_b32_e64 v87, 0, v69, s6
	v_add_f32_e32 v70, v70, v85
	s_delay_alu instid0(VALU_DEP_1) | instskip(SKIP_1) | instid1(VALU_DEP_2)
	v_dual_mul_f32 v72, 0x3fb8aa3b, v72 :: v_dual_add_f32 v69, v70, v86
	v_fma_f32 v70, s18, v102, -v68
	v_exp_f32_e32 v72, v72
	s_waitcnt_depctr 0xfff
	v_cndmask_b32_e64 v88, 0, v71, s8
	v_fma_f32 v71, s18, v104, -v68
	v_dual_add_f32 v69, v69, v87 :: v_dual_mul_f32 v70, 0x3fb8aa3b, v70
	s_delay_alu instid0(VALU_DEP_2) | instskip(NEXT) | instid1(VALU_DEP_2)
	v_dual_mul_f32 v78, 0x3fb8aa3b, v78 :: v_dual_mul_f32 v71, 0x3fb8aa3b, v71
	v_add_f32_e32 v69, v69, v84
	s_delay_alu instid0(VALU_DEP_3) | instskip(SKIP_1) | instid1(VALU_DEP_3)
	v_exp_f32_e32 v79, v70
	v_cndmask_b32_e64 v70, 0, v72, s9
	v_exp_f32_e32 v78, v78
	v_exp_f32_e32 v82, v71
	v_add_f32_e32 v72, v69, v88
	v_cndmask_b32_e64 v69, 0, v77, s10
	v_fma_f32 v77, s18, v106, -v68
	s_delay_alu instid0(VALU_DEP_3) | instskip(NEXT) | instid1(TRANS32_DEP_3)
	v_add_f32_e32 v72, v72, v70
	v_cndmask_b32_e64 v71, 0, v79, s11
	s_delay_alu instid0(VALU_DEP_3) | instskip(NEXT) | instid1(VALU_DEP_3)
	v_mul_f32_e32 v77, 0x3fb8aa3b, v77
	v_add_f32_e32 v79, v72, v69
	s_delay_alu instid0(TRANS32_DEP_2) | instskip(NEXT) | instid1(VALU_DEP_3)
	v_cndmask_b32_e64 v72, 0, v78, s12
	v_exp_f32_e32 v90, v77
	v_cndmask_b32_e64 v77, 0, v82, s13
	s_delay_alu instid0(VALU_DEP_3) | instskip(SKIP_1) | instid1(VALU_DEP_1)
	v_add_f32_e32 v78, v79, v71
	v_fma_f32 v79, s18, v107, -v68
	v_dual_add_f32 v82, v78, v72 :: v_dual_mul_f32 v79, 0x3fb8aa3b, v79
	v_cndmask_b32_e64 v78, 0, v81, s15
	s_delay_alu instid0(VALU_DEP_2) | instskip(NEXT) | instid1(VALU_DEP_3)
	v_add_f32_e32 v81, v82, v77
	v_exp_f32_e32 v82, v79
	s_delay_alu instid0(TRANS32_DEP_2) | instskip(NEXT) | instid1(VALU_DEP_2)
	v_cndmask_b32_e64 v79, 0, v90, s16
	v_add_f32_e32 v81, v81, v78
	s_delay_alu instid0(VALU_DEP_1) | instskip(SKIP_2) | instid1(VALU_DEP_1)
	v_add_f32_e32 v90, v81, v79
	s_waitcnt_depctr 0xfff
	v_cndmask_b32_e64 v81, 0, v82, s17
	v_add_f32_e32 v82, v90, v81
	ds_bpermute_b32 v89, v89, v82
	v_cmpx_gt_u32_e32 16, v67
	s_cbranch_execz .LBB1799_12
; %bb.11:
	v_mul_u32_u24_e32 v67, 0x44, v66
	s_delay_alu instid0(VALU_DEP_1) | instskip(SKIP_1) | instid1(VALU_DEP_1)
	v_lshl_add_u32 v67, v65, 2, v67
	s_waitcnt lgkmcnt(0)
	v_dual_add_f32 v82, v82, v89 :: v_dual_add_nc_u32 v67, 0x4000, v67
	ds_store_2addr_b32 v67, v68, v82 offset1:136
.LBB1799_12:
	s_or_b32 exec_lo, exec_lo, s2
	v_lshlrev_b32_e32 v67, 2, v65
	s_waitcnt lgkmcnt(0)
	s_barrier
	buffer_gl0_inv
	v_cmp_eq_u32_e32 vcc_lo, 1, v66
	v_add_nc_u32_e32 v82, 0x4000, v67
	v_cmp_eq_u32_e64 s2, 2, v66
	v_cmp_eq_u32_e64 s4, 7, v66
	ds_load_2addr_b32 v[89:90], v82 offset1:17
	ds_load_2addr_b32 v[91:92], v82 offset0:34 offset1:51
	ds_load_2addr_b32 v[93:94], v82 offset0:68 offset1:85
	;; [unrolled: 1-line block ×4, first 2 shown]
	s_waitcnt lgkmcnt(4)
	v_max3_f32 v67, v89, 0xff7fffff, v90
	s_waitcnt lgkmcnt(3)
	s_delay_alu instid0(VALU_DEP_1) | instskip(SKIP_1) | instid1(VALU_DEP_1)
	v_max3_f32 v67, v67, v91, v92
	s_waitcnt lgkmcnt(2)
	v_max3_f32 v67, v67, v93, v94
	s_waitcnt lgkmcnt(1)
	s_delay_alu instid0(VALU_DEP_1) | instskip(NEXT) | instid1(VALU_DEP_1)
	v_max3_f32 v67, v67, v95, v96
	v_sub_f32_e32 v93, v93, v67
	s_delay_alu instid0(VALU_DEP_1) | instskip(NEXT) | instid1(VALU_DEP_1)
	v_dual_sub_f32 v68, v89, v67 :: v_dual_mul_f32 v103, 0x3fb8aa3b, v93
	v_mul_f32_e32 v68, 0x3fb8aa3b, v68
	s_delay_alu instid0(VALU_DEP_1)
	v_exp_f32_e32 v100, v68
	v_sub_f32_e32 v68, v92, v67
	v_sub_f32_e32 v99, v90, v67
	ds_load_2addr_b32 v[89:90], v82 offset0:170 offset1:187
	v_dual_mul_f32 v102, 0x3fb8aa3b, v68 :: v_dual_mul_f32 v99, 0x3fb8aa3b, v99
	s_waitcnt lgkmcnt(1)
	v_fma_f32 v68, v100, v97, 0
	s_delay_alu instid0(VALU_DEP_2) | instskip(NEXT) | instid1(VALU_DEP_2)
	v_exp_f32_e32 v102, v102
	v_exp_f32_e32 v99, v99
	s_waitcnt_depctr 0xfff
	v_fmac_f32_e32 v68, v99, v98
	v_sub_f32_e32 v91, v91, v67
	s_delay_alu instid0(VALU_DEP_1)
	v_mul_f32_e32 v101, 0x3fb8aa3b, v91
	ds_load_2addr_b32 v[91:92], v82 offset0:204 offset1:221
	v_sub_f32_e32 v97, v94, v67
	ds_load_2addr_b32 v[93:94], v82 offset0:238 offset1:255
	s_waitcnt lgkmcnt(0)
	v_exp_f32_e32 v101, v101
	s_barrier
	buffer_gl0_inv
	v_dual_fmac_f32 v68, v101, v89 :: v_dual_sub_f32 v89, v96, v67
	v_dual_sub_f32 v82, v95, v67 :: v_dual_mul_f32 v95, 0x3fb8aa3b, v97
	v_exp_f32_e32 v97, v103
	s_delay_alu instid0(VALU_DEP_2) | instskip(NEXT) | instid1(VALU_DEP_2)
	v_dual_fmac_f32 v68, v102, v90 :: v_dual_mul_f32 v89, 0x3fb8aa3b, v89
	v_mul_f32_e32 v82, 0x3fb8aa3b, v82
	s_delay_alu instid0(VALU_DEP_3) | instskip(NEXT) | instid1(VALU_DEP_2)
	v_exp_f32_e32 v95, v95
	v_exp_f32_e32 v89, v89
	s_delay_alu instid0(VALU_DEP_1)
	v_exp_f32_e32 v82, v82
	v_fmac_f32_e32 v68, v97, v91
	s_delay_alu instid0(TRANS32_DEP_3) | instid1(VALU_DEP_1)
	v_fmac_f32_e32 v68, v95, v92
	s_waitcnt_depctr 0xfff
	v_fmac_f32_e32 v68, v82, v93
	s_delay_alu instid0(VALU_DEP_1) | instskip(NEXT) | instid1(VALU_DEP_1)
	v_fmac_f32_e32 v68, v89, v94
	v_add_f32_e32 v90, 0x358637bd, v68
	s_delay_alu instid0(VALU_DEP_1) | instskip(NEXT) | instid1(VALU_DEP_1)
	v_div_scale_f32 v91, null, v90, v90, 1.0
	v_rcp_f32_e32 v92, v91
	s_waitcnt_depctr 0xfff
	v_fma_f32 v93, -v91, v92, 1.0
	s_delay_alu instid0(VALU_DEP_1) | instskip(SKIP_1) | instid1(VALU_DEP_2)
	v_dual_fmac_f32 v92, v93, v92 :: v_dual_cndmask_b32 v93, v100, v99
	v_cmp_eq_u32_e32 vcc_lo, 3, v66
	v_cndmask_b32_e64 v93, v93, v101, s2
	v_cmp_eq_u32_e64 s2, 4, v66
	s_delay_alu instid0(VALU_DEP_2) | instskip(SKIP_1) | instid1(VALU_DEP_2)
	v_cndmask_b32_e32 v93, v93, v102, vcc_lo
	v_cmp_eq_u32_e32 vcc_lo, 5, v66
	v_cndmask_b32_e64 v93, v93, v97, s2
	v_cmp_eq_u32_e64 s2, 6, v66
	s_delay_alu instid0(VALU_DEP_2) | instskip(SKIP_1) | instid1(VALU_DEP_1)
	v_cndmask_b32_e32 v93, v93, v95, vcc_lo
	v_div_scale_f32 v94, s3, 1.0, v90, 1.0
	s_mov_b32 vcc_lo, s3
	s_delay_alu instid0(VALU_DEP_2) | instskip(NEXT) | instid1(VALU_DEP_2)
	v_cndmask_b32_e64 v82, v93, v82, s2
	v_mul_f32_e32 v96, v94, v92
	s_mov_b32 s2, exec_lo
	s_delay_alu instid0(VALU_DEP_2) | instskip(NEXT) | instid1(VALU_DEP_2)
	v_cndmask_b32_e64 v82, v82, v89, s4
	v_fma_f32 v98, -v91, v96, v94
	s_delay_alu instid0(VALU_DEP_1) | instskip(NEXT) | instid1(VALU_DEP_1)
	v_fmac_f32_e32 v96, v98, v92
	v_fma_f32 v91, -v91, v96, v94
	s_delay_alu instid0(VALU_DEP_1) | instskip(NEXT) | instid1(VALU_DEP_1)
	v_div_fmas_f32 v91, v91, v92, v96
	v_div_fixup_f32 v90, v91, v90, 1.0
	s_delay_alu instid0(VALU_DEP_1) | instskip(NEXT) | instid1(VALU_DEP_1)
	v_mul_f32_e32 v82, v82, v90
	v_mul_f32_e32 v87, v82, v87
	;; [unrolled: 1-line block ×7, first 2 shown]
	v_dual_mul_f32 v86, v82, v83 :: v_dual_and_b32 v91, 0x7f800000, v90
	v_mul_f32_e32 v85, v82, v76
                                        ; implicit-def: $vgpr76
	s_delay_alu instid0(VALU_DEP_2)
	v_cmpx_ne_u32_e32 0x7f800000, v91
	s_xor_b32 s2, exec_lo, s2
; %bb.13:
	v_bfe_u32 v76, v90, 16, 1
	s_delay_alu instid0(VALU_DEP_1)
	v_add3_u32 v76, v90, v76, 0x7fff
                                        ; implicit-def: $vgpr90
; %bb.14:
	s_and_not1_saveexec_b32 s2, s2
; %bb.15:
	v_and_b32_e32 v76, 0xffff, v90
	v_or_b32_e32 v83, 0x10000, v90
	s_delay_alu instid0(VALU_DEP_2) | instskip(NEXT) | instid1(VALU_DEP_2)
	v_cmp_eq_u32_e32 vcc_lo, 0, v76
	v_cndmask_b32_e32 v76, v83, v90, vcc_lo
; %bb.16:
	s_or_b32 exec_lo, exec_lo, s2
	v_and_b32_e32 v83, 0x7f800000, v85
	s_delay_alu instid0(VALU_DEP_1) | instskip(SKIP_1) | instid1(SALU_CYCLE_1)
	v_cmp_ne_u32_e32 vcc_lo, 0x7f800000, v83
                                        ; implicit-def: $vgpr83
	s_and_saveexec_b32 s2, vcc_lo
	s_xor_b32 s2, exec_lo, s2
; %bb.17:
	v_bfe_u32 v83, v85, 16, 1
	s_delay_alu instid0(VALU_DEP_1)
	v_add3_u32 v83, v85, v83, 0x7fff
                                        ; implicit-def: $vgpr85
; %bb.18:
	s_and_not1_saveexec_b32 s2, s2
; %bb.19:
	v_and_b32_e32 v83, 0xffff, v85
	v_or_b32_e32 v90, 0x10000, v85
	s_delay_alu instid0(VALU_DEP_2) | instskip(NEXT) | instid1(VALU_DEP_2)
	v_cmp_eq_u32_e32 vcc_lo, 0, v83
	v_cndmask_b32_e32 v83, v90, v85, vcc_lo
; %bb.20:
	s_or_b32 exec_lo, exec_lo, s2
	v_and_b32_e32 v85, 0x7f800000, v86
	s_delay_alu instid0(VALU_DEP_1) | instskip(SKIP_1) | instid1(SALU_CYCLE_1)
	v_cmp_ne_u32_e32 vcc_lo, 0x7f800000, v85
                                        ; implicit-def: $vgpr85
	s_and_saveexec_b32 s2, vcc_lo
	s_xor_b32 s2, exec_lo, s2
; %bb.21:
	v_bfe_u32 v85, v86, 16, 1
	s_delay_alu instid0(VALU_DEP_1)
	v_add3_u32 v85, v86, v85, 0x7fff
                                        ; implicit-def: $vgpr86
; %bb.22:
	s_and_not1_saveexec_b32 s2, s2
; %bb.23:
	v_and_b32_e32 v85, 0xffff, v86
	v_or_b32_e32 v90, 0x10000, v86
	s_delay_alu instid0(VALU_DEP_2) | instskip(NEXT) | instid1(VALU_DEP_2)
	v_cmp_eq_u32_e32 vcc_lo, 0, v85
	v_cndmask_b32_e32 v85, v90, v86, vcc_lo
; %bb.24:
	s_or_b32 exec_lo, exec_lo, s2
	v_and_b32_e32 v86, 0x7f800000, v89
	s_delay_alu instid0(VALU_DEP_1) | instskip(SKIP_1) | instid1(SALU_CYCLE_1)
	v_cmp_ne_u32_e32 vcc_lo, 0x7f800000, v86
                                        ; implicit-def: $vgpr86
	s_and_saveexec_b32 s2, vcc_lo
	s_xor_b32 s2, exec_lo, s2
; %bb.25:
	v_bfe_u32 v86, v89, 16, 1
	s_delay_alu instid0(VALU_DEP_1)
	v_add3_u32 v86, v89, v86, 0x7fff
                                        ; implicit-def: $vgpr89
; %bb.26:
	s_and_not1_saveexec_b32 s2, s2
; %bb.27:
	v_and_b32_e32 v86, 0xffff, v89
	v_or_b32_e32 v90, 0x10000, v89
	s_delay_alu instid0(VALU_DEP_2) | instskip(NEXT) | instid1(VALU_DEP_2)
	v_cmp_eq_u32_e32 vcc_lo, 0, v86
	v_cndmask_b32_e32 v86, v90, v89, vcc_lo
; %bb.28:
	s_or_b32 exec_lo, exec_lo, s2
	v_and_b32_e32 v89, 0x7f800000, v88
	s_delay_alu instid0(VALU_DEP_1) | instskip(SKIP_1) | instid1(SALU_CYCLE_1)
	v_cmp_ne_u32_e32 vcc_lo, 0x7f800000, v89
                                        ; implicit-def: $vgpr89
	s_and_saveexec_b32 s2, vcc_lo
	s_xor_b32 s2, exec_lo, s2
; %bb.29:
	v_bfe_u32 v89, v88, 16, 1
	s_delay_alu instid0(VALU_DEP_1)
	v_add3_u32 v89, v88, v89, 0x7fff
                                        ; implicit-def: $vgpr88
; %bb.30:
	s_and_not1_saveexec_b32 s2, s2
; %bb.31:
	v_and_b32_e32 v89, 0xffff, v88
	v_or_b32_e32 v90, 0x10000, v88
	s_delay_alu instid0(VALU_DEP_2) | instskip(NEXT) | instid1(VALU_DEP_2)
	v_cmp_eq_u32_e32 vcc_lo, 0, v89
	v_cndmask_b32_e32 v89, v90, v88, vcc_lo
; %bb.32:
	s_or_b32 exec_lo, exec_lo, s2
	v_and_b32_e32 v88, 0x7f800000, v87
	s_delay_alu instid0(VALU_DEP_1) | instskip(SKIP_1) | instid1(SALU_CYCLE_1)
	v_cmp_ne_u32_e32 vcc_lo, 0x7f800000, v88
                                        ; implicit-def: $vgpr88
	s_and_saveexec_b32 s2, vcc_lo
	s_xor_b32 s2, exec_lo, s2
; %bb.33:
	v_bfe_u32 v88, v87, 16, 1
	s_delay_alu instid0(VALU_DEP_1)
	v_add3_u32 v88, v87, v88, 0x7fff
                                        ; implicit-def: $vgpr87
; %bb.34:
	s_and_not1_saveexec_b32 s2, s2
; %bb.35:
	v_and_b32_e32 v88, 0xffff, v87
	v_or_b32_e32 v90, 0x10000, v87
	s_delay_alu instid0(VALU_DEP_2) | instskip(NEXT) | instid1(VALU_DEP_2)
	v_cmp_eq_u32_e32 vcc_lo, 0, v88
	v_cndmask_b32_e32 v88, v90, v87, vcc_lo
; %bb.36:
	s_or_b32 exec_lo, exec_lo, s2
	v_and_b32_e32 v87, 0x7f800000, v84
	s_delay_alu instid0(VALU_DEP_1) | instskip(SKIP_1) | instid1(SALU_CYCLE_1)
	v_cmp_ne_u32_e32 vcc_lo, 0x7f800000, v87
                                        ; implicit-def: $vgpr87
	s_and_saveexec_b32 s2, vcc_lo
	s_xor_b32 s2, exec_lo, s2
; %bb.37:
	v_bfe_u32 v87, v84, 16, 1
	s_delay_alu instid0(VALU_DEP_1)
	v_add3_u32 v87, v84, v87, 0x7fff
                                        ; implicit-def: $vgpr84
; %bb.38:
	s_and_not1_saveexec_b32 s2, s2
; %bb.39:
	v_and_b32_e32 v87, 0xffff, v84
	v_or_b32_e32 v90, 0x10000, v84
	s_delay_alu instid0(VALU_DEP_2) | instskip(NEXT) | instid1(VALU_DEP_2)
	v_cmp_eq_u32_e32 vcc_lo, 0, v87
	v_cndmask_b32_e32 v87, v90, v84, vcc_lo
; %bb.40:
	s_or_b32 exec_lo, exec_lo, s2
	v_and_b32_e32 v84, 0x7f800000, v80
	s_delay_alu instid0(VALU_DEP_1) | instskip(SKIP_1) | instid1(SALU_CYCLE_1)
	v_cmp_ne_u32_e32 vcc_lo, 0x7f800000, v84
                                        ; implicit-def: $vgpr84
	s_and_saveexec_b32 s2, vcc_lo
	s_xor_b32 s2, exec_lo, s2
; %bb.41:
	v_bfe_u32 v84, v80, 16, 1
	s_delay_alu instid0(VALU_DEP_1)
	v_add3_u32 v84, v80, v84, 0x7fff
                                        ; implicit-def: $vgpr80
; %bb.42:
	s_and_not1_saveexec_b32 s2, s2
; %bb.43:
	v_and_b32_e32 v84, 0xffff, v80
	v_or_b32_e32 v90, 0x10000, v80
	s_delay_alu instid0(VALU_DEP_2) | instskip(NEXT) | instid1(VALU_DEP_2)
	v_cmp_eq_u32_e32 vcc_lo, 0, v84
	v_cndmask_b32_e32 v84, v90, v80, vcc_lo
; %bb.44:
	s_or_b32 exec_lo, exec_lo, s2
	s_load_b64 s[34:35], s[0:1], 0x94
	v_lshlrev_b32_e32 v91, 4, v74
	s_delay_alu instid0(VALU_DEP_2)
	v_perm_b32 v90, v84, v87, 0x7060302
	v_dual_mul_f32 v79, v82, v79 :: v_dual_lshlrev_b32 v80, 6, v65
	v_dual_mul_f32 v77, v82, v77 :: v_dual_lshlrev_b32 v92, 11, v66
	v_mul_f32_e32 v84, v82, v70
	v_perm_b32 v89, v88, v89, 0x7060302
	v_perm_b32 v88, v86, v85, 0x7060302
	;; [unrolled: 1-line block ×3, first 2 shown]
	v_mul_f32_e32 v70, v82, v81
	v_or3_b32 v76, v91, v92, v80
	v_dual_mul_f32 v78, v82, v78 :: v_dual_and_b32 v85, 0x7f800000, v84
	v_mul_f32_e32 v83, v82, v72
	v_mul_f32_e32 v81, v82, v71
	;; [unrolled: 1-line block ×3, first 2 shown]
	s_mov_b32 s2, exec_lo
	ds_store_b128 v76, v[87:90]
                                        ; implicit-def: $vgpr69
	v_cmpx_ne_u32_e32 0x7f800000, v85
	s_xor_b32 s2, exec_lo, s2
; %bb.45:
	v_bfe_u32 v69, v84, 16, 1
	s_delay_alu instid0(VALU_DEP_1)
	v_add3_u32 v69, v84, v69, 0x7fff
                                        ; implicit-def: $vgpr84
; %bb.46:
	s_and_not1_saveexec_b32 s2, s2
; %bb.47:
	v_and_b32_e32 v69, 0xffff, v84
	v_or_b32_e32 v71, 0x10000, v84
	s_delay_alu instid0(VALU_DEP_2) | instskip(NEXT) | instid1(VALU_DEP_2)
	v_cmp_eq_u32_e32 vcc_lo, 0, v69
	v_cndmask_b32_e32 v69, v71, v84, vcc_lo
; %bb.48:
	s_or_b32 exec_lo, exec_lo, s2
	v_and_b32_e32 v71, 0x7f800000, v72
	s_delay_alu instid0(VALU_DEP_1) | instskip(SKIP_1) | instid1(SALU_CYCLE_1)
	v_cmp_ne_u32_e32 vcc_lo, 0x7f800000, v71
                                        ; implicit-def: $vgpr71
	s_and_saveexec_b32 s2, vcc_lo
	s_xor_b32 s2, exec_lo, s2
; %bb.49:
	v_bfe_u32 v71, v72, 16, 1
	s_delay_alu instid0(VALU_DEP_1)
	v_add3_u32 v71, v72, v71, 0x7fff
                                        ; implicit-def: $vgpr72
; %bb.50:
	s_and_not1_saveexec_b32 s2, s2
; %bb.51:
	v_and_b32_e32 v71, 0xffff, v72
	v_or_b32_e32 v82, 0x10000, v72
	s_delay_alu instid0(VALU_DEP_2) | instskip(NEXT) | instid1(VALU_DEP_2)
	v_cmp_eq_u32_e32 vcc_lo, 0, v71
	v_cndmask_b32_e32 v71, v82, v72, vcc_lo
; %bb.52:
	s_or_b32 exec_lo, exec_lo, s2
	v_and_b32_e32 v72, 0x7f800000, v81
	s_delay_alu instid0(VALU_DEP_1) | instskip(SKIP_1) | instid1(SALU_CYCLE_1)
	v_cmp_ne_u32_e32 vcc_lo, 0x7f800000, v72
                                        ; implicit-def: $vgpr72
	s_and_saveexec_b32 s2, vcc_lo
	s_xor_b32 s2, exec_lo, s2
; %bb.53:
	v_bfe_u32 v72, v81, 16, 1
	s_delay_alu instid0(VALU_DEP_1)
	v_add3_u32 v72, v81, v72, 0x7fff
                                        ; implicit-def: $vgpr81
; %bb.54:
	s_and_not1_saveexec_b32 s2, s2
; %bb.55:
	v_and_b32_e32 v72, 0xffff, v81
	v_or_b32_e32 v82, 0x10000, v81
	s_delay_alu instid0(VALU_DEP_2) | instskip(NEXT) | instid1(VALU_DEP_2)
	v_cmp_eq_u32_e32 vcc_lo, 0, v72
	v_cndmask_b32_e32 v72, v82, v81, vcc_lo
; %bb.56:
	s_or_b32 exec_lo, exec_lo, s2
	v_and_b32_e32 v81, 0x7f800000, v83
	s_delay_alu instid0(VALU_DEP_1) | instskip(SKIP_1) | instid1(SALU_CYCLE_1)
	v_cmp_ne_u32_e32 vcc_lo, 0x7f800000, v81
                                        ; implicit-def: $vgpr81
	s_and_saveexec_b32 s2, vcc_lo
	s_xor_b32 s2, exec_lo, s2
; %bb.57:
	v_bfe_u32 v81, v83, 16, 1
	s_delay_alu instid0(VALU_DEP_1)
	v_add3_u32 v81, v83, v81, 0x7fff
                                        ; implicit-def: $vgpr83
; %bb.58:
	s_and_not1_saveexec_b32 s2, s2
; %bb.59:
	v_and_b32_e32 v81, 0xffff, v83
	v_or_b32_e32 v82, 0x10000, v83
	s_delay_alu instid0(VALU_DEP_2) | instskip(NEXT) | instid1(VALU_DEP_2)
	v_cmp_eq_u32_e32 vcc_lo, 0, v81
	v_cndmask_b32_e32 v81, v82, v83, vcc_lo
; %bb.60:
	s_or_b32 exec_lo, exec_lo, s2
	v_and_b32_e32 v82, 0x7f800000, v77
	s_delay_alu instid0(VALU_DEP_1) | instskip(SKIP_1) | instid1(SALU_CYCLE_1)
	v_cmp_ne_u32_e32 vcc_lo, 0x7f800000, v82
                                        ; implicit-def: $vgpr82
	s_and_saveexec_b32 s2, vcc_lo
	s_xor_b32 s2, exec_lo, s2
; %bb.61:
	v_bfe_u32 v82, v77, 16, 1
	s_delay_alu instid0(VALU_DEP_1)
	v_add3_u32 v82, v77, v82, 0x7fff
                                        ; implicit-def: $vgpr77
; %bb.62:
	s_and_not1_saveexec_b32 s2, s2
; %bb.63:
	v_and_b32_e32 v82, 0xffff, v77
	v_or_b32_e32 v83, 0x10000, v77
	s_delay_alu instid0(VALU_DEP_2) | instskip(NEXT) | instid1(VALU_DEP_2)
	v_cmp_eq_u32_e32 vcc_lo, 0, v82
	v_cndmask_b32_e32 v82, v83, v77, vcc_lo
; %bb.64:
	s_or_b32 exec_lo, exec_lo, s2
	v_and_b32_e32 v77, 0x7f800000, v78
	s_delay_alu instid0(VALU_DEP_1) | instskip(SKIP_1) | instid1(SALU_CYCLE_1)
	v_cmp_ne_u32_e32 vcc_lo, 0x7f800000, v77
                                        ; implicit-def: $vgpr77
	s_and_saveexec_b32 s2, vcc_lo
	s_xor_b32 s2, exec_lo, s2
; %bb.65:
	v_bfe_u32 v77, v78, 16, 1
	s_delay_alu instid0(VALU_DEP_1)
	v_add3_u32 v77, v78, v77, 0x7fff
                                        ; implicit-def: $vgpr78
; %bb.66:
	s_and_not1_saveexec_b32 s2, s2
; %bb.67:
	v_and_b32_e32 v77, 0xffff, v78
	v_or_b32_e32 v83, 0x10000, v78
	s_delay_alu instid0(VALU_DEP_2) | instskip(NEXT) | instid1(VALU_DEP_2)
	v_cmp_eq_u32_e32 vcc_lo, 0, v77
	v_cndmask_b32_e32 v77, v83, v78, vcc_lo
; %bb.68:
	s_or_b32 exec_lo, exec_lo, s2
	v_and_b32_e32 v78, 0x7f800000, v79
	s_delay_alu instid0(VALU_DEP_1) | instskip(SKIP_1) | instid1(SALU_CYCLE_1)
	v_cmp_ne_u32_e32 vcc_lo, 0x7f800000, v78
                                        ; implicit-def: $vgpr78
	s_and_saveexec_b32 s2, vcc_lo
	s_xor_b32 s2, exec_lo, s2
; %bb.69:
	v_bfe_u32 v78, v79, 16, 1
	s_delay_alu instid0(VALU_DEP_1)
	v_add3_u32 v78, v79, v78, 0x7fff
                                        ; implicit-def: $vgpr79
; %bb.70:
	s_and_not1_saveexec_b32 s2, s2
; %bb.71:
	v_and_b32_e32 v78, 0xffff, v79
	v_or_b32_e32 v83, 0x10000, v79
	s_delay_alu instid0(VALU_DEP_2) | instskip(NEXT) | instid1(VALU_DEP_2)
	v_cmp_eq_u32_e32 vcc_lo, 0, v78
	v_cndmask_b32_e32 v78, v83, v79, vcc_lo
; %bb.72:
	s_or_b32 exec_lo, exec_lo, s2
	v_and_b32_e32 v79, 0x7f800000, v70
	s_delay_alu instid0(VALU_DEP_1) | instskip(SKIP_1) | instid1(SALU_CYCLE_1)
	v_cmp_ne_u32_e32 vcc_lo, 0x7f800000, v79
                                        ; implicit-def: $vgpr79
	s_and_saveexec_b32 s2, vcc_lo
	s_xor_b32 s2, exec_lo, s2
; %bb.73:
	v_bfe_u32 v79, v70, 16, 1
	s_delay_alu instid0(VALU_DEP_1)
	v_add3_u32 v79, v70, v79, 0x7fff
                                        ; implicit-def: $vgpr70
; %bb.74:
	s_and_not1_saveexec_b32 s2, s2
; %bb.75:
	v_and_b32_e32 v79, 0xffff, v70
	v_or_b32_e32 v83, 0x10000, v70
	s_delay_alu instid0(VALU_DEP_2) | instskip(NEXT) | instid1(VALU_DEP_2)
	v_cmp_eq_u32_e32 vcc_lo, 0, v79
	v_cndmask_b32_e32 v79, v83, v70, vcc_lo
; %bb.76:
	s_or_b32 exec_lo, exec_lo, s2
	s_delay_alu instid0(VALU_DEP_1)
	v_perm_b32 v86, v79, v78, 0x7060302
	v_perm_b32 v85, v77, v82, 0x7060302
	;; [unrolled: 1-line block ×4, first 2 shown]
	v_lshl_or_b32 v82, v66, 11, v80
	ds_store_b128 v76, v[83:86] offset:1024
	s_waitcnt lgkmcnt(0)
	s_barrier
	buffer_gl0_inv
	ds_load_b128 v[69:72], v82
	ds_load_b128 v[83:86], v82 offset:16
	s_waitcnt lgkmcnt(1)
	v_lshrrev_b32_e32 v66, 16, v69
	s_waitcnt lgkmcnt(0)
	v_lshrrev_b32_e32 v91, 16, v83
	v_lshlrev_b32_e32 v78, 2, v74
	v_lshrrev_b32_e32 v95, 16, v70
	v_lshrrev_b32_e32 v98, 16, v84
	;; [unrolled: 1-line block ×4, first 2 shown]
	v_cmp_eq_u32_e32 vcc_lo, 1, v78
	v_lshrrev_b32_e32 v97, 16, v72
	v_lshrrev_b32_e32 v100, 16, v86
	v_cndmask_b32_e32 v87, v83, v91, vcc_lo
	v_or_b32_e32 v79, 1, v78
	v_cndmask_b32_e32 v81, v69, v66, vcc_lo
	v_cmp_eq_u32_e64 s3, 2, v78
	v_cmp_eq_u32_e64 s6, 3, v78
	;; [unrolled: 1-line block ×5, first 2 shown]
	v_cndmask_b32_e64 v81, v81, v70, s3
	v_cndmask_b32_e64 v87, v87, v84, s3
	v_cmp_eq_u32_e64 s7, 3, v79
	v_cndmask_b32_e64 v88, v69, v66, s2
	v_or_b32_e32 v77, 2, v78
	v_cndmask_b32_e64 v81, v81, v95, s6
	v_cndmask_b32_e64 v87, v87, v98, s6
	;; [unrolled: 1-line block ×4, first 2 shown]
	v_cmp_eq_u32_e64 s9, 5, v78
	v_cndmask_b32_e64 v81, v81, v71, s8
	v_cndmask_b32_e64 v87, v87, v85, s8
	v_cmp_eq_u32_e64 s10, 4, v79
	v_cndmask_b32_e64 v88, v88, v95, s7
	v_cmp_eq_u32_e64 s4, 1, v77
	v_cndmask_b32_e64 v89, v89, v84, s5
	v_cndmask_b32_e64 v81, v81, v96, s9
	v_cmp_eq_u32_e64 s11, 6, v78
	v_cndmask_b32_e64 v88, v88, v71, s10
	;; [unrolled: 3-line block ×3, first 2 shown]
	v_cndmask_b32_e64 v89, v89, v98, s7
	v_cndmask_b32_e64 v81, v81, v72, s11
	v_cmp_eq_u32_e64 s13, 7, v78
	v_cndmask_b32_e64 v88, v88, v96, s12
	v_cndmask_b32_e64 v87, v87, v86, s11
	v_cmp_eq_u32_e64 s15, 6, v79
	v_cmp_eq_u32_e64 s16, 2, v77
	v_cndmask_b32_e64 v89, v89, v85, s10
	v_cndmask_b32_e64 v101, v81, v97, s13
	;; [unrolled: 1-line block ×6, first 2 shown]
	v_cmp_eq_u32_e64 s17, 7, v79
	v_cmp_eq_u32_e64 s18, 3, v77
	;; [unrolled: 1-line block ×4, first 2 shown]
	v_cndmask_b32_e64 v87, v87, v84, s16
	v_cndmask_b32_e64 v103, v88, v97, s17
	;; [unrolled: 1-line block ×4, first 2 shown]
	v_or_b32_e32 v81, 3, v78
	v_cndmask_b32_e64 v93, v87, v98, s18
	v_cmp_eq_u32_e64 s23, 6, v77
	v_cndmask_b32_e64 v104, v88, v86, s15
	v_cndmask_b32_e64 v92, v89, v71, s19
	v_cmp_eq_u32_e64 s20, 1, v81
	ds_load_b128 v[87:90], v82 offset:1024
	v_cmp_eq_u32_e64 s22, 2, v81
	v_cmp_eq_u32_e64 s24, 3, v81
	v_cndmask_b32_e64 v105, v92, v96, s21
	v_cndmask_b32_e64 v66, v69, v66, s20
	;; [unrolled: 1-line block ×4, first 2 shown]
	ds_load_b128 v[91:94], v82 offset:1040
	v_cmp_eq_u32_e64 s25, 4, v81
	v_cndmask_b32_e64 v66, v66, v70, s22
	v_cmp_eq_u32_e64 s26, 7, v77
	v_cndmask_b32_e64 v70, v83, v84, s22
	v_cndmask_b32_e64 v84, v105, v72, s23
	v_cmp_eq_u32_e64 s27, 5, v81
	v_cndmask_b32_e64 v66, v66, v95, s24
	v_cmp_eq_u32_e64 s28, 6, v81
	v_cndmask_b32_e64 v70, v70, v98, s24
	v_cndmask_b32_e64 v69, v69, v99, s21
	;; [unrolled: 1-line block ×4, first 2 shown]
	s_waitcnt lgkmcnt(1)
	v_lshrrev_b32_e32 v95, 16, v87
	v_cndmask_b32_e64 v70, v70, v85, s25
	v_cndmask_b32_e64 v71, v84, v97, s26
	;; [unrolled: 1-line block ×4, first 2 shown]
	v_cndmask_b32_e32 v84, v87, v95, vcc_lo
	v_cndmask_b32_e64 v70, v70, v99, s27
	s_waitcnt lgkmcnt(0)
	v_lshrrev_b32_e32 v85, 16, v91
	v_lshrrev_b32_e32 v96, 16, v88
	v_cndmask_b32_e64 v98, v87, v95, s2
	v_cndmask_b32_e64 v84, v84, v88, s3
	;; [unrolled: 1-line block ×3, first 2 shown]
	v_cndmask_b32_e32 v99, v91, v85, vcc_lo
	v_cmp_eq_u32_e32 vcc_lo, 7, v81
	v_cndmask_b32_e64 v66, v66, v72, s28
	v_cndmask_b32_e64 v72, v84, v96, s6
	;; [unrolled: 1-line block ×3, first 2 shown]
	v_lshrrev_b32_e32 v98, 16, v92
	v_cndmask_b32_e32 v70, v70, v100, vcc_lo
	v_cndmask_b32_e64 v86, v99, v92, s3
	v_cndmask_b32_e64 v69, v69, v100, s26
	v_lshrrev_b32_e32 v100, 16, v93
	v_cndmask_b32_e64 v72, v72, v89, s8
	v_lshrrev_b32_e32 v99, 16, v89
	v_cndmask_b32_e64 v86, v86, v98, s6
	v_perm_b32 v71, v69, v71, 0x5040100
	v_cndmask_b32_e64 v84, v84, v96, s7
	s_delay_alu instid0(VALU_DEP_3) | instskip(NEXT) | instid1(VALU_DEP_2)
	v_cndmask_b32_e64 v86, v86, v93, s8
	v_cndmask_b32_e64 v84, v84, v89, s10
	s_delay_alu instid0(VALU_DEP_2) | instskip(NEXT) | instid1(VALU_DEP_1)
	v_cndmask_b32_e64 v86, v86, v100, s9
	v_cndmask_b32_e64 v69, v86, v94, s11
	;; [unrolled: 1-line block ×5, first 2 shown]
	s_delay_alu instid0(VALU_DEP_3) | instskip(NEXT) | instid1(VALU_DEP_3)
	v_cndmask_b32_e64 v86, v86, v88, s16
	v_cndmask_b32_e64 v87, v87, v88, s22
	s_delay_alu instid0(VALU_DEP_3) | instskip(NEXT) | instid1(VALU_DEP_3)
	v_cndmask_b32_e64 v88, v95, v92, s22
	v_cndmask_b32_e64 v86, v86, v96, s18
	;; [unrolled: 3-line block ×7, first 2 shown]
	s_delay_alu instid0(VALU_DEP_3) | instskip(SKIP_2) | instid1(VALU_DEP_2)
	v_cndmask_b32_e64 v88, v88, v94, s28
	v_cndmask_b32_e32 v66, v66, v97, vcc_lo
	v_cndmask_b32_e64 v97, v72, v99, s9
	v_perm_b32 v72, v70, v66, 0x5040100
	v_perm_b32 v70, v83, v103, 0x5040100
	v_cndmask_b32_e64 v103, v91, v85, s4
	v_cndmask_b32_e64 v85, v91, v85, s2
	;; [unrolled: 1-line block ×4, first 2 shown]
	v_lshrrev_b32_e32 v97, 16, v90
	v_cndmask_b32_e64 v91, v103, v92, s16
	v_cndmask_b32_e64 v85, v85, v92, s5
	;; [unrolled: 1-line block ×3, first 2 shown]
	s_mov_b32 s2, exec_lo
	v_cndmask_b32_e64 v83, v84, v97, s13
	v_cndmask_b32_e64 v91, v91, v98, s18
	;; [unrolled: 1-line block ×3, first 2 shown]
	v_lshrrev_b32_e32 v84, 16, v94
	v_cndmask_b32_e64 v66, v66, v97, s17
	v_cndmask_b32_e64 v90, v86, v97, s26
	;; [unrolled: 1-line block ×4, first 2 shown]
	v_dual_cndmask_b32 v86, v87, v97 :: v_dual_cndmask_b32 v87, v88, v84
	v_cndmask_b32_e64 v91, v69, v84, s13
	s_delay_alu instid0(VALU_DEP_4) | instskip(NEXT) | instid1(VALU_DEP_4)
	v_cndmask_b32_e64 v89, v89, v100, s21
	v_cndmask_b32_e64 v85, v85, v100, s12
	v_perm_b32 v69, v102, v101, 0x5040100
	v_perm_b32 v86, v87, v86, 0x5040100
	;; [unrolled: 1-line block ×3, first 2 shown]
	v_cndmask_b32_e64 v89, v89, v94, s23
	v_cndmask_b32_e64 v85, v85, v94, s15
	s_mul_i32 s7, s35, 10
	s_delay_alu instid0(VALU_DEP_2) | instskip(NEXT) | instid1(VALU_DEP_2)
	v_cndmask_b32_e64 v88, v89, v84, s26
	v_cndmask_b32_e64 v89, v85, v84, s17
	s_delay_alu instid0(VALU_DEP_2) | instskip(NEXT) | instid1(VALU_DEP_2)
	v_perm_b32 v85, v88, v90, 0x5040100
	v_perm_b32 v84, v89, v66, 0x5040100
	ds_store_b128 v76, v[69:72]
	ds_store_b128 v76, v[83:86] offset:1024
	v_cmpx_gt_u32_e32 10, v0
	s_cbranch_execz .LBB1799_78
; %bb.77:
	s_mul_i32 s3, s7, s30
	s_load_b128 s[8:11], s[0:1], 0x58
	v_add3_u32 v69, s3, s29, v65
	s_delay_alu instid0(VALU_DEP_1) | instskip(NEXT) | instid1(VALU_DEP_1)
	v_mad_u64_u32 v[65:66], null, v69, s34, s[14:15]
	v_ashrrev_i32_e32 v66, 31, v65
	s_delay_alu instid0(VALU_DEP_1) | instskip(SKIP_1) | instid1(VALU_DEP_1)
	v_lshlrev_b64 v[65:66], 2, v[65:66]
	s_waitcnt lgkmcnt(0)
	v_add_co_u32 v69, vcc_lo, s10, v65
	s_delay_alu instid0(VALU_DEP_2)
	v_add_co_ci_u32_e32 v70, vcc_lo, s11, v66, vcc_lo
	v_add_co_u32 v65, vcc_lo, s8, v65
	v_add_co_ci_u32_e32 v66, vcc_lo, s9, v66, vcc_lo
	global_store_b32 v[69:70], v67, off
	global_store_b32 v[65:66], v68, off
.LBB1799_78:
	s_or_b32 exec_lo, exec_lo, s2
	s_waitcnt lgkmcnt(0)
	s_waitcnt_vscnt null, 0x0
	s_barrier
	buffer_gl0_inv
	ds_load_b128 v[83:86], v80
	ds_load_b128 v[87:90], v80 offset:16
	ds_load_b128 v[95:98], v80 offset:2064
	;; [unrolled: 1-line block ×3, first 2 shown]
	v_mov_b32_e32 v65, 0
	ds_load_b128 v[103:106], v80 offset:4112
	ds_load_b128 v[99:102], v80 offset:4096
	;; [unrolled: 1-line block ×4, first 2 shown]
	v_mov_b32_e32 v66, v65
	v_mov_b32_e32 v67, v65
	;; [unrolled: 1-line block ×7, first 2 shown]
	s_waitcnt lgkmcnt(6)
	s_delay_alu instid0(VALU_DEP_1)
	v_wmma_f32_16x16x16_bf16 v[65:72], v[49:56], v[83:90], v[65:72]
	ds_load_b128 v[53:56], v80 offset:8208
	ds_load_b128 v[49:52], v80 offset:8192
	s_waitcnt lgkmcnt(6)
	v_wmma_f32_16x16x16_bf16 v[65:72], v[41:48], v[91:98], v[65:72]
	ds_load_b128 v[45:48], v80 offset:10256
	ds_load_b128 v[41:44], v80 offset:10240
	s_waitcnt lgkmcnt(6)
	;; [unrolled: 4-line block ×4, first 2 shown]
	v_wmma_f32_16x16x16_bf16 v[65:72], v[1:8], v[49:56], v[65:72]
	s_waitcnt lgkmcnt(4)
	s_delay_alu instid0(VALU_DEP_1) | instskip(SKIP_1) | instid1(VALU_DEP_1)
	v_wmma_f32_16x16x16_bf16 v[65:72], v[9:16], v[41:48], v[65:72]
	s_waitcnt lgkmcnt(2)
	v_wmma_f32_16x16x16_bf16 v[65:72], v[17:24], v[33:40], v[65:72]
	s_waitcnt lgkmcnt(0)
	s_delay_alu instid0(VALU_DEP_1) | instskip(NEXT) | instid1(VALU_DEP_1)
	v_wmma_f32_16x16x16_bf16 v[65:72], v[57:64], v[25:32], v[65:72]
	v_and_b32_e32 v1, 0x7f800000, v65
	s_delay_alu instid0(VALU_DEP_1) | instskip(SKIP_1) | instid1(SALU_CYCLE_1)
	v_cmp_ne_u32_e32 vcc_lo, 0x7f800000, v1
                                        ; implicit-def: $vgpr1
	s_and_saveexec_b32 s2, vcc_lo
	s_xor_b32 s2, exec_lo, s2
; %bb.79:
	v_bfe_u32 v1, v65, 16, 1
	s_delay_alu instid0(VALU_DEP_1)
	v_add3_u32 v1, v65, v1, 0x7fff
; %bb.80:
	s_and_not1_saveexec_b32 s2, s2
; %bb.81:
	v_and_b32_e32 v1, 0xffff, v65
	v_or_b32_e32 v2, 0x10000, v65
	s_delay_alu instid0(VALU_DEP_2) | instskip(NEXT) | instid1(VALU_DEP_2)
	v_cmp_eq_u32_e32 vcc_lo, 0, v1
	v_cndmask_b32_e32 v1, v2, v65, vcc_lo
; %bb.82:
	s_or_b32 exec_lo, exec_lo, s2
	v_and_b32_e32 v2, 0x7f800000, v66
	s_delay_alu instid0(VALU_DEP_1) | instskip(SKIP_1) | instid1(SALU_CYCLE_1)
	v_cmp_ne_u32_e32 vcc_lo, 0x7f800000, v2
                                        ; implicit-def: $vgpr2
	s_and_saveexec_b32 s2, vcc_lo
	s_xor_b32 s2, exec_lo, s2
; %bb.83:
	v_bfe_u32 v2, v66, 16, 1
	s_delay_alu instid0(VALU_DEP_1)
	v_add3_u32 v2, v66, v2, 0x7fff
; %bb.84:
	s_and_not1_saveexec_b32 s2, s2
; %bb.85:
	v_and_b32_e32 v2, 0xffff, v66
	v_or_b32_e32 v3, 0x10000, v66
	s_delay_alu instid0(VALU_DEP_2) | instskip(NEXT) | instid1(VALU_DEP_2)
	v_cmp_eq_u32_e32 vcc_lo, 0, v2
	v_cndmask_b32_e32 v2, v3, v66, vcc_lo
; %bb.86:
	s_or_b32 exec_lo, exec_lo, s2
	v_and_b32_e32 v3, 0x7f800000, v67
	s_delay_alu instid0(VALU_DEP_1) | instskip(SKIP_1) | instid1(SALU_CYCLE_1)
	v_cmp_ne_u32_e32 vcc_lo, 0x7f800000, v3
                                        ; implicit-def: $vgpr3
	s_and_saveexec_b32 s2, vcc_lo
	s_xor_b32 s2, exec_lo, s2
; %bb.87:
	v_bfe_u32 v3, v67, 16, 1
	s_delay_alu instid0(VALU_DEP_1)
	v_add3_u32 v3, v67, v3, 0x7fff
; %bb.88:
	s_and_not1_saveexec_b32 s2, s2
; %bb.89:
	v_and_b32_e32 v3, 0xffff, v67
	v_or_b32_e32 v4, 0x10000, v67
	s_delay_alu instid0(VALU_DEP_2) | instskip(NEXT) | instid1(VALU_DEP_2)
	v_cmp_eq_u32_e32 vcc_lo, 0, v3
	v_cndmask_b32_e32 v3, v4, v67, vcc_lo
; %bb.90:
	s_or_b32 exec_lo, exec_lo, s2
	v_and_b32_e32 v4, 0x7f800000, v68
	s_delay_alu instid0(VALU_DEP_1) | instskip(SKIP_1) | instid1(SALU_CYCLE_1)
	v_cmp_ne_u32_e32 vcc_lo, 0x7f800000, v4
                                        ; implicit-def: $vgpr4
	s_and_saveexec_b32 s2, vcc_lo
	s_xor_b32 s2, exec_lo, s2
; %bb.91:
	v_bfe_u32 v4, v68, 16, 1
	s_delay_alu instid0(VALU_DEP_1)
	v_add3_u32 v4, v68, v4, 0x7fff
; %bb.92:
	s_and_not1_saveexec_b32 s2, s2
; %bb.93:
	v_and_b32_e32 v4, 0xffff, v68
	v_or_b32_e32 v5, 0x10000, v68
	s_delay_alu instid0(VALU_DEP_2) | instskip(NEXT) | instid1(VALU_DEP_2)
	v_cmp_eq_u32_e32 vcc_lo, 0, v4
	v_cndmask_b32_e32 v4, v5, v68, vcc_lo
; %bb.94:
	s_or_b32 exec_lo, exec_lo, s2
	v_and_b32_e32 v5, 0x7f800000, v69
	s_delay_alu instid0(VALU_DEP_1) | instskip(SKIP_1) | instid1(SALU_CYCLE_1)
	v_cmp_ne_u32_e32 vcc_lo, 0x7f800000, v5
                                        ; implicit-def: $vgpr5
	s_and_saveexec_b32 s2, vcc_lo
	s_xor_b32 s2, exec_lo, s2
; %bb.95:
	v_bfe_u32 v5, v69, 16, 1
	s_delay_alu instid0(VALU_DEP_1)
	v_add3_u32 v5, v69, v5, 0x7fff
; %bb.96:
	s_and_not1_saveexec_b32 s2, s2
; %bb.97:
	v_and_b32_e32 v5, 0xffff, v69
	v_or_b32_e32 v6, 0x10000, v69
	s_delay_alu instid0(VALU_DEP_2) | instskip(NEXT) | instid1(VALU_DEP_2)
	v_cmp_eq_u32_e32 vcc_lo, 0, v5
	v_cndmask_b32_e32 v5, v6, v69, vcc_lo
; %bb.98:
	s_or_b32 exec_lo, exec_lo, s2
	v_and_b32_e32 v6, 0x7f800000, v70
	s_delay_alu instid0(VALU_DEP_1) | instskip(SKIP_1) | instid1(SALU_CYCLE_1)
	v_cmp_ne_u32_e32 vcc_lo, 0x7f800000, v6
                                        ; implicit-def: $vgpr6
	s_and_saveexec_b32 s2, vcc_lo
	s_xor_b32 s2, exec_lo, s2
; %bb.99:
	v_bfe_u32 v6, v70, 16, 1
	s_delay_alu instid0(VALU_DEP_1)
	v_add3_u32 v6, v70, v6, 0x7fff
; %bb.100:
	s_and_not1_saveexec_b32 s2, s2
; %bb.101:
	v_and_b32_e32 v6, 0xffff, v70
	v_or_b32_e32 v7, 0x10000, v70
	s_delay_alu instid0(VALU_DEP_2) | instskip(NEXT) | instid1(VALU_DEP_2)
	v_cmp_eq_u32_e32 vcc_lo, 0, v6
	v_cndmask_b32_e32 v6, v7, v70, vcc_lo
; %bb.102:
	s_or_b32 exec_lo, exec_lo, s2
	v_and_b32_e32 v7, 0x7f800000, v71
	s_delay_alu instid0(VALU_DEP_1) | instskip(SKIP_1) | instid1(SALU_CYCLE_1)
	v_cmp_ne_u32_e32 vcc_lo, 0x7f800000, v7
                                        ; implicit-def: $vgpr7
	s_and_saveexec_b32 s2, vcc_lo
	s_xor_b32 s2, exec_lo, s2
; %bb.103:
	v_bfe_u32 v7, v71, 16, 1
	s_delay_alu instid0(VALU_DEP_1)
	v_add3_u32 v7, v71, v7, 0x7fff
; %bb.104:
	s_and_not1_saveexec_b32 s2, s2
; %bb.105:
	v_and_b32_e32 v7, 0xffff, v71
	v_or_b32_e32 v8, 0x10000, v71
	s_delay_alu instid0(VALU_DEP_2) | instskip(NEXT) | instid1(VALU_DEP_2)
	v_cmp_eq_u32_e32 vcc_lo, 0, v7
	v_cndmask_b32_e32 v7, v8, v71, vcc_lo
; %bb.106:
	s_or_b32 exec_lo, exec_lo, s2
	v_and_b32_e32 v8, 0x7f800000, v72
	s_delay_alu instid0(VALU_DEP_1) | instskip(SKIP_1) | instid1(SALU_CYCLE_1)
	v_cmp_ne_u32_e32 vcc_lo, 0x7f800000, v8
                                        ; implicit-def: $vgpr8
	s_and_saveexec_b32 s2, vcc_lo
	s_xor_b32 s2, exec_lo, s2
; %bb.107:
	v_bfe_u32 v8, v72, 16, 1
	s_delay_alu instid0(VALU_DEP_1)
	v_add3_u32 v8, v72, v8, 0x7fff
                                        ; implicit-def: $vgpr65_vgpr66_vgpr67_vgpr68_vgpr69_vgpr70_vgpr71_vgpr72
; %bb.108:
	s_and_not1_saveexec_b32 s2, s2
; %bb.109:
	v_and_b32_e32 v8, 0xffff, v72
	v_or_b32_e32 v9, 0x10000, v72
	s_delay_alu instid0(VALU_DEP_2) | instskip(NEXT) | instid1(VALU_DEP_2)
	v_cmp_eq_u32_e32 vcc_lo, 0, v8
	v_cndmask_b32_e32 v8, v9, v72, vcc_lo
; %bb.110:
	s_or_b32 exec_lo, exec_lo, s2
	s_delay_alu instid0(VALU_DEP_1)
	v_perm_b32 v7, v8, v7, 0x7060302
	v_perm_b32 v6, v6, v5, 0x7060302
	;; [unrolled: 1-line block ×4, first 2 shown]
	s_barrier
	buffer_gl0_inv
	v_cmp_eq_u32_e32 vcc_lo, 1, v78
	ds_store_b128 v76, v[4:7]
	s_waitcnt lgkmcnt(0)
	s_barrier
	buffer_gl0_inv
	ds_load_b128 v[1:4], v82
	ds_load_b128 v[5:8], v82 offset:16
	v_cmp_eq_u32_e64 s2, 1, v79
	v_cmp_eq_u32_e64 s3, 2, v78
	;; [unrolled: 1-line block ×5, first 2 shown]
	s_waitcnt lgkmcnt(1)
	v_lshrrev_b32_e32 v9, 16, v1
	s_waitcnt lgkmcnt(0)
	v_lshrrev_b32_e32 v13, 16, v5
	v_lshrrev_b32_e32 v10, 16, v2
	v_lshrrev_b32_e32 v14, 16, v6
	v_lshrrev_b32_e32 v11, 16, v3
	v_cndmask_b32_e64 v19, v1, v9, s2
	v_cndmask_b32_e32 v18, v5, v13, vcc_lo
	v_cndmask_b32_e64 v20, v5, v13, s2
	v_cndmask_b32_e32 v17, v1, v9, vcc_lo
	v_cmp_eq_u32_e32 vcc_lo, 2, v79
	v_lshrrev_b32_e32 v15, 16, v7
	v_cmp_eq_u32_e64 s2, 1, v77
	v_lshrrev_b32_e32 v12, 16, v4
	v_lshrrev_b32_e32 v16, 16, v8
	v_cndmask_b32_e32 v20, v20, v6, vcc_lo
	v_cndmask_b32_e64 v17, v17, v2, s3
	v_cndmask_b32_e32 v19, v19, v2, vcc_lo
	v_cndmask_b32_e64 v18, v18, v6, s3
	v_cmp_eq_u32_e32 vcc_lo, 4, v78
	v_cmp_eq_u32_e64 s3, 3, v79
	v_cndmask_b32_e64 v17, v17, v10, s4
	v_cndmask_b32_e64 v21, v1, v9, s2
	;; [unrolled: 1-line block ×5, first 2 shown]
	v_cndmask_b32_e32 v17, v17, v3, vcc_lo
	v_cndmask_b32_e64 v20, v20, v14, s3
	v_cndmask_b32_e32 v18, v18, v7, vcc_lo
	v_cmp_eq_u32_e32 vcc_lo, 4, v79
	v_cmp_eq_u32_e64 s3, 5, v79
	v_cmp_eq_u32_e64 s2, 2, v81
	v_cndmask_b32_e64 v21, v21, v2, s6
	v_cmp_eq_u32_e64 s4, 5, v78
	v_cndmask_b32_e32 v19, v19, v3, vcc_lo
	v_cndmask_b32_e32 v20, v20, v7, vcc_lo
	v_cmp_eq_u32_e32 vcc_lo, 6, v79
	s_delay_alu instid0(VALU_DEP_4) | instskip(NEXT) | instid1(VALU_DEP_4)
	v_cndmask_b32_e64 v17, v17, v11, s4
	v_cndmask_b32_e64 v19, v19, v11, s3
	s_delay_alu instid0(VALU_DEP_4) | instskip(SKIP_1) | instid1(VALU_DEP_3)
	v_cndmask_b32_e64 v20, v20, v15, s3
	v_cmp_eq_u32_e64 s3, 1, v81
	v_cndmask_b32_e32 v19, v19, v4, vcc_lo
	v_cndmask_b32_e64 v18, v18, v15, s4
	s_delay_alu instid0(VALU_DEP_3)
	v_cndmask_b32_e64 v1, v1, v9, s3
	v_cndmask_b32_e64 v5, v5, v13, s3
	v_cmp_eq_u32_e64 s3, 3, v77
	v_cndmask_b32_e64 v13, v22, v6, s6
	v_cmp_eq_u32_e64 s6, 3, v81
	v_cndmask_b32_e64 v1, v1, v2, s2
	v_cndmask_b32_e64 v2, v5, v6, s2
	;; [unrolled: 1-line block ×3, first 2 shown]
	v_cmp_eq_u32_e64 s2, 4, v77
	v_cndmask_b32_e64 v6, v13, v14, s3
	v_cndmask_b32_e64 v1, v1, v10, s6
	v_cmp_eq_u32_e64 s3, 4, v81
	v_cndmask_b32_e64 v2, v2, v14, s6
	v_cndmask_b32_e64 v5, v9, v3, s2
	;; [unrolled: 3-line block ×3, first 2 shown]
	v_cndmask_b32_e64 v2, v2, v7, s3
	v_cmp_eq_u32_e64 s2, 5, v81
	v_cmp_eq_u32_e64 s4, 6, v78
	v_cndmask_b32_e64 v5, v5, v11, s6
	v_cmp_eq_u32_e64 s3, 6, v77
	v_cndmask_b32_e64 v3, v6, v15, s6
	v_cndmask_b32_e64 v1, v1, v11, s2
	v_cmp_eq_u32_e64 s6, 6, v81
	v_cndmask_b32_e64 v2, v2, v15, s2
	v_cndmask_b32_e64 v17, v17, v4, s4
	v_cndmask_b32_e64 v18, v18, v8, s4
	v_cmp_eq_u32_e64 s4, 7, v78
	v_cndmask_b32_e64 v5, v5, v4, s3
	;; [unrolled: 4-line block ×3, first 2 shown]
	v_cmp_eq_u32_e64 s3, 7, v77
	v_cndmask_b32_e32 v4, v20, v8, vcc_lo
	v_cndmask_b32_e64 v17, v17, v12, s4
	v_cndmask_b32_e64 v19, v19, v12, s5
	;; [unrolled: 1-line block ×8, first 2 shown]
	s_mov_b32 s2, exec_lo
	v_perm_b32 v4, v2, v1, 0x5040100
	v_perm_b32 v3, v3, v5, 0x5040100
	;; [unrolled: 1-line block ×4, first 2 shown]
	ds_store_b128 v76, v[1:4]
	s_waitcnt lgkmcnt(0)
	s_barrier
	buffer_gl0_inv
	v_cmpx_gt_u32_e32 32, v0
	s_cbranch_execz .LBB1799_2
; %bb.111:
	s_load_b64 s[0:1], s[0:1], 0x68
	s_lshl_b32 s4, s34, 7
	v_or_b32_e32 v2, s29, v74
	s_mul_i32 s2, s4, s30
	v_lshlrev_b32_e32 v0, 10, v0
	s_mul_i32 s2, s2, s7
	v_lshlrev_b32_e32 v1, 4, v75
	s_ashr_i32 s3, s2, 31
	v_mul_lo_u32 v20, v2, s4
	s_lshl_b64 s[2:3], s[2:3], 1
	v_lshlrev_b32_e32 v3, 6, v74
	v_and_b32_e32 v0, 0x3800, v0
	s_delay_alu instid0(VALU_DEP_1) | instskip(NEXT) | instid1(VALU_DEP_4)
	v_or3_b32 v16, v0, v1, v3
	v_ashrrev_i32_e32 v21, 31, v20
	ds_load_b128 v[0:3], v16
	ds_load_b128 v[4:7], v16 offset:128
	s_waitcnt lgkmcnt(0)
	s_add_u32 s2, s0, s2
	s_addc_u32 s3, s1, s3
	s_lshl_b32 s0, s14, 7
	ds_load_b128 v[8:11], v16 offset:256
	ds_load_b128 v[12:15], v16 offset:384
	;; [unrolled: 1-line block ×3, first 2 shown]
	s_ashr_i32 s1, s0, 31
	s_delay_alu instid0(SALU_CYCLE_1) | instskip(NEXT) | instid1(SALU_CYCLE_1)
	s_lshl_b64 s[0:1], s[0:1], 1
	s_add_u32 s0, s2, s0
	s_addc_u32 s1, s3, s1
	s_lshl_b32 s2, s34, 8
	v_add_co_u32 v30, s0, s0, v73
	v_add_nc_u32_e32 v22, s2, v20
	v_lshlrev_b64 v[20:21], 1, v[20:21]
	v_add_co_ci_u32_e64 v31, null, s1, 0, s0
	s_delay_alu instid0(VALU_DEP_3) | instskip(SKIP_1) | instid1(VALU_DEP_4)
	v_add_nc_u32_e32 v24, s2, v22
	v_ashrrev_i32_e32 v23, 31, v22
	v_add_co_u32 v20, vcc_lo, v30, v20
	s_delay_alu instid0(VALU_DEP_4) | instskip(NEXT) | instid1(VALU_DEP_4)
	v_add_co_ci_u32_e32 v21, vcc_lo, v31, v21, vcc_lo
	v_add_nc_u32_e32 v26, s2, v24
	v_ashrrev_i32_e32 v25, 31, v24
	v_lshlrev_b64 v[22:23], 1, v[22:23]
	s_delay_alu instid0(VALU_DEP_3) | instskip(SKIP_1) | instid1(VALU_DEP_4)
	v_add_nc_u32_e32 v28, s2, v26
	v_ashrrev_i32_e32 v27, 31, v26
	v_lshlrev_b64 v[24:25], 1, v[24:25]
	s_delay_alu instid0(VALU_DEP_4) | instskip(NEXT) | instid1(VALU_DEP_4)
	v_add_co_u32 v22, vcc_lo, v30, v22
	v_ashrrev_i32_e32 v29, 31, v28
	s_delay_alu instid0(VALU_DEP_4) | instskip(SKIP_2) | instid1(VALU_DEP_4)
	v_lshlrev_b64 v[26:27], 1, v[26:27]
	v_add_co_ci_u32_e32 v23, vcc_lo, v31, v23, vcc_lo
	v_add_co_u32 v24, vcc_lo, v30, v24
	v_lshlrev_b64 v[28:29], 1, v[28:29]
	v_add_co_ci_u32_e32 v25, vcc_lo, v31, v25, vcc_lo
	v_add_co_u32 v26, vcc_lo, v30, v26
	v_add_co_ci_u32_e32 v27, vcc_lo, v31, v27, vcc_lo
	s_delay_alu instid0(VALU_DEP_4)
	v_add_co_u32 v28, vcc_lo, v30, v28
	v_add_co_ci_u32_e32 v29, vcc_lo, v31, v29, vcc_lo
	s_clause 0x1
	global_store_b128 v[20:21], v[0:3], off
	global_store_b128 v[22:23], v[4:7], off
	s_waitcnt lgkmcnt(2)
	global_store_b128 v[24:25], v[8:11], off
	s_waitcnt lgkmcnt(1)
	;; [unrolled: 2-line block ×3, first 2 shown]
	global_store_b128 v[28:29], v[16:19], off
	s_nop 0
	s_sendmsg sendmsg(MSG_DEALLOC_VGPRS)
	s_endpgm
	.section	.rodata,"a",@progbits
	.p2align	6, 0x0
	.amdhsa_kernel _Z39paged_attention_ll4mi_QKV_mfma16_kernelI14__hip_bfloat16hLN4vllm18Fp8KVCacheDataTypeE1EhLi16ELi128ELi256ELb1ELi10EL8MFMAType0EEvPKT_PKT0_S9_ifPKiSB_SB_iPKfiiiPfSE_PS4_PT2_iSD_SD_
		.amdhsa_group_segment_fixed_size 17472
		.amdhsa_private_segment_fixed_size 0
		.amdhsa_kernarg_size 400
		.amdhsa_user_sgpr_count 13
		.amdhsa_user_sgpr_dispatch_ptr 0
		.amdhsa_user_sgpr_queue_ptr 0
		.amdhsa_user_sgpr_kernarg_segment_ptr 1
		.amdhsa_user_sgpr_dispatch_id 0
		.amdhsa_user_sgpr_private_segment_size 0
		.amdhsa_wavefront_size32 1
		.amdhsa_uses_dynamic_stack 0
		.amdhsa_enable_private_segment 0
		.amdhsa_system_sgpr_workgroup_id_x 1
		.amdhsa_system_sgpr_workgroup_id_y 1
		.amdhsa_system_sgpr_workgroup_id_z 1
		.amdhsa_system_sgpr_workgroup_info 0
		.amdhsa_system_vgpr_workitem_id 0
		.amdhsa_next_free_vgpr 140
		.amdhsa_next_free_sgpr 36
		.amdhsa_reserve_vcc 1
		.amdhsa_float_round_mode_32 0
		.amdhsa_float_round_mode_16_64 0
		.amdhsa_float_denorm_mode_32 3
		.amdhsa_float_denorm_mode_16_64 3
		.amdhsa_dx10_clamp 1
		.amdhsa_ieee_mode 1
		.amdhsa_fp16_overflow 0
		.amdhsa_workgroup_processor_mode 1
		.amdhsa_memory_ordered 1
		.amdhsa_forward_progress 0
		.amdhsa_shared_vgpr_count 0
		.amdhsa_exception_fp_ieee_invalid_op 0
		.amdhsa_exception_fp_denorm_src 0
		.amdhsa_exception_fp_ieee_div_zero 0
		.amdhsa_exception_fp_ieee_overflow 0
		.amdhsa_exception_fp_ieee_underflow 0
		.amdhsa_exception_fp_ieee_inexact 0
		.amdhsa_exception_int_div_zero 0
	.end_amdhsa_kernel
	.section	.text._Z39paged_attention_ll4mi_QKV_mfma16_kernelI14__hip_bfloat16hLN4vllm18Fp8KVCacheDataTypeE1EhLi16ELi128ELi256ELb1ELi10EL8MFMAType0EEvPKT_PKT0_S9_ifPKiSB_SB_iPKfiiiPfSE_PS4_PT2_iSD_SD_,"axG",@progbits,_Z39paged_attention_ll4mi_QKV_mfma16_kernelI14__hip_bfloat16hLN4vllm18Fp8KVCacheDataTypeE1EhLi16ELi128ELi256ELb1ELi10EL8MFMAType0EEvPKT_PKT0_S9_ifPKiSB_SB_iPKfiiiPfSE_PS4_PT2_iSD_SD_,comdat
.Lfunc_end1799:
	.size	_Z39paged_attention_ll4mi_QKV_mfma16_kernelI14__hip_bfloat16hLN4vllm18Fp8KVCacheDataTypeE1EhLi16ELi128ELi256ELb1ELi10EL8MFMAType0EEvPKT_PKT0_S9_ifPKiSB_SB_iPKfiiiPfSE_PS4_PT2_iSD_SD_, .Lfunc_end1799-_Z39paged_attention_ll4mi_QKV_mfma16_kernelI14__hip_bfloat16hLN4vllm18Fp8KVCacheDataTypeE1EhLi16ELi128ELi256ELb1ELi10EL8MFMAType0EEvPKT_PKT0_S9_ifPKiSB_SB_iPKfiiiPfSE_PS4_PT2_iSD_SD_
                                        ; -- End function
	.section	.AMDGPU.csdata,"",@progbits
; Kernel info:
; codeLenInByte = 8908
; NumSgprs: 38
; NumVgprs: 140
; ScratchSize: 0
; MemoryBound: 0
; FloatMode: 240
; IeeeMode: 1
; LDSByteSize: 17472 bytes/workgroup (compile time only)
; SGPRBlocks: 4
; VGPRBlocks: 17
; NumSGPRsForWavesPerEU: 38
; NumVGPRsForWavesPerEU: 140
; Occupancy: 10
; WaveLimiterHint : 1
; COMPUTE_PGM_RSRC2:SCRATCH_EN: 0
; COMPUTE_PGM_RSRC2:USER_SGPR: 13
; COMPUTE_PGM_RSRC2:TRAP_HANDLER: 0
; COMPUTE_PGM_RSRC2:TGID_X_EN: 1
; COMPUTE_PGM_RSRC2:TGID_Y_EN: 1
; COMPUTE_PGM_RSRC2:TGID_Z_EN: 1
; COMPUTE_PGM_RSRC2:TIDIG_COMP_CNT: 0
	.section	.text._Z39paged_attention_ll4mi_QKV_mfma16_kernelI14__hip_bfloat16hLN4vllm18Fp8KVCacheDataTypeE1EhLi16ELi128ELi256ELb1ELi11EL8MFMAType0EEvPKT_PKT0_S9_ifPKiSB_SB_iPKfiiiPfSE_PS4_PT2_iSD_SD_,"axG",@progbits,_Z39paged_attention_ll4mi_QKV_mfma16_kernelI14__hip_bfloat16hLN4vllm18Fp8KVCacheDataTypeE1EhLi16ELi128ELi256ELb1ELi11EL8MFMAType0EEvPKT_PKT0_S9_ifPKiSB_SB_iPKfiiiPfSE_PS4_PT2_iSD_SD_,comdat
	.protected	_Z39paged_attention_ll4mi_QKV_mfma16_kernelI14__hip_bfloat16hLN4vllm18Fp8KVCacheDataTypeE1EhLi16ELi128ELi256ELb1ELi11EL8MFMAType0EEvPKT_PKT0_S9_ifPKiSB_SB_iPKfiiiPfSE_PS4_PT2_iSD_SD_ ; -- Begin function _Z39paged_attention_ll4mi_QKV_mfma16_kernelI14__hip_bfloat16hLN4vllm18Fp8KVCacheDataTypeE1EhLi16ELi128ELi256ELb1ELi11EL8MFMAType0EEvPKT_PKT0_S9_ifPKiSB_SB_iPKfiiiPfSE_PS4_PT2_iSD_SD_
	.globl	_Z39paged_attention_ll4mi_QKV_mfma16_kernelI14__hip_bfloat16hLN4vllm18Fp8KVCacheDataTypeE1EhLi16ELi128ELi256ELb1ELi11EL8MFMAType0EEvPKT_PKT0_S9_ifPKiSB_SB_iPKfiiiPfSE_PS4_PT2_iSD_SD_
	.p2align	8
	.type	_Z39paged_attention_ll4mi_QKV_mfma16_kernelI14__hip_bfloat16hLN4vllm18Fp8KVCacheDataTypeE1EhLi16ELi128ELi256ELb1ELi11EL8MFMAType0EEvPKT_PKT0_S9_ifPKiSB_SB_iPKfiiiPfSE_PS4_PT2_iSD_SD_,@function
_Z39paged_attention_ll4mi_QKV_mfma16_kernelI14__hip_bfloat16hLN4vllm18Fp8KVCacheDataTypeE1EhLi16ELi128ELi256ELb1ELi11EL8MFMAType0EEvPKT_PKT0_S9_ifPKiSB_SB_iPKfiiiPfSE_PS4_PT2_iSD_SD_: ; @_Z39paged_attention_ll4mi_QKV_mfma16_kernelI14__hip_bfloat16hLN4vllm18Fp8KVCacheDataTypeE1EhLi16ELi128ELi256ELb1ELi11EL8MFMAType0EEvPKT_PKT0_S9_ifPKiSB_SB_iPKfiiiPfSE_PS4_PT2_iSD_SD_
; %bb.0:
	s_load_b64 s[4:5], s[0:1], 0x30
	s_mov_b32 s30, s13
	s_waitcnt lgkmcnt(0)
	s_cmp_lg_u64 s[4:5], 0
	s_cselect_b32 s13, -1, 0
	s_ashr_i32 s31, s30, 31
	s_cmp_eq_u64 s[4:5], 0
	s_cbranch_scc1 .LBB1800_3
; %bb.1:
	s_lshl_b64 s[2:3], s[30:31], 2
	s_delay_alu instid0(SALU_CYCLE_1) | instskip(SKIP_4) | instid1(SALU_CYCLE_1)
	s_add_u32 s2, s4, s2
	s_addc_u32 s3, s5, s3
	s_load_b64 s[2:3], s[2:3], 0x0
	s_waitcnt lgkmcnt(0)
	s_sub_i32 s2, s3, s2
	s_cmp_eq_u32 s2, 1
	s_cselect_b32 s2, -1, 0
	s_delay_alu instid0(SALU_CYCLE_1)
	s_and_not1_b32 vcc_lo, exec_lo, s2
	s_cbranch_vccz .LBB1800_4
.LBB1800_2:
	s_nop 0
	s_sendmsg sendmsg(MSG_DEALLOC_VGPRS)
	s_endpgm
.LBB1800_3:
.LBB1800_4:
	s_load_b64 s[2:3], s[0:1], 0x28
	s_lshl_b64 s[6:7], s[30:31], 2
	s_waitcnt lgkmcnt(0)
	s_add_u32 s2, s2, s6
	s_addc_u32 s3, s3, s7
	s_lshl_b32 s12, s14, 8
	s_load_b32 s17, s[2:3], 0x0
	s_waitcnt lgkmcnt(0)
	s_cmp_ge_i32 s12, s17
	s_cbranch_scc1 .LBB1800_2
; %bb.5:
	s_clause 0x1
	s_load_b128 s[8:11], s[0:1], 0x8
	s_load_b64 s[2:3], s[0:1], 0x20
	s_and_not1_b32 vcc_lo, exec_lo, s13
	s_cbranch_vccnz .LBB1800_7
; %bb.6:
	s_add_u32 s4, s4, s6
	s_addc_u32 s5, s5, s7
	s_load_b32 s13, s[4:5], 0x0
	s_branch .LBB1800_8
.LBB1800_7:
	s_mov_b32 s13, s30
.LBB1800_8:
	s_load_b128 s[4:7], s[0:1], 0x48
	v_and_b32_e32 v65, 15, v0
	v_lshrrev_b32_e32 v66, 5, v0
	v_bfe_u32 v74, v0, 4, 1
	v_and_b32_e32 v67, 31, v0
	v_and_b32_e32 v75, 1, v0
	v_lshlrev_b32_e32 v2, 3, v65
	s_mul_i32 s31, s15, 11
	v_lshl_or_b32 v1, v66, 1, v74
	s_waitcnt lgkmcnt(0)
	s_mov_b32 s7, exec_lo
	v_lshlrev_b32_e32 v73, 1, v2
	s_delay_alu instid0(VALU_DEP_2)
	v_cmpx_gt_u32_e32 11, v1
	s_cbranch_execz .LBB1800_10
; %bb.9:
	s_load_b64 s[18:19], s[0:1], 0x0
	v_add_lshl_u32 v2, v1, s31, 7
	s_mul_hi_i32 s21, s13, s4
	s_mul_i32 s20, s13, s4
	v_lshlrev_b32_e32 v6, 10, v65
	s_lshl_b64 s[20:21], s[20:21], 1
	v_ashrrev_i32_e32 v3, 31, v2
	v_lshlrev_b32_e32 v1, 6, v1
	v_lshlrev_b32_e32 v7, 10, v75
	v_and_b32_e32 v6, 0x3800, v6
	s_delay_alu instid0(VALU_DEP_4) | instskip(NEXT) | instid1(VALU_DEP_2)
	v_lshlrev_b64 v[2:3], 1, v[2:3]
	v_or3_b32 v1, v6, v7, v1
	s_waitcnt lgkmcnt(0)
	s_add_u32 s4, s18, s20
	s_addc_u32 s13, s19, s21
	s_delay_alu instid0(VALU_DEP_2) | instskip(SKIP_1) | instid1(VALU_DEP_2)
	v_add_co_u32 v2, vcc_lo, s4, v2
	v_add_co_ci_u32_e32 v3, vcc_lo, s13, v3, vcc_lo
	v_add_co_u32 v2, vcc_lo, v2, v73
	s_delay_alu instid0(VALU_DEP_2)
	v_add_co_ci_u32_e32 v3, vcc_lo, 0, v3, vcc_lo
	global_load_b128 v[2:5], v[2:3], off
	s_waitcnt vmcnt(0)
	ds_store_b128 v1, v[2:5]
.LBB1800_10:
	s_or_b32 exec_lo, exec_lo, s7
	v_and_b32_e32 v1, 0xef, v0
	s_add_i32 s4, s17, 15
	s_clause 0x1
	s_load_b32 s7, s[0:1], 0x38
	s_load_b32 s18, s[0:1], 0x1c
	s_ashr_i32 s13, s4, 31
	v_add_nc_u32_e32 v1, s12, v1
	s_lshr_b32 s13, s13, 28
	s_waitcnt lgkmcnt(0)
	s_add_i32 s4, s4, s13
	s_barrier
	v_ashrrev_i32_e32 v2, 31, v1
	v_or_b32_e32 v3, 16, v1
	s_ashr_i32 s4, s4, 4
	v_cmp_gt_i32_e32 vcc_lo, s17, v1
	s_add_i32 s4, s4, -1
	v_lshrrev_b32_e32 v2, 28, v2
	buffer_gl0_inv
	s_mul_i32 s15, s15, s6
	v_add_nc_u32_e32 v4, v1, v2
	s_mul_i32 s20, s30, s7
	s_delay_alu instid0(SALU_CYCLE_1) | instskip(NEXT) | instid1(VALU_DEP_1)
	s_ashr_i32 s21, s20, 31
	v_ashrrev_i32_e32 v4, 4, v4
	v_add_nc_u32_e32 v2, v3, v2
	s_lshl_b64 s[20:21], s[20:21], 2
	s_delay_alu instid0(SALU_CYCLE_1) | instskip(NEXT) | instid1(VALU_DEP_2)
	s_add_u32 s13, s2, s20
	v_cndmask_b32_e32 v1, s4, v4, vcc_lo
	s_delay_alu instid0(VALU_DEP_2)
	v_ashrrev_i32_e32 v2, 4, v2
	v_cmp_gt_i32_e32 vcc_lo, s17, v3
	s_addc_u32 s16, s3, s21
	s_ashr_i32 s19, s15, 31
	s_add_u32 s26, s8, s15
	s_addc_u32 s27, s9, s19
	v_cndmask_b32_e32 v3, s4, v2, vcc_lo
	v_ashrrev_i32_e32 v2, 31, v1
	s_lshl_b32 s2, s14, 4
	s_delay_alu instid0(SALU_CYCLE_1) | instskip(NEXT) | instid1(VALU_DEP_2)
	s_ashr_i32 s3, s2, 31
	v_ashrrev_i32_e32 v4, 31, v3
	s_delay_alu instid0(VALU_DEP_2) | instskip(SKIP_1) | instid1(SALU_CYCLE_1)
	v_lshlrev_b64 v[1:2], 2, v[1:2]
	s_lshl_b64 s[2:3], s[2:3], 2
	s_add_u32 s2, s13, s2
	s_delay_alu instid0(VALU_DEP_2) | instskip(SKIP_1) | instid1(VALU_DEP_2)
	v_lshlrev_b64 v[3:4], 2, v[3:4]
	s_addc_u32 s3, s16, s3
	v_add_co_u32 v1, vcc_lo, s13, v1
	v_add_co_ci_u32_e32 v2, vcc_lo, s16, v2, vcc_lo
	s_delay_alu instid0(VALU_DEP_3) | instskip(NEXT) | instid1(VALU_DEP_4)
	v_add_co_u32 v3, vcc_lo, s13, v3
	v_add_co_ci_u32_e32 v4, vcc_lo, s16, v4, vcc_lo
	s_clause 0x1
	global_load_b32 v5, v[1:2], off
	global_load_b32 v3, v[3:4], off
	s_or_b32 s6, s12, 32
	v_cmp_gt_u32_e32 vcc_lo, 11, v65
	s_ashr_i32 s7, s6, 4
	s_cmp_lt_i32 s6, s17
	s_cselect_b32 s6, s7, s4
	s_delay_alu instid0(SALU_CYCLE_1) | instskip(NEXT) | instid1(SALU_CYCLE_1)
	s_ashr_i32 s7, s6, 31
	s_lshl_b64 s[6:7], s[6:7], 2
	s_delay_alu instid0(SALU_CYCLE_1) | instskip(SKIP_2) | instid1(SALU_CYCLE_1)
	s_add_u32 s6, s13, s6
	s_addc_u32 s7, s16, s7
	s_or_b32 s8, s12, 64
	s_ashr_i32 s9, s8, 4
	s_cmp_lt_i32 s8, s17
	s_cselect_b32 s8, s9, s4
	s_delay_alu instid0(SALU_CYCLE_1) | instskip(NEXT) | instid1(SALU_CYCLE_1)
	s_ashr_i32 s9, s8, 31
	s_lshl_b64 s[8:9], s[8:9], 2
	s_delay_alu instid0(SALU_CYCLE_1) | instskip(SKIP_2) | instid1(SALU_CYCLE_1)
	s_add_u32 s8, s13, s8
	s_addc_u32 s9, s16, s9
	s_or_b32 s20, s12, 0x60
	;; [unrolled: 10-line block ×4, first 2 shown]
	s_ashr_i32 s25, s24, 4
	s_cmp_lt_i32 s24, s17
	s_cselect_b32 s24, s25, s4
	s_delay_alu instid0(SALU_CYCLE_1) | instskip(NEXT) | instid1(SALU_CYCLE_1)
	s_ashr_i32 s25, s24, 31
	s_lshl_b64 s[24:25], s[24:25], 2
	s_delay_alu instid0(SALU_CYCLE_1)
	s_add_u32 s24, s13, s24
	s_addc_u32 s25, s16, s25
	s_clause 0x5
	s_load_b32 s28, s[2:3], 0x0
	s_load_b32 s29, s[6:7], 0x0
	s_load_b32 s8, s[8:9], 0x0
	s_load_b32 s9, s[20:21], 0x0
	s_load_b32 s33, s[22:23], 0x0
	s_load_b32 s34, s[24:25], 0x0
	s_mov_b32 s20, 0
	s_or_b32 s2, s12, 0xc0
	s_mov_b32 s21, s20
	s_mov_b32 s22, s20
	;; [unrolled: 1-line block ×5, first 2 shown]
	v_lshlrev_b32_e32 v1, 4, v0
	s_ashr_i32 s3, s2, 4
	s_cmp_lt_i32 s2, s17
	s_cselect_b32 s2, s3, s4
	s_delay_alu instid0(VALU_DEP_1) | instskip(SKIP_1) | instid1(SALU_CYCLE_1)
	v_and_b32_e32 v1, 0xf0, v1
	s_ashr_i32 s3, s2, 31
	s_lshl_b64 s[2:3], s[2:3], 2
	s_delay_alu instid0(VALU_DEP_1) | instskip(NEXT) | instid1(VALU_DEP_1)
	v_add_co_u32 v1, s26, s26, v1
	v_add_co_ci_u32_e64 v2, null, s27, 0, s26
	s_add_u32 s2, s13, s2
	s_addc_u32 s3, s16, s3
	s_or_b32 s6, s12, 0xe0
	s_mov_b32 s27, s20
	s_ashr_i32 s7, s6, 4
	s_cmp_lt_i32 s6, s17
	s_mov_b32 s26, s20
	v_dual_mov_b32 v107, s27 :: v_dual_mov_b32 v100, s20
	s_cselect_b32 s6, s7, s4
	v_mov_b32_e32 v106, s26
	s_ashr_i32 s7, s6, 31
	v_mov_b32_e32 v104, s24
	s_lshl_b64 s[6:7], s[6:7], 2
	v_dual_mov_b32 v103, s23 :: v_dual_mov_b32 v102, s22
	v_mov_b32_e32 v101, s21
	s_waitcnt vmcnt(1)
	v_mad_i64_i32 v[33:34], null, v5, s5, v[1:2]
	s_waitcnt vmcnt(0)
	v_mad_i64_i32 v[35:36], null, v3, s5, v[1:2]
	s_clause 0xf
	global_load_b128 v[1:4], v[33:34], off
	global_load_b128 v[5:8], v[33:34], off offset:256
	global_load_b128 v[9:12], v[35:36], off
	global_load_b128 v[13:16], v[35:36], off offset:256
	global_load_b128 v[17:20], v[33:34], off offset:512
	;; [unrolled: 1-line block ×13, first 2 shown]
	v_add_nc_u32_e32 v33, -11, v65
	v_lshlrev_b32_e32 v34, 4, v65
	s_delay_alu instid0(VALU_DEP_2) | instskip(SKIP_1) | instid1(VALU_DEP_3)
	v_cndmask_b32_e32 v33, v33, v65, vcc_lo
	v_mov_b32_e32 v105, s25
	v_lshl_or_b32 v41, v66, 8, v34
	s_delay_alu instid0(VALU_DEP_3)
	v_lshlrev_b32_e32 v72, 6, v33
	ds_load_b128 v[33:36], v72
	ds_load_b128 v[37:40], v72 offset:1024
	ds_load_b128 v[108:111], v72 offset:2048
	;; [unrolled: 1-line block ×3, first 2 shown]
	s_load_b32 s4, s[2:3], 0x0
	s_add_u32 s2, s13, s6
	s_addc_u32 s3, s16, s7
	ds_load_b128 v[116:119], v72 offset:4096
	ds_load_b128 v[120:123], v72 offset:5120
	s_load_b32 s2, s[2:3], 0x0
	s_add_u32 s6, s10, s15
	s_addc_u32 s7, s11, s19
	v_add_co_u32 v68, s6, s6, v41
	s_delay_alu instid0(VALU_DEP_1) | instskip(SKIP_1) | instid1(VALU_DEP_1)
	v_add_co_ci_u32_e64 v69, null, s7, 0, s6
	s_waitcnt lgkmcnt(0)
	v_mad_i64_i32 v[41:42], null, s28, s5, v[68:69]
	v_mad_i64_i32 v[70:71], null, s8, s5, v[68:69]
	;; [unrolled: 1-line block ×7, first 2 shown]
	s_clause 0x3
	global_load_b128 v[49:52], v[41:42], off
	global_load_b128 v[53:56], v[41:42], off offset:16
	global_load_b128 v[41:44], v[45:46], off
	global_load_b128 v[45:48], v[45:46], off offset:16
	s_waitcnt vmcnt(18)
	v_wmma_f32_16x16x16_bf16 v[124:131], v[1:8], v[33:40], v[100:107]
	s_waitcnt vmcnt(16)
	v_wmma_f32_16x16x16_bf16 v[100:107], v[9:16], v[33:40], v[100:107]
	s_clause 0x1
	global_load_b128 v[33:36], v[70:71], off
	global_load_b128 v[37:40], v[70:71], off offset:16
	v_mad_i64_i32 v[70:71], null, s2, s5, v[68:69]
	s_waitcnt vmcnt(16)
	v_wmma_f32_16x16x16_bf16 v[124:131], v[17:24], v[108:115], v[124:131]
	s_waitcnt vmcnt(14)
	v_wmma_f32_16x16x16_bf16 v[100:107], v[25:32], v[108:115], v[100:107]
	s_clause 0x7
	global_load_b128 v[25:28], v[132:133], off
	global_load_b128 v[29:32], v[132:133], off offset:16
	global_load_b128 v[1:4], v[134:135], off
	global_load_b128 v[5:8], v[134:135], off offset:16
	;; [unrolled: 2-line block ×4, first 2 shown]
	s_waitcnt vmcnt(20)
	v_wmma_f32_16x16x16_bf16 v[124:131], v[57:64], v[116:123], v[124:131]
	s_clause 0x1
	global_load_b128 v[57:60], v[70:71], off
	global_load_b128 v[61:64], v[70:71], off offset:16
	s_waitcnt vmcnt(20)
	v_wmma_f32_16x16x16_bf16 v[100:107], v[76:83], v[116:123], v[100:107]
	ds_load_b128 v[76:79], v72 offset:6144
	ds_load_b128 v[80:83], v72 offset:7168
	v_and_b32_e32 v68, 0xe0, v0
	v_mbcnt_lo_u32_b32 v69, -1, 0
	s_waitcnt vmcnt(0) lgkmcnt(0)
	s_barrier
	buffer_gl0_inv
	v_add_nc_u32_e32 v68, s12, v68
	v_xor_b32_e32 v70, 16, v69
	s_delay_alu instid0(VALU_DEP_2) | instskip(NEXT) | instid1(VALU_DEP_2)
	v_or_b32_e32 v68, v68, v74
	v_cmp_gt_i32_e32 vcc_lo, 32, v70
	s_delay_alu instid0(VALU_DEP_2)
	v_or_b32_e32 v71, 4, v68
	v_or_b32_e32 v72, 6, v68
	v_cmp_gt_i32_e64 s2, s17, v68
	v_or_b32_e32 v108, 8, v68
	v_wmma_f32_16x16x16_bf16 v[124:131], v[84:91], v[76:83], v[124:131]
	v_cndmask_b32_e32 v69, v69, v70, vcc_lo
	v_or_b32_e32 v70, 2, v68
	v_wmma_f32_16x16x16_bf16 v[100:107], v[92:99], v[76:83], v[100:107]
	v_or_b32_e32 v109, 10, v68
	v_dual_mul_f32 v82, s18, v127 :: v_dual_mul_f32 v79, s18, v130
	v_dual_mul_f32 v92, s18, v125 :: v_dual_mul_f32 v93, s18, v124
	s_delay_alu instid0(VALU_DEP_4)
	v_mul_f32_e32 v98, s18, v103
	v_cmp_gt_i32_e32 vcc_lo, s17, v70
	v_or_b32_e32 v89, 22, v68
	v_dual_mul_f32 v83, s18, v126 :: v_dual_mul_f32 v96, s18, v105
	v_cndmask_b32_e64 v93, 0xff7fffff, v93, s2
	v_cndmask_b32_e32 v92, 0xff7fffff, v92, vcc_lo
	v_cmp_gt_i32_e64 s3, s17, v71
	v_cmp_gt_i32_e64 s4, s17, v72
	v_or_b32_e32 v84, 12, v68
	v_or_b32_e32 v85, 14, v68
	v_dual_mul_f32 v80, s18, v129 :: v_dual_mul_f32 v81, s18, v128
	v_mul_f32_e32 v94, s18, v107
	v_cndmask_b32_e64 v71, 0xff7fffff, v83, s3
	v_cndmask_b32_e64 v72, 0xff7fffff, v82, s4
	v_cmp_gt_i32_e64 s5, s17, v108
	v_cmp_gt_i32_e64 s6, s17, v109
	;; [unrolled: 1-line block ×3, first 2 shown]
	v_lshlrev_b32_e32 v89, 2, v69
	v_max3_f32 v82, v93, 0xff7fffff, v92
	v_or_b32_e32 v86, 16, v68
	v_or_b32_e32 v87, 18, v68
	v_mul_f32_e32 v78, s18, v131
	v_cndmask_b32_e64 v81, 0xff7fffff, v81, s5
	v_cndmask_b32_e64 v80, 0xff7fffff, v80, s6
	v_max3_f32 v71, v82, v71, v72
	v_cmp_gt_i32_e64 s7, s17, v84
	v_cmp_gt_i32_e64 s8, s17, v85
	v_or_b32_e32 v88, 20, v68
	v_or_b32_e32 v90, 24, v68
	;; [unrolled: 1-line block ×5, first 2 shown]
	v_dual_mul_f32 v95, s18, v106 :: v_dual_mul_f32 v70, s18, v101
	v_dual_mul_f32 v99, s18, v102 :: v_dual_mul_f32 v68, s18, v100
	v_cndmask_b32_e64 v72, 0xff7fffff, v79, s7
	v_cndmask_b32_e64 v78, 0xff7fffff, v78, s8
	v_max3_f32 v71, v71, v81, v80
	v_cmp_gt_i32_e64 s9, s17, v86
	v_cmp_gt_i32_e64 s10, s17, v87
	;; [unrolled: 1-line block ×3, first 2 shown]
	v_mul_f32_e32 v97, s18, v104
	v_max3_f32 v71, v71, v72, v78
	v_cndmask_b32_e64 v68, 0xff7fffff, v68, s9
	v_cndmask_b32_e64 v70, 0xff7fffff, v70, s10
	;; [unrolled: 1-line block ×4, first 2 shown]
	v_cmp_gt_i32_e64 s13, s17, v90
	v_cmp_gt_i32_e64 s15, s17, v91
	v_max3_f32 v68, v71, v68, v70
	v_cmp_gt_i32_e64 s16, s17, v76
	v_cmp_gt_i32_e64 s17, s17, v77
	v_cndmask_b32_e64 v70, 0xff7fffff, v97, s13
	v_cndmask_b32_e64 v71, 0xff7fffff, v96, s15
	v_max3_f32 v68, v68, v72, v78
	v_cndmask_b32_e64 v72, 0xff7fffff, v95, s16
	v_cndmask_b32_e64 v76, 0xff7fffff, v94, s17
	s_delay_alu instid0(VALU_DEP_3) | instskip(NEXT) | instid1(VALU_DEP_1)
	v_max3_f32 v68, v68, v70, v71
	v_max3_f32 v68, v68, v72, v76
	ds_bpermute_b32 v69, v89, v68
	s_waitcnt lgkmcnt(0)
	v_max_f32_e32 v69, v69, v69
	s_delay_alu instid0(VALU_DEP_1) | instskip(NEXT) | instid1(VALU_DEP_1)
	v_max_f32_e32 v68, v68, v69
	v_fma_f32 v69, s18, v124, -v68
	v_fma_f32 v70, s18, v125, -v68
	;; [unrolled: 1-line block ×5, first 2 shown]
	s_delay_alu instid0(VALU_DEP_4) | instskip(NEXT) | instid1(VALU_DEP_4)
	v_dual_mul_f32 v69, 0x3fb8aa3b, v69 :: v_dual_mul_f32 v70, 0x3fb8aa3b, v70
	v_mul_f32_e32 v72, 0x3fb8aa3b, v72
	v_fma_f32 v78, s18, v130, -v68
	s_delay_alu instid0(VALU_DEP_4) | instskip(NEXT) | instid1(VALU_DEP_4)
	v_mul_f32_e32 v77, 0x3fb8aa3b, v76
	v_exp_f32_e32 v69, v69
	v_exp_f32_e32 v70, v70
	v_mul_f32_e32 v71, 0x3fb8aa3b, v71
	v_exp_f32_e32 v72, v72
	v_mul_f32_e32 v78, 0x3fb8aa3b, v78
	v_exp_f32_e32 v77, v77
	v_fma_f32 v81, s18, v105, -v68
	s_delay_alu instid0(VALU_DEP_2)
	v_exp_f32_e32 v78, v78
	v_cndmask_b32_e64 v80, 0, v69, s2
	v_cndmask_b32_e32 v76, 0, v70, vcc_lo
	v_exp_f32_e32 v71, v71
	v_fma_f32 v69, s18, v129, -v68
	v_cndmask_b32_e64 v85, 0, v72, s4
	v_add_f32_e32 v70, 0, v80
	s_delay_alu instid0(TRANS32_DEP_3)
	v_cndmask_b32_e64 v86, 0, v77, s5
	v_fma_f32 v77, s18, v101, -v68
	v_mul_f32_e32 v69, 0x3fb8aa3b, v69
	v_fma_f32 v72, s18, v100, -v68
	v_cndmask_b32_e64 v84, 0, v78, s7
	v_fma_f32 v78, s18, v103, -v68
	v_cndmask_b32_e64 v83, 0, v71, s3
	v_fma_f32 v71, s18, v131, -v68
	v_add_f32_e32 v70, v70, v76
	v_exp_f32_e32 v69, v69
	v_mul_f32_e32 v77, 0x3fb8aa3b, v77
	v_mul_f32_e32 v81, 0x3fb8aa3b, v81
	;; [unrolled: 1-line block ×3, first 2 shown]
	v_add_f32_e32 v70, v70, v83
	v_cmp_gt_u32_e64 s2, 16, v67
	v_exp_f32_e32 v77, v77
	v_exp_f32_e32 v81, v81
	;; [unrolled: 1-line block ×3, first 2 shown]
	v_cndmask_b32_e64 v87, 0, v69, s6
	v_add_f32_e32 v70, v70, v85
	s_delay_alu instid0(VALU_DEP_1) | instskip(SKIP_1) | instid1(VALU_DEP_2)
	v_dual_mul_f32 v72, 0x3fb8aa3b, v72 :: v_dual_add_f32 v69, v70, v86
	v_fma_f32 v70, s18, v102, -v68
	v_exp_f32_e32 v72, v72
	s_waitcnt_depctr 0xfff
	v_cndmask_b32_e64 v88, 0, v71, s8
	v_fma_f32 v71, s18, v104, -v68
	v_dual_add_f32 v69, v69, v87 :: v_dual_mul_f32 v70, 0x3fb8aa3b, v70
	s_delay_alu instid0(VALU_DEP_2) | instskip(NEXT) | instid1(VALU_DEP_2)
	v_dual_mul_f32 v78, 0x3fb8aa3b, v78 :: v_dual_mul_f32 v71, 0x3fb8aa3b, v71
	v_add_f32_e32 v69, v69, v84
	s_delay_alu instid0(VALU_DEP_3) | instskip(SKIP_1) | instid1(VALU_DEP_3)
	v_exp_f32_e32 v79, v70
	v_cndmask_b32_e64 v70, 0, v72, s9
	v_exp_f32_e32 v78, v78
	v_exp_f32_e32 v82, v71
	v_add_f32_e32 v72, v69, v88
	v_cndmask_b32_e64 v69, 0, v77, s10
	v_fma_f32 v77, s18, v106, -v68
	s_delay_alu instid0(VALU_DEP_3) | instskip(NEXT) | instid1(TRANS32_DEP_3)
	v_add_f32_e32 v72, v72, v70
	v_cndmask_b32_e64 v71, 0, v79, s11
	s_delay_alu instid0(VALU_DEP_3) | instskip(NEXT) | instid1(VALU_DEP_3)
	v_mul_f32_e32 v77, 0x3fb8aa3b, v77
	v_add_f32_e32 v79, v72, v69
	s_delay_alu instid0(TRANS32_DEP_2) | instskip(NEXT) | instid1(VALU_DEP_3)
	v_cndmask_b32_e64 v72, 0, v78, s12
	v_exp_f32_e32 v90, v77
	v_cndmask_b32_e64 v77, 0, v82, s13
	s_delay_alu instid0(VALU_DEP_3) | instskip(SKIP_1) | instid1(VALU_DEP_1)
	v_add_f32_e32 v78, v79, v71
	v_fma_f32 v79, s18, v107, -v68
	v_dual_add_f32 v82, v78, v72 :: v_dual_mul_f32 v79, 0x3fb8aa3b, v79
	v_cndmask_b32_e64 v78, 0, v81, s15
	s_delay_alu instid0(VALU_DEP_2) | instskip(NEXT) | instid1(VALU_DEP_3)
	v_add_f32_e32 v81, v82, v77
	v_exp_f32_e32 v82, v79
	s_delay_alu instid0(TRANS32_DEP_2) | instskip(NEXT) | instid1(VALU_DEP_2)
	v_cndmask_b32_e64 v79, 0, v90, s16
	v_add_f32_e32 v81, v81, v78
	s_delay_alu instid0(VALU_DEP_1) | instskip(SKIP_2) | instid1(VALU_DEP_1)
	v_add_f32_e32 v90, v81, v79
	s_waitcnt_depctr 0xfff
	v_cndmask_b32_e64 v81, 0, v82, s17
	v_add_f32_e32 v82, v90, v81
	ds_bpermute_b32 v89, v89, v82
	s_and_saveexec_b32 s3, s2
	s_cbranch_execz .LBB1800_12
; %bb.11:
	v_mul_u32_u24_e32 v67, 0x44, v66
	s_delay_alu instid0(VALU_DEP_1) | instskip(SKIP_1) | instid1(VALU_DEP_1)
	v_lshl_add_u32 v67, v65, 2, v67
	s_waitcnt lgkmcnt(0)
	v_dual_add_f32 v82, v82, v89 :: v_dual_add_nc_u32 v67, 0x4000, v67
	ds_store_2addr_b32 v67, v68, v82 offset1:136
.LBB1800_12:
	s_or_b32 exec_lo, exec_lo, s3
	v_lshlrev_b32_e32 v67, 2, v65
	s_waitcnt lgkmcnt(0)
	s_barrier
	buffer_gl0_inv
	v_cmp_eq_u32_e32 vcc_lo, 1, v66
	v_add_nc_u32_e32 v82, 0x4000, v67
	v_cmp_eq_u32_e64 s3, 2, v66
	v_cmp_eq_u32_e64 s5, 7, v66
	ds_load_2addr_b32 v[89:90], v82 offset1:17
	ds_load_2addr_b32 v[91:92], v82 offset0:34 offset1:51
	ds_load_2addr_b32 v[93:94], v82 offset0:68 offset1:85
	;; [unrolled: 1-line block ×4, first 2 shown]
	s_waitcnt lgkmcnt(4)
	v_max3_f32 v67, v89, 0xff7fffff, v90
	s_waitcnt lgkmcnt(3)
	s_delay_alu instid0(VALU_DEP_1) | instskip(SKIP_1) | instid1(VALU_DEP_1)
	v_max3_f32 v67, v67, v91, v92
	s_waitcnt lgkmcnt(2)
	v_max3_f32 v67, v67, v93, v94
	s_waitcnt lgkmcnt(1)
	s_delay_alu instid0(VALU_DEP_1) | instskip(NEXT) | instid1(VALU_DEP_1)
	v_max3_f32 v67, v67, v95, v96
	v_sub_f32_e32 v93, v93, v67
	s_delay_alu instid0(VALU_DEP_1) | instskip(NEXT) | instid1(VALU_DEP_1)
	v_dual_sub_f32 v68, v89, v67 :: v_dual_mul_f32 v103, 0x3fb8aa3b, v93
	v_mul_f32_e32 v68, 0x3fb8aa3b, v68
	s_delay_alu instid0(VALU_DEP_1)
	v_exp_f32_e32 v100, v68
	v_sub_f32_e32 v68, v92, v67
	v_sub_f32_e32 v99, v90, v67
	ds_load_2addr_b32 v[89:90], v82 offset0:170 offset1:187
	v_dual_mul_f32 v102, 0x3fb8aa3b, v68 :: v_dual_mul_f32 v99, 0x3fb8aa3b, v99
	s_waitcnt lgkmcnt(1)
	v_fma_f32 v68, v100, v97, 0
	s_delay_alu instid0(VALU_DEP_2) | instskip(NEXT) | instid1(VALU_DEP_2)
	v_exp_f32_e32 v102, v102
	v_exp_f32_e32 v99, v99
	s_waitcnt_depctr 0xfff
	v_fmac_f32_e32 v68, v99, v98
	v_sub_f32_e32 v91, v91, v67
	s_delay_alu instid0(VALU_DEP_1)
	v_mul_f32_e32 v101, 0x3fb8aa3b, v91
	ds_load_2addr_b32 v[91:92], v82 offset0:204 offset1:221
	v_sub_f32_e32 v97, v94, v67
	ds_load_2addr_b32 v[93:94], v82 offset0:238 offset1:255
	s_waitcnt lgkmcnt(0)
	v_exp_f32_e32 v101, v101
	s_barrier
	buffer_gl0_inv
	v_dual_fmac_f32 v68, v101, v89 :: v_dual_sub_f32 v89, v96, v67
	v_dual_sub_f32 v82, v95, v67 :: v_dual_mul_f32 v95, 0x3fb8aa3b, v97
	v_exp_f32_e32 v97, v103
	s_delay_alu instid0(VALU_DEP_2) | instskip(NEXT) | instid1(VALU_DEP_2)
	v_dual_fmac_f32 v68, v102, v90 :: v_dual_mul_f32 v89, 0x3fb8aa3b, v89
	v_mul_f32_e32 v82, 0x3fb8aa3b, v82
	s_delay_alu instid0(VALU_DEP_3) | instskip(NEXT) | instid1(VALU_DEP_2)
	v_exp_f32_e32 v95, v95
	v_exp_f32_e32 v89, v89
	s_delay_alu instid0(VALU_DEP_1)
	v_exp_f32_e32 v82, v82
	v_fmac_f32_e32 v68, v97, v91
	s_delay_alu instid0(TRANS32_DEP_3) | instid1(VALU_DEP_1)
	v_fmac_f32_e32 v68, v95, v92
	s_waitcnt_depctr 0xfff
	v_fmac_f32_e32 v68, v82, v93
	s_delay_alu instid0(VALU_DEP_1) | instskip(NEXT) | instid1(VALU_DEP_1)
	v_fmac_f32_e32 v68, v89, v94
	v_add_f32_e32 v90, 0x358637bd, v68
	s_delay_alu instid0(VALU_DEP_1) | instskip(NEXT) | instid1(VALU_DEP_1)
	v_div_scale_f32 v91, null, v90, v90, 1.0
	v_rcp_f32_e32 v92, v91
	s_waitcnt_depctr 0xfff
	v_fma_f32 v93, -v91, v92, 1.0
	s_delay_alu instid0(VALU_DEP_1) | instskip(SKIP_1) | instid1(VALU_DEP_2)
	v_dual_fmac_f32 v92, v93, v92 :: v_dual_cndmask_b32 v93, v100, v99
	v_cmp_eq_u32_e32 vcc_lo, 3, v66
	v_cndmask_b32_e64 v93, v93, v101, s3
	v_cmp_eq_u32_e64 s3, 4, v66
	s_delay_alu instid0(VALU_DEP_2) | instskip(SKIP_1) | instid1(VALU_DEP_2)
	v_cndmask_b32_e32 v93, v93, v102, vcc_lo
	v_cmp_eq_u32_e32 vcc_lo, 5, v66
	v_cndmask_b32_e64 v93, v93, v97, s3
	v_cmp_eq_u32_e64 s3, 6, v66
	s_delay_alu instid0(VALU_DEP_2) | instskip(SKIP_1) | instid1(VALU_DEP_1)
	v_cndmask_b32_e32 v93, v93, v95, vcc_lo
	v_div_scale_f32 v94, s4, 1.0, v90, 1.0
	s_mov_b32 vcc_lo, s4
	s_delay_alu instid0(VALU_DEP_2) | instskip(NEXT) | instid1(VALU_DEP_2)
	v_cndmask_b32_e64 v82, v93, v82, s3
	v_mul_f32_e32 v96, v94, v92
	s_mov_b32 s3, exec_lo
	s_delay_alu instid0(VALU_DEP_2) | instskip(NEXT) | instid1(VALU_DEP_2)
	v_cndmask_b32_e64 v82, v82, v89, s5
	v_fma_f32 v98, -v91, v96, v94
	s_delay_alu instid0(VALU_DEP_1) | instskip(NEXT) | instid1(VALU_DEP_1)
	v_fmac_f32_e32 v96, v98, v92
	v_fma_f32 v91, -v91, v96, v94
	s_delay_alu instid0(VALU_DEP_1) | instskip(NEXT) | instid1(VALU_DEP_1)
	v_div_fmas_f32 v91, v91, v92, v96
	v_div_fixup_f32 v90, v91, v90, 1.0
	s_delay_alu instid0(VALU_DEP_1) | instskip(NEXT) | instid1(VALU_DEP_1)
	v_mul_f32_e32 v82, v82, v90
	v_mul_f32_e32 v87, v82, v87
	;; [unrolled: 1-line block ×7, first 2 shown]
	v_dual_mul_f32 v86, v82, v83 :: v_dual_and_b32 v91, 0x7f800000, v90
	v_mul_f32_e32 v85, v82, v76
                                        ; implicit-def: $vgpr76
	s_delay_alu instid0(VALU_DEP_2)
	v_cmpx_ne_u32_e32 0x7f800000, v91
	s_xor_b32 s3, exec_lo, s3
; %bb.13:
	v_bfe_u32 v76, v90, 16, 1
	s_delay_alu instid0(VALU_DEP_1)
	v_add3_u32 v76, v90, v76, 0x7fff
                                        ; implicit-def: $vgpr90
; %bb.14:
	s_and_not1_saveexec_b32 s3, s3
; %bb.15:
	v_and_b32_e32 v76, 0xffff, v90
	v_or_b32_e32 v83, 0x10000, v90
	s_delay_alu instid0(VALU_DEP_2) | instskip(NEXT) | instid1(VALU_DEP_2)
	v_cmp_eq_u32_e32 vcc_lo, 0, v76
	v_cndmask_b32_e32 v76, v83, v90, vcc_lo
; %bb.16:
	s_or_b32 exec_lo, exec_lo, s3
	v_and_b32_e32 v83, 0x7f800000, v85
	s_delay_alu instid0(VALU_DEP_1) | instskip(SKIP_1) | instid1(SALU_CYCLE_1)
	v_cmp_ne_u32_e32 vcc_lo, 0x7f800000, v83
                                        ; implicit-def: $vgpr83
	s_and_saveexec_b32 s3, vcc_lo
	s_xor_b32 s3, exec_lo, s3
; %bb.17:
	v_bfe_u32 v83, v85, 16, 1
	s_delay_alu instid0(VALU_DEP_1)
	v_add3_u32 v83, v85, v83, 0x7fff
                                        ; implicit-def: $vgpr85
; %bb.18:
	s_and_not1_saveexec_b32 s3, s3
; %bb.19:
	v_and_b32_e32 v83, 0xffff, v85
	v_or_b32_e32 v90, 0x10000, v85
	s_delay_alu instid0(VALU_DEP_2) | instskip(NEXT) | instid1(VALU_DEP_2)
	v_cmp_eq_u32_e32 vcc_lo, 0, v83
	v_cndmask_b32_e32 v83, v90, v85, vcc_lo
; %bb.20:
	s_or_b32 exec_lo, exec_lo, s3
	v_and_b32_e32 v85, 0x7f800000, v86
	s_delay_alu instid0(VALU_DEP_1) | instskip(SKIP_1) | instid1(SALU_CYCLE_1)
	v_cmp_ne_u32_e32 vcc_lo, 0x7f800000, v85
                                        ; implicit-def: $vgpr85
	s_and_saveexec_b32 s3, vcc_lo
	s_xor_b32 s3, exec_lo, s3
; %bb.21:
	v_bfe_u32 v85, v86, 16, 1
	s_delay_alu instid0(VALU_DEP_1)
	v_add3_u32 v85, v86, v85, 0x7fff
                                        ; implicit-def: $vgpr86
; %bb.22:
	s_and_not1_saveexec_b32 s3, s3
; %bb.23:
	v_and_b32_e32 v85, 0xffff, v86
	v_or_b32_e32 v90, 0x10000, v86
	s_delay_alu instid0(VALU_DEP_2) | instskip(NEXT) | instid1(VALU_DEP_2)
	v_cmp_eq_u32_e32 vcc_lo, 0, v85
	v_cndmask_b32_e32 v85, v90, v86, vcc_lo
; %bb.24:
	s_or_b32 exec_lo, exec_lo, s3
	v_and_b32_e32 v86, 0x7f800000, v89
	s_delay_alu instid0(VALU_DEP_1) | instskip(SKIP_1) | instid1(SALU_CYCLE_1)
	v_cmp_ne_u32_e32 vcc_lo, 0x7f800000, v86
                                        ; implicit-def: $vgpr86
	s_and_saveexec_b32 s3, vcc_lo
	s_xor_b32 s3, exec_lo, s3
; %bb.25:
	v_bfe_u32 v86, v89, 16, 1
	s_delay_alu instid0(VALU_DEP_1)
	v_add3_u32 v86, v89, v86, 0x7fff
                                        ; implicit-def: $vgpr89
; %bb.26:
	s_and_not1_saveexec_b32 s3, s3
; %bb.27:
	v_and_b32_e32 v86, 0xffff, v89
	v_or_b32_e32 v90, 0x10000, v89
	s_delay_alu instid0(VALU_DEP_2) | instskip(NEXT) | instid1(VALU_DEP_2)
	v_cmp_eq_u32_e32 vcc_lo, 0, v86
	v_cndmask_b32_e32 v86, v90, v89, vcc_lo
; %bb.28:
	s_or_b32 exec_lo, exec_lo, s3
	v_and_b32_e32 v89, 0x7f800000, v88
	s_delay_alu instid0(VALU_DEP_1) | instskip(SKIP_1) | instid1(SALU_CYCLE_1)
	v_cmp_ne_u32_e32 vcc_lo, 0x7f800000, v89
                                        ; implicit-def: $vgpr89
	s_and_saveexec_b32 s3, vcc_lo
	s_xor_b32 s3, exec_lo, s3
; %bb.29:
	v_bfe_u32 v89, v88, 16, 1
	s_delay_alu instid0(VALU_DEP_1)
	v_add3_u32 v89, v88, v89, 0x7fff
                                        ; implicit-def: $vgpr88
; %bb.30:
	s_and_not1_saveexec_b32 s3, s3
; %bb.31:
	v_and_b32_e32 v89, 0xffff, v88
	v_or_b32_e32 v90, 0x10000, v88
	s_delay_alu instid0(VALU_DEP_2) | instskip(NEXT) | instid1(VALU_DEP_2)
	v_cmp_eq_u32_e32 vcc_lo, 0, v89
	v_cndmask_b32_e32 v89, v90, v88, vcc_lo
; %bb.32:
	s_or_b32 exec_lo, exec_lo, s3
	v_and_b32_e32 v88, 0x7f800000, v87
	s_delay_alu instid0(VALU_DEP_1) | instskip(SKIP_1) | instid1(SALU_CYCLE_1)
	v_cmp_ne_u32_e32 vcc_lo, 0x7f800000, v88
                                        ; implicit-def: $vgpr88
	s_and_saveexec_b32 s3, vcc_lo
	s_xor_b32 s3, exec_lo, s3
; %bb.33:
	v_bfe_u32 v88, v87, 16, 1
	s_delay_alu instid0(VALU_DEP_1)
	v_add3_u32 v88, v87, v88, 0x7fff
                                        ; implicit-def: $vgpr87
; %bb.34:
	s_and_not1_saveexec_b32 s3, s3
; %bb.35:
	v_and_b32_e32 v88, 0xffff, v87
	v_or_b32_e32 v90, 0x10000, v87
	s_delay_alu instid0(VALU_DEP_2) | instskip(NEXT) | instid1(VALU_DEP_2)
	v_cmp_eq_u32_e32 vcc_lo, 0, v88
	v_cndmask_b32_e32 v88, v90, v87, vcc_lo
; %bb.36:
	s_or_b32 exec_lo, exec_lo, s3
	v_and_b32_e32 v87, 0x7f800000, v84
	s_delay_alu instid0(VALU_DEP_1) | instskip(SKIP_1) | instid1(SALU_CYCLE_1)
	v_cmp_ne_u32_e32 vcc_lo, 0x7f800000, v87
                                        ; implicit-def: $vgpr87
	s_and_saveexec_b32 s3, vcc_lo
	s_xor_b32 s3, exec_lo, s3
; %bb.37:
	v_bfe_u32 v87, v84, 16, 1
	s_delay_alu instid0(VALU_DEP_1)
	v_add3_u32 v87, v84, v87, 0x7fff
                                        ; implicit-def: $vgpr84
; %bb.38:
	s_and_not1_saveexec_b32 s3, s3
; %bb.39:
	v_and_b32_e32 v87, 0xffff, v84
	v_or_b32_e32 v90, 0x10000, v84
	s_delay_alu instid0(VALU_DEP_2) | instskip(NEXT) | instid1(VALU_DEP_2)
	v_cmp_eq_u32_e32 vcc_lo, 0, v87
	v_cndmask_b32_e32 v87, v90, v84, vcc_lo
; %bb.40:
	s_or_b32 exec_lo, exec_lo, s3
	v_and_b32_e32 v84, 0x7f800000, v80
	s_delay_alu instid0(VALU_DEP_1) | instskip(SKIP_1) | instid1(SALU_CYCLE_1)
	v_cmp_ne_u32_e32 vcc_lo, 0x7f800000, v84
                                        ; implicit-def: $vgpr84
	s_and_saveexec_b32 s3, vcc_lo
	s_xor_b32 s3, exec_lo, s3
; %bb.41:
	v_bfe_u32 v84, v80, 16, 1
	s_delay_alu instid0(VALU_DEP_1)
	v_add3_u32 v84, v80, v84, 0x7fff
                                        ; implicit-def: $vgpr80
; %bb.42:
	s_and_not1_saveexec_b32 s3, s3
; %bb.43:
	v_and_b32_e32 v84, 0xffff, v80
	v_or_b32_e32 v90, 0x10000, v80
	s_delay_alu instid0(VALU_DEP_2) | instskip(NEXT) | instid1(VALU_DEP_2)
	v_cmp_eq_u32_e32 vcc_lo, 0, v84
	v_cndmask_b32_e32 v84, v90, v80, vcc_lo
; %bb.44:
	s_or_b32 exec_lo, exec_lo, s3
	s_load_b64 s[34:35], s[0:1], 0x94
	v_lshlrev_b32_e32 v91, 4, v74
	s_delay_alu instid0(VALU_DEP_2)
	v_perm_b32 v90, v84, v87, 0x7060302
	v_dual_mul_f32 v79, v82, v79 :: v_dual_lshlrev_b32 v80, 6, v65
	v_dual_mul_f32 v77, v82, v77 :: v_dual_lshlrev_b32 v92, 11, v66
	v_mul_f32_e32 v84, v82, v70
	v_perm_b32 v89, v88, v89, 0x7060302
	v_perm_b32 v88, v86, v85, 0x7060302
	;; [unrolled: 1-line block ×3, first 2 shown]
	v_mul_f32_e32 v70, v82, v81
	v_or3_b32 v76, v91, v92, v80
	v_dual_mul_f32 v78, v82, v78 :: v_dual_and_b32 v85, 0x7f800000, v84
	v_mul_f32_e32 v83, v82, v72
	v_mul_f32_e32 v81, v82, v71
	;; [unrolled: 1-line block ×3, first 2 shown]
	s_mov_b32 s3, exec_lo
	ds_store_b128 v76, v[87:90]
                                        ; implicit-def: $vgpr69
	v_cmpx_ne_u32_e32 0x7f800000, v85
	s_xor_b32 s3, exec_lo, s3
; %bb.45:
	v_bfe_u32 v69, v84, 16, 1
	s_delay_alu instid0(VALU_DEP_1)
	v_add3_u32 v69, v84, v69, 0x7fff
                                        ; implicit-def: $vgpr84
; %bb.46:
	s_and_not1_saveexec_b32 s3, s3
; %bb.47:
	v_and_b32_e32 v69, 0xffff, v84
	v_or_b32_e32 v71, 0x10000, v84
	s_delay_alu instid0(VALU_DEP_2) | instskip(NEXT) | instid1(VALU_DEP_2)
	v_cmp_eq_u32_e32 vcc_lo, 0, v69
	v_cndmask_b32_e32 v69, v71, v84, vcc_lo
; %bb.48:
	s_or_b32 exec_lo, exec_lo, s3
	v_and_b32_e32 v71, 0x7f800000, v72
	s_delay_alu instid0(VALU_DEP_1) | instskip(SKIP_1) | instid1(SALU_CYCLE_1)
	v_cmp_ne_u32_e32 vcc_lo, 0x7f800000, v71
                                        ; implicit-def: $vgpr71
	s_and_saveexec_b32 s3, vcc_lo
	s_xor_b32 s3, exec_lo, s3
; %bb.49:
	v_bfe_u32 v71, v72, 16, 1
	s_delay_alu instid0(VALU_DEP_1)
	v_add3_u32 v71, v72, v71, 0x7fff
                                        ; implicit-def: $vgpr72
; %bb.50:
	s_and_not1_saveexec_b32 s3, s3
; %bb.51:
	v_and_b32_e32 v71, 0xffff, v72
	v_or_b32_e32 v82, 0x10000, v72
	s_delay_alu instid0(VALU_DEP_2) | instskip(NEXT) | instid1(VALU_DEP_2)
	v_cmp_eq_u32_e32 vcc_lo, 0, v71
	v_cndmask_b32_e32 v71, v82, v72, vcc_lo
; %bb.52:
	s_or_b32 exec_lo, exec_lo, s3
	v_and_b32_e32 v72, 0x7f800000, v81
	s_delay_alu instid0(VALU_DEP_1) | instskip(SKIP_1) | instid1(SALU_CYCLE_1)
	v_cmp_ne_u32_e32 vcc_lo, 0x7f800000, v72
                                        ; implicit-def: $vgpr72
	s_and_saveexec_b32 s3, vcc_lo
	s_xor_b32 s3, exec_lo, s3
; %bb.53:
	v_bfe_u32 v72, v81, 16, 1
	s_delay_alu instid0(VALU_DEP_1)
	v_add3_u32 v72, v81, v72, 0x7fff
                                        ; implicit-def: $vgpr81
; %bb.54:
	s_and_not1_saveexec_b32 s3, s3
; %bb.55:
	v_and_b32_e32 v72, 0xffff, v81
	v_or_b32_e32 v82, 0x10000, v81
	s_delay_alu instid0(VALU_DEP_2) | instskip(NEXT) | instid1(VALU_DEP_2)
	v_cmp_eq_u32_e32 vcc_lo, 0, v72
	v_cndmask_b32_e32 v72, v82, v81, vcc_lo
; %bb.56:
	s_or_b32 exec_lo, exec_lo, s3
	v_and_b32_e32 v81, 0x7f800000, v83
	s_delay_alu instid0(VALU_DEP_1) | instskip(SKIP_1) | instid1(SALU_CYCLE_1)
	v_cmp_ne_u32_e32 vcc_lo, 0x7f800000, v81
                                        ; implicit-def: $vgpr81
	s_and_saveexec_b32 s3, vcc_lo
	s_xor_b32 s3, exec_lo, s3
; %bb.57:
	v_bfe_u32 v81, v83, 16, 1
	s_delay_alu instid0(VALU_DEP_1)
	v_add3_u32 v81, v83, v81, 0x7fff
                                        ; implicit-def: $vgpr83
; %bb.58:
	s_and_not1_saveexec_b32 s3, s3
; %bb.59:
	v_and_b32_e32 v81, 0xffff, v83
	v_or_b32_e32 v82, 0x10000, v83
	s_delay_alu instid0(VALU_DEP_2) | instskip(NEXT) | instid1(VALU_DEP_2)
	v_cmp_eq_u32_e32 vcc_lo, 0, v81
	v_cndmask_b32_e32 v81, v82, v83, vcc_lo
; %bb.60:
	s_or_b32 exec_lo, exec_lo, s3
	v_and_b32_e32 v82, 0x7f800000, v77
	s_delay_alu instid0(VALU_DEP_1) | instskip(SKIP_1) | instid1(SALU_CYCLE_1)
	v_cmp_ne_u32_e32 vcc_lo, 0x7f800000, v82
                                        ; implicit-def: $vgpr82
	s_and_saveexec_b32 s3, vcc_lo
	s_xor_b32 s3, exec_lo, s3
; %bb.61:
	v_bfe_u32 v82, v77, 16, 1
	s_delay_alu instid0(VALU_DEP_1)
	v_add3_u32 v82, v77, v82, 0x7fff
                                        ; implicit-def: $vgpr77
; %bb.62:
	s_and_not1_saveexec_b32 s3, s3
; %bb.63:
	v_and_b32_e32 v82, 0xffff, v77
	v_or_b32_e32 v83, 0x10000, v77
	s_delay_alu instid0(VALU_DEP_2) | instskip(NEXT) | instid1(VALU_DEP_2)
	v_cmp_eq_u32_e32 vcc_lo, 0, v82
	v_cndmask_b32_e32 v82, v83, v77, vcc_lo
; %bb.64:
	s_or_b32 exec_lo, exec_lo, s3
	v_and_b32_e32 v77, 0x7f800000, v78
	s_delay_alu instid0(VALU_DEP_1) | instskip(SKIP_1) | instid1(SALU_CYCLE_1)
	v_cmp_ne_u32_e32 vcc_lo, 0x7f800000, v77
                                        ; implicit-def: $vgpr77
	s_and_saveexec_b32 s3, vcc_lo
	s_xor_b32 s3, exec_lo, s3
; %bb.65:
	v_bfe_u32 v77, v78, 16, 1
	s_delay_alu instid0(VALU_DEP_1)
	v_add3_u32 v77, v78, v77, 0x7fff
                                        ; implicit-def: $vgpr78
; %bb.66:
	s_and_not1_saveexec_b32 s3, s3
; %bb.67:
	v_and_b32_e32 v77, 0xffff, v78
	v_or_b32_e32 v83, 0x10000, v78
	s_delay_alu instid0(VALU_DEP_2) | instskip(NEXT) | instid1(VALU_DEP_2)
	v_cmp_eq_u32_e32 vcc_lo, 0, v77
	v_cndmask_b32_e32 v77, v83, v78, vcc_lo
; %bb.68:
	s_or_b32 exec_lo, exec_lo, s3
	v_and_b32_e32 v78, 0x7f800000, v79
	s_delay_alu instid0(VALU_DEP_1) | instskip(SKIP_1) | instid1(SALU_CYCLE_1)
	v_cmp_ne_u32_e32 vcc_lo, 0x7f800000, v78
                                        ; implicit-def: $vgpr78
	s_and_saveexec_b32 s3, vcc_lo
	s_xor_b32 s3, exec_lo, s3
; %bb.69:
	v_bfe_u32 v78, v79, 16, 1
	s_delay_alu instid0(VALU_DEP_1)
	v_add3_u32 v78, v79, v78, 0x7fff
                                        ; implicit-def: $vgpr79
; %bb.70:
	s_and_not1_saveexec_b32 s3, s3
; %bb.71:
	v_and_b32_e32 v78, 0xffff, v79
	v_or_b32_e32 v83, 0x10000, v79
	s_delay_alu instid0(VALU_DEP_2) | instskip(NEXT) | instid1(VALU_DEP_2)
	v_cmp_eq_u32_e32 vcc_lo, 0, v78
	v_cndmask_b32_e32 v78, v83, v79, vcc_lo
; %bb.72:
	s_or_b32 exec_lo, exec_lo, s3
	v_and_b32_e32 v79, 0x7f800000, v70
	s_delay_alu instid0(VALU_DEP_1) | instskip(SKIP_1) | instid1(SALU_CYCLE_1)
	v_cmp_ne_u32_e32 vcc_lo, 0x7f800000, v79
                                        ; implicit-def: $vgpr79
	s_and_saveexec_b32 s3, vcc_lo
	s_xor_b32 s3, exec_lo, s3
; %bb.73:
	v_bfe_u32 v79, v70, 16, 1
	s_delay_alu instid0(VALU_DEP_1)
	v_add3_u32 v79, v70, v79, 0x7fff
                                        ; implicit-def: $vgpr70
; %bb.74:
	s_and_not1_saveexec_b32 s3, s3
; %bb.75:
	v_and_b32_e32 v79, 0xffff, v70
	v_or_b32_e32 v83, 0x10000, v70
	s_delay_alu instid0(VALU_DEP_2) | instskip(NEXT) | instid1(VALU_DEP_2)
	v_cmp_eq_u32_e32 vcc_lo, 0, v79
	v_cndmask_b32_e32 v79, v83, v70, vcc_lo
; %bb.76:
	s_or_b32 exec_lo, exec_lo, s3
	s_delay_alu instid0(VALU_DEP_1)
	v_perm_b32 v86, v79, v78, 0x7060302
	v_perm_b32 v85, v77, v82, 0x7060302
	;; [unrolled: 1-line block ×4, first 2 shown]
	v_lshl_or_b32 v82, v66, 11, v80
	ds_store_b128 v76, v[83:86] offset:1024
	s_waitcnt lgkmcnt(0)
	s_barrier
	buffer_gl0_inv
	ds_load_b128 v[69:72], v82
	ds_load_b128 v[83:86], v82 offset:16
	s_waitcnt lgkmcnt(1)
	v_lshrrev_b32_e32 v66, 16, v69
	s_waitcnt lgkmcnt(0)
	v_lshrrev_b32_e32 v91, 16, v83
	v_lshlrev_b32_e32 v78, 2, v74
	v_lshrrev_b32_e32 v95, 16, v70
	v_lshrrev_b32_e32 v98, 16, v84
	;; [unrolled: 1-line block ×4, first 2 shown]
	v_cmp_eq_u32_e32 vcc_lo, 1, v78
	v_lshrrev_b32_e32 v97, 16, v72
	v_lshrrev_b32_e32 v100, 16, v86
	v_cndmask_b32_e32 v87, v83, v91, vcc_lo
	v_or_b32_e32 v79, 1, v78
	v_cndmask_b32_e32 v81, v69, v66, vcc_lo
	v_cmp_eq_u32_e64 s4, 2, v78
	v_cmp_eq_u32_e64 s7, 3, v78
	;; [unrolled: 1-line block ×5, first 2 shown]
	v_cndmask_b32_e64 v81, v81, v70, s4
	v_cndmask_b32_e64 v87, v87, v84, s4
	v_cmp_eq_u32_e64 s8, 3, v79
	v_cndmask_b32_e64 v88, v69, v66, s3
	v_or_b32_e32 v77, 2, v78
	v_cndmask_b32_e64 v81, v81, v95, s7
	v_cndmask_b32_e64 v87, v87, v98, s7
	;; [unrolled: 1-line block ×4, first 2 shown]
	v_cmp_eq_u32_e64 s10, 5, v78
	v_cndmask_b32_e64 v81, v81, v71, s9
	v_cndmask_b32_e64 v87, v87, v85, s9
	v_cmp_eq_u32_e64 s11, 4, v79
	v_cndmask_b32_e64 v88, v88, v95, s8
	v_cmp_eq_u32_e64 s5, 1, v77
	v_cndmask_b32_e64 v89, v89, v84, s6
	v_cndmask_b32_e64 v81, v81, v96, s10
	v_cmp_eq_u32_e64 s12, 6, v78
	v_cndmask_b32_e64 v88, v88, v71, s11
	;; [unrolled: 3-line block ×3, first 2 shown]
	v_cndmask_b32_e64 v89, v89, v98, s8
	v_cndmask_b32_e64 v81, v81, v72, s12
	v_cmp_eq_u32_e64 s15, 7, v78
	v_cndmask_b32_e64 v88, v88, v96, s13
	v_cndmask_b32_e64 v87, v87, v86, s12
	v_cmp_eq_u32_e64 s16, 6, v79
	v_cmp_eq_u32_e64 s17, 2, v77
	v_cndmask_b32_e64 v89, v89, v85, s11
	v_cndmask_b32_e64 v101, v81, v97, s15
	;; [unrolled: 1-line block ×6, first 2 shown]
	v_cmp_eq_u32_e64 s18, 7, v79
	v_cmp_eq_u32_e64 s19, 3, v77
	v_cmp_eq_u32_e64 s20, 4, v77
	v_cmp_eq_u32_e64 s22, 5, v77
	v_cndmask_b32_e64 v87, v87, v84, s17
	v_cndmask_b32_e64 v103, v88, v97, s18
	;; [unrolled: 1-line block ×4, first 2 shown]
	v_or_b32_e32 v81, 3, v78
	v_cndmask_b32_e64 v93, v87, v98, s19
	v_cmp_eq_u32_e64 s24, 6, v77
	v_cndmask_b32_e64 v104, v88, v86, s16
	v_cndmask_b32_e64 v92, v89, v71, s20
	v_cmp_eq_u32_e64 s21, 1, v81
	ds_load_b128 v[87:90], v82 offset:1024
	v_cmp_eq_u32_e64 s23, 2, v81
	v_cmp_eq_u32_e64 s25, 3, v81
	v_cndmask_b32_e64 v105, v92, v96, s22
	v_cndmask_b32_e64 v66, v69, v66, s21
	;; [unrolled: 1-line block ×4, first 2 shown]
	ds_load_b128 v[91:94], v82 offset:1040
	v_cmp_eq_u32_e64 s26, 4, v81
	v_cndmask_b32_e64 v66, v66, v70, s23
	v_cmp_eq_u32_e64 s27, 7, v77
	v_cndmask_b32_e64 v70, v83, v84, s23
	v_cndmask_b32_e64 v84, v105, v72, s24
	v_cmp_eq_u32_e64 s28, 5, v81
	v_cndmask_b32_e64 v66, v66, v95, s25
	v_cmp_eq_u32_e64 s29, 6, v81
	v_cndmask_b32_e64 v70, v70, v98, s25
	v_cndmask_b32_e64 v69, v69, v99, s22
	;; [unrolled: 1-line block ×4, first 2 shown]
	s_waitcnt lgkmcnt(1)
	v_lshrrev_b32_e32 v95, 16, v87
	v_cndmask_b32_e64 v70, v70, v85, s26
	v_cndmask_b32_e64 v71, v84, v97, s27
	;; [unrolled: 1-line block ×4, first 2 shown]
	v_cndmask_b32_e32 v84, v87, v95, vcc_lo
	v_cndmask_b32_e64 v70, v70, v99, s28
	s_waitcnt lgkmcnt(0)
	v_lshrrev_b32_e32 v85, 16, v91
	v_lshrrev_b32_e32 v96, 16, v88
	v_cndmask_b32_e64 v98, v87, v95, s3
	v_cndmask_b32_e64 v84, v84, v88, s4
	;; [unrolled: 1-line block ×3, first 2 shown]
	v_cndmask_b32_e32 v99, v91, v85, vcc_lo
	v_cmp_eq_u32_e32 vcc_lo, 7, v81
	v_cndmask_b32_e64 v66, v66, v72, s29
	v_cndmask_b32_e64 v72, v84, v96, s7
	v_cndmask_b32_e64 v84, v98, v88, s6
	v_lshrrev_b32_e32 v98, 16, v92
	v_cndmask_b32_e32 v70, v70, v100, vcc_lo
	v_cndmask_b32_e64 v86, v99, v92, s4
	v_cndmask_b32_e64 v69, v69, v100, s27
	v_lshrrev_b32_e32 v100, 16, v93
	v_cndmask_b32_e64 v72, v72, v89, s9
	v_lshrrev_b32_e32 v99, 16, v89
	v_cndmask_b32_e64 v86, v86, v98, s7
	v_perm_b32 v71, v69, v71, 0x5040100
	v_cndmask_b32_e64 v84, v84, v96, s8
	s_delay_alu instid0(VALU_DEP_3) | instskip(NEXT) | instid1(VALU_DEP_2)
	v_cndmask_b32_e64 v86, v86, v93, s9
	v_cndmask_b32_e64 v84, v84, v89, s11
	s_delay_alu instid0(VALU_DEP_2) | instskip(NEXT) | instid1(VALU_DEP_1)
	v_cndmask_b32_e64 v86, v86, v100, s10
	v_cndmask_b32_e64 v69, v86, v94, s12
	;; [unrolled: 1-line block ×5, first 2 shown]
	s_delay_alu instid0(VALU_DEP_3) | instskip(NEXT) | instid1(VALU_DEP_3)
	v_cndmask_b32_e64 v86, v86, v88, s17
	v_cndmask_b32_e64 v87, v87, v88, s23
	s_delay_alu instid0(VALU_DEP_3) | instskip(NEXT) | instid1(VALU_DEP_3)
	v_cndmask_b32_e64 v88, v95, v92, s23
	v_cndmask_b32_e64 v86, v86, v96, s19
	;; [unrolled: 3-line block ×7, first 2 shown]
	s_delay_alu instid0(VALU_DEP_3) | instskip(SKIP_2) | instid1(VALU_DEP_2)
	v_cndmask_b32_e64 v88, v88, v94, s29
	v_cndmask_b32_e32 v66, v66, v97, vcc_lo
	v_cndmask_b32_e64 v97, v72, v99, s10
	v_perm_b32 v72, v70, v66, 0x5040100
	v_perm_b32 v70, v83, v103, 0x5040100
	v_cndmask_b32_e64 v103, v91, v85, s5
	v_cndmask_b32_e64 v85, v91, v85, s3
	;; [unrolled: 1-line block ×4, first 2 shown]
	v_lshrrev_b32_e32 v97, 16, v90
	v_cndmask_b32_e64 v91, v103, v92, s17
	v_cndmask_b32_e64 v85, v85, v92, s6
	;; [unrolled: 1-line block ×3, first 2 shown]
	s_mov_b32 s3, exec_lo
	v_cndmask_b32_e64 v83, v84, v97, s15
	v_cndmask_b32_e64 v91, v91, v98, s19
	;; [unrolled: 1-line block ×3, first 2 shown]
	v_lshrrev_b32_e32 v84, 16, v94
	v_cndmask_b32_e64 v66, v66, v97, s18
	v_cndmask_b32_e64 v90, v86, v97, s27
	;; [unrolled: 1-line block ×4, first 2 shown]
	v_dual_cndmask_b32 v86, v87, v97 :: v_dual_cndmask_b32 v87, v88, v84
	v_cndmask_b32_e64 v91, v69, v84, s15
	s_delay_alu instid0(VALU_DEP_4) | instskip(NEXT) | instid1(VALU_DEP_4)
	v_cndmask_b32_e64 v89, v89, v100, s22
	v_cndmask_b32_e64 v85, v85, v100, s13
	v_perm_b32 v69, v102, v101, 0x5040100
	v_perm_b32 v86, v87, v86, 0x5040100
	;; [unrolled: 1-line block ×3, first 2 shown]
	v_cndmask_b32_e64 v89, v89, v94, s24
	v_cndmask_b32_e64 v85, v85, v94, s16
	s_mul_i32 s8, s35, 11
	s_delay_alu instid0(VALU_DEP_2) | instskip(NEXT) | instid1(VALU_DEP_2)
	v_cndmask_b32_e64 v88, v89, v84, s27
	v_cndmask_b32_e64 v89, v85, v84, s18
	s_delay_alu instid0(VALU_DEP_2) | instskip(NEXT) | instid1(VALU_DEP_2)
	v_perm_b32 v85, v88, v90, 0x5040100
	v_perm_b32 v84, v89, v66, 0x5040100
	ds_store_b128 v76, v[69:72]
	ds_store_b128 v76, v[83:86] offset:1024
	v_cmpx_gt_u32_e32 11, v0
	s_cbranch_execz .LBB1800_78
; %bb.77:
	s_mul_i32 s4, s8, s30
	s_delay_alu instid0(SALU_CYCLE_1) | instskip(SKIP_1) | instid1(VALU_DEP_1)
	v_add3_u32 v69, s4, s31, v65
	s_load_b128 s[4:7], s[0:1], 0x58
	v_mad_u64_u32 v[65:66], null, v69, s34, s[14:15]
	s_delay_alu instid0(VALU_DEP_1) | instskip(NEXT) | instid1(VALU_DEP_1)
	v_ashrrev_i32_e32 v66, 31, v65
	v_lshlrev_b64 v[65:66], 2, v[65:66]
	s_waitcnt lgkmcnt(0)
	s_delay_alu instid0(VALU_DEP_1) | instskip(NEXT) | instid1(VALU_DEP_2)
	v_add_co_u32 v69, vcc_lo, s6, v65
	v_add_co_ci_u32_e32 v70, vcc_lo, s7, v66, vcc_lo
	v_add_co_u32 v65, vcc_lo, s4, v65
	v_add_co_ci_u32_e32 v66, vcc_lo, s5, v66, vcc_lo
	global_store_b32 v[69:70], v67, off
	global_store_b32 v[65:66], v68, off
.LBB1800_78:
	s_or_b32 exec_lo, exec_lo, s3
	s_waitcnt lgkmcnt(0)
	s_waitcnt_vscnt null, 0x0
	s_barrier
	buffer_gl0_inv
	ds_load_b128 v[83:86], v80
	ds_load_b128 v[87:90], v80 offset:16
	ds_load_b128 v[95:98], v80 offset:2064
	;; [unrolled: 1-line block ×3, first 2 shown]
	v_mov_b32_e32 v65, 0
	ds_load_b128 v[103:106], v80 offset:4112
	ds_load_b128 v[99:102], v80 offset:4096
	;; [unrolled: 1-line block ×4, first 2 shown]
	v_mov_b32_e32 v66, v65
	v_mov_b32_e32 v67, v65
	;; [unrolled: 1-line block ×7, first 2 shown]
	s_waitcnt lgkmcnt(6)
	s_delay_alu instid0(VALU_DEP_1)
	v_wmma_f32_16x16x16_bf16 v[65:72], v[49:56], v[83:90], v[65:72]
	ds_load_b128 v[53:56], v80 offset:8208
	ds_load_b128 v[49:52], v80 offset:8192
	s_waitcnt lgkmcnt(6)
	v_wmma_f32_16x16x16_bf16 v[65:72], v[41:48], v[91:98], v[65:72]
	ds_load_b128 v[45:48], v80 offset:10256
	ds_load_b128 v[41:44], v80 offset:10240
	s_waitcnt lgkmcnt(6)
	v_wmma_f32_16x16x16_bf16 v[65:72], v[33:40], v[99:106], v[65:72]
	ds_load_b128 v[37:40], v80 offset:12304
	ds_load_b128 v[33:36], v80 offset:12288
	s_waitcnt lgkmcnt(6)
	v_wmma_f32_16x16x16_bf16 v[65:72], v[25:32], v[107:114], v[65:72]
	ds_load_b128 v[29:32], v80 offset:14352
	ds_load_b128 v[25:28], v80 offset:14336
	s_waitcnt lgkmcnt(6)
	v_wmma_f32_16x16x16_bf16 v[65:72], v[1:8], v[49:56], v[65:72]
	s_waitcnt lgkmcnt(4)
	s_delay_alu instid0(VALU_DEP_1) | instskip(SKIP_1) | instid1(VALU_DEP_1)
	v_wmma_f32_16x16x16_bf16 v[65:72], v[9:16], v[41:48], v[65:72]
	s_waitcnt lgkmcnt(2)
	v_wmma_f32_16x16x16_bf16 v[65:72], v[17:24], v[33:40], v[65:72]
	s_waitcnt lgkmcnt(0)
	s_delay_alu instid0(VALU_DEP_1) | instskip(NEXT) | instid1(VALU_DEP_1)
	v_wmma_f32_16x16x16_bf16 v[65:72], v[57:64], v[25:32], v[65:72]
	v_and_b32_e32 v1, 0x7f800000, v65
	s_delay_alu instid0(VALU_DEP_1) | instskip(SKIP_1) | instid1(SALU_CYCLE_1)
	v_cmp_ne_u32_e32 vcc_lo, 0x7f800000, v1
                                        ; implicit-def: $vgpr1
	s_and_saveexec_b32 s3, vcc_lo
	s_xor_b32 s3, exec_lo, s3
; %bb.79:
	v_bfe_u32 v1, v65, 16, 1
	s_delay_alu instid0(VALU_DEP_1)
	v_add3_u32 v1, v65, v1, 0x7fff
; %bb.80:
	s_and_not1_saveexec_b32 s3, s3
; %bb.81:
	v_and_b32_e32 v1, 0xffff, v65
	v_or_b32_e32 v2, 0x10000, v65
	s_delay_alu instid0(VALU_DEP_2) | instskip(NEXT) | instid1(VALU_DEP_2)
	v_cmp_eq_u32_e32 vcc_lo, 0, v1
	v_cndmask_b32_e32 v1, v2, v65, vcc_lo
; %bb.82:
	s_or_b32 exec_lo, exec_lo, s3
	v_and_b32_e32 v2, 0x7f800000, v66
	s_delay_alu instid0(VALU_DEP_1) | instskip(SKIP_1) | instid1(SALU_CYCLE_1)
	v_cmp_ne_u32_e32 vcc_lo, 0x7f800000, v2
                                        ; implicit-def: $vgpr2
	s_and_saveexec_b32 s3, vcc_lo
	s_xor_b32 s3, exec_lo, s3
; %bb.83:
	v_bfe_u32 v2, v66, 16, 1
	s_delay_alu instid0(VALU_DEP_1)
	v_add3_u32 v2, v66, v2, 0x7fff
; %bb.84:
	s_and_not1_saveexec_b32 s3, s3
; %bb.85:
	v_and_b32_e32 v2, 0xffff, v66
	v_or_b32_e32 v3, 0x10000, v66
	s_delay_alu instid0(VALU_DEP_2) | instskip(NEXT) | instid1(VALU_DEP_2)
	v_cmp_eq_u32_e32 vcc_lo, 0, v2
	v_cndmask_b32_e32 v2, v3, v66, vcc_lo
; %bb.86:
	s_or_b32 exec_lo, exec_lo, s3
	v_and_b32_e32 v3, 0x7f800000, v67
	s_delay_alu instid0(VALU_DEP_1) | instskip(SKIP_1) | instid1(SALU_CYCLE_1)
	v_cmp_ne_u32_e32 vcc_lo, 0x7f800000, v3
                                        ; implicit-def: $vgpr3
	s_and_saveexec_b32 s3, vcc_lo
	s_xor_b32 s3, exec_lo, s3
; %bb.87:
	v_bfe_u32 v3, v67, 16, 1
	s_delay_alu instid0(VALU_DEP_1)
	v_add3_u32 v3, v67, v3, 0x7fff
; %bb.88:
	s_and_not1_saveexec_b32 s3, s3
; %bb.89:
	v_and_b32_e32 v3, 0xffff, v67
	v_or_b32_e32 v4, 0x10000, v67
	s_delay_alu instid0(VALU_DEP_2) | instskip(NEXT) | instid1(VALU_DEP_2)
	v_cmp_eq_u32_e32 vcc_lo, 0, v3
	v_cndmask_b32_e32 v3, v4, v67, vcc_lo
; %bb.90:
	s_or_b32 exec_lo, exec_lo, s3
	v_and_b32_e32 v4, 0x7f800000, v68
	s_delay_alu instid0(VALU_DEP_1) | instskip(SKIP_1) | instid1(SALU_CYCLE_1)
	v_cmp_ne_u32_e32 vcc_lo, 0x7f800000, v4
                                        ; implicit-def: $vgpr4
	s_and_saveexec_b32 s3, vcc_lo
	s_xor_b32 s3, exec_lo, s3
; %bb.91:
	v_bfe_u32 v4, v68, 16, 1
	s_delay_alu instid0(VALU_DEP_1)
	v_add3_u32 v4, v68, v4, 0x7fff
; %bb.92:
	s_and_not1_saveexec_b32 s3, s3
; %bb.93:
	v_and_b32_e32 v4, 0xffff, v68
	v_or_b32_e32 v5, 0x10000, v68
	s_delay_alu instid0(VALU_DEP_2) | instskip(NEXT) | instid1(VALU_DEP_2)
	v_cmp_eq_u32_e32 vcc_lo, 0, v4
	v_cndmask_b32_e32 v4, v5, v68, vcc_lo
; %bb.94:
	s_or_b32 exec_lo, exec_lo, s3
	v_and_b32_e32 v5, 0x7f800000, v69
	s_delay_alu instid0(VALU_DEP_1) | instskip(SKIP_1) | instid1(SALU_CYCLE_1)
	v_cmp_ne_u32_e32 vcc_lo, 0x7f800000, v5
                                        ; implicit-def: $vgpr5
	s_and_saveexec_b32 s3, vcc_lo
	s_xor_b32 s3, exec_lo, s3
; %bb.95:
	v_bfe_u32 v5, v69, 16, 1
	s_delay_alu instid0(VALU_DEP_1)
	v_add3_u32 v5, v69, v5, 0x7fff
; %bb.96:
	s_and_not1_saveexec_b32 s3, s3
; %bb.97:
	v_and_b32_e32 v5, 0xffff, v69
	v_or_b32_e32 v6, 0x10000, v69
	s_delay_alu instid0(VALU_DEP_2) | instskip(NEXT) | instid1(VALU_DEP_2)
	v_cmp_eq_u32_e32 vcc_lo, 0, v5
	v_cndmask_b32_e32 v5, v6, v69, vcc_lo
; %bb.98:
	s_or_b32 exec_lo, exec_lo, s3
	v_and_b32_e32 v6, 0x7f800000, v70
	s_delay_alu instid0(VALU_DEP_1) | instskip(SKIP_1) | instid1(SALU_CYCLE_1)
	v_cmp_ne_u32_e32 vcc_lo, 0x7f800000, v6
                                        ; implicit-def: $vgpr6
	s_and_saveexec_b32 s3, vcc_lo
	s_xor_b32 s3, exec_lo, s3
; %bb.99:
	v_bfe_u32 v6, v70, 16, 1
	s_delay_alu instid0(VALU_DEP_1)
	v_add3_u32 v6, v70, v6, 0x7fff
; %bb.100:
	s_and_not1_saveexec_b32 s3, s3
; %bb.101:
	v_and_b32_e32 v6, 0xffff, v70
	v_or_b32_e32 v7, 0x10000, v70
	s_delay_alu instid0(VALU_DEP_2) | instskip(NEXT) | instid1(VALU_DEP_2)
	v_cmp_eq_u32_e32 vcc_lo, 0, v6
	v_cndmask_b32_e32 v6, v7, v70, vcc_lo
; %bb.102:
	s_or_b32 exec_lo, exec_lo, s3
	v_and_b32_e32 v7, 0x7f800000, v71
	s_delay_alu instid0(VALU_DEP_1) | instskip(SKIP_1) | instid1(SALU_CYCLE_1)
	v_cmp_ne_u32_e32 vcc_lo, 0x7f800000, v7
                                        ; implicit-def: $vgpr7
	s_and_saveexec_b32 s3, vcc_lo
	s_xor_b32 s3, exec_lo, s3
; %bb.103:
	v_bfe_u32 v7, v71, 16, 1
	s_delay_alu instid0(VALU_DEP_1)
	v_add3_u32 v7, v71, v7, 0x7fff
; %bb.104:
	s_and_not1_saveexec_b32 s3, s3
; %bb.105:
	v_and_b32_e32 v7, 0xffff, v71
	v_or_b32_e32 v8, 0x10000, v71
	s_delay_alu instid0(VALU_DEP_2) | instskip(NEXT) | instid1(VALU_DEP_2)
	v_cmp_eq_u32_e32 vcc_lo, 0, v7
	v_cndmask_b32_e32 v7, v8, v71, vcc_lo
; %bb.106:
	s_or_b32 exec_lo, exec_lo, s3
	v_and_b32_e32 v8, 0x7f800000, v72
	s_delay_alu instid0(VALU_DEP_1) | instskip(SKIP_1) | instid1(SALU_CYCLE_1)
	v_cmp_ne_u32_e32 vcc_lo, 0x7f800000, v8
                                        ; implicit-def: $vgpr8
	s_and_saveexec_b32 s3, vcc_lo
	s_xor_b32 s3, exec_lo, s3
; %bb.107:
	v_bfe_u32 v8, v72, 16, 1
	s_delay_alu instid0(VALU_DEP_1)
	v_add3_u32 v8, v72, v8, 0x7fff
                                        ; implicit-def: $vgpr65_vgpr66_vgpr67_vgpr68_vgpr69_vgpr70_vgpr71_vgpr72
; %bb.108:
	s_and_not1_saveexec_b32 s3, s3
; %bb.109:
	v_and_b32_e32 v8, 0xffff, v72
	v_or_b32_e32 v9, 0x10000, v72
	s_delay_alu instid0(VALU_DEP_2) | instskip(NEXT) | instid1(VALU_DEP_2)
	v_cmp_eq_u32_e32 vcc_lo, 0, v8
	v_cndmask_b32_e32 v8, v9, v72, vcc_lo
; %bb.110:
	s_or_b32 exec_lo, exec_lo, s3
	s_delay_alu instid0(VALU_DEP_1)
	v_perm_b32 v7, v8, v7, 0x7060302
	v_perm_b32 v6, v6, v5, 0x7060302
	;; [unrolled: 1-line block ×4, first 2 shown]
	s_barrier
	buffer_gl0_inv
	v_cmp_eq_u32_e32 vcc_lo, 1, v78
	ds_store_b128 v76, v[4:7]
	s_waitcnt lgkmcnt(0)
	s_barrier
	buffer_gl0_inv
	ds_load_b128 v[1:4], v82
	ds_load_b128 v[5:8], v82 offset:16
	v_cmp_eq_u32_e64 s3, 1, v79
	v_cmp_eq_u32_e64 s4, 2, v78
	;; [unrolled: 1-line block ×5, first 2 shown]
	s_waitcnt lgkmcnt(1)
	v_lshrrev_b32_e32 v9, 16, v1
	s_waitcnt lgkmcnt(0)
	v_lshrrev_b32_e32 v13, 16, v5
	v_lshrrev_b32_e32 v10, 16, v2
	;; [unrolled: 1-line block ×4, first 2 shown]
	v_cndmask_b32_e64 v19, v1, v9, s3
	v_cndmask_b32_e32 v18, v5, v13, vcc_lo
	v_cndmask_b32_e64 v20, v5, v13, s3
	v_cndmask_b32_e32 v17, v1, v9, vcc_lo
	v_cmp_eq_u32_e32 vcc_lo, 2, v79
	v_lshrrev_b32_e32 v15, 16, v7
	v_cmp_eq_u32_e64 s3, 1, v77
	v_lshrrev_b32_e32 v12, 16, v4
	v_lshrrev_b32_e32 v16, 16, v8
	v_cndmask_b32_e32 v20, v20, v6, vcc_lo
	v_cndmask_b32_e64 v17, v17, v2, s4
	v_cndmask_b32_e32 v19, v19, v2, vcc_lo
	v_cndmask_b32_e64 v18, v18, v6, s4
	v_cmp_eq_u32_e32 vcc_lo, 4, v78
	v_cmp_eq_u32_e64 s4, 3, v79
	v_cndmask_b32_e64 v17, v17, v10, s5
	v_cndmask_b32_e64 v21, v1, v9, s3
	;; [unrolled: 1-line block ×5, first 2 shown]
	v_cndmask_b32_e32 v17, v17, v3, vcc_lo
	v_cndmask_b32_e64 v20, v20, v14, s4
	v_cndmask_b32_e32 v18, v18, v7, vcc_lo
	v_cmp_eq_u32_e32 vcc_lo, 4, v79
	v_cmp_eq_u32_e64 s4, 5, v79
	v_cmp_eq_u32_e64 s3, 2, v81
	v_cndmask_b32_e64 v21, v21, v2, s7
	v_cmp_eq_u32_e64 s5, 5, v78
	v_cndmask_b32_e32 v19, v19, v3, vcc_lo
	v_cndmask_b32_e32 v20, v20, v7, vcc_lo
	v_cmp_eq_u32_e32 vcc_lo, 6, v79
	s_delay_alu instid0(VALU_DEP_4) | instskip(NEXT) | instid1(VALU_DEP_4)
	v_cndmask_b32_e64 v17, v17, v11, s5
	v_cndmask_b32_e64 v19, v19, v11, s4
	s_delay_alu instid0(VALU_DEP_4) | instskip(SKIP_1) | instid1(VALU_DEP_3)
	v_cndmask_b32_e64 v20, v20, v15, s4
	v_cmp_eq_u32_e64 s4, 1, v81
	v_cndmask_b32_e32 v19, v19, v4, vcc_lo
	v_cndmask_b32_e64 v18, v18, v15, s5
	s_delay_alu instid0(VALU_DEP_3)
	v_cndmask_b32_e64 v1, v1, v9, s4
	v_cndmask_b32_e64 v5, v5, v13, s4
	v_cmp_eq_u32_e64 s4, 3, v77
	v_cndmask_b32_e64 v13, v22, v6, s7
	v_cmp_eq_u32_e64 s7, 3, v81
	v_cndmask_b32_e64 v1, v1, v2, s3
	v_cndmask_b32_e64 v2, v5, v6, s3
	;; [unrolled: 1-line block ×3, first 2 shown]
	v_cmp_eq_u32_e64 s3, 4, v77
	v_cndmask_b32_e64 v6, v13, v14, s4
	v_cndmask_b32_e64 v1, v1, v10, s7
	v_cmp_eq_u32_e64 s4, 4, v81
	v_cndmask_b32_e64 v2, v2, v14, s7
	v_cndmask_b32_e64 v5, v9, v3, s3
	;; [unrolled: 3-line block ×3, first 2 shown]
	v_cndmask_b32_e64 v2, v2, v7, s4
	v_cmp_eq_u32_e64 s3, 5, v81
	v_cmp_eq_u32_e64 s5, 6, v78
	v_cndmask_b32_e64 v5, v5, v11, s7
	v_cmp_eq_u32_e64 s4, 6, v77
	v_cndmask_b32_e64 v3, v6, v15, s7
	v_cndmask_b32_e64 v1, v1, v11, s3
	v_cmp_eq_u32_e64 s7, 6, v81
	v_cndmask_b32_e64 v2, v2, v15, s3
	v_cndmask_b32_e64 v17, v17, v4, s5
	v_cndmask_b32_e64 v18, v18, v8, s5
	v_cmp_eq_u32_e64 s5, 7, v78
	v_cndmask_b32_e64 v5, v5, v4, s4
	;; [unrolled: 4-line block ×3, first 2 shown]
	v_cmp_eq_u32_e64 s4, 7, v77
	v_cndmask_b32_e32 v4, v20, v8, vcc_lo
	v_cndmask_b32_e64 v17, v17, v12, s5
	v_cndmask_b32_e64 v19, v19, v12, s6
	;; [unrolled: 1-line block ×8, first 2 shown]
	s_mov_b32 s3, exec_lo
	v_perm_b32 v4, v2, v1, 0x5040100
	v_perm_b32 v3, v3, v5, 0x5040100
	v_perm_b32 v2, v6, v19, 0x5040100
	v_perm_b32 v1, v7, v17, 0x5040100
	ds_store_b128 v76, v[1:4]
	s_waitcnt lgkmcnt(0)
	s_barrier
	buffer_gl0_inv
	v_cmpx_gt_u32_e32 32, v0
	s_cbranch_execz .LBB1800_2
; %bb.111:
	s_load_b64 s[4:5], s[0:1], 0x68
	v_lshlrev_b32_e32 v0, 10, v0
	v_lshlrev_b32_e32 v1, 4, v75
	s_lshl_b32 s0, s34, 7
	v_add_nc_u32_e32 v7, s31, v74
	s_mul_i32 s1, s0, s30
	s_delay_alu instid0(SALU_CYCLE_1) | instskip(SKIP_1) | instid1(VALU_DEP_2)
	s_mul_i32 s6, s1, s8
	v_and_or_b32 v0, 0x3800, v0, v1
	v_mul_lo_u32 v1, v7, s0
	v_add_nc_u32_e32 v2, 2, v7
	s_ashr_i32 s7, s6, 31
	v_add_nc_u32_e32 v4, 4, v7
	s_lshl_b64 s[6:7], s[6:7], 1
	v_add_nc_u32_e32 v8, 6, v7
	v_mul_lo_u32 v3, v2, s0
	v_lshl_or_b32 v19, v74, 6, v0
	v_ashrrev_i32_e32 v2, 31, v1
	v_mul_lo_u32 v11, v4, s0
	v_mul_lo_u32 v25, v8, s0
	s_waitcnt lgkmcnt(0)
	s_add_u32 s1, s4, s6
	s_addc_u32 s3, s5, s7
	s_lshl_b32 s4, s14, 7
	v_lshlrev_b64 v[5:6], 1, v[1:2]
	s_ashr_i32 s5, s4, 31
	v_ashrrev_i32_e32 v4, 31, v3
	s_lshl_b64 s[4:5], s[4:5], 1
	v_ashrrev_i32_e32 v12, 31, v11
	s_add_u32 s1, s1, s4
	s_addc_u32 s3, s3, s5
	v_add_co_u32 v1, s1, s1, v73
	s_delay_alu instid0(VALU_DEP_1) | instskip(SKIP_1) | instid1(VALU_DEP_3)
	v_add_co_ci_u32_e64 v2, null, s3, 0, s1
	v_lshlrev_b64 v[3:4], 1, v[3:4]
	v_add_co_u32 v23, vcc_lo, v1, v5
	v_add_nc_u32_e32 v5, 8, v7
	s_delay_alu instid0(VALU_DEP_4) | instskip(NEXT) | instid1(VALU_DEP_4)
	v_add_co_ci_u32_e32 v24, vcc_lo, v2, v6, vcc_lo
	v_add_co_u32 v27, vcc_lo, v1, v3
	s_delay_alu instid0(VALU_DEP_3)
	v_mul_lo_u32 v29, v5, s0
	v_add_co_ci_u32_e32 v28, vcc_lo, v2, v4, vcc_lo
	ds_load_b128 v[3:6], v19
	ds_load_b128 v[7:10], v19 offset:128
	v_lshlrev_b64 v[31:32], 1, v[11:12]
	ds_load_b128 v[11:14], v19 offset:256
	ds_load_b128 v[15:18], v19 offset:384
	;; [unrolled: 1-line block ×3, first 2 shown]
	v_ashrrev_i32_e32 v26, 31, v25
	v_ashrrev_i32_e32 v30, 31, v29
	v_add_co_u32 v31, vcc_lo, v1, v31
	s_delay_alu instid0(VALU_DEP_3) | instskip(NEXT) | instid1(VALU_DEP_3)
	v_lshlrev_b64 v[25:26], 1, v[25:26]
	v_lshlrev_b64 v[29:30], 1, v[29:30]
	v_add_co_ci_u32_e32 v32, vcc_lo, v2, v32, vcc_lo
	s_delay_alu instid0(VALU_DEP_3) | instskip(NEXT) | instid1(VALU_DEP_4)
	v_add_co_u32 v25, vcc_lo, v1, v25
	v_add_co_ci_u32_e32 v26, vcc_lo, v2, v26, vcc_lo
	s_delay_alu instid0(VALU_DEP_4)
	v_add_co_u32 v29, vcc_lo, v1, v29
	v_add_co_ci_u32_e32 v30, vcc_lo, v2, v30, vcc_lo
	s_waitcnt lgkmcnt(4)
	global_store_b128 v[23:24], v[3:6], off
	s_waitcnt lgkmcnt(3)
	global_store_b128 v[27:28], v[7:10], off
	;; [unrolled: 2-line block ×5, first 2 shown]
	s_and_b32 exec_lo, exec_lo, s2
	s_cbranch_execz .LBB1800_2
; %bb.112:
	ds_load_b128 v[3:6], v0 offset:640
	s_add_i32 s1, s31, 10
	s_delay_alu instid0(SALU_CYCLE_1) | instskip(NEXT) | instid1(SALU_CYCLE_1)
	s_mul_i32 s0, s1, s0
	s_ashr_i32 s1, s0, 31
	s_delay_alu instid0(SALU_CYCLE_1) | instskip(NEXT) | instid1(SALU_CYCLE_1)
	s_lshl_b64 s[0:1], s[0:1], 1
	v_add_co_u32 v0, vcc_lo, v1, s0
	v_add_co_ci_u32_e32 v1, vcc_lo, s1, v2, vcc_lo
	s_waitcnt lgkmcnt(0)
	global_store_b128 v[0:1], v[3:6], off
	s_nop 0
	s_sendmsg sendmsg(MSG_DEALLOC_VGPRS)
	s_endpgm
	.section	.rodata,"a",@progbits
	.p2align	6, 0x0
	.amdhsa_kernel _Z39paged_attention_ll4mi_QKV_mfma16_kernelI14__hip_bfloat16hLN4vllm18Fp8KVCacheDataTypeE1EhLi16ELi128ELi256ELb1ELi11EL8MFMAType0EEvPKT_PKT0_S9_ifPKiSB_SB_iPKfiiiPfSE_PS4_PT2_iSD_SD_
		.amdhsa_group_segment_fixed_size 17472
		.amdhsa_private_segment_fixed_size 0
		.amdhsa_kernarg_size 400
		.amdhsa_user_sgpr_count 13
		.amdhsa_user_sgpr_dispatch_ptr 0
		.amdhsa_user_sgpr_queue_ptr 0
		.amdhsa_user_sgpr_kernarg_segment_ptr 1
		.amdhsa_user_sgpr_dispatch_id 0
		.amdhsa_user_sgpr_private_segment_size 0
		.amdhsa_wavefront_size32 1
		.amdhsa_uses_dynamic_stack 0
		.amdhsa_enable_private_segment 0
		.amdhsa_system_sgpr_workgroup_id_x 1
		.amdhsa_system_sgpr_workgroup_id_y 1
		.amdhsa_system_sgpr_workgroup_id_z 1
		.amdhsa_system_sgpr_workgroup_info 0
		.amdhsa_system_vgpr_workitem_id 0
		.amdhsa_next_free_vgpr 140
		.amdhsa_next_free_sgpr 36
		.amdhsa_reserve_vcc 1
		.amdhsa_float_round_mode_32 0
		.amdhsa_float_round_mode_16_64 0
		.amdhsa_float_denorm_mode_32 3
		.amdhsa_float_denorm_mode_16_64 3
		.amdhsa_dx10_clamp 1
		.amdhsa_ieee_mode 1
		.amdhsa_fp16_overflow 0
		.amdhsa_workgroup_processor_mode 1
		.amdhsa_memory_ordered 1
		.amdhsa_forward_progress 0
		.amdhsa_shared_vgpr_count 0
		.amdhsa_exception_fp_ieee_invalid_op 0
		.amdhsa_exception_fp_denorm_src 0
		.amdhsa_exception_fp_ieee_div_zero 0
		.amdhsa_exception_fp_ieee_overflow 0
		.amdhsa_exception_fp_ieee_underflow 0
		.amdhsa_exception_fp_ieee_inexact 0
		.amdhsa_exception_int_div_zero 0
	.end_amdhsa_kernel
	.section	.text._Z39paged_attention_ll4mi_QKV_mfma16_kernelI14__hip_bfloat16hLN4vllm18Fp8KVCacheDataTypeE1EhLi16ELi128ELi256ELb1ELi11EL8MFMAType0EEvPKT_PKT0_S9_ifPKiSB_SB_iPKfiiiPfSE_PS4_PT2_iSD_SD_,"axG",@progbits,_Z39paged_attention_ll4mi_QKV_mfma16_kernelI14__hip_bfloat16hLN4vllm18Fp8KVCacheDataTypeE1EhLi16ELi128ELi256ELb1ELi11EL8MFMAType0EEvPKT_PKT0_S9_ifPKiSB_SB_iPKfiiiPfSE_PS4_PT2_iSD_SD_,comdat
.Lfunc_end1800:
	.size	_Z39paged_attention_ll4mi_QKV_mfma16_kernelI14__hip_bfloat16hLN4vllm18Fp8KVCacheDataTypeE1EhLi16ELi128ELi256ELb1ELi11EL8MFMAType0EEvPKT_PKT0_S9_ifPKiSB_SB_iPKfiiiPfSE_PS4_PT2_iSD_SD_, .Lfunc_end1800-_Z39paged_attention_ll4mi_QKV_mfma16_kernelI14__hip_bfloat16hLN4vllm18Fp8KVCacheDataTypeE1EhLi16ELi128ELi256ELb1ELi11EL8MFMAType0EEvPKT_PKT0_S9_ifPKiSB_SB_iPKfiiiPfSE_PS4_PT2_iSD_SD_
                                        ; -- End function
	.section	.AMDGPU.csdata,"",@progbits
; Kernel info:
; codeLenInByte = 9004
; NumSgprs: 38
; NumVgprs: 140
; ScratchSize: 0
; MemoryBound: 0
; FloatMode: 240
; IeeeMode: 1
; LDSByteSize: 17472 bytes/workgroup (compile time only)
; SGPRBlocks: 4
; VGPRBlocks: 17
; NumSGPRsForWavesPerEU: 38
; NumVGPRsForWavesPerEU: 140
; Occupancy: 10
; WaveLimiterHint : 1
; COMPUTE_PGM_RSRC2:SCRATCH_EN: 0
; COMPUTE_PGM_RSRC2:USER_SGPR: 13
; COMPUTE_PGM_RSRC2:TRAP_HANDLER: 0
; COMPUTE_PGM_RSRC2:TGID_X_EN: 1
; COMPUTE_PGM_RSRC2:TGID_Y_EN: 1
; COMPUTE_PGM_RSRC2:TGID_Z_EN: 1
; COMPUTE_PGM_RSRC2:TIDIG_COMP_CNT: 0
	.section	.text._Z39paged_attention_ll4mi_QKV_mfma16_kernelI14__hip_bfloat16hLN4vllm18Fp8KVCacheDataTypeE1EhLi16ELi128ELi256ELb1ELi12EL8MFMAType0EEvPKT_PKT0_S9_ifPKiSB_SB_iPKfiiiPfSE_PS4_PT2_iSD_SD_,"axG",@progbits,_Z39paged_attention_ll4mi_QKV_mfma16_kernelI14__hip_bfloat16hLN4vllm18Fp8KVCacheDataTypeE1EhLi16ELi128ELi256ELb1ELi12EL8MFMAType0EEvPKT_PKT0_S9_ifPKiSB_SB_iPKfiiiPfSE_PS4_PT2_iSD_SD_,comdat
	.protected	_Z39paged_attention_ll4mi_QKV_mfma16_kernelI14__hip_bfloat16hLN4vllm18Fp8KVCacheDataTypeE1EhLi16ELi128ELi256ELb1ELi12EL8MFMAType0EEvPKT_PKT0_S9_ifPKiSB_SB_iPKfiiiPfSE_PS4_PT2_iSD_SD_ ; -- Begin function _Z39paged_attention_ll4mi_QKV_mfma16_kernelI14__hip_bfloat16hLN4vllm18Fp8KVCacheDataTypeE1EhLi16ELi128ELi256ELb1ELi12EL8MFMAType0EEvPKT_PKT0_S9_ifPKiSB_SB_iPKfiiiPfSE_PS4_PT2_iSD_SD_
	.globl	_Z39paged_attention_ll4mi_QKV_mfma16_kernelI14__hip_bfloat16hLN4vllm18Fp8KVCacheDataTypeE1EhLi16ELi128ELi256ELb1ELi12EL8MFMAType0EEvPKT_PKT0_S9_ifPKiSB_SB_iPKfiiiPfSE_PS4_PT2_iSD_SD_
	.p2align	8
	.type	_Z39paged_attention_ll4mi_QKV_mfma16_kernelI14__hip_bfloat16hLN4vllm18Fp8KVCacheDataTypeE1EhLi16ELi128ELi256ELb1ELi12EL8MFMAType0EEvPKT_PKT0_S9_ifPKiSB_SB_iPKfiiiPfSE_PS4_PT2_iSD_SD_,@function
_Z39paged_attention_ll4mi_QKV_mfma16_kernelI14__hip_bfloat16hLN4vllm18Fp8KVCacheDataTypeE1EhLi16ELi128ELi256ELb1ELi12EL8MFMAType0EEvPKT_PKT0_S9_ifPKiSB_SB_iPKfiiiPfSE_PS4_PT2_iSD_SD_: ; @_Z39paged_attention_ll4mi_QKV_mfma16_kernelI14__hip_bfloat16hLN4vllm18Fp8KVCacheDataTypeE1EhLi16ELi128ELi256ELb1ELi12EL8MFMAType0EEvPKT_PKT0_S9_ifPKiSB_SB_iPKfiiiPfSE_PS4_PT2_iSD_SD_
; %bb.0:
	s_load_b64 s[4:5], s[0:1], 0x30
	s_mov_b32 s30, s13
	s_waitcnt lgkmcnt(0)
	s_cmp_lg_u64 s[4:5], 0
	s_cselect_b32 s13, -1, 0
	s_ashr_i32 s31, s30, 31
	s_cmp_eq_u64 s[4:5], 0
	s_cbranch_scc1 .LBB1801_3
; %bb.1:
	s_lshl_b64 s[2:3], s[30:31], 2
	s_delay_alu instid0(SALU_CYCLE_1) | instskip(SKIP_4) | instid1(SALU_CYCLE_1)
	s_add_u32 s2, s4, s2
	s_addc_u32 s3, s5, s3
	s_load_b64 s[2:3], s[2:3], 0x0
	s_waitcnt lgkmcnt(0)
	s_sub_i32 s2, s3, s2
	s_cmp_eq_u32 s2, 1
	s_cselect_b32 s2, -1, 0
	s_delay_alu instid0(SALU_CYCLE_1)
	s_and_not1_b32 vcc_lo, exec_lo, s2
	s_cbranch_vccz .LBB1801_4
.LBB1801_2:
	s_endpgm
.LBB1801_3:
.LBB1801_4:
	s_load_b64 s[2:3], s[0:1], 0x28
	s_lshl_b64 s[6:7], s[30:31], 2
	s_waitcnt lgkmcnt(0)
	s_add_u32 s2, s2, s6
	s_addc_u32 s3, s3, s7
	s_lshl_b32 s12, s14, 8
	s_load_b32 s17, s[2:3], 0x0
	s_waitcnt lgkmcnt(0)
	s_cmp_ge_i32 s12, s17
	s_cbranch_scc1 .LBB1801_2
; %bb.5:
	s_clause 0x1
	s_load_b128 s[8:11], s[0:1], 0x8
	s_load_b64 s[2:3], s[0:1], 0x20
	s_and_not1_b32 vcc_lo, exec_lo, s13
	s_cbranch_vccnz .LBB1801_7
; %bb.6:
	s_add_u32 s4, s4, s6
	s_addc_u32 s5, s5, s7
	s_load_b32 s13, s[4:5], 0x0
	s_branch .LBB1801_8
.LBB1801_7:
	s_mov_b32 s13, s30
.LBB1801_8:
	s_load_b128 s[4:7], s[0:1], 0x48
	v_and_b32_e32 v65, 15, v0
	v_lshrrev_b32_e32 v66, 5, v0
	v_and_b32_e32 v67, 31, v0
	v_and_b32_e32 v75, 1, v0
	v_bfe_u32 v74, v0, 4, 1
	v_lshlrev_b32_e32 v1, 3, v65
	s_mul_i32 s29, s15, 12
	s_waitcnt lgkmcnt(0)
	s_mov_b32 s7, exec_lo
	s_delay_alu instid0(VALU_DEP_1)
	v_lshlrev_b32_e32 v73, 1, v1
	v_cmpx_gt_u32_e32 0xc0, v0
	s_cbranch_execz .LBB1801_10
; %bb.9:
	s_load_b64 s[18:19], s[0:1], 0x0
	v_lshl_or_b32 v5, v66, 1, v74
	s_mul_hi_i32 s21, s13, s4
	s_mul_i32 s20, s13, s4
	v_lshlrev_b32_e32 v6, 10, v65
	s_lshl_b64 s[20:21], s[20:21], 1
	v_add_lshl_u32 v1, v5, s29, 7
	v_lshlrev_b32_e32 v5, 6, v5
	v_lshlrev_b32_e32 v7, 10, v75
	v_and_b32_e32 v6, 0x3800, v6
	s_delay_alu instid0(VALU_DEP_4) | instskip(NEXT) | instid1(VALU_DEP_2)
	v_ashrrev_i32_e32 v2, 31, v1
	v_or3_b32 v5, v6, v7, v5
	s_delay_alu instid0(VALU_DEP_2) | instskip(SKIP_3) | instid1(VALU_DEP_1)
	v_lshlrev_b64 v[1:2], 1, v[1:2]
	s_waitcnt lgkmcnt(0)
	s_add_u32 s4, s18, s20
	s_addc_u32 s13, s19, s21
	v_add_co_u32 v1, vcc_lo, s4, v1
	s_delay_alu instid0(VALU_DEP_2) | instskip(NEXT) | instid1(VALU_DEP_2)
	v_add_co_ci_u32_e32 v2, vcc_lo, s13, v2, vcc_lo
	v_add_co_u32 v1, vcc_lo, v1, v73
	s_delay_alu instid0(VALU_DEP_2)
	v_add_co_ci_u32_e32 v2, vcc_lo, 0, v2, vcc_lo
	global_load_b128 v[1:4], v[1:2], off
	s_waitcnt vmcnt(0)
	ds_store_b128 v5, v[1:4]
.LBB1801_10:
	s_or_b32 exec_lo, exec_lo, s7
	v_and_b32_e32 v1, 0xef, v0
	s_add_i32 s4, s17, 15
	s_clause 0x1
	s_load_b32 s7, s[0:1], 0x38
	s_load_b32 s18, s[0:1], 0x1c
	s_ashr_i32 s13, s4, 31
	v_add_nc_u32_e32 v1, s12, v1
	s_lshr_b32 s13, s13, 28
	s_waitcnt lgkmcnt(0)
	s_add_i32 s4, s4, s13
	s_barrier
	v_ashrrev_i32_e32 v2, 31, v1
	v_or_b32_e32 v3, 16, v1
	s_ashr_i32 s4, s4, 4
	v_cmp_gt_i32_e32 vcc_lo, s17, v1
	s_add_i32 s4, s4, -1
	v_lshrrev_b32_e32 v2, 28, v2
	buffer_gl0_inv
	s_mul_i32 s15, s15, s6
	v_add_nc_u32_e32 v4, v1, v2
	s_mul_i32 s20, s30, s7
	s_delay_alu instid0(SALU_CYCLE_1) | instskip(NEXT) | instid1(VALU_DEP_1)
	s_ashr_i32 s21, s20, 31
	v_ashrrev_i32_e32 v4, 4, v4
	v_add_nc_u32_e32 v2, v3, v2
	s_lshl_b64 s[20:21], s[20:21], 2
	s_delay_alu instid0(SALU_CYCLE_1) | instskip(NEXT) | instid1(VALU_DEP_2)
	s_add_u32 s13, s2, s20
	v_cndmask_b32_e32 v1, s4, v4, vcc_lo
	s_delay_alu instid0(VALU_DEP_2)
	v_ashrrev_i32_e32 v2, 4, v2
	v_cmp_gt_i32_e32 vcc_lo, s17, v3
	s_addc_u32 s16, s3, s21
	s_ashr_i32 s19, s15, 31
	s_add_u32 s26, s8, s15
	s_addc_u32 s27, s9, s19
	v_cndmask_b32_e32 v3, s4, v2, vcc_lo
	v_ashrrev_i32_e32 v2, 31, v1
	s_lshl_b32 s2, s14, 4
	s_delay_alu instid0(SALU_CYCLE_1) | instskip(NEXT) | instid1(VALU_DEP_2)
	s_ashr_i32 s3, s2, 31
	v_ashrrev_i32_e32 v4, 31, v3
	s_delay_alu instid0(VALU_DEP_2) | instskip(SKIP_1) | instid1(SALU_CYCLE_1)
	v_lshlrev_b64 v[1:2], 2, v[1:2]
	s_lshl_b64 s[2:3], s[2:3], 2
	s_add_u32 s2, s13, s2
	s_delay_alu instid0(VALU_DEP_2) | instskip(SKIP_1) | instid1(VALU_DEP_2)
	v_lshlrev_b64 v[3:4], 2, v[3:4]
	s_addc_u32 s3, s16, s3
	v_add_co_u32 v1, vcc_lo, s13, v1
	v_add_co_ci_u32_e32 v2, vcc_lo, s16, v2, vcc_lo
	s_delay_alu instid0(VALU_DEP_3) | instskip(NEXT) | instid1(VALU_DEP_4)
	v_add_co_u32 v3, vcc_lo, s13, v3
	v_add_co_ci_u32_e32 v4, vcc_lo, s16, v4, vcc_lo
	s_clause 0x1
	global_load_b32 v5, v[1:2], off
	global_load_b32 v3, v[3:4], off
	s_or_b32 s6, s12, 32
	v_cmp_gt_u32_e32 vcc_lo, 12, v65
	s_ashr_i32 s7, s6, 4
	s_cmp_lt_i32 s6, s17
	s_cselect_b32 s6, s7, s4
	s_delay_alu instid0(SALU_CYCLE_1) | instskip(NEXT) | instid1(SALU_CYCLE_1)
	s_ashr_i32 s7, s6, 31
	s_lshl_b64 s[6:7], s[6:7], 2
	s_delay_alu instid0(SALU_CYCLE_1) | instskip(SKIP_2) | instid1(SALU_CYCLE_1)
	s_add_u32 s6, s13, s6
	s_addc_u32 s7, s16, s7
	s_or_b32 s8, s12, 64
	s_ashr_i32 s9, s8, 4
	s_cmp_lt_i32 s8, s17
	s_cselect_b32 s8, s9, s4
	s_delay_alu instid0(SALU_CYCLE_1) | instskip(NEXT) | instid1(SALU_CYCLE_1)
	s_ashr_i32 s9, s8, 31
	s_lshl_b64 s[8:9], s[8:9], 2
	s_delay_alu instid0(SALU_CYCLE_1) | instskip(SKIP_2) | instid1(SALU_CYCLE_1)
	s_add_u32 s8, s13, s8
	s_addc_u32 s9, s16, s9
	s_or_b32 s20, s12, 0x60
	s_ashr_i32 s21, s20, 4
	s_cmp_lt_i32 s20, s17
	s_cselect_b32 s20, s21, s4
	s_delay_alu instid0(SALU_CYCLE_1) | instskip(NEXT) | instid1(SALU_CYCLE_1)
	s_ashr_i32 s21, s20, 31
	s_lshl_b64 s[20:21], s[20:21], 2
	s_delay_alu instid0(SALU_CYCLE_1) | instskip(SKIP_2) | instid1(SALU_CYCLE_1)
	s_add_u32 s20, s13, s20
	s_addc_u32 s21, s16, s21
	s_or_b32 s22, s12, 0x80
	s_ashr_i32 s23, s22, 4
	s_cmp_lt_i32 s22, s17
	s_cselect_b32 s22, s23, s4
	s_delay_alu instid0(SALU_CYCLE_1) | instskip(NEXT) | instid1(SALU_CYCLE_1)
	s_ashr_i32 s23, s22, 31
	s_lshl_b64 s[22:23], s[22:23], 2
	s_delay_alu instid0(SALU_CYCLE_1) | instskip(SKIP_2) | instid1(SALU_CYCLE_1)
	s_add_u32 s22, s13, s22
	s_addc_u32 s23, s16, s23
	s_or_b32 s24, s12, 0xa0
	s_ashr_i32 s25, s24, 4
	s_cmp_lt_i32 s24, s17
	s_cselect_b32 s24, s25, s4
	s_delay_alu instid0(SALU_CYCLE_1) | instskip(NEXT) | instid1(SALU_CYCLE_1)
	s_ashr_i32 s25, s24, 31
	s_lshl_b64 s[24:25], s[24:25], 2
	s_delay_alu instid0(SALU_CYCLE_1)
	s_add_u32 s24, s13, s24
	s_addc_u32 s25, s16, s25
	s_clause 0x5
	s_load_b32 s28, s[2:3], 0x0
	s_load_b32 s31, s[6:7], 0x0
	;; [unrolled: 1-line block ×6, first 2 shown]
	s_mov_b32 s20, 0
	s_or_b32 s2, s12, 0xc0
	s_mov_b32 s21, s20
	s_mov_b32 s22, s20
	;; [unrolled: 1-line block ×5, first 2 shown]
	v_lshlrev_b32_e32 v1, 4, v0
	s_ashr_i32 s3, s2, 4
	s_cmp_lt_i32 s2, s17
	s_cselect_b32 s2, s3, s4
	s_delay_alu instid0(VALU_DEP_1) | instskip(SKIP_1) | instid1(SALU_CYCLE_1)
	v_and_b32_e32 v1, 0xf0, v1
	s_ashr_i32 s3, s2, 31
	s_lshl_b64 s[2:3], s[2:3], 2
	s_delay_alu instid0(VALU_DEP_1) | instskip(NEXT) | instid1(VALU_DEP_1)
	v_add_co_u32 v1, s26, s26, v1
	v_add_co_ci_u32_e64 v2, null, s27, 0, s26
	s_add_u32 s2, s13, s2
	s_addc_u32 s3, s16, s3
	s_or_b32 s6, s12, 0xe0
	s_mov_b32 s27, s20
	s_ashr_i32 s7, s6, 4
	s_cmp_lt_i32 s6, s17
	s_mov_b32 s26, s20
	v_dual_mov_b32 v107, s27 :: v_dual_mov_b32 v100, s20
	s_cselect_b32 s6, s7, s4
	v_mov_b32_e32 v106, s26
	s_ashr_i32 s7, s6, 31
	v_mov_b32_e32 v104, s24
	s_lshl_b64 s[6:7], s[6:7], 2
	v_dual_mov_b32 v103, s23 :: v_dual_mov_b32 v102, s22
	v_mov_b32_e32 v101, s21
	s_waitcnt vmcnt(1)
	v_mad_i64_i32 v[33:34], null, v5, s5, v[1:2]
	s_waitcnt vmcnt(0)
	v_mad_i64_i32 v[35:36], null, v3, s5, v[1:2]
	s_clause 0xf
	global_load_b128 v[1:4], v[33:34], off
	global_load_b128 v[5:8], v[33:34], off offset:256
	global_load_b128 v[9:12], v[35:36], off
	global_load_b128 v[13:16], v[35:36], off offset:256
	global_load_b128 v[17:20], v[33:34], off offset:512
	global_load_b128 v[21:24], v[33:34], off offset:768
	global_load_b128 v[25:28], v[35:36], off offset:512
	global_load_b128 v[29:32], v[35:36], off offset:768
	global_load_b128 v[57:60], v[33:34], off offset:1024
	global_load_b128 v[61:64], v[33:34], off offset:1280
	global_load_b128 v[76:79], v[35:36], off offset:1024
	global_load_b128 v[80:83], v[35:36], off offset:1280
	global_load_b128 v[84:87], v[33:34], off offset:1536
	global_load_b128 v[88:91], v[33:34], off offset:1792
	global_load_b128 v[92:95], v[35:36], off offset:1536
	global_load_b128 v[96:99], v[35:36], off offset:1792
	v_add_nc_u32_e32 v33, -12, v65
	v_lshlrev_b32_e32 v34, 4, v65
	s_delay_alu instid0(VALU_DEP_2) | instskip(SKIP_1) | instid1(VALU_DEP_3)
	v_cndmask_b32_e32 v33, v33, v65, vcc_lo
	v_mov_b32_e32 v105, s25
	v_lshl_or_b32 v41, v66, 8, v34
	s_delay_alu instid0(VALU_DEP_3)
	v_lshlrev_b32_e32 v72, 6, v33
	ds_load_b128 v[33:36], v72
	ds_load_b128 v[37:40], v72 offset:1024
	ds_load_b128 v[108:111], v72 offset:2048
	;; [unrolled: 1-line block ×3, first 2 shown]
	s_load_b32 s4, s[2:3], 0x0
	s_add_u32 s2, s13, s6
	s_addc_u32 s3, s16, s7
	ds_load_b128 v[116:119], v72 offset:4096
	ds_load_b128 v[120:123], v72 offset:5120
	s_load_b32 s2, s[2:3], 0x0
	s_add_u32 s6, s10, s15
	s_addc_u32 s7, s11, s19
	v_add_co_u32 v68, s6, s6, v41
	s_delay_alu instid0(VALU_DEP_1) | instskip(SKIP_1) | instid1(VALU_DEP_1)
	v_add_co_ci_u32_e64 v69, null, s7, 0, s6
	s_waitcnt lgkmcnt(0)
	v_mad_i64_i32 v[41:42], null, s28, s5, v[68:69]
	v_mad_i64_i32 v[70:71], null, s8, s5, v[68:69]
	;; [unrolled: 1-line block ×7, first 2 shown]
	s_clause 0x3
	global_load_b128 v[49:52], v[41:42], off
	global_load_b128 v[53:56], v[41:42], off offset:16
	global_load_b128 v[41:44], v[45:46], off
	global_load_b128 v[45:48], v[45:46], off offset:16
	s_waitcnt vmcnt(18)
	v_wmma_f32_16x16x16_bf16 v[124:131], v[1:8], v[33:40], v[100:107]
	s_waitcnt vmcnt(16)
	v_wmma_f32_16x16x16_bf16 v[100:107], v[9:16], v[33:40], v[100:107]
	s_clause 0x1
	global_load_b128 v[33:36], v[70:71], off
	global_load_b128 v[37:40], v[70:71], off offset:16
	v_mad_i64_i32 v[70:71], null, s2, s5, v[68:69]
	s_waitcnt vmcnt(16)
	v_wmma_f32_16x16x16_bf16 v[124:131], v[17:24], v[108:115], v[124:131]
	s_waitcnt vmcnt(14)
	v_wmma_f32_16x16x16_bf16 v[100:107], v[25:32], v[108:115], v[100:107]
	s_clause 0x7
	global_load_b128 v[25:28], v[132:133], off
	global_load_b128 v[29:32], v[132:133], off offset:16
	global_load_b128 v[1:4], v[134:135], off
	global_load_b128 v[5:8], v[134:135], off offset:16
	;; [unrolled: 2-line block ×4, first 2 shown]
	s_waitcnt vmcnt(20)
	v_wmma_f32_16x16x16_bf16 v[124:131], v[57:64], v[116:123], v[124:131]
	s_clause 0x1
	global_load_b128 v[57:60], v[70:71], off
	global_load_b128 v[61:64], v[70:71], off offset:16
	s_waitcnt vmcnt(20)
	v_wmma_f32_16x16x16_bf16 v[100:107], v[76:83], v[116:123], v[100:107]
	ds_load_b128 v[76:79], v72 offset:6144
	ds_load_b128 v[80:83], v72 offset:7168
	v_and_b32_e32 v68, 0xe0, v0
	v_mbcnt_lo_u32_b32 v69, -1, 0
	s_waitcnt vmcnt(0) lgkmcnt(0)
	s_barrier
	buffer_gl0_inv
	v_add_nc_u32_e32 v68, s12, v68
	v_xor_b32_e32 v70, 16, v69
	s_delay_alu instid0(VALU_DEP_2) | instskip(NEXT) | instid1(VALU_DEP_2)
	v_or_b32_e32 v68, v68, v74
	v_cmp_gt_i32_e32 vcc_lo, 32, v70
	s_delay_alu instid0(VALU_DEP_2)
	v_or_b32_e32 v71, 4, v68
	v_or_b32_e32 v72, 6, v68
	v_cmp_gt_i32_e64 s2, s17, v68
	v_or_b32_e32 v108, 8, v68
	v_wmma_f32_16x16x16_bf16 v[124:131], v[84:91], v[76:83], v[124:131]
	v_cndmask_b32_e32 v69, v69, v70, vcc_lo
	v_or_b32_e32 v70, 2, v68
	v_wmma_f32_16x16x16_bf16 v[100:107], v[92:99], v[76:83], v[100:107]
	v_or_b32_e32 v109, 10, v68
	v_dual_mul_f32 v82, s18, v127 :: v_dual_mul_f32 v79, s18, v130
	v_dual_mul_f32 v92, s18, v125 :: v_dual_mul_f32 v93, s18, v124
	s_delay_alu instid0(VALU_DEP_4)
	v_mul_f32_e32 v98, s18, v103
	v_cmp_gt_i32_e32 vcc_lo, s17, v70
	v_or_b32_e32 v89, 22, v68
	v_dual_mul_f32 v83, s18, v126 :: v_dual_mul_f32 v96, s18, v105
	v_cndmask_b32_e64 v93, 0xff7fffff, v93, s2
	v_cndmask_b32_e32 v92, 0xff7fffff, v92, vcc_lo
	v_cmp_gt_i32_e64 s3, s17, v71
	v_cmp_gt_i32_e64 s4, s17, v72
	v_or_b32_e32 v84, 12, v68
	v_or_b32_e32 v85, 14, v68
	v_dual_mul_f32 v80, s18, v129 :: v_dual_mul_f32 v81, s18, v128
	v_mul_f32_e32 v94, s18, v107
	v_cndmask_b32_e64 v71, 0xff7fffff, v83, s3
	v_cndmask_b32_e64 v72, 0xff7fffff, v82, s4
	v_cmp_gt_i32_e64 s5, s17, v108
	v_cmp_gt_i32_e64 s6, s17, v109
	;; [unrolled: 1-line block ×3, first 2 shown]
	v_lshlrev_b32_e32 v89, 2, v69
	v_max3_f32 v82, v93, 0xff7fffff, v92
	v_or_b32_e32 v86, 16, v68
	v_or_b32_e32 v87, 18, v68
	v_mul_f32_e32 v78, s18, v131
	v_cndmask_b32_e64 v81, 0xff7fffff, v81, s5
	v_cndmask_b32_e64 v80, 0xff7fffff, v80, s6
	v_max3_f32 v71, v82, v71, v72
	v_cmp_gt_i32_e64 s7, s17, v84
	v_cmp_gt_i32_e64 s8, s17, v85
	v_or_b32_e32 v88, 20, v68
	v_or_b32_e32 v90, 24, v68
	;; [unrolled: 1-line block ×5, first 2 shown]
	v_dual_mul_f32 v95, s18, v106 :: v_dual_mul_f32 v70, s18, v101
	v_dual_mul_f32 v99, s18, v102 :: v_dual_mul_f32 v68, s18, v100
	v_cndmask_b32_e64 v72, 0xff7fffff, v79, s7
	v_cndmask_b32_e64 v78, 0xff7fffff, v78, s8
	v_max3_f32 v71, v71, v81, v80
	v_cmp_gt_i32_e64 s9, s17, v86
	v_cmp_gt_i32_e64 s10, s17, v87
	;; [unrolled: 1-line block ×3, first 2 shown]
	v_mul_f32_e32 v97, s18, v104
	v_max3_f32 v71, v71, v72, v78
	v_cndmask_b32_e64 v68, 0xff7fffff, v68, s9
	v_cndmask_b32_e64 v70, 0xff7fffff, v70, s10
	;; [unrolled: 1-line block ×4, first 2 shown]
	v_cmp_gt_i32_e64 s13, s17, v90
	v_cmp_gt_i32_e64 s15, s17, v91
	v_max3_f32 v68, v71, v68, v70
	v_cmp_gt_i32_e64 s16, s17, v76
	v_cmp_gt_i32_e64 s17, s17, v77
	v_cndmask_b32_e64 v70, 0xff7fffff, v97, s13
	v_cndmask_b32_e64 v71, 0xff7fffff, v96, s15
	v_max3_f32 v68, v68, v72, v78
	v_cndmask_b32_e64 v72, 0xff7fffff, v95, s16
	v_cndmask_b32_e64 v76, 0xff7fffff, v94, s17
	s_delay_alu instid0(VALU_DEP_3) | instskip(NEXT) | instid1(VALU_DEP_1)
	v_max3_f32 v68, v68, v70, v71
	v_max3_f32 v68, v68, v72, v76
	ds_bpermute_b32 v69, v89, v68
	s_waitcnt lgkmcnt(0)
	v_max_f32_e32 v69, v69, v69
	s_delay_alu instid0(VALU_DEP_1) | instskip(NEXT) | instid1(VALU_DEP_1)
	v_max_f32_e32 v68, v68, v69
	v_fma_f32 v69, s18, v124, -v68
	v_fma_f32 v70, s18, v125, -v68
	;; [unrolled: 1-line block ×5, first 2 shown]
	s_delay_alu instid0(VALU_DEP_4) | instskip(NEXT) | instid1(VALU_DEP_4)
	v_dual_mul_f32 v69, 0x3fb8aa3b, v69 :: v_dual_mul_f32 v70, 0x3fb8aa3b, v70
	v_mul_f32_e32 v72, 0x3fb8aa3b, v72
	v_fma_f32 v78, s18, v130, -v68
	s_delay_alu instid0(VALU_DEP_4) | instskip(NEXT) | instid1(VALU_DEP_4)
	v_mul_f32_e32 v77, 0x3fb8aa3b, v76
	v_exp_f32_e32 v69, v69
	v_exp_f32_e32 v70, v70
	v_mul_f32_e32 v71, 0x3fb8aa3b, v71
	v_exp_f32_e32 v72, v72
	v_mul_f32_e32 v78, 0x3fb8aa3b, v78
	v_exp_f32_e32 v77, v77
	v_fma_f32 v81, s18, v105, -v68
	s_delay_alu instid0(VALU_DEP_2)
	v_exp_f32_e32 v78, v78
	v_cndmask_b32_e64 v80, 0, v69, s2
	v_cndmask_b32_e32 v76, 0, v70, vcc_lo
	v_exp_f32_e32 v71, v71
	v_fma_f32 v69, s18, v129, -v68
	v_cndmask_b32_e64 v85, 0, v72, s4
	v_add_f32_e32 v70, 0, v80
	s_delay_alu instid0(TRANS32_DEP_3)
	v_cndmask_b32_e64 v86, 0, v77, s5
	v_fma_f32 v77, s18, v101, -v68
	v_mul_f32_e32 v69, 0x3fb8aa3b, v69
	v_fma_f32 v72, s18, v100, -v68
	v_cndmask_b32_e64 v84, 0, v78, s7
	v_fma_f32 v78, s18, v103, -v68
	v_cndmask_b32_e64 v83, 0, v71, s3
	v_fma_f32 v71, s18, v131, -v68
	v_add_f32_e32 v70, v70, v76
	v_exp_f32_e32 v69, v69
	v_mul_f32_e32 v77, 0x3fb8aa3b, v77
	v_mul_f32_e32 v81, 0x3fb8aa3b, v81
	;; [unrolled: 1-line block ×3, first 2 shown]
	v_add_f32_e32 v70, v70, v83
	s_mov_b32 s2, exec_lo
	v_exp_f32_e32 v77, v77
	v_exp_f32_e32 v81, v81
	v_exp_f32_e32 v71, v71
	v_cndmask_b32_e64 v87, 0, v69, s6
	v_add_f32_e32 v70, v70, v85
	s_delay_alu instid0(VALU_DEP_1) | instskip(SKIP_1) | instid1(VALU_DEP_2)
	v_dual_mul_f32 v72, 0x3fb8aa3b, v72 :: v_dual_add_f32 v69, v70, v86
	v_fma_f32 v70, s18, v102, -v68
	v_exp_f32_e32 v72, v72
	s_waitcnt_depctr 0xfff
	v_cndmask_b32_e64 v88, 0, v71, s8
	v_fma_f32 v71, s18, v104, -v68
	v_dual_add_f32 v69, v69, v87 :: v_dual_mul_f32 v70, 0x3fb8aa3b, v70
	s_delay_alu instid0(VALU_DEP_2) | instskip(NEXT) | instid1(VALU_DEP_2)
	v_dual_mul_f32 v78, 0x3fb8aa3b, v78 :: v_dual_mul_f32 v71, 0x3fb8aa3b, v71
	v_add_f32_e32 v69, v69, v84
	s_delay_alu instid0(VALU_DEP_3) | instskip(SKIP_1) | instid1(VALU_DEP_3)
	v_exp_f32_e32 v79, v70
	v_cndmask_b32_e64 v70, 0, v72, s9
	v_exp_f32_e32 v78, v78
	v_exp_f32_e32 v82, v71
	v_add_f32_e32 v72, v69, v88
	v_cndmask_b32_e64 v69, 0, v77, s10
	v_fma_f32 v77, s18, v106, -v68
	s_delay_alu instid0(VALU_DEP_3) | instskip(NEXT) | instid1(TRANS32_DEP_3)
	v_add_f32_e32 v72, v72, v70
	v_cndmask_b32_e64 v71, 0, v79, s11
	s_delay_alu instid0(VALU_DEP_3) | instskip(NEXT) | instid1(VALU_DEP_3)
	v_mul_f32_e32 v77, 0x3fb8aa3b, v77
	v_add_f32_e32 v79, v72, v69
	s_delay_alu instid0(TRANS32_DEP_2) | instskip(NEXT) | instid1(VALU_DEP_3)
	v_cndmask_b32_e64 v72, 0, v78, s12
	v_exp_f32_e32 v90, v77
	v_cndmask_b32_e64 v77, 0, v82, s13
	s_delay_alu instid0(VALU_DEP_3) | instskip(SKIP_1) | instid1(VALU_DEP_1)
	v_add_f32_e32 v78, v79, v71
	v_fma_f32 v79, s18, v107, -v68
	v_dual_add_f32 v82, v78, v72 :: v_dual_mul_f32 v79, 0x3fb8aa3b, v79
	v_cndmask_b32_e64 v78, 0, v81, s15
	s_delay_alu instid0(VALU_DEP_2) | instskip(NEXT) | instid1(VALU_DEP_3)
	v_add_f32_e32 v81, v82, v77
	v_exp_f32_e32 v82, v79
	s_delay_alu instid0(TRANS32_DEP_2) | instskip(NEXT) | instid1(VALU_DEP_2)
	v_cndmask_b32_e64 v79, 0, v90, s16
	v_add_f32_e32 v81, v81, v78
	s_delay_alu instid0(VALU_DEP_1) | instskip(SKIP_2) | instid1(VALU_DEP_1)
	v_add_f32_e32 v90, v81, v79
	s_waitcnt_depctr 0xfff
	v_cndmask_b32_e64 v81, 0, v82, s17
	v_add_f32_e32 v82, v90, v81
	ds_bpermute_b32 v89, v89, v82
	v_cmpx_gt_u32_e32 16, v67
	s_cbranch_execz .LBB1801_12
; %bb.11:
	v_mul_u32_u24_e32 v67, 0x44, v66
	s_delay_alu instid0(VALU_DEP_1) | instskip(SKIP_1) | instid1(VALU_DEP_1)
	v_lshl_add_u32 v67, v65, 2, v67
	s_waitcnt lgkmcnt(0)
	v_dual_add_f32 v82, v82, v89 :: v_dual_add_nc_u32 v67, 0x4000, v67
	ds_store_2addr_b32 v67, v68, v82 offset1:136
.LBB1801_12:
	s_or_b32 exec_lo, exec_lo, s2
	v_lshlrev_b32_e32 v67, 2, v65
	s_waitcnt lgkmcnt(0)
	s_barrier
	buffer_gl0_inv
	v_cmp_eq_u32_e32 vcc_lo, 1, v66
	v_add_nc_u32_e32 v82, 0x4000, v67
	v_cmp_eq_u32_e64 s2, 2, v66
	v_cmp_eq_u32_e64 s4, 7, v66
	ds_load_2addr_b32 v[89:90], v82 offset1:17
	ds_load_2addr_b32 v[91:92], v82 offset0:34 offset1:51
	ds_load_2addr_b32 v[93:94], v82 offset0:68 offset1:85
	;; [unrolled: 1-line block ×4, first 2 shown]
	s_waitcnt lgkmcnt(4)
	v_max3_f32 v67, v89, 0xff7fffff, v90
	s_waitcnt lgkmcnt(3)
	s_delay_alu instid0(VALU_DEP_1) | instskip(SKIP_1) | instid1(VALU_DEP_1)
	v_max3_f32 v67, v67, v91, v92
	s_waitcnt lgkmcnt(2)
	v_max3_f32 v67, v67, v93, v94
	s_waitcnt lgkmcnt(1)
	s_delay_alu instid0(VALU_DEP_1) | instskip(NEXT) | instid1(VALU_DEP_1)
	v_max3_f32 v67, v67, v95, v96
	v_sub_f32_e32 v93, v93, v67
	s_delay_alu instid0(VALU_DEP_1) | instskip(NEXT) | instid1(VALU_DEP_1)
	v_dual_sub_f32 v68, v89, v67 :: v_dual_mul_f32 v103, 0x3fb8aa3b, v93
	v_mul_f32_e32 v68, 0x3fb8aa3b, v68
	s_delay_alu instid0(VALU_DEP_1)
	v_exp_f32_e32 v100, v68
	v_sub_f32_e32 v68, v92, v67
	v_sub_f32_e32 v99, v90, v67
	ds_load_2addr_b32 v[89:90], v82 offset0:170 offset1:187
	v_dual_mul_f32 v102, 0x3fb8aa3b, v68 :: v_dual_mul_f32 v99, 0x3fb8aa3b, v99
	s_waitcnt lgkmcnt(1)
	v_fma_f32 v68, v100, v97, 0
	s_delay_alu instid0(VALU_DEP_2) | instskip(NEXT) | instid1(VALU_DEP_2)
	v_exp_f32_e32 v102, v102
	v_exp_f32_e32 v99, v99
	s_waitcnt_depctr 0xfff
	v_fmac_f32_e32 v68, v99, v98
	v_sub_f32_e32 v91, v91, v67
	s_delay_alu instid0(VALU_DEP_1)
	v_mul_f32_e32 v101, 0x3fb8aa3b, v91
	ds_load_2addr_b32 v[91:92], v82 offset0:204 offset1:221
	v_sub_f32_e32 v97, v94, v67
	ds_load_2addr_b32 v[93:94], v82 offset0:238 offset1:255
	s_waitcnt lgkmcnt(0)
	v_exp_f32_e32 v101, v101
	s_barrier
	buffer_gl0_inv
	v_dual_fmac_f32 v68, v101, v89 :: v_dual_sub_f32 v89, v96, v67
	v_dual_sub_f32 v82, v95, v67 :: v_dual_mul_f32 v95, 0x3fb8aa3b, v97
	v_exp_f32_e32 v97, v103
	s_delay_alu instid0(VALU_DEP_2) | instskip(NEXT) | instid1(VALU_DEP_2)
	v_dual_fmac_f32 v68, v102, v90 :: v_dual_mul_f32 v89, 0x3fb8aa3b, v89
	v_mul_f32_e32 v82, 0x3fb8aa3b, v82
	s_delay_alu instid0(VALU_DEP_3) | instskip(NEXT) | instid1(VALU_DEP_2)
	v_exp_f32_e32 v95, v95
	v_exp_f32_e32 v89, v89
	s_delay_alu instid0(VALU_DEP_1)
	v_exp_f32_e32 v82, v82
	v_fmac_f32_e32 v68, v97, v91
	s_delay_alu instid0(TRANS32_DEP_3) | instid1(VALU_DEP_1)
	v_fmac_f32_e32 v68, v95, v92
	s_waitcnt_depctr 0xfff
	v_fmac_f32_e32 v68, v82, v93
	s_delay_alu instid0(VALU_DEP_1) | instskip(NEXT) | instid1(VALU_DEP_1)
	v_fmac_f32_e32 v68, v89, v94
	v_add_f32_e32 v90, 0x358637bd, v68
	s_delay_alu instid0(VALU_DEP_1) | instskip(NEXT) | instid1(VALU_DEP_1)
	v_div_scale_f32 v91, null, v90, v90, 1.0
	v_rcp_f32_e32 v92, v91
	s_waitcnt_depctr 0xfff
	v_fma_f32 v93, -v91, v92, 1.0
	s_delay_alu instid0(VALU_DEP_1) | instskip(SKIP_1) | instid1(VALU_DEP_2)
	v_dual_fmac_f32 v92, v93, v92 :: v_dual_cndmask_b32 v93, v100, v99
	v_cmp_eq_u32_e32 vcc_lo, 3, v66
	v_cndmask_b32_e64 v93, v93, v101, s2
	v_cmp_eq_u32_e64 s2, 4, v66
	s_delay_alu instid0(VALU_DEP_2) | instskip(SKIP_1) | instid1(VALU_DEP_2)
	v_cndmask_b32_e32 v93, v93, v102, vcc_lo
	v_cmp_eq_u32_e32 vcc_lo, 5, v66
	v_cndmask_b32_e64 v93, v93, v97, s2
	v_cmp_eq_u32_e64 s2, 6, v66
	s_delay_alu instid0(VALU_DEP_2) | instskip(SKIP_1) | instid1(VALU_DEP_1)
	v_cndmask_b32_e32 v93, v93, v95, vcc_lo
	v_div_scale_f32 v94, s3, 1.0, v90, 1.0
	s_mov_b32 vcc_lo, s3
	s_delay_alu instid0(VALU_DEP_2) | instskip(NEXT) | instid1(VALU_DEP_2)
	v_cndmask_b32_e64 v82, v93, v82, s2
	v_mul_f32_e32 v96, v94, v92
	s_mov_b32 s2, exec_lo
	s_delay_alu instid0(VALU_DEP_2) | instskip(NEXT) | instid1(VALU_DEP_2)
	v_cndmask_b32_e64 v82, v82, v89, s4
	v_fma_f32 v98, -v91, v96, v94
	s_delay_alu instid0(VALU_DEP_1) | instskip(NEXT) | instid1(VALU_DEP_1)
	v_fmac_f32_e32 v96, v98, v92
	v_fma_f32 v91, -v91, v96, v94
	s_delay_alu instid0(VALU_DEP_1) | instskip(NEXT) | instid1(VALU_DEP_1)
	v_div_fmas_f32 v91, v91, v92, v96
	v_div_fixup_f32 v90, v91, v90, 1.0
	s_delay_alu instid0(VALU_DEP_1) | instskip(NEXT) | instid1(VALU_DEP_1)
	v_mul_f32_e32 v82, v82, v90
	v_mul_f32_e32 v87, v82, v87
	;; [unrolled: 1-line block ×7, first 2 shown]
	v_dual_mul_f32 v86, v82, v83 :: v_dual_and_b32 v91, 0x7f800000, v90
	v_mul_f32_e32 v85, v82, v76
                                        ; implicit-def: $vgpr76
	s_delay_alu instid0(VALU_DEP_2)
	v_cmpx_ne_u32_e32 0x7f800000, v91
	s_xor_b32 s2, exec_lo, s2
; %bb.13:
	v_bfe_u32 v76, v90, 16, 1
	s_delay_alu instid0(VALU_DEP_1)
	v_add3_u32 v76, v90, v76, 0x7fff
                                        ; implicit-def: $vgpr90
; %bb.14:
	s_and_not1_saveexec_b32 s2, s2
; %bb.15:
	v_and_b32_e32 v76, 0xffff, v90
	v_or_b32_e32 v83, 0x10000, v90
	s_delay_alu instid0(VALU_DEP_2) | instskip(NEXT) | instid1(VALU_DEP_2)
	v_cmp_eq_u32_e32 vcc_lo, 0, v76
	v_cndmask_b32_e32 v76, v83, v90, vcc_lo
; %bb.16:
	s_or_b32 exec_lo, exec_lo, s2
	v_and_b32_e32 v83, 0x7f800000, v85
	s_delay_alu instid0(VALU_DEP_1) | instskip(SKIP_1) | instid1(SALU_CYCLE_1)
	v_cmp_ne_u32_e32 vcc_lo, 0x7f800000, v83
                                        ; implicit-def: $vgpr83
	s_and_saveexec_b32 s2, vcc_lo
	s_xor_b32 s2, exec_lo, s2
; %bb.17:
	v_bfe_u32 v83, v85, 16, 1
	s_delay_alu instid0(VALU_DEP_1)
	v_add3_u32 v83, v85, v83, 0x7fff
                                        ; implicit-def: $vgpr85
; %bb.18:
	s_and_not1_saveexec_b32 s2, s2
; %bb.19:
	v_and_b32_e32 v83, 0xffff, v85
	v_or_b32_e32 v90, 0x10000, v85
	s_delay_alu instid0(VALU_DEP_2) | instskip(NEXT) | instid1(VALU_DEP_2)
	v_cmp_eq_u32_e32 vcc_lo, 0, v83
	v_cndmask_b32_e32 v83, v90, v85, vcc_lo
; %bb.20:
	s_or_b32 exec_lo, exec_lo, s2
	v_and_b32_e32 v85, 0x7f800000, v86
	s_delay_alu instid0(VALU_DEP_1) | instskip(SKIP_1) | instid1(SALU_CYCLE_1)
	v_cmp_ne_u32_e32 vcc_lo, 0x7f800000, v85
                                        ; implicit-def: $vgpr85
	s_and_saveexec_b32 s2, vcc_lo
	s_xor_b32 s2, exec_lo, s2
; %bb.21:
	v_bfe_u32 v85, v86, 16, 1
	s_delay_alu instid0(VALU_DEP_1)
	v_add3_u32 v85, v86, v85, 0x7fff
                                        ; implicit-def: $vgpr86
; %bb.22:
	s_and_not1_saveexec_b32 s2, s2
; %bb.23:
	v_and_b32_e32 v85, 0xffff, v86
	v_or_b32_e32 v90, 0x10000, v86
	s_delay_alu instid0(VALU_DEP_2) | instskip(NEXT) | instid1(VALU_DEP_2)
	v_cmp_eq_u32_e32 vcc_lo, 0, v85
	v_cndmask_b32_e32 v85, v90, v86, vcc_lo
; %bb.24:
	s_or_b32 exec_lo, exec_lo, s2
	v_and_b32_e32 v86, 0x7f800000, v89
	s_delay_alu instid0(VALU_DEP_1) | instskip(SKIP_1) | instid1(SALU_CYCLE_1)
	v_cmp_ne_u32_e32 vcc_lo, 0x7f800000, v86
                                        ; implicit-def: $vgpr86
	s_and_saveexec_b32 s2, vcc_lo
	s_xor_b32 s2, exec_lo, s2
; %bb.25:
	v_bfe_u32 v86, v89, 16, 1
	s_delay_alu instid0(VALU_DEP_1)
	v_add3_u32 v86, v89, v86, 0x7fff
                                        ; implicit-def: $vgpr89
; %bb.26:
	s_and_not1_saveexec_b32 s2, s2
; %bb.27:
	v_and_b32_e32 v86, 0xffff, v89
	v_or_b32_e32 v90, 0x10000, v89
	s_delay_alu instid0(VALU_DEP_2) | instskip(NEXT) | instid1(VALU_DEP_2)
	v_cmp_eq_u32_e32 vcc_lo, 0, v86
	v_cndmask_b32_e32 v86, v90, v89, vcc_lo
; %bb.28:
	s_or_b32 exec_lo, exec_lo, s2
	v_and_b32_e32 v89, 0x7f800000, v88
	s_delay_alu instid0(VALU_DEP_1) | instskip(SKIP_1) | instid1(SALU_CYCLE_1)
	v_cmp_ne_u32_e32 vcc_lo, 0x7f800000, v89
                                        ; implicit-def: $vgpr89
	s_and_saveexec_b32 s2, vcc_lo
	s_xor_b32 s2, exec_lo, s2
; %bb.29:
	v_bfe_u32 v89, v88, 16, 1
	s_delay_alu instid0(VALU_DEP_1)
	v_add3_u32 v89, v88, v89, 0x7fff
                                        ; implicit-def: $vgpr88
; %bb.30:
	s_and_not1_saveexec_b32 s2, s2
; %bb.31:
	v_and_b32_e32 v89, 0xffff, v88
	v_or_b32_e32 v90, 0x10000, v88
	s_delay_alu instid0(VALU_DEP_2) | instskip(NEXT) | instid1(VALU_DEP_2)
	v_cmp_eq_u32_e32 vcc_lo, 0, v89
	v_cndmask_b32_e32 v89, v90, v88, vcc_lo
; %bb.32:
	s_or_b32 exec_lo, exec_lo, s2
	v_and_b32_e32 v88, 0x7f800000, v87
	s_delay_alu instid0(VALU_DEP_1) | instskip(SKIP_1) | instid1(SALU_CYCLE_1)
	v_cmp_ne_u32_e32 vcc_lo, 0x7f800000, v88
                                        ; implicit-def: $vgpr88
	s_and_saveexec_b32 s2, vcc_lo
	s_xor_b32 s2, exec_lo, s2
; %bb.33:
	v_bfe_u32 v88, v87, 16, 1
	s_delay_alu instid0(VALU_DEP_1)
	v_add3_u32 v88, v87, v88, 0x7fff
                                        ; implicit-def: $vgpr87
; %bb.34:
	s_and_not1_saveexec_b32 s2, s2
; %bb.35:
	v_and_b32_e32 v88, 0xffff, v87
	v_or_b32_e32 v90, 0x10000, v87
	s_delay_alu instid0(VALU_DEP_2) | instskip(NEXT) | instid1(VALU_DEP_2)
	v_cmp_eq_u32_e32 vcc_lo, 0, v88
	v_cndmask_b32_e32 v88, v90, v87, vcc_lo
; %bb.36:
	s_or_b32 exec_lo, exec_lo, s2
	v_and_b32_e32 v87, 0x7f800000, v84
	s_delay_alu instid0(VALU_DEP_1) | instskip(SKIP_1) | instid1(SALU_CYCLE_1)
	v_cmp_ne_u32_e32 vcc_lo, 0x7f800000, v87
                                        ; implicit-def: $vgpr87
	s_and_saveexec_b32 s2, vcc_lo
	s_xor_b32 s2, exec_lo, s2
; %bb.37:
	v_bfe_u32 v87, v84, 16, 1
	s_delay_alu instid0(VALU_DEP_1)
	v_add3_u32 v87, v84, v87, 0x7fff
                                        ; implicit-def: $vgpr84
; %bb.38:
	s_and_not1_saveexec_b32 s2, s2
; %bb.39:
	v_and_b32_e32 v87, 0xffff, v84
	v_or_b32_e32 v90, 0x10000, v84
	s_delay_alu instid0(VALU_DEP_2) | instskip(NEXT) | instid1(VALU_DEP_2)
	v_cmp_eq_u32_e32 vcc_lo, 0, v87
	v_cndmask_b32_e32 v87, v90, v84, vcc_lo
; %bb.40:
	s_or_b32 exec_lo, exec_lo, s2
	v_and_b32_e32 v84, 0x7f800000, v80
	s_delay_alu instid0(VALU_DEP_1) | instskip(SKIP_1) | instid1(SALU_CYCLE_1)
	v_cmp_ne_u32_e32 vcc_lo, 0x7f800000, v84
                                        ; implicit-def: $vgpr84
	s_and_saveexec_b32 s2, vcc_lo
	s_xor_b32 s2, exec_lo, s2
; %bb.41:
	v_bfe_u32 v84, v80, 16, 1
	s_delay_alu instid0(VALU_DEP_1)
	v_add3_u32 v84, v80, v84, 0x7fff
                                        ; implicit-def: $vgpr80
; %bb.42:
	s_and_not1_saveexec_b32 s2, s2
; %bb.43:
	v_and_b32_e32 v84, 0xffff, v80
	v_or_b32_e32 v90, 0x10000, v80
	s_delay_alu instid0(VALU_DEP_2) | instskip(NEXT) | instid1(VALU_DEP_2)
	v_cmp_eq_u32_e32 vcc_lo, 0, v84
	v_cndmask_b32_e32 v84, v90, v80, vcc_lo
; %bb.44:
	s_or_b32 exec_lo, exec_lo, s2
	s_load_b64 s[34:35], s[0:1], 0x94
	v_lshlrev_b32_e32 v91, 4, v74
	s_delay_alu instid0(VALU_DEP_2)
	v_perm_b32 v90, v84, v87, 0x7060302
	v_dual_mul_f32 v79, v82, v79 :: v_dual_lshlrev_b32 v80, 6, v65
	v_dual_mul_f32 v77, v82, v77 :: v_dual_lshlrev_b32 v92, 11, v66
	v_mul_f32_e32 v84, v82, v70
	v_perm_b32 v89, v88, v89, 0x7060302
	v_perm_b32 v88, v86, v85, 0x7060302
	;; [unrolled: 1-line block ×3, first 2 shown]
	v_mul_f32_e32 v70, v82, v81
	v_or3_b32 v76, v91, v92, v80
	v_dual_mul_f32 v78, v82, v78 :: v_dual_and_b32 v85, 0x7f800000, v84
	v_mul_f32_e32 v83, v82, v72
	v_mul_f32_e32 v81, v82, v71
	;; [unrolled: 1-line block ×3, first 2 shown]
	s_mov_b32 s2, exec_lo
	ds_store_b128 v76, v[87:90]
                                        ; implicit-def: $vgpr69
	v_cmpx_ne_u32_e32 0x7f800000, v85
	s_xor_b32 s2, exec_lo, s2
; %bb.45:
	v_bfe_u32 v69, v84, 16, 1
	s_delay_alu instid0(VALU_DEP_1)
	v_add3_u32 v69, v84, v69, 0x7fff
                                        ; implicit-def: $vgpr84
; %bb.46:
	s_and_not1_saveexec_b32 s2, s2
; %bb.47:
	v_and_b32_e32 v69, 0xffff, v84
	v_or_b32_e32 v71, 0x10000, v84
	s_delay_alu instid0(VALU_DEP_2) | instskip(NEXT) | instid1(VALU_DEP_2)
	v_cmp_eq_u32_e32 vcc_lo, 0, v69
	v_cndmask_b32_e32 v69, v71, v84, vcc_lo
; %bb.48:
	s_or_b32 exec_lo, exec_lo, s2
	v_and_b32_e32 v71, 0x7f800000, v72
	s_delay_alu instid0(VALU_DEP_1) | instskip(SKIP_1) | instid1(SALU_CYCLE_1)
	v_cmp_ne_u32_e32 vcc_lo, 0x7f800000, v71
                                        ; implicit-def: $vgpr71
	s_and_saveexec_b32 s2, vcc_lo
	s_xor_b32 s2, exec_lo, s2
; %bb.49:
	v_bfe_u32 v71, v72, 16, 1
	s_delay_alu instid0(VALU_DEP_1)
	v_add3_u32 v71, v72, v71, 0x7fff
                                        ; implicit-def: $vgpr72
; %bb.50:
	s_and_not1_saveexec_b32 s2, s2
; %bb.51:
	v_and_b32_e32 v71, 0xffff, v72
	v_or_b32_e32 v82, 0x10000, v72
	s_delay_alu instid0(VALU_DEP_2) | instskip(NEXT) | instid1(VALU_DEP_2)
	v_cmp_eq_u32_e32 vcc_lo, 0, v71
	v_cndmask_b32_e32 v71, v82, v72, vcc_lo
; %bb.52:
	s_or_b32 exec_lo, exec_lo, s2
	v_and_b32_e32 v72, 0x7f800000, v81
	s_delay_alu instid0(VALU_DEP_1) | instskip(SKIP_1) | instid1(SALU_CYCLE_1)
	v_cmp_ne_u32_e32 vcc_lo, 0x7f800000, v72
                                        ; implicit-def: $vgpr72
	s_and_saveexec_b32 s2, vcc_lo
	s_xor_b32 s2, exec_lo, s2
; %bb.53:
	v_bfe_u32 v72, v81, 16, 1
	s_delay_alu instid0(VALU_DEP_1)
	v_add3_u32 v72, v81, v72, 0x7fff
                                        ; implicit-def: $vgpr81
; %bb.54:
	s_and_not1_saveexec_b32 s2, s2
; %bb.55:
	v_and_b32_e32 v72, 0xffff, v81
	v_or_b32_e32 v82, 0x10000, v81
	s_delay_alu instid0(VALU_DEP_2) | instskip(NEXT) | instid1(VALU_DEP_2)
	v_cmp_eq_u32_e32 vcc_lo, 0, v72
	v_cndmask_b32_e32 v72, v82, v81, vcc_lo
; %bb.56:
	s_or_b32 exec_lo, exec_lo, s2
	v_and_b32_e32 v81, 0x7f800000, v83
	s_delay_alu instid0(VALU_DEP_1) | instskip(SKIP_1) | instid1(SALU_CYCLE_1)
	v_cmp_ne_u32_e32 vcc_lo, 0x7f800000, v81
                                        ; implicit-def: $vgpr81
	s_and_saveexec_b32 s2, vcc_lo
	s_xor_b32 s2, exec_lo, s2
; %bb.57:
	v_bfe_u32 v81, v83, 16, 1
	s_delay_alu instid0(VALU_DEP_1)
	v_add3_u32 v81, v83, v81, 0x7fff
                                        ; implicit-def: $vgpr83
; %bb.58:
	s_and_not1_saveexec_b32 s2, s2
; %bb.59:
	v_and_b32_e32 v81, 0xffff, v83
	v_or_b32_e32 v82, 0x10000, v83
	s_delay_alu instid0(VALU_DEP_2) | instskip(NEXT) | instid1(VALU_DEP_2)
	v_cmp_eq_u32_e32 vcc_lo, 0, v81
	v_cndmask_b32_e32 v81, v82, v83, vcc_lo
; %bb.60:
	s_or_b32 exec_lo, exec_lo, s2
	v_and_b32_e32 v82, 0x7f800000, v77
	s_delay_alu instid0(VALU_DEP_1) | instskip(SKIP_1) | instid1(SALU_CYCLE_1)
	v_cmp_ne_u32_e32 vcc_lo, 0x7f800000, v82
                                        ; implicit-def: $vgpr82
	s_and_saveexec_b32 s2, vcc_lo
	s_xor_b32 s2, exec_lo, s2
; %bb.61:
	v_bfe_u32 v82, v77, 16, 1
	s_delay_alu instid0(VALU_DEP_1)
	v_add3_u32 v82, v77, v82, 0x7fff
                                        ; implicit-def: $vgpr77
; %bb.62:
	s_and_not1_saveexec_b32 s2, s2
; %bb.63:
	v_and_b32_e32 v82, 0xffff, v77
	v_or_b32_e32 v83, 0x10000, v77
	s_delay_alu instid0(VALU_DEP_2) | instskip(NEXT) | instid1(VALU_DEP_2)
	v_cmp_eq_u32_e32 vcc_lo, 0, v82
	v_cndmask_b32_e32 v82, v83, v77, vcc_lo
; %bb.64:
	s_or_b32 exec_lo, exec_lo, s2
	v_and_b32_e32 v77, 0x7f800000, v78
	s_delay_alu instid0(VALU_DEP_1) | instskip(SKIP_1) | instid1(SALU_CYCLE_1)
	v_cmp_ne_u32_e32 vcc_lo, 0x7f800000, v77
                                        ; implicit-def: $vgpr77
	s_and_saveexec_b32 s2, vcc_lo
	s_xor_b32 s2, exec_lo, s2
; %bb.65:
	v_bfe_u32 v77, v78, 16, 1
	s_delay_alu instid0(VALU_DEP_1)
	v_add3_u32 v77, v78, v77, 0x7fff
                                        ; implicit-def: $vgpr78
; %bb.66:
	s_and_not1_saveexec_b32 s2, s2
; %bb.67:
	v_and_b32_e32 v77, 0xffff, v78
	v_or_b32_e32 v83, 0x10000, v78
	s_delay_alu instid0(VALU_DEP_2) | instskip(NEXT) | instid1(VALU_DEP_2)
	v_cmp_eq_u32_e32 vcc_lo, 0, v77
	v_cndmask_b32_e32 v77, v83, v78, vcc_lo
; %bb.68:
	s_or_b32 exec_lo, exec_lo, s2
	v_and_b32_e32 v78, 0x7f800000, v79
	s_delay_alu instid0(VALU_DEP_1) | instskip(SKIP_1) | instid1(SALU_CYCLE_1)
	v_cmp_ne_u32_e32 vcc_lo, 0x7f800000, v78
                                        ; implicit-def: $vgpr78
	s_and_saveexec_b32 s2, vcc_lo
	s_xor_b32 s2, exec_lo, s2
; %bb.69:
	v_bfe_u32 v78, v79, 16, 1
	s_delay_alu instid0(VALU_DEP_1)
	v_add3_u32 v78, v79, v78, 0x7fff
                                        ; implicit-def: $vgpr79
; %bb.70:
	s_and_not1_saveexec_b32 s2, s2
; %bb.71:
	v_and_b32_e32 v78, 0xffff, v79
	v_or_b32_e32 v83, 0x10000, v79
	s_delay_alu instid0(VALU_DEP_2) | instskip(NEXT) | instid1(VALU_DEP_2)
	v_cmp_eq_u32_e32 vcc_lo, 0, v78
	v_cndmask_b32_e32 v78, v83, v79, vcc_lo
; %bb.72:
	s_or_b32 exec_lo, exec_lo, s2
	v_and_b32_e32 v79, 0x7f800000, v70
	s_delay_alu instid0(VALU_DEP_1) | instskip(SKIP_1) | instid1(SALU_CYCLE_1)
	v_cmp_ne_u32_e32 vcc_lo, 0x7f800000, v79
                                        ; implicit-def: $vgpr79
	s_and_saveexec_b32 s2, vcc_lo
	s_xor_b32 s2, exec_lo, s2
; %bb.73:
	v_bfe_u32 v79, v70, 16, 1
	s_delay_alu instid0(VALU_DEP_1)
	v_add3_u32 v79, v70, v79, 0x7fff
                                        ; implicit-def: $vgpr70
; %bb.74:
	s_and_not1_saveexec_b32 s2, s2
; %bb.75:
	v_and_b32_e32 v79, 0xffff, v70
	v_or_b32_e32 v83, 0x10000, v70
	s_delay_alu instid0(VALU_DEP_2) | instskip(NEXT) | instid1(VALU_DEP_2)
	v_cmp_eq_u32_e32 vcc_lo, 0, v79
	v_cndmask_b32_e32 v79, v83, v70, vcc_lo
; %bb.76:
	s_or_b32 exec_lo, exec_lo, s2
	s_delay_alu instid0(VALU_DEP_1)
	v_perm_b32 v86, v79, v78, 0x7060302
	v_perm_b32 v85, v77, v82, 0x7060302
	v_perm_b32 v84, v81, v72, 0x7060302
	v_perm_b32 v83, v71, v69, 0x7060302
	v_lshl_or_b32 v82, v66, 11, v80
	ds_store_b128 v76, v[83:86] offset:1024
	s_waitcnt lgkmcnt(0)
	s_barrier
	buffer_gl0_inv
	ds_load_b128 v[69:72], v82
	ds_load_b128 v[83:86], v82 offset:16
	s_waitcnt lgkmcnt(1)
	v_lshrrev_b32_e32 v66, 16, v69
	s_waitcnt lgkmcnt(0)
	v_lshrrev_b32_e32 v91, 16, v83
	v_lshlrev_b32_e32 v78, 2, v74
	v_lshrrev_b32_e32 v95, 16, v70
	v_lshrrev_b32_e32 v98, 16, v84
	;; [unrolled: 1-line block ×4, first 2 shown]
	v_cmp_eq_u32_e32 vcc_lo, 1, v78
	v_lshrrev_b32_e32 v97, 16, v72
	v_lshrrev_b32_e32 v100, 16, v86
	v_cndmask_b32_e32 v87, v83, v91, vcc_lo
	v_or_b32_e32 v79, 1, v78
	v_cndmask_b32_e32 v81, v69, v66, vcc_lo
	v_cmp_eq_u32_e64 s3, 2, v78
	v_cmp_eq_u32_e64 s6, 3, v78
	;; [unrolled: 1-line block ×5, first 2 shown]
	v_cndmask_b32_e64 v81, v81, v70, s3
	v_cndmask_b32_e64 v87, v87, v84, s3
	v_cmp_eq_u32_e64 s7, 3, v79
	v_cndmask_b32_e64 v88, v69, v66, s2
	v_or_b32_e32 v77, 2, v78
	v_cndmask_b32_e64 v81, v81, v95, s6
	v_cndmask_b32_e64 v87, v87, v98, s6
	;; [unrolled: 1-line block ×4, first 2 shown]
	v_cmp_eq_u32_e64 s9, 5, v78
	v_cndmask_b32_e64 v81, v81, v71, s8
	v_cndmask_b32_e64 v87, v87, v85, s8
	v_cmp_eq_u32_e64 s10, 4, v79
	v_cndmask_b32_e64 v88, v88, v95, s7
	v_cmp_eq_u32_e64 s4, 1, v77
	v_cndmask_b32_e64 v89, v89, v84, s5
	v_cndmask_b32_e64 v81, v81, v96, s9
	v_cmp_eq_u32_e64 s11, 6, v78
	v_cndmask_b32_e64 v88, v88, v71, s10
	;; [unrolled: 3-line block ×3, first 2 shown]
	v_cndmask_b32_e64 v89, v89, v98, s7
	v_cndmask_b32_e64 v81, v81, v72, s11
	v_cmp_eq_u32_e64 s13, 7, v78
	v_cndmask_b32_e64 v88, v88, v96, s12
	v_cndmask_b32_e64 v87, v87, v86, s11
	v_cmp_eq_u32_e64 s15, 6, v79
	v_cmp_eq_u32_e64 s16, 2, v77
	v_cndmask_b32_e64 v89, v89, v85, s10
	v_cndmask_b32_e64 v101, v81, v97, s13
	;; [unrolled: 1-line block ×6, first 2 shown]
	v_cmp_eq_u32_e64 s17, 7, v79
	v_cmp_eq_u32_e64 s18, 3, v77
	v_cmp_eq_u32_e64 s19, 4, v77
	v_cmp_eq_u32_e64 s21, 5, v77
	v_cndmask_b32_e64 v87, v87, v84, s16
	v_cndmask_b32_e64 v103, v88, v97, s17
	;; [unrolled: 1-line block ×4, first 2 shown]
	v_or_b32_e32 v81, 3, v78
	v_cndmask_b32_e64 v93, v87, v98, s18
	v_cmp_eq_u32_e64 s23, 6, v77
	v_cndmask_b32_e64 v104, v88, v86, s15
	v_cndmask_b32_e64 v92, v89, v71, s19
	v_cmp_eq_u32_e64 s20, 1, v81
	ds_load_b128 v[87:90], v82 offset:1024
	v_cmp_eq_u32_e64 s22, 2, v81
	v_cmp_eq_u32_e64 s24, 3, v81
	v_cndmask_b32_e64 v105, v92, v96, s21
	v_cndmask_b32_e64 v66, v69, v66, s20
	;; [unrolled: 1-line block ×4, first 2 shown]
	ds_load_b128 v[91:94], v82 offset:1040
	v_cmp_eq_u32_e64 s25, 4, v81
	v_cndmask_b32_e64 v66, v66, v70, s22
	v_cmp_eq_u32_e64 s26, 7, v77
	v_cndmask_b32_e64 v70, v83, v84, s22
	v_cndmask_b32_e64 v84, v105, v72, s23
	v_cmp_eq_u32_e64 s27, 5, v81
	v_cndmask_b32_e64 v66, v66, v95, s24
	v_cmp_eq_u32_e64 s28, 6, v81
	v_cndmask_b32_e64 v70, v70, v98, s24
	v_cndmask_b32_e64 v69, v69, v99, s21
	v_cndmask_b32_e64 v83, v104, v100, s17
	v_cndmask_b32_e64 v66, v66, v71, s25
	s_waitcnt lgkmcnt(1)
	v_lshrrev_b32_e32 v95, 16, v87
	v_cndmask_b32_e64 v70, v70, v85, s25
	v_cndmask_b32_e64 v71, v84, v97, s26
	;; [unrolled: 1-line block ×4, first 2 shown]
	v_cndmask_b32_e32 v84, v87, v95, vcc_lo
	v_cndmask_b32_e64 v70, v70, v99, s27
	s_waitcnt lgkmcnt(0)
	v_lshrrev_b32_e32 v85, 16, v91
	v_lshrrev_b32_e32 v96, 16, v88
	v_cndmask_b32_e64 v98, v87, v95, s2
	v_cndmask_b32_e64 v84, v84, v88, s3
	;; [unrolled: 1-line block ×3, first 2 shown]
	v_cndmask_b32_e32 v99, v91, v85, vcc_lo
	v_cmp_eq_u32_e32 vcc_lo, 7, v81
	v_cndmask_b32_e64 v66, v66, v72, s28
	v_cndmask_b32_e64 v72, v84, v96, s6
	;; [unrolled: 1-line block ×3, first 2 shown]
	v_lshrrev_b32_e32 v98, 16, v92
	v_cndmask_b32_e32 v70, v70, v100, vcc_lo
	v_cndmask_b32_e64 v86, v99, v92, s3
	v_cndmask_b32_e64 v69, v69, v100, s26
	v_lshrrev_b32_e32 v100, 16, v93
	v_cndmask_b32_e64 v72, v72, v89, s8
	v_lshrrev_b32_e32 v99, 16, v89
	v_cndmask_b32_e64 v86, v86, v98, s6
	v_perm_b32 v71, v69, v71, 0x5040100
	v_cndmask_b32_e64 v84, v84, v96, s7
	s_delay_alu instid0(VALU_DEP_3) | instskip(NEXT) | instid1(VALU_DEP_2)
	v_cndmask_b32_e64 v86, v86, v93, s8
	v_cndmask_b32_e64 v84, v84, v89, s10
	s_delay_alu instid0(VALU_DEP_2) | instskip(NEXT) | instid1(VALU_DEP_1)
	v_cndmask_b32_e64 v86, v86, v100, s9
	v_cndmask_b32_e64 v69, v86, v94, s11
	;; [unrolled: 1-line block ×5, first 2 shown]
	s_delay_alu instid0(VALU_DEP_3) | instskip(NEXT) | instid1(VALU_DEP_3)
	v_cndmask_b32_e64 v86, v86, v88, s16
	v_cndmask_b32_e64 v87, v87, v88, s22
	s_delay_alu instid0(VALU_DEP_3) | instskip(NEXT) | instid1(VALU_DEP_3)
	v_cndmask_b32_e64 v88, v95, v92, s22
	v_cndmask_b32_e64 v86, v86, v96, s18
	;; [unrolled: 3-line block ×7, first 2 shown]
	s_delay_alu instid0(VALU_DEP_3) | instskip(SKIP_2) | instid1(VALU_DEP_2)
	v_cndmask_b32_e64 v88, v88, v94, s28
	v_cndmask_b32_e32 v66, v66, v97, vcc_lo
	v_cndmask_b32_e64 v97, v72, v99, s9
	v_perm_b32 v72, v70, v66, 0x5040100
	v_perm_b32 v70, v83, v103, 0x5040100
	v_cndmask_b32_e64 v103, v91, v85, s4
	v_cndmask_b32_e64 v85, v91, v85, s2
	;; [unrolled: 1-line block ×4, first 2 shown]
	v_lshrrev_b32_e32 v97, 16, v90
	v_cndmask_b32_e64 v91, v103, v92, s16
	v_cndmask_b32_e64 v85, v85, v92, s5
	v_cndmask_b32_e64 v66, v66, v90, s15
	s_mov_b32 s2, exec_lo
	v_cndmask_b32_e64 v83, v84, v97, s13
	v_cndmask_b32_e64 v91, v91, v98, s18
	;; [unrolled: 1-line block ×3, first 2 shown]
	v_lshrrev_b32_e32 v84, 16, v94
	v_cndmask_b32_e64 v66, v66, v97, s17
	v_cndmask_b32_e64 v90, v86, v97, s26
	;; [unrolled: 1-line block ×4, first 2 shown]
	v_dual_cndmask_b32 v86, v87, v97 :: v_dual_cndmask_b32 v87, v88, v84
	v_cndmask_b32_e64 v91, v69, v84, s13
	s_delay_alu instid0(VALU_DEP_4) | instskip(NEXT) | instid1(VALU_DEP_4)
	v_cndmask_b32_e64 v89, v89, v100, s21
	v_cndmask_b32_e64 v85, v85, v100, s12
	v_perm_b32 v69, v102, v101, 0x5040100
	v_perm_b32 v86, v87, v86, 0x5040100
	;; [unrolled: 1-line block ×3, first 2 shown]
	v_cndmask_b32_e64 v89, v89, v94, s23
	v_cndmask_b32_e64 v85, v85, v94, s15
	s_mul_i32 s7, s35, 12
	s_delay_alu instid0(VALU_DEP_2) | instskip(NEXT) | instid1(VALU_DEP_2)
	v_cndmask_b32_e64 v88, v89, v84, s26
	v_cndmask_b32_e64 v89, v85, v84, s17
	s_delay_alu instid0(VALU_DEP_2) | instskip(NEXT) | instid1(VALU_DEP_2)
	v_perm_b32 v85, v88, v90, 0x5040100
	v_perm_b32 v84, v89, v66, 0x5040100
	ds_store_b128 v76, v[69:72]
	ds_store_b128 v76, v[83:86] offset:1024
	v_cmpx_gt_u32_e32 12, v0
	s_cbranch_execz .LBB1801_78
; %bb.77:
	s_mul_i32 s3, s7, s30
	s_load_b128 s[8:11], s[0:1], 0x58
	v_add3_u32 v69, s3, s29, v65
	s_delay_alu instid0(VALU_DEP_1) | instskip(NEXT) | instid1(VALU_DEP_1)
	v_mad_u64_u32 v[65:66], null, v69, s34, s[14:15]
	v_ashrrev_i32_e32 v66, 31, v65
	s_delay_alu instid0(VALU_DEP_1) | instskip(SKIP_1) | instid1(VALU_DEP_1)
	v_lshlrev_b64 v[65:66], 2, v[65:66]
	s_waitcnt lgkmcnt(0)
	v_add_co_u32 v69, vcc_lo, s10, v65
	s_delay_alu instid0(VALU_DEP_2)
	v_add_co_ci_u32_e32 v70, vcc_lo, s11, v66, vcc_lo
	v_add_co_u32 v65, vcc_lo, s8, v65
	v_add_co_ci_u32_e32 v66, vcc_lo, s9, v66, vcc_lo
	global_store_b32 v[69:70], v67, off
	global_store_b32 v[65:66], v68, off
.LBB1801_78:
	s_or_b32 exec_lo, exec_lo, s2
	s_waitcnt lgkmcnt(0)
	s_waitcnt_vscnt null, 0x0
	s_barrier
	buffer_gl0_inv
	ds_load_b128 v[83:86], v80
	ds_load_b128 v[87:90], v80 offset:16
	ds_load_b128 v[95:98], v80 offset:2064
	;; [unrolled: 1-line block ×3, first 2 shown]
	v_mov_b32_e32 v65, 0
	ds_load_b128 v[103:106], v80 offset:4112
	ds_load_b128 v[99:102], v80 offset:4096
	ds_load_b128 v[111:114], v80 offset:6160
	ds_load_b128 v[107:110], v80 offset:6144
	v_mov_b32_e32 v66, v65
	v_mov_b32_e32 v67, v65
	;; [unrolled: 1-line block ×7, first 2 shown]
	s_waitcnt lgkmcnt(6)
	s_delay_alu instid0(VALU_DEP_1)
	v_wmma_f32_16x16x16_bf16 v[65:72], v[49:56], v[83:90], v[65:72]
	ds_load_b128 v[53:56], v80 offset:8208
	ds_load_b128 v[49:52], v80 offset:8192
	s_waitcnt lgkmcnt(6)
	v_wmma_f32_16x16x16_bf16 v[65:72], v[41:48], v[91:98], v[65:72]
	ds_load_b128 v[45:48], v80 offset:10256
	ds_load_b128 v[41:44], v80 offset:10240
	s_waitcnt lgkmcnt(6)
	v_wmma_f32_16x16x16_bf16 v[65:72], v[33:40], v[99:106], v[65:72]
	ds_load_b128 v[37:40], v80 offset:12304
	ds_load_b128 v[33:36], v80 offset:12288
	s_waitcnt lgkmcnt(6)
	v_wmma_f32_16x16x16_bf16 v[65:72], v[25:32], v[107:114], v[65:72]
	ds_load_b128 v[29:32], v80 offset:14352
	ds_load_b128 v[25:28], v80 offset:14336
	s_waitcnt lgkmcnt(6)
	v_wmma_f32_16x16x16_bf16 v[65:72], v[1:8], v[49:56], v[65:72]
	s_waitcnt lgkmcnt(4)
	s_delay_alu instid0(VALU_DEP_1) | instskip(SKIP_1) | instid1(VALU_DEP_1)
	v_wmma_f32_16x16x16_bf16 v[65:72], v[9:16], v[41:48], v[65:72]
	s_waitcnt lgkmcnt(2)
	v_wmma_f32_16x16x16_bf16 v[65:72], v[17:24], v[33:40], v[65:72]
	s_waitcnt lgkmcnt(0)
	s_delay_alu instid0(VALU_DEP_1) | instskip(NEXT) | instid1(VALU_DEP_1)
	v_wmma_f32_16x16x16_bf16 v[65:72], v[57:64], v[25:32], v[65:72]
	v_and_b32_e32 v1, 0x7f800000, v65
	s_delay_alu instid0(VALU_DEP_1) | instskip(SKIP_1) | instid1(SALU_CYCLE_1)
	v_cmp_ne_u32_e32 vcc_lo, 0x7f800000, v1
                                        ; implicit-def: $vgpr1
	s_and_saveexec_b32 s2, vcc_lo
	s_xor_b32 s2, exec_lo, s2
; %bb.79:
	v_bfe_u32 v1, v65, 16, 1
	s_delay_alu instid0(VALU_DEP_1)
	v_add3_u32 v1, v65, v1, 0x7fff
; %bb.80:
	s_and_not1_saveexec_b32 s2, s2
; %bb.81:
	v_and_b32_e32 v1, 0xffff, v65
	v_or_b32_e32 v2, 0x10000, v65
	s_delay_alu instid0(VALU_DEP_2) | instskip(NEXT) | instid1(VALU_DEP_2)
	v_cmp_eq_u32_e32 vcc_lo, 0, v1
	v_cndmask_b32_e32 v1, v2, v65, vcc_lo
; %bb.82:
	s_or_b32 exec_lo, exec_lo, s2
	v_and_b32_e32 v2, 0x7f800000, v66
	s_delay_alu instid0(VALU_DEP_1) | instskip(SKIP_1) | instid1(SALU_CYCLE_1)
	v_cmp_ne_u32_e32 vcc_lo, 0x7f800000, v2
                                        ; implicit-def: $vgpr2
	s_and_saveexec_b32 s2, vcc_lo
	s_xor_b32 s2, exec_lo, s2
; %bb.83:
	v_bfe_u32 v2, v66, 16, 1
	s_delay_alu instid0(VALU_DEP_1)
	v_add3_u32 v2, v66, v2, 0x7fff
; %bb.84:
	s_and_not1_saveexec_b32 s2, s2
; %bb.85:
	v_and_b32_e32 v2, 0xffff, v66
	v_or_b32_e32 v3, 0x10000, v66
	s_delay_alu instid0(VALU_DEP_2) | instskip(NEXT) | instid1(VALU_DEP_2)
	v_cmp_eq_u32_e32 vcc_lo, 0, v2
	v_cndmask_b32_e32 v2, v3, v66, vcc_lo
; %bb.86:
	s_or_b32 exec_lo, exec_lo, s2
	v_and_b32_e32 v3, 0x7f800000, v67
	s_delay_alu instid0(VALU_DEP_1) | instskip(SKIP_1) | instid1(SALU_CYCLE_1)
	v_cmp_ne_u32_e32 vcc_lo, 0x7f800000, v3
                                        ; implicit-def: $vgpr3
	s_and_saveexec_b32 s2, vcc_lo
	s_xor_b32 s2, exec_lo, s2
; %bb.87:
	v_bfe_u32 v3, v67, 16, 1
	s_delay_alu instid0(VALU_DEP_1)
	v_add3_u32 v3, v67, v3, 0x7fff
; %bb.88:
	s_and_not1_saveexec_b32 s2, s2
; %bb.89:
	v_and_b32_e32 v3, 0xffff, v67
	v_or_b32_e32 v4, 0x10000, v67
	s_delay_alu instid0(VALU_DEP_2) | instskip(NEXT) | instid1(VALU_DEP_2)
	v_cmp_eq_u32_e32 vcc_lo, 0, v3
	v_cndmask_b32_e32 v3, v4, v67, vcc_lo
; %bb.90:
	s_or_b32 exec_lo, exec_lo, s2
	v_and_b32_e32 v4, 0x7f800000, v68
	s_delay_alu instid0(VALU_DEP_1) | instskip(SKIP_1) | instid1(SALU_CYCLE_1)
	v_cmp_ne_u32_e32 vcc_lo, 0x7f800000, v4
                                        ; implicit-def: $vgpr4
	s_and_saveexec_b32 s2, vcc_lo
	s_xor_b32 s2, exec_lo, s2
; %bb.91:
	v_bfe_u32 v4, v68, 16, 1
	s_delay_alu instid0(VALU_DEP_1)
	v_add3_u32 v4, v68, v4, 0x7fff
; %bb.92:
	s_and_not1_saveexec_b32 s2, s2
; %bb.93:
	v_and_b32_e32 v4, 0xffff, v68
	v_or_b32_e32 v5, 0x10000, v68
	s_delay_alu instid0(VALU_DEP_2) | instskip(NEXT) | instid1(VALU_DEP_2)
	v_cmp_eq_u32_e32 vcc_lo, 0, v4
	v_cndmask_b32_e32 v4, v5, v68, vcc_lo
; %bb.94:
	s_or_b32 exec_lo, exec_lo, s2
	v_and_b32_e32 v5, 0x7f800000, v69
	s_delay_alu instid0(VALU_DEP_1) | instskip(SKIP_1) | instid1(SALU_CYCLE_1)
	v_cmp_ne_u32_e32 vcc_lo, 0x7f800000, v5
                                        ; implicit-def: $vgpr5
	s_and_saveexec_b32 s2, vcc_lo
	s_xor_b32 s2, exec_lo, s2
; %bb.95:
	v_bfe_u32 v5, v69, 16, 1
	s_delay_alu instid0(VALU_DEP_1)
	v_add3_u32 v5, v69, v5, 0x7fff
; %bb.96:
	s_and_not1_saveexec_b32 s2, s2
; %bb.97:
	v_and_b32_e32 v5, 0xffff, v69
	v_or_b32_e32 v6, 0x10000, v69
	s_delay_alu instid0(VALU_DEP_2) | instskip(NEXT) | instid1(VALU_DEP_2)
	v_cmp_eq_u32_e32 vcc_lo, 0, v5
	v_cndmask_b32_e32 v5, v6, v69, vcc_lo
; %bb.98:
	s_or_b32 exec_lo, exec_lo, s2
	v_and_b32_e32 v6, 0x7f800000, v70
	s_delay_alu instid0(VALU_DEP_1) | instskip(SKIP_1) | instid1(SALU_CYCLE_1)
	v_cmp_ne_u32_e32 vcc_lo, 0x7f800000, v6
                                        ; implicit-def: $vgpr6
	s_and_saveexec_b32 s2, vcc_lo
	s_xor_b32 s2, exec_lo, s2
; %bb.99:
	v_bfe_u32 v6, v70, 16, 1
	s_delay_alu instid0(VALU_DEP_1)
	v_add3_u32 v6, v70, v6, 0x7fff
; %bb.100:
	s_and_not1_saveexec_b32 s2, s2
; %bb.101:
	v_and_b32_e32 v6, 0xffff, v70
	v_or_b32_e32 v7, 0x10000, v70
	s_delay_alu instid0(VALU_DEP_2) | instskip(NEXT) | instid1(VALU_DEP_2)
	v_cmp_eq_u32_e32 vcc_lo, 0, v6
	v_cndmask_b32_e32 v6, v7, v70, vcc_lo
; %bb.102:
	s_or_b32 exec_lo, exec_lo, s2
	v_and_b32_e32 v7, 0x7f800000, v71
	s_delay_alu instid0(VALU_DEP_1) | instskip(SKIP_1) | instid1(SALU_CYCLE_1)
	v_cmp_ne_u32_e32 vcc_lo, 0x7f800000, v7
                                        ; implicit-def: $vgpr7
	s_and_saveexec_b32 s2, vcc_lo
	s_xor_b32 s2, exec_lo, s2
; %bb.103:
	v_bfe_u32 v7, v71, 16, 1
	s_delay_alu instid0(VALU_DEP_1)
	v_add3_u32 v7, v71, v7, 0x7fff
; %bb.104:
	s_and_not1_saveexec_b32 s2, s2
; %bb.105:
	v_and_b32_e32 v7, 0xffff, v71
	v_or_b32_e32 v8, 0x10000, v71
	s_delay_alu instid0(VALU_DEP_2) | instskip(NEXT) | instid1(VALU_DEP_2)
	v_cmp_eq_u32_e32 vcc_lo, 0, v7
	v_cndmask_b32_e32 v7, v8, v71, vcc_lo
; %bb.106:
	s_or_b32 exec_lo, exec_lo, s2
	v_and_b32_e32 v8, 0x7f800000, v72
	s_delay_alu instid0(VALU_DEP_1) | instskip(SKIP_1) | instid1(SALU_CYCLE_1)
	v_cmp_ne_u32_e32 vcc_lo, 0x7f800000, v8
                                        ; implicit-def: $vgpr8
	s_and_saveexec_b32 s2, vcc_lo
	s_xor_b32 s2, exec_lo, s2
; %bb.107:
	v_bfe_u32 v8, v72, 16, 1
	s_delay_alu instid0(VALU_DEP_1)
	v_add3_u32 v8, v72, v8, 0x7fff
                                        ; implicit-def: $vgpr65_vgpr66_vgpr67_vgpr68_vgpr69_vgpr70_vgpr71_vgpr72
; %bb.108:
	s_and_not1_saveexec_b32 s2, s2
; %bb.109:
	v_and_b32_e32 v8, 0xffff, v72
	v_or_b32_e32 v9, 0x10000, v72
	s_delay_alu instid0(VALU_DEP_2) | instskip(NEXT) | instid1(VALU_DEP_2)
	v_cmp_eq_u32_e32 vcc_lo, 0, v8
	v_cndmask_b32_e32 v8, v9, v72, vcc_lo
; %bb.110:
	s_or_b32 exec_lo, exec_lo, s2
	s_delay_alu instid0(VALU_DEP_1)
	v_perm_b32 v7, v8, v7, 0x7060302
	v_perm_b32 v6, v6, v5, 0x7060302
	;; [unrolled: 1-line block ×4, first 2 shown]
	s_barrier
	buffer_gl0_inv
	v_cmp_eq_u32_e32 vcc_lo, 1, v78
	ds_store_b128 v76, v[4:7]
	s_waitcnt lgkmcnt(0)
	s_barrier
	buffer_gl0_inv
	ds_load_b128 v[1:4], v82
	ds_load_b128 v[5:8], v82 offset:16
	v_cmp_eq_u32_e64 s2, 1, v79
	v_cmp_eq_u32_e64 s3, 2, v78
	;; [unrolled: 1-line block ×5, first 2 shown]
	s_waitcnt lgkmcnt(1)
	v_lshrrev_b32_e32 v9, 16, v1
	s_waitcnt lgkmcnt(0)
	v_lshrrev_b32_e32 v13, 16, v5
	v_lshrrev_b32_e32 v10, 16, v2
	;; [unrolled: 1-line block ×4, first 2 shown]
	v_cndmask_b32_e64 v19, v1, v9, s2
	v_cndmask_b32_e32 v18, v5, v13, vcc_lo
	v_cndmask_b32_e64 v20, v5, v13, s2
	v_cndmask_b32_e32 v17, v1, v9, vcc_lo
	v_cmp_eq_u32_e32 vcc_lo, 2, v79
	v_lshrrev_b32_e32 v15, 16, v7
	v_cmp_eq_u32_e64 s2, 1, v77
	v_lshrrev_b32_e32 v12, 16, v4
	v_lshrrev_b32_e32 v16, 16, v8
	v_cndmask_b32_e32 v20, v20, v6, vcc_lo
	v_cndmask_b32_e64 v17, v17, v2, s3
	v_cndmask_b32_e32 v19, v19, v2, vcc_lo
	v_cndmask_b32_e64 v18, v18, v6, s3
	v_cmp_eq_u32_e32 vcc_lo, 4, v78
	v_cmp_eq_u32_e64 s3, 3, v79
	v_cndmask_b32_e64 v17, v17, v10, s4
	v_cndmask_b32_e64 v21, v1, v9, s2
	;; [unrolled: 1-line block ×5, first 2 shown]
	v_cndmask_b32_e32 v17, v17, v3, vcc_lo
	v_cndmask_b32_e64 v20, v20, v14, s3
	v_cndmask_b32_e32 v18, v18, v7, vcc_lo
	v_cmp_eq_u32_e32 vcc_lo, 4, v79
	v_cmp_eq_u32_e64 s3, 5, v79
	v_cmp_eq_u32_e64 s2, 2, v81
	v_cndmask_b32_e64 v21, v21, v2, s6
	v_cmp_eq_u32_e64 s4, 5, v78
	v_cndmask_b32_e32 v19, v19, v3, vcc_lo
	v_cndmask_b32_e32 v20, v20, v7, vcc_lo
	v_cmp_eq_u32_e32 vcc_lo, 6, v79
	s_delay_alu instid0(VALU_DEP_4) | instskip(NEXT) | instid1(VALU_DEP_4)
	v_cndmask_b32_e64 v17, v17, v11, s4
	v_cndmask_b32_e64 v19, v19, v11, s3
	s_delay_alu instid0(VALU_DEP_4) | instskip(SKIP_1) | instid1(VALU_DEP_3)
	v_cndmask_b32_e64 v20, v20, v15, s3
	v_cmp_eq_u32_e64 s3, 1, v81
	v_cndmask_b32_e32 v19, v19, v4, vcc_lo
	v_cndmask_b32_e64 v18, v18, v15, s4
	s_delay_alu instid0(VALU_DEP_3)
	v_cndmask_b32_e64 v1, v1, v9, s3
	v_cndmask_b32_e64 v5, v5, v13, s3
	v_cmp_eq_u32_e64 s3, 3, v77
	v_cndmask_b32_e64 v13, v22, v6, s6
	v_cmp_eq_u32_e64 s6, 3, v81
	v_cndmask_b32_e64 v1, v1, v2, s2
	v_cndmask_b32_e64 v2, v5, v6, s2
	;; [unrolled: 1-line block ×3, first 2 shown]
	v_cmp_eq_u32_e64 s2, 4, v77
	v_cndmask_b32_e64 v6, v13, v14, s3
	v_cndmask_b32_e64 v1, v1, v10, s6
	v_cmp_eq_u32_e64 s3, 4, v81
	v_cndmask_b32_e64 v2, v2, v14, s6
	v_cndmask_b32_e64 v5, v9, v3, s2
	;; [unrolled: 3-line block ×3, first 2 shown]
	v_cndmask_b32_e64 v2, v2, v7, s3
	v_cmp_eq_u32_e64 s2, 5, v81
	v_cmp_eq_u32_e64 s4, 6, v78
	v_cndmask_b32_e64 v5, v5, v11, s6
	v_cmp_eq_u32_e64 s3, 6, v77
	v_cndmask_b32_e64 v3, v6, v15, s6
	v_cndmask_b32_e64 v1, v1, v11, s2
	v_cmp_eq_u32_e64 s6, 6, v81
	v_cndmask_b32_e64 v2, v2, v15, s2
	v_cndmask_b32_e64 v17, v17, v4, s4
	v_cndmask_b32_e64 v18, v18, v8, s4
	v_cmp_eq_u32_e64 s4, 7, v78
	v_cndmask_b32_e64 v5, v5, v4, s3
	;; [unrolled: 4-line block ×3, first 2 shown]
	v_cmp_eq_u32_e64 s3, 7, v77
	v_cndmask_b32_e32 v4, v20, v8, vcc_lo
	v_cndmask_b32_e64 v17, v17, v12, s4
	v_cndmask_b32_e64 v19, v19, v12, s5
	;; [unrolled: 1-line block ×8, first 2 shown]
	s_mov_b32 s2, exec_lo
	v_perm_b32 v4, v2, v1, 0x5040100
	v_perm_b32 v3, v3, v5, 0x5040100
	v_perm_b32 v2, v6, v19, 0x5040100
	v_perm_b32 v1, v7, v17, 0x5040100
	ds_store_b128 v76, v[1:4]
	s_waitcnt lgkmcnt(0)
	s_barrier
	buffer_gl0_inv
	v_cmpx_gt_u32_e32 32, v0
	s_cbranch_execz .LBB1801_2
; %bb.111:
	s_load_b64 s[0:1], s[0:1], 0x68
	v_lshlrev_b32_e32 v0, 10, v0
	s_lshl_b32 s4, s34, 7
	v_or_b32_e32 v3, s29, v74
	s_mul_i32 s2, s4, s30
	v_lshlrev_b32_e32 v1, 4, v75
	s_mul_i32 s2, s2, s7
	v_lshlrev_b32_e32 v2, 6, v74
	v_and_b32_e32 v0, 0x3800, v0
	s_ashr_i32 s3, s2, 31
	v_mul_lo_u32 v4, v3, s4
	s_lshl_b64 s[2:3], s[2:3], 1
	s_delay_alu instid0(VALU_DEP_2) | instskip(NEXT) | instid1(VALU_DEP_2)
	v_or3_b32 v16, v0, v1, v2
	v_ashrrev_i32_e32 v5, 31, v4
	ds_load_b128 v[0:3], v16
	s_waitcnt lgkmcnt(0)
	s_add_u32 s2, s0, s2
	s_addc_u32 s3, s1, s3
	s_lshl_b32 s0, s14, 7
	v_lshlrev_b64 v[5:6], 1, v[4:5]
	s_ashr_i32 s1, s0, 31
	s_delay_alu instid0(SALU_CYCLE_1) | instskip(NEXT) | instid1(SALU_CYCLE_1)
	s_lshl_b64 s[0:1], s[0:1], 1
	s_add_u32 s0, s2, s0
	s_addc_u32 s1, s3, s1
	s_lshl_b32 s2, s34, 8
	v_add_co_u32 v30, s0, s0, v73
	v_add_nc_u32_e32 v8, s2, v4
	v_add_co_ci_u32_e64 v31, null, s1, 0, s0
	s_delay_alu instid0(VALU_DEP_3) | instskip(NEXT) | instid1(VALU_DEP_3)
	v_add_co_u32 v12, vcc_lo, v30, v5
	v_add_nc_u32_e32 v10, s2, v8
	v_ashrrev_i32_e32 v9, 31, v8
	s_delay_alu instid0(VALU_DEP_4)
	v_add_co_ci_u32_e32 v13, vcc_lo, v31, v6, vcc_lo
	ds_load_b128 v[4:7], v16 offset:128
	v_ashrrev_i32_e32 v11, 31, v10
	v_lshlrev_b64 v[8:9], 1, v[8:9]
	v_add_nc_u32_e32 v14, s2, v10
	global_store_b128 v[12:13], v[0:3], off
	v_lshlrev_b64 v[0:1], 1, v[10:11]
	v_ashrrev_i32_e32 v15, 31, v14
	v_add_co_u32 v22, vcc_lo, v30, v8
	v_add_nc_u32_e32 v20, s2, v14
	v_add_co_ci_u32_e32 v23, vcc_lo, v31, v9, vcc_lo
	v_add_co_u32 v26, vcc_lo, v30, v0
	v_lshlrev_b64 v[24:25], 1, v[14:15]
	v_add_co_ci_u32_e32 v27, vcc_lo, v31, v1, vcc_lo
	ds_load_b128 v[0:3], v16 offset:256
	ds_load_b128 v[8:11], v16 offset:384
	;; [unrolled: 1-line block ×4, first 2 shown]
	v_add_nc_u32_e32 v28, s2, v20
	v_ashrrev_i32_e32 v21, 31, v20
	v_add_co_u32 v24, vcc_lo, v30, v24
	v_add_co_ci_u32_e32 v25, vcc_lo, v31, v25, vcc_lo
	s_delay_alu instid0(VALU_DEP_4) | instskip(NEXT) | instid1(VALU_DEP_4)
	v_ashrrev_i32_e32 v29, 31, v28
	v_lshlrev_b64 v[20:21], 1, v[20:21]
	s_delay_alu instid0(VALU_DEP_2) | instskip(NEXT) | instid1(VALU_DEP_2)
	v_lshlrev_b64 v[28:29], 1, v[28:29]
	v_add_co_u32 v20, vcc_lo, v30, v20
	s_delay_alu instid0(VALU_DEP_3) | instskip(NEXT) | instid1(VALU_DEP_3)
	v_add_co_ci_u32_e32 v21, vcc_lo, v31, v21, vcc_lo
	v_add_co_u32 v28, vcc_lo, v30, v28
	s_delay_alu instid0(VALU_DEP_4)
	v_add_co_ci_u32_e32 v29, vcc_lo, v31, v29, vcc_lo
	s_waitcnt lgkmcnt(4)
	global_store_b128 v[22:23], v[4:7], off
	s_waitcnt lgkmcnt(3)
	global_store_b128 v[26:27], v[0:3], off
	;; [unrolled: 2-line block ×5, first 2 shown]
	s_nop 0
	s_sendmsg sendmsg(MSG_DEALLOC_VGPRS)
	s_endpgm
	.section	.rodata,"a",@progbits
	.p2align	6, 0x0
	.amdhsa_kernel _Z39paged_attention_ll4mi_QKV_mfma16_kernelI14__hip_bfloat16hLN4vllm18Fp8KVCacheDataTypeE1EhLi16ELi128ELi256ELb1ELi12EL8MFMAType0EEvPKT_PKT0_S9_ifPKiSB_SB_iPKfiiiPfSE_PS4_PT2_iSD_SD_
		.amdhsa_group_segment_fixed_size 17472
		.amdhsa_private_segment_fixed_size 0
		.amdhsa_kernarg_size 400
		.amdhsa_user_sgpr_count 13
		.amdhsa_user_sgpr_dispatch_ptr 0
		.amdhsa_user_sgpr_queue_ptr 0
		.amdhsa_user_sgpr_kernarg_segment_ptr 1
		.amdhsa_user_sgpr_dispatch_id 0
		.amdhsa_user_sgpr_private_segment_size 0
		.amdhsa_wavefront_size32 1
		.amdhsa_uses_dynamic_stack 0
		.amdhsa_enable_private_segment 0
		.amdhsa_system_sgpr_workgroup_id_x 1
		.amdhsa_system_sgpr_workgroup_id_y 1
		.amdhsa_system_sgpr_workgroup_id_z 1
		.amdhsa_system_sgpr_workgroup_info 0
		.amdhsa_system_vgpr_workitem_id 0
		.amdhsa_next_free_vgpr 140
		.amdhsa_next_free_sgpr 36
		.amdhsa_reserve_vcc 1
		.amdhsa_float_round_mode_32 0
		.amdhsa_float_round_mode_16_64 0
		.amdhsa_float_denorm_mode_32 3
		.amdhsa_float_denorm_mode_16_64 3
		.amdhsa_dx10_clamp 1
		.amdhsa_ieee_mode 1
		.amdhsa_fp16_overflow 0
		.amdhsa_workgroup_processor_mode 1
		.amdhsa_memory_ordered 1
		.amdhsa_forward_progress 0
		.amdhsa_shared_vgpr_count 0
		.amdhsa_exception_fp_ieee_invalid_op 0
		.amdhsa_exception_fp_denorm_src 0
		.amdhsa_exception_fp_ieee_div_zero 0
		.amdhsa_exception_fp_ieee_overflow 0
		.amdhsa_exception_fp_ieee_underflow 0
		.amdhsa_exception_fp_ieee_inexact 0
		.amdhsa_exception_int_div_zero 0
	.end_amdhsa_kernel
	.section	.text._Z39paged_attention_ll4mi_QKV_mfma16_kernelI14__hip_bfloat16hLN4vllm18Fp8KVCacheDataTypeE1EhLi16ELi128ELi256ELb1ELi12EL8MFMAType0EEvPKT_PKT0_S9_ifPKiSB_SB_iPKfiiiPfSE_PS4_PT2_iSD_SD_,"axG",@progbits,_Z39paged_attention_ll4mi_QKV_mfma16_kernelI14__hip_bfloat16hLN4vllm18Fp8KVCacheDataTypeE1EhLi16ELi128ELi256ELb1ELi12EL8MFMAType0EEvPKT_PKT0_S9_ifPKiSB_SB_iPKfiiiPfSE_PS4_PT2_iSD_SD_,comdat
.Lfunc_end1801:
	.size	_Z39paged_attention_ll4mi_QKV_mfma16_kernelI14__hip_bfloat16hLN4vllm18Fp8KVCacheDataTypeE1EhLi16ELi128ELi256ELb1ELi12EL8MFMAType0EEvPKT_PKT0_S9_ifPKiSB_SB_iPKfiiiPfSE_PS4_PT2_iSD_SD_, .Lfunc_end1801-_Z39paged_attention_ll4mi_QKV_mfma16_kernelI14__hip_bfloat16hLN4vllm18Fp8KVCacheDataTypeE1EhLi16ELi128ELi256ELb1ELi12EL8MFMAType0EEvPKT_PKT0_S9_ifPKiSB_SB_iPKfiiiPfSE_PS4_PT2_iSD_SD_
                                        ; -- End function
	.section	.AMDGPU.csdata,"",@progbits
; Kernel info:
; codeLenInByte = 8956
; NumSgprs: 38
; NumVgprs: 140
; ScratchSize: 0
; MemoryBound: 0
; FloatMode: 240
; IeeeMode: 1
; LDSByteSize: 17472 bytes/workgroup (compile time only)
; SGPRBlocks: 4
; VGPRBlocks: 17
; NumSGPRsForWavesPerEU: 38
; NumVGPRsForWavesPerEU: 140
; Occupancy: 10
; WaveLimiterHint : 1
; COMPUTE_PGM_RSRC2:SCRATCH_EN: 0
; COMPUTE_PGM_RSRC2:USER_SGPR: 13
; COMPUTE_PGM_RSRC2:TRAP_HANDLER: 0
; COMPUTE_PGM_RSRC2:TGID_X_EN: 1
; COMPUTE_PGM_RSRC2:TGID_Y_EN: 1
; COMPUTE_PGM_RSRC2:TGID_Z_EN: 1
; COMPUTE_PGM_RSRC2:TIDIG_COMP_CNT: 0
	.section	.text._Z39paged_attention_ll4mi_QKV_mfma16_kernelI14__hip_bfloat16hLN4vllm18Fp8KVCacheDataTypeE1EhLi16ELi128ELi256ELb1ELi13EL8MFMAType0EEvPKT_PKT0_S9_ifPKiSB_SB_iPKfiiiPfSE_PS4_PT2_iSD_SD_,"axG",@progbits,_Z39paged_attention_ll4mi_QKV_mfma16_kernelI14__hip_bfloat16hLN4vllm18Fp8KVCacheDataTypeE1EhLi16ELi128ELi256ELb1ELi13EL8MFMAType0EEvPKT_PKT0_S9_ifPKiSB_SB_iPKfiiiPfSE_PS4_PT2_iSD_SD_,comdat
	.protected	_Z39paged_attention_ll4mi_QKV_mfma16_kernelI14__hip_bfloat16hLN4vllm18Fp8KVCacheDataTypeE1EhLi16ELi128ELi256ELb1ELi13EL8MFMAType0EEvPKT_PKT0_S9_ifPKiSB_SB_iPKfiiiPfSE_PS4_PT2_iSD_SD_ ; -- Begin function _Z39paged_attention_ll4mi_QKV_mfma16_kernelI14__hip_bfloat16hLN4vllm18Fp8KVCacheDataTypeE1EhLi16ELi128ELi256ELb1ELi13EL8MFMAType0EEvPKT_PKT0_S9_ifPKiSB_SB_iPKfiiiPfSE_PS4_PT2_iSD_SD_
	.globl	_Z39paged_attention_ll4mi_QKV_mfma16_kernelI14__hip_bfloat16hLN4vllm18Fp8KVCacheDataTypeE1EhLi16ELi128ELi256ELb1ELi13EL8MFMAType0EEvPKT_PKT0_S9_ifPKiSB_SB_iPKfiiiPfSE_PS4_PT2_iSD_SD_
	.p2align	8
	.type	_Z39paged_attention_ll4mi_QKV_mfma16_kernelI14__hip_bfloat16hLN4vllm18Fp8KVCacheDataTypeE1EhLi16ELi128ELi256ELb1ELi13EL8MFMAType0EEvPKT_PKT0_S9_ifPKiSB_SB_iPKfiiiPfSE_PS4_PT2_iSD_SD_,@function
_Z39paged_attention_ll4mi_QKV_mfma16_kernelI14__hip_bfloat16hLN4vllm18Fp8KVCacheDataTypeE1EhLi16ELi128ELi256ELb1ELi13EL8MFMAType0EEvPKT_PKT0_S9_ifPKiSB_SB_iPKfiiiPfSE_PS4_PT2_iSD_SD_: ; @_Z39paged_attention_ll4mi_QKV_mfma16_kernelI14__hip_bfloat16hLN4vllm18Fp8KVCacheDataTypeE1EhLi16ELi128ELi256ELb1ELi13EL8MFMAType0EEvPKT_PKT0_S9_ifPKiSB_SB_iPKfiiiPfSE_PS4_PT2_iSD_SD_
; %bb.0:
	s_load_b64 s[4:5], s[0:1], 0x30
	s_mov_b32 s30, s13
	s_waitcnt lgkmcnt(0)
	s_cmp_lg_u64 s[4:5], 0
	s_cselect_b32 s13, -1, 0
	s_ashr_i32 s31, s30, 31
	s_cmp_eq_u64 s[4:5], 0
	s_cbranch_scc1 .LBB1802_3
; %bb.1:
	s_lshl_b64 s[2:3], s[30:31], 2
	s_delay_alu instid0(SALU_CYCLE_1) | instskip(SKIP_4) | instid1(SALU_CYCLE_1)
	s_add_u32 s2, s4, s2
	s_addc_u32 s3, s5, s3
	s_load_b64 s[2:3], s[2:3], 0x0
	s_waitcnt lgkmcnt(0)
	s_sub_i32 s2, s3, s2
	s_cmp_eq_u32 s2, 1
	s_cselect_b32 s2, -1, 0
	s_delay_alu instid0(SALU_CYCLE_1)
	s_and_not1_b32 vcc_lo, exec_lo, s2
	s_cbranch_vccz .LBB1802_4
.LBB1802_2:
	s_nop 0
	s_sendmsg sendmsg(MSG_DEALLOC_VGPRS)
	s_endpgm
.LBB1802_3:
.LBB1802_4:
	s_load_b64 s[2:3], s[0:1], 0x28
	s_lshl_b64 s[6:7], s[30:31], 2
	s_waitcnt lgkmcnt(0)
	s_add_u32 s2, s2, s6
	s_addc_u32 s3, s3, s7
	s_lshl_b32 s12, s14, 8
	s_load_b32 s17, s[2:3], 0x0
	s_waitcnt lgkmcnt(0)
	s_cmp_ge_i32 s12, s17
	s_cbranch_scc1 .LBB1802_2
; %bb.5:
	s_clause 0x1
	s_load_b128 s[8:11], s[0:1], 0x8
	s_load_b64 s[2:3], s[0:1], 0x20
	s_and_not1_b32 vcc_lo, exec_lo, s13
	s_cbranch_vccnz .LBB1802_7
; %bb.6:
	s_add_u32 s4, s4, s6
	s_addc_u32 s5, s5, s7
	s_load_b32 s13, s[4:5], 0x0
	s_branch .LBB1802_8
.LBB1802_7:
	s_mov_b32 s13, s30
.LBB1802_8:
	s_load_b128 s[4:7], s[0:1], 0x48
	v_and_b32_e32 v65, 15, v0
	v_lshrrev_b32_e32 v66, 5, v0
	v_bfe_u32 v74, v0, 4, 1
	v_and_b32_e32 v67, 31, v0
	v_and_b32_e32 v75, 1, v0
	v_lshlrev_b32_e32 v2, 3, v65
	s_mul_i32 s31, s15, 13
	v_lshl_or_b32 v1, v66, 1, v74
	s_waitcnt lgkmcnt(0)
	s_mov_b32 s7, exec_lo
	v_lshlrev_b32_e32 v73, 1, v2
	s_delay_alu instid0(VALU_DEP_2)
	v_cmpx_gt_u32_e32 13, v1
	s_cbranch_execz .LBB1802_10
; %bb.9:
	s_load_b64 s[18:19], s[0:1], 0x0
	v_add_lshl_u32 v2, v1, s31, 7
	s_mul_hi_i32 s21, s13, s4
	s_mul_i32 s20, s13, s4
	v_lshlrev_b32_e32 v6, 10, v65
	s_lshl_b64 s[20:21], s[20:21], 1
	v_ashrrev_i32_e32 v3, 31, v2
	v_lshlrev_b32_e32 v1, 6, v1
	v_lshlrev_b32_e32 v7, 10, v75
	v_and_b32_e32 v6, 0x3800, v6
	s_delay_alu instid0(VALU_DEP_4) | instskip(NEXT) | instid1(VALU_DEP_2)
	v_lshlrev_b64 v[2:3], 1, v[2:3]
	v_or3_b32 v1, v6, v7, v1
	s_waitcnt lgkmcnt(0)
	s_add_u32 s4, s18, s20
	s_addc_u32 s13, s19, s21
	s_delay_alu instid0(VALU_DEP_2) | instskip(SKIP_1) | instid1(VALU_DEP_2)
	v_add_co_u32 v2, vcc_lo, s4, v2
	v_add_co_ci_u32_e32 v3, vcc_lo, s13, v3, vcc_lo
	v_add_co_u32 v2, vcc_lo, v2, v73
	s_delay_alu instid0(VALU_DEP_2)
	v_add_co_ci_u32_e32 v3, vcc_lo, 0, v3, vcc_lo
	global_load_b128 v[2:5], v[2:3], off
	s_waitcnt vmcnt(0)
	ds_store_b128 v1, v[2:5]
.LBB1802_10:
	s_or_b32 exec_lo, exec_lo, s7
	v_and_b32_e32 v1, 0xef, v0
	s_add_i32 s4, s17, 15
	s_clause 0x1
	s_load_b32 s7, s[0:1], 0x38
	s_load_b32 s18, s[0:1], 0x1c
	s_ashr_i32 s13, s4, 31
	v_add_nc_u32_e32 v1, s12, v1
	s_lshr_b32 s13, s13, 28
	s_waitcnt lgkmcnt(0)
	s_add_i32 s4, s4, s13
	s_barrier
	v_ashrrev_i32_e32 v2, 31, v1
	v_or_b32_e32 v3, 16, v1
	s_ashr_i32 s4, s4, 4
	v_cmp_gt_i32_e32 vcc_lo, s17, v1
	s_add_i32 s4, s4, -1
	v_lshrrev_b32_e32 v2, 28, v2
	buffer_gl0_inv
	s_mul_i32 s15, s15, s6
	v_add_nc_u32_e32 v4, v1, v2
	s_mul_i32 s20, s30, s7
	s_delay_alu instid0(SALU_CYCLE_1) | instskip(NEXT) | instid1(VALU_DEP_1)
	s_ashr_i32 s21, s20, 31
	v_ashrrev_i32_e32 v4, 4, v4
	v_add_nc_u32_e32 v2, v3, v2
	s_lshl_b64 s[20:21], s[20:21], 2
	s_delay_alu instid0(SALU_CYCLE_1) | instskip(NEXT) | instid1(VALU_DEP_2)
	s_add_u32 s13, s2, s20
	v_cndmask_b32_e32 v1, s4, v4, vcc_lo
	s_delay_alu instid0(VALU_DEP_2)
	v_ashrrev_i32_e32 v2, 4, v2
	v_cmp_gt_i32_e32 vcc_lo, s17, v3
	s_addc_u32 s16, s3, s21
	s_ashr_i32 s19, s15, 31
	s_add_u32 s26, s8, s15
	s_addc_u32 s27, s9, s19
	v_cndmask_b32_e32 v3, s4, v2, vcc_lo
	v_ashrrev_i32_e32 v2, 31, v1
	s_lshl_b32 s2, s14, 4
	s_delay_alu instid0(SALU_CYCLE_1) | instskip(NEXT) | instid1(VALU_DEP_2)
	s_ashr_i32 s3, s2, 31
	v_ashrrev_i32_e32 v4, 31, v3
	s_delay_alu instid0(VALU_DEP_2) | instskip(SKIP_1) | instid1(SALU_CYCLE_1)
	v_lshlrev_b64 v[1:2], 2, v[1:2]
	s_lshl_b64 s[2:3], s[2:3], 2
	s_add_u32 s2, s13, s2
	s_delay_alu instid0(VALU_DEP_2) | instskip(SKIP_1) | instid1(VALU_DEP_2)
	v_lshlrev_b64 v[3:4], 2, v[3:4]
	s_addc_u32 s3, s16, s3
	v_add_co_u32 v1, vcc_lo, s13, v1
	v_add_co_ci_u32_e32 v2, vcc_lo, s16, v2, vcc_lo
	s_delay_alu instid0(VALU_DEP_3) | instskip(NEXT) | instid1(VALU_DEP_4)
	v_add_co_u32 v3, vcc_lo, s13, v3
	v_add_co_ci_u32_e32 v4, vcc_lo, s16, v4, vcc_lo
	s_clause 0x1
	global_load_b32 v5, v[1:2], off
	global_load_b32 v3, v[3:4], off
	s_or_b32 s6, s12, 32
	v_cmp_gt_u32_e32 vcc_lo, 13, v65
	s_ashr_i32 s7, s6, 4
	s_cmp_lt_i32 s6, s17
	s_cselect_b32 s6, s7, s4
	s_delay_alu instid0(SALU_CYCLE_1) | instskip(NEXT) | instid1(SALU_CYCLE_1)
	s_ashr_i32 s7, s6, 31
	s_lshl_b64 s[6:7], s[6:7], 2
	s_delay_alu instid0(SALU_CYCLE_1) | instskip(SKIP_2) | instid1(SALU_CYCLE_1)
	s_add_u32 s6, s13, s6
	s_addc_u32 s7, s16, s7
	s_or_b32 s8, s12, 64
	s_ashr_i32 s9, s8, 4
	s_cmp_lt_i32 s8, s17
	s_cselect_b32 s8, s9, s4
	s_delay_alu instid0(SALU_CYCLE_1) | instskip(NEXT) | instid1(SALU_CYCLE_1)
	s_ashr_i32 s9, s8, 31
	s_lshl_b64 s[8:9], s[8:9], 2
	s_delay_alu instid0(SALU_CYCLE_1) | instskip(SKIP_2) | instid1(SALU_CYCLE_1)
	s_add_u32 s8, s13, s8
	s_addc_u32 s9, s16, s9
	s_or_b32 s20, s12, 0x60
	;; [unrolled: 10-line block ×4, first 2 shown]
	s_ashr_i32 s25, s24, 4
	s_cmp_lt_i32 s24, s17
	s_cselect_b32 s24, s25, s4
	s_delay_alu instid0(SALU_CYCLE_1) | instskip(NEXT) | instid1(SALU_CYCLE_1)
	s_ashr_i32 s25, s24, 31
	s_lshl_b64 s[24:25], s[24:25], 2
	s_delay_alu instid0(SALU_CYCLE_1)
	s_add_u32 s24, s13, s24
	s_addc_u32 s25, s16, s25
	s_clause 0x5
	s_load_b32 s28, s[2:3], 0x0
	s_load_b32 s29, s[6:7], 0x0
	;; [unrolled: 1-line block ×6, first 2 shown]
	s_mov_b32 s20, 0
	s_or_b32 s2, s12, 0xc0
	s_mov_b32 s21, s20
	s_mov_b32 s22, s20
	;; [unrolled: 1-line block ×5, first 2 shown]
	v_lshlrev_b32_e32 v1, 4, v0
	s_ashr_i32 s3, s2, 4
	s_cmp_lt_i32 s2, s17
	s_cselect_b32 s2, s3, s4
	s_delay_alu instid0(VALU_DEP_1) | instskip(SKIP_1) | instid1(SALU_CYCLE_1)
	v_and_b32_e32 v1, 0xf0, v1
	s_ashr_i32 s3, s2, 31
	s_lshl_b64 s[2:3], s[2:3], 2
	s_delay_alu instid0(VALU_DEP_1) | instskip(NEXT) | instid1(VALU_DEP_1)
	v_add_co_u32 v1, s26, s26, v1
	v_add_co_ci_u32_e64 v2, null, s27, 0, s26
	s_add_u32 s2, s13, s2
	s_addc_u32 s3, s16, s3
	s_or_b32 s6, s12, 0xe0
	s_mov_b32 s27, s20
	s_ashr_i32 s7, s6, 4
	s_cmp_lt_i32 s6, s17
	s_mov_b32 s26, s20
	v_dual_mov_b32 v107, s27 :: v_dual_mov_b32 v100, s20
	s_cselect_b32 s6, s7, s4
	v_mov_b32_e32 v106, s26
	s_ashr_i32 s7, s6, 31
	v_mov_b32_e32 v104, s24
	s_lshl_b64 s[6:7], s[6:7], 2
	v_dual_mov_b32 v103, s23 :: v_dual_mov_b32 v102, s22
	v_mov_b32_e32 v101, s21
	s_waitcnt vmcnt(1)
	v_mad_i64_i32 v[33:34], null, v5, s5, v[1:2]
	s_waitcnt vmcnt(0)
	v_mad_i64_i32 v[35:36], null, v3, s5, v[1:2]
	s_clause 0xf
	global_load_b128 v[1:4], v[33:34], off
	global_load_b128 v[5:8], v[33:34], off offset:256
	global_load_b128 v[9:12], v[35:36], off
	global_load_b128 v[13:16], v[35:36], off offset:256
	global_load_b128 v[17:20], v[33:34], off offset:512
	;; [unrolled: 1-line block ×13, first 2 shown]
	v_add_nc_u32_e32 v33, -13, v65
	v_lshlrev_b32_e32 v34, 4, v65
	s_delay_alu instid0(VALU_DEP_2) | instskip(SKIP_1) | instid1(VALU_DEP_3)
	v_cndmask_b32_e32 v33, v33, v65, vcc_lo
	v_mov_b32_e32 v105, s25
	v_lshl_or_b32 v41, v66, 8, v34
	s_delay_alu instid0(VALU_DEP_3)
	v_lshlrev_b32_e32 v72, 6, v33
	ds_load_b128 v[33:36], v72
	ds_load_b128 v[37:40], v72 offset:1024
	ds_load_b128 v[108:111], v72 offset:2048
	;; [unrolled: 1-line block ×3, first 2 shown]
	s_load_b32 s4, s[2:3], 0x0
	s_add_u32 s2, s13, s6
	s_addc_u32 s3, s16, s7
	ds_load_b128 v[116:119], v72 offset:4096
	ds_load_b128 v[120:123], v72 offset:5120
	s_load_b32 s2, s[2:3], 0x0
	s_add_u32 s6, s10, s15
	s_addc_u32 s7, s11, s19
	v_add_co_u32 v68, s6, s6, v41
	s_delay_alu instid0(VALU_DEP_1) | instskip(SKIP_1) | instid1(VALU_DEP_1)
	v_add_co_ci_u32_e64 v69, null, s7, 0, s6
	s_waitcnt lgkmcnt(0)
	v_mad_i64_i32 v[41:42], null, s28, s5, v[68:69]
	v_mad_i64_i32 v[70:71], null, s8, s5, v[68:69]
	;; [unrolled: 1-line block ×7, first 2 shown]
	s_clause 0x3
	global_load_b128 v[49:52], v[41:42], off
	global_load_b128 v[53:56], v[41:42], off offset:16
	global_load_b128 v[41:44], v[45:46], off
	global_load_b128 v[45:48], v[45:46], off offset:16
	s_waitcnt vmcnt(18)
	v_wmma_f32_16x16x16_bf16 v[124:131], v[1:8], v[33:40], v[100:107]
	s_waitcnt vmcnt(16)
	v_wmma_f32_16x16x16_bf16 v[100:107], v[9:16], v[33:40], v[100:107]
	s_clause 0x1
	global_load_b128 v[33:36], v[70:71], off
	global_load_b128 v[37:40], v[70:71], off offset:16
	v_mad_i64_i32 v[70:71], null, s2, s5, v[68:69]
	s_waitcnt vmcnt(16)
	v_wmma_f32_16x16x16_bf16 v[124:131], v[17:24], v[108:115], v[124:131]
	s_waitcnt vmcnt(14)
	v_wmma_f32_16x16x16_bf16 v[100:107], v[25:32], v[108:115], v[100:107]
	s_clause 0x7
	global_load_b128 v[25:28], v[132:133], off
	global_load_b128 v[29:32], v[132:133], off offset:16
	global_load_b128 v[1:4], v[134:135], off
	global_load_b128 v[5:8], v[134:135], off offset:16
	;; [unrolled: 2-line block ×4, first 2 shown]
	s_waitcnt vmcnt(20)
	v_wmma_f32_16x16x16_bf16 v[124:131], v[57:64], v[116:123], v[124:131]
	s_clause 0x1
	global_load_b128 v[57:60], v[70:71], off
	global_load_b128 v[61:64], v[70:71], off offset:16
	s_waitcnt vmcnt(20)
	v_wmma_f32_16x16x16_bf16 v[100:107], v[76:83], v[116:123], v[100:107]
	ds_load_b128 v[76:79], v72 offset:6144
	ds_load_b128 v[80:83], v72 offset:7168
	v_and_b32_e32 v68, 0xe0, v0
	v_mbcnt_lo_u32_b32 v69, -1, 0
	s_waitcnt vmcnt(0) lgkmcnt(0)
	s_barrier
	buffer_gl0_inv
	v_add_nc_u32_e32 v68, s12, v68
	v_xor_b32_e32 v70, 16, v69
	s_delay_alu instid0(VALU_DEP_2) | instskip(NEXT) | instid1(VALU_DEP_2)
	v_or_b32_e32 v68, v68, v74
	v_cmp_gt_i32_e32 vcc_lo, 32, v70
	s_delay_alu instid0(VALU_DEP_2)
	v_or_b32_e32 v71, 4, v68
	v_or_b32_e32 v72, 6, v68
	v_cmp_gt_i32_e64 s2, s17, v68
	v_or_b32_e32 v108, 8, v68
	v_wmma_f32_16x16x16_bf16 v[124:131], v[84:91], v[76:83], v[124:131]
	v_cndmask_b32_e32 v69, v69, v70, vcc_lo
	v_or_b32_e32 v70, 2, v68
	v_wmma_f32_16x16x16_bf16 v[100:107], v[92:99], v[76:83], v[100:107]
	v_or_b32_e32 v109, 10, v68
	v_dual_mul_f32 v82, s18, v127 :: v_dual_mul_f32 v79, s18, v130
	v_dual_mul_f32 v92, s18, v125 :: v_dual_mul_f32 v93, s18, v124
	s_delay_alu instid0(VALU_DEP_4)
	v_mul_f32_e32 v98, s18, v103
	v_cmp_gt_i32_e32 vcc_lo, s17, v70
	v_or_b32_e32 v89, 22, v68
	v_dual_mul_f32 v83, s18, v126 :: v_dual_mul_f32 v96, s18, v105
	v_cndmask_b32_e64 v93, 0xff7fffff, v93, s2
	v_cndmask_b32_e32 v92, 0xff7fffff, v92, vcc_lo
	v_cmp_gt_i32_e64 s3, s17, v71
	v_cmp_gt_i32_e64 s4, s17, v72
	v_or_b32_e32 v84, 12, v68
	v_or_b32_e32 v85, 14, v68
	v_dual_mul_f32 v80, s18, v129 :: v_dual_mul_f32 v81, s18, v128
	v_mul_f32_e32 v94, s18, v107
	v_cndmask_b32_e64 v71, 0xff7fffff, v83, s3
	v_cndmask_b32_e64 v72, 0xff7fffff, v82, s4
	v_cmp_gt_i32_e64 s5, s17, v108
	v_cmp_gt_i32_e64 s6, s17, v109
	;; [unrolled: 1-line block ×3, first 2 shown]
	v_lshlrev_b32_e32 v89, 2, v69
	v_max3_f32 v82, v93, 0xff7fffff, v92
	v_or_b32_e32 v86, 16, v68
	v_or_b32_e32 v87, 18, v68
	v_mul_f32_e32 v78, s18, v131
	v_cndmask_b32_e64 v81, 0xff7fffff, v81, s5
	v_cndmask_b32_e64 v80, 0xff7fffff, v80, s6
	v_max3_f32 v71, v82, v71, v72
	v_cmp_gt_i32_e64 s7, s17, v84
	v_cmp_gt_i32_e64 s8, s17, v85
	v_or_b32_e32 v88, 20, v68
	v_or_b32_e32 v90, 24, v68
	;; [unrolled: 1-line block ×5, first 2 shown]
	v_dual_mul_f32 v95, s18, v106 :: v_dual_mul_f32 v70, s18, v101
	v_dual_mul_f32 v99, s18, v102 :: v_dual_mul_f32 v68, s18, v100
	v_cndmask_b32_e64 v72, 0xff7fffff, v79, s7
	v_cndmask_b32_e64 v78, 0xff7fffff, v78, s8
	v_max3_f32 v71, v71, v81, v80
	v_cmp_gt_i32_e64 s9, s17, v86
	v_cmp_gt_i32_e64 s10, s17, v87
	;; [unrolled: 1-line block ×3, first 2 shown]
	v_mul_f32_e32 v97, s18, v104
	v_max3_f32 v71, v71, v72, v78
	v_cndmask_b32_e64 v68, 0xff7fffff, v68, s9
	v_cndmask_b32_e64 v70, 0xff7fffff, v70, s10
	;; [unrolled: 1-line block ×4, first 2 shown]
	v_cmp_gt_i32_e64 s13, s17, v90
	v_cmp_gt_i32_e64 s15, s17, v91
	v_max3_f32 v68, v71, v68, v70
	v_cmp_gt_i32_e64 s16, s17, v76
	v_cmp_gt_i32_e64 s17, s17, v77
	v_cndmask_b32_e64 v70, 0xff7fffff, v97, s13
	v_cndmask_b32_e64 v71, 0xff7fffff, v96, s15
	v_max3_f32 v68, v68, v72, v78
	v_cndmask_b32_e64 v72, 0xff7fffff, v95, s16
	v_cndmask_b32_e64 v76, 0xff7fffff, v94, s17
	s_delay_alu instid0(VALU_DEP_3) | instskip(NEXT) | instid1(VALU_DEP_1)
	v_max3_f32 v68, v68, v70, v71
	v_max3_f32 v68, v68, v72, v76
	ds_bpermute_b32 v69, v89, v68
	s_waitcnt lgkmcnt(0)
	v_max_f32_e32 v69, v69, v69
	s_delay_alu instid0(VALU_DEP_1) | instskip(NEXT) | instid1(VALU_DEP_1)
	v_max_f32_e32 v68, v68, v69
	v_fma_f32 v69, s18, v124, -v68
	v_fma_f32 v70, s18, v125, -v68
	;; [unrolled: 1-line block ×5, first 2 shown]
	s_delay_alu instid0(VALU_DEP_4) | instskip(NEXT) | instid1(VALU_DEP_4)
	v_dual_mul_f32 v69, 0x3fb8aa3b, v69 :: v_dual_mul_f32 v70, 0x3fb8aa3b, v70
	v_mul_f32_e32 v72, 0x3fb8aa3b, v72
	v_fma_f32 v78, s18, v130, -v68
	s_delay_alu instid0(VALU_DEP_4) | instskip(NEXT) | instid1(VALU_DEP_4)
	v_mul_f32_e32 v77, 0x3fb8aa3b, v76
	v_exp_f32_e32 v69, v69
	v_exp_f32_e32 v70, v70
	v_mul_f32_e32 v71, 0x3fb8aa3b, v71
	v_exp_f32_e32 v72, v72
	v_mul_f32_e32 v78, 0x3fb8aa3b, v78
	v_exp_f32_e32 v77, v77
	v_fma_f32 v81, s18, v105, -v68
	s_delay_alu instid0(VALU_DEP_2)
	v_exp_f32_e32 v78, v78
	v_cndmask_b32_e64 v80, 0, v69, s2
	v_cndmask_b32_e32 v76, 0, v70, vcc_lo
	v_exp_f32_e32 v71, v71
	v_fma_f32 v69, s18, v129, -v68
	v_cndmask_b32_e64 v85, 0, v72, s4
	v_add_f32_e32 v70, 0, v80
	s_delay_alu instid0(TRANS32_DEP_3)
	v_cndmask_b32_e64 v86, 0, v77, s5
	v_fma_f32 v77, s18, v101, -v68
	v_mul_f32_e32 v69, 0x3fb8aa3b, v69
	v_fma_f32 v72, s18, v100, -v68
	v_cndmask_b32_e64 v84, 0, v78, s7
	v_fma_f32 v78, s18, v103, -v68
	v_cndmask_b32_e64 v83, 0, v71, s3
	v_fma_f32 v71, s18, v131, -v68
	v_add_f32_e32 v70, v70, v76
	v_exp_f32_e32 v69, v69
	v_mul_f32_e32 v77, 0x3fb8aa3b, v77
	v_mul_f32_e32 v81, 0x3fb8aa3b, v81
	;; [unrolled: 1-line block ×3, first 2 shown]
	v_add_f32_e32 v70, v70, v83
	v_cmp_gt_u32_e64 s2, 16, v67
	v_exp_f32_e32 v77, v77
	v_exp_f32_e32 v81, v81
	;; [unrolled: 1-line block ×3, first 2 shown]
	v_cndmask_b32_e64 v87, 0, v69, s6
	v_add_f32_e32 v70, v70, v85
	s_delay_alu instid0(VALU_DEP_1) | instskip(SKIP_1) | instid1(VALU_DEP_2)
	v_dual_mul_f32 v72, 0x3fb8aa3b, v72 :: v_dual_add_f32 v69, v70, v86
	v_fma_f32 v70, s18, v102, -v68
	v_exp_f32_e32 v72, v72
	s_waitcnt_depctr 0xfff
	v_cndmask_b32_e64 v88, 0, v71, s8
	v_fma_f32 v71, s18, v104, -v68
	v_dual_add_f32 v69, v69, v87 :: v_dual_mul_f32 v70, 0x3fb8aa3b, v70
	s_delay_alu instid0(VALU_DEP_2) | instskip(NEXT) | instid1(VALU_DEP_2)
	v_dual_mul_f32 v78, 0x3fb8aa3b, v78 :: v_dual_mul_f32 v71, 0x3fb8aa3b, v71
	v_add_f32_e32 v69, v69, v84
	s_delay_alu instid0(VALU_DEP_3) | instskip(SKIP_1) | instid1(VALU_DEP_3)
	v_exp_f32_e32 v79, v70
	v_cndmask_b32_e64 v70, 0, v72, s9
	v_exp_f32_e32 v78, v78
	v_exp_f32_e32 v82, v71
	v_add_f32_e32 v72, v69, v88
	v_cndmask_b32_e64 v69, 0, v77, s10
	v_fma_f32 v77, s18, v106, -v68
	s_delay_alu instid0(VALU_DEP_3) | instskip(NEXT) | instid1(TRANS32_DEP_3)
	v_add_f32_e32 v72, v72, v70
	v_cndmask_b32_e64 v71, 0, v79, s11
	s_delay_alu instid0(VALU_DEP_3) | instskip(NEXT) | instid1(VALU_DEP_3)
	v_mul_f32_e32 v77, 0x3fb8aa3b, v77
	v_add_f32_e32 v79, v72, v69
	s_delay_alu instid0(TRANS32_DEP_2) | instskip(NEXT) | instid1(VALU_DEP_3)
	v_cndmask_b32_e64 v72, 0, v78, s12
	v_exp_f32_e32 v90, v77
	v_cndmask_b32_e64 v77, 0, v82, s13
	s_delay_alu instid0(VALU_DEP_3) | instskip(SKIP_1) | instid1(VALU_DEP_1)
	v_add_f32_e32 v78, v79, v71
	v_fma_f32 v79, s18, v107, -v68
	v_dual_add_f32 v82, v78, v72 :: v_dual_mul_f32 v79, 0x3fb8aa3b, v79
	v_cndmask_b32_e64 v78, 0, v81, s15
	s_delay_alu instid0(VALU_DEP_2) | instskip(NEXT) | instid1(VALU_DEP_3)
	v_add_f32_e32 v81, v82, v77
	v_exp_f32_e32 v82, v79
	s_delay_alu instid0(TRANS32_DEP_2) | instskip(NEXT) | instid1(VALU_DEP_2)
	v_cndmask_b32_e64 v79, 0, v90, s16
	v_add_f32_e32 v81, v81, v78
	s_delay_alu instid0(VALU_DEP_1) | instskip(SKIP_2) | instid1(VALU_DEP_1)
	v_add_f32_e32 v90, v81, v79
	s_waitcnt_depctr 0xfff
	v_cndmask_b32_e64 v81, 0, v82, s17
	v_add_f32_e32 v82, v90, v81
	ds_bpermute_b32 v89, v89, v82
	s_and_saveexec_b32 s3, s2
	s_cbranch_execz .LBB1802_12
; %bb.11:
	v_mul_u32_u24_e32 v67, 0x44, v66
	s_delay_alu instid0(VALU_DEP_1) | instskip(SKIP_1) | instid1(VALU_DEP_1)
	v_lshl_add_u32 v67, v65, 2, v67
	s_waitcnt lgkmcnt(0)
	v_dual_add_f32 v82, v82, v89 :: v_dual_add_nc_u32 v67, 0x4000, v67
	ds_store_2addr_b32 v67, v68, v82 offset1:136
.LBB1802_12:
	s_or_b32 exec_lo, exec_lo, s3
	v_lshlrev_b32_e32 v67, 2, v65
	s_waitcnt lgkmcnt(0)
	s_barrier
	buffer_gl0_inv
	v_cmp_eq_u32_e32 vcc_lo, 1, v66
	v_add_nc_u32_e32 v82, 0x4000, v67
	v_cmp_eq_u32_e64 s3, 2, v66
	v_cmp_eq_u32_e64 s5, 7, v66
	ds_load_2addr_b32 v[89:90], v82 offset1:17
	ds_load_2addr_b32 v[91:92], v82 offset0:34 offset1:51
	ds_load_2addr_b32 v[93:94], v82 offset0:68 offset1:85
	;; [unrolled: 1-line block ×4, first 2 shown]
	s_waitcnt lgkmcnt(4)
	v_max3_f32 v67, v89, 0xff7fffff, v90
	s_waitcnt lgkmcnt(3)
	s_delay_alu instid0(VALU_DEP_1) | instskip(SKIP_1) | instid1(VALU_DEP_1)
	v_max3_f32 v67, v67, v91, v92
	s_waitcnt lgkmcnt(2)
	v_max3_f32 v67, v67, v93, v94
	s_waitcnt lgkmcnt(1)
	s_delay_alu instid0(VALU_DEP_1) | instskip(NEXT) | instid1(VALU_DEP_1)
	v_max3_f32 v67, v67, v95, v96
	v_sub_f32_e32 v93, v93, v67
	s_delay_alu instid0(VALU_DEP_1) | instskip(NEXT) | instid1(VALU_DEP_1)
	v_dual_sub_f32 v68, v89, v67 :: v_dual_mul_f32 v103, 0x3fb8aa3b, v93
	v_mul_f32_e32 v68, 0x3fb8aa3b, v68
	s_delay_alu instid0(VALU_DEP_1)
	v_exp_f32_e32 v100, v68
	v_sub_f32_e32 v68, v92, v67
	v_sub_f32_e32 v99, v90, v67
	ds_load_2addr_b32 v[89:90], v82 offset0:170 offset1:187
	v_dual_mul_f32 v102, 0x3fb8aa3b, v68 :: v_dual_mul_f32 v99, 0x3fb8aa3b, v99
	s_waitcnt lgkmcnt(1)
	v_fma_f32 v68, v100, v97, 0
	s_delay_alu instid0(VALU_DEP_2) | instskip(NEXT) | instid1(VALU_DEP_2)
	v_exp_f32_e32 v102, v102
	v_exp_f32_e32 v99, v99
	s_waitcnt_depctr 0xfff
	v_fmac_f32_e32 v68, v99, v98
	v_sub_f32_e32 v91, v91, v67
	s_delay_alu instid0(VALU_DEP_1)
	v_mul_f32_e32 v101, 0x3fb8aa3b, v91
	ds_load_2addr_b32 v[91:92], v82 offset0:204 offset1:221
	v_sub_f32_e32 v97, v94, v67
	ds_load_2addr_b32 v[93:94], v82 offset0:238 offset1:255
	s_waitcnt lgkmcnt(0)
	v_exp_f32_e32 v101, v101
	s_barrier
	buffer_gl0_inv
	v_dual_fmac_f32 v68, v101, v89 :: v_dual_sub_f32 v89, v96, v67
	v_dual_sub_f32 v82, v95, v67 :: v_dual_mul_f32 v95, 0x3fb8aa3b, v97
	v_exp_f32_e32 v97, v103
	s_delay_alu instid0(VALU_DEP_2) | instskip(NEXT) | instid1(VALU_DEP_2)
	v_dual_fmac_f32 v68, v102, v90 :: v_dual_mul_f32 v89, 0x3fb8aa3b, v89
	v_mul_f32_e32 v82, 0x3fb8aa3b, v82
	s_delay_alu instid0(VALU_DEP_3) | instskip(NEXT) | instid1(VALU_DEP_2)
	v_exp_f32_e32 v95, v95
	v_exp_f32_e32 v89, v89
	s_delay_alu instid0(VALU_DEP_1)
	v_exp_f32_e32 v82, v82
	v_fmac_f32_e32 v68, v97, v91
	s_delay_alu instid0(TRANS32_DEP_3) | instid1(VALU_DEP_1)
	v_fmac_f32_e32 v68, v95, v92
	s_waitcnt_depctr 0xfff
	v_fmac_f32_e32 v68, v82, v93
	s_delay_alu instid0(VALU_DEP_1) | instskip(NEXT) | instid1(VALU_DEP_1)
	v_fmac_f32_e32 v68, v89, v94
	v_add_f32_e32 v90, 0x358637bd, v68
	s_delay_alu instid0(VALU_DEP_1) | instskip(NEXT) | instid1(VALU_DEP_1)
	v_div_scale_f32 v91, null, v90, v90, 1.0
	v_rcp_f32_e32 v92, v91
	s_waitcnt_depctr 0xfff
	v_fma_f32 v93, -v91, v92, 1.0
	s_delay_alu instid0(VALU_DEP_1) | instskip(SKIP_1) | instid1(VALU_DEP_2)
	v_dual_fmac_f32 v92, v93, v92 :: v_dual_cndmask_b32 v93, v100, v99
	v_cmp_eq_u32_e32 vcc_lo, 3, v66
	v_cndmask_b32_e64 v93, v93, v101, s3
	v_cmp_eq_u32_e64 s3, 4, v66
	s_delay_alu instid0(VALU_DEP_2) | instskip(SKIP_1) | instid1(VALU_DEP_2)
	v_cndmask_b32_e32 v93, v93, v102, vcc_lo
	v_cmp_eq_u32_e32 vcc_lo, 5, v66
	v_cndmask_b32_e64 v93, v93, v97, s3
	v_cmp_eq_u32_e64 s3, 6, v66
	s_delay_alu instid0(VALU_DEP_2) | instskip(SKIP_1) | instid1(VALU_DEP_1)
	v_cndmask_b32_e32 v93, v93, v95, vcc_lo
	v_div_scale_f32 v94, s4, 1.0, v90, 1.0
	s_mov_b32 vcc_lo, s4
	s_delay_alu instid0(VALU_DEP_2) | instskip(NEXT) | instid1(VALU_DEP_2)
	v_cndmask_b32_e64 v82, v93, v82, s3
	v_mul_f32_e32 v96, v94, v92
	s_mov_b32 s3, exec_lo
	s_delay_alu instid0(VALU_DEP_2) | instskip(NEXT) | instid1(VALU_DEP_2)
	v_cndmask_b32_e64 v82, v82, v89, s5
	v_fma_f32 v98, -v91, v96, v94
	s_delay_alu instid0(VALU_DEP_1) | instskip(NEXT) | instid1(VALU_DEP_1)
	v_fmac_f32_e32 v96, v98, v92
	v_fma_f32 v91, -v91, v96, v94
	s_delay_alu instid0(VALU_DEP_1) | instskip(NEXT) | instid1(VALU_DEP_1)
	v_div_fmas_f32 v91, v91, v92, v96
	v_div_fixup_f32 v90, v91, v90, 1.0
	s_delay_alu instid0(VALU_DEP_1) | instskip(NEXT) | instid1(VALU_DEP_1)
	v_mul_f32_e32 v82, v82, v90
	v_mul_f32_e32 v87, v82, v87
	;; [unrolled: 1-line block ×7, first 2 shown]
	v_dual_mul_f32 v86, v82, v83 :: v_dual_and_b32 v91, 0x7f800000, v90
	v_mul_f32_e32 v85, v82, v76
                                        ; implicit-def: $vgpr76
	s_delay_alu instid0(VALU_DEP_2)
	v_cmpx_ne_u32_e32 0x7f800000, v91
	s_xor_b32 s3, exec_lo, s3
; %bb.13:
	v_bfe_u32 v76, v90, 16, 1
	s_delay_alu instid0(VALU_DEP_1)
	v_add3_u32 v76, v90, v76, 0x7fff
                                        ; implicit-def: $vgpr90
; %bb.14:
	s_and_not1_saveexec_b32 s3, s3
; %bb.15:
	v_and_b32_e32 v76, 0xffff, v90
	v_or_b32_e32 v83, 0x10000, v90
	s_delay_alu instid0(VALU_DEP_2) | instskip(NEXT) | instid1(VALU_DEP_2)
	v_cmp_eq_u32_e32 vcc_lo, 0, v76
	v_cndmask_b32_e32 v76, v83, v90, vcc_lo
; %bb.16:
	s_or_b32 exec_lo, exec_lo, s3
	v_and_b32_e32 v83, 0x7f800000, v85
	s_delay_alu instid0(VALU_DEP_1) | instskip(SKIP_1) | instid1(SALU_CYCLE_1)
	v_cmp_ne_u32_e32 vcc_lo, 0x7f800000, v83
                                        ; implicit-def: $vgpr83
	s_and_saveexec_b32 s3, vcc_lo
	s_xor_b32 s3, exec_lo, s3
; %bb.17:
	v_bfe_u32 v83, v85, 16, 1
	s_delay_alu instid0(VALU_DEP_1)
	v_add3_u32 v83, v85, v83, 0x7fff
                                        ; implicit-def: $vgpr85
; %bb.18:
	s_and_not1_saveexec_b32 s3, s3
; %bb.19:
	v_and_b32_e32 v83, 0xffff, v85
	v_or_b32_e32 v90, 0x10000, v85
	s_delay_alu instid0(VALU_DEP_2) | instskip(NEXT) | instid1(VALU_DEP_2)
	v_cmp_eq_u32_e32 vcc_lo, 0, v83
	v_cndmask_b32_e32 v83, v90, v85, vcc_lo
; %bb.20:
	s_or_b32 exec_lo, exec_lo, s3
	v_and_b32_e32 v85, 0x7f800000, v86
	s_delay_alu instid0(VALU_DEP_1) | instskip(SKIP_1) | instid1(SALU_CYCLE_1)
	v_cmp_ne_u32_e32 vcc_lo, 0x7f800000, v85
                                        ; implicit-def: $vgpr85
	s_and_saveexec_b32 s3, vcc_lo
	s_xor_b32 s3, exec_lo, s3
; %bb.21:
	v_bfe_u32 v85, v86, 16, 1
	s_delay_alu instid0(VALU_DEP_1)
	v_add3_u32 v85, v86, v85, 0x7fff
                                        ; implicit-def: $vgpr86
; %bb.22:
	s_and_not1_saveexec_b32 s3, s3
; %bb.23:
	v_and_b32_e32 v85, 0xffff, v86
	v_or_b32_e32 v90, 0x10000, v86
	s_delay_alu instid0(VALU_DEP_2) | instskip(NEXT) | instid1(VALU_DEP_2)
	v_cmp_eq_u32_e32 vcc_lo, 0, v85
	v_cndmask_b32_e32 v85, v90, v86, vcc_lo
; %bb.24:
	s_or_b32 exec_lo, exec_lo, s3
	v_and_b32_e32 v86, 0x7f800000, v89
	s_delay_alu instid0(VALU_DEP_1) | instskip(SKIP_1) | instid1(SALU_CYCLE_1)
	v_cmp_ne_u32_e32 vcc_lo, 0x7f800000, v86
                                        ; implicit-def: $vgpr86
	s_and_saveexec_b32 s3, vcc_lo
	s_xor_b32 s3, exec_lo, s3
; %bb.25:
	v_bfe_u32 v86, v89, 16, 1
	s_delay_alu instid0(VALU_DEP_1)
	v_add3_u32 v86, v89, v86, 0x7fff
                                        ; implicit-def: $vgpr89
; %bb.26:
	s_and_not1_saveexec_b32 s3, s3
; %bb.27:
	v_and_b32_e32 v86, 0xffff, v89
	v_or_b32_e32 v90, 0x10000, v89
	s_delay_alu instid0(VALU_DEP_2) | instskip(NEXT) | instid1(VALU_DEP_2)
	v_cmp_eq_u32_e32 vcc_lo, 0, v86
	v_cndmask_b32_e32 v86, v90, v89, vcc_lo
; %bb.28:
	s_or_b32 exec_lo, exec_lo, s3
	v_and_b32_e32 v89, 0x7f800000, v88
	s_delay_alu instid0(VALU_DEP_1) | instskip(SKIP_1) | instid1(SALU_CYCLE_1)
	v_cmp_ne_u32_e32 vcc_lo, 0x7f800000, v89
                                        ; implicit-def: $vgpr89
	s_and_saveexec_b32 s3, vcc_lo
	s_xor_b32 s3, exec_lo, s3
; %bb.29:
	v_bfe_u32 v89, v88, 16, 1
	s_delay_alu instid0(VALU_DEP_1)
	v_add3_u32 v89, v88, v89, 0x7fff
                                        ; implicit-def: $vgpr88
; %bb.30:
	s_and_not1_saveexec_b32 s3, s3
; %bb.31:
	v_and_b32_e32 v89, 0xffff, v88
	v_or_b32_e32 v90, 0x10000, v88
	s_delay_alu instid0(VALU_DEP_2) | instskip(NEXT) | instid1(VALU_DEP_2)
	v_cmp_eq_u32_e32 vcc_lo, 0, v89
	v_cndmask_b32_e32 v89, v90, v88, vcc_lo
; %bb.32:
	s_or_b32 exec_lo, exec_lo, s3
	v_and_b32_e32 v88, 0x7f800000, v87
	s_delay_alu instid0(VALU_DEP_1) | instskip(SKIP_1) | instid1(SALU_CYCLE_1)
	v_cmp_ne_u32_e32 vcc_lo, 0x7f800000, v88
                                        ; implicit-def: $vgpr88
	s_and_saveexec_b32 s3, vcc_lo
	s_xor_b32 s3, exec_lo, s3
; %bb.33:
	v_bfe_u32 v88, v87, 16, 1
	s_delay_alu instid0(VALU_DEP_1)
	v_add3_u32 v88, v87, v88, 0x7fff
                                        ; implicit-def: $vgpr87
; %bb.34:
	s_and_not1_saveexec_b32 s3, s3
; %bb.35:
	v_and_b32_e32 v88, 0xffff, v87
	v_or_b32_e32 v90, 0x10000, v87
	s_delay_alu instid0(VALU_DEP_2) | instskip(NEXT) | instid1(VALU_DEP_2)
	v_cmp_eq_u32_e32 vcc_lo, 0, v88
	v_cndmask_b32_e32 v88, v90, v87, vcc_lo
; %bb.36:
	s_or_b32 exec_lo, exec_lo, s3
	v_and_b32_e32 v87, 0x7f800000, v84
	s_delay_alu instid0(VALU_DEP_1) | instskip(SKIP_1) | instid1(SALU_CYCLE_1)
	v_cmp_ne_u32_e32 vcc_lo, 0x7f800000, v87
                                        ; implicit-def: $vgpr87
	s_and_saveexec_b32 s3, vcc_lo
	s_xor_b32 s3, exec_lo, s3
; %bb.37:
	v_bfe_u32 v87, v84, 16, 1
	s_delay_alu instid0(VALU_DEP_1)
	v_add3_u32 v87, v84, v87, 0x7fff
                                        ; implicit-def: $vgpr84
; %bb.38:
	s_and_not1_saveexec_b32 s3, s3
; %bb.39:
	v_and_b32_e32 v87, 0xffff, v84
	v_or_b32_e32 v90, 0x10000, v84
	s_delay_alu instid0(VALU_DEP_2) | instskip(NEXT) | instid1(VALU_DEP_2)
	v_cmp_eq_u32_e32 vcc_lo, 0, v87
	v_cndmask_b32_e32 v87, v90, v84, vcc_lo
; %bb.40:
	s_or_b32 exec_lo, exec_lo, s3
	v_and_b32_e32 v84, 0x7f800000, v80
	s_delay_alu instid0(VALU_DEP_1) | instskip(SKIP_1) | instid1(SALU_CYCLE_1)
	v_cmp_ne_u32_e32 vcc_lo, 0x7f800000, v84
                                        ; implicit-def: $vgpr84
	s_and_saveexec_b32 s3, vcc_lo
	s_xor_b32 s3, exec_lo, s3
; %bb.41:
	v_bfe_u32 v84, v80, 16, 1
	s_delay_alu instid0(VALU_DEP_1)
	v_add3_u32 v84, v80, v84, 0x7fff
                                        ; implicit-def: $vgpr80
; %bb.42:
	s_and_not1_saveexec_b32 s3, s3
; %bb.43:
	v_and_b32_e32 v84, 0xffff, v80
	v_or_b32_e32 v90, 0x10000, v80
	s_delay_alu instid0(VALU_DEP_2) | instskip(NEXT) | instid1(VALU_DEP_2)
	v_cmp_eq_u32_e32 vcc_lo, 0, v84
	v_cndmask_b32_e32 v84, v90, v80, vcc_lo
; %bb.44:
	s_or_b32 exec_lo, exec_lo, s3
	s_load_b64 s[34:35], s[0:1], 0x94
	v_lshlrev_b32_e32 v91, 4, v74
	s_delay_alu instid0(VALU_DEP_2)
	v_perm_b32 v90, v84, v87, 0x7060302
	v_dual_mul_f32 v79, v82, v79 :: v_dual_lshlrev_b32 v80, 6, v65
	v_dual_mul_f32 v77, v82, v77 :: v_dual_lshlrev_b32 v92, 11, v66
	v_mul_f32_e32 v84, v82, v70
	v_perm_b32 v89, v88, v89, 0x7060302
	v_perm_b32 v88, v86, v85, 0x7060302
	v_perm_b32 v87, v83, v76, 0x7060302
	v_mul_f32_e32 v70, v82, v81
	v_or3_b32 v76, v91, v92, v80
	v_dual_mul_f32 v78, v82, v78 :: v_dual_and_b32 v85, 0x7f800000, v84
	v_mul_f32_e32 v83, v82, v72
	v_mul_f32_e32 v81, v82, v71
	;; [unrolled: 1-line block ×3, first 2 shown]
	s_mov_b32 s3, exec_lo
	ds_store_b128 v76, v[87:90]
                                        ; implicit-def: $vgpr69
	v_cmpx_ne_u32_e32 0x7f800000, v85
	s_xor_b32 s3, exec_lo, s3
; %bb.45:
	v_bfe_u32 v69, v84, 16, 1
	s_delay_alu instid0(VALU_DEP_1)
	v_add3_u32 v69, v84, v69, 0x7fff
                                        ; implicit-def: $vgpr84
; %bb.46:
	s_and_not1_saveexec_b32 s3, s3
; %bb.47:
	v_and_b32_e32 v69, 0xffff, v84
	v_or_b32_e32 v71, 0x10000, v84
	s_delay_alu instid0(VALU_DEP_2) | instskip(NEXT) | instid1(VALU_DEP_2)
	v_cmp_eq_u32_e32 vcc_lo, 0, v69
	v_cndmask_b32_e32 v69, v71, v84, vcc_lo
; %bb.48:
	s_or_b32 exec_lo, exec_lo, s3
	v_and_b32_e32 v71, 0x7f800000, v72
	s_delay_alu instid0(VALU_DEP_1) | instskip(SKIP_1) | instid1(SALU_CYCLE_1)
	v_cmp_ne_u32_e32 vcc_lo, 0x7f800000, v71
                                        ; implicit-def: $vgpr71
	s_and_saveexec_b32 s3, vcc_lo
	s_xor_b32 s3, exec_lo, s3
; %bb.49:
	v_bfe_u32 v71, v72, 16, 1
	s_delay_alu instid0(VALU_DEP_1)
	v_add3_u32 v71, v72, v71, 0x7fff
                                        ; implicit-def: $vgpr72
; %bb.50:
	s_and_not1_saveexec_b32 s3, s3
; %bb.51:
	v_and_b32_e32 v71, 0xffff, v72
	v_or_b32_e32 v82, 0x10000, v72
	s_delay_alu instid0(VALU_DEP_2) | instskip(NEXT) | instid1(VALU_DEP_2)
	v_cmp_eq_u32_e32 vcc_lo, 0, v71
	v_cndmask_b32_e32 v71, v82, v72, vcc_lo
; %bb.52:
	s_or_b32 exec_lo, exec_lo, s3
	v_and_b32_e32 v72, 0x7f800000, v81
	s_delay_alu instid0(VALU_DEP_1) | instskip(SKIP_1) | instid1(SALU_CYCLE_1)
	v_cmp_ne_u32_e32 vcc_lo, 0x7f800000, v72
                                        ; implicit-def: $vgpr72
	s_and_saveexec_b32 s3, vcc_lo
	s_xor_b32 s3, exec_lo, s3
; %bb.53:
	v_bfe_u32 v72, v81, 16, 1
	s_delay_alu instid0(VALU_DEP_1)
	v_add3_u32 v72, v81, v72, 0x7fff
                                        ; implicit-def: $vgpr81
; %bb.54:
	s_and_not1_saveexec_b32 s3, s3
; %bb.55:
	v_and_b32_e32 v72, 0xffff, v81
	v_or_b32_e32 v82, 0x10000, v81
	s_delay_alu instid0(VALU_DEP_2) | instskip(NEXT) | instid1(VALU_DEP_2)
	v_cmp_eq_u32_e32 vcc_lo, 0, v72
	v_cndmask_b32_e32 v72, v82, v81, vcc_lo
; %bb.56:
	s_or_b32 exec_lo, exec_lo, s3
	v_and_b32_e32 v81, 0x7f800000, v83
	s_delay_alu instid0(VALU_DEP_1) | instskip(SKIP_1) | instid1(SALU_CYCLE_1)
	v_cmp_ne_u32_e32 vcc_lo, 0x7f800000, v81
                                        ; implicit-def: $vgpr81
	s_and_saveexec_b32 s3, vcc_lo
	s_xor_b32 s3, exec_lo, s3
; %bb.57:
	v_bfe_u32 v81, v83, 16, 1
	s_delay_alu instid0(VALU_DEP_1)
	v_add3_u32 v81, v83, v81, 0x7fff
                                        ; implicit-def: $vgpr83
; %bb.58:
	s_and_not1_saveexec_b32 s3, s3
; %bb.59:
	v_and_b32_e32 v81, 0xffff, v83
	v_or_b32_e32 v82, 0x10000, v83
	s_delay_alu instid0(VALU_DEP_2) | instskip(NEXT) | instid1(VALU_DEP_2)
	v_cmp_eq_u32_e32 vcc_lo, 0, v81
	v_cndmask_b32_e32 v81, v82, v83, vcc_lo
; %bb.60:
	s_or_b32 exec_lo, exec_lo, s3
	v_and_b32_e32 v82, 0x7f800000, v77
	s_delay_alu instid0(VALU_DEP_1) | instskip(SKIP_1) | instid1(SALU_CYCLE_1)
	v_cmp_ne_u32_e32 vcc_lo, 0x7f800000, v82
                                        ; implicit-def: $vgpr82
	s_and_saveexec_b32 s3, vcc_lo
	s_xor_b32 s3, exec_lo, s3
; %bb.61:
	v_bfe_u32 v82, v77, 16, 1
	s_delay_alu instid0(VALU_DEP_1)
	v_add3_u32 v82, v77, v82, 0x7fff
                                        ; implicit-def: $vgpr77
; %bb.62:
	s_and_not1_saveexec_b32 s3, s3
; %bb.63:
	v_and_b32_e32 v82, 0xffff, v77
	v_or_b32_e32 v83, 0x10000, v77
	s_delay_alu instid0(VALU_DEP_2) | instskip(NEXT) | instid1(VALU_DEP_2)
	v_cmp_eq_u32_e32 vcc_lo, 0, v82
	v_cndmask_b32_e32 v82, v83, v77, vcc_lo
; %bb.64:
	s_or_b32 exec_lo, exec_lo, s3
	v_and_b32_e32 v77, 0x7f800000, v78
	s_delay_alu instid0(VALU_DEP_1) | instskip(SKIP_1) | instid1(SALU_CYCLE_1)
	v_cmp_ne_u32_e32 vcc_lo, 0x7f800000, v77
                                        ; implicit-def: $vgpr77
	s_and_saveexec_b32 s3, vcc_lo
	s_xor_b32 s3, exec_lo, s3
; %bb.65:
	v_bfe_u32 v77, v78, 16, 1
	s_delay_alu instid0(VALU_DEP_1)
	v_add3_u32 v77, v78, v77, 0x7fff
                                        ; implicit-def: $vgpr78
; %bb.66:
	s_and_not1_saveexec_b32 s3, s3
; %bb.67:
	v_and_b32_e32 v77, 0xffff, v78
	v_or_b32_e32 v83, 0x10000, v78
	s_delay_alu instid0(VALU_DEP_2) | instskip(NEXT) | instid1(VALU_DEP_2)
	v_cmp_eq_u32_e32 vcc_lo, 0, v77
	v_cndmask_b32_e32 v77, v83, v78, vcc_lo
; %bb.68:
	s_or_b32 exec_lo, exec_lo, s3
	v_and_b32_e32 v78, 0x7f800000, v79
	s_delay_alu instid0(VALU_DEP_1) | instskip(SKIP_1) | instid1(SALU_CYCLE_1)
	v_cmp_ne_u32_e32 vcc_lo, 0x7f800000, v78
                                        ; implicit-def: $vgpr78
	s_and_saveexec_b32 s3, vcc_lo
	s_xor_b32 s3, exec_lo, s3
; %bb.69:
	v_bfe_u32 v78, v79, 16, 1
	s_delay_alu instid0(VALU_DEP_1)
	v_add3_u32 v78, v79, v78, 0x7fff
                                        ; implicit-def: $vgpr79
; %bb.70:
	s_and_not1_saveexec_b32 s3, s3
; %bb.71:
	v_and_b32_e32 v78, 0xffff, v79
	v_or_b32_e32 v83, 0x10000, v79
	s_delay_alu instid0(VALU_DEP_2) | instskip(NEXT) | instid1(VALU_DEP_2)
	v_cmp_eq_u32_e32 vcc_lo, 0, v78
	v_cndmask_b32_e32 v78, v83, v79, vcc_lo
; %bb.72:
	s_or_b32 exec_lo, exec_lo, s3
	v_and_b32_e32 v79, 0x7f800000, v70
	s_delay_alu instid0(VALU_DEP_1) | instskip(SKIP_1) | instid1(SALU_CYCLE_1)
	v_cmp_ne_u32_e32 vcc_lo, 0x7f800000, v79
                                        ; implicit-def: $vgpr79
	s_and_saveexec_b32 s3, vcc_lo
	s_xor_b32 s3, exec_lo, s3
; %bb.73:
	v_bfe_u32 v79, v70, 16, 1
	s_delay_alu instid0(VALU_DEP_1)
	v_add3_u32 v79, v70, v79, 0x7fff
                                        ; implicit-def: $vgpr70
; %bb.74:
	s_and_not1_saveexec_b32 s3, s3
; %bb.75:
	v_and_b32_e32 v79, 0xffff, v70
	v_or_b32_e32 v83, 0x10000, v70
	s_delay_alu instid0(VALU_DEP_2) | instskip(NEXT) | instid1(VALU_DEP_2)
	v_cmp_eq_u32_e32 vcc_lo, 0, v79
	v_cndmask_b32_e32 v79, v83, v70, vcc_lo
; %bb.76:
	s_or_b32 exec_lo, exec_lo, s3
	s_delay_alu instid0(VALU_DEP_1)
	v_perm_b32 v86, v79, v78, 0x7060302
	v_perm_b32 v85, v77, v82, 0x7060302
	;; [unrolled: 1-line block ×4, first 2 shown]
	v_lshl_or_b32 v82, v66, 11, v80
	ds_store_b128 v76, v[83:86] offset:1024
	s_waitcnt lgkmcnt(0)
	s_barrier
	buffer_gl0_inv
	ds_load_b128 v[69:72], v82
	ds_load_b128 v[83:86], v82 offset:16
	s_waitcnt lgkmcnt(1)
	v_lshrrev_b32_e32 v66, 16, v69
	s_waitcnt lgkmcnt(0)
	v_lshrrev_b32_e32 v91, 16, v83
	v_lshlrev_b32_e32 v78, 2, v74
	v_lshrrev_b32_e32 v95, 16, v70
	v_lshrrev_b32_e32 v98, 16, v84
	;; [unrolled: 1-line block ×4, first 2 shown]
	v_cmp_eq_u32_e32 vcc_lo, 1, v78
	v_lshrrev_b32_e32 v97, 16, v72
	v_lshrrev_b32_e32 v100, 16, v86
	v_cndmask_b32_e32 v87, v83, v91, vcc_lo
	v_or_b32_e32 v79, 1, v78
	v_cndmask_b32_e32 v81, v69, v66, vcc_lo
	v_cmp_eq_u32_e64 s4, 2, v78
	v_cmp_eq_u32_e64 s7, 3, v78
	;; [unrolled: 1-line block ×5, first 2 shown]
	v_cndmask_b32_e64 v81, v81, v70, s4
	v_cndmask_b32_e64 v87, v87, v84, s4
	v_cmp_eq_u32_e64 s8, 3, v79
	v_cndmask_b32_e64 v88, v69, v66, s3
	v_or_b32_e32 v77, 2, v78
	v_cndmask_b32_e64 v81, v81, v95, s7
	v_cndmask_b32_e64 v87, v87, v98, s7
	;; [unrolled: 1-line block ×4, first 2 shown]
	v_cmp_eq_u32_e64 s10, 5, v78
	v_cndmask_b32_e64 v81, v81, v71, s9
	v_cndmask_b32_e64 v87, v87, v85, s9
	v_cmp_eq_u32_e64 s11, 4, v79
	v_cndmask_b32_e64 v88, v88, v95, s8
	v_cmp_eq_u32_e64 s5, 1, v77
	v_cndmask_b32_e64 v89, v89, v84, s6
	v_cndmask_b32_e64 v81, v81, v96, s10
	v_cmp_eq_u32_e64 s12, 6, v78
	v_cndmask_b32_e64 v88, v88, v71, s11
	;; [unrolled: 3-line block ×3, first 2 shown]
	v_cndmask_b32_e64 v89, v89, v98, s8
	v_cndmask_b32_e64 v81, v81, v72, s12
	v_cmp_eq_u32_e64 s15, 7, v78
	v_cndmask_b32_e64 v88, v88, v96, s13
	v_cndmask_b32_e64 v87, v87, v86, s12
	v_cmp_eq_u32_e64 s16, 6, v79
	v_cmp_eq_u32_e64 s17, 2, v77
	v_cndmask_b32_e64 v89, v89, v85, s11
	v_cndmask_b32_e64 v101, v81, v97, s15
	v_cndmask_b32_e64 v102, v87, v100, s15
	v_cndmask_b32_e64 v88, v88, v72, s16
	v_cndmask_b32_e64 v81, v90, v70, s17
	v_cndmask_b32_e64 v87, v83, v91, s5
	v_cmp_eq_u32_e64 s18, 7, v79
	v_cmp_eq_u32_e64 s19, 3, v77
	;; [unrolled: 1-line block ×4, first 2 shown]
	v_cndmask_b32_e64 v87, v87, v84, s17
	v_cndmask_b32_e64 v103, v88, v97, s18
	;; [unrolled: 1-line block ×4, first 2 shown]
	v_or_b32_e32 v81, 3, v78
	v_cndmask_b32_e64 v93, v87, v98, s19
	v_cmp_eq_u32_e64 s24, 6, v77
	v_cndmask_b32_e64 v104, v88, v86, s16
	v_cndmask_b32_e64 v92, v89, v71, s20
	v_cmp_eq_u32_e64 s21, 1, v81
	ds_load_b128 v[87:90], v82 offset:1024
	v_cmp_eq_u32_e64 s23, 2, v81
	v_cmp_eq_u32_e64 s25, 3, v81
	v_cndmask_b32_e64 v105, v92, v96, s22
	v_cndmask_b32_e64 v66, v69, v66, s21
	;; [unrolled: 1-line block ×4, first 2 shown]
	ds_load_b128 v[91:94], v82 offset:1040
	v_cmp_eq_u32_e64 s26, 4, v81
	v_cndmask_b32_e64 v66, v66, v70, s23
	v_cmp_eq_u32_e64 s27, 7, v77
	v_cndmask_b32_e64 v70, v83, v84, s23
	v_cndmask_b32_e64 v84, v105, v72, s24
	v_cmp_eq_u32_e64 s28, 5, v81
	v_cndmask_b32_e64 v66, v66, v95, s25
	v_cmp_eq_u32_e64 s29, 6, v81
	v_cndmask_b32_e64 v70, v70, v98, s25
	v_cndmask_b32_e64 v69, v69, v99, s22
	;; [unrolled: 1-line block ×4, first 2 shown]
	s_waitcnt lgkmcnt(1)
	v_lshrrev_b32_e32 v95, 16, v87
	v_cndmask_b32_e64 v70, v70, v85, s26
	v_cndmask_b32_e64 v71, v84, v97, s27
	;; [unrolled: 1-line block ×4, first 2 shown]
	v_cndmask_b32_e32 v84, v87, v95, vcc_lo
	v_cndmask_b32_e64 v70, v70, v99, s28
	s_waitcnt lgkmcnt(0)
	v_lshrrev_b32_e32 v85, 16, v91
	v_lshrrev_b32_e32 v96, 16, v88
	v_cndmask_b32_e64 v98, v87, v95, s3
	v_cndmask_b32_e64 v84, v84, v88, s4
	;; [unrolled: 1-line block ×3, first 2 shown]
	v_cndmask_b32_e32 v99, v91, v85, vcc_lo
	v_cmp_eq_u32_e32 vcc_lo, 7, v81
	v_cndmask_b32_e64 v66, v66, v72, s29
	v_cndmask_b32_e64 v72, v84, v96, s7
	;; [unrolled: 1-line block ×3, first 2 shown]
	v_lshrrev_b32_e32 v98, 16, v92
	v_cndmask_b32_e32 v70, v70, v100, vcc_lo
	v_cndmask_b32_e64 v86, v99, v92, s4
	v_cndmask_b32_e64 v69, v69, v100, s27
	v_lshrrev_b32_e32 v100, 16, v93
	v_cndmask_b32_e64 v72, v72, v89, s9
	v_lshrrev_b32_e32 v99, 16, v89
	v_cndmask_b32_e64 v86, v86, v98, s7
	v_perm_b32 v71, v69, v71, 0x5040100
	v_cndmask_b32_e64 v84, v84, v96, s8
	s_delay_alu instid0(VALU_DEP_3) | instskip(NEXT) | instid1(VALU_DEP_2)
	v_cndmask_b32_e64 v86, v86, v93, s9
	v_cndmask_b32_e64 v84, v84, v89, s11
	s_delay_alu instid0(VALU_DEP_2) | instskip(NEXT) | instid1(VALU_DEP_1)
	v_cndmask_b32_e64 v86, v86, v100, s10
	v_cndmask_b32_e64 v69, v86, v94, s12
	;; [unrolled: 1-line block ×5, first 2 shown]
	s_delay_alu instid0(VALU_DEP_3) | instskip(NEXT) | instid1(VALU_DEP_3)
	v_cndmask_b32_e64 v86, v86, v88, s17
	v_cndmask_b32_e64 v87, v87, v88, s23
	s_delay_alu instid0(VALU_DEP_3) | instskip(NEXT) | instid1(VALU_DEP_3)
	v_cndmask_b32_e64 v88, v95, v92, s23
	v_cndmask_b32_e64 v86, v86, v96, s19
	;; [unrolled: 3-line block ×7, first 2 shown]
	s_delay_alu instid0(VALU_DEP_3) | instskip(SKIP_2) | instid1(VALU_DEP_2)
	v_cndmask_b32_e64 v88, v88, v94, s29
	v_cndmask_b32_e32 v66, v66, v97, vcc_lo
	v_cndmask_b32_e64 v97, v72, v99, s10
	v_perm_b32 v72, v70, v66, 0x5040100
	v_perm_b32 v70, v83, v103, 0x5040100
	v_cndmask_b32_e64 v103, v91, v85, s5
	v_cndmask_b32_e64 v85, v91, v85, s3
	;; [unrolled: 1-line block ×4, first 2 shown]
	v_lshrrev_b32_e32 v97, 16, v90
	v_cndmask_b32_e64 v91, v103, v92, s17
	v_cndmask_b32_e64 v85, v85, v92, s6
	;; [unrolled: 1-line block ×3, first 2 shown]
	s_mov_b32 s3, exec_lo
	v_cndmask_b32_e64 v83, v84, v97, s15
	v_cndmask_b32_e64 v91, v91, v98, s19
	;; [unrolled: 1-line block ×3, first 2 shown]
	v_lshrrev_b32_e32 v84, 16, v94
	v_cndmask_b32_e64 v66, v66, v97, s18
	v_cndmask_b32_e64 v90, v86, v97, s27
	;; [unrolled: 1-line block ×4, first 2 shown]
	v_dual_cndmask_b32 v86, v87, v97 :: v_dual_cndmask_b32 v87, v88, v84
	v_cndmask_b32_e64 v91, v69, v84, s15
	s_delay_alu instid0(VALU_DEP_4) | instskip(NEXT) | instid1(VALU_DEP_4)
	v_cndmask_b32_e64 v89, v89, v100, s22
	v_cndmask_b32_e64 v85, v85, v100, s13
	v_perm_b32 v69, v102, v101, 0x5040100
	v_perm_b32 v86, v87, v86, 0x5040100
	;; [unrolled: 1-line block ×3, first 2 shown]
	v_cndmask_b32_e64 v89, v89, v94, s24
	v_cndmask_b32_e64 v85, v85, v94, s16
	s_mul_i32 s8, s35, 13
	s_delay_alu instid0(VALU_DEP_2) | instskip(NEXT) | instid1(VALU_DEP_2)
	v_cndmask_b32_e64 v88, v89, v84, s27
	v_cndmask_b32_e64 v89, v85, v84, s18
	s_delay_alu instid0(VALU_DEP_2) | instskip(NEXT) | instid1(VALU_DEP_2)
	v_perm_b32 v85, v88, v90, 0x5040100
	v_perm_b32 v84, v89, v66, 0x5040100
	ds_store_b128 v76, v[69:72]
	ds_store_b128 v76, v[83:86] offset:1024
	v_cmpx_gt_u32_e32 13, v0
	s_cbranch_execz .LBB1802_78
; %bb.77:
	s_mul_i32 s4, s8, s30
	s_delay_alu instid0(SALU_CYCLE_1) | instskip(SKIP_1) | instid1(VALU_DEP_1)
	v_add3_u32 v69, s4, s31, v65
	s_load_b128 s[4:7], s[0:1], 0x58
	v_mad_u64_u32 v[65:66], null, v69, s34, s[14:15]
	s_delay_alu instid0(VALU_DEP_1) | instskip(NEXT) | instid1(VALU_DEP_1)
	v_ashrrev_i32_e32 v66, 31, v65
	v_lshlrev_b64 v[65:66], 2, v[65:66]
	s_waitcnt lgkmcnt(0)
	s_delay_alu instid0(VALU_DEP_1) | instskip(NEXT) | instid1(VALU_DEP_2)
	v_add_co_u32 v69, vcc_lo, s6, v65
	v_add_co_ci_u32_e32 v70, vcc_lo, s7, v66, vcc_lo
	v_add_co_u32 v65, vcc_lo, s4, v65
	v_add_co_ci_u32_e32 v66, vcc_lo, s5, v66, vcc_lo
	global_store_b32 v[69:70], v67, off
	global_store_b32 v[65:66], v68, off
.LBB1802_78:
	s_or_b32 exec_lo, exec_lo, s3
	s_waitcnt lgkmcnt(0)
	s_waitcnt_vscnt null, 0x0
	s_barrier
	buffer_gl0_inv
	ds_load_b128 v[83:86], v80
	ds_load_b128 v[87:90], v80 offset:16
	ds_load_b128 v[95:98], v80 offset:2064
	;; [unrolled: 1-line block ×3, first 2 shown]
	v_mov_b32_e32 v65, 0
	ds_load_b128 v[103:106], v80 offset:4112
	ds_load_b128 v[99:102], v80 offset:4096
	;; [unrolled: 1-line block ×4, first 2 shown]
	v_mov_b32_e32 v66, v65
	v_mov_b32_e32 v67, v65
	;; [unrolled: 1-line block ×7, first 2 shown]
	s_waitcnt lgkmcnt(6)
	s_delay_alu instid0(VALU_DEP_1)
	v_wmma_f32_16x16x16_bf16 v[65:72], v[49:56], v[83:90], v[65:72]
	ds_load_b128 v[53:56], v80 offset:8208
	ds_load_b128 v[49:52], v80 offset:8192
	s_waitcnt lgkmcnt(6)
	v_wmma_f32_16x16x16_bf16 v[65:72], v[41:48], v[91:98], v[65:72]
	ds_load_b128 v[45:48], v80 offset:10256
	ds_load_b128 v[41:44], v80 offset:10240
	s_waitcnt lgkmcnt(6)
	;; [unrolled: 4-line block ×4, first 2 shown]
	v_wmma_f32_16x16x16_bf16 v[65:72], v[1:8], v[49:56], v[65:72]
	s_waitcnt lgkmcnt(4)
	s_delay_alu instid0(VALU_DEP_1) | instskip(SKIP_1) | instid1(VALU_DEP_1)
	v_wmma_f32_16x16x16_bf16 v[65:72], v[9:16], v[41:48], v[65:72]
	s_waitcnt lgkmcnt(2)
	v_wmma_f32_16x16x16_bf16 v[65:72], v[17:24], v[33:40], v[65:72]
	s_waitcnt lgkmcnt(0)
	s_delay_alu instid0(VALU_DEP_1) | instskip(NEXT) | instid1(VALU_DEP_1)
	v_wmma_f32_16x16x16_bf16 v[65:72], v[57:64], v[25:32], v[65:72]
	v_and_b32_e32 v1, 0x7f800000, v65
	s_delay_alu instid0(VALU_DEP_1) | instskip(SKIP_1) | instid1(SALU_CYCLE_1)
	v_cmp_ne_u32_e32 vcc_lo, 0x7f800000, v1
                                        ; implicit-def: $vgpr1
	s_and_saveexec_b32 s3, vcc_lo
	s_xor_b32 s3, exec_lo, s3
; %bb.79:
	v_bfe_u32 v1, v65, 16, 1
	s_delay_alu instid0(VALU_DEP_1)
	v_add3_u32 v1, v65, v1, 0x7fff
; %bb.80:
	s_and_not1_saveexec_b32 s3, s3
; %bb.81:
	v_and_b32_e32 v1, 0xffff, v65
	v_or_b32_e32 v2, 0x10000, v65
	s_delay_alu instid0(VALU_DEP_2) | instskip(NEXT) | instid1(VALU_DEP_2)
	v_cmp_eq_u32_e32 vcc_lo, 0, v1
	v_cndmask_b32_e32 v1, v2, v65, vcc_lo
; %bb.82:
	s_or_b32 exec_lo, exec_lo, s3
	v_and_b32_e32 v2, 0x7f800000, v66
	s_delay_alu instid0(VALU_DEP_1) | instskip(SKIP_1) | instid1(SALU_CYCLE_1)
	v_cmp_ne_u32_e32 vcc_lo, 0x7f800000, v2
                                        ; implicit-def: $vgpr2
	s_and_saveexec_b32 s3, vcc_lo
	s_xor_b32 s3, exec_lo, s3
; %bb.83:
	v_bfe_u32 v2, v66, 16, 1
	s_delay_alu instid0(VALU_DEP_1)
	v_add3_u32 v2, v66, v2, 0x7fff
; %bb.84:
	s_and_not1_saveexec_b32 s3, s3
; %bb.85:
	v_and_b32_e32 v2, 0xffff, v66
	v_or_b32_e32 v3, 0x10000, v66
	s_delay_alu instid0(VALU_DEP_2) | instskip(NEXT) | instid1(VALU_DEP_2)
	v_cmp_eq_u32_e32 vcc_lo, 0, v2
	v_cndmask_b32_e32 v2, v3, v66, vcc_lo
; %bb.86:
	s_or_b32 exec_lo, exec_lo, s3
	v_and_b32_e32 v3, 0x7f800000, v67
	s_delay_alu instid0(VALU_DEP_1) | instskip(SKIP_1) | instid1(SALU_CYCLE_1)
	v_cmp_ne_u32_e32 vcc_lo, 0x7f800000, v3
                                        ; implicit-def: $vgpr3
	s_and_saveexec_b32 s3, vcc_lo
	s_xor_b32 s3, exec_lo, s3
; %bb.87:
	v_bfe_u32 v3, v67, 16, 1
	s_delay_alu instid0(VALU_DEP_1)
	v_add3_u32 v3, v67, v3, 0x7fff
; %bb.88:
	s_and_not1_saveexec_b32 s3, s3
; %bb.89:
	v_and_b32_e32 v3, 0xffff, v67
	v_or_b32_e32 v4, 0x10000, v67
	s_delay_alu instid0(VALU_DEP_2) | instskip(NEXT) | instid1(VALU_DEP_2)
	v_cmp_eq_u32_e32 vcc_lo, 0, v3
	v_cndmask_b32_e32 v3, v4, v67, vcc_lo
; %bb.90:
	s_or_b32 exec_lo, exec_lo, s3
	v_and_b32_e32 v4, 0x7f800000, v68
	s_delay_alu instid0(VALU_DEP_1) | instskip(SKIP_1) | instid1(SALU_CYCLE_1)
	v_cmp_ne_u32_e32 vcc_lo, 0x7f800000, v4
                                        ; implicit-def: $vgpr4
	s_and_saveexec_b32 s3, vcc_lo
	s_xor_b32 s3, exec_lo, s3
; %bb.91:
	v_bfe_u32 v4, v68, 16, 1
	s_delay_alu instid0(VALU_DEP_1)
	v_add3_u32 v4, v68, v4, 0x7fff
; %bb.92:
	s_and_not1_saveexec_b32 s3, s3
; %bb.93:
	v_and_b32_e32 v4, 0xffff, v68
	v_or_b32_e32 v5, 0x10000, v68
	s_delay_alu instid0(VALU_DEP_2) | instskip(NEXT) | instid1(VALU_DEP_2)
	v_cmp_eq_u32_e32 vcc_lo, 0, v4
	v_cndmask_b32_e32 v4, v5, v68, vcc_lo
; %bb.94:
	s_or_b32 exec_lo, exec_lo, s3
	v_and_b32_e32 v5, 0x7f800000, v69
	s_delay_alu instid0(VALU_DEP_1) | instskip(SKIP_1) | instid1(SALU_CYCLE_1)
	v_cmp_ne_u32_e32 vcc_lo, 0x7f800000, v5
                                        ; implicit-def: $vgpr5
	s_and_saveexec_b32 s3, vcc_lo
	s_xor_b32 s3, exec_lo, s3
; %bb.95:
	v_bfe_u32 v5, v69, 16, 1
	s_delay_alu instid0(VALU_DEP_1)
	v_add3_u32 v5, v69, v5, 0x7fff
; %bb.96:
	s_and_not1_saveexec_b32 s3, s3
; %bb.97:
	v_and_b32_e32 v5, 0xffff, v69
	v_or_b32_e32 v6, 0x10000, v69
	s_delay_alu instid0(VALU_DEP_2) | instskip(NEXT) | instid1(VALU_DEP_2)
	v_cmp_eq_u32_e32 vcc_lo, 0, v5
	v_cndmask_b32_e32 v5, v6, v69, vcc_lo
; %bb.98:
	s_or_b32 exec_lo, exec_lo, s3
	v_and_b32_e32 v6, 0x7f800000, v70
	s_delay_alu instid0(VALU_DEP_1) | instskip(SKIP_1) | instid1(SALU_CYCLE_1)
	v_cmp_ne_u32_e32 vcc_lo, 0x7f800000, v6
                                        ; implicit-def: $vgpr6
	s_and_saveexec_b32 s3, vcc_lo
	s_xor_b32 s3, exec_lo, s3
; %bb.99:
	v_bfe_u32 v6, v70, 16, 1
	s_delay_alu instid0(VALU_DEP_1)
	v_add3_u32 v6, v70, v6, 0x7fff
; %bb.100:
	s_and_not1_saveexec_b32 s3, s3
; %bb.101:
	v_and_b32_e32 v6, 0xffff, v70
	v_or_b32_e32 v7, 0x10000, v70
	s_delay_alu instid0(VALU_DEP_2) | instskip(NEXT) | instid1(VALU_DEP_2)
	v_cmp_eq_u32_e32 vcc_lo, 0, v6
	v_cndmask_b32_e32 v6, v7, v70, vcc_lo
; %bb.102:
	s_or_b32 exec_lo, exec_lo, s3
	v_and_b32_e32 v7, 0x7f800000, v71
	s_delay_alu instid0(VALU_DEP_1) | instskip(SKIP_1) | instid1(SALU_CYCLE_1)
	v_cmp_ne_u32_e32 vcc_lo, 0x7f800000, v7
                                        ; implicit-def: $vgpr7
	s_and_saveexec_b32 s3, vcc_lo
	s_xor_b32 s3, exec_lo, s3
; %bb.103:
	v_bfe_u32 v7, v71, 16, 1
	s_delay_alu instid0(VALU_DEP_1)
	v_add3_u32 v7, v71, v7, 0x7fff
; %bb.104:
	s_and_not1_saveexec_b32 s3, s3
; %bb.105:
	v_and_b32_e32 v7, 0xffff, v71
	v_or_b32_e32 v8, 0x10000, v71
	s_delay_alu instid0(VALU_DEP_2) | instskip(NEXT) | instid1(VALU_DEP_2)
	v_cmp_eq_u32_e32 vcc_lo, 0, v7
	v_cndmask_b32_e32 v7, v8, v71, vcc_lo
; %bb.106:
	s_or_b32 exec_lo, exec_lo, s3
	v_and_b32_e32 v8, 0x7f800000, v72
	s_delay_alu instid0(VALU_DEP_1) | instskip(SKIP_1) | instid1(SALU_CYCLE_1)
	v_cmp_ne_u32_e32 vcc_lo, 0x7f800000, v8
                                        ; implicit-def: $vgpr8
	s_and_saveexec_b32 s3, vcc_lo
	s_xor_b32 s3, exec_lo, s3
; %bb.107:
	v_bfe_u32 v8, v72, 16, 1
	s_delay_alu instid0(VALU_DEP_1)
	v_add3_u32 v8, v72, v8, 0x7fff
                                        ; implicit-def: $vgpr65_vgpr66_vgpr67_vgpr68_vgpr69_vgpr70_vgpr71_vgpr72
; %bb.108:
	s_and_not1_saveexec_b32 s3, s3
; %bb.109:
	v_and_b32_e32 v8, 0xffff, v72
	v_or_b32_e32 v9, 0x10000, v72
	s_delay_alu instid0(VALU_DEP_2) | instskip(NEXT) | instid1(VALU_DEP_2)
	v_cmp_eq_u32_e32 vcc_lo, 0, v8
	v_cndmask_b32_e32 v8, v9, v72, vcc_lo
; %bb.110:
	s_or_b32 exec_lo, exec_lo, s3
	s_delay_alu instid0(VALU_DEP_1)
	v_perm_b32 v7, v8, v7, 0x7060302
	v_perm_b32 v6, v6, v5, 0x7060302
	;; [unrolled: 1-line block ×4, first 2 shown]
	s_barrier
	buffer_gl0_inv
	v_cmp_eq_u32_e32 vcc_lo, 1, v78
	ds_store_b128 v76, v[4:7]
	s_waitcnt lgkmcnt(0)
	s_barrier
	buffer_gl0_inv
	ds_load_b128 v[1:4], v82
	ds_load_b128 v[5:8], v82 offset:16
	v_cmp_eq_u32_e64 s3, 1, v79
	v_cmp_eq_u32_e64 s4, 2, v78
	;; [unrolled: 1-line block ×5, first 2 shown]
	s_waitcnt lgkmcnt(1)
	v_lshrrev_b32_e32 v9, 16, v1
	s_waitcnt lgkmcnt(0)
	v_lshrrev_b32_e32 v13, 16, v5
	v_lshrrev_b32_e32 v10, 16, v2
	;; [unrolled: 1-line block ×4, first 2 shown]
	v_cndmask_b32_e64 v19, v1, v9, s3
	v_cndmask_b32_e32 v18, v5, v13, vcc_lo
	v_cndmask_b32_e64 v20, v5, v13, s3
	v_cndmask_b32_e32 v17, v1, v9, vcc_lo
	v_cmp_eq_u32_e32 vcc_lo, 2, v79
	v_lshrrev_b32_e32 v15, 16, v7
	v_cmp_eq_u32_e64 s3, 1, v77
	v_lshrrev_b32_e32 v12, 16, v4
	v_lshrrev_b32_e32 v16, 16, v8
	v_cndmask_b32_e32 v20, v20, v6, vcc_lo
	v_cndmask_b32_e64 v17, v17, v2, s4
	v_cndmask_b32_e32 v19, v19, v2, vcc_lo
	v_cndmask_b32_e64 v18, v18, v6, s4
	v_cmp_eq_u32_e32 vcc_lo, 4, v78
	v_cmp_eq_u32_e64 s4, 3, v79
	v_cndmask_b32_e64 v17, v17, v10, s5
	v_cndmask_b32_e64 v21, v1, v9, s3
	;; [unrolled: 1-line block ×5, first 2 shown]
	v_cndmask_b32_e32 v17, v17, v3, vcc_lo
	v_cndmask_b32_e64 v20, v20, v14, s4
	v_cndmask_b32_e32 v18, v18, v7, vcc_lo
	v_cmp_eq_u32_e32 vcc_lo, 4, v79
	v_cmp_eq_u32_e64 s4, 5, v79
	v_cmp_eq_u32_e64 s3, 2, v81
	v_cndmask_b32_e64 v21, v21, v2, s7
	v_cmp_eq_u32_e64 s5, 5, v78
	v_cndmask_b32_e32 v19, v19, v3, vcc_lo
	v_cndmask_b32_e32 v20, v20, v7, vcc_lo
	v_cmp_eq_u32_e32 vcc_lo, 6, v79
	s_delay_alu instid0(VALU_DEP_4) | instskip(NEXT) | instid1(VALU_DEP_4)
	v_cndmask_b32_e64 v17, v17, v11, s5
	v_cndmask_b32_e64 v19, v19, v11, s4
	s_delay_alu instid0(VALU_DEP_4) | instskip(SKIP_1) | instid1(VALU_DEP_3)
	v_cndmask_b32_e64 v20, v20, v15, s4
	v_cmp_eq_u32_e64 s4, 1, v81
	v_cndmask_b32_e32 v19, v19, v4, vcc_lo
	v_cndmask_b32_e64 v18, v18, v15, s5
	s_delay_alu instid0(VALU_DEP_3)
	v_cndmask_b32_e64 v1, v1, v9, s4
	v_cndmask_b32_e64 v5, v5, v13, s4
	v_cmp_eq_u32_e64 s4, 3, v77
	v_cndmask_b32_e64 v13, v22, v6, s7
	v_cmp_eq_u32_e64 s7, 3, v81
	v_cndmask_b32_e64 v1, v1, v2, s3
	v_cndmask_b32_e64 v2, v5, v6, s3
	;; [unrolled: 1-line block ×3, first 2 shown]
	v_cmp_eq_u32_e64 s3, 4, v77
	v_cndmask_b32_e64 v6, v13, v14, s4
	v_cndmask_b32_e64 v1, v1, v10, s7
	v_cmp_eq_u32_e64 s4, 4, v81
	v_cndmask_b32_e64 v2, v2, v14, s7
	v_cndmask_b32_e64 v5, v9, v3, s3
	;; [unrolled: 3-line block ×3, first 2 shown]
	v_cndmask_b32_e64 v2, v2, v7, s4
	v_cmp_eq_u32_e64 s3, 5, v81
	v_cmp_eq_u32_e64 s5, 6, v78
	v_cndmask_b32_e64 v5, v5, v11, s7
	v_cmp_eq_u32_e64 s4, 6, v77
	v_cndmask_b32_e64 v3, v6, v15, s7
	v_cndmask_b32_e64 v1, v1, v11, s3
	v_cmp_eq_u32_e64 s7, 6, v81
	v_cndmask_b32_e64 v2, v2, v15, s3
	v_cndmask_b32_e64 v17, v17, v4, s5
	v_cndmask_b32_e64 v18, v18, v8, s5
	v_cmp_eq_u32_e64 s5, 7, v78
	v_cndmask_b32_e64 v5, v5, v4, s4
	;; [unrolled: 4-line block ×3, first 2 shown]
	v_cmp_eq_u32_e64 s4, 7, v77
	v_cndmask_b32_e32 v4, v20, v8, vcc_lo
	v_cndmask_b32_e64 v17, v17, v12, s5
	v_cndmask_b32_e64 v19, v19, v12, s6
	v_cndmask_b32_e64 v1, v1, v12, s3
	v_cndmask_b32_e64 v5, v5, v12, s4
	v_cndmask_b32_e64 v2, v2, v16, s3
	v_cndmask_b32_e64 v3, v3, v16, s4
	v_cndmask_b32_e64 v6, v4, v16, s6
	v_cndmask_b32_e64 v7, v18, v16, s5
	s_mov_b32 s3, exec_lo
	v_perm_b32 v4, v2, v1, 0x5040100
	v_perm_b32 v3, v3, v5, 0x5040100
	;; [unrolled: 1-line block ×4, first 2 shown]
	ds_store_b128 v76, v[1:4]
	s_waitcnt lgkmcnt(0)
	s_barrier
	buffer_gl0_inv
	v_cmpx_gt_u32_e32 32, v0
	s_cbranch_execz .LBB1802_2
; %bb.111:
	s_load_b64 s[4:5], s[0:1], 0x68
	v_lshlrev_b32_e32 v0, 10, v0
	v_lshlrev_b32_e32 v1, 4, v75
	s_lshl_b32 s0, s34, 7
	v_add_nc_u32_e32 v18, s31, v74
	s_mul_i32 s1, s0, s30
	s_delay_alu instid0(VALU_DEP_2) | instskip(SKIP_1) | instid1(VALU_DEP_2)
	v_and_or_b32 v0, 0x3800, v0, v1
	s_mul_i32 s6, s1, s8
	v_mul_lo_u32 v1, v18, s0
	s_ashr_i32 s7, s6, 31
	v_add_nc_u32_e32 v2, 2, v18
	v_lshl_or_b32 v19, v74, 6, v0
	s_lshl_b64 s[6:7], s[6:7], 1
	v_add_nc_u32_e32 v8, 4, v18
	v_add_nc_u32_e32 v15, 6, v18
	v_mul_lo_u32 v7, v2, s0
	ds_load_b128 v[3:6], v19
	v_ashrrev_i32_e32 v2, 31, v1
	v_mul_lo_u32 v11, v8, s0
	s_waitcnt lgkmcnt(0)
	s_add_u32 s1, s4, s6
	s_addc_u32 s3, s5, s7
	s_lshl_b32 s4, s14, 7
	v_lshlrev_b64 v[9:10], 1, v[1:2]
	s_ashr_i32 s5, s4, 31
	v_ashrrev_i32_e32 v8, 31, v7
	s_lshl_b64 s[4:5], s[4:5], 1
	v_ashrrev_i32_e32 v12, 31, v11
	s_add_u32 s1, s1, s4
	s_addc_u32 s3, s3, s5
	v_add_co_u32 v1, s1, s1, v73
	s_delay_alu instid0(VALU_DEP_1) | instskip(SKIP_1) | instid1(VALU_DEP_3)
	v_add_co_ci_u32_e64 v2, null, s3, 0, s1
	v_mul_lo_u32 v15, v15, s0
	v_add_co_u32 v13, vcc_lo, v1, v9
	s_delay_alu instid0(VALU_DEP_3)
	v_add_co_ci_u32_e32 v14, vcc_lo, v2, v10, vcc_lo
	v_lshlrev_b64 v[16:17], 1, v[7:8]
	ds_load_b128 v[7:10], v19 offset:128
	global_store_b128 v[13:14], v[3:6], off
	v_add_nc_u32_e32 v5, 8, v18
	v_lshlrev_b64 v[3:4], 1, v[11:12]
	v_add_co_u32 v23, vcc_lo, v1, v16
	v_ashrrev_i32_e32 v16, 31, v15
	s_delay_alu instid0(VALU_DEP_4) | instskip(SKIP_3) | instid1(VALU_DEP_3)
	v_mul_lo_u32 v25, v5, s0
	v_add_nc_u32_e32 v5, 10, v18
	v_add_co_ci_u32_e32 v24, vcc_lo, v2, v17, vcc_lo
	v_add_co_u32 v27, vcc_lo, v1, v3
	v_mul_lo_u32 v29, v5, s0
	v_add_co_ci_u32_e32 v28, vcc_lo, v2, v4, vcc_lo
	v_lshlrev_b64 v[31:32], 1, v[15:16]
	ds_load_b128 v[3:6], v19 offset:256
	ds_load_b128 v[11:14], v19 offset:384
	;; [unrolled: 1-line block ×4, first 2 shown]
	v_ashrrev_i32_e32 v26, 31, v25
	v_ashrrev_i32_e32 v30, 31, v29
	v_add_co_u32 v31, vcc_lo, v1, v31
	s_delay_alu instid0(VALU_DEP_3) | instskip(SKIP_1) | instid1(VALU_DEP_4)
	v_lshlrev_b64 v[25:26], 1, v[25:26]
	v_add_co_ci_u32_e32 v32, vcc_lo, v2, v32, vcc_lo
	v_lshlrev_b64 v[29:30], 1, v[29:30]
	s_delay_alu instid0(VALU_DEP_3) | instskip(NEXT) | instid1(VALU_DEP_4)
	v_add_co_u32 v25, vcc_lo, v1, v25
	v_add_co_ci_u32_e32 v26, vcc_lo, v2, v26, vcc_lo
	s_delay_alu instid0(VALU_DEP_3) | instskip(NEXT) | instid1(VALU_DEP_4)
	v_add_co_u32 v29, vcc_lo, v1, v29
	v_add_co_ci_u32_e32 v30, vcc_lo, v2, v30, vcc_lo
	s_waitcnt lgkmcnt(4)
	global_store_b128 v[23:24], v[7:10], off
	s_waitcnt lgkmcnt(3)
	global_store_b128 v[27:28], v[3:6], off
	s_waitcnt lgkmcnt(2)
	global_store_b128 v[31:32], v[11:14], off
	s_waitcnt lgkmcnt(1)
	global_store_b128 v[25:26], v[15:18], off
	s_waitcnt lgkmcnt(0)
	global_store_b128 v[29:30], v[19:22], off
	s_and_b32 exec_lo, exec_lo, s2
	s_cbranch_execz .LBB1802_2
; %bb.112:
	ds_load_b128 v[3:6], v0 offset:768
	s_add_i32 s1, s31, 12
	s_delay_alu instid0(SALU_CYCLE_1) | instskip(NEXT) | instid1(SALU_CYCLE_1)
	s_mul_i32 s0, s1, s0
	s_ashr_i32 s1, s0, 31
	s_delay_alu instid0(SALU_CYCLE_1) | instskip(NEXT) | instid1(SALU_CYCLE_1)
	s_lshl_b64 s[0:1], s[0:1], 1
	v_add_co_u32 v0, vcc_lo, v1, s0
	v_add_co_ci_u32_e32 v1, vcc_lo, s1, v2, vcc_lo
	s_waitcnt lgkmcnt(0)
	global_store_b128 v[0:1], v[3:6], off
	s_nop 0
	s_sendmsg sendmsg(MSG_DEALLOC_VGPRS)
	s_endpgm
	.section	.rodata,"a",@progbits
	.p2align	6, 0x0
	.amdhsa_kernel _Z39paged_attention_ll4mi_QKV_mfma16_kernelI14__hip_bfloat16hLN4vllm18Fp8KVCacheDataTypeE1EhLi16ELi128ELi256ELb1ELi13EL8MFMAType0EEvPKT_PKT0_S9_ifPKiSB_SB_iPKfiiiPfSE_PS4_PT2_iSD_SD_
		.amdhsa_group_segment_fixed_size 17472
		.amdhsa_private_segment_fixed_size 0
		.amdhsa_kernarg_size 400
		.amdhsa_user_sgpr_count 13
		.amdhsa_user_sgpr_dispatch_ptr 0
		.amdhsa_user_sgpr_queue_ptr 0
		.amdhsa_user_sgpr_kernarg_segment_ptr 1
		.amdhsa_user_sgpr_dispatch_id 0
		.amdhsa_user_sgpr_private_segment_size 0
		.amdhsa_wavefront_size32 1
		.amdhsa_uses_dynamic_stack 0
		.amdhsa_enable_private_segment 0
		.amdhsa_system_sgpr_workgroup_id_x 1
		.amdhsa_system_sgpr_workgroup_id_y 1
		.amdhsa_system_sgpr_workgroup_id_z 1
		.amdhsa_system_sgpr_workgroup_info 0
		.amdhsa_system_vgpr_workitem_id 0
		.amdhsa_next_free_vgpr 140
		.amdhsa_next_free_sgpr 36
		.amdhsa_reserve_vcc 1
		.amdhsa_float_round_mode_32 0
		.amdhsa_float_round_mode_16_64 0
		.amdhsa_float_denorm_mode_32 3
		.amdhsa_float_denorm_mode_16_64 3
		.amdhsa_dx10_clamp 1
		.amdhsa_ieee_mode 1
		.amdhsa_fp16_overflow 0
		.amdhsa_workgroup_processor_mode 1
		.amdhsa_memory_ordered 1
		.amdhsa_forward_progress 0
		.amdhsa_shared_vgpr_count 0
		.amdhsa_exception_fp_ieee_invalid_op 0
		.amdhsa_exception_fp_denorm_src 0
		.amdhsa_exception_fp_ieee_div_zero 0
		.amdhsa_exception_fp_ieee_overflow 0
		.amdhsa_exception_fp_ieee_underflow 0
		.amdhsa_exception_fp_ieee_inexact 0
		.amdhsa_exception_int_div_zero 0
	.end_amdhsa_kernel
	.section	.text._Z39paged_attention_ll4mi_QKV_mfma16_kernelI14__hip_bfloat16hLN4vllm18Fp8KVCacheDataTypeE1EhLi16ELi128ELi256ELb1ELi13EL8MFMAType0EEvPKT_PKT0_S9_ifPKiSB_SB_iPKfiiiPfSE_PS4_PT2_iSD_SD_,"axG",@progbits,_Z39paged_attention_ll4mi_QKV_mfma16_kernelI14__hip_bfloat16hLN4vllm18Fp8KVCacheDataTypeE1EhLi16ELi128ELi256ELb1ELi13EL8MFMAType0EEvPKT_PKT0_S9_ifPKiSB_SB_iPKfiiiPfSE_PS4_PT2_iSD_SD_,comdat
.Lfunc_end1802:
	.size	_Z39paged_attention_ll4mi_QKV_mfma16_kernelI14__hip_bfloat16hLN4vllm18Fp8KVCacheDataTypeE1EhLi16ELi128ELi256ELb1ELi13EL8MFMAType0EEvPKT_PKT0_S9_ifPKiSB_SB_iPKfiiiPfSE_PS4_PT2_iSD_SD_, .Lfunc_end1802-_Z39paged_attention_ll4mi_QKV_mfma16_kernelI14__hip_bfloat16hLN4vllm18Fp8KVCacheDataTypeE1EhLi16ELi128ELi256ELb1ELi13EL8MFMAType0EEvPKT_PKT0_S9_ifPKiSB_SB_iPKfiiiPfSE_PS4_PT2_iSD_SD_
                                        ; -- End function
	.section	.AMDGPU.csdata,"",@progbits
; Kernel info:
; codeLenInByte = 9056
; NumSgprs: 38
; NumVgprs: 140
; ScratchSize: 0
; MemoryBound: 0
; FloatMode: 240
; IeeeMode: 1
; LDSByteSize: 17472 bytes/workgroup (compile time only)
; SGPRBlocks: 4
; VGPRBlocks: 17
; NumSGPRsForWavesPerEU: 38
; NumVGPRsForWavesPerEU: 140
; Occupancy: 10
; WaveLimiterHint : 1
; COMPUTE_PGM_RSRC2:SCRATCH_EN: 0
; COMPUTE_PGM_RSRC2:USER_SGPR: 13
; COMPUTE_PGM_RSRC2:TRAP_HANDLER: 0
; COMPUTE_PGM_RSRC2:TGID_X_EN: 1
; COMPUTE_PGM_RSRC2:TGID_Y_EN: 1
; COMPUTE_PGM_RSRC2:TGID_Z_EN: 1
; COMPUTE_PGM_RSRC2:TIDIG_COMP_CNT: 0
	.section	.text._Z39paged_attention_ll4mi_QKV_mfma16_kernelI14__hip_bfloat16hLN4vllm18Fp8KVCacheDataTypeE1EhLi16ELi128ELi256ELb1ELi14EL8MFMAType0EEvPKT_PKT0_S9_ifPKiSB_SB_iPKfiiiPfSE_PS4_PT2_iSD_SD_,"axG",@progbits,_Z39paged_attention_ll4mi_QKV_mfma16_kernelI14__hip_bfloat16hLN4vllm18Fp8KVCacheDataTypeE1EhLi16ELi128ELi256ELb1ELi14EL8MFMAType0EEvPKT_PKT0_S9_ifPKiSB_SB_iPKfiiiPfSE_PS4_PT2_iSD_SD_,comdat
	.protected	_Z39paged_attention_ll4mi_QKV_mfma16_kernelI14__hip_bfloat16hLN4vllm18Fp8KVCacheDataTypeE1EhLi16ELi128ELi256ELb1ELi14EL8MFMAType0EEvPKT_PKT0_S9_ifPKiSB_SB_iPKfiiiPfSE_PS4_PT2_iSD_SD_ ; -- Begin function _Z39paged_attention_ll4mi_QKV_mfma16_kernelI14__hip_bfloat16hLN4vllm18Fp8KVCacheDataTypeE1EhLi16ELi128ELi256ELb1ELi14EL8MFMAType0EEvPKT_PKT0_S9_ifPKiSB_SB_iPKfiiiPfSE_PS4_PT2_iSD_SD_
	.globl	_Z39paged_attention_ll4mi_QKV_mfma16_kernelI14__hip_bfloat16hLN4vllm18Fp8KVCacheDataTypeE1EhLi16ELi128ELi256ELb1ELi14EL8MFMAType0EEvPKT_PKT0_S9_ifPKiSB_SB_iPKfiiiPfSE_PS4_PT2_iSD_SD_
	.p2align	8
	.type	_Z39paged_attention_ll4mi_QKV_mfma16_kernelI14__hip_bfloat16hLN4vllm18Fp8KVCacheDataTypeE1EhLi16ELi128ELi256ELb1ELi14EL8MFMAType0EEvPKT_PKT0_S9_ifPKiSB_SB_iPKfiiiPfSE_PS4_PT2_iSD_SD_,@function
_Z39paged_attention_ll4mi_QKV_mfma16_kernelI14__hip_bfloat16hLN4vllm18Fp8KVCacheDataTypeE1EhLi16ELi128ELi256ELb1ELi14EL8MFMAType0EEvPKT_PKT0_S9_ifPKiSB_SB_iPKfiiiPfSE_PS4_PT2_iSD_SD_: ; @_Z39paged_attention_ll4mi_QKV_mfma16_kernelI14__hip_bfloat16hLN4vllm18Fp8KVCacheDataTypeE1EhLi16ELi128ELi256ELb1ELi14EL8MFMAType0EEvPKT_PKT0_S9_ifPKiSB_SB_iPKfiiiPfSE_PS4_PT2_iSD_SD_
; %bb.0:
	s_load_b64 s[4:5], s[0:1], 0x30
	s_mov_b32 s30, s13
	s_waitcnt lgkmcnt(0)
	s_cmp_lg_u64 s[4:5], 0
	s_cselect_b32 s13, -1, 0
	s_ashr_i32 s31, s30, 31
	s_cmp_eq_u64 s[4:5], 0
	s_cbranch_scc1 .LBB1803_3
; %bb.1:
	s_lshl_b64 s[2:3], s[30:31], 2
	s_delay_alu instid0(SALU_CYCLE_1) | instskip(SKIP_4) | instid1(SALU_CYCLE_1)
	s_add_u32 s2, s4, s2
	s_addc_u32 s3, s5, s3
	s_load_b64 s[2:3], s[2:3], 0x0
	s_waitcnt lgkmcnt(0)
	s_sub_i32 s2, s3, s2
	s_cmp_eq_u32 s2, 1
	s_cselect_b32 s2, -1, 0
	s_delay_alu instid0(SALU_CYCLE_1)
	s_and_not1_b32 vcc_lo, exec_lo, s2
	s_cbranch_vccz .LBB1803_4
.LBB1803_2:
	s_endpgm
.LBB1803_3:
.LBB1803_4:
	s_load_b64 s[2:3], s[0:1], 0x28
	s_lshl_b64 s[6:7], s[30:31], 2
	s_waitcnt lgkmcnt(0)
	s_add_u32 s2, s2, s6
	s_addc_u32 s3, s3, s7
	s_lshl_b32 s12, s14, 8
	s_load_b32 s17, s[2:3], 0x0
	s_waitcnt lgkmcnt(0)
	s_cmp_ge_i32 s12, s17
	s_cbranch_scc1 .LBB1803_2
; %bb.5:
	s_clause 0x1
	s_load_b128 s[8:11], s[0:1], 0x8
	s_load_b64 s[2:3], s[0:1], 0x20
	s_and_not1_b32 vcc_lo, exec_lo, s13
	s_cbranch_vccnz .LBB1803_7
; %bb.6:
	s_add_u32 s4, s4, s6
	s_addc_u32 s5, s5, s7
	s_load_b32 s13, s[4:5], 0x0
	s_branch .LBB1803_8
.LBB1803_7:
	s_mov_b32 s13, s30
.LBB1803_8:
	s_load_b128 s[4:7], s[0:1], 0x48
	v_and_b32_e32 v65, 15, v0
	v_lshrrev_b32_e32 v66, 5, v0
	v_and_b32_e32 v67, 31, v0
	v_and_b32_e32 v75, 1, v0
	v_bfe_u32 v74, v0, 4, 1
	v_lshlrev_b32_e32 v1, 3, v65
	s_mul_i32 s29, s15, 14
	s_waitcnt lgkmcnt(0)
	s_mov_b32 s7, exec_lo
	s_delay_alu instid0(VALU_DEP_1)
	v_lshlrev_b32_e32 v73, 1, v1
	v_cmpx_gt_u32_e32 0xe0, v0
	s_cbranch_execz .LBB1803_10
; %bb.9:
	s_load_b64 s[18:19], s[0:1], 0x0
	v_lshl_or_b32 v5, v66, 1, v74
	s_mul_hi_i32 s21, s13, s4
	s_mul_i32 s20, s13, s4
	v_lshlrev_b32_e32 v6, 10, v65
	s_lshl_b64 s[20:21], s[20:21], 1
	v_add_lshl_u32 v1, v5, s29, 7
	v_lshlrev_b32_e32 v5, 6, v5
	v_lshlrev_b32_e32 v7, 10, v75
	v_and_b32_e32 v6, 0x3800, v6
	s_delay_alu instid0(VALU_DEP_4) | instskip(NEXT) | instid1(VALU_DEP_2)
	v_ashrrev_i32_e32 v2, 31, v1
	v_or3_b32 v5, v6, v7, v5
	s_delay_alu instid0(VALU_DEP_2) | instskip(SKIP_3) | instid1(VALU_DEP_1)
	v_lshlrev_b64 v[1:2], 1, v[1:2]
	s_waitcnt lgkmcnt(0)
	s_add_u32 s4, s18, s20
	s_addc_u32 s13, s19, s21
	v_add_co_u32 v1, vcc_lo, s4, v1
	s_delay_alu instid0(VALU_DEP_2) | instskip(NEXT) | instid1(VALU_DEP_2)
	v_add_co_ci_u32_e32 v2, vcc_lo, s13, v2, vcc_lo
	v_add_co_u32 v1, vcc_lo, v1, v73
	s_delay_alu instid0(VALU_DEP_2)
	v_add_co_ci_u32_e32 v2, vcc_lo, 0, v2, vcc_lo
	global_load_b128 v[1:4], v[1:2], off
	s_waitcnt vmcnt(0)
	ds_store_b128 v5, v[1:4]
.LBB1803_10:
	s_or_b32 exec_lo, exec_lo, s7
	v_and_b32_e32 v1, 0xef, v0
	s_add_i32 s4, s17, 15
	s_clause 0x1
	s_load_b32 s7, s[0:1], 0x38
	s_load_b32 s18, s[0:1], 0x1c
	s_ashr_i32 s13, s4, 31
	v_add_nc_u32_e32 v1, s12, v1
	s_lshr_b32 s13, s13, 28
	s_waitcnt lgkmcnt(0)
	s_add_i32 s4, s4, s13
	s_barrier
	v_ashrrev_i32_e32 v2, 31, v1
	v_or_b32_e32 v3, 16, v1
	s_ashr_i32 s4, s4, 4
	v_cmp_gt_i32_e32 vcc_lo, s17, v1
	s_add_i32 s4, s4, -1
	v_lshrrev_b32_e32 v2, 28, v2
	buffer_gl0_inv
	s_mul_i32 s15, s15, s6
	v_add_nc_u32_e32 v4, v1, v2
	s_mul_i32 s20, s30, s7
	s_delay_alu instid0(SALU_CYCLE_1) | instskip(NEXT) | instid1(VALU_DEP_1)
	s_ashr_i32 s21, s20, 31
	v_ashrrev_i32_e32 v4, 4, v4
	v_add_nc_u32_e32 v2, v3, v2
	s_lshl_b64 s[20:21], s[20:21], 2
	s_delay_alu instid0(SALU_CYCLE_1) | instskip(NEXT) | instid1(VALU_DEP_2)
	s_add_u32 s13, s2, s20
	v_cndmask_b32_e32 v1, s4, v4, vcc_lo
	s_delay_alu instid0(VALU_DEP_2)
	v_ashrrev_i32_e32 v2, 4, v2
	v_cmp_gt_i32_e32 vcc_lo, s17, v3
	s_addc_u32 s16, s3, s21
	s_ashr_i32 s19, s15, 31
	s_add_u32 s26, s8, s15
	s_addc_u32 s27, s9, s19
	v_cndmask_b32_e32 v3, s4, v2, vcc_lo
	v_ashrrev_i32_e32 v2, 31, v1
	s_lshl_b32 s2, s14, 4
	s_delay_alu instid0(SALU_CYCLE_1) | instskip(NEXT) | instid1(VALU_DEP_2)
	s_ashr_i32 s3, s2, 31
	v_ashrrev_i32_e32 v4, 31, v3
	s_delay_alu instid0(VALU_DEP_2) | instskip(SKIP_1) | instid1(SALU_CYCLE_1)
	v_lshlrev_b64 v[1:2], 2, v[1:2]
	s_lshl_b64 s[2:3], s[2:3], 2
	s_add_u32 s2, s13, s2
	s_delay_alu instid0(VALU_DEP_2) | instskip(SKIP_1) | instid1(VALU_DEP_2)
	v_lshlrev_b64 v[3:4], 2, v[3:4]
	s_addc_u32 s3, s16, s3
	v_add_co_u32 v1, vcc_lo, s13, v1
	v_add_co_ci_u32_e32 v2, vcc_lo, s16, v2, vcc_lo
	s_delay_alu instid0(VALU_DEP_3) | instskip(NEXT) | instid1(VALU_DEP_4)
	v_add_co_u32 v3, vcc_lo, s13, v3
	v_add_co_ci_u32_e32 v4, vcc_lo, s16, v4, vcc_lo
	s_clause 0x1
	global_load_b32 v5, v[1:2], off
	global_load_b32 v3, v[3:4], off
	s_or_b32 s6, s12, 32
	v_cmp_gt_u32_e32 vcc_lo, 14, v65
	s_ashr_i32 s7, s6, 4
	s_cmp_lt_i32 s6, s17
	s_cselect_b32 s6, s7, s4
	s_delay_alu instid0(SALU_CYCLE_1) | instskip(NEXT) | instid1(SALU_CYCLE_1)
	s_ashr_i32 s7, s6, 31
	s_lshl_b64 s[6:7], s[6:7], 2
	s_delay_alu instid0(SALU_CYCLE_1) | instskip(SKIP_2) | instid1(SALU_CYCLE_1)
	s_add_u32 s6, s13, s6
	s_addc_u32 s7, s16, s7
	s_or_b32 s8, s12, 64
	s_ashr_i32 s9, s8, 4
	s_cmp_lt_i32 s8, s17
	s_cselect_b32 s8, s9, s4
	s_delay_alu instid0(SALU_CYCLE_1) | instskip(NEXT) | instid1(SALU_CYCLE_1)
	s_ashr_i32 s9, s8, 31
	s_lshl_b64 s[8:9], s[8:9], 2
	s_delay_alu instid0(SALU_CYCLE_1) | instskip(SKIP_2) | instid1(SALU_CYCLE_1)
	s_add_u32 s8, s13, s8
	s_addc_u32 s9, s16, s9
	s_or_b32 s20, s12, 0x60
	;; [unrolled: 10-line block ×4, first 2 shown]
	s_ashr_i32 s25, s24, 4
	s_cmp_lt_i32 s24, s17
	s_cselect_b32 s24, s25, s4
	s_delay_alu instid0(SALU_CYCLE_1) | instskip(NEXT) | instid1(SALU_CYCLE_1)
	s_ashr_i32 s25, s24, 31
	s_lshl_b64 s[24:25], s[24:25], 2
	s_delay_alu instid0(SALU_CYCLE_1)
	s_add_u32 s24, s13, s24
	s_addc_u32 s25, s16, s25
	s_clause 0x5
	s_load_b32 s28, s[2:3], 0x0
	s_load_b32 s31, s[6:7], 0x0
	;; [unrolled: 1-line block ×6, first 2 shown]
	s_mov_b32 s20, 0
	s_or_b32 s2, s12, 0xc0
	s_mov_b32 s21, s20
	s_mov_b32 s22, s20
	;; [unrolled: 1-line block ×5, first 2 shown]
	v_lshlrev_b32_e32 v1, 4, v0
	s_ashr_i32 s3, s2, 4
	s_cmp_lt_i32 s2, s17
	s_cselect_b32 s2, s3, s4
	s_delay_alu instid0(VALU_DEP_1) | instskip(SKIP_1) | instid1(SALU_CYCLE_1)
	v_and_b32_e32 v1, 0xf0, v1
	s_ashr_i32 s3, s2, 31
	s_lshl_b64 s[2:3], s[2:3], 2
	s_delay_alu instid0(VALU_DEP_1) | instskip(NEXT) | instid1(VALU_DEP_1)
	v_add_co_u32 v1, s26, s26, v1
	v_add_co_ci_u32_e64 v2, null, s27, 0, s26
	s_add_u32 s2, s13, s2
	s_addc_u32 s3, s16, s3
	s_or_b32 s6, s12, 0xe0
	s_mov_b32 s27, s20
	s_ashr_i32 s7, s6, 4
	s_cmp_lt_i32 s6, s17
	s_mov_b32 s26, s20
	v_dual_mov_b32 v107, s27 :: v_dual_mov_b32 v100, s20
	s_cselect_b32 s6, s7, s4
	v_mov_b32_e32 v106, s26
	s_ashr_i32 s7, s6, 31
	v_mov_b32_e32 v104, s24
	s_lshl_b64 s[6:7], s[6:7], 2
	v_dual_mov_b32 v103, s23 :: v_dual_mov_b32 v102, s22
	v_mov_b32_e32 v101, s21
	s_waitcnt vmcnt(1)
	v_mad_i64_i32 v[33:34], null, v5, s5, v[1:2]
	s_waitcnt vmcnt(0)
	v_mad_i64_i32 v[35:36], null, v3, s5, v[1:2]
	s_clause 0xf
	global_load_b128 v[1:4], v[33:34], off
	global_load_b128 v[5:8], v[33:34], off offset:256
	global_load_b128 v[9:12], v[35:36], off
	global_load_b128 v[13:16], v[35:36], off offset:256
	global_load_b128 v[17:20], v[33:34], off offset:512
	;; [unrolled: 1-line block ×13, first 2 shown]
	v_add_nc_u32_e32 v33, -14, v65
	v_lshlrev_b32_e32 v34, 4, v65
	s_delay_alu instid0(VALU_DEP_2) | instskip(SKIP_1) | instid1(VALU_DEP_3)
	v_cndmask_b32_e32 v33, v33, v65, vcc_lo
	v_mov_b32_e32 v105, s25
	v_lshl_or_b32 v41, v66, 8, v34
	s_delay_alu instid0(VALU_DEP_3)
	v_lshlrev_b32_e32 v72, 6, v33
	ds_load_b128 v[33:36], v72
	ds_load_b128 v[37:40], v72 offset:1024
	ds_load_b128 v[108:111], v72 offset:2048
	;; [unrolled: 1-line block ×3, first 2 shown]
	s_load_b32 s4, s[2:3], 0x0
	s_add_u32 s2, s13, s6
	s_addc_u32 s3, s16, s7
	ds_load_b128 v[116:119], v72 offset:4096
	ds_load_b128 v[120:123], v72 offset:5120
	s_load_b32 s2, s[2:3], 0x0
	s_add_u32 s6, s10, s15
	s_addc_u32 s7, s11, s19
	v_add_co_u32 v68, s6, s6, v41
	s_delay_alu instid0(VALU_DEP_1) | instskip(SKIP_1) | instid1(VALU_DEP_1)
	v_add_co_ci_u32_e64 v69, null, s7, 0, s6
	s_waitcnt lgkmcnt(0)
	v_mad_i64_i32 v[41:42], null, s28, s5, v[68:69]
	v_mad_i64_i32 v[70:71], null, s8, s5, v[68:69]
	v_mad_i64_i32 v[45:46], null, s31, s5, v[68:69]
	v_mad_i64_i32 v[132:133], null, s9, s5, v[68:69]
	v_mad_i64_i32 v[134:135], null, s33, s5, v[68:69]
	v_mad_i64_i32 v[136:137], null, s34, s5, v[68:69]
	v_mad_i64_i32 v[138:139], null, s4, s5, v[68:69]
	s_clause 0x3
	global_load_b128 v[49:52], v[41:42], off
	global_load_b128 v[53:56], v[41:42], off offset:16
	global_load_b128 v[41:44], v[45:46], off
	global_load_b128 v[45:48], v[45:46], off offset:16
	s_waitcnt vmcnt(18)
	v_wmma_f32_16x16x16_bf16 v[124:131], v[1:8], v[33:40], v[100:107]
	s_waitcnt vmcnt(16)
	v_wmma_f32_16x16x16_bf16 v[100:107], v[9:16], v[33:40], v[100:107]
	s_clause 0x1
	global_load_b128 v[33:36], v[70:71], off
	global_load_b128 v[37:40], v[70:71], off offset:16
	v_mad_i64_i32 v[70:71], null, s2, s5, v[68:69]
	s_waitcnt vmcnt(16)
	v_wmma_f32_16x16x16_bf16 v[124:131], v[17:24], v[108:115], v[124:131]
	s_waitcnt vmcnt(14)
	v_wmma_f32_16x16x16_bf16 v[100:107], v[25:32], v[108:115], v[100:107]
	s_clause 0x7
	global_load_b128 v[25:28], v[132:133], off
	global_load_b128 v[29:32], v[132:133], off offset:16
	global_load_b128 v[1:4], v[134:135], off
	global_load_b128 v[5:8], v[134:135], off offset:16
	;; [unrolled: 2-line block ×4, first 2 shown]
	s_waitcnt vmcnt(20)
	v_wmma_f32_16x16x16_bf16 v[124:131], v[57:64], v[116:123], v[124:131]
	s_clause 0x1
	global_load_b128 v[57:60], v[70:71], off
	global_load_b128 v[61:64], v[70:71], off offset:16
	s_waitcnt vmcnt(20)
	v_wmma_f32_16x16x16_bf16 v[100:107], v[76:83], v[116:123], v[100:107]
	ds_load_b128 v[76:79], v72 offset:6144
	ds_load_b128 v[80:83], v72 offset:7168
	v_and_b32_e32 v68, 0xe0, v0
	v_mbcnt_lo_u32_b32 v69, -1, 0
	s_waitcnt vmcnt(0) lgkmcnt(0)
	s_barrier
	buffer_gl0_inv
	v_add_nc_u32_e32 v68, s12, v68
	v_xor_b32_e32 v70, 16, v69
	s_delay_alu instid0(VALU_DEP_2) | instskip(NEXT) | instid1(VALU_DEP_2)
	v_or_b32_e32 v68, v68, v74
	v_cmp_gt_i32_e32 vcc_lo, 32, v70
	s_delay_alu instid0(VALU_DEP_2)
	v_or_b32_e32 v71, 4, v68
	v_or_b32_e32 v72, 6, v68
	v_cmp_gt_i32_e64 s2, s17, v68
	v_or_b32_e32 v108, 8, v68
	v_wmma_f32_16x16x16_bf16 v[124:131], v[84:91], v[76:83], v[124:131]
	v_cndmask_b32_e32 v69, v69, v70, vcc_lo
	v_or_b32_e32 v70, 2, v68
	v_wmma_f32_16x16x16_bf16 v[100:107], v[92:99], v[76:83], v[100:107]
	v_or_b32_e32 v109, 10, v68
	v_dual_mul_f32 v82, s18, v127 :: v_dual_mul_f32 v79, s18, v130
	v_dual_mul_f32 v92, s18, v125 :: v_dual_mul_f32 v93, s18, v124
	s_delay_alu instid0(VALU_DEP_4)
	v_mul_f32_e32 v98, s18, v103
	v_cmp_gt_i32_e32 vcc_lo, s17, v70
	v_or_b32_e32 v89, 22, v68
	v_dual_mul_f32 v83, s18, v126 :: v_dual_mul_f32 v96, s18, v105
	v_cndmask_b32_e64 v93, 0xff7fffff, v93, s2
	v_cndmask_b32_e32 v92, 0xff7fffff, v92, vcc_lo
	v_cmp_gt_i32_e64 s3, s17, v71
	v_cmp_gt_i32_e64 s4, s17, v72
	v_or_b32_e32 v84, 12, v68
	v_or_b32_e32 v85, 14, v68
	v_dual_mul_f32 v80, s18, v129 :: v_dual_mul_f32 v81, s18, v128
	v_mul_f32_e32 v94, s18, v107
	v_cndmask_b32_e64 v71, 0xff7fffff, v83, s3
	v_cndmask_b32_e64 v72, 0xff7fffff, v82, s4
	v_cmp_gt_i32_e64 s5, s17, v108
	v_cmp_gt_i32_e64 s6, s17, v109
	;; [unrolled: 1-line block ×3, first 2 shown]
	v_lshlrev_b32_e32 v89, 2, v69
	v_max3_f32 v82, v93, 0xff7fffff, v92
	v_or_b32_e32 v86, 16, v68
	v_or_b32_e32 v87, 18, v68
	v_mul_f32_e32 v78, s18, v131
	v_cndmask_b32_e64 v81, 0xff7fffff, v81, s5
	v_cndmask_b32_e64 v80, 0xff7fffff, v80, s6
	v_max3_f32 v71, v82, v71, v72
	v_cmp_gt_i32_e64 s7, s17, v84
	v_cmp_gt_i32_e64 s8, s17, v85
	v_or_b32_e32 v88, 20, v68
	v_or_b32_e32 v90, 24, v68
	;; [unrolled: 1-line block ×5, first 2 shown]
	v_dual_mul_f32 v95, s18, v106 :: v_dual_mul_f32 v70, s18, v101
	v_dual_mul_f32 v99, s18, v102 :: v_dual_mul_f32 v68, s18, v100
	v_cndmask_b32_e64 v72, 0xff7fffff, v79, s7
	v_cndmask_b32_e64 v78, 0xff7fffff, v78, s8
	v_max3_f32 v71, v71, v81, v80
	v_cmp_gt_i32_e64 s9, s17, v86
	v_cmp_gt_i32_e64 s10, s17, v87
	;; [unrolled: 1-line block ×3, first 2 shown]
	v_mul_f32_e32 v97, s18, v104
	v_max3_f32 v71, v71, v72, v78
	v_cndmask_b32_e64 v68, 0xff7fffff, v68, s9
	v_cndmask_b32_e64 v70, 0xff7fffff, v70, s10
	;; [unrolled: 1-line block ×4, first 2 shown]
	v_cmp_gt_i32_e64 s13, s17, v90
	v_cmp_gt_i32_e64 s15, s17, v91
	v_max3_f32 v68, v71, v68, v70
	v_cmp_gt_i32_e64 s16, s17, v76
	v_cmp_gt_i32_e64 s17, s17, v77
	v_cndmask_b32_e64 v70, 0xff7fffff, v97, s13
	v_cndmask_b32_e64 v71, 0xff7fffff, v96, s15
	v_max3_f32 v68, v68, v72, v78
	v_cndmask_b32_e64 v72, 0xff7fffff, v95, s16
	v_cndmask_b32_e64 v76, 0xff7fffff, v94, s17
	s_delay_alu instid0(VALU_DEP_3) | instskip(NEXT) | instid1(VALU_DEP_1)
	v_max3_f32 v68, v68, v70, v71
	v_max3_f32 v68, v68, v72, v76
	ds_bpermute_b32 v69, v89, v68
	s_waitcnt lgkmcnt(0)
	v_max_f32_e32 v69, v69, v69
	s_delay_alu instid0(VALU_DEP_1) | instskip(NEXT) | instid1(VALU_DEP_1)
	v_max_f32_e32 v68, v68, v69
	v_fma_f32 v69, s18, v124, -v68
	v_fma_f32 v70, s18, v125, -v68
	;; [unrolled: 1-line block ×5, first 2 shown]
	s_delay_alu instid0(VALU_DEP_4) | instskip(NEXT) | instid1(VALU_DEP_4)
	v_dual_mul_f32 v69, 0x3fb8aa3b, v69 :: v_dual_mul_f32 v70, 0x3fb8aa3b, v70
	v_mul_f32_e32 v72, 0x3fb8aa3b, v72
	v_fma_f32 v78, s18, v130, -v68
	s_delay_alu instid0(VALU_DEP_4) | instskip(NEXT) | instid1(VALU_DEP_4)
	v_mul_f32_e32 v77, 0x3fb8aa3b, v76
	v_exp_f32_e32 v69, v69
	v_exp_f32_e32 v70, v70
	v_mul_f32_e32 v71, 0x3fb8aa3b, v71
	v_exp_f32_e32 v72, v72
	v_mul_f32_e32 v78, 0x3fb8aa3b, v78
	v_exp_f32_e32 v77, v77
	v_fma_f32 v81, s18, v105, -v68
	s_delay_alu instid0(VALU_DEP_2)
	v_exp_f32_e32 v78, v78
	v_cndmask_b32_e64 v80, 0, v69, s2
	v_cndmask_b32_e32 v76, 0, v70, vcc_lo
	v_exp_f32_e32 v71, v71
	v_fma_f32 v69, s18, v129, -v68
	v_cndmask_b32_e64 v85, 0, v72, s4
	v_add_f32_e32 v70, 0, v80
	s_delay_alu instid0(TRANS32_DEP_3)
	v_cndmask_b32_e64 v86, 0, v77, s5
	v_fma_f32 v77, s18, v101, -v68
	v_mul_f32_e32 v69, 0x3fb8aa3b, v69
	v_fma_f32 v72, s18, v100, -v68
	v_cndmask_b32_e64 v84, 0, v78, s7
	v_fma_f32 v78, s18, v103, -v68
	v_cndmask_b32_e64 v83, 0, v71, s3
	v_fma_f32 v71, s18, v131, -v68
	v_add_f32_e32 v70, v70, v76
	v_exp_f32_e32 v69, v69
	v_mul_f32_e32 v77, 0x3fb8aa3b, v77
	v_mul_f32_e32 v81, 0x3fb8aa3b, v81
	v_mul_f32_e32 v71, 0x3fb8aa3b, v71
	v_add_f32_e32 v70, v70, v83
	s_mov_b32 s2, exec_lo
	v_exp_f32_e32 v77, v77
	v_exp_f32_e32 v81, v81
	;; [unrolled: 1-line block ×3, first 2 shown]
	v_cndmask_b32_e64 v87, 0, v69, s6
	v_add_f32_e32 v70, v70, v85
	s_delay_alu instid0(VALU_DEP_1) | instskip(SKIP_1) | instid1(VALU_DEP_2)
	v_dual_mul_f32 v72, 0x3fb8aa3b, v72 :: v_dual_add_f32 v69, v70, v86
	v_fma_f32 v70, s18, v102, -v68
	v_exp_f32_e32 v72, v72
	s_waitcnt_depctr 0xfff
	v_cndmask_b32_e64 v88, 0, v71, s8
	v_fma_f32 v71, s18, v104, -v68
	v_dual_add_f32 v69, v69, v87 :: v_dual_mul_f32 v70, 0x3fb8aa3b, v70
	s_delay_alu instid0(VALU_DEP_2) | instskip(NEXT) | instid1(VALU_DEP_2)
	v_dual_mul_f32 v78, 0x3fb8aa3b, v78 :: v_dual_mul_f32 v71, 0x3fb8aa3b, v71
	v_add_f32_e32 v69, v69, v84
	s_delay_alu instid0(VALU_DEP_3) | instskip(SKIP_1) | instid1(VALU_DEP_3)
	v_exp_f32_e32 v79, v70
	v_cndmask_b32_e64 v70, 0, v72, s9
	v_exp_f32_e32 v78, v78
	v_exp_f32_e32 v82, v71
	v_add_f32_e32 v72, v69, v88
	v_cndmask_b32_e64 v69, 0, v77, s10
	v_fma_f32 v77, s18, v106, -v68
	s_delay_alu instid0(VALU_DEP_3) | instskip(NEXT) | instid1(TRANS32_DEP_3)
	v_add_f32_e32 v72, v72, v70
	v_cndmask_b32_e64 v71, 0, v79, s11
	s_delay_alu instid0(VALU_DEP_3) | instskip(NEXT) | instid1(VALU_DEP_3)
	v_mul_f32_e32 v77, 0x3fb8aa3b, v77
	v_add_f32_e32 v79, v72, v69
	s_delay_alu instid0(TRANS32_DEP_2) | instskip(NEXT) | instid1(VALU_DEP_3)
	v_cndmask_b32_e64 v72, 0, v78, s12
	v_exp_f32_e32 v90, v77
	v_cndmask_b32_e64 v77, 0, v82, s13
	s_delay_alu instid0(VALU_DEP_3) | instskip(SKIP_1) | instid1(VALU_DEP_1)
	v_add_f32_e32 v78, v79, v71
	v_fma_f32 v79, s18, v107, -v68
	v_dual_add_f32 v82, v78, v72 :: v_dual_mul_f32 v79, 0x3fb8aa3b, v79
	v_cndmask_b32_e64 v78, 0, v81, s15
	s_delay_alu instid0(VALU_DEP_2) | instskip(NEXT) | instid1(VALU_DEP_3)
	v_add_f32_e32 v81, v82, v77
	v_exp_f32_e32 v82, v79
	s_delay_alu instid0(TRANS32_DEP_2) | instskip(NEXT) | instid1(VALU_DEP_2)
	v_cndmask_b32_e64 v79, 0, v90, s16
	v_add_f32_e32 v81, v81, v78
	s_delay_alu instid0(VALU_DEP_1) | instskip(SKIP_2) | instid1(VALU_DEP_1)
	v_add_f32_e32 v90, v81, v79
	s_waitcnt_depctr 0xfff
	v_cndmask_b32_e64 v81, 0, v82, s17
	v_add_f32_e32 v82, v90, v81
	ds_bpermute_b32 v89, v89, v82
	v_cmpx_gt_u32_e32 16, v67
	s_cbranch_execz .LBB1803_12
; %bb.11:
	v_mul_u32_u24_e32 v67, 0x44, v66
	s_delay_alu instid0(VALU_DEP_1) | instskip(SKIP_1) | instid1(VALU_DEP_1)
	v_lshl_add_u32 v67, v65, 2, v67
	s_waitcnt lgkmcnt(0)
	v_dual_add_f32 v82, v82, v89 :: v_dual_add_nc_u32 v67, 0x4000, v67
	ds_store_2addr_b32 v67, v68, v82 offset1:136
.LBB1803_12:
	s_or_b32 exec_lo, exec_lo, s2
	v_lshlrev_b32_e32 v67, 2, v65
	s_waitcnt lgkmcnt(0)
	s_barrier
	buffer_gl0_inv
	v_cmp_eq_u32_e32 vcc_lo, 1, v66
	v_add_nc_u32_e32 v82, 0x4000, v67
	v_cmp_eq_u32_e64 s2, 2, v66
	v_cmp_eq_u32_e64 s4, 7, v66
	ds_load_2addr_b32 v[89:90], v82 offset1:17
	ds_load_2addr_b32 v[91:92], v82 offset0:34 offset1:51
	ds_load_2addr_b32 v[93:94], v82 offset0:68 offset1:85
	;; [unrolled: 1-line block ×4, first 2 shown]
	s_waitcnt lgkmcnt(4)
	v_max3_f32 v67, v89, 0xff7fffff, v90
	s_waitcnt lgkmcnt(3)
	s_delay_alu instid0(VALU_DEP_1) | instskip(SKIP_1) | instid1(VALU_DEP_1)
	v_max3_f32 v67, v67, v91, v92
	s_waitcnt lgkmcnt(2)
	v_max3_f32 v67, v67, v93, v94
	s_waitcnt lgkmcnt(1)
	s_delay_alu instid0(VALU_DEP_1) | instskip(NEXT) | instid1(VALU_DEP_1)
	v_max3_f32 v67, v67, v95, v96
	v_sub_f32_e32 v93, v93, v67
	s_delay_alu instid0(VALU_DEP_1) | instskip(NEXT) | instid1(VALU_DEP_1)
	v_dual_sub_f32 v68, v89, v67 :: v_dual_mul_f32 v103, 0x3fb8aa3b, v93
	v_mul_f32_e32 v68, 0x3fb8aa3b, v68
	s_delay_alu instid0(VALU_DEP_1)
	v_exp_f32_e32 v100, v68
	v_sub_f32_e32 v68, v92, v67
	v_sub_f32_e32 v99, v90, v67
	ds_load_2addr_b32 v[89:90], v82 offset0:170 offset1:187
	v_dual_mul_f32 v102, 0x3fb8aa3b, v68 :: v_dual_mul_f32 v99, 0x3fb8aa3b, v99
	s_waitcnt lgkmcnt(1)
	v_fma_f32 v68, v100, v97, 0
	s_delay_alu instid0(VALU_DEP_2) | instskip(NEXT) | instid1(VALU_DEP_2)
	v_exp_f32_e32 v102, v102
	v_exp_f32_e32 v99, v99
	s_waitcnt_depctr 0xfff
	v_fmac_f32_e32 v68, v99, v98
	v_sub_f32_e32 v91, v91, v67
	s_delay_alu instid0(VALU_DEP_1)
	v_mul_f32_e32 v101, 0x3fb8aa3b, v91
	ds_load_2addr_b32 v[91:92], v82 offset0:204 offset1:221
	v_sub_f32_e32 v97, v94, v67
	ds_load_2addr_b32 v[93:94], v82 offset0:238 offset1:255
	s_waitcnt lgkmcnt(0)
	v_exp_f32_e32 v101, v101
	s_barrier
	buffer_gl0_inv
	v_dual_fmac_f32 v68, v101, v89 :: v_dual_sub_f32 v89, v96, v67
	v_dual_sub_f32 v82, v95, v67 :: v_dual_mul_f32 v95, 0x3fb8aa3b, v97
	v_exp_f32_e32 v97, v103
	s_delay_alu instid0(VALU_DEP_2) | instskip(NEXT) | instid1(VALU_DEP_2)
	v_dual_fmac_f32 v68, v102, v90 :: v_dual_mul_f32 v89, 0x3fb8aa3b, v89
	v_mul_f32_e32 v82, 0x3fb8aa3b, v82
	s_delay_alu instid0(VALU_DEP_3) | instskip(NEXT) | instid1(VALU_DEP_2)
	v_exp_f32_e32 v95, v95
	v_exp_f32_e32 v89, v89
	s_delay_alu instid0(VALU_DEP_1)
	v_exp_f32_e32 v82, v82
	v_fmac_f32_e32 v68, v97, v91
	s_delay_alu instid0(TRANS32_DEP_3) | instid1(VALU_DEP_1)
	v_fmac_f32_e32 v68, v95, v92
	s_waitcnt_depctr 0xfff
	v_fmac_f32_e32 v68, v82, v93
	s_delay_alu instid0(VALU_DEP_1) | instskip(NEXT) | instid1(VALU_DEP_1)
	v_fmac_f32_e32 v68, v89, v94
	v_add_f32_e32 v90, 0x358637bd, v68
	s_delay_alu instid0(VALU_DEP_1) | instskip(NEXT) | instid1(VALU_DEP_1)
	v_div_scale_f32 v91, null, v90, v90, 1.0
	v_rcp_f32_e32 v92, v91
	s_waitcnt_depctr 0xfff
	v_fma_f32 v93, -v91, v92, 1.0
	s_delay_alu instid0(VALU_DEP_1) | instskip(SKIP_1) | instid1(VALU_DEP_2)
	v_dual_fmac_f32 v92, v93, v92 :: v_dual_cndmask_b32 v93, v100, v99
	v_cmp_eq_u32_e32 vcc_lo, 3, v66
	v_cndmask_b32_e64 v93, v93, v101, s2
	v_cmp_eq_u32_e64 s2, 4, v66
	s_delay_alu instid0(VALU_DEP_2) | instskip(SKIP_1) | instid1(VALU_DEP_2)
	v_cndmask_b32_e32 v93, v93, v102, vcc_lo
	v_cmp_eq_u32_e32 vcc_lo, 5, v66
	v_cndmask_b32_e64 v93, v93, v97, s2
	v_cmp_eq_u32_e64 s2, 6, v66
	s_delay_alu instid0(VALU_DEP_2) | instskip(SKIP_1) | instid1(VALU_DEP_1)
	v_cndmask_b32_e32 v93, v93, v95, vcc_lo
	v_div_scale_f32 v94, s3, 1.0, v90, 1.0
	s_mov_b32 vcc_lo, s3
	s_delay_alu instid0(VALU_DEP_2) | instskip(NEXT) | instid1(VALU_DEP_2)
	v_cndmask_b32_e64 v82, v93, v82, s2
	v_mul_f32_e32 v96, v94, v92
	s_mov_b32 s2, exec_lo
	s_delay_alu instid0(VALU_DEP_2) | instskip(NEXT) | instid1(VALU_DEP_2)
	v_cndmask_b32_e64 v82, v82, v89, s4
	v_fma_f32 v98, -v91, v96, v94
	s_delay_alu instid0(VALU_DEP_1) | instskip(NEXT) | instid1(VALU_DEP_1)
	v_fmac_f32_e32 v96, v98, v92
	v_fma_f32 v91, -v91, v96, v94
	s_delay_alu instid0(VALU_DEP_1) | instskip(NEXT) | instid1(VALU_DEP_1)
	v_div_fmas_f32 v91, v91, v92, v96
	v_div_fixup_f32 v90, v91, v90, 1.0
	s_delay_alu instid0(VALU_DEP_1) | instskip(NEXT) | instid1(VALU_DEP_1)
	v_mul_f32_e32 v82, v82, v90
	v_mul_f32_e32 v87, v82, v87
	;; [unrolled: 1-line block ×7, first 2 shown]
	v_dual_mul_f32 v86, v82, v83 :: v_dual_and_b32 v91, 0x7f800000, v90
	v_mul_f32_e32 v85, v82, v76
                                        ; implicit-def: $vgpr76
	s_delay_alu instid0(VALU_DEP_2)
	v_cmpx_ne_u32_e32 0x7f800000, v91
	s_xor_b32 s2, exec_lo, s2
; %bb.13:
	v_bfe_u32 v76, v90, 16, 1
	s_delay_alu instid0(VALU_DEP_1)
	v_add3_u32 v76, v90, v76, 0x7fff
                                        ; implicit-def: $vgpr90
; %bb.14:
	s_and_not1_saveexec_b32 s2, s2
; %bb.15:
	v_and_b32_e32 v76, 0xffff, v90
	v_or_b32_e32 v83, 0x10000, v90
	s_delay_alu instid0(VALU_DEP_2) | instskip(NEXT) | instid1(VALU_DEP_2)
	v_cmp_eq_u32_e32 vcc_lo, 0, v76
	v_cndmask_b32_e32 v76, v83, v90, vcc_lo
; %bb.16:
	s_or_b32 exec_lo, exec_lo, s2
	v_and_b32_e32 v83, 0x7f800000, v85
	s_delay_alu instid0(VALU_DEP_1) | instskip(SKIP_1) | instid1(SALU_CYCLE_1)
	v_cmp_ne_u32_e32 vcc_lo, 0x7f800000, v83
                                        ; implicit-def: $vgpr83
	s_and_saveexec_b32 s2, vcc_lo
	s_xor_b32 s2, exec_lo, s2
; %bb.17:
	v_bfe_u32 v83, v85, 16, 1
	s_delay_alu instid0(VALU_DEP_1)
	v_add3_u32 v83, v85, v83, 0x7fff
                                        ; implicit-def: $vgpr85
; %bb.18:
	s_and_not1_saveexec_b32 s2, s2
; %bb.19:
	v_and_b32_e32 v83, 0xffff, v85
	v_or_b32_e32 v90, 0x10000, v85
	s_delay_alu instid0(VALU_DEP_2) | instskip(NEXT) | instid1(VALU_DEP_2)
	v_cmp_eq_u32_e32 vcc_lo, 0, v83
	v_cndmask_b32_e32 v83, v90, v85, vcc_lo
; %bb.20:
	s_or_b32 exec_lo, exec_lo, s2
	v_and_b32_e32 v85, 0x7f800000, v86
	s_delay_alu instid0(VALU_DEP_1) | instskip(SKIP_1) | instid1(SALU_CYCLE_1)
	v_cmp_ne_u32_e32 vcc_lo, 0x7f800000, v85
                                        ; implicit-def: $vgpr85
	s_and_saveexec_b32 s2, vcc_lo
	s_xor_b32 s2, exec_lo, s2
; %bb.21:
	v_bfe_u32 v85, v86, 16, 1
	s_delay_alu instid0(VALU_DEP_1)
	v_add3_u32 v85, v86, v85, 0x7fff
                                        ; implicit-def: $vgpr86
; %bb.22:
	s_and_not1_saveexec_b32 s2, s2
; %bb.23:
	v_and_b32_e32 v85, 0xffff, v86
	v_or_b32_e32 v90, 0x10000, v86
	s_delay_alu instid0(VALU_DEP_2) | instskip(NEXT) | instid1(VALU_DEP_2)
	v_cmp_eq_u32_e32 vcc_lo, 0, v85
	v_cndmask_b32_e32 v85, v90, v86, vcc_lo
; %bb.24:
	s_or_b32 exec_lo, exec_lo, s2
	v_and_b32_e32 v86, 0x7f800000, v89
	s_delay_alu instid0(VALU_DEP_1) | instskip(SKIP_1) | instid1(SALU_CYCLE_1)
	v_cmp_ne_u32_e32 vcc_lo, 0x7f800000, v86
                                        ; implicit-def: $vgpr86
	s_and_saveexec_b32 s2, vcc_lo
	s_xor_b32 s2, exec_lo, s2
; %bb.25:
	v_bfe_u32 v86, v89, 16, 1
	s_delay_alu instid0(VALU_DEP_1)
	v_add3_u32 v86, v89, v86, 0x7fff
                                        ; implicit-def: $vgpr89
; %bb.26:
	s_and_not1_saveexec_b32 s2, s2
; %bb.27:
	v_and_b32_e32 v86, 0xffff, v89
	v_or_b32_e32 v90, 0x10000, v89
	s_delay_alu instid0(VALU_DEP_2) | instskip(NEXT) | instid1(VALU_DEP_2)
	v_cmp_eq_u32_e32 vcc_lo, 0, v86
	v_cndmask_b32_e32 v86, v90, v89, vcc_lo
; %bb.28:
	s_or_b32 exec_lo, exec_lo, s2
	v_and_b32_e32 v89, 0x7f800000, v88
	s_delay_alu instid0(VALU_DEP_1) | instskip(SKIP_1) | instid1(SALU_CYCLE_1)
	v_cmp_ne_u32_e32 vcc_lo, 0x7f800000, v89
                                        ; implicit-def: $vgpr89
	s_and_saveexec_b32 s2, vcc_lo
	s_xor_b32 s2, exec_lo, s2
; %bb.29:
	v_bfe_u32 v89, v88, 16, 1
	s_delay_alu instid0(VALU_DEP_1)
	v_add3_u32 v89, v88, v89, 0x7fff
                                        ; implicit-def: $vgpr88
; %bb.30:
	s_and_not1_saveexec_b32 s2, s2
; %bb.31:
	v_and_b32_e32 v89, 0xffff, v88
	v_or_b32_e32 v90, 0x10000, v88
	s_delay_alu instid0(VALU_DEP_2) | instskip(NEXT) | instid1(VALU_DEP_2)
	v_cmp_eq_u32_e32 vcc_lo, 0, v89
	v_cndmask_b32_e32 v89, v90, v88, vcc_lo
; %bb.32:
	s_or_b32 exec_lo, exec_lo, s2
	v_and_b32_e32 v88, 0x7f800000, v87
	s_delay_alu instid0(VALU_DEP_1) | instskip(SKIP_1) | instid1(SALU_CYCLE_1)
	v_cmp_ne_u32_e32 vcc_lo, 0x7f800000, v88
                                        ; implicit-def: $vgpr88
	s_and_saveexec_b32 s2, vcc_lo
	s_xor_b32 s2, exec_lo, s2
; %bb.33:
	v_bfe_u32 v88, v87, 16, 1
	s_delay_alu instid0(VALU_DEP_1)
	v_add3_u32 v88, v87, v88, 0x7fff
                                        ; implicit-def: $vgpr87
; %bb.34:
	s_and_not1_saveexec_b32 s2, s2
; %bb.35:
	v_and_b32_e32 v88, 0xffff, v87
	v_or_b32_e32 v90, 0x10000, v87
	s_delay_alu instid0(VALU_DEP_2) | instskip(NEXT) | instid1(VALU_DEP_2)
	v_cmp_eq_u32_e32 vcc_lo, 0, v88
	v_cndmask_b32_e32 v88, v90, v87, vcc_lo
; %bb.36:
	s_or_b32 exec_lo, exec_lo, s2
	v_and_b32_e32 v87, 0x7f800000, v84
	s_delay_alu instid0(VALU_DEP_1) | instskip(SKIP_1) | instid1(SALU_CYCLE_1)
	v_cmp_ne_u32_e32 vcc_lo, 0x7f800000, v87
                                        ; implicit-def: $vgpr87
	s_and_saveexec_b32 s2, vcc_lo
	s_xor_b32 s2, exec_lo, s2
; %bb.37:
	v_bfe_u32 v87, v84, 16, 1
	s_delay_alu instid0(VALU_DEP_1)
	v_add3_u32 v87, v84, v87, 0x7fff
                                        ; implicit-def: $vgpr84
; %bb.38:
	s_and_not1_saveexec_b32 s2, s2
; %bb.39:
	v_and_b32_e32 v87, 0xffff, v84
	v_or_b32_e32 v90, 0x10000, v84
	s_delay_alu instid0(VALU_DEP_2) | instskip(NEXT) | instid1(VALU_DEP_2)
	v_cmp_eq_u32_e32 vcc_lo, 0, v87
	v_cndmask_b32_e32 v87, v90, v84, vcc_lo
; %bb.40:
	s_or_b32 exec_lo, exec_lo, s2
	v_and_b32_e32 v84, 0x7f800000, v80
	s_delay_alu instid0(VALU_DEP_1) | instskip(SKIP_1) | instid1(SALU_CYCLE_1)
	v_cmp_ne_u32_e32 vcc_lo, 0x7f800000, v84
                                        ; implicit-def: $vgpr84
	s_and_saveexec_b32 s2, vcc_lo
	s_xor_b32 s2, exec_lo, s2
; %bb.41:
	v_bfe_u32 v84, v80, 16, 1
	s_delay_alu instid0(VALU_DEP_1)
	v_add3_u32 v84, v80, v84, 0x7fff
                                        ; implicit-def: $vgpr80
; %bb.42:
	s_and_not1_saveexec_b32 s2, s2
; %bb.43:
	v_and_b32_e32 v84, 0xffff, v80
	v_or_b32_e32 v90, 0x10000, v80
	s_delay_alu instid0(VALU_DEP_2) | instskip(NEXT) | instid1(VALU_DEP_2)
	v_cmp_eq_u32_e32 vcc_lo, 0, v84
	v_cndmask_b32_e32 v84, v90, v80, vcc_lo
; %bb.44:
	s_or_b32 exec_lo, exec_lo, s2
	s_load_b64 s[34:35], s[0:1], 0x94
	v_lshlrev_b32_e32 v91, 4, v74
	s_delay_alu instid0(VALU_DEP_2)
	v_perm_b32 v90, v84, v87, 0x7060302
	v_dual_mul_f32 v79, v82, v79 :: v_dual_lshlrev_b32 v80, 6, v65
	v_dual_mul_f32 v77, v82, v77 :: v_dual_lshlrev_b32 v92, 11, v66
	v_mul_f32_e32 v84, v82, v70
	v_perm_b32 v89, v88, v89, 0x7060302
	v_perm_b32 v88, v86, v85, 0x7060302
	;; [unrolled: 1-line block ×3, first 2 shown]
	v_mul_f32_e32 v70, v82, v81
	v_or3_b32 v76, v91, v92, v80
	v_dual_mul_f32 v78, v82, v78 :: v_dual_and_b32 v85, 0x7f800000, v84
	v_mul_f32_e32 v83, v82, v72
	v_mul_f32_e32 v81, v82, v71
	;; [unrolled: 1-line block ×3, first 2 shown]
	s_mov_b32 s2, exec_lo
	ds_store_b128 v76, v[87:90]
                                        ; implicit-def: $vgpr69
	v_cmpx_ne_u32_e32 0x7f800000, v85
	s_xor_b32 s2, exec_lo, s2
; %bb.45:
	v_bfe_u32 v69, v84, 16, 1
	s_delay_alu instid0(VALU_DEP_1)
	v_add3_u32 v69, v84, v69, 0x7fff
                                        ; implicit-def: $vgpr84
; %bb.46:
	s_and_not1_saveexec_b32 s2, s2
; %bb.47:
	v_and_b32_e32 v69, 0xffff, v84
	v_or_b32_e32 v71, 0x10000, v84
	s_delay_alu instid0(VALU_DEP_2) | instskip(NEXT) | instid1(VALU_DEP_2)
	v_cmp_eq_u32_e32 vcc_lo, 0, v69
	v_cndmask_b32_e32 v69, v71, v84, vcc_lo
; %bb.48:
	s_or_b32 exec_lo, exec_lo, s2
	v_and_b32_e32 v71, 0x7f800000, v72
	s_delay_alu instid0(VALU_DEP_1) | instskip(SKIP_1) | instid1(SALU_CYCLE_1)
	v_cmp_ne_u32_e32 vcc_lo, 0x7f800000, v71
                                        ; implicit-def: $vgpr71
	s_and_saveexec_b32 s2, vcc_lo
	s_xor_b32 s2, exec_lo, s2
; %bb.49:
	v_bfe_u32 v71, v72, 16, 1
	s_delay_alu instid0(VALU_DEP_1)
	v_add3_u32 v71, v72, v71, 0x7fff
                                        ; implicit-def: $vgpr72
; %bb.50:
	s_and_not1_saveexec_b32 s2, s2
; %bb.51:
	v_and_b32_e32 v71, 0xffff, v72
	v_or_b32_e32 v82, 0x10000, v72
	s_delay_alu instid0(VALU_DEP_2) | instskip(NEXT) | instid1(VALU_DEP_2)
	v_cmp_eq_u32_e32 vcc_lo, 0, v71
	v_cndmask_b32_e32 v71, v82, v72, vcc_lo
; %bb.52:
	s_or_b32 exec_lo, exec_lo, s2
	v_and_b32_e32 v72, 0x7f800000, v81
	s_delay_alu instid0(VALU_DEP_1) | instskip(SKIP_1) | instid1(SALU_CYCLE_1)
	v_cmp_ne_u32_e32 vcc_lo, 0x7f800000, v72
                                        ; implicit-def: $vgpr72
	s_and_saveexec_b32 s2, vcc_lo
	s_xor_b32 s2, exec_lo, s2
; %bb.53:
	v_bfe_u32 v72, v81, 16, 1
	s_delay_alu instid0(VALU_DEP_1)
	v_add3_u32 v72, v81, v72, 0x7fff
                                        ; implicit-def: $vgpr81
; %bb.54:
	s_and_not1_saveexec_b32 s2, s2
; %bb.55:
	v_and_b32_e32 v72, 0xffff, v81
	v_or_b32_e32 v82, 0x10000, v81
	s_delay_alu instid0(VALU_DEP_2) | instskip(NEXT) | instid1(VALU_DEP_2)
	v_cmp_eq_u32_e32 vcc_lo, 0, v72
	v_cndmask_b32_e32 v72, v82, v81, vcc_lo
; %bb.56:
	s_or_b32 exec_lo, exec_lo, s2
	v_and_b32_e32 v81, 0x7f800000, v83
	s_delay_alu instid0(VALU_DEP_1) | instskip(SKIP_1) | instid1(SALU_CYCLE_1)
	v_cmp_ne_u32_e32 vcc_lo, 0x7f800000, v81
                                        ; implicit-def: $vgpr81
	s_and_saveexec_b32 s2, vcc_lo
	s_xor_b32 s2, exec_lo, s2
; %bb.57:
	v_bfe_u32 v81, v83, 16, 1
	s_delay_alu instid0(VALU_DEP_1)
	v_add3_u32 v81, v83, v81, 0x7fff
                                        ; implicit-def: $vgpr83
; %bb.58:
	s_and_not1_saveexec_b32 s2, s2
; %bb.59:
	v_and_b32_e32 v81, 0xffff, v83
	v_or_b32_e32 v82, 0x10000, v83
	s_delay_alu instid0(VALU_DEP_2) | instskip(NEXT) | instid1(VALU_DEP_2)
	v_cmp_eq_u32_e32 vcc_lo, 0, v81
	v_cndmask_b32_e32 v81, v82, v83, vcc_lo
; %bb.60:
	s_or_b32 exec_lo, exec_lo, s2
	v_and_b32_e32 v82, 0x7f800000, v77
	s_delay_alu instid0(VALU_DEP_1) | instskip(SKIP_1) | instid1(SALU_CYCLE_1)
	v_cmp_ne_u32_e32 vcc_lo, 0x7f800000, v82
                                        ; implicit-def: $vgpr82
	s_and_saveexec_b32 s2, vcc_lo
	s_xor_b32 s2, exec_lo, s2
; %bb.61:
	v_bfe_u32 v82, v77, 16, 1
	s_delay_alu instid0(VALU_DEP_1)
	v_add3_u32 v82, v77, v82, 0x7fff
                                        ; implicit-def: $vgpr77
; %bb.62:
	s_and_not1_saveexec_b32 s2, s2
; %bb.63:
	v_and_b32_e32 v82, 0xffff, v77
	v_or_b32_e32 v83, 0x10000, v77
	s_delay_alu instid0(VALU_DEP_2) | instskip(NEXT) | instid1(VALU_DEP_2)
	v_cmp_eq_u32_e32 vcc_lo, 0, v82
	v_cndmask_b32_e32 v82, v83, v77, vcc_lo
; %bb.64:
	s_or_b32 exec_lo, exec_lo, s2
	v_and_b32_e32 v77, 0x7f800000, v78
	s_delay_alu instid0(VALU_DEP_1) | instskip(SKIP_1) | instid1(SALU_CYCLE_1)
	v_cmp_ne_u32_e32 vcc_lo, 0x7f800000, v77
                                        ; implicit-def: $vgpr77
	s_and_saveexec_b32 s2, vcc_lo
	s_xor_b32 s2, exec_lo, s2
; %bb.65:
	v_bfe_u32 v77, v78, 16, 1
	s_delay_alu instid0(VALU_DEP_1)
	v_add3_u32 v77, v78, v77, 0x7fff
                                        ; implicit-def: $vgpr78
; %bb.66:
	s_and_not1_saveexec_b32 s2, s2
; %bb.67:
	v_and_b32_e32 v77, 0xffff, v78
	v_or_b32_e32 v83, 0x10000, v78
	s_delay_alu instid0(VALU_DEP_2) | instskip(NEXT) | instid1(VALU_DEP_2)
	v_cmp_eq_u32_e32 vcc_lo, 0, v77
	v_cndmask_b32_e32 v77, v83, v78, vcc_lo
; %bb.68:
	s_or_b32 exec_lo, exec_lo, s2
	v_and_b32_e32 v78, 0x7f800000, v79
	s_delay_alu instid0(VALU_DEP_1) | instskip(SKIP_1) | instid1(SALU_CYCLE_1)
	v_cmp_ne_u32_e32 vcc_lo, 0x7f800000, v78
                                        ; implicit-def: $vgpr78
	s_and_saveexec_b32 s2, vcc_lo
	s_xor_b32 s2, exec_lo, s2
; %bb.69:
	v_bfe_u32 v78, v79, 16, 1
	s_delay_alu instid0(VALU_DEP_1)
	v_add3_u32 v78, v79, v78, 0x7fff
                                        ; implicit-def: $vgpr79
; %bb.70:
	s_and_not1_saveexec_b32 s2, s2
; %bb.71:
	v_and_b32_e32 v78, 0xffff, v79
	v_or_b32_e32 v83, 0x10000, v79
	s_delay_alu instid0(VALU_DEP_2) | instskip(NEXT) | instid1(VALU_DEP_2)
	v_cmp_eq_u32_e32 vcc_lo, 0, v78
	v_cndmask_b32_e32 v78, v83, v79, vcc_lo
; %bb.72:
	s_or_b32 exec_lo, exec_lo, s2
	v_and_b32_e32 v79, 0x7f800000, v70
	s_delay_alu instid0(VALU_DEP_1) | instskip(SKIP_1) | instid1(SALU_CYCLE_1)
	v_cmp_ne_u32_e32 vcc_lo, 0x7f800000, v79
                                        ; implicit-def: $vgpr79
	s_and_saveexec_b32 s2, vcc_lo
	s_xor_b32 s2, exec_lo, s2
; %bb.73:
	v_bfe_u32 v79, v70, 16, 1
	s_delay_alu instid0(VALU_DEP_1)
	v_add3_u32 v79, v70, v79, 0x7fff
                                        ; implicit-def: $vgpr70
; %bb.74:
	s_and_not1_saveexec_b32 s2, s2
; %bb.75:
	v_and_b32_e32 v79, 0xffff, v70
	v_or_b32_e32 v83, 0x10000, v70
	s_delay_alu instid0(VALU_DEP_2) | instskip(NEXT) | instid1(VALU_DEP_2)
	v_cmp_eq_u32_e32 vcc_lo, 0, v79
	v_cndmask_b32_e32 v79, v83, v70, vcc_lo
; %bb.76:
	s_or_b32 exec_lo, exec_lo, s2
	s_delay_alu instid0(VALU_DEP_1)
	v_perm_b32 v86, v79, v78, 0x7060302
	v_perm_b32 v85, v77, v82, 0x7060302
	;; [unrolled: 1-line block ×4, first 2 shown]
	v_lshl_or_b32 v82, v66, 11, v80
	ds_store_b128 v76, v[83:86] offset:1024
	s_waitcnt lgkmcnt(0)
	s_barrier
	buffer_gl0_inv
	ds_load_b128 v[69:72], v82
	ds_load_b128 v[83:86], v82 offset:16
	s_waitcnt lgkmcnt(1)
	v_lshrrev_b32_e32 v66, 16, v69
	s_waitcnt lgkmcnt(0)
	v_lshrrev_b32_e32 v91, 16, v83
	v_lshlrev_b32_e32 v78, 2, v74
	v_lshrrev_b32_e32 v95, 16, v70
	v_lshrrev_b32_e32 v98, 16, v84
	;; [unrolled: 1-line block ×4, first 2 shown]
	v_cmp_eq_u32_e32 vcc_lo, 1, v78
	v_lshrrev_b32_e32 v97, 16, v72
	v_lshrrev_b32_e32 v100, 16, v86
	v_cndmask_b32_e32 v87, v83, v91, vcc_lo
	v_or_b32_e32 v79, 1, v78
	v_cndmask_b32_e32 v81, v69, v66, vcc_lo
	v_cmp_eq_u32_e64 s3, 2, v78
	v_cmp_eq_u32_e64 s6, 3, v78
	;; [unrolled: 1-line block ×5, first 2 shown]
	v_cndmask_b32_e64 v81, v81, v70, s3
	v_cndmask_b32_e64 v87, v87, v84, s3
	v_cmp_eq_u32_e64 s7, 3, v79
	v_cndmask_b32_e64 v88, v69, v66, s2
	v_or_b32_e32 v77, 2, v78
	v_cndmask_b32_e64 v81, v81, v95, s6
	v_cndmask_b32_e64 v87, v87, v98, s6
	v_cndmask_b32_e64 v89, v83, v91, s2
	v_cndmask_b32_e64 v88, v88, v70, s5
	v_cmp_eq_u32_e64 s9, 5, v78
	v_cndmask_b32_e64 v81, v81, v71, s8
	v_cndmask_b32_e64 v87, v87, v85, s8
	v_cmp_eq_u32_e64 s10, 4, v79
	v_cndmask_b32_e64 v88, v88, v95, s7
	v_cmp_eq_u32_e64 s4, 1, v77
	v_cndmask_b32_e64 v89, v89, v84, s5
	v_cndmask_b32_e64 v81, v81, v96, s9
	v_cmp_eq_u32_e64 s11, 6, v78
	v_cndmask_b32_e64 v88, v88, v71, s10
	;; [unrolled: 3-line block ×3, first 2 shown]
	v_cndmask_b32_e64 v89, v89, v98, s7
	v_cndmask_b32_e64 v81, v81, v72, s11
	v_cmp_eq_u32_e64 s13, 7, v78
	v_cndmask_b32_e64 v88, v88, v96, s12
	v_cndmask_b32_e64 v87, v87, v86, s11
	v_cmp_eq_u32_e64 s15, 6, v79
	v_cmp_eq_u32_e64 s16, 2, v77
	v_cndmask_b32_e64 v89, v89, v85, s10
	v_cndmask_b32_e64 v101, v81, v97, s13
	;; [unrolled: 1-line block ×6, first 2 shown]
	v_cmp_eq_u32_e64 s17, 7, v79
	v_cmp_eq_u32_e64 s18, 3, v77
	;; [unrolled: 1-line block ×4, first 2 shown]
	v_cndmask_b32_e64 v87, v87, v84, s16
	v_cndmask_b32_e64 v103, v88, v97, s17
	;; [unrolled: 1-line block ×4, first 2 shown]
	v_or_b32_e32 v81, 3, v78
	v_cndmask_b32_e64 v93, v87, v98, s18
	v_cmp_eq_u32_e64 s23, 6, v77
	v_cndmask_b32_e64 v104, v88, v86, s15
	v_cndmask_b32_e64 v92, v89, v71, s19
	v_cmp_eq_u32_e64 s20, 1, v81
	ds_load_b128 v[87:90], v82 offset:1024
	v_cmp_eq_u32_e64 s22, 2, v81
	v_cmp_eq_u32_e64 s24, 3, v81
	v_cndmask_b32_e64 v105, v92, v96, s21
	v_cndmask_b32_e64 v66, v69, v66, s20
	;; [unrolled: 1-line block ×4, first 2 shown]
	ds_load_b128 v[91:94], v82 offset:1040
	v_cmp_eq_u32_e64 s25, 4, v81
	v_cndmask_b32_e64 v66, v66, v70, s22
	v_cmp_eq_u32_e64 s26, 7, v77
	v_cndmask_b32_e64 v70, v83, v84, s22
	v_cndmask_b32_e64 v84, v105, v72, s23
	v_cmp_eq_u32_e64 s27, 5, v81
	v_cndmask_b32_e64 v66, v66, v95, s24
	v_cmp_eq_u32_e64 s28, 6, v81
	v_cndmask_b32_e64 v70, v70, v98, s24
	v_cndmask_b32_e64 v69, v69, v99, s21
	;; [unrolled: 1-line block ×4, first 2 shown]
	s_waitcnt lgkmcnt(1)
	v_lshrrev_b32_e32 v95, 16, v87
	v_cndmask_b32_e64 v70, v70, v85, s25
	v_cndmask_b32_e64 v71, v84, v97, s26
	;; [unrolled: 1-line block ×4, first 2 shown]
	v_cndmask_b32_e32 v84, v87, v95, vcc_lo
	v_cndmask_b32_e64 v70, v70, v99, s27
	s_waitcnt lgkmcnt(0)
	v_lshrrev_b32_e32 v85, 16, v91
	v_lshrrev_b32_e32 v96, 16, v88
	v_cndmask_b32_e64 v98, v87, v95, s2
	v_cndmask_b32_e64 v84, v84, v88, s3
	;; [unrolled: 1-line block ×3, first 2 shown]
	v_cndmask_b32_e32 v99, v91, v85, vcc_lo
	v_cmp_eq_u32_e32 vcc_lo, 7, v81
	v_cndmask_b32_e64 v66, v66, v72, s28
	v_cndmask_b32_e64 v72, v84, v96, s6
	;; [unrolled: 1-line block ×3, first 2 shown]
	v_lshrrev_b32_e32 v98, 16, v92
	v_cndmask_b32_e32 v70, v70, v100, vcc_lo
	v_cndmask_b32_e64 v86, v99, v92, s3
	v_cndmask_b32_e64 v69, v69, v100, s26
	v_lshrrev_b32_e32 v100, 16, v93
	v_cndmask_b32_e64 v72, v72, v89, s8
	v_lshrrev_b32_e32 v99, 16, v89
	v_cndmask_b32_e64 v86, v86, v98, s6
	v_perm_b32 v71, v69, v71, 0x5040100
	v_cndmask_b32_e64 v84, v84, v96, s7
	s_delay_alu instid0(VALU_DEP_3) | instskip(NEXT) | instid1(VALU_DEP_2)
	v_cndmask_b32_e64 v86, v86, v93, s8
	v_cndmask_b32_e64 v84, v84, v89, s10
	s_delay_alu instid0(VALU_DEP_2) | instskip(NEXT) | instid1(VALU_DEP_1)
	v_cndmask_b32_e64 v86, v86, v100, s9
	v_cndmask_b32_e64 v69, v86, v94, s11
	;; [unrolled: 1-line block ×5, first 2 shown]
	s_delay_alu instid0(VALU_DEP_3) | instskip(NEXT) | instid1(VALU_DEP_3)
	v_cndmask_b32_e64 v86, v86, v88, s16
	v_cndmask_b32_e64 v87, v87, v88, s22
	s_delay_alu instid0(VALU_DEP_3) | instskip(NEXT) | instid1(VALU_DEP_3)
	v_cndmask_b32_e64 v88, v95, v92, s22
	v_cndmask_b32_e64 v86, v86, v96, s18
	;; [unrolled: 3-line block ×7, first 2 shown]
	s_delay_alu instid0(VALU_DEP_3) | instskip(SKIP_2) | instid1(VALU_DEP_2)
	v_cndmask_b32_e64 v88, v88, v94, s28
	v_cndmask_b32_e32 v66, v66, v97, vcc_lo
	v_cndmask_b32_e64 v97, v72, v99, s9
	v_perm_b32 v72, v70, v66, 0x5040100
	v_perm_b32 v70, v83, v103, 0x5040100
	v_cndmask_b32_e64 v103, v91, v85, s4
	v_cndmask_b32_e64 v85, v91, v85, s2
	;; [unrolled: 1-line block ×4, first 2 shown]
	v_lshrrev_b32_e32 v97, 16, v90
	v_cndmask_b32_e64 v91, v103, v92, s16
	v_cndmask_b32_e64 v85, v85, v92, s5
	;; [unrolled: 1-line block ×3, first 2 shown]
	s_mov_b32 s2, exec_lo
	v_cndmask_b32_e64 v83, v84, v97, s13
	v_cndmask_b32_e64 v91, v91, v98, s18
	;; [unrolled: 1-line block ×3, first 2 shown]
	v_lshrrev_b32_e32 v84, 16, v94
	v_cndmask_b32_e64 v66, v66, v97, s17
	v_cndmask_b32_e64 v90, v86, v97, s26
	;; [unrolled: 1-line block ×4, first 2 shown]
	v_dual_cndmask_b32 v86, v87, v97 :: v_dual_cndmask_b32 v87, v88, v84
	v_cndmask_b32_e64 v91, v69, v84, s13
	s_delay_alu instid0(VALU_DEP_4) | instskip(NEXT) | instid1(VALU_DEP_4)
	v_cndmask_b32_e64 v89, v89, v100, s21
	v_cndmask_b32_e64 v85, v85, v100, s12
	v_perm_b32 v69, v102, v101, 0x5040100
	v_perm_b32 v86, v87, v86, 0x5040100
	;; [unrolled: 1-line block ×3, first 2 shown]
	v_cndmask_b32_e64 v89, v89, v94, s23
	v_cndmask_b32_e64 v85, v85, v94, s15
	s_mul_i32 s7, s35, 14
	s_delay_alu instid0(VALU_DEP_2) | instskip(NEXT) | instid1(VALU_DEP_2)
	v_cndmask_b32_e64 v88, v89, v84, s26
	v_cndmask_b32_e64 v89, v85, v84, s17
	s_delay_alu instid0(VALU_DEP_2) | instskip(NEXT) | instid1(VALU_DEP_2)
	v_perm_b32 v85, v88, v90, 0x5040100
	v_perm_b32 v84, v89, v66, 0x5040100
	ds_store_b128 v76, v[69:72]
	ds_store_b128 v76, v[83:86] offset:1024
	v_cmpx_gt_u32_e32 14, v0
	s_cbranch_execz .LBB1803_78
; %bb.77:
	s_mul_i32 s3, s7, s30
	s_load_b128 s[8:11], s[0:1], 0x58
	v_add3_u32 v69, s3, s29, v65
	s_delay_alu instid0(VALU_DEP_1) | instskip(NEXT) | instid1(VALU_DEP_1)
	v_mad_u64_u32 v[65:66], null, v69, s34, s[14:15]
	v_ashrrev_i32_e32 v66, 31, v65
	s_delay_alu instid0(VALU_DEP_1) | instskip(SKIP_1) | instid1(VALU_DEP_1)
	v_lshlrev_b64 v[65:66], 2, v[65:66]
	s_waitcnt lgkmcnt(0)
	v_add_co_u32 v69, vcc_lo, s10, v65
	s_delay_alu instid0(VALU_DEP_2)
	v_add_co_ci_u32_e32 v70, vcc_lo, s11, v66, vcc_lo
	v_add_co_u32 v65, vcc_lo, s8, v65
	v_add_co_ci_u32_e32 v66, vcc_lo, s9, v66, vcc_lo
	global_store_b32 v[69:70], v67, off
	global_store_b32 v[65:66], v68, off
.LBB1803_78:
	s_or_b32 exec_lo, exec_lo, s2
	s_waitcnt lgkmcnt(0)
	s_waitcnt_vscnt null, 0x0
	s_barrier
	buffer_gl0_inv
	ds_load_b128 v[83:86], v80
	ds_load_b128 v[87:90], v80 offset:16
	ds_load_b128 v[95:98], v80 offset:2064
	;; [unrolled: 1-line block ×3, first 2 shown]
	v_mov_b32_e32 v65, 0
	ds_load_b128 v[103:106], v80 offset:4112
	ds_load_b128 v[99:102], v80 offset:4096
	;; [unrolled: 1-line block ×4, first 2 shown]
	v_mov_b32_e32 v66, v65
	v_mov_b32_e32 v67, v65
	;; [unrolled: 1-line block ×7, first 2 shown]
	s_waitcnt lgkmcnt(6)
	s_delay_alu instid0(VALU_DEP_1)
	v_wmma_f32_16x16x16_bf16 v[65:72], v[49:56], v[83:90], v[65:72]
	ds_load_b128 v[53:56], v80 offset:8208
	ds_load_b128 v[49:52], v80 offset:8192
	s_waitcnt lgkmcnt(6)
	v_wmma_f32_16x16x16_bf16 v[65:72], v[41:48], v[91:98], v[65:72]
	ds_load_b128 v[45:48], v80 offset:10256
	ds_load_b128 v[41:44], v80 offset:10240
	s_waitcnt lgkmcnt(6)
	;; [unrolled: 4-line block ×4, first 2 shown]
	v_wmma_f32_16x16x16_bf16 v[65:72], v[1:8], v[49:56], v[65:72]
	s_waitcnt lgkmcnt(4)
	s_delay_alu instid0(VALU_DEP_1) | instskip(SKIP_1) | instid1(VALU_DEP_1)
	v_wmma_f32_16x16x16_bf16 v[65:72], v[9:16], v[41:48], v[65:72]
	s_waitcnt lgkmcnt(2)
	v_wmma_f32_16x16x16_bf16 v[65:72], v[17:24], v[33:40], v[65:72]
	s_waitcnt lgkmcnt(0)
	s_delay_alu instid0(VALU_DEP_1) | instskip(NEXT) | instid1(VALU_DEP_1)
	v_wmma_f32_16x16x16_bf16 v[65:72], v[57:64], v[25:32], v[65:72]
	v_and_b32_e32 v1, 0x7f800000, v65
	s_delay_alu instid0(VALU_DEP_1) | instskip(SKIP_1) | instid1(SALU_CYCLE_1)
	v_cmp_ne_u32_e32 vcc_lo, 0x7f800000, v1
                                        ; implicit-def: $vgpr1
	s_and_saveexec_b32 s2, vcc_lo
	s_xor_b32 s2, exec_lo, s2
; %bb.79:
	v_bfe_u32 v1, v65, 16, 1
	s_delay_alu instid0(VALU_DEP_1)
	v_add3_u32 v1, v65, v1, 0x7fff
; %bb.80:
	s_and_not1_saveexec_b32 s2, s2
; %bb.81:
	v_and_b32_e32 v1, 0xffff, v65
	v_or_b32_e32 v2, 0x10000, v65
	s_delay_alu instid0(VALU_DEP_2) | instskip(NEXT) | instid1(VALU_DEP_2)
	v_cmp_eq_u32_e32 vcc_lo, 0, v1
	v_cndmask_b32_e32 v1, v2, v65, vcc_lo
; %bb.82:
	s_or_b32 exec_lo, exec_lo, s2
	v_and_b32_e32 v2, 0x7f800000, v66
	s_delay_alu instid0(VALU_DEP_1) | instskip(SKIP_1) | instid1(SALU_CYCLE_1)
	v_cmp_ne_u32_e32 vcc_lo, 0x7f800000, v2
                                        ; implicit-def: $vgpr2
	s_and_saveexec_b32 s2, vcc_lo
	s_xor_b32 s2, exec_lo, s2
; %bb.83:
	v_bfe_u32 v2, v66, 16, 1
	s_delay_alu instid0(VALU_DEP_1)
	v_add3_u32 v2, v66, v2, 0x7fff
; %bb.84:
	s_and_not1_saveexec_b32 s2, s2
; %bb.85:
	v_and_b32_e32 v2, 0xffff, v66
	v_or_b32_e32 v3, 0x10000, v66
	s_delay_alu instid0(VALU_DEP_2) | instskip(NEXT) | instid1(VALU_DEP_2)
	v_cmp_eq_u32_e32 vcc_lo, 0, v2
	v_cndmask_b32_e32 v2, v3, v66, vcc_lo
; %bb.86:
	s_or_b32 exec_lo, exec_lo, s2
	v_and_b32_e32 v3, 0x7f800000, v67
	s_delay_alu instid0(VALU_DEP_1) | instskip(SKIP_1) | instid1(SALU_CYCLE_1)
	v_cmp_ne_u32_e32 vcc_lo, 0x7f800000, v3
                                        ; implicit-def: $vgpr3
	s_and_saveexec_b32 s2, vcc_lo
	s_xor_b32 s2, exec_lo, s2
; %bb.87:
	v_bfe_u32 v3, v67, 16, 1
	s_delay_alu instid0(VALU_DEP_1)
	v_add3_u32 v3, v67, v3, 0x7fff
; %bb.88:
	s_and_not1_saveexec_b32 s2, s2
; %bb.89:
	v_and_b32_e32 v3, 0xffff, v67
	v_or_b32_e32 v4, 0x10000, v67
	s_delay_alu instid0(VALU_DEP_2) | instskip(NEXT) | instid1(VALU_DEP_2)
	v_cmp_eq_u32_e32 vcc_lo, 0, v3
	v_cndmask_b32_e32 v3, v4, v67, vcc_lo
; %bb.90:
	s_or_b32 exec_lo, exec_lo, s2
	v_and_b32_e32 v4, 0x7f800000, v68
	s_delay_alu instid0(VALU_DEP_1) | instskip(SKIP_1) | instid1(SALU_CYCLE_1)
	v_cmp_ne_u32_e32 vcc_lo, 0x7f800000, v4
                                        ; implicit-def: $vgpr4
	s_and_saveexec_b32 s2, vcc_lo
	s_xor_b32 s2, exec_lo, s2
; %bb.91:
	v_bfe_u32 v4, v68, 16, 1
	s_delay_alu instid0(VALU_DEP_1)
	v_add3_u32 v4, v68, v4, 0x7fff
; %bb.92:
	s_and_not1_saveexec_b32 s2, s2
; %bb.93:
	v_and_b32_e32 v4, 0xffff, v68
	v_or_b32_e32 v5, 0x10000, v68
	s_delay_alu instid0(VALU_DEP_2) | instskip(NEXT) | instid1(VALU_DEP_2)
	v_cmp_eq_u32_e32 vcc_lo, 0, v4
	v_cndmask_b32_e32 v4, v5, v68, vcc_lo
; %bb.94:
	s_or_b32 exec_lo, exec_lo, s2
	v_and_b32_e32 v5, 0x7f800000, v69
	s_delay_alu instid0(VALU_DEP_1) | instskip(SKIP_1) | instid1(SALU_CYCLE_1)
	v_cmp_ne_u32_e32 vcc_lo, 0x7f800000, v5
                                        ; implicit-def: $vgpr5
	s_and_saveexec_b32 s2, vcc_lo
	s_xor_b32 s2, exec_lo, s2
; %bb.95:
	v_bfe_u32 v5, v69, 16, 1
	s_delay_alu instid0(VALU_DEP_1)
	v_add3_u32 v5, v69, v5, 0x7fff
; %bb.96:
	s_and_not1_saveexec_b32 s2, s2
; %bb.97:
	v_and_b32_e32 v5, 0xffff, v69
	v_or_b32_e32 v6, 0x10000, v69
	s_delay_alu instid0(VALU_DEP_2) | instskip(NEXT) | instid1(VALU_DEP_2)
	v_cmp_eq_u32_e32 vcc_lo, 0, v5
	v_cndmask_b32_e32 v5, v6, v69, vcc_lo
; %bb.98:
	s_or_b32 exec_lo, exec_lo, s2
	v_and_b32_e32 v6, 0x7f800000, v70
	s_delay_alu instid0(VALU_DEP_1) | instskip(SKIP_1) | instid1(SALU_CYCLE_1)
	v_cmp_ne_u32_e32 vcc_lo, 0x7f800000, v6
                                        ; implicit-def: $vgpr6
	s_and_saveexec_b32 s2, vcc_lo
	s_xor_b32 s2, exec_lo, s2
; %bb.99:
	v_bfe_u32 v6, v70, 16, 1
	s_delay_alu instid0(VALU_DEP_1)
	v_add3_u32 v6, v70, v6, 0x7fff
; %bb.100:
	s_and_not1_saveexec_b32 s2, s2
; %bb.101:
	v_and_b32_e32 v6, 0xffff, v70
	v_or_b32_e32 v7, 0x10000, v70
	s_delay_alu instid0(VALU_DEP_2) | instskip(NEXT) | instid1(VALU_DEP_2)
	v_cmp_eq_u32_e32 vcc_lo, 0, v6
	v_cndmask_b32_e32 v6, v7, v70, vcc_lo
; %bb.102:
	s_or_b32 exec_lo, exec_lo, s2
	v_and_b32_e32 v7, 0x7f800000, v71
	s_delay_alu instid0(VALU_DEP_1) | instskip(SKIP_1) | instid1(SALU_CYCLE_1)
	v_cmp_ne_u32_e32 vcc_lo, 0x7f800000, v7
                                        ; implicit-def: $vgpr7
	s_and_saveexec_b32 s2, vcc_lo
	s_xor_b32 s2, exec_lo, s2
; %bb.103:
	v_bfe_u32 v7, v71, 16, 1
	s_delay_alu instid0(VALU_DEP_1)
	v_add3_u32 v7, v71, v7, 0x7fff
; %bb.104:
	s_and_not1_saveexec_b32 s2, s2
; %bb.105:
	v_and_b32_e32 v7, 0xffff, v71
	v_or_b32_e32 v8, 0x10000, v71
	s_delay_alu instid0(VALU_DEP_2) | instskip(NEXT) | instid1(VALU_DEP_2)
	v_cmp_eq_u32_e32 vcc_lo, 0, v7
	v_cndmask_b32_e32 v7, v8, v71, vcc_lo
; %bb.106:
	s_or_b32 exec_lo, exec_lo, s2
	v_and_b32_e32 v8, 0x7f800000, v72
	s_delay_alu instid0(VALU_DEP_1) | instskip(SKIP_1) | instid1(SALU_CYCLE_1)
	v_cmp_ne_u32_e32 vcc_lo, 0x7f800000, v8
                                        ; implicit-def: $vgpr8
	s_and_saveexec_b32 s2, vcc_lo
	s_xor_b32 s2, exec_lo, s2
; %bb.107:
	v_bfe_u32 v8, v72, 16, 1
	s_delay_alu instid0(VALU_DEP_1)
	v_add3_u32 v8, v72, v8, 0x7fff
                                        ; implicit-def: $vgpr65_vgpr66_vgpr67_vgpr68_vgpr69_vgpr70_vgpr71_vgpr72
; %bb.108:
	s_and_not1_saveexec_b32 s2, s2
; %bb.109:
	v_and_b32_e32 v8, 0xffff, v72
	v_or_b32_e32 v9, 0x10000, v72
	s_delay_alu instid0(VALU_DEP_2) | instskip(NEXT) | instid1(VALU_DEP_2)
	v_cmp_eq_u32_e32 vcc_lo, 0, v8
	v_cndmask_b32_e32 v8, v9, v72, vcc_lo
; %bb.110:
	s_or_b32 exec_lo, exec_lo, s2
	s_delay_alu instid0(VALU_DEP_1)
	v_perm_b32 v7, v8, v7, 0x7060302
	v_perm_b32 v6, v6, v5, 0x7060302
	;; [unrolled: 1-line block ×4, first 2 shown]
	s_barrier
	buffer_gl0_inv
	v_cmp_eq_u32_e32 vcc_lo, 1, v78
	ds_store_b128 v76, v[4:7]
	s_waitcnt lgkmcnt(0)
	s_barrier
	buffer_gl0_inv
	ds_load_b128 v[1:4], v82
	ds_load_b128 v[5:8], v82 offset:16
	v_cmp_eq_u32_e64 s2, 1, v79
	v_cmp_eq_u32_e64 s3, 2, v78
	;; [unrolled: 1-line block ×5, first 2 shown]
	s_waitcnt lgkmcnt(1)
	v_lshrrev_b32_e32 v9, 16, v1
	s_waitcnt lgkmcnt(0)
	v_lshrrev_b32_e32 v13, 16, v5
	v_lshrrev_b32_e32 v10, 16, v2
	;; [unrolled: 1-line block ×4, first 2 shown]
	v_cndmask_b32_e64 v19, v1, v9, s2
	v_cndmask_b32_e32 v18, v5, v13, vcc_lo
	v_cndmask_b32_e64 v20, v5, v13, s2
	v_cndmask_b32_e32 v17, v1, v9, vcc_lo
	v_cmp_eq_u32_e32 vcc_lo, 2, v79
	v_lshrrev_b32_e32 v15, 16, v7
	v_cmp_eq_u32_e64 s2, 1, v77
	v_lshrrev_b32_e32 v12, 16, v4
	v_lshrrev_b32_e32 v16, 16, v8
	v_cndmask_b32_e32 v20, v20, v6, vcc_lo
	v_cndmask_b32_e64 v17, v17, v2, s3
	v_cndmask_b32_e32 v19, v19, v2, vcc_lo
	v_cndmask_b32_e64 v18, v18, v6, s3
	v_cmp_eq_u32_e32 vcc_lo, 4, v78
	v_cmp_eq_u32_e64 s3, 3, v79
	v_cndmask_b32_e64 v17, v17, v10, s4
	v_cndmask_b32_e64 v21, v1, v9, s2
	v_cndmask_b32_e64 v18, v18, v14, s4
	v_cndmask_b32_e64 v22, v5, v13, s2
	v_cndmask_b32_e64 v19, v19, v10, s3
	v_cndmask_b32_e32 v17, v17, v3, vcc_lo
	v_cndmask_b32_e64 v20, v20, v14, s3
	v_cndmask_b32_e32 v18, v18, v7, vcc_lo
	v_cmp_eq_u32_e32 vcc_lo, 4, v79
	v_cmp_eq_u32_e64 s3, 5, v79
	v_cmp_eq_u32_e64 s2, 2, v81
	v_cndmask_b32_e64 v21, v21, v2, s6
	v_cmp_eq_u32_e64 s4, 5, v78
	v_cndmask_b32_e32 v19, v19, v3, vcc_lo
	v_cndmask_b32_e32 v20, v20, v7, vcc_lo
	v_cmp_eq_u32_e32 vcc_lo, 6, v79
	s_delay_alu instid0(VALU_DEP_4) | instskip(NEXT) | instid1(VALU_DEP_4)
	v_cndmask_b32_e64 v17, v17, v11, s4
	v_cndmask_b32_e64 v19, v19, v11, s3
	s_delay_alu instid0(VALU_DEP_4) | instskip(SKIP_1) | instid1(VALU_DEP_3)
	v_cndmask_b32_e64 v20, v20, v15, s3
	v_cmp_eq_u32_e64 s3, 1, v81
	v_cndmask_b32_e32 v19, v19, v4, vcc_lo
	v_cndmask_b32_e64 v18, v18, v15, s4
	s_delay_alu instid0(VALU_DEP_3)
	v_cndmask_b32_e64 v1, v1, v9, s3
	v_cndmask_b32_e64 v5, v5, v13, s3
	v_cmp_eq_u32_e64 s3, 3, v77
	v_cndmask_b32_e64 v13, v22, v6, s6
	v_cmp_eq_u32_e64 s6, 3, v81
	v_cndmask_b32_e64 v1, v1, v2, s2
	v_cndmask_b32_e64 v2, v5, v6, s2
	;; [unrolled: 1-line block ×3, first 2 shown]
	v_cmp_eq_u32_e64 s2, 4, v77
	v_cndmask_b32_e64 v6, v13, v14, s3
	v_cndmask_b32_e64 v1, v1, v10, s6
	v_cmp_eq_u32_e64 s3, 4, v81
	v_cndmask_b32_e64 v2, v2, v14, s6
	v_cndmask_b32_e64 v5, v9, v3, s2
	;; [unrolled: 3-line block ×3, first 2 shown]
	v_cndmask_b32_e64 v2, v2, v7, s3
	v_cmp_eq_u32_e64 s2, 5, v81
	v_cmp_eq_u32_e64 s4, 6, v78
	v_cndmask_b32_e64 v5, v5, v11, s6
	v_cmp_eq_u32_e64 s3, 6, v77
	v_cndmask_b32_e64 v3, v6, v15, s6
	v_cndmask_b32_e64 v1, v1, v11, s2
	v_cmp_eq_u32_e64 s6, 6, v81
	v_cndmask_b32_e64 v2, v2, v15, s2
	v_cndmask_b32_e64 v17, v17, v4, s4
	v_cndmask_b32_e64 v18, v18, v8, s4
	v_cmp_eq_u32_e64 s4, 7, v78
	v_cndmask_b32_e64 v5, v5, v4, s3
	;; [unrolled: 4-line block ×3, first 2 shown]
	v_cmp_eq_u32_e64 s3, 7, v77
	v_cndmask_b32_e32 v4, v20, v8, vcc_lo
	v_cndmask_b32_e64 v17, v17, v12, s4
	v_cndmask_b32_e64 v19, v19, v12, s5
	;; [unrolled: 1-line block ×8, first 2 shown]
	s_mov_b32 s2, exec_lo
	v_perm_b32 v4, v2, v1, 0x5040100
	v_perm_b32 v3, v3, v5, 0x5040100
	;; [unrolled: 1-line block ×4, first 2 shown]
	ds_store_b128 v76, v[1:4]
	s_waitcnt lgkmcnt(0)
	s_barrier
	buffer_gl0_inv
	v_cmpx_gt_u32_e32 32, v0
	s_cbranch_execz .LBB1803_2
; %bb.111:
	s_load_b64 s[0:1], s[0:1], 0x68
	v_lshlrev_b32_e32 v0, 10, v0
	s_lshl_b32 s4, s34, 7
	v_or_b32_e32 v3, s29, v74
	s_mul_i32 s2, s4, s30
	v_lshlrev_b32_e32 v1, 4, v75
	v_lshlrev_b32_e32 v2, 6, v74
	v_and_b32_e32 v0, 0x3800, v0
	s_mul_i32 s2, s2, s7
	v_mul_lo_u32 v8, v3, s4
	s_ashr_i32 s3, s2, 31
	s_delay_alu instid0(SALU_CYCLE_1)
	s_lshl_b64 s[2:3], s[2:3], 1
	v_or3_b32 v16, v0, v1, v2
	ds_load_b128 v[0:3], v16
	ds_load_b128 v[4:7], v16 offset:128
	v_ashrrev_i32_e32 v9, 31, v8
	s_waitcnt lgkmcnt(0)
	s_add_u32 s2, s0, s2
	s_addc_u32 s3, s1, s3
	s_lshl_b32 s0, s14, 7
	s_delay_alu instid0(SALU_CYCLE_1) | instskip(SKIP_2) | instid1(SALU_CYCLE_1)
	s_ashr_i32 s1, s0, 31
	v_lshlrev_b64 v[9:10], 1, v[8:9]
	s_lshl_b64 s[0:1], s[0:1], 1
	s_add_u32 s0, s2, s0
	s_addc_u32 s1, s3, s1
	s_lshl_b32 s2, s34, 8
	v_add_co_u32 v30, s0, s0, v73
	v_add_nc_u32_e32 v11, s2, v8
	v_add_co_ci_u32_e64 v31, null, s1, 0, s0
	s_delay_alu instid0(VALU_DEP_3) | instskip(NEXT) | instid1(VALU_DEP_3)
	v_add_co_u32 v9, vcc_lo, v30, v9
	v_add_nc_u32_e32 v8, s2, v11
	s_delay_alu instid0(VALU_DEP_3) | instskip(SKIP_1) | instid1(VALU_DEP_3)
	v_add_co_ci_u32_e32 v10, vcc_lo, v31, v10, vcc_lo
	v_ashrrev_i32_e32 v12, 31, v11
	v_add_nc_u32_e32 v13, s2, v8
	global_store_b128 v[9:10], v[0:3], off
	v_ashrrev_i32_e32 v9, 31, v8
	v_lshlrev_b64 v[11:12], 1, v[11:12]
	v_ashrrev_i32_e32 v14, 31, v13
	v_add_nc_u32_e32 v10, s2, v13
	s_delay_alu instid0(VALU_DEP_4) | instskip(NEXT) | instid1(VALU_DEP_4)
	v_lshlrev_b64 v[2:3], 1, v[8:9]
	v_add_co_u32 v0, vcc_lo, v30, v11
	s_delay_alu instid0(VALU_DEP_4)
	v_lshlrev_b64 v[8:9], 1, v[13:14]
	v_add_co_ci_u32_e32 v1, vcc_lo, v31, v12, vcc_lo
	v_ashrrev_i32_e32 v11, 31, v10
	v_add_co_u32 v22, vcc_lo, v30, v2
	v_add_nc_u32_e32 v20, s2, v10
	v_add_co_ci_u32_e32 v23, vcc_lo, v31, v3, vcc_lo
	v_add_co_u32 v24, vcc_lo, v30, v8
	global_store_b128 v[0:1], v[4:7], off
	v_add_co_ci_u32_e32 v25, vcc_lo, v31, v9, vcc_lo
	ds_load_b128 v[0:3], v16 offset:256
	ds_load_b128 v[4:7], v16 offset:384
	v_lshlrev_b64 v[26:27], 1, v[10:11]
	ds_load_b128 v[8:11], v16 offset:512
	ds_load_b128 v[12:15], v16 offset:640
	;; [unrolled: 1-line block ×3, first 2 shown]
	v_add_nc_u32_e32 v28, s2, v20
	v_ashrrev_i32_e32 v21, 31, v20
	v_add_co_u32 v26, vcc_lo, v30, v26
	s_delay_alu instid0(VALU_DEP_3) | instskip(NEXT) | instid1(VALU_DEP_3)
	v_ashrrev_i32_e32 v29, 31, v28
	v_lshlrev_b64 v[20:21], 1, v[20:21]
	v_add_co_ci_u32_e32 v27, vcc_lo, v31, v27, vcc_lo
	s_delay_alu instid0(VALU_DEP_3) | instskip(NEXT) | instid1(VALU_DEP_3)
	v_lshlrev_b64 v[28:29], 1, v[28:29]
	v_add_co_u32 v20, vcc_lo, v30, v20
	s_delay_alu instid0(VALU_DEP_4) | instskip(NEXT) | instid1(VALU_DEP_3)
	v_add_co_ci_u32_e32 v21, vcc_lo, v31, v21, vcc_lo
	v_add_co_u32 v28, vcc_lo, v30, v28
	s_delay_alu instid0(VALU_DEP_4)
	v_add_co_ci_u32_e32 v29, vcc_lo, v31, v29, vcc_lo
	s_waitcnt lgkmcnt(4)
	global_store_b128 v[22:23], v[0:3], off
	s_waitcnt lgkmcnt(3)
	global_store_b128 v[24:25], v[4:7], off
	;; [unrolled: 2-line block ×5, first 2 shown]
	s_nop 0
	s_sendmsg sendmsg(MSG_DEALLOC_VGPRS)
	s_endpgm
	.section	.rodata,"a",@progbits
	.p2align	6, 0x0
	.amdhsa_kernel _Z39paged_attention_ll4mi_QKV_mfma16_kernelI14__hip_bfloat16hLN4vllm18Fp8KVCacheDataTypeE1EhLi16ELi128ELi256ELb1ELi14EL8MFMAType0EEvPKT_PKT0_S9_ifPKiSB_SB_iPKfiiiPfSE_PS4_PT2_iSD_SD_
		.amdhsa_group_segment_fixed_size 17472
		.amdhsa_private_segment_fixed_size 0
		.amdhsa_kernarg_size 400
		.amdhsa_user_sgpr_count 13
		.amdhsa_user_sgpr_dispatch_ptr 0
		.amdhsa_user_sgpr_queue_ptr 0
		.amdhsa_user_sgpr_kernarg_segment_ptr 1
		.amdhsa_user_sgpr_dispatch_id 0
		.amdhsa_user_sgpr_private_segment_size 0
		.amdhsa_wavefront_size32 1
		.amdhsa_uses_dynamic_stack 0
		.amdhsa_enable_private_segment 0
		.amdhsa_system_sgpr_workgroup_id_x 1
		.amdhsa_system_sgpr_workgroup_id_y 1
		.amdhsa_system_sgpr_workgroup_id_z 1
		.amdhsa_system_sgpr_workgroup_info 0
		.amdhsa_system_vgpr_workitem_id 0
		.amdhsa_next_free_vgpr 140
		.amdhsa_next_free_sgpr 36
		.amdhsa_reserve_vcc 1
		.amdhsa_float_round_mode_32 0
		.amdhsa_float_round_mode_16_64 0
		.amdhsa_float_denorm_mode_32 3
		.amdhsa_float_denorm_mode_16_64 3
		.amdhsa_dx10_clamp 1
		.amdhsa_ieee_mode 1
		.amdhsa_fp16_overflow 0
		.amdhsa_workgroup_processor_mode 1
		.amdhsa_memory_ordered 1
		.amdhsa_forward_progress 0
		.amdhsa_shared_vgpr_count 0
		.amdhsa_exception_fp_ieee_invalid_op 0
		.amdhsa_exception_fp_denorm_src 0
		.amdhsa_exception_fp_ieee_div_zero 0
		.amdhsa_exception_fp_ieee_overflow 0
		.amdhsa_exception_fp_ieee_underflow 0
		.amdhsa_exception_fp_ieee_inexact 0
		.amdhsa_exception_int_div_zero 0
	.end_amdhsa_kernel
	.section	.text._Z39paged_attention_ll4mi_QKV_mfma16_kernelI14__hip_bfloat16hLN4vllm18Fp8KVCacheDataTypeE1EhLi16ELi128ELi256ELb1ELi14EL8MFMAType0EEvPKT_PKT0_S9_ifPKiSB_SB_iPKfiiiPfSE_PS4_PT2_iSD_SD_,"axG",@progbits,_Z39paged_attention_ll4mi_QKV_mfma16_kernelI14__hip_bfloat16hLN4vllm18Fp8KVCacheDataTypeE1EhLi16ELi128ELi256ELb1ELi14EL8MFMAType0EEvPKT_PKT0_S9_ifPKiSB_SB_iPKfiiiPfSE_PS4_PT2_iSD_SD_,comdat
.Lfunc_end1803:
	.size	_Z39paged_attention_ll4mi_QKV_mfma16_kernelI14__hip_bfloat16hLN4vllm18Fp8KVCacheDataTypeE1EhLi16ELi128ELi256ELb1ELi14EL8MFMAType0EEvPKT_PKT0_S9_ifPKiSB_SB_iPKfiiiPfSE_PS4_PT2_iSD_SD_, .Lfunc_end1803-_Z39paged_attention_ll4mi_QKV_mfma16_kernelI14__hip_bfloat16hLN4vllm18Fp8KVCacheDataTypeE1EhLi16ELi128ELi256ELb1ELi14EL8MFMAType0EEvPKT_PKT0_S9_ifPKiSB_SB_iPKfiiiPfSE_PS4_PT2_iSD_SD_
                                        ; -- End function
	.section	.AMDGPU.csdata,"",@progbits
; Kernel info:
; codeLenInByte = 9008
; NumSgprs: 38
; NumVgprs: 140
; ScratchSize: 0
; MemoryBound: 0
; FloatMode: 240
; IeeeMode: 1
; LDSByteSize: 17472 bytes/workgroup (compile time only)
; SGPRBlocks: 4
; VGPRBlocks: 17
; NumSGPRsForWavesPerEU: 38
; NumVGPRsForWavesPerEU: 140
; Occupancy: 10
; WaveLimiterHint : 1
; COMPUTE_PGM_RSRC2:SCRATCH_EN: 0
; COMPUTE_PGM_RSRC2:USER_SGPR: 13
; COMPUTE_PGM_RSRC2:TRAP_HANDLER: 0
; COMPUTE_PGM_RSRC2:TGID_X_EN: 1
; COMPUTE_PGM_RSRC2:TGID_Y_EN: 1
; COMPUTE_PGM_RSRC2:TGID_Z_EN: 1
; COMPUTE_PGM_RSRC2:TIDIG_COMP_CNT: 0
	.section	.text._Z39paged_attention_ll4mi_QKV_mfma16_kernelI14__hip_bfloat16hLN4vllm18Fp8KVCacheDataTypeE1EhLi16ELi128ELi256ELb1ELi15EL8MFMAType0EEvPKT_PKT0_S9_ifPKiSB_SB_iPKfiiiPfSE_PS4_PT2_iSD_SD_,"axG",@progbits,_Z39paged_attention_ll4mi_QKV_mfma16_kernelI14__hip_bfloat16hLN4vllm18Fp8KVCacheDataTypeE1EhLi16ELi128ELi256ELb1ELi15EL8MFMAType0EEvPKT_PKT0_S9_ifPKiSB_SB_iPKfiiiPfSE_PS4_PT2_iSD_SD_,comdat
	.protected	_Z39paged_attention_ll4mi_QKV_mfma16_kernelI14__hip_bfloat16hLN4vllm18Fp8KVCacheDataTypeE1EhLi16ELi128ELi256ELb1ELi15EL8MFMAType0EEvPKT_PKT0_S9_ifPKiSB_SB_iPKfiiiPfSE_PS4_PT2_iSD_SD_ ; -- Begin function _Z39paged_attention_ll4mi_QKV_mfma16_kernelI14__hip_bfloat16hLN4vllm18Fp8KVCacheDataTypeE1EhLi16ELi128ELi256ELb1ELi15EL8MFMAType0EEvPKT_PKT0_S9_ifPKiSB_SB_iPKfiiiPfSE_PS4_PT2_iSD_SD_
	.globl	_Z39paged_attention_ll4mi_QKV_mfma16_kernelI14__hip_bfloat16hLN4vllm18Fp8KVCacheDataTypeE1EhLi16ELi128ELi256ELb1ELi15EL8MFMAType0EEvPKT_PKT0_S9_ifPKiSB_SB_iPKfiiiPfSE_PS4_PT2_iSD_SD_
	.p2align	8
	.type	_Z39paged_attention_ll4mi_QKV_mfma16_kernelI14__hip_bfloat16hLN4vllm18Fp8KVCacheDataTypeE1EhLi16ELi128ELi256ELb1ELi15EL8MFMAType0EEvPKT_PKT0_S9_ifPKiSB_SB_iPKfiiiPfSE_PS4_PT2_iSD_SD_,@function
_Z39paged_attention_ll4mi_QKV_mfma16_kernelI14__hip_bfloat16hLN4vllm18Fp8KVCacheDataTypeE1EhLi16ELi128ELi256ELb1ELi15EL8MFMAType0EEvPKT_PKT0_S9_ifPKiSB_SB_iPKfiiiPfSE_PS4_PT2_iSD_SD_: ; @_Z39paged_attention_ll4mi_QKV_mfma16_kernelI14__hip_bfloat16hLN4vllm18Fp8KVCacheDataTypeE1EhLi16ELi128ELi256ELb1ELi15EL8MFMAType0EEvPKT_PKT0_S9_ifPKiSB_SB_iPKfiiiPfSE_PS4_PT2_iSD_SD_
; %bb.0:
	s_load_b64 s[4:5], s[0:1], 0x30
	s_mov_b32 s30, s13
	s_waitcnt lgkmcnt(0)
	s_cmp_lg_u64 s[4:5], 0
	s_cselect_b32 s13, -1, 0
	s_ashr_i32 s31, s30, 31
	s_cmp_eq_u64 s[4:5], 0
	s_cbranch_scc1 .LBB1804_3
; %bb.1:
	s_lshl_b64 s[2:3], s[30:31], 2
	s_delay_alu instid0(SALU_CYCLE_1) | instskip(SKIP_4) | instid1(SALU_CYCLE_1)
	s_add_u32 s2, s4, s2
	s_addc_u32 s3, s5, s3
	s_load_b64 s[2:3], s[2:3], 0x0
	s_waitcnt lgkmcnt(0)
	s_sub_i32 s2, s3, s2
	s_cmp_eq_u32 s2, 1
	s_cselect_b32 s2, -1, 0
	s_delay_alu instid0(SALU_CYCLE_1)
	s_and_not1_b32 vcc_lo, exec_lo, s2
	s_cbranch_vccz .LBB1804_4
.LBB1804_2:
	s_nop 0
	s_sendmsg sendmsg(MSG_DEALLOC_VGPRS)
	s_endpgm
.LBB1804_3:
.LBB1804_4:
	s_load_b64 s[2:3], s[0:1], 0x28
	s_lshl_b64 s[6:7], s[30:31], 2
	s_waitcnt lgkmcnt(0)
	s_add_u32 s2, s2, s6
	s_addc_u32 s3, s3, s7
	s_lshl_b32 s12, s14, 8
	s_load_b32 s17, s[2:3], 0x0
	s_waitcnt lgkmcnt(0)
	s_cmp_ge_i32 s12, s17
	s_cbranch_scc1 .LBB1804_2
; %bb.5:
	s_clause 0x1
	s_load_b128 s[8:11], s[0:1], 0x8
	s_load_b64 s[2:3], s[0:1], 0x20
	s_and_not1_b32 vcc_lo, exec_lo, s13
	s_cbranch_vccnz .LBB1804_7
; %bb.6:
	s_add_u32 s4, s4, s6
	s_addc_u32 s5, s5, s7
	s_load_b32 s13, s[4:5], 0x0
	s_branch .LBB1804_8
.LBB1804_7:
	s_mov_b32 s13, s30
.LBB1804_8:
	s_load_b128 s[4:7], s[0:1], 0x48
	v_and_b32_e32 v65, 15, v0
	v_lshrrev_b32_e32 v66, 5, v0
	v_bfe_u32 v74, v0, 4, 1
	v_and_b32_e32 v67, 31, v0
	v_and_b32_e32 v75, 1, v0
	v_lshlrev_b32_e32 v2, 3, v65
	s_mul_i32 s31, s15, 15
	v_lshl_or_b32 v1, v66, 1, v74
	s_waitcnt lgkmcnt(0)
	s_mov_b32 s7, exec_lo
	v_lshlrev_b32_e32 v73, 1, v2
	s_delay_alu instid0(VALU_DEP_2)
	v_cmpx_gt_u32_e32 15, v1
	s_cbranch_execz .LBB1804_10
; %bb.9:
	s_load_b64 s[18:19], s[0:1], 0x0
	v_add_lshl_u32 v2, v1, s31, 7
	s_mul_hi_i32 s21, s13, s4
	s_mul_i32 s20, s13, s4
	v_lshlrev_b32_e32 v6, 10, v65
	s_lshl_b64 s[20:21], s[20:21], 1
	v_ashrrev_i32_e32 v3, 31, v2
	v_lshlrev_b32_e32 v1, 6, v1
	v_lshlrev_b32_e32 v7, 10, v75
	v_and_b32_e32 v6, 0x3800, v6
	s_delay_alu instid0(VALU_DEP_4) | instskip(NEXT) | instid1(VALU_DEP_2)
	v_lshlrev_b64 v[2:3], 1, v[2:3]
	v_or3_b32 v1, v6, v7, v1
	s_waitcnt lgkmcnt(0)
	s_add_u32 s4, s18, s20
	s_addc_u32 s13, s19, s21
	s_delay_alu instid0(VALU_DEP_2) | instskip(SKIP_1) | instid1(VALU_DEP_2)
	v_add_co_u32 v2, vcc_lo, s4, v2
	v_add_co_ci_u32_e32 v3, vcc_lo, s13, v3, vcc_lo
	v_add_co_u32 v2, vcc_lo, v2, v73
	s_delay_alu instid0(VALU_DEP_2)
	v_add_co_ci_u32_e32 v3, vcc_lo, 0, v3, vcc_lo
	global_load_b128 v[2:5], v[2:3], off
	s_waitcnt vmcnt(0)
	ds_store_b128 v1, v[2:5]
.LBB1804_10:
	s_or_b32 exec_lo, exec_lo, s7
	v_and_b32_e32 v1, 0xef, v0
	s_add_i32 s4, s17, 15
	s_clause 0x1
	s_load_b32 s7, s[0:1], 0x38
	s_load_b32 s18, s[0:1], 0x1c
	s_ashr_i32 s13, s4, 31
	v_add_nc_u32_e32 v1, s12, v1
	s_lshr_b32 s13, s13, 28
	s_waitcnt lgkmcnt(0)
	s_add_i32 s4, s4, s13
	s_barrier
	v_ashrrev_i32_e32 v2, 31, v1
	v_or_b32_e32 v3, 16, v1
	s_ashr_i32 s4, s4, 4
	v_cmp_gt_i32_e32 vcc_lo, s17, v1
	s_add_i32 s4, s4, -1
	v_lshrrev_b32_e32 v2, 28, v2
	buffer_gl0_inv
	s_mul_i32 s15, s15, s6
	v_add_nc_u32_e32 v4, v1, v2
	s_mul_i32 s20, s30, s7
	s_delay_alu instid0(SALU_CYCLE_1) | instskip(NEXT) | instid1(VALU_DEP_1)
	s_ashr_i32 s21, s20, 31
	v_ashrrev_i32_e32 v4, 4, v4
	v_add_nc_u32_e32 v2, v3, v2
	s_lshl_b64 s[20:21], s[20:21], 2
	s_delay_alu instid0(SALU_CYCLE_1) | instskip(NEXT) | instid1(VALU_DEP_2)
	s_add_u32 s13, s2, s20
	v_cndmask_b32_e32 v1, s4, v4, vcc_lo
	s_delay_alu instid0(VALU_DEP_2)
	v_ashrrev_i32_e32 v2, 4, v2
	v_cmp_gt_i32_e32 vcc_lo, s17, v3
	s_addc_u32 s16, s3, s21
	s_ashr_i32 s19, s15, 31
	s_add_u32 s26, s8, s15
	s_addc_u32 s27, s9, s19
	v_cndmask_b32_e32 v3, s4, v2, vcc_lo
	v_ashrrev_i32_e32 v2, 31, v1
	s_lshl_b32 s2, s14, 4
	s_delay_alu instid0(SALU_CYCLE_1) | instskip(NEXT) | instid1(VALU_DEP_2)
	s_ashr_i32 s3, s2, 31
	v_ashrrev_i32_e32 v4, 31, v3
	s_delay_alu instid0(VALU_DEP_2) | instskip(SKIP_1) | instid1(SALU_CYCLE_1)
	v_lshlrev_b64 v[1:2], 2, v[1:2]
	s_lshl_b64 s[2:3], s[2:3], 2
	s_add_u32 s2, s13, s2
	s_delay_alu instid0(VALU_DEP_2) | instskip(SKIP_1) | instid1(VALU_DEP_2)
	v_lshlrev_b64 v[3:4], 2, v[3:4]
	s_addc_u32 s3, s16, s3
	v_add_co_u32 v1, vcc_lo, s13, v1
	v_add_co_ci_u32_e32 v2, vcc_lo, s16, v2, vcc_lo
	s_delay_alu instid0(VALU_DEP_3) | instskip(NEXT) | instid1(VALU_DEP_4)
	v_add_co_u32 v3, vcc_lo, s13, v3
	v_add_co_ci_u32_e32 v4, vcc_lo, s16, v4, vcc_lo
	s_clause 0x1
	global_load_b32 v5, v[1:2], off
	global_load_b32 v3, v[3:4], off
	s_or_b32 s6, s12, 32
	v_cmp_ne_u32_e32 vcc_lo, 15, v65
	s_ashr_i32 s7, s6, 4
	s_cmp_lt_i32 s6, s17
	s_cselect_b32 s6, s7, s4
	s_delay_alu instid0(SALU_CYCLE_1) | instskip(NEXT) | instid1(SALU_CYCLE_1)
	s_ashr_i32 s7, s6, 31
	s_lshl_b64 s[6:7], s[6:7], 2
	s_delay_alu instid0(SALU_CYCLE_1) | instskip(SKIP_2) | instid1(SALU_CYCLE_1)
	s_add_u32 s6, s13, s6
	s_addc_u32 s7, s16, s7
	s_or_b32 s8, s12, 64
	s_ashr_i32 s9, s8, 4
	s_cmp_lt_i32 s8, s17
	s_cselect_b32 s8, s9, s4
	s_delay_alu instid0(SALU_CYCLE_1) | instskip(NEXT) | instid1(SALU_CYCLE_1)
	s_ashr_i32 s9, s8, 31
	s_lshl_b64 s[8:9], s[8:9], 2
	s_delay_alu instid0(SALU_CYCLE_1) | instskip(SKIP_2) | instid1(SALU_CYCLE_1)
	s_add_u32 s8, s13, s8
	s_addc_u32 s9, s16, s9
	s_or_b32 s20, s12, 0x60
	;; [unrolled: 10-line block ×4, first 2 shown]
	s_ashr_i32 s25, s24, 4
	s_cmp_lt_i32 s24, s17
	s_cselect_b32 s24, s25, s4
	s_delay_alu instid0(SALU_CYCLE_1) | instskip(NEXT) | instid1(SALU_CYCLE_1)
	s_ashr_i32 s25, s24, 31
	s_lshl_b64 s[24:25], s[24:25], 2
	s_delay_alu instid0(SALU_CYCLE_1)
	s_add_u32 s24, s13, s24
	s_addc_u32 s25, s16, s25
	s_clause 0x5
	s_load_b32 s28, s[2:3], 0x0
	s_load_b32 s29, s[6:7], 0x0
	;; [unrolled: 1-line block ×6, first 2 shown]
	s_mov_b32 s20, 0
	s_or_b32 s2, s12, 0xc0
	s_mov_b32 s21, s20
	s_mov_b32 s22, s20
	;; [unrolled: 1-line block ×5, first 2 shown]
	v_lshlrev_b32_e32 v1, 4, v0
	s_ashr_i32 s3, s2, 4
	s_cmp_lt_i32 s2, s17
	s_cselect_b32 s2, s3, s4
	s_delay_alu instid0(VALU_DEP_1) | instskip(SKIP_1) | instid1(SALU_CYCLE_1)
	v_and_b32_e32 v1, 0xf0, v1
	s_ashr_i32 s3, s2, 31
	s_lshl_b64 s[2:3], s[2:3], 2
	s_delay_alu instid0(VALU_DEP_1) | instskip(NEXT) | instid1(VALU_DEP_1)
	v_add_co_u32 v1, s26, s26, v1
	v_add_co_ci_u32_e64 v2, null, s27, 0, s26
	s_add_u32 s2, s13, s2
	s_addc_u32 s3, s16, s3
	s_or_b32 s6, s12, 0xe0
	s_mov_b32 s27, s20
	s_ashr_i32 s7, s6, 4
	s_cmp_lt_i32 s6, s17
	s_mov_b32 s26, s20
	s_cselect_b32 s6, s7, s4
	s_delay_alu instid0(SALU_CYCLE_1) | instskip(NEXT) | instid1(SALU_CYCLE_1)
	s_ashr_i32 s7, s6, 31
	s_lshl_b64 s[6:7], s[6:7], 2
	s_waitcnt vmcnt(1)
	v_mad_i64_i32 v[33:34], null, v5, s5, v[1:2]
	s_waitcnt vmcnt(0)
	v_mad_i64_i32 v[35:36], null, v3, s5, v[1:2]
	s_clause 0xf
	global_load_b128 v[1:4], v[33:34], off
	global_load_b128 v[5:8], v[33:34], off offset:256
	global_load_b128 v[9:12], v[35:36], off
	global_load_b128 v[13:16], v[35:36], off offset:256
	global_load_b128 v[17:20], v[33:34], off offset:512
	;; [unrolled: 1-line block ×13, first 2 shown]
	v_cndmask_b32_e32 v33, 0, v65, vcc_lo
	v_dual_mov_b32 v107, s27 :: v_dual_lshlrev_b32 v34, 4, v65
	v_dual_mov_b32 v106, s26 :: v_dual_mov_b32 v105, s25
	s_delay_alu instid0(VALU_DEP_3) | instskip(NEXT) | instid1(VALU_DEP_3)
	v_lshlrev_b32_e32 v72, 6, v33
	v_lshl_or_b32 v41, v66, 8, v34
	ds_load_b128 v[33:36], v72
	ds_load_b128 v[37:40], v72 offset:1024
	ds_load_b128 v[108:111], v72 offset:2048
	;; [unrolled: 1-line block ×3, first 2 shown]
	s_load_b32 s4, s[2:3], 0x0
	s_add_u32 s2, s13, s6
	s_addc_u32 s3, s16, s7
	ds_load_b128 v[116:119], v72 offset:4096
	ds_load_b128 v[120:123], v72 offset:5120
	s_load_b32 s2, s[2:3], 0x0
	s_add_u32 s6, s10, s15
	s_addc_u32 s7, s11, s19
	v_add_co_u32 v68, s6, s6, v41
	s_delay_alu instid0(VALU_DEP_1) | instskip(SKIP_3) | instid1(VALU_DEP_3)
	v_add_co_ci_u32_e64 v69, null, s7, 0, s6
	v_dual_mov_b32 v104, s24 :: v_dual_mov_b32 v103, s23
	v_mov_b32_e32 v102, s22
	s_waitcnt lgkmcnt(0)
	v_mad_i64_i32 v[41:42], null, s28, s5, v[68:69]
	v_mad_i64_i32 v[70:71], null, s8, s5, v[68:69]
	v_dual_mov_b32 v101, s21 :: v_dual_mov_b32 v100, s20
	v_mad_i64_i32 v[45:46], null, s29, s5, v[68:69]
	v_mad_i64_i32 v[132:133], null, s9, s5, v[68:69]
	;; [unrolled: 1-line block ×5, first 2 shown]
	s_clause 0x3
	global_load_b128 v[49:52], v[41:42], off
	global_load_b128 v[53:56], v[41:42], off offset:16
	global_load_b128 v[41:44], v[45:46], off
	global_load_b128 v[45:48], v[45:46], off offset:16
	s_waitcnt vmcnt(18)
	v_wmma_f32_16x16x16_bf16 v[124:131], v[1:8], v[33:40], v[100:107]
	s_waitcnt vmcnt(16)
	v_wmma_f32_16x16x16_bf16 v[100:107], v[9:16], v[33:40], v[100:107]
	s_clause 0x1
	global_load_b128 v[33:36], v[70:71], off
	global_load_b128 v[37:40], v[70:71], off offset:16
	v_mad_i64_i32 v[70:71], null, s2, s5, v[68:69]
	s_waitcnt vmcnt(16)
	v_wmma_f32_16x16x16_bf16 v[124:131], v[17:24], v[108:115], v[124:131]
	s_waitcnt vmcnt(14)
	v_wmma_f32_16x16x16_bf16 v[100:107], v[25:32], v[108:115], v[100:107]
	s_clause 0x7
	global_load_b128 v[25:28], v[132:133], off
	global_load_b128 v[29:32], v[132:133], off offset:16
	global_load_b128 v[1:4], v[134:135], off
	global_load_b128 v[5:8], v[134:135], off offset:16
	;; [unrolled: 2-line block ×4, first 2 shown]
	s_waitcnt vmcnt(20)
	v_wmma_f32_16x16x16_bf16 v[124:131], v[57:64], v[116:123], v[124:131]
	s_clause 0x1
	global_load_b128 v[57:60], v[70:71], off
	global_load_b128 v[61:64], v[70:71], off offset:16
	s_waitcnt vmcnt(20)
	v_wmma_f32_16x16x16_bf16 v[100:107], v[76:83], v[116:123], v[100:107]
	ds_load_b128 v[76:79], v72 offset:6144
	ds_load_b128 v[80:83], v72 offset:7168
	v_and_b32_e32 v68, 0xe0, v0
	v_mbcnt_lo_u32_b32 v69, -1, 0
	s_waitcnt vmcnt(0) lgkmcnt(0)
	s_barrier
	buffer_gl0_inv
	v_add_nc_u32_e32 v68, s12, v68
	v_xor_b32_e32 v70, 16, v69
	s_delay_alu instid0(VALU_DEP_2) | instskip(NEXT) | instid1(VALU_DEP_2)
	v_or_b32_e32 v68, v68, v74
	v_cmp_gt_i32_e32 vcc_lo, 32, v70
	s_delay_alu instid0(VALU_DEP_2)
	v_or_b32_e32 v71, 4, v68
	v_or_b32_e32 v72, 6, v68
	v_cmp_gt_i32_e64 s2, s17, v68
	v_or_b32_e32 v108, 8, v68
	v_wmma_f32_16x16x16_bf16 v[124:131], v[84:91], v[76:83], v[124:131]
	v_cndmask_b32_e32 v69, v69, v70, vcc_lo
	v_or_b32_e32 v70, 2, v68
	v_wmma_f32_16x16x16_bf16 v[100:107], v[92:99], v[76:83], v[100:107]
	v_or_b32_e32 v109, 10, v68
	v_dual_mul_f32 v80, s18, v129 :: v_dual_mul_f32 v81, s18, v128
	v_dual_mul_f32 v92, s18, v125 :: v_dual_mul_f32 v93, s18, v124
	s_delay_alu instid0(VALU_DEP_4)
	v_mul_f32_e32 v96, s18, v105
	v_cmp_gt_i32_e32 vcc_lo, s17, v70
	v_or_b32_e32 v89, 22, v68
	v_dual_mul_f32 v79, s18, v130 :: v_dual_mul_f32 v82, s18, v127
	v_dual_mul_f32 v83, s18, v126 :: v_dual_mul_f32 v94, s18, v107
	v_cndmask_b32_e64 v93, 0xff7fffff, v93, s2
	v_cndmask_b32_e32 v92, 0xff7fffff, v92, vcc_lo
	v_cmp_gt_i32_e64 s3, s17, v71
	v_cmp_gt_i32_e64 s4, s17, v72
	v_or_b32_e32 v84, 12, v68
	v_or_b32_e32 v85, 14, v68
	v_cmp_gt_i32_e64 s5, s17, v108
	v_cndmask_b32_e64 v71, 0xff7fffff, v83, s3
	v_cndmask_b32_e64 v72, 0xff7fffff, v82, s4
	v_cmp_gt_i32_e64 s6, s17, v109
	v_cmp_gt_i32_e64 s12, s17, v89
	v_lshlrev_b32_e32 v89, 2, v69
	v_max3_f32 v82, v93, 0xff7fffff, v92
	v_or_b32_e32 v86, 16, v68
	v_or_b32_e32 v87, 18, v68
	v_mul_f32_e32 v78, s18, v131
	v_cndmask_b32_e64 v81, 0xff7fffff, v81, s5
	v_cndmask_b32_e64 v80, 0xff7fffff, v80, s6
	v_max3_f32 v71, v82, v71, v72
	v_cmp_gt_i32_e64 s7, s17, v84
	v_cmp_gt_i32_e64 s8, s17, v85
	v_or_b32_e32 v88, 20, v68
	v_or_b32_e32 v90, 24, v68
	;; [unrolled: 1-line block ×5, first 2 shown]
	v_dual_mul_f32 v97, s18, v104 :: v_dual_mul_f32 v70, s18, v101
	v_dual_mul_f32 v99, s18, v102 :: v_dual_mul_f32 v68, s18, v100
	v_cndmask_b32_e64 v72, 0xff7fffff, v79, s7
	v_cndmask_b32_e64 v78, 0xff7fffff, v78, s8
	v_max3_f32 v71, v71, v81, v80
	v_cmp_gt_i32_e64 s9, s17, v86
	v_cmp_gt_i32_e64 s10, s17, v87
	v_dual_mul_f32 v95, s18, v106 :: v_dual_mul_f32 v98, s18, v103
	s_delay_alu instid0(VALU_DEP_4) | instskip(NEXT) | instid1(VALU_DEP_4)
	v_max3_f32 v71, v71, v72, v78
	v_cndmask_b32_e64 v68, 0xff7fffff, v68, s9
	s_delay_alu instid0(VALU_DEP_4)
	v_cndmask_b32_e64 v70, 0xff7fffff, v70, s10
	v_cmp_gt_i32_e64 s11, s17, v88
	v_cndmask_b32_e64 v78, 0xff7fffff, v98, s12
	v_cmp_gt_i32_e64 s13, s17, v90
	v_cmp_gt_i32_e64 s15, s17, v91
	v_max3_f32 v68, v71, v68, v70
	v_cndmask_b32_e64 v72, 0xff7fffff, v99, s11
	v_cmp_gt_i32_e64 s16, s17, v76
	v_cndmask_b32_e64 v70, 0xff7fffff, v97, s13
	v_cndmask_b32_e64 v71, 0xff7fffff, v96, s15
	v_cmp_gt_i32_e64 s17, s17, v77
	v_max3_f32 v68, v68, v72, v78
	v_cndmask_b32_e64 v72, 0xff7fffff, v95, s16
	s_delay_alu instid0(VALU_DEP_3) | instskip(NEXT) | instid1(VALU_DEP_3)
	v_cndmask_b32_e64 v76, 0xff7fffff, v94, s17
	v_max3_f32 v68, v68, v70, v71
	s_delay_alu instid0(VALU_DEP_1) | instskip(SKIP_3) | instid1(VALU_DEP_1)
	v_max3_f32 v68, v68, v72, v76
	ds_bpermute_b32 v69, v89, v68
	s_waitcnt lgkmcnt(0)
	v_max_f32_e32 v69, v69, v69
	v_max_f32_e32 v68, v68, v69
	s_delay_alu instid0(VALU_DEP_1) | instskip(NEXT) | instid1(VALU_DEP_1)
	v_fma_f32 v71, s18, v126, -v68
	v_mul_f32_e32 v71, 0x3fb8aa3b, v71
	v_fma_f32 v70, s18, v125, -v68
	v_fma_f32 v69, s18, v124, -v68
	;; [unrolled: 1-line block ×5, first 2 shown]
	s_delay_alu instid0(VALU_DEP_4) | instskip(SKIP_1) | instid1(VALU_DEP_3)
	v_dual_mul_f32 v70, 0x3fb8aa3b, v70 :: v_dual_mul_f32 v69, 0x3fb8aa3b, v69
	v_exp_f32_e32 v71, v71
	v_mul_f32_e32 v72, 0x3fb8aa3b, v72
	v_fma_f32 v81, s18, v105, -v68
	s_delay_alu instid0(VALU_DEP_3)
	v_exp_f32_e32 v70, v70
	v_mul_f32_e32 v77, 0x3fb8aa3b, v76
	v_exp_f32_e32 v69, v69
	v_exp_f32_e32 v72, v72
	v_mul_f32_e32 v81, 0x3fb8aa3b, v81
	v_cndmask_b32_e64 v83, 0, v71, s3
	v_fma_f32 v71, s18, v131, -v68
	s_delay_alu instid0(VALU_DEP_3) | instskip(SKIP_4) | instid1(TRANS32_DEP_3)
	v_exp_f32_e32 v81, v81
	v_cndmask_b32_e32 v76, 0, v70, vcc_lo
	v_exp_f32_e32 v77, v77
	v_cndmask_b32_e64 v80, 0, v69, s2
	v_fma_f32 v69, s18, v129, -v68
	v_cndmask_b32_e64 v85, 0, v72, s4
	v_mul_f32_e32 v71, 0x3fb8aa3b, v71
	v_fma_f32 v72, s18, v100, -v68
	s_delay_alu instid0(VALU_DEP_4) | instskip(SKIP_1) | instid1(VALU_DEP_4)
	v_dual_add_f32 v70, 0, v80 :: v_dual_mul_f32 v69, 0x3fb8aa3b, v69
	v_cmp_gt_u32_e64 s2, 16, v67
	v_exp_f32_e32 v71, v71
	s_delay_alu instid0(TRANS32_DEP_2) | instskip(SKIP_4) | instid1(VALU_DEP_3)
	v_cndmask_b32_e64 v86, 0, v77, s5
	v_fma_f32 v77, s18, v101, -v68
	v_mul_f32_e32 v78, 0x3fb8aa3b, v78
	v_add_f32_e32 v70, v70, v76
	v_exp_f32_e32 v69, v69
	v_mul_f32_e32 v77, 0x3fb8aa3b, v77
	s_delay_alu instid0(VALU_DEP_3) | instskip(NEXT) | instid1(TRANS32_DEP_3)
	v_exp_f32_e32 v78, v78
	v_cndmask_b32_e64 v88, 0, v71, s8
	v_fma_f32 v71, s18, v104, -v68
	s_delay_alu instid0(VALU_DEP_3) | instskip(NEXT) | instid1(TRANS32_DEP_3)
	v_exp_f32_e32 v77, v77
	v_cndmask_b32_e64 v87, 0, v69, s6
	s_delay_alu instid0(VALU_DEP_2)
	v_mul_f32_e32 v71, 0x3fb8aa3b, v71
	s_waitcnt_depctr 0xfff
	v_cndmask_b32_e64 v84, 0, v78, s7
	v_add_f32_e32 v70, v70, v83
	v_fma_f32 v78, s18, v103, -v68
	v_exp_f32_e32 v82, v71
	s_delay_alu instid0(VALU_DEP_2) | instskip(SKIP_1) | instid1(VALU_DEP_3)
	v_add_f32_e32 v70, v70, v85
	v_mul_f32_e32 v72, 0x3fb8aa3b, v72
	v_mul_f32_e32 v78, 0x3fb8aa3b, v78
	s_delay_alu instid0(VALU_DEP_3) | instskip(SKIP_1) | instid1(VALU_DEP_4)
	v_add_f32_e32 v69, v70, v86
	v_fma_f32 v70, s18, v102, -v68
	v_exp_f32_e32 v72, v72
	s_delay_alu instid0(VALU_DEP_3) | instskip(NEXT) | instid1(VALU_DEP_1)
	v_exp_f32_e32 v78, v78
	v_dual_add_f32 v69, v69, v87 :: v_dual_mul_f32 v70, 0x3fb8aa3b, v70
	s_delay_alu instid0(VALU_DEP_1) | instskip(NEXT) | instid1(VALU_DEP_2)
	v_add_f32_e32 v69, v69, v84
	v_exp_f32_e32 v79, v70
	s_delay_alu instid0(TRANS32_DEP_3) | instskip(NEXT) | instid1(VALU_DEP_2)
	v_cndmask_b32_e64 v70, 0, v72, s9
	v_add_f32_e32 v72, v69, v88
	v_cndmask_b32_e64 v69, 0, v77, s10
	v_fma_f32 v77, s18, v106, -v68
	s_waitcnt_depctr 0xfff
	v_cndmask_b32_e64 v71, 0, v79, s11
	v_dual_mul_f32 v77, 0x3fb8aa3b, v77 :: v_dual_add_f32 v72, v72, v70
	s_delay_alu instid0(VALU_DEP_1) | instskip(NEXT) | instid1(VALU_DEP_1)
	v_exp_f32_e32 v90, v77
	v_add_f32_e32 v79, v72, v69
	v_cndmask_b32_e64 v72, 0, v78, s12
	v_cndmask_b32_e64 v77, 0, v82, s13
	s_delay_alu instid0(VALU_DEP_3) | instskip(SKIP_1) | instid1(VALU_DEP_1)
	v_add_f32_e32 v78, v79, v71
	v_fma_f32 v79, s18, v107, -v68
	v_dual_add_f32 v82, v78, v72 :: v_dual_mul_f32 v79, 0x3fb8aa3b, v79
	v_cndmask_b32_e64 v78, 0, v81, s15
	s_delay_alu instid0(VALU_DEP_2) | instskip(NEXT) | instid1(VALU_DEP_3)
	v_add_f32_e32 v81, v82, v77
	v_exp_f32_e32 v82, v79
	v_cndmask_b32_e64 v79, 0, v90, s16
	s_delay_alu instid0(VALU_DEP_2) | instskip(NEXT) | instid1(VALU_DEP_1)
	v_add_f32_e32 v81, v81, v78
	v_add_f32_e32 v90, v81, v79
	s_waitcnt_depctr 0xfff
	v_cndmask_b32_e64 v81, 0, v82, s17
	s_delay_alu instid0(VALU_DEP_1)
	v_add_f32_e32 v82, v90, v81
	ds_bpermute_b32 v89, v89, v82
	s_and_saveexec_b32 s3, s2
	s_cbranch_execz .LBB1804_12
; %bb.11:
	v_mul_u32_u24_e32 v67, 0x44, v66
	s_delay_alu instid0(VALU_DEP_1) | instskip(SKIP_1) | instid1(VALU_DEP_1)
	v_lshl_add_u32 v67, v65, 2, v67
	s_waitcnt lgkmcnt(0)
	v_dual_add_f32 v82, v82, v89 :: v_dual_add_nc_u32 v67, 0x4000, v67
	ds_store_2addr_b32 v67, v68, v82 offset1:136
.LBB1804_12:
	s_or_b32 exec_lo, exec_lo, s3
	v_lshlrev_b32_e32 v67, 2, v65
	s_waitcnt lgkmcnt(0)
	s_barrier
	buffer_gl0_inv
	v_cmp_eq_u32_e32 vcc_lo, 1, v66
	v_add_nc_u32_e32 v82, 0x4000, v67
	v_cmp_eq_u32_e64 s3, 2, v66
	v_cmp_eq_u32_e64 s5, 7, v66
	ds_load_2addr_b32 v[89:90], v82 offset1:17
	ds_load_2addr_b32 v[91:92], v82 offset0:34 offset1:51
	ds_load_2addr_b32 v[93:94], v82 offset0:68 offset1:85
	;; [unrolled: 1-line block ×4, first 2 shown]
	s_waitcnt lgkmcnt(4)
	v_max3_f32 v67, v89, 0xff7fffff, v90
	s_waitcnt lgkmcnt(3)
	s_delay_alu instid0(VALU_DEP_1) | instskip(SKIP_1) | instid1(VALU_DEP_1)
	v_max3_f32 v67, v67, v91, v92
	s_waitcnt lgkmcnt(2)
	v_max3_f32 v67, v67, v93, v94
	s_waitcnt lgkmcnt(1)
	s_delay_alu instid0(VALU_DEP_1) | instskip(NEXT) | instid1(VALU_DEP_1)
	v_max3_f32 v67, v67, v95, v96
	v_sub_f32_e32 v93, v93, v67
	s_delay_alu instid0(VALU_DEP_1) | instskip(NEXT) | instid1(VALU_DEP_1)
	v_dual_sub_f32 v68, v89, v67 :: v_dual_mul_f32 v103, 0x3fb8aa3b, v93
	v_mul_f32_e32 v68, 0x3fb8aa3b, v68
	s_delay_alu instid0(VALU_DEP_1)
	v_exp_f32_e32 v100, v68
	v_sub_f32_e32 v68, v92, v67
	v_sub_f32_e32 v99, v90, v67
	ds_load_2addr_b32 v[89:90], v82 offset0:170 offset1:187
	v_dual_mul_f32 v102, 0x3fb8aa3b, v68 :: v_dual_mul_f32 v99, 0x3fb8aa3b, v99
	s_waitcnt lgkmcnt(1)
	v_fma_f32 v68, v100, v97, 0
	s_delay_alu instid0(VALU_DEP_2) | instskip(NEXT) | instid1(VALU_DEP_2)
	v_exp_f32_e32 v102, v102
	v_exp_f32_e32 v99, v99
	s_waitcnt_depctr 0xfff
	v_fmac_f32_e32 v68, v99, v98
	v_sub_f32_e32 v91, v91, v67
	s_delay_alu instid0(VALU_DEP_1)
	v_mul_f32_e32 v101, 0x3fb8aa3b, v91
	ds_load_2addr_b32 v[91:92], v82 offset0:204 offset1:221
	v_sub_f32_e32 v97, v94, v67
	ds_load_2addr_b32 v[93:94], v82 offset0:238 offset1:255
	s_waitcnt lgkmcnt(0)
	v_exp_f32_e32 v101, v101
	s_barrier
	buffer_gl0_inv
	v_dual_fmac_f32 v68, v101, v89 :: v_dual_sub_f32 v89, v96, v67
	v_dual_sub_f32 v82, v95, v67 :: v_dual_mul_f32 v95, 0x3fb8aa3b, v97
	v_exp_f32_e32 v97, v103
	s_delay_alu instid0(VALU_DEP_2) | instskip(NEXT) | instid1(VALU_DEP_2)
	v_dual_fmac_f32 v68, v102, v90 :: v_dual_mul_f32 v89, 0x3fb8aa3b, v89
	v_mul_f32_e32 v82, 0x3fb8aa3b, v82
	s_delay_alu instid0(VALU_DEP_3) | instskip(NEXT) | instid1(VALU_DEP_2)
	v_exp_f32_e32 v95, v95
	v_exp_f32_e32 v89, v89
	s_delay_alu instid0(VALU_DEP_1)
	v_exp_f32_e32 v82, v82
	v_fmac_f32_e32 v68, v97, v91
	s_delay_alu instid0(TRANS32_DEP_3) | instid1(VALU_DEP_1)
	v_fmac_f32_e32 v68, v95, v92
	s_waitcnt_depctr 0xfff
	v_fmac_f32_e32 v68, v82, v93
	s_delay_alu instid0(VALU_DEP_1) | instskip(NEXT) | instid1(VALU_DEP_1)
	v_fmac_f32_e32 v68, v89, v94
	v_add_f32_e32 v90, 0x358637bd, v68
	s_delay_alu instid0(VALU_DEP_1) | instskip(NEXT) | instid1(VALU_DEP_1)
	v_div_scale_f32 v91, null, v90, v90, 1.0
	v_rcp_f32_e32 v92, v91
	s_waitcnt_depctr 0xfff
	v_fma_f32 v93, -v91, v92, 1.0
	s_delay_alu instid0(VALU_DEP_1) | instskip(SKIP_1) | instid1(VALU_DEP_2)
	v_dual_fmac_f32 v92, v93, v92 :: v_dual_cndmask_b32 v93, v100, v99
	v_cmp_eq_u32_e32 vcc_lo, 3, v66
	v_cndmask_b32_e64 v93, v93, v101, s3
	v_cmp_eq_u32_e64 s3, 4, v66
	s_delay_alu instid0(VALU_DEP_2) | instskip(SKIP_1) | instid1(VALU_DEP_2)
	v_cndmask_b32_e32 v93, v93, v102, vcc_lo
	v_cmp_eq_u32_e32 vcc_lo, 5, v66
	v_cndmask_b32_e64 v93, v93, v97, s3
	v_cmp_eq_u32_e64 s3, 6, v66
	s_delay_alu instid0(VALU_DEP_2) | instskip(SKIP_1) | instid1(VALU_DEP_1)
	v_cndmask_b32_e32 v93, v93, v95, vcc_lo
	v_div_scale_f32 v94, s4, 1.0, v90, 1.0
	s_mov_b32 vcc_lo, s4
	s_delay_alu instid0(VALU_DEP_2) | instskip(NEXT) | instid1(VALU_DEP_2)
	v_cndmask_b32_e64 v82, v93, v82, s3
	v_mul_f32_e32 v96, v94, v92
	s_mov_b32 s3, exec_lo
	s_delay_alu instid0(VALU_DEP_2) | instskip(NEXT) | instid1(VALU_DEP_2)
	v_cndmask_b32_e64 v82, v82, v89, s5
	v_fma_f32 v98, -v91, v96, v94
	s_delay_alu instid0(VALU_DEP_1) | instskip(NEXT) | instid1(VALU_DEP_1)
	v_fmac_f32_e32 v96, v98, v92
	v_fma_f32 v91, -v91, v96, v94
	s_delay_alu instid0(VALU_DEP_1) | instskip(NEXT) | instid1(VALU_DEP_1)
	v_div_fmas_f32 v91, v91, v92, v96
	v_div_fixup_f32 v90, v91, v90, 1.0
	s_delay_alu instid0(VALU_DEP_1) | instskip(NEXT) | instid1(VALU_DEP_1)
	v_mul_f32_e32 v82, v82, v90
	v_mul_f32_e32 v87, v82, v87
	;; [unrolled: 1-line block ×7, first 2 shown]
	v_dual_mul_f32 v86, v82, v83 :: v_dual_and_b32 v91, 0x7f800000, v90
	v_mul_f32_e32 v85, v82, v76
                                        ; implicit-def: $vgpr76
	s_delay_alu instid0(VALU_DEP_2)
	v_cmpx_ne_u32_e32 0x7f800000, v91
	s_xor_b32 s3, exec_lo, s3
; %bb.13:
	v_bfe_u32 v76, v90, 16, 1
	s_delay_alu instid0(VALU_DEP_1)
	v_add3_u32 v76, v90, v76, 0x7fff
                                        ; implicit-def: $vgpr90
; %bb.14:
	s_and_not1_saveexec_b32 s3, s3
; %bb.15:
	v_and_b32_e32 v76, 0xffff, v90
	v_or_b32_e32 v83, 0x10000, v90
	s_delay_alu instid0(VALU_DEP_2) | instskip(NEXT) | instid1(VALU_DEP_2)
	v_cmp_eq_u32_e32 vcc_lo, 0, v76
	v_cndmask_b32_e32 v76, v83, v90, vcc_lo
; %bb.16:
	s_or_b32 exec_lo, exec_lo, s3
	v_and_b32_e32 v83, 0x7f800000, v85
	s_delay_alu instid0(VALU_DEP_1) | instskip(SKIP_1) | instid1(SALU_CYCLE_1)
	v_cmp_ne_u32_e32 vcc_lo, 0x7f800000, v83
                                        ; implicit-def: $vgpr83
	s_and_saveexec_b32 s3, vcc_lo
	s_xor_b32 s3, exec_lo, s3
; %bb.17:
	v_bfe_u32 v83, v85, 16, 1
	s_delay_alu instid0(VALU_DEP_1)
	v_add3_u32 v83, v85, v83, 0x7fff
                                        ; implicit-def: $vgpr85
; %bb.18:
	s_and_not1_saveexec_b32 s3, s3
; %bb.19:
	v_and_b32_e32 v83, 0xffff, v85
	v_or_b32_e32 v90, 0x10000, v85
	s_delay_alu instid0(VALU_DEP_2) | instskip(NEXT) | instid1(VALU_DEP_2)
	v_cmp_eq_u32_e32 vcc_lo, 0, v83
	v_cndmask_b32_e32 v83, v90, v85, vcc_lo
; %bb.20:
	s_or_b32 exec_lo, exec_lo, s3
	v_and_b32_e32 v85, 0x7f800000, v86
	s_delay_alu instid0(VALU_DEP_1) | instskip(SKIP_1) | instid1(SALU_CYCLE_1)
	v_cmp_ne_u32_e32 vcc_lo, 0x7f800000, v85
                                        ; implicit-def: $vgpr85
	s_and_saveexec_b32 s3, vcc_lo
	s_xor_b32 s3, exec_lo, s3
; %bb.21:
	v_bfe_u32 v85, v86, 16, 1
	s_delay_alu instid0(VALU_DEP_1)
	v_add3_u32 v85, v86, v85, 0x7fff
                                        ; implicit-def: $vgpr86
; %bb.22:
	s_and_not1_saveexec_b32 s3, s3
; %bb.23:
	v_and_b32_e32 v85, 0xffff, v86
	v_or_b32_e32 v90, 0x10000, v86
	s_delay_alu instid0(VALU_DEP_2) | instskip(NEXT) | instid1(VALU_DEP_2)
	v_cmp_eq_u32_e32 vcc_lo, 0, v85
	v_cndmask_b32_e32 v85, v90, v86, vcc_lo
; %bb.24:
	s_or_b32 exec_lo, exec_lo, s3
	v_and_b32_e32 v86, 0x7f800000, v89
	s_delay_alu instid0(VALU_DEP_1) | instskip(SKIP_1) | instid1(SALU_CYCLE_1)
	v_cmp_ne_u32_e32 vcc_lo, 0x7f800000, v86
                                        ; implicit-def: $vgpr86
	s_and_saveexec_b32 s3, vcc_lo
	s_xor_b32 s3, exec_lo, s3
; %bb.25:
	v_bfe_u32 v86, v89, 16, 1
	s_delay_alu instid0(VALU_DEP_1)
	v_add3_u32 v86, v89, v86, 0x7fff
                                        ; implicit-def: $vgpr89
; %bb.26:
	s_and_not1_saveexec_b32 s3, s3
; %bb.27:
	v_and_b32_e32 v86, 0xffff, v89
	v_or_b32_e32 v90, 0x10000, v89
	s_delay_alu instid0(VALU_DEP_2) | instskip(NEXT) | instid1(VALU_DEP_2)
	v_cmp_eq_u32_e32 vcc_lo, 0, v86
	v_cndmask_b32_e32 v86, v90, v89, vcc_lo
; %bb.28:
	s_or_b32 exec_lo, exec_lo, s3
	v_and_b32_e32 v89, 0x7f800000, v88
	s_delay_alu instid0(VALU_DEP_1) | instskip(SKIP_1) | instid1(SALU_CYCLE_1)
	v_cmp_ne_u32_e32 vcc_lo, 0x7f800000, v89
                                        ; implicit-def: $vgpr89
	s_and_saveexec_b32 s3, vcc_lo
	s_xor_b32 s3, exec_lo, s3
; %bb.29:
	v_bfe_u32 v89, v88, 16, 1
	s_delay_alu instid0(VALU_DEP_1)
	v_add3_u32 v89, v88, v89, 0x7fff
                                        ; implicit-def: $vgpr88
; %bb.30:
	s_and_not1_saveexec_b32 s3, s3
; %bb.31:
	v_and_b32_e32 v89, 0xffff, v88
	v_or_b32_e32 v90, 0x10000, v88
	s_delay_alu instid0(VALU_DEP_2) | instskip(NEXT) | instid1(VALU_DEP_2)
	v_cmp_eq_u32_e32 vcc_lo, 0, v89
	v_cndmask_b32_e32 v89, v90, v88, vcc_lo
; %bb.32:
	s_or_b32 exec_lo, exec_lo, s3
	v_and_b32_e32 v88, 0x7f800000, v87
	s_delay_alu instid0(VALU_DEP_1) | instskip(SKIP_1) | instid1(SALU_CYCLE_1)
	v_cmp_ne_u32_e32 vcc_lo, 0x7f800000, v88
                                        ; implicit-def: $vgpr88
	s_and_saveexec_b32 s3, vcc_lo
	s_xor_b32 s3, exec_lo, s3
; %bb.33:
	v_bfe_u32 v88, v87, 16, 1
	s_delay_alu instid0(VALU_DEP_1)
	v_add3_u32 v88, v87, v88, 0x7fff
                                        ; implicit-def: $vgpr87
; %bb.34:
	s_and_not1_saveexec_b32 s3, s3
; %bb.35:
	v_and_b32_e32 v88, 0xffff, v87
	v_or_b32_e32 v90, 0x10000, v87
	s_delay_alu instid0(VALU_DEP_2) | instskip(NEXT) | instid1(VALU_DEP_2)
	v_cmp_eq_u32_e32 vcc_lo, 0, v88
	v_cndmask_b32_e32 v88, v90, v87, vcc_lo
; %bb.36:
	s_or_b32 exec_lo, exec_lo, s3
	v_and_b32_e32 v87, 0x7f800000, v84
	s_delay_alu instid0(VALU_DEP_1) | instskip(SKIP_1) | instid1(SALU_CYCLE_1)
	v_cmp_ne_u32_e32 vcc_lo, 0x7f800000, v87
                                        ; implicit-def: $vgpr87
	s_and_saveexec_b32 s3, vcc_lo
	s_xor_b32 s3, exec_lo, s3
; %bb.37:
	v_bfe_u32 v87, v84, 16, 1
	s_delay_alu instid0(VALU_DEP_1)
	v_add3_u32 v87, v84, v87, 0x7fff
                                        ; implicit-def: $vgpr84
; %bb.38:
	s_and_not1_saveexec_b32 s3, s3
; %bb.39:
	v_and_b32_e32 v87, 0xffff, v84
	v_or_b32_e32 v90, 0x10000, v84
	s_delay_alu instid0(VALU_DEP_2) | instskip(NEXT) | instid1(VALU_DEP_2)
	v_cmp_eq_u32_e32 vcc_lo, 0, v87
	v_cndmask_b32_e32 v87, v90, v84, vcc_lo
; %bb.40:
	s_or_b32 exec_lo, exec_lo, s3
	v_and_b32_e32 v84, 0x7f800000, v80
	s_delay_alu instid0(VALU_DEP_1) | instskip(SKIP_1) | instid1(SALU_CYCLE_1)
	v_cmp_ne_u32_e32 vcc_lo, 0x7f800000, v84
                                        ; implicit-def: $vgpr84
	s_and_saveexec_b32 s3, vcc_lo
	s_xor_b32 s3, exec_lo, s3
; %bb.41:
	v_bfe_u32 v84, v80, 16, 1
	s_delay_alu instid0(VALU_DEP_1)
	v_add3_u32 v84, v80, v84, 0x7fff
                                        ; implicit-def: $vgpr80
; %bb.42:
	s_and_not1_saveexec_b32 s3, s3
; %bb.43:
	v_and_b32_e32 v84, 0xffff, v80
	v_or_b32_e32 v90, 0x10000, v80
	s_delay_alu instid0(VALU_DEP_2) | instskip(NEXT) | instid1(VALU_DEP_2)
	v_cmp_eq_u32_e32 vcc_lo, 0, v84
	v_cndmask_b32_e32 v84, v90, v80, vcc_lo
; %bb.44:
	s_or_b32 exec_lo, exec_lo, s3
	s_load_b64 s[34:35], s[0:1], 0x94
	v_lshlrev_b32_e32 v91, 4, v74
	s_delay_alu instid0(VALU_DEP_2)
	v_perm_b32 v90, v84, v87, 0x7060302
	v_dual_mul_f32 v79, v82, v79 :: v_dual_lshlrev_b32 v80, 6, v65
	v_dual_mul_f32 v77, v82, v77 :: v_dual_lshlrev_b32 v92, 11, v66
	v_mul_f32_e32 v84, v82, v70
	v_perm_b32 v89, v88, v89, 0x7060302
	v_perm_b32 v88, v86, v85, 0x7060302
	;; [unrolled: 1-line block ×3, first 2 shown]
	v_mul_f32_e32 v70, v82, v81
	v_or3_b32 v76, v91, v92, v80
	v_dual_mul_f32 v78, v82, v78 :: v_dual_and_b32 v85, 0x7f800000, v84
	v_mul_f32_e32 v83, v82, v72
	v_mul_f32_e32 v81, v82, v71
	;; [unrolled: 1-line block ×3, first 2 shown]
	s_mov_b32 s3, exec_lo
	ds_store_b128 v76, v[87:90]
                                        ; implicit-def: $vgpr69
	v_cmpx_ne_u32_e32 0x7f800000, v85
	s_xor_b32 s3, exec_lo, s3
; %bb.45:
	v_bfe_u32 v69, v84, 16, 1
	s_delay_alu instid0(VALU_DEP_1)
	v_add3_u32 v69, v84, v69, 0x7fff
                                        ; implicit-def: $vgpr84
; %bb.46:
	s_and_not1_saveexec_b32 s3, s3
; %bb.47:
	v_and_b32_e32 v69, 0xffff, v84
	v_or_b32_e32 v71, 0x10000, v84
	s_delay_alu instid0(VALU_DEP_2) | instskip(NEXT) | instid1(VALU_DEP_2)
	v_cmp_eq_u32_e32 vcc_lo, 0, v69
	v_cndmask_b32_e32 v69, v71, v84, vcc_lo
; %bb.48:
	s_or_b32 exec_lo, exec_lo, s3
	v_and_b32_e32 v71, 0x7f800000, v72
	s_delay_alu instid0(VALU_DEP_1) | instskip(SKIP_1) | instid1(SALU_CYCLE_1)
	v_cmp_ne_u32_e32 vcc_lo, 0x7f800000, v71
                                        ; implicit-def: $vgpr71
	s_and_saveexec_b32 s3, vcc_lo
	s_xor_b32 s3, exec_lo, s3
; %bb.49:
	v_bfe_u32 v71, v72, 16, 1
	s_delay_alu instid0(VALU_DEP_1)
	v_add3_u32 v71, v72, v71, 0x7fff
                                        ; implicit-def: $vgpr72
; %bb.50:
	s_and_not1_saveexec_b32 s3, s3
; %bb.51:
	v_and_b32_e32 v71, 0xffff, v72
	v_or_b32_e32 v82, 0x10000, v72
	s_delay_alu instid0(VALU_DEP_2) | instskip(NEXT) | instid1(VALU_DEP_2)
	v_cmp_eq_u32_e32 vcc_lo, 0, v71
	v_cndmask_b32_e32 v71, v82, v72, vcc_lo
; %bb.52:
	s_or_b32 exec_lo, exec_lo, s3
	v_and_b32_e32 v72, 0x7f800000, v81
	s_delay_alu instid0(VALU_DEP_1) | instskip(SKIP_1) | instid1(SALU_CYCLE_1)
	v_cmp_ne_u32_e32 vcc_lo, 0x7f800000, v72
                                        ; implicit-def: $vgpr72
	s_and_saveexec_b32 s3, vcc_lo
	s_xor_b32 s3, exec_lo, s3
; %bb.53:
	v_bfe_u32 v72, v81, 16, 1
	s_delay_alu instid0(VALU_DEP_1)
	v_add3_u32 v72, v81, v72, 0x7fff
                                        ; implicit-def: $vgpr81
; %bb.54:
	s_and_not1_saveexec_b32 s3, s3
; %bb.55:
	v_and_b32_e32 v72, 0xffff, v81
	v_or_b32_e32 v82, 0x10000, v81
	s_delay_alu instid0(VALU_DEP_2) | instskip(NEXT) | instid1(VALU_DEP_2)
	v_cmp_eq_u32_e32 vcc_lo, 0, v72
	v_cndmask_b32_e32 v72, v82, v81, vcc_lo
; %bb.56:
	s_or_b32 exec_lo, exec_lo, s3
	v_and_b32_e32 v81, 0x7f800000, v83
	s_delay_alu instid0(VALU_DEP_1) | instskip(SKIP_1) | instid1(SALU_CYCLE_1)
	v_cmp_ne_u32_e32 vcc_lo, 0x7f800000, v81
                                        ; implicit-def: $vgpr81
	s_and_saveexec_b32 s3, vcc_lo
	s_xor_b32 s3, exec_lo, s3
; %bb.57:
	v_bfe_u32 v81, v83, 16, 1
	s_delay_alu instid0(VALU_DEP_1)
	v_add3_u32 v81, v83, v81, 0x7fff
                                        ; implicit-def: $vgpr83
; %bb.58:
	s_and_not1_saveexec_b32 s3, s3
; %bb.59:
	v_and_b32_e32 v81, 0xffff, v83
	v_or_b32_e32 v82, 0x10000, v83
	s_delay_alu instid0(VALU_DEP_2) | instskip(NEXT) | instid1(VALU_DEP_2)
	v_cmp_eq_u32_e32 vcc_lo, 0, v81
	v_cndmask_b32_e32 v81, v82, v83, vcc_lo
; %bb.60:
	s_or_b32 exec_lo, exec_lo, s3
	v_and_b32_e32 v82, 0x7f800000, v77
	s_delay_alu instid0(VALU_DEP_1) | instskip(SKIP_1) | instid1(SALU_CYCLE_1)
	v_cmp_ne_u32_e32 vcc_lo, 0x7f800000, v82
                                        ; implicit-def: $vgpr82
	s_and_saveexec_b32 s3, vcc_lo
	s_xor_b32 s3, exec_lo, s3
; %bb.61:
	v_bfe_u32 v82, v77, 16, 1
	s_delay_alu instid0(VALU_DEP_1)
	v_add3_u32 v82, v77, v82, 0x7fff
                                        ; implicit-def: $vgpr77
; %bb.62:
	s_and_not1_saveexec_b32 s3, s3
; %bb.63:
	v_and_b32_e32 v82, 0xffff, v77
	v_or_b32_e32 v83, 0x10000, v77
	s_delay_alu instid0(VALU_DEP_2) | instskip(NEXT) | instid1(VALU_DEP_2)
	v_cmp_eq_u32_e32 vcc_lo, 0, v82
	v_cndmask_b32_e32 v82, v83, v77, vcc_lo
; %bb.64:
	s_or_b32 exec_lo, exec_lo, s3
	v_and_b32_e32 v77, 0x7f800000, v78
	s_delay_alu instid0(VALU_DEP_1) | instskip(SKIP_1) | instid1(SALU_CYCLE_1)
	v_cmp_ne_u32_e32 vcc_lo, 0x7f800000, v77
                                        ; implicit-def: $vgpr77
	s_and_saveexec_b32 s3, vcc_lo
	s_xor_b32 s3, exec_lo, s3
; %bb.65:
	v_bfe_u32 v77, v78, 16, 1
	s_delay_alu instid0(VALU_DEP_1)
	v_add3_u32 v77, v78, v77, 0x7fff
                                        ; implicit-def: $vgpr78
; %bb.66:
	s_and_not1_saveexec_b32 s3, s3
; %bb.67:
	v_and_b32_e32 v77, 0xffff, v78
	v_or_b32_e32 v83, 0x10000, v78
	s_delay_alu instid0(VALU_DEP_2) | instskip(NEXT) | instid1(VALU_DEP_2)
	v_cmp_eq_u32_e32 vcc_lo, 0, v77
	v_cndmask_b32_e32 v77, v83, v78, vcc_lo
; %bb.68:
	s_or_b32 exec_lo, exec_lo, s3
	v_and_b32_e32 v78, 0x7f800000, v79
	s_delay_alu instid0(VALU_DEP_1) | instskip(SKIP_1) | instid1(SALU_CYCLE_1)
	v_cmp_ne_u32_e32 vcc_lo, 0x7f800000, v78
                                        ; implicit-def: $vgpr78
	s_and_saveexec_b32 s3, vcc_lo
	s_xor_b32 s3, exec_lo, s3
; %bb.69:
	v_bfe_u32 v78, v79, 16, 1
	s_delay_alu instid0(VALU_DEP_1)
	v_add3_u32 v78, v79, v78, 0x7fff
                                        ; implicit-def: $vgpr79
; %bb.70:
	s_and_not1_saveexec_b32 s3, s3
; %bb.71:
	v_and_b32_e32 v78, 0xffff, v79
	v_or_b32_e32 v83, 0x10000, v79
	s_delay_alu instid0(VALU_DEP_2) | instskip(NEXT) | instid1(VALU_DEP_2)
	v_cmp_eq_u32_e32 vcc_lo, 0, v78
	v_cndmask_b32_e32 v78, v83, v79, vcc_lo
; %bb.72:
	s_or_b32 exec_lo, exec_lo, s3
	v_and_b32_e32 v79, 0x7f800000, v70
	s_delay_alu instid0(VALU_DEP_1) | instskip(SKIP_1) | instid1(SALU_CYCLE_1)
	v_cmp_ne_u32_e32 vcc_lo, 0x7f800000, v79
                                        ; implicit-def: $vgpr79
	s_and_saveexec_b32 s3, vcc_lo
	s_xor_b32 s3, exec_lo, s3
; %bb.73:
	v_bfe_u32 v79, v70, 16, 1
	s_delay_alu instid0(VALU_DEP_1)
	v_add3_u32 v79, v70, v79, 0x7fff
                                        ; implicit-def: $vgpr70
; %bb.74:
	s_and_not1_saveexec_b32 s3, s3
; %bb.75:
	v_and_b32_e32 v79, 0xffff, v70
	v_or_b32_e32 v83, 0x10000, v70
	s_delay_alu instid0(VALU_DEP_2) | instskip(NEXT) | instid1(VALU_DEP_2)
	v_cmp_eq_u32_e32 vcc_lo, 0, v79
	v_cndmask_b32_e32 v79, v83, v70, vcc_lo
; %bb.76:
	s_or_b32 exec_lo, exec_lo, s3
	s_delay_alu instid0(VALU_DEP_1)
	v_perm_b32 v86, v79, v78, 0x7060302
	v_perm_b32 v85, v77, v82, 0x7060302
	;; [unrolled: 1-line block ×4, first 2 shown]
	v_lshl_or_b32 v82, v66, 11, v80
	ds_store_b128 v76, v[83:86] offset:1024
	s_waitcnt lgkmcnt(0)
	s_barrier
	buffer_gl0_inv
	ds_load_b128 v[69:72], v82
	ds_load_b128 v[83:86], v82 offset:16
	s_waitcnt lgkmcnt(1)
	v_lshrrev_b32_e32 v66, 16, v69
	s_waitcnt lgkmcnt(0)
	v_lshrrev_b32_e32 v91, 16, v83
	v_lshlrev_b32_e32 v78, 2, v74
	v_lshrrev_b32_e32 v95, 16, v70
	v_lshrrev_b32_e32 v98, 16, v84
	;; [unrolled: 1-line block ×4, first 2 shown]
	v_cmp_eq_u32_e32 vcc_lo, 1, v78
	v_lshrrev_b32_e32 v97, 16, v72
	v_lshrrev_b32_e32 v100, 16, v86
	v_cndmask_b32_e32 v87, v83, v91, vcc_lo
	v_or_b32_e32 v79, 1, v78
	v_cndmask_b32_e32 v81, v69, v66, vcc_lo
	v_cmp_eq_u32_e64 s4, 2, v78
	v_cmp_eq_u32_e64 s7, 3, v78
	v_cmp_eq_u32_e64 s9, 4, v78
	v_cmp_eq_u32_e64 s3, 1, v79
	v_cmp_eq_u32_e64 s6, 2, v79
	v_cndmask_b32_e64 v81, v81, v70, s4
	v_cndmask_b32_e64 v87, v87, v84, s4
	v_cmp_eq_u32_e64 s8, 3, v79
	v_cndmask_b32_e64 v88, v69, v66, s3
	v_or_b32_e32 v77, 2, v78
	v_cndmask_b32_e64 v81, v81, v95, s7
	v_cndmask_b32_e64 v87, v87, v98, s7
	;; [unrolled: 1-line block ×4, first 2 shown]
	v_cmp_eq_u32_e64 s10, 5, v78
	v_cndmask_b32_e64 v81, v81, v71, s9
	v_cndmask_b32_e64 v87, v87, v85, s9
	v_cmp_eq_u32_e64 s11, 4, v79
	v_cndmask_b32_e64 v88, v88, v95, s8
	v_cmp_eq_u32_e64 s5, 1, v77
	v_cndmask_b32_e64 v89, v89, v84, s6
	v_cndmask_b32_e64 v81, v81, v96, s10
	v_cmp_eq_u32_e64 s12, 6, v78
	v_cndmask_b32_e64 v88, v88, v71, s11
	v_cndmask_b32_e64 v87, v87, v99, s10
	v_cmp_eq_u32_e64 s13, 5, v79
	v_cndmask_b32_e64 v90, v69, v66, s5
	v_cndmask_b32_e64 v89, v89, v98, s8
	v_cndmask_b32_e64 v81, v81, v72, s12
	v_cmp_eq_u32_e64 s15, 7, v78
	v_cndmask_b32_e64 v88, v88, v96, s13
	v_cndmask_b32_e64 v87, v87, v86, s12
	v_cmp_eq_u32_e64 s16, 6, v79
	v_cmp_eq_u32_e64 s17, 2, v77
	v_cndmask_b32_e64 v89, v89, v85, s11
	v_cndmask_b32_e64 v101, v81, v97, s15
	v_cndmask_b32_e64 v102, v87, v100, s15
	v_cndmask_b32_e64 v88, v88, v72, s16
	v_cndmask_b32_e64 v81, v90, v70, s17
	v_cndmask_b32_e64 v87, v83, v91, s5
	v_cmp_eq_u32_e64 s18, 7, v79
	v_cmp_eq_u32_e64 s19, 3, v77
	;; [unrolled: 1-line block ×4, first 2 shown]
	v_cndmask_b32_e64 v87, v87, v84, s17
	v_cndmask_b32_e64 v103, v88, v97, s18
	;; [unrolled: 1-line block ×4, first 2 shown]
	v_or_b32_e32 v81, 3, v78
	v_cndmask_b32_e64 v93, v87, v98, s19
	v_cmp_eq_u32_e64 s24, 6, v77
	v_cndmask_b32_e64 v104, v88, v86, s16
	v_cndmask_b32_e64 v92, v89, v71, s20
	v_cmp_eq_u32_e64 s21, 1, v81
	ds_load_b128 v[87:90], v82 offset:1024
	v_cmp_eq_u32_e64 s23, 2, v81
	v_cmp_eq_u32_e64 s25, 3, v81
	v_cndmask_b32_e64 v105, v92, v96, s22
	v_cndmask_b32_e64 v66, v69, v66, s21
	;; [unrolled: 1-line block ×4, first 2 shown]
	ds_load_b128 v[91:94], v82 offset:1040
	v_cmp_eq_u32_e64 s26, 4, v81
	v_cndmask_b32_e64 v66, v66, v70, s23
	v_cmp_eq_u32_e64 s27, 7, v77
	v_cndmask_b32_e64 v70, v83, v84, s23
	v_cndmask_b32_e64 v84, v105, v72, s24
	v_cmp_eq_u32_e64 s28, 5, v81
	v_cndmask_b32_e64 v66, v66, v95, s25
	v_cmp_eq_u32_e64 s29, 6, v81
	v_cndmask_b32_e64 v70, v70, v98, s25
	v_cndmask_b32_e64 v69, v69, v99, s22
	;; [unrolled: 1-line block ×4, first 2 shown]
	s_waitcnt lgkmcnt(1)
	v_lshrrev_b32_e32 v95, 16, v87
	v_cndmask_b32_e64 v70, v70, v85, s26
	v_cndmask_b32_e64 v71, v84, v97, s27
	;; [unrolled: 1-line block ×4, first 2 shown]
	v_cndmask_b32_e32 v84, v87, v95, vcc_lo
	v_cndmask_b32_e64 v70, v70, v99, s28
	s_waitcnt lgkmcnt(0)
	v_lshrrev_b32_e32 v85, 16, v91
	v_lshrrev_b32_e32 v96, 16, v88
	v_cndmask_b32_e64 v98, v87, v95, s3
	v_cndmask_b32_e64 v84, v84, v88, s4
	;; [unrolled: 1-line block ×3, first 2 shown]
	v_cndmask_b32_e32 v99, v91, v85, vcc_lo
	v_cmp_eq_u32_e32 vcc_lo, 7, v81
	v_cndmask_b32_e64 v66, v66, v72, s29
	v_cndmask_b32_e64 v72, v84, v96, s7
	v_cndmask_b32_e64 v84, v98, v88, s6
	v_lshrrev_b32_e32 v98, 16, v92
	v_cndmask_b32_e32 v70, v70, v100, vcc_lo
	v_cndmask_b32_e64 v86, v99, v92, s4
	v_cndmask_b32_e64 v69, v69, v100, s27
	v_lshrrev_b32_e32 v100, 16, v93
	v_cndmask_b32_e64 v72, v72, v89, s9
	v_lshrrev_b32_e32 v99, 16, v89
	v_cndmask_b32_e64 v86, v86, v98, s7
	v_perm_b32 v71, v69, v71, 0x5040100
	v_cndmask_b32_e64 v84, v84, v96, s8
	s_delay_alu instid0(VALU_DEP_3) | instskip(NEXT) | instid1(VALU_DEP_2)
	v_cndmask_b32_e64 v86, v86, v93, s9
	v_cndmask_b32_e64 v84, v84, v89, s11
	s_delay_alu instid0(VALU_DEP_2) | instskip(NEXT) | instid1(VALU_DEP_1)
	v_cndmask_b32_e64 v86, v86, v100, s10
	v_cndmask_b32_e64 v69, v86, v94, s12
	;; [unrolled: 1-line block ×5, first 2 shown]
	s_delay_alu instid0(VALU_DEP_3) | instskip(NEXT) | instid1(VALU_DEP_3)
	v_cndmask_b32_e64 v86, v86, v88, s17
	v_cndmask_b32_e64 v87, v87, v88, s23
	s_delay_alu instid0(VALU_DEP_3) | instskip(NEXT) | instid1(VALU_DEP_3)
	v_cndmask_b32_e64 v88, v95, v92, s23
	v_cndmask_b32_e64 v86, v86, v96, s19
	;; [unrolled: 3-line block ×7, first 2 shown]
	s_delay_alu instid0(VALU_DEP_3) | instskip(SKIP_2) | instid1(VALU_DEP_2)
	v_cndmask_b32_e64 v88, v88, v94, s29
	v_cndmask_b32_e32 v66, v66, v97, vcc_lo
	v_cndmask_b32_e64 v97, v72, v99, s10
	v_perm_b32 v72, v70, v66, 0x5040100
	v_perm_b32 v70, v83, v103, 0x5040100
	v_cndmask_b32_e64 v103, v91, v85, s5
	v_cndmask_b32_e64 v85, v91, v85, s3
	;; [unrolled: 1-line block ×4, first 2 shown]
	v_lshrrev_b32_e32 v97, 16, v90
	v_cndmask_b32_e64 v91, v103, v92, s17
	v_cndmask_b32_e64 v85, v85, v92, s6
	;; [unrolled: 1-line block ×3, first 2 shown]
	s_mov_b32 s3, exec_lo
	v_cndmask_b32_e64 v83, v84, v97, s15
	v_cndmask_b32_e64 v91, v91, v98, s19
	;; [unrolled: 1-line block ×3, first 2 shown]
	v_lshrrev_b32_e32 v84, 16, v94
	v_cndmask_b32_e64 v66, v66, v97, s18
	v_cndmask_b32_e64 v90, v86, v97, s27
	;; [unrolled: 1-line block ×4, first 2 shown]
	v_dual_cndmask_b32 v86, v87, v97 :: v_dual_cndmask_b32 v87, v88, v84
	v_cndmask_b32_e64 v91, v69, v84, s15
	s_delay_alu instid0(VALU_DEP_4) | instskip(NEXT) | instid1(VALU_DEP_4)
	v_cndmask_b32_e64 v89, v89, v100, s22
	v_cndmask_b32_e64 v85, v85, v100, s13
	v_perm_b32 v69, v102, v101, 0x5040100
	v_perm_b32 v86, v87, v86, 0x5040100
	;; [unrolled: 1-line block ×3, first 2 shown]
	v_cndmask_b32_e64 v89, v89, v94, s24
	v_cndmask_b32_e64 v85, v85, v94, s16
	s_mul_i32 s8, s35, 15
	s_delay_alu instid0(VALU_DEP_2) | instskip(NEXT) | instid1(VALU_DEP_2)
	v_cndmask_b32_e64 v88, v89, v84, s27
	v_cndmask_b32_e64 v89, v85, v84, s18
	s_delay_alu instid0(VALU_DEP_2) | instskip(NEXT) | instid1(VALU_DEP_2)
	v_perm_b32 v85, v88, v90, 0x5040100
	v_perm_b32 v84, v89, v66, 0x5040100
	ds_store_b128 v76, v[69:72]
	ds_store_b128 v76, v[83:86] offset:1024
	v_cmpx_gt_u32_e32 15, v0
	s_cbranch_execz .LBB1804_78
; %bb.77:
	s_mul_i32 s4, s8, s30
	s_delay_alu instid0(SALU_CYCLE_1) | instskip(SKIP_1) | instid1(VALU_DEP_1)
	v_add3_u32 v69, s4, s31, v65
	s_load_b128 s[4:7], s[0:1], 0x58
	v_mad_u64_u32 v[65:66], null, v69, s34, s[14:15]
	s_delay_alu instid0(VALU_DEP_1) | instskip(NEXT) | instid1(VALU_DEP_1)
	v_ashrrev_i32_e32 v66, 31, v65
	v_lshlrev_b64 v[65:66], 2, v[65:66]
	s_waitcnt lgkmcnt(0)
	s_delay_alu instid0(VALU_DEP_1) | instskip(NEXT) | instid1(VALU_DEP_2)
	v_add_co_u32 v69, vcc_lo, s6, v65
	v_add_co_ci_u32_e32 v70, vcc_lo, s7, v66, vcc_lo
	v_add_co_u32 v65, vcc_lo, s4, v65
	v_add_co_ci_u32_e32 v66, vcc_lo, s5, v66, vcc_lo
	global_store_b32 v[69:70], v67, off
	global_store_b32 v[65:66], v68, off
.LBB1804_78:
	s_or_b32 exec_lo, exec_lo, s3
	s_waitcnt lgkmcnt(0)
	s_waitcnt_vscnt null, 0x0
	s_barrier
	buffer_gl0_inv
	ds_load_b128 v[83:86], v80
	ds_load_b128 v[87:90], v80 offset:16
	ds_load_b128 v[95:98], v80 offset:2064
	;; [unrolled: 1-line block ×3, first 2 shown]
	v_mov_b32_e32 v65, 0
	ds_load_b128 v[103:106], v80 offset:4112
	ds_load_b128 v[99:102], v80 offset:4096
	;; [unrolled: 1-line block ×4, first 2 shown]
	v_mov_b32_e32 v66, v65
	v_mov_b32_e32 v67, v65
	;; [unrolled: 1-line block ×7, first 2 shown]
	s_waitcnt lgkmcnt(6)
	s_delay_alu instid0(VALU_DEP_1)
	v_wmma_f32_16x16x16_bf16 v[65:72], v[49:56], v[83:90], v[65:72]
	ds_load_b128 v[53:56], v80 offset:8208
	ds_load_b128 v[49:52], v80 offset:8192
	s_waitcnt lgkmcnt(6)
	v_wmma_f32_16x16x16_bf16 v[65:72], v[41:48], v[91:98], v[65:72]
	ds_load_b128 v[45:48], v80 offset:10256
	ds_load_b128 v[41:44], v80 offset:10240
	s_waitcnt lgkmcnt(6)
	;; [unrolled: 4-line block ×4, first 2 shown]
	v_wmma_f32_16x16x16_bf16 v[65:72], v[1:8], v[49:56], v[65:72]
	s_waitcnt lgkmcnt(4)
	s_delay_alu instid0(VALU_DEP_1) | instskip(SKIP_1) | instid1(VALU_DEP_1)
	v_wmma_f32_16x16x16_bf16 v[65:72], v[9:16], v[41:48], v[65:72]
	s_waitcnt lgkmcnt(2)
	v_wmma_f32_16x16x16_bf16 v[65:72], v[17:24], v[33:40], v[65:72]
	s_waitcnt lgkmcnt(0)
	s_delay_alu instid0(VALU_DEP_1) | instskip(NEXT) | instid1(VALU_DEP_1)
	v_wmma_f32_16x16x16_bf16 v[65:72], v[57:64], v[25:32], v[65:72]
	v_and_b32_e32 v1, 0x7f800000, v65
	s_delay_alu instid0(VALU_DEP_1) | instskip(SKIP_1) | instid1(SALU_CYCLE_1)
	v_cmp_ne_u32_e32 vcc_lo, 0x7f800000, v1
                                        ; implicit-def: $vgpr1
	s_and_saveexec_b32 s3, vcc_lo
	s_xor_b32 s3, exec_lo, s3
; %bb.79:
	v_bfe_u32 v1, v65, 16, 1
	s_delay_alu instid0(VALU_DEP_1)
	v_add3_u32 v1, v65, v1, 0x7fff
; %bb.80:
	s_and_not1_saveexec_b32 s3, s3
; %bb.81:
	v_and_b32_e32 v1, 0xffff, v65
	v_or_b32_e32 v2, 0x10000, v65
	s_delay_alu instid0(VALU_DEP_2) | instskip(NEXT) | instid1(VALU_DEP_2)
	v_cmp_eq_u32_e32 vcc_lo, 0, v1
	v_cndmask_b32_e32 v1, v2, v65, vcc_lo
; %bb.82:
	s_or_b32 exec_lo, exec_lo, s3
	v_and_b32_e32 v2, 0x7f800000, v66
	s_delay_alu instid0(VALU_DEP_1) | instskip(SKIP_1) | instid1(SALU_CYCLE_1)
	v_cmp_ne_u32_e32 vcc_lo, 0x7f800000, v2
                                        ; implicit-def: $vgpr2
	s_and_saveexec_b32 s3, vcc_lo
	s_xor_b32 s3, exec_lo, s3
; %bb.83:
	v_bfe_u32 v2, v66, 16, 1
	s_delay_alu instid0(VALU_DEP_1)
	v_add3_u32 v2, v66, v2, 0x7fff
; %bb.84:
	s_and_not1_saveexec_b32 s3, s3
; %bb.85:
	v_and_b32_e32 v2, 0xffff, v66
	v_or_b32_e32 v3, 0x10000, v66
	s_delay_alu instid0(VALU_DEP_2) | instskip(NEXT) | instid1(VALU_DEP_2)
	v_cmp_eq_u32_e32 vcc_lo, 0, v2
	v_cndmask_b32_e32 v2, v3, v66, vcc_lo
; %bb.86:
	s_or_b32 exec_lo, exec_lo, s3
	v_and_b32_e32 v3, 0x7f800000, v67
	s_delay_alu instid0(VALU_DEP_1) | instskip(SKIP_1) | instid1(SALU_CYCLE_1)
	v_cmp_ne_u32_e32 vcc_lo, 0x7f800000, v3
                                        ; implicit-def: $vgpr3
	s_and_saveexec_b32 s3, vcc_lo
	s_xor_b32 s3, exec_lo, s3
; %bb.87:
	v_bfe_u32 v3, v67, 16, 1
	s_delay_alu instid0(VALU_DEP_1)
	v_add3_u32 v3, v67, v3, 0x7fff
; %bb.88:
	s_and_not1_saveexec_b32 s3, s3
; %bb.89:
	v_and_b32_e32 v3, 0xffff, v67
	v_or_b32_e32 v4, 0x10000, v67
	s_delay_alu instid0(VALU_DEP_2) | instskip(NEXT) | instid1(VALU_DEP_2)
	v_cmp_eq_u32_e32 vcc_lo, 0, v3
	v_cndmask_b32_e32 v3, v4, v67, vcc_lo
; %bb.90:
	s_or_b32 exec_lo, exec_lo, s3
	v_and_b32_e32 v4, 0x7f800000, v68
	s_delay_alu instid0(VALU_DEP_1) | instskip(SKIP_1) | instid1(SALU_CYCLE_1)
	v_cmp_ne_u32_e32 vcc_lo, 0x7f800000, v4
                                        ; implicit-def: $vgpr4
	s_and_saveexec_b32 s3, vcc_lo
	s_xor_b32 s3, exec_lo, s3
; %bb.91:
	v_bfe_u32 v4, v68, 16, 1
	s_delay_alu instid0(VALU_DEP_1)
	v_add3_u32 v4, v68, v4, 0x7fff
; %bb.92:
	s_and_not1_saveexec_b32 s3, s3
; %bb.93:
	v_and_b32_e32 v4, 0xffff, v68
	v_or_b32_e32 v5, 0x10000, v68
	s_delay_alu instid0(VALU_DEP_2) | instskip(NEXT) | instid1(VALU_DEP_2)
	v_cmp_eq_u32_e32 vcc_lo, 0, v4
	v_cndmask_b32_e32 v4, v5, v68, vcc_lo
; %bb.94:
	s_or_b32 exec_lo, exec_lo, s3
	v_and_b32_e32 v5, 0x7f800000, v69
	s_delay_alu instid0(VALU_DEP_1) | instskip(SKIP_1) | instid1(SALU_CYCLE_1)
	v_cmp_ne_u32_e32 vcc_lo, 0x7f800000, v5
                                        ; implicit-def: $vgpr5
	s_and_saveexec_b32 s3, vcc_lo
	s_xor_b32 s3, exec_lo, s3
; %bb.95:
	v_bfe_u32 v5, v69, 16, 1
	s_delay_alu instid0(VALU_DEP_1)
	v_add3_u32 v5, v69, v5, 0x7fff
; %bb.96:
	s_and_not1_saveexec_b32 s3, s3
; %bb.97:
	v_and_b32_e32 v5, 0xffff, v69
	v_or_b32_e32 v6, 0x10000, v69
	s_delay_alu instid0(VALU_DEP_2) | instskip(NEXT) | instid1(VALU_DEP_2)
	v_cmp_eq_u32_e32 vcc_lo, 0, v5
	v_cndmask_b32_e32 v5, v6, v69, vcc_lo
; %bb.98:
	s_or_b32 exec_lo, exec_lo, s3
	v_and_b32_e32 v6, 0x7f800000, v70
	s_delay_alu instid0(VALU_DEP_1) | instskip(SKIP_1) | instid1(SALU_CYCLE_1)
	v_cmp_ne_u32_e32 vcc_lo, 0x7f800000, v6
                                        ; implicit-def: $vgpr6
	s_and_saveexec_b32 s3, vcc_lo
	s_xor_b32 s3, exec_lo, s3
; %bb.99:
	v_bfe_u32 v6, v70, 16, 1
	s_delay_alu instid0(VALU_DEP_1)
	v_add3_u32 v6, v70, v6, 0x7fff
; %bb.100:
	s_and_not1_saveexec_b32 s3, s3
; %bb.101:
	v_and_b32_e32 v6, 0xffff, v70
	v_or_b32_e32 v7, 0x10000, v70
	s_delay_alu instid0(VALU_DEP_2) | instskip(NEXT) | instid1(VALU_DEP_2)
	v_cmp_eq_u32_e32 vcc_lo, 0, v6
	v_cndmask_b32_e32 v6, v7, v70, vcc_lo
; %bb.102:
	s_or_b32 exec_lo, exec_lo, s3
	v_and_b32_e32 v7, 0x7f800000, v71
	s_delay_alu instid0(VALU_DEP_1) | instskip(SKIP_1) | instid1(SALU_CYCLE_1)
	v_cmp_ne_u32_e32 vcc_lo, 0x7f800000, v7
                                        ; implicit-def: $vgpr7
	s_and_saveexec_b32 s3, vcc_lo
	s_xor_b32 s3, exec_lo, s3
; %bb.103:
	v_bfe_u32 v7, v71, 16, 1
	s_delay_alu instid0(VALU_DEP_1)
	v_add3_u32 v7, v71, v7, 0x7fff
; %bb.104:
	s_and_not1_saveexec_b32 s3, s3
; %bb.105:
	v_and_b32_e32 v7, 0xffff, v71
	v_or_b32_e32 v8, 0x10000, v71
	s_delay_alu instid0(VALU_DEP_2) | instskip(NEXT) | instid1(VALU_DEP_2)
	v_cmp_eq_u32_e32 vcc_lo, 0, v7
	v_cndmask_b32_e32 v7, v8, v71, vcc_lo
; %bb.106:
	s_or_b32 exec_lo, exec_lo, s3
	v_and_b32_e32 v8, 0x7f800000, v72
	s_delay_alu instid0(VALU_DEP_1) | instskip(SKIP_1) | instid1(SALU_CYCLE_1)
	v_cmp_ne_u32_e32 vcc_lo, 0x7f800000, v8
                                        ; implicit-def: $vgpr8
	s_and_saveexec_b32 s3, vcc_lo
	s_xor_b32 s3, exec_lo, s3
; %bb.107:
	v_bfe_u32 v8, v72, 16, 1
	s_delay_alu instid0(VALU_DEP_1)
	v_add3_u32 v8, v72, v8, 0x7fff
                                        ; implicit-def: $vgpr65_vgpr66_vgpr67_vgpr68_vgpr69_vgpr70_vgpr71_vgpr72
; %bb.108:
	s_and_not1_saveexec_b32 s3, s3
; %bb.109:
	v_and_b32_e32 v8, 0xffff, v72
	v_or_b32_e32 v9, 0x10000, v72
	s_delay_alu instid0(VALU_DEP_2) | instskip(NEXT) | instid1(VALU_DEP_2)
	v_cmp_eq_u32_e32 vcc_lo, 0, v8
	v_cndmask_b32_e32 v8, v9, v72, vcc_lo
; %bb.110:
	s_or_b32 exec_lo, exec_lo, s3
	s_delay_alu instid0(VALU_DEP_1)
	v_perm_b32 v7, v8, v7, 0x7060302
	v_perm_b32 v6, v6, v5, 0x7060302
	;; [unrolled: 1-line block ×4, first 2 shown]
	s_barrier
	buffer_gl0_inv
	v_cmp_eq_u32_e32 vcc_lo, 1, v78
	ds_store_b128 v76, v[4:7]
	s_waitcnt lgkmcnt(0)
	s_barrier
	buffer_gl0_inv
	ds_load_b128 v[1:4], v82
	ds_load_b128 v[5:8], v82 offset:16
	v_cmp_eq_u32_e64 s3, 1, v79
	v_cmp_eq_u32_e64 s4, 2, v78
	;; [unrolled: 1-line block ×5, first 2 shown]
	s_waitcnt lgkmcnt(1)
	v_lshrrev_b32_e32 v9, 16, v1
	s_waitcnt lgkmcnt(0)
	v_lshrrev_b32_e32 v13, 16, v5
	v_lshrrev_b32_e32 v10, 16, v2
	;; [unrolled: 1-line block ×4, first 2 shown]
	v_cndmask_b32_e64 v19, v1, v9, s3
	v_cndmask_b32_e32 v18, v5, v13, vcc_lo
	v_cndmask_b32_e64 v20, v5, v13, s3
	v_cndmask_b32_e32 v17, v1, v9, vcc_lo
	v_cmp_eq_u32_e32 vcc_lo, 2, v79
	v_lshrrev_b32_e32 v15, 16, v7
	v_cmp_eq_u32_e64 s3, 1, v77
	v_lshrrev_b32_e32 v12, 16, v4
	v_lshrrev_b32_e32 v16, 16, v8
	v_cndmask_b32_e32 v20, v20, v6, vcc_lo
	v_cndmask_b32_e64 v17, v17, v2, s4
	v_cndmask_b32_e32 v19, v19, v2, vcc_lo
	v_cndmask_b32_e64 v18, v18, v6, s4
	v_cmp_eq_u32_e32 vcc_lo, 4, v78
	v_cmp_eq_u32_e64 s4, 3, v79
	v_cndmask_b32_e64 v17, v17, v10, s5
	v_cndmask_b32_e64 v21, v1, v9, s3
	v_cndmask_b32_e64 v18, v18, v14, s5
	v_cndmask_b32_e64 v22, v5, v13, s3
	v_cndmask_b32_e64 v19, v19, v10, s4
	v_cndmask_b32_e32 v17, v17, v3, vcc_lo
	v_cndmask_b32_e64 v20, v20, v14, s4
	v_cndmask_b32_e32 v18, v18, v7, vcc_lo
	v_cmp_eq_u32_e32 vcc_lo, 4, v79
	v_cmp_eq_u32_e64 s4, 5, v79
	v_cmp_eq_u32_e64 s3, 2, v81
	v_cndmask_b32_e64 v21, v21, v2, s7
	v_cmp_eq_u32_e64 s5, 5, v78
	v_cndmask_b32_e32 v19, v19, v3, vcc_lo
	v_cndmask_b32_e32 v20, v20, v7, vcc_lo
	v_cmp_eq_u32_e32 vcc_lo, 6, v79
	s_delay_alu instid0(VALU_DEP_4) | instskip(NEXT) | instid1(VALU_DEP_4)
	v_cndmask_b32_e64 v17, v17, v11, s5
	v_cndmask_b32_e64 v19, v19, v11, s4
	s_delay_alu instid0(VALU_DEP_4) | instskip(SKIP_1) | instid1(VALU_DEP_3)
	v_cndmask_b32_e64 v20, v20, v15, s4
	v_cmp_eq_u32_e64 s4, 1, v81
	v_cndmask_b32_e32 v19, v19, v4, vcc_lo
	v_cndmask_b32_e64 v18, v18, v15, s5
	s_delay_alu instid0(VALU_DEP_3)
	v_cndmask_b32_e64 v1, v1, v9, s4
	v_cndmask_b32_e64 v5, v5, v13, s4
	v_cmp_eq_u32_e64 s4, 3, v77
	v_cndmask_b32_e64 v13, v22, v6, s7
	v_cmp_eq_u32_e64 s7, 3, v81
	v_cndmask_b32_e64 v1, v1, v2, s3
	v_cndmask_b32_e64 v2, v5, v6, s3
	;; [unrolled: 1-line block ×3, first 2 shown]
	v_cmp_eq_u32_e64 s3, 4, v77
	v_cndmask_b32_e64 v6, v13, v14, s4
	v_cndmask_b32_e64 v1, v1, v10, s7
	v_cmp_eq_u32_e64 s4, 4, v81
	v_cndmask_b32_e64 v2, v2, v14, s7
	v_cndmask_b32_e64 v5, v9, v3, s3
	;; [unrolled: 3-line block ×3, first 2 shown]
	v_cndmask_b32_e64 v2, v2, v7, s4
	v_cmp_eq_u32_e64 s3, 5, v81
	v_cmp_eq_u32_e64 s5, 6, v78
	v_cndmask_b32_e64 v5, v5, v11, s7
	v_cmp_eq_u32_e64 s4, 6, v77
	v_cndmask_b32_e64 v3, v6, v15, s7
	v_cndmask_b32_e64 v1, v1, v11, s3
	v_cmp_eq_u32_e64 s7, 6, v81
	v_cndmask_b32_e64 v2, v2, v15, s3
	v_cndmask_b32_e64 v17, v17, v4, s5
	v_cndmask_b32_e64 v18, v18, v8, s5
	v_cmp_eq_u32_e64 s5, 7, v78
	v_cndmask_b32_e64 v5, v5, v4, s4
	;; [unrolled: 4-line block ×3, first 2 shown]
	v_cmp_eq_u32_e64 s4, 7, v77
	v_cndmask_b32_e32 v4, v20, v8, vcc_lo
	v_cndmask_b32_e64 v17, v17, v12, s5
	v_cndmask_b32_e64 v19, v19, v12, s6
	;; [unrolled: 1-line block ×8, first 2 shown]
	s_mov_b32 s3, exec_lo
	v_perm_b32 v4, v2, v1, 0x5040100
	v_perm_b32 v3, v3, v5, 0x5040100
	v_perm_b32 v2, v6, v19, 0x5040100
	v_perm_b32 v1, v7, v17, 0x5040100
	ds_store_b128 v76, v[1:4]
	s_waitcnt lgkmcnt(0)
	s_barrier
	buffer_gl0_inv
	v_cmpx_gt_u32_e32 32, v0
	s_cbranch_execz .LBB1804_2
; %bb.111:
	s_load_b64 s[4:5], s[0:1], 0x68
	v_add_nc_u32_e32 v20, s31, v74
	v_lshlrev_b32_e32 v0, 10, v0
	v_lshlrev_b32_e32 v1, 4, v75
	s_lshl_b32 s0, s34, 7
	s_delay_alu instid0(SALU_CYCLE_1)
	s_mul_i32 s1, s0, s30
	v_add_nc_u32_e32 v2, 2, v20
	s_mul_i32 s6, s1, s8
	v_and_or_b32 v0, 0x3800, v0, v1
	v_mul_lo_u32 v1, v20, s0
	s_ashr_i32 s7, s6, 31
	v_mul_lo_u32 v11, v2, s0
	s_lshl_b64 s[6:7], s[6:7], 1
	v_add_nc_u32_e32 v3, 4, v20
	v_lshl_or_b32 v21, v74, 6, v0
	v_add_nc_u32_e32 v16, 6, v20
	v_ashrrev_i32_e32 v2, 31, v1
	s_delay_alu instid0(VALU_DEP_4)
	v_mul_lo_u32 v13, v3, s0
	s_waitcnt lgkmcnt(0)
	s_add_u32 s1, s4, s6
	s_addc_u32 s3, s5, s7
	s_lshl_b32 s4, s14, 7
	ds_load_b128 v[3:6], v21
	ds_load_b128 v[7:10], v21 offset:128
	s_ashr_i32 s5, s4, 31
	v_ashrrev_i32_e32 v12, 31, v11
	s_lshl_b64 s[4:5], s[4:5], 1
	v_lshlrev_b64 v[14:15], 1, v[1:2]
	s_add_u32 s1, s1, s4
	s_addc_u32 s3, s3, s5
	v_add_co_u32 v1, s1, s1, v73
	s_delay_alu instid0(VALU_DEP_1) | instskip(SKIP_1) | instid1(VALU_DEP_3)
	v_add_co_ci_u32_e64 v2, null, s3, 0, s1
	v_lshlrev_b64 v[11:12], 1, v[11:12]
	v_add_co_u32 v18, vcc_lo, v1, v14
	v_mul_lo_u32 v16, v16, s0
	s_delay_alu instid0(VALU_DEP_4) | instskip(NEXT) | instid1(VALU_DEP_4)
	v_add_co_ci_u32_e32 v19, vcc_lo, v2, v15, vcc_lo
	v_add_co_u32 v11, vcc_lo, v1, v11
	v_ashrrev_i32_e32 v14, 31, v13
	v_add_co_ci_u32_e32 v12, vcc_lo, v2, v12, vcc_lo
	v_add_nc_u32_e32 v15, 8, v20
	v_ashrrev_i32_e32 v17, 31, v16
	s_waitcnt lgkmcnt(1)
	global_store_b128 v[18:19], v[3:6], off
	v_lshlrev_b64 v[3:4], 1, v[13:14]
	s_waitcnt lgkmcnt(0)
	global_store_b128 v[11:12], v[7:10], off
	v_mul_lo_u32 v11, v15, s0
	v_add_nc_u32_e32 v7, 10, v20
	v_lshlrev_b64 v[5:6], 1, v[16:17]
	v_add_co_u32 v23, vcc_lo, v1, v3
	v_add_nc_u32_e32 v3, 12, v20
	s_delay_alu instid0(VALU_DEP_4)
	v_mul_lo_u32 v25, v7, s0
	v_ashrrev_i32_e32 v12, 31, v11
	v_add_co_ci_u32_e32 v24, vcc_lo, v2, v4, vcc_lo
	v_add_co_u32 v27, vcc_lo, v1, v5
	v_mul_lo_u32 v29, v3, s0
	v_add_co_ci_u32_e32 v28, vcc_lo, v2, v6, vcc_lo
	ds_load_b128 v[3:6], v21 offset:256
	ds_load_b128 v[7:10], v21 offset:384
	v_lshlrev_b64 v[31:32], 1, v[11:12]
	ds_load_b128 v[11:14], v21 offset:512
	ds_load_b128 v[15:18], v21 offset:640
	;; [unrolled: 1-line block ×3, first 2 shown]
	v_ashrrev_i32_e32 v26, 31, v25
	v_ashrrev_i32_e32 v30, 31, v29
	v_add_co_u32 v31, vcc_lo, v1, v31
	s_delay_alu instid0(VALU_DEP_3) | instskip(NEXT) | instid1(VALU_DEP_3)
	v_lshlrev_b64 v[25:26], 1, v[25:26]
	v_lshlrev_b64 v[29:30], 1, v[29:30]
	v_add_co_ci_u32_e32 v32, vcc_lo, v2, v32, vcc_lo
	s_delay_alu instid0(VALU_DEP_3) | instskip(NEXT) | instid1(VALU_DEP_4)
	v_add_co_u32 v25, vcc_lo, v1, v25
	v_add_co_ci_u32_e32 v26, vcc_lo, v2, v26, vcc_lo
	s_delay_alu instid0(VALU_DEP_4)
	v_add_co_u32 v29, vcc_lo, v1, v29
	v_add_co_ci_u32_e32 v30, vcc_lo, v2, v30, vcc_lo
	s_waitcnt lgkmcnt(4)
	global_store_b128 v[23:24], v[3:6], off
	s_waitcnt lgkmcnt(3)
	global_store_b128 v[27:28], v[7:10], off
	;; [unrolled: 2-line block ×5, first 2 shown]
	s_and_b32 exec_lo, exec_lo, s2
	s_cbranch_execz .LBB1804_2
; %bb.112:
	ds_load_b128 v[3:6], v0 offset:896
	s_add_i32 s1, s31, 14
	s_delay_alu instid0(SALU_CYCLE_1) | instskip(NEXT) | instid1(SALU_CYCLE_1)
	s_mul_i32 s0, s1, s0
	s_ashr_i32 s1, s0, 31
	s_delay_alu instid0(SALU_CYCLE_1) | instskip(NEXT) | instid1(SALU_CYCLE_1)
	s_lshl_b64 s[0:1], s[0:1], 1
	v_add_co_u32 v0, vcc_lo, v1, s0
	v_add_co_ci_u32_e32 v1, vcc_lo, s1, v2, vcc_lo
	s_waitcnt lgkmcnt(0)
	global_store_b128 v[0:1], v[3:6], off
	s_nop 0
	s_sendmsg sendmsg(MSG_DEALLOC_VGPRS)
	s_endpgm
	.section	.rodata,"a",@progbits
	.p2align	6, 0x0
	.amdhsa_kernel _Z39paged_attention_ll4mi_QKV_mfma16_kernelI14__hip_bfloat16hLN4vllm18Fp8KVCacheDataTypeE1EhLi16ELi128ELi256ELb1ELi15EL8MFMAType0EEvPKT_PKT0_S9_ifPKiSB_SB_iPKfiiiPfSE_PS4_PT2_iSD_SD_
		.amdhsa_group_segment_fixed_size 17472
		.amdhsa_private_segment_fixed_size 0
		.amdhsa_kernarg_size 400
		.amdhsa_user_sgpr_count 13
		.amdhsa_user_sgpr_dispatch_ptr 0
		.amdhsa_user_sgpr_queue_ptr 0
		.amdhsa_user_sgpr_kernarg_segment_ptr 1
		.amdhsa_user_sgpr_dispatch_id 0
		.amdhsa_user_sgpr_private_segment_size 0
		.amdhsa_wavefront_size32 1
		.amdhsa_uses_dynamic_stack 0
		.amdhsa_enable_private_segment 0
		.amdhsa_system_sgpr_workgroup_id_x 1
		.amdhsa_system_sgpr_workgroup_id_y 1
		.amdhsa_system_sgpr_workgroup_id_z 1
		.amdhsa_system_sgpr_workgroup_info 0
		.amdhsa_system_vgpr_workitem_id 0
		.amdhsa_next_free_vgpr 140
		.amdhsa_next_free_sgpr 36
		.amdhsa_reserve_vcc 1
		.amdhsa_float_round_mode_32 0
		.amdhsa_float_round_mode_16_64 0
		.amdhsa_float_denorm_mode_32 3
		.amdhsa_float_denorm_mode_16_64 3
		.amdhsa_dx10_clamp 1
		.amdhsa_ieee_mode 1
		.amdhsa_fp16_overflow 0
		.amdhsa_workgroup_processor_mode 1
		.amdhsa_memory_ordered 1
		.amdhsa_forward_progress 0
		.amdhsa_shared_vgpr_count 0
		.amdhsa_exception_fp_ieee_invalid_op 0
		.amdhsa_exception_fp_denorm_src 0
		.amdhsa_exception_fp_ieee_div_zero 0
		.amdhsa_exception_fp_ieee_overflow 0
		.amdhsa_exception_fp_ieee_underflow 0
		.amdhsa_exception_fp_ieee_inexact 0
		.amdhsa_exception_int_div_zero 0
	.end_amdhsa_kernel
	.section	.text._Z39paged_attention_ll4mi_QKV_mfma16_kernelI14__hip_bfloat16hLN4vllm18Fp8KVCacheDataTypeE1EhLi16ELi128ELi256ELb1ELi15EL8MFMAType0EEvPKT_PKT0_S9_ifPKiSB_SB_iPKfiiiPfSE_PS4_PT2_iSD_SD_,"axG",@progbits,_Z39paged_attention_ll4mi_QKV_mfma16_kernelI14__hip_bfloat16hLN4vllm18Fp8KVCacheDataTypeE1EhLi16ELi128ELi256ELb1ELi15EL8MFMAType0EEvPKT_PKT0_S9_ifPKiSB_SB_iPKfiiiPfSE_PS4_PT2_iSD_SD_,comdat
.Lfunc_end1804:
	.size	_Z39paged_attention_ll4mi_QKV_mfma16_kernelI14__hip_bfloat16hLN4vllm18Fp8KVCacheDataTypeE1EhLi16ELi128ELi256ELb1ELi15EL8MFMAType0EEvPKT_PKT0_S9_ifPKiSB_SB_iPKfiiiPfSE_PS4_PT2_iSD_SD_, .Lfunc_end1804-_Z39paged_attention_ll4mi_QKV_mfma16_kernelI14__hip_bfloat16hLN4vllm18Fp8KVCacheDataTypeE1EhLi16ELi128ELi256ELb1ELi15EL8MFMAType0EEvPKT_PKT0_S9_ifPKiSB_SB_iPKfiiiPfSE_PS4_PT2_iSD_SD_
                                        ; -- End function
	.section	.AMDGPU.csdata,"",@progbits
; Kernel info:
; codeLenInByte = 9152
; NumSgprs: 38
; NumVgprs: 140
; ScratchSize: 0
; MemoryBound: 0
; FloatMode: 240
; IeeeMode: 1
; LDSByteSize: 17472 bytes/workgroup (compile time only)
; SGPRBlocks: 4
; VGPRBlocks: 17
; NumSGPRsForWavesPerEU: 38
; NumVGPRsForWavesPerEU: 140
; Occupancy: 10
; WaveLimiterHint : 1
; COMPUTE_PGM_RSRC2:SCRATCH_EN: 0
; COMPUTE_PGM_RSRC2:USER_SGPR: 13
; COMPUTE_PGM_RSRC2:TRAP_HANDLER: 0
; COMPUTE_PGM_RSRC2:TGID_X_EN: 1
; COMPUTE_PGM_RSRC2:TGID_Y_EN: 1
; COMPUTE_PGM_RSRC2:TGID_Z_EN: 1
; COMPUTE_PGM_RSRC2:TIDIG_COMP_CNT: 0
	.section	.text._Z39paged_attention_ll4mi_QKV_mfma16_kernelI14__hip_bfloat16hLN4vllm18Fp8KVCacheDataTypeE1EhLi16ELi128ELi256ELb1ELi16EL8MFMAType0EEvPKT_PKT0_S9_ifPKiSB_SB_iPKfiiiPfSE_PS4_PT2_iSD_SD_,"axG",@progbits,_Z39paged_attention_ll4mi_QKV_mfma16_kernelI14__hip_bfloat16hLN4vllm18Fp8KVCacheDataTypeE1EhLi16ELi128ELi256ELb1ELi16EL8MFMAType0EEvPKT_PKT0_S9_ifPKiSB_SB_iPKfiiiPfSE_PS4_PT2_iSD_SD_,comdat
	.protected	_Z39paged_attention_ll4mi_QKV_mfma16_kernelI14__hip_bfloat16hLN4vllm18Fp8KVCacheDataTypeE1EhLi16ELi128ELi256ELb1ELi16EL8MFMAType0EEvPKT_PKT0_S9_ifPKiSB_SB_iPKfiiiPfSE_PS4_PT2_iSD_SD_ ; -- Begin function _Z39paged_attention_ll4mi_QKV_mfma16_kernelI14__hip_bfloat16hLN4vllm18Fp8KVCacheDataTypeE1EhLi16ELi128ELi256ELb1ELi16EL8MFMAType0EEvPKT_PKT0_S9_ifPKiSB_SB_iPKfiiiPfSE_PS4_PT2_iSD_SD_
	.globl	_Z39paged_attention_ll4mi_QKV_mfma16_kernelI14__hip_bfloat16hLN4vllm18Fp8KVCacheDataTypeE1EhLi16ELi128ELi256ELb1ELi16EL8MFMAType0EEvPKT_PKT0_S9_ifPKiSB_SB_iPKfiiiPfSE_PS4_PT2_iSD_SD_
	.p2align	8
	.type	_Z39paged_attention_ll4mi_QKV_mfma16_kernelI14__hip_bfloat16hLN4vllm18Fp8KVCacheDataTypeE1EhLi16ELi128ELi256ELb1ELi16EL8MFMAType0EEvPKT_PKT0_S9_ifPKiSB_SB_iPKfiiiPfSE_PS4_PT2_iSD_SD_,@function
_Z39paged_attention_ll4mi_QKV_mfma16_kernelI14__hip_bfloat16hLN4vllm18Fp8KVCacheDataTypeE1EhLi16ELi128ELi256ELb1ELi16EL8MFMAType0EEvPKT_PKT0_S9_ifPKiSB_SB_iPKfiiiPfSE_PS4_PT2_iSD_SD_: ; @_Z39paged_attention_ll4mi_QKV_mfma16_kernelI14__hip_bfloat16hLN4vllm18Fp8KVCacheDataTypeE1EhLi16ELi128ELi256ELb1ELi16EL8MFMAType0EEvPKT_PKT0_S9_ifPKiSB_SB_iPKfiiiPfSE_PS4_PT2_iSD_SD_
; %bb.0:
	s_load_b64 s[4:5], s[0:1], 0x30
	s_mov_b32 s30, s13
	s_waitcnt lgkmcnt(0)
	s_cmp_lg_u64 s[4:5], 0
	s_cselect_b32 s8, -1, 0
	s_ashr_i32 s31, s13, 31
	s_cmp_eq_u64 s[4:5], 0
	s_cbranch_scc1 .LBB1805_3
; %bb.1:
	s_lshl_b64 s[2:3], s[30:31], 2
	s_delay_alu instid0(SALU_CYCLE_1) | instskip(SKIP_4) | instid1(SALU_CYCLE_1)
	s_add_u32 s2, s4, s2
	s_addc_u32 s3, s5, s3
	s_load_b64 s[2:3], s[2:3], 0x0
	s_waitcnt lgkmcnt(0)
	s_sub_i32 s2, s3, s2
	s_cmp_eq_u32 s2, 1
	s_cselect_b32 s2, -1, 0
	s_delay_alu instid0(SALU_CYCLE_1)
	s_and_not1_b32 vcc_lo, exec_lo, s2
	s_cbranch_vccz .LBB1805_4
.LBB1805_2:
	s_endpgm
.LBB1805_3:
.LBB1805_4:
	s_load_b64 s[2:3], s[0:1], 0x28
	s_lshl_b64 s[6:7], s[30:31], 2
	s_waitcnt lgkmcnt(0)
	s_add_u32 s2, s2, s6
	s_addc_u32 s3, s3, s7
	s_lshl_b32 s12, s14, 8
	s_load_b32 s24, s[2:3], 0x0
	s_waitcnt lgkmcnt(0)
	s_cmp_ge_i32 s12, s24
	s_cbranch_scc1 .LBB1805_2
; %bb.5:
	s_clause 0x1
	s_load_b128 s[20:23], s[0:1], 0x8
	s_load_b64 s[2:3], s[0:1], 0x20
	s_and_not1_b32 vcc_lo, exec_lo, s8
	s_cbranch_vccnz .LBB1805_7
; %bb.6:
	s_add_u32 s4, s4, s6
	s_addc_u32 s5, s5, s7
	s_load_b32 s5, s[4:5], 0x0
	s_branch .LBB1805_8
.LBB1805_7:
	s_mov_b32 s5, s30
.LBB1805_8:
	s_load_b128 s[16:19], s[0:1], 0x48
	v_and_b32_e32 v66, 15, v0
	v_lshrrev_b32_e32 v65, 5, v0
	v_and_b32_e32 v67, 31, v0
	v_and_b32_e32 v75, 1, v0
	v_bfe_u32 v74, v0, 4, 1
	v_lshlrev_b32_e32 v1, 3, v66
	s_lshl_b32 s29, s15, 4
	s_mov_b32 s4, exec_lo
	s_delay_alu instid0(VALU_DEP_1)
	v_lshlrev_b32_e32 v73, 1, v1
	v_cmpx_gt_u32_e32 0x100, v0
	s_cbranch_execz .LBB1805_10
; %bb.9:
	v_lshl_or_b32 v5, v65, 1, v74
	s_load_b64 s[6:7], s[0:1], 0x0
	s_waitcnt lgkmcnt(0)
	s_mul_hi_i32 s9, s5, s16
	s_mul_i32 s8, s5, s16
	v_lshlrev_b32_e32 v6, 10, v66
	v_or_b32_e32 v1, s29, v5
	s_lshl_b64 s[8:9], s[8:9], 1
	v_lshlrev_b32_e32 v5, 6, v5
	v_lshlrev_b32_e32 v7, 10, v75
	v_and_b32_e32 v6, 0x3800, v6
	v_lshlrev_b32_e32 v1, 7, v1
	s_delay_alu instid0(VALU_DEP_2) | instskip(NEXT) | instid1(VALU_DEP_2)
	v_or3_b32 v5, v6, v7, v5
	v_ashrrev_i32_e32 v2, 31, v1
	s_delay_alu instid0(VALU_DEP_1) | instskip(SKIP_2) | instid1(VALU_DEP_1)
	v_lshlrev_b64 v[1:2], 1, v[1:2]
	s_add_u32 s5, s6, s8
	s_addc_u32 s6, s7, s9
	v_add_co_u32 v1, vcc_lo, s5, v1
	s_delay_alu instid0(VALU_DEP_2) | instskip(NEXT) | instid1(VALU_DEP_2)
	v_add_co_ci_u32_e32 v2, vcc_lo, s6, v2, vcc_lo
	v_add_co_u32 v1, vcc_lo, v1, v73
	s_delay_alu instid0(VALU_DEP_2)
	v_add_co_ci_u32_e32 v2, vcc_lo, 0, v2, vcc_lo
	global_load_b128 v[1:4], v[1:2], off
	s_waitcnt vmcnt(0)
	ds_store_b128 v5, v[1:4]
.LBB1805_10:
	s_or_b32 exec_lo, exec_lo, s4
	v_and_b32_e32 v1, 0xef, v0
	s_waitcnt lgkmcnt(0)
	s_add_i32 s5, s24, 15
	s_clause 0x1
	s_load_b32 s4, s[0:1], 0x38
	s_load_b32 s19, s[0:1], 0x1c
	s_ashr_i32 s6, s5, 31
	v_add_nc_u32_e32 v1, s12, v1
	s_lshr_b32 s6, s6, 28
	s_waitcnt lgkmcnt(0)
	s_add_i32 s5, s5, s6
	s_barrier
	v_ashrrev_i32_e32 v2, 31, v1
	v_or_b32_e32 v3, 16, v1
	s_ashr_i32 s13, s5, 4
	v_cmp_gt_i32_e32 vcc_lo, s24, v1
	s_add_i32 s13, s13, -1
	v_lshrrev_b32_e32 v2, 28, v2
	buffer_gl0_inv
	s_mul_i32 s15, s15, s18
	v_lshlrev_b32_e32 v41, 4, v66
	v_add_nc_u32_e32 v4, v1, v2
	s_mul_i32 s4, s30, s4
	s_delay_alu instid0(VALU_DEP_2) | instskip(SKIP_1) | instid1(VALU_DEP_2)
	v_lshl_or_b32 v41, v65, 8, v41
	s_ashr_i32 s5, s4, 31
	v_ashrrev_i32_e32 v4, 4, v4
	v_add_nc_u32_e32 v2, v3, v2
	s_lshl_b64 s[4:5], s[4:5], 2
	s_delay_alu instid0(SALU_CYCLE_1) | instskip(NEXT) | instid1(VALU_DEP_2)
	s_add_u32 s16, s2, s4
	v_cndmask_b32_e32 v1, s13, v4, vcc_lo
	s_delay_alu instid0(VALU_DEP_2)
	v_ashrrev_i32_e32 v2, 4, v2
	v_cmp_gt_i32_e32 vcc_lo, s24, v3
	s_addc_u32 s25, s3, s5
	s_ashr_i32 s18, s15, 31
	s_add_u32 s26, s20, s15
	s_addc_u32 s27, s21, s18
	v_cndmask_b32_e32 v3, s13, v2, vcc_lo
	v_ashrrev_i32_e32 v2, 31, v1
	s_lshl_b32 s2, s14, 4
	s_delay_alu instid0(SALU_CYCLE_1) | instskip(NEXT) | instid1(VALU_DEP_2)
	s_ashr_i32 s3, s2, 31
	v_ashrrev_i32_e32 v4, 31, v3
	s_delay_alu instid0(VALU_DEP_2) | instskip(SKIP_1) | instid1(SALU_CYCLE_1)
	v_lshlrev_b64 v[1:2], 2, v[1:2]
	s_lshl_b64 s[2:3], s[2:3], 2
	s_add_u32 s2, s16, s2
	s_delay_alu instid0(VALU_DEP_2) | instskip(SKIP_1) | instid1(VALU_DEP_2)
	v_lshlrev_b64 v[3:4], 2, v[3:4]
	s_addc_u32 s3, s25, s3
	v_add_co_u32 v1, vcc_lo, s16, v1
	v_add_co_ci_u32_e32 v2, vcc_lo, s25, v2, vcc_lo
	s_delay_alu instid0(VALU_DEP_3) | instskip(NEXT) | instid1(VALU_DEP_4)
	v_add_co_u32 v3, vcc_lo, s16, v3
	v_add_co_ci_u32_e32 v4, vcc_lo, s25, v4, vcc_lo
	s_clause 0x1
	global_load_b32 v5, v[1:2], off
	global_load_b32 v3, v[3:4], off
	s_or_b32 s4, s12, 32
	v_lshlrev_b32_e32 v1, 4, v0
	s_ashr_i32 s5, s4, 4
	s_cmp_lt_i32 s4, s24
	s_cselect_b32 s4, s5, s13
	s_delay_alu instid0(VALU_DEP_1) | instskip(SKIP_1) | instid1(SALU_CYCLE_1)
	v_and_b32_e32 v1, 0xf0, v1
	s_ashr_i32 s5, s4, 31
	s_lshl_b64 s[4:5], s[4:5], 2
	s_delay_alu instid0(SALU_CYCLE_1)
	s_add_u32 s4, s16, s4
	s_addc_u32 s5, s25, s5
	s_or_b32 s6, s12, 64
	v_add_co_u32 v1, s26, s26, v1
	s_ashr_i32 s7, s6, 4
	s_cmp_lt_i32 s6, s24
	v_add_co_ci_u32_e64 v2, null, s27, 0, s26
	s_cselect_b32 s6, s7, s13
	s_delay_alu instid0(SALU_CYCLE_1) | instskip(NEXT) | instid1(SALU_CYCLE_1)
	s_ashr_i32 s7, s6, 31
	s_lshl_b64 s[6:7], s[6:7], 2
	s_delay_alu instid0(SALU_CYCLE_1) | instskip(SKIP_2) | instid1(SALU_CYCLE_1)
	s_add_u32 s6, s16, s6
	s_addc_u32 s7, s25, s7
	s_or_b32 s8, s12, 0x60
	s_ashr_i32 s9, s8, 4
	s_cmp_lt_i32 s8, s24
	s_cselect_b32 s8, s9, s13
	s_delay_alu instid0(SALU_CYCLE_1) | instskip(NEXT) | instid1(SALU_CYCLE_1)
	s_ashr_i32 s9, s8, 31
	s_lshl_b64 s[8:9], s[8:9], 2
	s_delay_alu instid0(SALU_CYCLE_1) | instskip(SKIP_2) | instid1(SALU_CYCLE_1)
	s_add_u32 s8, s16, s8
	s_addc_u32 s9, s25, s9
	s_or_b32 s10, s12, 0x80
	s_ashr_i32 s11, s10, 4
	s_cmp_lt_i32 s10, s24
	;; [unrolled: 10-line block ×3, first 2 shown]
	s_cselect_b32 s20, s21, s13
	s_delay_alu instid0(SALU_CYCLE_1) | instskip(NEXT) | instid1(SALU_CYCLE_1)
	s_ashr_i32 s21, s20, 31
	s_lshl_b64 s[20:21], s[20:21], 2
	s_delay_alu instid0(SALU_CYCLE_1)
	s_add_u32 s20, s16, s20
	s_addc_u32 s21, s25, s21
	s_clause 0x5
	s_load_b32 s26, s[2:3], 0x0
	s_load_b32 s27, s[4:5], 0x0
	;; [unrolled: 1-line block ×6, first 2 shown]
	s_or_b32 s2, s12, 0xc0
	s_mov_b32 s4, 0
	s_ashr_i32 s3, s2, 4
	s_cmp_lt_i32 s2, s24
	s_mov_b32 s11, s4
	s_cselect_b32 s2, s3, s13
	s_mov_b32 s5, s4
	s_ashr_i32 s3, s2, 31
	s_mov_b32 s6, s4
	s_lshl_b64 s[2:3], s[2:3], 2
	s_mov_b32 s7, s4
	s_add_u32 s2, s16, s2
	s_mov_b32 s8, s4
	s_mov_b32 s9, s4
	;; [unrolled: 1-line block ×3, first 2 shown]
	s_addc_u32 s3, s25, s3
	s_or_b32 s21, s12, 0xe0
	v_mov_b32_e32 v108, s11
	v_mov_b32_e32 v102, s5
	v_dual_mov_b32 v105, s8 :: v_dual_lshlrev_b32 v76, 6, v66
	v_dual_mov_b32 v107, s10 :: v_dual_mov_b32 v106, s9
	v_dual_mov_b32 v104, s7 :: v_dual_mov_b32 v103, s6
	v_mov_b32_e32 v101, s4
	s_ashr_i32 s4, s21, 4
	s_cmp_lt_i32 s21, s24
	s_cselect_b32 s4, s4, s13
	s_delay_alu instid0(SALU_CYCLE_1) | instskip(NEXT) | instid1(SALU_CYCLE_1)
	s_ashr_i32 s5, s4, 31
	s_lshl_b64 s[4:5], s[4:5], 2
	s_waitcnt vmcnt(1)
	v_mad_i64_i32 v[33:34], null, v5, s17, v[1:2]
	s_waitcnt vmcnt(0)
	v_mad_i64_i32 v[35:36], null, v3, s17, v[1:2]
	s_clause 0xf
	global_load_b128 v[1:4], v[33:34], off
	global_load_b128 v[5:8], v[33:34], off offset:256
	global_load_b128 v[9:12], v[35:36], off
	global_load_b128 v[13:16], v[35:36], off offset:256
	global_load_b128 v[17:20], v[33:34], off offset:512
	;; [unrolled: 1-line block ×13, first 2 shown]
	ds_load_b128 v[33:36], v76
	ds_load_b128 v[37:40], v76 offset:1024
	ds_load_b128 v[109:112], v76 offset:2048
	ds_load_b128 v[113:116], v76 offset:3072
	s_load_b32 s6, s[2:3], 0x0
	s_add_u32 s2, s16, s4
	s_addc_u32 s3, s25, s5
	ds_load_b128 v[117:120], v76 offset:4096
	ds_load_b128 v[121:124], v76 offset:5120
	s_load_b32 s2, s[2:3], 0x0
	s_add_u32 s4, s22, s15
	s_addc_u32 s5, s23, s18
	v_add_co_u32 v68, s4, s4, v41
	s_delay_alu instid0(VALU_DEP_1) | instskip(SKIP_1) | instid1(VALU_DEP_1)
	v_add_co_ci_u32_e64 v69, null, s5, 0, s4
	s_waitcnt lgkmcnt(0)
	v_mad_i64_i32 v[41:42], null, s26, s17, v[68:69]
	v_mad_i64_i32 v[70:71], null, s28, s17, v[68:69]
	;; [unrolled: 1-line block ×7, first 2 shown]
	s_clause 0x3
	global_load_b128 v[49:52], v[41:42], off
	global_load_b128 v[53:56], v[41:42], off offset:16
	global_load_b128 v[41:44], v[45:46], off
	global_load_b128 v[45:48], v[45:46], off offset:16
	s_waitcnt vmcnt(18)
	v_wmma_f32_16x16x16_bf16 v[125:132], v[1:8], v[33:40], v[101:108]
	s_waitcnt vmcnt(16)
	v_wmma_f32_16x16x16_bf16 v[101:108], v[9:16], v[33:40], v[101:108]
	s_clause 0x1
	global_load_b128 v[33:36], v[70:71], off
	global_load_b128 v[37:40], v[70:71], off offset:16
	v_mad_i64_i32 v[70:71], null, s2, s17, v[68:69]
	s_waitcnt vmcnt(16)
	v_wmma_f32_16x16x16_bf16 v[125:132], v[17:24], v[109:116], v[125:132]
	s_waitcnt vmcnt(14)
	v_wmma_f32_16x16x16_bf16 v[101:108], v[25:32], v[109:116], v[101:108]
	s_clause 0x7
	global_load_b128 v[25:28], v[133:134], off
	global_load_b128 v[29:32], v[133:134], off offset:16
	global_load_b128 v[1:4], v[135:136], off
	global_load_b128 v[5:8], v[135:136], off offset:16
	;; [unrolled: 2-line block ×4, first 2 shown]
	s_waitcnt vmcnt(20)
	v_wmma_f32_16x16x16_bf16 v[125:132], v[57:64], v[117:124], v[125:132]
	s_clause 0x1
	global_load_b128 v[57:60], v[70:71], off
	global_load_b128 v[61:64], v[70:71], off offset:16
	s_waitcnt vmcnt(20)
	v_wmma_f32_16x16x16_bf16 v[101:108], v[77:84], v[117:124], v[101:108]
	ds_load_b128 v[77:80], v76 offset:6144
	ds_load_b128 v[81:84], v76 offset:7168
	v_and_b32_e32 v68, 0xe0, v0
	v_mbcnt_lo_u32_b32 v69, -1, 0
	s_waitcnt vmcnt(0) lgkmcnt(0)
	s_barrier
	buffer_gl0_inv
	v_add_nc_u32_e32 v68, s12, v68
	v_xor_b32_e32 v70, 16, v69
	s_delay_alu instid0(VALU_DEP_2) | instskip(NEXT) | instid1(VALU_DEP_2)
	v_or_b32_e32 v68, v68, v74
	v_cmp_gt_i32_e32 vcc_lo, 32, v70
	s_delay_alu instid0(VALU_DEP_2)
	v_or_b32_e32 v71, 4, v68
	v_or_b32_e32 v72, 6, v68
	v_cmp_gt_i32_e64 s2, s24, v68
	v_or_b32_e32 v109, 8, v68
	v_wmma_f32_16x16x16_bf16 v[125:132], v[85:92], v[77:84], v[125:132]
	v_cndmask_b32_e32 v69, v69, v70, vcc_lo
	v_or_b32_e32 v70, 2, v68
	v_wmma_f32_16x16x16_bf16 v[101:108], v[93:100], v[77:84], v[101:108]
	v_or_b32_e32 v85, 10, v68
	v_dual_mul_f32 v84, s19, v128 :: v_dual_mul_f32 v83, s19, v129
	v_dual_mul_f32 v94, s19, v126 :: v_dual_mul_f32 v95, s19, v125
	s_delay_alu instid0(VALU_DEP_4) | instskip(SKIP_2) | instid1(VALU_DEP_4)
	v_mul_f32_e32 v98, s19, v106
	v_cmp_gt_i32_e32 vcc_lo, s24, v70
	v_dual_mul_f32 v93, s19, v127 :: v_dual_mul_f32 v96, s19, v108
	v_cndmask_b32_e64 v95, 0xff7fffff, v95, s2
	v_cmp_gt_i32_e64 s3, s24, v71
	v_cndmask_b32_e32 v94, 0xff7fffff, v94, vcc_lo
	v_cmp_gt_i32_e64 s4, s24, v72
	v_or_b32_e32 v86, 12, v68
	v_or_b32_e32 v87, 14, v68
	v_dual_mul_f32 v81, s19, v131 :: v_dual_mul_f32 v82, s19, v130
	v_cndmask_b32_e64 v93, 0xff7fffff, v93, s3
	v_cndmask_b32_e64 v72, 0xff7fffff, v84, s4
	v_max3_f32 v84, v95, 0xff7fffff, v94
	v_cmp_gt_i32_e64 s5, s24, v109
	v_cmp_gt_i32_e64 s6, s24, v85
	v_or_b32_e32 v88, 16, v68
	v_or_b32_e32 v89, 18, v68
	v_mul_f32_e32 v80, s19, v132
	v_cndmask_b32_e64 v83, 0xff7fffff, v83, s5
	v_cndmask_b32_e64 v82, 0xff7fffff, v82, s6
	v_max3_f32 v72, v84, v93, v72
	v_cmp_gt_i32_e64 s7, s24, v86
	v_cmp_gt_i32_e64 s8, s24, v87
	v_or_b32_e32 v90, 20, v68
	v_or_b32_e32 v91, 22, v68
	;; [unrolled: 1-line block ×6, first 2 shown]
	v_dual_mul_f32 v68, s19, v102 :: v_dual_mul_f32 v71, s19, v101
	v_cndmask_b32_e64 v81, 0xff7fffff, v81, s7
	v_cndmask_b32_e64 v80, 0xff7fffff, v80, s8
	v_max3_f32 v72, v72, v83, v82
	v_cmp_gt_i32_e64 s9, s24, v88
	v_cmp_gt_i32_e64 s10, s24, v89
	v_dual_mul_f32 v97, s19, v107 :: v_dual_mul_f32 v100, s19, v104
	v_dual_mul_f32 v99, s19, v105 :: v_dual_mul_f32 v70, s19, v103
	s_delay_alu instid0(VALU_DEP_4) | instskip(NEXT) | instid1(VALU_DEP_4)
	v_cndmask_b32_e64 v71, 0xff7fffff, v71, s9
	v_cndmask_b32_e64 v68, 0xff7fffff, v68, s10
	v_max3_f32 v72, v72, v81, v80
	v_cmp_gt_i32_e64 s11, s24, v90
	v_cmp_gt_i32_e64 s12, s24, v91
	;; [unrolled: 1-line block ×4, first 2 shown]
	v_max3_f32 v68, v72, v71, v68
	v_cndmask_b32_e64 v70, 0xff7fffff, v70, s11
	v_cndmask_b32_e64 v80, 0xff7fffff, v100, s12
	;; [unrolled: 1-line block ×4, first 2 shown]
	v_cmp_gt_i32_e64 s16, s24, v78
	v_cmp_gt_i32_e64 s17, s24, v79
	v_max3_f32 v68, v68, v70, v80
	v_lshlrev_b32_e32 v90, 2, v69
	s_delay_alu instid0(VALU_DEP_4) | instskip(NEXT) | instid1(VALU_DEP_4)
	v_cndmask_b32_e64 v70, 0xff7fffff, v97, s16
	v_cndmask_b32_e64 v77, 0xff7fffff, v96, s17
	s_delay_alu instid0(VALU_DEP_4) | instskip(NEXT) | instid1(VALU_DEP_1)
	v_max3_f32 v68, v68, v71, v72
	v_max3_f32 v68, v68, v70, v77
	ds_bpermute_b32 v69, v90, v68
	s_waitcnt lgkmcnt(0)
	v_max_f32_e32 v69, v69, v69
	s_delay_alu instid0(VALU_DEP_1) | instskip(NEXT) | instid1(VALU_DEP_1)
	v_max_f32_e32 v81, v68, v69
	v_fma_f32 v68, s19, v125, -v81
	s_delay_alu instid0(VALU_DEP_1)
	v_mul_f32_e32 v68, 0x3fb8aa3b, v68
	v_fma_f32 v69, s19, v126, -v81
	v_fma_f32 v71, s19, v128, -v81
	;; [unrolled: 1-line block ×4, first 2 shown]
	v_exp_f32_e32 v68, v68
	v_mul_f32_e32 v69, 0x3fb8aa3b, v69
	s_delay_alu instid0(VALU_DEP_3) | instskip(NEXT) | instid1(VALU_DEP_3)
	v_dual_mul_f32 v71, 0x3fb8aa3b, v71 :: v_dual_mul_f32 v72, 0x3fb8aa3b, v72
	v_mul_f32_e32 v70, 0x3fb8aa3b, v70
	v_fma_f32 v78, s19, v131, -v81
	s_delay_alu instid0(VALU_DEP_4) | instskip(NEXT) | instid1(VALU_DEP_3)
	v_exp_f32_e32 v69, v69
	v_exp_f32_e32 v71, v71
	;; [unrolled: 1-line block ×4, first 2 shown]
	v_cndmask_b32_e64 v82, 0, v68, s2
	v_fma_f32 v68, s19, v130, -v81
	v_mul_f32_e32 v78, 0x3fb8aa3b, v78
	v_fma_f32 v80, s19, v106, -v81
	s_mov_b32 s2, exec_lo
	s_delay_alu instid0(VALU_DEP_3) | instskip(NEXT) | instid1(TRANS32_DEP_2)
	v_dual_cndmask_b32 v77, 0, v69 :: v_dual_mul_f32 v68, 0x3fb8aa3b, v68
	v_cndmask_b32_e64 v86, 0, v72, s5
	v_fma_f32 v72, s19, v102, -v81
	v_add_f32_e32 v69, 0, v82
	v_cndmask_b32_e64 v83, 0, v70, s3
	v_exp_f32_e32 v68, v68
	v_fma_f32 v70, s19, v132, -v81
	s_delay_alu instid0(VALU_DEP_3) | instskip(SKIP_2) | instid1(VALU_DEP_4)
	v_dual_mul_f32 v72, 0x3fb8aa3b, v72 :: v_dual_add_f32 v69, v69, v77
	v_cndmask_b32_e64 v85, 0, v71, s4
	v_fma_f32 v71, s19, v101, -v81
	v_mul_f32_e32 v70, 0x3fb8aa3b, v70
	v_exp_f32_e32 v78, v78
	v_add_f32_e32 v69, v69, v83
	v_exp_f32_e32 v72, v72
	s_delay_alu instid0(TRANS32_DEP_3) | instskip(SKIP_1) | instid1(VALU_DEP_2)
	v_cndmask_b32_e64 v87, 0, v68, s6
	v_exp_f32_e32 v70, v70
	v_add_f32_e32 v69, v69, v85
	v_mul_f32_e32 v71, 0x3fb8aa3b, v71
	s_delay_alu instid0(TRANS32_DEP_3) | instskip(NEXT) | instid1(VALU_DEP_3)
	v_cndmask_b32_e64 v84, 0, v78, s7
	v_add_f32_e32 v68, v69, v86
	v_fma_f32 v69, s19, v103, -v81
	s_delay_alu instid0(VALU_DEP_4) | instskip(SKIP_1) | instid1(TRANS32_DEP_2)
	v_exp_f32_e32 v71, v71
	v_fma_f32 v78, s19, v104, -v81
	v_cndmask_b32_e64 v88, 0, v70, s8
	s_delay_alu instid0(VALU_DEP_3) | instskip(SKIP_1) | instid1(VALU_DEP_2)
	v_dual_add_f32 v68, v68, v87 :: v_dual_mul_f32 v69, 0x3fb8aa3b, v69
	v_fma_f32 v70, s19, v105, -v81
	v_add_f32_e32 v68, v68, v84
	v_mul_f32_e32 v78, 0x3fb8aa3b, v78
	s_delay_alu instid0(VALU_DEP_4) | instskip(NEXT) | instid1(TRANS32_DEP_2)
	v_exp_f32_e32 v79, v69
	v_cndmask_b32_e64 v69, 0, v71, s9
	s_delay_alu instid0(VALU_DEP_3) | instskip(NEXT) | instid1(VALU_DEP_3)
	v_dual_add_f32 v71, v68, v88 :: v_dual_mul_f32 v70, 0x3fb8aa3b, v70
	v_exp_f32_e32 v78, v78
	v_cndmask_b32_e64 v68, 0, v72, s10
	v_fma_f32 v72, s19, v107, -v81
	s_delay_alu instid0(VALU_DEP_3) | instskip(SKIP_1) | instid1(TRANS32_DEP_3)
	v_add_f32_e32 v71, v71, v69
	v_exp_f32_e32 v89, v70
	v_cndmask_b32_e64 v70, 0, v79, s11
	s_delay_alu instid0(VALU_DEP_2) | instskip(NEXT) | instid1(TRANS32_DEP_2)
	v_add_f32_e32 v79, v71, v68
	v_cndmask_b32_e64 v71, 0, v78, s12
	s_delay_alu instid0(VALU_DEP_2) | instskip(SKIP_2) | instid1(VALU_DEP_1)
	v_add_f32_e32 v78, v79, v70
	v_mul_f32_e32 v80, 0x3fb8aa3b, v80
	v_fma_f32 v79, s19, v108, -v81
	v_dual_mul_f32 v72, 0x3fb8aa3b, v72 :: v_dual_mul_f32 v79, 0x3fb8aa3b, v79
	s_delay_alu instid0(VALU_DEP_1) | instskip(NEXT) | instid1(TRANS32_DEP_2)
	v_exp_f32_e32 v91, v72
	v_cndmask_b32_e64 v72, 0, v89, s13
	v_add_f32_e32 v89, v78, v71
	v_exp_f32_e32 v80, v80
	s_waitcnt_depctr 0xfff
	v_cndmask_b32_e64 v78, 0, v80, s15
	v_add_f32_e32 v80, v89, v72
	v_exp_f32_e32 v89, v79
	v_cndmask_b32_e64 v79, 0, v91, s16
	s_delay_alu instid0(VALU_DEP_2) | instskip(NEXT) | instid1(VALU_DEP_1)
	v_add_f32_e32 v80, v80, v78
	v_add_f32_e32 v91, v80, v79
	s_waitcnt_depctr 0xfff
	v_cndmask_b32_e64 v80, 0, v89, s17
	s_delay_alu instid0(VALU_DEP_1)
	v_add_f32_e32 v89, v91, v80
	ds_bpermute_b32 v90, v90, v89
	v_cmpx_gt_u32_e32 16, v67
	s_cbranch_execz .LBB1805_12
; %bb.11:
	v_mul_u32_u24_e32 v67, 0x44, v65
	s_waitcnt lgkmcnt(0)
	v_add_f32_e32 v89, v89, v90
	s_delay_alu instid0(VALU_DEP_2) | instskip(NEXT) | instid1(VALU_DEP_1)
	v_lshl_add_u32 v67, v66, 2, v67
	v_add_nc_u32_e32 v67, 0x4000, v67
	ds_store_2addr_b32 v67, v81, v89 offset1:136
.LBB1805_12:
	s_or_b32 exec_lo, exec_lo, s2
	v_lshlrev_b32_e32 v66, 2, v66
	s_waitcnt lgkmcnt(0)
	s_barrier
	buffer_gl0_inv
	v_cmp_eq_u32_e32 vcc_lo, 1, v65
	v_add_nc_u32_e32 v81, 0x4000, v66
	v_cmp_eq_u32_e64 s2, 2, v65
	v_cmp_eq_u32_e64 s4, 7, v65
	ds_load_2addr_b32 v[89:90], v81 offset1:17
	ds_load_2addr_b32 v[91:92], v81 offset0:34 offset1:51
	ds_load_2addr_b32 v[93:94], v81 offset0:68 offset1:85
	;; [unrolled: 1-line block ×4, first 2 shown]
	s_waitcnt lgkmcnt(4)
	v_max3_f32 v66, v89, 0xff7fffff, v90
	s_waitcnt lgkmcnt(3)
	s_delay_alu instid0(VALU_DEP_1) | instskip(SKIP_1) | instid1(VALU_DEP_1)
	v_max3_f32 v66, v66, v91, v92
	s_waitcnt lgkmcnt(2)
	v_max3_f32 v66, v66, v93, v94
	s_waitcnt lgkmcnt(1)
	s_delay_alu instid0(VALU_DEP_1) | instskip(NEXT) | instid1(VALU_DEP_1)
	v_max3_f32 v66, v66, v95, v96
	v_sub_f32_e32 v67, v89, v66
	v_sub_f32_e32 v91, v91, v66
	;; [unrolled: 1-line block ×3, first 2 shown]
	s_delay_alu instid0(VALU_DEP_3) | instskip(NEXT) | instid1(VALU_DEP_3)
	v_mul_f32_e32 v67, 0x3fb8aa3b, v67
	v_mul_f32_e32 v101, 0x3fb8aa3b, v91
	s_delay_alu instid0(VALU_DEP_3) | instskip(NEXT) | instid1(VALU_DEP_3)
	v_mul_f32_e32 v103, 0x3fb8aa3b, v93
	v_exp_f32_e32 v100, v67
	v_sub_f32_e32 v67, v92, v66
	v_sub_f32_e32 v99, v90, v66
	ds_load_2addr_b32 v[89:90], v81 offset0:170 offset1:187
	ds_load_2addr_b32 v[91:92], v81 offset0:204 offset1:221
	v_exp_f32_e32 v101, v101
	v_mul_f32_e32 v102, 0x3fb8aa3b, v67
	v_mul_f32_e32 v99, 0x3fb8aa3b, v99
	s_waitcnt lgkmcnt(2)
	v_fma_f32 v67, v100, v97, 0
	v_sub_f32_e32 v97, v94, v66
	s_delay_alu instid0(VALU_DEP_3)
	v_exp_f32_e32 v99, v99
	v_exp_f32_e32 v102, v102
	ds_load_2addr_b32 v[93:94], v81 offset0:238 offset1:255
	v_sub_f32_e32 v81, v95, v66
	v_mul_f32_e32 v95, 0x3fb8aa3b, v97
	v_exp_f32_e32 v97, v103
	s_waitcnt lgkmcnt(0)
	s_barrier
	v_mul_f32_e32 v81, 0x3fb8aa3b, v81
	v_exp_f32_e32 v95, v95
	v_fmac_f32_e32 v67, v99, v98
	buffer_gl0_inv
	v_exp_f32_e32 v81, v81
	v_fmac_f32_e32 v67, v101, v89
	v_sub_f32_e32 v89, v96, v66
	s_delay_alu instid0(VALU_DEP_2) | instskip(NEXT) | instid1(VALU_DEP_2)
	v_fmac_f32_e32 v67, v102, v90
	v_mul_f32_e32 v89, 0x3fb8aa3b, v89
	s_delay_alu instid0(VALU_DEP_2) | instskip(NEXT) | instid1(VALU_DEP_2)
	v_fmac_f32_e32 v67, v97, v91
	v_exp_f32_e32 v89, v89
	s_delay_alu instid0(VALU_DEP_1)
	v_fmac_f32_e32 v67, v95, v92
	s_delay_alu instid0(TRANS32_DEP_2) | instid1(VALU_DEP_1)
	v_fmac_f32_e32 v67, v81, v93
	s_waitcnt_depctr 0xfff
	v_fmac_f32_e32 v67, v89, v94
	s_delay_alu instid0(VALU_DEP_1) | instskip(NEXT) | instid1(VALU_DEP_1)
	v_add_f32_e32 v90, 0x358637bd, v67
	v_div_scale_f32 v91, null, v90, v90, 1.0
	v_div_scale_f32 v94, s3, 1.0, v90, 1.0
	s_delay_alu instid0(VALU_DEP_2) | instskip(SKIP_2) | instid1(VALU_DEP_1)
	v_rcp_f32_e32 v92, v91
	s_waitcnt_depctr 0xfff
	v_fma_f32 v93, -v91, v92, 1.0
	v_dual_fmac_f32 v92, v93, v92 :: v_dual_cndmask_b32 v93, v100, v99
	v_cmp_eq_u32_e32 vcc_lo, 3, v65
	s_delay_alu instid0(VALU_DEP_2) | instskip(NEXT) | instid1(VALU_DEP_3)
	v_mul_f32_e32 v96, v94, v92
	v_cndmask_b32_e64 v93, v93, v101, s2
	v_cmp_eq_u32_e64 s2, 4, v65
	s_delay_alu instid0(VALU_DEP_3) | instskip(NEXT) | instid1(VALU_DEP_3)
	v_fma_f32 v98, -v91, v96, v94
	v_cndmask_b32_e32 v93, v93, v102, vcc_lo
	v_cmp_eq_u32_e32 vcc_lo, 5, v65
	s_delay_alu instid0(VALU_DEP_3) | instskip(NEXT) | instid1(VALU_DEP_3)
	v_fmac_f32_e32 v96, v98, v92
	v_cndmask_b32_e64 v93, v93, v97, s2
	v_cmp_eq_u32_e64 s2, 6, v65
	s_delay_alu instid0(VALU_DEP_3) | instskip(NEXT) | instid1(VALU_DEP_3)
	v_fma_f32 v91, -v91, v96, v94
	v_cndmask_b32_e32 v93, v93, v95, vcc_lo
	s_mov_b32 vcc_lo, s3
	s_delay_alu instid0(VALU_DEP_2) | instskip(NEXT) | instid1(VALU_DEP_2)
	v_div_fmas_f32 v91, v91, v92, v96
	v_cndmask_b32_e64 v81, v93, v81, s2
	s_mov_b32 s2, exec_lo
	s_delay_alu instid0(VALU_DEP_2) | instskip(NEXT) | instid1(VALU_DEP_2)
	v_div_fixup_f32 v90, v91, v90, 1.0
	v_cndmask_b32_e64 v81, v81, v89, s4
	s_delay_alu instid0(VALU_DEP_1) | instskip(NEXT) | instid1(VALU_DEP_1)
	v_mul_f32_e32 v81, v81, v90
	v_mul_f32_e32 v90, v81, v82
	v_mul_f32_e32 v82, v81, v88
	v_mul_f32_e32 v84, v81, v84
	v_mul_f32_e32 v87, v81, v87
	v_mul_f32_e32 v88, v81, v86
	v_dual_mul_f32 v86, v81, v83 :: v_dual_and_b32 v91, 0x7f800000, v90
	v_mul_f32_e32 v89, v81, v85
	v_mul_f32_e32 v85, v81, v77
                                        ; implicit-def: $vgpr77
	s_delay_alu instid0(VALU_DEP_3)
	v_cmpx_ne_u32_e32 0x7f800000, v91
	s_xor_b32 s2, exec_lo, s2
; %bb.13:
	v_bfe_u32 v77, v90, 16, 1
	s_delay_alu instid0(VALU_DEP_1)
	v_add3_u32 v77, v90, v77, 0x7fff
                                        ; implicit-def: $vgpr90
; %bb.14:
	s_and_not1_saveexec_b32 s2, s2
; %bb.15:
	v_and_b32_e32 v77, 0xffff, v90
	v_or_b32_e32 v83, 0x10000, v90
	s_delay_alu instid0(VALU_DEP_2) | instskip(NEXT) | instid1(VALU_DEP_2)
	v_cmp_eq_u32_e32 vcc_lo, 0, v77
	v_cndmask_b32_e32 v77, v83, v90, vcc_lo
; %bb.16:
	s_or_b32 exec_lo, exec_lo, s2
	v_and_b32_e32 v83, 0x7f800000, v85
	s_delay_alu instid0(VALU_DEP_1) | instskip(SKIP_1) | instid1(SALU_CYCLE_1)
	v_cmp_ne_u32_e32 vcc_lo, 0x7f800000, v83
                                        ; implicit-def: $vgpr83
	s_and_saveexec_b32 s2, vcc_lo
	s_xor_b32 s2, exec_lo, s2
; %bb.17:
	v_bfe_u32 v83, v85, 16, 1
	s_delay_alu instid0(VALU_DEP_1)
	v_add3_u32 v83, v85, v83, 0x7fff
                                        ; implicit-def: $vgpr85
; %bb.18:
	s_and_not1_saveexec_b32 s2, s2
; %bb.19:
	v_and_b32_e32 v83, 0xffff, v85
	v_or_b32_e32 v90, 0x10000, v85
	s_delay_alu instid0(VALU_DEP_2) | instskip(NEXT) | instid1(VALU_DEP_2)
	v_cmp_eq_u32_e32 vcc_lo, 0, v83
	v_cndmask_b32_e32 v83, v90, v85, vcc_lo
; %bb.20:
	s_or_b32 exec_lo, exec_lo, s2
	v_and_b32_e32 v85, 0x7f800000, v86
	s_delay_alu instid0(VALU_DEP_1) | instskip(SKIP_1) | instid1(SALU_CYCLE_1)
	v_cmp_ne_u32_e32 vcc_lo, 0x7f800000, v85
                                        ; implicit-def: $vgpr85
	s_and_saveexec_b32 s2, vcc_lo
	s_xor_b32 s2, exec_lo, s2
; %bb.21:
	v_bfe_u32 v85, v86, 16, 1
	s_delay_alu instid0(VALU_DEP_1)
	v_add3_u32 v85, v86, v85, 0x7fff
                                        ; implicit-def: $vgpr86
; %bb.22:
	s_and_not1_saveexec_b32 s2, s2
; %bb.23:
	v_and_b32_e32 v85, 0xffff, v86
	v_or_b32_e32 v90, 0x10000, v86
	s_delay_alu instid0(VALU_DEP_2) | instskip(NEXT) | instid1(VALU_DEP_2)
	v_cmp_eq_u32_e32 vcc_lo, 0, v85
	v_cndmask_b32_e32 v85, v90, v86, vcc_lo
; %bb.24:
	s_or_b32 exec_lo, exec_lo, s2
	v_and_b32_e32 v86, 0x7f800000, v89
	s_delay_alu instid0(VALU_DEP_1) | instskip(SKIP_1) | instid1(SALU_CYCLE_1)
	v_cmp_ne_u32_e32 vcc_lo, 0x7f800000, v86
                                        ; implicit-def: $vgpr86
	s_and_saveexec_b32 s2, vcc_lo
	s_xor_b32 s2, exec_lo, s2
; %bb.25:
	v_bfe_u32 v86, v89, 16, 1
	s_delay_alu instid0(VALU_DEP_1)
	v_add3_u32 v86, v89, v86, 0x7fff
                                        ; implicit-def: $vgpr89
; %bb.26:
	s_and_not1_saveexec_b32 s2, s2
; %bb.27:
	v_and_b32_e32 v86, 0xffff, v89
	v_or_b32_e32 v90, 0x10000, v89
	s_delay_alu instid0(VALU_DEP_2) | instskip(NEXT) | instid1(VALU_DEP_2)
	v_cmp_eq_u32_e32 vcc_lo, 0, v86
	v_cndmask_b32_e32 v86, v90, v89, vcc_lo
; %bb.28:
	s_or_b32 exec_lo, exec_lo, s2
	v_and_b32_e32 v89, 0x7f800000, v88
	s_delay_alu instid0(VALU_DEP_1) | instskip(SKIP_1) | instid1(SALU_CYCLE_1)
	v_cmp_ne_u32_e32 vcc_lo, 0x7f800000, v89
                                        ; implicit-def: $vgpr89
	s_and_saveexec_b32 s2, vcc_lo
	s_xor_b32 s2, exec_lo, s2
; %bb.29:
	v_bfe_u32 v89, v88, 16, 1
	s_delay_alu instid0(VALU_DEP_1)
	v_add3_u32 v89, v88, v89, 0x7fff
                                        ; implicit-def: $vgpr88
; %bb.30:
	s_and_not1_saveexec_b32 s2, s2
; %bb.31:
	v_and_b32_e32 v89, 0xffff, v88
	v_or_b32_e32 v90, 0x10000, v88
	s_delay_alu instid0(VALU_DEP_2) | instskip(NEXT) | instid1(VALU_DEP_2)
	v_cmp_eq_u32_e32 vcc_lo, 0, v89
	v_cndmask_b32_e32 v89, v90, v88, vcc_lo
; %bb.32:
	s_or_b32 exec_lo, exec_lo, s2
	v_and_b32_e32 v88, 0x7f800000, v87
	s_delay_alu instid0(VALU_DEP_1) | instskip(SKIP_1) | instid1(SALU_CYCLE_1)
	v_cmp_ne_u32_e32 vcc_lo, 0x7f800000, v88
                                        ; implicit-def: $vgpr88
	s_and_saveexec_b32 s2, vcc_lo
	s_xor_b32 s2, exec_lo, s2
; %bb.33:
	v_bfe_u32 v88, v87, 16, 1
	s_delay_alu instid0(VALU_DEP_1)
	v_add3_u32 v88, v87, v88, 0x7fff
                                        ; implicit-def: $vgpr87
; %bb.34:
	s_and_not1_saveexec_b32 s2, s2
; %bb.35:
	v_and_b32_e32 v88, 0xffff, v87
	v_or_b32_e32 v90, 0x10000, v87
	s_delay_alu instid0(VALU_DEP_2) | instskip(NEXT) | instid1(VALU_DEP_2)
	v_cmp_eq_u32_e32 vcc_lo, 0, v88
	v_cndmask_b32_e32 v88, v90, v87, vcc_lo
; %bb.36:
	s_or_b32 exec_lo, exec_lo, s2
	v_and_b32_e32 v87, 0x7f800000, v84
	s_delay_alu instid0(VALU_DEP_1) | instskip(SKIP_1) | instid1(SALU_CYCLE_1)
	v_cmp_ne_u32_e32 vcc_lo, 0x7f800000, v87
                                        ; implicit-def: $vgpr87
	s_and_saveexec_b32 s2, vcc_lo
	s_xor_b32 s2, exec_lo, s2
; %bb.37:
	v_bfe_u32 v87, v84, 16, 1
	s_delay_alu instid0(VALU_DEP_1)
	v_add3_u32 v87, v84, v87, 0x7fff
                                        ; implicit-def: $vgpr84
; %bb.38:
	s_and_not1_saveexec_b32 s2, s2
; %bb.39:
	v_and_b32_e32 v87, 0xffff, v84
	v_or_b32_e32 v90, 0x10000, v84
	s_delay_alu instid0(VALU_DEP_2) | instskip(NEXT) | instid1(VALU_DEP_2)
	v_cmp_eq_u32_e32 vcc_lo, 0, v87
	v_cndmask_b32_e32 v87, v90, v84, vcc_lo
; %bb.40:
	s_or_b32 exec_lo, exec_lo, s2
	v_and_b32_e32 v84, 0x7f800000, v82
	s_delay_alu instid0(VALU_DEP_1) | instskip(SKIP_1) | instid1(SALU_CYCLE_1)
	v_cmp_ne_u32_e32 vcc_lo, 0x7f800000, v84
                                        ; implicit-def: $vgpr84
	s_and_saveexec_b32 s2, vcc_lo
	s_xor_b32 s2, exec_lo, s2
; %bb.41:
	v_bfe_u32 v84, v82, 16, 1
	s_delay_alu instid0(VALU_DEP_1)
	v_add3_u32 v84, v82, v84, 0x7fff
                                        ; implicit-def: $vgpr82
; %bb.42:
	s_and_not1_saveexec_b32 s2, s2
; %bb.43:
	v_and_b32_e32 v84, 0xffff, v82
	v_or_b32_e32 v90, 0x10000, v82
	s_delay_alu instid0(VALU_DEP_2) | instskip(NEXT) | instid1(VALU_DEP_2)
	v_cmp_eq_u32_e32 vcc_lo, 0, v84
	v_cndmask_b32_e32 v84, v90, v82, vcc_lo
; %bb.44:
	s_or_b32 exec_lo, exec_lo, s2
	s_load_b64 s[34:35], s[0:1], 0x94
	v_lshlrev_b32_e32 v82, 4, v74
	s_delay_alu instid0(VALU_DEP_2)
	v_perm_b32 v90, v84, v87, 0x7060302
	v_lshlrev_b32_e32 v84, 11, v65
	v_perm_b32 v87, v83, v77, 0x7060302
	v_mul_f32_e32 v83, v81, v69
	v_mul_f32_e32 v69, v81, v80
	v_perm_b32 v89, v88, v89, 0x7060302
	v_perm_b32 v88, v86, v85, 0x7060302
	v_or3_b32 v77, v82, v84, v76
	v_mul_f32_e32 v79, v81, v79
	v_mul_f32_e32 v78, v81, v78
	v_and_b32_e32 v84, 0x7f800000, v83
	v_mul_f32_e32 v72, v81, v72
	v_mul_f32_e32 v82, v81, v71
	;; [unrolled: 1-line block ×4, first 2 shown]
	s_mov_b32 s2, exec_lo
	ds_store_b128 v77, v[87:90]
                                        ; implicit-def: $vgpr68
	v_cmpx_ne_u32_e32 0x7f800000, v84
	s_xor_b32 s2, exec_lo, s2
; %bb.45:
	v_bfe_u32 v68, v83, 16, 1
	s_delay_alu instid0(VALU_DEP_1)
	v_add3_u32 v68, v83, v68, 0x7fff
                                        ; implicit-def: $vgpr83
; %bb.46:
	s_and_not1_saveexec_b32 s2, s2
; %bb.47:
	v_and_b32_e32 v68, 0xffff, v83
	v_or_b32_e32 v70, 0x10000, v83
	s_delay_alu instid0(VALU_DEP_2) | instskip(NEXT) | instid1(VALU_DEP_2)
	v_cmp_eq_u32_e32 vcc_lo, 0, v68
	v_cndmask_b32_e32 v68, v70, v83, vcc_lo
; %bb.48:
	s_or_b32 exec_lo, exec_lo, s2
	v_and_b32_e32 v70, 0x7f800000, v71
	s_delay_alu instid0(VALU_DEP_1) | instskip(SKIP_1) | instid1(SALU_CYCLE_1)
	v_cmp_ne_u32_e32 vcc_lo, 0x7f800000, v70
                                        ; implicit-def: $vgpr70
	s_and_saveexec_b32 s2, vcc_lo
	s_xor_b32 s2, exec_lo, s2
; %bb.49:
	v_bfe_u32 v70, v71, 16, 1
	s_delay_alu instid0(VALU_DEP_1)
	v_add3_u32 v70, v71, v70, 0x7fff
                                        ; implicit-def: $vgpr71
; %bb.50:
	s_and_not1_saveexec_b32 s2, s2
; %bb.51:
	v_and_b32_e32 v70, 0xffff, v71
	v_or_b32_e32 v81, 0x10000, v71
	s_delay_alu instid0(VALU_DEP_2) | instskip(NEXT) | instid1(VALU_DEP_2)
	v_cmp_eq_u32_e32 vcc_lo, 0, v70
	v_cndmask_b32_e32 v70, v81, v71, vcc_lo
; %bb.52:
	s_or_b32 exec_lo, exec_lo, s2
	v_and_b32_e32 v71, 0x7f800000, v80
	s_delay_alu instid0(VALU_DEP_1) | instskip(SKIP_1) | instid1(SALU_CYCLE_1)
	v_cmp_ne_u32_e32 vcc_lo, 0x7f800000, v71
                                        ; implicit-def: $vgpr71
	s_and_saveexec_b32 s2, vcc_lo
	s_xor_b32 s2, exec_lo, s2
; %bb.53:
	v_bfe_u32 v71, v80, 16, 1
	s_delay_alu instid0(VALU_DEP_1)
	v_add3_u32 v71, v80, v71, 0x7fff
                                        ; implicit-def: $vgpr80
; %bb.54:
	s_and_not1_saveexec_b32 s2, s2
; %bb.55:
	v_and_b32_e32 v71, 0xffff, v80
	v_or_b32_e32 v81, 0x10000, v80
	s_delay_alu instid0(VALU_DEP_2) | instskip(NEXT) | instid1(VALU_DEP_2)
	v_cmp_eq_u32_e32 vcc_lo, 0, v71
	v_cndmask_b32_e32 v71, v81, v80, vcc_lo
; %bb.56:
	s_or_b32 exec_lo, exec_lo, s2
	v_and_b32_e32 v80, 0x7f800000, v82
	s_delay_alu instid0(VALU_DEP_1) | instskip(SKIP_1) | instid1(SALU_CYCLE_1)
	v_cmp_ne_u32_e32 vcc_lo, 0x7f800000, v80
                                        ; implicit-def: $vgpr80
	s_and_saveexec_b32 s2, vcc_lo
	s_xor_b32 s2, exec_lo, s2
; %bb.57:
	v_bfe_u32 v80, v82, 16, 1
	s_delay_alu instid0(VALU_DEP_1)
	v_add3_u32 v80, v82, v80, 0x7fff
                                        ; implicit-def: $vgpr82
; %bb.58:
	s_and_not1_saveexec_b32 s2, s2
; %bb.59:
	v_and_b32_e32 v80, 0xffff, v82
	v_or_b32_e32 v81, 0x10000, v82
	s_delay_alu instid0(VALU_DEP_2) | instskip(NEXT) | instid1(VALU_DEP_2)
	v_cmp_eq_u32_e32 vcc_lo, 0, v80
	v_cndmask_b32_e32 v80, v81, v82, vcc_lo
; %bb.60:
	s_or_b32 exec_lo, exec_lo, s2
	v_and_b32_e32 v81, 0x7f800000, v72
	s_delay_alu instid0(VALU_DEP_1) | instskip(SKIP_1) | instid1(SALU_CYCLE_1)
	v_cmp_ne_u32_e32 vcc_lo, 0x7f800000, v81
                                        ; implicit-def: $vgpr81
	s_and_saveexec_b32 s2, vcc_lo
	s_xor_b32 s2, exec_lo, s2
; %bb.61:
	v_bfe_u32 v81, v72, 16, 1
	s_delay_alu instid0(VALU_DEP_1)
	v_add3_u32 v81, v72, v81, 0x7fff
                                        ; implicit-def: $vgpr72
; %bb.62:
	s_and_not1_saveexec_b32 s2, s2
; %bb.63:
	v_and_b32_e32 v81, 0xffff, v72
	v_or_b32_e32 v82, 0x10000, v72
	s_delay_alu instid0(VALU_DEP_2) | instskip(NEXT) | instid1(VALU_DEP_2)
	v_cmp_eq_u32_e32 vcc_lo, 0, v81
	v_cndmask_b32_e32 v81, v82, v72, vcc_lo
; %bb.64:
	s_or_b32 exec_lo, exec_lo, s2
	v_and_b32_e32 v72, 0x7f800000, v78
	s_delay_alu instid0(VALU_DEP_1) | instskip(SKIP_1) | instid1(SALU_CYCLE_1)
	v_cmp_ne_u32_e32 vcc_lo, 0x7f800000, v72
                                        ; implicit-def: $vgpr72
	s_and_saveexec_b32 s2, vcc_lo
	s_xor_b32 s2, exec_lo, s2
; %bb.65:
	v_bfe_u32 v72, v78, 16, 1
	s_delay_alu instid0(VALU_DEP_1)
	v_add3_u32 v72, v78, v72, 0x7fff
                                        ; implicit-def: $vgpr78
; %bb.66:
	s_and_not1_saveexec_b32 s2, s2
; %bb.67:
	v_and_b32_e32 v72, 0xffff, v78
	v_or_b32_e32 v82, 0x10000, v78
	s_delay_alu instid0(VALU_DEP_2) | instskip(NEXT) | instid1(VALU_DEP_2)
	v_cmp_eq_u32_e32 vcc_lo, 0, v72
	v_cndmask_b32_e32 v72, v82, v78, vcc_lo
; %bb.68:
	s_or_b32 exec_lo, exec_lo, s2
	v_and_b32_e32 v78, 0x7f800000, v79
	s_delay_alu instid0(VALU_DEP_1) | instskip(SKIP_1) | instid1(SALU_CYCLE_1)
	v_cmp_ne_u32_e32 vcc_lo, 0x7f800000, v78
                                        ; implicit-def: $vgpr78
	s_and_saveexec_b32 s2, vcc_lo
	s_xor_b32 s2, exec_lo, s2
; %bb.69:
	v_bfe_u32 v78, v79, 16, 1
	s_delay_alu instid0(VALU_DEP_1)
	v_add3_u32 v78, v79, v78, 0x7fff
                                        ; implicit-def: $vgpr79
; %bb.70:
	s_and_not1_saveexec_b32 s2, s2
; %bb.71:
	v_and_b32_e32 v78, 0xffff, v79
	v_or_b32_e32 v82, 0x10000, v79
	s_delay_alu instid0(VALU_DEP_2) | instskip(NEXT) | instid1(VALU_DEP_2)
	v_cmp_eq_u32_e32 vcc_lo, 0, v78
	v_cndmask_b32_e32 v78, v82, v79, vcc_lo
; %bb.72:
	s_or_b32 exec_lo, exec_lo, s2
	v_and_b32_e32 v79, 0x7f800000, v69
	s_delay_alu instid0(VALU_DEP_1) | instskip(SKIP_1) | instid1(SALU_CYCLE_1)
	v_cmp_ne_u32_e32 vcc_lo, 0x7f800000, v79
                                        ; implicit-def: $vgpr79
	s_and_saveexec_b32 s2, vcc_lo
	s_xor_b32 s2, exec_lo, s2
; %bb.73:
	v_bfe_u32 v79, v69, 16, 1
	s_delay_alu instid0(VALU_DEP_1)
	v_add3_u32 v79, v69, v79, 0x7fff
                                        ; implicit-def: $vgpr69
; %bb.74:
	s_and_not1_saveexec_b32 s2, s2
; %bb.75:
	v_and_b32_e32 v79, 0xffff, v69
	v_or_b32_e32 v82, 0x10000, v69
	s_delay_alu instid0(VALU_DEP_2) | instskip(NEXT) | instid1(VALU_DEP_2)
	v_cmp_eq_u32_e32 vcc_lo, 0, v79
	v_cndmask_b32_e32 v79, v82, v69, vcc_lo
; %bb.76:
	s_or_b32 exec_lo, exec_lo, s2
	s_delay_alu instid0(VALU_DEP_1)
	v_perm_b32 v86, v79, v78, 0x7060302
	v_perm_b32 v85, v72, v81, 0x7060302
	;; [unrolled: 1-line block ×4, first 2 shown]
	v_lshl_or_b32 v82, v65, 11, v76
	v_lshlrev_b32_e32 v79, 2, v74
	ds_store_b128 v77, v[83:86] offset:1024
	s_waitcnt lgkmcnt(0)
	s_barrier
	buffer_gl0_inv
	ds_load_b128 v[68:71], v82
	ds_load_b128 v[83:86], v82 offset:16
	v_or_b32_e32 v80, 1, v79
	v_cmp_eq_u32_e32 vcc_lo, 1, v79
	v_cmp_eq_u32_e64 s3, 2, v79
	v_cmp_eq_u32_e64 s6, 3, v79
	;; [unrolled: 1-line block ×6, first 2 shown]
	v_or_b32_e32 v78, 2, v79
	v_cmp_eq_u32_e64 s9, 5, v79
	v_cmp_eq_u32_e64 s10, 4, v80
	;; [unrolled: 1-line block ×9, first 2 shown]
	s_waitcnt lgkmcnt(1)
	v_lshrrev_b32_e32 v65, 16, v68
	s_waitcnt lgkmcnt(0)
	v_lshrrev_b32_e32 v91, 16, v83
	v_lshrrev_b32_e32 v72, 16, v69
	;; [unrolled: 1-line block ×4, first 2 shown]
	v_cndmask_b32_e32 v81, v68, v65, vcc_lo
	v_cndmask_b32_e32 v87, v83, v91, vcc_lo
	v_cndmask_b32_e64 v88, v68, v65, s2
	v_lshrrev_b32_e32 v98, 16, v85
	v_cndmask_b32_e64 v89, v83, v91, s2
	v_cndmask_b32_e64 v81, v81, v69, s3
	v_cndmask_b32_e64 v87, v87, v84, s3
	v_cndmask_b32_e64 v88, v88, v69, s5
	v_lshrrev_b32_e32 v96, 16, v71
	v_cndmask_b32_e64 v89, v89, v84, s5
	v_cndmask_b32_e64 v81, v81, v72, s6
	v_cndmask_b32_e64 v87, v87, v97, s6
	;; [unrolled: 5-line block ×3, first 2 shown]
	v_cndmask_b32_e64 v88, v88, v70, s10
	v_cndmask_b32_e64 v89, v89, v97, s7
	v_cmp_eq_u32_e64 s18, 3, v78
	v_cndmask_b32_e64 v81, v81, v95, s9
	v_cndmask_b32_e64 v87, v87, v98, s9
	;; [unrolled: 1-line block ×4, first 2 shown]
	v_cmp_eq_u32_e64 s19, 4, v78
	v_cndmask_b32_e64 v81, v81, v71, s11
	v_cndmask_b32_e64 v87, v87, v86, s11
	;; [unrolled: 1-line block ×3, first 2 shown]
	v_cmp_eq_u32_e64 s21, 5, v78
	v_cmp_eq_u32_e64 s23, 6, v78
	v_cndmask_b32_e64 v100, v81, v96, s13
	v_cndmask_b32_e64 v101, v87, v99, s13
	;; [unrolled: 1-line block ×6, first 2 shown]
	v_cmp_eq_u32_e64 s26, 7, v78
	v_cndmask_b32_e64 v89, v81, v72, s18
	v_cndmask_b32_e64 v87, v87, v84, s16
	v_or_b32_e32 v81, 3, v79
	v_cndmask_b32_e64 v103, v88, v86, s15
	s_delay_alu instid0(VALU_DEP_4) | instskip(NEXT) | instid1(VALU_DEP_4)
	v_cndmask_b32_e64 v92, v89, v70, s19
	v_cndmask_b32_e64 v93, v87, v97, s18
	s_delay_alu instid0(VALU_DEP_4)
	v_cmp_eq_u32_e64 s20, 1, v81
	ds_load_b128 v[87:90], v82 offset:1024
	v_cmp_eq_u32_e64 s22, 2, v81
	v_cndmask_b32_e64 v104, v92, v95, s21
	v_cmp_eq_u32_e64 s24, 3, v81
	v_cndmask_b32_e64 v65, v68, v65, s20
	v_cndmask_b32_e64 v68, v93, v85, s19
	;; [unrolled: 1-line block ×3, first 2 shown]
	ds_load_b128 v[91:94], v82 offset:1040
	v_cmp_eq_u32_e64 s25, 4, v81
	v_cndmask_b32_e64 v65, v65, v69, s22
	v_cmp_eq_u32_e64 s27, 5, v81
	v_cndmask_b32_e64 v69, v83, v84, s22
	;; [unrolled: 2-line block ×3, first 2 shown]
	v_cndmask_b32_e64 v65, v65, v72, s24
	v_cndmask_b32_e64 v72, v104, v71, s23
	;; [unrolled: 1-line block ×6, first 2 shown]
	s_waitcnt lgkmcnt(1)
	v_lshrrev_b32_e32 v84, 16, v87
	v_cndmask_b32_e64 v69, v69, v85, s25
	v_cndmask_b32_e64 v70, v72, v96, s26
	;; [unrolled: 1-line block ×4, first 2 shown]
	v_cndmask_b32_e32 v72, v87, v84, vcc_lo
	v_cndmask_b32_e64 v69, v69, v98, s27
	s_waitcnt lgkmcnt(0)
	v_lshrrev_b32_e32 v85, 16, v91
	v_lshrrev_b32_e32 v95, 16, v88
	v_cndmask_b32_e64 v97, v87, v84, s2
	v_cndmask_b32_e64 v72, v72, v88, s3
	;; [unrolled: 1-line block ×3, first 2 shown]
	v_cndmask_b32_e32 v98, v91, v85, vcc_lo
	v_cmp_eq_u32_e32 vcc_lo, 7, v81
	v_cndmask_b32_e64 v69, v69, v86, s28
	v_cndmask_b32_e64 v71, v72, v95, s6
	;; [unrolled: 1-line block ×3, first 2 shown]
	v_lshrrev_b32_e32 v97, 16, v92
	v_cndmask_b32_e32 v65, v65, v96, vcc_lo
	v_cndmask_b32_e64 v86, v98, v92, s3
	v_cndmask_b32_e32 v69, v69, v99, vcc_lo
	v_lshrrev_b32_e32 v99, 16, v93
	v_cndmask_b32_e64 v71, v71, v89, s8
	v_lshrrev_b32_e32 v98, 16, v89
	v_cndmask_b32_e64 v86, v86, v97, s6
	v_perm_b32 v70, v68, v70, 0x5040100
	v_cndmask_b32_e64 v72, v72, v95, s7
	s_delay_alu instid0(VALU_DEP_4) | instskip(NEXT) | instid1(VALU_DEP_4)
	v_cndmask_b32_e64 v96, v71, v98, s9
	v_cndmask_b32_e64 v86, v86, v93, s8
	v_perm_b32 v71, v69, v65, 0x5040100
	v_perm_b32 v69, v83, v102, 0x5040100
	v_cndmask_b32_e64 v102, v91, v85, s4
	v_cndmask_b32_e64 v72, v72, v89, s10
	;; [unrolled: 1-line block ×3, first 2 shown]
	v_lshrrev_b32_e32 v83, 16, v94
	s_delay_alu instid0(VALU_DEP_3) | instskip(NEXT) | instid1(VALU_DEP_3)
	v_cndmask_b32_e64 v65, v72, v98, s12
	v_cndmask_b32_e64 v68, v86, v94, s11
	v_cndmask_b32_e64 v86, v87, v84, s4
	v_cndmask_b32_e64 v84, v87, v84, s20
	v_cndmask_b32_e64 v87, v91, v85, s20
	v_cndmask_b32_e64 v85, v91, v85, s2
	v_cndmask_b32_e64 v72, v96, v90, s11
	v_cndmask_b32_e64 v86, v86, v88, s16
	v_cndmask_b32_e64 v84, v84, v88, s22
	v_cndmask_b32_e64 v87, v87, v92, s22
	v_cndmask_b32_e64 v88, v102, v92, s16
	v_cndmask_b32_e64 v85, v85, v92, s5
	v_cndmask_b32_e64 v86, v86, v95, s18
	v_cndmask_b32_e64 v84, v84, v95, s24
	v_cndmask_b32_e64 v87, v87, v97, s24
	v_cndmask_b32_e64 v88, v88, v97, s18
	v_cndmask_b32_e64 v85, v85, v97, s7
	v_cndmask_b32_e64 v86, v86, v89, s19
	v_cndmask_b32_e64 v84, v84, v89, s25
	v_cndmask_b32_e64 v87, v87, v93, s25
	v_cndmask_b32_e64 v88, v88, v93, s19
	v_cndmask_b32_e64 v85, v85, v93, s10
	v_cndmask_b32_e64 v86, v86, v98, s21
	v_cndmask_b32_e64 v84, v84, v98, s27
	v_cndmask_b32_e64 v87, v87, v99, s27
	v_cndmask_b32_e64 v88, v88, v99, s21
	v_cndmask_b32_e64 v85, v85, v99, s12
	v_lshrrev_b32_e32 v96, 16, v90
	v_cndmask_b32_e64 v65, v65, v90, s15
	v_cndmask_b32_e64 v86, v86, v90, s23
	;; [unrolled: 1-line block ×9, first 2 shown]
	v_cndmask_b32_e32 v84, v84, v96, vcc_lo
	v_cndmask_b32_e32 v86, v87, v83, vcc_lo
	v_cndmask_b32_e64 v87, v88, v83, s26
	v_cndmask_b32_e64 v88, v85, v83, s17
	;; [unrolled: 1-line block ×3, first 2 shown]
	v_perm_b32 v68, v101, v100, 0x5040100
	v_perm_b32 v86, v86, v84, 0x5040100
	;; [unrolled: 1-line block ×5, first 2 shown]
	s_lshl_b32 s7, s35, 4
	s_mov_b32 s2, exec_lo
	ds_store_b128 v77, v[68:71]
	ds_store_b128 v77, v[83:86] offset:1024
	v_cmpx_gt_u32_e32 16, v0
	s_cbranch_execz .LBB1805_78
; %bb.77:
	v_or_b32_e32 v65, s29, v0
	s_load_b128 s[8:11], s[0:1], 0x58
	s_delay_alu instid0(VALU_DEP_1) | instskip(NEXT) | instid1(VALU_DEP_1)
	v_mad_u64_u32 v[68:69], null, s7, s30, v[65:66]
	v_mad_u64_u32 v[69:70], null, v68, s34, s[14:15]
	s_delay_alu instid0(VALU_DEP_1) | instskip(NEXT) | instid1(VALU_DEP_1)
	v_ashrrev_i32_e32 v70, 31, v69
	v_lshlrev_b64 v[68:69], 2, v[69:70]
	s_waitcnt lgkmcnt(0)
	s_delay_alu instid0(VALU_DEP_1) | instskip(NEXT) | instid1(VALU_DEP_2)
	v_add_co_u32 v70, vcc_lo, s10, v68
	v_add_co_ci_u32_e32 v71, vcc_lo, s11, v69, vcc_lo
	v_add_co_u32 v68, vcc_lo, s8, v68
	v_add_co_ci_u32_e32 v69, vcc_lo, s9, v69, vcc_lo
	global_store_b32 v[70:71], v66, off
	global_store_b32 v[68:69], v67, off
.LBB1805_78:
	s_or_b32 exec_lo, exec_lo, s2
	s_waitcnt lgkmcnt(0)
	s_waitcnt_vscnt null, 0x0
	s_barrier
	buffer_gl0_inv
	ds_load_b128 v[83:86], v76
	ds_load_b128 v[87:90], v76 offset:16
	ds_load_b128 v[95:98], v76 offset:2064
	;; [unrolled: 1-line block ×3, first 2 shown]
	v_mov_b32_e32 v65, 0
	ds_load_b128 v[103:106], v76 offset:4112
	ds_load_b128 v[99:102], v76 offset:4096
	ds_load_b128 v[111:114], v76 offset:6160
	ds_load_b128 v[107:110], v76 offset:6144
	v_mov_b32_e32 v66, v65
	v_mov_b32_e32 v67, v65
	;; [unrolled: 1-line block ×7, first 2 shown]
	s_waitcnt lgkmcnt(6)
	s_delay_alu instid0(VALU_DEP_1)
	v_wmma_f32_16x16x16_bf16 v[65:72], v[49:56], v[83:90], v[65:72]
	ds_load_b128 v[53:56], v76 offset:8208
	ds_load_b128 v[49:52], v76 offset:8192
	s_waitcnt lgkmcnt(6)
	v_wmma_f32_16x16x16_bf16 v[65:72], v[41:48], v[91:98], v[65:72]
	ds_load_b128 v[45:48], v76 offset:10256
	ds_load_b128 v[41:44], v76 offset:10240
	s_waitcnt lgkmcnt(6)
	;; [unrolled: 4-line block ×4, first 2 shown]
	v_wmma_f32_16x16x16_bf16 v[65:72], v[1:8], v[49:56], v[65:72]
	s_waitcnt lgkmcnt(4)
	s_delay_alu instid0(VALU_DEP_1) | instskip(SKIP_1) | instid1(VALU_DEP_1)
	v_wmma_f32_16x16x16_bf16 v[65:72], v[9:16], v[41:48], v[65:72]
	s_waitcnt lgkmcnt(2)
	v_wmma_f32_16x16x16_bf16 v[65:72], v[17:24], v[33:40], v[65:72]
	s_waitcnt lgkmcnt(0)
	s_delay_alu instid0(VALU_DEP_1) | instskip(NEXT) | instid1(VALU_DEP_1)
	v_wmma_f32_16x16x16_bf16 v[65:72], v[57:64], v[25:32], v[65:72]
	v_and_b32_e32 v1, 0x7f800000, v65
	s_delay_alu instid0(VALU_DEP_1) | instskip(SKIP_1) | instid1(SALU_CYCLE_1)
	v_cmp_ne_u32_e32 vcc_lo, 0x7f800000, v1
                                        ; implicit-def: $vgpr1
	s_and_saveexec_b32 s2, vcc_lo
	s_xor_b32 s2, exec_lo, s2
; %bb.79:
	v_bfe_u32 v1, v65, 16, 1
	s_delay_alu instid0(VALU_DEP_1)
	v_add3_u32 v1, v65, v1, 0x7fff
; %bb.80:
	s_and_not1_saveexec_b32 s2, s2
; %bb.81:
	v_and_b32_e32 v1, 0xffff, v65
	v_or_b32_e32 v2, 0x10000, v65
	s_delay_alu instid0(VALU_DEP_2) | instskip(NEXT) | instid1(VALU_DEP_2)
	v_cmp_eq_u32_e32 vcc_lo, 0, v1
	v_cndmask_b32_e32 v1, v2, v65, vcc_lo
; %bb.82:
	s_or_b32 exec_lo, exec_lo, s2
	v_and_b32_e32 v2, 0x7f800000, v66
	s_delay_alu instid0(VALU_DEP_1) | instskip(SKIP_1) | instid1(SALU_CYCLE_1)
	v_cmp_ne_u32_e32 vcc_lo, 0x7f800000, v2
                                        ; implicit-def: $vgpr2
	s_and_saveexec_b32 s2, vcc_lo
	s_xor_b32 s2, exec_lo, s2
; %bb.83:
	v_bfe_u32 v2, v66, 16, 1
	s_delay_alu instid0(VALU_DEP_1)
	v_add3_u32 v2, v66, v2, 0x7fff
; %bb.84:
	s_and_not1_saveexec_b32 s2, s2
; %bb.85:
	v_and_b32_e32 v2, 0xffff, v66
	v_or_b32_e32 v3, 0x10000, v66
	s_delay_alu instid0(VALU_DEP_2) | instskip(NEXT) | instid1(VALU_DEP_2)
	v_cmp_eq_u32_e32 vcc_lo, 0, v2
	v_cndmask_b32_e32 v2, v3, v66, vcc_lo
; %bb.86:
	s_or_b32 exec_lo, exec_lo, s2
	v_and_b32_e32 v3, 0x7f800000, v67
	s_delay_alu instid0(VALU_DEP_1) | instskip(SKIP_1) | instid1(SALU_CYCLE_1)
	v_cmp_ne_u32_e32 vcc_lo, 0x7f800000, v3
                                        ; implicit-def: $vgpr3
	s_and_saveexec_b32 s2, vcc_lo
	s_xor_b32 s2, exec_lo, s2
; %bb.87:
	v_bfe_u32 v3, v67, 16, 1
	s_delay_alu instid0(VALU_DEP_1)
	v_add3_u32 v3, v67, v3, 0x7fff
; %bb.88:
	s_and_not1_saveexec_b32 s2, s2
; %bb.89:
	v_and_b32_e32 v3, 0xffff, v67
	v_or_b32_e32 v4, 0x10000, v67
	s_delay_alu instid0(VALU_DEP_2) | instskip(NEXT) | instid1(VALU_DEP_2)
	v_cmp_eq_u32_e32 vcc_lo, 0, v3
	v_cndmask_b32_e32 v3, v4, v67, vcc_lo
; %bb.90:
	s_or_b32 exec_lo, exec_lo, s2
	v_and_b32_e32 v4, 0x7f800000, v68
	s_delay_alu instid0(VALU_DEP_1) | instskip(SKIP_1) | instid1(SALU_CYCLE_1)
	v_cmp_ne_u32_e32 vcc_lo, 0x7f800000, v4
                                        ; implicit-def: $vgpr4
	s_and_saveexec_b32 s2, vcc_lo
	s_xor_b32 s2, exec_lo, s2
; %bb.91:
	v_bfe_u32 v4, v68, 16, 1
	s_delay_alu instid0(VALU_DEP_1)
	v_add3_u32 v4, v68, v4, 0x7fff
; %bb.92:
	s_and_not1_saveexec_b32 s2, s2
; %bb.93:
	v_and_b32_e32 v4, 0xffff, v68
	v_or_b32_e32 v5, 0x10000, v68
	s_delay_alu instid0(VALU_DEP_2) | instskip(NEXT) | instid1(VALU_DEP_2)
	v_cmp_eq_u32_e32 vcc_lo, 0, v4
	v_cndmask_b32_e32 v4, v5, v68, vcc_lo
; %bb.94:
	s_or_b32 exec_lo, exec_lo, s2
	v_and_b32_e32 v5, 0x7f800000, v69
	s_delay_alu instid0(VALU_DEP_1) | instskip(SKIP_1) | instid1(SALU_CYCLE_1)
	v_cmp_ne_u32_e32 vcc_lo, 0x7f800000, v5
                                        ; implicit-def: $vgpr5
	s_and_saveexec_b32 s2, vcc_lo
	s_xor_b32 s2, exec_lo, s2
; %bb.95:
	v_bfe_u32 v5, v69, 16, 1
	s_delay_alu instid0(VALU_DEP_1)
	v_add3_u32 v5, v69, v5, 0x7fff
; %bb.96:
	s_and_not1_saveexec_b32 s2, s2
; %bb.97:
	v_and_b32_e32 v5, 0xffff, v69
	v_or_b32_e32 v6, 0x10000, v69
	s_delay_alu instid0(VALU_DEP_2) | instskip(NEXT) | instid1(VALU_DEP_2)
	v_cmp_eq_u32_e32 vcc_lo, 0, v5
	v_cndmask_b32_e32 v5, v6, v69, vcc_lo
; %bb.98:
	s_or_b32 exec_lo, exec_lo, s2
	v_and_b32_e32 v6, 0x7f800000, v70
	s_delay_alu instid0(VALU_DEP_1) | instskip(SKIP_1) | instid1(SALU_CYCLE_1)
	v_cmp_ne_u32_e32 vcc_lo, 0x7f800000, v6
                                        ; implicit-def: $vgpr6
	s_and_saveexec_b32 s2, vcc_lo
	s_xor_b32 s2, exec_lo, s2
; %bb.99:
	v_bfe_u32 v6, v70, 16, 1
	s_delay_alu instid0(VALU_DEP_1)
	v_add3_u32 v6, v70, v6, 0x7fff
; %bb.100:
	s_and_not1_saveexec_b32 s2, s2
; %bb.101:
	v_and_b32_e32 v6, 0xffff, v70
	v_or_b32_e32 v7, 0x10000, v70
	s_delay_alu instid0(VALU_DEP_2) | instskip(NEXT) | instid1(VALU_DEP_2)
	v_cmp_eq_u32_e32 vcc_lo, 0, v6
	v_cndmask_b32_e32 v6, v7, v70, vcc_lo
; %bb.102:
	s_or_b32 exec_lo, exec_lo, s2
	v_and_b32_e32 v7, 0x7f800000, v71
	s_delay_alu instid0(VALU_DEP_1) | instskip(SKIP_1) | instid1(SALU_CYCLE_1)
	v_cmp_ne_u32_e32 vcc_lo, 0x7f800000, v7
                                        ; implicit-def: $vgpr7
	s_and_saveexec_b32 s2, vcc_lo
	s_xor_b32 s2, exec_lo, s2
; %bb.103:
	v_bfe_u32 v7, v71, 16, 1
	s_delay_alu instid0(VALU_DEP_1)
	v_add3_u32 v7, v71, v7, 0x7fff
; %bb.104:
	s_and_not1_saveexec_b32 s2, s2
; %bb.105:
	v_and_b32_e32 v7, 0xffff, v71
	v_or_b32_e32 v8, 0x10000, v71
	s_delay_alu instid0(VALU_DEP_2) | instskip(NEXT) | instid1(VALU_DEP_2)
	v_cmp_eq_u32_e32 vcc_lo, 0, v7
	v_cndmask_b32_e32 v7, v8, v71, vcc_lo
; %bb.106:
	s_or_b32 exec_lo, exec_lo, s2
	v_and_b32_e32 v8, 0x7f800000, v72
	s_delay_alu instid0(VALU_DEP_1) | instskip(SKIP_1) | instid1(SALU_CYCLE_1)
	v_cmp_ne_u32_e32 vcc_lo, 0x7f800000, v8
                                        ; implicit-def: $vgpr8
	s_and_saveexec_b32 s2, vcc_lo
	s_xor_b32 s2, exec_lo, s2
; %bb.107:
	v_bfe_u32 v8, v72, 16, 1
	s_delay_alu instid0(VALU_DEP_1)
	v_add3_u32 v8, v72, v8, 0x7fff
                                        ; implicit-def: $vgpr65_vgpr66_vgpr67_vgpr68_vgpr69_vgpr70_vgpr71_vgpr72
; %bb.108:
	s_and_not1_saveexec_b32 s2, s2
; %bb.109:
	v_and_b32_e32 v8, 0xffff, v72
	v_or_b32_e32 v9, 0x10000, v72
	s_delay_alu instid0(VALU_DEP_2) | instskip(NEXT) | instid1(VALU_DEP_2)
	v_cmp_eq_u32_e32 vcc_lo, 0, v8
	v_cndmask_b32_e32 v8, v9, v72, vcc_lo
; %bb.110:
	s_or_b32 exec_lo, exec_lo, s2
	s_delay_alu instid0(VALU_DEP_1)
	v_perm_b32 v7, v8, v7, 0x7060302
	v_perm_b32 v6, v6, v5, 0x7060302
	;; [unrolled: 1-line block ×4, first 2 shown]
	s_barrier
	buffer_gl0_inv
	v_cmp_eq_u32_e32 vcc_lo, 1, v79
	ds_store_b128 v77, v[4:7]
	s_waitcnt lgkmcnt(0)
	s_barrier
	buffer_gl0_inv
	ds_load_b128 v[1:4], v82
	ds_load_b128 v[5:8], v82 offset:16
	v_cmp_eq_u32_e64 s2, 1, v80
	v_cmp_eq_u32_e64 s3, 2, v79
	;; [unrolled: 1-line block ×5, first 2 shown]
	s_waitcnt lgkmcnt(1)
	v_lshrrev_b32_e32 v9, 16, v1
	s_waitcnt lgkmcnt(0)
	v_lshrrev_b32_e32 v13, 16, v5
	v_lshrrev_b32_e32 v10, 16, v2
	;; [unrolled: 1-line block ×4, first 2 shown]
	v_cndmask_b32_e64 v19, v1, v9, s2
	v_cndmask_b32_e32 v18, v5, v13, vcc_lo
	v_cndmask_b32_e64 v20, v5, v13, s2
	v_cndmask_b32_e32 v17, v1, v9, vcc_lo
	v_cmp_eq_u32_e32 vcc_lo, 2, v80
	v_lshrrev_b32_e32 v15, 16, v7
	v_cmp_eq_u32_e64 s2, 1, v78
	v_lshrrev_b32_e32 v12, 16, v4
	v_lshrrev_b32_e32 v16, 16, v8
	v_cndmask_b32_e32 v20, v20, v6, vcc_lo
	v_cndmask_b32_e64 v17, v17, v2, s3
	v_cndmask_b32_e32 v19, v19, v2, vcc_lo
	v_cndmask_b32_e64 v18, v18, v6, s3
	v_cmp_eq_u32_e32 vcc_lo, 4, v79
	v_cmp_eq_u32_e64 s3, 3, v80
	v_cndmask_b32_e64 v17, v17, v10, s4
	v_cndmask_b32_e64 v21, v1, v9, s2
	;; [unrolled: 1-line block ×5, first 2 shown]
	v_cndmask_b32_e32 v17, v17, v3, vcc_lo
	v_cndmask_b32_e64 v20, v20, v14, s3
	v_cndmask_b32_e32 v18, v18, v7, vcc_lo
	v_cmp_eq_u32_e32 vcc_lo, 4, v80
	v_cmp_eq_u32_e64 s3, 5, v80
	v_cmp_eq_u32_e64 s2, 2, v81
	v_cndmask_b32_e64 v21, v21, v2, s6
	v_cmp_eq_u32_e64 s4, 5, v79
	v_cndmask_b32_e32 v19, v19, v3, vcc_lo
	v_cndmask_b32_e32 v20, v20, v7, vcc_lo
	v_cmp_eq_u32_e32 vcc_lo, 6, v80
	s_delay_alu instid0(VALU_DEP_4) | instskip(NEXT) | instid1(VALU_DEP_4)
	v_cndmask_b32_e64 v17, v17, v11, s4
	v_cndmask_b32_e64 v19, v19, v11, s3
	s_delay_alu instid0(VALU_DEP_4) | instskip(SKIP_1) | instid1(VALU_DEP_3)
	v_cndmask_b32_e64 v20, v20, v15, s3
	v_cmp_eq_u32_e64 s3, 1, v81
	v_cndmask_b32_e32 v19, v19, v4, vcc_lo
	v_cndmask_b32_e64 v18, v18, v15, s4
	s_delay_alu instid0(VALU_DEP_3)
	v_cndmask_b32_e64 v1, v1, v9, s3
	v_cndmask_b32_e64 v5, v5, v13, s3
	v_cmp_eq_u32_e64 s3, 3, v78
	v_cndmask_b32_e64 v13, v22, v6, s6
	v_cmp_eq_u32_e64 s6, 3, v81
	v_cndmask_b32_e64 v1, v1, v2, s2
	v_cndmask_b32_e64 v2, v5, v6, s2
	;; [unrolled: 1-line block ×3, first 2 shown]
	v_cmp_eq_u32_e64 s2, 4, v78
	v_cndmask_b32_e64 v6, v13, v14, s3
	v_cndmask_b32_e64 v1, v1, v10, s6
	v_cmp_eq_u32_e64 s3, 4, v81
	v_cndmask_b32_e64 v2, v2, v14, s6
	v_cndmask_b32_e64 v5, v9, v3, s2
	;; [unrolled: 3-line block ×3, first 2 shown]
	v_cndmask_b32_e64 v2, v2, v7, s3
	v_cmp_eq_u32_e64 s2, 5, v81
	v_cmp_eq_u32_e64 s4, 6, v79
	v_cndmask_b32_e64 v5, v5, v11, s6
	v_cmp_eq_u32_e64 s3, 6, v78
	v_cndmask_b32_e64 v3, v6, v15, s6
	v_cndmask_b32_e64 v1, v1, v11, s2
	v_cmp_eq_u32_e64 s6, 6, v81
	v_cndmask_b32_e64 v2, v2, v15, s2
	v_cndmask_b32_e64 v17, v17, v4, s4
	v_cndmask_b32_e64 v18, v18, v8, s4
	v_cmp_eq_u32_e64 s4, 7, v79
	v_cndmask_b32_e64 v5, v5, v4, s3
	;; [unrolled: 4-line block ×3, first 2 shown]
	v_cmp_eq_u32_e64 s3, 7, v78
	v_cndmask_b32_e32 v4, v20, v8, vcc_lo
	v_cndmask_b32_e64 v17, v17, v12, s4
	v_cndmask_b32_e64 v19, v19, v12, s5
	;; [unrolled: 1-line block ×8, first 2 shown]
	s_mov_b32 s2, exec_lo
	v_perm_b32 v4, v2, v1, 0x5040100
	v_perm_b32 v3, v3, v5, 0x5040100
	;; [unrolled: 1-line block ×4, first 2 shown]
	ds_store_b128 v77, v[1:4]
	s_waitcnt lgkmcnt(0)
	s_barrier
	buffer_gl0_inv
	v_cmpx_gt_u32_e32 32, v0
	s_cbranch_execz .LBB1805_2
; %bb.111:
	s_load_b64 s[0:1], s[0:1], 0x68
	v_lshlrev_b32_e32 v0, 10, v0
	s_lshl_b32 s4, s34, 7
	v_or_b32_e32 v23, s29, v74
	s_mul_i32 s2, s4, s30
	v_lshlrev_b32_e32 v1, 4, v75
	v_lshlrev_b32_e32 v2, 6, v74
	s_mul_i32 s2, s2, s7
	v_and_b32_e32 v0, 0x3800, v0
	v_mul_lo_u32 v8, v23, s4
	s_ashr_i32 s3, s2, 31
	v_or_b32_e32 v3, 2, v23
	s_lshl_b64 s[2:3], s[2:3], 1
	v_or3_b32 v27, v0, v1, v2
	v_or_b32_e32 v11, 4, v23
	v_or_b32_e32 v18, 6, v23
	v_mul_lo_u32 v10, v3, s4
	v_ashrrev_i32_e32 v9, 31, v8
	ds_load_b128 v[0:3], v27
	ds_load_b128 v[4:7], v27 offset:128
	v_mul_lo_u32 v12, v11, s4
	s_waitcnt lgkmcnt(0)
	s_add_u32 s2, s0, s2
	s_addc_u32 s3, s1, s3
	s_lshl_b32 s0, s14, 7
	v_lshlrev_b64 v[8:9], 1, v[8:9]
	s_ashr_i32 s1, s0, 31
	v_ashrrev_i32_e32 v11, 31, v10
	s_lshl_b64 s[0:1], s[0:1], 1
	v_ashrrev_i32_e32 v13, 31, v12
	s_add_u32 s0, s2, s0
	s_addc_u32 s1, s3, s1
	v_add_co_u32 v30, s0, s0, v73
	s_delay_alu instid0(VALU_DEP_1) | instskip(SKIP_1) | instid1(VALU_DEP_3)
	v_add_co_ci_u32_e64 v31, null, s1, 0, s0
	v_lshlrev_b64 v[16:17], 1, v[10:11]
	v_add_co_u32 v14, vcc_lo, v30, v8
	s_delay_alu instid0(VALU_DEP_3)
	v_add_co_ci_u32_e32 v15, vcc_lo, v31, v9, vcc_lo
	ds_load_b128 v[8:11], v27 offset:256
	v_mul_lo_u32 v18, v18, s4
	v_or_b32_e32 v19, 8, v23
	v_add_co_u32 v16, vcc_lo, v30, v16
	global_store_b128 v[14:15], v[0:3], off
	v_lshlrev_b64 v[0:1], 1, v[12:13]
	v_add_co_ci_u32_e32 v17, vcc_lo, v31, v17, vcc_lo
	v_mul_lo_u32 v12, v19, s4
	v_ashrrev_i32_e32 v19, 31, v18
	v_or_b32_e32 v14, 10, v23
	global_store_b128 v[16:17], v[4:7], off
	v_add_co_u32 v4, vcc_lo, v30, v0
	v_add_co_ci_u32_e32 v5, vcc_lo, v31, v1, vcc_lo
	ds_load_b128 v[0:3], v27 offset:384
	v_ashrrev_i32_e32 v13, 31, v12
	v_lshlrev_b64 v[6:7], 1, v[18:19]
	v_mul_lo_u32 v14, v14, s4
	s_waitcnt lgkmcnt(1)
	global_store_b128 v[4:5], v[8:11], off
	v_or_b32_e32 v8, 12, v23
	v_lshlrev_b64 v[4:5], 1, v[12:13]
	v_add_co_u32 v20, vcc_lo, v30, v6
	v_or_b32_e32 v6, 14, v23
	v_ashrrev_i32_e32 v15, 31, v14
	v_mul_lo_u32 v22, v8, s4
	v_add_co_ci_u32_e32 v21, vcc_lo, v31, v7, vcc_lo
	v_add_co_u32 v24, vcc_lo, v30, v4
	v_mul_lo_u32 v26, v6, s4
	v_add_co_ci_u32_e32 v25, vcc_lo, v31, v5, vcc_lo
	v_lshlrev_b64 v[28:29], 1, v[14:15]
	ds_load_b128 v[4:7], v27 offset:512
	ds_load_b128 v[8:11], v27 offset:640
	;; [unrolled: 1-line block ×4, first 2 shown]
	v_ashrrev_i32_e32 v23, 31, v22
	v_ashrrev_i32_e32 v27, 31, v26
	v_add_co_u32 v28, vcc_lo, v30, v28
	s_delay_alu instid0(VALU_DEP_3) | instskip(SKIP_1) | instid1(VALU_DEP_4)
	v_lshlrev_b64 v[22:23], 1, v[22:23]
	v_add_co_ci_u32_e32 v29, vcc_lo, v31, v29, vcc_lo
	v_lshlrev_b64 v[26:27], 1, v[26:27]
	s_delay_alu instid0(VALU_DEP_3) | instskip(NEXT) | instid1(VALU_DEP_4)
	v_add_co_u32 v22, vcc_lo, v30, v22
	v_add_co_ci_u32_e32 v23, vcc_lo, v31, v23, vcc_lo
	s_delay_alu instid0(VALU_DEP_3) | instskip(NEXT) | instid1(VALU_DEP_4)
	v_add_co_u32 v26, vcc_lo, v30, v26
	v_add_co_ci_u32_e32 v27, vcc_lo, v31, v27, vcc_lo
	s_waitcnt lgkmcnt(4)
	global_store_b128 v[20:21], v[0:3], off
	s_waitcnt lgkmcnt(3)
	global_store_b128 v[24:25], v[4:7], off
	;; [unrolled: 2-line block ×5, first 2 shown]
	s_nop 0
	s_sendmsg sendmsg(MSG_DEALLOC_VGPRS)
	s_endpgm
	.section	.rodata,"a",@progbits
	.p2align	6, 0x0
	.amdhsa_kernel _Z39paged_attention_ll4mi_QKV_mfma16_kernelI14__hip_bfloat16hLN4vllm18Fp8KVCacheDataTypeE1EhLi16ELi128ELi256ELb1ELi16EL8MFMAType0EEvPKT_PKT0_S9_ifPKiSB_SB_iPKfiiiPfSE_PS4_PT2_iSD_SD_
		.amdhsa_group_segment_fixed_size 17472
		.amdhsa_private_segment_fixed_size 0
		.amdhsa_kernarg_size 400
		.amdhsa_user_sgpr_count 13
		.amdhsa_user_sgpr_dispatch_ptr 0
		.amdhsa_user_sgpr_queue_ptr 0
		.amdhsa_user_sgpr_kernarg_segment_ptr 1
		.amdhsa_user_sgpr_dispatch_id 0
		.amdhsa_user_sgpr_private_segment_size 0
		.amdhsa_wavefront_size32 1
		.amdhsa_uses_dynamic_stack 0
		.amdhsa_enable_private_segment 0
		.amdhsa_system_sgpr_workgroup_id_x 1
		.amdhsa_system_sgpr_workgroup_id_y 1
		.amdhsa_system_sgpr_workgroup_id_z 1
		.amdhsa_system_sgpr_workgroup_info 0
		.amdhsa_system_vgpr_workitem_id 0
		.amdhsa_next_free_vgpr 141
		.amdhsa_next_free_sgpr 36
		.amdhsa_reserve_vcc 1
		.amdhsa_float_round_mode_32 0
		.amdhsa_float_round_mode_16_64 0
		.amdhsa_float_denorm_mode_32 3
		.amdhsa_float_denorm_mode_16_64 3
		.amdhsa_dx10_clamp 1
		.amdhsa_ieee_mode 1
		.amdhsa_fp16_overflow 0
		.amdhsa_workgroup_processor_mode 1
		.amdhsa_memory_ordered 1
		.amdhsa_forward_progress 0
		.amdhsa_shared_vgpr_count 0
		.amdhsa_exception_fp_ieee_invalid_op 0
		.amdhsa_exception_fp_denorm_src 0
		.amdhsa_exception_fp_ieee_div_zero 0
		.amdhsa_exception_fp_ieee_overflow 0
		.amdhsa_exception_fp_ieee_underflow 0
		.amdhsa_exception_fp_ieee_inexact 0
		.amdhsa_exception_int_div_zero 0
	.end_amdhsa_kernel
	.section	.text._Z39paged_attention_ll4mi_QKV_mfma16_kernelI14__hip_bfloat16hLN4vllm18Fp8KVCacheDataTypeE1EhLi16ELi128ELi256ELb1ELi16EL8MFMAType0EEvPKT_PKT0_S9_ifPKiSB_SB_iPKfiiiPfSE_PS4_PT2_iSD_SD_,"axG",@progbits,_Z39paged_attention_ll4mi_QKV_mfma16_kernelI14__hip_bfloat16hLN4vllm18Fp8KVCacheDataTypeE1EhLi16ELi128ELi256ELb1ELi16EL8MFMAType0EEvPKT_PKT0_S9_ifPKiSB_SB_iPKfiiiPfSE_PS4_PT2_iSD_SD_,comdat
.Lfunc_end1805:
	.size	_Z39paged_attention_ll4mi_QKV_mfma16_kernelI14__hip_bfloat16hLN4vllm18Fp8KVCacheDataTypeE1EhLi16ELi128ELi256ELb1ELi16EL8MFMAType0EEvPKT_PKT0_S9_ifPKiSB_SB_iPKfiiiPfSE_PS4_PT2_iSD_SD_, .Lfunc_end1805-_Z39paged_attention_ll4mi_QKV_mfma16_kernelI14__hip_bfloat16hLN4vllm18Fp8KVCacheDataTypeE1EhLi16ELi128ELi256ELb1ELi16EL8MFMAType0EEvPKT_PKT0_S9_ifPKiSB_SB_iPKfiiiPfSE_PS4_PT2_iSD_SD_
                                        ; -- End function
	.section	.AMDGPU.csdata,"",@progbits
; Kernel info:
; codeLenInByte = 9036
; NumSgprs: 38
; NumVgprs: 141
; ScratchSize: 0
; MemoryBound: 0
; FloatMode: 240
; IeeeMode: 1
; LDSByteSize: 17472 bytes/workgroup (compile time only)
; SGPRBlocks: 4
; VGPRBlocks: 17
; NumSGPRsForWavesPerEU: 38
; NumVGPRsForWavesPerEU: 141
; Occupancy: 10
; WaveLimiterHint : 1
; COMPUTE_PGM_RSRC2:SCRATCH_EN: 0
; COMPUTE_PGM_RSRC2:USER_SGPR: 13
; COMPUTE_PGM_RSRC2:TRAP_HANDLER: 0
; COMPUTE_PGM_RSRC2:TGID_X_EN: 1
; COMPUTE_PGM_RSRC2:TGID_Y_EN: 1
; COMPUTE_PGM_RSRC2:TGID_Z_EN: 1
; COMPUTE_PGM_RSRC2:TIDIG_COMP_CNT: 0
	.section	.text._Z39paged_attention_ll4mi_QKV_mfma16_kernelI14__hip_bfloat16hLN4vllm18Fp8KVCacheDataTypeE1EhLi16ELi128ELi256ELb1ELi1EL8MFMAType0EEvPKT_PKT0_S9_ifPKiSB_SB_iPKfiiiPfSE_PS4_PT2_iSD_SD_,"axG",@progbits,_Z39paged_attention_ll4mi_QKV_mfma16_kernelI14__hip_bfloat16hLN4vllm18Fp8KVCacheDataTypeE1EhLi16ELi128ELi256ELb1ELi1EL8MFMAType0EEvPKT_PKT0_S9_ifPKiSB_SB_iPKfiiiPfSE_PS4_PT2_iSD_SD_,comdat
	.protected	_Z39paged_attention_ll4mi_QKV_mfma16_kernelI14__hip_bfloat16hLN4vllm18Fp8KVCacheDataTypeE1EhLi16ELi128ELi256ELb1ELi1EL8MFMAType0EEvPKT_PKT0_S9_ifPKiSB_SB_iPKfiiiPfSE_PS4_PT2_iSD_SD_ ; -- Begin function _Z39paged_attention_ll4mi_QKV_mfma16_kernelI14__hip_bfloat16hLN4vllm18Fp8KVCacheDataTypeE1EhLi16ELi128ELi256ELb1ELi1EL8MFMAType0EEvPKT_PKT0_S9_ifPKiSB_SB_iPKfiiiPfSE_PS4_PT2_iSD_SD_
	.globl	_Z39paged_attention_ll4mi_QKV_mfma16_kernelI14__hip_bfloat16hLN4vllm18Fp8KVCacheDataTypeE1EhLi16ELi128ELi256ELb1ELi1EL8MFMAType0EEvPKT_PKT0_S9_ifPKiSB_SB_iPKfiiiPfSE_PS4_PT2_iSD_SD_
	.p2align	8
	.type	_Z39paged_attention_ll4mi_QKV_mfma16_kernelI14__hip_bfloat16hLN4vllm18Fp8KVCacheDataTypeE1EhLi16ELi128ELi256ELb1ELi1EL8MFMAType0EEvPKT_PKT0_S9_ifPKiSB_SB_iPKfiiiPfSE_PS4_PT2_iSD_SD_,@function
_Z39paged_attention_ll4mi_QKV_mfma16_kernelI14__hip_bfloat16hLN4vllm18Fp8KVCacheDataTypeE1EhLi16ELi128ELi256ELb1ELi1EL8MFMAType0EEvPKT_PKT0_S9_ifPKiSB_SB_iPKfiiiPfSE_PS4_PT2_iSD_SD_: ; @_Z39paged_attention_ll4mi_QKV_mfma16_kernelI14__hip_bfloat16hLN4vllm18Fp8KVCacheDataTypeE1EhLi16ELi128ELi256ELb1ELi1EL8MFMAType0EEvPKT_PKT0_S9_ifPKiSB_SB_iPKfiiiPfSE_PS4_PT2_iSD_SD_
; %bb.0:
	s_load_b64 s[4:5], s[0:1], 0x30
	s_mov_b32 s34, s13
	s_waitcnt lgkmcnt(0)
	s_cmp_lg_u64 s[4:5], 0
	s_cselect_b32 s6, -1, 0
	s_ashr_i32 s35, s13, 31
	s_cmp_eq_u64 s[4:5], 0
	s_cbranch_scc1 .LBB1806_3
; %bb.1:
	s_lshl_b64 s[2:3], s[34:35], 2
	s_delay_alu instid0(SALU_CYCLE_1) | instskip(SKIP_4) | instid1(SALU_CYCLE_1)
	s_add_u32 s2, s4, s2
	s_addc_u32 s3, s5, s3
	s_load_b64 s[2:3], s[2:3], 0x0
	s_waitcnt lgkmcnt(0)
	s_sub_i32 s2, s3, s2
	s_cmp_eq_u32 s2, 1
	s_cselect_b32 s2, -1, 0
	s_delay_alu instid0(SALU_CYCLE_1)
	s_and_not1_b32 vcc_lo, exec_lo, s2
	s_cbranch_vccz .LBB1806_4
.LBB1806_2:
	s_endpgm
.LBB1806_3:
.LBB1806_4:
	s_load_b64 s[2:3], s[0:1], 0x28
	s_lshl_b64 s[8:9], s[34:35], 2
	s_waitcnt lgkmcnt(0)
	s_add_u32 s2, s2, s8
	s_addc_u32 s3, s3, s9
	s_lshl_b32 s12, s14, 8
	s_load_b32 s33, s[2:3], 0x0
	s_waitcnt lgkmcnt(0)
	s_cmp_ge_i32 s12, s33
	s_cbranch_scc1 .LBB1806_2
; %bb.5:
	s_clause 0x1
	s_load_b128 s[56:59], s[0:1], 0x8
	s_load_b64 s[2:3], s[0:1], 0x20
	s_and_not1_b32 vcc_lo, exec_lo, s6
	s_mov_b64 s[6:7], s[34:35]
	s_cbranch_vccnz .LBB1806_7
; %bb.6:
	s_add_u32 s4, s4, s8
	s_addc_u32 s5, s5, s9
	s_load_b32 s6, s[4:5], 0x0
.LBB1806_7:
	s_load_b128 s[52:55], s[0:1], 0x48
	v_and_b32_e32 v65, 15, v0
	s_mov_b32 s13, exec_lo
                                        ; implicit-def: $sgpr36
                                        ; implicit-def: $sgpr24
                                        ; implicit-def: $sgpr16
                                        ; implicit-def: $sgpr4
	s_delay_alu instid0(VALU_DEP_1)
	v_cmpx_eq_u32_e32 0, v65
	s_cbranch_execz .LBB1806_9
; %bb.8:
	s_load_b64 s[4:5], s[0:1], 0x0
	s_waitcnt lgkmcnt(0)
	s_mul_hi_i32 s7, s6, s52
	s_mul_i32 s6, s6, s52
	s_delay_alu instid0(SALU_CYCLE_1) | instskip(NEXT) | instid1(SALU_CYCLE_1)
	s_lshl_b64 s[6:7], s[6:7], 1
	s_add_u32 s6, s4, s6
	s_addc_u32 s7, s5, s7
	s_lshl_b32 s4, s15, 7
	s_delay_alu instid0(SALU_CYCLE_1) | instskip(NEXT) | instid1(SALU_CYCLE_1)
	s_ashr_i32 s5, s4, 31
	s_lshl_b64 s[4:5], s[4:5], 1
	s_delay_alu instid0(SALU_CYCLE_1)
	s_add_u32 s4, s6, s4
	s_addc_u32 s5, s7, s5
	s_clause 0x3
	s_load_b256 s[36:43], s[4:5], 0x0
	s_load_b256 s[24:31], s[4:5], 0x40
	s_load_b256 s[16:23], s[4:5], 0x80
	s_load_b256 s[4:11], s[4:5], 0xc0
.LBB1806_9:
	s_or_b32 exec_lo, exec_lo, s13
	v_and_b32_e32 v1, 0xef, v0
	s_add_i32 s13, s33, 15
	s_load_b32 s44, s[0:1], 0x38
	s_ashr_i32 s35, s13, 31
	s_waitcnt lgkmcnt(0)
	s_mul_i32 s62, s15, s54
	v_add_nc_u32_e32 v1, s12, v1
	s_lshr_b32 s35, s35, 28
	v_dual_mov_b32 v113, s31 :: v_dual_mov_b32 v106, s24
	s_add_i32 s13, s13, s35
	s_delay_alu instid0(VALU_DEP_2)
	v_ashrrev_i32_e32 v2, 31, v1
	v_or_b32_e32 v3, 16, v1
	s_ashr_i32 s13, s13, 4
	v_cmp_gt_i32_e32 vcc_lo, s33, v1
	s_add_i32 s13, s13, -1
	v_lshrrev_b32_e32 v2, 28, v2
	s_load_b32 s35, s[0:1], 0x1c
	v_mov_b32_e32 v111, s29
	v_mov_b32_e32 v109, s27
	s_delay_alu instid0(VALU_DEP_3)
	v_dual_mov_b32 v107, s25 :: v_dual_add_nc_u32 v4, v1, v2
	v_lshlrev_b32_e32 v73, 4, v65
	s_mul_i32 s44, s34, s44
	v_lshrrev_b32_e32 v66, 5, v0
	s_ashr_i32 s45, s44, 31
	v_ashrrev_i32_e32 v4, 4, v4
	v_add_nc_u32_e32 v2, v3, v2
	s_lshl_b64 s[44:45], s[44:45], 2
	v_mov_b32_e32 v112, s30
	s_add_u32 s61, s2, s44
	v_cndmask_b32_e32 v1, s13, v4, vcc_lo
	v_ashrrev_i32_e32 v2, 4, v2
	v_cmp_gt_i32_e32 vcc_lo, s33, v3
	s_addc_u32 s60, s3, s45
	s_ashr_i32 s63, s62, 31
	s_add_u32 s52, s56, s62
	s_addc_u32 s56, s57, s63
	v_cndmask_b32_e32 v3, s13, v2, vcc_lo
	v_ashrrev_i32_e32 v2, 31, v1
	s_lshl_b32 s2, s14, 4
	v_mov_b32_e32 v110, s28
	s_ashr_i32 s3, s2, 31
	v_ashrrev_i32_e32 v4, 31, v3
	v_lshlrev_b64 v[1:2], 2, v[1:2]
	s_lshl_b64 s[2:3], s[2:3], 2
	v_mov_b32_e32 v108, s26
	s_add_u32 s2, s61, s2
	v_lshlrev_b64 v[3:4], 2, v[3:4]
	s_addc_u32 s3, s60, s3
	v_add_co_u32 v1, vcc_lo, s61, v1
	v_add_co_ci_u32_e32 v2, vcc_lo, s60, v2, vcc_lo
	s_delay_alu instid0(VALU_DEP_3) | instskip(NEXT) | instid1(VALU_DEP_4)
	v_add_co_u32 v3, vcc_lo, s61, v3
	v_add_co_ci_u32_e32 v4, vcc_lo, s60, v4, vcc_lo
	s_clause 0x1
	global_load_b32 v5, v[1:2], off
	global_load_b32 v3, v[3:4], off
	s_or_b32 s44, s12, 32
	v_lshlrev_b32_e32 v1, 4, v0
	s_ashr_i32 s45, s44, 4
	s_cmp_lt_i32 s44, s33
	s_cselect_b32 s44, s45, s13
	s_delay_alu instid0(VALU_DEP_1) | instskip(SKIP_1) | instid1(SALU_CYCLE_1)
	v_and_b32_e32 v1, 0xf0, v1
	s_ashr_i32 s45, s44, 31
	s_lshl_b64 s[44:45], s[44:45], 2
	s_delay_alu instid0(SALU_CYCLE_1)
	s_add_u32 s44, s61, s44
	s_addc_u32 s45, s60, s45
	s_or_b32 s46, s12, 64
	v_add_co_u32 v1, s52, s52, v1
	s_ashr_i32 s47, s46, 4
	s_cmp_lt_i32 s46, s33
	v_add_co_ci_u32_e64 v2, null, s56, 0, s52
	s_cselect_b32 s46, s47, s13
	s_delay_alu instid0(SALU_CYCLE_1) | instskip(NEXT) | instid1(SALU_CYCLE_1)
	s_ashr_i32 s47, s46, 31
	s_lshl_b64 s[46:47], s[46:47], 2
	s_delay_alu instid0(SALU_CYCLE_1) | instskip(SKIP_2) | instid1(SALU_CYCLE_1)
	s_add_u32 s46, s61, s46
	s_addc_u32 s47, s60, s47
	s_or_b32 s48, s12, 0x60
	s_ashr_i32 s49, s48, 4
	s_cmp_lt_i32 s48, s33
	s_cselect_b32 s48, s49, s13
	s_delay_alu instid0(SALU_CYCLE_1) | instskip(NEXT) | instid1(SALU_CYCLE_1)
	s_ashr_i32 s49, s48, 31
	s_lshl_b64 s[48:49], s[48:49], 2
	s_delay_alu instid0(SALU_CYCLE_1) | instskip(SKIP_2) | instid1(SALU_CYCLE_1)
	s_add_u32 s48, s61, s48
	s_addc_u32 s49, s60, s49
	s_or_b32 s50, s12, 0x80
	s_ashr_i32 s51, s50, 4
	s_cmp_lt_i32 s50, s33
	;; [unrolled: 10-line block ×3, first 2 shown]
	s_cselect_b32 s54, s55, s13
	s_delay_alu instid0(SALU_CYCLE_1) | instskip(NEXT) | instid1(SALU_CYCLE_1)
	s_ashr_i32 s55, s54, 31
	s_lshl_b64 s[54:55], s[54:55], 2
	s_delay_alu instid0(SALU_CYCLE_1)
	s_add_u32 s64, s61, s54
	s_addc_u32 s65, s60, s55
	s_clause 0x5
	s_load_b32 s56, s[2:3], 0x0
	s_load_b32 s3, s[44:45], 0x0
	;; [unrolled: 1-line block ×6, first 2 shown]
	s_or_b32 s24, s12, 0xc0
	s_mov_b32 s44, 0
	s_ashr_i32 s25, s24, 4
	s_mov_b32 s45, s44
	s_mov_b32 s46, s44
	;; [unrolled: 1-line block ×7, first 2 shown]
	v_dual_mov_b32 v121, s23 :: v_dual_mov_b32 v120, s22
	v_dual_mov_b32 v119, s21 :: v_dual_mov_b32 v118, s20
	;; [unrolled: 1-line block ×4, first 2 shown]
	v_lshl_or_b32 v33, v66, 8, v73
	v_dual_mov_b32 v129, s51 :: v_dual_mov_b32 v128, s50
	v_dual_mov_b32 v127, s49 :: v_dual_mov_b32 v126, s48
	;; [unrolled: 1-line block ×4, first 2 shown]
	s_cmp_lt_i32 s24, s33
	s_cselect_b32 s16, s25, s13
	s_delay_alu instid0(SALU_CYCLE_1) | instskip(NEXT) | instid1(SALU_CYCLE_1)
	s_ashr_i32 s17, s16, 31
	s_lshl_b64 s[16:17], s[16:17], 2
	s_delay_alu instid0(SALU_CYCLE_1) | instskip(SKIP_2) | instid1(SALU_CYCLE_1)
	s_add_u32 s16, s61, s16
	s_addc_u32 s17, s60, s17
	s_or_b32 s18, s12, 0xe0
	s_ashr_i32 s19, s18, 4
	s_cmp_lt_i32 s18, s33
	s_cselect_b32 s18, s19, s13
	s_delay_alu instid0(SALU_CYCLE_1) | instskip(NEXT) | instid1(SALU_CYCLE_1)
	s_ashr_i32 s19, s18, 31
	s_lshl_b64 s[18:19], s[18:19], 2
	s_delay_alu instid0(SALU_CYCLE_1) | instskip(SKIP_4) | instid1(VALU_DEP_1)
	s_add_u32 s18, s61, s18
	s_addc_u32 s19, s60, s19
	s_add_u32 s13, s58, s62
	s_addc_u32 s20, s59, s63
	v_add_co_u32 v67, s13, s13, v33
	v_add_co_ci_u32_e64 v68, null, s20, 0, s13
	s_waitcnt lgkmcnt(0)
	s_delay_alu instid0(VALU_DEP_1)
	v_mad_i64_i32 v[33:34], null, s56, s53, v[67:68]
	v_mad_i64_i32 v[69:70], null, s54, s53, v[67:68]
	;; [unrolled: 1-line block ×5, first 2 shown]
	s_waitcnt vmcnt(1)
	v_mad_i64_i32 v[25:26], null, v5, s53, v[1:2]
	s_waitcnt vmcnt(0)
	v_mad_i64_i32 v[27:28], null, v3, s53, v[1:2]
	s_clause 0xf
	global_load_b128 v[1:4], v[25:26], off
	global_load_b128 v[5:8], v[25:26], off offset:256
	global_load_b128 v[9:12], v[27:28], off
	global_load_b128 v[13:16], v[27:28], off offset:256
	global_load_b128 v[17:20], v[25:26], off offset:512
	global_load_b128 v[21:24], v[25:26], off offset:768
	global_load_b128 v[57:60], v[27:28], off offset:512
	global_load_b128 v[61:64], v[27:28], off offset:768
	global_load_b128 v[74:77], v[25:26], off offset:1024
	global_load_b128 v[78:81], v[25:26], off offset:1280
	global_load_b128 v[82:85], v[27:28], off offset:1024
	global_load_b128 v[86:89], v[27:28], off offset:1280
	global_load_b128 v[90:93], v[25:26], off offset:1536
	global_load_b128 v[94:97], v[25:26], off offset:1792
	global_load_b128 v[98:101], v[27:28], off offset:1536
	global_load_b128 v[102:105], v[27:28], off offset:1792
	v_mov_b32_e32 v25, s36
	v_mov_b32_e32 v27, s38
	;; [unrolled: 1-line block ×4, first 2 shown]
	s_clause 0x1
	s_load_b32 s13, s[16:17], 0x0
	s_load_b32 s16, s[18:19], 0x0
	v_mov_b32_e32 v26, s37
	v_mov_b32_e32 v28, s39
	;; [unrolled: 1-line block ×4, first 2 shown]
	s_clause 0x5
	global_load_b128 v[49:52], v[33:34], off
	global_load_b128 v[53:56], v[33:34], off offset:16
	global_load_b128 v[41:44], v[35:36], off
	global_load_b128 v[45:48], v[35:36], off offset:16
	;; [unrolled: 2-line block ×3, first 2 shown]
	s_waitcnt vmcnt(20)
	v_wmma_f32_16x16x16_bf16 v[130:137], v[1:8], v[25:32], v[122:129]
	s_waitcnt vmcnt(18)
	v_wmma_f32_16x16x16_bf16 v[122:129], v[9:16], v[25:32], v[122:129]
	v_mad_i64_i32 v[13:14], null, s2, s53, v[67:68]
	s_waitcnt vmcnt(16)
	v_wmma_f32_16x16x16_bf16 v[130:137], v[17:24], v[106:113], v[130:137]
	s_waitcnt lgkmcnt(0)
	v_mad_i64_i32 v[21:22], null, s13, s53, v[67:68]
	s_clause 0x1
	global_load_b128 v[25:28], v[69:70], off
	global_load_b128 v[29:32], v[69:70], off offset:16
	v_mad_i64_i32 v[69:70], null, s16, s53, v[67:68]
	s_waitcnt vmcnt(16)
	v_wmma_f32_16x16x16_bf16 v[122:129], v[57:64], v[106:113], v[122:129]
	s_clause 0x7
	global_load_b128 v[1:4], v[71:72], off
	global_load_b128 v[5:8], v[71:72], off offset:16
	global_load_b128 v[9:12], v[13:14], off
	global_load_b128 v[13:16], v[13:14], off offset:16
	;; [unrolled: 2-line block ×4, first 2 shown]
	v_mbcnt_lo_u32_b32 v68, -1, 0
	s_waitcnt vmcnt(22)
	v_wmma_f32_16x16x16_bf16 v[130:137], v[74:81], v[114:121], v[130:137]
	s_waitcnt vmcnt(20)
	v_wmma_f32_16x16x16_bf16 v[122:129], v[82:89], v[114:121], v[122:129]
	v_dual_mov_b32 v82, s11 :: v_dual_mov_b32 v81, s10
	v_xor_b32_e32 v69, 16, v68
	v_dual_mov_b32 v80, s9 :: v_dual_mov_b32 v79, s8
	v_dual_mov_b32 v78, s7 :: v_dual_mov_b32 v77, s6
	;; [unrolled: 1-line block ×3, first 2 shown]
	s_delay_alu instid0(VALU_DEP_4) | instskip(SKIP_4) | instid1(VALU_DEP_3)
	v_cmp_gt_i32_e32 vcc_lo, 32, v69
	v_and_b32_e32 v67, 0xe0, v0
	v_bfe_u32 v74, v0, 4, 1
	s_waitcnt vmcnt(0)
	v_wmma_f32_16x16x16_bf16 v[130:137], v[90:97], v[75:82], v[130:137]
	v_dual_cndmask_b32 v68, v68, v69 :: v_dual_add_nc_u32 v67, s12, v67
	s_barrier
	buffer_gl0_inv
	v_mul_f32_e32 v92, s35, v131
	v_wmma_f32_16x16x16_bf16 v[122:129], v[98:105], v[75:82], v[122:129]
	v_mul_f32_e32 v78, s35, v136
	v_or_b32_e32 v67, v67, v74
	v_mul_f32_e32 v93, s35, v130
	v_dual_mul_f32 v81, s35, v133 :: v_dual_mul_f32 v82, s35, v132
	v_dual_mul_f32 v79, s35, v135 :: v_dual_mul_f32 v98, s35, v125
	s_delay_alu instid0(VALU_DEP_4)
	v_or_b32_e32 v69, 2, v67
	v_or_b32_e32 v70, 4, v67
	;; [unrolled: 1-line block ×3, first 2 shown]
	v_cmp_gt_i32_e64 s2, s33, v67
	v_or_b32_e32 v72, 8, v67
	v_cmp_gt_i32_e32 vcc_lo, s33, v69
	v_or_b32_e32 v83, 10, v67
	v_cmp_gt_i32_e64 s3, s33, v70
	v_cndmask_b32_e64 v93, 0xff7fffff, v93, s2
	v_cmp_gt_i32_e64 s4, s33, v71
	v_cndmask_b32_e32 v92, 0xff7fffff, v92, vcc_lo
	v_or_b32_e32 v84, 12, v67
	v_or_b32_e32 v85, 14, v67
	v_mul_f32_e32 v80, s35, v134
	v_cndmask_b32_e64 v70, 0xff7fffff, v82, s3
	v_cndmask_b32_e64 v71, 0xff7fffff, v81, s4
	v_max3_f32 v81, v93, 0xff7fffff, v92
	v_cmp_gt_i32_e64 s5, s33, v72
	v_cmp_gt_i32_e64 s6, s33, v83
	v_or_b32_e32 v86, 16, v67
	v_or_b32_e32 v87, 18, v67
	v_dual_mul_f32 v77, s35, v137 :: v_dual_mul_f32 v96, s35, v127
	v_cndmask_b32_e64 v72, 0xff7fffff, v80, s5
	v_cndmask_b32_e64 v79, 0xff7fffff, v79, s6
	v_max3_f32 v70, v81, v70, v71
	v_cmp_gt_i32_e64 s7, s33, v84
	v_cmp_gt_i32_e64 s8, s33, v85
	v_or_b32_e32 v88, 20, v67
	v_or_b32_e32 v89, 22, v67
	;; [unrolled: 1-line block ×6, first 2 shown]
	v_mul_f32_e32 v69, s35, v123
	v_mul_f32_e32 v67, s35, v122
	v_cndmask_b32_e64 v71, 0xff7fffff, v78, s7
	v_cndmask_b32_e64 v77, 0xff7fffff, v77, s8
	v_max3_f32 v70, v70, v72, v79
	v_cmp_gt_i32_e64 s9, s33, v86
	v_cmp_gt_i32_e64 s10, s33, v87
	v_mul_f32_e32 v99, s35, v124
	v_cmp_gt_i32_e64 s11, s33, v88
	v_max3_f32 v70, v70, v71, v77
	v_cndmask_b32_e64 v67, 0xff7fffff, v67, s9
	v_cndmask_b32_e64 v69, 0xff7fffff, v69, s10
	v_cmp_gt_i32_e64 s12, s33, v89
	v_mul_f32_e32 v97, s35, v126
	v_cndmask_b32_e64 v71, 0xff7fffff, v99, s11
	v_cmp_gt_i32_e64 s13, s33, v90
	v_max3_f32 v67, v70, v67, v69
	v_cndmask_b32_e64 v72, 0xff7fffff, v98, s12
	v_cmp_gt_i32_e64 s16, s33, v91
	v_dual_mul_f32 v94, s35, v129 :: v_dual_mul_f32 v95, s35, v128
	v_cndmask_b32_e64 v69, 0xff7fffff, v97, s13
	s_delay_alu instid0(VALU_DEP_4) | instskip(NEXT) | instid1(VALU_DEP_4)
	v_max3_f32 v67, v67, v71, v72
	v_cndmask_b32_e64 v70, 0xff7fffff, v96, s16
	v_cmp_gt_i32_e64 s17, s33, v75
	v_cmp_gt_i32_e64 s18, s33, v76
	v_lshlrev_b32_e32 v81, 2, v68
	s_delay_alu instid0(VALU_DEP_4) | instskip(NEXT) | instid1(VALU_DEP_4)
	v_max3_f32 v67, v67, v69, v70
	v_cndmask_b32_e64 v71, 0xff7fffff, v95, s17
	s_delay_alu instid0(VALU_DEP_4) | instskip(NEXT) | instid1(VALU_DEP_1)
	v_cndmask_b32_e64 v72, 0xff7fffff, v94, s18
	v_max3_f32 v67, v67, v71, v72
	ds_bpermute_b32 v68, v81, v67
	s_waitcnt lgkmcnt(0)
	v_max_f32_e32 v68, v68, v68
	s_delay_alu instid0(VALU_DEP_1) | instskip(NEXT) | instid1(VALU_DEP_1)
	v_max_f32_e32 v67, v67, v68
	v_fma_f32 v68, s35, v130, -v67
	v_fma_f32 v69, s35, v131, -v67
	;; [unrolled: 1-line block ×5, first 2 shown]
	s_delay_alu instid0(VALU_DEP_4) | instskip(NEXT) | instid1(VALU_DEP_3)
	v_dual_mul_f32 v68, 0x3fb8aa3b, v68 :: v_dual_mul_f32 v69, 0x3fb8aa3b, v69
	v_dual_mul_f32 v70, 0x3fb8aa3b, v70 :: v_dual_mul_f32 v71, 0x3fb8aa3b, v71
	s_delay_alu instid0(VALU_DEP_3) | instskip(NEXT) | instid1(VALU_DEP_3)
	v_mul_f32_e32 v72, 0x3fb8aa3b, v72
	v_exp_f32_e32 v68, v68
	s_delay_alu instid0(VALU_DEP_3) | instskip(NEXT) | instid1(VALU_DEP_2)
	v_exp_f32_e32 v69, v69
	v_exp_f32_e32 v70, v70
	;; [unrolled: 1-line block ×3, first 2 shown]
	v_fma_f32 v76, s35, v136, -v67
	v_exp_f32_e32 v72, v72
	s_delay_alu instid0(VALU_DEP_1) | instskip(SKIP_3) | instid1(TRANS32_DEP_3)
	v_mul_f32_e32 v76, 0x3fb8aa3b, v76
	v_cndmask_b32_e64 v79, 0, v68, s2
	v_fma_f32 v68, s35, v135, -v67
	v_cndmask_b32_e32 v75, 0, v69, vcc_lo
	v_cndmask_b32_e64 v82, 0, v70, s3
	s_delay_alu instid0(TRANS32_DEP_2) | instskip(NEXT) | instid1(VALU_DEP_4)
	v_cndmask_b32_e64 v84, 0, v71, s4
	v_dual_add_f32 v69, 0, v79 :: v_dual_mul_f32 v68, 0x3fb8aa3b, v68
	v_exp_f32_e32 v76, v76
	s_delay_alu instid0(TRANS32_DEP_2) | instskip(SKIP_1) | instid1(VALU_DEP_2)
	v_cndmask_b32_e64 v85, 0, v72, s5
	s_mov_b32 s3, exec_lo
	v_add_f32_e32 v69, v69, v75
	v_exp_f32_e32 v68, v68
	s_delay_alu instid0(VALU_DEP_1) | instskip(SKIP_4) | instid1(VALU_DEP_2)
	v_add_f32_e32 v69, v69, v82
	s_waitcnt_depctr 0xfff
	v_cndmask_b32_e64 v83, 0, v76, s7
	v_add_f32_e32 v69, v69, v84
	v_cndmask_b32_e64 v86, 0, v68, s6
	v_add_f32_e32 v68, v69, v85
	s_delay_alu instid0(VALU_DEP_1) | instskip(NEXT) | instid1(VALU_DEP_1)
	v_add_f32_e32 v68, v68, v86
	v_add_f32_e32 v68, v68, v83
	v_fma_f32 v72, s35, v123, -v67
	v_fma_f32 v70, s35, v137, -v67
	;; [unrolled: 1-line block ×5, first 2 shown]
	v_mul_f32_e32 v72, 0x3fb8aa3b, v72
	s_delay_alu instid0(VALU_DEP_4) | instskip(SKIP_1) | instid1(VALU_DEP_4)
	v_dual_mul_f32 v70, 0x3fb8aa3b, v70 :: v_dual_mul_f32 v69, 0x3fb8aa3b, v69
	v_fma_f32 v77, s35, v126, -v67
	v_mul_f32_e32 v76, 0x3fb8aa3b, v76
	s_delay_alu instid0(VALU_DEP_4) | instskip(NEXT) | instid1(VALU_DEP_3)
	v_exp_f32_e32 v72, v72
	v_exp_f32_e32 v70, v70
	;; [unrolled: 1-line block ×3, first 2 shown]
	v_fma_f32 v88, s35, v129, -v67
	v_exp_f32_e32 v76, v76
	s_delay_alu instid0(VALU_DEP_1) | instskip(SKIP_2) | instid1(TRANS32_DEP_3)
	v_mul_f32_e32 v88, 0x3fb8aa3b, v88
	v_cndmask_b32_e64 v69, 0, v72, s10
	v_mul_f32_e32 v71, 0x3fb8aa3b, v71
	v_cndmask_b32_e64 v87, 0, v70, s8
	v_fma_f32 v72, s35, v128, -v67
	s_delay_alu instid0(VALU_DEP_3) | instskip(NEXT) | instid1(VALU_DEP_2)
	v_exp_f32_e32 v71, v71
	v_add_f32_e32 v68, v68, v87
	s_waitcnt_depctr 0xfff
	v_cndmask_b32_e64 v70, 0, v71, s9
	v_fma_f32 v71, s35, v127, -v67
	s_delay_alu instid0(VALU_DEP_2) | instskip(NEXT) | instid1(VALU_DEP_2)
	v_add_f32_e32 v68, v68, v70
	v_mul_f32_e32 v80, 0x3fb8aa3b, v71
	v_cndmask_b32_e64 v71, 0, v78, s11
	v_mul_f32_e32 v78, 0x3fb8aa3b, v72
	v_cndmask_b32_e64 v72, 0, v76, s12
	v_add_f32_e32 v68, v68, v69
	v_exp_f32_e32 v80, v80
	s_delay_alu instid0(VALU_DEP_3) | instskip(NEXT) | instid1(VALU_DEP_1)
	v_exp_f32_e32 v78, v78
	v_dual_add_f32 v68, v68, v71 :: v_dual_mul_f32 v77, 0x3fb8aa3b, v77
	s_delay_alu instid0(VALU_DEP_1) | instskip(NEXT) | instid1(VALU_DEP_2)
	v_add_f32_e32 v68, v68, v72
	v_exp_f32_e32 v77, v77
	s_waitcnt_depctr 0xfff
	v_cndmask_b32_e64 v78, 0, v78, s17
	v_cndmask_b32_e64 v76, 0, v77, s13
	;; [unrolled: 1-line block ×3, first 2 shown]
	v_exp_f32_e32 v80, v88
	v_and_b32_e32 v88, 31, v0
	s_delay_alu instid0(VALU_DEP_3) | instskip(NEXT) | instid1(VALU_DEP_2)
	v_add_f32_e32 v68, v68, v76
	v_cmp_lt_u32_e64 s2, 15, v88
	s_delay_alu instid0(VALU_DEP_2) | instskip(SKIP_3) | instid1(VALU_DEP_1)
	v_add_f32_e32 v68, v68, v77
	s_waitcnt_depctr 0xfff
	v_cndmask_b32_e64 v80, 0, v80, s18
	v_add_f32_e32 v68, v68, v78
	v_add_f32_e32 v68, v68, v80
	ds_bpermute_b32 v81, v81, v68
	v_cmpx_gt_u32_e32 16, v88
	s_cbranch_execz .LBB1806_11
; %bb.10:
	v_mul_u32_u24_e32 v88, 0x44, v66
	s_delay_alu instid0(VALU_DEP_1) | instskip(SKIP_1) | instid1(VALU_DEP_1)
	v_lshl_add_u32 v88, v65, 2, v88
	s_waitcnt lgkmcnt(0)
	v_dual_add_f32 v68, v68, v81 :: v_dual_add_nc_u32 v81, 0x4000, v88
	ds_store_2addr_b32 v81, v67, v68 offset1:136
.LBB1806_11:
	s_or_b32 exec_lo, exec_lo, s3
	v_lshlrev_b32_e32 v67, 2, v65
	s_waitcnt lgkmcnt(0)
	s_barrier
	buffer_gl0_inv
	v_cmp_eq_u32_e32 vcc_lo, 1, v66
	v_add_nc_u32_e32 v81, 0x4000, v67
	v_cmp_eq_u32_e64 s3, 2, v66
	v_cmp_eq_u32_e64 s5, 7, v66
	ds_load_2addr_b32 v[88:89], v81 offset1:17
	ds_load_2addr_b32 v[90:91], v81 offset0:34 offset1:51
	ds_load_2addr_b32 v[92:93], v81 offset0:68 offset1:85
	;; [unrolled: 1-line block ×4, first 2 shown]
	s_waitcnt lgkmcnt(4)
	v_max3_f32 v67, v88, 0xff7fffff, v89
	s_waitcnt lgkmcnt(3)
	s_delay_alu instid0(VALU_DEP_1) | instskip(SKIP_1) | instid1(VALU_DEP_1)
	v_max3_f32 v67, v67, v90, v91
	s_waitcnt lgkmcnt(2)
	v_max3_f32 v67, v67, v92, v93
	s_waitcnt lgkmcnt(1)
	s_delay_alu instid0(VALU_DEP_1) | instskip(NEXT) | instid1(VALU_DEP_1)
	v_max3_f32 v67, v67, v94, v95
	v_sub_f32_e32 v68, v88, v67
	v_sub_f32_e32 v90, v90, v67
	;; [unrolled: 1-line block ×3, first 2 shown]
	s_delay_alu instid0(VALU_DEP_3) | instskip(NEXT) | instid1(VALU_DEP_3)
	v_mul_f32_e32 v68, 0x3fb8aa3b, v68
	v_mul_f32_e32 v100, 0x3fb8aa3b, v90
	s_delay_alu instid0(VALU_DEP_3) | instskip(NEXT) | instid1(VALU_DEP_3)
	v_mul_f32_e32 v102, 0x3fb8aa3b, v92
	v_exp_f32_e32 v99, v68
	v_sub_f32_e32 v68, v91, v67
	v_sub_f32_e32 v98, v89, v67
	v_exp_f32_e32 v100, v100
	s_delay_alu instid0(VALU_DEP_1)
	v_dual_mul_f32 v101, 0x3fb8aa3b, v68 :: v_dual_mul_f32 v98, 0x3fb8aa3b, v98
	s_waitcnt lgkmcnt(0)
	s_waitcnt_depctr 0xfff
	v_fma_f32 v68, v99, v96, 0
	v_sub_f32_e32 v96, v93, v67
	v_exp_f32_e32 v98, v98
	v_exp_f32_e32 v101, v101
	s_waitcnt_depctr 0xfff
	v_fmac_f32_e32 v68, v98, v97
	ds_load_2addr_b32 v[88:89], v81 offset0:170 offset1:187
	ds_load_2addr_b32 v[90:91], v81 offset0:204 offset1:221
	;; [unrolled: 1-line block ×3, first 2 shown]
	v_dual_sub_f32 v81, v94, v67 :: v_dual_mul_f32 v94, 0x3fb8aa3b, v96
	v_exp_f32_e32 v96, v102
	s_waitcnt lgkmcnt(0)
	s_barrier
	s_delay_alu instid0(VALU_DEP_1)
	v_mul_f32_e32 v81, 0x3fb8aa3b, v81
	v_exp_f32_e32 v94, v94
	buffer_gl0_inv
	v_exp_f32_e32 v81, v81
	v_fmac_f32_e32 v68, v100, v88
	v_sub_f32_e32 v88, v95, v67
	s_delay_alu instid0(VALU_DEP_2) | instskip(NEXT) | instid1(VALU_DEP_2)
	v_fmac_f32_e32 v68, v101, v89
	v_mul_f32_e32 v88, 0x3fb8aa3b, v88
	s_delay_alu instid0(VALU_DEP_2) | instskip(NEXT) | instid1(VALU_DEP_2)
	v_fmac_f32_e32 v68, v96, v90
	v_exp_f32_e32 v88, v88
	s_delay_alu instid0(VALU_DEP_1)
	v_fmac_f32_e32 v68, v94, v91
	s_delay_alu instid0(TRANS32_DEP_2) | instid1(VALU_DEP_1)
	v_fmac_f32_e32 v68, v81, v92
	s_waitcnt_depctr 0xfff
	v_fmac_f32_e32 v68, v88, v93
	s_delay_alu instid0(VALU_DEP_1) | instskip(NEXT) | instid1(VALU_DEP_1)
	v_add_f32_e32 v89, 0x358637bd, v68
	v_div_scale_f32 v90, null, v89, v89, 1.0
	v_div_scale_f32 v93, s4, 1.0, v89, 1.0
	s_delay_alu instid0(VALU_DEP_2) | instskip(SKIP_2) | instid1(VALU_DEP_1)
	v_rcp_f32_e32 v91, v90
	s_waitcnt_depctr 0xfff
	v_fma_f32 v92, -v90, v91, 1.0
	v_dual_fmac_f32 v91, v92, v91 :: v_dual_cndmask_b32 v92, v99, v98
	v_cmp_eq_u32_e32 vcc_lo, 3, v66
	s_delay_alu instid0(VALU_DEP_2) | instskip(NEXT) | instid1(VALU_DEP_3)
	v_mul_f32_e32 v95, v93, v91
	v_cndmask_b32_e64 v92, v92, v100, s3
	v_cmp_eq_u32_e64 s3, 4, v66
	s_delay_alu instid0(VALU_DEP_3) | instskip(NEXT) | instid1(VALU_DEP_3)
	v_fma_f32 v97, -v90, v95, v93
	v_cndmask_b32_e32 v92, v92, v101, vcc_lo
	v_cmp_eq_u32_e32 vcc_lo, 5, v66
	s_delay_alu instid0(VALU_DEP_3) | instskip(NEXT) | instid1(VALU_DEP_3)
	v_fmac_f32_e32 v95, v97, v91
	v_cndmask_b32_e64 v92, v92, v96, s3
	v_cmp_eq_u32_e64 s3, 6, v66
	s_delay_alu instid0(VALU_DEP_3) | instskip(NEXT) | instid1(VALU_DEP_3)
	v_fma_f32 v90, -v90, v95, v93
	v_cndmask_b32_e32 v92, v92, v94, vcc_lo
	s_mov_b32 vcc_lo, s4
	s_delay_alu instid0(VALU_DEP_2) | instskip(NEXT) | instid1(VALU_DEP_2)
	v_div_fmas_f32 v90, v90, v91, v95
	v_cndmask_b32_e64 v81, v92, v81, s3
	s_mov_b32 s3, exec_lo
	s_delay_alu instid0(VALU_DEP_2) | instskip(NEXT) | instid1(VALU_DEP_2)
	v_div_fixup_f32 v89, v90, v89, 1.0
	v_cndmask_b32_e64 v81, v81, v88, s5
	s_delay_alu instid0(VALU_DEP_1) | instskip(NEXT) | instid1(VALU_DEP_1)
	v_mul_f32_e32 v81, v81, v89
	v_mul_f32_e32 v83, v81, v83
	;; [unrolled: 1-line block ×7, first 2 shown]
	v_dual_mul_f32 v85, v81, v82 :: v_dual_and_b32 v90, 0x7f800000, v89
	v_mul_f32_e32 v84, v81, v75
                                        ; implicit-def: $vgpr75
	s_delay_alu instid0(VALU_DEP_2)
	v_cmpx_ne_u32_e32 0x7f800000, v90
	s_xor_b32 s3, exec_lo, s3
; %bb.12:
	v_bfe_u32 v75, v89, 16, 1
	s_delay_alu instid0(VALU_DEP_1)
	v_add3_u32 v75, v89, v75, 0x7fff
                                        ; implicit-def: $vgpr89
; %bb.13:
	s_and_not1_saveexec_b32 s3, s3
; %bb.14:
	v_and_b32_e32 v75, 0xffff, v89
	v_or_b32_e32 v82, 0x10000, v89
	s_delay_alu instid0(VALU_DEP_2) | instskip(NEXT) | instid1(VALU_DEP_2)
	v_cmp_eq_u32_e32 vcc_lo, 0, v75
	v_cndmask_b32_e32 v75, v82, v89, vcc_lo
; %bb.15:
	s_or_b32 exec_lo, exec_lo, s3
	v_and_b32_e32 v82, 0x7f800000, v84
	s_delay_alu instid0(VALU_DEP_1) | instskip(SKIP_1) | instid1(SALU_CYCLE_1)
	v_cmp_ne_u32_e32 vcc_lo, 0x7f800000, v82
                                        ; implicit-def: $vgpr82
	s_and_saveexec_b32 s3, vcc_lo
	s_xor_b32 s3, exec_lo, s3
; %bb.16:
	v_bfe_u32 v82, v84, 16, 1
	s_delay_alu instid0(VALU_DEP_1)
	v_add3_u32 v82, v84, v82, 0x7fff
                                        ; implicit-def: $vgpr84
; %bb.17:
	s_and_not1_saveexec_b32 s3, s3
; %bb.18:
	v_and_b32_e32 v82, 0xffff, v84
	v_or_b32_e32 v89, 0x10000, v84
	s_delay_alu instid0(VALU_DEP_2) | instskip(NEXT) | instid1(VALU_DEP_2)
	v_cmp_eq_u32_e32 vcc_lo, 0, v82
	v_cndmask_b32_e32 v82, v89, v84, vcc_lo
; %bb.19:
	s_or_b32 exec_lo, exec_lo, s3
	v_and_b32_e32 v84, 0x7f800000, v85
	s_delay_alu instid0(VALU_DEP_1) | instskip(SKIP_1) | instid1(SALU_CYCLE_1)
	v_cmp_ne_u32_e32 vcc_lo, 0x7f800000, v84
                                        ; implicit-def: $vgpr84
	s_and_saveexec_b32 s3, vcc_lo
	s_xor_b32 s3, exec_lo, s3
; %bb.20:
	v_bfe_u32 v84, v85, 16, 1
	s_delay_alu instid0(VALU_DEP_1)
	v_add3_u32 v84, v85, v84, 0x7fff
                                        ; implicit-def: $vgpr85
; %bb.21:
	s_and_not1_saveexec_b32 s3, s3
; %bb.22:
	v_and_b32_e32 v84, 0xffff, v85
	v_or_b32_e32 v89, 0x10000, v85
	s_delay_alu instid0(VALU_DEP_2) | instskip(NEXT) | instid1(VALU_DEP_2)
	v_cmp_eq_u32_e32 vcc_lo, 0, v84
	v_cndmask_b32_e32 v84, v89, v85, vcc_lo
; %bb.23:
	s_or_b32 exec_lo, exec_lo, s3
	v_and_b32_e32 v85, 0x7f800000, v88
	s_delay_alu instid0(VALU_DEP_1) | instskip(SKIP_1) | instid1(SALU_CYCLE_1)
	v_cmp_ne_u32_e32 vcc_lo, 0x7f800000, v85
                                        ; implicit-def: $vgpr85
	s_and_saveexec_b32 s3, vcc_lo
	s_xor_b32 s3, exec_lo, s3
; %bb.24:
	v_bfe_u32 v85, v88, 16, 1
	s_delay_alu instid0(VALU_DEP_1)
	v_add3_u32 v85, v88, v85, 0x7fff
                                        ; implicit-def: $vgpr88
; %bb.25:
	s_and_not1_saveexec_b32 s3, s3
; %bb.26:
	v_and_b32_e32 v85, 0xffff, v88
	v_or_b32_e32 v89, 0x10000, v88
	s_delay_alu instid0(VALU_DEP_2) | instskip(NEXT) | instid1(VALU_DEP_2)
	v_cmp_eq_u32_e32 vcc_lo, 0, v85
	v_cndmask_b32_e32 v85, v89, v88, vcc_lo
; %bb.27:
	s_or_b32 exec_lo, exec_lo, s3
	v_and_b32_e32 v88, 0x7f800000, v87
	s_delay_alu instid0(VALU_DEP_1) | instskip(SKIP_1) | instid1(SALU_CYCLE_1)
	v_cmp_ne_u32_e32 vcc_lo, 0x7f800000, v88
                                        ; implicit-def: $vgpr88
	s_and_saveexec_b32 s3, vcc_lo
	s_xor_b32 s3, exec_lo, s3
; %bb.28:
	v_bfe_u32 v88, v87, 16, 1
	s_delay_alu instid0(VALU_DEP_1)
	v_add3_u32 v88, v87, v88, 0x7fff
                                        ; implicit-def: $vgpr87
; %bb.29:
	s_and_not1_saveexec_b32 s3, s3
; %bb.30:
	v_and_b32_e32 v88, 0xffff, v87
	v_or_b32_e32 v89, 0x10000, v87
	s_delay_alu instid0(VALU_DEP_2) | instskip(NEXT) | instid1(VALU_DEP_2)
	v_cmp_eq_u32_e32 vcc_lo, 0, v88
	v_cndmask_b32_e32 v88, v89, v87, vcc_lo
; %bb.31:
	s_or_b32 exec_lo, exec_lo, s3
	v_and_b32_e32 v87, 0x7f800000, v86
	s_delay_alu instid0(VALU_DEP_1) | instskip(SKIP_1) | instid1(SALU_CYCLE_1)
	v_cmp_ne_u32_e32 vcc_lo, 0x7f800000, v87
                                        ; implicit-def: $vgpr87
	s_and_saveexec_b32 s3, vcc_lo
	s_xor_b32 s3, exec_lo, s3
; %bb.32:
	v_bfe_u32 v87, v86, 16, 1
	s_delay_alu instid0(VALU_DEP_1)
	v_add3_u32 v87, v86, v87, 0x7fff
                                        ; implicit-def: $vgpr86
; %bb.33:
	s_and_not1_saveexec_b32 s3, s3
; %bb.34:
	v_and_b32_e32 v87, 0xffff, v86
	v_or_b32_e32 v89, 0x10000, v86
	s_delay_alu instid0(VALU_DEP_2) | instskip(NEXT) | instid1(VALU_DEP_2)
	v_cmp_eq_u32_e32 vcc_lo, 0, v87
	v_cndmask_b32_e32 v87, v89, v86, vcc_lo
; %bb.35:
	s_or_b32 exec_lo, exec_lo, s3
	v_and_b32_e32 v86, 0x7f800000, v83
	s_delay_alu instid0(VALU_DEP_1) | instskip(SKIP_1) | instid1(SALU_CYCLE_1)
	v_cmp_ne_u32_e32 vcc_lo, 0x7f800000, v86
                                        ; implicit-def: $vgpr86
	s_and_saveexec_b32 s3, vcc_lo
	s_xor_b32 s3, exec_lo, s3
; %bb.36:
	v_bfe_u32 v86, v83, 16, 1
	s_delay_alu instid0(VALU_DEP_1)
	v_add3_u32 v86, v83, v86, 0x7fff
                                        ; implicit-def: $vgpr83
; %bb.37:
	s_and_not1_saveexec_b32 s3, s3
; %bb.38:
	v_and_b32_e32 v86, 0xffff, v83
	v_or_b32_e32 v89, 0x10000, v83
	s_delay_alu instid0(VALU_DEP_2) | instskip(NEXT) | instid1(VALU_DEP_2)
	v_cmp_eq_u32_e32 vcc_lo, 0, v86
	v_cndmask_b32_e32 v86, v89, v83, vcc_lo
; %bb.39:
	s_or_b32 exec_lo, exec_lo, s3
	v_and_b32_e32 v83, 0x7f800000, v79
	s_delay_alu instid0(VALU_DEP_1) | instskip(SKIP_1) | instid1(SALU_CYCLE_1)
	v_cmp_ne_u32_e32 vcc_lo, 0x7f800000, v83
                                        ; implicit-def: $vgpr83
	s_and_saveexec_b32 s3, vcc_lo
	s_xor_b32 s3, exec_lo, s3
; %bb.40:
	v_bfe_u32 v83, v79, 16, 1
	s_delay_alu instid0(VALU_DEP_1)
	v_add3_u32 v83, v79, v83, 0x7fff
                                        ; implicit-def: $vgpr79
; %bb.41:
	s_and_not1_saveexec_b32 s3, s3
; %bb.42:
	v_and_b32_e32 v83, 0xffff, v79
	v_or_b32_e32 v89, 0x10000, v79
	s_delay_alu instid0(VALU_DEP_2) | instskip(NEXT) | instid1(VALU_DEP_2)
	v_cmp_eq_u32_e32 vcc_lo, 0, v83
	v_cndmask_b32_e32 v83, v89, v79, vcc_lo
; %bb.43:
	s_or_b32 exec_lo, exec_lo, s3
	s_load_b64 s[36:37], s[0:1], 0x94
	v_lshlrev_b32_e32 v90, 4, v74
	s_delay_alu instid0(VALU_DEP_2)
	v_perm_b32 v89, v83, v86, 0x7060302
	v_lshlrev_b32_e32 v79, 6, v65
	v_dual_mul_f32 v76, v81, v76 :: v_dual_lshlrev_b32 v65, 11, v66
	v_perm_b32 v86, v82, v75, 0x7060302
	v_mul_f32_e32 v82, v81, v70
	v_perm_b32 v88, v87, v88, 0x7060302
	v_perm_b32 v87, v85, v84, 0x7060302
	v_or3_b32 v75, v90, v65, v79
	v_mul_f32_e32 v65, v81, v80
	v_mul_f32_e32 v70, v81, v78
	;; [unrolled: 1-line block ×3, first 2 shown]
	v_dual_mul_f32 v80, v81, v72 :: v_dual_and_b32 v83, 0x7f800000, v82
	v_mul_f32_e32 v78, v81, v71
	v_mul_f32_e32 v72, v81, v69
	s_mov_b32 s3, exec_lo
	ds_store_b128 v75, v[86:89]
                                        ; implicit-def: $vgpr69
	v_cmpx_ne_u32_e32 0x7f800000, v83
	s_xor_b32 s3, exec_lo, s3
; %bb.44:
	v_bfe_u32 v69, v82, 16, 1
	s_delay_alu instid0(VALU_DEP_1)
	v_add3_u32 v69, v82, v69, 0x7fff
                                        ; implicit-def: $vgpr82
; %bb.45:
	s_and_not1_saveexec_b32 s3, s3
; %bb.46:
	v_and_b32_e32 v69, 0xffff, v82
	v_or_b32_e32 v71, 0x10000, v82
	s_delay_alu instid0(VALU_DEP_2) | instskip(NEXT) | instid1(VALU_DEP_2)
	v_cmp_eq_u32_e32 vcc_lo, 0, v69
	v_cndmask_b32_e32 v69, v71, v82, vcc_lo
; %bb.47:
	s_or_b32 exec_lo, exec_lo, s3
	v_and_b32_e32 v71, 0x7f800000, v72
	s_delay_alu instid0(VALU_DEP_1) | instskip(SKIP_1) | instid1(SALU_CYCLE_1)
	v_cmp_ne_u32_e32 vcc_lo, 0x7f800000, v71
                                        ; implicit-def: $vgpr71
	s_and_saveexec_b32 s3, vcc_lo
	s_xor_b32 s3, exec_lo, s3
; %bb.48:
	v_bfe_u32 v71, v72, 16, 1
	s_delay_alu instid0(VALU_DEP_1)
	v_add3_u32 v71, v72, v71, 0x7fff
                                        ; implicit-def: $vgpr72
; %bb.49:
	s_and_not1_saveexec_b32 s3, s3
; %bb.50:
	v_and_b32_e32 v71, 0xffff, v72
	v_or_b32_e32 v81, 0x10000, v72
	s_delay_alu instid0(VALU_DEP_2) | instskip(NEXT) | instid1(VALU_DEP_2)
	v_cmp_eq_u32_e32 vcc_lo, 0, v71
	v_cndmask_b32_e32 v71, v81, v72, vcc_lo
; %bb.51:
	s_or_b32 exec_lo, exec_lo, s3
	v_and_b32_e32 v72, 0x7f800000, v78
	s_delay_alu instid0(VALU_DEP_1) | instskip(SKIP_1) | instid1(SALU_CYCLE_1)
	v_cmp_ne_u32_e32 vcc_lo, 0x7f800000, v72
                                        ; implicit-def: $vgpr72
	s_and_saveexec_b32 s3, vcc_lo
	s_xor_b32 s3, exec_lo, s3
; %bb.52:
	v_bfe_u32 v72, v78, 16, 1
	s_delay_alu instid0(VALU_DEP_1)
	v_add3_u32 v72, v78, v72, 0x7fff
                                        ; implicit-def: $vgpr78
; %bb.53:
	s_and_not1_saveexec_b32 s3, s3
; %bb.54:
	v_and_b32_e32 v72, 0xffff, v78
	v_or_b32_e32 v81, 0x10000, v78
	s_delay_alu instid0(VALU_DEP_2) | instskip(NEXT) | instid1(VALU_DEP_2)
	v_cmp_eq_u32_e32 vcc_lo, 0, v72
	v_cndmask_b32_e32 v72, v81, v78, vcc_lo
; %bb.55:
	s_or_b32 exec_lo, exec_lo, s3
	v_and_b32_e32 v78, 0x7f800000, v80
	s_delay_alu instid0(VALU_DEP_1) | instskip(SKIP_1) | instid1(SALU_CYCLE_1)
	v_cmp_ne_u32_e32 vcc_lo, 0x7f800000, v78
                                        ; implicit-def: $vgpr78
	s_and_saveexec_b32 s3, vcc_lo
	s_xor_b32 s3, exec_lo, s3
; %bb.56:
	v_bfe_u32 v78, v80, 16, 1
	s_delay_alu instid0(VALU_DEP_1)
	v_add3_u32 v78, v80, v78, 0x7fff
                                        ; implicit-def: $vgpr80
; %bb.57:
	s_and_not1_saveexec_b32 s3, s3
; %bb.58:
	v_and_b32_e32 v78, 0xffff, v80
	v_or_b32_e32 v81, 0x10000, v80
	s_delay_alu instid0(VALU_DEP_2) | instskip(NEXT) | instid1(VALU_DEP_2)
	v_cmp_eq_u32_e32 vcc_lo, 0, v78
	v_cndmask_b32_e32 v78, v81, v80, vcc_lo
; %bb.59:
	s_or_b32 exec_lo, exec_lo, s3
	v_and_b32_e32 v80, 0x7f800000, v76
	s_delay_alu instid0(VALU_DEP_1) | instskip(SKIP_1) | instid1(SALU_CYCLE_1)
	v_cmp_ne_u32_e32 vcc_lo, 0x7f800000, v80
                                        ; implicit-def: $vgpr80
	s_and_saveexec_b32 s3, vcc_lo
	s_xor_b32 s3, exec_lo, s3
; %bb.60:
	v_bfe_u32 v80, v76, 16, 1
	s_delay_alu instid0(VALU_DEP_1)
	v_add3_u32 v80, v76, v80, 0x7fff
                                        ; implicit-def: $vgpr76
; %bb.61:
	s_and_not1_saveexec_b32 s3, s3
; %bb.62:
	v_and_b32_e32 v80, 0xffff, v76
	v_or_b32_e32 v81, 0x10000, v76
	s_delay_alu instid0(VALU_DEP_2) | instskip(NEXT) | instid1(VALU_DEP_2)
	v_cmp_eq_u32_e32 vcc_lo, 0, v80
	v_cndmask_b32_e32 v80, v81, v76, vcc_lo
; %bb.63:
	s_or_b32 exec_lo, exec_lo, s3
	v_and_b32_e32 v76, 0x7f800000, v77
	s_delay_alu instid0(VALU_DEP_1) | instskip(SKIP_1) | instid1(SALU_CYCLE_1)
	v_cmp_ne_u32_e32 vcc_lo, 0x7f800000, v76
                                        ; implicit-def: $vgpr76
	s_and_saveexec_b32 s3, vcc_lo
	s_xor_b32 s3, exec_lo, s3
; %bb.64:
	v_bfe_u32 v76, v77, 16, 1
	s_delay_alu instid0(VALU_DEP_1)
	v_add3_u32 v76, v77, v76, 0x7fff
                                        ; implicit-def: $vgpr77
; %bb.65:
	s_and_not1_saveexec_b32 s3, s3
; %bb.66:
	v_and_b32_e32 v76, 0xffff, v77
	v_or_b32_e32 v81, 0x10000, v77
	s_delay_alu instid0(VALU_DEP_2) | instskip(NEXT) | instid1(VALU_DEP_2)
	v_cmp_eq_u32_e32 vcc_lo, 0, v76
	v_cndmask_b32_e32 v76, v81, v77, vcc_lo
; %bb.67:
	s_or_b32 exec_lo, exec_lo, s3
	v_and_b32_e32 v77, 0x7f800000, v70
	s_delay_alu instid0(VALU_DEP_1) | instskip(SKIP_1) | instid1(SALU_CYCLE_1)
	v_cmp_ne_u32_e32 vcc_lo, 0x7f800000, v77
                                        ; implicit-def: $vgpr77
	s_and_saveexec_b32 s3, vcc_lo
	s_xor_b32 s3, exec_lo, s3
; %bb.68:
	v_bfe_u32 v77, v70, 16, 1
	s_delay_alu instid0(VALU_DEP_1)
	v_add3_u32 v77, v70, v77, 0x7fff
                                        ; implicit-def: $vgpr70
; %bb.69:
	s_and_not1_saveexec_b32 s3, s3
; %bb.70:
	v_and_b32_e32 v77, 0xffff, v70
	v_or_b32_e32 v81, 0x10000, v70
	s_delay_alu instid0(VALU_DEP_2) | instskip(NEXT) | instid1(VALU_DEP_2)
	v_cmp_eq_u32_e32 vcc_lo, 0, v77
	v_cndmask_b32_e32 v77, v81, v70, vcc_lo
; %bb.71:
	s_or_b32 exec_lo, exec_lo, s3
	v_and_b32_e32 v70, 0x7f800000, v65
	s_delay_alu instid0(VALU_DEP_1) | instskip(SKIP_1) | instid1(SALU_CYCLE_1)
	v_cmp_ne_u32_e32 vcc_lo, 0x7f800000, v70
                                        ; implicit-def: $vgpr70
	s_and_saveexec_b32 s3, vcc_lo
	s_xor_b32 s3, exec_lo, s3
; %bb.72:
	v_bfe_u32 v70, v65, 16, 1
	s_delay_alu instid0(VALU_DEP_1)
	v_add3_u32 v70, v65, v70, 0x7fff
                                        ; implicit-def: $vgpr65
; %bb.73:
	s_and_not1_saveexec_b32 s3, s3
; %bb.74:
	v_and_b32_e32 v70, 0xffff, v65
	v_or_b32_e32 v81, 0x10000, v65
	s_delay_alu instid0(VALU_DEP_2) | instskip(NEXT) | instid1(VALU_DEP_2)
	v_cmp_eq_u32_e32 vcc_lo, 0, v70
	v_cndmask_b32_e32 v70, v81, v65, vcc_lo
; %bb.75:
	s_or_b32 exec_lo, exec_lo, s3
	s_delay_alu instid0(VALU_DEP_1)
	v_perm_b32 v85, v70, v77, 0x7060302
	v_perm_b32 v84, v76, v80, 0x7060302
	;; [unrolled: 1-line block ×4, first 2 shown]
	v_lshl_or_b32 v81, v66, 11, v79
	ds_store_b128 v75, v[82:85] offset:1024
	s_waitcnt lgkmcnt(0)
	s_barrier
	buffer_gl0_inv
	ds_load_b128 v[69:72], v81
	ds_load_b128 v[82:85], v81 offset:16
	s_waitcnt lgkmcnt(1)
	v_lshrrev_b32_e32 v65, 16, v69
	v_lshlrev_b32_e32 v77, 2, v74
	v_lshrrev_b32_e32 v66, 16, v70
	s_waitcnt lgkmcnt(0)
	v_lshrrev_b32_e32 v90, 16, v82
	v_lshrrev_b32_e32 v94, 16, v71
	;; [unrolled: 1-line block ×3, first 2 shown]
	v_cmp_eq_u32_e32 vcc_lo, 1, v77
	v_lshrrev_b32_e32 v95, 16, v72
	v_lshrrev_b32_e32 v97, 16, v84
	;; [unrolled: 1-line block ×3, first 2 shown]
	v_cndmask_b32_e32 v80, v69, v65, vcc_lo
	v_or_b32_e32 v78, 1, v77
	v_cmp_eq_u32_e64 s4, 2, v77
	v_cmp_eq_u32_e64 s7, 3, v77
	;; [unrolled: 1-line block ×3, first 2 shown]
	v_or_b32_e32 v76, 2, v77
	v_cmp_eq_u32_e64 s3, 1, v78
	v_cndmask_b32_e64 v80, v80, v70, s4
	v_cmp_eq_u32_e64 s6, 2, v78
	v_cmp_eq_u32_e64 s8, 3, v78
	;; [unrolled: 1-line block ×3, first 2 shown]
	v_cndmask_b32_e64 v87, v69, v65, s3
	v_cndmask_b32_e64 v80, v80, v66, s7
	;; [unrolled: 1-line block ×3, first 2 shown]
	v_cmp_eq_u32_e64 s11, 4, v78
	v_cmp_eq_u32_e64 s5, 1, v76
	v_cndmask_b32_e64 v87, v87, v70, s6
	v_cndmask_b32_e64 v80, v80, v71, s9
	;; [unrolled: 1-line block ×3, first 2 shown]
	v_cmp_eq_u32_e64 s12, 6, v77
	v_cmp_eq_u32_e64 s13, 5, v78
	v_cndmask_b32_e64 v87, v87, v66, s8
	v_cndmask_b32_e64 v80, v80, v94, s10
	;; [unrolled: 1-line block ×4, first 2 shown]
	v_cmp_eq_u32_e64 s16, 7, v77
	v_cndmask_b32_e64 v87, v87, v71, s11
	v_cndmask_b32_e64 v80, v80, v72, s12
	v_cmp_eq_u32_e64 s17, 6, v78
	v_cmp_eq_u32_e64 s18, 2, v76
	v_cndmask_b32_e64 v88, v88, v84, s11
	v_cndmask_b32_e64 v87, v87, v94, s13
	;; [unrolled: 1-line block ×3, first 2 shown]
	v_cmp_eq_u32_e64 s19, 7, v78
	v_cndmask_b32_e64 v80, v89, v70, s18
	v_cmp_eq_u32_e64 s20, 3, v76
	v_cndmask_b32_e64 v87, v87, v72, s17
	v_cmp_eq_u32_e64 s21, 4, v76
	v_cmp_eq_u32_e64 s23, 5, v76
	;; [unrolled: 1-line block ×4, first 2 shown]
	v_cndmask_b32_e64 v101, v87, v95, s19
	v_cndmask_b32_e64 v87, v88, v97, s13
	;; [unrolled: 1-line block ×3, first 2 shown]
	v_or_b32_e32 v80, 3, v77
	s_delay_alu instid0(VALU_DEP_3) | instskip(NEXT) | instid1(VALU_DEP_3)
	v_cndmask_b32_e64 v102, v87, v85, s17
	v_cndmask_b32_e64 v91, v88, v71, s21
	s_delay_alu instid0(VALU_DEP_3)
	v_cmp_eq_u32_e64 s22, 1, v80
	v_cmp_eq_u32_e64 s24, 2, v80
	;; [unrolled: 1-line block ×5, first 2 shown]
	v_cndmask_b32_e64 v65, v69, v65, s22
	v_cmp_eq_u32_e64 s30, 6, v80
	v_cndmask_b32_e64 v103, v91, v94, s23
	s_delay_alu instid0(VALU_DEP_3) | instskip(NEXT) | instid1(VALU_DEP_1)
	v_cndmask_b32_e64 v65, v65, v70, s24
	v_cndmask_b32_e64 v65, v65, v66, s26
	s_delay_alu instid0(VALU_DEP_3) | instskip(NEXT) | instid1(VALU_DEP_2)
	v_cndmask_b32_e64 v66, v103, v72, s25
	v_cndmask_b32_e64 v65, v65, v71, s27
	s_delay_alu instid0(VALU_DEP_2) | instskip(NEXT) | instid1(VALU_DEP_2)
	v_cndmask_b32_e64 v66, v66, v95, s28
	v_cndmask_b32_e64 v65, v65, v94, s29
	s_delay_alu instid0(VALU_DEP_1) | instskip(SKIP_1) | instid1(VALU_DEP_1)
	v_cndmask_b32_e64 v65, v65, v72, s30
	v_cndmask_b32_e32 v86, v82, v90, vcc_lo
	v_cndmask_b32_e64 v86, v86, v83, s4
	s_delay_alu instid0(VALU_DEP_1) | instskip(NEXT) | instid1(VALU_DEP_1)
	v_cndmask_b32_e64 v86, v86, v96, s7
	v_cndmask_b32_e64 v86, v86, v84, s9
	s_delay_alu instid0(VALU_DEP_1) | instskip(NEXT) | instid1(VALU_DEP_1)
	v_cndmask_b32_e64 v86, v86, v97, s10
	v_cndmask_b32_e64 v86, v86, v85, s12
	s_delay_alu instid0(VALU_DEP_1) | instskip(SKIP_2) | instid1(VALU_DEP_2)
	v_cndmask_b32_e64 v100, v86, v98, s16
	v_cndmask_b32_e64 v86, v82, v90, s5
	;; [unrolled: 1-line block ×4, first 2 shown]
	s_delay_alu instid0(VALU_DEP_2) | instskip(SKIP_1) | instid1(VALU_DEP_3)
	v_cndmask_b32_e64 v70, v82, v83, s24
	v_cndmask_b32_e64 v82, v102, v98, s19
	;; [unrolled: 1-line block ×3, first 2 shown]
	ds_load_b128 v[86:89], v81 offset:1024
	v_cndmask_b32_e64 v70, v70, v96, s26
	v_cndmask_b32_e64 v69, v92, v84, s21
	ds_load_b128 v[90:93], v81 offset:1040
	v_cndmask_b32_e64 v70, v70, v84, s27
	v_cndmask_b32_e64 v69, v69, v97, s23
	s_delay_alu instid0(VALU_DEP_2) | instskip(NEXT) | instid1(VALU_DEP_2)
	v_cndmask_b32_e64 v70, v70, v97, s29
	v_cndmask_b32_e64 v69, v69, v85, s25
	s_delay_alu instid0(VALU_DEP_2) | instskip(NEXT) | instid1(VALU_DEP_2)
	v_cndmask_b32_e64 v70, v70, v85, s30
	v_cndmask_b32_e64 v69, v69, v98, s28
	s_waitcnt lgkmcnt(1)
	v_lshrrev_b32_e32 v83, 16, v86
	v_lshrrev_b32_e32 v94, 16, v87
	;; [unrolled: 1-line block ×3, first 2 shown]
	s_delay_alu instid0(VALU_DEP_3) | instskip(SKIP_3) | instid1(VALU_DEP_3)
	v_cndmask_b32_e32 v71, v86, v83, vcc_lo
	s_waitcnt lgkmcnt(0)
	v_lshrrev_b32_e32 v84, 16, v90
	v_cndmask_b32_e64 v96, v86, v83, s3
	v_cndmask_b32_e64 v71, v71, v87, s4
	s_delay_alu instid0(VALU_DEP_3) | instskip(NEXT) | instid1(VALU_DEP_3)
	v_cndmask_b32_e32 v97, v90, v84, vcc_lo
	v_cndmask_b32_e64 v72, v96, v87, s6
	v_lshrrev_b32_e32 v96, 16, v91
	v_cmp_eq_u32_e32 vcc_lo, 7, v80
	v_cndmask_b32_e64 v71, v71, v94, s7
	v_cndmask_b32_e64 v85, v97, v91, s4
	;; [unrolled: 1-line block ×3, first 2 shown]
	v_lshrrev_b32_e32 v97, 16, v88
	v_cndmask_b32_e32 v65, v65, v95, vcc_lo
	v_cndmask_b32_e64 v71, v71, v88, s9
	v_cndmask_b32_e64 v85, v85, v96, s7
	v_cndmask_b32_e32 v70, v70, v98, vcc_lo
	v_cndmask_b32_e64 v95, v72, v88, s11
	v_lshrrev_b32_e32 v98, 16, v92
	v_cndmask_b32_e64 v71, v71, v97, s10
	v_cndmask_b32_e64 v85, v85, v92, s9
	v_perm_b32 v72, v70, v65, 0x5040100
	v_cndmask_b32_e64 v65, v95, v97, s13
	v_perm_b32 v70, v82, v101, 0x5040100
	v_cndmask_b32_e64 v95, v71, v89, s12
	v_cndmask_b32_e64 v85, v85, v98, s10
	v_perm_b32 v71, v69, v66, 0x5040100
	v_cndmask_b32_e64 v65, v65, v89, s17
	v_lshrrev_b32_e32 v82, 16, v93
	v_cndmask_b32_e64 v66, v95, v102, s16
	v_cndmask_b32_e64 v69, v85, v93, s12
	;; [unrolled: 1-line block ×34, first 2 shown]
	v_cndmask_b32_e32 v83, v83, v102, vcc_lo
	v_cndmask_b32_e32 v85, v86, v82, vcc_lo
	v_cndmask_b32_e64 v86, v87, v82, s28
	v_cndmask_b32_e64 v87, v84, v82, s19
	v_cndmask_b32_e64 v82, v69, v82, s16
	v_perm_b32 v69, v100, v99, 0x5040100
	v_perm_b32 v85, v85, v83, 0x5040100
	;; [unrolled: 1-line block ×5, first 2 shown]
	s_mov_b32 s3, exec_lo
	ds_store_b128 v75, v[69:72]
	ds_store_b128 v75, v[82:85] offset:1024
	v_cmpx_eq_u32_e32 0, v0
	s_cbranch_execz .LBB1806_77
; %bb.76:
	s_load_b128 s[4:7], s[0:1], 0x58
	s_mul_i32 s8, s37, s34
	v_mov_b32_e32 v65, 0
	s_add_i32 s8, s8, s15
	s_delay_alu instid0(SALU_CYCLE_1) | instskip(NEXT) | instid1(SALU_CYCLE_1)
	s_mul_i32 s8, s8, s36
	s_add_i32 s8, s8, s14
	s_delay_alu instid0(SALU_CYCLE_1) | instskip(NEXT) | instid1(SALU_CYCLE_1)
	s_ashr_i32 s9, s8, 31
	s_lshl_b64 s[8:9], s[8:9], 2
	s_waitcnt lgkmcnt(0)
	s_add_u32 s6, s6, s8
	s_addc_u32 s7, s7, s9
	s_add_u32 s4, s4, s8
	s_addc_u32 s5, s5, s9
	s_clause 0x1
	global_store_b32 v65, v67, s[6:7]
	global_store_b32 v65, v68, s[4:5]
.LBB1806_77:
	s_or_b32 exec_lo, exec_lo, s3
	s_waitcnt lgkmcnt(0)
	s_waitcnt_vscnt null, 0x0
	s_barrier
	buffer_gl0_inv
	ds_load_b128 v[82:85], v79
	ds_load_b128 v[86:89], v79 offset:16
	ds_load_b128 v[94:97], v79 offset:2064
	;; [unrolled: 1-line block ×3, first 2 shown]
	v_mov_b32_e32 v65, 0
	ds_load_b128 v[102:105], v79 offset:4112
	ds_load_b128 v[98:101], v79 offset:4096
	;; [unrolled: 1-line block ×4, first 2 shown]
	v_mov_b32_e32 v66, v65
	v_mov_b32_e32 v67, v65
	;; [unrolled: 1-line block ×7, first 2 shown]
	s_waitcnt lgkmcnt(6)
	s_delay_alu instid0(VALU_DEP_1)
	v_wmma_f32_16x16x16_bf16 v[65:72], v[49:56], v[82:89], v[65:72]
	ds_load_b128 v[53:56], v79 offset:8208
	ds_load_b128 v[49:52], v79 offset:8192
	s_waitcnt lgkmcnt(6)
	v_wmma_f32_16x16x16_bf16 v[65:72], v[41:48], v[90:97], v[65:72]
	ds_load_b128 v[45:48], v79 offset:10256
	ds_load_b128 v[41:44], v79 offset:10240
	s_waitcnt lgkmcnt(6)
	;; [unrolled: 4-line block ×4, first 2 shown]
	v_wmma_f32_16x16x16_bf16 v[65:72], v[1:8], v[49:56], v[65:72]
	s_waitcnt lgkmcnt(4)
	s_delay_alu instid0(VALU_DEP_1) | instskip(SKIP_1) | instid1(VALU_DEP_1)
	v_wmma_f32_16x16x16_bf16 v[65:72], v[9:16], v[41:48], v[65:72]
	s_waitcnt lgkmcnt(2)
	v_wmma_f32_16x16x16_bf16 v[65:72], v[17:24], v[33:40], v[65:72]
	s_waitcnt lgkmcnt(0)
	s_delay_alu instid0(VALU_DEP_1) | instskip(NEXT) | instid1(VALU_DEP_1)
	v_wmma_f32_16x16x16_bf16 v[65:72], v[57:64], v[25:32], v[65:72]
	v_and_b32_e32 v1, 0x7f800000, v65
	s_delay_alu instid0(VALU_DEP_1) | instskip(SKIP_1) | instid1(SALU_CYCLE_1)
	v_cmp_ne_u32_e32 vcc_lo, 0x7f800000, v1
                                        ; implicit-def: $vgpr1
	s_and_saveexec_b32 s3, vcc_lo
	s_xor_b32 s3, exec_lo, s3
; %bb.78:
	v_bfe_u32 v1, v65, 16, 1
	s_delay_alu instid0(VALU_DEP_1)
	v_add3_u32 v1, v65, v1, 0x7fff
; %bb.79:
	s_and_not1_saveexec_b32 s3, s3
; %bb.80:
	v_and_b32_e32 v1, 0xffff, v65
	v_or_b32_e32 v2, 0x10000, v65
	s_delay_alu instid0(VALU_DEP_2) | instskip(NEXT) | instid1(VALU_DEP_2)
	v_cmp_eq_u32_e32 vcc_lo, 0, v1
	v_cndmask_b32_e32 v1, v2, v65, vcc_lo
; %bb.81:
	s_or_b32 exec_lo, exec_lo, s3
	v_and_b32_e32 v2, 0x7f800000, v66
	s_delay_alu instid0(VALU_DEP_1) | instskip(SKIP_1) | instid1(SALU_CYCLE_1)
	v_cmp_ne_u32_e32 vcc_lo, 0x7f800000, v2
                                        ; implicit-def: $vgpr2
	s_and_saveexec_b32 s3, vcc_lo
	s_xor_b32 s3, exec_lo, s3
; %bb.82:
	v_bfe_u32 v2, v66, 16, 1
	s_delay_alu instid0(VALU_DEP_1)
	v_add3_u32 v2, v66, v2, 0x7fff
; %bb.83:
	s_and_not1_saveexec_b32 s3, s3
; %bb.84:
	v_and_b32_e32 v2, 0xffff, v66
	v_or_b32_e32 v3, 0x10000, v66
	s_delay_alu instid0(VALU_DEP_2) | instskip(NEXT) | instid1(VALU_DEP_2)
	v_cmp_eq_u32_e32 vcc_lo, 0, v2
	v_cndmask_b32_e32 v2, v3, v66, vcc_lo
; %bb.85:
	s_or_b32 exec_lo, exec_lo, s3
	v_and_b32_e32 v3, 0x7f800000, v67
	s_delay_alu instid0(VALU_DEP_1) | instskip(SKIP_1) | instid1(SALU_CYCLE_1)
	v_cmp_ne_u32_e32 vcc_lo, 0x7f800000, v3
                                        ; implicit-def: $vgpr3
	s_and_saveexec_b32 s3, vcc_lo
	s_xor_b32 s3, exec_lo, s3
; %bb.86:
	v_bfe_u32 v3, v67, 16, 1
	s_delay_alu instid0(VALU_DEP_1)
	v_add3_u32 v3, v67, v3, 0x7fff
; %bb.87:
	s_and_not1_saveexec_b32 s3, s3
; %bb.88:
	v_and_b32_e32 v3, 0xffff, v67
	v_or_b32_e32 v4, 0x10000, v67
	s_delay_alu instid0(VALU_DEP_2) | instskip(NEXT) | instid1(VALU_DEP_2)
	v_cmp_eq_u32_e32 vcc_lo, 0, v3
	v_cndmask_b32_e32 v3, v4, v67, vcc_lo
; %bb.89:
	s_or_b32 exec_lo, exec_lo, s3
	v_and_b32_e32 v4, 0x7f800000, v68
	s_delay_alu instid0(VALU_DEP_1) | instskip(SKIP_1) | instid1(SALU_CYCLE_1)
	v_cmp_ne_u32_e32 vcc_lo, 0x7f800000, v4
                                        ; implicit-def: $vgpr4
	s_and_saveexec_b32 s3, vcc_lo
	s_xor_b32 s3, exec_lo, s3
; %bb.90:
	v_bfe_u32 v4, v68, 16, 1
	s_delay_alu instid0(VALU_DEP_1)
	v_add3_u32 v4, v68, v4, 0x7fff
; %bb.91:
	s_and_not1_saveexec_b32 s3, s3
; %bb.92:
	v_and_b32_e32 v4, 0xffff, v68
	v_or_b32_e32 v5, 0x10000, v68
	s_delay_alu instid0(VALU_DEP_2) | instskip(NEXT) | instid1(VALU_DEP_2)
	v_cmp_eq_u32_e32 vcc_lo, 0, v4
	v_cndmask_b32_e32 v4, v5, v68, vcc_lo
; %bb.93:
	s_or_b32 exec_lo, exec_lo, s3
	v_and_b32_e32 v5, 0x7f800000, v69
	s_delay_alu instid0(VALU_DEP_1) | instskip(SKIP_1) | instid1(SALU_CYCLE_1)
	v_cmp_ne_u32_e32 vcc_lo, 0x7f800000, v5
                                        ; implicit-def: $vgpr5
	s_and_saveexec_b32 s3, vcc_lo
	s_xor_b32 s3, exec_lo, s3
; %bb.94:
	v_bfe_u32 v5, v69, 16, 1
	s_delay_alu instid0(VALU_DEP_1)
	v_add3_u32 v5, v69, v5, 0x7fff
; %bb.95:
	s_and_not1_saveexec_b32 s3, s3
; %bb.96:
	v_and_b32_e32 v5, 0xffff, v69
	v_or_b32_e32 v6, 0x10000, v69
	s_delay_alu instid0(VALU_DEP_2) | instskip(NEXT) | instid1(VALU_DEP_2)
	v_cmp_eq_u32_e32 vcc_lo, 0, v5
	v_cndmask_b32_e32 v5, v6, v69, vcc_lo
; %bb.97:
	s_or_b32 exec_lo, exec_lo, s3
	v_and_b32_e32 v6, 0x7f800000, v70
	s_delay_alu instid0(VALU_DEP_1) | instskip(SKIP_1) | instid1(SALU_CYCLE_1)
	v_cmp_ne_u32_e32 vcc_lo, 0x7f800000, v6
                                        ; implicit-def: $vgpr6
	s_and_saveexec_b32 s3, vcc_lo
	s_xor_b32 s3, exec_lo, s3
; %bb.98:
	v_bfe_u32 v6, v70, 16, 1
	s_delay_alu instid0(VALU_DEP_1)
	v_add3_u32 v6, v70, v6, 0x7fff
; %bb.99:
	s_and_not1_saveexec_b32 s3, s3
; %bb.100:
	v_and_b32_e32 v6, 0xffff, v70
	v_or_b32_e32 v7, 0x10000, v70
	s_delay_alu instid0(VALU_DEP_2) | instskip(NEXT) | instid1(VALU_DEP_2)
	v_cmp_eq_u32_e32 vcc_lo, 0, v6
	v_cndmask_b32_e32 v6, v7, v70, vcc_lo
; %bb.101:
	s_or_b32 exec_lo, exec_lo, s3
	v_and_b32_e32 v7, 0x7f800000, v71
	s_delay_alu instid0(VALU_DEP_1) | instskip(SKIP_1) | instid1(SALU_CYCLE_1)
	v_cmp_ne_u32_e32 vcc_lo, 0x7f800000, v7
                                        ; implicit-def: $vgpr7
	s_and_saveexec_b32 s3, vcc_lo
	s_xor_b32 s3, exec_lo, s3
; %bb.102:
	v_bfe_u32 v7, v71, 16, 1
	s_delay_alu instid0(VALU_DEP_1)
	v_add3_u32 v7, v71, v7, 0x7fff
; %bb.103:
	s_and_not1_saveexec_b32 s3, s3
; %bb.104:
	v_and_b32_e32 v7, 0xffff, v71
	v_or_b32_e32 v8, 0x10000, v71
	s_delay_alu instid0(VALU_DEP_2) | instskip(NEXT) | instid1(VALU_DEP_2)
	v_cmp_eq_u32_e32 vcc_lo, 0, v7
	v_cndmask_b32_e32 v7, v8, v71, vcc_lo
; %bb.105:
	s_or_b32 exec_lo, exec_lo, s3
	v_and_b32_e32 v8, 0x7f800000, v72
	s_delay_alu instid0(VALU_DEP_1) | instskip(SKIP_1) | instid1(SALU_CYCLE_1)
	v_cmp_ne_u32_e32 vcc_lo, 0x7f800000, v8
                                        ; implicit-def: $vgpr8
	s_and_saveexec_b32 s3, vcc_lo
	s_xor_b32 s3, exec_lo, s3
; %bb.106:
	v_bfe_u32 v8, v72, 16, 1
	s_delay_alu instid0(VALU_DEP_1)
	v_add3_u32 v8, v72, v8, 0x7fff
                                        ; implicit-def: $vgpr65_vgpr66_vgpr67_vgpr68_vgpr69_vgpr70_vgpr71_vgpr72
; %bb.107:
	s_and_not1_saveexec_b32 s3, s3
; %bb.108:
	v_and_b32_e32 v8, 0xffff, v72
	v_or_b32_e32 v9, 0x10000, v72
	s_delay_alu instid0(VALU_DEP_2) | instskip(NEXT) | instid1(VALU_DEP_2)
	v_cmp_eq_u32_e32 vcc_lo, 0, v8
	v_cndmask_b32_e32 v8, v9, v72, vcc_lo
; %bb.109:
	s_or_b32 exec_lo, exec_lo, s3
	s_delay_alu instid0(VALU_DEP_1)
	v_perm_b32 v7, v8, v7, 0x7060302
	v_perm_b32 v6, v6, v5, 0x7060302
	;; [unrolled: 1-line block ×4, first 2 shown]
	s_barrier
	buffer_gl0_inv
	v_cmp_eq_u32_e32 vcc_lo, 1, v77
	ds_store_b128 v75, v[4:7]
	s_waitcnt lgkmcnt(0)
	s_barrier
	buffer_gl0_inv
	ds_load_b128 v[1:4], v81
	ds_load_b128 v[5:8], v81 offset:16
	v_cmp_eq_u32_e64 s3, 1, v78
	v_cmp_eq_u32_e64 s4, 2, v77
	;; [unrolled: 1-line block ×5, first 2 shown]
	s_xor_b32 s2, s2, -1
	s_waitcnt lgkmcnt(1)
	v_lshrrev_b32_e32 v9, 16, v1
	s_waitcnt lgkmcnt(0)
	v_lshrrev_b32_e32 v13, 16, v5
	v_lshrrev_b32_e32 v10, 16, v2
	;; [unrolled: 1-line block ×4, first 2 shown]
	v_cndmask_b32_e64 v19, v1, v9, s3
	v_cndmask_b32_e32 v18, v5, v13, vcc_lo
	v_cndmask_b32_e64 v20, v5, v13, s3
	v_cndmask_b32_e32 v17, v1, v9, vcc_lo
	v_cmp_eq_u32_e32 vcc_lo, 2, v78
	v_lshrrev_b32_e32 v15, 16, v7
	v_cmp_eq_u32_e64 s3, 1, v76
	v_lshrrev_b32_e32 v12, 16, v4
	v_lshrrev_b32_e32 v16, 16, v8
	v_cndmask_b32_e32 v20, v20, v6, vcc_lo
	v_cndmask_b32_e64 v17, v17, v2, s4
	v_cndmask_b32_e32 v19, v19, v2, vcc_lo
	v_cndmask_b32_e64 v18, v18, v6, s4
	v_cmp_eq_u32_e32 vcc_lo, 4, v77
	v_cmp_eq_u32_e64 s4, 3, v78
	v_cndmask_b32_e64 v17, v17, v10, s5
	v_cndmask_b32_e64 v21, v1, v9, s3
	;; [unrolled: 1-line block ×5, first 2 shown]
	v_cndmask_b32_e32 v17, v17, v3, vcc_lo
	v_cndmask_b32_e64 v20, v20, v14, s4
	v_cndmask_b32_e32 v18, v18, v7, vcc_lo
	v_cmp_eq_u32_e32 vcc_lo, 4, v78
	v_cmp_eq_u32_e64 s4, 5, v78
	v_cmp_eq_u32_e64 s3, 2, v80
	v_cndmask_b32_e64 v21, v21, v2, s7
	v_cmp_eq_u32_e64 s5, 5, v77
	v_cndmask_b32_e32 v19, v19, v3, vcc_lo
	v_cndmask_b32_e32 v20, v20, v7, vcc_lo
	v_cmp_eq_u32_e32 vcc_lo, 6, v78
	s_delay_alu instid0(VALU_DEP_4) | instskip(NEXT) | instid1(VALU_DEP_4)
	v_cndmask_b32_e64 v17, v17, v11, s5
	v_cndmask_b32_e64 v19, v19, v11, s4
	s_delay_alu instid0(VALU_DEP_4) | instskip(SKIP_1) | instid1(VALU_DEP_3)
	v_cndmask_b32_e64 v20, v20, v15, s4
	v_cmp_eq_u32_e64 s4, 1, v80
	v_cndmask_b32_e32 v19, v19, v4, vcc_lo
	v_cndmask_b32_e64 v18, v18, v15, s5
	s_delay_alu instid0(VALU_DEP_3)
	v_cndmask_b32_e64 v1, v1, v9, s4
	v_cndmask_b32_e64 v5, v5, v13, s4
	v_cmp_eq_u32_e64 s4, 3, v76
	v_cndmask_b32_e64 v13, v22, v6, s7
	v_cmp_eq_u32_e64 s7, 3, v80
	v_cndmask_b32_e64 v1, v1, v2, s3
	v_cndmask_b32_e64 v2, v5, v6, s3
	;; [unrolled: 1-line block ×3, first 2 shown]
	v_cmp_eq_u32_e64 s3, 4, v76
	v_cndmask_b32_e64 v6, v13, v14, s4
	v_cndmask_b32_e64 v1, v1, v10, s7
	v_cmp_eq_u32_e64 s4, 4, v80
	v_cndmask_b32_e64 v2, v2, v14, s7
	v_cndmask_b32_e64 v5, v9, v3, s3
	;; [unrolled: 3-line block ×3, first 2 shown]
	v_cndmask_b32_e64 v2, v2, v7, s4
	v_cmp_eq_u32_e64 s3, 5, v80
	v_cmp_eq_u32_e64 s5, 6, v77
	v_cndmask_b32_e64 v5, v5, v11, s7
	v_cmp_eq_u32_e64 s4, 6, v76
	v_cndmask_b32_e64 v3, v6, v15, s7
	v_cndmask_b32_e64 v1, v1, v11, s3
	v_cmp_eq_u32_e64 s7, 6, v80
	v_cndmask_b32_e64 v2, v2, v15, s3
	v_cndmask_b32_e64 v17, v17, v4, s5
	v_cndmask_b32_e64 v18, v18, v8, s5
	v_cmp_eq_u32_e64 s5, 7, v77
	v_cndmask_b32_e64 v5, v5, v4, s4
	;; [unrolled: 4-line block ×3, first 2 shown]
	v_cmp_eq_u32_e64 s4, 7, v76
	v_cndmask_b32_e32 v4, v20, v8, vcc_lo
	v_cndmask_b32_e64 v17, v17, v12, s5
	v_cndmask_b32_e64 v19, v19, v12, s6
	;; [unrolled: 1-line block ×8, first 2 shown]
	v_cmp_gt_u32_e32 vcc_lo, 32, v0
	v_perm_b32 v4, v2, v1, 0x5040100
	v_perm_b32 v3, v3, v5, 0x5040100
	;; [unrolled: 1-line block ×4, first 2 shown]
	s_and_b32 s2, vcc_lo, s2
	ds_store_b128 v75, v[1:4]
	s_waitcnt lgkmcnt(0)
	s_barrier
	buffer_gl0_inv
	s_and_saveexec_b32 s3, s2
	s_cbranch_execz .LBB1806_2
; %bb.110:
	s_load_b64 s[0:1], s[0:1], 0x68
	v_lshlrev_b32_e32 v1, 10, v0
	v_and_b32_e32 v0, 1, v0
	v_lshlrev_b32_e32 v2, 6, v74
	s_lshl_b32 s4, s36, 7
	s_delay_alu instid0(VALU_DEP_3) | instskip(NEXT) | instid1(VALU_DEP_3)
	v_and_b32_e32 v1, 0x3800, v1
	v_lshlrev_b32_e32 v0, 4, v0
	s_mul_i32 s2, s4, s34
	s_delay_alu instid0(SALU_CYCLE_1) | instskip(NEXT) | instid1(VALU_DEP_1)
	s_mul_i32 s2, s2, s37
	v_or3_b32 v0, v1, v2, v0
	s_ashr_i32 s3, s2, 31
	s_delay_alu instid0(SALU_CYCLE_1)
	s_lshl_b64 s[2:3], s[2:3], 1
	ds_load_b128 v[0:3], v0
	s_waitcnt lgkmcnt(0)
	s_add_u32 s5, s0, s2
	s_addc_u32 s3, s1, s3
	s_lshl_b32 s0, s14, 7
	s_mul_i32 s2, s4, s15
	s_ashr_i32 s1, s0, 31
	s_delay_alu instid0(SALU_CYCLE_1) | instskip(NEXT) | instid1(SALU_CYCLE_1)
	s_lshl_b64 s[0:1], s[0:1], 1
	s_add_u32 s4, s5, s0
	s_addc_u32 s5, s3, s1
	s_ashr_i32 s3, s2, 31
	s_delay_alu instid0(SALU_CYCLE_1) | instskip(NEXT) | instid1(SALU_CYCLE_1)
	s_lshl_b64 s[0:1], s[2:3], 1
	s_add_u32 s0, s4, s0
	s_addc_u32 s1, s5, s1
	global_store_b128 v73, v[0:3], s[0:1]
	s_nop 0
	s_sendmsg sendmsg(MSG_DEALLOC_VGPRS)
	s_endpgm
	.section	.rodata,"a",@progbits
	.p2align	6, 0x0
	.amdhsa_kernel _Z39paged_attention_ll4mi_QKV_mfma16_kernelI14__hip_bfloat16hLN4vllm18Fp8KVCacheDataTypeE1EhLi16ELi128ELi256ELb1ELi1EL8MFMAType0EEvPKT_PKT0_S9_ifPKiSB_SB_iPKfiiiPfSE_PS4_PT2_iSD_SD_
		.amdhsa_group_segment_fixed_size 17472
		.amdhsa_private_segment_fixed_size 0
		.amdhsa_kernarg_size 400
		.amdhsa_user_sgpr_count 13
		.amdhsa_user_sgpr_dispatch_ptr 0
		.amdhsa_user_sgpr_queue_ptr 0
		.amdhsa_user_sgpr_kernarg_segment_ptr 1
		.amdhsa_user_sgpr_dispatch_id 0
		.amdhsa_user_sgpr_private_segment_size 0
		.amdhsa_wavefront_size32 1
		.amdhsa_uses_dynamic_stack 0
		.amdhsa_enable_private_segment 0
		.amdhsa_system_sgpr_workgroup_id_x 1
		.amdhsa_system_sgpr_workgroup_id_y 1
		.amdhsa_system_sgpr_workgroup_id_z 1
		.amdhsa_system_sgpr_workgroup_info 0
		.amdhsa_system_vgpr_workitem_id 0
		.amdhsa_next_free_vgpr 138
		.amdhsa_next_free_sgpr 66
		.amdhsa_reserve_vcc 1
		.amdhsa_float_round_mode_32 0
		.amdhsa_float_round_mode_16_64 0
		.amdhsa_float_denorm_mode_32 3
		.amdhsa_float_denorm_mode_16_64 3
		.amdhsa_dx10_clamp 1
		.amdhsa_ieee_mode 1
		.amdhsa_fp16_overflow 0
		.amdhsa_workgroup_processor_mode 1
		.amdhsa_memory_ordered 1
		.amdhsa_forward_progress 0
		.amdhsa_shared_vgpr_count 0
		.amdhsa_exception_fp_ieee_invalid_op 0
		.amdhsa_exception_fp_denorm_src 0
		.amdhsa_exception_fp_ieee_div_zero 0
		.amdhsa_exception_fp_ieee_overflow 0
		.amdhsa_exception_fp_ieee_underflow 0
		.amdhsa_exception_fp_ieee_inexact 0
		.amdhsa_exception_int_div_zero 0
	.end_amdhsa_kernel
	.section	.text._Z39paged_attention_ll4mi_QKV_mfma16_kernelI14__hip_bfloat16hLN4vllm18Fp8KVCacheDataTypeE1EhLi16ELi128ELi256ELb1ELi1EL8MFMAType0EEvPKT_PKT0_S9_ifPKiSB_SB_iPKfiiiPfSE_PS4_PT2_iSD_SD_,"axG",@progbits,_Z39paged_attention_ll4mi_QKV_mfma16_kernelI14__hip_bfloat16hLN4vllm18Fp8KVCacheDataTypeE1EhLi16ELi128ELi256ELb1ELi1EL8MFMAType0EEvPKT_PKT0_S9_ifPKiSB_SB_iPKfiiiPfSE_PS4_PT2_iSD_SD_,comdat
.Lfunc_end1806:
	.size	_Z39paged_attention_ll4mi_QKV_mfma16_kernelI14__hip_bfloat16hLN4vllm18Fp8KVCacheDataTypeE1EhLi16ELi128ELi256ELb1ELi1EL8MFMAType0EEvPKT_PKT0_S9_ifPKiSB_SB_iPKfiiiPfSE_PS4_PT2_iSD_SD_, .Lfunc_end1806-_Z39paged_attention_ll4mi_QKV_mfma16_kernelI14__hip_bfloat16hLN4vllm18Fp8KVCacheDataTypeE1EhLi16ELi128ELi256ELb1ELi1EL8MFMAType0EEvPKT_PKT0_S9_ifPKiSB_SB_iPKfiiiPfSE_PS4_PT2_iSD_SD_
                                        ; -- End function
	.section	.AMDGPU.csdata,"",@progbits
; Kernel info:
; codeLenInByte = 8640
; NumSgprs: 68
; NumVgprs: 138
; ScratchSize: 0
; MemoryBound: 1
; FloatMode: 240
; IeeeMode: 1
; LDSByteSize: 17472 bytes/workgroup (compile time only)
; SGPRBlocks: 8
; VGPRBlocks: 17
; NumSGPRsForWavesPerEU: 68
; NumVGPRsForWavesPerEU: 138
; Occupancy: 10
; WaveLimiterHint : 1
; COMPUTE_PGM_RSRC2:SCRATCH_EN: 0
; COMPUTE_PGM_RSRC2:USER_SGPR: 13
; COMPUTE_PGM_RSRC2:TRAP_HANDLER: 0
; COMPUTE_PGM_RSRC2:TGID_X_EN: 1
; COMPUTE_PGM_RSRC2:TGID_Y_EN: 1
; COMPUTE_PGM_RSRC2:TGID_Z_EN: 1
; COMPUTE_PGM_RSRC2:TIDIG_COMP_CNT: 0
	.section	.text._Z39paged_attention_ll4mi_QKV_mfma16_kernelI14__hip_bfloat16hLN4vllm18Fp8KVCacheDataTypeE1EhLi16ELi128ELi256ELb1ELi2EL8MFMAType0EEvPKT_PKT0_S9_ifPKiSB_SB_iPKfiiiPfSE_PS4_PT2_iSD_SD_,"axG",@progbits,_Z39paged_attention_ll4mi_QKV_mfma16_kernelI14__hip_bfloat16hLN4vllm18Fp8KVCacheDataTypeE1EhLi16ELi128ELi256ELb1ELi2EL8MFMAType0EEvPKT_PKT0_S9_ifPKiSB_SB_iPKfiiiPfSE_PS4_PT2_iSD_SD_,comdat
	.protected	_Z39paged_attention_ll4mi_QKV_mfma16_kernelI14__hip_bfloat16hLN4vllm18Fp8KVCacheDataTypeE1EhLi16ELi128ELi256ELb1ELi2EL8MFMAType0EEvPKT_PKT0_S9_ifPKiSB_SB_iPKfiiiPfSE_PS4_PT2_iSD_SD_ ; -- Begin function _Z39paged_attention_ll4mi_QKV_mfma16_kernelI14__hip_bfloat16hLN4vllm18Fp8KVCacheDataTypeE1EhLi16ELi128ELi256ELb1ELi2EL8MFMAType0EEvPKT_PKT0_S9_ifPKiSB_SB_iPKfiiiPfSE_PS4_PT2_iSD_SD_
	.globl	_Z39paged_attention_ll4mi_QKV_mfma16_kernelI14__hip_bfloat16hLN4vllm18Fp8KVCacheDataTypeE1EhLi16ELi128ELi256ELb1ELi2EL8MFMAType0EEvPKT_PKT0_S9_ifPKiSB_SB_iPKfiiiPfSE_PS4_PT2_iSD_SD_
	.p2align	8
	.type	_Z39paged_attention_ll4mi_QKV_mfma16_kernelI14__hip_bfloat16hLN4vllm18Fp8KVCacheDataTypeE1EhLi16ELi128ELi256ELb1ELi2EL8MFMAType0EEvPKT_PKT0_S9_ifPKiSB_SB_iPKfiiiPfSE_PS4_PT2_iSD_SD_,@function
_Z39paged_attention_ll4mi_QKV_mfma16_kernelI14__hip_bfloat16hLN4vllm18Fp8KVCacheDataTypeE1EhLi16ELi128ELi256ELb1ELi2EL8MFMAType0EEvPKT_PKT0_S9_ifPKiSB_SB_iPKfiiiPfSE_PS4_PT2_iSD_SD_: ; @_Z39paged_attention_ll4mi_QKV_mfma16_kernelI14__hip_bfloat16hLN4vllm18Fp8KVCacheDataTypeE1EhLi16ELi128ELi256ELb1ELi2EL8MFMAType0EEvPKT_PKT0_S9_ifPKiSB_SB_iPKfiiiPfSE_PS4_PT2_iSD_SD_
; %bb.0:
	s_load_b64 s[2:3], s[0:1], 0x30
	s_mov_b32 s30, s13
	s_waitcnt lgkmcnt(0)
	s_cmp_lg_u64 s[2:3], 0
	s_cselect_b32 s6, -1, 0
	s_ashr_i32 s31, s13, 31
	s_cmp_eq_u64 s[2:3], 0
	s_cbranch_scc1 .LBB1807_3
; %bb.1:
	s_lshl_b64 s[4:5], s[30:31], 2
	s_delay_alu instid0(SALU_CYCLE_1) | instskip(SKIP_4) | instid1(SALU_CYCLE_1)
	s_add_u32 s4, s2, s4
	s_addc_u32 s5, s3, s5
	s_load_b64 s[4:5], s[4:5], 0x0
	s_waitcnt lgkmcnt(0)
	s_sub_i32 s4, s5, s4
	s_cmp_eq_u32 s4, 1
	s_cselect_b32 s4, -1, 0
	s_delay_alu instid0(SALU_CYCLE_1)
	s_and_not1_b32 vcc_lo, exec_lo, s4
	s_cbranch_vccz .LBB1807_4
.LBB1807_2:
	s_endpgm
.LBB1807_3:
.LBB1807_4:
	s_load_b64 s[8:9], s[0:1], 0x28
	s_lshl_b64 s[4:5], s[30:31], 2
	s_waitcnt lgkmcnt(0)
	s_add_u32 s8, s8, s4
	s_addc_u32 s9, s9, s5
	s_lshl_b32 s16, s14, 8
	s_load_b32 s18, s[8:9], 0x0
	s_waitcnt lgkmcnt(0)
	s_cmp_ge_i32 s16, s18
	s_cbranch_scc1 .LBB1807_2
; %bb.5:
	s_clause 0x1
	s_load_b128 s[8:11], s[0:1], 0x8
	s_load_b64 s[12:13], s[0:1], 0x20
	s_and_not1_b32 vcc_lo, exec_lo, s6
	s_cbranch_vccnz .LBB1807_7
; %bb.6:
	s_add_u32 s2, s2, s4
	s_addc_u32 s3, s3, s5
	s_load_b32 s3, s[2:3], 0x0
	s_branch .LBB1807_8
.LBB1807_7:
	s_mov_b32 s3, s30
.LBB1807_8:
	s_load_b128 s[4:7], s[0:1], 0x48
	v_and_b32_e32 v66, 15, v0
	v_bfe_u32 v65, v0, 4, 1
	s_lshl_b32 s31, s15, 1
	v_and_b32_e32 v67, 31, v0
	v_and_b32_e32 v76, 1, v0
	v_lshlrev_b32_e32 v1, 3, v66
	v_cmp_gt_u32_e64 s2, 32, v0
	v_or_b32_e32 v75, s31, v65
	v_lshlrev_b32_e32 v74, 6, v65
	s_delay_alu instid0(VALU_DEP_4)
	v_lshlrev_b32_e32 v73, 1, v1
	s_waitcnt lgkmcnt(0)
	s_and_saveexec_b32 s7, s2
	s_cbranch_execz .LBB1807_10
; %bb.9:
	s_load_b64 s[20:21], s[0:1], 0x0
	v_lshlrev_b32_e32 v1, 7, v75
	s_mul_hi_i32 s23, s3, s4
	s_mul_i32 s22, s3, s4
	v_lshlrev_b32_e32 v5, 10, v66
	s_lshl_b64 s[22:23], s[22:23], 1
	v_ashrrev_i32_e32 v2, 31, v1
	v_lshlrev_b32_e32 v6, 10, v76
	s_delay_alu instid0(VALU_DEP_3) | instskip(NEXT) | instid1(VALU_DEP_3)
	v_and_b32_e32 v5, 0x3800, v5
	v_lshlrev_b64 v[1:2], 1, v[1:2]
	s_delay_alu instid0(VALU_DEP_2) | instskip(SKIP_3) | instid1(VALU_DEP_2)
	v_or3_b32 v5, v5, v6, v74
	s_waitcnt lgkmcnt(0)
	s_add_u32 s3, s20, s22
	s_addc_u32 s4, s21, s23
	v_add_co_u32 v1, vcc_lo, s3, v1
	v_add_co_ci_u32_e32 v2, vcc_lo, s4, v2, vcc_lo
	s_delay_alu instid0(VALU_DEP_2) | instskip(NEXT) | instid1(VALU_DEP_2)
	v_add_co_u32 v1, vcc_lo, v1, v73
	v_add_co_ci_u32_e32 v2, vcc_lo, 0, v2, vcc_lo
	global_load_b128 v[1:4], v[1:2], off
	s_waitcnt vmcnt(0)
	ds_store_b128 v5, v[1:4]
.LBB1807_10:
	s_or_b32 exec_lo, exec_lo, s7
	v_and_b32_e32 v1, 0xef, v0
	s_add_i32 s3, s18, 15
	s_clause 0x1
	s_load_b32 s4, s[0:1], 0x38
	s_load_b32 s19, s[0:1], 0x1c
	s_ashr_i32 s7, s3, 31
	v_add_nc_u32_e32 v1, s16, v1
	s_lshr_b32 s7, s7, 28
	s_waitcnt lgkmcnt(0)
	s_add_i32 s3, s3, s7
	s_barrier
	v_ashrrev_i32_e32 v2, 31, v1
	v_or_b32_e32 v3, 16, v1
	s_ashr_i32 s3, s3, 4
	v_cmp_gt_i32_e32 vcc_lo, s18, v1
	s_add_i32 s3, s3, -1
	v_lshrrev_b32_e32 v2, 28, v2
	buffer_gl0_inv
	s_mul_i32 s15, s15, s6
	v_lshrrev_b32_e32 v68, 5, v0
	v_lshlrev_b32_e32 v33, 4, v66
	v_add_nc_u32_e32 v4, v1, v2
	v_lshlrev_b32_e32 v137, 6, v76
	s_mul_i32 s20, s30, s4
	s_delay_alu instid0(SALU_CYCLE_1) | instskip(NEXT) | instid1(VALU_DEP_2)
	s_ashr_i32 s21, s20, 31
	v_ashrrev_i32_e32 v4, 4, v4
	v_add_nc_u32_e32 v2, v3, v2
	s_lshl_b64 s[20:21], s[20:21], 2
	v_lshl_or_b32 v33, v68, 8, v33
	s_add_u32 s4, s12, s20
	v_cndmask_b32_e32 v1, s3, v4, vcc_lo
	v_ashrrev_i32_e32 v2, 4, v2
	v_cmp_gt_i32_e32 vcc_lo, s18, v3
	s_addc_u32 s7, s13, s21
	s_ashr_i32 s6, s15, 31
	s_add_u32 s17, s8, s15
	s_addc_u32 s28, s9, s6
	v_cndmask_b32_e32 v3, s3, v2, vcc_lo
	v_ashrrev_i32_e32 v2, 31, v1
	s_lshl_b32 s8, s14, 4
	s_delay_alu instid0(SALU_CYCLE_1) | instskip(NEXT) | instid1(VALU_DEP_2)
	s_ashr_i32 s9, s8, 31
	v_ashrrev_i32_e32 v4, 31, v3
	s_delay_alu instid0(VALU_DEP_2) | instskip(SKIP_1) | instid1(SALU_CYCLE_1)
	v_lshlrev_b64 v[1:2], 2, v[1:2]
	s_lshl_b64 s[8:9], s[8:9], 2
	s_add_u32 s8, s4, s8
	s_delay_alu instid0(VALU_DEP_2) | instskip(SKIP_1) | instid1(VALU_DEP_2)
	v_lshlrev_b64 v[3:4], 2, v[3:4]
	s_addc_u32 s9, s7, s9
	v_add_co_u32 v1, vcc_lo, s4, v1
	v_add_co_ci_u32_e32 v2, vcc_lo, s7, v2, vcc_lo
	s_delay_alu instid0(VALU_DEP_3) | instskip(NEXT) | instid1(VALU_DEP_4)
	v_add_co_u32 v3, vcc_lo, s4, v3
	v_add_co_ci_u32_e32 v4, vcc_lo, s7, v4, vcc_lo
	s_clause 0x1
	global_load_b32 v5, v[1:2], off
	global_load_b32 v3, v[3:4], off
	s_or_b32 s12, s16, 32
	v_lshlrev_b32_e32 v1, 4, v0
	s_ashr_i32 s13, s12, 4
	s_cmp_lt_i32 s12, s18
	s_cselect_b32 s12, s13, s3
	s_delay_alu instid0(VALU_DEP_1) | instskip(SKIP_1) | instid1(SALU_CYCLE_1)
	v_and_b32_e32 v1, 0xf0, v1
	s_ashr_i32 s13, s12, 31
	s_lshl_b64 s[12:13], s[12:13], 2
	s_delay_alu instid0(SALU_CYCLE_1)
	s_add_u32 s12, s4, s12
	s_addc_u32 s13, s7, s13
	s_or_b32 s20, s16, 64
	v_add_co_u32 v1, s17, s17, v1
	s_ashr_i32 s21, s20, 4
	s_cmp_lt_i32 s20, s18
	v_add_co_ci_u32_e64 v2, null, s28, 0, s17
	s_cselect_b32 s20, s21, s3
	s_delay_alu instid0(SALU_CYCLE_1) | instskip(NEXT) | instid1(SALU_CYCLE_1)
	s_ashr_i32 s21, s20, 31
	s_lshl_b64 s[20:21], s[20:21], 2
	s_delay_alu instid0(SALU_CYCLE_1) | instskip(SKIP_2) | instid1(SALU_CYCLE_1)
	s_add_u32 s20, s4, s20
	s_addc_u32 s21, s7, s21
	s_or_b32 s22, s16, 0x60
	s_ashr_i32 s23, s22, 4
	s_cmp_lt_i32 s22, s18
	s_cselect_b32 s22, s23, s3
	s_delay_alu instid0(SALU_CYCLE_1) | instskip(NEXT) | instid1(SALU_CYCLE_1)
	s_ashr_i32 s23, s22, 31
	s_lshl_b64 s[22:23], s[22:23], 2
	s_delay_alu instid0(SALU_CYCLE_1) | instskip(SKIP_2) | instid1(SALU_CYCLE_1)
	s_add_u32 s22, s4, s22
	s_addc_u32 s23, s7, s23
	s_or_b32 s24, s16, 0x80
	s_ashr_i32 s25, s24, 4
	s_cmp_lt_i32 s24, s18
	s_cselect_b32 s24, s25, s3
	s_delay_alu instid0(SALU_CYCLE_1) | instskip(NEXT) | instid1(SALU_CYCLE_1)
	s_ashr_i32 s25, s24, 31
	s_lshl_b64 s[24:25], s[24:25], 2
	s_delay_alu instid0(SALU_CYCLE_1) | instskip(SKIP_2) | instid1(SALU_CYCLE_1)
	s_add_u32 s24, s4, s24
	s_addc_u32 s25, s7, s25
	s_or_b32 s26, s16, 0xa0
	s_ashr_i32 s27, s26, 4
	s_cmp_lt_i32 s26, s18
	s_cselect_b32 s26, s27, s3
	s_delay_alu instid0(SALU_CYCLE_1) | instskip(NEXT) | instid1(SALU_CYCLE_1)
	s_ashr_i32 s27, s26, 31
	s_lshl_b64 s[26:27], s[26:27], 2
	s_delay_alu instid0(SALU_CYCLE_1)
	s_add_u32 s26, s4, s26
	s_addc_u32 s27, s7, s27
	s_clause 0x5
	s_load_b32 s17, s[8:9], 0x0
	s_load_b32 s28, s[12:13], 0x0
	;; [unrolled: 1-line block ×6, first 2 shown]
	s_or_b32 s8, s16, 0xc0
	s_mov_b32 s20, 0
	s_ashr_i32 s9, s8, 4
	s_cmp_lt_i32 s8, s18
	s_mov_b32 s27, s20
	s_cselect_b32 s8, s9, s3
	s_mov_b32 s21, s20
	s_ashr_i32 s9, s8, 31
	s_mov_b32 s22, s20
	s_lshl_b64 s[8:9], s[8:9], 2
	s_mov_b32 s23, s20
	s_add_u32 s8, s4, s8
	s_addc_u32 s9, s7, s9
	s_or_b32 s12, s16, 0xe0
	s_mov_b32 s24, s20
	s_ashr_i32 s13, s12, 4
	s_cmp_lt_i32 s12, s18
	s_mov_b32 s25, s20
	s_cselect_b32 s12, s13, s3
	s_mov_b32 s26, s20
	s_ashr_i32 s13, s12, 31
	v_mov_b32_e32 v108, s27
	v_mov_b32_e32 v102, s21
	s_lshl_b64 s[12:13], s[12:13], 2
	v_mov_b32_e32 v107, s26
	s_add_u32 s12, s4, s12
	s_addc_u32 s13, s7, s13
	s_add_u32 s3, s10, s15
	s_addc_u32 s4, s11, s6
	v_add_co_u32 v69, s3, s3, v33
	s_delay_alu instid0(VALU_DEP_1)
	v_add_co_ci_u32_e64 v70, null, s4, 0, s3
	v_dual_mov_b32 v106, s25 :: v_dual_mov_b32 v105, s24
	v_dual_mov_b32 v104, s23 :: v_dual_mov_b32 v103, s22
	v_mov_b32_e32 v101, s20
	s_waitcnt lgkmcnt(0)
	v_mad_i64_i32 v[33:34], null, s17, s5, v[69:70]
	v_mad_i64_i32 v[71:72], null, s29, s5, v[69:70]
	;; [unrolled: 1-line block ×5, first 2 shown]
	s_waitcnt vmcnt(1)
	v_mad_i64_i32 v[25:26], null, v5, s5, v[1:2]
	s_waitcnt vmcnt(0)
	v_mad_i64_i32 v[27:28], null, v3, s5, v[1:2]
	s_clause 0xf
	global_load_b128 v[1:4], v[25:26], off
	global_load_b128 v[5:8], v[25:26], off offset:256
	global_load_b128 v[9:12], v[27:28], off
	global_load_b128 v[13:16], v[27:28], off offset:256
	global_load_b128 v[17:20], v[25:26], off offset:512
	;; [unrolled: 1-line block ×13, first 2 shown]
	ds_load_b128 v[25:28], v137
	ds_load_b128 v[29:32], v137 offset:1024
	ds_load_b128 v[109:112], v137 offset:2048
	ds_load_b128 v[113:116], v137 offset:3072
	ds_load_b128 v[117:120], v137 offset:4096
	ds_load_b128 v[121:124], v137 offset:5120
	s_clause 0x1
	s_load_b32 s3, s[8:9], 0x0
	s_load_b32 s4, s[12:13], 0x0
	s_clause 0x3
	global_load_b128 v[41:44], v[33:34], off
	global_load_b128 v[45:48], v[33:34], off offset:16
	global_load_b128 v[33:36], v[37:38], off
	global_load_b128 v[37:40], v[37:38], off offset:16
	s_waitcnt vmcnt(18) lgkmcnt(0)
	v_wmma_f32_16x16x16_bf16 v[125:132], v[1:8], v[25:32], v[101:108]
	s_waitcnt vmcnt(16)
	v_wmma_f32_16x16x16_bf16 v[101:108], v[9:16], v[25:32], v[101:108]
	v_mad_i64_i32 v[13:14], null, s35, s5, v[69:70]
	s_waitcnt vmcnt(14)
	v_wmma_f32_16x16x16_bf16 v[125:132], v[17:24], v[109:116], v[125:132]
	s_clause 0x1
	global_load_b128 v[25:28], v[71:72], off
	global_load_b128 v[29:32], v[71:72], off offset:16
	s_waitcnt vmcnt(14)
	v_wmma_f32_16x16x16_bf16 v[101:108], v[49:56], v[109:116], v[101:108]
	v_mad_i64_i32 v[49:50], null, s3, s5, v[69:70]
	v_mad_i64_i32 v[53:54], null, s4, s5, v[69:70]
	s_clause 0x5
	global_load_b128 v[17:20], v[133:134], off
	global_load_b128 v[21:24], v[133:134], off offset:16
	global_load_b128 v[1:4], v[135:136], off
	global_load_b128 v[5:8], v[135:136], off offset:16
	global_load_b128 v[9:12], v[13:14], off
	global_load_b128 v[13:16], v[13:14], off offset:16
	s_waitcnt vmcnt(18)
	v_wmma_f32_16x16x16_bf16 v[125:132], v[57:64], v[117:124], v[125:132]
	s_clause 0x3
	global_load_b128 v[57:60], v[49:50], off
	global_load_b128 v[61:64], v[49:50], off offset:16
	global_load_b128 v[49:52], v[53:54], off
	global_load_b128 v[53:56], v[53:54], off offset:16
	v_mbcnt_lo_u32_b32 v70, -1, 0
	s_waitcnt vmcnt(20)
	v_wmma_f32_16x16x16_bf16 v[101:108], v[77:84], v[117:124], v[101:108]
	s_delay_alu instid0(VALU_DEP_2) | instskip(NEXT) | instid1(VALU_DEP_1)
	v_xor_b32_e32 v71, 16, v70
	v_cmp_gt_i32_e32 vcc_lo, 32, v71
	v_cndmask_b32_e32 v70, v70, v71, vcc_lo
	ds_load_b128 v[77:80], v137 offset:6144
	ds_load_b128 v[81:84], v137 offset:7168
	s_waitcnt vmcnt(0) lgkmcnt(0)
	s_barrier
	buffer_gl0_inv
	v_wmma_f32_16x16x16_bf16 v[101:108], v[93:100], v[77:84], v[101:108]
	v_and_b32_e32 v69, 0xe0, v0
	v_wmma_f32_16x16x16_bf16 v[125:132], v[85:92], v[77:84], v[125:132]
	s_delay_alu instid0(VALU_DEP_3) | instskip(NEXT) | instid1(VALU_DEP_3)
	v_mul_f32_e32 v96, s19, v101
	v_dual_mul_f32 v98, s19, v103 :: v_dual_add_nc_u32 v69, s16, v69
	s_delay_alu instid0(VALU_DEP_3) | instskip(SKIP_1) | instid1(VALU_DEP_3)
	v_dual_mul_f32 v80, s19, v126 :: v_dual_mul_f32 v81, s19, v128
	v_mul_f32_e32 v100, s19, v105
	v_or_b32_e32 v69, v69, v65
	v_dual_mul_f32 v82, s19, v127 :: v_dual_mul_f32 v83, s19, v130
	v_dual_mul_f32 v84, s19, v129 :: v_dual_mul_f32 v93, s19, v132
	s_delay_alu instid0(VALU_DEP_3)
	v_or_b32_e32 v71, 2, v69
	v_or_b32_e32 v72, 4, v69
	;; [unrolled: 1-line block ×3, first 2 shown]
	v_cmp_gt_i32_e64 s3, s18, v69
	v_or_b32_e32 v110, 8, v69
	v_cmp_gt_i32_e32 vcc_lo, s18, v71
	v_mul_f32_e32 v71, s19, v125
	v_or_b32_e32 v85, 10, v69
	v_or_b32_e32 v91, 22, v69
	v_cmp_gt_i32_e64 s4, s18, v72
	v_mul_f32_e32 v72, s19, v107
	v_cndmask_b32_e64 v71, 0xff7fffff, v71, s3
	v_cndmask_b32_e32 v80, 0xff7fffff, v80, vcc_lo
	v_cmp_gt_i32_e64 s5, s18, v109
	v_or_b32_e32 v86, 12, v69
	v_or_b32_e32 v87, 14, v69
	v_cndmask_b32_e64 v82, 0xff7fffff, v82, s4
	v_cmp_gt_i32_e64 s6, s18, v110
	v_cndmask_b32_e64 v81, 0xff7fffff, v81, s5
	v_cmp_gt_i32_e64 s7, s18, v85
	v_cmp_gt_i32_e64 s13, s18, v91
	v_lshlrev_b32_e32 v91, 2, v70
	v_max3_f32 v71, v71, 0xff7fffff, v80
	v_or_b32_e32 v88, 16, v69
	v_or_b32_e32 v89, 18, v69
	v_mul_f32_e32 v94, s19, v131
	v_cndmask_b32_e64 v80, 0xff7fffff, v84, s6
	v_cndmask_b32_e64 v83, 0xff7fffff, v83, s7
	v_max3_f32 v71, v71, v82, v81
	v_cmp_gt_i32_e64 s8, s18, v86
	v_cmp_gt_i32_e64 s9, s18, v87
	v_or_b32_e32 v90, 20, v69
	v_mul_f32_e32 v95, s19, v102
	v_max3_f32 v71, v71, v80, v83
	v_cndmask_b32_e64 v81, 0xff7fffff, v94, s8
	v_cndmask_b32_e64 v82, 0xff7fffff, v93, s9
	v_cmp_gt_i32_e64 s10, s18, v88
	v_cmp_gt_i32_e64 s11, s18, v89
	v_or_b32_e32 v92, 24, v69
	v_or_b32_e32 v77, 26, v69
	v_mul_f32_e32 v97, s19, v104
	v_cndmask_b32_e64 v80, 0xff7fffff, v96, s10
	v_cndmask_b32_e64 v83, 0xff7fffff, v95, s11
	v_max3_f32 v71, v71, v81, v82
	v_cmp_gt_i32_e64 s12, s18, v90
	v_or_b32_e32 v78, 28, v69
	v_or_b32_e32 v79, 30, v69
	v_mul_f32_e32 v99, s19, v106
	v_cndmask_b32_e64 v82, 0xff7fffff, v97, s13
	v_cndmask_b32_e64 v81, 0xff7fffff, v98, s12
	v_max3_f32 v71, v71, v80, v83
	v_cmp_gt_i32_e64 s15, s18, v92
	v_cmp_gt_i32_e64 s16, s18, v77
	v_mul_f32_e32 v69, s19, v108
	v_cmp_gt_i32_e64 s17, s18, v78
	v_max3_f32 v71, v71, v81, v82
	v_cndmask_b32_e64 v80, 0xff7fffff, v100, s15
	v_cndmask_b32_e64 v77, 0xff7fffff, v99, s16
	v_cmp_gt_i32_e64 s18, s18, v79
	v_cndmask_b32_e64 v72, 0xff7fffff, v72, s17
	s_delay_alu instid0(VALU_DEP_3) | instskip(NEXT) | instid1(VALU_DEP_3)
	v_max3_f32 v71, v71, v80, v77
	v_cndmask_b32_e64 v69, 0xff7fffff, v69, s18
	s_delay_alu instid0(VALU_DEP_1) | instskip(SKIP_3) | instid1(VALU_DEP_1)
	v_max3_f32 v69, v71, v72, v69
	ds_bpermute_b32 v70, v91, v69
	s_waitcnt lgkmcnt(0)
	v_max_f32_e32 v70, v70, v70
	v_max_f32_e32 v69, v69, v70
	s_delay_alu instid0(VALU_DEP_1)
	v_fma_f32 v70, s19, v125, -v69
	v_fma_f32 v71, s19, v126, -v69
	;; [unrolled: 1-line block ×5, first 2 shown]
	v_mul_f32_e32 v70, 0x3fb8aa3b, v70
	s_delay_alu instid0(VALU_DEP_3) | instskip(NEXT) | instid1(VALU_DEP_3)
	v_dual_mul_f32 v72, 0x3fb8aa3b, v72 :: v_dual_mul_f32 v77, 0x3fb8aa3b, v77
	v_mul_f32_e32 v78, 0x3fb8aa3b, v78
	s_delay_alu instid0(VALU_DEP_3) | instskip(NEXT) | instid1(VALU_DEP_2)
	v_exp_f32_e32 v70, v70
	v_exp_f32_e32 v72, v72
	s_delay_alu instid0(VALU_DEP_2) | instskip(NEXT) | instid1(VALU_DEP_1)
	v_exp_f32_e32 v79, v77
	v_exp_f32_e32 v78, v78
	v_cndmask_b32_e64 v81, 0, v70, s3
	v_fma_f32 v70, s19, v130, -v69
	v_mul_f32_e32 v71, 0x3fb8aa3b, v71
	s_delay_alu instid0(TRANS32_DEP_3)
	v_cndmask_b32_e64 v85, 0, v72, s4
	s_waitcnt_depctr 0xfff
	v_cndmask_b32_e64 v87, 0, v79, s5
	v_cndmask_b32_e64 v88, 0, v78, s6
	v_mul_f32_e32 v70, 0x3fb8aa3b, v70
	v_exp_f32_e32 v71, v71
	s_mov_b32 s3, exec_lo
	s_delay_alu instid0(VALU_DEP_1) | instskip(SKIP_4) | instid1(VALU_DEP_2)
	v_exp_f32_e32 v70, v70
	s_waitcnt_depctr 0xfff
	v_cndmask_b32_e32 v77, 0, v71, vcc_lo
	v_add_f32_e32 v71, 0, v81
	v_cndmask_b32_e64 v89, 0, v70, s7
	v_add_f32_e32 v71, v71, v77
	s_delay_alu instid0(VALU_DEP_1) | instskip(NEXT) | instid1(VALU_DEP_1)
	v_add_f32_e32 v71, v71, v85
	v_add_f32_e32 v71, v71, v87
	s_delay_alu instid0(VALU_DEP_1) | instskip(NEXT) | instid1(VALU_DEP_1)
	v_add_f32_e32 v70, v71, v88
	v_add_f32_e32 v70, v70, v89
	v_fma_f32 v80, s19, v131, -v69
	v_fma_f32 v72, s19, v132, -v69
	;; [unrolled: 1-line block ×5, first 2 shown]
	v_mul_f32_e32 v80, 0x3fb8aa3b, v80
	s_delay_alu instid0(VALU_DEP_4) | instskip(NEXT) | instid1(VALU_DEP_3)
	v_dual_mul_f32 v72, 0x3fb8aa3b, v72 :: v_dual_mul_f32 v79, 0x3fb8aa3b, v79
	v_dual_mul_f32 v78, 0x3fb8aa3b, v78 :: v_dual_mul_f32 v71, 0x3fb8aa3b, v71
	s_delay_alu instid0(VALU_DEP_3) | instskip(NEXT) | instid1(VALU_DEP_2)
	v_exp_f32_e32 v80, v80
	v_exp_f32_e32 v72, v72
	s_delay_alu instid0(VALU_DEP_2) | instskip(NEXT) | instid1(VALU_DEP_1)
	v_exp_f32_e32 v79, v79
	v_exp_f32_e32 v78, v78
	;; [unrolled: 1-line block ×3, first 2 shown]
	v_fma_f32 v83, s19, v106, -v69
	v_cndmask_b32_e64 v86, 0, v80, s8
	v_fma_f32 v80, s19, v104, -v69
	v_cndmask_b32_e64 v90, 0, v72, s9
	v_fma_f32 v72, s19, v105, -v69
	s_delay_alu instid0(TRANS32_DEP_3) | instskip(SKIP_2) | instid1(VALU_DEP_2)
	v_cndmask_b32_e64 v71, 0, v79, s10
	v_add_f32_e32 v70, v70, v86
	v_dual_mul_f32 v80, 0x3fb8aa3b, v80 :: v_dual_mul_f32 v83, 0x3fb8aa3b, v83
	v_dual_mul_f32 v72, 0x3fb8aa3b, v72 :: v_dual_add_f32 v79, v70, v90
	s_delay_alu instid0(VALU_DEP_2) | instskip(SKIP_1) | instid1(VALU_DEP_2)
	v_exp_f32_e32 v80, v80
	v_cndmask_b32_e64 v70, 0, v78, s11
	v_exp_f32_e32 v84, v72
	v_cndmask_b32_e64 v72, 0, v82, s12
	v_add_f32_e32 v78, v79, v71
	v_fma_f32 v79, s19, v107, -v69
	v_exp_f32_e32 v83, v83
	s_delay_alu instid0(VALU_DEP_1) | instskip(NEXT) | instid1(TRANS32_DEP_3)
	v_dual_add_f32 v82, v78, v70 :: v_dual_mul_f32 v79, 0x3fb8aa3b, v79
	v_cndmask_b32_e64 v78, 0, v80, s13
	s_delay_alu instid0(VALU_DEP_2) | instskip(SKIP_1) | instid1(VALU_DEP_4)
	v_add_f32_e32 v80, v82, v72
	v_fma_f32 v82, s19, v108, -v69
	v_exp_f32_e32 v92, v79
	v_cndmask_b32_e64 v79, 0, v84, s15
	s_delay_alu instid0(VALU_DEP_3) | instskip(NEXT) | instid1(VALU_DEP_3)
	v_add_f32_e32 v84, v80, v78
	v_mul_f32_e32 v82, 0x3fb8aa3b, v82
	s_delay_alu instid0(TRANS32_DEP_2) | instskip(NEXT) | instid1(VALU_DEP_3)
	v_cndmask_b32_e64 v80, 0, v83, s16
	v_add_f32_e32 v83, v84, v79
	s_delay_alu instid0(VALU_DEP_3) | instskip(NEXT) | instid1(TRANS32_DEP_2)
	v_exp_f32_e32 v84, v82
	v_cndmask_b32_e64 v82, 0, v92, s17
	s_delay_alu instid0(VALU_DEP_2) | instskip(NEXT) | instid1(VALU_DEP_1)
	v_add_f32_e32 v83, v83, v80
	v_add_f32_e32 v92, v83, v82
	s_waitcnt_depctr 0xfff
	v_cndmask_b32_e64 v83, 0, v84, s18
	s_delay_alu instid0(VALU_DEP_1)
	v_add_f32_e32 v84, v92, v83
	ds_bpermute_b32 v91, v91, v84
	v_cmpx_gt_u32_e32 16, v67
	s_cbranch_execz .LBB1807_12
; %bb.11:
	v_mul_u32_u24_e32 v67, 0x44, v68
	s_waitcnt lgkmcnt(0)
	v_add_f32_e32 v84, v84, v91
	s_delay_alu instid0(VALU_DEP_2) | instskip(NEXT) | instid1(VALU_DEP_1)
	v_lshl_add_u32 v67, v66, 2, v67
	v_add_nc_u32_e32 v67, 0x4000, v67
	ds_store_2addr_b32 v67, v69, v84 offset1:136
.LBB1807_12:
	s_or_b32 exec_lo, exec_lo, s3
	v_lshlrev_b32_e32 v67, 2, v66
	s_waitcnt lgkmcnt(0)
	s_barrier
	buffer_gl0_inv
	v_cmp_eq_u32_e32 vcc_lo, 1, v68
	v_add_nc_u32_e32 v84, 0x4000, v67
	v_cmp_eq_u32_e64 s3, 2, v68
	v_cmp_eq_u32_e64 s5, 7, v68
	ds_load_2addr_b32 v[91:92], v84 offset1:17
	ds_load_2addr_b32 v[93:94], v84 offset0:34 offset1:51
	ds_load_2addr_b32 v[95:96], v84 offset0:68 offset1:85
	;; [unrolled: 1-line block ×4, first 2 shown]
	s_waitcnt lgkmcnt(4)
	v_max3_f32 v67, v91, 0xff7fffff, v92
	s_waitcnt lgkmcnt(3)
	s_delay_alu instid0(VALU_DEP_1) | instskip(SKIP_1) | instid1(VALU_DEP_1)
	v_max3_f32 v67, v67, v93, v94
	s_waitcnt lgkmcnt(2)
	v_max3_f32 v67, v67, v95, v96
	s_waitcnt lgkmcnt(1)
	s_delay_alu instid0(VALU_DEP_1) | instskip(NEXT) | instid1(VALU_DEP_1)
	v_max3_f32 v67, v67, v97, v98
	v_sub_f32_e32 v69, v91, v67
	v_sub_f32_e32 v101, v92, v67
	;; [unrolled: 1-line block ×4, first 2 shown]
	s_delay_alu instid0(VALU_DEP_4) | instskip(NEXT) | instid1(VALU_DEP_4)
	v_mul_f32_e32 v69, 0x3fb8aa3b, v69
	v_mul_f32_e32 v101, 0x3fb8aa3b, v101
	s_delay_alu instid0(VALU_DEP_4) | instskip(NEXT) | instid1(VALU_DEP_4)
	v_mul_f32_e32 v103, 0x3fb8aa3b, v93
	v_mul_f32_e32 v105, 0x3fb8aa3b, v95
	s_delay_alu instid0(VALU_DEP_4) | instskip(SKIP_3) | instid1(VALU_DEP_1)
	v_exp_f32_e32 v102, v69
	v_sub_f32_e32 v69, v94, v67
	v_exp_f32_e32 v101, v101
	v_exp_f32_e32 v103, v103
	v_mul_f32_e32 v104, 0x3fb8aa3b, v69
	s_waitcnt lgkmcnt(0)
	s_delay_alu instid0(TRANS32_DEP_3) | instskip(SKIP_1) | instid1(VALU_DEP_3)
	v_fma_f32 v69, v102, v99, 0
	v_sub_f32_e32 v99, v96, v67
	v_exp_f32_e32 v104, v104
	s_delay_alu instid0(TRANS32_DEP_3) | instid1(VALU_DEP_2)
	v_fmac_f32_e32 v69, v101, v100
	ds_load_2addr_b32 v[91:92], v84 offset0:170 offset1:187
	ds_load_2addr_b32 v[93:94], v84 offset0:204 offset1:221
	;; [unrolled: 1-line block ×3, first 2 shown]
	v_sub_f32_e32 v84, v97, v67
	v_mul_f32_e32 v97, 0x3fb8aa3b, v99
	v_exp_f32_e32 v99, v105
	s_waitcnt lgkmcnt(0)
	s_barrier
	v_mul_f32_e32 v84, 0x3fb8aa3b, v84
	v_exp_f32_e32 v97, v97
	buffer_gl0_inv
	v_exp_f32_e32 v84, v84
	v_fmac_f32_e32 v69, v103, v91
	v_sub_f32_e32 v91, v98, v67
	s_delay_alu instid0(VALU_DEP_2) | instskip(NEXT) | instid1(VALU_DEP_2)
	v_fmac_f32_e32 v69, v104, v92
	v_mul_f32_e32 v91, 0x3fb8aa3b, v91
	s_delay_alu instid0(VALU_DEP_2) | instskip(NEXT) | instid1(VALU_DEP_2)
	v_fmac_f32_e32 v69, v99, v93
	v_exp_f32_e32 v91, v91
	s_delay_alu instid0(VALU_DEP_1)
	v_fmac_f32_e32 v69, v97, v94
	s_delay_alu instid0(TRANS32_DEP_2) | instid1(VALU_DEP_1)
	v_fmac_f32_e32 v69, v84, v95
	s_waitcnt_depctr 0xfff
	v_fmac_f32_e32 v69, v91, v96
	s_delay_alu instid0(VALU_DEP_1) | instskip(NEXT) | instid1(VALU_DEP_1)
	v_add_f32_e32 v92, 0x358637bd, v69
	v_div_scale_f32 v93, null, v92, v92, 1.0
	v_div_scale_f32 v96, s4, 1.0, v92, 1.0
	s_delay_alu instid0(VALU_DEP_2) | instskip(SKIP_2) | instid1(VALU_DEP_1)
	v_rcp_f32_e32 v94, v93
	s_waitcnt_depctr 0xfff
	v_fma_f32 v95, -v93, v94, 1.0
	v_dual_fmac_f32 v94, v95, v94 :: v_dual_cndmask_b32 v95, v102, v101
	v_cmp_eq_u32_e32 vcc_lo, 3, v68
	s_delay_alu instid0(VALU_DEP_2) | instskip(NEXT) | instid1(VALU_DEP_3)
	v_mul_f32_e32 v98, v96, v94
	v_cndmask_b32_e64 v95, v95, v103, s3
	v_cmp_eq_u32_e64 s3, 4, v68
	s_delay_alu instid0(VALU_DEP_3) | instskip(NEXT) | instid1(VALU_DEP_3)
	v_fma_f32 v100, -v93, v98, v96
	v_cndmask_b32_e32 v95, v95, v104, vcc_lo
	v_cmp_eq_u32_e32 vcc_lo, 5, v68
	s_delay_alu instid0(VALU_DEP_3) | instskip(NEXT) | instid1(VALU_DEP_3)
	v_fmac_f32_e32 v98, v100, v94
	v_cndmask_b32_e64 v95, v95, v99, s3
	v_cmp_eq_u32_e64 s3, 6, v68
	s_delay_alu instid0(VALU_DEP_3) | instskip(NEXT) | instid1(VALU_DEP_3)
	v_fma_f32 v93, -v93, v98, v96
	v_cndmask_b32_e32 v95, v95, v97, vcc_lo
	s_mov_b32 vcc_lo, s4
	s_delay_alu instid0(VALU_DEP_2) | instskip(NEXT) | instid1(VALU_DEP_2)
	v_div_fmas_f32 v93, v93, v94, v98
	v_cndmask_b32_e64 v84, v95, v84, s3
	s_mov_b32 s3, exec_lo
	s_delay_alu instid0(VALU_DEP_2) | instskip(NEXT) | instid1(VALU_DEP_2)
	v_div_fixup_f32 v92, v93, v92, 1.0
	v_cndmask_b32_e64 v84, v84, v91, s5
	s_delay_alu instid0(VALU_DEP_1) | instskip(NEXT) | instid1(VALU_DEP_1)
	v_mul_f32_e32 v84, v84, v92
	v_mul_f32_e32 v92, v84, v81
	;; [unrolled: 1-line block ×6, first 2 shown]
	v_dual_mul_f32 v88, v84, v85 :: v_dual_and_b32 v93, 0x7f800000, v92
	v_mul_f32_e32 v91, v84, v87
	v_mul_f32_e32 v87, v84, v77
                                        ; implicit-def: $vgpr77
	s_delay_alu instid0(VALU_DEP_3)
	v_cmpx_ne_u32_e32 0x7f800000, v93
	s_xor_b32 s3, exec_lo, s3
; %bb.13:
	v_bfe_u32 v77, v92, 16, 1
	s_delay_alu instid0(VALU_DEP_1)
	v_add3_u32 v77, v92, v77, 0x7fff
                                        ; implicit-def: $vgpr92
; %bb.14:
	s_and_not1_saveexec_b32 s3, s3
; %bb.15:
	v_and_b32_e32 v77, 0xffff, v92
	v_or_b32_e32 v85, 0x10000, v92
	s_delay_alu instid0(VALU_DEP_2) | instskip(NEXT) | instid1(VALU_DEP_2)
	v_cmp_eq_u32_e32 vcc_lo, 0, v77
	v_cndmask_b32_e32 v77, v85, v92, vcc_lo
; %bb.16:
	s_or_b32 exec_lo, exec_lo, s3
	v_and_b32_e32 v85, 0x7f800000, v87
	s_delay_alu instid0(VALU_DEP_1) | instskip(SKIP_1) | instid1(SALU_CYCLE_1)
	v_cmp_ne_u32_e32 vcc_lo, 0x7f800000, v85
                                        ; implicit-def: $vgpr85
	s_and_saveexec_b32 s3, vcc_lo
	s_xor_b32 s3, exec_lo, s3
; %bb.17:
	v_bfe_u32 v85, v87, 16, 1
	s_delay_alu instid0(VALU_DEP_1)
	v_add3_u32 v85, v87, v85, 0x7fff
                                        ; implicit-def: $vgpr87
; %bb.18:
	s_and_not1_saveexec_b32 s3, s3
; %bb.19:
	v_and_b32_e32 v85, 0xffff, v87
	v_or_b32_e32 v92, 0x10000, v87
	s_delay_alu instid0(VALU_DEP_2) | instskip(NEXT) | instid1(VALU_DEP_2)
	v_cmp_eq_u32_e32 vcc_lo, 0, v85
	v_cndmask_b32_e32 v85, v92, v87, vcc_lo
; %bb.20:
	s_or_b32 exec_lo, exec_lo, s3
	v_and_b32_e32 v87, 0x7f800000, v88
	s_delay_alu instid0(VALU_DEP_1) | instskip(SKIP_1) | instid1(SALU_CYCLE_1)
	v_cmp_ne_u32_e32 vcc_lo, 0x7f800000, v87
                                        ; implicit-def: $vgpr87
	s_and_saveexec_b32 s3, vcc_lo
	s_xor_b32 s3, exec_lo, s3
; %bb.21:
	v_bfe_u32 v87, v88, 16, 1
	s_delay_alu instid0(VALU_DEP_1)
	v_add3_u32 v87, v88, v87, 0x7fff
                                        ; implicit-def: $vgpr88
; %bb.22:
	s_and_not1_saveexec_b32 s3, s3
; %bb.23:
	v_and_b32_e32 v87, 0xffff, v88
	v_or_b32_e32 v92, 0x10000, v88
	s_delay_alu instid0(VALU_DEP_2) | instskip(NEXT) | instid1(VALU_DEP_2)
	v_cmp_eq_u32_e32 vcc_lo, 0, v87
	v_cndmask_b32_e32 v87, v92, v88, vcc_lo
; %bb.24:
	s_or_b32 exec_lo, exec_lo, s3
	v_and_b32_e32 v88, 0x7f800000, v91
	s_delay_alu instid0(VALU_DEP_1) | instskip(SKIP_1) | instid1(SALU_CYCLE_1)
	v_cmp_ne_u32_e32 vcc_lo, 0x7f800000, v88
                                        ; implicit-def: $vgpr88
	s_and_saveexec_b32 s3, vcc_lo
	s_xor_b32 s3, exec_lo, s3
; %bb.25:
	v_bfe_u32 v88, v91, 16, 1
	s_delay_alu instid0(VALU_DEP_1)
	v_add3_u32 v88, v91, v88, 0x7fff
                                        ; implicit-def: $vgpr91
; %bb.26:
	s_and_not1_saveexec_b32 s3, s3
; %bb.27:
	v_and_b32_e32 v88, 0xffff, v91
	v_or_b32_e32 v92, 0x10000, v91
	s_delay_alu instid0(VALU_DEP_2) | instskip(NEXT) | instid1(VALU_DEP_2)
	v_cmp_eq_u32_e32 vcc_lo, 0, v88
	v_cndmask_b32_e32 v88, v92, v91, vcc_lo
; %bb.28:
	s_or_b32 exec_lo, exec_lo, s3
	v_and_b32_e32 v91, 0x7f800000, v90
	s_delay_alu instid0(VALU_DEP_1) | instskip(SKIP_1) | instid1(SALU_CYCLE_1)
	v_cmp_ne_u32_e32 vcc_lo, 0x7f800000, v91
                                        ; implicit-def: $vgpr91
	s_and_saveexec_b32 s3, vcc_lo
	s_xor_b32 s3, exec_lo, s3
; %bb.29:
	v_bfe_u32 v91, v90, 16, 1
	s_delay_alu instid0(VALU_DEP_1)
	v_add3_u32 v91, v90, v91, 0x7fff
                                        ; implicit-def: $vgpr90
; %bb.30:
	s_and_not1_saveexec_b32 s3, s3
; %bb.31:
	v_and_b32_e32 v91, 0xffff, v90
	v_or_b32_e32 v92, 0x10000, v90
	s_delay_alu instid0(VALU_DEP_2) | instskip(NEXT) | instid1(VALU_DEP_2)
	v_cmp_eq_u32_e32 vcc_lo, 0, v91
	v_cndmask_b32_e32 v91, v92, v90, vcc_lo
; %bb.32:
	s_or_b32 exec_lo, exec_lo, s3
	v_and_b32_e32 v90, 0x7f800000, v89
	s_delay_alu instid0(VALU_DEP_1) | instskip(SKIP_1) | instid1(SALU_CYCLE_1)
	v_cmp_ne_u32_e32 vcc_lo, 0x7f800000, v90
                                        ; implicit-def: $vgpr90
	s_and_saveexec_b32 s3, vcc_lo
	s_xor_b32 s3, exec_lo, s3
; %bb.33:
	v_bfe_u32 v90, v89, 16, 1
	s_delay_alu instid0(VALU_DEP_1)
	v_add3_u32 v90, v89, v90, 0x7fff
                                        ; implicit-def: $vgpr89
; %bb.34:
	s_and_not1_saveexec_b32 s3, s3
; %bb.35:
	v_and_b32_e32 v90, 0xffff, v89
	v_or_b32_e32 v92, 0x10000, v89
	s_delay_alu instid0(VALU_DEP_2) | instskip(NEXT) | instid1(VALU_DEP_2)
	v_cmp_eq_u32_e32 vcc_lo, 0, v90
	v_cndmask_b32_e32 v90, v92, v89, vcc_lo
; %bb.36:
	s_or_b32 exec_lo, exec_lo, s3
	v_and_b32_e32 v89, 0x7f800000, v86
	s_delay_alu instid0(VALU_DEP_1) | instskip(SKIP_1) | instid1(SALU_CYCLE_1)
	v_cmp_ne_u32_e32 vcc_lo, 0x7f800000, v89
                                        ; implicit-def: $vgpr89
	s_and_saveexec_b32 s3, vcc_lo
	s_xor_b32 s3, exec_lo, s3
; %bb.37:
	v_bfe_u32 v89, v86, 16, 1
	s_delay_alu instid0(VALU_DEP_1)
	v_add3_u32 v89, v86, v89, 0x7fff
                                        ; implicit-def: $vgpr86
; %bb.38:
	s_and_not1_saveexec_b32 s3, s3
; %bb.39:
	v_and_b32_e32 v89, 0xffff, v86
	v_or_b32_e32 v92, 0x10000, v86
	s_delay_alu instid0(VALU_DEP_2) | instskip(NEXT) | instid1(VALU_DEP_2)
	v_cmp_eq_u32_e32 vcc_lo, 0, v89
	v_cndmask_b32_e32 v89, v92, v86, vcc_lo
; %bb.40:
	s_or_b32 exec_lo, exec_lo, s3
	v_and_b32_e32 v86, 0x7f800000, v81
	s_delay_alu instid0(VALU_DEP_1) | instskip(SKIP_1) | instid1(SALU_CYCLE_1)
	v_cmp_ne_u32_e32 vcc_lo, 0x7f800000, v86
                                        ; implicit-def: $vgpr86
	s_and_saveexec_b32 s3, vcc_lo
	s_xor_b32 s3, exec_lo, s3
; %bb.41:
	v_bfe_u32 v86, v81, 16, 1
	s_delay_alu instid0(VALU_DEP_1)
	v_add3_u32 v86, v81, v86, 0x7fff
                                        ; implicit-def: $vgpr81
; %bb.42:
	s_and_not1_saveexec_b32 s3, s3
; %bb.43:
	v_and_b32_e32 v86, 0xffff, v81
	v_or_b32_e32 v92, 0x10000, v81
	s_delay_alu instid0(VALU_DEP_2) | instskip(NEXT) | instid1(VALU_DEP_2)
	v_cmp_eq_u32_e32 vcc_lo, 0, v86
	v_cndmask_b32_e32 v86, v92, v81, vcc_lo
; %bb.44:
	s_or_b32 exec_lo, exec_lo, s3
	s_load_b64 s[34:35], s[0:1], 0x94
	v_lshlrev_b32_e32 v93, 4, v65
	s_delay_alu instid0(VALU_DEP_2)
	v_perm_b32 v92, v86, v89, 0x7060302
	v_dual_mul_f32 v80, v84, v80 :: v_dual_lshlrev_b32 v81, 6, v66
	v_lshlrev_b32_e32 v66, 11, v68
	v_perm_b32 v89, v85, v77, 0x7060302
	v_mul_f32_e32 v85, v84, v71
	v_perm_b32 v91, v90, v91, 0x7060302
	v_perm_b32 v90, v88, v87, 0x7060302
	v_or3_b32 v77, v93, v66, v81
	v_mul_f32_e32 v66, v84, v83
	v_dual_mul_f32 v71, v84, v82 :: v_dual_and_b32 v86, 0x7f800000, v85
	v_mul_f32_e32 v79, v84, v79
	v_mul_f32_e32 v83, v84, v78
	;; [unrolled: 1-line block ×4, first 2 shown]
	s_mov_b32 s3, exec_lo
	ds_store_b128 v77, v[89:92]
                                        ; implicit-def: $vgpr70
	v_cmpx_ne_u32_e32 0x7f800000, v86
	s_xor_b32 s3, exec_lo, s3
; %bb.45:
	v_bfe_u32 v70, v85, 16, 1
	s_delay_alu instid0(VALU_DEP_1)
	v_add3_u32 v70, v85, v70, 0x7fff
                                        ; implicit-def: $vgpr85
; %bb.46:
	s_and_not1_saveexec_b32 s3, s3
; %bb.47:
	v_and_b32_e32 v70, 0xffff, v85
	v_or_b32_e32 v72, 0x10000, v85
	s_delay_alu instid0(VALU_DEP_2) | instskip(NEXT) | instid1(VALU_DEP_2)
	v_cmp_eq_u32_e32 vcc_lo, 0, v70
	v_cndmask_b32_e32 v70, v72, v85, vcc_lo
; %bb.48:
	s_or_b32 exec_lo, exec_lo, s3
	v_and_b32_e32 v72, 0x7f800000, v78
	s_delay_alu instid0(VALU_DEP_1) | instskip(SKIP_1) | instid1(SALU_CYCLE_1)
	v_cmp_ne_u32_e32 vcc_lo, 0x7f800000, v72
                                        ; implicit-def: $vgpr72
	s_and_saveexec_b32 s3, vcc_lo
	s_xor_b32 s3, exec_lo, s3
; %bb.49:
	v_bfe_u32 v72, v78, 16, 1
	s_delay_alu instid0(VALU_DEP_1)
	v_add3_u32 v72, v78, v72, 0x7fff
                                        ; implicit-def: $vgpr78
; %bb.50:
	s_and_not1_saveexec_b32 s3, s3
; %bb.51:
	v_and_b32_e32 v72, 0xffff, v78
	v_or_b32_e32 v84, 0x10000, v78
	s_delay_alu instid0(VALU_DEP_2) | instskip(NEXT) | instid1(VALU_DEP_2)
	v_cmp_eq_u32_e32 vcc_lo, 0, v72
	v_cndmask_b32_e32 v72, v84, v78, vcc_lo
; %bb.52:
	s_or_b32 exec_lo, exec_lo, s3
	v_and_b32_e32 v78, 0x7f800000, v82
	s_delay_alu instid0(VALU_DEP_1) | instskip(SKIP_1) | instid1(SALU_CYCLE_1)
	v_cmp_ne_u32_e32 vcc_lo, 0x7f800000, v78
                                        ; implicit-def: $vgpr78
	s_and_saveexec_b32 s3, vcc_lo
	s_xor_b32 s3, exec_lo, s3
; %bb.53:
	v_bfe_u32 v78, v82, 16, 1
	s_delay_alu instid0(VALU_DEP_1)
	v_add3_u32 v78, v82, v78, 0x7fff
                                        ; implicit-def: $vgpr82
; %bb.54:
	s_and_not1_saveexec_b32 s3, s3
; %bb.55:
	v_and_b32_e32 v78, 0xffff, v82
	v_or_b32_e32 v84, 0x10000, v82
	s_delay_alu instid0(VALU_DEP_2) | instskip(NEXT) | instid1(VALU_DEP_2)
	v_cmp_eq_u32_e32 vcc_lo, 0, v78
	v_cndmask_b32_e32 v78, v84, v82, vcc_lo
; %bb.56:
	s_or_b32 exec_lo, exec_lo, s3
	v_and_b32_e32 v82, 0x7f800000, v83
	s_delay_alu instid0(VALU_DEP_1) | instskip(SKIP_1) | instid1(SALU_CYCLE_1)
	v_cmp_ne_u32_e32 vcc_lo, 0x7f800000, v82
                                        ; implicit-def: $vgpr82
	s_and_saveexec_b32 s3, vcc_lo
	s_xor_b32 s3, exec_lo, s3
; %bb.57:
	v_bfe_u32 v82, v83, 16, 1
	s_delay_alu instid0(VALU_DEP_1)
	v_add3_u32 v82, v83, v82, 0x7fff
                                        ; implicit-def: $vgpr83
; %bb.58:
	s_and_not1_saveexec_b32 s3, s3
; %bb.59:
	v_and_b32_e32 v82, 0xffff, v83
	v_or_b32_e32 v84, 0x10000, v83
	s_delay_alu instid0(VALU_DEP_2) | instskip(NEXT) | instid1(VALU_DEP_2)
	v_cmp_eq_u32_e32 vcc_lo, 0, v82
	v_cndmask_b32_e32 v82, v84, v83, vcc_lo
; %bb.60:
	s_or_b32 exec_lo, exec_lo, s3
	v_and_b32_e32 v83, 0x7f800000, v79
	s_delay_alu instid0(VALU_DEP_1) | instskip(SKIP_1) | instid1(SALU_CYCLE_1)
	v_cmp_ne_u32_e32 vcc_lo, 0x7f800000, v83
                                        ; implicit-def: $vgpr83
	s_and_saveexec_b32 s3, vcc_lo
	s_xor_b32 s3, exec_lo, s3
; %bb.61:
	v_bfe_u32 v83, v79, 16, 1
	s_delay_alu instid0(VALU_DEP_1)
	v_add3_u32 v83, v79, v83, 0x7fff
                                        ; implicit-def: $vgpr79
; %bb.62:
	s_and_not1_saveexec_b32 s3, s3
; %bb.63:
	v_and_b32_e32 v83, 0xffff, v79
	v_or_b32_e32 v84, 0x10000, v79
	s_delay_alu instid0(VALU_DEP_2) | instskip(NEXT) | instid1(VALU_DEP_2)
	v_cmp_eq_u32_e32 vcc_lo, 0, v83
	v_cndmask_b32_e32 v83, v84, v79, vcc_lo
; %bb.64:
	s_or_b32 exec_lo, exec_lo, s3
	v_and_b32_e32 v79, 0x7f800000, v80
	s_delay_alu instid0(VALU_DEP_1) | instskip(SKIP_1) | instid1(SALU_CYCLE_1)
	v_cmp_ne_u32_e32 vcc_lo, 0x7f800000, v79
                                        ; implicit-def: $vgpr79
	s_and_saveexec_b32 s3, vcc_lo
	s_xor_b32 s3, exec_lo, s3
; %bb.65:
	v_bfe_u32 v79, v80, 16, 1
	s_delay_alu instid0(VALU_DEP_1)
	v_add3_u32 v79, v80, v79, 0x7fff
                                        ; implicit-def: $vgpr80
; %bb.66:
	s_and_not1_saveexec_b32 s3, s3
; %bb.67:
	v_and_b32_e32 v79, 0xffff, v80
	v_or_b32_e32 v84, 0x10000, v80
	s_delay_alu instid0(VALU_DEP_2) | instskip(NEXT) | instid1(VALU_DEP_2)
	v_cmp_eq_u32_e32 vcc_lo, 0, v79
	v_cndmask_b32_e32 v79, v84, v80, vcc_lo
; %bb.68:
	s_or_b32 exec_lo, exec_lo, s3
	v_and_b32_e32 v80, 0x7f800000, v71
	s_delay_alu instid0(VALU_DEP_1) | instskip(SKIP_1) | instid1(SALU_CYCLE_1)
	v_cmp_ne_u32_e32 vcc_lo, 0x7f800000, v80
                                        ; implicit-def: $vgpr80
	s_and_saveexec_b32 s3, vcc_lo
	s_xor_b32 s3, exec_lo, s3
; %bb.69:
	v_bfe_u32 v80, v71, 16, 1
	s_delay_alu instid0(VALU_DEP_1)
	v_add3_u32 v80, v71, v80, 0x7fff
                                        ; implicit-def: $vgpr71
; %bb.70:
	s_and_not1_saveexec_b32 s3, s3
; %bb.71:
	v_and_b32_e32 v80, 0xffff, v71
	v_or_b32_e32 v84, 0x10000, v71
	s_delay_alu instid0(VALU_DEP_2) | instskip(NEXT) | instid1(VALU_DEP_2)
	v_cmp_eq_u32_e32 vcc_lo, 0, v80
	v_cndmask_b32_e32 v80, v84, v71, vcc_lo
; %bb.72:
	s_or_b32 exec_lo, exec_lo, s3
	v_and_b32_e32 v71, 0x7f800000, v66
	s_delay_alu instid0(VALU_DEP_1) | instskip(SKIP_1) | instid1(SALU_CYCLE_1)
	v_cmp_ne_u32_e32 vcc_lo, 0x7f800000, v71
                                        ; implicit-def: $vgpr71
	s_and_saveexec_b32 s3, vcc_lo
	s_xor_b32 s3, exec_lo, s3
; %bb.73:
	v_bfe_u32 v71, v66, 16, 1
	s_delay_alu instid0(VALU_DEP_1)
	v_add3_u32 v71, v66, v71, 0x7fff
                                        ; implicit-def: $vgpr66
; %bb.74:
	s_and_not1_saveexec_b32 s3, s3
; %bb.75:
	v_and_b32_e32 v71, 0xffff, v66
	v_or_b32_e32 v84, 0x10000, v66
	s_delay_alu instid0(VALU_DEP_2) | instskip(NEXT) | instid1(VALU_DEP_2)
	v_cmp_eq_u32_e32 vcc_lo, 0, v71
	v_cndmask_b32_e32 v71, v84, v66, vcc_lo
; %bb.76:
	s_or_b32 exec_lo, exec_lo, s3
	s_delay_alu instid0(VALU_DEP_1)
	v_perm_b32 v87, v71, v80, 0x7060302
	v_perm_b32 v86, v79, v83, 0x7060302
	;; [unrolled: 1-line block ×4, first 2 shown]
	v_lshl_or_b32 v83, v68, 11, v81
	ds_store_b128 v77, v[84:87] offset:1024
	s_waitcnt lgkmcnt(0)
	s_barrier
	buffer_gl0_inv
	ds_load_b128 v[84:87], v83
	ds_load_b128 v[88:91], v83 offset:16
	s_waitcnt lgkmcnt(1)
	v_lshrrev_b32_e32 v70, 16, v87
	s_waitcnt lgkmcnt(0)
	v_lshrrev_b32_e32 v71, 16, v88
	v_lshlrev_b32_e32 v79, 2, v65
	v_lshrrev_b32_e32 v65, 16, v84
	v_lshrrev_b32_e32 v66, 16, v85
	;; [unrolled: 1-line block ×4, first 2 shown]
	v_cmp_eq_u32_e32 vcc_lo, 1, v79
	v_lshrrev_b32_e32 v100, 16, v90
	v_lshrrev_b32_e32 v101, 16, v91
	v_cndmask_b32_e32 v92, v88, v71, vcc_lo
	v_or_b32_e32 v80, 1, v79
	v_cndmask_b32_e32 v82, v84, v65, vcc_lo
	v_cmp_eq_u32_e64 s4, 2, v79
	v_cmp_eq_u32_e64 s7, 3, v79
	;; [unrolled: 1-line block ×5, first 2 shown]
	v_cndmask_b32_e64 v82, v82, v85, s4
	v_cndmask_b32_e64 v92, v92, v89, s4
	v_cmp_eq_u32_e64 s8, 3, v80
	v_cndmask_b32_e64 v93, v84, v65, s3
	v_or_b32_e32 v78, 2, v79
	v_cndmask_b32_e64 v82, v82, v66, s7
	v_cndmask_b32_e64 v92, v92, v72, s7
	;; [unrolled: 1-line block ×4, first 2 shown]
	v_cmp_eq_u32_e64 s10, 5, v79
	v_cndmask_b32_e64 v82, v82, v86, s9
	v_cndmask_b32_e64 v92, v92, v90, s9
	v_cmp_eq_u32_e64 s11, 4, v80
	v_cndmask_b32_e64 v93, v93, v66, s8
	v_cmp_eq_u32_e64 s5, 1, v78
	v_cndmask_b32_e64 v94, v94, v89, s6
	v_cndmask_b32_e64 v82, v82, v68, s10
	v_cmp_eq_u32_e64 s12, 6, v79
	v_cndmask_b32_e64 v93, v93, v86, s11
	;; [unrolled: 3-line block ×3, first 2 shown]
	v_cndmask_b32_e64 v94, v94, v72, s8
	v_cndmask_b32_e64 v82, v82, v87, s12
	v_cmp_eq_u32_e64 s15, 7, v79
	v_cndmask_b32_e64 v93, v93, v68, s13
	v_cndmask_b32_e64 v92, v92, v91, s12
	v_cmp_eq_u32_e64 s16, 6, v80
	v_cmp_eq_u32_e64 s17, 2, v78
	v_cndmask_b32_e64 v94, v94, v90, s11
	v_cndmask_b32_e64 v102, v82, v70, s15
	;; [unrolled: 1-line block ×6, first 2 shown]
	v_cmp_eq_u32_e64 s18, 7, v80
	v_cmp_eq_u32_e64 s19, 3, v78
	;; [unrolled: 1-line block ×4, first 2 shown]
	v_cndmask_b32_e64 v92, v92, v89, s17
	v_cndmask_b32_e64 v104, v93, v70, s18
	;; [unrolled: 1-line block ×4, first 2 shown]
	v_or_b32_e32 v82, 3, v79
	v_cndmask_b32_e64 v97, v92, v72, s19
	v_cmp_eq_u32_e64 s24, 6, v78
	v_cndmask_b32_e64 v105, v93, v91, s16
	v_cndmask_b32_e64 v96, v94, v86, s20
	v_cmp_eq_u32_e64 s21, 1, v82
	ds_load_b128 v[92:95], v83 offset:1024
	v_cmp_eq_u32_e64 s23, 2, v82
	v_cmp_eq_u32_e64 s25, 3, v82
	v_cndmask_b32_e64 v106, v96, v68, s22
	v_cndmask_b32_e64 v65, v84, v65, s21
	;; [unrolled: 1-line block ×3, first 2 shown]
	ds_load_b128 v[96:99], v83 offset:1040
	v_cndmask_b32_e64 v71, v88, v71, s21
	v_cmp_eq_u32_e64 s26, 4, v82
	v_cndmask_b32_e64 v65, v65, v85, s23
	v_cmp_eq_u32_e64 s28, 5, v82
	v_cmp_eq_u32_e64 s29, 6, v82
	v_cndmask_b32_e64 v71, v71, v89, s23
	v_cndmask_b32_e64 v84, v84, v100, s22
	;; [unrolled: 1-line block ×4, first 2 shown]
	v_cmp_eq_u32_e64 s27, 7, v78
	v_cndmask_b32_e64 v71, v71, v72, s25
	v_cndmask_b32_e64 v84, v84, v91, s24
	;; [unrolled: 1-line block ×3, first 2 shown]
	s_waitcnt lgkmcnt(1)
	v_lshrrev_b32_e32 v72, 16, v92
	v_lshrrev_b32_e32 v88, 16, v93
	v_cndmask_b32_e64 v71, v71, v90, s26
	v_cndmask_b32_e64 v66, v66, v70, s27
	;; [unrolled: 1-line block ×3, first 2 shown]
	v_cndmask_b32_e32 v86, v92, v72, vcc_lo
	v_cndmask_b32_e64 v89, v92, v72, s3
	v_cndmask_b32_e64 v68, v71, v100, s28
	s_waitcnt lgkmcnt(0)
	v_lshrrev_b32_e32 v71, 16, v96
	v_cndmask_b32_e64 v65, v65, v87, s29
	v_cndmask_b32_e64 v86, v86, v93, s4
	;; [unrolled: 1-line block ×4, first 2 shown]
	v_cndmask_b32_e32 v90, v96, v71, vcc_lo
	v_cmp_eq_u32_e32 vcc_lo, 7, v82
	v_cndmask_b32_e64 v86, v86, v88, s7
	v_cndmask_b32_e64 v87, v87, v88, s8
	v_lshrrev_b32_e32 v91, 16, v94
	v_cndmask_b32_e64 v89, v90, v97, s4
	v_lshrrev_b32_e32 v90, 16, v97
	v_cndmask_b32_e64 v86, v86, v94, s9
	v_dual_cndmask_b32 v65, v65, v70 :: v_dual_cndmask_b32 v68, v68, v101
	v_cndmask_b32_e64 v70, v87, v94, s11
	s_delay_alu instid0(VALU_DEP_4) | instskip(NEXT) | instid1(VALU_DEP_4)
	v_cndmask_b32_e64 v89, v89, v90, s7
	v_cndmask_b32_e64 v86, v86, v91, s10
	v_lshrrev_b32_e32 v100, 16, v98
	v_cndmask_b32_e64 v84, v84, v101, s27
	v_perm_b32 v87, v68, v65, 0x5040100
	v_cndmask_b32_e64 v89, v89, v98, s9
	v_cndmask_b32_e64 v65, v70, v91, s13
	;; [unrolled: 1-line block ×3, first 2 shown]
	v_lshrrev_b32_e32 v70, 16, v95
	v_cndmask_b32_e64 v85, v105, v101, s18
	v_cndmask_b32_e64 v89, v89, v100, s10
	v_perm_b32 v86, v84, v66, 0x5040100
	v_cndmask_b32_e64 v101, v96, v71, s5
	v_cndmask_b32_e64 v66, v68, v70, s15
	;; [unrolled: 1-line block ×8, first 2 shown]
	v_lshrrev_b32_e32 v84, 16, v99
	v_cndmask_b32_e64 v89, v89, v93, s17
	v_cndmask_b32_e64 v72, v72, v93, s23
	;; [unrolled: 1-line block ×27, first 2 shown]
	v_cndmask_b32_e32 v70, v72, v70, vcc_lo
	v_cndmask_b32_e32 v72, v88, v84, vcc_lo
	v_cndmask_b32_e64 v88, v90, v84, s27
	v_cndmask_b32_e64 v71, v71, v84, s18
	;; [unrolled: 1-line block ×3, first 2 shown]
	v_perm_b32 v85, v85, v104, 0x5040100
	v_perm_b32 v84, v103, v102, 0x5040100
	;; [unrolled: 1-line block ×6, first 2 shown]
	s_lshl_b32 s8, s35, 1
	s_mov_b32 s3, exec_lo
	ds_store_b128 v77, v[84:87]
	ds_store_b128 v77, v[88:91] offset:1024
	v_cmpx_gt_u32_e32 2, v0
	s_cbranch_execz .LBB1807_78
; %bb.77:
	v_or_b32_e32 v65, s31, v0
	s_load_b128 s[4:7], s[0:1], 0x58
	s_delay_alu instid0(VALU_DEP_1) | instskip(NEXT) | instid1(VALU_DEP_1)
	v_mad_u64_u32 v[70:71], null, s8, s30, v[65:66]
	v_mad_u64_u32 v[65:66], null, v70, s34, s[14:15]
	s_delay_alu instid0(VALU_DEP_1) | instskip(NEXT) | instid1(VALU_DEP_1)
	v_ashrrev_i32_e32 v66, 31, v65
	v_lshlrev_b64 v[65:66], 2, v[65:66]
	s_waitcnt lgkmcnt(0)
	s_delay_alu instid0(VALU_DEP_1) | instskip(NEXT) | instid1(VALU_DEP_2)
	v_add_co_u32 v70, vcc_lo, s6, v65
	v_add_co_ci_u32_e32 v71, vcc_lo, s7, v66, vcc_lo
	v_add_co_u32 v65, vcc_lo, s4, v65
	v_add_co_ci_u32_e32 v66, vcc_lo, s5, v66, vcc_lo
	global_store_b32 v[70:71], v67, off
	global_store_b32 v[65:66], v69, off
.LBB1807_78:
	s_or_b32 exec_lo, exec_lo, s3
	s_waitcnt lgkmcnt(0)
	s_waitcnt_vscnt null, 0x0
	s_barrier
	buffer_gl0_inv
	ds_load_b128 v[84:87], v81
	ds_load_b128 v[88:91], v81 offset:16
	ds_load_b128 v[96:99], v81 offset:2064
	;; [unrolled: 1-line block ×3, first 2 shown]
	v_mov_b32_e32 v65, 0
	ds_load_b128 v[104:107], v81 offset:4112
	ds_load_b128 v[100:103], v81 offset:4096
	;; [unrolled: 1-line block ×4, first 2 shown]
	v_mov_b32_e32 v66, v65
	v_mov_b32_e32 v67, v65
	;; [unrolled: 1-line block ×7, first 2 shown]
	s_waitcnt lgkmcnt(6)
	s_delay_alu instid0(VALU_DEP_1)
	v_wmma_f32_16x16x16_bf16 v[65:72], v[41:48], v[84:91], v[65:72]
	ds_load_b128 v[45:48], v81 offset:8208
	ds_load_b128 v[41:44], v81 offset:8192
	s_waitcnt lgkmcnt(6)
	v_wmma_f32_16x16x16_bf16 v[65:72], v[33:40], v[92:99], v[65:72]
	ds_load_b128 v[37:40], v81 offset:10256
	ds_load_b128 v[33:36], v81 offset:10240
	s_waitcnt lgkmcnt(6)
	;; [unrolled: 4-line block ×4, first 2 shown]
	v_wmma_f32_16x16x16_bf16 v[65:72], v[1:8], v[41:48], v[65:72]
	s_waitcnt lgkmcnt(4)
	s_delay_alu instid0(VALU_DEP_1) | instskip(SKIP_1) | instid1(VALU_DEP_1)
	v_wmma_f32_16x16x16_bf16 v[65:72], v[9:16], v[33:40], v[65:72]
	s_waitcnt lgkmcnt(2)
	v_wmma_f32_16x16x16_bf16 v[65:72], v[57:64], v[25:32], v[65:72]
	s_waitcnt lgkmcnt(0)
	s_delay_alu instid0(VALU_DEP_1) | instskip(NEXT) | instid1(VALU_DEP_1)
	v_wmma_f32_16x16x16_bf16 v[65:72], v[49:56], v[17:24], v[65:72]
	v_and_b32_e32 v1, 0x7f800000, v65
	s_delay_alu instid0(VALU_DEP_1) | instskip(SKIP_1) | instid1(SALU_CYCLE_1)
	v_cmp_ne_u32_e32 vcc_lo, 0x7f800000, v1
                                        ; implicit-def: $vgpr1
	s_and_saveexec_b32 s3, vcc_lo
	s_xor_b32 s3, exec_lo, s3
; %bb.79:
	v_bfe_u32 v1, v65, 16, 1
	s_delay_alu instid0(VALU_DEP_1)
	v_add3_u32 v1, v65, v1, 0x7fff
; %bb.80:
	s_and_not1_saveexec_b32 s3, s3
; %bb.81:
	v_and_b32_e32 v1, 0xffff, v65
	v_or_b32_e32 v2, 0x10000, v65
	s_delay_alu instid0(VALU_DEP_2) | instskip(NEXT) | instid1(VALU_DEP_2)
	v_cmp_eq_u32_e32 vcc_lo, 0, v1
	v_cndmask_b32_e32 v1, v2, v65, vcc_lo
; %bb.82:
	s_or_b32 exec_lo, exec_lo, s3
	v_and_b32_e32 v2, 0x7f800000, v66
	s_delay_alu instid0(VALU_DEP_1) | instskip(SKIP_1) | instid1(SALU_CYCLE_1)
	v_cmp_ne_u32_e32 vcc_lo, 0x7f800000, v2
                                        ; implicit-def: $vgpr2
	s_and_saveexec_b32 s3, vcc_lo
	s_xor_b32 s3, exec_lo, s3
; %bb.83:
	v_bfe_u32 v2, v66, 16, 1
	s_delay_alu instid0(VALU_DEP_1)
	v_add3_u32 v2, v66, v2, 0x7fff
; %bb.84:
	s_and_not1_saveexec_b32 s3, s3
; %bb.85:
	v_and_b32_e32 v2, 0xffff, v66
	v_or_b32_e32 v3, 0x10000, v66
	s_delay_alu instid0(VALU_DEP_2) | instskip(NEXT) | instid1(VALU_DEP_2)
	v_cmp_eq_u32_e32 vcc_lo, 0, v2
	v_cndmask_b32_e32 v2, v3, v66, vcc_lo
; %bb.86:
	s_or_b32 exec_lo, exec_lo, s3
	v_and_b32_e32 v3, 0x7f800000, v67
	s_delay_alu instid0(VALU_DEP_1) | instskip(SKIP_1) | instid1(SALU_CYCLE_1)
	v_cmp_ne_u32_e32 vcc_lo, 0x7f800000, v3
                                        ; implicit-def: $vgpr3
	s_and_saveexec_b32 s3, vcc_lo
	s_xor_b32 s3, exec_lo, s3
; %bb.87:
	v_bfe_u32 v3, v67, 16, 1
	s_delay_alu instid0(VALU_DEP_1)
	v_add3_u32 v3, v67, v3, 0x7fff
; %bb.88:
	s_and_not1_saveexec_b32 s3, s3
; %bb.89:
	v_and_b32_e32 v3, 0xffff, v67
	v_or_b32_e32 v4, 0x10000, v67
	s_delay_alu instid0(VALU_DEP_2) | instskip(NEXT) | instid1(VALU_DEP_2)
	v_cmp_eq_u32_e32 vcc_lo, 0, v3
	v_cndmask_b32_e32 v3, v4, v67, vcc_lo
; %bb.90:
	s_or_b32 exec_lo, exec_lo, s3
	v_and_b32_e32 v4, 0x7f800000, v68
	s_delay_alu instid0(VALU_DEP_1) | instskip(SKIP_1) | instid1(SALU_CYCLE_1)
	v_cmp_ne_u32_e32 vcc_lo, 0x7f800000, v4
                                        ; implicit-def: $vgpr4
	s_and_saveexec_b32 s3, vcc_lo
	s_xor_b32 s3, exec_lo, s3
; %bb.91:
	v_bfe_u32 v4, v68, 16, 1
	s_delay_alu instid0(VALU_DEP_1)
	v_add3_u32 v4, v68, v4, 0x7fff
; %bb.92:
	s_and_not1_saveexec_b32 s3, s3
; %bb.93:
	v_and_b32_e32 v4, 0xffff, v68
	v_or_b32_e32 v5, 0x10000, v68
	s_delay_alu instid0(VALU_DEP_2) | instskip(NEXT) | instid1(VALU_DEP_2)
	v_cmp_eq_u32_e32 vcc_lo, 0, v4
	v_cndmask_b32_e32 v4, v5, v68, vcc_lo
; %bb.94:
	s_or_b32 exec_lo, exec_lo, s3
	v_and_b32_e32 v5, 0x7f800000, v69
	s_delay_alu instid0(VALU_DEP_1) | instskip(SKIP_1) | instid1(SALU_CYCLE_1)
	v_cmp_ne_u32_e32 vcc_lo, 0x7f800000, v5
                                        ; implicit-def: $vgpr5
	s_and_saveexec_b32 s3, vcc_lo
	s_xor_b32 s3, exec_lo, s3
; %bb.95:
	v_bfe_u32 v5, v69, 16, 1
	s_delay_alu instid0(VALU_DEP_1)
	v_add3_u32 v5, v69, v5, 0x7fff
; %bb.96:
	s_and_not1_saveexec_b32 s3, s3
; %bb.97:
	v_and_b32_e32 v5, 0xffff, v69
	v_or_b32_e32 v6, 0x10000, v69
	s_delay_alu instid0(VALU_DEP_2) | instskip(NEXT) | instid1(VALU_DEP_2)
	v_cmp_eq_u32_e32 vcc_lo, 0, v5
	v_cndmask_b32_e32 v5, v6, v69, vcc_lo
; %bb.98:
	s_or_b32 exec_lo, exec_lo, s3
	v_and_b32_e32 v6, 0x7f800000, v70
	s_delay_alu instid0(VALU_DEP_1) | instskip(SKIP_1) | instid1(SALU_CYCLE_1)
	v_cmp_ne_u32_e32 vcc_lo, 0x7f800000, v6
                                        ; implicit-def: $vgpr6
	s_and_saveexec_b32 s3, vcc_lo
	s_xor_b32 s3, exec_lo, s3
; %bb.99:
	v_bfe_u32 v6, v70, 16, 1
	s_delay_alu instid0(VALU_DEP_1)
	v_add3_u32 v6, v70, v6, 0x7fff
; %bb.100:
	s_and_not1_saveexec_b32 s3, s3
; %bb.101:
	v_and_b32_e32 v6, 0xffff, v70
	v_or_b32_e32 v7, 0x10000, v70
	s_delay_alu instid0(VALU_DEP_2) | instskip(NEXT) | instid1(VALU_DEP_2)
	v_cmp_eq_u32_e32 vcc_lo, 0, v6
	v_cndmask_b32_e32 v6, v7, v70, vcc_lo
; %bb.102:
	s_or_b32 exec_lo, exec_lo, s3
	v_and_b32_e32 v7, 0x7f800000, v71
	s_delay_alu instid0(VALU_DEP_1) | instskip(SKIP_1) | instid1(SALU_CYCLE_1)
	v_cmp_ne_u32_e32 vcc_lo, 0x7f800000, v7
                                        ; implicit-def: $vgpr7
	s_and_saveexec_b32 s3, vcc_lo
	s_xor_b32 s3, exec_lo, s3
; %bb.103:
	v_bfe_u32 v7, v71, 16, 1
	s_delay_alu instid0(VALU_DEP_1)
	v_add3_u32 v7, v71, v7, 0x7fff
; %bb.104:
	s_and_not1_saveexec_b32 s3, s3
; %bb.105:
	v_and_b32_e32 v7, 0xffff, v71
	v_or_b32_e32 v8, 0x10000, v71
	s_delay_alu instid0(VALU_DEP_2) | instskip(NEXT) | instid1(VALU_DEP_2)
	v_cmp_eq_u32_e32 vcc_lo, 0, v7
	v_cndmask_b32_e32 v7, v8, v71, vcc_lo
; %bb.106:
	s_or_b32 exec_lo, exec_lo, s3
	v_and_b32_e32 v8, 0x7f800000, v72
	s_delay_alu instid0(VALU_DEP_1) | instskip(SKIP_1) | instid1(SALU_CYCLE_1)
	v_cmp_ne_u32_e32 vcc_lo, 0x7f800000, v8
                                        ; implicit-def: $vgpr8
	s_and_saveexec_b32 s3, vcc_lo
	s_xor_b32 s3, exec_lo, s3
; %bb.107:
	v_bfe_u32 v8, v72, 16, 1
	s_delay_alu instid0(VALU_DEP_1)
	v_add3_u32 v8, v72, v8, 0x7fff
                                        ; implicit-def: $vgpr65_vgpr66_vgpr67_vgpr68_vgpr69_vgpr70_vgpr71_vgpr72
; %bb.108:
	s_and_not1_saveexec_b32 s3, s3
; %bb.109:
	v_and_b32_e32 v8, 0xffff, v72
	v_or_b32_e32 v9, 0x10000, v72
	s_delay_alu instid0(VALU_DEP_2) | instskip(NEXT) | instid1(VALU_DEP_2)
	v_cmp_eq_u32_e32 vcc_lo, 0, v8
	v_cndmask_b32_e32 v8, v9, v72, vcc_lo
; %bb.110:
	s_or_b32 exec_lo, exec_lo, s3
	s_delay_alu instid0(VALU_DEP_1)
	v_perm_b32 v7, v8, v7, 0x7060302
	v_perm_b32 v6, v6, v5, 0x7060302
	;; [unrolled: 1-line block ×4, first 2 shown]
	s_barrier
	buffer_gl0_inv
	v_cmp_eq_u32_e32 vcc_lo, 1, v79
	ds_store_b128 v77, v[4:7]
	s_waitcnt lgkmcnt(0)
	s_barrier
	buffer_gl0_inv
	ds_load_b128 v[1:4], v83
	ds_load_b128 v[5:8], v83 offset:16
	v_cmp_eq_u32_e64 s3, 1, v80
	v_cmp_eq_u32_e64 s4, 2, v79
	;; [unrolled: 1-line block ×5, first 2 shown]
	s_waitcnt lgkmcnt(1)
	v_lshrrev_b32_e32 v9, 16, v1
	s_waitcnt lgkmcnt(0)
	v_lshrrev_b32_e32 v13, 16, v5
	v_lshrrev_b32_e32 v10, 16, v2
	;; [unrolled: 1-line block ×4, first 2 shown]
	v_cndmask_b32_e64 v19, v1, v9, s3
	v_cndmask_b32_e32 v18, v5, v13, vcc_lo
	v_cndmask_b32_e64 v20, v5, v13, s3
	v_cndmask_b32_e32 v17, v1, v9, vcc_lo
	v_cmp_eq_u32_e32 vcc_lo, 2, v80
	v_lshrrev_b32_e32 v15, 16, v7
	v_cmp_eq_u32_e64 s3, 1, v78
	v_lshrrev_b32_e32 v12, 16, v4
	v_lshrrev_b32_e32 v16, 16, v8
	v_cndmask_b32_e32 v20, v20, v6, vcc_lo
	v_cndmask_b32_e64 v17, v17, v2, s4
	v_cndmask_b32_e32 v19, v19, v2, vcc_lo
	v_cndmask_b32_e64 v18, v18, v6, s4
	v_cmp_eq_u32_e32 vcc_lo, 4, v79
	v_cmp_eq_u32_e64 s4, 3, v80
	v_cndmask_b32_e64 v17, v17, v10, s5
	v_cndmask_b32_e64 v21, v1, v9, s3
	;; [unrolled: 1-line block ×5, first 2 shown]
	v_cndmask_b32_e32 v17, v17, v3, vcc_lo
	v_cndmask_b32_e64 v20, v20, v14, s4
	v_cndmask_b32_e32 v18, v18, v7, vcc_lo
	v_cmp_eq_u32_e32 vcc_lo, 4, v80
	v_cmp_eq_u32_e64 s4, 5, v80
	v_cmp_eq_u32_e64 s3, 2, v82
	v_cndmask_b32_e64 v21, v21, v2, s7
	v_cmp_eq_u32_e64 s5, 5, v79
	v_cndmask_b32_e32 v19, v19, v3, vcc_lo
	v_cndmask_b32_e32 v20, v20, v7, vcc_lo
	v_cmp_eq_u32_e32 vcc_lo, 6, v80
	s_delay_alu instid0(VALU_DEP_4) | instskip(NEXT) | instid1(VALU_DEP_4)
	v_cndmask_b32_e64 v17, v17, v11, s5
	v_cndmask_b32_e64 v19, v19, v11, s4
	s_delay_alu instid0(VALU_DEP_4) | instskip(SKIP_1) | instid1(VALU_DEP_3)
	v_cndmask_b32_e64 v20, v20, v15, s4
	v_cmp_eq_u32_e64 s4, 1, v82
	v_cndmask_b32_e32 v19, v19, v4, vcc_lo
	v_cndmask_b32_e64 v18, v18, v15, s5
	s_delay_alu instid0(VALU_DEP_3)
	v_cndmask_b32_e64 v1, v1, v9, s4
	v_cndmask_b32_e64 v5, v5, v13, s4
	v_cmp_eq_u32_e64 s4, 3, v78
	v_cndmask_b32_e64 v13, v22, v6, s7
	v_cmp_eq_u32_e64 s7, 3, v82
	v_cndmask_b32_e64 v1, v1, v2, s3
	v_cndmask_b32_e64 v2, v5, v6, s3
	;; [unrolled: 1-line block ×3, first 2 shown]
	v_cmp_eq_u32_e64 s3, 4, v78
	v_cndmask_b32_e64 v6, v13, v14, s4
	v_cndmask_b32_e64 v1, v1, v10, s7
	v_cmp_eq_u32_e64 s4, 4, v82
	v_cndmask_b32_e64 v2, v2, v14, s7
	v_cndmask_b32_e64 v5, v9, v3, s3
	;; [unrolled: 3-line block ×3, first 2 shown]
	v_cndmask_b32_e64 v2, v2, v7, s4
	v_cmp_eq_u32_e64 s3, 5, v82
	v_cmp_eq_u32_e64 s5, 6, v79
	v_cndmask_b32_e64 v5, v5, v11, s7
	v_cmp_eq_u32_e64 s4, 6, v78
	v_cndmask_b32_e64 v3, v6, v15, s7
	v_cndmask_b32_e64 v1, v1, v11, s3
	v_cmp_eq_u32_e64 s7, 6, v82
	v_cndmask_b32_e64 v2, v2, v15, s3
	v_cndmask_b32_e64 v17, v17, v4, s5
	v_cndmask_b32_e64 v18, v18, v8, s5
	v_cmp_eq_u32_e64 s5, 7, v79
	v_cndmask_b32_e64 v5, v5, v4, s4
	;; [unrolled: 4-line block ×3, first 2 shown]
	v_cmp_eq_u32_e64 s4, 7, v78
	v_cndmask_b32_e32 v4, v20, v8, vcc_lo
	v_cndmask_b32_e64 v17, v17, v12, s5
	v_cndmask_b32_e64 v19, v19, v12, s6
	v_cndmask_b32_e64 v1, v1, v12, s3
	v_cndmask_b32_e64 v5, v5, v12, s4
	v_cndmask_b32_e64 v2, v2, v16, s3
	v_cndmask_b32_e64 v3, v3, v16, s4
	v_cndmask_b32_e64 v6, v4, v16, s6
	v_cndmask_b32_e64 v7, v18, v16, s5
	s_delay_alu instid0(VALU_DEP_4) | instskip(NEXT) | instid1(VALU_DEP_4)
	v_perm_b32 v4, v2, v1, 0x5040100
	v_perm_b32 v3, v3, v5, 0x5040100
	s_delay_alu instid0(VALU_DEP_4) | instskip(NEXT) | instid1(VALU_DEP_4)
	v_perm_b32 v2, v6, v19, 0x5040100
	v_perm_b32 v1, v7, v17, 0x5040100
	ds_store_b128 v77, v[1:4]
	s_waitcnt lgkmcnt(0)
	s_barrier
	buffer_gl0_inv
	s_and_saveexec_b32 s3, s2
	s_cbranch_execz .LBB1807_2
; %bb.111:
	s_load_b64 s[0:1], s[0:1], 0x68
	v_lshlrev_b32_e32 v0, 10, v0
	s_lshl_b32 s2, s34, 7
	v_lshlrev_b32_e32 v1, 4, v76
	v_mul_lo_u32 v4, s2, v75
	s_mul_i32 s3, s2, s30
	v_and_b32_e32 v0, 0x3800, v0
	s_mul_i32 s2, s3, s8
	s_delay_alu instid0(SALU_CYCLE_1) | instskip(NEXT) | instid1(VALU_DEP_1)
	s_ashr_i32 s3, s2, 31
	v_or3_b32 v0, v0, v74, v1
	s_lshl_b64 s[2:3], s[2:3], 1
	s_delay_alu instid0(VALU_DEP_3)
	v_ashrrev_i32_e32 v5, 31, v4
	ds_load_b128 v[0:3], v0
	v_lshlrev_b64 v[4:5], 1, v[4:5]
	s_waitcnt lgkmcnt(0)
	s_add_u32 s2, s0, s2
	s_addc_u32 s3, s1, s3
	s_lshl_b32 s0, s14, 7
	s_delay_alu instid0(SALU_CYCLE_1) | instskip(NEXT) | instid1(SALU_CYCLE_1)
	s_ashr_i32 s1, s0, 31
	s_lshl_b64 s[0:1], s[0:1], 1
	s_delay_alu instid0(SALU_CYCLE_1) | instskip(SKIP_3) | instid1(VALU_DEP_2)
	s_add_u32 s0, s2, s0
	s_addc_u32 s1, s3, s1
	v_add_co_u32 v4, vcc_lo, s0, v4
	v_add_co_ci_u32_e32 v5, vcc_lo, s1, v5, vcc_lo
	v_add_co_u32 v4, vcc_lo, v4, v73
	s_delay_alu instid0(VALU_DEP_2)
	v_add_co_ci_u32_e32 v5, vcc_lo, 0, v5, vcc_lo
	global_store_b128 v[4:5], v[0:3], off
	s_nop 0
	s_sendmsg sendmsg(MSG_DEALLOC_VGPRS)
	s_endpgm
	.section	.rodata,"a",@progbits
	.p2align	6, 0x0
	.amdhsa_kernel _Z39paged_attention_ll4mi_QKV_mfma16_kernelI14__hip_bfloat16hLN4vllm18Fp8KVCacheDataTypeE1EhLi16ELi128ELi256ELb1ELi2EL8MFMAType0EEvPKT_PKT0_S9_ifPKiSB_SB_iPKfiiiPfSE_PS4_PT2_iSD_SD_
		.amdhsa_group_segment_fixed_size 17472
		.amdhsa_private_segment_fixed_size 0
		.amdhsa_kernarg_size 400
		.amdhsa_user_sgpr_count 13
		.amdhsa_user_sgpr_dispatch_ptr 0
		.amdhsa_user_sgpr_queue_ptr 0
		.amdhsa_user_sgpr_kernarg_segment_ptr 1
		.amdhsa_user_sgpr_dispatch_id 0
		.amdhsa_user_sgpr_private_segment_size 0
		.amdhsa_wavefront_size32 1
		.amdhsa_uses_dynamic_stack 0
		.amdhsa_enable_private_segment 0
		.amdhsa_system_sgpr_workgroup_id_x 1
		.amdhsa_system_sgpr_workgroup_id_y 1
		.amdhsa_system_sgpr_workgroup_id_z 1
		.amdhsa_system_sgpr_workgroup_info 0
		.amdhsa_system_vgpr_workitem_id 0
		.amdhsa_next_free_vgpr 138
		.amdhsa_next_free_sgpr 36
		.amdhsa_reserve_vcc 1
		.amdhsa_float_round_mode_32 0
		.amdhsa_float_round_mode_16_64 0
		.amdhsa_float_denorm_mode_32 3
		.amdhsa_float_denorm_mode_16_64 3
		.amdhsa_dx10_clamp 1
		.amdhsa_ieee_mode 1
		.amdhsa_fp16_overflow 0
		.amdhsa_workgroup_processor_mode 1
		.amdhsa_memory_ordered 1
		.amdhsa_forward_progress 0
		.amdhsa_shared_vgpr_count 0
		.amdhsa_exception_fp_ieee_invalid_op 0
		.amdhsa_exception_fp_denorm_src 0
		.amdhsa_exception_fp_ieee_div_zero 0
		.amdhsa_exception_fp_ieee_overflow 0
		.amdhsa_exception_fp_ieee_underflow 0
		.amdhsa_exception_fp_ieee_inexact 0
		.amdhsa_exception_int_div_zero 0
	.end_amdhsa_kernel
	.section	.text._Z39paged_attention_ll4mi_QKV_mfma16_kernelI14__hip_bfloat16hLN4vllm18Fp8KVCacheDataTypeE1EhLi16ELi128ELi256ELb1ELi2EL8MFMAType0EEvPKT_PKT0_S9_ifPKiSB_SB_iPKfiiiPfSE_PS4_PT2_iSD_SD_,"axG",@progbits,_Z39paged_attention_ll4mi_QKV_mfma16_kernelI14__hip_bfloat16hLN4vllm18Fp8KVCacheDataTypeE1EhLi16ELi128ELi256ELb1ELi2EL8MFMAType0EEvPKT_PKT0_S9_ifPKiSB_SB_iPKfiiiPfSE_PS4_PT2_iSD_SD_,comdat
.Lfunc_end1807:
	.size	_Z39paged_attention_ll4mi_QKV_mfma16_kernelI14__hip_bfloat16hLN4vllm18Fp8KVCacheDataTypeE1EhLi16ELi128ELi256ELb1ELi2EL8MFMAType0EEvPKT_PKT0_S9_ifPKiSB_SB_iPKfiiiPfSE_PS4_PT2_iSD_SD_, .Lfunc_end1807-_Z39paged_attention_ll4mi_QKV_mfma16_kernelI14__hip_bfloat16hLN4vllm18Fp8KVCacheDataTypeE1EhLi16ELi128ELi256ELb1ELi2EL8MFMAType0EEvPKT_PKT0_S9_ifPKiSB_SB_iPKfiiiPfSE_PS4_PT2_iSD_SD_
                                        ; -- End function
	.section	.AMDGPU.csdata,"",@progbits
; Kernel info:
; codeLenInByte = 8624
; NumSgprs: 38
; NumVgprs: 138
; ScratchSize: 0
; MemoryBound: 0
; FloatMode: 240
; IeeeMode: 1
; LDSByteSize: 17472 bytes/workgroup (compile time only)
; SGPRBlocks: 4
; VGPRBlocks: 17
; NumSGPRsForWavesPerEU: 38
; NumVGPRsForWavesPerEU: 138
; Occupancy: 10
; WaveLimiterHint : 1
; COMPUTE_PGM_RSRC2:SCRATCH_EN: 0
; COMPUTE_PGM_RSRC2:USER_SGPR: 13
; COMPUTE_PGM_RSRC2:TRAP_HANDLER: 0
; COMPUTE_PGM_RSRC2:TGID_X_EN: 1
; COMPUTE_PGM_RSRC2:TGID_Y_EN: 1
; COMPUTE_PGM_RSRC2:TGID_Z_EN: 1
; COMPUTE_PGM_RSRC2:TIDIG_COMP_CNT: 0
	.section	.text._Z39paged_attention_ll4mi_QKV_mfma16_kernelI14__hip_bfloat16hLN4vllm18Fp8KVCacheDataTypeE1EhLi16ELi128ELi256ELb1ELi3EL8MFMAType0EEvPKT_PKT0_S9_ifPKiSB_SB_iPKfiiiPfSE_PS4_PT2_iSD_SD_,"axG",@progbits,_Z39paged_attention_ll4mi_QKV_mfma16_kernelI14__hip_bfloat16hLN4vllm18Fp8KVCacheDataTypeE1EhLi16ELi128ELi256ELb1ELi3EL8MFMAType0EEvPKT_PKT0_S9_ifPKiSB_SB_iPKfiiiPfSE_PS4_PT2_iSD_SD_,comdat
	.protected	_Z39paged_attention_ll4mi_QKV_mfma16_kernelI14__hip_bfloat16hLN4vllm18Fp8KVCacheDataTypeE1EhLi16ELi128ELi256ELb1ELi3EL8MFMAType0EEvPKT_PKT0_S9_ifPKiSB_SB_iPKfiiiPfSE_PS4_PT2_iSD_SD_ ; -- Begin function _Z39paged_attention_ll4mi_QKV_mfma16_kernelI14__hip_bfloat16hLN4vllm18Fp8KVCacheDataTypeE1EhLi16ELi128ELi256ELb1ELi3EL8MFMAType0EEvPKT_PKT0_S9_ifPKiSB_SB_iPKfiiiPfSE_PS4_PT2_iSD_SD_
	.globl	_Z39paged_attention_ll4mi_QKV_mfma16_kernelI14__hip_bfloat16hLN4vllm18Fp8KVCacheDataTypeE1EhLi16ELi128ELi256ELb1ELi3EL8MFMAType0EEvPKT_PKT0_S9_ifPKiSB_SB_iPKfiiiPfSE_PS4_PT2_iSD_SD_
	.p2align	8
	.type	_Z39paged_attention_ll4mi_QKV_mfma16_kernelI14__hip_bfloat16hLN4vllm18Fp8KVCacheDataTypeE1EhLi16ELi128ELi256ELb1ELi3EL8MFMAType0EEvPKT_PKT0_S9_ifPKiSB_SB_iPKfiiiPfSE_PS4_PT2_iSD_SD_,@function
_Z39paged_attention_ll4mi_QKV_mfma16_kernelI14__hip_bfloat16hLN4vllm18Fp8KVCacheDataTypeE1EhLi16ELi128ELi256ELb1ELi3EL8MFMAType0EEvPKT_PKT0_S9_ifPKiSB_SB_iPKfiiiPfSE_PS4_PT2_iSD_SD_: ; @_Z39paged_attention_ll4mi_QKV_mfma16_kernelI14__hip_bfloat16hLN4vllm18Fp8KVCacheDataTypeE1EhLi16ELi128ELi256ELb1ELi3EL8MFMAType0EEvPKT_PKT0_S9_ifPKiSB_SB_iPKfiiiPfSE_PS4_PT2_iSD_SD_
; %bb.0:
	s_load_b64 s[4:5], s[0:1], 0x30
	s_mov_b32 s30, s13
	s_waitcnt lgkmcnt(0)
	s_cmp_lg_u64 s[4:5], 0
	s_cselect_b32 s13, -1, 0
	s_ashr_i32 s31, s30, 31
	s_cmp_eq_u64 s[4:5], 0
	s_cbranch_scc1 .LBB1808_3
; %bb.1:
	s_lshl_b64 s[2:3], s[30:31], 2
	s_delay_alu instid0(SALU_CYCLE_1) | instskip(SKIP_4) | instid1(SALU_CYCLE_1)
	s_add_u32 s2, s4, s2
	s_addc_u32 s3, s5, s3
	s_load_b64 s[2:3], s[2:3], 0x0
	s_waitcnt lgkmcnt(0)
	s_sub_i32 s2, s3, s2
	s_cmp_eq_u32 s2, 1
	s_cselect_b32 s2, -1, 0
	s_delay_alu instid0(SALU_CYCLE_1)
	s_and_not1_b32 vcc_lo, exec_lo, s2
	s_cbranch_vccz .LBB1808_4
.LBB1808_2:
	s_nop 0
	s_sendmsg sendmsg(MSG_DEALLOC_VGPRS)
	s_endpgm
.LBB1808_3:
.LBB1808_4:
	s_load_b64 s[2:3], s[0:1], 0x28
	s_lshl_b64 s[6:7], s[30:31], 2
	s_waitcnt lgkmcnt(0)
	s_add_u32 s2, s2, s6
	s_addc_u32 s3, s3, s7
	s_lshl_b32 s12, s14, 8
	s_load_b32 s17, s[2:3], 0x0
	s_waitcnt lgkmcnt(0)
	s_cmp_ge_i32 s12, s17
	s_cbranch_scc1 .LBB1808_2
; %bb.5:
	s_clause 0x1
	s_load_b128 s[8:11], s[0:1], 0x8
	s_load_b64 s[2:3], s[0:1], 0x20
	s_and_not1_b32 vcc_lo, exec_lo, s13
	s_cbranch_vccnz .LBB1808_7
; %bb.6:
	s_add_u32 s4, s4, s6
	s_addc_u32 s5, s5, s7
	s_load_b32 s13, s[4:5], 0x0
	s_branch .LBB1808_8
.LBB1808_7:
	s_mov_b32 s13, s30
.LBB1808_8:
	s_load_b128 s[4:7], s[0:1], 0x48
	v_and_b32_e32 v65, 15, v0
	v_lshrrev_b32_e32 v66, 5, v0
	v_bfe_u32 v74, v0, 4, 1
	v_and_b32_e32 v67, 31, v0
	v_and_b32_e32 v75, 1, v0
	v_lshlrev_b32_e32 v2, 3, v65
	s_mul_i32 s31, s15, 3
	v_lshl_or_b32 v1, v66, 1, v74
	s_waitcnt lgkmcnt(0)
	s_mov_b32 s7, exec_lo
	v_lshlrev_b32_e32 v73, 1, v2
	s_delay_alu instid0(VALU_DEP_2)
	v_cmpx_gt_u32_e32 3, v1
	s_cbranch_execz .LBB1808_10
; %bb.9:
	s_load_b64 s[18:19], s[0:1], 0x0
	v_add_lshl_u32 v2, v1, s31, 7
	s_mul_hi_i32 s21, s13, s4
	s_mul_i32 s20, s13, s4
	v_lshlrev_b32_e32 v6, 10, v65
	s_lshl_b64 s[20:21], s[20:21], 1
	v_ashrrev_i32_e32 v3, 31, v2
	v_lshlrev_b32_e32 v1, 6, v1
	v_lshlrev_b32_e32 v7, 10, v75
	v_and_b32_e32 v6, 0x3800, v6
	s_delay_alu instid0(VALU_DEP_4) | instskip(NEXT) | instid1(VALU_DEP_2)
	v_lshlrev_b64 v[2:3], 1, v[2:3]
	v_or3_b32 v1, v6, v7, v1
	s_waitcnt lgkmcnt(0)
	s_add_u32 s4, s18, s20
	s_addc_u32 s13, s19, s21
	s_delay_alu instid0(VALU_DEP_2) | instskip(SKIP_1) | instid1(VALU_DEP_2)
	v_add_co_u32 v2, vcc_lo, s4, v2
	v_add_co_ci_u32_e32 v3, vcc_lo, s13, v3, vcc_lo
	v_add_co_u32 v2, vcc_lo, v2, v73
	s_delay_alu instid0(VALU_DEP_2)
	v_add_co_ci_u32_e32 v3, vcc_lo, 0, v3, vcc_lo
	global_load_b128 v[2:5], v[2:3], off
	s_waitcnt vmcnt(0)
	ds_store_b128 v1, v[2:5]
.LBB1808_10:
	s_or_b32 exec_lo, exec_lo, s7
	v_and_b32_e32 v1, 0xef, v0
	s_add_i32 s4, s17, 15
	s_clause 0x1
	s_load_b32 s7, s[0:1], 0x38
	s_load_b32 s18, s[0:1], 0x1c
	s_ashr_i32 s13, s4, 31
	v_add_nc_u32_e32 v2, s12, v1
	s_lshr_b32 s13, s13, 28
	s_waitcnt lgkmcnt(0)
	s_add_i32 s4, s4, s13
	s_barrier
	v_ashrrev_i32_e32 v1, 31, v2
	s_ashr_i32 s4, s4, 4
	v_cmp_gt_i32_e32 vcc_lo, s17, v2
	s_add_i32 s4, s4, -1
	buffer_gl0_inv
	v_lshrrev_b32_e32 v3, 28, v1
	v_or_b32_e32 v1, 16, v2
	s_mul_i32 s15, s15, s6
	s_delay_alu instid0(VALU_DEP_2) | instskip(SKIP_1) | instid1(SALU_CYCLE_1)
	v_add_nc_u32_e32 v4, v2, v3
	s_mul_i32 s20, s30, s7
	s_ashr_i32 s21, s20, 31
	s_delay_alu instid0(VALU_DEP_1) | instskip(SKIP_2) | instid1(SALU_CYCLE_1)
	v_ashrrev_i32_e32 v4, 4, v4
	v_add_nc_u32_e32 v3, v1, v3
	s_lshl_b64 s[20:21], s[20:21], 2
	s_add_u32 s2, s2, s20
	s_delay_alu instid0(VALU_DEP_2) | instskip(NEXT) | instid1(VALU_DEP_2)
	v_cndmask_b32_e32 v2, s4, v4, vcc_lo
	v_ashrrev_i32_e32 v3, 4, v3
	v_cmp_gt_i32_e32 vcc_lo, s17, v1
	s_addc_u32 s3, s3, s21
	s_ashr_i32 s6, s15, 31
	s_add_u32 s7, s8, s15
	s_addc_u32 s13, s9, s6
	v_cndmask_b32_e32 v4, s4, v3, vcc_lo
	v_ashrrev_i32_e32 v3, 31, v2
	s_lshl_b32 s8, s14, 4
	s_delay_alu instid0(SALU_CYCLE_1) | instskip(NEXT) | instid1(VALU_DEP_2)
	s_ashr_i32 s9, s8, 31
	v_ashrrev_i32_e32 v5, 31, v4
	s_delay_alu instid0(VALU_DEP_2) | instskip(SKIP_1) | instid1(SALU_CYCLE_1)
	v_lshlrev_b64 v[1:2], 2, v[2:3]
	s_lshl_b64 s[8:9], s[8:9], 2
	s_add_u32 s8, s2, s8
	s_delay_alu instid0(VALU_DEP_2) | instskip(SKIP_1) | instid1(VALU_DEP_2)
	v_lshlrev_b64 v[3:4], 2, v[4:5]
	s_addc_u32 s9, s3, s9
	v_add_co_u32 v1, vcc_lo, s2, v1
	v_add_co_ci_u32_e32 v2, vcc_lo, s3, v2, vcc_lo
	s_delay_alu instid0(VALU_DEP_3) | instskip(NEXT) | instid1(VALU_DEP_4)
	v_add_co_u32 v3, vcc_lo, s2, v3
	v_add_co_ci_u32_e32 v4, vcc_lo, s3, v4, vcc_lo
	s_clause 0x1
	global_load_b32 v5, v[1:2], off
	global_load_b32 v3, v[3:4], off
	v_lshlrev_b32_e32 v1, 4, v0
	s_or_b32 s16, s12, 32
	s_delay_alu instid0(SALU_CYCLE_1) | instskip(SKIP_1) | instid1(VALU_DEP_1)
	s_ashr_i32 s19, s16, 4
	s_cmp_lt_i32 s16, s17
	v_and_b32_e32 v1, 0xf0, v1
	s_cselect_b32 s20, s19, s4
	s_delay_alu instid0(SALU_CYCLE_1) | instskip(NEXT) | instid1(SALU_CYCLE_1)
	s_ashr_i32 s21, s20, 31
	s_lshl_b64 s[20:21], s[20:21], 2
	s_delay_alu instid0(VALU_DEP_1)
	v_add_co_u32 v1, s7, s7, v1
	s_add_u32 s20, s2, s20
	s_addc_u32 s21, s3, s21
	s_or_b32 s16, s12, 64
	v_add_co_ci_u32_e64 v2, null, s13, 0, s7
	s_ashr_i32 s19, s16, 4
	s_cmp_lt_i32 s16, s17
	s_cselect_b32 s22, s19, s4
	s_delay_alu instid0(SALU_CYCLE_1) | instskip(NEXT) | instid1(SALU_CYCLE_1)
	s_ashr_i32 s23, s22, 31
	s_lshl_b64 s[22:23], s[22:23], 2
	s_delay_alu instid0(SALU_CYCLE_1) | instskip(SKIP_2) | instid1(SALU_CYCLE_1)
	s_add_u32 s22, s2, s22
	s_addc_u32 s23, s3, s23
	s_or_b32 s16, s12, 0x60
	s_ashr_i32 s19, s16, 4
	s_cmp_lt_i32 s16, s17
	s_cselect_b32 s24, s19, s4
	s_delay_alu instid0(SALU_CYCLE_1) | instskip(NEXT) | instid1(SALU_CYCLE_1)
	s_ashr_i32 s25, s24, 31
	s_lshl_b64 s[24:25], s[24:25], 2
	s_delay_alu instid0(SALU_CYCLE_1) | instskip(SKIP_2) | instid1(SALU_CYCLE_1)
	s_add_u32 s24, s2, s24
	s_addc_u32 s25, s3, s25
	s_or_b32 s16, s12, 0x80
	;; [unrolled: 10-line block ×3, first 2 shown]
	s_ashr_i32 s19, s16, 4
	s_cmp_lt_i32 s16, s17
	s_cselect_b32 s28, s19, s4
	s_delay_alu instid0(SALU_CYCLE_1) | instskip(NEXT) | instid1(SALU_CYCLE_1)
	s_ashr_i32 s29, s28, 31
	s_lshl_b64 s[28:29], s[28:29], 2
	s_delay_alu instid0(SALU_CYCLE_1)
	s_add_u32 s28, s2, s28
	s_addc_u32 s29, s3, s29
	s_clause 0x5
	s_load_b32 s7, s[8:9], 0x0
	s_load_b32 s13, s[20:21], 0x0
	;; [unrolled: 1-line block ×6, first 2 shown]
	s_or_b32 s8, s12, 0xc0
	s_mov_b32 s20, 0
	s_ashr_i32 s9, s8, 4
	s_cmp_lt_i32 s8, s17
	s_mov_b32 s27, s20
	s_cselect_b32 s8, s9, s4
	s_mov_b32 s21, s20
	s_ashr_i32 s9, s8, 31
	s_mov_b32 s22, s20
	s_lshl_b64 s[8:9], s[8:9], 2
	s_mov_b32 s23, s20
	s_mov_b32 s24, s20
	;; [unrolled: 1-line block ×4, first 2 shown]
	v_dual_mov_b32 v107, s27 :: v_dual_mov_b32 v104, s24
	s_add_u32 s8, s2, s8
	v_dual_mov_b32 v106, s26 :: v_dual_mov_b32 v105, s25
	v_dual_mov_b32 v101, s21 :: v_dual_mov_b32 v100, s20
	s_addc_u32 s9, s3, s9
	v_dual_mov_b32 v103, s23 :: v_dual_mov_b32 v102, s22
	s_or_b32 s20, s12, 0xe0
	s_delay_alu instid0(SALU_CYCLE_1) | instskip(SKIP_2) | instid1(SALU_CYCLE_1)
	s_ashr_i32 s21, s20, 4
	s_cmp_lt_i32 s20, s17
	s_cselect_b32 s20, s21, s4
	s_ashr_i32 s21, s20, 31
	s_delay_alu instid0(SALU_CYCLE_1) | instskip(NEXT) | instid1(SALU_CYCLE_1)
	s_lshl_b64 s[20:21], s[20:21], 2
	s_add_u32 s2, s2, s20
	s_addc_u32 s3, s3, s21
	s_waitcnt vmcnt(1)
	v_mad_i64_i32 v[25:26], null, v5, s5, v[1:2]
	s_waitcnt vmcnt(0)
	v_mad_i64_i32 v[27:28], null, v3, s5, v[1:2]
	s_clause 0xf
	global_load_b128 v[1:4], v[25:26], off
	global_load_b128 v[5:8], v[25:26], off offset:256
	global_load_b128 v[9:12], v[27:28], off
	global_load_b128 v[13:16], v[27:28], off offset:256
	global_load_b128 v[17:20], v[25:26], off offset:512
	;; [unrolled: 1-line block ×13, first 2 shown]
	v_mul_lo_u16 v25, 0x56, v65
	v_lshlrev_b32_e32 v26, 4, v65
	s_delay_alu instid0(VALU_DEP_2) | instskip(NEXT) | instid1(VALU_DEP_2)
	v_lshrrev_b16 v25, 8, v25
	v_lshl_or_b32 v33, v66, 8, v26
	s_delay_alu instid0(VALU_DEP_2) | instskip(NEXT) | instid1(VALU_DEP_1)
	v_mul_lo_u16 v25, v25, 3
	v_sub_nc_u16 v25, v65, v25
	s_delay_alu instid0(VALU_DEP_1) | instskip(NEXT) | instid1(VALU_DEP_1)
	v_and_b32_e32 v25, 0xff, v25
	v_lshlrev_b32_e32 v72, 6, v25
	ds_load_b128 v[25:28], v72
	ds_load_b128 v[29:32], v72 offset:1024
	ds_load_b128 v[108:111], v72 offset:2048
	;; [unrolled: 1-line block ×3, first 2 shown]
	s_load_b32 s4, s[8:9], 0x0
	ds_load_b128 v[116:119], v72 offset:4096
	ds_load_b128 v[120:123], v72 offset:5120
	s_load_b32 s2, s[2:3], 0x0
	s_add_u32 s8, s10, s15
	s_addc_u32 s6, s11, s6
	v_add_co_u32 v68, s8, s8, v33
	s_delay_alu instid0(VALU_DEP_1) | instskip(SKIP_1) | instid1(VALU_DEP_1)
	v_add_co_ci_u32_e64 v69, null, s6, 0, s8
	s_waitcnt lgkmcnt(0)
	v_mad_i64_i32 v[33:34], null, s7, s5, v[68:69]
	v_mad_i64_i32 v[70:71], null, s16, s5, v[68:69]
	;; [unrolled: 1-line block ×7, first 2 shown]
	s_clause 0x3
	global_load_b128 v[41:44], v[33:34], off
	global_load_b128 v[45:48], v[33:34], off offset:16
	global_load_b128 v[33:36], v[37:38], off
	global_load_b128 v[37:40], v[37:38], off offset:16
	s_waitcnt vmcnt(18)
	v_wmma_f32_16x16x16_bf16 v[124:131], v[1:8], v[25:32], v[100:107]
	s_waitcnt vmcnt(16)
	v_wmma_f32_16x16x16_bf16 v[100:107], v[9:16], v[25:32], v[100:107]
	s_clause 0x1
	global_load_b128 v[25:28], v[70:71], off
	global_load_b128 v[29:32], v[70:71], off offset:16
	s_waitcnt vmcnt(16)
	v_wmma_f32_16x16x16_bf16 v[124:131], v[17:24], v[108:115], v[124:131]
	s_clause 0x1
	global_load_b128 v[17:20], v[132:133], off
	global_load_b128 v[21:24], v[132:133], off offset:16
	s_waitcnt vmcnt(16)
	v_wmma_f32_16x16x16_bf16 v[100:107], v[49:56], v[108:115], v[100:107]
	v_mad_i64_i32 v[53:54], null, s2, s5, v[68:69]
	s_clause 0x3
	global_load_b128 v[1:4], v[134:135], off
	global_load_b128 v[5:8], v[134:135], off offset:16
	global_load_b128 v[9:12], v[136:137], off
	global_load_b128 v[13:16], v[136:137], off offset:16
	s_waitcnt vmcnt(18)
	v_wmma_f32_16x16x16_bf16 v[124:131], v[57:64], v[116:123], v[124:131]
	s_clause 0x3
	global_load_b128 v[57:60], v[138:139], off
	global_load_b128 v[61:64], v[138:139], off offset:16
	global_load_b128 v[49:52], v[53:54], off
	global_load_b128 v[53:56], v[53:54], off offset:16
	v_mbcnt_lo_u32_b32 v69, -1, 0
	s_waitcnt vmcnt(20)
	v_wmma_f32_16x16x16_bf16 v[100:107], v[76:83], v[116:123], v[100:107]
	s_delay_alu instid0(VALU_DEP_2) | instskip(NEXT) | instid1(VALU_DEP_1)
	v_xor_b32_e32 v70, 16, v69
	v_cmp_gt_i32_e32 vcc_lo, 32, v70
	v_cndmask_b32_e32 v69, v69, v70, vcc_lo
	ds_load_b128 v[76:79], v72 offset:6144
	ds_load_b128 v[80:83], v72 offset:7168
	s_waitcnt vmcnt(0) lgkmcnt(0)
	s_barrier
	buffer_gl0_inv
	v_wmma_f32_16x16x16_bf16 v[124:131], v[84:91], v[76:83], v[124:131]
	v_and_b32_e32 v68, 0xe0, v0
	v_wmma_f32_16x16x16_bf16 v[100:107], v[92:99], v[76:83], v[100:107]
	s_delay_alu instid0(VALU_DEP_2) | instskip(NEXT) | instid1(VALU_DEP_4)
	v_dual_mul_f32 v79, s18, v127 :: v_dual_add_nc_u32 v68, s12, v68
	v_mul_f32_e32 v81, s18, v129
	v_dual_mul_f32 v78, s18, v125 :: v_dual_mul_f32 v83, s18, v131
	s_delay_alu instid0(VALU_DEP_4) | instskip(NEXT) | instid1(VALU_DEP_4)
	v_dual_mul_f32 v80, s18, v126 :: v_dual_mul_f32 v95, s18, v103
	v_or_b32_e32 v68, v68, v74
	v_dual_mul_f32 v93, s18, v101 :: v_dual_mul_f32 v82, s18, v128
	v_dual_mul_f32 v97, s18, v105 :: v_dual_mul_f32 v92, s18, v130
	v_mul_f32_e32 v99, s18, v107
	s_delay_alu instid0(VALU_DEP_4)
	v_or_b32_e32 v70, 2, v68
	v_or_b32_e32 v71, 4, v68
	;; [unrolled: 1-line block ×3, first 2 shown]
	v_cmp_gt_i32_e64 s2, s17, v68
	v_or_b32_e32 v108, 8, v68
	v_cmp_gt_i32_e32 vcc_lo, s17, v70
	v_mul_f32_e32 v70, s18, v124
	v_or_b32_e32 v109, 10, v68
	v_cmp_gt_i32_e64 s3, s17, v71
	v_cmp_gt_i32_e64 s4, s17, v72
	v_cndmask_b32_e32 v78, 0xff7fffff, v78, vcc_lo
	v_cndmask_b32_e64 v70, 0xff7fffff, v70, s2
	v_or_b32_e32 v84, 12, v68
	v_or_b32_e32 v85, 14, v68
	v_cndmask_b32_e64 v71, 0xff7fffff, v80, s3
	v_cndmask_b32_e64 v72, 0xff7fffff, v79, s4
	v_max3_f32 v70, v70, 0xff7fffff, v78
	v_cmp_gt_i32_e64 s5, s17, v108
	v_cmp_gt_i32_e64 s6, s17, v109
	v_or_b32_e32 v86, 16, v68
	v_or_b32_e32 v87, 18, v68
	v_max3_f32 v70, v70, v71, v72
	v_cndmask_b32_e64 v78, 0xff7fffff, v82, s5
	v_cndmask_b32_e64 v79, 0xff7fffff, v81, s6
	v_cmp_gt_i32_e64 s7, s17, v84
	v_cmp_gt_i32_e64 s8, s17, v85
	v_or_b32_e32 v88, 20, v68
	v_or_b32_e32 v89, 22, v68
	v_mul_f32_e32 v94, s18, v100
	v_cndmask_b32_e64 v71, 0xff7fffff, v92, s7
	v_cndmask_b32_e64 v72, 0xff7fffff, v83, s8
	v_max3_f32 v70, v70, v78, v79
	v_cmp_gt_i32_e64 s9, s17, v86
	v_cmp_gt_i32_e64 s10, s17, v87
	v_or_b32_e32 v90, 24, v68
	v_or_b32_e32 v91, 26, v68
	v_mul_f32_e32 v96, s18, v102
	v_max3_f32 v70, v70, v71, v72
	v_cndmask_b32_e64 v79, 0xff7fffff, v93, s10
	v_cmp_gt_i32_e64 s11, s17, v88
	v_cmp_gt_i32_e64 s12, s17, v89
	v_lshlrev_b32_e32 v89, 2, v69
	v_cndmask_b32_e64 v78, 0xff7fffff, v94, s9
	v_or_b32_e32 v76, 28, v68
	v_or_b32_e32 v77, 30, v68
	v_mul_f32_e32 v98, s18, v104
	v_cndmask_b32_e64 v71, 0xff7fffff, v96, s11
	v_cndmask_b32_e64 v72, 0xff7fffff, v95, s12
	v_max3_f32 v70, v70, v78, v79
	v_cmp_gt_i32_e64 s13, s17, v90
	v_cmp_gt_i32_e64 s15, s17, v91
	v_mul_f32_e32 v68, s18, v106
	v_cmp_gt_i32_e64 s16, s17, v76
	v_max3_f32 v70, v70, v71, v72
	v_cndmask_b32_e64 v78, 0xff7fffff, v98, s13
	v_cndmask_b32_e64 v79, 0xff7fffff, v97, s15
	v_cmp_gt_i32_e64 s17, s17, v77
	v_cndmask_b32_e64 v68, 0xff7fffff, v68, s16
	s_delay_alu instid0(VALU_DEP_3) | instskip(NEXT) | instid1(VALU_DEP_3)
	v_max3_f32 v70, v70, v78, v79
	v_cndmask_b32_e64 v71, 0xff7fffff, v99, s17
	s_delay_alu instid0(VALU_DEP_1) | instskip(SKIP_3) | instid1(VALU_DEP_1)
	v_max3_f32 v68, v70, v68, v71
	ds_bpermute_b32 v69, v89, v68
	s_waitcnt lgkmcnt(0)
	v_max_f32_e32 v69, v69, v69
	v_max_f32_e32 v68, v68, v69
	s_delay_alu instid0(VALU_DEP_1) | instskip(NEXT) | instid1(VALU_DEP_1)
	v_fma_f32 v76, s18, v128, -v68
	v_mul_f32_e32 v77, 0x3fb8aa3b, v76
	v_fma_f32 v71, s18, v126, -v68
	v_fma_f32 v69, s18, v124, -v68
	;; [unrolled: 1-line block ×4, first 2 shown]
	v_exp_f32_e32 v77, v77
	v_mul_f32_e32 v71, 0x3fb8aa3b, v71
	v_mul_f32_e32 v69, 0x3fb8aa3b, v69
	v_fma_f32 v81, s18, v105, -v68
	v_fma_f32 v78, s18, v130, -v68
	s_delay_alu instid0(VALU_DEP_4) | instskip(NEXT) | instid1(VALU_DEP_3)
	v_exp_f32_e32 v71, v71
	v_exp_f32_e32 v69, v69
	s_delay_alu instid0(VALU_DEP_2) | instskip(NEXT) | instid1(TRANS32_DEP_3)
	v_mul_f32_e32 v81, 0x3fb8aa3b, v81
	v_cndmask_b32_e64 v86, 0, v77, s5
	v_fma_f32 v77, s18, v101, -v68
	s_delay_alu instid0(VALU_DEP_3) | instskip(NEXT) | instid1(TRANS32_DEP_3)
	v_exp_f32_e32 v81, v81
	v_cndmask_b32_e64 v83, 0, v71, s3
	v_fma_f32 v71, s18, v131, -v68
	v_mul_f32_e32 v72, 0x3fb8aa3b, v72
	s_delay_alu instid0(TRANS32_DEP_2) | instskip(SKIP_1) | instid1(VALU_DEP_4)
	v_cndmask_b32_e64 v80, 0, v69, s2
	v_fma_f32 v69, s18, v129, -v68
	v_dual_mul_f32 v70, 0x3fb8aa3b, v70 :: v_dual_mul_f32 v71, 0x3fb8aa3b, v71
	s_delay_alu instid0(VALU_DEP_4) | instskip(SKIP_1) | instid1(VALU_DEP_3)
	v_exp_f32_e32 v72, v72
	v_mul_f32_e32 v77, 0x3fb8aa3b, v77
	v_mul_f32_e32 v69, 0x3fb8aa3b, v69
	s_delay_alu instid0(VALU_DEP_3)
	v_exp_f32_e32 v70, v70
	v_exp_f32_e32 v71, v71
	v_cmp_gt_u32_e64 s2, 16, v67
	v_exp_f32_e32 v77, v77
	v_exp_f32_e32 v69, v69
	v_cndmask_b32_e64 v85, 0, v72, s4
	v_fma_f32 v72, s18, v100, -v68
	v_cndmask_b32_e32 v76, 0, v70, vcc_lo
	s_delay_alu instid0(TRANS32_DEP_3) | instskip(SKIP_2) | instid1(TRANS32_DEP_1)
	v_cndmask_b32_e64 v88, 0, v71, s8
	v_fma_f32 v71, s18, v104, -v68
	v_add_f32_e32 v70, 0, v80
	v_cndmask_b32_e64 v87, 0, v69, s6
	s_delay_alu instid0(VALU_DEP_2) | instskip(NEXT) | instid1(VALU_DEP_1)
	v_dual_mul_f32 v71, 0x3fb8aa3b, v71 :: v_dual_add_f32 v70, v70, v76
	v_exp_f32_e32 v82, v71
	s_delay_alu instid0(VALU_DEP_1) | instskip(NEXT) | instid1(VALU_DEP_1)
	v_add_f32_e32 v70, v70, v83
	v_add_f32_e32 v70, v70, v85
	s_delay_alu instid0(VALU_DEP_1) | instskip(SKIP_1) | instid1(VALU_DEP_2)
	v_dual_mul_f32 v72, 0x3fb8aa3b, v72 :: v_dual_add_f32 v69, v70, v86
	v_fma_f32 v70, s18, v102, -v68
	v_exp_f32_e32 v72, v72
	s_delay_alu instid0(VALU_DEP_2) | instskip(NEXT) | instid1(VALU_DEP_2)
	v_dual_add_f32 v69, v69, v87 :: v_dual_mul_f32 v78, 0x3fb8aa3b, v78
	v_mul_f32_e32 v70, 0x3fb8aa3b, v70
	s_delay_alu instid0(VALU_DEP_2) | instskip(NEXT) | instid1(VALU_DEP_1)
	v_exp_f32_e32 v78, v78
	v_exp_f32_e32 v79, v70
	s_delay_alu instid0(TRANS32_DEP_3) | instskip(SKIP_4) | instid1(VALU_DEP_3)
	v_cndmask_b32_e64 v70, 0, v72, s9
	s_waitcnt_depctr 0xfff
	v_cndmask_b32_e64 v84, 0, v78, s7
	v_fma_f32 v78, s18, v103, -v68
	v_cndmask_b32_e64 v71, 0, v79, s11
	v_add_f32_e32 v69, v69, v84
	s_delay_alu instid0(VALU_DEP_1) | instskip(SKIP_2) | instid1(VALU_DEP_1)
	v_add_f32_e32 v72, v69, v88
	v_cndmask_b32_e64 v69, 0, v77, s10
	v_fma_f32 v77, s18, v106, -v68
	v_dual_add_f32 v72, v72, v70 :: v_dual_mul_f32 v77, 0x3fb8aa3b, v77
	s_delay_alu instid0(VALU_DEP_1) | instskip(NEXT) | instid1(VALU_DEP_2)
	v_add_f32_e32 v79, v72, v69
	v_exp_f32_e32 v90, v77
	v_cndmask_b32_e64 v77, 0, v82, s13
	v_mul_f32_e32 v78, 0x3fb8aa3b, v78
	s_delay_alu instid0(VALU_DEP_1) | instskip(SKIP_4) | instid1(VALU_DEP_1)
	v_exp_f32_e32 v78, v78
	s_waitcnt_depctr 0xfff
	v_cndmask_b32_e64 v72, 0, v78, s12
	v_add_f32_e32 v78, v79, v71
	v_fma_f32 v79, s18, v107, -v68
	v_dual_add_f32 v82, v78, v72 :: v_dual_mul_f32 v79, 0x3fb8aa3b, v79
	v_cndmask_b32_e64 v78, 0, v81, s15
	s_delay_alu instid0(VALU_DEP_2) | instskip(NEXT) | instid1(VALU_DEP_3)
	v_add_f32_e32 v81, v82, v77
	v_exp_f32_e32 v82, v79
	v_cndmask_b32_e64 v79, 0, v90, s16
	s_delay_alu instid0(VALU_DEP_2) | instskip(NEXT) | instid1(VALU_DEP_1)
	v_add_f32_e32 v81, v81, v78
	v_add_f32_e32 v90, v81, v79
	s_waitcnt_depctr 0xfff
	v_cndmask_b32_e64 v81, 0, v82, s17
	s_delay_alu instid0(VALU_DEP_1)
	v_add_f32_e32 v82, v90, v81
	ds_bpermute_b32 v89, v89, v82
	s_and_saveexec_b32 s3, s2
	s_cbranch_execz .LBB1808_12
; %bb.11:
	v_mul_u32_u24_e32 v67, 0x44, v66
	s_delay_alu instid0(VALU_DEP_1) | instskip(SKIP_1) | instid1(VALU_DEP_1)
	v_lshl_add_u32 v67, v65, 2, v67
	s_waitcnt lgkmcnt(0)
	v_dual_add_f32 v82, v82, v89 :: v_dual_add_nc_u32 v67, 0x4000, v67
	ds_store_2addr_b32 v67, v68, v82 offset1:136
.LBB1808_12:
	s_or_b32 exec_lo, exec_lo, s3
	v_lshlrev_b32_e32 v67, 2, v65
	s_waitcnt lgkmcnt(0)
	s_barrier
	buffer_gl0_inv
	v_cmp_eq_u32_e32 vcc_lo, 1, v66
	v_add_nc_u32_e32 v82, 0x4000, v67
	v_cmp_eq_u32_e64 s3, 2, v66
	v_cmp_eq_u32_e64 s5, 7, v66
	ds_load_2addr_b32 v[89:90], v82 offset1:17
	ds_load_2addr_b32 v[91:92], v82 offset0:34 offset1:51
	ds_load_2addr_b32 v[93:94], v82 offset0:68 offset1:85
	;; [unrolled: 1-line block ×4, first 2 shown]
	s_waitcnt lgkmcnt(4)
	v_max3_f32 v67, v89, 0xff7fffff, v90
	s_waitcnt lgkmcnt(3)
	s_delay_alu instid0(VALU_DEP_1) | instskip(SKIP_1) | instid1(VALU_DEP_1)
	v_max3_f32 v67, v67, v91, v92
	s_waitcnt lgkmcnt(2)
	v_max3_f32 v67, v67, v93, v94
	s_waitcnt lgkmcnt(1)
	s_delay_alu instid0(VALU_DEP_1) | instskip(NEXT) | instid1(VALU_DEP_1)
	v_max3_f32 v67, v67, v95, v96
	v_sub_f32_e32 v93, v93, v67
	s_delay_alu instid0(VALU_DEP_1) | instskip(NEXT) | instid1(VALU_DEP_1)
	v_dual_sub_f32 v68, v89, v67 :: v_dual_mul_f32 v103, 0x3fb8aa3b, v93
	v_mul_f32_e32 v68, 0x3fb8aa3b, v68
	s_delay_alu instid0(VALU_DEP_1)
	v_exp_f32_e32 v100, v68
	v_sub_f32_e32 v68, v92, v67
	v_sub_f32_e32 v99, v90, v67
	ds_load_2addr_b32 v[89:90], v82 offset0:170 offset1:187
	v_dual_mul_f32 v102, 0x3fb8aa3b, v68 :: v_dual_mul_f32 v99, 0x3fb8aa3b, v99
	s_waitcnt lgkmcnt(1)
	v_fma_f32 v68, v100, v97, 0
	s_delay_alu instid0(VALU_DEP_2) | instskip(NEXT) | instid1(VALU_DEP_2)
	v_exp_f32_e32 v102, v102
	v_exp_f32_e32 v99, v99
	s_waitcnt_depctr 0xfff
	v_fmac_f32_e32 v68, v99, v98
	v_sub_f32_e32 v91, v91, v67
	s_delay_alu instid0(VALU_DEP_1)
	v_mul_f32_e32 v101, 0x3fb8aa3b, v91
	ds_load_2addr_b32 v[91:92], v82 offset0:204 offset1:221
	v_sub_f32_e32 v97, v94, v67
	ds_load_2addr_b32 v[93:94], v82 offset0:238 offset1:255
	s_waitcnt lgkmcnt(0)
	v_exp_f32_e32 v101, v101
	s_barrier
	buffer_gl0_inv
	v_dual_fmac_f32 v68, v101, v89 :: v_dual_sub_f32 v89, v96, v67
	v_dual_sub_f32 v82, v95, v67 :: v_dual_mul_f32 v95, 0x3fb8aa3b, v97
	v_exp_f32_e32 v97, v103
	s_delay_alu instid0(VALU_DEP_2) | instskip(NEXT) | instid1(VALU_DEP_2)
	v_dual_fmac_f32 v68, v102, v90 :: v_dual_mul_f32 v89, 0x3fb8aa3b, v89
	v_mul_f32_e32 v82, 0x3fb8aa3b, v82
	s_delay_alu instid0(VALU_DEP_3) | instskip(NEXT) | instid1(VALU_DEP_2)
	v_exp_f32_e32 v95, v95
	v_exp_f32_e32 v89, v89
	s_delay_alu instid0(VALU_DEP_1)
	v_exp_f32_e32 v82, v82
	v_fmac_f32_e32 v68, v97, v91
	s_delay_alu instid0(TRANS32_DEP_3) | instid1(VALU_DEP_1)
	v_fmac_f32_e32 v68, v95, v92
	s_waitcnt_depctr 0xfff
	v_fmac_f32_e32 v68, v82, v93
	s_delay_alu instid0(VALU_DEP_1) | instskip(NEXT) | instid1(VALU_DEP_1)
	v_fmac_f32_e32 v68, v89, v94
	v_add_f32_e32 v90, 0x358637bd, v68
	s_delay_alu instid0(VALU_DEP_1) | instskip(NEXT) | instid1(VALU_DEP_1)
	v_div_scale_f32 v91, null, v90, v90, 1.0
	v_rcp_f32_e32 v92, v91
	s_waitcnt_depctr 0xfff
	v_fma_f32 v93, -v91, v92, 1.0
	s_delay_alu instid0(VALU_DEP_1) | instskip(SKIP_1) | instid1(VALU_DEP_2)
	v_dual_fmac_f32 v92, v93, v92 :: v_dual_cndmask_b32 v93, v100, v99
	v_cmp_eq_u32_e32 vcc_lo, 3, v66
	v_cndmask_b32_e64 v93, v93, v101, s3
	v_cmp_eq_u32_e64 s3, 4, v66
	s_delay_alu instid0(VALU_DEP_2) | instskip(SKIP_1) | instid1(VALU_DEP_2)
	v_cndmask_b32_e32 v93, v93, v102, vcc_lo
	v_cmp_eq_u32_e32 vcc_lo, 5, v66
	v_cndmask_b32_e64 v93, v93, v97, s3
	v_cmp_eq_u32_e64 s3, 6, v66
	s_delay_alu instid0(VALU_DEP_2) | instskip(SKIP_1) | instid1(VALU_DEP_1)
	v_cndmask_b32_e32 v93, v93, v95, vcc_lo
	v_div_scale_f32 v94, s4, 1.0, v90, 1.0
	s_mov_b32 vcc_lo, s4
	s_delay_alu instid0(VALU_DEP_2) | instskip(NEXT) | instid1(VALU_DEP_2)
	v_cndmask_b32_e64 v82, v93, v82, s3
	v_mul_f32_e32 v96, v94, v92
	s_mov_b32 s3, exec_lo
	s_delay_alu instid0(VALU_DEP_2) | instskip(NEXT) | instid1(VALU_DEP_2)
	v_cndmask_b32_e64 v82, v82, v89, s5
	v_fma_f32 v98, -v91, v96, v94
	s_delay_alu instid0(VALU_DEP_1) | instskip(NEXT) | instid1(VALU_DEP_1)
	v_fmac_f32_e32 v96, v98, v92
	v_fma_f32 v91, -v91, v96, v94
	s_delay_alu instid0(VALU_DEP_1) | instskip(NEXT) | instid1(VALU_DEP_1)
	v_div_fmas_f32 v91, v91, v92, v96
	v_div_fixup_f32 v90, v91, v90, 1.0
	s_delay_alu instid0(VALU_DEP_1) | instskip(NEXT) | instid1(VALU_DEP_1)
	v_mul_f32_e32 v82, v82, v90
	v_mul_f32_e32 v87, v82, v87
	;; [unrolled: 1-line block ×7, first 2 shown]
	v_dual_mul_f32 v86, v82, v83 :: v_dual_and_b32 v91, 0x7f800000, v90
	v_mul_f32_e32 v85, v82, v76
                                        ; implicit-def: $vgpr76
	s_delay_alu instid0(VALU_DEP_2)
	v_cmpx_ne_u32_e32 0x7f800000, v91
	s_xor_b32 s3, exec_lo, s3
; %bb.13:
	v_bfe_u32 v76, v90, 16, 1
	s_delay_alu instid0(VALU_DEP_1)
	v_add3_u32 v76, v90, v76, 0x7fff
                                        ; implicit-def: $vgpr90
; %bb.14:
	s_and_not1_saveexec_b32 s3, s3
; %bb.15:
	v_and_b32_e32 v76, 0xffff, v90
	v_or_b32_e32 v83, 0x10000, v90
	s_delay_alu instid0(VALU_DEP_2) | instskip(NEXT) | instid1(VALU_DEP_2)
	v_cmp_eq_u32_e32 vcc_lo, 0, v76
	v_cndmask_b32_e32 v76, v83, v90, vcc_lo
; %bb.16:
	s_or_b32 exec_lo, exec_lo, s3
	v_and_b32_e32 v83, 0x7f800000, v85
	s_delay_alu instid0(VALU_DEP_1) | instskip(SKIP_1) | instid1(SALU_CYCLE_1)
	v_cmp_ne_u32_e32 vcc_lo, 0x7f800000, v83
                                        ; implicit-def: $vgpr83
	s_and_saveexec_b32 s3, vcc_lo
	s_xor_b32 s3, exec_lo, s3
; %bb.17:
	v_bfe_u32 v83, v85, 16, 1
	s_delay_alu instid0(VALU_DEP_1)
	v_add3_u32 v83, v85, v83, 0x7fff
                                        ; implicit-def: $vgpr85
; %bb.18:
	s_and_not1_saveexec_b32 s3, s3
; %bb.19:
	v_and_b32_e32 v83, 0xffff, v85
	v_or_b32_e32 v90, 0x10000, v85
	s_delay_alu instid0(VALU_DEP_2) | instskip(NEXT) | instid1(VALU_DEP_2)
	v_cmp_eq_u32_e32 vcc_lo, 0, v83
	v_cndmask_b32_e32 v83, v90, v85, vcc_lo
; %bb.20:
	s_or_b32 exec_lo, exec_lo, s3
	v_and_b32_e32 v85, 0x7f800000, v86
	s_delay_alu instid0(VALU_DEP_1) | instskip(SKIP_1) | instid1(SALU_CYCLE_1)
	v_cmp_ne_u32_e32 vcc_lo, 0x7f800000, v85
                                        ; implicit-def: $vgpr85
	s_and_saveexec_b32 s3, vcc_lo
	s_xor_b32 s3, exec_lo, s3
; %bb.21:
	v_bfe_u32 v85, v86, 16, 1
	s_delay_alu instid0(VALU_DEP_1)
	v_add3_u32 v85, v86, v85, 0x7fff
                                        ; implicit-def: $vgpr86
; %bb.22:
	s_and_not1_saveexec_b32 s3, s3
; %bb.23:
	v_and_b32_e32 v85, 0xffff, v86
	v_or_b32_e32 v90, 0x10000, v86
	s_delay_alu instid0(VALU_DEP_2) | instskip(NEXT) | instid1(VALU_DEP_2)
	v_cmp_eq_u32_e32 vcc_lo, 0, v85
	v_cndmask_b32_e32 v85, v90, v86, vcc_lo
; %bb.24:
	s_or_b32 exec_lo, exec_lo, s3
	v_and_b32_e32 v86, 0x7f800000, v89
	s_delay_alu instid0(VALU_DEP_1) | instskip(SKIP_1) | instid1(SALU_CYCLE_1)
	v_cmp_ne_u32_e32 vcc_lo, 0x7f800000, v86
                                        ; implicit-def: $vgpr86
	s_and_saveexec_b32 s3, vcc_lo
	s_xor_b32 s3, exec_lo, s3
; %bb.25:
	v_bfe_u32 v86, v89, 16, 1
	s_delay_alu instid0(VALU_DEP_1)
	v_add3_u32 v86, v89, v86, 0x7fff
                                        ; implicit-def: $vgpr89
; %bb.26:
	s_and_not1_saveexec_b32 s3, s3
; %bb.27:
	v_and_b32_e32 v86, 0xffff, v89
	v_or_b32_e32 v90, 0x10000, v89
	s_delay_alu instid0(VALU_DEP_2) | instskip(NEXT) | instid1(VALU_DEP_2)
	v_cmp_eq_u32_e32 vcc_lo, 0, v86
	v_cndmask_b32_e32 v86, v90, v89, vcc_lo
; %bb.28:
	s_or_b32 exec_lo, exec_lo, s3
	v_and_b32_e32 v89, 0x7f800000, v88
	s_delay_alu instid0(VALU_DEP_1) | instskip(SKIP_1) | instid1(SALU_CYCLE_1)
	v_cmp_ne_u32_e32 vcc_lo, 0x7f800000, v89
                                        ; implicit-def: $vgpr89
	s_and_saveexec_b32 s3, vcc_lo
	s_xor_b32 s3, exec_lo, s3
; %bb.29:
	v_bfe_u32 v89, v88, 16, 1
	s_delay_alu instid0(VALU_DEP_1)
	v_add3_u32 v89, v88, v89, 0x7fff
                                        ; implicit-def: $vgpr88
; %bb.30:
	s_and_not1_saveexec_b32 s3, s3
; %bb.31:
	v_and_b32_e32 v89, 0xffff, v88
	v_or_b32_e32 v90, 0x10000, v88
	s_delay_alu instid0(VALU_DEP_2) | instskip(NEXT) | instid1(VALU_DEP_2)
	v_cmp_eq_u32_e32 vcc_lo, 0, v89
	v_cndmask_b32_e32 v89, v90, v88, vcc_lo
; %bb.32:
	s_or_b32 exec_lo, exec_lo, s3
	v_and_b32_e32 v88, 0x7f800000, v87
	s_delay_alu instid0(VALU_DEP_1) | instskip(SKIP_1) | instid1(SALU_CYCLE_1)
	v_cmp_ne_u32_e32 vcc_lo, 0x7f800000, v88
                                        ; implicit-def: $vgpr88
	s_and_saveexec_b32 s3, vcc_lo
	s_xor_b32 s3, exec_lo, s3
; %bb.33:
	v_bfe_u32 v88, v87, 16, 1
	s_delay_alu instid0(VALU_DEP_1)
	v_add3_u32 v88, v87, v88, 0x7fff
                                        ; implicit-def: $vgpr87
; %bb.34:
	s_and_not1_saveexec_b32 s3, s3
; %bb.35:
	v_and_b32_e32 v88, 0xffff, v87
	v_or_b32_e32 v90, 0x10000, v87
	s_delay_alu instid0(VALU_DEP_2) | instskip(NEXT) | instid1(VALU_DEP_2)
	v_cmp_eq_u32_e32 vcc_lo, 0, v88
	v_cndmask_b32_e32 v88, v90, v87, vcc_lo
; %bb.36:
	s_or_b32 exec_lo, exec_lo, s3
	v_and_b32_e32 v87, 0x7f800000, v84
	s_delay_alu instid0(VALU_DEP_1) | instskip(SKIP_1) | instid1(SALU_CYCLE_1)
	v_cmp_ne_u32_e32 vcc_lo, 0x7f800000, v87
                                        ; implicit-def: $vgpr87
	s_and_saveexec_b32 s3, vcc_lo
	s_xor_b32 s3, exec_lo, s3
; %bb.37:
	v_bfe_u32 v87, v84, 16, 1
	s_delay_alu instid0(VALU_DEP_1)
	v_add3_u32 v87, v84, v87, 0x7fff
                                        ; implicit-def: $vgpr84
; %bb.38:
	s_and_not1_saveexec_b32 s3, s3
; %bb.39:
	v_and_b32_e32 v87, 0xffff, v84
	v_or_b32_e32 v90, 0x10000, v84
	s_delay_alu instid0(VALU_DEP_2) | instskip(NEXT) | instid1(VALU_DEP_2)
	v_cmp_eq_u32_e32 vcc_lo, 0, v87
	v_cndmask_b32_e32 v87, v90, v84, vcc_lo
; %bb.40:
	s_or_b32 exec_lo, exec_lo, s3
	v_and_b32_e32 v84, 0x7f800000, v80
	s_delay_alu instid0(VALU_DEP_1) | instskip(SKIP_1) | instid1(SALU_CYCLE_1)
	v_cmp_ne_u32_e32 vcc_lo, 0x7f800000, v84
                                        ; implicit-def: $vgpr84
	s_and_saveexec_b32 s3, vcc_lo
	s_xor_b32 s3, exec_lo, s3
; %bb.41:
	v_bfe_u32 v84, v80, 16, 1
	s_delay_alu instid0(VALU_DEP_1)
	v_add3_u32 v84, v80, v84, 0x7fff
                                        ; implicit-def: $vgpr80
; %bb.42:
	s_and_not1_saveexec_b32 s3, s3
; %bb.43:
	v_and_b32_e32 v84, 0xffff, v80
	v_or_b32_e32 v90, 0x10000, v80
	s_delay_alu instid0(VALU_DEP_2) | instskip(NEXT) | instid1(VALU_DEP_2)
	v_cmp_eq_u32_e32 vcc_lo, 0, v84
	v_cndmask_b32_e32 v84, v90, v80, vcc_lo
; %bb.44:
	s_or_b32 exec_lo, exec_lo, s3
	s_load_b64 s[34:35], s[0:1], 0x94
	v_lshlrev_b32_e32 v91, 4, v74
	s_delay_alu instid0(VALU_DEP_2)
	v_perm_b32 v90, v84, v87, 0x7060302
	v_dual_mul_f32 v79, v82, v79 :: v_dual_lshlrev_b32 v80, 6, v65
	v_dual_mul_f32 v77, v82, v77 :: v_dual_lshlrev_b32 v92, 11, v66
	v_mul_f32_e32 v84, v82, v70
	v_perm_b32 v89, v88, v89, 0x7060302
	v_perm_b32 v88, v86, v85, 0x7060302
	;; [unrolled: 1-line block ×3, first 2 shown]
	v_mul_f32_e32 v70, v82, v81
	v_or3_b32 v76, v91, v92, v80
	v_dual_mul_f32 v78, v82, v78 :: v_dual_and_b32 v85, 0x7f800000, v84
	v_mul_f32_e32 v83, v82, v72
	v_mul_f32_e32 v81, v82, v71
	;; [unrolled: 1-line block ×3, first 2 shown]
	s_mov_b32 s3, exec_lo
	ds_store_b128 v76, v[87:90]
                                        ; implicit-def: $vgpr69
	v_cmpx_ne_u32_e32 0x7f800000, v85
	s_xor_b32 s3, exec_lo, s3
; %bb.45:
	v_bfe_u32 v69, v84, 16, 1
	s_delay_alu instid0(VALU_DEP_1)
	v_add3_u32 v69, v84, v69, 0x7fff
                                        ; implicit-def: $vgpr84
; %bb.46:
	s_and_not1_saveexec_b32 s3, s3
; %bb.47:
	v_and_b32_e32 v69, 0xffff, v84
	v_or_b32_e32 v71, 0x10000, v84
	s_delay_alu instid0(VALU_DEP_2) | instskip(NEXT) | instid1(VALU_DEP_2)
	v_cmp_eq_u32_e32 vcc_lo, 0, v69
	v_cndmask_b32_e32 v69, v71, v84, vcc_lo
; %bb.48:
	s_or_b32 exec_lo, exec_lo, s3
	v_and_b32_e32 v71, 0x7f800000, v72
	s_delay_alu instid0(VALU_DEP_1) | instskip(SKIP_1) | instid1(SALU_CYCLE_1)
	v_cmp_ne_u32_e32 vcc_lo, 0x7f800000, v71
                                        ; implicit-def: $vgpr71
	s_and_saveexec_b32 s3, vcc_lo
	s_xor_b32 s3, exec_lo, s3
; %bb.49:
	v_bfe_u32 v71, v72, 16, 1
	s_delay_alu instid0(VALU_DEP_1)
	v_add3_u32 v71, v72, v71, 0x7fff
                                        ; implicit-def: $vgpr72
; %bb.50:
	s_and_not1_saveexec_b32 s3, s3
; %bb.51:
	v_and_b32_e32 v71, 0xffff, v72
	v_or_b32_e32 v82, 0x10000, v72
	s_delay_alu instid0(VALU_DEP_2) | instskip(NEXT) | instid1(VALU_DEP_2)
	v_cmp_eq_u32_e32 vcc_lo, 0, v71
	v_cndmask_b32_e32 v71, v82, v72, vcc_lo
; %bb.52:
	s_or_b32 exec_lo, exec_lo, s3
	v_and_b32_e32 v72, 0x7f800000, v81
	s_delay_alu instid0(VALU_DEP_1) | instskip(SKIP_1) | instid1(SALU_CYCLE_1)
	v_cmp_ne_u32_e32 vcc_lo, 0x7f800000, v72
                                        ; implicit-def: $vgpr72
	s_and_saveexec_b32 s3, vcc_lo
	s_xor_b32 s3, exec_lo, s3
; %bb.53:
	v_bfe_u32 v72, v81, 16, 1
	s_delay_alu instid0(VALU_DEP_1)
	v_add3_u32 v72, v81, v72, 0x7fff
                                        ; implicit-def: $vgpr81
; %bb.54:
	s_and_not1_saveexec_b32 s3, s3
; %bb.55:
	v_and_b32_e32 v72, 0xffff, v81
	v_or_b32_e32 v82, 0x10000, v81
	s_delay_alu instid0(VALU_DEP_2) | instskip(NEXT) | instid1(VALU_DEP_2)
	v_cmp_eq_u32_e32 vcc_lo, 0, v72
	v_cndmask_b32_e32 v72, v82, v81, vcc_lo
; %bb.56:
	s_or_b32 exec_lo, exec_lo, s3
	v_and_b32_e32 v81, 0x7f800000, v83
	s_delay_alu instid0(VALU_DEP_1) | instskip(SKIP_1) | instid1(SALU_CYCLE_1)
	v_cmp_ne_u32_e32 vcc_lo, 0x7f800000, v81
                                        ; implicit-def: $vgpr81
	s_and_saveexec_b32 s3, vcc_lo
	s_xor_b32 s3, exec_lo, s3
; %bb.57:
	v_bfe_u32 v81, v83, 16, 1
	s_delay_alu instid0(VALU_DEP_1)
	v_add3_u32 v81, v83, v81, 0x7fff
                                        ; implicit-def: $vgpr83
; %bb.58:
	s_and_not1_saveexec_b32 s3, s3
; %bb.59:
	v_and_b32_e32 v81, 0xffff, v83
	v_or_b32_e32 v82, 0x10000, v83
	s_delay_alu instid0(VALU_DEP_2) | instskip(NEXT) | instid1(VALU_DEP_2)
	v_cmp_eq_u32_e32 vcc_lo, 0, v81
	v_cndmask_b32_e32 v81, v82, v83, vcc_lo
; %bb.60:
	s_or_b32 exec_lo, exec_lo, s3
	v_and_b32_e32 v82, 0x7f800000, v77
	s_delay_alu instid0(VALU_DEP_1) | instskip(SKIP_1) | instid1(SALU_CYCLE_1)
	v_cmp_ne_u32_e32 vcc_lo, 0x7f800000, v82
                                        ; implicit-def: $vgpr82
	s_and_saveexec_b32 s3, vcc_lo
	s_xor_b32 s3, exec_lo, s3
; %bb.61:
	v_bfe_u32 v82, v77, 16, 1
	s_delay_alu instid0(VALU_DEP_1)
	v_add3_u32 v82, v77, v82, 0x7fff
                                        ; implicit-def: $vgpr77
; %bb.62:
	s_and_not1_saveexec_b32 s3, s3
; %bb.63:
	v_and_b32_e32 v82, 0xffff, v77
	v_or_b32_e32 v83, 0x10000, v77
	s_delay_alu instid0(VALU_DEP_2) | instskip(NEXT) | instid1(VALU_DEP_2)
	v_cmp_eq_u32_e32 vcc_lo, 0, v82
	v_cndmask_b32_e32 v82, v83, v77, vcc_lo
; %bb.64:
	s_or_b32 exec_lo, exec_lo, s3
	v_and_b32_e32 v77, 0x7f800000, v78
	s_delay_alu instid0(VALU_DEP_1) | instskip(SKIP_1) | instid1(SALU_CYCLE_1)
	v_cmp_ne_u32_e32 vcc_lo, 0x7f800000, v77
                                        ; implicit-def: $vgpr77
	s_and_saveexec_b32 s3, vcc_lo
	s_xor_b32 s3, exec_lo, s3
; %bb.65:
	v_bfe_u32 v77, v78, 16, 1
	s_delay_alu instid0(VALU_DEP_1)
	v_add3_u32 v77, v78, v77, 0x7fff
                                        ; implicit-def: $vgpr78
; %bb.66:
	s_and_not1_saveexec_b32 s3, s3
; %bb.67:
	v_and_b32_e32 v77, 0xffff, v78
	v_or_b32_e32 v83, 0x10000, v78
	s_delay_alu instid0(VALU_DEP_2) | instskip(NEXT) | instid1(VALU_DEP_2)
	v_cmp_eq_u32_e32 vcc_lo, 0, v77
	v_cndmask_b32_e32 v77, v83, v78, vcc_lo
; %bb.68:
	s_or_b32 exec_lo, exec_lo, s3
	v_and_b32_e32 v78, 0x7f800000, v79
	s_delay_alu instid0(VALU_DEP_1) | instskip(SKIP_1) | instid1(SALU_CYCLE_1)
	v_cmp_ne_u32_e32 vcc_lo, 0x7f800000, v78
                                        ; implicit-def: $vgpr78
	s_and_saveexec_b32 s3, vcc_lo
	s_xor_b32 s3, exec_lo, s3
; %bb.69:
	v_bfe_u32 v78, v79, 16, 1
	s_delay_alu instid0(VALU_DEP_1)
	v_add3_u32 v78, v79, v78, 0x7fff
                                        ; implicit-def: $vgpr79
; %bb.70:
	s_and_not1_saveexec_b32 s3, s3
; %bb.71:
	v_and_b32_e32 v78, 0xffff, v79
	v_or_b32_e32 v83, 0x10000, v79
	s_delay_alu instid0(VALU_DEP_2) | instskip(NEXT) | instid1(VALU_DEP_2)
	v_cmp_eq_u32_e32 vcc_lo, 0, v78
	v_cndmask_b32_e32 v78, v83, v79, vcc_lo
; %bb.72:
	s_or_b32 exec_lo, exec_lo, s3
	v_and_b32_e32 v79, 0x7f800000, v70
	s_delay_alu instid0(VALU_DEP_1) | instskip(SKIP_1) | instid1(SALU_CYCLE_1)
	v_cmp_ne_u32_e32 vcc_lo, 0x7f800000, v79
                                        ; implicit-def: $vgpr79
	s_and_saveexec_b32 s3, vcc_lo
	s_xor_b32 s3, exec_lo, s3
; %bb.73:
	v_bfe_u32 v79, v70, 16, 1
	s_delay_alu instid0(VALU_DEP_1)
	v_add3_u32 v79, v70, v79, 0x7fff
                                        ; implicit-def: $vgpr70
; %bb.74:
	s_and_not1_saveexec_b32 s3, s3
; %bb.75:
	v_and_b32_e32 v79, 0xffff, v70
	v_or_b32_e32 v83, 0x10000, v70
	s_delay_alu instid0(VALU_DEP_2) | instskip(NEXT) | instid1(VALU_DEP_2)
	v_cmp_eq_u32_e32 vcc_lo, 0, v79
	v_cndmask_b32_e32 v79, v83, v70, vcc_lo
; %bb.76:
	s_or_b32 exec_lo, exec_lo, s3
	s_delay_alu instid0(VALU_DEP_1)
	v_perm_b32 v86, v79, v78, 0x7060302
	v_perm_b32 v85, v77, v82, 0x7060302
	;; [unrolled: 1-line block ×4, first 2 shown]
	v_lshl_or_b32 v82, v66, 11, v80
	ds_store_b128 v76, v[83:86] offset:1024
	s_waitcnt lgkmcnt(0)
	s_barrier
	buffer_gl0_inv
	ds_load_b128 v[69:72], v82
	ds_load_b128 v[83:86], v82 offset:16
	s_waitcnt lgkmcnt(1)
	v_lshrrev_b32_e32 v66, 16, v69
	s_waitcnt lgkmcnt(0)
	v_lshrrev_b32_e32 v91, 16, v83
	v_lshlrev_b32_e32 v78, 2, v74
	v_lshrrev_b32_e32 v95, 16, v70
	v_lshrrev_b32_e32 v98, 16, v84
	;; [unrolled: 1-line block ×4, first 2 shown]
	v_cmp_eq_u32_e32 vcc_lo, 1, v78
	v_lshrrev_b32_e32 v97, 16, v72
	v_lshrrev_b32_e32 v100, 16, v86
	v_cndmask_b32_e32 v87, v83, v91, vcc_lo
	v_or_b32_e32 v79, 1, v78
	v_cndmask_b32_e32 v81, v69, v66, vcc_lo
	v_cmp_eq_u32_e64 s4, 2, v78
	v_cmp_eq_u32_e64 s7, 3, v78
	;; [unrolled: 1-line block ×5, first 2 shown]
	v_cndmask_b32_e64 v81, v81, v70, s4
	v_cndmask_b32_e64 v87, v87, v84, s4
	v_cmp_eq_u32_e64 s8, 3, v79
	v_cndmask_b32_e64 v88, v69, v66, s3
	v_or_b32_e32 v77, 2, v78
	v_cndmask_b32_e64 v81, v81, v95, s7
	v_cndmask_b32_e64 v87, v87, v98, s7
	;; [unrolled: 1-line block ×4, first 2 shown]
	v_cmp_eq_u32_e64 s10, 5, v78
	v_cndmask_b32_e64 v81, v81, v71, s9
	v_cndmask_b32_e64 v87, v87, v85, s9
	v_cmp_eq_u32_e64 s11, 4, v79
	v_cndmask_b32_e64 v88, v88, v95, s8
	v_cmp_eq_u32_e64 s5, 1, v77
	v_cndmask_b32_e64 v89, v89, v84, s6
	v_cndmask_b32_e64 v81, v81, v96, s10
	v_cmp_eq_u32_e64 s12, 6, v78
	v_cndmask_b32_e64 v88, v88, v71, s11
	;; [unrolled: 3-line block ×3, first 2 shown]
	v_cndmask_b32_e64 v89, v89, v98, s8
	v_cndmask_b32_e64 v81, v81, v72, s12
	v_cmp_eq_u32_e64 s15, 7, v78
	v_cndmask_b32_e64 v88, v88, v96, s13
	v_cndmask_b32_e64 v87, v87, v86, s12
	v_cmp_eq_u32_e64 s16, 6, v79
	v_cmp_eq_u32_e64 s17, 2, v77
	v_cndmask_b32_e64 v89, v89, v85, s11
	v_cndmask_b32_e64 v101, v81, v97, s15
	;; [unrolled: 1-line block ×6, first 2 shown]
	v_cmp_eq_u32_e64 s18, 7, v79
	v_cmp_eq_u32_e64 s19, 3, v77
	;; [unrolled: 1-line block ×4, first 2 shown]
	v_cndmask_b32_e64 v87, v87, v84, s17
	v_cndmask_b32_e64 v103, v88, v97, s18
	;; [unrolled: 1-line block ×4, first 2 shown]
	v_or_b32_e32 v81, 3, v78
	v_cndmask_b32_e64 v93, v87, v98, s19
	v_cmp_eq_u32_e64 s24, 6, v77
	v_cndmask_b32_e64 v104, v88, v86, s16
	v_cndmask_b32_e64 v92, v89, v71, s20
	v_cmp_eq_u32_e64 s21, 1, v81
	ds_load_b128 v[87:90], v82 offset:1024
	v_cmp_eq_u32_e64 s23, 2, v81
	v_cmp_eq_u32_e64 s25, 3, v81
	v_cndmask_b32_e64 v105, v92, v96, s22
	v_cndmask_b32_e64 v66, v69, v66, s21
	;; [unrolled: 1-line block ×4, first 2 shown]
	ds_load_b128 v[91:94], v82 offset:1040
	v_cmp_eq_u32_e64 s26, 4, v81
	v_cndmask_b32_e64 v66, v66, v70, s23
	v_cmp_eq_u32_e64 s27, 7, v77
	v_cndmask_b32_e64 v70, v83, v84, s23
	v_cndmask_b32_e64 v84, v105, v72, s24
	v_cmp_eq_u32_e64 s28, 5, v81
	v_cndmask_b32_e64 v66, v66, v95, s25
	v_cmp_eq_u32_e64 s29, 6, v81
	v_cndmask_b32_e64 v70, v70, v98, s25
	v_cndmask_b32_e64 v69, v69, v99, s22
	;; [unrolled: 1-line block ×4, first 2 shown]
	s_waitcnt lgkmcnt(1)
	v_lshrrev_b32_e32 v95, 16, v87
	v_cndmask_b32_e64 v70, v70, v85, s26
	v_cndmask_b32_e64 v71, v84, v97, s27
	;; [unrolled: 1-line block ×4, first 2 shown]
	v_cndmask_b32_e32 v84, v87, v95, vcc_lo
	v_cndmask_b32_e64 v70, v70, v99, s28
	s_waitcnt lgkmcnt(0)
	v_lshrrev_b32_e32 v85, 16, v91
	v_lshrrev_b32_e32 v96, 16, v88
	v_cndmask_b32_e64 v98, v87, v95, s3
	v_cndmask_b32_e64 v84, v84, v88, s4
	;; [unrolled: 1-line block ×3, first 2 shown]
	v_cndmask_b32_e32 v99, v91, v85, vcc_lo
	v_cmp_eq_u32_e32 vcc_lo, 7, v81
	v_cndmask_b32_e64 v66, v66, v72, s29
	v_cndmask_b32_e64 v72, v84, v96, s7
	;; [unrolled: 1-line block ×3, first 2 shown]
	v_lshrrev_b32_e32 v98, 16, v92
	v_cndmask_b32_e32 v70, v70, v100, vcc_lo
	v_cndmask_b32_e64 v86, v99, v92, s4
	v_cndmask_b32_e64 v69, v69, v100, s27
	v_lshrrev_b32_e32 v100, 16, v93
	v_cndmask_b32_e64 v72, v72, v89, s9
	v_lshrrev_b32_e32 v99, 16, v89
	v_cndmask_b32_e64 v86, v86, v98, s7
	v_perm_b32 v71, v69, v71, 0x5040100
	v_cndmask_b32_e64 v84, v84, v96, s8
	s_delay_alu instid0(VALU_DEP_3) | instskip(NEXT) | instid1(VALU_DEP_2)
	v_cndmask_b32_e64 v86, v86, v93, s9
	v_cndmask_b32_e64 v84, v84, v89, s11
	s_delay_alu instid0(VALU_DEP_2) | instskip(NEXT) | instid1(VALU_DEP_1)
	v_cndmask_b32_e64 v86, v86, v100, s10
	v_cndmask_b32_e64 v69, v86, v94, s12
	;; [unrolled: 1-line block ×5, first 2 shown]
	s_delay_alu instid0(VALU_DEP_3) | instskip(NEXT) | instid1(VALU_DEP_3)
	v_cndmask_b32_e64 v86, v86, v88, s17
	v_cndmask_b32_e64 v87, v87, v88, s23
	s_delay_alu instid0(VALU_DEP_3) | instskip(NEXT) | instid1(VALU_DEP_3)
	v_cndmask_b32_e64 v88, v95, v92, s23
	v_cndmask_b32_e64 v86, v86, v96, s19
	s_delay_alu instid0(VALU_DEP_3) | instskip(NEXT) | instid1(VALU_DEP_3)
	v_cndmask_b32_e64 v87, v87, v96, s25
	v_cndmask_b32_e64 v88, v88, v98, s25
	s_delay_alu instid0(VALU_DEP_3) | instskip(NEXT) | instid1(VALU_DEP_3)
	v_cndmask_b32_e64 v86, v86, v89, s20
	v_cndmask_b32_e64 v87, v87, v89, s26
	s_delay_alu instid0(VALU_DEP_3) | instskip(NEXT) | instid1(VALU_DEP_3)
	v_cndmask_b32_e64 v88, v88, v93, s26
	v_cndmask_b32_e64 v86, v86, v99, s22
	s_delay_alu instid0(VALU_DEP_3) | instskip(NEXT) | instid1(VALU_DEP_3)
	v_cndmask_b32_e64 v87, v87, v99, s28
	v_cndmask_b32_e64 v88, v88, v100, s28
	s_delay_alu instid0(VALU_DEP_3) | instskip(NEXT) | instid1(VALU_DEP_3)
	v_cndmask_b32_e64 v86, v86, v90, s24
	v_cndmask_b32_e64 v87, v87, v90, s29
	s_delay_alu instid0(VALU_DEP_3) | instskip(SKIP_2) | instid1(VALU_DEP_2)
	v_cndmask_b32_e64 v88, v88, v94, s29
	v_cndmask_b32_e32 v66, v66, v97, vcc_lo
	v_cndmask_b32_e64 v97, v72, v99, s10
	v_perm_b32 v72, v70, v66, 0x5040100
	v_perm_b32 v70, v83, v103, 0x5040100
	v_cndmask_b32_e64 v103, v91, v85, s5
	v_cndmask_b32_e64 v85, v91, v85, s3
	;; [unrolled: 1-line block ×4, first 2 shown]
	v_lshrrev_b32_e32 v97, 16, v90
	v_cndmask_b32_e64 v91, v103, v92, s17
	v_cndmask_b32_e64 v85, v85, v92, s6
	;; [unrolled: 1-line block ×3, first 2 shown]
	s_mov_b32 s3, exec_lo
	v_cndmask_b32_e64 v83, v84, v97, s15
	v_cndmask_b32_e64 v91, v91, v98, s19
	;; [unrolled: 1-line block ×3, first 2 shown]
	v_lshrrev_b32_e32 v84, 16, v94
	v_cndmask_b32_e64 v66, v66, v97, s18
	v_cndmask_b32_e64 v90, v86, v97, s27
	;; [unrolled: 1-line block ×4, first 2 shown]
	v_dual_cndmask_b32 v86, v87, v97 :: v_dual_cndmask_b32 v87, v88, v84
	v_cndmask_b32_e64 v91, v69, v84, s15
	s_delay_alu instid0(VALU_DEP_4) | instskip(NEXT) | instid1(VALU_DEP_4)
	v_cndmask_b32_e64 v89, v89, v100, s22
	v_cndmask_b32_e64 v85, v85, v100, s13
	v_perm_b32 v69, v102, v101, 0x5040100
	v_perm_b32 v86, v87, v86, 0x5040100
	;; [unrolled: 1-line block ×3, first 2 shown]
	v_cndmask_b32_e64 v89, v89, v94, s24
	v_cndmask_b32_e64 v85, v85, v94, s16
	s_mul_i32 s8, s35, 3
	s_delay_alu instid0(VALU_DEP_2) | instskip(NEXT) | instid1(VALU_DEP_2)
	v_cndmask_b32_e64 v88, v89, v84, s27
	v_cndmask_b32_e64 v89, v85, v84, s18
	s_delay_alu instid0(VALU_DEP_2) | instskip(NEXT) | instid1(VALU_DEP_2)
	v_perm_b32 v85, v88, v90, 0x5040100
	v_perm_b32 v84, v89, v66, 0x5040100
	ds_store_b128 v76, v[69:72]
	ds_store_b128 v76, v[83:86] offset:1024
	v_cmpx_gt_u32_e32 3, v0
	s_cbranch_execz .LBB1808_78
; %bb.77:
	s_mul_i32 s4, s8, s30
	s_delay_alu instid0(SALU_CYCLE_1) | instskip(SKIP_1) | instid1(VALU_DEP_1)
	v_add3_u32 v69, s4, s31, v65
	s_load_b128 s[4:7], s[0:1], 0x58
	v_mad_u64_u32 v[65:66], null, v69, s34, s[14:15]
	s_delay_alu instid0(VALU_DEP_1) | instskip(NEXT) | instid1(VALU_DEP_1)
	v_ashrrev_i32_e32 v66, 31, v65
	v_lshlrev_b64 v[65:66], 2, v[65:66]
	s_waitcnt lgkmcnt(0)
	s_delay_alu instid0(VALU_DEP_1) | instskip(NEXT) | instid1(VALU_DEP_2)
	v_add_co_u32 v69, vcc_lo, s6, v65
	v_add_co_ci_u32_e32 v70, vcc_lo, s7, v66, vcc_lo
	v_add_co_u32 v65, vcc_lo, s4, v65
	v_add_co_ci_u32_e32 v66, vcc_lo, s5, v66, vcc_lo
	global_store_b32 v[69:70], v67, off
	global_store_b32 v[65:66], v68, off
.LBB1808_78:
	s_or_b32 exec_lo, exec_lo, s3
	s_waitcnt lgkmcnt(0)
	s_waitcnt_vscnt null, 0x0
	s_barrier
	buffer_gl0_inv
	ds_load_b128 v[83:86], v80
	ds_load_b128 v[87:90], v80 offset:16
	ds_load_b128 v[95:98], v80 offset:2064
	;; [unrolled: 1-line block ×3, first 2 shown]
	v_mov_b32_e32 v65, 0
	ds_load_b128 v[103:106], v80 offset:4112
	ds_load_b128 v[99:102], v80 offset:4096
	ds_load_b128 v[111:114], v80 offset:6160
	ds_load_b128 v[107:110], v80 offset:6144
	v_mov_b32_e32 v66, v65
	v_mov_b32_e32 v67, v65
	;; [unrolled: 1-line block ×7, first 2 shown]
	s_waitcnt lgkmcnt(6)
	s_delay_alu instid0(VALU_DEP_1)
	v_wmma_f32_16x16x16_bf16 v[65:72], v[41:48], v[83:90], v[65:72]
	ds_load_b128 v[45:48], v80 offset:8208
	ds_load_b128 v[41:44], v80 offset:8192
	s_waitcnt lgkmcnt(6)
	v_wmma_f32_16x16x16_bf16 v[65:72], v[33:40], v[91:98], v[65:72]
	ds_load_b128 v[37:40], v80 offset:10256
	ds_load_b128 v[33:36], v80 offset:10240
	s_waitcnt lgkmcnt(6)
	v_wmma_f32_16x16x16_bf16 v[65:72], v[25:32], v[99:106], v[65:72]
	ds_load_b128 v[29:32], v80 offset:12304
	ds_load_b128 v[25:28], v80 offset:12288
	s_waitcnt lgkmcnt(6)
	v_wmma_f32_16x16x16_bf16 v[65:72], v[17:24], v[107:114], v[65:72]
	ds_load_b128 v[21:24], v80 offset:14352
	ds_load_b128 v[17:20], v80 offset:14336
	s_waitcnt lgkmcnt(6)
	v_wmma_f32_16x16x16_bf16 v[65:72], v[1:8], v[41:48], v[65:72]
	s_waitcnt lgkmcnt(4)
	s_delay_alu instid0(VALU_DEP_1) | instskip(SKIP_1) | instid1(VALU_DEP_1)
	v_wmma_f32_16x16x16_bf16 v[65:72], v[9:16], v[33:40], v[65:72]
	s_waitcnt lgkmcnt(2)
	v_wmma_f32_16x16x16_bf16 v[65:72], v[57:64], v[25:32], v[65:72]
	s_waitcnt lgkmcnt(0)
	s_delay_alu instid0(VALU_DEP_1) | instskip(NEXT) | instid1(VALU_DEP_1)
	v_wmma_f32_16x16x16_bf16 v[65:72], v[49:56], v[17:24], v[65:72]
	v_and_b32_e32 v1, 0x7f800000, v65
	s_delay_alu instid0(VALU_DEP_1) | instskip(SKIP_1) | instid1(SALU_CYCLE_1)
	v_cmp_ne_u32_e32 vcc_lo, 0x7f800000, v1
                                        ; implicit-def: $vgpr1
	s_and_saveexec_b32 s3, vcc_lo
	s_xor_b32 s3, exec_lo, s3
; %bb.79:
	v_bfe_u32 v1, v65, 16, 1
	s_delay_alu instid0(VALU_DEP_1)
	v_add3_u32 v1, v65, v1, 0x7fff
; %bb.80:
	s_and_not1_saveexec_b32 s3, s3
; %bb.81:
	v_and_b32_e32 v1, 0xffff, v65
	v_or_b32_e32 v2, 0x10000, v65
	s_delay_alu instid0(VALU_DEP_2) | instskip(NEXT) | instid1(VALU_DEP_2)
	v_cmp_eq_u32_e32 vcc_lo, 0, v1
	v_cndmask_b32_e32 v1, v2, v65, vcc_lo
; %bb.82:
	s_or_b32 exec_lo, exec_lo, s3
	v_and_b32_e32 v2, 0x7f800000, v66
	s_delay_alu instid0(VALU_DEP_1) | instskip(SKIP_1) | instid1(SALU_CYCLE_1)
	v_cmp_ne_u32_e32 vcc_lo, 0x7f800000, v2
                                        ; implicit-def: $vgpr2
	s_and_saveexec_b32 s3, vcc_lo
	s_xor_b32 s3, exec_lo, s3
; %bb.83:
	v_bfe_u32 v2, v66, 16, 1
	s_delay_alu instid0(VALU_DEP_1)
	v_add3_u32 v2, v66, v2, 0x7fff
; %bb.84:
	s_and_not1_saveexec_b32 s3, s3
; %bb.85:
	v_and_b32_e32 v2, 0xffff, v66
	v_or_b32_e32 v3, 0x10000, v66
	s_delay_alu instid0(VALU_DEP_2) | instskip(NEXT) | instid1(VALU_DEP_2)
	v_cmp_eq_u32_e32 vcc_lo, 0, v2
	v_cndmask_b32_e32 v2, v3, v66, vcc_lo
; %bb.86:
	s_or_b32 exec_lo, exec_lo, s3
	v_and_b32_e32 v3, 0x7f800000, v67
	s_delay_alu instid0(VALU_DEP_1) | instskip(SKIP_1) | instid1(SALU_CYCLE_1)
	v_cmp_ne_u32_e32 vcc_lo, 0x7f800000, v3
                                        ; implicit-def: $vgpr3
	s_and_saveexec_b32 s3, vcc_lo
	s_xor_b32 s3, exec_lo, s3
; %bb.87:
	v_bfe_u32 v3, v67, 16, 1
	s_delay_alu instid0(VALU_DEP_1)
	v_add3_u32 v3, v67, v3, 0x7fff
; %bb.88:
	s_and_not1_saveexec_b32 s3, s3
; %bb.89:
	v_and_b32_e32 v3, 0xffff, v67
	v_or_b32_e32 v4, 0x10000, v67
	s_delay_alu instid0(VALU_DEP_2) | instskip(NEXT) | instid1(VALU_DEP_2)
	v_cmp_eq_u32_e32 vcc_lo, 0, v3
	v_cndmask_b32_e32 v3, v4, v67, vcc_lo
; %bb.90:
	s_or_b32 exec_lo, exec_lo, s3
	v_and_b32_e32 v4, 0x7f800000, v68
	s_delay_alu instid0(VALU_DEP_1) | instskip(SKIP_1) | instid1(SALU_CYCLE_1)
	v_cmp_ne_u32_e32 vcc_lo, 0x7f800000, v4
                                        ; implicit-def: $vgpr4
	s_and_saveexec_b32 s3, vcc_lo
	s_xor_b32 s3, exec_lo, s3
; %bb.91:
	v_bfe_u32 v4, v68, 16, 1
	s_delay_alu instid0(VALU_DEP_1)
	v_add3_u32 v4, v68, v4, 0x7fff
; %bb.92:
	s_and_not1_saveexec_b32 s3, s3
; %bb.93:
	v_and_b32_e32 v4, 0xffff, v68
	v_or_b32_e32 v5, 0x10000, v68
	s_delay_alu instid0(VALU_DEP_2) | instskip(NEXT) | instid1(VALU_DEP_2)
	v_cmp_eq_u32_e32 vcc_lo, 0, v4
	v_cndmask_b32_e32 v4, v5, v68, vcc_lo
; %bb.94:
	s_or_b32 exec_lo, exec_lo, s3
	v_and_b32_e32 v5, 0x7f800000, v69
	s_delay_alu instid0(VALU_DEP_1) | instskip(SKIP_1) | instid1(SALU_CYCLE_1)
	v_cmp_ne_u32_e32 vcc_lo, 0x7f800000, v5
                                        ; implicit-def: $vgpr5
	s_and_saveexec_b32 s3, vcc_lo
	s_xor_b32 s3, exec_lo, s3
; %bb.95:
	v_bfe_u32 v5, v69, 16, 1
	s_delay_alu instid0(VALU_DEP_1)
	v_add3_u32 v5, v69, v5, 0x7fff
; %bb.96:
	s_and_not1_saveexec_b32 s3, s3
; %bb.97:
	v_and_b32_e32 v5, 0xffff, v69
	v_or_b32_e32 v6, 0x10000, v69
	s_delay_alu instid0(VALU_DEP_2) | instskip(NEXT) | instid1(VALU_DEP_2)
	v_cmp_eq_u32_e32 vcc_lo, 0, v5
	v_cndmask_b32_e32 v5, v6, v69, vcc_lo
; %bb.98:
	s_or_b32 exec_lo, exec_lo, s3
	v_and_b32_e32 v6, 0x7f800000, v70
	s_delay_alu instid0(VALU_DEP_1) | instskip(SKIP_1) | instid1(SALU_CYCLE_1)
	v_cmp_ne_u32_e32 vcc_lo, 0x7f800000, v6
                                        ; implicit-def: $vgpr6
	s_and_saveexec_b32 s3, vcc_lo
	s_xor_b32 s3, exec_lo, s3
; %bb.99:
	v_bfe_u32 v6, v70, 16, 1
	s_delay_alu instid0(VALU_DEP_1)
	v_add3_u32 v6, v70, v6, 0x7fff
; %bb.100:
	s_and_not1_saveexec_b32 s3, s3
; %bb.101:
	v_and_b32_e32 v6, 0xffff, v70
	v_or_b32_e32 v7, 0x10000, v70
	s_delay_alu instid0(VALU_DEP_2) | instskip(NEXT) | instid1(VALU_DEP_2)
	v_cmp_eq_u32_e32 vcc_lo, 0, v6
	v_cndmask_b32_e32 v6, v7, v70, vcc_lo
; %bb.102:
	s_or_b32 exec_lo, exec_lo, s3
	v_and_b32_e32 v7, 0x7f800000, v71
	s_delay_alu instid0(VALU_DEP_1) | instskip(SKIP_1) | instid1(SALU_CYCLE_1)
	v_cmp_ne_u32_e32 vcc_lo, 0x7f800000, v7
                                        ; implicit-def: $vgpr7
	s_and_saveexec_b32 s3, vcc_lo
	s_xor_b32 s3, exec_lo, s3
; %bb.103:
	v_bfe_u32 v7, v71, 16, 1
	s_delay_alu instid0(VALU_DEP_1)
	v_add3_u32 v7, v71, v7, 0x7fff
; %bb.104:
	s_and_not1_saveexec_b32 s3, s3
; %bb.105:
	v_and_b32_e32 v7, 0xffff, v71
	v_or_b32_e32 v8, 0x10000, v71
	s_delay_alu instid0(VALU_DEP_2) | instskip(NEXT) | instid1(VALU_DEP_2)
	v_cmp_eq_u32_e32 vcc_lo, 0, v7
	v_cndmask_b32_e32 v7, v8, v71, vcc_lo
; %bb.106:
	s_or_b32 exec_lo, exec_lo, s3
	v_and_b32_e32 v8, 0x7f800000, v72
	s_delay_alu instid0(VALU_DEP_1) | instskip(SKIP_1) | instid1(SALU_CYCLE_1)
	v_cmp_ne_u32_e32 vcc_lo, 0x7f800000, v8
                                        ; implicit-def: $vgpr8
	s_and_saveexec_b32 s3, vcc_lo
	s_xor_b32 s3, exec_lo, s3
; %bb.107:
	v_bfe_u32 v8, v72, 16, 1
	s_delay_alu instid0(VALU_DEP_1)
	v_add3_u32 v8, v72, v8, 0x7fff
                                        ; implicit-def: $vgpr65_vgpr66_vgpr67_vgpr68_vgpr69_vgpr70_vgpr71_vgpr72
; %bb.108:
	s_and_not1_saveexec_b32 s3, s3
; %bb.109:
	v_and_b32_e32 v8, 0xffff, v72
	v_or_b32_e32 v9, 0x10000, v72
	s_delay_alu instid0(VALU_DEP_2) | instskip(NEXT) | instid1(VALU_DEP_2)
	v_cmp_eq_u32_e32 vcc_lo, 0, v8
	v_cndmask_b32_e32 v8, v9, v72, vcc_lo
; %bb.110:
	s_or_b32 exec_lo, exec_lo, s3
	s_delay_alu instid0(VALU_DEP_1)
	v_perm_b32 v7, v8, v7, 0x7060302
	v_perm_b32 v6, v6, v5, 0x7060302
	;; [unrolled: 1-line block ×4, first 2 shown]
	s_barrier
	buffer_gl0_inv
	v_cmp_eq_u32_e32 vcc_lo, 1, v78
	ds_store_b128 v76, v[4:7]
	s_waitcnt lgkmcnt(0)
	s_barrier
	buffer_gl0_inv
	ds_load_b128 v[1:4], v82
	ds_load_b128 v[5:8], v82 offset:16
	v_cmp_eq_u32_e64 s3, 1, v79
	v_cmp_eq_u32_e64 s4, 2, v78
	;; [unrolled: 1-line block ×5, first 2 shown]
	s_waitcnt lgkmcnt(1)
	v_lshrrev_b32_e32 v9, 16, v1
	s_waitcnt lgkmcnt(0)
	v_lshrrev_b32_e32 v13, 16, v5
	v_lshrrev_b32_e32 v10, 16, v2
	;; [unrolled: 1-line block ×4, first 2 shown]
	v_cndmask_b32_e64 v19, v1, v9, s3
	v_cndmask_b32_e32 v18, v5, v13, vcc_lo
	v_cndmask_b32_e64 v20, v5, v13, s3
	v_cndmask_b32_e32 v17, v1, v9, vcc_lo
	v_cmp_eq_u32_e32 vcc_lo, 2, v79
	v_lshrrev_b32_e32 v15, 16, v7
	v_cmp_eq_u32_e64 s3, 1, v77
	v_lshrrev_b32_e32 v12, 16, v4
	v_lshrrev_b32_e32 v16, 16, v8
	v_cndmask_b32_e32 v20, v20, v6, vcc_lo
	v_cndmask_b32_e64 v17, v17, v2, s4
	v_cndmask_b32_e32 v19, v19, v2, vcc_lo
	v_cndmask_b32_e64 v18, v18, v6, s4
	v_cmp_eq_u32_e32 vcc_lo, 4, v78
	v_cmp_eq_u32_e64 s4, 3, v79
	v_cndmask_b32_e64 v17, v17, v10, s5
	v_cndmask_b32_e64 v21, v1, v9, s3
	v_cndmask_b32_e64 v18, v18, v14, s5
	v_cndmask_b32_e64 v22, v5, v13, s3
	v_cndmask_b32_e64 v19, v19, v10, s4
	v_cndmask_b32_e32 v17, v17, v3, vcc_lo
	v_cndmask_b32_e64 v20, v20, v14, s4
	v_cndmask_b32_e32 v18, v18, v7, vcc_lo
	v_cmp_eq_u32_e32 vcc_lo, 4, v79
	v_cmp_eq_u32_e64 s4, 5, v79
	v_cmp_eq_u32_e64 s3, 2, v81
	v_cndmask_b32_e64 v21, v21, v2, s7
	v_cmp_eq_u32_e64 s5, 5, v78
	v_cndmask_b32_e32 v19, v19, v3, vcc_lo
	v_cndmask_b32_e32 v20, v20, v7, vcc_lo
	v_cmp_eq_u32_e32 vcc_lo, 6, v79
	s_delay_alu instid0(VALU_DEP_4) | instskip(NEXT) | instid1(VALU_DEP_4)
	v_cndmask_b32_e64 v17, v17, v11, s5
	v_cndmask_b32_e64 v19, v19, v11, s4
	s_delay_alu instid0(VALU_DEP_4) | instskip(SKIP_1) | instid1(VALU_DEP_3)
	v_cndmask_b32_e64 v20, v20, v15, s4
	v_cmp_eq_u32_e64 s4, 1, v81
	v_cndmask_b32_e32 v19, v19, v4, vcc_lo
	v_cndmask_b32_e64 v18, v18, v15, s5
	s_delay_alu instid0(VALU_DEP_3)
	v_cndmask_b32_e64 v1, v1, v9, s4
	v_cndmask_b32_e64 v5, v5, v13, s4
	v_cmp_eq_u32_e64 s4, 3, v77
	v_cndmask_b32_e64 v13, v22, v6, s7
	v_cmp_eq_u32_e64 s7, 3, v81
	v_cndmask_b32_e64 v1, v1, v2, s3
	v_cndmask_b32_e64 v2, v5, v6, s3
	;; [unrolled: 1-line block ×3, first 2 shown]
	v_cmp_eq_u32_e64 s3, 4, v77
	v_cndmask_b32_e64 v6, v13, v14, s4
	v_cndmask_b32_e64 v1, v1, v10, s7
	v_cmp_eq_u32_e64 s4, 4, v81
	v_cndmask_b32_e64 v2, v2, v14, s7
	v_cndmask_b32_e64 v5, v9, v3, s3
	;; [unrolled: 3-line block ×3, first 2 shown]
	v_cndmask_b32_e64 v2, v2, v7, s4
	v_cmp_eq_u32_e64 s3, 5, v81
	v_cmp_eq_u32_e64 s5, 6, v78
	v_cndmask_b32_e64 v5, v5, v11, s7
	v_cmp_eq_u32_e64 s4, 6, v77
	v_cndmask_b32_e64 v3, v6, v15, s7
	v_cndmask_b32_e64 v1, v1, v11, s3
	v_cmp_eq_u32_e64 s7, 6, v81
	v_cndmask_b32_e64 v2, v2, v15, s3
	v_cndmask_b32_e64 v17, v17, v4, s5
	v_cndmask_b32_e64 v18, v18, v8, s5
	v_cmp_eq_u32_e64 s5, 7, v78
	v_cndmask_b32_e64 v5, v5, v4, s4
	v_cndmask_b32_e64 v3, v3, v8, s4
	v_cndmask_b32_e64 v1, v1, v4, s7
	v_cmp_eq_u32_e64 s3, 7, v81
	v_cndmask_b32_e64 v2, v2, v8, s7
	v_cmp_eq_u32_e64 s4, 7, v77
	v_cndmask_b32_e32 v4, v20, v8, vcc_lo
	v_cndmask_b32_e64 v17, v17, v12, s5
	v_cndmask_b32_e64 v19, v19, v12, s6
	;; [unrolled: 1-line block ×8, first 2 shown]
	s_mov_b32 s3, exec_lo
	v_perm_b32 v4, v2, v1, 0x5040100
	v_perm_b32 v3, v3, v5, 0x5040100
	;; [unrolled: 1-line block ×4, first 2 shown]
	ds_store_b128 v76, v[1:4]
	s_waitcnt lgkmcnt(0)
	s_barrier
	buffer_gl0_inv
	v_cmpx_gt_u32_e32 32, v0
	s_cbranch_execz .LBB1808_2
; %bb.111:
	s_load_b64 s[4:5], s[0:1], 0x68
	v_lshlrev_b32_e32 v0, 10, v0
	v_lshlrev_b32_e32 v2, 4, v75
	v_add_nc_u32_e32 v1, s31, v74
	s_lshl_b32 s0, s34, 7
	s_delay_alu instid0(SALU_CYCLE_1) | instskip(NEXT) | instid1(VALU_DEP_2)
	s_mul_i32 s1, s0, s30
	v_and_or_b32 v0, 0x3800, v0, v2
	s_mul_i32 s6, s1, s8
	v_mul_lo_u32 v1, v1, s0
	s_ashr_i32 s7, s6, 31
	s_delay_alu instid0(VALU_DEP_2) | instskip(SKIP_1) | instid1(VALU_DEP_2)
	v_lshl_or_b32 v3, v74, 6, v0
	s_lshl_b64 s[6:7], s[6:7], 1
	v_ashrrev_i32_e32 v2, 31, v1
	ds_load_b128 v[3:6], v3
	s_waitcnt lgkmcnt(0)
	s_add_u32 s1, s4, s6
	s_addc_u32 s3, s5, s7
	s_lshl_b32 s4, s14, 7
	v_lshlrev_b64 v[7:8], 1, v[1:2]
	s_ashr_i32 s5, s4, 31
	s_delay_alu instid0(SALU_CYCLE_1) | instskip(NEXT) | instid1(SALU_CYCLE_1)
	s_lshl_b64 s[4:5], s[4:5], 1
	s_add_u32 s1, s1, s4
	s_addc_u32 s3, s3, s5
	v_add_co_u32 v1, s1, s1, v73
	s_delay_alu instid0(VALU_DEP_1) | instskip(NEXT) | instid1(VALU_DEP_2)
	v_add_co_ci_u32_e64 v2, null, s3, 0, s1
	v_add_co_u32 v7, vcc_lo, v1, v7
	s_delay_alu instid0(VALU_DEP_2)
	v_add_co_ci_u32_e32 v8, vcc_lo, v2, v8, vcc_lo
	global_store_b128 v[7:8], v[3:6], off
	s_and_b32 exec_lo, exec_lo, s2
	s_cbranch_execz .LBB1808_2
; %bb.112:
	ds_load_b128 v[3:6], v0 offset:128
	s_add_i32 s1, s31, 2
	s_delay_alu instid0(SALU_CYCLE_1) | instskip(NEXT) | instid1(SALU_CYCLE_1)
	s_mul_i32 s0, s1, s0
	s_ashr_i32 s1, s0, 31
	s_delay_alu instid0(SALU_CYCLE_1) | instskip(NEXT) | instid1(SALU_CYCLE_1)
	s_lshl_b64 s[0:1], s[0:1], 1
	v_add_co_u32 v0, vcc_lo, v1, s0
	v_add_co_ci_u32_e32 v1, vcc_lo, s1, v2, vcc_lo
	s_waitcnt lgkmcnt(0)
	global_store_b128 v[0:1], v[3:6], off
	s_nop 0
	s_sendmsg sendmsg(MSG_DEALLOC_VGPRS)
	s_endpgm
	.section	.rodata,"a",@progbits
	.p2align	6, 0x0
	.amdhsa_kernel _Z39paged_attention_ll4mi_QKV_mfma16_kernelI14__hip_bfloat16hLN4vllm18Fp8KVCacheDataTypeE1EhLi16ELi128ELi256ELb1ELi3EL8MFMAType0EEvPKT_PKT0_S9_ifPKiSB_SB_iPKfiiiPfSE_PS4_PT2_iSD_SD_
		.amdhsa_group_segment_fixed_size 17472
		.amdhsa_private_segment_fixed_size 0
		.amdhsa_kernarg_size 400
		.amdhsa_user_sgpr_count 13
		.amdhsa_user_sgpr_dispatch_ptr 0
		.amdhsa_user_sgpr_queue_ptr 0
		.amdhsa_user_sgpr_kernarg_segment_ptr 1
		.amdhsa_user_sgpr_dispatch_id 0
		.amdhsa_user_sgpr_private_segment_size 0
		.amdhsa_wavefront_size32 1
		.amdhsa_uses_dynamic_stack 0
		.amdhsa_enable_private_segment 0
		.amdhsa_system_sgpr_workgroup_id_x 1
		.amdhsa_system_sgpr_workgroup_id_y 1
		.amdhsa_system_sgpr_workgroup_id_z 1
		.amdhsa_system_sgpr_workgroup_info 0
		.amdhsa_system_vgpr_workitem_id 0
		.amdhsa_next_free_vgpr 140
		.amdhsa_next_free_sgpr 36
		.amdhsa_reserve_vcc 1
		.amdhsa_float_round_mode_32 0
		.amdhsa_float_round_mode_16_64 0
		.amdhsa_float_denorm_mode_32 3
		.amdhsa_float_denorm_mode_16_64 3
		.amdhsa_dx10_clamp 1
		.amdhsa_ieee_mode 1
		.amdhsa_fp16_overflow 0
		.amdhsa_workgroup_processor_mode 1
		.amdhsa_memory_ordered 1
		.amdhsa_forward_progress 0
		.amdhsa_shared_vgpr_count 0
		.amdhsa_exception_fp_ieee_invalid_op 0
		.amdhsa_exception_fp_denorm_src 0
		.amdhsa_exception_fp_ieee_div_zero 0
		.amdhsa_exception_fp_ieee_overflow 0
		.amdhsa_exception_fp_ieee_underflow 0
		.amdhsa_exception_fp_ieee_inexact 0
		.amdhsa_exception_int_div_zero 0
	.end_amdhsa_kernel
	.section	.text._Z39paged_attention_ll4mi_QKV_mfma16_kernelI14__hip_bfloat16hLN4vllm18Fp8KVCacheDataTypeE1EhLi16ELi128ELi256ELb1ELi3EL8MFMAType0EEvPKT_PKT0_S9_ifPKiSB_SB_iPKfiiiPfSE_PS4_PT2_iSD_SD_,"axG",@progbits,_Z39paged_attention_ll4mi_QKV_mfma16_kernelI14__hip_bfloat16hLN4vllm18Fp8KVCacheDataTypeE1EhLi16ELi128ELi256ELb1ELi3EL8MFMAType0EEvPKT_PKT0_S9_ifPKiSB_SB_iPKfiiiPfSE_PS4_PT2_iSD_SD_,comdat
.Lfunc_end1808:
	.size	_Z39paged_attention_ll4mi_QKV_mfma16_kernelI14__hip_bfloat16hLN4vllm18Fp8KVCacheDataTypeE1EhLi16ELi128ELi256ELb1ELi3EL8MFMAType0EEvPKT_PKT0_S9_ifPKiSB_SB_iPKfiiiPfSE_PS4_PT2_iSD_SD_, .Lfunc_end1808-_Z39paged_attention_ll4mi_QKV_mfma16_kernelI14__hip_bfloat16hLN4vllm18Fp8KVCacheDataTypeE1EhLi16ELi128ELi256ELb1ELi3EL8MFMAType0EEvPKT_PKT0_S9_ifPKiSB_SB_iPKfiiiPfSE_PS4_PT2_iSD_SD_
                                        ; -- End function
	.section	.AMDGPU.csdata,"",@progbits
; Kernel info:
; codeLenInByte = 8848
; NumSgprs: 38
; NumVgprs: 140
; ScratchSize: 0
; MemoryBound: 0
; FloatMode: 240
; IeeeMode: 1
; LDSByteSize: 17472 bytes/workgroup (compile time only)
; SGPRBlocks: 4
; VGPRBlocks: 17
; NumSGPRsForWavesPerEU: 38
; NumVGPRsForWavesPerEU: 140
; Occupancy: 10
; WaveLimiterHint : 1
; COMPUTE_PGM_RSRC2:SCRATCH_EN: 0
; COMPUTE_PGM_RSRC2:USER_SGPR: 13
; COMPUTE_PGM_RSRC2:TRAP_HANDLER: 0
; COMPUTE_PGM_RSRC2:TGID_X_EN: 1
; COMPUTE_PGM_RSRC2:TGID_Y_EN: 1
; COMPUTE_PGM_RSRC2:TGID_Z_EN: 1
; COMPUTE_PGM_RSRC2:TIDIG_COMP_CNT: 0
	.section	.text._Z39paged_attention_ll4mi_QKV_mfma16_kernelI14__hip_bfloat16hLN4vllm18Fp8KVCacheDataTypeE1EhLi16ELi128ELi256ELb1ELi4EL8MFMAType0EEvPKT_PKT0_S9_ifPKiSB_SB_iPKfiiiPfSE_PS4_PT2_iSD_SD_,"axG",@progbits,_Z39paged_attention_ll4mi_QKV_mfma16_kernelI14__hip_bfloat16hLN4vllm18Fp8KVCacheDataTypeE1EhLi16ELi128ELi256ELb1ELi4EL8MFMAType0EEvPKT_PKT0_S9_ifPKiSB_SB_iPKfiiiPfSE_PS4_PT2_iSD_SD_,comdat
	.protected	_Z39paged_attention_ll4mi_QKV_mfma16_kernelI14__hip_bfloat16hLN4vllm18Fp8KVCacheDataTypeE1EhLi16ELi128ELi256ELb1ELi4EL8MFMAType0EEvPKT_PKT0_S9_ifPKiSB_SB_iPKfiiiPfSE_PS4_PT2_iSD_SD_ ; -- Begin function _Z39paged_attention_ll4mi_QKV_mfma16_kernelI14__hip_bfloat16hLN4vllm18Fp8KVCacheDataTypeE1EhLi16ELi128ELi256ELb1ELi4EL8MFMAType0EEvPKT_PKT0_S9_ifPKiSB_SB_iPKfiiiPfSE_PS4_PT2_iSD_SD_
	.globl	_Z39paged_attention_ll4mi_QKV_mfma16_kernelI14__hip_bfloat16hLN4vllm18Fp8KVCacheDataTypeE1EhLi16ELi128ELi256ELb1ELi4EL8MFMAType0EEvPKT_PKT0_S9_ifPKiSB_SB_iPKfiiiPfSE_PS4_PT2_iSD_SD_
	.p2align	8
	.type	_Z39paged_attention_ll4mi_QKV_mfma16_kernelI14__hip_bfloat16hLN4vllm18Fp8KVCacheDataTypeE1EhLi16ELi128ELi256ELb1ELi4EL8MFMAType0EEvPKT_PKT0_S9_ifPKiSB_SB_iPKfiiiPfSE_PS4_PT2_iSD_SD_,@function
_Z39paged_attention_ll4mi_QKV_mfma16_kernelI14__hip_bfloat16hLN4vllm18Fp8KVCacheDataTypeE1EhLi16ELi128ELi256ELb1ELi4EL8MFMAType0EEvPKT_PKT0_S9_ifPKiSB_SB_iPKfiiiPfSE_PS4_PT2_iSD_SD_: ; @_Z39paged_attention_ll4mi_QKV_mfma16_kernelI14__hip_bfloat16hLN4vllm18Fp8KVCacheDataTypeE1EhLi16ELi128ELi256ELb1ELi4EL8MFMAType0EEvPKT_PKT0_S9_ifPKiSB_SB_iPKfiiiPfSE_PS4_PT2_iSD_SD_
; %bb.0:
	s_load_b64 s[4:5], s[0:1], 0x30
	s_mov_b32 s30, s13
	s_waitcnt lgkmcnt(0)
	s_cmp_lg_u64 s[4:5], 0
	s_cselect_b32 s13, -1, 0
	s_ashr_i32 s31, s30, 31
	s_cmp_eq_u64 s[4:5], 0
	s_cbranch_scc1 .LBB1809_3
; %bb.1:
	s_lshl_b64 s[2:3], s[30:31], 2
	s_delay_alu instid0(SALU_CYCLE_1) | instskip(SKIP_4) | instid1(SALU_CYCLE_1)
	s_add_u32 s2, s4, s2
	s_addc_u32 s3, s5, s3
	s_load_b64 s[2:3], s[2:3], 0x0
	s_waitcnt lgkmcnt(0)
	s_sub_i32 s2, s3, s2
	s_cmp_eq_u32 s2, 1
	s_cselect_b32 s2, -1, 0
	s_delay_alu instid0(SALU_CYCLE_1)
	s_and_not1_b32 vcc_lo, exec_lo, s2
	s_cbranch_vccz .LBB1809_4
.LBB1809_2:
	s_endpgm
.LBB1809_3:
.LBB1809_4:
	s_load_b64 s[2:3], s[0:1], 0x28
	s_lshl_b64 s[6:7], s[30:31], 2
	s_waitcnt lgkmcnt(0)
	s_add_u32 s2, s2, s6
	s_addc_u32 s3, s3, s7
	s_lshl_b32 s12, s14, 8
	s_load_b32 s17, s[2:3], 0x0
	s_waitcnt lgkmcnt(0)
	s_cmp_ge_i32 s12, s17
	s_cbranch_scc1 .LBB1809_2
; %bb.5:
	s_clause 0x1
	s_load_b128 s[8:11], s[0:1], 0x8
	s_load_b64 s[2:3], s[0:1], 0x20
	s_and_not1_b32 vcc_lo, exec_lo, s13
	s_cbranch_vccnz .LBB1809_7
; %bb.6:
	s_add_u32 s4, s4, s6
	s_addc_u32 s5, s5, s7
	s_load_b32 s13, s[4:5], 0x0
	s_branch .LBB1809_8
.LBB1809_7:
	s_mov_b32 s13, s30
.LBB1809_8:
	s_load_b128 s[4:7], s[0:1], 0x48
	v_and_b32_e32 v66, 15, v0
	v_lshrrev_b32_e32 v65, 5, v0
	v_and_b32_e32 v67, 31, v0
	v_and_b32_e32 v75, 1, v0
	v_bfe_u32 v74, v0, 4, 1
	v_lshlrev_b32_e32 v1, 3, v66
	s_lshl_b32 s29, s15, 2
	s_waitcnt lgkmcnt(0)
	s_mov_b32 s7, exec_lo
	s_delay_alu instid0(VALU_DEP_1)
	v_lshlrev_b32_e32 v73, 1, v1
	v_cmpx_gt_u32_e32 64, v0
	s_cbranch_execz .LBB1809_10
; %bb.9:
	v_lshl_or_b32 v5, v65, 1, v74
	s_load_b64 s[18:19], s[0:1], 0x0
	s_mul_hi_i32 s21, s13, s4
	s_mul_i32 s20, s13, s4
	v_lshlrev_b32_e32 v6, 10, v66
	v_or_b32_e32 v1, s29, v5
	s_lshl_b64 s[20:21], s[20:21], 1
	v_lshlrev_b32_e32 v5, 6, v5
	v_lshlrev_b32_e32 v7, 10, v75
	v_and_b32_e32 v6, 0x3800, v6
	v_lshlrev_b32_e32 v1, 7, v1
	s_delay_alu instid0(VALU_DEP_2) | instskip(NEXT) | instid1(VALU_DEP_2)
	v_or3_b32 v5, v6, v7, v5
	v_ashrrev_i32_e32 v2, 31, v1
	s_delay_alu instid0(VALU_DEP_1) | instskip(SKIP_3) | instid1(VALU_DEP_1)
	v_lshlrev_b64 v[1:2], 1, v[1:2]
	s_waitcnt lgkmcnt(0)
	s_add_u32 s4, s18, s20
	s_addc_u32 s13, s19, s21
	v_add_co_u32 v1, vcc_lo, s4, v1
	s_delay_alu instid0(VALU_DEP_2) | instskip(NEXT) | instid1(VALU_DEP_2)
	v_add_co_ci_u32_e32 v2, vcc_lo, s13, v2, vcc_lo
	v_add_co_u32 v1, vcc_lo, v1, v73
	s_delay_alu instid0(VALU_DEP_2)
	v_add_co_ci_u32_e32 v2, vcc_lo, 0, v2, vcc_lo
	global_load_b128 v[1:4], v[1:2], off
	s_waitcnt vmcnt(0)
	ds_store_b128 v5, v[1:4]
.LBB1809_10:
	s_or_b32 exec_lo, exec_lo, s7
	v_and_b32_e32 v1, 0xef, v0
	s_add_i32 s4, s17, 15
	s_clause 0x1
	s_load_b32 s7, s[0:1], 0x38
	s_load_b32 s18, s[0:1], 0x1c
	s_ashr_i32 s13, s4, 31
	v_add_nc_u32_e32 v1, s12, v1
	s_lshr_b32 s13, s13, 28
	s_waitcnt lgkmcnt(0)
	s_add_i32 s4, s4, s13
	s_barrier
	v_ashrrev_i32_e32 v2, 31, v1
	v_or_b32_e32 v3, 16, v1
	s_ashr_i32 s4, s4, 4
	v_cmp_gt_i32_e32 vcc_lo, s17, v1
	s_add_i32 s4, s4, -1
	v_lshrrev_b32_e32 v2, 28, v2
	buffer_gl0_inv
	s_mul_i32 s15, s15, s6
	v_add_nc_u32_e32 v4, v1, v2
	s_mul_i32 s20, s30, s7
	s_delay_alu instid0(SALU_CYCLE_1) | instskip(NEXT) | instid1(VALU_DEP_1)
	s_ashr_i32 s21, s20, 31
	v_ashrrev_i32_e32 v4, 4, v4
	v_add_nc_u32_e32 v2, v3, v2
	s_lshl_b64 s[20:21], s[20:21], 2
	s_delay_alu instid0(SALU_CYCLE_1) | instskip(NEXT) | instid1(VALU_DEP_2)
	s_add_u32 s13, s2, s20
	v_cndmask_b32_e32 v1, s4, v4, vcc_lo
	s_delay_alu instid0(VALU_DEP_2)
	v_ashrrev_i32_e32 v2, 4, v2
	v_cmp_gt_i32_e32 vcc_lo, s17, v3
	s_addc_u32 s16, s3, s21
	s_ashr_i32 s19, s15, 31
	s_add_u32 s26, s8, s15
	s_addc_u32 s27, s9, s19
	v_cndmask_b32_e32 v3, s4, v2, vcc_lo
	v_ashrrev_i32_e32 v2, 31, v1
	s_lshl_b32 s2, s14, 4
	s_delay_alu instid0(SALU_CYCLE_1) | instskip(NEXT) | instid1(VALU_DEP_2)
	s_ashr_i32 s3, s2, 31
	v_ashrrev_i32_e32 v4, 31, v3
	s_delay_alu instid0(VALU_DEP_2) | instskip(SKIP_1) | instid1(SALU_CYCLE_1)
	v_lshlrev_b64 v[1:2], 2, v[1:2]
	s_lshl_b64 s[2:3], s[2:3], 2
	s_add_u32 s2, s13, s2
	s_delay_alu instid0(VALU_DEP_2) | instskip(SKIP_1) | instid1(VALU_DEP_2)
	v_lshlrev_b64 v[3:4], 2, v[3:4]
	s_addc_u32 s3, s16, s3
	v_add_co_u32 v1, vcc_lo, s13, v1
	v_add_co_ci_u32_e32 v2, vcc_lo, s16, v2, vcc_lo
	s_delay_alu instid0(VALU_DEP_3) | instskip(NEXT) | instid1(VALU_DEP_4)
	v_add_co_u32 v3, vcc_lo, s13, v3
	v_add_co_ci_u32_e32 v4, vcc_lo, s16, v4, vcc_lo
	s_clause 0x1
	global_load_b32 v5, v[1:2], off
	global_load_b32 v3, v[3:4], off
	s_or_b32 s6, s12, 32
	s_delay_alu instid0(SALU_CYCLE_1) | instskip(SKIP_2) | instid1(SALU_CYCLE_1)
	s_ashr_i32 s7, s6, 4
	s_cmp_lt_i32 s6, s17
	s_cselect_b32 s6, s7, s4
	s_ashr_i32 s7, s6, 31
	s_delay_alu instid0(SALU_CYCLE_1) | instskip(NEXT) | instid1(SALU_CYCLE_1)
	s_lshl_b64 s[6:7], s[6:7], 2
	s_add_u32 s6, s13, s6
	s_addc_u32 s7, s16, s7
	s_or_b32 s8, s12, 64
	s_delay_alu instid0(SALU_CYCLE_1) | instskip(SKIP_2) | instid1(SALU_CYCLE_1)
	s_ashr_i32 s9, s8, 4
	s_cmp_lt_i32 s8, s17
	s_cselect_b32 s8, s9, s4
	s_ashr_i32 s9, s8, 31
	s_delay_alu instid0(SALU_CYCLE_1) | instskip(NEXT) | instid1(SALU_CYCLE_1)
	s_lshl_b64 s[8:9], s[8:9], 2
	s_add_u32 s8, s13, s8
	s_addc_u32 s9, s16, s9
	;; [unrolled: 10-line block ×5, first 2 shown]
	s_clause 0x5
	s_load_b32 s28, s[2:3], 0x0
	s_load_b32 s31, s[6:7], 0x0
	;; [unrolled: 1-line block ×6, first 2 shown]
	s_mov_b32 s20, 0
	s_or_b32 s2, s12, 0xc0
	s_mov_b32 s21, s20
	s_mov_b32 s22, s20
	;; [unrolled: 1-line block ×5, first 2 shown]
	v_lshlrev_b32_e32 v1, 4, v0
	s_ashr_i32 s3, s2, 4
	s_cmp_lt_i32 s2, s17
	s_cselect_b32 s2, s3, s4
	s_delay_alu instid0(VALU_DEP_1) | instskip(SKIP_1) | instid1(SALU_CYCLE_1)
	v_and_b32_e32 v1, 0xf0, v1
	s_ashr_i32 s3, s2, 31
	s_lshl_b64 s[2:3], s[2:3], 2
	s_delay_alu instid0(VALU_DEP_1) | instskip(NEXT) | instid1(VALU_DEP_1)
	v_add_co_u32 v1, s26, s26, v1
	v_add_co_ci_u32_e64 v2, null, s27, 0, s26
	s_add_u32 s2, s13, s2
	s_addc_u32 s3, s16, s3
	s_or_b32 s6, s12, 0xe0
	s_mov_b32 s26, s20
	s_ashr_i32 s7, s6, 4
	s_cmp_lt_i32 s6, s17
	s_mov_b32 s27, s20
	s_cselect_b32 s6, s7, s4
	v_dual_mov_b32 v107, s27 :: v_dual_mov_b32 v100, s20
	s_ashr_i32 s7, s6, 31
	v_mov_b32_e32 v106, s26
	s_lshl_b64 s[6:7], s[6:7], 2
	v_dual_mov_b32 v104, s24 :: v_dual_mov_b32 v103, s23
	v_dual_mov_b32 v102, s22 :: v_dual_mov_b32 v101, s21
	v_mov_b32_e32 v105, s25
	s_waitcnt vmcnt(1)
	v_mad_i64_i32 v[33:34], null, v5, s5, v[1:2]
	s_waitcnt vmcnt(0)
	v_mad_i64_i32 v[35:36], null, v3, s5, v[1:2]
	s_clause 0xf
	global_load_b128 v[1:4], v[33:34], off
	global_load_b128 v[5:8], v[33:34], off offset:256
	global_load_b128 v[9:12], v[35:36], off
	global_load_b128 v[13:16], v[35:36], off offset:256
	global_load_b128 v[17:20], v[33:34], off offset:512
	;; [unrolled: 1-line block ×13, first 2 shown]
	v_and_b32_e32 v33, 3, v0
	v_lshlrev_b32_e32 v34, 4, v66
	s_delay_alu instid0(VALU_DEP_2) | instskip(NEXT) | instid1(VALU_DEP_2)
	v_lshlrev_b32_e32 v72, 6, v33
	v_lshl_or_b32 v41, v65, 8, v34
	ds_load_b128 v[33:36], v72
	ds_load_b128 v[37:40], v72 offset:1024
	ds_load_b128 v[108:111], v72 offset:2048
	;; [unrolled: 1-line block ×3, first 2 shown]
	s_load_b32 s4, s[2:3], 0x0
	s_add_u32 s2, s13, s6
	s_addc_u32 s3, s16, s7
	ds_load_b128 v[116:119], v72 offset:4096
	ds_load_b128 v[120:123], v72 offset:5120
	s_load_b32 s2, s[2:3], 0x0
	s_add_u32 s6, s10, s15
	s_addc_u32 s7, s11, s19
	v_add_co_u32 v68, s6, s6, v41
	s_delay_alu instid0(VALU_DEP_1) | instskip(SKIP_1) | instid1(VALU_DEP_1)
	v_add_co_ci_u32_e64 v69, null, s7, 0, s6
	s_waitcnt lgkmcnt(0)
	v_mad_i64_i32 v[41:42], null, s28, s5, v[68:69]
	v_mad_i64_i32 v[70:71], null, s8, s5, v[68:69]
	;; [unrolled: 1-line block ×7, first 2 shown]
	s_clause 0x3
	global_load_b128 v[49:52], v[41:42], off
	global_load_b128 v[53:56], v[41:42], off offset:16
	global_load_b128 v[41:44], v[45:46], off
	global_load_b128 v[45:48], v[45:46], off offset:16
	s_waitcnt vmcnt(18)
	v_wmma_f32_16x16x16_bf16 v[124:131], v[1:8], v[33:40], v[100:107]
	s_waitcnt vmcnt(16)
	v_wmma_f32_16x16x16_bf16 v[100:107], v[9:16], v[33:40], v[100:107]
	s_clause 0x1
	global_load_b128 v[33:36], v[70:71], off
	global_load_b128 v[37:40], v[70:71], off offset:16
	v_mad_i64_i32 v[70:71], null, s2, s5, v[68:69]
	s_waitcnt vmcnt(16)
	v_wmma_f32_16x16x16_bf16 v[124:131], v[17:24], v[108:115], v[124:131]
	s_waitcnt vmcnt(14)
	v_wmma_f32_16x16x16_bf16 v[100:107], v[25:32], v[108:115], v[100:107]
	s_clause 0x7
	global_load_b128 v[25:28], v[132:133], off
	global_load_b128 v[29:32], v[132:133], off offset:16
	global_load_b128 v[1:4], v[134:135], off
	global_load_b128 v[5:8], v[134:135], off offset:16
	;; [unrolled: 2-line block ×4, first 2 shown]
	s_waitcnt vmcnt(20)
	v_wmma_f32_16x16x16_bf16 v[124:131], v[57:64], v[116:123], v[124:131]
	s_clause 0x1
	global_load_b128 v[57:60], v[70:71], off
	global_load_b128 v[61:64], v[70:71], off offset:16
	s_waitcnt vmcnt(20)
	v_wmma_f32_16x16x16_bf16 v[100:107], v[76:83], v[116:123], v[100:107]
	ds_load_b128 v[76:79], v72 offset:6144
	ds_load_b128 v[80:83], v72 offset:7168
	v_and_b32_e32 v68, 0xe0, v0
	v_mbcnt_lo_u32_b32 v69, -1, 0
	s_waitcnt vmcnt(0) lgkmcnt(0)
	s_barrier
	buffer_gl0_inv
	v_add_nc_u32_e32 v68, s12, v68
	v_xor_b32_e32 v70, 16, v69
	s_delay_alu instid0(VALU_DEP_2) | instskip(NEXT) | instid1(VALU_DEP_2)
	v_or_b32_e32 v68, v68, v74
	v_cmp_gt_i32_e32 vcc_lo, 32, v70
	s_delay_alu instid0(VALU_DEP_2)
	v_or_b32_e32 v71, 4, v68
	v_or_b32_e32 v72, 6, v68
	v_cmp_gt_i32_e64 s2, s17, v68
	v_or_b32_e32 v108, 8, v68
	v_wmma_f32_16x16x16_bf16 v[124:131], v[84:91], v[76:83], v[124:131]
	v_cndmask_b32_e32 v69, v69, v70, vcc_lo
	v_or_b32_e32 v70, 2, v68
	v_wmma_f32_16x16x16_bf16 v[100:107], v[92:99], v[76:83], v[100:107]
	v_or_b32_e32 v109, 10, v68
	v_dual_mul_f32 v80, s18, v129 :: v_dual_mul_f32 v81, s18, v128
	v_dual_mul_f32 v92, s18, v125 :: v_dual_mul_f32 v93, s18, v124
	s_delay_alu instid0(VALU_DEP_4)
	v_mul_f32_e32 v96, s18, v105
	v_cmp_gt_i32_e32 vcc_lo, s17, v70
	v_or_b32_e32 v89, 22, v68
	v_dual_mul_f32 v79, s18, v130 :: v_dual_mul_f32 v82, s18, v127
	v_dual_mul_f32 v83, s18, v126 :: v_dual_mul_f32 v94, s18, v107
	v_cndmask_b32_e64 v93, 0xff7fffff, v93, s2
	v_cndmask_b32_e32 v92, 0xff7fffff, v92, vcc_lo
	v_cmp_gt_i32_e64 s3, s17, v71
	v_cmp_gt_i32_e64 s4, s17, v72
	v_or_b32_e32 v84, 12, v68
	v_or_b32_e32 v85, 14, v68
	v_cmp_gt_i32_e64 s5, s17, v108
	v_cndmask_b32_e64 v71, 0xff7fffff, v83, s3
	v_cndmask_b32_e64 v72, 0xff7fffff, v82, s4
	v_cmp_gt_i32_e64 s6, s17, v109
	v_cmp_gt_i32_e64 s12, s17, v89
	v_lshlrev_b32_e32 v89, 2, v69
	v_max3_f32 v82, v93, 0xff7fffff, v92
	v_or_b32_e32 v86, 16, v68
	v_or_b32_e32 v87, 18, v68
	v_mul_f32_e32 v78, s18, v131
	v_cndmask_b32_e64 v81, 0xff7fffff, v81, s5
	v_cndmask_b32_e64 v80, 0xff7fffff, v80, s6
	v_max3_f32 v71, v82, v71, v72
	v_cmp_gt_i32_e64 s7, s17, v84
	v_cmp_gt_i32_e64 s8, s17, v85
	v_or_b32_e32 v88, 20, v68
	v_or_b32_e32 v90, 24, v68
	;; [unrolled: 1-line block ×5, first 2 shown]
	v_dual_mul_f32 v97, s18, v104 :: v_dual_mul_f32 v70, s18, v101
	v_dual_mul_f32 v99, s18, v102 :: v_dual_mul_f32 v68, s18, v100
	v_cndmask_b32_e64 v72, 0xff7fffff, v79, s7
	v_cndmask_b32_e64 v78, 0xff7fffff, v78, s8
	v_max3_f32 v71, v71, v81, v80
	v_cmp_gt_i32_e64 s9, s17, v86
	v_cmp_gt_i32_e64 s10, s17, v87
	v_dual_mul_f32 v95, s18, v106 :: v_dual_mul_f32 v98, s18, v103
	s_delay_alu instid0(VALU_DEP_4) | instskip(NEXT) | instid1(VALU_DEP_4)
	v_max3_f32 v71, v71, v72, v78
	v_cndmask_b32_e64 v68, 0xff7fffff, v68, s9
	s_delay_alu instid0(VALU_DEP_4)
	v_cndmask_b32_e64 v70, 0xff7fffff, v70, s10
	v_cmp_gt_i32_e64 s11, s17, v88
	v_cndmask_b32_e64 v78, 0xff7fffff, v98, s12
	v_cmp_gt_i32_e64 s13, s17, v90
	v_cmp_gt_i32_e64 s15, s17, v91
	v_max3_f32 v68, v71, v68, v70
	v_cndmask_b32_e64 v72, 0xff7fffff, v99, s11
	v_cmp_gt_i32_e64 s16, s17, v76
	v_cndmask_b32_e64 v70, 0xff7fffff, v97, s13
	v_cndmask_b32_e64 v71, 0xff7fffff, v96, s15
	v_cmp_gt_i32_e64 s17, s17, v77
	v_max3_f32 v68, v68, v72, v78
	v_cndmask_b32_e64 v72, 0xff7fffff, v95, s16
	s_delay_alu instid0(VALU_DEP_3) | instskip(NEXT) | instid1(VALU_DEP_3)
	v_cndmask_b32_e64 v76, 0xff7fffff, v94, s17
	v_max3_f32 v68, v68, v70, v71
	s_delay_alu instid0(VALU_DEP_1) | instskip(SKIP_3) | instid1(VALU_DEP_1)
	v_max3_f32 v68, v68, v72, v76
	ds_bpermute_b32 v69, v89, v68
	s_waitcnt lgkmcnt(0)
	v_max_f32_e32 v69, v69, v69
	v_max_f32_e32 v68, v68, v69
	s_delay_alu instid0(VALU_DEP_1) | instskip(NEXT) | instid1(VALU_DEP_1)
	v_fma_f32 v71, s18, v126, -v68
	v_mul_f32_e32 v71, 0x3fb8aa3b, v71
	v_fma_f32 v70, s18, v125, -v68
	v_fma_f32 v69, s18, v124, -v68
	;; [unrolled: 1-line block ×5, first 2 shown]
	s_delay_alu instid0(VALU_DEP_4) | instskip(SKIP_1) | instid1(VALU_DEP_3)
	v_dual_mul_f32 v70, 0x3fb8aa3b, v70 :: v_dual_mul_f32 v69, 0x3fb8aa3b, v69
	v_exp_f32_e32 v71, v71
	v_mul_f32_e32 v72, 0x3fb8aa3b, v72
	v_fma_f32 v81, s18, v105, -v68
	s_delay_alu instid0(VALU_DEP_3)
	v_exp_f32_e32 v70, v70
	v_mul_f32_e32 v77, 0x3fb8aa3b, v76
	v_exp_f32_e32 v69, v69
	v_exp_f32_e32 v72, v72
	v_mul_f32_e32 v81, 0x3fb8aa3b, v81
	v_cndmask_b32_e64 v83, 0, v71, s3
	v_fma_f32 v71, s18, v131, -v68
	s_delay_alu instid0(VALU_DEP_3) | instskip(SKIP_4) | instid1(TRANS32_DEP_3)
	v_exp_f32_e32 v81, v81
	v_cndmask_b32_e32 v76, 0, v70, vcc_lo
	v_exp_f32_e32 v77, v77
	v_cndmask_b32_e64 v80, 0, v69, s2
	v_fma_f32 v69, s18, v129, -v68
	v_cndmask_b32_e64 v85, 0, v72, s4
	v_mul_f32_e32 v71, 0x3fb8aa3b, v71
	v_fma_f32 v72, s18, v100, -v68
	s_delay_alu instid0(VALU_DEP_4) | instskip(SKIP_1) | instid1(VALU_DEP_3)
	v_dual_add_f32 v70, 0, v80 :: v_dual_mul_f32 v69, 0x3fb8aa3b, v69
	s_mov_b32 s2, exec_lo
	v_exp_f32_e32 v71, v71
	s_delay_alu instid0(TRANS32_DEP_2) | instskip(SKIP_4) | instid1(VALU_DEP_3)
	v_cndmask_b32_e64 v86, 0, v77, s5
	v_fma_f32 v77, s18, v101, -v68
	v_mul_f32_e32 v78, 0x3fb8aa3b, v78
	v_add_f32_e32 v70, v70, v76
	v_exp_f32_e32 v69, v69
	v_mul_f32_e32 v77, 0x3fb8aa3b, v77
	s_delay_alu instid0(VALU_DEP_3) | instskip(NEXT) | instid1(TRANS32_DEP_3)
	v_exp_f32_e32 v78, v78
	v_cndmask_b32_e64 v88, 0, v71, s8
	v_fma_f32 v71, s18, v104, -v68
	s_delay_alu instid0(VALU_DEP_3) | instskip(NEXT) | instid1(TRANS32_DEP_3)
	v_exp_f32_e32 v77, v77
	v_cndmask_b32_e64 v87, 0, v69, s6
	s_delay_alu instid0(VALU_DEP_2)
	v_mul_f32_e32 v71, 0x3fb8aa3b, v71
	s_waitcnt_depctr 0xfff
	v_cndmask_b32_e64 v84, 0, v78, s7
	v_add_f32_e32 v70, v70, v83
	v_fma_f32 v78, s18, v103, -v68
	v_exp_f32_e32 v82, v71
	s_delay_alu instid0(VALU_DEP_2) | instskip(SKIP_1) | instid1(VALU_DEP_3)
	v_add_f32_e32 v70, v70, v85
	v_mul_f32_e32 v72, 0x3fb8aa3b, v72
	v_mul_f32_e32 v78, 0x3fb8aa3b, v78
	s_delay_alu instid0(VALU_DEP_3) | instskip(SKIP_1) | instid1(VALU_DEP_4)
	v_add_f32_e32 v69, v70, v86
	v_fma_f32 v70, s18, v102, -v68
	v_exp_f32_e32 v72, v72
	s_delay_alu instid0(VALU_DEP_3) | instskip(NEXT) | instid1(VALU_DEP_1)
	v_exp_f32_e32 v78, v78
	v_dual_add_f32 v69, v69, v87 :: v_dual_mul_f32 v70, 0x3fb8aa3b, v70
	s_delay_alu instid0(VALU_DEP_1) | instskip(NEXT) | instid1(VALU_DEP_2)
	v_add_f32_e32 v69, v69, v84
	v_exp_f32_e32 v79, v70
	s_delay_alu instid0(TRANS32_DEP_3) | instskip(NEXT) | instid1(VALU_DEP_2)
	v_cndmask_b32_e64 v70, 0, v72, s9
	v_add_f32_e32 v72, v69, v88
	v_cndmask_b32_e64 v69, 0, v77, s10
	v_fma_f32 v77, s18, v106, -v68
	s_waitcnt_depctr 0xfff
	v_cndmask_b32_e64 v71, 0, v79, s11
	v_dual_mul_f32 v77, 0x3fb8aa3b, v77 :: v_dual_add_f32 v72, v72, v70
	s_delay_alu instid0(VALU_DEP_1) | instskip(NEXT) | instid1(VALU_DEP_1)
	v_exp_f32_e32 v90, v77
	v_add_f32_e32 v79, v72, v69
	v_cndmask_b32_e64 v72, 0, v78, s12
	v_cndmask_b32_e64 v77, 0, v82, s13
	s_delay_alu instid0(VALU_DEP_3) | instskip(SKIP_1) | instid1(VALU_DEP_1)
	v_add_f32_e32 v78, v79, v71
	v_fma_f32 v79, s18, v107, -v68
	v_dual_add_f32 v82, v78, v72 :: v_dual_mul_f32 v79, 0x3fb8aa3b, v79
	v_cndmask_b32_e64 v78, 0, v81, s15
	s_delay_alu instid0(VALU_DEP_2) | instskip(NEXT) | instid1(VALU_DEP_3)
	v_add_f32_e32 v81, v82, v77
	v_exp_f32_e32 v82, v79
	v_cndmask_b32_e64 v79, 0, v90, s16
	s_delay_alu instid0(VALU_DEP_2) | instskip(NEXT) | instid1(VALU_DEP_1)
	v_add_f32_e32 v81, v81, v78
	v_add_f32_e32 v90, v81, v79
	s_waitcnt_depctr 0xfff
	v_cndmask_b32_e64 v81, 0, v82, s17
	s_delay_alu instid0(VALU_DEP_1)
	v_add_f32_e32 v82, v90, v81
	ds_bpermute_b32 v89, v89, v82
	v_cmpx_gt_u32_e32 16, v67
	s_cbranch_execz .LBB1809_12
; %bb.11:
	v_mul_u32_u24_e32 v67, 0x44, v65
	s_delay_alu instid0(VALU_DEP_1) | instskip(SKIP_1) | instid1(VALU_DEP_1)
	v_lshl_add_u32 v67, v66, 2, v67
	s_waitcnt lgkmcnt(0)
	v_dual_add_f32 v82, v82, v89 :: v_dual_add_nc_u32 v67, 0x4000, v67
	ds_store_2addr_b32 v67, v68, v82 offset1:136
.LBB1809_12:
	s_or_b32 exec_lo, exec_lo, s2
	v_lshlrev_b32_e32 v67, 2, v66
	s_waitcnt lgkmcnt(0)
	s_barrier
	buffer_gl0_inv
	v_cmp_eq_u32_e32 vcc_lo, 1, v65
	v_add_nc_u32_e32 v82, 0x4000, v67
	v_cmp_eq_u32_e64 s2, 2, v65
	v_cmp_eq_u32_e64 s4, 7, v65
	ds_load_2addr_b32 v[89:90], v82 offset1:17
	ds_load_2addr_b32 v[91:92], v82 offset0:34 offset1:51
	ds_load_2addr_b32 v[93:94], v82 offset0:68 offset1:85
	;; [unrolled: 1-line block ×4, first 2 shown]
	s_waitcnt lgkmcnt(4)
	v_max3_f32 v67, v89, 0xff7fffff, v90
	s_waitcnt lgkmcnt(3)
	s_delay_alu instid0(VALU_DEP_1) | instskip(SKIP_1) | instid1(VALU_DEP_1)
	v_max3_f32 v67, v67, v91, v92
	s_waitcnt lgkmcnt(2)
	v_max3_f32 v67, v67, v93, v94
	s_waitcnt lgkmcnt(1)
	s_delay_alu instid0(VALU_DEP_1) | instskip(NEXT) | instid1(VALU_DEP_1)
	v_max3_f32 v67, v67, v95, v96
	v_sub_f32_e32 v93, v93, v67
	s_delay_alu instid0(VALU_DEP_1) | instskip(NEXT) | instid1(VALU_DEP_1)
	v_dual_sub_f32 v68, v89, v67 :: v_dual_mul_f32 v103, 0x3fb8aa3b, v93
	v_mul_f32_e32 v68, 0x3fb8aa3b, v68
	s_delay_alu instid0(VALU_DEP_1)
	v_exp_f32_e32 v100, v68
	v_sub_f32_e32 v68, v92, v67
	v_sub_f32_e32 v99, v90, v67
	ds_load_2addr_b32 v[89:90], v82 offset0:170 offset1:187
	v_dual_mul_f32 v102, 0x3fb8aa3b, v68 :: v_dual_mul_f32 v99, 0x3fb8aa3b, v99
	s_waitcnt lgkmcnt(1)
	v_fma_f32 v68, v100, v97, 0
	s_delay_alu instid0(VALU_DEP_2) | instskip(NEXT) | instid1(VALU_DEP_2)
	v_exp_f32_e32 v102, v102
	v_exp_f32_e32 v99, v99
	s_waitcnt_depctr 0xfff
	v_fmac_f32_e32 v68, v99, v98
	v_sub_f32_e32 v91, v91, v67
	s_delay_alu instid0(VALU_DEP_1)
	v_mul_f32_e32 v101, 0x3fb8aa3b, v91
	ds_load_2addr_b32 v[91:92], v82 offset0:204 offset1:221
	v_sub_f32_e32 v97, v94, v67
	ds_load_2addr_b32 v[93:94], v82 offset0:238 offset1:255
	s_waitcnt lgkmcnt(0)
	v_exp_f32_e32 v101, v101
	s_barrier
	buffer_gl0_inv
	v_dual_fmac_f32 v68, v101, v89 :: v_dual_sub_f32 v89, v96, v67
	v_dual_sub_f32 v82, v95, v67 :: v_dual_mul_f32 v95, 0x3fb8aa3b, v97
	v_exp_f32_e32 v97, v103
	s_delay_alu instid0(VALU_DEP_2) | instskip(NEXT) | instid1(VALU_DEP_2)
	v_dual_fmac_f32 v68, v102, v90 :: v_dual_mul_f32 v89, 0x3fb8aa3b, v89
	v_mul_f32_e32 v82, 0x3fb8aa3b, v82
	s_delay_alu instid0(VALU_DEP_3) | instskip(NEXT) | instid1(VALU_DEP_2)
	v_exp_f32_e32 v95, v95
	v_exp_f32_e32 v89, v89
	s_delay_alu instid0(VALU_DEP_1)
	v_exp_f32_e32 v82, v82
	v_fmac_f32_e32 v68, v97, v91
	s_delay_alu instid0(TRANS32_DEP_3) | instid1(VALU_DEP_1)
	v_fmac_f32_e32 v68, v95, v92
	s_waitcnt_depctr 0xfff
	v_fmac_f32_e32 v68, v82, v93
	s_delay_alu instid0(VALU_DEP_1) | instskip(NEXT) | instid1(VALU_DEP_1)
	v_fmac_f32_e32 v68, v89, v94
	v_add_f32_e32 v90, 0x358637bd, v68
	s_delay_alu instid0(VALU_DEP_1) | instskip(NEXT) | instid1(VALU_DEP_1)
	v_div_scale_f32 v91, null, v90, v90, 1.0
	v_rcp_f32_e32 v92, v91
	s_waitcnt_depctr 0xfff
	v_fma_f32 v93, -v91, v92, 1.0
	s_delay_alu instid0(VALU_DEP_1) | instskip(SKIP_1) | instid1(VALU_DEP_2)
	v_dual_fmac_f32 v92, v93, v92 :: v_dual_cndmask_b32 v93, v100, v99
	v_cmp_eq_u32_e32 vcc_lo, 3, v65
	v_cndmask_b32_e64 v93, v93, v101, s2
	v_cmp_eq_u32_e64 s2, 4, v65
	s_delay_alu instid0(VALU_DEP_2) | instskip(SKIP_1) | instid1(VALU_DEP_2)
	v_cndmask_b32_e32 v93, v93, v102, vcc_lo
	v_cmp_eq_u32_e32 vcc_lo, 5, v65
	v_cndmask_b32_e64 v93, v93, v97, s2
	v_cmp_eq_u32_e64 s2, 6, v65
	s_delay_alu instid0(VALU_DEP_2) | instskip(SKIP_1) | instid1(VALU_DEP_1)
	v_cndmask_b32_e32 v93, v93, v95, vcc_lo
	v_div_scale_f32 v94, s3, 1.0, v90, 1.0
	s_mov_b32 vcc_lo, s3
	s_delay_alu instid0(VALU_DEP_2) | instskip(NEXT) | instid1(VALU_DEP_2)
	v_cndmask_b32_e64 v82, v93, v82, s2
	v_mul_f32_e32 v96, v94, v92
	s_mov_b32 s2, exec_lo
	s_delay_alu instid0(VALU_DEP_2) | instskip(NEXT) | instid1(VALU_DEP_2)
	v_cndmask_b32_e64 v82, v82, v89, s4
	v_fma_f32 v98, -v91, v96, v94
	s_delay_alu instid0(VALU_DEP_1) | instskip(NEXT) | instid1(VALU_DEP_1)
	v_fmac_f32_e32 v96, v98, v92
	v_fma_f32 v91, -v91, v96, v94
	s_delay_alu instid0(VALU_DEP_1) | instskip(NEXT) | instid1(VALU_DEP_1)
	v_div_fmas_f32 v91, v91, v92, v96
	v_div_fixup_f32 v90, v91, v90, 1.0
	s_delay_alu instid0(VALU_DEP_1) | instskip(NEXT) | instid1(VALU_DEP_1)
	v_mul_f32_e32 v82, v82, v90
	v_mul_f32_e32 v87, v82, v87
	;; [unrolled: 1-line block ×7, first 2 shown]
	v_dual_mul_f32 v86, v82, v83 :: v_dual_and_b32 v91, 0x7f800000, v90
	v_mul_f32_e32 v85, v82, v76
                                        ; implicit-def: $vgpr76
	s_delay_alu instid0(VALU_DEP_2)
	v_cmpx_ne_u32_e32 0x7f800000, v91
	s_xor_b32 s2, exec_lo, s2
; %bb.13:
	v_bfe_u32 v76, v90, 16, 1
	s_delay_alu instid0(VALU_DEP_1)
	v_add3_u32 v76, v90, v76, 0x7fff
                                        ; implicit-def: $vgpr90
; %bb.14:
	s_and_not1_saveexec_b32 s2, s2
; %bb.15:
	v_and_b32_e32 v76, 0xffff, v90
	v_or_b32_e32 v83, 0x10000, v90
	s_delay_alu instid0(VALU_DEP_2) | instskip(NEXT) | instid1(VALU_DEP_2)
	v_cmp_eq_u32_e32 vcc_lo, 0, v76
	v_cndmask_b32_e32 v76, v83, v90, vcc_lo
; %bb.16:
	s_or_b32 exec_lo, exec_lo, s2
	v_and_b32_e32 v83, 0x7f800000, v85
	s_delay_alu instid0(VALU_DEP_1) | instskip(SKIP_1) | instid1(SALU_CYCLE_1)
	v_cmp_ne_u32_e32 vcc_lo, 0x7f800000, v83
                                        ; implicit-def: $vgpr83
	s_and_saveexec_b32 s2, vcc_lo
	s_xor_b32 s2, exec_lo, s2
; %bb.17:
	v_bfe_u32 v83, v85, 16, 1
	s_delay_alu instid0(VALU_DEP_1)
	v_add3_u32 v83, v85, v83, 0x7fff
                                        ; implicit-def: $vgpr85
; %bb.18:
	s_and_not1_saveexec_b32 s2, s2
; %bb.19:
	v_and_b32_e32 v83, 0xffff, v85
	v_or_b32_e32 v90, 0x10000, v85
	s_delay_alu instid0(VALU_DEP_2) | instskip(NEXT) | instid1(VALU_DEP_2)
	v_cmp_eq_u32_e32 vcc_lo, 0, v83
	v_cndmask_b32_e32 v83, v90, v85, vcc_lo
; %bb.20:
	s_or_b32 exec_lo, exec_lo, s2
	v_and_b32_e32 v85, 0x7f800000, v86
	s_delay_alu instid0(VALU_DEP_1) | instskip(SKIP_1) | instid1(SALU_CYCLE_1)
	v_cmp_ne_u32_e32 vcc_lo, 0x7f800000, v85
                                        ; implicit-def: $vgpr85
	s_and_saveexec_b32 s2, vcc_lo
	s_xor_b32 s2, exec_lo, s2
; %bb.21:
	v_bfe_u32 v85, v86, 16, 1
	s_delay_alu instid0(VALU_DEP_1)
	v_add3_u32 v85, v86, v85, 0x7fff
                                        ; implicit-def: $vgpr86
; %bb.22:
	s_and_not1_saveexec_b32 s2, s2
; %bb.23:
	v_and_b32_e32 v85, 0xffff, v86
	v_or_b32_e32 v90, 0x10000, v86
	s_delay_alu instid0(VALU_DEP_2) | instskip(NEXT) | instid1(VALU_DEP_2)
	v_cmp_eq_u32_e32 vcc_lo, 0, v85
	v_cndmask_b32_e32 v85, v90, v86, vcc_lo
; %bb.24:
	s_or_b32 exec_lo, exec_lo, s2
	v_and_b32_e32 v86, 0x7f800000, v89
	s_delay_alu instid0(VALU_DEP_1) | instskip(SKIP_1) | instid1(SALU_CYCLE_1)
	v_cmp_ne_u32_e32 vcc_lo, 0x7f800000, v86
                                        ; implicit-def: $vgpr86
	s_and_saveexec_b32 s2, vcc_lo
	s_xor_b32 s2, exec_lo, s2
; %bb.25:
	v_bfe_u32 v86, v89, 16, 1
	s_delay_alu instid0(VALU_DEP_1)
	v_add3_u32 v86, v89, v86, 0x7fff
                                        ; implicit-def: $vgpr89
; %bb.26:
	s_and_not1_saveexec_b32 s2, s2
; %bb.27:
	v_and_b32_e32 v86, 0xffff, v89
	v_or_b32_e32 v90, 0x10000, v89
	s_delay_alu instid0(VALU_DEP_2) | instskip(NEXT) | instid1(VALU_DEP_2)
	v_cmp_eq_u32_e32 vcc_lo, 0, v86
	v_cndmask_b32_e32 v86, v90, v89, vcc_lo
; %bb.28:
	s_or_b32 exec_lo, exec_lo, s2
	v_and_b32_e32 v89, 0x7f800000, v88
	s_delay_alu instid0(VALU_DEP_1) | instskip(SKIP_1) | instid1(SALU_CYCLE_1)
	v_cmp_ne_u32_e32 vcc_lo, 0x7f800000, v89
                                        ; implicit-def: $vgpr89
	s_and_saveexec_b32 s2, vcc_lo
	s_xor_b32 s2, exec_lo, s2
; %bb.29:
	v_bfe_u32 v89, v88, 16, 1
	s_delay_alu instid0(VALU_DEP_1)
	v_add3_u32 v89, v88, v89, 0x7fff
                                        ; implicit-def: $vgpr88
; %bb.30:
	s_and_not1_saveexec_b32 s2, s2
; %bb.31:
	v_and_b32_e32 v89, 0xffff, v88
	v_or_b32_e32 v90, 0x10000, v88
	s_delay_alu instid0(VALU_DEP_2) | instskip(NEXT) | instid1(VALU_DEP_2)
	v_cmp_eq_u32_e32 vcc_lo, 0, v89
	v_cndmask_b32_e32 v89, v90, v88, vcc_lo
; %bb.32:
	s_or_b32 exec_lo, exec_lo, s2
	v_and_b32_e32 v88, 0x7f800000, v87
	s_delay_alu instid0(VALU_DEP_1) | instskip(SKIP_1) | instid1(SALU_CYCLE_1)
	v_cmp_ne_u32_e32 vcc_lo, 0x7f800000, v88
                                        ; implicit-def: $vgpr88
	s_and_saveexec_b32 s2, vcc_lo
	s_xor_b32 s2, exec_lo, s2
; %bb.33:
	v_bfe_u32 v88, v87, 16, 1
	s_delay_alu instid0(VALU_DEP_1)
	v_add3_u32 v88, v87, v88, 0x7fff
                                        ; implicit-def: $vgpr87
; %bb.34:
	s_and_not1_saveexec_b32 s2, s2
; %bb.35:
	v_and_b32_e32 v88, 0xffff, v87
	v_or_b32_e32 v90, 0x10000, v87
	s_delay_alu instid0(VALU_DEP_2) | instskip(NEXT) | instid1(VALU_DEP_2)
	v_cmp_eq_u32_e32 vcc_lo, 0, v88
	v_cndmask_b32_e32 v88, v90, v87, vcc_lo
; %bb.36:
	s_or_b32 exec_lo, exec_lo, s2
	v_and_b32_e32 v87, 0x7f800000, v84
	s_delay_alu instid0(VALU_DEP_1) | instskip(SKIP_1) | instid1(SALU_CYCLE_1)
	v_cmp_ne_u32_e32 vcc_lo, 0x7f800000, v87
                                        ; implicit-def: $vgpr87
	s_and_saveexec_b32 s2, vcc_lo
	s_xor_b32 s2, exec_lo, s2
; %bb.37:
	v_bfe_u32 v87, v84, 16, 1
	s_delay_alu instid0(VALU_DEP_1)
	v_add3_u32 v87, v84, v87, 0x7fff
                                        ; implicit-def: $vgpr84
; %bb.38:
	s_and_not1_saveexec_b32 s2, s2
; %bb.39:
	v_and_b32_e32 v87, 0xffff, v84
	v_or_b32_e32 v90, 0x10000, v84
	s_delay_alu instid0(VALU_DEP_2) | instskip(NEXT) | instid1(VALU_DEP_2)
	v_cmp_eq_u32_e32 vcc_lo, 0, v87
	v_cndmask_b32_e32 v87, v90, v84, vcc_lo
; %bb.40:
	s_or_b32 exec_lo, exec_lo, s2
	v_and_b32_e32 v84, 0x7f800000, v80
	s_delay_alu instid0(VALU_DEP_1) | instskip(SKIP_1) | instid1(SALU_CYCLE_1)
	v_cmp_ne_u32_e32 vcc_lo, 0x7f800000, v84
                                        ; implicit-def: $vgpr84
	s_and_saveexec_b32 s2, vcc_lo
	s_xor_b32 s2, exec_lo, s2
; %bb.41:
	v_bfe_u32 v84, v80, 16, 1
	s_delay_alu instid0(VALU_DEP_1)
	v_add3_u32 v84, v80, v84, 0x7fff
                                        ; implicit-def: $vgpr80
; %bb.42:
	s_and_not1_saveexec_b32 s2, s2
; %bb.43:
	v_and_b32_e32 v84, 0xffff, v80
	v_or_b32_e32 v90, 0x10000, v80
	s_delay_alu instid0(VALU_DEP_2) | instskip(NEXT) | instid1(VALU_DEP_2)
	v_cmp_eq_u32_e32 vcc_lo, 0, v84
	v_cndmask_b32_e32 v84, v90, v80, vcc_lo
; %bb.44:
	s_or_b32 exec_lo, exec_lo, s2
	s_load_b64 s[34:35], s[0:1], 0x94
	v_lshlrev_b32_e32 v91, 4, v74
	s_delay_alu instid0(VALU_DEP_2)
	v_perm_b32 v90, v84, v87, 0x7060302
	v_dual_mul_f32 v77, v82, v77 :: v_dual_lshlrev_b32 v80, 6, v66
	v_lshlrev_b32_e32 v66, 11, v65
	v_perm_b32 v87, v83, v76, 0x7060302
	v_mul_f32_e32 v83, v82, v70
	v_perm_b32 v89, v88, v89, 0x7060302
	v_perm_b32 v88, v86, v85, 0x7060302
	v_or3_b32 v76, v91, v66, v80
	v_mul_f32_e32 v66, v82, v81
	v_mul_f32_e32 v70, v82, v79
	v_mul_f32_e32 v78, v82, v78
	v_dual_mul_f32 v81, v82, v72 :: v_dual_and_b32 v84, 0x7f800000, v83
	v_mul_f32_e32 v79, v82, v71
	v_mul_f32_e32 v72, v82, v69
	s_mov_b32 s2, exec_lo
	ds_store_b128 v76, v[87:90]
                                        ; implicit-def: $vgpr69
	v_cmpx_ne_u32_e32 0x7f800000, v84
	s_xor_b32 s2, exec_lo, s2
; %bb.45:
	v_bfe_u32 v69, v83, 16, 1
	s_delay_alu instid0(VALU_DEP_1)
	v_add3_u32 v69, v83, v69, 0x7fff
                                        ; implicit-def: $vgpr83
; %bb.46:
	s_and_not1_saveexec_b32 s2, s2
; %bb.47:
	v_and_b32_e32 v69, 0xffff, v83
	v_or_b32_e32 v71, 0x10000, v83
	s_delay_alu instid0(VALU_DEP_2) | instskip(NEXT) | instid1(VALU_DEP_2)
	v_cmp_eq_u32_e32 vcc_lo, 0, v69
	v_cndmask_b32_e32 v69, v71, v83, vcc_lo
; %bb.48:
	s_or_b32 exec_lo, exec_lo, s2
	v_and_b32_e32 v71, 0x7f800000, v72
	s_delay_alu instid0(VALU_DEP_1) | instskip(SKIP_1) | instid1(SALU_CYCLE_1)
	v_cmp_ne_u32_e32 vcc_lo, 0x7f800000, v71
                                        ; implicit-def: $vgpr71
	s_and_saveexec_b32 s2, vcc_lo
	s_xor_b32 s2, exec_lo, s2
; %bb.49:
	v_bfe_u32 v71, v72, 16, 1
	s_delay_alu instid0(VALU_DEP_1)
	v_add3_u32 v71, v72, v71, 0x7fff
                                        ; implicit-def: $vgpr72
; %bb.50:
	s_and_not1_saveexec_b32 s2, s2
; %bb.51:
	v_and_b32_e32 v71, 0xffff, v72
	v_or_b32_e32 v82, 0x10000, v72
	s_delay_alu instid0(VALU_DEP_2) | instskip(NEXT) | instid1(VALU_DEP_2)
	v_cmp_eq_u32_e32 vcc_lo, 0, v71
	v_cndmask_b32_e32 v71, v82, v72, vcc_lo
; %bb.52:
	s_or_b32 exec_lo, exec_lo, s2
	v_and_b32_e32 v72, 0x7f800000, v79
	s_delay_alu instid0(VALU_DEP_1) | instskip(SKIP_1) | instid1(SALU_CYCLE_1)
	v_cmp_ne_u32_e32 vcc_lo, 0x7f800000, v72
                                        ; implicit-def: $vgpr72
	s_and_saveexec_b32 s2, vcc_lo
	s_xor_b32 s2, exec_lo, s2
; %bb.53:
	v_bfe_u32 v72, v79, 16, 1
	s_delay_alu instid0(VALU_DEP_1)
	v_add3_u32 v72, v79, v72, 0x7fff
                                        ; implicit-def: $vgpr79
; %bb.54:
	s_and_not1_saveexec_b32 s2, s2
; %bb.55:
	v_and_b32_e32 v72, 0xffff, v79
	v_or_b32_e32 v82, 0x10000, v79
	s_delay_alu instid0(VALU_DEP_2) | instskip(NEXT) | instid1(VALU_DEP_2)
	v_cmp_eq_u32_e32 vcc_lo, 0, v72
	v_cndmask_b32_e32 v72, v82, v79, vcc_lo
; %bb.56:
	s_or_b32 exec_lo, exec_lo, s2
	v_and_b32_e32 v79, 0x7f800000, v81
	s_delay_alu instid0(VALU_DEP_1) | instskip(SKIP_1) | instid1(SALU_CYCLE_1)
	v_cmp_ne_u32_e32 vcc_lo, 0x7f800000, v79
                                        ; implicit-def: $vgpr79
	s_and_saveexec_b32 s2, vcc_lo
	s_xor_b32 s2, exec_lo, s2
; %bb.57:
	v_bfe_u32 v79, v81, 16, 1
	s_delay_alu instid0(VALU_DEP_1)
	v_add3_u32 v79, v81, v79, 0x7fff
                                        ; implicit-def: $vgpr81
; %bb.58:
	s_and_not1_saveexec_b32 s2, s2
; %bb.59:
	v_and_b32_e32 v79, 0xffff, v81
	v_or_b32_e32 v82, 0x10000, v81
	s_delay_alu instid0(VALU_DEP_2) | instskip(NEXT) | instid1(VALU_DEP_2)
	v_cmp_eq_u32_e32 vcc_lo, 0, v79
	v_cndmask_b32_e32 v79, v82, v81, vcc_lo
; %bb.60:
	s_or_b32 exec_lo, exec_lo, s2
	v_and_b32_e32 v81, 0x7f800000, v77
	s_delay_alu instid0(VALU_DEP_1) | instskip(SKIP_1) | instid1(SALU_CYCLE_1)
	v_cmp_ne_u32_e32 vcc_lo, 0x7f800000, v81
                                        ; implicit-def: $vgpr81
	s_and_saveexec_b32 s2, vcc_lo
	s_xor_b32 s2, exec_lo, s2
; %bb.61:
	v_bfe_u32 v81, v77, 16, 1
	s_delay_alu instid0(VALU_DEP_1)
	v_add3_u32 v81, v77, v81, 0x7fff
                                        ; implicit-def: $vgpr77
; %bb.62:
	s_and_not1_saveexec_b32 s2, s2
; %bb.63:
	v_and_b32_e32 v81, 0xffff, v77
	v_or_b32_e32 v82, 0x10000, v77
	s_delay_alu instid0(VALU_DEP_2) | instskip(NEXT) | instid1(VALU_DEP_2)
	v_cmp_eq_u32_e32 vcc_lo, 0, v81
	v_cndmask_b32_e32 v81, v82, v77, vcc_lo
; %bb.64:
	s_or_b32 exec_lo, exec_lo, s2
	v_and_b32_e32 v77, 0x7f800000, v78
	s_delay_alu instid0(VALU_DEP_1) | instskip(SKIP_1) | instid1(SALU_CYCLE_1)
	v_cmp_ne_u32_e32 vcc_lo, 0x7f800000, v77
                                        ; implicit-def: $vgpr77
	s_and_saveexec_b32 s2, vcc_lo
	s_xor_b32 s2, exec_lo, s2
; %bb.65:
	v_bfe_u32 v77, v78, 16, 1
	s_delay_alu instid0(VALU_DEP_1)
	v_add3_u32 v77, v78, v77, 0x7fff
                                        ; implicit-def: $vgpr78
; %bb.66:
	s_and_not1_saveexec_b32 s2, s2
; %bb.67:
	v_and_b32_e32 v77, 0xffff, v78
	v_or_b32_e32 v82, 0x10000, v78
	s_delay_alu instid0(VALU_DEP_2) | instskip(NEXT) | instid1(VALU_DEP_2)
	v_cmp_eq_u32_e32 vcc_lo, 0, v77
	v_cndmask_b32_e32 v77, v82, v78, vcc_lo
; %bb.68:
	s_or_b32 exec_lo, exec_lo, s2
	v_and_b32_e32 v78, 0x7f800000, v70
	s_delay_alu instid0(VALU_DEP_1) | instskip(SKIP_1) | instid1(SALU_CYCLE_1)
	v_cmp_ne_u32_e32 vcc_lo, 0x7f800000, v78
                                        ; implicit-def: $vgpr78
	s_and_saveexec_b32 s2, vcc_lo
	s_xor_b32 s2, exec_lo, s2
; %bb.69:
	v_bfe_u32 v78, v70, 16, 1
	s_delay_alu instid0(VALU_DEP_1)
	v_add3_u32 v78, v70, v78, 0x7fff
                                        ; implicit-def: $vgpr70
; %bb.70:
	s_and_not1_saveexec_b32 s2, s2
; %bb.71:
	v_and_b32_e32 v78, 0xffff, v70
	v_or_b32_e32 v82, 0x10000, v70
	s_delay_alu instid0(VALU_DEP_2) | instskip(NEXT) | instid1(VALU_DEP_2)
	v_cmp_eq_u32_e32 vcc_lo, 0, v78
	v_cndmask_b32_e32 v78, v82, v70, vcc_lo
; %bb.72:
	s_or_b32 exec_lo, exec_lo, s2
	v_and_b32_e32 v70, 0x7f800000, v66
	s_delay_alu instid0(VALU_DEP_1) | instskip(SKIP_1) | instid1(SALU_CYCLE_1)
	v_cmp_ne_u32_e32 vcc_lo, 0x7f800000, v70
                                        ; implicit-def: $vgpr70
	s_and_saveexec_b32 s2, vcc_lo
	s_xor_b32 s2, exec_lo, s2
; %bb.73:
	v_bfe_u32 v70, v66, 16, 1
	s_delay_alu instid0(VALU_DEP_1)
	v_add3_u32 v70, v66, v70, 0x7fff
                                        ; implicit-def: $vgpr66
; %bb.74:
	s_and_not1_saveexec_b32 s2, s2
; %bb.75:
	v_and_b32_e32 v70, 0xffff, v66
	v_or_b32_e32 v82, 0x10000, v66
	s_delay_alu instid0(VALU_DEP_2) | instskip(NEXT) | instid1(VALU_DEP_2)
	v_cmp_eq_u32_e32 vcc_lo, 0, v70
	v_cndmask_b32_e32 v70, v82, v66, vcc_lo
; %bb.76:
	s_or_b32 exec_lo, exec_lo, s2
	s_delay_alu instid0(VALU_DEP_1)
	v_perm_b32 v86, v70, v78, 0x7060302
	v_perm_b32 v85, v77, v81, 0x7060302
	;; [unrolled: 1-line block ×4, first 2 shown]
	v_lshl_or_b32 v82, v65, 11, v80
	ds_store_b128 v76, v[83:86] offset:1024
	s_waitcnt lgkmcnt(0)
	s_barrier
	buffer_gl0_inv
	ds_load_b128 v[69:72], v82
	ds_load_b128 v[83:86], v82 offset:16
	s_waitcnt lgkmcnt(1)
	v_lshrrev_b32_e32 v65, 16, v69
	v_lshlrev_b32_e32 v78, 2, v74
	s_waitcnt lgkmcnt(0)
	v_lshrrev_b32_e32 v91, 16, v83
	v_lshrrev_b32_e32 v66, 16, v70
	;; [unrolled: 1-line block ×4, first 2 shown]
	v_cmp_eq_u32_e32 vcc_lo, 1, v78
	v_lshrrev_b32_e32 v98, 16, v85
	v_lshrrev_b32_e32 v96, 16, v72
	;; [unrolled: 1-line block ×3, first 2 shown]
	v_cndmask_b32_e32 v81, v69, v65, vcc_lo
	v_or_b32_e32 v79, 1, v78
	v_cmp_eq_u32_e64 s3, 2, v78
	v_cndmask_b32_e32 v87, v83, v91, vcc_lo
	v_cmp_eq_u32_e64 s6, 3, v78
	v_cmp_eq_u32_e64 s8, 4, v78
	;; [unrolled: 1-line block ×3, first 2 shown]
	v_cndmask_b32_e64 v81, v81, v70, s3
	v_cmp_eq_u32_e64 s5, 2, v79
	v_cndmask_b32_e64 v87, v87, v84, s3
	v_cmp_eq_u32_e64 s7, 3, v79
	v_cndmask_b32_e64 v88, v69, v65, s2
	v_cndmask_b32_e64 v81, v81, v66, s6
	v_or_b32_e32 v77, 2, v78
	v_cndmask_b32_e64 v87, v87, v97, s6
	v_cndmask_b32_e64 v89, v83, v91, s2
	;; [unrolled: 1-line block ×4, first 2 shown]
	v_cmp_eq_u32_e64 s9, 5, v78
	v_cndmask_b32_e64 v87, v87, v85, s8
	v_cmp_eq_u32_e64 s10, 4, v79
	v_cndmask_b32_e64 v88, v88, v66, s7
	;; [unrolled: 2-line block ×3, first 2 shown]
	v_cndmask_b32_e64 v81, v81, v95, s9
	v_cmp_eq_u32_e64 s11, 6, v78
	v_cndmask_b32_e64 v88, v88, v71, s10
	v_cndmask_b32_e64 v87, v87, v98, s9
	v_cmp_eq_u32_e64 s12, 5, v79
	v_cndmask_b32_e64 v90, v69, v65, s4
	v_cndmask_b32_e64 v89, v89, v97, s7
	;; [unrolled: 1-line block ×3, first 2 shown]
	v_cmp_eq_u32_e64 s13, 7, v78
	v_cndmask_b32_e64 v88, v88, v95, s12
	v_cndmask_b32_e64 v87, v87, v86, s11
	v_cmp_eq_u32_e64 s15, 6, v79
	v_cmp_eq_u32_e64 s16, 2, v77
	v_cndmask_b32_e64 v89, v89, v85, s10
	v_cndmask_b32_e64 v100, v81, v96, s13
	;; [unrolled: 1-line block ×6, first 2 shown]
	v_cmp_eq_u32_e64 s17, 7, v79
	v_cmp_eq_u32_e64 s18, 3, v77
	;; [unrolled: 1-line block ×4, first 2 shown]
	v_cndmask_b32_e64 v87, v87, v84, s16
	v_cndmask_b32_e64 v102, v88, v96, s17
	v_cndmask_b32_e64 v88, v89, v98, s12
	v_cndmask_b32_e64 v89, v81, v66, s18
	v_or_b32_e32 v81, 3, v78
	v_cndmask_b32_e64 v93, v87, v97, s18
	v_cmp_eq_u32_e64 s23, 6, v77
	v_cndmask_b32_e64 v103, v88, v86, s15
	v_cndmask_b32_e64 v92, v89, v71, s19
	v_cmp_eq_u32_e64 s20, 1, v81
	ds_load_b128 v[87:90], v82 offset:1024
	v_cmp_eq_u32_e64 s22, 2, v81
	v_cmp_eq_u32_e64 s24, 3, v81
	v_cndmask_b32_e64 v104, v92, v95, s21
	v_cndmask_b32_e64 v65, v69, v65, s20
	;; [unrolled: 1-line block ×4, first 2 shown]
	ds_load_b128 v[91:94], v82 offset:1040
	v_cmp_eq_u32_e64 s25, 4, v81
	v_cndmask_b32_e64 v65, v65, v70, s22
	v_cmp_eq_u32_e64 s27, 5, v81
	v_cndmask_b32_e64 v70, v83, v84, s22
	;; [unrolled: 2-line block ×3, first 2 shown]
	v_cndmask_b32_e64 v65, v65, v66, s24
	v_cndmask_b32_e64 v66, v104, v72, s23
	;; [unrolled: 1-line block ×3, first 2 shown]
	v_cmp_eq_u32_e64 s26, 7, v77
	v_cndmask_b32_e64 v69, v69, v86, s23
	v_cndmask_b32_e64 v65, v65, v71, s25
	s_waitcnt lgkmcnt(1)
	v_lshrrev_b32_e32 v84, 16, v87
	v_cndmask_b32_e64 v70, v70, v85, s25
	v_cndmask_b32_e64 v83, v103, v99, s17
	;; [unrolled: 1-line block ×4, first 2 shown]
	v_lshrrev_b32_e32 v95, 16, v88
	v_cndmask_b32_e64 v70, v70, v98, s27
	s_waitcnt lgkmcnt(0)
	v_lshrrev_b32_e32 v85, 16, v91
	v_cndmask_b32_e64 v97, v87, v84, s2
	v_cndmask_b32_e64 v65, v65, v72, s28
	;; [unrolled: 1-line block ×4, first 2 shown]
	v_cndmask_b32_e32 v71, v87, v84, vcc_lo
	v_cndmask_b32_e32 v98, v91, v85, vcc_lo
	v_cmp_eq_u32_e32 vcc_lo, 7, v81
	v_cndmask_b32_e64 v72, v97, v88, s5
	v_lshrrev_b32_e32 v97, 16, v92
	v_lshrrev_b32_e32 v103, 16, v90
	v_dual_cndmask_b32 v65, v65, v96 :: v_dual_cndmask_b32 v70, v70, v99
	v_cndmask_b32_e64 v71, v71, v88, s3
	v_cndmask_b32_e64 v86, v98, v92, s3
	;; [unrolled: 1-line block ×3, first 2 shown]
	v_lshrrev_b32_e32 v98, 16, v89
	v_lshrrev_b32_e32 v99, 16, v93
	v_cndmask_b32_e64 v71, v71, v95, s6
	v_cndmask_b32_e64 v86, v86, v97, s6
	;; [unrolled: 1-line block ×3, first 2 shown]
	v_perm_b32 v72, v70, v65, 0x5040100
	v_perm_b32 v70, v83, v102, 0x5040100
	v_cndmask_b32_e64 v71, v71, v89, s8
	v_cndmask_b32_e64 v86, v86, v93, s8
	;; [unrolled: 1-line block ×3, first 2 shown]
	v_lshrrev_b32_e32 v83, 16, v94
	s_delay_alu instid0(VALU_DEP_4) | instskip(NEXT) | instid1(VALU_DEP_4)
	v_cndmask_b32_e64 v71, v71, v98, s9
	v_cndmask_b32_e64 v86, v86, v99, s9
	s_delay_alu instid0(VALU_DEP_4) | instskip(NEXT) | instid1(VALU_DEP_3)
	v_cndmask_b32_e64 v65, v65, v90, s15
	v_cndmask_b32_e64 v96, v71, v90, s11
	v_perm_b32 v71, v69, v66, 0x5040100
	s_delay_alu instid0(VALU_DEP_4)
	v_cndmask_b32_e64 v69, v86, v94, s11
	v_cndmask_b32_e64 v86, v87, v84, s4
	;; [unrolled: 1-line block ×34, first 2 shown]
	v_cndmask_b32_e32 v84, v84, v103, vcc_lo
	v_cndmask_b32_e32 v86, v87, v83, vcc_lo
	v_cndmask_b32_e64 v87, v88, v83, s26
	v_cndmask_b32_e64 v88, v85, v83, s17
	v_cndmask_b32_e64 v83, v69, v83, s13
	v_perm_b32 v69, v101, v100, 0x5040100
	v_perm_b32 v86, v86, v84, 0x5040100
	;; [unrolled: 1-line block ×5, first 2 shown]
	s_lshl_b32 s7, s35, 2
	s_mov_b32 s2, exec_lo
	ds_store_b128 v76, v[69:72]
	ds_store_b128 v76, v[83:86] offset:1024
	v_cmpx_gt_u32_e32 4, v0
	s_cbranch_execz .LBB1809_78
; %bb.77:
	v_or_b32_e32 v65, s29, v0
	s_load_b128 s[8:11], s[0:1], 0x58
	s_delay_alu instid0(VALU_DEP_1) | instskip(NEXT) | instid1(VALU_DEP_1)
	v_mad_u64_u32 v[69:70], null, s7, s30, v[65:66]
	v_mad_u64_u32 v[65:66], null, v69, s34, s[14:15]
	s_delay_alu instid0(VALU_DEP_1) | instskip(NEXT) | instid1(VALU_DEP_1)
	v_ashrrev_i32_e32 v66, 31, v65
	v_lshlrev_b64 v[65:66], 2, v[65:66]
	s_waitcnt lgkmcnt(0)
	s_delay_alu instid0(VALU_DEP_1) | instskip(NEXT) | instid1(VALU_DEP_2)
	v_add_co_u32 v69, vcc_lo, s10, v65
	v_add_co_ci_u32_e32 v70, vcc_lo, s11, v66, vcc_lo
	v_add_co_u32 v65, vcc_lo, s8, v65
	v_add_co_ci_u32_e32 v66, vcc_lo, s9, v66, vcc_lo
	global_store_b32 v[69:70], v67, off
	global_store_b32 v[65:66], v68, off
.LBB1809_78:
	s_or_b32 exec_lo, exec_lo, s2
	s_waitcnt lgkmcnt(0)
	s_waitcnt_vscnt null, 0x0
	s_barrier
	buffer_gl0_inv
	ds_load_b128 v[83:86], v80
	ds_load_b128 v[87:90], v80 offset:16
	ds_load_b128 v[95:98], v80 offset:2064
	;; [unrolled: 1-line block ×3, first 2 shown]
	v_mov_b32_e32 v65, 0
	ds_load_b128 v[103:106], v80 offset:4112
	ds_load_b128 v[99:102], v80 offset:4096
	ds_load_b128 v[111:114], v80 offset:6160
	ds_load_b128 v[107:110], v80 offset:6144
	v_mov_b32_e32 v66, v65
	v_mov_b32_e32 v67, v65
	;; [unrolled: 1-line block ×7, first 2 shown]
	s_waitcnt lgkmcnt(6)
	s_delay_alu instid0(VALU_DEP_1)
	v_wmma_f32_16x16x16_bf16 v[65:72], v[49:56], v[83:90], v[65:72]
	ds_load_b128 v[53:56], v80 offset:8208
	ds_load_b128 v[49:52], v80 offset:8192
	s_waitcnt lgkmcnt(6)
	v_wmma_f32_16x16x16_bf16 v[65:72], v[41:48], v[91:98], v[65:72]
	ds_load_b128 v[45:48], v80 offset:10256
	ds_load_b128 v[41:44], v80 offset:10240
	s_waitcnt lgkmcnt(6)
	;; [unrolled: 4-line block ×4, first 2 shown]
	v_wmma_f32_16x16x16_bf16 v[65:72], v[1:8], v[49:56], v[65:72]
	s_waitcnt lgkmcnt(4)
	s_delay_alu instid0(VALU_DEP_1) | instskip(SKIP_1) | instid1(VALU_DEP_1)
	v_wmma_f32_16x16x16_bf16 v[65:72], v[9:16], v[41:48], v[65:72]
	s_waitcnt lgkmcnt(2)
	v_wmma_f32_16x16x16_bf16 v[65:72], v[17:24], v[33:40], v[65:72]
	s_waitcnt lgkmcnt(0)
	s_delay_alu instid0(VALU_DEP_1) | instskip(NEXT) | instid1(VALU_DEP_1)
	v_wmma_f32_16x16x16_bf16 v[65:72], v[57:64], v[25:32], v[65:72]
	v_and_b32_e32 v1, 0x7f800000, v65
	s_delay_alu instid0(VALU_DEP_1) | instskip(SKIP_1) | instid1(SALU_CYCLE_1)
	v_cmp_ne_u32_e32 vcc_lo, 0x7f800000, v1
                                        ; implicit-def: $vgpr1
	s_and_saveexec_b32 s2, vcc_lo
	s_xor_b32 s2, exec_lo, s2
; %bb.79:
	v_bfe_u32 v1, v65, 16, 1
	s_delay_alu instid0(VALU_DEP_1)
	v_add3_u32 v1, v65, v1, 0x7fff
; %bb.80:
	s_and_not1_saveexec_b32 s2, s2
; %bb.81:
	v_and_b32_e32 v1, 0xffff, v65
	v_or_b32_e32 v2, 0x10000, v65
	s_delay_alu instid0(VALU_DEP_2) | instskip(NEXT) | instid1(VALU_DEP_2)
	v_cmp_eq_u32_e32 vcc_lo, 0, v1
	v_cndmask_b32_e32 v1, v2, v65, vcc_lo
; %bb.82:
	s_or_b32 exec_lo, exec_lo, s2
	v_and_b32_e32 v2, 0x7f800000, v66
	s_delay_alu instid0(VALU_DEP_1) | instskip(SKIP_1) | instid1(SALU_CYCLE_1)
	v_cmp_ne_u32_e32 vcc_lo, 0x7f800000, v2
                                        ; implicit-def: $vgpr2
	s_and_saveexec_b32 s2, vcc_lo
	s_xor_b32 s2, exec_lo, s2
; %bb.83:
	v_bfe_u32 v2, v66, 16, 1
	s_delay_alu instid0(VALU_DEP_1)
	v_add3_u32 v2, v66, v2, 0x7fff
; %bb.84:
	s_and_not1_saveexec_b32 s2, s2
; %bb.85:
	v_and_b32_e32 v2, 0xffff, v66
	v_or_b32_e32 v3, 0x10000, v66
	s_delay_alu instid0(VALU_DEP_2) | instskip(NEXT) | instid1(VALU_DEP_2)
	v_cmp_eq_u32_e32 vcc_lo, 0, v2
	v_cndmask_b32_e32 v2, v3, v66, vcc_lo
; %bb.86:
	s_or_b32 exec_lo, exec_lo, s2
	v_and_b32_e32 v3, 0x7f800000, v67
	s_delay_alu instid0(VALU_DEP_1) | instskip(SKIP_1) | instid1(SALU_CYCLE_1)
	v_cmp_ne_u32_e32 vcc_lo, 0x7f800000, v3
                                        ; implicit-def: $vgpr3
	s_and_saveexec_b32 s2, vcc_lo
	s_xor_b32 s2, exec_lo, s2
; %bb.87:
	v_bfe_u32 v3, v67, 16, 1
	s_delay_alu instid0(VALU_DEP_1)
	v_add3_u32 v3, v67, v3, 0x7fff
; %bb.88:
	s_and_not1_saveexec_b32 s2, s2
; %bb.89:
	v_and_b32_e32 v3, 0xffff, v67
	v_or_b32_e32 v4, 0x10000, v67
	s_delay_alu instid0(VALU_DEP_2) | instskip(NEXT) | instid1(VALU_DEP_2)
	v_cmp_eq_u32_e32 vcc_lo, 0, v3
	v_cndmask_b32_e32 v3, v4, v67, vcc_lo
; %bb.90:
	s_or_b32 exec_lo, exec_lo, s2
	v_and_b32_e32 v4, 0x7f800000, v68
	s_delay_alu instid0(VALU_DEP_1) | instskip(SKIP_1) | instid1(SALU_CYCLE_1)
	v_cmp_ne_u32_e32 vcc_lo, 0x7f800000, v4
                                        ; implicit-def: $vgpr4
	s_and_saveexec_b32 s2, vcc_lo
	s_xor_b32 s2, exec_lo, s2
; %bb.91:
	v_bfe_u32 v4, v68, 16, 1
	s_delay_alu instid0(VALU_DEP_1)
	v_add3_u32 v4, v68, v4, 0x7fff
; %bb.92:
	s_and_not1_saveexec_b32 s2, s2
; %bb.93:
	v_and_b32_e32 v4, 0xffff, v68
	v_or_b32_e32 v5, 0x10000, v68
	s_delay_alu instid0(VALU_DEP_2) | instskip(NEXT) | instid1(VALU_DEP_2)
	v_cmp_eq_u32_e32 vcc_lo, 0, v4
	v_cndmask_b32_e32 v4, v5, v68, vcc_lo
; %bb.94:
	s_or_b32 exec_lo, exec_lo, s2
	v_and_b32_e32 v5, 0x7f800000, v69
	s_delay_alu instid0(VALU_DEP_1) | instskip(SKIP_1) | instid1(SALU_CYCLE_1)
	v_cmp_ne_u32_e32 vcc_lo, 0x7f800000, v5
                                        ; implicit-def: $vgpr5
	s_and_saveexec_b32 s2, vcc_lo
	s_xor_b32 s2, exec_lo, s2
; %bb.95:
	v_bfe_u32 v5, v69, 16, 1
	s_delay_alu instid0(VALU_DEP_1)
	v_add3_u32 v5, v69, v5, 0x7fff
; %bb.96:
	s_and_not1_saveexec_b32 s2, s2
; %bb.97:
	v_and_b32_e32 v5, 0xffff, v69
	v_or_b32_e32 v6, 0x10000, v69
	s_delay_alu instid0(VALU_DEP_2) | instskip(NEXT) | instid1(VALU_DEP_2)
	v_cmp_eq_u32_e32 vcc_lo, 0, v5
	v_cndmask_b32_e32 v5, v6, v69, vcc_lo
; %bb.98:
	s_or_b32 exec_lo, exec_lo, s2
	v_and_b32_e32 v6, 0x7f800000, v70
	s_delay_alu instid0(VALU_DEP_1) | instskip(SKIP_1) | instid1(SALU_CYCLE_1)
	v_cmp_ne_u32_e32 vcc_lo, 0x7f800000, v6
                                        ; implicit-def: $vgpr6
	s_and_saveexec_b32 s2, vcc_lo
	s_xor_b32 s2, exec_lo, s2
; %bb.99:
	v_bfe_u32 v6, v70, 16, 1
	s_delay_alu instid0(VALU_DEP_1)
	v_add3_u32 v6, v70, v6, 0x7fff
; %bb.100:
	s_and_not1_saveexec_b32 s2, s2
; %bb.101:
	v_and_b32_e32 v6, 0xffff, v70
	v_or_b32_e32 v7, 0x10000, v70
	s_delay_alu instid0(VALU_DEP_2) | instskip(NEXT) | instid1(VALU_DEP_2)
	v_cmp_eq_u32_e32 vcc_lo, 0, v6
	v_cndmask_b32_e32 v6, v7, v70, vcc_lo
; %bb.102:
	s_or_b32 exec_lo, exec_lo, s2
	v_and_b32_e32 v7, 0x7f800000, v71
	s_delay_alu instid0(VALU_DEP_1) | instskip(SKIP_1) | instid1(SALU_CYCLE_1)
	v_cmp_ne_u32_e32 vcc_lo, 0x7f800000, v7
                                        ; implicit-def: $vgpr7
	s_and_saveexec_b32 s2, vcc_lo
	s_xor_b32 s2, exec_lo, s2
; %bb.103:
	v_bfe_u32 v7, v71, 16, 1
	s_delay_alu instid0(VALU_DEP_1)
	v_add3_u32 v7, v71, v7, 0x7fff
; %bb.104:
	s_and_not1_saveexec_b32 s2, s2
; %bb.105:
	v_and_b32_e32 v7, 0xffff, v71
	v_or_b32_e32 v8, 0x10000, v71
	s_delay_alu instid0(VALU_DEP_2) | instskip(NEXT) | instid1(VALU_DEP_2)
	v_cmp_eq_u32_e32 vcc_lo, 0, v7
	v_cndmask_b32_e32 v7, v8, v71, vcc_lo
; %bb.106:
	s_or_b32 exec_lo, exec_lo, s2
	v_and_b32_e32 v8, 0x7f800000, v72
	s_delay_alu instid0(VALU_DEP_1) | instskip(SKIP_1) | instid1(SALU_CYCLE_1)
	v_cmp_ne_u32_e32 vcc_lo, 0x7f800000, v8
                                        ; implicit-def: $vgpr8
	s_and_saveexec_b32 s2, vcc_lo
	s_xor_b32 s2, exec_lo, s2
; %bb.107:
	v_bfe_u32 v8, v72, 16, 1
	s_delay_alu instid0(VALU_DEP_1)
	v_add3_u32 v8, v72, v8, 0x7fff
                                        ; implicit-def: $vgpr65_vgpr66_vgpr67_vgpr68_vgpr69_vgpr70_vgpr71_vgpr72
; %bb.108:
	s_and_not1_saveexec_b32 s2, s2
; %bb.109:
	v_and_b32_e32 v8, 0xffff, v72
	v_or_b32_e32 v9, 0x10000, v72
	s_delay_alu instid0(VALU_DEP_2) | instskip(NEXT) | instid1(VALU_DEP_2)
	v_cmp_eq_u32_e32 vcc_lo, 0, v8
	v_cndmask_b32_e32 v8, v9, v72, vcc_lo
; %bb.110:
	s_or_b32 exec_lo, exec_lo, s2
	s_delay_alu instid0(VALU_DEP_1)
	v_perm_b32 v7, v8, v7, 0x7060302
	v_perm_b32 v6, v6, v5, 0x7060302
	;; [unrolled: 1-line block ×4, first 2 shown]
	s_barrier
	buffer_gl0_inv
	v_cmp_eq_u32_e32 vcc_lo, 1, v78
	ds_store_b128 v76, v[4:7]
	s_waitcnt lgkmcnt(0)
	s_barrier
	buffer_gl0_inv
	ds_load_b128 v[1:4], v82
	ds_load_b128 v[5:8], v82 offset:16
	v_cmp_eq_u32_e64 s2, 1, v79
	v_cmp_eq_u32_e64 s3, 2, v78
	;; [unrolled: 1-line block ×5, first 2 shown]
	s_waitcnt lgkmcnt(1)
	v_lshrrev_b32_e32 v9, 16, v1
	s_waitcnt lgkmcnt(0)
	v_lshrrev_b32_e32 v13, 16, v5
	v_lshrrev_b32_e32 v10, 16, v2
	;; [unrolled: 1-line block ×4, first 2 shown]
	v_cndmask_b32_e64 v19, v1, v9, s2
	v_cndmask_b32_e32 v18, v5, v13, vcc_lo
	v_cndmask_b32_e64 v20, v5, v13, s2
	v_cndmask_b32_e32 v17, v1, v9, vcc_lo
	v_cmp_eq_u32_e32 vcc_lo, 2, v79
	v_lshrrev_b32_e32 v15, 16, v7
	v_cmp_eq_u32_e64 s2, 1, v77
	v_lshrrev_b32_e32 v12, 16, v4
	v_lshrrev_b32_e32 v16, 16, v8
	v_cndmask_b32_e32 v20, v20, v6, vcc_lo
	v_cndmask_b32_e64 v17, v17, v2, s3
	v_cndmask_b32_e32 v19, v19, v2, vcc_lo
	v_cndmask_b32_e64 v18, v18, v6, s3
	v_cmp_eq_u32_e32 vcc_lo, 4, v78
	v_cmp_eq_u32_e64 s3, 3, v79
	v_cndmask_b32_e64 v17, v17, v10, s4
	v_cndmask_b32_e64 v21, v1, v9, s2
	;; [unrolled: 1-line block ×5, first 2 shown]
	v_cndmask_b32_e32 v17, v17, v3, vcc_lo
	v_cndmask_b32_e64 v20, v20, v14, s3
	v_cndmask_b32_e32 v18, v18, v7, vcc_lo
	v_cmp_eq_u32_e32 vcc_lo, 4, v79
	v_cmp_eq_u32_e64 s3, 5, v79
	v_cmp_eq_u32_e64 s2, 2, v81
	v_cndmask_b32_e64 v21, v21, v2, s6
	v_cmp_eq_u32_e64 s4, 5, v78
	v_cndmask_b32_e32 v19, v19, v3, vcc_lo
	v_cndmask_b32_e32 v20, v20, v7, vcc_lo
	v_cmp_eq_u32_e32 vcc_lo, 6, v79
	s_delay_alu instid0(VALU_DEP_4) | instskip(NEXT) | instid1(VALU_DEP_4)
	v_cndmask_b32_e64 v17, v17, v11, s4
	v_cndmask_b32_e64 v19, v19, v11, s3
	s_delay_alu instid0(VALU_DEP_4) | instskip(SKIP_1) | instid1(VALU_DEP_3)
	v_cndmask_b32_e64 v20, v20, v15, s3
	v_cmp_eq_u32_e64 s3, 1, v81
	v_cndmask_b32_e32 v19, v19, v4, vcc_lo
	v_cndmask_b32_e64 v18, v18, v15, s4
	s_delay_alu instid0(VALU_DEP_3)
	v_cndmask_b32_e64 v1, v1, v9, s3
	v_cndmask_b32_e64 v5, v5, v13, s3
	v_cmp_eq_u32_e64 s3, 3, v77
	v_cndmask_b32_e64 v13, v22, v6, s6
	v_cmp_eq_u32_e64 s6, 3, v81
	v_cndmask_b32_e64 v1, v1, v2, s2
	v_cndmask_b32_e64 v2, v5, v6, s2
	;; [unrolled: 1-line block ×3, first 2 shown]
	v_cmp_eq_u32_e64 s2, 4, v77
	v_cndmask_b32_e64 v6, v13, v14, s3
	v_cndmask_b32_e64 v1, v1, v10, s6
	v_cmp_eq_u32_e64 s3, 4, v81
	v_cndmask_b32_e64 v2, v2, v14, s6
	v_cndmask_b32_e64 v5, v9, v3, s2
	;; [unrolled: 3-line block ×3, first 2 shown]
	v_cndmask_b32_e64 v2, v2, v7, s3
	v_cmp_eq_u32_e64 s2, 5, v81
	v_cmp_eq_u32_e64 s4, 6, v78
	v_cndmask_b32_e64 v5, v5, v11, s6
	v_cmp_eq_u32_e64 s3, 6, v77
	v_cndmask_b32_e64 v3, v6, v15, s6
	v_cndmask_b32_e64 v1, v1, v11, s2
	v_cmp_eq_u32_e64 s6, 6, v81
	v_cndmask_b32_e64 v2, v2, v15, s2
	v_cndmask_b32_e64 v17, v17, v4, s4
	v_cndmask_b32_e64 v18, v18, v8, s4
	v_cmp_eq_u32_e64 s4, 7, v78
	v_cndmask_b32_e64 v5, v5, v4, s3
	v_cndmask_b32_e64 v3, v3, v8, s3
	v_cndmask_b32_e64 v1, v1, v4, s6
	v_cmp_eq_u32_e64 s2, 7, v81
	v_cndmask_b32_e64 v2, v2, v8, s6
	v_cmp_eq_u32_e64 s3, 7, v77
	v_cndmask_b32_e32 v4, v20, v8, vcc_lo
	v_cndmask_b32_e64 v17, v17, v12, s4
	v_cndmask_b32_e64 v19, v19, v12, s5
	;; [unrolled: 1-line block ×8, first 2 shown]
	s_mov_b32 s2, exec_lo
	v_perm_b32 v4, v2, v1, 0x5040100
	v_perm_b32 v3, v3, v5, 0x5040100
	;; [unrolled: 1-line block ×4, first 2 shown]
	ds_store_b128 v76, v[1:4]
	s_waitcnt lgkmcnt(0)
	s_barrier
	buffer_gl0_inv
	v_cmpx_gt_u32_e32 32, v0
	s_cbranch_execz .LBB1809_2
; %bb.111:
	s_load_b64 s[0:1], s[0:1], 0x68
	v_lshlrev_b32_e32 v0, 10, v0
	v_or_b32_e32 v1, s29, v74
	s_lshl_b32 s4, s34, 7
	v_lshlrev_b32_e32 v2, 4, v75
	s_mul_i32 s2, s4, s30
	v_lshlrev_b32_e32 v3, 6, v74
	v_mul_lo_u32 v8, v1, s4
	v_and_b32_e32 v0, 0x3800, v0
	v_or_b32_e32 v1, 2, v1
	s_mul_i32 s2, s2, s7
	s_delay_alu instid0(SALU_CYCLE_1) | instskip(NEXT) | instid1(VALU_DEP_2)
	s_ashr_i32 s3, s2, 31
	v_or3_b32 v4, v0, v2, v3
	s_lshl_b64 s[2:3], s[2:3], 1
	v_mul_lo_u32 v10, v1, s4
	v_ashrrev_i32_e32 v9, 31, v8
	ds_load_b128 v[0:3], v4
	ds_load_b128 v[4:7], v4 offset:128
	s_waitcnt lgkmcnt(0)
	s_add_u32 s2, s0, s2
	s_addc_u32 s3, s1, s3
	s_lshl_b32 s0, s14, 7
	v_ashrrev_i32_e32 v11, 31, v10
	s_ashr_i32 s1, s0, 31
	v_lshlrev_b64 v[8:9], 1, v[8:9]
	s_lshl_b64 s[0:1], s[0:1], 1
	s_delay_alu instid0(SALU_CYCLE_1) | instskip(SKIP_2) | instid1(VALU_DEP_1)
	s_add_u32 s0, s2, s0
	s_addc_u32 s1, s3, s1
	v_add_co_u32 v12, s0, s0, v73
	v_add_co_ci_u32_e64 v13, null, s1, 0, s0
	v_lshlrev_b64 v[10:11], 1, v[10:11]
	s_delay_alu instid0(VALU_DEP_3) | instskip(NEXT) | instid1(VALU_DEP_3)
	v_add_co_u32 v8, vcc_lo, v12, v8
	v_add_co_ci_u32_e32 v9, vcc_lo, v13, v9, vcc_lo
	s_delay_alu instid0(VALU_DEP_3) | instskip(NEXT) | instid1(VALU_DEP_4)
	v_add_co_u32 v10, vcc_lo, v12, v10
	v_add_co_ci_u32_e32 v11, vcc_lo, v13, v11, vcc_lo
	s_clause 0x1
	global_store_b128 v[8:9], v[0:3], off
	global_store_b128 v[10:11], v[4:7], off
	s_nop 0
	s_sendmsg sendmsg(MSG_DEALLOC_VGPRS)
	s_endpgm
	.section	.rodata,"a",@progbits
	.p2align	6, 0x0
	.amdhsa_kernel _Z39paged_attention_ll4mi_QKV_mfma16_kernelI14__hip_bfloat16hLN4vllm18Fp8KVCacheDataTypeE1EhLi16ELi128ELi256ELb1ELi4EL8MFMAType0EEvPKT_PKT0_S9_ifPKiSB_SB_iPKfiiiPfSE_PS4_PT2_iSD_SD_
		.amdhsa_group_segment_fixed_size 17472
		.amdhsa_private_segment_fixed_size 0
		.amdhsa_kernarg_size 400
		.amdhsa_user_sgpr_count 13
		.amdhsa_user_sgpr_dispatch_ptr 0
		.amdhsa_user_sgpr_queue_ptr 0
		.amdhsa_user_sgpr_kernarg_segment_ptr 1
		.amdhsa_user_sgpr_dispatch_id 0
		.amdhsa_user_sgpr_private_segment_size 0
		.amdhsa_wavefront_size32 1
		.amdhsa_uses_dynamic_stack 0
		.amdhsa_enable_private_segment 0
		.amdhsa_system_sgpr_workgroup_id_x 1
		.amdhsa_system_sgpr_workgroup_id_y 1
		.amdhsa_system_sgpr_workgroup_id_z 1
		.amdhsa_system_sgpr_workgroup_info 0
		.amdhsa_system_vgpr_workitem_id 0
		.amdhsa_next_free_vgpr 140
		.amdhsa_next_free_sgpr 36
		.amdhsa_reserve_vcc 1
		.amdhsa_float_round_mode_32 0
		.amdhsa_float_round_mode_16_64 0
		.amdhsa_float_denorm_mode_32 3
		.amdhsa_float_denorm_mode_16_64 3
		.amdhsa_dx10_clamp 1
		.amdhsa_ieee_mode 1
		.amdhsa_fp16_overflow 0
		.amdhsa_workgroup_processor_mode 1
		.amdhsa_memory_ordered 1
		.amdhsa_forward_progress 0
		.amdhsa_shared_vgpr_count 0
		.amdhsa_exception_fp_ieee_invalid_op 0
		.amdhsa_exception_fp_denorm_src 0
		.amdhsa_exception_fp_ieee_div_zero 0
		.amdhsa_exception_fp_ieee_overflow 0
		.amdhsa_exception_fp_ieee_underflow 0
		.amdhsa_exception_fp_ieee_inexact 0
		.amdhsa_exception_int_div_zero 0
	.end_amdhsa_kernel
	.section	.text._Z39paged_attention_ll4mi_QKV_mfma16_kernelI14__hip_bfloat16hLN4vllm18Fp8KVCacheDataTypeE1EhLi16ELi128ELi256ELb1ELi4EL8MFMAType0EEvPKT_PKT0_S9_ifPKiSB_SB_iPKfiiiPfSE_PS4_PT2_iSD_SD_,"axG",@progbits,_Z39paged_attention_ll4mi_QKV_mfma16_kernelI14__hip_bfloat16hLN4vllm18Fp8KVCacheDataTypeE1EhLi16ELi128ELi256ELb1ELi4EL8MFMAType0EEvPKT_PKT0_S9_ifPKiSB_SB_iPKfiiiPfSE_PS4_PT2_iSD_SD_,comdat
.Lfunc_end1809:
	.size	_Z39paged_attention_ll4mi_QKV_mfma16_kernelI14__hip_bfloat16hLN4vllm18Fp8KVCacheDataTypeE1EhLi16ELi128ELi256ELb1ELi4EL8MFMAType0EEvPKT_PKT0_S9_ifPKiSB_SB_iPKfiiiPfSE_PS4_PT2_iSD_SD_, .Lfunc_end1809-_Z39paged_attention_ll4mi_QKV_mfma16_kernelI14__hip_bfloat16hLN4vllm18Fp8KVCacheDataTypeE1EhLi16ELi128ELi256ELb1ELi4EL8MFMAType0EEvPKT_PKT0_S9_ifPKiSB_SB_iPKfiiiPfSE_PS4_PT2_iSD_SD_
                                        ; -- End function
	.section	.AMDGPU.csdata,"",@progbits
; Kernel info:
; codeLenInByte = 8732
; NumSgprs: 38
; NumVgprs: 140
; ScratchSize: 0
; MemoryBound: 0
; FloatMode: 240
; IeeeMode: 1
; LDSByteSize: 17472 bytes/workgroup (compile time only)
; SGPRBlocks: 4
; VGPRBlocks: 17
; NumSGPRsForWavesPerEU: 38
; NumVGPRsForWavesPerEU: 140
; Occupancy: 10
; WaveLimiterHint : 1
; COMPUTE_PGM_RSRC2:SCRATCH_EN: 0
; COMPUTE_PGM_RSRC2:USER_SGPR: 13
; COMPUTE_PGM_RSRC2:TRAP_HANDLER: 0
; COMPUTE_PGM_RSRC2:TGID_X_EN: 1
; COMPUTE_PGM_RSRC2:TGID_Y_EN: 1
; COMPUTE_PGM_RSRC2:TGID_Z_EN: 1
; COMPUTE_PGM_RSRC2:TIDIG_COMP_CNT: 0
	.section	.text._Z39paged_attention_ll4mi_QKV_mfma16_kernelI14__hip_bfloat16hLN4vllm18Fp8KVCacheDataTypeE1EhLi16ELi128ELi256ELb0ELi5EL8MFMAType0EEvPKT_PKT0_S9_ifPKiSB_SB_iPKfiiiPfSE_PS4_PT2_iSD_SD_,"axG",@progbits,_Z39paged_attention_ll4mi_QKV_mfma16_kernelI14__hip_bfloat16hLN4vllm18Fp8KVCacheDataTypeE1EhLi16ELi128ELi256ELb0ELi5EL8MFMAType0EEvPKT_PKT0_S9_ifPKiSB_SB_iPKfiiiPfSE_PS4_PT2_iSD_SD_,comdat
	.protected	_Z39paged_attention_ll4mi_QKV_mfma16_kernelI14__hip_bfloat16hLN4vllm18Fp8KVCacheDataTypeE1EhLi16ELi128ELi256ELb0ELi5EL8MFMAType0EEvPKT_PKT0_S9_ifPKiSB_SB_iPKfiiiPfSE_PS4_PT2_iSD_SD_ ; -- Begin function _Z39paged_attention_ll4mi_QKV_mfma16_kernelI14__hip_bfloat16hLN4vllm18Fp8KVCacheDataTypeE1EhLi16ELi128ELi256ELb0ELi5EL8MFMAType0EEvPKT_PKT0_S9_ifPKiSB_SB_iPKfiiiPfSE_PS4_PT2_iSD_SD_
	.globl	_Z39paged_attention_ll4mi_QKV_mfma16_kernelI14__hip_bfloat16hLN4vllm18Fp8KVCacheDataTypeE1EhLi16ELi128ELi256ELb0ELi5EL8MFMAType0EEvPKT_PKT0_S9_ifPKiSB_SB_iPKfiiiPfSE_PS4_PT2_iSD_SD_
	.p2align	8
	.type	_Z39paged_attention_ll4mi_QKV_mfma16_kernelI14__hip_bfloat16hLN4vllm18Fp8KVCacheDataTypeE1EhLi16ELi128ELi256ELb0ELi5EL8MFMAType0EEvPKT_PKT0_S9_ifPKiSB_SB_iPKfiiiPfSE_PS4_PT2_iSD_SD_,@function
_Z39paged_attention_ll4mi_QKV_mfma16_kernelI14__hip_bfloat16hLN4vllm18Fp8KVCacheDataTypeE1EhLi16ELi128ELi256ELb0ELi5EL8MFMAType0EEvPKT_PKT0_S9_ifPKiSB_SB_iPKfiiiPfSE_PS4_PT2_iSD_SD_: ; @_Z39paged_attention_ll4mi_QKV_mfma16_kernelI14__hip_bfloat16hLN4vllm18Fp8KVCacheDataTypeE1EhLi16ELi128ELi256ELb0ELi5EL8MFMAType0EEvPKT_PKT0_S9_ifPKiSB_SB_iPKfiiiPfSE_PS4_PT2_iSD_SD_
; %bb.0:
	s_load_b64 s[4:5], s[0:1], 0x30
	s_mov_b32 s30, s13
	s_waitcnt lgkmcnt(0)
	s_cmp_lg_u64 s[4:5], 0
	s_cselect_b32 s13, -1, 0
	s_ashr_i32 s31, s30, 31
	s_cmp_eq_u64 s[4:5], 0
	s_cbranch_scc1 .LBB1810_3
; %bb.1:
	s_lshl_b64 s[2:3], s[30:31], 2
	s_delay_alu instid0(SALU_CYCLE_1) | instskip(SKIP_4) | instid1(SALU_CYCLE_1)
	s_add_u32 s2, s4, s2
	s_addc_u32 s3, s5, s3
	s_load_b64 s[2:3], s[2:3], 0x0
	s_waitcnt lgkmcnt(0)
	s_sub_i32 s2, s3, s2
	s_cmp_eq_u32 s2, 1
	s_cselect_b32 s2, -1, 0
	s_delay_alu instid0(SALU_CYCLE_1)
	s_and_not1_b32 vcc_lo, exec_lo, s2
	s_cbranch_vccz .LBB1810_4
.LBB1810_2:
	s_nop 0
	s_sendmsg sendmsg(MSG_DEALLOC_VGPRS)
	s_endpgm
.LBB1810_3:
.LBB1810_4:
	s_load_b64 s[2:3], s[0:1], 0x28
	s_lshl_b64 s[6:7], s[30:31], 2
	s_waitcnt lgkmcnt(0)
	s_add_u32 s2, s2, s6
	s_addc_u32 s3, s3, s7
	s_lshl_b32 s12, s14, 8
	s_load_b32 s17, s[2:3], 0x0
	s_waitcnt lgkmcnt(0)
	s_cmp_ge_i32 s12, s17
	s_cbranch_scc1 .LBB1810_2
; %bb.5:
	s_clause 0x1
	s_load_b128 s[8:11], s[0:1], 0x8
	s_load_b64 s[2:3], s[0:1], 0x20
	s_and_not1_b32 vcc_lo, exec_lo, s13
	s_cbranch_vccnz .LBB1810_7
; %bb.6:
	s_add_u32 s4, s4, s6
	s_addc_u32 s5, s5, s7
	s_load_b32 s13, s[4:5], 0x0
	s_branch .LBB1810_8
.LBB1810_7:
	s_mov_b32 s13, s30
.LBB1810_8:
	s_load_b128 s[4:7], s[0:1], 0x48
	v_and_b32_e32 v65, 15, v0
	v_lshrrev_b32_e32 v66, 5, v0
	v_bfe_u32 v74, v0, 4, 1
	v_and_b32_e32 v67, 31, v0
	v_and_b32_e32 v75, 1, v0
	v_lshlrev_b32_e32 v2, 3, v65
	s_mul_i32 s31, s15, 5
	v_lshl_or_b32 v1, v66, 1, v74
	s_waitcnt lgkmcnt(0)
	s_mov_b32 s7, exec_lo
	v_lshlrev_b32_e32 v73, 1, v2
	s_delay_alu instid0(VALU_DEP_2)
	v_cmpx_gt_u32_e32 5, v1
	s_cbranch_execz .LBB1810_10
; %bb.9:
	s_load_b64 s[18:19], s[0:1], 0x0
	v_add_lshl_u32 v2, v1, s31, 7
	s_mul_hi_i32 s21, s13, s4
	s_mul_i32 s20, s13, s4
	v_lshlrev_b32_e32 v6, 10, v65
	s_lshl_b64 s[20:21], s[20:21], 1
	v_ashrrev_i32_e32 v3, 31, v2
	v_lshlrev_b32_e32 v1, 6, v1
	v_lshlrev_b32_e32 v7, 10, v75
	v_and_b32_e32 v6, 0x3800, v6
	s_delay_alu instid0(VALU_DEP_4) | instskip(NEXT) | instid1(VALU_DEP_2)
	v_lshlrev_b64 v[2:3], 1, v[2:3]
	v_or3_b32 v1, v6, v7, v1
	s_waitcnt lgkmcnt(0)
	s_add_u32 s4, s18, s20
	s_addc_u32 s13, s19, s21
	s_delay_alu instid0(VALU_DEP_2) | instskip(SKIP_1) | instid1(VALU_DEP_2)
	v_add_co_u32 v2, vcc_lo, s4, v2
	v_add_co_ci_u32_e32 v3, vcc_lo, s13, v3, vcc_lo
	v_add_co_u32 v2, vcc_lo, v2, v73
	s_delay_alu instid0(VALU_DEP_2)
	v_add_co_ci_u32_e32 v3, vcc_lo, 0, v3, vcc_lo
	global_load_b128 v[2:5], v[2:3], off
	s_waitcnt vmcnt(0)
	ds_store_b128 v1, v[2:5]
.LBB1810_10:
	s_or_b32 exec_lo, exec_lo, s7
	v_and_b32_e32 v1, 0xef, v0
	s_add_i32 s4, s17, 15
	s_clause 0x1
	s_load_b32 s7, s[0:1], 0x38
	s_load_b32 s18, s[0:1], 0x1c
	s_ashr_i32 s13, s4, 31
	v_add_nc_u32_e32 v2, s12, v1
	s_lshr_b32 s13, s13, 28
	s_waitcnt lgkmcnt(0)
	s_add_i32 s4, s4, s13
	s_barrier
	v_ashrrev_i32_e32 v1, 31, v2
	s_ashr_i32 s4, s4, 4
	v_cmp_gt_i32_e32 vcc_lo, s17, v2
	s_add_i32 s4, s4, -1
	buffer_gl0_inv
	v_lshrrev_b32_e32 v3, 28, v1
	v_or_b32_e32 v1, 16, v2
	s_mul_i32 s15, s15, s6
	s_delay_alu instid0(VALU_DEP_2) | instskip(SKIP_1) | instid1(SALU_CYCLE_1)
	v_add_nc_u32_e32 v4, v2, v3
	s_mul_i32 s20, s30, s7
	s_ashr_i32 s21, s20, 31
	s_delay_alu instid0(VALU_DEP_1) | instskip(SKIP_2) | instid1(SALU_CYCLE_1)
	v_ashrrev_i32_e32 v4, 4, v4
	v_add_nc_u32_e32 v3, v1, v3
	s_lshl_b64 s[20:21], s[20:21], 2
	s_add_u32 s2, s2, s20
	s_delay_alu instid0(VALU_DEP_2) | instskip(NEXT) | instid1(VALU_DEP_2)
	v_cndmask_b32_e32 v2, s4, v4, vcc_lo
	v_ashrrev_i32_e32 v3, 4, v3
	v_cmp_gt_i32_e32 vcc_lo, s17, v1
	s_addc_u32 s3, s3, s21
	s_ashr_i32 s6, s15, 31
	s_add_u32 s7, s8, s15
	s_addc_u32 s13, s9, s6
	v_cndmask_b32_e32 v4, s4, v3, vcc_lo
	v_ashrrev_i32_e32 v3, 31, v2
	s_lshl_b32 s8, s14, 4
	s_delay_alu instid0(SALU_CYCLE_1) | instskip(NEXT) | instid1(VALU_DEP_2)
	s_ashr_i32 s9, s8, 31
	v_ashrrev_i32_e32 v5, 31, v4
	s_delay_alu instid0(VALU_DEP_2) | instskip(SKIP_1) | instid1(SALU_CYCLE_1)
	v_lshlrev_b64 v[1:2], 2, v[2:3]
	s_lshl_b64 s[8:9], s[8:9], 2
	s_add_u32 s8, s2, s8
	s_delay_alu instid0(VALU_DEP_2) | instskip(SKIP_1) | instid1(VALU_DEP_2)
	v_lshlrev_b64 v[3:4], 2, v[4:5]
	s_addc_u32 s9, s3, s9
	v_add_co_u32 v1, vcc_lo, s2, v1
	v_add_co_ci_u32_e32 v2, vcc_lo, s3, v2, vcc_lo
	s_delay_alu instid0(VALU_DEP_3) | instskip(NEXT) | instid1(VALU_DEP_4)
	v_add_co_u32 v3, vcc_lo, s2, v3
	v_add_co_ci_u32_e32 v4, vcc_lo, s3, v4, vcc_lo
	s_clause 0x1
	global_load_b32 v5, v[1:2], off
	global_load_b32 v3, v[3:4], off
	v_lshlrev_b32_e32 v1, 4, v0
	s_or_b32 s16, s12, 32
	s_delay_alu instid0(SALU_CYCLE_1) | instskip(SKIP_1) | instid1(VALU_DEP_1)
	s_ashr_i32 s19, s16, 4
	s_cmp_lt_i32 s16, s17
	v_and_b32_e32 v1, 0xf0, v1
	s_cselect_b32 s20, s19, s4
	s_delay_alu instid0(SALU_CYCLE_1) | instskip(NEXT) | instid1(SALU_CYCLE_1)
	s_ashr_i32 s21, s20, 31
	s_lshl_b64 s[20:21], s[20:21], 2
	s_delay_alu instid0(VALU_DEP_1)
	v_add_co_u32 v1, s7, s7, v1
	s_add_u32 s20, s2, s20
	s_addc_u32 s21, s3, s21
	s_or_b32 s16, s12, 64
	v_add_co_ci_u32_e64 v2, null, s13, 0, s7
	s_ashr_i32 s19, s16, 4
	s_cmp_lt_i32 s16, s17
	s_cselect_b32 s22, s19, s4
	s_delay_alu instid0(SALU_CYCLE_1) | instskip(NEXT) | instid1(SALU_CYCLE_1)
	s_ashr_i32 s23, s22, 31
	s_lshl_b64 s[22:23], s[22:23], 2
	s_delay_alu instid0(SALU_CYCLE_1) | instskip(SKIP_2) | instid1(SALU_CYCLE_1)
	s_add_u32 s22, s2, s22
	s_addc_u32 s23, s3, s23
	s_or_b32 s16, s12, 0x60
	s_ashr_i32 s19, s16, 4
	s_cmp_lt_i32 s16, s17
	s_cselect_b32 s24, s19, s4
	s_delay_alu instid0(SALU_CYCLE_1) | instskip(NEXT) | instid1(SALU_CYCLE_1)
	s_ashr_i32 s25, s24, 31
	s_lshl_b64 s[24:25], s[24:25], 2
	s_delay_alu instid0(SALU_CYCLE_1) | instskip(SKIP_2) | instid1(SALU_CYCLE_1)
	s_add_u32 s24, s2, s24
	s_addc_u32 s25, s3, s25
	s_or_b32 s16, s12, 0x80
	;; [unrolled: 10-line block ×3, first 2 shown]
	s_ashr_i32 s19, s16, 4
	s_cmp_lt_i32 s16, s17
	s_cselect_b32 s28, s19, s4
	s_delay_alu instid0(SALU_CYCLE_1) | instskip(NEXT) | instid1(SALU_CYCLE_1)
	s_ashr_i32 s29, s28, 31
	s_lshl_b64 s[28:29], s[28:29], 2
	s_delay_alu instid0(SALU_CYCLE_1)
	s_add_u32 s28, s2, s28
	s_addc_u32 s29, s3, s29
	s_clause 0x5
	s_load_b32 s7, s[8:9], 0x0
	s_load_b32 s13, s[20:21], 0x0
	;; [unrolled: 1-line block ×6, first 2 shown]
	s_or_b32 s8, s12, 0xc0
	s_mov_b32 s20, 0
	s_ashr_i32 s9, s8, 4
	s_cmp_lt_i32 s8, s17
	s_mov_b32 s27, s20
	s_cselect_b32 s8, s9, s4
	s_mov_b32 s21, s20
	s_ashr_i32 s9, s8, 31
	s_mov_b32 s22, s20
	s_lshl_b64 s[8:9], s[8:9], 2
	s_mov_b32 s23, s20
	s_mov_b32 s24, s20
	;; [unrolled: 1-line block ×4, first 2 shown]
	v_dual_mov_b32 v107, s27 :: v_dual_mov_b32 v104, s24
	s_add_u32 s8, s2, s8
	v_dual_mov_b32 v106, s26 :: v_dual_mov_b32 v105, s25
	v_dual_mov_b32 v101, s21 :: v_dual_mov_b32 v100, s20
	s_addc_u32 s9, s3, s9
	v_dual_mov_b32 v103, s23 :: v_dual_mov_b32 v102, s22
	s_or_b32 s20, s12, 0xe0
	s_delay_alu instid0(SALU_CYCLE_1) | instskip(SKIP_2) | instid1(SALU_CYCLE_1)
	s_ashr_i32 s21, s20, 4
	s_cmp_lt_i32 s20, s17
	s_cselect_b32 s20, s21, s4
	s_ashr_i32 s21, s20, 31
	s_delay_alu instid0(SALU_CYCLE_1) | instskip(NEXT) | instid1(SALU_CYCLE_1)
	s_lshl_b64 s[20:21], s[20:21], 2
	s_add_u32 s2, s2, s20
	s_addc_u32 s3, s3, s21
	s_waitcnt vmcnt(1)
	v_mad_i64_i32 v[25:26], null, v5, s5, v[1:2]
	s_waitcnt vmcnt(0)
	v_mad_i64_i32 v[27:28], null, v3, s5, v[1:2]
	s_clause 0xf
	global_load_b128 v[1:4], v[25:26], off
	global_load_b128 v[5:8], v[25:26], off offset:256
	global_load_b128 v[9:12], v[27:28], off
	global_load_b128 v[13:16], v[27:28], off offset:256
	global_load_b128 v[17:20], v[25:26], off offset:512
	;; [unrolled: 1-line block ×13, first 2 shown]
	v_mul_lo_u16 v25, v65, 52
	v_lshlrev_b32_e32 v26, 4, v65
	s_delay_alu instid0(VALU_DEP_2) | instskip(NEXT) | instid1(VALU_DEP_2)
	v_lshrrev_b16 v25, 8, v25
	v_lshl_or_b32 v33, v66, 8, v26
	s_delay_alu instid0(VALU_DEP_2) | instskip(NEXT) | instid1(VALU_DEP_1)
	v_mul_lo_u16 v25, v25, 5
	v_sub_nc_u16 v25, v65, v25
	s_delay_alu instid0(VALU_DEP_1) | instskip(NEXT) | instid1(VALU_DEP_1)
	v_and_b32_e32 v25, 0xff, v25
	v_lshlrev_b32_e32 v72, 6, v25
	ds_load_b128 v[25:28], v72
	ds_load_b128 v[29:32], v72 offset:1024
	ds_load_b128 v[108:111], v72 offset:2048
	;; [unrolled: 1-line block ×3, first 2 shown]
	s_load_b32 s4, s[8:9], 0x0
	ds_load_b128 v[116:119], v72 offset:4096
	ds_load_b128 v[120:123], v72 offset:5120
	s_load_b32 s2, s[2:3], 0x0
	s_add_u32 s8, s10, s15
	s_addc_u32 s6, s11, s6
	v_add_co_u32 v68, s8, s8, v33
	s_delay_alu instid0(VALU_DEP_1) | instskip(SKIP_1) | instid1(VALU_DEP_1)
	v_add_co_ci_u32_e64 v69, null, s6, 0, s8
	s_waitcnt lgkmcnt(0)
	v_mad_i64_i32 v[33:34], null, s7, s5, v[68:69]
	v_mad_i64_i32 v[70:71], null, s16, s5, v[68:69]
	;; [unrolled: 1-line block ×7, first 2 shown]
	s_clause 0x3
	global_load_b128 v[41:44], v[33:34], off
	global_load_b128 v[45:48], v[33:34], off offset:16
	global_load_b128 v[33:36], v[37:38], off
	global_load_b128 v[37:40], v[37:38], off offset:16
	s_waitcnt vmcnt(18)
	v_wmma_f32_16x16x16_bf16 v[124:131], v[1:8], v[25:32], v[100:107]
	s_waitcnt vmcnt(16)
	v_wmma_f32_16x16x16_bf16 v[100:107], v[9:16], v[25:32], v[100:107]
	s_clause 0x1
	global_load_b128 v[25:28], v[70:71], off
	global_load_b128 v[29:32], v[70:71], off offset:16
	s_waitcnt vmcnt(16)
	v_wmma_f32_16x16x16_bf16 v[124:131], v[17:24], v[108:115], v[124:131]
	s_clause 0x1
	global_load_b128 v[17:20], v[132:133], off
	global_load_b128 v[21:24], v[132:133], off offset:16
	s_waitcnt vmcnt(16)
	v_wmma_f32_16x16x16_bf16 v[100:107], v[49:56], v[108:115], v[100:107]
	v_mad_i64_i32 v[53:54], null, s2, s5, v[68:69]
	s_clause 0x3
	global_load_b128 v[1:4], v[134:135], off
	global_load_b128 v[5:8], v[134:135], off offset:16
	global_load_b128 v[9:12], v[136:137], off
	global_load_b128 v[13:16], v[136:137], off offset:16
	s_waitcnt vmcnt(18)
	v_wmma_f32_16x16x16_bf16 v[124:131], v[57:64], v[116:123], v[124:131]
	s_clause 0x3
	global_load_b128 v[57:60], v[138:139], off
	global_load_b128 v[61:64], v[138:139], off offset:16
	global_load_b128 v[49:52], v[53:54], off
	global_load_b128 v[53:56], v[53:54], off offset:16
	v_mbcnt_lo_u32_b32 v69, -1, 0
	s_waitcnt vmcnt(20)
	v_wmma_f32_16x16x16_bf16 v[100:107], v[76:83], v[116:123], v[100:107]
	s_delay_alu instid0(VALU_DEP_2) | instskip(NEXT) | instid1(VALU_DEP_1)
	v_xor_b32_e32 v70, 16, v69
	v_cmp_gt_i32_e32 vcc_lo, 32, v70
	v_cndmask_b32_e32 v69, v69, v70, vcc_lo
	ds_load_b128 v[76:79], v72 offset:6144
	ds_load_b128 v[80:83], v72 offset:7168
	s_waitcnt vmcnt(0) lgkmcnt(0)
	s_barrier
	buffer_gl0_inv
	v_wmma_f32_16x16x16_bf16 v[124:131], v[84:91], v[76:83], v[124:131]
	v_and_b32_e32 v68, 0xe0, v0
	v_wmma_f32_16x16x16_bf16 v[100:107], v[92:99], v[76:83], v[100:107]
	s_delay_alu instid0(VALU_DEP_2) | instskip(NEXT) | instid1(VALU_DEP_4)
	v_dual_mul_f32 v79, s18, v127 :: v_dual_add_nc_u32 v68, s12, v68
	v_mul_f32_e32 v81, s18, v129
	v_dual_mul_f32 v78, s18, v125 :: v_dual_mul_f32 v83, s18, v131
	s_delay_alu instid0(VALU_DEP_4) | instskip(NEXT) | instid1(VALU_DEP_4)
	v_dual_mul_f32 v80, s18, v126 :: v_dual_mul_f32 v95, s18, v103
	v_or_b32_e32 v68, v68, v74
	v_dual_mul_f32 v93, s18, v101 :: v_dual_mul_f32 v82, s18, v128
	v_dual_mul_f32 v97, s18, v105 :: v_dual_mul_f32 v92, s18, v130
	v_mul_f32_e32 v99, s18, v107
	s_delay_alu instid0(VALU_DEP_4)
	v_or_b32_e32 v70, 2, v68
	v_or_b32_e32 v71, 4, v68
	;; [unrolled: 1-line block ×3, first 2 shown]
	v_cmp_gt_i32_e64 s2, s17, v68
	v_or_b32_e32 v108, 8, v68
	v_cmp_gt_i32_e32 vcc_lo, s17, v70
	v_mul_f32_e32 v70, s18, v124
	v_or_b32_e32 v109, 10, v68
	v_cmp_gt_i32_e64 s3, s17, v71
	v_cmp_gt_i32_e64 s4, s17, v72
	v_cndmask_b32_e32 v78, 0xff7fffff, v78, vcc_lo
	v_cndmask_b32_e64 v70, 0xff7fffff, v70, s2
	v_or_b32_e32 v84, 12, v68
	v_or_b32_e32 v85, 14, v68
	v_cndmask_b32_e64 v71, 0xff7fffff, v80, s3
	v_cndmask_b32_e64 v72, 0xff7fffff, v79, s4
	v_max3_f32 v70, v70, 0xff7fffff, v78
	v_cmp_gt_i32_e64 s5, s17, v108
	v_cmp_gt_i32_e64 s6, s17, v109
	v_or_b32_e32 v86, 16, v68
	v_or_b32_e32 v87, 18, v68
	v_max3_f32 v70, v70, v71, v72
	v_cndmask_b32_e64 v78, 0xff7fffff, v82, s5
	v_cndmask_b32_e64 v79, 0xff7fffff, v81, s6
	v_cmp_gt_i32_e64 s7, s17, v84
	v_cmp_gt_i32_e64 s8, s17, v85
	v_or_b32_e32 v88, 20, v68
	v_or_b32_e32 v89, 22, v68
	v_mul_f32_e32 v94, s18, v100
	v_cndmask_b32_e64 v71, 0xff7fffff, v92, s7
	v_cndmask_b32_e64 v72, 0xff7fffff, v83, s8
	v_max3_f32 v70, v70, v78, v79
	v_cmp_gt_i32_e64 s9, s17, v86
	v_cmp_gt_i32_e64 s10, s17, v87
	v_or_b32_e32 v90, 24, v68
	v_or_b32_e32 v91, 26, v68
	v_mul_f32_e32 v96, s18, v102
	v_max3_f32 v70, v70, v71, v72
	v_cndmask_b32_e64 v79, 0xff7fffff, v93, s10
	v_cmp_gt_i32_e64 s11, s17, v88
	v_cmp_gt_i32_e64 s12, s17, v89
	v_lshlrev_b32_e32 v89, 2, v69
	v_cndmask_b32_e64 v78, 0xff7fffff, v94, s9
	v_or_b32_e32 v76, 28, v68
	v_or_b32_e32 v77, 30, v68
	v_mul_f32_e32 v98, s18, v104
	v_cndmask_b32_e64 v71, 0xff7fffff, v96, s11
	v_cndmask_b32_e64 v72, 0xff7fffff, v95, s12
	v_max3_f32 v70, v70, v78, v79
	v_cmp_gt_i32_e64 s13, s17, v90
	v_cmp_gt_i32_e64 s15, s17, v91
	v_mul_f32_e32 v68, s18, v106
	v_cmp_gt_i32_e64 s16, s17, v76
	v_max3_f32 v70, v70, v71, v72
	v_cndmask_b32_e64 v78, 0xff7fffff, v98, s13
	v_cndmask_b32_e64 v79, 0xff7fffff, v97, s15
	v_cmp_gt_i32_e64 s17, s17, v77
	v_cndmask_b32_e64 v68, 0xff7fffff, v68, s16
	s_delay_alu instid0(VALU_DEP_3) | instskip(NEXT) | instid1(VALU_DEP_3)
	v_max3_f32 v70, v70, v78, v79
	v_cndmask_b32_e64 v71, 0xff7fffff, v99, s17
	s_delay_alu instid0(VALU_DEP_1) | instskip(SKIP_3) | instid1(VALU_DEP_1)
	v_max3_f32 v68, v70, v68, v71
	ds_bpermute_b32 v69, v89, v68
	s_waitcnt lgkmcnt(0)
	v_max_f32_e32 v69, v69, v69
	v_max_f32_e32 v68, v68, v69
	s_delay_alu instid0(VALU_DEP_1) | instskip(NEXT) | instid1(VALU_DEP_1)
	v_fma_f32 v76, s18, v128, -v68
	v_mul_f32_e32 v77, 0x3fb8aa3b, v76
	v_fma_f32 v71, s18, v126, -v68
	v_fma_f32 v69, s18, v124, -v68
	;; [unrolled: 1-line block ×4, first 2 shown]
	v_exp_f32_e32 v77, v77
	v_mul_f32_e32 v71, 0x3fb8aa3b, v71
	v_mul_f32_e32 v69, 0x3fb8aa3b, v69
	v_fma_f32 v81, s18, v105, -v68
	v_fma_f32 v78, s18, v130, -v68
	s_delay_alu instid0(VALU_DEP_4) | instskip(NEXT) | instid1(VALU_DEP_3)
	v_exp_f32_e32 v71, v71
	v_exp_f32_e32 v69, v69
	s_delay_alu instid0(VALU_DEP_2) | instskip(NEXT) | instid1(TRANS32_DEP_3)
	v_mul_f32_e32 v81, 0x3fb8aa3b, v81
	v_cndmask_b32_e64 v86, 0, v77, s5
	v_fma_f32 v77, s18, v101, -v68
	s_delay_alu instid0(VALU_DEP_3) | instskip(NEXT) | instid1(TRANS32_DEP_3)
	v_exp_f32_e32 v81, v81
	v_cndmask_b32_e64 v83, 0, v71, s3
	v_fma_f32 v71, s18, v131, -v68
	v_mul_f32_e32 v72, 0x3fb8aa3b, v72
	s_delay_alu instid0(TRANS32_DEP_2) | instskip(SKIP_1) | instid1(VALU_DEP_4)
	v_cndmask_b32_e64 v80, 0, v69, s2
	v_fma_f32 v69, s18, v129, -v68
	v_dual_mul_f32 v70, 0x3fb8aa3b, v70 :: v_dual_mul_f32 v71, 0x3fb8aa3b, v71
	s_delay_alu instid0(VALU_DEP_4) | instskip(SKIP_1) | instid1(VALU_DEP_3)
	v_exp_f32_e32 v72, v72
	v_mul_f32_e32 v77, 0x3fb8aa3b, v77
	v_mul_f32_e32 v69, 0x3fb8aa3b, v69
	s_delay_alu instid0(VALU_DEP_3)
	v_exp_f32_e32 v70, v70
	v_exp_f32_e32 v71, v71
	v_cmp_gt_u32_e64 s2, 16, v67
	v_exp_f32_e32 v77, v77
	v_exp_f32_e32 v69, v69
	v_cndmask_b32_e64 v85, 0, v72, s4
	v_fma_f32 v72, s18, v100, -v68
	v_cndmask_b32_e32 v76, 0, v70, vcc_lo
	s_delay_alu instid0(TRANS32_DEP_3) | instskip(SKIP_2) | instid1(TRANS32_DEP_1)
	v_cndmask_b32_e64 v88, 0, v71, s8
	v_fma_f32 v71, s18, v104, -v68
	v_add_f32_e32 v70, 0, v80
	v_cndmask_b32_e64 v87, 0, v69, s6
	s_delay_alu instid0(VALU_DEP_2) | instskip(NEXT) | instid1(VALU_DEP_1)
	v_dual_mul_f32 v71, 0x3fb8aa3b, v71 :: v_dual_add_f32 v70, v70, v76
	v_exp_f32_e32 v82, v71
	s_delay_alu instid0(VALU_DEP_1) | instskip(NEXT) | instid1(VALU_DEP_1)
	v_add_f32_e32 v70, v70, v83
	v_add_f32_e32 v70, v70, v85
	s_delay_alu instid0(VALU_DEP_1) | instskip(SKIP_1) | instid1(VALU_DEP_2)
	v_dual_mul_f32 v72, 0x3fb8aa3b, v72 :: v_dual_add_f32 v69, v70, v86
	v_fma_f32 v70, s18, v102, -v68
	v_exp_f32_e32 v72, v72
	s_delay_alu instid0(VALU_DEP_2) | instskip(NEXT) | instid1(VALU_DEP_2)
	v_dual_add_f32 v69, v69, v87 :: v_dual_mul_f32 v78, 0x3fb8aa3b, v78
	v_mul_f32_e32 v70, 0x3fb8aa3b, v70
	s_delay_alu instid0(VALU_DEP_2) | instskip(NEXT) | instid1(VALU_DEP_1)
	v_exp_f32_e32 v78, v78
	v_exp_f32_e32 v79, v70
	s_delay_alu instid0(TRANS32_DEP_3) | instskip(SKIP_4) | instid1(VALU_DEP_3)
	v_cndmask_b32_e64 v70, 0, v72, s9
	s_waitcnt_depctr 0xfff
	v_cndmask_b32_e64 v84, 0, v78, s7
	v_fma_f32 v78, s18, v103, -v68
	v_cndmask_b32_e64 v71, 0, v79, s11
	v_add_f32_e32 v69, v69, v84
	s_delay_alu instid0(VALU_DEP_1) | instskip(SKIP_2) | instid1(VALU_DEP_1)
	v_add_f32_e32 v72, v69, v88
	v_cndmask_b32_e64 v69, 0, v77, s10
	v_fma_f32 v77, s18, v106, -v68
	v_dual_add_f32 v72, v72, v70 :: v_dual_mul_f32 v77, 0x3fb8aa3b, v77
	s_delay_alu instid0(VALU_DEP_1) | instskip(NEXT) | instid1(VALU_DEP_2)
	v_add_f32_e32 v79, v72, v69
	v_exp_f32_e32 v90, v77
	v_cndmask_b32_e64 v77, 0, v82, s13
	v_mul_f32_e32 v78, 0x3fb8aa3b, v78
	s_delay_alu instid0(VALU_DEP_1) | instskip(SKIP_4) | instid1(VALU_DEP_1)
	v_exp_f32_e32 v78, v78
	s_waitcnt_depctr 0xfff
	v_cndmask_b32_e64 v72, 0, v78, s12
	v_add_f32_e32 v78, v79, v71
	v_fma_f32 v79, s18, v107, -v68
	v_dual_add_f32 v82, v78, v72 :: v_dual_mul_f32 v79, 0x3fb8aa3b, v79
	v_cndmask_b32_e64 v78, 0, v81, s15
	s_delay_alu instid0(VALU_DEP_2) | instskip(NEXT) | instid1(VALU_DEP_3)
	v_add_f32_e32 v81, v82, v77
	v_exp_f32_e32 v82, v79
	v_cndmask_b32_e64 v79, 0, v90, s16
	s_delay_alu instid0(VALU_DEP_2) | instskip(NEXT) | instid1(VALU_DEP_1)
	v_add_f32_e32 v81, v81, v78
	v_add_f32_e32 v90, v81, v79
	s_waitcnt_depctr 0xfff
	v_cndmask_b32_e64 v81, 0, v82, s17
	s_delay_alu instid0(VALU_DEP_1)
	v_add_f32_e32 v82, v90, v81
	ds_bpermute_b32 v89, v89, v82
	s_and_saveexec_b32 s3, s2
	s_cbranch_execz .LBB1810_12
; %bb.11:
	v_mul_u32_u24_e32 v67, 0x44, v66
	s_delay_alu instid0(VALU_DEP_1) | instskip(SKIP_1) | instid1(VALU_DEP_1)
	v_lshl_add_u32 v67, v65, 2, v67
	s_waitcnt lgkmcnt(0)
	v_dual_add_f32 v82, v82, v89 :: v_dual_add_nc_u32 v67, 0x4000, v67
	ds_store_2addr_b32 v67, v68, v82 offset1:136
.LBB1810_12:
	s_or_b32 exec_lo, exec_lo, s3
	v_lshlrev_b32_e32 v67, 2, v65
	s_waitcnt lgkmcnt(0)
	s_barrier
	buffer_gl0_inv
	v_cmp_eq_u32_e32 vcc_lo, 1, v66
	v_add_nc_u32_e32 v82, 0x4000, v67
	v_cmp_eq_u32_e64 s3, 2, v66
	v_cmp_eq_u32_e64 s5, 7, v66
	ds_load_2addr_b32 v[89:90], v82 offset1:17
	ds_load_2addr_b32 v[91:92], v82 offset0:34 offset1:51
	ds_load_2addr_b32 v[93:94], v82 offset0:68 offset1:85
	;; [unrolled: 1-line block ×4, first 2 shown]
	s_waitcnt lgkmcnt(4)
	v_max3_f32 v67, v89, 0xff7fffff, v90
	s_waitcnt lgkmcnt(3)
	s_delay_alu instid0(VALU_DEP_1) | instskip(SKIP_1) | instid1(VALU_DEP_1)
	v_max3_f32 v67, v67, v91, v92
	s_waitcnt lgkmcnt(2)
	v_max3_f32 v67, v67, v93, v94
	s_waitcnt lgkmcnt(1)
	s_delay_alu instid0(VALU_DEP_1) | instskip(NEXT) | instid1(VALU_DEP_1)
	v_max3_f32 v67, v67, v95, v96
	v_sub_f32_e32 v93, v93, v67
	s_delay_alu instid0(VALU_DEP_1) | instskip(NEXT) | instid1(VALU_DEP_1)
	v_dual_sub_f32 v68, v89, v67 :: v_dual_mul_f32 v103, 0x3fb8aa3b, v93
	v_mul_f32_e32 v68, 0x3fb8aa3b, v68
	s_delay_alu instid0(VALU_DEP_1)
	v_exp_f32_e32 v100, v68
	v_sub_f32_e32 v68, v92, v67
	v_sub_f32_e32 v99, v90, v67
	ds_load_2addr_b32 v[89:90], v82 offset0:170 offset1:187
	v_dual_mul_f32 v102, 0x3fb8aa3b, v68 :: v_dual_mul_f32 v99, 0x3fb8aa3b, v99
	s_waitcnt lgkmcnt(1)
	v_fma_f32 v68, v100, v97, 0
	s_delay_alu instid0(VALU_DEP_2) | instskip(NEXT) | instid1(VALU_DEP_2)
	v_exp_f32_e32 v102, v102
	v_exp_f32_e32 v99, v99
	s_waitcnt_depctr 0xfff
	v_fmac_f32_e32 v68, v99, v98
	v_sub_f32_e32 v91, v91, v67
	s_delay_alu instid0(VALU_DEP_1)
	v_mul_f32_e32 v101, 0x3fb8aa3b, v91
	ds_load_2addr_b32 v[91:92], v82 offset0:204 offset1:221
	v_sub_f32_e32 v97, v94, v67
	ds_load_2addr_b32 v[93:94], v82 offset0:238 offset1:255
	s_waitcnt lgkmcnt(0)
	v_exp_f32_e32 v101, v101
	s_barrier
	buffer_gl0_inv
	v_dual_fmac_f32 v68, v101, v89 :: v_dual_sub_f32 v89, v96, v67
	v_dual_sub_f32 v82, v95, v67 :: v_dual_mul_f32 v95, 0x3fb8aa3b, v97
	v_exp_f32_e32 v97, v103
	s_delay_alu instid0(VALU_DEP_2) | instskip(NEXT) | instid1(VALU_DEP_2)
	v_dual_fmac_f32 v68, v102, v90 :: v_dual_mul_f32 v89, 0x3fb8aa3b, v89
	v_mul_f32_e32 v82, 0x3fb8aa3b, v82
	s_delay_alu instid0(VALU_DEP_3) | instskip(NEXT) | instid1(VALU_DEP_2)
	v_exp_f32_e32 v95, v95
	v_exp_f32_e32 v89, v89
	s_delay_alu instid0(VALU_DEP_1)
	v_exp_f32_e32 v82, v82
	v_fmac_f32_e32 v68, v97, v91
	s_delay_alu instid0(TRANS32_DEP_3) | instid1(VALU_DEP_1)
	v_fmac_f32_e32 v68, v95, v92
	s_waitcnt_depctr 0xfff
	v_fmac_f32_e32 v68, v82, v93
	s_delay_alu instid0(VALU_DEP_1) | instskip(NEXT) | instid1(VALU_DEP_1)
	v_fmac_f32_e32 v68, v89, v94
	v_add_f32_e32 v90, 0x358637bd, v68
	s_delay_alu instid0(VALU_DEP_1) | instskip(NEXT) | instid1(VALU_DEP_1)
	v_div_scale_f32 v91, null, v90, v90, 1.0
	v_rcp_f32_e32 v92, v91
	s_waitcnt_depctr 0xfff
	v_fma_f32 v93, -v91, v92, 1.0
	s_delay_alu instid0(VALU_DEP_1) | instskip(SKIP_1) | instid1(VALU_DEP_2)
	v_dual_fmac_f32 v92, v93, v92 :: v_dual_cndmask_b32 v93, v100, v99
	v_cmp_eq_u32_e32 vcc_lo, 3, v66
	v_cndmask_b32_e64 v93, v93, v101, s3
	v_cmp_eq_u32_e64 s3, 4, v66
	s_delay_alu instid0(VALU_DEP_2) | instskip(SKIP_1) | instid1(VALU_DEP_2)
	v_cndmask_b32_e32 v93, v93, v102, vcc_lo
	v_cmp_eq_u32_e32 vcc_lo, 5, v66
	v_cndmask_b32_e64 v93, v93, v97, s3
	v_cmp_eq_u32_e64 s3, 6, v66
	s_delay_alu instid0(VALU_DEP_2) | instskip(SKIP_1) | instid1(VALU_DEP_1)
	v_cndmask_b32_e32 v93, v93, v95, vcc_lo
	v_div_scale_f32 v94, s4, 1.0, v90, 1.0
	s_mov_b32 vcc_lo, s4
	s_delay_alu instid0(VALU_DEP_2) | instskip(NEXT) | instid1(VALU_DEP_2)
	v_cndmask_b32_e64 v82, v93, v82, s3
	v_mul_f32_e32 v96, v94, v92
	s_mov_b32 s3, exec_lo
	s_delay_alu instid0(VALU_DEP_2) | instskip(NEXT) | instid1(VALU_DEP_2)
	v_cndmask_b32_e64 v82, v82, v89, s5
	v_fma_f32 v98, -v91, v96, v94
	s_delay_alu instid0(VALU_DEP_1) | instskip(NEXT) | instid1(VALU_DEP_1)
	v_fmac_f32_e32 v96, v98, v92
	v_fma_f32 v91, -v91, v96, v94
	s_delay_alu instid0(VALU_DEP_1) | instskip(NEXT) | instid1(VALU_DEP_1)
	v_div_fmas_f32 v91, v91, v92, v96
	v_div_fixup_f32 v90, v91, v90, 1.0
	s_delay_alu instid0(VALU_DEP_1) | instskip(NEXT) | instid1(VALU_DEP_1)
	v_mul_f32_e32 v82, v82, v90
	v_mul_f32_e32 v87, v82, v87
	;; [unrolled: 1-line block ×7, first 2 shown]
	v_dual_mul_f32 v86, v82, v83 :: v_dual_and_b32 v91, 0x7f800000, v90
	v_mul_f32_e32 v85, v82, v76
                                        ; implicit-def: $vgpr76
	s_delay_alu instid0(VALU_DEP_2)
	v_cmpx_ne_u32_e32 0x7f800000, v91
	s_xor_b32 s3, exec_lo, s3
; %bb.13:
	v_bfe_u32 v76, v90, 16, 1
	s_delay_alu instid0(VALU_DEP_1)
	v_add3_u32 v76, v90, v76, 0x7fff
                                        ; implicit-def: $vgpr90
; %bb.14:
	s_and_not1_saveexec_b32 s3, s3
; %bb.15:
	v_and_b32_e32 v76, 0xffff, v90
	v_or_b32_e32 v83, 0x10000, v90
	s_delay_alu instid0(VALU_DEP_2) | instskip(NEXT) | instid1(VALU_DEP_2)
	v_cmp_eq_u32_e32 vcc_lo, 0, v76
	v_cndmask_b32_e32 v76, v83, v90, vcc_lo
; %bb.16:
	s_or_b32 exec_lo, exec_lo, s3
	v_and_b32_e32 v83, 0x7f800000, v85
	s_delay_alu instid0(VALU_DEP_1) | instskip(SKIP_1) | instid1(SALU_CYCLE_1)
	v_cmp_ne_u32_e32 vcc_lo, 0x7f800000, v83
                                        ; implicit-def: $vgpr83
	s_and_saveexec_b32 s3, vcc_lo
	s_xor_b32 s3, exec_lo, s3
; %bb.17:
	v_bfe_u32 v83, v85, 16, 1
	s_delay_alu instid0(VALU_DEP_1)
	v_add3_u32 v83, v85, v83, 0x7fff
                                        ; implicit-def: $vgpr85
; %bb.18:
	s_and_not1_saveexec_b32 s3, s3
; %bb.19:
	v_and_b32_e32 v83, 0xffff, v85
	v_or_b32_e32 v90, 0x10000, v85
	s_delay_alu instid0(VALU_DEP_2) | instskip(NEXT) | instid1(VALU_DEP_2)
	v_cmp_eq_u32_e32 vcc_lo, 0, v83
	v_cndmask_b32_e32 v83, v90, v85, vcc_lo
; %bb.20:
	s_or_b32 exec_lo, exec_lo, s3
	v_and_b32_e32 v85, 0x7f800000, v86
	s_delay_alu instid0(VALU_DEP_1) | instskip(SKIP_1) | instid1(SALU_CYCLE_1)
	v_cmp_ne_u32_e32 vcc_lo, 0x7f800000, v85
                                        ; implicit-def: $vgpr85
	s_and_saveexec_b32 s3, vcc_lo
	s_xor_b32 s3, exec_lo, s3
; %bb.21:
	v_bfe_u32 v85, v86, 16, 1
	s_delay_alu instid0(VALU_DEP_1)
	v_add3_u32 v85, v86, v85, 0x7fff
                                        ; implicit-def: $vgpr86
; %bb.22:
	s_and_not1_saveexec_b32 s3, s3
; %bb.23:
	v_and_b32_e32 v85, 0xffff, v86
	v_or_b32_e32 v90, 0x10000, v86
	s_delay_alu instid0(VALU_DEP_2) | instskip(NEXT) | instid1(VALU_DEP_2)
	v_cmp_eq_u32_e32 vcc_lo, 0, v85
	v_cndmask_b32_e32 v85, v90, v86, vcc_lo
; %bb.24:
	s_or_b32 exec_lo, exec_lo, s3
	v_and_b32_e32 v86, 0x7f800000, v89
	s_delay_alu instid0(VALU_DEP_1) | instskip(SKIP_1) | instid1(SALU_CYCLE_1)
	v_cmp_ne_u32_e32 vcc_lo, 0x7f800000, v86
                                        ; implicit-def: $vgpr86
	s_and_saveexec_b32 s3, vcc_lo
	s_xor_b32 s3, exec_lo, s3
; %bb.25:
	v_bfe_u32 v86, v89, 16, 1
	s_delay_alu instid0(VALU_DEP_1)
	v_add3_u32 v86, v89, v86, 0x7fff
                                        ; implicit-def: $vgpr89
; %bb.26:
	s_and_not1_saveexec_b32 s3, s3
; %bb.27:
	v_and_b32_e32 v86, 0xffff, v89
	v_or_b32_e32 v90, 0x10000, v89
	s_delay_alu instid0(VALU_DEP_2) | instskip(NEXT) | instid1(VALU_DEP_2)
	v_cmp_eq_u32_e32 vcc_lo, 0, v86
	v_cndmask_b32_e32 v86, v90, v89, vcc_lo
; %bb.28:
	s_or_b32 exec_lo, exec_lo, s3
	v_and_b32_e32 v89, 0x7f800000, v88
	s_delay_alu instid0(VALU_DEP_1) | instskip(SKIP_1) | instid1(SALU_CYCLE_1)
	v_cmp_ne_u32_e32 vcc_lo, 0x7f800000, v89
                                        ; implicit-def: $vgpr89
	s_and_saveexec_b32 s3, vcc_lo
	s_xor_b32 s3, exec_lo, s3
; %bb.29:
	v_bfe_u32 v89, v88, 16, 1
	s_delay_alu instid0(VALU_DEP_1)
	v_add3_u32 v89, v88, v89, 0x7fff
                                        ; implicit-def: $vgpr88
; %bb.30:
	s_and_not1_saveexec_b32 s3, s3
; %bb.31:
	v_and_b32_e32 v89, 0xffff, v88
	v_or_b32_e32 v90, 0x10000, v88
	s_delay_alu instid0(VALU_DEP_2) | instskip(NEXT) | instid1(VALU_DEP_2)
	v_cmp_eq_u32_e32 vcc_lo, 0, v89
	v_cndmask_b32_e32 v89, v90, v88, vcc_lo
; %bb.32:
	s_or_b32 exec_lo, exec_lo, s3
	v_and_b32_e32 v88, 0x7f800000, v87
	s_delay_alu instid0(VALU_DEP_1) | instskip(SKIP_1) | instid1(SALU_CYCLE_1)
	v_cmp_ne_u32_e32 vcc_lo, 0x7f800000, v88
                                        ; implicit-def: $vgpr88
	s_and_saveexec_b32 s3, vcc_lo
	s_xor_b32 s3, exec_lo, s3
; %bb.33:
	v_bfe_u32 v88, v87, 16, 1
	s_delay_alu instid0(VALU_DEP_1)
	v_add3_u32 v88, v87, v88, 0x7fff
                                        ; implicit-def: $vgpr87
; %bb.34:
	s_and_not1_saveexec_b32 s3, s3
; %bb.35:
	v_and_b32_e32 v88, 0xffff, v87
	v_or_b32_e32 v90, 0x10000, v87
	s_delay_alu instid0(VALU_DEP_2) | instskip(NEXT) | instid1(VALU_DEP_2)
	v_cmp_eq_u32_e32 vcc_lo, 0, v88
	v_cndmask_b32_e32 v88, v90, v87, vcc_lo
; %bb.36:
	s_or_b32 exec_lo, exec_lo, s3
	v_and_b32_e32 v87, 0x7f800000, v84
	s_delay_alu instid0(VALU_DEP_1) | instskip(SKIP_1) | instid1(SALU_CYCLE_1)
	v_cmp_ne_u32_e32 vcc_lo, 0x7f800000, v87
                                        ; implicit-def: $vgpr87
	s_and_saveexec_b32 s3, vcc_lo
	s_xor_b32 s3, exec_lo, s3
; %bb.37:
	v_bfe_u32 v87, v84, 16, 1
	s_delay_alu instid0(VALU_DEP_1)
	v_add3_u32 v87, v84, v87, 0x7fff
                                        ; implicit-def: $vgpr84
; %bb.38:
	s_and_not1_saveexec_b32 s3, s3
; %bb.39:
	v_and_b32_e32 v87, 0xffff, v84
	v_or_b32_e32 v90, 0x10000, v84
	s_delay_alu instid0(VALU_DEP_2) | instskip(NEXT) | instid1(VALU_DEP_2)
	v_cmp_eq_u32_e32 vcc_lo, 0, v87
	v_cndmask_b32_e32 v87, v90, v84, vcc_lo
; %bb.40:
	s_or_b32 exec_lo, exec_lo, s3
	v_and_b32_e32 v84, 0x7f800000, v80
	s_delay_alu instid0(VALU_DEP_1) | instskip(SKIP_1) | instid1(SALU_CYCLE_1)
	v_cmp_ne_u32_e32 vcc_lo, 0x7f800000, v84
                                        ; implicit-def: $vgpr84
	s_and_saveexec_b32 s3, vcc_lo
	s_xor_b32 s3, exec_lo, s3
; %bb.41:
	v_bfe_u32 v84, v80, 16, 1
	s_delay_alu instid0(VALU_DEP_1)
	v_add3_u32 v84, v80, v84, 0x7fff
                                        ; implicit-def: $vgpr80
; %bb.42:
	s_and_not1_saveexec_b32 s3, s3
; %bb.43:
	v_and_b32_e32 v84, 0xffff, v80
	v_or_b32_e32 v90, 0x10000, v80
	s_delay_alu instid0(VALU_DEP_2) | instskip(NEXT) | instid1(VALU_DEP_2)
	v_cmp_eq_u32_e32 vcc_lo, 0, v84
	v_cndmask_b32_e32 v84, v90, v80, vcc_lo
; %bb.44:
	s_or_b32 exec_lo, exec_lo, s3
	s_load_b64 s[34:35], s[0:1], 0x94
	v_lshlrev_b32_e32 v91, 4, v74
	s_delay_alu instid0(VALU_DEP_2)
	v_perm_b32 v90, v84, v87, 0x7060302
	v_dual_mul_f32 v79, v82, v79 :: v_dual_lshlrev_b32 v80, 6, v65
	v_dual_mul_f32 v77, v82, v77 :: v_dual_lshlrev_b32 v92, 11, v66
	v_mul_f32_e32 v84, v82, v70
	v_perm_b32 v89, v88, v89, 0x7060302
	v_perm_b32 v88, v86, v85, 0x7060302
	;; [unrolled: 1-line block ×3, first 2 shown]
	v_mul_f32_e32 v70, v82, v81
	v_or3_b32 v76, v91, v92, v80
	v_dual_mul_f32 v78, v82, v78 :: v_dual_and_b32 v85, 0x7f800000, v84
	v_mul_f32_e32 v83, v82, v72
	v_mul_f32_e32 v81, v82, v71
	;; [unrolled: 1-line block ×3, first 2 shown]
	s_mov_b32 s3, exec_lo
	ds_store_b128 v76, v[87:90]
                                        ; implicit-def: $vgpr69
	v_cmpx_ne_u32_e32 0x7f800000, v85
	s_xor_b32 s3, exec_lo, s3
; %bb.45:
	v_bfe_u32 v69, v84, 16, 1
	s_delay_alu instid0(VALU_DEP_1)
	v_add3_u32 v69, v84, v69, 0x7fff
                                        ; implicit-def: $vgpr84
; %bb.46:
	s_and_not1_saveexec_b32 s3, s3
; %bb.47:
	v_and_b32_e32 v69, 0xffff, v84
	v_or_b32_e32 v71, 0x10000, v84
	s_delay_alu instid0(VALU_DEP_2) | instskip(NEXT) | instid1(VALU_DEP_2)
	v_cmp_eq_u32_e32 vcc_lo, 0, v69
	v_cndmask_b32_e32 v69, v71, v84, vcc_lo
; %bb.48:
	s_or_b32 exec_lo, exec_lo, s3
	v_and_b32_e32 v71, 0x7f800000, v72
	s_delay_alu instid0(VALU_DEP_1) | instskip(SKIP_1) | instid1(SALU_CYCLE_1)
	v_cmp_ne_u32_e32 vcc_lo, 0x7f800000, v71
                                        ; implicit-def: $vgpr71
	s_and_saveexec_b32 s3, vcc_lo
	s_xor_b32 s3, exec_lo, s3
; %bb.49:
	v_bfe_u32 v71, v72, 16, 1
	s_delay_alu instid0(VALU_DEP_1)
	v_add3_u32 v71, v72, v71, 0x7fff
                                        ; implicit-def: $vgpr72
; %bb.50:
	s_and_not1_saveexec_b32 s3, s3
; %bb.51:
	v_and_b32_e32 v71, 0xffff, v72
	v_or_b32_e32 v82, 0x10000, v72
	s_delay_alu instid0(VALU_DEP_2) | instskip(NEXT) | instid1(VALU_DEP_2)
	v_cmp_eq_u32_e32 vcc_lo, 0, v71
	v_cndmask_b32_e32 v71, v82, v72, vcc_lo
; %bb.52:
	s_or_b32 exec_lo, exec_lo, s3
	v_and_b32_e32 v72, 0x7f800000, v81
	s_delay_alu instid0(VALU_DEP_1) | instskip(SKIP_1) | instid1(SALU_CYCLE_1)
	v_cmp_ne_u32_e32 vcc_lo, 0x7f800000, v72
                                        ; implicit-def: $vgpr72
	s_and_saveexec_b32 s3, vcc_lo
	s_xor_b32 s3, exec_lo, s3
; %bb.53:
	v_bfe_u32 v72, v81, 16, 1
	s_delay_alu instid0(VALU_DEP_1)
	v_add3_u32 v72, v81, v72, 0x7fff
                                        ; implicit-def: $vgpr81
; %bb.54:
	s_and_not1_saveexec_b32 s3, s3
; %bb.55:
	v_and_b32_e32 v72, 0xffff, v81
	v_or_b32_e32 v82, 0x10000, v81
	s_delay_alu instid0(VALU_DEP_2) | instskip(NEXT) | instid1(VALU_DEP_2)
	v_cmp_eq_u32_e32 vcc_lo, 0, v72
	v_cndmask_b32_e32 v72, v82, v81, vcc_lo
; %bb.56:
	s_or_b32 exec_lo, exec_lo, s3
	v_and_b32_e32 v81, 0x7f800000, v83
	s_delay_alu instid0(VALU_DEP_1) | instskip(SKIP_1) | instid1(SALU_CYCLE_1)
	v_cmp_ne_u32_e32 vcc_lo, 0x7f800000, v81
                                        ; implicit-def: $vgpr81
	s_and_saveexec_b32 s3, vcc_lo
	s_xor_b32 s3, exec_lo, s3
; %bb.57:
	v_bfe_u32 v81, v83, 16, 1
	s_delay_alu instid0(VALU_DEP_1)
	v_add3_u32 v81, v83, v81, 0x7fff
                                        ; implicit-def: $vgpr83
; %bb.58:
	s_and_not1_saveexec_b32 s3, s3
; %bb.59:
	v_and_b32_e32 v81, 0xffff, v83
	v_or_b32_e32 v82, 0x10000, v83
	s_delay_alu instid0(VALU_DEP_2) | instskip(NEXT) | instid1(VALU_DEP_2)
	v_cmp_eq_u32_e32 vcc_lo, 0, v81
	v_cndmask_b32_e32 v81, v82, v83, vcc_lo
; %bb.60:
	s_or_b32 exec_lo, exec_lo, s3
	v_and_b32_e32 v82, 0x7f800000, v77
	s_delay_alu instid0(VALU_DEP_1) | instskip(SKIP_1) | instid1(SALU_CYCLE_1)
	v_cmp_ne_u32_e32 vcc_lo, 0x7f800000, v82
                                        ; implicit-def: $vgpr82
	s_and_saveexec_b32 s3, vcc_lo
	s_xor_b32 s3, exec_lo, s3
; %bb.61:
	v_bfe_u32 v82, v77, 16, 1
	s_delay_alu instid0(VALU_DEP_1)
	v_add3_u32 v82, v77, v82, 0x7fff
                                        ; implicit-def: $vgpr77
; %bb.62:
	s_and_not1_saveexec_b32 s3, s3
; %bb.63:
	v_and_b32_e32 v82, 0xffff, v77
	v_or_b32_e32 v83, 0x10000, v77
	s_delay_alu instid0(VALU_DEP_2) | instskip(NEXT) | instid1(VALU_DEP_2)
	v_cmp_eq_u32_e32 vcc_lo, 0, v82
	v_cndmask_b32_e32 v82, v83, v77, vcc_lo
; %bb.64:
	s_or_b32 exec_lo, exec_lo, s3
	v_and_b32_e32 v77, 0x7f800000, v78
	s_delay_alu instid0(VALU_DEP_1) | instskip(SKIP_1) | instid1(SALU_CYCLE_1)
	v_cmp_ne_u32_e32 vcc_lo, 0x7f800000, v77
                                        ; implicit-def: $vgpr77
	s_and_saveexec_b32 s3, vcc_lo
	s_xor_b32 s3, exec_lo, s3
; %bb.65:
	v_bfe_u32 v77, v78, 16, 1
	s_delay_alu instid0(VALU_DEP_1)
	v_add3_u32 v77, v78, v77, 0x7fff
                                        ; implicit-def: $vgpr78
; %bb.66:
	s_and_not1_saveexec_b32 s3, s3
; %bb.67:
	v_and_b32_e32 v77, 0xffff, v78
	v_or_b32_e32 v83, 0x10000, v78
	s_delay_alu instid0(VALU_DEP_2) | instskip(NEXT) | instid1(VALU_DEP_2)
	v_cmp_eq_u32_e32 vcc_lo, 0, v77
	v_cndmask_b32_e32 v77, v83, v78, vcc_lo
; %bb.68:
	s_or_b32 exec_lo, exec_lo, s3
	v_and_b32_e32 v78, 0x7f800000, v79
	s_delay_alu instid0(VALU_DEP_1) | instskip(SKIP_1) | instid1(SALU_CYCLE_1)
	v_cmp_ne_u32_e32 vcc_lo, 0x7f800000, v78
                                        ; implicit-def: $vgpr78
	s_and_saveexec_b32 s3, vcc_lo
	s_xor_b32 s3, exec_lo, s3
; %bb.69:
	v_bfe_u32 v78, v79, 16, 1
	s_delay_alu instid0(VALU_DEP_1)
	v_add3_u32 v78, v79, v78, 0x7fff
                                        ; implicit-def: $vgpr79
; %bb.70:
	s_and_not1_saveexec_b32 s3, s3
; %bb.71:
	v_and_b32_e32 v78, 0xffff, v79
	v_or_b32_e32 v83, 0x10000, v79
	s_delay_alu instid0(VALU_DEP_2) | instskip(NEXT) | instid1(VALU_DEP_2)
	v_cmp_eq_u32_e32 vcc_lo, 0, v78
	v_cndmask_b32_e32 v78, v83, v79, vcc_lo
; %bb.72:
	s_or_b32 exec_lo, exec_lo, s3
	v_and_b32_e32 v79, 0x7f800000, v70
	s_delay_alu instid0(VALU_DEP_1) | instskip(SKIP_1) | instid1(SALU_CYCLE_1)
	v_cmp_ne_u32_e32 vcc_lo, 0x7f800000, v79
                                        ; implicit-def: $vgpr79
	s_and_saveexec_b32 s3, vcc_lo
	s_xor_b32 s3, exec_lo, s3
; %bb.73:
	v_bfe_u32 v79, v70, 16, 1
	s_delay_alu instid0(VALU_DEP_1)
	v_add3_u32 v79, v70, v79, 0x7fff
                                        ; implicit-def: $vgpr70
; %bb.74:
	s_and_not1_saveexec_b32 s3, s3
; %bb.75:
	v_and_b32_e32 v79, 0xffff, v70
	v_or_b32_e32 v83, 0x10000, v70
	s_delay_alu instid0(VALU_DEP_2) | instskip(NEXT) | instid1(VALU_DEP_2)
	v_cmp_eq_u32_e32 vcc_lo, 0, v79
	v_cndmask_b32_e32 v79, v83, v70, vcc_lo
; %bb.76:
	s_or_b32 exec_lo, exec_lo, s3
	s_delay_alu instid0(VALU_DEP_1)
	v_perm_b32 v86, v79, v78, 0x7060302
	v_perm_b32 v85, v77, v82, 0x7060302
	v_perm_b32 v84, v81, v72, 0x7060302
	v_perm_b32 v83, v71, v69, 0x7060302
	v_lshl_or_b32 v82, v66, 11, v80
	ds_store_b128 v76, v[83:86] offset:1024
	s_waitcnt lgkmcnt(0)
	s_barrier
	buffer_gl0_inv
	ds_load_b128 v[69:72], v82
	ds_load_b128 v[83:86], v82 offset:16
	s_waitcnt lgkmcnt(1)
	v_lshrrev_b32_e32 v66, 16, v69
	s_waitcnt lgkmcnt(0)
	v_lshrrev_b32_e32 v91, 16, v83
	v_lshlrev_b32_e32 v78, 2, v74
	v_lshrrev_b32_e32 v95, 16, v70
	v_lshrrev_b32_e32 v98, 16, v84
	;; [unrolled: 1-line block ×4, first 2 shown]
	v_cmp_eq_u32_e32 vcc_lo, 1, v78
	v_lshrrev_b32_e32 v97, 16, v72
	v_lshrrev_b32_e32 v100, 16, v86
	v_cndmask_b32_e32 v87, v83, v91, vcc_lo
	v_or_b32_e32 v79, 1, v78
	v_cndmask_b32_e32 v81, v69, v66, vcc_lo
	v_cmp_eq_u32_e64 s4, 2, v78
	v_cmp_eq_u32_e64 s7, 3, v78
	;; [unrolled: 1-line block ×5, first 2 shown]
	v_cndmask_b32_e64 v81, v81, v70, s4
	v_cndmask_b32_e64 v87, v87, v84, s4
	v_cmp_eq_u32_e64 s8, 3, v79
	v_cndmask_b32_e64 v88, v69, v66, s3
	v_or_b32_e32 v77, 2, v78
	v_cndmask_b32_e64 v81, v81, v95, s7
	v_cndmask_b32_e64 v87, v87, v98, s7
	;; [unrolled: 1-line block ×4, first 2 shown]
	v_cmp_eq_u32_e64 s10, 5, v78
	v_cndmask_b32_e64 v81, v81, v71, s9
	v_cndmask_b32_e64 v87, v87, v85, s9
	v_cmp_eq_u32_e64 s11, 4, v79
	v_cndmask_b32_e64 v88, v88, v95, s8
	v_cmp_eq_u32_e64 s5, 1, v77
	v_cndmask_b32_e64 v89, v89, v84, s6
	v_cndmask_b32_e64 v81, v81, v96, s10
	v_cmp_eq_u32_e64 s12, 6, v78
	v_cndmask_b32_e64 v88, v88, v71, s11
	;; [unrolled: 3-line block ×3, first 2 shown]
	v_cndmask_b32_e64 v89, v89, v98, s8
	v_cndmask_b32_e64 v81, v81, v72, s12
	v_cmp_eq_u32_e64 s15, 7, v78
	v_cndmask_b32_e64 v88, v88, v96, s13
	v_cndmask_b32_e64 v87, v87, v86, s12
	v_cmp_eq_u32_e64 s16, 6, v79
	v_cmp_eq_u32_e64 s17, 2, v77
	v_cndmask_b32_e64 v89, v89, v85, s11
	v_cndmask_b32_e64 v101, v81, v97, s15
	;; [unrolled: 1-line block ×6, first 2 shown]
	v_cmp_eq_u32_e64 s18, 7, v79
	v_cmp_eq_u32_e64 s19, 3, v77
	;; [unrolled: 1-line block ×4, first 2 shown]
	v_cndmask_b32_e64 v87, v87, v84, s17
	v_cndmask_b32_e64 v103, v88, v97, s18
	;; [unrolled: 1-line block ×4, first 2 shown]
	v_or_b32_e32 v81, 3, v78
	v_cndmask_b32_e64 v93, v87, v98, s19
	v_cmp_eq_u32_e64 s24, 6, v77
	v_cndmask_b32_e64 v104, v88, v86, s16
	v_cndmask_b32_e64 v92, v89, v71, s20
	v_cmp_eq_u32_e64 s21, 1, v81
	ds_load_b128 v[87:90], v82 offset:1024
	v_cmp_eq_u32_e64 s23, 2, v81
	v_cmp_eq_u32_e64 s25, 3, v81
	v_cndmask_b32_e64 v105, v92, v96, s22
	v_cndmask_b32_e64 v66, v69, v66, s21
	;; [unrolled: 1-line block ×4, first 2 shown]
	ds_load_b128 v[91:94], v82 offset:1040
	v_cmp_eq_u32_e64 s26, 4, v81
	v_cndmask_b32_e64 v66, v66, v70, s23
	v_cmp_eq_u32_e64 s27, 7, v77
	v_cndmask_b32_e64 v70, v83, v84, s23
	v_cndmask_b32_e64 v84, v105, v72, s24
	v_cmp_eq_u32_e64 s28, 5, v81
	v_cndmask_b32_e64 v66, v66, v95, s25
	v_cmp_eq_u32_e64 s29, 6, v81
	v_cndmask_b32_e64 v70, v70, v98, s25
	v_cndmask_b32_e64 v69, v69, v99, s22
	;; [unrolled: 1-line block ×4, first 2 shown]
	s_waitcnt lgkmcnt(1)
	v_lshrrev_b32_e32 v95, 16, v87
	v_cndmask_b32_e64 v70, v70, v85, s26
	v_cndmask_b32_e64 v71, v84, v97, s27
	;; [unrolled: 1-line block ×4, first 2 shown]
	v_cndmask_b32_e32 v84, v87, v95, vcc_lo
	v_cndmask_b32_e64 v70, v70, v99, s28
	s_waitcnt lgkmcnt(0)
	v_lshrrev_b32_e32 v85, 16, v91
	v_lshrrev_b32_e32 v96, 16, v88
	v_cndmask_b32_e64 v98, v87, v95, s3
	v_cndmask_b32_e64 v84, v84, v88, s4
	;; [unrolled: 1-line block ×3, first 2 shown]
	v_cndmask_b32_e32 v99, v91, v85, vcc_lo
	v_cmp_eq_u32_e32 vcc_lo, 7, v81
	v_cndmask_b32_e64 v66, v66, v72, s29
	v_cndmask_b32_e64 v72, v84, v96, s7
	;; [unrolled: 1-line block ×3, first 2 shown]
	v_lshrrev_b32_e32 v98, 16, v92
	v_cndmask_b32_e32 v70, v70, v100, vcc_lo
	v_cndmask_b32_e64 v86, v99, v92, s4
	v_cndmask_b32_e64 v69, v69, v100, s27
	v_lshrrev_b32_e32 v100, 16, v93
	v_cndmask_b32_e64 v72, v72, v89, s9
	v_lshrrev_b32_e32 v99, 16, v89
	v_cndmask_b32_e64 v86, v86, v98, s7
	v_perm_b32 v71, v69, v71, 0x5040100
	v_cndmask_b32_e64 v84, v84, v96, s8
	s_delay_alu instid0(VALU_DEP_3) | instskip(NEXT) | instid1(VALU_DEP_2)
	v_cndmask_b32_e64 v86, v86, v93, s9
	v_cndmask_b32_e64 v84, v84, v89, s11
	s_delay_alu instid0(VALU_DEP_2) | instskip(NEXT) | instid1(VALU_DEP_1)
	v_cndmask_b32_e64 v86, v86, v100, s10
	v_cndmask_b32_e64 v69, v86, v94, s12
	;; [unrolled: 1-line block ×5, first 2 shown]
	s_delay_alu instid0(VALU_DEP_3) | instskip(NEXT) | instid1(VALU_DEP_3)
	v_cndmask_b32_e64 v86, v86, v88, s17
	v_cndmask_b32_e64 v87, v87, v88, s23
	s_delay_alu instid0(VALU_DEP_3) | instskip(NEXT) | instid1(VALU_DEP_3)
	v_cndmask_b32_e64 v88, v95, v92, s23
	v_cndmask_b32_e64 v86, v86, v96, s19
	;; [unrolled: 3-line block ×7, first 2 shown]
	s_delay_alu instid0(VALU_DEP_3) | instskip(SKIP_2) | instid1(VALU_DEP_2)
	v_cndmask_b32_e64 v88, v88, v94, s29
	v_cndmask_b32_e32 v66, v66, v97, vcc_lo
	v_cndmask_b32_e64 v97, v72, v99, s10
	v_perm_b32 v72, v70, v66, 0x5040100
	v_perm_b32 v70, v83, v103, 0x5040100
	v_cndmask_b32_e64 v103, v91, v85, s5
	v_cndmask_b32_e64 v85, v91, v85, s3
	;; [unrolled: 1-line block ×4, first 2 shown]
	v_lshrrev_b32_e32 v97, 16, v90
	v_cndmask_b32_e64 v91, v103, v92, s17
	v_cndmask_b32_e64 v85, v85, v92, s6
	;; [unrolled: 1-line block ×3, first 2 shown]
	s_mov_b32 s3, exec_lo
	v_cndmask_b32_e64 v83, v84, v97, s15
	v_cndmask_b32_e64 v91, v91, v98, s19
	;; [unrolled: 1-line block ×3, first 2 shown]
	v_lshrrev_b32_e32 v84, 16, v94
	v_cndmask_b32_e64 v66, v66, v97, s18
	v_cndmask_b32_e64 v90, v86, v97, s27
	;; [unrolled: 1-line block ×4, first 2 shown]
	v_dual_cndmask_b32 v86, v87, v97 :: v_dual_cndmask_b32 v87, v88, v84
	v_cndmask_b32_e64 v91, v69, v84, s15
	s_delay_alu instid0(VALU_DEP_4) | instskip(NEXT) | instid1(VALU_DEP_4)
	v_cndmask_b32_e64 v89, v89, v100, s22
	v_cndmask_b32_e64 v85, v85, v100, s13
	v_perm_b32 v69, v102, v101, 0x5040100
	v_perm_b32 v86, v87, v86, 0x5040100
	;; [unrolled: 1-line block ×3, first 2 shown]
	v_cndmask_b32_e64 v89, v89, v94, s24
	v_cndmask_b32_e64 v85, v85, v94, s16
	s_mul_i32 s8, s35, 5
	s_delay_alu instid0(VALU_DEP_2) | instskip(NEXT) | instid1(VALU_DEP_2)
	v_cndmask_b32_e64 v88, v89, v84, s27
	v_cndmask_b32_e64 v89, v85, v84, s18
	s_delay_alu instid0(VALU_DEP_2) | instskip(NEXT) | instid1(VALU_DEP_2)
	v_perm_b32 v85, v88, v90, 0x5040100
	v_perm_b32 v84, v89, v66, 0x5040100
	ds_store_b128 v76, v[69:72]
	ds_store_b128 v76, v[83:86] offset:1024
	v_cmpx_gt_u32_e32 5, v0
	s_cbranch_execz .LBB1810_78
; %bb.77:
	s_mul_i32 s4, s8, s30
	s_delay_alu instid0(SALU_CYCLE_1) | instskip(SKIP_1) | instid1(VALU_DEP_1)
	v_add3_u32 v69, s4, s31, v65
	s_load_b128 s[4:7], s[0:1], 0x58
	v_mad_u64_u32 v[65:66], null, v69, s34, s[14:15]
	s_delay_alu instid0(VALU_DEP_1) | instskip(NEXT) | instid1(VALU_DEP_1)
	v_ashrrev_i32_e32 v66, 31, v65
	v_lshlrev_b64 v[65:66], 2, v[65:66]
	s_waitcnt lgkmcnt(0)
	s_delay_alu instid0(VALU_DEP_1) | instskip(NEXT) | instid1(VALU_DEP_2)
	v_add_co_u32 v69, vcc_lo, s6, v65
	v_add_co_ci_u32_e32 v70, vcc_lo, s7, v66, vcc_lo
	v_add_co_u32 v65, vcc_lo, s4, v65
	v_add_co_ci_u32_e32 v66, vcc_lo, s5, v66, vcc_lo
	global_store_b32 v[69:70], v67, off
	global_store_b32 v[65:66], v68, off
.LBB1810_78:
	s_or_b32 exec_lo, exec_lo, s3
	s_waitcnt lgkmcnt(0)
	s_waitcnt_vscnt null, 0x0
	s_barrier
	buffer_gl0_inv
	ds_load_b128 v[83:86], v80
	ds_load_b128 v[87:90], v80 offset:16
	ds_load_b128 v[95:98], v80 offset:2064
	;; [unrolled: 1-line block ×3, first 2 shown]
	v_mov_b32_e32 v65, 0
	ds_load_b128 v[103:106], v80 offset:4112
	ds_load_b128 v[99:102], v80 offset:4096
	;; [unrolled: 1-line block ×4, first 2 shown]
	v_mov_b32_e32 v66, v65
	v_mov_b32_e32 v67, v65
	v_mov_b32_e32 v68, v65
	v_mov_b32_e32 v69, v65
	v_mov_b32_e32 v70, v65
	v_mov_b32_e32 v71, v65
	v_mov_b32_e32 v72, v65
	s_waitcnt lgkmcnt(6)
	s_delay_alu instid0(VALU_DEP_1)
	v_wmma_f32_16x16x16_bf16 v[65:72], v[41:48], v[83:90], v[65:72]
	ds_load_b128 v[45:48], v80 offset:8208
	ds_load_b128 v[41:44], v80 offset:8192
	s_waitcnt lgkmcnt(6)
	v_wmma_f32_16x16x16_bf16 v[65:72], v[33:40], v[91:98], v[65:72]
	ds_load_b128 v[37:40], v80 offset:10256
	ds_load_b128 v[33:36], v80 offset:10240
	s_waitcnt lgkmcnt(6)
	;; [unrolled: 4-line block ×4, first 2 shown]
	v_wmma_f32_16x16x16_bf16 v[65:72], v[1:8], v[41:48], v[65:72]
	s_waitcnt lgkmcnt(4)
	s_delay_alu instid0(VALU_DEP_1) | instskip(SKIP_1) | instid1(VALU_DEP_1)
	v_wmma_f32_16x16x16_bf16 v[65:72], v[9:16], v[33:40], v[65:72]
	s_waitcnt lgkmcnt(2)
	v_wmma_f32_16x16x16_bf16 v[65:72], v[57:64], v[25:32], v[65:72]
	s_waitcnt lgkmcnt(0)
	s_delay_alu instid0(VALU_DEP_1) | instskip(NEXT) | instid1(VALU_DEP_1)
	v_wmma_f32_16x16x16_bf16 v[65:72], v[49:56], v[17:24], v[65:72]
	v_and_b32_e32 v1, 0x7f800000, v65
	s_delay_alu instid0(VALU_DEP_1) | instskip(SKIP_1) | instid1(SALU_CYCLE_1)
	v_cmp_ne_u32_e32 vcc_lo, 0x7f800000, v1
                                        ; implicit-def: $vgpr1
	s_and_saveexec_b32 s3, vcc_lo
	s_xor_b32 s3, exec_lo, s3
; %bb.79:
	v_bfe_u32 v1, v65, 16, 1
	s_delay_alu instid0(VALU_DEP_1)
	v_add3_u32 v1, v65, v1, 0x7fff
; %bb.80:
	s_and_not1_saveexec_b32 s3, s3
; %bb.81:
	v_and_b32_e32 v1, 0xffff, v65
	v_or_b32_e32 v2, 0x10000, v65
	s_delay_alu instid0(VALU_DEP_2) | instskip(NEXT) | instid1(VALU_DEP_2)
	v_cmp_eq_u32_e32 vcc_lo, 0, v1
	v_cndmask_b32_e32 v1, v2, v65, vcc_lo
; %bb.82:
	s_or_b32 exec_lo, exec_lo, s3
	v_and_b32_e32 v2, 0x7f800000, v66
	s_delay_alu instid0(VALU_DEP_1) | instskip(SKIP_1) | instid1(SALU_CYCLE_1)
	v_cmp_ne_u32_e32 vcc_lo, 0x7f800000, v2
                                        ; implicit-def: $vgpr2
	s_and_saveexec_b32 s3, vcc_lo
	s_xor_b32 s3, exec_lo, s3
; %bb.83:
	v_bfe_u32 v2, v66, 16, 1
	s_delay_alu instid0(VALU_DEP_1)
	v_add3_u32 v2, v66, v2, 0x7fff
; %bb.84:
	s_and_not1_saveexec_b32 s3, s3
; %bb.85:
	v_and_b32_e32 v2, 0xffff, v66
	v_or_b32_e32 v3, 0x10000, v66
	s_delay_alu instid0(VALU_DEP_2) | instskip(NEXT) | instid1(VALU_DEP_2)
	v_cmp_eq_u32_e32 vcc_lo, 0, v2
	v_cndmask_b32_e32 v2, v3, v66, vcc_lo
; %bb.86:
	s_or_b32 exec_lo, exec_lo, s3
	v_and_b32_e32 v3, 0x7f800000, v67
	s_delay_alu instid0(VALU_DEP_1) | instskip(SKIP_1) | instid1(SALU_CYCLE_1)
	v_cmp_ne_u32_e32 vcc_lo, 0x7f800000, v3
                                        ; implicit-def: $vgpr3
	s_and_saveexec_b32 s3, vcc_lo
	s_xor_b32 s3, exec_lo, s3
; %bb.87:
	v_bfe_u32 v3, v67, 16, 1
	s_delay_alu instid0(VALU_DEP_1)
	v_add3_u32 v3, v67, v3, 0x7fff
; %bb.88:
	s_and_not1_saveexec_b32 s3, s3
; %bb.89:
	v_and_b32_e32 v3, 0xffff, v67
	v_or_b32_e32 v4, 0x10000, v67
	s_delay_alu instid0(VALU_DEP_2) | instskip(NEXT) | instid1(VALU_DEP_2)
	v_cmp_eq_u32_e32 vcc_lo, 0, v3
	v_cndmask_b32_e32 v3, v4, v67, vcc_lo
; %bb.90:
	s_or_b32 exec_lo, exec_lo, s3
	v_and_b32_e32 v4, 0x7f800000, v68
	s_delay_alu instid0(VALU_DEP_1) | instskip(SKIP_1) | instid1(SALU_CYCLE_1)
	v_cmp_ne_u32_e32 vcc_lo, 0x7f800000, v4
                                        ; implicit-def: $vgpr4
	s_and_saveexec_b32 s3, vcc_lo
	s_xor_b32 s3, exec_lo, s3
; %bb.91:
	v_bfe_u32 v4, v68, 16, 1
	s_delay_alu instid0(VALU_DEP_1)
	v_add3_u32 v4, v68, v4, 0x7fff
; %bb.92:
	s_and_not1_saveexec_b32 s3, s3
; %bb.93:
	v_and_b32_e32 v4, 0xffff, v68
	v_or_b32_e32 v5, 0x10000, v68
	s_delay_alu instid0(VALU_DEP_2) | instskip(NEXT) | instid1(VALU_DEP_2)
	v_cmp_eq_u32_e32 vcc_lo, 0, v4
	v_cndmask_b32_e32 v4, v5, v68, vcc_lo
; %bb.94:
	s_or_b32 exec_lo, exec_lo, s3
	v_and_b32_e32 v5, 0x7f800000, v69
	s_delay_alu instid0(VALU_DEP_1) | instskip(SKIP_1) | instid1(SALU_CYCLE_1)
	v_cmp_ne_u32_e32 vcc_lo, 0x7f800000, v5
                                        ; implicit-def: $vgpr5
	s_and_saveexec_b32 s3, vcc_lo
	s_xor_b32 s3, exec_lo, s3
; %bb.95:
	v_bfe_u32 v5, v69, 16, 1
	s_delay_alu instid0(VALU_DEP_1)
	v_add3_u32 v5, v69, v5, 0x7fff
; %bb.96:
	s_and_not1_saveexec_b32 s3, s3
; %bb.97:
	v_and_b32_e32 v5, 0xffff, v69
	v_or_b32_e32 v6, 0x10000, v69
	s_delay_alu instid0(VALU_DEP_2) | instskip(NEXT) | instid1(VALU_DEP_2)
	v_cmp_eq_u32_e32 vcc_lo, 0, v5
	v_cndmask_b32_e32 v5, v6, v69, vcc_lo
; %bb.98:
	s_or_b32 exec_lo, exec_lo, s3
	v_and_b32_e32 v6, 0x7f800000, v70
	s_delay_alu instid0(VALU_DEP_1) | instskip(SKIP_1) | instid1(SALU_CYCLE_1)
	v_cmp_ne_u32_e32 vcc_lo, 0x7f800000, v6
                                        ; implicit-def: $vgpr6
	s_and_saveexec_b32 s3, vcc_lo
	s_xor_b32 s3, exec_lo, s3
; %bb.99:
	v_bfe_u32 v6, v70, 16, 1
	s_delay_alu instid0(VALU_DEP_1)
	v_add3_u32 v6, v70, v6, 0x7fff
; %bb.100:
	s_and_not1_saveexec_b32 s3, s3
; %bb.101:
	v_and_b32_e32 v6, 0xffff, v70
	v_or_b32_e32 v7, 0x10000, v70
	s_delay_alu instid0(VALU_DEP_2) | instskip(NEXT) | instid1(VALU_DEP_2)
	v_cmp_eq_u32_e32 vcc_lo, 0, v6
	v_cndmask_b32_e32 v6, v7, v70, vcc_lo
; %bb.102:
	s_or_b32 exec_lo, exec_lo, s3
	v_and_b32_e32 v7, 0x7f800000, v71
	s_delay_alu instid0(VALU_DEP_1) | instskip(SKIP_1) | instid1(SALU_CYCLE_1)
	v_cmp_ne_u32_e32 vcc_lo, 0x7f800000, v7
                                        ; implicit-def: $vgpr7
	s_and_saveexec_b32 s3, vcc_lo
	s_xor_b32 s3, exec_lo, s3
; %bb.103:
	v_bfe_u32 v7, v71, 16, 1
	s_delay_alu instid0(VALU_DEP_1)
	v_add3_u32 v7, v71, v7, 0x7fff
; %bb.104:
	s_and_not1_saveexec_b32 s3, s3
; %bb.105:
	v_and_b32_e32 v7, 0xffff, v71
	v_or_b32_e32 v8, 0x10000, v71
	s_delay_alu instid0(VALU_DEP_2) | instskip(NEXT) | instid1(VALU_DEP_2)
	v_cmp_eq_u32_e32 vcc_lo, 0, v7
	v_cndmask_b32_e32 v7, v8, v71, vcc_lo
; %bb.106:
	s_or_b32 exec_lo, exec_lo, s3
	v_and_b32_e32 v8, 0x7f800000, v72
	s_delay_alu instid0(VALU_DEP_1) | instskip(SKIP_1) | instid1(SALU_CYCLE_1)
	v_cmp_ne_u32_e32 vcc_lo, 0x7f800000, v8
                                        ; implicit-def: $vgpr8
	s_and_saveexec_b32 s3, vcc_lo
	s_xor_b32 s3, exec_lo, s3
; %bb.107:
	v_bfe_u32 v8, v72, 16, 1
	s_delay_alu instid0(VALU_DEP_1)
	v_add3_u32 v8, v72, v8, 0x7fff
                                        ; implicit-def: $vgpr65_vgpr66_vgpr67_vgpr68_vgpr69_vgpr70_vgpr71_vgpr72
; %bb.108:
	s_and_not1_saveexec_b32 s3, s3
; %bb.109:
	v_and_b32_e32 v8, 0xffff, v72
	v_or_b32_e32 v9, 0x10000, v72
	s_delay_alu instid0(VALU_DEP_2) | instskip(NEXT) | instid1(VALU_DEP_2)
	v_cmp_eq_u32_e32 vcc_lo, 0, v8
	v_cndmask_b32_e32 v8, v9, v72, vcc_lo
; %bb.110:
	s_or_b32 exec_lo, exec_lo, s3
	s_delay_alu instid0(VALU_DEP_1)
	v_perm_b32 v7, v8, v7, 0x7060302
	v_perm_b32 v6, v6, v5, 0x7060302
	;; [unrolled: 1-line block ×4, first 2 shown]
	s_barrier
	buffer_gl0_inv
	v_cmp_eq_u32_e32 vcc_lo, 1, v78
	ds_store_b128 v76, v[4:7]
	s_waitcnt lgkmcnt(0)
	s_barrier
	buffer_gl0_inv
	ds_load_b128 v[1:4], v82
	ds_load_b128 v[5:8], v82 offset:16
	v_cmp_eq_u32_e64 s3, 1, v79
	v_cmp_eq_u32_e64 s4, 2, v78
	;; [unrolled: 1-line block ×5, first 2 shown]
	s_waitcnt lgkmcnt(1)
	v_lshrrev_b32_e32 v9, 16, v1
	s_waitcnt lgkmcnt(0)
	v_lshrrev_b32_e32 v13, 16, v5
	v_lshrrev_b32_e32 v10, 16, v2
	;; [unrolled: 1-line block ×4, first 2 shown]
	v_cndmask_b32_e64 v19, v1, v9, s3
	v_cndmask_b32_e32 v18, v5, v13, vcc_lo
	v_cndmask_b32_e64 v20, v5, v13, s3
	v_cndmask_b32_e32 v17, v1, v9, vcc_lo
	v_cmp_eq_u32_e32 vcc_lo, 2, v79
	v_lshrrev_b32_e32 v15, 16, v7
	v_cmp_eq_u32_e64 s3, 1, v77
	v_lshrrev_b32_e32 v12, 16, v4
	v_lshrrev_b32_e32 v16, 16, v8
	v_cndmask_b32_e32 v20, v20, v6, vcc_lo
	v_cndmask_b32_e64 v17, v17, v2, s4
	v_cndmask_b32_e32 v19, v19, v2, vcc_lo
	v_cndmask_b32_e64 v18, v18, v6, s4
	v_cmp_eq_u32_e32 vcc_lo, 4, v78
	v_cmp_eq_u32_e64 s4, 3, v79
	v_cndmask_b32_e64 v17, v17, v10, s5
	v_cndmask_b32_e64 v21, v1, v9, s3
	;; [unrolled: 1-line block ×5, first 2 shown]
	v_cndmask_b32_e32 v17, v17, v3, vcc_lo
	v_cndmask_b32_e64 v20, v20, v14, s4
	v_cndmask_b32_e32 v18, v18, v7, vcc_lo
	v_cmp_eq_u32_e32 vcc_lo, 4, v79
	v_cmp_eq_u32_e64 s4, 5, v79
	v_cmp_eq_u32_e64 s3, 2, v81
	v_cndmask_b32_e64 v21, v21, v2, s7
	v_cmp_eq_u32_e64 s5, 5, v78
	v_cndmask_b32_e32 v19, v19, v3, vcc_lo
	v_cndmask_b32_e32 v20, v20, v7, vcc_lo
	v_cmp_eq_u32_e32 vcc_lo, 6, v79
	s_delay_alu instid0(VALU_DEP_4) | instskip(NEXT) | instid1(VALU_DEP_4)
	v_cndmask_b32_e64 v17, v17, v11, s5
	v_cndmask_b32_e64 v19, v19, v11, s4
	s_delay_alu instid0(VALU_DEP_4) | instskip(SKIP_1) | instid1(VALU_DEP_3)
	v_cndmask_b32_e64 v20, v20, v15, s4
	v_cmp_eq_u32_e64 s4, 1, v81
	v_cndmask_b32_e32 v19, v19, v4, vcc_lo
	v_cndmask_b32_e64 v18, v18, v15, s5
	s_delay_alu instid0(VALU_DEP_3)
	v_cndmask_b32_e64 v1, v1, v9, s4
	v_cndmask_b32_e64 v5, v5, v13, s4
	v_cmp_eq_u32_e64 s4, 3, v77
	v_cndmask_b32_e64 v13, v22, v6, s7
	v_cmp_eq_u32_e64 s7, 3, v81
	v_cndmask_b32_e64 v1, v1, v2, s3
	v_cndmask_b32_e64 v2, v5, v6, s3
	v_cndmask_b32_e64 v9, v21, v10, s4
	v_cmp_eq_u32_e64 s3, 4, v77
	v_cndmask_b32_e64 v6, v13, v14, s4
	v_cndmask_b32_e64 v1, v1, v10, s7
	v_cmp_eq_u32_e64 s4, 4, v81
	v_cndmask_b32_e64 v2, v2, v14, s7
	v_cndmask_b32_e64 v5, v9, v3, s3
	;; [unrolled: 3-line block ×3, first 2 shown]
	v_cndmask_b32_e64 v2, v2, v7, s4
	v_cmp_eq_u32_e64 s3, 5, v81
	v_cmp_eq_u32_e64 s5, 6, v78
	v_cndmask_b32_e64 v5, v5, v11, s7
	v_cmp_eq_u32_e64 s4, 6, v77
	v_cndmask_b32_e64 v3, v6, v15, s7
	v_cndmask_b32_e64 v1, v1, v11, s3
	v_cmp_eq_u32_e64 s7, 6, v81
	v_cndmask_b32_e64 v2, v2, v15, s3
	v_cndmask_b32_e64 v17, v17, v4, s5
	v_cndmask_b32_e64 v18, v18, v8, s5
	v_cmp_eq_u32_e64 s5, 7, v78
	v_cndmask_b32_e64 v5, v5, v4, s4
	;; [unrolled: 4-line block ×3, first 2 shown]
	v_cmp_eq_u32_e64 s4, 7, v77
	v_cndmask_b32_e32 v4, v20, v8, vcc_lo
	v_cndmask_b32_e64 v17, v17, v12, s5
	v_cndmask_b32_e64 v19, v19, v12, s6
	;; [unrolled: 1-line block ×8, first 2 shown]
	s_mov_b32 s3, exec_lo
	v_perm_b32 v4, v2, v1, 0x5040100
	v_perm_b32 v3, v3, v5, 0x5040100
	;; [unrolled: 1-line block ×4, first 2 shown]
	ds_store_b128 v76, v[1:4]
	s_waitcnt lgkmcnt(0)
	s_barrier
	buffer_gl0_inv
	v_cmpx_gt_u32_e32 32, v0
	s_cbranch_execz .LBB1810_2
; %bb.111:
	s_load_b64 s[4:5], s[0:1], 0x68
	v_lshlrev_b32_e32 v0, 10, v0
	v_add_nc_u32_e32 v2, s31, v74
	v_lshlrev_b32_e32 v3, 4, v75
	s_lshl_b32 s0, s34, 7
	s_delay_alu instid0(SALU_CYCLE_1) | instskip(NEXT) | instid1(VALU_DEP_2)
	s_mul_i32 s1, s0, s30
	v_mul_lo_u32 v1, v2, s0
	s_delay_alu instid0(VALU_DEP_2) | instskip(SKIP_2) | instid1(SALU_CYCLE_1)
	v_and_or_b32 v0, 0x3800, v0, v3
	v_add_nc_u32_e32 v2, 2, v2
	s_mul_i32 s6, s1, s8
	s_ashr_i32 s7, s6, 31
	s_delay_alu instid0(VALU_DEP_2)
	v_lshl_or_b32 v7, v74, 6, v0
	s_lshl_b64 s[6:7], s[6:7], 1
	v_mul_lo_u32 v11, v2, s0
	v_ashrrev_i32_e32 v2, 31, v1
	ds_load_b128 v[3:6], v7
	ds_load_b128 v[7:10], v7 offset:128
	s_waitcnt lgkmcnt(0)
	s_add_u32 s1, s4, s6
	s_addc_u32 s3, s5, s7
	s_lshl_b32 s4, s14, 7
	v_ashrrev_i32_e32 v12, 31, v11
	s_ashr_i32 s5, s4, 31
	v_lshlrev_b64 v[13:14], 1, v[1:2]
	s_lshl_b64 s[4:5], s[4:5], 1
	s_delay_alu instid0(SALU_CYCLE_1) | instskip(SKIP_2) | instid1(VALU_DEP_1)
	s_add_u32 s1, s1, s4
	s_addc_u32 s3, s3, s5
	v_add_co_u32 v1, s1, s1, v73
	v_add_co_ci_u32_e64 v2, null, s3, 0, s1
	v_lshlrev_b64 v[11:12], 1, v[11:12]
	s_delay_alu instid0(VALU_DEP_3) | instskip(NEXT) | instid1(VALU_DEP_3)
	v_add_co_u32 v13, vcc_lo, v1, v13
	v_add_co_ci_u32_e32 v14, vcc_lo, v2, v14, vcc_lo
	s_delay_alu instid0(VALU_DEP_3) | instskip(NEXT) | instid1(VALU_DEP_4)
	v_add_co_u32 v11, vcc_lo, v1, v11
	v_add_co_ci_u32_e32 v12, vcc_lo, v2, v12, vcc_lo
	s_clause 0x1
	global_store_b128 v[13:14], v[3:6], off
	global_store_b128 v[11:12], v[7:10], off
	s_and_b32 exec_lo, exec_lo, s2
	s_cbranch_execz .LBB1810_2
; %bb.112:
	ds_load_b128 v[3:6], v0 offset:256
	s_add_i32 s1, s31, 4
	s_delay_alu instid0(SALU_CYCLE_1) | instskip(NEXT) | instid1(SALU_CYCLE_1)
	s_mul_i32 s0, s1, s0
	s_ashr_i32 s1, s0, 31
	s_delay_alu instid0(SALU_CYCLE_1) | instskip(NEXT) | instid1(SALU_CYCLE_1)
	s_lshl_b64 s[0:1], s[0:1], 1
	v_add_co_u32 v0, vcc_lo, v1, s0
	v_add_co_ci_u32_e32 v1, vcc_lo, s1, v2, vcc_lo
	s_waitcnt lgkmcnt(0)
	global_store_b128 v[0:1], v[3:6], off
	s_nop 0
	s_sendmsg sendmsg(MSG_DEALLOC_VGPRS)
	s_endpgm
	.section	.rodata,"a",@progbits
	.p2align	6, 0x0
	.amdhsa_kernel _Z39paged_attention_ll4mi_QKV_mfma16_kernelI14__hip_bfloat16hLN4vllm18Fp8KVCacheDataTypeE1EhLi16ELi128ELi256ELb0ELi5EL8MFMAType0EEvPKT_PKT0_S9_ifPKiSB_SB_iPKfiiiPfSE_PS4_PT2_iSD_SD_
		.amdhsa_group_segment_fixed_size 17472
		.amdhsa_private_segment_fixed_size 0
		.amdhsa_kernarg_size 400
		.amdhsa_user_sgpr_count 13
		.amdhsa_user_sgpr_dispatch_ptr 0
		.amdhsa_user_sgpr_queue_ptr 0
		.amdhsa_user_sgpr_kernarg_segment_ptr 1
		.amdhsa_user_sgpr_dispatch_id 0
		.amdhsa_user_sgpr_private_segment_size 0
		.amdhsa_wavefront_size32 1
		.amdhsa_uses_dynamic_stack 0
		.amdhsa_enable_private_segment 0
		.amdhsa_system_sgpr_workgroup_id_x 1
		.amdhsa_system_sgpr_workgroup_id_y 1
		.amdhsa_system_sgpr_workgroup_id_z 1
		.amdhsa_system_sgpr_workgroup_info 0
		.amdhsa_system_vgpr_workitem_id 0
		.amdhsa_next_free_vgpr 140
		.amdhsa_next_free_sgpr 36
		.amdhsa_reserve_vcc 1
		.amdhsa_float_round_mode_32 0
		.amdhsa_float_round_mode_16_64 0
		.amdhsa_float_denorm_mode_32 3
		.amdhsa_float_denorm_mode_16_64 3
		.amdhsa_dx10_clamp 1
		.amdhsa_ieee_mode 1
		.amdhsa_fp16_overflow 0
		.amdhsa_workgroup_processor_mode 1
		.amdhsa_memory_ordered 1
		.amdhsa_forward_progress 0
		.amdhsa_shared_vgpr_count 0
		.amdhsa_exception_fp_ieee_invalid_op 0
		.amdhsa_exception_fp_denorm_src 0
		.amdhsa_exception_fp_ieee_div_zero 0
		.amdhsa_exception_fp_ieee_overflow 0
		.amdhsa_exception_fp_ieee_underflow 0
		.amdhsa_exception_fp_ieee_inexact 0
		.amdhsa_exception_int_div_zero 0
	.end_amdhsa_kernel
	.section	.text._Z39paged_attention_ll4mi_QKV_mfma16_kernelI14__hip_bfloat16hLN4vllm18Fp8KVCacheDataTypeE1EhLi16ELi128ELi256ELb0ELi5EL8MFMAType0EEvPKT_PKT0_S9_ifPKiSB_SB_iPKfiiiPfSE_PS4_PT2_iSD_SD_,"axG",@progbits,_Z39paged_attention_ll4mi_QKV_mfma16_kernelI14__hip_bfloat16hLN4vllm18Fp8KVCacheDataTypeE1EhLi16ELi128ELi256ELb0ELi5EL8MFMAType0EEvPKT_PKT0_S9_ifPKiSB_SB_iPKfiiiPfSE_PS4_PT2_iSD_SD_,comdat
.Lfunc_end1810:
	.size	_Z39paged_attention_ll4mi_QKV_mfma16_kernelI14__hip_bfloat16hLN4vllm18Fp8KVCacheDataTypeE1EhLi16ELi128ELi256ELb0ELi5EL8MFMAType0EEvPKT_PKT0_S9_ifPKiSB_SB_iPKfiiiPfSE_PS4_PT2_iSD_SD_, .Lfunc_end1810-_Z39paged_attention_ll4mi_QKV_mfma16_kernelI14__hip_bfloat16hLN4vllm18Fp8KVCacheDataTypeE1EhLi16ELi128ELi256ELb0ELi5EL8MFMAType0EEvPKT_PKT0_S9_ifPKiSB_SB_iPKfiiiPfSE_PS4_PT2_iSD_SD_
                                        ; -- End function
	.section	.AMDGPU.csdata,"",@progbits
; Kernel info:
; codeLenInByte = 8904
; NumSgprs: 38
; NumVgprs: 140
; ScratchSize: 0
; MemoryBound: 0
; FloatMode: 240
; IeeeMode: 1
; LDSByteSize: 17472 bytes/workgroup (compile time only)
; SGPRBlocks: 4
; VGPRBlocks: 17
; NumSGPRsForWavesPerEU: 38
; NumVGPRsForWavesPerEU: 140
; Occupancy: 10
; WaveLimiterHint : 1
; COMPUTE_PGM_RSRC2:SCRATCH_EN: 0
; COMPUTE_PGM_RSRC2:USER_SGPR: 13
; COMPUTE_PGM_RSRC2:TRAP_HANDLER: 0
; COMPUTE_PGM_RSRC2:TGID_X_EN: 1
; COMPUTE_PGM_RSRC2:TGID_Y_EN: 1
; COMPUTE_PGM_RSRC2:TGID_Z_EN: 1
; COMPUTE_PGM_RSRC2:TIDIG_COMP_CNT: 0
	.section	.text._Z39paged_attention_ll4mi_QKV_mfma16_kernelI14__hip_bfloat16hLN4vllm18Fp8KVCacheDataTypeE1EhLi16ELi128ELi256ELb0ELi6EL8MFMAType0EEvPKT_PKT0_S9_ifPKiSB_SB_iPKfiiiPfSE_PS4_PT2_iSD_SD_,"axG",@progbits,_Z39paged_attention_ll4mi_QKV_mfma16_kernelI14__hip_bfloat16hLN4vllm18Fp8KVCacheDataTypeE1EhLi16ELi128ELi256ELb0ELi6EL8MFMAType0EEvPKT_PKT0_S9_ifPKiSB_SB_iPKfiiiPfSE_PS4_PT2_iSD_SD_,comdat
	.protected	_Z39paged_attention_ll4mi_QKV_mfma16_kernelI14__hip_bfloat16hLN4vllm18Fp8KVCacheDataTypeE1EhLi16ELi128ELi256ELb0ELi6EL8MFMAType0EEvPKT_PKT0_S9_ifPKiSB_SB_iPKfiiiPfSE_PS4_PT2_iSD_SD_ ; -- Begin function _Z39paged_attention_ll4mi_QKV_mfma16_kernelI14__hip_bfloat16hLN4vllm18Fp8KVCacheDataTypeE1EhLi16ELi128ELi256ELb0ELi6EL8MFMAType0EEvPKT_PKT0_S9_ifPKiSB_SB_iPKfiiiPfSE_PS4_PT2_iSD_SD_
	.globl	_Z39paged_attention_ll4mi_QKV_mfma16_kernelI14__hip_bfloat16hLN4vllm18Fp8KVCacheDataTypeE1EhLi16ELi128ELi256ELb0ELi6EL8MFMAType0EEvPKT_PKT0_S9_ifPKiSB_SB_iPKfiiiPfSE_PS4_PT2_iSD_SD_
	.p2align	8
	.type	_Z39paged_attention_ll4mi_QKV_mfma16_kernelI14__hip_bfloat16hLN4vllm18Fp8KVCacheDataTypeE1EhLi16ELi128ELi256ELb0ELi6EL8MFMAType0EEvPKT_PKT0_S9_ifPKiSB_SB_iPKfiiiPfSE_PS4_PT2_iSD_SD_,@function
_Z39paged_attention_ll4mi_QKV_mfma16_kernelI14__hip_bfloat16hLN4vllm18Fp8KVCacheDataTypeE1EhLi16ELi128ELi256ELb0ELi6EL8MFMAType0EEvPKT_PKT0_S9_ifPKiSB_SB_iPKfiiiPfSE_PS4_PT2_iSD_SD_: ; @_Z39paged_attention_ll4mi_QKV_mfma16_kernelI14__hip_bfloat16hLN4vllm18Fp8KVCacheDataTypeE1EhLi16ELi128ELi256ELb0ELi6EL8MFMAType0EEvPKT_PKT0_S9_ifPKiSB_SB_iPKfiiiPfSE_PS4_PT2_iSD_SD_
; %bb.0:
	s_load_b64 s[4:5], s[0:1], 0x30
	s_mov_b32 s30, s13
	s_waitcnt lgkmcnt(0)
	s_cmp_lg_u64 s[4:5], 0
	s_cselect_b32 s13, -1, 0
	s_ashr_i32 s31, s30, 31
	s_cmp_eq_u64 s[4:5], 0
	s_cbranch_scc1 .LBB1811_3
; %bb.1:
	s_lshl_b64 s[2:3], s[30:31], 2
	s_delay_alu instid0(SALU_CYCLE_1) | instskip(SKIP_4) | instid1(SALU_CYCLE_1)
	s_add_u32 s2, s4, s2
	s_addc_u32 s3, s5, s3
	s_load_b64 s[2:3], s[2:3], 0x0
	s_waitcnt lgkmcnt(0)
	s_sub_i32 s2, s3, s2
	s_cmp_eq_u32 s2, 1
	s_cselect_b32 s2, -1, 0
	s_delay_alu instid0(SALU_CYCLE_1)
	s_and_not1_b32 vcc_lo, exec_lo, s2
	s_cbranch_vccz .LBB1811_4
.LBB1811_2:
	s_endpgm
.LBB1811_3:
.LBB1811_4:
	s_load_b64 s[2:3], s[0:1], 0x28
	s_lshl_b64 s[6:7], s[30:31], 2
	s_waitcnt lgkmcnt(0)
	s_add_u32 s2, s2, s6
	s_addc_u32 s3, s3, s7
	s_lshl_b32 s12, s14, 8
	s_load_b32 s17, s[2:3], 0x0
	s_waitcnt lgkmcnt(0)
	s_cmp_ge_i32 s12, s17
	s_cbranch_scc1 .LBB1811_2
; %bb.5:
	s_clause 0x1
	s_load_b128 s[8:11], s[0:1], 0x8
	s_load_b64 s[2:3], s[0:1], 0x20
	s_and_not1_b32 vcc_lo, exec_lo, s13
	s_cbranch_vccnz .LBB1811_7
; %bb.6:
	s_add_u32 s4, s4, s6
	s_addc_u32 s5, s5, s7
	s_load_b32 s13, s[4:5], 0x0
	s_branch .LBB1811_8
.LBB1811_7:
	s_mov_b32 s13, s30
.LBB1811_8:
	s_load_b128 s[4:7], s[0:1], 0x48
	v_and_b32_e32 v65, 15, v0
	v_lshrrev_b32_e32 v66, 5, v0
	v_and_b32_e32 v67, 31, v0
	v_and_b32_e32 v75, 1, v0
	v_bfe_u32 v74, v0, 4, 1
	v_lshlrev_b32_e32 v1, 3, v65
	s_mul_i32 s29, s15, 6
	s_waitcnt lgkmcnt(0)
	s_mov_b32 s7, exec_lo
	s_delay_alu instid0(VALU_DEP_1)
	v_lshlrev_b32_e32 v73, 1, v1
	v_cmpx_gt_u32_e32 0x60, v0
	s_cbranch_execz .LBB1811_10
; %bb.9:
	s_load_b64 s[18:19], s[0:1], 0x0
	v_lshl_or_b32 v5, v66, 1, v74
	s_mul_hi_i32 s21, s13, s4
	s_mul_i32 s20, s13, s4
	v_lshlrev_b32_e32 v6, 10, v65
	s_lshl_b64 s[20:21], s[20:21], 1
	v_add_lshl_u32 v1, v5, s29, 7
	v_lshlrev_b32_e32 v5, 6, v5
	v_lshlrev_b32_e32 v7, 10, v75
	v_and_b32_e32 v6, 0x3800, v6
	s_delay_alu instid0(VALU_DEP_4) | instskip(NEXT) | instid1(VALU_DEP_2)
	v_ashrrev_i32_e32 v2, 31, v1
	v_or3_b32 v5, v6, v7, v5
	s_delay_alu instid0(VALU_DEP_2) | instskip(SKIP_3) | instid1(VALU_DEP_1)
	v_lshlrev_b64 v[1:2], 1, v[1:2]
	s_waitcnt lgkmcnt(0)
	s_add_u32 s4, s18, s20
	s_addc_u32 s13, s19, s21
	v_add_co_u32 v1, vcc_lo, s4, v1
	s_delay_alu instid0(VALU_DEP_2) | instskip(NEXT) | instid1(VALU_DEP_2)
	v_add_co_ci_u32_e32 v2, vcc_lo, s13, v2, vcc_lo
	v_add_co_u32 v1, vcc_lo, v1, v73
	s_delay_alu instid0(VALU_DEP_2)
	v_add_co_ci_u32_e32 v2, vcc_lo, 0, v2, vcc_lo
	global_load_b128 v[1:4], v[1:2], off
	s_waitcnt vmcnt(0)
	ds_store_b128 v5, v[1:4]
.LBB1811_10:
	s_or_b32 exec_lo, exec_lo, s7
	v_and_b32_e32 v1, 0xef, v0
	s_add_i32 s4, s17, 15
	s_clause 0x1
	s_load_b32 s7, s[0:1], 0x38
	s_load_b32 s18, s[0:1], 0x1c
	s_ashr_i32 s13, s4, 31
	v_add_nc_u32_e32 v2, s12, v1
	s_lshr_b32 s13, s13, 28
	s_waitcnt lgkmcnt(0)
	s_add_i32 s4, s4, s13
	s_barrier
	v_ashrrev_i32_e32 v1, 31, v2
	s_ashr_i32 s4, s4, 4
	v_cmp_gt_i32_e32 vcc_lo, s17, v2
	s_add_i32 s4, s4, -1
	buffer_gl0_inv
	v_lshrrev_b32_e32 v3, 28, v1
	v_or_b32_e32 v1, 16, v2
	s_mul_i32 s15, s15, s6
	s_delay_alu instid0(VALU_DEP_2) | instskip(SKIP_1) | instid1(SALU_CYCLE_1)
	v_add_nc_u32_e32 v4, v2, v3
	s_mul_i32 s20, s30, s7
	s_ashr_i32 s21, s20, 31
	s_delay_alu instid0(VALU_DEP_1) | instskip(SKIP_2) | instid1(SALU_CYCLE_1)
	v_ashrrev_i32_e32 v4, 4, v4
	v_add_nc_u32_e32 v3, v1, v3
	s_lshl_b64 s[20:21], s[20:21], 2
	s_add_u32 s2, s2, s20
	s_delay_alu instid0(VALU_DEP_2) | instskip(NEXT) | instid1(VALU_DEP_2)
	v_cndmask_b32_e32 v2, s4, v4, vcc_lo
	v_ashrrev_i32_e32 v3, 4, v3
	v_cmp_gt_i32_e32 vcc_lo, s17, v1
	s_addc_u32 s3, s3, s21
	s_ashr_i32 s6, s15, 31
	s_add_u32 s7, s8, s15
	s_addc_u32 s13, s9, s6
	v_cndmask_b32_e32 v4, s4, v3, vcc_lo
	v_ashrrev_i32_e32 v3, 31, v2
	s_lshl_b32 s8, s14, 4
	s_delay_alu instid0(SALU_CYCLE_1) | instskip(NEXT) | instid1(VALU_DEP_2)
	s_ashr_i32 s9, s8, 31
	v_ashrrev_i32_e32 v5, 31, v4
	s_delay_alu instid0(VALU_DEP_2) | instskip(SKIP_1) | instid1(SALU_CYCLE_1)
	v_lshlrev_b64 v[1:2], 2, v[2:3]
	s_lshl_b64 s[8:9], s[8:9], 2
	s_add_u32 s8, s2, s8
	s_delay_alu instid0(VALU_DEP_2) | instskip(SKIP_1) | instid1(VALU_DEP_2)
	v_lshlrev_b64 v[3:4], 2, v[4:5]
	s_addc_u32 s9, s3, s9
	v_add_co_u32 v1, vcc_lo, s2, v1
	v_add_co_ci_u32_e32 v2, vcc_lo, s3, v2, vcc_lo
	s_delay_alu instid0(VALU_DEP_3) | instskip(NEXT) | instid1(VALU_DEP_4)
	v_add_co_u32 v3, vcc_lo, s2, v3
	v_add_co_ci_u32_e32 v4, vcc_lo, s3, v4, vcc_lo
	s_clause 0x1
	global_load_b32 v5, v[1:2], off
	global_load_b32 v3, v[3:4], off
	v_lshlrev_b32_e32 v1, 4, v0
	s_or_b32 s16, s12, 32
	s_delay_alu instid0(SALU_CYCLE_1) | instskip(SKIP_1) | instid1(VALU_DEP_1)
	s_ashr_i32 s19, s16, 4
	s_cmp_lt_i32 s16, s17
	v_and_b32_e32 v1, 0xf0, v1
	s_cselect_b32 s20, s19, s4
	s_delay_alu instid0(SALU_CYCLE_1) | instskip(NEXT) | instid1(SALU_CYCLE_1)
	s_ashr_i32 s21, s20, 31
	s_lshl_b64 s[20:21], s[20:21], 2
	s_delay_alu instid0(VALU_DEP_1)
	v_add_co_u32 v1, s7, s7, v1
	s_add_u32 s20, s2, s20
	s_addc_u32 s21, s3, s21
	s_or_b32 s16, s12, 64
	v_add_co_ci_u32_e64 v2, null, s13, 0, s7
	s_ashr_i32 s19, s16, 4
	s_cmp_lt_i32 s16, s17
	s_cselect_b32 s22, s19, s4
	s_delay_alu instid0(SALU_CYCLE_1) | instskip(NEXT) | instid1(SALU_CYCLE_1)
	s_ashr_i32 s23, s22, 31
	s_lshl_b64 s[22:23], s[22:23], 2
	s_delay_alu instid0(SALU_CYCLE_1) | instskip(SKIP_2) | instid1(SALU_CYCLE_1)
	s_add_u32 s22, s2, s22
	s_addc_u32 s23, s3, s23
	s_or_b32 s16, s12, 0x60
	s_ashr_i32 s19, s16, 4
	s_cmp_lt_i32 s16, s17
	s_cselect_b32 s24, s19, s4
	s_delay_alu instid0(SALU_CYCLE_1) | instskip(NEXT) | instid1(SALU_CYCLE_1)
	s_ashr_i32 s25, s24, 31
	s_lshl_b64 s[24:25], s[24:25], 2
	s_delay_alu instid0(SALU_CYCLE_1) | instskip(SKIP_2) | instid1(SALU_CYCLE_1)
	s_add_u32 s24, s2, s24
	s_addc_u32 s25, s3, s25
	s_or_b32 s16, s12, 0x80
	;; [unrolled: 10-line block ×3, first 2 shown]
	s_ashr_i32 s19, s16, 4
	s_cmp_lt_i32 s16, s17
	s_cselect_b32 s34, s19, s4
	s_delay_alu instid0(SALU_CYCLE_1) | instskip(NEXT) | instid1(SALU_CYCLE_1)
	s_ashr_i32 s35, s34, 31
	s_lshl_b64 s[34:35], s[34:35], 2
	s_delay_alu instid0(SALU_CYCLE_1)
	s_add_u32 s34, s2, s34
	s_addc_u32 s35, s3, s35
	s_clause 0x5
	s_load_b32 s7, s[8:9], 0x0
	s_load_b32 s13, s[20:21], 0x0
	s_load_b32 s16, s[22:23], 0x0
	s_load_b32 s19, s[24:25], 0x0
	s_load_b32 s28, s[26:27], 0x0
	s_load_b32 s31, s[34:35], 0x0
	s_or_b32 s8, s12, 0xc0
	s_mov_b32 s20, 0
	s_ashr_i32 s9, s8, 4
	s_cmp_lt_i32 s8, s17
	s_mov_b32 s27, s20
	s_cselect_b32 s8, s9, s4
	s_mov_b32 s21, s20
	s_ashr_i32 s9, s8, 31
	s_mov_b32 s22, s20
	s_lshl_b64 s[8:9], s[8:9], 2
	s_mov_b32 s23, s20
	s_mov_b32 s24, s20
	;; [unrolled: 1-line block ×4, first 2 shown]
	v_dual_mov_b32 v107, s27 :: v_dual_mov_b32 v104, s24
	s_add_u32 s8, s2, s8
	v_dual_mov_b32 v106, s26 :: v_dual_mov_b32 v105, s25
	v_dual_mov_b32 v101, s21 :: v_dual_mov_b32 v100, s20
	s_addc_u32 s9, s3, s9
	v_dual_mov_b32 v103, s23 :: v_dual_mov_b32 v102, s22
	s_or_b32 s20, s12, 0xe0
	s_delay_alu instid0(SALU_CYCLE_1) | instskip(SKIP_2) | instid1(SALU_CYCLE_1)
	s_ashr_i32 s21, s20, 4
	s_cmp_lt_i32 s20, s17
	s_cselect_b32 s20, s21, s4
	s_ashr_i32 s21, s20, 31
	s_delay_alu instid0(SALU_CYCLE_1) | instskip(NEXT) | instid1(SALU_CYCLE_1)
	s_lshl_b64 s[20:21], s[20:21], 2
	s_add_u32 s2, s2, s20
	s_addc_u32 s3, s3, s21
	s_waitcnt vmcnt(1)
	v_mad_i64_i32 v[25:26], null, v5, s5, v[1:2]
	s_waitcnt vmcnt(0)
	v_mad_i64_i32 v[27:28], null, v3, s5, v[1:2]
	s_clause 0xf
	global_load_b128 v[1:4], v[25:26], off
	global_load_b128 v[5:8], v[25:26], off offset:256
	global_load_b128 v[9:12], v[27:28], off
	global_load_b128 v[13:16], v[27:28], off offset:256
	global_load_b128 v[17:20], v[25:26], off offset:512
	;; [unrolled: 1-line block ×13, first 2 shown]
	v_mul_lo_u16 v25, v65, 43
	v_lshlrev_b32_e32 v26, 4, v65
	s_delay_alu instid0(VALU_DEP_2) | instskip(NEXT) | instid1(VALU_DEP_2)
	v_lshrrev_b16 v25, 8, v25
	v_lshl_or_b32 v33, v66, 8, v26
	s_delay_alu instid0(VALU_DEP_2) | instskip(NEXT) | instid1(VALU_DEP_1)
	v_mul_lo_u16 v25, v25, 6
	v_sub_nc_u16 v25, v65, v25
	s_delay_alu instid0(VALU_DEP_1) | instskip(NEXT) | instid1(VALU_DEP_1)
	v_and_b32_e32 v25, 0xff, v25
	v_lshlrev_b32_e32 v72, 6, v25
	ds_load_b128 v[25:28], v72
	ds_load_b128 v[29:32], v72 offset:1024
	ds_load_b128 v[108:111], v72 offset:2048
	;; [unrolled: 1-line block ×3, first 2 shown]
	s_load_b32 s4, s[8:9], 0x0
	ds_load_b128 v[116:119], v72 offset:4096
	ds_load_b128 v[120:123], v72 offset:5120
	s_load_b32 s2, s[2:3], 0x0
	s_add_u32 s8, s10, s15
	s_addc_u32 s6, s11, s6
	v_add_co_u32 v68, s8, s8, v33
	s_delay_alu instid0(VALU_DEP_1) | instskip(SKIP_1) | instid1(VALU_DEP_1)
	v_add_co_ci_u32_e64 v69, null, s6, 0, s8
	s_waitcnt lgkmcnt(0)
	v_mad_i64_i32 v[33:34], null, s7, s5, v[68:69]
	v_mad_i64_i32 v[70:71], null, s16, s5, v[68:69]
	;; [unrolled: 1-line block ×7, first 2 shown]
	s_clause 0x3
	global_load_b128 v[41:44], v[33:34], off
	global_load_b128 v[45:48], v[33:34], off offset:16
	global_load_b128 v[33:36], v[37:38], off
	global_load_b128 v[37:40], v[37:38], off offset:16
	s_waitcnt vmcnt(18)
	v_wmma_f32_16x16x16_bf16 v[124:131], v[1:8], v[25:32], v[100:107]
	s_waitcnt vmcnt(16)
	v_wmma_f32_16x16x16_bf16 v[100:107], v[9:16], v[25:32], v[100:107]
	s_clause 0x1
	global_load_b128 v[25:28], v[70:71], off
	global_load_b128 v[29:32], v[70:71], off offset:16
	s_waitcnt vmcnt(16)
	v_wmma_f32_16x16x16_bf16 v[124:131], v[17:24], v[108:115], v[124:131]
	s_clause 0x1
	global_load_b128 v[17:20], v[132:133], off
	global_load_b128 v[21:24], v[132:133], off offset:16
	s_waitcnt vmcnt(16)
	v_wmma_f32_16x16x16_bf16 v[100:107], v[49:56], v[108:115], v[100:107]
	v_mad_i64_i32 v[53:54], null, s2, s5, v[68:69]
	s_clause 0x3
	global_load_b128 v[1:4], v[134:135], off
	global_load_b128 v[5:8], v[134:135], off offset:16
	global_load_b128 v[9:12], v[136:137], off
	global_load_b128 v[13:16], v[136:137], off offset:16
	s_waitcnt vmcnt(18)
	v_wmma_f32_16x16x16_bf16 v[124:131], v[57:64], v[116:123], v[124:131]
	s_clause 0x3
	global_load_b128 v[57:60], v[138:139], off
	global_load_b128 v[61:64], v[138:139], off offset:16
	global_load_b128 v[49:52], v[53:54], off
	global_load_b128 v[53:56], v[53:54], off offset:16
	v_mbcnt_lo_u32_b32 v69, -1, 0
	s_waitcnt vmcnt(20)
	v_wmma_f32_16x16x16_bf16 v[100:107], v[76:83], v[116:123], v[100:107]
	s_delay_alu instid0(VALU_DEP_2) | instskip(NEXT) | instid1(VALU_DEP_1)
	v_xor_b32_e32 v70, 16, v69
	v_cmp_gt_i32_e32 vcc_lo, 32, v70
	v_cndmask_b32_e32 v69, v69, v70, vcc_lo
	ds_load_b128 v[76:79], v72 offset:6144
	ds_load_b128 v[80:83], v72 offset:7168
	s_waitcnt vmcnt(0) lgkmcnt(0)
	s_barrier
	buffer_gl0_inv
	v_wmma_f32_16x16x16_bf16 v[124:131], v[84:91], v[76:83], v[124:131]
	v_and_b32_e32 v68, 0xe0, v0
	v_wmma_f32_16x16x16_bf16 v[100:107], v[92:99], v[76:83], v[100:107]
	s_delay_alu instid0(VALU_DEP_2) | instskip(NEXT) | instid1(VALU_DEP_4)
	v_dual_mul_f32 v79, s18, v127 :: v_dual_add_nc_u32 v68, s12, v68
	v_mul_f32_e32 v81, s18, v129
	v_dual_mul_f32 v78, s18, v125 :: v_dual_mul_f32 v83, s18, v131
	s_delay_alu instid0(VALU_DEP_4) | instskip(NEXT) | instid1(VALU_DEP_4)
	v_dual_mul_f32 v80, s18, v126 :: v_dual_mul_f32 v95, s18, v103
	v_or_b32_e32 v68, v68, v74
	v_dual_mul_f32 v93, s18, v101 :: v_dual_mul_f32 v82, s18, v128
	v_dual_mul_f32 v97, s18, v105 :: v_dual_mul_f32 v92, s18, v130
	v_mul_f32_e32 v99, s18, v107
	s_delay_alu instid0(VALU_DEP_4)
	v_or_b32_e32 v70, 2, v68
	v_or_b32_e32 v71, 4, v68
	;; [unrolled: 1-line block ×3, first 2 shown]
	v_cmp_gt_i32_e64 s2, s17, v68
	v_or_b32_e32 v108, 8, v68
	v_cmp_gt_i32_e32 vcc_lo, s17, v70
	v_mul_f32_e32 v70, s18, v124
	v_or_b32_e32 v109, 10, v68
	v_cmp_gt_i32_e64 s3, s17, v71
	v_cmp_gt_i32_e64 s4, s17, v72
	v_cndmask_b32_e32 v78, 0xff7fffff, v78, vcc_lo
	v_cndmask_b32_e64 v70, 0xff7fffff, v70, s2
	v_or_b32_e32 v84, 12, v68
	v_or_b32_e32 v85, 14, v68
	v_cndmask_b32_e64 v71, 0xff7fffff, v80, s3
	v_cndmask_b32_e64 v72, 0xff7fffff, v79, s4
	v_max3_f32 v70, v70, 0xff7fffff, v78
	v_cmp_gt_i32_e64 s5, s17, v108
	v_cmp_gt_i32_e64 s6, s17, v109
	v_or_b32_e32 v86, 16, v68
	v_or_b32_e32 v87, 18, v68
	v_max3_f32 v70, v70, v71, v72
	v_cndmask_b32_e64 v78, 0xff7fffff, v82, s5
	v_cndmask_b32_e64 v79, 0xff7fffff, v81, s6
	v_cmp_gt_i32_e64 s7, s17, v84
	v_cmp_gt_i32_e64 s8, s17, v85
	v_or_b32_e32 v88, 20, v68
	v_or_b32_e32 v89, 22, v68
	v_mul_f32_e32 v94, s18, v100
	v_cndmask_b32_e64 v71, 0xff7fffff, v92, s7
	v_cndmask_b32_e64 v72, 0xff7fffff, v83, s8
	v_max3_f32 v70, v70, v78, v79
	v_cmp_gt_i32_e64 s9, s17, v86
	v_cmp_gt_i32_e64 s10, s17, v87
	v_or_b32_e32 v90, 24, v68
	v_or_b32_e32 v91, 26, v68
	v_mul_f32_e32 v96, s18, v102
	v_max3_f32 v70, v70, v71, v72
	v_cndmask_b32_e64 v79, 0xff7fffff, v93, s10
	v_cmp_gt_i32_e64 s11, s17, v88
	v_cmp_gt_i32_e64 s12, s17, v89
	v_lshlrev_b32_e32 v89, 2, v69
	v_cndmask_b32_e64 v78, 0xff7fffff, v94, s9
	v_or_b32_e32 v76, 28, v68
	v_or_b32_e32 v77, 30, v68
	v_mul_f32_e32 v98, s18, v104
	v_cndmask_b32_e64 v71, 0xff7fffff, v96, s11
	v_cndmask_b32_e64 v72, 0xff7fffff, v95, s12
	v_max3_f32 v70, v70, v78, v79
	v_cmp_gt_i32_e64 s13, s17, v90
	v_cmp_gt_i32_e64 s15, s17, v91
	v_mul_f32_e32 v68, s18, v106
	v_cmp_gt_i32_e64 s16, s17, v76
	v_max3_f32 v70, v70, v71, v72
	v_cndmask_b32_e64 v78, 0xff7fffff, v98, s13
	v_cndmask_b32_e64 v79, 0xff7fffff, v97, s15
	v_cmp_gt_i32_e64 s17, s17, v77
	v_cndmask_b32_e64 v68, 0xff7fffff, v68, s16
	s_delay_alu instid0(VALU_DEP_3) | instskip(NEXT) | instid1(VALU_DEP_3)
	v_max3_f32 v70, v70, v78, v79
	v_cndmask_b32_e64 v71, 0xff7fffff, v99, s17
	s_delay_alu instid0(VALU_DEP_1) | instskip(SKIP_3) | instid1(VALU_DEP_1)
	v_max3_f32 v68, v70, v68, v71
	ds_bpermute_b32 v69, v89, v68
	s_waitcnt lgkmcnt(0)
	v_max_f32_e32 v69, v69, v69
	v_max_f32_e32 v68, v68, v69
	s_delay_alu instid0(VALU_DEP_1) | instskip(NEXT) | instid1(VALU_DEP_1)
	v_fma_f32 v76, s18, v128, -v68
	v_mul_f32_e32 v77, 0x3fb8aa3b, v76
	v_fma_f32 v71, s18, v126, -v68
	v_fma_f32 v69, s18, v124, -v68
	;; [unrolled: 1-line block ×4, first 2 shown]
	v_exp_f32_e32 v77, v77
	v_mul_f32_e32 v71, 0x3fb8aa3b, v71
	v_mul_f32_e32 v69, 0x3fb8aa3b, v69
	v_fma_f32 v81, s18, v105, -v68
	v_fma_f32 v78, s18, v130, -v68
	s_delay_alu instid0(VALU_DEP_4) | instskip(NEXT) | instid1(VALU_DEP_3)
	v_exp_f32_e32 v71, v71
	v_exp_f32_e32 v69, v69
	s_delay_alu instid0(VALU_DEP_2) | instskip(NEXT) | instid1(TRANS32_DEP_3)
	v_mul_f32_e32 v81, 0x3fb8aa3b, v81
	v_cndmask_b32_e64 v86, 0, v77, s5
	v_fma_f32 v77, s18, v101, -v68
	s_delay_alu instid0(VALU_DEP_3) | instskip(NEXT) | instid1(TRANS32_DEP_3)
	v_exp_f32_e32 v81, v81
	v_cndmask_b32_e64 v83, 0, v71, s3
	v_fma_f32 v71, s18, v131, -v68
	v_mul_f32_e32 v72, 0x3fb8aa3b, v72
	s_delay_alu instid0(TRANS32_DEP_2) | instskip(SKIP_1) | instid1(VALU_DEP_4)
	v_cndmask_b32_e64 v80, 0, v69, s2
	v_fma_f32 v69, s18, v129, -v68
	v_dual_mul_f32 v70, 0x3fb8aa3b, v70 :: v_dual_mul_f32 v71, 0x3fb8aa3b, v71
	s_delay_alu instid0(VALU_DEP_4) | instskip(SKIP_1) | instid1(VALU_DEP_3)
	v_exp_f32_e32 v72, v72
	v_mul_f32_e32 v77, 0x3fb8aa3b, v77
	v_mul_f32_e32 v69, 0x3fb8aa3b, v69
	s_delay_alu instid0(VALU_DEP_3)
	v_exp_f32_e32 v70, v70
	v_exp_f32_e32 v71, v71
	s_mov_b32 s2, exec_lo
	v_exp_f32_e32 v77, v77
	v_exp_f32_e32 v69, v69
	v_cndmask_b32_e64 v85, 0, v72, s4
	v_fma_f32 v72, s18, v100, -v68
	v_cndmask_b32_e32 v76, 0, v70, vcc_lo
	s_delay_alu instid0(TRANS32_DEP_3) | instskip(SKIP_2) | instid1(TRANS32_DEP_1)
	v_cndmask_b32_e64 v88, 0, v71, s8
	v_fma_f32 v71, s18, v104, -v68
	v_add_f32_e32 v70, 0, v80
	v_cndmask_b32_e64 v87, 0, v69, s6
	s_delay_alu instid0(VALU_DEP_2) | instskip(NEXT) | instid1(VALU_DEP_1)
	v_dual_mul_f32 v71, 0x3fb8aa3b, v71 :: v_dual_add_f32 v70, v70, v76
	v_exp_f32_e32 v82, v71
	s_delay_alu instid0(VALU_DEP_1) | instskip(NEXT) | instid1(VALU_DEP_1)
	v_add_f32_e32 v70, v70, v83
	v_add_f32_e32 v70, v70, v85
	s_delay_alu instid0(VALU_DEP_1) | instskip(SKIP_1) | instid1(VALU_DEP_2)
	v_dual_mul_f32 v72, 0x3fb8aa3b, v72 :: v_dual_add_f32 v69, v70, v86
	v_fma_f32 v70, s18, v102, -v68
	v_exp_f32_e32 v72, v72
	s_delay_alu instid0(VALU_DEP_2) | instskip(NEXT) | instid1(VALU_DEP_2)
	v_dual_add_f32 v69, v69, v87 :: v_dual_mul_f32 v78, 0x3fb8aa3b, v78
	v_mul_f32_e32 v70, 0x3fb8aa3b, v70
	s_delay_alu instid0(VALU_DEP_2) | instskip(NEXT) | instid1(VALU_DEP_1)
	v_exp_f32_e32 v78, v78
	v_exp_f32_e32 v79, v70
	s_delay_alu instid0(TRANS32_DEP_3) | instskip(SKIP_4) | instid1(VALU_DEP_3)
	v_cndmask_b32_e64 v70, 0, v72, s9
	s_waitcnt_depctr 0xfff
	v_cndmask_b32_e64 v84, 0, v78, s7
	v_fma_f32 v78, s18, v103, -v68
	v_cndmask_b32_e64 v71, 0, v79, s11
	v_add_f32_e32 v69, v69, v84
	s_delay_alu instid0(VALU_DEP_1) | instskip(SKIP_2) | instid1(VALU_DEP_1)
	v_add_f32_e32 v72, v69, v88
	v_cndmask_b32_e64 v69, 0, v77, s10
	v_fma_f32 v77, s18, v106, -v68
	v_dual_add_f32 v72, v72, v70 :: v_dual_mul_f32 v77, 0x3fb8aa3b, v77
	s_delay_alu instid0(VALU_DEP_1) | instskip(NEXT) | instid1(VALU_DEP_2)
	v_add_f32_e32 v79, v72, v69
	v_exp_f32_e32 v90, v77
	v_cndmask_b32_e64 v77, 0, v82, s13
	v_mul_f32_e32 v78, 0x3fb8aa3b, v78
	s_delay_alu instid0(VALU_DEP_1) | instskip(SKIP_4) | instid1(VALU_DEP_1)
	v_exp_f32_e32 v78, v78
	s_waitcnt_depctr 0xfff
	v_cndmask_b32_e64 v72, 0, v78, s12
	v_add_f32_e32 v78, v79, v71
	v_fma_f32 v79, s18, v107, -v68
	v_dual_add_f32 v82, v78, v72 :: v_dual_mul_f32 v79, 0x3fb8aa3b, v79
	v_cndmask_b32_e64 v78, 0, v81, s15
	s_delay_alu instid0(VALU_DEP_2) | instskip(NEXT) | instid1(VALU_DEP_3)
	v_add_f32_e32 v81, v82, v77
	v_exp_f32_e32 v82, v79
	v_cndmask_b32_e64 v79, 0, v90, s16
	s_delay_alu instid0(VALU_DEP_2) | instskip(NEXT) | instid1(VALU_DEP_1)
	v_add_f32_e32 v81, v81, v78
	v_add_f32_e32 v90, v81, v79
	s_waitcnt_depctr 0xfff
	v_cndmask_b32_e64 v81, 0, v82, s17
	s_delay_alu instid0(VALU_DEP_1)
	v_add_f32_e32 v82, v90, v81
	ds_bpermute_b32 v89, v89, v82
	v_cmpx_gt_u32_e32 16, v67
	s_cbranch_execz .LBB1811_12
; %bb.11:
	v_mul_u32_u24_e32 v67, 0x44, v66
	s_delay_alu instid0(VALU_DEP_1) | instskip(SKIP_1) | instid1(VALU_DEP_1)
	v_lshl_add_u32 v67, v65, 2, v67
	s_waitcnt lgkmcnt(0)
	v_dual_add_f32 v82, v82, v89 :: v_dual_add_nc_u32 v67, 0x4000, v67
	ds_store_2addr_b32 v67, v68, v82 offset1:136
.LBB1811_12:
	s_or_b32 exec_lo, exec_lo, s2
	v_lshlrev_b32_e32 v67, 2, v65
	s_waitcnt lgkmcnt(0)
	s_barrier
	buffer_gl0_inv
	v_cmp_eq_u32_e32 vcc_lo, 1, v66
	v_add_nc_u32_e32 v82, 0x4000, v67
	v_cmp_eq_u32_e64 s2, 2, v66
	v_cmp_eq_u32_e64 s4, 7, v66
	ds_load_2addr_b32 v[89:90], v82 offset1:17
	ds_load_2addr_b32 v[91:92], v82 offset0:34 offset1:51
	ds_load_2addr_b32 v[93:94], v82 offset0:68 offset1:85
	;; [unrolled: 1-line block ×4, first 2 shown]
	s_waitcnt lgkmcnt(4)
	v_max3_f32 v67, v89, 0xff7fffff, v90
	s_waitcnt lgkmcnt(3)
	s_delay_alu instid0(VALU_DEP_1) | instskip(SKIP_1) | instid1(VALU_DEP_1)
	v_max3_f32 v67, v67, v91, v92
	s_waitcnt lgkmcnt(2)
	v_max3_f32 v67, v67, v93, v94
	s_waitcnt lgkmcnt(1)
	s_delay_alu instid0(VALU_DEP_1) | instskip(NEXT) | instid1(VALU_DEP_1)
	v_max3_f32 v67, v67, v95, v96
	v_sub_f32_e32 v93, v93, v67
	s_delay_alu instid0(VALU_DEP_1) | instskip(NEXT) | instid1(VALU_DEP_1)
	v_dual_sub_f32 v68, v89, v67 :: v_dual_mul_f32 v103, 0x3fb8aa3b, v93
	v_mul_f32_e32 v68, 0x3fb8aa3b, v68
	s_delay_alu instid0(VALU_DEP_1)
	v_exp_f32_e32 v100, v68
	v_sub_f32_e32 v68, v92, v67
	v_sub_f32_e32 v99, v90, v67
	ds_load_2addr_b32 v[89:90], v82 offset0:170 offset1:187
	v_dual_mul_f32 v102, 0x3fb8aa3b, v68 :: v_dual_mul_f32 v99, 0x3fb8aa3b, v99
	s_waitcnt lgkmcnt(1)
	v_fma_f32 v68, v100, v97, 0
	s_delay_alu instid0(VALU_DEP_2) | instskip(NEXT) | instid1(VALU_DEP_2)
	v_exp_f32_e32 v102, v102
	v_exp_f32_e32 v99, v99
	s_waitcnt_depctr 0xfff
	v_fmac_f32_e32 v68, v99, v98
	v_sub_f32_e32 v91, v91, v67
	s_delay_alu instid0(VALU_DEP_1)
	v_mul_f32_e32 v101, 0x3fb8aa3b, v91
	ds_load_2addr_b32 v[91:92], v82 offset0:204 offset1:221
	v_sub_f32_e32 v97, v94, v67
	ds_load_2addr_b32 v[93:94], v82 offset0:238 offset1:255
	s_waitcnt lgkmcnt(0)
	v_exp_f32_e32 v101, v101
	s_barrier
	buffer_gl0_inv
	v_dual_fmac_f32 v68, v101, v89 :: v_dual_sub_f32 v89, v96, v67
	v_dual_sub_f32 v82, v95, v67 :: v_dual_mul_f32 v95, 0x3fb8aa3b, v97
	v_exp_f32_e32 v97, v103
	s_delay_alu instid0(VALU_DEP_2) | instskip(NEXT) | instid1(VALU_DEP_2)
	v_dual_fmac_f32 v68, v102, v90 :: v_dual_mul_f32 v89, 0x3fb8aa3b, v89
	v_mul_f32_e32 v82, 0x3fb8aa3b, v82
	s_delay_alu instid0(VALU_DEP_3) | instskip(NEXT) | instid1(VALU_DEP_2)
	v_exp_f32_e32 v95, v95
	v_exp_f32_e32 v89, v89
	s_delay_alu instid0(VALU_DEP_1)
	v_exp_f32_e32 v82, v82
	v_fmac_f32_e32 v68, v97, v91
	s_delay_alu instid0(TRANS32_DEP_3) | instid1(VALU_DEP_1)
	v_fmac_f32_e32 v68, v95, v92
	s_waitcnt_depctr 0xfff
	v_fmac_f32_e32 v68, v82, v93
	s_delay_alu instid0(VALU_DEP_1) | instskip(NEXT) | instid1(VALU_DEP_1)
	v_fmac_f32_e32 v68, v89, v94
	v_add_f32_e32 v90, 0x358637bd, v68
	s_delay_alu instid0(VALU_DEP_1) | instskip(NEXT) | instid1(VALU_DEP_1)
	v_div_scale_f32 v91, null, v90, v90, 1.0
	v_rcp_f32_e32 v92, v91
	s_waitcnt_depctr 0xfff
	v_fma_f32 v93, -v91, v92, 1.0
	s_delay_alu instid0(VALU_DEP_1) | instskip(SKIP_1) | instid1(VALU_DEP_2)
	v_dual_fmac_f32 v92, v93, v92 :: v_dual_cndmask_b32 v93, v100, v99
	v_cmp_eq_u32_e32 vcc_lo, 3, v66
	v_cndmask_b32_e64 v93, v93, v101, s2
	v_cmp_eq_u32_e64 s2, 4, v66
	s_delay_alu instid0(VALU_DEP_2) | instskip(SKIP_1) | instid1(VALU_DEP_2)
	v_cndmask_b32_e32 v93, v93, v102, vcc_lo
	v_cmp_eq_u32_e32 vcc_lo, 5, v66
	v_cndmask_b32_e64 v93, v93, v97, s2
	v_cmp_eq_u32_e64 s2, 6, v66
	s_delay_alu instid0(VALU_DEP_2) | instskip(SKIP_1) | instid1(VALU_DEP_1)
	v_cndmask_b32_e32 v93, v93, v95, vcc_lo
	v_div_scale_f32 v94, s3, 1.0, v90, 1.0
	s_mov_b32 vcc_lo, s3
	s_delay_alu instid0(VALU_DEP_2) | instskip(NEXT) | instid1(VALU_DEP_2)
	v_cndmask_b32_e64 v82, v93, v82, s2
	v_mul_f32_e32 v96, v94, v92
	s_mov_b32 s2, exec_lo
	s_delay_alu instid0(VALU_DEP_2) | instskip(NEXT) | instid1(VALU_DEP_2)
	v_cndmask_b32_e64 v82, v82, v89, s4
	v_fma_f32 v98, -v91, v96, v94
	s_delay_alu instid0(VALU_DEP_1) | instskip(NEXT) | instid1(VALU_DEP_1)
	v_fmac_f32_e32 v96, v98, v92
	v_fma_f32 v91, -v91, v96, v94
	s_delay_alu instid0(VALU_DEP_1) | instskip(NEXT) | instid1(VALU_DEP_1)
	v_div_fmas_f32 v91, v91, v92, v96
	v_div_fixup_f32 v90, v91, v90, 1.0
	s_delay_alu instid0(VALU_DEP_1) | instskip(NEXT) | instid1(VALU_DEP_1)
	v_mul_f32_e32 v82, v82, v90
	v_mul_f32_e32 v87, v82, v87
	;; [unrolled: 1-line block ×7, first 2 shown]
	v_dual_mul_f32 v86, v82, v83 :: v_dual_and_b32 v91, 0x7f800000, v90
	v_mul_f32_e32 v85, v82, v76
                                        ; implicit-def: $vgpr76
	s_delay_alu instid0(VALU_DEP_2)
	v_cmpx_ne_u32_e32 0x7f800000, v91
	s_xor_b32 s2, exec_lo, s2
; %bb.13:
	v_bfe_u32 v76, v90, 16, 1
	s_delay_alu instid0(VALU_DEP_1)
	v_add3_u32 v76, v90, v76, 0x7fff
                                        ; implicit-def: $vgpr90
; %bb.14:
	s_and_not1_saveexec_b32 s2, s2
; %bb.15:
	v_and_b32_e32 v76, 0xffff, v90
	v_or_b32_e32 v83, 0x10000, v90
	s_delay_alu instid0(VALU_DEP_2) | instskip(NEXT) | instid1(VALU_DEP_2)
	v_cmp_eq_u32_e32 vcc_lo, 0, v76
	v_cndmask_b32_e32 v76, v83, v90, vcc_lo
; %bb.16:
	s_or_b32 exec_lo, exec_lo, s2
	v_and_b32_e32 v83, 0x7f800000, v85
	s_delay_alu instid0(VALU_DEP_1) | instskip(SKIP_1) | instid1(SALU_CYCLE_1)
	v_cmp_ne_u32_e32 vcc_lo, 0x7f800000, v83
                                        ; implicit-def: $vgpr83
	s_and_saveexec_b32 s2, vcc_lo
	s_xor_b32 s2, exec_lo, s2
; %bb.17:
	v_bfe_u32 v83, v85, 16, 1
	s_delay_alu instid0(VALU_DEP_1)
	v_add3_u32 v83, v85, v83, 0x7fff
                                        ; implicit-def: $vgpr85
; %bb.18:
	s_and_not1_saveexec_b32 s2, s2
; %bb.19:
	v_and_b32_e32 v83, 0xffff, v85
	v_or_b32_e32 v90, 0x10000, v85
	s_delay_alu instid0(VALU_DEP_2) | instskip(NEXT) | instid1(VALU_DEP_2)
	v_cmp_eq_u32_e32 vcc_lo, 0, v83
	v_cndmask_b32_e32 v83, v90, v85, vcc_lo
; %bb.20:
	s_or_b32 exec_lo, exec_lo, s2
	v_and_b32_e32 v85, 0x7f800000, v86
	s_delay_alu instid0(VALU_DEP_1) | instskip(SKIP_1) | instid1(SALU_CYCLE_1)
	v_cmp_ne_u32_e32 vcc_lo, 0x7f800000, v85
                                        ; implicit-def: $vgpr85
	s_and_saveexec_b32 s2, vcc_lo
	s_xor_b32 s2, exec_lo, s2
; %bb.21:
	v_bfe_u32 v85, v86, 16, 1
	s_delay_alu instid0(VALU_DEP_1)
	v_add3_u32 v85, v86, v85, 0x7fff
                                        ; implicit-def: $vgpr86
; %bb.22:
	s_and_not1_saveexec_b32 s2, s2
; %bb.23:
	v_and_b32_e32 v85, 0xffff, v86
	v_or_b32_e32 v90, 0x10000, v86
	s_delay_alu instid0(VALU_DEP_2) | instskip(NEXT) | instid1(VALU_DEP_2)
	v_cmp_eq_u32_e32 vcc_lo, 0, v85
	v_cndmask_b32_e32 v85, v90, v86, vcc_lo
; %bb.24:
	s_or_b32 exec_lo, exec_lo, s2
	v_and_b32_e32 v86, 0x7f800000, v89
	s_delay_alu instid0(VALU_DEP_1) | instskip(SKIP_1) | instid1(SALU_CYCLE_1)
	v_cmp_ne_u32_e32 vcc_lo, 0x7f800000, v86
                                        ; implicit-def: $vgpr86
	s_and_saveexec_b32 s2, vcc_lo
	s_xor_b32 s2, exec_lo, s2
; %bb.25:
	v_bfe_u32 v86, v89, 16, 1
	s_delay_alu instid0(VALU_DEP_1)
	v_add3_u32 v86, v89, v86, 0x7fff
                                        ; implicit-def: $vgpr89
; %bb.26:
	s_and_not1_saveexec_b32 s2, s2
; %bb.27:
	v_and_b32_e32 v86, 0xffff, v89
	v_or_b32_e32 v90, 0x10000, v89
	s_delay_alu instid0(VALU_DEP_2) | instskip(NEXT) | instid1(VALU_DEP_2)
	v_cmp_eq_u32_e32 vcc_lo, 0, v86
	v_cndmask_b32_e32 v86, v90, v89, vcc_lo
; %bb.28:
	s_or_b32 exec_lo, exec_lo, s2
	v_and_b32_e32 v89, 0x7f800000, v88
	s_delay_alu instid0(VALU_DEP_1) | instskip(SKIP_1) | instid1(SALU_CYCLE_1)
	v_cmp_ne_u32_e32 vcc_lo, 0x7f800000, v89
                                        ; implicit-def: $vgpr89
	s_and_saveexec_b32 s2, vcc_lo
	s_xor_b32 s2, exec_lo, s2
; %bb.29:
	v_bfe_u32 v89, v88, 16, 1
	s_delay_alu instid0(VALU_DEP_1)
	v_add3_u32 v89, v88, v89, 0x7fff
                                        ; implicit-def: $vgpr88
; %bb.30:
	s_and_not1_saveexec_b32 s2, s2
; %bb.31:
	v_and_b32_e32 v89, 0xffff, v88
	v_or_b32_e32 v90, 0x10000, v88
	s_delay_alu instid0(VALU_DEP_2) | instskip(NEXT) | instid1(VALU_DEP_2)
	v_cmp_eq_u32_e32 vcc_lo, 0, v89
	v_cndmask_b32_e32 v89, v90, v88, vcc_lo
; %bb.32:
	s_or_b32 exec_lo, exec_lo, s2
	v_and_b32_e32 v88, 0x7f800000, v87
	s_delay_alu instid0(VALU_DEP_1) | instskip(SKIP_1) | instid1(SALU_CYCLE_1)
	v_cmp_ne_u32_e32 vcc_lo, 0x7f800000, v88
                                        ; implicit-def: $vgpr88
	s_and_saveexec_b32 s2, vcc_lo
	s_xor_b32 s2, exec_lo, s2
; %bb.33:
	v_bfe_u32 v88, v87, 16, 1
	s_delay_alu instid0(VALU_DEP_1)
	v_add3_u32 v88, v87, v88, 0x7fff
                                        ; implicit-def: $vgpr87
; %bb.34:
	s_and_not1_saveexec_b32 s2, s2
; %bb.35:
	v_and_b32_e32 v88, 0xffff, v87
	v_or_b32_e32 v90, 0x10000, v87
	s_delay_alu instid0(VALU_DEP_2) | instskip(NEXT) | instid1(VALU_DEP_2)
	v_cmp_eq_u32_e32 vcc_lo, 0, v88
	v_cndmask_b32_e32 v88, v90, v87, vcc_lo
; %bb.36:
	s_or_b32 exec_lo, exec_lo, s2
	v_and_b32_e32 v87, 0x7f800000, v84
	s_delay_alu instid0(VALU_DEP_1) | instskip(SKIP_1) | instid1(SALU_CYCLE_1)
	v_cmp_ne_u32_e32 vcc_lo, 0x7f800000, v87
                                        ; implicit-def: $vgpr87
	s_and_saveexec_b32 s2, vcc_lo
	s_xor_b32 s2, exec_lo, s2
; %bb.37:
	v_bfe_u32 v87, v84, 16, 1
	s_delay_alu instid0(VALU_DEP_1)
	v_add3_u32 v87, v84, v87, 0x7fff
                                        ; implicit-def: $vgpr84
; %bb.38:
	s_and_not1_saveexec_b32 s2, s2
; %bb.39:
	v_and_b32_e32 v87, 0xffff, v84
	v_or_b32_e32 v90, 0x10000, v84
	s_delay_alu instid0(VALU_DEP_2) | instskip(NEXT) | instid1(VALU_DEP_2)
	v_cmp_eq_u32_e32 vcc_lo, 0, v87
	v_cndmask_b32_e32 v87, v90, v84, vcc_lo
; %bb.40:
	s_or_b32 exec_lo, exec_lo, s2
	v_and_b32_e32 v84, 0x7f800000, v80
	s_delay_alu instid0(VALU_DEP_1) | instskip(SKIP_1) | instid1(SALU_CYCLE_1)
	v_cmp_ne_u32_e32 vcc_lo, 0x7f800000, v84
                                        ; implicit-def: $vgpr84
	s_and_saveexec_b32 s2, vcc_lo
	s_xor_b32 s2, exec_lo, s2
; %bb.41:
	v_bfe_u32 v84, v80, 16, 1
	s_delay_alu instid0(VALU_DEP_1)
	v_add3_u32 v84, v80, v84, 0x7fff
                                        ; implicit-def: $vgpr80
; %bb.42:
	s_and_not1_saveexec_b32 s2, s2
; %bb.43:
	v_and_b32_e32 v84, 0xffff, v80
	v_or_b32_e32 v90, 0x10000, v80
	s_delay_alu instid0(VALU_DEP_2) | instskip(NEXT) | instid1(VALU_DEP_2)
	v_cmp_eq_u32_e32 vcc_lo, 0, v84
	v_cndmask_b32_e32 v84, v90, v80, vcc_lo
; %bb.44:
	s_or_b32 exec_lo, exec_lo, s2
	s_load_b64 s[34:35], s[0:1], 0x94
	v_lshlrev_b32_e32 v91, 4, v74
	s_delay_alu instid0(VALU_DEP_2)
	v_perm_b32 v90, v84, v87, 0x7060302
	v_dual_mul_f32 v79, v82, v79 :: v_dual_lshlrev_b32 v80, 6, v65
	v_dual_mul_f32 v77, v82, v77 :: v_dual_lshlrev_b32 v92, 11, v66
	v_mul_f32_e32 v84, v82, v70
	v_perm_b32 v89, v88, v89, 0x7060302
	v_perm_b32 v88, v86, v85, 0x7060302
	;; [unrolled: 1-line block ×3, first 2 shown]
	v_mul_f32_e32 v70, v82, v81
	v_or3_b32 v76, v91, v92, v80
	v_dual_mul_f32 v78, v82, v78 :: v_dual_and_b32 v85, 0x7f800000, v84
	v_mul_f32_e32 v83, v82, v72
	v_mul_f32_e32 v81, v82, v71
	;; [unrolled: 1-line block ×3, first 2 shown]
	s_mov_b32 s2, exec_lo
	ds_store_b128 v76, v[87:90]
                                        ; implicit-def: $vgpr69
	v_cmpx_ne_u32_e32 0x7f800000, v85
	s_xor_b32 s2, exec_lo, s2
; %bb.45:
	v_bfe_u32 v69, v84, 16, 1
	s_delay_alu instid0(VALU_DEP_1)
	v_add3_u32 v69, v84, v69, 0x7fff
                                        ; implicit-def: $vgpr84
; %bb.46:
	s_and_not1_saveexec_b32 s2, s2
; %bb.47:
	v_and_b32_e32 v69, 0xffff, v84
	v_or_b32_e32 v71, 0x10000, v84
	s_delay_alu instid0(VALU_DEP_2) | instskip(NEXT) | instid1(VALU_DEP_2)
	v_cmp_eq_u32_e32 vcc_lo, 0, v69
	v_cndmask_b32_e32 v69, v71, v84, vcc_lo
; %bb.48:
	s_or_b32 exec_lo, exec_lo, s2
	v_and_b32_e32 v71, 0x7f800000, v72
	s_delay_alu instid0(VALU_DEP_1) | instskip(SKIP_1) | instid1(SALU_CYCLE_1)
	v_cmp_ne_u32_e32 vcc_lo, 0x7f800000, v71
                                        ; implicit-def: $vgpr71
	s_and_saveexec_b32 s2, vcc_lo
	s_xor_b32 s2, exec_lo, s2
; %bb.49:
	v_bfe_u32 v71, v72, 16, 1
	s_delay_alu instid0(VALU_DEP_1)
	v_add3_u32 v71, v72, v71, 0x7fff
                                        ; implicit-def: $vgpr72
; %bb.50:
	s_and_not1_saveexec_b32 s2, s2
; %bb.51:
	v_and_b32_e32 v71, 0xffff, v72
	v_or_b32_e32 v82, 0x10000, v72
	s_delay_alu instid0(VALU_DEP_2) | instskip(NEXT) | instid1(VALU_DEP_2)
	v_cmp_eq_u32_e32 vcc_lo, 0, v71
	v_cndmask_b32_e32 v71, v82, v72, vcc_lo
; %bb.52:
	s_or_b32 exec_lo, exec_lo, s2
	v_and_b32_e32 v72, 0x7f800000, v81
	s_delay_alu instid0(VALU_DEP_1) | instskip(SKIP_1) | instid1(SALU_CYCLE_1)
	v_cmp_ne_u32_e32 vcc_lo, 0x7f800000, v72
                                        ; implicit-def: $vgpr72
	s_and_saveexec_b32 s2, vcc_lo
	s_xor_b32 s2, exec_lo, s2
; %bb.53:
	v_bfe_u32 v72, v81, 16, 1
	s_delay_alu instid0(VALU_DEP_1)
	v_add3_u32 v72, v81, v72, 0x7fff
                                        ; implicit-def: $vgpr81
; %bb.54:
	s_and_not1_saveexec_b32 s2, s2
; %bb.55:
	v_and_b32_e32 v72, 0xffff, v81
	v_or_b32_e32 v82, 0x10000, v81
	s_delay_alu instid0(VALU_DEP_2) | instskip(NEXT) | instid1(VALU_DEP_2)
	v_cmp_eq_u32_e32 vcc_lo, 0, v72
	v_cndmask_b32_e32 v72, v82, v81, vcc_lo
; %bb.56:
	s_or_b32 exec_lo, exec_lo, s2
	v_and_b32_e32 v81, 0x7f800000, v83
	s_delay_alu instid0(VALU_DEP_1) | instskip(SKIP_1) | instid1(SALU_CYCLE_1)
	v_cmp_ne_u32_e32 vcc_lo, 0x7f800000, v81
                                        ; implicit-def: $vgpr81
	s_and_saveexec_b32 s2, vcc_lo
	s_xor_b32 s2, exec_lo, s2
; %bb.57:
	v_bfe_u32 v81, v83, 16, 1
	s_delay_alu instid0(VALU_DEP_1)
	v_add3_u32 v81, v83, v81, 0x7fff
                                        ; implicit-def: $vgpr83
; %bb.58:
	s_and_not1_saveexec_b32 s2, s2
; %bb.59:
	v_and_b32_e32 v81, 0xffff, v83
	v_or_b32_e32 v82, 0x10000, v83
	s_delay_alu instid0(VALU_DEP_2) | instskip(NEXT) | instid1(VALU_DEP_2)
	v_cmp_eq_u32_e32 vcc_lo, 0, v81
	v_cndmask_b32_e32 v81, v82, v83, vcc_lo
; %bb.60:
	s_or_b32 exec_lo, exec_lo, s2
	v_and_b32_e32 v82, 0x7f800000, v77
	s_delay_alu instid0(VALU_DEP_1) | instskip(SKIP_1) | instid1(SALU_CYCLE_1)
	v_cmp_ne_u32_e32 vcc_lo, 0x7f800000, v82
                                        ; implicit-def: $vgpr82
	s_and_saveexec_b32 s2, vcc_lo
	s_xor_b32 s2, exec_lo, s2
; %bb.61:
	v_bfe_u32 v82, v77, 16, 1
	s_delay_alu instid0(VALU_DEP_1)
	v_add3_u32 v82, v77, v82, 0x7fff
                                        ; implicit-def: $vgpr77
; %bb.62:
	s_and_not1_saveexec_b32 s2, s2
; %bb.63:
	v_and_b32_e32 v82, 0xffff, v77
	v_or_b32_e32 v83, 0x10000, v77
	s_delay_alu instid0(VALU_DEP_2) | instskip(NEXT) | instid1(VALU_DEP_2)
	v_cmp_eq_u32_e32 vcc_lo, 0, v82
	v_cndmask_b32_e32 v82, v83, v77, vcc_lo
; %bb.64:
	s_or_b32 exec_lo, exec_lo, s2
	v_and_b32_e32 v77, 0x7f800000, v78
	s_delay_alu instid0(VALU_DEP_1) | instskip(SKIP_1) | instid1(SALU_CYCLE_1)
	v_cmp_ne_u32_e32 vcc_lo, 0x7f800000, v77
                                        ; implicit-def: $vgpr77
	s_and_saveexec_b32 s2, vcc_lo
	s_xor_b32 s2, exec_lo, s2
; %bb.65:
	v_bfe_u32 v77, v78, 16, 1
	s_delay_alu instid0(VALU_DEP_1)
	v_add3_u32 v77, v78, v77, 0x7fff
                                        ; implicit-def: $vgpr78
; %bb.66:
	s_and_not1_saveexec_b32 s2, s2
; %bb.67:
	v_and_b32_e32 v77, 0xffff, v78
	v_or_b32_e32 v83, 0x10000, v78
	s_delay_alu instid0(VALU_DEP_2) | instskip(NEXT) | instid1(VALU_DEP_2)
	v_cmp_eq_u32_e32 vcc_lo, 0, v77
	v_cndmask_b32_e32 v77, v83, v78, vcc_lo
; %bb.68:
	s_or_b32 exec_lo, exec_lo, s2
	v_and_b32_e32 v78, 0x7f800000, v79
	s_delay_alu instid0(VALU_DEP_1) | instskip(SKIP_1) | instid1(SALU_CYCLE_1)
	v_cmp_ne_u32_e32 vcc_lo, 0x7f800000, v78
                                        ; implicit-def: $vgpr78
	s_and_saveexec_b32 s2, vcc_lo
	s_xor_b32 s2, exec_lo, s2
; %bb.69:
	v_bfe_u32 v78, v79, 16, 1
	s_delay_alu instid0(VALU_DEP_1)
	v_add3_u32 v78, v79, v78, 0x7fff
                                        ; implicit-def: $vgpr79
; %bb.70:
	s_and_not1_saveexec_b32 s2, s2
; %bb.71:
	v_and_b32_e32 v78, 0xffff, v79
	v_or_b32_e32 v83, 0x10000, v79
	s_delay_alu instid0(VALU_DEP_2) | instskip(NEXT) | instid1(VALU_DEP_2)
	v_cmp_eq_u32_e32 vcc_lo, 0, v78
	v_cndmask_b32_e32 v78, v83, v79, vcc_lo
; %bb.72:
	s_or_b32 exec_lo, exec_lo, s2
	v_and_b32_e32 v79, 0x7f800000, v70
	s_delay_alu instid0(VALU_DEP_1) | instskip(SKIP_1) | instid1(SALU_CYCLE_1)
	v_cmp_ne_u32_e32 vcc_lo, 0x7f800000, v79
                                        ; implicit-def: $vgpr79
	s_and_saveexec_b32 s2, vcc_lo
	s_xor_b32 s2, exec_lo, s2
; %bb.73:
	v_bfe_u32 v79, v70, 16, 1
	s_delay_alu instid0(VALU_DEP_1)
	v_add3_u32 v79, v70, v79, 0x7fff
                                        ; implicit-def: $vgpr70
; %bb.74:
	s_and_not1_saveexec_b32 s2, s2
; %bb.75:
	v_and_b32_e32 v79, 0xffff, v70
	v_or_b32_e32 v83, 0x10000, v70
	s_delay_alu instid0(VALU_DEP_2) | instskip(NEXT) | instid1(VALU_DEP_2)
	v_cmp_eq_u32_e32 vcc_lo, 0, v79
	v_cndmask_b32_e32 v79, v83, v70, vcc_lo
; %bb.76:
	s_or_b32 exec_lo, exec_lo, s2
	s_delay_alu instid0(VALU_DEP_1)
	v_perm_b32 v86, v79, v78, 0x7060302
	v_perm_b32 v85, v77, v82, 0x7060302
	;; [unrolled: 1-line block ×4, first 2 shown]
	v_lshl_or_b32 v82, v66, 11, v80
	ds_store_b128 v76, v[83:86] offset:1024
	s_waitcnt lgkmcnt(0)
	s_barrier
	buffer_gl0_inv
	ds_load_b128 v[69:72], v82
	ds_load_b128 v[83:86], v82 offset:16
	s_waitcnt lgkmcnt(1)
	v_lshrrev_b32_e32 v66, 16, v69
	s_waitcnt lgkmcnt(0)
	v_lshrrev_b32_e32 v91, 16, v83
	v_lshlrev_b32_e32 v78, 2, v74
	v_lshrrev_b32_e32 v95, 16, v70
	v_lshrrev_b32_e32 v98, 16, v84
	;; [unrolled: 1-line block ×4, first 2 shown]
	v_cmp_eq_u32_e32 vcc_lo, 1, v78
	v_lshrrev_b32_e32 v97, 16, v72
	v_lshrrev_b32_e32 v100, 16, v86
	v_cndmask_b32_e32 v87, v83, v91, vcc_lo
	v_or_b32_e32 v79, 1, v78
	v_cndmask_b32_e32 v81, v69, v66, vcc_lo
	v_cmp_eq_u32_e64 s3, 2, v78
	v_cmp_eq_u32_e64 s6, 3, v78
	;; [unrolled: 1-line block ×5, first 2 shown]
	v_cndmask_b32_e64 v81, v81, v70, s3
	v_cndmask_b32_e64 v87, v87, v84, s3
	v_cmp_eq_u32_e64 s7, 3, v79
	v_cndmask_b32_e64 v88, v69, v66, s2
	v_or_b32_e32 v77, 2, v78
	v_cndmask_b32_e64 v81, v81, v95, s6
	v_cndmask_b32_e64 v87, v87, v98, s6
	;; [unrolled: 1-line block ×4, first 2 shown]
	v_cmp_eq_u32_e64 s9, 5, v78
	v_cndmask_b32_e64 v81, v81, v71, s8
	v_cndmask_b32_e64 v87, v87, v85, s8
	v_cmp_eq_u32_e64 s10, 4, v79
	v_cndmask_b32_e64 v88, v88, v95, s7
	v_cmp_eq_u32_e64 s4, 1, v77
	v_cndmask_b32_e64 v89, v89, v84, s5
	v_cndmask_b32_e64 v81, v81, v96, s9
	v_cmp_eq_u32_e64 s11, 6, v78
	v_cndmask_b32_e64 v88, v88, v71, s10
	;; [unrolled: 3-line block ×3, first 2 shown]
	v_cndmask_b32_e64 v89, v89, v98, s7
	v_cndmask_b32_e64 v81, v81, v72, s11
	v_cmp_eq_u32_e64 s13, 7, v78
	v_cndmask_b32_e64 v88, v88, v96, s12
	v_cndmask_b32_e64 v87, v87, v86, s11
	v_cmp_eq_u32_e64 s15, 6, v79
	v_cmp_eq_u32_e64 s16, 2, v77
	v_cndmask_b32_e64 v89, v89, v85, s10
	v_cndmask_b32_e64 v101, v81, v97, s13
	;; [unrolled: 1-line block ×6, first 2 shown]
	v_cmp_eq_u32_e64 s17, 7, v79
	v_cmp_eq_u32_e64 s18, 3, v77
	;; [unrolled: 1-line block ×4, first 2 shown]
	v_cndmask_b32_e64 v87, v87, v84, s16
	v_cndmask_b32_e64 v103, v88, v97, s17
	;; [unrolled: 1-line block ×4, first 2 shown]
	v_or_b32_e32 v81, 3, v78
	v_cndmask_b32_e64 v93, v87, v98, s18
	v_cmp_eq_u32_e64 s23, 6, v77
	v_cndmask_b32_e64 v104, v88, v86, s15
	v_cndmask_b32_e64 v92, v89, v71, s19
	v_cmp_eq_u32_e64 s20, 1, v81
	ds_load_b128 v[87:90], v82 offset:1024
	v_cmp_eq_u32_e64 s22, 2, v81
	v_cmp_eq_u32_e64 s24, 3, v81
	v_cndmask_b32_e64 v105, v92, v96, s21
	v_cndmask_b32_e64 v66, v69, v66, s20
	;; [unrolled: 1-line block ×4, first 2 shown]
	ds_load_b128 v[91:94], v82 offset:1040
	v_cmp_eq_u32_e64 s25, 4, v81
	v_cndmask_b32_e64 v66, v66, v70, s22
	v_cmp_eq_u32_e64 s26, 7, v77
	v_cndmask_b32_e64 v70, v83, v84, s22
	v_cndmask_b32_e64 v84, v105, v72, s23
	v_cmp_eq_u32_e64 s27, 5, v81
	v_cndmask_b32_e64 v66, v66, v95, s24
	v_cmp_eq_u32_e64 s28, 6, v81
	v_cndmask_b32_e64 v70, v70, v98, s24
	v_cndmask_b32_e64 v69, v69, v99, s21
	;; [unrolled: 1-line block ×4, first 2 shown]
	s_waitcnt lgkmcnt(1)
	v_lshrrev_b32_e32 v95, 16, v87
	v_cndmask_b32_e64 v70, v70, v85, s25
	v_cndmask_b32_e64 v71, v84, v97, s26
	;; [unrolled: 1-line block ×4, first 2 shown]
	v_cndmask_b32_e32 v84, v87, v95, vcc_lo
	v_cndmask_b32_e64 v70, v70, v99, s27
	s_waitcnt lgkmcnt(0)
	v_lshrrev_b32_e32 v85, 16, v91
	v_lshrrev_b32_e32 v96, 16, v88
	v_cndmask_b32_e64 v98, v87, v95, s2
	v_cndmask_b32_e64 v84, v84, v88, s3
	;; [unrolled: 1-line block ×3, first 2 shown]
	v_cndmask_b32_e32 v99, v91, v85, vcc_lo
	v_cmp_eq_u32_e32 vcc_lo, 7, v81
	v_cndmask_b32_e64 v66, v66, v72, s28
	v_cndmask_b32_e64 v72, v84, v96, s6
	;; [unrolled: 1-line block ×3, first 2 shown]
	v_lshrrev_b32_e32 v98, 16, v92
	v_cndmask_b32_e32 v70, v70, v100, vcc_lo
	v_cndmask_b32_e64 v86, v99, v92, s3
	v_cndmask_b32_e64 v69, v69, v100, s26
	v_lshrrev_b32_e32 v100, 16, v93
	v_cndmask_b32_e64 v72, v72, v89, s8
	v_lshrrev_b32_e32 v99, 16, v89
	v_cndmask_b32_e64 v86, v86, v98, s6
	v_perm_b32 v71, v69, v71, 0x5040100
	v_cndmask_b32_e64 v84, v84, v96, s7
	s_delay_alu instid0(VALU_DEP_3) | instskip(NEXT) | instid1(VALU_DEP_2)
	v_cndmask_b32_e64 v86, v86, v93, s8
	v_cndmask_b32_e64 v84, v84, v89, s10
	s_delay_alu instid0(VALU_DEP_2) | instskip(NEXT) | instid1(VALU_DEP_1)
	v_cndmask_b32_e64 v86, v86, v100, s9
	v_cndmask_b32_e64 v69, v86, v94, s11
	;; [unrolled: 1-line block ×5, first 2 shown]
	s_delay_alu instid0(VALU_DEP_3) | instskip(NEXT) | instid1(VALU_DEP_3)
	v_cndmask_b32_e64 v86, v86, v88, s16
	v_cndmask_b32_e64 v87, v87, v88, s22
	s_delay_alu instid0(VALU_DEP_3) | instskip(NEXT) | instid1(VALU_DEP_3)
	v_cndmask_b32_e64 v88, v95, v92, s22
	v_cndmask_b32_e64 v86, v86, v96, s18
	;; [unrolled: 3-line block ×7, first 2 shown]
	s_delay_alu instid0(VALU_DEP_3) | instskip(SKIP_2) | instid1(VALU_DEP_2)
	v_cndmask_b32_e64 v88, v88, v94, s28
	v_cndmask_b32_e32 v66, v66, v97, vcc_lo
	v_cndmask_b32_e64 v97, v72, v99, s9
	v_perm_b32 v72, v70, v66, 0x5040100
	v_perm_b32 v70, v83, v103, 0x5040100
	v_cndmask_b32_e64 v103, v91, v85, s4
	v_cndmask_b32_e64 v85, v91, v85, s2
	;; [unrolled: 1-line block ×4, first 2 shown]
	v_lshrrev_b32_e32 v97, 16, v90
	v_cndmask_b32_e64 v91, v103, v92, s16
	v_cndmask_b32_e64 v85, v85, v92, s5
	;; [unrolled: 1-line block ×3, first 2 shown]
	s_mov_b32 s2, exec_lo
	v_cndmask_b32_e64 v83, v84, v97, s13
	v_cndmask_b32_e64 v91, v91, v98, s18
	;; [unrolled: 1-line block ×3, first 2 shown]
	v_lshrrev_b32_e32 v84, 16, v94
	v_cndmask_b32_e64 v66, v66, v97, s17
	v_cndmask_b32_e64 v90, v86, v97, s26
	;; [unrolled: 1-line block ×4, first 2 shown]
	v_dual_cndmask_b32 v86, v87, v97 :: v_dual_cndmask_b32 v87, v88, v84
	v_cndmask_b32_e64 v91, v69, v84, s13
	s_delay_alu instid0(VALU_DEP_4) | instskip(NEXT) | instid1(VALU_DEP_4)
	v_cndmask_b32_e64 v89, v89, v100, s21
	v_cndmask_b32_e64 v85, v85, v100, s12
	v_perm_b32 v69, v102, v101, 0x5040100
	v_perm_b32 v86, v87, v86, 0x5040100
	;; [unrolled: 1-line block ×3, first 2 shown]
	v_cndmask_b32_e64 v89, v89, v94, s23
	v_cndmask_b32_e64 v85, v85, v94, s15
	s_mul_i32 s7, s35, 6
	s_delay_alu instid0(VALU_DEP_2) | instskip(NEXT) | instid1(VALU_DEP_2)
	v_cndmask_b32_e64 v88, v89, v84, s26
	v_cndmask_b32_e64 v89, v85, v84, s17
	s_delay_alu instid0(VALU_DEP_2) | instskip(NEXT) | instid1(VALU_DEP_2)
	v_perm_b32 v85, v88, v90, 0x5040100
	v_perm_b32 v84, v89, v66, 0x5040100
	ds_store_b128 v76, v[69:72]
	ds_store_b128 v76, v[83:86] offset:1024
	v_cmpx_gt_u32_e32 6, v0
	s_cbranch_execz .LBB1811_78
; %bb.77:
	s_mul_i32 s3, s7, s30
	s_load_b128 s[8:11], s[0:1], 0x58
	v_add3_u32 v69, s3, s29, v65
	s_delay_alu instid0(VALU_DEP_1) | instskip(NEXT) | instid1(VALU_DEP_1)
	v_mad_u64_u32 v[65:66], null, v69, s34, s[14:15]
	v_ashrrev_i32_e32 v66, 31, v65
	s_delay_alu instid0(VALU_DEP_1) | instskip(SKIP_1) | instid1(VALU_DEP_1)
	v_lshlrev_b64 v[65:66], 2, v[65:66]
	s_waitcnt lgkmcnt(0)
	v_add_co_u32 v69, vcc_lo, s10, v65
	s_delay_alu instid0(VALU_DEP_2)
	v_add_co_ci_u32_e32 v70, vcc_lo, s11, v66, vcc_lo
	v_add_co_u32 v65, vcc_lo, s8, v65
	v_add_co_ci_u32_e32 v66, vcc_lo, s9, v66, vcc_lo
	global_store_b32 v[69:70], v67, off
	global_store_b32 v[65:66], v68, off
.LBB1811_78:
	s_or_b32 exec_lo, exec_lo, s2
	s_waitcnt lgkmcnt(0)
	s_waitcnt_vscnt null, 0x0
	s_barrier
	buffer_gl0_inv
	ds_load_b128 v[83:86], v80
	ds_load_b128 v[87:90], v80 offset:16
	ds_load_b128 v[95:98], v80 offset:2064
	;; [unrolled: 1-line block ×3, first 2 shown]
	v_mov_b32_e32 v65, 0
	ds_load_b128 v[103:106], v80 offset:4112
	ds_load_b128 v[99:102], v80 offset:4096
	ds_load_b128 v[111:114], v80 offset:6160
	ds_load_b128 v[107:110], v80 offset:6144
	v_mov_b32_e32 v66, v65
	v_mov_b32_e32 v67, v65
	v_mov_b32_e32 v68, v65
	v_mov_b32_e32 v69, v65
	v_mov_b32_e32 v70, v65
	v_mov_b32_e32 v71, v65
	v_mov_b32_e32 v72, v65
	s_waitcnt lgkmcnt(6)
	s_delay_alu instid0(VALU_DEP_1)
	v_wmma_f32_16x16x16_bf16 v[65:72], v[41:48], v[83:90], v[65:72]
	ds_load_b128 v[45:48], v80 offset:8208
	ds_load_b128 v[41:44], v80 offset:8192
	s_waitcnt lgkmcnt(6)
	v_wmma_f32_16x16x16_bf16 v[65:72], v[33:40], v[91:98], v[65:72]
	ds_load_b128 v[37:40], v80 offset:10256
	ds_load_b128 v[33:36], v80 offset:10240
	s_waitcnt lgkmcnt(6)
	;; [unrolled: 4-line block ×4, first 2 shown]
	v_wmma_f32_16x16x16_bf16 v[65:72], v[1:8], v[41:48], v[65:72]
	s_waitcnt lgkmcnt(4)
	s_delay_alu instid0(VALU_DEP_1) | instskip(SKIP_1) | instid1(VALU_DEP_1)
	v_wmma_f32_16x16x16_bf16 v[65:72], v[9:16], v[33:40], v[65:72]
	s_waitcnt lgkmcnt(2)
	v_wmma_f32_16x16x16_bf16 v[65:72], v[57:64], v[25:32], v[65:72]
	s_waitcnt lgkmcnt(0)
	s_delay_alu instid0(VALU_DEP_1) | instskip(NEXT) | instid1(VALU_DEP_1)
	v_wmma_f32_16x16x16_bf16 v[65:72], v[49:56], v[17:24], v[65:72]
	v_and_b32_e32 v1, 0x7f800000, v65
	s_delay_alu instid0(VALU_DEP_1) | instskip(SKIP_1) | instid1(SALU_CYCLE_1)
	v_cmp_ne_u32_e32 vcc_lo, 0x7f800000, v1
                                        ; implicit-def: $vgpr1
	s_and_saveexec_b32 s2, vcc_lo
	s_xor_b32 s2, exec_lo, s2
; %bb.79:
	v_bfe_u32 v1, v65, 16, 1
	s_delay_alu instid0(VALU_DEP_1)
	v_add3_u32 v1, v65, v1, 0x7fff
; %bb.80:
	s_and_not1_saveexec_b32 s2, s2
; %bb.81:
	v_and_b32_e32 v1, 0xffff, v65
	v_or_b32_e32 v2, 0x10000, v65
	s_delay_alu instid0(VALU_DEP_2) | instskip(NEXT) | instid1(VALU_DEP_2)
	v_cmp_eq_u32_e32 vcc_lo, 0, v1
	v_cndmask_b32_e32 v1, v2, v65, vcc_lo
; %bb.82:
	s_or_b32 exec_lo, exec_lo, s2
	v_and_b32_e32 v2, 0x7f800000, v66
	s_delay_alu instid0(VALU_DEP_1) | instskip(SKIP_1) | instid1(SALU_CYCLE_1)
	v_cmp_ne_u32_e32 vcc_lo, 0x7f800000, v2
                                        ; implicit-def: $vgpr2
	s_and_saveexec_b32 s2, vcc_lo
	s_xor_b32 s2, exec_lo, s2
; %bb.83:
	v_bfe_u32 v2, v66, 16, 1
	s_delay_alu instid0(VALU_DEP_1)
	v_add3_u32 v2, v66, v2, 0x7fff
; %bb.84:
	s_and_not1_saveexec_b32 s2, s2
; %bb.85:
	v_and_b32_e32 v2, 0xffff, v66
	v_or_b32_e32 v3, 0x10000, v66
	s_delay_alu instid0(VALU_DEP_2) | instskip(NEXT) | instid1(VALU_DEP_2)
	v_cmp_eq_u32_e32 vcc_lo, 0, v2
	v_cndmask_b32_e32 v2, v3, v66, vcc_lo
; %bb.86:
	s_or_b32 exec_lo, exec_lo, s2
	v_and_b32_e32 v3, 0x7f800000, v67
	s_delay_alu instid0(VALU_DEP_1) | instskip(SKIP_1) | instid1(SALU_CYCLE_1)
	v_cmp_ne_u32_e32 vcc_lo, 0x7f800000, v3
                                        ; implicit-def: $vgpr3
	s_and_saveexec_b32 s2, vcc_lo
	s_xor_b32 s2, exec_lo, s2
; %bb.87:
	v_bfe_u32 v3, v67, 16, 1
	s_delay_alu instid0(VALU_DEP_1)
	v_add3_u32 v3, v67, v3, 0x7fff
; %bb.88:
	s_and_not1_saveexec_b32 s2, s2
; %bb.89:
	v_and_b32_e32 v3, 0xffff, v67
	v_or_b32_e32 v4, 0x10000, v67
	s_delay_alu instid0(VALU_DEP_2) | instskip(NEXT) | instid1(VALU_DEP_2)
	v_cmp_eq_u32_e32 vcc_lo, 0, v3
	v_cndmask_b32_e32 v3, v4, v67, vcc_lo
; %bb.90:
	s_or_b32 exec_lo, exec_lo, s2
	v_and_b32_e32 v4, 0x7f800000, v68
	s_delay_alu instid0(VALU_DEP_1) | instskip(SKIP_1) | instid1(SALU_CYCLE_1)
	v_cmp_ne_u32_e32 vcc_lo, 0x7f800000, v4
                                        ; implicit-def: $vgpr4
	s_and_saveexec_b32 s2, vcc_lo
	s_xor_b32 s2, exec_lo, s2
; %bb.91:
	v_bfe_u32 v4, v68, 16, 1
	s_delay_alu instid0(VALU_DEP_1)
	v_add3_u32 v4, v68, v4, 0x7fff
; %bb.92:
	s_and_not1_saveexec_b32 s2, s2
; %bb.93:
	v_and_b32_e32 v4, 0xffff, v68
	v_or_b32_e32 v5, 0x10000, v68
	s_delay_alu instid0(VALU_DEP_2) | instskip(NEXT) | instid1(VALU_DEP_2)
	v_cmp_eq_u32_e32 vcc_lo, 0, v4
	v_cndmask_b32_e32 v4, v5, v68, vcc_lo
; %bb.94:
	s_or_b32 exec_lo, exec_lo, s2
	v_and_b32_e32 v5, 0x7f800000, v69
	s_delay_alu instid0(VALU_DEP_1) | instskip(SKIP_1) | instid1(SALU_CYCLE_1)
	v_cmp_ne_u32_e32 vcc_lo, 0x7f800000, v5
                                        ; implicit-def: $vgpr5
	s_and_saveexec_b32 s2, vcc_lo
	s_xor_b32 s2, exec_lo, s2
; %bb.95:
	v_bfe_u32 v5, v69, 16, 1
	s_delay_alu instid0(VALU_DEP_1)
	v_add3_u32 v5, v69, v5, 0x7fff
; %bb.96:
	s_and_not1_saveexec_b32 s2, s2
; %bb.97:
	v_and_b32_e32 v5, 0xffff, v69
	v_or_b32_e32 v6, 0x10000, v69
	s_delay_alu instid0(VALU_DEP_2) | instskip(NEXT) | instid1(VALU_DEP_2)
	v_cmp_eq_u32_e32 vcc_lo, 0, v5
	v_cndmask_b32_e32 v5, v6, v69, vcc_lo
; %bb.98:
	s_or_b32 exec_lo, exec_lo, s2
	v_and_b32_e32 v6, 0x7f800000, v70
	s_delay_alu instid0(VALU_DEP_1) | instskip(SKIP_1) | instid1(SALU_CYCLE_1)
	v_cmp_ne_u32_e32 vcc_lo, 0x7f800000, v6
                                        ; implicit-def: $vgpr6
	s_and_saveexec_b32 s2, vcc_lo
	s_xor_b32 s2, exec_lo, s2
; %bb.99:
	v_bfe_u32 v6, v70, 16, 1
	s_delay_alu instid0(VALU_DEP_1)
	v_add3_u32 v6, v70, v6, 0x7fff
; %bb.100:
	s_and_not1_saveexec_b32 s2, s2
; %bb.101:
	v_and_b32_e32 v6, 0xffff, v70
	v_or_b32_e32 v7, 0x10000, v70
	s_delay_alu instid0(VALU_DEP_2) | instskip(NEXT) | instid1(VALU_DEP_2)
	v_cmp_eq_u32_e32 vcc_lo, 0, v6
	v_cndmask_b32_e32 v6, v7, v70, vcc_lo
; %bb.102:
	s_or_b32 exec_lo, exec_lo, s2
	v_and_b32_e32 v7, 0x7f800000, v71
	s_delay_alu instid0(VALU_DEP_1) | instskip(SKIP_1) | instid1(SALU_CYCLE_1)
	v_cmp_ne_u32_e32 vcc_lo, 0x7f800000, v7
                                        ; implicit-def: $vgpr7
	s_and_saveexec_b32 s2, vcc_lo
	s_xor_b32 s2, exec_lo, s2
; %bb.103:
	v_bfe_u32 v7, v71, 16, 1
	s_delay_alu instid0(VALU_DEP_1)
	v_add3_u32 v7, v71, v7, 0x7fff
; %bb.104:
	s_and_not1_saveexec_b32 s2, s2
; %bb.105:
	v_and_b32_e32 v7, 0xffff, v71
	v_or_b32_e32 v8, 0x10000, v71
	s_delay_alu instid0(VALU_DEP_2) | instskip(NEXT) | instid1(VALU_DEP_2)
	v_cmp_eq_u32_e32 vcc_lo, 0, v7
	v_cndmask_b32_e32 v7, v8, v71, vcc_lo
; %bb.106:
	s_or_b32 exec_lo, exec_lo, s2
	v_and_b32_e32 v8, 0x7f800000, v72
	s_delay_alu instid0(VALU_DEP_1) | instskip(SKIP_1) | instid1(SALU_CYCLE_1)
	v_cmp_ne_u32_e32 vcc_lo, 0x7f800000, v8
                                        ; implicit-def: $vgpr8
	s_and_saveexec_b32 s2, vcc_lo
	s_xor_b32 s2, exec_lo, s2
; %bb.107:
	v_bfe_u32 v8, v72, 16, 1
	s_delay_alu instid0(VALU_DEP_1)
	v_add3_u32 v8, v72, v8, 0x7fff
                                        ; implicit-def: $vgpr65_vgpr66_vgpr67_vgpr68_vgpr69_vgpr70_vgpr71_vgpr72
; %bb.108:
	s_and_not1_saveexec_b32 s2, s2
; %bb.109:
	v_and_b32_e32 v8, 0xffff, v72
	v_or_b32_e32 v9, 0x10000, v72
	s_delay_alu instid0(VALU_DEP_2) | instskip(NEXT) | instid1(VALU_DEP_2)
	v_cmp_eq_u32_e32 vcc_lo, 0, v8
	v_cndmask_b32_e32 v8, v9, v72, vcc_lo
; %bb.110:
	s_or_b32 exec_lo, exec_lo, s2
	s_delay_alu instid0(VALU_DEP_1)
	v_perm_b32 v7, v8, v7, 0x7060302
	v_perm_b32 v6, v6, v5, 0x7060302
	;; [unrolled: 1-line block ×4, first 2 shown]
	s_barrier
	buffer_gl0_inv
	v_cmp_eq_u32_e32 vcc_lo, 1, v78
	ds_store_b128 v76, v[4:7]
	s_waitcnt lgkmcnt(0)
	s_barrier
	buffer_gl0_inv
	ds_load_b128 v[1:4], v82
	ds_load_b128 v[5:8], v82 offset:16
	v_cmp_eq_u32_e64 s2, 1, v79
	v_cmp_eq_u32_e64 s3, 2, v78
	;; [unrolled: 1-line block ×5, first 2 shown]
	s_waitcnt lgkmcnt(1)
	v_lshrrev_b32_e32 v9, 16, v1
	s_waitcnt lgkmcnt(0)
	v_lshrrev_b32_e32 v13, 16, v5
	v_lshrrev_b32_e32 v10, 16, v2
	;; [unrolled: 1-line block ×4, first 2 shown]
	v_cndmask_b32_e64 v19, v1, v9, s2
	v_cndmask_b32_e32 v18, v5, v13, vcc_lo
	v_cndmask_b32_e64 v20, v5, v13, s2
	v_cndmask_b32_e32 v17, v1, v9, vcc_lo
	v_cmp_eq_u32_e32 vcc_lo, 2, v79
	v_lshrrev_b32_e32 v15, 16, v7
	v_cmp_eq_u32_e64 s2, 1, v77
	v_lshrrev_b32_e32 v12, 16, v4
	v_lshrrev_b32_e32 v16, 16, v8
	v_cndmask_b32_e32 v20, v20, v6, vcc_lo
	v_cndmask_b32_e64 v17, v17, v2, s3
	v_cndmask_b32_e32 v19, v19, v2, vcc_lo
	v_cndmask_b32_e64 v18, v18, v6, s3
	v_cmp_eq_u32_e32 vcc_lo, 4, v78
	v_cmp_eq_u32_e64 s3, 3, v79
	v_cndmask_b32_e64 v17, v17, v10, s4
	v_cndmask_b32_e64 v21, v1, v9, s2
	v_cndmask_b32_e64 v18, v18, v14, s4
	v_cndmask_b32_e64 v22, v5, v13, s2
	v_cndmask_b32_e64 v19, v19, v10, s3
	v_cndmask_b32_e32 v17, v17, v3, vcc_lo
	v_cndmask_b32_e64 v20, v20, v14, s3
	v_cndmask_b32_e32 v18, v18, v7, vcc_lo
	v_cmp_eq_u32_e32 vcc_lo, 4, v79
	v_cmp_eq_u32_e64 s3, 5, v79
	v_cmp_eq_u32_e64 s2, 2, v81
	v_cndmask_b32_e64 v21, v21, v2, s6
	v_cmp_eq_u32_e64 s4, 5, v78
	v_cndmask_b32_e32 v19, v19, v3, vcc_lo
	v_cndmask_b32_e32 v20, v20, v7, vcc_lo
	v_cmp_eq_u32_e32 vcc_lo, 6, v79
	s_delay_alu instid0(VALU_DEP_4) | instskip(NEXT) | instid1(VALU_DEP_4)
	v_cndmask_b32_e64 v17, v17, v11, s4
	v_cndmask_b32_e64 v19, v19, v11, s3
	s_delay_alu instid0(VALU_DEP_4) | instskip(SKIP_1) | instid1(VALU_DEP_3)
	v_cndmask_b32_e64 v20, v20, v15, s3
	v_cmp_eq_u32_e64 s3, 1, v81
	v_cndmask_b32_e32 v19, v19, v4, vcc_lo
	v_cndmask_b32_e64 v18, v18, v15, s4
	s_delay_alu instid0(VALU_DEP_3)
	v_cndmask_b32_e64 v1, v1, v9, s3
	v_cndmask_b32_e64 v5, v5, v13, s3
	v_cmp_eq_u32_e64 s3, 3, v77
	v_cndmask_b32_e64 v13, v22, v6, s6
	v_cmp_eq_u32_e64 s6, 3, v81
	v_cndmask_b32_e64 v1, v1, v2, s2
	v_cndmask_b32_e64 v2, v5, v6, s2
	;; [unrolled: 1-line block ×3, first 2 shown]
	v_cmp_eq_u32_e64 s2, 4, v77
	v_cndmask_b32_e64 v6, v13, v14, s3
	v_cndmask_b32_e64 v1, v1, v10, s6
	v_cmp_eq_u32_e64 s3, 4, v81
	v_cndmask_b32_e64 v2, v2, v14, s6
	v_cndmask_b32_e64 v5, v9, v3, s2
	;; [unrolled: 3-line block ×3, first 2 shown]
	v_cndmask_b32_e64 v2, v2, v7, s3
	v_cmp_eq_u32_e64 s2, 5, v81
	v_cmp_eq_u32_e64 s4, 6, v78
	v_cndmask_b32_e64 v5, v5, v11, s6
	v_cmp_eq_u32_e64 s3, 6, v77
	v_cndmask_b32_e64 v3, v6, v15, s6
	v_cndmask_b32_e64 v1, v1, v11, s2
	v_cmp_eq_u32_e64 s6, 6, v81
	v_cndmask_b32_e64 v2, v2, v15, s2
	v_cndmask_b32_e64 v17, v17, v4, s4
	v_cndmask_b32_e64 v18, v18, v8, s4
	v_cmp_eq_u32_e64 s4, 7, v78
	v_cndmask_b32_e64 v5, v5, v4, s3
	;; [unrolled: 4-line block ×3, first 2 shown]
	v_cmp_eq_u32_e64 s3, 7, v77
	v_cndmask_b32_e32 v4, v20, v8, vcc_lo
	v_cndmask_b32_e64 v17, v17, v12, s4
	v_cndmask_b32_e64 v19, v19, v12, s5
	;; [unrolled: 1-line block ×8, first 2 shown]
	s_mov_b32 s2, exec_lo
	v_perm_b32 v4, v2, v1, 0x5040100
	v_perm_b32 v3, v3, v5, 0x5040100
	;; [unrolled: 1-line block ×4, first 2 shown]
	ds_store_b128 v76, v[1:4]
	s_waitcnt lgkmcnt(0)
	s_barrier
	buffer_gl0_inv
	v_cmpx_gt_u32_e32 32, v0
	s_cbranch_execz .LBB1811_2
; %bb.111:
	s_load_b64 s[0:1], s[0:1], 0x68
	s_lshl_b32 s4, s34, 7
	v_or_b32_e32 v3, s29, v74
	s_mul_i32 s2, s4, s30
	v_lshlrev_b32_e32 v0, 10, v0
	s_mul_i32 s2, s2, s7
	v_lshlrev_b32_e32 v1, 4, v75
	s_ashr_i32 s3, s2, 31
	v_mul_lo_u32 v12, v3, s4
	s_lshl_b64 s[2:3], s[2:3], 1
	v_lshlrev_b32_e32 v2, 6, v74
	v_and_b32_e32 v0, 0x3800, v0
	s_delay_alu instid0(VALU_DEP_1) | instskip(NEXT) | instid1(VALU_DEP_4)
	v_or3_b32 v8, v0, v1, v2
	v_ashrrev_i32_e32 v13, 31, v12
	ds_load_b128 v[0:3], v8
	ds_load_b128 v[4:7], v8 offset:128
	ds_load_b128 v[8:11], v8 offset:256
	s_waitcnt lgkmcnt(0)
	s_add_u32 s2, s0, s2
	s_addc_u32 s3, s1, s3
	s_lshl_b32 s0, s14, 7
	s_delay_alu instid0(SALU_CYCLE_1) | instskip(NEXT) | instid1(SALU_CYCLE_1)
	s_ashr_i32 s1, s0, 31
	s_lshl_b64 s[0:1], s[0:1], 1
	s_delay_alu instid0(SALU_CYCLE_1)
	s_add_u32 s0, s2, s0
	s_addc_u32 s1, s3, s1
	s_lshl_b32 s2, s34, 8
	v_add_co_u32 v18, s0, s0, v73
	v_add_nc_u32_e32 v14, s2, v12
	v_lshlrev_b64 v[12:13], 1, v[12:13]
	v_add_co_ci_u32_e64 v19, null, s1, 0, s0
	s_delay_alu instid0(VALU_DEP_3) | instskip(SKIP_1) | instid1(VALU_DEP_4)
	v_add_nc_u32_e32 v16, s2, v14
	v_ashrrev_i32_e32 v15, 31, v14
	v_add_co_u32 v12, vcc_lo, v18, v12
	s_delay_alu instid0(VALU_DEP_4) | instskip(NEXT) | instid1(VALU_DEP_4)
	v_add_co_ci_u32_e32 v13, vcc_lo, v19, v13, vcc_lo
	v_ashrrev_i32_e32 v17, 31, v16
	s_delay_alu instid0(VALU_DEP_4) | instskip(NEXT) | instid1(VALU_DEP_2)
	v_lshlrev_b64 v[14:15], 1, v[14:15]
	v_lshlrev_b64 v[16:17], 1, v[16:17]
	s_delay_alu instid0(VALU_DEP_2) | instskip(NEXT) | instid1(VALU_DEP_3)
	v_add_co_u32 v14, vcc_lo, v18, v14
	v_add_co_ci_u32_e32 v15, vcc_lo, v19, v15, vcc_lo
	s_delay_alu instid0(VALU_DEP_3) | instskip(NEXT) | instid1(VALU_DEP_4)
	v_add_co_u32 v16, vcc_lo, v18, v16
	v_add_co_ci_u32_e32 v17, vcc_lo, v19, v17, vcc_lo
	s_clause 0x2
	global_store_b128 v[12:13], v[0:3], off
	global_store_b128 v[14:15], v[4:7], off
	;; [unrolled: 1-line block ×3, first 2 shown]
	s_nop 0
	s_sendmsg sendmsg(MSG_DEALLOC_VGPRS)
	s_endpgm
	.section	.rodata,"a",@progbits
	.p2align	6, 0x0
	.amdhsa_kernel _Z39paged_attention_ll4mi_QKV_mfma16_kernelI14__hip_bfloat16hLN4vllm18Fp8KVCacheDataTypeE1EhLi16ELi128ELi256ELb0ELi6EL8MFMAType0EEvPKT_PKT0_S9_ifPKiSB_SB_iPKfiiiPfSE_PS4_PT2_iSD_SD_
		.amdhsa_group_segment_fixed_size 17472
		.amdhsa_private_segment_fixed_size 0
		.amdhsa_kernarg_size 400
		.amdhsa_user_sgpr_count 13
		.amdhsa_user_sgpr_dispatch_ptr 0
		.amdhsa_user_sgpr_queue_ptr 0
		.amdhsa_user_sgpr_kernarg_segment_ptr 1
		.amdhsa_user_sgpr_dispatch_id 0
		.amdhsa_user_sgpr_private_segment_size 0
		.amdhsa_wavefront_size32 1
		.amdhsa_uses_dynamic_stack 0
		.amdhsa_enable_private_segment 0
		.amdhsa_system_sgpr_workgroup_id_x 1
		.amdhsa_system_sgpr_workgroup_id_y 1
		.amdhsa_system_sgpr_workgroup_id_z 1
		.amdhsa_system_sgpr_workgroup_info 0
		.amdhsa_system_vgpr_workitem_id 0
		.amdhsa_next_free_vgpr 140
		.amdhsa_next_free_sgpr 36
		.amdhsa_reserve_vcc 1
		.amdhsa_float_round_mode_32 0
		.amdhsa_float_round_mode_16_64 0
		.amdhsa_float_denorm_mode_32 3
		.amdhsa_float_denorm_mode_16_64 3
		.amdhsa_dx10_clamp 1
		.amdhsa_ieee_mode 1
		.amdhsa_fp16_overflow 0
		.amdhsa_workgroup_processor_mode 1
		.amdhsa_memory_ordered 1
		.amdhsa_forward_progress 0
		.amdhsa_shared_vgpr_count 0
		.amdhsa_exception_fp_ieee_invalid_op 0
		.amdhsa_exception_fp_denorm_src 0
		.amdhsa_exception_fp_ieee_div_zero 0
		.amdhsa_exception_fp_ieee_overflow 0
		.amdhsa_exception_fp_ieee_underflow 0
		.amdhsa_exception_fp_ieee_inexact 0
		.amdhsa_exception_int_div_zero 0
	.end_amdhsa_kernel
	.section	.text._Z39paged_attention_ll4mi_QKV_mfma16_kernelI14__hip_bfloat16hLN4vllm18Fp8KVCacheDataTypeE1EhLi16ELi128ELi256ELb0ELi6EL8MFMAType0EEvPKT_PKT0_S9_ifPKiSB_SB_iPKfiiiPfSE_PS4_PT2_iSD_SD_,"axG",@progbits,_Z39paged_attention_ll4mi_QKV_mfma16_kernelI14__hip_bfloat16hLN4vllm18Fp8KVCacheDataTypeE1EhLi16ELi128ELi256ELb0ELi6EL8MFMAType0EEvPKT_PKT0_S9_ifPKiSB_SB_iPKfiiiPfSE_PS4_PT2_iSD_SD_,comdat
.Lfunc_end1811:
	.size	_Z39paged_attention_ll4mi_QKV_mfma16_kernelI14__hip_bfloat16hLN4vllm18Fp8KVCacheDataTypeE1EhLi16ELi128ELi256ELb0ELi6EL8MFMAType0EEvPKT_PKT0_S9_ifPKiSB_SB_iPKfiiiPfSE_PS4_PT2_iSD_SD_, .Lfunc_end1811-_Z39paged_attention_ll4mi_QKV_mfma16_kernelI14__hip_bfloat16hLN4vllm18Fp8KVCacheDataTypeE1EhLi16ELi128ELi256ELb0ELi6EL8MFMAType0EEvPKT_PKT0_S9_ifPKiSB_SB_iPKfiiiPfSE_PS4_PT2_iSD_SD_
                                        ; -- End function
	.section	.AMDGPU.csdata,"",@progbits
; Kernel info:
; codeLenInByte = 8884
; NumSgprs: 38
; NumVgprs: 140
; ScratchSize: 0
; MemoryBound: 0
; FloatMode: 240
; IeeeMode: 1
; LDSByteSize: 17472 bytes/workgroup (compile time only)
; SGPRBlocks: 4
; VGPRBlocks: 17
; NumSGPRsForWavesPerEU: 38
; NumVGPRsForWavesPerEU: 140
; Occupancy: 10
; WaveLimiterHint : 1
; COMPUTE_PGM_RSRC2:SCRATCH_EN: 0
; COMPUTE_PGM_RSRC2:USER_SGPR: 13
; COMPUTE_PGM_RSRC2:TRAP_HANDLER: 0
; COMPUTE_PGM_RSRC2:TGID_X_EN: 1
; COMPUTE_PGM_RSRC2:TGID_Y_EN: 1
; COMPUTE_PGM_RSRC2:TGID_Z_EN: 1
; COMPUTE_PGM_RSRC2:TIDIG_COMP_CNT: 0
	.section	.text._Z39paged_attention_ll4mi_QKV_mfma16_kernelI14__hip_bfloat16hLN4vllm18Fp8KVCacheDataTypeE1EhLi16ELi128ELi256ELb0ELi7EL8MFMAType0EEvPKT_PKT0_S9_ifPKiSB_SB_iPKfiiiPfSE_PS4_PT2_iSD_SD_,"axG",@progbits,_Z39paged_attention_ll4mi_QKV_mfma16_kernelI14__hip_bfloat16hLN4vllm18Fp8KVCacheDataTypeE1EhLi16ELi128ELi256ELb0ELi7EL8MFMAType0EEvPKT_PKT0_S9_ifPKiSB_SB_iPKfiiiPfSE_PS4_PT2_iSD_SD_,comdat
	.protected	_Z39paged_attention_ll4mi_QKV_mfma16_kernelI14__hip_bfloat16hLN4vllm18Fp8KVCacheDataTypeE1EhLi16ELi128ELi256ELb0ELi7EL8MFMAType0EEvPKT_PKT0_S9_ifPKiSB_SB_iPKfiiiPfSE_PS4_PT2_iSD_SD_ ; -- Begin function _Z39paged_attention_ll4mi_QKV_mfma16_kernelI14__hip_bfloat16hLN4vllm18Fp8KVCacheDataTypeE1EhLi16ELi128ELi256ELb0ELi7EL8MFMAType0EEvPKT_PKT0_S9_ifPKiSB_SB_iPKfiiiPfSE_PS4_PT2_iSD_SD_
	.globl	_Z39paged_attention_ll4mi_QKV_mfma16_kernelI14__hip_bfloat16hLN4vllm18Fp8KVCacheDataTypeE1EhLi16ELi128ELi256ELb0ELi7EL8MFMAType0EEvPKT_PKT0_S9_ifPKiSB_SB_iPKfiiiPfSE_PS4_PT2_iSD_SD_
	.p2align	8
	.type	_Z39paged_attention_ll4mi_QKV_mfma16_kernelI14__hip_bfloat16hLN4vllm18Fp8KVCacheDataTypeE1EhLi16ELi128ELi256ELb0ELi7EL8MFMAType0EEvPKT_PKT0_S9_ifPKiSB_SB_iPKfiiiPfSE_PS4_PT2_iSD_SD_,@function
_Z39paged_attention_ll4mi_QKV_mfma16_kernelI14__hip_bfloat16hLN4vllm18Fp8KVCacheDataTypeE1EhLi16ELi128ELi256ELb0ELi7EL8MFMAType0EEvPKT_PKT0_S9_ifPKiSB_SB_iPKfiiiPfSE_PS4_PT2_iSD_SD_: ; @_Z39paged_attention_ll4mi_QKV_mfma16_kernelI14__hip_bfloat16hLN4vllm18Fp8KVCacheDataTypeE1EhLi16ELi128ELi256ELb0ELi7EL8MFMAType0EEvPKT_PKT0_S9_ifPKiSB_SB_iPKfiiiPfSE_PS4_PT2_iSD_SD_
; %bb.0:
	s_load_b64 s[4:5], s[0:1], 0x30
	s_mov_b32 s30, s13
	s_waitcnt lgkmcnt(0)
	s_cmp_lg_u64 s[4:5], 0
	s_cselect_b32 s13, -1, 0
	s_ashr_i32 s31, s30, 31
	s_cmp_eq_u64 s[4:5], 0
	s_cbranch_scc1 .LBB1812_3
; %bb.1:
	s_lshl_b64 s[2:3], s[30:31], 2
	s_delay_alu instid0(SALU_CYCLE_1) | instskip(SKIP_4) | instid1(SALU_CYCLE_1)
	s_add_u32 s2, s4, s2
	s_addc_u32 s3, s5, s3
	s_load_b64 s[2:3], s[2:3], 0x0
	s_waitcnt lgkmcnt(0)
	s_sub_i32 s2, s3, s2
	s_cmp_eq_u32 s2, 1
	s_cselect_b32 s2, -1, 0
	s_delay_alu instid0(SALU_CYCLE_1)
	s_and_not1_b32 vcc_lo, exec_lo, s2
	s_cbranch_vccz .LBB1812_4
.LBB1812_2:
	s_nop 0
	s_sendmsg sendmsg(MSG_DEALLOC_VGPRS)
	s_endpgm
.LBB1812_3:
.LBB1812_4:
	s_load_b64 s[2:3], s[0:1], 0x28
	s_lshl_b64 s[6:7], s[30:31], 2
	s_waitcnt lgkmcnt(0)
	s_add_u32 s2, s2, s6
	s_addc_u32 s3, s3, s7
	s_lshl_b32 s12, s14, 8
	s_load_b32 s17, s[2:3], 0x0
	s_waitcnt lgkmcnt(0)
	s_cmp_ge_i32 s12, s17
	s_cbranch_scc1 .LBB1812_2
; %bb.5:
	s_clause 0x1
	s_load_b128 s[8:11], s[0:1], 0x8
	s_load_b64 s[2:3], s[0:1], 0x20
	s_and_not1_b32 vcc_lo, exec_lo, s13
	s_cbranch_vccnz .LBB1812_7
; %bb.6:
	s_add_u32 s4, s4, s6
	s_addc_u32 s5, s5, s7
	s_load_b32 s13, s[4:5], 0x0
	s_branch .LBB1812_8
.LBB1812_7:
	s_mov_b32 s13, s30
.LBB1812_8:
	s_load_b128 s[4:7], s[0:1], 0x48
	v_and_b32_e32 v65, 15, v0
	v_lshrrev_b32_e32 v66, 5, v0
	v_bfe_u32 v74, v0, 4, 1
	v_and_b32_e32 v67, 31, v0
	v_and_b32_e32 v75, 1, v0
	v_lshlrev_b32_e32 v2, 3, v65
	s_mul_i32 s31, s15, 7
	v_lshl_or_b32 v1, v66, 1, v74
	s_waitcnt lgkmcnt(0)
	s_mov_b32 s7, exec_lo
	v_lshlrev_b32_e32 v73, 1, v2
	s_delay_alu instid0(VALU_DEP_2)
	v_cmpx_gt_u32_e32 7, v1
	s_cbranch_execz .LBB1812_10
; %bb.9:
	s_load_b64 s[18:19], s[0:1], 0x0
	v_add_lshl_u32 v2, v1, s31, 7
	s_mul_hi_i32 s21, s13, s4
	s_mul_i32 s20, s13, s4
	v_lshlrev_b32_e32 v6, 10, v65
	s_lshl_b64 s[20:21], s[20:21], 1
	v_ashrrev_i32_e32 v3, 31, v2
	v_lshlrev_b32_e32 v1, 6, v1
	v_lshlrev_b32_e32 v7, 10, v75
	v_and_b32_e32 v6, 0x3800, v6
	s_delay_alu instid0(VALU_DEP_4) | instskip(NEXT) | instid1(VALU_DEP_2)
	v_lshlrev_b64 v[2:3], 1, v[2:3]
	v_or3_b32 v1, v6, v7, v1
	s_waitcnt lgkmcnt(0)
	s_add_u32 s4, s18, s20
	s_addc_u32 s13, s19, s21
	s_delay_alu instid0(VALU_DEP_2) | instskip(SKIP_1) | instid1(VALU_DEP_2)
	v_add_co_u32 v2, vcc_lo, s4, v2
	v_add_co_ci_u32_e32 v3, vcc_lo, s13, v3, vcc_lo
	v_add_co_u32 v2, vcc_lo, v2, v73
	s_delay_alu instid0(VALU_DEP_2)
	v_add_co_ci_u32_e32 v3, vcc_lo, 0, v3, vcc_lo
	global_load_b128 v[2:5], v[2:3], off
	s_waitcnt vmcnt(0)
	ds_store_b128 v1, v[2:5]
.LBB1812_10:
	s_or_b32 exec_lo, exec_lo, s7
	v_and_b32_e32 v1, 0xef, v0
	s_add_i32 s4, s17, 15
	s_clause 0x1
	s_load_b32 s7, s[0:1], 0x38
	s_load_b32 s18, s[0:1], 0x1c
	s_ashr_i32 s13, s4, 31
	v_add_nc_u32_e32 v2, s12, v1
	s_lshr_b32 s13, s13, 28
	s_waitcnt lgkmcnt(0)
	s_add_i32 s4, s4, s13
	s_barrier
	v_ashrrev_i32_e32 v1, 31, v2
	s_ashr_i32 s4, s4, 4
	v_cmp_gt_i32_e32 vcc_lo, s17, v2
	s_add_i32 s4, s4, -1
	buffer_gl0_inv
	v_lshrrev_b32_e32 v3, 28, v1
	v_or_b32_e32 v1, 16, v2
	s_mul_i32 s15, s15, s6
	s_delay_alu instid0(VALU_DEP_2) | instskip(SKIP_1) | instid1(SALU_CYCLE_1)
	v_add_nc_u32_e32 v4, v2, v3
	s_mul_i32 s20, s30, s7
	s_ashr_i32 s21, s20, 31
	s_delay_alu instid0(VALU_DEP_1) | instskip(SKIP_2) | instid1(SALU_CYCLE_1)
	v_ashrrev_i32_e32 v4, 4, v4
	v_add_nc_u32_e32 v3, v1, v3
	s_lshl_b64 s[20:21], s[20:21], 2
	s_add_u32 s2, s2, s20
	s_delay_alu instid0(VALU_DEP_2) | instskip(NEXT) | instid1(VALU_DEP_2)
	v_cndmask_b32_e32 v2, s4, v4, vcc_lo
	v_ashrrev_i32_e32 v3, 4, v3
	v_cmp_gt_i32_e32 vcc_lo, s17, v1
	s_addc_u32 s3, s3, s21
	s_ashr_i32 s6, s15, 31
	s_add_u32 s7, s8, s15
	s_addc_u32 s13, s9, s6
	v_cndmask_b32_e32 v4, s4, v3, vcc_lo
	v_ashrrev_i32_e32 v3, 31, v2
	s_lshl_b32 s8, s14, 4
	s_delay_alu instid0(SALU_CYCLE_1) | instskip(NEXT) | instid1(VALU_DEP_2)
	s_ashr_i32 s9, s8, 31
	v_ashrrev_i32_e32 v5, 31, v4
	s_delay_alu instid0(VALU_DEP_2) | instskip(SKIP_1) | instid1(SALU_CYCLE_1)
	v_lshlrev_b64 v[1:2], 2, v[2:3]
	s_lshl_b64 s[8:9], s[8:9], 2
	s_add_u32 s8, s2, s8
	s_delay_alu instid0(VALU_DEP_2) | instskip(SKIP_1) | instid1(VALU_DEP_2)
	v_lshlrev_b64 v[3:4], 2, v[4:5]
	s_addc_u32 s9, s3, s9
	v_add_co_u32 v1, vcc_lo, s2, v1
	v_add_co_ci_u32_e32 v2, vcc_lo, s3, v2, vcc_lo
	s_delay_alu instid0(VALU_DEP_3) | instskip(NEXT) | instid1(VALU_DEP_4)
	v_add_co_u32 v3, vcc_lo, s2, v3
	v_add_co_ci_u32_e32 v4, vcc_lo, s3, v4, vcc_lo
	s_clause 0x1
	global_load_b32 v5, v[1:2], off
	global_load_b32 v3, v[3:4], off
	v_lshlrev_b32_e32 v1, 4, v0
	s_or_b32 s16, s12, 32
	s_delay_alu instid0(SALU_CYCLE_1) | instskip(SKIP_1) | instid1(VALU_DEP_1)
	s_ashr_i32 s19, s16, 4
	s_cmp_lt_i32 s16, s17
	v_and_b32_e32 v1, 0xf0, v1
	s_cselect_b32 s20, s19, s4
	s_delay_alu instid0(SALU_CYCLE_1) | instskip(NEXT) | instid1(SALU_CYCLE_1)
	s_ashr_i32 s21, s20, 31
	s_lshl_b64 s[20:21], s[20:21], 2
	s_delay_alu instid0(VALU_DEP_1)
	v_add_co_u32 v1, s7, s7, v1
	s_add_u32 s20, s2, s20
	s_addc_u32 s21, s3, s21
	s_or_b32 s16, s12, 64
	v_add_co_ci_u32_e64 v2, null, s13, 0, s7
	s_ashr_i32 s19, s16, 4
	s_cmp_lt_i32 s16, s17
	s_cselect_b32 s22, s19, s4
	s_delay_alu instid0(SALU_CYCLE_1) | instskip(NEXT) | instid1(SALU_CYCLE_1)
	s_ashr_i32 s23, s22, 31
	s_lshl_b64 s[22:23], s[22:23], 2
	s_delay_alu instid0(SALU_CYCLE_1) | instskip(SKIP_2) | instid1(SALU_CYCLE_1)
	s_add_u32 s22, s2, s22
	s_addc_u32 s23, s3, s23
	s_or_b32 s16, s12, 0x60
	s_ashr_i32 s19, s16, 4
	s_cmp_lt_i32 s16, s17
	s_cselect_b32 s24, s19, s4
	s_delay_alu instid0(SALU_CYCLE_1) | instskip(NEXT) | instid1(SALU_CYCLE_1)
	s_ashr_i32 s25, s24, 31
	s_lshl_b64 s[24:25], s[24:25], 2
	s_delay_alu instid0(SALU_CYCLE_1) | instskip(SKIP_2) | instid1(SALU_CYCLE_1)
	s_add_u32 s24, s2, s24
	s_addc_u32 s25, s3, s25
	s_or_b32 s16, s12, 0x80
	;; [unrolled: 10-line block ×3, first 2 shown]
	s_ashr_i32 s19, s16, 4
	s_cmp_lt_i32 s16, s17
	s_cselect_b32 s28, s19, s4
	s_delay_alu instid0(SALU_CYCLE_1) | instskip(NEXT) | instid1(SALU_CYCLE_1)
	s_ashr_i32 s29, s28, 31
	s_lshl_b64 s[28:29], s[28:29], 2
	s_delay_alu instid0(SALU_CYCLE_1)
	s_add_u32 s28, s2, s28
	s_addc_u32 s29, s3, s29
	s_clause 0x5
	s_load_b32 s7, s[8:9], 0x0
	s_load_b32 s13, s[20:21], 0x0
	;; [unrolled: 1-line block ×6, first 2 shown]
	s_or_b32 s8, s12, 0xc0
	s_mov_b32 s20, 0
	s_ashr_i32 s9, s8, 4
	s_cmp_lt_i32 s8, s17
	s_mov_b32 s27, s20
	s_cselect_b32 s8, s9, s4
	s_mov_b32 s21, s20
	s_ashr_i32 s9, s8, 31
	s_mov_b32 s22, s20
	s_lshl_b64 s[8:9], s[8:9], 2
	s_mov_b32 s23, s20
	s_mov_b32 s24, s20
	;; [unrolled: 1-line block ×4, first 2 shown]
	v_dual_mov_b32 v107, s27 :: v_dual_mov_b32 v104, s24
	s_add_u32 s8, s2, s8
	v_dual_mov_b32 v106, s26 :: v_dual_mov_b32 v105, s25
	v_dual_mov_b32 v101, s21 :: v_dual_mov_b32 v100, s20
	s_addc_u32 s9, s3, s9
	v_dual_mov_b32 v103, s23 :: v_dual_mov_b32 v102, s22
	s_or_b32 s20, s12, 0xe0
	s_delay_alu instid0(SALU_CYCLE_1) | instskip(SKIP_2) | instid1(SALU_CYCLE_1)
	s_ashr_i32 s21, s20, 4
	s_cmp_lt_i32 s20, s17
	s_cselect_b32 s20, s21, s4
	s_ashr_i32 s21, s20, 31
	s_delay_alu instid0(SALU_CYCLE_1) | instskip(NEXT) | instid1(SALU_CYCLE_1)
	s_lshl_b64 s[20:21], s[20:21], 2
	s_add_u32 s2, s2, s20
	s_addc_u32 s3, s3, s21
	s_waitcnt vmcnt(1)
	v_mad_i64_i32 v[25:26], null, v5, s5, v[1:2]
	s_waitcnt vmcnt(0)
	v_mad_i64_i32 v[27:28], null, v3, s5, v[1:2]
	s_clause 0xf
	global_load_b128 v[1:4], v[25:26], off
	global_load_b128 v[5:8], v[25:26], off offset:256
	global_load_b128 v[9:12], v[27:28], off
	global_load_b128 v[13:16], v[27:28], off offset:256
	global_load_b128 v[17:20], v[25:26], off offset:512
	;; [unrolled: 1-line block ×13, first 2 shown]
	v_mul_lo_u16 v25, v65, 37
	v_lshlrev_b32_e32 v26, 4, v65
	s_delay_alu instid0(VALU_DEP_2) | instskip(NEXT) | instid1(VALU_DEP_2)
	v_lshrrev_b16 v25, 8, v25
	v_lshl_or_b32 v33, v66, 8, v26
	s_delay_alu instid0(VALU_DEP_2) | instskip(NEXT) | instid1(VALU_DEP_1)
	v_mul_lo_u16 v25, v25, 7
	v_sub_nc_u16 v25, v65, v25
	s_delay_alu instid0(VALU_DEP_1) | instskip(NEXT) | instid1(VALU_DEP_1)
	v_and_b32_e32 v25, 0xff, v25
	v_lshlrev_b32_e32 v72, 6, v25
	ds_load_b128 v[25:28], v72
	ds_load_b128 v[29:32], v72 offset:1024
	ds_load_b128 v[108:111], v72 offset:2048
	;; [unrolled: 1-line block ×3, first 2 shown]
	s_load_b32 s4, s[8:9], 0x0
	ds_load_b128 v[116:119], v72 offset:4096
	ds_load_b128 v[120:123], v72 offset:5120
	s_load_b32 s2, s[2:3], 0x0
	s_add_u32 s8, s10, s15
	s_addc_u32 s6, s11, s6
	v_add_co_u32 v68, s8, s8, v33
	s_delay_alu instid0(VALU_DEP_1) | instskip(SKIP_1) | instid1(VALU_DEP_1)
	v_add_co_ci_u32_e64 v69, null, s6, 0, s8
	s_waitcnt lgkmcnt(0)
	v_mad_i64_i32 v[33:34], null, s7, s5, v[68:69]
	v_mad_i64_i32 v[70:71], null, s16, s5, v[68:69]
	;; [unrolled: 1-line block ×7, first 2 shown]
	s_clause 0x3
	global_load_b128 v[41:44], v[33:34], off
	global_load_b128 v[45:48], v[33:34], off offset:16
	global_load_b128 v[33:36], v[37:38], off
	global_load_b128 v[37:40], v[37:38], off offset:16
	s_waitcnt vmcnt(18)
	v_wmma_f32_16x16x16_bf16 v[124:131], v[1:8], v[25:32], v[100:107]
	s_waitcnt vmcnt(16)
	v_wmma_f32_16x16x16_bf16 v[100:107], v[9:16], v[25:32], v[100:107]
	s_clause 0x1
	global_load_b128 v[25:28], v[70:71], off
	global_load_b128 v[29:32], v[70:71], off offset:16
	s_waitcnt vmcnt(16)
	v_wmma_f32_16x16x16_bf16 v[124:131], v[17:24], v[108:115], v[124:131]
	s_clause 0x1
	global_load_b128 v[17:20], v[132:133], off
	global_load_b128 v[21:24], v[132:133], off offset:16
	s_waitcnt vmcnt(16)
	v_wmma_f32_16x16x16_bf16 v[100:107], v[49:56], v[108:115], v[100:107]
	v_mad_i64_i32 v[53:54], null, s2, s5, v[68:69]
	s_clause 0x3
	global_load_b128 v[1:4], v[134:135], off
	global_load_b128 v[5:8], v[134:135], off offset:16
	global_load_b128 v[9:12], v[136:137], off
	global_load_b128 v[13:16], v[136:137], off offset:16
	s_waitcnt vmcnt(18)
	v_wmma_f32_16x16x16_bf16 v[124:131], v[57:64], v[116:123], v[124:131]
	s_clause 0x3
	global_load_b128 v[57:60], v[138:139], off
	global_load_b128 v[61:64], v[138:139], off offset:16
	global_load_b128 v[49:52], v[53:54], off
	global_load_b128 v[53:56], v[53:54], off offset:16
	v_mbcnt_lo_u32_b32 v69, -1, 0
	s_waitcnt vmcnt(20)
	v_wmma_f32_16x16x16_bf16 v[100:107], v[76:83], v[116:123], v[100:107]
	s_delay_alu instid0(VALU_DEP_2) | instskip(NEXT) | instid1(VALU_DEP_1)
	v_xor_b32_e32 v70, 16, v69
	v_cmp_gt_i32_e32 vcc_lo, 32, v70
	v_cndmask_b32_e32 v69, v69, v70, vcc_lo
	ds_load_b128 v[76:79], v72 offset:6144
	ds_load_b128 v[80:83], v72 offset:7168
	s_waitcnt vmcnt(0) lgkmcnt(0)
	s_barrier
	buffer_gl0_inv
	v_wmma_f32_16x16x16_bf16 v[124:131], v[84:91], v[76:83], v[124:131]
	v_and_b32_e32 v68, 0xe0, v0
	v_wmma_f32_16x16x16_bf16 v[100:107], v[92:99], v[76:83], v[100:107]
	s_delay_alu instid0(VALU_DEP_2) | instskip(NEXT) | instid1(VALU_DEP_4)
	v_dual_mul_f32 v79, s18, v127 :: v_dual_add_nc_u32 v68, s12, v68
	v_mul_f32_e32 v81, s18, v129
	v_dual_mul_f32 v78, s18, v125 :: v_dual_mul_f32 v83, s18, v131
	s_delay_alu instid0(VALU_DEP_4) | instskip(NEXT) | instid1(VALU_DEP_4)
	v_dual_mul_f32 v80, s18, v126 :: v_dual_mul_f32 v95, s18, v103
	v_or_b32_e32 v68, v68, v74
	v_dual_mul_f32 v93, s18, v101 :: v_dual_mul_f32 v82, s18, v128
	v_dual_mul_f32 v97, s18, v105 :: v_dual_mul_f32 v92, s18, v130
	v_mul_f32_e32 v99, s18, v107
	s_delay_alu instid0(VALU_DEP_4)
	v_or_b32_e32 v70, 2, v68
	v_or_b32_e32 v71, 4, v68
	;; [unrolled: 1-line block ×3, first 2 shown]
	v_cmp_gt_i32_e64 s2, s17, v68
	v_or_b32_e32 v108, 8, v68
	v_cmp_gt_i32_e32 vcc_lo, s17, v70
	v_mul_f32_e32 v70, s18, v124
	v_or_b32_e32 v109, 10, v68
	v_cmp_gt_i32_e64 s3, s17, v71
	v_cmp_gt_i32_e64 s4, s17, v72
	v_cndmask_b32_e32 v78, 0xff7fffff, v78, vcc_lo
	v_cndmask_b32_e64 v70, 0xff7fffff, v70, s2
	v_or_b32_e32 v84, 12, v68
	v_or_b32_e32 v85, 14, v68
	v_cndmask_b32_e64 v71, 0xff7fffff, v80, s3
	v_cndmask_b32_e64 v72, 0xff7fffff, v79, s4
	v_max3_f32 v70, v70, 0xff7fffff, v78
	v_cmp_gt_i32_e64 s5, s17, v108
	v_cmp_gt_i32_e64 s6, s17, v109
	v_or_b32_e32 v86, 16, v68
	v_or_b32_e32 v87, 18, v68
	v_max3_f32 v70, v70, v71, v72
	v_cndmask_b32_e64 v78, 0xff7fffff, v82, s5
	v_cndmask_b32_e64 v79, 0xff7fffff, v81, s6
	v_cmp_gt_i32_e64 s7, s17, v84
	v_cmp_gt_i32_e64 s8, s17, v85
	v_or_b32_e32 v88, 20, v68
	v_or_b32_e32 v89, 22, v68
	v_mul_f32_e32 v94, s18, v100
	v_cndmask_b32_e64 v71, 0xff7fffff, v92, s7
	v_cndmask_b32_e64 v72, 0xff7fffff, v83, s8
	v_max3_f32 v70, v70, v78, v79
	v_cmp_gt_i32_e64 s9, s17, v86
	v_cmp_gt_i32_e64 s10, s17, v87
	v_or_b32_e32 v90, 24, v68
	v_or_b32_e32 v91, 26, v68
	v_mul_f32_e32 v96, s18, v102
	v_max3_f32 v70, v70, v71, v72
	v_cndmask_b32_e64 v79, 0xff7fffff, v93, s10
	v_cmp_gt_i32_e64 s11, s17, v88
	v_cmp_gt_i32_e64 s12, s17, v89
	v_lshlrev_b32_e32 v89, 2, v69
	v_cndmask_b32_e64 v78, 0xff7fffff, v94, s9
	v_or_b32_e32 v76, 28, v68
	v_or_b32_e32 v77, 30, v68
	v_mul_f32_e32 v98, s18, v104
	v_cndmask_b32_e64 v71, 0xff7fffff, v96, s11
	v_cndmask_b32_e64 v72, 0xff7fffff, v95, s12
	v_max3_f32 v70, v70, v78, v79
	v_cmp_gt_i32_e64 s13, s17, v90
	v_cmp_gt_i32_e64 s15, s17, v91
	v_mul_f32_e32 v68, s18, v106
	v_cmp_gt_i32_e64 s16, s17, v76
	v_max3_f32 v70, v70, v71, v72
	v_cndmask_b32_e64 v78, 0xff7fffff, v98, s13
	v_cndmask_b32_e64 v79, 0xff7fffff, v97, s15
	v_cmp_gt_i32_e64 s17, s17, v77
	v_cndmask_b32_e64 v68, 0xff7fffff, v68, s16
	s_delay_alu instid0(VALU_DEP_3) | instskip(NEXT) | instid1(VALU_DEP_3)
	v_max3_f32 v70, v70, v78, v79
	v_cndmask_b32_e64 v71, 0xff7fffff, v99, s17
	s_delay_alu instid0(VALU_DEP_1) | instskip(SKIP_3) | instid1(VALU_DEP_1)
	v_max3_f32 v68, v70, v68, v71
	ds_bpermute_b32 v69, v89, v68
	s_waitcnt lgkmcnt(0)
	v_max_f32_e32 v69, v69, v69
	v_max_f32_e32 v68, v68, v69
	s_delay_alu instid0(VALU_DEP_1) | instskip(NEXT) | instid1(VALU_DEP_1)
	v_fma_f32 v76, s18, v128, -v68
	v_mul_f32_e32 v77, 0x3fb8aa3b, v76
	v_fma_f32 v71, s18, v126, -v68
	v_fma_f32 v69, s18, v124, -v68
	;; [unrolled: 1-line block ×4, first 2 shown]
	v_exp_f32_e32 v77, v77
	v_mul_f32_e32 v71, 0x3fb8aa3b, v71
	v_mul_f32_e32 v69, 0x3fb8aa3b, v69
	v_fma_f32 v81, s18, v105, -v68
	v_fma_f32 v78, s18, v130, -v68
	s_delay_alu instid0(VALU_DEP_4) | instskip(NEXT) | instid1(VALU_DEP_3)
	v_exp_f32_e32 v71, v71
	v_exp_f32_e32 v69, v69
	s_delay_alu instid0(VALU_DEP_2) | instskip(NEXT) | instid1(TRANS32_DEP_3)
	v_mul_f32_e32 v81, 0x3fb8aa3b, v81
	v_cndmask_b32_e64 v86, 0, v77, s5
	v_fma_f32 v77, s18, v101, -v68
	s_delay_alu instid0(VALU_DEP_3) | instskip(NEXT) | instid1(TRANS32_DEP_3)
	v_exp_f32_e32 v81, v81
	v_cndmask_b32_e64 v83, 0, v71, s3
	v_fma_f32 v71, s18, v131, -v68
	v_mul_f32_e32 v72, 0x3fb8aa3b, v72
	s_delay_alu instid0(TRANS32_DEP_2) | instskip(SKIP_1) | instid1(VALU_DEP_4)
	v_cndmask_b32_e64 v80, 0, v69, s2
	v_fma_f32 v69, s18, v129, -v68
	v_dual_mul_f32 v70, 0x3fb8aa3b, v70 :: v_dual_mul_f32 v71, 0x3fb8aa3b, v71
	s_delay_alu instid0(VALU_DEP_4) | instskip(SKIP_1) | instid1(VALU_DEP_3)
	v_exp_f32_e32 v72, v72
	v_mul_f32_e32 v77, 0x3fb8aa3b, v77
	v_mul_f32_e32 v69, 0x3fb8aa3b, v69
	s_delay_alu instid0(VALU_DEP_3)
	v_exp_f32_e32 v70, v70
	v_exp_f32_e32 v71, v71
	v_cmp_gt_u32_e64 s2, 16, v67
	v_exp_f32_e32 v77, v77
	v_exp_f32_e32 v69, v69
	v_cndmask_b32_e64 v85, 0, v72, s4
	v_fma_f32 v72, s18, v100, -v68
	v_cndmask_b32_e32 v76, 0, v70, vcc_lo
	s_delay_alu instid0(TRANS32_DEP_3) | instskip(SKIP_2) | instid1(TRANS32_DEP_1)
	v_cndmask_b32_e64 v88, 0, v71, s8
	v_fma_f32 v71, s18, v104, -v68
	v_add_f32_e32 v70, 0, v80
	v_cndmask_b32_e64 v87, 0, v69, s6
	s_delay_alu instid0(VALU_DEP_2) | instskip(NEXT) | instid1(VALU_DEP_1)
	v_dual_mul_f32 v71, 0x3fb8aa3b, v71 :: v_dual_add_f32 v70, v70, v76
	v_exp_f32_e32 v82, v71
	s_delay_alu instid0(VALU_DEP_1) | instskip(NEXT) | instid1(VALU_DEP_1)
	v_add_f32_e32 v70, v70, v83
	v_add_f32_e32 v70, v70, v85
	s_delay_alu instid0(VALU_DEP_1) | instskip(SKIP_1) | instid1(VALU_DEP_2)
	v_dual_mul_f32 v72, 0x3fb8aa3b, v72 :: v_dual_add_f32 v69, v70, v86
	v_fma_f32 v70, s18, v102, -v68
	v_exp_f32_e32 v72, v72
	s_delay_alu instid0(VALU_DEP_2) | instskip(NEXT) | instid1(VALU_DEP_2)
	v_dual_add_f32 v69, v69, v87 :: v_dual_mul_f32 v78, 0x3fb8aa3b, v78
	v_mul_f32_e32 v70, 0x3fb8aa3b, v70
	s_delay_alu instid0(VALU_DEP_2) | instskip(NEXT) | instid1(VALU_DEP_1)
	v_exp_f32_e32 v78, v78
	v_exp_f32_e32 v79, v70
	s_delay_alu instid0(TRANS32_DEP_3) | instskip(SKIP_4) | instid1(VALU_DEP_3)
	v_cndmask_b32_e64 v70, 0, v72, s9
	s_waitcnt_depctr 0xfff
	v_cndmask_b32_e64 v84, 0, v78, s7
	v_fma_f32 v78, s18, v103, -v68
	v_cndmask_b32_e64 v71, 0, v79, s11
	v_add_f32_e32 v69, v69, v84
	s_delay_alu instid0(VALU_DEP_1) | instskip(SKIP_2) | instid1(VALU_DEP_1)
	v_add_f32_e32 v72, v69, v88
	v_cndmask_b32_e64 v69, 0, v77, s10
	v_fma_f32 v77, s18, v106, -v68
	v_dual_add_f32 v72, v72, v70 :: v_dual_mul_f32 v77, 0x3fb8aa3b, v77
	s_delay_alu instid0(VALU_DEP_1) | instskip(NEXT) | instid1(VALU_DEP_2)
	v_add_f32_e32 v79, v72, v69
	v_exp_f32_e32 v90, v77
	v_cndmask_b32_e64 v77, 0, v82, s13
	v_mul_f32_e32 v78, 0x3fb8aa3b, v78
	s_delay_alu instid0(VALU_DEP_1) | instskip(SKIP_4) | instid1(VALU_DEP_1)
	v_exp_f32_e32 v78, v78
	s_waitcnt_depctr 0xfff
	v_cndmask_b32_e64 v72, 0, v78, s12
	v_add_f32_e32 v78, v79, v71
	v_fma_f32 v79, s18, v107, -v68
	v_dual_add_f32 v82, v78, v72 :: v_dual_mul_f32 v79, 0x3fb8aa3b, v79
	v_cndmask_b32_e64 v78, 0, v81, s15
	s_delay_alu instid0(VALU_DEP_2) | instskip(NEXT) | instid1(VALU_DEP_3)
	v_add_f32_e32 v81, v82, v77
	v_exp_f32_e32 v82, v79
	v_cndmask_b32_e64 v79, 0, v90, s16
	s_delay_alu instid0(VALU_DEP_2) | instskip(NEXT) | instid1(VALU_DEP_1)
	v_add_f32_e32 v81, v81, v78
	v_add_f32_e32 v90, v81, v79
	s_waitcnt_depctr 0xfff
	v_cndmask_b32_e64 v81, 0, v82, s17
	s_delay_alu instid0(VALU_DEP_1)
	v_add_f32_e32 v82, v90, v81
	ds_bpermute_b32 v89, v89, v82
	s_and_saveexec_b32 s3, s2
	s_cbranch_execz .LBB1812_12
; %bb.11:
	v_mul_u32_u24_e32 v67, 0x44, v66
	s_delay_alu instid0(VALU_DEP_1) | instskip(SKIP_1) | instid1(VALU_DEP_1)
	v_lshl_add_u32 v67, v65, 2, v67
	s_waitcnt lgkmcnt(0)
	v_dual_add_f32 v82, v82, v89 :: v_dual_add_nc_u32 v67, 0x4000, v67
	ds_store_2addr_b32 v67, v68, v82 offset1:136
.LBB1812_12:
	s_or_b32 exec_lo, exec_lo, s3
	v_lshlrev_b32_e32 v67, 2, v65
	s_waitcnt lgkmcnt(0)
	s_barrier
	buffer_gl0_inv
	v_cmp_eq_u32_e32 vcc_lo, 1, v66
	v_add_nc_u32_e32 v82, 0x4000, v67
	v_cmp_eq_u32_e64 s3, 2, v66
	v_cmp_eq_u32_e64 s5, 7, v66
	ds_load_2addr_b32 v[89:90], v82 offset1:17
	ds_load_2addr_b32 v[91:92], v82 offset0:34 offset1:51
	ds_load_2addr_b32 v[93:94], v82 offset0:68 offset1:85
	;; [unrolled: 1-line block ×4, first 2 shown]
	s_waitcnt lgkmcnt(4)
	v_max3_f32 v67, v89, 0xff7fffff, v90
	s_waitcnt lgkmcnt(3)
	s_delay_alu instid0(VALU_DEP_1) | instskip(SKIP_1) | instid1(VALU_DEP_1)
	v_max3_f32 v67, v67, v91, v92
	s_waitcnt lgkmcnt(2)
	v_max3_f32 v67, v67, v93, v94
	s_waitcnt lgkmcnt(1)
	s_delay_alu instid0(VALU_DEP_1) | instskip(NEXT) | instid1(VALU_DEP_1)
	v_max3_f32 v67, v67, v95, v96
	v_sub_f32_e32 v93, v93, v67
	s_delay_alu instid0(VALU_DEP_1) | instskip(NEXT) | instid1(VALU_DEP_1)
	v_dual_sub_f32 v68, v89, v67 :: v_dual_mul_f32 v103, 0x3fb8aa3b, v93
	v_mul_f32_e32 v68, 0x3fb8aa3b, v68
	s_delay_alu instid0(VALU_DEP_1)
	v_exp_f32_e32 v100, v68
	v_sub_f32_e32 v68, v92, v67
	v_sub_f32_e32 v99, v90, v67
	ds_load_2addr_b32 v[89:90], v82 offset0:170 offset1:187
	v_dual_mul_f32 v102, 0x3fb8aa3b, v68 :: v_dual_mul_f32 v99, 0x3fb8aa3b, v99
	s_waitcnt lgkmcnt(1)
	v_fma_f32 v68, v100, v97, 0
	s_delay_alu instid0(VALU_DEP_2) | instskip(NEXT) | instid1(VALU_DEP_2)
	v_exp_f32_e32 v102, v102
	v_exp_f32_e32 v99, v99
	s_waitcnt_depctr 0xfff
	v_fmac_f32_e32 v68, v99, v98
	v_sub_f32_e32 v91, v91, v67
	s_delay_alu instid0(VALU_DEP_1)
	v_mul_f32_e32 v101, 0x3fb8aa3b, v91
	ds_load_2addr_b32 v[91:92], v82 offset0:204 offset1:221
	v_sub_f32_e32 v97, v94, v67
	ds_load_2addr_b32 v[93:94], v82 offset0:238 offset1:255
	s_waitcnt lgkmcnt(0)
	v_exp_f32_e32 v101, v101
	s_barrier
	buffer_gl0_inv
	v_dual_fmac_f32 v68, v101, v89 :: v_dual_sub_f32 v89, v96, v67
	v_dual_sub_f32 v82, v95, v67 :: v_dual_mul_f32 v95, 0x3fb8aa3b, v97
	v_exp_f32_e32 v97, v103
	s_delay_alu instid0(VALU_DEP_2) | instskip(NEXT) | instid1(VALU_DEP_2)
	v_dual_fmac_f32 v68, v102, v90 :: v_dual_mul_f32 v89, 0x3fb8aa3b, v89
	v_mul_f32_e32 v82, 0x3fb8aa3b, v82
	s_delay_alu instid0(VALU_DEP_3) | instskip(NEXT) | instid1(VALU_DEP_2)
	v_exp_f32_e32 v95, v95
	v_exp_f32_e32 v89, v89
	s_delay_alu instid0(VALU_DEP_1)
	v_exp_f32_e32 v82, v82
	v_fmac_f32_e32 v68, v97, v91
	s_delay_alu instid0(TRANS32_DEP_3) | instid1(VALU_DEP_1)
	v_fmac_f32_e32 v68, v95, v92
	s_waitcnt_depctr 0xfff
	v_fmac_f32_e32 v68, v82, v93
	s_delay_alu instid0(VALU_DEP_1) | instskip(NEXT) | instid1(VALU_DEP_1)
	v_fmac_f32_e32 v68, v89, v94
	v_add_f32_e32 v90, 0x358637bd, v68
	s_delay_alu instid0(VALU_DEP_1) | instskip(NEXT) | instid1(VALU_DEP_1)
	v_div_scale_f32 v91, null, v90, v90, 1.0
	v_rcp_f32_e32 v92, v91
	s_waitcnt_depctr 0xfff
	v_fma_f32 v93, -v91, v92, 1.0
	s_delay_alu instid0(VALU_DEP_1) | instskip(SKIP_1) | instid1(VALU_DEP_2)
	v_dual_fmac_f32 v92, v93, v92 :: v_dual_cndmask_b32 v93, v100, v99
	v_cmp_eq_u32_e32 vcc_lo, 3, v66
	v_cndmask_b32_e64 v93, v93, v101, s3
	v_cmp_eq_u32_e64 s3, 4, v66
	s_delay_alu instid0(VALU_DEP_2) | instskip(SKIP_1) | instid1(VALU_DEP_2)
	v_cndmask_b32_e32 v93, v93, v102, vcc_lo
	v_cmp_eq_u32_e32 vcc_lo, 5, v66
	v_cndmask_b32_e64 v93, v93, v97, s3
	v_cmp_eq_u32_e64 s3, 6, v66
	s_delay_alu instid0(VALU_DEP_2) | instskip(SKIP_1) | instid1(VALU_DEP_1)
	v_cndmask_b32_e32 v93, v93, v95, vcc_lo
	v_div_scale_f32 v94, s4, 1.0, v90, 1.0
	s_mov_b32 vcc_lo, s4
	s_delay_alu instid0(VALU_DEP_2) | instskip(NEXT) | instid1(VALU_DEP_2)
	v_cndmask_b32_e64 v82, v93, v82, s3
	v_mul_f32_e32 v96, v94, v92
	s_mov_b32 s3, exec_lo
	s_delay_alu instid0(VALU_DEP_2) | instskip(NEXT) | instid1(VALU_DEP_2)
	v_cndmask_b32_e64 v82, v82, v89, s5
	v_fma_f32 v98, -v91, v96, v94
	s_delay_alu instid0(VALU_DEP_1) | instskip(NEXT) | instid1(VALU_DEP_1)
	v_fmac_f32_e32 v96, v98, v92
	v_fma_f32 v91, -v91, v96, v94
	s_delay_alu instid0(VALU_DEP_1) | instskip(NEXT) | instid1(VALU_DEP_1)
	v_div_fmas_f32 v91, v91, v92, v96
	v_div_fixup_f32 v90, v91, v90, 1.0
	s_delay_alu instid0(VALU_DEP_1) | instskip(NEXT) | instid1(VALU_DEP_1)
	v_mul_f32_e32 v82, v82, v90
	v_mul_f32_e32 v87, v82, v87
	;; [unrolled: 1-line block ×7, first 2 shown]
	v_dual_mul_f32 v86, v82, v83 :: v_dual_and_b32 v91, 0x7f800000, v90
	v_mul_f32_e32 v85, v82, v76
                                        ; implicit-def: $vgpr76
	s_delay_alu instid0(VALU_DEP_2)
	v_cmpx_ne_u32_e32 0x7f800000, v91
	s_xor_b32 s3, exec_lo, s3
; %bb.13:
	v_bfe_u32 v76, v90, 16, 1
	s_delay_alu instid0(VALU_DEP_1)
	v_add3_u32 v76, v90, v76, 0x7fff
                                        ; implicit-def: $vgpr90
; %bb.14:
	s_and_not1_saveexec_b32 s3, s3
; %bb.15:
	v_and_b32_e32 v76, 0xffff, v90
	v_or_b32_e32 v83, 0x10000, v90
	s_delay_alu instid0(VALU_DEP_2) | instskip(NEXT) | instid1(VALU_DEP_2)
	v_cmp_eq_u32_e32 vcc_lo, 0, v76
	v_cndmask_b32_e32 v76, v83, v90, vcc_lo
; %bb.16:
	s_or_b32 exec_lo, exec_lo, s3
	v_and_b32_e32 v83, 0x7f800000, v85
	s_delay_alu instid0(VALU_DEP_1) | instskip(SKIP_1) | instid1(SALU_CYCLE_1)
	v_cmp_ne_u32_e32 vcc_lo, 0x7f800000, v83
                                        ; implicit-def: $vgpr83
	s_and_saveexec_b32 s3, vcc_lo
	s_xor_b32 s3, exec_lo, s3
; %bb.17:
	v_bfe_u32 v83, v85, 16, 1
	s_delay_alu instid0(VALU_DEP_1)
	v_add3_u32 v83, v85, v83, 0x7fff
                                        ; implicit-def: $vgpr85
; %bb.18:
	s_and_not1_saveexec_b32 s3, s3
; %bb.19:
	v_and_b32_e32 v83, 0xffff, v85
	v_or_b32_e32 v90, 0x10000, v85
	s_delay_alu instid0(VALU_DEP_2) | instskip(NEXT) | instid1(VALU_DEP_2)
	v_cmp_eq_u32_e32 vcc_lo, 0, v83
	v_cndmask_b32_e32 v83, v90, v85, vcc_lo
; %bb.20:
	s_or_b32 exec_lo, exec_lo, s3
	v_and_b32_e32 v85, 0x7f800000, v86
	s_delay_alu instid0(VALU_DEP_1) | instskip(SKIP_1) | instid1(SALU_CYCLE_1)
	v_cmp_ne_u32_e32 vcc_lo, 0x7f800000, v85
                                        ; implicit-def: $vgpr85
	s_and_saveexec_b32 s3, vcc_lo
	s_xor_b32 s3, exec_lo, s3
; %bb.21:
	v_bfe_u32 v85, v86, 16, 1
	s_delay_alu instid0(VALU_DEP_1)
	v_add3_u32 v85, v86, v85, 0x7fff
                                        ; implicit-def: $vgpr86
; %bb.22:
	s_and_not1_saveexec_b32 s3, s3
; %bb.23:
	v_and_b32_e32 v85, 0xffff, v86
	v_or_b32_e32 v90, 0x10000, v86
	s_delay_alu instid0(VALU_DEP_2) | instskip(NEXT) | instid1(VALU_DEP_2)
	v_cmp_eq_u32_e32 vcc_lo, 0, v85
	v_cndmask_b32_e32 v85, v90, v86, vcc_lo
; %bb.24:
	s_or_b32 exec_lo, exec_lo, s3
	v_and_b32_e32 v86, 0x7f800000, v89
	s_delay_alu instid0(VALU_DEP_1) | instskip(SKIP_1) | instid1(SALU_CYCLE_1)
	v_cmp_ne_u32_e32 vcc_lo, 0x7f800000, v86
                                        ; implicit-def: $vgpr86
	s_and_saveexec_b32 s3, vcc_lo
	s_xor_b32 s3, exec_lo, s3
; %bb.25:
	v_bfe_u32 v86, v89, 16, 1
	s_delay_alu instid0(VALU_DEP_1)
	v_add3_u32 v86, v89, v86, 0x7fff
                                        ; implicit-def: $vgpr89
; %bb.26:
	s_and_not1_saveexec_b32 s3, s3
; %bb.27:
	v_and_b32_e32 v86, 0xffff, v89
	v_or_b32_e32 v90, 0x10000, v89
	s_delay_alu instid0(VALU_DEP_2) | instskip(NEXT) | instid1(VALU_DEP_2)
	v_cmp_eq_u32_e32 vcc_lo, 0, v86
	v_cndmask_b32_e32 v86, v90, v89, vcc_lo
; %bb.28:
	s_or_b32 exec_lo, exec_lo, s3
	v_and_b32_e32 v89, 0x7f800000, v88
	s_delay_alu instid0(VALU_DEP_1) | instskip(SKIP_1) | instid1(SALU_CYCLE_1)
	v_cmp_ne_u32_e32 vcc_lo, 0x7f800000, v89
                                        ; implicit-def: $vgpr89
	s_and_saveexec_b32 s3, vcc_lo
	s_xor_b32 s3, exec_lo, s3
; %bb.29:
	v_bfe_u32 v89, v88, 16, 1
	s_delay_alu instid0(VALU_DEP_1)
	v_add3_u32 v89, v88, v89, 0x7fff
                                        ; implicit-def: $vgpr88
; %bb.30:
	s_and_not1_saveexec_b32 s3, s3
; %bb.31:
	v_and_b32_e32 v89, 0xffff, v88
	v_or_b32_e32 v90, 0x10000, v88
	s_delay_alu instid0(VALU_DEP_2) | instskip(NEXT) | instid1(VALU_DEP_2)
	v_cmp_eq_u32_e32 vcc_lo, 0, v89
	v_cndmask_b32_e32 v89, v90, v88, vcc_lo
; %bb.32:
	s_or_b32 exec_lo, exec_lo, s3
	v_and_b32_e32 v88, 0x7f800000, v87
	s_delay_alu instid0(VALU_DEP_1) | instskip(SKIP_1) | instid1(SALU_CYCLE_1)
	v_cmp_ne_u32_e32 vcc_lo, 0x7f800000, v88
                                        ; implicit-def: $vgpr88
	s_and_saveexec_b32 s3, vcc_lo
	s_xor_b32 s3, exec_lo, s3
; %bb.33:
	v_bfe_u32 v88, v87, 16, 1
	s_delay_alu instid0(VALU_DEP_1)
	v_add3_u32 v88, v87, v88, 0x7fff
                                        ; implicit-def: $vgpr87
; %bb.34:
	s_and_not1_saveexec_b32 s3, s3
; %bb.35:
	v_and_b32_e32 v88, 0xffff, v87
	v_or_b32_e32 v90, 0x10000, v87
	s_delay_alu instid0(VALU_DEP_2) | instskip(NEXT) | instid1(VALU_DEP_2)
	v_cmp_eq_u32_e32 vcc_lo, 0, v88
	v_cndmask_b32_e32 v88, v90, v87, vcc_lo
; %bb.36:
	s_or_b32 exec_lo, exec_lo, s3
	v_and_b32_e32 v87, 0x7f800000, v84
	s_delay_alu instid0(VALU_DEP_1) | instskip(SKIP_1) | instid1(SALU_CYCLE_1)
	v_cmp_ne_u32_e32 vcc_lo, 0x7f800000, v87
                                        ; implicit-def: $vgpr87
	s_and_saveexec_b32 s3, vcc_lo
	s_xor_b32 s3, exec_lo, s3
; %bb.37:
	v_bfe_u32 v87, v84, 16, 1
	s_delay_alu instid0(VALU_DEP_1)
	v_add3_u32 v87, v84, v87, 0x7fff
                                        ; implicit-def: $vgpr84
; %bb.38:
	s_and_not1_saveexec_b32 s3, s3
; %bb.39:
	v_and_b32_e32 v87, 0xffff, v84
	v_or_b32_e32 v90, 0x10000, v84
	s_delay_alu instid0(VALU_DEP_2) | instskip(NEXT) | instid1(VALU_DEP_2)
	v_cmp_eq_u32_e32 vcc_lo, 0, v87
	v_cndmask_b32_e32 v87, v90, v84, vcc_lo
; %bb.40:
	s_or_b32 exec_lo, exec_lo, s3
	v_and_b32_e32 v84, 0x7f800000, v80
	s_delay_alu instid0(VALU_DEP_1) | instskip(SKIP_1) | instid1(SALU_CYCLE_1)
	v_cmp_ne_u32_e32 vcc_lo, 0x7f800000, v84
                                        ; implicit-def: $vgpr84
	s_and_saveexec_b32 s3, vcc_lo
	s_xor_b32 s3, exec_lo, s3
; %bb.41:
	v_bfe_u32 v84, v80, 16, 1
	s_delay_alu instid0(VALU_DEP_1)
	v_add3_u32 v84, v80, v84, 0x7fff
                                        ; implicit-def: $vgpr80
; %bb.42:
	s_and_not1_saveexec_b32 s3, s3
; %bb.43:
	v_and_b32_e32 v84, 0xffff, v80
	v_or_b32_e32 v90, 0x10000, v80
	s_delay_alu instid0(VALU_DEP_2) | instskip(NEXT) | instid1(VALU_DEP_2)
	v_cmp_eq_u32_e32 vcc_lo, 0, v84
	v_cndmask_b32_e32 v84, v90, v80, vcc_lo
; %bb.44:
	s_or_b32 exec_lo, exec_lo, s3
	s_load_b64 s[34:35], s[0:1], 0x94
	v_lshlrev_b32_e32 v91, 4, v74
	s_delay_alu instid0(VALU_DEP_2)
	v_perm_b32 v90, v84, v87, 0x7060302
	v_dual_mul_f32 v79, v82, v79 :: v_dual_lshlrev_b32 v80, 6, v65
	v_dual_mul_f32 v77, v82, v77 :: v_dual_lshlrev_b32 v92, 11, v66
	v_mul_f32_e32 v84, v82, v70
	v_perm_b32 v89, v88, v89, 0x7060302
	v_perm_b32 v88, v86, v85, 0x7060302
	;; [unrolled: 1-line block ×3, first 2 shown]
	v_mul_f32_e32 v70, v82, v81
	v_or3_b32 v76, v91, v92, v80
	v_dual_mul_f32 v78, v82, v78 :: v_dual_and_b32 v85, 0x7f800000, v84
	v_mul_f32_e32 v83, v82, v72
	v_mul_f32_e32 v81, v82, v71
	;; [unrolled: 1-line block ×3, first 2 shown]
	s_mov_b32 s3, exec_lo
	ds_store_b128 v76, v[87:90]
                                        ; implicit-def: $vgpr69
	v_cmpx_ne_u32_e32 0x7f800000, v85
	s_xor_b32 s3, exec_lo, s3
; %bb.45:
	v_bfe_u32 v69, v84, 16, 1
	s_delay_alu instid0(VALU_DEP_1)
	v_add3_u32 v69, v84, v69, 0x7fff
                                        ; implicit-def: $vgpr84
; %bb.46:
	s_and_not1_saveexec_b32 s3, s3
; %bb.47:
	v_and_b32_e32 v69, 0xffff, v84
	v_or_b32_e32 v71, 0x10000, v84
	s_delay_alu instid0(VALU_DEP_2) | instskip(NEXT) | instid1(VALU_DEP_2)
	v_cmp_eq_u32_e32 vcc_lo, 0, v69
	v_cndmask_b32_e32 v69, v71, v84, vcc_lo
; %bb.48:
	s_or_b32 exec_lo, exec_lo, s3
	v_and_b32_e32 v71, 0x7f800000, v72
	s_delay_alu instid0(VALU_DEP_1) | instskip(SKIP_1) | instid1(SALU_CYCLE_1)
	v_cmp_ne_u32_e32 vcc_lo, 0x7f800000, v71
                                        ; implicit-def: $vgpr71
	s_and_saveexec_b32 s3, vcc_lo
	s_xor_b32 s3, exec_lo, s3
; %bb.49:
	v_bfe_u32 v71, v72, 16, 1
	s_delay_alu instid0(VALU_DEP_1)
	v_add3_u32 v71, v72, v71, 0x7fff
                                        ; implicit-def: $vgpr72
; %bb.50:
	s_and_not1_saveexec_b32 s3, s3
; %bb.51:
	v_and_b32_e32 v71, 0xffff, v72
	v_or_b32_e32 v82, 0x10000, v72
	s_delay_alu instid0(VALU_DEP_2) | instskip(NEXT) | instid1(VALU_DEP_2)
	v_cmp_eq_u32_e32 vcc_lo, 0, v71
	v_cndmask_b32_e32 v71, v82, v72, vcc_lo
; %bb.52:
	s_or_b32 exec_lo, exec_lo, s3
	v_and_b32_e32 v72, 0x7f800000, v81
	s_delay_alu instid0(VALU_DEP_1) | instskip(SKIP_1) | instid1(SALU_CYCLE_1)
	v_cmp_ne_u32_e32 vcc_lo, 0x7f800000, v72
                                        ; implicit-def: $vgpr72
	s_and_saveexec_b32 s3, vcc_lo
	s_xor_b32 s3, exec_lo, s3
; %bb.53:
	v_bfe_u32 v72, v81, 16, 1
	s_delay_alu instid0(VALU_DEP_1)
	v_add3_u32 v72, v81, v72, 0x7fff
                                        ; implicit-def: $vgpr81
; %bb.54:
	s_and_not1_saveexec_b32 s3, s3
; %bb.55:
	v_and_b32_e32 v72, 0xffff, v81
	v_or_b32_e32 v82, 0x10000, v81
	s_delay_alu instid0(VALU_DEP_2) | instskip(NEXT) | instid1(VALU_DEP_2)
	v_cmp_eq_u32_e32 vcc_lo, 0, v72
	v_cndmask_b32_e32 v72, v82, v81, vcc_lo
; %bb.56:
	s_or_b32 exec_lo, exec_lo, s3
	v_and_b32_e32 v81, 0x7f800000, v83
	s_delay_alu instid0(VALU_DEP_1) | instskip(SKIP_1) | instid1(SALU_CYCLE_1)
	v_cmp_ne_u32_e32 vcc_lo, 0x7f800000, v81
                                        ; implicit-def: $vgpr81
	s_and_saveexec_b32 s3, vcc_lo
	s_xor_b32 s3, exec_lo, s3
; %bb.57:
	v_bfe_u32 v81, v83, 16, 1
	s_delay_alu instid0(VALU_DEP_1)
	v_add3_u32 v81, v83, v81, 0x7fff
                                        ; implicit-def: $vgpr83
; %bb.58:
	s_and_not1_saveexec_b32 s3, s3
; %bb.59:
	v_and_b32_e32 v81, 0xffff, v83
	v_or_b32_e32 v82, 0x10000, v83
	s_delay_alu instid0(VALU_DEP_2) | instskip(NEXT) | instid1(VALU_DEP_2)
	v_cmp_eq_u32_e32 vcc_lo, 0, v81
	v_cndmask_b32_e32 v81, v82, v83, vcc_lo
; %bb.60:
	s_or_b32 exec_lo, exec_lo, s3
	v_and_b32_e32 v82, 0x7f800000, v77
	s_delay_alu instid0(VALU_DEP_1) | instskip(SKIP_1) | instid1(SALU_CYCLE_1)
	v_cmp_ne_u32_e32 vcc_lo, 0x7f800000, v82
                                        ; implicit-def: $vgpr82
	s_and_saveexec_b32 s3, vcc_lo
	s_xor_b32 s3, exec_lo, s3
; %bb.61:
	v_bfe_u32 v82, v77, 16, 1
	s_delay_alu instid0(VALU_DEP_1)
	v_add3_u32 v82, v77, v82, 0x7fff
                                        ; implicit-def: $vgpr77
; %bb.62:
	s_and_not1_saveexec_b32 s3, s3
; %bb.63:
	v_and_b32_e32 v82, 0xffff, v77
	v_or_b32_e32 v83, 0x10000, v77
	s_delay_alu instid0(VALU_DEP_2) | instskip(NEXT) | instid1(VALU_DEP_2)
	v_cmp_eq_u32_e32 vcc_lo, 0, v82
	v_cndmask_b32_e32 v82, v83, v77, vcc_lo
; %bb.64:
	s_or_b32 exec_lo, exec_lo, s3
	v_and_b32_e32 v77, 0x7f800000, v78
	s_delay_alu instid0(VALU_DEP_1) | instskip(SKIP_1) | instid1(SALU_CYCLE_1)
	v_cmp_ne_u32_e32 vcc_lo, 0x7f800000, v77
                                        ; implicit-def: $vgpr77
	s_and_saveexec_b32 s3, vcc_lo
	s_xor_b32 s3, exec_lo, s3
; %bb.65:
	v_bfe_u32 v77, v78, 16, 1
	s_delay_alu instid0(VALU_DEP_1)
	v_add3_u32 v77, v78, v77, 0x7fff
                                        ; implicit-def: $vgpr78
; %bb.66:
	s_and_not1_saveexec_b32 s3, s3
; %bb.67:
	v_and_b32_e32 v77, 0xffff, v78
	v_or_b32_e32 v83, 0x10000, v78
	s_delay_alu instid0(VALU_DEP_2) | instskip(NEXT) | instid1(VALU_DEP_2)
	v_cmp_eq_u32_e32 vcc_lo, 0, v77
	v_cndmask_b32_e32 v77, v83, v78, vcc_lo
; %bb.68:
	s_or_b32 exec_lo, exec_lo, s3
	v_and_b32_e32 v78, 0x7f800000, v79
	s_delay_alu instid0(VALU_DEP_1) | instskip(SKIP_1) | instid1(SALU_CYCLE_1)
	v_cmp_ne_u32_e32 vcc_lo, 0x7f800000, v78
                                        ; implicit-def: $vgpr78
	s_and_saveexec_b32 s3, vcc_lo
	s_xor_b32 s3, exec_lo, s3
; %bb.69:
	v_bfe_u32 v78, v79, 16, 1
	s_delay_alu instid0(VALU_DEP_1)
	v_add3_u32 v78, v79, v78, 0x7fff
                                        ; implicit-def: $vgpr79
; %bb.70:
	s_and_not1_saveexec_b32 s3, s3
; %bb.71:
	v_and_b32_e32 v78, 0xffff, v79
	v_or_b32_e32 v83, 0x10000, v79
	s_delay_alu instid0(VALU_DEP_2) | instskip(NEXT) | instid1(VALU_DEP_2)
	v_cmp_eq_u32_e32 vcc_lo, 0, v78
	v_cndmask_b32_e32 v78, v83, v79, vcc_lo
; %bb.72:
	s_or_b32 exec_lo, exec_lo, s3
	v_and_b32_e32 v79, 0x7f800000, v70
	s_delay_alu instid0(VALU_DEP_1) | instskip(SKIP_1) | instid1(SALU_CYCLE_1)
	v_cmp_ne_u32_e32 vcc_lo, 0x7f800000, v79
                                        ; implicit-def: $vgpr79
	s_and_saveexec_b32 s3, vcc_lo
	s_xor_b32 s3, exec_lo, s3
; %bb.73:
	v_bfe_u32 v79, v70, 16, 1
	s_delay_alu instid0(VALU_DEP_1)
	v_add3_u32 v79, v70, v79, 0x7fff
                                        ; implicit-def: $vgpr70
; %bb.74:
	s_and_not1_saveexec_b32 s3, s3
; %bb.75:
	v_and_b32_e32 v79, 0xffff, v70
	v_or_b32_e32 v83, 0x10000, v70
	s_delay_alu instid0(VALU_DEP_2) | instskip(NEXT) | instid1(VALU_DEP_2)
	v_cmp_eq_u32_e32 vcc_lo, 0, v79
	v_cndmask_b32_e32 v79, v83, v70, vcc_lo
; %bb.76:
	s_or_b32 exec_lo, exec_lo, s3
	s_delay_alu instid0(VALU_DEP_1)
	v_perm_b32 v86, v79, v78, 0x7060302
	v_perm_b32 v85, v77, v82, 0x7060302
	;; [unrolled: 1-line block ×4, first 2 shown]
	v_lshl_or_b32 v82, v66, 11, v80
	ds_store_b128 v76, v[83:86] offset:1024
	s_waitcnt lgkmcnt(0)
	s_barrier
	buffer_gl0_inv
	ds_load_b128 v[69:72], v82
	ds_load_b128 v[83:86], v82 offset:16
	s_waitcnt lgkmcnt(1)
	v_lshrrev_b32_e32 v66, 16, v69
	s_waitcnt lgkmcnt(0)
	v_lshrrev_b32_e32 v91, 16, v83
	v_lshlrev_b32_e32 v78, 2, v74
	v_lshrrev_b32_e32 v95, 16, v70
	v_lshrrev_b32_e32 v98, 16, v84
	;; [unrolled: 1-line block ×4, first 2 shown]
	v_cmp_eq_u32_e32 vcc_lo, 1, v78
	v_lshrrev_b32_e32 v97, 16, v72
	v_lshrrev_b32_e32 v100, 16, v86
	v_cndmask_b32_e32 v87, v83, v91, vcc_lo
	v_or_b32_e32 v79, 1, v78
	v_cndmask_b32_e32 v81, v69, v66, vcc_lo
	v_cmp_eq_u32_e64 s4, 2, v78
	v_cmp_eq_u32_e64 s7, 3, v78
	;; [unrolled: 1-line block ×5, first 2 shown]
	v_cndmask_b32_e64 v81, v81, v70, s4
	v_cndmask_b32_e64 v87, v87, v84, s4
	v_cmp_eq_u32_e64 s8, 3, v79
	v_cndmask_b32_e64 v88, v69, v66, s3
	v_or_b32_e32 v77, 2, v78
	v_cndmask_b32_e64 v81, v81, v95, s7
	v_cndmask_b32_e64 v87, v87, v98, s7
	;; [unrolled: 1-line block ×4, first 2 shown]
	v_cmp_eq_u32_e64 s10, 5, v78
	v_cndmask_b32_e64 v81, v81, v71, s9
	v_cndmask_b32_e64 v87, v87, v85, s9
	v_cmp_eq_u32_e64 s11, 4, v79
	v_cndmask_b32_e64 v88, v88, v95, s8
	v_cmp_eq_u32_e64 s5, 1, v77
	v_cndmask_b32_e64 v89, v89, v84, s6
	v_cndmask_b32_e64 v81, v81, v96, s10
	v_cmp_eq_u32_e64 s12, 6, v78
	v_cndmask_b32_e64 v88, v88, v71, s11
	;; [unrolled: 3-line block ×3, first 2 shown]
	v_cndmask_b32_e64 v89, v89, v98, s8
	v_cndmask_b32_e64 v81, v81, v72, s12
	v_cmp_eq_u32_e64 s15, 7, v78
	v_cndmask_b32_e64 v88, v88, v96, s13
	v_cndmask_b32_e64 v87, v87, v86, s12
	v_cmp_eq_u32_e64 s16, 6, v79
	v_cmp_eq_u32_e64 s17, 2, v77
	v_cndmask_b32_e64 v89, v89, v85, s11
	v_cndmask_b32_e64 v101, v81, v97, s15
	;; [unrolled: 1-line block ×6, first 2 shown]
	v_cmp_eq_u32_e64 s18, 7, v79
	v_cmp_eq_u32_e64 s19, 3, v77
	;; [unrolled: 1-line block ×4, first 2 shown]
	v_cndmask_b32_e64 v87, v87, v84, s17
	v_cndmask_b32_e64 v103, v88, v97, s18
	;; [unrolled: 1-line block ×4, first 2 shown]
	v_or_b32_e32 v81, 3, v78
	v_cndmask_b32_e64 v93, v87, v98, s19
	v_cmp_eq_u32_e64 s24, 6, v77
	v_cndmask_b32_e64 v104, v88, v86, s16
	v_cndmask_b32_e64 v92, v89, v71, s20
	v_cmp_eq_u32_e64 s21, 1, v81
	ds_load_b128 v[87:90], v82 offset:1024
	v_cmp_eq_u32_e64 s23, 2, v81
	v_cmp_eq_u32_e64 s25, 3, v81
	v_cndmask_b32_e64 v105, v92, v96, s22
	v_cndmask_b32_e64 v66, v69, v66, s21
	;; [unrolled: 1-line block ×4, first 2 shown]
	ds_load_b128 v[91:94], v82 offset:1040
	v_cmp_eq_u32_e64 s26, 4, v81
	v_cndmask_b32_e64 v66, v66, v70, s23
	v_cmp_eq_u32_e64 s27, 7, v77
	v_cndmask_b32_e64 v70, v83, v84, s23
	v_cndmask_b32_e64 v84, v105, v72, s24
	v_cmp_eq_u32_e64 s28, 5, v81
	v_cndmask_b32_e64 v66, v66, v95, s25
	v_cmp_eq_u32_e64 s29, 6, v81
	v_cndmask_b32_e64 v70, v70, v98, s25
	v_cndmask_b32_e64 v69, v69, v99, s22
	v_cndmask_b32_e64 v83, v104, v100, s18
	v_cndmask_b32_e64 v66, v66, v71, s26
	s_waitcnt lgkmcnt(1)
	v_lshrrev_b32_e32 v95, 16, v87
	v_cndmask_b32_e64 v70, v70, v85, s26
	v_cndmask_b32_e64 v71, v84, v97, s27
	;; [unrolled: 1-line block ×4, first 2 shown]
	v_cndmask_b32_e32 v84, v87, v95, vcc_lo
	v_cndmask_b32_e64 v70, v70, v99, s28
	s_waitcnt lgkmcnt(0)
	v_lshrrev_b32_e32 v85, 16, v91
	v_lshrrev_b32_e32 v96, 16, v88
	v_cndmask_b32_e64 v98, v87, v95, s3
	v_cndmask_b32_e64 v84, v84, v88, s4
	;; [unrolled: 1-line block ×3, first 2 shown]
	v_cndmask_b32_e32 v99, v91, v85, vcc_lo
	v_cmp_eq_u32_e32 vcc_lo, 7, v81
	v_cndmask_b32_e64 v66, v66, v72, s29
	v_cndmask_b32_e64 v72, v84, v96, s7
	;; [unrolled: 1-line block ×3, first 2 shown]
	v_lshrrev_b32_e32 v98, 16, v92
	v_cndmask_b32_e32 v70, v70, v100, vcc_lo
	v_cndmask_b32_e64 v86, v99, v92, s4
	v_cndmask_b32_e64 v69, v69, v100, s27
	v_lshrrev_b32_e32 v100, 16, v93
	v_cndmask_b32_e64 v72, v72, v89, s9
	v_lshrrev_b32_e32 v99, 16, v89
	v_cndmask_b32_e64 v86, v86, v98, s7
	v_perm_b32 v71, v69, v71, 0x5040100
	v_cndmask_b32_e64 v84, v84, v96, s8
	s_delay_alu instid0(VALU_DEP_3) | instskip(NEXT) | instid1(VALU_DEP_2)
	v_cndmask_b32_e64 v86, v86, v93, s9
	v_cndmask_b32_e64 v84, v84, v89, s11
	s_delay_alu instid0(VALU_DEP_2) | instskip(NEXT) | instid1(VALU_DEP_1)
	v_cndmask_b32_e64 v86, v86, v100, s10
	v_cndmask_b32_e64 v69, v86, v94, s12
	v_cndmask_b32_e64 v86, v87, v95, s5
	v_cndmask_b32_e64 v87, v87, v95, s21
	v_cndmask_b32_e64 v95, v91, v85, s21
	s_delay_alu instid0(VALU_DEP_3) | instskip(NEXT) | instid1(VALU_DEP_3)
	v_cndmask_b32_e64 v86, v86, v88, s17
	v_cndmask_b32_e64 v87, v87, v88, s23
	s_delay_alu instid0(VALU_DEP_3) | instskip(NEXT) | instid1(VALU_DEP_3)
	v_cndmask_b32_e64 v88, v95, v92, s23
	v_cndmask_b32_e64 v86, v86, v96, s19
	;; [unrolled: 3-line block ×7, first 2 shown]
	s_delay_alu instid0(VALU_DEP_3) | instskip(SKIP_2) | instid1(VALU_DEP_2)
	v_cndmask_b32_e64 v88, v88, v94, s29
	v_cndmask_b32_e32 v66, v66, v97, vcc_lo
	v_cndmask_b32_e64 v97, v72, v99, s10
	v_perm_b32 v72, v70, v66, 0x5040100
	v_perm_b32 v70, v83, v103, 0x5040100
	v_cndmask_b32_e64 v103, v91, v85, s5
	v_cndmask_b32_e64 v85, v91, v85, s3
	;; [unrolled: 1-line block ×4, first 2 shown]
	v_lshrrev_b32_e32 v97, 16, v90
	v_cndmask_b32_e64 v91, v103, v92, s17
	v_cndmask_b32_e64 v85, v85, v92, s6
	;; [unrolled: 1-line block ×3, first 2 shown]
	s_mov_b32 s3, exec_lo
	v_cndmask_b32_e64 v83, v84, v97, s15
	v_cndmask_b32_e64 v91, v91, v98, s19
	;; [unrolled: 1-line block ×3, first 2 shown]
	v_lshrrev_b32_e32 v84, 16, v94
	v_cndmask_b32_e64 v66, v66, v97, s18
	v_cndmask_b32_e64 v90, v86, v97, s27
	;; [unrolled: 1-line block ×4, first 2 shown]
	v_dual_cndmask_b32 v86, v87, v97 :: v_dual_cndmask_b32 v87, v88, v84
	v_cndmask_b32_e64 v91, v69, v84, s15
	s_delay_alu instid0(VALU_DEP_4) | instskip(NEXT) | instid1(VALU_DEP_4)
	v_cndmask_b32_e64 v89, v89, v100, s22
	v_cndmask_b32_e64 v85, v85, v100, s13
	v_perm_b32 v69, v102, v101, 0x5040100
	v_perm_b32 v86, v87, v86, 0x5040100
	;; [unrolled: 1-line block ×3, first 2 shown]
	v_cndmask_b32_e64 v89, v89, v94, s24
	v_cndmask_b32_e64 v85, v85, v94, s16
	s_mul_i32 s8, s35, 7
	s_delay_alu instid0(VALU_DEP_2) | instskip(NEXT) | instid1(VALU_DEP_2)
	v_cndmask_b32_e64 v88, v89, v84, s27
	v_cndmask_b32_e64 v89, v85, v84, s18
	s_delay_alu instid0(VALU_DEP_2) | instskip(NEXT) | instid1(VALU_DEP_2)
	v_perm_b32 v85, v88, v90, 0x5040100
	v_perm_b32 v84, v89, v66, 0x5040100
	ds_store_b128 v76, v[69:72]
	ds_store_b128 v76, v[83:86] offset:1024
	v_cmpx_gt_u32_e32 7, v0
	s_cbranch_execz .LBB1812_78
; %bb.77:
	s_mul_i32 s4, s8, s30
	s_delay_alu instid0(SALU_CYCLE_1) | instskip(SKIP_1) | instid1(VALU_DEP_1)
	v_add3_u32 v69, s4, s31, v65
	s_load_b128 s[4:7], s[0:1], 0x58
	v_mad_u64_u32 v[65:66], null, v69, s34, s[14:15]
	s_delay_alu instid0(VALU_DEP_1) | instskip(NEXT) | instid1(VALU_DEP_1)
	v_ashrrev_i32_e32 v66, 31, v65
	v_lshlrev_b64 v[65:66], 2, v[65:66]
	s_waitcnt lgkmcnt(0)
	s_delay_alu instid0(VALU_DEP_1) | instskip(NEXT) | instid1(VALU_DEP_2)
	v_add_co_u32 v69, vcc_lo, s6, v65
	v_add_co_ci_u32_e32 v70, vcc_lo, s7, v66, vcc_lo
	v_add_co_u32 v65, vcc_lo, s4, v65
	v_add_co_ci_u32_e32 v66, vcc_lo, s5, v66, vcc_lo
	global_store_b32 v[69:70], v67, off
	global_store_b32 v[65:66], v68, off
.LBB1812_78:
	s_or_b32 exec_lo, exec_lo, s3
	s_waitcnt lgkmcnt(0)
	s_waitcnt_vscnt null, 0x0
	s_barrier
	buffer_gl0_inv
	ds_load_b128 v[83:86], v80
	ds_load_b128 v[87:90], v80 offset:16
	ds_load_b128 v[95:98], v80 offset:2064
	;; [unrolled: 1-line block ×3, first 2 shown]
	v_mov_b32_e32 v65, 0
	ds_load_b128 v[103:106], v80 offset:4112
	ds_load_b128 v[99:102], v80 offset:4096
	;; [unrolled: 1-line block ×4, first 2 shown]
	v_mov_b32_e32 v66, v65
	v_mov_b32_e32 v67, v65
	;; [unrolled: 1-line block ×7, first 2 shown]
	s_waitcnt lgkmcnt(6)
	s_delay_alu instid0(VALU_DEP_1)
	v_wmma_f32_16x16x16_bf16 v[65:72], v[41:48], v[83:90], v[65:72]
	ds_load_b128 v[45:48], v80 offset:8208
	ds_load_b128 v[41:44], v80 offset:8192
	s_waitcnt lgkmcnt(6)
	v_wmma_f32_16x16x16_bf16 v[65:72], v[33:40], v[91:98], v[65:72]
	ds_load_b128 v[37:40], v80 offset:10256
	ds_load_b128 v[33:36], v80 offset:10240
	s_waitcnt lgkmcnt(6)
	;; [unrolled: 4-line block ×4, first 2 shown]
	v_wmma_f32_16x16x16_bf16 v[65:72], v[1:8], v[41:48], v[65:72]
	s_waitcnt lgkmcnt(4)
	s_delay_alu instid0(VALU_DEP_1) | instskip(SKIP_1) | instid1(VALU_DEP_1)
	v_wmma_f32_16x16x16_bf16 v[65:72], v[9:16], v[33:40], v[65:72]
	s_waitcnt lgkmcnt(2)
	v_wmma_f32_16x16x16_bf16 v[65:72], v[57:64], v[25:32], v[65:72]
	s_waitcnt lgkmcnt(0)
	s_delay_alu instid0(VALU_DEP_1) | instskip(NEXT) | instid1(VALU_DEP_1)
	v_wmma_f32_16x16x16_bf16 v[65:72], v[49:56], v[17:24], v[65:72]
	v_and_b32_e32 v1, 0x7f800000, v65
	s_delay_alu instid0(VALU_DEP_1) | instskip(SKIP_1) | instid1(SALU_CYCLE_1)
	v_cmp_ne_u32_e32 vcc_lo, 0x7f800000, v1
                                        ; implicit-def: $vgpr1
	s_and_saveexec_b32 s3, vcc_lo
	s_xor_b32 s3, exec_lo, s3
; %bb.79:
	v_bfe_u32 v1, v65, 16, 1
	s_delay_alu instid0(VALU_DEP_1)
	v_add3_u32 v1, v65, v1, 0x7fff
; %bb.80:
	s_and_not1_saveexec_b32 s3, s3
; %bb.81:
	v_and_b32_e32 v1, 0xffff, v65
	v_or_b32_e32 v2, 0x10000, v65
	s_delay_alu instid0(VALU_DEP_2) | instskip(NEXT) | instid1(VALU_DEP_2)
	v_cmp_eq_u32_e32 vcc_lo, 0, v1
	v_cndmask_b32_e32 v1, v2, v65, vcc_lo
; %bb.82:
	s_or_b32 exec_lo, exec_lo, s3
	v_and_b32_e32 v2, 0x7f800000, v66
	s_delay_alu instid0(VALU_DEP_1) | instskip(SKIP_1) | instid1(SALU_CYCLE_1)
	v_cmp_ne_u32_e32 vcc_lo, 0x7f800000, v2
                                        ; implicit-def: $vgpr2
	s_and_saveexec_b32 s3, vcc_lo
	s_xor_b32 s3, exec_lo, s3
; %bb.83:
	v_bfe_u32 v2, v66, 16, 1
	s_delay_alu instid0(VALU_DEP_1)
	v_add3_u32 v2, v66, v2, 0x7fff
; %bb.84:
	s_and_not1_saveexec_b32 s3, s3
; %bb.85:
	v_and_b32_e32 v2, 0xffff, v66
	v_or_b32_e32 v3, 0x10000, v66
	s_delay_alu instid0(VALU_DEP_2) | instskip(NEXT) | instid1(VALU_DEP_2)
	v_cmp_eq_u32_e32 vcc_lo, 0, v2
	v_cndmask_b32_e32 v2, v3, v66, vcc_lo
; %bb.86:
	s_or_b32 exec_lo, exec_lo, s3
	v_and_b32_e32 v3, 0x7f800000, v67
	s_delay_alu instid0(VALU_DEP_1) | instskip(SKIP_1) | instid1(SALU_CYCLE_1)
	v_cmp_ne_u32_e32 vcc_lo, 0x7f800000, v3
                                        ; implicit-def: $vgpr3
	s_and_saveexec_b32 s3, vcc_lo
	s_xor_b32 s3, exec_lo, s3
; %bb.87:
	v_bfe_u32 v3, v67, 16, 1
	s_delay_alu instid0(VALU_DEP_1)
	v_add3_u32 v3, v67, v3, 0x7fff
; %bb.88:
	s_and_not1_saveexec_b32 s3, s3
; %bb.89:
	v_and_b32_e32 v3, 0xffff, v67
	v_or_b32_e32 v4, 0x10000, v67
	s_delay_alu instid0(VALU_DEP_2) | instskip(NEXT) | instid1(VALU_DEP_2)
	v_cmp_eq_u32_e32 vcc_lo, 0, v3
	v_cndmask_b32_e32 v3, v4, v67, vcc_lo
; %bb.90:
	s_or_b32 exec_lo, exec_lo, s3
	v_and_b32_e32 v4, 0x7f800000, v68
	s_delay_alu instid0(VALU_DEP_1) | instskip(SKIP_1) | instid1(SALU_CYCLE_1)
	v_cmp_ne_u32_e32 vcc_lo, 0x7f800000, v4
                                        ; implicit-def: $vgpr4
	s_and_saveexec_b32 s3, vcc_lo
	s_xor_b32 s3, exec_lo, s3
; %bb.91:
	v_bfe_u32 v4, v68, 16, 1
	s_delay_alu instid0(VALU_DEP_1)
	v_add3_u32 v4, v68, v4, 0x7fff
; %bb.92:
	s_and_not1_saveexec_b32 s3, s3
; %bb.93:
	v_and_b32_e32 v4, 0xffff, v68
	v_or_b32_e32 v5, 0x10000, v68
	s_delay_alu instid0(VALU_DEP_2) | instskip(NEXT) | instid1(VALU_DEP_2)
	v_cmp_eq_u32_e32 vcc_lo, 0, v4
	v_cndmask_b32_e32 v4, v5, v68, vcc_lo
; %bb.94:
	s_or_b32 exec_lo, exec_lo, s3
	v_and_b32_e32 v5, 0x7f800000, v69
	s_delay_alu instid0(VALU_DEP_1) | instskip(SKIP_1) | instid1(SALU_CYCLE_1)
	v_cmp_ne_u32_e32 vcc_lo, 0x7f800000, v5
                                        ; implicit-def: $vgpr5
	s_and_saveexec_b32 s3, vcc_lo
	s_xor_b32 s3, exec_lo, s3
; %bb.95:
	v_bfe_u32 v5, v69, 16, 1
	s_delay_alu instid0(VALU_DEP_1)
	v_add3_u32 v5, v69, v5, 0x7fff
; %bb.96:
	s_and_not1_saveexec_b32 s3, s3
; %bb.97:
	v_and_b32_e32 v5, 0xffff, v69
	v_or_b32_e32 v6, 0x10000, v69
	s_delay_alu instid0(VALU_DEP_2) | instskip(NEXT) | instid1(VALU_DEP_2)
	v_cmp_eq_u32_e32 vcc_lo, 0, v5
	v_cndmask_b32_e32 v5, v6, v69, vcc_lo
; %bb.98:
	s_or_b32 exec_lo, exec_lo, s3
	v_and_b32_e32 v6, 0x7f800000, v70
	s_delay_alu instid0(VALU_DEP_1) | instskip(SKIP_1) | instid1(SALU_CYCLE_1)
	v_cmp_ne_u32_e32 vcc_lo, 0x7f800000, v6
                                        ; implicit-def: $vgpr6
	s_and_saveexec_b32 s3, vcc_lo
	s_xor_b32 s3, exec_lo, s3
; %bb.99:
	v_bfe_u32 v6, v70, 16, 1
	s_delay_alu instid0(VALU_DEP_1)
	v_add3_u32 v6, v70, v6, 0x7fff
; %bb.100:
	s_and_not1_saveexec_b32 s3, s3
; %bb.101:
	v_and_b32_e32 v6, 0xffff, v70
	v_or_b32_e32 v7, 0x10000, v70
	s_delay_alu instid0(VALU_DEP_2) | instskip(NEXT) | instid1(VALU_DEP_2)
	v_cmp_eq_u32_e32 vcc_lo, 0, v6
	v_cndmask_b32_e32 v6, v7, v70, vcc_lo
; %bb.102:
	s_or_b32 exec_lo, exec_lo, s3
	v_and_b32_e32 v7, 0x7f800000, v71
	s_delay_alu instid0(VALU_DEP_1) | instskip(SKIP_1) | instid1(SALU_CYCLE_1)
	v_cmp_ne_u32_e32 vcc_lo, 0x7f800000, v7
                                        ; implicit-def: $vgpr7
	s_and_saveexec_b32 s3, vcc_lo
	s_xor_b32 s3, exec_lo, s3
; %bb.103:
	v_bfe_u32 v7, v71, 16, 1
	s_delay_alu instid0(VALU_DEP_1)
	v_add3_u32 v7, v71, v7, 0x7fff
; %bb.104:
	s_and_not1_saveexec_b32 s3, s3
; %bb.105:
	v_and_b32_e32 v7, 0xffff, v71
	v_or_b32_e32 v8, 0x10000, v71
	s_delay_alu instid0(VALU_DEP_2) | instskip(NEXT) | instid1(VALU_DEP_2)
	v_cmp_eq_u32_e32 vcc_lo, 0, v7
	v_cndmask_b32_e32 v7, v8, v71, vcc_lo
; %bb.106:
	s_or_b32 exec_lo, exec_lo, s3
	v_and_b32_e32 v8, 0x7f800000, v72
	s_delay_alu instid0(VALU_DEP_1) | instskip(SKIP_1) | instid1(SALU_CYCLE_1)
	v_cmp_ne_u32_e32 vcc_lo, 0x7f800000, v8
                                        ; implicit-def: $vgpr8
	s_and_saveexec_b32 s3, vcc_lo
	s_xor_b32 s3, exec_lo, s3
; %bb.107:
	v_bfe_u32 v8, v72, 16, 1
	s_delay_alu instid0(VALU_DEP_1)
	v_add3_u32 v8, v72, v8, 0x7fff
                                        ; implicit-def: $vgpr65_vgpr66_vgpr67_vgpr68_vgpr69_vgpr70_vgpr71_vgpr72
; %bb.108:
	s_and_not1_saveexec_b32 s3, s3
; %bb.109:
	v_and_b32_e32 v8, 0xffff, v72
	v_or_b32_e32 v9, 0x10000, v72
	s_delay_alu instid0(VALU_DEP_2) | instskip(NEXT) | instid1(VALU_DEP_2)
	v_cmp_eq_u32_e32 vcc_lo, 0, v8
	v_cndmask_b32_e32 v8, v9, v72, vcc_lo
; %bb.110:
	s_or_b32 exec_lo, exec_lo, s3
	s_delay_alu instid0(VALU_DEP_1)
	v_perm_b32 v7, v8, v7, 0x7060302
	v_perm_b32 v6, v6, v5, 0x7060302
	;; [unrolled: 1-line block ×4, first 2 shown]
	s_barrier
	buffer_gl0_inv
	v_cmp_eq_u32_e32 vcc_lo, 1, v78
	ds_store_b128 v76, v[4:7]
	s_waitcnt lgkmcnt(0)
	s_barrier
	buffer_gl0_inv
	ds_load_b128 v[1:4], v82
	ds_load_b128 v[5:8], v82 offset:16
	v_cmp_eq_u32_e64 s3, 1, v79
	v_cmp_eq_u32_e64 s4, 2, v78
	;; [unrolled: 1-line block ×5, first 2 shown]
	s_waitcnt lgkmcnt(1)
	v_lshrrev_b32_e32 v9, 16, v1
	s_waitcnt lgkmcnt(0)
	v_lshrrev_b32_e32 v13, 16, v5
	v_lshrrev_b32_e32 v10, 16, v2
	;; [unrolled: 1-line block ×4, first 2 shown]
	v_cndmask_b32_e64 v19, v1, v9, s3
	v_cndmask_b32_e32 v18, v5, v13, vcc_lo
	v_cndmask_b32_e64 v20, v5, v13, s3
	v_cndmask_b32_e32 v17, v1, v9, vcc_lo
	v_cmp_eq_u32_e32 vcc_lo, 2, v79
	v_lshrrev_b32_e32 v15, 16, v7
	v_cmp_eq_u32_e64 s3, 1, v77
	v_lshrrev_b32_e32 v12, 16, v4
	v_lshrrev_b32_e32 v16, 16, v8
	v_cndmask_b32_e32 v20, v20, v6, vcc_lo
	v_cndmask_b32_e64 v17, v17, v2, s4
	v_cndmask_b32_e32 v19, v19, v2, vcc_lo
	v_cndmask_b32_e64 v18, v18, v6, s4
	v_cmp_eq_u32_e32 vcc_lo, 4, v78
	v_cmp_eq_u32_e64 s4, 3, v79
	v_cndmask_b32_e64 v17, v17, v10, s5
	v_cndmask_b32_e64 v21, v1, v9, s3
	;; [unrolled: 1-line block ×5, first 2 shown]
	v_cndmask_b32_e32 v17, v17, v3, vcc_lo
	v_cndmask_b32_e64 v20, v20, v14, s4
	v_cndmask_b32_e32 v18, v18, v7, vcc_lo
	v_cmp_eq_u32_e32 vcc_lo, 4, v79
	v_cmp_eq_u32_e64 s4, 5, v79
	v_cmp_eq_u32_e64 s3, 2, v81
	v_cndmask_b32_e64 v21, v21, v2, s7
	v_cmp_eq_u32_e64 s5, 5, v78
	v_cndmask_b32_e32 v19, v19, v3, vcc_lo
	v_cndmask_b32_e32 v20, v20, v7, vcc_lo
	v_cmp_eq_u32_e32 vcc_lo, 6, v79
	s_delay_alu instid0(VALU_DEP_4) | instskip(NEXT) | instid1(VALU_DEP_4)
	v_cndmask_b32_e64 v17, v17, v11, s5
	v_cndmask_b32_e64 v19, v19, v11, s4
	s_delay_alu instid0(VALU_DEP_4) | instskip(SKIP_1) | instid1(VALU_DEP_3)
	v_cndmask_b32_e64 v20, v20, v15, s4
	v_cmp_eq_u32_e64 s4, 1, v81
	v_cndmask_b32_e32 v19, v19, v4, vcc_lo
	v_cndmask_b32_e64 v18, v18, v15, s5
	s_delay_alu instid0(VALU_DEP_3)
	v_cndmask_b32_e64 v1, v1, v9, s4
	v_cndmask_b32_e64 v5, v5, v13, s4
	v_cmp_eq_u32_e64 s4, 3, v77
	v_cndmask_b32_e64 v13, v22, v6, s7
	v_cmp_eq_u32_e64 s7, 3, v81
	v_cndmask_b32_e64 v1, v1, v2, s3
	v_cndmask_b32_e64 v2, v5, v6, s3
	;; [unrolled: 1-line block ×3, first 2 shown]
	v_cmp_eq_u32_e64 s3, 4, v77
	v_cndmask_b32_e64 v6, v13, v14, s4
	v_cndmask_b32_e64 v1, v1, v10, s7
	v_cmp_eq_u32_e64 s4, 4, v81
	v_cndmask_b32_e64 v2, v2, v14, s7
	v_cndmask_b32_e64 v5, v9, v3, s3
	;; [unrolled: 3-line block ×3, first 2 shown]
	v_cndmask_b32_e64 v2, v2, v7, s4
	v_cmp_eq_u32_e64 s3, 5, v81
	v_cmp_eq_u32_e64 s5, 6, v78
	v_cndmask_b32_e64 v5, v5, v11, s7
	v_cmp_eq_u32_e64 s4, 6, v77
	v_cndmask_b32_e64 v3, v6, v15, s7
	v_cndmask_b32_e64 v1, v1, v11, s3
	v_cmp_eq_u32_e64 s7, 6, v81
	v_cndmask_b32_e64 v2, v2, v15, s3
	v_cndmask_b32_e64 v17, v17, v4, s5
	v_cndmask_b32_e64 v18, v18, v8, s5
	v_cmp_eq_u32_e64 s5, 7, v78
	v_cndmask_b32_e64 v5, v5, v4, s4
	;; [unrolled: 4-line block ×3, first 2 shown]
	v_cmp_eq_u32_e64 s4, 7, v77
	v_cndmask_b32_e32 v4, v20, v8, vcc_lo
	v_cndmask_b32_e64 v17, v17, v12, s5
	v_cndmask_b32_e64 v19, v19, v12, s6
	;; [unrolled: 1-line block ×8, first 2 shown]
	s_mov_b32 s3, exec_lo
	v_perm_b32 v4, v2, v1, 0x5040100
	v_perm_b32 v3, v3, v5, 0x5040100
	;; [unrolled: 1-line block ×4, first 2 shown]
	ds_store_b128 v76, v[1:4]
	s_waitcnt lgkmcnt(0)
	s_barrier
	buffer_gl0_inv
	v_cmpx_gt_u32_e32 32, v0
	s_cbranch_execz .LBB1812_2
; %bb.111:
	s_load_b64 s[4:5], s[0:1], 0x68
	v_lshlrev_b32_e32 v0, 10, v0
	v_add_nc_u32_e32 v2, s31, v74
	v_lshlrev_b32_e32 v3, 4, v75
	s_lshl_b32 s0, s34, 7
	s_delay_alu instid0(SALU_CYCLE_1) | instskip(NEXT) | instid1(VALU_DEP_2)
	s_mul_i32 s1, s0, s30
	v_mul_lo_u32 v1, v2, s0
	s_delay_alu instid0(VALU_DEP_2)
	v_and_or_b32 v0, 0x3800, v0, v3
	v_add_nc_u32_e32 v3, 2, v2
	s_mul_i32 s6, s1, s8
	v_add_nc_u32_e32 v4, 4, v2
	s_ashr_i32 s7, s6, 31
	v_lshl_or_b32 v11, v74, 6, v0
	s_lshl_b64 s[6:7], s[6:7], 1
	v_mul_lo_u32 v15, v3, s0
	v_mul_lo_u32 v17, v4, s0
	v_ashrrev_i32_e32 v2, 31, v1
	ds_load_b128 v[3:6], v11
	ds_load_b128 v[7:10], v11 offset:128
	ds_load_b128 v[11:14], v11 offset:256
	s_waitcnt lgkmcnt(0)
	s_add_u32 s1, s4, s6
	s_addc_u32 s3, s5, s7
	s_lshl_b32 s4, s14, 7
	v_ashrrev_i32_e32 v16, 31, v15
	s_ashr_i32 s5, s4, 31
	v_lshlrev_b64 v[19:20], 1, v[1:2]
	s_lshl_b64 s[4:5], s[4:5], 1
	v_ashrrev_i32_e32 v18, 31, v17
	s_add_u32 s1, s1, s4
	s_addc_u32 s3, s3, s5
	v_add_co_u32 v1, s1, s1, v73
	s_delay_alu instid0(VALU_DEP_1) | instskip(SKIP_1) | instid1(VALU_DEP_3)
	v_add_co_ci_u32_e64 v2, null, s3, 0, s1
	v_lshlrev_b64 v[15:16], 1, v[15:16]
	v_add_co_u32 v19, vcc_lo, v1, v19
	v_lshlrev_b64 v[17:18], 1, v[17:18]
	s_delay_alu instid0(VALU_DEP_4) | instskip(NEXT) | instid1(VALU_DEP_4)
	v_add_co_ci_u32_e32 v20, vcc_lo, v2, v20, vcc_lo
	v_add_co_u32 v15, vcc_lo, v1, v15
	v_add_co_ci_u32_e32 v16, vcc_lo, v2, v16, vcc_lo
	s_delay_alu instid0(VALU_DEP_4)
	v_add_co_u32 v17, vcc_lo, v1, v17
	v_add_co_ci_u32_e32 v18, vcc_lo, v2, v18, vcc_lo
	s_clause 0x2
	global_store_b128 v[19:20], v[3:6], off
	global_store_b128 v[15:16], v[7:10], off
	;; [unrolled: 1-line block ×3, first 2 shown]
	s_and_b32 exec_lo, exec_lo, s2
	s_cbranch_execz .LBB1812_2
; %bb.112:
	ds_load_b128 v[3:6], v0 offset:384
	s_add_i32 s1, s31, 6
	s_delay_alu instid0(SALU_CYCLE_1) | instskip(NEXT) | instid1(SALU_CYCLE_1)
	s_mul_i32 s0, s1, s0
	s_ashr_i32 s1, s0, 31
	s_delay_alu instid0(SALU_CYCLE_1) | instskip(NEXT) | instid1(SALU_CYCLE_1)
	s_lshl_b64 s[0:1], s[0:1], 1
	v_add_co_u32 v0, vcc_lo, v1, s0
	v_add_co_ci_u32_e32 v1, vcc_lo, s1, v2, vcc_lo
	s_waitcnt lgkmcnt(0)
	global_store_b128 v[0:1], v[3:6], off
	s_nop 0
	s_sendmsg sendmsg(MSG_DEALLOC_VGPRS)
	s_endpgm
	.section	.rodata,"a",@progbits
	.p2align	6, 0x0
	.amdhsa_kernel _Z39paged_attention_ll4mi_QKV_mfma16_kernelI14__hip_bfloat16hLN4vllm18Fp8KVCacheDataTypeE1EhLi16ELi128ELi256ELb0ELi7EL8MFMAType0EEvPKT_PKT0_S9_ifPKiSB_SB_iPKfiiiPfSE_PS4_PT2_iSD_SD_
		.amdhsa_group_segment_fixed_size 17472
		.amdhsa_private_segment_fixed_size 0
		.amdhsa_kernarg_size 400
		.amdhsa_user_sgpr_count 13
		.amdhsa_user_sgpr_dispatch_ptr 0
		.amdhsa_user_sgpr_queue_ptr 0
		.amdhsa_user_sgpr_kernarg_segment_ptr 1
		.amdhsa_user_sgpr_dispatch_id 0
		.amdhsa_user_sgpr_private_segment_size 0
		.amdhsa_wavefront_size32 1
		.amdhsa_uses_dynamic_stack 0
		.amdhsa_enable_private_segment 0
		.amdhsa_system_sgpr_workgroup_id_x 1
		.amdhsa_system_sgpr_workgroup_id_y 1
		.amdhsa_system_sgpr_workgroup_id_z 1
		.amdhsa_system_sgpr_workgroup_info 0
		.amdhsa_system_vgpr_workitem_id 0
		.amdhsa_next_free_vgpr 140
		.amdhsa_next_free_sgpr 36
		.amdhsa_reserve_vcc 1
		.amdhsa_float_round_mode_32 0
		.amdhsa_float_round_mode_16_64 0
		.amdhsa_float_denorm_mode_32 3
		.amdhsa_float_denorm_mode_16_64 3
		.amdhsa_dx10_clamp 1
		.amdhsa_ieee_mode 1
		.amdhsa_fp16_overflow 0
		.amdhsa_workgroup_processor_mode 1
		.amdhsa_memory_ordered 1
		.amdhsa_forward_progress 0
		.amdhsa_shared_vgpr_count 0
		.amdhsa_exception_fp_ieee_invalid_op 0
		.amdhsa_exception_fp_denorm_src 0
		.amdhsa_exception_fp_ieee_div_zero 0
		.amdhsa_exception_fp_ieee_overflow 0
		.amdhsa_exception_fp_ieee_underflow 0
		.amdhsa_exception_fp_ieee_inexact 0
		.amdhsa_exception_int_div_zero 0
	.end_amdhsa_kernel
	.section	.text._Z39paged_attention_ll4mi_QKV_mfma16_kernelI14__hip_bfloat16hLN4vllm18Fp8KVCacheDataTypeE1EhLi16ELi128ELi256ELb0ELi7EL8MFMAType0EEvPKT_PKT0_S9_ifPKiSB_SB_iPKfiiiPfSE_PS4_PT2_iSD_SD_,"axG",@progbits,_Z39paged_attention_ll4mi_QKV_mfma16_kernelI14__hip_bfloat16hLN4vllm18Fp8KVCacheDataTypeE1EhLi16ELi128ELi256ELb0ELi7EL8MFMAType0EEvPKT_PKT0_S9_ifPKiSB_SB_iPKfiiiPfSE_PS4_PT2_iSD_SD_,comdat
.Lfunc_end1812:
	.size	_Z39paged_attention_ll4mi_QKV_mfma16_kernelI14__hip_bfloat16hLN4vllm18Fp8KVCacheDataTypeE1EhLi16ELi128ELi256ELb0ELi7EL8MFMAType0EEvPKT_PKT0_S9_ifPKiSB_SB_iPKfiiiPfSE_PS4_PT2_iSD_SD_, .Lfunc_end1812-_Z39paged_attention_ll4mi_QKV_mfma16_kernelI14__hip_bfloat16hLN4vllm18Fp8KVCacheDataTypeE1EhLi16ELi128ELi256ELb0ELi7EL8MFMAType0EEvPKT_PKT0_S9_ifPKiSB_SB_iPKfiiiPfSE_PS4_PT2_iSD_SD_
                                        ; -- End function
	.section	.AMDGPU.csdata,"",@progbits
; Kernel info:
; codeLenInByte = 8952
; NumSgprs: 38
; NumVgprs: 140
; ScratchSize: 0
; MemoryBound: 0
; FloatMode: 240
; IeeeMode: 1
; LDSByteSize: 17472 bytes/workgroup (compile time only)
; SGPRBlocks: 4
; VGPRBlocks: 17
; NumSGPRsForWavesPerEU: 38
; NumVGPRsForWavesPerEU: 140
; Occupancy: 10
; WaveLimiterHint : 1
; COMPUTE_PGM_RSRC2:SCRATCH_EN: 0
; COMPUTE_PGM_RSRC2:USER_SGPR: 13
; COMPUTE_PGM_RSRC2:TRAP_HANDLER: 0
; COMPUTE_PGM_RSRC2:TGID_X_EN: 1
; COMPUTE_PGM_RSRC2:TGID_Y_EN: 1
; COMPUTE_PGM_RSRC2:TGID_Z_EN: 1
; COMPUTE_PGM_RSRC2:TIDIG_COMP_CNT: 0
	.section	.text._Z39paged_attention_ll4mi_QKV_mfma16_kernelI14__hip_bfloat16hLN4vllm18Fp8KVCacheDataTypeE1EhLi16ELi128ELi256ELb0ELi8EL8MFMAType0EEvPKT_PKT0_S9_ifPKiSB_SB_iPKfiiiPfSE_PS4_PT2_iSD_SD_,"axG",@progbits,_Z39paged_attention_ll4mi_QKV_mfma16_kernelI14__hip_bfloat16hLN4vllm18Fp8KVCacheDataTypeE1EhLi16ELi128ELi256ELb0ELi8EL8MFMAType0EEvPKT_PKT0_S9_ifPKiSB_SB_iPKfiiiPfSE_PS4_PT2_iSD_SD_,comdat
	.protected	_Z39paged_attention_ll4mi_QKV_mfma16_kernelI14__hip_bfloat16hLN4vllm18Fp8KVCacheDataTypeE1EhLi16ELi128ELi256ELb0ELi8EL8MFMAType0EEvPKT_PKT0_S9_ifPKiSB_SB_iPKfiiiPfSE_PS4_PT2_iSD_SD_ ; -- Begin function _Z39paged_attention_ll4mi_QKV_mfma16_kernelI14__hip_bfloat16hLN4vllm18Fp8KVCacheDataTypeE1EhLi16ELi128ELi256ELb0ELi8EL8MFMAType0EEvPKT_PKT0_S9_ifPKiSB_SB_iPKfiiiPfSE_PS4_PT2_iSD_SD_
	.globl	_Z39paged_attention_ll4mi_QKV_mfma16_kernelI14__hip_bfloat16hLN4vllm18Fp8KVCacheDataTypeE1EhLi16ELi128ELi256ELb0ELi8EL8MFMAType0EEvPKT_PKT0_S9_ifPKiSB_SB_iPKfiiiPfSE_PS4_PT2_iSD_SD_
	.p2align	8
	.type	_Z39paged_attention_ll4mi_QKV_mfma16_kernelI14__hip_bfloat16hLN4vllm18Fp8KVCacheDataTypeE1EhLi16ELi128ELi256ELb0ELi8EL8MFMAType0EEvPKT_PKT0_S9_ifPKiSB_SB_iPKfiiiPfSE_PS4_PT2_iSD_SD_,@function
_Z39paged_attention_ll4mi_QKV_mfma16_kernelI14__hip_bfloat16hLN4vllm18Fp8KVCacheDataTypeE1EhLi16ELi128ELi256ELb0ELi8EL8MFMAType0EEvPKT_PKT0_S9_ifPKiSB_SB_iPKfiiiPfSE_PS4_PT2_iSD_SD_: ; @_Z39paged_attention_ll4mi_QKV_mfma16_kernelI14__hip_bfloat16hLN4vllm18Fp8KVCacheDataTypeE1EhLi16ELi128ELi256ELb0ELi8EL8MFMAType0EEvPKT_PKT0_S9_ifPKiSB_SB_iPKfiiiPfSE_PS4_PT2_iSD_SD_
; %bb.0:
	s_load_b64 s[4:5], s[0:1], 0x30
	s_mov_b32 s30, s13
	s_waitcnt lgkmcnt(0)
	s_cmp_lg_u64 s[4:5], 0
	s_cselect_b32 s13, -1, 0
	s_ashr_i32 s31, s30, 31
	s_cmp_eq_u64 s[4:5], 0
	s_cbranch_scc1 .LBB1813_3
; %bb.1:
	s_lshl_b64 s[2:3], s[30:31], 2
	s_delay_alu instid0(SALU_CYCLE_1) | instskip(SKIP_4) | instid1(SALU_CYCLE_1)
	s_add_u32 s2, s4, s2
	s_addc_u32 s3, s5, s3
	s_load_b64 s[2:3], s[2:3], 0x0
	s_waitcnt lgkmcnt(0)
	s_sub_i32 s2, s3, s2
	s_cmp_eq_u32 s2, 1
	s_cselect_b32 s2, -1, 0
	s_delay_alu instid0(SALU_CYCLE_1)
	s_and_not1_b32 vcc_lo, exec_lo, s2
	s_cbranch_vccz .LBB1813_4
.LBB1813_2:
	s_endpgm
.LBB1813_3:
.LBB1813_4:
	s_load_b64 s[2:3], s[0:1], 0x28
	s_lshl_b64 s[6:7], s[30:31], 2
	s_waitcnt lgkmcnt(0)
	s_add_u32 s2, s2, s6
	s_addc_u32 s3, s3, s7
	s_lshl_b32 s12, s14, 8
	s_load_b32 s17, s[2:3], 0x0
	s_waitcnt lgkmcnt(0)
	s_cmp_ge_i32 s12, s17
	s_cbranch_scc1 .LBB1813_2
; %bb.5:
	s_clause 0x1
	s_load_b128 s[8:11], s[0:1], 0x8
	s_load_b64 s[2:3], s[0:1], 0x20
	s_and_not1_b32 vcc_lo, exec_lo, s13
	s_cbranch_vccnz .LBB1813_7
; %bb.6:
	s_add_u32 s4, s4, s6
	s_addc_u32 s5, s5, s7
	s_load_b32 s13, s[4:5], 0x0
	s_branch .LBB1813_8
.LBB1813_7:
	s_mov_b32 s13, s30
.LBB1813_8:
	s_load_b128 s[4:7], s[0:1], 0x48
	v_and_b32_e32 v66, 15, v0
	v_lshrrev_b32_e32 v65, 5, v0
	v_and_b32_e32 v67, 31, v0
	v_and_b32_e32 v75, 1, v0
	v_bfe_u32 v74, v0, 4, 1
	v_lshlrev_b32_e32 v1, 3, v66
	s_lshl_b32 s29, s15, 3
	s_waitcnt lgkmcnt(0)
	s_mov_b32 s7, exec_lo
	s_delay_alu instid0(VALU_DEP_1)
	v_lshlrev_b32_e32 v73, 1, v1
	v_cmpx_gt_u32_e32 0x80, v0
	s_cbranch_execz .LBB1813_10
; %bb.9:
	v_lshl_or_b32 v5, v65, 1, v74
	s_load_b64 s[18:19], s[0:1], 0x0
	s_mul_hi_i32 s21, s13, s4
	s_mul_i32 s20, s13, s4
	v_lshlrev_b32_e32 v6, 10, v66
	v_or_b32_e32 v1, s29, v5
	s_lshl_b64 s[20:21], s[20:21], 1
	v_lshlrev_b32_e32 v5, 6, v5
	v_lshlrev_b32_e32 v7, 10, v75
	v_and_b32_e32 v6, 0x3800, v6
	v_lshlrev_b32_e32 v1, 7, v1
	s_delay_alu instid0(VALU_DEP_2) | instskip(NEXT) | instid1(VALU_DEP_2)
	v_or3_b32 v5, v6, v7, v5
	v_ashrrev_i32_e32 v2, 31, v1
	s_delay_alu instid0(VALU_DEP_1) | instskip(SKIP_3) | instid1(VALU_DEP_1)
	v_lshlrev_b64 v[1:2], 1, v[1:2]
	s_waitcnt lgkmcnt(0)
	s_add_u32 s4, s18, s20
	s_addc_u32 s13, s19, s21
	v_add_co_u32 v1, vcc_lo, s4, v1
	s_delay_alu instid0(VALU_DEP_2) | instskip(NEXT) | instid1(VALU_DEP_2)
	v_add_co_ci_u32_e32 v2, vcc_lo, s13, v2, vcc_lo
	v_add_co_u32 v1, vcc_lo, v1, v73
	s_delay_alu instid0(VALU_DEP_2)
	v_add_co_ci_u32_e32 v2, vcc_lo, 0, v2, vcc_lo
	global_load_b128 v[1:4], v[1:2], off
	s_waitcnt vmcnt(0)
	ds_store_b128 v5, v[1:4]
.LBB1813_10:
	s_or_b32 exec_lo, exec_lo, s7
	v_and_b32_e32 v1, 0xef, v0
	s_add_i32 s4, s17, 15
	s_clause 0x1
	s_load_b32 s7, s[0:1], 0x38
	s_load_b32 s18, s[0:1], 0x1c
	s_ashr_i32 s13, s4, 31
	v_add_nc_u32_e32 v1, s12, v1
	s_lshr_b32 s13, s13, 28
	s_waitcnt lgkmcnt(0)
	s_add_i32 s4, s4, s13
	s_barrier
	v_ashrrev_i32_e32 v2, 31, v1
	v_or_b32_e32 v3, 16, v1
	s_ashr_i32 s4, s4, 4
	v_cmp_gt_i32_e32 vcc_lo, s17, v1
	s_add_i32 s4, s4, -1
	v_lshrrev_b32_e32 v2, 28, v2
	buffer_gl0_inv
	s_mul_i32 s15, s15, s6
	v_add_nc_u32_e32 v4, v1, v2
	s_mul_i32 s20, s30, s7
	s_delay_alu instid0(SALU_CYCLE_1) | instskip(NEXT) | instid1(VALU_DEP_1)
	s_ashr_i32 s21, s20, 31
	v_ashrrev_i32_e32 v4, 4, v4
	v_add_nc_u32_e32 v2, v3, v2
	s_lshl_b64 s[20:21], s[20:21], 2
	s_delay_alu instid0(SALU_CYCLE_1) | instskip(NEXT) | instid1(VALU_DEP_2)
	s_add_u32 s13, s2, s20
	v_cndmask_b32_e32 v1, s4, v4, vcc_lo
	s_delay_alu instid0(VALU_DEP_2)
	v_ashrrev_i32_e32 v2, 4, v2
	v_cmp_gt_i32_e32 vcc_lo, s17, v3
	s_addc_u32 s16, s3, s21
	s_ashr_i32 s19, s15, 31
	s_add_u32 s26, s8, s15
	s_addc_u32 s27, s9, s19
	v_cndmask_b32_e32 v3, s4, v2, vcc_lo
	v_ashrrev_i32_e32 v2, 31, v1
	s_lshl_b32 s2, s14, 4
	s_delay_alu instid0(SALU_CYCLE_1) | instskip(NEXT) | instid1(VALU_DEP_2)
	s_ashr_i32 s3, s2, 31
	v_ashrrev_i32_e32 v4, 31, v3
	s_delay_alu instid0(VALU_DEP_2) | instskip(SKIP_1) | instid1(SALU_CYCLE_1)
	v_lshlrev_b64 v[1:2], 2, v[1:2]
	s_lshl_b64 s[2:3], s[2:3], 2
	s_add_u32 s2, s13, s2
	s_delay_alu instid0(VALU_DEP_2) | instskip(SKIP_1) | instid1(VALU_DEP_2)
	v_lshlrev_b64 v[3:4], 2, v[3:4]
	s_addc_u32 s3, s16, s3
	v_add_co_u32 v1, vcc_lo, s13, v1
	v_add_co_ci_u32_e32 v2, vcc_lo, s16, v2, vcc_lo
	s_delay_alu instid0(VALU_DEP_3) | instskip(NEXT) | instid1(VALU_DEP_4)
	v_add_co_u32 v3, vcc_lo, s13, v3
	v_add_co_ci_u32_e32 v4, vcc_lo, s16, v4, vcc_lo
	s_clause 0x1
	global_load_b32 v5, v[1:2], off
	global_load_b32 v3, v[3:4], off
	s_or_b32 s6, s12, 32
	s_delay_alu instid0(SALU_CYCLE_1) | instskip(SKIP_2) | instid1(SALU_CYCLE_1)
	s_ashr_i32 s7, s6, 4
	s_cmp_lt_i32 s6, s17
	s_cselect_b32 s6, s7, s4
	s_ashr_i32 s7, s6, 31
	s_delay_alu instid0(SALU_CYCLE_1) | instskip(NEXT) | instid1(SALU_CYCLE_1)
	s_lshl_b64 s[6:7], s[6:7], 2
	s_add_u32 s6, s13, s6
	s_addc_u32 s7, s16, s7
	s_or_b32 s8, s12, 64
	s_delay_alu instid0(SALU_CYCLE_1) | instskip(SKIP_2) | instid1(SALU_CYCLE_1)
	s_ashr_i32 s9, s8, 4
	s_cmp_lt_i32 s8, s17
	s_cselect_b32 s8, s9, s4
	s_ashr_i32 s9, s8, 31
	s_delay_alu instid0(SALU_CYCLE_1) | instskip(NEXT) | instid1(SALU_CYCLE_1)
	s_lshl_b64 s[8:9], s[8:9], 2
	s_add_u32 s8, s13, s8
	s_addc_u32 s9, s16, s9
	;; [unrolled: 10-line block ×5, first 2 shown]
	s_clause 0x5
	s_load_b32 s28, s[2:3], 0x0
	s_load_b32 s31, s[6:7], 0x0
	;; [unrolled: 1-line block ×6, first 2 shown]
	s_mov_b32 s20, 0
	s_or_b32 s2, s12, 0xc0
	s_mov_b32 s21, s20
	s_mov_b32 s22, s20
	;; [unrolled: 1-line block ×5, first 2 shown]
	v_lshlrev_b32_e32 v1, 4, v0
	s_ashr_i32 s3, s2, 4
	s_cmp_lt_i32 s2, s17
	s_cselect_b32 s2, s3, s4
	s_delay_alu instid0(VALU_DEP_1) | instskip(SKIP_1) | instid1(SALU_CYCLE_1)
	v_and_b32_e32 v1, 0xf0, v1
	s_ashr_i32 s3, s2, 31
	s_lshl_b64 s[2:3], s[2:3], 2
	s_delay_alu instid0(VALU_DEP_1) | instskip(NEXT) | instid1(VALU_DEP_1)
	v_add_co_u32 v1, s26, s26, v1
	v_add_co_ci_u32_e64 v2, null, s27, 0, s26
	s_add_u32 s2, s13, s2
	s_addc_u32 s3, s16, s3
	s_or_b32 s6, s12, 0xe0
	s_mov_b32 s26, s20
	s_ashr_i32 s7, s6, 4
	s_cmp_lt_i32 s6, s17
	s_mov_b32 s27, s20
	s_cselect_b32 s6, s7, s4
	v_dual_mov_b32 v107, s27 :: v_dual_mov_b32 v100, s20
	s_ashr_i32 s7, s6, 31
	v_mov_b32_e32 v106, s26
	s_lshl_b64 s[6:7], s[6:7], 2
	v_dual_mov_b32 v104, s24 :: v_dual_mov_b32 v103, s23
	v_dual_mov_b32 v102, s22 :: v_dual_mov_b32 v101, s21
	v_mov_b32_e32 v105, s25
	s_waitcnt vmcnt(1)
	v_mad_i64_i32 v[33:34], null, v5, s5, v[1:2]
	s_waitcnt vmcnt(0)
	v_mad_i64_i32 v[35:36], null, v3, s5, v[1:2]
	s_clause 0xf
	global_load_b128 v[1:4], v[33:34], off
	global_load_b128 v[5:8], v[33:34], off offset:256
	global_load_b128 v[9:12], v[35:36], off
	global_load_b128 v[13:16], v[35:36], off offset:256
	global_load_b128 v[17:20], v[33:34], off offset:512
	;; [unrolled: 1-line block ×13, first 2 shown]
	v_and_b32_e32 v33, 7, v0
	v_lshlrev_b32_e32 v34, 4, v66
	s_delay_alu instid0(VALU_DEP_2) | instskip(NEXT) | instid1(VALU_DEP_2)
	v_lshlrev_b32_e32 v72, 6, v33
	v_lshl_or_b32 v41, v65, 8, v34
	ds_load_b128 v[33:36], v72
	ds_load_b128 v[37:40], v72 offset:1024
	ds_load_b128 v[108:111], v72 offset:2048
	;; [unrolled: 1-line block ×3, first 2 shown]
	s_load_b32 s4, s[2:3], 0x0
	s_add_u32 s2, s13, s6
	s_addc_u32 s3, s16, s7
	ds_load_b128 v[116:119], v72 offset:4096
	ds_load_b128 v[120:123], v72 offset:5120
	s_load_b32 s2, s[2:3], 0x0
	s_add_u32 s6, s10, s15
	s_addc_u32 s7, s11, s19
	v_add_co_u32 v68, s6, s6, v41
	s_delay_alu instid0(VALU_DEP_1) | instskip(SKIP_1) | instid1(VALU_DEP_1)
	v_add_co_ci_u32_e64 v69, null, s7, 0, s6
	s_waitcnt lgkmcnt(0)
	v_mad_i64_i32 v[41:42], null, s28, s5, v[68:69]
	v_mad_i64_i32 v[70:71], null, s8, s5, v[68:69]
	;; [unrolled: 1-line block ×7, first 2 shown]
	s_clause 0x3
	global_load_b128 v[49:52], v[41:42], off
	global_load_b128 v[53:56], v[41:42], off offset:16
	global_load_b128 v[41:44], v[45:46], off
	global_load_b128 v[45:48], v[45:46], off offset:16
	s_waitcnt vmcnt(18)
	v_wmma_f32_16x16x16_bf16 v[124:131], v[1:8], v[33:40], v[100:107]
	s_waitcnt vmcnt(16)
	v_wmma_f32_16x16x16_bf16 v[100:107], v[9:16], v[33:40], v[100:107]
	s_clause 0x1
	global_load_b128 v[33:36], v[70:71], off
	global_load_b128 v[37:40], v[70:71], off offset:16
	v_mad_i64_i32 v[70:71], null, s2, s5, v[68:69]
	s_waitcnt vmcnt(16)
	v_wmma_f32_16x16x16_bf16 v[124:131], v[17:24], v[108:115], v[124:131]
	s_waitcnt vmcnt(14)
	v_wmma_f32_16x16x16_bf16 v[100:107], v[25:32], v[108:115], v[100:107]
	s_clause 0x7
	global_load_b128 v[25:28], v[132:133], off
	global_load_b128 v[29:32], v[132:133], off offset:16
	global_load_b128 v[1:4], v[134:135], off
	global_load_b128 v[5:8], v[134:135], off offset:16
	;; [unrolled: 2-line block ×4, first 2 shown]
	s_waitcnt vmcnt(20)
	v_wmma_f32_16x16x16_bf16 v[124:131], v[57:64], v[116:123], v[124:131]
	s_clause 0x1
	global_load_b128 v[57:60], v[70:71], off
	global_load_b128 v[61:64], v[70:71], off offset:16
	s_waitcnt vmcnt(20)
	v_wmma_f32_16x16x16_bf16 v[100:107], v[76:83], v[116:123], v[100:107]
	ds_load_b128 v[76:79], v72 offset:6144
	ds_load_b128 v[80:83], v72 offset:7168
	v_and_b32_e32 v68, 0xe0, v0
	v_mbcnt_lo_u32_b32 v69, -1, 0
	s_waitcnt vmcnt(0) lgkmcnt(0)
	s_barrier
	buffer_gl0_inv
	v_add_nc_u32_e32 v68, s12, v68
	v_xor_b32_e32 v70, 16, v69
	s_delay_alu instid0(VALU_DEP_2) | instskip(NEXT) | instid1(VALU_DEP_2)
	v_or_b32_e32 v68, v68, v74
	v_cmp_gt_i32_e32 vcc_lo, 32, v70
	s_delay_alu instid0(VALU_DEP_2)
	v_or_b32_e32 v71, 4, v68
	v_or_b32_e32 v72, 6, v68
	v_cmp_gt_i32_e64 s2, s17, v68
	v_or_b32_e32 v108, 8, v68
	v_wmma_f32_16x16x16_bf16 v[124:131], v[84:91], v[76:83], v[124:131]
	v_cndmask_b32_e32 v69, v69, v70, vcc_lo
	v_or_b32_e32 v70, 2, v68
	v_wmma_f32_16x16x16_bf16 v[100:107], v[92:99], v[76:83], v[100:107]
	v_or_b32_e32 v109, 10, v68
	v_dual_mul_f32 v80, s18, v129 :: v_dual_mul_f32 v81, s18, v128
	v_dual_mul_f32 v92, s18, v125 :: v_dual_mul_f32 v93, s18, v124
	s_delay_alu instid0(VALU_DEP_4)
	v_mul_f32_e32 v96, s18, v105
	v_cmp_gt_i32_e32 vcc_lo, s17, v70
	v_or_b32_e32 v89, 22, v68
	v_dual_mul_f32 v79, s18, v130 :: v_dual_mul_f32 v82, s18, v127
	v_dual_mul_f32 v83, s18, v126 :: v_dual_mul_f32 v94, s18, v107
	v_cndmask_b32_e64 v93, 0xff7fffff, v93, s2
	v_cndmask_b32_e32 v92, 0xff7fffff, v92, vcc_lo
	v_cmp_gt_i32_e64 s3, s17, v71
	v_cmp_gt_i32_e64 s4, s17, v72
	v_or_b32_e32 v84, 12, v68
	v_or_b32_e32 v85, 14, v68
	v_cmp_gt_i32_e64 s5, s17, v108
	v_cndmask_b32_e64 v71, 0xff7fffff, v83, s3
	v_cndmask_b32_e64 v72, 0xff7fffff, v82, s4
	v_cmp_gt_i32_e64 s6, s17, v109
	v_cmp_gt_i32_e64 s12, s17, v89
	v_lshlrev_b32_e32 v89, 2, v69
	v_max3_f32 v82, v93, 0xff7fffff, v92
	v_or_b32_e32 v86, 16, v68
	v_or_b32_e32 v87, 18, v68
	v_mul_f32_e32 v78, s18, v131
	v_cndmask_b32_e64 v81, 0xff7fffff, v81, s5
	v_cndmask_b32_e64 v80, 0xff7fffff, v80, s6
	v_max3_f32 v71, v82, v71, v72
	v_cmp_gt_i32_e64 s7, s17, v84
	v_cmp_gt_i32_e64 s8, s17, v85
	v_or_b32_e32 v88, 20, v68
	v_or_b32_e32 v90, 24, v68
	v_or_b32_e32 v91, 26, v68
	v_or_b32_e32 v76, 28, v68
	v_or_b32_e32 v77, 30, v68
	v_dual_mul_f32 v97, s18, v104 :: v_dual_mul_f32 v70, s18, v101
	v_dual_mul_f32 v99, s18, v102 :: v_dual_mul_f32 v68, s18, v100
	v_cndmask_b32_e64 v72, 0xff7fffff, v79, s7
	v_cndmask_b32_e64 v78, 0xff7fffff, v78, s8
	v_max3_f32 v71, v71, v81, v80
	v_cmp_gt_i32_e64 s9, s17, v86
	v_cmp_gt_i32_e64 s10, s17, v87
	v_dual_mul_f32 v95, s18, v106 :: v_dual_mul_f32 v98, s18, v103
	s_delay_alu instid0(VALU_DEP_4) | instskip(NEXT) | instid1(VALU_DEP_4)
	v_max3_f32 v71, v71, v72, v78
	v_cndmask_b32_e64 v68, 0xff7fffff, v68, s9
	s_delay_alu instid0(VALU_DEP_4)
	v_cndmask_b32_e64 v70, 0xff7fffff, v70, s10
	v_cmp_gt_i32_e64 s11, s17, v88
	v_cndmask_b32_e64 v78, 0xff7fffff, v98, s12
	v_cmp_gt_i32_e64 s13, s17, v90
	v_cmp_gt_i32_e64 s15, s17, v91
	v_max3_f32 v68, v71, v68, v70
	v_cndmask_b32_e64 v72, 0xff7fffff, v99, s11
	v_cmp_gt_i32_e64 s16, s17, v76
	v_cndmask_b32_e64 v70, 0xff7fffff, v97, s13
	v_cndmask_b32_e64 v71, 0xff7fffff, v96, s15
	v_cmp_gt_i32_e64 s17, s17, v77
	v_max3_f32 v68, v68, v72, v78
	v_cndmask_b32_e64 v72, 0xff7fffff, v95, s16
	s_delay_alu instid0(VALU_DEP_3) | instskip(NEXT) | instid1(VALU_DEP_3)
	v_cndmask_b32_e64 v76, 0xff7fffff, v94, s17
	v_max3_f32 v68, v68, v70, v71
	s_delay_alu instid0(VALU_DEP_1) | instskip(SKIP_3) | instid1(VALU_DEP_1)
	v_max3_f32 v68, v68, v72, v76
	ds_bpermute_b32 v69, v89, v68
	s_waitcnt lgkmcnt(0)
	v_max_f32_e32 v69, v69, v69
	v_max_f32_e32 v68, v68, v69
	s_delay_alu instid0(VALU_DEP_1) | instskip(NEXT) | instid1(VALU_DEP_1)
	v_fma_f32 v71, s18, v126, -v68
	v_mul_f32_e32 v71, 0x3fb8aa3b, v71
	v_fma_f32 v70, s18, v125, -v68
	v_fma_f32 v69, s18, v124, -v68
	;; [unrolled: 1-line block ×5, first 2 shown]
	s_delay_alu instid0(VALU_DEP_4) | instskip(SKIP_1) | instid1(VALU_DEP_3)
	v_dual_mul_f32 v70, 0x3fb8aa3b, v70 :: v_dual_mul_f32 v69, 0x3fb8aa3b, v69
	v_exp_f32_e32 v71, v71
	v_mul_f32_e32 v72, 0x3fb8aa3b, v72
	v_fma_f32 v81, s18, v105, -v68
	s_delay_alu instid0(VALU_DEP_3)
	v_exp_f32_e32 v70, v70
	v_mul_f32_e32 v77, 0x3fb8aa3b, v76
	v_exp_f32_e32 v69, v69
	v_exp_f32_e32 v72, v72
	v_mul_f32_e32 v81, 0x3fb8aa3b, v81
	v_cndmask_b32_e64 v83, 0, v71, s3
	v_fma_f32 v71, s18, v131, -v68
	s_delay_alu instid0(VALU_DEP_3) | instskip(SKIP_4) | instid1(TRANS32_DEP_3)
	v_exp_f32_e32 v81, v81
	v_cndmask_b32_e32 v76, 0, v70, vcc_lo
	v_exp_f32_e32 v77, v77
	v_cndmask_b32_e64 v80, 0, v69, s2
	v_fma_f32 v69, s18, v129, -v68
	v_cndmask_b32_e64 v85, 0, v72, s4
	v_mul_f32_e32 v71, 0x3fb8aa3b, v71
	v_fma_f32 v72, s18, v100, -v68
	s_delay_alu instid0(VALU_DEP_4) | instskip(SKIP_1) | instid1(VALU_DEP_3)
	v_dual_add_f32 v70, 0, v80 :: v_dual_mul_f32 v69, 0x3fb8aa3b, v69
	s_mov_b32 s2, exec_lo
	v_exp_f32_e32 v71, v71
	s_delay_alu instid0(TRANS32_DEP_2) | instskip(SKIP_4) | instid1(VALU_DEP_3)
	v_cndmask_b32_e64 v86, 0, v77, s5
	v_fma_f32 v77, s18, v101, -v68
	v_mul_f32_e32 v78, 0x3fb8aa3b, v78
	v_add_f32_e32 v70, v70, v76
	v_exp_f32_e32 v69, v69
	v_mul_f32_e32 v77, 0x3fb8aa3b, v77
	s_delay_alu instid0(VALU_DEP_3) | instskip(NEXT) | instid1(TRANS32_DEP_3)
	v_exp_f32_e32 v78, v78
	v_cndmask_b32_e64 v88, 0, v71, s8
	v_fma_f32 v71, s18, v104, -v68
	s_delay_alu instid0(VALU_DEP_3) | instskip(NEXT) | instid1(TRANS32_DEP_3)
	v_exp_f32_e32 v77, v77
	v_cndmask_b32_e64 v87, 0, v69, s6
	s_delay_alu instid0(VALU_DEP_2)
	v_mul_f32_e32 v71, 0x3fb8aa3b, v71
	s_waitcnt_depctr 0xfff
	v_cndmask_b32_e64 v84, 0, v78, s7
	v_add_f32_e32 v70, v70, v83
	v_fma_f32 v78, s18, v103, -v68
	v_exp_f32_e32 v82, v71
	s_delay_alu instid0(VALU_DEP_2) | instskip(SKIP_1) | instid1(VALU_DEP_3)
	v_add_f32_e32 v70, v70, v85
	v_mul_f32_e32 v72, 0x3fb8aa3b, v72
	v_mul_f32_e32 v78, 0x3fb8aa3b, v78
	s_delay_alu instid0(VALU_DEP_3) | instskip(SKIP_1) | instid1(VALU_DEP_4)
	v_add_f32_e32 v69, v70, v86
	v_fma_f32 v70, s18, v102, -v68
	v_exp_f32_e32 v72, v72
	s_delay_alu instid0(VALU_DEP_3) | instskip(NEXT) | instid1(VALU_DEP_1)
	v_exp_f32_e32 v78, v78
	v_dual_add_f32 v69, v69, v87 :: v_dual_mul_f32 v70, 0x3fb8aa3b, v70
	s_delay_alu instid0(VALU_DEP_1) | instskip(NEXT) | instid1(VALU_DEP_2)
	v_add_f32_e32 v69, v69, v84
	v_exp_f32_e32 v79, v70
	s_delay_alu instid0(TRANS32_DEP_3) | instskip(NEXT) | instid1(VALU_DEP_2)
	v_cndmask_b32_e64 v70, 0, v72, s9
	v_add_f32_e32 v72, v69, v88
	v_cndmask_b32_e64 v69, 0, v77, s10
	v_fma_f32 v77, s18, v106, -v68
	s_waitcnt_depctr 0xfff
	v_cndmask_b32_e64 v71, 0, v79, s11
	v_dual_mul_f32 v77, 0x3fb8aa3b, v77 :: v_dual_add_f32 v72, v72, v70
	s_delay_alu instid0(VALU_DEP_1) | instskip(NEXT) | instid1(VALU_DEP_1)
	v_exp_f32_e32 v90, v77
	v_add_f32_e32 v79, v72, v69
	v_cndmask_b32_e64 v72, 0, v78, s12
	v_cndmask_b32_e64 v77, 0, v82, s13
	s_delay_alu instid0(VALU_DEP_3) | instskip(SKIP_1) | instid1(VALU_DEP_1)
	v_add_f32_e32 v78, v79, v71
	v_fma_f32 v79, s18, v107, -v68
	v_dual_add_f32 v82, v78, v72 :: v_dual_mul_f32 v79, 0x3fb8aa3b, v79
	v_cndmask_b32_e64 v78, 0, v81, s15
	s_delay_alu instid0(VALU_DEP_2) | instskip(NEXT) | instid1(VALU_DEP_3)
	v_add_f32_e32 v81, v82, v77
	v_exp_f32_e32 v82, v79
	v_cndmask_b32_e64 v79, 0, v90, s16
	s_delay_alu instid0(VALU_DEP_2) | instskip(NEXT) | instid1(VALU_DEP_1)
	v_add_f32_e32 v81, v81, v78
	v_add_f32_e32 v90, v81, v79
	s_waitcnt_depctr 0xfff
	v_cndmask_b32_e64 v81, 0, v82, s17
	s_delay_alu instid0(VALU_DEP_1)
	v_add_f32_e32 v82, v90, v81
	ds_bpermute_b32 v89, v89, v82
	v_cmpx_gt_u32_e32 16, v67
	s_cbranch_execz .LBB1813_12
; %bb.11:
	v_mul_u32_u24_e32 v67, 0x44, v65
	s_delay_alu instid0(VALU_DEP_1) | instskip(SKIP_1) | instid1(VALU_DEP_1)
	v_lshl_add_u32 v67, v66, 2, v67
	s_waitcnt lgkmcnt(0)
	v_dual_add_f32 v82, v82, v89 :: v_dual_add_nc_u32 v67, 0x4000, v67
	ds_store_2addr_b32 v67, v68, v82 offset1:136
.LBB1813_12:
	s_or_b32 exec_lo, exec_lo, s2
	v_lshlrev_b32_e32 v67, 2, v66
	s_waitcnt lgkmcnt(0)
	s_barrier
	buffer_gl0_inv
	v_cmp_eq_u32_e32 vcc_lo, 1, v65
	v_add_nc_u32_e32 v82, 0x4000, v67
	v_cmp_eq_u32_e64 s2, 2, v65
	v_cmp_eq_u32_e64 s4, 7, v65
	ds_load_2addr_b32 v[89:90], v82 offset1:17
	ds_load_2addr_b32 v[91:92], v82 offset0:34 offset1:51
	ds_load_2addr_b32 v[93:94], v82 offset0:68 offset1:85
	;; [unrolled: 1-line block ×4, first 2 shown]
	s_waitcnt lgkmcnt(4)
	v_max3_f32 v67, v89, 0xff7fffff, v90
	s_waitcnt lgkmcnt(3)
	s_delay_alu instid0(VALU_DEP_1) | instskip(SKIP_1) | instid1(VALU_DEP_1)
	v_max3_f32 v67, v67, v91, v92
	s_waitcnt lgkmcnt(2)
	v_max3_f32 v67, v67, v93, v94
	s_waitcnt lgkmcnt(1)
	s_delay_alu instid0(VALU_DEP_1) | instskip(NEXT) | instid1(VALU_DEP_1)
	v_max3_f32 v67, v67, v95, v96
	v_sub_f32_e32 v93, v93, v67
	s_delay_alu instid0(VALU_DEP_1) | instskip(NEXT) | instid1(VALU_DEP_1)
	v_dual_sub_f32 v68, v89, v67 :: v_dual_mul_f32 v103, 0x3fb8aa3b, v93
	v_mul_f32_e32 v68, 0x3fb8aa3b, v68
	s_delay_alu instid0(VALU_DEP_1)
	v_exp_f32_e32 v100, v68
	v_sub_f32_e32 v68, v92, v67
	v_sub_f32_e32 v99, v90, v67
	ds_load_2addr_b32 v[89:90], v82 offset0:170 offset1:187
	v_dual_mul_f32 v102, 0x3fb8aa3b, v68 :: v_dual_mul_f32 v99, 0x3fb8aa3b, v99
	s_waitcnt lgkmcnt(1)
	v_fma_f32 v68, v100, v97, 0
	s_delay_alu instid0(VALU_DEP_2) | instskip(NEXT) | instid1(VALU_DEP_2)
	v_exp_f32_e32 v102, v102
	v_exp_f32_e32 v99, v99
	s_waitcnt_depctr 0xfff
	v_fmac_f32_e32 v68, v99, v98
	v_sub_f32_e32 v91, v91, v67
	s_delay_alu instid0(VALU_DEP_1)
	v_mul_f32_e32 v101, 0x3fb8aa3b, v91
	ds_load_2addr_b32 v[91:92], v82 offset0:204 offset1:221
	v_sub_f32_e32 v97, v94, v67
	ds_load_2addr_b32 v[93:94], v82 offset0:238 offset1:255
	s_waitcnt lgkmcnt(0)
	v_exp_f32_e32 v101, v101
	s_barrier
	buffer_gl0_inv
	v_dual_fmac_f32 v68, v101, v89 :: v_dual_sub_f32 v89, v96, v67
	v_dual_sub_f32 v82, v95, v67 :: v_dual_mul_f32 v95, 0x3fb8aa3b, v97
	v_exp_f32_e32 v97, v103
	s_delay_alu instid0(VALU_DEP_2) | instskip(NEXT) | instid1(VALU_DEP_2)
	v_dual_fmac_f32 v68, v102, v90 :: v_dual_mul_f32 v89, 0x3fb8aa3b, v89
	v_mul_f32_e32 v82, 0x3fb8aa3b, v82
	s_delay_alu instid0(VALU_DEP_3) | instskip(NEXT) | instid1(VALU_DEP_2)
	v_exp_f32_e32 v95, v95
	v_exp_f32_e32 v89, v89
	s_delay_alu instid0(VALU_DEP_1)
	v_exp_f32_e32 v82, v82
	v_fmac_f32_e32 v68, v97, v91
	s_delay_alu instid0(TRANS32_DEP_3) | instid1(VALU_DEP_1)
	v_fmac_f32_e32 v68, v95, v92
	s_waitcnt_depctr 0xfff
	v_fmac_f32_e32 v68, v82, v93
	s_delay_alu instid0(VALU_DEP_1) | instskip(NEXT) | instid1(VALU_DEP_1)
	v_fmac_f32_e32 v68, v89, v94
	v_add_f32_e32 v90, 0x358637bd, v68
	s_delay_alu instid0(VALU_DEP_1) | instskip(NEXT) | instid1(VALU_DEP_1)
	v_div_scale_f32 v91, null, v90, v90, 1.0
	v_rcp_f32_e32 v92, v91
	s_waitcnt_depctr 0xfff
	v_fma_f32 v93, -v91, v92, 1.0
	s_delay_alu instid0(VALU_DEP_1) | instskip(SKIP_1) | instid1(VALU_DEP_2)
	v_dual_fmac_f32 v92, v93, v92 :: v_dual_cndmask_b32 v93, v100, v99
	v_cmp_eq_u32_e32 vcc_lo, 3, v65
	v_cndmask_b32_e64 v93, v93, v101, s2
	v_cmp_eq_u32_e64 s2, 4, v65
	s_delay_alu instid0(VALU_DEP_2) | instskip(SKIP_1) | instid1(VALU_DEP_2)
	v_cndmask_b32_e32 v93, v93, v102, vcc_lo
	v_cmp_eq_u32_e32 vcc_lo, 5, v65
	v_cndmask_b32_e64 v93, v93, v97, s2
	v_cmp_eq_u32_e64 s2, 6, v65
	s_delay_alu instid0(VALU_DEP_2) | instskip(SKIP_1) | instid1(VALU_DEP_1)
	v_cndmask_b32_e32 v93, v93, v95, vcc_lo
	v_div_scale_f32 v94, s3, 1.0, v90, 1.0
	s_mov_b32 vcc_lo, s3
	s_delay_alu instid0(VALU_DEP_2) | instskip(NEXT) | instid1(VALU_DEP_2)
	v_cndmask_b32_e64 v82, v93, v82, s2
	v_mul_f32_e32 v96, v94, v92
	s_mov_b32 s2, exec_lo
	s_delay_alu instid0(VALU_DEP_2) | instskip(NEXT) | instid1(VALU_DEP_2)
	v_cndmask_b32_e64 v82, v82, v89, s4
	v_fma_f32 v98, -v91, v96, v94
	s_delay_alu instid0(VALU_DEP_1) | instskip(NEXT) | instid1(VALU_DEP_1)
	v_fmac_f32_e32 v96, v98, v92
	v_fma_f32 v91, -v91, v96, v94
	s_delay_alu instid0(VALU_DEP_1) | instskip(NEXT) | instid1(VALU_DEP_1)
	v_div_fmas_f32 v91, v91, v92, v96
	v_div_fixup_f32 v90, v91, v90, 1.0
	s_delay_alu instid0(VALU_DEP_1) | instskip(NEXT) | instid1(VALU_DEP_1)
	v_mul_f32_e32 v82, v82, v90
	v_mul_f32_e32 v87, v82, v87
	;; [unrolled: 1-line block ×7, first 2 shown]
	v_dual_mul_f32 v86, v82, v83 :: v_dual_and_b32 v91, 0x7f800000, v90
	v_mul_f32_e32 v85, v82, v76
                                        ; implicit-def: $vgpr76
	s_delay_alu instid0(VALU_DEP_2)
	v_cmpx_ne_u32_e32 0x7f800000, v91
	s_xor_b32 s2, exec_lo, s2
; %bb.13:
	v_bfe_u32 v76, v90, 16, 1
	s_delay_alu instid0(VALU_DEP_1)
	v_add3_u32 v76, v90, v76, 0x7fff
                                        ; implicit-def: $vgpr90
; %bb.14:
	s_and_not1_saveexec_b32 s2, s2
; %bb.15:
	v_and_b32_e32 v76, 0xffff, v90
	v_or_b32_e32 v83, 0x10000, v90
	s_delay_alu instid0(VALU_DEP_2) | instskip(NEXT) | instid1(VALU_DEP_2)
	v_cmp_eq_u32_e32 vcc_lo, 0, v76
	v_cndmask_b32_e32 v76, v83, v90, vcc_lo
; %bb.16:
	s_or_b32 exec_lo, exec_lo, s2
	v_and_b32_e32 v83, 0x7f800000, v85
	s_delay_alu instid0(VALU_DEP_1) | instskip(SKIP_1) | instid1(SALU_CYCLE_1)
	v_cmp_ne_u32_e32 vcc_lo, 0x7f800000, v83
                                        ; implicit-def: $vgpr83
	s_and_saveexec_b32 s2, vcc_lo
	s_xor_b32 s2, exec_lo, s2
; %bb.17:
	v_bfe_u32 v83, v85, 16, 1
	s_delay_alu instid0(VALU_DEP_1)
	v_add3_u32 v83, v85, v83, 0x7fff
                                        ; implicit-def: $vgpr85
; %bb.18:
	s_and_not1_saveexec_b32 s2, s2
; %bb.19:
	v_and_b32_e32 v83, 0xffff, v85
	v_or_b32_e32 v90, 0x10000, v85
	s_delay_alu instid0(VALU_DEP_2) | instskip(NEXT) | instid1(VALU_DEP_2)
	v_cmp_eq_u32_e32 vcc_lo, 0, v83
	v_cndmask_b32_e32 v83, v90, v85, vcc_lo
; %bb.20:
	s_or_b32 exec_lo, exec_lo, s2
	v_and_b32_e32 v85, 0x7f800000, v86
	s_delay_alu instid0(VALU_DEP_1) | instskip(SKIP_1) | instid1(SALU_CYCLE_1)
	v_cmp_ne_u32_e32 vcc_lo, 0x7f800000, v85
                                        ; implicit-def: $vgpr85
	s_and_saveexec_b32 s2, vcc_lo
	s_xor_b32 s2, exec_lo, s2
; %bb.21:
	v_bfe_u32 v85, v86, 16, 1
	s_delay_alu instid0(VALU_DEP_1)
	v_add3_u32 v85, v86, v85, 0x7fff
                                        ; implicit-def: $vgpr86
; %bb.22:
	s_and_not1_saveexec_b32 s2, s2
; %bb.23:
	v_and_b32_e32 v85, 0xffff, v86
	v_or_b32_e32 v90, 0x10000, v86
	s_delay_alu instid0(VALU_DEP_2) | instskip(NEXT) | instid1(VALU_DEP_2)
	v_cmp_eq_u32_e32 vcc_lo, 0, v85
	v_cndmask_b32_e32 v85, v90, v86, vcc_lo
; %bb.24:
	s_or_b32 exec_lo, exec_lo, s2
	v_and_b32_e32 v86, 0x7f800000, v89
	s_delay_alu instid0(VALU_DEP_1) | instskip(SKIP_1) | instid1(SALU_CYCLE_1)
	v_cmp_ne_u32_e32 vcc_lo, 0x7f800000, v86
                                        ; implicit-def: $vgpr86
	s_and_saveexec_b32 s2, vcc_lo
	s_xor_b32 s2, exec_lo, s2
; %bb.25:
	v_bfe_u32 v86, v89, 16, 1
	s_delay_alu instid0(VALU_DEP_1)
	v_add3_u32 v86, v89, v86, 0x7fff
                                        ; implicit-def: $vgpr89
; %bb.26:
	s_and_not1_saveexec_b32 s2, s2
; %bb.27:
	v_and_b32_e32 v86, 0xffff, v89
	v_or_b32_e32 v90, 0x10000, v89
	s_delay_alu instid0(VALU_DEP_2) | instskip(NEXT) | instid1(VALU_DEP_2)
	v_cmp_eq_u32_e32 vcc_lo, 0, v86
	v_cndmask_b32_e32 v86, v90, v89, vcc_lo
; %bb.28:
	s_or_b32 exec_lo, exec_lo, s2
	v_and_b32_e32 v89, 0x7f800000, v88
	s_delay_alu instid0(VALU_DEP_1) | instskip(SKIP_1) | instid1(SALU_CYCLE_1)
	v_cmp_ne_u32_e32 vcc_lo, 0x7f800000, v89
                                        ; implicit-def: $vgpr89
	s_and_saveexec_b32 s2, vcc_lo
	s_xor_b32 s2, exec_lo, s2
; %bb.29:
	v_bfe_u32 v89, v88, 16, 1
	s_delay_alu instid0(VALU_DEP_1)
	v_add3_u32 v89, v88, v89, 0x7fff
                                        ; implicit-def: $vgpr88
; %bb.30:
	s_and_not1_saveexec_b32 s2, s2
; %bb.31:
	v_and_b32_e32 v89, 0xffff, v88
	v_or_b32_e32 v90, 0x10000, v88
	s_delay_alu instid0(VALU_DEP_2) | instskip(NEXT) | instid1(VALU_DEP_2)
	v_cmp_eq_u32_e32 vcc_lo, 0, v89
	v_cndmask_b32_e32 v89, v90, v88, vcc_lo
; %bb.32:
	s_or_b32 exec_lo, exec_lo, s2
	v_and_b32_e32 v88, 0x7f800000, v87
	s_delay_alu instid0(VALU_DEP_1) | instskip(SKIP_1) | instid1(SALU_CYCLE_1)
	v_cmp_ne_u32_e32 vcc_lo, 0x7f800000, v88
                                        ; implicit-def: $vgpr88
	s_and_saveexec_b32 s2, vcc_lo
	s_xor_b32 s2, exec_lo, s2
; %bb.33:
	v_bfe_u32 v88, v87, 16, 1
	s_delay_alu instid0(VALU_DEP_1)
	v_add3_u32 v88, v87, v88, 0x7fff
                                        ; implicit-def: $vgpr87
; %bb.34:
	s_and_not1_saveexec_b32 s2, s2
; %bb.35:
	v_and_b32_e32 v88, 0xffff, v87
	v_or_b32_e32 v90, 0x10000, v87
	s_delay_alu instid0(VALU_DEP_2) | instskip(NEXT) | instid1(VALU_DEP_2)
	v_cmp_eq_u32_e32 vcc_lo, 0, v88
	v_cndmask_b32_e32 v88, v90, v87, vcc_lo
; %bb.36:
	s_or_b32 exec_lo, exec_lo, s2
	v_and_b32_e32 v87, 0x7f800000, v84
	s_delay_alu instid0(VALU_DEP_1) | instskip(SKIP_1) | instid1(SALU_CYCLE_1)
	v_cmp_ne_u32_e32 vcc_lo, 0x7f800000, v87
                                        ; implicit-def: $vgpr87
	s_and_saveexec_b32 s2, vcc_lo
	s_xor_b32 s2, exec_lo, s2
; %bb.37:
	v_bfe_u32 v87, v84, 16, 1
	s_delay_alu instid0(VALU_DEP_1)
	v_add3_u32 v87, v84, v87, 0x7fff
                                        ; implicit-def: $vgpr84
; %bb.38:
	s_and_not1_saveexec_b32 s2, s2
; %bb.39:
	v_and_b32_e32 v87, 0xffff, v84
	v_or_b32_e32 v90, 0x10000, v84
	s_delay_alu instid0(VALU_DEP_2) | instskip(NEXT) | instid1(VALU_DEP_2)
	v_cmp_eq_u32_e32 vcc_lo, 0, v87
	v_cndmask_b32_e32 v87, v90, v84, vcc_lo
; %bb.40:
	s_or_b32 exec_lo, exec_lo, s2
	v_and_b32_e32 v84, 0x7f800000, v80
	s_delay_alu instid0(VALU_DEP_1) | instskip(SKIP_1) | instid1(SALU_CYCLE_1)
	v_cmp_ne_u32_e32 vcc_lo, 0x7f800000, v84
                                        ; implicit-def: $vgpr84
	s_and_saveexec_b32 s2, vcc_lo
	s_xor_b32 s2, exec_lo, s2
; %bb.41:
	v_bfe_u32 v84, v80, 16, 1
	s_delay_alu instid0(VALU_DEP_1)
	v_add3_u32 v84, v80, v84, 0x7fff
                                        ; implicit-def: $vgpr80
; %bb.42:
	s_and_not1_saveexec_b32 s2, s2
; %bb.43:
	v_and_b32_e32 v84, 0xffff, v80
	v_or_b32_e32 v90, 0x10000, v80
	s_delay_alu instid0(VALU_DEP_2) | instskip(NEXT) | instid1(VALU_DEP_2)
	v_cmp_eq_u32_e32 vcc_lo, 0, v84
	v_cndmask_b32_e32 v84, v90, v80, vcc_lo
; %bb.44:
	s_or_b32 exec_lo, exec_lo, s2
	s_load_b64 s[34:35], s[0:1], 0x94
	v_lshlrev_b32_e32 v91, 4, v74
	s_delay_alu instid0(VALU_DEP_2)
	v_perm_b32 v90, v84, v87, 0x7060302
	v_dual_mul_f32 v77, v82, v77 :: v_dual_lshlrev_b32 v80, 6, v66
	v_lshlrev_b32_e32 v66, 11, v65
	v_perm_b32 v87, v83, v76, 0x7060302
	v_mul_f32_e32 v83, v82, v70
	v_perm_b32 v89, v88, v89, 0x7060302
	v_perm_b32 v88, v86, v85, 0x7060302
	v_or3_b32 v76, v91, v66, v80
	v_mul_f32_e32 v66, v82, v81
	v_mul_f32_e32 v70, v82, v79
	;; [unrolled: 1-line block ×3, first 2 shown]
	v_dual_mul_f32 v81, v82, v72 :: v_dual_and_b32 v84, 0x7f800000, v83
	v_mul_f32_e32 v79, v82, v71
	v_mul_f32_e32 v72, v82, v69
	s_mov_b32 s2, exec_lo
	ds_store_b128 v76, v[87:90]
                                        ; implicit-def: $vgpr69
	v_cmpx_ne_u32_e32 0x7f800000, v84
	s_xor_b32 s2, exec_lo, s2
; %bb.45:
	v_bfe_u32 v69, v83, 16, 1
	s_delay_alu instid0(VALU_DEP_1)
	v_add3_u32 v69, v83, v69, 0x7fff
                                        ; implicit-def: $vgpr83
; %bb.46:
	s_and_not1_saveexec_b32 s2, s2
; %bb.47:
	v_and_b32_e32 v69, 0xffff, v83
	v_or_b32_e32 v71, 0x10000, v83
	s_delay_alu instid0(VALU_DEP_2) | instskip(NEXT) | instid1(VALU_DEP_2)
	v_cmp_eq_u32_e32 vcc_lo, 0, v69
	v_cndmask_b32_e32 v69, v71, v83, vcc_lo
; %bb.48:
	s_or_b32 exec_lo, exec_lo, s2
	v_and_b32_e32 v71, 0x7f800000, v72
	s_delay_alu instid0(VALU_DEP_1) | instskip(SKIP_1) | instid1(SALU_CYCLE_1)
	v_cmp_ne_u32_e32 vcc_lo, 0x7f800000, v71
                                        ; implicit-def: $vgpr71
	s_and_saveexec_b32 s2, vcc_lo
	s_xor_b32 s2, exec_lo, s2
; %bb.49:
	v_bfe_u32 v71, v72, 16, 1
	s_delay_alu instid0(VALU_DEP_1)
	v_add3_u32 v71, v72, v71, 0x7fff
                                        ; implicit-def: $vgpr72
; %bb.50:
	s_and_not1_saveexec_b32 s2, s2
; %bb.51:
	v_and_b32_e32 v71, 0xffff, v72
	v_or_b32_e32 v82, 0x10000, v72
	s_delay_alu instid0(VALU_DEP_2) | instskip(NEXT) | instid1(VALU_DEP_2)
	v_cmp_eq_u32_e32 vcc_lo, 0, v71
	v_cndmask_b32_e32 v71, v82, v72, vcc_lo
; %bb.52:
	s_or_b32 exec_lo, exec_lo, s2
	v_and_b32_e32 v72, 0x7f800000, v79
	s_delay_alu instid0(VALU_DEP_1) | instskip(SKIP_1) | instid1(SALU_CYCLE_1)
	v_cmp_ne_u32_e32 vcc_lo, 0x7f800000, v72
                                        ; implicit-def: $vgpr72
	s_and_saveexec_b32 s2, vcc_lo
	s_xor_b32 s2, exec_lo, s2
; %bb.53:
	v_bfe_u32 v72, v79, 16, 1
	s_delay_alu instid0(VALU_DEP_1)
	v_add3_u32 v72, v79, v72, 0x7fff
                                        ; implicit-def: $vgpr79
; %bb.54:
	s_and_not1_saveexec_b32 s2, s2
; %bb.55:
	v_and_b32_e32 v72, 0xffff, v79
	v_or_b32_e32 v82, 0x10000, v79
	s_delay_alu instid0(VALU_DEP_2) | instskip(NEXT) | instid1(VALU_DEP_2)
	v_cmp_eq_u32_e32 vcc_lo, 0, v72
	v_cndmask_b32_e32 v72, v82, v79, vcc_lo
; %bb.56:
	s_or_b32 exec_lo, exec_lo, s2
	v_and_b32_e32 v79, 0x7f800000, v81
	s_delay_alu instid0(VALU_DEP_1) | instskip(SKIP_1) | instid1(SALU_CYCLE_1)
	v_cmp_ne_u32_e32 vcc_lo, 0x7f800000, v79
                                        ; implicit-def: $vgpr79
	s_and_saveexec_b32 s2, vcc_lo
	s_xor_b32 s2, exec_lo, s2
; %bb.57:
	v_bfe_u32 v79, v81, 16, 1
	s_delay_alu instid0(VALU_DEP_1)
	v_add3_u32 v79, v81, v79, 0x7fff
                                        ; implicit-def: $vgpr81
; %bb.58:
	s_and_not1_saveexec_b32 s2, s2
; %bb.59:
	v_and_b32_e32 v79, 0xffff, v81
	v_or_b32_e32 v82, 0x10000, v81
	s_delay_alu instid0(VALU_DEP_2) | instskip(NEXT) | instid1(VALU_DEP_2)
	v_cmp_eq_u32_e32 vcc_lo, 0, v79
	v_cndmask_b32_e32 v79, v82, v81, vcc_lo
; %bb.60:
	s_or_b32 exec_lo, exec_lo, s2
	v_and_b32_e32 v81, 0x7f800000, v77
	s_delay_alu instid0(VALU_DEP_1) | instskip(SKIP_1) | instid1(SALU_CYCLE_1)
	v_cmp_ne_u32_e32 vcc_lo, 0x7f800000, v81
                                        ; implicit-def: $vgpr81
	s_and_saveexec_b32 s2, vcc_lo
	s_xor_b32 s2, exec_lo, s2
; %bb.61:
	v_bfe_u32 v81, v77, 16, 1
	s_delay_alu instid0(VALU_DEP_1)
	v_add3_u32 v81, v77, v81, 0x7fff
                                        ; implicit-def: $vgpr77
; %bb.62:
	s_and_not1_saveexec_b32 s2, s2
; %bb.63:
	v_and_b32_e32 v81, 0xffff, v77
	v_or_b32_e32 v82, 0x10000, v77
	s_delay_alu instid0(VALU_DEP_2) | instskip(NEXT) | instid1(VALU_DEP_2)
	v_cmp_eq_u32_e32 vcc_lo, 0, v81
	v_cndmask_b32_e32 v81, v82, v77, vcc_lo
; %bb.64:
	s_or_b32 exec_lo, exec_lo, s2
	v_and_b32_e32 v77, 0x7f800000, v78
	s_delay_alu instid0(VALU_DEP_1) | instskip(SKIP_1) | instid1(SALU_CYCLE_1)
	v_cmp_ne_u32_e32 vcc_lo, 0x7f800000, v77
                                        ; implicit-def: $vgpr77
	s_and_saveexec_b32 s2, vcc_lo
	s_xor_b32 s2, exec_lo, s2
; %bb.65:
	v_bfe_u32 v77, v78, 16, 1
	s_delay_alu instid0(VALU_DEP_1)
	v_add3_u32 v77, v78, v77, 0x7fff
                                        ; implicit-def: $vgpr78
; %bb.66:
	s_and_not1_saveexec_b32 s2, s2
; %bb.67:
	v_and_b32_e32 v77, 0xffff, v78
	v_or_b32_e32 v82, 0x10000, v78
	s_delay_alu instid0(VALU_DEP_2) | instskip(NEXT) | instid1(VALU_DEP_2)
	v_cmp_eq_u32_e32 vcc_lo, 0, v77
	v_cndmask_b32_e32 v77, v82, v78, vcc_lo
; %bb.68:
	s_or_b32 exec_lo, exec_lo, s2
	v_and_b32_e32 v78, 0x7f800000, v70
	s_delay_alu instid0(VALU_DEP_1) | instskip(SKIP_1) | instid1(SALU_CYCLE_1)
	v_cmp_ne_u32_e32 vcc_lo, 0x7f800000, v78
                                        ; implicit-def: $vgpr78
	s_and_saveexec_b32 s2, vcc_lo
	s_xor_b32 s2, exec_lo, s2
; %bb.69:
	v_bfe_u32 v78, v70, 16, 1
	s_delay_alu instid0(VALU_DEP_1)
	v_add3_u32 v78, v70, v78, 0x7fff
                                        ; implicit-def: $vgpr70
; %bb.70:
	s_and_not1_saveexec_b32 s2, s2
; %bb.71:
	v_and_b32_e32 v78, 0xffff, v70
	v_or_b32_e32 v82, 0x10000, v70
	s_delay_alu instid0(VALU_DEP_2) | instskip(NEXT) | instid1(VALU_DEP_2)
	v_cmp_eq_u32_e32 vcc_lo, 0, v78
	v_cndmask_b32_e32 v78, v82, v70, vcc_lo
; %bb.72:
	s_or_b32 exec_lo, exec_lo, s2
	v_and_b32_e32 v70, 0x7f800000, v66
	s_delay_alu instid0(VALU_DEP_1) | instskip(SKIP_1) | instid1(SALU_CYCLE_1)
	v_cmp_ne_u32_e32 vcc_lo, 0x7f800000, v70
                                        ; implicit-def: $vgpr70
	s_and_saveexec_b32 s2, vcc_lo
	s_xor_b32 s2, exec_lo, s2
; %bb.73:
	v_bfe_u32 v70, v66, 16, 1
	s_delay_alu instid0(VALU_DEP_1)
	v_add3_u32 v70, v66, v70, 0x7fff
                                        ; implicit-def: $vgpr66
; %bb.74:
	s_and_not1_saveexec_b32 s2, s2
; %bb.75:
	v_and_b32_e32 v70, 0xffff, v66
	v_or_b32_e32 v82, 0x10000, v66
	s_delay_alu instid0(VALU_DEP_2) | instskip(NEXT) | instid1(VALU_DEP_2)
	v_cmp_eq_u32_e32 vcc_lo, 0, v70
	v_cndmask_b32_e32 v70, v82, v66, vcc_lo
; %bb.76:
	s_or_b32 exec_lo, exec_lo, s2
	s_delay_alu instid0(VALU_DEP_1)
	v_perm_b32 v86, v70, v78, 0x7060302
	v_perm_b32 v85, v77, v81, 0x7060302
	;; [unrolled: 1-line block ×4, first 2 shown]
	v_lshl_or_b32 v82, v65, 11, v80
	ds_store_b128 v76, v[83:86] offset:1024
	s_waitcnt lgkmcnt(0)
	s_barrier
	buffer_gl0_inv
	ds_load_b128 v[69:72], v82
	ds_load_b128 v[83:86], v82 offset:16
	s_waitcnt lgkmcnt(1)
	v_lshrrev_b32_e32 v65, 16, v69
	v_lshlrev_b32_e32 v78, 2, v74
	s_waitcnt lgkmcnt(0)
	v_lshrrev_b32_e32 v91, 16, v83
	v_lshrrev_b32_e32 v66, 16, v70
	v_lshrrev_b32_e32 v97, 16, v84
	v_lshrrev_b32_e32 v95, 16, v71
	v_cmp_eq_u32_e32 vcc_lo, 1, v78
	v_lshrrev_b32_e32 v98, 16, v85
	v_lshrrev_b32_e32 v96, 16, v72
	;; [unrolled: 1-line block ×3, first 2 shown]
	v_cndmask_b32_e32 v81, v69, v65, vcc_lo
	v_or_b32_e32 v79, 1, v78
	v_cmp_eq_u32_e64 s3, 2, v78
	v_cndmask_b32_e32 v87, v83, v91, vcc_lo
	v_cmp_eq_u32_e64 s6, 3, v78
	v_cmp_eq_u32_e64 s8, 4, v78
	;; [unrolled: 1-line block ×3, first 2 shown]
	v_cndmask_b32_e64 v81, v81, v70, s3
	v_cmp_eq_u32_e64 s5, 2, v79
	v_cndmask_b32_e64 v87, v87, v84, s3
	v_cmp_eq_u32_e64 s7, 3, v79
	v_cndmask_b32_e64 v88, v69, v65, s2
	v_cndmask_b32_e64 v81, v81, v66, s6
	v_or_b32_e32 v77, 2, v78
	v_cndmask_b32_e64 v87, v87, v97, s6
	v_cndmask_b32_e64 v89, v83, v91, s2
	;; [unrolled: 1-line block ×4, first 2 shown]
	v_cmp_eq_u32_e64 s9, 5, v78
	v_cndmask_b32_e64 v87, v87, v85, s8
	v_cmp_eq_u32_e64 s10, 4, v79
	v_cndmask_b32_e64 v88, v88, v66, s7
	;; [unrolled: 2-line block ×3, first 2 shown]
	v_cndmask_b32_e64 v81, v81, v95, s9
	v_cmp_eq_u32_e64 s11, 6, v78
	v_cndmask_b32_e64 v88, v88, v71, s10
	v_cndmask_b32_e64 v87, v87, v98, s9
	v_cmp_eq_u32_e64 s12, 5, v79
	v_cndmask_b32_e64 v90, v69, v65, s4
	v_cndmask_b32_e64 v89, v89, v97, s7
	;; [unrolled: 1-line block ×3, first 2 shown]
	v_cmp_eq_u32_e64 s13, 7, v78
	v_cndmask_b32_e64 v88, v88, v95, s12
	v_cndmask_b32_e64 v87, v87, v86, s11
	v_cmp_eq_u32_e64 s15, 6, v79
	v_cmp_eq_u32_e64 s16, 2, v77
	v_cndmask_b32_e64 v89, v89, v85, s10
	v_cndmask_b32_e64 v100, v81, v96, s13
	;; [unrolled: 1-line block ×6, first 2 shown]
	v_cmp_eq_u32_e64 s17, 7, v79
	v_cmp_eq_u32_e64 s18, 3, v77
	v_cmp_eq_u32_e64 s19, 4, v77
	v_cmp_eq_u32_e64 s21, 5, v77
	v_cndmask_b32_e64 v87, v87, v84, s16
	v_cndmask_b32_e64 v102, v88, v96, s17
	;; [unrolled: 1-line block ×4, first 2 shown]
	v_or_b32_e32 v81, 3, v78
	v_cndmask_b32_e64 v93, v87, v97, s18
	v_cmp_eq_u32_e64 s23, 6, v77
	v_cndmask_b32_e64 v103, v88, v86, s15
	v_cndmask_b32_e64 v92, v89, v71, s19
	v_cmp_eq_u32_e64 s20, 1, v81
	ds_load_b128 v[87:90], v82 offset:1024
	v_cmp_eq_u32_e64 s22, 2, v81
	v_cmp_eq_u32_e64 s24, 3, v81
	v_cndmask_b32_e64 v104, v92, v95, s21
	v_cndmask_b32_e64 v65, v69, v65, s20
	;; [unrolled: 1-line block ×4, first 2 shown]
	ds_load_b128 v[91:94], v82 offset:1040
	v_cmp_eq_u32_e64 s25, 4, v81
	v_cndmask_b32_e64 v65, v65, v70, s22
	v_cmp_eq_u32_e64 s27, 5, v81
	v_cndmask_b32_e64 v70, v83, v84, s22
	;; [unrolled: 2-line block ×3, first 2 shown]
	v_cndmask_b32_e64 v65, v65, v66, s24
	v_cndmask_b32_e64 v66, v104, v72, s23
	;; [unrolled: 1-line block ×3, first 2 shown]
	v_cmp_eq_u32_e64 s26, 7, v77
	v_cndmask_b32_e64 v69, v69, v86, s23
	v_cndmask_b32_e64 v65, v65, v71, s25
	s_waitcnt lgkmcnt(1)
	v_lshrrev_b32_e32 v84, 16, v87
	v_cndmask_b32_e64 v70, v70, v85, s25
	v_cndmask_b32_e64 v83, v103, v99, s17
	;; [unrolled: 1-line block ×4, first 2 shown]
	v_lshrrev_b32_e32 v95, 16, v88
	v_cndmask_b32_e64 v70, v70, v98, s27
	s_waitcnt lgkmcnt(0)
	v_lshrrev_b32_e32 v85, 16, v91
	v_cndmask_b32_e64 v97, v87, v84, s2
	v_cndmask_b32_e64 v65, v65, v72, s28
	;; [unrolled: 1-line block ×4, first 2 shown]
	v_cndmask_b32_e32 v71, v87, v84, vcc_lo
	v_cndmask_b32_e32 v98, v91, v85, vcc_lo
	v_cmp_eq_u32_e32 vcc_lo, 7, v81
	v_cndmask_b32_e64 v72, v97, v88, s5
	v_lshrrev_b32_e32 v97, 16, v92
	v_lshrrev_b32_e32 v103, 16, v90
	v_dual_cndmask_b32 v65, v65, v96 :: v_dual_cndmask_b32 v70, v70, v99
	v_cndmask_b32_e64 v71, v71, v88, s3
	v_cndmask_b32_e64 v86, v98, v92, s3
	;; [unrolled: 1-line block ×3, first 2 shown]
	v_lshrrev_b32_e32 v98, 16, v89
	v_lshrrev_b32_e32 v99, 16, v93
	v_cndmask_b32_e64 v71, v71, v95, s6
	v_cndmask_b32_e64 v86, v86, v97, s6
	;; [unrolled: 1-line block ×3, first 2 shown]
	v_perm_b32 v72, v70, v65, 0x5040100
	v_perm_b32 v70, v83, v102, 0x5040100
	v_cndmask_b32_e64 v71, v71, v89, s8
	v_cndmask_b32_e64 v86, v86, v93, s8
	;; [unrolled: 1-line block ×3, first 2 shown]
	v_lshrrev_b32_e32 v83, 16, v94
	s_delay_alu instid0(VALU_DEP_4) | instskip(NEXT) | instid1(VALU_DEP_4)
	v_cndmask_b32_e64 v71, v71, v98, s9
	v_cndmask_b32_e64 v86, v86, v99, s9
	s_delay_alu instid0(VALU_DEP_4) | instskip(NEXT) | instid1(VALU_DEP_3)
	v_cndmask_b32_e64 v65, v65, v90, s15
	v_cndmask_b32_e64 v96, v71, v90, s11
	v_perm_b32 v71, v69, v66, 0x5040100
	s_delay_alu instid0(VALU_DEP_4)
	v_cndmask_b32_e64 v69, v86, v94, s11
	v_cndmask_b32_e64 v86, v87, v84, s4
	;; [unrolled: 1-line block ×34, first 2 shown]
	v_cndmask_b32_e32 v84, v84, v103, vcc_lo
	v_cndmask_b32_e32 v86, v87, v83, vcc_lo
	v_cndmask_b32_e64 v87, v88, v83, s26
	v_cndmask_b32_e64 v88, v85, v83, s17
	;; [unrolled: 1-line block ×3, first 2 shown]
	v_perm_b32 v69, v101, v100, 0x5040100
	v_perm_b32 v86, v86, v84, 0x5040100
	;; [unrolled: 1-line block ×5, first 2 shown]
	s_lshl_b32 s7, s35, 3
	s_mov_b32 s2, exec_lo
	ds_store_b128 v76, v[69:72]
	ds_store_b128 v76, v[83:86] offset:1024
	v_cmpx_gt_u32_e32 8, v0
	s_cbranch_execz .LBB1813_78
; %bb.77:
	v_or_b32_e32 v65, s29, v0
	s_load_b128 s[8:11], s[0:1], 0x58
	s_delay_alu instid0(VALU_DEP_1) | instskip(NEXT) | instid1(VALU_DEP_1)
	v_mad_u64_u32 v[69:70], null, s7, s30, v[65:66]
	v_mad_u64_u32 v[65:66], null, v69, s34, s[14:15]
	s_delay_alu instid0(VALU_DEP_1) | instskip(NEXT) | instid1(VALU_DEP_1)
	v_ashrrev_i32_e32 v66, 31, v65
	v_lshlrev_b64 v[65:66], 2, v[65:66]
	s_waitcnt lgkmcnt(0)
	s_delay_alu instid0(VALU_DEP_1) | instskip(NEXT) | instid1(VALU_DEP_2)
	v_add_co_u32 v69, vcc_lo, s10, v65
	v_add_co_ci_u32_e32 v70, vcc_lo, s11, v66, vcc_lo
	v_add_co_u32 v65, vcc_lo, s8, v65
	v_add_co_ci_u32_e32 v66, vcc_lo, s9, v66, vcc_lo
	global_store_b32 v[69:70], v67, off
	global_store_b32 v[65:66], v68, off
.LBB1813_78:
	s_or_b32 exec_lo, exec_lo, s2
	s_waitcnt lgkmcnt(0)
	s_waitcnt_vscnt null, 0x0
	s_barrier
	buffer_gl0_inv
	ds_load_b128 v[83:86], v80
	ds_load_b128 v[87:90], v80 offset:16
	ds_load_b128 v[95:98], v80 offset:2064
	ds_load_b128 v[91:94], v80 offset:2048
	v_mov_b32_e32 v65, 0
	ds_load_b128 v[103:106], v80 offset:4112
	ds_load_b128 v[99:102], v80 offset:4096
	;; [unrolled: 1-line block ×4, first 2 shown]
	v_mov_b32_e32 v66, v65
	v_mov_b32_e32 v67, v65
	;; [unrolled: 1-line block ×7, first 2 shown]
	s_waitcnt lgkmcnt(6)
	s_delay_alu instid0(VALU_DEP_1)
	v_wmma_f32_16x16x16_bf16 v[65:72], v[49:56], v[83:90], v[65:72]
	ds_load_b128 v[53:56], v80 offset:8208
	ds_load_b128 v[49:52], v80 offset:8192
	s_waitcnt lgkmcnt(6)
	v_wmma_f32_16x16x16_bf16 v[65:72], v[41:48], v[91:98], v[65:72]
	ds_load_b128 v[45:48], v80 offset:10256
	ds_load_b128 v[41:44], v80 offset:10240
	s_waitcnt lgkmcnt(6)
	;; [unrolled: 4-line block ×4, first 2 shown]
	v_wmma_f32_16x16x16_bf16 v[65:72], v[1:8], v[49:56], v[65:72]
	s_waitcnt lgkmcnt(4)
	s_delay_alu instid0(VALU_DEP_1) | instskip(SKIP_1) | instid1(VALU_DEP_1)
	v_wmma_f32_16x16x16_bf16 v[65:72], v[9:16], v[41:48], v[65:72]
	s_waitcnt lgkmcnt(2)
	v_wmma_f32_16x16x16_bf16 v[65:72], v[17:24], v[33:40], v[65:72]
	s_waitcnt lgkmcnt(0)
	s_delay_alu instid0(VALU_DEP_1) | instskip(NEXT) | instid1(VALU_DEP_1)
	v_wmma_f32_16x16x16_bf16 v[65:72], v[57:64], v[25:32], v[65:72]
	v_and_b32_e32 v1, 0x7f800000, v65
	s_delay_alu instid0(VALU_DEP_1) | instskip(SKIP_1) | instid1(SALU_CYCLE_1)
	v_cmp_ne_u32_e32 vcc_lo, 0x7f800000, v1
                                        ; implicit-def: $vgpr1
	s_and_saveexec_b32 s2, vcc_lo
	s_xor_b32 s2, exec_lo, s2
; %bb.79:
	v_bfe_u32 v1, v65, 16, 1
	s_delay_alu instid0(VALU_DEP_1)
	v_add3_u32 v1, v65, v1, 0x7fff
; %bb.80:
	s_and_not1_saveexec_b32 s2, s2
; %bb.81:
	v_and_b32_e32 v1, 0xffff, v65
	v_or_b32_e32 v2, 0x10000, v65
	s_delay_alu instid0(VALU_DEP_2) | instskip(NEXT) | instid1(VALU_DEP_2)
	v_cmp_eq_u32_e32 vcc_lo, 0, v1
	v_cndmask_b32_e32 v1, v2, v65, vcc_lo
; %bb.82:
	s_or_b32 exec_lo, exec_lo, s2
	v_and_b32_e32 v2, 0x7f800000, v66
	s_delay_alu instid0(VALU_DEP_1) | instskip(SKIP_1) | instid1(SALU_CYCLE_1)
	v_cmp_ne_u32_e32 vcc_lo, 0x7f800000, v2
                                        ; implicit-def: $vgpr2
	s_and_saveexec_b32 s2, vcc_lo
	s_xor_b32 s2, exec_lo, s2
; %bb.83:
	v_bfe_u32 v2, v66, 16, 1
	s_delay_alu instid0(VALU_DEP_1)
	v_add3_u32 v2, v66, v2, 0x7fff
; %bb.84:
	s_and_not1_saveexec_b32 s2, s2
; %bb.85:
	v_and_b32_e32 v2, 0xffff, v66
	v_or_b32_e32 v3, 0x10000, v66
	s_delay_alu instid0(VALU_DEP_2) | instskip(NEXT) | instid1(VALU_DEP_2)
	v_cmp_eq_u32_e32 vcc_lo, 0, v2
	v_cndmask_b32_e32 v2, v3, v66, vcc_lo
; %bb.86:
	s_or_b32 exec_lo, exec_lo, s2
	v_and_b32_e32 v3, 0x7f800000, v67
	s_delay_alu instid0(VALU_DEP_1) | instskip(SKIP_1) | instid1(SALU_CYCLE_1)
	v_cmp_ne_u32_e32 vcc_lo, 0x7f800000, v3
                                        ; implicit-def: $vgpr3
	s_and_saveexec_b32 s2, vcc_lo
	s_xor_b32 s2, exec_lo, s2
; %bb.87:
	v_bfe_u32 v3, v67, 16, 1
	s_delay_alu instid0(VALU_DEP_1)
	v_add3_u32 v3, v67, v3, 0x7fff
; %bb.88:
	s_and_not1_saveexec_b32 s2, s2
; %bb.89:
	v_and_b32_e32 v3, 0xffff, v67
	v_or_b32_e32 v4, 0x10000, v67
	s_delay_alu instid0(VALU_DEP_2) | instskip(NEXT) | instid1(VALU_DEP_2)
	v_cmp_eq_u32_e32 vcc_lo, 0, v3
	v_cndmask_b32_e32 v3, v4, v67, vcc_lo
; %bb.90:
	s_or_b32 exec_lo, exec_lo, s2
	v_and_b32_e32 v4, 0x7f800000, v68
	s_delay_alu instid0(VALU_DEP_1) | instskip(SKIP_1) | instid1(SALU_CYCLE_1)
	v_cmp_ne_u32_e32 vcc_lo, 0x7f800000, v4
                                        ; implicit-def: $vgpr4
	s_and_saveexec_b32 s2, vcc_lo
	s_xor_b32 s2, exec_lo, s2
; %bb.91:
	v_bfe_u32 v4, v68, 16, 1
	s_delay_alu instid0(VALU_DEP_1)
	v_add3_u32 v4, v68, v4, 0x7fff
; %bb.92:
	s_and_not1_saveexec_b32 s2, s2
; %bb.93:
	v_and_b32_e32 v4, 0xffff, v68
	v_or_b32_e32 v5, 0x10000, v68
	s_delay_alu instid0(VALU_DEP_2) | instskip(NEXT) | instid1(VALU_DEP_2)
	v_cmp_eq_u32_e32 vcc_lo, 0, v4
	v_cndmask_b32_e32 v4, v5, v68, vcc_lo
; %bb.94:
	s_or_b32 exec_lo, exec_lo, s2
	v_and_b32_e32 v5, 0x7f800000, v69
	s_delay_alu instid0(VALU_DEP_1) | instskip(SKIP_1) | instid1(SALU_CYCLE_1)
	v_cmp_ne_u32_e32 vcc_lo, 0x7f800000, v5
                                        ; implicit-def: $vgpr5
	s_and_saveexec_b32 s2, vcc_lo
	s_xor_b32 s2, exec_lo, s2
; %bb.95:
	v_bfe_u32 v5, v69, 16, 1
	s_delay_alu instid0(VALU_DEP_1)
	v_add3_u32 v5, v69, v5, 0x7fff
; %bb.96:
	s_and_not1_saveexec_b32 s2, s2
; %bb.97:
	v_and_b32_e32 v5, 0xffff, v69
	v_or_b32_e32 v6, 0x10000, v69
	s_delay_alu instid0(VALU_DEP_2) | instskip(NEXT) | instid1(VALU_DEP_2)
	v_cmp_eq_u32_e32 vcc_lo, 0, v5
	v_cndmask_b32_e32 v5, v6, v69, vcc_lo
; %bb.98:
	s_or_b32 exec_lo, exec_lo, s2
	v_and_b32_e32 v6, 0x7f800000, v70
	s_delay_alu instid0(VALU_DEP_1) | instskip(SKIP_1) | instid1(SALU_CYCLE_1)
	v_cmp_ne_u32_e32 vcc_lo, 0x7f800000, v6
                                        ; implicit-def: $vgpr6
	s_and_saveexec_b32 s2, vcc_lo
	s_xor_b32 s2, exec_lo, s2
; %bb.99:
	v_bfe_u32 v6, v70, 16, 1
	s_delay_alu instid0(VALU_DEP_1)
	v_add3_u32 v6, v70, v6, 0x7fff
; %bb.100:
	s_and_not1_saveexec_b32 s2, s2
; %bb.101:
	v_and_b32_e32 v6, 0xffff, v70
	v_or_b32_e32 v7, 0x10000, v70
	s_delay_alu instid0(VALU_DEP_2) | instskip(NEXT) | instid1(VALU_DEP_2)
	v_cmp_eq_u32_e32 vcc_lo, 0, v6
	v_cndmask_b32_e32 v6, v7, v70, vcc_lo
; %bb.102:
	s_or_b32 exec_lo, exec_lo, s2
	v_and_b32_e32 v7, 0x7f800000, v71
	s_delay_alu instid0(VALU_DEP_1) | instskip(SKIP_1) | instid1(SALU_CYCLE_1)
	v_cmp_ne_u32_e32 vcc_lo, 0x7f800000, v7
                                        ; implicit-def: $vgpr7
	s_and_saveexec_b32 s2, vcc_lo
	s_xor_b32 s2, exec_lo, s2
; %bb.103:
	v_bfe_u32 v7, v71, 16, 1
	s_delay_alu instid0(VALU_DEP_1)
	v_add3_u32 v7, v71, v7, 0x7fff
; %bb.104:
	s_and_not1_saveexec_b32 s2, s2
; %bb.105:
	v_and_b32_e32 v7, 0xffff, v71
	v_or_b32_e32 v8, 0x10000, v71
	s_delay_alu instid0(VALU_DEP_2) | instskip(NEXT) | instid1(VALU_DEP_2)
	v_cmp_eq_u32_e32 vcc_lo, 0, v7
	v_cndmask_b32_e32 v7, v8, v71, vcc_lo
; %bb.106:
	s_or_b32 exec_lo, exec_lo, s2
	v_and_b32_e32 v8, 0x7f800000, v72
	s_delay_alu instid0(VALU_DEP_1) | instskip(SKIP_1) | instid1(SALU_CYCLE_1)
	v_cmp_ne_u32_e32 vcc_lo, 0x7f800000, v8
                                        ; implicit-def: $vgpr8
	s_and_saveexec_b32 s2, vcc_lo
	s_xor_b32 s2, exec_lo, s2
; %bb.107:
	v_bfe_u32 v8, v72, 16, 1
	s_delay_alu instid0(VALU_DEP_1)
	v_add3_u32 v8, v72, v8, 0x7fff
                                        ; implicit-def: $vgpr65_vgpr66_vgpr67_vgpr68_vgpr69_vgpr70_vgpr71_vgpr72
; %bb.108:
	s_and_not1_saveexec_b32 s2, s2
; %bb.109:
	v_and_b32_e32 v8, 0xffff, v72
	v_or_b32_e32 v9, 0x10000, v72
	s_delay_alu instid0(VALU_DEP_2) | instskip(NEXT) | instid1(VALU_DEP_2)
	v_cmp_eq_u32_e32 vcc_lo, 0, v8
	v_cndmask_b32_e32 v8, v9, v72, vcc_lo
; %bb.110:
	s_or_b32 exec_lo, exec_lo, s2
	s_delay_alu instid0(VALU_DEP_1)
	v_perm_b32 v7, v8, v7, 0x7060302
	v_perm_b32 v6, v6, v5, 0x7060302
	;; [unrolled: 1-line block ×4, first 2 shown]
	s_barrier
	buffer_gl0_inv
	v_cmp_eq_u32_e32 vcc_lo, 1, v78
	ds_store_b128 v76, v[4:7]
	s_waitcnt lgkmcnt(0)
	s_barrier
	buffer_gl0_inv
	ds_load_b128 v[1:4], v82
	ds_load_b128 v[5:8], v82 offset:16
	v_cmp_eq_u32_e64 s2, 1, v79
	v_cmp_eq_u32_e64 s3, 2, v78
	;; [unrolled: 1-line block ×5, first 2 shown]
	s_waitcnt lgkmcnt(1)
	v_lshrrev_b32_e32 v9, 16, v1
	s_waitcnt lgkmcnt(0)
	v_lshrrev_b32_e32 v13, 16, v5
	v_lshrrev_b32_e32 v10, 16, v2
	;; [unrolled: 1-line block ×4, first 2 shown]
	v_cndmask_b32_e64 v19, v1, v9, s2
	v_cndmask_b32_e32 v18, v5, v13, vcc_lo
	v_cndmask_b32_e64 v20, v5, v13, s2
	v_cndmask_b32_e32 v17, v1, v9, vcc_lo
	v_cmp_eq_u32_e32 vcc_lo, 2, v79
	v_lshrrev_b32_e32 v15, 16, v7
	v_cmp_eq_u32_e64 s2, 1, v77
	v_lshrrev_b32_e32 v12, 16, v4
	v_lshrrev_b32_e32 v16, 16, v8
	v_cndmask_b32_e32 v20, v20, v6, vcc_lo
	v_cndmask_b32_e64 v17, v17, v2, s3
	v_cndmask_b32_e32 v19, v19, v2, vcc_lo
	v_cndmask_b32_e64 v18, v18, v6, s3
	v_cmp_eq_u32_e32 vcc_lo, 4, v78
	v_cmp_eq_u32_e64 s3, 3, v79
	v_cndmask_b32_e64 v17, v17, v10, s4
	v_cndmask_b32_e64 v21, v1, v9, s2
	;; [unrolled: 1-line block ×5, first 2 shown]
	v_cndmask_b32_e32 v17, v17, v3, vcc_lo
	v_cndmask_b32_e64 v20, v20, v14, s3
	v_cndmask_b32_e32 v18, v18, v7, vcc_lo
	v_cmp_eq_u32_e32 vcc_lo, 4, v79
	v_cmp_eq_u32_e64 s3, 5, v79
	v_cmp_eq_u32_e64 s2, 2, v81
	v_cndmask_b32_e64 v21, v21, v2, s6
	v_cmp_eq_u32_e64 s4, 5, v78
	v_cndmask_b32_e32 v19, v19, v3, vcc_lo
	v_cndmask_b32_e32 v20, v20, v7, vcc_lo
	v_cmp_eq_u32_e32 vcc_lo, 6, v79
	s_delay_alu instid0(VALU_DEP_4) | instskip(NEXT) | instid1(VALU_DEP_4)
	v_cndmask_b32_e64 v17, v17, v11, s4
	v_cndmask_b32_e64 v19, v19, v11, s3
	s_delay_alu instid0(VALU_DEP_4) | instskip(SKIP_1) | instid1(VALU_DEP_3)
	v_cndmask_b32_e64 v20, v20, v15, s3
	v_cmp_eq_u32_e64 s3, 1, v81
	v_cndmask_b32_e32 v19, v19, v4, vcc_lo
	v_cndmask_b32_e64 v18, v18, v15, s4
	s_delay_alu instid0(VALU_DEP_3)
	v_cndmask_b32_e64 v1, v1, v9, s3
	v_cndmask_b32_e64 v5, v5, v13, s3
	v_cmp_eq_u32_e64 s3, 3, v77
	v_cndmask_b32_e64 v13, v22, v6, s6
	v_cmp_eq_u32_e64 s6, 3, v81
	v_cndmask_b32_e64 v1, v1, v2, s2
	v_cndmask_b32_e64 v2, v5, v6, s2
	;; [unrolled: 1-line block ×3, first 2 shown]
	v_cmp_eq_u32_e64 s2, 4, v77
	v_cndmask_b32_e64 v6, v13, v14, s3
	v_cndmask_b32_e64 v1, v1, v10, s6
	v_cmp_eq_u32_e64 s3, 4, v81
	v_cndmask_b32_e64 v2, v2, v14, s6
	v_cndmask_b32_e64 v5, v9, v3, s2
	;; [unrolled: 3-line block ×3, first 2 shown]
	v_cndmask_b32_e64 v2, v2, v7, s3
	v_cmp_eq_u32_e64 s2, 5, v81
	v_cmp_eq_u32_e64 s4, 6, v78
	v_cndmask_b32_e64 v5, v5, v11, s6
	v_cmp_eq_u32_e64 s3, 6, v77
	v_cndmask_b32_e64 v3, v6, v15, s6
	v_cndmask_b32_e64 v1, v1, v11, s2
	v_cmp_eq_u32_e64 s6, 6, v81
	v_cndmask_b32_e64 v2, v2, v15, s2
	v_cndmask_b32_e64 v17, v17, v4, s4
	v_cndmask_b32_e64 v18, v18, v8, s4
	v_cmp_eq_u32_e64 s4, 7, v78
	v_cndmask_b32_e64 v5, v5, v4, s3
	;; [unrolled: 4-line block ×3, first 2 shown]
	v_cmp_eq_u32_e64 s3, 7, v77
	v_cndmask_b32_e32 v4, v20, v8, vcc_lo
	v_cndmask_b32_e64 v17, v17, v12, s4
	v_cndmask_b32_e64 v19, v19, v12, s5
	;; [unrolled: 1-line block ×8, first 2 shown]
	s_mov_b32 s2, exec_lo
	v_perm_b32 v4, v2, v1, 0x5040100
	v_perm_b32 v3, v3, v5, 0x5040100
	;; [unrolled: 1-line block ×4, first 2 shown]
	ds_store_b128 v76, v[1:4]
	s_waitcnt lgkmcnt(0)
	s_barrier
	buffer_gl0_inv
	v_cmpx_gt_u32_e32 32, v0
	s_cbranch_execz .LBB1813_2
; %bb.111:
	s_load_b64 s[0:1], s[0:1], 0x68
	s_lshl_b32 s4, s34, 7
	v_or_b32_e32 v2, s29, v74
	s_mul_i32 s2, s4, s30
	v_lshlrev_b32_e32 v1, 10, v0
	s_mul_i32 s2, s2, s7
	v_lshlrev_b32_e32 v3, 4, v75
	v_mul_lo_u32 v0, v2, s4
	s_ashr_i32 s3, s2, 31
	v_lshlrev_b32_e32 v4, 6, v74
	v_and_b32_e32 v1, 0x3800, v1
	v_or_b32_e32 v5, 2, v2
	s_lshl_b64 s[2:3], s[2:3], 1
	v_or_b32_e32 v6, 4, v2
	v_or_b32_e32 v7, 6, v2
	v_or3_b32 v12, v1, v3, v4
	v_ashrrev_i32_e32 v1, 31, v0
	v_mul_lo_u32 v2, v5, s4
	v_mul_lo_u32 v16, v6, s4
	;; [unrolled: 1-line block ×3, first 2 shown]
	s_waitcnt lgkmcnt(0)
	s_add_u32 s2, s0, s2
	s_addc_u32 s3, s1, s3
	s_lshl_b32 s0, s14, 7
	v_lshlrev_b64 v[0:1], 1, v[0:1]
	s_ashr_i32 s1, s0, 31
	v_ashrrev_i32_e32 v3, 31, v2
	s_lshl_b64 s[0:1], s[0:1], 1
	v_ashrrev_i32_e32 v17, 31, v16
	s_add_u32 s0, s2, s0
	s_addc_u32 s1, s3, s1
	v_add_co_u32 v24, s0, s0, v73
	s_delay_alu instid0(VALU_DEP_1) | instskip(SKIP_1) | instid1(VALU_DEP_3)
	v_add_co_ci_u32_e64 v25, null, s1, 0, s0
	v_lshlrev_b64 v[22:23], 1, v[2:3]
	v_add_co_u32 v18, vcc_lo, v24, v0
	s_delay_alu instid0(VALU_DEP_3)
	v_add_co_ci_u32_e32 v19, vcc_lo, v25, v1, vcc_lo
	ds_load_b128 v[0:3], v12
	ds_load_b128 v[4:7], v12 offset:128
	ds_load_b128 v[8:11], v12 offset:256
	;; [unrolled: 1-line block ×3, first 2 shown]
	v_ashrrev_i32_e32 v21, 31, v20
	v_lshlrev_b64 v[16:17], 1, v[16:17]
	v_add_co_u32 v22, vcc_lo, v24, v22
	v_add_co_ci_u32_e32 v23, vcc_lo, v25, v23, vcc_lo
	s_delay_alu instid0(VALU_DEP_4) | instskip(NEXT) | instid1(VALU_DEP_4)
	v_lshlrev_b64 v[20:21], 1, v[20:21]
	v_add_co_u32 v16, vcc_lo, v24, v16
	v_add_co_ci_u32_e32 v17, vcc_lo, v25, v17, vcc_lo
	s_delay_alu instid0(VALU_DEP_3) | instskip(NEXT) | instid1(VALU_DEP_4)
	v_add_co_u32 v20, vcc_lo, v24, v20
	v_add_co_ci_u32_e32 v21, vcc_lo, v25, v21, vcc_lo
	s_waitcnt lgkmcnt(3)
	global_store_b128 v[18:19], v[0:3], off
	s_waitcnt lgkmcnt(2)
	global_store_b128 v[22:23], v[4:7], off
	;; [unrolled: 2-line block ×4, first 2 shown]
	s_nop 0
	s_sendmsg sendmsg(MSG_DEALLOC_VGPRS)
	s_endpgm
	.section	.rodata,"a",@progbits
	.p2align	6, 0x0
	.amdhsa_kernel _Z39paged_attention_ll4mi_QKV_mfma16_kernelI14__hip_bfloat16hLN4vllm18Fp8KVCacheDataTypeE1EhLi16ELi128ELi256ELb0ELi8EL8MFMAType0EEvPKT_PKT0_S9_ifPKiSB_SB_iPKfiiiPfSE_PS4_PT2_iSD_SD_
		.amdhsa_group_segment_fixed_size 17472
		.amdhsa_private_segment_fixed_size 0
		.amdhsa_kernarg_size 400
		.amdhsa_user_sgpr_count 13
		.amdhsa_user_sgpr_dispatch_ptr 0
		.amdhsa_user_sgpr_queue_ptr 0
		.amdhsa_user_sgpr_kernarg_segment_ptr 1
		.amdhsa_user_sgpr_dispatch_id 0
		.amdhsa_user_sgpr_private_segment_size 0
		.amdhsa_wavefront_size32 1
		.amdhsa_uses_dynamic_stack 0
		.amdhsa_enable_private_segment 0
		.amdhsa_system_sgpr_workgroup_id_x 1
		.amdhsa_system_sgpr_workgroup_id_y 1
		.amdhsa_system_sgpr_workgroup_id_z 1
		.amdhsa_system_sgpr_workgroup_info 0
		.amdhsa_system_vgpr_workitem_id 0
		.amdhsa_next_free_vgpr 140
		.amdhsa_next_free_sgpr 36
		.amdhsa_reserve_vcc 1
		.amdhsa_float_round_mode_32 0
		.amdhsa_float_round_mode_16_64 0
		.amdhsa_float_denorm_mode_32 3
		.amdhsa_float_denorm_mode_16_64 3
		.amdhsa_dx10_clamp 1
		.amdhsa_ieee_mode 1
		.amdhsa_fp16_overflow 0
		.amdhsa_workgroup_processor_mode 1
		.amdhsa_memory_ordered 1
		.amdhsa_forward_progress 0
		.amdhsa_shared_vgpr_count 0
		.amdhsa_exception_fp_ieee_invalid_op 0
		.amdhsa_exception_fp_denorm_src 0
		.amdhsa_exception_fp_ieee_div_zero 0
		.amdhsa_exception_fp_ieee_overflow 0
		.amdhsa_exception_fp_ieee_underflow 0
		.amdhsa_exception_fp_ieee_inexact 0
		.amdhsa_exception_int_div_zero 0
	.end_amdhsa_kernel
	.section	.text._Z39paged_attention_ll4mi_QKV_mfma16_kernelI14__hip_bfloat16hLN4vllm18Fp8KVCacheDataTypeE1EhLi16ELi128ELi256ELb0ELi8EL8MFMAType0EEvPKT_PKT0_S9_ifPKiSB_SB_iPKfiiiPfSE_PS4_PT2_iSD_SD_,"axG",@progbits,_Z39paged_attention_ll4mi_QKV_mfma16_kernelI14__hip_bfloat16hLN4vllm18Fp8KVCacheDataTypeE1EhLi16ELi128ELi256ELb0ELi8EL8MFMAType0EEvPKT_PKT0_S9_ifPKiSB_SB_iPKfiiiPfSE_PS4_PT2_iSD_SD_,comdat
.Lfunc_end1813:
	.size	_Z39paged_attention_ll4mi_QKV_mfma16_kernelI14__hip_bfloat16hLN4vllm18Fp8KVCacheDataTypeE1EhLi16ELi128ELi256ELb0ELi8EL8MFMAType0EEvPKT_PKT0_S9_ifPKiSB_SB_iPKfiiiPfSE_PS4_PT2_iSD_SD_, .Lfunc_end1813-_Z39paged_attention_ll4mi_QKV_mfma16_kernelI14__hip_bfloat16hLN4vllm18Fp8KVCacheDataTypeE1EhLi16ELi128ELi256ELb0ELi8EL8MFMAType0EEvPKT_PKT0_S9_ifPKiSB_SB_iPKfiiiPfSE_PS4_PT2_iSD_SD_
                                        ; -- End function
	.section	.AMDGPU.csdata,"",@progbits
; Kernel info:
; codeLenInByte = 8852
; NumSgprs: 38
; NumVgprs: 140
; ScratchSize: 0
; MemoryBound: 0
; FloatMode: 240
; IeeeMode: 1
; LDSByteSize: 17472 bytes/workgroup (compile time only)
; SGPRBlocks: 4
; VGPRBlocks: 17
; NumSGPRsForWavesPerEU: 38
; NumVGPRsForWavesPerEU: 140
; Occupancy: 10
; WaveLimiterHint : 1
; COMPUTE_PGM_RSRC2:SCRATCH_EN: 0
; COMPUTE_PGM_RSRC2:USER_SGPR: 13
; COMPUTE_PGM_RSRC2:TRAP_HANDLER: 0
; COMPUTE_PGM_RSRC2:TGID_X_EN: 1
; COMPUTE_PGM_RSRC2:TGID_Y_EN: 1
; COMPUTE_PGM_RSRC2:TGID_Z_EN: 1
; COMPUTE_PGM_RSRC2:TIDIG_COMP_CNT: 0
	.section	.text._Z39paged_attention_ll4mi_QKV_mfma16_kernelI14__hip_bfloat16hLN4vllm18Fp8KVCacheDataTypeE1EhLi16ELi128ELi256ELb0ELi9EL8MFMAType0EEvPKT_PKT0_S9_ifPKiSB_SB_iPKfiiiPfSE_PS4_PT2_iSD_SD_,"axG",@progbits,_Z39paged_attention_ll4mi_QKV_mfma16_kernelI14__hip_bfloat16hLN4vllm18Fp8KVCacheDataTypeE1EhLi16ELi128ELi256ELb0ELi9EL8MFMAType0EEvPKT_PKT0_S9_ifPKiSB_SB_iPKfiiiPfSE_PS4_PT2_iSD_SD_,comdat
	.protected	_Z39paged_attention_ll4mi_QKV_mfma16_kernelI14__hip_bfloat16hLN4vllm18Fp8KVCacheDataTypeE1EhLi16ELi128ELi256ELb0ELi9EL8MFMAType0EEvPKT_PKT0_S9_ifPKiSB_SB_iPKfiiiPfSE_PS4_PT2_iSD_SD_ ; -- Begin function _Z39paged_attention_ll4mi_QKV_mfma16_kernelI14__hip_bfloat16hLN4vllm18Fp8KVCacheDataTypeE1EhLi16ELi128ELi256ELb0ELi9EL8MFMAType0EEvPKT_PKT0_S9_ifPKiSB_SB_iPKfiiiPfSE_PS4_PT2_iSD_SD_
	.globl	_Z39paged_attention_ll4mi_QKV_mfma16_kernelI14__hip_bfloat16hLN4vllm18Fp8KVCacheDataTypeE1EhLi16ELi128ELi256ELb0ELi9EL8MFMAType0EEvPKT_PKT0_S9_ifPKiSB_SB_iPKfiiiPfSE_PS4_PT2_iSD_SD_
	.p2align	8
	.type	_Z39paged_attention_ll4mi_QKV_mfma16_kernelI14__hip_bfloat16hLN4vllm18Fp8KVCacheDataTypeE1EhLi16ELi128ELi256ELb0ELi9EL8MFMAType0EEvPKT_PKT0_S9_ifPKiSB_SB_iPKfiiiPfSE_PS4_PT2_iSD_SD_,@function
_Z39paged_attention_ll4mi_QKV_mfma16_kernelI14__hip_bfloat16hLN4vllm18Fp8KVCacheDataTypeE1EhLi16ELi128ELi256ELb0ELi9EL8MFMAType0EEvPKT_PKT0_S9_ifPKiSB_SB_iPKfiiiPfSE_PS4_PT2_iSD_SD_: ; @_Z39paged_attention_ll4mi_QKV_mfma16_kernelI14__hip_bfloat16hLN4vllm18Fp8KVCacheDataTypeE1EhLi16ELi128ELi256ELb0ELi9EL8MFMAType0EEvPKT_PKT0_S9_ifPKiSB_SB_iPKfiiiPfSE_PS4_PT2_iSD_SD_
; %bb.0:
	s_load_b64 s[4:5], s[0:1], 0x30
	s_mov_b32 s30, s13
	s_waitcnt lgkmcnt(0)
	s_cmp_lg_u64 s[4:5], 0
	s_cselect_b32 s13, -1, 0
	s_ashr_i32 s31, s30, 31
	s_cmp_eq_u64 s[4:5], 0
	s_cbranch_scc1 .LBB1814_3
; %bb.1:
	s_lshl_b64 s[2:3], s[30:31], 2
	s_delay_alu instid0(SALU_CYCLE_1) | instskip(SKIP_4) | instid1(SALU_CYCLE_1)
	s_add_u32 s2, s4, s2
	s_addc_u32 s3, s5, s3
	s_load_b64 s[2:3], s[2:3], 0x0
	s_waitcnt lgkmcnt(0)
	s_sub_i32 s2, s3, s2
	s_cmp_eq_u32 s2, 1
	s_cselect_b32 s2, -1, 0
	s_delay_alu instid0(SALU_CYCLE_1)
	s_and_not1_b32 vcc_lo, exec_lo, s2
	s_cbranch_vccz .LBB1814_4
.LBB1814_2:
	s_nop 0
	s_sendmsg sendmsg(MSG_DEALLOC_VGPRS)
	s_endpgm
.LBB1814_3:
.LBB1814_4:
	s_load_b64 s[2:3], s[0:1], 0x28
	s_lshl_b64 s[6:7], s[30:31], 2
	s_waitcnt lgkmcnt(0)
	s_add_u32 s2, s2, s6
	s_addc_u32 s3, s3, s7
	s_lshl_b32 s12, s14, 8
	s_load_b32 s17, s[2:3], 0x0
	s_waitcnt lgkmcnt(0)
	s_cmp_ge_i32 s12, s17
	s_cbranch_scc1 .LBB1814_2
; %bb.5:
	s_clause 0x1
	s_load_b128 s[8:11], s[0:1], 0x8
	s_load_b64 s[2:3], s[0:1], 0x20
	s_and_not1_b32 vcc_lo, exec_lo, s13
	s_cbranch_vccnz .LBB1814_7
; %bb.6:
	s_add_u32 s4, s4, s6
	s_addc_u32 s5, s5, s7
	s_load_b32 s13, s[4:5], 0x0
	s_branch .LBB1814_8
.LBB1814_7:
	s_mov_b32 s13, s30
.LBB1814_8:
	s_load_b128 s[4:7], s[0:1], 0x48
	v_and_b32_e32 v65, 15, v0
	v_lshrrev_b32_e32 v66, 5, v0
	v_bfe_u32 v74, v0, 4, 1
	v_and_b32_e32 v67, 31, v0
	v_and_b32_e32 v75, 1, v0
	v_lshlrev_b32_e32 v2, 3, v65
	s_mul_i32 s31, s15, 9
	v_lshl_or_b32 v1, v66, 1, v74
	s_waitcnt lgkmcnt(0)
	s_mov_b32 s7, exec_lo
	v_lshlrev_b32_e32 v73, 1, v2
	s_delay_alu instid0(VALU_DEP_2)
	v_cmpx_gt_u32_e32 9, v1
	s_cbranch_execz .LBB1814_10
; %bb.9:
	s_load_b64 s[18:19], s[0:1], 0x0
	v_add_lshl_u32 v2, v1, s31, 7
	s_mul_hi_i32 s21, s13, s4
	s_mul_i32 s20, s13, s4
	v_lshlrev_b32_e32 v6, 10, v65
	s_lshl_b64 s[20:21], s[20:21], 1
	v_ashrrev_i32_e32 v3, 31, v2
	v_lshlrev_b32_e32 v1, 6, v1
	v_lshlrev_b32_e32 v7, 10, v75
	v_and_b32_e32 v6, 0x3800, v6
	s_delay_alu instid0(VALU_DEP_4) | instskip(NEXT) | instid1(VALU_DEP_2)
	v_lshlrev_b64 v[2:3], 1, v[2:3]
	v_or3_b32 v1, v6, v7, v1
	s_waitcnt lgkmcnt(0)
	s_add_u32 s4, s18, s20
	s_addc_u32 s13, s19, s21
	s_delay_alu instid0(VALU_DEP_2) | instskip(SKIP_1) | instid1(VALU_DEP_2)
	v_add_co_u32 v2, vcc_lo, s4, v2
	v_add_co_ci_u32_e32 v3, vcc_lo, s13, v3, vcc_lo
	v_add_co_u32 v2, vcc_lo, v2, v73
	s_delay_alu instid0(VALU_DEP_2)
	v_add_co_ci_u32_e32 v3, vcc_lo, 0, v3, vcc_lo
	global_load_b128 v[2:5], v[2:3], off
	s_waitcnt vmcnt(0)
	ds_store_b128 v1, v[2:5]
.LBB1814_10:
	s_or_b32 exec_lo, exec_lo, s7
	v_and_b32_e32 v1, 0xef, v0
	s_add_i32 s4, s17, 15
	s_clause 0x1
	s_load_b32 s7, s[0:1], 0x38
	s_load_b32 s18, s[0:1], 0x1c
	s_ashr_i32 s13, s4, 31
	v_add_nc_u32_e32 v1, s12, v1
	s_lshr_b32 s13, s13, 28
	s_waitcnt lgkmcnt(0)
	s_add_i32 s4, s4, s13
	s_barrier
	v_ashrrev_i32_e32 v2, 31, v1
	v_or_b32_e32 v3, 16, v1
	s_ashr_i32 s4, s4, 4
	v_cmp_gt_i32_e32 vcc_lo, s17, v1
	s_add_i32 s4, s4, -1
	v_lshrrev_b32_e32 v2, 28, v2
	buffer_gl0_inv
	s_mul_i32 s15, s15, s6
	v_add_nc_u32_e32 v4, v1, v2
	s_mul_i32 s20, s30, s7
	s_delay_alu instid0(SALU_CYCLE_1) | instskip(NEXT) | instid1(VALU_DEP_1)
	s_ashr_i32 s21, s20, 31
	v_ashrrev_i32_e32 v4, 4, v4
	v_add_nc_u32_e32 v2, v3, v2
	s_lshl_b64 s[20:21], s[20:21], 2
	s_delay_alu instid0(SALU_CYCLE_1) | instskip(NEXT) | instid1(VALU_DEP_2)
	s_add_u32 s13, s2, s20
	v_cndmask_b32_e32 v1, s4, v4, vcc_lo
	s_delay_alu instid0(VALU_DEP_2)
	v_ashrrev_i32_e32 v2, 4, v2
	v_cmp_gt_i32_e32 vcc_lo, s17, v3
	s_addc_u32 s16, s3, s21
	s_ashr_i32 s19, s15, 31
	s_add_u32 s26, s8, s15
	s_addc_u32 s27, s9, s19
	v_cndmask_b32_e32 v3, s4, v2, vcc_lo
	v_ashrrev_i32_e32 v2, 31, v1
	s_lshl_b32 s2, s14, 4
	s_delay_alu instid0(SALU_CYCLE_1) | instskip(NEXT) | instid1(VALU_DEP_2)
	s_ashr_i32 s3, s2, 31
	v_ashrrev_i32_e32 v4, 31, v3
	s_delay_alu instid0(VALU_DEP_2) | instskip(SKIP_1) | instid1(SALU_CYCLE_1)
	v_lshlrev_b64 v[1:2], 2, v[1:2]
	s_lshl_b64 s[2:3], s[2:3], 2
	s_add_u32 s2, s13, s2
	s_delay_alu instid0(VALU_DEP_2) | instskip(SKIP_1) | instid1(VALU_DEP_2)
	v_lshlrev_b64 v[3:4], 2, v[3:4]
	s_addc_u32 s3, s16, s3
	v_add_co_u32 v1, vcc_lo, s13, v1
	v_add_co_ci_u32_e32 v2, vcc_lo, s16, v2, vcc_lo
	s_delay_alu instid0(VALU_DEP_3) | instskip(NEXT) | instid1(VALU_DEP_4)
	v_add_co_u32 v3, vcc_lo, s13, v3
	v_add_co_ci_u32_e32 v4, vcc_lo, s16, v4, vcc_lo
	s_clause 0x1
	global_load_b32 v5, v[1:2], off
	global_load_b32 v3, v[3:4], off
	s_or_b32 s6, s12, 32
	v_cmp_gt_u32_e32 vcc_lo, 9, v65
	s_ashr_i32 s7, s6, 4
	s_cmp_lt_i32 s6, s17
	s_cselect_b32 s6, s7, s4
	s_delay_alu instid0(SALU_CYCLE_1) | instskip(NEXT) | instid1(SALU_CYCLE_1)
	s_ashr_i32 s7, s6, 31
	s_lshl_b64 s[6:7], s[6:7], 2
	s_delay_alu instid0(SALU_CYCLE_1) | instskip(SKIP_2) | instid1(SALU_CYCLE_1)
	s_add_u32 s6, s13, s6
	s_addc_u32 s7, s16, s7
	s_or_b32 s8, s12, 64
	s_ashr_i32 s9, s8, 4
	s_cmp_lt_i32 s8, s17
	s_cselect_b32 s8, s9, s4
	s_delay_alu instid0(SALU_CYCLE_1) | instskip(NEXT) | instid1(SALU_CYCLE_1)
	s_ashr_i32 s9, s8, 31
	s_lshl_b64 s[8:9], s[8:9], 2
	s_delay_alu instid0(SALU_CYCLE_1) | instskip(SKIP_2) | instid1(SALU_CYCLE_1)
	s_add_u32 s8, s13, s8
	s_addc_u32 s9, s16, s9
	s_or_b32 s20, s12, 0x60
	;; [unrolled: 10-line block ×4, first 2 shown]
	s_ashr_i32 s25, s24, 4
	s_cmp_lt_i32 s24, s17
	s_cselect_b32 s24, s25, s4
	s_delay_alu instid0(SALU_CYCLE_1) | instskip(NEXT) | instid1(SALU_CYCLE_1)
	s_ashr_i32 s25, s24, 31
	s_lshl_b64 s[24:25], s[24:25], 2
	s_delay_alu instid0(SALU_CYCLE_1)
	s_add_u32 s24, s13, s24
	s_addc_u32 s25, s16, s25
	s_clause 0x5
	s_load_b32 s28, s[2:3], 0x0
	s_load_b32 s29, s[6:7], 0x0
	;; [unrolled: 1-line block ×6, first 2 shown]
	s_mov_b32 s20, 0
	s_or_b32 s2, s12, 0xc0
	s_mov_b32 s21, s20
	s_mov_b32 s22, s20
	;; [unrolled: 1-line block ×5, first 2 shown]
	v_lshlrev_b32_e32 v1, 4, v0
	s_ashr_i32 s3, s2, 4
	s_cmp_lt_i32 s2, s17
	s_cselect_b32 s2, s3, s4
	s_delay_alu instid0(VALU_DEP_1) | instskip(SKIP_1) | instid1(SALU_CYCLE_1)
	v_and_b32_e32 v1, 0xf0, v1
	s_ashr_i32 s3, s2, 31
	s_lshl_b64 s[2:3], s[2:3], 2
	s_delay_alu instid0(VALU_DEP_1) | instskip(NEXT) | instid1(VALU_DEP_1)
	v_add_co_u32 v1, s26, s26, v1
	v_add_co_ci_u32_e64 v2, null, s27, 0, s26
	s_add_u32 s2, s13, s2
	s_addc_u32 s3, s16, s3
	s_or_b32 s6, s12, 0xe0
	s_mov_b32 s27, s20
	s_ashr_i32 s7, s6, 4
	s_cmp_lt_i32 s6, s17
	s_mov_b32 s26, s20
	v_dual_mov_b32 v107, s27 :: v_dual_mov_b32 v100, s20
	s_cselect_b32 s6, s7, s4
	v_mov_b32_e32 v106, s26
	s_ashr_i32 s7, s6, 31
	v_mov_b32_e32 v104, s24
	s_lshl_b64 s[6:7], s[6:7], 2
	v_dual_mov_b32 v103, s23 :: v_dual_mov_b32 v102, s22
	v_mov_b32_e32 v101, s21
	s_waitcnt vmcnt(1)
	v_mad_i64_i32 v[33:34], null, v5, s5, v[1:2]
	s_waitcnt vmcnt(0)
	v_mad_i64_i32 v[35:36], null, v3, s5, v[1:2]
	s_clause 0xf
	global_load_b128 v[1:4], v[33:34], off
	global_load_b128 v[5:8], v[33:34], off offset:256
	global_load_b128 v[9:12], v[35:36], off
	global_load_b128 v[13:16], v[35:36], off offset:256
	global_load_b128 v[17:20], v[33:34], off offset:512
	global_load_b128 v[21:24], v[33:34], off offset:768
	global_load_b128 v[25:28], v[35:36], off offset:512
	global_load_b128 v[29:32], v[35:36], off offset:768
	global_load_b128 v[57:60], v[33:34], off offset:1024
	global_load_b128 v[61:64], v[33:34], off offset:1280
	global_load_b128 v[76:79], v[35:36], off offset:1024
	global_load_b128 v[80:83], v[35:36], off offset:1280
	global_load_b128 v[84:87], v[33:34], off offset:1536
	global_load_b128 v[88:91], v[33:34], off offset:1792
	global_load_b128 v[92:95], v[35:36], off offset:1536
	global_load_b128 v[96:99], v[35:36], off offset:1792
	v_add_nc_u32_e32 v33, -9, v65
	v_lshlrev_b32_e32 v34, 4, v65
	s_delay_alu instid0(VALU_DEP_2) | instskip(SKIP_1) | instid1(VALU_DEP_3)
	v_cndmask_b32_e32 v33, v33, v65, vcc_lo
	v_mov_b32_e32 v105, s25
	v_lshl_or_b32 v41, v66, 8, v34
	s_delay_alu instid0(VALU_DEP_3)
	v_lshlrev_b32_e32 v72, 6, v33
	ds_load_b128 v[33:36], v72
	ds_load_b128 v[37:40], v72 offset:1024
	ds_load_b128 v[108:111], v72 offset:2048
	;; [unrolled: 1-line block ×3, first 2 shown]
	s_load_b32 s4, s[2:3], 0x0
	s_add_u32 s2, s13, s6
	s_addc_u32 s3, s16, s7
	ds_load_b128 v[116:119], v72 offset:4096
	ds_load_b128 v[120:123], v72 offset:5120
	s_load_b32 s2, s[2:3], 0x0
	s_add_u32 s6, s10, s15
	s_addc_u32 s7, s11, s19
	v_add_co_u32 v68, s6, s6, v41
	s_delay_alu instid0(VALU_DEP_1) | instskip(SKIP_1) | instid1(VALU_DEP_1)
	v_add_co_ci_u32_e64 v69, null, s7, 0, s6
	s_waitcnt lgkmcnt(0)
	v_mad_i64_i32 v[41:42], null, s28, s5, v[68:69]
	v_mad_i64_i32 v[70:71], null, s8, s5, v[68:69]
	;; [unrolled: 1-line block ×7, first 2 shown]
	s_clause 0x3
	global_load_b128 v[49:52], v[41:42], off
	global_load_b128 v[53:56], v[41:42], off offset:16
	global_load_b128 v[41:44], v[45:46], off
	global_load_b128 v[45:48], v[45:46], off offset:16
	s_waitcnt vmcnt(18)
	v_wmma_f32_16x16x16_bf16 v[124:131], v[1:8], v[33:40], v[100:107]
	s_waitcnt vmcnt(16)
	v_wmma_f32_16x16x16_bf16 v[100:107], v[9:16], v[33:40], v[100:107]
	s_clause 0x1
	global_load_b128 v[33:36], v[70:71], off
	global_load_b128 v[37:40], v[70:71], off offset:16
	v_mad_i64_i32 v[70:71], null, s2, s5, v[68:69]
	s_waitcnt vmcnt(16)
	v_wmma_f32_16x16x16_bf16 v[124:131], v[17:24], v[108:115], v[124:131]
	s_waitcnt vmcnt(14)
	v_wmma_f32_16x16x16_bf16 v[100:107], v[25:32], v[108:115], v[100:107]
	s_clause 0x7
	global_load_b128 v[25:28], v[132:133], off
	global_load_b128 v[29:32], v[132:133], off offset:16
	global_load_b128 v[1:4], v[134:135], off
	global_load_b128 v[5:8], v[134:135], off offset:16
	;; [unrolled: 2-line block ×4, first 2 shown]
	s_waitcnt vmcnt(20)
	v_wmma_f32_16x16x16_bf16 v[124:131], v[57:64], v[116:123], v[124:131]
	s_clause 0x1
	global_load_b128 v[57:60], v[70:71], off
	global_load_b128 v[61:64], v[70:71], off offset:16
	s_waitcnt vmcnt(20)
	v_wmma_f32_16x16x16_bf16 v[100:107], v[76:83], v[116:123], v[100:107]
	ds_load_b128 v[76:79], v72 offset:6144
	ds_load_b128 v[80:83], v72 offset:7168
	v_and_b32_e32 v68, 0xe0, v0
	v_mbcnt_lo_u32_b32 v69, -1, 0
	s_waitcnt vmcnt(0) lgkmcnt(0)
	s_barrier
	buffer_gl0_inv
	v_add_nc_u32_e32 v68, s12, v68
	v_xor_b32_e32 v70, 16, v69
	s_delay_alu instid0(VALU_DEP_2) | instskip(NEXT) | instid1(VALU_DEP_2)
	v_or_b32_e32 v68, v68, v74
	v_cmp_gt_i32_e32 vcc_lo, 32, v70
	s_delay_alu instid0(VALU_DEP_2)
	v_or_b32_e32 v71, 4, v68
	v_or_b32_e32 v72, 6, v68
	v_cmp_gt_i32_e64 s2, s17, v68
	v_or_b32_e32 v108, 8, v68
	v_wmma_f32_16x16x16_bf16 v[124:131], v[84:91], v[76:83], v[124:131]
	v_cndmask_b32_e32 v69, v69, v70, vcc_lo
	v_or_b32_e32 v70, 2, v68
	v_wmma_f32_16x16x16_bf16 v[100:107], v[92:99], v[76:83], v[100:107]
	v_or_b32_e32 v109, 10, v68
	v_dual_mul_f32 v82, s18, v127 :: v_dual_mul_f32 v79, s18, v130
	v_dual_mul_f32 v92, s18, v125 :: v_dual_mul_f32 v93, s18, v124
	s_delay_alu instid0(VALU_DEP_4)
	v_mul_f32_e32 v98, s18, v103
	v_cmp_gt_i32_e32 vcc_lo, s17, v70
	v_or_b32_e32 v89, 22, v68
	v_dual_mul_f32 v83, s18, v126 :: v_dual_mul_f32 v96, s18, v105
	v_cndmask_b32_e64 v93, 0xff7fffff, v93, s2
	v_cndmask_b32_e32 v92, 0xff7fffff, v92, vcc_lo
	v_cmp_gt_i32_e64 s3, s17, v71
	v_cmp_gt_i32_e64 s4, s17, v72
	v_or_b32_e32 v84, 12, v68
	v_or_b32_e32 v85, 14, v68
	v_dual_mul_f32 v80, s18, v129 :: v_dual_mul_f32 v81, s18, v128
	v_mul_f32_e32 v94, s18, v107
	v_cndmask_b32_e64 v71, 0xff7fffff, v83, s3
	v_cndmask_b32_e64 v72, 0xff7fffff, v82, s4
	v_cmp_gt_i32_e64 s5, s17, v108
	v_cmp_gt_i32_e64 s6, s17, v109
	;; [unrolled: 1-line block ×3, first 2 shown]
	v_lshlrev_b32_e32 v89, 2, v69
	v_max3_f32 v82, v93, 0xff7fffff, v92
	v_or_b32_e32 v86, 16, v68
	v_or_b32_e32 v87, 18, v68
	v_mul_f32_e32 v78, s18, v131
	v_cndmask_b32_e64 v81, 0xff7fffff, v81, s5
	v_cndmask_b32_e64 v80, 0xff7fffff, v80, s6
	v_max3_f32 v71, v82, v71, v72
	v_cmp_gt_i32_e64 s7, s17, v84
	v_cmp_gt_i32_e64 s8, s17, v85
	v_or_b32_e32 v88, 20, v68
	v_or_b32_e32 v90, 24, v68
	;; [unrolled: 1-line block ×5, first 2 shown]
	v_dual_mul_f32 v95, s18, v106 :: v_dual_mul_f32 v70, s18, v101
	v_dual_mul_f32 v99, s18, v102 :: v_dual_mul_f32 v68, s18, v100
	v_cndmask_b32_e64 v72, 0xff7fffff, v79, s7
	v_cndmask_b32_e64 v78, 0xff7fffff, v78, s8
	v_max3_f32 v71, v71, v81, v80
	v_cmp_gt_i32_e64 s9, s17, v86
	v_cmp_gt_i32_e64 s10, s17, v87
	;; [unrolled: 1-line block ×3, first 2 shown]
	v_mul_f32_e32 v97, s18, v104
	v_max3_f32 v71, v71, v72, v78
	v_cndmask_b32_e64 v68, 0xff7fffff, v68, s9
	v_cndmask_b32_e64 v70, 0xff7fffff, v70, s10
	;; [unrolled: 1-line block ×4, first 2 shown]
	v_cmp_gt_i32_e64 s13, s17, v90
	v_cmp_gt_i32_e64 s15, s17, v91
	v_max3_f32 v68, v71, v68, v70
	v_cmp_gt_i32_e64 s16, s17, v76
	v_cmp_gt_i32_e64 s17, s17, v77
	v_cndmask_b32_e64 v70, 0xff7fffff, v97, s13
	v_cndmask_b32_e64 v71, 0xff7fffff, v96, s15
	v_max3_f32 v68, v68, v72, v78
	v_cndmask_b32_e64 v72, 0xff7fffff, v95, s16
	v_cndmask_b32_e64 v76, 0xff7fffff, v94, s17
	s_delay_alu instid0(VALU_DEP_3) | instskip(NEXT) | instid1(VALU_DEP_1)
	v_max3_f32 v68, v68, v70, v71
	v_max3_f32 v68, v68, v72, v76
	ds_bpermute_b32 v69, v89, v68
	s_waitcnt lgkmcnt(0)
	v_max_f32_e32 v69, v69, v69
	s_delay_alu instid0(VALU_DEP_1) | instskip(NEXT) | instid1(VALU_DEP_1)
	v_max_f32_e32 v68, v68, v69
	v_fma_f32 v69, s18, v124, -v68
	v_fma_f32 v70, s18, v125, -v68
	;; [unrolled: 1-line block ×5, first 2 shown]
	s_delay_alu instid0(VALU_DEP_4) | instskip(NEXT) | instid1(VALU_DEP_4)
	v_dual_mul_f32 v69, 0x3fb8aa3b, v69 :: v_dual_mul_f32 v70, 0x3fb8aa3b, v70
	v_mul_f32_e32 v72, 0x3fb8aa3b, v72
	v_fma_f32 v78, s18, v130, -v68
	s_delay_alu instid0(VALU_DEP_4) | instskip(NEXT) | instid1(VALU_DEP_4)
	v_mul_f32_e32 v77, 0x3fb8aa3b, v76
	v_exp_f32_e32 v69, v69
	v_exp_f32_e32 v70, v70
	v_mul_f32_e32 v71, 0x3fb8aa3b, v71
	v_exp_f32_e32 v72, v72
	v_mul_f32_e32 v78, 0x3fb8aa3b, v78
	v_exp_f32_e32 v77, v77
	v_fma_f32 v81, s18, v105, -v68
	s_delay_alu instid0(VALU_DEP_2)
	v_exp_f32_e32 v78, v78
	v_cndmask_b32_e64 v80, 0, v69, s2
	v_cndmask_b32_e32 v76, 0, v70, vcc_lo
	v_exp_f32_e32 v71, v71
	v_fma_f32 v69, s18, v129, -v68
	v_cndmask_b32_e64 v85, 0, v72, s4
	v_add_f32_e32 v70, 0, v80
	s_delay_alu instid0(TRANS32_DEP_3)
	v_cndmask_b32_e64 v86, 0, v77, s5
	v_fma_f32 v77, s18, v101, -v68
	v_mul_f32_e32 v69, 0x3fb8aa3b, v69
	v_fma_f32 v72, s18, v100, -v68
	v_cndmask_b32_e64 v84, 0, v78, s7
	v_fma_f32 v78, s18, v103, -v68
	v_cndmask_b32_e64 v83, 0, v71, s3
	v_fma_f32 v71, s18, v131, -v68
	v_add_f32_e32 v70, v70, v76
	v_exp_f32_e32 v69, v69
	v_mul_f32_e32 v77, 0x3fb8aa3b, v77
	v_mul_f32_e32 v81, 0x3fb8aa3b, v81
	;; [unrolled: 1-line block ×3, first 2 shown]
	v_add_f32_e32 v70, v70, v83
	v_cmp_gt_u32_e64 s2, 16, v67
	v_exp_f32_e32 v77, v77
	v_exp_f32_e32 v81, v81
	;; [unrolled: 1-line block ×3, first 2 shown]
	v_cndmask_b32_e64 v87, 0, v69, s6
	v_add_f32_e32 v70, v70, v85
	s_delay_alu instid0(VALU_DEP_1) | instskip(SKIP_1) | instid1(VALU_DEP_2)
	v_dual_mul_f32 v72, 0x3fb8aa3b, v72 :: v_dual_add_f32 v69, v70, v86
	v_fma_f32 v70, s18, v102, -v68
	v_exp_f32_e32 v72, v72
	s_waitcnt_depctr 0xfff
	v_cndmask_b32_e64 v88, 0, v71, s8
	v_fma_f32 v71, s18, v104, -v68
	v_dual_add_f32 v69, v69, v87 :: v_dual_mul_f32 v70, 0x3fb8aa3b, v70
	s_delay_alu instid0(VALU_DEP_2) | instskip(NEXT) | instid1(VALU_DEP_2)
	v_dual_mul_f32 v78, 0x3fb8aa3b, v78 :: v_dual_mul_f32 v71, 0x3fb8aa3b, v71
	v_add_f32_e32 v69, v69, v84
	s_delay_alu instid0(VALU_DEP_3) | instskip(SKIP_1) | instid1(VALU_DEP_3)
	v_exp_f32_e32 v79, v70
	v_cndmask_b32_e64 v70, 0, v72, s9
	v_exp_f32_e32 v78, v78
	v_exp_f32_e32 v82, v71
	v_add_f32_e32 v72, v69, v88
	v_cndmask_b32_e64 v69, 0, v77, s10
	v_fma_f32 v77, s18, v106, -v68
	s_delay_alu instid0(VALU_DEP_3) | instskip(NEXT) | instid1(TRANS32_DEP_3)
	v_add_f32_e32 v72, v72, v70
	v_cndmask_b32_e64 v71, 0, v79, s11
	s_delay_alu instid0(VALU_DEP_3) | instskip(NEXT) | instid1(VALU_DEP_3)
	v_mul_f32_e32 v77, 0x3fb8aa3b, v77
	v_add_f32_e32 v79, v72, v69
	s_delay_alu instid0(TRANS32_DEP_2) | instskip(NEXT) | instid1(VALU_DEP_3)
	v_cndmask_b32_e64 v72, 0, v78, s12
	v_exp_f32_e32 v90, v77
	v_cndmask_b32_e64 v77, 0, v82, s13
	s_delay_alu instid0(VALU_DEP_3) | instskip(SKIP_1) | instid1(VALU_DEP_1)
	v_add_f32_e32 v78, v79, v71
	v_fma_f32 v79, s18, v107, -v68
	v_dual_add_f32 v82, v78, v72 :: v_dual_mul_f32 v79, 0x3fb8aa3b, v79
	v_cndmask_b32_e64 v78, 0, v81, s15
	s_delay_alu instid0(VALU_DEP_2) | instskip(NEXT) | instid1(VALU_DEP_3)
	v_add_f32_e32 v81, v82, v77
	v_exp_f32_e32 v82, v79
	s_delay_alu instid0(TRANS32_DEP_2) | instskip(NEXT) | instid1(VALU_DEP_2)
	v_cndmask_b32_e64 v79, 0, v90, s16
	v_add_f32_e32 v81, v81, v78
	s_delay_alu instid0(VALU_DEP_1) | instskip(SKIP_2) | instid1(VALU_DEP_1)
	v_add_f32_e32 v90, v81, v79
	s_waitcnt_depctr 0xfff
	v_cndmask_b32_e64 v81, 0, v82, s17
	v_add_f32_e32 v82, v90, v81
	ds_bpermute_b32 v89, v89, v82
	s_and_saveexec_b32 s3, s2
	s_cbranch_execz .LBB1814_12
; %bb.11:
	v_mul_u32_u24_e32 v67, 0x44, v66
	s_delay_alu instid0(VALU_DEP_1) | instskip(SKIP_1) | instid1(VALU_DEP_1)
	v_lshl_add_u32 v67, v65, 2, v67
	s_waitcnt lgkmcnt(0)
	v_dual_add_f32 v82, v82, v89 :: v_dual_add_nc_u32 v67, 0x4000, v67
	ds_store_2addr_b32 v67, v68, v82 offset1:136
.LBB1814_12:
	s_or_b32 exec_lo, exec_lo, s3
	v_lshlrev_b32_e32 v67, 2, v65
	s_waitcnt lgkmcnt(0)
	s_barrier
	buffer_gl0_inv
	v_cmp_eq_u32_e32 vcc_lo, 1, v66
	v_add_nc_u32_e32 v82, 0x4000, v67
	v_cmp_eq_u32_e64 s3, 2, v66
	v_cmp_eq_u32_e64 s5, 7, v66
	ds_load_2addr_b32 v[89:90], v82 offset1:17
	ds_load_2addr_b32 v[91:92], v82 offset0:34 offset1:51
	ds_load_2addr_b32 v[93:94], v82 offset0:68 offset1:85
	;; [unrolled: 1-line block ×4, first 2 shown]
	s_waitcnt lgkmcnt(4)
	v_max3_f32 v67, v89, 0xff7fffff, v90
	s_waitcnt lgkmcnt(3)
	s_delay_alu instid0(VALU_DEP_1) | instskip(SKIP_1) | instid1(VALU_DEP_1)
	v_max3_f32 v67, v67, v91, v92
	s_waitcnt lgkmcnt(2)
	v_max3_f32 v67, v67, v93, v94
	s_waitcnt lgkmcnt(1)
	s_delay_alu instid0(VALU_DEP_1) | instskip(NEXT) | instid1(VALU_DEP_1)
	v_max3_f32 v67, v67, v95, v96
	v_sub_f32_e32 v93, v93, v67
	s_delay_alu instid0(VALU_DEP_1) | instskip(NEXT) | instid1(VALU_DEP_1)
	v_dual_sub_f32 v68, v89, v67 :: v_dual_mul_f32 v103, 0x3fb8aa3b, v93
	v_mul_f32_e32 v68, 0x3fb8aa3b, v68
	s_delay_alu instid0(VALU_DEP_1)
	v_exp_f32_e32 v100, v68
	v_sub_f32_e32 v68, v92, v67
	v_sub_f32_e32 v99, v90, v67
	ds_load_2addr_b32 v[89:90], v82 offset0:170 offset1:187
	v_dual_mul_f32 v102, 0x3fb8aa3b, v68 :: v_dual_mul_f32 v99, 0x3fb8aa3b, v99
	s_waitcnt lgkmcnt(1)
	v_fma_f32 v68, v100, v97, 0
	s_delay_alu instid0(VALU_DEP_2) | instskip(NEXT) | instid1(VALU_DEP_2)
	v_exp_f32_e32 v102, v102
	v_exp_f32_e32 v99, v99
	s_waitcnt_depctr 0xfff
	v_fmac_f32_e32 v68, v99, v98
	v_sub_f32_e32 v91, v91, v67
	s_delay_alu instid0(VALU_DEP_1)
	v_mul_f32_e32 v101, 0x3fb8aa3b, v91
	ds_load_2addr_b32 v[91:92], v82 offset0:204 offset1:221
	v_sub_f32_e32 v97, v94, v67
	ds_load_2addr_b32 v[93:94], v82 offset0:238 offset1:255
	s_waitcnt lgkmcnt(0)
	v_exp_f32_e32 v101, v101
	s_barrier
	buffer_gl0_inv
	v_dual_fmac_f32 v68, v101, v89 :: v_dual_sub_f32 v89, v96, v67
	v_dual_sub_f32 v82, v95, v67 :: v_dual_mul_f32 v95, 0x3fb8aa3b, v97
	v_exp_f32_e32 v97, v103
	s_delay_alu instid0(VALU_DEP_2) | instskip(NEXT) | instid1(VALU_DEP_2)
	v_dual_fmac_f32 v68, v102, v90 :: v_dual_mul_f32 v89, 0x3fb8aa3b, v89
	v_mul_f32_e32 v82, 0x3fb8aa3b, v82
	s_delay_alu instid0(VALU_DEP_3) | instskip(NEXT) | instid1(VALU_DEP_2)
	v_exp_f32_e32 v95, v95
	v_exp_f32_e32 v89, v89
	s_delay_alu instid0(VALU_DEP_1)
	v_exp_f32_e32 v82, v82
	v_fmac_f32_e32 v68, v97, v91
	s_delay_alu instid0(TRANS32_DEP_3) | instid1(VALU_DEP_1)
	v_fmac_f32_e32 v68, v95, v92
	s_waitcnt_depctr 0xfff
	v_fmac_f32_e32 v68, v82, v93
	s_delay_alu instid0(VALU_DEP_1) | instskip(NEXT) | instid1(VALU_DEP_1)
	v_fmac_f32_e32 v68, v89, v94
	v_add_f32_e32 v90, 0x358637bd, v68
	s_delay_alu instid0(VALU_DEP_1) | instskip(NEXT) | instid1(VALU_DEP_1)
	v_div_scale_f32 v91, null, v90, v90, 1.0
	v_rcp_f32_e32 v92, v91
	s_waitcnt_depctr 0xfff
	v_fma_f32 v93, -v91, v92, 1.0
	s_delay_alu instid0(VALU_DEP_1) | instskip(SKIP_1) | instid1(VALU_DEP_2)
	v_dual_fmac_f32 v92, v93, v92 :: v_dual_cndmask_b32 v93, v100, v99
	v_cmp_eq_u32_e32 vcc_lo, 3, v66
	v_cndmask_b32_e64 v93, v93, v101, s3
	v_cmp_eq_u32_e64 s3, 4, v66
	s_delay_alu instid0(VALU_DEP_2) | instskip(SKIP_1) | instid1(VALU_DEP_2)
	v_cndmask_b32_e32 v93, v93, v102, vcc_lo
	v_cmp_eq_u32_e32 vcc_lo, 5, v66
	v_cndmask_b32_e64 v93, v93, v97, s3
	v_cmp_eq_u32_e64 s3, 6, v66
	s_delay_alu instid0(VALU_DEP_2) | instskip(SKIP_1) | instid1(VALU_DEP_1)
	v_cndmask_b32_e32 v93, v93, v95, vcc_lo
	v_div_scale_f32 v94, s4, 1.0, v90, 1.0
	s_mov_b32 vcc_lo, s4
	s_delay_alu instid0(VALU_DEP_2) | instskip(NEXT) | instid1(VALU_DEP_2)
	v_cndmask_b32_e64 v82, v93, v82, s3
	v_mul_f32_e32 v96, v94, v92
	s_mov_b32 s3, exec_lo
	s_delay_alu instid0(VALU_DEP_2) | instskip(NEXT) | instid1(VALU_DEP_2)
	v_cndmask_b32_e64 v82, v82, v89, s5
	v_fma_f32 v98, -v91, v96, v94
	s_delay_alu instid0(VALU_DEP_1) | instskip(NEXT) | instid1(VALU_DEP_1)
	v_fmac_f32_e32 v96, v98, v92
	v_fma_f32 v91, -v91, v96, v94
	s_delay_alu instid0(VALU_DEP_1) | instskip(NEXT) | instid1(VALU_DEP_1)
	v_div_fmas_f32 v91, v91, v92, v96
	v_div_fixup_f32 v90, v91, v90, 1.0
	s_delay_alu instid0(VALU_DEP_1) | instskip(NEXT) | instid1(VALU_DEP_1)
	v_mul_f32_e32 v82, v82, v90
	v_mul_f32_e32 v87, v82, v87
	;; [unrolled: 1-line block ×7, first 2 shown]
	v_dual_mul_f32 v86, v82, v83 :: v_dual_and_b32 v91, 0x7f800000, v90
	v_mul_f32_e32 v85, v82, v76
                                        ; implicit-def: $vgpr76
	s_delay_alu instid0(VALU_DEP_2)
	v_cmpx_ne_u32_e32 0x7f800000, v91
	s_xor_b32 s3, exec_lo, s3
; %bb.13:
	v_bfe_u32 v76, v90, 16, 1
	s_delay_alu instid0(VALU_DEP_1)
	v_add3_u32 v76, v90, v76, 0x7fff
                                        ; implicit-def: $vgpr90
; %bb.14:
	s_and_not1_saveexec_b32 s3, s3
; %bb.15:
	v_and_b32_e32 v76, 0xffff, v90
	v_or_b32_e32 v83, 0x10000, v90
	s_delay_alu instid0(VALU_DEP_2) | instskip(NEXT) | instid1(VALU_DEP_2)
	v_cmp_eq_u32_e32 vcc_lo, 0, v76
	v_cndmask_b32_e32 v76, v83, v90, vcc_lo
; %bb.16:
	s_or_b32 exec_lo, exec_lo, s3
	v_and_b32_e32 v83, 0x7f800000, v85
	s_delay_alu instid0(VALU_DEP_1) | instskip(SKIP_1) | instid1(SALU_CYCLE_1)
	v_cmp_ne_u32_e32 vcc_lo, 0x7f800000, v83
                                        ; implicit-def: $vgpr83
	s_and_saveexec_b32 s3, vcc_lo
	s_xor_b32 s3, exec_lo, s3
; %bb.17:
	v_bfe_u32 v83, v85, 16, 1
	s_delay_alu instid0(VALU_DEP_1)
	v_add3_u32 v83, v85, v83, 0x7fff
                                        ; implicit-def: $vgpr85
; %bb.18:
	s_and_not1_saveexec_b32 s3, s3
; %bb.19:
	v_and_b32_e32 v83, 0xffff, v85
	v_or_b32_e32 v90, 0x10000, v85
	s_delay_alu instid0(VALU_DEP_2) | instskip(NEXT) | instid1(VALU_DEP_2)
	v_cmp_eq_u32_e32 vcc_lo, 0, v83
	v_cndmask_b32_e32 v83, v90, v85, vcc_lo
; %bb.20:
	s_or_b32 exec_lo, exec_lo, s3
	v_and_b32_e32 v85, 0x7f800000, v86
	s_delay_alu instid0(VALU_DEP_1) | instskip(SKIP_1) | instid1(SALU_CYCLE_1)
	v_cmp_ne_u32_e32 vcc_lo, 0x7f800000, v85
                                        ; implicit-def: $vgpr85
	s_and_saveexec_b32 s3, vcc_lo
	s_xor_b32 s3, exec_lo, s3
; %bb.21:
	v_bfe_u32 v85, v86, 16, 1
	s_delay_alu instid0(VALU_DEP_1)
	v_add3_u32 v85, v86, v85, 0x7fff
                                        ; implicit-def: $vgpr86
; %bb.22:
	s_and_not1_saveexec_b32 s3, s3
; %bb.23:
	v_and_b32_e32 v85, 0xffff, v86
	v_or_b32_e32 v90, 0x10000, v86
	s_delay_alu instid0(VALU_DEP_2) | instskip(NEXT) | instid1(VALU_DEP_2)
	v_cmp_eq_u32_e32 vcc_lo, 0, v85
	v_cndmask_b32_e32 v85, v90, v86, vcc_lo
; %bb.24:
	s_or_b32 exec_lo, exec_lo, s3
	v_and_b32_e32 v86, 0x7f800000, v89
	s_delay_alu instid0(VALU_DEP_1) | instskip(SKIP_1) | instid1(SALU_CYCLE_1)
	v_cmp_ne_u32_e32 vcc_lo, 0x7f800000, v86
                                        ; implicit-def: $vgpr86
	s_and_saveexec_b32 s3, vcc_lo
	s_xor_b32 s3, exec_lo, s3
; %bb.25:
	v_bfe_u32 v86, v89, 16, 1
	s_delay_alu instid0(VALU_DEP_1)
	v_add3_u32 v86, v89, v86, 0x7fff
                                        ; implicit-def: $vgpr89
; %bb.26:
	s_and_not1_saveexec_b32 s3, s3
; %bb.27:
	v_and_b32_e32 v86, 0xffff, v89
	v_or_b32_e32 v90, 0x10000, v89
	s_delay_alu instid0(VALU_DEP_2) | instskip(NEXT) | instid1(VALU_DEP_2)
	v_cmp_eq_u32_e32 vcc_lo, 0, v86
	v_cndmask_b32_e32 v86, v90, v89, vcc_lo
; %bb.28:
	s_or_b32 exec_lo, exec_lo, s3
	v_and_b32_e32 v89, 0x7f800000, v88
	s_delay_alu instid0(VALU_DEP_1) | instskip(SKIP_1) | instid1(SALU_CYCLE_1)
	v_cmp_ne_u32_e32 vcc_lo, 0x7f800000, v89
                                        ; implicit-def: $vgpr89
	s_and_saveexec_b32 s3, vcc_lo
	s_xor_b32 s3, exec_lo, s3
; %bb.29:
	v_bfe_u32 v89, v88, 16, 1
	s_delay_alu instid0(VALU_DEP_1)
	v_add3_u32 v89, v88, v89, 0x7fff
                                        ; implicit-def: $vgpr88
; %bb.30:
	s_and_not1_saveexec_b32 s3, s3
; %bb.31:
	v_and_b32_e32 v89, 0xffff, v88
	v_or_b32_e32 v90, 0x10000, v88
	s_delay_alu instid0(VALU_DEP_2) | instskip(NEXT) | instid1(VALU_DEP_2)
	v_cmp_eq_u32_e32 vcc_lo, 0, v89
	v_cndmask_b32_e32 v89, v90, v88, vcc_lo
; %bb.32:
	s_or_b32 exec_lo, exec_lo, s3
	v_and_b32_e32 v88, 0x7f800000, v87
	s_delay_alu instid0(VALU_DEP_1) | instskip(SKIP_1) | instid1(SALU_CYCLE_1)
	v_cmp_ne_u32_e32 vcc_lo, 0x7f800000, v88
                                        ; implicit-def: $vgpr88
	s_and_saveexec_b32 s3, vcc_lo
	s_xor_b32 s3, exec_lo, s3
; %bb.33:
	v_bfe_u32 v88, v87, 16, 1
	s_delay_alu instid0(VALU_DEP_1)
	v_add3_u32 v88, v87, v88, 0x7fff
                                        ; implicit-def: $vgpr87
; %bb.34:
	s_and_not1_saveexec_b32 s3, s3
; %bb.35:
	v_and_b32_e32 v88, 0xffff, v87
	v_or_b32_e32 v90, 0x10000, v87
	s_delay_alu instid0(VALU_DEP_2) | instskip(NEXT) | instid1(VALU_DEP_2)
	v_cmp_eq_u32_e32 vcc_lo, 0, v88
	v_cndmask_b32_e32 v88, v90, v87, vcc_lo
; %bb.36:
	s_or_b32 exec_lo, exec_lo, s3
	v_and_b32_e32 v87, 0x7f800000, v84
	s_delay_alu instid0(VALU_DEP_1) | instskip(SKIP_1) | instid1(SALU_CYCLE_1)
	v_cmp_ne_u32_e32 vcc_lo, 0x7f800000, v87
                                        ; implicit-def: $vgpr87
	s_and_saveexec_b32 s3, vcc_lo
	s_xor_b32 s3, exec_lo, s3
; %bb.37:
	v_bfe_u32 v87, v84, 16, 1
	s_delay_alu instid0(VALU_DEP_1)
	v_add3_u32 v87, v84, v87, 0x7fff
                                        ; implicit-def: $vgpr84
; %bb.38:
	s_and_not1_saveexec_b32 s3, s3
; %bb.39:
	v_and_b32_e32 v87, 0xffff, v84
	v_or_b32_e32 v90, 0x10000, v84
	s_delay_alu instid0(VALU_DEP_2) | instskip(NEXT) | instid1(VALU_DEP_2)
	v_cmp_eq_u32_e32 vcc_lo, 0, v87
	v_cndmask_b32_e32 v87, v90, v84, vcc_lo
; %bb.40:
	s_or_b32 exec_lo, exec_lo, s3
	v_and_b32_e32 v84, 0x7f800000, v80
	s_delay_alu instid0(VALU_DEP_1) | instskip(SKIP_1) | instid1(SALU_CYCLE_1)
	v_cmp_ne_u32_e32 vcc_lo, 0x7f800000, v84
                                        ; implicit-def: $vgpr84
	s_and_saveexec_b32 s3, vcc_lo
	s_xor_b32 s3, exec_lo, s3
; %bb.41:
	v_bfe_u32 v84, v80, 16, 1
	s_delay_alu instid0(VALU_DEP_1)
	v_add3_u32 v84, v80, v84, 0x7fff
                                        ; implicit-def: $vgpr80
; %bb.42:
	s_and_not1_saveexec_b32 s3, s3
; %bb.43:
	v_and_b32_e32 v84, 0xffff, v80
	v_or_b32_e32 v90, 0x10000, v80
	s_delay_alu instid0(VALU_DEP_2) | instskip(NEXT) | instid1(VALU_DEP_2)
	v_cmp_eq_u32_e32 vcc_lo, 0, v84
	v_cndmask_b32_e32 v84, v90, v80, vcc_lo
; %bb.44:
	s_or_b32 exec_lo, exec_lo, s3
	s_load_b64 s[34:35], s[0:1], 0x94
	v_lshlrev_b32_e32 v91, 4, v74
	s_delay_alu instid0(VALU_DEP_2)
	v_perm_b32 v90, v84, v87, 0x7060302
	v_dual_mul_f32 v79, v82, v79 :: v_dual_lshlrev_b32 v80, 6, v65
	v_dual_mul_f32 v77, v82, v77 :: v_dual_lshlrev_b32 v92, 11, v66
	v_mul_f32_e32 v84, v82, v70
	v_perm_b32 v89, v88, v89, 0x7060302
	v_perm_b32 v88, v86, v85, 0x7060302
	;; [unrolled: 1-line block ×3, first 2 shown]
	v_mul_f32_e32 v70, v82, v81
	v_or3_b32 v76, v91, v92, v80
	v_dual_mul_f32 v78, v82, v78 :: v_dual_and_b32 v85, 0x7f800000, v84
	v_mul_f32_e32 v83, v82, v72
	v_mul_f32_e32 v81, v82, v71
	v_mul_f32_e32 v72, v82, v69
	s_mov_b32 s3, exec_lo
	ds_store_b128 v76, v[87:90]
                                        ; implicit-def: $vgpr69
	v_cmpx_ne_u32_e32 0x7f800000, v85
	s_xor_b32 s3, exec_lo, s3
; %bb.45:
	v_bfe_u32 v69, v84, 16, 1
	s_delay_alu instid0(VALU_DEP_1)
	v_add3_u32 v69, v84, v69, 0x7fff
                                        ; implicit-def: $vgpr84
; %bb.46:
	s_and_not1_saveexec_b32 s3, s3
; %bb.47:
	v_and_b32_e32 v69, 0xffff, v84
	v_or_b32_e32 v71, 0x10000, v84
	s_delay_alu instid0(VALU_DEP_2) | instskip(NEXT) | instid1(VALU_DEP_2)
	v_cmp_eq_u32_e32 vcc_lo, 0, v69
	v_cndmask_b32_e32 v69, v71, v84, vcc_lo
; %bb.48:
	s_or_b32 exec_lo, exec_lo, s3
	v_and_b32_e32 v71, 0x7f800000, v72
	s_delay_alu instid0(VALU_DEP_1) | instskip(SKIP_1) | instid1(SALU_CYCLE_1)
	v_cmp_ne_u32_e32 vcc_lo, 0x7f800000, v71
                                        ; implicit-def: $vgpr71
	s_and_saveexec_b32 s3, vcc_lo
	s_xor_b32 s3, exec_lo, s3
; %bb.49:
	v_bfe_u32 v71, v72, 16, 1
	s_delay_alu instid0(VALU_DEP_1)
	v_add3_u32 v71, v72, v71, 0x7fff
                                        ; implicit-def: $vgpr72
; %bb.50:
	s_and_not1_saveexec_b32 s3, s3
; %bb.51:
	v_and_b32_e32 v71, 0xffff, v72
	v_or_b32_e32 v82, 0x10000, v72
	s_delay_alu instid0(VALU_DEP_2) | instskip(NEXT) | instid1(VALU_DEP_2)
	v_cmp_eq_u32_e32 vcc_lo, 0, v71
	v_cndmask_b32_e32 v71, v82, v72, vcc_lo
; %bb.52:
	s_or_b32 exec_lo, exec_lo, s3
	v_and_b32_e32 v72, 0x7f800000, v81
	s_delay_alu instid0(VALU_DEP_1) | instskip(SKIP_1) | instid1(SALU_CYCLE_1)
	v_cmp_ne_u32_e32 vcc_lo, 0x7f800000, v72
                                        ; implicit-def: $vgpr72
	s_and_saveexec_b32 s3, vcc_lo
	s_xor_b32 s3, exec_lo, s3
; %bb.53:
	v_bfe_u32 v72, v81, 16, 1
	s_delay_alu instid0(VALU_DEP_1)
	v_add3_u32 v72, v81, v72, 0x7fff
                                        ; implicit-def: $vgpr81
; %bb.54:
	s_and_not1_saveexec_b32 s3, s3
; %bb.55:
	v_and_b32_e32 v72, 0xffff, v81
	v_or_b32_e32 v82, 0x10000, v81
	s_delay_alu instid0(VALU_DEP_2) | instskip(NEXT) | instid1(VALU_DEP_2)
	v_cmp_eq_u32_e32 vcc_lo, 0, v72
	v_cndmask_b32_e32 v72, v82, v81, vcc_lo
; %bb.56:
	s_or_b32 exec_lo, exec_lo, s3
	v_and_b32_e32 v81, 0x7f800000, v83
	s_delay_alu instid0(VALU_DEP_1) | instskip(SKIP_1) | instid1(SALU_CYCLE_1)
	v_cmp_ne_u32_e32 vcc_lo, 0x7f800000, v81
                                        ; implicit-def: $vgpr81
	s_and_saveexec_b32 s3, vcc_lo
	s_xor_b32 s3, exec_lo, s3
; %bb.57:
	v_bfe_u32 v81, v83, 16, 1
	s_delay_alu instid0(VALU_DEP_1)
	v_add3_u32 v81, v83, v81, 0x7fff
                                        ; implicit-def: $vgpr83
; %bb.58:
	s_and_not1_saveexec_b32 s3, s3
; %bb.59:
	v_and_b32_e32 v81, 0xffff, v83
	v_or_b32_e32 v82, 0x10000, v83
	s_delay_alu instid0(VALU_DEP_2) | instskip(NEXT) | instid1(VALU_DEP_2)
	v_cmp_eq_u32_e32 vcc_lo, 0, v81
	v_cndmask_b32_e32 v81, v82, v83, vcc_lo
; %bb.60:
	s_or_b32 exec_lo, exec_lo, s3
	v_and_b32_e32 v82, 0x7f800000, v77
	s_delay_alu instid0(VALU_DEP_1) | instskip(SKIP_1) | instid1(SALU_CYCLE_1)
	v_cmp_ne_u32_e32 vcc_lo, 0x7f800000, v82
                                        ; implicit-def: $vgpr82
	s_and_saveexec_b32 s3, vcc_lo
	s_xor_b32 s3, exec_lo, s3
; %bb.61:
	v_bfe_u32 v82, v77, 16, 1
	s_delay_alu instid0(VALU_DEP_1)
	v_add3_u32 v82, v77, v82, 0x7fff
                                        ; implicit-def: $vgpr77
; %bb.62:
	s_and_not1_saveexec_b32 s3, s3
; %bb.63:
	v_and_b32_e32 v82, 0xffff, v77
	v_or_b32_e32 v83, 0x10000, v77
	s_delay_alu instid0(VALU_DEP_2) | instskip(NEXT) | instid1(VALU_DEP_2)
	v_cmp_eq_u32_e32 vcc_lo, 0, v82
	v_cndmask_b32_e32 v82, v83, v77, vcc_lo
; %bb.64:
	s_or_b32 exec_lo, exec_lo, s3
	v_and_b32_e32 v77, 0x7f800000, v78
	s_delay_alu instid0(VALU_DEP_1) | instskip(SKIP_1) | instid1(SALU_CYCLE_1)
	v_cmp_ne_u32_e32 vcc_lo, 0x7f800000, v77
                                        ; implicit-def: $vgpr77
	s_and_saveexec_b32 s3, vcc_lo
	s_xor_b32 s3, exec_lo, s3
; %bb.65:
	v_bfe_u32 v77, v78, 16, 1
	s_delay_alu instid0(VALU_DEP_1)
	v_add3_u32 v77, v78, v77, 0x7fff
                                        ; implicit-def: $vgpr78
; %bb.66:
	s_and_not1_saveexec_b32 s3, s3
; %bb.67:
	v_and_b32_e32 v77, 0xffff, v78
	v_or_b32_e32 v83, 0x10000, v78
	s_delay_alu instid0(VALU_DEP_2) | instskip(NEXT) | instid1(VALU_DEP_2)
	v_cmp_eq_u32_e32 vcc_lo, 0, v77
	v_cndmask_b32_e32 v77, v83, v78, vcc_lo
; %bb.68:
	s_or_b32 exec_lo, exec_lo, s3
	v_and_b32_e32 v78, 0x7f800000, v79
	s_delay_alu instid0(VALU_DEP_1) | instskip(SKIP_1) | instid1(SALU_CYCLE_1)
	v_cmp_ne_u32_e32 vcc_lo, 0x7f800000, v78
                                        ; implicit-def: $vgpr78
	s_and_saveexec_b32 s3, vcc_lo
	s_xor_b32 s3, exec_lo, s3
; %bb.69:
	v_bfe_u32 v78, v79, 16, 1
	s_delay_alu instid0(VALU_DEP_1)
	v_add3_u32 v78, v79, v78, 0x7fff
                                        ; implicit-def: $vgpr79
; %bb.70:
	s_and_not1_saveexec_b32 s3, s3
; %bb.71:
	v_and_b32_e32 v78, 0xffff, v79
	v_or_b32_e32 v83, 0x10000, v79
	s_delay_alu instid0(VALU_DEP_2) | instskip(NEXT) | instid1(VALU_DEP_2)
	v_cmp_eq_u32_e32 vcc_lo, 0, v78
	v_cndmask_b32_e32 v78, v83, v79, vcc_lo
; %bb.72:
	s_or_b32 exec_lo, exec_lo, s3
	v_and_b32_e32 v79, 0x7f800000, v70
	s_delay_alu instid0(VALU_DEP_1) | instskip(SKIP_1) | instid1(SALU_CYCLE_1)
	v_cmp_ne_u32_e32 vcc_lo, 0x7f800000, v79
                                        ; implicit-def: $vgpr79
	s_and_saveexec_b32 s3, vcc_lo
	s_xor_b32 s3, exec_lo, s3
; %bb.73:
	v_bfe_u32 v79, v70, 16, 1
	s_delay_alu instid0(VALU_DEP_1)
	v_add3_u32 v79, v70, v79, 0x7fff
                                        ; implicit-def: $vgpr70
; %bb.74:
	s_and_not1_saveexec_b32 s3, s3
; %bb.75:
	v_and_b32_e32 v79, 0xffff, v70
	v_or_b32_e32 v83, 0x10000, v70
	s_delay_alu instid0(VALU_DEP_2) | instskip(NEXT) | instid1(VALU_DEP_2)
	v_cmp_eq_u32_e32 vcc_lo, 0, v79
	v_cndmask_b32_e32 v79, v83, v70, vcc_lo
; %bb.76:
	s_or_b32 exec_lo, exec_lo, s3
	s_delay_alu instid0(VALU_DEP_1)
	v_perm_b32 v86, v79, v78, 0x7060302
	v_perm_b32 v85, v77, v82, 0x7060302
	v_perm_b32 v84, v81, v72, 0x7060302
	v_perm_b32 v83, v71, v69, 0x7060302
	v_lshl_or_b32 v82, v66, 11, v80
	ds_store_b128 v76, v[83:86] offset:1024
	s_waitcnt lgkmcnt(0)
	s_barrier
	buffer_gl0_inv
	ds_load_b128 v[69:72], v82
	ds_load_b128 v[83:86], v82 offset:16
	s_waitcnt lgkmcnt(1)
	v_lshrrev_b32_e32 v66, 16, v69
	s_waitcnt lgkmcnt(0)
	v_lshrrev_b32_e32 v91, 16, v83
	v_lshlrev_b32_e32 v78, 2, v74
	v_lshrrev_b32_e32 v95, 16, v70
	v_lshrrev_b32_e32 v98, 16, v84
	;; [unrolled: 1-line block ×4, first 2 shown]
	v_cmp_eq_u32_e32 vcc_lo, 1, v78
	v_lshrrev_b32_e32 v97, 16, v72
	v_lshrrev_b32_e32 v100, 16, v86
	v_cndmask_b32_e32 v87, v83, v91, vcc_lo
	v_or_b32_e32 v79, 1, v78
	v_cndmask_b32_e32 v81, v69, v66, vcc_lo
	v_cmp_eq_u32_e64 s4, 2, v78
	v_cmp_eq_u32_e64 s7, 3, v78
	;; [unrolled: 1-line block ×5, first 2 shown]
	v_cndmask_b32_e64 v81, v81, v70, s4
	v_cndmask_b32_e64 v87, v87, v84, s4
	v_cmp_eq_u32_e64 s8, 3, v79
	v_cndmask_b32_e64 v88, v69, v66, s3
	v_or_b32_e32 v77, 2, v78
	v_cndmask_b32_e64 v81, v81, v95, s7
	v_cndmask_b32_e64 v87, v87, v98, s7
	;; [unrolled: 1-line block ×4, first 2 shown]
	v_cmp_eq_u32_e64 s10, 5, v78
	v_cndmask_b32_e64 v81, v81, v71, s9
	v_cndmask_b32_e64 v87, v87, v85, s9
	v_cmp_eq_u32_e64 s11, 4, v79
	v_cndmask_b32_e64 v88, v88, v95, s8
	v_cmp_eq_u32_e64 s5, 1, v77
	v_cndmask_b32_e64 v89, v89, v84, s6
	v_cndmask_b32_e64 v81, v81, v96, s10
	v_cmp_eq_u32_e64 s12, 6, v78
	v_cndmask_b32_e64 v88, v88, v71, s11
	;; [unrolled: 3-line block ×3, first 2 shown]
	v_cndmask_b32_e64 v89, v89, v98, s8
	v_cndmask_b32_e64 v81, v81, v72, s12
	v_cmp_eq_u32_e64 s15, 7, v78
	v_cndmask_b32_e64 v88, v88, v96, s13
	v_cndmask_b32_e64 v87, v87, v86, s12
	v_cmp_eq_u32_e64 s16, 6, v79
	v_cmp_eq_u32_e64 s17, 2, v77
	v_cndmask_b32_e64 v89, v89, v85, s11
	v_cndmask_b32_e64 v101, v81, v97, s15
	;; [unrolled: 1-line block ×6, first 2 shown]
	v_cmp_eq_u32_e64 s18, 7, v79
	v_cmp_eq_u32_e64 s19, 3, v77
	;; [unrolled: 1-line block ×4, first 2 shown]
	v_cndmask_b32_e64 v87, v87, v84, s17
	v_cndmask_b32_e64 v103, v88, v97, s18
	;; [unrolled: 1-line block ×4, first 2 shown]
	v_or_b32_e32 v81, 3, v78
	v_cndmask_b32_e64 v93, v87, v98, s19
	v_cmp_eq_u32_e64 s24, 6, v77
	v_cndmask_b32_e64 v104, v88, v86, s16
	v_cndmask_b32_e64 v92, v89, v71, s20
	v_cmp_eq_u32_e64 s21, 1, v81
	ds_load_b128 v[87:90], v82 offset:1024
	v_cmp_eq_u32_e64 s23, 2, v81
	v_cmp_eq_u32_e64 s25, 3, v81
	v_cndmask_b32_e64 v105, v92, v96, s22
	v_cndmask_b32_e64 v66, v69, v66, s21
	;; [unrolled: 1-line block ×4, first 2 shown]
	ds_load_b128 v[91:94], v82 offset:1040
	v_cmp_eq_u32_e64 s26, 4, v81
	v_cndmask_b32_e64 v66, v66, v70, s23
	v_cmp_eq_u32_e64 s27, 7, v77
	v_cndmask_b32_e64 v70, v83, v84, s23
	v_cndmask_b32_e64 v84, v105, v72, s24
	v_cmp_eq_u32_e64 s28, 5, v81
	v_cndmask_b32_e64 v66, v66, v95, s25
	v_cmp_eq_u32_e64 s29, 6, v81
	v_cndmask_b32_e64 v70, v70, v98, s25
	v_cndmask_b32_e64 v69, v69, v99, s22
	v_cndmask_b32_e64 v83, v104, v100, s18
	v_cndmask_b32_e64 v66, v66, v71, s26
	s_waitcnt lgkmcnt(1)
	v_lshrrev_b32_e32 v95, 16, v87
	v_cndmask_b32_e64 v70, v70, v85, s26
	v_cndmask_b32_e64 v71, v84, v97, s27
	;; [unrolled: 1-line block ×4, first 2 shown]
	v_cndmask_b32_e32 v84, v87, v95, vcc_lo
	v_cndmask_b32_e64 v70, v70, v99, s28
	s_waitcnt lgkmcnt(0)
	v_lshrrev_b32_e32 v85, 16, v91
	v_lshrrev_b32_e32 v96, 16, v88
	v_cndmask_b32_e64 v98, v87, v95, s3
	v_cndmask_b32_e64 v84, v84, v88, s4
	;; [unrolled: 1-line block ×3, first 2 shown]
	v_cndmask_b32_e32 v99, v91, v85, vcc_lo
	v_cmp_eq_u32_e32 vcc_lo, 7, v81
	v_cndmask_b32_e64 v66, v66, v72, s29
	v_cndmask_b32_e64 v72, v84, v96, s7
	v_cndmask_b32_e64 v84, v98, v88, s6
	v_lshrrev_b32_e32 v98, 16, v92
	v_cndmask_b32_e32 v70, v70, v100, vcc_lo
	v_cndmask_b32_e64 v86, v99, v92, s4
	v_cndmask_b32_e64 v69, v69, v100, s27
	v_lshrrev_b32_e32 v100, 16, v93
	v_cndmask_b32_e64 v72, v72, v89, s9
	v_lshrrev_b32_e32 v99, 16, v89
	v_cndmask_b32_e64 v86, v86, v98, s7
	v_perm_b32 v71, v69, v71, 0x5040100
	v_cndmask_b32_e64 v84, v84, v96, s8
	s_delay_alu instid0(VALU_DEP_3) | instskip(NEXT) | instid1(VALU_DEP_2)
	v_cndmask_b32_e64 v86, v86, v93, s9
	v_cndmask_b32_e64 v84, v84, v89, s11
	s_delay_alu instid0(VALU_DEP_2) | instskip(NEXT) | instid1(VALU_DEP_1)
	v_cndmask_b32_e64 v86, v86, v100, s10
	v_cndmask_b32_e64 v69, v86, v94, s12
	;; [unrolled: 1-line block ×5, first 2 shown]
	s_delay_alu instid0(VALU_DEP_3) | instskip(NEXT) | instid1(VALU_DEP_3)
	v_cndmask_b32_e64 v86, v86, v88, s17
	v_cndmask_b32_e64 v87, v87, v88, s23
	s_delay_alu instid0(VALU_DEP_3) | instskip(NEXT) | instid1(VALU_DEP_3)
	v_cndmask_b32_e64 v88, v95, v92, s23
	v_cndmask_b32_e64 v86, v86, v96, s19
	;; [unrolled: 3-line block ×7, first 2 shown]
	s_delay_alu instid0(VALU_DEP_3) | instskip(SKIP_2) | instid1(VALU_DEP_2)
	v_cndmask_b32_e64 v88, v88, v94, s29
	v_cndmask_b32_e32 v66, v66, v97, vcc_lo
	v_cndmask_b32_e64 v97, v72, v99, s10
	v_perm_b32 v72, v70, v66, 0x5040100
	v_perm_b32 v70, v83, v103, 0x5040100
	v_cndmask_b32_e64 v103, v91, v85, s5
	v_cndmask_b32_e64 v85, v91, v85, s3
	;; [unrolled: 1-line block ×4, first 2 shown]
	v_lshrrev_b32_e32 v97, 16, v90
	v_cndmask_b32_e64 v91, v103, v92, s17
	v_cndmask_b32_e64 v85, v85, v92, s6
	;; [unrolled: 1-line block ×3, first 2 shown]
	s_mov_b32 s3, exec_lo
	v_cndmask_b32_e64 v83, v84, v97, s15
	v_cndmask_b32_e64 v91, v91, v98, s19
	;; [unrolled: 1-line block ×3, first 2 shown]
	v_lshrrev_b32_e32 v84, 16, v94
	v_cndmask_b32_e64 v66, v66, v97, s18
	v_cndmask_b32_e64 v90, v86, v97, s27
	;; [unrolled: 1-line block ×4, first 2 shown]
	v_dual_cndmask_b32 v86, v87, v97 :: v_dual_cndmask_b32 v87, v88, v84
	v_cndmask_b32_e64 v91, v69, v84, s15
	s_delay_alu instid0(VALU_DEP_4) | instskip(NEXT) | instid1(VALU_DEP_4)
	v_cndmask_b32_e64 v89, v89, v100, s22
	v_cndmask_b32_e64 v85, v85, v100, s13
	v_perm_b32 v69, v102, v101, 0x5040100
	v_perm_b32 v86, v87, v86, 0x5040100
	;; [unrolled: 1-line block ×3, first 2 shown]
	v_cndmask_b32_e64 v89, v89, v94, s24
	v_cndmask_b32_e64 v85, v85, v94, s16
	s_mul_i32 s8, s35, 9
	s_delay_alu instid0(VALU_DEP_2) | instskip(NEXT) | instid1(VALU_DEP_2)
	v_cndmask_b32_e64 v88, v89, v84, s27
	v_cndmask_b32_e64 v89, v85, v84, s18
	s_delay_alu instid0(VALU_DEP_2) | instskip(NEXT) | instid1(VALU_DEP_2)
	v_perm_b32 v85, v88, v90, 0x5040100
	v_perm_b32 v84, v89, v66, 0x5040100
	ds_store_b128 v76, v[69:72]
	ds_store_b128 v76, v[83:86] offset:1024
	v_cmpx_gt_u32_e32 9, v0
	s_cbranch_execz .LBB1814_78
; %bb.77:
	s_mul_i32 s4, s8, s30
	s_delay_alu instid0(SALU_CYCLE_1) | instskip(SKIP_1) | instid1(VALU_DEP_1)
	v_add3_u32 v69, s4, s31, v65
	s_load_b128 s[4:7], s[0:1], 0x58
	v_mad_u64_u32 v[65:66], null, v69, s34, s[14:15]
	s_delay_alu instid0(VALU_DEP_1) | instskip(NEXT) | instid1(VALU_DEP_1)
	v_ashrrev_i32_e32 v66, 31, v65
	v_lshlrev_b64 v[65:66], 2, v[65:66]
	s_waitcnt lgkmcnt(0)
	s_delay_alu instid0(VALU_DEP_1) | instskip(NEXT) | instid1(VALU_DEP_2)
	v_add_co_u32 v69, vcc_lo, s6, v65
	v_add_co_ci_u32_e32 v70, vcc_lo, s7, v66, vcc_lo
	v_add_co_u32 v65, vcc_lo, s4, v65
	v_add_co_ci_u32_e32 v66, vcc_lo, s5, v66, vcc_lo
	global_store_b32 v[69:70], v67, off
	global_store_b32 v[65:66], v68, off
.LBB1814_78:
	s_or_b32 exec_lo, exec_lo, s3
	s_waitcnt lgkmcnt(0)
	s_waitcnt_vscnt null, 0x0
	s_barrier
	buffer_gl0_inv
	ds_load_b128 v[83:86], v80
	ds_load_b128 v[87:90], v80 offset:16
	ds_load_b128 v[95:98], v80 offset:2064
	;; [unrolled: 1-line block ×3, first 2 shown]
	v_mov_b32_e32 v65, 0
	ds_load_b128 v[103:106], v80 offset:4112
	ds_load_b128 v[99:102], v80 offset:4096
	;; [unrolled: 1-line block ×4, first 2 shown]
	v_mov_b32_e32 v66, v65
	v_mov_b32_e32 v67, v65
	;; [unrolled: 1-line block ×7, first 2 shown]
	s_waitcnt lgkmcnt(6)
	s_delay_alu instid0(VALU_DEP_1)
	v_wmma_f32_16x16x16_bf16 v[65:72], v[49:56], v[83:90], v[65:72]
	ds_load_b128 v[53:56], v80 offset:8208
	ds_load_b128 v[49:52], v80 offset:8192
	s_waitcnt lgkmcnt(6)
	v_wmma_f32_16x16x16_bf16 v[65:72], v[41:48], v[91:98], v[65:72]
	ds_load_b128 v[45:48], v80 offset:10256
	ds_load_b128 v[41:44], v80 offset:10240
	s_waitcnt lgkmcnt(6)
	;; [unrolled: 4-line block ×4, first 2 shown]
	v_wmma_f32_16x16x16_bf16 v[65:72], v[1:8], v[49:56], v[65:72]
	s_waitcnt lgkmcnt(4)
	s_delay_alu instid0(VALU_DEP_1) | instskip(SKIP_1) | instid1(VALU_DEP_1)
	v_wmma_f32_16x16x16_bf16 v[65:72], v[9:16], v[41:48], v[65:72]
	s_waitcnt lgkmcnt(2)
	v_wmma_f32_16x16x16_bf16 v[65:72], v[17:24], v[33:40], v[65:72]
	s_waitcnt lgkmcnt(0)
	s_delay_alu instid0(VALU_DEP_1) | instskip(NEXT) | instid1(VALU_DEP_1)
	v_wmma_f32_16x16x16_bf16 v[65:72], v[57:64], v[25:32], v[65:72]
	v_and_b32_e32 v1, 0x7f800000, v65
	s_delay_alu instid0(VALU_DEP_1) | instskip(SKIP_1) | instid1(SALU_CYCLE_1)
	v_cmp_ne_u32_e32 vcc_lo, 0x7f800000, v1
                                        ; implicit-def: $vgpr1
	s_and_saveexec_b32 s3, vcc_lo
	s_xor_b32 s3, exec_lo, s3
; %bb.79:
	v_bfe_u32 v1, v65, 16, 1
	s_delay_alu instid0(VALU_DEP_1)
	v_add3_u32 v1, v65, v1, 0x7fff
; %bb.80:
	s_and_not1_saveexec_b32 s3, s3
; %bb.81:
	v_and_b32_e32 v1, 0xffff, v65
	v_or_b32_e32 v2, 0x10000, v65
	s_delay_alu instid0(VALU_DEP_2) | instskip(NEXT) | instid1(VALU_DEP_2)
	v_cmp_eq_u32_e32 vcc_lo, 0, v1
	v_cndmask_b32_e32 v1, v2, v65, vcc_lo
; %bb.82:
	s_or_b32 exec_lo, exec_lo, s3
	v_and_b32_e32 v2, 0x7f800000, v66
	s_delay_alu instid0(VALU_DEP_1) | instskip(SKIP_1) | instid1(SALU_CYCLE_1)
	v_cmp_ne_u32_e32 vcc_lo, 0x7f800000, v2
                                        ; implicit-def: $vgpr2
	s_and_saveexec_b32 s3, vcc_lo
	s_xor_b32 s3, exec_lo, s3
; %bb.83:
	v_bfe_u32 v2, v66, 16, 1
	s_delay_alu instid0(VALU_DEP_1)
	v_add3_u32 v2, v66, v2, 0x7fff
; %bb.84:
	s_and_not1_saveexec_b32 s3, s3
; %bb.85:
	v_and_b32_e32 v2, 0xffff, v66
	v_or_b32_e32 v3, 0x10000, v66
	s_delay_alu instid0(VALU_DEP_2) | instskip(NEXT) | instid1(VALU_DEP_2)
	v_cmp_eq_u32_e32 vcc_lo, 0, v2
	v_cndmask_b32_e32 v2, v3, v66, vcc_lo
; %bb.86:
	s_or_b32 exec_lo, exec_lo, s3
	v_and_b32_e32 v3, 0x7f800000, v67
	s_delay_alu instid0(VALU_DEP_1) | instskip(SKIP_1) | instid1(SALU_CYCLE_1)
	v_cmp_ne_u32_e32 vcc_lo, 0x7f800000, v3
                                        ; implicit-def: $vgpr3
	s_and_saveexec_b32 s3, vcc_lo
	s_xor_b32 s3, exec_lo, s3
; %bb.87:
	v_bfe_u32 v3, v67, 16, 1
	s_delay_alu instid0(VALU_DEP_1)
	v_add3_u32 v3, v67, v3, 0x7fff
; %bb.88:
	s_and_not1_saveexec_b32 s3, s3
; %bb.89:
	v_and_b32_e32 v3, 0xffff, v67
	v_or_b32_e32 v4, 0x10000, v67
	s_delay_alu instid0(VALU_DEP_2) | instskip(NEXT) | instid1(VALU_DEP_2)
	v_cmp_eq_u32_e32 vcc_lo, 0, v3
	v_cndmask_b32_e32 v3, v4, v67, vcc_lo
; %bb.90:
	s_or_b32 exec_lo, exec_lo, s3
	v_and_b32_e32 v4, 0x7f800000, v68
	s_delay_alu instid0(VALU_DEP_1) | instskip(SKIP_1) | instid1(SALU_CYCLE_1)
	v_cmp_ne_u32_e32 vcc_lo, 0x7f800000, v4
                                        ; implicit-def: $vgpr4
	s_and_saveexec_b32 s3, vcc_lo
	s_xor_b32 s3, exec_lo, s3
; %bb.91:
	v_bfe_u32 v4, v68, 16, 1
	s_delay_alu instid0(VALU_DEP_1)
	v_add3_u32 v4, v68, v4, 0x7fff
; %bb.92:
	s_and_not1_saveexec_b32 s3, s3
; %bb.93:
	v_and_b32_e32 v4, 0xffff, v68
	v_or_b32_e32 v5, 0x10000, v68
	s_delay_alu instid0(VALU_DEP_2) | instskip(NEXT) | instid1(VALU_DEP_2)
	v_cmp_eq_u32_e32 vcc_lo, 0, v4
	v_cndmask_b32_e32 v4, v5, v68, vcc_lo
; %bb.94:
	s_or_b32 exec_lo, exec_lo, s3
	v_and_b32_e32 v5, 0x7f800000, v69
	s_delay_alu instid0(VALU_DEP_1) | instskip(SKIP_1) | instid1(SALU_CYCLE_1)
	v_cmp_ne_u32_e32 vcc_lo, 0x7f800000, v5
                                        ; implicit-def: $vgpr5
	s_and_saveexec_b32 s3, vcc_lo
	s_xor_b32 s3, exec_lo, s3
; %bb.95:
	v_bfe_u32 v5, v69, 16, 1
	s_delay_alu instid0(VALU_DEP_1)
	v_add3_u32 v5, v69, v5, 0x7fff
; %bb.96:
	s_and_not1_saveexec_b32 s3, s3
; %bb.97:
	v_and_b32_e32 v5, 0xffff, v69
	v_or_b32_e32 v6, 0x10000, v69
	s_delay_alu instid0(VALU_DEP_2) | instskip(NEXT) | instid1(VALU_DEP_2)
	v_cmp_eq_u32_e32 vcc_lo, 0, v5
	v_cndmask_b32_e32 v5, v6, v69, vcc_lo
; %bb.98:
	s_or_b32 exec_lo, exec_lo, s3
	v_and_b32_e32 v6, 0x7f800000, v70
	s_delay_alu instid0(VALU_DEP_1) | instskip(SKIP_1) | instid1(SALU_CYCLE_1)
	v_cmp_ne_u32_e32 vcc_lo, 0x7f800000, v6
                                        ; implicit-def: $vgpr6
	s_and_saveexec_b32 s3, vcc_lo
	s_xor_b32 s3, exec_lo, s3
; %bb.99:
	v_bfe_u32 v6, v70, 16, 1
	s_delay_alu instid0(VALU_DEP_1)
	v_add3_u32 v6, v70, v6, 0x7fff
; %bb.100:
	s_and_not1_saveexec_b32 s3, s3
; %bb.101:
	v_and_b32_e32 v6, 0xffff, v70
	v_or_b32_e32 v7, 0x10000, v70
	s_delay_alu instid0(VALU_DEP_2) | instskip(NEXT) | instid1(VALU_DEP_2)
	v_cmp_eq_u32_e32 vcc_lo, 0, v6
	v_cndmask_b32_e32 v6, v7, v70, vcc_lo
; %bb.102:
	s_or_b32 exec_lo, exec_lo, s3
	v_and_b32_e32 v7, 0x7f800000, v71
	s_delay_alu instid0(VALU_DEP_1) | instskip(SKIP_1) | instid1(SALU_CYCLE_1)
	v_cmp_ne_u32_e32 vcc_lo, 0x7f800000, v7
                                        ; implicit-def: $vgpr7
	s_and_saveexec_b32 s3, vcc_lo
	s_xor_b32 s3, exec_lo, s3
; %bb.103:
	v_bfe_u32 v7, v71, 16, 1
	s_delay_alu instid0(VALU_DEP_1)
	v_add3_u32 v7, v71, v7, 0x7fff
; %bb.104:
	s_and_not1_saveexec_b32 s3, s3
; %bb.105:
	v_and_b32_e32 v7, 0xffff, v71
	v_or_b32_e32 v8, 0x10000, v71
	s_delay_alu instid0(VALU_DEP_2) | instskip(NEXT) | instid1(VALU_DEP_2)
	v_cmp_eq_u32_e32 vcc_lo, 0, v7
	v_cndmask_b32_e32 v7, v8, v71, vcc_lo
; %bb.106:
	s_or_b32 exec_lo, exec_lo, s3
	v_and_b32_e32 v8, 0x7f800000, v72
	s_delay_alu instid0(VALU_DEP_1) | instskip(SKIP_1) | instid1(SALU_CYCLE_1)
	v_cmp_ne_u32_e32 vcc_lo, 0x7f800000, v8
                                        ; implicit-def: $vgpr8
	s_and_saveexec_b32 s3, vcc_lo
	s_xor_b32 s3, exec_lo, s3
; %bb.107:
	v_bfe_u32 v8, v72, 16, 1
	s_delay_alu instid0(VALU_DEP_1)
	v_add3_u32 v8, v72, v8, 0x7fff
                                        ; implicit-def: $vgpr65_vgpr66_vgpr67_vgpr68_vgpr69_vgpr70_vgpr71_vgpr72
; %bb.108:
	s_and_not1_saveexec_b32 s3, s3
; %bb.109:
	v_and_b32_e32 v8, 0xffff, v72
	v_or_b32_e32 v9, 0x10000, v72
	s_delay_alu instid0(VALU_DEP_2) | instskip(NEXT) | instid1(VALU_DEP_2)
	v_cmp_eq_u32_e32 vcc_lo, 0, v8
	v_cndmask_b32_e32 v8, v9, v72, vcc_lo
; %bb.110:
	s_or_b32 exec_lo, exec_lo, s3
	s_delay_alu instid0(VALU_DEP_1)
	v_perm_b32 v7, v8, v7, 0x7060302
	v_perm_b32 v6, v6, v5, 0x7060302
	;; [unrolled: 1-line block ×4, first 2 shown]
	s_barrier
	buffer_gl0_inv
	v_cmp_eq_u32_e32 vcc_lo, 1, v78
	ds_store_b128 v76, v[4:7]
	s_waitcnt lgkmcnt(0)
	s_barrier
	buffer_gl0_inv
	ds_load_b128 v[1:4], v82
	ds_load_b128 v[5:8], v82 offset:16
	v_cmp_eq_u32_e64 s3, 1, v79
	v_cmp_eq_u32_e64 s4, 2, v78
	;; [unrolled: 1-line block ×5, first 2 shown]
	s_waitcnt lgkmcnt(1)
	v_lshrrev_b32_e32 v9, 16, v1
	s_waitcnt lgkmcnt(0)
	v_lshrrev_b32_e32 v13, 16, v5
	v_lshrrev_b32_e32 v10, 16, v2
	;; [unrolled: 1-line block ×4, first 2 shown]
	v_cndmask_b32_e64 v19, v1, v9, s3
	v_cndmask_b32_e32 v18, v5, v13, vcc_lo
	v_cndmask_b32_e64 v20, v5, v13, s3
	v_cndmask_b32_e32 v17, v1, v9, vcc_lo
	v_cmp_eq_u32_e32 vcc_lo, 2, v79
	v_lshrrev_b32_e32 v15, 16, v7
	v_cmp_eq_u32_e64 s3, 1, v77
	v_lshrrev_b32_e32 v12, 16, v4
	v_lshrrev_b32_e32 v16, 16, v8
	v_cndmask_b32_e32 v20, v20, v6, vcc_lo
	v_cndmask_b32_e64 v17, v17, v2, s4
	v_cndmask_b32_e32 v19, v19, v2, vcc_lo
	v_cndmask_b32_e64 v18, v18, v6, s4
	v_cmp_eq_u32_e32 vcc_lo, 4, v78
	v_cmp_eq_u32_e64 s4, 3, v79
	v_cndmask_b32_e64 v17, v17, v10, s5
	v_cndmask_b32_e64 v21, v1, v9, s3
	;; [unrolled: 1-line block ×5, first 2 shown]
	v_cndmask_b32_e32 v17, v17, v3, vcc_lo
	v_cndmask_b32_e64 v20, v20, v14, s4
	v_cndmask_b32_e32 v18, v18, v7, vcc_lo
	v_cmp_eq_u32_e32 vcc_lo, 4, v79
	v_cmp_eq_u32_e64 s4, 5, v79
	v_cmp_eq_u32_e64 s3, 2, v81
	v_cndmask_b32_e64 v21, v21, v2, s7
	v_cmp_eq_u32_e64 s5, 5, v78
	v_cndmask_b32_e32 v19, v19, v3, vcc_lo
	v_cndmask_b32_e32 v20, v20, v7, vcc_lo
	v_cmp_eq_u32_e32 vcc_lo, 6, v79
	s_delay_alu instid0(VALU_DEP_4) | instskip(NEXT) | instid1(VALU_DEP_4)
	v_cndmask_b32_e64 v17, v17, v11, s5
	v_cndmask_b32_e64 v19, v19, v11, s4
	s_delay_alu instid0(VALU_DEP_4) | instskip(SKIP_1) | instid1(VALU_DEP_3)
	v_cndmask_b32_e64 v20, v20, v15, s4
	v_cmp_eq_u32_e64 s4, 1, v81
	v_cndmask_b32_e32 v19, v19, v4, vcc_lo
	v_cndmask_b32_e64 v18, v18, v15, s5
	s_delay_alu instid0(VALU_DEP_3)
	v_cndmask_b32_e64 v1, v1, v9, s4
	v_cndmask_b32_e64 v5, v5, v13, s4
	v_cmp_eq_u32_e64 s4, 3, v77
	v_cndmask_b32_e64 v13, v22, v6, s7
	v_cmp_eq_u32_e64 s7, 3, v81
	v_cndmask_b32_e64 v1, v1, v2, s3
	v_cndmask_b32_e64 v2, v5, v6, s3
	;; [unrolled: 1-line block ×3, first 2 shown]
	v_cmp_eq_u32_e64 s3, 4, v77
	v_cndmask_b32_e64 v6, v13, v14, s4
	v_cndmask_b32_e64 v1, v1, v10, s7
	v_cmp_eq_u32_e64 s4, 4, v81
	v_cndmask_b32_e64 v2, v2, v14, s7
	v_cndmask_b32_e64 v5, v9, v3, s3
	;; [unrolled: 3-line block ×3, first 2 shown]
	v_cndmask_b32_e64 v2, v2, v7, s4
	v_cmp_eq_u32_e64 s3, 5, v81
	v_cmp_eq_u32_e64 s5, 6, v78
	v_cndmask_b32_e64 v5, v5, v11, s7
	v_cmp_eq_u32_e64 s4, 6, v77
	v_cndmask_b32_e64 v3, v6, v15, s7
	v_cndmask_b32_e64 v1, v1, v11, s3
	v_cmp_eq_u32_e64 s7, 6, v81
	v_cndmask_b32_e64 v2, v2, v15, s3
	v_cndmask_b32_e64 v17, v17, v4, s5
	v_cndmask_b32_e64 v18, v18, v8, s5
	v_cmp_eq_u32_e64 s5, 7, v78
	v_cndmask_b32_e64 v5, v5, v4, s4
	;; [unrolled: 4-line block ×3, first 2 shown]
	v_cmp_eq_u32_e64 s4, 7, v77
	v_cndmask_b32_e32 v4, v20, v8, vcc_lo
	v_cndmask_b32_e64 v17, v17, v12, s5
	v_cndmask_b32_e64 v19, v19, v12, s6
	;; [unrolled: 1-line block ×8, first 2 shown]
	s_mov_b32 s3, exec_lo
	v_perm_b32 v4, v2, v1, 0x5040100
	v_perm_b32 v3, v3, v5, 0x5040100
	;; [unrolled: 1-line block ×4, first 2 shown]
	ds_store_b128 v76, v[1:4]
	s_waitcnt lgkmcnt(0)
	s_barrier
	buffer_gl0_inv
	v_cmpx_gt_u32_e32 32, v0
	s_cbranch_execz .LBB1814_2
; %bb.111:
	s_load_b64 s[4:5], s[0:1], 0x68
	v_lshlrev_b32_e32 v0, 10, v0
	v_lshlrev_b32_e32 v1, 4, v75
	s_lshl_b32 s0, s34, 7
	v_add_nc_u32_e32 v2, s31, v74
	s_mul_i32 s1, s0, s30
	s_delay_alu instid0(SALU_CYCLE_1) | instskip(SKIP_1) | instid1(VALU_DEP_2)
	s_mul_i32 s6, s1, s8
	v_and_or_b32 v0, 0x3800, v0, v1
	v_mul_lo_u32 v1, v2, s0
	s_ashr_i32 s7, s6, 31
	v_add_nc_u32_e32 v3, 2, v2
	s_lshl_b64 s[6:7], s[6:7], 1
	v_add_nc_u32_e32 v4, 4, v2
	v_add_nc_u32_e32 v5, 6, v2
	v_lshl_or_b32 v15, v74, 6, v0
	v_mul_lo_u32 v3, v3, s0
	v_ashrrev_i32_e32 v2, 31, v1
	v_mul_lo_u32 v19, v4, s0
	v_mul_lo_u32 v21, v5, s0
	s_waitcnt lgkmcnt(0)
	s_add_u32 s1, s4, s6
	s_addc_u32 s3, s5, s7
	s_lshl_b32 s4, s14, 7
	v_lshlrev_b64 v[5:6], 1, v[1:2]
	s_ashr_i32 s5, s4, 31
	v_ashrrev_i32_e32 v4, 31, v3
	s_lshl_b64 s[4:5], s[4:5], 1
	v_ashrrev_i32_e32 v20, 31, v19
	s_add_u32 s1, s1, s4
	s_addc_u32 s3, s3, s5
	v_add_co_u32 v1, s1, s1, v73
	s_delay_alu instid0(VALU_DEP_1) | instskip(SKIP_1) | instid1(VALU_DEP_3)
	v_add_co_ci_u32_e64 v2, null, s3, 0, s1
	v_lshlrev_b64 v[25:26], 1, v[3:4]
	v_add_co_u32 v23, vcc_lo, v1, v5
	s_delay_alu instid0(VALU_DEP_3)
	v_add_co_ci_u32_e32 v24, vcc_lo, v2, v6, vcc_lo
	ds_load_b128 v[3:6], v15
	ds_load_b128 v[7:10], v15 offset:128
	ds_load_b128 v[11:14], v15 offset:256
	;; [unrolled: 1-line block ×3, first 2 shown]
	v_ashrrev_i32_e32 v22, 31, v21
	v_lshlrev_b64 v[19:20], 1, v[19:20]
	v_add_co_u32 v25, vcc_lo, v1, v25
	v_add_co_ci_u32_e32 v26, vcc_lo, v2, v26, vcc_lo
	s_delay_alu instid0(VALU_DEP_4) | instskip(NEXT) | instid1(VALU_DEP_4)
	v_lshlrev_b64 v[21:22], 1, v[21:22]
	v_add_co_u32 v19, vcc_lo, v1, v19
	v_add_co_ci_u32_e32 v20, vcc_lo, v2, v20, vcc_lo
	s_delay_alu instid0(VALU_DEP_3) | instskip(NEXT) | instid1(VALU_DEP_4)
	v_add_co_u32 v21, vcc_lo, v1, v21
	v_add_co_ci_u32_e32 v22, vcc_lo, v2, v22, vcc_lo
	s_waitcnt lgkmcnt(3)
	global_store_b128 v[23:24], v[3:6], off
	s_waitcnt lgkmcnt(2)
	global_store_b128 v[25:26], v[7:10], off
	;; [unrolled: 2-line block ×4, first 2 shown]
	s_and_b32 exec_lo, exec_lo, s2
	s_cbranch_execz .LBB1814_2
; %bb.112:
	ds_load_b128 v[3:6], v0 offset:512
	s_add_i32 s1, s31, 8
	s_delay_alu instid0(SALU_CYCLE_1) | instskip(NEXT) | instid1(SALU_CYCLE_1)
	s_mul_i32 s0, s1, s0
	s_ashr_i32 s1, s0, 31
	s_delay_alu instid0(SALU_CYCLE_1) | instskip(NEXT) | instid1(SALU_CYCLE_1)
	s_lshl_b64 s[0:1], s[0:1], 1
	v_add_co_u32 v0, vcc_lo, v1, s0
	v_add_co_ci_u32_e32 v1, vcc_lo, s1, v2, vcc_lo
	s_waitcnt lgkmcnt(0)
	global_store_b128 v[0:1], v[3:6], off
	s_nop 0
	s_sendmsg sendmsg(MSG_DEALLOC_VGPRS)
	s_endpgm
	.section	.rodata,"a",@progbits
	.p2align	6, 0x0
	.amdhsa_kernel _Z39paged_attention_ll4mi_QKV_mfma16_kernelI14__hip_bfloat16hLN4vllm18Fp8KVCacheDataTypeE1EhLi16ELi128ELi256ELb0ELi9EL8MFMAType0EEvPKT_PKT0_S9_ifPKiSB_SB_iPKfiiiPfSE_PS4_PT2_iSD_SD_
		.amdhsa_group_segment_fixed_size 17472
		.amdhsa_private_segment_fixed_size 0
		.amdhsa_kernarg_size 400
		.amdhsa_user_sgpr_count 13
		.amdhsa_user_sgpr_dispatch_ptr 0
		.amdhsa_user_sgpr_queue_ptr 0
		.amdhsa_user_sgpr_kernarg_segment_ptr 1
		.amdhsa_user_sgpr_dispatch_id 0
		.amdhsa_user_sgpr_private_segment_size 0
		.amdhsa_wavefront_size32 1
		.amdhsa_uses_dynamic_stack 0
		.amdhsa_enable_private_segment 0
		.amdhsa_system_sgpr_workgroup_id_x 1
		.amdhsa_system_sgpr_workgroup_id_y 1
		.amdhsa_system_sgpr_workgroup_id_z 1
		.amdhsa_system_sgpr_workgroup_info 0
		.amdhsa_system_vgpr_workitem_id 0
		.amdhsa_next_free_vgpr 140
		.amdhsa_next_free_sgpr 36
		.amdhsa_reserve_vcc 1
		.amdhsa_float_round_mode_32 0
		.amdhsa_float_round_mode_16_64 0
		.amdhsa_float_denorm_mode_32 3
		.amdhsa_float_denorm_mode_16_64 3
		.amdhsa_dx10_clamp 1
		.amdhsa_ieee_mode 1
		.amdhsa_fp16_overflow 0
		.amdhsa_workgroup_processor_mode 1
		.amdhsa_memory_ordered 1
		.amdhsa_forward_progress 0
		.amdhsa_shared_vgpr_count 0
		.amdhsa_exception_fp_ieee_invalid_op 0
		.amdhsa_exception_fp_denorm_src 0
		.amdhsa_exception_fp_ieee_div_zero 0
		.amdhsa_exception_fp_ieee_overflow 0
		.amdhsa_exception_fp_ieee_underflow 0
		.amdhsa_exception_fp_ieee_inexact 0
		.amdhsa_exception_int_div_zero 0
	.end_amdhsa_kernel
	.section	.text._Z39paged_attention_ll4mi_QKV_mfma16_kernelI14__hip_bfloat16hLN4vllm18Fp8KVCacheDataTypeE1EhLi16ELi128ELi256ELb0ELi9EL8MFMAType0EEvPKT_PKT0_S9_ifPKiSB_SB_iPKfiiiPfSE_PS4_PT2_iSD_SD_,"axG",@progbits,_Z39paged_attention_ll4mi_QKV_mfma16_kernelI14__hip_bfloat16hLN4vllm18Fp8KVCacheDataTypeE1EhLi16ELi128ELi256ELb0ELi9EL8MFMAType0EEvPKT_PKT0_S9_ifPKiSB_SB_iPKfiiiPfSE_PS4_PT2_iSD_SD_,comdat
.Lfunc_end1814:
	.size	_Z39paged_attention_ll4mi_QKV_mfma16_kernelI14__hip_bfloat16hLN4vllm18Fp8KVCacheDataTypeE1EhLi16ELi128ELi256ELb0ELi9EL8MFMAType0EEvPKT_PKT0_S9_ifPKiSB_SB_iPKfiiiPfSE_PS4_PT2_iSD_SD_, .Lfunc_end1814-_Z39paged_attention_ll4mi_QKV_mfma16_kernelI14__hip_bfloat16hLN4vllm18Fp8KVCacheDataTypeE1EhLi16ELi128ELi256ELb0ELi9EL8MFMAType0EEvPKT_PKT0_S9_ifPKiSB_SB_iPKfiiiPfSE_PS4_PT2_iSD_SD_
                                        ; -- End function
	.section	.AMDGPU.csdata,"",@progbits
; Kernel info:
; codeLenInByte = 8940
; NumSgprs: 38
; NumVgprs: 140
; ScratchSize: 0
; MemoryBound: 0
; FloatMode: 240
; IeeeMode: 1
; LDSByteSize: 17472 bytes/workgroup (compile time only)
; SGPRBlocks: 4
; VGPRBlocks: 17
; NumSGPRsForWavesPerEU: 38
; NumVGPRsForWavesPerEU: 140
; Occupancy: 10
; WaveLimiterHint : 1
; COMPUTE_PGM_RSRC2:SCRATCH_EN: 0
; COMPUTE_PGM_RSRC2:USER_SGPR: 13
; COMPUTE_PGM_RSRC2:TRAP_HANDLER: 0
; COMPUTE_PGM_RSRC2:TGID_X_EN: 1
; COMPUTE_PGM_RSRC2:TGID_Y_EN: 1
; COMPUTE_PGM_RSRC2:TGID_Z_EN: 1
; COMPUTE_PGM_RSRC2:TIDIG_COMP_CNT: 0
	.section	.text._Z39paged_attention_ll4mi_QKV_mfma16_kernelI14__hip_bfloat16hLN4vllm18Fp8KVCacheDataTypeE1EhLi16ELi128ELi256ELb0ELi10EL8MFMAType0EEvPKT_PKT0_S9_ifPKiSB_SB_iPKfiiiPfSE_PS4_PT2_iSD_SD_,"axG",@progbits,_Z39paged_attention_ll4mi_QKV_mfma16_kernelI14__hip_bfloat16hLN4vllm18Fp8KVCacheDataTypeE1EhLi16ELi128ELi256ELb0ELi10EL8MFMAType0EEvPKT_PKT0_S9_ifPKiSB_SB_iPKfiiiPfSE_PS4_PT2_iSD_SD_,comdat
	.protected	_Z39paged_attention_ll4mi_QKV_mfma16_kernelI14__hip_bfloat16hLN4vllm18Fp8KVCacheDataTypeE1EhLi16ELi128ELi256ELb0ELi10EL8MFMAType0EEvPKT_PKT0_S9_ifPKiSB_SB_iPKfiiiPfSE_PS4_PT2_iSD_SD_ ; -- Begin function _Z39paged_attention_ll4mi_QKV_mfma16_kernelI14__hip_bfloat16hLN4vllm18Fp8KVCacheDataTypeE1EhLi16ELi128ELi256ELb0ELi10EL8MFMAType0EEvPKT_PKT0_S9_ifPKiSB_SB_iPKfiiiPfSE_PS4_PT2_iSD_SD_
	.globl	_Z39paged_attention_ll4mi_QKV_mfma16_kernelI14__hip_bfloat16hLN4vllm18Fp8KVCacheDataTypeE1EhLi16ELi128ELi256ELb0ELi10EL8MFMAType0EEvPKT_PKT0_S9_ifPKiSB_SB_iPKfiiiPfSE_PS4_PT2_iSD_SD_
	.p2align	8
	.type	_Z39paged_attention_ll4mi_QKV_mfma16_kernelI14__hip_bfloat16hLN4vllm18Fp8KVCacheDataTypeE1EhLi16ELi128ELi256ELb0ELi10EL8MFMAType0EEvPKT_PKT0_S9_ifPKiSB_SB_iPKfiiiPfSE_PS4_PT2_iSD_SD_,@function
_Z39paged_attention_ll4mi_QKV_mfma16_kernelI14__hip_bfloat16hLN4vllm18Fp8KVCacheDataTypeE1EhLi16ELi128ELi256ELb0ELi10EL8MFMAType0EEvPKT_PKT0_S9_ifPKiSB_SB_iPKfiiiPfSE_PS4_PT2_iSD_SD_: ; @_Z39paged_attention_ll4mi_QKV_mfma16_kernelI14__hip_bfloat16hLN4vllm18Fp8KVCacheDataTypeE1EhLi16ELi128ELi256ELb0ELi10EL8MFMAType0EEvPKT_PKT0_S9_ifPKiSB_SB_iPKfiiiPfSE_PS4_PT2_iSD_SD_
; %bb.0:
	s_load_b64 s[4:5], s[0:1], 0x30
	s_mov_b32 s30, s13
	s_waitcnt lgkmcnt(0)
	s_cmp_lg_u64 s[4:5], 0
	s_cselect_b32 s13, -1, 0
	s_ashr_i32 s31, s30, 31
	s_cmp_eq_u64 s[4:5], 0
	s_cbranch_scc1 .LBB1815_3
; %bb.1:
	s_lshl_b64 s[2:3], s[30:31], 2
	s_delay_alu instid0(SALU_CYCLE_1) | instskip(SKIP_4) | instid1(SALU_CYCLE_1)
	s_add_u32 s2, s4, s2
	s_addc_u32 s3, s5, s3
	s_load_b64 s[2:3], s[2:3], 0x0
	s_waitcnt lgkmcnt(0)
	s_sub_i32 s2, s3, s2
	s_cmp_eq_u32 s2, 1
	s_cselect_b32 s2, -1, 0
	s_delay_alu instid0(SALU_CYCLE_1)
	s_and_not1_b32 vcc_lo, exec_lo, s2
	s_cbranch_vccz .LBB1815_4
.LBB1815_2:
	s_endpgm
.LBB1815_3:
.LBB1815_4:
	s_load_b64 s[2:3], s[0:1], 0x28
	s_lshl_b64 s[6:7], s[30:31], 2
	s_waitcnt lgkmcnt(0)
	s_add_u32 s2, s2, s6
	s_addc_u32 s3, s3, s7
	s_lshl_b32 s12, s14, 8
	s_load_b32 s17, s[2:3], 0x0
	s_waitcnt lgkmcnt(0)
	s_cmp_ge_i32 s12, s17
	s_cbranch_scc1 .LBB1815_2
; %bb.5:
	s_clause 0x1
	s_load_b128 s[8:11], s[0:1], 0x8
	s_load_b64 s[2:3], s[0:1], 0x20
	s_and_not1_b32 vcc_lo, exec_lo, s13
	s_cbranch_vccnz .LBB1815_7
; %bb.6:
	s_add_u32 s4, s4, s6
	s_addc_u32 s5, s5, s7
	s_load_b32 s13, s[4:5], 0x0
	s_branch .LBB1815_8
.LBB1815_7:
	s_mov_b32 s13, s30
.LBB1815_8:
	s_load_b128 s[4:7], s[0:1], 0x48
	v_and_b32_e32 v65, 15, v0
	v_lshrrev_b32_e32 v66, 5, v0
	v_and_b32_e32 v67, 31, v0
	v_and_b32_e32 v75, 1, v0
	v_bfe_u32 v74, v0, 4, 1
	v_lshlrev_b32_e32 v1, 3, v65
	s_mul_i32 s29, s15, 10
	s_waitcnt lgkmcnt(0)
	s_mov_b32 s7, exec_lo
	s_delay_alu instid0(VALU_DEP_1)
	v_lshlrev_b32_e32 v73, 1, v1
	v_cmpx_gt_u32_e32 0xa0, v0
	s_cbranch_execz .LBB1815_10
; %bb.9:
	s_load_b64 s[18:19], s[0:1], 0x0
	v_lshl_or_b32 v5, v66, 1, v74
	s_mul_hi_i32 s21, s13, s4
	s_mul_i32 s20, s13, s4
	v_lshlrev_b32_e32 v6, 10, v65
	s_lshl_b64 s[20:21], s[20:21], 1
	v_add_lshl_u32 v1, v5, s29, 7
	v_lshlrev_b32_e32 v5, 6, v5
	v_lshlrev_b32_e32 v7, 10, v75
	v_and_b32_e32 v6, 0x3800, v6
	s_delay_alu instid0(VALU_DEP_4) | instskip(NEXT) | instid1(VALU_DEP_2)
	v_ashrrev_i32_e32 v2, 31, v1
	v_or3_b32 v5, v6, v7, v5
	s_delay_alu instid0(VALU_DEP_2) | instskip(SKIP_3) | instid1(VALU_DEP_1)
	v_lshlrev_b64 v[1:2], 1, v[1:2]
	s_waitcnt lgkmcnt(0)
	s_add_u32 s4, s18, s20
	s_addc_u32 s13, s19, s21
	v_add_co_u32 v1, vcc_lo, s4, v1
	s_delay_alu instid0(VALU_DEP_2) | instskip(NEXT) | instid1(VALU_DEP_2)
	v_add_co_ci_u32_e32 v2, vcc_lo, s13, v2, vcc_lo
	v_add_co_u32 v1, vcc_lo, v1, v73
	s_delay_alu instid0(VALU_DEP_2)
	v_add_co_ci_u32_e32 v2, vcc_lo, 0, v2, vcc_lo
	global_load_b128 v[1:4], v[1:2], off
	s_waitcnt vmcnt(0)
	ds_store_b128 v5, v[1:4]
.LBB1815_10:
	s_or_b32 exec_lo, exec_lo, s7
	v_and_b32_e32 v1, 0xef, v0
	s_add_i32 s4, s17, 15
	s_clause 0x1
	s_load_b32 s7, s[0:1], 0x38
	s_load_b32 s18, s[0:1], 0x1c
	s_ashr_i32 s13, s4, 31
	v_add_nc_u32_e32 v1, s12, v1
	s_lshr_b32 s13, s13, 28
	s_waitcnt lgkmcnt(0)
	s_add_i32 s4, s4, s13
	s_barrier
	v_ashrrev_i32_e32 v2, 31, v1
	v_or_b32_e32 v3, 16, v1
	s_ashr_i32 s4, s4, 4
	v_cmp_gt_i32_e32 vcc_lo, s17, v1
	s_add_i32 s4, s4, -1
	v_lshrrev_b32_e32 v2, 28, v2
	buffer_gl0_inv
	s_mul_i32 s15, s15, s6
	v_add_nc_u32_e32 v4, v1, v2
	s_mul_i32 s20, s30, s7
	s_delay_alu instid0(SALU_CYCLE_1) | instskip(NEXT) | instid1(VALU_DEP_1)
	s_ashr_i32 s21, s20, 31
	v_ashrrev_i32_e32 v4, 4, v4
	v_add_nc_u32_e32 v2, v3, v2
	s_lshl_b64 s[20:21], s[20:21], 2
	s_delay_alu instid0(SALU_CYCLE_1) | instskip(NEXT) | instid1(VALU_DEP_2)
	s_add_u32 s13, s2, s20
	v_cndmask_b32_e32 v1, s4, v4, vcc_lo
	s_delay_alu instid0(VALU_DEP_2)
	v_ashrrev_i32_e32 v2, 4, v2
	v_cmp_gt_i32_e32 vcc_lo, s17, v3
	s_addc_u32 s16, s3, s21
	s_ashr_i32 s19, s15, 31
	s_add_u32 s26, s8, s15
	s_addc_u32 s27, s9, s19
	v_cndmask_b32_e32 v3, s4, v2, vcc_lo
	v_ashrrev_i32_e32 v2, 31, v1
	s_lshl_b32 s2, s14, 4
	s_delay_alu instid0(SALU_CYCLE_1) | instskip(NEXT) | instid1(VALU_DEP_2)
	s_ashr_i32 s3, s2, 31
	v_ashrrev_i32_e32 v4, 31, v3
	s_delay_alu instid0(VALU_DEP_2) | instskip(SKIP_1) | instid1(SALU_CYCLE_1)
	v_lshlrev_b64 v[1:2], 2, v[1:2]
	s_lshl_b64 s[2:3], s[2:3], 2
	s_add_u32 s2, s13, s2
	s_delay_alu instid0(VALU_DEP_2) | instskip(SKIP_1) | instid1(VALU_DEP_2)
	v_lshlrev_b64 v[3:4], 2, v[3:4]
	s_addc_u32 s3, s16, s3
	v_add_co_u32 v1, vcc_lo, s13, v1
	v_add_co_ci_u32_e32 v2, vcc_lo, s16, v2, vcc_lo
	s_delay_alu instid0(VALU_DEP_3) | instskip(NEXT) | instid1(VALU_DEP_4)
	v_add_co_u32 v3, vcc_lo, s13, v3
	v_add_co_ci_u32_e32 v4, vcc_lo, s16, v4, vcc_lo
	s_clause 0x1
	global_load_b32 v5, v[1:2], off
	global_load_b32 v3, v[3:4], off
	s_or_b32 s6, s12, 32
	v_cmp_gt_u32_e32 vcc_lo, 10, v65
	s_ashr_i32 s7, s6, 4
	s_cmp_lt_i32 s6, s17
	s_cselect_b32 s6, s7, s4
	s_delay_alu instid0(SALU_CYCLE_1) | instskip(NEXT) | instid1(SALU_CYCLE_1)
	s_ashr_i32 s7, s6, 31
	s_lshl_b64 s[6:7], s[6:7], 2
	s_delay_alu instid0(SALU_CYCLE_1) | instskip(SKIP_2) | instid1(SALU_CYCLE_1)
	s_add_u32 s6, s13, s6
	s_addc_u32 s7, s16, s7
	s_or_b32 s8, s12, 64
	s_ashr_i32 s9, s8, 4
	s_cmp_lt_i32 s8, s17
	s_cselect_b32 s8, s9, s4
	s_delay_alu instid0(SALU_CYCLE_1) | instskip(NEXT) | instid1(SALU_CYCLE_1)
	s_ashr_i32 s9, s8, 31
	s_lshl_b64 s[8:9], s[8:9], 2
	s_delay_alu instid0(SALU_CYCLE_1) | instskip(SKIP_2) | instid1(SALU_CYCLE_1)
	s_add_u32 s8, s13, s8
	s_addc_u32 s9, s16, s9
	s_or_b32 s20, s12, 0x60
	;; [unrolled: 10-line block ×4, first 2 shown]
	s_ashr_i32 s25, s24, 4
	s_cmp_lt_i32 s24, s17
	s_cselect_b32 s24, s25, s4
	s_delay_alu instid0(SALU_CYCLE_1) | instskip(NEXT) | instid1(SALU_CYCLE_1)
	s_ashr_i32 s25, s24, 31
	s_lshl_b64 s[24:25], s[24:25], 2
	s_delay_alu instid0(SALU_CYCLE_1)
	s_add_u32 s24, s13, s24
	s_addc_u32 s25, s16, s25
	s_clause 0x5
	s_load_b32 s28, s[2:3], 0x0
	s_load_b32 s31, s[6:7], 0x0
	;; [unrolled: 1-line block ×6, first 2 shown]
	s_mov_b32 s20, 0
	s_or_b32 s2, s12, 0xc0
	s_mov_b32 s21, s20
	s_mov_b32 s22, s20
	;; [unrolled: 1-line block ×5, first 2 shown]
	v_lshlrev_b32_e32 v1, 4, v0
	s_ashr_i32 s3, s2, 4
	s_cmp_lt_i32 s2, s17
	s_cselect_b32 s2, s3, s4
	s_delay_alu instid0(VALU_DEP_1) | instskip(SKIP_1) | instid1(SALU_CYCLE_1)
	v_and_b32_e32 v1, 0xf0, v1
	s_ashr_i32 s3, s2, 31
	s_lshl_b64 s[2:3], s[2:3], 2
	s_delay_alu instid0(VALU_DEP_1) | instskip(NEXT) | instid1(VALU_DEP_1)
	v_add_co_u32 v1, s26, s26, v1
	v_add_co_ci_u32_e64 v2, null, s27, 0, s26
	s_add_u32 s2, s13, s2
	s_addc_u32 s3, s16, s3
	s_or_b32 s6, s12, 0xe0
	s_mov_b32 s27, s20
	s_ashr_i32 s7, s6, 4
	s_cmp_lt_i32 s6, s17
	s_mov_b32 s26, s20
	v_dual_mov_b32 v107, s27 :: v_dual_mov_b32 v100, s20
	s_cselect_b32 s6, s7, s4
	v_mov_b32_e32 v106, s26
	s_ashr_i32 s7, s6, 31
	v_mov_b32_e32 v104, s24
	s_lshl_b64 s[6:7], s[6:7], 2
	v_dual_mov_b32 v103, s23 :: v_dual_mov_b32 v102, s22
	v_mov_b32_e32 v101, s21
	s_waitcnt vmcnt(1)
	v_mad_i64_i32 v[33:34], null, v5, s5, v[1:2]
	s_waitcnt vmcnt(0)
	v_mad_i64_i32 v[35:36], null, v3, s5, v[1:2]
	s_clause 0xf
	global_load_b128 v[1:4], v[33:34], off
	global_load_b128 v[5:8], v[33:34], off offset:256
	global_load_b128 v[9:12], v[35:36], off
	global_load_b128 v[13:16], v[35:36], off offset:256
	global_load_b128 v[17:20], v[33:34], off offset:512
	;; [unrolled: 1-line block ×13, first 2 shown]
	v_add_nc_u32_e32 v33, -10, v65
	v_lshlrev_b32_e32 v34, 4, v65
	s_delay_alu instid0(VALU_DEP_2) | instskip(SKIP_1) | instid1(VALU_DEP_3)
	v_cndmask_b32_e32 v33, v33, v65, vcc_lo
	v_mov_b32_e32 v105, s25
	v_lshl_or_b32 v41, v66, 8, v34
	s_delay_alu instid0(VALU_DEP_3)
	v_lshlrev_b32_e32 v72, 6, v33
	ds_load_b128 v[33:36], v72
	ds_load_b128 v[37:40], v72 offset:1024
	ds_load_b128 v[108:111], v72 offset:2048
	;; [unrolled: 1-line block ×3, first 2 shown]
	s_load_b32 s4, s[2:3], 0x0
	s_add_u32 s2, s13, s6
	s_addc_u32 s3, s16, s7
	ds_load_b128 v[116:119], v72 offset:4096
	ds_load_b128 v[120:123], v72 offset:5120
	s_load_b32 s2, s[2:3], 0x0
	s_add_u32 s6, s10, s15
	s_addc_u32 s7, s11, s19
	v_add_co_u32 v68, s6, s6, v41
	s_delay_alu instid0(VALU_DEP_1) | instskip(SKIP_1) | instid1(VALU_DEP_1)
	v_add_co_ci_u32_e64 v69, null, s7, 0, s6
	s_waitcnt lgkmcnt(0)
	v_mad_i64_i32 v[41:42], null, s28, s5, v[68:69]
	v_mad_i64_i32 v[70:71], null, s8, s5, v[68:69]
	;; [unrolled: 1-line block ×7, first 2 shown]
	s_clause 0x3
	global_load_b128 v[49:52], v[41:42], off
	global_load_b128 v[53:56], v[41:42], off offset:16
	global_load_b128 v[41:44], v[45:46], off
	global_load_b128 v[45:48], v[45:46], off offset:16
	s_waitcnt vmcnt(18)
	v_wmma_f32_16x16x16_bf16 v[124:131], v[1:8], v[33:40], v[100:107]
	s_waitcnt vmcnt(16)
	v_wmma_f32_16x16x16_bf16 v[100:107], v[9:16], v[33:40], v[100:107]
	s_clause 0x1
	global_load_b128 v[33:36], v[70:71], off
	global_load_b128 v[37:40], v[70:71], off offset:16
	v_mad_i64_i32 v[70:71], null, s2, s5, v[68:69]
	s_waitcnt vmcnt(16)
	v_wmma_f32_16x16x16_bf16 v[124:131], v[17:24], v[108:115], v[124:131]
	s_waitcnt vmcnt(14)
	v_wmma_f32_16x16x16_bf16 v[100:107], v[25:32], v[108:115], v[100:107]
	s_clause 0x7
	global_load_b128 v[25:28], v[132:133], off
	global_load_b128 v[29:32], v[132:133], off offset:16
	global_load_b128 v[1:4], v[134:135], off
	global_load_b128 v[5:8], v[134:135], off offset:16
	;; [unrolled: 2-line block ×4, first 2 shown]
	s_waitcnt vmcnt(20)
	v_wmma_f32_16x16x16_bf16 v[124:131], v[57:64], v[116:123], v[124:131]
	s_clause 0x1
	global_load_b128 v[57:60], v[70:71], off
	global_load_b128 v[61:64], v[70:71], off offset:16
	s_waitcnt vmcnt(20)
	v_wmma_f32_16x16x16_bf16 v[100:107], v[76:83], v[116:123], v[100:107]
	ds_load_b128 v[76:79], v72 offset:6144
	ds_load_b128 v[80:83], v72 offset:7168
	v_and_b32_e32 v68, 0xe0, v0
	v_mbcnt_lo_u32_b32 v69, -1, 0
	s_waitcnt vmcnt(0) lgkmcnt(0)
	s_barrier
	buffer_gl0_inv
	v_add_nc_u32_e32 v68, s12, v68
	v_xor_b32_e32 v70, 16, v69
	s_delay_alu instid0(VALU_DEP_2) | instskip(NEXT) | instid1(VALU_DEP_2)
	v_or_b32_e32 v68, v68, v74
	v_cmp_gt_i32_e32 vcc_lo, 32, v70
	s_delay_alu instid0(VALU_DEP_2)
	v_or_b32_e32 v71, 4, v68
	v_or_b32_e32 v72, 6, v68
	v_cmp_gt_i32_e64 s2, s17, v68
	v_or_b32_e32 v108, 8, v68
	v_wmma_f32_16x16x16_bf16 v[124:131], v[84:91], v[76:83], v[124:131]
	v_cndmask_b32_e32 v69, v69, v70, vcc_lo
	v_or_b32_e32 v70, 2, v68
	v_wmma_f32_16x16x16_bf16 v[100:107], v[92:99], v[76:83], v[100:107]
	v_or_b32_e32 v109, 10, v68
	v_dual_mul_f32 v82, s18, v127 :: v_dual_mul_f32 v79, s18, v130
	v_dual_mul_f32 v92, s18, v125 :: v_dual_mul_f32 v93, s18, v124
	s_delay_alu instid0(VALU_DEP_4)
	v_mul_f32_e32 v98, s18, v103
	v_cmp_gt_i32_e32 vcc_lo, s17, v70
	v_or_b32_e32 v89, 22, v68
	v_dual_mul_f32 v83, s18, v126 :: v_dual_mul_f32 v96, s18, v105
	v_cndmask_b32_e64 v93, 0xff7fffff, v93, s2
	v_cndmask_b32_e32 v92, 0xff7fffff, v92, vcc_lo
	v_cmp_gt_i32_e64 s3, s17, v71
	v_cmp_gt_i32_e64 s4, s17, v72
	v_or_b32_e32 v84, 12, v68
	v_or_b32_e32 v85, 14, v68
	v_dual_mul_f32 v80, s18, v129 :: v_dual_mul_f32 v81, s18, v128
	v_mul_f32_e32 v94, s18, v107
	v_cndmask_b32_e64 v71, 0xff7fffff, v83, s3
	v_cndmask_b32_e64 v72, 0xff7fffff, v82, s4
	v_cmp_gt_i32_e64 s5, s17, v108
	v_cmp_gt_i32_e64 s6, s17, v109
	;; [unrolled: 1-line block ×3, first 2 shown]
	v_lshlrev_b32_e32 v89, 2, v69
	v_max3_f32 v82, v93, 0xff7fffff, v92
	v_or_b32_e32 v86, 16, v68
	v_or_b32_e32 v87, 18, v68
	v_mul_f32_e32 v78, s18, v131
	v_cndmask_b32_e64 v81, 0xff7fffff, v81, s5
	v_cndmask_b32_e64 v80, 0xff7fffff, v80, s6
	v_max3_f32 v71, v82, v71, v72
	v_cmp_gt_i32_e64 s7, s17, v84
	v_cmp_gt_i32_e64 s8, s17, v85
	v_or_b32_e32 v88, 20, v68
	v_or_b32_e32 v90, 24, v68
	;; [unrolled: 1-line block ×5, first 2 shown]
	v_dual_mul_f32 v95, s18, v106 :: v_dual_mul_f32 v70, s18, v101
	v_dual_mul_f32 v99, s18, v102 :: v_dual_mul_f32 v68, s18, v100
	v_cndmask_b32_e64 v72, 0xff7fffff, v79, s7
	v_cndmask_b32_e64 v78, 0xff7fffff, v78, s8
	v_max3_f32 v71, v71, v81, v80
	v_cmp_gt_i32_e64 s9, s17, v86
	v_cmp_gt_i32_e64 s10, s17, v87
	v_cmp_gt_i32_e64 s11, s17, v88
	v_mul_f32_e32 v97, s18, v104
	v_max3_f32 v71, v71, v72, v78
	v_cndmask_b32_e64 v68, 0xff7fffff, v68, s9
	v_cndmask_b32_e64 v70, 0xff7fffff, v70, s10
	;; [unrolled: 1-line block ×4, first 2 shown]
	v_cmp_gt_i32_e64 s13, s17, v90
	v_cmp_gt_i32_e64 s15, s17, v91
	v_max3_f32 v68, v71, v68, v70
	v_cmp_gt_i32_e64 s16, s17, v76
	v_cmp_gt_i32_e64 s17, s17, v77
	v_cndmask_b32_e64 v70, 0xff7fffff, v97, s13
	v_cndmask_b32_e64 v71, 0xff7fffff, v96, s15
	v_max3_f32 v68, v68, v72, v78
	v_cndmask_b32_e64 v72, 0xff7fffff, v95, s16
	v_cndmask_b32_e64 v76, 0xff7fffff, v94, s17
	s_delay_alu instid0(VALU_DEP_3) | instskip(NEXT) | instid1(VALU_DEP_1)
	v_max3_f32 v68, v68, v70, v71
	v_max3_f32 v68, v68, v72, v76
	ds_bpermute_b32 v69, v89, v68
	s_waitcnt lgkmcnt(0)
	v_max_f32_e32 v69, v69, v69
	s_delay_alu instid0(VALU_DEP_1) | instskip(NEXT) | instid1(VALU_DEP_1)
	v_max_f32_e32 v68, v68, v69
	v_fma_f32 v69, s18, v124, -v68
	v_fma_f32 v70, s18, v125, -v68
	;; [unrolled: 1-line block ×5, first 2 shown]
	s_delay_alu instid0(VALU_DEP_4) | instskip(NEXT) | instid1(VALU_DEP_4)
	v_dual_mul_f32 v69, 0x3fb8aa3b, v69 :: v_dual_mul_f32 v70, 0x3fb8aa3b, v70
	v_mul_f32_e32 v72, 0x3fb8aa3b, v72
	v_fma_f32 v78, s18, v130, -v68
	s_delay_alu instid0(VALU_DEP_4) | instskip(NEXT) | instid1(VALU_DEP_4)
	v_mul_f32_e32 v77, 0x3fb8aa3b, v76
	v_exp_f32_e32 v69, v69
	v_exp_f32_e32 v70, v70
	v_mul_f32_e32 v71, 0x3fb8aa3b, v71
	v_exp_f32_e32 v72, v72
	v_mul_f32_e32 v78, 0x3fb8aa3b, v78
	v_exp_f32_e32 v77, v77
	v_fma_f32 v81, s18, v105, -v68
	s_delay_alu instid0(VALU_DEP_2)
	v_exp_f32_e32 v78, v78
	v_cndmask_b32_e64 v80, 0, v69, s2
	v_cndmask_b32_e32 v76, 0, v70, vcc_lo
	v_exp_f32_e32 v71, v71
	v_fma_f32 v69, s18, v129, -v68
	v_cndmask_b32_e64 v85, 0, v72, s4
	v_add_f32_e32 v70, 0, v80
	s_delay_alu instid0(TRANS32_DEP_3)
	v_cndmask_b32_e64 v86, 0, v77, s5
	v_fma_f32 v77, s18, v101, -v68
	v_mul_f32_e32 v69, 0x3fb8aa3b, v69
	v_fma_f32 v72, s18, v100, -v68
	v_cndmask_b32_e64 v84, 0, v78, s7
	v_fma_f32 v78, s18, v103, -v68
	v_cndmask_b32_e64 v83, 0, v71, s3
	v_fma_f32 v71, s18, v131, -v68
	v_add_f32_e32 v70, v70, v76
	v_exp_f32_e32 v69, v69
	v_mul_f32_e32 v77, 0x3fb8aa3b, v77
	v_mul_f32_e32 v81, 0x3fb8aa3b, v81
	;; [unrolled: 1-line block ×3, first 2 shown]
	v_add_f32_e32 v70, v70, v83
	s_mov_b32 s2, exec_lo
	v_exp_f32_e32 v77, v77
	v_exp_f32_e32 v81, v81
	;; [unrolled: 1-line block ×3, first 2 shown]
	v_cndmask_b32_e64 v87, 0, v69, s6
	v_add_f32_e32 v70, v70, v85
	s_delay_alu instid0(VALU_DEP_1) | instskip(SKIP_1) | instid1(VALU_DEP_2)
	v_dual_mul_f32 v72, 0x3fb8aa3b, v72 :: v_dual_add_f32 v69, v70, v86
	v_fma_f32 v70, s18, v102, -v68
	v_exp_f32_e32 v72, v72
	s_waitcnt_depctr 0xfff
	v_cndmask_b32_e64 v88, 0, v71, s8
	v_fma_f32 v71, s18, v104, -v68
	v_dual_add_f32 v69, v69, v87 :: v_dual_mul_f32 v70, 0x3fb8aa3b, v70
	s_delay_alu instid0(VALU_DEP_2) | instskip(NEXT) | instid1(VALU_DEP_2)
	v_dual_mul_f32 v78, 0x3fb8aa3b, v78 :: v_dual_mul_f32 v71, 0x3fb8aa3b, v71
	v_add_f32_e32 v69, v69, v84
	s_delay_alu instid0(VALU_DEP_3) | instskip(SKIP_1) | instid1(VALU_DEP_3)
	v_exp_f32_e32 v79, v70
	v_cndmask_b32_e64 v70, 0, v72, s9
	v_exp_f32_e32 v78, v78
	v_exp_f32_e32 v82, v71
	v_add_f32_e32 v72, v69, v88
	v_cndmask_b32_e64 v69, 0, v77, s10
	v_fma_f32 v77, s18, v106, -v68
	s_delay_alu instid0(VALU_DEP_3) | instskip(NEXT) | instid1(TRANS32_DEP_3)
	v_add_f32_e32 v72, v72, v70
	v_cndmask_b32_e64 v71, 0, v79, s11
	s_delay_alu instid0(VALU_DEP_3) | instskip(NEXT) | instid1(VALU_DEP_3)
	v_mul_f32_e32 v77, 0x3fb8aa3b, v77
	v_add_f32_e32 v79, v72, v69
	s_delay_alu instid0(TRANS32_DEP_2) | instskip(NEXT) | instid1(VALU_DEP_3)
	v_cndmask_b32_e64 v72, 0, v78, s12
	v_exp_f32_e32 v90, v77
	v_cndmask_b32_e64 v77, 0, v82, s13
	s_delay_alu instid0(VALU_DEP_3) | instskip(SKIP_1) | instid1(VALU_DEP_1)
	v_add_f32_e32 v78, v79, v71
	v_fma_f32 v79, s18, v107, -v68
	v_dual_add_f32 v82, v78, v72 :: v_dual_mul_f32 v79, 0x3fb8aa3b, v79
	v_cndmask_b32_e64 v78, 0, v81, s15
	s_delay_alu instid0(VALU_DEP_2) | instskip(NEXT) | instid1(VALU_DEP_3)
	v_add_f32_e32 v81, v82, v77
	v_exp_f32_e32 v82, v79
	s_delay_alu instid0(TRANS32_DEP_2) | instskip(NEXT) | instid1(VALU_DEP_2)
	v_cndmask_b32_e64 v79, 0, v90, s16
	v_add_f32_e32 v81, v81, v78
	s_delay_alu instid0(VALU_DEP_1) | instskip(SKIP_2) | instid1(VALU_DEP_1)
	v_add_f32_e32 v90, v81, v79
	s_waitcnt_depctr 0xfff
	v_cndmask_b32_e64 v81, 0, v82, s17
	v_add_f32_e32 v82, v90, v81
	ds_bpermute_b32 v89, v89, v82
	v_cmpx_gt_u32_e32 16, v67
	s_cbranch_execz .LBB1815_12
; %bb.11:
	v_mul_u32_u24_e32 v67, 0x44, v66
	s_delay_alu instid0(VALU_DEP_1) | instskip(SKIP_1) | instid1(VALU_DEP_1)
	v_lshl_add_u32 v67, v65, 2, v67
	s_waitcnt lgkmcnt(0)
	v_dual_add_f32 v82, v82, v89 :: v_dual_add_nc_u32 v67, 0x4000, v67
	ds_store_2addr_b32 v67, v68, v82 offset1:136
.LBB1815_12:
	s_or_b32 exec_lo, exec_lo, s2
	v_lshlrev_b32_e32 v67, 2, v65
	s_waitcnt lgkmcnt(0)
	s_barrier
	buffer_gl0_inv
	v_cmp_eq_u32_e32 vcc_lo, 1, v66
	v_add_nc_u32_e32 v82, 0x4000, v67
	v_cmp_eq_u32_e64 s2, 2, v66
	v_cmp_eq_u32_e64 s4, 7, v66
	ds_load_2addr_b32 v[89:90], v82 offset1:17
	ds_load_2addr_b32 v[91:92], v82 offset0:34 offset1:51
	ds_load_2addr_b32 v[93:94], v82 offset0:68 offset1:85
	;; [unrolled: 1-line block ×4, first 2 shown]
	s_waitcnt lgkmcnt(4)
	v_max3_f32 v67, v89, 0xff7fffff, v90
	s_waitcnt lgkmcnt(3)
	s_delay_alu instid0(VALU_DEP_1) | instskip(SKIP_1) | instid1(VALU_DEP_1)
	v_max3_f32 v67, v67, v91, v92
	s_waitcnt lgkmcnt(2)
	v_max3_f32 v67, v67, v93, v94
	s_waitcnt lgkmcnt(1)
	s_delay_alu instid0(VALU_DEP_1) | instskip(NEXT) | instid1(VALU_DEP_1)
	v_max3_f32 v67, v67, v95, v96
	v_sub_f32_e32 v93, v93, v67
	s_delay_alu instid0(VALU_DEP_1) | instskip(NEXT) | instid1(VALU_DEP_1)
	v_dual_sub_f32 v68, v89, v67 :: v_dual_mul_f32 v103, 0x3fb8aa3b, v93
	v_mul_f32_e32 v68, 0x3fb8aa3b, v68
	s_delay_alu instid0(VALU_DEP_1)
	v_exp_f32_e32 v100, v68
	v_sub_f32_e32 v68, v92, v67
	v_sub_f32_e32 v99, v90, v67
	ds_load_2addr_b32 v[89:90], v82 offset0:170 offset1:187
	v_dual_mul_f32 v102, 0x3fb8aa3b, v68 :: v_dual_mul_f32 v99, 0x3fb8aa3b, v99
	s_waitcnt lgkmcnt(1)
	v_fma_f32 v68, v100, v97, 0
	s_delay_alu instid0(VALU_DEP_2) | instskip(NEXT) | instid1(VALU_DEP_2)
	v_exp_f32_e32 v102, v102
	v_exp_f32_e32 v99, v99
	s_waitcnt_depctr 0xfff
	v_fmac_f32_e32 v68, v99, v98
	v_sub_f32_e32 v91, v91, v67
	s_delay_alu instid0(VALU_DEP_1)
	v_mul_f32_e32 v101, 0x3fb8aa3b, v91
	ds_load_2addr_b32 v[91:92], v82 offset0:204 offset1:221
	v_sub_f32_e32 v97, v94, v67
	ds_load_2addr_b32 v[93:94], v82 offset0:238 offset1:255
	s_waitcnt lgkmcnt(0)
	v_exp_f32_e32 v101, v101
	s_barrier
	buffer_gl0_inv
	v_dual_fmac_f32 v68, v101, v89 :: v_dual_sub_f32 v89, v96, v67
	v_dual_sub_f32 v82, v95, v67 :: v_dual_mul_f32 v95, 0x3fb8aa3b, v97
	v_exp_f32_e32 v97, v103
	s_delay_alu instid0(VALU_DEP_2) | instskip(NEXT) | instid1(VALU_DEP_2)
	v_dual_fmac_f32 v68, v102, v90 :: v_dual_mul_f32 v89, 0x3fb8aa3b, v89
	v_mul_f32_e32 v82, 0x3fb8aa3b, v82
	s_delay_alu instid0(VALU_DEP_3) | instskip(NEXT) | instid1(VALU_DEP_2)
	v_exp_f32_e32 v95, v95
	v_exp_f32_e32 v89, v89
	s_delay_alu instid0(VALU_DEP_1)
	v_exp_f32_e32 v82, v82
	v_fmac_f32_e32 v68, v97, v91
	s_delay_alu instid0(TRANS32_DEP_3) | instid1(VALU_DEP_1)
	v_fmac_f32_e32 v68, v95, v92
	s_waitcnt_depctr 0xfff
	v_fmac_f32_e32 v68, v82, v93
	s_delay_alu instid0(VALU_DEP_1) | instskip(NEXT) | instid1(VALU_DEP_1)
	v_fmac_f32_e32 v68, v89, v94
	v_add_f32_e32 v90, 0x358637bd, v68
	s_delay_alu instid0(VALU_DEP_1) | instskip(NEXT) | instid1(VALU_DEP_1)
	v_div_scale_f32 v91, null, v90, v90, 1.0
	v_rcp_f32_e32 v92, v91
	s_waitcnt_depctr 0xfff
	v_fma_f32 v93, -v91, v92, 1.0
	s_delay_alu instid0(VALU_DEP_1) | instskip(SKIP_1) | instid1(VALU_DEP_2)
	v_dual_fmac_f32 v92, v93, v92 :: v_dual_cndmask_b32 v93, v100, v99
	v_cmp_eq_u32_e32 vcc_lo, 3, v66
	v_cndmask_b32_e64 v93, v93, v101, s2
	v_cmp_eq_u32_e64 s2, 4, v66
	s_delay_alu instid0(VALU_DEP_2) | instskip(SKIP_1) | instid1(VALU_DEP_2)
	v_cndmask_b32_e32 v93, v93, v102, vcc_lo
	v_cmp_eq_u32_e32 vcc_lo, 5, v66
	v_cndmask_b32_e64 v93, v93, v97, s2
	v_cmp_eq_u32_e64 s2, 6, v66
	s_delay_alu instid0(VALU_DEP_2) | instskip(SKIP_1) | instid1(VALU_DEP_1)
	v_cndmask_b32_e32 v93, v93, v95, vcc_lo
	v_div_scale_f32 v94, s3, 1.0, v90, 1.0
	s_mov_b32 vcc_lo, s3
	s_delay_alu instid0(VALU_DEP_2) | instskip(NEXT) | instid1(VALU_DEP_2)
	v_cndmask_b32_e64 v82, v93, v82, s2
	v_mul_f32_e32 v96, v94, v92
	s_mov_b32 s2, exec_lo
	s_delay_alu instid0(VALU_DEP_2) | instskip(NEXT) | instid1(VALU_DEP_2)
	v_cndmask_b32_e64 v82, v82, v89, s4
	v_fma_f32 v98, -v91, v96, v94
	s_delay_alu instid0(VALU_DEP_1) | instskip(NEXT) | instid1(VALU_DEP_1)
	v_fmac_f32_e32 v96, v98, v92
	v_fma_f32 v91, -v91, v96, v94
	s_delay_alu instid0(VALU_DEP_1) | instskip(NEXT) | instid1(VALU_DEP_1)
	v_div_fmas_f32 v91, v91, v92, v96
	v_div_fixup_f32 v90, v91, v90, 1.0
	s_delay_alu instid0(VALU_DEP_1) | instskip(NEXT) | instid1(VALU_DEP_1)
	v_mul_f32_e32 v82, v82, v90
	v_mul_f32_e32 v87, v82, v87
	;; [unrolled: 1-line block ×7, first 2 shown]
	v_dual_mul_f32 v86, v82, v83 :: v_dual_and_b32 v91, 0x7f800000, v90
	v_mul_f32_e32 v85, v82, v76
                                        ; implicit-def: $vgpr76
	s_delay_alu instid0(VALU_DEP_2)
	v_cmpx_ne_u32_e32 0x7f800000, v91
	s_xor_b32 s2, exec_lo, s2
; %bb.13:
	v_bfe_u32 v76, v90, 16, 1
	s_delay_alu instid0(VALU_DEP_1)
	v_add3_u32 v76, v90, v76, 0x7fff
                                        ; implicit-def: $vgpr90
; %bb.14:
	s_and_not1_saveexec_b32 s2, s2
; %bb.15:
	v_and_b32_e32 v76, 0xffff, v90
	v_or_b32_e32 v83, 0x10000, v90
	s_delay_alu instid0(VALU_DEP_2) | instskip(NEXT) | instid1(VALU_DEP_2)
	v_cmp_eq_u32_e32 vcc_lo, 0, v76
	v_cndmask_b32_e32 v76, v83, v90, vcc_lo
; %bb.16:
	s_or_b32 exec_lo, exec_lo, s2
	v_and_b32_e32 v83, 0x7f800000, v85
	s_delay_alu instid0(VALU_DEP_1) | instskip(SKIP_1) | instid1(SALU_CYCLE_1)
	v_cmp_ne_u32_e32 vcc_lo, 0x7f800000, v83
                                        ; implicit-def: $vgpr83
	s_and_saveexec_b32 s2, vcc_lo
	s_xor_b32 s2, exec_lo, s2
; %bb.17:
	v_bfe_u32 v83, v85, 16, 1
	s_delay_alu instid0(VALU_DEP_1)
	v_add3_u32 v83, v85, v83, 0x7fff
                                        ; implicit-def: $vgpr85
; %bb.18:
	s_and_not1_saveexec_b32 s2, s2
; %bb.19:
	v_and_b32_e32 v83, 0xffff, v85
	v_or_b32_e32 v90, 0x10000, v85
	s_delay_alu instid0(VALU_DEP_2) | instskip(NEXT) | instid1(VALU_DEP_2)
	v_cmp_eq_u32_e32 vcc_lo, 0, v83
	v_cndmask_b32_e32 v83, v90, v85, vcc_lo
; %bb.20:
	s_or_b32 exec_lo, exec_lo, s2
	v_and_b32_e32 v85, 0x7f800000, v86
	s_delay_alu instid0(VALU_DEP_1) | instskip(SKIP_1) | instid1(SALU_CYCLE_1)
	v_cmp_ne_u32_e32 vcc_lo, 0x7f800000, v85
                                        ; implicit-def: $vgpr85
	s_and_saveexec_b32 s2, vcc_lo
	s_xor_b32 s2, exec_lo, s2
; %bb.21:
	v_bfe_u32 v85, v86, 16, 1
	s_delay_alu instid0(VALU_DEP_1)
	v_add3_u32 v85, v86, v85, 0x7fff
                                        ; implicit-def: $vgpr86
; %bb.22:
	s_and_not1_saveexec_b32 s2, s2
; %bb.23:
	v_and_b32_e32 v85, 0xffff, v86
	v_or_b32_e32 v90, 0x10000, v86
	s_delay_alu instid0(VALU_DEP_2) | instskip(NEXT) | instid1(VALU_DEP_2)
	v_cmp_eq_u32_e32 vcc_lo, 0, v85
	v_cndmask_b32_e32 v85, v90, v86, vcc_lo
; %bb.24:
	s_or_b32 exec_lo, exec_lo, s2
	v_and_b32_e32 v86, 0x7f800000, v89
	s_delay_alu instid0(VALU_DEP_1) | instskip(SKIP_1) | instid1(SALU_CYCLE_1)
	v_cmp_ne_u32_e32 vcc_lo, 0x7f800000, v86
                                        ; implicit-def: $vgpr86
	s_and_saveexec_b32 s2, vcc_lo
	s_xor_b32 s2, exec_lo, s2
; %bb.25:
	v_bfe_u32 v86, v89, 16, 1
	s_delay_alu instid0(VALU_DEP_1)
	v_add3_u32 v86, v89, v86, 0x7fff
                                        ; implicit-def: $vgpr89
; %bb.26:
	s_and_not1_saveexec_b32 s2, s2
; %bb.27:
	v_and_b32_e32 v86, 0xffff, v89
	v_or_b32_e32 v90, 0x10000, v89
	s_delay_alu instid0(VALU_DEP_2) | instskip(NEXT) | instid1(VALU_DEP_2)
	v_cmp_eq_u32_e32 vcc_lo, 0, v86
	v_cndmask_b32_e32 v86, v90, v89, vcc_lo
; %bb.28:
	s_or_b32 exec_lo, exec_lo, s2
	v_and_b32_e32 v89, 0x7f800000, v88
	s_delay_alu instid0(VALU_DEP_1) | instskip(SKIP_1) | instid1(SALU_CYCLE_1)
	v_cmp_ne_u32_e32 vcc_lo, 0x7f800000, v89
                                        ; implicit-def: $vgpr89
	s_and_saveexec_b32 s2, vcc_lo
	s_xor_b32 s2, exec_lo, s2
; %bb.29:
	v_bfe_u32 v89, v88, 16, 1
	s_delay_alu instid0(VALU_DEP_1)
	v_add3_u32 v89, v88, v89, 0x7fff
                                        ; implicit-def: $vgpr88
; %bb.30:
	s_and_not1_saveexec_b32 s2, s2
; %bb.31:
	v_and_b32_e32 v89, 0xffff, v88
	v_or_b32_e32 v90, 0x10000, v88
	s_delay_alu instid0(VALU_DEP_2) | instskip(NEXT) | instid1(VALU_DEP_2)
	v_cmp_eq_u32_e32 vcc_lo, 0, v89
	v_cndmask_b32_e32 v89, v90, v88, vcc_lo
; %bb.32:
	s_or_b32 exec_lo, exec_lo, s2
	v_and_b32_e32 v88, 0x7f800000, v87
	s_delay_alu instid0(VALU_DEP_1) | instskip(SKIP_1) | instid1(SALU_CYCLE_1)
	v_cmp_ne_u32_e32 vcc_lo, 0x7f800000, v88
                                        ; implicit-def: $vgpr88
	s_and_saveexec_b32 s2, vcc_lo
	s_xor_b32 s2, exec_lo, s2
; %bb.33:
	v_bfe_u32 v88, v87, 16, 1
	s_delay_alu instid0(VALU_DEP_1)
	v_add3_u32 v88, v87, v88, 0x7fff
                                        ; implicit-def: $vgpr87
; %bb.34:
	s_and_not1_saveexec_b32 s2, s2
; %bb.35:
	v_and_b32_e32 v88, 0xffff, v87
	v_or_b32_e32 v90, 0x10000, v87
	s_delay_alu instid0(VALU_DEP_2) | instskip(NEXT) | instid1(VALU_DEP_2)
	v_cmp_eq_u32_e32 vcc_lo, 0, v88
	v_cndmask_b32_e32 v88, v90, v87, vcc_lo
; %bb.36:
	s_or_b32 exec_lo, exec_lo, s2
	v_and_b32_e32 v87, 0x7f800000, v84
	s_delay_alu instid0(VALU_DEP_1) | instskip(SKIP_1) | instid1(SALU_CYCLE_1)
	v_cmp_ne_u32_e32 vcc_lo, 0x7f800000, v87
                                        ; implicit-def: $vgpr87
	s_and_saveexec_b32 s2, vcc_lo
	s_xor_b32 s2, exec_lo, s2
; %bb.37:
	v_bfe_u32 v87, v84, 16, 1
	s_delay_alu instid0(VALU_DEP_1)
	v_add3_u32 v87, v84, v87, 0x7fff
                                        ; implicit-def: $vgpr84
; %bb.38:
	s_and_not1_saveexec_b32 s2, s2
; %bb.39:
	v_and_b32_e32 v87, 0xffff, v84
	v_or_b32_e32 v90, 0x10000, v84
	s_delay_alu instid0(VALU_DEP_2) | instskip(NEXT) | instid1(VALU_DEP_2)
	v_cmp_eq_u32_e32 vcc_lo, 0, v87
	v_cndmask_b32_e32 v87, v90, v84, vcc_lo
; %bb.40:
	s_or_b32 exec_lo, exec_lo, s2
	v_and_b32_e32 v84, 0x7f800000, v80
	s_delay_alu instid0(VALU_DEP_1) | instskip(SKIP_1) | instid1(SALU_CYCLE_1)
	v_cmp_ne_u32_e32 vcc_lo, 0x7f800000, v84
                                        ; implicit-def: $vgpr84
	s_and_saveexec_b32 s2, vcc_lo
	s_xor_b32 s2, exec_lo, s2
; %bb.41:
	v_bfe_u32 v84, v80, 16, 1
	s_delay_alu instid0(VALU_DEP_1)
	v_add3_u32 v84, v80, v84, 0x7fff
                                        ; implicit-def: $vgpr80
; %bb.42:
	s_and_not1_saveexec_b32 s2, s2
; %bb.43:
	v_and_b32_e32 v84, 0xffff, v80
	v_or_b32_e32 v90, 0x10000, v80
	s_delay_alu instid0(VALU_DEP_2) | instskip(NEXT) | instid1(VALU_DEP_2)
	v_cmp_eq_u32_e32 vcc_lo, 0, v84
	v_cndmask_b32_e32 v84, v90, v80, vcc_lo
; %bb.44:
	s_or_b32 exec_lo, exec_lo, s2
	s_load_b64 s[34:35], s[0:1], 0x94
	v_lshlrev_b32_e32 v91, 4, v74
	s_delay_alu instid0(VALU_DEP_2)
	v_perm_b32 v90, v84, v87, 0x7060302
	v_dual_mul_f32 v79, v82, v79 :: v_dual_lshlrev_b32 v80, 6, v65
	v_dual_mul_f32 v77, v82, v77 :: v_dual_lshlrev_b32 v92, 11, v66
	v_mul_f32_e32 v84, v82, v70
	v_perm_b32 v89, v88, v89, 0x7060302
	v_perm_b32 v88, v86, v85, 0x7060302
	v_perm_b32 v87, v83, v76, 0x7060302
	v_mul_f32_e32 v70, v82, v81
	v_or3_b32 v76, v91, v92, v80
	v_dual_mul_f32 v78, v82, v78 :: v_dual_and_b32 v85, 0x7f800000, v84
	v_mul_f32_e32 v83, v82, v72
	v_mul_f32_e32 v81, v82, v71
	;; [unrolled: 1-line block ×3, first 2 shown]
	s_mov_b32 s2, exec_lo
	ds_store_b128 v76, v[87:90]
                                        ; implicit-def: $vgpr69
	v_cmpx_ne_u32_e32 0x7f800000, v85
	s_xor_b32 s2, exec_lo, s2
; %bb.45:
	v_bfe_u32 v69, v84, 16, 1
	s_delay_alu instid0(VALU_DEP_1)
	v_add3_u32 v69, v84, v69, 0x7fff
                                        ; implicit-def: $vgpr84
; %bb.46:
	s_and_not1_saveexec_b32 s2, s2
; %bb.47:
	v_and_b32_e32 v69, 0xffff, v84
	v_or_b32_e32 v71, 0x10000, v84
	s_delay_alu instid0(VALU_DEP_2) | instskip(NEXT) | instid1(VALU_DEP_2)
	v_cmp_eq_u32_e32 vcc_lo, 0, v69
	v_cndmask_b32_e32 v69, v71, v84, vcc_lo
; %bb.48:
	s_or_b32 exec_lo, exec_lo, s2
	v_and_b32_e32 v71, 0x7f800000, v72
	s_delay_alu instid0(VALU_DEP_1) | instskip(SKIP_1) | instid1(SALU_CYCLE_1)
	v_cmp_ne_u32_e32 vcc_lo, 0x7f800000, v71
                                        ; implicit-def: $vgpr71
	s_and_saveexec_b32 s2, vcc_lo
	s_xor_b32 s2, exec_lo, s2
; %bb.49:
	v_bfe_u32 v71, v72, 16, 1
	s_delay_alu instid0(VALU_DEP_1)
	v_add3_u32 v71, v72, v71, 0x7fff
                                        ; implicit-def: $vgpr72
; %bb.50:
	s_and_not1_saveexec_b32 s2, s2
; %bb.51:
	v_and_b32_e32 v71, 0xffff, v72
	v_or_b32_e32 v82, 0x10000, v72
	s_delay_alu instid0(VALU_DEP_2) | instskip(NEXT) | instid1(VALU_DEP_2)
	v_cmp_eq_u32_e32 vcc_lo, 0, v71
	v_cndmask_b32_e32 v71, v82, v72, vcc_lo
; %bb.52:
	s_or_b32 exec_lo, exec_lo, s2
	v_and_b32_e32 v72, 0x7f800000, v81
	s_delay_alu instid0(VALU_DEP_1) | instskip(SKIP_1) | instid1(SALU_CYCLE_1)
	v_cmp_ne_u32_e32 vcc_lo, 0x7f800000, v72
                                        ; implicit-def: $vgpr72
	s_and_saveexec_b32 s2, vcc_lo
	s_xor_b32 s2, exec_lo, s2
; %bb.53:
	v_bfe_u32 v72, v81, 16, 1
	s_delay_alu instid0(VALU_DEP_1)
	v_add3_u32 v72, v81, v72, 0x7fff
                                        ; implicit-def: $vgpr81
; %bb.54:
	s_and_not1_saveexec_b32 s2, s2
; %bb.55:
	v_and_b32_e32 v72, 0xffff, v81
	v_or_b32_e32 v82, 0x10000, v81
	s_delay_alu instid0(VALU_DEP_2) | instskip(NEXT) | instid1(VALU_DEP_2)
	v_cmp_eq_u32_e32 vcc_lo, 0, v72
	v_cndmask_b32_e32 v72, v82, v81, vcc_lo
; %bb.56:
	s_or_b32 exec_lo, exec_lo, s2
	v_and_b32_e32 v81, 0x7f800000, v83
	s_delay_alu instid0(VALU_DEP_1) | instskip(SKIP_1) | instid1(SALU_CYCLE_1)
	v_cmp_ne_u32_e32 vcc_lo, 0x7f800000, v81
                                        ; implicit-def: $vgpr81
	s_and_saveexec_b32 s2, vcc_lo
	s_xor_b32 s2, exec_lo, s2
; %bb.57:
	v_bfe_u32 v81, v83, 16, 1
	s_delay_alu instid0(VALU_DEP_1)
	v_add3_u32 v81, v83, v81, 0x7fff
                                        ; implicit-def: $vgpr83
; %bb.58:
	s_and_not1_saveexec_b32 s2, s2
; %bb.59:
	v_and_b32_e32 v81, 0xffff, v83
	v_or_b32_e32 v82, 0x10000, v83
	s_delay_alu instid0(VALU_DEP_2) | instskip(NEXT) | instid1(VALU_DEP_2)
	v_cmp_eq_u32_e32 vcc_lo, 0, v81
	v_cndmask_b32_e32 v81, v82, v83, vcc_lo
; %bb.60:
	s_or_b32 exec_lo, exec_lo, s2
	v_and_b32_e32 v82, 0x7f800000, v77
	s_delay_alu instid0(VALU_DEP_1) | instskip(SKIP_1) | instid1(SALU_CYCLE_1)
	v_cmp_ne_u32_e32 vcc_lo, 0x7f800000, v82
                                        ; implicit-def: $vgpr82
	s_and_saveexec_b32 s2, vcc_lo
	s_xor_b32 s2, exec_lo, s2
; %bb.61:
	v_bfe_u32 v82, v77, 16, 1
	s_delay_alu instid0(VALU_DEP_1)
	v_add3_u32 v82, v77, v82, 0x7fff
                                        ; implicit-def: $vgpr77
; %bb.62:
	s_and_not1_saveexec_b32 s2, s2
; %bb.63:
	v_and_b32_e32 v82, 0xffff, v77
	v_or_b32_e32 v83, 0x10000, v77
	s_delay_alu instid0(VALU_DEP_2) | instskip(NEXT) | instid1(VALU_DEP_2)
	v_cmp_eq_u32_e32 vcc_lo, 0, v82
	v_cndmask_b32_e32 v82, v83, v77, vcc_lo
; %bb.64:
	s_or_b32 exec_lo, exec_lo, s2
	v_and_b32_e32 v77, 0x7f800000, v78
	s_delay_alu instid0(VALU_DEP_1) | instskip(SKIP_1) | instid1(SALU_CYCLE_1)
	v_cmp_ne_u32_e32 vcc_lo, 0x7f800000, v77
                                        ; implicit-def: $vgpr77
	s_and_saveexec_b32 s2, vcc_lo
	s_xor_b32 s2, exec_lo, s2
; %bb.65:
	v_bfe_u32 v77, v78, 16, 1
	s_delay_alu instid0(VALU_DEP_1)
	v_add3_u32 v77, v78, v77, 0x7fff
                                        ; implicit-def: $vgpr78
; %bb.66:
	s_and_not1_saveexec_b32 s2, s2
; %bb.67:
	v_and_b32_e32 v77, 0xffff, v78
	v_or_b32_e32 v83, 0x10000, v78
	s_delay_alu instid0(VALU_DEP_2) | instskip(NEXT) | instid1(VALU_DEP_2)
	v_cmp_eq_u32_e32 vcc_lo, 0, v77
	v_cndmask_b32_e32 v77, v83, v78, vcc_lo
; %bb.68:
	s_or_b32 exec_lo, exec_lo, s2
	v_and_b32_e32 v78, 0x7f800000, v79
	s_delay_alu instid0(VALU_DEP_1) | instskip(SKIP_1) | instid1(SALU_CYCLE_1)
	v_cmp_ne_u32_e32 vcc_lo, 0x7f800000, v78
                                        ; implicit-def: $vgpr78
	s_and_saveexec_b32 s2, vcc_lo
	s_xor_b32 s2, exec_lo, s2
; %bb.69:
	v_bfe_u32 v78, v79, 16, 1
	s_delay_alu instid0(VALU_DEP_1)
	v_add3_u32 v78, v79, v78, 0x7fff
                                        ; implicit-def: $vgpr79
; %bb.70:
	s_and_not1_saveexec_b32 s2, s2
; %bb.71:
	v_and_b32_e32 v78, 0xffff, v79
	v_or_b32_e32 v83, 0x10000, v79
	s_delay_alu instid0(VALU_DEP_2) | instskip(NEXT) | instid1(VALU_DEP_2)
	v_cmp_eq_u32_e32 vcc_lo, 0, v78
	v_cndmask_b32_e32 v78, v83, v79, vcc_lo
; %bb.72:
	s_or_b32 exec_lo, exec_lo, s2
	v_and_b32_e32 v79, 0x7f800000, v70
	s_delay_alu instid0(VALU_DEP_1) | instskip(SKIP_1) | instid1(SALU_CYCLE_1)
	v_cmp_ne_u32_e32 vcc_lo, 0x7f800000, v79
                                        ; implicit-def: $vgpr79
	s_and_saveexec_b32 s2, vcc_lo
	s_xor_b32 s2, exec_lo, s2
; %bb.73:
	v_bfe_u32 v79, v70, 16, 1
	s_delay_alu instid0(VALU_DEP_1)
	v_add3_u32 v79, v70, v79, 0x7fff
                                        ; implicit-def: $vgpr70
; %bb.74:
	s_and_not1_saveexec_b32 s2, s2
; %bb.75:
	v_and_b32_e32 v79, 0xffff, v70
	v_or_b32_e32 v83, 0x10000, v70
	s_delay_alu instid0(VALU_DEP_2) | instskip(NEXT) | instid1(VALU_DEP_2)
	v_cmp_eq_u32_e32 vcc_lo, 0, v79
	v_cndmask_b32_e32 v79, v83, v70, vcc_lo
; %bb.76:
	s_or_b32 exec_lo, exec_lo, s2
	s_delay_alu instid0(VALU_DEP_1)
	v_perm_b32 v86, v79, v78, 0x7060302
	v_perm_b32 v85, v77, v82, 0x7060302
	;; [unrolled: 1-line block ×4, first 2 shown]
	v_lshl_or_b32 v82, v66, 11, v80
	ds_store_b128 v76, v[83:86] offset:1024
	s_waitcnt lgkmcnt(0)
	s_barrier
	buffer_gl0_inv
	ds_load_b128 v[69:72], v82
	ds_load_b128 v[83:86], v82 offset:16
	s_waitcnt lgkmcnt(1)
	v_lshrrev_b32_e32 v66, 16, v69
	s_waitcnt lgkmcnt(0)
	v_lshrrev_b32_e32 v91, 16, v83
	v_lshlrev_b32_e32 v78, 2, v74
	v_lshrrev_b32_e32 v95, 16, v70
	v_lshrrev_b32_e32 v98, 16, v84
	;; [unrolled: 1-line block ×4, first 2 shown]
	v_cmp_eq_u32_e32 vcc_lo, 1, v78
	v_lshrrev_b32_e32 v97, 16, v72
	v_lshrrev_b32_e32 v100, 16, v86
	v_cndmask_b32_e32 v87, v83, v91, vcc_lo
	v_or_b32_e32 v79, 1, v78
	v_cndmask_b32_e32 v81, v69, v66, vcc_lo
	v_cmp_eq_u32_e64 s3, 2, v78
	v_cmp_eq_u32_e64 s6, 3, v78
	v_cmp_eq_u32_e64 s8, 4, v78
	v_cmp_eq_u32_e64 s2, 1, v79
	v_cmp_eq_u32_e64 s5, 2, v79
	v_cndmask_b32_e64 v81, v81, v70, s3
	v_cndmask_b32_e64 v87, v87, v84, s3
	v_cmp_eq_u32_e64 s7, 3, v79
	v_cndmask_b32_e64 v88, v69, v66, s2
	v_or_b32_e32 v77, 2, v78
	v_cndmask_b32_e64 v81, v81, v95, s6
	v_cndmask_b32_e64 v87, v87, v98, s6
	;; [unrolled: 1-line block ×4, first 2 shown]
	v_cmp_eq_u32_e64 s9, 5, v78
	v_cndmask_b32_e64 v81, v81, v71, s8
	v_cndmask_b32_e64 v87, v87, v85, s8
	v_cmp_eq_u32_e64 s10, 4, v79
	v_cndmask_b32_e64 v88, v88, v95, s7
	v_cmp_eq_u32_e64 s4, 1, v77
	v_cndmask_b32_e64 v89, v89, v84, s5
	v_cndmask_b32_e64 v81, v81, v96, s9
	v_cmp_eq_u32_e64 s11, 6, v78
	v_cndmask_b32_e64 v88, v88, v71, s10
	;; [unrolled: 3-line block ×3, first 2 shown]
	v_cndmask_b32_e64 v89, v89, v98, s7
	v_cndmask_b32_e64 v81, v81, v72, s11
	v_cmp_eq_u32_e64 s13, 7, v78
	v_cndmask_b32_e64 v88, v88, v96, s12
	v_cndmask_b32_e64 v87, v87, v86, s11
	v_cmp_eq_u32_e64 s15, 6, v79
	v_cmp_eq_u32_e64 s16, 2, v77
	v_cndmask_b32_e64 v89, v89, v85, s10
	v_cndmask_b32_e64 v101, v81, v97, s13
	;; [unrolled: 1-line block ×6, first 2 shown]
	v_cmp_eq_u32_e64 s17, 7, v79
	v_cmp_eq_u32_e64 s18, 3, v77
	;; [unrolled: 1-line block ×4, first 2 shown]
	v_cndmask_b32_e64 v87, v87, v84, s16
	v_cndmask_b32_e64 v103, v88, v97, s17
	;; [unrolled: 1-line block ×4, first 2 shown]
	v_or_b32_e32 v81, 3, v78
	v_cndmask_b32_e64 v93, v87, v98, s18
	v_cmp_eq_u32_e64 s23, 6, v77
	v_cndmask_b32_e64 v104, v88, v86, s15
	v_cndmask_b32_e64 v92, v89, v71, s19
	v_cmp_eq_u32_e64 s20, 1, v81
	ds_load_b128 v[87:90], v82 offset:1024
	v_cmp_eq_u32_e64 s22, 2, v81
	v_cmp_eq_u32_e64 s24, 3, v81
	v_cndmask_b32_e64 v105, v92, v96, s21
	v_cndmask_b32_e64 v66, v69, v66, s20
	;; [unrolled: 1-line block ×4, first 2 shown]
	ds_load_b128 v[91:94], v82 offset:1040
	v_cmp_eq_u32_e64 s25, 4, v81
	v_cndmask_b32_e64 v66, v66, v70, s22
	v_cmp_eq_u32_e64 s26, 7, v77
	v_cndmask_b32_e64 v70, v83, v84, s22
	v_cndmask_b32_e64 v84, v105, v72, s23
	v_cmp_eq_u32_e64 s27, 5, v81
	v_cndmask_b32_e64 v66, v66, v95, s24
	v_cmp_eq_u32_e64 s28, 6, v81
	v_cndmask_b32_e64 v70, v70, v98, s24
	v_cndmask_b32_e64 v69, v69, v99, s21
	;; [unrolled: 1-line block ×4, first 2 shown]
	s_waitcnt lgkmcnt(1)
	v_lshrrev_b32_e32 v95, 16, v87
	v_cndmask_b32_e64 v70, v70, v85, s25
	v_cndmask_b32_e64 v71, v84, v97, s26
	v_cndmask_b32_e64 v69, v69, v86, s23
	v_cndmask_b32_e64 v66, v66, v96, s27
	v_cndmask_b32_e32 v84, v87, v95, vcc_lo
	v_cndmask_b32_e64 v70, v70, v99, s27
	s_waitcnt lgkmcnt(0)
	v_lshrrev_b32_e32 v85, 16, v91
	v_lshrrev_b32_e32 v96, 16, v88
	v_cndmask_b32_e64 v98, v87, v95, s2
	v_cndmask_b32_e64 v84, v84, v88, s3
	;; [unrolled: 1-line block ×3, first 2 shown]
	v_cndmask_b32_e32 v99, v91, v85, vcc_lo
	v_cmp_eq_u32_e32 vcc_lo, 7, v81
	v_cndmask_b32_e64 v66, v66, v72, s28
	v_cndmask_b32_e64 v72, v84, v96, s6
	;; [unrolled: 1-line block ×3, first 2 shown]
	v_lshrrev_b32_e32 v98, 16, v92
	v_cndmask_b32_e32 v70, v70, v100, vcc_lo
	v_cndmask_b32_e64 v86, v99, v92, s3
	v_cndmask_b32_e64 v69, v69, v100, s26
	v_lshrrev_b32_e32 v100, 16, v93
	v_cndmask_b32_e64 v72, v72, v89, s8
	v_lshrrev_b32_e32 v99, 16, v89
	v_cndmask_b32_e64 v86, v86, v98, s6
	v_perm_b32 v71, v69, v71, 0x5040100
	v_cndmask_b32_e64 v84, v84, v96, s7
	s_delay_alu instid0(VALU_DEP_3) | instskip(NEXT) | instid1(VALU_DEP_2)
	v_cndmask_b32_e64 v86, v86, v93, s8
	v_cndmask_b32_e64 v84, v84, v89, s10
	s_delay_alu instid0(VALU_DEP_2) | instskip(NEXT) | instid1(VALU_DEP_1)
	v_cndmask_b32_e64 v86, v86, v100, s9
	v_cndmask_b32_e64 v69, v86, v94, s11
	;; [unrolled: 1-line block ×5, first 2 shown]
	s_delay_alu instid0(VALU_DEP_3) | instskip(NEXT) | instid1(VALU_DEP_3)
	v_cndmask_b32_e64 v86, v86, v88, s16
	v_cndmask_b32_e64 v87, v87, v88, s22
	s_delay_alu instid0(VALU_DEP_3) | instskip(NEXT) | instid1(VALU_DEP_3)
	v_cndmask_b32_e64 v88, v95, v92, s22
	v_cndmask_b32_e64 v86, v86, v96, s18
	;; [unrolled: 3-line block ×7, first 2 shown]
	s_delay_alu instid0(VALU_DEP_3) | instskip(SKIP_2) | instid1(VALU_DEP_2)
	v_cndmask_b32_e64 v88, v88, v94, s28
	v_cndmask_b32_e32 v66, v66, v97, vcc_lo
	v_cndmask_b32_e64 v97, v72, v99, s9
	v_perm_b32 v72, v70, v66, 0x5040100
	v_perm_b32 v70, v83, v103, 0x5040100
	v_cndmask_b32_e64 v103, v91, v85, s4
	v_cndmask_b32_e64 v85, v91, v85, s2
	;; [unrolled: 1-line block ×4, first 2 shown]
	v_lshrrev_b32_e32 v97, 16, v90
	v_cndmask_b32_e64 v91, v103, v92, s16
	v_cndmask_b32_e64 v85, v85, v92, s5
	v_cndmask_b32_e64 v66, v66, v90, s15
	s_mov_b32 s2, exec_lo
	v_cndmask_b32_e64 v83, v84, v97, s13
	v_cndmask_b32_e64 v91, v91, v98, s18
	;; [unrolled: 1-line block ×3, first 2 shown]
	v_lshrrev_b32_e32 v84, 16, v94
	v_cndmask_b32_e64 v66, v66, v97, s17
	v_cndmask_b32_e64 v90, v86, v97, s26
	;; [unrolled: 1-line block ×4, first 2 shown]
	v_dual_cndmask_b32 v86, v87, v97 :: v_dual_cndmask_b32 v87, v88, v84
	v_cndmask_b32_e64 v91, v69, v84, s13
	s_delay_alu instid0(VALU_DEP_4) | instskip(NEXT) | instid1(VALU_DEP_4)
	v_cndmask_b32_e64 v89, v89, v100, s21
	v_cndmask_b32_e64 v85, v85, v100, s12
	v_perm_b32 v69, v102, v101, 0x5040100
	v_perm_b32 v86, v87, v86, 0x5040100
	;; [unrolled: 1-line block ×3, first 2 shown]
	v_cndmask_b32_e64 v89, v89, v94, s23
	v_cndmask_b32_e64 v85, v85, v94, s15
	s_mul_i32 s7, s35, 10
	s_delay_alu instid0(VALU_DEP_2) | instskip(NEXT) | instid1(VALU_DEP_2)
	v_cndmask_b32_e64 v88, v89, v84, s26
	v_cndmask_b32_e64 v89, v85, v84, s17
	s_delay_alu instid0(VALU_DEP_2) | instskip(NEXT) | instid1(VALU_DEP_2)
	v_perm_b32 v85, v88, v90, 0x5040100
	v_perm_b32 v84, v89, v66, 0x5040100
	ds_store_b128 v76, v[69:72]
	ds_store_b128 v76, v[83:86] offset:1024
	v_cmpx_gt_u32_e32 10, v0
	s_cbranch_execz .LBB1815_78
; %bb.77:
	s_mul_i32 s3, s7, s30
	s_load_b128 s[8:11], s[0:1], 0x58
	v_add3_u32 v69, s3, s29, v65
	s_delay_alu instid0(VALU_DEP_1) | instskip(NEXT) | instid1(VALU_DEP_1)
	v_mad_u64_u32 v[65:66], null, v69, s34, s[14:15]
	v_ashrrev_i32_e32 v66, 31, v65
	s_delay_alu instid0(VALU_DEP_1) | instskip(SKIP_1) | instid1(VALU_DEP_1)
	v_lshlrev_b64 v[65:66], 2, v[65:66]
	s_waitcnt lgkmcnt(0)
	v_add_co_u32 v69, vcc_lo, s10, v65
	s_delay_alu instid0(VALU_DEP_2)
	v_add_co_ci_u32_e32 v70, vcc_lo, s11, v66, vcc_lo
	v_add_co_u32 v65, vcc_lo, s8, v65
	v_add_co_ci_u32_e32 v66, vcc_lo, s9, v66, vcc_lo
	global_store_b32 v[69:70], v67, off
	global_store_b32 v[65:66], v68, off
.LBB1815_78:
	s_or_b32 exec_lo, exec_lo, s2
	s_waitcnt lgkmcnt(0)
	s_waitcnt_vscnt null, 0x0
	s_barrier
	buffer_gl0_inv
	ds_load_b128 v[83:86], v80
	ds_load_b128 v[87:90], v80 offset:16
	ds_load_b128 v[95:98], v80 offset:2064
	;; [unrolled: 1-line block ×3, first 2 shown]
	v_mov_b32_e32 v65, 0
	ds_load_b128 v[103:106], v80 offset:4112
	ds_load_b128 v[99:102], v80 offset:4096
	;; [unrolled: 1-line block ×4, first 2 shown]
	v_mov_b32_e32 v66, v65
	v_mov_b32_e32 v67, v65
	;; [unrolled: 1-line block ×7, first 2 shown]
	s_waitcnt lgkmcnt(6)
	s_delay_alu instid0(VALU_DEP_1)
	v_wmma_f32_16x16x16_bf16 v[65:72], v[49:56], v[83:90], v[65:72]
	ds_load_b128 v[53:56], v80 offset:8208
	ds_load_b128 v[49:52], v80 offset:8192
	s_waitcnt lgkmcnt(6)
	v_wmma_f32_16x16x16_bf16 v[65:72], v[41:48], v[91:98], v[65:72]
	ds_load_b128 v[45:48], v80 offset:10256
	ds_load_b128 v[41:44], v80 offset:10240
	s_waitcnt lgkmcnt(6)
	;; [unrolled: 4-line block ×4, first 2 shown]
	v_wmma_f32_16x16x16_bf16 v[65:72], v[1:8], v[49:56], v[65:72]
	s_waitcnt lgkmcnt(4)
	s_delay_alu instid0(VALU_DEP_1) | instskip(SKIP_1) | instid1(VALU_DEP_1)
	v_wmma_f32_16x16x16_bf16 v[65:72], v[9:16], v[41:48], v[65:72]
	s_waitcnt lgkmcnt(2)
	v_wmma_f32_16x16x16_bf16 v[65:72], v[17:24], v[33:40], v[65:72]
	s_waitcnt lgkmcnt(0)
	s_delay_alu instid0(VALU_DEP_1) | instskip(NEXT) | instid1(VALU_DEP_1)
	v_wmma_f32_16x16x16_bf16 v[65:72], v[57:64], v[25:32], v[65:72]
	v_and_b32_e32 v1, 0x7f800000, v65
	s_delay_alu instid0(VALU_DEP_1) | instskip(SKIP_1) | instid1(SALU_CYCLE_1)
	v_cmp_ne_u32_e32 vcc_lo, 0x7f800000, v1
                                        ; implicit-def: $vgpr1
	s_and_saveexec_b32 s2, vcc_lo
	s_xor_b32 s2, exec_lo, s2
; %bb.79:
	v_bfe_u32 v1, v65, 16, 1
	s_delay_alu instid0(VALU_DEP_1)
	v_add3_u32 v1, v65, v1, 0x7fff
; %bb.80:
	s_and_not1_saveexec_b32 s2, s2
; %bb.81:
	v_and_b32_e32 v1, 0xffff, v65
	v_or_b32_e32 v2, 0x10000, v65
	s_delay_alu instid0(VALU_DEP_2) | instskip(NEXT) | instid1(VALU_DEP_2)
	v_cmp_eq_u32_e32 vcc_lo, 0, v1
	v_cndmask_b32_e32 v1, v2, v65, vcc_lo
; %bb.82:
	s_or_b32 exec_lo, exec_lo, s2
	v_and_b32_e32 v2, 0x7f800000, v66
	s_delay_alu instid0(VALU_DEP_1) | instskip(SKIP_1) | instid1(SALU_CYCLE_1)
	v_cmp_ne_u32_e32 vcc_lo, 0x7f800000, v2
                                        ; implicit-def: $vgpr2
	s_and_saveexec_b32 s2, vcc_lo
	s_xor_b32 s2, exec_lo, s2
; %bb.83:
	v_bfe_u32 v2, v66, 16, 1
	s_delay_alu instid0(VALU_DEP_1)
	v_add3_u32 v2, v66, v2, 0x7fff
; %bb.84:
	s_and_not1_saveexec_b32 s2, s2
; %bb.85:
	v_and_b32_e32 v2, 0xffff, v66
	v_or_b32_e32 v3, 0x10000, v66
	s_delay_alu instid0(VALU_DEP_2) | instskip(NEXT) | instid1(VALU_DEP_2)
	v_cmp_eq_u32_e32 vcc_lo, 0, v2
	v_cndmask_b32_e32 v2, v3, v66, vcc_lo
; %bb.86:
	s_or_b32 exec_lo, exec_lo, s2
	v_and_b32_e32 v3, 0x7f800000, v67
	s_delay_alu instid0(VALU_DEP_1) | instskip(SKIP_1) | instid1(SALU_CYCLE_1)
	v_cmp_ne_u32_e32 vcc_lo, 0x7f800000, v3
                                        ; implicit-def: $vgpr3
	s_and_saveexec_b32 s2, vcc_lo
	s_xor_b32 s2, exec_lo, s2
; %bb.87:
	v_bfe_u32 v3, v67, 16, 1
	s_delay_alu instid0(VALU_DEP_1)
	v_add3_u32 v3, v67, v3, 0x7fff
; %bb.88:
	s_and_not1_saveexec_b32 s2, s2
; %bb.89:
	v_and_b32_e32 v3, 0xffff, v67
	v_or_b32_e32 v4, 0x10000, v67
	s_delay_alu instid0(VALU_DEP_2) | instskip(NEXT) | instid1(VALU_DEP_2)
	v_cmp_eq_u32_e32 vcc_lo, 0, v3
	v_cndmask_b32_e32 v3, v4, v67, vcc_lo
; %bb.90:
	s_or_b32 exec_lo, exec_lo, s2
	v_and_b32_e32 v4, 0x7f800000, v68
	s_delay_alu instid0(VALU_DEP_1) | instskip(SKIP_1) | instid1(SALU_CYCLE_1)
	v_cmp_ne_u32_e32 vcc_lo, 0x7f800000, v4
                                        ; implicit-def: $vgpr4
	s_and_saveexec_b32 s2, vcc_lo
	s_xor_b32 s2, exec_lo, s2
; %bb.91:
	v_bfe_u32 v4, v68, 16, 1
	s_delay_alu instid0(VALU_DEP_1)
	v_add3_u32 v4, v68, v4, 0x7fff
; %bb.92:
	s_and_not1_saveexec_b32 s2, s2
; %bb.93:
	v_and_b32_e32 v4, 0xffff, v68
	v_or_b32_e32 v5, 0x10000, v68
	s_delay_alu instid0(VALU_DEP_2) | instskip(NEXT) | instid1(VALU_DEP_2)
	v_cmp_eq_u32_e32 vcc_lo, 0, v4
	v_cndmask_b32_e32 v4, v5, v68, vcc_lo
; %bb.94:
	s_or_b32 exec_lo, exec_lo, s2
	v_and_b32_e32 v5, 0x7f800000, v69
	s_delay_alu instid0(VALU_DEP_1) | instskip(SKIP_1) | instid1(SALU_CYCLE_1)
	v_cmp_ne_u32_e32 vcc_lo, 0x7f800000, v5
                                        ; implicit-def: $vgpr5
	s_and_saveexec_b32 s2, vcc_lo
	s_xor_b32 s2, exec_lo, s2
; %bb.95:
	v_bfe_u32 v5, v69, 16, 1
	s_delay_alu instid0(VALU_DEP_1)
	v_add3_u32 v5, v69, v5, 0x7fff
; %bb.96:
	s_and_not1_saveexec_b32 s2, s2
; %bb.97:
	v_and_b32_e32 v5, 0xffff, v69
	v_or_b32_e32 v6, 0x10000, v69
	s_delay_alu instid0(VALU_DEP_2) | instskip(NEXT) | instid1(VALU_DEP_2)
	v_cmp_eq_u32_e32 vcc_lo, 0, v5
	v_cndmask_b32_e32 v5, v6, v69, vcc_lo
; %bb.98:
	s_or_b32 exec_lo, exec_lo, s2
	v_and_b32_e32 v6, 0x7f800000, v70
	s_delay_alu instid0(VALU_DEP_1) | instskip(SKIP_1) | instid1(SALU_CYCLE_1)
	v_cmp_ne_u32_e32 vcc_lo, 0x7f800000, v6
                                        ; implicit-def: $vgpr6
	s_and_saveexec_b32 s2, vcc_lo
	s_xor_b32 s2, exec_lo, s2
; %bb.99:
	v_bfe_u32 v6, v70, 16, 1
	s_delay_alu instid0(VALU_DEP_1)
	v_add3_u32 v6, v70, v6, 0x7fff
; %bb.100:
	s_and_not1_saveexec_b32 s2, s2
; %bb.101:
	v_and_b32_e32 v6, 0xffff, v70
	v_or_b32_e32 v7, 0x10000, v70
	s_delay_alu instid0(VALU_DEP_2) | instskip(NEXT) | instid1(VALU_DEP_2)
	v_cmp_eq_u32_e32 vcc_lo, 0, v6
	v_cndmask_b32_e32 v6, v7, v70, vcc_lo
; %bb.102:
	s_or_b32 exec_lo, exec_lo, s2
	v_and_b32_e32 v7, 0x7f800000, v71
	s_delay_alu instid0(VALU_DEP_1) | instskip(SKIP_1) | instid1(SALU_CYCLE_1)
	v_cmp_ne_u32_e32 vcc_lo, 0x7f800000, v7
                                        ; implicit-def: $vgpr7
	s_and_saveexec_b32 s2, vcc_lo
	s_xor_b32 s2, exec_lo, s2
; %bb.103:
	v_bfe_u32 v7, v71, 16, 1
	s_delay_alu instid0(VALU_DEP_1)
	v_add3_u32 v7, v71, v7, 0x7fff
; %bb.104:
	s_and_not1_saveexec_b32 s2, s2
; %bb.105:
	v_and_b32_e32 v7, 0xffff, v71
	v_or_b32_e32 v8, 0x10000, v71
	s_delay_alu instid0(VALU_DEP_2) | instskip(NEXT) | instid1(VALU_DEP_2)
	v_cmp_eq_u32_e32 vcc_lo, 0, v7
	v_cndmask_b32_e32 v7, v8, v71, vcc_lo
; %bb.106:
	s_or_b32 exec_lo, exec_lo, s2
	v_and_b32_e32 v8, 0x7f800000, v72
	s_delay_alu instid0(VALU_DEP_1) | instskip(SKIP_1) | instid1(SALU_CYCLE_1)
	v_cmp_ne_u32_e32 vcc_lo, 0x7f800000, v8
                                        ; implicit-def: $vgpr8
	s_and_saveexec_b32 s2, vcc_lo
	s_xor_b32 s2, exec_lo, s2
; %bb.107:
	v_bfe_u32 v8, v72, 16, 1
	s_delay_alu instid0(VALU_DEP_1)
	v_add3_u32 v8, v72, v8, 0x7fff
                                        ; implicit-def: $vgpr65_vgpr66_vgpr67_vgpr68_vgpr69_vgpr70_vgpr71_vgpr72
; %bb.108:
	s_and_not1_saveexec_b32 s2, s2
; %bb.109:
	v_and_b32_e32 v8, 0xffff, v72
	v_or_b32_e32 v9, 0x10000, v72
	s_delay_alu instid0(VALU_DEP_2) | instskip(NEXT) | instid1(VALU_DEP_2)
	v_cmp_eq_u32_e32 vcc_lo, 0, v8
	v_cndmask_b32_e32 v8, v9, v72, vcc_lo
; %bb.110:
	s_or_b32 exec_lo, exec_lo, s2
	s_delay_alu instid0(VALU_DEP_1)
	v_perm_b32 v7, v8, v7, 0x7060302
	v_perm_b32 v6, v6, v5, 0x7060302
	;; [unrolled: 1-line block ×4, first 2 shown]
	s_barrier
	buffer_gl0_inv
	v_cmp_eq_u32_e32 vcc_lo, 1, v78
	ds_store_b128 v76, v[4:7]
	s_waitcnt lgkmcnt(0)
	s_barrier
	buffer_gl0_inv
	ds_load_b128 v[1:4], v82
	ds_load_b128 v[5:8], v82 offset:16
	v_cmp_eq_u32_e64 s2, 1, v79
	v_cmp_eq_u32_e64 s3, 2, v78
	;; [unrolled: 1-line block ×5, first 2 shown]
	s_waitcnt lgkmcnt(1)
	v_lshrrev_b32_e32 v9, 16, v1
	s_waitcnt lgkmcnt(0)
	v_lshrrev_b32_e32 v13, 16, v5
	v_lshrrev_b32_e32 v10, 16, v2
	;; [unrolled: 1-line block ×4, first 2 shown]
	v_cndmask_b32_e64 v19, v1, v9, s2
	v_cndmask_b32_e32 v18, v5, v13, vcc_lo
	v_cndmask_b32_e64 v20, v5, v13, s2
	v_cndmask_b32_e32 v17, v1, v9, vcc_lo
	v_cmp_eq_u32_e32 vcc_lo, 2, v79
	v_lshrrev_b32_e32 v15, 16, v7
	v_cmp_eq_u32_e64 s2, 1, v77
	v_lshrrev_b32_e32 v12, 16, v4
	v_lshrrev_b32_e32 v16, 16, v8
	v_cndmask_b32_e32 v20, v20, v6, vcc_lo
	v_cndmask_b32_e64 v17, v17, v2, s3
	v_cndmask_b32_e32 v19, v19, v2, vcc_lo
	v_cndmask_b32_e64 v18, v18, v6, s3
	v_cmp_eq_u32_e32 vcc_lo, 4, v78
	v_cmp_eq_u32_e64 s3, 3, v79
	v_cndmask_b32_e64 v17, v17, v10, s4
	v_cndmask_b32_e64 v21, v1, v9, s2
	;; [unrolled: 1-line block ×5, first 2 shown]
	v_cndmask_b32_e32 v17, v17, v3, vcc_lo
	v_cndmask_b32_e64 v20, v20, v14, s3
	v_cndmask_b32_e32 v18, v18, v7, vcc_lo
	v_cmp_eq_u32_e32 vcc_lo, 4, v79
	v_cmp_eq_u32_e64 s3, 5, v79
	v_cmp_eq_u32_e64 s2, 2, v81
	v_cndmask_b32_e64 v21, v21, v2, s6
	v_cmp_eq_u32_e64 s4, 5, v78
	v_cndmask_b32_e32 v19, v19, v3, vcc_lo
	v_cndmask_b32_e32 v20, v20, v7, vcc_lo
	v_cmp_eq_u32_e32 vcc_lo, 6, v79
	s_delay_alu instid0(VALU_DEP_4) | instskip(NEXT) | instid1(VALU_DEP_4)
	v_cndmask_b32_e64 v17, v17, v11, s4
	v_cndmask_b32_e64 v19, v19, v11, s3
	s_delay_alu instid0(VALU_DEP_4) | instskip(SKIP_1) | instid1(VALU_DEP_3)
	v_cndmask_b32_e64 v20, v20, v15, s3
	v_cmp_eq_u32_e64 s3, 1, v81
	v_cndmask_b32_e32 v19, v19, v4, vcc_lo
	v_cndmask_b32_e64 v18, v18, v15, s4
	s_delay_alu instid0(VALU_DEP_3)
	v_cndmask_b32_e64 v1, v1, v9, s3
	v_cndmask_b32_e64 v5, v5, v13, s3
	v_cmp_eq_u32_e64 s3, 3, v77
	v_cndmask_b32_e64 v13, v22, v6, s6
	v_cmp_eq_u32_e64 s6, 3, v81
	v_cndmask_b32_e64 v1, v1, v2, s2
	v_cndmask_b32_e64 v2, v5, v6, s2
	v_cndmask_b32_e64 v9, v21, v10, s3
	v_cmp_eq_u32_e64 s2, 4, v77
	v_cndmask_b32_e64 v6, v13, v14, s3
	v_cndmask_b32_e64 v1, v1, v10, s6
	v_cmp_eq_u32_e64 s3, 4, v81
	v_cndmask_b32_e64 v2, v2, v14, s6
	v_cndmask_b32_e64 v5, v9, v3, s2
	v_cmp_eq_u32_e64 s6, 5, v77
	v_cndmask_b32_e64 v6, v6, v7, s2
	v_cndmask_b32_e64 v1, v1, v3, s3
	v_cndmask_b32_e64 v2, v2, v7, s3
	v_cmp_eq_u32_e64 s2, 5, v81
	v_cmp_eq_u32_e64 s4, 6, v78
	v_cndmask_b32_e64 v5, v5, v11, s6
	v_cmp_eq_u32_e64 s3, 6, v77
	v_cndmask_b32_e64 v3, v6, v15, s6
	v_cndmask_b32_e64 v1, v1, v11, s2
	v_cmp_eq_u32_e64 s6, 6, v81
	v_cndmask_b32_e64 v2, v2, v15, s2
	v_cndmask_b32_e64 v17, v17, v4, s4
	v_cndmask_b32_e64 v18, v18, v8, s4
	v_cmp_eq_u32_e64 s4, 7, v78
	v_cndmask_b32_e64 v5, v5, v4, s3
	v_cndmask_b32_e64 v3, v3, v8, s3
	v_cndmask_b32_e64 v1, v1, v4, s6
	v_cmp_eq_u32_e64 s2, 7, v81
	v_cndmask_b32_e64 v2, v2, v8, s6
	v_cmp_eq_u32_e64 s3, 7, v77
	v_cndmask_b32_e32 v4, v20, v8, vcc_lo
	v_cndmask_b32_e64 v17, v17, v12, s4
	v_cndmask_b32_e64 v19, v19, v12, s5
	;; [unrolled: 1-line block ×8, first 2 shown]
	s_mov_b32 s2, exec_lo
	v_perm_b32 v4, v2, v1, 0x5040100
	v_perm_b32 v3, v3, v5, 0x5040100
	;; [unrolled: 1-line block ×4, first 2 shown]
	ds_store_b128 v76, v[1:4]
	s_waitcnt lgkmcnt(0)
	s_barrier
	buffer_gl0_inv
	v_cmpx_gt_u32_e32 32, v0
	s_cbranch_execz .LBB1815_2
; %bb.111:
	s_load_b64 s[0:1], s[0:1], 0x68
	s_lshl_b32 s4, s34, 7
	v_or_b32_e32 v2, s29, v74
	s_mul_i32 s2, s4, s30
	v_lshlrev_b32_e32 v0, 10, v0
	s_mul_i32 s2, s2, s7
	v_lshlrev_b32_e32 v1, 4, v75
	s_ashr_i32 s3, s2, 31
	v_mul_lo_u32 v20, v2, s4
	s_lshl_b64 s[2:3], s[2:3], 1
	v_lshlrev_b32_e32 v3, 6, v74
	v_and_b32_e32 v0, 0x3800, v0
	s_delay_alu instid0(VALU_DEP_1) | instskip(NEXT) | instid1(VALU_DEP_4)
	v_or3_b32 v16, v0, v1, v3
	v_ashrrev_i32_e32 v21, 31, v20
	ds_load_b128 v[0:3], v16
	ds_load_b128 v[4:7], v16 offset:128
	s_waitcnt lgkmcnt(0)
	s_add_u32 s2, s0, s2
	s_addc_u32 s3, s1, s3
	s_lshl_b32 s0, s14, 7
	ds_load_b128 v[8:11], v16 offset:256
	ds_load_b128 v[12:15], v16 offset:384
	;; [unrolled: 1-line block ×3, first 2 shown]
	s_ashr_i32 s1, s0, 31
	s_delay_alu instid0(SALU_CYCLE_1) | instskip(NEXT) | instid1(SALU_CYCLE_1)
	s_lshl_b64 s[0:1], s[0:1], 1
	s_add_u32 s0, s2, s0
	s_addc_u32 s1, s3, s1
	s_lshl_b32 s2, s34, 8
	v_add_co_u32 v30, s0, s0, v73
	v_add_nc_u32_e32 v22, s2, v20
	v_lshlrev_b64 v[20:21], 1, v[20:21]
	v_add_co_ci_u32_e64 v31, null, s1, 0, s0
	s_delay_alu instid0(VALU_DEP_3) | instskip(SKIP_1) | instid1(VALU_DEP_4)
	v_add_nc_u32_e32 v24, s2, v22
	v_ashrrev_i32_e32 v23, 31, v22
	v_add_co_u32 v20, vcc_lo, v30, v20
	s_delay_alu instid0(VALU_DEP_4) | instskip(NEXT) | instid1(VALU_DEP_4)
	v_add_co_ci_u32_e32 v21, vcc_lo, v31, v21, vcc_lo
	v_add_nc_u32_e32 v26, s2, v24
	v_ashrrev_i32_e32 v25, 31, v24
	v_lshlrev_b64 v[22:23], 1, v[22:23]
	s_delay_alu instid0(VALU_DEP_3) | instskip(SKIP_1) | instid1(VALU_DEP_4)
	v_add_nc_u32_e32 v28, s2, v26
	v_ashrrev_i32_e32 v27, 31, v26
	v_lshlrev_b64 v[24:25], 1, v[24:25]
	s_delay_alu instid0(VALU_DEP_4) | instskip(NEXT) | instid1(VALU_DEP_4)
	v_add_co_u32 v22, vcc_lo, v30, v22
	v_ashrrev_i32_e32 v29, 31, v28
	s_delay_alu instid0(VALU_DEP_4) | instskip(SKIP_2) | instid1(VALU_DEP_4)
	v_lshlrev_b64 v[26:27], 1, v[26:27]
	v_add_co_ci_u32_e32 v23, vcc_lo, v31, v23, vcc_lo
	v_add_co_u32 v24, vcc_lo, v30, v24
	v_lshlrev_b64 v[28:29], 1, v[28:29]
	v_add_co_ci_u32_e32 v25, vcc_lo, v31, v25, vcc_lo
	v_add_co_u32 v26, vcc_lo, v30, v26
	v_add_co_ci_u32_e32 v27, vcc_lo, v31, v27, vcc_lo
	s_delay_alu instid0(VALU_DEP_4)
	v_add_co_u32 v28, vcc_lo, v30, v28
	v_add_co_ci_u32_e32 v29, vcc_lo, v31, v29, vcc_lo
	s_clause 0x1
	global_store_b128 v[20:21], v[0:3], off
	global_store_b128 v[22:23], v[4:7], off
	s_waitcnt lgkmcnt(2)
	global_store_b128 v[24:25], v[8:11], off
	s_waitcnt lgkmcnt(1)
	;; [unrolled: 2-line block ×3, first 2 shown]
	global_store_b128 v[28:29], v[16:19], off
	s_nop 0
	s_sendmsg sendmsg(MSG_DEALLOC_VGPRS)
	s_endpgm
	.section	.rodata,"a",@progbits
	.p2align	6, 0x0
	.amdhsa_kernel _Z39paged_attention_ll4mi_QKV_mfma16_kernelI14__hip_bfloat16hLN4vllm18Fp8KVCacheDataTypeE1EhLi16ELi128ELi256ELb0ELi10EL8MFMAType0EEvPKT_PKT0_S9_ifPKiSB_SB_iPKfiiiPfSE_PS4_PT2_iSD_SD_
		.amdhsa_group_segment_fixed_size 17472
		.amdhsa_private_segment_fixed_size 0
		.amdhsa_kernarg_size 400
		.amdhsa_user_sgpr_count 13
		.amdhsa_user_sgpr_dispatch_ptr 0
		.amdhsa_user_sgpr_queue_ptr 0
		.amdhsa_user_sgpr_kernarg_segment_ptr 1
		.amdhsa_user_sgpr_dispatch_id 0
		.amdhsa_user_sgpr_private_segment_size 0
		.amdhsa_wavefront_size32 1
		.amdhsa_uses_dynamic_stack 0
		.amdhsa_enable_private_segment 0
		.amdhsa_system_sgpr_workgroup_id_x 1
		.amdhsa_system_sgpr_workgroup_id_y 1
		.amdhsa_system_sgpr_workgroup_id_z 1
		.amdhsa_system_sgpr_workgroup_info 0
		.amdhsa_system_vgpr_workitem_id 0
		.amdhsa_next_free_vgpr 140
		.amdhsa_next_free_sgpr 36
		.amdhsa_reserve_vcc 1
		.amdhsa_float_round_mode_32 0
		.amdhsa_float_round_mode_16_64 0
		.amdhsa_float_denorm_mode_32 3
		.amdhsa_float_denorm_mode_16_64 3
		.amdhsa_dx10_clamp 1
		.amdhsa_ieee_mode 1
		.amdhsa_fp16_overflow 0
		.amdhsa_workgroup_processor_mode 1
		.amdhsa_memory_ordered 1
		.amdhsa_forward_progress 0
		.amdhsa_shared_vgpr_count 0
		.amdhsa_exception_fp_ieee_invalid_op 0
		.amdhsa_exception_fp_denorm_src 0
		.amdhsa_exception_fp_ieee_div_zero 0
		.amdhsa_exception_fp_ieee_overflow 0
		.amdhsa_exception_fp_ieee_underflow 0
		.amdhsa_exception_fp_ieee_inexact 0
		.amdhsa_exception_int_div_zero 0
	.end_amdhsa_kernel
	.section	.text._Z39paged_attention_ll4mi_QKV_mfma16_kernelI14__hip_bfloat16hLN4vllm18Fp8KVCacheDataTypeE1EhLi16ELi128ELi256ELb0ELi10EL8MFMAType0EEvPKT_PKT0_S9_ifPKiSB_SB_iPKfiiiPfSE_PS4_PT2_iSD_SD_,"axG",@progbits,_Z39paged_attention_ll4mi_QKV_mfma16_kernelI14__hip_bfloat16hLN4vllm18Fp8KVCacheDataTypeE1EhLi16ELi128ELi256ELb0ELi10EL8MFMAType0EEvPKT_PKT0_S9_ifPKiSB_SB_iPKfiiiPfSE_PS4_PT2_iSD_SD_,comdat
.Lfunc_end1815:
	.size	_Z39paged_attention_ll4mi_QKV_mfma16_kernelI14__hip_bfloat16hLN4vllm18Fp8KVCacheDataTypeE1EhLi16ELi128ELi256ELb0ELi10EL8MFMAType0EEvPKT_PKT0_S9_ifPKiSB_SB_iPKfiiiPfSE_PS4_PT2_iSD_SD_, .Lfunc_end1815-_Z39paged_attention_ll4mi_QKV_mfma16_kernelI14__hip_bfloat16hLN4vllm18Fp8KVCacheDataTypeE1EhLi16ELi128ELi256ELb0ELi10EL8MFMAType0EEvPKT_PKT0_S9_ifPKiSB_SB_iPKfiiiPfSE_PS4_PT2_iSD_SD_
                                        ; -- End function
	.section	.AMDGPU.csdata,"",@progbits
; Kernel info:
; codeLenInByte = 8908
; NumSgprs: 38
; NumVgprs: 140
; ScratchSize: 0
; MemoryBound: 0
; FloatMode: 240
; IeeeMode: 1
; LDSByteSize: 17472 bytes/workgroup (compile time only)
; SGPRBlocks: 4
; VGPRBlocks: 17
; NumSGPRsForWavesPerEU: 38
; NumVGPRsForWavesPerEU: 140
; Occupancy: 10
; WaveLimiterHint : 1
; COMPUTE_PGM_RSRC2:SCRATCH_EN: 0
; COMPUTE_PGM_RSRC2:USER_SGPR: 13
; COMPUTE_PGM_RSRC2:TRAP_HANDLER: 0
; COMPUTE_PGM_RSRC2:TGID_X_EN: 1
; COMPUTE_PGM_RSRC2:TGID_Y_EN: 1
; COMPUTE_PGM_RSRC2:TGID_Z_EN: 1
; COMPUTE_PGM_RSRC2:TIDIG_COMP_CNT: 0
	.section	.text._Z39paged_attention_ll4mi_QKV_mfma16_kernelI14__hip_bfloat16hLN4vllm18Fp8KVCacheDataTypeE1EhLi16ELi128ELi256ELb0ELi11EL8MFMAType0EEvPKT_PKT0_S9_ifPKiSB_SB_iPKfiiiPfSE_PS4_PT2_iSD_SD_,"axG",@progbits,_Z39paged_attention_ll4mi_QKV_mfma16_kernelI14__hip_bfloat16hLN4vllm18Fp8KVCacheDataTypeE1EhLi16ELi128ELi256ELb0ELi11EL8MFMAType0EEvPKT_PKT0_S9_ifPKiSB_SB_iPKfiiiPfSE_PS4_PT2_iSD_SD_,comdat
	.protected	_Z39paged_attention_ll4mi_QKV_mfma16_kernelI14__hip_bfloat16hLN4vllm18Fp8KVCacheDataTypeE1EhLi16ELi128ELi256ELb0ELi11EL8MFMAType0EEvPKT_PKT0_S9_ifPKiSB_SB_iPKfiiiPfSE_PS4_PT2_iSD_SD_ ; -- Begin function _Z39paged_attention_ll4mi_QKV_mfma16_kernelI14__hip_bfloat16hLN4vllm18Fp8KVCacheDataTypeE1EhLi16ELi128ELi256ELb0ELi11EL8MFMAType0EEvPKT_PKT0_S9_ifPKiSB_SB_iPKfiiiPfSE_PS4_PT2_iSD_SD_
	.globl	_Z39paged_attention_ll4mi_QKV_mfma16_kernelI14__hip_bfloat16hLN4vllm18Fp8KVCacheDataTypeE1EhLi16ELi128ELi256ELb0ELi11EL8MFMAType0EEvPKT_PKT0_S9_ifPKiSB_SB_iPKfiiiPfSE_PS4_PT2_iSD_SD_
	.p2align	8
	.type	_Z39paged_attention_ll4mi_QKV_mfma16_kernelI14__hip_bfloat16hLN4vllm18Fp8KVCacheDataTypeE1EhLi16ELi128ELi256ELb0ELi11EL8MFMAType0EEvPKT_PKT0_S9_ifPKiSB_SB_iPKfiiiPfSE_PS4_PT2_iSD_SD_,@function
_Z39paged_attention_ll4mi_QKV_mfma16_kernelI14__hip_bfloat16hLN4vllm18Fp8KVCacheDataTypeE1EhLi16ELi128ELi256ELb0ELi11EL8MFMAType0EEvPKT_PKT0_S9_ifPKiSB_SB_iPKfiiiPfSE_PS4_PT2_iSD_SD_: ; @_Z39paged_attention_ll4mi_QKV_mfma16_kernelI14__hip_bfloat16hLN4vllm18Fp8KVCacheDataTypeE1EhLi16ELi128ELi256ELb0ELi11EL8MFMAType0EEvPKT_PKT0_S9_ifPKiSB_SB_iPKfiiiPfSE_PS4_PT2_iSD_SD_
; %bb.0:
	s_load_b64 s[4:5], s[0:1], 0x30
	s_mov_b32 s30, s13
	s_waitcnt lgkmcnt(0)
	s_cmp_lg_u64 s[4:5], 0
	s_cselect_b32 s13, -1, 0
	s_ashr_i32 s31, s30, 31
	s_cmp_eq_u64 s[4:5], 0
	s_cbranch_scc1 .LBB1816_3
; %bb.1:
	s_lshl_b64 s[2:3], s[30:31], 2
	s_delay_alu instid0(SALU_CYCLE_1) | instskip(SKIP_4) | instid1(SALU_CYCLE_1)
	s_add_u32 s2, s4, s2
	s_addc_u32 s3, s5, s3
	s_load_b64 s[2:3], s[2:3], 0x0
	s_waitcnt lgkmcnt(0)
	s_sub_i32 s2, s3, s2
	s_cmp_eq_u32 s2, 1
	s_cselect_b32 s2, -1, 0
	s_delay_alu instid0(SALU_CYCLE_1)
	s_and_not1_b32 vcc_lo, exec_lo, s2
	s_cbranch_vccz .LBB1816_4
.LBB1816_2:
	s_nop 0
	s_sendmsg sendmsg(MSG_DEALLOC_VGPRS)
	s_endpgm
.LBB1816_3:
.LBB1816_4:
	s_load_b64 s[2:3], s[0:1], 0x28
	s_lshl_b64 s[6:7], s[30:31], 2
	s_waitcnt lgkmcnt(0)
	s_add_u32 s2, s2, s6
	s_addc_u32 s3, s3, s7
	s_lshl_b32 s12, s14, 8
	s_load_b32 s17, s[2:3], 0x0
	s_waitcnt lgkmcnt(0)
	s_cmp_ge_i32 s12, s17
	s_cbranch_scc1 .LBB1816_2
; %bb.5:
	s_clause 0x1
	s_load_b128 s[8:11], s[0:1], 0x8
	s_load_b64 s[2:3], s[0:1], 0x20
	s_and_not1_b32 vcc_lo, exec_lo, s13
	s_cbranch_vccnz .LBB1816_7
; %bb.6:
	s_add_u32 s4, s4, s6
	s_addc_u32 s5, s5, s7
	s_load_b32 s13, s[4:5], 0x0
	s_branch .LBB1816_8
.LBB1816_7:
	s_mov_b32 s13, s30
.LBB1816_8:
	s_load_b128 s[4:7], s[0:1], 0x48
	v_and_b32_e32 v65, 15, v0
	v_lshrrev_b32_e32 v66, 5, v0
	v_bfe_u32 v74, v0, 4, 1
	v_and_b32_e32 v67, 31, v0
	v_and_b32_e32 v75, 1, v0
	v_lshlrev_b32_e32 v2, 3, v65
	s_mul_i32 s31, s15, 11
	v_lshl_or_b32 v1, v66, 1, v74
	s_waitcnt lgkmcnt(0)
	s_mov_b32 s7, exec_lo
	v_lshlrev_b32_e32 v73, 1, v2
	s_delay_alu instid0(VALU_DEP_2)
	v_cmpx_gt_u32_e32 11, v1
	s_cbranch_execz .LBB1816_10
; %bb.9:
	s_load_b64 s[18:19], s[0:1], 0x0
	v_add_lshl_u32 v2, v1, s31, 7
	s_mul_hi_i32 s21, s13, s4
	s_mul_i32 s20, s13, s4
	v_lshlrev_b32_e32 v6, 10, v65
	s_lshl_b64 s[20:21], s[20:21], 1
	v_ashrrev_i32_e32 v3, 31, v2
	v_lshlrev_b32_e32 v1, 6, v1
	v_lshlrev_b32_e32 v7, 10, v75
	v_and_b32_e32 v6, 0x3800, v6
	s_delay_alu instid0(VALU_DEP_4) | instskip(NEXT) | instid1(VALU_DEP_2)
	v_lshlrev_b64 v[2:3], 1, v[2:3]
	v_or3_b32 v1, v6, v7, v1
	s_waitcnt lgkmcnt(0)
	s_add_u32 s4, s18, s20
	s_addc_u32 s13, s19, s21
	s_delay_alu instid0(VALU_DEP_2) | instskip(SKIP_1) | instid1(VALU_DEP_2)
	v_add_co_u32 v2, vcc_lo, s4, v2
	v_add_co_ci_u32_e32 v3, vcc_lo, s13, v3, vcc_lo
	v_add_co_u32 v2, vcc_lo, v2, v73
	s_delay_alu instid0(VALU_DEP_2)
	v_add_co_ci_u32_e32 v3, vcc_lo, 0, v3, vcc_lo
	global_load_b128 v[2:5], v[2:3], off
	s_waitcnt vmcnt(0)
	ds_store_b128 v1, v[2:5]
.LBB1816_10:
	s_or_b32 exec_lo, exec_lo, s7
	v_and_b32_e32 v1, 0xef, v0
	s_add_i32 s4, s17, 15
	s_clause 0x1
	s_load_b32 s7, s[0:1], 0x38
	s_load_b32 s18, s[0:1], 0x1c
	s_ashr_i32 s13, s4, 31
	v_add_nc_u32_e32 v1, s12, v1
	s_lshr_b32 s13, s13, 28
	s_waitcnt lgkmcnt(0)
	s_add_i32 s4, s4, s13
	s_barrier
	v_ashrrev_i32_e32 v2, 31, v1
	v_or_b32_e32 v3, 16, v1
	s_ashr_i32 s4, s4, 4
	v_cmp_gt_i32_e32 vcc_lo, s17, v1
	s_add_i32 s4, s4, -1
	v_lshrrev_b32_e32 v2, 28, v2
	buffer_gl0_inv
	s_mul_i32 s15, s15, s6
	v_add_nc_u32_e32 v4, v1, v2
	s_mul_i32 s20, s30, s7
	s_delay_alu instid0(SALU_CYCLE_1) | instskip(NEXT) | instid1(VALU_DEP_1)
	s_ashr_i32 s21, s20, 31
	v_ashrrev_i32_e32 v4, 4, v4
	v_add_nc_u32_e32 v2, v3, v2
	s_lshl_b64 s[20:21], s[20:21], 2
	s_delay_alu instid0(SALU_CYCLE_1) | instskip(NEXT) | instid1(VALU_DEP_2)
	s_add_u32 s13, s2, s20
	v_cndmask_b32_e32 v1, s4, v4, vcc_lo
	s_delay_alu instid0(VALU_DEP_2)
	v_ashrrev_i32_e32 v2, 4, v2
	v_cmp_gt_i32_e32 vcc_lo, s17, v3
	s_addc_u32 s16, s3, s21
	s_ashr_i32 s19, s15, 31
	s_add_u32 s26, s8, s15
	s_addc_u32 s27, s9, s19
	v_cndmask_b32_e32 v3, s4, v2, vcc_lo
	v_ashrrev_i32_e32 v2, 31, v1
	s_lshl_b32 s2, s14, 4
	s_delay_alu instid0(SALU_CYCLE_1) | instskip(NEXT) | instid1(VALU_DEP_2)
	s_ashr_i32 s3, s2, 31
	v_ashrrev_i32_e32 v4, 31, v3
	s_delay_alu instid0(VALU_DEP_2) | instskip(SKIP_1) | instid1(SALU_CYCLE_1)
	v_lshlrev_b64 v[1:2], 2, v[1:2]
	s_lshl_b64 s[2:3], s[2:3], 2
	s_add_u32 s2, s13, s2
	s_delay_alu instid0(VALU_DEP_2) | instskip(SKIP_1) | instid1(VALU_DEP_2)
	v_lshlrev_b64 v[3:4], 2, v[3:4]
	s_addc_u32 s3, s16, s3
	v_add_co_u32 v1, vcc_lo, s13, v1
	v_add_co_ci_u32_e32 v2, vcc_lo, s16, v2, vcc_lo
	s_delay_alu instid0(VALU_DEP_3) | instskip(NEXT) | instid1(VALU_DEP_4)
	v_add_co_u32 v3, vcc_lo, s13, v3
	v_add_co_ci_u32_e32 v4, vcc_lo, s16, v4, vcc_lo
	s_clause 0x1
	global_load_b32 v5, v[1:2], off
	global_load_b32 v3, v[3:4], off
	s_or_b32 s6, s12, 32
	v_cmp_gt_u32_e32 vcc_lo, 11, v65
	s_ashr_i32 s7, s6, 4
	s_cmp_lt_i32 s6, s17
	s_cselect_b32 s6, s7, s4
	s_delay_alu instid0(SALU_CYCLE_1) | instskip(NEXT) | instid1(SALU_CYCLE_1)
	s_ashr_i32 s7, s6, 31
	s_lshl_b64 s[6:7], s[6:7], 2
	s_delay_alu instid0(SALU_CYCLE_1) | instskip(SKIP_2) | instid1(SALU_CYCLE_1)
	s_add_u32 s6, s13, s6
	s_addc_u32 s7, s16, s7
	s_or_b32 s8, s12, 64
	s_ashr_i32 s9, s8, 4
	s_cmp_lt_i32 s8, s17
	s_cselect_b32 s8, s9, s4
	s_delay_alu instid0(SALU_CYCLE_1) | instskip(NEXT) | instid1(SALU_CYCLE_1)
	s_ashr_i32 s9, s8, 31
	s_lshl_b64 s[8:9], s[8:9], 2
	s_delay_alu instid0(SALU_CYCLE_1) | instskip(SKIP_2) | instid1(SALU_CYCLE_1)
	s_add_u32 s8, s13, s8
	s_addc_u32 s9, s16, s9
	s_or_b32 s20, s12, 0x60
	;; [unrolled: 10-line block ×4, first 2 shown]
	s_ashr_i32 s25, s24, 4
	s_cmp_lt_i32 s24, s17
	s_cselect_b32 s24, s25, s4
	s_delay_alu instid0(SALU_CYCLE_1) | instskip(NEXT) | instid1(SALU_CYCLE_1)
	s_ashr_i32 s25, s24, 31
	s_lshl_b64 s[24:25], s[24:25], 2
	s_delay_alu instid0(SALU_CYCLE_1)
	s_add_u32 s24, s13, s24
	s_addc_u32 s25, s16, s25
	s_clause 0x5
	s_load_b32 s28, s[2:3], 0x0
	s_load_b32 s29, s[6:7], 0x0
	;; [unrolled: 1-line block ×6, first 2 shown]
	s_mov_b32 s20, 0
	s_or_b32 s2, s12, 0xc0
	s_mov_b32 s21, s20
	s_mov_b32 s22, s20
	;; [unrolled: 1-line block ×5, first 2 shown]
	v_lshlrev_b32_e32 v1, 4, v0
	s_ashr_i32 s3, s2, 4
	s_cmp_lt_i32 s2, s17
	s_cselect_b32 s2, s3, s4
	s_delay_alu instid0(VALU_DEP_1) | instskip(SKIP_1) | instid1(SALU_CYCLE_1)
	v_and_b32_e32 v1, 0xf0, v1
	s_ashr_i32 s3, s2, 31
	s_lshl_b64 s[2:3], s[2:3], 2
	s_delay_alu instid0(VALU_DEP_1) | instskip(NEXT) | instid1(VALU_DEP_1)
	v_add_co_u32 v1, s26, s26, v1
	v_add_co_ci_u32_e64 v2, null, s27, 0, s26
	s_add_u32 s2, s13, s2
	s_addc_u32 s3, s16, s3
	s_or_b32 s6, s12, 0xe0
	s_mov_b32 s27, s20
	s_ashr_i32 s7, s6, 4
	s_cmp_lt_i32 s6, s17
	s_mov_b32 s26, s20
	v_dual_mov_b32 v107, s27 :: v_dual_mov_b32 v100, s20
	s_cselect_b32 s6, s7, s4
	v_mov_b32_e32 v106, s26
	s_ashr_i32 s7, s6, 31
	v_mov_b32_e32 v104, s24
	s_lshl_b64 s[6:7], s[6:7], 2
	v_dual_mov_b32 v103, s23 :: v_dual_mov_b32 v102, s22
	v_mov_b32_e32 v101, s21
	s_waitcnt vmcnt(1)
	v_mad_i64_i32 v[33:34], null, v5, s5, v[1:2]
	s_waitcnt vmcnt(0)
	v_mad_i64_i32 v[35:36], null, v3, s5, v[1:2]
	s_clause 0xf
	global_load_b128 v[1:4], v[33:34], off
	global_load_b128 v[5:8], v[33:34], off offset:256
	global_load_b128 v[9:12], v[35:36], off
	global_load_b128 v[13:16], v[35:36], off offset:256
	global_load_b128 v[17:20], v[33:34], off offset:512
	;; [unrolled: 1-line block ×13, first 2 shown]
	v_add_nc_u32_e32 v33, -11, v65
	v_lshlrev_b32_e32 v34, 4, v65
	s_delay_alu instid0(VALU_DEP_2) | instskip(SKIP_1) | instid1(VALU_DEP_3)
	v_cndmask_b32_e32 v33, v33, v65, vcc_lo
	v_mov_b32_e32 v105, s25
	v_lshl_or_b32 v41, v66, 8, v34
	s_delay_alu instid0(VALU_DEP_3)
	v_lshlrev_b32_e32 v72, 6, v33
	ds_load_b128 v[33:36], v72
	ds_load_b128 v[37:40], v72 offset:1024
	ds_load_b128 v[108:111], v72 offset:2048
	ds_load_b128 v[112:115], v72 offset:3072
	s_load_b32 s4, s[2:3], 0x0
	s_add_u32 s2, s13, s6
	s_addc_u32 s3, s16, s7
	ds_load_b128 v[116:119], v72 offset:4096
	ds_load_b128 v[120:123], v72 offset:5120
	s_load_b32 s2, s[2:3], 0x0
	s_add_u32 s6, s10, s15
	s_addc_u32 s7, s11, s19
	v_add_co_u32 v68, s6, s6, v41
	s_delay_alu instid0(VALU_DEP_1) | instskip(SKIP_1) | instid1(VALU_DEP_1)
	v_add_co_ci_u32_e64 v69, null, s7, 0, s6
	s_waitcnt lgkmcnt(0)
	v_mad_i64_i32 v[41:42], null, s28, s5, v[68:69]
	v_mad_i64_i32 v[70:71], null, s8, s5, v[68:69]
	v_mad_i64_i32 v[45:46], null, s29, s5, v[68:69]
	v_mad_i64_i32 v[132:133], null, s9, s5, v[68:69]
	v_mad_i64_i32 v[134:135], null, s33, s5, v[68:69]
	v_mad_i64_i32 v[136:137], null, s34, s5, v[68:69]
	v_mad_i64_i32 v[138:139], null, s4, s5, v[68:69]
	s_clause 0x3
	global_load_b128 v[49:52], v[41:42], off
	global_load_b128 v[53:56], v[41:42], off offset:16
	global_load_b128 v[41:44], v[45:46], off
	global_load_b128 v[45:48], v[45:46], off offset:16
	s_waitcnt vmcnt(18)
	v_wmma_f32_16x16x16_bf16 v[124:131], v[1:8], v[33:40], v[100:107]
	s_waitcnt vmcnt(16)
	v_wmma_f32_16x16x16_bf16 v[100:107], v[9:16], v[33:40], v[100:107]
	s_clause 0x1
	global_load_b128 v[33:36], v[70:71], off
	global_load_b128 v[37:40], v[70:71], off offset:16
	v_mad_i64_i32 v[70:71], null, s2, s5, v[68:69]
	s_waitcnt vmcnt(16)
	v_wmma_f32_16x16x16_bf16 v[124:131], v[17:24], v[108:115], v[124:131]
	s_waitcnt vmcnt(14)
	v_wmma_f32_16x16x16_bf16 v[100:107], v[25:32], v[108:115], v[100:107]
	s_clause 0x7
	global_load_b128 v[25:28], v[132:133], off
	global_load_b128 v[29:32], v[132:133], off offset:16
	global_load_b128 v[1:4], v[134:135], off
	global_load_b128 v[5:8], v[134:135], off offset:16
	;; [unrolled: 2-line block ×4, first 2 shown]
	s_waitcnt vmcnt(20)
	v_wmma_f32_16x16x16_bf16 v[124:131], v[57:64], v[116:123], v[124:131]
	s_clause 0x1
	global_load_b128 v[57:60], v[70:71], off
	global_load_b128 v[61:64], v[70:71], off offset:16
	s_waitcnt vmcnt(20)
	v_wmma_f32_16x16x16_bf16 v[100:107], v[76:83], v[116:123], v[100:107]
	ds_load_b128 v[76:79], v72 offset:6144
	ds_load_b128 v[80:83], v72 offset:7168
	v_and_b32_e32 v68, 0xe0, v0
	v_mbcnt_lo_u32_b32 v69, -1, 0
	s_waitcnt vmcnt(0) lgkmcnt(0)
	s_barrier
	buffer_gl0_inv
	v_add_nc_u32_e32 v68, s12, v68
	v_xor_b32_e32 v70, 16, v69
	s_delay_alu instid0(VALU_DEP_2) | instskip(NEXT) | instid1(VALU_DEP_2)
	v_or_b32_e32 v68, v68, v74
	v_cmp_gt_i32_e32 vcc_lo, 32, v70
	s_delay_alu instid0(VALU_DEP_2)
	v_or_b32_e32 v71, 4, v68
	v_or_b32_e32 v72, 6, v68
	v_cmp_gt_i32_e64 s2, s17, v68
	v_or_b32_e32 v108, 8, v68
	v_wmma_f32_16x16x16_bf16 v[124:131], v[84:91], v[76:83], v[124:131]
	v_cndmask_b32_e32 v69, v69, v70, vcc_lo
	v_or_b32_e32 v70, 2, v68
	v_wmma_f32_16x16x16_bf16 v[100:107], v[92:99], v[76:83], v[100:107]
	v_or_b32_e32 v109, 10, v68
	v_dual_mul_f32 v82, s18, v127 :: v_dual_mul_f32 v79, s18, v130
	v_dual_mul_f32 v92, s18, v125 :: v_dual_mul_f32 v93, s18, v124
	s_delay_alu instid0(VALU_DEP_4)
	v_mul_f32_e32 v98, s18, v103
	v_cmp_gt_i32_e32 vcc_lo, s17, v70
	v_or_b32_e32 v89, 22, v68
	v_dual_mul_f32 v83, s18, v126 :: v_dual_mul_f32 v96, s18, v105
	v_cndmask_b32_e64 v93, 0xff7fffff, v93, s2
	v_cndmask_b32_e32 v92, 0xff7fffff, v92, vcc_lo
	v_cmp_gt_i32_e64 s3, s17, v71
	v_cmp_gt_i32_e64 s4, s17, v72
	v_or_b32_e32 v84, 12, v68
	v_or_b32_e32 v85, 14, v68
	v_dual_mul_f32 v80, s18, v129 :: v_dual_mul_f32 v81, s18, v128
	v_mul_f32_e32 v94, s18, v107
	v_cndmask_b32_e64 v71, 0xff7fffff, v83, s3
	v_cndmask_b32_e64 v72, 0xff7fffff, v82, s4
	v_cmp_gt_i32_e64 s5, s17, v108
	v_cmp_gt_i32_e64 s6, s17, v109
	;; [unrolled: 1-line block ×3, first 2 shown]
	v_lshlrev_b32_e32 v89, 2, v69
	v_max3_f32 v82, v93, 0xff7fffff, v92
	v_or_b32_e32 v86, 16, v68
	v_or_b32_e32 v87, 18, v68
	v_mul_f32_e32 v78, s18, v131
	v_cndmask_b32_e64 v81, 0xff7fffff, v81, s5
	v_cndmask_b32_e64 v80, 0xff7fffff, v80, s6
	v_max3_f32 v71, v82, v71, v72
	v_cmp_gt_i32_e64 s7, s17, v84
	v_cmp_gt_i32_e64 s8, s17, v85
	v_or_b32_e32 v88, 20, v68
	v_or_b32_e32 v90, 24, v68
	;; [unrolled: 1-line block ×5, first 2 shown]
	v_dual_mul_f32 v95, s18, v106 :: v_dual_mul_f32 v70, s18, v101
	v_dual_mul_f32 v99, s18, v102 :: v_dual_mul_f32 v68, s18, v100
	v_cndmask_b32_e64 v72, 0xff7fffff, v79, s7
	v_cndmask_b32_e64 v78, 0xff7fffff, v78, s8
	v_max3_f32 v71, v71, v81, v80
	v_cmp_gt_i32_e64 s9, s17, v86
	v_cmp_gt_i32_e64 s10, s17, v87
	;; [unrolled: 1-line block ×3, first 2 shown]
	v_mul_f32_e32 v97, s18, v104
	v_max3_f32 v71, v71, v72, v78
	v_cndmask_b32_e64 v68, 0xff7fffff, v68, s9
	v_cndmask_b32_e64 v70, 0xff7fffff, v70, s10
	v_cndmask_b32_e64 v72, 0xff7fffff, v99, s11
	v_cndmask_b32_e64 v78, 0xff7fffff, v98, s12
	v_cmp_gt_i32_e64 s13, s17, v90
	v_cmp_gt_i32_e64 s15, s17, v91
	v_max3_f32 v68, v71, v68, v70
	v_cmp_gt_i32_e64 s16, s17, v76
	v_cmp_gt_i32_e64 s17, s17, v77
	v_cndmask_b32_e64 v70, 0xff7fffff, v97, s13
	v_cndmask_b32_e64 v71, 0xff7fffff, v96, s15
	v_max3_f32 v68, v68, v72, v78
	v_cndmask_b32_e64 v72, 0xff7fffff, v95, s16
	v_cndmask_b32_e64 v76, 0xff7fffff, v94, s17
	s_delay_alu instid0(VALU_DEP_3) | instskip(NEXT) | instid1(VALU_DEP_1)
	v_max3_f32 v68, v68, v70, v71
	v_max3_f32 v68, v68, v72, v76
	ds_bpermute_b32 v69, v89, v68
	s_waitcnt lgkmcnt(0)
	v_max_f32_e32 v69, v69, v69
	s_delay_alu instid0(VALU_DEP_1) | instskip(NEXT) | instid1(VALU_DEP_1)
	v_max_f32_e32 v68, v68, v69
	v_fma_f32 v69, s18, v124, -v68
	v_fma_f32 v70, s18, v125, -v68
	;; [unrolled: 1-line block ×5, first 2 shown]
	s_delay_alu instid0(VALU_DEP_4) | instskip(NEXT) | instid1(VALU_DEP_4)
	v_dual_mul_f32 v69, 0x3fb8aa3b, v69 :: v_dual_mul_f32 v70, 0x3fb8aa3b, v70
	v_mul_f32_e32 v72, 0x3fb8aa3b, v72
	v_fma_f32 v78, s18, v130, -v68
	s_delay_alu instid0(VALU_DEP_4) | instskip(NEXT) | instid1(VALU_DEP_4)
	v_mul_f32_e32 v77, 0x3fb8aa3b, v76
	v_exp_f32_e32 v69, v69
	v_exp_f32_e32 v70, v70
	v_mul_f32_e32 v71, 0x3fb8aa3b, v71
	v_exp_f32_e32 v72, v72
	v_mul_f32_e32 v78, 0x3fb8aa3b, v78
	v_exp_f32_e32 v77, v77
	v_fma_f32 v81, s18, v105, -v68
	s_delay_alu instid0(VALU_DEP_2)
	v_exp_f32_e32 v78, v78
	v_cndmask_b32_e64 v80, 0, v69, s2
	v_cndmask_b32_e32 v76, 0, v70, vcc_lo
	v_exp_f32_e32 v71, v71
	v_fma_f32 v69, s18, v129, -v68
	v_cndmask_b32_e64 v85, 0, v72, s4
	v_add_f32_e32 v70, 0, v80
	s_delay_alu instid0(TRANS32_DEP_3)
	v_cndmask_b32_e64 v86, 0, v77, s5
	v_fma_f32 v77, s18, v101, -v68
	v_mul_f32_e32 v69, 0x3fb8aa3b, v69
	v_fma_f32 v72, s18, v100, -v68
	v_cndmask_b32_e64 v84, 0, v78, s7
	v_fma_f32 v78, s18, v103, -v68
	v_cndmask_b32_e64 v83, 0, v71, s3
	v_fma_f32 v71, s18, v131, -v68
	v_add_f32_e32 v70, v70, v76
	v_exp_f32_e32 v69, v69
	v_mul_f32_e32 v77, 0x3fb8aa3b, v77
	v_mul_f32_e32 v81, 0x3fb8aa3b, v81
	v_mul_f32_e32 v71, 0x3fb8aa3b, v71
	v_add_f32_e32 v70, v70, v83
	v_cmp_gt_u32_e64 s2, 16, v67
	v_exp_f32_e32 v77, v77
	v_exp_f32_e32 v81, v81
	;; [unrolled: 1-line block ×3, first 2 shown]
	v_cndmask_b32_e64 v87, 0, v69, s6
	v_add_f32_e32 v70, v70, v85
	s_delay_alu instid0(VALU_DEP_1) | instskip(SKIP_1) | instid1(VALU_DEP_2)
	v_dual_mul_f32 v72, 0x3fb8aa3b, v72 :: v_dual_add_f32 v69, v70, v86
	v_fma_f32 v70, s18, v102, -v68
	v_exp_f32_e32 v72, v72
	s_waitcnt_depctr 0xfff
	v_cndmask_b32_e64 v88, 0, v71, s8
	v_fma_f32 v71, s18, v104, -v68
	v_dual_add_f32 v69, v69, v87 :: v_dual_mul_f32 v70, 0x3fb8aa3b, v70
	s_delay_alu instid0(VALU_DEP_2) | instskip(NEXT) | instid1(VALU_DEP_2)
	v_dual_mul_f32 v78, 0x3fb8aa3b, v78 :: v_dual_mul_f32 v71, 0x3fb8aa3b, v71
	v_add_f32_e32 v69, v69, v84
	s_delay_alu instid0(VALU_DEP_3) | instskip(SKIP_1) | instid1(VALU_DEP_3)
	v_exp_f32_e32 v79, v70
	v_cndmask_b32_e64 v70, 0, v72, s9
	v_exp_f32_e32 v78, v78
	v_exp_f32_e32 v82, v71
	v_add_f32_e32 v72, v69, v88
	v_cndmask_b32_e64 v69, 0, v77, s10
	v_fma_f32 v77, s18, v106, -v68
	s_delay_alu instid0(VALU_DEP_3) | instskip(NEXT) | instid1(TRANS32_DEP_3)
	v_add_f32_e32 v72, v72, v70
	v_cndmask_b32_e64 v71, 0, v79, s11
	s_delay_alu instid0(VALU_DEP_3) | instskip(NEXT) | instid1(VALU_DEP_3)
	v_mul_f32_e32 v77, 0x3fb8aa3b, v77
	v_add_f32_e32 v79, v72, v69
	s_delay_alu instid0(TRANS32_DEP_2) | instskip(NEXT) | instid1(VALU_DEP_3)
	v_cndmask_b32_e64 v72, 0, v78, s12
	v_exp_f32_e32 v90, v77
	v_cndmask_b32_e64 v77, 0, v82, s13
	s_delay_alu instid0(VALU_DEP_3) | instskip(SKIP_1) | instid1(VALU_DEP_1)
	v_add_f32_e32 v78, v79, v71
	v_fma_f32 v79, s18, v107, -v68
	v_dual_add_f32 v82, v78, v72 :: v_dual_mul_f32 v79, 0x3fb8aa3b, v79
	v_cndmask_b32_e64 v78, 0, v81, s15
	s_delay_alu instid0(VALU_DEP_2) | instskip(NEXT) | instid1(VALU_DEP_3)
	v_add_f32_e32 v81, v82, v77
	v_exp_f32_e32 v82, v79
	s_delay_alu instid0(TRANS32_DEP_2) | instskip(NEXT) | instid1(VALU_DEP_2)
	v_cndmask_b32_e64 v79, 0, v90, s16
	v_add_f32_e32 v81, v81, v78
	s_delay_alu instid0(VALU_DEP_1) | instskip(SKIP_2) | instid1(VALU_DEP_1)
	v_add_f32_e32 v90, v81, v79
	s_waitcnt_depctr 0xfff
	v_cndmask_b32_e64 v81, 0, v82, s17
	v_add_f32_e32 v82, v90, v81
	ds_bpermute_b32 v89, v89, v82
	s_and_saveexec_b32 s3, s2
	s_cbranch_execz .LBB1816_12
; %bb.11:
	v_mul_u32_u24_e32 v67, 0x44, v66
	s_delay_alu instid0(VALU_DEP_1) | instskip(SKIP_1) | instid1(VALU_DEP_1)
	v_lshl_add_u32 v67, v65, 2, v67
	s_waitcnt lgkmcnt(0)
	v_dual_add_f32 v82, v82, v89 :: v_dual_add_nc_u32 v67, 0x4000, v67
	ds_store_2addr_b32 v67, v68, v82 offset1:136
.LBB1816_12:
	s_or_b32 exec_lo, exec_lo, s3
	v_lshlrev_b32_e32 v67, 2, v65
	s_waitcnt lgkmcnt(0)
	s_barrier
	buffer_gl0_inv
	v_cmp_eq_u32_e32 vcc_lo, 1, v66
	v_add_nc_u32_e32 v82, 0x4000, v67
	v_cmp_eq_u32_e64 s3, 2, v66
	v_cmp_eq_u32_e64 s5, 7, v66
	ds_load_2addr_b32 v[89:90], v82 offset1:17
	ds_load_2addr_b32 v[91:92], v82 offset0:34 offset1:51
	ds_load_2addr_b32 v[93:94], v82 offset0:68 offset1:85
	;; [unrolled: 1-line block ×4, first 2 shown]
	s_waitcnt lgkmcnt(4)
	v_max3_f32 v67, v89, 0xff7fffff, v90
	s_waitcnt lgkmcnt(3)
	s_delay_alu instid0(VALU_DEP_1) | instskip(SKIP_1) | instid1(VALU_DEP_1)
	v_max3_f32 v67, v67, v91, v92
	s_waitcnt lgkmcnt(2)
	v_max3_f32 v67, v67, v93, v94
	s_waitcnt lgkmcnt(1)
	s_delay_alu instid0(VALU_DEP_1) | instskip(NEXT) | instid1(VALU_DEP_1)
	v_max3_f32 v67, v67, v95, v96
	v_sub_f32_e32 v93, v93, v67
	s_delay_alu instid0(VALU_DEP_1) | instskip(NEXT) | instid1(VALU_DEP_1)
	v_dual_sub_f32 v68, v89, v67 :: v_dual_mul_f32 v103, 0x3fb8aa3b, v93
	v_mul_f32_e32 v68, 0x3fb8aa3b, v68
	s_delay_alu instid0(VALU_DEP_1)
	v_exp_f32_e32 v100, v68
	v_sub_f32_e32 v68, v92, v67
	v_sub_f32_e32 v99, v90, v67
	ds_load_2addr_b32 v[89:90], v82 offset0:170 offset1:187
	v_dual_mul_f32 v102, 0x3fb8aa3b, v68 :: v_dual_mul_f32 v99, 0x3fb8aa3b, v99
	s_waitcnt lgkmcnt(1)
	v_fma_f32 v68, v100, v97, 0
	s_delay_alu instid0(VALU_DEP_2) | instskip(NEXT) | instid1(VALU_DEP_2)
	v_exp_f32_e32 v102, v102
	v_exp_f32_e32 v99, v99
	s_waitcnt_depctr 0xfff
	v_fmac_f32_e32 v68, v99, v98
	v_sub_f32_e32 v91, v91, v67
	s_delay_alu instid0(VALU_DEP_1)
	v_mul_f32_e32 v101, 0x3fb8aa3b, v91
	ds_load_2addr_b32 v[91:92], v82 offset0:204 offset1:221
	v_sub_f32_e32 v97, v94, v67
	ds_load_2addr_b32 v[93:94], v82 offset0:238 offset1:255
	s_waitcnt lgkmcnt(0)
	v_exp_f32_e32 v101, v101
	s_barrier
	buffer_gl0_inv
	v_dual_fmac_f32 v68, v101, v89 :: v_dual_sub_f32 v89, v96, v67
	v_dual_sub_f32 v82, v95, v67 :: v_dual_mul_f32 v95, 0x3fb8aa3b, v97
	v_exp_f32_e32 v97, v103
	s_delay_alu instid0(VALU_DEP_2) | instskip(NEXT) | instid1(VALU_DEP_2)
	v_dual_fmac_f32 v68, v102, v90 :: v_dual_mul_f32 v89, 0x3fb8aa3b, v89
	v_mul_f32_e32 v82, 0x3fb8aa3b, v82
	s_delay_alu instid0(VALU_DEP_3) | instskip(NEXT) | instid1(VALU_DEP_2)
	v_exp_f32_e32 v95, v95
	v_exp_f32_e32 v89, v89
	s_delay_alu instid0(VALU_DEP_1)
	v_exp_f32_e32 v82, v82
	v_fmac_f32_e32 v68, v97, v91
	s_delay_alu instid0(TRANS32_DEP_3) | instid1(VALU_DEP_1)
	v_fmac_f32_e32 v68, v95, v92
	s_waitcnt_depctr 0xfff
	v_fmac_f32_e32 v68, v82, v93
	s_delay_alu instid0(VALU_DEP_1) | instskip(NEXT) | instid1(VALU_DEP_1)
	v_fmac_f32_e32 v68, v89, v94
	v_add_f32_e32 v90, 0x358637bd, v68
	s_delay_alu instid0(VALU_DEP_1) | instskip(NEXT) | instid1(VALU_DEP_1)
	v_div_scale_f32 v91, null, v90, v90, 1.0
	v_rcp_f32_e32 v92, v91
	s_waitcnt_depctr 0xfff
	v_fma_f32 v93, -v91, v92, 1.0
	s_delay_alu instid0(VALU_DEP_1) | instskip(SKIP_1) | instid1(VALU_DEP_2)
	v_dual_fmac_f32 v92, v93, v92 :: v_dual_cndmask_b32 v93, v100, v99
	v_cmp_eq_u32_e32 vcc_lo, 3, v66
	v_cndmask_b32_e64 v93, v93, v101, s3
	v_cmp_eq_u32_e64 s3, 4, v66
	s_delay_alu instid0(VALU_DEP_2) | instskip(SKIP_1) | instid1(VALU_DEP_2)
	v_cndmask_b32_e32 v93, v93, v102, vcc_lo
	v_cmp_eq_u32_e32 vcc_lo, 5, v66
	v_cndmask_b32_e64 v93, v93, v97, s3
	v_cmp_eq_u32_e64 s3, 6, v66
	s_delay_alu instid0(VALU_DEP_2) | instskip(SKIP_1) | instid1(VALU_DEP_1)
	v_cndmask_b32_e32 v93, v93, v95, vcc_lo
	v_div_scale_f32 v94, s4, 1.0, v90, 1.0
	s_mov_b32 vcc_lo, s4
	s_delay_alu instid0(VALU_DEP_2) | instskip(NEXT) | instid1(VALU_DEP_2)
	v_cndmask_b32_e64 v82, v93, v82, s3
	v_mul_f32_e32 v96, v94, v92
	s_mov_b32 s3, exec_lo
	s_delay_alu instid0(VALU_DEP_2) | instskip(NEXT) | instid1(VALU_DEP_2)
	v_cndmask_b32_e64 v82, v82, v89, s5
	v_fma_f32 v98, -v91, v96, v94
	s_delay_alu instid0(VALU_DEP_1) | instskip(NEXT) | instid1(VALU_DEP_1)
	v_fmac_f32_e32 v96, v98, v92
	v_fma_f32 v91, -v91, v96, v94
	s_delay_alu instid0(VALU_DEP_1) | instskip(NEXT) | instid1(VALU_DEP_1)
	v_div_fmas_f32 v91, v91, v92, v96
	v_div_fixup_f32 v90, v91, v90, 1.0
	s_delay_alu instid0(VALU_DEP_1) | instskip(NEXT) | instid1(VALU_DEP_1)
	v_mul_f32_e32 v82, v82, v90
	v_mul_f32_e32 v87, v82, v87
	;; [unrolled: 1-line block ×7, first 2 shown]
	v_dual_mul_f32 v86, v82, v83 :: v_dual_and_b32 v91, 0x7f800000, v90
	v_mul_f32_e32 v85, v82, v76
                                        ; implicit-def: $vgpr76
	s_delay_alu instid0(VALU_DEP_2)
	v_cmpx_ne_u32_e32 0x7f800000, v91
	s_xor_b32 s3, exec_lo, s3
; %bb.13:
	v_bfe_u32 v76, v90, 16, 1
	s_delay_alu instid0(VALU_DEP_1)
	v_add3_u32 v76, v90, v76, 0x7fff
                                        ; implicit-def: $vgpr90
; %bb.14:
	s_and_not1_saveexec_b32 s3, s3
; %bb.15:
	v_and_b32_e32 v76, 0xffff, v90
	v_or_b32_e32 v83, 0x10000, v90
	s_delay_alu instid0(VALU_DEP_2) | instskip(NEXT) | instid1(VALU_DEP_2)
	v_cmp_eq_u32_e32 vcc_lo, 0, v76
	v_cndmask_b32_e32 v76, v83, v90, vcc_lo
; %bb.16:
	s_or_b32 exec_lo, exec_lo, s3
	v_and_b32_e32 v83, 0x7f800000, v85
	s_delay_alu instid0(VALU_DEP_1) | instskip(SKIP_1) | instid1(SALU_CYCLE_1)
	v_cmp_ne_u32_e32 vcc_lo, 0x7f800000, v83
                                        ; implicit-def: $vgpr83
	s_and_saveexec_b32 s3, vcc_lo
	s_xor_b32 s3, exec_lo, s3
; %bb.17:
	v_bfe_u32 v83, v85, 16, 1
	s_delay_alu instid0(VALU_DEP_1)
	v_add3_u32 v83, v85, v83, 0x7fff
                                        ; implicit-def: $vgpr85
; %bb.18:
	s_and_not1_saveexec_b32 s3, s3
; %bb.19:
	v_and_b32_e32 v83, 0xffff, v85
	v_or_b32_e32 v90, 0x10000, v85
	s_delay_alu instid0(VALU_DEP_2) | instskip(NEXT) | instid1(VALU_DEP_2)
	v_cmp_eq_u32_e32 vcc_lo, 0, v83
	v_cndmask_b32_e32 v83, v90, v85, vcc_lo
; %bb.20:
	s_or_b32 exec_lo, exec_lo, s3
	v_and_b32_e32 v85, 0x7f800000, v86
	s_delay_alu instid0(VALU_DEP_1) | instskip(SKIP_1) | instid1(SALU_CYCLE_1)
	v_cmp_ne_u32_e32 vcc_lo, 0x7f800000, v85
                                        ; implicit-def: $vgpr85
	s_and_saveexec_b32 s3, vcc_lo
	s_xor_b32 s3, exec_lo, s3
; %bb.21:
	v_bfe_u32 v85, v86, 16, 1
	s_delay_alu instid0(VALU_DEP_1)
	v_add3_u32 v85, v86, v85, 0x7fff
                                        ; implicit-def: $vgpr86
; %bb.22:
	s_and_not1_saveexec_b32 s3, s3
; %bb.23:
	v_and_b32_e32 v85, 0xffff, v86
	v_or_b32_e32 v90, 0x10000, v86
	s_delay_alu instid0(VALU_DEP_2) | instskip(NEXT) | instid1(VALU_DEP_2)
	v_cmp_eq_u32_e32 vcc_lo, 0, v85
	v_cndmask_b32_e32 v85, v90, v86, vcc_lo
; %bb.24:
	s_or_b32 exec_lo, exec_lo, s3
	v_and_b32_e32 v86, 0x7f800000, v89
	s_delay_alu instid0(VALU_DEP_1) | instskip(SKIP_1) | instid1(SALU_CYCLE_1)
	v_cmp_ne_u32_e32 vcc_lo, 0x7f800000, v86
                                        ; implicit-def: $vgpr86
	s_and_saveexec_b32 s3, vcc_lo
	s_xor_b32 s3, exec_lo, s3
; %bb.25:
	v_bfe_u32 v86, v89, 16, 1
	s_delay_alu instid0(VALU_DEP_1)
	v_add3_u32 v86, v89, v86, 0x7fff
                                        ; implicit-def: $vgpr89
; %bb.26:
	s_and_not1_saveexec_b32 s3, s3
; %bb.27:
	v_and_b32_e32 v86, 0xffff, v89
	v_or_b32_e32 v90, 0x10000, v89
	s_delay_alu instid0(VALU_DEP_2) | instskip(NEXT) | instid1(VALU_DEP_2)
	v_cmp_eq_u32_e32 vcc_lo, 0, v86
	v_cndmask_b32_e32 v86, v90, v89, vcc_lo
; %bb.28:
	s_or_b32 exec_lo, exec_lo, s3
	v_and_b32_e32 v89, 0x7f800000, v88
	s_delay_alu instid0(VALU_DEP_1) | instskip(SKIP_1) | instid1(SALU_CYCLE_1)
	v_cmp_ne_u32_e32 vcc_lo, 0x7f800000, v89
                                        ; implicit-def: $vgpr89
	s_and_saveexec_b32 s3, vcc_lo
	s_xor_b32 s3, exec_lo, s3
; %bb.29:
	v_bfe_u32 v89, v88, 16, 1
	s_delay_alu instid0(VALU_DEP_1)
	v_add3_u32 v89, v88, v89, 0x7fff
                                        ; implicit-def: $vgpr88
; %bb.30:
	s_and_not1_saveexec_b32 s3, s3
; %bb.31:
	v_and_b32_e32 v89, 0xffff, v88
	v_or_b32_e32 v90, 0x10000, v88
	s_delay_alu instid0(VALU_DEP_2) | instskip(NEXT) | instid1(VALU_DEP_2)
	v_cmp_eq_u32_e32 vcc_lo, 0, v89
	v_cndmask_b32_e32 v89, v90, v88, vcc_lo
; %bb.32:
	s_or_b32 exec_lo, exec_lo, s3
	v_and_b32_e32 v88, 0x7f800000, v87
	s_delay_alu instid0(VALU_DEP_1) | instskip(SKIP_1) | instid1(SALU_CYCLE_1)
	v_cmp_ne_u32_e32 vcc_lo, 0x7f800000, v88
                                        ; implicit-def: $vgpr88
	s_and_saveexec_b32 s3, vcc_lo
	s_xor_b32 s3, exec_lo, s3
; %bb.33:
	v_bfe_u32 v88, v87, 16, 1
	s_delay_alu instid0(VALU_DEP_1)
	v_add3_u32 v88, v87, v88, 0x7fff
                                        ; implicit-def: $vgpr87
; %bb.34:
	s_and_not1_saveexec_b32 s3, s3
; %bb.35:
	v_and_b32_e32 v88, 0xffff, v87
	v_or_b32_e32 v90, 0x10000, v87
	s_delay_alu instid0(VALU_DEP_2) | instskip(NEXT) | instid1(VALU_DEP_2)
	v_cmp_eq_u32_e32 vcc_lo, 0, v88
	v_cndmask_b32_e32 v88, v90, v87, vcc_lo
; %bb.36:
	s_or_b32 exec_lo, exec_lo, s3
	v_and_b32_e32 v87, 0x7f800000, v84
	s_delay_alu instid0(VALU_DEP_1) | instskip(SKIP_1) | instid1(SALU_CYCLE_1)
	v_cmp_ne_u32_e32 vcc_lo, 0x7f800000, v87
                                        ; implicit-def: $vgpr87
	s_and_saveexec_b32 s3, vcc_lo
	s_xor_b32 s3, exec_lo, s3
; %bb.37:
	v_bfe_u32 v87, v84, 16, 1
	s_delay_alu instid0(VALU_DEP_1)
	v_add3_u32 v87, v84, v87, 0x7fff
                                        ; implicit-def: $vgpr84
; %bb.38:
	s_and_not1_saveexec_b32 s3, s3
; %bb.39:
	v_and_b32_e32 v87, 0xffff, v84
	v_or_b32_e32 v90, 0x10000, v84
	s_delay_alu instid0(VALU_DEP_2) | instskip(NEXT) | instid1(VALU_DEP_2)
	v_cmp_eq_u32_e32 vcc_lo, 0, v87
	v_cndmask_b32_e32 v87, v90, v84, vcc_lo
; %bb.40:
	s_or_b32 exec_lo, exec_lo, s3
	v_and_b32_e32 v84, 0x7f800000, v80
	s_delay_alu instid0(VALU_DEP_1) | instskip(SKIP_1) | instid1(SALU_CYCLE_1)
	v_cmp_ne_u32_e32 vcc_lo, 0x7f800000, v84
                                        ; implicit-def: $vgpr84
	s_and_saveexec_b32 s3, vcc_lo
	s_xor_b32 s3, exec_lo, s3
; %bb.41:
	v_bfe_u32 v84, v80, 16, 1
	s_delay_alu instid0(VALU_DEP_1)
	v_add3_u32 v84, v80, v84, 0x7fff
                                        ; implicit-def: $vgpr80
; %bb.42:
	s_and_not1_saveexec_b32 s3, s3
; %bb.43:
	v_and_b32_e32 v84, 0xffff, v80
	v_or_b32_e32 v90, 0x10000, v80
	s_delay_alu instid0(VALU_DEP_2) | instskip(NEXT) | instid1(VALU_DEP_2)
	v_cmp_eq_u32_e32 vcc_lo, 0, v84
	v_cndmask_b32_e32 v84, v90, v80, vcc_lo
; %bb.44:
	s_or_b32 exec_lo, exec_lo, s3
	s_load_b64 s[34:35], s[0:1], 0x94
	v_lshlrev_b32_e32 v91, 4, v74
	s_delay_alu instid0(VALU_DEP_2)
	v_perm_b32 v90, v84, v87, 0x7060302
	v_dual_mul_f32 v79, v82, v79 :: v_dual_lshlrev_b32 v80, 6, v65
	v_dual_mul_f32 v77, v82, v77 :: v_dual_lshlrev_b32 v92, 11, v66
	v_mul_f32_e32 v84, v82, v70
	v_perm_b32 v89, v88, v89, 0x7060302
	v_perm_b32 v88, v86, v85, 0x7060302
	;; [unrolled: 1-line block ×3, first 2 shown]
	v_mul_f32_e32 v70, v82, v81
	v_or3_b32 v76, v91, v92, v80
	v_dual_mul_f32 v78, v82, v78 :: v_dual_and_b32 v85, 0x7f800000, v84
	v_mul_f32_e32 v83, v82, v72
	v_mul_f32_e32 v81, v82, v71
	;; [unrolled: 1-line block ×3, first 2 shown]
	s_mov_b32 s3, exec_lo
	ds_store_b128 v76, v[87:90]
                                        ; implicit-def: $vgpr69
	v_cmpx_ne_u32_e32 0x7f800000, v85
	s_xor_b32 s3, exec_lo, s3
; %bb.45:
	v_bfe_u32 v69, v84, 16, 1
	s_delay_alu instid0(VALU_DEP_1)
	v_add3_u32 v69, v84, v69, 0x7fff
                                        ; implicit-def: $vgpr84
; %bb.46:
	s_and_not1_saveexec_b32 s3, s3
; %bb.47:
	v_and_b32_e32 v69, 0xffff, v84
	v_or_b32_e32 v71, 0x10000, v84
	s_delay_alu instid0(VALU_DEP_2) | instskip(NEXT) | instid1(VALU_DEP_2)
	v_cmp_eq_u32_e32 vcc_lo, 0, v69
	v_cndmask_b32_e32 v69, v71, v84, vcc_lo
; %bb.48:
	s_or_b32 exec_lo, exec_lo, s3
	v_and_b32_e32 v71, 0x7f800000, v72
	s_delay_alu instid0(VALU_DEP_1) | instskip(SKIP_1) | instid1(SALU_CYCLE_1)
	v_cmp_ne_u32_e32 vcc_lo, 0x7f800000, v71
                                        ; implicit-def: $vgpr71
	s_and_saveexec_b32 s3, vcc_lo
	s_xor_b32 s3, exec_lo, s3
; %bb.49:
	v_bfe_u32 v71, v72, 16, 1
	s_delay_alu instid0(VALU_DEP_1)
	v_add3_u32 v71, v72, v71, 0x7fff
                                        ; implicit-def: $vgpr72
; %bb.50:
	s_and_not1_saveexec_b32 s3, s3
; %bb.51:
	v_and_b32_e32 v71, 0xffff, v72
	v_or_b32_e32 v82, 0x10000, v72
	s_delay_alu instid0(VALU_DEP_2) | instskip(NEXT) | instid1(VALU_DEP_2)
	v_cmp_eq_u32_e32 vcc_lo, 0, v71
	v_cndmask_b32_e32 v71, v82, v72, vcc_lo
; %bb.52:
	s_or_b32 exec_lo, exec_lo, s3
	v_and_b32_e32 v72, 0x7f800000, v81
	s_delay_alu instid0(VALU_DEP_1) | instskip(SKIP_1) | instid1(SALU_CYCLE_1)
	v_cmp_ne_u32_e32 vcc_lo, 0x7f800000, v72
                                        ; implicit-def: $vgpr72
	s_and_saveexec_b32 s3, vcc_lo
	s_xor_b32 s3, exec_lo, s3
; %bb.53:
	v_bfe_u32 v72, v81, 16, 1
	s_delay_alu instid0(VALU_DEP_1)
	v_add3_u32 v72, v81, v72, 0x7fff
                                        ; implicit-def: $vgpr81
; %bb.54:
	s_and_not1_saveexec_b32 s3, s3
; %bb.55:
	v_and_b32_e32 v72, 0xffff, v81
	v_or_b32_e32 v82, 0x10000, v81
	s_delay_alu instid0(VALU_DEP_2) | instskip(NEXT) | instid1(VALU_DEP_2)
	v_cmp_eq_u32_e32 vcc_lo, 0, v72
	v_cndmask_b32_e32 v72, v82, v81, vcc_lo
; %bb.56:
	s_or_b32 exec_lo, exec_lo, s3
	v_and_b32_e32 v81, 0x7f800000, v83
	s_delay_alu instid0(VALU_DEP_1) | instskip(SKIP_1) | instid1(SALU_CYCLE_1)
	v_cmp_ne_u32_e32 vcc_lo, 0x7f800000, v81
                                        ; implicit-def: $vgpr81
	s_and_saveexec_b32 s3, vcc_lo
	s_xor_b32 s3, exec_lo, s3
; %bb.57:
	v_bfe_u32 v81, v83, 16, 1
	s_delay_alu instid0(VALU_DEP_1)
	v_add3_u32 v81, v83, v81, 0x7fff
                                        ; implicit-def: $vgpr83
; %bb.58:
	s_and_not1_saveexec_b32 s3, s3
; %bb.59:
	v_and_b32_e32 v81, 0xffff, v83
	v_or_b32_e32 v82, 0x10000, v83
	s_delay_alu instid0(VALU_DEP_2) | instskip(NEXT) | instid1(VALU_DEP_2)
	v_cmp_eq_u32_e32 vcc_lo, 0, v81
	v_cndmask_b32_e32 v81, v82, v83, vcc_lo
; %bb.60:
	s_or_b32 exec_lo, exec_lo, s3
	v_and_b32_e32 v82, 0x7f800000, v77
	s_delay_alu instid0(VALU_DEP_1) | instskip(SKIP_1) | instid1(SALU_CYCLE_1)
	v_cmp_ne_u32_e32 vcc_lo, 0x7f800000, v82
                                        ; implicit-def: $vgpr82
	s_and_saveexec_b32 s3, vcc_lo
	s_xor_b32 s3, exec_lo, s3
; %bb.61:
	v_bfe_u32 v82, v77, 16, 1
	s_delay_alu instid0(VALU_DEP_1)
	v_add3_u32 v82, v77, v82, 0x7fff
                                        ; implicit-def: $vgpr77
; %bb.62:
	s_and_not1_saveexec_b32 s3, s3
; %bb.63:
	v_and_b32_e32 v82, 0xffff, v77
	v_or_b32_e32 v83, 0x10000, v77
	s_delay_alu instid0(VALU_DEP_2) | instskip(NEXT) | instid1(VALU_DEP_2)
	v_cmp_eq_u32_e32 vcc_lo, 0, v82
	v_cndmask_b32_e32 v82, v83, v77, vcc_lo
; %bb.64:
	s_or_b32 exec_lo, exec_lo, s3
	v_and_b32_e32 v77, 0x7f800000, v78
	s_delay_alu instid0(VALU_DEP_1) | instskip(SKIP_1) | instid1(SALU_CYCLE_1)
	v_cmp_ne_u32_e32 vcc_lo, 0x7f800000, v77
                                        ; implicit-def: $vgpr77
	s_and_saveexec_b32 s3, vcc_lo
	s_xor_b32 s3, exec_lo, s3
; %bb.65:
	v_bfe_u32 v77, v78, 16, 1
	s_delay_alu instid0(VALU_DEP_1)
	v_add3_u32 v77, v78, v77, 0x7fff
                                        ; implicit-def: $vgpr78
; %bb.66:
	s_and_not1_saveexec_b32 s3, s3
; %bb.67:
	v_and_b32_e32 v77, 0xffff, v78
	v_or_b32_e32 v83, 0x10000, v78
	s_delay_alu instid0(VALU_DEP_2) | instskip(NEXT) | instid1(VALU_DEP_2)
	v_cmp_eq_u32_e32 vcc_lo, 0, v77
	v_cndmask_b32_e32 v77, v83, v78, vcc_lo
; %bb.68:
	s_or_b32 exec_lo, exec_lo, s3
	v_and_b32_e32 v78, 0x7f800000, v79
	s_delay_alu instid0(VALU_DEP_1) | instskip(SKIP_1) | instid1(SALU_CYCLE_1)
	v_cmp_ne_u32_e32 vcc_lo, 0x7f800000, v78
                                        ; implicit-def: $vgpr78
	s_and_saveexec_b32 s3, vcc_lo
	s_xor_b32 s3, exec_lo, s3
; %bb.69:
	v_bfe_u32 v78, v79, 16, 1
	s_delay_alu instid0(VALU_DEP_1)
	v_add3_u32 v78, v79, v78, 0x7fff
                                        ; implicit-def: $vgpr79
; %bb.70:
	s_and_not1_saveexec_b32 s3, s3
; %bb.71:
	v_and_b32_e32 v78, 0xffff, v79
	v_or_b32_e32 v83, 0x10000, v79
	s_delay_alu instid0(VALU_DEP_2) | instskip(NEXT) | instid1(VALU_DEP_2)
	v_cmp_eq_u32_e32 vcc_lo, 0, v78
	v_cndmask_b32_e32 v78, v83, v79, vcc_lo
; %bb.72:
	s_or_b32 exec_lo, exec_lo, s3
	v_and_b32_e32 v79, 0x7f800000, v70
	s_delay_alu instid0(VALU_DEP_1) | instskip(SKIP_1) | instid1(SALU_CYCLE_1)
	v_cmp_ne_u32_e32 vcc_lo, 0x7f800000, v79
                                        ; implicit-def: $vgpr79
	s_and_saveexec_b32 s3, vcc_lo
	s_xor_b32 s3, exec_lo, s3
; %bb.73:
	v_bfe_u32 v79, v70, 16, 1
	s_delay_alu instid0(VALU_DEP_1)
	v_add3_u32 v79, v70, v79, 0x7fff
                                        ; implicit-def: $vgpr70
; %bb.74:
	s_and_not1_saveexec_b32 s3, s3
; %bb.75:
	v_and_b32_e32 v79, 0xffff, v70
	v_or_b32_e32 v83, 0x10000, v70
	s_delay_alu instid0(VALU_DEP_2) | instskip(NEXT) | instid1(VALU_DEP_2)
	v_cmp_eq_u32_e32 vcc_lo, 0, v79
	v_cndmask_b32_e32 v79, v83, v70, vcc_lo
; %bb.76:
	s_or_b32 exec_lo, exec_lo, s3
	s_delay_alu instid0(VALU_DEP_1)
	v_perm_b32 v86, v79, v78, 0x7060302
	v_perm_b32 v85, v77, v82, 0x7060302
	;; [unrolled: 1-line block ×4, first 2 shown]
	v_lshl_or_b32 v82, v66, 11, v80
	ds_store_b128 v76, v[83:86] offset:1024
	s_waitcnt lgkmcnt(0)
	s_barrier
	buffer_gl0_inv
	ds_load_b128 v[69:72], v82
	ds_load_b128 v[83:86], v82 offset:16
	s_waitcnt lgkmcnt(1)
	v_lshrrev_b32_e32 v66, 16, v69
	s_waitcnt lgkmcnt(0)
	v_lshrrev_b32_e32 v91, 16, v83
	v_lshlrev_b32_e32 v78, 2, v74
	v_lshrrev_b32_e32 v95, 16, v70
	v_lshrrev_b32_e32 v98, 16, v84
	;; [unrolled: 1-line block ×4, first 2 shown]
	v_cmp_eq_u32_e32 vcc_lo, 1, v78
	v_lshrrev_b32_e32 v97, 16, v72
	v_lshrrev_b32_e32 v100, 16, v86
	v_cndmask_b32_e32 v87, v83, v91, vcc_lo
	v_or_b32_e32 v79, 1, v78
	v_cndmask_b32_e32 v81, v69, v66, vcc_lo
	v_cmp_eq_u32_e64 s4, 2, v78
	v_cmp_eq_u32_e64 s7, 3, v78
	;; [unrolled: 1-line block ×5, first 2 shown]
	v_cndmask_b32_e64 v81, v81, v70, s4
	v_cndmask_b32_e64 v87, v87, v84, s4
	v_cmp_eq_u32_e64 s8, 3, v79
	v_cndmask_b32_e64 v88, v69, v66, s3
	v_or_b32_e32 v77, 2, v78
	v_cndmask_b32_e64 v81, v81, v95, s7
	v_cndmask_b32_e64 v87, v87, v98, s7
	;; [unrolled: 1-line block ×4, first 2 shown]
	v_cmp_eq_u32_e64 s10, 5, v78
	v_cndmask_b32_e64 v81, v81, v71, s9
	v_cndmask_b32_e64 v87, v87, v85, s9
	v_cmp_eq_u32_e64 s11, 4, v79
	v_cndmask_b32_e64 v88, v88, v95, s8
	v_cmp_eq_u32_e64 s5, 1, v77
	v_cndmask_b32_e64 v89, v89, v84, s6
	v_cndmask_b32_e64 v81, v81, v96, s10
	v_cmp_eq_u32_e64 s12, 6, v78
	v_cndmask_b32_e64 v88, v88, v71, s11
	;; [unrolled: 3-line block ×3, first 2 shown]
	v_cndmask_b32_e64 v89, v89, v98, s8
	v_cndmask_b32_e64 v81, v81, v72, s12
	v_cmp_eq_u32_e64 s15, 7, v78
	v_cndmask_b32_e64 v88, v88, v96, s13
	v_cndmask_b32_e64 v87, v87, v86, s12
	v_cmp_eq_u32_e64 s16, 6, v79
	v_cmp_eq_u32_e64 s17, 2, v77
	v_cndmask_b32_e64 v89, v89, v85, s11
	v_cndmask_b32_e64 v101, v81, v97, s15
	;; [unrolled: 1-line block ×6, first 2 shown]
	v_cmp_eq_u32_e64 s18, 7, v79
	v_cmp_eq_u32_e64 s19, 3, v77
	v_cmp_eq_u32_e64 s20, 4, v77
	v_cmp_eq_u32_e64 s22, 5, v77
	v_cndmask_b32_e64 v87, v87, v84, s17
	v_cndmask_b32_e64 v103, v88, v97, s18
	;; [unrolled: 1-line block ×4, first 2 shown]
	v_or_b32_e32 v81, 3, v78
	v_cndmask_b32_e64 v93, v87, v98, s19
	v_cmp_eq_u32_e64 s24, 6, v77
	v_cndmask_b32_e64 v104, v88, v86, s16
	v_cndmask_b32_e64 v92, v89, v71, s20
	v_cmp_eq_u32_e64 s21, 1, v81
	ds_load_b128 v[87:90], v82 offset:1024
	v_cmp_eq_u32_e64 s23, 2, v81
	v_cmp_eq_u32_e64 s25, 3, v81
	v_cndmask_b32_e64 v105, v92, v96, s22
	v_cndmask_b32_e64 v66, v69, v66, s21
	;; [unrolled: 1-line block ×4, first 2 shown]
	ds_load_b128 v[91:94], v82 offset:1040
	v_cmp_eq_u32_e64 s26, 4, v81
	v_cndmask_b32_e64 v66, v66, v70, s23
	v_cmp_eq_u32_e64 s27, 7, v77
	v_cndmask_b32_e64 v70, v83, v84, s23
	v_cndmask_b32_e64 v84, v105, v72, s24
	v_cmp_eq_u32_e64 s28, 5, v81
	v_cndmask_b32_e64 v66, v66, v95, s25
	v_cmp_eq_u32_e64 s29, 6, v81
	v_cndmask_b32_e64 v70, v70, v98, s25
	v_cndmask_b32_e64 v69, v69, v99, s22
	;; [unrolled: 1-line block ×4, first 2 shown]
	s_waitcnt lgkmcnt(1)
	v_lshrrev_b32_e32 v95, 16, v87
	v_cndmask_b32_e64 v70, v70, v85, s26
	v_cndmask_b32_e64 v71, v84, v97, s27
	v_cndmask_b32_e64 v69, v69, v86, s24
	v_cndmask_b32_e64 v66, v66, v96, s28
	v_cndmask_b32_e32 v84, v87, v95, vcc_lo
	v_cndmask_b32_e64 v70, v70, v99, s28
	s_waitcnt lgkmcnt(0)
	v_lshrrev_b32_e32 v85, 16, v91
	v_lshrrev_b32_e32 v96, 16, v88
	v_cndmask_b32_e64 v98, v87, v95, s3
	v_cndmask_b32_e64 v84, v84, v88, s4
	;; [unrolled: 1-line block ×3, first 2 shown]
	v_cndmask_b32_e32 v99, v91, v85, vcc_lo
	v_cmp_eq_u32_e32 vcc_lo, 7, v81
	v_cndmask_b32_e64 v66, v66, v72, s29
	v_cndmask_b32_e64 v72, v84, v96, s7
	;; [unrolled: 1-line block ×3, first 2 shown]
	v_lshrrev_b32_e32 v98, 16, v92
	v_cndmask_b32_e32 v70, v70, v100, vcc_lo
	v_cndmask_b32_e64 v86, v99, v92, s4
	v_cndmask_b32_e64 v69, v69, v100, s27
	v_lshrrev_b32_e32 v100, 16, v93
	v_cndmask_b32_e64 v72, v72, v89, s9
	v_lshrrev_b32_e32 v99, 16, v89
	v_cndmask_b32_e64 v86, v86, v98, s7
	v_perm_b32 v71, v69, v71, 0x5040100
	v_cndmask_b32_e64 v84, v84, v96, s8
	s_delay_alu instid0(VALU_DEP_3) | instskip(NEXT) | instid1(VALU_DEP_2)
	v_cndmask_b32_e64 v86, v86, v93, s9
	v_cndmask_b32_e64 v84, v84, v89, s11
	s_delay_alu instid0(VALU_DEP_2) | instskip(NEXT) | instid1(VALU_DEP_1)
	v_cndmask_b32_e64 v86, v86, v100, s10
	v_cndmask_b32_e64 v69, v86, v94, s12
	;; [unrolled: 1-line block ×5, first 2 shown]
	s_delay_alu instid0(VALU_DEP_3) | instskip(NEXT) | instid1(VALU_DEP_3)
	v_cndmask_b32_e64 v86, v86, v88, s17
	v_cndmask_b32_e64 v87, v87, v88, s23
	s_delay_alu instid0(VALU_DEP_3) | instskip(NEXT) | instid1(VALU_DEP_3)
	v_cndmask_b32_e64 v88, v95, v92, s23
	v_cndmask_b32_e64 v86, v86, v96, s19
	;; [unrolled: 3-line block ×7, first 2 shown]
	s_delay_alu instid0(VALU_DEP_3) | instskip(SKIP_2) | instid1(VALU_DEP_2)
	v_cndmask_b32_e64 v88, v88, v94, s29
	v_cndmask_b32_e32 v66, v66, v97, vcc_lo
	v_cndmask_b32_e64 v97, v72, v99, s10
	v_perm_b32 v72, v70, v66, 0x5040100
	v_perm_b32 v70, v83, v103, 0x5040100
	v_cndmask_b32_e64 v103, v91, v85, s5
	v_cndmask_b32_e64 v85, v91, v85, s3
	;; [unrolled: 1-line block ×4, first 2 shown]
	v_lshrrev_b32_e32 v97, 16, v90
	v_cndmask_b32_e64 v91, v103, v92, s17
	v_cndmask_b32_e64 v85, v85, v92, s6
	;; [unrolled: 1-line block ×3, first 2 shown]
	s_mov_b32 s3, exec_lo
	v_cndmask_b32_e64 v83, v84, v97, s15
	v_cndmask_b32_e64 v91, v91, v98, s19
	;; [unrolled: 1-line block ×3, first 2 shown]
	v_lshrrev_b32_e32 v84, 16, v94
	v_cndmask_b32_e64 v66, v66, v97, s18
	v_cndmask_b32_e64 v90, v86, v97, s27
	;; [unrolled: 1-line block ×4, first 2 shown]
	v_dual_cndmask_b32 v86, v87, v97 :: v_dual_cndmask_b32 v87, v88, v84
	v_cndmask_b32_e64 v91, v69, v84, s15
	s_delay_alu instid0(VALU_DEP_4) | instskip(NEXT) | instid1(VALU_DEP_4)
	v_cndmask_b32_e64 v89, v89, v100, s22
	v_cndmask_b32_e64 v85, v85, v100, s13
	v_perm_b32 v69, v102, v101, 0x5040100
	v_perm_b32 v86, v87, v86, 0x5040100
	;; [unrolled: 1-line block ×3, first 2 shown]
	v_cndmask_b32_e64 v89, v89, v94, s24
	v_cndmask_b32_e64 v85, v85, v94, s16
	s_mul_i32 s8, s35, 11
	s_delay_alu instid0(VALU_DEP_2) | instskip(NEXT) | instid1(VALU_DEP_2)
	v_cndmask_b32_e64 v88, v89, v84, s27
	v_cndmask_b32_e64 v89, v85, v84, s18
	s_delay_alu instid0(VALU_DEP_2) | instskip(NEXT) | instid1(VALU_DEP_2)
	v_perm_b32 v85, v88, v90, 0x5040100
	v_perm_b32 v84, v89, v66, 0x5040100
	ds_store_b128 v76, v[69:72]
	ds_store_b128 v76, v[83:86] offset:1024
	v_cmpx_gt_u32_e32 11, v0
	s_cbranch_execz .LBB1816_78
; %bb.77:
	s_mul_i32 s4, s8, s30
	s_delay_alu instid0(SALU_CYCLE_1) | instskip(SKIP_1) | instid1(VALU_DEP_1)
	v_add3_u32 v69, s4, s31, v65
	s_load_b128 s[4:7], s[0:1], 0x58
	v_mad_u64_u32 v[65:66], null, v69, s34, s[14:15]
	s_delay_alu instid0(VALU_DEP_1) | instskip(NEXT) | instid1(VALU_DEP_1)
	v_ashrrev_i32_e32 v66, 31, v65
	v_lshlrev_b64 v[65:66], 2, v[65:66]
	s_waitcnt lgkmcnt(0)
	s_delay_alu instid0(VALU_DEP_1) | instskip(NEXT) | instid1(VALU_DEP_2)
	v_add_co_u32 v69, vcc_lo, s6, v65
	v_add_co_ci_u32_e32 v70, vcc_lo, s7, v66, vcc_lo
	v_add_co_u32 v65, vcc_lo, s4, v65
	v_add_co_ci_u32_e32 v66, vcc_lo, s5, v66, vcc_lo
	global_store_b32 v[69:70], v67, off
	global_store_b32 v[65:66], v68, off
.LBB1816_78:
	s_or_b32 exec_lo, exec_lo, s3
	s_waitcnt lgkmcnt(0)
	s_waitcnt_vscnt null, 0x0
	s_barrier
	buffer_gl0_inv
	ds_load_b128 v[83:86], v80
	ds_load_b128 v[87:90], v80 offset:16
	ds_load_b128 v[95:98], v80 offset:2064
	;; [unrolled: 1-line block ×3, first 2 shown]
	v_mov_b32_e32 v65, 0
	ds_load_b128 v[103:106], v80 offset:4112
	ds_load_b128 v[99:102], v80 offset:4096
	;; [unrolled: 1-line block ×4, first 2 shown]
	v_mov_b32_e32 v66, v65
	v_mov_b32_e32 v67, v65
	;; [unrolled: 1-line block ×7, first 2 shown]
	s_waitcnt lgkmcnt(6)
	s_delay_alu instid0(VALU_DEP_1)
	v_wmma_f32_16x16x16_bf16 v[65:72], v[49:56], v[83:90], v[65:72]
	ds_load_b128 v[53:56], v80 offset:8208
	ds_load_b128 v[49:52], v80 offset:8192
	s_waitcnt lgkmcnt(6)
	v_wmma_f32_16x16x16_bf16 v[65:72], v[41:48], v[91:98], v[65:72]
	ds_load_b128 v[45:48], v80 offset:10256
	ds_load_b128 v[41:44], v80 offset:10240
	s_waitcnt lgkmcnt(6)
	;; [unrolled: 4-line block ×4, first 2 shown]
	v_wmma_f32_16x16x16_bf16 v[65:72], v[1:8], v[49:56], v[65:72]
	s_waitcnt lgkmcnt(4)
	s_delay_alu instid0(VALU_DEP_1) | instskip(SKIP_1) | instid1(VALU_DEP_1)
	v_wmma_f32_16x16x16_bf16 v[65:72], v[9:16], v[41:48], v[65:72]
	s_waitcnt lgkmcnt(2)
	v_wmma_f32_16x16x16_bf16 v[65:72], v[17:24], v[33:40], v[65:72]
	s_waitcnt lgkmcnt(0)
	s_delay_alu instid0(VALU_DEP_1) | instskip(NEXT) | instid1(VALU_DEP_1)
	v_wmma_f32_16x16x16_bf16 v[65:72], v[57:64], v[25:32], v[65:72]
	v_and_b32_e32 v1, 0x7f800000, v65
	s_delay_alu instid0(VALU_DEP_1) | instskip(SKIP_1) | instid1(SALU_CYCLE_1)
	v_cmp_ne_u32_e32 vcc_lo, 0x7f800000, v1
                                        ; implicit-def: $vgpr1
	s_and_saveexec_b32 s3, vcc_lo
	s_xor_b32 s3, exec_lo, s3
; %bb.79:
	v_bfe_u32 v1, v65, 16, 1
	s_delay_alu instid0(VALU_DEP_1)
	v_add3_u32 v1, v65, v1, 0x7fff
; %bb.80:
	s_and_not1_saveexec_b32 s3, s3
; %bb.81:
	v_and_b32_e32 v1, 0xffff, v65
	v_or_b32_e32 v2, 0x10000, v65
	s_delay_alu instid0(VALU_DEP_2) | instskip(NEXT) | instid1(VALU_DEP_2)
	v_cmp_eq_u32_e32 vcc_lo, 0, v1
	v_cndmask_b32_e32 v1, v2, v65, vcc_lo
; %bb.82:
	s_or_b32 exec_lo, exec_lo, s3
	v_and_b32_e32 v2, 0x7f800000, v66
	s_delay_alu instid0(VALU_DEP_1) | instskip(SKIP_1) | instid1(SALU_CYCLE_1)
	v_cmp_ne_u32_e32 vcc_lo, 0x7f800000, v2
                                        ; implicit-def: $vgpr2
	s_and_saveexec_b32 s3, vcc_lo
	s_xor_b32 s3, exec_lo, s3
; %bb.83:
	v_bfe_u32 v2, v66, 16, 1
	s_delay_alu instid0(VALU_DEP_1)
	v_add3_u32 v2, v66, v2, 0x7fff
; %bb.84:
	s_and_not1_saveexec_b32 s3, s3
; %bb.85:
	v_and_b32_e32 v2, 0xffff, v66
	v_or_b32_e32 v3, 0x10000, v66
	s_delay_alu instid0(VALU_DEP_2) | instskip(NEXT) | instid1(VALU_DEP_2)
	v_cmp_eq_u32_e32 vcc_lo, 0, v2
	v_cndmask_b32_e32 v2, v3, v66, vcc_lo
; %bb.86:
	s_or_b32 exec_lo, exec_lo, s3
	v_and_b32_e32 v3, 0x7f800000, v67
	s_delay_alu instid0(VALU_DEP_1) | instskip(SKIP_1) | instid1(SALU_CYCLE_1)
	v_cmp_ne_u32_e32 vcc_lo, 0x7f800000, v3
                                        ; implicit-def: $vgpr3
	s_and_saveexec_b32 s3, vcc_lo
	s_xor_b32 s3, exec_lo, s3
; %bb.87:
	v_bfe_u32 v3, v67, 16, 1
	s_delay_alu instid0(VALU_DEP_1)
	v_add3_u32 v3, v67, v3, 0x7fff
; %bb.88:
	s_and_not1_saveexec_b32 s3, s3
; %bb.89:
	v_and_b32_e32 v3, 0xffff, v67
	v_or_b32_e32 v4, 0x10000, v67
	s_delay_alu instid0(VALU_DEP_2) | instskip(NEXT) | instid1(VALU_DEP_2)
	v_cmp_eq_u32_e32 vcc_lo, 0, v3
	v_cndmask_b32_e32 v3, v4, v67, vcc_lo
; %bb.90:
	s_or_b32 exec_lo, exec_lo, s3
	v_and_b32_e32 v4, 0x7f800000, v68
	s_delay_alu instid0(VALU_DEP_1) | instskip(SKIP_1) | instid1(SALU_CYCLE_1)
	v_cmp_ne_u32_e32 vcc_lo, 0x7f800000, v4
                                        ; implicit-def: $vgpr4
	s_and_saveexec_b32 s3, vcc_lo
	s_xor_b32 s3, exec_lo, s3
; %bb.91:
	v_bfe_u32 v4, v68, 16, 1
	s_delay_alu instid0(VALU_DEP_1)
	v_add3_u32 v4, v68, v4, 0x7fff
; %bb.92:
	s_and_not1_saveexec_b32 s3, s3
; %bb.93:
	v_and_b32_e32 v4, 0xffff, v68
	v_or_b32_e32 v5, 0x10000, v68
	s_delay_alu instid0(VALU_DEP_2) | instskip(NEXT) | instid1(VALU_DEP_2)
	v_cmp_eq_u32_e32 vcc_lo, 0, v4
	v_cndmask_b32_e32 v4, v5, v68, vcc_lo
; %bb.94:
	s_or_b32 exec_lo, exec_lo, s3
	v_and_b32_e32 v5, 0x7f800000, v69
	s_delay_alu instid0(VALU_DEP_1) | instskip(SKIP_1) | instid1(SALU_CYCLE_1)
	v_cmp_ne_u32_e32 vcc_lo, 0x7f800000, v5
                                        ; implicit-def: $vgpr5
	s_and_saveexec_b32 s3, vcc_lo
	s_xor_b32 s3, exec_lo, s3
; %bb.95:
	v_bfe_u32 v5, v69, 16, 1
	s_delay_alu instid0(VALU_DEP_1)
	v_add3_u32 v5, v69, v5, 0x7fff
; %bb.96:
	s_and_not1_saveexec_b32 s3, s3
; %bb.97:
	v_and_b32_e32 v5, 0xffff, v69
	v_or_b32_e32 v6, 0x10000, v69
	s_delay_alu instid0(VALU_DEP_2) | instskip(NEXT) | instid1(VALU_DEP_2)
	v_cmp_eq_u32_e32 vcc_lo, 0, v5
	v_cndmask_b32_e32 v5, v6, v69, vcc_lo
; %bb.98:
	s_or_b32 exec_lo, exec_lo, s3
	v_and_b32_e32 v6, 0x7f800000, v70
	s_delay_alu instid0(VALU_DEP_1) | instskip(SKIP_1) | instid1(SALU_CYCLE_1)
	v_cmp_ne_u32_e32 vcc_lo, 0x7f800000, v6
                                        ; implicit-def: $vgpr6
	s_and_saveexec_b32 s3, vcc_lo
	s_xor_b32 s3, exec_lo, s3
; %bb.99:
	v_bfe_u32 v6, v70, 16, 1
	s_delay_alu instid0(VALU_DEP_1)
	v_add3_u32 v6, v70, v6, 0x7fff
; %bb.100:
	s_and_not1_saveexec_b32 s3, s3
; %bb.101:
	v_and_b32_e32 v6, 0xffff, v70
	v_or_b32_e32 v7, 0x10000, v70
	s_delay_alu instid0(VALU_DEP_2) | instskip(NEXT) | instid1(VALU_DEP_2)
	v_cmp_eq_u32_e32 vcc_lo, 0, v6
	v_cndmask_b32_e32 v6, v7, v70, vcc_lo
; %bb.102:
	s_or_b32 exec_lo, exec_lo, s3
	v_and_b32_e32 v7, 0x7f800000, v71
	s_delay_alu instid0(VALU_DEP_1) | instskip(SKIP_1) | instid1(SALU_CYCLE_1)
	v_cmp_ne_u32_e32 vcc_lo, 0x7f800000, v7
                                        ; implicit-def: $vgpr7
	s_and_saveexec_b32 s3, vcc_lo
	s_xor_b32 s3, exec_lo, s3
; %bb.103:
	v_bfe_u32 v7, v71, 16, 1
	s_delay_alu instid0(VALU_DEP_1)
	v_add3_u32 v7, v71, v7, 0x7fff
; %bb.104:
	s_and_not1_saveexec_b32 s3, s3
; %bb.105:
	v_and_b32_e32 v7, 0xffff, v71
	v_or_b32_e32 v8, 0x10000, v71
	s_delay_alu instid0(VALU_DEP_2) | instskip(NEXT) | instid1(VALU_DEP_2)
	v_cmp_eq_u32_e32 vcc_lo, 0, v7
	v_cndmask_b32_e32 v7, v8, v71, vcc_lo
; %bb.106:
	s_or_b32 exec_lo, exec_lo, s3
	v_and_b32_e32 v8, 0x7f800000, v72
	s_delay_alu instid0(VALU_DEP_1) | instskip(SKIP_1) | instid1(SALU_CYCLE_1)
	v_cmp_ne_u32_e32 vcc_lo, 0x7f800000, v8
                                        ; implicit-def: $vgpr8
	s_and_saveexec_b32 s3, vcc_lo
	s_xor_b32 s3, exec_lo, s3
; %bb.107:
	v_bfe_u32 v8, v72, 16, 1
	s_delay_alu instid0(VALU_DEP_1)
	v_add3_u32 v8, v72, v8, 0x7fff
                                        ; implicit-def: $vgpr65_vgpr66_vgpr67_vgpr68_vgpr69_vgpr70_vgpr71_vgpr72
; %bb.108:
	s_and_not1_saveexec_b32 s3, s3
; %bb.109:
	v_and_b32_e32 v8, 0xffff, v72
	v_or_b32_e32 v9, 0x10000, v72
	s_delay_alu instid0(VALU_DEP_2) | instskip(NEXT) | instid1(VALU_DEP_2)
	v_cmp_eq_u32_e32 vcc_lo, 0, v8
	v_cndmask_b32_e32 v8, v9, v72, vcc_lo
; %bb.110:
	s_or_b32 exec_lo, exec_lo, s3
	s_delay_alu instid0(VALU_DEP_1)
	v_perm_b32 v7, v8, v7, 0x7060302
	v_perm_b32 v6, v6, v5, 0x7060302
	;; [unrolled: 1-line block ×4, first 2 shown]
	s_barrier
	buffer_gl0_inv
	v_cmp_eq_u32_e32 vcc_lo, 1, v78
	ds_store_b128 v76, v[4:7]
	s_waitcnt lgkmcnt(0)
	s_barrier
	buffer_gl0_inv
	ds_load_b128 v[1:4], v82
	ds_load_b128 v[5:8], v82 offset:16
	v_cmp_eq_u32_e64 s3, 1, v79
	v_cmp_eq_u32_e64 s4, 2, v78
	;; [unrolled: 1-line block ×5, first 2 shown]
	s_waitcnt lgkmcnt(1)
	v_lshrrev_b32_e32 v9, 16, v1
	s_waitcnt lgkmcnt(0)
	v_lshrrev_b32_e32 v13, 16, v5
	v_lshrrev_b32_e32 v10, 16, v2
	;; [unrolled: 1-line block ×4, first 2 shown]
	v_cndmask_b32_e64 v19, v1, v9, s3
	v_cndmask_b32_e32 v18, v5, v13, vcc_lo
	v_cndmask_b32_e64 v20, v5, v13, s3
	v_cndmask_b32_e32 v17, v1, v9, vcc_lo
	v_cmp_eq_u32_e32 vcc_lo, 2, v79
	v_lshrrev_b32_e32 v15, 16, v7
	v_cmp_eq_u32_e64 s3, 1, v77
	v_lshrrev_b32_e32 v12, 16, v4
	v_lshrrev_b32_e32 v16, 16, v8
	v_cndmask_b32_e32 v20, v20, v6, vcc_lo
	v_cndmask_b32_e64 v17, v17, v2, s4
	v_cndmask_b32_e32 v19, v19, v2, vcc_lo
	v_cndmask_b32_e64 v18, v18, v6, s4
	v_cmp_eq_u32_e32 vcc_lo, 4, v78
	v_cmp_eq_u32_e64 s4, 3, v79
	v_cndmask_b32_e64 v17, v17, v10, s5
	v_cndmask_b32_e64 v21, v1, v9, s3
	;; [unrolled: 1-line block ×5, first 2 shown]
	v_cndmask_b32_e32 v17, v17, v3, vcc_lo
	v_cndmask_b32_e64 v20, v20, v14, s4
	v_cndmask_b32_e32 v18, v18, v7, vcc_lo
	v_cmp_eq_u32_e32 vcc_lo, 4, v79
	v_cmp_eq_u32_e64 s4, 5, v79
	v_cmp_eq_u32_e64 s3, 2, v81
	v_cndmask_b32_e64 v21, v21, v2, s7
	v_cmp_eq_u32_e64 s5, 5, v78
	v_cndmask_b32_e32 v19, v19, v3, vcc_lo
	v_cndmask_b32_e32 v20, v20, v7, vcc_lo
	v_cmp_eq_u32_e32 vcc_lo, 6, v79
	s_delay_alu instid0(VALU_DEP_4) | instskip(NEXT) | instid1(VALU_DEP_4)
	v_cndmask_b32_e64 v17, v17, v11, s5
	v_cndmask_b32_e64 v19, v19, v11, s4
	s_delay_alu instid0(VALU_DEP_4) | instskip(SKIP_1) | instid1(VALU_DEP_3)
	v_cndmask_b32_e64 v20, v20, v15, s4
	v_cmp_eq_u32_e64 s4, 1, v81
	v_cndmask_b32_e32 v19, v19, v4, vcc_lo
	v_cndmask_b32_e64 v18, v18, v15, s5
	s_delay_alu instid0(VALU_DEP_3)
	v_cndmask_b32_e64 v1, v1, v9, s4
	v_cndmask_b32_e64 v5, v5, v13, s4
	v_cmp_eq_u32_e64 s4, 3, v77
	v_cndmask_b32_e64 v13, v22, v6, s7
	v_cmp_eq_u32_e64 s7, 3, v81
	v_cndmask_b32_e64 v1, v1, v2, s3
	v_cndmask_b32_e64 v2, v5, v6, s3
	;; [unrolled: 1-line block ×3, first 2 shown]
	v_cmp_eq_u32_e64 s3, 4, v77
	v_cndmask_b32_e64 v6, v13, v14, s4
	v_cndmask_b32_e64 v1, v1, v10, s7
	v_cmp_eq_u32_e64 s4, 4, v81
	v_cndmask_b32_e64 v2, v2, v14, s7
	v_cndmask_b32_e64 v5, v9, v3, s3
	;; [unrolled: 3-line block ×3, first 2 shown]
	v_cndmask_b32_e64 v2, v2, v7, s4
	v_cmp_eq_u32_e64 s3, 5, v81
	v_cmp_eq_u32_e64 s5, 6, v78
	v_cndmask_b32_e64 v5, v5, v11, s7
	v_cmp_eq_u32_e64 s4, 6, v77
	v_cndmask_b32_e64 v3, v6, v15, s7
	v_cndmask_b32_e64 v1, v1, v11, s3
	v_cmp_eq_u32_e64 s7, 6, v81
	v_cndmask_b32_e64 v2, v2, v15, s3
	v_cndmask_b32_e64 v17, v17, v4, s5
	v_cndmask_b32_e64 v18, v18, v8, s5
	v_cmp_eq_u32_e64 s5, 7, v78
	v_cndmask_b32_e64 v5, v5, v4, s4
	;; [unrolled: 4-line block ×3, first 2 shown]
	v_cmp_eq_u32_e64 s4, 7, v77
	v_cndmask_b32_e32 v4, v20, v8, vcc_lo
	v_cndmask_b32_e64 v17, v17, v12, s5
	v_cndmask_b32_e64 v19, v19, v12, s6
	;; [unrolled: 1-line block ×8, first 2 shown]
	s_mov_b32 s3, exec_lo
	v_perm_b32 v4, v2, v1, 0x5040100
	v_perm_b32 v3, v3, v5, 0x5040100
	;; [unrolled: 1-line block ×4, first 2 shown]
	ds_store_b128 v76, v[1:4]
	s_waitcnt lgkmcnt(0)
	s_barrier
	buffer_gl0_inv
	v_cmpx_gt_u32_e32 32, v0
	s_cbranch_execz .LBB1816_2
; %bb.111:
	s_load_b64 s[4:5], s[0:1], 0x68
	v_lshlrev_b32_e32 v0, 10, v0
	v_lshlrev_b32_e32 v1, 4, v75
	s_lshl_b32 s0, s34, 7
	v_add_nc_u32_e32 v7, s31, v74
	s_mul_i32 s1, s0, s30
	s_delay_alu instid0(SALU_CYCLE_1) | instskip(SKIP_1) | instid1(VALU_DEP_2)
	s_mul_i32 s6, s1, s8
	v_and_or_b32 v0, 0x3800, v0, v1
	v_mul_lo_u32 v1, v7, s0
	v_add_nc_u32_e32 v2, 2, v7
	s_ashr_i32 s7, s6, 31
	v_add_nc_u32_e32 v4, 4, v7
	s_lshl_b64 s[6:7], s[6:7], 1
	v_add_nc_u32_e32 v8, 6, v7
	v_mul_lo_u32 v3, v2, s0
	v_lshl_or_b32 v19, v74, 6, v0
	v_ashrrev_i32_e32 v2, 31, v1
	v_mul_lo_u32 v11, v4, s0
	v_mul_lo_u32 v25, v8, s0
	s_waitcnt lgkmcnt(0)
	s_add_u32 s1, s4, s6
	s_addc_u32 s3, s5, s7
	s_lshl_b32 s4, s14, 7
	v_lshlrev_b64 v[5:6], 1, v[1:2]
	s_ashr_i32 s5, s4, 31
	v_ashrrev_i32_e32 v4, 31, v3
	s_lshl_b64 s[4:5], s[4:5], 1
	v_ashrrev_i32_e32 v12, 31, v11
	s_add_u32 s1, s1, s4
	s_addc_u32 s3, s3, s5
	v_add_co_u32 v1, s1, s1, v73
	s_delay_alu instid0(VALU_DEP_1) | instskip(SKIP_1) | instid1(VALU_DEP_3)
	v_add_co_ci_u32_e64 v2, null, s3, 0, s1
	v_lshlrev_b64 v[3:4], 1, v[3:4]
	v_add_co_u32 v23, vcc_lo, v1, v5
	v_add_nc_u32_e32 v5, 8, v7
	s_delay_alu instid0(VALU_DEP_4) | instskip(NEXT) | instid1(VALU_DEP_4)
	v_add_co_ci_u32_e32 v24, vcc_lo, v2, v6, vcc_lo
	v_add_co_u32 v27, vcc_lo, v1, v3
	s_delay_alu instid0(VALU_DEP_3)
	v_mul_lo_u32 v29, v5, s0
	v_add_co_ci_u32_e32 v28, vcc_lo, v2, v4, vcc_lo
	ds_load_b128 v[3:6], v19
	ds_load_b128 v[7:10], v19 offset:128
	v_lshlrev_b64 v[31:32], 1, v[11:12]
	ds_load_b128 v[11:14], v19 offset:256
	ds_load_b128 v[15:18], v19 offset:384
	;; [unrolled: 1-line block ×3, first 2 shown]
	v_ashrrev_i32_e32 v26, 31, v25
	v_ashrrev_i32_e32 v30, 31, v29
	v_add_co_u32 v31, vcc_lo, v1, v31
	s_delay_alu instid0(VALU_DEP_3) | instskip(NEXT) | instid1(VALU_DEP_3)
	v_lshlrev_b64 v[25:26], 1, v[25:26]
	v_lshlrev_b64 v[29:30], 1, v[29:30]
	v_add_co_ci_u32_e32 v32, vcc_lo, v2, v32, vcc_lo
	s_delay_alu instid0(VALU_DEP_3) | instskip(NEXT) | instid1(VALU_DEP_4)
	v_add_co_u32 v25, vcc_lo, v1, v25
	v_add_co_ci_u32_e32 v26, vcc_lo, v2, v26, vcc_lo
	s_delay_alu instid0(VALU_DEP_4)
	v_add_co_u32 v29, vcc_lo, v1, v29
	v_add_co_ci_u32_e32 v30, vcc_lo, v2, v30, vcc_lo
	s_waitcnt lgkmcnt(4)
	global_store_b128 v[23:24], v[3:6], off
	s_waitcnt lgkmcnt(3)
	global_store_b128 v[27:28], v[7:10], off
	;; [unrolled: 2-line block ×5, first 2 shown]
	s_and_b32 exec_lo, exec_lo, s2
	s_cbranch_execz .LBB1816_2
; %bb.112:
	ds_load_b128 v[3:6], v0 offset:640
	s_add_i32 s1, s31, 10
	s_delay_alu instid0(SALU_CYCLE_1) | instskip(NEXT) | instid1(SALU_CYCLE_1)
	s_mul_i32 s0, s1, s0
	s_ashr_i32 s1, s0, 31
	s_delay_alu instid0(SALU_CYCLE_1) | instskip(NEXT) | instid1(SALU_CYCLE_1)
	s_lshl_b64 s[0:1], s[0:1], 1
	v_add_co_u32 v0, vcc_lo, v1, s0
	v_add_co_ci_u32_e32 v1, vcc_lo, s1, v2, vcc_lo
	s_waitcnt lgkmcnt(0)
	global_store_b128 v[0:1], v[3:6], off
	s_nop 0
	s_sendmsg sendmsg(MSG_DEALLOC_VGPRS)
	s_endpgm
	.section	.rodata,"a",@progbits
	.p2align	6, 0x0
	.amdhsa_kernel _Z39paged_attention_ll4mi_QKV_mfma16_kernelI14__hip_bfloat16hLN4vllm18Fp8KVCacheDataTypeE1EhLi16ELi128ELi256ELb0ELi11EL8MFMAType0EEvPKT_PKT0_S9_ifPKiSB_SB_iPKfiiiPfSE_PS4_PT2_iSD_SD_
		.amdhsa_group_segment_fixed_size 17472
		.amdhsa_private_segment_fixed_size 0
		.amdhsa_kernarg_size 400
		.amdhsa_user_sgpr_count 13
		.amdhsa_user_sgpr_dispatch_ptr 0
		.amdhsa_user_sgpr_queue_ptr 0
		.amdhsa_user_sgpr_kernarg_segment_ptr 1
		.amdhsa_user_sgpr_dispatch_id 0
		.amdhsa_user_sgpr_private_segment_size 0
		.amdhsa_wavefront_size32 1
		.amdhsa_uses_dynamic_stack 0
		.amdhsa_enable_private_segment 0
		.amdhsa_system_sgpr_workgroup_id_x 1
		.amdhsa_system_sgpr_workgroup_id_y 1
		.amdhsa_system_sgpr_workgroup_id_z 1
		.amdhsa_system_sgpr_workgroup_info 0
		.amdhsa_system_vgpr_workitem_id 0
		.amdhsa_next_free_vgpr 140
		.amdhsa_next_free_sgpr 36
		.amdhsa_reserve_vcc 1
		.amdhsa_float_round_mode_32 0
		.amdhsa_float_round_mode_16_64 0
		.amdhsa_float_denorm_mode_32 3
		.amdhsa_float_denorm_mode_16_64 3
		.amdhsa_dx10_clamp 1
		.amdhsa_ieee_mode 1
		.amdhsa_fp16_overflow 0
		.amdhsa_workgroup_processor_mode 1
		.amdhsa_memory_ordered 1
		.amdhsa_forward_progress 0
		.amdhsa_shared_vgpr_count 0
		.amdhsa_exception_fp_ieee_invalid_op 0
		.amdhsa_exception_fp_denorm_src 0
		.amdhsa_exception_fp_ieee_div_zero 0
		.amdhsa_exception_fp_ieee_overflow 0
		.amdhsa_exception_fp_ieee_underflow 0
		.amdhsa_exception_fp_ieee_inexact 0
		.amdhsa_exception_int_div_zero 0
	.end_amdhsa_kernel
	.section	.text._Z39paged_attention_ll4mi_QKV_mfma16_kernelI14__hip_bfloat16hLN4vllm18Fp8KVCacheDataTypeE1EhLi16ELi128ELi256ELb0ELi11EL8MFMAType0EEvPKT_PKT0_S9_ifPKiSB_SB_iPKfiiiPfSE_PS4_PT2_iSD_SD_,"axG",@progbits,_Z39paged_attention_ll4mi_QKV_mfma16_kernelI14__hip_bfloat16hLN4vllm18Fp8KVCacheDataTypeE1EhLi16ELi128ELi256ELb0ELi11EL8MFMAType0EEvPKT_PKT0_S9_ifPKiSB_SB_iPKfiiiPfSE_PS4_PT2_iSD_SD_,comdat
.Lfunc_end1816:
	.size	_Z39paged_attention_ll4mi_QKV_mfma16_kernelI14__hip_bfloat16hLN4vllm18Fp8KVCacheDataTypeE1EhLi16ELi128ELi256ELb0ELi11EL8MFMAType0EEvPKT_PKT0_S9_ifPKiSB_SB_iPKfiiiPfSE_PS4_PT2_iSD_SD_, .Lfunc_end1816-_Z39paged_attention_ll4mi_QKV_mfma16_kernelI14__hip_bfloat16hLN4vllm18Fp8KVCacheDataTypeE1EhLi16ELi128ELi256ELb0ELi11EL8MFMAType0EEvPKT_PKT0_S9_ifPKiSB_SB_iPKfiiiPfSE_PS4_PT2_iSD_SD_
                                        ; -- End function
	.section	.AMDGPU.csdata,"",@progbits
; Kernel info:
; codeLenInByte = 9004
; NumSgprs: 38
; NumVgprs: 140
; ScratchSize: 0
; MemoryBound: 0
; FloatMode: 240
; IeeeMode: 1
; LDSByteSize: 17472 bytes/workgroup (compile time only)
; SGPRBlocks: 4
; VGPRBlocks: 17
; NumSGPRsForWavesPerEU: 38
; NumVGPRsForWavesPerEU: 140
; Occupancy: 10
; WaveLimiterHint : 1
; COMPUTE_PGM_RSRC2:SCRATCH_EN: 0
; COMPUTE_PGM_RSRC2:USER_SGPR: 13
; COMPUTE_PGM_RSRC2:TRAP_HANDLER: 0
; COMPUTE_PGM_RSRC2:TGID_X_EN: 1
; COMPUTE_PGM_RSRC2:TGID_Y_EN: 1
; COMPUTE_PGM_RSRC2:TGID_Z_EN: 1
; COMPUTE_PGM_RSRC2:TIDIG_COMP_CNT: 0
	.section	.text._Z39paged_attention_ll4mi_QKV_mfma16_kernelI14__hip_bfloat16hLN4vllm18Fp8KVCacheDataTypeE1EhLi16ELi128ELi256ELb0ELi12EL8MFMAType0EEvPKT_PKT0_S9_ifPKiSB_SB_iPKfiiiPfSE_PS4_PT2_iSD_SD_,"axG",@progbits,_Z39paged_attention_ll4mi_QKV_mfma16_kernelI14__hip_bfloat16hLN4vllm18Fp8KVCacheDataTypeE1EhLi16ELi128ELi256ELb0ELi12EL8MFMAType0EEvPKT_PKT0_S9_ifPKiSB_SB_iPKfiiiPfSE_PS4_PT2_iSD_SD_,comdat
	.protected	_Z39paged_attention_ll4mi_QKV_mfma16_kernelI14__hip_bfloat16hLN4vllm18Fp8KVCacheDataTypeE1EhLi16ELi128ELi256ELb0ELi12EL8MFMAType0EEvPKT_PKT0_S9_ifPKiSB_SB_iPKfiiiPfSE_PS4_PT2_iSD_SD_ ; -- Begin function _Z39paged_attention_ll4mi_QKV_mfma16_kernelI14__hip_bfloat16hLN4vllm18Fp8KVCacheDataTypeE1EhLi16ELi128ELi256ELb0ELi12EL8MFMAType0EEvPKT_PKT0_S9_ifPKiSB_SB_iPKfiiiPfSE_PS4_PT2_iSD_SD_
	.globl	_Z39paged_attention_ll4mi_QKV_mfma16_kernelI14__hip_bfloat16hLN4vllm18Fp8KVCacheDataTypeE1EhLi16ELi128ELi256ELb0ELi12EL8MFMAType0EEvPKT_PKT0_S9_ifPKiSB_SB_iPKfiiiPfSE_PS4_PT2_iSD_SD_
	.p2align	8
	.type	_Z39paged_attention_ll4mi_QKV_mfma16_kernelI14__hip_bfloat16hLN4vllm18Fp8KVCacheDataTypeE1EhLi16ELi128ELi256ELb0ELi12EL8MFMAType0EEvPKT_PKT0_S9_ifPKiSB_SB_iPKfiiiPfSE_PS4_PT2_iSD_SD_,@function
_Z39paged_attention_ll4mi_QKV_mfma16_kernelI14__hip_bfloat16hLN4vllm18Fp8KVCacheDataTypeE1EhLi16ELi128ELi256ELb0ELi12EL8MFMAType0EEvPKT_PKT0_S9_ifPKiSB_SB_iPKfiiiPfSE_PS4_PT2_iSD_SD_: ; @_Z39paged_attention_ll4mi_QKV_mfma16_kernelI14__hip_bfloat16hLN4vllm18Fp8KVCacheDataTypeE1EhLi16ELi128ELi256ELb0ELi12EL8MFMAType0EEvPKT_PKT0_S9_ifPKiSB_SB_iPKfiiiPfSE_PS4_PT2_iSD_SD_
; %bb.0:
	s_load_b64 s[4:5], s[0:1], 0x30
	s_mov_b32 s30, s13
	s_waitcnt lgkmcnt(0)
	s_cmp_lg_u64 s[4:5], 0
	s_cselect_b32 s13, -1, 0
	s_ashr_i32 s31, s30, 31
	s_cmp_eq_u64 s[4:5], 0
	s_cbranch_scc1 .LBB1817_3
; %bb.1:
	s_lshl_b64 s[2:3], s[30:31], 2
	s_delay_alu instid0(SALU_CYCLE_1) | instskip(SKIP_4) | instid1(SALU_CYCLE_1)
	s_add_u32 s2, s4, s2
	s_addc_u32 s3, s5, s3
	s_load_b64 s[2:3], s[2:3], 0x0
	s_waitcnt lgkmcnt(0)
	s_sub_i32 s2, s3, s2
	s_cmp_eq_u32 s2, 1
	s_cselect_b32 s2, -1, 0
	s_delay_alu instid0(SALU_CYCLE_1)
	s_and_not1_b32 vcc_lo, exec_lo, s2
	s_cbranch_vccz .LBB1817_4
.LBB1817_2:
	s_endpgm
.LBB1817_3:
.LBB1817_4:
	s_load_b64 s[2:3], s[0:1], 0x28
	s_lshl_b64 s[6:7], s[30:31], 2
	s_waitcnt lgkmcnt(0)
	s_add_u32 s2, s2, s6
	s_addc_u32 s3, s3, s7
	s_lshl_b32 s12, s14, 8
	s_load_b32 s17, s[2:3], 0x0
	s_waitcnt lgkmcnt(0)
	s_cmp_ge_i32 s12, s17
	s_cbranch_scc1 .LBB1817_2
; %bb.5:
	s_clause 0x1
	s_load_b128 s[8:11], s[0:1], 0x8
	s_load_b64 s[2:3], s[0:1], 0x20
	s_and_not1_b32 vcc_lo, exec_lo, s13
	s_cbranch_vccnz .LBB1817_7
; %bb.6:
	s_add_u32 s4, s4, s6
	s_addc_u32 s5, s5, s7
	s_load_b32 s13, s[4:5], 0x0
	s_branch .LBB1817_8
.LBB1817_7:
	s_mov_b32 s13, s30
.LBB1817_8:
	s_load_b128 s[4:7], s[0:1], 0x48
	v_and_b32_e32 v65, 15, v0
	v_lshrrev_b32_e32 v66, 5, v0
	v_and_b32_e32 v67, 31, v0
	v_and_b32_e32 v75, 1, v0
	v_bfe_u32 v74, v0, 4, 1
	v_lshlrev_b32_e32 v1, 3, v65
	s_mul_i32 s29, s15, 12
	s_waitcnt lgkmcnt(0)
	s_mov_b32 s7, exec_lo
	s_delay_alu instid0(VALU_DEP_1)
	v_lshlrev_b32_e32 v73, 1, v1
	v_cmpx_gt_u32_e32 0xc0, v0
	s_cbranch_execz .LBB1817_10
; %bb.9:
	s_load_b64 s[18:19], s[0:1], 0x0
	v_lshl_or_b32 v5, v66, 1, v74
	s_mul_hi_i32 s21, s13, s4
	s_mul_i32 s20, s13, s4
	v_lshlrev_b32_e32 v6, 10, v65
	s_lshl_b64 s[20:21], s[20:21], 1
	v_add_lshl_u32 v1, v5, s29, 7
	v_lshlrev_b32_e32 v5, 6, v5
	v_lshlrev_b32_e32 v7, 10, v75
	v_and_b32_e32 v6, 0x3800, v6
	s_delay_alu instid0(VALU_DEP_4) | instskip(NEXT) | instid1(VALU_DEP_2)
	v_ashrrev_i32_e32 v2, 31, v1
	v_or3_b32 v5, v6, v7, v5
	s_delay_alu instid0(VALU_DEP_2) | instskip(SKIP_3) | instid1(VALU_DEP_1)
	v_lshlrev_b64 v[1:2], 1, v[1:2]
	s_waitcnt lgkmcnt(0)
	s_add_u32 s4, s18, s20
	s_addc_u32 s13, s19, s21
	v_add_co_u32 v1, vcc_lo, s4, v1
	s_delay_alu instid0(VALU_DEP_2) | instskip(NEXT) | instid1(VALU_DEP_2)
	v_add_co_ci_u32_e32 v2, vcc_lo, s13, v2, vcc_lo
	v_add_co_u32 v1, vcc_lo, v1, v73
	s_delay_alu instid0(VALU_DEP_2)
	v_add_co_ci_u32_e32 v2, vcc_lo, 0, v2, vcc_lo
	global_load_b128 v[1:4], v[1:2], off
	s_waitcnt vmcnt(0)
	ds_store_b128 v5, v[1:4]
.LBB1817_10:
	s_or_b32 exec_lo, exec_lo, s7
	v_and_b32_e32 v1, 0xef, v0
	s_add_i32 s4, s17, 15
	s_clause 0x1
	s_load_b32 s7, s[0:1], 0x38
	s_load_b32 s18, s[0:1], 0x1c
	s_ashr_i32 s13, s4, 31
	v_add_nc_u32_e32 v1, s12, v1
	s_lshr_b32 s13, s13, 28
	s_waitcnt lgkmcnt(0)
	s_add_i32 s4, s4, s13
	s_barrier
	v_ashrrev_i32_e32 v2, 31, v1
	v_or_b32_e32 v3, 16, v1
	s_ashr_i32 s4, s4, 4
	v_cmp_gt_i32_e32 vcc_lo, s17, v1
	s_add_i32 s4, s4, -1
	v_lshrrev_b32_e32 v2, 28, v2
	buffer_gl0_inv
	s_mul_i32 s15, s15, s6
	v_add_nc_u32_e32 v4, v1, v2
	s_mul_i32 s20, s30, s7
	s_delay_alu instid0(SALU_CYCLE_1) | instskip(NEXT) | instid1(VALU_DEP_1)
	s_ashr_i32 s21, s20, 31
	v_ashrrev_i32_e32 v4, 4, v4
	v_add_nc_u32_e32 v2, v3, v2
	s_lshl_b64 s[20:21], s[20:21], 2
	s_delay_alu instid0(SALU_CYCLE_1) | instskip(NEXT) | instid1(VALU_DEP_2)
	s_add_u32 s13, s2, s20
	v_cndmask_b32_e32 v1, s4, v4, vcc_lo
	s_delay_alu instid0(VALU_DEP_2)
	v_ashrrev_i32_e32 v2, 4, v2
	v_cmp_gt_i32_e32 vcc_lo, s17, v3
	s_addc_u32 s16, s3, s21
	s_ashr_i32 s19, s15, 31
	s_add_u32 s26, s8, s15
	s_addc_u32 s27, s9, s19
	v_cndmask_b32_e32 v3, s4, v2, vcc_lo
	v_ashrrev_i32_e32 v2, 31, v1
	s_lshl_b32 s2, s14, 4
	s_delay_alu instid0(SALU_CYCLE_1) | instskip(NEXT) | instid1(VALU_DEP_2)
	s_ashr_i32 s3, s2, 31
	v_ashrrev_i32_e32 v4, 31, v3
	s_delay_alu instid0(VALU_DEP_2) | instskip(SKIP_1) | instid1(SALU_CYCLE_1)
	v_lshlrev_b64 v[1:2], 2, v[1:2]
	s_lshl_b64 s[2:3], s[2:3], 2
	s_add_u32 s2, s13, s2
	s_delay_alu instid0(VALU_DEP_2) | instskip(SKIP_1) | instid1(VALU_DEP_2)
	v_lshlrev_b64 v[3:4], 2, v[3:4]
	s_addc_u32 s3, s16, s3
	v_add_co_u32 v1, vcc_lo, s13, v1
	v_add_co_ci_u32_e32 v2, vcc_lo, s16, v2, vcc_lo
	s_delay_alu instid0(VALU_DEP_3) | instskip(NEXT) | instid1(VALU_DEP_4)
	v_add_co_u32 v3, vcc_lo, s13, v3
	v_add_co_ci_u32_e32 v4, vcc_lo, s16, v4, vcc_lo
	s_clause 0x1
	global_load_b32 v5, v[1:2], off
	global_load_b32 v3, v[3:4], off
	s_or_b32 s6, s12, 32
	v_cmp_gt_u32_e32 vcc_lo, 12, v65
	s_ashr_i32 s7, s6, 4
	s_cmp_lt_i32 s6, s17
	s_cselect_b32 s6, s7, s4
	s_delay_alu instid0(SALU_CYCLE_1) | instskip(NEXT) | instid1(SALU_CYCLE_1)
	s_ashr_i32 s7, s6, 31
	s_lshl_b64 s[6:7], s[6:7], 2
	s_delay_alu instid0(SALU_CYCLE_1) | instskip(SKIP_2) | instid1(SALU_CYCLE_1)
	s_add_u32 s6, s13, s6
	s_addc_u32 s7, s16, s7
	s_or_b32 s8, s12, 64
	s_ashr_i32 s9, s8, 4
	s_cmp_lt_i32 s8, s17
	s_cselect_b32 s8, s9, s4
	s_delay_alu instid0(SALU_CYCLE_1) | instskip(NEXT) | instid1(SALU_CYCLE_1)
	s_ashr_i32 s9, s8, 31
	s_lshl_b64 s[8:9], s[8:9], 2
	s_delay_alu instid0(SALU_CYCLE_1) | instskip(SKIP_2) | instid1(SALU_CYCLE_1)
	s_add_u32 s8, s13, s8
	s_addc_u32 s9, s16, s9
	s_or_b32 s20, s12, 0x60
	;; [unrolled: 10-line block ×4, first 2 shown]
	s_ashr_i32 s25, s24, 4
	s_cmp_lt_i32 s24, s17
	s_cselect_b32 s24, s25, s4
	s_delay_alu instid0(SALU_CYCLE_1) | instskip(NEXT) | instid1(SALU_CYCLE_1)
	s_ashr_i32 s25, s24, 31
	s_lshl_b64 s[24:25], s[24:25], 2
	s_delay_alu instid0(SALU_CYCLE_1)
	s_add_u32 s24, s13, s24
	s_addc_u32 s25, s16, s25
	s_clause 0x5
	s_load_b32 s28, s[2:3], 0x0
	s_load_b32 s31, s[6:7], 0x0
	;; [unrolled: 1-line block ×6, first 2 shown]
	s_mov_b32 s20, 0
	s_or_b32 s2, s12, 0xc0
	s_mov_b32 s21, s20
	s_mov_b32 s22, s20
	;; [unrolled: 1-line block ×5, first 2 shown]
	v_lshlrev_b32_e32 v1, 4, v0
	s_ashr_i32 s3, s2, 4
	s_cmp_lt_i32 s2, s17
	s_cselect_b32 s2, s3, s4
	s_delay_alu instid0(VALU_DEP_1) | instskip(SKIP_1) | instid1(SALU_CYCLE_1)
	v_and_b32_e32 v1, 0xf0, v1
	s_ashr_i32 s3, s2, 31
	s_lshl_b64 s[2:3], s[2:3], 2
	s_delay_alu instid0(VALU_DEP_1) | instskip(NEXT) | instid1(VALU_DEP_1)
	v_add_co_u32 v1, s26, s26, v1
	v_add_co_ci_u32_e64 v2, null, s27, 0, s26
	s_add_u32 s2, s13, s2
	s_addc_u32 s3, s16, s3
	s_or_b32 s6, s12, 0xe0
	s_mov_b32 s27, s20
	s_ashr_i32 s7, s6, 4
	s_cmp_lt_i32 s6, s17
	s_mov_b32 s26, s20
	v_dual_mov_b32 v107, s27 :: v_dual_mov_b32 v100, s20
	s_cselect_b32 s6, s7, s4
	v_mov_b32_e32 v106, s26
	s_ashr_i32 s7, s6, 31
	v_mov_b32_e32 v104, s24
	s_lshl_b64 s[6:7], s[6:7], 2
	v_dual_mov_b32 v103, s23 :: v_dual_mov_b32 v102, s22
	v_mov_b32_e32 v101, s21
	s_waitcnt vmcnt(1)
	v_mad_i64_i32 v[33:34], null, v5, s5, v[1:2]
	s_waitcnt vmcnt(0)
	v_mad_i64_i32 v[35:36], null, v3, s5, v[1:2]
	s_clause 0xf
	global_load_b128 v[1:4], v[33:34], off
	global_load_b128 v[5:8], v[33:34], off offset:256
	global_load_b128 v[9:12], v[35:36], off
	global_load_b128 v[13:16], v[35:36], off offset:256
	global_load_b128 v[17:20], v[33:34], off offset:512
	;; [unrolled: 1-line block ×13, first 2 shown]
	v_add_nc_u32_e32 v33, -12, v65
	v_lshlrev_b32_e32 v34, 4, v65
	s_delay_alu instid0(VALU_DEP_2) | instskip(SKIP_1) | instid1(VALU_DEP_3)
	v_cndmask_b32_e32 v33, v33, v65, vcc_lo
	v_mov_b32_e32 v105, s25
	v_lshl_or_b32 v41, v66, 8, v34
	s_delay_alu instid0(VALU_DEP_3)
	v_lshlrev_b32_e32 v72, 6, v33
	ds_load_b128 v[33:36], v72
	ds_load_b128 v[37:40], v72 offset:1024
	ds_load_b128 v[108:111], v72 offset:2048
	;; [unrolled: 1-line block ×3, first 2 shown]
	s_load_b32 s4, s[2:3], 0x0
	s_add_u32 s2, s13, s6
	s_addc_u32 s3, s16, s7
	ds_load_b128 v[116:119], v72 offset:4096
	ds_load_b128 v[120:123], v72 offset:5120
	s_load_b32 s2, s[2:3], 0x0
	s_add_u32 s6, s10, s15
	s_addc_u32 s7, s11, s19
	v_add_co_u32 v68, s6, s6, v41
	s_delay_alu instid0(VALU_DEP_1) | instskip(SKIP_1) | instid1(VALU_DEP_1)
	v_add_co_ci_u32_e64 v69, null, s7, 0, s6
	s_waitcnt lgkmcnt(0)
	v_mad_i64_i32 v[41:42], null, s28, s5, v[68:69]
	v_mad_i64_i32 v[70:71], null, s8, s5, v[68:69]
	;; [unrolled: 1-line block ×7, first 2 shown]
	s_clause 0x3
	global_load_b128 v[49:52], v[41:42], off
	global_load_b128 v[53:56], v[41:42], off offset:16
	global_load_b128 v[41:44], v[45:46], off
	global_load_b128 v[45:48], v[45:46], off offset:16
	s_waitcnt vmcnt(18)
	v_wmma_f32_16x16x16_bf16 v[124:131], v[1:8], v[33:40], v[100:107]
	s_waitcnt vmcnt(16)
	v_wmma_f32_16x16x16_bf16 v[100:107], v[9:16], v[33:40], v[100:107]
	s_clause 0x1
	global_load_b128 v[33:36], v[70:71], off
	global_load_b128 v[37:40], v[70:71], off offset:16
	v_mad_i64_i32 v[70:71], null, s2, s5, v[68:69]
	s_waitcnt vmcnt(16)
	v_wmma_f32_16x16x16_bf16 v[124:131], v[17:24], v[108:115], v[124:131]
	s_waitcnt vmcnt(14)
	v_wmma_f32_16x16x16_bf16 v[100:107], v[25:32], v[108:115], v[100:107]
	s_clause 0x7
	global_load_b128 v[25:28], v[132:133], off
	global_load_b128 v[29:32], v[132:133], off offset:16
	global_load_b128 v[1:4], v[134:135], off
	global_load_b128 v[5:8], v[134:135], off offset:16
	;; [unrolled: 2-line block ×4, first 2 shown]
	s_waitcnt vmcnt(20)
	v_wmma_f32_16x16x16_bf16 v[124:131], v[57:64], v[116:123], v[124:131]
	s_clause 0x1
	global_load_b128 v[57:60], v[70:71], off
	global_load_b128 v[61:64], v[70:71], off offset:16
	s_waitcnt vmcnt(20)
	v_wmma_f32_16x16x16_bf16 v[100:107], v[76:83], v[116:123], v[100:107]
	ds_load_b128 v[76:79], v72 offset:6144
	ds_load_b128 v[80:83], v72 offset:7168
	v_and_b32_e32 v68, 0xe0, v0
	v_mbcnt_lo_u32_b32 v69, -1, 0
	s_waitcnt vmcnt(0) lgkmcnt(0)
	s_barrier
	buffer_gl0_inv
	v_add_nc_u32_e32 v68, s12, v68
	v_xor_b32_e32 v70, 16, v69
	s_delay_alu instid0(VALU_DEP_2) | instskip(NEXT) | instid1(VALU_DEP_2)
	v_or_b32_e32 v68, v68, v74
	v_cmp_gt_i32_e32 vcc_lo, 32, v70
	s_delay_alu instid0(VALU_DEP_2)
	v_or_b32_e32 v71, 4, v68
	v_or_b32_e32 v72, 6, v68
	v_cmp_gt_i32_e64 s2, s17, v68
	v_or_b32_e32 v108, 8, v68
	v_wmma_f32_16x16x16_bf16 v[124:131], v[84:91], v[76:83], v[124:131]
	v_cndmask_b32_e32 v69, v69, v70, vcc_lo
	v_or_b32_e32 v70, 2, v68
	v_wmma_f32_16x16x16_bf16 v[100:107], v[92:99], v[76:83], v[100:107]
	v_or_b32_e32 v109, 10, v68
	v_dual_mul_f32 v82, s18, v127 :: v_dual_mul_f32 v79, s18, v130
	v_dual_mul_f32 v92, s18, v125 :: v_dual_mul_f32 v93, s18, v124
	s_delay_alu instid0(VALU_DEP_4)
	v_mul_f32_e32 v98, s18, v103
	v_cmp_gt_i32_e32 vcc_lo, s17, v70
	v_or_b32_e32 v89, 22, v68
	v_dual_mul_f32 v83, s18, v126 :: v_dual_mul_f32 v96, s18, v105
	v_cndmask_b32_e64 v93, 0xff7fffff, v93, s2
	v_cndmask_b32_e32 v92, 0xff7fffff, v92, vcc_lo
	v_cmp_gt_i32_e64 s3, s17, v71
	v_cmp_gt_i32_e64 s4, s17, v72
	v_or_b32_e32 v84, 12, v68
	v_or_b32_e32 v85, 14, v68
	v_dual_mul_f32 v80, s18, v129 :: v_dual_mul_f32 v81, s18, v128
	v_mul_f32_e32 v94, s18, v107
	v_cndmask_b32_e64 v71, 0xff7fffff, v83, s3
	v_cndmask_b32_e64 v72, 0xff7fffff, v82, s4
	v_cmp_gt_i32_e64 s5, s17, v108
	v_cmp_gt_i32_e64 s6, s17, v109
	;; [unrolled: 1-line block ×3, first 2 shown]
	v_lshlrev_b32_e32 v89, 2, v69
	v_max3_f32 v82, v93, 0xff7fffff, v92
	v_or_b32_e32 v86, 16, v68
	v_or_b32_e32 v87, 18, v68
	v_mul_f32_e32 v78, s18, v131
	v_cndmask_b32_e64 v81, 0xff7fffff, v81, s5
	v_cndmask_b32_e64 v80, 0xff7fffff, v80, s6
	v_max3_f32 v71, v82, v71, v72
	v_cmp_gt_i32_e64 s7, s17, v84
	v_cmp_gt_i32_e64 s8, s17, v85
	v_or_b32_e32 v88, 20, v68
	v_or_b32_e32 v90, 24, v68
	;; [unrolled: 1-line block ×5, first 2 shown]
	v_dual_mul_f32 v95, s18, v106 :: v_dual_mul_f32 v70, s18, v101
	v_dual_mul_f32 v99, s18, v102 :: v_dual_mul_f32 v68, s18, v100
	v_cndmask_b32_e64 v72, 0xff7fffff, v79, s7
	v_cndmask_b32_e64 v78, 0xff7fffff, v78, s8
	v_max3_f32 v71, v71, v81, v80
	v_cmp_gt_i32_e64 s9, s17, v86
	v_cmp_gt_i32_e64 s10, s17, v87
	;; [unrolled: 1-line block ×3, first 2 shown]
	v_mul_f32_e32 v97, s18, v104
	v_max3_f32 v71, v71, v72, v78
	v_cndmask_b32_e64 v68, 0xff7fffff, v68, s9
	v_cndmask_b32_e64 v70, 0xff7fffff, v70, s10
	;; [unrolled: 1-line block ×4, first 2 shown]
	v_cmp_gt_i32_e64 s13, s17, v90
	v_cmp_gt_i32_e64 s15, s17, v91
	v_max3_f32 v68, v71, v68, v70
	v_cmp_gt_i32_e64 s16, s17, v76
	v_cmp_gt_i32_e64 s17, s17, v77
	v_cndmask_b32_e64 v70, 0xff7fffff, v97, s13
	v_cndmask_b32_e64 v71, 0xff7fffff, v96, s15
	v_max3_f32 v68, v68, v72, v78
	v_cndmask_b32_e64 v72, 0xff7fffff, v95, s16
	v_cndmask_b32_e64 v76, 0xff7fffff, v94, s17
	s_delay_alu instid0(VALU_DEP_3) | instskip(NEXT) | instid1(VALU_DEP_1)
	v_max3_f32 v68, v68, v70, v71
	v_max3_f32 v68, v68, v72, v76
	ds_bpermute_b32 v69, v89, v68
	s_waitcnt lgkmcnt(0)
	v_max_f32_e32 v69, v69, v69
	s_delay_alu instid0(VALU_DEP_1) | instskip(NEXT) | instid1(VALU_DEP_1)
	v_max_f32_e32 v68, v68, v69
	v_fma_f32 v69, s18, v124, -v68
	v_fma_f32 v70, s18, v125, -v68
	;; [unrolled: 1-line block ×5, first 2 shown]
	s_delay_alu instid0(VALU_DEP_4) | instskip(NEXT) | instid1(VALU_DEP_4)
	v_dual_mul_f32 v69, 0x3fb8aa3b, v69 :: v_dual_mul_f32 v70, 0x3fb8aa3b, v70
	v_mul_f32_e32 v72, 0x3fb8aa3b, v72
	v_fma_f32 v78, s18, v130, -v68
	s_delay_alu instid0(VALU_DEP_4) | instskip(NEXT) | instid1(VALU_DEP_4)
	v_mul_f32_e32 v77, 0x3fb8aa3b, v76
	v_exp_f32_e32 v69, v69
	v_exp_f32_e32 v70, v70
	v_mul_f32_e32 v71, 0x3fb8aa3b, v71
	v_exp_f32_e32 v72, v72
	v_mul_f32_e32 v78, 0x3fb8aa3b, v78
	v_exp_f32_e32 v77, v77
	v_fma_f32 v81, s18, v105, -v68
	s_delay_alu instid0(VALU_DEP_2)
	v_exp_f32_e32 v78, v78
	v_cndmask_b32_e64 v80, 0, v69, s2
	v_cndmask_b32_e32 v76, 0, v70, vcc_lo
	v_exp_f32_e32 v71, v71
	v_fma_f32 v69, s18, v129, -v68
	v_cndmask_b32_e64 v85, 0, v72, s4
	v_add_f32_e32 v70, 0, v80
	s_delay_alu instid0(TRANS32_DEP_3)
	v_cndmask_b32_e64 v86, 0, v77, s5
	v_fma_f32 v77, s18, v101, -v68
	v_mul_f32_e32 v69, 0x3fb8aa3b, v69
	v_fma_f32 v72, s18, v100, -v68
	v_cndmask_b32_e64 v84, 0, v78, s7
	v_fma_f32 v78, s18, v103, -v68
	v_cndmask_b32_e64 v83, 0, v71, s3
	v_fma_f32 v71, s18, v131, -v68
	v_add_f32_e32 v70, v70, v76
	v_exp_f32_e32 v69, v69
	v_mul_f32_e32 v77, 0x3fb8aa3b, v77
	v_mul_f32_e32 v81, 0x3fb8aa3b, v81
	v_mul_f32_e32 v71, 0x3fb8aa3b, v71
	v_add_f32_e32 v70, v70, v83
	s_mov_b32 s2, exec_lo
	v_exp_f32_e32 v77, v77
	v_exp_f32_e32 v81, v81
	v_exp_f32_e32 v71, v71
	v_cndmask_b32_e64 v87, 0, v69, s6
	v_add_f32_e32 v70, v70, v85
	s_delay_alu instid0(VALU_DEP_1) | instskip(SKIP_1) | instid1(VALU_DEP_2)
	v_dual_mul_f32 v72, 0x3fb8aa3b, v72 :: v_dual_add_f32 v69, v70, v86
	v_fma_f32 v70, s18, v102, -v68
	v_exp_f32_e32 v72, v72
	s_waitcnt_depctr 0xfff
	v_cndmask_b32_e64 v88, 0, v71, s8
	v_fma_f32 v71, s18, v104, -v68
	v_dual_add_f32 v69, v69, v87 :: v_dual_mul_f32 v70, 0x3fb8aa3b, v70
	s_delay_alu instid0(VALU_DEP_2) | instskip(NEXT) | instid1(VALU_DEP_2)
	v_dual_mul_f32 v78, 0x3fb8aa3b, v78 :: v_dual_mul_f32 v71, 0x3fb8aa3b, v71
	v_add_f32_e32 v69, v69, v84
	s_delay_alu instid0(VALU_DEP_3) | instskip(SKIP_1) | instid1(VALU_DEP_3)
	v_exp_f32_e32 v79, v70
	v_cndmask_b32_e64 v70, 0, v72, s9
	v_exp_f32_e32 v78, v78
	v_exp_f32_e32 v82, v71
	v_add_f32_e32 v72, v69, v88
	v_cndmask_b32_e64 v69, 0, v77, s10
	v_fma_f32 v77, s18, v106, -v68
	s_delay_alu instid0(VALU_DEP_3) | instskip(NEXT) | instid1(TRANS32_DEP_3)
	v_add_f32_e32 v72, v72, v70
	v_cndmask_b32_e64 v71, 0, v79, s11
	s_delay_alu instid0(VALU_DEP_3) | instskip(NEXT) | instid1(VALU_DEP_3)
	v_mul_f32_e32 v77, 0x3fb8aa3b, v77
	v_add_f32_e32 v79, v72, v69
	s_delay_alu instid0(TRANS32_DEP_2) | instskip(NEXT) | instid1(VALU_DEP_3)
	v_cndmask_b32_e64 v72, 0, v78, s12
	v_exp_f32_e32 v90, v77
	v_cndmask_b32_e64 v77, 0, v82, s13
	s_delay_alu instid0(VALU_DEP_3) | instskip(SKIP_1) | instid1(VALU_DEP_1)
	v_add_f32_e32 v78, v79, v71
	v_fma_f32 v79, s18, v107, -v68
	v_dual_add_f32 v82, v78, v72 :: v_dual_mul_f32 v79, 0x3fb8aa3b, v79
	v_cndmask_b32_e64 v78, 0, v81, s15
	s_delay_alu instid0(VALU_DEP_2) | instskip(NEXT) | instid1(VALU_DEP_3)
	v_add_f32_e32 v81, v82, v77
	v_exp_f32_e32 v82, v79
	s_delay_alu instid0(TRANS32_DEP_2) | instskip(NEXT) | instid1(VALU_DEP_2)
	v_cndmask_b32_e64 v79, 0, v90, s16
	v_add_f32_e32 v81, v81, v78
	s_delay_alu instid0(VALU_DEP_1) | instskip(SKIP_2) | instid1(VALU_DEP_1)
	v_add_f32_e32 v90, v81, v79
	s_waitcnt_depctr 0xfff
	v_cndmask_b32_e64 v81, 0, v82, s17
	v_add_f32_e32 v82, v90, v81
	ds_bpermute_b32 v89, v89, v82
	v_cmpx_gt_u32_e32 16, v67
	s_cbranch_execz .LBB1817_12
; %bb.11:
	v_mul_u32_u24_e32 v67, 0x44, v66
	s_delay_alu instid0(VALU_DEP_1) | instskip(SKIP_1) | instid1(VALU_DEP_1)
	v_lshl_add_u32 v67, v65, 2, v67
	s_waitcnt lgkmcnt(0)
	v_dual_add_f32 v82, v82, v89 :: v_dual_add_nc_u32 v67, 0x4000, v67
	ds_store_2addr_b32 v67, v68, v82 offset1:136
.LBB1817_12:
	s_or_b32 exec_lo, exec_lo, s2
	v_lshlrev_b32_e32 v67, 2, v65
	s_waitcnt lgkmcnt(0)
	s_barrier
	buffer_gl0_inv
	v_cmp_eq_u32_e32 vcc_lo, 1, v66
	v_add_nc_u32_e32 v82, 0x4000, v67
	v_cmp_eq_u32_e64 s2, 2, v66
	v_cmp_eq_u32_e64 s4, 7, v66
	ds_load_2addr_b32 v[89:90], v82 offset1:17
	ds_load_2addr_b32 v[91:92], v82 offset0:34 offset1:51
	ds_load_2addr_b32 v[93:94], v82 offset0:68 offset1:85
	;; [unrolled: 1-line block ×4, first 2 shown]
	s_waitcnt lgkmcnt(4)
	v_max3_f32 v67, v89, 0xff7fffff, v90
	s_waitcnt lgkmcnt(3)
	s_delay_alu instid0(VALU_DEP_1) | instskip(SKIP_1) | instid1(VALU_DEP_1)
	v_max3_f32 v67, v67, v91, v92
	s_waitcnt lgkmcnt(2)
	v_max3_f32 v67, v67, v93, v94
	s_waitcnt lgkmcnt(1)
	s_delay_alu instid0(VALU_DEP_1) | instskip(NEXT) | instid1(VALU_DEP_1)
	v_max3_f32 v67, v67, v95, v96
	v_sub_f32_e32 v93, v93, v67
	s_delay_alu instid0(VALU_DEP_1) | instskip(NEXT) | instid1(VALU_DEP_1)
	v_dual_sub_f32 v68, v89, v67 :: v_dual_mul_f32 v103, 0x3fb8aa3b, v93
	v_mul_f32_e32 v68, 0x3fb8aa3b, v68
	s_delay_alu instid0(VALU_DEP_1)
	v_exp_f32_e32 v100, v68
	v_sub_f32_e32 v68, v92, v67
	v_sub_f32_e32 v99, v90, v67
	ds_load_2addr_b32 v[89:90], v82 offset0:170 offset1:187
	v_dual_mul_f32 v102, 0x3fb8aa3b, v68 :: v_dual_mul_f32 v99, 0x3fb8aa3b, v99
	s_waitcnt lgkmcnt(1)
	v_fma_f32 v68, v100, v97, 0
	s_delay_alu instid0(VALU_DEP_2) | instskip(NEXT) | instid1(VALU_DEP_2)
	v_exp_f32_e32 v102, v102
	v_exp_f32_e32 v99, v99
	s_waitcnt_depctr 0xfff
	v_fmac_f32_e32 v68, v99, v98
	v_sub_f32_e32 v91, v91, v67
	s_delay_alu instid0(VALU_DEP_1)
	v_mul_f32_e32 v101, 0x3fb8aa3b, v91
	ds_load_2addr_b32 v[91:92], v82 offset0:204 offset1:221
	v_sub_f32_e32 v97, v94, v67
	ds_load_2addr_b32 v[93:94], v82 offset0:238 offset1:255
	s_waitcnt lgkmcnt(0)
	v_exp_f32_e32 v101, v101
	s_barrier
	buffer_gl0_inv
	v_dual_fmac_f32 v68, v101, v89 :: v_dual_sub_f32 v89, v96, v67
	v_dual_sub_f32 v82, v95, v67 :: v_dual_mul_f32 v95, 0x3fb8aa3b, v97
	v_exp_f32_e32 v97, v103
	s_delay_alu instid0(VALU_DEP_2) | instskip(NEXT) | instid1(VALU_DEP_2)
	v_dual_fmac_f32 v68, v102, v90 :: v_dual_mul_f32 v89, 0x3fb8aa3b, v89
	v_mul_f32_e32 v82, 0x3fb8aa3b, v82
	s_delay_alu instid0(VALU_DEP_3) | instskip(NEXT) | instid1(VALU_DEP_2)
	v_exp_f32_e32 v95, v95
	v_exp_f32_e32 v89, v89
	s_delay_alu instid0(VALU_DEP_1)
	v_exp_f32_e32 v82, v82
	v_fmac_f32_e32 v68, v97, v91
	s_delay_alu instid0(TRANS32_DEP_3) | instid1(VALU_DEP_1)
	v_fmac_f32_e32 v68, v95, v92
	s_waitcnt_depctr 0xfff
	v_fmac_f32_e32 v68, v82, v93
	s_delay_alu instid0(VALU_DEP_1) | instskip(NEXT) | instid1(VALU_DEP_1)
	v_fmac_f32_e32 v68, v89, v94
	v_add_f32_e32 v90, 0x358637bd, v68
	s_delay_alu instid0(VALU_DEP_1) | instskip(NEXT) | instid1(VALU_DEP_1)
	v_div_scale_f32 v91, null, v90, v90, 1.0
	v_rcp_f32_e32 v92, v91
	s_waitcnt_depctr 0xfff
	v_fma_f32 v93, -v91, v92, 1.0
	s_delay_alu instid0(VALU_DEP_1) | instskip(SKIP_1) | instid1(VALU_DEP_2)
	v_dual_fmac_f32 v92, v93, v92 :: v_dual_cndmask_b32 v93, v100, v99
	v_cmp_eq_u32_e32 vcc_lo, 3, v66
	v_cndmask_b32_e64 v93, v93, v101, s2
	v_cmp_eq_u32_e64 s2, 4, v66
	s_delay_alu instid0(VALU_DEP_2) | instskip(SKIP_1) | instid1(VALU_DEP_2)
	v_cndmask_b32_e32 v93, v93, v102, vcc_lo
	v_cmp_eq_u32_e32 vcc_lo, 5, v66
	v_cndmask_b32_e64 v93, v93, v97, s2
	v_cmp_eq_u32_e64 s2, 6, v66
	s_delay_alu instid0(VALU_DEP_2) | instskip(SKIP_1) | instid1(VALU_DEP_1)
	v_cndmask_b32_e32 v93, v93, v95, vcc_lo
	v_div_scale_f32 v94, s3, 1.0, v90, 1.0
	s_mov_b32 vcc_lo, s3
	s_delay_alu instid0(VALU_DEP_2) | instskip(NEXT) | instid1(VALU_DEP_2)
	v_cndmask_b32_e64 v82, v93, v82, s2
	v_mul_f32_e32 v96, v94, v92
	s_mov_b32 s2, exec_lo
	s_delay_alu instid0(VALU_DEP_2) | instskip(NEXT) | instid1(VALU_DEP_2)
	v_cndmask_b32_e64 v82, v82, v89, s4
	v_fma_f32 v98, -v91, v96, v94
	s_delay_alu instid0(VALU_DEP_1) | instskip(NEXT) | instid1(VALU_DEP_1)
	v_fmac_f32_e32 v96, v98, v92
	v_fma_f32 v91, -v91, v96, v94
	s_delay_alu instid0(VALU_DEP_1) | instskip(NEXT) | instid1(VALU_DEP_1)
	v_div_fmas_f32 v91, v91, v92, v96
	v_div_fixup_f32 v90, v91, v90, 1.0
	s_delay_alu instid0(VALU_DEP_1) | instskip(NEXT) | instid1(VALU_DEP_1)
	v_mul_f32_e32 v82, v82, v90
	v_mul_f32_e32 v87, v82, v87
	v_mul_f32_e32 v90, v82, v80
	v_mul_f32_e32 v80, v82, v88
	v_mul_f32_e32 v84, v82, v84
	v_mul_f32_e32 v88, v82, v86
	v_mul_f32_e32 v89, v82, v85
	v_dual_mul_f32 v86, v82, v83 :: v_dual_and_b32 v91, 0x7f800000, v90
	v_mul_f32_e32 v85, v82, v76
                                        ; implicit-def: $vgpr76
	s_delay_alu instid0(VALU_DEP_2)
	v_cmpx_ne_u32_e32 0x7f800000, v91
	s_xor_b32 s2, exec_lo, s2
; %bb.13:
	v_bfe_u32 v76, v90, 16, 1
	s_delay_alu instid0(VALU_DEP_1)
	v_add3_u32 v76, v90, v76, 0x7fff
                                        ; implicit-def: $vgpr90
; %bb.14:
	s_and_not1_saveexec_b32 s2, s2
; %bb.15:
	v_and_b32_e32 v76, 0xffff, v90
	v_or_b32_e32 v83, 0x10000, v90
	s_delay_alu instid0(VALU_DEP_2) | instskip(NEXT) | instid1(VALU_DEP_2)
	v_cmp_eq_u32_e32 vcc_lo, 0, v76
	v_cndmask_b32_e32 v76, v83, v90, vcc_lo
; %bb.16:
	s_or_b32 exec_lo, exec_lo, s2
	v_and_b32_e32 v83, 0x7f800000, v85
	s_delay_alu instid0(VALU_DEP_1) | instskip(SKIP_1) | instid1(SALU_CYCLE_1)
	v_cmp_ne_u32_e32 vcc_lo, 0x7f800000, v83
                                        ; implicit-def: $vgpr83
	s_and_saveexec_b32 s2, vcc_lo
	s_xor_b32 s2, exec_lo, s2
; %bb.17:
	v_bfe_u32 v83, v85, 16, 1
	s_delay_alu instid0(VALU_DEP_1)
	v_add3_u32 v83, v85, v83, 0x7fff
                                        ; implicit-def: $vgpr85
; %bb.18:
	s_and_not1_saveexec_b32 s2, s2
; %bb.19:
	v_and_b32_e32 v83, 0xffff, v85
	v_or_b32_e32 v90, 0x10000, v85
	s_delay_alu instid0(VALU_DEP_2) | instskip(NEXT) | instid1(VALU_DEP_2)
	v_cmp_eq_u32_e32 vcc_lo, 0, v83
	v_cndmask_b32_e32 v83, v90, v85, vcc_lo
; %bb.20:
	s_or_b32 exec_lo, exec_lo, s2
	v_and_b32_e32 v85, 0x7f800000, v86
	s_delay_alu instid0(VALU_DEP_1) | instskip(SKIP_1) | instid1(SALU_CYCLE_1)
	v_cmp_ne_u32_e32 vcc_lo, 0x7f800000, v85
                                        ; implicit-def: $vgpr85
	s_and_saveexec_b32 s2, vcc_lo
	s_xor_b32 s2, exec_lo, s2
; %bb.21:
	v_bfe_u32 v85, v86, 16, 1
	s_delay_alu instid0(VALU_DEP_1)
	v_add3_u32 v85, v86, v85, 0x7fff
                                        ; implicit-def: $vgpr86
; %bb.22:
	s_and_not1_saveexec_b32 s2, s2
; %bb.23:
	v_and_b32_e32 v85, 0xffff, v86
	v_or_b32_e32 v90, 0x10000, v86
	s_delay_alu instid0(VALU_DEP_2) | instskip(NEXT) | instid1(VALU_DEP_2)
	v_cmp_eq_u32_e32 vcc_lo, 0, v85
	v_cndmask_b32_e32 v85, v90, v86, vcc_lo
; %bb.24:
	s_or_b32 exec_lo, exec_lo, s2
	v_and_b32_e32 v86, 0x7f800000, v89
	s_delay_alu instid0(VALU_DEP_1) | instskip(SKIP_1) | instid1(SALU_CYCLE_1)
	v_cmp_ne_u32_e32 vcc_lo, 0x7f800000, v86
                                        ; implicit-def: $vgpr86
	s_and_saveexec_b32 s2, vcc_lo
	s_xor_b32 s2, exec_lo, s2
; %bb.25:
	v_bfe_u32 v86, v89, 16, 1
	s_delay_alu instid0(VALU_DEP_1)
	v_add3_u32 v86, v89, v86, 0x7fff
                                        ; implicit-def: $vgpr89
; %bb.26:
	s_and_not1_saveexec_b32 s2, s2
; %bb.27:
	v_and_b32_e32 v86, 0xffff, v89
	v_or_b32_e32 v90, 0x10000, v89
	s_delay_alu instid0(VALU_DEP_2) | instskip(NEXT) | instid1(VALU_DEP_2)
	v_cmp_eq_u32_e32 vcc_lo, 0, v86
	v_cndmask_b32_e32 v86, v90, v89, vcc_lo
; %bb.28:
	s_or_b32 exec_lo, exec_lo, s2
	v_and_b32_e32 v89, 0x7f800000, v88
	s_delay_alu instid0(VALU_DEP_1) | instskip(SKIP_1) | instid1(SALU_CYCLE_1)
	v_cmp_ne_u32_e32 vcc_lo, 0x7f800000, v89
                                        ; implicit-def: $vgpr89
	s_and_saveexec_b32 s2, vcc_lo
	s_xor_b32 s2, exec_lo, s2
; %bb.29:
	v_bfe_u32 v89, v88, 16, 1
	s_delay_alu instid0(VALU_DEP_1)
	v_add3_u32 v89, v88, v89, 0x7fff
                                        ; implicit-def: $vgpr88
; %bb.30:
	s_and_not1_saveexec_b32 s2, s2
; %bb.31:
	v_and_b32_e32 v89, 0xffff, v88
	v_or_b32_e32 v90, 0x10000, v88
	s_delay_alu instid0(VALU_DEP_2) | instskip(NEXT) | instid1(VALU_DEP_2)
	v_cmp_eq_u32_e32 vcc_lo, 0, v89
	v_cndmask_b32_e32 v89, v90, v88, vcc_lo
; %bb.32:
	s_or_b32 exec_lo, exec_lo, s2
	v_and_b32_e32 v88, 0x7f800000, v87
	s_delay_alu instid0(VALU_DEP_1) | instskip(SKIP_1) | instid1(SALU_CYCLE_1)
	v_cmp_ne_u32_e32 vcc_lo, 0x7f800000, v88
                                        ; implicit-def: $vgpr88
	s_and_saveexec_b32 s2, vcc_lo
	s_xor_b32 s2, exec_lo, s2
; %bb.33:
	v_bfe_u32 v88, v87, 16, 1
	s_delay_alu instid0(VALU_DEP_1)
	v_add3_u32 v88, v87, v88, 0x7fff
                                        ; implicit-def: $vgpr87
; %bb.34:
	s_and_not1_saveexec_b32 s2, s2
; %bb.35:
	v_and_b32_e32 v88, 0xffff, v87
	v_or_b32_e32 v90, 0x10000, v87
	s_delay_alu instid0(VALU_DEP_2) | instskip(NEXT) | instid1(VALU_DEP_2)
	v_cmp_eq_u32_e32 vcc_lo, 0, v88
	v_cndmask_b32_e32 v88, v90, v87, vcc_lo
; %bb.36:
	s_or_b32 exec_lo, exec_lo, s2
	v_and_b32_e32 v87, 0x7f800000, v84
	s_delay_alu instid0(VALU_DEP_1) | instskip(SKIP_1) | instid1(SALU_CYCLE_1)
	v_cmp_ne_u32_e32 vcc_lo, 0x7f800000, v87
                                        ; implicit-def: $vgpr87
	s_and_saveexec_b32 s2, vcc_lo
	s_xor_b32 s2, exec_lo, s2
; %bb.37:
	v_bfe_u32 v87, v84, 16, 1
	s_delay_alu instid0(VALU_DEP_1)
	v_add3_u32 v87, v84, v87, 0x7fff
                                        ; implicit-def: $vgpr84
; %bb.38:
	s_and_not1_saveexec_b32 s2, s2
; %bb.39:
	v_and_b32_e32 v87, 0xffff, v84
	v_or_b32_e32 v90, 0x10000, v84
	s_delay_alu instid0(VALU_DEP_2) | instskip(NEXT) | instid1(VALU_DEP_2)
	v_cmp_eq_u32_e32 vcc_lo, 0, v87
	v_cndmask_b32_e32 v87, v90, v84, vcc_lo
; %bb.40:
	s_or_b32 exec_lo, exec_lo, s2
	v_and_b32_e32 v84, 0x7f800000, v80
	s_delay_alu instid0(VALU_DEP_1) | instskip(SKIP_1) | instid1(SALU_CYCLE_1)
	v_cmp_ne_u32_e32 vcc_lo, 0x7f800000, v84
                                        ; implicit-def: $vgpr84
	s_and_saveexec_b32 s2, vcc_lo
	s_xor_b32 s2, exec_lo, s2
; %bb.41:
	v_bfe_u32 v84, v80, 16, 1
	s_delay_alu instid0(VALU_DEP_1)
	v_add3_u32 v84, v80, v84, 0x7fff
                                        ; implicit-def: $vgpr80
; %bb.42:
	s_and_not1_saveexec_b32 s2, s2
; %bb.43:
	v_and_b32_e32 v84, 0xffff, v80
	v_or_b32_e32 v90, 0x10000, v80
	s_delay_alu instid0(VALU_DEP_2) | instskip(NEXT) | instid1(VALU_DEP_2)
	v_cmp_eq_u32_e32 vcc_lo, 0, v84
	v_cndmask_b32_e32 v84, v90, v80, vcc_lo
; %bb.44:
	s_or_b32 exec_lo, exec_lo, s2
	s_load_b64 s[34:35], s[0:1], 0x94
	v_lshlrev_b32_e32 v91, 4, v74
	s_delay_alu instid0(VALU_DEP_2)
	v_perm_b32 v90, v84, v87, 0x7060302
	v_dual_mul_f32 v79, v82, v79 :: v_dual_lshlrev_b32 v80, 6, v65
	v_dual_mul_f32 v77, v82, v77 :: v_dual_lshlrev_b32 v92, 11, v66
	v_mul_f32_e32 v84, v82, v70
	v_perm_b32 v89, v88, v89, 0x7060302
	v_perm_b32 v88, v86, v85, 0x7060302
	;; [unrolled: 1-line block ×3, first 2 shown]
	v_mul_f32_e32 v70, v82, v81
	v_or3_b32 v76, v91, v92, v80
	v_dual_mul_f32 v78, v82, v78 :: v_dual_and_b32 v85, 0x7f800000, v84
	v_mul_f32_e32 v83, v82, v72
	v_mul_f32_e32 v81, v82, v71
	;; [unrolled: 1-line block ×3, first 2 shown]
	s_mov_b32 s2, exec_lo
	ds_store_b128 v76, v[87:90]
                                        ; implicit-def: $vgpr69
	v_cmpx_ne_u32_e32 0x7f800000, v85
	s_xor_b32 s2, exec_lo, s2
; %bb.45:
	v_bfe_u32 v69, v84, 16, 1
	s_delay_alu instid0(VALU_DEP_1)
	v_add3_u32 v69, v84, v69, 0x7fff
                                        ; implicit-def: $vgpr84
; %bb.46:
	s_and_not1_saveexec_b32 s2, s2
; %bb.47:
	v_and_b32_e32 v69, 0xffff, v84
	v_or_b32_e32 v71, 0x10000, v84
	s_delay_alu instid0(VALU_DEP_2) | instskip(NEXT) | instid1(VALU_DEP_2)
	v_cmp_eq_u32_e32 vcc_lo, 0, v69
	v_cndmask_b32_e32 v69, v71, v84, vcc_lo
; %bb.48:
	s_or_b32 exec_lo, exec_lo, s2
	v_and_b32_e32 v71, 0x7f800000, v72
	s_delay_alu instid0(VALU_DEP_1) | instskip(SKIP_1) | instid1(SALU_CYCLE_1)
	v_cmp_ne_u32_e32 vcc_lo, 0x7f800000, v71
                                        ; implicit-def: $vgpr71
	s_and_saveexec_b32 s2, vcc_lo
	s_xor_b32 s2, exec_lo, s2
; %bb.49:
	v_bfe_u32 v71, v72, 16, 1
	s_delay_alu instid0(VALU_DEP_1)
	v_add3_u32 v71, v72, v71, 0x7fff
                                        ; implicit-def: $vgpr72
; %bb.50:
	s_and_not1_saveexec_b32 s2, s2
; %bb.51:
	v_and_b32_e32 v71, 0xffff, v72
	v_or_b32_e32 v82, 0x10000, v72
	s_delay_alu instid0(VALU_DEP_2) | instskip(NEXT) | instid1(VALU_DEP_2)
	v_cmp_eq_u32_e32 vcc_lo, 0, v71
	v_cndmask_b32_e32 v71, v82, v72, vcc_lo
; %bb.52:
	s_or_b32 exec_lo, exec_lo, s2
	v_and_b32_e32 v72, 0x7f800000, v81
	s_delay_alu instid0(VALU_DEP_1) | instskip(SKIP_1) | instid1(SALU_CYCLE_1)
	v_cmp_ne_u32_e32 vcc_lo, 0x7f800000, v72
                                        ; implicit-def: $vgpr72
	s_and_saveexec_b32 s2, vcc_lo
	s_xor_b32 s2, exec_lo, s2
; %bb.53:
	v_bfe_u32 v72, v81, 16, 1
	s_delay_alu instid0(VALU_DEP_1)
	v_add3_u32 v72, v81, v72, 0x7fff
                                        ; implicit-def: $vgpr81
; %bb.54:
	s_and_not1_saveexec_b32 s2, s2
; %bb.55:
	v_and_b32_e32 v72, 0xffff, v81
	v_or_b32_e32 v82, 0x10000, v81
	s_delay_alu instid0(VALU_DEP_2) | instskip(NEXT) | instid1(VALU_DEP_2)
	v_cmp_eq_u32_e32 vcc_lo, 0, v72
	v_cndmask_b32_e32 v72, v82, v81, vcc_lo
; %bb.56:
	s_or_b32 exec_lo, exec_lo, s2
	v_and_b32_e32 v81, 0x7f800000, v83
	s_delay_alu instid0(VALU_DEP_1) | instskip(SKIP_1) | instid1(SALU_CYCLE_1)
	v_cmp_ne_u32_e32 vcc_lo, 0x7f800000, v81
                                        ; implicit-def: $vgpr81
	s_and_saveexec_b32 s2, vcc_lo
	s_xor_b32 s2, exec_lo, s2
; %bb.57:
	v_bfe_u32 v81, v83, 16, 1
	s_delay_alu instid0(VALU_DEP_1)
	v_add3_u32 v81, v83, v81, 0x7fff
                                        ; implicit-def: $vgpr83
; %bb.58:
	s_and_not1_saveexec_b32 s2, s2
; %bb.59:
	v_and_b32_e32 v81, 0xffff, v83
	v_or_b32_e32 v82, 0x10000, v83
	s_delay_alu instid0(VALU_DEP_2) | instskip(NEXT) | instid1(VALU_DEP_2)
	v_cmp_eq_u32_e32 vcc_lo, 0, v81
	v_cndmask_b32_e32 v81, v82, v83, vcc_lo
; %bb.60:
	s_or_b32 exec_lo, exec_lo, s2
	v_and_b32_e32 v82, 0x7f800000, v77
	s_delay_alu instid0(VALU_DEP_1) | instskip(SKIP_1) | instid1(SALU_CYCLE_1)
	v_cmp_ne_u32_e32 vcc_lo, 0x7f800000, v82
                                        ; implicit-def: $vgpr82
	s_and_saveexec_b32 s2, vcc_lo
	s_xor_b32 s2, exec_lo, s2
; %bb.61:
	v_bfe_u32 v82, v77, 16, 1
	s_delay_alu instid0(VALU_DEP_1)
	v_add3_u32 v82, v77, v82, 0x7fff
                                        ; implicit-def: $vgpr77
; %bb.62:
	s_and_not1_saveexec_b32 s2, s2
; %bb.63:
	v_and_b32_e32 v82, 0xffff, v77
	v_or_b32_e32 v83, 0x10000, v77
	s_delay_alu instid0(VALU_DEP_2) | instskip(NEXT) | instid1(VALU_DEP_2)
	v_cmp_eq_u32_e32 vcc_lo, 0, v82
	v_cndmask_b32_e32 v82, v83, v77, vcc_lo
; %bb.64:
	s_or_b32 exec_lo, exec_lo, s2
	v_and_b32_e32 v77, 0x7f800000, v78
	s_delay_alu instid0(VALU_DEP_1) | instskip(SKIP_1) | instid1(SALU_CYCLE_1)
	v_cmp_ne_u32_e32 vcc_lo, 0x7f800000, v77
                                        ; implicit-def: $vgpr77
	s_and_saveexec_b32 s2, vcc_lo
	s_xor_b32 s2, exec_lo, s2
; %bb.65:
	v_bfe_u32 v77, v78, 16, 1
	s_delay_alu instid0(VALU_DEP_1)
	v_add3_u32 v77, v78, v77, 0x7fff
                                        ; implicit-def: $vgpr78
; %bb.66:
	s_and_not1_saveexec_b32 s2, s2
; %bb.67:
	v_and_b32_e32 v77, 0xffff, v78
	v_or_b32_e32 v83, 0x10000, v78
	s_delay_alu instid0(VALU_DEP_2) | instskip(NEXT) | instid1(VALU_DEP_2)
	v_cmp_eq_u32_e32 vcc_lo, 0, v77
	v_cndmask_b32_e32 v77, v83, v78, vcc_lo
; %bb.68:
	s_or_b32 exec_lo, exec_lo, s2
	v_and_b32_e32 v78, 0x7f800000, v79
	s_delay_alu instid0(VALU_DEP_1) | instskip(SKIP_1) | instid1(SALU_CYCLE_1)
	v_cmp_ne_u32_e32 vcc_lo, 0x7f800000, v78
                                        ; implicit-def: $vgpr78
	s_and_saveexec_b32 s2, vcc_lo
	s_xor_b32 s2, exec_lo, s2
; %bb.69:
	v_bfe_u32 v78, v79, 16, 1
	s_delay_alu instid0(VALU_DEP_1)
	v_add3_u32 v78, v79, v78, 0x7fff
                                        ; implicit-def: $vgpr79
; %bb.70:
	s_and_not1_saveexec_b32 s2, s2
; %bb.71:
	v_and_b32_e32 v78, 0xffff, v79
	v_or_b32_e32 v83, 0x10000, v79
	s_delay_alu instid0(VALU_DEP_2) | instskip(NEXT) | instid1(VALU_DEP_2)
	v_cmp_eq_u32_e32 vcc_lo, 0, v78
	v_cndmask_b32_e32 v78, v83, v79, vcc_lo
; %bb.72:
	s_or_b32 exec_lo, exec_lo, s2
	v_and_b32_e32 v79, 0x7f800000, v70
	s_delay_alu instid0(VALU_DEP_1) | instskip(SKIP_1) | instid1(SALU_CYCLE_1)
	v_cmp_ne_u32_e32 vcc_lo, 0x7f800000, v79
                                        ; implicit-def: $vgpr79
	s_and_saveexec_b32 s2, vcc_lo
	s_xor_b32 s2, exec_lo, s2
; %bb.73:
	v_bfe_u32 v79, v70, 16, 1
	s_delay_alu instid0(VALU_DEP_1)
	v_add3_u32 v79, v70, v79, 0x7fff
                                        ; implicit-def: $vgpr70
; %bb.74:
	s_and_not1_saveexec_b32 s2, s2
; %bb.75:
	v_and_b32_e32 v79, 0xffff, v70
	v_or_b32_e32 v83, 0x10000, v70
	s_delay_alu instid0(VALU_DEP_2) | instskip(NEXT) | instid1(VALU_DEP_2)
	v_cmp_eq_u32_e32 vcc_lo, 0, v79
	v_cndmask_b32_e32 v79, v83, v70, vcc_lo
; %bb.76:
	s_or_b32 exec_lo, exec_lo, s2
	s_delay_alu instid0(VALU_DEP_1)
	v_perm_b32 v86, v79, v78, 0x7060302
	v_perm_b32 v85, v77, v82, 0x7060302
	;; [unrolled: 1-line block ×4, first 2 shown]
	v_lshl_or_b32 v82, v66, 11, v80
	ds_store_b128 v76, v[83:86] offset:1024
	s_waitcnt lgkmcnt(0)
	s_barrier
	buffer_gl0_inv
	ds_load_b128 v[69:72], v82
	ds_load_b128 v[83:86], v82 offset:16
	s_waitcnt lgkmcnt(1)
	v_lshrrev_b32_e32 v66, 16, v69
	s_waitcnt lgkmcnt(0)
	v_lshrrev_b32_e32 v91, 16, v83
	v_lshlrev_b32_e32 v78, 2, v74
	v_lshrrev_b32_e32 v95, 16, v70
	v_lshrrev_b32_e32 v98, 16, v84
	;; [unrolled: 1-line block ×4, first 2 shown]
	v_cmp_eq_u32_e32 vcc_lo, 1, v78
	v_lshrrev_b32_e32 v97, 16, v72
	v_lshrrev_b32_e32 v100, 16, v86
	v_cndmask_b32_e32 v87, v83, v91, vcc_lo
	v_or_b32_e32 v79, 1, v78
	v_cndmask_b32_e32 v81, v69, v66, vcc_lo
	v_cmp_eq_u32_e64 s3, 2, v78
	v_cmp_eq_u32_e64 s6, 3, v78
	;; [unrolled: 1-line block ×5, first 2 shown]
	v_cndmask_b32_e64 v81, v81, v70, s3
	v_cndmask_b32_e64 v87, v87, v84, s3
	v_cmp_eq_u32_e64 s7, 3, v79
	v_cndmask_b32_e64 v88, v69, v66, s2
	v_or_b32_e32 v77, 2, v78
	v_cndmask_b32_e64 v81, v81, v95, s6
	v_cndmask_b32_e64 v87, v87, v98, s6
	;; [unrolled: 1-line block ×4, first 2 shown]
	v_cmp_eq_u32_e64 s9, 5, v78
	v_cndmask_b32_e64 v81, v81, v71, s8
	v_cndmask_b32_e64 v87, v87, v85, s8
	v_cmp_eq_u32_e64 s10, 4, v79
	v_cndmask_b32_e64 v88, v88, v95, s7
	v_cmp_eq_u32_e64 s4, 1, v77
	v_cndmask_b32_e64 v89, v89, v84, s5
	v_cndmask_b32_e64 v81, v81, v96, s9
	v_cmp_eq_u32_e64 s11, 6, v78
	v_cndmask_b32_e64 v88, v88, v71, s10
	;; [unrolled: 3-line block ×3, first 2 shown]
	v_cndmask_b32_e64 v89, v89, v98, s7
	v_cndmask_b32_e64 v81, v81, v72, s11
	v_cmp_eq_u32_e64 s13, 7, v78
	v_cndmask_b32_e64 v88, v88, v96, s12
	v_cndmask_b32_e64 v87, v87, v86, s11
	v_cmp_eq_u32_e64 s15, 6, v79
	v_cmp_eq_u32_e64 s16, 2, v77
	v_cndmask_b32_e64 v89, v89, v85, s10
	v_cndmask_b32_e64 v101, v81, v97, s13
	v_cndmask_b32_e64 v102, v87, v100, s13
	v_cndmask_b32_e64 v88, v88, v72, s15
	v_cndmask_b32_e64 v81, v90, v70, s16
	v_cndmask_b32_e64 v87, v83, v91, s4
	v_cmp_eq_u32_e64 s17, 7, v79
	v_cmp_eq_u32_e64 s18, 3, v77
	;; [unrolled: 1-line block ×4, first 2 shown]
	v_cndmask_b32_e64 v87, v87, v84, s16
	v_cndmask_b32_e64 v103, v88, v97, s17
	;; [unrolled: 1-line block ×4, first 2 shown]
	v_or_b32_e32 v81, 3, v78
	v_cndmask_b32_e64 v93, v87, v98, s18
	v_cmp_eq_u32_e64 s23, 6, v77
	v_cndmask_b32_e64 v104, v88, v86, s15
	v_cndmask_b32_e64 v92, v89, v71, s19
	v_cmp_eq_u32_e64 s20, 1, v81
	ds_load_b128 v[87:90], v82 offset:1024
	v_cmp_eq_u32_e64 s22, 2, v81
	v_cmp_eq_u32_e64 s24, 3, v81
	v_cndmask_b32_e64 v105, v92, v96, s21
	v_cndmask_b32_e64 v66, v69, v66, s20
	;; [unrolled: 1-line block ×4, first 2 shown]
	ds_load_b128 v[91:94], v82 offset:1040
	v_cmp_eq_u32_e64 s25, 4, v81
	v_cndmask_b32_e64 v66, v66, v70, s22
	v_cmp_eq_u32_e64 s26, 7, v77
	v_cndmask_b32_e64 v70, v83, v84, s22
	v_cndmask_b32_e64 v84, v105, v72, s23
	v_cmp_eq_u32_e64 s27, 5, v81
	v_cndmask_b32_e64 v66, v66, v95, s24
	v_cmp_eq_u32_e64 s28, 6, v81
	v_cndmask_b32_e64 v70, v70, v98, s24
	v_cndmask_b32_e64 v69, v69, v99, s21
	;; [unrolled: 1-line block ×4, first 2 shown]
	s_waitcnt lgkmcnt(1)
	v_lshrrev_b32_e32 v95, 16, v87
	v_cndmask_b32_e64 v70, v70, v85, s25
	v_cndmask_b32_e64 v71, v84, v97, s26
	;; [unrolled: 1-line block ×4, first 2 shown]
	v_cndmask_b32_e32 v84, v87, v95, vcc_lo
	v_cndmask_b32_e64 v70, v70, v99, s27
	s_waitcnt lgkmcnt(0)
	v_lshrrev_b32_e32 v85, 16, v91
	v_lshrrev_b32_e32 v96, 16, v88
	v_cndmask_b32_e64 v98, v87, v95, s2
	v_cndmask_b32_e64 v84, v84, v88, s3
	v_cndmask_b32_e64 v70, v70, v86, s28
	v_cndmask_b32_e32 v99, v91, v85, vcc_lo
	v_cmp_eq_u32_e32 vcc_lo, 7, v81
	v_cndmask_b32_e64 v66, v66, v72, s28
	v_cndmask_b32_e64 v72, v84, v96, s6
	;; [unrolled: 1-line block ×3, first 2 shown]
	v_lshrrev_b32_e32 v98, 16, v92
	v_cndmask_b32_e32 v70, v70, v100, vcc_lo
	v_cndmask_b32_e64 v86, v99, v92, s3
	v_cndmask_b32_e64 v69, v69, v100, s26
	v_lshrrev_b32_e32 v100, 16, v93
	v_cndmask_b32_e64 v72, v72, v89, s8
	v_lshrrev_b32_e32 v99, 16, v89
	v_cndmask_b32_e64 v86, v86, v98, s6
	v_perm_b32 v71, v69, v71, 0x5040100
	v_cndmask_b32_e64 v84, v84, v96, s7
	s_delay_alu instid0(VALU_DEP_3) | instskip(NEXT) | instid1(VALU_DEP_2)
	v_cndmask_b32_e64 v86, v86, v93, s8
	v_cndmask_b32_e64 v84, v84, v89, s10
	s_delay_alu instid0(VALU_DEP_2) | instskip(NEXT) | instid1(VALU_DEP_1)
	v_cndmask_b32_e64 v86, v86, v100, s9
	v_cndmask_b32_e64 v69, v86, v94, s11
	;; [unrolled: 1-line block ×5, first 2 shown]
	s_delay_alu instid0(VALU_DEP_3) | instskip(NEXT) | instid1(VALU_DEP_3)
	v_cndmask_b32_e64 v86, v86, v88, s16
	v_cndmask_b32_e64 v87, v87, v88, s22
	s_delay_alu instid0(VALU_DEP_3) | instskip(NEXT) | instid1(VALU_DEP_3)
	v_cndmask_b32_e64 v88, v95, v92, s22
	v_cndmask_b32_e64 v86, v86, v96, s18
	;; [unrolled: 3-line block ×7, first 2 shown]
	s_delay_alu instid0(VALU_DEP_3) | instskip(SKIP_2) | instid1(VALU_DEP_2)
	v_cndmask_b32_e64 v88, v88, v94, s28
	v_cndmask_b32_e32 v66, v66, v97, vcc_lo
	v_cndmask_b32_e64 v97, v72, v99, s9
	v_perm_b32 v72, v70, v66, 0x5040100
	v_perm_b32 v70, v83, v103, 0x5040100
	v_cndmask_b32_e64 v103, v91, v85, s4
	v_cndmask_b32_e64 v85, v91, v85, s2
	;; [unrolled: 1-line block ×4, first 2 shown]
	v_lshrrev_b32_e32 v97, 16, v90
	v_cndmask_b32_e64 v91, v103, v92, s16
	v_cndmask_b32_e64 v85, v85, v92, s5
	;; [unrolled: 1-line block ×3, first 2 shown]
	s_mov_b32 s2, exec_lo
	v_cndmask_b32_e64 v83, v84, v97, s13
	v_cndmask_b32_e64 v91, v91, v98, s18
	;; [unrolled: 1-line block ×3, first 2 shown]
	v_lshrrev_b32_e32 v84, 16, v94
	v_cndmask_b32_e64 v66, v66, v97, s17
	v_cndmask_b32_e64 v90, v86, v97, s26
	;; [unrolled: 1-line block ×4, first 2 shown]
	v_dual_cndmask_b32 v86, v87, v97 :: v_dual_cndmask_b32 v87, v88, v84
	v_cndmask_b32_e64 v91, v69, v84, s13
	s_delay_alu instid0(VALU_DEP_4) | instskip(NEXT) | instid1(VALU_DEP_4)
	v_cndmask_b32_e64 v89, v89, v100, s21
	v_cndmask_b32_e64 v85, v85, v100, s12
	v_perm_b32 v69, v102, v101, 0x5040100
	v_perm_b32 v86, v87, v86, 0x5040100
	;; [unrolled: 1-line block ×3, first 2 shown]
	v_cndmask_b32_e64 v89, v89, v94, s23
	v_cndmask_b32_e64 v85, v85, v94, s15
	s_mul_i32 s7, s35, 12
	s_delay_alu instid0(VALU_DEP_2) | instskip(NEXT) | instid1(VALU_DEP_2)
	v_cndmask_b32_e64 v88, v89, v84, s26
	v_cndmask_b32_e64 v89, v85, v84, s17
	s_delay_alu instid0(VALU_DEP_2) | instskip(NEXT) | instid1(VALU_DEP_2)
	v_perm_b32 v85, v88, v90, 0x5040100
	v_perm_b32 v84, v89, v66, 0x5040100
	ds_store_b128 v76, v[69:72]
	ds_store_b128 v76, v[83:86] offset:1024
	v_cmpx_gt_u32_e32 12, v0
	s_cbranch_execz .LBB1817_78
; %bb.77:
	s_mul_i32 s3, s7, s30
	s_load_b128 s[8:11], s[0:1], 0x58
	v_add3_u32 v69, s3, s29, v65
	s_delay_alu instid0(VALU_DEP_1) | instskip(NEXT) | instid1(VALU_DEP_1)
	v_mad_u64_u32 v[65:66], null, v69, s34, s[14:15]
	v_ashrrev_i32_e32 v66, 31, v65
	s_delay_alu instid0(VALU_DEP_1) | instskip(SKIP_1) | instid1(VALU_DEP_1)
	v_lshlrev_b64 v[65:66], 2, v[65:66]
	s_waitcnt lgkmcnt(0)
	v_add_co_u32 v69, vcc_lo, s10, v65
	s_delay_alu instid0(VALU_DEP_2)
	v_add_co_ci_u32_e32 v70, vcc_lo, s11, v66, vcc_lo
	v_add_co_u32 v65, vcc_lo, s8, v65
	v_add_co_ci_u32_e32 v66, vcc_lo, s9, v66, vcc_lo
	global_store_b32 v[69:70], v67, off
	global_store_b32 v[65:66], v68, off
.LBB1817_78:
	s_or_b32 exec_lo, exec_lo, s2
	s_waitcnt lgkmcnt(0)
	s_waitcnt_vscnt null, 0x0
	s_barrier
	buffer_gl0_inv
	ds_load_b128 v[83:86], v80
	ds_load_b128 v[87:90], v80 offset:16
	ds_load_b128 v[95:98], v80 offset:2064
	;; [unrolled: 1-line block ×3, first 2 shown]
	v_mov_b32_e32 v65, 0
	ds_load_b128 v[103:106], v80 offset:4112
	ds_load_b128 v[99:102], v80 offset:4096
	ds_load_b128 v[111:114], v80 offset:6160
	ds_load_b128 v[107:110], v80 offset:6144
	v_mov_b32_e32 v66, v65
	v_mov_b32_e32 v67, v65
	;; [unrolled: 1-line block ×7, first 2 shown]
	s_waitcnt lgkmcnt(6)
	s_delay_alu instid0(VALU_DEP_1)
	v_wmma_f32_16x16x16_bf16 v[65:72], v[49:56], v[83:90], v[65:72]
	ds_load_b128 v[53:56], v80 offset:8208
	ds_load_b128 v[49:52], v80 offset:8192
	s_waitcnt lgkmcnt(6)
	v_wmma_f32_16x16x16_bf16 v[65:72], v[41:48], v[91:98], v[65:72]
	ds_load_b128 v[45:48], v80 offset:10256
	ds_load_b128 v[41:44], v80 offset:10240
	s_waitcnt lgkmcnt(6)
	;; [unrolled: 4-line block ×4, first 2 shown]
	v_wmma_f32_16x16x16_bf16 v[65:72], v[1:8], v[49:56], v[65:72]
	s_waitcnt lgkmcnt(4)
	s_delay_alu instid0(VALU_DEP_1) | instskip(SKIP_1) | instid1(VALU_DEP_1)
	v_wmma_f32_16x16x16_bf16 v[65:72], v[9:16], v[41:48], v[65:72]
	s_waitcnt lgkmcnt(2)
	v_wmma_f32_16x16x16_bf16 v[65:72], v[17:24], v[33:40], v[65:72]
	s_waitcnt lgkmcnt(0)
	s_delay_alu instid0(VALU_DEP_1) | instskip(NEXT) | instid1(VALU_DEP_1)
	v_wmma_f32_16x16x16_bf16 v[65:72], v[57:64], v[25:32], v[65:72]
	v_and_b32_e32 v1, 0x7f800000, v65
	s_delay_alu instid0(VALU_DEP_1) | instskip(SKIP_1) | instid1(SALU_CYCLE_1)
	v_cmp_ne_u32_e32 vcc_lo, 0x7f800000, v1
                                        ; implicit-def: $vgpr1
	s_and_saveexec_b32 s2, vcc_lo
	s_xor_b32 s2, exec_lo, s2
; %bb.79:
	v_bfe_u32 v1, v65, 16, 1
	s_delay_alu instid0(VALU_DEP_1)
	v_add3_u32 v1, v65, v1, 0x7fff
; %bb.80:
	s_and_not1_saveexec_b32 s2, s2
; %bb.81:
	v_and_b32_e32 v1, 0xffff, v65
	v_or_b32_e32 v2, 0x10000, v65
	s_delay_alu instid0(VALU_DEP_2) | instskip(NEXT) | instid1(VALU_DEP_2)
	v_cmp_eq_u32_e32 vcc_lo, 0, v1
	v_cndmask_b32_e32 v1, v2, v65, vcc_lo
; %bb.82:
	s_or_b32 exec_lo, exec_lo, s2
	v_and_b32_e32 v2, 0x7f800000, v66
	s_delay_alu instid0(VALU_DEP_1) | instskip(SKIP_1) | instid1(SALU_CYCLE_1)
	v_cmp_ne_u32_e32 vcc_lo, 0x7f800000, v2
                                        ; implicit-def: $vgpr2
	s_and_saveexec_b32 s2, vcc_lo
	s_xor_b32 s2, exec_lo, s2
; %bb.83:
	v_bfe_u32 v2, v66, 16, 1
	s_delay_alu instid0(VALU_DEP_1)
	v_add3_u32 v2, v66, v2, 0x7fff
; %bb.84:
	s_and_not1_saveexec_b32 s2, s2
; %bb.85:
	v_and_b32_e32 v2, 0xffff, v66
	v_or_b32_e32 v3, 0x10000, v66
	s_delay_alu instid0(VALU_DEP_2) | instskip(NEXT) | instid1(VALU_DEP_2)
	v_cmp_eq_u32_e32 vcc_lo, 0, v2
	v_cndmask_b32_e32 v2, v3, v66, vcc_lo
; %bb.86:
	s_or_b32 exec_lo, exec_lo, s2
	v_and_b32_e32 v3, 0x7f800000, v67
	s_delay_alu instid0(VALU_DEP_1) | instskip(SKIP_1) | instid1(SALU_CYCLE_1)
	v_cmp_ne_u32_e32 vcc_lo, 0x7f800000, v3
                                        ; implicit-def: $vgpr3
	s_and_saveexec_b32 s2, vcc_lo
	s_xor_b32 s2, exec_lo, s2
; %bb.87:
	v_bfe_u32 v3, v67, 16, 1
	s_delay_alu instid0(VALU_DEP_1)
	v_add3_u32 v3, v67, v3, 0x7fff
; %bb.88:
	s_and_not1_saveexec_b32 s2, s2
; %bb.89:
	v_and_b32_e32 v3, 0xffff, v67
	v_or_b32_e32 v4, 0x10000, v67
	s_delay_alu instid0(VALU_DEP_2) | instskip(NEXT) | instid1(VALU_DEP_2)
	v_cmp_eq_u32_e32 vcc_lo, 0, v3
	v_cndmask_b32_e32 v3, v4, v67, vcc_lo
; %bb.90:
	s_or_b32 exec_lo, exec_lo, s2
	v_and_b32_e32 v4, 0x7f800000, v68
	s_delay_alu instid0(VALU_DEP_1) | instskip(SKIP_1) | instid1(SALU_CYCLE_1)
	v_cmp_ne_u32_e32 vcc_lo, 0x7f800000, v4
                                        ; implicit-def: $vgpr4
	s_and_saveexec_b32 s2, vcc_lo
	s_xor_b32 s2, exec_lo, s2
; %bb.91:
	v_bfe_u32 v4, v68, 16, 1
	s_delay_alu instid0(VALU_DEP_1)
	v_add3_u32 v4, v68, v4, 0x7fff
; %bb.92:
	s_and_not1_saveexec_b32 s2, s2
; %bb.93:
	v_and_b32_e32 v4, 0xffff, v68
	v_or_b32_e32 v5, 0x10000, v68
	s_delay_alu instid0(VALU_DEP_2) | instskip(NEXT) | instid1(VALU_DEP_2)
	v_cmp_eq_u32_e32 vcc_lo, 0, v4
	v_cndmask_b32_e32 v4, v5, v68, vcc_lo
; %bb.94:
	s_or_b32 exec_lo, exec_lo, s2
	v_and_b32_e32 v5, 0x7f800000, v69
	s_delay_alu instid0(VALU_DEP_1) | instskip(SKIP_1) | instid1(SALU_CYCLE_1)
	v_cmp_ne_u32_e32 vcc_lo, 0x7f800000, v5
                                        ; implicit-def: $vgpr5
	s_and_saveexec_b32 s2, vcc_lo
	s_xor_b32 s2, exec_lo, s2
; %bb.95:
	v_bfe_u32 v5, v69, 16, 1
	s_delay_alu instid0(VALU_DEP_1)
	v_add3_u32 v5, v69, v5, 0x7fff
; %bb.96:
	s_and_not1_saveexec_b32 s2, s2
; %bb.97:
	v_and_b32_e32 v5, 0xffff, v69
	v_or_b32_e32 v6, 0x10000, v69
	s_delay_alu instid0(VALU_DEP_2) | instskip(NEXT) | instid1(VALU_DEP_2)
	v_cmp_eq_u32_e32 vcc_lo, 0, v5
	v_cndmask_b32_e32 v5, v6, v69, vcc_lo
; %bb.98:
	s_or_b32 exec_lo, exec_lo, s2
	v_and_b32_e32 v6, 0x7f800000, v70
	s_delay_alu instid0(VALU_DEP_1) | instskip(SKIP_1) | instid1(SALU_CYCLE_1)
	v_cmp_ne_u32_e32 vcc_lo, 0x7f800000, v6
                                        ; implicit-def: $vgpr6
	s_and_saveexec_b32 s2, vcc_lo
	s_xor_b32 s2, exec_lo, s2
; %bb.99:
	v_bfe_u32 v6, v70, 16, 1
	s_delay_alu instid0(VALU_DEP_1)
	v_add3_u32 v6, v70, v6, 0x7fff
; %bb.100:
	s_and_not1_saveexec_b32 s2, s2
; %bb.101:
	v_and_b32_e32 v6, 0xffff, v70
	v_or_b32_e32 v7, 0x10000, v70
	s_delay_alu instid0(VALU_DEP_2) | instskip(NEXT) | instid1(VALU_DEP_2)
	v_cmp_eq_u32_e32 vcc_lo, 0, v6
	v_cndmask_b32_e32 v6, v7, v70, vcc_lo
; %bb.102:
	s_or_b32 exec_lo, exec_lo, s2
	v_and_b32_e32 v7, 0x7f800000, v71
	s_delay_alu instid0(VALU_DEP_1) | instskip(SKIP_1) | instid1(SALU_CYCLE_1)
	v_cmp_ne_u32_e32 vcc_lo, 0x7f800000, v7
                                        ; implicit-def: $vgpr7
	s_and_saveexec_b32 s2, vcc_lo
	s_xor_b32 s2, exec_lo, s2
; %bb.103:
	v_bfe_u32 v7, v71, 16, 1
	s_delay_alu instid0(VALU_DEP_1)
	v_add3_u32 v7, v71, v7, 0x7fff
; %bb.104:
	s_and_not1_saveexec_b32 s2, s2
; %bb.105:
	v_and_b32_e32 v7, 0xffff, v71
	v_or_b32_e32 v8, 0x10000, v71
	s_delay_alu instid0(VALU_DEP_2) | instskip(NEXT) | instid1(VALU_DEP_2)
	v_cmp_eq_u32_e32 vcc_lo, 0, v7
	v_cndmask_b32_e32 v7, v8, v71, vcc_lo
; %bb.106:
	s_or_b32 exec_lo, exec_lo, s2
	v_and_b32_e32 v8, 0x7f800000, v72
	s_delay_alu instid0(VALU_DEP_1) | instskip(SKIP_1) | instid1(SALU_CYCLE_1)
	v_cmp_ne_u32_e32 vcc_lo, 0x7f800000, v8
                                        ; implicit-def: $vgpr8
	s_and_saveexec_b32 s2, vcc_lo
	s_xor_b32 s2, exec_lo, s2
; %bb.107:
	v_bfe_u32 v8, v72, 16, 1
	s_delay_alu instid0(VALU_DEP_1)
	v_add3_u32 v8, v72, v8, 0x7fff
                                        ; implicit-def: $vgpr65_vgpr66_vgpr67_vgpr68_vgpr69_vgpr70_vgpr71_vgpr72
; %bb.108:
	s_and_not1_saveexec_b32 s2, s2
; %bb.109:
	v_and_b32_e32 v8, 0xffff, v72
	v_or_b32_e32 v9, 0x10000, v72
	s_delay_alu instid0(VALU_DEP_2) | instskip(NEXT) | instid1(VALU_DEP_2)
	v_cmp_eq_u32_e32 vcc_lo, 0, v8
	v_cndmask_b32_e32 v8, v9, v72, vcc_lo
; %bb.110:
	s_or_b32 exec_lo, exec_lo, s2
	s_delay_alu instid0(VALU_DEP_1)
	v_perm_b32 v7, v8, v7, 0x7060302
	v_perm_b32 v6, v6, v5, 0x7060302
	;; [unrolled: 1-line block ×4, first 2 shown]
	s_barrier
	buffer_gl0_inv
	v_cmp_eq_u32_e32 vcc_lo, 1, v78
	ds_store_b128 v76, v[4:7]
	s_waitcnt lgkmcnt(0)
	s_barrier
	buffer_gl0_inv
	ds_load_b128 v[1:4], v82
	ds_load_b128 v[5:8], v82 offset:16
	v_cmp_eq_u32_e64 s2, 1, v79
	v_cmp_eq_u32_e64 s3, 2, v78
	;; [unrolled: 1-line block ×5, first 2 shown]
	s_waitcnt lgkmcnt(1)
	v_lshrrev_b32_e32 v9, 16, v1
	s_waitcnt lgkmcnt(0)
	v_lshrrev_b32_e32 v13, 16, v5
	v_lshrrev_b32_e32 v10, 16, v2
	;; [unrolled: 1-line block ×4, first 2 shown]
	v_cndmask_b32_e64 v19, v1, v9, s2
	v_cndmask_b32_e32 v18, v5, v13, vcc_lo
	v_cndmask_b32_e64 v20, v5, v13, s2
	v_cndmask_b32_e32 v17, v1, v9, vcc_lo
	v_cmp_eq_u32_e32 vcc_lo, 2, v79
	v_lshrrev_b32_e32 v15, 16, v7
	v_cmp_eq_u32_e64 s2, 1, v77
	v_lshrrev_b32_e32 v12, 16, v4
	v_lshrrev_b32_e32 v16, 16, v8
	v_cndmask_b32_e32 v20, v20, v6, vcc_lo
	v_cndmask_b32_e64 v17, v17, v2, s3
	v_cndmask_b32_e32 v19, v19, v2, vcc_lo
	v_cndmask_b32_e64 v18, v18, v6, s3
	v_cmp_eq_u32_e32 vcc_lo, 4, v78
	v_cmp_eq_u32_e64 s3, 3, v79
	v_cndmask_b32_e64 v17, v17, v10, s4
	v_cndmask_b32_e64 v21, v1, v9, s2
	v_cndmask_b32_e64 v18, v18, v14, s4
	v_cndmask_b32_e64 v22, v5, v13, s2
	v_cndmask_b32_e64 v19, v19, v10, s3
	v_cndmask_b32_e32 v17, v17, v3, vcc_lo
	v_cndmask_b32_e64 v20, v20, v14, s3
	v_cndmask_b32_e32 v18, v18, v7, vcc_lo
	v_cmp_eq_u32_e32 vcc_lo, 4, v79
	v_cmp_eq_u32_e64 s3, 5, v79
	v_cmp_eq_u32_e64 s2, 2, v81
	v_cndmask_b32_e64 v21, v21, v2, s6
	v_cmp_eq_u32_e64 s4, 5, v78
	v_cndmask_b32_e32 v19, v19, v3, vcc_lo
	v_cndmask_b32_e32 v20, v20, v7, vcc_lo
	v_cmp_eq_u32_e32 vcc_lo, 6, v79
	s_delay_alu instid0(VALU_DEP_4) | instskip(NEXT) | instid1(VALU_DEP_4)
	v_cndmask_b32_e64 v17, v17, v11, s4
	v_cndmask_b32_e64 v19, v19, v11, s3
	s_delay_alu instid0(VALU_DEP_4) | instskip(SKIP_1) | instid1(VALU_DEP_3)
	v_cndmask_b32_e64 v20, v20, v15, s3
	v_cmp_eq_u32_e64 s3, 1, v81
	v_cndmask_b32_e32 v19, v19, v4, vcc_lo
	v_cndmask_b32_e64 v18, v18, v15, s4
	s_delay_alu instid0(VALU_DEP_3)
	v_cndmask_b32_e64 v1, v1, v9, s3
	v_cndmask_b32_e64 v5, v5, v13, s3
	v_cmp_eq_u32_e64 s3, 3, v77
	v_cndmask_b32_e64 v13, v22, v6, s6
	v_cmp_eq_u32_e64 s6, 3, v81
	v_cndmask_b32_e64 v1, v1, v2, s2
	v_cndmask_b32_e64 v2, v5, v6, s2
	;; [unrolled: 1-line block ×3, first 2 shown]
	v_cmp_eq_u32_e64 s2, 4, v77
	v_cndmask_b32_e64 v6, v13, v14, s3
	v_cndmask_b32_e64 v1, v1, v10, s6
	v_cmp_eq_u32_e64 s3, 4, v81
	v_cndmask_b32_e64 v2, v2, v14, s6
	v_cndmask_b32_e64 v5, v9, v3, s2
	;; [unrolled: 3-line block ×3, first 2 shown]
	v_cndmask_b32_e64 v2, v2, v7, s3
	v_cmp_eq_u32_e64 s2, 5, v81
	v_cmp_eq_u32_e64 s4, 6, v78
	v_cndmask_b32_e64 v5, v5, v11, s6
	v_cmp_eq_u32_e64 s3, 6, v77
	v_cndmask_b32_e64 v3, v6, v15, s6
	v_cndmask_b32_e64 v1, v1, v11, s2
	v_cmp_eq_u32_e64 s6, 6, v81
	v_cndmask_b32_e64 v2, v2, v15, s2
	v_cndmask_b32_e64 v17, v17, v4, s4
	v_cndmask_b32_e64 v18, v18, v8, s4
	v_cmp_eq_u32_e64 s4, 7, v78
	v_cndmask_b32_e64 v5, v5, v4, s3
	;; [unrolled: 4-line block ×3, first 2 shown]
	v_cmp_eq_u32_e64 s3, 7, v77
	v_cndmask_b32_e32 v4, v20, v8, vcc_lo
	v_cndmask_b32_e64 v17, v17, v12, s4
	v_cndmask_b32_e64 v19, v19, v12, s5
	;; [unrolled: 1-line block ×8, first 2 shown]
	s_mov_b32 s2, exec_lo
	v_perm_b32 v4, v2, v1, 0x5040100
	v_perm_b32 v3, v3, v5, 0x5040100
	;; [unrolled: 1-line block ×4, first 2 shown]
	ds_store_b128 v76, v[1:4]
	s_waitcnt lgkmcnt(0)
	s_barrier
	buffer_gl0_inv
	v_cmpx_gt_u32_e32 32, v0
	s_cbranch_execz .LBB1817_2
; %bb.111:
	s_load_b64 s[0:1], s[0:1], 0x68
	v_lshlrev_b32_e32 v0, 10, v0
	s_lshl_b32 s4, s34, 7
	v_or_b32_e32 v3, s29, v74
	s_mul_i32 s2, s4, s30
	v_lshlrev_b32_e32 v1, 4, v75
	s_mul_i32 s2, s2, s7
	v_lshlrev_b32_e32 v2, 6, v74
	v_and_b32_e32 v0, 0x3800, v0
	s_ashr_i32 s3, s2, 31
	v_mul_lo_u32 v4, v3, s4
	s_lshl_b64 s[2:3], s[2:3], 1
	s_delay_alu instid0(VALU_DEP_2) | instskip(NEXT) | instid1(VALU_DEP_2)
	v_or3_b32 v16, v0, v1, v2
	v_ashrrev_i32_e32 v5, 31, v4
	ds_load_b128 v[0:3], v16
	s_waitcnt lgkmcnt(0)
	s_add_u32 s2, s0, s2
	s_addc_u32 s3, s1, s3
	s_lshl_b32 s0, s14, 7
	v_lshlrev_b64 v[5:6], 1, v[4:5]
	s_ashr_i32 s1, s0, 31
	s_delay_alu instid0(SALU_CYCLE_1) | instskip(NEXT) | instid1(SALU_CYCLE_1)
	s_lshl_b64 s[0:1], s[0:1], 1
	s_add_u32 s0, s2, s0
	s_addc_u32 s1, s3, s1
	s_lshl_b32 s2, s34, 8
	v_add_co_u32 v30, s0, s0, v73
	v_add_nc_u32_e32 v8, s2, v4
	v_add_co_ci_u32_e64 v31, null, s1, 0, s0
	s_delay_alu instid0(VALU_DEP_3) | instskip(NEXT) | instid1(VALU_DEP_3)
	v_add_co_u32 v12, vcc_lo, v30, v5
	v_add_nc_u32_e32 v10, s2, v8
	v_ashrrev_i32_e32 v9, 31, v8
	s_delay_alu instid0(VALU_DEP_4)
	v_add_co_ci_u32_e32 v13, vcc_lo, v31, v6, vcc_lo
	ds_load_b128 v[4:7], v16 offset:128
	v_ashrrev_i32_e32 v11, 31, v10
	v_lshlrev_b64 v[8:9], 1, v[8:9]
	v_add_nc_u32_e32 v14, s2, v10
	global_store_b128 v[12:13], v[0:3], off
	v_lshlrev_b64 v[0:1], 1, v[10:11]
	v_ashrrev_i32_e32 v15, 31, v14
	v_add_co_u32 v22, vcc_lo, v30, v8
	v_add_nc_u32_e32 v20, s2, v14
	v_add_co_ci_u32_e32 v23, vcc_lo, v31, v9, vcc_lo
	v_add_co_u32 v26, vcc_lo, v30, v0
	v_lshlrev_b64 v[24:25], 1, v[14:15]
	v_add_co_ci_u32_e32 v27, vcc_lo, v31, v1, vcc_lo
	ds_load_b128 v[0:3], v16 offset:256
	ds_load_b128 v[8:11], v16 offset:384
	;; [unrolled: 1-line block ×4, first 2 shown]
	v_add_nc_u32_e32 v28, s2, v20
	v_ashrrev_i32_e32 v21, 31, v20
	v_add_co_u32 v24, vcc_lo, v30, v24
	v_add_co_ci_u32_e32 v25, vcc_lo, v31, v25, vcc_lo
	s_delay_alu instid0(VALU_DEP_4) | instskip(NEXT) | instid1(VALU_DEP_4)
	v_ashrrev_i32_e32 v29, 31, v28
	v_lshlrev_b64 v[20:21], 1, v[20:21]
	s_delay_alu instid0(VALU_DEP_2) | instskip(NEXT) | instid1(VALU_DEP_2)
	v_lshlrev_b64 v[28:29], 1, v[28:29]
	v_add_co_u32 v20, vcc_lo, v30, v20
	s_delay_alu instid0(VALU_DEP_3) | instskip(NEXT) | instid1(VALU_DEP_3)
	v_add_co_ci_u32_e32 v21, vcc_lo, v31, v21, vcc_lo
	v_add_co_u32 v28, vcc_lo, v30, v28
	s_delay_alu instid0(VALU_DEP_4)
	v_add_co_ci_u32_e32 v29, vcc_lo, v31, v29, vcc_lo
	s_waitcnt lgkmcnt(4)
	global_store_b128 v[22:23], v[4:7], off
	s_waitcnt lgkmcnt(3)
	global_store_b128 v[26:27], v[0:3], off
	;; [unrolled: 2-line block ×5, first 2 shown]
	s_nop 0
	s_sendmsg sendmsg(MSG_DEALLOC_VGPRS)
	s_endpgm
	.section	.rodata,"a",@progbits
	.p2align	6, 0x0
	.amdhsa_kernel _Z39paged_attention_ll4mi_QKV_mfma16_kernelI14__hip_bfloat16hLN4vllm18Fp8KVCacheDataTypeE1EhLi16ELi128ELi256ELb0ELi12EL8MFMAType0EEvPKT_PKT0_S9_ifPKiSB_SB_iPKfiiiPfSE_PS4_PT2_iSD_SD_
		.amdhsa_group_segment_fixed_size 17472
		.amdhsa_private_segment_fixed_size 0
		.amdhsa_kernarg_size 400
		.amdhsa_user_sgpr_count 13
		.amdhsa_user_sgpr_dispatch_ptr 0
		.amdhsa_user_sgpr_queue_ptr 0
		.amdhsa_user_sgpr_kernarg_segment_ptr 1
		.amdhsa_user_sgpr_dispatch_id 0
		.amdhsa_user_sgpr_private_segment_size 0
		.amdhsa_wavefront_size32 1
		.amdhsa_uses_dynamic_stack 0
		.amdhsa_enable_private_segment 0
		.amdhsa_system_sgpr_workgroup_id_x 1
		.amdhsa_system_sgpr_workgroup_id_y 1
		.amdhsa_system_sgpr_workgroup_id_z 1
		.amdhsa_system_sgpr_workgroup_info 0
		.amdhsa_system_vgpr_workitem_id 0
		.amdhsa_next_free_vgpr 140
		.amdhsa_next_free_sgpr 36
		.amdhsa_reserve_vcc 1
		.amdhsa_float_round_mode_32 0
		.amdhsa_float_round_mode_16_64 0
		.amdhsa_float_denorm_mode_32 3
		.amdhsa_float_denorm_mode_16_64 3
		.amdhsa_dx10_clamp 1
		.amdhsa_ieee_mode 1
		.amdhsa_fp16_overflow 0
		.amdhsa_workgroup_processor_mode 1
		.amdhsa_memory_ordered 1
		.amdhsa_forward_progress 0
		.amdhsa_shared_vgpr_count 0
		.amdhsa_exception_fp_ieee_invalid_op 0
		.amdhsa_exception_fp_denorm_src 0
		.amdhsa_exception_fp_ieee_div_zero 0
		.amdhsa_exception_fp_ieee_overflow 0
		.amdhsa_exception_fp_ieee_underflow 0
		.amdhsa_exception_fp_ieee_inexact 0
		.amdhsa_exception_int_div_zero 0
	.end_amdhsa_kernel
	.section	.text._Z39paged_attention_ll4mi_QKV_mfma16_kernelI14__hip_bfloat16hLN4vllm18Fp8KVCacheDataTypeE1EhLi16ELi128ELi256ELb0ELi12EL8MFMAType0EEvPKT_PKT0_S9_ifPKiSB_SB_iPKfiiiPfSE_PS4_PT2_iSD_SD_,"axG",@progbits,_Z39paged_attention_ll4mi_QKV_mfma16_kernelI14__hip_bfloat16hLN4vllm18Fp8KVCacheDataTypeE1EhLi16ELi128ELi256ELb0ELi12EL8MFMAType0EEvPKT_PKT0_S9_ifPKiSB_SB_iPKfiiiPfSE_PS4_PT2_iSD_SD_,comdat
.Lfunc_end1817:
	.size	_Z39paged_attention_ll4mi_QKV_mfma16_kernelI14__hip_bfloat16hLN4vllm18Fp8KVCacheDataTypeE1EhLi16ELi128ELi256ELb0ELi12EL8MFMAType0EEvPKT_PKT0_S9_ifPKiSB_SB_iPKfiiiPfSE_PS4_PT2_iSD_SD_, .Lfunc_end1817-_Z39paged_attention_ll4mi_QKV_mfma16_kernelI14__hip_bfloat16hLN4vllm18Fp8KVCacheDataTypeE1EhLi16ELi128ELi256ELb0ELi12EL8MFMAType0EEvPKT_PKT0_S9_ifPKiSB_SB_iPKfiiiPfSE_PS4_PT2_iSD_SD_
                                        ; -- End function
	.section	.AMDGPU.csdata,"",@progbits
; Kernel info:
; codeLenInByte = 8956
; NumSgprs: 38
; NumVgprs: 140
; ScratchSize: 0
; MemoryBound: 0
; FloatMode: 240
; IeeeMode: 1
; LDSByteSize: 17472 bytes/workgroup (compile time only)
; SGPRBlocks: 4
; VGPRBlocks: 17
; NumSGPRsForWavesPerEU: 38
; NumVGPRsForWavesPerEU: 140
; Occupancy: 10
; WaveLimiterHint : 1
; COMPUTE_PGM_RSRC2:SCRATCH_EN: 0
; COMPUTE_PGM_RSRC2:USER_SGPR: 13
; COMPUTE_PGM_RSRC2:TRAP_HANDLER: 0
; COMPUTE_PGM_RSRC2:TGID_X_EN: 1
; COMPUTE_PGM_RSRC2:TGID_Y_EN: 1
; COMPUTE_PGM_RSRC2:TGID_Z_EN: 1
; COMPUTE_PGM_RSRC2:TIDIG_COMP_CNT: 0
	.section	.text._Z39paged_attention_ll4mi_QKV_mfma16_kernelI14__hip_bfloat16hLN4vllm18Fp8KVCacheDataTypeE1EhLi16ELi128ELi256ELb0ELi13EL8MFMAType0EEvPKT_PKT0_S9_ifPKiSB_SB_iPKfiiiPfSE_PS4_PT2_iSD_SD_,"axG",@progbits,_Z39paged_attention_ll4mi_QKV_mfma16_kernelI14__hip_bfloat16hLN4vllm18Fp8KVCacheDataTypeE1EhLi16ELi128ELi256ELb0ELi13EL8MFMAType0EEvPKT_PKT0_S9_ifPKiSB_SB_iPKfiiiPfSE_PS4_PT2_iSD_SD_,comdat
	.protected	_Z39paged_attention_ll4mi_QKV_mfma16_kernelI14__hip_bfloat16hLN4vllm18Fp8KVCacheDataTypeE1EhLi16ELi128ELi256ELb0ELi13EL8MFMAType0EEvPKT_PKT0_S9_ifPKiSB_SB_iPKfiiiPfSE_PS4_PT2_iSD_SD_ ; -- Begin function _Z39paged_attention_ll4mi_QKV_mfma16_kernelI14__hip_bfloat16hLN4vllm18Fp8KVCacheDataTypeE1EhLi16ELi128ELi256ELb0ELi13EL8MFMAType0EEvPKT_PKT0_S9_ifPKiSB_SB_iPKfiiiPfSE_PS4_PT2_iSD_SD_
	.globl	_Z39paged_attention_ll4mi_QKV_mfma16_kernelI14__hip_bfloat16hLN4vllm18Fp8KVCacheDataTypeE1EhLi16ELi128ELi256ELb0ELi13EL8MFMAType0EEvPKT_PKT0_S9_ifPKiSB_SB_iPKfiiiPfSE_PS4_PT2_iSD_SD_
	.p2align	8
	.type	_Z39paged_attention_ll4mi_QKV_mfma16_kernelI14__hip_bfloat16hLN4vllm18Fp8KVCacheDataTypeE1EhLi16ELi128ELi256ELb0ELi13EL8MFMAType0EEvPKT_PKT0_S9_ifPKiSB_SB_iPKfiiiPfSE_PS4_PT2_iSD_SD_,@function
_Z39paged_attention_ll4mi_QKV_mfma16_kernelI14__hip_bfloat16hLN4vllm18Fp8KVCacheDataTypeE1EhLi16ELi128ELi256ELb0ELi13EL8MFMAType0EEvPKT_PKT0_S9_ifPKiSB_SB_iPKfiiiPfSE_PS4_PT2_iSD_SD_: ; @_Z39paged_attention_ll4mi_QKV_mfma16_kernelI14__hip_bfloat16hLN4vllm18Fp8KVCacheDataTypeE1EhLi16ELi128ELi256ELb0ELi13EL8MFMAType0EEvPKT_PKT0_S9_ifPKiSB_SB_iPKfiiiPfSE_PS4_PT2_iSD_SD_
; %bb.0:
	s_load_b64 s[4:5], s[0:1], 0x30
	s_mov_b32 s30, s13
	s_waitcnt lgkmcnt(0)
	s_cmp_lg_u64 s[4:5], 0
	s_cselect_b32 s13, -1, 0
	s_ashr_i32 s31, s30, 31
	s_cmp_eq_u64 s[4:5], 0
	s_cbranch_scc1 .LBB1818_3
; %bb.1:
	s_lshl_b64 s[2:3], s[30:31], 2
	s_delay_alu instid0(SALU_CYCLE_1) | instskip(SKIP_4) | instid1(SALU_CYCLE_1)
	s_add_u32 s2, s4, s2
	s_addc_u32 s3, s5, s3
	s_load_b64 s[2:3], s[2:3], 0x0
	s_waitcnt lgkmcnt(0)
	s_sub_i32 s2, s3, s2
	s_cmp_eq_u32 s2, 1
	s_cselect_b32 s2, -1, 0
	s_delay_alu instid0(SALU_CYCLE_1)
	s_and_not1_b32 vcc_lo, exec_lo, s2
	s_cbranch_vccz .LBB1818_4
.LBB1818_2:
	s_nop 0
	s_sendmsg sendmsg(MSG_DEALLOC_VGPRS)
	s_endpgm
.LBB1818_3:
.LBB1818_4:
	s_load_b64 s[2:3], s[0:1], 0x28
	s_lshl_b64 s[6:7], s[30:31], 2
	s_waitcnt lgkmcnt(0)
	s_add_u32 s2, s2, s6
	s_addc_u32 s3, s3, s7
	s_lshl_b32 s12, s14, 8
	s_load_b32 s17, s[2:3], 0x0
	s_waitcnt lgkmcnt(0)
	s_cmp_ge_i32 s12, s17
	s_cbranch_scc1 .LBB1818_2
; %bb.5:
	s_clause 0x1
	s_load_b128 s[8:11], s[0:1], 0x8
	s_load_b64 s[2:3], s[0:1], 0x20
	s_and_not1_b32 vcc_lo, exec_lo, s13
	s_cbranch_vccnz .LBB1818_7
; %bb.6:
	s_add_u32 s4, s4, s6
	s_addc_u32 s5, s5, s7
	s_load_b32 s13, s[4:5], 0x0
	s_branch .LBB1818_8
.LBB1818_7:
	s_mov_b32 s13, s30
.LBB1818_8:
	s_load_b128 s[4:7], s[0:1], 0x48
	v_and_b32_e32 v65, 15, v0
	v_lshrrev_b32_e32 v66, 5, v0
	v_bfe_u32 v74, v0, 4, 1
	v_and_b32_e32 v67, 31, v0
	v_and_b32_e32 v75, 1, v0
	v_lshlrev_b32_e32 v2, 3, v65
	s_mul_i32 s31, s15, 13
	v_lshl_or_b32 v1, v66, 1, v74
	s_waitcnt lgkmcnt(0)
	s_mov_b32 s7, exec_lo
	v_lshlrev_b32_e32 v73, 1, v2
	s_delay_alu instid0(VALU_DEP_2)
	v_cmpx_gt_u32_e32 13, v1
	s_cbranch_execz .LBB1818_10
; %bb.9:
	s_load_b64 s[18:19], s[0:1], 0x0
	v_add_lshl_u32 v2, v1, s31, 7
	s_mul_hi_i32 s21, s13, s4
	s_mul_i32 s20, s13, s4
	v_lshlrev_b32_e32 v6, 10, v65
	s_lshl_b64 s[20:21], s[20:21], 1
	v_ashrrev_i32_e32 v3, 31, v2
	v_lshlrev_b32_e32 v1, 6, v1
	v_lshlrev_b32_e32 v7, 10, v75
	v_and_b32_e32 v6, 0x3800, v6
	s_delay_alu instid0(VALU_DEP_4) | instskip(NEXT) | instid1(VALU_DEP_2)
	v_lshlrev_b64 v[2:3], 1, v[2:3]
	v_or3_b32 v1, v6, v7, v1
	s_waitcnt lgkmcnt(0)
	s_add_u32 s4, s18, s20
	s_addc_u32 s13, s19, s21
	s_delay_alu instid0(VALU_DEP_2) | instskip(SKIP_1) | instid1(VALU_DEP_2)
	v_add_co_u32 v2, vcc_lo, s4, v2
	v_add_co_ci_u32_e32 v3, vcc_lo, s13, v3, vcc_lo
	v_add_co_u32 v2, vcc_lo, v2, v73
	s_delay_alu instid0(VALU_DEP_2)
	v_add_co_ci_u32_e32 v3, vcc_lo, 0, v3, vcc_lo
	global_load_b128 v[2:5], v[2:3], off
	s_waitcnt vmcnt(0)
	ds_store_b128 v1, v[2:5]
.LBB1818_10:
	s_or_b32 exec_lo, exec_lo, s7
	v_and_b32_e32 v1, 0xef, v0
	s_add_i32 s4, s17, 15
	s_clause 0x1
	s_load_b32 s7, s[0:1], 0x38
	s_load_b32 s18, s[0:1], 0x1c
	s_ashr_i32 s13, s4, 31
	v_add_nc_u32_e32 v1, s12, v1
	s_lshr_b32 s13, s13, 28
	s_waitcnt lgkmcnt(0)
	s_add_i32 s4, s4, s13
	s_barrier
	v_ashrrev_i32_e32 v2, 31, v1
	v_or_b32_e32 v3, 16, v1
	s_ashr_i32 s4, s4, 4
	v_cmp_gt_i32_e32 vcc_lo, s17, v1
	s_add_i32 s4, s4, -1
	v_lshrrev_b32_e32 v2, 28, v2
	buffer_gl0_inv
	s_mul_i32 s15, s15, s6
	v_add_nc_u32_e32 v4, v1, v2
	s_mul_i32 s20, s30, s7
	s_delay_alu instid0(SALU_CYCLE_1) | instskip(NEXT) | instid1(VALU_DEP_1)
	s_ashr_i32 s21, s20, 31
	v_ashrrev_i32_e32 v4, 4, v4
	v_add_nc_u32_e32 v2, v3, v2
	s_lshl_b64 s[20:21], s[20:21], 2
	s_delay_alu instid0(SALU_CYCLE_1) | instskip(NEXT) | instid1(VALU_DEP_2)
	s_add_u32 s13, s2, s20
	v_cndmask_b32_e32 v1, s4, v4, vcc_lo
	s_delay_alu instid0(VALU_DEP_2)
	v_ashrrev_i32_e32 v2, 4, v2
	v_cmp_gt_i32_e32 vcc_lo, s17, v3
	s_addc_u32 s16, s3, s21
	s_ashr_i32 s19, s15, 31
	s_add_u32 s26, s8, s15
	s_addc_u32 s27, s9, s19
	v_cndmask_b32_e32 v3, s4, v2, vcc_lo
	v_ashrrev_i32_e32 v2, 31, v1
	s_lshl_b32 s2, s14, 4
	s_delay_alu instid0(SALU_CYCLE_1) | instskip(NEXT) | instid1(VALU_DEP_2)
	s_ashr_i32 s3, s2, 31
	v_ashrrev_i32_e32 v4, 31, v3
	s_delay_alu instid0(VALU_DEP_2) | instskip(SKIP_1) | instid1(SALU_CYCLE_1)
	v_lshlrev_b64 v[1:2], 2, v[1:2]
	s_lshl_b64 s[2:3], s[2:3], 2
	s_add_u32 s2, s13, s2
	s_delay_alu instid0(VALU_DEP_2) | instskip(SKIP_1) | instid1(VALU_DEP_2)
	v_lshlrev_b64 v[3:4], 2, v[3:4]
	s_addc_u32 s3, s16, s3
	v_add_co_u32 v1, vcc_lo, s13, v1
	v_add_co_ci_u32_e32 v2, vcc_lo, s16, v2, vcc_lo
	s_delay_alu instid0(VALU_DEP_3) | instskip(NEXT) | instid1(VALU_DEP_4)
	v_add_co_u32 v3, vcc_lo, s13, v3
	v_add_co_ci_u32_e32 v4, vcc_lo, s16, v4, vcc_lo
	s_clause 0x1
	global_load_b32 v5, v[1:2], off
	global_load_b32 v3, v[3:4], off
	s_or_b32 s6, s12, 32
	v_cmp_gt_u32_e32 vcc_lo, 13, v65
	s_ashr_i32 s7, s6, 4
	s_cmp_lt_i32 s6, s17
	s_cselect_b32 s6, s7, s4
	s_delay_alu instid0(SALU_CYCLE_1) | instskip(NEXT) | instid1(SALU_CYCLE_1)
	s_ashr_i32 s7, s6, 31
	s_lshl_b64 s[6:7], s[6:7], 2
	s_delay_alu instid0(SALU_CYCLE_1) | instskip(SKIP_2) | instid1(SALU_CYCLE_1)
	s_add_u32 s6, s13, s6
	s_addc_u32 s7, s16, s7
	s_or_b32 s8, s12, 64
	s_ashr_i32 s9, s8, 4
	s_cmp_lt_i32 s8, s17
	s_cselect_b32 s8, s9, s4
	s_delay_alu instid0(SALU_CYCLE_1) | instskip(NEXT) | instid1(SALU_CYCLE_1)
	s_ashr_i32 s9, s8, 31
	s_lshl_b64 s[8:9], s[8:9], 2
	s_delay_alu instid0(SALU_CYCLE_1) | instskip(SKIP_2) | instid1(SALU_CYCLE_1)
	s_add_u32 s8, s13, s8
	s_addc_u32 s9, s16, s9
	s_or_b32 s20, s12, 0x60
	;; [unrolled: 10-line block ×4, first 2 shown]
	s_ashr_i32 s25, s24, 4
	s_cmp_lt_i32 s24, s17
	s_cselect_b32 s24, s25, s4
	s_delay_alu instid0(SALU_CYCLE_1) | instskip(NEXT) | instid1(SALU_CYCLE_1)
	s_ashr_i32 s25, s24, 31
	s_lshl_b64 s[24:25], s[24:25], 2
	s_delay_alu instid0(SALU_CYCLE_1)
	s_add_u32 s24, s13, s24
	s_addc_u32 s25, s16, s25
	s_clause 0x5
	s_load_b32 s28, s[2:3], 0x0
	s_load_b32 s29, s[6:7], 0x0
	;; [unrolled: 1-line block ×6, first 2 shown]
	s_mov_b32 s20, 0
	s_or_b32 s2, s12, 0xc0
	s_mov_b32 s21, s20
	s_mov_b32 s22, s20
	;; [unrolled: 1-line block ×5, first 2 shown]
	v_lshlrev_b32_e32 v1, 4, v0
	s_ashr_i32 s3, s2, 4
	s_cmp_lt_i32 s2, s17
	s_cselect_b32 s2, s3, s4
	s_delay_alu instid0(VALU_DEP_1) | instskip(SKIP_1) | instid1(SALU_CYCLE_1)
	v_and_b32_e32 v1, 0xf0, v1
	s_ashr_i32 s3, s2, 31
	s_lshl_b64 s[2:3], s[2:3], 2
	s_delay_alu instid0(VALU_DEP_1) | instskip(NEXT) | instid1(VALU_DEP_1)
	v_add_co_u32 v1, s26, s26, v1
	v_add_co_ci_u32_e64 v2, null, s27, 0, s26
	s_add_u32 s2, s13, s2
	s_addc_u32 s3, s16, s3
	s_or_b32 s6, s12, 0xe0
	s_mov_b32 s27, s20
	s_ashr_i32 s7, s6, 4
	s_cmp_lt_i32 s6, s17
	s_mov_b32 s26, s20
	v_dual_mov_b32 v107, s27 :: v_dual_mov_b32 v100, s20
	s_cselect_b32 s6, s7, s4
	v_mov_b32_e32 v106, s26
	s_ashr_i32 s7, s6, 31
	v_mov_b32_e32 v104, s24
	s_lshl_b64 s[6:7], s[6:7], 2
	v_dual_mov_b32 v103, s23 :: v_dual_mov_b32 v102, s22
	v_mov_b32_e32 v101, s21
	s_waitcnt vmcnt(1)
	v_mad_i64_i32 v[33:34], null, v5, s5, v[1:2]
	s_waitcnt vmcnt(0)
	v_mad_i64_i32 v[35:36], null, v3, s5, v[1:2]
	s_clause 0xf
	global_load_b128 v[1:4], v[33:34], off
	global_load_b128 v[5:8], v[33:34], off offset:256
	global_load_b128 v[9:12], v[35:36], off
	global_load_b128 v[13:16], v[35:36], off offset:256
	global_load_b128 v[17:20], v[33:34], off offset:512
	;; [unrolled: 1-line block ×13, first 2 shown]
	v_add_nc_u32_e32 v33, -13, v65
	v_lshlrev_b32_e32 v34, 4, v65
	s_delay_alu instid0(VALU_DEP_2) | instskip(SKIP_1) | instid1(VALU_DEP_3)
	v_cndmask_b32_e32 v33, v33, v65, vcc_lo
	v_mov_b32_e32 v105, s25
	v_lshl_or_b32 v41, v66, 8, v34
	s_delay_alu instid0(VALU_DEP_3)
	v_lshlrev_b32_e32 v72, 6, v33
	ds_load_b128 v[33:36], v72
	ds_load_b128 v[37:40], v72 offset:1024
	ds_load_b128 v[108:111], v72 offset:2048
	;; [unrolled: 1-line block ×3, first 2 shown]
	s_load_b32 s4, s[2:3], 0x0
	s_add_u32 s2, s13, s6
	s_addc_u32 s3, s16, s7
	ds_load_b128 v[116:119], v72 offset:4096
	ds_load_b128 v[120:123], v72 offset:5120
	s_load_b32 s2, s[2:3], 0x0
	s_add_u32 s6, s10, s15
	s_addc_u32 s7, s11, s19
	v_add_co_u32 v68, s6, s6, v41
	s_delay_alu instid0(VALU_DEP_1) | instskip(SKIP_1) | instid1(VALU_DEP_1)
	v_add_co_ci_u32_e64 v69, null, s7, 0, s6
	s_waitcnt lgkmcnt(0)
	v_mad_i64_i32 v[41:42], null, s28, s5, v[68:69]
	v_mad_i64_i32 v[70:71], null, s8, s5, v[68:69]
	;; [unrolled: 1-line block ×7, first 2 shown]
	s_clause 0x3
	global_load_b128 v[49:52], v[41:42], off
	global_load_b128 v[53:56], v[41:42], off offset:16
	global_load_b128 v[41:44], v[45:46], off
	global_load_b128 v[45:48], v[45:46], off offset:16
	s_waitcnt vmcnt(18)
	v_wmma_f32_16x16x16_bf16 v[124:131], v[1:8], v[33:40], v[100:107]
	s_waitcnt vmcnt(16)
	v_wmma_f32_16x16x16_bf16 v[100:107], v[9:16], v[33:40], v[100:107]
	s_clause 0x1
	global_load_b128 v[33:36], v[70:71], off
	global_load_b128 v[37:40], v[70:71], off offset:16
	v_mad_i64_i32 v[70:71], null, s2, s5, v[68:69]
	s_waitcnt vmcnt(16)
	v_wmma_f32_16x16x16_bf16 v[124:131], v[17:24], v[108:115], v[124:131]
	s_waitcnt vmcnt(14)
	v_wmma_f32_16x16x16_bf16 v[100:107], v[25:32], v[108:115], v[100:107]
	s_clause 0x7
	global_load_b128 v[25:28], v[132:133], off
	global_load_b128 v[29:32], v[132:133], off offset:16
	global_load_b128 v[1:4], v[134:135], off
	global_load_b128 v[5:8], v[134:135], off offset:16
	global_load_b128 v[9:12], v[136:137], off
	global_load_b128 v[13:16], v[136:137], off offset:16
	global_load_b128 v[17:20], v[138:139], off
	global_load_b128 v[21:24], v[138:139], off offset:16
	s_waitcnt vmcnt(20)
	v_wmma_f32_16x16x16_bf16 v[124:131], v[57:64], v[116:123], v[124:131]
	s_clause 0x1
	global_load_b128 v[57:60], v[70:71], off
	global_load_b128 v[61:64], v[70:71], off offset:16
	s_waitcnt vmcnt(20)
	v_wmma_f32_16x16x16_bf16 v[100:107], v[76:83], v[116:123], v[100:107]
	ds_load_b128 v[76:79], v72 offset:6144
	ds_load_b128 v[80:83], v72 offset:7168
	v_and_b32_e32 v68, 0xe0, v0
	v_mbcnt_lo_u32_b32 v69, -1, 0
	s_waitcnt vmcnt(0) lgkmcnt(0)
	s_barrier
	buffer_gl0_inv
	v_add_nc_u32_e32 v68, s12, v68
	v_xor_b32_e32 v70, 16, v69
	s_delay_alu instid0(VALU_DEP_2) | instskip(NEXT) | instid1(VALU_DEP_2)
	v_or_b32_e32 v68, v68, v74
	v_cmp_gt_i32_e32 vcc_lo, 32, v70
	s_delay_alu instid0(VALU_DEP_2)
	v_or_b32_e32 v71, 4, v68
	v_or_b32_e32 v72, 6, v68
	v_cmp_gt_i32_e64 s2, s17, v68
	v_or_b32_e32 v108, 8, v68
	v_wmma_f32_16x16x16_bf16 v[124:131], v[84:91], v[76:83], v[124:131]
	v_cndmask_b32_e32 v69, v69, v70, vcc_lo
	v_or_b32_e32 v70, 2, v68
	v_wmma_f32_16x16x16_bf16 v[100:107], v[92:99], v[76:83], v[100:107]
	v_or_b32_e32 v109, 10, v68
	v_dual_mul_f32 v82, s18, v127 :: v_dual_mul_f32 v79, s18, v130
	v_dual_mul_f32 v92, s18, v125 :: v_dual_mul_f32 v93, s18, v124
	s_delay_alu instid0(VALU_DEP_4)
	v_mul_f32_e32 v98, s18, v103
	v_cmp_gt_i32_e32 vcc_lo, s17, v70
	v_or_b32_e32 v89, 22, v68
	v_dual_mul_f32 v83, s18, v126 :: v_dual_mul_f32 v96, s18, v105
	v_cndmask_b32_e64 v93, 0xff7fffff, v93, s2
	v_cndmask_b32_e32 v92, 0xff7fffff, v92, vcc_lo
	v_cmp_gt_i32_e64 s3, s17, v71
	v_cmp_gt_i32_e64 s4, s17, v72
	v_or_b32_e32 v84, 12, v68
	v_or_b32_e32 v85, 14, v68
	v_dual_mul_f32 v80, s18, v129 :: v_dual_mul_f32 v81, s18, v128
	v_mul_f32_e32 v94, s18, v107
	v_cndmask_b32_e64 v71, 0xff7fffff, v83, s3
	v_cndmask_b32_e64 v72, 0xff7fffff, v82, s4
	v_cmp_gt_i32_e64 s5, s17, v108
	v_cmp_gt_i32_e64 s6, s17, v109
	;; [unrolled: 1-line block ×3, first 2 shown]
	v_lshlrev_b32_e32 v89, 2, v69
	v_max3_f32 v82, v93, 0xff7fffff, v92
	v_or_b32_e32 v86, 16, v68
	v_or_b32_e32 v87, 18, v68
	v_mul_f32_e32 v78, s18, v131
	v_cndmask_b32_e64 v81, 0xff7fffff, v81, s5
	v_cndmask_b32_e64 v80, 0xff7fffff, v80, s6
	v_max3_f32 v71, v82, v71, v72
	v_cmp_gt_i32_e64 s7, s17, v84
	v_cmp_gt_i32_e64 s8, s17, v85
	v_or_b32_e32 v88, 20, v68
	v_or_b32_e32 v90, 24, v68
	;; [unrolled: 1-line block ×5, first 2 shown]
	v_dual_mul_f32 v95, s18, v106 :: v_dual_mul_f32 v70, s18, v101
	v_dual_mul_f32 v99, s18, v102 :: v_dual_mul_f32 v68, s18, v100
	v_cndmask_b32_e64 v72, 0xff7fffff, v79, s7
	v_cndmask_b32_e64 v78, 0xff7fffff, v78, s8
	v_max3_f32 v71, v71, v81, v80
	v_cmp_gt_i32_e64 s9, s17, v86
	v_cmp_gt_i32_e64 s10, s17, v87
	;; [unrolled: 1-line block ×3, first 2 shown]
	v_mul_f32_e32 v97, s18, v104
	v_max3_f32 v71, v71, v72, v78
	v_cndmask_b32_e64 v68, 0xff7fffff, v68, s9
	v_cndmask_b32_e64 v70, 0xff7fffff, v70, s10
	;; [unrolled: 1-line block ×4, first 2 shown]
	v_cmp_gt_i32_e64 s13, s17, v90
	v_cmp_gt_i32_e64 s15, s17, v91
	v_max3_f32 v68, v71, v68, v70
	v_cmp_gt_i32_e64 s16, s17, v76
	v_cmp_gt_i32_e64 s17, s17, v77
	v_cndmask_b32_e64 v70, 0xff7fffff, v97, s13
	v_cndmask_b32_e64 v71, 0xff7fffff, v96, s15
	v_max3_f32 v68, v68, v72, v78
	v_cndmask_b32_e64 v72, 0xff7fffff, v95, s16
	v_cndmask_b32_e64 v76, 0xff7fffff, v94, s17
	s_delay_alu instid0(VALU_DEP_3) | instskip(NEXT) | instid1(VALU_DEP_1)
	v_max3_f32 v68, v68, v70, v71
	v_max3_f32 v68, v68, v72, v76
	ds_bpermute_b32 v69, v89, v68
	s_waitcnt lgkmcnt(0)
	v_max_f32_e32 v69, v69, v69
	s_delay_alu instid0(VALU_DEP_1) | instskip(NEXT) | instid1(VALU_DEP_1)
	v_max_f32_e32 v68, v68, v69
	v_fma_f32 v69, s18, v124, -v68
	v_fma_f32 v70, s18, v125, -v68
	;; [unrolled: 1-line block ×5, first 2 shown]
	s_delay_alu instid0(VALU_DEP_4) | instskip(NEXT) | instid1(VALU_DEP_4)
	v_dual_mul_f32 v69, 0x3fb8aa3b, v69 :: v_dual_mul_f32 v70, 0x3fb8aa3b, v70
	v_mul_f32_e32 v72, 0x3fb8aa3b, v72
	v_fma_f32 v78, s18, v130, -v68
	s_delay_alu instid0(VALU_DEP_4) | instskip(NEXT) | instid1(VALU_DEP_4)
	v_mul_f32_e32 v77, 0x3fb8aa3b, v76
	v_exp_f32_e32 v69, v69
	v_exp_f32_e32 v70, v70
	v_mul_f32_e32 v71, 0x3fb8aa3b, v71
	v_exp_f32_e32 v72, v72
	v_mul_f32_e32 v78, 0x3fb8aa3b, v78
	v_exp_f32_e32 v77, v77
	v_fma_f32 v81, s18, v105, -v68
	s_delay_alu instid0(VALU_DEP_2)
	v_exp_f32_e32 v78, v78
	v_cndmask_b32_e64 v80, 0, v69, s2
	v_cndmask_b32_e32 v76, 0, v70, vcc_lo
	v_exp_f32_e32 v71, v71
	v_fma_f32 v69, s18, v129, -v68
	v_cndmask_b32_e64 v85, 0, v72, s4
	v_add_f32_e32 v70, 0, v80
	s_delay_alu instid0(TRANS32_DEP_3)
	v_cndmask_b32_e64 v86, 0, v77, s5
	v_fma_f32 v77, s18, v101, -v68
	v_mul_f32_e32 v69, 0x3fb8aa3b, v69
	v_fma_f32 v72, s18, v100, -v68
	v_cndmask_b32_e64 v84, 0, v78, s7
	v_fma_f32 v78, s18, v103, -v68
	v_cndmask_b32_e64 v83, 0, v71, s3
	v_fma_f32 v71, s18, v131, -v68
	v_add_f32_e32 v70, v70, v76
	v_exp_f32_e32 v69, v69
	v_mul_f32_e32 v77, 0x3fb8aa3b, v77
	v_mul_f32_e32 v81, 0x3fb8aa3b, v81
	;; [unrolled: 1-line block ×3, first 2 shown]
	v_add_f32_e32 v70, v70, v83
	v_cmp_gt_u32_e64 s2, 16, v67
	v_exp_f32_e32 v77, v77
	v_exp_f32_e32 v81, v81
	;; [unrolled: 1-line block ×3, first 2 shown]
	v_cndmask_b32_e64 v87, 0, v69, s6
	v_add_f32_e32 v70, v70, v85
	s_delay_alu instid0(VALU_DEP_1) | instskip(SKIP_1) | instid1(VALU_DEP_2)
	v_dual_mul_f32 v72, 0x3fb8aa3b, v72 :: v_dual_add_f32 v69, v70, v86
	v_fma_f32 v70, s18, v102, -v68
	v_exp_f32_e32 v72, v72
	s_waitcnt_depctr 0xfff
	v_cndmask_b32_e64 v88, 0, v71, s8
	v_fma_f32 v71, s18, v104, -v68
	v_dual_add_f32 v69, v69, v87 :: v_dual_mul_f32 v70, 0x3fb8aa3b, v70
	s_delay_alu instid0(VALU_DEP_2) | instskip(NEXT) | instid1(VALU_DEP_2)
	v_dual_mul_f32 v78, 0x3fb8aa3b, v78 :: v_dual_mul_f32 v71, 0x3fb8aa3b, v71
	v_add_f32_e32 v69, v69, v84
	s_delay_alu instid0(VALU_DEP_3) | instskip(SKIP_1) | instid1(VALU_DEP_3)
	v_exp_f32_e32 v79, v70
	v_cndmask_b32_e64 v70, 0, v72, s9
	v_exp_f32_e32 v78, v78
	v_exp_f32_e32 v82, v71
	v_add_f32_e32 v72, v69, v88
	v_cndmask_b32_e64 v69, 0, v77, s10
	v_fma_f32 v77, s18, v106, -v68
	s_delay_alu instid0(VALU_DEP_3) | instskip(NEXT) | instid1(TRANS32_DEP_3)
	v_add_f32_e32 v72, v72, v70
	v_cndmask_b32_e64 v71, 0, v79, s11
	s_delay_alu instid0(VALU_DEP_3) | instskip(NEXT) | instid1(VALU_DEP_3)
	v_mul_f32_e32 v77, 0x3fb8aa3b, v77
	v_add_f32_e32 v79, v72, v69
	s_delay_alu instid0(TRANS32_DEP_2) | instskip(NEXT) | instid1(VALU_DEP_3)
	v_cndmask_b32_e64 v72, 0, v78, s12
	v_exp_f32_e32 v90, v77
	v_cndmask_b32_e64 v77, 0, v82, s13
	s_delay_alu instid0(VALU_DEP_3) | instskip(SKIP_1) | instid1(VALU_DEP_1)
	v_add_f32_e32 v78, v79, v71
	v_fma_f32 v79, s18, v107, -v68
	v_dual_add_f32 v82, v78, v72 :: v_dual_mul_f32 v79, 0x3fb8aa3b, v79
	v_cndmask_b32_e64 v78, 0, v81, s15
	s_delay_alu instid0(VALU_DEP_2) | instskip(NEXT) | instid1(VALU_DEP_3)
	v_add_f32_e32 v81, v82, v77
	v_exp_f32_e32 v82, v79
	s_delay_alu instid0(TRANS32_DEP_2) | instskip(NEXT) | instid1(VALU_DEP_2)
	v_cndmask_b32_e64 v79, 0, v90, s16
	v_add_f32_e32 v81, v81, v78
	s_delay_alu instid0(VALU_DEP_1) | instskip(SKIP_2) | instid1(VALU_DEP_1)
	v_add_f32_e32 v90, v81, v79
	s_waitcnt_depctr 0xfff
	v_cndmask_b32_e64 v81, 0, v82, s17
	v_add_f32_e32 v82, v90, v81
	ds_bpermute_b32 v89, v89, v82
	s_and_saveexec_b32 s3, s2
	s_cbranch_execz .LBB1818_12
; %bb.11:
	v_mul_u32_u24_e32 v67, 0x44, v66
	s_delay_alu instid0(VALU_DEP_1) | instskip(SKIP_1) | instid1(VALU_DEP_1)
	v_lshl_add_u32 v67, v65, 2, v67
	s_waitcnt lgkmcnt(0)
	v_dual_add_f32 v82, v82, v89 :: v_dual_add_nc_u32 v67, 0x4000, v67
	ds_store_2addr_b32 v67, v68, v82 offset1:136
.LBB1818_12:
	s_or_b32 exec_lo, exec_lo, s3
	v_lshlrev_b32_e32 v67, 2, v65
	s_waitcnt lgkmcnt(0)
	s_barrier
	buffer_gl0_inv
	v_cmp_eq_u32_e32 vcc_lo, 1, v66
	v_add_nc_u32_e32 v82, 0x4000, v67
	v_cmp_eq_u32_e64 s3, 2, v66
	v_cmp_eq_u32_e64 s5, 7, v66
	ds_load_2addr_b32 v[89:90], v82 offset1:17
	ds_load_2addr_b32 v[91:92], v82 offset0:34 offset1:51
	ds_load_2addr_b32 v[93:94], v82 offset0:68 offset1:85
	;; [unrolled: 1-line block ×4, first 2 shown]
	s_waitcnt lgkmcnt(4)
	v_max3_f32 v67, v89, 0xff7fffff, v90
	s_waitcnt lgkmcnt(3)
	s_delay_alu instid0(VALU_DEP_1) | instskip(SKIP_1) | instid1(VALU_DEP_1)
	v_max3_f32 v67, v67, v91, v92
	s_waitcnt lgkmcnt(2)
	v_max3_f32 v67, v67, v93, v94
	s_waitcnt lgkmcnt(1)
	s_delay_alu instid0(VALU_DEP_1) | instskip(NEXT) | instid1(VALU_DEP_1)
	v_max3_f32 v67, v67, v95, v96
	v_sub_f32_e32 v93, v93, v67
	s_delay_alu instid0(VALU_DEP_1) | instskip(NEXT) | instid1(VALU_DEP_1)
	v_dual_sub_f32 v68, v89, v67 :: v_dual_mul_f32 v103, 0x3fb8aa3b, v93
	v_mul_f32_e32 v68, 0x3fb8aa3b, v68
	s_delay_alu instid0(VALU_DEP_1)
	v_exp_f32_e32 v100, v68
	v_sub_f32_e32 v68, v92, v67
	v_sub_f32_e32 v99, v90, v67
	ds_load_2addr_b32 v[89:90], v82 offset0:170 offset1:187
	v_dual_mul_f32 v102, 0x3fb8aa3b, v68 :: v_dual_mul_f32 v99, 0x3fb8aa3b, v99
	s_waitcnt lgkmcnt(1)
	v_fma_f32 v68, v100, v97, 0
	s_delay_alu instid0(VALU_DEP_2) | instskip(NEXT) | instid1(VALU_DEP_2)
	v_exp_f32_e32 v102, v102
	v_exp_f32_e32 v99, v99
	s_waitcnt_depctr 0xfff
	v_fmac_f32_e32 v68, v99, v98
	v_sub_f32_e32 v91, v91, v67
	s_delay_alu instid0(VALU_DEP_1)
	v_mul_f32_e32 v101, 0x3fb8aa3b, v91
	ds_load_2addr_b32 v[91:92], v82 offset0:204 offset1:221
	v_sub_f32_e32 v97, v94, v67
	ds_load_2addr_b32 v[93:94], v82 offset0:238 offset1:255
	s_waitcnt lgkmcnt(0)
	v_exp_f32_e32 v101, v101
	s_barrier
	buffer_gl0_inv
	v_dual_fmac_f32 v68, v101, v89 :: v_dual_sub_f32 v89, v96, v67
	v_dual_sub_f32 v82, v95, v67 :: v_dual_mul_f32 v95, 0x3fb8aa3b, v97
	v_exp_f32_e32 v97, v103
	s_delay_alu instid0(VALU_DEP_2) | instskip(NEXT) | instid1(VALU_DEP_2)
	v_dual_fmac_f32 v68, v102, v90 :: v_dual_mul_f32 v89, 0x3fb8aa3b, v89
	v_mul_f32_e32 v82, 0x3fb8aa3b, v82
	s_delay_alu instid0(VALU_DEP_3) | instskip(NEXT) | instid1(VALU_DEP_2)
	v_exp_f32_e32 v95, v95
	v_exp_f32_e32 v89, v89
	s_delay_alu instid0(VALU_DEP_1)
	v_exp_f32_e32 v82, v82
	v_fmac_f32_e32 v68, v97, v91
	s_delay_alu instid0(TRANS32_DEP_3) | instid1(VALU_DEP_1)
	v_fmac_f32_e32 v68, v95, v92
	s_waitcnt_depctr 0xfff
	v_fmac_f32_e32 v68, v82, v93
	s_delay_alu instid0(VALU_DEP_1) | instskip(NEXT) | instid1(VALU_DEP_1)
	v_fmac_f32_e32 v68, v89, v94
	v_add_f32_e32 v90, 0x358637bd, v68
	s_delay_alu instid0(VALU_DEP_1) | instskip(NEXT) | instid1(VALU_DEP_1)
	v_div_scale_f32 v91, null, v90, v90, 1.0
	v_rcp_f32_e32 v92, v91
	s_waitcnt_depctr 0xfff
	v_fma_f32 v93, -v91, v92, 1.0
	s_delay_alu instid0(VALU_DEP_1) | instskip(SKIP_1) | instid1(VALU_DEP_2)
	v_dual_fmac_f32 v92, v93, v92 :: v_dual_cndmask_b32 v93, v100, v99
	v_cmp_eq_u32_e32 vcc_lo, 3, v66
	v_cndmask_b32_e64 v93, v93, v101, s3
	v_cmp_eq_u32_e64 s3, 4, v66
	s_delay_alu instid0(VALU_DEP_2) | instskip(SKIP_1) | instid1(VALU_DEP_2)
	v_cndmask_b32_e32 v93, v93, v102, vcc_lo
	v_cmp_eq_u32_e32 vcc_lo, 5, v66
	v_cndmask_b32_e64 v93, v93, v97, s3
	v_cmp_eq_u32_e64 s3, 6, v66
	s_delay_alu instid0(VALU_DEP_2) | instskip(SKIP_1) | instid1(VALU_DEP_1)
	v_cndmask_b32_e32 v93, v93, v95, vcc_lo
	v_div_scale_f32 v94, s4, 1.0, v90, 1.0
	s_mov_b32 vcc_lo, s4
	s_delay_alu instid0(VALU_DEP_2) | instskip(NEXT) | instid1(VALU_DEP_2)
	v_cndmask_b32_e64 v82, v93, v82, s3
	v_mul_f32_e32 v96, v94, v92
	s_mov_b32 s3, exec_lo
	s_delay_alu instid0(VALU_DEP_2) | instskip(NEXT) | instid1(VALU_DEP_2)
	v_cndmask_b32_e64 v82, v82, v89, s5
	v_fma_f32 v98, -v91, v96, v94
	s_delay_alu instid0(VALU_DEP_1) | instskip(NEXT) | instid1(VALU_DEP_1)
	v_fmac_f32_e32 v96, v98, v92
	v_fma_f32 v91, -v91, v96, v94
	s_delay_alu instid0(VALU_DEP_1) | instskip(NEXT) | instid1(VALU_DEP_1)
	v_div_fmas_f32 v91, v91, v92, v96
	v_div_fixup_f32 v90, v91, v90, 1.0
	s_delay_alu instid0(VALU_DEP_1) | instskip(NEXT) | instid1(VALU_DEP_1)
	v_mul_f32_e32 v82, v82, v90
	v_mul_f32_e32 v87, v82, v87
	;; [unrolled: 1-line block ×7, first 2 shown]
	v_dual_mul_f32 v86, v82, v83 :: v_dual_and_b32 v91, 0x7f800000, v90
	v_mul_f32_e32 v85, v82, v76
                                        ; implicit-def: $vgpr76
	s_delay_alu instid0(VALU_DEP_2)
	v_cmpx_ne_u32_e32 0x7f800000, v91
	s_xor_b32 s3, exec_lo, s3
; %bb.13:
	v_bfe_u32 v76, v90, 16, 1
	s_delay_alu instid0(VALU_DEP_1)
	v_add3_u32 v76, v90, v76, 0x7fff
                                        ; implicit-def: $vgpr90
; %bb.14:
	s_and_not1_saveexec_b32 s3, s3
; %bb.15:
	v_and_b32_e32 v76, 0xffff, v90
	v_or_b32_e32 v83, 0x10000, v90
	s_delay_alu instid0(VALU_DEP_2) | instskip(NEXT) | instid1(VALU_DEP_2)
	v_cmp_eq_u32_e32 vcc_lo, 0, v76
	v_cndmask_b32_e32 v76, v83, v90, vcc_lo
; %bb.16:
	s_or_b32 exec_lo, exec_lo, s3
	v_and_b32_e32 v83, 0x7f800000, v85
	s_delay_alu instid0(VALU_DEP_1) | instskip(SKIP_1) | instid1(SALU_CYCLE_1)
	v_cmp_ne_u32_e32 vcc_lo, 0x7f800000, v83
                                        ; implicit-def: $vgpr83
	s_and_saveexec_b32 s3, vcc_lo
	s_xor_b32 s3, exec_lo, s3
; %bb.17:
	v_bfe_u32 v83, v85, 16, 1
	s_delay_alu instid0(VALU_DEP_1)
	v_add3_u32 v83, v85, v83, 0x7fff
                                        ; implicit-def: $vgpr85
; %bb.18:
	s_and_not1_saveexec_b32 s3, s3
; %bb.19:
	v_and_b32_e32 v83, 0xffff, v85
	v_or_b32_e32 v90, 0x10000, v85
	s_delay_alu instid0(VALU_DEP_2) | instskip(NEXT) | instid1(VALU_DEP_2)
	v_cmp_eq_u32_e32 vcc_lo, 0, v83
	v_cndmask_b32_e32 v83, v90, v85, vcc_lo
; %bb.20:
	s_or_b32 exec_lo, exec_lo, s3
	v_and_b32_e32 v85, 0x7f800000, v86
	s_delay_alu instid0(VALU_DEP_1) | instskip(SKIP_1) | instid1(SALU_CYCLE_1)
	v_cmp_ne_u32_e32 vcc_lo, 0x7f800000, v85
                                        ; implicit-def: $vgpr85
	s_and_saveexec_b32 s3, vcc_lo
	s_xor_b32 s3, exec_lo, s3
; %bb.21:
	v_bfe_u32 v85, v86, 16, 1
	s_delay_alu instid0(VALU_DEP_1)
	v_add3_u32 v85, v86, v85, 0x7fff
                                        ; implicit-def: $vgpr86
; %bb.22:
	s_and_not1_saveexec_b32 s3, s3
; %bb.23:
	v_and_b32_e32 v85, 0xffff, v86
	v_or_b32_e32 v90, 0x10000, v86
	s_delay_alu instid0(VALU_DEP_2) | instskip(NEXT) | instid1(VALU_DEP_2)
	v_cmp_eq_u32_e32 vcc_lo, 0, v85
	v_cndmask_b32_e32 v85, v90, v86, vcc_lo
; %bb.24:
	s_or_b32 exec_lo, exec_lo, s3
	v_and_b32_e32 v86, 0x7f800000, v89
	s_delay_alu instid0(VALU_DEP_1) | instskip(SKIP_1) | instid1(SALU_CYCLE_1)
	v_cmp_ne_u32_e32 vcc_lo, 0x7f800000, v86
                                        ; implicit-def: $vgpr86
	s_and_saveexec_b32 s3, vcc_lo
	s_xor_b32 s3, exec_lo, s3
; %bb.25:
	v_bfe_u32 v86, v89, 16, 1
	s_delay_alu instid0(VALU_DEP_1)
	v_add3_u32 v86, v89, v86, 0x7fff
                                        ; implicit-def: $vgpr89
; %bb.26:
	s_and_not1_saveexec_b32 s3, s3
; %bb.27:
	v_and_b32_e32 v86, 0xffff, v89
	v_or_b32_e32 v90, 0x10000, v89
	s_delay_alu instid0(VALU_DEP_2) | instskip(NEXT) | instid1(VALU_DEP_2)
	v_cmp_eq_u32_e32 vcc_lo, 0, v86
	v_cndmask_b32_e32 v86, v90, v89, vcc_lo
; %bb.28:
	s_or_b32 exec_lo, exec_lo, s3
	v_and_b32_e32 v89, 0x7f800000, v88
	s_delay_alu instid0(VALU_DEP_1) | instskip(SKIP_1) | instid1(SALU_CYCLE_1)
	v_cmp_ne_u32_e32 vcc_lo, 0x7f800000, v89
                                        ; implicit-def: $vgpr89
	s_and_saveexec_b32 s3, vcc_lo
	s_xor_b32 s3, exec_lo, s3
; %bb.29:
	v_bfe_u32 v89, v88, 16, 1
	s_delay_alu instid0(VALU_DEP_1)
	v_add3_u32 v89, v88, v89, 0x7fff
                                        ; implicit-def: $vgpr88
; %bb.30:
	s_and_not1_saveexec_b32 s3, s3
; %bb.31:
	v_and_b32_e32 v89, 0xffff, v88
	v_or_b32_e32 v90, 0x10000, v88
	s_delay_alu instid0(VALU_DEP_2) | instskip(NEXT) | instid1(VALU_DEP_2)
	v_cmp_eq_u32_e32 vcc_lo, 0, v89
	v_cndmask_b32_e32 v89, v90, v88, vcc_lo
; %bb.32:
	s_or_b32 exec_lo, exec_lo, s3
	v_and_b32_e32 v88, 0x7f800000, v87
	s_delay_alu instid0(VALU_DEP_1) | instskip(SKIP_1) | instid1(SALU_CYCLE_1)
	v_cmp_ne_u32_e32 vcc_lo, 0x7f800000, v88
                                        ; implicit-def: $vgpr88
	s_and_saveexec_b32 s3, vcc_lo
	s_xor_b32 s3, exec_lo, s3
; %bb.33:
	v_bfe_u32 v88, v87, 16, 1
	s_delay_alu instid0(VALU_DEP_1)
	v_add3_u32 v88, v87, v88, 0x7fff
                                        ; implicit-def: $vgpr87
; %bb.34:
	s_and_not1_saveexec_b32 s3, s3
; %bb.35:
	v_and_b32_e32 v88, 0xffff, v87
	v_or_b32_e32 v90, 0x10000, v87
	s_delay_alu instid0(VALU_DEP_2) | instskip(NEXT) | instid1(VALU_DEP_2)
	v_cmp_eq_u32_e32 vcc_lo, 0, v88
	v_cndmask_b32_e32 v88, v90, v87, vcc_lo
; %bb.36:
	s_or_b32 exec_lo, exec_lo, s3
	v_and_b32_e32 v87, 0x7f800000, v84
	s_delay_alu instid0(VALU_DEP_1) | instskip(SKIP_1) | instid1(SALU_CYCLE_1)
	v_cmp_ne_u32_e32 vcc_lo, 0x7f800000, v87
                                        ; implicit-def: $vgpr87
	s_and_saveexec_b32 s3, vcc_lo
	s_xor_b32 s3, exec_lo, s3
; %bb.37:
	v_bfe_u32 v87, v84, 16, 1
	s_delay_alu instid0(VALU_DEP_1)
	v_add3_u32 v87, v84, v87, 0x7fff
                                        ; implicit-def: $vgpr84
; %bb.38:
	s_and_not1_saveexec_b32 s3, s3
; %bb.39:
	v_and_b32_e32 v87, 0xffff, v84
	v_or_b32_e32 v90, 0x10000, v84
	s_delay_alu instid0(VALU_DEP_2) | instskip(NEXT) | instid1(VALU_DEP_2)
	v_cmp_eq_u32_e32 vcc_lo, 0, v87
	v_cndmask_b32_e32 v87, v90, v84, vcc_lo
; %bb.40:
	s_or_b32 exec_lo, exec_lo, s3
	v_and_b32_e32 v84, 0x7f800000, v80
	s_delay_alu instid0(VALU_DEP_1) | instskip(SKIP_1) | instid1(SALU_CYCLE_1)
	v_cmp_ne_u32_e32 vcc_lo, 0x7f800000, v84
                                        ; implicit-def: $vgpr84
	s_and_saveexec_b32 s3, vcc_lo
	s_xor_b32 s3, exec_lo, s3
; %bb.41:
	v_bfe_u32 v84, v80, 16, 1
	s_delay_alu instid0(VALU_DEP_1)
	v_add3_u32 v84, v80, v84, 0x7fff
                                        ; implicit-def: $vgpr80
; %bb.42:
	s_and_not1_saveexec_b32 s3, s3
; %bb.43:
	v_and_b32_e32 v84, 0xffff, v80
	v_or_b32_e32 v90, 0x10000, v80
	s_delay_alu instid0(VALU_DEP_2) | instskip(NEXT) | instid1(VALU_DEP_2)
	v_cmp_eq_u32_e32 vcc_lo, 0, v84
	v_cndmask_b32_e32 v84, v90, v80, vcc_lo
; %bb.44:
	s_or_b32 exec_lo, exec_lo, s3
	s_load_b64 s[34:35], s[0:1], 0x94
	v_lshlrev_b32_e32 v91, 4, v74
	s_delay_alu instid0(VALU_DEP_2)
	v_perm_b32 v90, v84, v87, 0x7060302
	v_dual_mul_f32 v79, v82, v79 :: v_dual_lshlrev_b32 v80, 6, v65
	v_dual_mul_f32 v77, v82, v77 :: v_dual_lshlrev_b32 v92, 11, v66
	v_mul_f32_e32 v84, v82, v70
	v_perm_b32 v89, v88, v89, 0x7060302
	v_perm_b32 v88, v86, v85, 0x7060302
	;; [unrolled: 1-line block ×3, first 2 shown]
	v_mul_f32_e32 v70, v82, v81
	v_or3_b32 v76, v91, v92, v80
	v_dual_mul_f32 v78, v82, v78 :: v_dual_and_b32 v85, 0x7f800000, v84
	v_mul_f32_e32 v83, v82, v72
	v_mul_f32_e32 v81, v82, v71
	;; [unrolled: 1-line block ×3, first 2 shown]
	s_mov_b32 s3, exec_lo
	ds_store_b128 v76, v[87:90]
                                        ; implicit-def: $vgpr69
	v_cmpx_ne_u32_e32 0x7f800000, v85
	s_xor_b32 s3, exec_lo, s3
; %bb.45:
	v_bfe_u32 v69, v84, 16, 1
	s_delay_alu instid0(VALU_DEP_1)
	v_add3_u32 v69, v84, v69, 0x7fff
                                        ; implicit-def: $vgpr84
; %bb.46:
	s_and_not1_saveexec_b32 s3, s3
; %bb.47:
	v_and_b32_e32 v69, 0xffff, v84
	v_or_b32_e32 v71, 0x10000, v84
	s_delay_alu instid0(VALU_DEP_2) | instskip(NEXT) | instid1(VALU_DEP_2)
	v_cmp_eq_u32_e32 vcc_lo, 0, v69
	v_cndmask_b32_e32 v69, v71, v84, vcc_lo
; %bb.48:
	s_or_b32 exec_lo, exec_lo, s3
	v_and_b32_e32 v71, 0x7f800000, v72
	s_delay_alu instid0(VALU_DEP_1) | instskip(SKIP_1) | instid1(SALU_CYCLE_1)
	v_cmp_ne_u32_e32 vcc_lo, 0x7f800000, v71
                                        ; implicit-def: $vgpr71
	s_and_saveexec_b32 s3, vcc_lo
	s_xor_b32 s3, exec_lo, s3
; %bb.49:
	v_bfe_u32 v71, v72, 16, 1
	s_delay_alu instid0(VALU_DEP_1)
	v_add3_u32 v71, v72, v71, 0x7fff
                                        ; implicit-def: $vgpr72
; %bb.50:
	s_and_not1_saveexec_b32 s3, s3
; %bb.51:
	v_and_b32_e32 v71, 0xffff, v72
	v_or_b32_e32 v82, 0x10000, v72
	s_delay_alu instid0(VALU_DEP_2) | instskip(NEXT) | instid1(VALU_DEP_2)
	v_cmp_eq_u32_e32 vcc_lo, 0, v71
	v_cndmask_b32_e32 v71, v82, v72, vcc_lo
; %bb.52:
	s_or_b32 exec_lo, exec_lo, s3
	v_and_b32_e32 v72, 0x7f800000, v81
	s_delay_alu instid0(VALU_DEP_1) | instskip(SKIP_1) | instid1(SALU_CYCLE_1)
	v_cmp_ne_u32_e32 vcc_lo, 0x7f800000, v72
                                        ; implicit-def: $vgpr72
	s_and_saveexec_b32 s3, vcc_lo
	s_xor_b32 s3, exec_lo, s3
; %bb.53:
	v_bfe_u32 v72, v81, 16, 1
	s_delay_alu instid0(VALU_DEP_1)
	v_add3_u32 v72, v81, v72, 0x7fff
                                        ; implicit-def: $vgpr81
; %bb.54:
	s_and_not1_saveexec_b32 s3, s3
; %bb.55:
	v_and_b32_e32 v72, 0xffff, v81
	v_or_b32_e32 v82, 0x10000, v81
	s_delay_alu instid0(VALU_DEP_2) | instskip(NEXT) | instid1(VALU_DEP_2)
	v_cmp_eq_u32_e32 vcc_lo, 0, v72
	v_cndmask_b32_e32 v72, v82, v81, vcc_lo
; %bb.56:
	s_or_b32 exec_lo, exec_lo, s3
	v_and_b32_e32 v81, 0x7f800000, v83
	s_delay_alu instid0(VALU_DEP_1) | instskip(SKIP_1) | instid1(SALU_CYCLE_1)
	v_cmp_ne_u32_e32 vcc_lo, 0x7f800000, v81
                                        ; implicit-def: $vgpr81
	s_and_saveexec_b32 s3, vcc_lo
	s_xor_b32 s3, exec_lo, s3
; %bb.57:
	v_bfe_u32 v81, v83, 16, 1
	s_delay_alu instid0(VALU_DEP_1)
	v_add3_u32 v81, v83, v81, 0x7fff
                                        ; implicit-def: $vgpr83
; %bb.58:
	s_and_not1_saveexec_b32 s3, s3
; %bb.59:
	v_and_b32_e32 v81, 0xffff, v83
	v_or_b32_e32 v82, 0x10000, v83
	s_delay_alu instid0(VALU_DEP_2) | instskip(NEXT) | instid1(VALU_DEP_2)
	v_cmp_eq_u32_e32 vcc_lo, 0, v81
	v_cndmask_b32_e32 v81, v82, v83, vcc_lo
; %bb.60:
	s_or_b32 exec_lo, exec_lo, s3
	v_and_b32_e32 v82, 0x7f800000, v77
	s_delay_alu instid0(VALU_DEP_1) | instskip(SKIP_1) | instid1(SALU_CYCLE_1)
	v_cmp_ne_u32_e32 vcc_lo, 0x7f800000, v82
                                        ; implicit-def: $vgpr82
	s_and_saveexec_b32 s3, vcc_lo
	s_xor_b32 s3, exec_lo, s3
; %bb.61:
	v_bfe_u32 v82, v77, 16, 1
	s_delay_alu instid0(VALU_DEP_1)
	v_add3_u32 v82, v77, v82, 0x7fff
                                        ; implicit-def: $vgpr77
; %bb.62:
	s_and_not1_saveexec_b32 s3, s3
; %bb.63:
	v_and_b32_e32 v82, 0xffff, v77
	v_or_b32_e32 v83, 0x10000, v77
	s_delay_alu instid0(VALU_DEP_2) | instskip(NEXT) | instid1(VALU_DEP_2)
	v_cmp_eq_u32_e32 vcc_lo, 0, v82
	v_cndmask_b32_e32 v82, v83, v77, vcc_lo
; %bb.64:
	s_or_b32 exec_lo, exec_lo, s3
	v_and_b32_e32 v77, 0x7f800000, v78
	s_delay_alu instid0(VALU_DEP_1) | instskip(SKIP_1) | instid1(SALU_CYCLE_1)
	v_cmp_ne_u32_e32 vcc_lo, 0x7f800000, v77
                                        ; implicit-def: $vgpr77
	s_and_saveexec_b32 s3, vcc_lo
	s_xor_b32 s3, exec_lo, s3
; %bb.65:
	v_bfe_u32 v77, v78, 16, 1
	s_delay_alu instid0(VALU_DEP_1)
	v_add3_u32 v77, v78, v77, 0x7fff
                                        ; implicit-def: $vgpr78
; %bb.66:
	s_and_not1_saveexec_b32 s3, s3
; %bb.67:
	v_and_b32_e32 v77, 0xffff, v78
	v_or_b32_e32 v83, 0x10000, v78
	s_delay_alu instid0(VALU_DEP_2) | instskip(NEXT) | instid1(VALU_DEP_2)
	v_cmp_eq_u32_e32 vcc_lo, 0, v77
	v_cndmask_b32_e32 v77, v83, v78, vcc_lo
; %bb.68:
	s_or_b32 exec_lo, exec_lo, s3
	v_and_b32_e32 v78, 0x7f800000, v79
	s_delay_alu instid0(VALU_DEP_1) | instskip(SKIP_1) | instid1(SALU_CYCLE_1)
	v_cmp_ne_u32_e32 vcc_lo, 0x7f800000, v78
                                        ; implicit-def: $vgpr78
	s_and_saveexec_b32 s3, vcc_lo
	s_xor_b32 s3, exec_lo, s3
; %bb.69:
	v_bfe_u32 v78, v79, 16, 1
	s_delay_alu instid0(VALU_DEP_1)
	v_add3_u32 v78, v79, v78, 0x7fff
                                        ; implicit-def: $vgpr79
; %bb.70:
	s_and_not1_saveexec_b32 s3, s3
; %bb.71:
	v_and_b32_e32 v78, 0xffff, v79
	v_or_b32_e32 v83, 0x10000, v79
	s_delay_alu instid0(VALU_DEP_2) | instskip(NEXT) | instid1(VALU_DEP_2)
	v_cmp_eq_u32_e32 vcc_lo, 0, v78
	v_cndmask_b32_e32 v78, v83, v79, vcc_lo
; %bb.72:
	s_or_b32 exec_lo, exec_lo, s3
	v_and_b32_e32 v79, 0x7f800000, v70
	s_delay_alu instid0(VALU_DEP_1) | instskip(SKIP_1) | instid1(SALU_CYCLE_1)
	v_cmp_ne_u32_e32 vcc_lo, 0x7f800000, v79
                                        ; implicit-def: $vgpr79
	s_and_saveexec_b32 s3, vcc_lo
	s_xor_b32 s3, exec_lo, s3
; %bb.73:
	v_bfe_u32 v79, v70, 16, 1
	s_delay_alu instid0(VALU_DEP_1)
	v_add3_u32 v79, v70, v79, 0x7fff
                                        ; implicit-def: $vgpr70
; %bb.74:
	s_and_not1_saveexec_b32 s3, s3
; %bb.75:
	v_and_b32_e32 v79, 0xffff, v70
	v_or_b32_e32 v83, 0x10000, v70
	s_delay_alu instid0(VALU_DEP_2) | instskip(NEXT) | instid1(VALU_DEP_2)
	v_cmp_eq_u32_e32 vcc_lo, 0, v79
	v_cndmask_b32_e32 v79, v83, v70, vcc_lo
; %bb.76:
	s_or_b32 exec_lo, exec_lo, s3
	s_delay_alu instid0(VALU_DEP_1)
	v_perm_b32 v86, v79, v78, 0x7060302
	v_perm_b32 v85, v77, v82, 0x7060302
	;; [unrolled: 1-line block ×4, first 2 shown]
	v_lshl_or_b32 v82, v66, 11, v80
	ds_store_b128 v76, v[83:86] offset:1024
	s_waitcnt lgkmcnt(0)
	s_barrier
	buffer_gl0_inv
	ds_load_b128 v[69:72], v82
	ds_load_b128 v[83:86], v82 offset:16
	s_waitcnt lgkmcnt(1)
	v_lshrrev_b32_e32 v66, 16, v69
	s_waitcnt lgkmcnt(0)
	v_lshrrev_b32_e32 v91, 16, v83
	v_lshlrev_b32_e32 v78, 2, v74
	v_lshrrev_b32_e32 v95, 16, v70
	v_lshrrev_b32_e32 v98, 16, v84
	;; [unrolled: 1-line block ×4, first 2 shown]
	v_cmp_eq_u32_e32 vcc_lo, 1, v78
	v_lshrrev_b32_e32 v97, 16, v72
	v_lshrrev_b32_e32 v100, 16, v86
	v_cndmask_b32_e32 v87, v83, v91, vcc_lo
	v_or_b32_e32 v79, 1, v78
	v_cndmask_b32_e32 v81, v69, v66, vcc_lo
	v_cmp_eq_u32_e64 s4, 2, v78
	v_cmp_eq_u32_e64 s7, 3, v78
	;; [unrolled: 1-line block ×5, first 2 shown]
	v_cndmask_b32_e64 v81, v81, v70, s4
	v_cndmask_b32_e64 v87, v87, v84, s4
	v_cmp_eq_u32_e64 s8, 3, v79
	v_cndmask_b32_e64 v88, v69, v66, s3
	v_or_b32_e32 v77, 2, v78
	v_cndmask_b32_e64 v81, v81, v95, s7
	v_cndmask_b32_e64 v87, v87, v98, s7
	;; [unrolled: 1-line block ×4, first 2 shown]
	v_cmp_eq_u32_e64 s10, 5, v78
	v_cndmask_b32_e64 v81, v81, v71, s9
	v_cndmask_b32_e64 v87, v87, v85, s9
	v_cmp_eq_u32_e64 s11, 4, v79
	v_cndmask_b32_e64 v88, v88, v95, s8
	v_cmp_eq_u32_e64 s5, 1, v77
	v_cndmask_b32_e64 v89, v89, v84, s6
	v_cndmask_b32_e64 v81, v81, v96, s10
	v_cmp_eq_u32_e64 s12, 6, v78
	v_cndmask_b32_e64 v88, v88, v71, s11
	v_cndmask_b32_e64 v87, v87, v99, s10
	v_cmp_eq_u32_e64 s13, 5, v79
	v_cndmask_b32_e64 v90, v69, v66, s5
	v_cndmask_b32_e64 v89, v89, v98, s8
	v_cndmask_b32_e64 v81, v81, v72, s12
	v_cmp_eq_u32_e64 s15, 7, v78
	v_cndmask_b32_e64 v88, v88, v96, s13
	v_cndmask_b32_e64 v87, v87, v86, s12
	v_cmp_eq_u32_e64 s16, 6, v79
	v_cmp_eq_u32_e64 s17, 2, v77
	v_cndmask_b32_e64 v89, v89, v85, s11
	v_cndmask_b32_e64 v101, v81, v97, s15
	;; [unrolled: 1-line block ×6, first 2 shown]
	v_cmp_eq_u32_e64 s18, 7, v79
	v_cmp_eq_u32_e64 s19, 3, v77
	;; [unrolled: 1-line block ×4, first 2 shown]
	v_cndmask_b32_e64 v87, v87, v84, s17
	v_cndmask_b32_e64 v103, v88, v97, s18
	v_cndmask_b32_e64 v88, v89, v99, s13
	v_cndmask_b32_e64 v89, v81, v95, s19
	v_or_b32_e32 v81, 3, v78
	v_cndmask_b32_e64 v93, v87, v98, s19
	v_cmp_eq_u32_e64 s24, 6, v77
	v_cndmask_b32_e64 v104, v88, v86, s16
	v_cndmask_b32_e64 v92, v89, v71, s20
	v_cmp_eq_u32_e64 s21, 1, v81
	ds_load_b128 v[87:90], v82 offset:1024
	v_cmp_eq_u32_e64 s23, 2, v81
	v_cmp_eq_u32_e64 s25, 3, v81
	v_cndmask_b32_e64 v105, v92, v96, s22
	v_cndmask_b32_e64 v66, v69, v66, s21
	;; [unrolled: 1-line block ×4, first 2 shown]
	ds_load_b128 v[91:94], v82 offset:1040
	v_cmp_eq_u32_e64 s26, 4, v81
	v_cndmask_b32_e64 v66, v66, v70, s23
	v_cmp_eq_u32_e64 s27, 7, v77
	v_cndmask_b32_e64 v70, v83, v84, s23
	v_cndmask_b32_e64 v84, v105, v72, s24
	v_cmp_eq_u32_e64 s28, 5, v81
	v_cndmask_b32_e64 v66, v66, v95, s25
	v_cmp_eq_u32_e64 s29, 6, v81
	v_cndmask_b32_e64 v70, v70, v98, s25
	v_cndmask_b32_e64 v69, v69, v99, s22
	;; [unrolled: 1-line block ×4, first 2 shown]
	s_waitcnt lgkmcnt(1)
	v_lshrrev_b32_e32 v95, 16, v87
	v_cndmask_b32_e64 v70, v70, v85, s26
	v_cndmask_b32_e64 v71, v84, v97, s27
	;; [unrolled: 1-line block ×4, first 2 shown]
	v_cndmask_b32_e32 v84, v87, v95, vcc_lo
	v_cndmask_b32_e64 v70, v70, v99, s28
	s_waitcnt lgkmcnt(0)
	v_lshrrev_b32_e32 v85, 16, v91
	v_lshrrev_b32_e32 v96, 16, v88
	v_cndmask_b32_e64 v98, v87, v95, s3
	v_cndmask_b32_e64 v84, v84, v88, s4
	;; [unrolled: 1-line block ×3, first 2 shown]
	v_cndmask_b32_e32 v99, v91, v85, vcc_lo
	v_cmp_eq_u32_e32 vcc_lo, 7, v81
	v_cndmask_b32_e64 v66, v66, v72, s29
	v_cndmask_b32_e64 v72, v84, v96, s7
	;; [unrolled: 1-line block ×3, first 2 shown]
	v_lshrrev_b32_e32 v98, 16, v92
	v_cndmask_b32_e32 v70, v70, v100, vcc_lo
	v_cndmask_b32_e64 v86, v99, v92, s4
	v_cndmask_b32_e64 v69, v69, v100, s27
	v_lshrrev_b32_e32 v100, 16, v93
	v_cndmask_b32_e64 v72, v72, v89, s9
	v_lshrrev_b32_e32 v99, 16, v89
	v_cndmask_b32_e64 v86, v86, v98, s7
	v_perm_b32 v71, v69, v71, 0x5040100
	v_cndmask_b32_e64 v84, v84, v96, s8
	s_delay_alu instid0(VALU_DEP_3) | instskip(NEXT) | instid1(VALU_DEP_2)
	v_cndmask_b32_e64 v86, v86, v93, s9
	v_cndmask_b32_e64 v84, v84, v89, s11
	s_delay_alu instid0(VALU_DEP_2) | instskip(NEXT) | instid1(VALU_DEP_1)
	v_cndmask_b32_e64 v86, v86, v100, s10
	v_cndmask_b32_e64 v69, v86, v94, s12
	v_cndmask_b32_e64 v86, v87, v95, s5
	v_cndmask_b32_e64 v87, v87, v95, s21
	v_cndmask_b32_e64 v95, v91, v85, s21
	s_delay_alu instid0(VALU_DEP_3) | instskip(NEXT) | instid1(VALU_DEP_3)
	v_cndmask_b32_e64 v86, v86, v88, s17
	v_cndmask_b32_e64 v87, v87, v88, s23
	s_delay_alu instid0(VALU_DEP_3) | instskip(NEXT) | instid1(VALU_DEP_3)
	v_cndmask_b32_e64 v88, v95, v92, s23
	v_cndmask_b32_e64 v86, v86, v96, s19
	;; [unrolled: 3-line block ×7, first 2 shown]
	s_delay_alu instid0(VALU_DEP_3) | instskip(SKIP_2) | instid1(VALU_DEP_2)
	v_cndmask_b32_e64 v88, v88, v94, s29
	v_cndmask_b32_e32 v66, v66, v97, vcc_lo
	v_cndmask_b32_e64 v97, v72, v99, s10
	v_perm_b32 v72, v70, v66, 0x5040100
	v_perm_b32 v70, v83, v103, 0x5040100
	v_cndmask_b32_e64 v103, v91, v85, s5
	v_cndmask_b32_e64 v85, v91, v85, s3
	;; [unrolled: 1-line block ×4, first 2 shown]
	v_lshrrev_b32_e32 v97, 16, v90
	v_cndmask_b32_e64 v91, v103, v92, s17
	v_cndmask_b32_e64 v85, v85, v92, s6
	;; [unrolled: 1-line block ×3, first 2 shown]
	s_mov_b32 s3, exec_lo
	v_cndmask_b32_e64 v83, v84, v97, s15
	v_cndmask_b32_e64 v91, v91, v98, s19
	;; [unrolled: 1-line block ×3, first 2 shown]
	v_lshrrev_b32_e32 v84, 16, v94
	v_cndmask_b32_e64 v66, v66, v97, s18
	v_cndmask_b32_e64 v90, v86, v97, s27
	;; [unrolled: 1-line block ×4, first 2 shown]
	v_dual_cndmask_b32 v86, v87, v97 :: v_dual_cndmask_b32 v87, v88, v84
	v_cndmask_b32_e64 v91, v69, v84, s15
	s_delay_alu instid0(VALU_DEP_4) | instskip(NEXT) | instid1(VALU_DEP_4)
	v_cndmask_b32_e64 v89, v89, v100, s22
	v_cndmask_b32_e64 v85, v85, v100, s13
	v_perm_b32 v69, v102, v101, 0x5040100
	v_perm_b32 v86, v87, v86, 0x5040100
	;; [unrolled: 1-line block ×3, first 2 shown]
	v_cndmask_b32_e64 v89, v89, v94, s24
	v_cndmask_b32_e64 v85, v85, v94, s16
	s_mul_i32 s8, s35, 13
	s_delay_alu instid0(VALU_DEP_2) | instskip(NEXT) | instid1(VALU_DEP_2)
	v_cndmask_b32_e64 v88, v89, v84, s27
	v_cndmask_b32_e64 v89, v85, v84, s18
	s_delay_alu instid0(VALU_DEP_2) | instskip(NEXT) | instid1(VALU_DEP_2)
	v_perm_b32 v85, v88, v90, 0x5040100
	v_perm_b32 v84, v89, v66, 0x5040100
	ds_store_b128 v76, v[69:72]
	ds_store_b128 v76, v[83:86] offset:1024
	v_cmpx_gt_u32_e32 13, v0
	s_cbranch_execz .LBB1818_78
; %bb.77:
	s_mul_i32 s4, s8, s30
	s_delay_alu instid0(SALU_CYCLE_1) | instskip(SKIP_1) | instid1(VALU_DEP_1)
	v_add3_u32 v69, s4, s31, v65
	s_load_b128 s[4:7], s[0:1], 0x58
	v_mad_u64_u32 v[65:66], null, v69, s34, s[14:15]
	s_delay_alu instid0(VALU_DEP_1) | instskip(NEXT) | instid1(VALU_DEP_1)
	v_ashrrev_i32_e32 v66, 31, v65
	v_lshlrev_b64 v[65:66], 2, v[65:66]
	s_waitcnt lgkmcnt(0)
	s_delay_alu instid0(VALU_DEP_1) | instskip(NEXT) | instid1(VALU_DEP_2)
	v_add_co_u32 v69, vcc_lo, s6, v65
	v_add_co_ci_u32_e32 v70, vcc_lo, s7, v66, vcc_lo
	v_add_co_u32 v65, vcc_lo, s4, v65
	v_add_co_ci_u32_e32 v66, vcc_lo, s5, v66, vcc_lo
	global_store_b32 v[69:70], v67, off
	global_store_b32 v[65:66], v68, off
.LBB1818_78:
	s_or_b32 exec_lo, exec_lo, s3
	s_waitcnt lgkmcnt(0)
	s_waitcnt_vscnt null, 0x0
	s_barrier
	buffer_gl0_inv
	ds_load_b128 v[83:86], v80
	ds_load_b128 v[87:90], v80 offset:16
	ds_load_b128 v[95:98], v80 offset:2064
	;; [unrolled: 1-line block ×3, first 2 shown]
	v_mov_b32_e32 v65, 0
	ds_load_b128 v[103:106], v80 offset:4112
	ds_load_b128 v[99:102], v80 offset:4096
	;; [unrolled: 1-line block ×4, first 2 shown]
	v_mov_b32_e32 v66, v65
	v_mov_b32_e32 v67, v65
	;; [unrolled: 1-line block ×7, first 2 shown]
	s_waitcnt lgkmcnt(6)
	s_delay_alu instid0(VALU_DEP_1)
	v_wmma_f32_16x16x16_bf16 v[65:72], v[49:56], v[83:90], v[65:72]
	ds_load_b128 v[53:56], v80 offset:8208
	ds_load_b128 v[49:52], v80 offset:8192
	s_waitcnt lgkmcnt(6)
	v_wmma_f32_16x16x16_bf16 v[65:72], v[41:48], v[91:98], v[65:72]
	ds_load_b128 v[45:48], v80 offset:10256
	ds_load_b128 v[41:44], v80 offset:10240
	s_waitcnt lgkmcnt(6)
	v_wmma_f32_16x16x16_bf16 v[65:72], v[33:40], v[99:106], v[65:72]
	ds_load_b128 v[37:40], v80 offset:12304
	ds_load_b128 v[33:36], v80 offset:12288
	s_waitcnt lgkmcnt(6)
	v_wmma_f32_16x16x16_bf16 v[65:72], v[25:32], v[107:114], v[65:72]
	ds_load_b128 v[29:32], v80 offset:14352
	ds_load_b128 v[25:28], v80 offset:14336
	s_waitcnt lgkmcnt(6)
	v_wmma_f32_16x16x16_bf16 v[65:72], v[1:8], v[49:56], v[65:72]
	s_waitcnt lgkmcnt(4)
	s_delay_alu instid0(VALU_DEP_1) | instskip(SKIP_1) | instid1(VALU_DEP_1)
	v_wmma_f32_16x16x16_bf16 v[65:72], v[9:16], v[41:48], v[65:72]
	s_waitcnt lgkmcnt(2)
	v_wmma_f32_16x16x16_bf16 v[65:72], v[17:24], v[33:40], v[65:72]
	s_waitcnt lgkmcnt(0)
	s_delay_alu instid0(VALU_DEP_1) | instskip(NEXT) | instid1(VALU_DEP_1)
	v_wmma_f32_16x16x16_bf16 v[65:72], v[57:64], v[25:32], v[65:72]
	v_and_b32_e32 v1, 0x7f800000, v65
	s_delay_alu instid0(VALU_DEP_1) | instskip(SKIP_1) | instid1(SALU_CYCLE_1)
	v_cmp_ne_u32_e32 vcc_lo, 0x7f800000, v1
                                        ; implicit-def: $vgpr1
	s_and_saveexec_b32 s3, vcc_lo
	s_xor_b32 s3, exec_lo, s3
; %bb.79:
	v_bfe_u32 v1, v65, 16, 1
	s_delay_alu instid0(VALU_DEP_1)
	v_add3_u32 v1, v65, v1, 0x7fff
; %bb.80:
	s_and_not1_saveexec_b32 s3, s3
; %bb.81:
	v_and_b32_e32 v1, 0xffff, v65
	v_or_b32_e32 v2, 0x10000, v65
	s_delay_alu instid0(VALU_DEP_2) | instskip(NEXT) | instid1(VALU_DEP_2)
	v_cmp_eq_u32_e32 vcc_lo, 0, v1
	v_cndmask_b32_e32 v1, v2, v65, vcc_lo
; %bb.82:
	s_or_b32 exec_lo, exec_lo, s3
	v_and_b32_e32 v2, 0x7f800000, v66
	s_delay_alu instid0(VALU_DEP_1) | instskip(SKIP_1) | instid1(SALU_CYCLE_1)
	v_cmp_ne_u32_e32 vcc_lo, 0x7f800000, v2
                                        ; implicit-def: $vgpr2
	s_and_saveexec_b32 s3, vcc_lo
	s_xor_b32 s3, exec_lo, s3
; %bb.83:
	v_bfe_u32 v2, v66, 16, 1
	s_delay_alu instid0(VALU_DEP_1)
	v_add3_u32 v2, v66, v2, 0x7fff
; %bb.84:
	s_and_not1_saveexec_b32 s3, s3
; %bb.85:
	v_and_b32_e32 v2, 0xffff, v66
	v_or_b32_e32 v3, 0x10000, v66
	s_delay_alu instid0(VALU_DEP_2) | instskip(NEXT) | instid1(VALU_DEP_2)
	v_cmp_eq_u32_e32 vcc_lo, 0, v2
	v_cndmask_b32_e32 v2, v3, v66, vcc_lo
; %bb.86:
	s_or_b32 exec_lo, exec_lo, s3
	v_and_b32_e32 v3, 0x7f800000, v67
	s_delay_alu instid0(VALU_DEP_1) | instskip(SKIP_1) | instid1(SALU_CYCLE_1)
	v_cmp_ne_u32_e32 vcc_lo, 0x7f800000, v3
                                        ; implicit-def: $vgpr3
	s_and_saveexec_b32 s3, vcc_lo
	s_xor_b32 s3, exec_lo, s3
; %bb.87:
	v_bfe_u32 v3, v67, 16, 1
	s_delay_alu instid0(VALU_DEP_1)
	v_add3_u32 v3, v67, v3, 0x7fff
; %bb.88:
	s_and_not1_saveexec_b32 s3, s3
; %bb.89:
	v_and_b32_e32 v3, 0xffff, v67
	v_or_b32_e32 v4, 0x10000, v67
	s_delay_alu instid0(VALU_DEP_2) | instskip(NEXT) | instid1(VALU_DEP_2)
	v_cmp_eq_u32_e32 vcc_lo, 0, v3
	v_cndmask_b32_e32 v3, v4, v67, vcc_lo
; %bb.90:
	s_or_b32 exec_lo, exec_lo, s3
	v_and_b32_e32 v4, 0x7f800000, v68
	s_delay_alu instid0(VALU_DEP_1) | instskip(SKIP_1) | instid1(SALU_CYCLE_1)
	v_cmp_ne_u32_e32 vcc_lo, 0x7f800000, v4
                                        ; implicit-def: $vgpr4
	s_and_saveexec_b32 s3, vcc_lo
	s_xor_b32 s3, exec_lo, s3
; %bb.91:
	v_bfe_u32 v4, v68, 16, 1
	s_delay_alu instid0(VALU_DEP_1)
	v_add3_u32 v4, v68, v4, 0x7fff
; %bb.92:
	s_and_not1_saveexec_b32 s3, s3
; %bb.93:
	v_and_b32_e32 v4, 0xffff, v68
	v_or_b32_e32 v5, 0x10000, v68
	s_delay_alu instid0(VALU_DEP_2) | instskip(NEXT) | instid1(VALU_DEP_2)
	v_cmp_eq_u32_e32 vcc_lo, 0, v4
	v_cndmask_b32_e32 v4, v5, v68, vcc_lo
; %bb.94:
	s_or_b32 exec_lo, exec_lo, s3
	v_and_b32_e32 v5, 0x7f800000, v69
	s_delay_alu instid0(VALU_DEP_1) | instskip(SKIP_1) | instid1(SALU_CYCLE_1)
	v_cmp_ne_u32_e32 vcc_lo, 0x7f800000, v5
                                        ; implicit-def: $vgpr5
	s_and_saveexec_b32 s3, vcc_lo
	s_xor_b32 s3, exec_lo, s3
; %bb.95:
	v_bfe_u32 v5, v69, 16, 1
	s_delay_alu instid0(VALU_DEP_1)
	v_add3_u32 v5, v69, v5, 0x7fff
; %bb.96:
	s_and_not1_saveexec_b32 s3, s3
; %bb.97:
	v_and_b32_e32 v5, 0xffff, v69
	v_or_b32_e32 v6, 0x10000, v69
	s_delay_alu instid0(VALU_DEP_2) | instskip(NEXT) | instid1(VALU_DEP_2)
	v_cmp_eq_u32_e32 vcc_lo, 0, v5
	v_cndmask_b32_e32 v5, v6, v69, vcc_lo
; %bb.98:
	s_or_b32 exec_lo, exec_lo, s3
	v_and_b32_e32 v6, 0x7f800000, v70
	s_delay_alu instid0(VALU_DEP_1) | instskip(SKIP_1) | instid1(SALU_CYCLE_1)
	v_cmp_ne_u32_e32 vcc_lo, 0x7f800000, v6
                                        ; implicit-def: $vgpr6
	s_and_saveexec_b32 s3, vcc_lo
	s_xor_b32 s3, exec_lo, s3
; %bb.99:
	v_bfe_u32 v6, v70, 16, 1
	s_delay_alu instid0(VALU_DEP_1)
	v_add3_u32 v6, v70, v6, 0x7fff
; %bb.100:
	s_and_not1_saveexec_b32 s3, s3
; %bb.101:
	v_and_b32_e32 v6, 0xffff, v70
	v_or_b32_e32 v7, 0x10000, v70
	s_delay_alu instid0(VALU_DEP_2) | instskip(NEXT) | instid1(VALU_DEP_2)
	v_cmp_eq_u32_e32 vcc_lo, 0, v6
	v_cndmask_b32_e32 v6, v7, v70, vcc_lo
; %bb.102:
	s_or_b32 exec_lo, exec_lo, s3
	v_and_b32_e32 v7, 0x7f800000, v71
	s_delay_alu instid0(VALU_DEP_1) | instskip(SKIP_1) | instid1(SALU_CYCLE_1)
	v_cmp_ne_u32_e32 vcc_lo, 0x7f800000, v7
                                        ; implicit-def: $vgpr7
	s_and_saveexec_b32 s3, vcc_lo
	s_xor_b32 s3, exec_lo, s3
; %bb.103:
	v_bfe_u32 v7, v71, 16, 1
	s_delay_alu instid0(VALU_DEP_1)
	v_add3_u32 v7, v71, v7, 0x7fff
; %bb.104:
	s_and_not1_saveexec_b32 s3, s3
; %bb.105:
	v_and_b32_e32 v7, 0xffff, v71
	v_or_b32_e32 v8, 0x10000, v71
	s_delay_alu instid0(VALU_DEP_2) | instskip(NEXT) | instid1(VALU_DEP_2)
	v_cmp_eq_u32_e32 vcc_lo, 0, v7
	v_cndmask_b32_e32 v7, v8, v71, vcc_lo
; %bb.106:
	s_or_b32 exec_lo, exec_lo, s3
	v_and_b32_e32 v8, 0x7f800000, v72
	s_delay_alu instid0(VALU_DEP_1) | instskip(SKIP_1) | instid1(SALU_CYCLE_1)
	v_cmp_ne_u32_e32 vcc_lo, 0x7f800000, v8
                                        ; implicit-def: $vgpr8
	s_and_saveexec_b32 s3, vcc_lo
	s_xor_b32 s3, exec_lo, s3
; %bb.107:
	v_bfe_u32 v8, v72, 16, 1
	s_delay_alu instid0(VALU_DEP_1)
	v_add3_u32 v8, v72, v8, 0x7fff
                                        ; implicit-def: $vgpr65_vgpr66_vgpr67_vgpr68_vgpr69_vgpr70_vgpr71_vgpr72
; %bb.108:
	s_and_not1_saveexec_b32 s3, s3
; %bb.109:
	v_and_b32_e32 v8, 0xffff, v72
	v_or_b32_e32 v9, 0x10000, v72
	s_delay_alu instid0(VALU_DEP_2) | instskip(NEXT) | instid1(VALU_DEP_2)
	v_cmp_eq_u32_e32 vcc_lo, 0, v8
	v_cndmask_b32_e32 v8, v9, v72, vcc_lo
; %bb.110:
	s_or_b32 exec_lo, exec_lo, s3
	s_delay_alu instid0(VALU_DEP_1)
	v_perm_b32 v7, v8, v7, 0x7060302
	v_perm_b32 v6, v6, v5, 0x7060302
	;; [unrolled: 1-line block ×4, first 2 shown]
	s_barrier
	buffer_gl0_inv
	v_cmp_eq_u32_e32 vcc_lo, 1, v78
	ds_store_b128 v76, v[4:7]
	s_waitcnt lgkmcnt(0)
	s_barrier
	buffer_gl0_inv
	ds_load_b128 v[1:4], v82
	ds_load_b128 v[5:8], v82 offset:16
	v_cmp_eq_u32_e64 s3, 1, v79
	v_cmp_eq_u32_e64 s4, 2, v78
	v_cmp_eq_u32_e64 s5, 3, v78
	v_cmp_eq_u32_e64 s7, 2, v77
	v_cmp_eq_u32_e64 s6, 7, v79
	s_waitcnt lgkmcnt(1)
	v_lshrrev_b32_e32 v9, 16, v1
	s_waitcnt lgkmcnt(0)
	v_lshrrev_b32_e32 v13, 16, v5
	v_lshrrev_b32_e32 v10, 16, v2
	;; [unrolled: 1-line block ×4, first 2 shown]
	v_cndmask_b32_e64 v19, v1, v9, s3
	v_cndmask_b32_e32 v18, v5, v13, vcc_lo
	v_cndmask_b32_e64 v20, v5, v13, s3
	v_cndmask_b32_e32 v17, v1, v9, vcc_lo
	v_cmp_eq_u32_e32 vcc_lo, 2, v79
	v_lshrrev_b32_e32 v15, 16, v7
	v_cmp_eq_u32_e64 s3, 1, v77
	v_lshrrev_b32_e32 v12, 16, v4
	v_lshrrev_b32_e32 v16, 16, v8
	v_cndmask_b32_e32 v20, v20, v6, vcc_lo
	v_cndmask_b32_e64 v17, v17, v2, s4
	v_cndmask_b32_e32 v19, v19, v2, vcc_lo
	v_cndmask_b32_e64 v18, v18, v6, s4
	v_cmp_eq_u32_e32 vcc_lo, 4, v78
	v_cmp_eq_u32_e64 s4, 3, v79
	v_cndmask_b32_e64 v17, v17, v10, s5
	v_cndmask_b32_e64 v21, v1, v9, s3
	;; [unrolled: 1-line block ×5, first 2 shown]
	v_cndmask_b32_e32 v17, v17, v3, vcc_lo
	v_cndmask_b32_e64 v20, v20, v14, s4
	v_cndmask_b32_e32 v18, v18, v7, vcc_lo
	v_cmp_eq_u32_e32 vcc_lo, 4, v79
	v_cmp_eq_u32_e64 s4, 5, v79
	v_cmp_eq_u32_e64 s3, 2, v81
	v_cndmask_b32_e64 v21, v21, v2, s7
	v_cmp_eq_u32_e64 s5, 5, v78
	v_cndmask_b32_e32 v19, v19, v3, vcc_lo
	v_cndmask_b32_e32 v20, v20, v7, vcc_lo
	v_cmp_eq_u32_e32 vcc_lo, 6, v79
	s_delay_alu instid0(VALU_DEP_4) | instskip(NEXT) | instid1(VALU_DEP_4)
	v_cndmask_b32_e64 v17, v17, v11, s5
	v_cndmask_b32_e64 v19, v19, v11, s4
	s_delay_alu instid0(VALU_DEP_4) | instskip(SKIP_1) | instid1(VALU_DEP_3)
	v_cndmask_b32_e64 v20, v20, v15, s4
	v_cmp_eq_u32_e64 s4, 1, v81
	v_cndmask_b32_e32 v19, v19, v4, vcc_lo
	v_cndmask_b32_e64 v18, v18, v15, s5
	s_delay_alu instid0(VALU_DEP_3)
	v_cndmask_b32_e64 v1, v1, v9, s4
	v_cndmask_b32_e64 v5, v5, v13, s4
	v_cmp_eq_u32_e64 s4, 3, v77
	v_cndmask_b32_e64 v13, v22, v6, s7
	v_cmp_eq_u32_e64 s7, 3, v81
	v_cndmask_b32_e64 v1, v1, v2, s3
	v_cndmask_b32_e64 v2, v5, v6, s3
	;; [unrolled: 1-line block ×3, first 2 shown]
	v_cmp_eq_u32_e64 s3, 4, v77
	v_cndmask_b32_e64 v6, v13, v14, s4
	v_cndmask_b32_e64 v1, v1, v10, s7
	v_cmp_eq_u32_e64 s4, 4, v81
	v_cndmask_b32_e64 v2, v2, v14, s7
	v_cndmask_b32_e64 v5, v9, v3, s3
	;; [unrolled: 3-line block ×3, first 2 shown]
	v_cndmask_b32_e64 v2, v2, v7, s4
	v_cmp_eq_u32_e64 s3, 5, v81
	v_cmp_eq_u32_e64 s5, 6, v78
	v_cndmask_b32_e64 v5, v5, v11, s7
	v_cmp_eq_u32_e64 s4, 6, v77
	v_cndmask_b32_e64 v3, v6, v15, s7
	v_cndmask_b32_e64 v1, v1, v11, s3
	v_cmp_eq_u32_e64 s7, 6, v81
	v_cndmask_b32_e64 v2, v2, v15, s3
	v_cndmask_b32_e64 v17, v17, v4, s5
	v_cndmask_b32_e64 v18, v18, v8, s5
	v_cmp_eq_u32_e64 s5, 7, v78
	v_cndmask_b32_e64 v5, v5, v4, s4
	v_cndmask_b32_e64 v3, v3, v8, s4
	v_cndmask_b32_e64 v1, v1, v4, s7
	v_cmp_eq_u32_e64 s3, 7, v81
	v_cndmask_b32_e64 v2, v2, v8, s7
	v_cmp_eq_u32_e64 s4, 7, v77
	v_cndmask_b32_e32 v4, v20, v8, vcc_lo
	v_cndmask_b32_e64 v17, v17, v12, s5
	v_cndmask_b32_e64 v19, v19, v12, s6
	;; [unrolled: 1-line block ×8, first 2 shown]
	s_mov_b32 s3, exec_lo
	v_perm_b32 v4, v2, v1, 0x5040100
	v_perm_b32 v3, v3, v5, 0x5040100
	;; [unrolled: 1-line block ×4, first 2 shown]
	ds_store_b128 v76, v[1:4]
	s_waitcnt lgkmcnt(0)
	s_barrier
	buffer_gl0_inv
	v_cmpx_gt_u32_e32 32, v0
	s_cbranch_execz .LBB1818_2
; %bb.111:
	s_load_b64 s[4:5], s[0:1], 0x68
	v_lshlrev_b32_e32 v0, 10, v0
	v_lshlrev_b32_e32 v1, 4, v75
	s_lshl_b32 s0, s34, 7
	v_add_nc_u32_e32 v18, s31, v74
	s_mul_i32 s1, s0, s30
	s_delay_alu instid0(VALU_DEP_2) | instskip(SKIP_1) | instid1(VALU_DEP_2)
	v_and_or_b32 v0, 0x3800, v0, v1
	s_mul_i32 s6, s1, s8
	v_mul_lo_u32 v1, v18, s0
	s_ashr_i32 s7, s6, 31
	v_add_nc_u32_e32 v2, 2, v18
	v_lshl_or_b32 v19, v74, 6, v0
	s_lshl_b64 s[6:7], s[6:7], 1
	v_add_nc_u32_e32 v8, 4, v18
	v_add_nc_u32_e32 v15, 6, v18
	v_mul_lo_u32 v7, v2, s0
	ds_load_b128 v[3:6], v19
	v_ashrrev_i32_e32 v2, 31, v1
	v_mul_lo_u32 v11, v8, s0
	s_waitcnt lgkmcnt(0)
	s_add_u32 s1, s4, s6
	s_addc_u32 s3, s5, s7
	s_lshl_b32 s4, s14, 7
	v_lshlrev_b64 v[9:10], 1, v[1:2]
	s_ashr_i32 s5, s4, 31
	v_ashrrev_i32_e32 v8, 31, v7
	s_lshl_b64 s[4:5], s[4:5], 1
	v_ashrrev_i32_e32 v12, 31, v11
	s_add_u32 s1, s1, s4
	s_addc_u32 s3, s3, s5
	v_add_co_u32 v1, s1, s1, v73
	s_delay_alu instid0(VALU_DEP_1) | instskip(SKIP_1) | instid1(VALU_DEP_3)
	v_add_co_ci_u32_e64 v2, null, s3, 0, s1
	v_mul_lo_u32 v15, v15, s0
	v_add_co_u32 v13, vcc_lo, v1, v9
	s_delay_alu instid0(VALU_DEP_3)
	v_add_co_ci_u32_e32 v14, vcc_lo, v2, v10, vcc_lo
	v_lshlrev_b64 v[16:17], 1, v[7:8]
	ds_load_b128 v[7:10], v19 offset:128
	global_store_b128 v[13:14], v[3:6], off
	v_add_nc_u32_e32 v5, 8, v18
	v_lshlrev_b64 v[3:4], 1, v[11:12]
	v_add_co_u32 v23, vcc_lo, v1, v16
	v_ashrrev_i32_e32 v16, 31, v15
	s_delay_alu instid0(VALU_DEP_4) | instskip(SKIP_3) | instid1(VALU_DEP_3)
	v_mul_lo_u32 v25, v5, s0
	v_add_nc_u32_e32 v5, 10, v18
	v_add_co_ci_u32_e32 v24, vcc_lo, v2, v17, vcc_lo
	v_add_co_u32 v27, vcc_lo, v1, v3
	v_mul_lo_u32 v29, v5, s0
	v_add_co_ci_u32_e32 v28, vcc_lo, v2, v4, vcc_lo
	v_lshlrev_b64 v[31:32], 1, v[15:16]
	ds_load_b128 v[3:6], v19 offset:256
	ds_load_b128 v[11:14], v19 offset:384
	ds_load_b128 v[15:18], v19 offset:512
	ds_load_b128 v[19:22], v19 offset:640
	v_ashrrev_i32_e32 v26, 31, v25
	v_ashrrev_i32_e32 v30, 31, v29
	v_add_co_u32 v31, vcc_lo, v1, v31
	s_delay_alu instid0(VALU_DEP_3) | instskip(SKIP_1) | instid1(VALU_DEP_4)
	v_lshlrev_b64 v[25:26], 1, v[25:26]
	v_add_co_ci_u32_e32 v32, vcc_lo, v2, v32, vcc_lo
	v_lshlrev_b64 v[29:30], 1, v[29:30]
	s_delay_alu instid0(VALU_DEP_3) | instskip(NEXT) | instid1(VALU_DEP_4)
	v_add_co_u32 v25, vcc_lo, v1, v25
	v_add_co_ci_u32_e32 v26, vcc_lo, v2, v26, vcc_lo
	s_delay_alu instid0(VALU_DEP_3) | instskip(NEXT) | instid1(VALU_DEP_4)
	v_add_co_u32 v29, vcc_lo, v1, v29
	v_add_co_ci_u32_e32 v30, vcc_lo, v2, v30, vcc_lo
	s_waitcnt lgkmcnt(4)
	global_store_b128 v[23:24], v[7:10], off
	s_waitcnt lgkmcnt(3)
	global_store_b128 v[27:28], v[3:6], off
	;; [unrolled: 2-line block ×5, first 2 shown]
	s_and_b32 exec_lo, exec_lo, s2
	s_cbranch_execz .LBB1818_2
; %bb.112:
	ds_load_b128 v[3:6], v0 offset:768
	s_add_i32 s1, s31, 12
	s_delay_alu instid0(SALU_CYCLE_1) | instskip(NEXT) | instid1(SALU_CYCLE_1)
	s_mul_i32 s0, s1, s0
	s_ashr_i32 s1, s0, 31
	s_delay_alu instid0(SALU_CYCLE_1) | instskip(NEXT) | instid1(SALU_CYCLE_1)
	s_lshl_b64 s[0:1], s[0:1], 1
	v_add_co_u32 v0, vcc_lo, v1, s0
	v_add_co_ci_u32_e32 v1, vcc_lo, s1, v2, vcc_lo
	s_waitcnt lgkmcnt(0)
	global_store_b128 v[0:1], v[3:6], off
	s_nop 0
	s_sendmsg sendmsg(MSG_DEALLOC_VGPRS)
	s_endpgm
	.section	.rodata,"a",@progbits
	.p2align	6, 0x0
	.amdhsa_kernel _Z39paged_attention_ll4mi_QKV_mfma16_kernelI14__hip_bfloat16hLN4vllm18Fp8KVCacheDataTypeE1EhLi16ELi128ELi256ELb0ELi13EL8MFMAType0EEvPKT_PKT0_S9_ifPKiSB_SB_iPKfiiiPfSE_PS4_PT2_iSD_SD_
		.amdhsa_group_segment_fixed_size 17472
		.amdhsa_private_segment_fixed_size 0
		.amdhsa_kernarg_size 400
		.amdhsa_user_sgpr_count 13
		.amdhsa_user_sgpr_dispatch_ptr 0
		.amdhsa_user_sgpr_queue_ptr 0
		.amdhsa_user_sgpr_kernarg_segment_ptr 1
		.amdhsa_user_sgpr_dispatch_id 0
		.amdhsa_user_sgpr_private_segment_size 0
		.amdhsa_wavefront_size32 1
		.amdhsa_uses_dynamic_stack 0
		.amdhsa_enable_private_segment 0
		.amdhsa_system_sgpr_workgroup_id_x 1
		.amdhsa_system_sgpr_workgroup_id_y 1
		.amdhsa_system_sgpr_workgroup_id_z 1
		.amdhsa_system_sgpr_workgroup_info 0
		.amdhsa_system_vgpr_workitem_id 0
		.amdhsa_next_free_vgpr 140
		.amdhsa_next_free_sgpr 36
		.amdhsa_reserve_vcc 1
		.amdhsa_float_round_mode_32 0
		.amdhsa_float_round_mode_16_64 0
		.amdhsa_float_denorm_mode_32 3
		.amdhsa_float_denorm_mode_16_64 3
		.amdhsa_dx10_clamp 1
		.amdhsa_ieee_mode 1
		.amdhsa_fp16_overflow 0
		.amdhsa_workgroup_processor_mode 1
		.amdhsa_memory_ordered 1
		.amdhsa_forward_progress 0
		.amdhsa_shared_vgpr_count 0
		.amdhsa_exception_fp_ieee_invalid_op 0
		.amdhsa_exception_fp_denorm_src 0
		.amdhsa_exception_fp_ieee_div_zero 0
		.amdhsa_exception_fp_ieee_overflow 0
		.amdhsa_exception_fp_ieee_underflow 0
		.amdhsa_exception_fp_ieee_inexact 0
		.amdhsa_exception_int_div_zero 0
	.end_amdhsa_kernel
	.section	.text._Z39paged_attention_ll4mi_QKV_mfma16_kernelI14__hip_bfloat16hLN4vllm18Fp8KVCacheDataTypeE1EhLi16ELi128ELi256ELb0ELi13EL8MFMAType0EEvPKT_PKT0_S9_ifPKiSB_SB_iPKfiiiPfSE_PS4_PT2_iSD_SD_,"axG",@progbits,_Z39paged_attention_ll4mi_QKV_mfma16_kernelI14__hip_bfloat16hLN4vllm18Fp8KVCacheDataTypeE1EhLi16ELi128ELi256ELb0ELi13EL8MFMAType0EEvPKT_PKT0_S9_ifPKiSB_SB_iPKfiiiPfSE_PS4_PT2_iSD_SD_,comdat
.Lfunc_end1818:
	.size	_Z39paged_attention_ll4mi_QKV_mfma16_kernelI14__hip_bfloat16hLN4vllm18Fp8KVCacheDataTypeE1EhLi16ELi128ELi256ELb0ELi13EL8MFMAType0EEvPKT_PKT0_S9_ifPKiSB_SB_iPKfiiiPfSE_PS4_PT2_iSD_SD_, .Lfunc_end1818-_Z39paged_attention_ll4mi_QKV_mfma16_kernelI14__hip_bfloat16hLN4vllm18Fp8KVCacheDataTypeE1EhLi16ELi128ELi256ELb0ELi13EL8MFMAType0EEvPKT_PKT0_S9_ifPKiSB_SB_iPKfiiiPfSE_PS4_PT2_iSD_SD_
                                        ; -- End function
	.section	.AMDGPU.csdata,"",@progbits
; Kernel info:
; codeLenInByte = 9056
; NumSgprs: 38
; NumVgprs: 140
; ScratchSize: 0
; MemoryBound: 0
; FloatMode: 240
; IeeeMode: 1
; LDSByteSize: 17472 bytes/workgroup (compile time only)
; SGPRBlocks: 4
; VGPRBlocks: 17
; NumSGPRsForWavesPerEU: 38
; NumVGPRsForWavesPerEU: 140
; Occupancy: 10
; WaveLimiterHint : 1
; COMPUTE_PGM_RSRC2:SCRATCH_EN: 0
; COMPUTE_PGM_RSRC2:USER_SGPR: 13
; COMPUTE_PGM_RSRC2:TRAP_HANDLER: 0
; COMPUTE_PGM_RSRC2:TGID_X_EN: 1
; COMPUTE_PGM_RSRC2:TGID_Y_EN: 1
; COMPUTE_PGM_RSRC2:TGID_Z_EN: 1
; COMPUTE_PGM_RSRC2:TIDIG_COMP_CNT: 0
	.section	.text._Z39paged_attention_ll4mi_QKV_mfma16_kernelI14__hip_bfloat16hLN4vllm18Fp8KVCacheDataTypeE1EhLi16ELi128ELi256ELb0ELi14EL8MFMAType0EEvPKT_PKT0_S9_ifPKiSB_SB_iPKfiiiPfSE_PS4_PT2_iSD_SD_,"axG",@progbits,_Z39paged_attention_ll4mi_QKV_mfma16_kernelI14__hip_bfloat16hLN4vllm18Fp8KVCacheDataTypeE1EhLi16ELi128ELi256ELb0ELi14EL8MFMAType0EEvPKT_PKT0_S9_ifPKiSB_SB_iPKfiiiPfSE_PS4_PT2_iSD_SD_,comdat
	.protected	_Z39paged_attention_ll4mi_QKV_mfma16_kernelI14__hip_bfloat16hLN4vllm18Fp8KVCacheDataTypeE1EhLi16ELi128ELi256ELb0ELi14EL8MFMAType0EEvPKT_PKT0_S9_ifPKiSB_SB_iPKfiiiPfSE_PS4_PT2_iSD_SD_ ; -- Begin function _Z39paged_attention_ll4mi_QKV_mfma16_kernelI14__hip_bfloat16hLN4vllm18Fp8KVCacheDataTypeE1EhLi16ELi128ELi256ELb0ELi14EL8MFMAType0EEvPKT_PKT0_S9_ifPKiSB_SB_iPKfiiiPfSE_PS4_PT2_iSD_SD_
	.globl	_Z39paged_attention_ll4mi_QKV_mfma16_kernelI14__hip_bfloat16hLN4vllm18Fp8KVCacheDataTypeE1EhLi16ELi128ELi256ELb0ELi14EL8MFMAType0EEvPKT_PKT0_S9_ifPKiSB_SB_iPKfiiiPfSE_PS4_PT2_iSD_SD_
	.p2align	8
	.type	_Z39paged_attention_ll4mi_QKV_mfma16_kernelI14__hip_bfloat16hLN4vllm18Fp8KVCacheDataTypeE1EhLi16ELi128ELi256ELb0ELi14EL8MFMAType0EEvPKT_PKT0_S9_ifPKiSB_SB_iPKfiiiPfSE_PS4_PT2_iSD_SD_,@function
_Z39paged_attention_ll4mi_QKV_mfma16_kernelI14__hip_bfloat16hLN4vllm18Fp8KVCacheDataTypeE1EhLi16ELi128ELi256ELb0ELi14EL8MFMAType0EEvPKT_PKT0_S9_ifPKiSB_SB_iPKfiiiPfSE_PS4_PT2_iSD_SD_: ; @_Z39paged_attention_ll4mi_QKV_mfma16_kernelI14__hip_bfloat16hLN4vllm18Fp8KVCacheDataTypeE1EhLi16ELi128ELi256ELb0ELi14EL8MFMAType0EEvPKT_PKT0_S9_ifPKiSB_SB_iPKfiiiPfSE_PS4_PT2_iSD_SD_
; %bb.0:
	s_load_b64 s[4:5], s[0:1], 0x30
	s_mov_b32 s30, s13
	s_waitcnt lgkmcnt(0)
	s_cmp_lg_u64 s[4:5], 0
	s_cselect_b32 s13, -1, 0
	s_ashr_i32 s31, s30, 31
	s_cmp_eq_u64 s[4:5], 0
	s_cbranch_scc1 .LBB1819_3
; %bb.1:
	s_lshl_b64 s[2:3], s[30:31], 2
	s_delay_alu instid0(SALU_CYCLE_1) | instskip(SKIP_4) | instid1(SALU_CYCLE_1)
	s_add_u32 s2, s4, s2
	s_addc_u32 s3, s5, s3
	s_load_b64 s[2:3], s[2:3], 0x0
	s_waitcnt lgkmcnt(0)
	s_sub_i32 s2, s3, s2
	s_cmp_eq_u32 s2, 1
	s_cselect_b32 s2, -1, 0
	s_delay_alu instid0(SALU_CYCLE_1)
	s_and_not1_b32 vcc_lo, exec_lo, s2
	s_cbranch_vccz .LBB1819_4
.LBB1819_2:
	s_endpgm
.LBB1819_3:
.LBB1819_4:
	s_load_b64 s[2:3], s[0:1], 0x28
	s_lshl_b64 s[6:7], s[30:31], 2
	s_waitcnt lgkmcnt(0)
	s_add_u32 s2, s2, s6
	s_addc_u32 s3, s3, s7
	s_lshl_b32 s12, s14, 8
	s_load_b32 s17, s[2:3], 0x0
	s_waitcnt lgkmcnt(0)
	s_cmp_ge_i32 s12, s17
	s_cbranch_scc1 .LBB1819_2
; %bb.5:
	s_clause 0x1
	s_load_b128 s[8:11], s[0:1], 0x8
	s_load_b64 s[2:3], s[0:1], 0x20
	s_and_not1_b32 vcc_lo, exec_lo, s13
	s_cbranch_vccnz .LBB1819_7
; %bb.6:
	s_add_u32 s4, s4, s6
	s_addc_u32 s5, s5, s7
	s_load_b32 s13, s[4:5], 0x0
	s_branch .LBB1819_8
.LBB1819_7:
	s_mov_b32 s13, s30
.LBB1819_8:
	s_load_b128 s[4:7], s[0:1], 0x48
	v_and_b32_e32 v65, 15, v0
	v_lshrrev_b32_e32 v66, 5, v0
	v_and_b32_e32 v67, 31, v0
	v_and_b32_e32 v75, 1, v0
	v_bfe_u32 v74, v0, 4, 1
	v_lshlrev_b32_e32 v1, 3, v65
	s_mul_i32 s29, s15, 14
	s_waitcnt lgkmcnt(0)
	s_mov_b32 s7, exec_lo
	s_delay_alu instid0(VALU_DEP_1)
	v_lshlrev_b32_e32 v73, 1, v1
	v_cmpx_gt_u32_e32 0xe0, v0
	s_cbranch_execz .LBB1819_10
; %bb.9:
	s_load_b64 s[18:19], s[0:1], 0x0
	v_lshl_or_b32 v5, v66, 1, v74
	s_mul_hi_i32 s21, s13, s4
	s_mul_i32 s20, s13, s4
	v_lshlrev_b32_e32 v6, 10, v65
	s_lshl_b64 s[20:21], s[20:21], 1
	v_add_lshl_u32 v1, v5, s29, 7
	v_lshlrev_b32_e32 v5, 6, v5
	v_lshlrev_b32_e32 v7, 10, v75
	v_and_b32_e32 v6, 0x3800, v6
	s_delay_alu instid0(VALU_DEP_4) | instskip(NEXT) | instid1(VALU_DEP_2)
	v_ashrrev_i32_e32 v2, 31, v1
	v_or3_b32 v5, v6, v7, v5
	s_delay_alu instid0(VALU_DEP_2) | instskip(SKIP_3) | instid1(VALU_DEP_1)
	v_lshlrev_b64 v[1:2], 1, v[1:2]
	s_waitcnt lgkmcnt(0)
	s_add_u32 s4, s18, s20
	s_addc_u32 s13, s19, s21
	v_add_co_u32 v1, vcc_lo, s4, v1
	s_delay_alu instid0(VALU_DEP_2) | instskip(NEXT) | instid1(VALU_DEP_2)
	v_add_co_ci_u32_e32 v2, vcc_lo, s13, v2, vcc_lo
	v_add_co_u32 v1, vcc_lo, v1, v73
	s_delay_alu instid0(VALU_DEP_2)
	v_add_co_ci_u32_e32 v2, vcc_lo, 0, v2, vcc_lo
	global_load_b128 v[1:4], v[1:2], off
	s_waitcnt vmcnt(0)
	ds_store_b128 v5, v[1:4]
.LBB1819_10:
	s_or_b32 exec_lo, exec_lo, s7
	v_and_b32_e32 v1, 0xef, v0
	s_add_i32 s4, s17, 15
	s_clause 0x1
	s_load_b32 s7, s[0:1], 0x38
	s_load_b32 s18, s[0:1], 0x1c
	s_ashr_i32 s13, s4, 31
	v_add_nc_u32_e32 v1, s12, v1
	s_lshr_b32 s13, s13, 28
	s_waitcnt lgkmcnt(0)
	s_add_i32 s4, s4, s13
	s_barrier
	v_ashrrev_i32_e32 v2, 31, v1
	v_or_b32_e32 v3, 16, v1
	s_ashr_i32 s4, s4, 4
	v_cmp_gt_i32_e32 vcc_lo, s17, v1
	s_add_i32 s4, s4, -1
	v_lshrrev_b32_e32 v2, 28, v2
	buffer_gl0_inv
	s_mul_i32 s15, s15, s6
	v_add_nc_u32_e32 v4, v1, v2
	s_mul_i32 s20, s30, s7
	s_delay_alu instid0(SALU_CYCLE_1) | instskip(NEXT) | instid1(VALU_DEP_1)
	s_ashr_i32 s21, s20, 31
	v_ashrrev_i32_e32 v4, 4, v4
	v_add_nc_u32_e32 v2, v3, v2
	s_lshl_b64 s[20:21], s[20:21], 2
	s_delay_alu instid0(SALU_CYCLE_1) | instskip(NEXT) | instid1(VALU_DEP_2)
	s_add_u32 s13, s2, s20
	v_cndmask_b32_e32 v1, s4, v4, vcc_lo
	s_delay_alu instid0(VALU_DEP_2)
	v_ashrrev_i32_e32 v2, 4, v2
	v_cmp_gt_i32_e32 vcc_lo, s17, v3
	s_addc_u32 s16, s3, s21
	s_ashr_i32 s19, s15, 31
	s_add_u32 s26, s8, s15
	s_addc_u32 s27, s9, s19
	v_cndmask_b32_e32 v3, s4, v2, vcc_lo
	v_ashrrev_i32_e32 v2, 31, v1
	s_lshl_b32 s2, s14, 4
	s_delay_alu instid0(SALU_CYCLE_1) | instskip(NEXT) | instid1(VALU_DEP_2)
	s_ashr_i32 s3, s2, 31
	v_ashrrev_i32_e32 v4, 31, v3
	s_delay_alu instid0(VALU_DEP_2) | instskip(SKIP_1) | instid1(SALU_CYCLE_1)
	v_lshlrev_b64 v[1:2], 2, v[1:2]
	s_lshl_b64 s[2:3], s[2:3], 2
	s_add_u32 s2, s13, s2
	s_delay_alu instid0(VALU_DEP_2) | instskip(SKIP_1) | instid1(VALU_DEP_2)
	v_lshlrev_b64 v[3:4], 2, v[3:4]
	s_addc_u32 s3, s16, s3
	v_add_co_u32 v1, vcc_lo, s13, v1
	v_add_co_ci_u32_e32 v2, vcc_lo, s16, v2, vcc_lo
	s_delay_alu instid0(VALU_DEP_3) | instskip(NEXT) | instid1(VALU_DEP_4)
	v_add_co_u32 v3, vcc_lo, s13, v3
	v_add_co_ci_u32_e32 v4, vcc_lo, s16, v4, vcc_lo
	s_clause 0x1
	global_load_b32 v5, v[1:2], off
	global_load_b32 v3, v[3:4], off
	s_or_b32 s6, s12, 32
	v_cmp_gt_u32_e32 vcc_lo, 14, v65
	s_ashr_i32 s7, s6, 4
	s_cmp_lt_i32 s6, s17
	s_cselect_b32 s6, s7, s4
	s_delay_alu instid0(SALU_CYCLE_1) | instskip(NEXT) | instid1(SALU_CYCLE_1)
	s_ashr_i32 s7, s6, 31
	s_lshl_b64 s[6:7], s[6:7], 2
	s_delay_alu instid0(SALU_CYCLE_1) | instskip(SKIP_2) | instid1(SALU_CYCLE_1)
	s_add_u32 s6, s13, s6
	s_addc_u32 s7, s16, s7
	s_or_b32 s8, s12, 64
	s_ashr_i32 s9, s8, 4
	s_cmp_lt_i32 s8, s17
	s_cselect_b32 s8, s9, s4
	s_delay_alu instid0(SALU_CYCLE_1) | instskip(NEXT) | instid1(SALU_CYCLE_1)
	s_ashr_i32 s9, s8, 31
	s_lshl_b64 s[8:9], s[8:9], 2
	s_delay_alu instid0(SALU_CYCLE_1) | instskip(SKIP_2) | instid1(SALU_CYCLE_1)
	s_add_u32 s8, s13, s8
	s_addc_u32 s9, s16, s9
	s_or_b32 s20, s12, 0x60
	s_ashr_i32 s21, s20, 4
	s_cmp_lt_i32 s20, s17
	s_cselect_b32 s20, s21, s4
	s_delay_alu instid0(SALU_CYCLE_1) | instskip(NEXT) | instid1(SALU_CYCLE_1)
	s_ashr_i32 s21, s20, 31
	s_lshl_b64 s[20:21], s[20:21], 2
	s_delay_alu instid0(SALU_CYCLE_1) | instskip(SKIP_2) | instid1(SALU_CYCLE_1)
	s_add_u32 s20, s13, s20
	s_addc_u32 s21, s16, s21
	s_or_b32 s22, s12, 0x80
	s_ashr_i32 s23, s22, 4
	s_cmp_lt_i32 s22, s17
	s_cselect_b32 s22, s23, s4
	s_delay_alu instid0(SALU_CYCLE_1) | instskip(NEXT) | instid1(SALU_CYCLE_1)
	s_ashr_i32 s23, s22, 31
	s_lshl_b64 s[22:23], s[22:23], 2
	s_delay_alu instid0(SALU_CYCLE_1) | instskip(SKIP_2) | instid1(SALU_CYCLE_1)
	s_add_u32 s22, s13, s22
	s_addc_u32 s23, s16, s23
	s_or_b32 s24, s12, 0xa0
	s_ashr_i32 s25, s24, 4
	s_cmp_lt_i32 s24, s17
	s_cselect_b32 s24, s25, s4
	s_delay_alu instid0(SALU_CYCLE_1) | instskip(NEXT) | instid1(SALU_CYCLE_1)
	s_ashr_i32 s25, s24, 31
	s_lshl_b64 s[24:25], s[24:25], 2
	s_delay_alu instid0(SALU_CYCLE_1)
	s_add_u32 s24, s13, s24
	s_addc_u32 s25, s16, s25
	s_clause 0x5
	s_load_b32 s28, s[2:3], 0x0
	s_load_b32 s31, s[6:7], 0x0
	;; [unrolled: 1-line block ×6, first 2 shown]
	s_mov_b32 s20, 0
	s_or_b32 s2, s12, 0xc0
	s_mov_b32 s21, s20
	s_mov_b32 s22, s20
	;; [unrolled: 1-line block ×5, first 2 shown]
	v_lshlrev_b32_e32 v1, 4, v0
	s_ashr_i32 s3, s2, 4
	s_cmp_lt_i32 s2, s17
	s_cselect_b32 s2, s3, s4
	s_delay_alu instid0(VALU_DEP_1) | instskip(SKIP_1) | instid1(SALU_CYCLE_1)
	v_and_b32_e32 v1, 0xf0, v1
	s_ashr_i32 s3, s2, 31
	s_lshl_b64 s[2:3], s[2:3], 2
	s_delay_alu instid0(VALU_DEP_1) | instskip(NEXT) | instid1(VALU_DEP_1)
	v_add_co_u32 v1, s26, s26, v1
	v_add_co_ci_u32_e64 v2, null, s27, 0, s26
	s_add_u32 s2, s13, s2
	s_addc_u32 s3, s16, s3
	s_or_b32 s6, s12, 0xe0
	s_mov_b32 s27, s20
	s_ashr_i32 s7, s6, 4
	s_cmp_lt_i32 s6, s17
	s_mov_b32 s26, s20
	v_dual_mov_b32 v107, s27 :: v_dual_mov_b32 v100, s20
	s_cselect_b32 s6, s7, s4
	v_mov_b32_e32 v106, s26
	s_ashr_i32 s7, s6, 31
	v_mov_b32_e32 v104, s24
	s_lshl_b64 s[6:7], s[6:7], 2
	v_dual_mov_b32 v103, s23 :: v_dual_mov_b32 v102, s22
	v_mov_b32_e32 v101, s21
	s_waitcnt vmcnt(1)
	v_mad_i64_i32 v[33:34], null, v5, s5, v[1:2]
	s_waitcnt vmcnt(0)
	v_mad_i64_i32 v[35:36], null, v3, s5, v[1:2]
	s_clause 0xf
	global_load_b128 v[1:4], v[33:34], off
	global_load_b128 v[5:8], v[33:34], off offset:256
	global_load_b128 v[9:12], v[35:36], off
	global_load_b128 v[13:16], v[35:36], off offset:256
	global_load_b128 v[17:20], v[33:34], off offset:512
	;; [unrolled: 1-line block ×13, first 2 shown]
	v_add_nc_u32_e32 v33, -14, v65
	v_lshlrev_b32_e32 v34, 4, v65
	s_delay_alu instid0(VALU_DEP_2) | instskip(SKIP_1) | instid1(VALU_DEP_3)
	v_cndmask_b32_e32 v33, v33, v65, vcc_lo
	v_mov_b32_e32 v105, s25
	v_lshl_or_b32 v41, v66, 8, v34
	s_delay_alu instid0(VALU_DEP_3)
	v_lshlrev_b32_e32 v72, 6, v33
	ds_load_b128 v[33:36], v72
	ds_load_b128 v[37:40], v72 offset:1024
	ds_load_b128 v[108:111], v72 offset:2048
	;; [unrolled: 1-line block ×3, first 2 shown]
	s_load_b32 s4, s[2:3], 0x0
	s_add_u32 s2, s13, s6
	s_addc_u32 s3, s16, s7
	ds_load_b128 v[116:119], v72 offset:4096
	ds_load_b128 v[120:123], v72 offset:5120
	s_load_b32 s2, s[2:3], 0x0
	s_add_u32 s6, s10, s15
	s_addc_u32 s7, s11, s19
	v_add_co_u32 v68, s6, s6, v41
	s_delay_alu instid0(VALU_DEP_1) | instskip(SKIP_1) | instid1(VALU_DEP_1)
	v_add_co_ci_u32_e64 v69, null, s7, 0, s6
	s_waitcnt lgkmcnt(0)
	v_mad_i64_i32 v[41:42], null, s28, s5, v[68:69]
	v_mad_i64_i32 v[70:71], null, s8, s5, v[68:69]
	v_mad_i64_i32 v[45:46], null, s31, s5, v[68:69]
	v_mad_i64_i32 v[132:133], null, s9, s5, v[68:69]
	v_mad_i64_i32 v[134:135], null, s33, s5, v[68:69]
	v_mad_i64_i32 v[136:137], null, s34, s5, v[68:69]
	v_mad_i64_i32 v[138:139], null, s4, s5, v[68:69]
	s_clause 0x3
	global_load_b128 v[49:52], v[41:42], off
	global_load_b128 v[53:56], v[41:42], off offset:16
	global_load_b128 v[41:44], v[45:46], off
	global_load_b128 v[45:48], v[45:46], off offset:16
	s_waitcnt vmcnt(18)
	v_wmma_f32_16x16x16_bf16 v[124:131], v[1:8], v[33:40], v[100:107]
	s_waitcnt vmcnt(16)
	v_wmma_f32_16x16x16_bf16 v[100:107], v[9:16], v[33:40], v[100:107]
	s_clause 0x1
	global_load_b128 v[33:36], v[70:71], off
	global_load_b128 v[37:40], v[70:71], off offset:16
	v_mad_i64_i32 v[70:71], null, s2, s5, v[68:69]
	s_waitcnt vmcnt(16)
	v_wmma_f32_16x16x16_bf16 v[124:131], v[17:24], v[108:115], v[124:131]
	s_waitcnt vmcnt(14)
	v_wmma_f32_16x16x16_bf16 v[100:107], v[25:32], v[108:115], v[100:107]
	s_clause 0x7
	global_load_b128 v[25:28], v[132:133], off
	global_load_b128 v[29:32], v[132:133], off offset:16
	global_load_b128 v[1:4], v[134:135], off
	global_load_b128 v[5:8], v[134:135], off offset:16
	;; [unrolled: 2-line block ×4, first 2 shown]
	s_waitcnt vmcnt(20)
	v_wmma_f32_16x16x16_bf16 v[124:131], v[57:64], v[116:123], v[124:131]
	s_clause 0x1
	global_load_b128 v[57:60], v[70:71], off
	global_load_b128 v[61:64], v[70:71], off offset:16
	s_waitcnt vmcnt(20)
	v_wmma_f32_16x16x16_bf16 v[100:107], v[76:83], v[116:123], v[100:107]
	ds_load_b128 v[76:79], v72 offset:6144
	ds_load_b128 v[80:83], v72 offset:7168
	v_and_b32_e32 v68, 0xe0, v0
	v_mbcnt_lo_u32_b32 v69, -1, 0
	s_waitcnt vmcnt(0) lgkmcnt(0)
	s_barrier
	buffer_gl0_inv
	v_add_nc_u32_e32 v68, s12, v68
	v_xor_b32_e32 v70, 16, v69
	s_delay_alu instid0(VALU_DEP_2) | instskip(NEXT) | instid1(VALU_DEP_2)
	v_or_b32_e32 v68, v68, v74
	v_cmp_gt_i32_e32 vcc_lo, 32, v70
	s_delay_alu instid0(VALU_DEP_2)
	v_or_b32_e32 v71, 4, v68
	v_or_b32_e32 v72, 6, v68
	v_cmp_gt_i32_e64 s2, s17, v68
	v_or_b32_e32 v108, 8, v68
	v_wmma_f32_16x16x16_bf16 v[124:131], v[84:91], v[76:83], v[124:131]
	v_cndmask_b32_e32 v69, v69, v70, vcc_lo
	v_or_b32_e32 v70, 2, v68
	v_wmma_f32_16x16x16_bf16 v[100:107], v[92:99], v[76:83], v[100:107]
	v_or_b32_e32 v109, 10, v68
	v_dual_mul_f32 v82, s18, v127 :: v_dual_mul_f32 v79, s18, v130
	v_dual_mul_f32 v92, s18, v125 :: v_dual_mul_f32 v93, s18, v124
	s_delay_alu instid0(VALU_DEP_4)
	v_mul_f32_e32 v98, s18, v103
	v_cmp_gt_i32_e32 vcc_lo, s17, v70
	v_or_b32_e32 v89, 22, v68
	v_dual_mul_f32 v83, s18, v126 :: v_dual_mul_f32 v96, s18, v105
	v_cndmask_b32_e64 v93, 0xff7fffff, v93, s2
	v_cndmask_b32_e32 v92, 0xff7fffff, v92, vcc_lo
	v_cmp_gt_i32_e64 s3, s17, v71
	v_cmp_gt_i32_e64 s4, s17, v72
	v_or_b32_e32 v84, 12, v68
	v_or_b32_e32 v85, 14, v68
	v_dual_mul_f32 v80, s18, v129 :: v_dual_mul_f32 v81, s18, v128
	v_mul_f32_e32 v94, s18, v107
	v_cndmask_b32_e64 v71, 0xff7fffff, v83, s3
	v_cndmask_b32_e64 v72, 0xff7fffff, v82, s4
	v_cmp_gt_i32_e64 s5, s17, v108
	v_cmp_gt_i32_e64 s6, s17, v109
	;; [unrolled: 1-line block ×3, first 2 shown]
	v_lshlrev_b32_e32 v89, 2, v69
	v_max3_f32 v82, v93, 0xff7fffff, v92
	v_or_b32_e32 v86, 16, v68
	v_or_b32_e32 v87, 18, v68
	v_mul_f32_e32 v78, s18, v131
	v_cndmask_b32_e64 v81, 0xff7fffff, v81, s5
	v_cndmask_b32_e64 v80, 0xff7fffff, v80, s6
	v_max3_f32 v71, v82, v71, v72
	v_cmp_gt_i32_e64 s7, s17, v84
	v_cmp_gt_i32_e64 s8, s17, v85
	v_or_b32_e32 v88, 20, v68
	v_or_b32_e32 v90, 24, v68
	;; [unrolled: 1-line block ×5, first 2 shown]
	v_dual_mul_f32 v95, s18, v106 :: v_dual_mul_f32 v70, s18, v101
	v_dual_mul_f32 v99, s18, v102 :: v_dual_mul_f32 v68, s18, v100
	v_cndmask_b32_e64 v72, 0xff7fffff, v79, s7
	v_cndmask_b32_e64 v78, 0xff7fffff, v78, s8
	v_max3_f32 v71, v71, v81, v80
	v_cmp_gt_i32_e64 s9, s17, v86
	v_cmp_gt_i32_e64 s10, s17, v87
	;; [unrolled: 1-line block ×3, first 2 shown]
	v_mul_f32_e32 v97, s18, v104
	v_max3_f32 v71, v71, v72, v78
	v_cndmask_b32_e64 v68, 0xff7fffff, v68, s9
	v_cndmask_b32_e64 v70, 0xff7fffff, v70, s10
	;; [unrolled: 1-line block ×4, first 2 shown]
	v_cmp_gt_i32_e64 s13, s17, v90
	v_cmp_gt_i32_e64 s15, s17, v91
	v_max3_f32 v68, v71, v68, v70
	v_cmp_gt_i32_e64 s16, s17, v76
	v_cmp_gt_i32_e64 s17, s17, v77
	v_cndmask_b32_e64 v70, 0xff7fffff, v97, s13
	v_cndmask_b32_e64 v71, 0xff7fffff, v96, s15
	v_max3_f32 v68, v68, v72, v78
	v_cndmask_b32_e64 v72, 0xff7fffff, v95, s16
	v_cndmask_b32_e64 v76, 0xff7fffff, v94, s17
	s_delay_alu instid0(VALU_DEP_3) | instskip(NEXT) | instid1(VALU_DEP_1)
	v_max3_f32 v68, v68, v70, v71
	v_max3_f32 v68, v68, v72, v76
	ds_bpermute_b32 v69, v89, v68
	s_waitcnt lgkmcnt(0)
	v_max_f32_e32 v69, v69, v69
	s_delay_alu instid0(VALU_DEP_1) | instskip(NEXT) | instid1(VALU_DEP_1)
	v_max_f32_e32 v68, v68, v69
	v_fma_f32 v69, s18, v124, -v68
	v_fma_f32 v70, s18, v125, -v68
	;; [unrolled: 1-line block ×5, first 2 shown]
	s_delay_alu instid0(VALU_DEP_4) | instskip(NEXT) | instid1(VALU_DEP_4)
	v_dual_mul_f32 v69, 0x3fb8aa3b, v69 :: v_dual_mul_f32 v70, 0x3fb8aa3b, v70
	v_mul_f32_e32 v72, 0x3fb8aa3b, v72
	v_fma_f32 v78, s18, v130, -v68
	s_delay_alu instid0(VALU_DEP_4) | instskip(NEXT) | instid1(VALU_DEP_4)
	v_mul_f32_e32 v77, 0x3fb8aa3b, v76
	v_exp_f32_e32 v69, v69
	v_exp_f32_e32 v70, v70
	v_mul_f32_e32 v71, 0x3fb8aa3b, v71
	v_exp_f32_e32 v72, v72
	v_mul_f32_e32 v78, 0x3fb8aa3b, v78
	v_exp_f32_e32 v77, v77
	v_fma_f32 v81, s18, v105, -v68
	s_delay_alu instid0(VALU_DEP_2)
	v_exp_f32_e32 v78, v78
	v_cndmask_b32_e64 v80, 0, v69, s2
	v_cndmask_b32_e32 v76, 0, v70, vcc_lo
	v_exp_f32_e32 v71, v71
	v_fma_f32 v69, s18, v129, -v68
	v_cndmask_b32_e64 v85, 0, v72, s4
	v_add_f32_e32 v70, 0, v80
	s_delay_alu instid0(TRANS32_DEP_3)
	v_cndmask_b32_e64 v86, 0, v77, s5
	v_fma_f32 v77, s18, v101, -v68
	v_mul_f32_e32 v69, 0x3fb8aa3b, v69
	v_fma_f32 v72, s18, v100, -v68
	v_cndmask_b32_e64 v84, 0, v78, s7
	v_fma_f32 v78, s18, v103, -v68
	v_cndmask_b32_e64 v83, 0, v71, s3
	v_fma_f32 v71, s18, v131, -v68
	v_add_f32_e32 v70, v70, v76
	v_exp_f32_e32 v69, v69
	v_mul_f32_e32 v77, 0x3fb8aa3b, v77
	v_mul_f32_e32 v81, 0x3fb8aa3b, v81
	;; [unrolled: 1-line block ×3, first 2 shown]
	v_add_f32_e32 v70, v70, v83
	s_mov_b32 s2, exec_lo
	v_exp_f32_e32 v77, v77
	v_exp_f32_e32 v81, v81
	;; [unrolled: 1-line block ×3, first 2 shown]
	v_cndmask_b32_e64 v87, 0, v69, s6
	v_add_f32_e32 v70, v70, v85
	s_delay_alu instid0(VALU_DEP_1) | instskip(SKIP_1) | instid1(VALU_DEP_2)
	v_dual_mul_f32 v72, 0x3fb8aa3b, v72 :: v_dual_add_f32 v69, v70, v86
	v_fma_f32 v70, s18, v102, -v68
	v_exp_f32_e32 v72, v72
	s_waitcnt_depctr 0xfff
	v_cndmask_b32_e64 v88, 0, v71, s8
	v_fma_f32 v71, s18, v104, -v68
	v_dual_add_f32 v69, v69, v87 :: v_dual_mul_f32 v70, 0x3fb8aa3b, v70
	s_delay_alu instid0(VALU_DEP_2) | instskip(NEXT) | instid1(VALU_DEP_2)
	v_dual_mul_f32 v78, 0x3fb8aa3b, v78 :: v_dual_mul_f32 v71, 0x3fb8aa3b, v71
	v_add_f32_e32 v69, v69, v84
	s_delay_alu instid0(VALU_DEP_3) | instskip(SKIP_1) | instid1(VALU_DEP_3)
	v_exp_f32_e32 v79, v70
	v_cndmask_b32_e64 v70, 0, v72, s9
	v_exp_f32_e32 v78, v78
	v_exp_f32_e32 v82, v71
	v_add_f32_e32 v72, v69, v88
	v_cndmask_b32_e64 v69, 0, v77, s10
	v_fma_f32 v77, s18, v106, -v68
	s_delay_alu instid0(VALU_DEP_3) | instskip(NEXT) | instid1(TRANS32_DEP_3)
	v_add_f32_e32 v72, v72, v70
	v_cndmask_b32_e64 v71, 0, v79, s11
	s_delay_alu instid0(VALU_DEP_3) | instskip(NEXT) | instid1(VALU_DEP_3)
	v_mul_f32_e32 v77, 0x3fb8aa3b, v77
	v_add_f32_e32 v79, v72, v69
	s_delay_alu instid0(TRANS32_DEP_2) | instskip(NEXT) | instid1(VALU_DEP_3)
	v_cndmask_b32_e64 v72, 0, v78, s12
	v_exp_f32_e32 v90, v77
	v_cndmask_b32_e64 v77, 0, v82, s13
	s_delay_alu instid0(VALU_DEP_3) | instskip(SKIP_1) | instid1(VALU_DEP_1)
	v_add_f32_e32 v78, v79, v71
	v_fma_f32 v79, s18, v107, -v68
	v_dual_add_f32 v82, v78, v72 :: v_dual_mul_f32 v79, 0x3fb8aa3b, v79
	v_cndmask_b32_e64 v78, 0, v81, s15
	s_delay_alu instid0(VALU_DEP_2) | instskip(NEXT) | instid1(VALU_DEP_3)
	v_add_f32_e32 v81, v82, v77
	v_exp_f32_e32 v82, v79
	s_delay_alu instid0(TRANS32_DEP_2) | instskip(NEXT) | instid1(VALU_DEP_2)
	v_cndmask_b32_e64 v79, 0, v90, s16
	v_add_f32_e32 v81, v81, v78
	s_delay_alu instid0(VALU_DEP_1) | instskip(SKIP_2) | instid1(VALU_DEP_1)
	v_add_f32_e32 v90, v81, v79
	s_waitcnt_depctr 0xfff
	v_cndmask_b32_e64 v81, 0, v82, s17
	v_add_f32_e32 v82, v90, v81
	ds_bpermute_b32 v89, v89, v82
	v_cmpx_gt_u32_e32 16, v67
	s_cbranch_execz .LBB1819_12
; %bb.11:
	v_mul_u32_u24_e32 v67, 0x44, v66
	s_delay_alu instid0(VALU_DEP_1) | instskip(SKIP_1) | instid1(VALU_DEP_1)
	v_lshl_add_u32 v67, v65, 2, v67
	s_waitcnt lgkmcnt(0)
	v_dual_add_f32 v82, v82, v89 :: v_dual_add_nc_u32 v67, 0x4000, v67
	ds_store_2addr_b32 v67, v68, v82 offset1:136
.LBB1819_12:
	s_or_b32 exec_lo, exec_lo, s2
	v_lshlrev_b32_e32 v67, 2, v65
	s_waitcnt lgkmcnt(0)
	s_barrier
	buffer_gl0_inv
	v_cmp_eq_u32_e32 vcc_lo, 1, v66
	v_add_nc_u32_e32 v82, 0x4000, v67
	v_cmp_eq_u32_e64 s2, 2, v66
	v_cmp_eq_u32_e64 s4, 7, v66
	ds_load_2addr_b32 v[89:90], v82 offset1:17
	ds_load_2addr_b32 v[91:92], v82 offset0:34 offset1:51
	ds_load_2addr_b32 v[93:94], v82 offset0:68 offset1:85
	;; [unrolled: 1-line block ×4, first 2 shown]
	s_waitcnt lgkmcnt(4)
	v_max3_f32 v67, v89, 0xff7fffff, v90
	s_waitcnt lgkmcnt(3)
	s_delay_alu instid0(VALU_DEP_1) | instskip(SKIP_1) | instid1(VALU_DEP_1)
	v_max3_f32 v67, v67, v91, v92
	s_waitcnt lgkmcnt(2)
	v_max3_f32 v67, v67, v93, v94
	s_waitcnt lgkmcnt(1)
	s_delay_alu instid0(VALU_DEP_1) | instskip(NEXT) | instid1(VALU_DEP_1)
	v_max3_f32 v67, v67, v95, v96
	v_sub_f32_e32 v93, v93, v67
	s_delay_alu instid0(VALU_DEP_1) | instskip(NEXT) | instid1(VALU_DEP_1)
	v_dual_sub_f32 v68, v89, v67 :: v_dual_mul_f32 v103, 0x3fb8aa3b, v93
	v_mul_f32_e32 v68, 0x3fb8aa3b, v68
	s_delay_alu instid0(VALU_DEP_1)
	v_exp_f32_e32 v100, v68
	v_sub_f32_e32 v68, v92, v67
	v_sub_f32_e32 v99, v90, v67
	ds_load_2addr_b32 v[89:90], v82 offset0:170 offset1:187
	v_dual_mul_f32 v102, 0x3fb8aa3b, v68 :: v_dual_mul_f32 v99, 0x3fb8aa3b, v99
	s_waitcnt lgkmcnt(1)
	v_fma_f32 v68, v100, v97, 0
	s_delay_alu instid0(VALU_DEP_2) | instskip(NEXT) | instid1(VALU_DEP_2)
	v_exp_f32_e32 v102, v102
	v_exp_f32_e32 v99, v99
	s_waitcnt_depctr 0xfff
	v_fmac_f32_e32 v68, v99, v98
	v_sub_f32_e32 v91, v91, v67
	s_delay_alu instid0(VALU_DEP_1)
	v_mul_f32_e32 v101, 0x3fb8aa3b, v91
	ds_load_2addr_b32 v[91:92], v82 offset0:204 offset1:221
	v_sub_f32_e32 v97, v94, v67
	ds_load_2addr_b32 v[93:94], v82 offset0:238 offset1:255
	s_waitcnt lgkmcnt(0)
	v_exp_f32_e32 v101, v101
	s_barrier
	buffer_gl0_inv
	v_dual_fmac_f32 v68, v101, v89 :: v_dual_sub_f32 v89, v96, v67
	v_dual_sub_f32 v82, v95, v67 :: v_dual_mul_f32 v95, 0x3fb8aa3b, v97
	v_exp_f32_e32 v97, v103
	s_delay_alu instid0(VALU_DEP_2) | instskip(NEXT) | instid1(VALU_DEP_2)
	v_dual_fmac_f32 v68, v102, v90 :: v_dual_mul_f32 v89, 0x3fb8aa3b, v89
	v_mul_f32_e32 v82, 0x3fb8aa3b, v82
	s_delay_alu instid0(VALU_DEP_3) | instskip(NEXT) | instid1(VALU_DEP_2)
	v_exp_f32_e32 v95, v95
	v_exp_f32_e32 v89, v89
	s_delay_alu instid0(VALU_DEP_1)
	v_exp_f32_e32 v82, v82
	v_fmac_f32_e32 v68, v97, v91
	s_delay_alu instid0(TRANS32_DEP_3) | instid1(VALU_DEP_1)
	v_fmac_f32_e32 v68, v95, v92
	s_waitcnt_depctr 0xfff
	v_fmac_f32_e32 v68, v82, v93
	s_delay_alu instid0(VALU_DEP_1) | instskip(NEXT) | instid1(VALU_DEP_1)
	v_fmac_f32_e32 v68, v89, v94
	v_add_f32_e32 v90, 0x358637bd, v68
	s_delay_alu instid0(VALU_DEP_1) | instskip(NEXT) | instid1(VALU_DEP_1)
	v_div_scale_f32 v91, null, v90, v90, 1.0
	v_rcp_f32_e32 v92, v91
	s_waitcnt_depctr 0xfff
	v_fma_f32 v93, -v91, v92, 1.0
	s_delay_alu instid0(VALU_DEP_1) | instskip(SKIP_1) | instid1(VALU_DEP_2)
	v_dual_fmac_f32 v92, v93, v92 :: v_dual_cndmask_b32 v93, v100, v99
	v_cmp_eq_u32_e32 vcc_lo, 3, v66
	v_cndmask_b32_e64 v93, v93, v101, s2
	v_cmp_eq_u32_e64 s2, 4, v66
	s_delay_alu instid0(VALU_DEP_2) | instskip(SKIP_1) | instid1(VALU_DEP_2)
	v_cndmask_b32_e32 v93, v93, v102, vcc_lo
	v_cmp_eq_u32_e32 vcc_lo, 5, v66
	v_cndmask_b32_e64 v93, v93, v97, s2
	v_cmp_eq_u32_e64 s2, 6, v66
	s_delay_alu instid0(VALU_DEP_2) | instskip(SKIP_1) | instid1(VALU_DEP_1)
	v_cndmask_b32_e32 v93, v93, v95, vcc_lo
	v_div_scale_f32 v94, s3, 1.0, v90, 1.0
	s_mov_b32 vcc_lo, s3
	s_delay_alu instid0(VALU_DEP_2) | instskip(NEXT) | instid1(VALU_DEP_2)
	v_cndmask_b32_e64 v82, v93, v82, s2
	v_mul_f32_e32 v96, v94, v92
	s_mov_b32 s2, exec_lo
	s_delay_alu instid0(VALU_DEP_2) | instskip(NEXT) | instid1(VALU_DEP_2)
	v_cndmask_b32_e64 v82, v82, v89, s4
	v_fma_f32 v98, -v91, v96, v94
	s_delay_alu instid0(VALU_DEP_1) | instskip(NEXT) | instid1(VALU_DEP_1)
	v_fmac_f32_e32 v96, v98, v92
	v_fma_f32 v91, -v91, v96, v94
	s_delay_alu instid0(VALU_DEP_1) | instskip(NEXT) | instid1(VALU_DEP_1)
	v_div_fmas_f32 v91, v91, v92, v96
	v_div_fixup_f32 v90, v91, v90, 1.0
	s_delay_alu instid0(VALU_DEP_1) | instskip(NEXT) | instid1(VALU_DEP_1)
	v_mul_f32_e32 v82, v82, v90
	v_mul_f32_e32 v87, v82, v87
	;; [unrolled: 1-line block ×7, first 2 shown]
	v_dual_mul_f32 v86, v82, v83 :: v_dual_and_b32 v91, 0x7f800000, v90
	v_mul_f32_e32 v85, v82, v76
                                        ; implicit-def: $vgpr76
	s_delay_alu instid0(VALU_DEP_2)
	v_cmpx_ne_u32_e32 0x7f800000, v91
	s_xor_b32 s2, exec_lo, s2
; %bb.13:
	v_bfe_u32 v76, v90, 16, 1
	s_delay_alu instid0(VALU_DEP_1)
	v_add3_u32 v76, v90, v76, 0x7fff
                                        ; implicit-def: $vgpr90
; %bb.14:
	s_and_not1_saveexec_b32 s2, s2
; %bb.15:
	v_and_b32_e32 v76, 0xffff, v90
	v_or_b32_e32 v83, 0x10000, v90
	s_delay_alu instid0(VALU_DEP_2) | instskip(NEXT) | instid1(VALU_DEP_2)
	v_cmp_eq_u32_e32 vcc_lo, 0, v76
	v_cndmask_b32_e32 v76, v83, v90, vcc_lo
; %bb.16:
	s_or_b32 exec_lo, exec_lo, s2
	v_and_b32_e32 v83, 0x7f800000, v85
	s_delay_alu instid0(VALU_DEP_1) | instskip(SKIP_1) | instid1(SALU_CYCLE_1)
	v_cmp_ne_u32_e32 vcc_lo, 0x7f800000, v83
                                        ; implicit-def: $vgpr83
	s_and_saveexec_b32 s2, vcc_lo
	s_xor_b32 s2, exec_lo, s2
; %bb.17:
	v_bfe_u32 v83, v85, 16, 1
	s_delay_alu instid0(VALU_DEP_1)
	v_add3_u32 v83, v85, v83, 0x7fff
                                        ; implicit-def: $vgpr85
; %bb.18:
	s_and_not1_saveexec_b32 s2, s2
; %bb.19:
	v_and_b32_e32 v83, 0xffff, v85
	v_or_b32_e32 v90, 0x10000, v85
	s_delay_alu instid0(VALU_DEP_2) | instskip(NEXT) | instid1(VALU_DEP_2)
	v_cmp_eq_u32_e32 vcc_lo, 0, v83
	v_cndmask_b32_e32 v83, v90, v85, vcc_lo
; %bb.20:
	s_or_b32 exec_lo, exec_lo, s2
	v_and_b32_e32 v85, 0x7f800000, v86
	s_delay_alu instid0(VALU_DEP_1) | instskip(SKIP_1) | instid1(SALU_CYCLE_1)
	v_cmp_ne_u32_e32 vcc_lo, 0x7f800000, v85
                                        ; implicit-def: $vgpr85
	s_and_saveexec_b32 s2, vcc_lo
	s_xor_b32 s2, exec_lo, s2
; %bb.21:
	v_bfe_u32 v85, v86, 16, 1
	s_delay_alu instid0(VALU_DEP_1)
	v_add3_u32 v85, v86, v85, 0x7fff
                                        ; implicit-def: $vgpr86
; %bb.22:
	s_and_not1_saveexec_b32 s2, s2
; %bb.23:
	v_and_b32_e32 v85, 0xffff, v86
	v_or_b32_e32 v90, 0x10000, v86
	s_delay_alu instid0(VALU_DEP_2) | instskip(NEXT) | instid1(VALU_DEP_2)
	v_cmp_eq_u32_e32 vcc_lo, 0, v85
	v_cndmask_b32_e32 v85, v90, v86, vcc_lo
; %bb.24:
	s_or_b32 exec_lo, exec_lo, s2
	v_and_b32_e32 v86, 0x7f800000, v89
	s_delay_alu instid0(VALU_DEP_1) | instskip(SKIP_1) | instid1(SALU_CYCLE_1)
	v_cmp_ne_u32_e32 vcc_lo, 0x7f800000, v86
                                        ; implicit-def: $vgpr86
	s_and_saveexec_b32 s2, vcc_lo
	s_xor_b32 s2, exec_lo, s2
; %bb.25:
	v_bfe_u32 v86, v89, 16, 1
	s_delay_alu instid0(VALU_DEP_1)
	v_add3_u32 v86, v89, v86, 0x7fff
                                        ; implicit-def: $vgpr89
; %bb.26:
	s_and_not1_saveexec_b32 s2, s2
; %bb.27:
	v_and_b32_e32 v86, 0xffff, v89
	v_or_b32_e32 v90, 0x10000, v89
	s_delay_alu instid0(VALU_DEP_2) | instskip(NEXT) | instid1(VALU_DEP_2)
	v_cmp_eq_u32_e32 vcc_lo, 0, v86
	v_cndmask_b32_e32 v86, v90, v89, vcc_lo
; %bb.28:
	s_or_b32 exec_lo, exec_lo, s2
	v_and_b32_e32 v89, 0x7f800000, v88
	s_delay_alu instid0(VALU_DEP_1) | instskip(SKIP_1) | instid1(SALU_CYCLE_1)
	v_cmp_ne_u32_e32 vcc_lo, 0x7f800000, v89
                                        ; implicit-def: $vgpr89
	s_and_saveexec_b32 s2, vcc_lo
	s_xor_b32 s2, exec_lo, s2
; %bb.29:
	v_bfe_u32 v89, v88, 16, 1
	s_delay_alu instid0(VALU_DEP_1)
	v_add3_u32 v89, v88, v89, 0x7fff
                                        ; implicit-def: $vgpr88
; %bb.30:
	s_and_not1_saveexec_b32 s2, s2
; %bb.31:
	v_and_b32_e32 v89, 0xffff, v88
	v_or_b32_e32 v90, 0x10000, v88
	s_delay_alu instid0(VALU_DEP_2) | instskip(NEXT) | instid1(VALU_DEP_2)
	v_cmp_eq_u32_e32 vcc_lo, 0, v89
	v_cndmask_b32_e32 v89, v90, v88, vcc_lo
; %bb.32:
	s_or_b32 exec_lo, exec_lo, s2
	v_and_b32_e32 v88, 0x7f800000, v87
	s_delay_alu instid0(VALU_DEP_1) | instskip(SKIP_1) | instid1(SALU_CYCLE_1)
	v_cmp_ne_u32_e32 vcc_lo, 0x7f800000, v88
                                        ; implicit-def: $vgpr88
	s_and_saveexec_b32 s2, vcc_lo
	s_xor_b32 s2, exec_lo, s2
; %bb.33:
	v_bfe_u32 v88, v87, 16, 1
	s_delay_alu instid0(VALU_DEP_1)
	v_add3_u32 v88, v87, v88, 0x7fff
                                        ; implicit-def: $vgpr87
; %bb.34:
	s_and_not1_saveexec_b32 s2, s2
; %bb.35:
	v_and_b32_e32 v88, 0xffff, v87
	v_or_b32_e32 v90, 0x10000, v87
	s_delay_alu instid0(VALU_DEP_2) | instskip(NEXT) | instid1(VALU_DEP_2)
	v_cmp_eq_u32_e32 vcc_lo, 0, v88
	v_cndmask_b32_e32 v88, v90, v87, vcc_lo
; %bb.36:
	s_or_b32 exec_lo, exec_lo, s2
	v_and_b32_e32 v87, 0x7f800000, v84
	s_delay_alu instid0(VALU_DEP_1) | instskip(SKIP_1) | instid1(SALU_CYCLE_1)
	v_cmp_ne_u32_e32 vcc_lo, 0x7f800000, v87
                                        ; implicit-def: $vgpr87
	s_and_saveexec_b32 s2, vcc_lo
	s_xor_b32 s2, exec_lo, s2
; %bb.37:
	v_bfe_u32 v87, v84, 16, 1
	s_delay_alu instid0(VALU_DEP_1)
	v_add3_u32 v87, v84, v87, 0x7fff
                                        ; implicit-def: $vgpr84
; %bb.38:
	s_and_not1_saveexec_b32 s2, s2
; %bb.39:
	v_and_b32_e32 v87, 0xffff, v84
	v_or_b32_e32 v90, 0x10000, v84
	s_delay_alu instid0(VALU_DEP_2) | instskip(NEXT) | instid1(VALU_DEP_2)
	v_cmp_eq_u32_e32 vcc_lo, 0, v87
	v_cndmask_b32_e32 v87, v90, v84, vcc_lo
; %bb.40:
	s_or_b32 exec_lo, exec_lo, s2
	v_and_b32_e32 v84, 0x7f800000, v80
	s_delay_alu instid0(VALU_DEP_1) | instskip(SKIP_1) | instid1(SALU_CYCLE_1)
	v_cmp_ne_u32_e32 vcc_lo, 0x7f800000, v84
                                        ; implicit-def: $vgpr84
	s_and_saveexec_b32 s2, vcc_lo
	s_xor_b32 s2, exec_lo, s2
; %bb.41:
	v_bfe_u32 v84, v80, 16, 1
	s_delay_alu instid0(VALU_DEP_1)
	v_add3_u32 v84, v80, v84, 0x7fff
                                        ; implicit-def: $vgpr80
; %bb.42:
	s_and_not1_saveexec_b32 s2, s2
; %bb.43:
	v_and_b32_e32 v84, 0xffff, v80
	v_or_b32_e32 v90, 0x10000, v80
	s_delay_alu instid0(VALU_DEP_2) | instskip(NEXT) | instid1(VALU_DEP_2)
	v_cmp_eq_u32_e32 vcc_lo, 0, v84
	v_cndmask_b32_e32 v84, v90, v80, vcc_lo
; %bb.44:
	s_or_b32 exec_lo, exec_lo, s2
	s_load_b64 s[34:35], s[0:1], 0x94
	v_lshlrev_b32_e32 v91, 4, v74
	s_delay_alu instid0(VALU_DEP_2)
	v_perm_b32 v90, v84, v87, 0x7060302
	v_dual_mul_f32 v79, v82, v79 :: v_dual_lshlrev_b32 v80, 6, v65
	v_dual_mul_f32 v77, v82, v77 :: v_dual_lshlrev_b32 v92, 11, v66
	v_mul_f32_e32 v84, v82, v70
	v_perm_b32 v89, v88, v89, 0x7060302
	v_perm_b32 v88, v86, v85, 0x7060302
	;; [unrolled: 1-line block ×3, first 2 shown]
	v_mul_f32_e32 v70, v82, v81
	v_or3_b32 v76, v91, v92, v80
	v_dual_mul_f32 v78, v82, v78 :: v_dual_and_b32 v85, 0x7f800000, v84
	v_mul_f32_e32 v83, v82, v72
	v_mul_f32_e32 v81, v82, v71
	;; [unrolled: 1-line block ×3, first 2 shown]
	s_mov_b32 s2, exec_lo
	ds_store_b128 v76, v[87:90]
                                        ; implicit-def: $vgpr69
	v_cmpx_ne_u32_e32 0x7f800000, v85
	s_xor_b32 s2, exec_lo, s2
; %bb.45:
	v_bfe_u32 v69, v84, 16, 1
	s_delay_alu instid0(VALU_DEP_1)
	v_add3_u32 v69, v84, v69, 0x7fff
                                        ; implicit-def: $vgpr84
; %bb.46:
	s_and_not1_saveexec_b32 s2, s2
; %bb.47:
	v_and_b32_e32 v69, 0xffff, v84
	v_or_b32_e32 v71, 0x10000, v84
	s_delay_alu instid0(VALU_DEP_2) | instskip(NEXT) | instid1(VALU_DEP_2)
	v_cmp_eq_u32_e32 vcc_lo, 0, v69
	v_cndmask_b32_e32 v69, v71, v84, vcc_lo
; %bb.48:
	s_or_b32 exec_lo, exec_lo, s2
	v_and_b32_e32 v71, 0x7f800000, v72
	s_delay_alu instid0(VALU_DEP_1) | instskip(SKIP_1) | instid1(SALU_CYCLE_1)
	v_cmp_ne_u32_e32 vcc_lo, 0x7f800000, v71
                                        ; implicit-def: $vgpr71
	s_and_saveexec_b32 s2, vcc_lo
	s_xor_b32 s2, exec_lo, s2
; %bb.49:
	v_bfe_u32 v71, v72, 16, 1
	s_delay_alu instid0(VALU_DEP_1)
	v_add3_u32 v71, v72, v71, 0x7fff
                                        ; implicit-def: $vgpr72
; %bb.50:
	s_and_not1_saveexec_b32 s2, s2
; %bb.51:
	v_and_b32_e32 v71, 0xffff, v72
	v_or_b32_e32 v82, 0x10000, v72
	s_delay_alu instid0(VALU_DEP_2) | instskip(NEXT) | instid1(VALU_DEP_2)
	v_cmp_eq_u32_e32 vcc_lo, 0, v71
	v_cndmask_b32_e32 v71, v82, v72, vcc_lo
; %bb.52:
	s_or_b32 exec_lo, exec_lo, s2
	v_and_b32_e32 v72, 0x7f800000, v81
	s_delay_alu instid0(VALU_DEP_1) | instskip(SKIP_1) | instid1(SALU_CYCLE_1)
	v_cmp_ne_u32_e32 vcc_lo, 0x7f800000, v72
                                        ; implicit-def: $vgpr72
	s_and_saveexec_b32 s2, vcc_lo
	s_xor_b32 s2, exec_lo, s2
; %bb.53:
	v_bfe_u32 v72, v81, 16, 1
	s_delay_alu instid0(VALU_DEP_1)
	v_add3_u32 v72, v81, v72, 0x7fff
                                        ; implicit-def: $vgpr81
; %bb.54:
	s_and_not1_saveexec_b32 s2, s2
; %bb.55:
	v_and_b32_e32 v72, 0xffff, v81
	v_or_b32_e32 v82, 0x10000, v81
	s_delay_alu instid0(VALU_DEP_2) | instskip(NEXT) | instid1(VALU_DEP_2)
	v_cmp_eq_u32_e32 vcc_lo, 0, v72
	v_cndmask_b32_e32 v72, v82, v81, vcc_lo
; %bb.56:
	s_or_b32 exec_lo, exec_lo, s2
	v_and_b32_e32 v81, 0x7f800000, v83
	s_delay_alu instid0(VALU_DEP_1) | instskip(SKIP_1) | instid1(SALU_CYCLE_1)
	v_cmp_ne_u32_e32 vcc_lo, 0x7f800000, v81
                                        ; implicit-def: $vgpr81
	s_and_saveexec_b32 s2, vcc_lo
	s_xor_b32 s2, exec_lo, s2
; %bb.57:
	v_bfe_u32 v81, v83, 16, 1
	s_delay_alu instid0(VALU_DEP_1)
	v_add3_u32 v81, v83, v81, 0x7fff
                                        ; implicit-def: $vgpr83
; %bb.58:
	s_and_not1_saveexec_b32 s2, s2
; %bb.59:
	v_and_b32_e32 v81, 0xffff, v83
	v_or_b32_e32 v82, 0x10000, v83
	s_delay_alu instid0(VALU_DEP_2) | instskip(NEXT) | instid1(VALU_DEP_2)
	v_cmp_eq_u32_e32 vcc_lo, 0, v81
	v_cndmask_b32_e32 v81, v82, v83, vcc_lo
; %bb.60:
	s_or_b32 exec_lo, exec_lo, s2
	v_and_b32_e32 v82, 0x7f800000, v77
	s_delay_alu instid0(VALU_DEP_1) | instskip(SKIP_1) | instid1(SALU_CYCLE_1)
	v_cmp_ne_u32_e32 vcc_lo, 0x7f800000, v82
                                        ; implicit-def: $vgpr82
	s_and_saveexec_b32 s2, vcc_lo
	s_xor_b32 s2, exec_lo, s2
; %bb.61:
	v_bfe_u32 v82, v77, 16, 1
	s_delay_alu instid0(VALU_DEP_1)
	v_add3_u32 v82, v77, v82, 0x7fff
                                        ; implicit-def: $vgpr77
; %bb.62:
	s_and_not1_saveexec_b32 s2, s2
; %bb.63:
	v_and_b32_e32 v82, 0xffff, v77
	v_or_b32_e32 v83, 0x10000, v77
	s_delay_alu instid0(VALU_DEP_2) | instskip(NEXT) | instid1(VALU_DEP_2)
	v_cmp_eq_u32_e32 vcc_lo, 0, v82
	v_cndmask_b32_e32 v82, v83, v77, vcc_lo
; %bb.64:
	s_or_b32 exec_lo, exec_lo, s2
	v_and_b32_e32 v77, 0x7f800000, v78
	s_delay_alu instid0(VALU_DEP_1) | instskip(SKIP_1) | instid1(SALU_CYCLE_1)
	v_cmp_ne_u32_e32 vcc_lo, 0x7f800000, v77
                                        ; implicit-def: $vgpr77
	s_and_saveexec_b32 s2, vcc_lo
	s_xor_b32 s2, exec_lo, s2
; %bb.65:
	v_bfe_u32 v77, v78, 16, 1
	s_delay_alu instid0(VALU_DEP_1)
	v_add3_u32 v77, v78, v77, 0x7fff
                                        ; implicit-def: $vgpr78
; %bb.66:
	s_and_not1_saveexec_b32 s2, s2
; %bb.67:
	v_and_b32_e32 v77, 0xffff, v78
	v_or_b32_e32 v83, 0x10000, v78
	s_delay_alu instid0(VALU_DEP_2) | instskip(NEXT) | instid1(VALU_DEP_2)
	v_cmp_eq_u32_e32 vcc_lo, 0, v77
	v_cndmask_b32_e32 v77, v83, v78, vcc_lo
; %bb.68:
	s_or_b32 exec_lo, exec_lo, s2
	v_and_b32_e32 v78, 0x7f800000, v79
	s_delay_alu instid0(VALU_DEP_1) | instskip(SKIP_1) | instid1(SALU_CYCLE_1)
	v_cmp_ne_u32_e32 vcc_lo, 0x7f800000, v78
                                        ; implicit-def: $vgpr78
	s_and_saveexec_b32 s2, vcc_lo
	s_xor_b32 s2, exec_lo, s2
; %bb.69:
	v_bfe_u32 v78, v79, 16, 1
	s_delay_alu instid0(VALU_DEP_1)
	v_add3_u32 v78, v79, v78, 0x7fff
                                        ; implicit-def: $vgpr79
; %bb.70:
	s_and_not1_saveexec_b32 s2, s2
; %bb.71:
	v_and_b32_e32 v78, 0xffff, v79
	v_or_b32_e32 v83, 0x10000, v79
	s_delay_alu instid0(VALU_DEP_2) | instskip(NEXT) | instid1(VALU_DEP_2)
	v_cmp_eq_u32_e32 vcc_lo, 0, v78
	v_cndmask_b32_e32 v78, v83, v79, vcc_lo
; %bb.72:
	s_or_b32 exec_lo, exec_lo, s2
	v_and_b32_e32 v79, 0x7f800000, v70
	s_delay_alu instid0(VALU_DEP_1) | instskip(SKIP_1) | instid1(SALU_CYCLE_1)
	v_cmp_ne_u32_e32 vcc_lo, 0x7f800000, v79
                                        ; implicit-def: $vgpr79
	s_and_saveexec_b32 s2, vcc_lo
	s_xor_b32 s2, exec_lo, s2
; %bb.73:
	v_bfe_u32 v79, v70, 16, 1
	s_delay_alu instid0(VALU_DEP_1)
	v_add3_u32 v79, v70, v79, 0x7fff
                                        ; implicit-def: $vgpr70
; %bb.74:
	s_and_not1_saveexec_b32 s2, s2
; %bb.75:
	v_and_b32_e32 v79, 0xffff, v70
	v_or_b32_e32 v83, 0x10000, v70
	s_delay_alu instid0(VALU_DEP_2) | instskip(NEXT) | instid1(VALU_DEP_2)
	v_cmp_eq_u32_e32 vcc_lo, 0, v79
	v_cndmask_b32_e32 v79, v83, v70, vcc_lo
; %bb.76:
	s_or_b32 exec_lo, exec_lo, s2
	s_delay_alu instid0(VALU_DEP_1)
	v_perm_b32 v86, v79, v78, 0x7060302
	v_perm_b32 v85, v77, v82, 0x7060302
	;; [unrolled: 1-line block ×4, first 2 shown]
	v_lshl_or_b32 v82, v66, 11, v80
	ds_store_b128 v76, v[83:86] offset:1024
	s_waitcnt lgkmcnt(0)
	s_barrier
	buffer_gl0_inv
	ds_load_b128 v[69:72], v82
	ds_load_b128 v[83:86], v82 offset:16
	s_waitcnt lgkmcnt(1)
	v_lshrrev_b32_e32 v66, 16, v69
	s_waitcnt lgkmcnt(0)
	v_lshrrev_b32_e32 v91, 16, v83
	v_lshlrev_b32_e32 v78, 2, v74
	v_lshrrev_b32_e32 v95, 16, v70
	v_lshrrev_b32_e32 v98, 16, v84
	v_lshrrev_b32_e32 v96, 16, v71
	v_lshrrev_b32_e32 v99, 16, v85
	v_cmp_eq_u32_e32 vcc_lo, 1, v78
	v_lshrrev_b32_e32 v97, 16, v72
	v_lshrrev_b32_e32 v100, 16, v86
	v_cndmask_b32_e32 v87, v83, v91, vcc_lo
	v_or_b32_e32 v79, 1, v78
	v_cndmask_b32_e32 v81, v69, v66, vcc_lo
	v_cmp_eq_u32_e64 s3, 2, v78
	v_cmp_eq_u32_e64 s6, 3, v78
	;; [unrolled: 1-line block ×5, first 2 shown]
	v_cndmask_b32_e64 v81, v81, v70, s3
	v_cndmask_b32_e64 v87, v87, v84, s3
	v_cmp_eq_u32_e64 s7, 3, v79
	v_cndmask_b32_e64 v88, v69, v66, s2
	v_or_b32_e32 v77, 2, v78
	v_cndmask_b32_e64 v81, v81, v95, s6
	v_cndmask_b32_e64 v87, v87, v98, s6
	;; [unrolled: 1-line block ×4, first 2 shown]
	v_cmp_eq_u32_e64 s9, 5, v78
	v_cndmask_b32_e64 v81, v81, v71, s8
	v_cndmask_b32_e64 v87, v87, v85, s8
	v_cmp_eq_u32_e64 s10, 4, v79
	v_cndmask_b32_e64 v88, v88, v95, s7
	v_cmp_eq_u32_e64 s4, 1, v77
	v_cndmask_b32_e64 v89, v89, v84, s5
	v_cndmask_b32_e64 v81, v81, v96, s9
	v_cmp_eq_u32_e64 s11, 6, v78
	v_cndmask_b32_e64 v88, v88, v71, s10
	;; [unrolled: 3-line block ×3, first 2 shown]
	v_cndmask_b32_e64 v89, v89, v98, s7
	v_cndmask_b32_e64 v81, v81, v72, s11
	v_cmp_eq_u32_e64 s13, 7, v78
	v_cndmask_b32_e64 v88, v88, v96, s12
	v_cndmask_b32_e64 v87, v87, v86, s11
	v_cmp_eq_u32_e64 s15, 6, v79
	v_cmp_eq_u32_e64 s16, 2, v77
	v_cndmask_b32_e64 v89, v89, v85, s10
	v_cndmask_b32_e64 v101, v81, v97, s13
	;; [unrolled: 1-line block ×6, first 2 shown]
	v_cmp_eq_u32_e64 s17, 7, v79
	v_cmp_eq_u32_e64 s18, 3, v77
	;; [unrolled: 1-line block ×4, first 2 shown]
	v_cndmask_b32_e64 v87, v87, v84, s16
	v_cndmask_b32_e64 v103, v88, v97, s17
	;; [unrolled: 1-line block ×4, first 2 shown]
	v_or_b32_e32 v81, 3, v78
	v_cndmask_b32_e64 v93, v87, v98, s18
	v_cmp_eq_u32_e64 s23, 6, v77
	v_cndmask_b32_e64 v104, v88, v86, s15
	v_cndmask_b32_e64 v92, v89, v71, s19
	v_cmp_eq_u32_e64 s20, 1, v81
	ds_load_b128 v[87:90], v82 offset:1024
	v_cmp_eq_u32_e64 s22, 2, v81
	v_cmp_eq_u32_e64 s24, 3, v81
	v_cndmask_b32_e64 v105, v92, v96, s21
	v_cndmask_b32_e64 v66, v69, v66, s20
	;; [unrolled: 1-line block ×4, first 2 shown]
	ds_load_b128 v[91:94], v82 offset:1040
	v_cmp_eq_u32_e64 s25, 4, v81
	v_cndmask_b32_e64 v66, v66, v70, s22
	v_cmp_eq_u32_e64 s26, 7, v77
	v_cndmask_b32_e64 v70, v83, v84, s22
	v_cndmask_b32_e64 v84, v105, v72, s23
	v_cmp_eq_u32_e64 s27, 5, v81
	v_cndmask_b32_e64 v66, v66, v95, s24
	v_cmp_eq_u32_e64 s28, 6, v81
	v_cndmask_b32_e64 v70, v70, v98, s24
	v_cndmask_b32_e64 v69, v69, v99, s21
	;; [unrolled: 1-line block ×4, first 2 shown]
	s_waitcnt lgkmcnt(1)
	v_lshrrev_b32_e32 v95, 16, v87
	v_cndmask_b32_e64 v70, v70, v85, s25
	v_cndmask_b32_e64 v71, v84, v97, s26
	;; [unrolled: 1-line block ×4, first 2 shown]
	v_cndmask_b32_e32 v84, v87, v95, vcc_lo
	v_cndmask_b32_e64 v70, v70, v99, s27
	s_waitcnt lgkmcnt(0)
	v_lshrrev_b32_e32 v85, 16, v91
	v_lshrrev_b32_e32 v96, 16, v88
	v_cndmask_b32_e64 v98, v87, v95, s2
	v_cndmask_b32_e64 v84, v84, v88, s3
	;; [unrolled: 1-line block ×3, first 2 shown]
	v_cndmask_b32_e32 v99, v91, v85, vcc_lo
	v_cmp_eq_u32_e32 vcc_lo, 7, v81
	v_cndmask_b32_e64 v66, v66, v72, s28
	v_cndmask_b32_e64 v72, v84, v96, s6
	;; [unrolled: 1-line block ×3, first 2 shown]
	v_lshrrev_b32_e32 v98, 16, v92
	v_cndmask_b32_e32 v70, v70, v100, vcc_lo
	v_cndmask_b32_e64 v86, v99, v92, s3
	v_cndmask_b32_e64 v69, v69, v100, s26
	v_lshrrev_b32_e32 v100, 16, v93
	v_cndmask_b32_e64 v72, v72, v89, s8
	v_lshrrev_b32_e32 v99, 16, v89
	v_cndmask_b32_e64 v86, v86, v98, s6
	v_perm_b32 v71, v69, v71, 0x5040100
	v_cndmask_b32_e64 v84, v84, v96, s7
	s_delay_alu instid0(VALU_DEP_3) | instskip(NEXT) | instid1(VALU_DEP_2)
	v_cndmask_b32_e64 v86, v86, v93, s8
	v_cndmask_b32_e64 v84, v84, v89, s10
	s_delay_alu instid0(VALU_DEP_2) | instskip(NEXT) | instid1(VALU_DEP_1)
	v_cndmask_b32_e64 v86, v86, v100, s9
	v_cndmask_b32_e64 v69, v86, v94, s11
	;; [unrolled: 1-line block ×5, first 2 shown]
	s_delay_alu instid0(VALU_DEP_3) | instskip(NEXT) | instid1(VALU_DEP_3)
	v_cndmask_b32_e64 v86, v86, v88, s16
	v_cndmask_b32_e64 v87, v87, v88, s22
	s_delay_alu instid0(VALU_DEP_3) | instskip(NEXT) | instid1(VALU_DEP_3)
	v_cndmask_b32_e64 v88, v95, v92, s22
	v_cndmask_b32_e64 v86, v86, v96, s18
	;; [unrolled: 3-line block ×7, first 2 shown]
	s_delay_alu instid0(VALU_DEP_3) | instskip(SKIP_2) | instid1(VALU_DEP_2)
	v_cndmask_b32_e64 v88, v88, v94, s28
	v_cndmask_b32_e32 v66, v66, v97, vcc_lo
	v_cndmask_b32_e64 v97, v72, v99, s9
	v_perm_b32 v72, v70, v66, 0x5040100
	v_perm_b32 v70, v83, v103, 0x5040100
	v_cndmask_b32_e64 v103, v91, v85, s4
	v_cndmask_b32_e64 v85, v91, v85, s2
	;; [unrolled: 1-line block ×4, first 2 shown]
	v_lshrrev_b32_e32 v97, 16, v90
	v_cndmask_b32_e64 v91, v103, v92, s16
	v_cndmask_b32_e64 v85, v85, v92, s5
	v_cndmask_b32_e64 v66, v66, v90, s15
	s_mov_b32 s2, exec_lo
	v_cndmask_b32_e64 v83, v84, v97, s13
	v_cndmask_b32_e64 v91, v91, v98, s18
	;; [unrolled: 1-line block ×3, first 2 shown]
	v_lshrrev_b32_e32 v84, 16, v94
	v_cndmask_b32_e64 v66, v66, v97, s17
	v_cndmask_b32_e64 v90, v86, v97, s26
	;; [unrolled: 1-line block ×4, first 2 shown]
	v_dual_cndmask_b32 v86, v87, v97 :: v_dual_cndmask_b32 v87, v88, v84
	v_cndmask_b32_e64 v91, v69, v84, s13
	s_delay_alu instid0(VALU_DEP_4) | instskip(NEXT) | instid1(VALU_DEP_4)
	v_cndmask_b32_e64 v89, v89, v100, s21
	v_cndmask_b32_e64 v85, v85, v100, s12
	v_perm_b32 v69, v102, v101, 0x5040100
	v_perm_b32 v86, v87, v86, 0x5040100
	;; [unrolled: 1-line block ×3, first 2 shown]
	v_cndmask_b32_e64 v89, v89, v94, s23
	v_cndmask_b32_e64 v85, v85, v94, s15
	s_mul_i32 s7, s35, 14
	s_delay_alu instid0(VALU_DEP_2) | instskip(NEXT) | instid1(VALU_DEP_2)
	v_cndmask_b32_e64 v88, v89, v84, s26
	v_cndmask_b32_e64 v89, v85, v84, s17
	s_delay_alu instid0(VALU_DEP_2) | instskip(NEXT) | instid1(VALU_DEP_2)
	v_perm_b32 v85, v88, v90, 0x5040100
	v_perm_b32 v84, v89, v66, 0x5040100
	ds_store_b128 v76, v[69:72]
	ds_store_b128 v76, v[83:86] offset:1024
	v_cmpx_gt_u32_e32 14, v0
	s_cbranch_execz .LBB1819_78
; %bb.77:
	s_mul_i32 s3, s7, s30
	s_load_b128 s[8:11], s[0:1], 0x58
	v_add3_u32 v69, s3, s29, v65
	s_delay_alu instid0(VALU_DEP_1) | instskip(NEXT) | instid1(VALU_DEP_1)
	v_mad_u64_u32 v[65:66], null, v69, s34, s[14:15]
	v_ashrrev_i32_e32 v66, 31, v65
	s_delay_alu instid0(VALU_DEP_1) | instskip(SKIP_1) | instid1(VALU_DEP_1)
	v_lshlrev_b64 v[65:66], 2, v[65:66]
	s_waitcnt lgkmcnt(0)
	v_add_co_u32 v69, vcc_lo, s10, v65
	s_delay_alu instid0(VALU_DEP_2)
	v_add_co_ci_u32_e32 v70, vcc_lo, s11, v66, vcc_lo
	v_add_co_u32 v65, vcc_lo, s8, v65
	v_add_co_ci_u32_e32 v66, vcc_lo, s9, v66, vcc_lo
	global_store_b32 v[69:70], v67, off
	global_store_b32 v[65:66], v68, off
.LBB1819_78:
	s_or_b32 exec_lo, exec_lo, s2
	s_waitcnt lgkmcnt(0)
	s_waitcnt_vscnt null, 0x0
	s_barrier
	buffer_gl0_inv
	ds_load_b128 v[83:86], v80
	ds_load_b128 v[87:90], v80 offset:16
	ds_load_b128 v[95:98], v80 offset:2064
	;; [unrolled: 1-line block ×3, first 2 shown]
	v_mov_b32_e32 v65, 0
	ds_load_b128 v[103:106], v80 offset:4112
	ds_load_b128 v[99:102], v80 offset:4096
	;; [unrolled: 1-line block ×4, first 2 shown]
	v_mov_b32_e32 v66, v65
	v_mov_b32_e32 v67, v65
	;; [unrolled: 1-line block ×7, first 2 shown]
	s_waitcnt lgkmcnt(6)
	s_delay_alu instid0(VALU_DEP_1)
	v_wmma_f32_16x16x16_bf16 v[65:72], v[49:56], v[83:90], v[65:72]
	ds_load_b128 v[53:56], v80 offset:8208
	ds_load_b128 v[49:52], v80 offset:8192
	s_waitcnt lgkmcnt(6)
	v_wmma_f32_16x16x16_bf16 v[65:72], v[41:48], v[91:98], v[65:72]
	ds_load_b128 v[45:48], v80 offset:10256
	ds_load_b128 v[41:44], v80 offset:10240
	s_waitcnt lgkmcnt(6)
	v_wmma_f32_16x16x16_bf16 v[65:72], v[33:40], v[99:106], v[65:72]
	ds_load_b128 v[37:40], v80 offset:12304
	ds_load_b128 v[33:36], v80 offset:12288
	s_waitcnt lgkmcnt(6)
	v_wmma_f32_16x16x16_bf16 v[65:72], v[25:32], v[107:114], v[65:72]
	ds_load_b128 v[29:32], v80 offset:14352
	ds_load_b128 v[25:28], v80 offset:14336
	s_waitcnt lgkmcnt(6)
	v_wmma_f32_16x16x16_bf16 v[65:72], v[1:8], v[49:56], v[65:72]
	s_waitcnt lgkmcnt(4)
	s_delay_alu instid0(VALU_DEP_1) | instskip(SKIP_1) | instid1(VALU_DEP_1)
	v_wmma_f32_16x16x16_bf16 v[65:72], v[9:16], v[41:48], v[65:72]
	s_waitcnt lgkmcnt(2)
	v_wmma_f32_16x16x16_bf16 v[65:72], v[17:24], v[33:40], v[65:72]
	s_waitcnt lgkmcnt(0)
	s_delay_alu instid0(VALU_DEP_1) | instskip(NEXT) | instid1(VALU_DEP_1)
	v_wmma_f32_16x16x16_bf16 v[65:72], v[57:64], v[25:32], v[65:72]
	v_and_b32_e32 v1, 0x7f800000, v65
	s_delay_alu instid0(VALU_DEP_1) | instskip(SKIP_1) | instid1(SALU_CYCLE_1)
	v_cmp_ne_u32_e32 vcc_lo, 0x7f800000, v1
                                        ; implicit-def: $vgpr1
	s_and_saveexec_b32 s2, vcc_lo
	s_xor_b32 s2, exec_lo, s2
; %bb.79:
	v_bfe_u32 v1, v65, 16, 1
	s_delay_alu instid0(VALU_DEP_1)
	v_add3_u32 v1, v65, v1, 0x7fff
; %bb.80:
	s_and_not1_saveexec_b32 s2, s2
; %bb.81:
	v_and_b32_e32 v1, 0xffff, v65
	v_or_b32_e32 v2, 0x10000, v65
	s_delay_alu instid0(VALU_DEP_2) | instskip(NEXT) | instid1(VALU_DEP_2)
	v_cmp_eq_u32_e32 vcc_lo, 0, v1
	v_cndmask_b32_e32 v1, v2, v65, vcc_lo
; %bb.82:
	s_or_b32 exec_lo, exec_lo, s2
	v_and_b32_e32 v2, 0x7f800000, v66
	s_delay_alu instid0(VALU_DEP_1) | instskip(SKIP_1) | instid1(SALU_CYCLE_1)
	v_cmp_ne_u32_e32 vcc_lo, 0x7f800000, v2
                                        ; implicit-def: $vgpr2
	s_and_saveexec_b32 s2, vcc_lo
	s_xor_b32 s2, exec_lo, s2
; %bb.83:
	v_bfe_u32 v2, v66, 16, 1
	s_delay_alu instid0(VALU_DEP_1)
	v_add3_u32 v2, v66, v2, 0x7fff
; %bb.84:
	s_and_not1_saveexec_b32 s2, s2
; %bb.85:
	v_and_b32_e32 v2, 0xffff, v66
	v_or_b32_e32 v3, 0x10000, v66
	s_delay_alu instid0(VALU_DEP_2) | instskip(NEXT) | instid1(VALU_DEP_2)
	v_cmp_eq_u32_e32 vcc_lo, 0, v2
	v_cndmask_b32_e32 v2, v3, v66, vcc_lo
; %bb.86:
	s_or_b32 exec_lo, exec_lo, s2
	v_and_b32_e32 v3, 0x7f800000, v67
	s_delay_alu instid0(VALU_DEP_1) | instskip(SKIP_1) | instid1(SALU_CYCLE_1)
	v_cmp_ne_u32_e32 vcc_lo, 0x7f800000, v3
                                        ; implicit-def: $vgpr3
	s_and_saveexec_b32 s2, vcc_lo
	s_xor_b32 s2, exec_lo, s2
; %bb.87:
	v_bfe_u32 v3, v67, 16, 1
	s_delay_alu instid0(VALU_DEP_1)
	v_add3_u32 v3, v67, v3, 0x7fff
; %bb.88:
	s_and_not1_saveexec_b32 s2, s2
; %bb.89:
	v_and_b32_e32 v3, 0xffff, v67
	v_or_b32_e32 v4, 0x10000, v67
	s_delay_alu instid0(VALU_DEP_2) | instskip(NEXT) | instid1(VALU_DEP_2)
	v_cmp_eq_u32_e32 vcc_lo, 0, v3
	v_cndmask_b32_e32 v3, v4, v67, vcc_lo
; %bb.90:
	s_or_b32 exec_lo, exec_lo, s2
	v_and_b32_e32 v4, 0x7f800000, v68
	s_delay_alu instid0(VALU_DEP_1) | instskip(SKIP_1) | instid1(SALU_CYCLE_1)
	v_cmp_ne_u32_e32 vcc_lo, 0x7f800000, v4
                                        ; implicit-def: $vgpr4
	s_and_saveexec_b32 s2, vcc_lo
	s_xor_b32 s2, exec_lo, s2
; %bb.91:
	v_bfe_u32 v4, v68, 16, 1
	s_delay_alu instid0(VALU_DEP_1)
	v_add3_u32 v4, v68, v4, 0x7fff
; %bb.92:
	s_and_not1_saveexec_b32 s2, s2
; %bb.93:
	v_and_b32_e32 v4, 0xffff, v68
	v_or_b32_e32 v5, 0x10000, v68
	s_delay_alu instid0(VALU_DEP_2) | instskip(NEXT) | instid1(VALU_DEP_2)
	v_cmp_eq_u32_e32 vcc_lo, 0, v4
	v_cndmask_b32_e32 v4, v5, v68, vcc_lo
; %bb.94:
	s_or_b32 exec_lo, exec_lo, s2
	v_and_b32_e32 v5, 0x7f800000, v69
	s_delay_alu instid0(VALU_DEP_1) | instskip(SKIP_1) | instid1(SALU_CYCLE_1)
	v_cmp_ne_u32_e32 vcc_lo, 0x7f800000, v5
                                        ; implicit-def: $vgpr5
	s_and_saveexec_b32 s2, vcc_lo
	s_xor_b32 s2, exec_lo, s2
; %bb.95:
	v_bfe_u32 v5, v69, 16, 1
	s_delay_alu instid0(VALU_DEP_1)
	v_add3_u32 v5, v69, v5, 0x7fff
; %bb.96:
	s_and_not1_saveexec_b32 s2, s2
; %bb.97:
	v_and_b32_e32 v5, 0xffff, v69
	v_or_b32_e32 v6, 0x10000, v69
	s_delay_alu instid0(VALU_DEP_2) | instskip(NEXT) | instid1(VALU_DEP_2)
	v_cmp_eq_u32_e32 vcc_lo, 0, v5
	v_cndmask_b32_e32 v5, v6, v69, vcc_lo
; %bb.98:
	s_or_b32 exec_lo, exec_lo, s2
	v_and_b32_e32 v6, 0x7f800000, v70
	s_delay_alu instid0(VALU_DEP_1) | instskip(SKIP_1) | instid1(SALU_CYCLE_1)
	v_cmp_ne_u32_e32 vcc_lo, 0x7f800000, v6
                                        ; implicit-def: $vgpr6
	s_and_saveexec_b32 s2, vcc_lo
	s_xor_b32 s2, exec_lo, s2
; %bb.99:
	v_bfe_u32 v6, v70, 16, 1
	s_delay_alu instid0(VALU_DEP_1)
	v_add3_u32 v6, v70, v6, 0x7fff
; %bb.100:
	s_and_not1_saveexec_b32 s2, s2
; %bb.101:
	v_and_b32_e32 v6, 0xffff, v70
	v_or_b32_e32 v7, 0x10000, v70
	s_delay_alu instid0(VALU_DEP_2) | instskip(NEXT) | instid1(VALU_DEP_2)
	v_cmp_eq_u32_e32 vcc_lo, 0, v6
	v_cndmask_b32_e32 v6, v7, v70, vcc_lo
; %bb.102:
	s_or_b32 exec_lo, exec_lo, s2
	v_and_b32_e32 v7, 0x7f800000, v71
	s_delay_alu instid0(VALU_DEP_1) | instskip(SKIP_1) | instid1(SALU_CYCLE_1)
	v_cmp_ne_u32_e32 vcc_lo, 0x7f800000, v7
                                        ; implicit-def: $vgpr7
	s_and_saveexec_b32 s2, vcc_lo
	s_xor_b32 s2, exec_lo, s2
; %bb.103:
	v_bfe_u32 v7, v71, 16, 1
	s_delay_alu instid0(VALU_DEP_1)
	v_add3_u32 v7, v71, v7, 0x7fff
; %bb.104:
	s_and_not1_saveexec_b32 s2, s2
; %bb.105:
	v_and_b32_e32 v7, 0xffff, v71
	v_or_b32_e32 v8, 0x10000, v71
	s_delay_alu instid0(VALU_DEP_2) | instskip(NEXT) | instid1(VALU_DEP_2)
	v_cmp_eq_u32_e32 vcc_lo, 0, v7
	v_cndmask_b32_e32 v7, v8, v71, vcc_lo
; %bb.106:
	s_or_b32 exec_lo, exec_lo, s2
	v_and_b32_e32 v8, 0x7f800000, v72
	s_delay_alu instid0(VALU_DEP_1) | instskip(SKIP_1) | instid1(SALU_CYCLE_1)
	v_cmp_ne_u32_e32 vcc_lo, 0x7f800000, v8
                                        ; implicit-def: $vgpr8
	s_and_saveexec_b32 s2, vcc_lo
	s_xor_b32 s2, exec_lo, s2
; %bb.107:
	v_bfe_u32 v8, v72, 16, 1
	s_delay_alu instid0(VALU_DEP_1)
	v_add3_u32 v8, v72, v8, 0x7fff
                                        ; implicit-def: $vgpr65_vgpr66_vgpr67_vgpr68_vgpr69_vgpr70_vgpr71_vgpr72
; %bb.108:
	s_and_not1_saveexec_b32 s2, s2
; %bb.109:
	v_and_b32_e32 v8, 0xffff, v72
	v_or_b32_e32 v9, 0x10000, v72
	s_delay_alu instid0(VALU_DEP_2) | instskip(NEXT) | instid1(VALU_DEP_2)
	v_cmp_eq_u32_e32 vcc_lo, 0, v8
	v_cndmask_b32_e32 v8, v9, v72, vcc_lo
; %bb.110:
	s_or_b32 exec_lo, exec_lo, s2
	s_delay_alu instid0(VALU_DEP_1)
	v_perm_b32 v7, v8, v7, 0x7060302
	v_perm_b32 v6, v6, v5, 0x7060302
	;; [unrolled: 1-line block ×4, first 2 shown]
	s_barrier
	buffer_gl0_inv
	v_cmp_eq_u32_e32 vcc_lo, 1, v78
	ds_store_b128 v76, v[4:7]
	s_waitcnt lgkmcnt(0)
	s_barrier
	buffer_gl0_inv
	ds_load_b128 v[1:4], v82
	ds_load_b128 v[5:8], v82 offset:16
	v_cmp_eq_u32_e64 s2, 1, v79
	v_cmp_eq_u32_e64 s3, 2, v78
	v_cmp_eq_u32_e64 s4, 3, v78
	v_cmp_eq_u32_e64 s6, 2, v77
	v_cmp_eq_u32_e64 s5, 7, v79
	s_waitcnt lgkmcnt(1)
	v_lshrrev_b32_e32 v9, 16, v1
	s_waitcnt lgkmcnt(0)
	v_lshrrev_b32_e32 v13, 16, v5
	v_lshrrev_b32_e32 v10, 16, v2
	;; [unrolled: 1-line block ×4, first 2 shown]
	v_cndmask_b32_e64 v19, v1, v9, s2
	v_cndmask_b32_e32 v18, v5, v13, vcc_lo
	v_cndmask_b32_e64 v20, v5, v13, s2
	v_cndmask_b32_e32 v17, v1, v9, vcc_lo
	v_cmp_eq_u32_e32 vcc_lo, 2, v79
	v_lshrrev_b32_e32 v15, 16, v7
	v_cmp_eq_u32_e64 s2, 1, v77
	v_lshrrev_b32_e32 v12, 16, v4
	v_lshrrev_b32_e32 v16, 16, v8
	v_cndmask_b32_e32 v20, v20, v6, vcc_lo
	v_cndmask_b32_e64 v17, v17, v2, s3
	v_cndmask_b32_e32 v19, v19, v2, vcc_lo
	v_cndmask_b32_e64 v18, v18, v6, s3
	v_cmp_eq_u32_e32 vcc_lo, 4, v78
	v_cmp_eq_u32_e64 s3, 3, v79
	v_cndmask_b32_e64 v17, v17, v10, s4
	v_cndmask_b32_e64 v21, v1, v9, s2
	;; [unrolled: 1-line block ×5, first 2 shown]
	v_cndmask_b32_e32 v17, v17, v3, vcc_lo
	v_cndmask_b32_e64 v20, v20, v14, s3
	v_cndmask_b32_e32 v18, v18, v7, vcc_lo
	v_cmp_eq_u32_e32 vcc_lo, 4, v79
	v_cmp_eq_u32_e64 s3, 5, v79
	v_cmp_eq_u32_e64 s2, 2, v81
	v_cndmask_b32_e64 v21, v21, v2, s6
	v_cmp_eq_u32_e64 s4, 5, v78
	v_cndmask_b32_e32 v19, v19, v3, vcc_lo
	v_cndmask_b32_e32 v20, v20, v7, vcc_lo
	v_cmp_eq_u32_e32 vcc_lo, 6, v79
	s_delay_alu instid0(VALU_DEP_4) | instskip(NEXT) | instid1(VALU_DEP_4)
	v_cndmask_b32_e64 v17, v17, v11, s4
	v_cndmask_b32_e64 v19, v19, v11, s3
	s_delay_alu instid0(VALU_DEP_4) | instskip(SKIP_1) | instid1(VALU_DEP_3)
	v_cndmask_b32_e64 v20, v20, v15, s3
	v_cmp_eq_u32_e64 s3, 1, v81
	v_cndmask_b32_e32 v19, v19, v4, vcc_lo
	v_cndmask_b32_e64 v18, v18, v15, s4
	s_delay_alu instid0(VALU_DEP_3)
	v_cndmask_b32_e64 v1, v1, v9, s3
	v_cndmask_b32_e64 v5, v5, v13, s3
	v_cmp_eq_u32_e64 s3, 3, v77
	v_cndmask_b32_e64 v13, v22, v6, s6
	v_cmp_eq_u32_e64 s6, 3, v81
	v_cndmask_b32_e64 v1, v1, v2, s2
	v_cndmask_b32_e64 v2, v5, v6, s2
	;; [unrolled: 1-line block ×3, first 2 shown]
	v_cmp_eq_u32_e64 s2, 4, v77
	v_cndmask_b32_e64 v6, v13, v14, s3
	v_cndmask_b32_e64 v1, v1, v10, s6
	v_cmp_eq_u32_e64 s3, 4, v81
	v_cndmask_b32_e64 v2, v2, v14, s6
	v_cndmask_b32_e64 v5, v9, v3, s2
	;; [unrolled: 3-line block ×3, first 2 shown]
	v_cndmask_b32_e64 v2, v2, v7, s3
	v_cmp_eq_u32_e64 s2, 5, v81
	v_cmp_eq_u32_e64 s4, 6, v78
	v_cndmask_b32_e64 v5, v5, v11, s6
	v_cmp_eq_u32_e64 s3, 6, v77
	v_cndmask_b32_e64 v3, v6, v15, s6
	v_cndmask_b32_e64 v1, v1, v11, s2
	v_cmp_eq_u32_e64 s6, 6, v81
	v_cndmask_b32_e64 v2, v2, v15, s2
	v_cndmask_b32_e64 v17, v17, v4, s4
	v_cndmask_b32_e64 v18, v18, v8, s4
	v_cmp_eq_u32_e64 s4, 7, v78
	v_cndmask_b32_e64 v5, v5, v4, s3
	v_cndmask_b32_e64 v3, v3, v8, s3
	v_cndmask_b32_e64 v1, v1, v4, s6
	v_cmp_eq_u32_e64 s2, 7, v81
	v_cndmask_b32_e64 v2, v2, v8, s6
	v_cmp_eq_u32_e64 s3, 7, v77
	v_cndmask_b32_e32 v4, v20, v8, vcc_lo
	v_cndmask_b32_e64 v17, v17, v12, s4
	v_cndmask_b32_e64 v19, v19, v12, s5
	;; [unrolled: 1-line block ×8, first 2 shown]
	s_mov_b32 s2, exec_lo
	v_perm_b32 v4, v2, v1, 0x5040100
	v_perm_b32 v3, v3, v5, 0x5040100
	;; [unrolled: 1-line block ×4, first 2 shown]
	ds_store_b128 v76, v[1:4]
	s_waitcnt lgkmcnt(0)
	s_barrier
	buffer_gl0_inv
	v_cmpx_gt_u32_e32 32, v0
	s_cbranch_execz .LBB1819_2
; %bb.111:
	s_load_b64 s[0:1], s[0:1], 0x68
	v_lshlrev_b32_e32 v0, 10, v0
	s_lshl_b32 s4, s34, 7
	v_or_b32_e32 v3, s29, v74
	s_mul_i32 s2, s4, s30
	v_lshlrev_b32_e32 v1, 4, v75
	v_lshlrev_b32_e32 v2, 6, v74
	v_and_b32_e32 v0, 0x3800, v0
	s_mul_i32 s2, s2, s7
	v_mul_lo_u32 v8, v3, s4
	s_ashr_i32 s3, s2, 31
	s_delay_alu instid0(SALU_CYCLE_1)
	s_lshl_b64 s[2:3], s[2:3], 1
	v_or3_b32 v16, v0, v1, v2
	ds_load_b128 v[0:3], v16
	ds_load_b128 v[4:7], v16 offset:128
	v_ashrrev_i32_e32 v9, 31, v8
	s_waitcnt lgkmcnt(0)
	s_add_u32 s2, s0, s2
	s_addc_u32 s3, s1, s3
	s_lshl_b32 s0, s14, 7
	s_delay_alu instid0(SALU_CYCLE_1) | instskip(SKIP_2) | instid1(SALU_CYCLE_1)
	s_ashr_i32 s1, s0, 31
	v_lshlrev_b64 v[9:10], 1, v[8:9]
	s_lshl_b64 s[0:1], s[0:1], 1
	s_add_u32 s0, s2, s0
	s_addc_u32 s1, s3, s1
	s_lshl_b32 s2, s34, 8
	v_add_co_u32 v30, s0, s0, v73
	v_add_nc_u32_e32 v11, s2, v8
	v_add_co_ci_u32_e64 v31, null, s1, 0, s0
	s_delay_alu instid0(VALU_DEP_3) | instskip(NEXT) | instid1(VALU_DEP_3)
	v_add_co_u32 v9, vcc_lo, v30, v9
	v_add_nc_u32_e32 v8, s2, v11
	s_delay_alu instid0(VALU_DEP_3) | instskip(SKIP_1) | instid1(VALU_DEP_3)
	v_add_co_ci_u32_e32 v10, vcc_lo, v31, v10, vcc_lo
	v_ashrrev_i32_e32 v12, 31, v11
	v_add_nc_u32_e32 v13, s2, v8
	global_store_b128 v[9:10], v[0:3], off
	v_ashrrev_i32_e32 v9, 31, v8
	v_lshlrev_b64 v[11:12], 1, v[11:12]
	v_ashrrev_i32_e32 v14, 31, v13
	v_add_nc_u32_e32 v10, s2, v13
	s_delay_alu instid0(VALU_DEP_4) | instskip(NEXT) | instid1(VALU_DEP_4)
	v_lshlrev_b64 v[2:3], 1, v[8:9]
	v_add_co_u32 v0, vcc_lo, v30, v11
	s_delay_alu instid0(VALU_DEP_4)
	v_lshlrev_b64 v[8:9], 1, v[13:14]
	v_add_co_ci_u32_e32 v1, vcc_lo, v31, v12, vcc_lo
	v_ashrrev_i32_e32 v11, 31, v10
	v_add_co_u32 v22, vcc_lo, v30, v2
	v_add_nc_u32_e32 v20, s2, v10
	v_add_co_ci_u32_e32 v23, vcc_lo, v31, v3, vcc_lo
	v_add_co_u32 v24, vcc_lo, v30, v8
	global_store_b128 v[0:1], v[4:7], off
	v_add_co_ci_u32_e32 v25, vcc_lo, v31, v9, vcc_lo
	ds_load_b128 v[0:3], v16 offset:256
	ds_load_b128 v[4:7], v16 offset:384
	v_lshlrev_b64 v[26:27], 1, v[10:11]
	ds_load_b128 v[8:11], v16 offset:512
	ds_load_b128 v[12:15], v16 offset:640
	ds_load_b128 v[16:19], v16 offset:768
	v_add_nc_u32_e32 v28, s2, v20
	v_ashrrev_i32_e32 v21, 31, v20
	v_add_co_u32 v26, vcc_lo, v30, v26
	s_delay_alu instid0(VALU_DEP_3) | instskip(NEXT) | instid1(VALU_DEP_3)
	v_ashrrev_i32_e32 v29, 31, v28
	v_lshlrev_b64 v[20:21], 1, v[20:21]
	v_add_co_ci_u32_e32 v27, vcc_lo, v31, v27, vcc_lo
	s_delay_alu instid0(VALU_DEP_3) | instskip(NEXT) | instid1(VALU_DEP_3)
	v_lshlrev_b64 v[28:29], 1, v[28:29]
	v_add_co_u32 v20, vcc_lo, v30, v20
	s_delay_alu instid0(VALU_DEP_4) | instskip(NEXT) | instid1(VALU_DEP_3)
	v_add_co_ci_u32_e32 v21, vcc_lo, v31, v21, vcc_lo
	v_add_co_u32 v28, vcc_lo, v30, v28
	s_delay_alu instid0(VALU_DEP_4)
	v_add_co_ci_u32_e32 v29, vcc_lo, v31, v29, vcc_lo
	s_waitcnt lgkmcnt(4)
	global_store_b128 v[22:23], v[0:3], off
	s_waitcnt lgkmcnt(3)
	global_store_b128 v[24:25], v[4:7], off
	;; [unrolled: 2-line block ×5, first 2 shown]
	s_nop 0
	s_sendmsg sendmsg(MSG_DEALLOC_VGPRS)
	s_endpgm
	.section	.rodata,"a",@progbits
	.p2align	6, 0x0
	.amdhsa_kernel _Z39paged_attention_ll4mi_QKV_mfma16_kernelI14__hip_bfloat16hLN4vllm18Fp8KVCacheDataTypeE1EhLi16ELi128ELi256ELb0ELi14EL8MFMAType0EEvPKT_PKT0_S9_ifPKiSB_SB_iPKfiiiPfSE_PS4_PT2_iSD_SD_
		.amdhsa_group_segment_fixed_size 17472
		.amdhsa_private_segment_fixed_size 0
		.amdhsa_kernarg_size 400
		.amdhsa_user_sgpr_count 13
		.amdhsa_user_sgpr_dispatch_ptr 0
		.amdhsa_user_sgpr_queue_ptr 0
		.amdhsa_user_sgpr_kernarg_segment_ptr 1
		.amdhsa_user_sgpr_dispatch_id 0
		.amdhsa_user_sgpr_private_segment_size 0
		.amdhsa_wavefront_size32 1
		.amdhsa_uses_dynamic_stack 0
		.amdhsa_enable_private_segment 0
		.amdhsa_system_sgpr_workgroup_id_x 1
		.amdhsa_system_sgpr_workgroup_id_y 1
		.amdhsa_system_sgpr_workgroup_id_z 1
		.amdhsa_system_sgpr_workgroup_info 0
		.amdhsa_system_vgpr_workitem_id 0
		.amdhsa_next_free_vgpr 140
		.amdhsa_next_free_sgpr 36
		.amdhsa_reserve_vcc 1
		.amdhsa_float_round_mode_32 0
		.amdhsa_float_round_mode_16_64 0
		.amdhsa_float_denorm_mode_32 3
		.amdhsa_float_denorm_mode_16_64 3
		.amdhsa_dx10_clamp 1
		.amdhsa_ieee_mode 1
		.amdhsa_fp16_overflow 0
		.amdhsa_workgroup_processor_mode 1
		.amdhsa_memory_ordered 1
		.amdhsa_forward_progress 0
		.amdhsa_shared_vgpr_count 0
		.amdhsa_exception_fp_ieee_invalid_op 0
		.amdhsa_exception_fp_denorm_src 0
		.amdhsa_exception_fp_ieee_div_zero 0
		.amdhsa_exception_fp_ieee_overflow 0
		.amdhsa_exception_fp_ieee_underflow 0
		.amdhsa_exception_fp_ieee_inexact 0
		.amdhsa_exception_int_div_zero 0
	.end_amdhsa_kernel
	.section	.text._Z39paged_attention_ll4mi_QKV_mfma16_kernelI14__hip_bfloat16hLN4vllm18Fp8KVCacheDataTypeE1EhLi16ELi128ELi256ELb0ELi14EL8MFMAType0EEvPKT_PKT0_S9_ifPKiSB_SB_iPKfiiiPfSE_PS4_PT2_iSD_SD_,"axG",@progbits,_Z39paged_attention_ll4mi_QKV_mfma16_kernelI14__hip_bfloat16hLN4vllm18Fp8KVCacheDataTypeE1EhLi16ELi128ELi256ELb0ELi14EL8MFMAType0EEvPKT_PKT0_S9_ifPKiSB_SB_iPKfiiiPfSE_PS4_PT2_iSD_SD_,comdat
.Lfunc_end1819:
	.size	_Z39paged_attention_ll4mi_QKV_mfma16_kernelI14__hip_bfloat16hLN4vllm18Fp8KVCacheDataTypeE1EhLi16ELi128ELi256ELb0ELi14EL8MFMAType0EEvPKT_PKT0_S9_ifPKiSB_SB_iPKfiiiPfSE_PS4_PT2_iSD_SD_, .Lfunc_end1819-_Z39paged_attention_ll4mi_QKV_mfma16_kernelI14__hip_bfloat16hLN4vllm18Fp8KVCacheDataTypeE1EhLi16ELi128ELi256ELb0ELi14EL8MFMAType0EEvPKT_PKT0_S9_ifPKiSB_SB_iPKfiiiPfSE_PS4_PT2_iSD_SD_
                                        ; -- End function
	.section	.AMDGPU.csdata,"",@progbits
; Kernel info:
; codeLenInByte = 9008
; NumSgprs: 38
; NumVgprs: 140
; ScratchSize: 0
; MemoryBound: 0
; FloatMode: 240
; IeeeMode: 1
; LDSByteSize: 17472 bytes/workgroup (compile time only)
; SGPRBlocks: 4
; VGPRBlocks: 17
; NumSGPRsForWavesPerEU: 38
; NumVGPRsForWavesPerEU: 140
; Occupancy: 10
; WaveLimiterHint : 1
; COMPUTE_PGM_RSRC2:SCRATCH_EN: 0
; COMPUTE_PGM_RSRC2:USER_SGPR: 13
; COMPUTE_PGM_RSRC2:TRAP_HANDLER: 0
; COMPUTE_PGM_RSRC2:TGID_X_EN: 1
; COMPUTE_PGM_RSRC2:TGID_Y_EN: 1
; COMPUTE_PGM_RSRC2:TGID_Z_EN: 1
; COMPUTE_PGM_RSRC2:TIDIG_COMP_CNT: 0
	.section	.text._Z39paged_attention_ll4mi_QKV_mfma16_kernelI14__hip_bfloat16hLN4vllm18Fp8KVCacheDataTypeE1EhLi16ELi128ELi256ELb0ELi15EL8MFMAType0EEvPKT_PKT0_S9_ifPKiSB_SB_iPKfiiiPfSE_PS4_PT2_iSD_SD_,"axG",@progbits,_Z39paged_attention_ll4mi_QKV_mfma16_kernelI14__hip_bfloat16hLN4vllm18Fp8KVCacheDataTypeE1EhLi16ELi128ELi256ELb0ELi15EL8MFMAType0EEvPKT_PKT0_S9_ifPKiSB_SB_iPKfiiiPfSE_PS4_PT2_iSD_SD_,comdat
	.protected	_Z39paged_attention_ll4mi_QKV_mfma16_kernelI14__hip_bfloat16hLN4vllm18Fp8KVCacheDataTypeE1EhLi16ELi128ELi256ELb0ELi15EL8MFMAType0EEvPKT_PKT0_S9_ifPKiSB_SB_iPKfiiiPfSE_PS4_PT2_iSD_SD_ ; -- Begin function _Z39paged_attention_ll4mi_QKV_mfma16_kernelI14__hip_bfloat16hLN4vllm18Fp8KVCacheDataTypeE1EhLi16ELi128ELi256ELb0ELi15EL8MFMAType0EEvPKT_PKT0_S9_ifPKiSB_SB_iPKfiiiPfSE_PS4_PT2_iSD_SD_
	.globl	_Z39paged_attention_ll4mi_QKV_mfma16_kernelI14__hip_bfloat16hLN4vllm18Fp8KVCacheDataTypeE1EhLi16ELi128ELi256ELb0ELi15EL8MFMAType0EEvPKT_PKT0_S9_ifPKiSB_SB_iPKfiiiPfSE_PS4_PT2_iSD_SD_
	.p2align	8
	.type	_Z39paged_attention_ll4mi_QKV_mfma16_kernelI14__hip_bfloat16hLN4vllm18Fp8KVCacheDataTypeE1EhLi16ELi128ELi256ELb0ELi15EL8MFMAType0EEvPKT_PKT0_S9_ifPKiSB_SB_iPKfiiiPfSE_PS4_PT2_iSD_SD_,@function
_Z39paged_attention_ll4mi_QKV_mfma16_kernelI14__hip_bfloat16hLN4vllm18Fp8KVCacheDataTypeE1EhLi16ELi128ELi256ELb0ELi15EL8MFMAType0EEvPKT_PKT0_S9_ifPKiSB_SB_iPKfiiiPfSE_PS4_PT2_iSD_SD_: ; @_Z39paged_attention_ll4mi_QKV_mfma16_kernelI14__hip_bfloat16hLN4vllm18Fp8KVCacheDataTypeE1EhLi16ELi128ELi256ELb0ELi15EL8MFMAType0EEvPKT_PKT0_S9_ifPKiSB_SB_iPKfiiiPfSE_PS4_PT2_iSD_SD_
; %bb.0:
	s_load_b64 s[4:5], s[0:1], 0x30
	s_mov_b32 s30, s13
	s_waitcnt lgkmcnt(0)
	s_cmp_lg_u64 s[4:5], 0
	s_cselect_b32 s13, -1, 0
	s_ashr_i32 s31, s30, 31
	s_cmp_eq_u64 s[4:5], 0
	s_cbranch_scc1 .LBB1820_3
; %bb.1:
	s_lshl_b64 s[2:3], s[30:31], 2
	s_delay_alu instid0(SALU_CYCLE_1) | instskip(SKIP_4) | instid1(SALU_CYCLE_1)
	s_add_u32 s2, s4, s2
	s_addc_u32 s3, s5, s3
	s_load_b64 s[2:3], s[2:3], 0x0
	s_waitcnt lgkmcnt(0)
	s_sub_i32 s2, s3, s2
	s_cmp_eq_u32 s2, 1
	s_cselect_b32 s2, -1, 0
	s_delay_alu instid0(SALU_CYCLE_1)
	s_and_not1_b32 vcc_lo, exec_lo, s2
	s_cbranch_vccz .LBB1820_4
.LBB1820_2:
	s_nop 0
	s_sendmsg sendmsg(MSG_DEALLOC_VGPRS)
	s_endpgm
.LBB1820_3:
.LBB1820_4:
	s_load_b64 s[2:3], s[0:1], 0x28
	s_lshl_b64 s[6:7], s[30:31], 2
	s_waitcnt lgkmcnt(0)
	s_add_u32 s2, s2, s6
	s_addc_u32 s3, s3, s7
	s_lshl_b32 s12, s14, 8
	s_load_b32 s17, s[2:3], 0x0
	s_waitcnt lgkmcnt(0)
	s_cmp_ge_i32 s12, s17
	s_cbranch_scc1 .LBB1820_2
; %bb.5:
	s_clause 0x1
	s_load_b128 s[8:11], s[0:1], 0x8
	s_load_b64 s[2:3], s[0:1], 0x20
	s_and_not1_b32 vcc_lo, exec_lo, s13
	s_cbranch_vccnz .LBB1820_7
; %bb.6:
	s_add_u32 s4, s4, s6
	s_addc_u32 s5, s5, s7
	s_load_b32 s13, s[4:5], 0x0
	s_branch .LBB1820_8
.LBB1820_7:
	s_mov_b32 s13, s30
.LBB1820_8:
	s_load_b128 s[4:7], s[0:1], 0x48
	v_and_b32_e32 v65, 15, v0
	v_lshrrev_b32_e32 v66, 5, v0
	v_bfe_u32 v74, v0, 4, 1
	v_and_b32_e32 v67, 31, v0
	v_and_b32_e32 v75, 1, v0
	v_lshlrev_b32_e32 v2, 3, v65
	s_mul_i32 s31, s15, 15
	v_lshl_or_b32 v1, v66, 1, v74
	s_waitcnt lgkmcnt(0)
	s_mov_b32 s7, exec_lo
	v_lshlrev_b32_e32 v73, 1, v2
	s_delay_alu instid0(VALU_DEP_2)
	v_cmpx_gt_u32_e32 15, v1
	s_cbranch_execz .LBB1820_10
; %bb.9:
	s_load_b64 s[18:19], s[0:1], 0x0
	v_add_lshl_u32 v2, v1, s31, 7
	s_mul_hi_i32 s21, s13, s4
	s_mul_i32 s20, s13, s4
	v_lshlrev_b32_e32 v6, 10, v65
	s_lshl_b64 s[20:21], s[20:21], 1
	v_ashrrev_i32_e32 v3, 31, v2
	v_lshlrev_b32_e32 v1, 6, v1
	v_lshlrev_b32_e32 v7, 10, v75
	v_and_b32_e32 v6, 0x3800, v6
	s_delay_alu instid0(VALU_DEP_4) | instskip(NEXT) | instid1(VALU_DEP_2)
	v_lshlrev_b64 v[2:3], 1, v[2:3]
	v_or3_b32 v1, v6, v7, v1
	s_waitcnt lgkmcnt(0)
	s_add_u32 s4, s18, s20
	s_addc_u32 s13, s19, s21
	s_delay_alu instid0(VALU_DEP_2) | instskip(SKIP_1) | instid1(VALU_DEP_2)
	v_add_co_u32 v2, vcc_lo, s4, v2
	v_add_co_ci_u32_e32 v3, vcc_lo, s13, v3, vcc_lo
	v_add_co_u32 v2, vcc_lo, v2, v73
	s_delay_alu instid0(VALU_DEP_2)
	v_add_co_ci_u32_e32 v3, vcc_lo, 0, v3, vcc_lo
	global_load_b128 v[2:5], v[2:3], off
	s_waitcnt vmcnt(0)
	ds_store_b128 v1, v[2:5]
.LBB1820_10:
	s_or_b32 exec_lo, exec_lo, s7
	v_and_b32_e32 v1, 0xef, v0
	s_add_i32 s4, s17, 15
	s_clause 0x1
	s_load_b32 s7, s[0:1], 0x38
	s_load_b32 s18, s[0:1], 0x1c
	s_ashr_i32 s13, s4, 31
	v_add_nc_u32_e32 v1, s12, v1
	s_lshr_b32 s13, s13, 28
	s_waitcnt lgkmcnt(0)
	s_add_i32 s4, s4, s13
	s_barrier
	v_ashrrev_i32_e32 v2, 31, v1
	v_or_b32_e32 v3, 16, v1
	s_ashr_i32 s4, s4, 4
	v_cmp_gt_i32_e32 vcc_lo, s17, v1
	s_add_i32 s4, s4, -1
	v_lshrrev_b32_e32 v2, 28, v2
	buffer_gl0_inv
	s_mul_i32 s15, s15, s6
	v_add_nc_u32_e32 v4, v1, v2
	s_mul_i32 s20, s30, s7
	s_delay_alu instid0(SALU_CYCLE_1) | instskip(NEXT) | instid1(VALU_DEP_1)
	s_ashr_i32 s21, s20, 31
	v_ashrrev_i32_e32 v4, 4, v4
	v_add_nc_u32_e32 v2, v3, v2
	s_lshl_b64 s[20:21], s[20:21], 2
	s_delay_alu instid0(SALU_CYCLE_1) | instskip(NEXT) | instid1(VALU_DEP_2)
	s_add_u32 s13, s2, s20
	v_cndmask_b32_e32 v1, s4, v4, vcc_lo
	s_delay_alu instid0(VALU_DEP_2)
	v_ashrrev_i32_e32 v2, 4, v2
	v_cmp_gt_i32_e32 vcc_lo, s17, v3
	s_addc_u32 s16, s3, s21
	s_ashr_i32 s19, s15, 31
	s_add_u32 s26, s8, s15
	s_addc_u32 s27, s9, s19
	v_cndmask_b32_e32 v3, s4, v2, vcc_lo
	v_ashrrev_i32_e32 v2, 31, v1
	s_lshl_b32 s2, s14, 4
	s_delay_alu instid0(SALU_CYCLE_1) | instskip(NEXT) | instid1(VALU_DEP_2)
	s_ashr_i32 s3, s2, 31
	v_ashrrev_i32_e32 v4, 31, v3
	s_delay_alu instid0(VALU_DEP_2) | instskip(SKIP_1) | instid1(SALU_CYCLE_1)
	v_lshlrev_b64 v[1:2], 2, v[1:2]
	s_lshl_b64 s[2:3], s[2:3], 2
	s_add_u32 s2, s13, s2
	s_delay_alu instid0(VALU_DEP_2) | instskip(SKIP_1) | instid1(VALU_DEP_2)
	v_lshlrev_b64 v[3:4], 2, v[3:4]
	s_addc_u32 s3, s16, s3
	v_add_co_u32 v1, vcc_lo, s13, v1
	v_add_co_ci_u32_e32 v2, vcc_lo, s16, v2, vcc_lo
	s_delay_alu instid0(VALU_DEP_3) | instskip(NEXT) | instid1(VALU_DEP_4)
	v_add_co_u32 v3, vcc_lo, s13, v3
	v_add_co_ci_u32_e32 v4, vcc_lo, s16, v4, vcc_lo
	s_clause 0x1
	global_load_b32 v5, v[1:2], off
	global_load_b32 v3, v[3:4], off
	s_or_b32 s6, s12, 32
	v_cmp_ne_u32_e32 vcc_lo, 15, v65
	s_ashr_i32 s7, s6, 4
	s_cmp_lt_i32 s6, s17
	s_cselect_b32 s6, s7, s4
	s_delay_alu instid0(SALU_CYCLE_1) | instskip(NEXT) | instid1(SALU_CYCLE_1)
	s_ashr_i32 s7, s6, 31
	s_lshl_b64 s[6:7], s[6:7], 2
	s_delay_alu instid0(SALU_CYCLE_1) | instskip(SKIP_2) | instid1(SALU_CYCLE_1)
	s_add_u32 s6, s13, s6
	s_addc_u32 s7, s16, s7
	s_or_b32 s8, s12, 64
	s_ashr_i32 s9, s8, 4
	s_cmp_lt_i32 s8, s17
	s_cselect_b32 s8, s9, s4
	s_delay_alu instid0(SALU_CYCLE_1) | instskip(NEXT) | instid1(SALU_CYCLE_1)
	s_ashr_i32 s9, s8, 31
	s_lshl_b64 s[8:9], s[8:9], 2
	s_delay_alu instid0(SALU_CYCLE_1) | instskip(SKIP_2) | instid1(SALU_CYCLE_1)
	s_add_u32 s8, s13, s8
	s_addc_u32 s9, s16, s9
	s_or_b32 s20, s12, 0x60
	;; [unrolled: 10-line block ×4, first 2 shown]
	s_ashr_i32 s25, s24, 4
	s_cmp_lt_i32 s24, s17
	s_cselect_b32 s24, s25, s4
	s_delay_alu instid0(SALU_CYCLE_1) | instskip(NEXT) | instid1(SALU_CYCLE_1)
	s_ashr_i32 s25, s24, 31
	s_lshl_b64 s[24:25], s[24:25], 2
	s_delay_alu instid0(SALU_CYCLE_1)
	s_add_u32 s24, s13, s24
	s_addc_u32 s25, s16, s25
	s_clause 0x5
	s_load_b32 s28, s[2:3], 0x0
	s_load_b32 s29, s[6:7], 0x0
	;; [unrolled: 1-line block ×6, first 2 shown]
	s_mov_b32 s20, 0
	s_or_b32 s2, s12, 0xc0
	s_mov_b32 s21, s20
	s_mov_b32 s22, s20
	;; [unrolled: 1-line block ×5, first 2 shown]
	v_lshlrev_b32_e32 v1, 4, v0
	s_ashr_i32 s3, s2, 4
	s_cmp_lt_i32 s2, s17
	s_cselect_b32 s2, s3, s4
	s_delay_alu instid0(VALU_DEP_1) | instskip(SKIP_1) | instid1(SALU_CYCLE_1)
	v_and_b32_e32 v1, 0xf0, v1
	s_ashr_i32 s3, s2, 31
	s_lshl_b64 s[2:3], s[2:3], 2
	s_delay_alu instid0(VALU_DEP_1) | instskip(NEXT) | instid1(VALU_DEP_1)
	v_add_co_u32 v1, s26, s26, v1
	v_add_co_ci_u32_e64 v2, null, s27, 0, s26
	s_add_u32 s2, s13, s2
	s_addc_u32 s3, s16, s3
	s_or_b32 s6, s12, 0xe0
	s_mov_b32 s27, s20
	s_ashr_i32 s7, s6, 4
	s_cmp_lt_i32 s6, s17
	s_mov_b32 s26, s20
	s_cselect_b32 s6, s7, s4
	s_delay_alu instid0(SALU_CYCLE_1) | instskip(NEXT) | instid1(SALU_CYCLE_1)
	s_ashr_i32 s7, s6, 31
	s_lshl_b64 s[6:7], s[6:7], 2
	s_waitcnt vmcnt(1)
	v_mad_i64_i32 v[33:34], null, v5, s5, v[1:2]
	s_waitcnt vmcnt(0)
	v_mad_i64_i32 v[35:36], null, v3, s5, v[1:2]
	s_clause 0xf
	global_load_b128 v[1:4], v[33:34], off
	global_load_b128 v[5:8], v[33:34], off offset:256
	global_load_b128 v[9:12], v[35:36], off
	global_load_b128 v[13:16], v[35:36], off offset:256
	global_load_b128 v[17:20], v[33:34], off offset:512
	;; [unrolled: 1-line block ×13, first 2 shown]
	v_cndmask_b32_e32 v33, 0, v65, vcc_lo
	v_dual_mov_b32 v107, s27 :: v_dual_lshlrev_b32 v34, 4, v65
	v_dual_mov_b32 v106, s26 :: v_dual_mov_b32 v105, s25
	s_delay_alu instid0(VALU_DEP_3) | instskip(NEXT) | instid1(VALU_DEP_3)
	v_lshlrev_b32_e32 v72, 6, v33
	v_lshl_or_b32 v41, v66, 8, v34
	ds_load_b128 v[33:36], v72
	ds_load_b128 v[37:40], v72 offset:1024
	ds_load_b128 v[108:111], v72 offset:2048
	;; [unrolled: 1-line block ×3, first 2 shown]
	s_load_b32 s4, s[2:3], 0x0
	s_add_u32 s2, s13, s6
	s_addc_u32 s3, s16, s7
	ds_load_b128 v[116:119], v72 offset:4096
	ds_load_b128 v[120:123], v72 offset:5120
	s_load_b32 s2, s[2:3], 0x0
	s_add_u32 s6, s10, s15
	s_addc_u32 s7, s11, s19
	v_add_co_u32 v68, s6, s6, v41
	s_delay_alu instid0(VALU_DEP_1) | instskip(SKIP_3) | instid1(VALU_DEP_3)
	v_add_co_ci_u32_e64 v69, null, s7, 0, s6
	v_dual_mov_b32 v104, s24 :: v_dual_mov_b32 v103, s23
	v_mov_b32_e32 v102, s22
	s_waitcnt lgkmcnt(0)
	v_mad_i64_i32 v[41:42], null, s28, s5, v[68:69]
	v_mad_i64_i32 v[70:71], null, s8, s5, v[68:69]
	v_dual_mov_b32 v101, s21 :: v_dual_mov_b32 v100, s20
	v_mad_i64_i32 v[45:46], null, s29, s5, v[68:69]
	v_mad_i64_i32 v[132:133], null, s9, s5, v[68:69]
	;; [unrolled: 1-line block ×5, first 2 shown]
	s_clause 0x3
	global_load_b128 v[49:52], v[41:42], off
	global_load_b128 v[53:56], v[41:42], off offset:16
	global_load_b128 v[41:44], v[45:46], off
	global_load_b128 v[45:48], v[45:46], off offset:16
	s_waitcnt vmcnt(18)
	v_wmma_f32_16x16x16_bf16 v[124:131], v[1:8], v[33:40], v[100:107]
	s_waitcnt vmcnt(16)
	v_wmma_f32_16x16x16_bf16 v[100:107], v[9:16], v[33:40], v[100:107]
	s_clause 0x1
	global_load_b128 v[33:36], v[70:71], off
	global_load_b128 v[37:40], v[70:71], off offset:16
	v_mad_i64_i32 v[70:71], null, s2, s5, v[68:69]
	s_waitcnt vmcnt(16)
	v_wmma_f32_16x16x16_bf16 v[124:131], v[17:24], v[108:115], v[124:131]
	s_waitcnt vmcnt(14)
	v_wmma_f32_16x16x16_bf16 v[100:107], v[25:32], v[108:115], v[100:107]
	s_clause 0x7
	global_load_b128 v[25:28], v[132:133], off
	global_load_b128 v[29:32], v[132:133], off offset:16
	global_load_b128 v[1:4], v[134:135], off
	global_load_b128 v[5:8], v[134:135], off offset:16
	;; [unrolled: 2-line block ×4, first 2 shown]
	s_waitcnt vmcnt(20)
	v_wmma_f32_16x16x16_bf16 v[124:131], v[57:64], v[116:123], v[124:131]
	s_clause 0x1
	global_load_b128 v[57:60], v[70:71], off
	global_load_b128 v[61:64], v[70:71], off offset:16
	s_waitcnt vmcnt(20)
	v_wmma_f32_16x16x16_bf16 v[100:107], v[76:83], v[116:123], v[100:107]
	ds_load_b128 v[76:79], v72 offset:6144
	ds_load_b128 v[80:83], v72 offset:7168
	v_and_b32_e32 v68, 0xe0, v0
	v_mbcnt_lo_u32_b32 v69, -1, 0
	s_waitcnt vmcnt(0) lgkmcnt(0)
	s_barrier
	buffer_gl0_inv
	v_add_nc_u32_e32 v68, s12, v68
	v_xor_b32_e32 v70, 16, v69
	s_delay_alu instid0(VALU_DEP_2) | instskip(NEXT) | instid1(VALU_DEP_2)
	v_or_b32_e32 v68, v68, v74
	v_cmp_gt_i32_e32 vcc_lo, 32, v70
	s_delay_alu instid0(VALU_DEP_2)
	v_or_b32_e32 v71, 4, v68
	v_or_b32_e32 v72, 6, v68
	v_cmp_gt_i32_e64 s2, s17, v68
	v_or_b32_e32 v108, 8, v68
	v_wmma_f32_16x16x16_bf16 v[124:131], v[84:91], v[76:83], v[124:131]
	v_cndmask_b32_e32 v69, v69, v70, vcc_lo
	v_or_b32_e32 v70, 2, v68
	v_wmma_f32_16x16x16_bf16 v[100:107], v[92:99], v[76:83], v[100:107]
	v_or_b32_e32 v109, 10, v68
	v_dual_mul_f32 v80, s18, v129 :: v_dual_mul_f32 v81, s18, v128
	v_dual_mul_f32 v92, s18, v125 :: v_dual_mul_f32 v93, s18, v124
	s_delay_alu instid0(VALU_DEP_4)
	v_mul_f32_e32 v96, s18, v105
	v_cmp_gt_i32_e32 vcc_lo, s17, v70
	v_or_b32_e32 v89, 22, v68
	v_dual_mul_f32 v79, s18, v130 :: v_dual_mul_f32 v82, s18, v127
	v_dual_mul_f32 v83, s18, v126 :: v_dual_mul_f32 v94, s18, v107
	v_cndmask_b32_e64 v93, 0xff7fffff, v93, s2
	v_cndmask_b32_e32 v92, 0xff7fffff, v92, vcc_lo
	v_cmp_gt_i32_e64 s3, s17, v71
	v_cmp_gt_i32_e64 s4, s17, v72
	v_or_b32_e32 v84, 12, v68
	v_or_b32_e32 v85, 14, v68
	v_cmp_gt_i32_e64 s5, s17, v108
	v_cndmask_b32_e64 v71, 0xff7fffff, v83, s3
	v_cndmask_b32_e64 v72, 0xff7fffff, v82, s4
	v_cmp_gt_i32_e64 s6, s17, v109
	v_cmp_gt_i32_e64 s12, s17, v89
	v_lshlrev_b32_e32 v89, 2, v69
	v_max3_f32 v82, v93, 0xff7fffff, v92
	v_or_b32_e32 v86, 16, v68
	v_or_b32_e32 v87, 18, v68
	v_mul_f32_e32 v78, s18, v131
	v_cndmask_b32_e64 v81, 0xff7fffff, v81, s5
	v_cndmask_b32_e64 v80, 0xff7fffff, v80, s6
	v_max3_f32 v71, v82, v71, v72
	v_cmp_gt_i32_e64 s7, s17, v84
	v_cmp_gt_i32_e64 s8, s17, v85
	v_or_b32_e32 v88, 20, v68
	v_or_b32_e32 v90, 24, v68
	;; [unrolled: 1-line block ×5, first 2 shown]
	v_dual_mul_f32 v97, s18, v104 :: v_dual_mul_f32 v70, s18, v101
	v_dual_mul_f32 v99, s18, v102 :: v_dual_mul_f32 v68, s18, v100
	v_cndmask_b32_e64 v72, 0xff7fffff, v79, s7
	v_cndmask_b32_e64 v78, 0xff7fffff, v78, s8
	v_max3_f32 v71, v71, v81, v80
	v_cmp_gt_i32_e64 s9, s17, v86
	v_cmp_gt_i32_e64 s10, s17, v87
	v_dual_mul_f32 v95, s18, v106 :: v_dual_mul_f32 v98, s18, v103
	s_delay_alu instid0(VALU_DEP_4) | instskip(NEXT) | instid1(VALU_DEP_4)
	v_max3_f32 v71, v71, v72, v78
	v_cndmask_b32_e64 v68, 0xff7fffff, v68, s9
	s_delay_alu instid0(VALU_DEP_4)
	v_cndmask_b32_e64 v70, 0xff7fffff, v70, s10
	v_cmp_gt_i32_e64 s11, s17, v88
	v_cndmask_b32_e64 v78, 0xff7fffff, v98, s12
	v_cmp_gt_i32_e64 s13, s17, v90
	v_cmp_gt_i32_e64 s15, s17, v91
	v_max3_f32 v68, v71, v68, v70
	v_cndmask_b32_e64 v72, 0xff7fffff, v99, s11
	v_cmp_gt_i32_e64 s16, s17, v76
	v_cndmask_b32_e64 v70, 0xff7fffff, v97, s13
	v_cndmask_b32_e64 v71, 0xff7fffff, v96, s15
	v_cmp_gt_i32_e64 s17, s17, v77
	v_max3_f32 v68, v68, v72, v78
	v_cndmask_b32_e64 v72, 0xff7fffff, v95, s16
	s_delay_alu instid0(VALU_DEP_3) | instskip(NEXT) | instid1(VALU_DEP_3)
	v_cndmask_b32_e64 v76, 0xff7fffff, v94, s17
	v_max3_f32 v68, v68, v70, v71
	s_delay_alu instid0(VALU_DEP_1) | instskip(SKIP_3) | instid1(VALU_DEP_1)
	v_max3_f32 v68, v68, v72, v76
	ds_bpermute_b32 v69, v89, v68
	s_waitcnt lgkmcnt(0)
	v_max_f32_e32 v69, v69, v69
	v_max_f32_e32 v68, v68, v69
	s_delay_alu instid0(VALU_DEP_1) | instskip(NEXT) | instid1(VALU_DEP_1)
	v_fma_f32 v71, s18, v126, -v68
	v_mul_f32_e32 v71, 0x3fb8aa3b, v71
	v_fma_f32 v70, s18, v125, -v68
	v_fma_f32 v69, s18, v124, -v68
	;; [unrolled: 1-line block ×5, first 2 shown]
	s_delay_alu instid0(VALU_DEP_4) | instskip(SKIP_1) | instid1(VALU_DEP_3)
	v_dual_mul_f32 v70, 0x3fb8aa3b, v70 :: v_dual_mul_f32 v69, 0x3fb8aa3b, v69
	v_exp_f32_e32 v71, v71
	v_mul_f32_e32 v72, 0x3fb8aa3b, v72
	v_fma_f32 v81, s18, v105, -v68
	s_delay_alu instid0(VALU_DEP_3)
	v_exp_f32_e32 v70, v70
	v_mul_f32_e32 v77, 0x3fb8aa3b, v76
	v_exp_f32_e32 v69, v69
	v_exp_f32_e32 v72, v72
	v_mul_f32_e32 v81, 0x3fb8aa3b, v81
	v_cndmask_b32_e64 v83, 0, v71, s3
	v_fma_f32 v71, s18, v131, -v68
	s_delay_alu instid0(VALU_DEP_3) | instskip(SKIP_4) | instid1(TRANS32_DEP_3)
	v_exp_f32_e32 v81, v81
	v_cndmask_b32_e32 v76, 0, v70, vcc_lo
	v_exp_f32_e32 v77, v77
	v_cndmask_b32_e64 v80, 0, v69, s2
	v_fma_f32 v69, s18, v129, -v68
	v_cndmask_b32_e64 v85, 0, v72, s4
	v_mul_f32_e32 v71, 0x3fb8aa3b, v71
	v_fma_f32 v72, s18, v100, -v68
	s_delay_alu instid0(VALU_DEP_4) | instskip(SKIP_1) | instid1(VALU_DEP_4)
	v_dual_add_f32 v70, 0, v80 :: v_dual_mul_f32 v69, 0x3fb8aa3b, v69
	v_cmp_gt_u32_e64 s2, 16, v67
	v_exp_f32_e32 v71, v71
	s_delay_alu instid0(TRANS32_DEP_2) | instskip(SKIP_4) | instid1(VALU_DEP_3)
	v_cndmask_b32_e64 v86, 0, v77, s5
	v_fma_f32 v77, s18, v101, -v68
	v_mul_f32_e32 v78, 0x3fb8aa3b, v78
	v_add_f32_e32 v70, v70, v76
	v_exp_f32_e32 v69, v69
	v_mul_f32_e32 v77, 0x3fb8aa3b, v77
	s_delay_alu instid0(VALU_DEP_3) | instskip(NEXT) | instid1(TRANS32_DEP_3)
	v_exp_f32_e32 v78, v78
	v_cndmask_b32_e64 v88, 0, v71, s8
	v_fma_f32 v71, s18, v104, -v68
	s_delay_alu instid0(VALU_DEP_3) | instskip(NEXT) | instid1(TRANS32_DEP_3)
	v_exp_f32_e32 v77, v77
	v_cndmask_b32_e64 v87, 0, v69, s6
	s_delay_alu instid0(VALU_DEP_2)
	v_mul_f32_e32 v71, 0x3fb8aa3b, v71
	s_waitcnt_depctr 0xfff
	v_cndmask_b32_e64 v84, 0, v78, s7
	v_add_f32_e32 v70, v70, v83
	v_fma_f32 v78, s18, v103, -v68
	v_exp_f32_e32 v82, v71
	s_delay_alu instid0(VALU_DEP_2) | instskip(SKIP_1) | instid1(VALU_DEP_3)
	v_add_f32_e32 v70, v70, v85
	v_mul_f32_e32 v72, 0x3fb8aa3b, v72
	v_mul_f32_e32 v78, 0x3fb8aa3b, v78
	s_delay_alu instid0(VALU_DEP_3) | instskip(SKIP_1) | instid1(VALU_DEP_4)
	v_add_f32_e32 v69, v70, v86
	v_fma_f32 v70, s18, v102, -v68
	v_exp_f32_e32 v72, v72
	s_delay_alu instid0(VALU_DEP_3) | instskip(NEXT) | instid1(VALU_DEP_1)
	v_exp_f32_e32 v78, v78
	v_dual_add_f32 v69, v69, v87 :: v_dual_mul_f32 v70, 0x3fb8aa3b, v70
	s_delay_alu instid0(VALU_DEP_1) | instskip(NEXT) | instid1(VALU_DEP_2)
	v_add_f32_e32 v69, v69, v84
	v_exp_f32_e32 v79, v70
	s_delay_alu instid0(TRANS32_DEP_3) | instskip(NEXT) | instid1(VALU_DEP_2)
	v_cndmask_b32_e64 v70, 0, v72, s9
	v_add_f32_e32 v72, v69, v88
	v_cndmask_b32_e64 v69, 0, v77, s10
	v_fma_f32 v77, s18, v106, -v68
	s_waitcnt_depctr 0xfff
	v_cndmask_b32_e64 v71, 0, v79, s11
	v_dual_mul_f32 v77, 0x3fb8aa3b, v77 :: v_dual_add_f32 v72, v72, v70
	s_delay_alu instid0(VALU_DEP_1) | instskip(NEXT) | instid1(VALU_DEP_1)
	v_exp_f32_e32 v90, v77
	v_add_f32_e32 v79, v72, v69
	v_cndmask_b32_e64 v72, 0, v78, s12
	v_cndmask_b32_e64 v77, 0, v82, s13
	s_delay_alu instid0(VALU_DEP_3) | instskip(SKIP_1) | instid1(VALU_DEP_1)
	v_add_f32_e32 v78, v79, v71
	v_fma_f32 v79, s18, v107, -v68
	v_dual_add_f32 v82, v78, v72 :: v_dual_mul_f32 v79, 0x3fb8aa3b, v79
	v_cndmask_b32_e64 v78, 0, v81, s15
	s_delay_alu instid0(VALU_DEP_2) | instskip(NEXT) | instid1(VALU_DEP_3)
	v_add_f32_e32 v81, v82, v77
	v_exp_f32_e32 v82, v79
	v_cndmask_b32_e64 v79, 0, v90, s16
	s_delay_alu instid0(VALU_DEP_2) | instskip(NEXT) | instid1(VALU_DEP_1)
	v_add_f32_e32 v81, v81, v78
	v_add_f32_e32 v90, v81, v79
	s_waitcnt_depctr 0xfff
	v_cndmask_b32_e64 v81, 0, v82, s17
	s_delay_alu instid0(VALU_DEP_1)
	v_add_f32_e32 v82, v90, v81
	ds_bpermute_b32 v89, v89, v82
	s_and_saveexec_b32 s3, s2
	s_cbranch_execz .LBB1820_12
; %bb.11:
	v_mul_u32_u24_e32 v67, 0x44, v66
	s_delay_alu instid0(VALU_DEP_1) | instskip(SKIP_1) | instid1(VALU_DEP_1)
	v_lshl_add_u32 v67, v65, 2, v67
	s_waitcnt lgkmcnt(0)
	v_dual_add_f32 v82, v82, v89 :: v_dual_add_nc_u32 v67, 0x4000, v67
	ds_store_2addr_b32 v67, v68, v82 offset1:136
.LBB1820_12:
	s_or_b32 exec_lo, exec_lo, s3
	v_lshlrev_b32_e32 v67, 2, v65
	s_waitcnt lgkmcnt(0)
	s_barrier
	buffer_gl0_inv
	v_cmp_eq_u32_e32 vcc_lo, 1, v66
	v_add_nc_u32_e32 v82, 0x4000, v67
	v_cmp_eq_u32_e64 s3, 2, v66
	v_cmp_eq_u32_e64 s5, 7, v66
	ds_load_2addr_b32 v[89:90], v82 offset1:17
	ds_load_2addr_b32 v[91:92], v82 offset0:34 offset1:51
	ds_load_2addr_b32 v[93:94], v82 offset0:68 offset1:85
	;; [unrolled: 1-line block ×4, first 2 shown]
	s_waitcnt lgkmcnt(4)
	v_max3_f32 v67, v89, 0xff7fffff, v90
	s_waitcnt lgkmcnt(3)
	s_delay_alu instid0(VALU_DEP_1) | instskip(SKIP_1) | instid1(VALU_DEP_1)
	v_max3_f32 v67, v67, v91, v92
	s_waitcnt lgkmcnt(2)
	v_max3_f32 v67, v67, v93, v94
	s_waitcnt lgkmcnt(1)
	s_delay_alu instid0(VALU_DEP_1) | instskip(NEXT) | instid1(VALU_DEP_1)
	v_max3_f32 v67, v67, v95, v96
	v_sub_f32_e32 v93, v93, v67
	s_delay_alu instid0(VALU_DEP_1) | instskip(NEXT) | instid1(VALU_DEP_1)
	v_dual_sub_f32 v68, v89, v67 :: v_dual_mul_f32 v103, 0x3fb8aa3b, v93
	v_mul_f32_e32 v68, 0x3fb8aa3b, v68
	s_delay_alu instid0(VALU_DEP_1)
	v_exp_f32_e32 v100, v68
	v_sub_f32_e32 v68, v92, v67
	v_sub_f32_e32 v99, v90, v67
	ds_load_2addr_b32 v[89:90], v82 offset0:170 offset1:187
	v_dual_mul_f32 v102, 0x3fb8aa3b, v68 :: v_dual_mul_f32 v99, 0x3fb8aa3b, v99
	s_waitcnt lgkmcnt(1)
	v_fma_f32 v68, v100, v97, 0
	s_delay_alu instid0(VALU_DEP_2) | instskip(NEXT) | instid1(VALU_DEP_2)
	v_exp_f32_e32 v102, v102
	v_exp_f32_e32 v99, v99
	s_waitcnt_depctr 0xfff
	v_fmac_f32_e32 v68, v99, v98
	v_sub_f32_e32 v91, v91, v67
	s_delay_alu instid0(VALU_DEP_1)
	v_mul_f32_e32 v101, 0x3fb8aa3b, v91
	ds_load_2addr_b32 v[91:92], v82 offset0:204 offset1:221
	v_sub_f32_e32 v97, v94, v67
	ds_load_2addr_b32 v[93:94], v82 offset0:238 offset1:255
	s_waitcnt lgkmcnt(0)
	v_exp_f32_e32 v101, v101
	s_barrier
	buffer_gl0_inv
	v_dual_fmac_f32 v68, v101, v89 :: v_dual_sub_f32 v89, v96, v67
	v_dual_sub_f32 v82, v95, v67 :: v_dual_mul_f32 v95, 0x3fb8aa3b, v97
	v_exp_f32_e32 v97, v103
	s_delay_alu instid0(VALU_DEP_2) | instskip(NEXT) | instid1(VALU_DEP_2)
	v_dual_fmac_f32 v68, v102, v90 :: v_dual_mul_f32 v89, 0x3fb8aa3b, v89
	v_mul_f32_e32 v82, 0x3fb8aa3b, v82
	s_delay_alu instid0(VALU_DEP_3) | instskip(NEXT) | instid1(VALU_DEP_2)
	v_exp_f32_e32 v95, v95
	v_exp_f32_e32 v89, v89
	s_delay_alu instid0(VALU_DEP_1)
	v_exp_f32_e32 v82, v82
	v_fmac_f32_e32 v68, v97, v91
	s_delay_alu instid0(TRANS32_DEP_3) | instid1(VALU_DEP_1)
	v_fmac_f32_e32 v68, v95, v92
	s_waitcnt_depctr 0xfff
	v_fmac_f32_e32 v68, v82, v93
	s_delay_alu instid0(VALU_DEP_1) | instskip(NEXT) | instid1(VALU_DEP_1)
	v_fmac_f32_e32 v68, v89, v94
	v_add_f32_e32 v90, 0x358637bd, v68
	s_delay_alu instid0(VALU_DEP_1) | instskip(NEXT) | instid1(VALU_DEP_1)
	v_div_scale_f32 v91, null, v90, v90, 1.0
	v_rcp_f32_e32 v92, v91
	s_waitcnt_depctr 0xfff
	v_fma_f32 v93, -v91, v92, 1.0
	s_delay_alu instid0(VALU_DEP_1) | instskip(SKIP_1) | instid1(VALU_DEP_2)
	v_dual_fmac_f32 v92, v93, v92 :: v_dual_cndmask_b32 v93, v100, v99
	v_cmp_eq_u32_e32 vcc_lo, 3, v66
	v_cndmask_b32_e64 v93, v93, v101, s3
	v_cmp_eq_u32_e64 s3, 4, v66
	s_delay_alu instid0(VALU_DEP_2) | instskip(SKIP_1) | instid1(VALU_DEP_2)
	v_cndmask_b32_e32 v93, v93, v102, vcc_lo
	v_cmp_eq_u32_e32 vcc_lo, 5, v66
	v_cndmask_b32_e64 v93, v93, v97, s3
	v_cmp_eq_u32_e64 s3, 6, v66
	s_delay_alu instid0(VALU_DEP_2) | instskip(SKIP_1) | instid1(VALU_DEP_1)
	v_cndmask_b32_e32 v93, v93, v95, vcc_lo
	v_div_scale_f32 v94, s4, 1.0, v90, 1.0
	s_mov_b32 vcc_lo, s4
	s_delay_alu instid0(VALU_DEP_2) | instskip(NEXT) | instid1(VALU_DEP_2)
	v_cndmask_b32_e64 v82, v93, v82, s3
	v_mul_f32_e32 v96, v94, v92
	s_mov_b32 s3, exec_lo
	s_delay_alu instid0(VALU_DEP_2) | instskip(NEXT) | instid1(VALU_DEP_2)
	v_cndmask_b32_e64 v82, v82, v89, s5
	v_fma_f32 v98, -v91, v96, v94
	s_delay_alu instid0(VALU_DEP_1) | instskip(NEXT) | instid1(VALU_DEP_1)
	v_fmac_f32_e32 v96, v98, v92
	v_fma_f32 v91, -v91, v96, v94
	s_delay_alu instid0(VALU_DEP_1) | instskip(NEXT) | instid1(VALU_DEP_1)
	v_div_fmas_f32 v91, v91, v92, v96
	v_div_fixup_f32 v90, v91, v90, 1.0
	s_delay_alu instid0(VALU_DEP_1) | instskip(NEXT) | instid1(VALU_DEP_1)
	v_mul_f32_e32 v82, v82, v90
	v_mul_f32_e32 v87, v82, v87
	;; [unrolled: 1-line block ×7, first 2 shown]
	v_dual_mul_f32 v86, v82, v83 :: v_dual_and_b32 v91, 0x7f800000, v90
	v_mul_f32_e32 v85, v82, v76
                                        ; implicit-def: $vgpr76
	s_delay_alu instid0(VALU_DEP_2)
	v_cmpx_ne_u32_e32 0x7f800000, v91
	s_xor_b32 s3, exec_lo, s3
; %bb.13:
	v_bfe_u32 v76, v90, 16, 1
	s_delay_alu instid0(VALU_DEP_1)
	v_add3_u32 v76, v90, v76, 0x7fff
                                        ; implicit-def: $vgpr90
; %bb.14:
	s_and_not1_saveexec_b32 s3, s3
; %bb.15:
	v_and_b32_e32 v76, 0xffff, v90
	v_or_b32_e32 v83, 0x10000, v90
	s_delay_alu instid0(VALU_DEP_2) | instskip(NEXT) | instid1(VALU_DEP_2)
	v_cmp_eq_u32_e32 vcc_lo, 0, v76
	v_cndmask_b32_e32 v76, v83, v90, vcc_lo
; %bb.16:
	s_or_b32 exec_lo, exec_lo, s3
	v_and_b32_e32 v83, 0x7f800000, v85
	s_delay_alu instid0(VALU_DEP_1) | instskip(SKIP_1) | instid1(SALU_CYCLE_1)
	v_cmp_ne_u32_e32 vcc_lo, 0x7f800000, v83
                                        ; implicit-def: $vgpr83
	s_and_saveexec_b32 s3, vcc_lo
	s_xor_b32 s3, exec_lo, s3
; %bb.17:
	v_bfe_u32 v83, v85, 16, 1
	s_delay_alu instid0(VALU_DEP_1)
	v_add3_u32 v83, v85, v83, 0x7fff
                                        ; implicit-def: $vgpr85
; %bb.18:
	s_and_not1_saveexec_b32 s3, s3
; %bb.19:
	v_and_b32_e32 v83, 0xffff, v85
	v_or_b32_e32 v90, 0x10000, v85
	s_delay_alu instid0(VALU_DEP_2) | instskip(NEXT) | instid1(VALU_DEP_2)
	v_cmp_eq_u32_e32 vcc_lo, 0, v83
	v_cndmask_b32_e32 v83, v90, v85, vcc_lo
; %bb.20:
	s_or_b32 exec_lo, exec_lo, s3
	v_and_b32_e32 v85, 0x7f800000, v86
	s_delay_alu instid0(VALU_DEP_1) | instskip(SKIP_1) | instid1(SALU_CYCLE_1)
	v_cmp_ne_u32_e32 vcc_lo, 0x7f800000, v85
                                        ; implicit-def: $vgpr85
	s_and_saveexec_b32 s3, vcc_lo
	s_xor_b32 s3, exec_lo, s3
; %bb.21:
	v_bfe_u32 v85, v86, 16, 1
	s_delay_alu instid0(VALU_DEP_1)
	v_add3_u32 v85, v86, v85, 0x7fff
                                        ; implicit-def: $vgpr86
; %bb.22:
	s_and_not1_saveexec_b32 s3, s3
; %bb.23:
	v_and_b32_e32 v85, 0xffff, v86
	v_or_b32_e32 v90, 0x10000, v86
	s_delay_alu instid0(VALU_DEP_2) | instskip(NEXT) | instid1(VALU_DEP_2)
	v_cmp_eq_u32_e32 vcc_lo, 0, v85
	v_cndmask_b32_e32 v85, v90, v86, vcc_lo
; %bb.24:
	s_or_b32 exec_lo, exec_lo, s3
	v_and_b32_e32 v86, 0x7f800000, v89
	s_delay_alu instid0(VALU_DEP_1) | instskip(SKIP_1) | instid1(SALU_CYCLE_1)
	v_cmp_ne_u32_e32 vcc_lo, 0x7f800000, v86
                                        ; implicit-def: $vgpr86
	s_and_saveexec_b32 s3, vcc_lo
	s_xor_b32 s3, exec_lo, s3
; %bb.25:
	v_bfe_u32 v86, v89, 16, 1
	s_delay_alu instid0(VALU_DEP_1)
	v_add3_u32 v86, v89, v86, 0x7fff
                                        ; implicit-def: $vgpr89
; %bb.26:
	s_and_not1_saveexec_b32 s3, s3
; %bb.27:
	v_and_b32_e32 v86, 0xffff, v89
	v_or_b32_e32 v90, 0x10000, v89
	s_delay_alu instid0(VALU_DEP_2) | instskip(NEXT) | instid1(VALU_DEP_2)
	v_cmp_eq_u32_e32 vcc_lo, 0, v86
	v_cndmask_b32_e32 v86, v90, v89, vcc_lo
; %bb.28:
	s_or_b32 exec_lo, exec_lo, s3
	v_and_b32_e32 v89, 0x7f800000, v88
	s_delay_alu instid0(VALU_DEP_1) | instskip(SKIP_1) | instid1(SALU_CYCLE_1)
	v_cmp_ne_u32_e32 vcc_lo, 0x7f800000, v89
                                        ; implicit-def: $vgpr89
	s_and_saveexec_b32 s3, vcc_lo
	s_xor_b32 s3, exec_lo, s3
; %bb.29:
	v_bfe_u32 v89, v88, 16, 1
	s_delay_alu instid0(VALU_DEP_1)
	v_add3_u32 v89, v88, v89, 0x7fff
                                        ; implicit-def: $vgpr88
; %bb.30:
	s_and_not1_saveexec_b32 s3, s3
; %bb.31:
	v_and_b32_e32 v89, 0xffff, v88
	v_or_b32_e32 v90, 0x10000, v88
	s_delay_alu instid0(VALU_DEP_2) | instskip(NEXT) | instid1(VALU_DEP_2)
	v_cmp_eq_u32_e32 vcc_lo, 0, v89
	v_cndmask_b32_e32 v89, v90, v88, vcc_lo
; %bb.32:
	s_or_b32 exec_lo, exec_lo, s3
	v_and_b32_e32 v88, 0x7f800000, v87
	s_delay_alu instid0(VALU_DEP_1) | instskip(SKIP_1) | instid1(SALU_CYCLE_1)
	v_cmp_ne_u32_e32 vcc_lo, 0x7f800000, v88
                                        ; implicit-def: $vgpr88
	s_and_saveexec_b32 s3, vcc_lo
	s_xor_b32 s3, exec_lo, s3
; %bb.33:
	v_bfe_u32 v88, v87, 16, 1
	s_delay_alu instid0(VALU_DEP_1)
	v_add3_u32 v88, v87, v88, 0x7fff
                                        ; implicit-def: $vgpr87
; %bb.34:
	s_and_not1_saveexec_b32 s3, s3
; %bb.35:
	v_and_b32_e32 v88, 0xffff, v87
	v_or_b32_e32 v90, 0x10000, v87
	s_delay_alu instid0(VALU_DEP_2) | instskip(NEXT) | instid1(VALU_DEP_2)
	v_cmp_eq_u32_e32 vcc_lo, 0, v88
	v_cndmask_b32_e32 v88, v90, v87, vcc_lo
; %bb.36:
	s_or_b32 exec_lo, exec_lo, s3
	v_and_b32_e32 v87, 0x7f800000, v84
	s_delay_alu instid0(VALU_DEP_1) | instskip(SKIP_1) | instid1(SALU_CYCLE_1)
	v_cmp_ne_u32_e32 vcc_lo, 0x7f800000, v87
                                        ; implicit-def: $vgpr87
	s_and_saveexec_b32 s3, vcc_lo
	s_xor_b32 s3, exec_lo, s3
; %bb.37:
	v_bfe_u32 v87, v84, 16, 1
	s_delay_alu instid0(VALU_DEP_1)
	v_add3_u32 v87, v84, v87, 0x7fff
                                        ; implicit-def: $vgpr84
; %bb.38:
	s_and_not1_saveexec_b32 s3, s3
; %bb.39:
	v_and_b32_e32 v87, 0xffff, v84
	v_or_b32_e32 v90, 0x10000, v84
	s_delay_alu instid0(VALU_DEP_2) | instskip(NEXT) | instid1(VALU_DEP_2)
	v_cmp_eq_u32_e32 vcc_lo, 0, v87
	v_cndmask_b32_e32 v87, v90, v84, vcc_lo
; %bb.40:
	s_or_b32 exec_lo, exec_lo, s3
	v_and_b32_e32 v84, 0x7f800000, v80
	s_delay_alu instid0(VALU_DEP_1) | instskip(SKIP_1) | instid1(SALU_CYCLE_1)
	v_cmp_ne_u32_e32 vcc_lo, 0x7f800000, v84
                                        ; implicit-def: $vgpr84
	s_and_saveexec_b32 s3, vcc_lo
	s_xor_b32 s3, exec_lo, s3
; %bb.41:
	v_bfe_u32 v84, v80, 16, 1
	s_delay_alu instid0(VALU_DEP_1)
	v_add3_u32 v84, v80, v84, 0x7fff
                                        ; implicit-def: $vgpr80
; %bb.42:
	s_and_not1_saveexec_b32 s3, s3
; %bb.43:
	v_and_b32_e32 v84, 0xffff, v80
	v_or_b32_e32 v90, 0x10000, v80
	s_delay_alu instid0(VALU_DEP_2) | instskip(NEXT) | instid1(VALU_DEP_2)
	v_cmp_eq_u32_e32 vcc_lo, 0, v84
	v_cndmask_b32_e32 v84, v90, v80, vcc_lo
; %bb.44:
	s_or_b32 exec_lo, exec_lo, s3
	s_load_b64 s[34:35], s[0:1], 0x94
	v_lshlrev_b32_e32 v91, 4, v74
	s_delay_alu instid0(VALU_DEP_2)
	v_perm_b32 v90, v84, v87, 0x7060302
	v_dual_mul_f32 v79, v82, v79 :: v_dual_lshlrev_b32 v80, 6, v65
	v_dual_mul_f32 v77, v82, v77 :: v_dual_lshlrev_b32 v92, 11, v66
	v_mul_f32_e32 v84, v82, v70
	v_perm_b32 v89, v88, v89, 0x7060302
	v_perm_b32 v88, v86, v85, 0x7060302
	;; [unrolled: 1-line block ×3, first 2 shown]
	v_mul_f32_e32 v70, v82, v81
	v_or3_b32 v76, v91, v92, v80
	v_dual_mul_f32 v78, v82, v78 :: v_dual_and_b32 v85, 0x7f800000, v84
	v_mul_f32_e32 v83, v82, v72
	v_mul_f32_e32 v81, v82, v71
	v_mul_f32_e32 v72, v82, v69
	s_mov_b32 s3, exec_lo
	ds_store_b128 v76, v[87:90]
                                        ; implicit-def: $vgpr69
	v_cmpx_ne_u32_e32 0x7f800000, v85
	s_xor_b32 s3, exec_lo, s3
; %bb.45:
	v_bfe_u32 v69, v84, 16, 1
	s_delay_alu instid0(VALU_DEP_1)
	v_add3_u32 v69, v84, v69, 0x7fff
                                        ; implicit-def: $vgpr84
; %bb.46:
	s_and_not1_saveexec_b32 s3, s3
; %bb.47:
	v_and_b32_e32 v69, 0xffff, v84
	v_or_b32_e32 v71, 0x10000, v84
	s_delay_alu instid0(VALU_DEP_2) | instskip(NEXT) | instid1(VALU_DEP_2)
	v_cmp_eq_u32_e32 vcc_lo, 0, v69
	v_cndmask_b32_e32 v69, v71, v84, vcc_lo
; %bb.48:
	s_or_b32 exec_lo, exec_lo, s3
	v_and_b32_e32 v71, 0x7f800000, v72
	s_delay_alu instid0(VALU_DEP_1) | instskip(SKIP_1) | instid1(SALU_CYCLE_1)
	v_cmp_ne_u32_e32 vcc_lo, 0x7f800000, v71
                                        ; implicit-def: $vgpr71
	s_and_saveexec_b32 s3, vcc_lo
	s_xor_b32 s3, exec_lo, s3
; %bb.49:
	v_bfe_u32 v71, v72, 16, 1
	s_delay_alu instid0(VALU_DEP_1)
	v_add3_u32 v71, v72, v71, 0x7fff
                                        ; implicit-def: $vgpr72
; %bb.50:
	s_and_not1_saveexec_b32 s3, s3
; %bb.51:
	v_and_b32_e32 v71, 0xffff, v72
	v_or_b32_e32 v82, 0x10000, v72
	s_delay_alu instid0(VALU_DEP_2) | instskip(NEXT) | instid1(VALU_DEP_2)
	v_cmp_eq_u32_e32 vcc_lo, 0, v71
	v_cndmask_b32_e32 v71, v82, v72, vcc_lo
; %bb.52:
	s_or_b32 exec_lo, exec_lo, s3
	v_and_b32_e32 v72, 0x7f800000, v81
	s_delay_alu instid0(VALU_DEP_1) | instskip(SKIP_1) | instid1(SALU_CYCLE_1)
	v_cmp_ne_u32_e32 vcc_lo, 0x7f800000, v72
                                        ; implicit-def: $vgpr72
	s_and_saveexec_b32 s3, vcc_lo
	s_xor_b32 s3, exec_lo, s3
; %bb.53:
	v_bfe_u32 v72, v81, 16, 1
	s_delay_alu instid0(VALU_DEP_1)
	v_add3_u32 v72, v81, v72, 0x7fff
                                        ; implicit-def: $vgpr81
; %bb.54:
	s_and_not1_saveexec_b32 s3, s3
; %bb.55:
	v_and_b32_e32 v72, 0xffff, v81
	v_or_b32_e32 v82, 0x10000, v81
	s_delay_alu instid0(VALU_DEP_2) | instskip(NEXT) | instid1(VALU_DEP_2)
	v_cmp_eq_u32_e32 vcc_lo, 0, v72
	v_cndmask_b32_e32 v72, v82, v81, vcc_lo
; %bb.56:
	s_or_b32 exec_lo, exec_lo, s3
	v_and_b32_e32 v81, 0x7f800000, v83
	s_delay_alu instid0(VALU_DEP_1) | instskip(SKIP_1) | instid1(SALU_CYCLE_1)
	v_cmp_ne_u32_e32 vcc_lo, 0x7f800000, v81
                                        ; implicit-def: $vgpr81
	s_and_saveexec_b32 s3, vcc_lo
	s_xor_b32 s3, exec_lo, s3
; %bb.57:
	v_bfe_u32 v81, v83, 16, 1
	s_delay_alu instid0(VALU_DEP_1)
	v_add3_u32 v81, v83, v81, 0x7fff
                                        ; implicit-def: $vgpr83
; %bb.58:
	s_and_not1_saveexec_b32 s3, s3
; %bb.59:
	v_and_b32_e32 v81, 0xffff, v83
	v_or_b32_e32 v82, 0x10000, v83
	s_delay_alu instid0(VALU_DEP_2) | instskip(NEXT) | instid1(VALU_DEP_2)
	v_cmp_eq_u32_e32 vcc_lo, 0, v81
	v_cndmask_b32_e32 v81, v82, v83, vcc_lo
; %bb.60:
	s_or_b32 exec_lo, exec_lo, s3
	v_and_b32_e32 v82, 0x7f800000, v77
	s_delay_alu instid0(VALU_DEP_1) | instskip(SKIP_1) | instid1(SALU_CYCLE_1)
	v_cmp_ne_u32_e32 vcc_lo, 0x7f800000, v82
                                        ; implicit-def: $vgpr82
	s_and_saveexec_b32 s3, vcc_lo
	s_xor_b32 s3, exec_lo, s3
; %bb.61:
	v_bfe_u32 v82, v77, 16, 1
	s_delay_alu instid0(VALU_DEP_1)
	v_add3_u32 v82, v77, v82, 0x7fff
                                        ; implicit-def: $vgpr77
; %bb.62:
	s_and_not1_saveexec_b32 s3, s3
; %bb.63:
	v_and_b32_e32 v82, 0xffff, v77
	v_or_b32_e32 v83, 0x10000, v77
	s_delay_alu instid0(VALU_DEP_2) | instskip(NEXT) | instid1(VALU_DEP_2)
	v_cmp_eq_u32_e32 vcc_lo, 0, v82
	v_cndmask_b32_e32 v82, v83, v77, vcc_lo
; %bb.64:
	s_or_b32 exec_lo, exec_lo, s3
	v_and_b32_e32 v77, 0x7f800000, v78
	s_delay_alu instid0(VALU_DEP_1) | instskip(SKIP_1) | instid1(SALU_CYCLE_1)
	v_cmp_ne_u32_e32 vcc_lo, 0x7f800000, v77
                                        ; implicit-def: $vgpr77
	s_and_saveexec_b32 s3, vcc_lo
	s_xor_b32 s3, exec_lo, s3
; %bb.65:
	v_bfe_u32 v77, v78, 16, 1
	s_delay_alu instid0(VALU_DEP_1)
	v_add3_u32 v77, v78, v77, 0x7fff
                                        ; implicit-def: $vgpr78
; %bb.66:
	s_and_not1_saveexec_b32 s3, s3
; %bb.67:
	v_and_b32_e32 v77, 0xffff, v78
	v_or_b32_e32 v83, 0x10000, v78
	s_delay_alu instid0(VALU_DEP_2) | instskip(NEXT) | instid1(VALU_DEP_2)
	v_cmp_eq_u32_e32 vcc_lo, 0, v77
	v_cndmask_b32_e32 v77, v83, v78, vcc_lo
; %bb.68:
	s_or_b32 exec_lo, exec_lo, s3
	v_and_b32_e32 v78, 0x7f800000, v79
	s_delay_alu instid0(VALU_DEP_1) | instskip(SKIP_1) | instid1(SALU_CYCLE_1)
	v_cmp_ne_u32_e32 vcc_lo, 0x7f800000, v78
                                        ; implicit-def: $vgpr78
	s_and_saveexec_b32 s3, vcc_lo
	s_xor_b32 s3, exec_lo, s3
; %bb.69:
	v_bfe_u32 v78, v79, 16, 1
	s_delay_alu instid0(VALU_DEP_1)
	v_add3_u32 v78, v79, v78, 0x7fff
                                        ; implicit-def: $vgpr79
; %bb.70:
	s_and_not1_saveexec_b32 s3, s3
; %bb.71:
	v_and_b32_e32 v78, 0xffff, v79
	v_or_b32_e32 v83, 0x10000, v79
	s_delay_alu instid0(VALU_DEP_2) | instskip(NEXT) | instid1(VALU_DEP_2)
	v_cmp_eq_u32_e32 vcc_lo, 0, v78
	v_cndmask_b32_e32 v78, v83, v79, vcc_lo
; %bb.72:
	s_or_b32 exec_lo, exec_lo, s3
	v_and_b32_e32 v79, 0x7f800000, v70
	s_delay_alu instid0(VALU_DEP_1) | instskip(SKIP_1) | instid1(SALU_CYCLE_1)
	v_cmp_ne_u32_e32 vcc_lo, 0x7f800000, v79
                                        ; implicit-def: $vgpr79
	s_and_saveexec_b32 s3, vcc_lo
	s_xor_b32 s3, exec_lo, s3
; %bb.73:
	v_bfe_u32 v79, v70, 16, 1
	s_delay_alu instid0(VALU_DEP_1)
	v_add3_u32 v79, v70, v79, 0x7fff
                                        ; implicit-def: $vgpr70
; %bb.74:
	s_and_not1_saveexec_b32 s3, s3
; %bb.75:
	v_and_b32_e32 v79, 0xffff, v70
	v_or_b32_e32 v83, 0x10000, v70
	s_delay_alu instid0(VALU_DEP_2) | instskip(NEXT) | instid1(VALU_DEP_2)
	v_cmp_eq_u32_e32 vcc_lo, 0, v79
	v_cndmask_b32_e32 v79, v83, v70, vcc_lo
; %bb.76:
	s_or_b32 exec_lo, exec_lo, s3
	s_delay_alu instid0(VALU_DEP_1)
	v_perm_b32 v86, v79, v78, 0x7060302
	v_perm_b32 v85, v77, v82, 0x7060302
	;; [unrolled: 1-line block ×4, first 2 shown]
	v_lshl_or_b32 v82, v66, 11, v80
	ds_store_b128 v76, v[83:86] offset:1024
	s_waitcnt lgkmcnt(0)
	s_barrier
	buffer_gl0_inv
	ds_load_b128 v[69:72], v82
	ds_load_b128 v[83:86], v82 offset:16
	s_waitcnt lgkmcnt(1)
	v_lshrrev_b32_e32 v66, 16, v69
	s_waitcnt lgkmcnt(0)
	v_lshrrev_b32_e32 v91, 16, v83
	v_lshlrev_b32_e32 v78, 2, v74
	v_lshrrev_b32_e32 v95, 16, v70
	v_lshrrev_b32_e32 v98, 16, v84
	;; [unrolled: 1-line block ×4, first 2 shown]
	v_cmp_eq_u32_e32 vcc_lo, 1, v78
	v_lshrrev_b32_e32 v97, 16, v72
	v_lshrrev_b32_e32 v100, 16, v86
	v_cndmask_b32_e32 v87, v83, v91, vcc_lo
	v_or_b32_e32 v79, 1, v78
	v_cndmask_b32_e32 v81, v69, v66, vcc_lo
	v_cmp_eq_u32_e64 s4, 2, v78
	v_cmp_eq_u32_e64 s7, 3, v78
	;; [unrolled: 1-line block ×5, first 2 shown]
	v_cndmask_b32_e64 v81, v81, v70, s4
	v_cndmask_b32_e64 v87, v87, v84, s4
	v_cmp_eq_u32_e64 s8, 3, v79
	v_cndmask_b32_e64 v88, v69, v66, s3
	v_or_b32_e32 v77, 2, v78
	v_cndmask_b32_e64 v81, v81, v95, s7
	v_cndmask_b32_e64 v87, v87, v98, s7
	;; [unrolled: 1-line block ×4, first 2 shown]
	v_cmp_eq_u32_e64 s10, 5, v78
	v_cndmask_b32_e64 v81, v81, v71, s9
	v_cndmask_b32_e64 v87, v87, v85, s9
	v_cmp_eq_u32_e64 s11, 4, v79
	v_cndmask_b32_e64 v88, v88, v95, s8
	v_cmp_eq_u32_e64 s5, 1, v77
	v_cndmask_b32_e64 v89, v89, v84, s6
	v_cndmask_b32_e64 v81, v81, v96, s10
	v_cmp_eq_u32_e64 s12, 6, v78
	v_cndmask_b32_e64 v88, v88, v71, s11
	;; [unrolled: 3-line block ×3, first 2 shown]
	v_cndmask_b32_e64 v89, v89, v98, s8
	v_cndmask_b32_e64 v81, v81, v72, s12
	v_cmp_eq_u32_e64 s15, 7, v78
	v_cndmask_b32_e64 v88, v88, v96, s13
	v_cndmask_b32_e64 v87, v87, v86, s12
	v_cmp_eq_u32_e64 s16, 6, v79
	v_cmp_eq_u32_e64 s17, 2, v77
	v_cndmask_b32_e64 v89, v89, v85, s11
	v_cndmask_b32_e64 v101, v81, v97, s15
	;; [unrolled: 1-line block ×6, first 2 shown]
	v_cmp_eq_u32_e64 s18, 7, v79
	v_cmp_eq_u32_e64 s19, 3, v77
	;; [unrolled: 1-line block ×4, first 2 shown]
	v_cndmask_b32_e64 v87, v87, v84, s17
	v_cndmask_b32_e64 v103, v88, v97, s18
	;; [unrolled: 1-line block ×4, first 2 shown]
	v_or_b32_e32 v81, 3, v78
	v_cndmask_b32_e64 v93, v87, v98, s19
	v_cmp_eq_u32_e64 s24, 6, v77
	v_cndmask_b32_e64 v104, v88, v86, s16
	v_cndmask_b32_e64 v92, v89, v71, s20
	v_cmp_eq_u32_e64 s21, 1, v81
	ds_load_b128 v[87:90], v82 offset:1024
	v_cmp_eq_u32_e64 s23, 2, v81
	v_cmp_eq_u32_e64 s25, 3, v81
	v_cndmask_b32_e64 v105, v92, v96, s22
	v_cndmask_b32_e64 v66, v69, v66, s21
	;; [unrolled: 1-line block ×4, first 2 shown]
	ds_load_b128 v[91:94], v82 offset:1040
	v_cmp_eq_u32_e64 s26, 4, v81
	v_cndmask_b32_e64 v66, v66, v70, s23
	v_cmp_eq_u32_e64 s27, 7, v77
	v_cndmask_b32_e64 v70, v83, v84, s23
	v_cndmask_b32_e64 v84, v105, v72, s24
	v_cmp_eq_u32_e64 s28, 5, v81
	v_cndmask_b32_e64 v66, v66, v95, s25
	v_cmp_eq_u32_e64 s29, 6, v81
	v_cndmask_b32_e64 v70, v70, v98, s25
	v_cndmask_b32_e64 v69, v69, v99, s22
	;; [unrolled: 1-line block ×4, first 2 shown]
	s_waitcnt lgkmcnt(1)
	v_lshrrev_b32_e32 v95, 16, v87
	v_cndmask_b32_e64 v70, v70, v85, s26
	v_cndmask_b32_e64 v71, v84, v97, s27
	;; [unrolled: 1-line block ×4, first 2 shown]
	v_cndmask_b32_e32 v84, v87, v95, vcc_lo
	v_cndmask_b32_e64 v70, v70, v99, s28
	s_waitcnt lgkmcnt(0)
	v_lshrrev_b32_e32 v85, 16, v91
	v_lshrrev_b32_e32 v96, 16, v88
	v_cndmask_b32_e64 v98, v87, v95, s3
	v_cndmask_b32_e64 v84, v84, v88, s4
	;; [unrolled: 1-line block ×3, first 2 shown]
	v_cndmask_b32_e32 v99, v91, v85, vcc_lo
	v_cmp_eq_u32_e32 vcc_lo, 7, v81
	v_cndmask_b32_e64 v66, v66, v72, s29
	v_cndmask_b32_e64 v72, v84, v96, s7
	;; [unrolled: 1-line block ×3, first 2 shown]
	v_lshrrev_b32_e32 v98, 16, v92
	v_cndmask_b32_e32 v70, v70, v100, vcc_lo
	v_cndmask_b32_e64 v86, v99, v92, s4
	v_cndmask_b32_e64 v69, v69, v100, s27
	v_lshrrev_b32_e32 v100, 16, v93
	v_cndmask_b32_e64 v72, v72, v89, s9
	v_lshrrev_b32_e32 v99, 16, v89
	v_cndmask_b32_e64 v86, v86, v98, s7
	v_perm_b32 v71, v69, v71, 0x5040100
	v_cndmask_b32_e64 v84, v84, v96, s8
	s_delay_alu instid0(VALU_DEP_3) | instskip(NEXT) | instid1(VALU_DEP_2)
	v_cndmask_b32_e64 v86, v86, v93, s9
	v_cndmask_b32_e64 v84, v84, v89, s11
	s_delay_alu instid0(VALU_DEP_2) | instskip(NEXT) | instid1(VALU_DEP_1)
	v_cndmask_b32_e64 v86, v86, v100, s10
	v_cndmask_b32_e64 v69, v86, v94, s12
	;; [unrolled: 1-line block ×5, first 2 shown]
	s_delay_alu instid0(VALU_DEP_3) | instskip(NEXT) | instid1(VALU_DEP_3)
	v_cndmask_b32_e64 v86, v86, v88, s17
	v_cndmask_b32_e64 v87, v87, v88, s23
	s_delay_alu instid0(VALU_DEP_3) | instskip(NEXT) | instid1(VALU_DEP_3)
	v_cndmask_b32_e64 v88, v95, v92, s23
	v_cndmask_b32_e64 v86, v86, v96, s19
	;; [unrolled: 3-line block ×7, first 2 shown]
	s_delay_alu instid0(VALU_DEP_3) | instskip(SKIP_2) | instid1(VALU_DEP_2)
	v_cndmask_b32_e64 v88, v88, v94, s29
	v_cndmask_b32_e32 v66, v66, v97, vcc_lo
	v_cndmask_b32_e64 v97, v72, v99, s10
	v_perm_b32 v72, v70, v66, 0x5040100
	v_perm_b32 v70, v83, v103, 0x5040100
	v_cndmask_b32_e64 v103, v91, v85, s5
	v_cndmask_b32_e64 v85, v91, v85, s3
	;; [unrolled: 1-line block ×4, first 2 shown]
	v_lshrrev_b32_e32 v97, 16, v90
	v_cndmask_b32_e64 v91, v103, v92, s17
	v_cndmask_b32_e64 v85, v85, v92, s6
	;; [unrolled: 1-line block ×3, first 2 shown]
	s_mov_b32 s3, exec_lo
	v_cndmask_b32_e64 v83, v84, v97, s15
	v_cndmask_b32_e64 v91, v91, v98, s19
	;; [unrolled: 1-line block ×3, first 2 shown]
	v_lshrrev_b32_e32 v84, 16, v94
	v_cndmask_b32_e64 v66, v66, v97, s18
	v_cndmask_b32_e64 v90, v86, v97, s27
	;; [unrolled: 1-line block ×4, first 2 shown]
	v_dual_cndmask_b32 v86, v87, v97 :: v_dual_cndmask_b32 v87, v88, v84
	v_cndmask_b32_e64 v91, v69, v84, s15
	s_delay_alu instid0(VALU_DEP_4) | instskip(NEXT) | instid1(VALU_DEP_4)
	v_cndmask_b32_e64 v89, v89, v100, s22
	v_cndmask_b32_e64 v85, v85, v100, s13
	v_perm_b32 v69, v102, v101, 0x5040100
	v_perm_b32 v86, v87, v86, 0x5040100
	;; [unrolled: 1-line block ×3, first 2 shown]
	v_cndmask_b32_e64 v89, v89, v94, s24
	v_cndmask_b32_e64 v85, v85, v94, s16
	s_mul_i32 s8, s35, 15
	s_delay_alu instid0(VALU_DEP_2) | instskip(NEXT) | instid1(VALU_DEP_2)
	v_cndmask_b32_e64 v88, v89, v84, s27
	v_cndmask_b32_e64 v89, v85, v84, s18
	s_delay_alu instid0(VALU_DEP_2) | instskip(NEXT) | instid1(VALU_DEP_2)
	v_perm_b32 v85, v88, v90, 0x5040100
	v_perm_b32 v84, v89, v66, 0x5040100
	ds_store_b128 v76, v[69:72]
	ds_store_b128 v76, v[83:86] offset:1024
	v_cmpx_gt_u32_e32 15, v0
	s_cbranch_execz .LBB1820_78
; %bb.77:
	s_mul_i32 s4, s8, s30
	s_delay_alu instid0(SALU_CYCLE_1) | instskip(SKIP_1) | instid1(VALU_DEP_1)
	v_add3_u32 v69, s4, s31, v65
	s_load_b128 s[4:7], s[0:1], 0x58
	v_mad_u64_u32 v[65:66], null, v69, s34, s[14:15]
	s_delay_alu instid0(VALU_DEP_1) | instskip(NEXT) | instid1(VALU_DEP_1)
	v_ashrrev_i32_e32 v66, 31, v65
	v_lshlrev_b64 v[65:66], 2, v[65:66]
	s_waitcnt lgkmcnt(0)
	s_delay_alu instid0(VALU_DEP_1) | instskip(NEXT) | instid1(VALU_DEP_2)
	v_add_co_u32 v69, vcc_lo, s6, v65
	v_add_co_ci_u32_e32 v70, vcc_lo, s7, v66, vcc_lo
	v_add_co_u32 v65, vcc_lo, s4, v65
	v_add_co_ci_u32_e32 v66, vcc_lo, s5, v66, vcc_lo
	global_store_b32 v[69:70], v67, off
	global_store_b32 v[65:66], v68, off
.LBB1820_78:
	s_or_b32 exec_lo, exec_lo, s3
	s_waitcnt lgkmcnt(0)
	s_waitcnt_vscnt null, 0x0
	s_barrier
	buffer_gl0_inv
	ds_load_b128 v[83:86], v80
	ds_load_b128 v[87:90], v80 offset:16
	ds_load_b128 v[95:98], v80 offset:2064
	;; [unrolled: 1-line block ×3, first 2 shown]
	v_mov_b32_e32 v65, 0
	ds_load_b128 v[103:106], v80 offset:4112
	ds_load_b128 v[99:102], v80 offset:4096
	;; [unrolled: 1-line block ×4, first 2 shown]
	v_mov_b32_e32 v66, v65
	v_mov_b32_e32 v67, v65
	;; [unrolled: 1-line block ×7, first 2 shown]
	s_waitcnt lgkmcnt(6)
	s_delay_alu instid0(VALU_DEP_1)
	v_wmma_f32_16x16x16_bf16 v[65:72], v[49:56], v[83:90], v[65:72]
	ds_load_b128 v[53:56], v80 offset:8208
	ds_load_b128 v[49:52], v80 offset:8192
	s_waitcnt lgkmcnt(6)
	v_wmma_f32_16x16x16_bf16 v[65:72], v[41:48], v[91:98], v[65:72]
	ds_load_b128 v[45:48], v80 offset:10256
	ds_load_b128 v[41:44], v80 offset:10240
	s_waitcnt lgkmcnt(6)
	;; [unrolled: 4-line block ×4, first 2 shown]
	v_wmma_f32_16x16x16_bf16 v[65:72], v[1:8], v[49:56], v[65:72]
	s_waitcnt lgkmcnt(4)
	s_delay_alu instid0(VALU_DEP_1) | instskip(SKIP_1) | instid1(VALU_DEP_1)
	v_wmma_f32_16x16x16_bf16 v[65:72], v[9:16], v[41:48], v[65:72]
	s_waitcnt lgkmcnt(2)
	v_wmma_f32_16x16x16_bf16 v[65:72], v[17:24], v[33:40], v[65:72]
	s_waitcnt lgkmcnt(0)
	s_delay_alu instid0(VALU_DEP_1) | instskip(NEXT) | instid1(VALU_DEP_1)
	v_wmma_f32_16x16x16_bf16 v[65:72], v[57:64], v[25:32], v[65:72]
	v_and_b32_e32 v1, 0x7f800000, v65
	s_delay_alu instid0(VALU_DEP_1) | instskip(SKIP_1) | instid1(SALU_CYCLE_1)
	v_cmp_ne_u32_e32 vcc_lo, 0x7f800000, v1
                                        ; implicit-def: $vgpr1
	s_and_saveexec_b32 s3, vcc_lo
	s_xor_b32 s3, exec_lo, s3
; %bb.79:
	v_bfe_u32 v1, v65, 16, 1
	s_delay_alu instid0(VALU_DEP_1)
	v_add3_u32 v1, v65, v1, 0x7fff
; %bb.80:
	s_and_not1_saveexec_b32 s3, s3
; %bb.81:
	v_and_b32_e32 v1, 0xffff, v65
	v_or_b32_e32 v2, 0x10000, v65
	s_delay_alu instid0(VALU_DEP_2) | instskip(NEXT) | instid1(VALU_DEP_2)
	v_cmp_eq_u32_e32 vcc_lo, 0, v1
	v_cndmask_b32_e32 v1, v2, v65, vcc_lo
; %bb.82:
	s_or_b32 exec_lo, exec_lo, s3
	v_and_b32_e32 v2, 0x7f800000, v66
	s_delay_alu instid0(VALU_DEP_1) | instskip(SKIP_1) | instid1(SALU_CYCLE_1)
	v_cmp_ne_u32_e32 vcc_lo, 0x7f800000, v2
                                        ; implicit-def: $vgpr2
	s_and_saveexec_b32 s3, vcc_lo
	s_xor_b32 s3, exec_lo, s3
; %bb.83:
	v_bfe_u32 v2, v66, 16, 1
	s_delay_alu instid0(VALU_DEP_1)
	v_add3_u32 v2, v66, v2, 0x7fff
; %bb.84:
	s_and_not1_saveexec_b32 s3, s3
; %bb.85:
	v_and_b32_e32 v2, 0xffff, v66
	v_or_b32_e32 v3, 0x10000, v66
	s_delay_alu instid0(VALU_DEP_2) | instskip(NEXT) | instid1(VALU_DEP_2)
	v_cmp_eq_u32_e32 vcc_lo, 0, v2
	v_cndmask_b32_e32 v2, v3, v66, vcc_lo
; %bb.86:
	s_or_b32 exec_lo, exec_lo, s3
	v_and_b32_e32 v3, 0x7f800000, v67
	s_delay_alu instid0(VALU_DEP_1) | instskip(SKIP_1) | instid1(SALU_CYCLE_1)
	v_cmp_ne_u32_e32 vcc_lo, 0x7f800000, v3
                                        ; implicit-def: $vgpr3
	s_and_saveexec_b32 s3, vcc_lo
	s_xor_b32 s3, exec_lo, s3
; %bb.87:
	v_bfe_u32 v3, v67, 16, 1
	s_delay_alu instid0(VALU_DEP_1)
	v_add3_u32 v3, v67, v3, 0x7fff
; %bb.88:
	s_and_not1_saveexec_b32 s3, s3
; %bb.89:
	v_and_b32_e32 v3, 0xffff, v67
	v_or_b32_e32 v4, 0x10000, v67
	s_delay_alu instid0(VALU_DEP_2) | instskip(NEXT) | instid1(VALU_DEP_2)
	v_cmp_eq_u32_e32 vcc_lo, 0, v3
	v_cndmask_b32_e32 v3, v4, v67, vcc_lo
; %bb.90:
	s_or_b32 exec_lo, exec_lo, s3
	v_and_b32_e32 v4, 0x7f800000, v68
	s_delay_alu instid0(VALU_DEP_1) | instskip(SKIP_1) | instid1(SALU_CYCLE_1)
	v_cmp_ne_u32_e32 vcc_lo, 0x7f800000, v4
                                        ; implicit-def: $vgpr4
	s_and_saveexec_b32 s3, vcc_lo
	s_xor_b32 s3, exec_lo, s3
; %bb.91:
	v_bfe_u32 v4, v68, 16, 1
	s_delay_alu instid0(VALU_DEP_1)
	v_add3_u32 v4, v68, v4, 0x7fff
; %bb.92:
	s_and_not1_saveexec_b32 s3, s3
; %bb.93:
	v_and_b32_e32 v4, 0xffff, v68
	v_or_b32_e32 v5, 0x10000, v68
	s_delay_alu instid0(VALU_DEP_2) | instskip(NEXT) | instid1(VALU_DEP_2)
	v_cmp_eq_u32_e32 vcc_lo, 0, v4
	v_cndmask_b32_e32 v4, v5, v68, vcc_lo
; %bb.94:
	s_or_b32 exec_lo, exec_lo, s3
	v_and_b32_e32 v5, 0x7f800000, v69
	s_delay_alu instid0(VALU_DEP_1) | instskip(SKIP_1) | instid1(SALU_CYCLE_1)
	v_cmp_ne_u32_e32 vcc_lo, 0x7f800000, v5
                                        ; implicit-def: $vgpr5
	s_and_saveexec_b32 s3, vcc_lo
	s_xor_b32 s3, exec_lo, s3
; %bb.95:
	v_bfe_u32 v5, v69, 16, 1
	s_delay_alu instid0(VALU_DEP_1)
	v_add3_u32 v5, v69, v5, 0x7fff
; %bb.96:
	s_and_not1_saveexec_b32 s3, s3
; %bb.97:
	v_and_b32_e32 v5, 0xffff, v69
	v_or_b32_e32 v6, 0x10000, v69
	s_delay_alu instid0(VALU_DEP_2) | instskip(NEXT) | instid1(VALU_DEP_2)
	v_cmp_eq_u32_e32 vcc_lo, 0, v5
	v_cndmask_b32_e32 v5, v6, v69, vcc_lo
; %bb.98:
	s_or_b32 exec_lo, exec_lo, s3
	v_and_b32_e32 v6, 0x7f800000, v70
	s_delay_alu instid0(VALU_DEP_1) | instskip(SKIP_1) | instid1(SALU_CYCLE_1)
	v_cmp_ne_u32_e32 vcc_lo, 0x7f800000, v6
                                        ; implicit-def: $vgpr6
	s_and_saveexec_b32 s3, vcc_lo
	s_xor_b32 s3, exec_lo, s3
; %bb.99:
	v_bfe_u32 v6, v70, 16, 1
	s_delay_alu instid0(VALU_DEP_1)
	v_add3_u32 v6, v70, v6, 0x7fff
; %bb.100:
	s_and_not1_saveexec_b32 s3, s3
; %bb.101:
	v_and_b32_e32 v6, 0xffff, v70
	v_or_b32_e32 v7, 0x10000, v70
	s_delay_alu instid0(VALU_DEP_2) | instskip(NEXT) | instid1(VALU_DEP_2)
	v_cmp_eq_u32_e32 vcc_lo, 0, v6
	v_cndmask_b32_e32 v6, v7, v70, vcc_lo
; %bb.102:
	s_or_b32 exec_lo, exec_lo, s3
	v_and_b32_e32 v7, 0x7f800000, v71
	s_delay_alu instid0(VALU_DEP_1) | instskip(SKIP_1) | instid1(SALU_CYCLE_1)
	v_cmp_ne_u32_e32 vcc_lo, 0x7f800000, v7
                                        ; implicit-def: $vgpr7
	s_and_saveexec_b32 s3, vcc_lo
	s_xor_b32 s3, exec_lo, s3
; %bb.103:
	v_bfe_u32 v7, v71, 16, 1
	s_delay_alu instid0(VALU_DEP_1)
	v_add3_u32 v7, v71, v7, 0x7fff
; %bb.104:
	s_and_not1_saveexec_b32 s3, s3
; %bb.105:
	v_and_b32_e32 v7, 0xffff, v71
	v_or_b32_e32 v8, 0x10000, v71
	s_delay_alu instid0(VALU_DEP_2) | instskip(NEXT) | instid1(VALU_DEP_2)
	v_cmp_eq_u32_e32 vcc_lo, 0, v7
	v_cndmask_b32_e32 v7, v8, v71, vcc_lo
; %bb.106:
	s_or_b32 exec_lo, exec_lo, s3
	v_and_b32_e32 v8, 0x7f800000, v72
	s_delay_alu instid0(VALU_DEP_1) | instskip(SKIP_1) | instid1(SALU_CYCLE_1)
	v_cmp_ne_u32_e32 vcc_lo, 0x7f800000, v8
                                        ; implicit-def: $vgpr8
	s_and_saveexec_b32 s3, vcc_lo
	s_xor_b32 s3, exec_lo, s3
; %bb.107:
	v_bfe_u32 v8, v72, 16, 1
	s_delay_alu instid0(VALU_DEP_1)
	v_add3_u32 v8, v72, v8, 0x7fff
                                        ; implicit-def: $vgpr65_vgpr66_vgpr67_vgpr68_vgpr69_vgpr70_vgpr71_vgpr72
; %bb.108:
	s_and_not1_saveexec_b32 s3, s3
; %bb.109:
	v_and_b32_e32 v8, 0xffff, v72
	v_or_b32_e32 v9, 0x10000, v72
	s_delay_alu instid0(VALU_DEP_2) | instskip(NEXT) | instid1(VALU_DEP_2)
	v_cmp_eq_u32_e32 vcc_lo, 0, v8
	v_cndmask_b32_e32 v8, v9, v72, vcc_lo
; %bb.110:
	s_or_b32 exec_lo, exec_lo, s3
	s_delay_alu instid0(VALU_DEP_1)
	v_perm_b32 v7, v8, v7, 0x7060302
	v_perm_b32 v6, v6, v5, 0x7060302
	;; [unrolled: 1-line block ×4, first 2 shown]
	s_barrier
	buffer_gl0_inv
	v_cmp_eq_u32_e32 vcc_lo, 1, v78
	ds_store_b128 v76, v[4:7]
	s_waitcnt lgkmcnt(0)
	s_barrier
	buffer_gl0_inv
	ds_load_b128 v[1:4], v82
	ds_load_b128 v[5:8], v82 offset:16
	v_cmp_eq_u32_e64 s3, 1, v79
	v_cmp_eq_u32_e64 s4, 2, v78
	;; [unrolled: 1-line block ×5, first 2 shown]
	s_waitcnt lgkmcnt(1)
	v_lshrrev_b32_e32 v9, 16, v1
	s_waitcnt lgkmcnt(0)
	v_lshrrev_b32_e32 v13, 16, v5
	v_lshrrev_b32_e32 v10, 16, v2
	;; [unrolled: 1-line block ×4, first 2 shown]
	v_cndmask_b32_e64 v19, v1, v9, s3
	v_cndmask_b32_e32 v18, v5, v13, vcc_lo
	v_cndmask_b32_e64 v20, v5, v13, s3
	v_cndmask_b32_e32 v17, v1, v9, vcc_lo
	v_cmp_eq_u32_e32 vcc_lo, 2, v79
	v_lshrrev_b32_e32 v15, 16, v7
	v_cmp_eq_u32_e64 s3, 1, v77
	v_lshrrev_b32_e32 v12, 16, v4
	v_lshrrev_b32_e32 v16, 16, v8
	v_cndmask_b32_e32 v20, v20, v6, vcc_lo
	v_cndmask_b32_e64 v17, v17, v2, s4
	v_cndmask_b32_e32 v19, v19, v2, vcc_lo
	v_cndmask_b32_e64 v18, v18, v6, s4
	v_cmp_eq_u32_e32 vcc_lo, 4, v78
	v_cmp_eq_u32_e64 s4, 3, v79
	v_cndmask_b32_e64 v17, v17, v10, s5
	v_cndmask_b32_e64 v21, v1, v9, s3
	;; [unrolled: 1-line block ×5, first 2 shown]
	v_cndmask_b32_e32 v17, v17, v3, vcc_lo
	v_cndmask_b32_e64 v20, v20, v14, s4
	v_cndmask_b32_e32 v18, v18, v7, vcc_lo
	v_cmp_eq_u32_e32 vcc_lo, 4, v79
	v_cmp_eq_u32_e64 s4, 5, v79
	v_cmp_eq_u32_e64 s3, 2, v81
	v_cndmask_b32_e64 v21, v21, v2, s7
	v_cmp_eq_u32_e64 s5, 5, v78
	v_cndmask_b32_e32 v19, v19, v3, vcc_lo
	v_cndmask_b32_e32 v20, v20, v7, vcc_lo
	v_cmp_eq_u32_e32 vcc_lo, 6, v79
	s_delay_alu instid0(VALU_DEP_4) | instskip(NEXT) | instid1(VALU_DEP_4)
	v_cndmask_b32_e64 v17, v17, v11, s5
	v_cndmask_b32_e64 v19, v19, v11, s4
	s_delay_alu instid0(VALU_DEP_4) | instskip(SKIP_1) | instid1(VALU_DEP_3)
	v_cndmask_b32_e64 v20, v20, v15, s4
	v_cmp_eq_u32_e64 s4, 1, v81
	v_cndmask_b32_e32 v19, v19, v4, vcc_lo
	v_cndmask_b32_e64 v18, v18, v15, s5
	s_delay_alu instid0(VALU_DEP_3)
	v_cndmask_b32_e64 v1, v1, v9, s4
	v_cndmask_b32_e64 v5, v5, v13, s4
	v_cmp_eq_u32_e64 s4, 3, v77
	v_cndmask_b32_e64 v13, v22, v6, s7
	v_cmp_eq_u32_e64 s7, 3, v81
	v_cndmask_b32_e64 v1, v1, v2, s3
	v_cndmask_b32_e64 v2, v5, v6, s3
	;; [unrolled: 1-line block ×3, first 2 shown]
	v_cmp_eq_u32_e64 s3, 4, v77
	v_cndmask_b32_e64 v6, v13, v14, s4
	v_cndmask_b32_e64 v1, v1, v10, s7
	v_cmp_eq_u32_e64 s4, 4, v81
	v_cndmask_b32_e64 v2, v2, v14, s7
	v_cndmask_b32_e64 v5, v9, v3, s3
	;; [unrolled: 3-line block ×3, first 2 shown]
	v_cndmask_b32_e64 v2, v2, v7, s4
	v_cmp_eq_u32_e64 s3, 5, v81
	v_cmp_eq_u32_e64 s5, 6, v78
	v_cndmask_b32_e64 v5, v5, v11, s7
	v_cmp_eq_u32_e64 s4, 6, v77
	v_cndmask_b32_e64 v3, v6, v15, s7
	v_cndmask_b32_e64 v1, v1, v11, s3
	v_cmp_eq_u32_e64 s7, 6, v81
	v_cndmask_b32_e64 v2, v2, v15, s3
	v_cndmask_b32_e64 v17, v17, v4, s5
	v_cndmask_b32_e64 v18, v18, v8, s5
	v_cmp_eq_u32_e64 s5, 7, v78
	v_cndmask_b32_e64 v5, v5, v4, s4
	;; [unrolled: 4-line block ×3, first 2 shown]
	v_cmp_eq_u32_e64 s4, 7, v77
	v_cndmask_b32_e32 v4, v20, v8, vcc_lo
	v_cndmask_b32_e64 v17, v17, v12, s5
	v_cndmask_b32_e64 v19, v19, v12, s6
	v_cndmask_b32_e64 v1, v1, v12, s3
	v_cndmask_b32_e64 v5, v5, v12, s4
	v_cndmask_b32_e64 v2, v2, v16, s3
	v_cndmask_b32_e64 v3, v3, v16, s4
	v_cndmask_b32_e64 v6, v4, v16, s6
	v_cndmask_b32_e64 v7, v18, v16, s5
	s_mov_b32 s3, exec_lo
	v_perm_b32 v4, v2, v1, 0x5040100
	v_perm_b32 v3, v3, v5, 0x5040100
	;; [unrolled: 1-line block ×4, first 2 shown]
	ds_store_b128 v76, v[1:4]
	s_waitcnt lgkmcnt(0)
	s_barrier
	buffer_gl0_inv
	v_cmpx_gt_u32_e32 32, v0
	s_cbranch_execz .LBB1820_2
; %bb.111:
	s_load_b64 s[4:5], s[0:1], 0x68
	v_add_nc_u32_e32 v20, s31, v74
	v_lshlrev_b32_e32 v0, 10, v0
	v_lshlrev_b32_e32 v1, 4, v75
	s_lshl_b32 s0, s34, 7
	s_delay_alu instid0(SALU_CYCLE_1)
	s_mul_i32 s1, s0, s30
	v_add_nc_u32_e32 v2, 2, v20
	s_mul_i32 s6, s1, s8
	v_and_or_b32 v0, 0x3800, v0, v1
	v_mul_lo_u32 v1, v20, s0
	s_ashr_i32 s7, s6, 31
	v_mul_lo_u32 v11, v2, s0
	s_lshl_b64 s[6:7], s[6:7], 1
	v_add_nc_u32_e32 v3, 4, v20
	v_lshl_or_b32 v21, v74, 6, v0
	v_add_nc_u32_e32 v16, 6, v20
	v_ashrrev_i32_e32 v2, 31, v1
	s_delay_alu instid0(VALU_DEP_4)
	v_mul_lo_u32 v13, v3, s0
	s_waitcnt lgkmcnt(0)
	s_add_u32 s1, s4, s6
	s_addc_u32 s3, s5, s7
	s_lshl_b32 s4, s14, 7
	ds_load_b128 v[3:6], v21
	ds_load_b128 v[7:10], v21 offset:128
	s_ashr_i32 s5, s4, 31
	v_ashrrev_i32_e32 v12, 31, v11
	s_lshl_b64 s[4:5], s[4:5], 1
	v_lshlrev_b64 v[14:15], 1, v[1:2]
	s_add_u32 s1, s1, s4
	s_addc_u32 s3, s3, s5
	v_add_co_u32 v1, s1, s1, v73
	s_delay_alu instid0(VALU_DEP_1) | instskip(SKIP_1) | instid1(VALU_DEP_3)
	v_add_co_ci_u32_e64 v2, null, s3, 0, s1
	v_lshlrev_b64 v[11:12], 1, v[11:12]
	v_add_co_u32 v18, vcc_lo, v1, v14
	v_mul_lo_u32 v16, v16, s0
	s_delay_alu instid0(VALU_DEP_4) | instskip(NEXT) | instid1(VALU_DEP_4)
	v_add_co_ci_u32_e32 v19, vcc_lo, v2, v15, vcc_lo
	v_add_co_u32 v11, vcc_lo, v1, v11
	v_ashrrev_i32_e32 v14, 31, v13
	v_add_co_ci_u32_e32 v12, vcc_lo, v2, v12, vcc_lo
	v_add_nc_u32_e32 v15, 8, v20
	v_ashrrev_i32_e32 v17, 31, v16
	s_waitcnt lgkmcnt(1)
	global_store_b128 v[18:19], v[3:6], off
	v_lshlrev_b64 v[3:4], 1, v[13:14]
	s_waitcnt lgkmcnt(0)
	global_store_b128 v[11:12], v[7:10], off
	v_mul_lo_u32 v11, v15, s0
	v_add_nc_u32_e32 v7, 10, v20
	v_lshlrev_b64 v[5:6], 1, v[16:17]
	v_add_co_u32 v23, vcc_lo, v1, v3
	v_add_nc_u32_e32 v3, 12, v20
	s_delay_alu instid0(VALU_DEP_4)
	v_mul_lo_u32 v25, v7, s0
	v_ashrrev_i32_e32 v12, 31, v11
	v_add_co_ci_u32_e32 v24, vcc_lo, v2, v4, vcc_lo
	v_add_co_u32 v27, vcc_lo, v1, v5
	v_mul_lo_u32 v29, v3, s0
	v_add_co_ci_u32_e32 v28, vcc_lo, v2, v6, vcc_lo
	ds_load_b128 v[3:6], v21 offset:256
	ds_load_b128 v[7:10], v21 offset:384
	v_lshlrev_b64 v[31:32], 1, v[11:12]
	ds_load_b128 v[11:14], v21 offset:512
	ds_load_b128 v[15:18], v21 offset:640
	;; [unrolled: 1-line block ×3, first 2 shown]
	v_ashrrev_i32_e32 v26, 31, v25
	v_ashrrev_i32_e32 v30, 31, v29
	v_add_co_u32 v31, vcc_lo, v1, v31
	s_delay_alu instid0(VALU_DEP_3) | instskip(NEXT) | instid1(VALU_DEP_3)
	v_lshlrev_b64 v[25:26], 1, v[25:26]
	v_lshlrev_b64 v[29:30], 1, v[29:30]
	v_add_co_ci_u32_e32 v32, vcc_lo, v2, v32, vcc_lo
	s_delay_alu instid0(VALU_DEP_3) | instskip(NEXT) | instid1(VALU_DEP_4)
	v_add_co_u32 v25, vcc_lo, v1, v25
	v_add_co_ci_u32_e32 v26, vcc_lo, v2, v26, vcc_lo
	s_delay_alu instid0(VALU_DEP_4)
	v_add_co_u32 v29, vcc_lo, v1, v29
	v_add_co_ci_u32_e32 v30, vcc_lo, v2, v30, vcc_lo
	s_waitcnt lgkmcnt(4)
	global_store_b128 v[23:24], v[3:6], off
	s_waitcnt lgkmcnt(3)
	global_store_b128 v[27:28], v[7:10], off
	;; [unrolled: 2-line block ×5, first 2 shown]
	s_and_b32 exec_lo, exec_lo, s2
	s_cbranch_execz .LBB1820_2
; %bb.112:
	ds_load_b128 v[3:6], v0 offset:896
	s_add_i32 s1, s31, 14
	s_delay_alu instid0(SALU_CYCLE_1) | instskip(NEXT) | instid1(SALU_CYCLE_1)
	s_mul_i32 s0, s1, s0
	s_ashr_i32 s1, s0, 31
	s_delay_alu instid0(SALU_CYCLE_1) | instskip(NEXT) | instid1(SALU_CYCLE_1)
	s_lshl_b64 s[0:1], s[0:1], 1
	v_add_co_u32 v0, vcc_lo, v1, s0
	v_add_co_ci_u32_e32 v1, vcc_lo, s1, v2, vcc_lo
	s_waitcnt lgkmcnt(0)
	global_store_b128 v[0:1], v[3:6], off
	s_nop 0
	s_sendmsg sendmsg(MSG_DEALLOC_VGPRS)
	s_endpgm
	.section	.rodata,"a",@progbits
	.p2align	6, 0x0
	.amdhsa_kernel _Z39paged_attention_ll4mi_QKV_mfma16_kernelI14__hip_bfloat16hLN4vllm18Fp8KVCacheDataTypeE1EhLi16ELi128ELi256ELb0ELi15EL8MFMAType0EEvPKT_PKT0_S9_ifPKiSB_SB_iPKfiiiPfSE_PS4_PT2_iSD_SD_
		.amdhsa_group_segment_fixed_size 17472
		.amdhsa_private_segment_fixed_size 0
		.amdhsa_kernarg_size 400
		.amdhsa_user_sgpr_count 13
		.amdhsa_user_sgpr_dispatch_ptr 0
		.amdhsa_user_sgpr_queue_ptr 0
		.amdhsa_user_sgpr_kernarg_segment_ptr 1
		.amdhsa_user_sgpr_dispatch_id 0
		.amdhsa_user_sgpr_private_segment_size 0
		.amdhsa_wavefront_size32 1
		.amdhsa_uses_dynamic_stack 0
		.amdhsa_enable_private_segment 0
		.amdhsa_system_sgpr_workgroup_id_x 1
		.amdhsa_system_sgpr_workgroup_id_y 1
		.amdhsa_system_sgpr_workgroup_id_z 1
		.amdhsa_system_sgpr_workgroup_info 0
		.amdhsa_system_vgpr_workitem_id 0
		.amdhsa_next_free_vgpr 140
		.amdhsa_next_free_sgpr 36
		.amdhsa_reserve_vcc 1
		.amdhsa_float_round_mode_32 0
		.amdhsa_float_round_mode_16_64 0
		.amdhsa_float_denorm_mode_32 3
		.amdhsa_float_denorm_mode_16_64 3
		.amdhsa_dx10_clamp 1
		.amdhsa_ieee_mode 1
		.amdhsa_fp16_overflow 0
		.amdhsa_workgroup_processor_mode 1
		.amdhsa_memory_ordered 1
		.amdhsa_forward_progress 0
		.amdhsa_shared_vgpr_count 0
		.amdhsa_exception_fp_ieee_invalid_op 0
		.amdhsa_exception_fp_denorm_src 0
		.amdhsa_exception_fp_ieee_div_zero 0
		.amdhsa_exception_fp_ieee_overflow 0
		.amdhsa_exception_fp_ieee_underflow 0
		.amdhsa_exception_fp_ieee_inexact 0
		.amdhsa_exception_int_div_zero 0
	.end_amdhsa_kernel
	.section	.text._Z39paged_attention_ll4mi_QKV_mfma16_kernelI14__hip_bfloat16hLN4vllm18Fp8KVCacheDataTypeE1EhLi16ELi128ELi256ELb0ELi15EL8MFMAType0EEvPKT_PKT0_S9_ifPKiSB_SB_iPKfiiiPfSE_PS4_PT2_iSD_SD_,"axG",@progbits,_Z39paged_attention_ll4mi_QKV_mfma16_kernelI14__hip_bfloat16hLN4vllm18Fp8KVCacheDataTypeE1EhLi16ELi128ELi256ELb0ELi15EL8MFMAType0EEvPKT_PKT0_S9_ifPKiSB_SB_iPKfiiiPfSE_PS4_PT2_iSD_SD_,comdat
.Lfunc_end1820:
	.size	_Z39paged_attention_ll4mi_QKV_mfma16_kernelI14__hip_bfloat16hLN4vllm18Fp8KVCacheDataTypeE1EhLi16ELi128ELi256ELb0ELi15EL8MFMAType0EEvPKT_PKT0_S9_ifPKiSB_SB_iPKfiiiPfSE_PS4_PT2_iSD_SD_, .Lfunc_end1820-_Z39paged_attention_ll4mi_QKV_mfma16_kernelI14__hip_bfloat16hLN4vllm18Fp8KVCacheDataTypeE1EhLi16ELi128ELi256ELb0ELi15EL8MFMAType0EEvPKT_PKT0_S9_ifPKiSB_SB_iPKfiiiPfSE_PS4_PT2_iSD_SD_
                                        ; -- End function
	.section	.AMDGPU.csdata,"",@progbits
; Kernel info:
; codeLenInByte = 9152
; NumSgprs: 38
; NumVgprs: 140
; ScratchSize: 0
; MemoryBound: 0
; FloatMode: 240
; IeeeMode: 1
; LDSByteSize: 17472 bytes/workgroup (compile time only)
; SGPRBlocks: 4
; VGPRBlocks: 17
; NumSGPRsForWavesPerEU: 38
; NumVGPRsForWavesPerEU: 140
; Occupancy: 10
; WaveLimiterHint : 1
; COMPUTE_PGM_RSRC2:SCRATCH_EN: 0
; COMPUTE_PGM_RSRC2:USER_SGPR: 13
; COMPUTE_PGM_RSRC2:TRAP_HANDLER: 0
; COMPUTE_PGM_RSRC2:TGID_X_EN: 1
; COMPUTE_PGM_RSRC2:TGID_Y_EN: 1
; COMPUTE_PGM_RSRC2:TGID_Z_EN: 1
; COMPUTE_PGM_RSRC2:TIDIG_COMP_CNT: 0
	.section	.text._Z39paged_attention_ll4mi_QKV_mfma16_kernelI14__hip_bfloat16hLN4vllm18Fp8KVCacheDataTypeE1EhLi16ELi128ELi256ELb0ELi16EL8MFMAType0EEvPKT_PKT0_S9_ifPKiSB_SB_iPKfiiiPfSE_PS4_PT2_iSD_SD_,"axG",@progbits,_Z39paged_attention_ll4mi_QKV_mfma16_kernelI14__hip_bfloat16hLN4vllm18Fp8KVCacheDataTypeE1EhLi16ELi128ELi256ELb0ELi16EL8MFMAType0EEvPKT_PKT0_S9_ifPKiSB_SB_iPKfiiiPfSE_PS4_PT2_iSD_SD_,comdat
	.protected	_Z39paged_attention_ll4mi_QKV_mfma16_kernelI14__hip_bfloat16hLN4vllm18Fp8KVCacheDataTypeE1EhLi16ELi128ELi256ELb0ELi16EL8MFMAType0EEvPKT_PKT0_S9_ifPKiSB_SB_iPKfiiiPfSE_PS4_PT2_iSD_SD_ ; -- Begin function _Z39paged_attention_ll4mi_QKV_mfma16_kernelI14__hip_bfloat16hLN4vllm18Fp8KVCacheDataTypeE1EhLi16ELi128ELi256ELb0ELi16EL8MFMAType0EEvPKT_PKT0_S9_ifPKiSB_SB_iPKfiiiPfSE_PS4_PT2_iSD_SD_
	.globl	_Z39paged_attention_ll4mi_QKV_mfma16_kernelI14__hip_bfloat16hLN4vllm18Fp8KVCacheDataTypeE1EhLi16ELi128ELi256ELb0ELi16EL8MFMAType0EEvPKT_PKT0_S9_ifPKiSB_SB_iPKfiiiPfSE_PS4_PT2_iSD_SD_
	.p2align	8
	.type	_Z39paged_attention_ll4mi_QKV_mfma16_kernelI14__hip_bfloat16hLN4vllm18Fp8KVCacheDataTypeE1EhLi16ELi128ELi256ELb0ELi16EL8MFMAType0EEvPKT_PKT0_S9_ifPKiSB_SB_iPKfiiiPfSE_PS4_PT2_iSD_SD_,@function
_Z39paged_attention_ll4mi_QKV_mfma16_kernelI14__hip_bfloat16hLN4vllm18Fp8KVCacheDataTypeE1EhLi16ELi128ELi256ELb0ELi16EL8MFMAType0EEvPKT_PKT0_S9_ifPKiSB_SB_iPKfiiiPfSE_PS4_PT2_iSD_SD_: ; @_Z39paged_attention_ll4mi_QKV_mfma16_kernelI14__hip_bfloat16hLN4vllm18Fp8KVCacheDataTypeE1EhLi16ELi128ELi256ELb0ELi16EL8MFMAType0EEvPKT_PKT0_S9_ifPKiSB_SB_iPKfiiiPfSE_PS4_PT2_iSD_SD_
; %bb.0:
	s_load_b64 s[4:5], s[0:1], 0x30
	s_mov_b32 s30, s13
	s_waitcnt lgkmcnt(0)
	s_cmp_lg_u64 s[4:5], 0
	s_cselect_b32 s8, -1, 0
	s_ashr_i32 s31, s13, 31
	s_cmp_eq_u64 s[4:5], 0
	s_cbranch_scc1 .LBB1821_3
; %bb.1:
	s_lshl_b64 s[2:3], s[30:31], 2
	s_delay_alu instid0(SALU_CYCLE_1) | instskip(SKIP_4) | instid1(SALU_CYCLE_1)
	s_add_u32 s2, s4, s2
	s_addc_u32 s3, s5, s3
	s_load_b64 s[2:3], s[2:3], 0x0
	s_waitcnt lgkmcnt(0)
	s_sub_i32 s2, s3, s2
	s_cmp_eq_u32 s2, 1
	s_cselect_b32 s2, -1, 0
	s_delay_alu instid0(SALU_CYCLE_1)
	s_and_not1_b32 vcc_lo, exec_lo, s2
	s_cbranch_vccz .LBB1821_4
.LBB1821_2:
	s_endpgm
.LBB1821_3:
.LBB1821_4:
	s_load_b64 s[2:3], s[0:1], 0x28
	s_lshl_b64 s[6:7], s[30:31], 2
	s_waitcnt lgkmcnt(0)
	s_add_u32 s2, s2, s6
	s_addc_u32 s3, s3, s7
	s_lshl_b32 s12, s14, 8
	s_load_b32 s24, s[2:3], 0x0
	s_waitcnt lgkmcnt(0)
	s_cmp_ge_i32 s12, s24
	s_cbranch_scc1 .LBB1821_2
; %bb.5:
	s_clause 0x1
	s_load_b128 s[20:23], s[0:1], 0x8
	s_load_b64 s[2:3], s[0:1], 0x20
	s_and_not1_b32 vcc_lo, exec_lo, s8
	s_cbranch_vccnz .LBB1821_7
; %bb.6:
	s_add_u32 s4, s4, s6
	s_addc_u32 s5, s5, s7
	s_load_b32 s5, s[4:5], 0x0
	s_branch .LBB1821_8
.LBB1821_7:
	s_mov_b32 s5, s30
.LBB1821_8:
	s_load_b128 s[16:19], s[0:1], 0x48
	v_and_b32_e32 v66, 15, v0
	v_lshrrev_b32_e32 v65, 5, v0
	v_and_b32_e32 v67, 31, v0
	v_and_b32_e32 v75, 1, v0
	v_bfe_u32 v74, v0, 4, 1
	v_lshlrev_b32_e32 v1, 3, v66
	s_lshl_b32 s29, s15, 4
	s_mov_b32 s4, exec_lo
	s_delay_alu instid0(VALU_DEP_1)
	v_lshlrev_b32_e32 v73, 1, v1
	v_cmpx_gt_u32_e32 0x100, v0
	s_cbranch_execz .LBB1821_10
; %bb.9:
	v_lshl_or_b32 v5, v65, 1, v74
	s_load_b64 s[6:7], s[0:1], 0x0
	s_waitcnt lgkmcnt(0)
	s_mul_hi_i32 s9, s5, s16
	s_mul_i32 s8, s5, s16
	v_lshlrev_b32_e32 v6, 10, v66
	v_or_b32_e32 v1, s29, v5
	s_lshl_b64 s[8:9], s[8:9], 1
	v_lshlrev_b32_e32 v5, 6, v5
	v_lshlrev_b32_e32 v7, 10, v75
	v_and_b32_e32 v6, 0x3800, v6
	v_lshlrev_b32_e32 v1, 7, v1
	s_delay_alu instid0(VALU_DEP_2) | instskip(NEXT) | instid1(VALU_DEP_2)
	v_or3_b32 v5, v6, v7, v5
	v_ashrrev_i32_e32 v2, 31, v1
	s_delay_alu instid0(VALU_DEP_1) | instskip(SKIP_2) | instid1(VALU_DEP_1)
	v_lshlrev_b64 v[1:2], 1, v[1:2]
	s_add_u32 s5, s6, s8
	s_addc_u32 s6, s7, s9
	v_add_co_u32 v1, vcc_lo, s5, v1
	s_delay_alu instid0(VALU_DEP_2) | instskip(NEXT) | instid1(VALU_DEP_2)
	v_add_co_ci_u32_e32 v2, vcc_lo, s6, v2, vcc_lo
	v_add_co_u32 v1, vcc_lo, v1, v73
	s_delay_alu instid0(VALU_DEP_2)
	v_add_co_ci_u32_e32 v2, vcc_lo, 0, v2, vcc_lo
	global_load_b128 v[1:4], v[1:2], off
	s_waitcnt vmcnt(0)
	ds_store_b128 v5, v[1:4]
.LBB1821_10:
	s_or_b32 exec_lo, exec_lo, s4
	v_and_b32_e32 v1, 0xef, v0
	s_waitcnt lgkmcnt(0)
	s_add_i32 s5, s24, 15
	s_clause 0x1
	s_load_b32 s4, s[0:1], 0x38
	s_load_b32 s19, s[0:1], 0x1c
	s_ashr_i32 s6, s5, 31
	v_add_nc_u32_e32 v1, s12, v1
	s_lshr_b32 s6, s6, 28
	s_waitcnt lgkmcnt(0)
	s_add_i32 s5, s5, s6
	s_barrier
	v_ashrrev_i32_e32 v2, 31, v1
	v_or_b32_e32 v3, 16, v1
	s_ashr_i32 s13, s5, 4
	v_cmp_gt_i32_e32 vcc_lo, s24, v1
	s_add_i32 s13, s13, -1
	v_lshrrev_b32_e32 v2, 28, v2
	buffer_gl0_inv
	s_mul_i32 s15, s15, s18
	v_lshlrev_b32_e32 v41, 4, v66
	v_add_nc_u32_e32 v4, v1, v2
	s_mul_i32 s4, s30, s4
	s_delay_alu instid0(VALU_DEP_2) | instskip(SKIP_1) | instid1(VALU_DEP_2)
	v_lshl_or_b32 v41, v65, 8, v41
	s_ashr_i32 s5, s4, 31
	v_ashrrev_i32_e32 v4, 4, v4
	v_add_nc_u32_e32 v2, v3, v2
	s_lshl_b64 s[4:5], s[4:5], 2
	s_delay_alu instid0(SALU_CYCLE_1) | instskip(NEXT) | instid1(VALU_DEP_2)
	s_add_u32 s16, s2, s4
	v_cndmask_b32_e32 v1, s13, v4, vcc_lo
	s_delay_alu instid0(VALU_DEP_2)
	v_ashrrev_i32_e32 v2, 4, v2
	v_cmp_gt_i32_e32 vcc_lo, s24, v3
	s_addc_u32 s25, s3, s5
	s_ashr_i32 s18, s15, 31
	s_add_u32 s26, s20, s15
	s_addc_u32 s27, s21, s18
	v_cndmask_b32_e32 v3, s13, v2, vcc_lo
	v_ashrrev_i32_e32 v2, 31, v1
	s_lshl_b32 s2, s14, 4
	s_delay_alu instid0(SALU_CYCLE_1) | instskip(NEXT) | instid1(VALU_DEP_2)
	s_ashr_i32 s3, s2, 31
	v_ashrrev_i32_e32 v4, 31, v3
	s_delay_alu instid0(VALU_DEP_2) | instskip(SKIP_1) | instid1(SALU_CYCLE_1)
	v_lshlrev_b64 v[1:2], 2, v[1:2]
	s_lshl_b64 s[2:3], s[2:3], 2
	s_add_u32 s2, s16, s2
	s_delay_alu instid0(VALU_DEP_2) | instskip(SKIP_1) | instid1(VALU_DEP_2)
	v_lshlrev_b64 v[3:4], 2, v[3:4]
	s_addc_u32 s3, s25, s3
	v_add_co_u32 v1, vcc_lo, s16, v1
	v_add_co_ci_u32_e32 v2, vcc_lo, s25, v2, vcc_lo
	s_delay_alu instid0(VALU_DEP_3) | instskip(NEXT) | instid1(VALU_DEP_4)
	v_add_co_u32 v3, vcc_lo, s16, v3
	v_add_co_ci_u32_e32 v4, vcc_lo, s25, v4, vcc_lo
	s_clause 0x1
	global_load_b32 v5, v[1:2], off
	global_load_b32 v3, v[3:4], off
	s_or_b32 s4, s12, 32
	v_lshlrev_b32_e32 v1, 4, v0
	s_ashr_i32 s5, s4, 4
	s_cmp_lt_i32 s4, s24
	s_cselect_b32 s4, s5, s13
	s_delay_alu instid0(VALU_DEP_1) | instskip(SKIP_1) | instid1(SALU_CYCLE_1)
	v_and_b32_e32 v1, 0xf0, v1
	s_ashr_i32 s5, s4, 31
	s_lshl_b64 s[4:5], s[4:5], 2
	s_delay_alu instid0(SALU_CYCLE_1)
	s_add_u32 s4, s16, s4
	s_addc_u32 s5, s25, s5
	s_or_b32 s6, s12, 64
	v_add_co_u32 v1, s26, s26, v1
	s_ashr_i32 s7, s6, 4
	s_cmp_lt_i32 s6, s24
	v_add_co_ci_u32_e64 v2, null, s27, 0, s26
	s_cselect_b32 s6, s7, s13
	s_delay_alu instid0(SALU_CYCLE_1) | instskip(NEXT) | instid1(SALU_CYCLE_1)
	s_ashr_i32 s7, s6, 31
	s_lshl_b64 s[6:7], s[6:7], 2
	s_delay_alu instid0(SALU_CYCLE_1) | instskip(SKIP_2) | instid1(SALU_CYCLE_1)
	s_add_u32 s6, s16, s6
	s_addc_u32 s7, s25, s7
	s_or_b32 s8, s12, 0x60
	s_ashr_i32 s9, s8, 4
	s_cmp_lt_i32 s8, s24
	s_cselect_b32 s8, s9, s13
	s_delay_alu instid0(SALU_CYCLE_1) | instskip(NEXT) | instid1(SALU_CYCLE_1)
	s_ashr_i32 s9, s8, 31
	s_lshl_b64 s[8:9], s[8:9], 2
	s_delay_alu instid0(SALU_CYCLE_1) | instskip(SKIP_2) | instid1(SALU_CYCLE_1)
	s_add_u32 s8, s16, s8
	s_addc_u32 s9, s25, s9
	s_or_b32 s10, s12, 0x80
	s_ashr_i32 s11, s10, 4
	s_cmp_lt_i32 s10, s24
	;; [unrolled: 10-line block ×3, first 2 shown]
	s_cselect_b32 s20, s21, s13
	s_delay_alu instid0(SALU_CYCLE_1) | instskip(NEXT) | instid1(SALU_CYCLE_1)
	s_ashr_i32 s21, s20, 31
	s_lshl_b64 s[20:21], s[20:21], 2
	s_delay_alu instid0(SALU_CYCLE_1)
	s_add_u32 s20, s16, s20
	s_addc_u32 s21, s25, s21
	s_clause 0x5
	s_load_b32 s26, s[2:3], 0x0
	s_load_b32 s27, s[4:5], 0x0
	;; [unrolled: 1-line block ×6, first 2 shown]
	s_or_b32 s2, s12, 0xc0
	s_mov_b32 s4, 0
	s_ashr_i32 s3, s2, 4
	s_cmp_lt_i32 s2, s24
	s_mov_b32 s11, s4
	s_cselect_b32 s2, s3, s13
	s_mov_b32 s5, s4
	s_ashr_i32 s3, s2, 31
	s_mov_b32 s6, s4
	s_lshl_b64 s[2:3], s[2:3], 2
	s_mov_b32 s7, s4
	s_add_u32 s2, s16, s2
	s_mov_b32 s8, s4
	s_mov_b32 s9, s4
	;; [unrolled: 1-line block ×3, first 2 shown]
	s_addc_u32 s3, s25, s3
	s_or_b32 s21, s12, 0xe0
	v_mov_b32_e32 v108, s11
	v_mov_b32_e32 v102, s5
	v_dual_mov_b32 v105, s8 :: v_dual_lshlrev_b32 v76, 6, v66
	v_dual_mov_b32 v107, s10 :: v_dual_mov_b32 v106, s9
	v_dual_mov_b32 v104, s7 :: v_dual_mov_b32 v103, s6
	v_mov_b32_e32 v101, s4
	s_ashr_i32 s4, s21, 4
	s_cmp_lt_i32 s21, s24
	s_cselect_b32 s4, s4, s13
	s_delay_alu instid0(SALU_CYCLE_1) | instskip(NEXT) | instid1(SALU_CYCLE_1)
	s_ashr_i32 s5, s4, 31
	s_lshl_b64 s[4:5], s[4:5], 2
	s_waitcnt vmcnt(1)
	v_mad_i64_i32 v[33:34], null, v5, s17, v[1:2]
	s_waitcnt vmcnt(0)
	v_mad_i64_i32 v[35:36], null, v3, s17, v[1:2]
	s_clause 0xf
	global_load_b128 v[1:4], v[33:34], off
	global_load_b128 v[5:8], v[33:34], off offset:256
	global_load_b128 v[9:12], v[35:36], off
	global_load_b128 v[13:16], v[35:36], off offset:256
	global_load_b128 v[17:20], v[33:34], off offset:512
	;; [unrolled: 1-line block ×13, first 2 shown]
	ds_load_b128 v[33:36], v76
	ds_load_b128 v[37:40], v76 offset:1024
	ds_load_b128 v[109:112], v76 offset:2048
	;; [unrolled: 1-line block ×3, first 2 shown]
	s_load_b32 s6, s[2:3], 0x0
	s_add_u32 s2, s16, s4
	s_addc_u32 s3, s25, s5
	ds_load_b128 v[117:120], v76 offset:4096
	ds_load_b128 v[121:124], v76 offset:5120
	s_load_b32 s2, s[2:3], 0x0
	s_add_u32 s4, s22, s15
	s_addc_u32 s5, s23, s18
	v_add_co_u32 v68, s4, s4, v41
	s_delay_alu instid0(VALU_DEP_1) | instskip(SKIP_1) | instid1(VALU_DEP_1)
	v_add_co_ci_u32_e64 v69, null, s5, 0, s4
	s_waitcnt lgkmcnt(0)
	v_mad_i64_i32 v[41:42], null, s26, s17, v[68:69]
	v_mad_i64_i32 v[70:71], null, s28, s17, v[68:69]
	;; [unrolled: 1-line block ×7, first 2 shown]
	s_clause 0x3
	global_load_b128 v[49:52], v[41:42], off
	global_load_b128 v[53:56], v[41:42], off offset:16
	global_load_b128 v[41:44], v[45:46], off
	global_load_b128 v[45:48], v[45:46], off offset:16
	s_waitcnt vmcnt(18)
	v_wmma_f32_16x16x16_bf16 v[125:132], v[1:8], v[33:40], v[101:108]
	s_waitcnt vmcnt(16)
	v_wmma_f32_16x16x16_bf16 v[101:108], v[9:16], v[33:40], v[101:108]
	s_clause 0x1
	global_load_b128 v[33:36], v[70:71], off
	global_load_b128 v[37:40], v[70:71], off offset:16
	v_mad_i64_i32 v[70:71], null, s2, s17, v[68:69]
	s_waitcnt vmcnt(16)
	v_wmma_f32_16x16x16_bf16 v[125:132], v[17:24], v[109:116], v[125:132]
	s_waitcnt vmcnt(14)
	v_wmma_f32_16x16x16_bf16 v[101:108], v[25:32], v[109:116], v[101:108]
	s_clause 0x7
	global_load_b128 v[25:28], v[133:134], off
	global_load_b128 v[29:32], v[133:134], off offset:16
	global_load_b128 v[1:4], v[135:136], off
	global_load_b128 v[5:8], v[135:136], off offset:16
	;; [unrolled: 2-line block ×4, first 2 shown]
	s_waitcnt vmcnt(20)
	v_wmma_f32_16x16x16_bf16 v[125:132], v[57:64], v[117:124], v[125:132]
	s_clause 0x1
	global_load_b128 v[57:60], v[70:71], off
	global_load_b128 v[61:64], v[70:71], off offset:16
	s_waitcnt vmcnt(20)
	v_wmma_f32_16x16x16_bf16 v[101:108], v[77:84], v[117:124], v[101:108]
	ds_load_b128 v[77:80], v76 offset:6144
	ds_load_b128 v[81:84], v76 offset:7168
	v_and_b32_e32 v68, 0xe0, v0
	v_mbcnt_lo_u32_b32 v69, -1, 0
	s_waitcnt vmcnt(0) lgkmcnt(0)
	s_barrier
	buffer_gl0_inv
	v_add_nc_u32_e32 v68, s12, v68
	v_xor_b32_e32 v70, 16, v69
	s_delay_alu instid0(VALU_DEP_2) | instskip(NEXT) | instid1(VALU_DEP_2)
	v_or_b32_e32 v68, v68, v74
	v_cmp_gt_i32_e32 vcc_lo, 32, v70
	s_delay_alu instid0(VALU_DEP_2)
	v_or_b32_e32 v71, 4, v68
	v_or_b32_e32 v72, 6, v68
	v_cmp_gt_i32_e64 s2, s24, v68
	v_or_b32_e32 v109, 8, v68
	v_wmma_f32_16x16x16_bf16 v[125:132], v[85:92], v[77:84], v[125:132]
	v_cndmask_b32_e32 v69, v69, v70, vcc_lo
	v_or_b32_e32 v70, 2, v68
	v_wmma_f32_16x16x16_bf16 v[101:108], v[93:100], v[77:84], v[101:108]
	v_or_b32_e32 v85, 10, v68
	v_dual_mul_f32 v84, s19, v128 :: v_dual_mul_f32 v83, s19, v129
	v_dual_mul_f32 v94, s19, v126 :: v_dual_mul_f32 v95, s19, v125
	s_delay_alu instid0(VALU_DEP_4) | instskip(SKIP_2) | instid1(VALU_DEP_4)
	v_mul_f32_e32 v98, s19, v106
	v_cmp_gt_i32_e32 vcc_lo, s24, v70
	v_dual_mul_f32 v93, s19, v127 :: v_dual_mul_f32 v96, s19, v108
	v_cndmask_b32_e64 v95, 0xff7fffff, v95, s2
	v_cmp_gt_i32_e64 s3, s24, v71
	v_cndmask_b32_e32 v94, 0xff7fffff, v94, vcc_lo
	v_cmp_gt_i32_e64 s4, s24, v72
	v_or_b32_e32 v86, 12, v68
	v_or_b32_e32 v87, 14, v68
	v_dual_mul_f32 v81, s19, v131 :: v_dual_mul_f32 v82, s19, v130
	v_cndmask_b32_e64 v93, 0xff7fffff, v93, s3
	v_cndmask_b32_e64 v72, 0xff7fffff, v84, s4
	v_max3_f32 v84, v95, 0xff7fffff, v94
	v_cmp_gt_i32_e64 s5, s24, v109
	v_cmp_gt_i32_e64 s6, s24, v85
	v_or_b32_e32 v88, 16, v68
	v_or_b32_e32 v89, 18, v68
	v_mul_f32_e32 v80, s19, v132
	v_cndmask_b32_e64 v83, 0xff7fffff, v83, s5
	v_cndmask_b32_e64 v82, 0xff7fffff, v82, s6
	v_max3_f32 v72, v84, v93, v72
	v_cmp_gt_i32_e64 s7, s24, v86
	v_cmp_gt_i32_e64 s8, s24, v87
	v_or_b32_e32 v90, 20, v68
	v_or_b32_e32 v91, 22, v68
	;; [unrolled: 1-line block ×6, first 2 shown]
	v_dual_mul_f32 v68, s19, v102 :: v_dual_mul_f32 v71, s19, v101
	v_cndmask_b32_e64 v81, 0xff7fffff, v81, s7
	v_cndmask_b32_e64 v80, 0xff7fffff, v80, s8
	v_max3_f32 v72, v72, v83, v82
	v_cmp_gt_i32_e64 s9, s24, v88
	v_cmp_gt_i32_e64 s10, s24, v89
	v_dual_mul_f32 v97, s19, v107 :: v_dual_mul_f32 v100, s19, v104
	v_dual_mul_f32 v99, s19, v105 :: v_dual_mul_f32 v70, s19, v103
	s_delay_alu instid0(VALU_DEP_4) | instskip(NEXT) | instid1(VALU_DEP_4)
	v_cndmask_b32_e64 v71, 0xff7fffff, v71, s9
	v_cndmask_b32_e64 v68, 0xff7fffff, v68, s10
	v_max3_f32 v72, v72, v81, v80
	v_cmp_gt_i32_e64 s11, s24, v90
	v_cmp_gt_i32_e64 s12, s24, v91
	;; [unrolled: 1-line block ×4, first 2 shown]
	v_max3_f32 v68, v72, v71, v68
	v_cndmask_b32_e64 v70, 0xff7fffff, v70, s11
	v_cndmask_b32_e64 v80, 0xff7fffff, v100, s12
	;; [unrolled: 1-line block ×4, first 2 shown]
	v_cmp_gt_i32_e64 s16, s24, v78
	v_cmp_gt_i32_e64 s17, s24, v79
	v_max3_f32 v68, v68, v70, v80
	v_lshlrev_b32_e32 v90, 2, v69
	s_delay_alu instid0(VALU_DEP_4) | instskip(NEXT) | instid1(VALU_DEP_4)
	v_cndmask_b32_e64 v70, 0xff7fffff, v97, s16
	v_cndmask_b32_e64 v77, 0xff7fffff, v96, s17
	s_delay_alu instid0(VALU_DEP_4) | instskip(NEXT) | instid1(VALU_DEP_1)
	v_max3_f32 v68, v68, v71, v72
	v_max3_f32 v68, v68, v70, v77
	ds_bpermute_b32 v69, v90, v68
	s_waitcnt lgkmcnt(0)
	v_max_f32_e32 v69, v69, v69
	s_delay_alu instid0(VALU_DEP_1) | instskip(NEXT) | instid1(VALU_DEP_1)
	v_max_f32_e32 v81, v68, v69
	v_fma_f32 v68, s19, v125, -v81
	s_delay_alu instid0(VALU_DEP_1)
	v_mul_f32_e32 v68, 0x3fb8aa3b, v68
	v_fma_f32 v69, s19, v126, -v81
	v_fma_f32 v71, s19, v128, -v81
	v_fma_f32 v72, s19, v129, -v81
	v_fma_f32 v70, s19, v127, -v81
	v_exp_f32_e32 v68, v68
	v_mul_f32_e32 v69, 0x3fb8aa3b, v69
	s_delay_alu instid0(VALU_DEP_3) | instskip(NEXT) | instid1(VALU_DEP_3)
	v_dual_mul_f32 v71, 0x3fb8aa3b, v71 :: v_dual_mul_f32 v72, 0x3fb8aa3b, v72
	v_mul_f32_e32 v70, 0x3fb8aa3b, v70
	v_fma_f32 v78, s19, v131, -v81
	s_delay_alu instid0(VALU_DEP_4) | instskip(NEXT) | instid1(VALU_DEP_3)
	v_exp_f32_e32 v69, v69
	v_exp_f32_e32 v71, v71
	;; [unrolled: 1-line block ×4, first 2 shown]
	v_cndmask_b32_e64 v82, 0, v68, s2
	v_fma_f32 v68, s19, v130, -v81
	v_mul_f32_e32 v78, 0x3fb8aa3b, v78
	v_fma_f32 v80, s19, v106, -v81
	s_mov_b32 s2, exec_lo
	s_delay_alu instid0(VALU_DEP_3) | instskip(NEXT) | instid1(TRANS32_DEP_2)
	v_dual_cndmask_b32 v77, 0, v69 :: v_dual_mul_f32 v68, 0x3fb8aa3b, v68
	v_cndmask_b32_e64 v86, 0, v72, s5
	v_fma_f32 v72, s19, v102, -v81
	v_add_f32_e32 v69, 0, v82
	v_cndmask_b32_e64 v83, 0, v70, s3
	v_exp_f32_e32 v68, v68
	v_fma_f32 v70, s19, v132, -v81
	s_delay_alu instid0(VALU_DEP_3) | instskip(SKIP_2) | instid1(VALU_DEP_4)
	v_dual_mul_f32 v72, 0x3fb8aa3b, v72 :: v_dual_add_f32 v69, v69, v77
	v_cndmask_b32_e64 v85, 0, v71, s4
	v_fma_f32 v71, s19, v101, -v81
	v_mul_f32_e32 v70, 0x3fb8aa3b, v70
	v_exp_f32_e32 v78, v78
	v_add_f32_e32 v69, v69, v83
	v_exp_f32_e32 v72, v72
	s_delay_alu instid0(TRANS32_DEP_3) | instskip(SKIP_1) | instid1(VALU_DEP_2)
	v_cndmask_b32_e64 v87, 0, v68, s6
	v_exp_f32_e32 v70, v70
	v_add_f32_e32 v69, v69, v85
	v_mul_f32_e32 v71, 0x3fb8aa3b, v71
	s_delay_alu instid0(TRANS32_DEP_3) | instskip(NEXT) | instid1(VALU_DEP_3)
	v_cndmask_b32_e64 v84, 0, v78, s7
	v_add_f32_e32 v68, v69, v86
	v_fma_f32 v69, s19, v103, -v81
	s_delay_alu instid0(VALU_DEP_4) | instskip(SKIP_1) | instid1(TRANS32_DEP_2)
	v_exp_f32_e32 v71, v71
	v_fma_f32 v78, s19, v104, -v81
	v_cndmask_b32_e64 v88, 0, v70, s8
	s_delay_alu instid0(VALU_DEP_3) | instskip(SKIP_1) | instid1(VALU_DEP_2)
	v_dual_add_f32 v68, v68, v87 :: v_dual_mul_f32 v69, 0x3fb8aa3b, v69
	v_fma_f32 v70, s19, v105, -v81
	v_add_f32_e32 v68, v68, v84
	v_mul_f32_e32 v78, 0x3fb8aa3b, v78
	s_delay_alu instid0(VALU_DEP_4) | instskip(NEXT) | instid1(TRANS32_DEP_2)
	v_exp_f32_e32 v79, v69
	v_cndmask_b32_e64 v69, 0, v71, s9
	s_delay_alu instid0(VALU_DEP_3) | instskip(NEXT) | instid1(VALU_DEP_3)
	v_dual_add_f32 v71, v68, v88 :: v_dual_mul_f32 v70, 0x3fb8aa3b, v70
	v_exp_f32_e32 v78, v78
	v_cndmask_b32_e64 v68, 0, v72, s10
	v_fma_f32 v72, s19, v107, -v81
	s_delay_alu instid0(VALU_DEP_3) | instskip(SKIP_1) | instid1(TRANS32_DEP_3)
	v_add_f32_e32 v71, v71, v69
	v_exp_f32_e32 v89, v70
	v_cndmask_b32_e64 v70, 0, v79, s11
	s_delay_alu instid0(VALU_DEP_2) | instskip(NEXT) | instid1(TRANS32_DEP_2)
	v_add_f32_e32 v79, v71, v68
	v_cndmask_b32_e64 v71, 0, v78, s12
	s_delay_alu instid0(VALU_DEP_2) | instskip(SKIP_2) | instid1(VALU_DEP_1)
	v_add_f32_e32 v78, v79, v70
	v_mul_f32_e32 v80, 0x3fb8aa3b, v80
	v_fma_f32 v79, s19, v108, -v81
	v_dual_mul_f32 v72, 0x3fb8aa3b, v72 :: v_dual_mul_f32 v79, 0x3fb8aa3b, v79
	s_delay_alu instid0(VALU_DEP_1) | instskip(NEXT) | instid1(TRANS32_DEP_2)
	v_exp_f32_e32 v91, v72
	v_cndmask_b32_e64 v72, 0, v89, s13
	v_add_f32_e32 v89, v78, v71
	v_exp_f32_e32 v80, v80
	s_waitcnt_depctr 0xfff
	v_cndmask_b32_e64 v78, 0, v80, s15
	v_add_f32_e32 v80, v89, v72
	v_exp_f32_e32 v89, v79
	v_cndmask_b32_e64 v79, 0, v91, s16
	s_delay_alu instid0(VALU_DEP_2) | instskip(NEXT) | instid1(VALU_DEP_1)
	v_add_f32_e32 v80, v80, v78
	v_add_f32_e32 v91, v80, v79
	s_waitcnt_depctr 0xfff
	v_cndmask_b32_e64 v80, 0, v89, s17
	s_delay_alu instid0(VALU_DEP_1)
	v_add_f32_e32 v89, v91, v80
	ds_bpermute_b32 v90, v90, v89
	v_cmpx_gt_u32_e32 16, v67
	s_cbranch_execz .LBB1821_12
; %bb.11:
	v_mul_u32_u24_e32 v67, 0x44, v65
	s_waitcnt lgkmcnt(0)
	v_add_f32_e32 v89, v89, v90
	s_delay_alu instid0(VALU_DEP_2) | instskip(NEXT) | instid1(VALU_DEP_1)
	v_lshl_add_u32 v67, v66, 2, v67
	v_add_nc_u32_e32 v67, 0x4000, v67
	ds_store_2addr_b32 v67, v81, v89 offset1:136
.LBB1821_12:
	s_or_b32 exec_lo, exec_lo, s2
	v_lshlrev_b32_e32 v66, 2, v66
	s_waitcnt lgkmcnt(0)
	s_barrier
	buffer_gl0_inv
	v_cmp_eq_u32_e32 vcc_lo, 1, v65
	v_add_nc_u32_e32 v81, 0x4000, v66
	v_cmp_eq_u32_e64 s2, 2, v65
	v_cmp_eq_u32_e64 s4, 7, v65
	ds_load_2addr_b32 v[89:90], v81 offset1:17
	ds_load_2addr_b32 v[91:92], v81 offset0:34 offset1:51
	ds_load_2addr_b32 v[93:94], v81 offset0:68 offset1:85
	;; [unrolled: 1-line block ×4, first 2 shown]
	s_waitcnt lgkmcnt(4)
	v_max3_f32 v66, v89, 0xff7fffff, v90
	s_waitcnt lgkmcnt(3)
	s_delay_alu instid0(VALU_DEP_1) | instskip(SKIP_1) | instid1(VALU_DEP_1)
	v_max3_f32 v66, v66, v91, v92
	s_waitcnt lgkmcnt(2)
	v_max3_f32 v66, v66, v93, v94
	s_waitcnt lgkmcnt(1)
	s_delay_alu instid0(VALU_DEP_1) | instskip(NEXT) | instid1(VALU_DEP_1)
	v_max3_f32 v66, v66, v95, v96
	v_sub_f32_e32 v67, v89, v66
	v_sub_f32_e32 v91, v91, v66
	;; [unrolled: 1-line block ×3, first 2 shown]
	s_delay_alu instid0(VALU_DEP_3) | instskip(NEXT) | instid1(VALU_DEP_3)
	v_mul_f32_e32 v67, 0x3fb8aa3b, v67
	v_mul_f32_e32 v101, 0x3fb8aa3b, v91
	s_delay_alu instid0(VALU_DEP_3) | instskip(NEXT) | instid1(VALU_DEP_3)
	v_mul_f32_e32 v103, 0x3fb8aa3b, v93
	v_exp_f32_e32 v100, v67
	v_sub_f32_e32 v67, v92, v66
	v_sub_f32_e32 v99, v90, v66
	ds_load_2addr_b32 v[89:90], v81 offset0:170 offset1:187
	ds_load_2addr_b32 v[91:92], v81 offset0:204 offset1:221
	v_exp_f32_e32 v101, v101
	v_mul_f32_e32 v102, 0x3fb8aa3b, v67
	v_mul_f32_e32 v99, 0x3fb8aa3b, v99
	s_waitcnt lgkmcnt(2)
	v_fma_f32 v67, v100, v97, 0
	v_sub_f32_e32 v97, v94, v66
	s_delay_alu instid0(VALU_DEP_3)
	v_exp_f32_e32 v99, v99
	v_exp_f32_e32 v102, v102
	ds_load_2addr_b32 v[93:94], v81 offset0:238 offset1:255
	v_sub_f32_e32 v81, v95, v66
	v_mul_f32_e32 v95, 0x3fb8aa3b, v97
	v_exp_f32_e32 v97, v103
	s_waitcnt lgkmcnt(0)
	s_barrier
	v_mul_f32_e32 v81, 0x3fb8aa3b, v81
	v_exp_f32_e32 v95, v95
	v_fmac_f32_e32 v67, v99, v98
	buffer_gl0_inv
	v_exp_f32_e32 v81, v81
	v_fmac_f32_e32 v67, v101, v89
	v_sub_f32_e32 v89, v96, v66
	s_delay_alu instid0(VALU_DEP_2) | instskip(NEXT) | instid1(VALU_DEP_2)
	v_fmac_f32_e32 v67, v102, v90
	v_mul_f32_e32 v89, 0x3fb8aa3b, v89
	s_delay_alu instid0(VALU_DEP_2) | instskip(NEXT) | instid1(VALU_DEP_2)
	v_fmac_f32_e32 v67, v97, v91
	v_exp_f32_e32 v89, v89
	s_delay_alu instid0(VALU_DEP_1)
	v_fmac_f32_e32 v67, v95, v92
	s_delay_alu instid0(TRANS32_DEP_2) | instid1(VALU_DEP_1)
	v_fmac_f32_e32 v67, v81, v93
	s_waitcnt_depctr 0xfff
	v_fmac_f32_e32 v67, v89, v94
	s_delay_alu instid0(VALU_DEP_1) | instskip(NEXT) | instid1(VALU_DEP_1)
	v_add_f32_e32 v90, 0x358637bd, v67
	v_div_scale_f32 v91, null, v90, v90, 1.0
	v_div_scale_f32 v94, s3, 1.0, v90, 1.0
	s_delay_alu instid0(VALU_DEP_2) | instskip(SKIP_2) | instid1(VALU_DEP_1)
	v_rcp_f32_e32 v92, v91
	s_waitcnt_depctr 0xfff
	v_fma_f32 v93, -v91, v92, 1.0
	v_dual_fmac_f32 v92, v93, v92 :: v_dual_cndmask_b32 v93, v100, v99
	v_cmp_eq_u32_e32 vcc_lo, 3, v65
	s_delay_alu instid0(VALU_DEP_2) | instskip(NEXT) | instid1(VALU_DEP_3)
	v_mul_f32_e32 v96, v94, v92
	v_cndmask_b32_e64 v93, v93, v101, s2
	v_cmp_eq_u32_e64 s2, 4, v65
	s_delay_alu instid0(VALU_DEP_3) | instskip(NEXT) | instid1(VALU_DEP_3)
	v_fma_f32 v98, -v91, v96, v94
	v_cndmask_b32_e32 v93, v93, v102, vcc_lo
	v_cmp_eq_u32_e32 vcc_lo, 5, v65
	s_delay_alu instid0(VALU_DEP_3) | instskip(NEXT) | instid1(VALU_DEP_3)
	v_fmac_f32_e32 v96, v98, v92
	v_cndmask_b32_e64 v93, v93, v97, s2
	v_cmp_eq_u32_e64 s2, 6, v65
	s_delay_alu instid0(VALU_DEP_3) | instskip(NEXT) | instid1(VALU_DEP_3)
	v_fma_f32 v91, -v91, v96, v94
	v_cndmask_b32_e32 v93, v93, v95, vcc_lo
	s_mov_b32 vcc_lo, s3
	s_delay_alu instid0(VALU_DEP_2) | instskip(NEXT) | instid1(VALU_DEP_2)
	v_div_fmas_f32 v91, v91, v92, v96
	v_cndmask_b32_e64 v81, v93, v81, s2
	s_mov_b32 s2, exec_lo
	s_delay_alu instid0(VALU_DEP_2) | instskip(NEXT) | instid1(VALU_DEP_2)
	v_div_fixup_f32 v90, v91, v90, 1.0
	v_cndmask_b32_e64 v81, v81, v89, s4
	s_delay_alu instid0(VALU_DEP_1) | instskip(NEXT) | instid1(VALU_DEP_1)
	v_mul_f32_e32 v81, v81, v90
	v_mul_f32_e32 v90, v81, v82
	;; [unrolled: 1-line block ×6, first 2 shown]
	v_dual_mul_f32 v86, v81, v83 :: v_dual_and_b32 v91, 0x7f800000, v90
	v_mul_f32_e32 v89, v81, v85
	v_mul_f32_e32 v85, v81, v77
                                        ; implicit-def: $vgpr77
	s_delay_alu instid0(VALU_DEP_3)
	v_cmpx_ne_u32_e32 0x7f800000, v91
	s_xor_b32 s2, exec_lo, s2
; %bb.13:
	v_bfe_u32 v77, v90, 16, 1
	s_delay_alu instid0(VALU_DEP_1)
	v_add3_u32 v77, v90, v77, 0x7fff
                                        ; implicit-def: $vgpr90
; %bb.14:
	s_and_not1_saveexec_b32 s2, s2
; %bb.15:
	v_and_b32_e32 v77, 0xffff, v90
	v_or_b32_e32 v83, 0x10000, v90
	s_delay_alu instid0(VALU_DEP_2) | instskip(NEXT) | instid1(VALU_DEP_2)
	v_cmp_eq_u32_e32 vcc_lo, 0, v77
	v_cndmask_b32_e32 v77, v83, v90, vcc_lo
; %bb.16:
	s_or_b32 exec_lo, exec_lo, s2
	v_and_b32_e32 v83, 0x7f800000, v85
	s_delay_alu instid0(VALU_DEP_1) | instskip(SKIP_1) | instid1(SALU_CYCLE_1)
	v_cmp_ne_u32_e32 vcc_lo, 0x7f800000, v83
                                        ; implicit-def: $vgpr83
	s_and_saveexec_b32 s2, vcc_lo
	s_xor_b32 s2, exec_lo, s2
; %bb.17:
	v_bfe_u32 v83, v85, 16, 1
	s_delay_alu instid0(VALU_DEP_1)
	v_add3_u32 v83, v85, v83, 0x7fff
                                        ; implicit-def: $vgpr85
; %bb.18:
	s_and_not1_saveexec_b32 s2, s2
; %bb.19:
	v_and_b32_e32 v83, 0xffff, v85
	v_or_b32_e32 v90, 0x10000, v85
	s_delay_alu instid0(VALU_DEP_2) | instskip(NEXT) | instid1(VALU_DEP_2)
	v_cmp_eq_u32_e32 vcc_lo, 0, v83
	v_cndmask_b32_e32 v83, v90, v85, vcc_lo
; %bb.20:
	s_or_b32 exec_lo, exec_lo, s2
	v_and_b32_e32 v85, 0x7f800000, v86
	s_delay_alu instid0(VALU_DEP_1) | instskip(SKIP_1) | instid1(SALU_CYCLE_1)
	v_cmp_ne_u32_e32 vcc_lo, 0x7f800000, v85
                                        ; implicit-def: $vgpr85
	s_and_saveexec_b32 s2, vcc_lo
	s_xor_b32 s2, exec_lo, s2
; %bb.21:
	v_bfe_u32 v85, v86, 16, 1
	s_delay_alu instid0(VALU_DEP_1)
	v_add3_u32 v85, v86, v85, 0x7fff
                                        ; implicit-def: $vgpr86
; %bb.22:
	s_and_not1_saveexec_b32 s2, s2
; %bb.23:
	v_and_b32_e32 v85, 0xffff, v86
	v_or_b32_e32 v90, 0x10000, v86
	s_delay_alu instid0(VALU_DEP_2) | instskip(NEXT) | instid1(VALU_DEP_2)
	v_cmp_eq_u32_e32 vcc_lo, 0, v85
	v_cndmask_b32_e32 v85, v90, v86, vcc_lo
; %bb.24:
	s_or_b32 exec_lo, exec_lo, s2
	v_and_b32_e32 v86, 0x7f800000, v89
	s_delay_alu instid0(VALU_DEP_1) | instskip(SKIP_1) | instid1(SALU_CYCLE_1)
	v_cmp_ne_u32_e32 vcc_lo, 0x7f800000, v86
                                        ; implicit-def: $vgpr86
	s_and_saveexec_b32 s2, vcc_lo
	s_xor_b32 s2, exec_lo, s2
; %bb.25:
	v_bfe_u32 v86, v89, 16, 1
	s_delay_alu instid0(VALU_DEP_1)
	v_add3_u32 v86, v89, v86, 0x7fff
                                        ; implicit-def: $vgpr89
; %bb.26:
	s_and_not1_saveexec_b32 s2, s2
; %bb.27:
	v_and_b32_e32 v86, 0xffff, v89
	v_or_b32_e32 v90, 0x10000, v89
	s_delay_alu instid0(VALU_DEP_2) | instskip(NEXT) | instid1(VALU_DEP_2)
	v_cmp_eq_u32_e32 vcc_lo, 0, v86
	v_cndmask_b32_e32 v86, v90, v89, vcc_lo
; %bb.28:
	s_or_b32 exec_lo, exec_lo, s2
	v_and_b32_e32 v89, 0x7f800000, v88
	s_delay_alu instid0(VALU_DEP_1) | instskip(SKIP_1) | instid1(SALU_CYCLE_1)
	v_cmp_ne_u32_e32 vcc_lo, 0x7f800000, v89
                                        ; implicit-def: $vgpr89
	s_and_saveexec_b32 s2, vcc_lo
	s_xor_b32 s2, exec_lo, s2
; %bb.29:
	v_bfe_u32 v89, v88, 16, 1
	s_delay_alu instid0(VALU_DEP_1)
	v_add3_u32 v89, v88, v89, 0x7fff
                                        ; implicit-def: $vgpr88
; %bb.30:
	s_and_not1_saveexec_b32 s2, s2
; %bb.31:
	v_and_b32_e32 v89, 0xffff, v88
	v_or_b32_e32 v90, 0x10000, v88
	s_delay_alu instid0(VALU_DEP_2) | instskip(NEXT) | instid1(VALU_DEP_2)
	v_cmp_eq_u32_e32 vcc_lo, 0, v89
	v_cndmask_b32_e32 v89, v90, v88, vcc_lo
; %bb.32:
	s_or_b32 exec_lo, exec_lo, s2
	v_and_b32_e32 v88, 0x7f800000, v87
	s_delay_alu instid0(VALU_DEP_1) | instskip(SKIP_1) | instid1(SALU_CYCLE_1)
	v_cmp_ne_u32_e32 vcc_lo, 0x7f800000, v88
                                        ; implicit-def: $vgpr88
	s_and_saveexec_b32 s2, vcc_lo
	s_xor_b32 s2, exec_lo, s2
; %bb.33:
	v_bfe_u32 v88, v87, 16, 1
	s_delay_alu instid0(VALU_DEP_1)
	v_add3_u32 v88, v87, v88, 0x7fff
                                        ; implicit-def: $vgpr87
; %bb.34:
	s_and_not1_saveexec_b32 s2, s2
; %bb.35:
	v_and_b32_e32 v88, 0xffff, v87
	v_or_b32_e32 v90, 0x10000, v87
	s_delay_alu instid0(VALU_DEP_2) | instskip(NEXT) | instid1(VALU_DEP_2)
	v_cmp_eq_u32_e32 vcc_lo, 0, v88
	v_cndmask_b32_e32 v88, v90, v87, vcc_lo
; %bb.36:
	s_or_b32 exec_lo, exec_lo, s2
	v_and_b32_e32 v87, 0x7f800000, v84
	s_delay_alu instid0(VALU_DEP_1) | instskip(SKIP_1) | instid1(SALU_CYCLE_1)
	v_cmp_ne_u32_e32 vcc_lo, 0x7f800000, v87
                                        ; implicit-def: $vgpr87
	s_and_saveexec_b32 s2, vcc_lo
	s_xor_b32 s2, exec_lo, s2
; %bb.37:
	v_bfe_u32 v87, v84, 16, 1
	s_delay_alu instid0(VALU_DEP_1)
	v_add3_u32 v87, v84, v87, 0x7fff
                                        ; implicit-def: $vgpr84
; %bb.38:
	s_and_not1_saveexec_b32 s2, s2
; %bb.39:
	v_and_b32_e32 v87, 0xffff, v84
	v_or_b32_e32 v90, 0x10000, v84
	s_delay_alu instid0(VALU_DEP_2) | instskip(NEXT) | instid1(VALU_DEP_2)
	v_cmp_eq_u32_e32 vcc_lo, 0, v87
	v_cndmask_b32_e32 v87, v90, v84, vcc_lo
; %bb.40:
	s_or_b32 exec_lo, exec_lo, s2
	v_and_b32_e32 v84, 0x7f800000, v82
	s_delay_alu instid0(VALU_DEP_1) | instskip(SKIP_1) | instid1(SALU_CYCLE_1)
	v_cmp_ne_u32_e32 vcc_lo, 0x7f800000, v84
                                        ; implicit-def: $vgpr84
	s_and_saveexec_b32 s2, vcc_lo
	s_xor_b32 s2, exec_lo, s2
; %bb.41:
	v_bfe_u32 v84, v82, 16, 1
	s_delay_alu instid0(VALU_DEP_1)
	v_add3_u32 v84, v82, v84, 0x7fff
                                        ; implicit-def: $vgpr82
; %bb.42:
	s_and_not1_saveexec_b32 s2, s2
; %bb.43:
	v_and_b32_e32 v84, 0xffff, v82
	v_or_b32_e32 v90, 0x10000, v82
	s_delay_alu instid0(VALU_DEP_2) | instskip(NEXT) | instid1(VALU_DEP_2)
	v_cmp_eq_u32_e32 vcc_lo, 0, v84
	v_cndmask_b32_e32 v84, v90, v82, vcc_lo
; %bb.44:
	s_or_b32 exec_lo, exec_lo, s2
	s_load_b64 s[34:35], s[0:1], 0x94
	v_lshlrev_b32_e32 v82, 4, v74
	s_delay_alu instid0(VALU_DEP_2)
	v_perm_b32 v90, v84, v87, 0x7060302
	v_lshlrev_b32_e32 v84, 11, v65
	v_perm_b32 v87, v83, v77, 0x7060302
	v_mul_f32_e32 v83, v81, v69
	v_mul_f32_e32 v69, v81, v80
	v_perm_b32 v89, v88, v89, 0x7060302
	v_perm_b32 v88, v86, v85, 0x7060302
	v_or3_b32 v77, v82, v84, v76
	v_mul_f32_e32 v79, v81, v79
	v_mul_f32_e32 v78, v81, v78
	v_and_b32_e32 v84, 0x7f800000, v83
	v_mul_f32_e32 v72, v81, v72
	v_mul_f32_e32 v82, v81, v71
	;; [unrolled: 1-line block ×4, first 2 shown]
	s_mov_b32 s2, exec_lo
	ds_store_b128 v77, v[87:90]
                                        ; implicit-def: $vgpr68
	v_cmpx_ne_u32_e32 0x7f800000, v84
	s_xor_b32 s2, exec_lo, s2
; %bb.45:
	v_bfe_u32 v68, v83, 16, 1
	s_delay_alu instid0(VALU_DEP_1)
	v_add3_u32 v68, v83, v68, 0x7fff
                                        ; implicit-def: $vgpr83
; %bb.46:
	s_and_not1_saveexec_b32 s2, s2
; %bb.47:
	v_and_b32_e32 v68, 0xffff, v83
	v_or_b32_e32 v70, 0x10000, v83
	s_delay_alu instid0(VALU_DEP_2) | instskip(NEXT) | instid1(VALU_DEP_2)
	v_cmp_eq_u32_e32 vcc_lo, 0, v68
	v_cndmask_b32_e32 v68, v70, v83, vcc_lo
; %bb.48:
	s_or_b32 exec_lo, exec_lo, s2
	v_and_b32_e32 v70, 0x7f800000, v71
	s_delay_alu instid0(VALU_DEP_1) | instskip(SKIP_1) | instid1(SALU_CYCLE_1)
	v_cmp_ne_u32_e32 vcc_lo, 0x7f800000, v70
                                        ; implicit-def: $vgpr70
	s_and_saveexec_b32 s2, vcc_lo
	s_xor_b32 s2, exec_lo, s2
; %bb.49:
	v_bfe_u32 v70, v71, 16, 1
	s_delay_alu instid0(VALU_DEP_1)
	v_add3_u32 v70, v71, v70, 0x7fff
                                        ; implicit-def: $vgpr71
; %bb.50:
	s_and_not1_saveexec_b32 s2, s2
; %bb.51:
	v_and_b32_e32 v70, 0xffff, v71
	v_or_b32_e32 v81, 0x10000, v71
	s_delay_alu instid0(VALU_DEP_2) | instskip(NEXT) | instid1(VALU_DEP_2)
	v_cmp_eq_u32_e32 vcc_lo, 0, v70
	v_cndmask_b32_e32 v70, v81, v71, vcc_lo
; %bb.52:
	s_or_b32 exec_lo, exec_lo, s2
	v_and_b32_e32 v71, 0x7f800000, v80
	s_delay_alu instid0(VALU_DEP_1) | instskip(SKIP_1) | instid1(SALU_CYCLE_1)
	v_cmp_ne_u32_e32 vcc_lo, 0x7f800000, v71
                                        ; implicit-def: $vgpr71
	s_and_saveexec_b32 s2, vcc_lo
	s_xor_b32 s2, exec_lo, s2
; %bb.53:
	v_bfe_u32 v71, v80, 16, 1
	s_delay_alu instid0(VALU_DEP_1)
	v_add3_u32 v71, v80, v71, 0x7fff
                                        ; implicit-def: $vgpr80
; %bb.54:
	s_and_not1_saveexec_b32 s2, s2
; %bb.55:
	v_and_b32_e32 v71, 0xffff, v80
	v_or_b32_e32 v81, 0x10000, v80
	s_delay_alu instid0(VALU_DEP_2) | instskip(NEXT) | instid1(VALU_DEP_2)
	v_cmp_eq_u32_e32 vcc_lo, 0, v71
	v_cndmask_b32_e32 v71, v81, v80, vcc_lo
; %bb.56:
	s_or_b32 exec_lo, exec_lo, s2
	v_and_b32_e32 v80, 0x7f800000, v82
	s_delay_alu instid0(VALU_DEP_1) | instskip(SKIP_1) | instid1(SALU_CYCLE_1)
	v_cmp_ne_u32_e32 vcc_lo, 0x7f800000, v80
                                        ; implicit-def: $vgpr80
	s_and_saveexec_b32 s2, vcc_lo
	s_xor_b32 s2, exec_lo, s2
; %bb.57:
	v_bfe_u32 v80, v82, 16, 1
	s_delay_alu instid0(VALU_DEP_1)
	v_add3_u32 v80, v82, v80, 0x7fff
                                        ; implicit-def: $vgpr82
; %bb.58:
	s_and_not1_saveexec_b32 s2, s2
; %bb.59:
	v_and_b32_e32 v80, 0xffff, v82
	v_or_b32_e32 v81, 0x10000, v82
	s_delay_alu instid0(VALU_DEP_2) | instskip(NEXT) | instid1(VALU_DEP_2)
	v_cmp_eq_u32_e32 vcc_lo, 0, v80
	v_cndmask_b32_e32 v80, v81, v82, vcc_lo
; %bb.60:
	s_or_b32 exec_lo, exec_lo, s2
	v_and_b32_e32 v81, 0x7f800000, v72
	s_delay_alu instid0(VALU_DEP_1) | instskip(SKIP_1) | instid1(SALU_CYCLE_1)
	v_cmp_ne_u32_e32 vcc_lo, 0x7f800000, v81
                                        ; implicit-def: $vgpr81
	s_and_saveexec_b32 s2, vcc_lo
	s_xor_b32 s2, exec_lo, s2
; %bb.61:
	v_bfe_u32 v81, v72, 16, 1
	s_delay_alu instid0(VALU_DEP_1)
	v_add3_u32 v81, v72, v81, 0x7fff
                                        ; implicit-def: $vgpr72
; %bb.62:
	s_and_not1_saveexec_b32 s2, s2
; %bb.63:
	v_and_b32_e32 v81, 0xffff, v72
	v_or_b32_e32 v82, 0x10000, v72
	s_delay_alu instid0(VALU_DEP_2) | instskip(NEXT) | instid1(VALU_DEP_2)
	v_cmp_eq_u32_e32 vcc_lo, 0, v81
	v_cndmask_b32_e32 v81, v82, v72, vcc_lo
; %bb.64:
	s_or_b32 exec_lo, exec_lo, s2
	v_and_b32_e32 v72, 0x7f800000, v78
	s_delay_alu instid0(VALU_DEP_1) | instskip(SKIP_1) | instid1(SALU_CYCLE_1)
	v_cmp_ne_u32_e32 vcc_lo, 0x7f800000, v72
                                        ; implicit-def: $vgpr72
	s_and_saveexec_b32 s2, vcc_lo
	s_xor_b32 s2, exec_lo, s2
; %bb.65:
	v_bfe_u32 v72, v78, 16, 1
	s_delay_alu instid0(VALU_DEP_1)
	v_add3_u32 v72, v78, v72, 0x7fff
                                        ; implicit-def: $vgpr78
; %bb.66:
	s_and_not1_saveexec_b32 s2, s2
; %bb.67:
	v_and_b32_e32 v72, 0xffff, v78
	v_or_b32_e32 v82, 0x10000, v78
	s_delay_alu instid0(VALU_DEP_2) | instskip(NEXT) | instid1(VALU_DEP_2)
	v_cmp_eq_u32_e32 vcc_lo, 0, v72
	v_cndmask_b32_e32 v72, v82, v78, vcc_lo
; %bb.68:
	s_or_b32 exec_lo, exec_lo, s2
	v_and_b32_e32 v78, 0x7f800000, v79
	s_delay_alu instid0(VALU_DEP_1) | instskip(SKIP_1) | instid1(SALU_CYCLE_1)
	v_cmp_ne_u32_e32 vcc_lo, 0x7f800000, v78
                                        ; implicit-def: $vgpr78
	s_and_saveexec_b32 s2, vcc_lo
	s_xor_b32 s2, exec_lo, s2
; %bb.69:
	v_bfe_u32 v78, v79, 16, 1
	s_delay_alu instid0(VALU_DEP_1)
	v_add3_u32 v78, v79, v78, 0x7fff
                                        ; implicit-def: $vgpr79
; %bb.70:
	s_and_not1_saveexec_b32 s2, s2
; %bb.71:
	v_and_b32_e32 v78, 0xffff, v79
	v_or_b32_e32 v82, 0x10000, v79
	s_delay_alu instid0(VALU_DEP_2) | instskip(NEXT) | instid1(VALU_DEP_2)
	v_cmp_eq_u32_e32 vcc_lo, 0, v78
	v_cndmask_b32_e32 v78, v82, v79, vcc_lo
; %bb.72:
	s_or_b32 exec_lo, exec_lo, s2
	v_and_b32_e32 v79, 0x7f800000, v69
	s_delay_alu instid0(VALU_DEP_1) | instskip(SKIP_1) | instid1(SALU_CYCLE_1)
	v_cmp_ne_u32_e32 vcc_lo, 0x7f800000, v79
                                        ; implicit-def: $vgpr79
	s_and_saveexec_b32 s2, vcc_lo
	s_xor_b32 s2, exec_lo, s2
; %bb.73:
	v_bfe_u32 v79, v69, 16, 1
	s_delay_alu instid0(VALU_DEP_1)
	v_add3_u32 v79, v69, v79, 0x7fff
                                        ; implicit-def: $vgpr69
; %bb.74:
	s_and_not1_saveexec_b32 s2, s2
; %bb.75:
	v_and_b32_e32 v79, 0xffff, v69
	v_or_b32_e32 v82, 0x10000, v69
	s_delay_alu instid0(VALU_DEP_2) | instskip(NEXT) | instid1(VALU_DEP_2)
	v_cmp_eq_u32_e32 vcc_lo, 0, v79
	v_cndmask_b32_e32 v79, v82, v69, vcc_lo
; %bb.76:
	s_or_b32 exec_lo, exec_lo, s2
	s_delay_alu instid0(VALU_DEP_1)
	v_perm_b32 v86, v79, v78, 0x7060302
	v_perm_b32 v85, v72, v81, 0x7060302
	;; [unrolled: 1-line block ×4, first 2 shown]
	v_lshl_or_b32 v82, v65, 11, v76
	v_lshlrev_b32_e32 v79, 2, v74
	ds_store_b128 v77, v[83:86] offset:1024
	s_waitcnt lgkmcnt(0)
	s_barrier
	buffer_gl0_inv
	ds_load_b128 v[68:71], v82
	ds_load_b128 v[83:86], v82 offset:16
	v_or_b32_e32 v80, 1, v79
	v_cmp_eq_u32_e32 vcc_lo, 1, v79
	v_cmp_eq_u32_e64 s3, 2, v79
	v_cmp_eq_u32_e64 s6, 3, v79
	;; [unrolled: 1-line block ×6, first 2 shown]
	v_or_b32_e32 v78, 2, v79
	v_cmp_eq_u32_e64 s9, 5, v79
	v_cmp_eq_u32_e64 s10, 4, v80
	;; [unrolled: 1-line block ×9, first 2 shown]
	s_waitcnt lgkmcnt(1)
	v_lshrrev_b32_e32 v65, 16, v68
	s_waitcnt lgkmcnt(0)
	v_lshrrev_b32_e32 v91, 16, v83
	v_lshrrev_b32_e32 v72, 16, v69
	;; [unrolled: 1-line block ×4, first 2 shown]
	v_cndmask_b32_e32 v81, v68, v65, vcc_lo
	v_cndmask_b32_e32 v87, v83, v91, vcc_lo
	v_cndmask_b32_e64 v88, v68, v65, s2
	v_lshrrev_b32_e32 v98, 16, v85
	v_cndmask_b32_e64 v89, v83, v91, s2
	v_cndmask_b32_e64 v81, v81, v69, s3
	v_cndmask_b32_e64 v87, v87, v84, s3
	v_cndmask_b32_e64 v88, v88, v69, s5
	v_lshrrev_b32_e32 v96, 16, v71
	v_cndmask_b32_e64 v89, v89, v84, s5
	v_cndmask_b32_e64 v81, v81, v72, s6
	v_cndmask_b32_e64 v87, v87, v97, s6
	;; [unrolled: 5-line block ×3, first 2 shown]
	v_cndmask_b32_e64 v88, v88, v70, s10
	v_cndmask_b32_e64 v89, v89, v97, s7
	v_cmp_eq_u32_e64 s18, 3, v78
	v_cndmask_b32_e64 v81, v81, v95, s9
	v_cndmask_b32_e64 v87, v87, v98, s9
	;; [unrolled: 1-line block ×4, first 2 shown]
	v_cmp_eq_u32_e64 s19, 4, v78
	v_cndmask_b32_e64 v81, v81, v71, s11
	v_cndmask_b32_e64 v87, v87, v86, s11
	v_cndmask_b32_e64 v88, v88, v71, s15
	v_cmp_eq_u32_e64 s21, 5, v78
	v_cmp_eq_u32_e64 s23, 6, v78
	v_cndmask_b32_e64 v100, v81, v96, s13
	v_cndmask_b32_e64 v101, v87, v99, s13
	;; [unrolled: 1-line block ×6, first 2 shown]
	v_cmp_eq_u32_e64 s26, 7, v78
	v_cndmask_b32_e64 v89, v81, v72, s18
	v_cndmask_b32_e64 v87, v87, v84, s16
	v_or_b32_e32 v81, 3, v79
	v_cndmask_b32_e64 v103, v88, v86, s15
	s_delay_alu instid0(VALU_DEP_4) | instskip(NEXT) | instid1(VALU_DEP_4)
	v_cndmask_b32_e64 v92, v89, v70, s19
	v_cndmask_b32_e64 v93, v87, v97, s18
	s_delay_alu instid0(VALU_DEP_4)
	v_cmp_eq_u32_e64 s20, 1, v81
	ds_load_b128 v[87:90], v82 offset:1024
	v_cmp_eq_u32_e64 s22, 2, v81
	v_cndmask_b32_e64 v104, v92, v95, s21
	v_cmp_eq_u32_e64 s24, 3, v81
	v_cndmask_b32_e64 v65, v68, v65, s20
	v_cndmask_b32_e64 v68, v93, v85, s19
	;; [unrolled: 1-line block ×3, first 2 shown]
	ds_load_b128 v[91:94], v82 offset:1040
	v_cmp_eq_u32_e64 s25, 4, v81
	v_cndmask_b32_e64 v65, v65, v69, s22
	v_cmp_eq_u32_e64 s27, 5, v81
	v_cndmask_b32_e64 v69, v83, v84, s22
	;; [unrolled: 2-line block ×3, first 2 shown]
	v_cndmask_b32_e64 v65, v65, v72, s24
	v_cndmask_b32_e64 v72, v104, v71, s23
	;; [unrolled: 1-line block ×6, first 2 shown]
	s_waitcnt lgkmcnt(1)
	v_lshrrev_b32_e32 v84, 16, v87
	v_cndmask_b32_e64 v69, v69, v85, s25
	v_cndmask_b32_e64 v70, v72, v96, s26
	;; [unrolled: 1-line block ×4, first 2 shown]
	v_cndmask_b32_e32 v72, v87, v84, vcc_lo
	v_cndmask_b32_e64 v69, v69, v98, s27
	s_waitcnt lgkmcnt(0)
	v_lshrrev_b32_e32 v85, 16, v91
	v_lshrrev_b32_e32 v95, 16, v88
	v_cndmask_b32_e64 v97, v87, v84, s2
	v_cndmask_b32_e64 v72, v72, v88, s3
	;; [unrolled: 1-line block ×3, first 2 shown]
	v_cndmask_b32_e32 v98, v91, v85, vcc_lo
	v_cmp_eq_u32_e32 vcc_lo, 7, v81
	v_cndmask_b32_e64 v69, v69, v86, s28
	v_cndmask_b32_e64 v71, v72, v95, s6
	;; [unrolled: 1-line block ×3, first 2 shown]
	v_lshrrev_b32_e32 v97, 16, v92
	v_cndmask_b32_e32 v65, v65, v96, vcc_lo
	v_cndmask_b32_e64 v86, v98, v92, s3
	v_cndmask_b32_e32 v69, v69, v99, vcc_lo
	v_lshrrev_b32_e32 v99, 16, v93
	v_cndmask_b32_e64 v71, v71, v89, s8
	v_lshrrev_b32_e32 v98, 16, v89
	v_cndmask_b32_e64 v86, v86, v97, s6
	v_perm_b32 v70, v68, v70, 0x5040100
	v_cndmask_b32_e64 v72, v72, v95, s7
	s_delay_alu instid0(VALU_DEP_4) | instskip(NEXT) | instid1(VALU_DEP_4)
	v_cndmask_b32_e64 v96, v71, v98, s9
	v_cndmask_b32_e64 v86, v86, v93, s8
	v_perm_b32 v71, v69, v65, 0x5040100
	v_perm_b32 v69, v83, v102, 0x5040100
	v_cndmask_b32_e64 v102, v91, v85, s4
	v_cndmask_b32_e64 v72, v72, v89, s10
	;; [unrolled: 1-line block ×3, first 2 shown]
	v_lshrrev_b32_e32 v83, 16, v94
	s_delay_alu instid0(VALU_DEP_3) | instskip(NEXT) | instid1(VALU_DEP_3)
	v_cndmask_b32_e64 v65, v72, v98, s12
	v_cndmask_b32_e64 v68, v86, v94, s11
	;; [unrolled: 1-line block ×27, first 2 shown]
	v_lshrrev_b32_e32 v96, 16, v90
	v_cndmask_b32_e64 v65, v65, v90, s15
	v_cndmask_b32_e64 v86, v86, v90, s23
	;; [unrolled: 1-line block ×9, first 2 shown]
	v_cndmask_b32_e32 v84, v84, v96, vcc_lo
	v_cndmask_b32_e32 v86, v87, v83, vcc_lo
	v_cndmask_b32_e64 v87, v88, v83, s26
	v_cndmask_b32_e64 v88, v85, v83, s17
	v_cndmask_b32_e64 v83, v68, v83, s13
	v_perm_b32 v68, v101, v100, 0x5040100
	v_perm_b32 v86, v86, v84, 0x5040100
	;; [unrolled: 1-line block ×5, first 2 shown]
	s_lshl_b32 s7, s35, 4
	s_mov_b32 s2, exec_lo
	ds_store_b128 v77, v[68:71]
	ds_store_b128 v77, v[83:86] offset:1024
	v_cmpx_gt_u32_e32 16, v0
	s_cbranch_execz .LBB1821_78
; %bb.77:
	v_or_b32_e32 v65, s29, v0
	s_load_b128 s[8:11], s[0:1], 0x58
	s_delay_alu instid0(VALU_DEP_1) | instskip(NEXT) | instid1(VALU_DEP_1)
	v_mad_u64_u32 v[68:69], null, s7, s30, v[65:66]
	v_mad_u64_u32 v[69:70], null, v68, s34, s[14:15]
	s_delay_alu instid0(VALU_DEP_1) | instskip(NEXT) | instid1(VALU_DEP_1)
	v_ashrrev_i32_e32 v70, 31, v69
	v_lshlrev_b64 v[68:69], 2, v[69:70]
	s_waitcnt lgkmcnt(0)
	s_delay_alu instid0(VALU_DEP_1) | instskip(NEXT) | instid1(VALU_DEP_2)
	v_add_co_u32 v70, vcc_lo, s10, v68
	v_add_co_ci_u32_e32 v71, vcc_lo, s11, v69, vcc_lo
	v_add_co_u32 v68, vcc_lo, s8, v68
	v_add_co_ci_u32_e32 v69, vcc_lo, s9, v69, vcc_lo
	global_store_b32 v[70:71], v66, off
	global_store_b32 v[68:69], v67, off
.LBB1821_78:
	s_or_b32 exec_lo, exec_lo, s2
	s_waitcnt lgkmcnt(0)
	s_waitcnt_vscnt null, 0x0
	s_barrier
	buffer_gl0_inv
	ds_load_b128 v[83:86], v76
	ds_load_b128 v[87:90], v76 offset:16
	ds_load_b128 v[95:98], v76 offset:2064
	;; [unrolled: 1-line block ×3, first 2 shown]
	v_mov_b32_e32 v65, 0
	ds_load_b128 v[103:106], v76 offset:4112
	ds_load_b128 v[99:102], v76 offset:4096
	;; [unrolled: 1-line block ×4, first 2 shown]
	v_mov_b32_e32 v66, v65
	v_mov_b32_e32 v67, v65
	;; [unrolled: 1-line block ×7, first 2 shown]
	s_waitcnt lgkmcnt(6)
	s_delay_alu instid0(VALU_DEP_1)
	v_wmma_f32_16x16x16_bf16 v[65:72], v[49:56], v[83:90], v[65:72]
	ds_load_b128 v[53:56], v76 offset:8208
	ds_load_b128 v[49:52], v76 offset:8192
	s_waitcnt lgkmcnt(6)
	v_wmma_f32_16x16x16_bf16 v[65:72], v[41:48], v[91:98], v[65:72]
	ds_load_b128 v[45:48], v76 offset:10256
	ds_load_b128 v[41:44], v76 offset:10240
	s_waitcnt lgkmcnt(6)
	;; [unrolled: 4-line block ×4, first 2 shown]
	v_wmma_f32_16x16x16_bf16 v[65:72], v[1:8], v[49:56], v[65:72]
	s_waitcnt lgkmcnt(4)
	s_delay_alu instid0(VALU_DEP_1) | instskip(SKIP_1) | instid1(VALU_DEP_1)
	v_wmma_f32_16x16x16_bf16 v[65:72], v[9:16], v[41:48], v[65:72]
	s_waitcnt lgkmcnt(2)
	v_wmma_f32_16x16x16_bf16 v[65:72], v[17:24], v[33:40], v[65:72]
	s_waitcnt lgkmcnt(0)
	s_delay_alu instid0(VALU_DEP_1) | instskip(NEXT) | instid1(VALU_DEP_1)
	v_wmma_f32_16x16x16_bf16 v[65:72], v[57:64], v[25:32], v[65:72]
	v_and_b32_e32 v1, 0x7f800000, v65
	s_delay_alu instid0(VALU_DEP_1) | instskip(SKIP_1) | instid1(SALU_CYCLE_1)
	v_cmp_ne_u32_e32 vcc_lo, 0x7f800000, v1
                                        ; implicit-def: $vgpr1
	s_and_saveexec_b32 s2, vcc_lo
	s_xor_b32 s2, exec_lo, s2
; %bb.79:
	v_bfe_u32 v1, v65, 16, 1
	s_delay_alu instid0(VALU_DEP_1)
	v_add3_u32 v1, v65, v1, 0x7fff
; %bb.80:
	s_and_not1_saveexec_b32 s2, s2
; %bb.81:
	v_and_b32_e32 v1, 0xffff, v65
	v_or_b32_e32 v2, 0x10000, v65
	s_delay_alu instid0(VALU_DEP_2) | instskip(NEXT) | instid1(VALU_DEP_2)
	v_cmp_eq_u32_e32 vcc_lo, 0, v1
	v_cndmask_b32_e32 v1, v2, v65, vcc_lo
; %bb.82:
	s_or_b32 exec_lo, exec_lo, s2
	v_and_b32_e32 v2, 0x7f800000, v66
	s_delay_alu instid0(VALU_DEP_1) | instskip(SKIP_1) | instid1(SALU_CYCLE_1)
	v_cmp_ne_u32_e32 vcc_lo, 0x7f800000, v2
                                        ; implicit-def: $vgpr2
	s_and_saveexec_b32 s2, vcc_lo
	s_xor_b32 s2, exec_lo, s2
; %bb.83:
	v_bfe_u32 v2, v66, 16, 1
	s_delay_alu instid0(VALU_DEP_1)
	v_add3_u32 v2, v66, v2, 0x7fff
; %bb.84:
	s_and_not1_saveexec_b32 s2, s2
; %bb.85:
	v_and_b32_e32 v2, 0xffff, v66
	v_or_b32_e32 v3, 0x10000, v66
	s_delay_alu instid0(VALU_DEP_2) | instskip(NEXT) | instid1(VALU_DEP_2)
	v_cmp_eq_u32_e32 vcc_lo, 0, v2
	v_cndmask_b32_e32 v2, v3, v66, vcc_lo
; %bb.86:
	s_or_b32 exec_lo, exec_lo, s2
	v_and_b32_e32 v3, 0x7f800000, v67
	s_delay_alu instid0(VALU_DEP_1) | instskip(SKIP_1) | instid1(SALU_CYCLE_1)
	v_cmp_ne_u32_e32 vcc_lo, 0x7f800000, v3
                                        ; implicit-def: $vgpr3
	s_and_saveexec_b32 s2, vcc_lo
	s_xor_b32 s2, exec_lo, s2
; %bb.87:
	v_bfe_u32 v3, v67, 16, 1
	s_delay_alu instid0(VALU_DEP_1)
	v_add3_u32 v3, v67, v3, 0x7fff
; %bb.88:
	s_and_not1_saveexec_b32 s2, s2
; %bb.89:
	v_and_b32_e32 v3, 0xffff, v67
	v_or_b32_e32 v4, 0x10000, v67
	s_delay_alu instid0(VALU_DEP_2) | instskip(NEXT) | instid1(VALU_DEP_2)
	v_cmp_eq_u32_e32 vcc_lo, 0, v3
	v_cndmask_b32_e32 v3, v4, v67, vcc_lo
; %bb.90:
	s_or_b32 exec_lo, exec_lo, s2
	v_and_b32_e32 v4, 0x7f800000, v68
	s_delay_alu instid0(VALU_DEP_1) | instskip(SKIP_1) | instid1(SALU_CYCLE_1)
	v_cmp_ne_u32_e32 vcc_lo, 0x7f800000, v4
                                        ; implicit-def: $vgpr4
	s_and_saveexec_b32 s2, vcc_lo
	s_xor_b32 s2, exec_lo, s2
; %bb.91:
	v_bfe_u32 v4, v68, 16, 1
	s_delay_alu instid0(VALU_DEP_1)
	v_add3_u32 v4, v68, v4, 0x7fff
; %bb.92:
	s_and_not1_saveexec_b32 s2, s2
; %bb.93:
	v_and_b32_e32 v4, 0xffff, v68
	v_or_b32_e32 v5, 0x10000, v68
	s_delay_alu instid0(VALU_DEP_2) | instskip(NEXT) | instid1(VALU_DEP_2)
	v_cmp_eq_u32_e32 vcc_lo, 0, v4
	v_cndmask_b32_e32 v4, v5, v68, vcc_lo
; %bb.94:
	s_or_b32 exec_lo, exec_lo, s2
	v_and_b32_e32 v5, 0x7f800000, v69
	s_delay_alu instid0(VALU_DEP_1) | instskip(SKIP_1) | instid1(SALU_CYCLE_1)
	v_cmp_ne_u32_e32 vcc_lo, 0x7f800000, v5
                                        ; implicit-def: $vgpr5
	s_and_saveexec_b32 s2, vcc_lo
	s_xor_b32 s2, exec_lo, s2
; %bb.95:
	v_bfe_u32 v5, v69, 16, 1
	s_delay_alu instid0(VALU_DEP_1)
	v_add3_u32 v5, v69, v5, 0x7fff
; %bb.96:
	s_and_not1_saveexec_b32 s2, s2
; %bb.97:
	v_and_b32_e32 v5, 0xffff, v69
	v_or_b32_e32 v6, 0x10000, v69
	s_delay_alu instid0(VALU_DEP_2) | instskip(NEXT) | instid1(VALU_DEP_2)
	v_cmp_eq_u32_e32 vcc_lo, 0, v5
	v_cndmask_b32_e32 v5, v6, v69, vcc_lo
; %bb.98:
	s_or_b32 exec_lo, exec_lo, s2
	v_and_b32_e32 v6, 0x7f800000, v70
	s_delay_alu instid0(VALU_DEP_1) | instskip(SKIP_1) | instid1(SALU_CYCLE_1)
	v_cmp_ne_u32_e32 vcc_lo, 0x7f800000, v6
                                        ; implicit-def: $vgpr6
	s_and_saveexec_b32 s2, vcc_lo
	s_xor_b32 s2, exec_lo, s2
; %bb.99:
	v_bfe_u32 v6, v70, 16, 1
	s_delay_alu instid0(VALU_DEP_1)
	v_add3_u32 v6, v70, v6, 0x7fff
; %bb.100:
	s_and_not1_saveexec_b32 s2, s2
; %bb.101:
	v_and_b32_e32 v6, 0xffff, v70
	v_or_b32_e32 v7, 0x10000, v70
	s_delay_alu instid0(VALU_DEP_2) | instskip(NEXT) | instid1(VALU_DEP_2)
	v_cmp_eq_u32_e32 vcc_lo, 0, v6
	v_cndmask_b32_e32 v6, v7, v70, vcc_lo
; %bb.102:
	s_or_b32 exec_lo, exec_lo, s2
	v_and_b32_e32 v7, 0x7f800000, v71
	s_delay_alu instid0(VALU_DEP_1) | instskip(SKIP_1) | instid1(SALU_CYCLE_1)
	v_cmp_ne_u32_e32 vcc_lo, 0x7f800000, v7
                                        ; implicit-def: $vgpr7
	s_and_saveexec_b32 s2, vcc_lo
	s_xor_b32 s2, exec_lo, s2
; %bb.103:
	v_bfe_u32 v7, v71, 16, 1
	s_delay_alu instid0(VALU_DEP_1)
	v_add3_u32 v7, v71, v7, 0x7fff
; %bb.104:
	s_and_not1_saveexec_b32 s2, s2
; %bb.105:
	v_and_b32_e32 v7, 0xffff, v71
	v_or_b32_e32 v8, 0x10000, v71
	s_delay_alu instid0(VALU_DEP_2) | instskip(NEXT) | instid1(VALU_DEP_2)
	v_cmp_eq_u32_e32 vcc_lo, 0, v7
	v_cndmask_b32_e32 v7, v8, v71, vcc_lo
; %bb.106:
	s_or_b32 exec_lo, exec_lo, s2
	v_and_b32_e32 v8, 0x7f800000, v72
	s_delay_alu instid0(VALU_DEP_1) | instskip(SKIP_1) | instid1(SALU_CYCLE_1)
	v_cmp_ne_u32_e32 vcc_lo, 0x7f800000, v8
                                        ; implicit-def: $vgpr8
	s_and_saveexec_b32 s2, vcc_lo
	s_xor_b32 s2, exec_lo, s2
; %bb.107:
	v_bfe_u32 v8, v72, 16, 1
	s_delay_alu instid0(VALU_DEP_1)
	v_add3_u32 v8, v72, v8, 0x7fff
                                        ; implicit-def: $vgpr65_vgpr66_vgpr67_vgpr68_vgpr69_vgpr70_vgpr71_vgpr72
; %bb.108:
	s_and_not1_saveexec_b32 s2, s2
; %bb.109:
	v_and_b32_e32 v8, 0xffff, v72
	v_or_b32_e32 v9, 0x10000, v72
	s_delay_alu instid0(VALU_DEP_2) | instskip(NEXT) | instid1(VALU_DEP_2)
	v_cmp_eq_u32_e32 vcc_lo, 0, v8
	v_cndmask_b32_e32 v8, v9, v72, vcc_lo
; %bb.110:
	s_or_b32 exec_lo, exec_lo, s2
	s_delay_alu instid0(VALU_DEP_1)
	v_perm_b32 v7, v8, v7, 0x7060302
	v_perm_b32 v6, v6, v5, 0x7060302
	;; [unrolled: 1-line block ×4, first 2 shown]
	s_barrier
	buffer_gl0_inv
	v_cmp_eq_u32_e32 vcc_lo, 1, v79
	ds_store_b128 v77, v[4:7]
	s_waitcnt lgkmcnt(0)
	s_barrier
	buffer_gl0_inv
	ds_load_b128 v[1:4], v82
	ds_load_b128 v[5:8], v82 offset:16
	v_cmp_eq_u32_e64 s2, 1, v80
	v_cmp_eq_u32_e64 s3, 2, v79
	;; [unrolled: 1-line block ×5, first 2 shown]
	s_waitcnt lgkmcnt(1)
	v_lshrrev_b32_e32 v9, 16, v1
	s_waitcnt lgkmcnt(0)
	v_lshrrev_b32_e32 v13, 16, v5
	v_lshrrev_b32_e32 v10, 16, v2
	;; [unrolled: 1-line block ×4, first 2 shown]
	v_cndmask_b32_e64 v19, v1, v9, s2
	v_cndmask_b32_e32 v18, v5, v13, vcc_lo
	v_cndmask_b32_e64 v20, v5, v13, s2
	v_cndmask_b32_e32 v17, v1, v9, vcc_lo
	v_cmp_eq_u32_e32 vcc_lo, 2, v80
	v_lshrrev_b32_e32 v15, 16, v7
	v_cmp_eq_u32_e64 s2, 1, v78
	v_lshrrev_b32_e32 v12, 16, v4
	v_lshrrev_b32_e32 v16, 16, v8
	v_cndmask_b32_e32 v20, v20, v6, vcc_lo
	v_cndmask_b32_e64 v17, v17, v2, s3
	v_cndmask_b32_e32 v19, v19, v2, vcc_lo
	v_cndmask_b32_e64 v18, v18, v6, s3
	v_cmp_eq_u32_e32 vcc_lo, 4, v79
	v_cmp_eq_u32_e64 s3, 3, v80
	v_cndmask_b32_e64 v17, v17, v10, s4
	v_cndmask_b32_e64 v21, v1, v9, s2
	;; [unrolled: 1-line block ×5, first 2 shown]
	v_cndmask_b32_e32 v17, v17, v3, vcc_lo
	v_cndmask_b32_e64 v20, v20, v14, s3
	v_cndmask_b32_e32 v18, v18, v7, vcc_lo
	v_cmp_eq_u32_e32 vcc_lo, 4, v80
	v_cmp_eq_u32_e64 s3, 5, v80
	v_cmp_eq_u32_e64 s2, 2, v81
	v_cndmask_b32_e64 v21, v21, v2, s6
	v_cmp_eq_u32_e64 s4, 5, v79
	v_cndmask_b32_e32 v19, v19, v3, vcc_lo
	v_cndmask_b32_e32 v20, v20, v7, vcc_lo
	v_cmp_eq_u32_e32 vcc_lo, 6, v80
	s_delay_alu instid0(VALU_DEP_4) | instskip(NEXT) | instid1(VALU_DEP_4)
	v_cndmask_b32_e64 v17, v17, v11, s4
	v_cndmask_b32_e64 v19, v19, v11, s3
	s_delay_alu instid0(VALU_DEP_4) | instskip(SKIP_1) | instid1(VALU_DEP_3)
	v_cndmask_b32_e64 v20, v20, v15, s3
	v_cmp_eq_u32_e64 s3, 1, v81
	v_cndmask_b32_e32 v19, v19, v4, vcc_lo
	v_cndmask_b32_e64 v18, v18, v15, s4
	s_delay_alu instid0(VALU_DEP_3)
	v_cndmask_b32_e64 v1, v1, v9, s3
	v_cndmask_b32_e64 v5, v5, v13, s3
	v_cmp_eq_u32_e64 s3, 3, v78
	v_cndmask_b32_e64 v13, v22, v6, s6
	v_cmp_eq_u32_e64 s6, 3, v81
	v_cndmask_b32_e64 v1, v1, v2, s2
	v_cndmask_b32_e64 v2, v5, v6, s2
	;; [unrolled: 1-line block ×3, first 2 shown]
	v_cmp_eq_u32_e64 s2, 4, v78
	v_cndmask_b32_e64 v6, v13, v14, s3
	v_cndmask_b32_e64 v1, v1, v10, s6
	v_cmp_eq_u32_e64 s3, 4, v81
	v_cndmask_b32_e64 v2, v2, v14, s6
	v_cndmask_b32_e64 v5, v9, v3, s2
	;; [unrolled: 3-line block ×3, first 2 shown]
	v_cndmask_b32_e64 v2, v2, v7, s3
	v_cmp_eq_u32_e64 s2, 5, v81
	v_cmp_eq_u32_e64 s4, 6, v79
	v_cndmask_b32_e64 v5, v5, v11, s6
	v_cmp_eq_u32_e64 s3, 6, v78
	v_cndmask_b32_e64 v3, v6, v15, s6
	v_cndmask_b32_e64 v1, v1, v11, s2
	v_cmp_eq_u32_e64 s6, 6, v81
	v_cndmask_b32_e64 v2, v2, v15, s2
	v_cndmask_b32_e64 v17, v17, v4, s4
	v_cndmask_b32_e64 v18, v18, v8, s4
	v_cmp_eq_u32_e64 s4, 7, v79
	v_cndmask_b32_e64 v5, v5, v4, s3
	;; [unrolled: 4-line block ×3, first 2 shown]
	v_cmp_eq_u32_e64 s3, 7, v78
	v_cndmask_b32_e32 v4, v20, v8, vcc_lo
	v_cndmask_b32_e64 v17, v17, v12, s4
	v_cndmask_b32_e64 v19, v19, v12, s5
	;; [unrolled: 1-line block ×8, first 2 shown]
	s_mov_b32 s2, exec_lo
	v_perm_b32 v4, v2, v1, 0x5040100
	v_perm_b32 v3, v3, v5, 0x5040100
	v_perm_b32 v2, v6, v19, 0x5040100
	v_perm_b32 v1, v7, v17, 0x5040100
	ds_store_b128 v77, v[1:4]
	s_waitcnt lgkmcnt(0)
	s_barrier
	buffer_gl0_inv
	v_cmpx_gt_u32_e32 32, v0
	s_cbranch_execz .LBB1821_2
; %bb.111:
	s_load_b64 s[0:1], s[0:1], 0x68
	v_lshlrev_b32_e32 v0, 10, v0
	s_lshl_b32 s4, s34, 7
	v_or_b32_e32 v23, s29, v74
	s_mul_i32 s2, s4, s30
	v_lshlrev_b32_e32 v1, 4, v75
	v_lshlrev_b32_e32 v2, 6, v74
	s_mul_i32 s2, s2, s7
	v_and_b32_e32 v0, 0x3800, v0
	v_mul_lo_u32 v8, v23, s4
	s_ashr_i32 s3, s2, 31
	v_or_b32_e32 v3, 2, v23
	s_lshl_b64 s[2:3], s[2:3], 1
	v_or3_b32 v27, v0, v1, v2
	v_or_b32_e32 v11, 4, v23
	v_or_b32_e32 v18, 6, v23
	v_mul_lo_u32 v10, v3, s4
	v_ashrrev_i32_e32 v9, 31, v8
	ds_load_b128 v[0:3], v27
	ds_load_b128 v[4:7], v27 offset:128
	v_mul_lo_u32 v12, v11, s4
	s_waitcnt lgkmcnt(0)
	s_add_u32 s2, s0, s2
	s_addc_u32 s3, s1, s3
	s_lshl_b32 s0, s14, 7
	v_lshlrev_b64 v[8:9], 1, v[8:9]
	s_ashr_i32 s1, s0, 31
	v_ashrrev_i32_e32 v11, 31, v10
	s_lshl_b64 s[0:1], s[0:1], 1
	v_ashrrev_i32_e32 v13, 31, v12
	s_add_u32 s0, s2, s0
	s_addc_u32 s1, s3, s1
	v_add_co_u32 v30, s0, s0, v73
	s_delay_alu instid0(VALU_DEP_1) | instskip(SKIP_1) | instid1(VALU_DEP_3)
	v_add_co_ci_u32_e64 v31, null, s1, 0, s0
	v_lshlrev_b64 v[16:17], 1, v[10:11]
	v_add_co_u32 v14, vcc_lo, v30, v8
	s_delay_alu instid0(VALU_DEP_3)
	v_add_co_ci_u32_e32 v15, vcc_lo, v31, v9, vcc_lo
	ds_load_b128 v[8:11], v27 offset:256
	v_mul_lo_u32 v18, v18, s4
	v_or_b32_e32 v19, 8, v23
	v_add_co_u32 v16, vcc_lo, v30, v16
	global_store_b128 v[14:15], v[0:3], off
	v_lshlrev_b64 v[0:1], 1, v[12:13]
	v_add_co_ci_u32_e32 v17, vcc_lo, v31, v17, vcc_lo
	v_mul_lo_u32 v12, v19, s4
	v_ashrrev_i32_e32 v19, 31, v18
	v_or_b32_e32 v14, 10, v23
	global_store_b128 v[16:17], v[4:7], off
	v_add_co_u32 v4, vcc_lo, v30, v0
	v_add_co_ci_u32_e32 v5, vcc_lo, v31, v1, vcc_lo
	ds_load_b128 v[0:3], v27 offset:384
	v_ashrrev_i32_e32 v13, 31, v12
	v_lshlrev_b64 v[6:7], 1, v[18:19]
	v_mul_lo_u32 v14, v14, s4
	s_waitcnt lgkmcnt(1)
	global_store_b128 v[4:5], v[8:11], off
	v_or_b32_e32 v8, 12, v23
	v_lshlrev_b64 v[4:5], 1, v[12:13]
	v_add_co_u32 v20, vcc_lo, v30, v6
	v_or_b32_e32 v6, 14, v23
	v_ashrrev_i32_e32 v15, 31, v14
	v_mul_lo_u32 v22, v8, s4
	v_add_co_ci_u32_e32 v21, vcc_lo, v31, v7, vcc_lo
	v_add_co_u32 v24, vcc_lo, v30, v4
	v_mul_lo_u32 v26, v6, s4
	v_add_co_ci_u32_e32 v25, vcc_lo, v31, v5, vcc_lo
	v_lshlrev_b64 v[28:29], 1, v[14:15]
	ds_load_b128 v[4:7], v27 offset:512
	ds_load_b128 v[8:11], v27 offset:640
	ds_load_b128 v[12:15], v27 offset:768
	ds_load_b128 v[16:19], v27 offset:896
	v_ashrrev_i32_e32 v23, 31, v22
	v_ashrrev_i32_e32 v27, 31, v26
	v_add_co_u32 v28, vcc_lo, v30, v28
	s_delay_alu instid0(VALU_DEP_3) | instskip(SKIP_1) | instid1(VALU_DEP_4)
	v_lshlrev_b64 v[22:23], 1, v[22:23]
	v_add_co_ci_u32_e32 v29, vcc_lo, v31, v29, vcc_lo
	v_lshlrev_b64 v[26:27], 1, v[26:27]
	s_delay_alu instid0(VALU_DEP_3) | instskip(NEXT) | instid1(VALU_DEP_4)
	v_add_co_u32 v22, vcc_lo, v30, v22
	v_add_co_ci_u32_e32 v23, vcc_lo, v31, v23, vcc_lo
	s_delay_alu instid0(VALU_DEP_3) | instskip(NEXT) | instid1(VALU_DEP_4)
	v_add_co_u32 v26, vcc_lo, v30, v26
	v_add_co_ci_u32_e32 v27, vcc_lo, v31, v27, vcc_lo
	s_waitcnt lgkmcnt(4)
	global_store_b128 v[20:21], v[0:3], off
	s_waitcnt lgkmcnt(3)
	global_store_b128 v[24:25], v[4:7], off
	;; [unrolled: 2-line block ×5, first 2 shown]
	s_nop 0
	s_sendmsg sendmsg(MSG_DEALLOC_VGPRS)
	s_endpgm
	.section	.rodata,"a",@progbits
	.p2align	6, 0x0
	.amdhsa_kernel _Z39paged_attention_ll4mi_QKV_mfma16_kernelI14__hip_bfloat16hLN4vllm18Fp8KVCacheDataTypeE1EhLi16ELi128ELi256ELb0ELi16EL8MFMAType0EEvPKT_PKT0_S9_ifPKiSB_SB_iPKfiiiPfSE_PS4_PT2_iSD_SD_
		.amdhsa_group_segment_fixed_size 17472
		.amdhsa_private_segment_fixed_size 0
		.amdhsa_kernarg_size 400
		.amdhsa_user_sgpr_count 13
		.amdhsa_user_sgpr_dispatch_ptr 0
		.amdhsa_user_sgpr_queue_ptr 0
		.amdhsa_user_sgpr_kernarg_segment_ptr 1
		.amdhsa_user_sgpr_dispatch_id 0
		.amdhsa_user_sgpr_private_segment_size 0
		.amdhsa_wavefront_size32 1
		.amdhsa_uses_dynamic_stack 0
		.amdhsa_enable_private_segment 0
		.amdhsa_system_sgpr_workgroup_id_x 1
		.amdhsa_system_sgpr_workgroup_id_y 1
		.amdhsa_system_sgpr_workgroup_id_z 1
		.amdhsa_system_sgpr_workgroup_info 0
		.amdhsa_system_vgpr_workitem_id 0
		.amdhsa_next_free_vgpr 141
		.amdhsa_next_free_sgpr 36
		.amdhsa_reserve_vcc 1
		.amdhsa_float_round_mode_32 0
		.amdhsa_float_round_mode_16_64 0
		.amdhsa_float_denorm_mode_32 3
		.amdhsa_float_denorm_mode_16_64 3
		.amdhsa_dx10_clamp 1
		.amdhsa_ieee_mode 1
		.amdhsa_fp16_overflow 0
		.amdhsa_workgroup_processor_mode 1
		.amdhsa_memory_ordered 1
		.amdhsa_forward_progress 0
		.amdhsa_shared_vgpr_count 0
		.amdhsa_exception_fp_ieee_invalid_op 0
		.amdhsa_exception_fp_denorm_src 0
		.amdhsa_exception_fp_ieee_div_zero 0
		.amdhsa_exception_fp_ieee_overflow 0
		.amdhsa_exception_fp_ieee_underflow 0
		.amdhsa_exception_fp_ieee_inexact 0
		.amdhsa_exception_int_div_zero 0
	.end_amdhsa_kernel
	.section	.text._Z39paged_attention_ll4mi_QKV_mfma16_kernelI14__hip_bfloat16hLN4vllm18Fp8KVCacheDataTypeE1EhLi16ELi128ELi256ELb0ELi16EL8MFMAType0EEvPKT_PKT0_S9_ifPKiSB_SB_iPKfiiiPfSE_PS4_PT2_iSD_SD_,"axG",@progbits,_Z39paged_attention_ll4mi_QKV_mfma16_kernelI14__hip_bfloat16hLN4vllm18Fp8KVCacheDataTypeE1EhLi16ELi128ELi256ELb0ELi16EL8MFMAType0EEvPKT_PKT0_S9_ifPKiSB_SB_iPKfiiiPfSE_PS4_PT2_iSD_SD_,comdat
.Lfunc_end1821:
	.size	_Z39paged_attention_ll4mi_QKV_mfma16_kernelI14__hip_bfloat16hLN4vllm18Fp8KVCacheDataTypeE1EhLi16ELi128ELi256ELb0ELi16EL8MFMAType0EEvPKT_PKT0_S9_ifPKiSB_SB_iPKfiiiPfSE_PS4_PT2_iSD_SD_, .Lfunc_end1821-_Z39paged_attention_ll4mi_QKV_mfma16_kernelI14__hip_bfloat16hLN4vllm18Fp8KVCacheDataTypeE1EhLi16ELi128ELi256ELb0ELi16EL8MFMAType0EEvPKT_PKT0_S9_ifPKiSB_SB_iPKfiiiPfSE_PS4_PT2_iSD_SD_
                                        ; -- End function
	.section	.AMDGPU.csdata,"",@progbits
; Kernel info:
; codeLenInByte = 9036
; NumSgprs: 38
; NumVgprs: 141
; ScratchSize: 0
; MemoryBound: 0
; FloatMode: 240
; IeeeMode: 1
; LDSByteSize: 17472 bytes/workgroup (compile time only)
; SGPRBlocks: 4
; VGPRBlocks: 17
; NumSGPRsForWavesPerEU: 38
; NumVGPRsForWavesPerEU: 141
; Occupancy: 10
; WaveLimiterHint : 1
; COMPUTE_PGM_RSRC2:SCRATCH_EN: 0
; COMPUTE_PGM_RSRC2:USER_SGPR: 13
; COMPUTE_PGM_RSRC2:TRAP_HANDLER: 0
; COMPUTE_PGM_RSRC2:TGID_X_EN: 1
; COMPUTE_PGM_RSRC2:TGID_Y_EN: 1
; COMPUTE_PGM_RSRC2:TGID_Z_EN: 1
; COMPUTE_PGM_RSRC2:TIDIG_COMP_CNT: 0
	.section	.text._Z39paged_attention_ll4mi_QKV_mfma16_kernelI14__hip_bfloat16hLN4vllm18Fp8KVCacheDataTypeE1EhLi16ELi128ELi256ELb0ELi1EL8MFMAType0EEvPKT_PKT0_S9_ifPKiSB_SB_iPKfiiiPfSE_PS4_PT2_iSD_SD_,"axG",@progbits,_Z39paged_attention_ll4mi_QKV_mfma16_kernelI14__hip_bfloat16hLN4vllm18Fp8KVCacheDataTypeE1EhLi16ELi128ELi256ELb0ELi1EL8MFMAType0EEvPKT_PKT0_S9_ifPKiSB_SB_iPKfiiiPfSE_PS4_PT2_iSD_SD_,comdat
	.protected	_Z39paged_attention_ll4mi_QKV_mfma16_kernelI14__hip_bfloat16hLN4vllm18Fp8KVCacheDataTypeE1EhLi16ELi128ELi256ELb0ELi1EL8MFMAType0EEvPKT_PKT0_S9_ifPKiSB_SB_iPKfiiiPfSE_PS4_PT2_iSD_SD_ ; -- Begin function _Z39paged_attention_ll4mi_QKV_mfma16_kernelI14__hip_bfloat16hLN4vllm18Fp8KVCacheDataTypeE1EhLi16ELi128ELi256ELb0ELi1EL8MFMAType0EEvPKT_PKT0_S9_ifPKiSB_SB_iPKfiiiPfSE_PS4_PT2_iSD_SD_
	.globl	_Z39paged_attention_ll4mi_QKV_mfma16_kernelI14__hip_bfloat16hLN4vllm18Fp8KVCacheDataTypeE1EhLi16ELi128ELi256ELb0ELi1EL8MFMAType0EEvPKT_PKT0_S9_ifPKiSB_SB_iPKfiiiPfSE_PS4_PT2_iSD_SD_
	.p2align	8
	.type	_Z39paged_attention_ll4mi_QKV_mfma16_kernelI14__hip_bfloat16hLN4vllm18Fp8KVCacheDataTypeE1EhLi16ELi128ELi256ELb0ELi1EL8MFMAType0EEvPKT_PKT0_S9_ifPKiSB_SB_iPKfiiiPfSE_PS4_PT2_iSD_SD_,@function
_Z39paged_attention_ll4mi_QKV_mfma16_kernelI14__hip_bfloat16hLN4vllm18Fp8KVCacheDataTypeE1EhLi16ELi128ELi256ELb0ELi1EL8MFMAType0EEvPKT_PKT0_S9_ifPKiSB_SB_iPKfiiiPfSE_PS4_PT2_iSD_SD_: ; @_Z39paged_attention_ll4mi_QKV_mfma16_kernelI14__hip_bfloat16hLN4vllm18Fp8KVCacheDataTypeE1EhLi16ELi128ELi256ELb0ELi1EL8MFMAType0EEvPKT_PKT0_S9_ifPKiSB_SB_iPKfiiiPfSE_PS4_PT2_iSD_SD_
; %bb.0:
	s_load_b64 s[4:5], s[0:1], 0x30
	s_mov_b32 s34, s13
	s_waitcnt lgkmcnt(0)
	s_cmp_lg_u64 s[4:5], 0
	s_cselect_b32 s6, -1, 0
	s_ashr_i32 s35, s13, 31
	s_cmp_eq_u64 s[4:5], 0
	s_cbranch_scc1 .LBB1822_3
; %bb.1:
	s_lshl_b64 s[2:3], s[34:35], 2
	s_delay_alu instid0(SALU_CYCLE_1) | instskip(SKIP_4) | instid1(SALU_CYCLE_1)
	s_add_u32 s2, s4, s2
	s_addc_u32 s3, s5, s3
	s_load_b64 s[2:3], s[2:3], 0x0
	s_waitcnt lgkmcnt(0)
	s_sub_i32 s2, s3, s2
	s_cmp_eq_u32 s2, 1
	s_cselect_b32 s2, -1, 0
	s_delay_alu instid0(SALU_CYCLE_1)
	s_and_not1_b32 vcc_lo, exec_lo, s2
	s_cbranch_vccz .LBB1822_4
.LBB1822_2:
	s_endpgm
.LBB1822_3:
.LBB1822_4:
	s_load_b64 s[2:3], s[0:1], 0x28
	s_lshl_b64 s[8:9], s[34:35], 2
	s_waitcnt lgkmcnt(0)
	s_add_u32 s2, s2, s8
	s_addc_u32 s3, s3, s9
	s_lshl_b32 s12, s14, 8
	s_load_b32 s33, s[2:3], 0x0
	s_waitcnt lgkmcnt(0)
	s_cmp_ge_i32 s12, s33
	s_cbranch_scc1 .LBB1822_2
; %bb.5:
	s_clause 0x1
	s_load_b128 s[56:59], s[0:1], 0x8
	s_load_b64 s[2:3], s[0:1], 0x20
	s_and_not1_b32 vcc_lo, exec_lo, s6
	s_mov_b64 s[6:7], s[34:35]
	s_cbranch_vccnz .LBB1822_7
; %bb.6:
	s_add_u32 s4, s4, s8
	s_addc_u32 s5, s5, s9
	s_load_b32 s6, s[4:5], 0x0
.LBB1822_7:
	s_load_b128 s[52:55], s[0:1], 0x48
	v_and_b32_e32 v65, 15, v0
	s_mov_b32 s13, exec_lo
                                        ; implicit-def: $sgpr36
                                        ; implicit-def: $sgpr24
                                        ; implicit-def: $sgpr16
                                        ; implicit-def: $sgpr4
	s_delay_alu instid0(VALU_DEP_1)
	v_cmpx_eq_u32_e32 0, v65
	s_cbranch_execz .LBB1822_9
; %bb.8:
	s_load_b64 s[4:5], s[0:1], 0x0
	s_waitcnt lgkmcnt(0)
	s_mul_hi_i32 s7, s6, s52
	s_mul_i32 s6, s6, s52
	s_delay_alu instid0(SALU_CYCLE_1) | instskip(NEXT) | instid1(SALU_CYCLE_1)
	s_lshl_b64 s[6:7], s[6:7], 1
	s_add_u32 s6, s4, s6
	s_addc_u32 s7, s5, s7
	s_lshl_b32 s4, s15, 7
	s_delay_alu instid0(SALU_CYCLE_1) | instskip(NEXT) | instid1(SALU_CYCLE_1)
	s_ashr_i32 s5, s4, 31
	s_lshl_b64 s[4:5], s[4:5], 1
	s_delay_alu instid0(SALU_CYCLE_1)
	s_add_u32 s4, s6, s4
	s_addc_u32 s5, s7, s5
	s_clause 0x3
	s_load_b256 s[36:43], s[4:5], 0x0
	s_load_b256 s[24:31], s[4:5], 0x40
	;; [unrolled: 1-line block ×4, first 2 shown]
.LBB1822_9:
	s_or_b32 exec_lo, exec_lo, s13
	v_and_b32_e32 v1, 0xef, v0
	s_add_i32 s13, s33, 15
	s_load_b32 s44, s[0:1], 0x38
	s_ashr_i32 s35, s13, 31
	s_waitcnt lgkmcnt(0)
	s_mul_i32 s62, s15, s54
	v_add_nc_u32_e32 v1, s12, v1
	s_lshr_b32 s35, s35, 28
	v_dual_mov_b32 v113, s31 :: v_dual_mov_b32 v106, s24
	s_add_i32 s13, s13, s35
	s_delay_alu instid0(VALU_DEP_2)
	v_ashrrev_i32_e32 v2, 31, v1
	v_or_b32_e32 v3, 16, v1
	s_ashr_i32 s13, s13, 4
	v_cmp_gt_i32_e32 vcc_lo, s33, v1
	s_add_i32 s13, s13, -1
	v_lshrrev_b32_e32 v2, 28, v2
	s_load_b32 s35, s[0:1], 0x1c
	v_mov_b32_e32 v111, s29
	v_mov_b32_e32 v109, s27
	s_delay_alu instid0(VALU_DEP_3)
	v_dual_mov_b32 v107, s25 :: v_dual_add_nc_u32 v4, v1, v2
	v_lshlrev_b32_e32 v73, 4, v65
	s_mul_i32 s44, s34, s44
	v_lshrrev_b32_e32 v66, 5, v0
	s_ashr_i32 s45, s44, 31
	v_ashrrev_i32_e32 v4, 4, v4
	v_add_nc_u32_e32 v2, v3, v2
	s_lshl_b64 s[44:45], s[44:45], 2
	v_mov_b32_e32 v112, s30
	s_add_u32 s61, s2, s44
	v_cndmask_b32_e32 v1, s13, v4, vcc_lo
	v_ashrrev_i32_e32 v2, 4, v2
	v_cmp_gt_i32_e32 vcc_lo, s33, v3
	s_addc_u32 s60, s3, s45
	s_ashr_i32 s63, s62, 31
	s_add_u32 s52, s56, s62
	s_addc_u32 s56, s57, s63
	v_cndmask_b32_e32 v3, s13, v2, vcc_lo
	v_ashrrev_i32_e32 v2, 31, v1
	s_lshl_b32 s2, s14, 4
	v_mov_b32_e32 v110, s28
	s_ashr_i32 s3, s2, 31
	v_ashrrev_i32_e32 v4, 31, v3
	v_lshlrev_b64 v[1:2], 2, v[1:2]
	s_lshl_b64 s[2:3], s[2:3], 2
	v_mov_b32_e32 v108, s26
	s_add_u32 s2, s61, s2
	v_lshlrev_b64 v[3:4], 2, v[3:4]
	s_addc_u32 s3, s60, s3
	v_add_co_u32 v1, vcc_lo, s61, v1
	v_add_co_ci_u32_e32 v2, vcc_lo, s60, v2, vcc_lo
	s_delay_alu instid0(VALU_DEP_3) | instskip(NEXT) | instid1(VALU_DEP_4)
	v_add_co_u32 v3, vcc_lo, s61, v3
	v_add_co_ci_u32_e32 v4, vcc_lo, s60, v4, vcc_lo
	s_clause 0x1
	global_load_b32 v5, v[1:2], off
	global_load_b32 v3, v[3:4], off
	s_or_b32 s44, s12, 32
	v_lshlrev_b32_e32 v1, 4, v0
	s_ashr_i32 s45, s44, 4
	s_cmp_lt_i32 s44, s33
	s_cselect_b32 s44, s45, s13
	s_delay_alu instid0(VALU_DEP_1) | instskip(SKIP_1) | instid1(SALU_CYCLE_1)
	v_and_b32_e32 v1, 0xf0, v1
	s_ashr_i32 s45, s44, 31
	s_lshl_b64 s[44:45], s[44:45], 2
	s_delay_alu instid0(SALU_CYCLE_1)
	s_add_u32 s44, s61, s44
	s_addc_u32 s45, s60, s45
	s_or_b32 s46, s12, 64
	v_add_co_u32 v1, s52, s52, v1
	s_ashr_i32 s47, s46, 4
	s_cmp_lt_i32 s46, s33
	v_add_co_ci_u32_e64 v2, null, s56, 0, s52
	s_cselect_b32 s46, s47, s13
	s_delay_alu instid0(SALU_CYCLE_1) | instskip(NEXT) | instid1(SALU_CYCLE_1)
	s_ashr_i32 s47, s46, 31
	s_lshl_b64 s[46:47], s[46:47], 2
	s_delay_alu instid0(SALU_CYCLE_1) | instskip(SKIP_2) | instid1(SALU_CYCLE_1)
	s_add_u32 s46, s61, s46
	s_addc_u32 s47, s60, s47
	s_or_b32 s48, s12, 0x60
	s_ashr_i32 s49, s48, 4
	s_cmp_lt_i32 s48, s33
	s_cselect_b32 s48, s49, s13
	s_delay_alu instid0(SALU_CYCLE_1) | instskip(NEXT) | instid1(SALU_CYCLE_1)
	s_ashr_i32 s49, s48, 31
	s_lshl_b64 s[48:49], s[48:49], 2
	s_delay_alu instid0(SALU_CYCLE_1) | instskip(SKIP_2) | instid1(SALU_CYCLE_1)
	s_add_u32 s48, s61, s48
	s_addc_u32 s49, s60, s49
	s_or_b32 s50, s12, 0x80
	s_ashr_i32 s51, s50, 4
	s_cmp_lt_i32 s50, s33
	s_cselect_b32 s50, s51, s13
	s_delay_alu instid0(SALU_CYCLE_1) | instskip(NEXT) | instid1(SALU_CYCLE_1)
	s_ashr_i32 s51, s50, 31
	s_lshl_b64 s[50:51], s[50:51], 2
	s_delay_alu instid0(SALU_CYCLE_1) | instskip(SKIP_2) | instid1(SALU_CYCLE_1)
	s_add_u32 s50, s61, s50
	s_addc_u32 s51, s60, s51
	s_or_b32 s54, s12, 0xa0
	s_ashr_i32 s55, s54, 4
	s_cmp_lt_i32 s54, s33
	s_cselect_b32 s54, s55, s13
	s_delay_alu instid0(SALU_CYCLE_1) | instskip(NEXT) | instid1(SALU_CYCLE_1)
	s_ashr_i32 s55, s54, 31
	s_lshl_b64 s[54:55], s[54:55], 2
	s_delay_alu instid0(SALU_CYCLE_1)
	s_add_u32 s64, s61, s54
	s_addc_u32 s65, s60, s55
	s_clause 0x5
	s_load_b32 s56, s[2:3], 0x0
	s_load_b32 s3, s[44:45], 0x0
	;; [unrolled: 1-line block ×6, first 2 shown]
	s_or_b32 s24, s12, 0xc0
	s_mov_b32 s44, 0
	s_ashr_i32 s25, s24, 4
	s_mov_b32 s45, s44
	s_mov_b32 s46, s44
	;; [unrolled: 1-line block ×7, first 2 shown]
	v_dual_mov_b32 v121, s23 :: v_dual_mov_b32 v120, s22
	v_dual_mov_b32 v119, s21 :: v_dual_mov_b32 v118, s20
	;; [unrolled: 1-line block ×4, first 2 shown]
	v_lshl_or_b32 v33, v66, 8, v73
	v_dual_mov_b32 v129, s51 :: v_dual_mov_b32 v128, s50
	v_dual_mov_b32 v127, s49 :: v_dual_mov_b32 v126, s48
	;; [unrolled: 1-line block ×4, first 2 shown]
	s_cmp_lt_i32 s24, s33
	s_cselect_b32 s16, s25, s13
	s_delay_alu instid0(SALU_CYCLE_1) | instskip(NEXT) | instid1(SALU_CYCLE_1)
	s_ashr_i32 s17, s16, 31
	s_lshl_b64 s[16:17], s[16:17], 2
	s_delay_alu instid0(SALU_CYCLE_1) | instskip(SKIP_2) | instid1(SALU_CYCLE_1)
	s_add_u32 s16, s61, s16
	s_addc_u32 s17, s60, s17
	s_or_b32 s18, s12, 0xe0
	s_ashr_i32 s19, s18, 4
	s_cmp_lt_i32 s18, s33
	s_cselect_b32 s18, s19, s13
	s_delay_alu instid0(SALU_CYCLE_1) | instskip(NEXT) | instid1(SALU_CYCLE_1)
	s_ashr_i32 s19, s18, 31
	s_lshl_b64 s[18:19], s[18:19], 2
	s_delay_alu instid0(SALU_CYCLE_1) | instskip(SKIP_4) | instid1(VALU_DEP_1)
	s_add_u32 s18, s61, s18
	s_addc_u32 s19, s60, s19
	s_add_u32 s13, s58, s62
	s_addc_u32 s20, s59, s63
	v_add_co_u32 v67, s13, s13, v33
	v_add_co_ci_u32_e64 v68, null, s20, 0, s13
	s_waitcnt lgkmcnt(0)
	s_delay_alu instid0(VALU_DEP_1)
	v_mad_i64_i32 v[33:34], null, s56, s53, v[67:68]
	v_mad_i64_i32 v[69:70], null, s54, s53, v[67:68]
	;; [unrolled: 1-line block ×5, first 2 shown]
	s_waitcnt vmcnt(1)
	v_mad_i64_i32 v[25:26], null, v5, s53, v[1:2]
	s_waitcnt vmcnt(0)
	v_mad_i64_i32 v[27:28], null, v3, s53, v[1:2]
	s_clause 0xf
	global_load_b128 v[1:4], v[25:26], off
	global_load_b128 v[5:8], v[25:26], off offset:256
	global_load_b128 v[9:12], v[27:28], off
	global_load_b128 v[13:16], v[27:28], off offset:256
	global_load_b128 v[17:20], v[25:26], off offset:512
	;; [unrolled: 1-line block ×13, first 2 shown]
	v_mov_b32_e32 v25, s36
	v_mov_b32_e32 v27, s38
	v_mov_b32_e32 v29, s40
	v_mov_b32_e32 v31, s42
	s_clause 0x1
	s_load_b32 s13, s[16:17], 0x0
	s_load_b32 s16, s[18:19], 0x0
	v_mov_b32_e32 v26, s37
	v_mov_b32_e32 v28, s39
	;; [unrolled: 1-line block ×4, first 2 shown]
	s_clause 0x5
	global_load_b128 v[49:52], v[33:34], off
	global_load_b128 v[53:56], v[33:34], off offset:16
	global_load_b128 v[41:44], v[35:36], off
	global_load_b128 v[45:48], v[35:36], off offset:16
	;; [unrolled: 2-line block ×3, first 2 shown]
	s_waitcnt vmcnt(20)
	v_wmma_f32_16x16x16_bf16 v[130:137], v[1:8], v[25:32], v[122:129]
	s_waitcnt vmcnt(18)
	v_wmma_f32_16x16x16_bf16 v[122:129], v[9:16], v[25:32], v[122:129]
	v_mad_i64_i32 v[13:14], null, s2, s53, v[67:68]
	s_waitcnt vmcnt(16)
	v_wmma_f32_16x16x16_bf16 v[130:137], v[17:24], v[106:113], v[130:137]
	s_waitcnt lgkmcnt(0)
	v_mad_i64_i32 v[21:22], null, s13, s53, v[67:68]
	s_clause 0x1
	global_load_b128 v[25:28], v[69:70], off
	global_load_b128 v[29:32], v[69:70], off offset:16
	v_mad_i64_i32 v[69:70], null, s16, s53, v[67:68]
	s_waitcnt vmcnt(16)
	v_wmma_f32_16x16x16_bf16 v[122:129], v[57:64], v[106:113], v[122:129]
	s_clause 0x7
	global_load_b128 v[1:4], v[71:72], off
	global_load_b128 v[5:8], v[71:72], off offset:16
	global_load_b128 v[9:12], v[13:14], off
	global_load_b128 v[13:16], v[13:14], off offset:16
	;; [unrolled: 2-line block ×4, first 2 shown]
	v_mbcnt_lo_u32_b32 v68, -1, 0
	s_waitcnt vmcnt(22)
	v_wmma_f32_16x16x16_bf16 v[130:137], v[74:81], v[114:121], v[130:137]
	s_waitcnt vmcnt(20)
	v_wmma_f32_16x16x16_bf16 v[122:129], v[82:89], v[114:121], v[122:129]
	v_dual_mov_b32 v82, s11 :: v_dual_mov_b32 v81, s10
	v_xor_b32_e32 v69, 16, v68
	v_dual_mov_b32 v80, s9 :: v_dual_mov_b32 v79, s8
	v_dual_mov_b32 v78, s7 :: v_dual_mov_b32 v77, s6
	;; [unrolled: 1-line block ×3, first 2 shown]
	s_delay_alu instid0(VALU_DEP_4) | instskip(SKIP_4) | instid1(VALU_DEP_3)
	v_cmp_gt_i32_e32 vcc_lo, 32, v69
	v_and_b32_e32 v67, 0xe0, v0
	v_bfe_u32 v74, v0, 4, 1
	s_waitcnt vmcnt(0)
	v_wmma_f32_16x16x16_bf16 v[130:137], v[90:97], v[75:82], v[130:137]
	v_dual_cndmask_b32 v68, v68, v69 :: v_dual_add_nc_u32 v67, s12, v67
	s_barrier
	buffer_gl0_inv
	v_mul_f32_e32 v92, s35, v131
	v_wmma_f32_16x16x16_bf16 v[122:129], v[98:105], v[75:82], v[122:129]
	v_mul_f32_e32 v78, s35, v136
	v_or_b32_e32 v67, v67, v74
	v_mul_f32_e32 v93, s35, v130
	v_dual_mul_f32 v81, s35, v133 :: v_dual_mul_f32 v82, s35, v132
	v_dual_mul_f32 v79, s35, v135 :: v_dual_mul_f32 v98, s35, v125
	s_delay_alu instid0(VALU_DEP_4)
	v_or_b32_e32 v69, 2, v67
	v_or_b32_e32 v70, 4, v67
	;; [unrolled: 1-line block ×3, first 2 shown]
	v_cmp_gt_i32_e64 s2, s33, v67
	v_or_b32_e32 v72, 8, v67
	v_cmp_gt_i32_e32 vcc_lo, s33, v69
	v_or_b32_e32 v83, 10, v67
	v_cmp_gt_i32_e64 s3, s33, v70
	v_cndmask_b32_e64 v93, 0xff7fffff, v93, s2
	v_cmp_gt_i32_e64 s4, s33, v71
	v_cndmask_b32_e32 v92, 0xff7fffff, v92, vcc_lo
	v_or_b32_e32 v84, 12, v67
	v_or_b32_e32 v85, 14, v67
	v_mul_f32_e32 v80, s35, v134
	v_cndmask_b32_e64 v70, 0xff7fffff, v82, s3
	v_cndmask_b32_e64 v71, 0xff7fffff, v81, s4
	v_max3_f32 v81, v93, 0xff7fffff, v92
	v_cmp_gt_i32_e64 s5, s33, v72
	v_cmp_gt_i32_e64 s6, s33, v83
	v_or_b32_e32 v86, 16, v67
	v_or_b32_e32 v87, 18, v67
	v_dual_mul_f32 v77, s35, v137 :: v_dual_mul_f32 v96, s35, v127
	v_cndmask_b32_e64 v72, 0xff7fffff, v80, s5
	v_cndmask_b32_e64 v79, 0xff7fffff, v79, s6
	v_max3_f32 v70, v81, v70, v71
	v_cmp_gt_i32_e64 s7, s33, v84
	v_cmp_gt_i32_e64 s8, s33, v85
	v_or_b32_e32 v88, 20, v67
	v_or_b32_e32 v89, 22, v67
	;; [unrolled: 1-line block ×6, first 2 shown]
	v_mul_f32_e32 v69, s35, v123
	v_mul_f32_e32 v67, s35, v122
	v_cndmask_b32_e64 v71, 0xff7fffff, v78, s7
	v_cndmask_b32_e64 v77, 0xff7fffff, v77, s8
	v_max3_f32 v70, v70, v72, v79
	v_cmp_gt_i32_e64 s9, s33, v86
	v_cmp_gt_i32_e64 s10, s33, v87
	v_mul_f32_e32 v99, s35, v124
	v_cmp_gt_i32_e64 s11, s33, v88
	v_max3_f32 v70, v70, v71, v77
	v_cndmask_b32_e64 v67, 0xff7fffff, v67, s9
	v_cndmask_b32_e64 v69, 0xff7fffff, v69, s10
	v_cmp_gt_i32_e64 s12, s33, v89
	v_mul_f32_e32 v97, s35, v126
	v_cndmask_b32_e64 v71, 0xff7fffff, v99, s11
	v_cmp_gt_i32_e64 s13, s33, v90
	v_max3_f32 v67, v70, v67, v69
	v_cndmask_b32_e64 v72, 0xff7fffff, v98, s12
	v_cmp_gt_i32_e64 s16, s33, v91
	v_dual_mul_f32 v94, s35, v129 :: v_dual_mul_f32 v95, s35, v128
	v_cndmask_b32_e64 v69, 0xff7fffff, v97, s13
	s_delay_alu instid0(VALU_DEP_4) | instskip(NEXT) | instid1(VALU_DEP_4)
	v_max3_f32 v67, v67, v71, v72
	v_cndmask_b32_e64 v70, 0xff7fffff, v96, s16
	v_cmp_gt_i32_e64 s17, s33, v75
	v_cmp_gt_i32_e64 s18, s33, v76
	v_lshlrev_b32_e32 v81, 2, v68
	s_delay_alu instid0(VALU_DEP_4) | instskip(NEXT) | instid1(VALU_DEP_4)
	v_max3_f32 v67, v67, v69, v70
	v_cndmask_b32_e64 v71, 0xff7fffff, v95, s17
	s_delay_alu instid0(VALU_DEP_4) | instskip(NEXT) | instid1(VALU_DEP_1)
	v_cndmask_b32_e64 v72, 0xff7fffff, v94, s18
	v_max3_f32 v67, v67, v71, v72
	ds_bpermute_b32 v68, v81, v67
	s_waitcnt lgkmcnt(0)
	v_max_f32_e32 v68, v68, v68
	s_delay_alu instid0(VALU_DEP_1) | instskip(NEXT) | instid1(VALU_DEP_1)
	v_max_f32_e32 v67, v67, v68
	v_fma_f32 v68, s35, v130, -v67
	v_fma_f32 v69, s35, v131, -v67
	;; [unrolled: 1-line block ×5, first 2 shown]
	s_delay_alu instid0(VALU_DEP_4) | instskip(NEXT) | instid1(VALU_DEP_3)
	v_dual_mul_f32 v68, 0x3fb8aa3b, v68 :: v_dual_mul_f32 v69, 0x3fb8aa3b, v69
	v_dual_mul_f32 v70, 0x3fb8aa3b, v70 :: v_dual_mul_f32 v71, 0x3fb8aa3b, v71
	s_delay_alu instid0(VALU_DEP_3) | instskip(NEXT) | instid1(VALU_DEP_3)
	v_mul_f32_e32 v72, 0x3fb8aa3b, v72
	v_exp_f32_e32 v68, v68
	s_delay_alu instid0(VALU_DEP_3) | instskip(NEXT) | instid1(VALU_DEP_2)
	v_exp_f32_e32 v69, v69
	v_exp_f32_e32 v70, v70
	;; [unrolled: 1-line block ×3, first 2 shown]
	v_fma_f32 v76, s35, v136, -v67
	v_exp_f32_e32 v72, v72
	s_delay_alu instid0(VALU_DEP_1) | instskip(SKIP_3) | instid1(TRANS32_DEP_3)
	v_mul_f32_e32 v76, 0x3fb8aa3b, v76
	v_cndmask_b32_e64 v79, 0, v68, s2
	v_fma_f32 v68, s35, v135, -v67
	v_cndmask_b32_e32 v75, 0, v69, vcc_lo
	v_cndmask_b32_e64 v82, 0, v70, s3
	s_delay_alu instid0(TRANS32_DEP_2) | instskip(NEXT) | instid1(VALU_DEP_4)
	v_cndmask_b32_e64 v84, 0, v71, s4
	v_dual_add_f32 v69, 0, v79 :: v_dual_mul_f32 v68, 0x3fb8aa3b, v68
	v_exp_f32_e32 v76, v76
	s_delay_alu instid0(TRANS32_DEP_2) | instskip(SKIP_1) | instid1(VALU_DEP_2)
	v_cndmask_b32_e64 v85, 0, v72, s5
	s_mov_b32 s3, exec_lo
	v_add_f32_e32 v69, v69, v75
	v_exp_f32_e32 v68, v68
	s_delay_alu instid0(VALU_DEP_1) | instskip(SKIP_4) | instid1(VALU_DEP_2)
	v_add_f32_e32 v69, v69, v82
	s_waitcnt_depctr 0xfff
	v_cndmask_b32_e64 v83, 0, v76, s7
	v_add_f32_e32 v69, v69, v84
	v_cndmask_b32_e64 v86, 0, v68, s6
	v_add_f32_e32 v68, v69, v85
	s_delay_alu instid0(VALU_DEP_1) | instskip(NEXT) | instid1(VALU_DEP_1)
	v_add_f32_e32 v68, v68, v86
	v_add_f32_e32 v68, v68, v83
	v_fma_f32 v72, s35, v123, -v67
	v_fma_f32 v70, s35, v137, -v67
	;; [unrolled: 1-line block ×5, first 2 shown]
	v_mul_f32_e32 v72, 0x3fb8aa3b, v72
	s_delay_alu instid0(VALU_DEP_4) | instskip(SKIP_1) | instid1(VALU_DEP_4)
	v_dual_mul_f32 v70, 0x3fb8aa3b, v70 :: v_dual_mul_f32 v69, 0x3fb8aa3b, v69
	v_fma_f32 v77, s35, v126, -v67
	v_mul_f32_e32 v76, 0x3fb8aa3b, v76
	s_delay_alu instid0(VALU_DEP_4) | instskip(NEXT) | instid1(VALU_DEP_3)
	v_exp_f32_e32 v72, v72
	v_exp_f32_e32 v70, v70
	;; [unrolled: 1-line block ×3, first 2 shown]
	v_fma_f32 v88, s35, v129, -v67
	v_exp_f32_e32 v76, v76
	s_delay_alu instid0(VALU_DEP_1) | instskip(SKIP_2) | instid1(TRANS32_DEP_3)
	v_mul_f32_e32 v88, 0x3fb8aa3b, v88
	v_cndmask_b32_e64 v69, 0, v72, s10
	v_mul_f32_e32 v71, 0x3fb8aa3b, v71
	v_cndmask_b32_e64 v87, 0, v70, s8
	v_fma_f32 v72, s35, v128, -v67
	s_delay_alu instid0(VALU_DEP_3) | instskip(NEXT) | instid1(VALU_DEP_2)
	v_exp_f32_e32 v71, v71
	v_add_f32_e32 v68, v68, v87
	s_waitcnt_depctr 0xfff
	v_cndmask_b32_e64 v70, 0, v71, s9
	v_fma_f32 v71, s35, v127, -v67
	s_delay_alu instid0(VALU_DEP_2) | instskip(NEXT) | instid1(VALU_DEP_2)
	v_add_f32_e32 v68, v68, v70
	v_mul_f32_e32 v80, 0x3fb8aa3b, v71
	v_cndmask_b32_e64 v71, 0, v78, s11
	v_mul_f32_e32 v78, 0x3fb8aa3b, v72
	v_cndmask_b32_e64 v72, 0, v76, s12
	v_add_f32_e32 v68, v68, v69
	v_exp_f32_e32 v80, v80
	s_delay_alu instid0(VALU_DEP_3) | instskip(NEXT) | instid1(VALU_DEP_1)
	v_exp_f32_e32 v78, v78
	v_dual_add_f32 v68, v68, v71 :: v_dual_mul_f32 v77, 0x3fb8aa3b, v77
	s_delay_alu instid0(VALU_DEP_1) | instskip(NEXT) | instid1(VALU_DEP_2)
	v_add_f32_e32 v68, v68, v72
	v_exp_f32_e32 v77, v77
	s_waitcnt_depctr 0xfff
	v_cndmask_b32_e64 v78, 0, v78, s17
	v_cndmask_b32_e64 v76, 0, v77, s13
	v_cndmask_b32_e64 v77, 0, v80, s16
	v_exp_f32_e32 v80, v88
	v_and_b32_e32 v88, 31, v0
	s_delay_alu instid0(VALU_DEP_3) | instskip(NEXT) | instid1(VALU_DEP_2)
	v_add_f32_e32 v68, v68, v76
	v_cmp_lt_u32_e64 s2, 15, v88
	s_delay_alu instid0(VALU_DEP_2) | instskip(SKIP_3) | instid1(VALU_DEP_1)
	v_add_f32_e32 v68, v68, v77
	s_waitcnt_depctr 0xfff
	v_cndmask_b32_e64 v80, 0, v80, s18
	v_add_f32_e32 v68, v68, v78
	v_add_f32_e32 v68, v68, v80
	ds_bpermute_b32 v81, v81, v68
	v_cmpx_gt_u32_e32 16, v88
	s_cbranch_execz .LBB1822_11
; %bb.10:
	v_mul_u32_u24_e32 v88, 0x44, v66
	s_delay_alu instid0(VALU_DEP_1) | instskip(SKIP_1) | instid1(VALU_DEP_1)
	v_lshl_add_u32 v88, v65, 2, v88
	s_waitcnt lgkmcnt(0)
	v_dual_add_f32 v68, v68, v81 :: v_dual_add_nc_u32 v81, 0x4000, v88
	ds_store_2addr_b32 v81, v67, v68 offset1:136
.LBB1822_11:
	s_or_b32 exec_lo, exec_lo, s3
	v_lshlrev_b32_e32 v67, 2, v65
	s_waitcnt lgkmcnt(0)
	s_barrier
	buffer_gl0_inv
	v_cmp_eq_u32_e32 vcc_lo, 1, v66
	v_add_nc_u32_e32 v81, 0x4000, v67
	v_cmp_eq_u32_e64 s3, 2, v66
	v_cmp_eq_u32_e64 s5, 7, v66
	ds_load_2addr_b32 v[88:89], v81 offset1:17
	ds_load_2addr_b32 v[90:91], v81 offset0:34 offset1:51
	ds_load_2addr_b32 v[92:93], v81 offset0:68 offset1:85
	;; [unrolled: 1-line block ×4, first 2 shown]
	s_waitcnt lgkmcnt(4)
	v_max3_f32 v67, v88, 0xff7fffff, v89
	s_waitcnt lgkmcnt(3)
	s_delay_alu instid0(VALU_DEP_1) | instskip(SKIP_1) | instid1(VALU_DEP_1)
	v_max3_f32 v67, v67, v90, v91
	s_waitcnt lgkmcnt(2)
	v_max3_f32 v67, v67, v92, v93
	s_waitcnt lgkmcnt(1)
	s_delay_alu instid0(VALU_DEP_1) | instskip(NEXT) | instid1(VALU_DEP_1)
	v_max3_f32 v67, v67, v94, v95
	v_sub_f32_e32 v68, v88, v67
	v_sub_f32_e32 v90, v90, v67
	v_sub_f32_e32 v92, v92, v67
	s_delay_alu instid0(VALU_DEP_3) | instskip(NEXT) | instid1(VALU_DEP_3)
	v_mul_f32_e32 v68, 0x3fb8aa3b, v68
	v_mul_f32_e32 v100, 0x3fb8aa3b, v90
	s_delay_alu instid0(VALU_DEP_3) | instskip(NEXT) | instid1(VALU_DEP_3)
	v_mul_f32_e32 v102, 0x3fb8aa3b, v92
	v_exp_f32_e32 v99, v68
	v_sub_f32_e32 v68, v91, v67
	v_sub_f32_e32 v98, v89, v67
	v_exp_f32_e32 v100, v100
	s_delay_alu instid0(VALU_DEP_1)
	v_dual_mul_f32 v101, 0x3fb8aa3b, v68 :: v_dual_mul_f32 v98, 0x3fb8aa3b, v98
	s_waitcnt lgkmcnt(0)
	s_waitcnt_depctr 0xfff
	v_fma_f32 v68, v99, v96, 0
	v_sub_f32_e32 v96, v93, v67
	v_exp_f32_e32 v98, v98
	v_exp_f32_e32 v101, v101
	s_waitcnt_depctr 0xfff
	v_fmac_f32_e32 v68, v98, v97
	ds_load_2addr_b32 v[88:89], v81 offset0:170 offset1:187
	ds_load_2addr_b32 v[90:91], v81 offset0:204 offset1:221
	;; [unrolled: 1-line block ×3, first 2 shown]
	v_dual_sub_f32 v81, v94, v67 :: v_dual_mul_f32 v94, 0x3fb8aa3b, v96
	v_exp_f32_e32 v96, v102
	s_waitcnt lgkmcnt(0)
	s_barrier
	s_delay_alu instid0(VALU_DEP_1)
	v_mul_f32_e32 v81, 0x3fb8aa3b, v81
	v_exp_f32_e32 v94, v94
	buffer_gl0_inv
	v_exp_f32_e32 v81, v81
	v_fmac_f32_e32 v68, v100, v88
	v_sub_f32_e32 v88, v95, v67
	s_delay_alu instid0(VALU_DEP_2) | instskip(NEXT) | instid1(VALU_DEP_2)
	v_fmac_f32_e32 v68, v101, v89
	v_mul_f32_e32 v88, 0x3fb8aa3b, v88
	s_delay_alu instid0(VALU_DEP_2) | instskip(NEXT) | instid1(VALU_DEP_2)
	v_fmac_f32_e32 v68, v96, v90
	v_exp_f32_e32 v88, v88
	s_delay_alu instid0(VALU_DEP_1)
	v_fmac_f32_e32 v68, v94, v91
	s_delay_alu instid0(TRANS32_DEP_2) | instid1(VALU_DEP_1)
	v_fmac_f32_e32 v68, v81, v92
	s_waitcnt_depctr 0xfff
	v_fmac_f32_e32 v68, v88, v93
	s_delay_alu instid0(VALU_DEP_1) | instskip(NEXT) | instid1(VALU_DEP_1)
	v_add_f32_e32 v89, 0x358637bd, v68
	v_div_scale_f32 v90, null, v89, v89, 1.0
	v_div_scale_f32 v93, s4, 1.0, v89, 1.0
	s_delay_alu instid0(VALU_DEP_2) | instskip(SKIP_2) | instid1(VALU_DEP_1)
	v_rcp_f32_e32 v91, v90
	s_waitcnt_depctr 0xfff
	v_fma_f32 v92, -v90, v91, 1.0
	v_dual_fmac_f32 v91, v92, v91 :: v_dual_cndmask_b32 v92, v99, v98
	v_cmp_eq_u32_e32 vcc_lo, 3, v66
	s_delay_alu instid0(VALU_DEP_2) | instskip(NEXT) | instid1(VALU_DEP_3)
	v_mul_f32_e32 v95, v93, v91
	v_cndmask_b32_e64 v92, v92, v100, s3
	v_cmp_eq_u32_e64 s3, 4, v66
	s_delay_alu instid0(VALU_DEP_3) | instskip(NEXT) | instid1(VALU_DEP_3)
	v_fma_f32 v97, -v90, v95, v93
	v_cndmask_b32_e32 v92, v92, v101, vcc_lo
	v_cmp_eq_u32_e32 vcc_lo, 5, v66
	s_delay_alu instid0(VALU_DEP_3) | instskip(NEXT) | instid1(VALU_DEP_3)
	v_fmac_f32_e32 v95, v97, v91
	v_cndmask_b32_e64 v92, v92, v96, s3
	v_cmp_eq_u32_e64 s3, 6, v66
	s_delay_alu instid0(VALU_DEP_3) | instskip(NEXT) | instid1(VALU_DEP_3)
	v_fma_f32 v90, -v90, v95, v93
	v_cndmask_b32_e32 v92, v92, v94, vcc_lo
	s_mov_b32 vcc_lo, s4
	s_delay_alu instid0(VALU_DEP_2) | instskip(NEXT) | instid1(VALU_DEP_2)
	v_div_fmas_f32 v90, v90, v91, v95
	v_cndmask_b32_e64 v81, v92, v81, s3
	s_mov_b32 s3, exec_lo
	s_delay_alu instid0(VALU_DEP_2) | instskip(NEXT) | instid1(VALU_DEP_2)
	v_div_fixup_f32 v89, v90, v89, 1.0
	v_cndmask_b32_e64 v81, v81, v88, s5
	s_delay_alu instid0(VALU_DEP_1) | instskip(NEXT) | instid1(VALU_DEP_1)
	v_mul_f32_e32 v81, v81, v89
	v_mul_f32_e32 v83, v81, v83
	;; [unrolled: 1-line block ×7, first 2 shown]
	v_dual_mul_f32 v85, v81, v82 :: v_dual_and_b32 v90, 0x7f800000, v89
	v_mul_f32_e32 v84, v81, v75
                                        ; implicit-def: $vgpr75
	s_delay_alu instid0(VALU_DEP_2)
	v_cmpx_ne_u32_e32 0x7f800000, v90
	s_xor_b32 s3, exec_lo, s3
; %bb.12:
	v_bfe_u32 v75, v89, 16, 1
	s_delay_alu instid0(VALU_DEP_1)
	v_add3_u32 v75, v89, v75, 0x7fff
                                        ; implicit-def: $vgpr89
; %bb.13:
	s_and_not1_saveexec_b32 s3, s3
; %bb.14:
	v_and_b32_e32 v75, 0xffff, v89
	v_or_b32_e32 v82, 0x10000, v89
	s_delay_alu instid0(VALU_DEP_2) | instskip(NEXT) | instid1(VALU_DEP_2)
	v_cmp_eq_u32_e32 vcc_lo, 0, v75
	v_cndmask_b32_e32 v75, v82, v89, vcc_lo
; %bb.15:
	s_or_b32 exec_lo, exec_lo, s3
	v_and_b32_e32 v82, 0x7f800000, v84
	s_delay_alu instid0(VALU_DEP_1) | instskip(SKIP_1) | instid1(SALU_CYCLE_1)
	v_cmp_ne_u32_e32 vcc_lo, 0x7f800000, v82
                                        ; implicit-def: $vgpr82
	s_and_saveexec_b32 s3, vcc_lo
	s_xor_b32 s3, exec_lo, s3
; %bb.16:
	v_bfe_u32 v82, v84, 16, 1
	s_delay_alu instid0(VALU_DEP_1)
	v_add3_u32 v82, v84, v82, 0x7fff
                                        ; implicit-def: $vgpr84
; %bb.17:
	s_and_not1_saveexec_b32 s3, s3
; %bb.18:
	v_and_b32_e32 v82, 0xffff, v84
	v_or_b32_e32 v89, 0x10000, v84
	s_delay_alu instid0(VALU_DEP_2) | instskip(NEXT) | instid1(VALU_DEP_2)
	v_cmp_eq_u32_e32 vcc_lo, 0, v82
	v_cndmask_b32_e32 v82, v89, v84, vcc_lo
; %bb.19:
	s_or_b32 exec_lo, exec_lo, s3
	v_and_b32_e32 v84, 0x7f800000, v85
	s_delay_alu instid0(VALU_DEP_1) | instskip(SKIP_1) | instid1(SALU_CYCLE_1)
	v_cmp_ne_u32_e32 vcc_lo, 0x7f800000, v84
                                        ; implicit-def: $vgpr84
	s_and_saveexec_b32 s3, vcc_lo
	s_xor_b32 s3, exec_lo, s3
; %bb.20:
	v_bfe_u32 v84, v85, 16, 1
	s_delay_alu instid0(VALU_DEP_1)
	v_add3_u32 v84, v85, v84, 0x7fff
                                        ; implicit-def: $vgpr85
; %bb.21:
	s_and_not1_saveexec_b32 s3, s3
; %bb.22:
	v_and_b32_e32 v84, 0xffff, v85
	v_or_b32_e32 v89, 0x10000, v85
	s_delay_alu instid0(VALU_DEP_2) | instskip(NEXT) | instid1(VALU_DEP_2)
	v_cmp_eq_u32_e32 vcc_lo, 0, v84
	v_cndmask_b32_e32 v84, v89, v85, vcc_lo
; %bb.23:
	s_or_b32 exec_lo, exec_lo, s3
	v_and_b32_e32 v85, 0x7f800000, v88
	s_delay_alu instid0(VALU_DEP_1) | instskip(SKIP_1) | instid1(SALU_CYCLE_1)
	v_cmp_ne_u32_e32 vcc_lo, 0x7f800000, v85
                                        ; implicit-def: $vgpr85
	s_and_saveexec_b32 s3, vcc_lo
	s_xor_b32 s3, exec_lo, s3
; %bb.24:
	v_bfe_u32 v85, v88, 16, 1
	s_delay_alu instid0(VALU_DEP_1)
	v_add3_u32 v85, v88, v85, 0x7fff
                                        ; implicit-def: $vgpr88
; %bb.25:
	s_and_not1_saveexec_b32 s3, s3
; %bb.26:
	v_and_b32_e32 v85, 0xffff, v88
	v_or_b32_e32 v89, 0x10000, v88
	s_delay_alu instid0(VALU_DEP_2) | instskip(NEXT) | instid1(VALU_DEP_2)
	v_cmp_eq_u32_e32 vcc_lo, 0, v85
	v_cndmask_b32_e32 v85, v89, v88, vcc_lo
; %bb.27:
	s_or_b32 exec_lo, exec_lo, s3
	v_and_b32_e32 v88, 0x7f800000, v87
	s_delay_alu instid0(VALU_DEP_1) | instskip(SKIP_1) | instid1(SALU_CYCLE_1)
	v_cmp_ne_u32_e32 vcc_lo, 0x7f800000, v88
                                        ; implicit-def: $vgpr88
	s_and_saveexec_b32 s3, vcc_lo
	s_xor_b32 s3, exec_lo, s3
; %bb.28:
	v_bfe_u32 v88, v87, 16, 1
	s_delay_alu instid0(VALU_DEP_1)
	v_add3_u32 v88, v87, v88, 0x7fff
                                        ; implicit-def: $vgpr87
; %bb.29:
	s_and_not1_saveexec_b32 s3, s3
; %bb.30:
	v_and_b32_e32 v88, 0xffff, v87
	v_or_b32_e32 v89, 0x10000, v87
	s_delay_alu instid0(VALU_DEP_2) | instskip(NEXT) | instid1(VALU_DEP_2)
	v_cmp_eq_u32_e32 vcc_lo, 0, v88
	v_cndmask_b32_e32 v88, v89, v87, vcc_lo
; %bb.31:
	s_or_b32 exec_lo, exec_lo, s3
	v_and_b32_e32 v87, 0x7f800000, v86
	s_delay_alu instid0(VALU_DEP_1) | instskip(SKIP_1) | instid1(SALU_CYCLE_1)
	v_cmp_ne_u32_e32 vcc_lo, 0x7f800000, v87
                                        ; implicit-def: $vgpr87
	s_and_saveexec_b32 s3, vcc_lo
	s_xor_b32 s3, exec_lo, s3
; %bb.32:
	v_bfe_u32 v87, v86, 16, 1
	s_delay_alu instid0(VALU_DEP_1)
	v_add3_u32 v87, v86, v87, 0x7fff
                                        ; implicit-def: $vgpr86
; %bb.33:
	s_and_not1_saveexec_b32 s3, s3
; %bb.34:
	v_and_b32_e32 v87, 0xffff, v86
	v_or_b32_e32 v89, 0x10000, v86
	s_delay_alu instid0(VALU_DEP_2) | instskip(NEXT) | instid1(VALU_DEP_2)
	v_cmp_eq_u32_e32 vcc_lo, 0, v87
	v_cndmask_b32_e32 v87, v89, v86, vcc_lo
; %bb.35:
	s_or_b32 exec_lo, exec_lo, s3
	v_and_b32_e32 v86, 0x7f800000, v83
	s_delay_alu instid0(VALU_DEP_1) | instskip(SKIP_1) | instid1(SALU_CYCLE_1)
	v_cmp_ne_u32_e32 vcc_lo, 0x7f800000, v86
                                        ; implicit-def: $vgpr86
	s_and_saveexec_b32 s3, vcc_lo
	s_xor_b32 s3, exec_lo, s3
; %bb.36:
	v_bfe_u32 v86, v83, 16, 1
	s_delay_alu instid0(VALU_DEP_1)
	v_add3_u32 v86, v83, v86, 0x7fff
                                        ; implicit-def: $vgpr83
; %bb.37:
	s_and_not1_saveexec_b32 s3, s3
; %bb.38:
	v_and_b32_e32 v86, 0xffff, v83
	v_or_b32_e32 v89, 0x10000, v83
	s_delay_alu instid0(VALU_DEP_2) | instskip(NEXT) | instid1(VALU_DEP_2)
	v_cmp_eq_u32_e32 vcc_lo, 0, v86
	v_cndmask_b32_e32 v86, v89, v83, vcc_lo
; %bb.39:
	s_or_b32 exec_lo, exec_lo, s3
	v_and_b32_e32 v83, 0x7f800000, v79
	s_delay_alu instid0(VALU_DEP_1) | instskip(SKIP_1) | instid1(SALU_CYCLE_1)
	v_cmp_ne_u32_e32 vcc_lo, 0x7f800000, v83
                                        ; implicit-def: $vgpr83
	s_and_saveexec_b32 s3, vcc_lo
	s_xor_b32 s3, exec_lo, s3
; %bb.40:
	v_bfe_u32 v83, v79, 16, 1
	s_delay_alu instid0(VALU_DEP_1)
	v_add3_u32 v83, v79, v83, 0x7fff
                                        ; implicit-def: $vgpr79
; %bb.41:
	s_and_not1_saveexec_b32 s3, s3
; %bb.42:
	v_and_b32_e32 v83, 0xffff, v79
	v_or_b32_e32 v89, 0x10000, v79
	s_delay_alu instid0(VALU_DEP_2) | instskip(NEXT) | instid1(VALU_DEP_2)
	v_cmp_eq_u32_e32 vcc_lo, 0, v83
	v_cndmask_b32_e32 v83, v89, v79, vcc_lo
; %bb.43:
	s_or_b32 exec_lo, exec_lo, s3
	s_load_b64 s[36:37], s[0:1], 0x94
	v_lshlrev_b32_e32 v90, 4, v74
	s_delay_alu instid0(VALU_DEP_2)
	v_perm_b32 v89, v83, v86, 0x7060302
	v_lshlrev_b32_e32 v79, 6, v65
	v_dual_mul_f32 v76, v81, v76 :: v_dual_lshlrev_b32 v65, 11, v66
	v_perm_b32 v86, v82, v75, 0x7060302
	v_mul_f32_e32 v82, v81, v70
	v_perm_b32 v88, v87, v88, 0x7060302
	v_perm_b32 v87, v85, v84, 0x7060302
	v_or3_b32 v75, v90, v65, v79
	v_mul_f32_e32 v65, v81, v80
	v_mul_f32_e32 v70, v81, v78
	;; [unrolled: 1-line block ×3, first 2 shown]
	v_dual_mul_f32 v80, v81, v72 :: v_dual_and_b32 v83, 0x7f800000, v82
	v_mul_f32_e32 v78, v81, v71
	v_mul_f32_e32 v72, v81, v69
	s_mov_b32 s3, exec_lo
	ds_store_b128 v75, v[86:89]
                                        ; implicit-def: $vgpr69
	v_cmpx_ne_u32_e32 0x7f800000, v83
	s_xor_b32 s3, exec_lo, s3
; %bb.44:
	v_bfe_u32 v69, v82, 16, 1
	s_delay_alu instid0(VALU_DEP_1)
	v_add3_u32 v69, v82, v69, 0x7fff
                                        ; implicit-def: $vgpr82
; %bb.45:
	s_and_not1_saveexec_b32 s3, s3
; %bb.46:
	v_and_b32_e32 v69, 0xffff, v82
	v_or_b32_e32 v71, 0x10000, v82
	s_delay_alu instid0(VALU_DEP_2) | instskip(NEXT) | instid1(VALU_DEP_2)
	v_cmp_eq_u32_e32 vcc_lo, 0, v69
	v_cndmask_b32_e32 v69, v71, v82, vcc_lo
; %bb.47:
	s_or_b32 exec_lo, exec_lo, s3
	v_and_b32_e32 v71, 0x7f800000, v72
	s_delay_alu instid0(VALU_DEP_1) | instskip(SKIP_1) | instid1(SALU_CYCLE_1)
	v_cmp_ne_u32_e32 vcc_lo, 0x7f800000, v71
                                        ; implicit-def: $vgpr71
	s_and_saveexec_b32 s3, vcc_lo
	s_xor_b32 s3, exec_lo, s3
; %bb.48:
	v_bfe_u32 v71, v72, 16, 1
	s_delay_alu instid0(VALU_DEP_1)
	v_add3_u32 v71, v72, v71, 0x7fff
                                        ; implicit-def: $vgpr72
; %bb.49:
	s_and_not1_saveexec_b32 s3, s3
; %bb.50:
	v_and_b32_e32 v71, 0xffff, v72
	v_or_b32_e32 v81, 0x10000, v72
	s_delay_alu instid0(VALU_DEP_2) | instskip(NEXT) | instid1(VALU_DEP_2)
	v_cmp_eq_u32_e32 vcc_lo, 0, v71
	v_cndmask_b32_e32 v71, v81, v72, vcc_lo
; %bb.51:
	s_or_b32 exec_lo, exec_lo, s3
	v_and_b32_e32 v72, 0x7f800000, v78
	s_delay_alu instid0(VALU_DEP_1) | instskip(SKIP_1) | instid1(SALU_CYCLE_1)
	v_cmp_ne_u32_e32 vcc_lo, 0x7f800000, v72
                                        ; implicit-def: $vgpr72
	s_and_saveexec_b32 s3, vcc_lo
	s_xor_b32 s3, exec_lo, s3
; %bb.52:
	v_bfe_u32 v72, v78, 16, 1
	s_delay_alu instid0(VALU_DEP_1)
	v_add3_u32 v72, v78, v72, 0x7fff
                                        ; implicit-def: $vgpr78
; %bb.53:
	s_and_not1_saveexec_b32 s3, s3
; %bb.54:
	v_and_b32_e32 v72, 0xffff, v78
	v_or_b32_e32 v81, 0x10000, v78
	s_delay_alu instid0(VALU_DEP_2) | instskip(NEXT) | instid1(VALU_DEP_2)
	v_cmp_eq_u32_e32 vcc_lo, 0, v72
	v_cndmask_b32_e32 v72, v81, v78, vcc_lo
; %bb.55:
	s_or_b32 exec_lo, exec_lo, s3
	v_and_b32_e32 v78, 0x7f800000, v80
	s_delay_alu instid0(VALU_DEP_1) | instskip(SKIP_1) | instid1(SALU_CYCLE_1)
	v_cmp_ne_u32_e32 vcc_lo, 0x7f800000, v78
                                        ; implicit-def: $vgpr78
	s_and_saveexec_b32 s3, vcc_lo
	s_xor_b32 s3, exec_lo, s3
; %bb.56:
	v_bfe_u32 v78, v80, 16, 1
	s_delay_alu instid0(VALU_DEP_1)
	v_add3_u32 v78, v80, v78, 0x7fff
                                        ; implicit-def: $vgpr80
; %bb.57:
	s_and_not1_saveexec_b32 s3, s3
; %bb.58:
	v_and_b32_e32 v78, 0xffff, v80
	v_or_b32_e32 v81, 0x10000, v80
	s_delay_alu instid0(VALU_DEP_2) | instskip(NEXT) | instid1(VALU_DEP_2)
	v_cmp_eq_u32_e32 vcc_lo, 0, v78
	v_cndmask_b32_e32 v78, v81, v80, vcc_lo
; %bb.59:
	s_or_b32 exec_lo, exec_lo, s3
	v_and_b32_e32 v80, 0x7f800000, v76
	s_delay_alu instid0(VALU_DEP_1) | instskip(SKIP_1) | instid1(SALU_CYCLE_1)
	v_cmp_ne_u32_e32 vcc_lo, 0x7f800000, v80
                                        ; implicit-def: $vgpr80
	s_and_saveexec_b32 s3, vcc_lo
	s_xor_b32 s3, exec_lo, s3
; %bb.60:
	v_bfe_u32 v80, v76, 16, 1
	s_delay_alu instid0(VALU_DEP_1)
	v_add3_u32 v80, v76, v80, 0x7fff
                                        ; implicit-def: $vgpr76
; %bb.61:
	s_and_not1_saveexec_b32 s3, s3
; %bb.62:
	v_and_b32_e32 v80, 0xffff, v76
	v_or_b32_e32 v81, 0x10000, v76
	s_delay_alu instid0(VALU_DEP_2) | instskip(NEXT) | instid1(VALU_DEP_2)
	v_cmp_eq_u32_e32 vcc_lo, 0, v80
	v_cndmask_b32_e32 v80, v81, v76, vcc_lo
; %bb.63:
	s_or_b32 exec_lo, exec_lo, s3
	v_and_b32_e32 v76, 0x7f800000, v77
	s_delay_alu instid0(VALU_DEP_1) | instskip(SKIP_1) | instid1(SALU_CYCLE_1)
	v_cmp_ne_u32_e32 vcc_lo, 0x7f800000, v76
                                        ; implicit-def: $vgpr76
	s_and_saveexec_b32 s3, vcc_lo
	s_xor_b32 s3, exec_lo, s3
; %bb.64:
	v_bfe_u32 v76, v77, 16, 1
	s_delay_alu instid0(VALU_DEP_1)
	v_add3_u32 v76, v77, v76, 0x7fff
                                        ; implicit-def: $vgpr77
; %bb.65:
	s_and_not1_saveexec_b32 s3, s3
; %bb.66:
	v_and_b32_e32 v76, 0xffff, v77
	v_or_b32_e32 v81, 0x10000, v77
	s_delay_alu instid0(VALU_DEP_2) | instskip(NEXT) | instid1(VALU_DEP_2)
	v_cmp_eq_u32_e32 vcc_lo, 0, v76
	v_cndmask_b32_e32 v76, v81, v77, vcc_lo
; %bb.67:
	s_or_b32 exec_lo, exec_lo, s3
	v_and_b32_e32 v77, 0x7f800000, v70
	s_delay_alu instid0(VALU_DEP_1) | instskip(SKIP_1) | instid1(SALU_CYCLE_1)
	v_cmp_ne_u32_e32 vcc_lo, 0x7f800000, v77
                                        ; implicit-def: $vgpr77
	s_and_saveexec_b32 s3, vcc_lo
	s_xor_b32 s3, exec_lo, s3
; %bb.68:
	v_bfe_u32 v77, v70, 16, 1
	s_delay_alu instid0(VALU_DEP_1)
	v_add3_u32 v77, v70, v77, 0x7fff
                                        ; implicit-def: $vgpr70
; %bb.69:
	s_and_not1_saveexec_b32 s3, s3
; %bb.70:
	v_and_b32_e32 v77, 0xffff, v70
	v_or_b32_e32 v81, 0x10000, v70
	s_delay_alu instid0(VALU_DEP_2) | instskip(NEXT) | instid1(VALU_DEP_2)
	v_cmp_eq_u32_e32 vcc_lo, 0, v77
	v_cndmask_b32_e32 v77, v81, v70, vcc_lo
; %bb.71:
	s_or_b32 exec_lo, exec_lo, s3
	v_and_b32_e32 v70, 0x7f800000, v65
	s_delay_alu instid0(VALU_DEP_1) | instskip(SKIP_1) | instid1(SALU_CYCLE_1)
	v_cmp_ne_u32_e32 vcc_lo, 0x7f800000, v70
                                        ; implicit-def: $vgpr70
	s_and_saveexec_b32 s3, vcc_lo
	s_xor_b32 s3, exec_lo, s3
; %bb.72:
	v_bfe_u32 v70, v65, 16, 1
	s_delay_alu instid0(VALU_DEP_1)
	v_add3_u32 v70, v65, v70, 0x7fff
                                        ; implicit-def: $vgpr65
; %bb.73:
	s_and_not1_saveexec_b32 s3, s3
; %bb.74:
	v_and_b32_e32 v70, 0xffff, v65
	v_or_b32_e32 v81, 0x10000, v65
	s_delay_alu instid0(VALU_DEP_2) | instskip(NEXT) | instid1(VALU_DEP_2)
	v_cmp_eq_u32_e32 vcc_lo, 0, v70
	v_cndmask_b32_e32 v70, v81, v65, vcc_lo
; %bb.75:
	s_or_b32 exec_lo, exec_lo, s3
	s_delay_alu instid0(VALU_DEP_1)
	v_perm_b32 v85, v70, v77, 0x7060302
	v_perm_b32 v84, v76, v80, 0x7060302
	;; [unrolled: 1-line block ×4, first 2 shown]
	v_lshl_or_b32 v81, v66, 11, v79
	ds_store_b128 v75, v[82:85] offset:1024
	s_waitcnt lgkmcnt(0)
	s_barrier
	buffer_gl0_inv
	ds_load_b128 v[69:72], v81
	ds_load_b128 v[82:85], v81 offset:16
	s_waitcnt lgkmcnt(1)
	v_lshrrev_b32_e32 v65, 16, v69
	v_lshlrev_b32_e32 v77, 2, v74
	v_lshrrev_b32_e32 v66, 16, v70
	s_waitcnt lgkmcnt(0)
	v_lshrrev_b32_e32 v90, 16, v82
	v_lshrrev_b32_e32 v94, 16, v71
	;; [unrolled: 1-line block ×3, first 2 shown]
	v_cmp_eq_u32_e32 vcc_lo, 1, v77
	v_lshrrev_b32_e32 v95, 16, v72
	v_lshrrev_b32_e32 v97, 16, v84
	;; [unrolled: 1-line block ×3, first 2 shown]
	v_cndmask_b32_e32 v80, v69, v65, vcc_lo
	v_or_b32_e32 v78, 1, v77
	v_cmp_eq_u32_e64 s4, 2, v77
	v_cmp_eq_u32_e64 s7, 3, v77
	v_cmp_eq_u32_e64 s9, 4, v77
	v_or_b32_e32 v76, 2, v77
	v_cmp_eq_u32_e64 s3, 1, v78
	v_cndmask_b32_e64 v80, v80, v70, s4
	v_cmp_eq_u32_e64 s6, 2, v78
	v_cmp_eq_u32_e64 s8, 3, v78
	;; [unrolled: 1-line block ×3, first 2 shown]
	v_cndmask_b32_e64 v87, v69, v65, s3
	v_cndmask_b32_e64 v80, v80, v66, s7
	;; [unrolled: 1-line block ×3, first 2 shown]
	v_cmp_eq_u32_e64 s11, 4, v78
	v_cmp_eq_u32_e64 s5, 1, v76
	v_cndmask_b32_e64 v87, v87, v70, s6
	v_cndmask_b32_e64 v80, v80, v71, s9
	;; [unrolled: 1-line block ×3, first 2 shown]
	v_cmp_eq_u32_e64 s12, 6, v77
	v_cmp_eq_u32_e64 s13, 5, v78
	v_cndmask_b32_e64 v87, v87, v66, s8
	v_cndmask_b32_e64 v80, v80, v94, s10
	;; [unrolled: 1-line block ×4, first 2 shown]
	v_cmp_eq_u32_e64 s16, 7, v77
	v_cndmask_b32_e64 v87, v87, v71, s11
	v_cndmask_b32_e64 v80, v80, v72, s12
	v_cmp_eq_u32_e64 s17, 6, v78
	v_cmp_eq_u32_e64 s18, 2, v76
	v_cndmask_b32_e64 v88, v88, v84, s11
	v_cndmask_b32_e64 v87, v87, v94, s13
	;; [unrolled: 1-line block ×3, first 2 shown]
	v_cmp_eq_u32_e64 s19, 7, v78
	v_cndmask_b32_e64 v80, v89, v70, s18
	v_cmp_eq_u32_e64 s20, 3, v76
	v_cndmask_b32_e64 v87, v87, v72, s17
	v_cmp_eq_u32_e64 s21, 4, v76
	v_cmp_eq_u32_e64 s23, 5, v76
	;; [unrolled: 1-line block ×4, first 2 shown]
	v_cndmask_b32_e64 v101, v87, v95, s19
	v_cndmask_b32_e64 v87, v88, v97, s13
	v_cndmask_b32_e64 v88, v80, v66, s20
	v_or_b32_e32 v80, 3, v77
	s_delay_alu instid0(VALU_DEP_3) | instskip(NEXT) | instid1(VALU_DEP_3)
	v_cndmask_b32_e64 v102, v87, v85, s17
	v_cndmask_b32_e64 v91, v88, v71, s21
	s_delay_alu instid0(VALU_DEP_3)
	v_cmp_eq_u32_e64 s22, 1, v80
	v_cmp_eq_u32_e64 s24, 2, v80
	;; [unrolled: 1-line block ×5, first 2 shown]
	v_cndmask_b32_e64 v65, v69, v65, s22
	v_cmp_eq_u32_e64 s30, 6, v80
	v_cndmask_b32_e64 v103, v91, v94, s23
	s_delay_alu instid0(VALU_DEP_3) | instskip(NEXT) | instid1(VALU_DEP_1)
	v_cndmask_b32_e64 v65, v65, v70, s24
	v_cndmask_b32_e64 v65, v65, v66, s26
	s_delay_alu instid0(VALU_DEP_3) | instskip(NEXT) | instid1(VALU_DEP_2)
	v_cndmask_b32_e64 v66, v103, v72, s25
	v_cndmask_b32_e64 v65, v65, v71, s27
	s_delay_alu instid0(VALU_DEP_2) | instskip(NEXT) | instid1(VALU_DEP_2)
	v_cndmask_b32_e64 v66, v66, v95, s28
	v_cndmask_b32_e64 v65, v65, v94, s29
	s_delay_alu instid0(VALU_DEP_1) | instskip(SKIP_1) | instid1(VALU_DEP_1)
	v_cndmask_b32_e64 v65, v65, v72, s30
	v_cndmask_b32_e32 v86, v82, v90, vcc_lo
	v_cndmask_b32_e64 v86, v86, v83, s4
	s_delay_alu instid0(VALU_DEP_1) | instskip(NEXT) | instid1(VALU_DEP_1)
	v_cndmask_b32_e64 v86, v86, v96, s7
	v_cndmask_b32_e64 v86, v86, v84, s9
	s_delay_alu instid0(VALU_DEP_1) | instskip(NEXT) | instid1(VALU_DEP_1)
	v_cndmask_b32_e64 v86, v86, v97, s10
	v_cndmask_b32_e64 v86, v86, v85, s12
	s_delay_alu instid0(VALU_DEP_1) | instskip(SKIP_2) | instid1(VALU_DEP_2)
	v_cndmask_b32_e64 v100, v86, v98, s16
	v_cndmask_b32_e64 v86, v82, v90, s5
	;; [unrolled: 1-line block ×4, first 2 shown]
	s_delay_alu instid0(VALU_DEP_2) | instskip(SKIP_1) | instid1(VALU_DEP_3)
	v_cndmask_b32_e64 v70, v82, v83, s24
	v_cndmask_b32_e64 v82, v102, v98, s19
	;; [unrolled: 1-line block ×3, first 2 shown]
	ds_load_b128 v[86:89], v81 offset:1024
	v_cndmask_b32_e64 v70, v70, v96, s26
	v_cndmask_b32_e64 v69, v92, v84, s21
	ds_load_b128 v[90:93], v81 offset:1040
	v_cndmask_b32_e64 v70, v70, v84, s27
	v_cndmask_b32_e64 v69, v69, v97, s23
	s_delay_alu instid0(VALU_DEP_2) | instskip(NEXT) | instid1(VALU_DEP_2)
	v_cndmask_b32_e64 v70, v70, v97, s29
	v_cndmask_b32_e64 v69, v69, v85, s25
	s_delay_alu instid0(VALU_DEP_2) | instskip(NEXT) | instid1(VALU_DEP_2)
	v_cndmask_b32_e64 v70, v70, v85, s30
	v_cndmask_b32_e64 v69, v69, v98, s28
	s_waitcnt lgkmcnt(1)
	v_lshrrev_b32_e32 v83, 16, v86
	v_lshrrev_b32_e32 v94, 16, v87
	;; [unrolled: 1-line block ×3, first 2 shown]
	s_delay_alu instid0(VALU_DEP_3) | instskip(SKIP_3) | instid1(VALU_DEP_3)
	v_cndmask_b32_e32 v71, v86, v83, vcc_lo
	s_waitcnt lgkmcnt(0)
	v_lshrrev_b32_e32 v84, 16, v90
	v_cndmask_b32_e64 v96, v86, v83, s3
	v_cndmask_b32_e64 v71, v71, v87, s4
	s_delay_alu instid0(VALU_DEP_3) | instskip(NEXT) | instid1(VALU_DEP_3)
	v_cndmask_b32_e32 v97, v90, v84, vcc_lo
	v_cndmask_b32_e64 v72, v96, v87, s6
	v_lshrrev_b32_e32 v96, 16, v91
	v_cmp_eq_u32_e32 vcc_lo, 7, v80
	v_cndmask_b32_e64 v71, v71, v94, s7
	v_cndmask_b32_e64 v85, v97, v91, s4
	;; [unrolled: 1-line block ×3, first 2 shown]
	v_lshrrev_b32_e32 v97, 16, v88
	v_cndmask_b32_e32 v65, v65, v95, vcc_lo
	v_cndmask_b32_e64 v71, v71, v88, s9
	v_cndmask_b32_e64 v85, v85, v96, s7
	v_cndmask_b32_e32 v70, v70, v98, vcc_lo
	v_cndmask_b32_e64 v95, v72, v88, s11
	v_lshrrev_b32_e32 v98, 16, v92
	v_cndmask_b32_e64 v71, v71, v97, s10
	v_cndmask_b32_e64 v85, v85, v92, s9
	v_perm_b32 v72, v70, v65, 0x5040100
	v_cndmask_b32_e64 v65, v95, v97, s13
	v_perm_b32 v70, v82, v101, 0x5040100
	v_cndmask_b32_e64 v95, v71, v89, s12
	v_cndmask_b32_e64 v85, v85, v98, s10
	v_perm_b32 v71, v69, v66, 0x5040100
	v_cndmask_b32_e64 v65, v65, v89, s17
	v_lshrrev_b32_e32 v82, 16, v93
	v_cndmask_b32_e64 v66, v95, v102, s16
	v_cndmask_b32_e64 v69, v85, v93, s12
	;; [unrolled: 1-line block ×34, first 2 shown]
	v_cndmask_b32_e32 v83, v83, v102, vcc_lo
	v_cndmask_b32_e32 v85, v86, v82, vcc_lo
	v_cndmask_b32_e64 v86, v87, v82, s28
	v_cndmask_b32_e64 v87, v84, v82, s19
	;; [unrolled: 1-line block ×3, first 2 shown]
	v_perm_b32 v69, v100, v99, 0x5040100
	v_perm_b32 v85, v85, v83, 0x5040100
	;; [unrolled: 1-line block ×5, first 2 shown]
	s_mov_b32 s3, exec_lo
	ds_store_b128 v75, v[69:72]
	ds_store_b128 v75, v[82:85] offset:1024
	v_cmpx_eq_u32_e32 0, v0
	s_cbranch_execz .LBB1822_77
; %bb.76:
	s_load_b128 s[4:7], s[0:1], 0x58
	s_mul_i32 s8, s37, s34
	v_mov_b32_e32 v65, 0
	s_add_i32 s8, s8, s15
	s_delay_alu instid0(SALU_CYCLE_1) | instskip(NEXT) | instid1(SALU_CYCLE_1)
	s_mul_i32 s8, s8, s36
	s_add_i32 s8, s8, s14
	s_delay_alu instid0(SALU_CYCLE_1) | instskip(NEXT) | instid1(SALU_CYCLE_1)
	s_ashr_i32 s9, s8, 31
	s_lshl_b64 s[8:9], s[8:9], 2
	s_waitcnt lgkmcnt(0)
	s_add_u32 s6, s6, s8
	s_addc_u32 s7, s7, s9
	s_add_u32 s4, s4, s8
	s_addc_u32 s5, s5, s9
	s_clause 0x1
	global_store_b32 v65, v67, s[6:7]
	global_store_b32 v65, v68, s[4:5]
.LBB1822_77:
	s_or_b32 exec_lo, exec_lo, s3
	s_waitcnt lgkmcnt(0)
	s_waitcnt_vscnt null, 0x0
	s_barrier
	buffer_gl0_inv
	ds_load_b128 v[82:85], v79
	ds_load_b128 v[86:89], v79 offset:16
	ds_load_b128 v[94:97], v79 offset:2064
	;; [unrolled: 1-line block ×3, first 2 shown]
	v_mov_b32_e32 v65, 0
	ds_load_b128 v[102:105], v79 offset:4112
	ds_load_b128 v[98:101], v79 offset:4096
	;; [unrolled: 1-line block ×4, first 2 shown]
	v_mov_b32_e32 v66, v65
	v_mov_b32_e32 v67, v65
	;; [unrolled: 1-line block ×7, first 2 shown]
	s_waitcnt lgkmcnt(6)
	s_delay_alu instid0(VALU_DEP_1)
	v_wmma_f32_16x16x16_bf16 v[65:72], v[49:56], v[82:89], v[65:72]
	ds_load_b128 v[53:56], v79 offset:8208
	ds_load_b128 v[49:52], v79 offset:8192
	s_waitcnt lgkmcnt(6)
	v_wmma_f32_16x16x16_bf16 v[65:72], v[41:48], v[90:97], v[65:72]
	ds_load_b128 v[45:48], v79 offset:10256
	ds_load_b128 v[41:44], v79 offset:10240
	s_waitcnt lgkmcnt(6)
	;; [unrolled: 4-line block ×4, first 2 shown]
	v_wmma_f32_16x16x16_bf16 v[65:72], v[1:8], v[49:56], v[65:72]
	s_waitcnt lgkmcnt(4)
	s_delay_alu instid0(VALU_DEP_1) | instskip(SKIP_1) | instid1(VALU_DEP_1)
	v_wmma_f32_16x16x16_bf16 v[65:72], v[9:16], v[41:48], v[65:72]
	s_waitcnt lgkmcnt(2)
	v_wmma_f32_16x16x16_bf16 v[65:72], v[17:24], v[33:40], v[65:72]
	s_waitcnt lgkmcnt(0)
	s_delay_alu instid0(VALU_DEP_1) | instskip(NEXT) | instid1(VALU_DEP_1)
	v_wmma_f32_16x16x16_bf16 v[65:72], v[57:64], v[25:32], v[65:72]
	v_and_b32_e32 v1, 0x7f800000, v65
	s_delay_alu instid0(VALU_DEP_1) | instskip(SKIP_1) | instid1(SALU_CYCLE_1)
	v_cmp_ne_u32_e32 vcc_lo, 0x7f800000, v1
                                        ; implicit-def: $vgpr1
	s_and_saveexec_b32 s3, vcc_lo
	s_xor_b32 s3, exec_lo, s3
; %bb.78:
	v_bfe_u32 v1, v65, 16, 1
	s_delay_alu instid0(VALU_DEP_1)
	v_add3_u32 v1, v65, v1, 0x7fff
; %bb.79:
	s_and_not1_saveexec_b32 s3, s3
; %bb.80:
	v_and_b32_e32 v1, 0xffff, v65
	v_or_b32_e32 v2, 0x10000, v65
	s_delay_alu instid0(VALU_DEP_2) | instskip(NEXT) | instid1(VALU_DEP_2)
	v_cmp_eq_u32_e32 vcc_lo, 0, v1
	v_cndmask_b32_e32 v1, v2, v65, vcc_lo
; %bb.81:
	s_or_b32 exec_lo, exec_lo, s3
	v_and_b32_e32 v2, 0x7f800000, v66
	s_delay_alu instid0(VALU_DEP_1) | instskip(SKIP_1) | instid1(SALU_CYCLE_1)
	v_cmp_ne_u32_e32 vcc_lo, 0x7f800000, v2
                                        ; implicit-def: $vgpr2
	s_and_saveexec_b32 s3, vcc_lo
	s_xor_b32 s3, exec_lo, s3
; %bb.82:
	v_bfe_u32 v2, v66, 16, 1
	s_delay_alu instid0(VALU_DEP_1)
	v_add3_u32 v2, v66, v2, 0x7fff
; %bb.83:
	s_and_not1_saveexec_b32 s3, s3
; %bb.84:
	v_and_b32_e32 v2, 0xffff, v66
	v_or_b32_e32 v3, 0x10000, v66
	s_delay_alu instid0(VALU_DEP_2) | instskip(NEXT) | instid1(VALU_DEP_2)
	v_cmp_eq_u32_e32 vcc_lo, 0, v2
	v_cndmask_b32_e32 v2, v3, v66, vcc_lo
; %bb.85:
	s_or_b32 exec_lo, exec_lo, s3
	v_and_b32_e32 v3, 0x7f800000, v67
	s_delay_alu instid0(VALU_DEP_1) | instskip(SKIP_1) | instid1(SALU_CYCLE_1)
	v_cmp_ne_u32_e32 vcc_lo, 0x7f800000, v3
                                        ; implicit-def: $vgpr3
	s_and_saveexec_b32 s3, vcc_lo
	s_xor_b32 s3, exec_lo, s3
; %bb.86:
	v_bfe_u32 v3, v67, 16, 1
	s_delay_alu instid0(VALU_DEP_1)
	v_add3_u32 v3, v67, v3, 0x7fff
; %bb.87:
	s_and_not1_saveexec_b32 s3, s3
; %bb.88:
	v_and_b32_e32 v3, 0xffff, v67
	v_or_b32_e32 v4, 0x10000, v67
	s_delay_alu instid0(VALU_DEP_2) | instskip(NEXT) | instid1(VALU_DEP_2)
	v_cmp_eq_u32_e32 vcc_lo, 0, v3
	v_cndmask_b32_e32 v3, v4, v67, vcc_lo
; %bb.89:
	s_or_b32 exec_lo, exec_lo, s3
	v_and_b32_e32 v4, 0x7f800000, v68
	s_delay_alu instid0(VALU_DEP_1) | instskip(SKIP_1) | instid1(SALU_CYCLE_1)
	v_cmp_ne_u32_e32 vcc_lo, 0x7f800000, v4
                                        ; implicit-def: $vgpr4
	s_and_saveexec_b32 s3, vcc_lo
	s_xor_b32 s3, exec_lo, s3
; %bb.90:
	v_bfe_u32 v4, v68, 16, 1
	s_delay_alu instid0(VALU_DEP_1)
	v_add3_u32 v4, v68, v4, 0x7fff
; %bb.91:
	s_and_not1_saveexec_b32 s3, s3
; %bb.92:
	v_and_b32_e32 v4, 0xffff, v68
	v_or_b32_e32 v5, 0x10000, v68
	s_delay_alu instid0(VALU_DEP_2) | instskip(NEXT) | instid1(VALU_DEP_2)
	v_cmp_eq_u32_e32 vcc_lo, 0, v4
	v_cndmask_b32_e32 v4, v5, v68, vcc_lo
; %bb.93:
	s_or_b32 exec_lo, exec_lo, s3
	v_and_b32_e32 v5, 0x7f800000, v69
	s_delay_alu instid0(VALU_DEP_1) | instskip(SKIP_1) | instid1(SALU_CYCLE_1)
	v_cmp_ne_u32_e32 vcc_lo, 0x7f800000, v5
                                        ; implicit-def: $vgpr5
	s_and_saveexec_b32 s3, vcc_lo
	s_xor_b32 s3, exec_lo, s3
; %bb.94:
	v_bfe_u32 v5, v69, 16, 1
	s_delay_alu instid0(VALU_DEP_1)
	v_add3_u32 v5, v69, v5, 0x7fff
; %bb.95:
	s_and_not1_saveexec_b32 s3, s3
; %bb.96:
	v_and_b32_e32 v5, 0xffff, v69
	v_or_b32_e32 v6, 0x10000, v69
	s_delay_alu instid0(VALU_DEP_2) | instskip(NEXT) | instid1(VALU_DEP_2)
	v_cmp_eq_u32_e32 vcc_lo, 0, v5
	v_cndmask_b32_e32 v5, v6, v69, vcc_lo
; %bb.97:
	s_or_b32 exec_lo, exec_lo, s3
	v_and_b32_e32 v6, 0x7f800000, v70
	s_delay_alu instid0(VALU_DEP_1) | instskip(SKIP_1) | instid1(SALU_CYCLE_1)
	v_cmp_ne_u32_e32 vcc_lo, 0x7f800000, v6
                                        ; implicit-def: $vgpr6
	s_and_saveexec_b32 s3, vcc_lo
	s_xor_b32 s3, exec_lo, s3
; %bb.98:
	v_bfe_u32 v6, v70, 16, 1
	s_delay_alu instid0(VALU_DEP_1)
	v_add3_u32 v6, v70, v6, 0x7fff
; %bb.99:
	s_and_not1_saveexec_b32 s3, s3
; %bb.100:
	v_and_b32_e32 v6, 0xffff, v70
	v_or_b32_e32 v7, 0x10000, v70
	s_delay_alu instid0(VALU_DEP_2) | instskip(NEXT) | instid1(VALU_DEP_2)
	v_cmp_eq_u32_e32 vcc_lo, 0, v6
	v_cndmask_b32_e32 v6, v7, v70, vcc_lo
; %bb.101:
	s_or_b32 exec_lo, exec_lo, s3
	v_and_b32_e32 v7, 0x7f800000, v71
	s_delay_alu instid0(VALU_DEP_1) | instskip(SKIP_1) | instid1(SALU_CYCLE_1)
	v_cmp_ne_u32_e32 vcc_lo, 0x7f800000, v7
                                        ; implicit-def: $vgpr7
	s_and_saveexec_b32 s3, vcc_lo
	s_xor_b32 s3, exec_lo, s3
; %bb.102:
	v_bfe_u32 v7, v71, 16, 1
	s_delay_alu instid0(VALU_DEP_1)
	v_add3_u32 v7, v71, v7, 0x7fff
; %bb.103:
	s_and_not1_saveexec_b32 s3, s3
; %bb.104:
	v_and_b32_e32 v7, 0xffff, v71
	v_or_b32_e32 v8, 0x10000, v71
	s_delay_alu instid0(VALU_DEP_2) | instskip(NEXT) | instid1(VALU_DEP_2)
	v_cmp_eq_u32_e32 vcc_lo, 0, v7
	v_cndmask_b32_e32 v7, v8, v71, vcc_lo
; %bb.105:
	s_or_b32 exec_lo, exec_lo, s3
	v_and_b32_e32 v8, 0x7f800000, v72
	s_delay_alu instid0(VALU_DEP_1) | instskip(SKIP_1) | instid1(SALU_CYCLE_1)
	v_cmp_ne_u32_e32 vcc_lo, 0x7f800000, v8
                                        ; implicit-def: $vgpr8
	s_and_saveexec_b32 s3, vcc_lo
	s_xor_b32 s3, exec_lo, s3
; %bb.106:
	v_bfe_u32 v8, v72, 16, 1
	s_delay_alu instid0(VALU_DEP_1)
	v_add3_u32 v8, v72, v8, 0x7fff
                                        ; implicit-def: $vgpr65_vgpr66_vgpr67_vgpr68_vgpr69_vgpr70_vgpr71_vgpr72
; %bb.107:
	s_and_not1_saveexec_b32 s3, s3
; %bb.108:
	v_and_b32_e32 v8, 0xffff, v72
	v_or_b32_e32 v9, 0x10000, v72
	s_delay_alu instid0(VALU_DEP_2) | instskip(NEXT) | instid1(VALU_DEP_2)
	v_cmp_eq_u32_e32 vcc_lo, 0, v8
	v_cndmask_b32_e32 v8, v9, v72, vcc_lo
; %bb.109:
	s_or_b32 exec_lo, exec_lo, s3
	s_delay_alu instid0(VALU_DEP_1)
	v_perm_b32 v7, v8, v7, 0x7060302
	v_perm_b32 v6, v6, v5, 0x7060302
	;; [unrolled: 1-line block ×4, first 2 shown]
	s_barrier
	buffer_gl0_inv
	v_cmp_eq_u32_e32 vcc_lo, 1, v77
	ds_store_b128 v75, v[4:7]
	s_waitcnt lgkmcnt(0)
	s_barrier
	buffer_gl0_inv
	ds_load_b128 v[1:4], v81
	ds_load_b128 v[5:8], v81 offset:16
	v_cmp_eq_u32_e64 s3, 1, v78
	v_cmp_eq_u32_e64 s4, 2, v77
	;; [unrolled: 1-line block ×5, first 2 shown]
	s_xor_b32 s2, s2, -1
	s_waitcnt lgkmcnt(1)
	v_lshrrev_b32_e32 v9, 16, v1
	s_waitcnt lgkmcnt(0)
	v_lshrrev_b32_e32 v13, 16, v5
	v_lshrrev_b32_e32 v10, 16, v2
	;; [unrolled: 1-line block ×4, first 2 shown]
	v_cndmask_b32_e64 v19, v1, v9, s3
	v_cndmask_b32_e32 v18, v5, v13, vcc_lo
	v_cndmask_b32_e64 v20, v5, v13, s3
	v_cndmask_b32_e32 v17, v1, v9, vcc_lo
	v_cmp_eq_u32_e32 vcc_lo, 2, v78
	v_lshrrev_b32_e32 v15, 16, v7
	v_cmp_eq_u32_e64 s3, 1, v76
	v_lshrrev_b32_e32 v12, 16, v4
	v_lshrrev_b32_e32 v16, 16, v8
	v_cndmask_b32_e32 v20, v20, v6, vcc_lo
	v_cndmask_b32_e64 v17, v17, v2, s4
	v_cndmask_b32_e32 v19, v19, v2, vcc_lo
	v_cndmask_b32_e64 v18, v18, v6, s4
	v_cmp_eq_u32_e32 vcc_lo, 4, v77
	v_cmp_eq_u32_e64 s4, 3, v78
	v_cndmask_b32_e64 v17, v17, v10, s5
	v_cndmask_b32_e64 v21, v1, v9, s3
	;; [unrolled: 1-line block ×5, first 2 shown]
	v_cndmask_b32_e32 v17, v17, v3, vcc_lo
	v_cndmask_b32_e64 v20, v20, v14, s4
	v_cndmask_b32_e32 v18, v18, v7, vcc_lo
	v_cmp_eq_u32_e32 vcc_lo, 4, v78
	v_cmp_eq_u32_e64 s4, 5, v78
	v_cmp_eq_u32_e64 s3, 2, v80
	v_cndmask_b32_e64 v21, v21, v2, s7
	v_cmp_eq_u32_e64 s5, 5, v77
	v_cndmask_b32_e32 v19, v19, v3, vcc_lo
	v_cndmask_b32_e32 v20, v20, v7, vcc_lo
	v_cmp_eq_u32_e32 vcc_lo, 6, v78
	s_delay_alu instid0(VALU_DEP_4) | instskip(NEXT) | instid1(VALU_DEP_4)
	v_cndmask_b32_e64 v17, v17, v11, s5
	v_cndmask_b32_e64 v19, v19, v11, s4
	s_delay_alu instid0(VALU_DEP_4) | instskip(SKIP_1) | instid1(VALU_DEP_3)
	v_cndmask_b32_e64 v20, v20, v15, s4
	v_cmp_eq_u32_e64 s4, 1, v80
	v_cndmask_b32_e32 v19, v19, v4, vcc_lo
	v_cndmask_b32_e64 v18, v18, v15, s5
	s_delay_alu instid0(VALU_DEP_3)
	v_cndmask_b32_e64 v1, v1, v9, s4
	v_cndmask_b32_e64 v5, v5, v13, s4
	v_cmp_eq_u32_e64 s4, 3, v76
	v_cndmask_b32_e64 v13, v22, v6, s7
	v_cmp_eq_u32_e64 s7, 3, v80
	v_cndmask_b32_e64 v1, v1, v2, s3
	v_cndmask_b32_e64 v2, v5, v6, s3
	;; [unrolled: 1-line block ×3, first 2 shown]
	v_cmp_eq_u32_e64 s3, 4, v76
	v_cndmask_b32_e64 v6, v13, v14, s4
	v_cndmask_b32_e64 v1, v1, v10, s7
	v_cmp_eq_u32_e64 s4, 4, v80
	v_cndmask_b32_e64 v2, v2, v14, s7
	v_cndmask_b32_e64 v5, v9, v3, s3
	;; [unrolled: 3-line block ×3, first 2 shown]
	v_cndmask_b32_e64 v2, v2, v7, s4
	v_cmp_eq_u32_e64 s3, 5, v80
	v_cmp_eq_u32_e64 s5, 6, v77
	v_cndmask_b32_e64 v5, v5, v11, s7
	v_cmp_eq_u32_e64 s4, 6, v76
	v_cndmask_b32_e64 v3, v6, v15, s7
	v_cndmask_b32_e64 v1, v1, v11, s3
	v_cmp_eq_u32_e64 s7, 6, v80
	v_cndmask_b32_e64 v2, v2, v15, s3
	v_cndmask_b32_e64 v17, v17, v4, s5
	v_cndmask_b32_e64 v18, v18, v8, s5
	v_cmp_eq_u32_e64 s5, 7, v77
	v_cndmask_b32_e64 v5, v5, v4, s4
	;; [unrolled: 4-line block ×3, first 2 shown]
	v_cmp_eq_u32_e64 s4, 7, v76
	v_cndmask_b32_e32 v4, v20, v8, vcc_lo
	v_cndmask_b32_e64 v17, v17, v12, s5
	v_cndmask_b32_e64 v19, v19, v12, s6
	;; [unrolled: 1-line block ×8, first 2 shown]
	v_cmp_gt_u32_e32 vcc_lo, 32, v0
	v_perm_b32 v4, v2, v1, 0x5040100
	v_perm_b32 v3, v3, v5, 0x5040100
	;; [unrolled: 1-line block ×4, first 2 shown]
	s_and_b32 s2, vcc_lo, s2
	ds_store_b128 v75, v[1:4]
	s_waitcnt lgkmcnt(0)
	s_barrier
	buffer_gl0_inv
	s_and_saveexec_b32 s3, s2
	s_cbranch_execz .LBB1822_2
; %bb.110:
	s_load_b64 s[0:1], s[0:1], 0x68
	v_lshlrev_b32_e32 v1, 10, v0
	v_and_b32_e32 v0, 1, v0
	v_lshlrev_b32_e32 v2, 6, v74
	s_lshl_b32 s4, s36, 7
	s_delay_alu instid0(VALU_DEP_3) | instskip(NEXT) | instid1(VALU_DEP_3)
	v_and_b32_e32 v1, 0x3800, v1
	v_lshlrev_b32_e32 v0, 4, v0
	s_mul_i32 s2, s4, s34
	s_delay_alu instid0(SALU_CYCLE_1) | instskip(NEXT) | instid1(VALU_DEP_1)
	s_mul_i32 s2, s2, s37
	v_or3_b32 v0, v1, v2, v0
	s_ashr_i32 s3, s2, 31
	s_delay_alu instid0(SALU_CYCLE_1)
	s_lshl_b64 s[2:3], s[2:3], 1
	ds_load_b128 v[0:3], v0
	s_waitcnt lgkmcnt(0)
	s_add_u32 s5, s0, s2
	s_addc_u32 s3, s1, s3
	s_lshl_b32 s0, s14, 7
	s_mul_i32 s2, s4, s15
	s_ashr_i32 s1, s0, 31
	s_delay_alu instid0(SALU_CYCLE_1) | instskip(NEXT) | instid1(SALU_CYCLE_1)
	s_lshl_b64 s[0:1], s[0:1], 1
	s_add_u32 s4, s5, s0
	s_addc_u32 s5, s3, s1
	s_ashr_i32 s3, s2, 31
	s_delay_alu instid0(SALU_CYCLE_1) | instskip(NEXT) | instid1(SALU_CYCLE_1)
	s_lshl_b64 s[0:1], s[2:3], 1
	s_add_u32 s0, s4, s0
	s_addc_u32 s1, s5, s1
	global_store_b128 v73, v[0:3], s[0:1]
	s_nop 0
	s_sendmsg sendmsg(MSG_DEALLOC_VGPRS)
	s_endpgm
	.section	.rodata,"a",@progbits
	.p2align	6, 0x0
	.amdhsa_kernel _Z39paged_attention_ll4mi_QKV_mfma16_kernelI14__hip_bfloat16hLN4vllm18Fp8KVCacheDataTypeE1EhLi16ELi128ELi256ELb0ELi1EL8MFMAType0EEvPKT_PKT0_S9_ifPKiSB_SB_iPKfiiiPfSE_PS4_PT2_iSD_SD_
		.amdhsa_group_segment_fixed_size 17472
		.amdhsa_private_segment_fixed_size 0
		.amdhsa_kernarg_size 400
		.amdhsa_user_sgpr_count 13
		.amdhsa_user_sgpr_dispatch_ptr 0
		.amdhsa_user_sgpr_queue_ptr 0
		.amdhsa_user_sgpr_kernarg_segment_ptr 1
		.amdhsa_user_sgpr_dispatch_id 0
		.amdhsa_user_sgpr_private_segment_size 0
		.amdhsa_wavefront_size32 1
		.amdhsa_uses_dynamic_stack 0
		.amdhsa_enable_private_segment 0
		.amdhsa_system_sgpr_workgroup_id_x 1
		.amdhsa_system_sgpr_workgroup_id_y 1
		.amdhsa_system_sgpr_workgroup_id_z 1
		.amdhsa_system_sgpr_workgroup_info 0
		.amdhsa_system_vgpr_workitem_id 0
		.amdhsa_next_free_vgpr 138
		.amdhsa_next_free_sgpr 66
		.amdhsa_reserve_vcc 1
		.amdhsa_float_round_mode_32 0
		.amdhsa_float_round_mode_16_64 0
		.amdhsa_float_denorm_mode_32 3
		.amdhsa_float_denorm_mode_16_64 3
		.amdhsa_dx10_clamp 1
		.amdhsa_ieee_mode 1
		.amdhsa_fp16_overflow 0
		.amdhsa_workgroup_processor_mode 1
		.amdhsa_memory_ordered 1
		.amdhsa_forward_progress 0
		.amdhsa_shared_vgpr_count 0
		.amdhsa_exception_fp_ieee_invalid_op 0
		.amdhsa_exception_fp_denorm_src 0
		.amdhsa_exception_fp_ieee_div_zero 0
		.amdhsa_exception_fp_ieee_overflow 0
		.amdhsa_exception_fp_ieee_underflow 0
		.amdhsa_exception_fp_ieee_inexact 0
		.amdhsa_exception_int_div_zero 0
	.end_amdhsa_kernel
	.section	.text._Z39paged_attention_ll4mi_QKV_mfma16_kernelI14__hip_bfloat16hLN4vllm18Fp8KVCacheDataTypeE1EhLi16ELi128ELi256ELb0ELi1EL8MFMAType0EEvPKT_PKT0_S9_ifPKiSB_SB_iPKfiiiPfSE_PS4_PT2_iSD_SD_,"axG",@progbits,_Z39paged_attention_ll4mi_QKV_mfma16_kernelI14__hip_bfloat16hLN4vllm18Fp8KVCacheDataTypeE1EhLi16ELi128ELi256ELb0ELi1EL8MFMAType0EEvPKT_PKT0_S9_ifPKiSB_SB_iPKfiiiPfSE_PS4_PT2_iSD_SD_,comdat
.Lfunc_end1822:
	.size	_Z39paged_attention_ll4mi_QKV_mfma16_kernelI14__hip_bfloat16hLN4vllm18Fp8KVCacheDataTypeE1EhLi16ELi128ELi256ELb0ELi1EL8MFMAType0EEvPKT_PKT0_S9_ifPKiSB_SB_iPKfiiiPfSE_PS4_PT2_iSD_SD_, .Lfunc_end1822-_Z39paged_attention_ll4mi_QKV_mfma16_kernelI14__hip_bfloat16hLN4vllm18Fp8KVCacheDataTypeE1EhLi16ELi128ELi256ELb0ELi1EL8MFMAType0EEvPKT_PKT0_S9_ifPKiSB_SB_iPKfiiiPfSE_PS4_PT2_iSD_SD_
                                        ; -- End function
	.section	.AMDGPU.csdata,"",@progbits
; Kernel info:
; codeLenInByte = 8640
; NumSgprs: 68
; NumVgprs: 138
; ScratchSize: 0
; MemoryBound: 1
; FloatMode: 240
; IeeeMode: 1
; LDSByteSize: 17472 bytes/workgroup (compile time only)
; SGPRBlocks: 8
; VGPRBlocks: 17
; NumSGPRsForWavesPerEU: 68
; NumVGPRsForWavesPerEU: 138
; Occupancy: 10
; WaveLimiterHint : 1
; COMPUTE_PGM_RSRC2:SCRATCH_EN: 0
; COMPUTE_PGM_RSRC2:USER_SGPR: 13
; COMPUTE_PGM_RSRC2:TRAP_HANDLER: 0
; COMPUTE_PGM_RSRC2:TGID_X_EN: 1
; COMPUTE_PGM_RSRC2:TGID_Y_EN: 1
; COMPUTE_PGM_RSRC2:TGID_Z_EN: 1
; COMPUTE_PGM_RSRC2:TIDIG_COMP_CNT: 0
	.section	.text._Z39paged_attention_ll4mi_QKV_mfma16_kernelI14__hip_bfloat16hLN4vllm18Fp8KVCacheDataTypeE1EhLi16ELi128ELi256ELb0ELi2EL8MFMAType0EEvPKT_PKT0_S9_ifPKiSB_SB_iPKfiiiPfSE_PS4_PT2_iSD_SD_,"axG",@progbits,_Z39paged_attention_ll4mi_QKV_mfma16_kernelI14__hip_bfloat16hLN4vllm18Fp8KVCacheDataTypeE1EhLi16ELi128ELi256ELb0ELi2EL8MFMAType0EEvPKT_PKT0_S9_ifPKiSB_SB_iPKfiiiPfSE_PS4_PT2_iSD_SD_,comdat
	.protected	_Z39paged_attention_ll4mi_QKV_mfma16_kernelI14__hip_bfloat16hLN4vllm18Fp8KVCacheDataTypeE1EhLi16ELi128ELi256ELb0ELi2EL8MFMAType0EEvPKT_PKT0_S9_ifPKiSB_SB_iPKfiiiPfSE_PS4_PT2_iSD_SD_ ; -- Begin function _Z39paged_attention_ll4mi_QKV_mfma16_kernelI14__hip_bfloat16hLN4vllm18Fp8KVCacheDataTypeE1EhLi16ELi128ELi256ELb0ELi2EL8MFMAType0EEvPKT_PKT0_S9_ifPKiSB_SB_iPKfiiiPfSE_PS4_PT2_iSD_SD_
	.globl	_Z39paged_attention_ll4mi_QKV_mfma16_kernelI14__hip_bfloat16hLN4vllm18Fp8KVCacheDataTypeE1EhLi16ELi128ELi256ELb0ELi2EL8MFMAType0EEvPKT_PKT0_S9_ifPKiSB_SB_iPKfiiiPfSE_PS4_PT2_iSD_SD_
	.p2align	8
	.type	_Z39paged_attention_ll4mi_QKV_mfma16_kernelI14__hip_bfloat16hLN4vllm18Fp8KVCacheDataTypeE1EhLi16ELi128ELi256ELb0ELi2EL8MFMAType0EEvPKT_PKT0_S9_ifPKiSB_SB_iPKfiiiPfSE_PS4_PT2_iSD_SD_,@function
_Z39paged_attention_ll4mi_QKV_mfma16_kernelI14__hip_bfloat16hLN4vllm18Fp8KVCacheDataTypeE1EhLi16ELi128ELi256ELb0ELi2EL8MFMAType0EEvPKT_PKT0_S9_ifPKiSB_SB_iPKfiiiPfSE_PS4_PT2_iSD_SD_: ; @_Z39paged_attention_ll4mi_QKV_mfma16_kernelI14__hip_bfloat16hLN4vllm18Fp8KVCacheDataTypeE1EhLi16ELi128ELi256ELb0ELi2EL8MFMAType0EEvPKT_PKT0_S9_ifPKiSB_SB_iPKfiiiPfSE_PS4_PT2_iSD_SD_
; %bb.0:
	s_load_b64 s[2:3], s[0:1], 0x30
	s_mov_b32 s30, s13
	s_waitcnt lgkmcnt(0)
	s_cmp_lg_u64 s[2:3], 0
	s_cselect_b32 s6, -1, 0
	s_ashr_i32 s31, s13, 31
	s_cmp_eq_u64 s[2:3], 0
	s_cbranch_scc1 .LBB1823_3
; %bb.1:
	s_lshl_b64 s[4:5], s[30:31], 2
	s_delay_alu instid0(SALU_CYCLE_1) | instskip(SKIP_4) | instid1(SALU_CYCLE_1)
	s_add_u32 s4, s2, s4
	s_addc_u32 s5, s3, s5
	s_load_b64 s[4:5], s[4:5], 0x0
	s_waitcnt lgkmcnt(0)
	s_sub_i32 s4, s5, s4
	s_cmp_eq_u32 s4, 1
	s_cselect_b32 s4, -1, 0
	s_delay_alu instid0(SALU_CYCLE_1)
	s_and_not1_b32 vcc_lo, exec_lo, s4
	s_cbranch_vccz .LBB1823_4
.LBB1823_2:
	s_endpgm
.LBB1823_3:
.LBB1823_4:
	s_load_b64 s[8:9], s[0:1], 0x28
	s_lshl_b64 s[4:5], s[30:31], 2
	s_waitcnt lgkmcnt(0)
	s_add_u32 s8, s8, s4
	s_addc_u32 s9, s9, s5
	s_lshl_b32 s16, s14, 8
	s_load_b32 s18, s[8:9], 0x0
	s_waitcnt lgkmcnt(0)
	s_cmp_ge_i32 s16, s18
	s_cbranch_scc1 .LBB1823_2
; %bb.5:
	s_clause 0x1
	s_load_b128 s[8:11], s[0:1], 0x8
	s_load_b64 s[12:13], s[0:1], 0x20
	s_and_not1_b32 vcc_lo, exec_lo, s6
	s_cbranch_vccnz .LBB1823_7
; %bb.6:
	s_add_u32 s2, s2, s4
	s_addc_u32 s3, s3, s5
	s_load_b32 s3, s[2:3], 0x0
	s_branch .LBB1823_8
.LBB1823_7:
	s_mov_b32 s3, s30
.LBB1823_8:
	s_load_b128 s[4:7], s[0:1], 0x48
	v_and_b32_e32 v66, 15, v0
	v_bfe_u32 v65, v0, 4, 1
	s_lshl_b32 s31, s15, 1
	v_and_b32_e32 v67, 31, v0
	v_and_b32_e32 v76, 1, v0
	v_lshlrev_b32_e32 v1, 3, v66
	v_cmp_gt_u32_e64 s2, 32, v0
	v_or_b32_e32 v75, s31, v65
	v_lshlrev_b32_e32 v74, 6, v65
	s_delay_alu instid0(VALU_DEP_4)
	v_lshlrev_b32_e32 v73, 1, v1
	s_waitcnt lgkmcnt(0)
	s_and_saveexec_b32 s7, s2
	s_cbranch_execz .LBB1823_10
; %bb.9:
	s_load_b64 s[20:21], s[0:1], 0x0
	v_lshlrev_b32_e32 v1, 7, v75
	s_mul_hi_i32 s23, s3, s4
	s_mul_i32 s22, s3, s4
	v_lshlrev_b32_e32 v5, 10, v66
	s_lshl_b64 s[22:23], s[22:23], 1
	v_ashrrev_i32_e32 v2, 31, v1
	v_lshlrev_b32_e32 v6, 10, v76
	s_delay_alu instid0(VALU_DEP_3) | instskip(NEXT) | instid1(VALU_DEP_3)
	v_and_b32_e32 v5, 0x3800, v5
	v_lshlrev_b64 v[1:2], 1, v[1:2]
	s_delay_alu instid0(VALU_DEP_2) | instskip(SKIP_3) | instid1(VALU_DEP_2)
	v_or3_b32 v5, v5, v6, v74
	s_waitcnt lgkmcnt(0)
	s_add_u32 s3, s20, s22
	s_addc_u32 s4, s21, s23
	v_add_co_u32 v1, vcc_lo, s3, v1
	v_add_co_ci_u32_e32 v2, vcc_lo, s4, v2, vcc_lo
	s_delay_alu instid0(VALU_DEP_2) | instskip(NEXT) | instid1(VALU_DEP_2)
	v_add_co_u32 v1, vcc_lo, v1, v73
	v_add_co_ci_u32_e32 v2, vcc_lo, 0, v2, vcc_lo
	global_load_b128 v[1:4], v[1:2], off
	s_waitcnt vmcnt(0)
	ds_store_b128 v5, v[1:4]
.LBB1823_10:
	s_or_b32 exec_lo, exec_lo, s7
	v_and_b32_e32 v1, 0xef, v0
	s_add_i32 s3, s18, 15
	s_clause 0x1
	s_load_b32 s4, s[0:1], 0x38
	s_load_b32 s19, s[0:1], 0x1c
	s_ashr_i32 s7, s3, 31
	v_add_nc_u32_e32 v1, s16, v1
	s_lshr_b32 s7, s7, 28
	s_waitcnt lgkmcnt(0)
	s_add_i32 s3, s3, s7
	s_barrier
	v_ashrrev_i32_e32 v2, 31, v1
	v_or_b32_e32 v3, 16, v1
	s_ashr_i32 s3, s3, 4
	v_cmp_gt_i32_e32 vcc_lo, s18, v1
	s_add_i32 s3, s3, -1
	v_lshrrev_b32_e32 v2, 28, v2
	buffer_gl0_inv
	s_mul_i32 s15, s15, s6
	v_lshrrev_b32_e32 v68, 5, v0
	v_lshlrev_b32_e32 v33, 4, v66
	v_add_nc_u32_e32 v4, v1, v2
	v_lshlrev_b32_e32 v137, 6, v76
	s_mul_i32 s20, s30, s4
	s_delay_alu instid0(SALU_CYCLE_1) | instskip(NEXT) | instid1(VALU_DEP_2)
	s_ashr_i32 s21, s20, 31
	v_ashrrev_i32_e32 v4, 4, v4
	v_add_nc_u32_e32 v2, v3, v2
	s_lshl_b64 s[20:21], s[20:21], 2
	v_lshl_or_b32 v33, v68, 8, v33
	s_add_u32 s4, s12, s20
	v_cndmask_b32_e32 v1, s3, v4, vcc_lo
	v_ashrrev_i32_e32 v2, 4, v2
	v_cmp_gt_i32_e32 vcc_lo, s18, v3
	s_addc_u32 s7, s13, s21
	s_ashr_i32 s6, s15, 31
	s_add_u32 s17, s8, s15
	s_addc_u32 s28, s9, s6
	v_cndmask_b32_e32 v3, s3, v2, vcc_lo
	v_ashrrev_i32_e32 v2, 31, v1
	s_lshl_b32 s8, s14, 4
	s_delay_alu instid0(SALU_CYCLE_1) | instskip(NEXT) | instid1(VALU_DEP_2)
	s_ashr_i32 s9, s8, 31
	v_ashrrev_i32_e32 v4, 31, v3
	s_delay_alu instid0(VALU_DEP_2) | instskip(SKIP_1) | instid1(SALU_CYCLE_1)
	v_lshlrev_b64 v[1:2], 2, v[1:2]
	s_lshl_b64 s[8:9], s[8:9], 2
	s_add_u32 s8, s4, s8
	s_delay_alu instid0(VALU_DEP_2) | instskip(SKIP_1) | instid1(VALU_DEP_2)
	v_lshlrev_b64 v[3:4], 2, v[3:4]
	s_addc_u32 s9, s7, s9
	v_add_co_u32 v1, vcc_lo, s4, v1
	v_add_co_ci_u32_e32 v2, vcc_lo, s7, v2, vcc_lo
	s_delay_alu instid0(VALU_DEP_3) | instskip(NEXT) | instid1(VALU_DEP_4)
	v_add_co_u32 v3, vcc_lo, s4, v3
	v_add_co_ci_u32_e32 v4, vcc_lo, s7, v4, vcc_lo
	s_clause 0x1
	global_load_b32 v5, v[1:2], off
	global_load_b32 v3, v[3:4], off
	s_or_b32 s12, s16, 32
	v_lshlrev_b32_e32 v1, 4, v0
	s_ashr_i32 s13, s12, 4
	s_cmp_lt_i32 s12, s18
	s_cselect_b32 s12, s13, s3
	s_delay_alu instid0(VALU_DEP_1) | instskip(SKIP_1) | instid1(SALU_CYCLE_1)
	v_and_b32_e32 v1, 0xf0, v1
	s_ashr_i32 s13, s12, 31
	s_lshl_b64 s[12:13], s[12:13], 2
	s_delay_alu instid0(SALU_CYCLE_1)
	s_add_u32 s12, s4, s12
	s_addc_u32 s13, s7, s13
	s_or_b32 s20, s16, 64
	v_add_co_u32 v1, s17, s17, v1
	s_ashr_i32 s21, s20, 4
	s_cmp_lt_i32 s20, s18
	v_add_co_ci_u32_e64 v2, null, s28, 0, s17
	s_cselect_b32 s20, s21, s3
	s_delay_alu instid0(SALU_CYCLE_1) | instskip(NEXT) | instid1(SALU_CYCLE_1)
	s_ashr_i32 s21, s20, 31
	s_lshl_b64 s[20:21], s[20:21], 2
	s_delay_alu instid0(SALU_CYCLE_1) | instskip(SKIP_2) | instid1(SALU_CYCLE_1)
	s_add_u32 s20, s4, s20
	s_addc_u32 s21, s7, s21
	s_or_b32 s22, s16, 0x60
	s_ashr_i32 s23, s22, 4
	s_cmp_lt_i32 s22, s18
	s_cselect_b32 s22, s23, s3
	s_delay_alu instid0(SALU_CYCLE_1) | instskip(NEXT) | instid1(SALU_CYCLE_1)
	s_ashr_i32 s23, s22, 31
	s_lshl_b64 s[22:23], s[22:23], 2
	s_delay_alu instid0(SALU_CYCLE_1) | instskip(SKIP_2) | instid1(SALU_CYCLE_1)
	s_add_u32 s22, s4, s22
	s_addc_u32 s23, s7, s23
	s_or_b32 s24, s16, 0x80
	s_ashr_i32 s25, s24, 4
	s_cmp_lt_i32 s24, s18
	;; [unrolled: 10-line block ×3, first 2 shown]
	s_cselect_b32 s26, s27, s3
	s_delay_alu instid0(SALU_CYCLE_1) | instskip(NEXT) | instid1(SALU_CYCLE_1)
	s_ashr_i32 s27, s26, 31
	s_lshl_b64 s[26:27], s[26:27], 2
	s_delay_alu instid0(SALU_CYCLE_1)
	s_add_u32 s26, s4, s26
	s_addc_u32 s27, s7, s27
	s_clause 0x5
	s_load_b32 s17, s[8:9], 0x0
	s_load_b32 s28, s[12:13], 0x0
	;; [unrolled: 1-line block ×6, first 2 shown]
	s_or_b32 s8, s16, 0xc0
	s_mov_b32 s20, 0
	s_ashr_i32 s9, s8, 4
	s_cmp_lt_i32 s8, s18
	s_mov_b32 s27, s20
	s_cselect_b32 s8, s9, s3
	s_mov_b32 s21, s20
	s_ashr_i32 s9, s8, 31
	s_mov_b32 s22, s20
	s_lshl_b64 s[8:9], s[8:9], 2
	s_mov_b32 s23, s20
	s_add_u32 s8, s4, s8
	s_addc_u32 s9, s7, s9
	s_or_b32 s12, s16, 0xe0
	s_mov_b32 s24, s20
	s_ashr_i32 s13, s12, 4
	s_cmp_lt_i32 s12, s18
	s_mov_b32 s25, s20
	s_cselect_b32 s12, s13, s3
	s_mov_b32 s26, s20
	s_ashr_i32 s13, s12, 31
	v_mov_b32_e32 v108, s27
	v_mov_b32_e32 v102, s21
	s_lshl_b64 s[12:13], s[12:13], 2
	v_mov_b32_e32 v107, s26
	s_add_u32 s12, s4, s12
	s_addc_u32 s13, s7, s13
	s_add_u32 s3, s10, s15
	s_addc_u32 s4, s11, s6
	v_add_co_u32 v69, s3, s3, v33
	s_delay_alu instid0(VALU_DEP_1)
	v_add_co_ci_u32_e64 v70, null, s4, 0, s3
	v_dual_mov_b32 v106, s25 :: v_dual_mov_b32 v105, s24
	v_dual_mov_b32 v104, s23 :: v_dual_mov_b32 v103, s22
	v_mov_b32_e32 v101, s20
	s_waitcnt lgkmcnt(0)
	v_mad_i64_i32 v[33:34], null, s17, s5, v[69:70]
	v_mad_i64_i32 v[71:72], null, s29, s5, v[69:70]
	;; [unrolled: 1-line block ×5, first 2 shown]
	s_waitcnt vmcnt(1)
	v_mad_i64_i32 v[25:26], null, v5, s5, v[1:2]
	s_waitcnt vmcnt(0)
	v_mad_i64_i32 v[27:28], null, v3, s5, v[1:2]
	s_clause 0xf
	global_load_b128 v[1:4], v[25:26], off
	global_load_b128 v[5:8], v[25:26], off offset:256
	global_load_b128 v[9:12], v[27:28], off
	global_load_b128 v[13:16], v[27:28], off offset:256
	global_load_b128 v[17:20], v[25:26], off offset:512
	global_load_b128 v[21:24], v[25:26], off offset:768
	global_load_b128 v[49:52], v[27:28], off offset:512
	global_load_b128 v[53:56], v[27:28], off offset:768
	global_load_b128 v[57:60], v[25:26], off offset:1024
	global_load_b128 v[61:64], v[25:26], off offset:1280
	global_load_b128 v[77:80], v[27:28], off offset:1024
	global_load_b128 v[81:84], v[27:28], off offset:1280
	global_load_b128 v[85:88], v[25:26], off offset:1536
	global_load_b128 v[89:92], v[25:26], off offset:1792
	global_load_b128 v[93:96], v[27:28], off offset:1536
	global_load_b128 v[97:100], v[27:28], off offset:1792
	ds_load_b128 v[25:28], v137
	ds_load_b128 v[29:32], v137 offset:1024
	ds_load_b128 v[109:112], v137 offset:2048
	ds_load_b128 v[113:116], v137 offset:3072
	ds_load_b128 v[117:120], v137 offset:4096
	ds_load_b128 v[121:124], v137 offset:5120
	s_clause 0x1
	s_load_b32 s3, s[8:9], 0x0
	s_load_b32 s4, s[12:13], 0x0
	s_clause 0x3
	global_load_b128 v[41:44], v[33:34], off
	global_load_b128 v[45:48], v[33:34], off offset:16
	global_load_b128 v[33:36], v[37:38], off
	global_load_b128 v[37:40], v[37:38], off offset:16
	s_waitcnt vmcnt(18) lgkmcnt(0)
	v_wmma_f32_16x16x16_bf16 v[125:132], v[1:8], v[25:32], v[101:108]
	s_waitcnt vmcnt(16)
	v_wmma_f32_16x16x16_bf16 v[101:108], v[9:16], v[25:32], v[101:108]
	v_mad_i64_i32 v[13:14], null, s35, s5, v[69:70]
	s_waitcnt vmcnt(14)
	v_wmma_f32_16x16x16_bf16 v[125:132], v[17:24], v[109:116], v[125:132]
	s_clause 0x1
	global_load_b128 v[25:28], v[71:72], off
	global_load_b128 v[29:32], v[71:72], off offset:16
	s_waitcnt vmcnt(14)
	v_wmma_f32_16x16x16_bf16 v[101:108], v[49:56], v[109:116], v[101:108]
	v_mad_i64_i32 v[49:50], null, s3, s5, v[69:70]
	v_mad_i64_i32 v[53:54], null, s4, s5, v[69:70]
	s_clause 0x5
	global_load_b128 v[17:20], v[133:134], off
	global_load_b128 v[21:24], v[133:134], off offset:16
	global_load_b128 v[1:4], v[135:136], off
	global_load_b128 v[5:8], v[135:136], off offset:16
	;; [unrolled: 2-line block ×3, first 2 shown]
	s_waitcnt vmcnt(18)
	v_wmma_f32_16x16x16_bf16 v[125:132], v[57:64], v[117:124], v[125:132]
	s_clause 0x3
	global_load_b128 v[57:60], v[49:50], off
	global_load_b128 v[61:64], v[49:50], off offset:16
	global_load_b128 v[49:52], v[53:54], off
	global_load_b128 v[53:56], v[53:54], off offset:16
	v_mbcnt_lo_u32_b32 v70, -1, 0
	s_waitcnt vmcnt(20)
	v_wmma_f32_16x16x16_bf16 v[101:108], v[77:84], v[117:124], v[101:108]
	s_delay_alu instid0(VALU_DEP_2) | instskip(NEXT) | instid1(VALU_DEP_1)
	v_xor_b32_e32 v71, 16, v70
	v_cmp_gt_i32_e32 vcc_lo, 32, v71
	v_cndmask_b32_e32 v70, v70, v71, vcc_lo
	ds_load_b128 v[77:80], v137 offset:6144
	ds_load_b128 v[81:84], v137 offset:7168
	s_waitcnt vmcnt(0) lgkmcnt(0)
	s_barrier
	buffer_gl0_inv
	v_wmma_f32_16x16x16_bf16 v[101:108], v[93:100], v[77:84], v[101:108]
	v_and_b32_e32 v69, 0xe0, v0
	v_wmma_f32_16x16x16_bf16 v[125:132], v[85:92], v[77:84], v[125:132]
	s_delay_alu instid0(VALU_DEP_3) | instskip(NEXT) | instid1(VALU_DEP_3)
	v_mul_f32_e32 v96, s19, v101
	v_dual_mul_f32 v98, s19, v103 :: v_dual_add_nc_u32 v69, s16, v69
	s_delay_alu instid0(VALU_DEP_3) | instskip(SKIP_1) | instid1(VALU_DEP_3)
	v_dual_mul_f32 v80, s19, v126 :: v_dual_mul_f32 v81, s19, v128
	v_mul_f32_e32 v100, s19, v105
	v_or_b32_e32 v69, v69, v65
	v_dual_mul_f32 v82, s19, v127 :: v_dual_mul_f32 v83, s19, v130
	v_dual_mul_f32 v84, s19, v129 :: v_dual_mul_f32 v93, s19, v132
	s_delay_alu instid0(VALU_DEP_3)
	v_or_b32_e32 v71, 2, v69
	v_or_b32_e32 v72, 4, v69
	;; [unrolled: 1-line block ×3, first 2 shown]
	v_cmp_gt_i32_e64 s3, s18, v69
	v_or_b32_e32 v110, 8, v69
	v_cmp_gt_i32_e32 vcc_lo, s18, v71
	v_mul_f32_e32 v71, s19, v125
	v_or_b32_e32 v85, 10, v69
	v_or_b32_e32 v91, 22, v69
	v_cmp_gt_i32_e64 s4, s18, v72
	v_mul_f32_e32 v72, s19, v107
	v_cndmask_b32_e64 v71, 0xff7fffff, v71, s3
	v_cndmask_b32_e32 v80, 0xff7fffff, v80, vcc_lo
	v_cmp_gt_i32_e64 s5, s18, v109
	v_or_b32_e32 v86, 12, v69
	v_or_b32_e32 v87, 14, v69
	v_cndmask_b32_e64 v82, 0xff7fffff, v82, s4
	v_cmp_gt_i32_e64 s6, s18, v110
	v_cndmask_b32_e64 v81, 0xff7fffff, v81, s5
	v_cmp_gt_i32_e64 s7, s18, v85
	v_cmp_gt_i32_e64 s13, s18, v91
	v_lshlrev_b32_e32 v91, 2, v70
	v_max3_f32 v71, v71, 0xff7fffff, v80
	v_or_b32_e32 v88, 16, v69
	v_or_b32_e32 v89, 18, v69
	v_mul_f32_e32 v94, s19, v131
	v_cndmask_b32_e64 v80, 0xff7fffff, v84, s6
	v_cndmask_b32_e64 v83, 0xff7fffff, v83, s7
	v_max3_f32 v71, v71, v82, v81
	v_cmp_gt_i32_e64 s8, s18, v86
	v_cmp_gt_i32_e64 s9, s18, v87
	v_or_b32_e32 v90, 20, v69
	v_mul_f32_e32 v95, s19, v102
	v_max3_f32 v71, v71, v80, v83
	v_cndmask_b32_e64 v81, 0xff7fffff, v94, s8
	v_cndmask_b32_e64 v82, 0xff7fffff, v93, s9
	v_cmp_gt_i32_e64 s10, s18, v88
	v_cmp_gt_i32_e64 s11, s18, v89
	v_or_b32_e32 v92, 24, v69
	v_or_b32_e32 v77, 26, v69
	v_mul_f32_e32 v97, s19, v104
	v_cndmask_b32_e64 v80, 0xff7fffff, v96, s10
	v_cndmask_b32_e64 v83, 0xff7fffff, v95, s11
	v_max3_f32 v71, v71, v81, v82
	v_cmp_gt_i32_e64 s12, s18, v90
	v_or_b32_e32 v78, 28, v69
	v_or_b32_e32 v79, 30, v69
	v_mul_f32_e32 v99, s19, v106
	v_cndmask_b32_e64 v82, 0xff7fffff, v97, s13
	v_cndmask_b32_e64 v81, 0xff7fffff, v98, s12
	v_max3_f32 v71, v71, v80, v83
	v_cmp_gt_i32_e64 s15, s18, v92
	v_cmp_gt_i32_e64 s16, s18, v77
	v_mul_f32_e32 v69, s19, v108
	v_cmp_gt_i32_e64 s17, s18, v78
	v_max3_f32 v71, v71, v81, v82
	v_cndmask_b32_e64 v80, 0xff7fffff, v100, s15
	v_cndmask_b32_e64 v77, 0xff7fffff, v99, s16
	v_cmp_gt_i32_e64 s18, s18, v79
	v_cndmask_b32_e64 v72, 0xff7fffff, v72, s17
	s_delay_alu instid0(VALU_DEP_3) | instskip(NEXT) | instid1(VALU_DEP_3)
	v_max3_f32 v71, v71, v80, v77
	v_cndmask_b32_e64 v69, 0xff7fffff, v69, s18
	s_delay_alu instid0(VALU_DEP_1) | instskip(SKIP_3) | instid1(VALU_DEP_1)
	v_max3_f32 v69, v71, v72, v69
	ds_bpermute_b32 v70, v91, v69
	s_waitcnt lgkmcnt(0)
	v_max_f32_e32 v70, v70, v70
	v_max_f32_e32 v69, v69, v70
	s_delay_alu instid0(VALU_DEP_1)
	v_fma_f32 v70, s19, v125, -v69
	v_fma_f32 v71, s19, v126, -v69
	;; [unrolled: 1-line block ×5, first 2 shown]
	v_mul_f32_e32 v70, 0x3fb8aa3b, v70
	s_delay_alu instid0(VALU_DEP_3) | instskip(NEXT) | instid1(VALU_DEP_3)
	v_dual_mul_f32 v72, 0x3fb8aa3b, v72 :: v_dual_mul_f32 v77, 0x3fb8aa3b, v77
	v_mul_f32_e32 v78, 0x3fb8aa3b, v78
	s_delay_alu instid0(VALU_DEP_3) | instskip(NEXT) | instid1(VALU_DEP_2)
	v_exp_f32_e32 v70, v70
	v_exp_f32_e32 v72, v72
	s_delay_alu instid0(VALU_DEP_2) | instskip(NEXT) | instid1(VALU_DEP_1)
	v_exp_f32_e32 v79, v77
	v_exp_f32_e32 v78, v78
	v_cndmask_b32_e64 v81, 0, v70, s3
	v_fma_f32 v70, s19, v130, -v69
	v_mul_f32_e32 v71, 0x3fb8aa3b, v71
	s_delay_alu instid0(TRANS32_DEP_3)
	v_cndmask_b32_e64 v85, 0, v72, s4
	s_waitcnt_depctr 0xfff
	v_cndmask_b32_e64 v87, 0, v79, s5
	v_cndmask_b32_e64 v88, 0, v78, s6
	v_mul_f32_e32 v70, 0x3fb8aa3b, v70
	v_exp_f32_e32 v71, v71
	s_mov_b32 s3, exec_lo
	s_delay_alu instid0(VALU_DEP_1) | instskip(SKIP_4) | instid1(VALU_DEP_2)
	v_exp_f32_e32 v70, v70
	s_waitcnt_depctr 0xfff
	v_cndmask_b32_e32 v77, 0, v71, vcc_lo
	v_add_f32_e32 v71, 0, v81
	v_cndmask_b32_e64 v89, 0, v70, s7
	v_add_f32_e32 v71, v71, v77
	s_delay_alu instid0(VALU_DEP_1) | instskip(NEXT) | instid1(VALU_DEP_1)
	v_add_f32_e32 v71, v71, v85
	v_add_f32_e32 v71, v71, v87
	s_delay_alu instid0(VALU_DEP_1) | instskip(NEXT) | instid1(VALU_DEP_1)
	v_add_f32_e32 v70, v71, v88
	v_add_f32_e32 v70, v70, v89
	v_fma_f32 v80, s19, v131, -v69
	v_fma_f32 v72, s19, v132, -v69
	;; [unrolled: 1-line block ×5, first 2 shown]
	v_mul_f32_e32 v80, 0x3fb8aa3b, v80
	s_delay_alu instid0(VALU_DEP_4) | instskip(NEXT) | instid1(VALU_DEP_3)
	v_dual_mul_f32 v72, 0x3fb8aa3b, v72 :: v_dual_mul_f32 v79, 0x3fb8aa3b, v79
	v_dual_mul_f32 v78, 0x3fb8aa3b, v78 :: v_dual_mul_f32 v71, 0x3fb8aa3b, v71
	s_delay_alu instid0(VALU_DEP_3) | instskip(NEXT) | instid1(VALU_DEP_2)
	v_exp_f32_e32 v80, v80
	v_exp_f32_e32 v72, v72
	s_delay_alu instid0(VALU_DEP_2) | instskip(NEXT) | instid1(VALU_DEP_1)
	v_exp_f32_e32 v79, v79
	v_exp_f32_e32 v78, v78
	;; [unrolled: 1-line block ×3, first 2 shown]
	v_fma_f32 v83, s19, v106, -v69
	v_cndmask_b32_e64 v86, 0, v80, s8
	v_fma_f32 v80, s19, v104, -v69
	v_cndmask_b32_e64 v90, 0, v72, s9
	v_fma_f32 v72, s19, v105, -v69
	s_delay_alu instid0(TRANS32_DEP_3) | instskip(SKIP_2) | instid1(VALU_DEP_2)
	v_cndmask_b32_e64 v71, 0, v79, s10
	v_add_f32_e32 v70, v70, v86
	v_dual_mul_f32 v80, 0x3fb8aa3b, v80 :: v_dual_mul_f32 v83, 0x3fb8aa3b, v83
	v_dual_mul_f32 v72, 0x3fb8aa3b, v72 :: v_dual_add_f32 v79, v70, v90
	s_delay_alu instid0(VALU_DEP_2) | instskip(SKIP_1) | instid1(VALU_DEP_2)
	v_exp_f32_e32 v80, v80
	v_cndmask_b32_e64 v70, 0, v78, s11
	v_exp_f32_e32 v84, v72
	v_cndmask_b32_e64 v72, 0, v82, s12
	v_add_f32_e32 v78, v79, v71
	v_fma_f32 v79, s19, v107, -v69
	v_exp_f32_e32 v83, v83
	s_delay_alu instid0(VALU_DEP_1) | instskip(NEXT) | instid1(TRANS32_DEP_3)
	v_dual_add_f32 v82, v78, v70 :: v_dual_mul_f32 v79, 0x3fb8aa3b, v79
	v_cndmask_b32_e64 v78, 0, v80, s13
	s_delay_alu instid0(VALU_DEP_2) | instskip(SKIP_1) | instid1(VALU_DEP_4)
	v_add_f32_e32 v80, v82, v72
	v_fma_f32 v82, s19, v108, -v69
	v_exp_f32_e32 v92, v79
	v_cndmask_b32_e64 v79, 0, v84, s15
	s_delay_alu instid0(VALU_DEP_3) | instskip(NEXT) | instid1(VALU_DEP_3)
	v_add_f32_e32 v84, v80, v78
	v_mul_f32_e32 v82, 0x3fb8aa3b, v82
	s_delay_alu instid0(TRANS32_DEP_2) | instskip(NEXT) | instid1(VALU_DEP_3)
	v_cndmask_b32_e64 v80, 0, v83, s16
	v_add_f32_e32 v83, v84, v79
	s_delay_alu instid0(VALU_DEP_3) | instskip(NEXT) | instid1(TRANS32_DEP_2)
	v_exp_f32_e32 v84, v82
	v_cndmask_b32_e64 v82, 0, v92, s17
	s_delay_alu instid0(VALU_DEP_2) | instskip(NEXT) | instid1(VALU_DEP_1)
	v_add_f32_e32 v83, v83, v80
	v_add_f32_e32 v92, v83, v82
	s_waitcnt_depctr 0xfff
	v_cndmask_b32_e64 v83, 0, v84, s18
	s_delay_alu instid0(VALU_DEP_1)
	v_add_f32_e32 v84, v92, v83
	ds_bpermute_b32 v91, v91, v84
	v_cmpx_gt_u32_e32 16, v67
	s_cbranch_execz .LBB1823_12
; %bb.11:
	v_mul_u32_u24_e32 v67, 0x44, v68
	s_waitcnt lgkmcnt(0)
	v_add_f32_e32 v84, v84, v91
	s_delay_alu instid0(VALU_DEP_2) | instskip(NEXT) | instid1(VALU_DEP_1)
	v_lshl_add_u32 v67, v66, 2, v67
	v_add_nc_u32_e32 v67, 0x4000, v67
	ds_store_2addr_b32 v67, v69, v84 offset1:136
.LBB1823_12:
	s_or_b32 exec_lo, exec_lo, s3
	v_lshlrev_b32_e32 v67, 2, v66
	s_waitcnt lgkmcnt(0)
	s_barrier
	buffer_gl0_inv
	v_cmp_eq_u32_e32 vcc_lo, 1, v68
	v_add_nc_u32_e32 v84, 0x4000, v67
	v_cmp_eq_u32_e64 s3, 2, v68
	v_cmp_eq_u32_e64 s5, 7, v68
	ds_load_2addr_b32 v[91:92], v84 offset1:17
	ds_load_2addr_b32 v[93:94], v84 offset0:34 offset1:51
	ds_load_2addr_b32 v[95:96], v84 offset0:68 offset1:85
	;; [unrolled: 1-line block ×4, first 2 shown]
	s_waitcnt lgkmcnt(4)
	v_max3_f32 v67, v91, 0xff7fffff, v92
	s_waitcnt lgkmcnt(3)
	s_delay_alu instid0(VALU_DEP_1) | instskip(SKIP_1) | instid1(VALU_DEP_1)
	v_max3_f32 v67, v67, v93, v94
	s_waitcnt lgkmcnt(2)
	v_max3_f32 v67, v67, v95, v96
	s_waitcnt lgkmcnt(1)
	s_delay_alu instid0(VALU_DEP_1) | instskip(NEXT) | instid1(VALU_DEP_1)
	v_max3_f32 v67, v67, v97, v98
	v_sub_f32_e32 v69, v91, v67
	v_sub_f32_e32 v101, v92, v67
	;; [unrolled: 1-line block ×4, first 2 shown]
	s_delay_alu instid0(VALU_DEP_4) | instskip(NEXT) | instid1(VALU_DEP_4)
	v_mul_f32_e32 v69, 0x3fb8aa3b, v69
	v_mul_f32_e32 v101, 0x3fb8aa3b, v101
	s_delay_alu instid0(VALU_DEP_4) | instskip(NEXT) | instid1(VALU_DEP_4)
	v_mul_f32_e32 v103, 0x3fb8aa3b, v93
	v_mul_f32_e32 v105, 0x3fb8aa3b, v95
	s_delay_alu instid0(VALU_DEP_4) | instskip(SKIP_3) | instid1(VALU_DEP_1)
	v_exp_f32_e32 v102, v69
	v_sub_f32_e32 v69, v94, v67
	v_exp_f32_e32 v101, v101
	v_exp_f32_e32 v103, v103
	v_mul_f32_e32 v104, 0x3fb8aa3b, v69
	s_waitcnt lgkmcnt(0)
	s_delay_alu instid0(TRANS32_DEP_3) | instskip(SKIP_1) | instid1(VALU_DEP_3)
	v_fma_f32 v69, v102, v99, 0
	v_sub_f32_e32 v99, v96, v67
	v_exp_f32_e32 v104, v104
	s_delay_alu instid0(TRANS32_DEP_3) | instid1(VALU_DEP_2)
	v_fmac_f32_e32 v69, v101, v100
	ds_load_2addr_b32 v[91:92], v84 offset0:170 offset1:187
	ds_load_2addr_b32 v[93:94], v84 offset0:204 offset1:221
	;; [unrolled: 1-line block ×3, first 2 shown]
	v_sub_f32_e32 v84, v97, v67
	v_mul_f32_e32 v97, 0x3fb8aa3b, v99
	v_exp_f32_e32 v99, v105
	s_waitcnt lgkmcnt(0)
	s_barrier
	v_mul_f32_e32 v84, 0x3fb8aa3b, v84
	v_exp_f32_e32 v97, v97
	buffer_gl0_inv
	v_exp_f32_e32 v84, v84
	v_fmac_f32_e32 v69, v103, v91
	v_sub_f32_e32 v91, v98, v67
	s_delay_alu instid0(VALU_DEP_2) | instskip(NEXT) | instid1(VALU_DEP_2)
	v_fmac_f32_e32 v69, v104, v92
	v_mul_f32_e32 v91, 0x3fb8aa3b, v91
	s_delay_alu instid0(VALU_DEP_2) | instskip(NEXT) | instid1(VALU_DEP_2)
	v_fmac_f32_e32 v69, v99, v93
	v_exp_f32_e32 v91, v91
	s_delay_alu instid0(VALU_DEP_1)
	v_fmac_f32_e32 v69, v97, v94
	s_delay_alu instid0(TRANS32_DEP_2) | instid1(VALU_DEP_1)
	v_fmac_f32_e32 v69, v84, v95
	s_waitcnt_depctr 0xfff
	v_fmac_f32_e32 v69, v91, v96
	s_delay_alu instid0(VALU_DEP_1) | instskip(NEXT) | instid1(VALU_DEP_1)
	v_add_f32_e32 v92, 0x358637bd, v69
	v_div_scale_f32 v93, null, v92, v92, 1.0
	v_div_scale_f32 v96, s4, 1.0, v92, 1.0
	s_delay_alu instid0(VALU_DEP_2) | instskip(SKIP_2) | instid1(VALU_DEP_1)
	v_rcp_f32_e32 v94, v93
	s_waitcnt_depctr 0xfff
	v_fma_f32 v95, -v93, v94, 1.0
	v_dual_fmac_f32 v94, v95, v94 :: v_dual_cndmask_b32 v95, v102, v101
	v_cmp_eq_u32_e32 vcc_lo, 3, v68
	s_delay_alu instid0(VALU_DEP_2) | instskip(NEXT) | instid1(VALU_DEP_3)
	v_mul_f32_e32 v98, v96, v94
	v_cndmask_b32_e64 v95, v95, v103, s3
	v_cmp_eq_u32_e64 s3, 4, v68
	s_delay_alu instid0(VALU_DEP_3) | instskip(NEXT) | instid1(VALU_DEP_3)
	v_fma_f32 v100, -v93, v98, v96
	v_cndmask_b32_e32 v95, v95, v104, vcc_lo
	v_cmp_eq_u32_e32 vcc_lo, 5, v68
	s_delay_alu instid0(VALU_DEP_3) | instskip(NEXT) | instid1(VALU_DEP_3)
	v_fmac_f32_e32 v98, v100, v94
	v_cndmask_b32_e64 v95, v95, v99, s3
	v_cmp_eq_u32_e64 s3, 6, v68
	s_delay_alu instid0(VALU_DEP_3) | instskip(NEXT) | instid1(VALU_DEP_3)
	v_fma_f32 v93, -v93, v98, v96
	v_cndmask_b32_e32 v95, v95, v97, vcc_lo
	s_mov_b32 vcc_lo, s4
	s_delay_alu instid0(VALU_DEP_2) | instskip(NEXT) | instid1(VALU_DEP_2)
	v_div_fmas_f32 v93, v93, v94, v98
	v_cndmask_b32_e64 v84, v95, v84, s3
	s_mov_b32 s3, exec_lo
	s_delay_alu instid0(VALU_DEP_2) | instskip(NEXT) | instid1(VALU_DEP_2)
	v_div_fixup_f32 v92, v93, v92, 1.0
	v_cndmask_b32_e64 v84, v84, v91, s5
	s_delay_alu instid0(VALU_DEP_1) | instskip(NEXT) | instid1(VALU_DEP_1)
	v_mul_f32_e32 v84, v84, v92
	v_mul_f32_e32 v92, v84, v81
	;; [unrolled: 1-line block ×6, first 2 shown]
	v_dual_mul_f32 v88, v84, v85 :: v_dual_and_b32 v93, 0x7f800000, v92
	v_mul_f32_e32 v91, v84, v87
	v_mul_f32_e32 v87, v84, v77
                                        ; implicit-def: $vgpr77
	s_delay_alu instid0(VALU_DEP_3)
	v_cmpx_ne_u32_e32 0x7f800000, v93
	s_xor_b32 s3, exec_lo, s3
; %bb.13:
	v_bfe_u32 v77, v92, 16, 1
	s_delay_alu instid0(VALU_DEP_1)
	v_add3_u32 v77, v92, v77, 0x7fff
                                        ; implicit-def: $vgpr92
; %bb.14:
	s_and_not1_saveexec_b32 s3, s3
; %bb.15:
	v_and_b32_e32 v77, 0xffff, v92
	v_or_b32_e32 v85, 0x10000, v92
	s_delay_alu instid0(VALU_DEP_2) | instskip(NEXT) | instid1(VALU_DEP_2)
	v_cmp_eq_u32_e32 vcc_lo, 0, v77
	v_cndmask_b32_e32 v77, v85, v92, vcc_lo
; %bb.16:
	s_or_b32 exec_lo, exec_lo, s3
	v_and_b32_e32 v85, 0x7f800000, v87
	s_delay_alu instid0(VALU_DEP_1) | instskip(SKIP_1) | instid1(SALU_CYCLE_1)
	v_cmp_ne_u32_e32 vcc_lo, 0x7f800000, v85
                                        ; implicit-def: $vgpr85
	s_and_saveexec_b32 s3, vcc_lo
	s_xor_b32 s3, exec_lo, s3
; %bb.17:
	v_bfe_u32 v85, v87, 16, 1
	s_delay_alu instid0(VALU_DEP_1)
	v_add3_u32 v85, v87, v85, 0x7fff
                                        ; implicit-def: $vgpr87
; %bb.18:
	s_and_not1_saveexec_b32 s3, s3
; %bb.19:
	v_and_b32_e32 v85, 0xffff, v87
	v_or_b32_e32 v92, 0x10000, v87
	s_delay_alu instid0(VALU_DEP_2) | instskip(NEXT) | instid1(VALU_DEP_2)
	v_cmp_eq_u32_e32 vcc_lo, 0, v85
	v_cndmask_b32_e32 v85, v92, v87, vcc_lo
; %bb.20:
	s_or_b32 exec_lo, exec_lo, s3
	v_and_b32_e32 v87, 0x7f800000, v88
	s_delay_alu instid0(VALU_DEP_1) | instskip(SKIP_1) | instid1(SALU_CYCLE_1)
	v_cmp_ne_u32_e32 vcc_lo, 0x7f800000, v87
                                        ; implicit-def: $vgpr87
	s_and_saveexec_b32 s3, vcc_lo
	s_xor_b32 s3, exec_lo, s3
; %bb.21:
	v_bfe_u32 v87, v88, 16, 1
	s_delay_alu instid0(VALU_DEP_1)
	v_add3_u32 v87, v88, v87, 0x7fff
                                        ; implicit-def: $vgpr88
; %bb.22:
	s_and_not1_saveexec_b32 s3, s3
; %bb.23:
	v_and_b32_e32 v87, 0xffff, v88
	v_or_b32_e32 v92, 0x10000, v88
	s_delay_alu instid0(VALU_DEP_2) | instskip(NEXT) | instid1(VALU_DEP_2)
	v_cmp_eq_u32_e32 vcc_lo, 0, v87
	v_cndmask_b32_e32 v87, v92, v88, vcc_lo
; %bb.24:
	s_or_b32 exec_lo, exec_lo, s3
	v_and_b32_e32 v88, 0x7f800000, v91
	s_delay_alu instid0(VALU_DEP_1) | instskip(SKIP_1) | instid1(SALU_CYCLE_1)
	v_cmp_ne_u32_e32 vcc_lo, 0x7f800000, v88
                                        ; implicit-def: $vgpr88
	s_and_saveexec_b32 s3, vcc_lo
	s_xor_b32 s3, exec_lo, s3
; %bb.25:
	v_bfe_u32 v88, v91, 16, 1
	s_delay_alu instid0(VALU_DEP_1)
	v_add3_u32 v88, v91, v88, 0x7fff
                                        ; implicit-def: $vgpr91
; %bb.26:
	s_and_not1_saveexec_b32 s3, s3
; %bb.27:
	v_and_b32_e32 v88, 0xffff, v91
	v_or_b32_e32 v92, 0x10000, v91
	s_delay_alu instid0(VALU_DEP_2) | instskip(NEXT) | instid1(VALU_DEP_2)
	v_cmp_eq_u32_e32 vcc_lo, 0, v88
	v_cndmask_b32_e32 v88, v92, v91, vcc_lo
; %bb.28:
	s_or_b32 exec_lo, exec_lo, s3
	v_and_b32_e32 v91, 0x7f800000, v90
	s_delay_alu instid0(VALU_DEP_1) | instskip(SKIP_1) | instid1(SALU_CYCLE_1)
	v_cmp_ne_u32_e32 vcc_lo, 0x7f800000, v91
                                        ; implicit-def: $vgpr91
	s_and_saveexec_b32 s3, vcc_lo
	s_xor_b32 s3, exec_lo, s3
; %bb.29:
	v_bfe_u32 v91, v90, 16, 1
	s_delay_alu instid0(VALU_DEP_1)
	v_add3_u32 v91, v90, v91, 0x7fff
                                        ; implicit-def: $vgpr90
; %bb.30:
	s_and_not1_saveexec_b32 s3, s3
; %bb.31:
	v_and_b32_e32 v91, 0xffff, v90
	v_or_b32_e32 v92, 0x10000, v90
	s_delay_alu instid0(VALU_DEP_2) | instskip(NEXT) | instid1(VALU_DEP_2)
	v_cmp_eq_u32_e32 vcc_lo, 0, v91
	v_cndmask_b32_e32 v91, v92, v90, vcc_lo
; %bb.32:
	s_or_b32 exec_lo, exec_lo, s3
	v_and_b32_e32 v90, 0x7f800000, v89
	s_delay_alu instid0(VALU_DEP_1) | instskip(SKIP_1) | instid1(SALU_CYCLE_1)
	v_cmp_ne_u32_e32 vcc_lo, 0x7f800000, v90
                                        ; implicit-def: $vgpr90
	s_and_saveexec_b32 s3, vcc_lo
	s_xor_b32 s3, exec_lo, s3
; %bb.33:
	v_bfe_u32 v90, v89, 16, 1
	s_delay_alu instid0(VALU_DEP_1)
	v_add3_u32 v90, v89, v90, 0x7fff
                                        ; implicit-def: $vgpr89
; %bb.34:
	s_and_not1_saveexec_b32 s3, s3
; %bb.35:
	v_and_b32_e32 v90, 0xffff, v89
	v_or_b32_e32 v92, 0x10000, v89
	s_delay_alu instid0(VALU_DEP_2) | instskip(NEXT) | instid1(VALU_DEP_2)
	v_cmp_eq_u32_e32 vcc_lo, 0, v90
	v_cndmask_b32_e32 v90, v92, v89, vcc_lo
; %bb.36:
	s_or_b32 exec_lo, exec_lo, s3
	v_and_b32_e32 v89, 0x7f800000, v86
	s_delay_alu instid0(VALU_DEP_1) | instskip(SKIP_1) | instid1(SALU_CYCLE_1)
	v_cmp_ne_u32_e32 vcc_lo, 0x7f800000, v89
                                        ; implicit-def: $vgpr89
	s_and_saveexec_b32 s3, vcc_lo
	s_xor_b32 s3, exec_lo, s3
; %bb.37:
	v_bfe_u32 v89, v86, 16, 1
	s_delay_alu instid0(VALU_DEP_1)
	v_add3_u32 v89, v86, v89, 0x7fff
                                        ; implicit-def: $vgpr86
; %bb.38:
	s_and_not1_saveexec_b32 s3, s3
; %bb.39:
	v_and_b32_e32 v89, 0xffff, v86
	v_or_b32_e32 v92, 0x10000, v86
	s_delay_alu instid0(VALU_DEP_2) | instskip(NEXT) | instid1(VALU_DEP_2)
	v_cmp_eq_u32_e32 vcc_lo, 0, v89
	v_cndmask_b32_e32 v89, v92, v86, vcc_lo
; %bb.40:
	s_or_b32 exec_lo, exec_lo, s3
	v_and_b32_e32 v86, 0x7f800000, v81
	s_delay_alu instid0(VALU_DEP_1) | instskip(SKIP_1) | instid1(SALU_CYCLE_1)
	v_cmp_ne_u32_e32 vcc_lo, 0x7f800000, v86
                                        ; implicit-def: $vgpr86
	s_and_saveexec_b32 s3, vcc_lo
	s_xor_b32 s3, exec_lo, s3
; %bb.41:
	v_bfe_u32 v86, v81, 16, 1
	s_delay_alu instid0(VALU_DEP_1)
	v_add3_u32 v86, v81, v86, 0x7fff
                                        ; implicit-def: $vgpr81
; %bb.42:
	s_and_not1_saveexec_b32 s3, s3
; %bb.43:
	v_and_b32_e32 v86, 0xffff, v81
	v_or_b32_e32 v92, 0x10000, v81
	s_delay_alu instid0(VALU_DEP_2) | instskip(NEXT) | instid1(VALU_DEP_2)
	v_cmp_eq_u32_e32 vcc_lo, 0, v86
	v_cndmask_b32_e32 v86, v92, v81, vcc_lo
; %bb.44:
	s_or_b32 exec_lo, exec_lo, s3
	s_load_b64 s[34:35], s[0:1], 0x94
	v_lshlrev_b32_e32 v93, 4, v65
	s_delay_alu instid0(VALU_DEP_2)
	v_perm_b32 v92, v86, v89, 0x7060302
	v_dual_mul_f32 v80, v84, v80 :: v_dual_lshlrev_b32 v81, 6, v66
	v_lshlrev_b32_e32 v66, 11, v68
	v_perm_b32 v89, v85, v77, 0x7060302
	v_mul_f32_e32 v85, v84, v71
	v_perm_b32 v91, v90, v91, 0x7060302
	v_perm_b32 v90, v88, v87, 0x7060302
	v_or3_b32 v77, v93, v66, v81
	v_mul_f32_e32 v66, v84, v83
	v_dual_mul_f32 v71, v84, v82 :: v_dual_and_b32 v86, 0x7f800000, v85
	v_mul_f32_e32 v79, v84, v79
	v_mul_f32_e32 v83, v84, v78
	;; [unrolled: 1-line block ×4, first 2 shown]
	s_mov_b32 s3, exec_lo
	ds_store_b128 v77, v[89:92]
                                        ; implicit-def: $vgpr70
	v_cmpx_ne_u32_e32 0x7f800000, v86
	s_xor_b32 s3, exec_lo, s3
; %bb.45:
	v_bfe_u32 v70, v85, 16, 1
	s_delay_alu instid0(VALU_DEP_1)
	v_add3_u32 v70, v85, v70, 0x7fff
                                        ; implicit-def: $vgpr85
; %bb.46:
	s_and_not1_saveexec_b32 s3, s3
; %bb.47:
	v_and_b32_e32 v70, 0xffff, v85
	v_or_b32_e32 v72, 0x10000, v85
	s_delay_alu instid0(VALU_DEP_2) | instskip(NEXT) | instid1(VALU_DEP_2)
	v_cmp_eq_u32_e32 vcc_lo, 0, v70
	v_cndmask_b32_e32 v70, v72, v85, vcc_lo
; %bb.48:
	s_or_b32 exec_lo, exec_lo, s3
	v_and_b32_e32 v72, 0x7f800000, v78
	s_delay_alu instid0(VALU_DEP_1) | instskip(SKIP_1) | instid1(SALU_CYCLE_1)
	v_cmp_ne_u32_e32 vcc_lo, 0x7f800000, v72
                                        ; implicit-def: $vgpr72
	s_and_saveexec_b32 s3, vcc_lo
	s_xor_b32 s3, exec_lo, s3
; %bb.49:
	v_bfe_u32 v72, v78, 16, 1
	s_delay_alu instid0(VALU_DEP_1)
	v_add3_u32 v72, v78, v72, 0x7fff
                                        ; implicit-def: $vgpr78
; %bb.50:
	s_and_not1_saveexec_b32 s3, s3
; %bb.51:
	v_and_b32_e32 v72, 0xffff, v78
	v_or_b32_e32 v84, 0x10000, v78
	s_delay_alu instid0(VALU_DEP_2) | instskip(NEXT) | instid1(VALU_DEP_2)
	v_cmp_eq_u32_e32 vcc_lo, 0, v72
	v_cndmask_b32_e32 v72, v84, v78, vcc_lo
; %bb.52:
	s_or_b32 exec_lo, exec_lo, s3
	v_and_b32_e32 v78, 0x7f800000, v82
	s_delay_alu instid0(VALU_DEP_1) | instskip(SKIP_1) | instid1(SALU_CYCLE_1)
	v_cmp_ne_u32_e32 vcc_lo, 0x7f800000, v78
                                        ; implicit-def: $vgpr78
	s_and_saveexec_b32 s3, vcc_lo
	s_xor_b32 s3, exec_lo, s3
; %bb.53:
	v_bfe_u32 v78, v82, 16, 1
	s_delay_alu instid0(VALU_DEP_1)
	v_add3_u32 v78, v82, v78, 0x7fff
                                        ; implicit-def: $vgpr82
; %bb.54:
	s_and_not1_saveexec_b32 s3, s3
; %bb.55:
	v_and_b32_e32 v78, 0xffff, v82
	v_or_b32_e32 v84, 0x10000, v82
	s_delay_alu instid0(VALU_DEP_2) | instskip(NEXT) | instid1(VALU_DEP_2)
	v_cmp_eq_u32_e32 vcc_lo, 0, v78
	v_cndmask_b32_e32 v78, v84, v82, vcc_lo
; %bb.56:
	s_or_b32 exec_lo, exec_lo, s3
	v_and_b32_e32 v82, 0x7f800000, v83
	s_delay_alu instid0(VALU_DEP_1) | instskip(SKIP_1) | instid1(SALU_CYCLE_1)
	v_cmp_ne_u32_e32 vcc_lo, 0x7f800000, v82
                                        ; implicit-def: $vgpr82
	s_and_saveexec_b32 s3, vcc_lo
	s_xor_b32 s3, exec_lo, s3
; %bb.57:
	v_bfe_u32 v82, v83, 16, 1
	s_delay_alu instid0(VALU_DEP_1)
	v_add3_u32 v82, v83, v82, 0x7fff
                                        ; implicit-def: $vgpr83
; %bb.58:
	s_and_not1_saveexec_b32 s3, s3
; %bb.59:
	v_and_b32_e32 v82, 0xffff, v83
	v_or_b32_e32 v84, 0x10000, v83
	s_delay_alu instid0(VALU_DEP_2) | instskip(NEXT) | instid1(VALU_DEP_2)
	v_cmp_eq_u32_e32 vcc_lo, 0, v82
	v_cndmask_b32_e32 v82, v84, v83, vcc_lo
; %bb.60:
	s_or_b32 exec_lo, exec_lo, s3
	v_and_b32_e32 v83, 0x7f800000, v79
	s_delay_alu instid0(VALU_DEP_1) | instskip(SKIP_1) | instid1(SALU_CYCLE_1)
	v_cmp_ne_u32_e32 vcc_lo, 0x7f800000, v83
                                        ; implicit-def: $vgpr83
	s_and_saveexec_b32 s3, vcc_lo
	s_xor_b32 s3, exec_lo, s3
; %bb.61:
	v_bfe_u32 v83, v79, 16, 1
	s_delay_alu instid0(VALU_DEP_1)
	v_add3_u32 v83, v79, v83, 0x7fff
                                        ; implicit-def: $vgpr79
; %bb.62:
	s_and_not1_saveexec_b32 s3, s3
; %bb.63:
	v_and_b32_e32 v83, 0xffff, v79
	v_or_b32_e32 v84, 0x10000, v79
	s_delay_alu instid0(VALU_DEP_2) | instskip(NEXT) | instid1(VALU_DEP_2)
	v_cmp_eq_u32_e32 vcc_lo, 0, v83
	v_cndmask_b32_e32 v83, v84, v79, vcc_lo
; %bb.64:
	s_or_b32 exec_lo, exec_lo, s3
	v_and_b32_e32 v79, 0x7f800000, v80
	s_delay_alu instid0(VALU_DEP_1) | instskip(SKIP_1) | instid1(SALU_CYCLE_1)
	v_cmp_ne_u32_e32 vcc_lo, 0x7f800000, v79
                                        ; implicit-def: $vgpr79
	s_and_saveexec_b32 s3, vcc_lo
	s_xor_b32 s3, exec_lo, s3
; %bb.65:
	v_bfe_u32 v79, v80, 16, 1
	s_delay_alu instid0(VALU_DEP_1)
	v_add3_u32 v79, v80, v79, 0x7fff
                                        ; implicit-def: $vgpr80
; %bb.66:
	s_and_not1_saveexec_b32 s3, s3
; %bb.67:
	v_and_b32_e32 v79, 0xffff, v80
	v_or_b32_e32 v84, 0x10000, v80
	s_delay_alu instid0(VALU_DEP_2) | instskip(NEXT) | instid1(VALU_DEP_2)
	v_cmp_eq_u32_e32 vcc_lo, 0, v79
	v_cndmask_b32_e32 v79, v84, v80, vcc_lo
; %bb.68:
	s_or_b32 exec_lo, exec_lo, s3
	v_and_b32_e32 v80, 0x7f800000, v71
	s_delay_alu instid0(VALU_DEP_1) | instskip(SKIP_1) | instid1(SALU_CYCLE_1)
	v_cmp_ne_u32_e32 vcc_lo, 0x7f800000, v80
                                        ; implicit-def: $vgpr80
	s_and_saveexec_b32 s3, vcc_lo
	s_xor_b32 s3, exec_lo, s3
; %bb.69:
	v_bfe_u32 v80, v71, 16, 1
	s_delay_alu instid0(VALU_DEP_1)
	v_add3_u32 v80, v71, v80, 0x7fff
                                        ; implicit-def: $vgpr71
; %bb.70:
	s_and_not1_saveexec_b32 s3, s3
; %bb.71:
	v_and_b32_e32 v80, 0xffff, v71
	v_or_b32_e32 v84, 0x10000, v71
	s_delay_alu instid0(VALU_DEP_2) | instskip(NEXT) | instid1(VALU_DEP_2)
	v_cmp_eq_u32_e32 vcc_lo, 0, v80
	v_cndmask_b32_e32 v80, v84, v71, vcc_lo
; %bb.72:
	s_or_b32 exec_lo, exec_lo, s3
	v_and_b32_e32 v71, 0x7f800000, v66
	s_delay_alu instid0(VALU_DEP_1) | instskip(SKIP_1) | instid1(SALU_CYCLE_1)
	v_cmp_ne_u32_e32 vcc_lo, 0x7f800000, v71
                                        ; implicit-def: $vgpr71
	s_and_saveexec_b32 s3, vcc_lo
	s_xor_b32 s3, exec_lo, s3
; %bb.73:
	v_bfe_u32 v71, v66, 16, 1
	s_delay_alu instid0(VALU_DEP_1)
	v_add3_u32 v71, v66, v71, 0x7fff
                                        ; implicit-def: $vgpr66
; %bb.74:
	s_and_not1_saveexec_b32 s3, s3
; %bb.75:
	v_and_b32_e32 v71, 0xffff, v66
	v_or_b32_e32 v84, 0x10000, v66
	s_delay_alu instid0(VALU_DEP_2) | instskip(NEXT) | instid1(VALU_DEP_2)
	v_cmp_eq_u32_e32 vcc_lo, 0, v71
	v_cndmask_b32_e32 v71, v84, v66, vcc_lo
; %bb.76:
	s_or_b32 exec_lo, exec_lo, s3
	s_delay_alu instid0(VALU_DEP_1)
	v_perm_b32 v87, v71, v80, 0x7060302
	v_perm_b32 v86, v79, v83, 0x7060302
	;; [unrolled: 1-line block ×4, first 2 shown]
	v_lshl_or_b32 v83, v68, 11, v81
	ds_store_b128 v77, v[84:87] offset:1024
	s_waitcnt lgkmcnt(0)
	s_barrier
	buffer_gl0_inv
	ds_load_b128 v[84:87], v83
	ds_load_b128 v[88:91], v83 offset:16
	s_waitcnt lgkmcnt(1)
	v_lshrrev_b32_e32 v70, 16, v87
	s_waitcnt lgkmcnt(0)
	v_lshrrev_b32_e32 v71, 16, v88
	v_lshlrev_b32_e32 v79, 2, v65
	v_lshrrev_b32_e32 v65, 16, v84
	v_lshrrev_b32_e32 v66, 16, v85
	;; [unrolled: 1-line block ×4, first 2 shown]
	v_cmp_eq_u32_e32 vcc_lo, 1, v79
	v_lshrrev_b32_e32 v100, 16, v90
	v_lshrrev_b32_e32 v101, 16, v91
	v_cndmask_b32_e32 v92, v88, v71, vcc_lo
	v_or_b32_e32 v80, 1, v79
	v_cndmask_b32_e32 v82, v84, v65, vcc_lo
	v_cmp_eq_u32_e64 s4, 2, v79
	v_cmp_eq_u32_e64 s7, 3, v79
	v_cmp_eq_u32_e64 s9, 4, v79
	v_cmp_eq_u32_e64 s3, 1, v80
	v_cmp_eq_u32_e64 s6, 2, v80
	v_cndmask_b32_e64 v82, v82, v85, s4
	v_cndmask_b32_e64 v92, v92, v89, s4
	v_cmp_eq_u32_e64 s8, 3, v80
	v_cndmask_b32_e64 v93, v84, v65, s3
	v_or_b32_e32 v78, 2, v79
	v_cndmask_b32_e64 v82, v82, v66, s7
	v_cndmask_b32_e64 v92, v92, v72, s7
	;; [unrolled: 1-line block ×4, first 2 shown]
	v_cmp_eq_u32_e64 s10, 5, v79
	v_cndmask_b32_e64 v82, v82, v86, s9
	v_cndmask_b32_e64 v92, v92, v90, s9
	v_cmp_eq_u32_e64 s11, 4, v80
	v_cndmask_b32_e64 v93, v93, v66, s8
	v_cmp_eq_u32_e64 s5, 1, v78
	v_cndmask_b32_e64 v94, v94, v89, s6
	v_cndmask_b32_e64 v82, v82, v68, s10
	v_cmp_eq_u32_e64 s12, 6, v79
	v_cndmask_b32_e64 v93, v93, v86, s11
	;; [unrolled: 3-line block ×3, first 2 shown]
	v_cndmask_b32_e64 v94, v94, v72, s8
	v_cndmask_b32_e64 v82, v82, v87, s12
	v_cmp_eq_u32_e64 s15, 7, v79
	v_cndmask_b32_e64 v93, v93, v68, s13
	v_cndmask_b32_e64 v92, v92, v91, s12
	v_cmp_eq_u32_e64 s16, 6, v80
	v_cmp_eq_u32_e64 s17, 2, v78
	v_cndmask_b32_e64 v94, v94, v90, s11
	v_cndmask_b32_e64 v102, v82, v70, s15
	;; [unrolled: 1-line block ×6, first 2 shown]
	v_cmp_eq_u32_e64 s18, 7, v80
	v_cmp_eq_u32_e64 s19, 3, v78
	;; [unrolled: 1-line block ×4, first 2 shown]
	v_cndmask_b32_e64 v92, v92, v89, s17
	v_cndmask_b32_e64 v104, v93, v70, s18
	;; [unrolled: 1-line block ×4, first 2 shown]
	v_or_b32_e32 v82, 3, v79
	v_cndmask_b32_e64 v97, v92, v72, s19
	v_cmp_eq_u32_e64 s24, 6, v78
	v_cndmask_b32_e64 v105, v93, v91, s16
	v_cndmask_b32_e64 v96, v94, v86, s20
	v_cmp_eq_u32_e64 s21, 1, v82
	ds_load_b128 v[92:95], v83 offset:1024
	v_cmp_eq_u32_e64 s23, 2, v82
	v_cmp_eq_u32_e64 s25, 3, v82
	v_cndmask_b32_e64 v106, v96, v68, s22
	v_cndmask_b32_e64 v65, v84, v65, s21
	;; [unrolled: 1-line block ×3, first 2 shown]
	ds_load_b128 v[96:99], v83 offset:1040
	v_cndmask_b32_e64 v71, v88, v71, s21
	v_cmp_eq_u32_e64 s26, 4, v82
	v_cndmask_b32_e64 v65, v65, v85, s23
	v_cmp_eq_u32_e64 s28, 5, v82
	v_cmp_eq_u32_e64 s29, 6, v82
	v_cndmask_b32_e64 v71, v71, v89, s23
	v_cndmask_b32_e64 v84, v84, v100, s22
	;; [unrolled: 1-line block ×4, first 2 shown]
	v_cmp_eq_u32_e64 s27, 7, v78
	v_cndmask_b32_e64 v71, v71, v72, s25
	v_cndmask_b32_e64 v84, v84, v91, s24
	;; [unrolled: 1-line block ×3, first 2 shown]
	s_waitcnt lgkmcnt(1)
	v_lshrrev_b32_e32 v72, 16, v92
	v_lshrrev_b32_e32 v88, 16, v93
	v_cndmask_b32_e64 v71, v71, v90, s26
	v_cndmask_b32_e64 v66, v66, v70, s27
	;; [unrolled: 1-line block ×3, first 2 shown]
	v_cndmask_b32_e32 v86, v92, v72, vcc_lo
	v_cndmask_b32_e64 v89, v92, v72, s3
	v_cndmask_b32_e64 v68, v71, v100, s28
	s_waitcnt lgkmcnt(0)
	v_lshrrev_b32_e32 v71, 16, v96
	v_cndmask_b32_e64 v65, v65, v87, s29
	v_cndmask_b32_e64 v86, v86, v93, s4
	v_cndmask_b32_e64 v87, v89, v93, s6
	v_cndmask_b32_e64 v68, v68, v91, s29
	v_cndmask_b32_e32 v90, v96, v71, vcc_lo
	v_cmp_eq_u32_e32 vcc_lo, 7, v82
	v_cndmask_b32_e64 v86, v86, v88, s7
	v_cndmask_b32_e64 v87, v87, v88, s8
	v_lshrrev_b32_e32 v91, 16, v94
	v_cndmask_b32_e64 v89, v90, v97, s4
	v_lshrrev_b32_e32 v90, 16, v97
	v_cndmask_b32_e64 v86, v86, v94, s9
	v_dual_cndmask_b32 v65, v65, v70 :: v_dual_cndmask_b32 v68, v68, v101
	v_cndmask_b32_e64 v70, v87, v94, s11
	s_delay_alu instid0(VALU_DEP_4) | instskip(NEXT) | instid1(VALU_DEP_4)
	v_cndmask_b32_e64 v89, v89, v90, s7
	v_cndmask_b32_e64 v86, v86, v91, s10
	v_lshrrev_b32_e32 v100, 16, v98
	v_cndmask_b32_e64 v84, v84, v101, s27
	v_perm_b32 v87, v68, v65, 0x5040100
	v_cndmask_b32_e64 v89, v89, v98, s9
	v_cndmask_b32_e64 v65, v70, v91, s13
	;; [unrolled: 1-line block ×3, first 2 shown]
	v_lshrrev_b32_e32 v70, 16, v95
	v_cndmask_b32_e64 v85, v105, v101, s18
	v_cndmask_b32_e64 v89, v89, v100, s10
	v_perm_b32 v86, v84, v66, 0x5040100
	v_cndmask_b32_e64 v101, v96, v71, s5
	v_cndmask_b32_e64 v66, v68, v70, s15
	;; [unrolled: 1-line block ×8, first 2 shown]
	v_lshrrev_b32_e32 v84, 16, v99
	v_cndmask_b32_e64 v89, v89, v93, s17
	v_cndmask_b32_e64 v72, v72, v93, s23
	;; [unrolled: 1-line block ×27, first 2 shown]
	v_cndmask_b32_e32 v70, v72, v70, vcc_lo
	v_cndmask_b32_e32 v72, v88, v84, vcc_lo
	v_cndmask_b32_e64 v88, v90, v84, s27
	v_cndmask_b32_e64 v71, v71, v84, s18
	v_cndmask_b32_e64 v68, v68, v84, s15
	v_perm_b32 v85, v85, v104, 0x5040100
	v_perm_b32 v84, v103, v102, 0x5040100
	;; [unrolled: 1-line block ×6, first 2 shown]
	s_lshl_b32 s8, s35, 1
	s_mov_b32 s3, exec_lo
	ds_store_b128 v77, v[84:87]
	ds_store_b128 v77, v[88:91] offset:1024
	v_cmpx_gt_u32_e32 2, v0
	s_cbranch_execz .LBB1823_78
; %bb.77:
	v_or_b32_e32 v65, s31, v0
	s_load_b128 s[4:7], s[0:1], 0x58
	s_delay_alu instid0(VALU_DEP_1) | instskip(NEXT) | instid1(VALU_DEP_1)
	v_mad_u64_u32 v[70:71], null, s8, s30, v[65:66]
	v_mad_u64_u32 v[65:66], null, v70, s34, s[14:15]
	s_delay_alu instid0(VALU_DEP_1) | instskip(NEXT) | instid1(VALU_DEP_1)
	v_ashrrev_i32_e32 v66, 31, v65
	v_lshlrev_b64 v[65:66], 2, v[65:66]
	s_waitcnt lgkmcnt(0)
	s_delay_alu instid0(VALU_DEP_1) | instskip(NEXT) | instid1(VALU_DEP_2)
	v_add_co_u32 v70, vcc_lo, s6, v65
	v_add_co_ci_u32_e32 v71, vcc_lo, s7, v66, vcc_lo
	v_add_co_u32 v65, vcc_lo, s4, v65
	v_add_co_ci_u32_e32 v66, vcc_lo, s5, v66, vcc_lo
	global_store_b32 v[70:71], v67, off
	global_store_b32 v[65:66], v69, off
.LBB1823_78:
	s_or_b32 exec_lo, exec_lo, s3
	s_waitcnt lgkmcnt(0)
	s_waitcnt_vscnt null, 0x0
	s_barrier
	buffer_gl0_inv
	ds_load_b128 v[84:87], v81
	ds_load_b128 v[88:91], v81 offset:16
	ds_load_b128 v[96:99], v81 offset:2064
	;; [unrolled: 1-line block ×3, first 2 shown]
	v_mov_b32_e32 v65, 0
	ds_load_b128 v[104:107], v81 offset:4112
	ds_load_b128 v[100:103], v81 offset:4096
	;; [unrolled: 1-line block ×4, first 2 shown]
	v_mov_b32_e32 v66, v65
	v_mov_b32_e32 v67, v65
	;; [unrolled: 1-line block ×7, first 2 shown]
	s_waitcnt lgkmcnt(6)
	s_delay_alu instid0(VALU_DEP_1)
	v_wmma_f32_16x16x16_bf16 v[65:72], v[41:48], v[84:91], v[65:72]
	ds_load_b128 v[45:48], v81 offset:8208
	ds_load_b128 v[41:44], v81 offset:8192
	s_waitcnt lgkmcnt(6)
	v_wmma_f32_16x16x16_bf16 v[65:72], v[33:40], v[92:99], v[65:72]
	ds_load_b128 v[37:40], v81 offset:10256
	ds_load_b128 v[33:36], v81 offset:10240
	s_waitcnt lgkmcnt(6)
	;; [unrolled: 4-line block ×4, first 2 shown]
	v_wmma_f32_16x16x16_bf16 v[65:72], v[1:8], v[41:48], v[65:72]
	s_waitcnt lgkmcnt(4)
	s_delay_alu instid0(VALU_DEP_1) | instskip(SKIP_1) | instid1(VALU_DEP_1)
	v_wmma_f32_16x16x16_bf16 v[65:72], v[9:16], v[33:40], v[65:72]
	s_waitcnt lgkmcnt(2)
	v_wmma_f32_16x16x16_bf16 v[65:72], v[57:64], v[25:32], v[65:72]
	s_waitcnt lgkmcnt(0)
	s_delay_alu instid0(VALU_DEP_1) | instskip(NEXT) | instid1(VALU_DEP_1)
	v_wmma_f32_16x16x16_bf16 v[65:72], v[49:56], v[17:24], v[65:72]
	v_and_b32_e32 v1, 0x7f800000, v65
	s_delay_alu instid0(VALU_DEP_1) | instskip(SKIP_1) | instid1(SALU_CYCLE_1)
	v_cmp_ne_u32_e32 vcc_lo, 0x7f800000, v1
                                        ; implicit-def: $vgpr1
	s_and_saveexec_b32 s3, vcc_lo
	s_xor_b32 s3, exec_lo, s3
; %bb.79:
	v_bfe_u32 v1, v65, 16, 1
	s_delay_alu instid0(VALU_DEP_1)
	v_add3_u32 v1, v65, v1, 0x7fff
; %bb.80:
	s_and_not1_saveexec_b32 s3, s3
; %bb.81:
	v_and_b32_e32 v1, 0xffff, v65
	v_or_b32_e32 v2, 0x10000, v65
	s_delay_alu instid0(VALU_DEP_2) | instskip(NEXT) | instid1(VALU_DEP_2)
	v_cmp_eq_u32_e32 vcc_lo, 0, v1
	v_cndmask_b32_e32 v1, v2, v65, vcc_lo
; %bb.82:
	s_or_b32 exec_lo, exec_lo, s3
	v_and_b32_e32 v2, 0x7f800000, v66
	s_delay_alu instid0(VALU_DEP_1) | instskip(SKIP_1) | instid1(SALU_CYCLE_1)
	v_cmp_ne_u32_e32 vcc_lo, 0x7f800000, v2
                                        ; implicit-def: $vgpr2
	s_and_saveexec_b32 s3, vcc_lo
	s_xor_b32 s3, exec_lo, s3
; %bb.83:
	v_bfe_u32 v2, v66, 16, 1
	s_delay_alu instid0(VALU_DEP_1)
	v_add3_u32 v2, v66, v2, 0x7fff
; %bb.84:
	s_and_not1_saveexec_b32 s3, s3
; %bb.85:
	v_and_b32_e32 v2, 0xffff, v66
	v_or_b32_e32 v3, 0x10000, v66
	s_delay_alu instid0(VALU_DEP_2) | instskip(NEXT) | instid1(VALU_DEP_2)
	v_cmp_eq_u32_e32 vcc_lo, 0, v2
	v_cndmask_b32_e32 v2, v3, v66, vcc_lo
; %bb.86:
	s_or_b32 exec_lo, exec_lo, s3
	v_and_b32_e32 v3, 0x7f800000, v67
	s_delay_alu instid0(VALU_DEP_1) | instskip(SKIP_1) | instid1(SALU_CYCLE_1)
	v_cmp_ne_u32_e32 vcc_lo, 0x7f800000, v3
                                        ; implicit-def: $vgpr3
	s_and_saveexec_b32 s3, vcc_lo
	s_xor_b32 s3, exec_lo, s3
; %bb.87:
	v_bfe_u32 v3, v67, 16, 1
	s_delay_alu instid0(VALU_DEP_1)
	v_add3_u32 v3, v67, v3, 0x7fff
; %bb.88:
	s_and_not1_saveexec_b32 s3, s3
; %bb.89:
	v_and_b32_e32 v3, 0xffff, v67
	v_or_b32_e32 v4, 0x10000, v67
	s_delay_alu instid0(VALU_DEP_2) | instskip(NEXT) | instid1(VALU_DEP_2)
	v_cmp_eq_u32_e32 vcc_lo, 0, v3
	v_cndmask_b32_e32 v3, v4, v67, vcc_lo
; %bb.90:
	s_or_b32 exec_lo, exec_lo, s3
	v_and_b32_e32 v4, 0x7f800000, v68
	s_delay_alu instid0(VALU_DEP_1) | instskip(SKIP_1) | instid1(SALU_CYCLE_1)
	v_cmp_ne_u32_e32 vcc_lo, 0x7f800000, v4
                                        ; implicit-def: $vgpr4
	s_and_saveexec_b32 s3, vcc_lo
	s_xor_b32 s3, exec_lo, s3
; %bb.91:
	v_bfe_u32 v4, v68, 16, 1
	s_delay_alu instid0(VALU_DEP_1)
	v_add3_u32 v4, v68, v4, 0x7fff
; %bb.92:
	s_and_not1_saveexec_b32 s3, s3
; %bb.93:
	v_and_b32_e32 v4, 0xffff, v68
	v_or_b32_e32 v5, 0x10000, v68
	s_delay_alu instid0(VALU_DEP_2) | instskip(NEXT) | instid1(VALU_DEP_2)
	v_cmp_eq_u32_e32 vcc_lo, 0, v4
	v_cndmask_b32_e32 v4, v5, v68, vcc_lo
; %bb.94:
	s_or_b32 exec_lo, exec_lo, s3
	v_and_b32_e32 v5, 0x7f800000, v69
	s_delay_alu instid0(VALU_DEP_1) | instskip(SKIP_1) | instid1(SALU_CYCLE_1)
	v_cmp_ne_u32_e32 vcc_lo, 0x7f800000, v5
                                        ; implicit-def: $vgpr5
	s_and_saveexec_b32 s3, vcc_lo
	s_xor_b32 s3, exec_lo, s3
; %bb.95:
	v_bfe_u32 v5, v69, 16, 1
	s_delay_alu instid0(VALU_DEP_1)
	v_add3_u32 v5, v69, v5, 0x7fff
; %bb.96:
	s_and_not1_saveexec_b32 s3, s3
; %bb.97:
	v_and_b32_e32 v5, 0xffff, v69
	v_or_b32_e32 v6, 0x10000, v69
	s_delay_alu instid0(VALU_DEP_2) | instskip(NEXT) | instid1(VALU_DEP_2)
	v_cmp_eq_u32_e32 vcc_lo, 0, v5
	v_cndmask_b32_e32 v5, v6, v69, vcc_lo
; %bb.98:
	s_or_b32 exec_lo, exec_lo, s3
	v_and_b32_e32 v6, 0x7f800000, v70
	s_delay_alu instid0(VALU_DEP_1) | instskip(SKIP_1) | instid1(SALU_CYCLE_1)
	v_cmp_ne_u32_e32 vcc_lo, 0x7f800000, v6
                                        ; implicit-def: $vgpr6
	s_and_saveexec_b32 s3, vcc_lo
	s_xor_b32 s3, exec_lo, s3
; %bb.99:
	v_bfe_u32 v6, v70, 16, 1
	s_delay_alu instid0(VALU_DEP_1)
	v_add3_u32 v6, v70, v6, 0x7fff
; %bb.100:
	s_and_not1_saveexec_b32 s3, s3
; %bb.101:
	v_and_b32_e32 v6, 0xffff, v70
	v_or_b32_e32 v7, 0x10000, v70
	s_delay_alu instid0(VALU_DEP_2) | instskip(NEXT) | instid1(VALU_DEP_2)
	v_cmp_eq_u32_e32 vcc_lo, 0, v6
	v_cndmask_b32_e32 v6, v7, v70, vcc_lo
; %bb.102:
	s_or_b32 exec_lo, exec_lo, s3
	v_and_b32_e32 v7, 0x7f800000, v71
	s_delay_alu instid0(VALU_DEP_1) | instskip(SKIP_1) | instid1(SALU_CYCLE_1)
	v_cmp_ne_u32_e32 vcc_lo, 0x7f800000, v7
                                        ; implicit-def: $vgpr7
	s_and_saveexec_b32 s3, vcc_lo
	s_xor_b32 s3, exec_lo, s3
; %bb.103:
	v_bfe_u32 v7, v71, 16, 1
	s_delay_alu instid0(VALU_DEP_1)
	v_add3_u32 v7, v71, v7, 0x7fff
; %bb.104:
	s_and_not1_saveexec_b32 s3, s3
; %bb.105:
	v_and_b32_e32 v7, 0xffff, v71
	v_or_b32_e32 v8, 0x10000, v71
	s_delay_alu instid0(VALU_DEP_2) | instskip(NEXT) | instid1(VALU_DEP_2)
	v_cmp_eq_u32_e32 vcc_lo, 0, v7
	v_cndmask_b32_e32 v7, v8, v71, vcc_lo
; %bb.106:
	s_or_b32 exec_lo, exec_lo, s3
	v_and_b32_e32 v8, 0x7f800000, v72
	s_delay_alu instid0(VALU_DEP_1) | instskip(SKIP_1) | instid1(SALU_CYCLE_1)
	v_cmp_ne_u32_e32 vcc_lo, 0x7f800000, v8
                                        ; implicit-def: $vgpr8
	s_and_saveexec_b32 s3, vcc_lo
	s_xor_b32 s3, exec_lo, s3
; %bb.107:
	v_bfe_u32 v8, v72, 16, 1
	s_delay_alu instid0(VALU_DEP_1)
	v_add3_u32 v8, v72, v8, 0x7fff
                                        ; implicit-def: $vgpr65_vgpr66_vgpr67_vgpr68_vgpr69_vgpr70_vgpr71_vgpr72
; %bb.108:
	s_and_not1_saveexec_b32 s3, s3
; %bb.109:
	v_and_b32_e32 v8, 0xffff, v72
	v_or_b32_e32 v9, 0x10000, v72
	s_delay_alu instid0(VALU_DEP_2) | instskip(NEXT) | instid1(VALU_DEP_2)
	v_cmp_eq_u32_e32 vcc_lo, 0, v8
	v_cndmask_b32_e32 v8, v9, v72, vcc_lo
; %bb.110:
	s_or_b32 exec_lo, exec_lo, s3
	s_delay_alu instid0(VALU_DEP_1)
	v_perm_b32 v7, v8, v7, 0x7060302
	v_perm_b32 v6, v6, v5, 0x7060302
	;; [unrolled: 1-line block ×4, first 2 shown]
	s_barrier
	buffer_gl0_inv
	v_cmp_eq_u32_e32 vcc_lo, 1, v79
	ds_store_b128 v77, v[4:7]
	s_waitcnt lgkmcnt(0)
	s_barrier
	buffer_gl0_inv
	ds_load_b128 v[1:4], v83
	ds_load_b128 v[5:8], v83 offset:16
	v_cmp_eq_u32_e64 s3, 1, v80
	v_cmp_eq_u32_e64 s4, 2, v79
	;; [unrolled: 1-line block ×5, first 2 shown]
	s_waitcnt lgkmcnt(1)
	v_lshrrev_b32_e32 v9, 16, v1
	s_waitcnt lgkmcnt(0)
	v_lshrrev_b32_e32 v13, 16, v5
	v_lshrrev_b32_e32 v10, 16, v2
	;; [unrolled: 1-line block ×4, first 2 shown]
	v_cndmask_b32_e64 v19, v1, v9, s3
	v_cndmask_b32_e32 v18, v5, v13, vcc_lo
	v_cndmask_b32_e64 v20, v5, v13, s3
	v_cndmask_b32_e32 v17, v1, v9, vcc_lo
	v_cmp_eq_u32_e32 vcc_lo, 2, v80
	v_lshrrev_b32_e32 v15, 16, v7
	v_cmp_eq_u32_e64 s3, 1, v78
	v_lshrrev_b32_e32 v12, 16, v4
	v_lshrrev_b32_e32 v16, 16, v8
	v_cndmask_b32_e32 v20, v20, v6, vcc_lo
	v_cndmask_b32_e64 v17, v17, v2, s4
	v_cndmask_b32_e32 v19, v19, v2, vcc_lo
	v_cndmask_b32_e64 v18, v18, v6, s4
	v_cmp_eq_u32_e32 vcc_lo, 4, v79
	v_cmp_eq_u32_e64 s4, 3, v80
	v_cndmask_b32_e64 v17, v17, v10, s5
	v_cndmask_b32_e64 v21, v1, v9, s3
	;; [unrolled: 1-line block ×5, first 2 shown]
	v_cndmask_b32_e32 v17, v17, v3, vcc_lo
	v_cndmask_b32_e64 v20, v20, v14, s4
	v_cndmask_b32_e32 v18, v18, v7, vcc_lo
	v_cmp_eq_u32_e32 vcc_lo, 4, v80
	v_cmp_eq_u32_e64 s4, 5, v80
	v_cmp_eq_u32_e64 s3, 2, v82
	v_cndmask_b32_e64 v21, v21, v2, s7
	v_cmp_eq_u32_e64 s5, 5, v79
	v_cndmask_b32_e32 v19, v19, v3, vcc_lo
	v_cndmask_b32_e32 v20, v20, v7, vcc_lo
	v_cmp_eq_u32_e32 vcc_lo, 6, v80
	s_delay_alu instid0(VALU_DEP_4) | instskip(NEXT) | instid1(VALU_DEP_4)
	v_cndmask_b32_e64 v17, v17, v11, s5
	v_cndmask_b32_e64 v19, v19, v11, s4
	s_delay_alu instid0(VALU_DEP_4) | instskip(SKIP_1) | instid1(VALU_DEP_3)
	v_cndmask_b32_e64 v20, v20, v15, s4
	v_cmp_eq_u32_e64 s4, 1, v82
	v_cndmask_b32_e32 v19, v19, v4, vcc_lo
	v_cndmask_b32_e64 v18, v18, v15, s5
	s_delay_alu instid0(VALU_DEP_3)
	v_cndmask_b32_e64 v1, v1, v9, s4
	v_cndmask_b32_e64 v5, v5, v13, s4
	v_cmp_eq_u32_e64 s4, 3, v78
	v_cndmask_b32_e64 v13, v22, v6, s7
	v_cmp_eq_u32_e64 s7, 3, v82
	v_cndmask_b32_e64 v1, v1, v2, s3
	v_cndmask_b32_e64 v2, v5, v6, s3
	;; [unrolled: 1-line block ×3, first 2 shown]
	v_cmp_eq_u32_e64 s3, 4, v78
	v_cndmask_b32_e64 v6, v13, v14, s4
	v_cndmask_b32_e64 v1, v1, v10, s7
	v_cmp_eq_u32_e64 s4, 4, v82
	v_cndmask_b32_e64 v2, v2, v14, s7
	v_cndmask_b32_e64 v5, v9, v3, s3
	v_cmp_eq_u32_e64 s7, 5, v78
	v_cndmask_b32_e64 v6, v6, v7, s3
	v_cndmask_b32_e64 v1, v1, v3, s4
	v_cndmask_b32_e64 v2, v2, v7, s4
	v_cmp_eq_u32_e64 s3, 5, v82
	v_cmp_eq_u32_e64 s5, 6, v79
	v_cndmask_b32_e64 v5, v5, v11, s7
	v_cmp_eq_u32_e64 s4, 6, v78
	v_cndmask_b32_e64 v3, v6, v15, s7
	v_cndmask_b32_e64 v1, v1, v11, s3
	v_cmp_eq_u32_e64 s7, 6, v82
	v_cndmask_b32_e64 v2, v2, v15, s3
	v_cndmask_b32_e64 v17, v17, v4, s5
	v_cndmask_b32_e64 v18, v18, v8, s5
	v_cmp_eq_u32_e64 s5, 7, v79
	v_cndmask_b32_e64 v5, v5, v4, s4
	;; [unrolled: 4-line block ×3, first 2 shown]
	v_cmp_eq_u32_e64 s4, 7, v78
	v_cndmask_b32_e32 v4, v20, v8, vcc_lo
	v_cndmask_b32_e64 v17, v17, v12, s5
	v_cndmask_b32_e64 v19, v19, v12, s6
	;; [unrolled: 1-line block ×8, first 2 shown]
	s_delay_alu instid0(VALU_DEP_4) | instskip(NEXT) | instid1(VALU_DEP_4)
	v_perm_b32 v4, v2, v1, 0x5040100
	v_perm_b32 v3, v3, v5, 0x5040100
	s_delay_alu instid0(VALU_DEP_4) | instskip(NEXT) | instid1(VALU_DEP_4)
	v_perm_b32 v2, v6, v19, 0x5040100
	v_perm_b32 v1, v7, v17, 0x5040100
	ds_store_b128 v77, v[1:4]
	s_waitcnt lgkmcnt(0)
	s_barrier
	buffer_gl0_inv
	s_and_saveexec_b32 s3, s2
	s_cbranch_execz .LBB1823_2
; %bb.111:
	s_load_b64 s[0:1], s[0:1], 0x68
	v_lshlrev_b32_e32 v0, 10, v0
	s_lshl_b32 s2, s34, 7
	v_lshlrev_b32_e32 v1, 4, v76
	v_mul_lo_u32 v4, s2, v75
	s_mul_i32 s3, s2, s30
	v_and_b32_e32 v0, 0x3800, v0
	s_mul_i32 s2, s3, s8
	s_delay_alu instid0(SALU_CYCLE_1) | instskip(NEXT) | instid1(VALU_DEP_1)
	s_ashr_i32 s3, s2, 31
	v_or3_b32 v0, v0, v74, v1
	s_lshl_b64 s[2:3], s[2:3], 1
	s_delay_alu instid0(VALU_DEP_3)
	v_ashrrev_i32_e32 v5, 31, v4
	ds_load_b128 v[0:3], v0
	v_lshlrev_b64 v[4:5], 1, v[4:5]
	s_waitcnt lgkmcnt(0)
	s_add_u32 s2, s0, s2
	s_addc_u32 s3, s1, s3
	s_lshl_b32 s0, s14, 7
	s_delay_alu instid0(SALU_CYCLE_1) | instskip(NEXT) | instid1(SALU_CYCLE_1)
	s_ashr_i32 s1, s0, 31
	s_lshl_b64 s[0:1], s[0:1], 1
	s_delay_alu instid0(SALU_CYCLE_1) | instskip(SKIP_3) | instid1(VALU_DEP_2)
	s_add_u32 s0, s2, s0
	s_addc_u32 s1, s3, s1
	v_add_co_u32 v4, vcc_lo, s0, v4
	v_add_co_ci_u32_e32 v5, vcc_lo, s1, v5, vcc_lo
	v_add_co_u32 v4, vcc_lo, v4, v73
	s_delay_alu instid0(VALU_DEP_2)
	v_add_co_ci_u32_e32 v5, vcc_lo, 0, v5, vcc_lo
	global_store_b128 v[4:5], v[0:3], off
	s_nop 0
	s_sendmsg sendmsg(MSG_DEALLOC_VGPRS)
	s_endpgm
	.section	.rodata,"a",@progbits
	.p2align	6, 0x0
	.amdhsa_kernel _Z39paged_attention_ll4mi_QKV_mfma16_kernelI14__hip_bfloat16hLN4vllm18Fp8KVCacheDataTypeE1EhLi16ELi128ELi256ELb0ELi2EL8MFMAType0EEvPKT_PKT0_S9_ifPKiSB_SB_iPKfiiiPfSE_PS4_PT2_iSD_SD_
		.amdhsa_group_segment_fixed_size 17472
		.amdhsa_private_segment_fixed_size 0
		.amdhsa_kernarg_size 400
		.amdhsa_user_sgpr_count 13
		.amdhsa_user_sgpr_dispatch_ptr 0
		.amdhsa_user_sgpr_queue_ptr 0
		.amdhsa_user_sgpr_kernarg_segment_ptr 1
		.amdhsa_user_sgpr_dispatch_id 0
		.amdhsa_user_sgpr_private_segment_size 0
		.amdhsa_wavefront_size32 1
		.amdhsa_uses_dynamic_stack 0
		.amdhsa_enable_private_segment 0
		.amdhsa_system_sgpr_workgroup_id_x 1
		.amdhsa_system_sgpr_workgroup_id_y 1
		.amdhsa_system_sgpr_workgroup_id_z 1
		.amdhsa_system_sgpr_workgroup_info 0
		.amdhsa_system_vgpr_workitem_id 0
		.amdhsa_next_free_vgpr 138
		.amdhsa_next_free_sgpr 36
		.amdhsa_reserve_vcc 1
		.amdhsa_float_round_mode_32 0
		.amdhsa_float_round_mode_16_64 0
		.amdhsa_float_denorm_mode_32 3
		.amdhsa_float_denorm_mode_16_64 3
		.amdhsa_dx10_clamp 1
		.amdhsa_ieee_mode 1
		.amdhsa_fp16_overflow 0
		.amdhsa_workgroup_processor_mode 1
		.amdhsa_memory_ordered 1
		.amdhsa_forward_progress 0
		.amdhsa_shared_vgpr_count 0
		.amdhsa_exception_fp_ieee_invalid_op 0
		.amdhsa_exception_fp_denorm_src 0
		.amdhsa_exception_fp_ieee_div_zero 0
		.amdhsa_exception_fp_ieee_overflow 0
		.amdhsa_exception_fp_ieee_underflow 0
		.amdhsa_exception_fp_ieee_inexact 0
		.amdhsa_exception_int_div_zero 0
	.end_amdhsa_kernel
	.section	.text._Z39paged_attention_ll4mi_QKV_mfma16_kernelI14__hip_bfloat16hLN4vllm18Fp8KVCacheDataTypeE1EhLi16ELi128ELi256ELb0ELi2EL8MFMAType0EEvPKT_PKT0_S9_ifPKiSB_SB_iPKfiiiPfSE_PS4_PT2_iSD_SD_,"axG",@progbits,_Z39paged_attention_ll4mi_QKV_mfma16_kernelI14__hip_bfloat16hLN4vllm18Fp8KVCacheDataTypeE1EhLi16ELi128ELi256ELb0ELi2EL8MFMAType0EEvPKT_PKT0_S9_ifPKiSB_SB_iPKfiiiPfSE_PS4_PT2_iSD_SD_,comdat
.Lfunc_end1823:
	.size	_Z39paged_attention_ll4mi_QKV_mfma16_kernelI14__hip_bfloat16hLN4vllm18Fp8KVCacheDataTypeE1EhLi16ELi128ELi256ELb0ELi2EL8MFMAType0EEvPKT_PKT0_S9_ifPKiSB_SB_iPKfiiiPfSE_PS4_PT2_iSD_SD_, .Lfunc_end1823-_Z39paged_attention_ll4mi_QKV_mfma16_kernelI14__hip_bfloat16hLN4vllm18Fp8KVCacheDataTypeE1EhLi16ELi128ELi256ELb0ELi2EL8MFMAType0EEvPKT_PKT0_S9_ifPKiSB_SB_iPKfiiiPfSE_PS4_PT2_iSD_SD_
                                        ; -- End function
	.section	.AMDGPU.csdata,"",@progbits
; Kernel info:
; codeLenInByte = 8624
; NumSgprs: 38
; NumVgprs: 138
; ScratchSize: 0
; MemoryBound: 0
; FloatMode: 240
; IeeeMode: 1
; LDSByteSize: 17472 bytes/workgroup (compile time only)
; SGPRBlocks: 4
; VGPRBlocks: 17
; NumSGPRsForWavesPerEU: 38
; NumVGPRsForWavesPerEU: 138
; Occupancy: 10
; WaveLimiterHint : 1
; COMPUTE_PGM_RSRC2:SCRATCH_EN: 0
; COMPUTE_PGM_RSRC2:USER_SGPR: 13
; COMPUTE_PGM_RSRC2:TRAP_HANDLER: 0
; COMPUTE_PGM_RSRC2:TGID_X_EN: 1
; COMPUTE_PGM_RSRC2:TGID_Y_EN: 1
; COMPUTE_PGM_RSRC2:TGID_Z_EN: 1
; COMPUTE_PGM_RSRC2:TIDIG_COMP_CNT: 0
	.section	.text._Z39paged_attention_ll4mi_QKV_mfma16_kernelI14__hip_bfloat16hLN4vllm18Fp8KVCacheDataTypeE1EhLi16ELi128ELi256ELb0ELi3EL8MFMAType0EEvPKT_PKT0_S9_ifPKiSB_SB_iPKfiiiPfSE_PS4_PT2_iSD_SD_,"axG",@progbits,_Z39paged_attention_ll4mi_QKV_mfma16_kernelI14__hip_bfloat16hLN4vllm18Fp8KVCacheDataTypeE1EhLi16ELi128ELi256ELb0ELi3EL8MFMAType0EEvPKT_PKT0_S9_ifPKiSB_SB_iPKfiiiPfSE_PS4_PT2_iSD_SD_,comdat
	.protected	_Z39paged_attention_ll4mi_QKV_mfma16_kernelI14__hip_bfloat16hLN4vllm18Fp8KVCacheDataTypeE1EhLi16ELi128ELi256ELb0ELi3EL8MFMAType0EEvPKT_PKT0_S9_ifPKiSB_SB_iPKfiiiPfSE_PS4_PT2_iSD_SD_ ; -- Begin function _Z39paged_attention_ll4mi_QKV_mfma16_kernelI14__hip_bfloat16hLN4vllm18Fp8KVCacheDataTypeE1EhLi16ELi128ELi256ELb0ELi3EL8MFMAType0EEvPKT_PKT0_S9_ifPKiSB_SB_iPKfiiiPfSE_PS4_PT2_iSD_SD_
	.globl	_Z39paged_attention_ll4mi_QKV_mfma16_kernelI14__hip_bfloat16hLN4vllm18Fp8KVCacheDataTypeE1EhLi16ELi128ELi256ELb0ELi3EL8MFMAType0EEvPKT_PKT0_S9_ifPKiSB_SB_iPKfiiiPfSE_PS4_PT2_iSD_SD_
	.p2align	8
	.type	_Z39paged_attention_ll4mi_QKV_mfma16_kernelI14__hip_bfloat16hLN4vllm18Fp8KVCacheDataTypeE1EhLi16ELi128ELi256ELb0ELi3EL8MFMAType0EEvPKT_PKT0_S9_ifPKiSB_SB_iPKfiiiPfSE_PS4_PT2_iSD_SD_,@function
_Z39paged_attention_ll4mi_QKV_mfma16_kernelI14__hip_bfloat16hLN4vllm18Fp8KVCacheDataTypeE1EhLi16ELi128ELi256ELb0ELi3EL8MFMAType0EEvPKT_PKT0_S9_ifPKiSB_SB_iPKfiiiPfSE_PS4_PT2_iSD_SD_: ; @_Z39paged_attention_ll4mi_QKV_mfma16_kernelI14__hip_bfloat16hLN4vllm18Fp8KVCacheDataTypeE1EhLi16ELi128ELi256ELb0ELi3EL8MFMAType0EEvPKT_PKT0_S9_ifPKiSB_SB_iPKfiiiPfSE_PS4_PT2_iSD_SD_
; %bb.0:
	s_load_b64 s[4:5], s[0:1], 0x30
	s_mov_b32 s30, s13
	s_waitcnt lgkmcnt(0)
	s_cmp_lg_u64 s[4:5], 0
	s_cselect_b32 s13, -1, 0
	s_ashr_i32 s31, s30, 31
	s_cmp_eq_u64 s[4:5], 0
	s_cbranch_scc1 .LBB1824_3
; %bb.1:
	s_lshl_b64 s[2:3], s[30:31], 2
	s_delay_alu instid0(SALU_CYCLE_1) | instskip(SKIP_4) | instid1(SALU_CYCLE_1)
	s_add_u32 s2, s4, s2
	s_addc_u32 s3, s5, s3
	s_load_b64 s[2:3], s[2:3], 0x0
	s_waitcnt lgkmcnt(0)
	s_sub_i32 s2, s3, s2
	s_cmp_eq_u32 s2, 1
	s_cselect_b32 s2, -1, 0
	s_delay_alu instid0(SALU_CYCLE_1)
	s_and_not1_b32 vcc_lo, exec_lo, s2
	s_cbranch_vccz .LBB1824_4
.LBB1824_2:
	s_nop 0
	s_sendmsg sendmsg(MSG_DEALLOC_VGPRS)
	s_endpgm
.LBB1824_3:
.LBB1824_4:
	s_load_b64 s[2:3], s[0:1], 0x28
	s_lshl_b64 s[6:7], s[30:31], 2
	s_waitcnt lgkmcnt(0)
	s_add_u32 s2, s2, s6
	s_addc_u32 s3, s3, s7
	s_lshl_b32 s12, s14, 8
	s_load_b32 s17, s[2:3], 0x0
	s_waitcnt lgkmcnt(0)
	s_cmp_ge_i32 s12, s17
	s_cbranch_scc1 .LBB1824_2
; %bb.5:
	s_clause 0x1
	s_load_b128 s[8:11], s[0:1], 0x8
	s_load_b64 s[2:3], s[0:1], 0x20
	s_and_not1_b32 vcc_lo, exec_lo, s13
	s_cbranch_vccnz .LBB1824_7
; %bb.6:
	s_add_u32 s4, s4, s6
	s_addc_u32 s5, s5, s7
	s_load_b32 s13, s[4:5], 0x0
	s_branch .LBB1824_8
.LBB1824_7:
	s_mov_b32 s13, s30
.LBB1824_8:
	s_load_b128 s[4:7], s[0:1], 0x48
	v_and_b32_e32 v65, 15, v0
	v_lshrrev_b32_e32 v66, 5, v0
	v_bfe_u32 v74, v0, 4, 1
	v_and_b32_e32 v67, 31, v0
	v_and_b32_e32 v75, 1, v0
	v_lshlrev_b32_e32 v2, 3, v65
	s_mul_i32 s31, s15, 3
	v_lshl_or_b32 v1, v66, 1, v74
	s_waitcnt lgkmcnt(0)
	s_mov_b32 s7, exec_lo
	v_lshlrev_b32_e32 v73, 1, v2
	s_delay_alu instid0(VALU_DEP_2)
	v_cmpx_gt_u32_e32 3, v1
	s_cbranch_execz .LBB1824_10
; %bb.9:
	s_load_b64 s[18:19], s[0:1], 0x0
	v_add_lshl_u32 v2, v1, s31, 7
	s_mul_hi_i32 s21, s13, s4
	s_mul_i32 s20, s13, s4
	v_lshlrev_b32_e32 v6, 10, v65
	s_lshl_b64 s[20:21], s[20:21], 1
	v_ashrrev_i32_e32 v3, 31, v2
	v_lshlrev_b32_e32 v1, 6, v1
	v_lshlrev_b32_e32 v7, 10, v75
	v_and_b32_e32 v6, 0x3800, v6
	s_delay_alu instid0(VALU_DEP_4) | instskip(NEXT) | instid1(VALU_DEP_2)
	v_lshlrev_b64 v[2:3], 1, v[2:3]
	v_or3_b32 v1, v6, v7, v1
	s_waitcnt lgkmcnt(0)
	s_add_u32 s4, s18, s20
	s_addc_u32 s13, s19, s21
	s_delay_alu instid0(VALU_DEP_2) | instskip(SKIP_1) | instid1(VALU_DEP_2)
	v_add_co_u32 v2, vcc_lo, s4, v2
	v_add_co_ci_u32_e32 v3, vcc_lo, s13, v3, vcc_lo
	v_add_co_u32 v2, vcc_lo, v2, v73
	s_delay_alu instid0(VALU_DEP_2)
	v_add_co_ci_u32_e32 v3, vcc_lo, 0, v3, vcc_lo
	global_load_b128 v[2:5], v[2:3], off
	s_waitcnt vmcnt(0)
	ds_store_b128 v1, v[2:5]
.LBB1824_10:
	s_or_b32 exec_lo, exec_lo, s7
	v_and_b32_e32 v1, 0xef, v0
	s_add_i32 s4, s17, 15
	s_clause 0x1
	s_load_b32 s7, s[0:1], 0x38
	s_load_b32 s18, s[0:1], 0x1c
	s_ashr_i32 s13, s4, 31
	v_add_nc_u32_e32 v2, s12, v1
	s_lshr_b32 s13, s13, 28
	s_waitcnt lgkmcnt(0)
	s_add_i32 s4, s4, s13
	s_barrier
	v_ashrrev_i32_e32 v1, 31, v2
	s_ashr_i32 s4, s4, 4
	v_cmp_gt_i32_e32 vcc_lo, s17, v2
	s_add_i32 s4, s4, -1
	buffer_gl0_inv
	v_lshrrev_b32_e32 v3, 28, v1
	v_or_b32_e32 v1, 16, v2
	s_mul_i32 s15, s15, s6
	s_delay_alu instid0(VALU_DEP_2) | instskip(SKIP_1) | instid1(SALU_CYCLE_1)
	v_add_nc_u32_e32 v4, v2, v3
	s_mul_i32 s20, s30, s7
	s_ashr_i32 s21, s20, 31
	s_delay_alu instid0(VALU_DEP_1) | instskip(SKIP_2) | instid1(SALU_CYCLE_1)
	v_ashrrev_i32_e32 v4, 4, v4
	v_add_nc_u32_e32 v3, v1, v3
	s_lshl_b64 s[20:21], s[20:21], 2
	s_add_u32 s2, s2, s20
	s_delay_alu instid0(VALU_DEP_2) | instskip(NEXT) | instid1(VALU_DEP_2)
	v_cndmask_b32_e32 v2, s4, v4, vcc_lo
	v_ashrrev_i32_e32 v3, 4, v3
	v_cmp_gt_i32_e32 vcc_lo, s17, v1
	s_addc_u32 s3, s3, s21
	s_ashr_i32 s6, s15, 31
	s_add_u32 s7, s8, s15
	s_addc_u32 s13, s9, s6
	v_cndmask_b32_e32 v4, s4, v3, vcc_lo
	v_ashrrev_i32_e32 v3, 31, v2
	s_lshl_b32 s8, s14, 4
	s_delay_alu instid0(SALU_CYCLE_1) | instskip(NEXT) | instid1(VALU_DEP_2)
	s_ashr_i32 s9, s8, 31
	v_ashrrev_i32_e32 v5, 31, v4
	s_delay_alu instid0(VALU_DEP_2) | instskip(SKIP_1) | instid1(SALU_CYCLE_1)
	v_lshlrev_b64 v[1:2], 2, v[2:3]
	s_lshl_b64 s[8:9], s[8:9], 2
	s_add_u32 s8, s2, s8
	s_delay_alu instid0(VALU_DEP_2) | instskip(SKIP_1) | instid1(VALU_DEP_2)
	v_lshlrev_b64 v[3:4], 2, v[4:5]
	s_addc_u32 s9, s3, s9
	v_add_co_u32 v1, vcc_lo, s2, v1
	v_add_co_ci_u32_e32 v2, vcc_lo, s3, v2, vcc_lo
	s_delay_alu instid0(VALU_DEP_3) | instskip(NEXT) | instid1(VALU_DEP_4)
	v_add_co_u32 v3, vcc_lo, s2, v3
	v_add_co_ci_u32_e32 v4, vcc_lo, s3, v4, vcc_lo
	s_clause 0x1
	global_load_b32 v5, v[1:2], off
	global_load_b32 v3, v[3:4], off
	v_lshlrev_b32_e32 v1, 4, v0
	s_or_b32 s16, s12, 32
	s_delay_alu instid0(SALU_CYCLE_1) | instskip(SKIP_1) | instid1(VALU_DEP_1)
	s_ashr_i32 s19, s16, 4
	s_cmp_lt_i32 s16, s17
	v_and_b32_e32 v1, 0xf0, v1
	s_cselect_b32 s20, s19, s4
	s_delay_alu instid0(SALU_CYCLE_1) | instskip(NEXT) | instid1(SALU_CYCLE_1)
	s_ashr_i32 s21, s20, 31
	s_lshl_b64 s[20:21], s[20:21], 2
	s_delay_alu instid0(VALU_DEP_1)
	v_add_co_u32 v1, s7, s7, v1
	s_add_u32 s20, s2, s20
	s_addc_u32 s21, s3, s21
	s_or_b32 s16, s12, 64
	v_add_co_ci_u32_e64 v2, null, s13, 0, s7
	s_ashr_i32 s19, s16, 4
	s_cmp_lt_i32 s16, s17
	s_cselect_b32 s22, s19, s4
	s_delay_alu instid0(SALU_CYCLE_1) | instskip(NEXT) | instid1(SALU_CYCLE_1)
	s_ashr_i32 s23, s22, 31
	s_lshl_b64 s[22:23], s[22:23], 2
	s_delay_alu instid0(SALU_CYCLE_1) | instskip(SKIP_2) | instid1(SALU_CYCLE_1)
	s_add_u32 s22, s2, s22
	s_addc_u32 s23, s3, s23
	s_or_b32 s16, s12, 0x60
	s_ashr_i32 s19, s16, 4
	s_cmp_lt_i32 s16, s17
	s_cselect_b32 s24, s19, s4
	s_delay_alu instid0(SALU_CYCLE_1) | instskip(NEXT) | instid1(SALU_CYCLE_1)
	s_ashr_i32 s25, s24, 31
	s_lshl_b64 s[24:25], s[24:25], 2
	s_delay_alu instid0(SALU_CYCLE_1) | instskip(SKIP_2) | instid1(SALU_CYCLE_1)
	s_add_u32 s24, s2, s24
	s_addc_u32 s25, s3, s25
	s_or_b32 s16, s12, 0x80
	;; [unrolled: 10-line block ×3, first 2 shown]
	s_ashr_i32 s19, s16, 4
	s_cmp_lt_i32 s16, s17
	s_cselect_b32 s28, s19, s4
	s_delay_alu instid0(SALU_CYCLE_1) | instskip(NEXT) | instid1(SALU_CYCLE_1)
	s_ashr_i32 s29, s28, 31
	s_lshl_b64 s[28:29], s[28:29], 2
	s_delay_alu instid0(SALU_CYCLE_1)
	s_add_u32 s28, s2, s28
	s_addc_u32 s29, s3, s29
	s_clause 0x5
	s_load_b32 s7, s[8:9], 0x0
	s_load_b32 s13, s[20:21], 0x0
	;; [unrolled: 1-line block ×6, first 2 shown]
	s_or_b32 s8, s12, 0xc0
	s_mov_b32 s20, 0
	s_ashr_i32 s9, s8, 4
	s_cmp_lt_i32 s8, s17
	s_mov_b32 s27, s20
	s_cselect_b32 s8, s9, s4
	s_mov_b32 s21, s20
	s_ashr_i32 s9, s8, 31
	s_mov_b32 s22, s20
	s_lshl_b64 s[8:9], s[8:9], 2
	s_mov_b32 s23, s20
	s_mov_b32 s24, s20
	;; [unrolled: 1-line block ×4, first 2 shown]
	v_dual_mov_b32 v107, s27 :: v_dual_mov_b32 v104, s24
	s_add_u32 s8, s2, s8
	v_dual_mov_b32 v106, s26 :: v_dual_mov_b32 v105, s25
	v_dual_mov_b32 v101, s21 :: v_dual_mov_b32 v100, s20
	s_addc_u32 s9, s3, s9
	v_dual_mov_b32 v103, s23 :: v_dual_mov_b32 v102, s22
	s_or_b32 s20, s12, 0xe0
	s_delay_alu instid0(SALU_CYCLE_1) | instskip(SKIP_2) | instid1(SALU_CYCLE_1)
	s_ashr_i32 s21, s20, 4
	s_cmp_lt_i32 s20, s17
	s_cselect_b32 s20, s21, s4
	s_ashr_i32 s21, s20, 31
	s_delay_alu instid0(SALU_CYCLE_1) | instskip(NEXT) | instid1(SALU_CYCLE_1)
	s_lshl_b64 s[20:21], s[20:21], 2
	s_add_u32 s2, s2, s20
	s_addc_u32 s3, s3, s21
	s_waitcnt vmcnt(1)
	v_mad_i64_i32 v[25:26], null, v5, s5, v[1:2]
	s_waitcnt vmcnt(0)
	v_mad_i64_i32 v[27:28], null, v3, s5, v[1:2]
	s_clause 0xf
	global_load_b128 v[1:4], v[25:26], off
	global_load_b128 v[5:8], v[25:26], off offset:256
	global_load_b128 v[9:12], v[27:28], off
	global_load_b128 v[13:16], v[27:28], off offset:256
	global_load_b128 v[17:20], v[25:26], off offset:512
	;; [unrolled: 1-line block ×13, first 2 shown]
	v_mul_lo_u16 v25, 0x56, v65
	v_lshlrev_b32_e32 v26, 4, v65
	s_delay_alu instid0(VALU_DEP_2) | instskip(NEXT) | instid1(VALU_DEP_2)
	v_lshrrev_b16 v25, 8, v25
	v_lshl_or_b32 v33, v66, 8, v26
	s_delay_alu instid0(VALU_DEP_2) | instskip(NEXT) | instid1(VALU_DEP_1)
	v_mul_lo_u16 v25, v25, 3
	v_sub_nc_u16 v25, v65, v25
	s_delay_alu instid0(VALU_DEP_1) | instskip(NEXT) | instid1(VALU_DEP_1)
	v_and_b32_e32 v25, 0xff, v25
	v_lshlrev_b32_e32 v72, 6, v25
	ds_load_b128 v[25:28], v72
	ds_load_b128 v[29:32], v72 offset:1024
	ds_load_b128 v[108:111], v72 offset:2048
	;; [unrolled: 1-line block ×3, first 2 shown]
	s_load_b32 s4, s[8:9], 0x0
	ds_load_b128 v[116:119], v72 offset:4096
	ds_load_b128 v[120:123], v72 offset:5120
	s_load_b32 s2, s[2:3], 0x0
	s_add_u32 s8, s10, s15
	s_addc_u32 s6, s11, s6
	v_add_co_u32 v68, s8, s8, v33
	s_delay_alu instid0(VALU_DEP_1) | instskip(SKIP_1) | instid1(VALU_DEP_1)
	v_add_co_ci_u32_e64 v69, null, s6, 0, s8
	s_waitcnt lgkmcnt(0)
	v_mad_i64_i32 v[33:34], null, s7, s5, v[68:69]
	v_mad_i64_i32 v[70:71], null, s16, s5, v[68:69]
	;; [unrolled: 1-line block ×7, first 2 shown]
	s_clause 0x3
	global_load_b128 v[41:44], v[33:34], off
	global_load_b128 v[45:48], v[33:34], off offset:16
	global_load_b128 v[33:36], v[37:38], off
	global_load_b128 v[37:40], v[37:38], off offset:16
	s_waitcnt vmcnt(18)
	v_wmma_f32_16x16x16_bf16 v[124:131], v[1:8], v[25:32], v[100:107]
	s_waitcnt vmcnt(16)
	v_wmma_f32_16x16x16_bf16 v[100:107], v[9:16], v[25:32], v[100:107]
	s_clause 0x1
	global_load_b128 v[25:28], v[70:71], off
	global_load_b128 v[29:32], v[70:71], off offset:16
	s_waitcnt vmcnt(16)
	v_wmma_f32_16x16x16_bf16 v[124:131], v[17:24], v[108:115], v[124:131]
	s_clause 0x1
	global_load_b128 v[17:20], v[132:133], off
	global_load_b128 v[21:24], v[132:133], off offset:16
	s_waitcnt vmcnt(16)
	v_wmma_f32_16x16x16_bf16 v[100:107], v[49:56], v[108:115], v[100:107]
	v_mad_i64_i32 v[53:54], null, s2, s5, v[68:69]
	s_clause 0x3
	global_load_b128 v[1:4], v[134:135], off
	global_load_b128 v[5:8], v[134:135], off offset:16
	global_load_b128 v[9:12], v[136:137], off
	global_load_b128 v[13:16], v[136:137], off offset:16
	s_waitcnt vmcnt(18)
	v_wmma_f32_16x16x16_bf16 v[124:131], v[57:64], v[116:123], v[124:131]
	s_clause 0x3
	global_load_b128 v[57:60], v[138:139], off
	global_load_b128 v[61:64], v[138:139], off offset:16
	global_load_b128 v[49:52], v[53:54], off
	global_load_b128 v[53:56], v[53:54], off offset:16
	v_mbcnt_lo_u32_b32 v69, -1, 0
	s_waitcnt vmcnt(20)
	v_wmma_f32_16x16x16_bf16 v[100:107], v[76:83], v[116:123], v[100:107]
	s_delay_alu instid0(VALU_DEP_2) | instskip(NEXT) | instid1(VALU_DEP_1)
	v_xor_b32_e32 v70, 16, v69
	v_cmp_gt_i32_e32 vcc_lo, 32, v70
	v_cndmask_b32_e32 v69, v69, v70, vcc_lo
	ds_load_b128 v[76:79], v72 offset:6144
	ds_load_b128 v[80:83], v72 offset:7168
	s_waitcnt vmcnt(0) lgkmcnt(0)
	s_barrier
	buffer_gl0_inv
	v_wmma_f32_16x16x16_bf16 v[124:131], v[84:91], v[76:83], v[124:131]
	v_and_b32_e32 v68, 0xe0, v0
	v_wmma_f32_16x16x16_bf16 v[100:107], v[92:99], v[76:83], v[100:107]
	s_delay_alu instid0(VALU_DEP_2) | instskip(NEXT) | instid1(VALU_DEP_4)
	v_dual_mul_f32 v79, s18, v127 :: v_dual_add_nc_u32 v68, s12, v68
	v_mul_f32_e32 v81, s18, v129
	v_dual_mul_f32 v78, s18, v125 :: v_dual_mul_f32 v83, s18, v131
	s_delay_alu instid0(VALU_DEP_4) | instskip(NEXT) | instid1(VALU_DEP_4)
	v_dual_mul_f32 v80, s18, v126 :: v_dual_mul_f32 v95, s18, v103
	v_or_b32_e32 v68, v68, v74
	v_dual_mul_f32 v93, s18, v101 :: v_dual_mul_f32 v82, s18, v128
	v_dual_mul_f32 v97, s18, v105 :: v_dual_mul_f32 v92, s18, v130
	v_mul_f32_e32 v99, s18, v107
	s_delay_alu instid0(VALU_DEP_4)
	v_or_b32_e32 v70, 2, v68
	v_or_b32_e32 v71, 4, v68
	;; [unrolled: 1-line block ×3, first 2 shown]
	v_cmp_gt_i32_e64 s2, s17, v68
	v_or_b32_e32 v108, 8, v68
	v_cmp_gt_i32_e32 vcc_lo, s17, v70
	v_mul_f32_e32 v70, s18, v124
	v_or_b32_e32 v109, 10, v68
	v_cmp_gt_i32_e64 s3, s17, v71
	v_cmp_gt_i32_e64 s4, s17, v72
	v_cndmask_b32_e32 v78, 0xff7fffff, v78, vcc_lo
	v_cndmask_b32_e64 v70, 0xff7fffff, v70, s2
	v_or_b32_e32 v84, 12, v68
	v_or_b32_e32 v85, 14, v68
	v_cndmask_b32_e64 v71, 0xff7fffff, v80, s3
	v_cndmask_b32_e64 v72, 0xff7fffff, v79, s4
	v_max3_f32 v70, v70, 0xff7fffff, v78
	v_cmp_gt_i32_e64 s5, s17, v108
	v_cmp_gt_i32_e64 s6, s17, v109
	v_or_b32_e32 v86, 16, v68
	v_or_b32_e32 v87, 18, v68
	v_max3_f32 v70, v70, v71, v72
	v_cndmask_b32_e64 v78, 0xff7fffff, v82, s5
	v_cndmask_b32_e64 v79, 0xff7fffff, v81, s6
	v_cmp_gt_i32_e64 s7, s17, v84
	v_cmp_gt_i32_e64 s8, s17, v85
	v_or_b32_e32 v88, 20, v68
	v_or_b32_e32 v89, 22, v68
	v_mul_f32_e32 v94, s18, v100
	v_cndmask_b32_e64 v71, 0xff7fffff, v92, s7
	v_cndmask_b32_e64 v72, 0xff7fffff, v83, s8
	v_max3_f32 v70, v70, v78, v79
	v_cmp_gt_i32_e64 s9, s17, v86
	v_cmp_gt_i32_e64 s10, s17, v87
	v_or_b32_e32 v90, 24, v68
	v_or_b32_e32 v91, 26, v68
	v_mul_f32_e32 v96, s18, v102
	v_max3_f32 v70, v70, v71, v72
	v_cndmask_b32_e64 v79, 0xff7fffff, v93, s10
	v_cmp_gt_i32_e64 s11, s17, v88
	v_cmp_gt_i32_e64 s12, s17, v89
	v_lshlrev_b32_e32 v89, 2, v69
	v_cndmask_b32_e64 v78, 0xff7fffff, v94, s9
	v_or_b32_e32 v76, 28, v68
	v_or_b32_e32 v77, 30, v68
	v_mul_f32_e32 v98, s18, v104
	v_cndmask_b32_e64 v71, 0xff7fffff, v96, s11
	v_cndmask_b32_e64 v72, 0xff7fffff, v95, s12
	v_max3_f32 v70, v70, v78, v79
	v_cmp_gt_i32_e64 s13, s17, v90
	v_cmp_gt_i32_e64 s15, s17, v91
	v_mul_f32_e32 v68, s18, v106
	v_cmp_gt_i32_e64 s16, s17, v76
	v_max3_f32 v70, v70, v71, v72
	v_cndmask_b32_e64 v78, 0xff7fffff, v98, s13
	v_cndmask_b32_e64 v79, 0xff7fffff, v97, s15
	v_cmp_gt_i32_e64 s17, s17, v77
	v_cndmask_b32_e64 v68, 0xff7fffff, v68, s16
	s_delay_alu instid0(VALU_DEP_3) | instskip(NEXT) | instid1(VALU_DEP_3)
	v_max3_f32 v70, v70, v78, v79
	v_cndmask_b32_e64 v71, 0xff7fffff, v99, s17
	s_delay_alu instid0(VALU_DEP_1) | instskip(SKIP_3) | instid1(VALU_DEP_1)
	v_max3_f32 v68, v70, v68, v71
	ds_bpermute_b32 v69, v89, v68
	s_waitcnt lgkmcnt(0)
	v_max_f32_e32 v69, v69, v69
	v_max_f32_e32 v68, v68, v69
	s_delay_alu instid0(VALU_DEP_1) | instskip(NEXT) | instid1(VALU_DEP_1)
	v_fma_f32 v76, s18, v128, -v68
	v_mul_f32_e32 v77, 0x3fb8aa3b, v76
	v_fma_f32 v71, s18, v126, -v68
	v_fma_f32 v69, s18, v124, -v68
	;; [unrolled: 1-line block ×4, first 2 shown]
	v_exp_f32_e32 v77, v77
	v_mul_f32_e32 v71, 0x3fb8aa3b, v71
	v_mul_f32_e32 v69, 0x3fb8aa3b, v69
	v_fma_f32 v81, s18, v105, -v68
	v_fma_f32 v78, s18, v130, -v68
	s_delay_alu instid0(VALU_DEP_4) | instskip(NEXT) | instid1(VALU_DEP_3)
	v_exp_f32_e32 v71, v71
	v_exp_f32_e32 v69, v69
	s_delay_alu instid0(VALU_DEP_2) | instskip(NEXT) | instid1(TRANS32_DEP_3)
	v_mul_f32_e32 v81, 0x3fb8aa3b, v81
	v_cndmask_b32_e64 v86, 0, v77, s5
	v_fma_f32 v77, s18, v101, -v68
	s_delay_alu instid0(VALU_DEP_3) | instskip(NEXT) | instid1(TRANS32_DEP_3)
	v_exp_f32_e32 v81, v81
	v_cndmask_b32_e64 v83, 0, v71, s3
	v_fma_f32 v71, s18, v131, -v68
	v_mul_f32_e32 v72, 0x3fb8aa3b, v72
	s_delay_alu instid0(TRANS32_DEP_2) | instskip(SKIP_1) | instid1(VALU_DEP_4)
	v_cndmask_b32_e64 v80, 0, v69, s2
	v_fma_f32 v69, s18, v129, -v68
	v_dual_mul_f32 v70, 0x3fb8aa3b, v70 :: v_dual_mul_f32 v71, 0x3fb8aa3b, v71
	s_delay_alu instid0(VALU_DEP_4) | instskip(SKIP_1) | instid1(VALU_DEP_3)
	v_exp_f32_e32 v72, v72
	v_mul_f32_e32 v77, 0x3fb8aa3b, v77
	v_mul_f32_e32 v69, 0x3fb8aa3b, v69
	s_delay_alu instid0(VALU_DEP_3)
	v_exp_f32_e32 v70, v70
	v_exp_f32_e32 v71, v71
	v_cmp_gt_u32_e64 s2, 16, v67
	v_exp_f32_e32 v77, v77
	v_exp_f32_e32 v69, v69
	v_cndmask_b32_e64 v85, 0, v72, s4
	v_fma_f32 v72, s18, v100, -v68
	v_cndmask_b32_e32 v76, 0, v70, vcc_lo
	s_delay_alu instid0(TRANS32_DEP_3) | instskip(SKIP_2) | instid1(TRANS32_DEP_1)
	v_cndmask_b32_e64 v88, 0, v71, s8
	v_fma_f32 v71, s18, v104, -v68
	v_add_f32_e32 v70, 0, v80
	v_cndmask_b32_e64 v87, 0, v69, s6
	s_delay_alu instid0(VALU_DEP_2) | instskip(NEXT) | instid1(VALU_DEP_1)
	v_dual_mul_f32 v71, 0x3fb8aa3b, v71 :: v_dual_add_f32 v70, v70, v76
	v_exp_f32_e32 v82, v71
	s_delay_alu instid0(VALU_DEP_1) | instskip(NEXT) | instid1(VALU_DEP_1)
	v_add_f32_e32 v70, v70, v83
	v_add_f32_e32 v70, v70, v85
	s_delay_alu instid0(VALU_DEP_1) | instskip(SKIP_1) | instid1(VALU_DEP_2)
	v_dual_mul_f32 v72, 0x3fb8aa3b, v72 :: v_dual_add_f32 v69, v70, v86
	v_fma_f32 v70, s18, v102, -v68
	v_exp_f32_e32 v72, v72
	s_delay_alu instid0(VALU_DEP_2) | instskip(NEXT) | instid1(VALU_DEP_2)
	v_dual_add_f32 v69, v69, v87 :: v_dual_mul_f32 v78, 0x3fb8aa3b, v78
	v_mul_f32_e32 v70, 0x3fb8aa3b, v70
	s_delay_alu instid0(VALU_DEP_2) | instskip(NEXT) | instid1(VALU_DEP_1)
	v_exp_f32_e32 v78, v78
	v_exp_f32_e32 v79, v70
	s_delay_alu instid0(TRANS32_DEP_3) | instskip(SKIP_4) | instid1(VALU_DEP_3)
	v_cndmask_b32_e64 v70, 0, v72, s9
	s_waitcnt_depctr 0xfff
	v_cndmask_b32_e64 v84, 0, v78, s7
	v_fma_f32 v78, s18, v103, -v68
	v_cndmask_b32_e64 v71, 0, v79, s11
	v_add_f32_e32 v69, v69, v84
	s_delay_alu instid0(VALU_DEP_1) | instskip(SKIP_2) | instid1(VALU_DEP_1)
	v_add_f32_e32 v72, v69, v88
	v_cndmask_b32_e64 v69, 0, v77, s10
	v_fma_f32 v77, s18, v106, -v68
	v_dual_add_f32 v72, v72, v70 :: v_dual_mul_f32 v77, 0x3fb8aa3b, v77
	s_delay_alu instid0(VALU_DEP_1) | instskip(NEXT) | instid1(VALU_DEP_2)
	v_add_f32_e32 v79, v72, v69
	v_exp_f32_e32 v90, v77
	v_cndmask_b32_e64 v77, 0, v82, s13
	v_mul_f32_e32 v78, 0x3fb8aa3b, v78
	s_delay_alu instid0(VALU_DEP_1) | instskip(SKIP_4) | instid1(VALU_DEP_1)
	v_exp_f32_e32 v78, v78
	s_waitcnt_depctr 0xfff
	v_cndmask_b32_e64 v72, 0, v78, s12
	v_add_f32_e32 v78, v79, v71
	v_fma_f32 v79, s18, v107, -v68
	v_dual_add_f32 v82, v78, v72 :: v_dual_mul_f32 v79, 0x3fb8aa3b, v79
	v_cndmask_b32_e64 v78, 0, v81, s15
	s_delay_alu instid0(VALU_DEP_2) | instskip(NEXT) | instid1(VALU_DEP_3)
	v_add_f32_e32 v81, v82, v77
	v_exp_f32_e32 v82, v79
	v_cndmask_b32_e64 v79, 0, v90, s16
	s_delay_alu instid0(VALU_DEP_2) | instskip(NEXT) | instid1(VALU_DEP_1)
	v_add_f32_e32 v81, v81, v78
	v_add_f32_e32 v90, v81, v79
	s_waitcnt_depctr 0xfff
	v_cndmask_b32_e64 v81, 0, v82, s17
	s_delay_alu instid0(VALU_DEP_1)
	v_add_f32_e32 v82, v90, v81
	ds_bpermute_b32 v89, v89, v82
	s_and_saveexec_b32 s3, s2
	s_cbranch_execz .LBB1824_12
; %bb.11:
	v_mul_u32_u24_e32 v67, 0x44, v66
	s_delay_alu instid0(VALU_DEP_1) | instskip(SKIP_1) | instid1(VALU_DEP_1)
	v_lshl_add_u32 v67, v65, 2, v67
	s_waitcnt lgkmcnt(0)
	v_dual_add_f32 v82, v82, v89 :: v_dual_add_nc_u32 v67, 0x4000, v67
	ds_store_2addr_b32 v67, v68, v82 offset1:136
.LBB1824_12:
	s_or_b32 exec_lo, exec_lo, s3
	v_lshlrev_b32_e32 v67, 2, v65
	s_waitcnt lgkmcnt(0)
	s_barrier
	buffer_gl0_inv
	v_cmp_eq_u32_e32 vcc_lo, 1, v66
	v_add_nc_u32_e32 v82, 0x4000, v67
	v_cmp_eq_u32_e64 s3, 2, v66
	v_cmp_eq_u32_e64 s5, 7, v66
	ds_load_2addr_b32 v[89:90], v82 offset1:17
	ds_load_2addr_b32 v[91:92], v82 offset0:34 offset1:51
	ds_load_2addr_b32 v[93:94], v82 offset0:68 offset1:85
	;; [unrolled: 1-line block ×4, first 2 shown]
	s_waitcnt lgkmcnt(4)
	v_max3_f32 v67, v89, 0xff7fffff, v90
	s_waitcnt lgkmcnt(3)
	s_delay_alu instid0(VALU_DEP_1) | instskip(SKIP_1) | instid1(VALU_DEP_1)
	v_max3_f32 v67, v67, v91, v92
	s_waitcnt lgkmcnt(2)
	v_max3_f32 v67, v67, v93, v94
	s_waitcnt lgkmcnt(1)
	s_delay_alu instid0(VALU_DEP_1) | instskip(NEXT) | instid1(VALU_DEP_1)
	v_max3_f32 v67, v67, v95, v96
	v_sub_f32_e32 v93, v93, v67
	s_delay_alu instid0(VALU_DEP_1) | instskip(NEXT) | instid1(VALU_DEP_1)
	v_dual_sub_f32 v68, v89, v67 :: v_dual_mul_f32 v103, 0x3fb8aa3b, v93
	v_mul_f32_e32 v68, 0x3fb8aa3b, v68
	s_delay_alu instid0(VALU_DEP_1)
	v_exp_f32_e32 v100, v68
	v_sub_f32_e32 v68, v92, v67
	v_sub_f32_e32 v99, v90, v67
	ds_load_2addr_b32 v[89:90], v82 offset0:170 offset1:187
	v_dual_mul_f32 v102, 0x3fb8aa3b, v68 :: v_dual_mul_f32 v99, 0x3fb8aa3b, v99
	s_waitcnt lgkmcnt(1)
	v_fma_f32 v68, v100, v97, 0
	s_delay_alu instid0(VALU_DEP_2) | instskip(NEXT) | instid1(VALU_DEP_2)
	v_exp_f32_e32 v102, v102
	v_exp_f32_e32 v99, v99
	s_waitcnt_depctr 0xfff
	v_fmac_f32_e32 v68, v99, v98
	v_sub_f32_e32 v91, v91, v67
	s_delay_alu instid0(VALU_DEP_1)
	v_mul_f32_e32 v101, 0x3fb8aa3b, v91
	ds_load_2addr_b32 v[91:92], v82 offset0:204 offset1:221
	v_sub_f32_e32 v97, v94, v67
	ds_load_2addr_b32 v[93:94], v82 offset0:238 offset1:255
	s_waitcnt lgkmcnt(0)
	v_exp_f32_e32 v101, v101
	s_barrier
	buffer_gl0_inv
	v_dual_fmac_f32 v68, v101, v89 :: v_dual_sub_f32 v89, v96, v67
	v_dual_sub_f32 v82, v95, v67 :: v_dual_mul_f32 v95, 0x3fb8aa3b, v97
	v_exp_f32_e32 v97, v103
	s_delay_alu instid0(VALU_DEP_2) | instskip(NEXT) | instid1(VALU_DEP_2)
	v_dual_fmac_f32 v68, v102, v90 :: v_dual_mul_f32 v89, 0x3fb8aa3b, v89
	v_mul_f32_e32 v82, 0x3fb8aa3b, v82
	s_delay_alu instid0(VALU_DEP_3) | instskip(NEXT) | instid1(VALU_DEP_2)
	v_exp_f32_e32 v95, v95
	v_exp_f32_e32 v89, v89
	s_delay_alu instid0(VALU_DEP_1)
	v_exp_f32_e32 v82, v82
	v_fmac_f32_e32 v68, v97, v91
	s_delay_alu instid0(TRANS32_DEP_3) | instid1(VALU_DEP_1)
	v_fmac_f32_e32 v68, v95, v92
	s_waitcnt_depctr 0xfff
	v_fmac_f32_e32 v68, v82, v93
	s_delay_alu instid0(VALU_DEP_1) | instskip(NEXT) | instid1(VALU_DEP_1)
	v_fmac_f32_e32 v68, v89, v94
	v_add_f32_e32 v90, 0x358637bd, v68
	s_delay_alu instid0(VALU_DEP_1) | instskip(NEXT) | instid1(VALU_DEP_1)
	v_div_scale_f32 v91, null, v90, v90, 1.0
	v_rcp_f32_e32 v92, v91
	s_waitcnt_depctr 0xfff
	v_fma_f32 v93, -v91, v92, 1.0
	s_delay_alu instid0(VALU_DEP_1) | instskip(SKIP_1) | instid1(VALU_DEP_2)
	v_dual_fmac_f32 v92, v93, v92 :: v_dual_cndmask_b32 v93, v100, v99
	v_cmp_eq_u32_e32 vcc_lo, 3, v66
	v_cndmask_b32_e64 v93, v93, v101, s3
	v_cmp_eq_u32_e64 s3, 4, v66
	s_delay_alu instid0(VALU_DEP_2) | instskip(SKIP_1) | instid1(VALU_DEP_2)
	v_cndmask_b32_e32 v93, v93, v102, vcc_lo
	v_cmp_eq_u32_e32 vcc_lo, 5, v66
	v_cndmask_b32_e64 v93, v93, v97, s3
	v_cmp_eq_u32_e64 s3, 6, v66
	s_delay_alu instid0(VALU_DEP_2) | instskip(SKIP_1) | instid1(VALU_DEP_1)
	v_cndmask_b32_e32 v93, v93, v95, vcc_lo
	v_div_scale_f32 v94, s4, 1.0, v90, 1.0
	s_mov_b32 vcc_lo, s4
	s_delay_alu instid0(VALU_DEP_2) | instskip(NEXT) | instid1(VALU_DEP_2)
	v_cndmask_b32_e64 v82, v93, v82, s3
	v_mul_f32_e32 v96, v94, v92
	s_mov_b32 s3, exec_lo
	s_delay_alu instid0(VALU_DEP_2) | instskip(NEXT) | instid1(VALU_DEP_2)
	v_cndmask_b32_e64 v82, v82, v89, s5
	v_fma_f32 v98, -v91, v96, v94
	s_delay_alu instid0(VALU_DEP_1) | instskip(NEXT) | instid1(VALU_DEP_1)
	v_fmac_f32_e32 v96, v98, v92
	v_fma_f32 v91, -v91, v96, v94
	s_delay_alu instid0(VALU_DEP_1) | instskip(NEXT) | instid1(VALU_DEP_1)
	v_div_fmas_f32 v91, v91, v92, v96
	v_div_fixup_f32 v90, v91, v90, 1.0
	s_delay_alu instid0(VALU_DEP_1) | instskip(NEXT) | instid1(VALU_DEP_1)
	v_mul_f32_e32 v82, v82, v90
	v_mul_f32_e32 v87, v82, v87
	;; [unrolled: 1-line block ×7, first 2 shown]
	v_dual_mul_f32 v86, v82, v83 :: v_dual_and_b32 v91, 0x7f800000, v90
	v_mul_f32_e32 v85, v82, v76
                                        ; implicit-def: $vgpr76
	s_delay_alu instid0(VALU_DEP_2)
	v_cmpx_ne_u32_e32 0x7f800000, v91
	s_xor_b32 s3, exec_lo, s3
; %bb.13:
	v_bfe_u32 v76, v90, 16, 1
	s_delay_alu instid0(VALU_DEP_1)
	v_add3_u32 v76, v90, v76, 0x7fff
                                        ; implicit-def: $vgpr90
; %bb.14:
	s_and_not1_saveexec_b32 s3, s3
; %bb.15:
	v_and_b32_e32 v76, 0xffff, v90
	v_or_b32_e32 v83, 0x10000, v90
	s_delay_alu instid0(VALU_DEP_2) | instskip(NEXT) | instid1(VALU_DEP_2)
	v_cmp_eq_u32_e32 vcc_lo, 0, v76
	v_cndmask_b32_e32 v76, v83, v90, vcc_lo
; %bb.16:
	s_or_b32 exec_lo, exec_lo, s3
	v_and_b32_e32 v83, 0x7f800000, v85
	s_delay_alu instid0(VALU_DEP_1) | instskip(SKIP_1) | instid1(SALU_CYCLE_1)
	v_cmp_ne_u32_e32 vcc_lo, 0x7f800000, v83
                                        ; implicit-def: $vgpr83
	s_and_saveexec_b32 s3, vcc_lo
	s_xor_b32 s3, exec_lo, s3
; %bb.17:
	v_bfe_u32 v83, v85, 16, 1
	s_delay_alu instid0(VALU_DEP_1)
	v_add3_u32 v83, v85, v83, 0x7fff
                                        ; implicit-def: $vgpr85
; %bb.18:
	s_and_not1_saveexec_b32 s3, s3
; %bb.19:
	v_and_b32_e32 v83, 0xffff, v85
	v_or_b32_e32 v90, 0x10000, v85
	s_delay_alu instid0(VALU_DEP_2) | instskip(NEXT) | instid1(VALU_DEP_2)
	v_cmp_eq_u32_e32 vcc_lo, 0, v83
	v_cndmask_b32_e32 v83, v90, v85, vcc_lo
; %bb.20:
	s_or_b32 exec_lo, exec_lo, s3
	v_and_b32_e32 v85, 0x7f800000, v86
	s_delay_alu instid0(VALU_DEP_1) | instskip(SKIP_1) | instid1(SALU_CYCLE_1)
	v_cmp_ne_u32_e32 vcc_lo, 0x7f800000, v85
                                        ; implicit-def: $vgpr85
	s_and_saveexec_b32 s3, vcc_lo
	s_xor_b32 s3, exec_lo, s3
; %bb.21:
	v_bfe_u32 v85, v86, 16, 1
	s_delay_alu instid0(VALU_DEP_1)
	v_add3_u32 v85, v86, v85, 0x7fff
                                        ; implicit-def: $vgpr86
; %bb.22:
	s_and_not1_saveexec_b32 s3, s3
; %bb.23:
	v_and_b32_e32 v85, 0xffff, v86
	v_or_b32_e32 v90, 0x10000, v86
	s_delay_alu instid0(VALU_DEP_2) | instskip(NEXT) | instid1(VALU_DEP_2)
	v_cmp_eq_u32_e32 vcc_lo, 0, v85
	v_cndmask_b32_e32 v85, v90, v86, vcc_lo
; %bb.24:
	s_or_b32 exec_lo, exec_lo, s3
	v_and_b32_e32 v86, 0x7f800000, v89
	s_delay_alu instid0(VALU_DEP_1) | instskip(SKIP_1) | instid1(SALU_CYCLE_1)
	v_cmp_ne_u32_e32 vcc_lo, 0x7f800000, v86
                                        ; implicit-def: $vgpr86
	s_and_saveexec_b32 s3, vcc_lo
	s_xor_b32 s3, exec_lo, s3
; %bb.25:
	v_bfe_u32 v86, v89, 16, 1
	s_delay_alu instid0(VALU_DEP_1)
	v_add3_u32 v86, v89, v86, 0x7fff
                                        ; implicit-def: $vgpr89
; %bb.26:
	s_and_not1_saveexec_b32 s3, s3
; %bb.27:
	v_and_b32_e32 v86, 0xffff, v89
	v_or_b32_e32 v90, 0x10000, v89
	s_delay_alu instid0(VALU_DEP_2) | instskip(NEXT) | instid1(VALU_DEP_2)
	v_cmp_eq_u32_e32 vcc_lo, 0, v86
	v_cndmask_b32_e32 v86, v90, v89, vcc_lo
; %bb.28:
	s_or_b32 exec_lo, exec_lo, s3
	v_and_b32_e32 v89, 0x7f800000, v88
	s_delay_alu instid0(VALU_DEP_1) | instskip(SKIP_1) | instid1(SALU_CYCLE_1)
	v_cmp_ne_u32_e32 vcc_lo, 0x7f800000, v89
                                        ; implicit-def: $vgpr89
	s_and_saveexec_b32 s3, vcc_lo
	s_xor_b32 s3, exec_lo, s3
; %bb.29:
	v_bfe_u32 v89, v88, 16, 1
	s_delay_alu instid0(VALU_DEP_1)
	v_add3_u32 v89, v88, v89, 0x7fff
                                        ; implicit-def: $vgpr88
; %bb.30:
	s_and_not1_saveexec_b32 s3, s3
; %bb.31:
	v_and_b32_e32 v89, 0xffff, v88
	v_or_b32_e32 v90, 0x10000, v88
	s_delay_alu instid0(VALU_DEP_2) | instskip(NEXT) | instid1(VALU_DEP_2)
	v_cmp_eq_u32_e32 vcc_lo, 0, v89
	v_cndmask_b32_e32 v89, v90, v88, vcc_lo
; %bb.32:
	s_or_b32 exec_lo, exec_lo, s3
	v_and_b32_e32 v88, 0x7f800000, v87
	s_delay_alu instid0(VALU_DEP_1) | instskip(SKIP_1) | instid1(SALU_CYCLE_1)
	v_cmp_ne_u32_e32 vcc_lo, 0x7f800000, v88
                                        ; implicit-def: $vgpr88
	s_and_saveexec_b32 s3, vcc_lo
	s_xor_b32 s3, exec_lo, s3
; %bb.33:
	v_bfe_u32 v88, v87, 16, 1
	s_delay_alu instid0(VALU_DEP_1)
	v_add3_u32 v88, v87, v88, 0x7fff
                                        ; implicit-def: $vgpr87
; %bb.34:
	s_and_not1_saveexec_b32 s3, s3
; %bb.35:
	v_and_b32_e32 v88, 0xffff, v87
	v_or_b32_e32 v90, 0x10000, v87
	s_delay_alu instid0(VALU_DEP_2) | instskip(NEXT) | instid1(VALU_DEP_2)
	v_cmp_eq_u32_e32 vcc_lo, 0, v88
	v_cndmask_b32_e32 v88, v90, v87, vcc_lo
; %bb.36:
	s_or_b32 exec_lo, exec_lo, s3
	v_and_b32_e32 v87, 0x7f800000, v84
	s_delay_alu instid0(VALU_DEP_1) | instskip(SKIP_1) | instid1(SALU_CYCLE_1)
	v_cmp_ne_u32_e32 vcc_lo, 0x7f800000, v87
                                        ; implicit-def: $vgpr87
	s_and_saveexec_b32 s3, vcc_lo
	s_xor_b32 s3, exec_lo, s3
; %bb.37:
	v_bfe_u32 v87, v84, 16, 1
	s_delay_alu instid0(VALU_DEP_1)
	v_add3_u32 v87, v84, v87, 0x7fff
                                        ; implicit-def: $vgpr84
; %bb.38:
	s_and_not1_saveexec_b32 s3, s3
; %bb.39:
	v_and_b32_e32 v87, 0xffff, v84
	v_or_b32_e32 v90, 0x10000, v84
	s_delay_alu instid0(VALU_DEP_2) | instskip(NEXT) | instid1(VALU_DEP_2)
	v_cmp_eq_u32_e32 vcc_lo, 0, v87
	v_cndmask_b32_e32 v87, v90, v84, vcc_lo
; %bb.40:
	s_or_b32 exec_lo, exec_lo, s3
	v_and_b32_e32 v84, 0x7f800000, v80
	s_delay_alu instid0(VALU_DEP_1) | instskip(SKIP_1) | instid1(SALU_CYCLE_1)
	v_cmp_ne_u32_e32 vcc_lo, 0x7f800000, v84
                                        ; implicit-def: $vgpr84
	s_and_saveexec_b32 s3, vcc_lo
	s_xor_b32 s3, exec_lo, s3
; %bb.41:
	v_bfe_u32 v84, v80, 16, 1
	s_delay_alu instid0(VALU_DEP_1)
	v_add3_u32 v84, v80, v84, 0x7fff
                                        ; implicit-def: $vgpr80
; %bb.42:
	s_and_not1_saveexec_b32 s3, s3
; %bb.43:
	v_and_b32_e32 v84, 0xffff, v80
	v_or_b32_e32 v90, 0x10000, v80
	s_delay_alu instid0(VALU_DEP_2) | instskip(NEXT) | instid1(VALU_DEP_2)
	v_cmp_eq_u32_e32 vcc_lo, 0, v84
	v_cndmask_b32_e32 v84, v90, v80, vcc_lo
; %bb.44:
	s_or_b32 exec_lo, exec_lo, s3
	s_load_b64 s[34:35], s[0:1], 0x94
	v_lshlrev_b32_e32 v91, 4, v74
	s_delay_alu instid0(VALU_DEP_2)
	v_perm_b32 v90, v84, v87, 0x7060302
	v_dual_mul_f32 v79, v82, v79 :: v_dual_lshlrev_b32 v80, 6, v65
	v_dual_mul_f32 v77, v82, v77 :: v_dual_lshlrev_b32 v92, 11, v66
	v_mul_f32_e32 v84, v82, v70
	v_perm_b32 v89, v88, v89, 0x7060302
	v_perm_b32 v88, v86, v85, 0x7060302
	;; [unrolled: 1-line block ×3, first 2 shown]
	v_mul_f32_e32 v70, v82, v81
	v_or3_b32 v76, v91, v92, v80
	v_dual_mul_f32 v78, v82, v78 :: v_dual_and_b32 v85, 0x7f800000, v84
	v_mul_f32_e32 v83, v82, v72
	v_mul_f32_e32 v81, v82, v71
	;; [unrolled: 1-line block ×3, first 2 shown]
	s_mov_b32 s3, exec_lo
	ds_store_b128 v76, v[87:90]
                                        ; implicit-def: $vgpr69
	v_cmpx_ne_u32_e32 0x7f800000, v85
	s_xor_b32 s3, exec_lo, s3
; %bb.45:
	v_bfe_u32 v69, v84, 16, 1
	s_delay_alu instid0(VALU_DEP_1)
	v_add3_u32 v69, v84, v69, 0x7fff
                                        ; implicit-def: $vgpr84
; %bb.46:
	s_and_not1_saveexec_b32 s3, s3
; %bb.47:
	v_and_b32_e32 v69, 0xffff, v84
	v_or_b32_e32 v71, 0x10000, v84
	s_delay_alu instid0(VALU_DEP_2) | instskip(NEXT) | instid1(VALU_DEP_2)
	v_cmp_eq_u32_e32 vcc_lo, 0, v69
	v_cndmask_b32_e32 v69, v71, v84, vcc_lo
; %bb.48:
	s_or_b32 exec_lo, exec_lo, s3
	v_and_b32_e32 v71, 0x7f800000, v72
	s_delay_alu instid0(VALU_DEP_1) | instskip(SKIP_1) | instid1(SALU_CYCLE_1)
	v_cmp_ne_u32_e32 vcc_lo, 0x7f800000, v71
                                        ; implicit-def: $vgpr71
	s_and_saveexec_b32 s3, vcc_lo
	s_xor_b32 s3, exec_lo, s3
; %bb.49:
	v_bfe_u32 v71, v72, 16, 1
	s_delay_alu instid0(VALU_DEP_1)
	v_add3_u32 v71, v72, v71, 0x7fff
                                        ; implicit-def: $vgpr72
; %bb.50:
	s_and_not1_saveexec_b32 s3, s3
; %bb.51:
	v_and_b32_e32 v71, 0xffff, v72
	v_or_b32_e32 v82, 0x10000, v72
	s_delay_alu instid0(VALU_DEP_2) | instskip(NEXT) | instid1(VALU_DEP_2)
	v_cmp_eq_u32_e32 vcc_lo, 0, v71
	v_cndmask_b32_e32 v71, v82, v72, vcc_lo
; %bb.52:
	s_or_b32 exec_lo, exec_lo, s3
	v_and_b32_e32 v72, 0x7f800000, v81
	s_delay_alu instid0(VALU_DEP_1) | instskip(SKIP_1) | instid1(SALU_CYCLE_1)
	v_cmp_ne_u32_e32 vcc_lo, 0x7f800000, v72
                                        ; implicit-def: $vgpr72
	s_and_saveexec_b32 s3, vcc_lo
	s_xor_b32 s3, exec_lo, s3
; %bb.53:
	v_bfe_u32 v72, v81, 16, 1
	s_delay_alu instid0(VALU_DEP_1)
	v_add3_u32 v72, v81, v72, 0x7fff
                                        ; implicit-def: $vgpr81
; %bb.54:
	s_and_not1_saveexec_b32 s3, s3
; %bb.55:
	v_and_b32_e32 v72, 0xffff, v81
	v_or_b32_e32 v82, 0x10000, v81
	s_delay_alu instid0(VALU_DEP_2) | instskip(NEXT) | instid1(VALU_DEP_2)
	v_cmp_eq_u32_e32 vcc_lo, 0, v72
	v_cndmask_b32_e32 v72, v82, v81, vcc_lo
; %bb.56:
	s_or_b32 exec_lo, exec_lo, s3
	v_and_b32_e32 v81, 0x7f800000, v83
	s_delay_alu instid0(VALU_DEP_1) | instskip(SKIP_1) | instid1(SALU_CYCLE_1)
	v_cmp_ne_u32_e32 vcc_lo, 0x7f800000, v81
                                        ; implicit-def: $vgpr81
	s_and_saveexec_b32 s3, vcc_lo
	s_xor_b32 s3, exec_lo, s3
; %bb.57:
	v_bfe_u32 v81, v83, 16, 1
	s_delay_alu instid0(VALU_DEP_1)
	v_add3_u32 v81, v83, v81, 0x7fff
                                        ; implicit-def: $vgpr83
; %bb.58:
	s_and_not1_saveexec_b32 s3, s3
; %bb.59:
	v_and_b32_e32 v81, 0xffff, v83
	v_or_b32_e32 v82, 0x10000, v83
	s_delay_alu instid0(VALU_DEP_2) | instskip(NEXT) | instid1(VALU_DEP_2)
	v_cmp_eq_u32_e32 vcc_lo, 0, v81
	v_cndmask_b32_e32 v81, v82, v83, vcc_lo
; %bb.60:
	s_or_b32 exec_lo, exec_lo, s3
	v_and_b32_e32 v82, 0x7f800000, v77
	s_delay_alu instid0(VALU_DEP_1) | instskip(SKIP_1) | instid1(SALU_CYCLE_1)
	v_cmp_ne_u32_e32 vcc_lo, 0x7f800000, v82
                                        ; implicit-def: $vgpr82
	s_and_saveexec_b32 s3, vcc_lo
	s_xor_b32 s3, exec_lo, s3
; %bb.61:
	v_bfe_u32 v82, v77, 16, 1
	s_delay_alu instid0(VALU_DEP_1)
	v_add3_u32 v82, v77, v82, 0x7fff
                                        ; implicit-def: $vgpr77
; %bb.62:
	s_and_not1_saveexec_b32 s3, s3
; %bb.63:
	v_and_b32_e32 v82, 0xffff, v77
	v_or_b32_e32 v83, 0x10000, v77
	s_delay_alu instid0(VALU_DEP_2) | instskip(NEXT) | instid1(VALU_DEP_2)
	v_cmp_eq_u32_e32 vcc_lo, 0, v82
	v_cndmask_b32_e32 v82, v83, v77, vcc_lo
; %bb.64:
	s_or_b32 exec_lo, exec_lo, s3
	v_and_b32_e32 v77, 0x7f800000, v78
	s_delay_alu instid0(VALU_DEP_1) | instskip(SKIP_1) | instid1(SALU_CYCLE_1)
	v_cmp_ne_u32_e32 vcc_lo, 0x7f800000, v77
                                        ; implicit-def: $vgpr77
	s_and_saveexec_b32 s3, vcc_lo
	s_xor_b32 s3, exec_lo, s3
; %bb.65:
	v_bfe_u32 v77, v78, 16, 1
	s_delay_alu instid0(VALU_DEP_1)
	v_add3_u32 v77, v78, v77, 0x7fff
                                        ; implicit-def: $vgpr78
; %bb.66:
	s_and_not1_saveexec_b32 s3, s3
; %bb.67:
	v_and_b32_e32 v77, 0xffff, v78
	v_or_b32_e32 v83, 0x10000, v78
	s_delay_alu instid0(VALU_DEP_2) | instskip(NEXT) | instid1(VALU_DEP_2)
	v_cmp_eq_u32_e32 vcc_lo, 0, v77
	v_cndmask_b32_e32 v77, v83, v78, vcc_lo
; %bb.68:
	s_or_b32 exec_lo, exec_lo, s3
	v_and_b32_e32 v78, 0x7f800000, v79
	s_delay_alu instid0(VALU_DEP_1) | instskip(SKIP_1) | instid1(SALU_CYCLE_1)
	v_cmp_ne_u32_e32 vcc_lo, 0x7f800000, v78
                                        ; implicit-def: $vgpr78
	s_and_saveexec_b32 s3, vcc_lo
	s_xor_b32 s3, exec_lo, s3
; %bb.69:
	v_bfe_u32 v78, v79, 16, 1
	s_delay_alu instid0(VALU_DEP_1)
	v_add3_u32 v78, v79, v78, 0x7fff
                                        ; implicit-def: $vgpr79
; %bb.70:
	s_and_not1_saveexec_b32 s3, s3
; %bb.71:
	v_and_b32_e32 v78, 0xffff, v79
	v_or_b32_e32 v83, 0x10000, v79
	s_delay_alu instid0(VALU_DEP_2) | instskip(NEXT) | instid1(VALU_DEP_2)
	v_cmp_eq_u32_e32 vcc_lo, 0, v78
	v_cndmask_b32_e32 v78, v83, v79, vcc_lo
; %bb.72:
	s_or_b32 exec_lo, exec_lo, s3
	v_and_b32_e32 v79, 0x7f800000, v70
	s_delay_alu instid0(VALU_DEP_1) | instskip(SKIP_1) | instid1(SALU_CYCLE_1)
	v_cmp_ne_u32_e32 vcc_lo, 0x7f800000, v79
                                        ; implicit-def: $vgpr79
	s_and_saveexec_b32 s3, vcc_lo
	s_xor_b32 s3, exec_lo, s3
; %bb.73:
	v_bfe_u32 v79, v70, 16, 1
	s_delay_alu instid0(VALU_DEP_1)
	v_add3_u32 v79, v70, v79, 0x7fff
                                        ; implicit-def: $vgpr70
; %bb.74:
	s_and_not1_saveexec_b32 s3, s3
; %bb.75:
	v_and_b32_e32 v79, 0xffff, v70
	v_or_b32_e32 v83, 0x10000, v70
	s_delay_alu instid0(VALU_DEP_2) | instskip(NEXT) | instid1(VALU_DEP_2)
	v_cmp_eq_u32_e32 vcc_lo, 0, v79
	v_cndmask_b32_e32 v79, v83, v70, vcc_lo
; %bb.76:
	s_or_b32 exec_lo, exec_lo, s3
	s_delay_alu instid0(VALU_DEP_1)
	v_perm_b32 v86, v79, v78, 0x7060302
	v_perm_b32 v85, v77, v82, 0x7060302
	;; [unrolled: 1-line block ×4, first 2 shown]
	v_lshl_or_b32 v82, v66, 11, v80
	ds_store_b128 v76, v[83:86] offset:1024
	s_waitcnt lgkmcnt(0)
	s_barrier
	buffer_gl0_inv
	ds_load_b128 v[69:72], v82
	ds_load_b128 v[83:86], v82 offset:16
	s_waitcnt lgkmcnt(1)
	v_lshrrev_b32_e32 v66, 16, v69
	s_waitcnt lgkmcnt(0)
	v_lshrrev_b32_e32 v91, 16, v83
	v_lshlrev_b32_e32 v78, 2, v74
	v_lshrrev_b32_e32 v95, 16, v70
	v_lshrrev_b32_e32 v98, 16, v84
	;; [unrolled: 1-line block ×4, first 2 shown]
	v_cmp_eq_u32_e32 vcc_lo, 1, v78
	v_lshrrev_b32_e32 v97, 16, v72
	v_lshrrev_b32_e32 v100, 16, v86
	v_cndmask_b32_e32 v87, v83, v91, vcc_lo
	v_or_b32_e32 v79, 1, v78
	v_cndmask_b32_e32 v81, v69, v66, vcc_lo
	v_cmp_eq_u32_e64 s4, 2, v78
	v_cmp_eq_u32_e64 s7, 3, v78
	;; [unrolled: 1-line block ×5, first 2 shown]
	v_cndmask_b32_e64 v81, v81, v70, s4
	v_cndmask_b32_e64 v87, v87, v84, s4
	v_cmp_eq_u32_e64 s8, 3, v79
	v_cndmask_b32_e64 v88, v69, v66, s3
	v_or_b32_e32 v77, 2, v78
	v_cndmask_b32_e64 v81, v81, v95, s7
	v_cndmask_b32_e64 v87, v87, v98, s7
	;; [unrolled: 1-line block ×4, first 2 shown]
	v_cmp_eq_u32_e64 s10, 5, v78
	v_cndmask_b32_e64 v81, v81, v71, s9
	v_cndmask_b32_e64 v87, v87, v85, s9
	v_cmp_eq_u32_e64 s11, 4, v79
	v_cndmask_b32_e64 v88, v88, v95, s8
	v_cmp_eq_u32_e64 s5, 1, v77
	v_cndmask_b32_e64 v89, v89, v84, s6
	v_cndmask_b32_e64 v81, v81, v96, s10
	v_cmp_eq_u32_e64 s12, 6, v78
	v_cndmask_b32_e64 v88, v88, v71, s11
	;; [unrolled: 3-line block ×3, first 2 shown]
	v_cndmask_b32_e64 v89, v89, v98, s8
	v_cndmask_b32_e64 v81, v81, v72, s12
	v_cmp_eq_u32_e64 s15, 7, v78
	v_cndmask_b32_e64 v88, v88, v96, s13
	v_cndmask_b32_e64 v87, v87, v86, s12
	v_cmp_eq_u32_e64 s16, 6, v79
	v_cmp_eq_u32_e64 s17, 2, v77
	v_cndmask_b32_e64 v89, v89, v85, s11
	v_cndmask_b32_e64 v101, v81, v97, s15
	;; [unrolled: 1-line block ×6, first 2 shown]
	v_cmp_eq_u32_e64 s18, 7, v79
	v_cmp_eq_u32_e64 s19, 3, v77
	;; [unrolled: 1-line block ×4, first 2 shown]
	v_cndmask_b32_e64 v87, v87, v84, s17
	v_cndmask_b32_e64 v103, v88, v97, s18
	;; [unrolled: 1-line block ×4, first 2 shown]
	v_or_b32_e32 v81, 3, v78
	v_cndmask_b32_e64 v93, v87, v98, s19
	v_cmp_eq_u32_e64 s24, 6, v77
	v_cndmask_b32_e64 v104, v88, v86, s16
	v_cndmask_b32_e64 v92, v89, v71, s20
	v_cmp_eq_u32_e64 s21, 1, v81
	ds_load_b128 v[87:90], v82 offset:1024
	v_cmp_eq_u32_e64 s23, 2, v81
	v_cmp_eq_u32_e64 s25, 3, v81
	v_cndmask_b32_e64 v105, v92, v96, s22
	v_cndmask_b32_e64 v66, v69, v66, s21
	;; [unrolled: 1-line block ×4, first 2 shown]
	ds_load_b128 v[91:94], v82 offset:1040
	v_cmp_eq_u32_e64 s26, 4, v81
	v_cndmask_b32_e64 v66, v66, v70, s23
	v_cmp_eq_u32_e64 s27, 7, v77
	v_cndmask_b32_e64 v70, v83, v84, s23
	v_cndmask_b32_e64 v84, v105, v72, s24
	v_cmp_eq_u32_e64 s28, 5, v81
	v_cndmask_b32_e64 v66, v66, v95, s25
	v_cmp_eq_u32_e64 s29, 6, v81
	v_cndmask_b32_e64 v70, v70, v98, s25
	v_cndmask_b32_e64 v69, v69, v99, s22
	;; [unrolled: 1-line block ×4, first 2 shown]
	s_waitcnt lgkmcnt(1)
	v_lshrrev_b32_e32 v95, 16, v87
	v_cndmask_b32_e64 v70, v70, v85, s26
	v_cndmask_b32_e64 v71, v84, v97, s27
	;; [unrolled: 1-line block ×4, first 2 shown]
	v_cndmask_b32_e32 v84, v87, v95, vcc_lo
	v_cndmask_b32_e64 v70, v70, v99, s28
	s_waitcnt lgkmcnt(0)
	v_lshrrev_b32_e32 v85, 16, v91
	v_lshrrev_b32_e32 v96, 16, v88
	v_cndmask_b32_e64 v98, v87, v95, s3
	v_cndmask_b32_e64 v84, v84, v88, s4
	;; [unrolled: 1-line block ×3, first 2 shown]
	v_cndmask_b32_e32 v99, v91, v85, vcc_lo
	v_cmp_eq_u32_e32 vcc_lo, 7, v81
	v_cndmask_b32_e64 v66, v66, v72, s29
	v_cndmask_b32_e64 v72, v84, v96, s7
	;; [unrolled: 1-line block ×3, first 2 shown]
	v_lshrrev_b32_e32 v98, 16, v92
	v_cndmask_b32_e32 v70, v70, v100, vcc_lo
	v_cndmask_b32_e64 v86, v99, v92, s4
	v_cndmask_b32_e64 v69, v69, v100, s27
	v_lshrrev_b32_e32 v100, 16, v93
	v_cndmask_b32_e64 v72, v72, v89, s9
	v_lshrrev_b32_e32 v99, 16, v89
	v_cndmask_b32_e64 v86, v86, v98, s7
	v_perm_b32 v71, v69, v71, 0x5040100
	v_cndmask_b32_e64 v84, v84, v96, s8
	s_delay_alu instid0(VALU_DEP_3) | instskip(NEXT) | instid1(VALU_DEP_2)
	v_cndmask_b32_e64 v86, v86, v93, s9
	v_cndmask_b32_e64 v84, v84, v89, s11
	s_delay_alu instid0(VALU_DEP_2) | instskip(NEXT) | instid1(VALU_DEP_1)
	v_cndmask_b32_e64 v86, v86, v100, s10
	v_cndmask_b32_e64 v69, v86, v94, s12
	;; [unrolled: 1-line block ×5, first 2 shown]
	s_delay_alu instid0(VALU_DEP_3) | instskip(NEXT) | instid1(VALU_DEP_3)
	v_cndmask_b32_e64 v86, v86, v88, s17
	v_cndmask_b32_e64 v87, v87, v88, s23
	s_delay_alu instid0(VALU_DEP_3) | instskip(NEXT) | instid1(VALU_DEP_3)
	v_cndmask_b32_e64 v88, v95, v92, s23
	v_cndmask_b32_e64 v86, v86, v96, s19
	;; [unrolled: 3-line block ×7, first 2 shown]
	s_delay_alu instid0(VALU_DEP_3) | instskip(SKIP_2) | instid1(VALU_DEP_2)
	v_cndmask_b32_e64 v88, v88, v94, s29
	v_cndmask_b32_e32 v66, v66, v97, vcc_lo
	v_cndmask_b32_e64 v97, v72, v99, s10
	v_perm_b32 v72, v70, v66, 0x5040100
	v_perm_b32 v70, v83, v103, 0x5040100
	v_cndmask_b32_e64 v103, v91, v85, s5
	v_cndmask_b32_e64 v85, v91, v85, s3
	;; [unrolled: 1-line block ×4, first 2 shown]
	v_lshrrev_b32_e32 v97, 16, v90
	v_cndmask_b32_e64 v91, v103, v92, s17
	v_cndmask_b32_e64 v85, v85, v92, s6
	;; [unrolled: 1-line block ×3, first 2 shown]
	s_mov_b32 s3, exec_lo
	v_cndmask_b32_e64 v83, v84, v97, s15
	v_cndmask_b32_e64 v91, v91, v98, s19
	;; [unrolled: 1-line block ×3, first 2 shown]
	v_lshrrev_b32_e32 v84, 16, v94
	v_cndmask_b32_e64 v66, v66, v97, s18
	v_cndmask_b32_e64 v90, v86, v97, s27
	;; [unrolled: 1-line block ×4, first 2 shown]
	v_dual_cndmask_b32 v86, v87, v97 :: v_dual_cndmask_b32 v87, v88, v84
	v_cndmask_b32_e64 v91, v69, v84, s15
	s_delay_alu instid0(VALU_DEP_4) | instskip(NEXT) | instid1(VALU_DEP_4)
	v_cndmask_b32_e64 v89, v89, v100, s22
	v_cndmask_b32_e64 v85, v85, v100, s13
	v_perm_b32 v69, v102, v101, 0x5040100
	v_perm_b32 v86, v87, v86, 0x5040100
	;; [unrolled: 1-line block ×3, first 2 shown]
	v_cndmask_b32_e64 v89, v89, v94, s24
	v_cndmask_b32_e64 v85, v85, v94, s16
	s_mul_i32 s8, s35, 3
	s_delay_alu instid0(VALU_DEP_2) | instskip(NEXT) | instid1(VALU_DEP_2)
	v_cndmask_b32_e64 v88, v89, v84, s27
	v_cndmask_b32_e64 v89, v85, v84, s18
	s_delay_alu instid0(VALU_DEP_2) | instskip(NEXT) | instid1(VALU_DEP_2)
	v_perm_b32 v85, v88, v90, 0x5040100
	v_perm_b32 v84, v89, v66, 0x5040100
	ds_store_b128 v76, v[69:72]
	ds_store_b128 v76, v[83:86] offset:1024
	v_cmpx_gt_u32_e32 3, v0
	s_cbranch_execz .LBB1824_78
; %bb.77:
	s_mul_i32 s4, s8, s30
	s_delay_alu instid0(SALU_CYCLE_1) | instskip(SKIP_1) | instid1(VALU_DEP_1)
	v_add3_u32 v69, s4, s31, v65
	s_load_b128 s[4:7], s[0:1], 0x58
	v_mad_u64_u32 v[65:66], null, v69, s34, s[14:15]
	s_delay_alu instid0(VALU_DEP_1) | instskip(NEXT) | instid1(VALU_DEP_1)
	v_ashrrev_i32_e32 v66, 31, v65
	v_lshlrev_b64 v[65:66], 2, v[65:66]
	s_waitcnt lgkmcnt(0)
	s_delay_alu instid0(VALU_DEP_1) | instskip(NEXT) | instid1(VALU_DEP_2)
	v_add_co_u32 v69, vcc_lo, s6, v65
	v_add_co_ci_u32_e32 v70, vcc_lo, s7, v66, vcc_lo
	v_add_co_u32 v65, vcc_lo, s4, v65
	v_add_co_ci_u32_e32 v66, vcc_lo, s5, v66, vcc_lo
	global_store_b32 v[69:70], v67, off
	global_store_b32 v[65:66], v68, off
.LBB1824_78:
	s_or_b32 exec_lo, exec_lo, s3
	s_waitcnt lgkmcnt(0)
	s_waitcnt_vscnt null, 0x0
	s_barrier
	buffer_gl0_inv
	ds_load_b128 v[83:86], v80
	ds_load_b128 v[87:90], v80 offset:16
	ds_load_b128 v[95:98], v80 offset:2064
	;; [unrolled: 1-line block ×3, first 2 shown]
	v_mov_b32_e32 v65, 0
	ds_load_b128 v[103:106], v80 offset:4112
	ds_load_b128 v[99:102], v80 offset:4096
	;; [unrolled: 1-line block ×4, first 2 shown]
	v_mov_b32_e32 v66, v65
	v_mov_b32_e32 v67, v65
	;; [unrolled: 1-line block ×7, first 2 shown]
	s_waitcnt lgkmcnt(6)
	s_delay_alu instid0(VALU_DEP_1)
	v_wmma_f32_16x16x16_bf16 v[65:72], v[41:48], v[83:90], v[65:72]
	ds_load_b128 v[45:48], v80 offset:8208
	ds_load_b128 v[41:44], v80 offset:8192
	s_waitcnt lgkmcnt(6)
	v_wmma_f32_16x16x16_bf16 v[65:72], v[33:40], v[91:98], v[65:72]
	ds_load_b128 v[37:40], v80 offset:10256
	ds_load_b128 v[33:36], v80 offset:10240
	s_waitcnt lgkmcnt(6)
	;; [unrolled: 4-line block ×4, first 2 shown]
	v_wmma_f32_16x16x16_bf16 v[65:72], v[1:8], v[41:48], v[65:72]
	s_waitcnt lgkmcnt(4)
	s_delay_alu instid0(VALU_DEP_1) | instskip(SKIP_1) | instid1(VALU_DEP_1)
	v_wmma_f32_16x16x16_bf16 v[65:72], v[9:16], v[33:40], v[65:72]
	s_waitcnt lgkmcnt(2)
	v_wmma_f32_16x16x16_bf16 v[65:72], v[57:64], v[25:32], v[65:72]
	s_waitcnt lgkmcnt(0)
	s_delay_alu instid0(VALU_DEP_1) | instskip(NEXT) | instid1(VALU_DEP_1)
	v_wmma_f32_16x16x16_bf16 v[65:72], v[49:56], v[17:24], v[65:72]
	v_and_b32_e32 v1, 0x7f800000, v65
	s_delay_alu instid0(VALU_DEP_1) | instskip(SKIP_1) | instid1(SALU_CYCLE_1)
	v_cmp_ne_u32_e32 vcc_lo, 0x7f800000, v1
                                        ; implicit-def: $vgpr1
	s_and_saveexec_b32 s3, vcc_lo
	s_xor_b32 s3, exec_lo, s3
; %bb.79:
	v_bfe_u32 v1, v65, 16, 1
	s_delay_alu instid0(VALU_DEP_1)
	v_add3_u32 v1, v65, v1, 0x7fff
; %bb.80:
	s_and_not1_saveexec_b32 s3, s3
; %bb.81:
	v_and_b32_e32 v1, 0xffff, v65
	v_or_b32_e32 v2, 0x10000, v65
	s_delay_alu instid0(VALU_DEP_2) | instskip(NEXT) | instid1(VALU_DEP_2)
	v_cmp_eq_u32_e32 vcc_lo, 0, v1
	v_cndmask_b32_e32 v1, v2, v65, vcc_lo
; %bb.82:
	s_or_b32 exec_lo, exec_lo, s3
	v_and_b32_e32 v2, 0x7f800000, v66
	s_delay_alu instid0(VALU_DEP_1) | instskip(SKIP_1) | instid1(SALU_CYCLE_1)
	v_cmp_ne_u32_e32 vcc_lo, 0x7f800000, v2
                                        ; implicit-def: $vgpr2
	s_and_saveexec_b32 s3, vcc_lo
	s_xor_b32 s3, exec_lo, s3
; %bb.83:
	v_bfe_u32 v2, v66, 16, 1
	s_delay_alu instid0(VALU_DEP_1)
	v_add3_u32 v2, v66, v2, 0x7fff
; %bb.84:
	s_and_not1_saveexec_b32 s3, s3
; %bb.85:
	v_and_b32_e32 v2, 0xffff, v66
	v_or_b32_e32 v3, 0x10000, v66
	s_delay_alu instid0(VALU_DEP_2) | instskip(NEXT) | instid1(VALU_DEP_2)
	v_cmp_eq_u32_e32 vcc_lo, 0, v2
	v_cndmask_b32_e32 v2, v3, v66, vcc_lo
; %bb.86:
	s_or_b32 exec_lo, exec_lo, s3
	v_and_b32_e32 v3, 0x7f800000, v67
	s_delay_alu instid0(VALU_DEP_1) | instskip(SKIP_1) | instid1(SALU_CYCLE_1)
	v_cmp_ne_u32_e32 vcc_lo, 0x7f800000, v3
                                        ; implicit-def: $vgpr3
	s_and_saveexec_b32 s3, vcc_lo
	s_xor_b32 s3, exec_lo, s3
; %bb.87:
	v_bfe_u32 v3, v67, 16, 1
	s_delay_alu instid0(VALU_DEP_1)
	v_add3_u32 v3, v67, v3, 0x7fff
; %bb.88:
	s_and_not1_saveexec_b32 s3, s3
; %bb.89:
	v_and_b32_e32 v3, 0xffff, v67
	v_or_b32_e32 v4, 0x10000, v67
	s_delay_alu instid0(VALU_DEP_2) | instskip(NEXT) | instid1(VALU_DEP_2)
	v_cmp_eq_u32_e32 vcc_lo, 0, v3
	v_cndmask_b32_e32 v3, v4, v67, vcc_lo
; %bb.90:
	s_or_b32 exec_lo, exec_lo, s3
	v_and_b32_e32 v4, 0x7f800000, v68
	s_delay_alu instid0(VALU_DEP_1) | instskip(SKIP_1) | instid1(SALU_CYCLE_1)
	v_cmp_ne_u32_e32 vcc_lo, 0x7f800000, v4
                                        ; implicit-def: $vgpr4
	s_and_saveexec_b32 s3, vcc_lo
	s_xor_b32 s3, exec_lo, s3
; %bb.91:
	v_bfe_u32 v4, v68, 16, 1
	s_delay_alu instid0(VALU_DEP_1)
	v_add3_u32 v4, v68, v4, 0x7fff
; %bb.92:
	s_and_not1_saveexec_b32 s3, s3
; %bb.93:
	v_and_b32_e32 v4, 0xffff, v68
	v_or_b32_e32 v5, 0x10000, v68
	s_delay_alu instid0(VALU_DEP_2) | instskip(NEXT) | instid1(VALU_DEP_2)
	v_cmp_eq_u32_e32 vcc_lo, 0, v4
	v_cndmask_b32_e32 v4, v5, v68, vcc_lo
; %bb.94:
	s_or_b32 exec_lo, exec_lo, s3
	v_and_b32_e32 v5, 0x7f800000, v69
	s_delay_alu instid0(VALU_DEP_1) | instskip(SKIP_1) | instid1(SALU_CYCLE_1)
	v_cmp_ne_u32_e32 vcc_lo, 0x7f800000, v5
                                        ; implicit-def: $vgpr5
	s_and_saveexec_b32 s3, vcc_lo
	s_xor_b32 s3, exec_lo, s3
; %bb.95:
	v_bfe_u32 v5, v69, 16, 1
	s_delay_alu instid0(VALU_DEP_1)
	v_add3_u32 v5, v69, v5, 0x7fff
; %bb.96:
	s_and_not1_saveexec_b32 s3, s3
; %bb.97:
	v_and_b32_e32 v5, 0xffff, v69
	v_or_b32_e32 v6, 0x10000, v69
	s_delay_alu instid0(VALU_DEP_2) | instskip(NEXT) | instid1(VALU_DEP_2)
	v_cmp_eq_u32_e32 vcc_lo, 0, v5
	v_cndmask_b32_e32 v5, v6, v69, vcc_lo
; %bb.98:
	s_or_b32 exec_lo, exec_lo, s3
	v_and_b32_e32 v6, 0x7f800000, v70
	s_delay_alu instid0(VALU_DEP_1) | instskip(SKIP_1) | instid1(SALU_CYCLE_1)
	v_cmp_ne_u32_e32 vcc_lo, 0x7f800000, v6
                                        ; implicit-def: $vgpr6
	s_and_saveexec_b32 s3, vcc_lo
	s_xor_b32 s3, exec_lo, s3
; %bb.99:
	v_bfe_u32 v6, v70, 16, 1
	s_delay_alu instid0(VALU_DEP_1)
	v_add3_u32 v6, v70, v6, 0x7fff
; %bb.100:
	s_and_not1_saveexec_b32 s3, s3
; %bb.101:
	v_and_b32_e32 v6, 0xffff, v70
	v_or_b32_e32 v7, 0x10000, v70
	s_delay_alu instid0(VALU_DEP_2) | instskip(NEXT) | instid1(VALU_DEP_2)
	v_cmp_eq_u32_e32 vcc_lo, 0, v6
	v_cndmask_b32_e32 v6, v7, v70, vcc_lo
; %bb.102:
	s_or_b32 exec_lo, exec_lo, s3
	v_and_b32_e32 v7, 0x7f800000, v71
	s_delay_alu instid0(VALU_DEP_1) | instskip(SKIP_1) | instid1(SALU_CYCLE_1)
	v_cmp_ne_u32_e32 vcc_lo, 0x7f800000, v7
                                        ; implicit-def: $vgpr7
	s_and_saveexec_b32 s3, vcc_lo
	s_xor_b32 s3, exec_lo, s3
; %bb.103:
	v_bfe_u32 v7, v71, 16, 1
	s_delay_alu instid0(VALU_DEP_1)
	v_add3_u32 v7, v71, v7, 0x7fff
; %bb.104:
	s_and_not1_saveexec_b32 s3, s3
; %bb.105:
	v_and_b32_e32 v7, 0xffff, v71
	v_or_b32_e32 v8, 0x10000, v71
	s_delay_alu instid0(VALU_DEP_2) | instskip(NEXT) | instid1(VALU_DEP_2)
	v_cmp_eq_u32_e32 vcc_lo, 0, v7
	v_cndmask_b32_e32 v7, v8, v71, vcc_lo
; %bb.106:
	s_or_b32 exec_lo, exec_lo, s3
	v_and_b32_e32 v8, 0x7f800000, v72
	s_delay_alu instid0(VALU_DEP_1) | instskip(SKIP_1) | instid1(SALU_CYCLE_1)
	v_cmp_ne_u32_e32 vcc_lo, 0x7f800000, v8
                                        ; implicit-def: $vgpr8
	s_and_saveexec_b32 s3, vcc_lo
	s_xor_b32 s3, exec_lo, s3
; %bb.107:
	v_bfe_u32 v8, v72, 16, 1
	s_delay_alu instid0(VALU_DEP_1)
	v_add3_u32 v8, v72, v8, 0x7fff
                                        ; implicit-def: $vgpr65_vgpr66_vgpr67_vgpr68_vgpr69_vgpr70_vgpr71_vgpr72
; %bb.108:
	s_and_not1_saveexec_b32 s3, s3
; %bb.109:
	v_and_b32_e32 v8, 0xffff, v72
	v_or_b32_e32 v9, 0x10000, v72
	s_delay_alu instid0(VALU_DEP_2) | instskip(NEXT) | instid1(VALU_DEP_2)
	v_cmp_eq_u32_e32 vcc_lo, 0, v8
	v_cndmask_b32_e32 v8, v9, v72, vcc_lo
; %bb.110:
	s_or_b32 exec_lo, exec_lo, s3
	s_delay_alu instid0(VALU_DEP_1)
	v_perm_b32 v7, v8, v7, 0x7060302
	v_perm_b32 v6, v6, v5, 0x7060302
	;; [unrolled: 1-line block ×4, first 2 shown]
	s_barrier
	buffer_gl0_inv
	v_cmp_eq_u32_e32 vcc_lo, 1, v78
	ds_store_b128 v76, v[4:7]
	s_waitcnt lgkmcnt(0)
	s_barrier
	buffer_gl0_inv
	ds_load_b128 v[1:4], v82
	ds_load_b128 v[5:8], v82 offset:16
	v_cmp_eq_u32_e64 s3, 1, v79
	v_cmp_eq_u32_e64 s4, 2, v78
	v_cmp_eq_u32_e64 s5, 3, v78
	v_cmp_eq_u32_e64 s7, 2, v77
	v_cmp_eq_u32_e64 s6, 7, v79
	s_waitcnt lgkmcnt(1)
	v_lshrrev_b32_e32 v9, 16, v1
	s_waitcnt lgkmcnt(0)
	v_lshrrev_b32_e32 v13, 16, v5
	v_lshrrev_b32_e32 v10, 16, v2
	;; [unrolled: 1-line block ×4, first 2 shown]
	v_cndmask_b32_e64 v19, v1, v9, s3
	v_cndmask_b32_e32 v18, v5, v13, vcc_lo
	v_cndmask_b32_e64 v20, v5, v13, s3
	v_cndmask_b32_e32 v17, v1, v9, vcc_lo
	v_cmp_eq_u32_e32 vcc_lo, 2, v79
	v_lshrrev_b32_e32 v15, 16, v7
	v_cmp_eq_u32_e64 s3, 1, v77
	v_lshrrev_b32_e32 v12, 16, v4
	v_lshrrev_b32_e32 v16, 16, v8
	v_cndmask_b32_e32 v20, v20, v6, vcc_lo
	v_cndmask_b32_e64 v17, v17, v2, s4
	v_cndmask_b32_e32 v19, v19, v2, vcc_lo
	v_cndmask_b32_e64 v18, v18, v6, s4
	v_cmp_eq_u32_e32 vcc_lo, 4, v78
	v_cmp_eq_u32_e64 s4, 3, v79
	v_cndmask_b32_e64 v17, v17, v10, s5
	v_cndmask_b32_e64 v21, v1, v9, s3
	;; [unrolled: 1-line block ×5, first 2 shown]
	v_cndmask_b32_e32 v17, v17, v3, vcc_lo
	v_cndmask_b32_e64 v20, v20, v14, s4
	v_cndmask_b32_e32 v18, v18, v7, vcc_lo
	v_cmp_eq_u32_e32 vcc_lo, 4, v79
	v_cmp_eq_u32_e64 s4, 5, v79
	v_cmp_eq_u32_e64 s3, 2, v81
	v_cndmask_b32_e64 v21, v21, v2, s7
	v_cmp_eq_u32_e64 s5, 5, v78
	v_cndmask_b32_e32 v19, v19, v3, vcc_lo
	v_cndmask_b32_e32 v20, v20, v7, vcc_lo
	v_cmp_eq_u32_e32 vcc_lo, 6, v79
	s_delay_alu instid0(VALU_DEP_4) | instskip(NEXT) | instid1(VALU_DEP_4)
	v_cndmask_b32_e64 v17, v17, v11, s5
	v_cndmask_b32_e64 v19, v19, v11, s4
	s_delay_alu instid0(VALU_DEP_4) | instskip(SKIP_1) | instid1(VALU_DEP_3)
	v_cndmask_b32_e64 v20, v20, v15, s4
	v_cmp_eq_u32_e64 s4, 1, v81
	v_cndmask_b32_e32 v19, v19, v4, vcc_lo
	v_cndmask_b32_e64 v18, v18, v15, s5
	s_delay_alu instid0(VALU_DEP_3)
	v_cndmask_b32_e64 v1, v1, v9, s4
	v_cndmask_b32_e64 v5, v5, v13, s4
	v_cmp_eq_u32_e64 s4, 3, v77
	v_cndmask_b32_e64 v13, v22, v6, s7
	v_cmp_eq_u32_e64 s7, 3, v81
	v_cndmask_b32_e64 v1, v1, v2, s3
	v_cndmask_b32_e64 v2, v5, v6, s3
	;; [unrolled: 1-line block ×3, first 2 shown]
	v_cmp_eq_u32_e64 s3, 4, v77
	v_cndmask_b32_e64 v6, v13, v14, s4
	v_cndmask_b32_e64 v1, v1, v10, s7
	v_cmp_eq_u32_e64 s4, 4, v81
	v_cndmask_b32_e64 v2, v2, v14, s7
	v_cndmask_b32_e64 v5, v9, v3, s3
	;; [unrolled: 3-line block ×3, first 2 shown]
	v_cndmask_b32_e64 v2, v2, v7, s4
	v_cmp_eq_u32_e64 s3, 5, v81
	v_cmp_eq_u32_e64 s5, 6, v78
	v_cndmask_b32_e64 v5, v5, v11, s7
	v_cmp_eq_u32_e64 s4, 6, v77
	v_cndmask_b32_e64 v3, v6, v15, s7
	v_cndmask_b32_e64 v1, v1, v11, s3
	v_cmp_eq_u32_e64 s7, 6, v81
	v_cndmask_b32_e64 v2, v2, v15, s3
	v_cndmask_b32_e64 v17, v17, v4, s5
	v_cndmask_b32_e64 v18, v18, v8, s5
	v_cmp_eq_u32_e64 s5, 7, v78
	v_cndmask_b32_e64 v5, v5, v4, s4
	;; [unrolled: 4-line block ×3, first 2 shown]
	v_cmp_eq_u32_e64 s4, 7, v77
	v_cndmask_b32_e32 v4, v20, v8, vcc_lo
	v_cndmask_b32_e64 v17, v17, v12, s5
	v_cndmask_b32_e64 v19, v19, v12, s6
	v_cndmask_b32_e64 v1, v1, v12, s3
	v_cndmask_b32_e64 v5, v5, v12, s4
	v_cndmask_b32_e64 v2, v2, v16, s3
	v_cndmask_b32_e64 v3, v3, v16, s4
	v_cndmask_b32_e64 v6, v4, v16, s6
	v_cndmask_b32_e64 v7, v18, v16, s5
	s_mov_b32 s3, exec_lo
	v_perm_b32 v4, v2, v1, 0x5040100
	v_perm_b32 v3, v3, v5, 0x5040100
	;; [unrolled: 1-line block ×4, first 2 shown]
	ds_store_b128 v76, v[1:4]
	s_waitcnt lgkmcnt(0)
	s_barrier
	buffer_gl0_inv
	v_cmpx_gt_u32_e32 32, v0
	s_cbranch_execz .LBB1824_2
; %bb.111:
	s_load_b64 s[4:5], s[0:1], 0x68
	v_lshlrev_b32_e32 v0, 10, v0
	v_lshlrev_b32_e32 v2, 4, v75
	v_add_nc_u32_e32 v1, s31, v74
	s_lshl_b32 s0, s34, 7
	s_delay_alu instid0(SALU_CYCLE_1) | instskip(NEXT) | instid1(VALU_DEP_2)
	s_mul_i32 s1, s0, s30
	v_and_or_b32 v0, 0x3800, v0, v2
	s_mul_i32 s6, s1, s8
	v_mul_lo_u32 v1, v1, s0
	s_ashr_i32 s7, s6, 31
	s_delay_alu instid0(VALU_DEP_2) | instskip(SKIP_1) | instid1(VALU_DEP_2)
	v_lshl_or_b32 v3, v74, 6, v0
	s_lshl_b64 s[6:7], s[6:7], 1
	v_ashrrev_i32_e32 v2, 31, v1
	ds_load_b128 v[3:6], v3
	s_waitcnt lgkmcnt(0)
	s_add_u32 s1, s4, s6
	s_addc_u32 s3, s5, s7
	s_lshl_b32 s4, s14, 7
	v_lshlrev_b64 v[7:8], 1, v[1:2]
	s_ashr_i32 s5, s4, 31
	s_delay_alu instid0(SALU_CYCLE_1) | instskip(NEXT) | instid1(SALU_CYCLE_1)
	s_lshl_b64 s[4:5], s[4:5], 1
	s_add_u32 s1, s1, s4
	s_addc_u32 s3, s3, s5
	v_add_co_u32 v1, s1, s1, v73
	s_delay_alu instid0(VALU_DEP_1) | instskip(NEXT) | instid1(VALU_DEP_2)
	v_add_co_ci_u32_e64 v2, null, s3, 0, s1
	v_add_co_u32 v7, vcc_lo, v1, v7
	s_delay_alu instid0(VALU_DEP_2)
	v_add_co_ci_u32_e32 v8, vcc_lo, v2, v8, vcc_lo
	global_store_b128 v[7:8], v[3:6], off
	s_and_b32 exec_lo, exec_lo, s2
	s_cbranch_execz .LBB1824_2
; %bb.112:
	ds_load_b128 v[3:6], v0 offset:128
	s_add_i32 s1, s31, 2
	s_delay_alu instid0(SALU_CYCLE_1) | instskip(NEXT) | instid1(SALU_CYCLE_1)
	s_mul_i32 s0, s1, s0
	s_ashr_i32 s1, s0, 31
	s_delay_alu instid0(SALU_CYCLE_1) | instskip(NEXT) | instid1(SALU_CYCLE_1)
	s_lshl_b64 s[0:1], s[0:1], 1
	v_add_co_u32 v0, vcc_lo, v1, s0
	v_add_co_ci_u32_e32 v1, vcc_lo, s1, v2, vcc_lo
	s_waitcnt lgkmcnt(0)
	global_store_b128 v[0:1], v[3:6], off
	s_nop 0
	s_sendmsg sendmsg(MSG_DEALLOC_VGPRS)
	s_endpgm
	.section	.rodata,"a",@progbits
	.p2align	6, 0x0
	.amdhsa_kernel _Z39paged_attention_ll4mi_QKV_mfma16_kernelI14__hip_bfloat16hLN4vllm18Fp8KVCacheDataTypeE1EhLi16ELi128ELi256ELb0ELi3EL8MFMAType0EEvPKT_PKT0_S9_ifPKiSB_SB_iPKfiiiPfSE_PS4_PT2_iSD_SD_
		.amdhsa_group_segment_fixed_size 17472
		.amdhsa_private_segment_fixed_size 0
		.amdhsa_kernarg_size 400
		.amdhsa_user_sgpr_count 13
		.amdhsa_user_sgpr_dispatch_ptr 0
		.amdhsa_user_sgpr_queue_ptr 0
		.amdhsa_user_sgpr_kernarg_segment_ptr 1
		.amdhsa_user_sgpr_dispatch_id 0
		.amdhsa_user_sgpr_private_segment_size 0
		.amdhsa_wavefront_size32 1
		.amdhsa_uses_dynamic_stack 0
		.amdhsa_enable_private_segment 0
		.amdhsa_system_sgpr_workgroup_id_x 1
		.amdhsa_system_sgpr_workgroup_id_y 1
		.amdhsa_system_sgpr_workgroup_id_z 1
		.amdhsa_system_sgpr_workgroup_info 0
		.amdhsa_system_vgpr_workitem_id 0
		.amdhsa_next_free_vgpr 140
		.amdhsa_next_free_sgpr 36
		.amdhsa_reserve_vcc 1
		.amdhsa_float_round_mode_32 0
		.amdhsa_float_round_mode_16_64 0
		.amdhsa_float_denorm_mode_32 3
		.amdhsa_float_denorm_mode_16_64 3
		.amdhsa_dx10_clamp 1
		.amdhsa_ieee_mode 1
		.amdhsa_fp16_overflow 0
		.amdhsa_workgroup_processor_mode 1
		.amdhsa_memory_ordered 1
		.amdhsa_forward_progress 0
		.amdhsa_shared_vgpr_count 0
		.amdhsa_exception_fp_ieee_invalid_op 0
		.amdhsa_exception_fp_denorm_src 0
		.amdhsa_exception_fp_ieee_div_zero 0
		.amdhsa_exception_fp_ieee_overflow 0
		.amdhsa_exception_fp_ieee_underflow 0
		.amdhsa_exception_fp_ieee_inexact 0
		.amdhsa_exception_int_div_zero 0
	.end_amdhsa_kernel
	.section	.text._Z39paged_attention_ll4mi_QKV_mfma16_kernelI14__hip_bfloat16hLN4vllm18Fp8KVCacheDataTypeE1EhLi16ELi128ELi256ELb0ELi3EL8MFMAType0EEvPKT_PKT0_S9_ifPKiSB_SB_iPKfiiiPfSE_PS4_PT2_iSD_SD_,"axG",@progbits,_Z39paged_attention_ll4mi_QKV_mfma16_kernelI14__hip_bfloat16hLN4vllm18Fp8KVCacheDataTypeE1EhLi16ELi128ELi256ELb0ELi3EL8MFMAType0EEvPKT_PKT0_S9_ifPKiSB_SB_iPKfiiiPfSE_PS4_PT2_iSD_SD_,comdat
.Lfunc_end1824:
	.size	_Z39paged_attention_ll4mi_QKV_mfma16_kernelI14__hip_bfloat16hLN4vllm18Fp8KVCacheDataTypeE1EhLi16ELi128ELi256ELb0ELi3EL8MFMAType0EEvPKT_PKT0_S9_ifPKiSB_SB_iPKfiiiPfSE_PS4_PT2_iSD_SD_, .Lfunc_end1824-_Z39paged_attention_ll4mi_QKV_mfma16_kernelI14__hip_bfloat16hLN4vllm18Fp8KVCacheDataTypeE1EhLi16ELi128ELi256ELb0ELi3EL8MFMAType0EEvPKT_PKT0_S9_ifPKiSB_SB_iPKfiiiPfSE_PS4_PT2_iSD_SD_
                                        ; -- End function
	.section	.AMDGPU.csdata,"",@progbits
; Kernel info:
; codeLenInByte = 8848
; NumSgprs: 38
; NumVgprs: 140
; ScratchSize: 0
; MemoryBound: 0
; FloatMode: 240
; IeeeMode: 1
; LDSByteSize: 17472 bytes/workgroup (compile time only)
; SGPRBlocks: 4
; VGPRBlocks: 17
; NumSGPRsForWavesPerEU: 38
; NumVGPRsForWavesPerEU: 140
; Occupancy: 10
; WaveLimiterHint : 1
; COMPUTE_PGM_RSRC2:SCRATCH_EN: 0
; COMPUTE_PGM_RSRC2:USER_SGPR: 13
; COMPUTE_PGM_RSRC2:TRAP_HANDLER: 0
; COMPUTE_PGM_RSRC2:TGID_X_EN: 1
; COMPUTE_PGM_RSRC2:TGID_Y_EN: 1
; COMPUTE_PGM_RSRC2:TGID_Z_EN: 1
; COMPUTE_PGM_RSRC2:TIDIG_COMP_CNT: 0
	.section	.text._Z39paged_attention_ll4mi_QKV_mfma16_kernelI14__hip_bfloat16hLN4vllm18Fp8KVCacheDataTypeE1EhLi16ELi128ELi256ELb0ELi4EL8MFMAType0EEvPKT_PKT0_S9_ifPKiSB_SB_iPKfiiiPfSE_PS4_PT2_iSD_SD_,"axG",@progbits,_Z39paged_attention_ll4mi_QKV_mfma16_kernelI14__hip_bfloat16hLN4vllm18Fp8KVCacheDataTypeE1EhLi16ELi128ELi256ELb0ELi4EL8MFMAType0EEvPKT_PKT0_S9_ifPKiSB_SB_iPKfiiiPfSE_PS4_PT2_iSD_SD_,comdat
	.protected	_Z39paged_attention_ll4mi_QKV_mfma16_kernelI14__hip_bfloat16hLN4vllm18Fp8KVCacheDataTypeE1EhLi16ELi128ELi256ELb0ELi4EL8MFMAType0EEvPKT_PKT0_S9_ifPKiSB_SB_iPKfiiiPfSE_PS4_PT2_iSD_SD_ ; -- Begin function _Z39paged_attention_ll4mi_QKV_mfma16_kernelI14__hip_bfloat16hLN4vllm18Fp8KVCacheDataTypeE1EhLi16ELi128ELi256ELb0ELi4EL8MFMAType0EEvPKT_PKT0_S9_ifPKiSB_SB_iPKfiiiPfSE_PS4_PT2_iSD_SD_
	.globl	_Z39paged_attention_ll4mi_QKV_mfma16_kernelI14__hip_bfloat16hLN4vllm18Fp8KVCacheDataTypeE1EhLi16ELi128ELi256ELb0ELi4EL8MFMAType0EEvPKT_PKT0_S9_ifPKiSB_SB_iPKfiiiPfSE_PS4_PT2_iSD_SD_
	.p2align	8
	.type	_Z39paged_attention_ll4mi_QKV_mfma16_kernelI14__hip_bfloat16hLN4vllm18Fp8KVCacheDataTypeE1EhLi16ELi128ELi256ELb0ELi4EL8MFMAType0EEvPKT_PKT0_S9_ifPKiSB_SB_iPKfiiiPfSE_PS4_PT2_iSD_SD_,@function
_Z39paged_attention_ll4mi_QKV_mfma16_kernelI14__hip_bfloat16hLN4vllm18Fp8KVCacheDataTypeE1EhLi16ELi128ELi256ELb0ELi4EL8MFMAType0EEvPKT_PKT0_S9_ifPKiSB_SB_iPKfiiiPfSE_PS4_PT2_iSD_SD_: ; @_Z39paged_attention_ll4mi_QKV_mfma16_kernelI14__hip_bfloat16hLN4vllm18Fp8KVCacheDataTypeE1EhLi16ELi128ELi256ELb0ELi4EL8MFMAType0EEvPKT_PKT0_S9_ifPKiSB_SB_iPKfiiiPfSE_PS4_PT2_iSD_SD_
; %bb.0:
	s_load_b64 s[4:5], s[0:1], 0x30
	s_mov_b32 s30, s13
	s_waitcnt lgkmcnt(0)
	s_cmp_lg_u64 s[4:5], 0
	s_cselect_b32 s13, -1, 0
	s_ashr_i32 s31, s30, 31
	s_cmp_eq_u64 s[4:5], 0
	s_cbranch_scc1 .LBB1825_3
; %bb.1:
	s_lshl_b64 s[2:3], s[30:31], 2
	s_delay_alu instid0(SALU_CYCLE_1) | instskip(SKIP_4) | instid1(SALU_CYCLE_1)
	s_add_u32 s2, s4, s2
	s_addc_u32 s3, s5, s3
	s_load_b64 s[2:3], s[2:3], 0x0
	s_waitcnt lgkmcnt(0)
	s_sub_i32 s2, s3, s2
	s_cmp_eq_u32 s2, 1
	s_cselect_b32 s2, -1, 0
	s_delay_alu instid0(SALU_CYCLE_1)
	s_and_not1_b32 vcc_lo, exec_lo, s2
	s_cbranch_vccz .LBB1825_4
.LBB1825_2:
	s_endpgm
.LBB1825_3:
.LBB1825_4:
	s_load_b64 s[2:3], s[0:1], 0x28
	s_lshl_b64 s[6:7], s[30:31], 2
	s_waitcnt lgkmcnt(0)
	s_add_u32 s2, s2, s6
	s_addc_u32 s3, s3, s7
	s_lshl_b32 s12, s14, 8
	s_load_b32 s17, s[2:3], 0x0
	s_waitcnt lgkmcnt(0)
	s_cmp_ge_i32 s12, s17
	s_cbranch_scc1 .LBB1825_2
; %bb.5:
	s_clause 0x1
	s_load_b128 s[8:11], s[0:1], 0x8
	s_load_b64 s[2:3], s[0:1], 0x20
	s_and_not1_b32 vcc_lo, exec_lo, s13
	s_cbranch_vccnz .LBB1825_7
; %bb.6:
	s_add_u32 s4, s4, s6
	s_addc_u32 s5, s5, s7
	s_load_b32 s13, s[4:5], 0x0
	s_branch .LBB1825_8
.LBB1825_7:
	s_mov_b32 s13, s30
.LBB1825_8:
	s_load_b128 s[4:7], s[0:1], 0x48
	v_and_b32_e32 v66, 15, v0
	v_lshrrev_b32_e32 v65, 5, v0
	v_and_b32_e32 v67, 31, v0
	v_and_b32_e32 v75, 1, v0
	v_bfe_u32 v74, v0, 4, 1
	v_lshlrev_b32_e32 v1, 3, v66
	s_lshl_b32 s29, s15, 2
	s_waitcnt lgkmcnt(0)
	s_mov_b32 s7, exec_lo
	s_delay_alu instid0(VALU_DEP_1)
	v_lshlrev_b32_e32 v73, 1, v1
	v_cmpx_gt_u32_e32 64, v0
	s_cbranch_execz .LBB1825_10
; %bb.9:
	v_lshl_or_b32 v5, v65, 1, v74
	s_load_b64 s[18:19], s[0:1], 0x0
	s_mul_hi_i32 s21, s13, s4
	s_mul_i32 s20, s13, s4
	v_lshlrev_b32_e32 v6, 10, v66
	v_or_b32_e32 v1, s29, v5
	s_lshl_b64 s[20:21], s[20:21], 1
	v_lshlrev_b32_e32 v5, 6, v5
	v_lshlrev_b32_e32 v7, 10, v75
	v_and_b32_e32 v6, 0x3800, v6
	v_lshlrev_b32_e32 v1, 7, v1
	s_delay_alu instid0(VALU_DEP_2) | instskip(NEXT) | instid1(VALU_DEP_2)
	v_or3_b32 v5, v6, v7, v5
	v_ashrrev_i32_e32 v2, 31, v1
	s_delay_alu instid0(VALU_DEP_1) | instskip(SKIP_3) | instid1(VALU_DEP_1)
	v_lshlrev_b64 v[1:2], 1, v[1:2]
	s_waitcnt lgkmcnt(0)
	s_add_u32 s4, s18, s20
	s_addc_u32 s13, s19, s21
	v_add_co_u32 v1, vcc_lo, s4, v1
	s_delay_alu instid0(VALU_DEP_2) | instskip(NEXT) | instid1(VALU_DEP_2)
	v_add_co_ci_u32_e32 v2, vcc_lo, s13, v2, vcc_lo
	v_add_co_u32 v1, vcc_lo, v1, v73
	s_delay_alu instid0(VALU_DEP_2)
	v_add_co_ci_u32_e32 v2, vcc_lo, 0, v2, vcc_lo
	global_load_b128 v[1:4], v[1:2], off
	s_waitcnt vmcnt(0)
	ds_store_b128 v5, v[1:4]
.LBB1825_10:
	s_or_b32 exec_lo, exec_lo, s7
	v_and_b32_e32 v1, 0xef, v0
	s_add_i32 s4, s17, 15
	s_clause 0x1
	s_load_b32 s7, s[0:1], 0x38
	s_load_b32 s18, s[0:1], 0x1c
	s_ashr_i32 s13, s4, 31
	v_add_nc_u32_e32 v1, s12, v1
	s_lshr_b32 s13, s13, 28
	s_waitcnt lgkmcnt(0)
	s_add_i32 s4, s4, s13
	s_barrier
	v_ashrrev_i32_e32 v2, 31, v1
	v_or_b32_e32 v3, 16, v1
	s_ashr_i32 s4, s4, 4
	v_cmp_gt_i32_e32 vcc_lo, s17, v1
	s_add_i32 s4, s4, -1
	v_lshrrev_b32_e32 v2, 28, v2
	buffer_gl0_inv
	s_mul_i32 s15, s15, s6
	v_add_nc_u32_e32 v4, v1, v2
	s_mul_i32 s20, s30, s7
	s_delay_alu instid0(SALU_CYCLE_1) | instskip(NEXT) | instid1(VALU_DEP_1)
	s_ashr_i32 s21, s20, 31
	v_ashrrev_i32_e32 v4, 4, v4
	v_add_nc_u32_e32 v2, v3, v2
	s_lshl_b64 s[20:21], s[20:21], 2
	s_delay_alu instid0(SALU_CYCLE_1) | instskip(NEXT) | instid1(VALU_DEP_2)
	s_add_u32 s13, s2, s20
	v_cndmask_b32_e32 v1, s4, v4, vcc_lo
	s_delay_alu instid0(VALU_DEP_2)
	v_ashrrev_i32_e32 v2, 4, v2
	v_cmp_gt_i32_e32 vcc_lo, s17, v3
	s_addc_u32 s16, s3, s21
	s_ashr_i32 s19, s15, 31
	s_add_u32 s26, s8, s15
	s_addc_u32 s27, s9, s19
	v_cndmask_b32_e32 v3, s4, v2, vcc_lo
	v_ashrrev_i32_e32 v2, 31, v1
	s_lshl_b32 s2, s14, 4
	s_delay_alu instid0(SALU_CYCLE_1) | instskip(NEXT) | instid1(VALU_DEP_2)
	s_ashr_i32 s3, s2, 31
	v_ashrrev_i32_e32 v4, 31, v3
	s_delay_alu instid0(VALU_DEP_2) | instskip(SKIP_1) | instid1(SALU_CYCLE_1)
	v_lshlrev_b64 v[1:2], 2, v[1:2]
	s_lshl_b64 s[2:3], s[2:3], 2
	s_add_u32 s2, s13, s2
	s_delay_alu instid0(VALU_DEP_2) | instskip(SKIP_1) | instid1(VALU_DEP_2)
	v_lshlrev_b64 v[3:4], 2, v[3:4]
	s_addc_u32 s3, s16, s3
	v_add_co_u32 v1, vcc_lo, s13, v1
	v_add_co_ci_u32_e32 v2, vcc_lo, s16, v2, vcc_lo
	s_delay_alu instid0(VALU_DEP_3) | instskip(NEXT) | instid1(VALU_DEP_4)
	v_add_co_u32 v3, vcc_lo, s13, v3
	v_add_co_ci_u32_e32 v4, vcc_lo, s16, v4, vcc_lo
	s_clause 0x1
	global_load_b32 v5, v[1:2], off
	global_load_b32 v3, v[3:4], off
	s_or_b32 s6, s12, 32
	s_delay_alu instid0(SALU_CYCLE_1) | instskip(SKIP_2) | instid1(SALU_CYCLE_1)
	s_ashr_i32 s7, s6, 4
	s_cmp_lt_i32 s6, s17
	s_cselect_b32 s6, s7, s4
	s_ashr_i32 s7, s6, 31
	s_delay_alu instid0(SALU_CYCLE_1) | instskip(NEXT) | instid1(SALU_CYCLE_1)
	s_lshl_b64 s[6:7], s[6:7], 2
	s_add_u32 s6, s13, s6
	s_addc_u32 s7, s16, s7
	s_or_b32 s8, s12, 64
	s_delay_alu instid0(SALU_CYCLE_1) | instskip(SKIP_2) | instid1(SALU_CYCLE_1)
	s_ashr_i32 s9, s8, 4
	s_cmp_lt_i32 s8, s17
	s_cselect_b32 s8, s9, s4
	s_ashr_i32 s9, s8, 31
	s_delay_alu instid0(SALU_CYCLE_1) | instskip(NEXT) | instid1(SALU_CYCLE_1)
	s_lshl_b64 s[8:9], s[8:9], 2
	s_add_u32 s8, s13, s8
	s_addc_u32 s9, s16, s9
	s_or_b32 s20, s12, 0x60
	s_delay_alu instid0(SALU_CYCLE_1) | instskip(SKIP_2) | instid1(SALU_CYCLE_1)
	s_ashr_i32 s21, s20, 4
	s_cmp_lt_i32 s20, s17
	s_cselect_b32 s20, s21, s4
	s_ashr_i32 s21, s20, 31
	s_delay_alu instid0(SALU_CYCLE_1) | instskip(NEXT) | instid1(SALU_CYCLE_1)
	s_lshl_b64 s[20:21], s[20:21], 2
	s_add_u32 s20, s13, s20
	s_addc_u32 s21, s16, s21
	s_or_b32 s22, s12, 0x80
	s_delay_alu instid0(SALU_CYCLE_1) | instskip(SKIP_2) | instid1(SALU_CYCLE_1)
	s_ashr_i32 s23, s22, 4
	s_cmp_lt_i32 s22, s17
	s_cselect_b32 s22, s23, s4
	s_ashr_i32 s23, s22, 31
	s_delay_alu instid0(SALU_CYCLE_1) | instskip(NEXT) | instid1(SALU_CYCLE_1)
	s_lshl_b64 s[22:23], s[22:23], 2
	s_add_u32 s22, s13, s22
	s_addc_u32 s23, s16, s23
	s_or_b32 s24, s12, 0xa0
	s_delay_alu instid0(SALU_CYCLE_1) | instskip(SKIP_2) | instid1(SALU_CYCLE_1)
	s_ashr_i32 s25, s24, 4
	s_cmp_lt_i32 s24, s17
	s_cselect_b32 s24, s25, s4
	s_ashr_i32 s25, s24, 31
	s_delay_alu instid0(SALU_CYCLE_1) | instskip(NEXT) | instid1(SALU_CYCLE_1)
	s_lshl_b64 s[24:25], s[24:25], 2
	s_add_u32 s24, s13, s24
	s_addc_u32 s25, s16, s25
	s_clause 0x5
	s_load_b32 s28, s[2:3], 0x0
	s_load_b32 s31, s[6:7], 0x0
	s_load_b32 s8, s[8:9], 0x0
	s_load_b32 s9, s[20:21], 0x0
	s_load_b32 s33, s[22:23], 0x0
	s_load_b32 s34, s[24:25], 0x0
	s_mov_b32 s20, 0
	s_or_b32 s2, s12, 0xc0
	s_mov_b32 s21, s20
	s_mov_b32 s22, s20
	;; [unrolled: 1-line block ×5, first 2 shown]
	v_lshlrev_b32_e32 v1, 4, v0
	s_ashr_i32 s3, s2, 4
	s_cmp_lt_i32 s2, s17
	s_cselect_b32 s2, s3, s4
	s_delay_alu instid0(VALU_DEP_1) | instskip(SKIP_1) | instid1(SALU_CYCLE_1)
	v_and_b32_e32 v1, 0xf0, v1
	s_ashr_i32 s3, s2, 31
	s_lshl_b64 s[2:3], s[2:3], 2
	s_delay_alu instid0(VALU_DEP_1) | instskip(NEXT) | instid1(VALU_DEP_1)
	v_add_co_u32 v1, s26, s26, v1
	v_add_co_ci_u32_e64 v2, null, s27, 0, s26
	s_add_u32 s2, s13, s2
	s_addc_u32 s3, s16, s3
	s_or_b32 s6, s12, 0xe0
	s_mov_b32 s26, s20
	s_ashr_i32 s7, s6, 4
	s_cmp_lt_i32 s6, s17
	s_mov_b32 s27, s20
	s_cselect_b32 s6, s7, s4
	v_dual_mov_b32 v107, s27 :: v_dual_mov_b32 v100, s20
	s_ashr_i32 s7, s6, 31
	v_mov_b32_e32 v106, s26
	s_lshl_b64 s[6:7], s[6:7], 2
	v_dual_mov_b32 v104, s24 :: v_dual_mov_b32 v103, s23
	v_dual_mov_b32 v102, s22 :: v_dual_mov_b32 v101, s21
	v_mov_b32_e32 v105, s25
	s_waitcnt vmcnt(1)
	v_mad_i64_i32 v[33:34], null, v5, s5, v[1:2]
	s_waitcnt vmcnt(0)
	v_mad_i64_i32 v[35:36], null, v3, s5, v[1:2]
	s_clause 0xf
	global_load_b128 v[1:4], v[33:34], off
	global_load_b128 v[5:8], v[33:34], off offset:256
	global_load_b128 v[9:12], v[35:36], off
	global_load_b128 v[13:16], v[35:36], off offset:256
	global_load_b128 v[17:20], v[33:34], off offset:512
	;; [unrolled: 1-line block ×13, first 2 shown]
	v_and_b32_e32 v33, 3, v0
	v_lshlrev_b32_e32 v34, 4, v66
	s_delay_alu instid0(VALU_DEP_2) | instskip(NEXT) | instid1(VALU_DEP_2)
	v_lshlrev_b32_e32 v72, 6, v33
	v_lshl_or_b32 v41, v65, 8, v34
	ds_load_b128 v[33:36], v72
	ds_load_b128 v[37:40], v72 offset:1024
	ds_load_b128 v[108:111], v72 offset:2048
	;; [unrolled: 1-line block ×3, first 2 shown]
	s_load_b32 s4, s[2:3], 0x0
	s_add_u32 s2, s13, s6
	s_addc_u32 s3, s16, s7
	ds_load_b128 v[116:119], v72 offset:4096
	ds_load_b128 v[120:123], v72 offset:5120
	s_load_b32 s2, s[2:3], 0x0
	s_add_u32 s6, s10, s15
	s_addc_u32 s7, s11, s19
	v_add_co_u32 v68, s6, s6, v41
	s_delay_alu instid0(VALU_DEP_1) | instskip(SKIP_1) | instid1(VALU_DEP_1)
	v_add_co_ci_u32_e64 v69, null, s7, 0, s6
	s_waitcnt lgkmcnt(0)
	v_mad_i64_i32 v[41:42], null, s28, s5, v[68:69]
	v_mad_i64_i32 v[70:71], null, s8, s5, v[68:69]
	;; [unrolled: 1-line block ×7, first 2 shown]
	s_clause 0x3
	global_load_b128 v[49:52], v[41:42], off
	global_load_b128 v[53:56], v[41:42], off offset:16
	global_load_b128 v[41:44], v[45:46], off
	global_load_b128 v[45:48], v[45:46], off offset:16
	s_waitcnt vmcnt(18)
	v_wmma_f32_16x16x16_bf16 v[124:131], v[1:8], v[33:40], v[100:107]
	s_waitcnt vmcnt(16)
	v_wmma_f32_16x16x16_bf16 v[100:107], v[9:16], v[33:40], v[100:107]
	s_clause 0x1
	global_load_b128 v[33:36], v[70:71], off
	global_load_b128 v[37:40], v[70:71], off offset:16
	v_mad_i64_i32 v[70:71], null, s2, s5, v[68:69]
	s_waitcnt vmcnt(16)
	v_wmma_f32_16x16x16_bf16 v[124:131], v[17:24], v[108:115], v[124:131]
	s_waitcnt vmcnt(14)
	v_wmma_f32_16x16x16_bf16 v[100:107], v[25:32], v[108:115], v[100:107]
	s_clause 0x7
	global_load_b128 v[25:28], v[132:133], off
	global_load_b128 v[29:32], v[132:133], off offset:16
	global_load_b128 v[1:4], v[134:135], off
	global_load_b128 v[5:8], v[134:135], off offset:16
	;; [unrolled: 2-line block ×4, first 2 shown]
	s_waitcnt vmcnt(20)
	v_wmma_f32_16x16x16_bf16 v[124:131], v[57:64], v[116:123], v[124:131]
	s_clause 0x1
	global_load_b128 v[57:60], v[70:71], off
	global_load_b128 v[61:64], v[70:71], off offset:16
	s_waitcnt vmcnt(20)
	v_wmma_f32_16x16x16_bf16 v[100:107], v[76:83], v[116:123], v[100:107]
	ds_load_b128 v[76:79], v72 offset:6144
	ds_load_b128 v[80:83], v72 offset:7168
	v_and_b32_e32 v68, 0xe0, v0
	v_mbcnt_lo_u32_b32 v69, -1, 0
	s_waitcnt vmcnt(0) lgkmcnt(0)
	s_barrier
	buffer_gl0_inv
	v_add_nc_u32_e32 v68, s12, v68
	v_xor_b32_e32 v70, 16, v69
	s_delay_alu instid0(VALU_DEP_2) | instskip(NEXT) | instid1(VALU_DEP_2)
	v_or_b32_e32 v68, v68, v74
	v_cmp_gt_i32_e32 vcc_lo, 32, v70
	s_delay_alu instid0(VALU_DEP_2)
	v_or_b32_e32 v71, 4, v68
	v_or_b32_e32 v72, 6, v68
	v_cmp_gt_i32_e64 s2, s17, v68
	v_or_b32_e32 v108, 8, v68
	v_wmma_f32_16x16x16_bf16 v[124:131], v[84:91], v[76:83], v[124:131]
	v_cndmask_b32_e32 v69, v69, v70, vcc_lo
	v_or_b32_e32 v70, 2, v68
	v_wmma_f32_16x16x16_bf16 v[100:107], v[92:99], v[76:83], v[100:107]
	v_or_b32_e32 v109, 10, v68
	v_dual_mul_f32 v80, s18, v129 :: v_dual_mul_f32 v81, s18, v128
	v_dual_mul_f32 v92, s18, v125 :: v_dual_mul_f32 v93, s18, v124
	s_delay_alu instid0(VALU_DEP_4)
	v_mul_f32_e32 v96, s18, v105
	v_cmp_gt_i32_e32 vcc_lo, s17, v70
	v_or_b32_e32 v89, 22, v68
	v_dual_mul_f32 v79, s18, v130 :: v_dual_mul_f32 v82, s18, v127
	v_dual_mul_f32 v83, s18, v126 :: v_dual_mul_f32 v94, s18, v107
	v_cndmask_b32_e64 v93, 0xff7fffff, v93, s2
	v_cndmask_b32_e32 v92, 0xff7fffff, v92, vcc_lo
	v_cmp_gt_i32_e64 s3, s17, v71
	v_cmp_gt_i32_e64 s4, s17, v72
	v_or_b32_e32 v84, 12, v68
	v_or_b32_e32 v85, 14, v68
	v_cmp_gt_i32_e64 s5, s17, v108
	v_cndmask_b32_e64 v71, 0xff7fffff, v83, s3
	v_cndmask_b32_e64 v72, 0xff7fffff, v82, s4
	v_cmp_gt_i32_e64 s6, s17, v109
	v_cmp_gt_i32_e64 s12, s17, v89
	v_lshlrev_b32_e32 v89, 2, v69
	v_max3_f32 v82, v93, 0xff7fffff, v92
	v_or_b32_e32 v86, 16, v68
	v_or_b32_e32 v87, 18, v68
	v_mul_f32_e32 v78, s18, v131
	v_cndmask_b32_e64 v81, 0xff7fffff, v81, s5
	v_cndmask_b32_e64 v80, 0xff7fffff, v80, s6
	v_max3_f32 v71, v82, v71, v72
	v_cmp_gt_i32_e64 s7, s17, v84
	v_cmp_gt_i32_e64 s8, s17, v85
	v_or_b32_e32 v88, 20, v68
	v_or_b32_e32 v90, 24, v68
	;; [unrolled: 1-line block ×5, first 2 shown]
	v_dual_mul_f32 v97, s18, v104 :: v_dual_mul_f32 v70, s18, v101
	v_dual_mul_f32 v99, s18, v102 :: v_dual_mul_f32 v68, s18, v100
	v_cndmask_b32_e64 v72, 0xff7fffff, v79, s7
	v_cndmask_b32_e64 v78, 0xff7fffff, v78, s8
	v_max3_f32 v71, v71, v81, v80
	v_cmp_gt_i32_e64 s9, s17, v86
	v_cmp_gt_i32_e64 s10, s17, v87
	v_dual_mul_f32 v95, s18, v106 :: v_dual_mul_f32 v98, s18, v103
	s_delay_alu instid0(VALU_DEP_4) | instskip(NEXT) | instid1(VALU_DEP_4)
	v_max3_f32 v71, v71, v72, v78
	v_cndmask_b32_e64 v68, 0xff7fffff, v68, s9
	s_delay_alu instid0(VALU_DEP_4)
	v_cndmask_b32_e64 v70, 0xff7fffff, v70, s10
	v_cmp_gt_i32_e64 s11, s17, v88
	v_cndmask_b32_e64 v78, 0xff7fffff, v98, s12
	v_cmp_gt_i32_e64 s13, s17, v90
	v_cmp_gt_i32_e64 s15, s17, v91
	v_max3_f32 v68, v71, v68, v70
	v_cndmask_b32_e64 v72, 0xff7fffff, v99, s11
	v_cmp_gt_i32_e64 s16, s17, v76
	v_cndmask_b32_e64 v70, 0xff7fffff, v97, s13
	v_cndmask_b32_e64 v71, 0xff7fffff, v96, s15
	v_cmp_gt_i32_e64 s17, s17, v77
	v_max3_f32 v68, v68, v72, v78
	v_cndmask_b32_e64 v72, 0xff7fffff, v95, s16
	s_delay_alu instid0(VALU_DEP_3) | instskip(NEXT) | instid1(VALU_DEP_3)
	v_cndmask_b32_e64 v76, 0xff7fffff, v94, s17
	v_max3_f32 v68, v68, v70, v71
	s_delay_alu instid0(VALU_DEP_1) | instskip(SKIP_3) | instid1(VALU_DEP_1)
	v_max3_f32 v68, v68, v72, v76
	ds_bpermute_b32 v69, v89, v68
	s_waitcnt lgkmcnt(0)
	v_max_f32_e32 v69, v69, v69
	v_max_f32_e32 v68, v68, v69
	s_delay_alu instid0(VALU_DEP_1) | instskip(NEXT) | instid1(VALU_DEP_1)
	v_fma_f32 v71, s18, v126, -v68
	v_mul_f32_e32 v71, 0x3fb8aa3b, v71
	v_fma_f32 v70, s18, v125, -v68
	v_fma_f32 v69, s18, v124, -v68
	;; [unrolled: 1-line block ×5, first 2 shown]
	s_delay_alu instid0(VALU_DEP_4) | instskip(SKIP_1) | instid1(VALU_DEP_3)
	v_dual_mul_f32 v70, 0x3fb8aa3b, v70 :: v_dual_mul_f32 v69, 0x3fb8aa3b, v69
	v_exp_f32_e32 v71, v71
	v_mul_f32_e32 v72, 0x3fb8aa3b, v72
	v_fma_f32 v81, s18, v105, -v68
	s_delay_alu instid0(VALU_DEP_3)
	v_exp_f32_e32 v70, v70
	v_mul_f32_e32 v77, 0x3fb8aa3b, v76
	v_exp_f32_e32 v69, v69
	v_exp_f32_e32 v72, v72
	v_mul_f32_e32 v81, 0x3fb8aa3b, v81
	v_cndmask_b32_e64 v83, 0, v71, s3
	v_fma_f32 v71, s18, v131, -v68
	s_delay_alu instid0(VALU_DEP_3) | instskip(SKIP_4) | instid1(TRANS32_DEP_3)
	v_exp_f32_e32 v81, v81
	v_cndmask_b32_e32 v76, 0, v70, vcc_lo
	v_exp_f32_e32 v77, v77
	v_cndmask_b32_e64 v80, 0, v69, s2
	v_fma_f32 v69, s18, v129, -v68
	v_cndmask_b32_e64 v85, 0, v72, s4
	v_mul_f32_e32 v71, 0x3fb8aa3b, v71
	v_fma_f32 v72, s18, v100, -v68
	s_delay_alu instid0(VALU_DEP_4) | instskip(SKIP_1) | instid1(VALU_DEP_3)
	v_dual_add_f32 v70, 0, v80 :: v_dual_mul_f32 v69, 0x3fb8aa3b, v69
	s_mov_b32 s2, exec_lo
	v_exp_f32_e32 v71, v71
	s_delay_alu instid0(TRANS32_DEP_2) | instskip(SKIP_4) | instid1(VALU_DEP_3)
	v_cndmask_b32_e64 v86, 0, v77, s5
	v_fma_f32 v77, s18, v101, -v68
	v_mul_f32_e32 v78, 0x3fb8aa3b, v78
	v_add_f32_e32 v70, v70, v76
	v_exp_f32_e32 v69, v69
	v_mul_f32_e32 v77, 0x3fb8aa3b, v77
	s_delay_alu instid0(VALU_DEP_3) | instskip(NEXT) | instid1(TRANS32_DEP_3)
	v_exp_f32_e32 v78, v78
	v_cndmask_b32_e64 v88, 0, v71, s8
	v_fma_f32 v71, s18, v104, -v68
	s_delay_alu instid0(VALU_DEP_3) | instskip(NEXT) | instid1(TRANS32_DEP_3)
	v_exp_f32_e32 v77, v77
	v_cndmask_b32_e64 v87, 0, v69, s6
	s_delay_alu instid0(VALU_DEP_2)
	v_mul_f32_e32 v71, 0x3fb8aa3b, v71
	s_waitcnt_depctr 0xfff
	v_cndmask_b32_e64 v84, 0, v78, s7
	v_add_f32_e32 v70, v70, v83
	v_fma_f32 v78, s18, v103, -v68
	v_exp_f32_e32 v82, v71
	s_delay_alu instid0(VALU_DEP_2) | instskip(SKIP_1) | instid1(VALU_DEP_3)
	v_add_f32_e32 v70, v70, v85
	v_mul_f32_e32 v72, 0x3fb8aa3b, v72
	v_mul_f32_e32 v78, 0x3fb8aa3b, v78
	s_delay_alu instid0(VALU_DEP_3) | instskip(SKIP_1) | instid1(VALU_DEP_4)
	v_add_f32_e32 v69, v70, v86
	v_fma_f32 v70, s18, v102, -v68
	v_exp_f32_e32 v72, v72
	s_delay_alu instid0(VALU_DEP_3) | instskip(NEXT) | instid1(VALU_DEP_1)
	v_exp_f32_e32 v78, v78
	v_dual_add_f32 v69, v69, v87 :: v_dual_mul_f32 v70, 0x3fb8aa3b, v70
	s_delay_alu instid0(VALU_DEP_1) | instskip(NEXT) | instid1(VALU_DEP_2)
	v_add_f32_e32 v69, v69, v84
	v_exp_f32_e32 v79, v70
	s_delay_alu instid0(TRANS32_DEP_3) | instskip(NEXT) | instid1(VALU_DEP_2)
	v_cndmask_b32_e64 v70, 0, v72, s9
	v_add_f32_e32 v72, v69, v88
	v_cndmask_b32_e64 v69, 0, v77, s10
	v_fma_f32 v77, s18, v106, -v68
	s_waitcnt_depctr 0xfff
	v_cndmask_b32_e64 v71, 0, v79, s11
	v_dual_mul_f32 v77, 0x3fb8aa3b, v77 :: v_dual_add_f32 v72, v72, v70
	s_delay_alu instid0(VALU_DEP_1) | instskip(NEXT) | instid1(VALU_DEP_1)
	v_exp_f32_e32 v90, v77
	v_add_f32_e32 v79, v72, v69
	v_cndmask_b32_e64 v72, 0, v78, s12
	v_cndmask_b32_e64 v77, 0, v82, s13
	s_delay_alu instid0(VALU_DEP_3) | instskip(SKIP_1) | instid1(VALU_DEP_1)
	v_add_f32_e32 v78, v79, v71
	v_fma_f32 v79, s18, v107, -v68
	v_dual_add_f32 v82, v78, v72 :: v_dual_mul_f32 v79, 0x3fb8aa3b, v79
	v_cndmask_b32_e64 v78, 0, v81, s15
	s_delay_alu instid0(VALU_DEP_2) | instskip(NEXT) | instid1(VALU_DEP_3)
	v_add_f32_e32 v81, v82, v77
	v_exp_f32_e32 v82, v79
	v_cndmask_b32_e64 v79, 0, v90, s16
	s_delay_alu instid0(VALU_DEP_2) | instskip(NEXT) | instid1(VALU_DEP_1)
	v_add_f32_e32 v81, v81, v78
	v_add_f32_e32 v90, v81, v79
	s_waitcnt_depctr 0xfff
	v_cndmask_b32_e64 v81, 0, v82, s17
	s_delay_alu instid0(VALU_DEP_1)
	v_add_f32_e32 v82, v90, v81
	ds_bpermute_b32 v89, v89, v82
	v_cmpx_gt_u32_e32 16, v67
	s_cbranch_execz .LBB1825_12
; %bb.11:
	v_mul_u32_u24_e32 v67, 0x44, v65
	s_delay_alu instid0(VALU_DEP_1) | instskip(SKIP_1) | instid1(VALU_DEP_1)
	v_lshl_add_u32 v67, v66, 2, v67
	s_waitcnt lgkmcnt(0)
	v_dual_add_f32 v82, v82, v89 :: v_dual_add_nc_u32 v67, 0x4000, v67
	ds_store_2addr_b32 v67, v68, v82 offset1:136
.LBB1825_12:
	s_or_b32 exec_lo, exec_lo, s2
	v_lshlrev_b32_e32 v67, 2, v66
	s_waitcnt lgkmcnt(0)
	s_barrier
	buffer_gl0_inv
	v_cmp_eq_u32_e32 vcc_lo, 1, v65
	v_add_nc_u32_e32 v82, 0x4000, v67
	v_cmp_eq_u32_e64 s2, 2, v65
	v_cmp_eq_u32_e64 s4, 7, v65
	ds_load_2addr_b32 v[89:90], v82 offset1:17
	ds_load_2addr_b32 v[91:92], v82 offset0:34 offset1:51
	ds_load_2addr_b32 v[93:94], v82 offset0:68 offset1:85
	ds_load_2addr_b32 v[95:96], v82 offset0:102 offset1:119
	ds_load_2addr_b32 v[97:98], v82 offset0:136 offset1:153
	s_waitcnt lgkmcnt(4)
	v_max3_f32 v67, v89, 0xff7fffff, v90
	s_waitcnt lgkmcnt(3)
	s_delay_alu instid0(VALU_DEP_1) | instskip(SKIP_1) | instid1(VALU_DEP_1)
	v_max3_f32 v67, v67, v91, v92
	s_waitcnt lgkmcnt(2)
	v_max3_f32 v67, v67, v93, v94
	s_waitcnt lgkmcnt(1)
	s_delay_alu instid0(VALU_DEP_1) | instskip(NEXT) | instid1(VALU_DEP_1)
	v_max3_f32 v67, v67, v95, v96
	v_sub_f32_e32 v93, v93, v67
	s_delay_alu instid0(VALU_DEP_1) | instskip(NEXT) | instid1(VALU_DEP_1)
	v_dual_sub_f32 v68, v89, v67 :: v_dual_mul_f32 v103, 0x3fb8aa3b, v93
	v_mul_f32_e32 v68, 0x3fb8aa3b, v68
	s_delay_alu instid0(VALU_DEP_1)
	v_exp_f32_e32 v100, v68
	v_sub_f32_e32 v68, v92, v67
	v_sub_f32_e32 v99, v90, v67
	ds_load_2addr_b32 v[89:90], v82 offset0:170 offset1:187
	v_dual_mul_f32 v102, 0x3fb8aa3b, v68 :: v_dual_mul_f32 v99, 0x3fb8aa3b, v99
	s_waitcnt lgkmcnt(1)
	v_fma_f32 v68, v100, v97, 0
	s_delay_alu instid0(VALU_DEP_2) | instskip(NEXT) | instid1(VALU_DEP_2)
	v_exp_f32_e32 v102, v102
	v_exp_f32_e32 v99, v99
	s_waitcnt_depctr 0xfff
	v_fmac_f32_e32 v68, v99, v98
	v_sub_f32_e32 v91, v91, v67
	s_delay_alu instid0(VALU_DEP_1)
	v_mul_f32_e32 v101, 0x3fb8aa3b, v91
	ds_load_2addr_b32 v[91:92], v82 offset0:204 offset1:221
	v_sub_f32_e32 v97, v94, v67
	ds_load_2addr_b32 v[93:94], v82 offset0:238 offset1:255
	s_waitcnt lgkmcnt(0)
	v_exp_f32_e32 v101, v101
	s_barrier
	buffer_gl0_inv
	v_dual_fmac_f32 v68, v101, v89 :: v_dual_sub_f32 v89, v96, v67
	v_dual_sub_f32 v82, v95, v67 :: v_dual_mul_f32 v95, 0x3fb8aa3b, v97
	v_exp_f32_e32 v97, v103
	s_delay_alu instid0(VALU_DEP_2) | instskip(NEXT) | instid1(VALU_DEP_2)
	v_dual_fmac_f32 v68, v102, v90 :: v_dual_mul_f32 v89, 0x3fb8aa3b, v89
	v_mul_f32_e32 v82, 0x3fb8aa3b, v82
	s_delay_alu instid0(VALU_DEP_3) | instskip(NEXT) | instid1(VALU_DEP_2)
	v_exp_f32_e32 v95, v95
	v_exp_f32_e32 v89, v89
	s_delay_alu instid0(VALU_DEP_1)
	v_exp_f32_e32 v82, v82
	v_fmac_f32_e32 v68, v97, v91
	s_delay_alu instid0(TRANS32_DEP_3) | instid1(VALU_DEP_1)
	v_fmac_f32_e32 v68, v95, v92
	s_waitcnt_depctr 0xfff
	v_fmac_f32_e32 v68, v82, v93
	s_delay_alu instid0(VALU_DEP_1) | instskip(NEXT) | instid1(VALU_DEP_1)
	v_fmac_f32_e32 v68, v89, v94
	v_add_f32_e32 v90, 0x358637bd, v68
	s_delay_alu instid0(VALU_DEP_1) | instskip(NEXT) | instid1(VALU_DEP_1)
	v_div_scale_f32 v91, null, v90, v90, 1.0
	v_rcp_f32_e32 v92, v91
	s_waitcnt_depctr 0xfff
	v_fma_f32 v93, -v91, v92, 1.0
	s_delay_alu instid0(VALU_DEP_1) | instskip(SKIP_1) | instid1(VALU_DEP_2)
	v_dual_fmac_f32 v92, v93, v92 :: v_dual_cndmask_b32 v93, v100, v99
	v_cmp_eq_u32_e32 vcc_lo, 3, v65
	v_cndmask_b32_e64 v93, v93, v101, s2
	v_cmp_eq_u32_e64 s2, 4, v65
	s_delay_alu instid0(VALU_DEP_2) | instskip(SKIP_1) | instid1(VALU_DEP_2)
	v_cndmask_b32_e32 v93, v93, v102, vcc_lo
	v_cmp_eq_u32_e32 vcc_lo, 5, v65
	v_cndmask_b32_e64 v93, v93, v97, s2
	v_cmp_eq_u32_e64 s2, 6, v65
	s_delay_alu instid0(VALU_DEP_2) | instskip(SKIP_1) | instid1(VALU_DEP_1)
	v_cndmask_b32_e32 v93, v93, v95, vcc_lo
	v_div_scale_f32 v94, s3, 1.0, v90, 1.0
	s_mov_b32 vcc_lo, s3
	s_delay_alu instid0(VALU_DEP_2) | instskip(NEXT) | instid1(VALU_DEP_2)
	v_cndmask_b32_e64 v82, v93, v82, s2
	v_mul_f32_e32 v96, v94, v92
	s_mov_b32 s2, exec_lo
	s_delay_alu instid0(VALU_DEP_2) | instskip(NEXT) | instid1(VALU_DEP_2)
	v_cndmask_b32_e64 v82, v82, v89, s4
	v_fma_f32 v98, -v91, v96, v94
	s_delay_alu instid0(VALU_DEP_1) | instskip(NEXT) | instid1(VALU_DEP_1)
	v_fmac_f32_e32 v96, v98, v92
	v_fma_f32 v91, -v91, v96, v94
	s_delay_alu instid0(VALU_DEP_1) | instskip(NEXT) | instid1(VALU_DEP_1)
	v_div_fmas_f32 v91, v91, v92, v96
	v_div_fixup_f32 v90, v91, v90, 1.0
	s_delay_alu instid0(VALU_DEP_1) | instskip(NEXT) | instid1(VALU_DEP_1)
	v_mul_f32_e32 v82, v82, v90
	v_mul_f32_e32 v87, v82, v87
	;; [unrolled: 1-line block ×7, first 2 shown]
	v_dual_mul_f32 v86, v82, v83 :: v_dual_and_b32 v91, 0x7f800000, v90
	v_mul_f32_e32 v85, v82, v76
                                        ; implicit-def: $vgpr76
	s_delay_alu instid0(VALU_DEP_2)
	v_cmpx_ne_u32_e32 0x7f800000, v91
	s_xor_b32 s2, exec_lo, s2
; %bb.13:
	v_bfe_u32 v76, v90, 16, 1
	s_delay_alu instid0(VALU_DEP_1)
	v_add3_u32 v76, v90, v76, 0x7fff
                                        ; implicit-def: $vgpr90
; %bb.14:
	s_and_not1_saveexec_b32 s2, s2
; %bb.15:
	v_and_b32_e32 v76, 0xffff, v90
	v_or_b32_e32 v83, 0x10000, v90
	s_delay_alu instid0(VALU_DEP_2) | instskip(NEXT) | instid1(VALU_DEP_2)
	v_cmp_eq_u32_e32 vcc_lo, 0, v76
	v_cndmask_b32_e32 v76, v83, v90, vcc_lo
; %bb.16:
	s_or_b32 exec_lo, exec_lo, s2
	v_and_b32_e32 v83, 0x7f800000, v85
	s_delay_alu instid0(VALU_DEP_1) | instskip(SKIP_1) | instid1(SALU_CYCLE_1)
	v_cmp_ne_u32_e32 vcc_lo, 0x7f800000, v83
                                        ; implicit-def: $vgpr83
	s_and_saveexec_b32 s2, vcc_lo
	s_xor_b32 s2, exec_lo, s2
; %bb.17:
	v_bfe_u32 v83, v85, 16, 1
	s_delay_alu instid0(VALU_DEP_1)
	v_add3_u32 v83, v85, v83, 0x7fff
                                        ; implicit-def: $vgpr85
; %bb.18:
	s_and_not1_saveexec_b32 s2, s2
; %bb.19:
	v_and_b32_e32 v83, 0xffff, v85
	v_or_b32_e32 v90, 0x10000, v85
	s_delay_alu instid0(VALU_DEP_2) | instskip(NEXT) | instid1(VALU_DEP_2)
	v_cmp_eq_u32_e32 vcc_lo, 0, v83
	v_cndmask_b32_e32 v83, v90, v85, vcc_lo
; %bb.20:
	s_or_b32 exec_lo, exec_lo, s2
	v_and_b32_e32 v85, 0x7f800000, v86
	s_delay_alu instid0(VALU_DEP_1) | instskip(SKIP_1) | instid1(SALU_CYCLE_1)
	v_cmp_ne_u32_e32 vcc_lo, 0x7f800000, v85
                                        ; implicit-def: $vgpr85
	s_and_saveexec_b32 s2, vcc_lo
	s_xor_b32 s2, exec_lo, s2
; %bb.21:
	v_bfe_u32 v85, v86, 16, 1
	s_delay_alu instid0(VALU_DEP_1)
	v_add3_u32 v85, v86, v85, 0x7fff
                                        ; implicit-def: $vgpr86
; %bb.22:
	s_and_not1_saveexec_b32 s2, s2
; %bb.23:
	v_and_b32_e32 v85, 0xffff, v86
	v_or_b32_e32 v90, 0x10000, v86
	s_delay_alu instid0(VALU_DEP_2) | instskip(NEXT) | instid1(VALU_DEP_2)
	v_cmp_eq_u32_e32 vcc_lo, 0, v85
	v_cndmask_b32_e32 v85, v90, v86, vcc_lo
; %bb.24:
	s_or_b32 exec_lo, exec_lo, s2
	v_and_b32_e32 v86, 0x7f800000, v89
	s_delay_alu instid0(VALU_DEP_1) | instskip(SKIP_1) | instid1(SALU_CYCLE_1)
	v_cmp_ne_u32_e32 vcc_lo, 0x7f800000, v86
                                        ; implicit-def: $vgpr86
	s_and_saveexec_b32 s2, vcc_lo
	s_xor_b32 s2, exec_lo, s2
; %bb.25:
	v_bfe_u32 v86, v89, 16, 1
	s_delay_alu instid0(VALU_DEP_1)
	v_add3_u32 v86, v89, v86, 0x7fff
                                        ; implicit-def: $vgpr89
; %bb.26:
	s_and_not1_saveexec_b32 s2, s2
; %bb.27:
	v_and_b32_e32 v86, 0xffff, v89
	v_or_b32_e32 v90, 0x10000, v89
	s_delay_alu instid0(VALU_DEP_2) | instskip(NEXT) | instid1(VALU_DEP_2)
	v_cmp_eq_u32_e32 vcc_lo, 0, v86
	v_cndmask_b32_e32 v86, v90, v89, vcc_lo
; %bb.28:
	s_or_b32 exec_lo, exec_lo, s2
	v_and_b32_e32 v89, 0x7f800000, v88
	s_delay_alu instid0(VALU_DEP_1) | instskip(SKIP_1) | instid1(SALU_CYCLE_1)
	v_cmp_ne_u32_e32 vcc_lo, 0x7f800000, v89
                                        ; implicit-def: $vgpr89
	s_and_saveexec_b32 s2, vcc_lo
	s_xor_b32 s2, exec_lo, s2
; %bb.29:
	v_bfe_u32 v89, v88, 16, 1
	s_delay_alu instid0(VALU_DEP_1)
	v_add3_u32 v89, v88, v89, 0x7fff
                                        ; implicit-def: $vgpr88
; %bb.30:
	s_and_not1_saveexec_b32 s2, s2
; %bb.31:
	v_and_b32_e32 v89, 0xffff, v88
	v_or_b32_e32 v90, 0x10000, v88
	s_delay_alu instid0(VALU_DEP_2) | instskip(NEXT) | instid1(VALU_DEP_2)
	v_cmp_eq_u32_e32 vcc_lo, 0, v89
	v_cndmask_b32_e32 v89, v90, v88, vcc_lo
; %bb.32:
	s_or_b32 exec_lo, exec_lo, s2
	v_and_b32_e32 v88, 0x7f800000, v87
	s_delay_alu instid0(VALU_DEP_1) | instskip(SKIP_1) | instid1(SALU_CYCLE_1)
	v_cmp_ne_u32_e32 vcc_lo, 0x7f800000, v88
                                        ; implicit-def: $vgpr88
	s_and_saveexec_b32 s2, vcc_lo
	s_xor_b32 s2, exec_lo, s2
; %bb.33:
	v_bfe_u32 v88, v87, 16, 1
	s_delay_alu instid0(VALU_DEP_1)
	v_add3_u32 v88, v87, v88, 0x7fff
                                        ; implicit-def: $vgpr87
; %bb.34:
	s_and_not1_saveexec_b32 s2, s2
; %bb.35:
	v_and_b32_e32 v88, 0xffff, v87
	v_or_b32_e32 v90, 0x10000, v87
	s_delay_alu instid0(VALU_DEP_2) | instskip(NEXT) | instid1(VALU_DEP_2)
	v_cmp_eq_u32_e32 vcc_lo, 0, v88
	v_cndmask_b32_e32 v88, v90, v87, vcc_lo
; %bb.36:
	s_or_b32 exec_lo, exec_lo, s2
	v_and_b32_e32 v87, 0x7f800000, v84
	s_delay_alu instid0(VALU_DEP_1) | instskip(SKIP_1) | instid1(SALU_CYCLE_1)
	v_cmp_ne_u32_e32 vcc_lo, 0x7f800000, v87
                                        ; implicit-def: $vgpr87
	s_and_saveexec_b32 s2, vcc_lo
	s_xor_b32 s2, exec_lo, s2
; %bb.37:
	v_bfe_u32 v87, v84, 16, 1
	s_delay_alu instid0(VALU_DEP_1)
	v_add3_u32 v87, v84, v87, 0x7fff
                                        ; implicit-def: $vgpr84
; %bb.38:
	s_and_not1_saveexec_b32 s2, s2
; %bb.39:
	v_and_b32_e32 v87, 0xffff, v84
	v_or_b32_e32 v90, 0x10000, v84
	s_delay_alu instid0(VALU_DEP_2) | instskip(NEXT) | instid1(VALU_DEP_2)
	v_cmp_eq_u32_e32 vcc_lo, 0, v87
	v_cndmask_b32_e32 v87, v90, v84, vcc_lo
; %bb.40:
	s_or_b32 exec_lo, exec_lo, s2
	v_and_b32_e32 v84, 0x7f800000, v80
	s_delay_alu instid0(VALU_DEP_1) | instskip(SKIP_1) | instid1(SALU_CYCLE_1)
	v_cmp_ne_u32_e32 vcc_lo, 0x7f800000, v84
                                        ; implicit-def: $vgpr84
	s_and_saveexec_b32 s2, vcc_lo
	s_xor_b32 s2, exec_lo, s2
; %bb.41:
	v_bfe_u32 v84, v80, 16, 1
	s_delay_alu instid0(VALU_DEP_1)
	v_add3_u32 v84, v80, v84, 0x7fff
                                        ; implicit-def: $vgpr80
; %bb.42:
	s_and_not1_saveexec_b32 s2, s2
; %bb.43:
	v_and_b32_e32 v84, 0xffff, v80
	v_or_b32_e32 v90, 0x10000, v80
	s_delay_alu instid0(VALU_DEP_2) | instskip(NEXT) | instid1(VALU_DEP_2)
	v_cmp_eq_u32_e32 vcc_lo, 0, v84
	v_cndmask_b32_e32 v84, v90, v80, vcc_lo
; %bb.44:
	s_or_b32 exec_lo, exec_lo, s2
	s_load_b64 s[34:35], s[0:1], 0x94
	v_lshlrev_b32_e32 v91, 4, v74
	s_delay_alu instid0(VALU_DEP_2)
	v_perm_b32 v90, v84, v87, 0x7060302
	v_dual_mul_f32 v77, v82, v77 :: v_dual_lshlrev_b32 v80, 6, v66
	v_lshlrev_b32_e32 v66, 11, v65
	v_perm_b32 v87, v83, v76, 0x7060302
	v_mul_f32_e32 v83, v82, v70
	v_perm_b32 v89, v88, v89, 0x7060302
	v_perm_b32 v88, v86, v85, 0x7060302
	v_or3_b32 v76, v91, v66, v80
	v_mul_f32_e32 v66, v82, v81
	v_mul_f32_e32 v70, v82, v79
	;; [unrolled: 1-line block ×3, first 2 shown]
	v_dual_mul_f32 v81, v82, v72 :: v_dual_and_b32 v84, 0x7f800000, v83
	v_mul_f32_e32 v79, v82, v71
	v_mul_f32_e32 v72, v82, v69
	s_mov_b32 s2, exec_lo
	ds_store_b128 v76, v[87:90]
                                        ; implicit-def: $vgpr69
	v_cmpx_ne_u32_e32 0x7f800000, v84
	s_xor_b32 s2, exec_lo, s2
; %bb.45:
	v_bfe_u32 v69, v83, 16, 1
	s_delay_alu instid0(VALU_DEP_1)
	v_add3_u32 v69, v83, v69, 0x7fff
                                        ; implicit-def: $vgpr83
; %bb.46:
	s_and_not1_saveexec_b32 s2, s2
; %bb.47:
	v_and_b32_e32 v69, 0xffff, v83
	v_or_b32_e32 v71, 0x10000, v83
	s_delay_alu instid0(VALU_DEP_2) | instskip(NEXT) | instid1(VALU_DEP_2)
	v_cmp_eq_u32_e32 vcc_lo, 0, v69
	v_cndmask_b32_e32 v69, v71, v83, vcc_lo
; %bb.48:
	s_or_b32 exec_lo, exec_lo, s2
	v_and_b32_e32 v71, 0x7f800000, v72
	s_delay_alu instid0(VALU_DEP_1) | instskip(SKIP_1) | instid1(SALU_CYCLE_1)
	v_cmp_ne_u32_e32 vcc_lo, 0x7f800000, v71
                                        ; implicit-def: $vgpr71
	s_and_saveexec_b32 s2, vcc_lo
	s_xor_b32 s2, exec_lo, s2
; %bb.49:
	v_bfe_u32 v71, v72, 16, 1
	s_delay_alu instid0(VALU_DEP_1)
	v_add3_u32 v71, v72, v71, 0x7fff
                                        ; implicit-def: $vgpr72
; %bb.50:
	s_and_not1_saveexec_b32 s2, s2
; %bb.51:
	v_and_b32_e32 v71, 0xffff, v72
	v_or_b32_e32 v82, 0x10000, v72
	s_delay_alu instid0(VALU_DEP_2) | instskip(NEXT) | instid1(VALU_DEP_2)
	v_cmp_eq_u32_e32 vcc_lo, 0, v71
	v_cndmask_b32_e32 v71, v82, v72, vcc_lo
; %bb.52:
	s_or_b32 exec_lo, exec_lo, s2
	v_and_b32_e32 v72, 0x7f800000, v79
	s_delay_alu instid0(VALU_DEP_1) | instskip(SKIP_1) | instid1(SALU_CYCLE_1)
	v_cmp_ne_u32_e32 vcc_lo, 0x7f800000, v72
                                        ; implicit-def: $vgpr72
	s_and_saveexec_b32 s2, vcc_lo
	s_xor_b32 s2, exec_lo, s2
; %bb.53:
	v_bfe_u32 v72, v79, 16, 1
	s_delay_alu instid0(VALU_DEP_1)
	v_add3_u32 v72, v79, v72, 0x7fff
                                        ; implicit-def: $vgpr79
; %bb.54:
	s_and_not1_saveexec_b32 s2, s2
; %bb.55:
	v_and_b32_e32 v72, 0xffff, v79
	v_or_b32_e32 v82, 0x10000, v79
	s_delay_alu instid0(VALU_DEP_2) | instskip(NEXT) | instid1(VALU_DEP_2)
	v_cmp_eq_u32_e32 vcc_lo, 0, v72
	v_cndmask_b32_e32 v72, v82, v79, vcc_lo
; %bb.56:
	s_or_b32 exec_lo, exec_lo, s2
	v_and_b32_e32 v79, 0x7f800000, v81
	s_delay_alu instid0(VALU_DEP_1) | instskip(SKIP_1) | instid1(SALU_CYCLE_1)
	v_cmp_ne_u32_e32 vcc_lo, 0x7f800000, v79
                                        ; implicit-def: $vgpr79
	s_and_saveexec_b32 s2, vcc_lo
	s_xor_b32 s2, exec_lo, s2
; %bb.57:
	v_bfe_u32 v79, v81, 16, 1
	s_delay_alu instid0(VALU_DEP_1)
	v_add3_u32 v79, v81, v79, 0x7fff
                                        ; implicit-def: $vgpr81
; %bb.58:
	s_and_not1_saveexec_b32 s2, s2
; %bb.59:
	v_and_b32_e32 v79, 0xffff, v81
	v_or_b32_e32 v82, 0x10000, v81
	s_delay_alu instid0(VALU_DEP_2) | instskip(NEXT) | instid1(VALU_DEP_2)
	v_cmp_eq_u32_e32 vcc_lo, 0, v79
	v_cndmask_b32_e32 v79, v82, v81, vcc_lo
; %bb.60:
	s_or_b32 exec_lo, exec_lo, s2
	v_and_b32_e32 v81, 0x7f800000, v77
	s_delay_alu instid0(VALU_DEP_1) | instskip(SKIP_1) | instid1(SALU_CYCLE_1)
	v_cmp_ne_u32_e32 vcc_lo, 0x7f800000, v81
                                        ; implicit-def: $vgpr81
	s_and_saveexec_b32 s2, vcc_lo
	s_xor_b32 s2, exec_lo, s2
; %bb.61:
	v_bfe_u32 v81, v77, 16, 1
	s_delay_alu instid0(VALU_DEP_1)
	v_add3_u32 v81, v77, v81, 0x7fff
                                        ; implicit-def: $vgpr77
; %bb.62:
	s_and_not1_saveexec_b32 s2, s2
; %bb.63:
	v_and_b32_e32 v81, 0xffff, v77
	v_or_b32_e32 v82, 0x10000, v77
	s_delay_alu instid0(VALU_DEP_2) | instskip(NEXT) | instid1(VALU_DEP_2)
	v_cmp_eq_u32_e32 vcc_lo, 0, v81
	v_cndmask_b32_e32 v81, v82, v77, vcc_lo
; %bb.64:
	s_or_b32 exec_lo, exec_lo, s2
	v_and_b32_e32 v77, 0x7f800000, v78
	s_delay_alu instid0(VALU_DEP_1) | instskip(SKIP_1) | instid1(SALU_CYCLE_1)
	v_cmp_ne_u32_e32 vcc_lo, 0x7f800000, v77
                                        ; implicit-def: $vgpr77
	s_and_saveexec_b32 s2, vcc_lo
	s_xor_b32 s2, exec_lo, s2
; %bb.65:
	v_bfe_u32 v77, v78, 16, 1
	s_delay_alu instid0(VALU_DEP_1)
	v_add3_u32 v77, v78, v77, 0x7fff
                                        ; implicit-def: $vgpr78
; %bb.66:
	s_and_not1_saveexec_b32 s2, s2
; %bb.67:
	v_and_b32_e32 v77, 0xffff, v78
	v_or_b32_e32 v82, 0x10000, v78
	s_delay_alu instid0(VALU_DEP_2) | instskip(NEXT) | instid1(VALU_DEP_2)
	v_cmp_eq_u32_e32 vcc_lo, 0, v77
	v_cndmask_b32_e32 v77, v82, v78, vcc_lo
; %bb.68:
	s_or_b32 exec_lo, exec_lo, s2
	v_and_b32_e32 v78, 0x7f800000, v70
	s_delay_alu instid0(VALU_DEP_1) | instskip(SKIP_1) | instid1(SALU_CYCLE_1)
	v_cmp_ne_u32_e32 vcc_lo, 0x7f800000, v78
                                        ; implicit-def: $vgpr78
	s_and_saveexec_b32 s2, vcc_lo
	s_xor_b32 s2, exec_lo, s2
; %bb.69:
	v_bfe_u32 v78, v70, 16, 1
	s_delay_alu instid0(VALU_DEP_1)
	v_add3_u32 v78, v70, v78, 0x7fff
                                        ; implicit-def: $vgpr70
; %bb.70:
	s_and_not1_saveexec_b32 s2, s2
; %bb.71:
	v_and_b32_e32 v78, 0xffff, v70
	v_or_b32_e32 v82, 0x10000, v70
	s_delay_alu instid0(VALU_DEP_2) | instskip(NEXT) | instid1(VALU_DEP_2)
	v_cmp_eq_u32_e32 vcc_lo, 0, v78
	v_cndmask_b32_e32 v78, v82, v70, vcc_lo
; %bb.72:
	s_or_b32 exec_lo, exec_lo, s2
	v_and_b32_e32 v70, 0x7f800000, v66
	s_delay_alu instid0(VALU_DEP_1) | instskip(SKIP_1) | instid1(SALU_CYCLE_1)
	v_cmp_ne_u32_e32 vcc_lo, 0x7f800000, v70
                                        ; implicit-def: $vgpr70
	s_and_saveexec_b32 s2, vcc_lo
	s_xor_b32 s2, exec_lo, s2
; %bb.73:
	v_bfe_u32 v70, v66, 16, 1
	s_delay_alu instid0(VALU_DEP_1)
	v_add3_u32 v70, v66, v70, 0x7fff
                                        ; implicit-def: $vgpr66
; %bb.74:
	s_and_not1_saveexec_b32 s2, s2
; %bb.75:
	v_and_b32_e32 v70, 0xffff, v66
	v_or_b32_e32 v82, 0x10000, v66
	s_delay_alu instid0(VALU_DEP_2) | instskip(NEXT) | instid1(VALU_DEP_2)
	v_cmp_eq_u32_e32 vcc_lo, 0, v70
	v_cndmask_b32_e32 v70, v82, v66, vcc_lo
; %bb.76:
	s_or_b32 exec_lo, exec_lo, s2
	s_delay_alu instid0(VALU_DEP_1)
	v_perm_b32 v86, v70, v78, 0x7060302
	v_perm_b32 v85, v77, v81, 0x7060302
	;; [unrolled: 1-line block ×4, first 2 shown]
	v_lshl_or_b32 v82, v65, 11, v80
	ds_store_b128 v76, v[83:86] offset:1024
	s_waitcnt lgkmcnt(0)
	s_barrier
	buffer_gl0_inv
	ds_load_b128 v[69:72], v82
	ds_load_b128 v[83:86], v82 offset:16
	s_waitcnt lgkmcnt(1)
	v_lshrrev_b32_e32 v65, 16, v69
	v_lshlrev_b32_e32 v78, 2, v74
	s_waitcnt lgkmcnt(0)
	v_lshrrev_b32_e32 v91, 16, v83
	v_lshrrev_b32_e32 v66, 16, v70
	;; [unrolled: 1-line block ×4, first 2 shown]
	v_cmp_eq_u32_e32 vcc_lo, 1, v78
	v_lshrrev_b32_e32 v98, 16, v85
	v_lshrrev_b32_e32 v96, 16, v72
	;; [unrolled: 1-line block ×3, first 2 shown]
	v_cndmask_b32_e32 v81, v69, v65, vcc_lo
	v_or_b32_e32 v79, 1, v78
	v_cmp_eq_u32_e64 s3, 2, v78
	v_cndmask_b32_e32 v87, v83, v91, vcc_lo
	v_cmp_eq_u32_e64 s6, 3, v78
	v_cmp_eq_u32_e64 s8, 4, v78
	;; [unrolled: 1-line block ×3, first 2 shown]
	v_cndmask_b32_e64 v81, v81, v70, s3
	v_cmp_eq_u32_e64 s5, 2, v79
	v_cndmask_b32_e64 v87, v87, v84, s3
	v_cmp_eq_u32_e64 s7, 3, v79
	v_cndmask_b32_e64 v88, v69, v65, s2
	v_cndmask_b32_e64 v81, v81, v66, s6
	v_or_b32_e32 v77, 2, v78
	v_cndmask_b32_e64 v87, v87, v97, s6
	v_cndmask_b32_e64 v89, v83, v91, s2
	;; [unrolled: 1-line block ×4, first 2 shown]
	v_cmp_eq_u32_e64 s9, 5, v78
	v_cndmask_b32_e64 v87, v87, v85, s8
	v_cmp_eq_u32_e64 s10, 4, v79
	v_cndmask_b32_e64 v88, v88, v66, s7
	;; [unrolled: 2-line block ×3, first 2 shown]
	v_cndmask_b32_e64 v81, v81, v95, s9
	v_cmp_eq_u32_e64 s11, 6, v78
	v_cndmask_b32_e64 v88, v88, v71, s10
	v_cndmask_b32_e64 v87, v87, v98, s9
	v_cmp_eq_u32_e64 s12, 5, v79
	v_cndmask_b32_e64 v90, v69, v65, s4
	v_cndmask_b32_e64 v89, v89, v97, s7
	;; [unrolled: 1-line block ×3, first 2 shown]
	v_cmp_eq_u32_e64 s13, 7, v78
	v_cndmask_b32_e64 v88, v88, v95, s12
	v_cndmask_b32_e64 v87, v87, v86, s11
	v_cmp_eq_u32_e64 s15, 6, v79
	v_cmp_eq_u32_e64 s16, 2, v77
	v_cndmask_b32_e64 v89, v89, v85, s10
	v_cndmask_b32_e64 v100, v81, v96, s13
	;; [unrolled: 1-line block ×6, first 2 shown]
	v_cmp_eq_u32_e64 s17, 7, v79
	v_cmp_eq_u32_e64 s18, 3, v77
	;; [unrolled: 1-line block ×4, first 2 shown]
	v_cndmask_b32_e64 v87, v87, v84, s16
	v_cndmask_b32_e64 v102, v88, v96, s17
	;; [unrolled: 1-line block ×4, first 2 shown]
	v_or_b32_e32 v81, 3, v78
	v_cndmask_b32_e64 v93, v87, v97, s18
	v_cmp_eq_u32_e64 s23, 6, v77
	v_cndmask_b32_e64 v103, v88, v86, s15
	v_cndmask_b32_e64 v92, v89, v71, s19
	v_cmp_eq_u32_e64 s20, 1, v81
	ds_load_b128 v[87:90], v82 offset:1024
	v_cmp_eq_u32_e64 s22, 2, v81
	v_cmp_eq_u32_e64 s24, 3, v81
	v_cndmask_b32_e64 v104, v92, v95, s21
	v_cndmask_b32_e64 v65, v69, v65, s20
	;; [unrolled: 1-line block ×4, first 2 shown]
	ds_load_b128 v[91:94], v82 offset:1040
	v_cmp_eq_u32_e64 s25, 4, v81
	v_cndmask_b32_e64 v65, v65, v70, s22
	v_cmp_eq_u32_e64 s27, 5, v81
	v_cndmask_b32_e64 v70, v83, v84, s22
	;; [unrolled: 2-line block ×3, first 2 shown]
	v_cndmask_b32_e64 v65, v65, v66, s24
	v_cndmask_b32_e64 v66, v104, v72, s23
	;; [unrolled: 1-line block ×3, first 2 shown]
	v_cmp_eq_u32_e64 s26, 7, v77
	v_cndmask_b32_e64 v69, v69, v86, s23
	v_cndmask_b32_e64 v65, v65, v71, s25
	s_waitcnt lgkmcnt(1)
	v_lshrrev_b32_e32 v84, 16, v87
	v_cndmask_b32_e64 v70, v70, v85, s25
	v_cndmask_b32_e64 v83, v103, v99, s17
	;; [unrolled: 1-line block ×4, first 2 shown]
	v_lshrrev_b32_e32 v95, 16, v88
	v_cndmask_b32_e64 v70, v70, v98, s27
	s_waitcnt lgkmcnt(0)
	v_lshrrev_b32_e32 v85, 16, v91
	v_cndmask_b32_e64 v97, v87, v84, s2
	v_cndmask_b32_e64 v65, v65, v72, s28
	;; [unrolled: 1-line block ×4, first 2 shown]
	v_cndmask_b32_e32 v71, v87, v84, vcc_lo
	v_cndmask_b32_e32 v98, v91, v85, vcc_lo
	v_cmp_eq_u32_e32 vcc_lo, 7, v81
	v_cndmask_b32_e64 v72, v97, v88, s5
	v_lshrrev_b32_e32 v97, 16, v92
	v_lshrrev_b32_e32 v103, 16, v90
	v_dual_cndmask_b32 v65, v65, v96 :: v_dual_cndmask_b32 v70, v70, v99
	v_cndmask_b32_e64 v71, v71, v88, s3
	v_cndmask_b32_e64 v86, v98, v92, s3
	;; [unrolled: 1-line block ×3, first 2 shown]
	v_lshrrev_b32_e32 v98, 16, v89
	v_lshrrev_b32_e32 v99, 16, v93
	v_cndmask_b32_e64 v71, v71, v95, s6
	v_cndmask_b32_e64 v86, v86, v97, s6
	v_cndmask_b32_e64 v96, v72, v89, s10
	v_perm_b32 v72, v70, v65, 0x5040100
	v_perm_b32 v70, v83, v102, 0x5040100
	v_cndmask_b32_e64 v71, v71, v89, s8
	v_cndmask_b32_e64 v86, v86, v93, s8
	;; [unrolled: 1-line block ×3, first 2 shown]
	v_lshrrev_b32_e32 v83, 16, v94
	s_delay_alu instid0(VALU_DEP_4) | instskip(NEXT) | instid1(VALU_DEP_4)
	v_cndmask_b32_e64 v71, v71, v98, s9
	v_cndmask_b32_e64 v86, v86, v99, s9
	s_delay_alu instid0(VALU_DEP_4) | instskip(NEXT) | instid1(VALU_DEP_3)
	v_cndmask_b32_e64 v65, v65, v90, s15
	v_cndmask_b32_e64 v96, v71, v90, s11
	v_perm_b32 v71, v69, v66, 0x5040100
	s_delay_alu instid0(VALU_DEP_4)
	v_cndmask_b32_e64 v69, v86, v94, s11
	v_cndmask_b32_e64 v86, v87, v84, s4
	;; [unrolled: 1-line block ×34, first 2 shown]
	v_cndmask_b32_e32 v84, v84, v103, vcc_lo
	v_cndmask_b32_e32 v86, v87, v83, vcc_lo
	v_cndmask_b32_e64 v87, v88, v83, s26
	v_cndmask_b32_e64 v88, v85, v83, s17
	;; [unrolled: 1-line block ×3, first 2 shown]
	v_perm_b32 v69, v101, v100, 0x5040100
	v_perm_b32 v86, v86, v84, 0x5040100
	;; [unrolled: 1-line block ×5, first 2 shown]
	s_lshl_b32 s7, s35, 2
	s_mov_b32 s2, exec_lo
	ds_store_b128 v76, v[69:72]
	ds_store_b128 v76, v[83:86] offset:1024
	v_cmpx_gt_u32_e32 4, v0
	s_cbranch_execz .LBB1825_78
; %bb.77:
	v_or_b32_e32 v65, s29, v0
	s_load_b128 s[8:11], s[0:1], 0x58
	s_delay_alu instid0(VALU_DEP_1) | instskip(NEXT) | instid1(VALU_DEP_1)
	v_mad_u64_u32 v[69:70], null, s7, s30, v[65:66]
	v_mad_u64_u32 v[65:66], null, v69, s34, s[14:15]
	s_delay_alu instid0(VALU_DEP_1) | instskip(NEXT) | instid1(VALU_DEP_1)
	v_ashrrev_i32_e32 v66, 31, v65
	v_lshlrev_b64 v[65:66], 2, v[65:66]
	s_waitcnt lgkmcnt(0)
	s_delay_alu instid0(VALU_DEP_1) | instskip(NEXT) | instid1(VALU_DEP_2)
	v_add_co_u32 v69, vcc_lo, s10, v65
	v_add_co_ci_u32_e32 v70, vcc_lo, s11, v66, vcc_lo
	v_add_co_u32 v65, vcc_lo, s8, v65
	v_add_co_ci_u32_e32 v66, vcc_lo, s9, v66, vcc_lo
	global_store_b32 v[69:70], v67, off
	global_store_b32 v[65:66], v68, off
.LBB1825_78:
	s_or_b32 exec_lo, exec_lo, s2
	s_waitcnt lgkmcnt(0)
	s_waitcnt_vscnt null, 0x0
	s_barrier
	buffer_gl0_inv
	ds_load_b128 v[83:86], v80
	ds_load_b128 v[87:90], v80 offset:16
	ds_load_b128 v[95:98], v80 offset:2064
	;; [unrolled: 1-line block ×3, first 2 shown]
	v_mov_b32_e32 v65, 0
	ds_load_b128 v[103:106], v80 offset:4112
	ds_load_b128 v[99:102], v80 offset:4096
	;; [unrolled: 1-line block ×4, first 2 shown]
	v_mov_b32_e32 v66, v65
	v_mov_b32_e32 v67, v65
	;; [unrolled: 1-line block ×7, first 2 shown]
	s_waitcnt lgkmcnt(6)
	s_delay_alu instid0(VALU_DEP_1)
	v_wmma_f32_16x16x16_bf16 v[65:72], v[49:56], v[83:90], v[65:72]
	ds_load_b128 v[53:56], v80 offset:8208
	ds_load_b128 v[49:52], v80 offset:8192
	s_waitcnt lgkmcnt(6)
	v_wmma_f32_16x16x16_bf16 v[65:72], v[41:48], v[91:98], v[65:72]
	ds_load_b128 v[45:48], v80 offset:10256
	ds_load_b128 v[41:44], v80 offset:10240
	s_waitcnt lgkmcnt(6)
	;; [unrolled: 4-line block ×4, first 2 shown]
	v_wmma_f32_16x16x16_bf16 v[65:72], v[1:8], v[49:56], v[65:72]
	s_waitcnt lgkmcnt(4)
	s_delay_alu instid0(VALU_DEP_1) | instskip(SKIP_1) | instid1(VALU_DEP_1)
	v_wmma_f32_16x16x16_bf16 v[65:72], v[9:16], v[41:48], v[65:72]
	s_waitcnt lgkmcnt(2)
	v_wmma_f32_16x16x16_bf16 v[65:72], v[17:24], v[33:40], v[65:72]
	s_waitcnt lgkmcnt(0)
	s_delay_alu instid0(VALU_DEP_1) | instskip(NEXT) | instid1(VALU_DEP_1)
	v_wmma_f32_16x16x16_bf16 v[65:72], v[57:64], v[25:32], v[65:72]
	v_and_b32_e32 v1, 0x7f800000, v65
	s_delay_alu instid0(VALU_DEP_1) | instskip(SKIP_1) | instid1(SALU_CYCLE_1)
	v_cmp_ne_u32_e32 vcc_lo, 0x7f800000, v1
                                        ; implicit-def: $vgpr1
	s_and_saveexec_b32 s2, vcc_lo
	s_xor_b32 s2, exec_lo, s2
; %bb.79:
	v_bfe_u32 v1, v65, 16, 1
	s_delay_alu instid0(VALU_DEP_1)
	v_add3_u32 v1, v65, v1, 0x7fff
; %bb.80:
	s_and_not1_saveexec_b32 s2, s2
; %bb.81:
	v_and_b32_e32 v1, 0xffff, v65
	v_or_b32_e32 v2, 0x10000, v65
	s_delay_alu instid0(VALU_DEP_2) | instskip(NEXT) | instid1(VALU_DEP_2)
	v_cmp_eq_u32_e32 vcc_lo, 0, v1
	v_cndmask_b32_e32 v1, v2, v65, vcc_lo
; %bb.82:
	s_or_b32 exec_lo, exec_lo, s2
	v_and_b32_e32 v2, 0x7f800000, v66
	s_delay_alu instid0(VALU_DEP_1) | instskip(SKIP_1) | instid1(SALU_CYCLE_1)
	v_cmp_ne_u32_e32 vcc_lo, 0x7f800000, v2
                                        ; implicit-def: $vgpr2
	s_and_saveexec_b32 s2, vcc_lo
	s_xor_b32 s2, exec_lo, s2
; %bb.83:
	v_bfe_u32 v2, v66, 16, 1
	s_delay_alu instid0(VALU_DEP_1)
	v_add3_u32 v2, v66, v2, 0x7fff
; %bb.84:
	s_and_not1_saveexec_b32 s2, s2
; %bb.85:
	v_and_b32_e32 v2, 0xffff, v66
	v_or_b32_e32 v3, 0x10000, v66
	s_delay_alu instid0(VALU_DEP_2) | instskip(NEXT) | instid1(VALU_DEP_2)
	v_cmp_eq_u32_e32 vcc_lo, 0, v2
	v_cndmask_b32_e32 v2, v3, v66, vcc_lo
; %bb.86:
	s_or_b32 exec_lo, exec_lo, s2
	v_and_b32_e32 v3, 0x7f800000, v67
	s_delay_alu instid0(VALU_DEP_1) | instskip(SKIP_1) | instid1(SALU_CYCLE_1)
	v_cmp_ne_u32_e32 vcc_lo, 0x7f800000, v3
                                        ; implicit-def: $vgpr3
	s_and_saveexec_b32 s2, vcc_lo
	s_xor_b32 s2, exec_lo, s2
; %bb.87:
	v_bfe_u32 v3, v67, 16, 1
	s_delay_alu instid0(VALU_DEP_1)
	v_add3_u32 v3, v67, v3, 0x7fff
; %bb.88:
	s_and_not1_saveexec_b32 s2, s2
; %bb.89:
	v_and_b32_e32 v3, 0xffff, v67
	v_or_b32_e32 v4, 0x10000, v67
	s_delay_alu instid0(VALU_DEP_2) | instskip(NEXT) | instid1(VALU_DEP_2)
	v_cmp_eq_u32_e32 vcc_lo, 0, v3
	v_cndmask_b32_e32 v3, v4, v67, vcc_lo
; %bb.90:
	s_or_b32 exec_lo, exec_lo, s2
	v_and_b32_e32 v4, 0x7f800000, v68
	s_delay_alu instid0(VALU_DEP_1) | instskip(SKIP_1) | instid1(SALU_CYCLE_1)
	v_cmp_ne_u32_e32 vcc_lo, 0x7f800000, v4
                                        ; implicit-def: $vgpr4
	s_and_saveexec_b32 s2, vcc_lo
	s_xor_b32 s2, exec_lo, s2
; %bb.91:
	v_bfe_u32 v4, v68, 16, 1
	s_delay_alu instid0(VALU_DEP_1)
	v_add3_u32 v4, v68, v4, 0x7fff
; %bb.92:
	s_and_not1_saveexec_b32 s2, s2
; %bb.93:
	v_and_b32_e32 v4, 0xffff, v68
	v_or_b32_e32 v5, 0x10000, v68
	s_delay_alu instid0(VALU_DEP_2) | instskip(NEXT) | instid1(VALU_DEP_2)
	v_cmp_eq_u32_e32 vcc_lo, 0, v4
	v_cndmask_b32_e32 v4, v5, v68, vcc_lo
; %bb.94:
	s_or_b32 exec_lo, exec_lo, s2
	v_and_b32_e32 v5, 0x7f800000, v69
	s_delay_alu instid0(VALU_DEP_1) | instskip(SKIP_1) | instid1(SALU_CYCLE_1)
	v_cmp_ne_u32_e32 vcc_lo, 0x7f800000, v5
                                        ; implicit-def: $vgpr5
	s_and_saveexec_b32 s2, vcc_lo
	s_xor_b32 s2, exec_lo, s2
; %bb.95:
	v_bfe_u32 v5, v69, 16, 1
	s_delay_alu instid0(VALU_DEP_1)
	v_add3_u32 v5, v69, v5, 0x7fff
; %bb.96:
	s_and_not1_saveexec_b32 s2, s2
; %bb.97:
	v_and_b32_e32 v5, 0xffff, v69
	v_or_b32_e32 v6, 0x10000, v69
	s_delay_alu instid0(VALU_DEP_2) | instskip(NEXT) | instid1(VALU_DEP_2)
	v_cmp_eq_u32_e32 vcc_lo, 0, v5
	v_cndmask_b32_e32 v5, v6, v69, vcc_lo
; %bb.98:
	s_or_b32 exec_lo, exec_lo, s2
	v_and_b32_e32 v6, 0x7f800000, v70
	s_delay_alu instid0(VALU_DEP_1) | instskip(SKIP_1) | instid1(SALU_CYCLE_1)
	v_cmp_ne_u32_e32 vcc_lo, 0x7f800000, v6
                                        ; implicit-def: $vgpr6
	s_and_saveexec_b32 s2, vcc_lo
	s_xor_b32 s2, exec_lo, s2
; %bb.99:
	v_bfe_u32 v6, v70, 16, 1
	s_delay_alu instid0(VALU_DEP_1)
	v_add3_u32 v6, v70, v6, 0x7fff
; %bb.100:
	s_and_not1_saveexec_b32 s2, s2
; %bb.101:
	v_and_b32_e32 v6, 0xffff, v70
	v_or_b32_e32 v7, 0x10000, v70
	s_delay_alu instid0(VALU_DEP_2) | instskip(NEXT) | instid1(VALU_DEP_2)
	v_cmp_eq_u32_e32 vcc_lo, 0, v6
	v_cndmask_b32_e32 v6, v7, v70, vcc_lo
; %bb.102:
	s_or_b32 exec_lo, exec_lo, s2
	v_and_b32_e32 v7, 0x7f800000, v71
	s_delay_alu instid0(VALU_DEP_1) | instskip(SKIP_1) | instid1(SALU_CYCLE_1)
	v_cmp_ne_u32_e32 vcc_lo, 0x7f800000, v7
                                        ; implicit-def: $vgpr7
	s_and_saveexec_b32 s2, vcc_lo
	s_xor_b32 s2, exec_lo, s2
; %bb.103:
	v_bfe_u32 v7, v71, 16, 1
	s_delay_alu instid0(VALU_DEP_1)
	v_add3_u32 v7, v71, v7, 0x7fff
; %bb.104:
	s_and_not1_saveexec_b32 s2, s2
; %bb.105:
	v_and_b32_e32 v7, 0xffff, v71
	v_or_b32_e32 v8, 0x10000, v71
	s_delay_alu instid0(VALU_DEP_2) | instskip(NEXT) | instid1(VALU_DEP_2)
	v_cmp_eq_u32_e32 vcc_lo, 0, v7
	v_cndmask_b32_e32 v7, v8, v71, vcc_lo
; %bb.106:
	s_or_b32 exec_lo, exec_lo, s2
	v_and_b32_e32 v8, 0x7f800000, v72
	s_delay_alu instid0(VALU_DEP_1) | instskip(SKIP_1) | instid1(SALU_CYCLE_1)
	v_cmp_ne_u32_e32 vcc_lo, 0x7f800000, v8
                                        ; implicit-def: $vgpr8
	s_and_saveexec_b32 s2, vcc_lo
	s_xor_b32 s2, exec_lo, s2
; %bb.107:
	v_bfe_u32 v8, v72, 16, 1
	s_delay_alu instid0(VALU_DEP_1)
	v_add3_u32 v8, v72, v8, 0x7fff
                                        ; implicit-def: $vgpr65_vgpr66_vgpr67_vgpr68_vgpr69_vgpr70_vgpr71_vgpr72
; %bb.108:
	s_and_not1_saveexec_b32 s2, s2
; %bb.109:
	v_and_b32_e32 v8, 0xffff, v72
	v_or_b32_e32 v9, 0x10000, v72
	s_delay_alu instid0(VALU_DEP_2) | instskip(NEXT) | instid1(VALU_DEP_2)
	v_cmp_eq_u32_e32 vcc_lo, 0, v8
	v_cndmask_b32_e32 v8, v9, v72, vcc_lo
; %bb.110:
	s_or_b32 exec_lo, exec_lo, s2
	s_delay_alu instid0(VALU_DEP_1)
	v_perm_b32 v7, v8, v7, 0x7060302
	v_perm_b32 v6, v6, v5, 0x7060302
	;; [unrolled: 1-line block ×4, first 2 shown]
	s_barrier
	buffer_gl0_inv
	v_cmp_eq_u32_e32 vcc_lo, 1, v78
	ds_store_b128 v76, v[4:7]
	s_waitcnt lgkmcnt(0)
	s_barrier
	buffer_gl0_inv
	ds_load_b128 v[1:4], v82
	ds_load_b128 v[5:8], v82 offset:16
	v_cmp_eq_u32_e64 s2, 1, v79
	v_cmp_eq_u32_e64 s3, 2, v78
	;; [unrolled: 1-line block ×5, first 2 shown]
	s_waitcnt lgkmcnt(1)
	v_lshrrev_b32_e32 v9, 16, v1
	s_waitcnt lgkmcnt(0)
	v_lshrrev_b32_e32 v13, 16, v5
	v_lshrrev_b32_e32 v10, 16, v2
	;; [unrolled: 1-line block ×4, first 2 shown]
	v_cndmask_b32_e64 v19, v1, v9, s2
	v_cndmask_b32_e32 v18, v5, v13, vcc_lo
	v_cndmask_b32_e64 v20, v5, v13, s2
	v_cndmask_b32_e32 v17, v1, v9, vcc_lo
	v_cmp_eq_u32_e32 vcc_lo, 2, v79
	v_lshrrev_b32_e32 v15, 16, v7
	v_cmp_eq_u32_e64 s2, 1, v77
	v_lshrrev_b32_e32 v12, 16, v4
	v_lshrrev_b32_e32 v16, 16, v8
	v_cndmask_b32_e32 v20, v20, v6, vcc_lo
	v_cndmask_b32_e64 v17, v17, v2, s3
	v_cndmask_b32_e32 v19, v19, v2, vcc_lo
	v_cndmask_b32_e64 v18, v18, v6, s3
	v_cmp_eq_u32_e32 vcc_lo, 4, v78
	v_cmp_eq_u32_e64 s3, 3, v79
	v_cndmask_b32_e64 v17, v17, v10, s4
	v_cndmask_b32_e64 v21, v1, v9, s2
	;; [unrolled: 1-line block ×5, first 2 shown]
	v_cndmask_b32_e32 v17, v17, v3, vcc_lo
	v_cndmask_b32_e64 v20, v20, v14, s3
	v_cndmask_b32_e32 v18, v18, v7, vcc_lo
	v_cmp_eq_u32_e32 vcc_lo, 4, v79
	v_cmp_eq_u32_e64 s3, 5, v79
	v_cmp_eq_u32_e64 s2, 2, v81
	v_cndmask_b32_e64 v21, v21, v2, s6
	v_cmp_eq_u32_e64 s4, 5, v78
	v_cndmask_b32_e32 v19, v19, v3, vcc_lo
	v_cndmask_b32_e32 v20, v20, v7, vcc_lo
	v_cmp_eq_u32_e32 vcc_lo, 6, v79
	s_delay_alu instid0(VALU_DEP_4) | instskip(NEXT) | instid1(VALU_DEP_4)
	v_cndmask_b32_e64 v17, v17, v11, s4
	v_cndmask_b32_e64 v19, v19, v11, s3
	s_delay_alu instid0(VALU_DEP_4) | instskip(SKIP_1) | instid1(VALU_DEP_3)
	v_cndmask_b32_e64 v20, v20, v15, s3
	v_cmp_eq_u32_e64 s3, 1, v81
	v_cndmask_b32_e32 v19, v19, v4, vcc_lo
	v_cndmask_b32_e64 v18, v18, v15, s4
	s_delay_alu instid0(VALU_DEP_3)
	v_cndmask_b32_e64 v1, v1, v9, s3
	v_cndmask_b32_e64 v5, v5, v13, s3
	v_cmp_eq_u32_e64 s3, 3, v77
	v_cndmask_b32_e64 v13, v22, v6, s6
	v_cmp_eq_u32_e64 s6, 3, v81
	v_cndmask_b32_e64 v1, v1, v2, s2
	v_cndmask_b32_e64 v2, v5, v6, s2
	;; [unrolled: 1-line block ×3, first 2 shown]
	v_cmp_eq_u32_e64 s2, 4, v77
	v_cndmask_b32_e64 v6, v13, v14, s3
	v_cndmask_b32_e64 v1, v1, v10, s6
	v_cmp_eq_u32_e64 s3, 4, v81
	v_cndmask_b32_e64 v2, v2, v14, s6
	v_cndmask_b32_e64 v5, v9, v3, s2
	;; [unrolled: 3-line block ×3, first 2 shown]
	v_cndmask_b32_e64 v2, v2, v7, s3
	v_cmp_eq_u32_e64 s2, 5, v81
	v_cmp_eq_u32_e64 s4, 6, v78
	v_cndmask_b32_e64 v5, v5, v11, s6
	v_cmp_eq_u32_e64 s3, 6, v77
	v_cndmask_b32_e64 v3, v6, v15, s6
	v_cndmask_b32_e64 v1, v1, v11, s2
	v_cmp_eq_u32_e64 s6, 6, v81
	v_cndmask_b32_e64 v2, v2, v15, s2
	v_cndmask_b32_e64 v17, v17, v4, s4
	v_cndmask_b32_e64 v18, v18, v8, s4
	v_cmp_eq_u32_e64 s4, 7, v78
	v_cndmask_b32_e64 v5, v5, v4, s3
	;; [unrolled: 4-line block ×3, first 2 shown]
	v_cmp_eq_u32_e64 s3, 7, v77
	v_cndmask_b32_e32 v4, v20, v8, vcc_lo
	v_cndmask_b32_e64 v17, v17, v12, s4
	v_cndmask_b32_e64 v19, v19, v12, s5
	;; [unrolled: 1-line block ×8, first 2 shown]
	s_mov_b32 s2, exec_lo
	v_perm_b32 v4, v2, v1, 0x5040100
	v_perm_b32 v3, v3, v5, 0x5040100
	;; [unrolled: 1-line block ×4, first 2 shown]
	ds_store_b128 v76, v[1:4]
	s_waitcnt lgkmcnt(0)
	s_barrier
	buffer_gl0_inv
	v_cmpx_gt_u32_e32 32, v0
	s_cbranch_execz .LBB1825_2
; %bb.111:
	s_load_b64 s[0:1], s[0:1], 0x68
	v_lshlrev_b32_e32 v0, 10, v0
	v_or_b32_e32 v1, s29, v74
	s_lshl_b32 s4, s34, 7
	v_lshlrev_b32_e32 v2, 4, v75
	s_mul_i32 s2, s4, s30
	v_lshlrev_b32_e32 v3, 6, v74
	v_mul_lo_u32 v8, v1, s4
	v_and_b32_e32 v0, 0x3800, v0
	v_or_b32_e32 v1, 2, v1
	s_mul_i32 s2, s2, s7
	s_delay_alu instid0(SALU_CYCLE_1) | instskip(NEXT) | instid1(VALU_DEP_2)
	s_ashr_i32 s3, s2, 31
	v_or3_b32 v4, v0, v2, v3
	s_lshl_b64 s[2:3], s[2:3], 1
	v_mul_lo_u32 v10, v1, s4
	v_ashrrev_i32_e32 v9, 31, v8
	ds_load_b128 v[0:3], v4
	ds_load_b128 v[4:7], v4 offset:128
	s_waitcnt lgkmcnt(0)
	s_add_u32 s2, s0, s2
	s_addc_u32 s3, s1, s3
	s_lshl_b32 s0, s14, 7
	v_ashrrev_i32_e32 v11, 31, v10
	s_ashr_i32 s1, s0, 31
	v_lshlrev_b64 v[8:9], 1, v[8:9]
	s_lshl_b64 s[0:1], s[0:1], 1
	s_delay_alu instid0(SALU_CYCLE_1) | instskip(SKIP_2) | instid1(VALU_DEP_1)
	s_add_u32 s0, s2, s0
	s_addc_u32 s1, s3, s1
	v_add_co_u32 v12, s0, s0, v73
	v_add_co_ci_u32_e64 v13, null, s1, 0, s0
	v_lshlrev_b64 v[10:11], 1, v[10:11]
	s_delay_alu instid0(VALU_DEP_3) | instskip(NEXT) | instid1(VALU_DEP_3)
	v_add_co_u32 v8, vcc_lo, v12, v8
	v_add_co_ci_u32_e32 v9, vcc_lo, v13, v9, vcc_lo
	s_delay_alu instid0(VALU_DEP_3) | instskip(NEXT) | instid1(VALU_DEP_4)
	v_add_co_u32 v10, vcc_lo, v12, v10
	v_add_co_ci_u32_e32 v11, vcc_lo, v13, v11, vcc_lo
	s_clause 0x1
	global_store_b128 v[8:9], v[0:3], off
	global_store_b128 v[10:11], v[4:7], off
	s_nop 0
	s_sendmsg sendmsg(MSG_DEALLOC_VGPRS)
	s_endpgm
	.section	.rodata,"a",@progbits
	.p2align	6, 0x0
	.amdhsa_kernel _Z39paged_attention_ll4mi_QKV_mfma16_kernelI14__hip_bfloat16hLN4vllm18Fp8KVCacheDataTypeE1EhLi16ELi128ELi256ELb0ELi4EL8MFMAType0EEvPKT_PKT0_S9_ifPKiSB_SB_iPKfiiiPfSE_PS4_PT2_iSD_SD_
		.amdhsa_group_segment_fixed_size 17472
		.amdhsa_private_segment_fixed_size 0
		.amdhsa_kernarg_size 400
		.amdhsa_user_sgpr_count 13
		.amdhsa_user_sgpr_dispatch_ptr 0
		.amdhsa_user_sgpr_queue_ptr 0
		.amdhsa_user_sgpr_kernarg_segment_ptr 1
		.amdhsa_user_sgpr_dispatch_id 0
		.amdhsa_user_sgpr_private_segment_size 0
		.amdhsa_wavefront_size32 1
		.amdhsa_uses_dynamic_stack 0
		.amdhsa_enable_private_segment 0
		.amdhsa_system_sgpr_workgroup_id_x 1
		.amdhsa_system_sgpr_workgroup_id_y 1
		.amdhsa_system_sgpr_workgroup_id_z 1
		.amdhsa_system_sgpr_workgroup_info 0
		.amdhsa_system_vgpr_workitem_id 0
		.amdhsa_next_free_vgpr 140
		.amdhsa_next_free_sgpr 36
		.amdhsa_reserve_vcc 1
		.amdhsa_float_round_mode_32 0
		.amdhsa_float_round_mode_16_64 0
		.amdhsa_float_denorm_mode_32 3
		.amdhsa_float_denorm_mode_16_64 3
		.amdhsa_dx10_clamp 1
		.amdhsa_ieee_mode 1
		.amdhsa_fp16_overflow 0
		.amdhsa_workgroup_processor_mode 1
		.amdhsa_memory_ordered 1
		.amdhsa_forward_progress 0
		.amdhsa_shared_vgpr_count 0
		.amdhsa_exception_fp_ieee_invalid_op 0
		.amdhsa_exception_fp_denorm_src 0
		.amdhsa_exception_fp_ieee_div_zero 0
		.amdhsa_exception_fp_ieee_overflow 0
		.amdhsa_exception_fp_ieee_underflow 0
		.amdhsa_exception_fp_ieee_inexact 0
		.amdhsa_exception_int_div_zero 0
	.end_amdhsa_kernel
	.section	.text._Z39paged_attention_ll4mi_QKV_mfma16_kernelI14__hip_bfloat16hLN4vllm18Fp8KVCacheDataTypeE1EhLi16ELi128ELi256ELb0ELi4EL8MFMAType0EEvPKT_PKT0_S9_ifPKiSB_SB_iPKfiiiPfSE_PS4_PT2_iSD_SD_,"axG",@progbits,_Z39paged_attention_ll4mi_QKV_mfma16_kernelI14__hip_bfloat16hLN4vllm18Fp8KVCacheDataTypeE1EhLi16ELi128ELi256ELb0ELi4EL8MFMAType0EEvPKT_PKT0_S9_ifPKiSB_SB_iPKfiiiPfSE_PS4_PT2_iSD_SD_,comdat
.Lfunc_end1825:
	.size	_Z39paged_attention_ll4mi_QKV_mfma16_kernelI14__hip_bfloat16hLN4vllm18Fp8KVCacheDataTypeE1EhLi16ELi128ELi256ELb0ELi4EL8MFMAType0EEvPKT_PKT0_S9_ifPKiSB_SB_iPKfiiiPfSE_PS4_PT2_iSD_SD_, .Lfunc_end1825-_Z39paged_attention_ll4mi_QKV_mfma16_kernelI14__hip_bfloat16hLN4vllm18Fp8KVCacheDataTypeE1EhLi16ELi128ELi256ELb0ELi4EL8MFMAType0EEvPKT_PKT0_S9_ifPKiSB_SB_iPKfiiiPfSE_PS4_PT2_iSD_SD_
                                        ; -- End function
	.section	.AMDGPU.csdata,"",@progbits
; Kernel info:
; codeLenInByte = 8732
; NumSgprs: 38
; NumVgprs: 140
; ScratchSize: 0
; MemoryBound: 0
; FloatMode: 240
; IeeeMode: 1
; LDSByteSize: 17472 bytes/workgroup (compile time only)
; SGPRBlocks: 4
; VGPRBlocks: 17
; NumSGPRsForWavesPerEU: 38
; NumVGPRsForWavesPerEU: 140
; Occupancy: 10
; WaveLimiterHint : 1
; COMPUTE_PGM_RSRC2:SCRATCH_EN: 0
; COMPUTE_PGM_RSRC2:USER_SGPR: 13
; COMPUTE_PGM_RSRC2:TRAP_HANDLER: 0
; COMPUTE_PGM_RSRC2:TGID_X_EN: 1
; COMPUTE_PGM_RSRC2:TGID_Y_EN: 1
; COMPUTE_PGM_RSRC2:TGID_Z_EN: 1
; COMPUTE_PGM_RSRC2:TIDIG_COMP_CNT: 0
	.section	.text._Z39paged_attention_ll4mi_QKV_mfma16_kernelI14__hip_bfloat16hLN4vllm18Fp8KVCacheDataTypeE1ES0_Li16ELi128ELi256ELb1ELi5EL8MFMAType0EEvPKT_PKT0_S9_ifPKiSB_SB_iPKfiiiPfSE_PS4_PT2_iSD_SD_,"axG",@progbits,_Z39paged_attention_ll4mi_QKV_mfma16_kernelI14__hip_bfloat16hLN4vllm18Fp8KVCacheDataTypeE1ES0_Li16ELi128ELi256ELb1ELi5EL8MFMAType0EEvPKT_PKT0_S9_ifPKiSB_SB_iPKfiiiPfSE_PS4_PT2_iSD_SD_,comdat
	.protected	_Z39paged_attention_ll4mi_QKV_mfma16_kernelI14__hip_bfloat16hLN4vllm18Fp8KVCacheDataTypeE1ES0_Li16ELi128ELi256ELb1ELi5EL8MFMAType0EEvPKT_PKT0_S9_ifPKiSB_SB_iPKfiiiPfSE_PS4_PT2_iSD_SD_ ; -- Begin function _Z39paged_attention_ll4mi_QKV_mfma16_kernelI14__hip_bfloat16hLN4vllm18Fp8KVCacheDataTypeE1ES0_Li16ELi128ELi256ELb1ELi5EL8MFMAType0EEvPKT_PKT0_S9_ifPKiSB_SB_iPKfiiiPfSE_PS4_PT2_iSD_SD_
	.globl	_Z39paged_attention_ll4mi_QKV_mfma16_kernelI14__hip_bfloat16hLN4vllm18Fp8KVCacheDataTypeE1ES0_Li16ELi128ELi256ELb1ELi5EL8MFMAType0EEvPKT_PKT0_S9_ifPKiSB_SB_iPKfiiiPfSE_PS4_PT2_iSD_SD_
	.p2align	8
	.type	_Z39paged_attention_ll4mi_QKV_mfma16_kernelI14__hip_bfloat16hLN4vllm18Fp8KVCacheDataTypeE1ES0_Li16ELi128ELi256ELb1ELi5EL8MFMAType0EEvPKT_PKT0_S9_ifPKiSB_SB_iPKfiiiPfSE_PS4_PT2_iSD_SD_,@function
_Z39paged_attention_ll4mi_QKV_mfma16_kernelI14__hip_bfloat16hLN4vllm18Fp8KVCacheDataTypeE1ES0_Li16ELi128ELi256ELb1ELi5EL8MFMAType0EEvPKT_PKT0_S9_ifPKiSB_SB_iPKfiiiPfSE_PS4_PT2_iSD_SD_: ; @_Z39paged_attention_ll4mi_QKV_mfma16_kernelI14__hip_bfloat16hLN4vllm18Fp8KVCacheDataTypeE1ES0_Li16ELi128ELi256ELb1ELi5EL8MFMAType0EEvPKT_PKT0_S9_ifPKiSB_SB_iPKfiiiPfSE_PS4_PT2_iSD_SD_
; %bb.0:
	s_load_b64 s[4:5], s[0:1], 0x30
	s_mov_b32 s30, s13
	s_waitcnt lgkmcnt(0)
	s_cmp_lg_u64 s[4:5], 0
	s_cselect_b32 s13, -1, 0
	s_ashr_i32 s31, s30, 31
	s_cmp_eq_u64 s[4:5], 0
	s_cbranch_scc1 .LBB1826_3
; %bb.1:
	s_lshl_b64 s[2:3], s[30:31], 2
	s_delay_alu instid0(SALU_CYCLE_1) | instskip(SKIP_4) | instid1(SALU_CYCLE_1)
	s_add_u32 s2, s4, s2
	s_addc_u32 s3, s5, s3
	s_load_b64 s[2:3], s[2:3], 0x0
	s_waitcnt lgkmcnt(0)
	s_sub_i32 s2, s3, s2
	s_cmp_eq_u32 s2, 1
	s_cselect_b32 s2, -1, 0
	s_delay_alu instid0(SALU_CYCLE_1)
	s_and_not1_b32 vcc_lo, exec_lo, s2
	s_cbranch_vccz .LBB1826_4
.LBB1826_2:
	s_nop 0
	s_sendmsg sendmsg(MSG_DEALLOC_VGPRS)
	s_endpgm
.LBB1826_3:
.LBB1826_4:
	s_load_b64 s[2:3], s[0:1], 0x28
	s_lshl_b64 s[6:7], s[30:31], 2
	s_waitcnt lgkmcnt(0)
	s_add_u32 s2, s2, s6
	s_addc_u32 s3, s3, s7
	s_lshl_b32 s12, s14, 8
	s_load_b32 s17, s[2:3], 0x0
	s_waitcnt lgkmcnt(0)
	s_cmp_ge_i32 s12, s17
	s_cbranch_scc1 .LBB1826_2
; %bb.5:
	s_clause 0x1
	s_load_b128 s[8:11], s[0:1], 0x8
	s_load_b64 s[2:3], s[0:1], 0x20
	s_and_not1_b32 vcc_lo, exec_lo, s13
	s_cbranch_vccnz .LBB1826_7
; %bb.6:
	s_add_u32 s4, s4, s6
	s_addc_u32 s5, s5, s7
	s_load_b32 s13, s[4:5], 0x0
	s_branch .LBB1826_8
.LBB1826_7:
	s_mov_b32 s13, s30
.LBB1826_8:
	s_load_b128 s[4:7], s[0:1], 0x48
	v_and_b32_e32 v65, 15, v0
	v_lshrrev_b32_e32 v66, 5, v0
	v_bfe_u32 v74, v0, 4, 1
	v_and_b32_e32 v67, 31, v0
	v_and_b32_e32 v75, 1, v0
	v_lshlrev_b32_e32 v2, 3, v65
	s_mul_i32 s31, s15, 5
	v_lshl_or_b32 v1, v66, 1, v74
	s_waitcnt lgkmcnt(0)
	s_mov_b32 s7, exec_lo
	v_lshlrev_b32_e32 v73, 1, v2
	s_delay_alu instid0(VALU_DEP_2)
	v_cmpx_gt_u32_e32 5, v1
	s_cbranch_execz .LBB1826_10
; %bb.9:
	s_load_b64 s[18:19], s[0:1], 0x0
	v_add_lshl_u32 v2, v1, s31, 7
	s_mul_hi_i32 s21, s13, s4
	s_mul_i32 s20, s13, s4
	v_lshlrev_b32_e32 v6, 10, v65
	s_lshl_b64 s[20:21], s[20:21], 1
	v_ashrrev_i32_e32 v3, 31, v2
	v_lshlrev_b32_e32 v1, 6, v1
	v_lshlrev_b32_e32 v7, 10, v75
	v_and_b32_e32 v6, 0x3800, v6
	s_delay_alu instid0(VALU_DEP_4) | instskip(NEXT) | instid1(VALU_DEP_2)
	v_lshlrev_b64 v[2:3], 1, v[2:3]
	v_or3_b32 v1, v6, v7, v1
	s_waitcnt lgkmcnt(0)
	s_add_u32 s4, s18, s20
	s_addc_u32 s13, s19, s21
	s_delay_alu instid0(VALU_DEP_2) | instskip(SKIP_1) | instid1(VALU_DEP_2)
	v_add_co_u32 v2, vcc_lo, s4, v2
	v_add_co_ci_u32_e32 v3, vcc_lo, s13, v3, vcc_lo
	v_add_co_u32 v2, vcc_lo, v2, v73
	s_delay_alu instid0(VALU_DEP_2)
	v_add_co_ci_u32_e32 v3, vcc_lo, 0, v3, vcc_lo
	global_load_b128 v[2:5], v[2:3], off
	s_waitcnt vmcnt(0)
	ds_store_b128 v1, v[2:5]
.LBB1826_10:
	s_or_b32 exec_lo, exec_lo, s7
	v_and_b32_e32 v1, 0xef, v0
	s_add_i32 s4, s17, 15
	s_clause 0x1
	s_load_b32 s7, s[0:1], 0x38
	s_load_b32 s18, s[0:1], 0x1c
	s_ashr_i32 s13, s4, 31
	v_add_nc_u32_e32 v2, s12, v1
	s_lshr_b32 s13, s13, 28
	s_waitcnt lgkmcnt(0)
	s_add_i32 s4, s4, s13
	s_barrier
	v_ashrrev_i32_e32 v1, 31, v2
	s_ashr_i32 s4, s4, 4
	v_cmp_gt_i32_e32 vcc_lo, s17, v2
	s_add_i32 s4, s4, -1
	buffer_gl0_inv
	v_lshrrev_b32_e32 v3, 28, v1
	v_or_b32_e32 v1, 16, v2
	s_mul_i32 s15, s15, s6
	s_delay_alu instid0(VALU_DEP_2) | instskip(SKIP_1) | instid1(SALU_CYCLE_1)
	v_add_nc_u32_e32 v4, v2, v3
	s_mul_i32 s20, s30, s7
	s_ashr_i32 s21, s20, 31
	s_delay_alu instid0(VALU_DEP_1) | instskip(SKIP_2) | instid1(SALU_CYCLE_1)
	v_ashrrev_i32_e32 v4, 4, v4
	v_add_nc_u32_e32 v3, v1, v3
	s_lshl_b64 s[20:21], s[20:21], 2
	s_add_u32 s2, s2, s20
	s_delay_alu instid0(VALU_DEP_2) | instskip(NEXT) | instid1(VALU_DEP_2)
	v_cndmask_b32_e32 v2, s4, v4, vcc_lo
	v_ashrrev_i32_e32 v3, 4, v3
	v_cmp_gt_i32_e32 vcc_lo, s17, v1
	s_addc_u32 s3, s3, s21
	s_ashr_i32 s6, s15, 31
	s_add_u32 s7, s8, s15
	s_addc_u32 s13, s9, s6
	v_cndmask_b32_e32 v4, s4, v3, vcc_lo
	v_ashrrev_i32_e32 v3, 31, v2
	s_lshl_b32 s8, s14, 4
	s_delay_alu instid0(SALU_CYCLE_1) | instskip(NEXT) | instid1(VALU_DEP_2)
	s_ashr_i32 s9, s8, 31
	v_ashrrev_i32_e32 v5, 31, v4
	s_delay_alu instid0(VALU_DEP_2) | instskip(SKIP_1) | instid1(SALU_CYCLE_1)
	v_lshlrev_b64 v[1:2], 2, v[2:3]
	s_lshl_b64 s[8:9], s[8:9], 2
	s_add_u32 s8, s2, s8
	s_delay_alu instid0(VALU_DEP_2) | instskip(SKIP_1) | instid1(VALU_DEP_2)
	v_lshlrev_b64 v[3:4], 2, v[4:5]
	s_addc_u32 s9, s3, s9
	v_add_co_u32 v1, vcc_lo, s2, v1
	v_add_co_ci_u32_e32 v2, vcc_lo, s3, v2, vcc_lo
	s_delay_alu instid0(VALU_DEP_3) | instskip(NEXT) | instid1(VALU_DEP_4)
	v_add_co_u32 v3, vcc_lo, s2, v3
	v_add_co_ci_u32_e32 v4, vcc_lo, s3, v4, vcc_lo
	s_clause 0x1
	global_load_b32 v5, v[1:2], off
	global_load_b32 v3, v[3:4], off
	v_lshlrev_b32_e32 v1, 4, v0
	s_or_b32 s16, s12, 32
	s_delay_alu instid0(SALU_CYCLE_1) | instskip(SKIP_1) | instid1(VALU_DEP_1)
	s_ashr_i32 s19, s16, 4
	s_cmp_lt_i32 s16, s17
	v_and_b32_e32 v1, 0xf0, v1
	s_cselect_b32 s20, s19, s4
	s_delay_alu instid0(SALU_CYCLE_1) | instskip(NEXT) | instid1(SALU_CYCLE_1)
	s_ashr_i32 s21, s20, 31
	s_lshl_b64 s[20:21], s[20:21], 2
	s_delay_alu instid0(VALU_DEP_1)
	v_add_co_u32 v1, s7, s7, v1
	s_add_u32 s20, s2, s20
	s_addc_u32 s21, s3, s21
	s_or_b32 s16, s12, 64
	v_add_co_ci_u32_e64 v2, null, s13, 0, s7
	s_ashr_i32 s19, s16, 4
	s_cmp_lt_i32 s16, s17
	s_cselect_b32 s22, s19, s4
	s_delay_alu instid0(SALU_CYCLE_1) | instskip(NEXT) | instid1(SALU_CYCLE_1)
	s_ashr_i32 s23, s22, 31
	s_lshl_b64 s[22:23], s[22:23], 2
	s_delay_alu instid0(SALU_CYCLE_1) | instskip(SKIP_2) | instid1(SALU_CYCLE_1)
	s_add_u32 s22, s2, s22
	s_addc_u32 s23, s3, s23
	s_or_b32 s16, s12, 0x60
	s_ashr_i32 s19, s16, 4
	s_cmp_lt_i32 s16, s17
	s_cselect_b32 s24, s19, s4
	s_delay_alu instid0(SALU_CYCLE_1) | instskip(NEXT) | instid1(SALU_CYCLE_1)
	s_ashr_i32 s25, s24, 31
	s_lshl_b64 s[24:25], s[24:25], 2
	s_delay_alu instid0(SALU_CYCLE_1) | instskip(SKIP_2) | instid1(SALU_CYCLE_1)
	s_add_u32 s24, s2, s24
	s_addc_u32 s25, s3, s25
	s_or_b32 s16, s12, 0x80
	;; [unrolled: 10-line block ×3, first 2 shown]
	s_ashr_i32 s19, s16, 4
	s_cmp_lt_i32 s16, s17
	s_cselect_b32 s28, s19, s4
	s_delay_alu instid0(SALU_CYCLE_1) | instskip(NEXT) | instid1(SALU_CYCLE_1)
	s_ashr_i32 s29, s28, 31
	s_lshl_b64 s[28:29], s[28:29], 2
	s_delay_alu instid0(SALU_CYCLE_1)
	s_add_u32 s28, s2, s28
	s_addc_u32 s29, s3, s29
	s_clause 0x5
	s_load_b32 s7, s[8:9], 0x0
	s_load_b32 s13, s[20:21], 0x0
	;; [unrolled: 1-line block ×6, first 2 shown]
	s_or_b32 s8, s12, 0xc0
	s_mov_b32 s20, 0
	s_ashr_i32 s9, s8, 4
	s_cmp_lt_i32 s8, s17
	s_mov_b32 s27, s20
	s_cselect_b32 s8, s9, s4
	s_mov_b32 s21, s20
	s_ashr_i32 s9, s8, 31
	s_mov_b32 s22, s20
	s_lshl_b64 s[8:9], s[8:9], 2
	s_mov_b32 s23, s20
	s_mov_b32 s24, s20
	;; [unrolled: 1-line block ×4, first 2 shown]
	v_dual_mov_b32 v107, s27 :: v_dual_mov_b32 v104, s24
	s_add_u32 s8, s2, s8
	v_dual_mov_b32 v106, s26 :: v_dual_mov_b32 v105, s25
	v_dual_mov_b32 v101, s21 :: v_dual_mov_b32 v100, s20
	s_addc_u32 s9, s3, s9
	v_dual_mov_b32 v103, s23 :: v_dual_mov_b32 v102, s22
	s_or_b32 s20, s12, 0xe0
	s_delay_alu instid0(SALU_CYCLE_1) | instskip(SKIP_2) | instid1(SALU_CYCLE_1)
	s_ashr_i32 s21, s20, 4
	s_cmp_lt_i32 s20, s17
	s_cselect_b32 s20, s21, s4
	s_ashr_i32 s21, s20, 31
	s_delay_alu instid0(SALU_CYCLE_1) | instskip(NEXT) | instid1(SALU_CYCLE_1)
	s_lshl_b64 s[20:21], s[20:21], 2
	s_add_u32 s2, s2, s20
	s_addc_u32 s3, s3, s21
	s_waitcnt vmcnt(1)
	v_mad_i64_i32 v[25:26], null, v5, s5, v[1:2]
	s_waitcnt vmcnt(0)
	v_mad_i64_i32 v[27:28], null, v3, s5, v[1:2]
	s_clause 0xf
	global_load_b128 v[1:4], v[25:26], off
	global_load_b128 v[5:8], v[25:26], off offset:256
	global_load_b128 v[9:12], v[27:28], off
	global_load_b128 v[13:16], v[27:28], off offset:256
	global_load_b128 v[17:20], v[25:26], off offset:512
	;; [unrolled: 1-line block ×13, first 2 shown]
	v_mul_lo_u16 v25, v65, 52
	v_lshlrev_b32_e32 v26, 4, v65
	s_delay_alu instid0(VALU_DEP_2) | instskip(NEXT) | instid1(VALU_DEP_2)
	v_lshrrev_b16 v25, 8, v25
	v_lshl_or_b32 v33, v66, 8, v26
	s_delay_alu instid0(VALU_DEP_2) | instskip(NEXT) | instid1(VALU_DEP_1)
	v_mul_lo_u16 v25, v25, 5
	v_sub_nc_u16 v25, v65, v25
	s_delay_alu instid0(VALU_DEP_1) | instskip(NEXT) | instid1(VALU_DEP_1)
	v_and_b32_e32 v25, 0xff, v25
	v_lshlrev_b32_e32 v72, 6, v25
	ds_load_b128 v[25:28], v72
	ds_load_b128 v[29:32], v72 offset:1024
	ds_load_b128 v[108:111], v72 offset:2048
	;; [unrolled: 1-line block ×3, first 2 shown]
	s_load_b32 s4, s[8:9], 0x0
	ds_load_b128 v[116:119], v72 offset:4096
	ds_load_b128 v[120:123], v72 offset:5120
	s_load_b32 s2, s[2:3], 0x0
	s_add_u32 s8, s10, s15
	s_addc_u32 s6, s11, s6
	v_add_co_u32 v68, s8, s8, v33
	s_delay_alu instid0(VALU_DEP_1) | instskip(SKIP_1) | instid1(VALU_DEP_1)
	v_add_co_ci_u32_e64 v69, null, s6, 0, s8
	s_waitcnt lgkmcnt(0)
	v_mad_i64_i32 v[33:34], null, s7, s5, v[68:69]
	v_mad_i64_i32 v[70:71], null, s16, s5, v[68:69]
	v_mad_i64_i32 v[132:133], null, s19, s5, v[68:69]
	v_mad_i64_i32 v[134:135], null, s33, s5, v[68:69]
	v_mad_i64_i32 v[37:38], null, s13, s5, v[68:69]
	v_mad_i64_i32 v[136:137], null, s28, s5, v[68:69]
	v_mad_i64_i32 v[138:139], null, s4, s5, v[68:69]
	s_clause 0x3
	global_load_b128 v[41:44], v[33:34], off
	global_load_b128 v[45:48], v[33:34], off offset:16
	global_load_b128 v[33:36], v[37:38], off
	global_load_b128 v[37:40], v[37:38], off offset:16
	s_waitcnt vmcnt(18)
	v_wmma_f32_16x16x16_bf16 v[124:131], v[1:8], v[25:32], v[100:107]
	s_waitcnt vmcnt(16)
	v_wmma_f32_16x16x16_bf16 v[100:107], v[9:16], v[25:32], v[100:107]
	s_clause 0x1
	global_load_b128 v[25:28], v[70:71], off
	global_load_b128 v[29:32], v[70:71], off offset:16
	s_waitcnt vmcnt(16)
	v_wmma_f32_16x16x16_bf16 v[124:131], v[17:24], v[108:115], v[124:131]
	s_clause 0x1
	global_load_b128 v[17:20], v[132:133], off
	global_load_b128 v[21:24], v[132:133], off offset:16
	s_waitcnt vmcnt(16)
	v_wmma_f32_16x16x16_bf16 v[100:107], v[49:56], v[108:115], v[100:107]
	v_mad_i64_i32 v[53:54], null, s2, s5, v[68:69]
	s_clause 0x3
	global_load_b128 v[1:4], v[134:135], off
	global_load_b128 v[5:8], v[134:135], off offset:16
	global_load_b128 v[9:12], v[136:137], off
	global_load_b128 v[13:16], v[136:137], off offset:16
	s_waitcnt vmcnt(18)
	v_wmma_f32_16x16x16_bf16 v[124:131], v[57:64], v[116:123], v[124:131]
	s_clause 0x3
	global_load_b128 v[57:60], v[138:139], off
	global_load_b128 v[61:64], v[138:139], off offset:16
	global_load_b128 v[49:52], v[53:54], off
	global_load_b128 v[53:56], v[53:54], off offset:16
	v_mbcnt_lo_u32_b32 v69, -1, 0
	s_waitcnt vmcnt(20)
	v_wmma_f32_16x16x16_bf16 v[100:107], v[76:83], v[116:123], v[100:107]
	s_delay_alu instid0(VALU_DEP_2) | instskip(NEXT) | instid1(VALU_DEP_1)
	v_xor_b32_e32 v70, 16, v69
	v_cmp_gt_i32_e32 vcc_lo, 32, v70
	v_cndmask_b32_e32 v69, v69, v70, vcc_lo
	ds_load_b128 v[76:79], v72 offset:6144
	ds_load_b128 v[80:83], v72 offset:7168
	s_waitcnt vmcnt(0) lgkmcnt(0)
	s_barrier
	buffer_gl0_inv
	v_wmma_f32_16x16x16_bf16 v[124:131], v[84:91], v[76:83], v[124:131]
	v_and_b32_e32 v68, 0xe0, v0
	v_wmma_f32_16x16x16_bf16 v[100:107], v[92:99], v[76:83], v[100:107]
	s_delay_alu instid0(VALU_DEP_2) | instskip(NEXT) | instid1(VALU_DEP_4)
	v_dual_mul_f32 v79, s18, v127 :: v_dual_add_nc_u32 v68, s12, v68
	v_mul_f32_e32 v81, s18, v129
	v_dual_mul_f32 v78, s18, v125 :: v_dual_mul_f32 v83, s18, v131
	s_delay_alu instid0(VALU_DEP_4) | instskip(NEXT) | instid1(VALU_DEP_4)
	v_dual_mul_f32 v80, s18, v126 :: v_dual_mul_f32 v95, s18, v103
	v_or_b32_e32 v68, v68, v74
	v_dual_mul_f32 v93, s18, v101 :: v_dual_mul_f32 v82, s18, v128
	v_dual_mul_f32 v97, s18, v105 :: v_dual_mul_f32 v92, s18, v130
	v_mul_f32_e32 v99, s18, v107
	s_delay_alu instid0(VALU_DEP_4)
	v_or_b32_e32 v70, 2, v68
	v_or_b32_e32 v71, 4, v68
	;; [unrolled: 1-line block ×3, first 2 shown]
	v_cmp_gt_i32_e64 s2, s17, v68
	v_or_b32_e32 v108, 8, v68
	v_cmp_gt_i32_e32 vcc_lo, s17, v70
	v_mul_f32_e32 v70, s18, v124
	v_or_b32_e32 v109, 10, v68
	v_cmp_gt_i32_e64 s3, s17, v71
	v_cmp_gt_i32_e64 s4, s17, v72
	v_cndmask_b32_e32 v78, 0xff7fffff, v78, vcc_lo
	v_cndmask_b32_e64 v70, 0xff7fffff, v70, s2
	v_or_b32_e32 v84, 12, v68
	v_or_b32_e32 v85, 14, v68
	v_cndmask_b32_e64 v71, 0xff7fffff, v80, s3
	v_cndmask_b32_e64 v72, 0xff7fffff, v79, s4
	v_max3_f32 v70, v70, 0xff7fffff, v78
	v_cmp_gt_i32_e64 s5, s17, v108
	v_cmp_gt_i32_e64 s6, s17, v109
	v_or_b32_e32 v86, 16, v68
	v_or_b32_e32 v87, 18, v68
	v_max3_f32 v70, v70, v71, v72
	v_cndmask_b32_e64 v78, 0xff7fffff, v82, s5
	v_cndmask_b32_e64 v79, 0xff7fffff, v81, s6
	v_cmp_gt_i32_e64 s7, s17, v84
	v_cmp_gt_i32_e64 s8, s17, v85
	v_or_b32_e32 v88, 20, v68
	v_or_b32_e32 v89, 22, v68
	v_mul_f32_e32 v94, s18, v100
	v_cndmask_b32_e64 v71, 0xff7fffff, v92, s7
	v_cndmask_b32_e64 v72, 0xff7fffff, v83, s8
	v_max3_f32 v70, v70, v78, v79
	v_cmp_gt_i32_e64 s9, s17, v86
	v_cmp_gt_i32_e64 s10, s17, v87
	v_or_b32_e32 v90, 24, v68
	v_or_b32_e32 v91, 26, v68
	v_mul_f32_e32 v96, s18, v102
	v_max3_f32 v70, v70, v71, v72
	v_cndmask_b32_e64 v79, 0xff7fffff, v93, s10
	v_cmp_gt_i32_e64 s11, s17, v88
	v_cmp_gt_i32_e64 s12, s17, v89
	v_lshlrev_b32_e32 v89, 2, v69
	v_cndmask_b32_e64 v78, 0xff7fffff, v94, s9
	v_or_b32_e32 v76, 28, v68
	v_or_b32_e32 v77, 30, v68
	v_mul_f32_e32 v98, s18, v104
	v_cndmask_b32_e64 v71, 0xff7fffff, v96, s11
	v_cndmask_b32_e64 v72, 0xff7fffff, v95, s12
	v_max3_f32 v70, v70, v78, v79
	v_cmp_gt_i32_e64 s13, s17, v90
	v_cmp_gt_i32_e64 s15, s17, v91
	v_mul_f32_e32 v68, s18, v106
	v_cmp_gt_i32_e64 s16, s17, v76
	v_max3_f32 v70, v70, v71, v72
	v_cndmask_b32_e64 v78, 0xff7fffff, v98, s13
	v_cndmask_b32_e64 v79, 0xff7fffff, v97, s15
	v_cmp_gt_i32_e64 s17, s17, v77
	v_cndmask_b32_e64 v68, 0xff7fffff, v68, s16
	s_delay_alu instid0(VALU_DEP_3) | instskip(NEXT) | instid1(VALU_DEP_3)
	v_max3_f32 v70, v70, v78, v79
	v_cndmask_b32_e64 v71, 0xff7fffff, v99, s17
	s_delay_alu instid0(VALU_DEP_1) | instskip(SKIP_3) | instid1(VALU_DEP_1)
	v_max3_f32 v68, v70, v68, v71
	ds_bpermute_b32 v69, v89, v68
	s_waitcnt lgkmcnt(0)
	v_max_f32_e32 v69, v69, v69
	v_max_f32_e32 v68, v68, v69
	s_delay_alu instid0(VALU_DEP_1) | instskip(NEXT) | instid1(VALU_DEP_1)
	v_fma_f32 v76, s18, v128, -v68
	v_mul_f32_e32 v77, 0x3fb8aa3b, v76
	v_fma_f32 v71, s18, v126, -v68
	v_fma_f32 v69, s18, v124, -v68
	;; [unrolled: 1-line block ×4, first 2 shown]
	v_exp_f32_e32 v77, v77
	v_mul_f32_e32 v71, 0x3fb8aa3b, v71
	v_mul_f32_e32 v69, 0x3fb8aa3b, v69
	v_fma_f32 v81, s18, v105, -v68
	v_fma_f32 v78, s18, v130, -v68
	s_delay_alu instid0(VALU_DEP_4) | instskip(NEXT) | instid1(VALU_DEP_3)
	v_exp_f32_e32 v71, v71
	v_exp_f32_e32 v69, v69
	s_delay_alu instid0(VALU_DEP_2) | instskip(NEXT) | instid1(TRANS32_DEP_3)
	v_mul_f32_e32 v81, 0x3fb8aa3b, v81
	v_cndmask_b32_e64 v86, 0, v77, s5
	v_fma_f32 v77, s18, v101, -v68
	s_delay_alu instid0(VALU_DEP_3) | instskip(NEXT) | instid1(TRANS32_DEP_3)
	v_exp_f32_e32 v81, v81
	v_cndmask_b32_e64 v83, 0, v71, s3
	v_fma_f32 v71, s18, v131, -v68
	v_mul_f32_e32 v72, 0x3fb8aa3b, v72
	s_delay_alu instid0(TRANS32_DEP_2) | instskip(SKIP_1) | instid1(VALU_DEP_4)
	v_cndmask_b32_e64 v80, 0, v69, s2
	v_fma_f32 v69, s18, v129, -v68
	v_dual_mul_f32 v70, 0x3fb8aa3b, v70 :: v_dual_mul_f32 v71, 0x3fb8aa3b, v71
	s_delay_alu instid0(VALU_DEP_4) | instskip(SKIP_1) | instid1(VALU_DEP_3)
	v_exp_f32_e32 v72, v72
	v_mul_f32_e32 v77, 0x3fb8aa3b, v77
	v_mul_f32_e32 v69, 0x3fb8aa3b, v69
	s_delay_alu instid0(VALU_DEP_3)
	v_exp_f32_e32 v70, v70
	v_exp_f32_e32 v71, v71
	v_cmp_gt_u32_e64 s2, 16, v67
	v_exp_f32_e32 v77, v77
	v_exp_f32_e32 v69, v69
	v_cndmask_b32_e64 v85, 0, v72, s4
	v_fma_f32 v72, s18, v100, -v68
	v_cndmask_b32_e32 v76, 0, v70, vcc_lo
	s_delay_alu instid0(TRANS32_DEP_3) | instskip(SKIP_2) | instid1(TRANS32_DEP_1)
	v_cndmask_b32_e64 v88, 0, v71, s8
	v_fma_f32 v71, s18, v104, -v68
	v_add_f32_e32 v70, 0, v80
	v_cndmask_b32_e64 v87, 0, v69, s6
	s_delay_alu instid0(VALU_DEP_2) | instskip(NEXT) | instid1(VALU_DEP_1)
	v_dual_mul_f32 v71, 0x3fb8aa3b, v71 :: v_dual_add_f32 v70, v70, v76
	v_exp_f32_e32 v82, v71
	s_delay_alu instid0(VALU_DEP_1) | instskip(NEXT) | instid1(VALU_DEP_1)
	v_add_f32_e32 v70, v70, v83
	v_add_f32_e32 v70, v70, v85
	s_delay_alu instid0(VALU_DEP_1) | instskip(SKIP_1) | instid1(VALU_DEP_2)
	v_dual_mul_f32 v72, 0x3fb8aa3b, v72 :: v_dual_add_f32 v69, v70, v86
	v_fma_f32 v70, s18, v102, -v68
	v_exp_f32_e32 v72, v72
	s_delay_alu instid0(VALU_DEP_2) | instskip(NEXT) | instid1(VALU_DEP_2)
	v_dual_add_f32 v69, v69, v87 :: v_dual_mul_f32 v78, 0x3fb8aa3b, v78
	v_mul_f32_e32 v70, 0x3fb8aa3b, v70
	s_delay_alu instid0(VALU_DEP_2) | instskip(NEXT) | instid1(VALU_DEP_1)
	v_exp_f32_e32 v78, v78
	v_exp_f32_e32 v79, v70
	s_delay_alu instid0(TRANS32_DEP_3) | instskip(SKIP_4) | instid1(VALU_DEP_3)
	v_cndmask_b32_e64 v70, 0, v72, s9
	s_waitcnt_depctr 0xfff
	v_cndmask_b32_e64 v84, 0, v78, s7
	v_fma_f32 v78, s18, v103, -v68
	v_cndmask_b32_e64 v71, 0, v79, s11
	v_add_f32_e32 v69, v69, v84
	s_delay_alu instid0(VALU_DEP_1) | instskip(SKIP_2) | instid1(VALU_DEP_1)
	v_add_f32_e32 v72, v69, v88
	v_cndmask_b32_e64 v69, 0, v77, s10
	v_fma_f32 v77, s18, v106, -v68
	v_dual_add_f32 v72, v72, v70 :: v_dual_mul_f32 v77, 0x3fb8aa3b, v77
	s_delay_alu instid0(VALU_DEP_1) | instskip(NEXT) | instid1(VALU_DEP_2)
	v_add_f32_e32 v79, v72, v69
	v_exp_f32_e32 v90, v77
	v_cndmask_b32_e64 v77, 0, v82, s13
	v_mul_f32_e32 v78, 0x3fb8aa3b, v78
	s_delay_alu instid0(VALU_DEP_1) | instskip(SKIP_4) | instid1(VALU_DEP_1)
	v_exp_f32_e32 v78, v78
	s_waitcnt_depctr 0xfff
	v_cndmask_b32_e64 v72, 0, v78, s12
	v_add_f32_e32 v78, v79, v71
	v_fma_f32 v79, s18, v107, -v68
	v_dual_add_f32 v82, v78, v72 :: v_dual_mul_f32 v79, 0x3fb8aa3b, v79
	v_cndmask_b32_e64 v78, 0, v81, s15
	s_delay_alu instid0(VALU_DEP_2) | instskip(NEXT) | instid1(VALU_DEP_3)
	v_add_f32_e32 v81, v82, v77
	v_exp_f32_e32 v82, v79
	v_cndmask_b32_e64 v79, 0, v90, s16
	s_delay_alu instid0(VALU_DEP_2) | instskip(NEXT) | instid1(VALU_DEP_1)
	v_add_f32_e32 v81, v81, v78
	v_add_f32_e32 v90, v81, v79
	s_waitcnt_depctr 0xfff
	v_cndmask_b32_e64 v81, 0, v82, s17
	s_delay_alu instid0(VALU_DEP_1)
	v_add_f32_e32 v82, v90, v81
	ds_bpermute_b32 v89, v89, v82
	s_and_saveexec_b32 s3, s2
	s_cbranch_execz .LBB1826_12
; %bb.11:
	v_mul_u32_u24_e32 v67, 0x44, v66
	s_delay_alu instid0(VALU_DEP_1) | instskip(SKIP_1) | instid1(VALU_DEP_1)
	v_lshl_add_u32 v67, v65, 2, v67
	s_waitcnt lgkmcnt(0)
	v_dual_add_f32 v82, v82, v89 :: v_dual_add_nc_u32 v67, 0x4000, v67
	ds_store_2addr_b32 v67, v68, v82 offset1:136
.LBB1826_12:
	s_or_b32 exec_lo, exec_lo, s3
	v_lshlrev_b32_e32 v67, 2, v65
	s_waitcnt lgkmcnt(0)
	s_barrier
	buffer_gl0_inv
	v_cmp_eq_u32_e32 vcc_lo, 1, v66
	v_add_nc_u32_e32 v82, 0x4000, v67
	v_cmp_eq_u32_e64 s3, 2, v66
	v_cmp_eq_u32_e64 s5, 7, v66
	ds_load_2addr_b32 v[89:90], v82 offset1:17
	ds_load_2addr_b32 v[91:92], v82 offset0:34 offset1:51
	ds_load_2addr_b32 v[93:94], v82 offset0:68 offset1:85
	;; [unrolled: 1-line block ×4, first 2 shown]
	s_waitcnt lgkmcnt(4)
	v_max3_f32 v67, v89, 0xff7fffff, v90
	s_waitcnt lgkmcnt(3)
	s_delay_alu instid0(VALU_DEP_1) | instskip(SKIP_1) | instid1(VALU_DEP_1)
	v_max3_f32 v67, v67, v91, v92
	s_waitcnt lgkmcnt(2)
	v_max3_f32 v67, v67, v93, v94
	s_waitcnt lgkmcnt(1)
	s_delay_alu instid0(VALU_DEP_1) | instskip(NEXT) | instid1(VALU_DEP_1)
	v_max3_f32 v67, v67, v95, v96
	v_sub_f32_e32 v93, v93, v67
	s_delay_alu instid0(VALU_DEP_1) | instskip(NEXT) | instid1(VALU_DEP_1)
	v_dual_sub_f32 v68, v89, v67 :: v_dual_mul_f32 v103, 0x3fb8aa3b, v93
	v_mul_f32_e32 v68, 0x3fb8aa3b, v68
	s_delay_alu instid0(VALU_DEP_1)
	v_exp_f32_e32 v100, v68
	v_sub_f32_e32 v68, v92, v67
	v_sub_f32_e32 v99, v90, v67
	ds_load_2addr_b32 v[89:90], v82 offset0:170 offset1:187
	v_dual_mul_f32 v102, 0x3fb8aa3b, v68 :: v_dual_mul_f32 v99, 0x3fb8aa3b, v99
	s_waitcnt lgkmcnt(1)
	v_fma_f32 v68, v100, v97, 0
	s_delay_alu instid0(VALU_DEP_2) | instskip(NEXT) | instid1(VALU_DEP_2)
	v_exp_f32_e32 v102, v102
	v_exp_f32_e32 v99, v99
	s_waitcnt_depctr 0xfff
	v_fmac_f32_e32 v68, v99, v98
	v_sub_f32_e32 v91, v91, v67
	s_delay_alu instid0(VALU_DEP_1)
	v_mul_f32_e32 v101, 0x3fb8aa3b, v91
	ds_load_2addr_b32 v[91:92], v82 offset0:204 offset1:221
	v_sub_f32_e32 v97, v94, v67
	ds_load_2addr_b32 v[93:94], v82 offset0:238 offset1:255
	s_waitcnt lgkmcnt(0)
	v_exp_f32_e32 v101, v101
	s_barrier
	buffer_gl0_inv
	v_dual_fmac_f32 v68, v101, v89 :: v_dual_sub_f32 v89, v96, v67
	v_dual_sub_f32 v82, v95, v67 :: v_dual_mul_f32 v95, 0x3fb8aa3b, v97
	v_exp_f32_e32 v97, v103
	s_delay_alu instid0(VALU_DEP_2) | instskip(NEXT) | instid1(VALU_DEP_2)
	v_dual_fmac_f32 v68, v102, v90 :: v_dual_mul_f32 v89, 0x3fb8aa3b, v89
	v_mul_f32_e32 v82, 0x3fb8aa3b, v82
	s_delay_alu instid0(VALU_DEP_3) | instskip(NEXT) | instid1(VALU_DEP_2)
	v_exp_f32_e32 v95, v95
	v_exp_f32_e32 v89, v89
	s_delay_alu instid0(VALU_DEP_1)
	v_exp_f32_e32 v82, v82
	v_fmac_f32_e32 v68, v97, v91
	s_delay_alu instid0(TRANS32_DEP_3) | instid1(VALU_DEP_1)
	v_fmac_f32_e32 v68, v95, v92
	s_waitcnt_depctr 0xfff
	v_fmac_f32_e32 v68, v82, v93
	s_delay_alu instid0(VALU_DEP_1) | instskip(NEXT) | instid1(VALU_DEP_1)
	v_fmac_f32_e32 v68, v89, v94
	v_add_f32_e32 v90, 0x358637bd, v68
	s_delay_alu instid0(VALU_DEP_1) | instskip(NEXT) | instid1(VALU_DEP_1)
	v_div_scale_f32 v91, null, v90, v90, 1.0
	v_rcp_f32_e32 v92, v91
	s_waitcnt_depctr 0xfff
	v_fma_f32 v93, -v91, v92, 1.0
	s_delay_alu instid0(VALU_DEP_1) | instskip(SKIP_1) | instid1(VALU_DEP_2)
	v_dual_fmac_f32 v92, v93, v92 :: v_dual_cndmask_b32 v93, v100, v99
	v_cmp_eq_u32_e32 vcc_lo, 3, v66
	v_cndmask_b32_e64 v93, v93, v101, s3
	v_cmp_eq_u32_e64 s3, 4, v66
	s_delay_alu instid0(VALU_DEP_2) | instskip(SKIP_1) | instid1(VALU_DEP_2)
	v_cndmask_b32_e32 v93, v93, v102, vcc_lo
	v_cmp_eq_u32_e32 vcc_lo, 5, v66
	v_cndmask_b32_e64 v93, v93, v97, s3
	v_cmp_eq_u32_e64 s3, 6, v66
	s_delay_alu instid0(VALU_DEP_2) | instskip(SKIP_1) | instid1(VALU_DEP_1)
	v_cndmask_b32_e32 v93, v93, v95, vcc_lo
	v_div_scale_f32 v94, s4, 1.0, v90, 1.0
	s_mov_b32 vcc_lo, s4
	s_delay_alu instid0(VALU_DEP_2) | instskip(NEXT) | instid1(VALU_DEP_2)
	v_cndmask_b32_e64 v82, v93, v82, s3
	v_mul_f32_e32 v96, v94, v92
	s_mov_b32 s3, exec_lo
	s_delay_alu instid0(VALU_DEP_2) | instskip(NEXT) | instid1(VALU_DEP_2)
	v_cndmask_b32_e64 v82, v82, v89, s5
	v_fma_f32 v98, -v91, v96, v94
	s_delay_alu instid0(VALU_DEP_1) | instskip(NEXT) | instid1(VALU_DEP_1)
	v_fmac_f32_e32 v96, v98, v92
	v_fma_f32 v91, -v91, v96, v94
	s_delay_alu instid0(VALU_DEP_1) | instskip(NEXT) | instid1(VALU_DEP_1)
	v_div_fmas_f32 v91, v91, v92, v96
	v_div_fixup_f32 v90, v91, v90, 1.0
	s_delay_alu instid0(VALU_DEP_1) | instskip(NEXT) | instid1(VALU_DEP_1)
	v_mul_f32_e32 v82, v82, v90
	v_mul_f32_e32 v87, v82, v87
	;; [unrolled: 1-line block ×7, first 2 shown]
	v_dual_mul_f32 v86, v82, v83 :: v_dual_and_b32 v91, 0x7f800000, v90
	v_mul_f32_e32 v85, v82, v76
                                        ; implicit-def: $vgpr76
	s_delay_alu instid0(VALU_DEP_2)
	v_cmpx_ne_u32_e32 0x7f800000, v91
	s_xor_b32 s3, exec_lo, s3
; %bb.13:
	v_bfe_u32 v76, v90, 16, 1
	s_delay_alu instid0(VALU_DEP_1)
	v_add3_u32 v76, v90, v76, 0x7fff
                                        ; implicit-def: $vgpr90
; %bb.14:
	s_and_not1_saveexec_b32 s3, s3
; %bb.15:
	v_and_b32_e32 v76, 0xffff, v90
	v_or_b32_e32 v83, 0x10000, v90
	s_delay_alu instid0(VALU_DEP_2) | instskip(NEXT) | instid1(VALU_DEP_2)
	v_cmp_eq_u32_e32 vcc_lo, 0, v76
	v_cndmask_b32_e32 v76, v83, v90, vcc_lo
; %bb.16:
	s_or_b32 exec_lo, exec_lo, s3
	v_and_b32_e32 v83, 0x7f800000, v85
	s_delay_alu instid0(VALU_DEP_1) | instskip(SKIP_1) | instid1(SALU_CYCLE_1)
	v_cmp_ne_u32_e32 vcc_lo, 0x7f800000, v83
                                        ; implicit-def: $vgpr83
	s_and_saveexec_b32 s3, vcc_lo
	s_xor_b32 s3, exec_lo, s3
; %bb.17:
	v_bfe_u32 v83, v85, 16, 1
	s_delay_alu instid0(VALU_DEP_1)
	v_add3_u32 v83, v85, v83, 0x7fff
                                        ; implicit-def: $vgpr85
; %bb.18:
	s_and_not1_saveexec_b32 s3, s3
; %bb.19:
	v_and_b32_e32 v83, 0xffff, v85
	v_or_b32_e32 v90, 0x10000, v85
	s_delay_alu instid0(VALU_DEP_2) | instskip(NEXT) | instid1(VALU_DEP_2)
	v_cmp_eq_u32_e32 vcc_lo, 0, v83
	v_cndmask_b32_e32 v83, v90, v85, vcc_lo
; %bb.20:
	s_or_b32 exec_lo, exec_lo, s3
	v_and_b32_e32 v85, 0x7f800000, v86
	s_delay_alu instid0(VALU_DEP_1) | instskip(SKIP_1) | instid1(SALU_CYCLE_1)
	v_cmp_ne_u32_e32 vcc_lo, 0x7f800000, v85
                                        ; implicit-def: $vgpr85
	s_and_saveexec_b32 s3, vcc_lo
	s_xor_b32 s3, exec_lo, s3
; %bb.21:
	v_bfe_u32 v85, v86, 16, 1
	s_delay_alu instid0(VALU_DEP_1)
	v_add3_u32 v85, v86, v85, 0x7fff
                                        ; implicit-def: $vgpr86
; %bb.22:
	s_and_not1_saveexec_b32 s3, s3
; %bb.23:
	v_and_b32_e32 v85, 0xffff, v86
	v_or_b32_e32 v90, 0x10000, v86
	s_delay_alu instid0(VALU_DEP_2) | instskip(NEXT) | instid1(VALU_DEP_2)
	v_cmp_eq_u32_e32 vcc_lo, 0, v85
	v_cndmask_b32_e32 v85, v90, v86, vcc_lo
; %bb.24:
	s_or_b32 exec_lo, exec_lo, s3
	v_and_b32_e32 v86, 0x7f800000, v89
	s_delay_alu instid0(VALU_DEP_1) | instskip(SKIP_1) | instid1(SALU_CYCLE_1)
	v_cmp_ne_u32_e32 vcc_lo, 0x7f800000, v86
                                        ; implicit-def: $vgpr86
	s_and_saveexec_b32 s3, vcc_lo
	s_xor_b32 s3, exec_lo, s3
; %bb.25:
	v_bfe_u32 v86, v89, 16, 1
	s_delay_alu instid0(VALU_DEP_1)
	v_add3_u32 v86, v89, v86, 0x7fff
                                        ; implicit-def: $vgpr89
; %bb.26:
	s_and_not1_saveexec_b32 s3, s3
; %bb.27:
	v_and_b32_e32 v86, 0xffff, v89
	v_or_b32_e32 v90, 0x10000, v89
	s_delay_alu instid0(VALU_DEP_2) | instskip(NEXT) | instid1(VALU_DEP_2)
	v_cmp_eq_u32_e32 vcc_lo, 0, v86
	v_cndmask_b32_e32 v86, v90, v89, vcc_lo
; %bb.28:
	s_or_b32 exec_lo, exec_lo, s3
	v_and_b32_e32 v89, 0x7f800000, v88
	s_delay_alu instid0(VALU_DEP_1) | instskip(SKIP_1) | instid1(SALU_CYCLE_1)
	v_cmp_ne_u32_e32 vcc_lo, 0x7f800000, v89
                                        ; implicit-def: $vgpr89
	s_and_saveexec_b32 s3, vcc_lo
	s_xor_b32 s3, exec_lo, s3
; %bb.29:
	v_bfe_u32 v89, v88, 16, 1
	s_delay_alu instid0(VALU_DEP_1)
	v_add3_u32 v89, v88, v89, 0x7fff
                                        ; implicit-def: $vgpr88
; %bb.30:
	s_and_not1_saveexec_b32 s3, s3
; %bb.31:
	v_and_b32_e32 v89, 0xffff, v88
	v_or_b32_e32 v90, 0x10000, v88
	s_delay_alu instid0(VALU_DEP_2) | instskip(NEXT) | instid1(VALU_DEP_2)
	v_cmp_eq_u32_e32 vcc_lo, 0, v89
	v_cndmask_b32_e32 v89, v90, v88, vcc_lo
; %bb.32:
	s_or_b32 exec_lo, exec_lo, s3
	v_and_b32_e32 v88, 0x7f800000, v87
	s_delay_alu instid0(VALU_DEP_1) | instskip(SKIP_1) | instid1(SALU_CYCLE_1)
	v_cmp_ne_u32_e32 vcc_lo, 0x7f800000, v88
                                        ; implicit-def: $vgpr88
	s_and_saveexec_b32 s3, vcc_lo
	s_xor_b32 s3, exec_lo, s3
; %bb.33:
	v_bfe_u32 v88, v87, 16, 1
	s_delay_alu instid0(VALU_DEP_1)
	v_add3_u32 v88, v87, v88, 0x7fff
                                        ; implicit-def: $vgpr87
; %bb.34:
	s_and_not1_saveexec_b32 s3, s3
; %bb.35:
	v_and_b32_e32 v88, 0xffff, v87
	v_or_b32_e32 v90, 0x10000, v87
	s_delay_alu instid0(VALU_DEP_2) | instskip(NEXT) | instid1(VALU_DEP_2)
	v_cmp_eq_u32_e32 vcc_lo, 0, v88
	v_cndmask_b32_e32 v88, v90, v87, vcc_lo
; %bb.36:
	s_or_b32 exec_lo, exec_lo, s3
	v_and_b32_e32 v87, 0x7f800000, v84
	s_delay_alu instid0(VALU_DEP_1) | instskip(SKIP_1) | instid1(SALU_CYCLE_1)
	v_cmp_ne_u32_e32 vcc_lo, 0x7f800000, v87
                                        ; implicit-def: $vgpr87
	s_and_saveexec_b32 s3, vcc_lo
	s_xor_b32 s3, exec_lo, s3
; %bb.37:
	v_bfe_u32 v87, v84, 16, 1
	s_delay_alu instid0(VALU_DEP_1)
	v_add3_u32 v87, v84, v87, 0x7fff
                                        ; implicit-def: $vgpr84
; %bb.38:
	s_and_not1_saveexec_b32 s3, s3
; %bb.39:
	v_and_b32_e32 v87, 0xffff, v84
	v_or_b32_e32 v90, 0x10000, v84
	s_delay_alu instid0(VALU_DEP_2) | instskip(NEXT) | instid1(VALU_DEP_2)
	v_cmp_eq_u32_e32 vcc_lo, 0, v87
	v_cndmask_b32_e32 v87, v90, v84, vcc_lo
; %bb.40:
	s_or_b32 exec_lo, exec_lo, s3
	v_and_b32_e32 v84, 0x7f800000, v80
	s_delay_alu instid0(VALU_DEP_1) | instskip(SKIP_1) | instid1(SALU_CYCLE_1)
	v_cmp_ne_u32_e32 vcc_lo, 0x7f800000, v84
                                        ; implicit-def: $vgpr84
	s_and_saveexec_b32 s3, vcc_lo
	s_xor_b32 s3, exec_lo, s3
; %bb.41:
	v_bfe_u32 v84, v80, 16, 1
	s_delay_alu instid0(VALU_DEP_1)
	v_add3_u32 v84, v80, v84, 0x7fff
                                        ; implicit-def: $vgpr80
; %bb.42:
	s_and_not1_saveexec_b32 s3, s3
; %bb.43:
	v_and_b32_e32 v84, 0xffff, v80
	v_or_b32_e32 v90, 0x10000, v80
	s_delay_alu instid0(VALU_DEP_2) | instskip(NEXT) | instid1(VALU_DEP_2)
	v_cmp_eq_u32_e32 vcc_lo, 0, v84
	v_cndmask_b32_e32 v84, v90, v80, vcc_lo
; %bb.44:
	s_or_b32 exec_lo, exec_lo, s3
	s_load_b64 s[34:35], s[0:1], 0x94
	v_lshlrev_b32_e32 v91, 4, v74
	s_delay_alu instid0(VALU_DEP_2)
	v_perm_b32 v90, v84, v87, 0x7060302
	v_dual_mul_f32 v79, v82, v79 :: v_dual_lshlrev_b32 v80, 6, v65
	v_dual_mul_f32 v77, v82, v77 :: v_dual_lshlrev_b32 v92, 11, v66
	v_mul_f32_e32 v84, v82, v70
	v_perm_b32 v89, v88, v89, 0x7060302
	v_perm_b32 v88, v86, v85, 0x7060302
	;; [unrolled: 1-line block ×3, first 2 shown]
	v_mul_f32_e32 v70, v82, v81
	v_or3_b32 v76, v91, v92, v80
	v_dual_mul_f32 v78, v82, v78 :: v_dual_and_b32 v85, 0x7f800000, v84
	v_mul_f32_e32 v83, v82, v72
	v_mul_f32_e32 v81, v82, v71
	;; [unrolled: 1-line block ×3, first 2 shown]
	s_mov_b32 s3, exec_lo
	ds_store_b128 v76, v[87:90]
                                        ; implicit-def: $vgpr69
	v_cmpx_ne_u32_e32 0x7f800000, v85
	s_xor_b32 s3, exec_lo, s3
; %bb.45:
	v_bfe_u32 v69, v84, 16, 1
	s_delay_alu instid0(VALU_DEP_1)
	v_add3_u32 v69, v84, v69, 0x7fff
                                        ; implicit-def: $vgpr84
; %bb.46:
	s_and_not1_saveexec_b32 s3, s3
; %bb.47:
	v_and_b32_e32 v69, 0xffff, v84
	v_or_b32_e32 v71, 0x10000, v84
	s_delay_alu instid0(VALU_DEP_2) | instskip(NEXT) | instid1(VALU_DEP_2)
	v_cmp_eq_u32_e32 vcc_lo, 0, v69
	v_cndmask_b32_e32 v69, v71, v84, vcc_lo
; %bb.48:
	s_or_b32 exec_lo, exec_lo, s3
	v_and_b32_e32 v71, 0x7f800000, v72
	s_delay_alu instid0(VALU_DEP_1) | instskip(SKIP_1) | instid1(SALU_CYCLE_1)
	v_cmp_ne_u32_e32 vcc_lo, 0x7f800000, v71
                                        ; implicit-def: $vgpr71
	s_and_saveexec_b32 s3, vcc_lo
	s_xor_b32 s3, exec_lo, s3
; %bb.49:
	v_bfe_u32 v71, v72, 16, 1
	s_delay_alu instid0(VALU_DEP_1)
	v_add3_u32 v71, v72, v71, 0x7fff
                                        ; implicit-def: $vgpr72
; %bb.50:
	s_and_not1_saveexec_b32 s3, s3
; %bb.51:
	v_and_b32_e32 v71, 0xffff, v72
	v_or_b32_e32 v82, 0x10000, v72
	s_delay_alu instid0(VALU_DEP_2) | instskip(NEXT) | instid1(VALU_DEP_2)
	v_cmp_eq_u32_e32 vcc_lo, 0, v71
	v_cndmask_b32_e32 v71, v82, v72, vcc_lo
; %bb.52:
	s_or_b32 exec_lo, exec_lo, s3
	v_and_b32_e32 v72, 0x7f800000, v81
	s_delay_alu instid0(VALU_DEP_1) | instskip(SKIP_1) | instid1(SALU_CYCLE_1)
	v_cmp_ne_u32_e32 vcc_lo, 0x7f800000, v72
                                        ; implicit-def: $vgpr72
	s_and_saveexec_b32 s3, vcc_lo
	s_xor_b32 s3, exec_lo, s3
; %bb.53:
	v_bfe_u32 v72, v81, 16, 1
	s_delay_alu instid0(VALU_DEP_1)
	v_add3_u32 v72, v81, v72, 0x7fff
                                        ; implicit-def: $vgpr81
; %bb.54:
	s_and_not1_saveexec_b32 s3, s3
; %bb.55:
	v_and_b32_e32 v72, 0xffff, v81
	v_or_b32_e32 v82, 0x10000, v81
	s_delay_alu instid0(VALU_DEP_2) | instskip(NEXT) | instid1(VALU_DEP_2)
	v_cmp_eq_u32_e32 vcc_lo, 0, v72
	v_cndmask_b32_e32 v72, v82, v81, vcc_lo
; %bb.56:
	s_or_b32 exec_lo, exec_lo, s3
	v_and_b32_e32 v81, 0x7f800000, v83
	s_delay_alu instid0(VALU_DEP_1) | instskip(SKIP_1) | instid1(SALU_CYCLE_1)
	v_cmp_ne_u32_e32 vcc_lo, 0x7f800000, v81
                                        ; implicit-def: $vgpr81
	s_and_saveexec_b32 s3, vcc_lo
	s_xor_b32 s3, exec_lo, s3
; %bb.57:
	v_bfe_u32 v81, v83, 16, 1
	s_delay_alu instid0(VALU_DEP_1)
	v_add3_u32 v81, v83, v81, 0x7fff
                                        ; implicit-def: $vgpr83
; %bb.58:
	s_and_not1_saveexec_b32 s3, s3
; %bb.59:
	v_and_b32_e32 v81, 0xffff, v83
	v_or_b32_e32 v82, 0x10000, v83
	s_delay_alu instid0(VALU_DEP_2) | instskip(NEXT) | instid1(VALU_DEP_2)
	v_cmp_eq_u32_e32 vcc_lo, 0, v81
	v_cndmask_b32_e32 v81, v82, v83, vcc_lo
; %bb.60:
	s_or_b32 exec_lo, exec_lo, s3
	v_and_b32_e32 v82, 0x7f800000, v77
	s_delay_alu instid0(VALU_DEP_1) | instskip(SKIP_1) | instid1(SALU_CYCLE_1)
	v_cmp_ne_u32_e32 vcc_lo, 0x7f800000, v82
                                        ; implicit-def: $vgpr82
	s_and_saveexec_b32 s3, vcc_lo
	s_xor_b32 s3, exec_lo, s3
; %bb.61:
	v_bfe_u32 v82, v77, 16, 1
	s_delay_alu instid0(VALU_DEP_1)
	v_add3_u32 v82, v77, v82, 0x7fff
                                        ; implicit-def: $vgpr77
; %bb.62:
	s_and_not1_saveexec_b32 s3, s3
; %bb.63:
	v_and_b32_e32 v82, 0xffff, v77
	v_or_b32_e32 v83, 0x10000, v77
	s_delay_alu instid0(VALU_DEP_2) | instskip(NEXT) | instid1(VALU_DEP_2)
	v_cmp_eq_u32_e32 vcc_lo, 0, v82
	v_cndmask_b32_e32 v82, v83, v77, vcc_lo
; %bb.64:
	s_or_b32 exec_lo, exec_lo, s3
	v_and_b32_e32 v77, 0x7f800000, v78
	s_delay_alu instid0(VALU_DEP_1) | instskip(SKIP_1) | instid1(SALU_CYCLE_1)
	v_cmp_ne_u32_e32 vcc_lo, 0x7f800000, v77
                                        ; implicit-def: $vgpr77
	s_and_saveexec_b32 s3, vcc_lo
	s_xor_b32 s3, exec_lo, s3
; %bb.65:
	v_bfe_u32 v77, v78, 16, 1
	s_delay_alu instid0(VALU_DEP_1)
	v_add3_u32 v77, v78, v77, 0x7fff
                                        ; implicit-def: $vgpr78
; %bb.66:
	s_and_not1_saveexec_b32 s3, s3
; %bb.67:
	v_and_b32_e32 v77, 0xffff, v78
	v_or_b32_e32 v83, 0x10000, v78
	s_delay_alu instid0(VALU_DEP_2) | instskip(NEXT) | instid1(VALU_DEP_2)
	v_cmp_eq_u32_e32 vcc_lo, 0, v77
	v_cndmask_b32_e32 v77, v83, v78, vcc_lo
; %bb.68:
	s_or_b32 exec_lo, exec_lo, s3
	v_and_b32_e32 v78, 0x7f800000, v79
	s_delay_alu instid0(VALU_DEP_1) | instskip(SKIP_1) | instid1(SALU_CYCLE_1)
	v_cmp_ne_u32_e32 vcc_lo, 0x7f800000, v78
                                        ; implicit-def: $vgpr78
	s_and_saveexec_b32 s3, vcc_lo
	s_xor_b32 s3, exec_lo, s3
; %bb.69:
	v_bfe_u32 v78, v79, 16, 1
	s_delay_alu instid0(VALU_DEP_1)
	v_add3_u32 v78, v79, v78, 0x7fff
                                        ; implicit-def: $vgpr79
; %bb.70:
	s_and_not1_saveexec_b32 s3, s3
; %bb.71:
	v_and_b32_e32 v78, 0xffff, v79
	v_or_b32_e32 v83, 0x10000, v79
	s_delay_alu instid0(VALU_DEP_2) | instskip(NEXT) | instid1(VALU_DEP_2)
	v_cmp_eq_u32_e32 vcc_lo, 0, v78
	v_cndmask_b32_e32 v78, v83, v79, vcc_lo
; %bb.72:
	s_or_b32 exec_lo, exec_lo, s3
	v_and_b32_e32 v79, 0x7f800000, v70
	s_delay_alu instid0(VALU_DEP_1) | instskip(SKIP_1) | instid1(SALU_CYCLE_1)
	v_cmp_ne_u32_e32 vcc_lo, 0x7f800000, v79
                                        ; implicit-def: $vgpr79
	s_and_saveexec_b32 s3, vcc_lo
	s_xor_b32 s3, exec_lo, s3
; %bb.73:
	v_bfe_u32 v79, v70, 16, 1
	s_delay_alu instid0(VALU_DEP_1)
	v_add3_u32 v79, v70, v79, 0x7fff
                                        ; implicit-def: $vgpr70
; %bb.74:
	s_and_not1_saveexec_b32 s3, s3
; %bb.75:
	v_and_b32_e32 v79, 0xffff, v70
	v_or_b32_e32 v83, 0x10000, v70
	s_delay_alu instid0(VALU_DEP_2) | instskip(NEXT) | instid1(VALU_DEP_2)
	v_cmp_eq_u32_e32 vcc_lo, 0, v79
	v_cndmask_b32_e32 v79, v83, v70, vcc_lo
; %bb.76:
	s_or_b32 exec_lo, exec_lo, s3
	s_delay_alu instid0(VALU_DEP_1)
	v_perm_b32 v86, v79, v78, 0x7060302
	v_perm_b32 v85, v77, v82, 0x7060302
	;; [unrolled: 1-line block ×4, first 2 shown]
	v_lshl_or_b32 v82, v66, 11, v80
	ds_store_b128 v76, v[83:86] offset:1024
	s_waitcnt lgkmcnt(0)
	s_barrier
	buffer_gl0_inv
	ds_load_b128 v[69:72], v82
	ds_load_b128 v[83:86], v82 offset:16
	s_waitcnt lgkmcnt(1)
	v_lshrrev_b32_e32 v66, 16, v69
	s_waitcnt lgkmcnt(0)
	v_lshrrev_b32_e32 v91, 16, v83
	v_lshlrev_b32_e32 v78, 2, v74
	v_lshrrev_b32_e32 v95, 16, v70
	v_lshrrev_b32_e32 v98, 16, v84
	;; [unrolled: 1-line block ×4, first 2 shown]
	v_cmp_eq_u32_e32 vcc_lo, 1, v78
	v_lshrrev_b32_e32 v97, 16, v72
	v_lshrrev_b32_e32 v100, 16, v86
	v_cndmask_b32_e32 v87, v83, v91, vcc_lo
	v_or_b32_e32 v79, 1, v78
	v_cndmask_b32_e32 v81, v69, v66, vcc_lo
	v_cmp_eq_u32_e64 s4, 2, v78
	v_cmp_eq_u32_e64 s7, 3, v78
	;; [unrolled: 1-line block ×5, first 2 shown]
	v_cndmask_b32_e64 v81, v81, v70, s4
	v_cndmask_b32_e64 v87, v87, v84, s4
	v_cmp_eq_u32_e64 s8, 3, v79
	v_cndmask_b32_e64 v88, v69, v66, s3
	v_or_b32_e32 v77, 2, v78
	v_cndmask_b32_e64 v81, v81, v95, s7
	v_cndmask_b32_e64 v87, v87, v98, s7
	;; [unrolled: 1-line block ×4, first 2 shown]
	v_cmp_eq_u32_e64 s10, 5, v78
	v_cndmask_b32_e64 v81, v81, v71, s9
	v_cndmask_b32_e64 v87, v87, v85, s9
	v_cmp_eq_u32_e64 s11, 4, v79
	v_cndmask_b32_e64 v88, v88, v95, s8
	v_cmp_eq_u32_e64 s5, 1, v77
	v_cndmask_b32_e64 v89, v89, v84, s6
	v_cndmask_b32_e64 v81, v81, v96, s10
	v_cmp_eq_u32_e64 s12, 6, v78
	v_cndmask_b32_e64 v88, v88, v71, s11
	;; [unrolled: 3-line block ×3, first 2 shown]
	v_cndmask_b32_e64 v89, v89, v98, s8
	v_cndmask_b32_e64 v81, v81, v72, s12
	v_cmp_eq_u32_e64 s15, 7, v78
	v_cndmask_b32_e64 v88, v88, v96, s13
	v_cndmask_b32_e64 v87, v87, v86, s12
	v_cmp_eq_u32_e64 s16, 6, v79
	v_cmp_eq_u32_e64 s17, 2, v77
	v_cndmask_b32_e64 v89, v89, v85, s11
	v_cndmask_b32_e64 v101, v81, v97, s15
	;; [unrolled: 1-line block ×6, first 2 shown]
	v_cmp_eq_u32_e64 s18, 7, v79
	v_cmp_eq_u32_e64 s19, 3, v77
	;; [unrolled: 1-line block ×4, first 2 shown]
	v_cndmask_b32_e64 v87, v87, v84, s17
	v_cndmask_b32_e64 v103, v88, v97, s18
	;; [unrolled: 1-line block ×4, first 2 shown]
	v_or_b32_e32 v81, 3, v78
	v_cndmask_b32_e64 v93, v87, v98, s19
	v_cmp_eq_u32_e64 s24, 6, v77
	v_cndmask_b32_e64 v104, v88, v86, s16
	v_cndmask_b32_e64 v92, v89, v71, s20
	v_cmp_eq_u32_e64 s21, 1, v81
	ds_load_b128 v[87:90], v82 offset:1024
	v_cmp_eq_u32_e64 s23, 2, v81
	v_cmp_eq_u32_e64 s25, 3, v81
	v_cndmask_b32_e64 v105, v92, v96, s22
	v_cndmask_b32_e64 v66, v69, v66, s21
	;; [unrolled: 1-line block ×4, first 2 shown]
	ds_load_b128 v[91:94], v82 offset:1040
	v_cmp_eq_u32_e64 s26, 4, v81
	v_cndmask_b32_e64 v66, v66, v70, s23
	v_cmp_eq_u32_e64 s27, 7, v77
	v_cndmask_b32_e64 v70, v83, v84, s23
	v_cndmask_b32_e64 v84, v105, v72, s24
	v_cmp_eq_u32_e64 s28, 5, v81
	v_cndmask_b32_e64 v66, v66, v95, s25
	v_cmp_eq_u32_e64 s29, 6, v81
	v_cndmask_b32_e64 v70, v70, v98, s25
	v_cndmask_b32_e64 v69, v69, v99, s22
	v_cndmask_b32_e64 v83, v104, v100, s18
	v_cndmask_b32_e64 v66, v66, v71, s26
	s_waitcnt lgkmcnt(1)
	v_lshrrev_b32_e32 v95, 16, v87
	v_cndmask_b32_e64 v70, v70, v85, s26
	v_cndmask_b32_e64 v71, v84, v97, s27
	;; [unrolled: 1-line block ×4, first 2 shown]
	v_cndmask_b32_e32 v84, v87, v95, vcc_lo
	v_cndmask_b32_e64 v70, v70, v99, s28
	s_waitcnt lgkmcnt(0)
	v_lshrrev_b32_e32 v85, 16, v91
	v_lshrrev_b32_e32 v96, 16, v88
	v_cndmask_b32_e64 v98, v87, v95, s3
	v_cndmask_b32_e64 v84, v84, v88, s4
	;; [unrolled: 1-line block ×3, first 2 shown]
	v_cndmask_b32_e32 v99, v91, v85, vcc_lo
	v_cmp_eq_u32_e32 vcc_lo, 7, v81
	v_cndmask_b32_e64 v66, v66, v72, s29
	v_cndmask_b32_e64 v72, v84, v96, s7
	;; [unrolled: 1-line block ×3, first 2 shown]
	v_lshrrev_b32_e32 v98, 16, v92
	v_cndmask_b32_e32 v70, v70, v100, vcc_lo
	v_cndmask_b32_e64 v86, v99, v92, s4
	v_cndmask_b32_e64 v69, v69, v100, s27
	v_lshrrev_b32_e32 v100, 16, v93
	v_cndmask_b32_e64 v72, v72, v89, s9
	v_lshrrev_b32_e32 v99, 16, v89
	v_cndmask_b32_e64 v86, v86, v98, s7
	v_perm_b32 v71, v69, v71, 0x5040100
	v_cndmask_b32_e64 v84, v84, v96, s8
	s_delay_alu instid0(VALU_DEP_3) | instskip(NEXT) | instid1(VALU_DEP_2)
	v_cndmask_b32_e64 v86, v86, v93, s9
	v_cndmask_b32_e64 v84, v84, v89, s11
	s_delay_alu instid0(VALU_DEP_2) | instskip(NEXT) | instid1(VALU_DEP_1)
	v_cndmask_b32_e64 v86, v86, v100, s10
	v_cndmask_b32_e64 v69, v86, v94, s12
	;; [unrolled: 1-line block ×5, first 2 shown]
	s_delay_alu instid0(VALU_DEP_3) | instskip(NEXT) | instid1(VALU_DEP_3)
	v_cndmask_b32_e64 v86, v86, v88, s17
	v_cndmask_b32_e64 v87, v87, v88, s23
	s_delay_alu instid0(VALU_DEP_3) | instskip(NEXT) | instid1(VALU_DEP_3)
	v_cndmask_b32_e64 v88, v95, v92, s23
	v_cndmask_b32_e64 v86, v86, v96, s19
	;; [unrolled: 3-line block ×7, first 2 shown]
	s_delay_alu instid0(VALU_DEP_3) | instskip(SKIP_2) | instid1(VALU_DEP_2)
	v_cndmask_b32_e64 v88, v88, v94, s29
	v_cndmask_b32_e32 v66, v66, v97, vcc_lo
	v_cndmask_b32_e64 v97, v72, v99, s10
	v_perm_b32 v72, v70, v66, 0x5040100
	v_perm_b32 v70, v83, v103, 0x5040100
	v_cndmask_b32_e64 v103, v91, v85, s5
	v_cndmask_b32_e64 v85, v91, v85, s3
	;; [unrolled: 1-line block ×4, first 2 shown]
	v_lshrrev_b32_e32 v97, 16, v90
	v_cndmask_b32_e64 v91, v103, v92, s17
	v_cndmask_b32_e64 v85, v85, v92, s6
	;; [unrolled: 1-line block ×3, first 2 shown]
	s_mov_b32 s3, exec_lo
	v_cndmask_b32_e64 v83, v84, v97, s15
	v_cndmask_b32_e64 v91, v91, v98, s19
	;; [unrolled: 1-line block ×3, first 2 shown]
	v_lshrrev_b32_e32 v84, 16, v94
	v_cndmask_b32_e64 v66, v66, v97, s18
	v_cndmask_b32_e64 v90, v86, v97, s27
	;; [unrolled: 1-line block ×4, first 2 shown]
	v_dual_cndmask_b32 v86, v87, v97 :: v_dual_cndmask_b32 v87, v88, v84
	v_cndmask_b32_e64 v91, v69, v84, s15
	s_delay_alu instid0(VALU_DEP_4) | instskip(NEXT) | instid1(VALU_DEP_4)
	v_cndmask_b32_e64 v89, v89, v100, s22
	v_cndmask_b32_e64 v85, v85, v100, s13
	v_perm_b32 v69, v102, v101, 0x5040100
	v_perm_b32 v86, v87, v86, 0x5040100
	;; [unrolled: 1-line block ×3, first 2 shown]
	v_cndmask_b32_e64 v89, v89, v94, s24
	v_cndmask_b32_e64 v85, v85, v94, s16
	s_mul_i32 s8, s35, 5
	s_delay_alu instid0(VALU_DEP_2) | instskip(NEXT) | instid1(VALU_DEP_2)
	v_cndmask_b32_e64 v88, v89, v84, s27
	v_cndmask_b32_e64 v89, v85, v84, s18
	s_delay_alu instid0(VALU_DEP_2) | instskip(NEXT) | instid1(VALU_DEP_2)
	v_perm_b32 v85, v88, v90, 0x5040100
	v_perm_b32 v84, v89, v66, 0x5040100
	ds_store_b128 v76, v[69:72]
	ds_store_b128 v76, v[83:86] offset:1024
	v_cmpx_gt_u32_e32 5, v0
	s_cbranch_execz .LBB1826_78
; %bb.77:
	s_mul_i32 s4, s8, s30
	s_delay_alu instid0(SALU_CYCLE_1) | instskip(SKIP_1) | instid1(VALU_DEP_1)
	v_add3_u32 v69, s4, s31, v65
	s_load_b128 s[4:7], s[0:1], 0x58
	v_mad_u64_u32 v[65:66], null, v69, s34, s[14:15]
	s_delay_alu instid0(VALU_DEP_1) | instskip(NEXT) | instid1(VALU_DEP_1)
	v_ashrrev_i32_e32 v66, 31, v65
	v_lshlrev_b64 v[65:66], 2, v[65:66]
	s_waitcnt lgkmcnt(0)
	s_delay_alu instid0(VALU_DEP_1) | instskip(NEXT) | instid1(VALU_DEP_2)
	v_add_co_u32 v69, vcc_lo, s6, v65
	v_add_co_ci_u32_e32 v70, vcc_lo, s7, v66, vcc_lo
	v_add_co_u32 v65, vcc_lo, s4, v65
	v_add_co_ci_u32_e32 v66, vcc_lo, s5, v66, vcc_lo
	global_store_b32 v[69:70], v67, off
	global_store_b32 v[65:66], v68, off
.LBB1826_78:
	s_or_b32 exec_lo, exec_lo, s3
	s_waitcnt lgkmcnt(0)
	s_waitcnt_vscnt null, 0x0
	s_barrier
	buffer_gl0_inv
	ds_load_b128 v[83:86], v80
	ds_load_b128 v[87:90], v80 offset:16
	ds_load_b128 v[95:98], v80 offset:2064
	;; [unrolled: 1-line block ×3, first 2 shown]
	v_mov_b32_e32 v65, 0
	ds_load_b128 v[103:106], v80 offset:4112
	ds_load_b128 v[99:102], v80 offset:4096
	;; [unrolled: 1-line block ×4, first 2 shown]
	v_mov_b32_e32 v66, v65
	v_mov_b32_e32 v67, v65
	;; [unrolled: 1-line block ×7, first 2 shown]
	s_waitcnt lgkmcnt(6)
	s_delay_alu instid0(VALU_DEP_1)
	v_wmma_f32_16x16x16_bf16 v[65:72], v[41:48], v[83:90], v[65:72]
	ds_load_b128 v[45:48], v80 offset:8208
	ds_load_b128 v[41:44], v80 offset:8192
	s_waitcnt lgkmcnt(6)
	v_wmma_f32_16x16x16_bf16 v[65:72], v[33:40], v[91:98], v[65:72]
	ds_load_b128 v[37:40], v80 offset:10256
	ds_load_b128 v[33:36], v80 offset:10240
	s_waitcnt lgkmcnt(6)
	;; [unrolled: 4-line block ×4, first 2 shown]
	v_wmma_f32_16x16x16_bf16 v[65:72], v[1:8], v[41:48], v[65:72]
	s_waitcnt lgkmcnt(4)
	s_delay_alu instid0(VALU_DEP_1) | instskip(SKIP_1) | instid1(VALU_DEP_1)
	v_wmma_f32_16x16x16_bf16 v[65:72], v[9:16], v[33:40], v[65:72]
	s_waitcnt lgkmcnt(2)
	v_wmma_f32_16x16x16_bf16 v[65:72], v[57:64], v[25:32], v[65:72]
	s_waitcnt lgkmcnt(0)
	s_delay_alu instid0(VALU_DEP_1) | instskip(NEXT) | instid1(VALU_DEP_1)
	v_wmma_f32_16x16x16_bf16 v[65:72], v[49:56], v[17:24], v[65:72]
	v_and_b32_e32 v1, 0x7f800000, v65
	s_delay_alu instid0(VALU_DEP_1) | instskip(SKIP_1) | instid1(SALU_CYCLE_1)
	v_cmp_ne_u32_e32 vcc_lo, 0x7f800000, v1
                                        ; implicit-def: $vgpr1
	s_and_saveexec_b32 s3, vcc_lo
	s_xor_b32 s3, exec_lo, s3
; %bb.79:
	v_bfe_u32 v1, v65, 16, 1
	s_delay_alu instid0(VALU_DEP_1)
	v_add3_u32 v1, v65, v1, 0x7fff
; %bb.80:
	s_and_not1_saveexec_b32 s3, s3
; %bb.81:
	v_and_b32_e32 v1, 0xffff, v65
	v_or_b32_e32 v2, 0x10000, v65
	s_delay_alu instid0(VALU_DEP_2) | instskip(NEXT) | instid1(VALU_DEP_2)
	v_cmp_eq_u32_e32 vcc_lo, 0, v1
	v_cndmask_b32_e32 v1, v2, v65, vcc_lo
; %bb.82:
	s_or_b32 exec_lo, exec_lo, s3
	v_and_b32_e32 v2, 0x7f800000, v66
	s_delay_alu instid0(VALU_DEP_1) | instskip(SKIP_1) | instid1(SALU_CYCLE_1)
	v_cmp_ne_u32_e32 vcc_lo, 0x7f800000, v2
                                        ; implicit-def: $vgpr2
	s_and_saveexec_b32 s3, vcc_lo
	s_xor_b32 s3, exec_lo, s3
; %bb.83:
	v_bfe_u32 v2, v66, 16, 1
	s_delay_alu instid0(VALU_DEP_1)
	v_add3_u32 v2, v66, v2, 0x7fff
; %bb.84:
	s_and_not1_saveexec_b32 s3, s3
; %bb.85:
	v_and_b32_e32 v2, 0xffff, v66
	v_or_b32_e32 v3, 0x10000, v66
	s_delay_alu instid0(VALU_DEP_2) | instskip(NEXT) | instid1(VALU_DEP_2)
	v_cmp_eq_u32_e32 vcc_lo, 0, v2
	v_cndmask_b32_e32 v2, v3, v66, vcc_lo
; %bb.86:
	s_or_b32 exec_lo, exec_lo, s3
	v_and_b32_e32 v3, 0x7f800000, v67
	s_delay_alu instid0(VALU_DEP_1) | instskip(SKIP_1) | instid1(SALU_CYCLE_1)
	v_cmp_ne_u32_e32 vcc_lo, 0x7f800000, v3
                                        ; implicit-def: $vgpr3
	s_and_saveexec_b32 s3, vcc_lo
	s_xor_b32 s3, exec_lo, s3
; %bb.87:
	v_bfe_u32 v3, v67, 16, 1
	s_delay_alu instid0(VALU_DEP_1)
	v_add3_u32 v3, v67, v3, 0x7fff
; %bb.88:
	s_and_not1_saveexec_b32 s3, s3
; %bb.89:
	v_and_b32_e32 v3, 0xffff, v67
	v_or_b32_e32 v4, 0x10000, v67
	s_delay_alu instid0(VALU_DEP_2) | instskip(NEXT) | instid1(VALU_DEP_2)
	v_cmp_eq_u32_e32 vcc_lo, 0, v3
	v_cndmask_b32_e32 v3, v4, v67, vcc_lo
; %bb.90:
	s_or_b32 exec_lo, exec_lo, s3
	v_and_b32_e32 v4, 0x7f800000, v68
	s_delay_alu instid0(VALU_DEP_1) | instskip(SKIP_1) | instid1(SALU_CYCLE_1)
	v_cmp_ne_u32_e32 vcc_lo, 0x7f800000, v4
                                        ; implicit-def: $vgpr4
	s_and_saveexec_b32 s3, vcc_lo
	s_xor_b32 s3, exec_lo, s3
; %bb.91:
	v_bfe_u32 v4, v68, 16, 1
	s_delay_alu instid0(VALU_DEP_1)
	v_add3_u32 v4, v68, v4, 0x7fff
; %bb.92:
	s_and_not1_saveexec_b32 s3, s3
; %bb.93:
	v_and_b32_e32 v4, 0xffff, v68
	v_or_b32_e32 v5, 0x10000, v68
	s_delay_alu instid0(VALU_DEP_2) | instskip(NEXT) | instid1(VALU_DEP_2)
	v_cmp_eq_u32_e32 vcc_lo, 0, v4
	v_cndmask_b32_e32 v4, v5, v68, vcc_lo
; %bb.94:
	s_or_b32 exec_lo, exec_lo, s3
	v_and_b32_e32 v5, 0x7f800000, v69
	s_delay_alu instid0(VALU_DEP_1) | instskip(SKIP_1) | instid1(SALU_CYCLE_1)
	v_cmp_ne_u32_e32 vcc_lo, 0x7f800000, v5
                                        ; implicit-def: $vgpr5
	s_and_saveexec_b32 s3, vcc_lo
	s_xor_b32 s3, exec_lo, s3
; %bb.95:
	v_bfe_u32 v5, v69, 16, 1
	s_delay_alu instid0(VALU_DEP_1)
	v_add3_u32 v5, v69, v5, 0x7fff
; %bb.96:
	s_and_not1_saveexec_b32 s3, s3
; %bb.97:
	v_and_b32_e32 v5, 0xffff, v69
	v_or_b32_e32 v6, 0x10000, v69
	s_delay_alu instid0(VALU_DEP_2) | instskip(NEXT) | instid1(VALU_DEP_2)
	v_cmp_eq_u32_e32 vcc_lo, 0, v5
	v_cndmask_b32_e32 v5, v6, v69, vcc_lo
; %bb.98:
	s_or_b32 exec_lo, exec_lo, s3
	v_and_b32_e32 v6, 0x7f800000, v70
	s_delay_alu instid0(VALU_DEP_1) | instskip(SKIP_1) | instid1(SALU_CYCLE_1)
	v_cmp_ne_u32_e32 vcc_lo, 0x7f800000, v6
                                        ; implicit-def: $vgpr6
	s_and_saveexec_b32 s3, vcc_lo
	s_xor_b32 s3, exec_lo, s3
; %bb.99:
	v_bfe_u32 v6, v70, 16, 1
	s_delay_alu instid0(VALU_DEP_1)
	v_add3_u32 v6, v70, v6, 0x7fff
; %bb.100:
	s_and_not1_saveexec_b32 s3, s3
; %bb.101:
	v_and_b32_e32 v6, 0xffff, v70
	v_or_b32_e32 v7, 0x10000, v70
	s_delay_alu instid0(VALU_DEP_2) | instskip(NEXT) | instid1(VALU_DEP_2)
	v_cmp_eq_u32_e32 vcc_lo, 0, v6
	v_cndmask_b32_e32 v6, v7, v70, vcc_lo
; %bb.102:
	s_or_b32 exec_lo, exec_lo, s3
	v_and_b32_e32 v7, 0x7f800000, v71
	s_delay_alu instid0(VALU_DEP_1) | instskip(SKIP_1) | instid1(SALU_CYCLE_1)
	v_cmp_ne_u32_e32 vcc_lo, 0x7f800000, v7
                                        ; implicit-def: $vgpr7
	s_and_saveexec_b32 s3, vcc_lo
	s_xor_b32 s3, exec_lo, s3
; %bb.103:
	v_bfe_u32 v7, v71, 16, 1
	s_delay_alu instid0(VALU_DEP_1)
	v_add3_u32 v7, v71, v7, 0x7fff
; %bb.104:
	s_and_not1_saveexec_b32 s3, s3
; %bb.105:
	v_and_b32_e32 v7, 0xffff, v71
	v_or_b32_e32 v8, 0x10000, v71
	s_delay_alu instid0(VALU_DEP_2) | instskip(NEXT) | instid1(VALU_DEP_2)
	v_cmp_eq_u32_e32 vcc_lo, 0, v7
	v_cndmask_b32_e32 v7, v8, v71, vcc_lo
; %bb.106:
	s_or_b32 exec_lo, exec_lo, s3
	v_and_b32_e32 v8, 0x7f800000, v72
	s_delay_alu instid0(VALU_DEP_1) | instskip(SKIP_1) | instid1(SALU_CYCLE_1)
	v_cmp_ne_u32_e32 vcc_lo, 0x7f800000, v8
                                        ; implicit-def: $vgpr8
	s_and_saveexec_b32 s3, vcc_lo
	s_xor_b32 s3, exec_lo, s3
; %bb.107:
	v_bfe_u32 v8, v72, 16, 1
	s_delay_alu instid0(VALU_DEP_1)
	v_add3_u32 v8, v72, v8, 0x7fff
                                        ; implicit-def: $vgpr65_vgpr66_vgpr67_vgpr68_vgpr69_vgpr70_vgpr71_vgpr72
; %bb.108:
	s_and_not1_saveexec_b32 s3, s3
; %bb.109:
	v_and_b32_e32 v8, 0xffff, v72
	v_or_b32_e32 v9, 0x10000, v72
	s_delay_alu instid0(VALU_DEP_2) | instskip(NEXT) | instid1(VALU_DEP_2)
	v_cmp_eq_u32_e32 vcc_lo, 0, v8
	v_cndmask_b32_e32 v8, v9, v72, vcc_lo
; %bb.110:
	s_or_b32 exec_lo, exec_lo, s3
	s_delay_alu instid0(VALU_DEP_1)
	v_perm_b32 v7, v8, v7, 0x7060302
	v_perm_b32 v6, v6, v5, 0x7060302
	;; [unrolled: 1-line block ×4, first 2 shown]
	s_barrier
	buffer_gl0_inv
	v_cmp_eq_u32_e32 vcc_lo, 1, v78
	ds_store_b128 v76, v[4:7]
	s_waitcnt lgkmcnt(0)
	s_barrier
	buffer_gl0_inv
	ds_load_b128 v[1:4], v82
	ds_load_b128 v[5:8], v82 offset:16
	v_cmp_eq_u32_e64 s3, 1, v79
	v_cmp_eq_u32_e64 s4, 2, v78
	;; [unrolled: 1-line block ×5, first 2 shown]
	s_waitcnt lgkmcnt(1)
	v_lshrrev_b32_e32 v9, 16, v1
	s_waitcnt lgkmcnt(0)
	v_lshrrev_b32_e32 v13, 16, v5
	v_lshrrev_b32_e32 v10, 16, v2
	;; [unrolled: 1-line block ×4, first 2 shown]
	v_cndmask_b32_e64 v19, v1, v9, s3
	v_cndmask_b32_e32 v18, v5, v13, vcc_lo
	v_cndmask_b32_e64 v20, v5, v13, s3
	v_cndmask_b32_e32 v17, v1, v9, vcc_lo
	v_cmp_eq_u32_e32 vcc_lo, 2, v79
	v_lshrrev_b32_e32 v15, 16, v7
	v_cmp_eq_u32_e64 s3, 1, v77
	v_lshrrev_b32_e32 v12, 16, v4
	v_lshrrev_b32_e32 v16, 16, v8
	v_cndmask_b32_e32 v20, v20, v6, vcc_lo
	v_cndmask_b32_e64 v17, v17, v2, s4
	v_cndmask_b32_e32 v19, v19, v2, vcc_lo
	v_cndmask_b32_e64 v18, v18, v6, s4
	v_cmp_eq_u32_e32 vcc_lo, 4, v78
	v_cmp_eq_u32_e64 s4, 3, v79
	v_cndmask_b32_e64 v17, v17, v10, s5
	v_cndmask_b32_e64 v21, v1, v9, s3
	;; [unrolled: 1-line block ×5, first 2 shown]
	v_cndmask_b32_e32 v17, v17, v3, vcc_lo
	v_cndmask_b32_e64 v20, v20, v14, s4
	v_cndmask_b32_e32 v18, v18, v7, vcc_lo
	v_cmp_eq_u32_e32 vcc_lo, 4, v79
	v_cmp_eq_u32_e64 s4, 5, v79
	v_cmp_eq_u32_e64 s3, 2, v81
	v_cndmask_b32_e64 v21, v21, v2, s7
	v_cmp_eq_u32_e64 s5, 5, v78
	v_cndmask_b32_e32 v19, v19, v3, vcc_lo
	v_cndmask_b32_e32 v20, v20, v7, vcc_lo
	v_cmp_eq_u32_e32 vcc_lo, 6, v79
	s_delay_alu instid0(VALU_DEP_4) | instskip(NEXT) | instid1(VALU_DEP_4)
	v_cndmask_b32_e64 v17, v17, v11, s5
	v_cndmask_b32_e64 v19, v19, v11, s4
	s_delay_alu instid0(VALU_DEP_4) | instskip(SKIP_1) | instid1(VALU_DEP_3)
	v_cndmask_b32_e64 v20, v20, v15, s4
	v_cmp_eq_u32_e64 s4, 1, v81
	v_cndmask_b32_e32 v19, v19, v4, vcc_lo
	v_cndmask_b32_e64 v18, v18, v15, s5
	s_delay_alu instid0(VALU_DEP_3)
	v_cndmask_b32_e64 v1, v1, v9, s4
	v_cndmask_b32_e64 v5, v5, v13, s4
	v_cmp_eq_u32_e64 s4, 3, v77
	v_cndmask_b32_e64 v13, v22, v6, s7
	v_cmp_eq_u32_e64 s7, 3, v81
	v_cndmask_b32_e64 v1, v1, v2, s3
	v_cndmask_b32_e64 v2, v5, v6, s3
	;; [unrolled: 1-line block ×3, first 2 shown]
	v_cmp_eq_u32_e64 s3, 4, v77
	v_cndmask_b32_e64 v6, v13, v14, s4
	v_cndmask_b32_e64 v1, v1, v10, s7
	v_cmp_eq_u32_e64 s4, 4, v81
	v_cndmask_b32_e64 v2, v2, v14, s7
	v_cndmask_b32_e64 v5, v9, v3, s3
	;; [unrolled: 3-line block ×3, first 2 shown]
	v_cndmask_b32_e64 v2, v2, v7, s4
	v_cmp_eq_u32_e64 s3, 5, v81
	v_cmp_eq_u32_e64 s5, 6, v78
	v_cndmask_b32_e64 v5, v5, v11, s7
	v_cmp_eq_u32_e64 s4, 6, v77
	v_cndmask_b32_e64 v3, v6, v15, s7
	v_cndmask_b32_e64 v1, v1, v11, s3
	v_cmp_eq_u32_e64 s7, 6, v81
	v_cndmask_b32_e64 v2, v2, v15, s3
	v_cndmask_b32_e64 v17, v17, v4, s5
	v_cndmask_b32_e64 v18, v18, v8, s5
	v_cmp_eq_u32_e64 s5, 7, v78
	v_cndmask_b32_e64 v5, v5, v4, s4
	;; [unrolled: 4-line block ×3, first 2 shown]
	v_cmp_eq_u32_e64 s4, 7, v77
	v_cndmask_b32_e32 v4, v20, v8, vcc_lo
	v_cndmask_b32_e64 v17, v17, v12, s5
	v_cndmask_b32_e64 v19, v19, v12, s6
	;; [unrolled: 1-line block ×8, first 2 shown]
	s_mov_b32 s3, exec_lo
	v_perm_b32 v4, v2, v1, 0x5040100
	v_perm_b32 v3, v3, v5, 0x5040100
	;; [unrolled: 1-line block ×4, first 2 shown]
	ds_store_b128 v76, v[1:4]
	s_waitcnt lgkmcnt(0)
	s_barrier
	buffer_gl0_inv
	v_cmpx_gt_u32_e32 32, v0
	s_cbranch_execz .LBB1826_2
; %bb.111:
	s_load_b64 s[4:5], s[0:1], 0x68
	v_lshlrev_b32_e32 v0, 10, v0
	v_add_nc_u32_e32 v2, s31, v74
	v_lshlrev_b32_e32 v3, 4, v75
	s_lshl_b32 s0, s34, 7
	s_delay_alu instid0(SALU_CYCLE_1) | instskip(NEXT) | instid1(VALU_DEP_2)
	s_mul_i32 s1, s0, s30
	v_mul_lo_u32 v1, v2, s0
	s_delay_alu instid0(VALU_DEP_2) | instskip(SKIP_2) | instid1(SALU_CYCLE_1)
	v_and_or_b32 v0, 0x3800, v0, v3
	v_add_nc_u32_e32 v2, 2, v2
	s_mul_i32 s6, s1, s8
	s_ashr_i32 s7, s6, 31
	s_delay_alu instid0(VALU_DEP_2)
	v_lshl_or_b32 v7, v74, 6, v0
	s_lshl_b64 s[6:7], s[6:7], 1
	v_mul_lo_u32 v11, v2, s0
	v_ashrrev_i32_e32 v2, 31, v1
	ds_load_b128 v[3:6], v7
	ds_load_b128 v[7:10], v7 offset:128
	s_waitcnt lgkmcnt(0)
	s_add_u32 s1, s4, s6
	s_addc_u32 s3, s5, s7
	s_lshl_b32 s4, s14, 7
	v_ashrrev_i32_e32 v12, 31, v11
	s_ashr_i32 s5, s4, 31
	v_lshlrev_b64 v[13:14], 1, v[1:2]
	s_lshl_b64 s[4:5], s[4:5], 1
	s_delay_alu instid0(SALU_CYCLE_1) | instskip(SKIP_2) | instid1(VALU_DEP_1)
	s_add_u32 s1, s1, s4
	s_addc_u32 s3, s3, s5
	v_add_co_u32 v1, s1, s1, v73
	v_add_co_ci_u32_e64 v2, null, s3, 0, s1
	v_lshlrev_b64 v[11:12], 1, v[11:12]
	s_delay_alu instid0(VALU_DEP_3) | instskip(NEXT) | instid1(VALU_DEP_3)
	v_add_co_u32 v13, vcc_lo, v1, v13
	v_add_co_ci_u32_e32 v14, vcc_lo, v2, v14, vcc_lo
	s_delay_alu instid0(VALU_DEP_3) | instskip(NEXT) | instid1(VALU_DEP_4)
	v_add_co_u32 v11, vcc_lo, v1, v11
	v_add_co_ci_u32_e32 v12, vcc_lo, v2, v12, vcc_lo
	s_clause 0x1
	global_store_b128 v[13:14], v[3:6], off
	global_store_b128 v[11:12], v[7:10], off
	s_and_b32 exec_lo, exec_lo, s2
	s_cbranch_execz .LBB1826_2
; %bb.112:
	ds_load_b128 v[3:6], v0 offset:256
	s_add_i32 s1, s31, 4
	s_delay_alu instid0(SALU_CYCLE_1) | instskip(NEXT) | instid1(SALU_CYCLE_1)
	s_mul_i32 s0, s1, s0
	s_ashr_i32 s1, s0, 31
	s_delay_alu instid0(SALU_CYCLE_1) | instskip(NEXT) | instid1(SALU_CYCLE_1)
	s_lshl_b64 s[0:1], s[0:1], 1
	v_add_co_u32 v0, vcc_lo, v1, s0
	v_add_co_ci_u32_e32 v1, vcc_lo, s1, v2, vcc_lo
	s_waitcnt lgkmcnt(0)
	global_store_b128 v[0:1], v[3:6], off
	s_nop 0
	s_sendmsg sendmsg(MSG_DEALLOC_VGPRS)
	s_endpgm
	.section	.rodata,"a",@progbits
	.p2align	6, 0x0
	.amdhsa_kernel _Z39paged_attention_ll4mi_QKV_mfma16_kernelI14__hip_bfloat16hLN4vllm18Fp8KVCacheDataTypeE1ES0_Li16ELi128ELi256ELb1ELi5EL8MFMAType0EEvPKT_PKT0_S9_ifPKiSB_SB_iPKfiiiPfSE_PS4_PT2_iSD_SD_
		.amdhsa_group_segment_fixed_size 17472
		.amdhsa_private_segment_fixed_size 0
		.amdhsa_kernarg_size 400
		.amdhsa_user_sgpr_count 13
		.amdhsa_user_sgpr_dispatch_ptr 0
		.amdhsa_user_sgpr_queue_ptr 0
		.amdhsa_user_sgpr_kernarg_segment_ptr 1
		.amdhsa_user_sgpr_dispatch_id 0
		.amdhsa_user_sgpr_private_segment_size 0
		.amdhsa_wavefront_size32 1
		.amdhsa_uses_dynamic_stack 0
		.amdhsa_enable_private_segment 0
		.amdhsa_system_sgpr_workgroup_id_x 1
		.amdhsa_system_sgpr_workgroup_id_y 1
		.amdhsa_system_sgpr_workgroup_id_z 1
		.amdhsa_system_sgpr_workgroup_info 0
		.amdhsa_system_vgpr_workitem_id 0
		.amdhsa_next_free_vgpr 140
		.amdhsa_next_free_sgpr 36
		.amdhsa_reserve_vcc 1
		.amdhsa_float_round_mode_32 0
		.amdhsa_float_round_mode_16_64 0
		.amdhsa_float_denorm_mode_32 3
		.amdhsa_float_denorm_mode_16_64 3
		.amdhsa_dx10_clamp 1
		.amdhsa_ieee_mode 1
		.amdhsa_fp16_overflow 0
		.amdhsa_workgroup_processor_mode 1
		.amdhsa_memory_ordered 1
		.amdhsa_forward_progress 0
		.amdhsa_shared_vgpr_count 0
		.amdhsa_exception_fp_ieee_invalid_op 0
		.amdhsa_exception_fp_denorm_src 0
		.amdhsa_exception_fp_ieee_div_zero 0
		.amdhsa_exception_fp_ieee_overflow 0
		.amdhsa_exception_fp_ieee_underflow 0
		.amdhsa_exception_fp_ieee_inexact 0
		.amdhsa_exception_int_div_zero 0
	.end_amdhsa_kernel
	.section	.text._Z39paged_attention_ll4mi_QKV_mfma16_kernelI14__hip_bfloat16hLN4vllm18Fp8KVCacheDataTypeE1ES0_Li16ELi128ELi256ELb1ELi5EL8MFMAType0EEvPKT_PKT0_S9_ifPKiSB_SB_iPKfiiiPfSE_PS4_PT2_iSD_SD_,"axG",@progbits,_Z39paged_attention_ll4mi_QKV_mfma16_kernelI14__hip_bfloat16hLN4vllm18Fp8KVCacheDataTypeE1ES0_Li16ELi128ELi256ELb1ELi5EL8MFMAType0EEvPKT_PKT0_S9_ifPKiSB_SB_iPKfiiiPfSE_PS4_PT2_iSD_SD_,comdat
.Lfunc_end1826:
	.size	_Z39paged_attention_ll4mi_QKV_mfma16_kernelI14__hip_bfloat16hLN4vllm18Fp8KVCacheDataTypeE1ES0_Li16ELi128ELi256ELb1ELi5EL8MFMAType0EEvPKT_PKT0_S9_ifPKiSB_SB_iPKfiiiPfSE_PS4_PT2_iSD_SD_, .Lfunc_end1826-_Z39paged_attention_ll4mi_QKV_mfma16_kernelI14__hip_bfloat16hLN4vllm18Fp8KVCacheDataTypeE1ES0_Li16ELi128ELi256ELb1ELi5EL8MFMAType0EEvPKT_PKT0_S9_ifPKiSB_SB_iPKfiiiPfSE_PS4_PT2_iSD_SD_
                                        ; -- End function
	.section	.AMDGPU.csdata,"",@progbits
; Kernel info:
; codeLenInByte = 8904
; NumSgprs: 38
; NumVgprs: 140
; ScratchSize: 0
; MemoryBound: 0
; FloatMode: 240
; IeeeMode: 1
; LDSByteSize: 17472 bytes/workgroup (compile time only)
; SGPRBlocks: 4
; VGPRBlocks: 17
; NumSGPRsForWavesPerEU: 38
; NumVGPRsForWavesPerEU: 140
; Occupancy: 10
; WaveLimiterHint : 1
; COMPUTE_PGM_RSRC2:SCRATCH_EN: 0
; COMPUTE_PGM_RSRC2:USER_SGPR: 13
; COMPUTE_PGM_RSRC2:TRAP_HANDLER: 0
; COMPUTE_PGM_RSRC2:TGID_X_EN: 1
; COMPUTE_PGM_RSRC2:TGID_Y_EN: 1
; COMPUTE_PGM_RSRC2:TGID_Z_EN: 1
; COMPUTE_PGM_RSRC2:TIDIG_COMP_CNT: 0
	.section	.text._Z39paged_attention_ll4mi_QKV_mfma16_kernelI14__hip_bfloat16hLN4vllm18Fp8KVCacheDataTypeE1ES0_Li16ELi128ELi256ELb1ELi6EL8MFMAType0EEvPKT_PKT0_S9_ifPKiSB_SB_iPKfiiiPfSE_PS4_PT2_iSD_SD_,"axG",@progbits,_Z39paged_attention_ll4mi_QKV_mfma16_kernelI14__hip_bfloat16hLN4vllm18Fp8KVCacheDataTypeE1ES0_Li16ELi128ELi256ELb1ELi6EL8MFMAType0EEvPKT_PKT0_S9_ifPKiSB_SB_iPKfiiiPfSE_PS4_PT2_iSD_SD_,comdat
	.protected	_Z39paged_attention_ll4mi_QKV_mfma16_kernelI14__hip_bfloat16hLN4vllm18Fp8KVCacheDataTypeE1ES0_Li16ELi128ELi256ELb1ELi6EL8MFMAType0EEvPKT_PKT0_S9_ifPKiSB_SB_iPKfiiiPfSE_PS4_PT2_iSD_SD_ ; -- Begin function _Z39paged_attention_ll4mi_QKV_mfma16_kernelI14__hip_bfloat16hLN4vllm18Fp8KVCacheDataTypeE1ES0_Li16ELi128ELi256ELb1ELi6EL8MFMAType0EEvPKT_PKT0_S9_ifPKiSB_SB_iPKfiiiPfSE_PS4_PT2_iSD_SD_
	.globl	_Z39paged_attention_ll4mi_QKV_mfma16_kernelI14__hip_bfloat16hLN4vllm18Fp8KVCacheDataTypeE1ES0_Li16ELi128ELi256ELb1ELi6EL8MFMAType0EEvPKT_PKT0_S9_ifPKiSB_SB_iPKfiiiPfSE_PS4_PT2_iSD_SD_
	.p2align	8
	.type	_Z39paged_attention_ll4mi_QKV_mfma16_kernelI14__hip_bfloat16hLN4vllm18Fp8KVCacheDataTypeE1ES0_Li16ELi128ELi256ELb1ELi6EL8MFMAType0EEvPKT_PKT0_S9_ifPKiSB_SB_iPKfiiiPfSE_PS4_PT2_iSD_SD_,@function
_Z39paged_attention_ll4mi_QKV_mfma16_kernelI14__hip_bfloat16hLN4vllm18Fp8KVCacheDataTypeE1ES0_Li16ELi128ELi256ELb1ELi6EL8MFMAType0EEvPKT_PKT0_S9_ifPKiSB_SB_iPKfiiiPfSE_PS4_PT2_iSD_SD_: ; @_Z39paged_attention_ll4mi_QKV_mfma16_kernelI14__hip_bfloat16hLN4vllm18Fp8KVCacheDataTypeE1ES0_Li16ELi128ELi256ELb1ELi6EL8MFMAType0EEvPKT_PKT0_S9_ifPKiSB_SB_iPKfiiiPfSE_PS4_PT2_iSD_SD_
; %bb.0:
	s_load_b64 s[4:5], s[0:1], 0x30
	s_mov_b32 s30, s13
	s_waitcnt lgkmcnt(0)
	s_cmp_lg_u64 s[4:5], 0
	s_cselect_b32 s13, -1, 0
	s_ashr_i32 s31, s30, 31
	s_cmp_eq_u64 s[4:5], 0
	s_cbranch_scc1 .LBB1827_3
; %bb.1:
	s_lshl_b64 s[2:3], s[30:31], 2
	s_delay_alu instid0(SALU_CYCLE_1) | instskip(SKIP_4) | instid1(SALU_CYCLE_1)
	s_add_u32 s2, s4, s2
	s_addc_u32 s3, s5, s3
	s_load_b64 s[2:3], s[2:3], 0x0
	s_waitcnt lgkmcnt(0)
	s_sub_i32 s2, s3, s2
	s_cmp_eq_u32 s2, 1
	s_cselect_b32 s2, -1, 0
	s_delay_alu instid0(SALU_CYCLE_1)
	s_and_not1_b32 vcc_lo, exec_lo, s2
	s_cbranch_vccz .LBB1827_4
.LBB1827_2:
	s_endpgm
.LBB1827_3:
.LBB1827_4:
	s_load_b64 s[2:3], s[0:1], 0x28
	s_lshl_b64 s[6:7], s[30:31], 2
	s_waitcnt lgkmcnt(0)
	s_add_u32 s2, s2, s6
	s_addc_u32 s3, s3, s7
	s_lshl_b32 s12, s14, 8
	s_load_b32 s17, s[2:3], 0x0
	s_waitcnt lgkmcnt(0)
	s_cmp_ge_i32 s12, s17
	s_cbranch_scc1 .LBB1827_2
; %bb.5:
	s_clause 0x1
	s_load_b128 s[8:11], s[0:1], 0x8
	s_load_b64 s[2:3], s[0:1], 0x20
	s_and_not1_b32 vcc_lo, exec_lo, s13
	s_cbranch_vccnz .LBB1827_7
; %bb.6:
	s_add_u32 s4, s4, s6
	s_addc_u32 s5, s5, s7
	s_load_b32 s13, s[4:5], 0x0
	s_branch .LBB1827_8
.LBB1827_7:
	s_mov_b32 s13, s30
.LBB1827_8:
	s_load_b128 s[4:7], s[0:1], 0x48
	v_and_b32_e32 v65, 15, v0
	v_lshrrev_b32_e32 v66, 5, v0
	v_and_b32_e32 v67, 31, v0
	v_and_b32_e32 v75, 1, v0
	v_bfe_u32 v74, v0, 4, 1
	v_lshlrev_b32_e32 v1, 3, v65
	s_mul_i32 s29, s15, 6
	s_waitcnt lgkmcnt(0)
	s_mov_b32 s7, exec_lo
	s_delay_alu instid0(VALU_DEP_1)
	v_lshlrev_b32_e32 v73, 1, v1
	v_cmpx_gt_u32_e32 0x60, v0
	s_cbranch_execz .LBB1827_10
; %bb.9:
	s_load_b64 s[18:19], s[0:1], 0x0
	v_lshl_or_b32 v5, v66, 1, v74
	s_mul_hi_i32 s21, s13, s4
	s_mul_i32 s20, s13, s4
	v_lshlrev_b32_e32 v6, 10, v65
	s_lshl_b64 s[20:21], s[20:21], 1
	v_add_lshl_u32 v1, v5, s29, 7
	v_lshlrev_b32_e32 v5, 6, v5
	v_lshlrev_b32_e32 v7, 10, v75
	v_and_b32_e32 v6, 0x3800, v6
	s_delay_alu instid0(VALU_DEP_4) | instskip(NEXT) | instid1(VALU_DEP_2)
	v_ashrrev_i32_e32 v2, 31, v1
	v_or3_b32 v5, v6, v7, v5
	s_delay_alu instid0(VALU_DEP_2) | instskip(SKIP_3) | instid1(VALU_DEP_1)
	v_lshlrev_b64 v[1:2], 1, v[1:2]
	s_waitcnt lgkmcnt(0)
	s_add_u32 s4, s18, s20
	s_addc_u32 s13, s19, s21
	v_add_co_u32 v1, vcc_lo, s4, v1
	s_delay_alu instid0(VALU_DEP_2) | instskip(NEXT) | instid1(VALU_DEP_2)
	v_add_co_ci_u32_e32 v2, vcc_lo, s13, v2, vcc_lo
	v_add_co_u32 v1, vcc_lo, v1, v73
	s_delay_alu instid0(VALU_DEP_2)
	v_add_co_ci_u32_e32 v2, vcc_lo, 0, v2, vcc_lo
	global_load_b128 v[1:4], v[1:2], off
	s_waitcnt vmcnt(0)
	ds_store_b128 v5, v[1:4]
.LBB1827_10:
	s_or_b32 exec_lo, exec_lo, s7
	v_and_b32_e32 v1, 0xef, v0
	s_add_i32 s4, s17, 15
	s_clause 0x1
	s_load_b32 s7, s[0:1], 0x38
	s_load_b32 s18, s[0:1], 0x1c
	s_ashr_i32 s13, s4, 31
	v_add_nc_u32_e32 v2, s12, v1
	s_lshr_b32 s13, s13, 28
	s_waitcnt lgkmcnt(0)
	s_add_i32 s4, s4, s13
	s_barrier
	v_ashrrev_i32_e32 v1, 31, v2
	s_ashr_i32 s4, s4, 4
	v_cmp_gt_i32_e32 vcc_lo, s17, v2
	s_add_i32 s4, s4, -1
	buffer_gl0_inv
	v_lshrrev_b32_e32 v3, 28, v1
	v_or_b32_e32 v1, 16, v2
	s_mul_i32 s15, s15, s6
	s_delay_alu instid0(VALU_DEP_2) | instskip(SKIP_1) | instid1(SALU_CYCLE_1)
	v_add_nc_u32_e32 v4, v2, v3
	s_mul_i32 s20, s30, s7
	s_ashr_i32 s21, s20, 31
	s_delay_alu instid0(VALU_DEP_1) | instskip(SKIP_2) | instid1(SALU_CYCLE_1)
	v_ashrrev_i32_e32 v4, 4, v4
	v_add_nc_u32_e32 v3, v1, v3
	s_lshl_b64 s[20:21], s[20:21], 2
	s_add_u32 s2, s2, s20
	s_delay_alu instid0(VALU_DEP_2) | instskip(NEXT) | instid1(VALU_DEP_2)
	v_cndmask_b32_e32 v2, s4, v4, vcc_lo
	v_ashrrev_i32_e32 v3, 4, v3
	v_cmp_gt_i32_e32 vcc_lo, s17, v1
	s_addc_u32 s3, s3, s21
	s_ashr_i32 s6, s15, 31
	s_add_u32 s7, s8, s15
	s_addc_u32 s13, s9, s6
	v_cndmask_b32_e32 v4, s4, v3, vcc_lo
	v_ashrrev_i32_e32 v3, 31, v2
	s_lshl_b32 s8, s14, 4
	s_delay_alu instid0(SALU_CYCLE_1) | instskip(NEXT) | instid1(VALU_DEP_2)
	s_ashr_i32 s9, s8, 31
	v_ashrrev_i32_e32 v5, 31, v4
	s_delay_alu instid0(VALU_DEP_2) | instskip(SKIP_1) | instid1(SALU_CYCLE_1)
	v_lshlrev_b64 v[1:2], 2, v[2:3]
	s_lshl_b64 s[8:9], s[8:9], 2
	s_add_u32 s8, s2, s8
	s_delay_alu instid0(VALU_DEP_2) | instskip(SKIP_1) | instid1(VALU_DEP_2)
	v_lshlrev_b64 v[3:4], 2, v[4:5]
	s_addc_u32 s9, s3, s9
	v_add_co_u32 v1, vcc_lo, s2, v1
	v_add_co_ci_u32_e32 v2, vcc_lo, s3, v2, vcc_lo
	s_delay_alu instid0(VALU_DEP_3) | instskip(NEXT) | instid1(VALU_DEP_4)
	v_add_co_u32 v3, vcc_lo, s2, v3
	v_add_co_ci_u32_e32 v4, vcc_lo, s3, v4, vcc_lo
	s_clause 0x1
	global_load_b32 v5, v[1:2], off
	global_load_b32 v3, v[3:4], off
	v_lshlrev_b32_e32 v1, 4, v0
	s_or_b32 s16, s12, 32
	s_delay_alu instid0(SALU_CYCLE_1) | instskip(SKIP_1) | instid1(VALU_DEP_1)
	s_ashr_i32 s19, s16, 4
	s_cmp_lt_i32 s16, s17
	v_and_b32_e32 v1, 0xf0, v1
	s_cselect_b32 s20, s19, s4
	s_delay_alu instid0(SALU_CYCLE_1) | instskip(NEXT) | instid1(SALU_CYCLE_1)
	s_ashr_i32 s21, s20, 31
	s_lshl_b64 s[20:21], s[20:21], 2
	s_delay_alu instid0(VALU_DEP_1)
	v_add_co_u32 v1, s7, s7, v1
	s_add_u32 s20, s2, s20
	s_addc_u32 s21, s3, s21
	s_or_b32 s16, s12, 64
	v_add_co_ci_u32_e64 v2, null, s13, 0, s7
	s_ashr_i32 s19, s16, 4
	s_cmp_lt_i32 s16, s17
	s_cselect_b32 s22, s19, s4
	s_delay_alu instid0(SALU_CYCLE_1) | instskip(NEXT) | instid1(SALU_CYCLE_1)
	s_ashr_i32 s23, s22, 31
	s_lshl_b64 s[22:23], s[22:23], 2
	s_delay_alu instid0(SALU_CYCLE_1) | instskip(SKIP_2) | instid1(SALU_CYCLE_1)
	s_add_u32 s22, s2, s22
	s_addc_u32 s23, s3, s23
	s_or_b32 s16, s12, 0x60
	s_ashr_i32 s19, s16, 4
	s_cmp_lt_i32 s16, s17
	s_cselect_b32 s24, s19, s4
	s_delay_alu instid0(SALU_CYCLE_1) | instskip(NEXT) | instid1(SALU_CYCLE_1)
	s_ashr_i32 s25, s24, 31
	s_lshl_b64 s[24:25], s[24:25], 2
	s_delay_alu instid0(SALU_CYCLE_1) | instskip(SKIP_2) | instid1(SALU_CYCLE_1)
	s_add_u32 s24, s2, s24
	s_addc_u32 s25, s3, s25
	s_or_b32 s16, s12, 0x80
	;; [unrolled: 10-line block ×3, first 2 shown]
	s_ashr_i32 s19, s16, 4
	s_cmp_lt_i32 s16, s17
	s_cselect_b32 s34, s19, s4
	s_delay_alu instid0(SALU_CYCLE_1) | instskip(NEXT) | instid1(SALU_CYCLE_1)
	s_ashr_i32 s35, s34, 31
	s_lshl_b64 s[34:35], s[34:35], 2
	s_delay_alu instid0(SALU_CYCLE_1)
	s_add_u32 s34, s2, s34
	s_addc_u32 s35, s3, s35
	s_clause 0x5
	s_load_b32 s7, s[8:9], 0x0
	s_load_b32 s13, s[20:21], 0x0
	;; [unrolled: 1-line block ×6, first 2 shown]
	s_or_b32 s8, s12, 0xc0
	s_mov_b32 s20, 0
	s_ashr_i32 s9, s8, 4
	s_cmp_lt_i32 s8, s17
	s_mov_b32 s27, s20
	s_cselect_b32 s8, s9, s4
	s_mov_b32 s21, s20
	s_ashr_i32 s9, s8, 31
	s_mov_b32 s22, s20
	s_lshl_b64 s[8:9], s[8:9], 2
	s_mov_b32 s23, s20
	s_mov_b32 s24, s20
	;; [unrolled: 1-line block ×4, first 2 shown]
	v_dual_mov_b32 v107, s27 :: v_dual_mov_b32 v104, s24
	s_add_u32 s8, s2, s8
	v_dual_mov_b32 v106, s26 :: v_dual_mov_b32 v105, s25
	v_dual_mov_b32 v101, s21 :: v_dual_mov_b32 v100, s20
	s_addc_u32 s9, s3, s9
	v_dual_mov_b32 v103, s23 :: v_dual_mov_b32 v102, s22
	s_or_b32 s20, s12, 0xe0
	s_delay_alu instid0(SALU_CYCLE_1) | instskip(SKIP_2) | instid1(SALU_CYCLE_1)
	s_ashr_i32 s21, s20, 4
	s_cmp_lt_i32 s20, s17
	s_cselect_b32 s20, s21, s4
	s_ashr_i32 s21, s20, 31
	s_delay_alu instid0(SALU_CYCLE_1) | instskip(NEXT) | instid1(SALU_CYCLE_1)
	s_lshl_b64 s[20:21], s[20:21], 2
	s_add_u32 s2, s2, s20
	s_addc_u32 s3, s3, s21
	s_waitcnt vmcnt(1)
	v_mad_i64_i32 v[25:26], null, v5, s5, v[1:2]
	s_waitcnt vmcnt(0)
	v_mad_i64_i32 v[27:28], null, v3, s5, v[1:2]
	s_clause 0xf
	global_load_b128 v[1:4], v[25:26], off
	global_load_b128 v[5:8], v[25:26], off offset:256
	global_load_b128 v[9:12], v[27:28], off
	global_load_b128 v[13:16], v[27:28], off offset:256
	global_load_b128 v[17:20], v[25:26], off offset:512
	;; [unrolled: 1-line block ×13, first 2 shown]
	v_mul_lo_u16 v25, v65, 43
	v_lshlrev_b32_e32 v26, 4, v65
	s_delay_alu instid0(VALU_DEP_2) | instskip(NEXT) | instid1(VALU_DEP_2)
	v_lshrrev_b16 v25, 8, v25
	v_lshl_or_b32 v33, v66, 8, v26
	s_delay_alu instid0(VALU_DEP_2) | instskip(NEXT) | instid1(VALU_DEP_1)
	v_mul_lo_u16 v25, v25, 6
	v_sub_nc_u16 v25, v65, v25
	s_delay_alu instid0(VALU_DEP_1) | instskip(NEXT) | instid1(VALU_DEP_1)
	v_and_b32_e32 v25, 0xff, v25
	v_lshlrev_b32_e32 v72, 6, v25
	ds_load_b128 v[25:28], v72
	ds_load_b128 v[29:32], v72 offset:1024
	ds_load_b128 v[108:111], v72 offset:2048
	;; [unrolled: 1-line block ×3, first 2 shown]
	s_load_b32 s4, s[8:9], 0x0
	ds_load_b128 v[116:119], v72 offset:4096
	ds_load_b128 v[120:123], v72 offset:5120
	s_load_b32 s2, s[2:3], 0x0
	s_add_u32 s8, s10, s15
	s_addc_u32 s6, s11, s6
	v_add_co_u32 v68, s8, s8, v33
	s_delay_alu instid0(VALU_DEP_1) | instskip(SKIP_1) | instid1(VALU_DEP_1)
	v_add_co_ci_u32_e64 v69, null, s6, 0, s8
	s_waitcnt lgkmcnt(0)
	v_mad_i64_i32 v[33:34], null, s7, s5, v[68:69]
	v_mad_i64_i32 v[70:71], null, s16, s5, v[68:69]
	;; [unrolled: 1-line block ×7, first 2 shown]
	s_clause 0x3
	global_load_b128 v[41:44], v[33:34], off
	global_load_b128 v[45:48], v[33:34], off offset:16
	global_load_b128 v[33:36], v[37:38], off
	global_load_b128 v[37:40], v[37:38], off offset:16
	s_waitcnt vmcnt(18)
	v_wmma_f32_16x16x16_bf16 v[124:131], v[1:8], v[25:32], v[100:107]
	s_waitcnt vmcnt(16)
	v_wmma_f32_16x16x16_bf16 v[100:107], v[9:16], v[25:32], v[100:107]
	s_clause 0x1
	global_load_b128 v[25:28], v[70:71], off
	global_load_b128 v[29:32], v[70:71], off offset:16
	s_waitcnt vmcnt(16)
	v_wmma_f32_16x16x16_bf16 v[124:131], v[17:24], v[108:115], v[124:131]
	s_clause 0x1
	global_load_b128 v[17:20], v[132:133], off
	global_load_b128 v[21:24], v[132:133], off offset:16
	s_waitcnt vmcnt(16)
	v_wmma_f32_16x16x16_bf16 v[100:107], v[49:56], v[108:115], v[100:107]
	v_mad_i64_i32 v[53:54], null, s2, s5, v[68:69]
	s_clause 0x3
	global_load_b128 v[1:4], v[134:135], off
	global_load_b128 v[5:8], v[134:135], off offset:16
	global_load_b128 v[9:12], v[136:137], off
	global_load_b128 v[13:16], v[136:137], off offset:16
	s_waitcnt vmcnt(18)
	v_wmma_f32_16x16x16_bf16 v[124:131], v[57:64], v[116:123], v[124:131]
	s_clause 0x3
	global_load_b128 v[57:60], v[138:139], off
	global_load_b128 v[61:64], v[138:139], off offset:16
	global_load_b128 v[49:52], v[53:54], off
	global_load_b128 v[53:56], v[53:54], off offset:16
	v_mbcnt_lo_u32_b32 v69, -1, 0
	s_waitcnt vmcnt(20)
	v_wmma_f32_16x16x16_bf16 v[100:107], v[76:83], v[116:123], v[100:107]
	s_delay_alu instid0(VALU_DEP_2) | instskip(NEXT) | instid1(VALU_DEP_1)
	v_xor_b32_e32 v70, 16, v69
	v_cmp_gt_i32_e32 vcc_lo, 32, v70
	v_cndmask_b32_e32 v69, v69, v70, vcc_lo
	ds_load_b128 v[76:79], v72 offset:6144
	ds_load_b128 v[80:83], v72 offset:7168
	s_waitcnt vmcnt(0) lgkmcnt(0)
	s_barrier
	buffer_gl0_inv
	v_wmma_f32_16x16x16_bf16 v[124:131], v[84:91], v[76:83], v[124:131]
	v_and_b32_e32 v68, 0xe0, v0
	v_wmma_f32_16x16x16_bf16 v[100:107], v[92:99], v[76:83], v[100:107]
	s_delay_alu instid0(VALU_DEP_2) | instskip(NEXT) | instid1(VALU_DEP_4)
	v_dual_mul_f32 v79, s18, v127 :: v_dual_add_nc_u32 v68, s12, v68
	v_mul_f32_e32 v81, s18, v129
	v_dual_mul_f32 v78, s18, v125 :: v_dual_mul_f32 v83, s18, v131
	s_delay_alu instid0(VALU_DEP_4) | instskip(NEXT) | instid1(VALU_DEP_4)
	v_dual_mul_f32 v80, s18, v126 :: v_dual_mul_f32 v95, s18, v103
	v_or_b32_e32 v68, v68, v74
	v_dual_mul_f32 v93, s18, v101 :: v_dual_mul_f32 v82, s18, v128
	v_dual_mul_f32 v97, s18, v105 :: v_dual_mul_f32 v92, s18, v130
	v_mul_f32_e32 v99, s18, v107
	s_delay_alu instid0(VALU_DEP_4)
	v_or_b32_e32 v70, 2, v68
	v_or_b32_e32 v71, 4, v68
	;; [unrolled: 1-line block ×3, first 2 shown]
	v_cmp_gt_i32_e64 s2, s17, v68
	v_or_b32_e32 v108, 8, v68
	v_cmp_gt_i32_e32 vcc_lo, s17, v70
	v_mul_f32_e32 v70, s18, v124
	v_or_b32_e32 v109, 10, v68
	v_cmp_gt_i32_e64 s3, s17, v71
	v_cmp_gt_i32_e64 s4, s17, v72
	v_cndmask_b32_e32 v78, 0xff7fffff, v78, vcc_lo
	v_cndmask_b32_e64 v70, 0xff7fffff, v70, s2
	v_or_b32_e32 v84, 12, v68
	v_or_b32_e32 v85, 14, v68
	v_cndmask_b32_e64 v71, 0xff7fffff, v80, s3
	v_cndmask_b32_e64 v72, 0xff7fffff, v79, s4
	v_max3_f32 v70, v70, 0xff7fffff, v78
	v_cmp_gt_i32_e64 s5, s17, v108
	v_cmp_gt_i32_e64 s6, s17, v109
	v_or_b32_e32 v86, 16, v68
	v_or_b32_e32 v87, 18, v68
	v_max3_f32 v70, v70, v71, v72
	v_cndmask_b32_e64 v78, 0xff7fffff, v82, s5
	v_cndmask_b32_e64 v79, 0xff7fffff, v81, s6
	v_cmp_gt_i32_e64 s7, s17, v84
	v_cmp_gt_i32_e64 s8, s17, v85
	v_or_b32_e32 v88, 20, v68
	v_or_b32_e32 v89, 22, v68
	v_mul_f32_e32 v94, s18, v100
	v_cndmask_b32_e64 v71, 0xff7fffff, v92, s7
	v_cndmask_b32_e64 v72, 0xff7fffff, v83, s8
	v_max3_f32 v70, v70, v78, v79
	v_cmp_gt_i32_e64 s9, s17, v86
	v_cmp_gt_i32_e64 s10, s17, v87
	v_or_b32_e32 v90, 24, v68
	v_or_b32_e32 v91, 26, v68
	v_mul_f32_e32 v96, s18, v102
	v_max3_f32 v70, v70, v71, v72
	v_cndmask_b32_e64 v79, 0xff7fffff, v93, s10
	v_cmp_gt_i32_e64 s11, s17, v88
	v_cmp_gt_i32_e64 s12, s17, v89
	v_lshlrev_b32_e32 v89, 2, v69
	v_cndmask_b32_e64 v78, 0xff7fffff, v94, s9
	v_or_b32_e32 v76, 28, v68
	v_or_b32_e32 v77, 30, v68
	v_mul_f32_e32 v98, s18, v104
	v_cndmask_b32_e64 v71, 0xff7fffff, v96, s11
	v_cndmask_b32_e64 v72, 0xff7fffff, v95, s12
	v_max3_f32 v70, v70, v78, v79
	v_cmp_gt_i32_e64 s13, s17, v90
	v_cmp_gt_i32_e64 s15, s17, v91
	v_mul_f32_e32 v68, s18, v106
	v_cmp_gt_i32_e64 s16, s17, v76
	v_max3_f32 v70, v70, v71, v72
	v_cndmask_b32_e64 v78, 0xff7fffff, v98, s13
	v_cndmask_b32_e64 v79, 0xff7fffff, v97, s15
	v_cmp_gt_i32_e64 s17, s17, v77
	v_cndmask_b32_e64 v68, 0xff7fffff, v68, s16
	s_delay_alu instid0(VALU_DEP_3) | instskip(NEXT) | instid1(VALU_DEP_3)
	v_max3_f32 v70, v70, v78, v79
	v_cndmask_b32_e64 v71, 0xff7fffff, v99, s17
	s_delay_alu instid0(VALU_DEP_1) | instskip(SKIP_3) | instid1(VALU_DEP_1)
	v_max3_f32 v68, v70, v68, v71
	ds_bpermute_b32 v69, v89, v68
	s_waitcnt lgkmcnt(0)
	v_max_f32_e32 v69, v69, v69
	v_max_f32_e32 v68, v68, v69
	s_delay_alu instid0(VALU_DEP_1) | instskip(NEXT) | instid1(VALU_DEP_1)
	v_fma_f32 v76, s18, v128, -v68
	v_mul_f32_e32 v77, 0x3fb8aa3b, v76
	v_fma_f32 v71, s18, v126, -v68
	v_fma_f32 v69, s18, v124, -v68
	;; [unrolled: 1-line block ×4, first 2 shown]
	v_exp_f32_e32 v77, v77
	v_mul_f32_e32 v71, 0x3fb8aa3b, v71
	v_mul_f32_e32 v69, 0x3fb8aa3b, v69
	v_fma_f32 v81, s18, v105, -v68
	v_fma_f32 v78, s18, v130, -v68
	s_delay_alu instid0(VALU_DEP_4) | instskip(NEXT) | instid1(VALU_DEP_3)
	v_exp_f32_e32 v71, v71
	v_exp_f32_e32 v69, v69
	s_delay_alu instid0(VALU_DEP_2) | instskip(NEXT) | instid1(TRANS32_DEP_3)
	v_mul_f32_e32 v81, 0x3fb8aa3b, v81
	v_cndmask_b32_e64 v86, 0, v77, s5
	v_fma_f32 v77, s18, v101, -v68
	s_delay_alu instid0(VALU_DEP_3) | instskip(NEXT) | instid1(TRANS32_DEP_3)
	v_exp_f32_e32 v81, v81
	v_cndmask_b32_e64 v83, 0, v71, s3
	v_fma_f32 v71, s18, v131, -v68
	v_mul_f32_e32 v72, 0x3fb8aa3b, v72
	s_delay_alu instid0(TRANS32_DEP_2) | instskip(SKIP_1) | instid1(VALU_DEP_4)
	v_cndmask_b32_e64 v80, 0, v69, s2
	v_fma_f32 v69, s18, v129, -v68
	v_dual_mul_f32 v70, 0x3fb8aa3b, v70 :: v_dual_mul_f32 v71, 0x3fb8aa3b, v71
	s_delay_alu instid0(VALU_DEP_4) | instskip(SKIP_1) | instid1(VALU_DEP_3)
	v_exp_f32_e32 v72, v72
	v_mul_f32_e32 v77, 0x3fb8aa3b, v77
	v_mul_f32_e32 v69, 0x3fb8aa3b, v69
	s_delay_alu instid0(VALU_DEP_3)
	v_exp_f32_e32 v70, v70
	v_exp_f32_e32 v71, v71
	s_mov_b32 s2, exec_lo
	v_exp_f32_e32 v77, v77
	v_exp_f32_e32 v69, v69
	v_cndmask_b32_e64 v85, 0, v72, s4
	v_fma_f32 v72, s18, v100, -v68
	v_cndmask_b32_e32 v76, 0, v70, vcc_lo
	s_delay_alu instid0(TRANS32_DEP_3) | instskip(SKIP_2) | instid1(TRANS32_DEP_1)
	v_cndmask_b32_e64 v88, 0, v71, s8
	v_fma_f32 v71, s18, v104, -v68
	v_add_f32_e32 v70, 0, v80
	v_cndmask_b32_e64 v87, 0, v69, s6
	s_delay_alu instid0(VALU_DEP_2) | instskip(NEXT) | instid1(VALU_DEP_1)
	v_dual_mul_f32 v71, 0x3fb8aa3b, v71 :: v_dual_add_f32 v70, v70, v76
	v_exp_f32_e32 v82, v71
	s_delay_alu instid0(VALU_DEP_1) | instskip(NEXT) | instid1(VALU_DEP_1)
	v_add_f32_e32 v70, v70, v83
	v_add_f32_e32 v70, v70, v85
	s_delay_alu instid0(VALU_DEP_1) | instskip(SKIP_1) | instid1(VALU_DEP_2)
	v_dual_mul_f32 v72, 0x3fb8aa3b, v72 :: v_dual_add_f32 v69, v70, v86
	v_fma_f32 v70, s18, v102, -v68
	v_exp_f32_e32 v72, v72
	s_delay_alu instid0(VALU_DEP_2) | instskip(NEXT) | instid1(VALU_DEP_2)
	v_dual_add_f32 v69, v69, v87 :: v_dual_mul_f32 v78, 0x3fb8aa3b, v78
	v_mul_f32_e32 v70, 0x3fb8aa3b, v70
	s_delay_alu instid0(VALU_DEP_2) | instskip(NEXT) | instid1(VALU_DEP_1)
	v_exp_f32_e32 v78, v78
	v_exp_f32_e32 v79, v70
	s_delay_alu instid0(TRANS32_DEP_3) | instskip(SKIP_4) | instid1(VALU_DEP_3)
	v_cndmask_b32_e64 v70, 0, v72, s9
	s_waitcnt_depctr 0xfff
	v_cndmask_b32_e64 v84, 0, v78, s7
	v_fma_f32 v78, s18, v103, -v68
	v_cndmask_b32_e64 v71, 0, v79, s11
	v_add_f32_e32 v69, v69, v84
	s_delay_alu instid0(VALU_DEP_1) | instskip(SKIP_2) | instid1(VALU_DEP_1)
	v_add_f32_e32 v72, v69, v88
	v_cndmask_b32_e64 v69, 0, v77, s10
	v_fma_f32 v77, s18, v106, -v68
	v_dual_add_f32 v72, v72, v70 :: v_dual_mul_f32 v77, 0x3fb8aa3b, v77
	s_delay_alu instid0(VALU_DEP_1) | instskip(NEXT) | instid1(VALU_DEP_2)
	v_add_f32_e32 v79, v72, v69
	v_exp_f32_e32 v90, v77
	v_cndmask_b32_e64 v77, 0, v82, s13
	v_mul_f32_e32 v78, 0x3fb8aa3b, v78
	s_delay_alu instid0(VALU_DEP_1) | instskip(SKIP_4) | instid1(VALU_DEP_1)
	v_exp_f32_e32 v78, v78
	s_waitcnt_depctr 0xfff
	v_cndmask_b32_e64 v72, 0, v78, s12
	v_add_f32_e32 v78, v79, v71
	v_fma_f32 v79, s18, v107, -v68
	v_dual_add_f32 v82, v78, v72 :: v_dual_mul_f32 v79, 0x3fb8aa3b, v79
	v_cndmask_b32_e64 v78, 0, v81, s15
	s_delay_alu instid0(VALU_DEP_2) | instskip(NEXT) | instid1(VALU_DEP_3)
	v_add_f32_e32 v81, v82, v77
	v_exp_f32_e32 v82, v79
	v_cndmask_b32_e64 v79, 0, v90, s16
	s_delay_alu instid0(VALU_DEP_2) | instskip(NEXT) | instid1(VALU_DEP_1)
	v_add_f32_e32 v81, v81, v78
	v_add_f32_e32 v90, v81, v79
	s_waitcnt_depctr 0xfff
	v_cndmask_b32_e64 v81, 0, v82, s17
	s_delay_alu instid0(VALU_DEP_1)
	v_add_f32_e32 v82, v90, v81
	ds_bpermute_b32 v89, v89, v82
	v_cmpx_gt_u32_e32 16, v67
	s_cbranch_execz .LBB1827_12
; %bb.11:
	v_mul_u32_u24_e32 v67, 0x44, v66
	s_delay_alu instid0(VALU_DEP_1) | instskip(SKIP_1) | instid1(VALU_DEP_1)
	v_lshl_add_u32 v67, v65, 2, v67
	s_waitcnt lgkmcnt(0)
	v_dual_add_f32 v82, v82, v89 :: v_dual_add_nc_u32 v67, 0x4000, v67
	ds_store_2addr_b32 v67, v68, v82 offset1:136
.LBB1827_12:
	s_or_b32 exec_lo, exec_lo, s2
	v_lshlrev_b32_e32 v67, 2, v65
	s_waitcnt lgkmcnt(0)
	s_barrier
	buffer_gl0_inv
	v_cmp_eq_u32_e32 vcc_lo, 1, v66
	v_add_nc_u32_e32 v82, 0x4000, v67
	v_cmp_eq_u32_e64 s2, 2, v66
	v_cmp_eq_u32_e64 s4, 7, v66
	ds_load_2addr_b32 v[89:90], v82 offset1:17
	ds_load_2addr_b32 v[91:92], v82 offset0:34 offset1:51
	ds_load_2addr_b32 v[93:94], v82 offset0:68 offset1:85
	ds_load_2addr_b32 v[95:96], v82 offset0:102 offset1:119
	ds_load_2addr_b32 v[97:98], v82 offset0:136 offset1:153
	s_waitcnt lgkmcnt(4)
	v_max3_f32 v67, v89, 0xff7fffff, v90
	s_waitcnt lgkmcnt(3)
	s_delay_alu instid0(VALU_DEP_1) | instskip(SKIP_1) | instid1(VALU_DEP_1)
	v_max3_f32 v67, v67, v91, v92
	s_waitcnt lgkmcnt(2)
	v_max3_f32 v67, v67, v93, v94
	s_waitcnt lgkmcnt(1)
	s_delay_alu instid0(VALU_DEP_1) | instskip(NEXT) | instid1(VALU_DEP_1)
	v_max3_f32 v67, v67, v95, v96
	v_sub_f32_e32 v93, v93, v67
	s_delay_alu instid0(VALU_DEP_1) | instskip(NEXT) | instid1(VALU_DEP_1)
	v_dual_sub_f32 v68, v89, v67 :: v_dual_mul_f32 v103, 0x3fb8aa3b, v93
	v_mul_f32_e32 v68, 0x3fb8aa3b, v68
	s_delay_alu instid0(VALU_DEP_1)
	v_exp_f32_e32 v100, v68
	v_sub_f32_e32 v68, v92, v67
	v_sub_f32_e32 v99, v90, v67
	ds_load_2addr_b32 v[89:90], v82 offset0:170 offset1:187
	v_dual_mul_f32 v102, 0x3fb8aa3b, v68 :: v_dual_mul_f32 v99, 0x3fb8aa3b, v99
	s_waitcnt lgkmcnt(1)
	v_fma_f32 v68, v100, v97, 0
	s_delay_alu instid0(VALU_DEP_2) | instskip(NEXT) | instid1(VALU_DEP_2)
	v_exp_f32_e32 v102, v102
	v_exp_f32_e32 v99, v99
	s_waitcnt_depctr 0xfff
	v_fmac_f32_e32 v68, v99, v98
	v_sub_f32_e32 v91, v91, v67
	s_delay_alu instid0(VALU_DEP_1)
	v_mul_f32_e32 v101, 0x3fb8aa3b, v91
	ds_load_2addr_b32 v[91:92], v82 offset0:204 offset1:221
	v_sub_f32_e32 v97, v94, v67
	ds_load_2addr_b32 v[93:94], v82 offset0:238 offset1:255
	s_waitcnt lgkmcnt(0)
	v_exp_f32_e32 v101, v101
	s_barrier
	buffer_gl0_inv
	v_dual_fmac_f32 v68, v101, v89 :: v_dual_sub_f32 v89, v96, v67
	v_dual_sub_f32 v82, v95, v67 :: v_dual_mul_f32 v95, 0x3fb8aa3b, v97
	v_exp_f32_e32 v97, v103
	s_delay_alu instid0(VALU_DEP_2) | instskip(NEXT) | instid1(VALU_DEP_2)
	v_dual_fmac_f32 v68, v102, v90 :: v_dual_mul_f32 v89, 0x3fb8aa3b, v89
	v_mul_f32_e32 v82, 0x3fb8aa3b, v82
	s_delay_alu instid0(VALU_DEP_3) | instskip(NEXT) | instid1(VALU_DEP_2)
	v_exp_f32_e32 v95, v95
	v_exp_f32_e32 v89, v89
	s_delay_alu instid0(VALU_DEP_1)
	v_exp_f32_e32 v82, v82
	v_fmac_f32_e32 v68, v97, v91
	s_delay_alu instid0(TRANS32_DEP_3) | instid1(VALU_DEP_1)
	v_fmac_f32_e32 v68, v95, v92
	s_waitcnt_depctr 0xfff
	v_fmac_f32_e32 v68, v82, v93
	s_delay_alu instid0(VALU_DEP_1) | instskip(NEXT) | instid1(VALU_DEP_1)
	v_fmac_f32_e32 v68, v89, v94
	v_add_f32_e32 v90, 0x358637bd, v68
	s_delay_alu instid0(VALU_DEP_1) | instskip(NEXT) | instid1(VALU_DEP_1)
	v_div_scale_f32 v91, null, v90, v90, 1.0
	v_rcp_f32_e32 v92, v91
	s_waitcnt_depctr 0xfff
	v_fma_f32 v93, -v91, v92, 1.0
	s_delay_alu instid0(VALU_DEP_1) | instskip(SKIP_1) | instid1(VALU_DEP_2)
	v_dual_fmac_f32 v92, v93, v92 :: v_dual_cndmask_b32 v93, v100, v99
	v_cmp_eq_u32_e32 vcc_lo, 3, v66
	v_cndmask_b32_e64 v93, v93, v101, s2
	v_cmp_eq_u32_e64 s2, 4, v66
	s_delay_alu instid0(VALU_DEP_2) | instskip(SKIP_1) | instid1(VALU_DEP_2)
	v_cndmask_b32_e32 v93, v93, v102, vcc_lo
	v_cmp_eq_u32_e32 vcc_lo, 5, v66
	v_cndmask_b32_e64 v93, v93, v97, s2
	v_cmp_eq_u32_e64 s2, 6, v66
	s_delay_alu instid0(VALU_DEP_2) | instskip(SKIP_1) | instid1(VALU_DEP_1)
	v_cndmask_b32_e32 v93, v93, v95, vcc_lo
	v_div_scale_f32 v94, s3, 1.0, v90, 1.0
	s_mov_b32 vcc_lo, s3
	s_delay_alu instid0(VALU_DEP_2) | instskip(NEXT) | instid1(VALU_DEP_2)
	v_cndmask_b32_e64 v82, v93, v82, s2
	v_mul_f32_e32 v96, v94, v92
	s_mov_b32 s2, exec_lo
	s_delay_alu instid0(VALU_DEP_2) | instskip(NEXT) | instid1(VALU_DEP_2)
	v_cndmask_b32_e64 v82, v82, v89, s4
	v_fma_f32 v98, -v91, v96, v94
	s_delay_alu instid0(VALU_DEP_1) | instskip(NEXT) | instid1(VALU_DEP_1)
	v_fmac_f32_e32 v96, v98, v92
	v_fma_f32 v91, -v91, v96, v94
	s_delay_alu instid0(VALU_DEP_1) | instskip(NEXT) | instid1(VALU_DEP_1)
	v_div_fmas_f32 v91, v91, v92, v96
	v_div_fixup_f32 v90, v91, v90, 1.0
	s_delay_alu instid0(VALU_DEP_1) | instskip(NEXT) | instid1(VALU_DEP_1)
	v_mul_f32_e32 v82, v82, v90
	v_mul_f32_e32 v87, v82, v87
	;; [unrolled: 1-line block ×7, first 2 shown]
	v_dual_mul_f32 v86, v82, v83 :: v_dual_and_b32 v91, 0x7f800000, v90
	v_mul_f32_e32 v85, v82, v76
                                        ; implicit-def: $vgpr76
	s_delay_alu instid0(VALU_DEP_2)
	v_cmpx_ne_u32_e32 0x7f800000, v91
	s_xor_b32 s2, exec_lo, s2
; %bb.13:
	v_bfe_u32 v76, v90, 16, 1
	s_delay_alu instid0(VALU_DEP_1)
	v_add3_u32 v76, v90, v76, 0x7fff
                                        ; implicit-def: $vgpr90
; %bb.14:
	s_and_not1_saveexec_b32 s2, s2
; %bb.15:
	v_and_b32_e32 v76, 0xffff, v90
	v_or_b32_e32 v83, 0x10000, v90
	s_delay_alu instid0(VALU_DEP_2) | instskip(NEXT) | instid1(VALU_DEP_2)
	v_cmp_eq_u32_e32 vcc_lo, 0, v76
	v_cndmask_b32_e32 v76, v83, v90, vcc_lo
; %bb.16:
	s_or_b32 exec_lo, exec_lo, s2
	v_and_b32_e32 v83, 0x7f800000, v85
	s_delay_alu instid0(VALU_DEP_1) | instskip(SKIP_1) | instid1(SALU_CYCLE_1)
	v_cmp_ne_u32_e32 vcc_lo, 0x7f800000, v83
                                        ; implicit-def: $vgpr83
	s_and_saveexec_b32 s2, vcc_lo
	s_xor_b32 s2, exec_lo, s2
; %bb.17:
	v_bfe_u32 v83, v85, 16, 1
	s_delay_alu instid0(VALU_DEP_1)
	v_add3_u32 v83, v85, v83, 0x7fff
                                        ; implicit-def: $vgpr85
; %bb.18:
	s_and_not1_saveexec_b32 s2, s2
; %bb.19:
	v_and_b32_e32 v83, 0xffff, v85
	v_or_b32_e32 v90, 0x10000, v85
	s_delay_alu instid0(VALU_DEP_2) | instskip(NEXT) | instid1(VALU_DEP_2)
	v_cmp_eq_u32_e32 vcc_lo, 0, v83
	v_cndmask_b32_e32 v83, v90, v85, vcc_lo
; %bb.20:
	s_or_b32 exec_lo, exec_lo, s2
	v_and_b32_e32 v85, 0x7f800000, v86
	s_delay_alu instid0(VALU_DEP_1) | instskip(SKIP_1) | instid1(SALU_CYCLE_1)
	v_cmp_ne_u32_e32 vcc_lo, 0x7f800000, v85
                                        ; implicit-def: $vgpr85
	s_and_saveexec_b32 s2, vcc_lo
	s_xor_b32 s2, exec_lo, s2
; %bb.21:
	v_bfe_u32 v85, v86, 16, 1
	s_delay_alu instid0(VALU_DEP_1)
	v_add3_u32 v85, v86, v85, 0x7fff
                                        ; implicit-def: $vgpr86
; %bb.22:
	s_and_not1_saveexec_b32 s2, s2
; %bb.23:
	v_and_b32_e32 v85, 0xffff, v86
	v_or_b32_e32 v90, 0x10000, v86
	s_delay_alu instid0(VALU_DEP_2) | instskip(NEXT) | instid1(VALU_DEP_2)
	v_cmp_eq_u32_e32 vcc_lo, 0, v85
	v_cndmask_b32_e32 v85, v90, v86, vcc_lo
; %bb.24:
	s_or_b32 exec_lo, exec_lo, s2
	v_and_b32_e32 v86, 0x7f800000, v89
	s_delay_alu instid0(VALU_DEP_1) | instskip(SKIP_1) | instid1(SALU_CYCLE_1)
	v_cmp_ne_u32_e32 vcc_lo, 0x7f800000, v86
                                        ; implicit-def: $vgpr86
	s_and_saveexec_b32 s2, vcc_lo
	s_xor_b32 s2, exec_lo, s2
; %bb.25:
	v_bfe_u32 v86, v89, 16, 1
	s_delay_alu instid0(VALU_DEP_1)
	v_add3_u32 v86, v89, v86, 0x7fff
                                        ; implicit-def: $vgpr89
; %bb.26:
	s_and_not1_saveexec_b32 s2, s2
; %bb.27:
	v_and_b32_e32 v86, 0xffff, v89
	v_or_b32_e32 v90, 0x10000, v89
	s_delay_alu instid0(VALU_DEP_2) | instskip(NEXT) | instid1(VALU_DEP_2)
	v_cmp_eq_u32_e32 vcc_lo, 0, v86
	v_cndmask_b32_e32 v86, v90, v89, vcc_lo
; %bb.28:
	s_or_b32 exec_lo, exec_lo, s2
	v_and_b32_e32 v89, 0x7f800000, v88
	s_delay_alu instid0(VALU_DEP_1) | instskip(SKIP_1) | instid1(SALU_CYCLE_1)
	v_cmp_ne_u32_e32 vcc_lo, 0x7f800000, v89
                                        ; implicit-def: $vgpr89
	s_and_saveexec_b32 s2, vcc_lo
	s_xor_b32 s2, exec_lo, s2
; %bb.29:
	v_bfe_u32 v89, v88, 16, 1
	s_delay_alu instid0(VALU_DEP_1)
	v_add3_u32 v89, v88, v89, 0x7fff
                                        ; implicit-def: $vgpr88
; %bb.30:
	s_and_not1_saveexec_b32 s2, s2
; %bb.31:
	v_and_b32_e32 v89, 0xffff, v88
	v_or_b32_e32 v90, 0x10000, v88
	s_delay_alu instid0(VALU_DEP_2) | instskip(NEXT) | instid1(VALU_DEP_2)
	v_cmp_eq_u32_e32 vcc_lo, 0, v89
	v_cndmask_b32_e32 v89, v90, v88, vcc_lo
; %bb.32:
	s_or_b32 exec_lo, exec_lo, s2
	v_and_b32_e32 v88, 0x7f800000, v87
	s_delay_alu instid0(VALU_DEP_1) | instskip(SKIP_1) | instid1(SALU_CYCLE_1)
	v_cmp_ne_u32_e32 vcc_lo, 0x7f800000, v88
                                        ; implicit-def: $vgpr88
	s_and_saveexec_b32 s2, vcc_lo
	s_xor_b32 s2, exec_lo, s2
; %bb.33:
	v_bfe_u32 v88, v87, 16, 1
	s_delay_alu instid0(VALU_DEP_1)
	v_add3_u32 v88, v87, v88, 0x7fff
                                        ; implicit-def: $vgpr87
; %bb.34:
	s_and_not1_saveexec_b32 s2, s2
; %bb.35:
	v_and_b32_e32 v88, 0xffff, v87
	v_or_b32_e32 v90, 0x10000, v87
	s_delay_alu instid0(VALU_DEP_2) | instskip(NEXT) | instid1(VALU_DEP_2)
	v_cmp_eq_u32_e32 vcc_lo, 0, v88
	v_cndmask_b32_e32 v88, v90, v87, vcc_lo
; %bb.36:
	s_or_b32 exec_lo, exec_lo, s2
	v_and_b32_e32 v87, 0x7f800000, v84
	s_delay_alu instid0(VALU_DEP_1) | instskip(SKIP_1) | instid1(SALU_CYCLE_1)
	v_cmp_ne_u32_e32 vcc_lo, 0x7f800000, v87
                                        ; implicit-def: $vgpr87
	s_and_saveexec_b32 s2, vcc_lo
	s_xor_b32 s2, exec_lo, s2
; %bb.37:
	v_bfe_u32 v87, v84, 16, 1
	s_delay_alu instid0(VALU_DEP_1)
	v_add3_u32 v87, v84, v87, 0x7fff
                                        ; implicit-def: $vgpr84
; %bb.38:
	s_and_not1_saveexec_b32 s2, s2
; %bb.39:
	v_and_b32_e32 v87, 0xffff, v84
	v_or_b32_e32 v90, 0x10000, v84
	s_delay_alu instid0(VALU_DEP_2) | instskip(NEXT) | instid1(VALU_DEP_2)
	v_cmp_eq_u32_e32 vcc_lo, 0, v87
	v_cndmask_b32_e32 v87, v90, v84, vcc_lo
; %bb.40:
	s_or_b32 exec_lo, exec_lo, s2
	v_and_b32_e32 v84, 0x7f800000, v80
	s_delay_alu instid0(VALU_DEP_1) | instskip(SKIP_1) | instid1(SALU_CYCLE_1)
	v_cmp_ne_u32_e32 vcc_lo, 0x7f800000, v84
                                        ; implicit-def: $vgpr84
	s_and_saveexec_b32 s2, vcc_lo
	s_xor_b32 s2, exec_lo, s2
; %bb.41:
	v_bfe_u32 v84, v80, 16, 1
	s_delay_alu instid0(VALU_DEP_1)
	v_add3_u32 v84, v80, v84, 0x7fff
                                        ; implicit-def: $vgpr80
; %bb.42:
	s_and_not1_saveexec_b32 s2, s2
; %bb.43:
	v_and_b32_e32 v84, 0xffff, v80
	v_or_b32_e32 v90, 0x10000, v80
	s_delay_alu instid0(VALU_DEP_2) | instskip(NEXT) | instid1(VALU_DEP_2)
	v_cmp_eq_u32_e32 vcc_lo, 0, v84
	v_cndmask_b32_e32 v84, v90, v80, vcc_lo
; %bb.44:
	s_or_b32 exec_lo, exec_lo, s2
	s_load_b64 s[34:35], s[0:1], 0x94
	v_lshlrev_b32_e32 v91, 4, v74
	s_delay_alu instid0(VALU_DEP_2)
	v_perm_b32 v90, v84, v87, 0x7060302
	v_dual_mul_f32 v79, v82, v79 :: v_dual_lshlrev_b32 v80, 6, v65
	v_dual_mul_f32 v77, v82, v77 :: v_dual_lshlrev_b32 v92, 11, v66
	v_mul_f32_e32 v84, v82, v70
	v_perm_b32 v89, v88, v89, 0x7060302
	v_perm_b32 v88, v86, v85, 0x7060302
	;; [unrolled: 1-line block ×3, first 2 shown]
	v_mul_f32_e32 v70, v82, v81
	v_or3_b32 v76, v91, v92, v80
	v_dual_mul_f32 v78, v82, v78 :: v_dual_and_b32 v85, 0x7f800000, v84
	v_mul_f32_e32 v83, v82, v72
	v_mul_f32_e32 v81, v82, v71
	;; [unrolled: 1-line block ×3, first 2 shown]
	s_mov_b32 s2, exec_lo
	ds_store_b128 v76, v[87:90]
                                        ; implicit-def: $vgpr69
	v_cmpx_ne_u32_e32 0x7f800000, v85
	s_xor_b32 s2, exec_lo, s2
; %bb.45:
	v_bfe_u32 v69, v84, 16, 1
	s_delay_alu instid0(VALU_DEP_1)
	v_add3_u32 v69, v84, v69, 0x7fff
                                        ; implicit-def: $vgpr84
; %bb.46:
	s_and_not1_saveexec_b32 s2, s2
; %bb.47:
	v_and_b32_e32 v69, 0xffff, v84
	v_or_b32_e32 v71, 0x10000, v84
	s_delay_alu instid0(VALU_DEP_2) | instskip(NEXT) | instid1(VALU_DEP_2)
	v_cmp_eq_u32_e32 vcc_lo, 0, v69
	v_cndmask_b32_e32 v69, v71, v84, vcc_lo
; %bb.48:
	s_or_b32 exec_lo, exec_lo, s2
	v_and_b32_e32 v71, 0x7f800000, v72
	s_delay_alu instid0(VALU_DEP_1) | instskip(SKIP_1) | instid1(SALU_CYCLE_1)
	v_cmp_ne_u32_e32 vcc_lo, 0x7f800000, v71
                                        ; implicit-def: $vgpr71
	s_and_saveexec_b32 s2, vcc_lo
	s_xor_b32 s2, exec_lo, s2
; %bb.49:
	v_bfe_u32 v71, v72, 16, 1
	s_delay_alu instid0(VALU_DEP_1)
	v_add3_u32 v71, v72, v71, 0x7fff
                                        ; implicit-def: $vgpr72
; %bb.50:
	s_and_not1_saveexec_b32 s2, s2
; %bb.51:
	v_and_b32_e32 v71, 0xffff, v72
	v_or_b32_e32 v82, 0x10000, v72
	s_delay_alu instid0(VALU_DEP_2) | instskip(NEXT) | instid1(VALU_DEP_2)
	v_cmp_eq_u32_e32 vcc_lo, 0, v71
	v_cndmask_b32_e32 v71, v82, v72, vcc_lo
; %bb.52:
	s_or_b32 exec_lo, exec_lo, s2
	v_and_b32_e32 v72, 0x7f800000, v81
	s_delay_alu instid0(VALU_DEP_1) | instskip(SKIP_1) | instid1(SALU_CYCLE_1)
	v_cmp_ne_u32_e32 vcc_lo, 0x7f800000, v72
                                        ; implicit-def: $vgpr72
	s_and_saveexec_b32 s2, vcc_lo
	s_xor_b32 s2, exec_lo, s2
; %bb.53:
	v_bfe_u32 v72, v81, 16, 1
	s_delay_alu instid0(VALU_DEP_1)
	v_add3_u32 v72, v81, v72, 0x7fff
                                        ; implicit-def: $vgpr81
; %bb.54:
	s_and_not1_saveexec_b32 s2, s2
; %bb.55:
	v_and_b32_e32 v72, 0xffff, v81
	v_or_b32_e32 v82, 0x10000, v81
	s_delay_alu instid0(VALU_DEP_2) | instskip(NEXT) | instid1(VALU_DEP_2)
	v_cmp_eq_u32_e32 vcc_lo, 0, v72
	v_cndmask_b32_e32 v72, v82, v81, vcc_lo
; %bb.56:
	s_or_b32 exec_lo, exec_lo, s2
	v_and_b32_e32 v81, 0x7f800000, v83
	s_delay_alu instid0(VALU_DEP_1) | instskip(SKIP_1) | instid1(SALU_CYCLE_1)
	v_cmp_ne_u32_e32 vcc_lo, 0x7f800000, v81
                                        ; implicit-def: $vgpr81
	s_and_saveexec_b32 s2, vcc_lo
	s_xor_b32 s2, exec_lo, s2
; %bb.57:
	v_bfe_u32 v81, v83, 16, 1
	s_delay_alu instid0(VALU_DEP_1)
	v_add3_u32 v81, v83, v81, 0x7fff
                                        ; implicit-def: $vgpr83
; %bb.58:
	s_and_not1_saveexec_b32 s2, s2
; %bb.59:
	v_and_b32_e32 v81, 0xffff, v83
	v_or_b32_e32 v82, 0x10000, v83
	s_delay_alu instid0(VALU_DEP_2) | instskip(NEXT) | instid1(VALU_DEP_2)
	v_cmp_eq_u32_e32 vcc_lo, 0, v81
	v_cndmask_b32_e32 v81, v82, v83, vcc_lo
; %bb.60:
	s_or_b32 exec_lo, exec_lo, s2
	v_and_b32_e32 v82, 0x7f800000, v77
	s_delay_alu instid0(VALU_DEP_1) | instskip(SKIP_1) | instid1(SALU_CYCLE_1)
	v_cmp_ne_u32_e32 vcc_lo, 0x7f800000, v82
                                        ; implicit-def: $vgpr82
	s_and_saveexec_b32 s2, vcc_lo
	s_xor_b32 s2, exec_lo, s2
; %bb.61:
	v_bfe_u32 v82, v77, 16, 1
	s_delay_alu instid0(VALU_DEP_1)
	v_add3_u32 v82, v77, v82, 0x7fff
                                        ; implicit-def: $vgpr77
; %bb.62:
	s_and_not1_saveexec_b32 s2, s2
; %bb.63:
	v_and_b32_e32 v82, 0xffff, v77
	v_or_b32_e32 v83, 0x10000, v77
	s_delay_alu instid0(VALU_DEP_2) | instskip(NEXT) | instid1(VALU_DEP_2)
	v_cmp_eq_u32_e32 vcc_lo, 0, v82
	v_cndmask_b32_e32 v82, v83, v77, vcc_lo
; %bb.64:
	s_or_b32 exec_lo, exec_lo, s2
	v_and_b32_e32 v77, 0x7f800000, v78
	s_delay_alu instid0(VALU_DEP_1) | instskip(SKIP_1) | instid1(SALU_CYCLE_1)
	v_cmp_ne_u32_e32 vcc_lo, 0x7f800000, v77
                                        ; implicit-def: $vgpr77
	s_and_saveexec_b32 s2, vcc_lo
	s_xor_b32 s2, exec_lo, s2
; %bb.65:
	v_bfe_u32 v77, v78, 16, 1
	s_delay_alu instid0(VALU_DEP_1)
	v_add3_u32 v77, v78, v77, 0x7fff
                                        ; implicit-def: $vgpr78
; %bb.66:
	s_and_not1_saveexec_b32 s2, s2
; %bb.67:
	v_and_b32_e32 v77, 0xffff, v78
	v_or_b32_e32 v83, 0x10000, v78
	s_delay_alu instid0(VALU_DEP_2) | instskip(NEXT) | instid1(VALU_DEP_2)
	v_cmp_eq_u32_e32 vcc_lo, 0, v77
	v_cndmask_b32_e32 v77, v83, v78, vcc_lo
; %bb.68:
	s_or_b32 exec_lo, exec_lo, s2
	v_and_b32_e32 v78, 0x7f800000, v79
	s_delay_alu instid0(VALU_DEP_1) | instskip(SKIP_1) | instid1(SALU_CYCLE_1)
	v_cmp_ne_u32_e32 vcc_lo, 0x7f800000, v78
                                        ; implicit-def: $vgpr78
	s_and_saveexec_b32 s2, vcc_lo
	s_xor_b32 s2, exec_lo, s2
; %bb.69:
	v_bfe_u32 v78, v79, 16, 1
	s_delay_alu instid0(VALU_DEP_1)
	v_add3_u32 v78, v79, v78, 0x7fff
                                        ; implicit-def: $vgpr79
; %bb.70:
	s_and_not1_saveexec_b32 s2, s2
; %bb.71:
	v_and_b32_e32 v78, 0xffff, v79
	v_or_b32_e32 v83, 0x10000, v79
	s_delay_alu instid0(VALU_DEP_2) | instskip(NEXT) | instid1(VALU_DEP_2)
	v_cmp_eq_u32_e32 vcc_lo, 0, v78
	v_cndmask_b32_e32 v78, v83, v79, vcc_lo
; %bb.72:
	s_or_b32 exec_lo, exec_lo, s2
	v_and_b32_e32 v79, 0x7f800000, v70
	s_delay_alu instid0(VALU_DEP_1) | instskip(SKIP_1) | instid1(SALU_CYCLE_1)
	v_cmp_ne_u32_e32 vcc_lo, 0x7f800000, v79
                                        ; implicit-def: $vgpr79
	s_and_saveexec_b32 s2, vcc_lo
	s_xor_b32 s2, exec_lo, s2
; %bb.73:
	v_bfe_u32 v79, v70, 16, 1
	s_delay_alu instid0(VALU_DEP_1)
	v_add3_u32 v79, v70, v79, 0x7fff
                                        ; implicit-def: $vgpr70
; %bb.74:
	s_and_not1_saveexec_b32 s2, s2
; %bb.75:
	v_and_b32_e32 v79, 0xffff, v70
	v_or_b32_e32 v83, 0x10000, v70
	s_delay_alu instid0(VALU_DEP_2) | instskip(NEXT) | instid1(VALU_DEP_2)
	v_cmp_eq_u32_e32 vcc_lo, 0, v79
	v_cndmask_b32_e32 v79, v83, v70, vcc_lo
; %bb.76:
	s_or_b32 exec_lo, exec_lo, s2
	s_delay_alu instid0(VALU_DEP_1)
	v_perm_b32 v86, v79, v78, 0x7060302
	v_perm_b32 v85, v77, v82, 0x7060302
	;; [unrolled: 1-line block ×4, first 2 shown]
	v_lshl_or_b32 v82, v66, 11, v80
	ds_store_b128 v76, v[83:86] offset:1024
	s_waitcnt lgkmcnt(0)
	s_barrier
	buffer_gl0_inv
	ds_load_b128 v[69:72], v82
	ds_load_b128 v[83:86], v82 offset:16
	s_waitcnt lgkmcnt(1)
	v_lshrrev_b32_e32 v66, 16, v69
	s_waitcnt lgkmcnt(0)
	v_lshrrev_b32_e32 v91, 16, v83
	v_lshlrev_b32_e32 v78, 2, v74
	v_lshrrev_b32_e32 v95, 16, v70
	v_lshrrev_b32_e32 v98, 16, v84
	;; [unrolled: 1-line block ×4, first 2 shown]
	v_cmp_eq_u32_e32 vcc_lo, 1, v78
	v_lshrrev_b32_e32 v97, 16, v72
	v_lshrrev_b32_e32 v100, 16, v86
	v_cndmask_b32_e32 v87, v83, v91, vcc_lo
	v_or_b32_e32 v79, 1, v78
	v_cndmask_b32_e32 v81, v69, v66, vcc_lo
	v_cmp_eq_u32_e64 s3, 2, v78
	v_cmp_eq_u32_e64 s6, 3, v78
	;; [unrolled: 1-line block ×5, first 2 shown]
	v_cndmask_b32_e64 v81, v81, v70, s3
	v_cndmask_b32_e64 v87, v87, v84, s3
	v_cmp_eq_u32_e64 s7, 3, v79
	v_cndmask_b32_e64 v88, v69, v66, s2
	v_or_b32_e32 v77, 2, v78
	v_cndmask_b32_e64 v81, v81, v95, s6
	v_cndmask_b32_e64 v87, v87, v98, s6
	;; [unrolled: 1-line block ×4, first 2 shown]
	v_cmp_eq_u32_e64 s9, 5, v78
	v_cndmask_b32_e64 v81, v81, v71, s8
	v_cndmask_b32_e64 v87, v87, v85, s8
	v_cmp_eq_u32_e64 s10, 4, v79
	v_cndmask_b32_e64 v88, v88, v95, s7
	v_cmp_eq_u32_e64 s4, 1, v77
	v_cndmask_b32_e64 v89, v89, v84, s5
	v_cndmask_b32_e64 v81, v81, v96, s9
	v_cmp_eq_u32_e64 s11, 6, v78
	v_cndmask_b32_e64 v88, v88, v71, s10
	;; [unrolled: 3-line block ×3, first 2 shown]
	v_cndmask_b32_e64 v89, v89, v98, s7
	v_cndmask_b32_e64 v81, v81, v72, s11
	v_cmp_eq_u32_e64 s13, 7, v78
	v_cndmask_b32_e64 v88, v88, v96, s12
	v_cndmask_b32_e64 v87, v87, v86, s11
	v_cmp_eq_u32_e64 s15, 6, v79
	v_cmp_eq_u32_e64 s16, 2, v77
	v_cndmask_b32_e64 v89, v89, v85, s10
	v_cndmask_b32_e64 v101, v81, v97, s13
	;; [unrolled: 1-line block ×6, first 2 shown]
	v_cmp_eq_u32_e64 s17, 7, v79
	v_cmp_eq_u32_e64 s18, 3, v77
	;; [unrolled: 1-line block ×4, first 2 shown]
	v_cndmask_b32_e64 v87, v87, v84, s16
	v_cndmask_b32_e64 v103, v88, v97, s17
	;; [unrolled: 1-line block ×4, first 2 shown]
	v_or_b32_e32 v81, 3, v78
	v_cndmask_b32_e64 v93, v87, v98, s18
	v_cmp_eq_u32_e64 s23, 6, v77
	v_cndmask_b32_e64 v104, v88, v86, s15
	v_cndmask_b32_e64 v92, v89, v71, s19
	v_cmp_eq_u32_e64 s20, 1, v81
	ds_load_b128 v[87:90], v82 offset:1024
	v_cmp_eq_u32_e64 s22, 2, v81
	v_cmp_eq_u32_e64 s24, 3, v81
	v_cndmask_b32_e64 v105, v92, v96, s21
	v_cndmask_b32_e64 v66, v69, v66, s20
	;; [unrolled: 1-line block ×4, first 2 shown]
	ds_load_b128 v[91:94], v82 offset:1040
	v_cmp_eq_u32_e64 s25, 4, v81
	v_cndmask_b32_e64 v66, v66, v70, s22
	v_cmp_eq_u32_e64 s26, 7, v77
	v_cndmask_b32_e64 v70, v83, v84, s22
	v_cndmask_b32_e64 v84, v105, v72, s23
	v_cmp_eq_u32_e64 s27, 5, v81
	v_cndmask_b32_e64 v66, v66, v95, s24
	v_cmp_eq_u32_e64 s28, 6, v81
	v_cndmask_b32_e64 v70, v70, v98, s24
	v_cndmask_b32_e64 v69, v69, v99, s21
	v_cndmask_b32_e64 v83, v104, v100, s17
	v_cndmask_b32_e64 v66, v66, v71, s25
	s_waitcnt lgkmcnt(1)
	v_lshrrev_b32_e32 v95, 16, v87
	v_cndmask_b32_e64 v70, v70, v85, s25
	v_cndmask_b32_e64 v71, v84, v97, s26
	;; [unrolled: 1-line block ×4, first 2 shown]
	v_cndmask_b32_e32 v84, v87, v95, vcc_lo
	v_cndmask_b32_e64 v70, v70, v99, s27
	s_waitcnt lgkmcnt(0)
	v_lshrrev_b32_e32 v85, 16, v91
	v_lshrrev_b32_e32 v96, 16, v88
	v_cndmask_b32_e64 v98, v87, v95, s2
	v_cndmask_b32_e64 v84, v84, v88, s3
	;; [unrolled: 1-line block ×3, first 2 shown]
	v_cndmask_b32_e32 v99, v91, v85, vcc_lo
	v_cmp_eq_u32_e32 vcc_lo, 7, v81
	v_cndmask_b32_e64 v66, v66, v72, s28
	v_cndmask_b32_e64 v72, v84, v96, s6
	;; [unrolled: 1-line block ×3, first 2 shown]
	v_lshrrev_b32_e32 v98, 16, v92
	v_cndmask_b32_e32 v70, v70, v100, vcc_lo
	v_cndmask_b32_e64 v86, v99, v92, s3
	v_cndmask_b32_e64 v69, v69, v100, s26
	v_lshrrev_b32_e32 v100, 16, v93
	v_cndmask_b32_e64 v72, v72, v89, s8
	v_lshrrev_b32_e32 v99, 16, v89
	v_cndmask_b32_e64 v86, v86, v98, s6
	v_perm_b32 v71, v69, v71, 0x5040100
	v_cndmask_b32_e64 v84, v84, v96, s7
	s_delay_alu instid0(VALU_DEP_3) | instskip(NEXT) | instid1(VALU_DEP_2)
	v_cndmask_b32_e64 v86, v86, v93, s8
	v_cndmask_b32_e64 v84, v84, v89, s10
	s_delay_alu instid0(VALU_DEP_2) | instskip(NEXT) | instid1(VALU_DEP_1)
	v_cndmask_b32_e64 v86, v86, v100, s9
	v_cndmask_b32_e64 v69, v86, v94, s11
	;; [unrolled: 1-line block ×5, first 2 shown]
	s_delay_alu instid0(VALU_DEP_3) | instskip(NEXT) | instid1(VALU_DEP_3)
	v_cndmask_b32_e64 v86, v86, v88, s16
	v_cndmask_b32_e64 v87, v87, v88, s22
	s_delay_alu instid0(VALU_DEP_3) | instskip(NEXT) | instid1(VALU_DEP_3)
	v_cndmask_b32_e64 v88, v95, v92, s22
	v_cndmask_b32_e64 v86, v86, v96, s18
	;; [unrolled: 3-line block ×7, first 2 shown]
	s_delay_alu instid0(VALU_DEP_3) | instskip(SKIP_2) | instid1(VALU_DEP_2)
	v_cndmask_b32_e64 v88, v88, v94, s28
	v_cndmask_b32_e32 v66, v66, v97, vcc_lo
	v_cndmask_b32_e64 v97, v72, v99, s9
	v_perm_b32 v72, v70, v66, 0x5040100
	v_perm_b32 v70, v83, v103, 0x5040100
	v_cndmask_b32_e64 v103, v91, v85, s4
	v_cndmask_b32_e64 v85, v91, v85, s2
	;; [unrolled: 1-line block ×4, first 2 shown]
	v_lshrrev_b32_e32 v97, 16, v90
	v_cndmask_b32_e64 v91, v103, v92, s16
	v_cndmask_b32_e64 v85, v85, v92, s5
	;; [unrolled: 1-line block ×3, first 2 shown]
	s_mov_b32 s2, exec_lo
	v_cndmask_b32_e64 v83, v84, v97, s13
	v_cndmask_b32_e64 v91, v91, v98, s18
	;; [unrolled: 1-line block ×3, first 2 shown]
	v_lshrrev_b32_e32 v84, 16, v94
	v_cndmask_b32_e64 v66, v66, v97, s17
	v_cndmask_b32_e64 v90, v86, v97, s26
	;; [unrolled: 1-line block ×4, first 2 shown]
	v_dual_cndmask_b32 v86, v87, v97 :: v_dual_cndmask_b32 v87, v88, v84
	v_cndmask_b32_e64 v91, v69, v84, s13
	s_delay_alu instid0(VALU_DEP_4) | instskip(NEXT) | instid1(VALU_DEP_4)
	v_cndmask_b32_e64 v89, v89, v100, s21
	v_cndmask_b32_e64 v85, v85, v100, s12
	v_perm_b32 v69, v102, v101, 0x5040100
	v_perm_b32 v86, v87, v86, 0x5040100
	;; [unrolled: 1-line block ×3, first 2 shown]
	v_cndmask_b32_e64 v89, v89, v94, s23
	v_cndmask_b32_e64 v85, v85, v94, s15
	s_mul_i32 s7, s35, 6
	s_delay_alu instid0(VALU_DEP_2) | instskip(NEXT) | instid1(VALU_DEP_2)
	v_cndmask_b32_e64 v88, v89, v84, s26
	v_cndmask_b32_e64 v89, v85, v84, s17
	s_delay_alu instid0(VALU_DEP_2) | instskip(NEXT) | instid1(VALU_DEP_2)
	v_perm_b32 v85, v88, v90, 0x5040100
	v_perm_b32 v84, v89, v66, 0x5040100
	ds_store_b128 v76, v[69:72]
	ds_store_b128 v76, v[83:86] offset:1024
	v_cmpx_gt_u32_e32 6, v0
	s_cbranch_execz .LBB1827_78
; %bb.77:
	s_mul_i32 s3, s7, s30
	s_load_b128 s[8:11], s[0:1], 0x58
	v_add3_u32 v69, s3, s29, v65
	s_delay_alu instid0(VALU_DEP_1) | instskip(NEXT) | instid1(VALU_DEP_1)
	v_mad_u64_u32 v[65:66], null, v69, s34, s[14:15]
	v_ashrrev_i32_e32 v66, 31, v65
	s_delay_alu instid0(VALU_DEP_1) | instskip(SKIP_1) | instid1(VALU_DEP_1)
	v_lshlrev_b64 v[65:66], 2, v[65:66]
	s_waitcnt lgkmcnt(0)
	v_add_co_u32 v69, vcc_lo, s10, v65
	s_delay_alu instid0(VALU_DEP_2)
	v_add_co_ci_u32_e32 v70, vcc_lo, s11, v66, vcc_lo
	v_add_co_u32 v65, vcc_lo, s8, v65
	v_add_co_ci_u32_e32 v66, vcc_lo, s9, v66, vcc_lo
	global_store_b32 v[69:70], v67, off
	global_store_b32 v[65:66], v68, off
.LBB1827_78:
	s_or_b32 exec_lo, exec_lo, s2
	s_waitcnt lgkmcnt(0)
	s_waitcnt_vscnt null, 0x0
	s_barrier
	buffer_gl0_inv
	ds_load_b128 v[83:86], v80
	ds_load_b128 v[87:90], v80 offset:16
	ds_load_b128 v[95:98], v80 offset:2064
	;; [unrolled: 1-line block ×3, first 2 shown]
	v_mov_b32_e32 v65, 0
	ds_load_b128 v[103:106], v80 offset:4112
	ds_load_b128 v[99:102], v80 offset:4096
	;; [unrolled: 1-line block ×4, first 2 shown]
	v_mov_b32_e32 v66, v65
	v_mov_b32_e32 v67, v65
	v_mov_b32_e32 v68, v65
	v_mov_b32_e32 v69, v65
	v_mov_b32_e32 v70, v65
	v_mov_b32_e32 v71, v65
	v_mov_b32_e32 v72, v65
	s_waitcnt lgkmcnt(6)
	s_delay_alu instid0(VALU_DEP_1)
	v_wmma_f32_16x16x16_bf16 v[65:72], v[41:48], v[83:90], v[65:72]
	ds_load_b128 v[45:48], v80 offset:8208
	ds_load_b128 v[41:44], v80 offset:8192
	s_waitcnt lgkmcnt(6)
	v_wmma_f32_16x16x16_bf16 v[65:72], v[33:40], v[91:98], v[65:72]
	ds_load_b128 v[37:40], v80 offset:10256
	ds_load_b128 v[33:36], v80 offset:10240
	s_waitcnt lgkmcnt(6)
	;; [unrolled: 4-line block ×4, first 2 shown]
	v_wmma_f32_16x16x16_bf16 v[65:72], v[1:8], v[41:48], v[65:72]
	s_waitcnt lgkmcnt(4)
	s_delay_alu instid0(VALU_DEP_1) | instskip(SKIP_1) | instid1(VALU_DEP_1)
	v_wmma_f32_16x16x16_bf16 v[65:72], v[9:16], v[33:40], v[65:72]
	s_waitcnt lgkmcnt(2)
	v_wmma_f32_16x16x16_bf16 v[65:72], v[57:64], v[25:32], v[65:72]
	s_waitcnt lgkmcnt(0)
	s_delay_alu instid0(VALU_DEP_1) | instskip(NEXT) | instid1(VALU_DEP_1)
	v_wmma_f32_16x16x16_bf16 v[65:72], v[49:56], v[17:24], v[65:72]
	v_and_b32_e32 v1, 0x7f800000, v65
	s_delay_alu instid0(VALU_DEP_1) | instskip(SKIP_1) | instid1(SALU_CYCLE_1)
	v_cmp_ne_u32_e32 vcc_lo, 0x7f800000, v1
                                        ; implicit-def: $vgpr1
	s_and_saveexec_b32 s2, vcc_lo
	s_xor_b32 s2, exec_lo, s2
; %bb.79:
	v_bfe_u32 v1, v65, 16, 1
	s_delay_alu instid0(VALU_DEP_1)
	v_add3_u32 v1, v65, v1, 0x7fff
; %bb.80:
	s_and_not1_saveexec_b32 s2, s2
; %bb.81:
	v_and_b32_e32 v1, 0xffff, v65
	v_or_b32_e32 v2, 0x10000, v65
	s_delay_alu instid0(VALU_DEP_2) | instskip(NEXT) | instid1(VALU_DEP_2)
	v_cmp_eq_u32_e32 vcc_lo, 0, v1
	v_cndmask_b32_e32 v1, v2, v65, vcc_lo
; %bb.82:
	s_or_b32 exec_lo, exec_lo, s2
	v_and_b32_e32 v2, 0x7f800000, v66
	s_delay_alu instid0(VALU_DEP_1) | instskip(SKIP_1) | instid1(SALU_CYCLE_1)
	v_cmp_ne_u32_e32 vcc_lo, 0x7f800000, v2
                                        ; implicit-def: $vgpr2
	s_and_saveexec_b32 s2, vcc_lo
	s_xor_b32 s2, exec_lo, s2
; %bb.83:
	v_bfe_u32 v2, v66, 16, 1
	s_delay_alu instid0(VALU_DEP_1)
	v_add3_u32 v2, v66, v2, 0x7fff
; %bb.84:
	s_and_not1_saveexec_b32 s2, s2
; %bb.85:
	v_and_b32_e32 v2, 0xffff, v66
	v_or_b32_e32 v3, 0x10000, v66
	s_delay_alu instid0(VALU_DEP_2) | instskip(NEXT) | instid1(VALU_DEP_2)
	v_cmp_eq_u32_e32 vcc_lo, 0, v2
	v_cndmask_b32_e32 v2, v3, v66, vcc_lo
; %bb.86:
	s_or_b32 exec_lo, exec_lo, s2
	v_and_b32_e32 v3, 0x7f800000, v67
	s_delay_alu instid0(VALU_DEP_1) | instskip(SKIP_1) | instid1(SALU_CYCLE_1)
	v_cmp_ne_u32_e32 vcc_lo, 0x7f800000, v3
                                        ; implicit-def: $vgpr3
	s_and_saveexec_b32 s2, vcc_lo
	s_xor_b32 s2, exec_lo, s2
; %bb.87:
	v_bfe_u32 v3, v67, 16, 1
	s_delay_alu instid0(VALU_DEP_1)
	v_add3_u32 v3, v67, v3, 0x7fff
; %bb.88:
	s_and_not1_saveexec_b32 s2, s2
; %bb.89:
	v_and_b32_e32 v3, 0xffff, v67
	v_or_b32_e32 v4, 0x10000, v67
	s_delay_alu instid0(VALU_DEP_2) | instskip(NEXT) | instid1(VALU_DEP_2)
	v_cmp_eq_u32_e32 vcc_lo, 0, v3
	v_cndmask_b32_e32 v3, v4, v67, vcc_lo
; %bb.90:
	s_or_b32 exec_lo, exec_lo, s2
	v_and_b32_e32 v4, 0x7f800000, v68
	s_delay_alu instid0(VALU_DEP_1) | instskip(SKIP_1) | instid1(SALU_CYCLE_1)
	v_cmp_ne_u32_e32 vcc_lo, 0x7f800000, v4
                                        ; implicit-def: $vgpr4
	s_and_saveexec_b32 s2, vcc_lo
	s_xor_b32 s2, exec_lo, s2
; %bb.91:
	v_bfe_u32 v4, v68, 16, 1
	s_delay_alu instid0(VALU_DEP_1)
	v_add3_u32 v4, v68, v4, 0x7fff
; %bb.92:
	s_and_not1_saveexec_b32 s2, s2
; %bb.93:
	v_and_b32_e32 v4, 0xffff, v68
	v_or_b32_e32 v5, 0x10000, v68
	s_delay_alu instid0(VALU_DEP_2) | instskip(NEXT) | instid1(VALU_DEP_2)
	v_cmp_eq_u32_e32 vcc_lo, 0, v4
	v_cndmask_b32_e32 v4, v5, v68, vcc_lo
; %bb.94:
	s_or_b32 exec_lo, exec_lo, s2
	v_and_b32_e32 v5, 0x7f800000, v69
	s_delay_alu instid0(VALU_DEP_1) | instskip(SKIP_1) | instid1(SALU_CYCLE_1)
	v_cmp_ne_u32_e32 vcc_lo, 0x7f800000, v5
                                        ; implicit-def: $vgpr5
	s_and_saveexec_b32 s2, vcc_lo
	s_xor_b32 s2, exec_lo, s2
; %bb.95:
	v_bfe_u32 v5, v69, 16, 1
	s_delay_alu instid0(VALU_DEP_1)
	v_add3_u32 v5, v69, v5, 0x7fff
; %bb.96:
	s_and_not1_saveexec_b32 s2, s2
; %bb.97:
	v_and_b32_e32 v5, 0xffff, v69
	v_or_b32_e32 v6, 0x10000, v69
	s_delay_alu instid0(VALU_DEP_2) | instskip(NEXT) | instid1(VALU_DEP_2)
	v_cmp_eq_u32_e32 vcc_lo, 0, v5
	v_cndmask_b32_e32 v5, v6, v69, vcc_lo
; %bb.98:
	s_or_b32 exec_lo, exec_lo, s2
	v_and_b32_e32 v6, 0x7f800000, v70
	s_delay_alu instid0(VALU_DEP_1) | instskip(SKIP_1) | instid1(SALU_CYCLE_1)
	v_cmp_ne_u32_e32 vcc_lo, 0x7f800000, v6
                                        ; implicit-def: $vgpr6
	s_and_saveexec_b32 s2, vcc_lo
	s_xor_b32 s2, exec_lo, s2
; %bb.99:
	v_bfe_u32 v6, v70, 16, 1
	s_delay_alu instid0(VALU_DEP_1)
	v_add3_u32 v6, v70, v6, 0x7fff
; %bb.100:
	s_and_not1_saveexec_b32 s2, s2
; %bb.101:
	v_and_b32_e32 v6, 0xffff, v70
	v_or_b32_e32 v7, 0x10000, v70
	s_delay_alu instid0(VALU_DEP_2) | instskip(NEXT) | instid1(VALU_DEP_2)
	v_cmp_eq_u32_e32 vcc_lo, 0, v6
	v_cndmask_b32_e32 v6, v7, v70, vcc_lo
; %bb.102:
	s_or_b32 exec_lo, exec_lo, s2
	v_and_b32_e32 v7, 0x7f800000, v71
	s_delay_alu instid0(VALU_DEP_1) | instskip(SKIP_1) | instid1(SALU_CYCLE_1)
	v_cmp_ne_u32_e32 vcc_lo, 0x7f800000, v7
                                        ; implicit-def: $vgpr7
	s_and_saveexec_b32 s2, vcc_lo
	s_xor_b32 s2, exec_lo, s2
; %bb.103:
	v_bfe_u32 v7, v71, 16, 1
	s_delay_alu instid0(VALU_DEP_1)
	v_add3_u32 v7, v71, v7, 0x7fff
; %bb.104:
	s_and_not1_saveexec_b32 s2, s2
; %bb.105:
	v_and_b32_e32 v7, 0xffff, v71
	v_or_b32_e32 v8, 0x10000, v71
	s_delay_alu instid0(VALU_DEP_2) | instskip(NEXT) | instid1(VALU_DEP_2)
	v_cmp_eq_u32_e32 vcc_lo, 0, v7
	v_cndmask_b32_e32 v7, v8, v71, vcc_lo
; %bb.106:
	s_or_b32 exec_lo, exec_lo, s2
	v_and_b32_e32 v8, 0x7f800000, v72
	s_delay_alu instid0(VALU_DEP_1) | instskip(SKIP_1) | instid1(SALU_CYCLE_1)
	v_cmp_ne_u32_e32 vcc_lo, 0x7f800000, v8
                                        ; implicit-def: $vgpr8
	s_and_saveexec_b32 s2, vcc_lo
	s_xor_b32 s2, exec_lo, s2
; %bb.107:
	v_bfe_u32 v8, v72, 16, 1
	s_delay_alu instid0(VALU_DEP_1)
	v_add3_u32 v8, v72, v8, 0x7fff
                                        ; implicit-def: $vgpr65_vgpr66_vgpr67_vgpr68_vgpr69_vgpr70_vgpr71_vgpr72
; %bb.108:
	s_and_not1_saveexec_b32 s2, s2
; %bb.109:
	v_and_b32_e32 v8, 0xffff, v72
	v_or_b32_e32 v9, 0x10000, v72
	s_delay_alu instid0(VALU_DEP_2) | instskip(NEXT) | instid1(VALU_DEP_2)
	v_cmp_eq_u32_e32 vcc_lo, 0, v8
	v_cndmask_b32_e32 v8, v9, v72, vcc_lo
; %bb.110:
	s_or_b32 exec_lo, exec_lo, s2
	s_delay_alu instid0(VALU_DEP_1)
	v_perm_b32 v7, v8, v7, 0x7060302
	v_perm_b32 v6, v6, v5, 0x7060302
	;; [unrolled: 1-line block ×4, first 2 shown]
	s_barrier
	buffer_gl0_inv
	v_cmp_eq_u32_e32 vcc_lo, 1, v78
	ds_store_b128 v76, v[4:7]
	s_waitcnt lgkmcnt(0)
	s_barrier
	buffer_gl0_inv
	ds_load_b128 v[1:4], v82
	ds_load_b128 v[5:8], v82 offset:16
	v_cmp_eq_u32_e64 s2, 1, v79
	v_cmp_eq_u32_e64 s3, 2, v78
	;; [unrolled: 1-line block ×5, first 2 shown]
	s_waitcnt lgkmcnt(1)
	v_lshrrev_b32_e32 v9, 16, v1
	s_waitcnt lgkmcnt(0)
	v_lshrrev_b32_e32 v13, 16, v5
	v_lshrrev_b32_e32 v10, 16, v2
	;; [unrolled: 1-line block ×4, first 2 shown]
	v_cndmask_b32_e64 v19, v1, v9, s2
	v_cndmask_b32_e32 v18, v5, v13, vcc_lo
	v_cndmask_b32_e64 v20, v5, v13, s2
	v_cndmask_b32_e32 v17, v1, v9, vcc_lo
	v_cmp_eq_u32_e32 vcc_lo, 2, v79
	v_lshrrev_b32_e32 v15, 16, v7
	v_cmp_eq_u32_e64 s2, 1, v77
	v_lshrrev_b32_e32 v12, 16, v4
	v_lshrrev_b32_e32 v16, 16, v8
	v_cndmask_b32_e32 v20, v20, v6, vcc_lo
	v_cndmask_b32_e64 v17, v17, v2, s3
	v_cndmask_b32_e32 v19, v19, v2, vcc_lo
	v_cndmask_b32_e64 v18, v18, v6, s3
	v_cmp_eq_u32_e32 vcc_lo, 4, v78
	v_cmp_eq_u32_e64 s3, 3, v79
	v_cndmask_b32_e64 v17, v17, v10, s4
	v_cndmask_b32_e64 v21, v1, v9, s2
	;; [unrolled: 1-line block ×5, first 2 shown]
	v_cndmask_b32_e32 v17, v17, v3, vcc_lo
	v_cndmask_b32_e64 v20, v20, v14, s3
	v_cndmask_b32_e32 v18, v18, v7, vcc_lo
	v_cmp_eq_u32_e32 vcc_lo, 4, v79
	v_cmp_eq_u32_e64 s3, 5, v79
	v_cmp_eq_u32_e64 s2, 2, v81
	v_cndmask_b32_e64 v21, v21, v2, s6
	v_cmp_eq_u32_e64 s4, 5, v78
	v_cndmask_b32_e32 v19, v19, v3, vcc_lo
	v_cndmask_b32_e32 v20, v20, v7, vcc_lo
	v_cmp_eq_u32_e32 vcc_lo, 6, v79
	s_delay_alu instid0(VALU_DEP_4) | instskip(NEXT) | instid1(VALU_DEP_4)
	v_cndmask_b32_e64 v17, v17, v11, s4
	v_cndmask_b32_e64 v19, v19, v11, s3
	s_delay_alu instid0(VALU_DEP_4) | instskip(SKIP_1) | instid1(VALU_DEP_3)
	v_cndmask_b32_e64 v20, v20, v15, s3
	v_cmp_eq_u32_e64 s3, 1, v81
	v_cndmask_b32_e32 v19, v19, v4, vcc_lo
	v_cndmask_b32_e64 v18, v18, v15, s4
	s_delay_alu instid0(VALU_DEP_3)
	v_cndmask_b32_e64 v1, v1, v9, s3
	v_cndmask_b32_e64 v5, v5, v13, s3
	v_cmp_eq_u32_e64 s3, 3, v77
	v_cndmask_b32_e64 v13, v22, v6, s6
	v_cmp_eq_u32_e64 s6, 3, v81
	v_cndmask_b32_e64 v1, v1, v2, s2
	v_cndmask_b32_e64 v2, v5, v6, s2
	;; [unrolled: 1-line block ×3, first 2 shown]
	v_cmp_eq_u32_e64 s2, 4, v77
	v_cndmask_b32_e64 v6, v13, v14, s3
	v_cndmask_b32_e64 v1, v1, v10, s6
	v_cmp_eq_u32_e64 s3, 4, v81
	v_cndmask_b32_e64 v2, v2, v14, s6
	v_cndmask_b32_e64 v5, v9, v3, s2
	;; [unrolled: 3-line block ×3, first 2 shown]
	v_cndmask_b32_e64 v2, v2, v7, s3
	v_cmp_eq_u32_e64 s2, 5, v81
	v_cmp_eq_u32_e64 s4, 6, v78
	v_cndmask_b32_e64 v5, v5, v11, s6
	v_cmp_eq_u32_e64 s3, 6, v77
	v_cndmask_b32_e64 v3, v6, v15, s6
	v_cndmask_b32_e64 v1, v1, v11, s2
	v_cmp_eq_u32_e64 s6, 6, v81
	v_cndmask_b32_e64 v2, v2, v15, s2
	v_cndmask_b32_e64 v17, v17, v4, s4
	v_cndmask_b32_e64 v18, v18, v8, s4
	v_cmp_eq_u32_e64 s4, 7, v78
	v_cndmask_b32_e64 v5, v5, v4, s3
	;; [unrolled: 4-line block ×3, first 2 shown]
	v_cmp_eq_u32_e64 s3, 7, v77
	v_cndmask_b32_e32 v4, v20, v8, vcc_lo
	v_cndmask_b32_e64 v17, v17, v12, s4
	v_cndmask_b32_e64 v19, v19, v12, s5
	;; [unrolled: 1-line block ×8, first 2 shown]
	s_mov_b32 s2, exec_lo
	v_perm_b32 v4, v2, v1, 0x5040100
	v_perm_b32 v3, v3, v5, 0x5040100
	;; [unrolled: 1-line block ×4, first 2 shown]
	ds_store_b128 v76, v[1:4]
	s_waitcnt lgkmcnt(0)
	s_barrier
	buffer_gl0_inv
	v_cmpx_gt_u32_e32 32, v0
	s_cbranch_execz .LBB1827_2
; %bb.111:
	s_load_b64 s[0:1], s[0:1], 0x68
	s_lshl_b32 s4, s34, 7
	v_or_b32_e32 v3, s29, v74
	s_mul_i32 s2, s4, s30
	v_lshlrev_b32_e32 v0, 10, v0
	s_mul_i32 s2, s2, s7
	v_lshlrev_b32_e32 v1, 4, v75
	s_ashr_i32 s3, s2, 31
	v_mul_lo_u32 v12, v3, s4
	s_lshl_b64 s[2:3], s[2:3], 1
	v_lshlrev_b32_e32 v2, 6, v74
	v_and_b32_e32 v0, 0x3800, v0
	s_delay_alu instid0(VALU_DEP_1) | instskip(NEXT) | instid1(VALU_DEP_4)
	v_or3_b32 v8, v0, v1, v2
	v_ashrrev_i32_e32 v13, 31, v12
	ds_load_b128 v[0:3], v8
	ds_load_b128 v[4:7], v8 offset:128
	ds_load_b128 v[8:11], v8 offset:256
	s_waitcnt lgkmcnt(0)
	s_add_u32 s2, s0, s2
	s_addc_u32 s3, s1, s3
	s_lshl_b32 s0, s14, 7
	s_delay_alu instid0(SALU_CYCLE_1) | instskip(NEXT) | instid1(SALU_CYCLE_1)
	s_ashr_i32 s1, s0, 31
	s_lshl_b64 s[0:1], s[0:1], 1
	s_delay_alu instid0(SALU_CYCLE_1)
	s_add_u32 s0, s2, s0
	s_addc_u32 s1, s3, s1
	s_lshl_b32 s2, s34, 8
	v_add_co_u32 v18, s0, s0, v73
	v_add_nc_u32_e32 v14, s2, v12
	v_lshlrev_b64 v[12:13], 1, v[12:13]
	v_add_co_ci_u32_e64 v19, null, s1, 0, s0
	s_delay_alu instid0(VALU_DEP_3) | instskip(SKIP_1) | instid1(VALU_DEP_4)
	v_add_nc_u32_e32 v16, s2, v14
	v_ashrrev_i32_e32 v15, 31, v14
	v_add_co_u32 v12, vcc_lo, v18, v12
	s_delay_alu instid0(VALU_DEP_4) | instskip(NEXT) | instid1(VALU_DEP_4)
	v_add_co_ci_u32_e32 v13, vcc_lo, v19, v13, vcc_lo
	v_ashrrev_i32_e32 v17, 31, v16
	s_delay_alu instid0(VALU_DEP_4) | instskip(NEXT) | instid1(VALU_DEP_2)
	v_lshlrev_b64 v[14:15], 1, v[14:15]
	v_lshlrev_b64 v[16:17], 1, v[16:17]
	s_delay_alu instid0(VALU_DEP_2) | instskip(NEXT) | instid1(VALU_DEP_3)
	v_add_co_u32 v14, vcc_lo, v18, v14
	v_add_co_ci_u32_e32 v15, vcc_lo, v19, v15, vcc_lo
	s_delay_alu instid0(VALU_DEP_3) | instskip(NEXT) | instid1(VALU_DEP_4)
	v_add_co_u32 v16, vcc_lo, v18, v16
	v_add_co_ci_u32_e32 v17, vcc_lo, v19, v17, vcc_lo
	s_clause 0x2
	global_store_b128 v[12:13], v[0:3], off
	global_store_b128 v[14:15], v[4:7], off
	;; [unrolled: 1-line block ×3, first 2 shown]
	s_nop 0
	s_sendmsg sendmsg(MSG_DEALLOC_VGPRS)
	s_endpgm
	.section	.rodata,"a",@progbits
	.p2align	6, 0x0
	.amdhsa_kernel _Z39paged_attention_ll4mi_QKV_mfma16_kernelI14__hip_bfloat16hLN4vllm18Fp8KVCacheDataTypeE1ES0_Li16ELi128ELi256ELb1ELi6EL8MFMAType0EEvPKT_PKT0_S9_ifPKiSB_SB_iPKfiiiPfSE_PS4_PT2_iSD_SD_
		.amdhsa_group_segment_fixed_size 17472
		.amdhsa_private_segment_fixed_size 0
		.amdhsa_kernarg_size 400
		.amdhsa_user_sgpr_count 13
		.amdhsa_user_sgpr_dispatch_ptr 0
		.amdhsa_user_sgpr_queue_ptr 0
		.amdhsa_user_sgpr_kernarg_segment_ptr 1
		.amdhsa_user_sgpr_dispatch_id 0
		.amdhsa_user_sgpr_private_segment_size 0
		.amdhsa_wavefront_size32 1
		.amdhsa_uses_dynamic_stack 0
		.amdhsa_enable_private_segment 0
		.amdhsa_system_sgpr_workgroup_id_x 1
		.amdhsa_system_sgpr_workgroup_id_y 1
		.amdhsa_system_sgpr_workgroup_id_z 1
		.amdhsa_system_sgpr_workgroup_info 0
		.amdhsa_system_vgpr_workitem_id 0
		.amdhsa_next_free_vgpr 140
		.amdhsa_next_free_sgpr 36
		.amdhsa_reserve_vcc 1
		.amdhsa_float_round_mode_32 0
		.amdhsa_float_round_mode_16_64 0
		.amdhsa_float_denorm_mode_32 3
		.amdhsa_float_denorm_mode_16_64 3
		.amdhsa_dx10_clamp 1
		.amdhsa_ieee_mode 1
		.amdhsa_fp16_overflow 0
		.amdhsa_workgroup_processor_mode 1
		.amdhsa_memory_ordered 1
		.amdhsa_forward_progress 0
		.amdhsa_shared_vgpr_count 0
		.amdhsa_exception_fp_ieee_invalid_op 0
		.amdhsa_exception_fp_denorm_src 0
		.amdhsa_exception_fp_ieee_div_zero 0
		.amdhsa_exception_fp_ieee_overflow 0
		.amdhsa_exception_fp_ieee_underflow 0
		.amdhsa_exception_fp_ieee_inexact 0
		.amdhsa_exception_int_div_zero 0
	.end_amdhsa_kernel
	.section	.text._Z39paged_attention_ll4mi_QKV_mfma16_kernelI14__hip_bfloat16hLN4vllm18Fp8KVCacheDataTypeE1ES0_Li16ELi128ELi256ELb1ELi6EL8MFMAType0EEvPKT_PKT0_S9_ifPKiSB_SB_iPKfiiiPfSE_PS4_PT2_iSD_SD_,"axG",@progbits,_Z39paged_attention_ll4mi_QKV_mfma16_kernelI14__hip_bfloat16hLN4vllm18Fp8KVCacheDataTypeE1ES0_Li16ELi128ELi256ELb1ELi6EL8MFMAType0EEvPKT_PKT0_S9_ifPKiSB_SB_iPKfiiiPfSE_PS4_PT2_iSD_SD_,comdat
.Lfunc_end1827:
	.size	_Z39paged_attention_ll4mi_QKV_mfma16_kernelI14__hip_bfloat16hLN4vllm18Fp8KVCacheDataTypeE1ES0_Li16ELi128ELi256ELb1ELi6EL8MFMAType0EEvPKT_PKT0_S9_ifPKiSB_SB_iPKfiiiPfSE_PS4_PT2_iSD_SD_, .Lfunc_end1827-_Z39paged_attention_ll4mi_QKV_mfma16_kernelI14__hip_bfloat16hLN4vllm18Fp8KVCacheDataTypeE1ES0_Li16ELi128ELi256ELb1ELi6EL8MFMAType0EEvPKT_PKT0_S9_ifPKiSB_SB_iPKfiiiPfSE_PS4_PT2_iSD_SD_
                                        ; -- End function
	.section	.AMDGPU.csdata,"",@progbits
; Kernel info:
; codeLenInByte = 8884
; NumSgprs: 38
; NumVgprs: 140
; ScratchSize: 0
; MemoryBound: 0
; FloatMode: 240
; IeeeMode: 1
; LDSByteSize: 17472 bytes/workgroup (compile time only)
; SGPRBlocks: 4
; VGPRBlocks: 17
; NumSGPRsForWavesPerEU: 38
; NumVGPRsForWavesPerEU: 140
; Occupancy: 10
; WaveLimiterHint : 1
; COMPUTE_PGM_RSRC2:SCRATCH_EN: 0
; COMPUTE_PGM_RSRC2:USER_SGPR: 13
; COMPUTE_PGM_RSRC2:TRAP_HANDLER: 0
; COMPUTE_PGM_RSRC2:TGID_X_EN: 1
; COMPUTE_PGM_RSRC2:TGID_Y_EN: 1
; COMPUTE_PGM_RSRC2:TGID_Z_EN: 1
; COMPUTE_PGM_RSRC2:TIDIG_COMP_CNT: 0
	.section	.text._Z39paged_attention_ll4mi_QKV_mfma16_kernelI14__hip_bfloat16hLN4vllm18Fp8KVCacheDataTypeE1ES0_Li16ELi128ELi256ELb1ELi7EL8MFMAType0EEvPKT_PKT0_S9_ifPKiSB_SB_iPKfiiiPfSE_PS4_PT2_iSD_SD_,"axG",@progbits,_Z39paged_attention_ll4mi_QKV_mfma16_kernelI14__hip_bfloat16hLN4vllm18Fp8KVCacheDataTypeE1ES0_Li16ELi128ELi256ELb1ELi7EL8MFMAType0EEvPKT_PKT0_S9_ifPKiSB_SB_iPKfiiiPfSE_PS4_PT2_iSD_SD_,comdat
	.protected	_Z39paged_attention_ll4mi_QKV_mfma16_kernelI14__hip_bfloat16hLN4vllm18Fp8KVCacheDataTypeE1ES0_Li16ELi128ELi256ELb1ELi7EL8MFMAType0EEvPKT_PKT0_S9_ifPKiSB_SB_iPKfiiiPfSE_PS4_PT2_iSD_SD_ ; -- Begin function _Z39paged_attention_ll4mi_QKV_mfma16_kernelI14__hip_bfloat16hLN4vllm18Fp8KVCacheDataTypeE1ES0_Li16ELi128ELi256ELb1ELi7EL8MFMAType0EEvPKT_PKT0_S9_ifPKiSB_SB_iPKfiiiPfSE_PS4_PT2_iSD_SD_
	.globl	_Z39paged_attention_ll4mi_QKV_mfma16_kernelI14__hip_bfloat16hLN4vllm18Fp8KVCacheDataTypeE1ES0_Li16ELi128ELi256ELb1ELi7EL8MFMAType0EEvPKT_PKT0_S9_ifPKiSB_SB_iPKfiiiPfSE_PS4_PT2_iSD_SD_
	.p2align	8
	.type	_Z39paged_attention_ll4mi_QKV_mfma16_kernelI14__hip_bfloat16hLN4vllm18Fp8KVCacheDataTypeE1ES0_Li16ELi128ELi256ELb1ELi7EL8MFMAType0EEvPKT_PKT0_S9_ifPKiSB_SB_iPKfiiiPfSE_PS4_PT2_iSD_SD_,@function
_Z39paged_attention_ll4mi_QKV_mfma16_kernelI14__hip_bfloat16hLN4vllm18Fp8KVCacheDataTypeE1ES0_Li16ELi128ELi256ELb1ELi7EL8MFMAType0EEvPKT_PKT0_S9_ifPKiSB_SB_iPKfiiiPfSE_PS4_PT2_iSD_SD_: ; @_Z39paged_attention_ll4mi_QKV_mfma16_kernelI14__hip_bfloat16hLN4vllm18Fp8KVCacheDataTypeE1ES0_Li16ELi128ELi256ELb1ELi7EL8MFMAType0EEvPKT_PKT0_S9_ifPKiSB_SB_iPKfiiiPfSE_PS4_PT2_iSD_SD_
; %bb.0:
	s_load_b64 s[4:5], s[0:1], 0x30
	s_mov_b32 s30, s13
	s_waitcnt lgkmcnt(0)
	s_cmp_lg_u64 s[4:5], 0
	s_cselect_b32 s13, -1, 0
	s_ashr_i32 s31, s30, 31
	s_cmp_eq_u64 s[4:5], 0
	s_cbranch_scc1 .LBB1828_3
; %bb.1:
	s_lshl_b64 s[2:3], s[30:31], 2
	s_delay_alu instid0(SALU_CYCLE_1) | instskip(SKIP_4) | instid1(SALU_CYCLE_1)
	s_add_u32 s2, s4, s2
	s_addc_u32 s3, s5, s3
	s_load_b64 s[2:3], s[2:3], 0x0
	s_waitcnt lgkmcnt(0)
	s_sub_i32 s2, s3, s2
	s_cmp_eq_u32 s2, 1
	s_cselect_b32 s2, -1, 0
	s_delay_alu instid0(SALU_CYCLE_1)
	s_and_not1_b32 vcc_lo, exec_lo, s2
	s_cbranch_vccz .LBB1828_4
.LBB1828_2:
	s_nop 0
	s_sendmsg sendmsg(MSG_DEALLOC_VGPRS)
	s_endpgm
.LBB1828_3:
.LBB1828_4:
	s_load_b64 s[2:3], s[0:1], 0x28
	s_lshl_b64 s[6:7], s[30:31], 2
	s_waitcnt lgkmcnt(0)
	s_add_u32 s2, s2, s6
	s_addc_u32 s3, s3, s7
	s_lshl_b32 s12, s14, 8
	s_load_b32 s17, s[2:3], 0x0
	s_waitcnt lgkmcnt(0)
	s_cmp_ge_i32 s12, s17
	s_cbranch_scc1 .LBB1828_2
; %bb.5:
	s_clause 0x1
	s_load_b128 s[8:11], s[0:1], 0x8
	s_load_b64 s[2:3], s[0:1], 0x20
	s_and_not1_b32 vcc_lo, exec_lo, s13
	s_cbranch_vccnz .LBB1828_7
; %bb.6:
	s_add_u32 s4, s4, s6
	s_addc_u32 s5, s5, s7
	s_load_b32 s13, s[4:5], 0x0
	s_branch .LBB1828_8
.LBB1828_7:
	s_mov_b32 s13, s30
.LBB1828_8:
	s_load_b128 s[4:7], s[0:1], 0x48
	v_and_b32_e32 v65, 15, v0
	v_lshrrev_b32_e32 v66, 5, v0
	v_bfe_u32 v74, v0, 4, 1
	v_and_b32_e32 v67, 31, v0
	v_and_b32_e32 v75, 1, v0
	v_lshlrev_b32_e32 v2, 3, v65
	s_mul_i32 s31, s15, 7
	v_lshl_or_b32 v1, v66, 1, v74
	s_waitcnt lgkmcnt(0)
	s_mov_b32 s7, exec_lo
	v_lshlrev_b32_e32 v73, 1, v2
	s_delay_alu instid0(VALU_DEP_2)
	v_cmpx_gt_u32_e32 7, v1
	s_cbranch_execz .LBB1828_10
; %bb.9:
	s_load_b64 s[18:19], s[0:1], 0x0
	v_add_lshl_u32 v2, v1, s31, 7
	s_mul_hi_i32 s21, s13, s4
	s_mul_i32 s20, s13, s4
	v_lshlrev_b32_e32 v6, 10, v65
	s_lshl_b64 s[20:21], s[20:21], 1
	v_ashrrev_i32_e32 v3, 31, v2
	v_lshlrev_b32_e32 v1, 6, v1
	v_lshlrev_b32_e32 v7, 10, v75
	v_and_b32_e32 v6, 0x3800, v6
	s_delay_alu instid0(VALU_DEP_4) | instskip(NEXT) | instid1(VALU_DEP_2)
	v_lshlrev_b64 v[2:3], 1, v[2:3]
	v_or3_b32 v1, v6, v7, v1
	s_waitcnt lgkmcnt(0)
	s_add_u32 s4, s18, s20
	s_addc_u32 s13, s19, s21
	s_delay_alu instid0(VALU_DEP_2) | instskip(SKIP_1) | instid1(VALU_DEP_2)
	v_add_co_u32 v2, vcc_lo, s4, v2
	v_add_co_ci_u32_e32 v3, vcc_lo, s13, v3, vcc_lo
	v_add_co_u32 v2, vcc_lo, v2, v73
	s_delay_alu instid0(VALU_DEP_2)
	v_add_co_ci_u32_e32 v3, vcc_lo, 0, v3, vcc_lo
	global_load_b128 v[2:5], v[2:3], off
	s_waitcnt vmcnt(0)
	ds_store_b128 v1, v[2:5]
.LBB1828_10:
	s_or_b32 exec_lo, exec_lo, s7
	v_and_b32_e32 v1, 0xef, v0
	s_add_i32 s4, s17, 15
	s_clause 0x1
	s_load_b32 s7, s[0:1], 0x38
	s_load_b32 s18, s[0:1], 0x1c
	s_ashr_i32 s13, s4, 31
	v_add_nc_u32_e32 v2, s12, v1
	s_lshr_b32 s13, s13, 28
	s_waitcnt lgkmcnt(0)
	s_add_i32 s4, s4, s13
	s_barrier
	v_ashrrev_i32_e32 v1, 31, v2
	s_ashr_i32 s4, s4, 4
	v_cmp_gt_i32_e32 vcc_lo, s17, v2
	s_add_i32 s4, s4, -1
	buffer_gl0_inv
	v_lshrrev_b32_e32 v3, 28, v1
	v_or_b32_e32 v1, 16, v2
	s_mul_i32 s15, s15, s6
	s_delay_alu instid0(VALU_DEP_2) | instskip(SKIP_1) | instid1(SALU_CYCLE_1)
	v_add_nc_u32_e32 v4, v2, v3
	s_mul_i32 s20, s30, s7
	s_ashr_i32 s21, s20, 31
	s_delay_alu instid0(VALU_DEP_1) | instskip(SKIP_2) | instid1(SALU_CYCLE_1)
	v_ashrrev_i32_e32 v4, 4, v4
	v_add_nc_u32_e32 v3, v1, v3
	s_lshl_b64 s[20:21], s[20:21], 2
	s_add_u32 s2, s2, s20
	s_delay_alu instid0(VALU_DEP_2) | instskip(NEXT) | instid1(VALU_DEP_2)
	v_cndmask_b32_e32 v2, s4, v4, vcc_lo
	v_ashrrev_i32_e32 v3, 4, v3
	v_cmp_gt_i32_e32 vcc_lo, s17, v1
	s_addc_u32 s3, s3, s21
	s_ashr_i32 s6, s15, 31
	s_add_u32 s7, s8, s15
	s_addc_u32 s13, s9, s6
	v_cndmask_b32_e32 v4, s4, v3, vcc_lo
	v_ashrrev_i32_e32 v3, 31, v2
	s_lshl_b32 s8, s14, 4
	s_delay_alu instid0(SALU_CYCLE_1) | instskip(NEXT) | instid1(VALU_DEP_2)
	s_ashr_i32 s9, s8, 31
	v_ashrrev_i32_e32 v5, 31, v4
	s_delay_alu instid0(VALU_DEP_2) | instskip(SKIP_1) | instid1(SALU_CYCLE_1)
	v_lshlrev_b64 v[1:2], 2, v[2:3]
	s_lshl_b64 s[8:9], s[8:9], 2
	s_add_u32 s8, s2, s8
	s_delay_alu instid0(VALU_DEP_2) | instskip(SKIP_1) | instid1(VALU_DEP_2)
	v_lshlrev_b64 v[3:4], 2, v[4:5]
	s_addc_u32 s9, s3, s9
	v_add_co_u32 v1, vcc_lo, s2, v1
	v_add_co_ci_u32_e32 v2, vcc_lo, s3, v2, vcc_lo
	s_delay_alu instid0(VALU_DEP_3) | instskip(NEXT) | instid1(VALU_DEP_4)
	v_add_co_u32 v3, vcc_lo, s2, v3
	v_add_co_ci_u32_e32 v4, vcc_lo, s3, v4, vcc_lo
	s_clause 0x1
	global_load_b32 v5, v[1:2], off
	global_load_b32 v3, v[3:4], off
	v_lshlrev_b32_e32 v1, 4, v0
	s_or_b32 s16, s12, 32
	s_delay_alu instid0(SALU_CYCLE_1) | instskip(SKIP_1) | instid1(VALU_DEP_1)
	s_ashr_i32 s19, s16, 4
	s_cmp_lt_i32 s16, s17
	v_and_b32_e32 v1, 0xf0, v1
	s_cselect_b32 s20, s19, s4
	s_delay_alu instid0(SALU_CYCLE_1) | instskip(NEXT) | instid1(SALU_CYCLE_1)
	s_ashr_i32 s21, s20, 31
	s_lshl_b64 s[20:21], s[20:21], 2
	s_delay_alu instid0(VALU_DEP_1)
	v_add_co_u32 v1, s7, s7, v1
	s_add_u32 s20, s2, s20
	s_addc_u32 s21, s3, s21
	s_or_b32 s16, s12, 64
	v_add_co_ci_u32_e64 v2, null, s13, 0, s7
	s_ashr_i32 s19, s16, 4
	s_cmp_lt_i32 s16, s17
	s_cselect_b32 s22, s19, s4
	s_delay_alu instid0(SALU_CYCLE_1) | instskip(NEXT) | instid1(SALU_CYCLE_1)
	s_ashr_i32 s23, s22, 31
	s_lshl_b64 s[22:23], s[22:23], 2
	s_delay_alu instid0(SALU_CYCLE_1) | instskip(SKIP_2) | instid1(SALU_CYCLE_1)
	s_add_u32 s22, s2, s22
	s_addc_u32 s23, s3, s23
	s_or_b32 s16, s12, 0x60
	s_ashr_i32 s19, s16, 4
	s_cmp_lt_i32 s16, s17
	s_cselect_b32 s24, s19, s4
	s_delay_alu instid0(SALU_CYCLE_1) | instskip(NEXT) | instid1(SALU_CYCLE_1)
	s_ashr_i32 s25, s24, 31
	s_lshl_b64 s[24:25], s[24:25], 2
	s_delay_alu instid0(SALU_CYCLE_1) | instskip(SKIP_2) | instid1(SALU_CYCLE_1)
	s_add_u32 s24, s2, s24
	s_addc_u32 s25, s3, s25
	s_or_b32 s16, s12, 0x80
	;; [unrolled: 10-line block ×3, first 2 shown]
	s_ashr_i32 s19, s16, 4
	s_cmp_lt_i32 s16, s17
	s_cselect_b32 s28, s19, s4
	s_delay_alu instid0(SALU_CYCLE_1) | instskip(NEXT) | instid1(SALU_CYCLE_1)
	s_ashr_i32 s29, s28, 31
	s_lshl_b64 s[28:29], s[28:29], 2
	s_delay_alu instid0(SALU_CYCLE_1)
	s_add_u32 s28, s2, s28
	s_addc_u32 s29, s3, s29
	s_clause 0x5
	s_load_b32 s7, s[8:9], 0x0
	s_load_b32 s13, s[20:21], 0x0
	;; [unrolled: 1-line block ×6, first 2 shown]
	s_or_b32 s8, s12, 0xc0
	s_mov_b32 s20, 0
	s_ashr_i32 s9, s8, 4
	s_cmp_lt_i32 s8, s17
	s_mov_b32 s27, s20
	s_cselect_b32 s8, s9, s4
	s_mov_b32 s21, s20
	s_ashr_i32 s9, s8, 31
	s_mov_b32 s22, s20
	s_lshl_b64 s[8:9], s[8:9], 2
	s_mov_b32 s23, s20
	s_mov_b32 s24, s20
	s_mov_b32 s25, s20
	s_mov_b32 s26, s20
	v_dual_mov_b32 v107, s27 :: v_dual_mov_b32 v104, s24
	s_add_u32 s8, s2, s8
	v_dual_mov_b32 v106, s26 :: v_dual_mov_b32 v105, s25
	v_dual_mov_b32 v101, s21 :: v_dual_mov_b32 v100, s20
	s_addc_u32 s9, s3, s9
	v_dual_mov_b32 v103, s23 :: v_dual_mov_b32 v102, s22
	s_or_b32 s20, s12, 0xe0
	s_delay_alu instid0(SALU_CYCLE_1) | instskip(SKIP_2) | instid1(SALU_CYCLE_1)
	s_ashr_i32 s21, s20, 4
	s_cmp_lt_i32 s20, s17
	s_cselect_b32 s20, s21, s4
	s_ashr_i32 s21, s20, 31
	s_delay_alu instid0(SALU_CYCLE_1) | instskip(NEXT) | instid1(SALU_CYCLE_1)
	s_lshl_b64 s[20:21], s[20:21], 2
	s_add_u32 s2, s2, s20
	s_addc_u32 s3, s3, s21
	s_waitcnt vmcnt(1)
	v_mad_i64_i32 v[25:26], null, v5, s5, v[1:2]
	s_waitcnt vmcnt(0)
	v_mad_i64_i32 v[27:28], null, v3, s5, v[1:2]
	s_clause 0xf
	global_load_b128 v[1:4], v[25:26], off
	global_load_b128 v[5:8], v[25:26], off offset:256
	global_load_b128 v[9:12], v[27:28], off
	global_load_b128 v[13:16], v[27:28], off offset:256
	global_load_b128 v[17:20], v[25:26], off offset:512
	;; [unrolled: 1-line block ×13, first 2 shown]
	v_mul_lo_u16 v25, v65, 37
	v_lshlrev_b32_e32 v26, 4, v65
	s_delay_alu instid0(VALU_DEP_2) | instskip(NEXT) | instid1(VALU_DEP_2)
	v_lshrrev_b16 v25, 8, v25
	v_lshl_or_b32 v33, v66, 8, v26
	s_delay_alu instid0(VALU_DEP_2) | instskip(NEXT) | instid1(VALU_DEP_1)
	v_mul_lo_u16 v25, v25, 7
	v_sub_nc_u16 v25, v65, v25
	s_delay_alu instid0(VALU_DEP_1) | instskip(NEXT) | instid1(VALU_DEP_1)
	v_and_b32_e32 v25, 0xff, v25
	v_lshlrev_b32_e32 v72, 6, v25
	ds_load_b128 v[25:28], v72
	ds_load_b128 v[29:32], v72 offset:1024
	ds_load_b128 v[108:111], v72 offset:2048
	;; [unrolled: 1-line block ×3, first 2 shown]
	s_load_b32 s4, s[8:9], 0x0
	ds_load_b128 v[116:119], v72 offset:4096
	ds_load_b128 v[120:123], v72 offset:5120
	s_load_b32 s2, s[2:3], 0x0
	s_add_u32 s8, s10, s15
	s_addc_u32 s6, s11, s6
	v_add_co_u32 v68, s8, s8, v33
	s_delay_alu instid0(VALU_DEP_1) | instskip(SKIP_1) | instid1(VALU_DEP_1)
	v_add_co_ci_u32_e64 v69, null, s6, 0, s8
	s_waitcnt lgkmcnt(0)
	v_mad_i64_i32 v[33:34], null, s7, s5, v[68:69]
	v_mad_i64_i32 v[70:71], null, s16, s5, v[68:69]
	;; [unrolled: 1-line block ×7, first 2 shown]
	s_clause 0x3
	global_load_b128 v[41:44], v[33:34], off
	global_load_b128 v[45:48], v[33:34], off offset:16
	global_load_b128 v[33:36], v[37:38], off
	global_load_b128 v[37:40], v[37:38], off offset:16
	s_waitcnt vmcnt(18)
	v_wmma_f32_16x16x16_bf16 v[124:131], v[1:8], v[25:32], v[100:107]
	s_waitcnt vmcnt(16)
	v_wmma_f32_16x16x16_bf16 v[100:107], v[9:16], v[25:32], v[100:107]
	s_clause 0x1
	global_load_b128 v[25:28], v[70:71], off
	global_load_b128 v[29:32], v[70:71], off offset:16
	s_waitcnt vmcnt(16)
	v_wmma_f32_16x16x16_bf16 v[124:131], v[17:24], v[108:115], v[124:131]
	s_clause 0x1
	global_load_b128 v[17:20], v[132:133], off
	global_load_b128 v[21:24], v[132:133], off offset:16
	s_waitcnt vmcnt(16)
	v_wmma_f32_16x16x16_bf16 v[100:107], v[49:56], v[108:115], v[100:107]
	v_mad_i64_i32 v[53:54], null, s2, s5, v[68:69]
	s_clause 0x3
	global_load_b128 v[1:4], v[134:135], off
	global_load_b128 v[5:8], v[134:135], off offset:16
	global_load_b128 v[9:12], v[136:137], off
	global_load_b128 v[13:16], v[136:137], off offset:16
	s_waitcnt vmcnt(18)
	v_wmma_f32_16x16x16_bf16 v[124:131], v[57:64], v[116:123], v[124:131]
	s_clause 0x3
	global_load_b128 v[57:60], v[138:139], off
	global_load_b128 v[61:64], v[138:139], off offset:16
	global_load_b128 v[49:52], v[53:54], off
	global_load_b128 v[53:56], v[53:54], off offset:16
	v_mbcnt_lo_u32_b32 v69, -1, 0
	s_waitcnt vmcnt(20)
	v_wmma_f32_16x16x16_bf16 v[100:107], v[76:83], v[116:123], v[100:107]
	s_delay_alu instid0(VALU_DEP_2) | instskip(NEXT) | instid1(VALU_DEP_1)
	v_xor_b32_e32 v70, 16, v69
	v_cmp_gt_i32_e32 vcc_lo, 32, v70
	v_cndmask_b32_e32 v69, v69, v70, vcc_lo
	ds_load_b128 v[76:79], v72 offset:6144
	ds_load_b128 v[80:83], v72 offset:7168
	s_waitcnt vmcnt(0) lgkmcnt(0)
	s_barrier
	buffer_gl0_inv
	v_wmma_f32_16x16x16_bf16 v[124:131], v[84:91], v[76:83], v[124:131]
	v_and_b32_e32 v68, 0xe0, v0
	v_wmma_f32_16x16x16_bf16 v[100:107], v[92:99], v[76:83], v[100:107]
	s_delay_alu instid0(VALU_DEP_2) | instskip(NEXT) | instid1(VALU_DEP_4)
	v_dual_mul_f32 v79, s18, v127 :: v_dual_add_nc_u32 v68, s12, v68
	v_mul_f32_e32 v81, s18, v129
	v_dual_mul_f32 v78, s18, v125 :: v_dual_mul_f32 v83, s18, v131
	s_delay_alu instid0(VALU_DEP_4) | instskip(NEXT) | instid1(VALU_DEP_4)
	v_dual_mul_f32 v80, s18, v126 :: v_dual_mul_f32 v95, s18, v103
	v_or_b32_e32 v68, v68, v74
	v_dual_mul_f32 v93, s18, v101 :: v_dual_mul_f32 v82, s18, v128
	v_dual_mul_f32 v97, s18, v105 :: v_dual_mul_f32 v92, s18, v130
	v_mul_f32_e32 v99, s18, v107
	s_delay_alu instid0(VALU_DEP_4)
	v_or_b32_e32 v70, 2, v68
	v_or_b32_e32 v71, 4, v68
	;; [unrolled: 1-line block ×3, first 2 shown]
	v_cmp_gt_i32_e64 s2, s17, v68
	v_or_b32_e32 v108, 8, v68
	v_cmp_gt_i32_e32 vcc_lo, s17, v70
	v_mul_f32_e32 v70, s18, v124
	v_or_b32_e32 v109, 10, v68
	v_cmp_gt_i32_e64 s3, s17, v71
	v_cmp_gt_i32_e64 s4, s17, v72
	v_cndmask_b32_e32 v78, 0xff7fffff, v78, vcc_lo
	v_cndmask_b32_e64 v70, 0xff7fffff, v70, s2
	v_or_b32_e32 v84, 12, v68
	v_or_b32_e32 v85, 14, v68
	v_cndmask_b32_e64 v71, 0xff7fffff, v80, s3
	v_cndmask_b32_e64 v72, 0xff7fffff, v79, s4
	v_max3_f32 v70, v70, 0xff7fffff, v78
	v_cmp_gt_i32_e64 s5, s17, v108
	v_cmp_gt_i32_e64 s6, s17, v109
	v_or_b32_e32 v86, 16, v68
	v_or_b32_e32 v87, 18, v68
	v_max3_f32 v70, v70, v71, v72
	v_cndmask_b32_e64 v78, 0xff7fffff, v82, s5
	v_cndmask_b32_e64 v79, 0xff7fffff, v81, s6
	v_cmp_gt_i32_e64 s7, s17, v84
	v_cmp_gt_i32_e64 s8, s17, v85
	v_or_b32_e32 v88, 20, v68
	v_or_b32_e32 v89, 22, v68
	v_mul_f32_e32 v94, s18, v100
	v_cndmask_b32_e64 v71, 0xff7fffff, v92, s7
	v_cndmask_b32_e64 v72, 0xff7fffff, v83, s8
	v_max3_f32 v70, v70, v78, v79
	v_cmp_gt_i32_e64 s9, s17, v86
	v_cmp_gt_i32_e64 s10, s17, v87
	v_or_b32_e32 v90, 24, v68
	v_or_b32_e32 v91, 26, v68
	v_mul_f32_e32 v96, s18, v102
	v_max3_f32 v70, v70, v71, v72
	v_cndmask_b32_e64 v79, 0xff7fffff, v93, s10
	v_cmp_gt_i32_e64 s11, s17, v88
	v_cmp_gt_i32_e64 s12, s17, v89
	v_lshlrev_b32_e32 v89, 2, v69
	v_cndmask_b32_e64 v78, 0xff7fffff, v94, s9
	v_or_b32_e32 v76, 28, v68
	v_or_b32_e32 v77, 30, v68
	v_mul_f32_e32 v98, s18, v104
	v_cndmask_b32_e64 v71, 0xff7fffff, v96, s11
	v_cndmask_b32_e64 v72, 0xff7fffff, v95, s12
	v_max3_f32 v70, v70, v78, v79
	v_cmp_gt_i32_e64 s13, s17, v90
	v_cmp_gt_i32_e64 s15, s17, v91
	v_mul_f32_e32 v68, s18, v106
	v_cmp_gt_i32_e64 s16, s17, v76
	v_max3_f32 v70, v70, v71, v72
	v_cndmask_b32_e64 v78, 0xff7fffff, v98, s13
	v_cndmask_b32_e64 v79, 0xff7fffff, v97, s15
	v_cmp_gt_i32_e64 s17, s17, v77
	v_cndmask_b32_e64 v68, 0xff7fffff, v68, s16
	s_delay_alu instid0(VALU_DEP_3) | instskip(NEXT) | instid1(VALU_DEP_3)
	v_max3_f32 v70, v70, v78, v79
	v_cndmask_b32_e64 v71, 0xff7fffff, v99, s17
	s_delay_alu instid0(VALU_DEP_1) | instskip(SKIP_3) | instid1(VALU_DEP_1)
	v_max3_f32 v68, v70, v68, v71
	ds_bpermute_b32 v69, v89, v68
	s_waitcnt lgkmcnt(0)
	v_max_f32_e32 v69, v69, v69
	v_max_f32_e32 v68, v68, v69
	s_delay_alu instid0(VALU_DEP_1) | instskip(NEXT) | instid1(VALU_DEP_1)
	v_fma_f32 v76, s18, v128, -v68
	v_mul_f32_e32 v77, 0x3fb8aa3b, v76
	v_fma_f32 v71, s18, v126, -v68
	v_fma_f32 v69, s18, v124, -v68
	;; [unrolled: 1-line block ×4, first 2 shown]
	v_exp_f32_e32 v77, v77
	v_mul_f32_e32 v71, 0x3fb8aa3b, v71
	v_mul_f32_e32 v69, 0x3fb8aa3b, v69
	v_fma_f32 v81, s18, v105, -v68
	v_fma_f32 v78, s18, v130, -v68
	s_delay_alu instid0(VALU_DEP_4) | instskip(NEXT) | instid1(VALU_DEP_3)
	v_exp_f32_e32 v71, v71
	v_exp_f32_e32 v69, v69
	s_delay_alu instid0(VALU_DEP_2) | instskip(NEXT) | instid1(TRANS32_DEP_3)
	v_mul_f32_e32 v81, 0x3fb8aa3b, v81
	v_cndmask_b32_e64 v86, 0, v77, s5
	v_fma_f32 v77, s18, v101, -v68
	s_delay_alu instid0(VALU_DEP_3) | instskip(NEXT) | instid1(TRANS32_DEP_3)
	v_exp_f32_e32 v81, v81
	v_cndmask_b32_e64 v83, 0, v71, s3
	v_fma_f32 v71, s18, v131, -v68
	v_mul_f32_e32 v72, 0x3fb8aa3b, v72
	s_delay_alu instid0(TRANS32_DEP_2) | instskip(SKIP_1) | instid1(VALU_DEP_4)
	v_cndmask_b32_e64 v80, 0, v69, s2
	v_fma_f32 v69, s18, v129, -v68
	v_dual_mul_f32 v70, 0x3fb8aa3b, v70 :: v_dual_mul_f32 v71, 0x3fb8aa3b, v71
	s_delay_alu instid0(VALU_DEP_4) | instskip(SKIP_1) | instid1(VALU_DEP_3)
	v_exp_f32_e32 v72, v72
	v_mul_f32_e32 v77, 0x3fb8aa3b, v77
	v_mul_f32_e32 v69, 0x3fb8aa3b, v69
	s_delay_alu instid0(VALU_DEP_3)
	v_exp_f32_e32 v70, v70
	v_exp_f32_e32 v71, v71
	v_cmp_gt_u32_e64 s2, 16, v67
	v_exp_f32_e32 v77, v77
	v_exp_f32_e32 v69, v69
	v_cndmask_b32_e64 v85, 0, v72, s4
	v_fma_f32 v72, s18, v100, -v68
	v_cndmask_b32_e32 v76, 0, v70, vcc_lo
	s_delay_alu instid0(TRANS32_DEP_3) | instskip(SKIP_2) | instid1(TRANS32_DEP_1)
	v_cndmask_b32_e64 v88, 0, v71, s8
	v_fma_f32 v71, s18, v104, -v68
	v_add_f32_e32 v70, 0, v80
	v_cndmask_b32_e64 v87, 0, v69, s6
	s_delay_alu instid0(VALU_DEP_2) | instskip(NEXT) | instid1(VALU_DEP_1)
	v_dual_mul_f32 v71, 0x3fb8aa3b, v71 :: v_dual_add_f32 v70, v70, v76
	v_exp_f32_e32 v82, v71
	s_delay_alu instid0(VALU_DEP_1) | instskip(NEXT) | instid1(VALU_DEP_1)
	v_add_f32_e32 v70, v70, v83
	v_add_f32_e32 v70, v70, v85
	s_delay_alu instid0(VALU_DEP_1) | instskip(SKIP_1) | instid1(VALU_DEP_2)
	v_dual_mul_f32 v72, 0x3fb8aa3b, v72 :: v_dual_add_f32 v69, v70, v86
	v_fma_f32 v70, s18, v102, -v68
	v_exp_f32_e32 v72, v72
	s_delay_alu instid0(VALU_DEP_2) | instskip(NEXT) | instid1(VALU_DEP_2)
	v_dual_add_f32 v69, v69, v87 :: v_dual_mul_f32 v78, 0x3fb8aa3b, v78
	v_mul_f32_e32 v70, 0x3fb8aa3b, v70
	s_delay_alu instid0(VALU_DEP_2) | instskip(NEXT) | instid1(VALU_DEP_1)
	v_exp_f32_e32 v78, v78
	v_exp_f32_e32 v79, v70
	s_delay_alu instid0(TRANS32_DEP_3) | instskip(SKIP_4) | instid1(VALU_DEP_3)
	v_cndmask_b32_e64 v70, 0, v72, s9
	s_waitcnt_depctr 0xfff
	v_cndmask_b32_e64 v84, 0, v78, s7
	v_fma_f32 v78, s18, v103, -v68
	v_cndmask_b32_e64 v71, 0, v79, s11
	v_add_f32_e32 v69, v69, v84
	s_delay_alu instid0(VALU_DEP_1) | instskip(SKIP_2) | instid1(VALU_DEP_1)
	v_add_f32_e32 v72, v69, v88
	v_cndmask_b32_e64 v69, 0, v77, s10
	v_fma_f32 v77, s18, v106, -v68
	v_dual_add_f32 v72, v72, v70 :: v_dual_mul_f32 v77, 0x3fb8aa3b, v77
	s_delay_alu instid0(VALU_DEP_1) | instskip(NEXT) | instid1(VALU_DEP_2)
	v_add_f32_e32 v79, v72, v69
	v_exp_f32_e32 v90, v77
	v_cndmask_b32_e64 v77, 0, v82, s13
	v_mul_f32_e32 v78, 0x3fb8aa3b, v78
	s_delay_alu instid0(VALU_DEP_1) | instskip(SKIP_4) | instid1(VALU_DEP_1)
	v_exp_f32_e32 v78, v78
	s_waitcnt_depctr 0xfff
	v_cndmask_b32_e64 v72, 0, v78, s12
	v_add_f32_e32 v78, v79, v71
	v_fma_f32 v79, s18, v107, -v68
	v_dual_add_f32 v82, v78, v72 :: v_dual_mul_f32 v79, 0x3fb8aa3b, v79
	v_cndmask_b32_e64 v78, 0, v81, s15
	s_delay_alu instid0(VALU_DEP_2) | instskip(NEXT) | instid1(VALU_DEP_3)
	v_add_f32_e32 v81, v82, v77
	v_exp_f32_e32 v82, v79
	v_cndmask_b32_e64 v79, 0, v90, s16
	s_delay_alu instid0(VALU_DEP_2) | instskip(NEXT) | instid1(VALU_DEP_1)
	v_add_f32_e32 v81, v81, v78
	v_add_f32_e32 v90, v81, v79
	s_waitcnt_depctr 0xfff
	v_cndmask_b32_e64 v81, 0, v82, s17
	s_delay_alu instid0(VALU_DEP_1)
	v_add_f32_e32 v82, v90, v81
	ds_bpermute_b32 v89, v89, v82
	s_and_saveexec_b32 s3, s2
	s_cbranch_execz .LBB1828_12
; %bb.11:
	v_mul_u32_u24_e32 v67, 0x44, v66
	s_delay_alu instid0(VALU_DEP_1) | instskip(SKIP_1) | instid1(VALU_DEP_1)
	v_lshl_add_u32 v67, v65, 2, v67
	s_waitcnt lgkmcnt(0)
	v_dual_add_f32 v82, v82, v89 :: v_dual_add_nc_u32 v67, 0x4000, v67
	ds_store_2addr_b32 v67, v68, v82 offset1:136
.LBB1828_12:
	s_or_b32 exec_lo, exec_lo, s3
	v_lshlrev_b32_e32 v67, 2, v65
	s_waitcnt lgkmcnt(0)
	s_barrier
	buffer_gl0_inv
	v_cmp_eq_u32_e32 vcc_lo, 1, v66
	v_add_nc_u32_e32 v82, 0x4000, v67
	v_cmp_eq_u32_e64 s3, 2, v66
	v_cmp_eq_u32_e64 s5, 7, v66
	ds_load_2addr_b32 v[89:90], v82 offset1:17
	ds_load_2addr_b32 v[91:92], v82 offset0:34 offset1:51
	ds_load_2addr_b32 v[93:94], v82 offset0:68 offset1:85
	;; [unrolled: 1-line block ×4, first 2 shown]
	s_waitcnt lgkmcnt(4)
	v_max3_f32 v67, v89, 0xff7fffff, v90
	s_waitcnt lgkmcnt(3)
	s_delay_alu instid0(VALU_DEP_1) | instskip(SKIP_1) | instid1(VALU_DEP_1)
	v_max3_f32 v67, v67, v91, v92
	s_waitcnt lgkmcnt(2)
	v_max3_f32 v67, v67, v93, v94
	s_waitcnt lgkmcnt(1)
	s_delay_alu instid0(VALU_DEP_1) | instskip(NEXT) | instid1(VALU_DEP_1)
	v_max3_f32 v67, v67, v95, v96
	v_sub_f32_e32 v93, v93, v67
	s_delay_alu instid0(VALU_DEP_1) | instskip(NEXT) | instid1(VALU_DEP_1)
	v_dual_sub_f32 v68, v89, v67 :: v_dual_mul_f32 v103, 0x3fb8aa3b, v93
	v_mul_f32_e32 v68, 0x3fb8aa3b, v68
	s_delay_alu instid0(VALU_DEP_1)
	v_exp_f32_e32 v100, v68
	v_sub_f32_e32 v68, v92, v67
	v_sub_f32_e32 v99, v90, v67
	ds_load_2addr_b32 v[89:90], v82 offset0:170 offset1:187
	v_dual_mul_f32 v102, 0x3fb8aa3b, v68 :: v_dual_mul_f32 v99, 0x3fb8aa3b, v99
	s_waitcnt lgkmcnt(1)
	v_fma_f32 v68, v100, v97, 0
	s_delay_alu instid0(VALU_DEP_2) | instskip(NEXT) | instid1(VALU_DEP_2)
	v_exp_f32_e32 v102, v102
	v_exp_f32_e32 v99, v99
	s_waitcnt_depctr 0xfff
	v_fmac_f32_e32 v68, v99, v98
	v_sub_f32_e32 v91, v91, v67
	s_delay_alu instid0(VALU_DEP_1)
	v_mul_f32_e32 v101, 0x3fb8aa3b, v91
	ds_load_2addr_b32 v[91:92], v82 offset0:204 offset1:221
	v_sub_f32_e32 v97, v94, v67
	ds_load_2addr_b32 v[93:94], v82 offset0:238 offset1:255
	s_waitcnt lgkmcnt(0)
	v_exp_f32_e32 v101, v101
	s_barrier
	buffer_gl0_inv
	v_dual_fmac_f32 v68, v101, v89 :: v_dual_sub_f32 v89, v96, v67
	v_dual_sub_f32 v82, v95, v67 :: v_dual_mul_f32 v95, 0x3fb8aa3b, v97
	v_exp_f32_e32 v97, v103
	s_delay_alu instid0(VALU_DEP_2) | instskip(NEXT) | instid1(VALU_DEP_2)
	v_dual_fmac_f32 v68, v102, v90 :: v_dual_mul_f32 v89, 0x3fb8aa3b, v89
	v_mul_f32_e32 v82, 0x3fb8aa3b, v82
	s_delay_alu instid0(VALU_DEP_3) | instskip(NEXT) | instid1(VALU_DEP_2)
	v_exp_f32_e32 v95, v95
	v_exp_f32_e32 v89, v89
	s_delay_alu instid0(VALU_DEP_1)
	v_exp_f32_e32 v82, v82
	v_fmac_f32_e32 v68, v97, v91
	s_delay_alu instid0(TRANS32_DEP_3) | instid1(VALU_DEP_1)
	v_fmac_f32_e32 v68, v95, v92
	s_waitcnt_depctr 0xfff
	v_fmac_f32_e32 v68, v82, v93
	s_delay_alu instid0(VALU_DEP_1) | instskip(NEXT) | instid1(VALU_DEP_1)
	v_fmac_f32_e32 v68, v89, v94
	v_add_f32_e32 v90, 0x358637bd, v68
	s_delay_alu instid0(VALU_DEP_1) | instskip(NEXT) | instid1(VALU_DEP_1)
	v_div_scale_f32 v91, null, v90, v90, 1.0
	v_rcp_f32_e32 v92, v91
	s_waitcnt_depctr 0xfff
	v_fma_f32 v93, -v91, v92, 1.0
	s_delay_alu instid0(VALU_DEP_1) | instskip(SKIP_1) | instid1(VALU_DEP_2)
	v_dual_fmac_f32 v92, v93, v92 :: v_dual_cndmask_b32 v93, v100, v99
	v_cmp_eq_u32_e32 vcc_lo, 3, v66
	v_cndmask_b32_e64 v93, v93, v101, s3
	v_cmp_eq_u32_e64 s3, 4, v66
	s_delay_alu instid0(VALU_DEP_2) | instskip(SKIP_1) | instid1(VALU_DEP_2)
	v_cndmask_b32_e32 v93, v93, v102, vcc_lo
	v_cmp_eq_u32_e32 vcc_lo, 5, v66
	v_cndmask_b32_e64 v93, v93, v97, s3
	v_cmp_eq_u32_e64 s3, 6, v66
	s_delay_alu instid0(VALU_DEP_2) | instskip(SKIP_1) | instid1(VALU_DEP_1)
	v_cndmask_b32_e32 v93, v93, v95, vcc_lo
	v_div_scale_f32 v94, s4, 1.0, v90, 1.0
	s_mov_b32 vcc_lo, s4
	s_delay_alu instid0(VALU_DEP_2) | instskip(NEXT) | instid1(VALU_DEP_2)
	v_cndmask_b32_e64 v82, v93, v82, s3
	v_mul_f32_e32 v96, v94, v92
	s_mov_b32 s3, exec_lo
	s_delay_alu instid0(VALU_DEP_2) | instskip(NEXT) | instid1(VALU_DEP_2)
	v_cndmask_b32_e64 v82, v82, v89, s5
	v_fma_f32 v98, -v91, v96, v94
	s_delay_alu instid0(VALU_DEP_1) | instskip(NEXT) | instid1(VALU_DEP_1)
	v_fmac_f32_e32 v96, v98, v92
	v_fma_f32 v91, -v91, v96, v94
	s_delay_alu instid0(VALU_DEP_1) | instskip(NEXT) | instid1(VALU_DEP_1)
	v_div_fmas_f32 v91, v91, v92, v96
	v_div_fixup_f32 v90, v91, v90, 1.0
	s_delay_alu instid0(VALU_DEP_1) | instskip(NEXT) | instid1(VALU_DEP_1)
	v_mul_f32_e32 v82, v82, v90
	v_mul_f32_e32 v87, v82, v87
	;; [unrolled: 1-line block ×7, first 2 shown]
	v_dual_mul_f32 v86, v82, v83 :: v_dual_and_b32 v91, 0x7f800000, v90
	v_mul_f32_e32 v85, v82, v76
                                        ; implicit-def: $vgpr76
	s_delay_alu instid0(VALU_DEP_2)
	v_cmpx_ne_u32_e32 0x7f800000, v91
	s_xor_b32 s3, exec_lo, s3
; %bb.13:
	v_bfe_u32 v76, v90, 16, 1
	s_delay_alu instid0(VALU_DEP_1)
	v_add3_u32 v76, v90, v76, 0x7fff
                                        ; implicit-def: $vgpr90
; %bb.14:
	s_and_not1_saveexec_b32 s3, s3
; %bb.15:
	v_and_b32_e32 v76, 0xffff, v90
	v_or_b32_e32 v83, 0x10000, v90
	s_delay_alu instid0(VALU_DEP_2) | instskip(NEXT) | instid1(VALU_DEP_2)
	v_cmp_eq_u32_e32 vcc_lo, 0, v76
	v_cndmask_b32_e32 v76, v83, v90, vcc_lo
; %bb.16:
	s_or_b32 exec_lo, exec_lo, s3
	v_and_b32_e32 v83, 0x7f800000, v85
	s_delay_alu instid0(VALU_DEP_1) | instskip(SKIP_1) | instid1(SALU_CYCLE_1)
	v_cmp_ne_u32_e32 vcc_lo, 0x7f800000, v83
                                        ; implicit-def: $vgpr83
	s_and_saveexec_b32 s3, vcc_lo
	s_xor_b32 s3, exec_lo, s3
; %bb.17:
	v_bfe_u32 v83, v85, 16, 1
	s_delay_alu instid0(VALU_DEP_1)
	v_add3_u32 v83, v85, v83, 0x7fff
                                        ; implicit-def: $vgpr85
; %bb.18:
	s_and_not1_saveexec_b32 s3, s3
; %bb.19:
	v_and_b32_e32 v83, 0xffff, v85
	v_or_b32_e32 v90, 0x10000, v85
	s_delay_alu instid0(VALU_DEP_2) | instskip(NEXT) | instid1(VALU_DEP_2)
	v_cmp_eq_u32_e32 vcc_lo, 0, v83
	v_cndmask_b32_e32 v83, v90, v85, vcc_lo
; %bb.20:
	s_or_b32 exec_lo, exec_lo, s3
	v_and_b32_e32 v85, 0x7f800000, v86
	s_delay_alu instid0(VALU_DEP_1) | instskip(SKIP_1) | instid1(SALU_CYCLE_1)
	v_cmp_ne_u32_e32 vcc_lo, 0x7f800000, v85
                                        ; implicit-def: $vgpr85
	s_and_saveexec_b32 s3, vcc_lo
	s_xor_b32 s3, exec_lo, s3
; %bb.21:
	v_bfe_u32 v85, v86, 16, 1
	s_delay_alu instid0(VALU_DEP_1)
	v_add3_u32 v85, v86, v85, 0x7fff
                                        ; implicit-def: $vgpr86
; %bb.22:
	s_and_not1_saveexec_b32 s3, s3
; %bb.23:
	v_and_b32_e32 v85, 0xffff, v86
	v_or_b32_e32 v90, 0x10000, v86
	s_delay_alu instid0(VALU_DEP_2) | instskip(NEXT) | instid1(VALU_DEP_2)
	v_cmp_eq_u32_e32 vcc_lo, 0, v85
	v_cndmask_b32_e32 v85, v90, v86, vcc_lo
; %bb.24:
	s_or_b32 exec_lo, exec_lo, s3
	v_and_b32_e32 v86, 0x7f800000, v89
	s_delay_alu instid0(VALU_DEP_1) | instskip(SKIP_1) | instid1(SALU_CYCLE_1)
	v_cmp_ne_u32_e32 vcc_lo, 0x7f800000, v86
                                        ; implicit-def: $vgpr86
	s_and_saveexec_b32 s3, vcc_lo
	s_xor_b32 s3, exec_lo, s3
; %bb.25:
	v_bfe_u32 v86, v89, 16, 1
	s_delay_alu instid0(VALU_DEP_1)
	v_add3_u32 v86, v89, v86, 0x7fff
                                        ; implicit-def: $vgpr89
; %bb.26:
	s_and_not1_saveexec_b32 s3, s3
; %bb.27:
	v_and_b32_e32 v86, 0xffff, v89
	v_or_b32_e32 v90, 0x10000, v89
	s_delay_alu instid0(VALU_DEP_2) | instskip(NEXT) | instid1(VALU_DEP_2)
	v_cmp_eq_u32_e32 vcc_lo, 0, v86
	v_cndmask_b32_e32 v86, v90, v89, vcc_lo
; %bb.28:
	s_or_b32 exec_lo, exec_lo, s3
	v_and_b32_e32 v89, 0x7f800000, v88
	s_delay_alu instid0(VALU_DEP_1) | instskip(SKIP_1) | instid1(SALU_CYCLE_1)
	v_cmp_ne_u32_e32 vcc_lo, 0x7f800000, v89
                                        ; implicit-def: $vgpr89
	s_and_saveexec_b32 s3, vcc_lo
	s_xor_b32 s3, exec_lo, s3
; %bb.29:
	v_bfe_u32 v89, v88, 16, 1
	s_delay_alu instid0(VALU_DEP_1)
	v_add3_u32 v89, v88, v89, 0x7fff
                                        ; implicit-def: $vgpr88
; %bb.30:
	s_and_not1_saveexec_b32 s3, s3
; %bb.31:
	v_and_b32_e32 v89, 0xffff, v88
	v_or_b32_e32 v90, 0x10000, v88
	s_delay_alu instid0(VALU_DEP_2) | instskip(NEXT) | instid1(VALU_DEP_2)
	v_cmp_eq_u32_e32 vcc_lo, 0, v89
	v_cndmask_b32_e32 v89, v90, v88, vcc_lo
; %bb.32:
	s_or_b32 exec_lo, exec_lo, s3
	v_and_b32_e32 v88, 0x7f800000, v87
	s_delay_alu instid0(VALU_DEP_1) | instskip(SKIP_1) | instid1(SALU_CYCLE_1)
	v_cmp_ne_u32_e32 vcc_lo, 0x7f800000, v88
                                        ; implicit-def: $vgpr88
	s_and_saveexec_b32 s3, vcc_lo
	s_xor_b32 s3, exec_lo, s3
; %bb.33:
	v_bfe_u32 v88, v87, 16, 1
	s_delay_alu instid0(VALU_DEP_1)
	v_add3_u32 v88, v87, v88, 0x7fff
                                        ; implicit-def: $vgpr87
; %bb.34:
	s_and_not1_saveexec_b32 s3, s3
; %bb.35:
	v_and_b32_e32 v88, 0xffff, v87
	v_or_b32_e32 v90, 0x10000, v87
	s_delay_alu instid0(VALU_DEP_2) | instskip(NEXT) | instid1(VALU_DEP_2)
	v_cmp_eq_u32_e32 vcc_lo, 0, v88
	v_cndmask_b32_e32 v88, v90, v87, vcc_lo
; %bb.36:
	s_or_b32 exec_lo, exec_lo, s3
	v_and_b32_e32 v87, 0x7f800000, v84
	s_delay_alu instid0(VALU_DEP_1) | instskip(SKIP_1) | instid1(SALU_CYCLE_1)
	v_cmp_ne_u32_e32 vcc_lo, 0x7f800000, v87
                                        ; implicit-def: $vgpr87
	s_and_saveexec_b32 s3, vcc_lo
	s_xor_b32 s3, exec_lo, s3
; %bb.37:
	v_bfe_u32 v87, v84, 16, 1
	s_delay_alu instid0(VALU_DEP_1)
	v_add3_u32 v87, v84, v87, 0x7fff
                                        ; implicit-def: $vgpr84
; %bb.38:
	s_and_not1_saveexec_b32 s3, s3
; %bb.39:
	v_and_b32_e32 v87, 0xffff, v84
	v_or_b32_e32 v90, 0x10000, v84
	s_delay_alu instid0(VALU_DEP_2) | instskip(NEXT) | instid1(VALU_DEP_2)
	v_cmp_eq_u32_e32 vcc_lo, 0, v87
	v_cndmask_b32_e32 v87, v90, v84, vcc_lo
; %bb.40:
	s_or_b32 exec_lo, exec_lo, s3
	v_and_b32_e32 v84, 0x7f800000, v80
	s_delay_alu instid0(VALU_DEP_1) | instskip(SKIP_1) | instid1(SALU_CYCLE_1)
	v_cmp_ne_u32_e32 vcc_lo, 0x7f800000, v84
                                        ; implicit-def: $vgpr84
	s_and_saveexec_b32 s3, vcc_lo
	s_xor_b32 s3, exec_lo, s3
; %bb.41:
	v_bfe_u32 v84, v80, 16, 1
	s_delay_alu instid0(VALU_DEP_1)
	v_add3_u32 v84, v80, v84, 0x7fff
                                        ; implicit-def: $vgpr80
; %bb.42:
	s_and_not1_saveexec_b32 s3, s3
; %bb.43:
	v_and_b32_e32 v84, 0xffff, v80
	v_or_b32_e32 v90, 0x10000, v80
	s_delay_alu instid0(VALU_DEP_2) | instskip(NEXT) | instid1(VALU_DEP_2)
	v_cmp_eq_u32_e32 vcc_lo, 0, v84
	v_cndmask_b32_e32 v84, v90, v80, vcc_lo
; %bb.44:
	s_or_b32 exec_lo, exec_lo, s3
	s_load_b64 s[34:35], s[0:1], 0x94
	v_lshlrev_b32_e32 v91, 4, v74
	s_delay_alu instid0(VALU_DEP_2)
	v_perm_b32 v90, v84, v87, 0x7060302
	v_dual_mul_f32 v79, v82, v79 :: v_dual_lshlrev_b32 v80, 6, v65
	v_dual_mul_f32 v77, v82, v77 :: v_dual_lshlrev_b32 v92, 11, v66
	v_mul_f32_e32 v84, v82, v70
	v_perm_b32 v89, v88, v89, 0x7060302
	v_perm_b32 v88, v86, v85, 0x7060302
	;; [unrolled: 1-line block ×3, first 2 shown]
	v_mul_f32_e32 v70, v82, v81
	v_or3_b32 v76, v91, v92, v80
	v_dual_mul_f32 v78, v82, v78 :: v_dual_and_b32 v85, 0x7f800000, v84
	v_mul_f32_e32 v83, v82, v72
	v_mul_f32_e32 v81, v82, v71
	v_mul_f32_e32 v72, v82, v69
	s_mov_b32 s3, exec_lo
	ds_store_b128 v76, v[87:90]
                                        ; implicit-def: $vgpr69
	v_cmpx_ne_u32_e32 0x7f800000, v85
	s_xor_b32 s3, exec_lo, s3
; %bb.45:
	v_bfe_u32 v69, v84, 16, 1
	s_delay_alu instid0(VALU_DEP_1)
	v_add3_u32 v69, v84, v69, 0x7fff
                                        ; implicit-def: $vgpr84
; %bb.46:
	s_and_not1_saveexec_b32 s3, s3
; %bb.47:
	v_and_b32_e32 v69, 0xffff, v84
	v_or_b32_e32 v71, 0x10000, v84
	s_delay_alu instid0(VALU_DEP_2) | instskip(NEXT) | instid1(VALU_DEP_2)
	v_cmp_eq_u32_e32 vcc_lo, 0, v69
	v_cndmask_b32_e32 v69, v71, v84, vcc_lo
; %bb.48:
	s_or_b32 exec_lo, exec_lo, s3
	v_and_b32_e32 v71, 0x7f800000, v72
	s_delay_alu instid0(VALU_DEP_1) | instskip(SKIP_1) | instid1(SALU_CYCLE_1)
	v_cmp_ne_u32_e32 vcc_lo, 0x7f800000, v71
                                        ; implicit-def: $vgpr71
	s_and_saveexec_b32 s3, vcc_lo
	s_xor_b32 s3, exec_lo, s3
; %bb.49:
	v_bfe_u32 v71, v72, 16, 1
	s_delay_alu instid0(VALU_DEP_1)
	v_add3_u32 v71, v72, v71, 0x7fff
                                        ; implicit-def: $vgpr72
; %bb.50:
	s_and_not1_saveexec_b32 s3, s3
; %bb.51:
	v_and_b32_e32 v71, 0xffff, v72
	v_or_b32_e32 v82, 0x10000, v72
	s_delay_alu instid0(VALU_DEP_2) | instskip(NEXT) | instid1(VALU_DEP_2)
	v_cmp_eq_u32_e32 vcc_lo, 0, v71
	v_cndmask_b32_e32 v71, v82, v72, vcc_lo
; %bb.52:
	s_or_b32 exec_lo, exec_lo, s3
	v_and_b32_e32 v72, 0x7f800000, v81
	s_delay_alu instid0(VALU_DEP_1) | instskip(SKIP_1) | instid1(SALU_CYCLE_1)
	v_cmp_ne_u32_e32 vcc_lo, 0x7f800000, v72
                                        ; implicit-def: $vgpr72
	s_and_saveexec_b32 s3, vcc_lo
	s_xor_b32 s3, exec_lo, s3
; %bb.53:
	v_bfe_u32 v72, v81, 16, 1
	s_delay_alu instid0(VALU_DEP_1)
	v_add3_u32 v72, v81, v72, 0x7fff
                                        ; implicit-def: $vgpr81
; %bb.54:
	s_and_not1_saveexec_b32 s3, s3
; %bb.55:
	v_and_b32_e32 v72, 0xffff, v81
	v_or_b32_e32 v82, 0x10000, v81
	s_delay_alu instid0(VALU_DEP_2) | instskip(NEXT) | instid1(VALU_DEP_2)
	v_cmp_eq_u32_e32 vcc_lo, 0, v72
	v_cndmask_b32_e32 v72, v82, v81, vcc_lo
; %bb.56:
	s_or_b32 exec_lo, exec_lo, s3
	v_and_b32_e32 v81, 0x7f800000, v83
	s_delay_alu instid0(VALU_DEP_1) | instskip(SKIP_1) | instid1(SALU_CYCLE_1)
	v_cmp_ne_u32_e32 vcc_lo, 0x7f800000, v81
                                        ; implicit-def: $vgpr81
	s_and_saveexec_b32 s3, vcc_lo
	s_xor_b32 s3, exec_lo, s3
; %bb.57:
	v_bfe_u32 v81, v83, 16, 1
	s_delay_alu instid0(VALU_DEP_1)
	v_add3_u32 v81, v83, v81, 0x7fff
                                        ; implicit-def: $vgpr83
; %bb.58:
	s_and_not1_saveexec_b32 s3, s3
; %bb.59:
	v_and_b32_e32 v81, 0xffff, v83
	v_or_b32_e32 v82, 0x10000, v83
	s_delay_alu instid0(VALU_DEP_2) | instskip(NEXT) | instid1(VALU_DEP_2)
	v_cmp_eq_u32_e32 vcc_lo, 0, v81
	v_cndmask_b32_e32 v81, v82, v83, vcc_lo
; %bb.60:
	s_or_b32 exec_lo, exec_lo, s3
	v_and_b32_e32 v82, 0x7f800000, v77
	s_delay_alu instid0(VALU_DEP_1) | instskip(SKIP_1) | instid1(SALU_CYCLE_1)
	v_cmp_ne_u32_e32 vcc_lo, 0x7f800000, v82
                                        ; implicit-def: $vgpr82
	s_and_saveexec_b32 s3, vcc_lo
	s_xor_b32 s3, exec_lo, s3
; %bb.61:
	v_bfe_u32 v82, v77, 16, 1
	s_delay_alu instid0(VALU_DEP_1)
	v_add3_u32 v82, v77, v82, 0x7fff
                                        ; implicit-def: $vgpr77
; %bb.62:
	s_and_not1_saveexec_b32 s3, s3
; %bb.63:
	v_and_b32_e32 v82, 0xffff, v77
	v_or_b32_e32 v83, 0x10000, v77
	s_delay_alu instid0(VALU_DEP_2) | instskip(NEXT) | instid1(VALU_DEP_2)
	v_cmp_eq_u32_e32 vcc_lo, 0, v82
	v_cndmask_b32_e32 v82, v83, v77, vcc_lo
; %bb.64:
	s_or_b32 exec_lo, exec_lo, s3
	v_and_b32_e32 v77, 0x7f800000, v78
	s_delay_alu instid0(VALU_DEP_1) | instskip(SKIP_1) | instid1(SALU_CYCLE_1)
	v_cmp_ne_u32_e32 vcc_lo, 0x7f800000, v77
                                        ; implicit-def: $vgpr77
	s_and_saveexec_b32 s3, vcc_lo
	s_xor_b32 s3, exec_lo, s3
; %bb.65:
	v_bfe_u32 v77, v78, 16, 1
	s_delay_alu instid0(VALU_DEP_1)
	v_add3_u32 v77, v78, v77, 0x7fff
                                        ; implicit-def: $vgpr78
; %bb.66:
	s_and_not1_saveexec_b32 s3, s3
; %bb.67:
	v_and_b32_e32 v77, 0xffff, v78
	v_or_b32_e32 v83, 0x10000, v78
	s_delay_alu instid0(VALU_DEP_2) | instskip(NEXT) | instid1(VALU_DEP_2)
	v_cmp_eq_u32_e32 vcc_lo, 0, v77
	v_cndmask_b32_e32 v77, v83, v78, vcc_lo
; %bb.68:
	s_or_b32 exec_lo, exec_lo, s3
	v_and_b32_e32 v78, 0x7f800000, v79
	s_delay_alu instid0(VALU_DEP_1) | instskip(SKIP_1) | instid1(SALU_CYCLE_1)
	v_cmp_ne_u32_e32 vcc_lo, 0x7f800000, v78
                                        ; implicit-def: $vgpr78
	s_and_saveexec_b32 s3, vcc_lo
	s_xor_b32 s3, exec_lo, s3
; %bb.69:
	v_bfe_u32 v78, v79, 16, 1
	s_delay_alu instid0(VALU_DEP_1)
	v_add3_u32 v78, v79, v78, 0x7fff
                                        ; implicit-def: $vgpr79
; %bb.70:
	s_and_not1_saveexec_b32 s3, s3
; %bb.71:
	v_and_b32_e32 v78, 0xffff, v79
	v_or_b32_e32 v83, 0x10000, v79
	s_delay_alu instid0(VALU_DEP_2) | instskip(NEXT) | instid1(VALU_DEP_2)
	v_cmp_eq_u32_e32 vcc_lo, 0, v78
	v_cndmask_b32_e32 v78, v83, v79, vcc_lo
; %bb.72:
	s_or_b32 exec_lo, exec_lo, s3
	v_and_b32_e32 v79, 0x7f800000, v70
	s_delay_alu instid0(VALU_DEP_1) | instskip(SKIP_1) | instid1(SALU_CYCLE_1)
	v_cmp_ne_u32_e32 vcc_lo, 0x7f800000, v79
                                        ; implicit-def: $vgpr79
	s_and_saveexec_b32 s3, vcc_lo
	s_xor_b32 s3, exec_lo, s3
; %bb.73:
	v_bfe_u32 v79, v70, 16, 1
	s_delay_alu instid0(VALU_DEP_1)
	v_add3_u32 v79, v70, v79, 0x7fff
                                        ; implicit-def: $vgpr70
; %bb.74:
	s_and_not1_saveexec_b32 s3, s3
; %bb.75:
	v_and_b32_e32 v79, 0xffff, v70
	v_or_b32_e32 v83, 0x10000, v70
	s_delay_alu instid0(VALU_DEP_2) | instskip(NEXT) | instid1(VALU_DEP_2)
	v_cmp_eq_u32_e32 vcc_lo, 0, v79
	v_cndmask_b32_e32 v79, v83, v70, vcc_lo
; %bb.76:
	s_or_b32 exec_lo, exec_lo, s3
	s_delay_alu instid0(VALU_DEP_1)
	v_perm_b32 v86, v79, v78, 0x7060302
	v_perm_b32 v85, v77, v82, 0x7060302
	;; [unrolled: 1-line block ×4, first 2 shown]
	v_lshl_or_b32 v82, v66, 11, v80
	ds_store_b128 v76, v[83:86] offset:1024
	s_waitcnt lgkmcnt(0)
	s_barrier
	buffer_gl0_inv
	ds_load_b128 v[69:72], v82
	ds_load_b128 v[83:86], v82 offset:16
	s_waitcnt lgkmcnt(1)
	v_lshrrev_b32_e32 v66, 16, v69
	s_waitcnt lgkmcnt(0)
	v_lshrrev_b32_e32 v91, 16, v83
	v_lshlrev_b32_e32 v78, 2, v74
	v_lshrrev_b32_e32 v95, 16, v70
	v_lshrrev_b32_e32 v98, 16, v84
	;; [unrolled: 1-line block ×4, first 2 shown]
	v_cmp_eq_u32_e32 vcc_lo, 1, v78
	v_lshrrev_b32_e32 v97, 16, v72
	v_lshrrev_b32_e32 v100, 16, v86
	v_cndmask_b32_e32 v87, v83, v91, vcc_lo
	v_or_b32_e32 v79, 1, v78
	v_cndmask_b32_e32 v81, v69, v66, vcc_lo
	v_cmp_eq_u32_e64 s4, 2, v78
	v_cmp_eq_u32_e64 s7, 3, v78
	;; [unrolled: 1-line block ×5, first 2 shown]
	v_cndmask_b32_e64 v81, v81, v70, s4
	v_cndmask_b32_e64 v87, v87, v84, s4
	v_cmp_eq_u32_e64 s8, 3, v79
	v_cndmask_b32_e64 v88, v69, v66, s3
	v_or_b32_e32 v77, 2, v78
	v_cndmask_b32_e64 v81, v81, v95, s7
	v_cndmask_b32_e64 v87, v87, v98, s7
	;; [unrolled: 1-line block ×4, first 2 shown]
	v_cmp_eq_u32_e64 s10, 5, v78
	v_cndmask_b32_e64 v81, v81, v71, s9
	v_cndmask_b32_e64 v87, v87, v85, s9
	v_cmp_eq_u32_e64 s11, 4, v79
	v_cndmask_b32_e64 v88, v88, v95, s8
	v_cmp_eq_u32_e64 s5, 1, v77
	v_cndmask_b32_e64 v89, v89, v84, s6
	v_cndmask_b32_e64 v81, v81, v96, s10
	v_cmp_eq_u32_e64 s12, 6, v78
	v_cndmask_b32_e64 v88, v88, v71, s11
	;; [unrolled: 3-line block ×3, first 2 shown]
	v_cndmask_b32_e64 v89, v89, v98, s8
	v_cndmask_b32_e64 v81, v81, v72, s12
	v_cmp_eq_u32_e64 s15, 7, v78
	v_cndmask_b32_e64 v88, v88, v96, s13
	v_cndmask_b32_e64 v87, v87, v86, s12
	v_cmp_eq_u32_e64 s16, 6, v79
	v_cmp_eq_u32_e64 s17, 2, v77
	v_cndmask_b32_e64 v89, v89, v85, s11
	v_cndmask_b32_e64 v101, v81, v97, s15
	;; [unrolled: 1-line block ×6, first 2 shown]
	v_cmp_eq_u32_e64 s18, 7, v79
	v_cmp_eq_u32_e64 s19, 3, v77
	v_cmp_eq_u32_e64 s20, 4, v77
	v_cmp_eq_u32_e64 s22, 5, v77
	v_cndmask_b32_e64 v87, v87, v84, s17
	v_cndmask_b32_e64 v103, v88, v97, s18
	;; [unrolled: 1-line block ×4, first 2 shown]
	v_or_b32_e32 v81, 3, v78
	v_cndmask_b32_e64 v93, v87, v98, s19
	v_cmp_eq_u32_e64 s24, 6, v77
	v_cndmask_b32_e64 v104, v88, v86, s16
	v_cndmask_b32_e64 v92, v89, v71, s20
	v_cmp_eq_u32_e64 s21, 1, v81
	ds_load_b128 v[87:90], v82 offset:1024
	v_cmp_eq_u32_e64 s23, 2, v81
	v_cmp_eq_u32_e64 s25, 3, v81
	v_cndmask_b32_e64 v105, v92, v96, s22
	v_cndmask_b32_e64 v66, v69, v66, s21
	;; [unrolled: 1-line block ×4, first 2 shown]
	ds_load_b128 v[91:94], v82 offset:1040
	v_cmp_eq_u32_e64 s26, 4, v81
	v_cndmask_b32_e64 v66, v66, v70, s23
	v_cmp_eq_u32_e64 s27, 7, v77
	v_cndmask_b32_e64 v70, v83, v84, s23
	v_cndmask_b32_e64 v84, v105, v72, s24
	v_cmp_eq_u32_e64 s28, 5, v81
	v_cndmask_b32_e64 v66, v66, v95, s25
	v_cmp_eq_u32_e64 s29, 6, v81
	v_cndmask_b32_e64 v70, v70, v98, s25
	v_cndmask_b32_e64 v69, v69, v99, s22
	;; [unrolled: 1-line block ×4, first 2 shown]
	s_waitcnt lgkmcnt(1)
	v_lshrrev_b32_e32 v95, 16, v87
	v_cndmask_b32_e64 v70, v70, v85, s26
	v_cndmask_b32_e64 v71, v84, v97, s27
	;; [unrolled: 1-line block ×4, first 2 shown]
	v_cndmask_b32_e32 v84, v87, v95, vcc_lo
	v_cndmask_b32_e64 v70, v70, v99, s28
	s_waitcnt lgkmcnt(0)
	v_lshrrev_b32_e32 v85, 16, v91
	v_lshrrev_b32_e32 v96, 16, v88
	v_cndmask_b32_e64 v98, v87, v95, s3
	v_cndmask_b32_e64 v84, v84, v88, s4
	;; [unrolled: 1-line block ×3, first 2 shown]
	v_cndmask_b32_e32 v99, v91, v85, vcc_lo
	v_cmp_eq_u32_e32 vcc_lo, 7, v81
	v_cndmask_b32_e64 v66, v66, v72, s29
	v_cndmask_b32_e64 v72, v84, v96, s7
	;; [unrolled: 1-line block ×3, first 2 shown]
	v_lshrrev_b32_e32 v98, 16, v92
	v_cndmask_b32_e32 v70, v70, v100, vcc_lo
	v_cndmask_b32_e64 v86, v99, v92, s4
	v_cndmask_b32_e64 v69, v69, v100, s27
	v_lshrrev_b32_e32 v100, 16, v93
	v_cndmask_b32_e64 v72, v72, v89, s9
	v_lshrrev_b32_e32 v99, 16, v89
	v_cndmask_b32_e64 v86, v86, v98, s7
	v_perm_b32 v71, v69, v71, 0x5040100
	v_cndmask_b32_e64 v84, v84, v96, s8
	s_delay_alu instid0(VALU_DEP_3) | instskip(NEXT) | instid1(VALU_DEP_2)
	v_cndmask_b32_e64 v86, v86, v93, s9
	v_cndmask_b32_e64 v84, v84, v89, s11
	s_delay_alu instid0(VALU_DEP_2) | instskip(NEXT) | instid1(VALU_DEP_1)
	v_cndmask_b32_e64 v86, v86, v100, s10
	v_cndmask_b32_e64 v69, v86, v94, s12
	;; [unrolled: 1-line block ×5, first 2 shown]
	s_delay_alu instid0(VALU_DEP_3) | instskip(NEXT) | instid1(VALU_DEP_3)
	v_cndmask_b32_e64 v86, v86, v88, s17
	v_cndmask_b32_e64 v87, v87, v88, s23
	s_delay_alu instid0(VALU_DEP_3) | instskip(NEXT) | instid1(VALU_DEP_3)
	v_cndmask_b32_e64 v88, v95, v92, s23
	v_cndmask_b32_e64 v86, v86, v96, s19
	;; [unrolled: 3-line block ×7, first 2 shown]
	s_delay_alu instid0(VALU_DEP_3) | instskip(SKIP_2) | instid1(VALU_DEP_2)
	v_cndmask_b32_e64 v88, v88, v94, s29
	v_cndmask_b32_e32 v66, v66, v97, vcc_lo
	v_cndmask_b32_e64 v97, v72, v99, s10
	v_perm_b32 v72, v70, v66, 0x5040100
	v_perm_b32 v70, v83, v103, 0x5040100
	v_cndmask_b32_e64 v103, v91, v85, s5
	v_cndmask_b32_e64 v85, v91, v85, s3
	;; [unrolled: 1-line block ×4, first 2 shown]
	v_lshrrev_b32_e32 v97, 16, v90
	v_cndmask_b32_e64 v91, v103, v92, s17
	v_cndmask_b32_e64 v85, v85, v92, s6
	v_cndmask_b32_e64 v66, v66, v90, s16
	s_mov_b32 s3, exec_lo
	v_cndmask_b32_e64 v83, v84, v97, s15
	v_cndmask_b32_e64 v91, v91, v98, s19
	;; [unrolled: 1-line block ×3, first 2 shown]
	v_lshrrev_b32_e32 v84, 16, v94
	v_cndmask_b32_e64 v66, v66, v97, s18
	v_cndmask_b32_e64 v90, v86, v97, s27
	;; [unrolled: 1-line block ×4, first 2 shown]
	v_dual_cndmask_b32 v86, v87, v97 :: v_dual_cndmask_b32 v87, v88, v84
	v_cndmask_b32_e64 v91, v69, v84, s15
	s_delay_alu instid0(VALU_DEP_4) | instskip(NEXT) | instid1(VALU_DEP_4)
	v_cndmask_b32_e64 v89, v89, v100, s22
	v_cndmask_b32_e64 v85, v85, v100, s13
	v_perm_b32 v69, v102, v101, 0x5040100
	v_perm_b32 v86, v87, v86, 0x5040100
	;; [unrolled: 1-line block ×3, first 2 shown]
	v_cndmask_b32_e64 v89, v89, v94, s24
	v_cndmask_b32_e64 v85, v85, v94, s16
	s_mul_i32 s8, s35, 7
	s_delay_alu instid0(VALU_DEP_2) | instskip(NEXT) | instid1(VALU_DEP_2)
	v_cndmask_b32_e64 v88, v89, v84, s27
	v_cndmask_b32_e64 v89, v85, v84, s18
	s_delay_alu instid0(VALU_DEP_2) | instskip(NEXT) | instid1(VALU_DEP_2)
	v_perm_b32 v85, v88, v90, 0x5040100
	v_perm_b32 v84, v89, v66, 0x5040100
	ds_store_b128 v76, v[69:72]
	ds_store_b128 v76, v[83:86] offset:1024
	v_cmpx_gt_u32_e32 7, v0
	s_cbranch_execz .LBB1828_78
; %bb.77:
	s_mul_i32 s4, s8, s30
	s_delay_alu instid0(SALU_CYCLE_1) | instskip(SKIP_1) | instid1(VALU_DEP_1)
	v_add3_u32 v69, s4, s31, v65
	s_load_b128 s[4:7], s[0:1], 0x58
	v_mad_u64_u32 v[65:66], null, v69, s34, s[14:15]
	s_delay_alu instid0(VALU_DEP_1) | instskip(NEXT) | instid1(VALU_DEP_1)
	v_ashrrev_i32_e32 v66, 31, v65
	v_lshlrev_b64 v[65:66], 2, v[65:66]
	s_waitcnt lgkmcnt(0)
	s_delay_alu instid0(VALU_DEP_1) | instskip(NEXT) | instid1(VALU_DEP_2)
	v_add_co_u32 v69, vcc_lo, s6, v65
	v_add_co_ci_u32_e32 v70, vcc_lo, s7, v66, vcc_lo
	v_add_co_u32 v65, vcc_lo, s4, v65
	v_add_co_ci_u32_e32 v66, vcc_lo, s5, v66, vcc_lo
	global_store_b32 v[69:70], v67, off
	global_store_b32 v[65:66], v68, off
.LBB1828_78:
	s_or_b32 exec_lo, exec_lo, s3
	s_waitcnt lgkmcnt(0)
	s_waitcnt_vscnt null, 0x0
	s_barrier
	buffer_gl0_inv
	ds_load_b128 v[83:86], v80
	ds_load_b128 v[87:90], v80 offset:16
	ds_load_b128 v[95:98], v80 offset:2064
	;; [unrolled: 1-line block ×3, first 2 shown]
	v_mov_b32_e32 v65, 0
	ds_load_b128 v[103:106], v80 offset:4112
	ds_load_b128 v[99:102], v80 offset:4096
	;; [unrolled: 1-line block ×4, first 2 shown]
	v_mov_b32_e32 v66, v65
	v_mov_b32_e32 v67, v65
	;; [unrolled: 1-line block ×7, first 2 shown]
	s_waitcnt lgkmcnt(6)
	s_delay_alu instid0(VALU_DEP_1)
	v_wmma_f32_16x16x16_bf16 v[65:72], v[41:48], v[83:90], v[65:72]
	ds_load_b128 v[45:48], v80 offset:8208
	ds_load_b128 v[41:44], v80 offset:8192
	s_waitcnt lgkmcnt(6)
	v_wmma_f32_16x16x16_bf16 v[65:72], v[33:40], v[91:98], v[65:72]
	ds_load_b128 v[37:40], v80 offset:10256
	ds_load_b128 v[33:36], v80 offset:10240
	s_waitcnt lgkmcnt(6)
	;; [unrolled: 4-line block ×4, first 2 shown]
	v_wmma_f32_16x16x16_bf16 v[65:72], v[1:8], v[41:48], v[65:72]
	s_waitcnt lgkmcnt(4)
	s_delay_alu instid0(VALU_DEP_1) | instskip(SKIP_1) | instid1(VALU_DEP_1)
	v_wmma_f32_16x16x16_bf16 v[65:72], v[9:16], v[33:40], v[65:72]
	s_waitcnt lgkmcnt(2)
	v_wmma_f32_16x16x16_bf16 v[65:72], v[57:64], v[25:32], v[65:72]
	s_waitcnt lgkmcnt(0)
	s_delay_alu instid0(VALU_DEP_1) | instskip(NEXT) | instid1(VALU_DEP_1)
	v_wmma_f32_16x16x16_bf16 v[65:72], v[49:56], v[17:24], v[65:72]
	v_and_b32_e32 v1, 0x7f800000, v65
	s_delay_alu instid0(VALU_DEP_1) | instskip(SKIP_1) | instid1(SALU_CYCLE_1)
	v_cmp_ne_u32_e32 vcc_lo, 0x7f800000, v1
                                        ; implicit-def: $vgpr1
	s_and_saveexec_b32 s3, vcc_lo
	s_xor_b32 s3, exec_lo, s3
; %bb.79:
	v_bfe_u32 v1, v65, 16, 1
	s_delay_alu instid0(VALU_DEP_1)
	v_add3_u32 v1, v65, v1, 0x7fff
; %bb.80:
	s_and_not1_saveexec_b32 s3, s3
; %bb.81:
	v_and_b32_e32 v1, 0xffff, v65
	v_or_b32_e32 v2, 0x10000, v65
	s_delay_alu instid0(VALU_DEP_2) | instskip(NEXT) | instid1(VALU_DEP_2)
	v_cmp_eq_u32_e32 vcc_lo, 0, v1
	v_cndmask_b32_e32 v1, v2, v65, vcc_lo
; %bb.82:
	s_or_b32 exec_lo, exec_lo, s3
	v_and_b32_e32 v2, 0x7f800000, v66
	s_delay_alu instid0(VALU_DEP_1) | instskip(SKIP_1) | instid1(SALU_CYCLE_1)
	v_cmp_ne_u32_e32 vcc_lo, 0x7f800000, v2
                                        ; implicit-def: $vgpr2
	s_and_saveexec_b32 s3, vcc_lo
	s_xor_b32 s3, exec_lo, s3
; %bb.83:
	v_bfe_u32 v2, v66, 16, 1
	s_delay_alu instid0(VALU_DEP_1)
	v_add3_u32 v2, v66, v2, 0x7fff
; %bb.84:
	s_and_not1_saveexec_b32 s3, s3
; %bb.85:
	v_and_b32_e32 v2, 0xffff, v66
	v_or_b32_e32 v3, 0x10000, v66
	s_delay_alu instid0(VALU_DEP_2) | instskip(NEXT) | instid1(VALU_DEP_2)
	v_cmp_eq_u32_e32 vcc_lo, 0, v2
	v_cndmask_b32_e32 v2, v3, v66, vcc_lo
; %bb.86:
	s_or_b32 exec_lo, exec_lo, s3
	v_and_b32_e32 v3, 0x7f800000, v67
	s_delay_alu instid0(VALU_DEP_1) | instskip(SKIP_1) | instid1(SALU_CYCLE_1)
	v_cmp_ne_u32_e32 vcc_lo, 0x7f800000, v3
                                        ; implicit-def: $vgpr3
	s_and_saveexec_b32 s3, vcc_lo
	s_xor_b32 s3, exec_lo, s3
; %bb.87:
	v_bfe_u32 v3, v67, 16, 1
	s_delay_alu instid0(VALU_DEP_1)
	v_add3_u32 v3, v67, v3, 0x7fff
; %bb.88:
	s_and_not1_saveexec_b32 s3, s3
; %bb.89:
	v_and_b32_e32 v3, 0xffff, v67
	v_or_b32_e32 v4, 0x10000, v67
	s_delay_alu instid0(VALU_DEP_2) | instskip(NEXT) | instid1(VALU_DEP_2)
	v_cmp_eq_u32_e32 vcc_lo, 0, v3
	v_cndmask_b32_e32 v3, v4, v67, vcc_lo
; %bb.90:
	s_or_b32 exec_lo, exec_lo, s3
	v_and_b32_e32 v4, 0x7f800000, v68
	s_delay_alu instid0(VALU_DEP_1) | instskip(SKIP_1) | instid1(SALU_CYCLE_1)
	v_cmp_ne_u32_e32 vcc_lo, 0x7f800000, v4
                                        ; implicit-def: $vgpr4
	s_and_saveexec_b32 s3, vcc_lo
	s_xor_b32 s3, exec_lo, s3
; %bb.91:
	v_bfe_u32 v4, v68, 16, 1
	s_delay_alu instid0(VALU_DEP_1)
	v_add3_u32 v4, v68, v4, 0x7fff
; %bb.92:
	s_and_not1_saveexec_b32 s3, s3
; %bb.93:
	v_and_b32_e32 v4, 0xffff, v68
	v_or_b32_e32 v5, 0x10000, v68
	s_delay_alu instid0(VALU_DEP_2) | instskip(NEXT) | instid1(VALU_DEP_2)
	v_cmp_eq_u32_e32 vcc_lo, 0, v4
	v_cndmask_b32_e32 v4, v5, v68, vcc_lo
; %bb.94:
	s_or_b32 exec_lo, exec_lo, s3
	v_and_b32_e32 v5, 0x7f800000, v69
	s_delay_alu instid0(VALU_DEP_1) | instskip(SKIP_1) | instid1(SALU_CYCLE_1)
	v_cmp_ne_u32_e32 vcc_lo, 0x7f800000, v5
                                        ; implicit-def: $vgpr5
	s_and_saveexec_b32 s3, vcc_lo
	s_xor_b32 s3, exec_lo, s3
; %bb.95:
	v_bfe_u32 v5, v69, 16, 1
	s_delay_alu instid0(VALU_DEP_1)
	v_add3_u32 v5, v69, v5, 0x7fff
; %bb.96:
	s_and_not1_saveexec_b32 s3, s3
; %bb.97:
	v_and_b32_e32 v5, 0xffff, v69
	v_or_b32_e32 v6, 0x10000, v69
	s_delay_alu instid0(VALU_DEP_2) | instskip(NEXT) | instid1(VALU_DEP_2)
	v_cmp_eq_u32_e32 vcc_lo, 0, v5
	v_cndmask_b32_e32 v5, v6, v69, vcc_lo
; %bb.98:
	s_or_b32 exec_lo, exec_lo, s3
	v_and_b32_e32 v6, 0x7f800000, v70
	s_delay_alu instid0(VALU_DEP_1) | instskip(SKIP_1) | instid1(SALU_CYCLE_1)
	v_cmp_ne_u32_e32 vcc_lo, 0x7f800000, v6
                                        ; implicit-def: $vgpr6
	s_and_saveexec_b32 s3, vcc_lo
	s_xor_b32 s3, exec_lo, s3
; %bb.99:
	v_bfe_u32 v6, v70, 16, 1
	s_delay_alu instid0(VALU_DEP_1)
	v_add3_u32 v6, v70, v6, 0x7fff
; %bb.100:
	s_and_not1_saveexec_b32 s3, s3
; %bb.101:
	v_and_b32_e32 v6, 0xffff, v70
	v_or_b32_e32 v7, 0x10000, v70
	s_delay_alu instid0(VALU_DEP_2) | instskip(NEXT) | instid1(VALU_DEP_2)
	v_cmp_eq_u32_e32 vcc_lo, 0, v6
	v_cndmask_b32_e32 v6, v7, v70, vcc_lo
; %bb.102:
	s_or_b32 exec_lo, exec_lo, s3
	v_and_b32_e32 v7, 0x7f800000, v71
	s_delay_alu instid0(VALU_DEP_1) | instskip(SKIP_1) | instid1(SALU_CYCLE_1)
	v_cmp_ne_u32_e32 vcc_lo, 0x7f800000, v7
                                        ; implicit-def: $vgpr7
	s_and_saveexec_b32 s3, vcc_lo
	s_xor_b32 s3, exec_lo, s3
; %bb.103:
	v_bfe_u32 v7, v71, 16, 1
	s_delay_alu instid0(VALU_DEP_1)
	v_add3_u32 v7, v71, v7, 0x7fff
; %bb.104:
	s_and_not1_saveexec_b32 s3, s3
; %bb.105:
	v_and_b32_e32 v7, 0xffff, v71
	v_or_b32_e32 v8, 0x10000, v71
	s_delay_alu instid0(VALU_DEP_2) | instskip(NEXT) | instid1(VALU_DEP_2)
	v_cmp_eq_u32_e32 vcc_lo, 0, v7
	v_cndmask_b32_e32 v7, v8, v71, vcc_lo
; %bb.106:
	s_or_b32 exec_lo, exec_lo, s3
	v_and_b32_e32 v8, 0x7f800000, v72
	s_delay_alu instid0(VALU_DEP_1) | instskip(SKIP_1) | instid1(SALU_CYCLE_1)
	v_cmp_ne_u32_e32 vcc_lo, 0x7f800000, v8
                                        ; implicit-def: $vgpr8
	s_and_saveexec_b32 s3, vcc_lo
	s_xor_b32 s3, exec_lo, s3
; %bb.107:
	v_bfe_u32 v8, v72, 16, 1
	s_delay_alu instid0(VALU_DEP_1)
	v_add3_u32 v8, v72, v8, 0x7fff
                                        ; implicit-def: $vgpr65_vgpr66_vgpr67_vgpr68_vgpr69_vgpr70_vgpr71_vgpr72
; %bb.108:
	s_and_not1_saveexec_b32 s3, s3
; %bb.109:
	v_and_b32_e32 v8, 0xffff, v72
	v_or_b32_e32 v9, 0x10000, v72
	s_delay_alu instid0(VALU_DEP_2) | instskip(NEXT) | instid1(VALU_DEP_2)
	v_cmp_eq_u32_e32 vcc_lo, 0, v8
	v_cndmask_b32_e32 v8, v9, v72, vcc_lo
; %bb.110:
	s_or_b32 exec_lo, exec_lo, s3
	s_delay_alu instid0(VALU_DEP_1)
	v_perm_b32 v7, v8, v7, 0x7060302
	v_perm_b32 v6, v6, v5, 0x7060302
	;; [unrolled: 1-line block ×4, first 2 shown]
	s_barrier
	buffer_gl0_inv
	v_cmp_eq_u32_e32 vcc_lo, 1, v78
	ds_store_b128 v76, v[4:7]
	s_waitcnt lgkmcnt(0)
	s_barrier
	buffer_gl0_inv
	ds_load_b128 v[1:4], v82
	ds_load_b128 v[5:8], v82 offset:16
	v_cmp_eq_u32_e64 s3, 1, v79
	v_cmp_eq_u32_e64 s4, 2, v78
	;; [unrolled: 1-line block ×5, first 2 shown]
	s_waitcnt lgkmcnt(1)
	v_lshrrev_b32_e32 v9, 16, v1
	s_waitcnt lgkmcnt(0)
	v_lshrrev_b32_e32 v13, 16, v5
	v_lshrrev_b32_e32 v10, 16, v2
	;; [unrolled: 1-line block ×4, first 2 shown]
	v_cndmask_b32_e64 v19, v1, v9, s3
	v_cndmask_b32_e32 v18, v5, v13, vcc_lo
	v_cndmask_b32_e64 v20, v5, v13, s3
	v_cndmask_b32_e32 v17, v1, v9, vcc_lo
	v_cmp_eq_u32_e32 vcc_lo, 2, v79
	v_lshrrev_b32_e32 v15, 16, v7
	v_cmp_eq_u32_e64 s3, 1, v77
	v_lshrrev_b32_e32 v12, 16, v4
	v_lshrrev_b32_e32 v16, 16, v8
	v_cndmask_b32_e32 v20, v20, v6, vcc_lo
	v_cndmask_b32_e64 v17, v17, v2, s4
	v_cndmask_b32_e32 v19, v19, v2, vcc_lo
	v_cndmask_b32_e64 v18, v18, v6, s4
	v_cmp_eq_u32_e32 vcc_lo, 4, v78
	v_cmp_eq_u32_e64 s4, 3, v79
	v_cndmask_b32_e64 v17, v17, v10, s5
	v_cndmask_b32_e64 v21, v1, v9, s3
	;; [unrolled: 1-line block ×5, first 2 shown]
	v_cndmask_b32_e32 v17, v17, v3, vcc_lo
	v_cndmask_b32_e64 v20, v20, v14, s4
	v_cndmask_b32_e32 v18, v18, v7, vcc_lo
	v_cmp_eq_u32_e32 vcc_lo, 4, v79
	v_cmp_eq_u32_e64 s4, 5, v79
	v_cmp_eq_u32_e64 s3, 2, v81
	v_cndmask_b32_e64 v21, v21, v2, s7
	v_cmp_eq_u32_e64 s5, 5, v78
	v_cndmask_b32_e32 v19, v19, v3, vcc_lo
	v_cndmask_b32_e32 v20, v20, v7, vcc_lo
	v_cmp_eq_u32_e32 vcc_lo, 6, v79
	s_delay_alu instid0(VALU_DEP_4) | instskip(NEXT) | instid1(VALU_DEP_4)
	v_cndmask_b32_e64 v17, v17, v11, s5
	v_cndmask_b32_e64 v19, v19, v11, s4
	s_delay_alu instid0(VALU_DEP_4) | instskip(SKIP_1) | instid1(VALU_DEP_3)
	v_cndmask_b32_e64 v20, v20, v15, s4
	v_cmp_eq_u32_e64 s4, 1, v81
	v_cndmask_b32_e32 v19, v19, v4, vcc_lo
	v_cndmask_b32_e64 v18, v18, v15, s5
	s_delay_alu instid0(VALU_DEP_3)
	v_cndmask_b32_e64 v1, v1, v9, s4
	v_cndmask_b32_e64 v5, v5, v13, s4
	v_cmp_eq_u32_e64 s4, 3, v77
	v_cndmask_b32_e64 v13, v22, v6, s7
	v_cmp_eq_u32_e64 s7, 3, v81
	v_cndmask_b32_e64 v1, v1, v2, s3
	v_cndmask_b32_e64 v2, v5, v6, s3
	;; [unrolled: 1-line block ×3, first 2 shown]
	v_cmp_eq_u32_e64 s3, 4, v77
	v_cndmask_b32_e64 v6, v13, v14, s4
	v_cndmask_b32_e64 v1, v1, v10, s7
	v_cmp_eq_u32_e64 s4, 4, v81
	v_cndmask_b32_e64 v2, v2, v14, s7
	v_cndmask_b32_e64 v5, v9, v3, s3
	;; [unrolled: 3-line block ×3, first 2 shown]
	v_cndmask_b32_e64 v2, v2, v7, s4
	v_cmp_eq_u32_e64 s3, 5, v81
	v_cmp_eq_u32_e64 s5, 6, v78
	v_cndmask_b32_e64 v5, v5, v11, s7
	v_cmp_eq_u32_e64 s4, 6, v77
	v_cndmask_b32_e64 v3, v6, v15, s7
	v_cndmask_b32_e64 v1, v1, v11, s3
	v_cmp_eq_u32_e64 s7, 6, v81
	v_cndmask_b32_e64 v2, v2, v15, s3
	v_cndmask_b32_e64 v17, v17, v4, s5
	v_cndmask_b32_e64 v18, v18, v8, s5
	v_cmp_eq_u32_e64 s5, 7, v78
	v_cndmask_b32_e64 v5, v5, v4, s4
	;; [unrolled: 4-line block ×3, first 2 shown]
	v_cmp_eq_u32_e64 s4, 7, v77
	v_cndmask_b32_e32 v4, v20, v8, vcc_lo
	v_cndmask_b32_e64 v17, v17, v12, s5
	v_cndmask_b32_e64 v19, v19, v12, s6
	;; [unrolled: 1-line block ×8, first 2 shown]
	s_mov_b32 s3, exec_lo
	v_perm_b32 v4, v2, v1, 0x5040100
	v_perm_b32 v3, v3, v5, 0x5040100
	;; [unrolled: 1-line block ×4, first 2 shown]
	ds_store_b128 v76, v[1:4]
	s_waitcnt lgkmcnt(0)
	s_barrier
	buffer_gl0_inv
	v_cmpx_gt_u32_e32 32, v0
	s_cbranch_execz .LBB1828_2
; %bb.111:
	s_load_b64 s[4:5], s[0:1], 0x68
	v_lshlrev_b32_e32 v0, 10, v0
	v_add_nc_u32_e32 v2, s31, v74
	v_lshlrev_b32_e32 v3, 4, v75
	s_lshl_b32 s0, s34, 7
	s_delay_alu instid0(SALU_CYCLE_1) | instskip(NEXT) | instid1(VALU_DEP_2)
	s_mul_i32 s1, s0, s30
	v_mul_lo_u32 v1, v2, s0
	s_delay_alu instid0(VALU_DEP_2)
	v_and_or_b32 v0, 0x3800, v0, v3
	v_add_nc_u32_e32 v3, 2, v2
	s_mul_i32 s6, s1, s8
	v_add_nc_u32_e32 v4, 4, v2
	s_ashr_i32 s7, s6, 31
	v_lshl_or_b32 v11, v74, 6, v0
	s_lshl_b64 s[6:7], s[6:7], 1
	v_mul_lo_u32 v15, v3, s0
	v_mul_lo_u32 v17, v4, s0
	v_ashrrev_i32_e32 v2, 31, v1
	ds_load_b128 v[3:6], v11
	ds_load_b128 v[7:10], v11 offset:128
	ds_load_b128 v[11:14], v11 offset:256
	s_waitcnt lgkmcnt(0)
	s_add_u32 s1, s4, s6
	s_addc_u32 s3, s5, s7
	s_lshl_b32 s4, s14, 7
	v_ashrrev_i32_e32 v16, 31, v15
	s_ashr_i32 s5, s4, 31
	v_lshlrev_b64 v[19:20], 1, v[1:2]
	s_lshl_b64 s[4:5], s[4:5], 1
	v_ashrrev_i32_e32 v18, 31, v17
	s_add_u32 s1, s1, s4
	s_addc_u32 s3, s3, s5
	v_add_co_u32 v1, s1, s1, v73
	s_delay_alu instid0(VALU_DEP_1) | instskip(SKIP_1) | instid1(VALU_DEP_3)
	v_add_co_ci_u32_e64 v2, null, s3, 0, s1
	v_lshlrev_b64 v[15:16], 1, v[15:16]
	v_add_co_u32 v19, vcc_lo, v1, v19
	v_lshlrev_b64 v[17:18], 1, v[17:18]
	s_delay_alu instid0(VALU_DEP_4) | instskip(NEXT) | instid1(VALU_DEP_4)
	v_add_co_ci_u32_e32 v20, vcc_lo, v2, v20, vcc_lo
	v_add_co_u32 v15, vcc_lo, v1, v15
	v_add_co_ci_u32_e32 v16, vcc_lo, v2, v16, vcc_lo
	s_delay_alu instid0(VALU_DEP_4)
	v_add_co_u32 v17, vcc_lo, v1, v17
	v_add_co_ci_u32_e32 v18, vcc_lo, v2, v18, vcc_lo
	s_clause 0x2
	global_store_b128 v[19:20], v[3:6], off
	global_store_b128 v[15:16], v[7:10], off
	;; [unrolled: 1-line block ×3, first 2 shown]
	s_and_b32 exec_lo, exec_lo, s2
	s_cbranch_execz .LBB1828_2
; %bb.112:
	ds_load_b128 v[3:6], v0 offset:384
	s_add_i32 s1, s31, 6
	s_delay_alu instid0(SALU_CYCLE_1) | instskip(NEXT) | instid1(SALU_CYCLE_1)
	s_mul_i32 s0, s1, s0
	s_ashr_i32 s1, s0, 31
	s_delay_alu instid0(SALU_CYCLE_1) | instskip(NEXT) | instid1(SALU_CYCLE_1)
	s_lshl_b64 s[0:1], s[0:1], 1
	v_add_co_u32 v0, vcc_lo, v1, s0
	v_add_co_ci_u32_e32 v1, vcc_lo, s1, v2, vcc_lo
	s_waitcnt lgkmcnt(0)
	global_store_b128 v[0:1], v[3:6], off
	s_nop 0
	s_sendmsg sendmsg(MSG_DEALLOC_VGPRS)
	s_endpgm
	.section	.rodata,"a",@progbits
	.p2align	6, 0x0
	.amdhsa_kernel _Z39paged_attention_ll4mi_QKV_mfma16_kernelI14__hip_bfloat16hLN4vllm18Fp8KVCacheDataTypeE1ES0_Li16ELi128ELi256ELb1ELi7EL8MFMAType0EEvPKT_PKT0_S9_ifPKiSB_SB_iPKfiiiPfSE_PS4_PT2_iSD_SD_
		.amdhsa_group_segment_fixed_size 17472
		.amdhsa_private_segment_fixed_size 0
		.amdhsa_kernarg_size 400
		.amdhsa_user_sgpr_count 13
		.amdhsa_user_sgpr_dispatch_ptr 0
		.amdhsa_user_sgpr_queue_ptr 0
		.amdhsa_user_sgpr_kernarg_segment_ptr 1
		.amdhsa_user_sgpr_dispatch_id 0
		.amdhsa_user_sgpr_private_segment_size 0
		.amdhsa_wavefront_size32 1
		.amdhsa_uses_dynamic_stack 0
		.amdhsa_enable_private_segment 0
		.amdhsa_system_sgpr_workgroup_id_x 1
		.amdhsa_system_sgpr_workgroup_id_y 1
		.amdhsa_system_sgpr_workgroup_id_z 1
		.amdhsa_system_sgpr_workgroup_info 0
		.amdhsa_system_vgpr_workitem_id 0
		.amdhsa_next_free_vgpr 140
		.amdhsa_next_free_sgpr 36
		.amdhsa_reserve_vcc 1
		.amdhsa_float_round_mode_32 0
		.amdhsa_float_round_mode_16_64 0
		.amdhsa_float_denorm_mode_32 3
		.amdhsa_float_denorm_mode_16_64 3
		.amdhsa_dx10_clamp 1
		.amdhsa_ieee_mode 1
		.amdhsa_fp16_overflow 0
		.amdhsa_workgroup_processor_mode 1
		.amdhsa_memory_ordered 1
		.amdhsa_forward_progress 0
		.amdhsa_shared_vgpr_count 0
		.amdhsa_exception_fp_ieee_invalid_op 0
		.amdhsa_exception_fp_denorm_src 0
		.amdhsa_exception_fp_ieee_div_zero 0
		.amdhsa_exception_fp_ieee_overflow 0
		.amdhsa_exception_fp_ieee_underflow 0
		.amdhsa_exception_fp_ieee_inexact 0
		.amdhsa_exception_int_div_zero 0
	.end_amdhsa_kernel
	.section	.text._Z39paged_attention_ll4mi_QKV_mfma16_kernelI14__hip_bfloat16hLN4vllm18Fp8KVCacheDataTypeE1ES0_Li16ELi128ELi256ELb1ELi7EL8MFMAType0EEvPKT_PKT0_S9_ifPKiSB_SB_iPKfiiiPfSE_PS4_PT2_iSD_SD_,"axG",@progbits,_Z39paged_attention_ll4mi_QKV_mfma16_kernelI14__hip_bfloat16hLN4vllm18Fp8KVCacheDataTypeE1ES0_Li16ELi128ELi256ELb1ELi7EL8MFMAType0EEvPKT_PKT0_S9_ifPKiSB_SB_iPKfiiiPfSE_PS4_PT2_iSD_SD_,comdat
.Lfunc_end1828:
	.size	_Z39paged_attention_ll4mi_QKV_mfma16_kernelI14__hip_bfloat16hLN4vllm18Fp8KVCacheDataTypeE1ES0_Li16ELi128ELi256ELb1ELi7EL8MFMAType0EEvPKT_PKT0_S9_ifPKiSB_SB_iPKfiiiPfSE_PS4_PT2_iSD_SD_, .Lfunc_end1828-_Z39paged_attention_ll4mi_QKV_mfma16_kernelI14__hip_bfloat16hLN4vllm18Fp8KVCacheDataTypeE1ES0_Li16ELi128ELi256ELb1ELi7EL8MFMAType0EEvPKT_PKT0_S9_ifPKiSB_SB_iPKfiiiPfSE_PS4_PT2_iSD_SD_
                                        ; -- End function
	.section	.AMDGPU.csdata,"",@progbits
; Kernel info:
; codeLenInByte = 8952
; NumSgprs: 38
; NumVgprs: 140
; ScratchSize: 0
; MemoryBound: 0
; FloatMode: 240
; IeeeMode: 1
; LDSByteSize: 17472 bytes/workgroup (compile time only)
; SGPRBlocks: 4
; VGPRBlocks: 17
; NumSGPRsForWavesPerEU: 38
; NumVGPRsForWavesPerEU: 140
; Occupancy: 10
; WaveLimiterHint : 1
; COMPUTE_PGM_RSRC2:SCRATCH_EN: 0
; COMPUTE_PGM_RSRC2:USER_SGPR: 13
; COMPUTE_PGM_RSRC2:TRAP_HANDLER: 0
; COMPUTE_PGM_RSRC2:TGID_X_EN: 1
; COMPUTE_PGM_RSRC2:TGID_Y_EN: 1
; COMPUTE_PGM_RSRC2:TGID_Z_EN: 1
; COMPUTE_PGM_RSRC2:TIDIG_COMP_CNT: 0
	.section	.text._Z39paged_attention_ll4mi_QKV_mfma16_kernelI14__hip_bfloat16hLN4vllm18Fp8KVCacheDataTypeE1ES0_Li16ELi128ELi256ELb1ELi8EL8MFMAType0EEvPKT_PKT0_S9_ifPKiSB_SB_iPKfiiiPfSE_PS4_PT2_iSD_SD_,"axG",@progbits,_Z39paged_attention_ll4mi_QKV_mfma16_kernelI14__hip_bfloat16hLN4vllm18Fp8KVCacheDataTypeE1ES0_Li16ELi128ELi256ELb1ELi8EL8MFMAType0EEvPKT_PKT0_S9_ifPKiSB_SB_iPKfiiiPfSE_PS4_PT2_iSD_SD_,comdat
	.protected	_Z39paged_attention_ll4mi_QKV_mfma16_kernelI14__hip_bfloat16hLN4vllm18Fp8KVCacheDataTypeE1ES0_Li16ELi128ELi256ELb1ELi8EL8MFMAType0EEvPKT_PKT0_S9_ifPKiSB_SB_iPKfiiiPfSE_PS4_PT2_iSD_SD_ ; -- Begin function _Z39paged_attention_ll4mi_QKV_mfma16_kernelI14__hip_bfloat16hLN4vllm18Fp8KVCacheDataTypeE1ES0_Li16ELi128ELi256ELb1ELi8EL8MFMAType0EEvPKT_PKT0_S9_ifPKiSB_SB_iPKfiiiPfSE_PS4_PT2_iSD_SD_
	.globl	_Z39paged_attention_ll4mi_QKV_mfma16_kernelI14__hip_bfloat16hLN4vllm18Fp8KVCacheDataTypeE1ES0_Li16ELi128ELi256ELb1ELi8EL8MFMAType0EEvPKT_PKT0_S9_ifPKiSB_SB_iPKfiiiPfSE_PS4_PT2_iSD_SD_
	.p2align	8
	.type	_Z39paged_attention_ll4mi_QKV_mfma16_kernelI14__hip_bfloat16hLN4vllm18Fp8KVCacheDataTypeE1ES0_Li16ELi128ELi256ELb1ELi8EL8MFMAType0EEvPKT_PKT0_S9_ifPKiSB_SB_iPKfiiiPfSE_PS4_PT2_iSD_SD_,@function
_Z39paged_attention_ll4mi_QKV_mfma16_kernelI14__hip_bfloat16hLN4vllm18Fp8KVCacheDataTypeE1ES0_Li16ELi128ELi256ELb1ELi8EL8MFMAType0EEvPKT_PKT0_S9_ifPKiSB_SB_iPKfiiiPfSE_PS4_PT2_iSD_SD_: ; @_Z39paged_attention_ll4mi_QKV_mfma16_kernelI14__hip_bfloat16hLN4vllm18Fp8KVCacheDataTypeE1ES0_Li16ELi128ELi256ELb1ELi8EL8MFMAType0EEvPKT_PKT0_S9_ifPKiSB_SB_iPKfiiiPfSE_PS4_PT2_iSD_SD_
; %bb.0:
	s_load_b64 s[4:5], s[0:1], 0x30
	s_mov_b32 s30, s13
	s_waitcnt lgkmcnt(0)
	s_cmp_lg_u64 s[4:5], 0
	s_cselect_b32 s13, -1, 0
	s_ashr_i32 s31, s30, 31
	s_cmp_eq_u64 s[4:5], 0
	s_cbranch_scc1 .LBB1829_3
; %bb.1:
	s_lshl_b64 s[2:3], s[30:31], 2
	s_delay_alu instid0(SALU_CYCLE_1) | instskip(SKIP_4) | instid1(SALU_CYCLE_1)
	s_add_u32 s2, s4, s2
	s_addc_u32 s3, s5, s3
	s_load_b64 s[2:3], s[2:3], 0x0
	s_waitcnt lgkmcnt(0)
	s_sub_i32 s2, s3, s2
	s_cmp_eq_u32 s2, 1
	s_cselect_b32 s2, -1, 0
	s_delay_alu instid0(SALU_CYCLE_1)
	s_and_not1_b32 vcc_lo, exec_lo, s2
	s_cbranch_vccz .LBB1829_4
.LBB1829_2:
	s_endpgm
.LBB1829_3:
.LBB1829_4:
	s_load_b64 s[2:3], s[0:1], 0x28
	s_lshl_b64 s[6:7], s[30:31], 2
	s_waitcnt lgkmcnt(0)
	s_add_u32 s2, s2, s6
	s_addc_u32 s3, s3, s7
	s_lshl_b32 s12, s14, 8
	s_load_b32 s17, s[2:3], 0x0
	s_waitcnt lgkmcnt(0)
	s_cmp_ge_i32 s12, s17
	s_cbranch_scc1 .LBB1829_2
; %bb.5:
	s_clause 0x1
	s_load_b128 s[8:11], s[0:1], 0x8
	s_load_b64 s[2:3], s[0:1], 0x20
	s_and_not1_b32 vcc_lo, exec_lo, s13
	s_cbranch_vccnz .LBB1829_7
; %bb.6:
	s_add_u32 s4, s4, s6
	s_addc_u32 s5, s5, s7
	s_load_b32 s13, s[4:5], 0x0
	s_branch .LBB1829_8
.LBB1829_7:
	s_mov_b32 s13, s30
.LBB1829_8:
	s_load_b128 s[4:7], s[0:1], 0x48
	v_and_b32_e32 v66, 15, v0
	v_lshrrev_b32_e32 v65, 5, v0
	v_and_b32_e32 v67, 31, v0
	v_and_b32_e32 v75, 1, v0
	v_bfe_u32 v74, v0, 4, 1
	v_lshlrev_b32_e32 v1, 3, v66
	s_lshl_b32 s29, s15, 3
	s_waitcnt lgkmcnt(0)
	s_mov_b32 s7, exec_lo
	s_delay_alu instid0(VALU_DEP_1)
	v_lshlrev_b32_e32 v73, 1, v1
	v_cmpx_gt_u32_e32 0x80, v0
	s_cbranch_execz .LBB1829_10
; %bb.9:
	v_lshl_or_b32 v5, v65, 1, v74
	s_load_b64 s[18:19], s[0:1], 0x0
	s_mul_hi_i32 s21, s13, s4
	s_mul_i32 s20, s13, s4
	v_lshlrev_b32_e32 v6, 10, v66
	v_or_b32_e32 v1, s29, v5
	s_lshl_b64 s[20:21], s[20:21], 1
	v_lshlrev_b32_e32 v5, 6, v5
	v_lshlrev_b32_e32 v7, 10, v75
	v_and_b32_e32 v6, 0x3800, v6
	v_lshlrev_b32_e32 v1, 7, v1
	s_delay_alu instid0(VALU_DEP_2) | instskip(NEXT) | instid1(VALU_DEP_2)
	v_or3_b32 v5, v6, v7, v5
	v_ashrrev_i32_e32 v2, 31, v1
	s_delay_alu instid0(VALU_DEP_1) | instskip(SKIP_3) | instid1(VALU_DEP_1)
	v_lshlrev_b64 v[1:2], 1, v[1:2]
	s_waitcnt lgkmcnt(0)
	s_add_u32 s4, s18, s20
	s_addc_u32 s13, s19, s21
	v_add_co_u32 v1, vcc_lo, s4, v1
	s_delay_alu instid0(VALU_DEP_2) | instskip(NEXT) | instid1(VALU_DEP_2)
	v_add_co_ci_u32_e32 v2, vcc_lo, s13, v2, vcc_lo
	v_add_co_u32 v1, vcc_lo, v1, v73
	s_delay_alu instid0(VALU_DEP_2)
	v_add_co_ci_u32_e32 v2, vcc_lo, 0, v2, vcc_lo
	global_load_b128 v[1:4], v[1:2], off
	s_waitcnt vmcnt(0)
	ds_store_b128 v5, v[1:4]
.LBB1829_10:
	s_or_b32 exec_lo, exec_lo, s7
	v_and_b32_e32 v1, 0xef, v0
	s_add_i32 s4, s17, 15
	s_clause 0x1
	s_load_b32 s7, s[0:1], 0x38
	s_load_b32 s18, s[0:1], 0x1c
	s_ashr_i32 s13, s4, 31
	v_add_nc_u32_e32 v1, s12, v1
	s_lshr_b32 s13, s13, 28
	s_waitcnt lgkmcnt(0)
	s_add_i32 s4, s4, s13
	s_barrier
	v_ashrrev_i32_e32 v2, 31, v1
	v_or_b32_e32 v3, 16, v1
	s_ashr_i32 s4, s4, 4
	v_cmp_gt_i32_e32 vcc_lo, s17, v1
	s_add_i32 s4, s4, -1
	v_lshrrev_b32_e32 v2, 28, v2
	buffer_gl0_inv
	s_mul_i32 s15, s15, s6
	v_add_nc_u32_e32 v4, v1, v2
	s_mul_i32 s20, s30, s7
	s_delay_alu instid0(SALU_CYCLE_1) | instskip(NEXT) | instid1(VALU_DEP_1)
	s_ashr_i32 s21, s20, 31
	v_ashrrev_i32_e32 v4, 4, v4
	v_add_nc_u32_e32 v2, v3, v2
	s_lshl_b64 s[20:21], s[20:21], 2
	s_delay_alu instid0(SALU_CYCLE_1) | instskip(NEXT) | instid1(VALU_DEP_2)
	s_add_u32 s13, s2, s20
	v_cndmask_b32_e32 v1, s4, v4, vcc_lo
	s_delay_alu instid0(VALU_DEP_2)
	v_ashrrev_i32_e32 v2, 4, v2
	v_cmp_gt_i32_e32 vcc_lo, s17, v3
	s_addc_u32 s16, s3, s21
	s_ashr_i32 s19, s15, 31
	s_add_u32 s26, s8, s15
	s_addc_u32 s27, s9, s19
	v_cndmask_b32_e32 v3, s4, v2, vcc_lo
	v_ashrrev_i32_e32 v2, 31, v1
	s_lshl_b32 s2, s14, 4
	s_delay_alu instid0(SALU_CYCLE_1) | instskip(NEXT) | instid1(VALU_DEP_2)
	s_ashr_i32 s3, s2, 31
	v_ashrrev_i32_e32 v4, 31, v3
	s_delay_alu instid0(VALU_DEP_2) | instskip(SKIP_1) | instid1(SALU_CYCLE_1)
	v_lshlrev_b64 v[1:2], 2, v[1:2]
	s_lshl_b64 s[2:3], s[2:3], 2
	s_add_u32 s2, s13, s2
	s_delay_alu instid0(VALU_DEP_2) | instskip(SKIP_1) | instid1(VALU_DEP_2)
	v_lshlrev_b64 v[3:4], 2, v[3:4]
	s_addc_u32 s3, s16, s3
	v_add_co_u32 v1, vcc_lo, s13, v1
	v_add_co_ci_u32_e32 v2, vcc_lo, s16, v2, vcc_lo
	s_delay_alu instid0(VALU_DEP_3) | instskip(NEXT) | instid1(VALU_DEP_4)
	v_add_co_u32 v3, vcc_lo, s13, v3
	v_add_co_ci_u32_e32 v4, vcc_lo, s16, v4, vcc_lo
	s_clause 0x1
	global_load_b32 v5, v[1:2], off
	global_load_b32 v3, v[3:4], off
	s_or_b32 s6, s12, 32
	s_delay_alu instid0(SALU_CYCLE_1) | instskip(SKIP_2) | instid1(SALU_CYCLE_1)
	s_ashr_i32 s7, s6, 4
	s_cmp_lt_i32 s6, s17
	s_cselect_b32 s6, s7, s4
	s_ashr_i32 s7, s6, 31
	s_delay_alu instid0(SALU_CYCLE_1) | instskip(NEXT) | instid1(SALU_CYCLE_1)
	s_lshl_b64 s[6:7], s[6:7], 2
	s_add_u32 s6, s13, s6
	s_addc_u32 s7, s16, s7
	s_or_b32 s8, s12, 64
	s_delay_alu instid0(SALU_CYCLE_1) | instskip(SKIP_2) | instid1(SALU_CYCLE_1)
	s_ashr_i32 s9, s8, 4
	s_cmp_lt_i32 s8, s17
	s_cselect_b32 s8, s9, s4
	s_ashr_i32 s9, s8, 31
	s_delay_alu instid0(SALU_CYCLE_1) | instskip(NEXT) | instid1(SALU_CYCLE_1)
	s_lshl_b64 s[8:9], s[8:9], 2
	s_add_u32 s8, s13, s8
	s_addc_u32 s9, s16, s9
	;; [unrolled: 10-line block ×5, first 2 shown]
	s_clause 0x5
	s_load_b32 s28, s[2:3], 0x0
	s_load_b32 s31, s[6:7], 0x0
	s_load_b32 s8, s[8:9], 0x0
	s_load_b32 s9, s[20:21], 0x0
	s_load_b32 s33, s[22:23], 0x0
	s_load_b32 s34, s[24:25], 0x0
	s_mov_b32 s20, 0
	s_or_b32 s2, s12, 0xc0
	s_mov_b32 s21, s20
	s_mov_b32 s22, s20
	;; [unrolled: 1-line block ×5, first 2 shown]
	v_lshlrev_b32_e32 v1, 4, v0
	s_ashr_i32 s3, s2, 4
	s_cmp_lt_i32 s2, s17
	s_cselect_b32 s2, s3, s4
	s_delay_alu instid0(VALU_DEP_1) | instskip(SKIP_1) | instid1(SALU_CYCLE_1)
	v_and_b32_e32 v1, 0xf0, v1
	s_ashr_i32 s3, s2, 31
	s_lshl_b64 s[2:3], s[2:3], 2
	s_delay_alu instid0(VALU_DEP_1) | instskip(NEXT) | instid1(VALU_DEP_1)
	v_add_co_u32 v1, s26, s26, v1
	v_add_co_ci_u32_e64 v2, null, s27, 0, s26
	s_add_u32 s2, s13, s2
	s_addc_u32 s3, s16, s3
	s_or_b32 s6, s12, 0xe0
	s_mov_b32 s26, s20
	s_ashr_i32 s7, s6, 4
	s_cmp_lt_i32 s6, s17
	s_mov_b32 s27, s20
	s_cselect_b32 s6, s7, s4
	v_dual_mov_b32 v107, s27 :: v_dual_mov_b32 v100, s20
	s_ashr_i32 s7, s6, 31
	v_mov_b32_e32 v106, s26
	s_lshl_b64 s[6:7], s[6:7], 2
	v_dual_mov_b32 v104, s24 :: v_dual_mov_b32 v103, s23
	v_dual_mov_b32 v102, s22 :: v_dual_mov_b32 v101, s21
	v_mov_b32_e32 v105, s25
	s_waitcnt vmcnt(1)
	v_mad_i64_i32 v[33:34], null, v5, s5, v[1:2]
	s_waitcnt vmcnt(0)
	v_mad_i64_i32 v[35:36], null, v3, s5, v[1:2]
	s_clause 0xf
	global_load_b128 v[1:4], v[33:34], off
	global_load_b128 v[5:8], v[33:34], off offset:256
	global_load_b128 v[9:12], v[35:36], off
	global_load_b128 v[13:16], v[35:36], off offset:256
	global_load_b128 v[17:20], v[33:34], off offset:512
	;; [unrolled: 1-line block ×13, first 2 shown]
	v_and_b32_e32 v33, 7, v0
	v_lshlrev_b32_e32 v34, 4, v66
	s_delay_alu instid0(VALU_DEP_2) | instskip(NEXT) | instid1(VALU_DEP_2)
	v_lshlrev_b32_e32 v72, 6, v33
	v_lshl_or_b32 v41, v65, 8, v34
	ds_load_b128 v[33:36], v72
	ds_load_b128 v[37:40], v72 offset:1024
	ds_load_b128 v[108:111], v72 offset:2048
	ds_load_b128 v[112:115], v72 offset:3072
	s_load_b32 s4, s[2:3], 0x0
	s_add_u32 s2, s13, s6
	s_addc_u32 s3, s16, s7
	ds_load_b128 v[116:119], v72 offset:4096
	ds_load_b128 v[120:123], v72 offset:5120
	s_load_b32 s2, s[2:3], 0x0
	s_add_u32 s6, s10, s15
	s_addc_u32 s7, s11, s19
	v_add_co_u32 v68, s6, s6, v41
	s_delay_alu instid0(VALU_DEP_1) | instskip(SKIP_1) | instid1(VALU_DEP_1)
	v_add_co_ci_u32_e64 v69, null, s7, 0, s6
	s_waitcnt lgkmcnt(0)
	v_mad_i64_i32 v[41:42], null, s28, s5, v[68:69]
	v_mad_i64_i32 v[70:71], null, s8, s5, v[68:69]
	;; [unrolled: 1-line block ×7, first 2 shown]
	s_clause 0x3
	global_load_b128 v[49:52], v[41:42], off
	global_load_b128 v[53:56], v[41:42], off offset:16
	global_load_b128 v[41:44], v[45:46], off
	global_load_b128 v[45:48], v[45:46], off offset:16
	s_waitcnt vmcnt(18)
	v_wmma_f32_16x16x16_bf16 v[124:131], v[1:8], v[33:40], v[100:107]
	s_waitcnt vmcnt(16)
	v_wmma_f32_16x16x16_bf16 v[100:107], v[9:16], v[33:40], v[100:107]
	s_clause 0x1
	global_load_b128 v[33:36], v[70:71], off
	global_load_b128 v[37:40], v[70:71], off offset:16
	v_mad_i64_i32 v[70:71], null, s2, s5, v[68:69]
	s_waitcnt vmcnt(16)
	v_wmma_f32_16x16x16_bf16 v[124:131], v[17:24], v[108:115], v[124:131]
	s_waitcnt vmcnt(14)
	v_wmma_f32_16x16x16_bf16 v[100:107], v[25:32], v[108:115], v[100:107]
	s_clause 0x7
	global_load_b128 v[25:28], v[132:133], off
	global_load_b128 v[29:32], v[132:133], off offset:16
	global_load_b128 v[1:4], v[134:135], off
	global_load_b128 v[5:8], v[134:135], off offset:16
	;; [unrolled: 2-line block ×4, first 2 shown]
	s_waitcnt vmcnt(20)
	v_wmma_f32_16x16x16_bf16 v[124:131], v[57:64], v[116:123], v[124:131]
	s_clause 0x1
	global_load_b128 v[57:60], v[70:71], off
	global_load_b128 v[61:64], v[70:71], off offset:16
	s_waitcnt vmcnt(20)
	v_wmma_f32_16x16x16_bf16 v[100:107], v[76:83], v[116:123], v[100:107]
	ds_load_b128 v[76:79], v72 offset:6144
	ds_load_b128 v[80:83], v72 offset:7168
	v_and_b32_e32 v68, 0xe0, v0
	v_mbcnt_lo_u32_b32 v69, -1, 0
	s_waitcnt vmcnt(0) lgkmcnt(0)
	s_barrier
	buffer_gl0_inv
	v_add_nc_u32_e32 v68, s12, v68
	v_xor_b32_e32 v70, 16, v69
	s_delay_alu instid0(VALU_DEP_2) | instskip(NEXT) | instid1(VALU_DEP_2)
	v_or_b32_e32 v68, v68, v74
	v_cmp_gt_i32_e32 vcc_lo, 32, v70
	s_delay_alu instid0(VALU_DEP_2)
	v_or_b32_e32 v71, 4, v68
	v_or_b32_e32 v72, 6, v68
	v_cmp_gt_i32_e64 s2, s17, v68
	v_or_b32_e32 v108, 8, v68
	v_wmma_f32_16x16x16_bf16 v[124:131], v[84:91], v[76:83], v[124:131]
	v_cndmask_b32_e32 v69, v69, v70, vcc_lo
	v_or_b32_e32 v70, 2, v68
	v_wmma_f32_16x16x16_bf16 v[100:107], v[92:99], v[76:83], v[100:107]
	v_or_b32_e32 v109, 10, v68
	v_dual_mul_f32 v80, s18, v129 :: v_dual_mul_f32 v81, s18, v128
	v_dual_mul_f32 v92, s18, v125 :: v_dual_mul_f32 v93, s18, v124
	s_delay_alu instid0(VALU_DEP_4)
	v_mul_f32_e32 v96, s18, v105
	v_cmp_gt_i32_e32 vcc_lo, s17, v70
	v_or_b32_e32 v89, 22, v68
	v_dual_mul_f32 v79, s18, v130 :: v_dual_mul_f32 v82, s18, v127
	v_dual_mul_f32 v83, s18, v126 :: v_dual_mul_f32 v94, s18, v107
	v_cndmask_b32_e64 v93, 0xff7fffff, v93, s2
	v_cndmask_b32_e32 v92, 0xff7fffff, v92, vcc_lo
	v_cmp_gt_i32_e64 s3, s17, v71
	v_cmp_gt_i32_e64 s4, s17, v72
	v_or_b32_e32 v84, 12, v68
	v_or_b32_e32 v85, 14, v68
	v_cmp_gt_i32_e64 s5, s17, v108
	v_cndmask_b32_e64 v71, 0xff7fffff, v83, s3
	v_cndmask_b32_e64 v72, 0xff7fffff, v82, s4
	v_cmp_gt_i32_e64 s6, s17, v109
	v_cmp_gt_i32_e64 s12, s17, v89
	v_lshlrev_b32_e32 v89, 2, v69
	v_max3_f32 v82, v93, 0xff7fffff, v92
	v_or_b32_e32 v86, 16, v68
	v_or_b32_e32 v87, 18, v68
	v_mul_f32_e32 v78, s18, v131
	v_cndmask_b32_e64 v81, 0xff7fffff, v81, s5
	v_cndmask_b32_e64 v80, 0xff7fffff, v80, s6
	v_max3_f32 v71, v82, v71, v72
	v_cmp_gt_i32_e64 s7, s17, v84
	v_cmp_gt_i32_e64 s8, s17, v85
	v_or_b32_e32 v88, 20, v68
	v_or_b32_e32 v90, 24, v68
	;; [unrolled: 1-line block ×5, first 2 shown]
	v_dual_mul_f32 v97, s18, v104 :: v_dual_mul_f32 v70, s18, v101
	v_dual_mul_f32 v99, s18, v102 :: v_dual_mul_f32 v68, s18, v100
	v_cndmask_b32_e64 v72, 0xff7fffff, v79, s7
	v_cndmask_b32_e64 v78, 0xff7fffff, v78, s8
	v_max3_f32 v71, v71, v81, v80
	v_cmp_gt_i32_e64 s9, s17, v86
	v_cmp_gt_i32_e64 s10, s17, v87
	v_dual_mul_f32 v95, s18, v106 :: v_dual_mul_f32 v98, s18, v103
	s_delay_alu instid0(VALU_DEP_4) | instskip(NEXT) | instid1(VALU_DEP_4)
	v_max3_f32 v71, v71, v72, v78
	v_cndmask_b32_e64 v68, 0xff7fffff, v68, s9
	s_delay_alu instid0(VALU_DEP_4)
	v_cndmask_b32_e64 v70, 0xff7fffff, v70, s10
	v_cmp_gt_i32_e64 s11, s17, v88
	v_cndmask_b32_e64 v78, 0xff7fffff, v98, s12
	v_cmp_gt_i32_e64 s13, s17, v90
	v_cmp_gt_i32_e64 s15, s17, v91
	v_max3_f32 v68, v71, v68, v70
	v_cndmask_b32_e64 v72, 0xff7fffff, v99, s11
	v_cmp_gt_i32_e64 s16, s17, v76
	v_cndmask_b32_e64 v70, 0xff7fffff, v97, s13
	v_cndmask_b32_e64 v71, 0xff7fffff, v96, s15
	v_cmp_gt_i32_e64 s17, s17, v77
	v_max3_f32 v68, v68, v72, v78
	v_cndmask_b32_e64 v72, 0xff7fffff, v95, s16
	s_delay_alu instid0(VALU_DEP_3) | instskip(NEXT) | instid1(VALU_DEP_3)
	v_cndmask_b32_e64 v76, 0xff7fffff, v94, s17
	v_max3_f32 v68, v68, v70, v71
	s_delay_alu instid0(VALU_DEP_1) | instskip(SKIP_3) | instid1(VALU_DEP_1)
	v_max3_f32 v68, v68, v72, v76
	ds_bpermute_b32 v69, v89, v68
	s_waitcnt lgkmcnt(0)
	v_max_f32_e32 v69, v69, v69
	v_max_f32_e32 v68, v68, v69
	s_delay_alu instid0(VALU_DEP_1) | instskip(NEXT) | instid1(VALU_DEP_1)
	v_fma_f32 v71, s18, v126, -v68
	v_mul_f32_e32 v71, 0x3fb8aa3b, v71
	v_fma_f32 v70, s18, v125, -v68
	v_fma_f32 v69, s18, v124, -v68
	;; [unrolled: 1-line block ×5, first 2 shown]
	s_delay_alu instid0(VALU_DEP_4) | instskip(SKIP_1) | instid1(VALU_DEP_3)
	v_dual_mul_f32 v70, 0x3fb8aa3b, v70 :: v_dual_mul_f32 v69, 0x3fb8aa3b, v69
	v_exp_f32_e32 v71, v71
	v_mul_f32_e32 v72, 0x3fb8aa3b, v72
	v_fma_f32 v81, s18, v105, -v68
	s_delay_alu instid0(VALU_DEP_3)
	v_exp_f32_e32 v70, v70
	v_mul_f32_e32 v77, 0x3fb8aa3b, v76
	v_exp_f32_e32 v69, v69
	v_exp_f32_e32 v72, v72
	v_mul_f32_e32 v81, 0x3fb8aa3b, v81
	v_cndmask_b32_e64 v83, 0, v71, s3
	v_fma_f32 v71, s18, v131, -v68
	s_delay_alu instid0(VALU_DEP_3) | instskip(SKIP_4) | instid1(TRANS32_DEP_3)
	v_exp_f32_e32 v81, v81
	v_cndmask_b32_e32 v76, 0, v70, vcc_lo
	v_exp_f32_e32 v77, v77
	v_cndmask_b32_e64 v80, 0, v69, s2
	v_fma_f32 v69, s18, v129, -v68
	v_cndmask_b32_e64 v85, 0, v72, s4
	v_mul_f32_e32 v71, 0x3fb8aa3b, v71
	v_fma_f32 v72, s18, v100, -v68
	s_delay_alu instid0(VALU_DEP_4) | instskip(SKIP_1) | instid1(VALU_DEP_3)
	v_dual_add_f32 v70, 0, v80 :: v_dual_mul_f32 v69, 0x3fb8aa3b, v69
	s_mov_b32 s2, exec_lo
	v_exp_f32_e32 v71, v71
	s_delay_alu instid0(TRANS32_DEP_2) | instskip(SKIP_4) | instid1(VALU_DEP_3)
	v_cndmask_b32_e64 v86, 0, v77, s5
	v_fma_f32 v77, s18, v101, -v68
	v_mul_f32_e32 v78, 0x3fb8aa3b, v78
	v_add_f32_e32 v70, v70, v76
	v_exp_f32_e32 v69, v69
	v_mul_f32_e32 v77, 0x3fb8aa3b, v77
	s_delay_alu instid0(VALU_DEP_3) | instskip(NEXT) | instid1(TRANS32_DEP_3)
	v_exp_f32_e32 v78, v78
	v_cndmask_b32_e64 v88, 0, v71, s8
	v_fma_f32 v71, s18, v104, -v68
	s_delay_alu instid0(VALU_DEP_3) | instskip(NEXT) | instid1(TRANS32_DEP_3)
	v_exp_f32_e32 v77, v77
	v_cndmask_b32_e64 v87, 0, v69, s6
	s_delay_alu instid0(VALU_DEP_2)
	v_mul_f32_e32 v71, 0x3fb8aa3b, v71
	s_waitcnt_depctr 0xfff
	v_cndmask_b32_e64 v84, 0, v78, s7
	v_add_f32_e32 v70, v70, v83
	v_fma_f32 v78, s18, v103, -v68
	v_exp_f32_e32 v82, v71
	s_delay_alu instid0(VALU_DEP_2) | instskip(SKIP_1) | instid1(VALU_DEP_3)
	v_add_f32_e32 v70, v70, v85
	v_mul_f32_e32 v72, 0x3fb8aa3b, v72
	v_mul_f32_e32 v78, 0x3fb8aa3b, v78
	s_delay_alu instid0(VALU_DEP_3) | instskip(SKIP_1) | instid1(VALU_DEP_4)
	v_add_f32_e32 v69, v70, v86
	v_fma_f32 v70, s18, v102, -v68
	v_exp_f32_e32 v72, v72
	s_delay_alu instid0(VALU_DEP_3) | instskip(NEXT) | instid1(VALU_DEP_1)
	v_exp_f32_e32 v78, v78
	v_dual_add_f32 v69, v69, v87 :: v_dual_mul_f32 v70, 0x3fb8aa3b, v70
	s_delay_alu instid0(VALU_DEP_1) | instskip(NEXT) | instid1(VALU_DEP_2)
	v_add_f32_e32 v69, v69, v84
	v_exp_f32_e32 v79, v70
	s_delay_alu instid0(TRANS32_DEP_3) | instskip(NEXT) | instid1(VALU_DEP_2)
	v_cndmask_b32_e64 v70, 0, v72, s9
	v_add_f32_e32 v72, v69, v88
	v_cndmask_b32_e64 v69, 0, v77, s10
	v_fma_f32 v77, s18, v106, -v68
	s_waitcnt_depctr 0xfff
	v_cndmask_b32_e64 v71, 0, v79, s11
	v_dual_mul_f32 v77, 0x3fb8aa3b, v77 :: v_dual_add_f32 v72, v72, v70
	s_delay_alu instid0(VALU_DEP_1) | instskip(NEXT) | instid1(VALU_DEP_1)
	v_exp_f32_e32 v90, v77
	v_add_f32_e32 v79, v72, v69
	v_cndmask_b32_e64 v72, 0, v78, s12
	v_cndmask_b32_e64 v77, 0, v82, s13
	s_delay_alu instid0(VALU_DEP_3) | instskip(SKIP_1) | instid1(VALU_DEP_1)
	v_add_f32_e32 v78, v79, v71
	v_fma_f32 v79, s18, v107, -v68
	v_dual_add_f32 v82, v78, v72 :: v_dual_mul_f32 v79, 0x3fb8aa3b, v79
	v_cndmask_b32_e64 v78, 0, v81, s15
	s_delay_alu instid0(VALU_DEP_2) | instskip(NEXT) | instid1(VALU_DEP_3)
	v_add_f32_e32 v81, v82, v77
	v_exp_f32_e32 v82, v79
	v_cndmask_b32_e64 v79, 0, v90, s16
	s_delay_alu instid0(VALU_DEP_2) | instskip(NEXT) | instid1(VALU_DEP_1)
	v_add_f32_e32 v81, v81, v78
	v_add_f32_e32 v90, v81, v79
	s_waitcnt_depctr 0xfff
	v_cndmask_b32_e64 v81, 0, v82, s17
	s_delay_alu instid0(VALU_DEP_1)
	v_add_f32_e32 v82, v90, v81
	ds_bpermute_b32 v89, v89, v82
	v_cmpx_gt_u32_e32 16, v67
	s_cbranch_execz .LBB1829_12
; %bb.11:
	v_mul_u32_u24_e32 v67, 0x44, v65
	s_delay_alu instid0(VALU_DEP_1) | instskip(SKIP_1) | instid1(VALU_DEP_1)
	v_lshl_add_u32 v67, v66, 2, v67
	s_waitcnt lgkmcnt(0)
	v_dual_add_f32 v82, v82, v89 :: v_dual_add_nc_u32 v67, 0x4000, v67
	ds_store_2addr_b32 v67, v68, v82 offset1:136
.LBB1829_12:
	s_or_b32 exec_lo, exec_lo, s2
	v_lshlrev_b32_e32 v67, 2, v66
	s_waitcnt lgkmcnt(0)
	s_barrier
	buffer_gl0_inv
	v_cmp_eq_u32_e32 vcc_lo, 1, v65
	v_add_nc_u32_e32 v82, 0x4000, v67
	v_cmp_eq_u32_e64 s2, 2, v65
	v_cmp_eq_u32_e64 s4, 7, v65
	ds_load_2addr_b32 v[89:90], v82 offset1:17
	ds_load_2addr_b32 v[91:92], v82 offset0:34 offset1:51
	ds_load_2addr_b32 v[93:94], v82 offset0:68 offset1:85
	ds_load_2addr_b32 v[95:96], v82 offset0:102 offset1:119
	ds_load_2addr_b32 v[97:98], v82 offset0:136 offset1:153
	s_waitcnt lgkmcnt(4)
	v_max3_f32 v67, v89, 0xff7fffff, v90
	s_waitcnt lgkmcnt(3)
	s_delay_alu instid0(VALU_DEP_1) | instskip(SKIP_1) | instid1(VALU_DEP_1)
	v_max3_f32 v67, v67, v91, v92
	s_waitcnt lgkmcnt(2)
	v_max3_f32 v67, v67, v93, v94
	s_waitcnt lgkmcnt(1)
	s_delay_alu instid0(VALU_DEP_1) | instskip(NEXT) | instid1(VALU_DEP_1)
	v_max3_f32 v67, v67, v95, v96
	v_sub_f32_e32 v93, v93, v67
	s_delay_alu instid0(VALU_DEP_1) | instskip(NEXT) | instid1(VALU_DEP_1)
	v_dual_sub_f32 v68, v89, v67 :: v_dual_mul_f32 v103, 0x3fb8aa3b, v93
	v_mul_f32_e32 v68, 0x3fb8aa3b, v68
	s_delay_alu instid0(VALU_DEP_1)
	v_exp_f32_e32 v100, v68
	v_sub_f32_e32 v68, v92, v67
	v_sub_f32_e32 v99, v90, v67
	ds_load_2addr_b32 v[89:90], v82 offset0:170 offset1:187
	v_dual_mul_f32 v102, 0x3fb8aa3b, v68 :: v_dual_mul_f32 v99, 0x3fb8aa3b, v99
	s_waitcnt lgkmcnt(1)
	v_fma_f32 v68, v100, v97, 0
	s_delay_alu instid0(VALU_DEP_2) | instskip(NEXT) | instid1(VALU_DEP_2)
	v_exp_f32_e32 v102, v102
	v_exp_f32_e32 v99, v99
	s_waitcnt_depctr 0xfff
	v_fmac_f32_e32 v68, v99, v98
	v_sub_f32_e32 v91, v91, v67
	s_delay_alu instid0(VALU_DEP_1)
	v_mul_f32_e32 v101, 0x3fb8aa3b, v91
	ds_load_2addr_b32 v[91:92], v82 offset0:204 offset1:221
	v_sub_f32_e32 v97, v94, v67
	ds_load_2addr_b32 v[93:94], v82 offset0:238 offset1:255
	s_waitcnt lgkmcnt(0)
	v_exp_f32_e32 v101, v101
	s_barrier
	buffer_gl0_inv
	v_dual_fmac_f32 v68, v101, v89 :: v_dual_sub_f32 v89, v96, v67
	v_dual_sub_f32 v82, v95, v67 :: v_dual_mul_f32 v95, 0x3fb8aa3b, v97
	v_exp_f32_e32 v97, v103
	s_delay_alu instid0(VALU_DEP_2) | instskip(NEXT) | instid1(VALU_DEP_2)
	v_dual_fmac_f32 v68, v102, v90 :: v_dual_mul_f32 v89, 0x3fb8aa3b, v89
	v_mul_f32_e32 v82, 0x3fb8aa3b, v82
	s_delay_alu instid0(VALU_DEP_3) | instskip(NEXT) | instid1(VALU_DEP_2)
	v_exp_f32_e32 v95, v95
	v_exp_f32_e32 v89, v89
	s_delay_alu instid0(VALU_DEP_1)
	v_exp_f32_e32 v82, v82
	v_fmac_f32_e32 v68, v97, v91
	s_delay_alu instid0(TRANS32_DEP_3) | instid1(VALU_DEP_1)
	v_fmac_f32_e32 v68, v95, v92
	s_waitcnt_depctr 0xfff
	v_fmac_f32_e32 v68, v82, v93
	s_delay_alu instid0(VALU_DEP_1) | instskip(NEXT) | instid1(VALU_DEP_1)
	v_fmac_f32_e32 v68, v89, v94
	v_add_f32_e32 v90, 0x358637bd, v68
	s_delay_alu instid0(VALU_DEP_1) | instskip(NEXT) | instid1(VALU_DEP_1)
	v_div_scale_f32 v91, null, v90, v90, 1.0
	v_rcp_f32_e32 v92, v91
	s_waitcnt_depctr 0xfff
	v_fma_f32 v93, -v91, v92, 1.0
	s_delay_alu instid0(VALU_DEP_1) | instskip(SKIP_1) | instid1(VALU_DEP_2)
	v_dual_fmac_f32 v92, v93, v92 :: v_dual_cndmask_b32 v93, v100, v99
	v_cmp_eq_u32_e32 vcc_lo, 3, v65
	v_cndmask_b32_e64 v93, v93, v101, s2
	v_cmp_eq_u32_e64 s2, 4, v65
	s_delay_alu instid0(VALU_DEP_2) | instskip(SKIP_1) | instid1(VALU_DEP_2)
	v_cndmask_b32_e32 v93, v93, v102, vcc_lo
	v_cmp_eq_u32_e32 vcc_lo, 5, v65
	v_cndmask_b32_e64 v93, v93, v97, s2
	v_cmp_eq_u32_e64 s2, 6, v65
	s_delay_alu instid0(VALU_DEP_2) | instskip(SKIP_1) | instid1(VALU_DEP_1)
	v_cndmask_b32_e32 v93, v93, v95, vcc_lo
	v_div_scale_f32 v94, s3, 1.0, v90, 1.0
	s_mov_b32 vcc_lo, s3
	s_delay_alu instid0(VALU_DEP_2) | instskip(NEXT) | instid1(VALU_DEP_2)
	v_cndmask_b32_e64 v82, v93, v82, s2
	v_mul_f32_e32 v96, v94, v92
	s_mov_b32 s2, exec_lo
	s_delay_alu instid0(VALU_DEP_2) | instskip(NEXT) | instid1(VALU_DEP_2)
	v_cndmask_b32_e64 v82, v82, v89, s4
	v_fma_f32 v98, -v91, v96, v94
	s_delay_alu instid0(VALU_DEP_1) | instskip(NEXT) | instid1(VALU_DEP_1)
	v_fmac_f32_e32 v96, v98, v92
	v_fma_f32 v91, -v91, v96, v94
	s_delay_alu instid0(VALU_DEP_1) | instskip(NEXT) | instid1(VALU_DEP_1)
	v_div_fmas_f32 v91, v91, v92, v96
	v_div_fixup_f32 v90, v91, v90, 1.0
	s_delay_alu instid0(VALU_DEP_1) | instskip(NEXT) | instid1(VALU_DEP_1)
	v_mul_f32_e32 v82, v82, v90
	v_mul_f32_e32 v87, v82, v87
	;; [unrolled: 1-line block ×7, first 2 shown]
	v_dual_mul_f32 v86, v82, v83 :: v_dual_and_b32 v91, 0x7f800000, v90
	v_mul_f32_e32 v85, v82, v76
                                        ; implicit-def: $vgpr76
	s_delay_alu instid0(VALU_DEP_2)
	v_cmpx_ne_u32_e32 0x7f800000, v91
	s_xor_b32 s2, exec_lo, s2
; %bb.13:
	v_bfe_u32 v76, v90, 16, 1
	s_delay_alu instid0(VALU_DEP_1)
	v_add3_u32 v76, v90, v76, 0x7fff
                                        ; implicit-def: $vgpr90
; %bb.14:
	s_and_not1_saveexec_b32 s2, s2
; %bb.15:
	v_and_b32_e32 v76, 0xffff, v90
	v_or_b32_e32 v83, 0x10000, v90
	s_delay_alu instid0(VALU_DEP_2) | instskip(NEXT) | instid1(VALU_DEP_2)
	v_cmp_eq_u32_e32 vcc_lo, 0, v76
	v_cndmask_b32_e32 v76, v83, v90, vcc_lo
; %bb.16:
	s_or_b32 exec_lo, exec_lo, s2
	v_and_b32_e32 v83, 0x7f800000, v85
	s_delay_alu instid0(VALU_DEP_1) | instskip(SKIP_1) | instid1(SALU_CYCLE_1)
	v_cmp_ne_u32_e32 vcc_lo, 0x7f800000, v83
                                        ; implicit-def: $vgpr83
	s_and_saveexec_b32 s2, vcc_lo
	s_xor_b32 s2, exec_lo, s2
; %bb.17:
	v_bfe_u32 v83, v85, 16, 1
	s_delay_alu instid0(VALU_DEP_1)
	v_add3_u32 v83, v85, v83, 0x7fff
                                        ; implicit-def: $vgpr85
; %bb.18:
	s_and_not1_saveexec_b32 s2, s2
; %bb.19:
	v_and_b32_e32 v83, 0xffff, v85
	v_or_b32_e32 v90, 0x10000, v85
	s_delay_alu instid0(VALU_DEP_2) | instskip(NEXT) | instid1(VALU_DEP_2)
	v_cmp_eq_u32_e32 vcc_lo, 0, v83
	v_cndmask_b32_e32 v83, v90, v85, vcc_lo
; %bb.20:
	s_or_b32 exec_lo, exec_lo, s2
	v_and_b32_e32 v85, 0x7f800000, v86
	s_delay_alu instid0(VALU_DEP_1) | instskip(SKIP_1) | instid1(SALU_CYCLE_1)
	v_cmp_ne_u32_e32 vcc_lo, 0x7f800000, v85
                                        ; implicit-def: $vgpr85
	s_and_saveexec_b32 s2, vcc_lo
	s_xor_b32 s2, exec_lo, s2
; %bb.21:
	v_bfe_u32 v85, v86, 16, 1
	s_delay_alu instid0(VALU_DEP_1)
	v_add3_u32 v85, v86, v85, 0x7fff
                                        ; implicit-def: $vgpr86
; %bb.22:
	s_and_not1_saveexec_b32 s2, s2
; %bb.23:
	v_and_b32_e32 v85, 0xffff, v86
	v_or_b32_e32 v90, 0x10000, v86
	s_delay_alu instid0(VALU_DEP_2) | instskip(NEXT) | instid1(VALU_DEP_2)
	v_cmp_eq_u32_e32 vcc_lo, 0, v85
	v_cndmask_b32_e32 v85, v90, v86, vcc_lo
; %bb.24:
	s_or_b32 exec_lo, exec_lo, s2
	v_and_b32_e32 v86, 0x7f800000, v89
	s_delay_alu instid0(VALU_DEP_1) | instskip(SKIP_1) | instid1(SALU_CYCLE_1)
	v_cmp_ne_u32_e32 vcc_lo, 0x7f800000, v86
                                        ; implicit-def: $vgpr86
	s_and_saveexec_b32 s2, vcc_lo
	s_xor_b32 s2, exec_lo, s2
; %bb.25:
	v_bfe_u32 v86, v89, 16, 1
	s_delay_alu instid0(VALU_DEP_1)
	v_add3_u32 v86, v89, v86, 0x7fff
                                        ; implicit-def: $vgpr89
; %bb.26:
	s_and_not1_saveexec_b32 s2, s2
; %bb.27:
	v_and_b32_e32 v86, 0xffff, v89
	v_or_b32_e32 v90, 0x10000, v89
	s_delay_alu instid0(VALU_DEP_2) | instskip(NEXT) | instid1(VALU_DEP_2)
	v_cmp_eq_u32_e32 vcc_lo, 0, v86
	v_cndmask_b32_e32 v86, v90, v89, vcc_lo
; %bb.28:
	s_or_b32 exec_lo, exec_lo, s2
	v_and_b32_e32 v89, 0x7f800000, v88
	s_delay_alu instid0(VALU_DEP_1) | instskip(SKIP_1) | instid1(SALU_CYCLE_1)
	v_cmp_ne_u32_e32 vcc_lo, 0x7f800000, v89
                                        ; implicit-def: $vgpr89
	s_and_saveexec_b32 s2, vcc_lo
	s_xor_b32 s2, exec_lo, s2
; %bb.29:
	v_bfe_u32 v89, v88, 16, 1
	s_delay_alu instid0(VALU_DEP_1)
	v_add3_u32 v89, v88, v89, 0x7fff
                                        ; implicit-def: $vgpr88
; %bb.30:
	s_and_not1_saveexec_b32 s2, s2
; %bb.31:
	v_and_b32_e32 v89, 0xffff, v88
	v_or_b32_e32 v90, 0x10000, v88
	s_delay_alu instid0(VALU_DEP_2) | instskip(NEXT) | instid1(VALU_DEP_2)
	v_cmp_eq_u32_e32 vcc_lo, 0, v89
	v_cndmask_b32_e32 v89, v90, v88, vcc_lo
; %bb.32:
	s_or_b32 exec_lo, exec_lo, s2
	v_and_b32_e32 v88, 0x7f800000, v87
	s_delay_alu instid0(VALU_DEP_1) | instskip(SKIP_1) | instid1(SALU_CYCLE_1)
	v_cmp_ne_u32_e32 vcc_lo, 0x7f800000, v88
                                        ; implicit-def: $vgpr88
	s_and_saveexec_b32 s2, vcc_lo
	s_xor_b32 s2, exec_lo, s2
; %bb.33:
	v_bfe_u32 v88, v87, 16, 1
	s_delay_alu instid0(VALU_DEP_1)
	v_add3_u32 v88, v87, v88, 0x7fff
                                        ; implicit-def: $vgpr87
; %bb.34:
	s_and_not1_saveexec_b32 s2, s2
; %bb.35:
	v_and_b32_e32 v88, 0xffff, v87
	v_or_b32_e32 v90, 0x10000, v87
	s_delay_alu instid0(VALU_DEP_2) | instskip(NEXT) | instid1(VALU_DEP_2)
	v_cmp_eq_u32_e32 vcc_lo, 0, v88
	v_cndmask_b32_e32 v88, v90, v87, vcc_lo
; %bb.36:
	s_or_b32 exec_lo, exec_lo, s2
	v_and_b32_e32 v87, 0x7f800000, v84
	s_delay_alu instid0(VALU_DEP_1) | instskip(SKIP_1) | instid1(SALU_CYCLE_1)
	v_cmp_ne_u32_e32 vcc_lo, 0x7f800000, v87
                                        ; implicit-def: $vgpr87
	s_and_saveexec_b32 s2, vcc_lo
	s_xor_b32 s2, exec_lo, s2
; %bb.37:
	v_bfe_u32 v87, v84, 16, 1
	s_delay_alu instid0(VALU_DEP_1)
	v_add3_u32 v87, v84, v87, 0x7fff
                                        ; implicit-def: $vgpr84
; %bb.38:
	s_and_not1_saveexec_b32 s2, s2
; %bb.39:
	v_and_b32_e32 v87, 0xffff, v84
	v_or_b32_e32 v90, 0x10000, v84
	s_delay_alu instid0(VALU_DEP_2) | instskip(NEXT) | instid1(VALU_DEP_2)
	v_cmp_eq_u32_e32 vcc_lo, 0, v87
	v_cndmask_b32_e32 v87, v90, v84, vcc_lo
; %bb.40:
	s_or_b32 exec_lo, exec_lo, s2
	v_and_b32_e32 v84, 0x7f800000, v80
	s_delay_alu instid0(VALU_DEP_1) | instskip(SKIP_1) | instid1(SALU_CYCLE_1)
	v_cmp_ne_u32_e32 vcc_lo, 0x7f800000, v84
                                        ; implicit-def: $vgpr84
	s_and_saveexec_b32 s2, vcc_lo
	s_xor_b32 s2, exec_lo, s2
; %bb.41:
	v_bfe_u32 v84, v80, 16, 1
	s_delay_alu instid0(VALU_DEP_1)
	v_add3_u32 v84, v80, v84, 0x7fff
                                        ; implicit-def: $vgpr80
; %bb.42:
	s_and_not1_saveexec_b32 s2, s2
; %bb.43:
	v_and_b32_e32 v84, 0xffff, v80
	v_or_b32_e32 v90, 0x10000, v80
	s_delay_alu instid0(VALU_DEP_2) | instskip(NEXT) | instid1(VALU_DEP_2)
	v_cmp_eq_u32_e32 vcc_lo, 0, v84
	v_cndmask_b32_e32 v84, v90, v80, vcc_lo
; %bb.44:
	s_or_b32 exec_lo, exec_lo, s2
	s_load_b64 s[34:35], s[0:1], 0x94
	v_lshlrev_b32_e32 v91, 4, v74
	s_delay_alu instid0(VALU_DEP_2)
	v_perm_b32 v90, v84, v87, 0x7060302
	v_dual_mul_f32 v77, v82, v77 :: v_dual_lshlrev_b32 v80, 6, v66
	v_lshlrev_b32_e32 v66, 11, v65
	v_perm_b32 v87, v83, v76, 0x7060302
	v_mul_f32_e32 v83, v82, v70
	v_perm_b32 v89, v88, v89, 0x7060302
	v_perm_b32 v88, v86, v85, 0x7060302
	v_or3_b32 v76, v91, v66, v80
	v_mul_f32_e32 v66, v82, v81
	v_mul_f32_e32 v70, v82, v79
	;; [unrolled: 1-line block ×3, first 2 shown]
	v_dual_mul_f32 v81, v82, v72 :: v_dual_and_b32 v84, 0x7f800000, v83
	v_mul_f32_e32 v79, v82, v71
	v_mul_f32_e32 v72, v82, v69
	s_mov_b32 s2, exec_lo
	ds_store_b128 v76, v[87:90]
                                        ; implicit-def: $vgpr69
	v_cmpx_ne_u32_e32 0x7f800000, v84
	s_xor_b32 s2, exec_lo, s2
; %bb.45:
	v_bfe_u32 v69, v83, 16, 1
	s_delay_alu instid0(VALU_DEP_1)
	v_add3_u32 v69, v83, v69, 0x7fff
                                        ; implicit-def: $vgpr83
; %bb.46:
	s_and_not1_saveexec_b32 s2, s2
; %bb.47:
	v_and_b32_e32 v69, 0xffff, v83
	v_or_b32_e32 v71, 0x10000, v83
	s_delay_alu instid0(VALU_DEP_2) | instskip(NEXT) | instid1(VALU_DEP_2)
	v_cmp_eq_u32_e32 vcc_lo, 0, v69
	v_cndmask_b32_e32 v69, v71, v83, vcc_lo
; %bb.48:
	s_or_b32 exec_lo, exec_lo, s2
	v_and_b32_e32 v71, 0x7f800000, v72
	s_delay_alu instid0(VALU_DEP_1) | instskip(SKIP_1) | instid1(SALU_CYCLE_1)
	v_cmp_ne_u32_e32 vcc_lo, 0x7f800000, v71
                                        ; implicit-def: $vgpr71
	s_and_saveexec_b32 s2, vcc_lo
	s_xor_b32 s2, exec_lo, s2
; %bb.49:
	v_bfe_u32 v71, v72, 16, 1
	s_delay_alu instid0(VALU_DEP_1)
	v_add3_u32 v71, v72, v71, 0x7fff
                                        ; implicit-def: $vgpr72
; %bb.50:
	s_and_not1_saveexec_b32 s2, s2
; %bb.51:
	v_and_b32_e32 v71, 0xffff, v72
	v_or_b32_e32 v82, 0x10000, v72
	s_delay_alu instid0(VALU_DEP_2) | instskip(NEXT) | instid1(VALU_DEP_2)
	v_cmp_eq_u32_e32 vcc_lo, 0, v71
	v_cndmask_b32_e32 v71, v82, v72, vcc_lo
; %bb.52:
	s_or_b32 exec_lo, exec_lo, s2
	v_and_b32_e32 v72, 0x7f800000, v79
	s_delay_alu instid0(VALU_DEP_1) | instskip(SKIP_1) | instid1(SALU_CYCLE_1)
	v_cmp_ne_u32_e32 vcc_lo, 0x7f800000, v72
                                        ; implicit-def: $vgpr72
	s_and_saveexec_b32 s2, vcc_lo
	s_xor_b32 s2, exec_lo, s2
; %bb.53:
	v_bfe_u32 v72, v79, 16, 1
	s_delay_alu instid0(VALU_DEP_1)
	v_add3_u32 v72, v79, v72, 0x7fff
                                        ; implicit-def: $vgpr79
; %bb.54:
	s_and_not1_saveexec_b32 s2, s2
; %bb.55:
	v_and_b32_e32 v72, 0xffff, v79
	v_or_b32_e32 v82, 0x10000, v79
	s_delay_alu instid0(VALU_DEP_2) | instskip(NEXT) | instid1(VALU_DEP_2)
	v_cmp_eq_u32_e32 vcc_lo, 0, v72
	v_cndmask_b32_e32 v72, v82, v79, vcc_lo
; %bb.56:
	s_or_b32 exec_lo, exec_lo, s2
	v_and_b32_e32 v79, 0x7f800000, v81
	s_delay_alu instid0(VALU_DEP_1) | instskip(SKIP_1) | instid1(SALU_CYCLE_1)
	v_cmp_ne_u32_e32 vcc_lo, 0x7f800000, v79
                                        ; implicit-def: $vgpr79
	s_and_saveexec_b32 s2, vcc_lo
	s_xor_b32 s2, exec_lo, s2
; %bb.57:
	v_bfe_u32 v79, v81, 16, 1
	s_delay_alu instid0(VALU_DEP_1)
	v_add3_u32 v79, v81, v79, 0x7fff
                                        ; implicit-def: $vgpr81
; %bb.58:
	s_and_not1_saveexec_b32 s2, s2
; %bb.59:
	v_and_b32_e32 v79, 0xffff, v81
	v_or_b32_e32 v82, 0x10000, v81
	s_delay_alu instid0(VALU_DEP_2) | instskip(NEXT) | instid1(VALU_DEP_2)
	v_cmp_eq_u32_e32 vcc_lo, 0, v79
	v_cndmask_b32_e32 v79, v82, v81, vcc_lo
; %bb.60:
	s_or_b32 exec_lo, exec_lo, s2
	v_and_b32_e32 v81, 0x7f800000, v77
	s_delay_alu instid0(VALU_DEP_1) | instskip(SKIP_1) | instid1(SALU_CYCLE_1)
	v_cmp_ne_u32_e32 vcc_lo, 0x7f800000, v81
                                        ; implicit-def: $vgpr81
	s_and_saveexec_b32 s2, vcc_lo
	s_xor_b32 s2, exec_lo, s2
; %bb.61:
	v_bfe_u32 v81, v77, 16, 1
	s_delay_alu instid0(VALU_DEP_1)
	v_add3_u32 v81, v77, v81, 0x7fff
                                        ; implicit-def: $vgpr77
; %bb.62:
	s_and_not1_saveexec_b32 s2, s2
; %bb.63:
	v_and_b32_e32 v81, 0xffff, v77
	v_or_b32_e32 v82, 0x10000, v77
	s_delay_alu instid0(VALU_DEP_2) | instskip(NEXT) | instid1(VALU_DEP_2)
	v_cmp_eq_u32_e32 vcc_lo, 0, v81
	v_cndmask_b32_e32 v81, v82, v77, vcc_lo
; %bb.64:
	s_or_b32 exec_lo, exec_lo, s2
	v_and_b32_e32 v77, 0x7f800000, v78
	s_delay_alu instid0(VALU_DEP_1) | instskip(SKIP_1) | instid1(SALU_CYCLE_1)
	v_cmp_ne_u32_e32 vcc_lo, 0x7f800000, v77
                                        ; implicit-def: $vgpr77
	s_and_saveexec_b32 s2, vcc_lo
	s_xor_b32 s2, exec_lo, s2
; %bb.65:
	v_bfe_u32 v77, v78, 16, 1
	s_delay_alu instid0(VALU_DEP_1)
	v_add3_u32 v77, v78, v77, 0x7fff
                                        ; implicit-def: $vgpr78
; %bb.66:
	s_and_not1_saveexec_b32 s2, s2
; %bb.67:
	v_and_b32_e32 v77, 0xffff, v78
	v_or_b32_e32 v82, 0x10000, v78
	s_delay_alu instid0(VALU_DEP_2) | instskip(NEXT) | instid1(VALU_DEP_2)
	v_cmp_eq_u32_e32 vcc_lo, 0, v77
	v_cndmask_b32_e32 v77, v82, v78, vcc_lo
; %bb.68:
	s_or_b32 exec_lo, exec_lo, s2
	v_and_b32_e32 v78, 0x7f800000, v70
	s_delay_alu instid0(VALU_DEP_1) | instskip(SKIP_1) | instid1(SALU_CYCLE_1)
	v_cmp_ne_u32_e32 vcc_lo, 0x7f800000, v78
                                        ; implicit-def: $vgpr78
	s_and_saveexec_b32 s2, vcc_lo
	s_xor_b32 s2, exec_lo, s2
; %bb.69:
	v_bfe_u32 v78, v70, 16, 1
	s_delay_alu instid0(VALU_DEP_1)
	v_add3_u32 v78, v70, v78, 0x7fff
                                        ; implicit-def: $vgpr70
; %bb.70:
	s_and_not1_saveexec_b32 s2, s2
; %bb.71:
	v_and_b32_e32 v78, 0xffff, v70
	v_or_b32_e32 v82, 0x10000, v70
	s_delay_alu instid0(VALU_DEP_2) | instskip(NEXT) | instid1(VALU_DEP_2)
	v_cmp_eq_u32_e32 vcc_lo, 0, v78
	v_cndmask_b32_e32 v78, v82, v70, vcc_lo
; %bb.72:
	s_or_b32 exec_lo, exec_lo, s2
	v_and_b32_e32 v70, 0x7f800000, v66
	s_delay_alu instid0(VALU_DEP_1) | instskip(SKIP_1) | instid1(SALU_CYCLE_1)
	v_cmp_ne_u32_e32 vcc_lo, 0x7f800000, v70
                                        ; implicit-def: $vgpr70
	s_and_saveexec_b32 s2, vcc_lo
	s_xor_b32 s2, exec_lo, s2
; %bb.73:
	v_bfe_u32 v70, v66, 16, 1
	s_delay_alu instid0(VALU_DEP_1)
	v_add3_u32 v70, v66, v70, 0x7fff
                                        ; implicit-def: $vgpr66
; %bb.74:
	s_and_not1_saveexec_b32 s2, s2
; %bb.75:
	v_and_b32_e32 v70, 0xffff, v66
	v_or_b32_e32 v82, 0x10000, v66
	s_delay_alu instid0(VALU_DEP_2) | instskip(NEXT) | instid1(VALU_DEP_2)
	v_cmp_eq_u32_e32 vcc_lo, 0, v70
	v_cndmask_b32_e32 v70, v82, v66, vcc_lo
; %bb.76:
	s_or_b32 exec_lo, exec_lo, s2
	s_delay_alu instid0(VALU_DEP_1)
	v_perm_b32 v86, v70, v78, 0x7060302
	v_perm_b32 v85, v77, v81, 0x7060302
	;; [unrolled: 1-line block ×4, first 2 shown]
	v_lshl_or_b32 v82, v65, 11, v80
	ds_store_b128 v76, v[83:86] offset:1024
	s_waitcnt lgkmcnt(0)
	s_barrier
	buffer_gl0_inv
	ds_load_b128 v[69:72], v82
	ds_load_b128 v[83:86], v82 offset:16
	s_waitcnt lgkmcnt(1)
	v_lshrrev_b32_e32 v65, 16, v69
	v_lshlrev_b32_e32 v78, 2, v74
	s_waitcnt lgkmcnt(0)
	v_lshrrev_b32_e32 v91, 16, v83
	v_lshrrev_b32_e32 v66, 16, v70
	v_lshrrev_b32_e32 v97, 16, v84
	v_lshrrev_b32_e32 v95, 16, v71
	v_cmp_eq_u32_e32 vcc_lo, 1, v78
	v_lshrrev_b32_e32 v98, 16, v85
	v_lshrrev_b32_e32 v96, 16, v72
	;; [unrolled: 1-line block ×3, first 2 shown]
	v_cndmask_b32_e32 v81, v69, v65, vcc_lo
	v_or_b32_e32 v79, 1, v78
	v_cmp_eq_u32_e64 s3, 2, v78
	v_cndmask_b32_e32 v87, v83, v91, vcc_lo
	v_cmp_eq_u32_e64 s6, 3, v78
	v_cmp_eq_u32_e64 s8, 4, v78
	;; [unrolled: 1-line block ×3, first 2 shown]
	v_cndmask_b32_e64 v81, v81, v70, s3
	v_cmp_eq_u32_e64 s5, 2, v79
	v_cndmask_b32_e64 v87, v87, v84, s3
	v_cmp_eq_u32_e64 s7, 3, v79
	v_cndmask_b32_e64 v88, v69, v65, s2
	v_cndmask_b32_e64 v81, v81, v66, s6
	v_or_b32_e32 v77, 2, v78
	v_cndmask_b32_e64 v87, v87, v97, s6
	v_cndmask_b32_e64 v89, v83, v91, s2
	v_cndmask_b32_e64 v88, v88, v70, s5
	v_cndmask_b32_e64 v81, v81, v71, s8
	v_cmp_eq_u32_e64 s9, 5, v78
	v_cndmask_b32_e64 v87, v87, v85, s8
	v_cmp_eq_u32_e64 s10, 4, v79
	v_cndmask_b32_e64 v88, v88, v66, s7
	;; [unrolled: 2-line block ×3, first 2 shown]
	v_cndmask_b32_e64 v81, v81, v95, s9
	v_cmp_eq_u32_e64 s11, 6, v78
	v_cndmask_b32_e64 v88, v88, v71, s10
	v_cndmask_b32_e64 v87, v87, v98, s9
	v_cmp_eq_u32_e64 s12, 5, v79
	v_cndmask_b32_e64 v90, v69, v65, s4
	v_cndmask_b32_e64 v89, v89, v97, s7
	;; [unrolled: 1-line block ×3, first 2 shown]
	v_cmp_eq_u32_e64 s13, 7, v78
	v_cndmask_b32_e64 v88, v88, v95, s12
	v_cndmask_b32_e64 v87, v87, v86, s11
	v_cmp_eq_u32_e64 s15, 6, v79
	v_cmp_eq_u32_e64 s16, 2, v77
	v_cndmask_b32_e64 v89, v89, v85, s10
	v_cndmask_b32_e64 v100, v81, v96, s13
	;; [unrolled: 1-line block ×6, first 2 shown]
	v_cmp_eq_u32_e64 s17, 7, v79
	v_cmp_eq_u32_e64 s18, 3, v77
	;; [unrolled: 1-line block ×4, first 2 shown]
	v_cndmask_b32_e64 v87, v87, v84, s16
	v_cndmask_b32_e64 v102, v88, v96, s17
	;; [unrolled: 1-line block ×4, first 2 shown]
	v_or_b32_e32 v81, 3, v78
	v_cndmask_b32_e64 v93, v87, v97, s18
	v_cmp_eq_u32_e64 s23, 6, v77
	v_cndmask_b32_e64 v103, v88, v86, s15
	v_cndmask_b32_e64 v92, v89, v71, s19
	v_cmp_eq_u32_e64 s20, 1, v81
	ds_load_b128 v[87:90], v82 offset:1024
	v_cmp_eq_u32_e64 s22, 2, v81
	v_cmp_eq_u32_e64 s24, 3, v81
	v_cndmask_b32_e64 v104, v92, v95, s21
	v_cndmask_b32_e64 v65, v69, v65, s20
	;; [unrolled: 1-line block ×4, first 2 shown]
	ds_load_b128 v[91:94], v82 offset:1040
	v_cmp_eq_u32_e64 s25, 4, v81
	v_cndmask_b32_e64 v65, v65, v70, s22
	v_cmp_eq_u32_e64 s27, 5, v81
	v_cndmask_b32_e64 v70, v83, v84, s22
	;; [unrolled: 2-line block ×3, first 2 shown]
	v_cndmask_b32_e64 v65, v65, v66, s24
	v_cndmask_b32_e64 v66, v104, v72, s23
	;; [unrolled: 1-line block ×3, first 2 shown]
	v_cmp_eq_u32_e64 s26, 7, v77
	v_cndmask_b32_e64 v69, v69, v86, s23
	v_cndmask_b32_e64 v65, v65, v71, s25
	s_waitcnt lgkmcnt(1)
	v_lshrrev_b32_e32 v84, 16, v87
	v_cndmask_b32_e64 v70, v70, v85, s25
	v_cndmask_b32_e64 v83, v103, v99, s17
	;; [unrolled: 1-line block ×4, first 2 shown]
	v_lshrrev_b32_e32 v95, 16, v88
	v_cndmask_b32_e64 v70, v70, v98, s27
	s_waitcnt lgkmcnt(0)
	v_lshrrev_b32_e32 v85, 16, v91
	v_cndmask_b32_e64 v97, v87, v84, s2
	v_cndmask_b32_e64 v65, v65, v72, s28
	;; [unrolled: 1-line block ×4, first 2 shown]
	v_cndmask_b32_e32 v71, v87, v84, vcc_lo
	v_cndmask_b32_e32 v98, v91, v85, vcc_lo
	v_cmp_eq_u32_e32 vcc_lo, 7, v81
	v_cndmask_b32_e64 v72, v97, v88, s5
	v_lshrrev_b32_e32 v97, 16, v92
	v_lshrrev_b32_e32 v103, 16, v90
	v_dual_cndmask_b32 v65, v65, v96 :: v_dual_cndmask_b32 v70, v70, v99
	v_cndmask_b32_e64 v71, v71, v88, s3
	v_cndmask_b32_e64 v86, v98, v92, s3
	;; [unrolled: 1-line block ×3, first 2 shown]
	v_lshrrev_b32_e32 v98, 16, v89
	v_lshrrev_b32_e32 v99, 16, v93
	v_cndmask_b32_e64 v71, v71, v95, s6
	v_cndmask_b32_e64 v86, v86, v97, s6
	;; [unrolled: 1-line block ×3, first 2 shown]
	v_perm_b32 v72, v70, v65, 0x5040100
	v_perm_b32 v70, v83, v102, 0x5040100
	v_cndmask_b32_e64 v71, v71, v89, s8
	v_cndmask_b32_e64 v86, v86, v93, s8
	v_cndmask_b32_e64 v65, v96, v98, s12
	v_lshrrev_b32_e32 v83, 16, v94
	s_delay_alu instid0(VALU_DEP_4) | instskip(NEXT) | instid1(VALU_DEP_4)
	v_cndmask_b32_e64 v71, v71, v98, s9
	v_cndmask_b32_e64 v86, v86, v99, s9
	s_delay_alu instid0(VALU_DEP_4) | instskip(NEXT) | instid1(VALU_DEP_3)
	v_cndmask_b32_e64 v65, v65, v90, s15
	v_cndmask_b32_e64 v96, v71, v90, s11
	v_perm_b32 v71, v69, v66, 0x5040100
	s_delay_alu instid0(VALU_DEP_4)
	v_cndmask_b32_e64 v69, v86, v94, s11
	v_cndmask_b32_e64 v86, v87, v84, s4
	;; [unrolled: 1-line block ×34, first 2 shown]
	v_cndmask_b32_e32 v84, v84, v103, vcc_lo
	v_cndmask_b32_e32 v86, v87, v83, vcc_lo
	v_cndmask_b32_e64 v87, v88, v83, s26
	v_cndmask_b32_e64 v88, v85, v83, s17
	;; [unrolled: 1-line block ×3, first 2 shown]
	v_perm_b32 v69, v101, v100, 0x5040100
	v_perm_b32 v86, v86, v84, 0x5040100
	;; [unrolled: 1-line block ×5, first 2 shown]
	s_lshl_b32 s7, s35, 3
	s_mov_b32 s2, exec_lo
	ds_store_b128 v76, v[69:72]
	ds_store_b128 v76, v[83:86] offset:1024
	v_cmpx_gt_u32_e32 8, v0
	s_cbranch_execz .LBB1829_78
; %bb.77:
	v_or_b32_e32 v65, s29, v0
	s_load_b128 s[8:11], s[0:1], 0x58
	s_delay_alu instid0(VALU_DEP_1) | instskip(NEXT) | instid1(VALU_DEP_1)
	v_mad_u64_u32 v[69:70], null, s7, s30, v[65:66]
	v_mad_u64_u32 v[65:66], null, v69, s34, s[14:15]
	s_delay_alu instid0(VALU_DEP_1) | instskip(NEXT) | instid1(VALU_DEP_1)
	v_ashrrev_i32_e32 v66, 31, v65
	v_lshlrev_b64 v[65:66], 2, v[65:66]
	s_waitcnt lgkmcnt(0)
	s_delay_alu instid0(VALU_DEP_1) | instskip(NEXT) | instid1(VALU_DEP_2)
	v_add_co_u32 v69, vcc_lo, s10, v65
	v_add_co_ci_u32_e32 v70, vcc_lo, s11, v66, vcc_lo
	v_add_co_u32 v65, vcc_lo, s8, v65
	v_add_co_ci_u32_e32 v66, vcc_lo, s9, v66, vcc_lo
	global_store_b32 v[69:70], v67, off
	global_store_b32 v[65:66], v68, off
.LBB1829_78:
	s_or_b32 exec_lo, exec_lo, s2
	s_waitcnt lgkmcnt(0)
	s_waitcnt_vscnt null, 0x0
	s_barrier
	buffer_gl0_inv
	ds_load_b128 v[83:86], v80
	ds_load_b128 v[87:90], v80 offset:16
	ds_load_b128 v[95:98], v80 offset:2064
	;; [unrolled: 1-line block ×3, first 2 shown]
	v_mov_b32_e32 v65, 0
	ds_load_b128 v[103:106], v80 offset:4112
	ds_load_b128 v[99:102], v80 offset:4096
	;; [unrolled: 1-line block ×4, first 2 shown]
	v_mov_b32_e32 v66, v65
	v_mov_b32_e32 v67, v65
	;; [unrolled: 1-line block ×7, first 2 shown]
	s_waitcnt lgkmcnt(6)
	s_delay_alu instid0(VALU_DEP_1)
	v_wmma_f32_16x16x16_bf16 v[65:72], v[49:56], v[83:90], v[65:72]
	ds_load_b128 v[53:56], v80 offset:8208
	ds_load_b128 v[49:52], v80 offset:8192
	s_waitcnt lgkmcnt(6)
	v_wmma_f32_16x16x16_bf16 v[65:72], v[41:48], v[91:98], v[65:72]
	ds_load_b128 v[45:48], v80 offset:10256
	ds_load_b128 v[41:44], v80 offset:10240
	s_waitcnt lgkmcnt(6)
	v_wmma_f32_16x16x16_bf16 v[65:72], v[33:40], v[99:106], v[65:72]
	ds_load_b128 v[37:40], v80 offset:12304
	ds_load_b128 v[33:36], v80 offset:12288
	s_waitcnt lgkmcnt(6)
	v_wmma_f32_16x16x16_bf16 v[65:72], v[25:32], v[107:114], v[65:72]
	ds_load_b128 v[29:32], v80 offset:14352
	ds_load_b128 v[25:28], v80 offset:14336
	s_waitcnt lgkmcnt(6)
	v_wmma_f32_16x16x16_bf16 v[65:72], v[1:8], v[49:56], v[65:72]
	s_waitcnt lgkmcnt(4)
	s_delay_alu instid0(VALU_DEP_1) | instskip(SKIP_1) | instid1(VALU_DEP_1)
	v_wmma_f32_16x16x16_bf16 v[65:72], v[9:16], v[41:48], v[65:72]
	s_waitcnt lgkmcnt(2)
	v_wmma_f32_16x16x16_bf16 v[65:72], v[17:24], v[33:40], v[65:72]
	s_waitcnt lgkmcnt(0)
	s_delay_alu instid0(VALU_DEP_1) | instskip(NEXT) | instid1(VALU_DEP_1)
	v_wmma_f32_16x16x16_bf16 v[65:72], v[57:64], v[25:32], v[65:72]
	v_and_b32_e32 v1, 0x7f800000, v65
	s_delay_alu instid0(VALU_DEP_1) | instskip(SKIP_1) | instid1(SALU_CYCLE_1)
	v_cmp_ne_u32_e32 vcc_lo, 0x7f800000, v1
                                        ; implicit-def: $vgpr1
	s_and_saveexec_b32 s2, vcc_lo
	s_xor_b32 s2, exec_lo, s2
; %bb.79:
	v_bfe_u32 v1, v65, 16, 1
	s_delay_alu instid0(VALU_DEP_1)
	v_add3_u32 v1, v65, v1, 0x7fff
; %bb.80:
	s_and_not1_saveexec_b32 s2, s2
; %bb.81:
	v_and_b32_e32 v1, 0xffff, v65
	v_or_b32_e32 v2, 0x10000, v65
	s_delay_alu instid0(VALU_DEP_2) | instskip(NEXT) | instid1(VALU_DEP_2)
	v_cmp_eq_u32_e32 vcc_lo, 0, v1
	v_cndmask_b32_e32 v1, v2, v65, vcc_lo
; %bb.82:
	s_or_b32 exec_lo, exec_lo, s2
	v_and_b32_e32 v2, 0x7f800000, v66
	s_delay_alu instid0(VALU_DEP_1) | instskip(SKIP_1) | instid1(SALU_CYCLE_1)
	v_cmp_ne_u32_e32 vcc_lo, 0x7f800000, v2
                                        ; implicit-def: $vgpr2
	s_and_saveexec_b32 s2, vcc_lo
	s_xor_b32 s2, exec_lo, s2
; %bb.83:
	v_bfe_u32 v2, v66, 16, 1
	s_delay_alu instid0(VALU_DEP_1)
	v_add3_u32 v2, v66, v2, 0x7fff
; %bb.84:
	s_and_not1_saveexec_b32 s2, s2
; %bb.85:
	v_and_b32_e32 v2, 0xffff, v66
	v_or_b32_e32 v3, 0x10000, v66
	s_delay_alu instid0(VALU_DEP_2) | instskip(NEXT) | instid1(VALU_DEP_2)
	v_cmp_eq_u32_e32 vcc_lo, 0, v2
	v_cndmask_b32_e32 v2, v3, v66, vcc_lo
; %bb.86:
	s_or_b32 exec_lo, exec_lo, s2
	v_and_b32_e32 v3, 0x7f800000, v67
	s_delay_alu instid0(VALU_DEP_1) | instskip(SKIP_1) | instid1(SALU_CYCLE_1)
	v_cmp_ne_u32_e32 vcc_lo, 0x7f800000, v3
                                        ; implicit-def: $vgpr3
	s_and_saveexec_b32 s2, vcc_lo
	s_xor_b32 s2, exec_lo, s2
; %bb.87:
	v_bfe_u32 v3, v67, 16, 1
	s_delay_alu instid0(VALU_DEP_1)
	v_add3_u32 v3, v67, v3, 0x7fff
; %bb.88:
	s_and_not1_saveexec_b32 s2, s2
; %bb.89:
	v_and_b32_e32 v3, 0xffff, v67
	v_or_b32_e32 v4, 0x10000, v67
	s_delay_alu instid0(VALU_DEP_2) | instskip(NEXT) | instid1(VALU_DEP_2)
	v_cmp_eq_u32_e32 vcc_lo, 0, v3
	v_cndmask_b32_e32 v3, v4, v67, vcc_lo
; %bb.90:
	s_or_b32 exec_lo, exec_lo, s2
	v_and_b32_e32 v4, 0x7f800000, v68
	s_delay_alu instid0(VALU_DEP_1) | instskip(SKIP_1) | instid1(SALU_CYCLE_1)
	v_cmp_ne_u32_e32 vcc_lo, 0x7f800000, v4
                                        ; implicit-def: $vgpr4
	s_and_saveexec_b32 s2, vcc_lo
	s_xor_b32 s2, exec_lo, s2
; %bb.91:
	v_bfe_u32 v4, v68, 16, 1
	s_delay_alu instid0(VALU_DEP_1)
	v_add3_u32 v4, v68, v4, 0x7fff
; %bb.92:
	s_and_not1_saveexec_b32 s2, s2
; %bb.93:
	v_and_b32_e32 v4, 0xffff, v68
	v_or_b32_e32 v5, 0x10000, v68
	s_delay_alu instid0(VALU_DEP_2) | instskip(NEXT) | instid1(VALU_DEP_2)
	v_cmp_eq_u32_e32 vcc_lo, 0, v4
	v_cndmask_b32_e32 v4, v5, v68, vcc_lo
; %bb.94:
	s_or_b32 exec_lo, exec_lo, s2
	v_and_b32_e32 v5, 0x7f800000, v69
	s_delay_alu instid0(VALU_DEP_1) | instskip(SKIP_1) | instid1(SALU_CYCLE_1)
	v_cmp_ne_u32_e32 vcc_lo, 0x7f800000, v5
                                        ; implicit-def: $vgpr5
	s_and_saveexec_b32 s2, vcc_lo
	s_xor_b32 s2, exec_lo, s2
; %bb.95:
	v_bfe_u32 v5, v69, 16, 1
	s_delay_alu instid0(VALU_DEP_1)
	v_add3_u32 v5, v69, v5, 0x7fff
; %bb.96:
	s_and_not1_saveexec_b32 s2, s2
; %bb.97:
	v_and_b32_e32 v5, 0xffff, v69
	v_or_b32_e32 v6, 0x10000, v69
	s_delay_alu instid0(VALU_DEP_2) | instskip(NEXT) | instid1(VALU_DEP_2)
	v_cmp_eq_u32_e32 vcc_lo, 0, v5
	v_cndmask_b32_e32 v5, v6, v69, vcc_lo
; %bb.98:
	s_or_b32 exec_lo, exec_lo, s2
	v_and_b32_e32 v6, 0x7f800000, v70
	s_delay_alu instid0(VALU_DEP_1) | instskip(SKIP_1) | instid1(SALU_CYCLE_1)
	v_cmp_ne_u32_e32 vcc_lo, 0x7f800000, v6
                                        ; implicit-def: $vgpr6
	s_and_saveexec_b32 s2, vcc_lo
	s_xor_b32 s2, exec_lo, s2
; %bb.99:
	v_bfe_u32 v6, v70, 16, 1
	s_delay_alu instid0(VALU_DEP_1)
	v_add3_u32 v6, v70, v6, 0x7fff
; %bb.100:
	s_and_not1_saveexec_b32 s2, s2
; %bb.101:
	v_and_b32_e32 v6, 0xffff, v70
	v_or_b32_e32 v7, 0x10000, v70
	s_delay_alu instid0(VALU_DEP_2) | instskip(NEXT) | instid1(VALU_DEP_2)
	v_cmp_eq_u32_e32 vcc_lo, 0, v6
	v_cndmask_b32_e32 v6, v7, v70, vcc_lo
; %bb.102:
	s_or_b32 exec_lo, exec_lo, s2
	v_and_b32_e32 v7, 0x7f800000, v71
	s_delay_alu instid0(VALU_DEP_1) | instskip(SKIP_1) | instid1(SALU_CYCLE_1)
	v_cmp_ne_u32_e32 vcc_lo, 0x7f800000, v7
                                        ; implicit-def: $vgpr7
	s_and_saveexec_b32 s2, vcc_lo
	s_xor_b32 s2, exec_lo, s2
; %bb.103:
	v_bfe_u32 v7, v71, 16, 1
	s_delay_alu instid0(VALU_DEP_1)
	v_add3_u32 v7, v71, v7, 0x7fff
; %bb.104:
	s_and_not1_saveexec_b32 s2, s2
; %bb.105:
	v_and_b32_e32 v7, 0xffff, v71
	v_or_b32_e32 v8, 0x10000, v71
	s_delay_alu instid0(VALU_DEP_2) | instskip(NEXT) | instid1(VALU_DEP_2)
	v_cmp_eq_u32_e32 vcc_lo, 0, v7
	v_cndmask_b32_e32 v7, v8, v71, vcc_lo
; %bb.106:
	s_or_b32 exec_lo, exec_lo, s2
	v_and_b32_e32 v8, 0x7f800000, v72
	s_delay_alu instid0(VALU_DEP_1) | instskip(SKIP_1) | instid1(SALU_CYCLE_1)
	v_cmp_ne_u32_e32 vcc_lo, 0x7f800000, v8
                                        ; implicit-def: $vgpr8
	s_and_saveexec_b32 s2, vcc_lo
	s_xor_b32 s2, exec_lo, s2
; %bb.107:
	v_bfe_u32 v8, v72, 16, 1
	s_delay_alu instid0(VALU_DEP_1)
	v_add3_u32 v8, v72, v8, 0x7fff
                                        ; implicit-def: $vgpr65_vgpr66_vgpr67_vgpr68_vgpr69_vgpr70_vgpr71_vgpr72
; %bb.108:
	s_and_not1_saveexec_b32 s2, s2
; %bb.109:
	v_and_b32_e32 v8, 0xffff, v72
	v_or_b32_e32 v9, 0x10000, v72
	s_delay_alu instid0(VALU_DEP_2) | instskip(NEXT) | instid1(VALU_DEP_2)
	v_cmp_eq_u32_e32 vcc_lo, 0, v8
	v_cndmask_b32_e32 v8, v9, v72, vcc_lo
; %bb.110:
	s_or_b32 exec_lo, exec_lo, s2
	s_delay_alu instid0(VALU_DEP_1)
	v_perm_b32 v7, v8, v7, 0x7060302
	v_perm_b32 v6, v6, v5, 0x7060302
	v_perm_b32 v5, v4, v3, 0x7060302
	v_perm_b32 v4, v2, v1, 0x7060302
	s_barrier
	buffer_gl0_inv
	v_cmp_eq_u32_e32 vcc_lo, 1, v78
	ds_store_b128 v76, v[4:7]
	s_waitcnt lgkmcnt(0)
	s_barrier
	buffer_gl0_inv
	ds_load_b128 v[1:4], v82
	ds_load_b128 v[5:8], v82 offset:16
	v_cmp_eq_u32_e64 s2, 1, v79
	v_cmp_eq_u32_e64 s3, 2, v78
	;; [unrolled: 1-line block ×5, first 2 shown]
	s_waitcnt lgkmcnt(1)
	v_lshrrev_b32_e32 v9, 16, v1
	s_waitcnt lgkmcnt(0)
	v_lshrrev_b32_e32 v13, 16, v5
	v_lshrrev_b32_e32 v10, 16, v2
	;; [unrolled: 1-line block ×4, first 2 shown]
	v_cndmask_b32_e64 v19, v1, v9, s2
	v_cndmask_b32_e32 v18, v5, v13, vcc_lo
	v_cndmask_b32_e64 v20, v5, v13, s2
	v_cndmask_b32_e32 v17, v1, v9, vcc_lo
	v_cmp_eq_u32_e32 vcc_lo, 2, v79
	v_lshrrev_b32_e32 v15, 16, v7
	v_cmp_eq_u32_e64 s2, 1, v77
	v_lshrrev_b32_e32 v12, 16, v4
	v_lshrrev_b32_e32 v16, 16, v8
	v_cndmask_b32_e32 v20, v20, v6, vcc_lo
	v_cndmask_b32_e64 v17, v17, v2, s3
	v_cndmask_b32_e32 v19, v19, v2, vcc_lo
	v_cndmask_b32_e64 v18, v18, v6, s3
	v_cmp_eq_u32_e32 vcc_lo, 4, v78
	v_cmp_eq_u32_e64 s3, 3, v79
	v_cndmask_b32_e64 v17, v17, v10, s4
	v_cndmask_b32_e64 v21, v1, v9, s2
	;; [unrolled: 1-line block ×5, first 2 shown]
	v_cndmask_b32_e32 v17, v17, v3, vcc_lo
	v_cndmask_b32_e64 v20, v20, v14, s3
	v_cndmask_b32_e32 v18, v18, v7, vcc_lo
	v_cmp_eq_u32_e32 vcc_lo, 4, v79
	v_cmp_eq_u32_e64 s3, 5, v79
	v_cmp_eq_u32_e64 s2, 2, v81
	v_cndmask_b32_e64 v21, v21, v2, s6
	v_cmp_eq_u32_e64 s4, 5, v78
	v_cndmask_b32_e32 v19, v19, v3, vcc_lo
	v_cndmask_b32_e32 v20, v20, v7, vcc_lo
	v_cmp_eq_u32_e32 vcc_lo, 6, v79
	s_delay_alu instid0(VALU_DEP_4) | instskip(NEXT) | instid1(VALU_DEP_4)
	v_cndmask_b32_e64 v17, v17, v11, s4
	v_cndmask_b32_e64 v19, v19, v11, s3
	s_delay_alu instid0(VALU_DEP_4) | instskip(SKIP_1) | instid1(VALU_DEP_3)
	v_cndmask_b32_e64 v20, v20, v15, s3
	v_cmp_eq_u32_e64 s3, 1, v81
	v_cndmask_b32_e32 v19, v19, v4, vcc_lo
	v_cndmask_b32_e64 v18, v18, v15, s4
	s_delay_alu instid0(VALU_DEP_3)
	v_cndmask_b32_e64 v1, v1, v9, s3
	v_cndmask_b32_e64 v5, v5, v13, s3
	v_cmp_eq_u32_e64 s3, 3, v77
	v_cndmask_b32_e64 v13, v22, v6, s6
	v_cmp_eq_u32_e64 s6, 3, v81
	v_cndmask_b32_e64 v1, v1, v2, s2
	v_cndmask_b32_e64 v2, v5, v6, s2
	;; [unrolled: 1-line block ×3, first 2 shown]
	v_cmp_eq_u32_e64 s2, 4, v77
	v_cndmask_b32_e64 v6, v13, v14, s3
	v_cndmask_b32_e64 v1, v1, v10, s6
	v_cmp_eq_u32_e64 s3, 4, v81
	v_cndmask_b32_e64 v2, v2, v14, s6
	v_cndmask_b32_e64 v5, v9, v3, s2
	;; [unrolled: 3-line block ×3, first 2 shown]
	v_cndmask_b32_e64 v2, v2, v7, s3
	v_cmp_eq_u32_e64 s2, 5, v81
	v_cmp_eq_u32_e64 s4, 6, v78
	v_cndmask_b32_e64 v5, v5, v11, s6
	v_cmp_eq_u32_e64 s3, 6, v77
	v_cndmask_b32_e64 v3, v6, v15, s6
	v_cndmask_b32_e64 v1, v1, v11, s2
	v_cmp_eq_u32_e64 s6, 6, v81
	v_cndmask_b32_e64 v2, v2, v15, s2
	v_cndmask_b32_e64 v17, v17, v4, s4
	v_cndmask_b32_e64 v18, v18, v8, s4
	v_cmp_eq_u32_e64 s4, 7, v78
	v_cndmask_b32_e64 v5, v5, v4, s3
	;; [unrolled: 4-line block ×3, first 2 shown]
	v_cmp_eq_u32_e64 s3, 7, v77
	v_cndmask_b32_e32 v4, v20, v8, vcc_lo
	v_cndmask_b32_e64 v17, v17, v12, s4
	v_cndmask_b32_e64 v19, v19, v12, s5
	;; [unrolled: 1-line block ×8, first 2 shown]
	s_mov_b32 s2, exec_lo
	v_perm_b32 v4, v2, v1, 0x5040100
	v_perm_b32 v3, v3, v5, 0x5040100
	;; [unrolled: 1-line block ×4, first 2 shown]
	ds_store_b128 v76, v[1:4]
	s_waitcnt lgkmcnt(0)
	s_barrier
	buffer_gl0_inv
	v_cmpx_gt_u32_e32 32, v0
	s_cbranch_execz .LBB1829_2
; %bb.111:
	s_load_b64 s[0:1], s[0:1], 0x68
	s_lshl_b32 s4, s34, 7
	v_or_b32_e32 v2, s29, v74
	s_mul_i32 s2, s4, s30
	v_lshlrev_b32_e32 v1, 10, v0
	s_mul_i32 s2, s2, s7
	v_lshlrev_b32_e32 v3, 4, v75
	v_mul_lo_u32 v0, v2, s4
	s_ashr_i32 s3, s2, 31
	v_lshlrev_b32_e32 v4, 6, v74
	v_and_b32_e32 v1, 0x3800, v1
	v_or_b32_e32 v5, 2, v2
	s_lshl_b64 s[2:3], s[2:3], 1
	v_or_b32_e32 v6, 4, v2
	v_or_b32_e32 v7, 6, v2
	v_or3_b32 v12, v1, v3, v4
	v_ashrrev_i32_e32 v1, 31, v0
	v_mul_lo_u32 v2, v5, s4
	v_mul_lo_u32 v16, v6, s4
	;; [unrolled: 1-line block ×3, first 2 shown]
	s_waitcnt lgkmcnt(0)
	s_add_u32 s2, s0, s2
	s_addc_u32 s3, s1, s3
	s_lshl_b32 s0, s14, 7
	v_lshlrev_b64 v[0:1], 1, v[0:1]
	s_ashr_i32 s1, s0, 31
	v_ashrrev_i32_e32 v3, 31, v2
	s_lshl_b64 s[0:1], s[0:1], 1
	v_ashrrev_i32_e32 v17, 31, v16
	s_add_u32 s0, s2, s0
	s_addc_u32 s1, s3, s1
	v_add_co_u32 v24, s0, s0, v73
	s_delay_alu instid0(VALU_DEP_1) | instskip(SKIP_1) | instid1(VALU_DEP_3)
	v_add_co_ci_u32_e64 v25, null, s1, 0, s0
	v_lshlrev_b64 v[22:23], 1, v[2:3]
	v_add_co_u32 v18, vcc_lo, v24, v0
	s_delay_alu instid0(VALU_DEP_3)
	v_add_co_ci_u32_e32 v19, vcc_lo, v25, v1, vcc_lo
	ds_load_b128 v[0:3], v12
	ds_load_b128 v[4:7], v12 offset:128
	ds_load_b128 v[8:11], v12 offset:256
	;; [unrolled: 1-line block ×3, first 2 shown]
	v_ashrrev_i32_e32 v21, 31, v20
	v_lshlrev_b64 v[16:17], 1, v[16:17]
	v_add_co_u32 v22, vcc_lo, v24, v22
	v_add_co_ci_u32_e32 v23, vcc_lo, v25, v23, vcc_lo
	s_delay_alu instid0(VALU_DEP_4) | instskip(NEXT) | instid1(VALU_DEP_4)
	v_lshlrev_b64 v[20:21], 1, v[20:21]
	v_add_co_u32 v16, vcc_lo, v24, v16
	v_add_co_ci_u32_e32 v17, vcc_lo, v25, v17, vcc_lo
	s_delay_alu instid0(VALU_DEP_3) | instskip(NEXT) | instid1(VALU_DEP_4)
	v_add_co_u32 v20, vcc_lo, v24, v20
	v_add_co_ci_u32_e32 v21, vcc_lo, v25, v21, vcc_lo
	s_waitcnt lgkmcnt(3)
	global_store_b128 v[18:19], v[0:3], off
	s_waitcnt lgkmcnt(2)
	global_store_b128 v[22:23], v[4:7], off
	;; [unrolled: 2-line block ×4, first 2 shown]
	s_nop 0
	s_sendmsg sendmsg(MSG_DEALLOC_VGPRS)
	s_endpgm
	.section	.rodata,"a",@progbits
	.p2align	6, 0x0
	.amdhsa_kernel _Z39paged_attention_ll4mi_QKV_mfma16_kernelI14__hip_bfloat16hLN4vllm18Fp8KVCacheDataTypeE1ES0_Li16ELi128ELi256ELb1ELi8EL8MFMAType0EEvPKT_PKT0_S9_ifPKiSB_SB_iPKfiiiPfSE_PS4_PT2_iSD_SD_
		.amdhsa_group_segment_fixed_size 17472
		.amdhsa_private_segment_fixed_size 0
		.amdhsa_kernarg_size 400
		.amdhsa_user_sgpr_count 13
		.amdhsa_user_sgpr_dispatch_ptr 0
		.amdhsa_user_sgpr_queue_ptr 0
		.amdhsa_user_sgpr_kernarg_segment_ptr 1
		.amdhsa_user_sgpr_dispatch_id 0
		.amdhsa_user_sgpr_private_segment_size 0
		.amdhsa_wavefront_size32 1
		.amdhsa_uses_dynamic_stack 0
		.amdhsa_enable_private_segment 0
		.amdhsa_system_sgpr_workgroup_id_x 1
		.amdhsa_system_sgpr_workgroup_id_y 1
		.amdhsa_system_sgpr_workgroup_id_z 1
		.amdhsa_system_sgpr_workgroup_info 0
		.amdhsa_system_vgpr_workitem_id 0
		.amdhsa_next_free_vgpr 140
		.amdhsa_next_free_sgpr 36
		.amdhsa_reserve_vcc 1
		.amdhsa_float_round_mode_32 0
		.amdhsa_float_round_mode_16_64 0
		.amdhsa_float_denorm_mode_32 3
		.amdhsa_float_denorm_mode_16_64 3
		.amdhsa_dx10_clamp 1
		.amdhsa_ieee_mode 1
		.amdhsa_fp16_overflow 0
		.amdhsa_workgroup_processor_mode 1
		.amdhsa_memory_ordered 1
		.amdhsa_forward_progress 0
		.amdhsa_shared_vgpr_count 0
		.amdhsa_exception_fp_ieee_invalid_op 0
		.amdhsa_exception_fp_denorm_src 0
		.amdhsa_exception_fp_ieee_div_zero 0
		.amdhsa_exception_fp_ieee_overflow 0
		.amdhsa_exception_fp_ieee_underflow 0
		.amdhsa_exception_fp_ieee_inexact 0
		.amdhsa_exception_int_div_zero 0
	.end_amdhsa_kernel
	.section	.text._Z39paged_attention_ll4mi_QKV_mfma16_kernelI14__hip_bfloat16hLN4vllm18Fp8KVCacheDataTypeE1ES0_Li16ELi128ELi256ELb1ELi8EL8MFMAType0EEvPKT_PKT0_S9_ifPKiSB_SB_iPKfiiiPfSE_PS4_PT2_iSD_SD_,"axG",@progbits,_Z39paged_attention_ll4mi_QKV_mfma16_kernelI14__hip_bfloat16hLN4vllm18Fp8KVCacheDataTypeE1ES0_Li16ELi128ELi256ELb1ELi8EL8MFMAType0EEvPKT_PKT0_S9_ifPKiSB_SB_iPKfiiiPfSE_PS4_PT2_iSD_SD_,comdat
.Lfunc_end1829:
	.size	_Z39paged_attention_ll4mi_QKV_mfma16_kernelI14__hip_bfloat16hLN4vllm18Fp8KVCacheDataTypeE1ES0_Li16ELi128ELi256ELb1ELi8EL8MFMAType0EEvPKT_PKT0_S9_ifPKiSB_SB_iPKfiiiPfSE_PS4_PT2_iSD_SD_, .Lfunc_end1829-_Z39paged_attention_ll4mi_QKV_mfma16_kernelI14__hip_bfloat16hLN4vllm18Fp8KVCacheDataTypeE1ES0_Li16ELi128ELi256ELb1ELi8EL8MFMAType0EEvPKT_PKT0_S9_ifPKiSB_SB_iPKfiiiPfSE_PS4_PT2_iSD_SD_
                                        ; -- End function
	.section	.AMDGPU.csdata,"",@progbits
; Kernel info:
; codeLenInByte = 8852
; NumSgprs: 38
; NumVgprs: 140
; ScratchSize: 0
; MemoryBound: 0
; FloatMode: 240
; IeeeMode: 1
; LDSByteSize: 17472 bytes/workgroup (compile time only)
; SGPRBlocks: 4
; VGPRBlocks: 17
; NumSGPRsForWavesPerEU: 38
; NumVGPRsForWavesPerEU: 140
; Occupancy: 10
; WaveLimiterHint : 1
; COMPUTE_PGM_RSRC2:SCRATCH_EN: 0
; COMPUTE_PGM_RSRC2:USER_SGPR: 13
; COMPUTE_PGM_RSRC2:TRAP_HANDLER: 0
; COMPUTE_PGM_RSRC2:TGID_X_EN: 1
; COMPUTE_PGM_RSRC2:TGID_Y_EN: 1
; COMPUTE_PGM_RSRC2:TGID_Z_EN: 1
; COMPUTE_PGM_RSRC2:TIDIG_COMP_CNT: 0
	.section	.text._Z39paged_attention_ll4mi_QKV_mfma16_kernelI14__hip_bfloat16hLN4vllm18Fp8KVCacheDataTypeE1ES0_Li16ELi128ELi256ELb1ELi9EL8MFMAType0EEvPKT_PKT0_S9_ifPKiSB_SB_iPKfiiiPfSE_PS4_PT2_iSD_SD_,"axG",@progbits,_Z39paged_attention_ll4mi_QKV_mfma16_kernelI14__hip_bfloat16hLN4vllm18Fp8KVCacheDataTypeE1ES0_Li16ELi128ELi256ELb1ELi9EL8MFMAType0EEvPKT_PKT0_S9_ifPKiSB_SB_iPKfiiiPfSE_PS4_PT2_iSD_SD_,comdat
	.protected	_Z39paged_attention_ll4mi_QKV_mfma16_kernelI14__hip_bfloat16hLN4vllm18Fp8KVCacheDataTypeE1ES0_Li16ELi128ELi256ELb1ELi9EL8MFMAType0EEvPKT_PKT0_S9_ifPKiSB_SB_iPKfiiiPfSE_PS4_PT2_iSD_SD_ ; -- Begin function _Z39paged_attention_ll4mi_QKV_mfma16_kernelI14__hip_bfloat16hLN4vllm18Fp8KVCacheDataTypeE1ES0_Li16ELi128ELi256ELb1ELi9EL8MFMAType0EEvPKT_PKT0_S9_ifPKiSB_SB_iPKfiiiPfSE_PS4_PT2_iSD_SD_
	.globl	_Z39paged_attention_ll4mi_QKV_mfma16_kernelI14__hip_bfloat16hLN4vllm18Fp8KVCacheDataTypeE1ES0_Li16ELi128ELi256ELb1ELi9EL8MFMAType0EEvPKT_PKT0_S9_ifPKiSB_SB_iPKfiiiPfSE_PS4_PT2_iSD_SD_
	.p2align	8
	.type	_Z39paged_attention_ll4mi_QKV_mfma16_kernelI14__hip_bfloat16hLN4vllm18Fp8KVCacheDataTypeE1ES0_Li16ELi128ELi256ELb1ELi9EL8MFMAType0EEvPKT_PKT0_S9_ifPKiSB_SB_iPKfiiiPfSE_PS4_PT2_iSD_SD_,@function
_Z39paged_attention_ll4mi_QKV_mfma16_kernelI14__hip_bfloat16hLN4vllm18Fp8KVCacheDataTypeE1ES0_Li16ELi128ELi256ELb1ELi9EL8MFMAType0EEvPKT_PKT0_S9_ifPKiSB_SB_iPKfiiiPfSE_PS4_PT2_iSD_SD_: ; @_Z39paged_attention_ll4mi_QKV_mfma16_kernelI14__hip_bfloat16hLN4vllm18Fp8KVCacheDataTypeE1ES0_Li16ELi128ELi256ELb1ELi9EL8MFMAType0EEvPKT_PKT0_S9_ifPKiSB_SB_iPKfiiiPfSE_PS4_PT2_iSD_SD_
; %bb.0:
	s_load_b64 s[4:5], s[0:1], 0x30
	s_mov_b32 s30, s13
	s_waitcnt lgkmcnt(0)
	s_cmp_lg_u64 s[4:5], 0
	s_cselect_b32 s13, -1, 0
	s_ashr_i32 s31, s30, 31
	s_cmp_eq_u64 s[4:5], 0
	s_cbranch_scc1 .LBB1830_3
; %bb.1:
	s_lshl_b64 s[2:3], s[30:31], 2
	s_delay_alu instid0(SALU_CYCLE_1) | instskip(SKIP_4) | instid1(SALU_CYCLE_1)
	s_add_u32 s2, s4, s2
	s_addc_u32 s3, s5, s3
	s_load_b64 s[2:3], s[2:3], 0x0
	s_waitcnt lgkmcnt(0)
	s_sub_i32 s2, s3, s2
	s_cmp_eq_u32 s2, 1
	s_cselect_b32 s2, -1, 0
	s_delay_alu instid0(SALU_CYCLE_1)
	s_and_not1_b32 vcc_lo, exec_lo, s2
	s_cbranch_vccz .LBB1830_4
.LBB1830_2:
	s_nop 0
	s_sendmsg sendmsg(MSG_DEALLOC_VGPRS)
	s_endpgm
.LBB1830_3:
.LBB1830_4:
	s_load_b64 s[2:3], s[0:1], 0x28
	s_lshl_b64 s[6:7], s[30:31], 2
	s_waitcnt lgkmcnt(0)
	s_add_u32 s2, s2, s6
	s_addc_u32 s3, s3, s7
	s_lshl_b32 s12, s14, 8
	s_load_b32 s17, s[2:3], 0x0
	s_waitcnt lgkmcnt(0)
	s_cmp_ge_i32 s12, s17
	s_cbranch_scc1 .LBB1830_2
; %bb.5:
	s_clause 0x1
	s_load_b128 s[8:11], s[0:1], 0x8
	s_load_b64 s[2:3], s[0:1], 0x20
	s_and_not1_b32 vcc_lo, exec_lo, s13
	s_cbranch_vccnz .LBB1830_7
; %bb.6:
	s_add_u32 s4, s4, s6
	s_addc_u32 s5, s5, s7
	s_load_b32 s13, s[4:5], 0x0
	s_branch .LBB1830_8
.LBB1830_7:
	s_mov_b32 s13, s30
.LBB1830_8:
	s_load_b128 s[4:7], s[0:1], 0x48
	v_and_b32_e32 v65, 15, v0
	v_lshrrev_b32_e32 v66, 5, v0
	v_bfe_u32 v74, v0, 4, 1
	v_and_b32_e32 v67, 31, v0
	v_and_b32_e32 v75, 1, v0
	v_lshlrev_b32_e32 v2, 3, v65
	s_mul_i32 s31, s15, 9
	v_lshl_or_b32 v1, v66, 1, v74
	s_waitcnt lgkmcnt(0)
	s_mov_b32 s7, exec_lo
	v_lshlrev_b32_e32 v73, 1, v2
	s_delay_alu instid0(VALU_DEP_2)
	v_cmpx_gt_u32_e32 9, v1
	s_cbranch_execz .LBB1830_10
; %bb.9:
	s_load_b64 s[18:19], s[0:1], 0x0
	v_add_lshl_u32 v2, v1, s31, 7
	s_mul_hi_i32 s21, s13, s4
	s_mul_i32 s20, s13, s4
	v_lshlrev_b32_e32 v6, 10, v65
	s_lshl_b64 s[20:21], s[20:21], 1
	v_ashrrev_i32_e32 v3, 31, v2
	v_lshlrev_b32_e32 v1, 6, v1
	v_lshlrev_b32_e32 v7, 10, v75
	v_and_b32_e32 v6, 0x3800, v6
	s_delay_alu instid0(VALU_DEP_4) | instskip(NEXT) | instid1(VALU_DEP_2)
	v_lshlrev_b64 v[2:3], 1, v[2:3]
	v_or3_b32 v1, v6, v7, v1
	s_waitcnt lgkmcnt(0)
	s_add_u32 s4, s18, s20
	s_addc_u32 s13, s19, s21
	s_delay_alu instid0(VALU_DEP_2) | instskip(SKIP_1) | instid1(VALU_DEP_2)
	v_add_co_u32 v2, vcc_lo, s4, v2
	v_add_co_ci_u32_e32 v3, vcc_lo, s13, v3, vcc_lo
	v_add_co_u32 v2, vcc_lo, v2, v73
	s_delay_alu instid0(VALU_DEP_2)
	v_add_co_ci_u32_e32 v3, vcc_lo, 0, v3, vcc_lo
	global_load_b128 v[2:5], v[2:3], off
	s_waitcnt vmcnt(0)
	ds_store_b128 v1, v[2:5]
.LBB1830_10:
	s_or_b32 exec_lo, exec_lo, s7
	v_and_b32_e32 v1, 0xef, v0
	s_add_i32 s4, s17, 15
	s_clause 0x1
	s_load_b32 s7, s[0:1], 0x38
	s_load_b32 s18, s[0:1], 0x1c
	s_ashr_i32 s13, s4, 31
	v_add_nc_u32_e32 v1, s12, v1
	s_lshr_b32 s13, s13, 28
	s_waitcnt lgkmcnt(0)
	s_add_i32 s4, s4, s13
	s_barrier
	v_ashrrev_i32_e32 v2, 31, v1
	v_or_b32_e32 v3, 16, v1
	s_ashr_i32 s4, s4, 4
	v_cmp_gt_i32_e32 vcc_lo, s17, v1
	s_add_i32 s4, s4, -1
	v_lshrrev_b32_e32 v2, 28, v2
	buffer_gl0_inv
	s_mul_i32 s15, s15, s6
	v_add_nc_u32_e32 v4, v1, v2
	s_mul_i32 s20, s30, s7
	s_delay_alu instid0(SALU_CYCLE_1) | instskip(NEXT) | instid1(VALU_DEP_1)
	s_ashr_i32 s21, s20, 31
	v_ashrrev_i32_e32 v4, 4, v4
	v_add_nc_u32_e32 v2, v3, v2
	s_lshl_b64 s[20:21], s[20:21], 2
	s_delay_alu instid0(SALU_CYCLE_1) | instskip(NEXT) | instid1(VALU_DEP_2)
	s_add_u32 s13, s2, s20
	v_cndmask_b32_e32 v1, s4, v4, vcc_lo
	s_delay_alu instid0(VALU_DEP_2)
	v_ashrrev_i32_e32 v2, 4, v2
	v_cmp_gt_i32_e32 vcc_lo, s17, v3
	s_addc_u32 s16, s3, s21
	s_ashr_i32 s19, s15, 31
	s_add_u32 s26, s8, s15
	s_addc_u32 s27, s9, s19
	v_cndmask_b32_e32 v3, s4, v2, vcc_lo
	v_ashrrev_i32_e32 v2, 31, v1
	s_lshl_b32 s2, s14, 4
	s_delay_alu instid0(SALU_CYCLE_1) | instskip(NEXT) | instid1(VALU_DEP_2)
	s_ashr_i32 s3, s2, 31
	v_ashrrev_i32_e32 v4, 31, v3
	s_delay_alu instid0(VALU_DEP_2) | instskip(SKIP_1) | instid1(SALU_CYCLE_1)
	v_lshlrev_b64 v[1:2], 2, v[1:2]
	s_lshl_b64 s[2:3], s[2:3], 2
	s_add_u32 s2, s13, s2
	s_delay_alu instid0(VALU_DEP_2) | instskip(SKIP_1) | instid1(VALU_DEP_2)
	v_lshlrev_b64 v[3:4], 2, v[3:4]
	s_addc_u32 s3, s16, s3
	v_add_co_u32 v1, vcc_lo, s13, v1
	v_add_co_ci_u32_e32 v2, vcc_lo, s16, v2, vcc_lo
	s_delay_alu instid0(VALU_DEP_3) | instskip(NEXT) | instid1(VALU_DEP_4)
	v_add_co_u32 v3, vcc_lo, s13, v3
	v_add_co_ci_u32_e32 v4, vcc_lo, s16, v4, vcc_lo
	s_clause 0x1
	global_load_b32 v5, v[1:2], off
	global_load_b32 v3, v[3:4], off
	s_or_b32 s6, s12, 32
	v_cmp_gt_u32_e32 vcc_lo, 9, v65
	s_ashr_i32 s7, s6, 4
	s_cmp_lt_i32 s6, s17
	s_cselect_b32 s6, s7, s4
	s_delay_alu instid0(SALU_CYCLE_1) | instskip(NEXT) | instid1(SALU_CYCLE_1)
	s_ashr_i32 s7, s6, 31
	s_lshl_b64 s[6:7], s[6:7], 2
	s_delay_alu instid0(SALU_CYCLE_1) | instskip(SKIP_2) | instid1(SALU_CYCLE_1)
	s_add_u32 s6, s13, s6
	s_addc_u32 s7, s16, s7
	s_or_b32 s8, s12, 64
	s_ashr_i32 s9, s8, 4
	s_cmp_lt_i32 s8, s17
	s_cselect_b32 s8, s9, s4
	s_delay_alu instid0(SALU_CYCLE_1) | instskip(NEXT) | instid1(SALU_CYCLE_1)
	s_ashr_i32 s9, s8, 31
	s_lshl_b64 s[8:9], s[8:9], 2
	s_delay_alu instid0(SALU_CYCLE_1) | instskip(SKIP_2) | instid1(SALU_CYCLE_1)
	s_add_u32 s8, s13, s8
	s_addc_u32 s9, s16, s9
	s_or_b32 s20, s12, 0x60
	;; [unrolled: 10-line block ×4, first 2 shown]
	s_ashr_i32 s25, s24, 4
	s_cmp_lt_i32 s24, s17
	s_cselect_b32 s24, s25, s4
	s_delay_alu instid0(SALU_CYCLE_1) | instskip(NEXT) | instid1(SALU_CYCLE_1)
	s_ashr_i32 s25, s24, 31
	s_lshl_b64 s[24:25], s[24:25], 2
	s_delay_alu instid0(SALU_CYCLE_1)
	s_add_u32 s24, s13, s24
	s_addc_u32 s25, s16, s25
	s_clause 0x5
	s_load_b32 s28, s[2:3], 0x0
	s_load_b32 s29, s[6:7], 0x0
	;; [unrolled: 1-line block ×6, first 2 shown]
	s_mov_b32 s20, 0
	s_or_b32 s2, s12, 0xc0
	s_mov_b32 s21, s20
	s_mov_b32 s22, s20
	;; [unrolled: 1-line block ×5, first 2 shown]
	v_lshlrev_b32_e32 v1, 4, v0
	s_ashr_i32 s3, s2, 4
	s_cmp_lt_i32 s2, s17
	s_cselect_b32 s2, s3, s4
	s_delay_alu instid0(VALU_DEP_1) | instskip(SKIP_1) | instid1(SALU_CYCLE_1)
	v_and_b32_e32 v1, 0xf0, v1
	s_ashr_i32 s3, s2, 31
	s_lshl_b64 s[2:3], s[2:3], 2
	s_delay_alu instid0(VALU_DEP_1) | instskip(NEXT) | instid1(VALU_DEP_1)
	v_add_co_u32 v1, s26, s26, v1
	v_add_co_ci_u32_e64 v2, null, s27, 0, s26
	s_add_u32 s2, s13, s2
	s_addc_u32 s3, s16, s3
	s_or_b32 s6, s12, 0xe0
	s_mov_b32 s27, s20
	s_ashr_i32 s7, s6, 4
	s_cmp_lt_i32 s6, s17
	s_mov_b32 s26, s20
	v_dual_mov_b32 v107, s27 :: v_dual_mov_b32 v100, s20
	s_cselect_b32 s6, s7, s4
	v_mov_b32_e32 v106, s26
	s_ashr_i32 s7, s6, 31
	v_mov_b32_e32 v104, s24
	s_lshl_b64 s[6:7], s[6:7], 2
	v_dual_mov_b32 v103, s23 :: v_dual_mov_b32 v102, s22
	v_mov_b32_e32 v101, s21
	s_waitcnt vmcnt(1)
	v_mad_i64_i32 v[33:34], null, v5, s5, v[1:2]
	s_waitcnt vmcnt(0)
	v_mad_i64_i32 v[35:36], null, v3, s5, v[1:2]
	s_clause 0xf
	global_load_b128 v[1:4], v[33:34], off
	global_load_b128 v[5:8], v[33:34], off offset:256
	global_load_b128 v[9:12], v[35:36], off
	global_load_b128 v[13:16], v[35:36], off offset:256
	global_load_b128 v[17:20], v[33:34], off offset:512
	;; [unrolled: 1-line block ×13, first 2 shown]
	v_add_nc_u32_e32 v33, -9, v65
	v_lshlrev_b32_e32 v34, 4, v65
	s_delay_alu instid0(VALU_DEP_2) | instskip(SKIP_1) | instid1(VALU_DEP_3)
	v_cndmask_b32_e32 v33, v33, v65, vcc_lo
	v_mov_b32_e32 v105, s25
	v_lshl_or_b32 v41, v66, 8, v34
	s_delay_alu instid0(VALU_DEP_3)
	v_lshlrev_b32_e32 v72, 6, v33
	ds_load_b128 v[33:36], v72
	ds_load_b128 v[37:40], v72 offset:1024
	ds_load_b128 v[108:111], v72 offset:2048
	ds_load_b128 v[112:115], v72 offset:3072
	s_load_b32 s4, s[2:3], 0x0
	s_add_u32 s2, s13, s6
	s_addc_u32 s3, s16, s7
	ds_load_b128 v[116:119], v72 offset:4096
	ds_load_b128 v[120:123], v72 offset:5120
	s_load_b32 s2, s[2:3], 0x0
	s_add_u32 s6, s10, s15
	s_addc_u32 s7, s11, s19
	v_add_co_u32 v68, s6, s6, v41
	s_delay_alu instid0(VALU_DEP_1) | instskip(SKIP_1) | instid1(VALU_DEP_1)
	v_add_co_ci_u32_e64 v69, null, s7, 0, s6
	s_waitcnt lgkmcnt(0)
	v_mad_i64_i32 v[41:42], null, s28, s5, v[68:69]
	v_mad_i64_i32 v[70:71], null, s8, s5, v[68:69]
	;; [unrolled: 1-line block ×7, first 2 shown]
	s_clause 0x3
	global_load_b128 v[49:52], v[41:42], off
	global_load_b128 v[53:56], v[41:42], off offset:16
	global_load_b128 v[41:44], v[45:46], off
	global_load_b128 v[45:48], v[45:46], off offset:16
	s_waitcnt vmcnt(18)
	v_wmma_f32_16x16x16_bf16 v[124:131], v[1:8], v[33:40], v[100:107]
	s_waitcnt vmcnt(16)
	v_wmma_f32_16x16x16_bf16 v[100:107], v[9:16], v[33:40], v[100:107]
	s_clause 0x1
	global_load_b128 v[33:36], v[70:71], off
	global_load_b128 v[37:40], v[70:71], off offset:16
	v_mad_i64_i32 v[70:71], null, s2, s5, v[68:69]
	s_waitcnt vmcnt(16)
	v_wmma_f32_16x16x16_bf16 v[124:131], v[17:24], v[108:115], v[124:131]
	s_waitcnt vmcnt(14)
	v_wmma_f32_16x16x16_bf16 v[100:107], v[25:32], v[108:115], v[100:107]
	s_clause 0x7
	global_load_b128 v[25:28], v[132:133], off
	global_load_b128 v[29:32], v[132:133], off offset:16
	global_load_b128 v[1:4], v[134:135], off
	global_load_b128 v[5:8], v[134:135], off offset:16
	;; [unrolled: 2-line block ×4, first 2 shown]
	s_waitcnt vmcnt(20)
	v_wmma_f32_16x16x16_bf16 v[124:131], v[57:64], v[116:123], v[124:131]
	s_clause 0x1
	global_load_b128 v[57:60], v[70:71], off
	global_load_b128 v[61:64], v[70:71], off offset:16
	s_waitcnt vmcnt(20)
	v_wmma_f32_16x16x16_bf16 v[100:107], v[76:83], v[116:123], v[100:107]
	ds_load_b128 v[76:79], v72 offset:6144
	ds_load_b128 v[80:83], v72 offset:7168
	v_and_b32_e32 v68, 0xe0, v0
	v_mbcnt_lo_u32_b32 v69, -1, 0
	s_waitcnt vmcnt(0) lgkmcnt(0)
	s_barrier
	buffer_gl0_inv
	v_add_nc_u32_e32 v68, s12, v68
	v_xor_b32_e32 v70, 16, v69
	s_delay_alu instid0(VALU_DEP_2) | instskip(NEXT) | instid1(VALU_DEP_2)
	v_or_b32_e32 v68, v68, v74
	v_cmp_gt_i32_e32 vcc_lo, 32, v70
	s_delay_alu instid0(VALU_DEP_2)
	v_or_b32_e32 v71, 4, v68
	v_or_b32_e32 v72, 6, v68
	v_cmp_gt_i32_e64 s2, s17, v68
	v_or_b32_e32 v108, 8, v68
	v_wmma_f32_16x16x16_bf16 v[124:131], v[84:91], v[76:83], v[124:131]
	v_cndmask_b32_e32 v69, v69, v70, vcc_lo
	v_or_b32_e32 v70, 2, v68
	v_wmma_f32_16x16x16_bf16 v[100:107], v[92:99], v[76:83], v[100:107]
	v_or_b32_e32 v109, 10, v68
	v_dual_mul_f32 v82, s18, v127 :: v_dual_mul_f32 v79, s18, v130
	v_dual_mul_f32 v92, s18, v125 :: v_dual_mul_f32 v93, s18, v124
	s_delay_alu instid0(VALU_DEP_4)
	v_mul_f32_e32 v98, s18, v103
	v_cmp_gt_i32_e32 vcc_lo, s17, v70
	v_or_b32_e32 v89, 22, v68
	v_dual_mul_f32 v83, s18, v126 :: v_dual_mul_f32 v96, s18, v105
	v_cndmask_b32_e64 v93, 0xff7fffff, v93, s2
	v_cndmask_b32_e32 v92, 0xff7fffff, v92, vcc_lo
	v_cmp_gt_i32_e64 s3, s17, v71
	v_cmp_gt_i32_e64 s4, s17, v72
	v_or_b32_e32 v84, 12, v68
	v_or_b32_e32 v85, 14, v68
	v_dual_mul_f32 v80, s18, v129 :: v_dual_mul_f32 v81, s18, v128
	v_mul_f32_e32 v94, s18, v107
	v_cndmask_b32_e64 v71, 0xff7fffff, v83, s3
	v_cndmask_b32_e64 v72, 0xff7fffff, v82, s4
	v_cmp_gt_i32_e64 s5, s17, v108
	v_cmp_gt_i32_e64 s6, s17, v109
	;; [unrolled: 1-line block ×3, first 2 shown]
	v_lshlrev_b32_e32 v89, 2, v69
	v_max3_f32 v82, v93, 0xff7fffff, v92
	v_or_b32_e32 v86, 16, v68
	v_or_b32_e32 v87, 18, v68
	v_mul_f32_e32 v78, s18, v131
	v_cndmask_b32_e64 v81, 0xff7fffff, v81, s5
	v_cndmask_b32_e64 v80, 0xff7fffff, v80, s6
	v_max3_f32 v71, v82, v71, v72
	v_cmp_gt_i32_e64 s7, s17, v84
	v_cmp_gt_i32_e64 s8, s17, v85
	v_or_b32_e32 v88, 20, v68
	v_or_b32_e32 v90, 24, v68
	;; [unrolled: 1-line block ×5, first 2 shown]
	v_dual_mul_f32 v95, s18, v106 :: v_dual_mul_f32 v70, s18, v101
	v_dual_mul_f32 v99, s18, v102 :: v_dual_mul_f32 v68, s18, v100
	v_cndmask_b32_e64 v72, 0xff7fffff, v79, s7
	v_cndmask_b32_e64 v78, 0xff7fffff, v78, s8
	v_max3_f32 v71, v71, v81, v80
	v_cmp_gt_i32_e64 s9, s17, v86
	v_cmp_gt_i32_e64 s10, s17, v87
	;; [unrolled: 1-line block ×3, first 2 shown]
	v_mul_f32_e32 v97, s18, v104
	v_max3_f32 v71, v71, v72, v78
	v_cndmask_b32_e64 v68, 0xff7fffff, v68, s9
	v_cndmask_b32_e64 v70, 0xff7fffff, v70, s10
	;; [unrolled: 1-line block ×4, first 2 shown]
	v_cmp_gt_i32_e64 s13, s17, v90
	v_cmp_gt_i32_e64 s15, s17, v91
	v_max3_f32 v68, v71, v68, v70
	v_cmp_gt_i32_e64 s16, s17, v76
	v_cmp_gt_i32_e64 s17, s17, v77
	v_cndmask_b32_e64 v70, 0xff7fffff, v97, s13
	v_cndmask_b32_e64 v71, 0xff7fffff, v96, s15
	v_max3_f32 v68, v68, v72, v78
	v_cndmask_b32_e64 v72, 0xff7fffff, v95, s16
	v_cndmask_b32_e64 v76, 0xff7fffff, v94, s17
	s_delay_alu instid0(VALU_DEP_3) | instskip(NEXT) | instid1(VALU_DEP_1)
	v_max3_f32 v68, v68, v70, v71
	v_max3_f32 v68, v68, v72, v76
	ds_bpermute_b32 v69, v89, v68
	s_waitcnt lgkmcnt(0)
	v_max_f32_e32 v69, v69, v69
	s_delay_alu instid0(VALU_DEP_1) | instskip(NEXT) | instid1(VALU_DEP_1)
	v_max_f32_e32 v68, v68, v69
	v_fma_f32 v69, s18, v124, -v68
	v_fma_f32 v70, s18, v125, -v68
	;; [unrolled: 1-line block ×5, first 2 shown]
	s_delay_alu instid0(VALU_DEP_4) | instskip(NEXT) | instid1(VALU_DEP_4)
	v_dual_mul_f32 v69, 0x3fb8aa3b, v69 :: v_dual_mul_f32 v70, 0x3fb8aa3b, v70
	v_mul_f32_e32 v72, 0x3fb8aa3b, v72
	v_fma_f32 v78, s18, v130, -v68
	s_delay_alu instid0(VALU_DEP_4) | instskip(NEXT) | instid1(VALU_DEP_4)
	v_mul_f32_e32 v77, 0x3fb8aa3b, v76
	v_exp_f32_e32 v69, v69
	v_exp_f32_e32 v70, v70
	v_mul_f32_e32 v71, 0x3fb8aa3b, v71
	v_exp_f32_e32 v72, v72
	v_mul_f32_e32 v78, 0x3fb8aa3b, v78
	v_exp_f32_e32 v77, v77
	v_fma_f32 v81, s18, v105, -v68
	s_delay_alu instid0(VALU_DEP_2)
	v_exp_f32_e32 v78, v78
	v_cndmask_b32_e64 v80, 0, v69, s2
	v_cndmask_b32_e32 v76, 0, v70, vcc_lo
	v_exp_f32_e32 v71, v71
	v_fma_f32 v69, s18, v129, -v68
	v_cndmask_b32_e64 v85, 0, v72, s4
	v_add_f32_e32 v70, 0, v80
	s_delay_alu instid0(TRANS32_DEP_3)
	v_cndmask_b32_e64 v86, 0, v77, s5
	v_fma_f32 v77, s18, v101, -v68
	v_mul_f32_e32 v69, 0x3fb8aa3b, v69
	v_fma_f32 v72, s18, v100, -v68
	v_cndmask_b32_e64 v84, 0, v78, s7
	v_fma_f32 v78, s18, v103, -v68
	v_cndmask_b32_e64 v83, 0, v71, s3
	v_fma_f32 v71, s18, v131, -v68
	v_add_f32_e32 v70, v70, v76
	v_exp_f32_e32 v69, v69
	v_mul_f32_e32 v77, 0x3fb8aa3b, v77
	v_mul_f32_e32 v81, 0x3fb8aa3b, v81
	;; [unrolled: 1-line block ×3, first 2 shown]
	v_add_f32_e32 v70, v70, v83
	v_cmp_gt_u32_e64 s2, 16, v67
	v_exp_f32_e32 v77, v77
	v_exp_f32_e32 v81, v81
	;; [unrolled: 1-line block ×3, first 2 shown]
	v_cndmask_b32_e64 v87, 0, v69, s6
	v_add_f32_e32 v70, v70, v85
	s_delay_alu instid0(VALU_DEP_1) | instskip(SKIP_1) | instid1(VALU_DEP_2)
	v_dual_mul_f32 v72, 0x3fb8aa3b, v72 :: v_dual_add_f32 v69, v70, v86
	v_fma_f32 v70, s18, v102, -v68
	v_exp_f32_e32 v72, v72
	s_waitcnt_depctr 0xfff
	v_cndmask_b32_e64 v88, 0, v71, s8
	v_fma_f32 v71, s18, v104, -v68
	v_dual_add_f32 v69, v69, v87 :: v_dual_mul_f32 v70, 0x3fb8aa3b, v70
	s_delay_alu instid0(VALU_DEP_2) | instskip(NEXT) | instid1(VALU_DEP_2)
	v_dual_mul_f32 v78, 0x3fb8aa3b, v78 :: v_dual_mul_f32 v71, 0x3fb8aa3b, v71
	v_add_f32_e32 v69, v69, v84
	s_delay_alu instid0(VALU_DEP_3) | instskip(SKIP_1) | instid1(VALU_DEP_3)
	v_exp_f32_e32 v79, v70
	v_cndmask_b32_e64 v70, 0, v72, s9
	v_exp_f32_e32 v78, v78
	v_exp_f32_e32 v82, v71
	v_add_f32_e32 v72, v69, v88
	v_cndmask_b32_e64 v69, 0, v77, s10
	v_fma_f32 v77, s18, v106, -v68
	s_delay_alu instid0(VALU_DEP_3) | instskip(NEXT) | instid1(TRANS32_DEP_3)
	v_add_f32_e32 v72, v72, v70
	v_cndmask_b32_e64 v71, 0, v79, s11
	s_delay_alu instid0(VALU_DEP_3) | instskip(NEXT) | instid1(VALU_DEP_3)
	v_mul_f32_e32 v77, 0x3fb8aa3b, v77
	v_add_f32_e32 v79, v72, v69
	s_delay_alu instid0(TRANS32_DEP_2) | instskip(NEXT) | instid1(VALU_DEP_3)
	v_cndmask_b32_e64 v72, 0, v78, s12
	v_exp_f32_e32 v90, v77
	v_cndmask_b32_e64 v77, 0, v82, s13
	s_delay_alu instid0(VALU_DEP_3) | instskip(SKIP_1) | instid1(VALU_DEP_1)
	v_add_f32_e32 v78, v79, v71
	v_fma_f32 v79, s18, v107, -v68
	v_dual_add_f32 v82, v78, v72 :: v_dual_mul_f32 v79, 0x3fb8aa3b, v79
	v_cndmask_b32_e64 v78, 0, v81, s15
	s_delay_alu instid0(VALU_DEP_2) | instskip(NEXT) | instid1(VALU_DEP_3)
	v_add_f32_e32 v81, v82, v77
	v_exp_f32_e32 v82, v79
	s_delay_alu instid0(TRANS32_DEP_2) | instskip(NEXT) | instid1(VALU_DEP_2)
	v_cndmask_b32_e64 v79, 0, v90, s16
	v_add_f32_e32 v81, v81, v78
	s_delay_alu instid0(VALU_DEP_1) | instskip(SKIP_2) | instid1(VALU_DEP_1)
	v_add_f32_e32 v90, v81, v79
	s_waitcnt_depctr 0xfff
	v_cndmask_b32_e64 v81, 0, v82, s17
	v_add_f32_e32 v82, v90, v81
	ds_bpermute_b32 v89, v89, v82
	s_and_saveexec_b32 s3, s2
	s_cbranch_execz .LBB1830_12
; %bb.11:
	v_mul_u32_u24_e32 v67, 0x44, v66
	s_delay_alu instid0(VALU_DEP_1) | instskip(SKIP_1) | instid1(VALU_DEP_1)
	v_lshl_add_u32 v67, v65, 2, v67
	s_waitcnt lgkmcnt(0)
	v_dual_add_f32 v82, v82, v89 :: v_dual_add_nc_u32 v67, 0x4000, v67
	ds_store_2addr_b32 v67, v68, v82 offset1:136
.LBB1830_12:
	s_or_b32 exec_lo, exec_lo, s3
	v_lshlrev_b32_e32 v67, 2, v65
	s_waitcnt lgkmcnt(0)
	s_barrier
	buffer_gl0_inv
	v_cmp_eq_u32_e32 vcc_lo, 1, v66
	v_add_nc_u32_e32 v82, 0x4000, v67
	v_cmp_eq_u32_e64 s3, 2, v66
	v_cmp_eq_u32_e64 s5, 7, v66
	ds_load_2addr_b32 v[89:90], v82 offset1:17
	ds_load_2addr_b32 v[91:92], v82 offset0:34 offset1:51
	ds_load_2addr_b32 v[93:94], v82 offset0:68 offset1:85
	;; [unrolled: 1-line block ×4, first 2 shown]
	s_waitcnt lgkmcnt(4)
	v_max3_f32 v67, v89, 0xff7fffff, v90
	s_waitcnt lgkmcnt(3)
	s_delay_alu instid0(VALU_DEP_1) | instskip(SKIP_1) | instid1(VALU_DEP_1)
	v_max3_f32 v67, v67, v91, v92
	s_waitcnt lgkmcnt(2)
	v_max3_f32 v67, v67, v93, v94
	s_waitcnt lgkmcnt(1)
	s_delay_alu instid0(VALU_DEP_1) | instskip(NEXT) | instid1(VALU_DEP_1)
	v_max3_f32 v67, v67, v95, v96
	v_sub_f32_e32 v93, v93, v67
	s_delay_alu instid0(VALU_DEP_1) | instskip(NEXT) | instid1(VALU_DEP_1)
	v_dual_sub_f32 v68, v89, v67 :: v_dual_mul_f32 v103, 0x3fb8aa3b, v93
	v_mul_f32_e32 v68, 0x3fb8aa3b, v68
	s_delay_alu instid0(VALU_DEP_1)
	v_exp_f32_e32 v100, v68
	v_sub_f32_e32 v68, v92, v67
	v_sub_f32_e32 v99, v90, v67
	ds_load_2addr_b32 v[89:90], v82 offset0:170 offset1:187
	v_dual_mul_f32 v102, 0x3fb8aa3b, v68 :: v_dual_mul_f32 v99, 0x3fb8aa3b, v99
	s_waitcnt lgkmcnt(1)
	v_fma_f32 v68, v100, v97, 0
	s_delay_alu instid0(VALU_DEP_2) | instskip(NEXT) | instid1(VALU_DEP_2)
	v_exp_f32_e32 v102, v102
	v_exp_f32_e32 v99, v99
	s_waitcnt_depctr 0xfff
	v_fmac_f32_e32 v68, v99, v98
	v_sub_f32_e32 v91, v91, v67
	s_delay_alu instid0(VALU_DEP_1)
	v_mul_f32_e32 v101, 0x3fb8aa3b, v91
	ds_load_2addr_b32 v[91:92], v82 offset0:204 offset1:221
	v_sub_f32_e32 v97, v94, v67
	ds_load_2addr_b32 v[93:94], v82 offset0:238 offset1:255
	s_waitcnt lgkmcnt(0)
	v_exp_f32_e32 v101, v101
	s_barrier
	buffer_gl0_inv
	v_dual_fmac_f32 v68, v101, v89 :: v_dual_sub_f32 v89, v96, v67
	v_dual_sub_f32 v82, v95, v67 :: v_dual_mul_f32 v95, 0x3fb8aa3b, v97
	v_exp_f32_e32 v97, v103
	s_delay_alu instid0(VALU_DEP_2) | instskip(NEXT) | instid1(VALU_DEP_2)
	v_dual_fmac_f32 v68, v102, v90 :: v_dual_mul_f32 v89, 0x3fb8aa3b, v89
	v_mul_f32_e32 v82, 0x3fb8aa3b, v82
	s_delay_alu instid0(VALU_DEP_3) | instskip(NEXT) | instid1(VALU_DEP_2)
	v_exp_f32_e32 v95, v95
	v_exp_f32_e32 v89, v89
	s_delay_alu instid0(VALU_DEP_1)
	v_exp_f32_e32 v82, v82
	v_fmac_f32_e32 v68, v97, v91
	s_delay_alu instid0(TRANS32_DEP_3) | instid1(VALU_DEP_1)
	v_fmac_f32_e32 v68, v95, v92
	s_waitcnt_depctr 0xfff
	v_fmac_f32_e32 v68, v82, v93
	s_delay_alu instid0(VALU_DEP_1) | instskip(NEXT) | instid1(VALU_DEP_1)
	v_fmac_f32_e32 v68, v89, v94
	v_add_f32_e32 v90, 0x358637bd, v68
	s_delay_alu instid0(VALU_DEP_1) | instskip(NEXT) | instid1(VALU_DEP_1)
	v_div_scale_f32 v91, null, v90, v90, 1.0
	v_rcp_f32_e32 v92, v91
	s_waitcnt_depctr 0xfff
	v_fma_f32 v93, -v91, v92, 1.0
	s_delay_alu instid0(VALU_DEP_1) | instskip(SKIP_1) | instid1(VALU_DEP_2)
	v_dual_fmac_f32 v92, v93, v92 :: v_dual_cndmask_b32 v93, v100, v99
	v_cmp_eq_u32_e32 vcc_lo, 3, v66
	v_cndmask_b32_e64 v93, v93, v101, s3
	v_cmp_eq_u32_e64 s3, 4, v66
	s_delay_alu instid0(VALU_DEP_2) | instskip(SKIP_1) | instid1(VALU_DEP_2)
	v_cndmask_b32_e32 v93, v93, v102, vcc_lo
	v_cmp_eq_u32_e32 vcc_lo, 5, v66
	v_cndmask_b32_e64 v93, v93, v97, s3
	v_cmp_eq_u32_e64 s3, 6, v66
	s_delay_alu instid0(VALU_DEP_2) | instskip(SKIP_1) | instid1(VALU_DEP_1)
	v_cndmask_b32_e32 v93, v93, v95, vcc_lo
	v_div_scale_f32 v94, s4, 1.0, v90, 1.0
	s_mov_b32 vcc_lo, s4
	s_delay_alu instid0(VALU_DEP_2) | instskip(NEXT) | instid1(VALU_DEP_2)
	v_cndmask_b32_e64 v82, v93, v82, s3
	v_mul_f32_e32 v96, v94, v92
	s_mov_b32 s3, exec_lo
	s_delay_alu instid0(VALU_DEP_2) | instskip(NEXT) | instid1(VALU_DEP_2)
	v_cndmask_b32_e64 v82, v82, v89, s5
	v_fma_f32 v98, -v91, v96, v94
	s_delay_alu instid0(VALU_DEP_1) | instskip(NEXT) | instid1(VALU_DEP_1)
	v_fmac_f32_e32 v96, v98, v92
	v_fma_f32 v91, -v91, v96, v94
	s_delay_alu instid0(VALU_DEP_1) | instskip(NEXT) | instid1(VALU_DEP_1)
	v_div_fmas_f32 v91, v91, v92, v96
	v_div_fixup_f32 v90, v91, v90, 1.0
	s_delay_alu instid0(VALU_DEP_1) | instskip(NEXT) | instid1(VALU_DEP_1)
	v_mul_f32_e32 v82, v82, v90
	v_mul_f32_e32 v87, v82, v87
	;; [unrolled: 1-line block ×7, first 2 shown]
	v_dual_mul_f32 v86, v82, v83 :: v_dual_and_b32 v91, 0x7f800000, v90
	v_mul_f32_e32 v85, v82, v76
                                        ; implicit-def: $vgpr76
	s_delay_alu instid0(VALU_DEP_2)
	v_cmpx_ne_u32_e32 0x7f800000, v91
	s_xor_b32 s3, exec_lo, s3
; %bb.13:
	v_bfe_u32 v76, v90, 16, 1
	s_delay_alu instid0(VALU_DEP_1)
	v_add3_u32 v76, v90, v76, 0x7fff
                                        ; implicit-def: $vgpr90
; %bb.14:
	s_and_not1_saveexec_b32 s3, s3
; %bb.15:
	v_and_b32_e32 v76, 0xffff, v90
	v_or_b32_e32 v83, 0x10000, v90
	s_delay_alu instid0(VALU_DEP_2) | instskip(NEXT) | instid1(VALU_DEP_2)
	v_cmp_eq_u32_e32 vcc_lo, 0, v76
	v_cndmask_b32_e32 v76, v83, v90, vcc_lo
; %bb.16:
	s_or_b32 exec_lo, exec_lo, s3
	v_and_b32_e32 v83, 0x7f800000, v85
	s_delay_alu instid0(VALU_DEP_1) | instskip(SKIP_1) | instid1(SALU_CYCLE_1)
	v_cmp_ne_u32_e32 vcc_lo, 0x7f800000, v83
                                        ; implicit-def: $vgpr83
	s_and_saveexec_b32 s3, vcc_lo
	s_xor_b32 s3, exec_lo, s3
; %bb.17:
	v_bfe_u32 v83, v85, 16, 1
	s_delay_alu instid0(VALU_DEP_1)
	v_add3_u32 v83, v85, v83, 0x7fff
                                        ; implicit-def: $vgpr85
; %bb.18:
	s_and_not1_saveexec_b32 s3, s3
; %bb.19:
	v_and_b32_e32 v83, 0xffff, v85
	v_or_b32_e32 v90, 0x10000, v85
	s_delay_alu instid0(VALU_DEP_2) | instskip(NEXT) | instid1(VALU_DEP_2)
	v_cmp_eq_u32_e32 vcc_lo, 0, v83
	v_cndmask_b32_e32 v83, v90, v85, vcc_lo
; %bb.20:
	s_or_b32 exec_lo, exec_lo, s3
	v_and_b32_e32 v85, 0x7f800000, v86
	s_delay_alu instid0(VALU_DEP_1) | instskip(SKIP_1) | instid1(SALU_CYCLE_1)
	v_cmp_ne_u32_e32 vcc_lo, 0x7f800000, v85
                                        ; implicit-def: $vgpr85
	s_and_saveexec_b32 s3, vcc_lo
	s_xor_b32 s3, exec_lo, s3
; %bb.21:
	v_bfe_u32 v85, v86, 16, 1
	s_delay_alu instid0(VALU_DEP_1)
	v_add3_u32 v85, v86, v85, 0x7fff
                                        ; implicit-def: $vgpr86
; %bb.22:
	s_and_not1_saveexec_b32 s3, s3
; %bb.23:
	v_and_b32_e32 v85, 0xffff, v86
	v_or_b32_e32 v90, 0x10000, v86
	s_delay_alu instid0(VALU_DEP_2) | instskip(NEXT) | instid1(VALU_DEP_2)
	v_cmp_eq_u32_e32 vcc_lo, 0, v85
	v_cndmask_b32_e32 v85, v90, v86, vcc_lo
; %bb.24:
	s_or_b32 exec_lo, exec_lo, s3
	v_and_b32_e32 v86, 0x7f800000, v89
	s_delay_alu instid0(VALU_DEP_1) | instskip(SKIP_1) | instid1(SALU_CYCLE_1)
	v_cmp_ne_u32_e32 vcc_lo, 0x7f800000, v86
                                        ; implicit-def: $vgpr86
	s_and_saveexec_b32 s3, vcc_lo
	s_xor_b32 s3, exec_lo, s3
; %bb.25:
	v_bfe_u32 v86, v89, 16, 1
	s_delay_alu instid0(VALU_DEP_1)
	v_add3_u32 v86, v89, v86, 0x7fff
                                        ; implicit-def: $vgpr89
; %bb.26:
	s_and_not1_saveexec_b32 s3, s3
; %bb.27:
	v_and_b32_e32 v86, 0xffff, v89
	v_or_b32_e32 v90, 0x10000, v89
	s_delay_alu instid0(VALU_DEP_2) | instskip(NEXT) | instid1(VALU_DEP_2)
	v_cmp_eq_u32_e32 vcc_lo, 0, v86
	v_cndmask_b32_e32 v86, v90, v89, vcc_lo
; %bb.28:
	s_or_b32 exec_lo, exec_lo, s3
	v_and_b32_e32 v89, 0x7f800000, v88
	s_delay_alu instid0(VALU_DEP_1) | instskip(SKIP_1) | instid1(SALU_CYCLE_1)
	v_cmp_ne_u32_e32 vcc_lo, 0x7f800000, v89
                                        ; implicit-def: $vgpr89
	s_and_saveexec_b32 s3, vcc_lo
	s_xor_b32 s3, exec_lo, s3
; %bb.29:
	v_bfe_u32 v89, v88, 16, 1
	s_delay_alu instid0(VALU_DEP_1)
	v_add3_u32 v89, v88, v89, 0x7fff
                                        ; implicit-def: $vgpr88
; %bb.30:
	s_and_not1_saveexec_b32 s3, s3
; %bb.31:
	v_and_b32_e32 v89, 0xffff, v88
	v_or_b32_e32 v90, 0x10000, v88
	s_delay_alu instid0(VALU_DEP_2) | instskip(NEXT) | instid1(VALU_DEP_2)
	v_cmp_eq_u32_e32 vcc_lo, 0, v89
	v_cndmask_b32_e32 v89, v90, v88, vcc_lo
; %bb.32:
	s_or_b32 exec_lo, exec_lo, s3
	v_and_b32_e32 v88, 0x7f800000, v87
	s_delay_alu instid0(VALU_DEP_1) | instskip(SKIP_1) | instid1(SALU_CYCLE_1)
	v_cmp_ne_u32_e32 vcc_lo, 0x7f800000, v88
                                        ; implicit-def: $vgpr88
	s_and_saveexec_b32 s3, vcc_lo
	s_xor_b32 s3, exec_lo, s3
; %bb.33:
	v_bfe_u32 v88, v87, 16, 1
	s_delay_alu instid0(VALU_DEP_1)
	v_add3_u32 v88, v87, v88, 0x7fff
                                        ; implicit-def: $vgpr87
; %bb.34:
	s_and_not1_saveexec_b32 s3, s3
; %bb.35:
	v_and_b32_e32 v88, 0xffff, v87
	v_or_b32_e32 v90, 0x10000, v87
	s_delay_alu instid0(VALU_DEP_2) | instskip(NEXT) | instid1(VALU_DEP_2)
	v_cmp_eq_u32_e32 vcc_lo, 0, v88
	v_cndmask_b32_e32 v88, v90, v87, vcc_lo
; %bb.36:
	s_or_b32 exec_lo, exec_lo, s3
	v_and_b32_e32 v87, 0x7f800000, v84
	s_delay_alu instid0(VALU_DEP_1) | instskip(SKIP_1) | instid1(SALU_CYCLE_1)
	v_cmp_ne_u32_e32 vcc_lo, 0x7f800000, v87
                                        ; implicit-def: $vgpr87
	s_and_saveexec_b32 s3, vcc_lo
	s_xor_b32 s3, exec_lo, s3
; %bb.37:
	v_bfe_u32 v87, v84, 16, 1
	s_delay_alu instid0(VALU_DEP_1)
	v_add3_u32 v87, v84, v87, 0x7fff
                                        ; implicit-def: $vgpr84
; %bb.38:
	s_and_not1_saveexec_b32 s3, s3
; %bb.39:
	v_and_b32_e32 v87, 0xffff, v84
	v_or_b32_e32 v90, 0x10000, v84
	s_delay_alu instid0(VALU_DEP_2) | instskip(NEXT) | instid1(VALU_DEP_2)
	v_cmp_eq_u32_e32 vcc_lo, 0, v87
	v_cndmask_b32_e32 v87, v90, v84, vcc_lo
; %bb.40:
	s_or_b32 exec_lo, exec_lo, s3
	v_and_b32_e32 v84, 0x7f800000, v80
	s_delay_alu instid0(VALU_DEP_1) | instskip(SKIP_1) | instid1(SALU_CYCLE_1)
	v_cmp_ne_u32_e32 vcc_lo, 0x7f800000, v84
                                        ; implicit-def: $vgpr84
	s_and_saveexec_b32 s3, vcc_lo
	s_xor_b32 s3, exec_lo, s3
; %bb.41:
	v_bfe_u32 v84, v80, 16, 1
	s_delay_alu instid0(VALU_DEP_1)
	v_add3_u32 v84, v80, v84, 0x7fff
                                        ; implicit-def: $vgpr80
; %bb.42:
	s_and_not1_saveexec_b32 s3, s3
; %bb.43:
	v_and_b32_e32 v84, 0xffff, v80
	v_or_b32_e32 v90, 0x10000, v80
	s_delay_alu instid0(VALU_DEP_2) | instskip(NEXT) | instid1(VALU_DEP_2)
	v_cmp_eq_u32_e32 vcc_lo, 0, v84
	v_cndmask_b32_e32 v84, v90, v80, vcc_lo
; %bb.44:
	s_or_b32 exec_lo, exec_lo, s3
	s_load_b64 s[34:35], s[0:1], 0x94
	v_lshlrev_b32_e32 v91, 4, v74
	s_delay_alu instid0(VALU_DEP_2)
	v_perm_b32 v90, v84, v87, 0x7060302
	v_dual_mul_f32 v79, v82, v79 :: v_dual_lshlrev_b32 v80, 6, v65
	v_dual_mul_f32 v77, v82, v77 :: v_dual_lshlrev_b32 v92, 11, v66
	v_mul_f32_e32 v84, v82, v70
	v_perm_b32 v89, v88, v89, 0x7060302
	v_perm_b32 v88, v86, v85, 0x7060302
	;; [unrolled: 1-line block ×3, first 2 shown]
	v_mul_f32_e32 v70, v82, v81
	v_or3_b32 v76, v91, v92, v80
	v_dual_mul_f32 v78, v82, v78 :: v_dual_and_b32 v85, 0x7f800000, v84
	v_mul_f32_e32 v83, v82, v72
	v_mul_f32_e32 v81, v82, v71
	;; [unrolled: 1-line block ×3, first 2 shown]
	s_mov_b32 s3, exec_lo
	ds_store_b128 v76, v[87:90]
                                        ; implicit-def: $vgpr69
	v_cmpx_ne_u32_e32 0x7f800000, v85
	s_xor_b32 s3, exec_lo, s3
; %bb.45:
	v_bfe_u32 v69, v84, 16, 1
	s_delay_alu instid0(VALU_DEP_1)
	v_add3_u32 v69, v84, v69, 0x7fff
                                        ; implicit-def: $vgpr84
; %bb.46:
	s_and_not1_saveexec_b32 s3, s3
; %bb.47:
	v_and_b32_e32 v69, 0xffff, v84
	v_or_b32_e32 v71, 0x10000, v84
	s_delay_alu instid0(VALU_DEP_2) | instskip(NEXT) | instid1(VALU_DEP_2)
	v_cmp_eq_u32_e32 vcc_lo, 0, v69
	v_cndmask_b32_e32 v69, v71, v84, vcc_lo
; %bb.48:
	s_or_b32 exec_lo, exec_lo, s3
	v_and_b32_e32 v71, 0x7f800000, v72
	s_delay_alu instid0(VALU_DEP_1) | instskip(SKIP_1) | instid1(SALU_CYCLE_1)
	v_cmp_ne_u32_e32 vcc_lo, 0x7f800000, v71
                                        ; implicit-def: $vgpr71
	s_and_saveexec_b32 s3, vcc_lo
	s_xor_b32 s3, exec_lo, s3
; %bb.49:
	v_bfe_u32 v71, v72, 16, 1
	s_delay_alu instid0(VALU_DEP_1)
	v_add3_u32 v71, v72, v71, 0x7fff
                                        ; implicit-def: $vgpr72
; %bb.50:
	s_and_not1_saveexec_b32 s3, s3
; %bb.51:
	v_and_b32_e32 v71, 0xffff, v72
	v_or_b32_e32 v82, 0x10000, v72
	s_delay_alu instid0(VALU_DEP_2) | instskip(NEXT) | instid1(VALU_DEP_2)
	v_cmp_eq_u32_e32 vcc_lo, 0, v71
	v_cndmask_b32_e32 v71, v82, v72, vcc_lo
; %bb.52:
	s_or_b32 exec_lo, exec_lo, s3
	v_and_b32_e32 v72, 0x7f800000, v81
	s_delay_alu instid0(VALU_DEP_1) | instskip(SKIP_1) | instid1(SALU_CYCLE_1)
	v_cmp_ne_u32_e32 vcc_lo, 0x7f800000, v72
                                        ; implicit-def: $vgpr72
	s_and_saveexec_b32 s3, vcc_lo
	s_xor_b32 s3, exec_lo, s3
; %bb.53:
	v_bfe_u32 v72, v81, 16, 1
	s_delay_alu instid0(VALU_DEP_1)
	v_add3_u32 v72, v81, v72, 0x7fff
                                        ; implicit-def: $vgpr81
; %bb.54:
	s_and_not1_saveexec_b32 s3, s3
; %bb.55:
	v_and_b32_e32 v72, 0xffff, v81
	v_or_b32_e32 v82, 0x10000, v81
	s_delay_alu instid0(VALU_DEP_2) | instskip(NEXT) | instid1(VALU_DEP_2)
	v_cmp_eq_u32_e32 vcc_lo, 0, v72
	v_cndmask_b32_e32 v72, v82, v81, vcc_lo
; %bb.56:
	s_or_b32 exec_lo, exec_lo, s3
	v_and_b32_e32 v81, 0x7f800000, v83
	s_delay_alu instid0(VALU_DEP_1) | instskip(SKIP_1) | instid1(SALU_CYCLE_1)
	v_cmp_ne_u32_e32 vcc_lo, 0x7f800000, v81
                                        ; implicit-def: $vgpr81
	s_and_saveexec_b32 s3, vcc_lo
	s_xor_b32 s3, exec_lo, s3
; %bb.57:
	v_bfe_u32 v81, v83, 16, 1
	s_delay_alu instid0(VALU_DEP_1)
	v_add3_u32 v81, v83, v81, 0x7fff
                                        ; implicit-def: $vgpr83
; %bb.58:
	s_and_not1_saveexec_b32 s3, s3
; %bb.59:
	v_and_b32_e32 v81, 0xffff, v83
	v_or_b32_e32 v82, 0x10000, v83
	s_delay_alu instid0(VALU_DEP_2) | instskip(NEXT) | instid1(VALU_DEP_2)
	v_cmp_eq_u32_e32 vcc_lo, 0, v81
	v_cndmask_b32_e32 v81, v82, v83, vcc_lo
; %bb.60:
	s_or_b32 exec_lo, exec_lo, s3
	v_and_b32_e32 v82, 0x7f800000, v77
	s_delay_alu instid0(VALU_DEP_1) | instskip(SKIP_1) | instid1(SALU_CYCLE_1)
	v_cmp_ne_u32_e32 vcc_lo, 0x7f800000, v82
                                        ; implicit-def: $vgpr82
	s_and_saveexec_b32 s3, vcc_lo
	s_xor_b32 s3, exec_lo, s3
; %bb.61:
	v_bfe_u32 v82, v77, 16, 1
	s_delay_alu instid0(VALU_DEP_1)
	v_add3_u32 v82, v77, v82, 0x7fff
                                        ; implicit-def: $vgpr77
; %bb.62:
	s_and_not1_saveexec_b32 s3, s3
; %bb.63:
	v_and_b32_e32 v82, 0xffff, v77
	v_or_b32_e32 v83, 0x10000, v77
	s_delay_alu instid0(VALU_DEP_2) | instskip(NEXT) | instid1(VALU_DEP_2)
	v_cmp_eq_u32_e32 vcc_lo, 0, v82
	v_cndmask_b32_e32 v82, v83, v77, vcc_lo
; %bb.64:
	s_or_b32 exec_lo, exec_lo, s3
	v_and_b32_e32 v77, 0x7f800000, v78
	s_delay_alu instid0(VALU_DEP_1) | instskip(SKIP_1) | instid1(SALU_CYCLE_1)
	v_cmp_ne_u32_e32 vcc_lo, 0x7f800000, v77
                                        ; implicit-def: $vgpr77
	s_and_saveexec_b32 s3, vcc_lo
	s_xor_b32 s3, exec_lo, s3
; %bb.65:
	v_bfe_u32 v77, v78, 16, 1
	s_delay_alu instid0(VALU_DEP_1)
	v_add3_u32 v77, v78, v77, 0x7fff
                                        ; implicit-def: $vgpr78
; %bb.66:
	s_and_not1_saveexec_b32 s3, s3
; %bb.67:
	v_and_b32_e32 v77, 0xffff, v78
	v_or_b32_e32 v83, 0x10000, v78
	s_delay_alu instid0(VALU_DEP_2) | instskip(NEXT) | instid1(VALU_DEP_2)
	v_cmp_eq_u32_e32 vcc_lo, 0, v77
	v_cndmask_b32_e32 v77, v83, v78, vcc_lo
; %bb.68:
	s_or_b32 exec_lo, exec_lo, s3
	v_and_b32_e32 v78, 0x7f800000, v79
	s_delay_alu instid0(VALU_DEP_1) | instskip(SKIP_1) | instid1(SALU_CYCLE_1)
	v_cmp_ne_u32_e32 vcc_lo, 0x7f800000, v78
                                        ; implicit-def: $vgpr78
	s_and_saveexec_b32 s3, vcc_lo
	s_xor_b32 s3, exec_lo, s3
; %bb.69:
	v_bfe_u32 v78, v79, 16, 1
	s_delay_alu instid0(VALU_DEP_1)
	v_add3_u32 v78, v79, v78, 0x7fff
                                        ; implicit-def: $vgpr79
; %bb.70:
	s_and_not1_saveexec_b32 s3, s3
; %bb.71:
	v_and_b32_e32 v78, 0xffff, v79
	v_or_b32_e32 v83, 0x10000, v79
	s_delay_alu instid0(VALU_DEP_2) | instskip(NEXT) | instid1(VALU_DEP_2)
	v_cmp_eq_u32_e32 vcc_lo, 0, v78
	v_cndmask_b32_e32 v78, v83, v79, vcc_lo
; %bb.72:
	s_or_b32 exec_lo, exec_lo, s3
	v_and_b32_e32 v79, 0x7f800000, v70
	s_delay_alu instid0(VALU_DEP_1) | instskip(SKIP_1) | instid1(SALU_CYCLE_1)
	v_cmp_ne_u32_e32 vcc_lo, 0x7f800000, v79
                                        ; implicit-def: $vgpr79
	s_and_saveexec_b32 s3, vcc_lo
	s_xor_b32 s3, exec_lo, s3
; %bb.73:
	v_bfe_u32 v79, v70, 16, 1
	s_delay_alu instid0(VALU_DEP_1)
	v_add3_u32 v79, v70, v79, 0x7fff
                                        ; implicit-def: $vgpr70
; %bb.74:
	s_and_not1_saveexec_b32 s3, s3
; %bb.75:
	v_and_b32_e32 v79, 0xffff, v70
	v_or_b32_e32 v83, 0x10000, v70
	s_delay_alu instid0(VALU_DEP_2) | instskip(NEXT) | instid1(VALU_DEP_2)
	v_cmp_eq_u32_e32 vcc_lo, 0, v79
	v_cndmask_b32_e32 v79, v83, v70, vcc_lo
; %bb.76:
	s_or_b32 exec_lo, exec_lo, s3
	s_delay_alu instid0(VALU_DEP_1)
	v_perm_b32 v86, v79, v78, 0x7060302
	v_perm_b32 v85, v77, v82, 0x7060302
	;; [unrolled: 1-line block ×4, first 2 shown]
	v_lshl_or_b32 v82, v66, 11, v80
	ds_store_b128 v76, v[83:86] offset:1024
	s_waitcnt lgkmcnt(0)
	s_barrier
	buffer_gl0_inv
	ds_load_b128 v[69:72], v82
	ds_load_b128 v[83:86], v82 offset:16
	s_waitcnt lgkmcnt(1)
	v_lshrrev_b32_e32 v66, 16, v69
	s_waitcnt lgkmcnt(0)
	v_lshrrev_b32_e32 v91, 16, v83
	v_lshlrev_b32_e32 v78, 2, v74
	v_lshrrev_b32_e32 v95, 16, v70
	v_lshrrev_b32_e32 v98, 16, v84
	;; [unrolled: 1-line block ×4, first 2 shown]
	v_cmp_eq_u32_e32 vcc_lo, 1, v78
	v_lshrrev_b32_e32 v97, 16, v72
	v_lshrrev_b32_e32 v100, 16, v86
	v_cndmask_b32_e32 v87, v83, v91, vcc_lo
	v_or_b32_e32 v79, 1, v78
	v_cndmask_b32_e32 v81, v69, v66, vcc_lo
	v_cmp_eq_u32_e64 s4, 2, v78
	v_cmp_eq_u32_e64 s7, 3, v78
	;; [unrolled: 1-line block ×5, first 2 shown]
	v_cndmask_b32_e64 v81, v81, v70, s4
	v_cndmask_b32_e64 v87, v87, v84, s4
	v_cmp_eq_u32_e64 s8, 3, v79
	v_cndmask_b32_e64 v88, v69, v66, s3
	v_or_b32_e32 v77, 2, v78
	v_cndmask_b32_e64 v81, v81, v95, s7
	v_cndmask_b32_e64 v87, v87, v98, s7
	;; [unrolled: 1-line block ×4, first 2 shown]
	v_cmp_eq_u32_e64 s10, 5, v78
	v_cndmask_b32_e64 v81, v81, v71, s9
	v_cndmask_b32_e64 v87, v87, v85, s9
	v_cmp_eq_u32_e64 s11, 4, v79
	v_cndmask_b32_e64 v88, v88, v95, s8
	v_cmp_eq_u32_e64 s5, 1, v77
	v_cndmask_b32_e64 v89, v89, v84, s6
	v_cndmask_b32_e64 v81, v81, v96, s10
	v_cmp_eq_u32_e64 s12, 6, v78
	v_cndmask_b32_e64 v88, v88, v71, s11
	;; [unrolled: 3-line block ×3, first 2 shown]
	v_cndmask_b32_e64 v89, v89, v98, s8
	v_cndmask_b32_e64 v81, v81, v72, s12
	v_cmp_eq_u32_e64 s15, 7, v78
	v_cndmask_b32_e64 v88, v88, v96, s13
	v_cndmask_b32_e64 v87, v87, v86, s12
	v_cmp_eq_u32_e64 s16, 6, v79
	v_cmp_eq_u32_e64 s17, 2, v77
	v_cndmask_b32_e64 v89, v89, v85, s11
	v_cndmask_b32_e64 v101, v81, v97, s15
	;; [unrolled: 1-line block ×6, first 2 shown]
	v_cmp_eq_u32_e64 s18, 7, v79
	v_cmp_eq_u32_e64 s19, 3, v77
	;; [unrolled: 1-line block ×4, first 2 shown]
	v_cndmask_b32_e64 v87, v87, v84, s17
	v_cndmask_b32_e64 v103, v88, v97, s18
	;; [unrolled: 1-line block ×4, first 2 shown]
	v_or_b32_e32 v81, 3, v78
	v_cndmask_b32_e64 v93, v87, v98, s19
	v_cmp_eq_u32_e64 s24, 6, v77
	v_cndmask_b32_e64 v104, v88, v86, s16
	v_cndmask_b32_e64 v92, v89, v71, s20
	v_cmp_eq_u32_e64 s21, 1, v81
	ds_load_b128 v[87:90], v82 offset:1024
	v_cmp_eq_u32_e64 s23, 2, v81
	v_cmp_eq_u32_e64 s25, 3, v81
	v_cndmask_b32_e64 v105, v92, v96, s22
	v_cndmask_b32_e64 v66, v69, v66, s21
	;; [unrolled: 1-line block ×4, first 2 shown]
	ds_load_b128 v[91:94], v82 offset:1040
	v_cmp_eq_u32_e64 s26, 4, v81
	v_cndmask_b32_e64 v66, v66, v70, s23
	v_cmp_eq_u32_e64 s27, 7, v77
	v_cndmask_b32_e64 v70, v83, v84, s23
	v_cndmask_b32_e64 v84, v105, v72, s24
	v_cmp_eq_u32_e64 s28, 5, v81
	v_cndmask_b32_e64 v66, v66, v95, s25
	v_cmp_eq_u32_e64 s29, 6, v81
	v_cndmask_b32_e64 v70, v70, v98, s25
	v_cndmask_b32_e64 v69, v69, v99, s22
	;; [unrolled: 1-line block ×4, first 2 shown]
	s_waitcnt lgkmcnt(1)
	v_lshrrev_b32_e32 v95, 16, v87
	v_cndmask_b32_e64 v70, v70, v85, s26
	v_cndmask_b32_e64 v71, v84, v97, s27
	;; [unrolled: 1-line block ×4, first 2 shown]
	v_cndmask_b32_e32 v84, v87, v95, vcc_lo
	v_cndmask_b32_e64 v70, v70, v99, s28
	s_waitcnt lgkmcnt(0)
	v_lshrrev_b32_e32 v85, 16, v91
	v_lshrrev_b32_e32 v96, 16, v88
	v_cndmask_b32_e64 v98, v87, v95, s3
	v_cndmask_b32_e64 v84, v84, v88, s4
	;; [unrolled: 1-line block ×3, first 2 shown]
	v_cndmask_b32_e32 v99, v91, v85, vcc_lo
	v_cmp_eq_u32_e32 vcc_lo, 7, v81
	v_cndmask_b32_e64 v66, v66, v72, s29
	v_cndmask_b32_e64 v72, v84, v96, s7
	;; [unrolled: 1-line block ×3, first 2 shown]
	v_lshrrev_b32_e32 v98, 16, v92
	v_cndmask_b32_e32 v70, v70, v100, vcc_lo
	v_cndmask_b32_e64 v86, v99, v92, s4
	v_cndmask_b32_e64 v69, v69, v100, s27
	v_lshrrev_b32_e32 v100, 16, v93
	v_cndmask_b32_e64 v72, v72, v89, s9
	v_lshrrev_b32_e32 v99, 16, v89
	v_cndmask_b32_e64 v86, v86, v98, s7
	v_perm_b32 v71, v69, v71, 0x5040100
	v_cndmask_b32_e64 v84, v84, v96, s8
	s_delay_alu instid0(VALU_DEP_3) | instskip(NEXT) | instid1(VALU_DEP_2)
	v_cndmask_b32_e64 v86, v86, v93, s9
	v_cndmask_b32_e64 v84, v84, v89, s11
	s_delay_alu instid0(VALU_DEP_2) | instskip(NEXT) | instid1(VALU_DEP_1)
	v_cndmask_b32_e64 v86, v86, v100, s10
	v_cndmask_b32_e64 v69, v86, v94, s12
	;; [unrolled: 1-line block ×5, first 2 shown]
	s_delay_alu instid0(VALU_DEP_3) | instskip(NEXT) | instid1(VALU_DEP_3)
	v_cndmask_b32_e64 v86, v86, v88, s17
	v_cndmask_b32_e64 v87, v87, v88, s23
	s_delay_alu instid0(VALU_DEP_3) | instskip(NEXT) | instid1(VALU_DEP_3)
	v_cndmask_b32_e64 v88, v95, v92, s23
	v_cndmask_b32_e64 v86, v86, v96, s19
	;; [unrolled: 3-line block ×7, first 2 shown]
	s_delay_alu instid0(VALU_DEP_3) | instskip(SKIP_2) | instid1(VALU_DEP_2)
	v_cndmask_b32_e64 v88, v88, v94, s29
	v_cndmask_b32_e32 v66, v66, v97, vcc_lo
	v_cndmask_b32_e64 v97, v72, v99, s10
	v_perm_b32 v72, v70, v66, 0x5040100
	v_perm_b32 v70, v83, v103, 0x5040100
	v_cndmask_b32_e64 v103, v91, v85, s5
	v_cndmask_b32_e64 v85, v91, v85, s3
	;; [unrolled: 1-line block ×4, first 2 shown]
	v_lshrrev_b32_e32 v97, 16, v90
	v_cndmask_b32_e64 v91, v103, v92, s17
	v_cndmask_b32_e64 v85, v85, v92, s6
	;; [unrolled: 1-line block ×3, first 2 shown]
	s_mov_b32 s3, exec_lo
	v_cndmask_b32_e64 v83, v84, v97, s15
	v_cndmask_b32_e64 v91, v91, v98, s19
	;; [unrolled: 1-line block ×3, first 2 shown]
	v_lshrrev_b32_e32 v84, 16, v94
	v_cndmask_b32_e64 v66, v66, v97, s18
	v_cndmask_b32_e64 v90, v86, v97, s27
	;; [unrolled: 1-line block ×4, first 2 shown]
	v_dual_cndmask_b32 v86, v87, v97 :: v_dual_cndmask_b32 v87, v88, v84
	v_cndmask_b32_e64 v91, v69, v84, s15
	s_delay_alu instid0(VALU_DEP_4) | instskip(NEXT) | instid1(VALU_DEP_4)
	v_cndmask_b32_e64 v89, v89, v100, s22
	v_cndmask_b32_e64 v85, v85, v100, s13
	v_perm_b32 v69, v102, v101, 0x5040100
	v_perm_b32 v86, v87, v86, 0x5040100
	;; [unrolled: 1-line block ×3, first 2 shown]
	v_cndmask_b32_e64 v89, v89, v94, s24
	v_cndmask_b32_e64 v85, v85, v94, s16
	s_mul_i32 s8, s35, 9
	s_delay_alu instid0(VALU_DEP_2) | instskip(NEXT) | instid1(VALU_DEP_2)
	v_cndmask_b32_e64 v88, v89, v84, s27
	v_cndmask_b32_e64 v89, v85, v84, s18
	s_delay_alu instid0(VALU_DEP_2) | instskip(NEXT) | instid1(VALU_DEP_2)
	v_perm_b32 v85, v88, v90, 0x5040100
	v_perm_b32 v84, v89, v66, 0x5040100
	ds_store_b128 v76, v[69:72]
	ds_store_b128 v76, v[83:86] offset:1024
	v_cmpx_gt_u32_e32 9, v0
	s_cbranch_execz .LBB1830_78
; %bb.77:
	s_mul_i32 s4, s8, s30
	s_delay_alu instid0(SALU_CYCLE_1) | instskip(SKIP_1) | instid1(VALU_DEP_1)
	v_add3_u32 v69, s4, s31, v65
	s_load_b128 s[4:7], s[0:1], 0x58
	v_mad_u64_u32 v[65:66], null, v69, s34, s[14:15]
	s_delay_alu instid0(VALU_DEP_1) | instskip(NEXT) | instid1(VALU_DEP_1)
	v_ashrrev_i32_e32 v66, 31, v65
	v_lshlrev_b64 v[65:66], 2, v[65:66]
	s_waitcnt lgkmcnt(0)
	s_delay_alu instid0(VALU_DEP_1) | instskip(NEXT) | instid1(VALU_DEP_2)
	v_add_co_u32 v69, vcc_lo, s6, v65
	v_add_co_ci_u32_e32 v70, vcc_lo, s7, v66, vcc_lo
	v_add_co_u32 v65, vcc_lo, s4, v65
	v_add_co_ci_u32_e32 v66, vcc_lo, s5, v66, vcc_lo
	global_store_b32 v[69:70], v67, off
	global_store_b32 v[65:66], v68, off
.LBB1830_78:
	s_or_b32 exec_lo, exec_lo, s3
	s_waitcnt lgkmcnt(0)
	s_waitcnt_vscnt null, 0x0
	s_barrier
	buffer_gl0_inv
	ds_load_b128 v[83:86], v80
	ds_load_b128 v[87:90], v80 offset:16
	ds_load_b128 v[95:98], v80 offset:2064
	;; [unrolled: 1-line block ×3, first 2 shown]
	v_mov_b32_e32 v65, 0
	ds_load_b128 v[103:106], v80 offset:4112
	ds_load_b128 v[99:102], v80 offset:4096
	;; [unrolled: 1-line block ×4, first 2 shown]
	v_mov_b32_e32 v66, v65
	v_mov_b32_e32 v67, v65
	;; [unrolled: 1-line block ×7, first 2 shown]
	s_waitcnt lgkmcnt(6)
	s_delay_alu instid0(VALU_DEP_1)
	v_wmma_f32_16x16x16_bf16 v[65:72], v[49:56], v[83:90], v[65:72]
	ds_load_b128 v[53:56], v80 offset:8208
	ds_load_b128 v[49:52], v80 offset:8192
	s_waitcnt lgkmcnt(6)
	v_wmma_f32_16x16x16_bf16 v[65:72], v[41:48], v[91:98], v[65:72]
	ds_load_b128 v[45:48], v80 offset:10256
	ds_load_b128 v[41:44], v80 offset:10240
	s_waitcnt lgkmcnt(6)
	;; [unrolled: 4-line block ×4, first 2 shown]
	v_wmma_f32_16x16x16_bf16 v[65:72], v[1:8], v[49:56], v[65:72]
	s_waitcnt lgkmcnt(4)
	s_delay_alu instid0(VALU_DEP_1) | instskip(SKIP_1) | instid1(VALU_DEP_1)
	v_wmma_f32_16x16x16_bf16 v[65:72], v[9:16], v[41:48], v[65:72]
	s_waitcnt lgkmcnt(2)
	v_wmma_f32_16x16x16_bf16 v[65:72], v[17:24], v[33:40], v[65:72]
	s_waitcnt lgkmcnt(0)
	s_delay_alu instid0(VALU_DEP_1) | instskip(NEXT) | instid1(VALU_DEP_1)
	v_wmma_f32_16x16x16_bf16 v[65:72], v[57:64], v[25:32], v[65:72]
	v_and_b32_e32 v1, 0x7f800000, v65
	s_delay_alu instid0(VALU_DEP_1) | instskip(SKIP_1) | instid1(SALU_CYCLE_1)
	v_cmp_ne_u32_e32 vcc_lo, 0x7f800000, v1
                                        ; implicit-def: $vgpr1
	s_and_saveexec_b32 s3, vcc_lo
	s_xor_b32 s3, exec_lo, s3
; %bb.79:
	v_bfe_u32 v1, v65, 16, 1
	s_delay_alu instid0(VALU_DEP_1)
	v_add3_u32 v1, v65, v1, 0x7fff
; %bb.80:
	s_and_not1_saveexec_b32 s3, s3
; %bb.81:
	v_and_b32_e32 v1, 0xffff, v65
	v_or_b32_e32 v2, 0x10000, v65
	s_delay_alu instid0(VALU_DEP_2) | instskip(NEXT) | instid1(VALU_DEP_2)
	v_cmp_eq_u32_e32 vcc_lo, 0, v1
	v_cndmask_b32_e32 v1, v2, v65, vcc_lo
; %bb.82:
	s_or_b32 exec_lo, exec_lo, s3
	v_and_b32_e32 v2, 0x7f800000, v66
	s_delay_alu instid0(VALU_DEP_1) | instskip(SKIP_1) | instid1(SALU_CYCLE_1)
	v_cmp_ne_u32_e32 vcc_lo, 0x7f800000, v2
                                        ; implicit-def: $vgpr2
	s_and_saveexec_b32 s3, vcc_lo
	s_xor_b32 s3, exec_lo, s3
; %bb.83:
	v_bfe_u32 v2, v66, 16, 1
	s_delay_alu instid0(VALU_DEP_1)
	v_add3_u32 v2, v66, v2, 0x7fff
; %bb.84:
	s_and_not1_saveexec_b32 s3, s3
; %bb.85:
	v_and_b32_e32 v2, 0xffff, v66
	v_or_b32_e32 v3, 0x10000, v66
	s_delay_alu instid0(VALU_DEP_2) | instskip(NEXT) | instid1(VALU_DEP_2)
	v_cmp_eq_u32_e32 vcc_lo, 0, v2
	v_cndmask_b32_e32 v2, v3, v66, vcc_lo
; %bb.86:
	s_or_b32 exec_lo, exec_lo, s3
	v_and_b32_e32 v3, 0x7f800000, v67
	s_delay_alu instid0(VALU_DEP_1) | instskip(SKIP_1) | instid1(SALU_CYCLE_1)
	v_cmp_ne_u32_e32 vcc_lo, 0x7f800000, v3
                                        ; implicit-def: $vgpr3
	s_and_saveexec_b32 s3, vcc_lo
	s_xor_b32 s3, exec_lo, s3
; %bb.87:
	v_bfe_u32 v3, v67, 16, 1
	s_delay_alu instid0(VALU_DEP_1)
	v_add3_u32 v3, v67, v3, 0x7fff
; %bb.88:
	s_and_not1_saveexec_b32 s3, s3
; %bb.89:
	v_and_b32_e32 v3, 0xffff, v67
	v_or_b32_e32 v4, 0x10000, v67
	s_delay_alu instid0(VALU_DEP_2) | instskip(NEXT) | instid1(VALU_DEP_2)
	v_cmp_eq_u32_e32 vcc_lo, 0, v3
	v_cndmask_b32_e32 v3, v4, v67, vcc_lo
; %bb.90:
	s_or_b32 exec_lo, exec_lo, s3
	v_and_b32_e32 v4, 0x7f800000, v68
	s_delay_alu instid0(VALU_DEP_1) | instskip(SKIP_1) | instid1(SALU_CYCLE_1)
	v_cmp_ne_u32_e32 vcc_lo, 0x7f800000, v4
                                        ; implicit-def: $vgpr4
	s_and_saveexec_b32 s3, vcc_lo
	s_xor_b32 s3, exec_lo, s3
; %bb.91:
	v_bfe_u32 v4, v68, 16, 1
	s_delay_alu instid0(VALU_DEP_1)
	v_add3_u32 v4, v68, v4, 0x7fff
; %bb.92:
	s_and_not1_saveexec_b32 s3, s3
; %bb.93:
	v_and_b32_e32 v4, 0xffff, v68
	v_or_b32_e32 v5, 0x10000, v68
	s_delay_alu instid0(VALU_DEP_2) | instskip(NEXT) | instid1(VALU_DEP_2)
	v_cmp_eq_u32_e32 vcc_lo, 0, v4
	v_cndmask_b32_e32 v4, v5, v68, vcc_lo
; %bb.94:
	s_or_b32 exec_lo, exec_lo, s3
	v_and_b32_e32 v5, 0x7f800000, v69
	s_delay_alu instid0(VALU_DEP_1) | instskip(SKIP_1) | instid1(SALU_CYCLE_1)
	v_cmp_ne_u32_e32 vcc_lo, 0x7f800000, v5
                                        ; implicit-def: $vgpr5
	s_and_saveexec_b32 s3, vcc_lo
	s_xor_b32 s3, exec_lo, s3
; %bb.95:
	v_bfe_u32 v5, v69, 16, 1
	s_delay_alu instid0(VALU_DEP_1)
	v_add3_u32 v5, v69, v5, 0x7fff
; %bb.96:
	s_and_not1_saveexec_b32 s3, s3
; %bb.97:
	v_and_b32_e32 v5, 0xffff, v69
	v_or_b32_e32 v6, 0x10000, v69
	s_delay_alu instid0(VALU_DEP_2) | instskip(NEXT) | instid1(VALU_DEP_2)
	v_cmp_eq_u32_e32 vcc_lo, 0, v5
	v_cndmask_b32_e32 v5, v6, v69, vcc_lo
; %bb.98:
	s_or_b32 exec_lo, exec_lo, s3
	v_and_b32_e32 v6, 0x7f800000, v70
	s_delay_alu instid0(VALU_DEP_1) | instskip(SKIP_1) | instid1(SALU_CYCLE_1)
	v_cmp_ne_u32_e32 vcc_lo, 0x7f800000, v6
                                        ; implicit-def: $vgpr6
	s_and_saveexec_b32 s3, vcc_lo
	s_xor_b32 s3, exec_lo, s3
; %bb.99:
	v_bfe_u32 v6, v70, 16, 1
	s_delay_alu instid0(VALU_DEP_1)
	v_add3_u32 v6, v70, v6, 0x7fff
; %bb.100:
	s_and_not1_saveexec_b32 s3, s3
; %bb.101:
	v_and_b32_e32 v6, 0xffff, v70
	v_or_b32_e32 v7, 0x10000, v70
	s_delay_alu instid0(VALU_DEP_2) | instskip(NEXT) | instid1(VALU_DEP_2)
	v_cmp_eq_u32_e32 vcc_lo, 0, v6
	v_cndmask_b32_e32 v6, v7, v70, vcc_lo
; %bb.102:
	s_or_b32 exec_lo, exec_lo, s3
	v_and_b32_e32 v7, 0x7f800000, v71
	s_delay_alu instid0(VALU_DEP_1) | instskip(SKIP_1) | instid1(SALU_CYCLE_1)
	v_cmp_ne_u32_e32 vcc_lo, 0x7f800000, v7
                                        ; implicit-def: $vgpr7
	s_and_saveexec_b32 s3, vcc_lo
	s_xor_b32 s3, exec_lo, s3
; %bb.103:
	v_bfe_u32 v7, v71, 16, 1
	s_delay_alu instid0(VALU_DEP_1)
	v_add3_u32 v7, v71, v7, 0x7fff
; %bb.104:
	s_and_not1_saveexec_b32 s3, s3
; %bb.105:
	v_and_b32_e32 v7, 0xffff, v71
	v_or_b32_e32 v8, 0x10000, v71
	s_delay_alu instid0(VALU_DEP_2) | instskip(NEXT) | instid1(VALU_DEP_2)
	v_cmp_eq_u32_e32 vcc_lo, 0, v7
	v_cndmask_b32_e32 v7, v8, v71, vcc_lo
; %bb.106:
	s_or_b32 exec_lo, exec_lo, s3
	v_and_b32_e32 v8, 0x7f800000, v72
	s_delay_alu instid0(VALU_DEP_1) | instskip(SKIP_1) | instid1(SALU_CYCLE_1)
	v_cmp_ne_u32_e32 vcc_lo, 0x7f800000, v8
                                        ; implicit-def: $vgpr8
	s_and_saveexec_b32 s3, vcc_lo
	s_xor_b32 s3, exec_lo, s3
; %bb.107:
	v_bfe_u32 v8, v72, 16, 1
	s_delay_alu instid0(VALU_DEP_1)
	v_add3_u32 v8, v72, v8, 0x7fff
                                        ; implicit-def: $vgpr65_vgpr66_vgpr67_vgpr68_vgpr69_vgpr70_vgpr71_vgpr72
; %bb.108:
	s_and_not1_saveexec_b32 s3, s3
; %bb.109:
	v_and_b32_e32 v8, 0xffff, v72
	v_or_b32_e32 v9, 0x10000, v72
	s_delay_alu instid0(VALU_DEP_2) | instskip(NEXT) | instid1(VALU_DEP_2)
	v_cmp_eq_u32_e32 vcc_lo, 0, v8
	v_cndmask_b32_e32 v8, v9, v72, vcc_lo
; %bb.110:
	s_or_b32 exec_lo, exec_lo, s3
	s_delay_alu instid0(VALU_DEP_1)
	v_perm_b32 v7, v8, v7, 0x7060302
	v_perm_b32 v6, v6, v5, 0x7060302
	;; [unrolled: 1-line block ×4, first 2 shown]
	s_barrier
	buffer_gl0_inv
	v_cmp_eq_u32_e32 vcc_lo, 1, v78
	ds_store_b128 v76, v[4:7]
	s_waitcnt lgkmcnt(0)
	s_barrier
	buffer_gl0_inv
	ds_load_b128 v[1:4], v82
	ds_load_b128 v[5:8], v82 offset:16
	v_cmp_eq_u32_e64 s3, 1, v79
	v_cmp_eq_u32_e64 s4, 2, v78
	v_cmp_eq_u32_e64 s5, 3, v78
	v_cmp_eq_u32_e64 s7, 2, v77
	v_cmp_eq_u32_e64 s6, 7, v79
	s_waitcnt lgkmcnt(1)
	v_lshrrev_b32_e32 v9, 16, v1
	s_waitcnt lgkmcnt(0)
	v_lshrrev_b32_e32 v13, 16, v5
	v_lshrrev_b32_e32 v10, 16, v2
	;; [unrolled: 1-line block ×4, first 2 shown]
	v_cndmask_b32_e64 v19, v1, v9, s3
	v_cndmask_b32_e32 v18, v5, v13, vcc_lo
	v_cndmask_b32_e64 v20, v5, v13, s3
	v_cndmask_b32_e32 v17, v1, v9, vcc_lo
	v_cmp_eq_u32_e32 vcc_lo, 2, v79
	v_lshrrev_b32_e32 v15, 16, v7
	v_cmp_eq_u32_e64 s3, 1, v77
	v_lshrrev_b32_e32 v12, 16, v4
	v_lshrrev_b32_e32 v16, 16, v8
	v_cndmask_b32_e32 v20, v20, v6, vcc_lo
	v_cndmask_b32_e64 v17, v17, v2, s4
	v_cndmask_b32_e32 v19, v19, v2, vcc_lo
	v_cndmask_b32_e64 v18, v18, v6, s4
	v_cmp_eq_u32_e32 vcc_lo, 4, v78
	v_cmp_eq_u32_e64 s4, 3, v79
	v_cndmask_b32_e64 v17, v17, v10, s5
	v_cndmask_b32_e64 v21, v1, v9, s3
	;; [unrolled: 1-line block ×5, first 2 shown]
	v_cndmask_b32_e32 v17, v17, v3, vcc_lo
	v_cndmask_b32_e64 v20, v20, v14, s4
	v_cndmask_b32_e32 v18, v18, v7, vcc_lo
	v_cmp_eq_u32_e32 vcc_lo, 4, v79
	v_cmp_eq_u32_e64 s4, 5, v79
	v_cmp_eq_u32_e64 s3, 2, v81
	v_cndmask_b32_e64 v21, v21, v2, s7
	v_cmp_eq_u32_e64 s5, 5, v78
	v_cndmask_b32_e32 v19, v19, v3, vcc_lo
	v_cndmask_b32_e32 v20, v20, v7, vcc_lo
	v_cmp_eq_u32_e32 vcc_lo, 6, v79
	s_delay_alu instid0(VALU_DEP_4) | instskip(NEXT) | instid1(VALU_DEP_4)
	v_cndmask_b32_e64 v17, v17, v11, s5
	v_cndmask_b32_e64 v19, v19, v11, s4
	s_delay_alu instid0(VALU_DEP_4) | instskip(SKIP_1) | instid1(VALU_DEP_3)
	v_cndmask_b32_e64 v20, v20, v15, s4
	v_cmp_eq_u32_e64 s4, 1, v81
	v_cndmask_b32_e32 v19, v19, v4, vcc_lo
	v_cndmask_b32_e64 v18, v18, v15, s5
	s_delay_alu instid0(VALU_DEP_3)
	v_cndmask_b32_e64 v1, v1, v9, s4
	v_cndmask_b32_e64 v5, v5, v13, s4
	v_cmp_eq_u32_e64 s4, 3, v77
	v_cndmask_b32_e64 v13, v22, v6, s7
	v_cmp_eq_u32_e64 s7, 3, v81
	v_cndmask_b32_e64 v1, v1, v2, s3
	v_cndmask_b32_e64 v2, v5, v6, s3
	;; [unrolled: 1-line block ×3, first 2 shown]
	v_cmp_eq_u32_e64 s3, 4, v77
	v_cndmask_b32_e64 v6, v13, v14, s4
	v_cndmask_b32_e64 v1, v1, v10, s7
	v_cmp_eq_u32_e64 s4, 4, v81
	v_cndmask_b32_e64 v2, v2, v14, s7
	v_cndmask_b32_e64 v5, v9, v3, s3
	;; [unrolled: 3-line block ×3, first 2 shown]
	v_cndmask_b32_e64 v2, v2, v7, s4
	v_cmp_eq_u32_e64 s3, 5, v81
	v_cmp_eq_u32_e64 s5, 6, v78
	v_cndmask_b32_e64 v5, v5, v11, s7
	v_cmp_eq_u32_e64 s4, 6, v77
	v_cndmask_b32_e64 v3, v6, v15, s7
	v_cndmask_b32_e64 v1, v1, v11, s3
	v_cmp_eq_u32_e64 s7, 6, v81
	v_cndmask_b32_e64 v2, v2, v15, s3
	v_cndmask_b32_e64 v17, v17, v4, s5
	v_cndmask_b32_e64 v18, v18, v8, s5
	v_cmp_eq_u32_e64 s5, 7, v78
	v_cndmask_b32_e64 v5, v5, v4, s4
	;; [unrolled: 4-line block ×3, first 2 shown]
	v_cmp_eq_u32_e64 s4, 7, v77
	v_cndmask_b32_e32 v4, v20, v8, vcc_lo
	v_cndmask_b32_e64 v17, v17, v12, s5
	v_cndmask_b32_e64 v19, v19, v12, s6
	;; [unrolled: 1-line block ×8, first 2 shown]
	s_mov_b32 s3, exec_lo
	v_perm_b32 v4, v2, v1, 0x5040100
	v_perm_b32 v3, v3, v5, 0x5040100
	;; [unrolled: 1-line block ×4, first 2 shown]
	ds_store_b128 v76, v[1:4]
	s_waitcnt lgkmcnt(0)
	s_barrier
	buffer_gl0_inv
	v_cmpx_gt_u32_e32 32, v0
	s_cbranch_execz .LBB1830_2
; %bb.111:
	s_load_b64 s[4:5], s[0:1], 0x68
	v_lshlrev_b32_e32 v0, 10, v0
	v_lshlrev_b32_e32 v1, 4, v75
	s_lshl_b32 s0, s34, 7
	v_add_nc_u32_e32 v2, s31, v74
	s_mul_i32 s1, s0, s30
	s_delay_alu instid0(SALU_CYCLE_1) | instskip(SKIP_1) | instid1(VALU_DEP_2)
	s_mul_i32 s6, s1, s8
	v_and_or_b32 v0, 0x3800, v0, v1
	v_mul_lo_u32 v1, v2, s0
	s_ashr_i32 s7, s6, 31
	v_add_nc_u32_e32 v3, 2, v2
	s_lshl_b64 s[6:7], s[6:7], 1
	v_add_nc_u32_e32 v4, 4, v2
	v_add_nc_u32_e32 v5, 6, v2
	v_lshl_or_b32 v15, v74, 6, v0
	v_mul_lo_u32 v3, v3, s0
	v_ashrrev_i32_e32 v2, 31, v1
	v_mul_lo_u32 v19, v4, s0
	v_mul_lo_u32 v21, v5, s0
	s_waitcnt lgkmcnt(0)
	s_add_u32 s1, s4, s6
	s_addc_u32 s3, s5, s7
	s_lshl_b32 s4, s14, 7
	v_lshlrev_b64 v[5:6], 1, v[1:2]
	s_ashr_i32 s5, s4, 31
	v_ashrrev_i32_e32 v4, 31, v3
	s_lshl_b64 s[4:5], s[4:5], 1
	v_ashrrev_i32_e32 v20, 31, v19
	s_add_u32 s1, s1, s4
	s_addc_u32 s3, s3, s5
	v_add_co_u32 v1, s1, s1, v73
	s_delay_alu instid0(VALU_DEP_1) | instskip(SKIP_1) | instid1(VALU_DEP_3)
	v_add_co_ci_u32_e64 v2, null, s3, 0, s1
	v_lshlrev_b64 v[25:26], 1, v[3:4]
	v_add_co_u32 v23, vcc_lo, v1, v5
	s_delay_alu instid0(VALU_DEP_3)
	v_add_co_ci_u32_e32 v24, vcc_lo, v2, v6, vcc_lo
	ds_load_b128 v[3:6], v15
	ds_load_b128 v[7:10], v15 offset:128
	ds_load_b128 v[11:14], v15 offset:256
	;; [unrolled: 1-line block ×3, first 2 shown]
	v_ashrrev_i32_e32 v22, 31, v21
	v_lshlrev_b64 v[19:20], 1, v[19:20]
	v_add_co_u32 v25, vcc_lo, v1, v25
	v_add_co_ci_u32_e32 v26, vcc_lo, v2, v26, vcc_lo
	s_delay_alu instid0(VALU_DEP_4) | instskip(NEXT) | instid1(VALU_DEP_4)
	v_lshlrev_b64 v[21:22], 1, v[21:22]
	v_add_co_u32 v19, vcc_lo, v1, v19
	v_add_co_ci_u32_e32 v20, vcc_lo, v2, v20, vcc_lo
	s_delay_alu instid0(VALU_DEP_3) | instskip(NEXT) | instid1(VALU_DEP_4)
	v_add_co_u32 v21, vcc_lo, v1, v21
	v_add_co_ci_u32_e32 v22, vcc_lo, v2, v22, vcc_lo
	s_waitcnt lgkmcnt(3)
	global_store_b128 v[23:24], v[3:6], off
	s_waitcnt lgkmcnt(2)
	global_store_b128 v[25:26], v[7:10], off
	;; [unrolled: 2-line block ×4, first 2 shown]
	s_and_b32 exec_lo, exec_lo, s2
	s_cbranch_execz .LBB1830_2
; %bb.112:
	ds_load_b128 v[3:6], v0 offset:512
	s_add_i32 s1, s31, 8
	s_delay_alu instid0(SALU_CYCLE_1) | instskip(NEXT) | instid1(SALU_CYCLE_1)
	s_mul_i32 s0, s1, s0
	s_ashr_i32 s1, s0, 31
	s_delay_alu instid0(SALU_CYCLE_1) | instskip(NEXT) | instid1(SALU_CYCLE_1)
	s_lshl_b64 s[0:1], s[0:1], 1
	v_add_co_u32 v0, vcc_lo, v1, s0
	v_add_co_ci_u32_e32 v1, vcc_lo, s1, v2, vcc_lo
	s_waitcnt lgkmcnt(0)
	global_store_b128 v[0:1], v[3:6], off
	s_nop 0
	s_sendmsg sendmsg(MSG_DEALLOC_VGPRS)
	s_endpgm
	.section	.rodata,"a",@progbits
	.p2align	6, 0x0
	.amdhsa_kernel _Z39paged_attention_ll4mi_QKV_mfma16_kernelI14__hip_bfloat16hLN4vllm18Fp8KVCacheDataTypeE1ES0_Li16ELi128ELi256ELb1ELi9EL8MFMAType0EEvPKT_PKT0_S9_ifPKiSB_SB_iPKfiiiPfSE_PS4_PT2_iSD_SD_
		.amdhsa_group_segment_fixed_size 17472
		.amdhsa_private_segment_fixed_size 0
		.amdhsa_kernarg_size 400
		.amdhsa_user_sgpr_count 13
		.amdhsa_user_sgpr_dispatch_ptr 0
		.amdhsa_user_sgpr_queue_ptr 0
		.amdhsa_user_sgpr_kernarg_segment_ptr 1
		.amdhsa_user_sgpr_dispatch_id 0
		.amdhsa_user_sgpr_private_segment_size 0
		.amdhsa_wavefront_size32 1
		.amdhsa_uses_dynamic_stack 0
		.amdhsa_enable_private_segment 0
		.amdhsa_system_sgpr_workgroup_id_x 1
		.amdhsa_system_sgpr_workgroup_id_y 1
		.amdhsa_system_sgpr_workgroup_id_z 1
		.amdhsa_system_sgpr_workgroup_info 0
		.amdhsa_system_vgpr_workitem_id 0
		.amdhsa_next_free_vgpr 140
		.amdhsa_next_free_sgpr 36
		.amdhsa_reserve_vcc 1
		.amdhsa_float_round_mode_32 0
		.amdhsa_float_round_mode_16_64 0
		.amdhsa_float_denorm_mode_32 3
		.amdhsa_float_denorm_mode_16_64 3
		.amdhsa_dx10_clamp 1
		.amdhsa_ieee_mode 1
		.amdhsa_fp16_overflow 0
		.amdhsa_workgroup_processor_mode 1
		.amdhsa_memory_ordered 1
		.amdhsa_forward_progress 0
		.amdhsa_shared_vgpr_count 0
		.amdhsa_exception_fp_ieee_invalid_op 0
		.amdhsa_exception_fp_denorm_src 0
		.amdhsa_exception_fp_ieee_div_zero 0
		.amdhsa_exception_fp_ieee_overflow 0
		.amdhsa_exception_fp_ieee_underflow 0
		.amdhsa_exception_fp_ieee_inexact 0
		.amdhsa_exception_int_div_zero 0
	.end_amdhsa_kernel
	.section	.text._Z39paged_attention_ll4mi_QKV_mfma16_kernelI14__hip_bfloat16hLN4vllm18Fp8KVCacheDataTypeE1ES0_Li16ELi128ELi256ELb1ELi9EL8MFMAType0EEvPKT_PKT0_S9_ifPKiSB_SB_iPKfiiiPfSE_PS4_PT2_iSD_SD_,"axG",@progbits,_Z39paged_attention_ll4mi_QKV_mfma16_kernelI14__hip_bfloat16hLN4vllm18Fp8KVCacheDataTypeE1ES0_Li16ELi128ELi256ELb1ELi9EL8MFMAType0EEvPKT_PKT0_S9_ifPKiSB_SB_iPKfiiiPfSE_PS4_PT2_iSD_SD_,comdat
.Lfunc_end1830:
	.size	_Z39paged_attention_ll4mi_QKV_mfma16_kernelI14__hip_bfloat16hLN4vllm18Fp8KVCacheDataTypeE1ES0_Li16ELi128ELi256ELb1ELi9EL8MFMAType0EEvPKT_PKT0_S9_ifPKiSB_SB_iPKfiiiPfSE_PS4_PT2_iSD_SD_, .Lfunc_end1830-_Z39paged_attention_ll4mi_QKV_mfma16_kernelI14__hip_bfloat16hLN4vllm18Fp8KVCacheDataTypeE1ES0_Li16ELi128ELi256ELb1ELi9EL8MFMAType0EEvPKT_PKT0_S9_ifPKiSB_SB_iPKfiiiPfSE_PS4_PT2_iSD_SD_
                                        ; -- End function
	.section	.AMDGPU.csdata,"",@progbits
; Kernel info:
; codeLenInByte = 8940
; NumSgprs: 38
; NumVgprs: 140
; ScratchSize: 0
; MemoryBound: 0
; FloatMode: 240
; IeeeMode: 1
; LDSByteSize: 17472 bytes/workgroup (compile time only)
; SGPRBlocks: 4
; VGPRBlocks: 17
; NumSGPRsForWavesPerEU: 38
; NumVGPRsForWavesPerEU: 140
; Occupancy: 10
; WaveLimiterHint : 1
; COMPUTE_PGM_RSRC2:SCRATCH_EN: 0
; COMPUTE_PGM_RSRC2:USER_SGPR: 13
; COMPUTE_PGM_RSRC2:TRAP_HANDLER: 0
; COMPUTE_PGM_RSRC2:TGID_X_EN: 1
; COMPUTE_PGM_RSRC2:TGID_Y_EN: 1
; COMPUTE_PGM_RSRC2:TGID_Z_EN: 1
; COMPUTE_PGM_RSRC2:TIDIG_COMP_CNT: 0
	.section	.text._Z39paged_attention_ll4mi_QKV_mfma16_kernelI14__hip_bfloat16hLN4vllm18Fp8KVCacheDataTypeE1ES0_Li16ELi128ELi256ELb1ELi10EL8MFMAType0EEvPKT_PKT0_S9_ifPKiSB_SB_iPKfiiiPfSE_PS4_PT2_iSD_SD_,"axG",@progbits,_Z39paged_attention_ll4mi_QKV_mfma16_kernelI14__hip_bfloat16hLN4vllm18Fp8KVCacheDataTypeE1ES0_Li16ELi128ELi256ELb1ELi10EL8MFMAType0EEvPKT_PKT0_S9_ifPKiSB_SB_iPKfiiiPfSE_PS4_PT2_iSD_SD_,comdat
	.protected	_Z39paged_attention_ll4mi_QKV_mfma16_kernelI14__hip_bfloat16hLN4vllm18Fp8KVCacheDataTypeE1ES0_Li16ELi128ELi256ELb1ELi10EL8MFMAType0EEvPKT_PKT0_S9_ifPKiSB_SB_iPKfiiiPfSE_PS4_PT2_iSD_SD_ ; -- Begin function _Z39paged_attention_ll4mi_QKV_mfma16_kernelI14__hip_bfloat16hLN4vllm18Fp8KVCacheDataTypeE1ES0_Li16ELi128ELi256ELb1ELi10EL8MFMAType0EEvPKT_PKT0_S9_ifPKiSB_SB_iPKfiiiPfSE_PS4_PT2_iSD_SD_
	.globl	_Z39paged_attention_ll4mi_QKV_mfma16_kernelI14__hip_bfloat16hLN4vllm18Fp8KVCacheDataTypeE1ES0_Li16ELi128ELi256ELb1ELi10EL8MFMAType0EEvPKT_PKT0_S9_ifPKiSB_SB_iPKfiiiPfSE_PS4_PT2_iSD_SD_
	.p2align	8
	.type	_Z39paged_attention_ll4mi_QKV_mfma16_kernelI14__hip_bfloat16hLN4vllm18Fp8KVCacheDataTypeE1ES0_Li16ELi128ELi256ELb1ELi10EL8MFMAType0EEvPKT_PKT0_S9_ifPKiSB_SB_iPKfiiiPfSE_PS4_PT2_iSD_SD_,@function
_Z39paged_attention_ll4mi_QKV_mfma16_kernelI14__hip_bfloat16hLN4vllm18Fp8KVCacheDataTypeE1ES0_Li16ELi128ELi256ELb1ELi10EL8MFMAType0EEvPKT_PKT0_S9_ifPKiSB_SB_iPKfiiiPfSE_PS4_PT2_iSD_SD_: ; @_Z39paged_attention_ll4mi_QKV_mfma16_kernelI14__hip_bfloat16hLN4vllm18Fp8KVCacheDataTypeE1ES0_Li16ELi128ELi256ELb1ELi10EL8MFMAType0EEvPKT_PKT0_S9_ifPKiSB_SB_iPKfiiiPfSE_PS4_PT2_iSD_SD_
; %bb.0:
	s_load_b64 s[4:5], s[0:1], 0x30
	s_mov_b32 s30, s13
	s_waitcnt lgkmcnt(0)
	s_cmp_lg_u64 s[4:5], 0
	s_cselect_b32 s13, -1, 0
	s_ashr_i32 s31, s30, 31
	s_cmp_eq_u64 s[4:5], 0
	s_cbranch_scc1 .LBB1831_3
; %bb.1:
	s_lshl_b64 s[2:3], s[30:31], 2
	s_delay_alu instid0(SALU_CYCLE_1) | instskip(SKIP_4) | instid1(SALU_CYCLE_1)
	s_add_u32 s2, s4, s2
	s_addc_u32 s3, s5, s3
	s_load_b64 s[2:3], s[2:3], 0x0
	s_waitcnt lgkmcnt(0)
	s_sub_i32 s2, s3, s2
	s_cmp_eq_u32 s2, 1
	s_cselect_b32 s2, -1, 0
	s_delay_alu instid0(SALU_CYCLE_1)
	s_and_not1_b32 vcc_lo, exec_lo, s2
	s_cbranch_vccz .LBB1831_4
.LBB1831_2:
	s_endpgm
.LBB1831_3:
.LBB1831_4:
	s_load_b64 s[2:3], s[0:1], 0x28
	s_lshl_b64 s[6:7], s[30:31], 2
	s_waitcnt lgkmcnt(0)
	s_add_u32 s2, s2, s6
	s_addc_u32 s3, s3, s7
	s_lshl_b32 s12, s14, 8
	s_load_b32 s17, s[2:3], 0x0
	s_waitcnt lgkmcnt(0)
	s_cmp_ge_i32 s12, s17
	s_cbranch_scc1 .LBB1831_2
; %bb.5:
	s_clause 0x1
	s_load_b128 s[8:11], s[0:1], 0x8
	s_load_b64 s[2:3], s[0:1], 0x20
	s_and_not1_b32 vcc_lo, exec_lo, s13
	s_cbranch_vccnz .LBB1831_7
; %bb.6:
	s_add_u32 s4, s4, s6
	s_addc_u32 s5, s5, s7
	s_load_b32 s13, s[4:5], 0x0
	s_branch .LBB1831_8
.LBB1831_7:
	s_mov_b32 s13, s30
.LBB1831_8:
	s_load_b128 s[4:7], s[0:1], 0x48
	v_and_b32_e32 v65, 15, v0
	v_lshrrev_b32_e32 v66, 5, v0
	v_and_b32_e32 v67, 31, v0
	v_and_b32_e32 v75, 1, v0
	v_bfe_u32 v74, v0, 4, 1
	v_lshlrev_b32_e32 v1, 3, v65
	s_mul_i32 s29, s15, 10
	s_waitcnt lgkmcnt(0)
	s_mov_b32 s7, exec_lo
	s_delay_alu instid0(VALU_DEP_1)
	v_lshlrev_b32_e32 v73, 1, v1
	v_cmpx_gt_u32_e32 0xa0, v0
	s_cbranch_execz .LBB1831_10
; %bb.9:
	s_load_b64 s[18:19], s[0:1], 0x0
	v_lshl_or_b32 v5, v66, 1, v74
	s_mul_hi_i32 s21, s13, s4
	s_mul_i32 s20, s13, s4
	v_lshlrev_b32_e32 v6, 10, v65
	s_lshl_b64 s[20:21], s[20:21], 1
	v_add_lshl_u32 v1, v5, s29, 7
	v_lshlrev_b32_e32 v5, 6, v5
	v_lshlrev_b32_e32 v7, 10, v75
	v_and_b32_e32 v6, 0x3800, v6
	s_delay_alu instid0(VALU_DEP_4) | instskip(NEXT) | instid1(VALU_DEP_2)
	v_ashrrev_i32_e32 v2, 31, v1
	v_or3_b32 v5, v6, v7, v5
	s_delay_alu instid0(VALU_DEP_2) | instskip(SKIP_3) | instid1(VALU_DEP_1)
	v_lshlrev_b64 v[1:2], 1, v[1:2]
	s_waitcnt lgkmcnt(0)
	s_add_u32 s4, s18, s20
	s_addc_u32 s13, s19, s21
	v_add_co_u32 v1, vcc_lo, s4, v1
	s_delay_alu instid0(VALU_DEP_2) | instskip(NEXT) | instid1(VALU_DEP_2)
	v_add_co_ci_u32_e32 v2, vcc_lo, s13, v2, vcc_lo
	v_add_co_u32 v1, vcc_lo, v1, v73
	s_delay_alu instid0(VALU_DEP_2)
	v_add_co_ci_u32_e32 v2, vcc_lo, 0, v2, vcc_lo
	global_load_b128 v[1:4], v[1:2], off
	s_waitcnt vmcnt(0)
	ds_store_b128 v5, v[1:4]
.LBB1831_10:
	s_or_b32 exec_lo, exec_lo, s7
	v_and_b32_e32 v1, 0xef, v0
	s_add_i32 s4, s17, 15
	s_clause 0x1
	s_load_b32 s7, s[0:1], 0x38
	s_load_b32 s18, s[0:1], 0x1c
	s_ashr_i32 s13, s4, 31
	v_add_nc_u32_e32 v1, s12, v1
	s_lshr_b32 s13, s13, 28
	s_waitcnt lgkmcnt(0)
	s_add_i32 s4, s4, s13
	s_barrier
	v_ashrrev_i32_e32 v2, 31, v1
	v_or_b32_e32 v3, 16, v1
	s_ashr_i32 s4, s4, 4
	v_cmp_gt_i32_e32 vcc_lo, s17, v1
	s_add_i32 s4, s4, -1
	v_lshrrev_b32_e32 v2, 28, v2
	buffer_gl0_inv
	s_mul_i32 s15, s15, s6
	v_add_nc_u32_e32 v4, v1, v2
	s_mul_i32 s20, s30, s7
	s_delay_alu instid0(SALU_CYCLE_1) | instskip(NEXT) | instid1(VALU_DEP_1)
	s_ashr_i32 s21, s20, 31
	v_ashrrev_i32_e32 v4, 4, v4
	v_add_nc_u32_e32 v2, v3, v2
	s_lshl_b64 s[20:21], s[20:21], 2
	s_delay_alu instid0(SALU_CYCLE_1) | instskip(NEXT) | instid1(VALU_DEP_2)
	s_add_u32 s13, s2, s20
	v_cndmask_b32_e32 v1, s4, v4, vcc_lo
	s_delay_alu instid0(VALU_DEP_2)
	v_ashrrev_i32_e32 v2, 4, v2
	v_cmp_gt_i32_e32 vcc_lo, s17, v3
	s_addc_u32 s16, s3, s21
	s_ashr_i32 s19, s15, 31
	s_add_u32 s26, s8, s15
	s_addc_u32 s27, s9, s19
	v_cndmask_b32_e32 v3, s4, v2, vcc_lo
	v_ashrrev_i32_e32 v2, 31, v1
	s_lshl_b32 s2, s14, 4
	s_delay_alu instid0(SALU_CYCLE_1) | instskip(NEXT) | instid1(VALU_DEP_2)
	s_ashr_i32 s3, s2, 31
	v_ashrrev_i32_e32 v4, 31, v3
	s_delay_alu instid0(VALU_DEP_2) | instskip(SKIP_1) | instid1(SALU_CYCLE_1)
	v_lshlrev_b64 v[1:2], 2, v[1:2]
	s_lshl_b64 s[2:3], s[2:3], 2
	s_add_u32 s2, s13, s2
	s_delay_alu instid0(VALU_DEP_2) | instskip(SKIP_1) | instid1(VALU_DEP_2)
	v_lshlrev_b64 v[3:4], 2, v[3:4]
	s_addc_u32 s3, s16, s3
	v_add_co_u32 v1, vcc_lo, s13, v1
	v_add_co_ci_u32_e32 v2, vcc_lo, s16, v2, vcc_lo
	s_delay_alu instid0(VALU_DEP_3) | instskip(NEXT) | instid1(VALU_DEP_4)
	v_add_co_u32 v3, vcc_lo, s13, v3
	v_add_co_ci_u32_e32 v4, vcc_lo, s16, v4, vcc_lo
	s_clause 0x1
	global_load_b32 v5, v[1:2], off
	global_load_b32 v3, v[3:4], off
	s_or_b32 s6, s12, 32
	v_cmp_gt_u32_e32 vcc_lo, 10, v65
	s_ashr_i32 s7, s6, 4
	s_cmp_lt_i32 s6, s17
	s_cselect_b32 s6, s7, s4
	s_delay_alu instid0(SALU_CYCLE_1) | instskip(NEXT) | instid1(SALU_CYCLE_1)
	s_ashr_i32 s7, s6, 31
	s_lshl_b64 s[6:7], s[6:7], 2
	s_delay_alu instid0(SALU_CYCLE_1) | instskip(SKIP_2) | instid1(SALU_CYCLE_1)
	s_add_u32 s6, s13, s6
	s_addc_u32 s7, s16, s7
	s_or_b32 s8, s12, 64
	s_ashr_i32 s9, s8, 4
	s_cmp_lt_i32 s8, s17
	s_cselect_b32 s8, s9, s4
	s_delay_alu instid0(SALU_CYCLE_1) | instskip(NEXT) | instid1(SALU_CYCLE_1)
	s_ashr_i32 s9, s8, 31
	s_lshl_b64 s[8:9], s[8:9], 2
	s_delay_alu instid0(SALU_CYCLE_1) | instskip(SKIP_2) | instid1(SALU_CYCLE_1)
	s_add_u32 s8, s13, s8
	s_addc_u32 s9, s16, s9
	s_or_b32 s20, s12, 0x60
	;; [unrolled: 10-line block ×4, first 2 shown]
	s_ashr_i32 s25, s24, 4
	s_cmp_lt_i32 s24, s17
	s_cselect_b32 s24, s25, s4
	s_delay_alu instid0(SALU_CYCLE_1) | instskip(NEXT) | instid1(SALU_CYCLE_1)
	s_ashr_i32 s25, s24, 31
	s_lshl_b64 s[24:25], s[24:25], 2
	s_delay_alu instid0(SALU_CYCLE_1)
	s_add_u32 s24, s13, s24
	s_addc_u32 s25, s16, s25
	s_clause 0x5
	s_load_b32 s28, s[2:3], 0x0
	s_load_b32 s31, s[6:7], 0x0
	;; [unrolled: 1-line block ×6, first 2 shown]
	s_mov_b32 s20, 0
	s_or_b32 s2, s12, 0xc0
	s_mov_b32 s21, s20
	s_mov_b32 s22, s20
	;; [unrolled: 1-line block ×5, first 2 shown]
	v_lshlrev_b32_e32 v1, 4, v0
	s_ashr_i32 s3, s2, 4
	s_cmp_lt_i32 s2, s17
	s_cselect_b32 s2, s3, s4
	s_delay_alu instid0(VALU_DEP_1) | instskip(SKIP_1) | instid1(SALU_CYCLE_1)
	v_and_b32_e32 v1, 0xf0, v1
	s_ashr_i32 s3, s2, 31
	s_lshl_b64 s[2:3], s[2:3], 2
	s_delay_alu instid0(VALU_DEP_1) | instskip(NEXT) | instid1(VALU_DEP_1)
	v_add_co_u32 v1, s26, s26, v1
	v_add_co_ci_u32_e64 v2, null, s27, 0, s26
	s_add_u32 s2, s13, s2
	s_addc_u32 s3, s16, s3
	s_or_b32 s6, s12, 0xe0
	s_mov_b32 s27, s20
	s_ashr_i32 s7, s6, 4
	s_cmp_lt_i32 s6, s17
	s_mov_b32 s26, s20
	v_dual_mov_b32 v107, s27 :: v_dual_mov_b32 v100, s20
	s_cselect_b32 s6, s7, s4
	v_mov_b32_e32 v106, s26
	s_ashr_i32 s7, s6, 31
	v_mov_b32_e32 v104, s24
	s_lshl_b64 s[6:7], s[6:7], 2
	v_dual_mov_b32 v103, s23 :: v_dual_mov_b32 v102, s22
	v_mov_b32_e32 v101, s21
	s_waitcnt vmcnt(1)
	v_mad_i64_i32 v[33:34], null, v5, s5, v[1:2]
	s_waitcnt vmcnt(0)
	v_mad_i64_i32 v[35:36], null, v3, s5, v[1:2]
	s_clause 0xf
	global_load_b128 v[1:4], v[33:34], off
	global_load_b128 v[5:8], v[33:34], off offset:256
	global_load_b128 v[9:12], v[35:36], off
	global_load_b128 v[13:16], v[35:36], off offset:256
	global_load_b128 v[17:20], v[33:34], off offset:512
	;; [unrolled: 1-line block ×13, first 2 shown]
	v_add_nc_u32_e32 v33, -10, v65
	v_lshlrev_b32_e32 v34, 4, v65
	s_delay_alu instid0(VALU_DEP_2) | instskip(SKIP_1) | instid1(VALU_DEP_3)
	v_cndmask_b32_e32 v33, v33, v65, vcc_lo
	v_mov_b32_e32 v105, s25
	v_lshl_or_b32 v41, v66, 8, v34
	s_delay_alu instid0(VALU_DEP_3)
	v_lshlrev_b32_e32 v72, 6, v33
	ds_load_b128 v[33:36], v72
	ds_load_b128 v[37:40], v72 offset:1024
	ds_load_b128 v[108:111], v72 offset:2048
	;; [unrolled: 1-line block ×3, first 2 shown]
	s_load_b32 s4, s[2:3], 0x0
	s_add_u32 s2, s13, s6
	s_addc_u32 s3, s16, s7
	ds_load_b128 v[116:119], v72 offset:4096
	ds_load_b128 v[120:123], v72 offset:5120
	s_load_b32 s2, s[2:3], 0x0
	s_add_u32 s6, s10, s15
	s_addc_u32 s7, s11, s19
	v_add_co_u32 v68, s6, s6, v41
	s_delay_alu instid0(VALU_DEP_1) | instskip(SKIP_1) | instid1(VALU_DEP_1)
	v_add_co_ci_u32_e64 v69, null, s7, 0, s6
	s_waitcnt lgkmcnt(0)
	v_mad_i64_i32 v[41:42], null, s28, s5, v[68:69]
	v_mad_i64_i32 v[70:71], null, s8, s5, v[68:69]
	;; [unrolled: 1-line block ×7, first 2 shown]
	s_clause 0x3
	global_load_b128 v[49:52], v[41:42], off
	global_load_b128 v[53:56], v[41:42], off offset:16
	global_load_b128 v[41:44], v[45:46], off
	global_load_b128 v[45:48], v[45:46], off offset:16
	s_waitcnt vmcnt(18)
	v_wmma_f32_16x16x16_bf16 v[124:131], v[1:8], v[33:40], v[100:107]
	s_waitcnt vmcnt(16)
	v_wmma_f32_16x16x16_bf16 v[100:107], v[9:16], v[33:40], v[100:107]
	s_clause 0x1
	global_load_b128 v[33:36], v[70:71], off
	global_load_b128 v[37:40], v[70:71], off offset:16
	v_mad_i64_i32 v[70:71], null, s2, s5, v[68:69]
	s_waitcnt vmcnt(16)
	v_wmma_f32_16x16x16_bf16 v[124:131], v[17:24], v[108:115], v[124:131]
	s_waitcnt vmcnt(14)
	v_wmma_f32_16x16x16_bf16 v[100:107], v[25:32], v[108:115], v[100:107]
	s_clause 0x7
	global_load_b128 v[25:28], v[132:133], off
	global_load_b128 v[29:32], v[132:133], off offset:16
	global_load_b128 v[1:4], v[134:135], off
	global_load_b128 v[5:8], v[134:135], off offset:16
	;; [unrolled: 2-line block ×4, first 2 shown]
	s_waitcnt vmcnt(20)
	v_wmma_f32_16x16x16_bf16 v[124:131], v[57:64], v[116:123], v[124:131]
	s_clause 0x1
	global_load_b128 v[57:60], v[70:71], off
	global_load_b128 v[61:64], v[70:71], off offset:16
	s_waitcnt vmcnt(20)
	v_wmma_f32_16x16x16_bf16 v[100:107], v[76:83], v[116:123], v[100:107]
	ds_load_b128 v[76:79], v72 offset:6144
	ds_load_b128 v[80:83], v72 offset:7168
	v_and_b32_e32 v68, 0xe0, v0
	v_mbcnt_lo_u32_b32 v69, -1, 0
	s_waitcnt vmcnt(0) lgkmcnt(0)
	s_barrier
	buffer_gl0_inv
	v_add_nc_u32_e32 v68, s12, v68
	v_xor_b32_e32 v70, 16, v69
	s_delay_alu instid0(VALU_DEP_2) | instskip(NEXT) | instid1(VALU_DEP_2)
	v_or_b32_e32 v68, v68, v74
	v_cmp_gt_i32_e32 vcc_lo, 32, v70
	s_delay_alu instid0(VALU_DEP_2)
	v_or_b32_e32 v71, 4, v68
	v_or_b32_e32 v72, 6, v68
	v_cmp_gt_i32_e64 s2, s17, v68
	v_or_b32_e32 v108, 8, v68
	v_wmma_f32_16x16x16_bf16 v[124:131], v[84:91], v[76:83], v[124:131]
	v_cndmask_b32_e32 v69, v69, v70, vcc_lo
	v_or_b32_e32 v70, 2, v68
	v_wmma_f32_16x16x16_bf16 v[100:107], v[92:99], v[76:83], v[100:107]
	v_or_b32_e32 v109, 10, v68
	v_dual_mul_f32 v82, s18, v127 :: v_dual_mul_f32 v79, s18, v130
	v_dual_mul_f32 v92, s18, v125 :: v_dual_mul_f32 v93, s18, v124
	s_delay_alu instid0(VALU_DEP_4)
	v_mul_f32_e32 v98, s18, v103
	v_cmp_gt_i32_e32 vcc_lo, s17, v70
	v_or_b32_e32 v89, 22, v68
	v_dual_mul_f32 v83, s18, v126 :: v_dual_mul_f32 v96, s18, v105
	v_cndmask_b32_e64 v93, 0xff7fffff, v93, s2
	v_cndmask_b32_e32 v92, 0xff7fffff, v92, vcc_lo
	v_cmp_gt_i32_e64 s3, s17, v71
	v_cmp_gt_i32_e64 s4, s17, v72
	v_or_b32_e32 v84, 12, v68
	v_or_b32_e32 v85, 14, v68
	v_dual_mul_f32 v80, s18, v129 :: v_dual_mul_f32 v81, s18, v128
	v_mul_f32_e32 v94, s18, v107
	v_cndmask_b32_e64 v71, 0xff7fffff, v83, s3
	v_cndmask_b32_e64 v72, 0xff7fffff, v82, s4
	v_cmp_gt_i32_e64 s5, s17, v108
	v_cmp_gt_i32_e64 s6, s17, v109
	;; [unrolled: 1-line block ×3, first 2 shown]
	v_lshlrev_b32_e32 v89, 2, v69
	v_max3_f32 v82, v93, 0xff7fffff, v92
	v_or_b32_e32 v86, 16, v68
	v_or_b32_e32 v87, 18, v68
	v_mul_f32_e32 v78, s18, v131
	v_cndmask_b32_e64 v81, 0xff7fffff, v81, s5
	v_cndmask_b32_e64 v80, 0xff7fffff, v80, s6
	v_max3_f32 v71, v82, v71, v72
	v_cmp_gt_i32_e64 s7, s17, v84
	v_cmp_gt_i32_e64 s8, s17, v85
	v_or_b32_e32 v88, 20, v68
	v_or_b32_e32 v90, 24, v68
	;; [unrolled: 1-line block ×5, first 2 shown]
	v_dual_mul_f32 v95, s18, v106 :: v_dual_mul_f32 v70, s18, v101
	v_dual_mul_f32 v99, s18, v102 :: v_dual_mul_f32 v68, s18, v100
	v_cndmask_b32_e64 v72, 0xff7fffff, v79, s7
	v_cndmask_b32_e64 v78, 0xff7fffff, v78, s8
	v_max3_f32 v71, v71, v81, v80
	v_cmp_gt_i32_e64 s9, s17, v86
	v_cmp_gt_i32_e64 s10, s17, v87
	;; [unrolled: 1-line block ×3, first 2 shown]
	v_mul_f32_e32 v97, s18, v104
	v_max3_f32 v71, v71, v72, v78
	v_cndmask_b32_e64 v68, 0xff7fffff, v68, s9
	v_cndmask_b32_e64 v70, 0xff7fffff, v70, s10
	;; [unrolled: 1-line block ×4, first 2 shown]
	v_cmp_gt_i32_e64 s13, s17, v90
	v_cmp_gt_i32_e64 s15, s17, v91
	v_max3_f32 v68, v71, v68, v70
	v_cmp_gt_i32_e64 s16, s17, v76
	v_cmp_gt_i32_e64 s17, s17, v77
	v_cndmask_b32_e64 v70, 0xff7fffff, v97, s13
	v_cndmask_b32_e64 v71, 0xff7fffff, v96, s15
	v_max3_f32 v68, v68, v72, v78
	v_cndmask_b32_e64 v72, 0xff7fffff, v95, s16
	v_cndmask_b32_e64 v76, 0xff7fffff, v94, s17
	s_delay_alu instid0(VALU_DEP_3) | instskip(NEXT) | instid1(VALU_DEP_1)
	v_max3_f32 v68, v68, v70, v71
	v_max3_f32 v68, v68, v72, v76
	ds_bpermute_b32 v69, v89, v68
	s_waitcnt lgkmcnt(0)
	v_max_f32_e32 v69, v69, v69
	s_delay_alu instid0(VALU_DEP_1) | instskip(NEXT) | instid1(VALU_DEP_1)
	v_max_f32_e32 v68, v68, v69
	v_fma_f32 v69, s18, v124, -v68
	v_fma_f32 v70, s18, v125, -v68
	;; [unrolled: 1-line block ×5, first 2 shown]
	s_delay_alu instid0(VALU_DEP_4) | instskip(NEXT) | instid1(VALU_DEP_4)
	v_dual_mul_f32 v69, 0x3fb8aa3b, v69 :: v_dual_mul_f32 v70, 0x3fb8aa3b, v70
	v_mul_f32_e32 v72, 0x3fb8aa3b, v72
	v_fma_f32 v78, s18, v130, -v68
	s_delay_alu instid0(VALU_DEP_4) | instskip(NEXT) | instid1(VALU_DEP_4)
	v_mul_f32_e32 v77, 0x3fb8aa3b, v76
	v_exp_f32_e32 v69, v69
	v_exp_f32_e32 v70, v70
	v_mul_f32_e32 v71, 0x3fb8aa3b, v71
	v_exp_f32_e32 v72, v72
	v_mul_f32_e32 v78, 0x3fb8aa3b, v78
	v_exp_f32_e32 v77, v77
	v_fma_f32 v81, s18, v105, -v68
	s_delay_alu instid0(VALU_DEP_2)
	v_exp_f32_e32 v78, v78
	v_cndmask_b32_e64 v80, 0, v69, s2
	v_cndmask_b32_e32 v76, 0, v70, vcc_lo
	v_exp_f32_e32 v71, v71
	v_fma_f32 v69, s18, v129, -v68
	v_cndmask_b32_e64 v85, 0, v72, s4
	v_add_f32_e32 v70, 0, v80
	s_delay_alu instid0(TRANS32_DEP_3)
	v_cndmask_b32_e64 v86, 0, v77, s5
	v_fma_f32 v77, s18, v101, -v68
	v_mul_f32_e32 v69, 0x3fb8aa3b, v69
	v_fma_f32 v72, s18, v100, -v68
	v_cndmask_b32_e64 v84, 0, v78, s7
	v_fma_f32 v78, s18, v103, -v68
	v_cndmask_b32_e64 v83, 0, v71, s3
	v_fma_f32 v71, s18, v131, -v68
	v_add_f32_e32 v70, v70, v76
	v_exp_f32_e32 v69, v69
	v_mul_f32_e32 v77, 0x3fb8aa3b, v77
	v_mul_f32_e32 v81, 0x3fb8aa3b, v81
	;; [unrolled: 1-line block ×3, first 2 shown]
	v_add_f32_e32 v70, v70, v83
	s_mov_b32 s2, exec_lo
	v_exp_f32_e32 v77, v77
	v_exp_f32_e32 v81, v81
	;; [unrolled: 1-line block ×3, first 2 shown]
	v_cndmask_b32_e64 v87, 0, v69, s6
	v_add_f32_e32 v70, v70, v85
	s_delay_alu instid0(VALU_DEP_1) | instskip(SKIP_1) | instid1(VALU_DEP_2)
	v_dual_mul_f32 v72, 0x3fb8aa3b, v72 :: v_dual_add_f32 v69, v70, v86
	v_fma_f32 v70, s18, v102, -v68
	v_exp_f32_e32 v72, v72
	s_waitcnt_depctr 0xfff
	v_cndmask_b32_e64 v88, 0, v71, s8
	v_fma_f32 v71, s18, v104, -v68
	v_dual_add_f32 v69, v69, v87 :: v_dual_mul_f32 v70, 0x3fb8aa3b, v70
	s_delay_alu instid0(VALU_DEP_2) | instskip(NEXT) | instid1(VALU_DEP_2)
	v_dual_mul_f32 v78, 0x3fb8aa3b, v78 :: v_dual_mul_f32 v71, 0x3fb8aa3b, v71
	v_add_f32_e32 v69, v69, v84
	s_delay_alu instid0(VALU_DEP_3) | instskip(SKIP_1) | instid1(VALU_DEP_3)
	v_exp_f32_e32 v79, v70
	v_cndmask_b32_e64 v70, 0, v72, s9
	v_exp_f32_e32 v78, v78
	v_exp_f32_e32 v82, v71
	v_add_f32_e32 v72, v69, v88
	v_cndmask_b32_e64 v69, 0, v77, s10
	v_fma_f32 v77, s18, v106, -v68
	s_delay_alu instid0(VALU_DEP_3) | instskip(NEXT) | instid1(TRANS32_DEP_3)
	v_add_f32_e32 v72, v72, v70
	v_cndmask_b32_e64 v71, 0, v79, s11
	s_delay_alu instid0(VALU_DEP_3) | instskip(NEXT) | instid1(VALU_DEP_3)
	v_mul_f32_e32 v77, 0x3fb8aa3b, v77
	v_add_f32_e32 v79, v72, v69
	s_delay_alu instid0(TRANS32_DEP_2) | instskip(NEXT) | instid1(VALU_DEP_3)
	v_cndmask_b32_e64 v72, 0, v78, s12
	v_exp_f32_e32 v90, v77
	v_cndmask_b32_e64 v77, 0, v82, s13
	s_delay_alu instid0(VALU_DEP_3) | instskip(SKIP_1) | instid1(VALU_DEP_1)
	v_add_f32_e32 v78, v79, v71
	v_fma_f32 v79, s18, v107, -v68
	v_dual_add_f32 v82, v78, v72 :: v_dual_mul_f32 v79, 0x3fb8aa3b, v79
	v_cndmask_b32_e64 v78, 0, v81, s15
	s_delay_alu instid0(VALU_DEP_2) | instskip(NEXT) | instid1(VALU_DEP_3)
	v_add_f32_e32 v81, v82, v77
	v_exp_f32_e32 v82, v79
	s_delay_alu instid0(TRANS32_DEP_2) | instskip(NEXT) | instid1(VALU_DEP_2)
	v_cndmask_b32_e64 v79, 0, v90, s16
	v_add_f32_e32 v81, v81, v78
	s_delay_alu instid0(VALU_DEP_1) | instskip(SKIP_2) | instid1(VALU_DEP_1)
	v_add_f32_e32 v90, v81, v79
	s_waitcnt_depctr 0xfff
	v_cndmask_b32_e64 v81, 0, v82, s17
	v_add_f32_e32 v82, v90, v81
	ds_bpermute_b32 v89, v89, v82
	v_cmpx_gt_u32_e32 16, v67
	s_cbranch_execz .LBB1831_12
; %bb.11:
	v_mul_u32_u24_e32 v67, 0x44, v66
	s_delay_alu instid0(VALU_DEP_1) | instskip(SKIP_1) | instid1(VALU_DEP_1)
	v_lshl_add_u32 v67, v65, 2, v67
	s_waitcnt lgkmcnt(0)
	v_dual_add_f32 v82, v82, v89 :: v_dual_add_nc_u32 v67, 0x4000, v67
	ds_store_2addr_b32 v67, v68, v82 offset1:136
.LBB1831_12:
	s_or_b32 exec_lo, exec_lo, s2
	v_lshlrev_b32_e32 v67, 2, v65
	s_waitcnt lgkmcnt(0)
	s_barrier
	buffer_gl0_inv
	v_cmp_eq_u32_e32 vcc_lo, 1, v66
	v_add_nc_u32_e32 v82, 0x4000, v67
	v_cmp_eq_u32_e64 s2, 2, v66
	v_cmp_eq_u32_e64 s4, 7, v66
	ds_load_2addr_b32 v[89:90], v82 offset1:17
	ds_load_2addr_b32 v[91:92], v82 offset0:34 offset1:51
	ds_load_2addr_b32 v[93:94], v82 offset0:68 offset1:85
	;; [unrolled: 1-line block ×4, first 2 shown]
	s_waitcnt lgkmcnt(4)
	v_max3_f32 v67, v89, 0xff7fffff, v90
	s_waitcnt lgkmcnt(3)
	s_delay_alu instid0(VALU_DEP_1) | instskip(SKIP_1) | instid1(VALU_DEP_1)
	v_max3_f32 v67, v67, v91, v92
	s_waitcnt lgkmcnt(2)
	v_max3_f32 v67, v67, v93, v94
	s_waitcnt lgkmcnt(1)
	s_delay_alu instid0(VALU_DEP_1) | instskip(NEXT) | instid1(VALU_DEP_1)
	v_max3_f32 v67, v67, v95, v96
	v_sub_f32_e32 v93, v93, v67
	s_delay_alu instid0(VALU_DEP_1) | instskip(NEXT) | instid1(VALU_DEP_1)
	v_dual_sub_f32 v68, v89, v67 :: v_dual_mul_f32 v103, 0x3fb8aa3b, v93
	v_mul_f32_e32 v68, 0x3fb8aa3b, v68
	s_delay_alu instid0(VALU_DEP_1)
	v_exp_f32_e32 v100, v68
	v_sub_f32_e32 v68, v92, v67
	v_sub_f32_e32 v99, v90, v67
	ds_load_2addr_b32 v[89:90], v82 offset0:170 offset1:187
	v_dual_mul_f32 v102, 0x3fb8aa3b, v68 :: v_dual_mul_f32 v99, 0x3fb8aa3b, v99
	s_waitcnt lgkmcnt(1)
	v_fma_f32 v68, v100, v97, 0
	s_delay_alu instid0(VALU_DEP_2) | instskip(NEXT) | instid1(VALU_DEP_2)
	v_exp_f32_e32 v102, v102
	v_exp_f32_e32 v99, v99
	s_waitcnt_depctr 0xfff
	v_fmac_f32_e32 v68, v99, v98
	v_sub_f32_e32 v91, v91, v67
	s_delay_alu instid0(VALU_DEP_1)
	v_mul_f32_e32 v101, 0x3fb8aa3b, v91
	ds_load_2addr_b32 v[91:92], v82 offset0:204 offset1:221
	v_sub_f32_e32 v97, v94, v67
	ds_load_2addr_b32 v[93:94], v82 offset0:238 offset1:255
	s_waitcnt lgkmcnt(0)
	v_exp_f32_e32 v101, v101
	s_barrier
	buffer_gl0_inv
	v_dual_fmac_f32 v68, v101, v89 :: v_dual_sub_f32 v89, v96, v67
	v_dual_sub_f32 v82, v95, v67 :: v_dual_mul_f32 v95, 0x3fb8aa3b, v97
	v_exp_f32_e32 v97, v103
	s_delay_alu instid0(VALU_DEP_2) | instskip(NEXT) | instid1(VALU_DEP_2)
	v_dual_fmac_f32 v68, v102, v90 :: v_dual_mul_f32 v89, 0x3fb8aa3b, v89
	v_mul_f32_e32 v82, 0x3fb8aa3b, v82
	s_delay_alu instid0(VALU_DEP_3) | instskip(NEXT) | instid1(VALU_DEP_2)
	v_exp_f32_e32 v95, v95
	v_exp_f32_e32 v89, v89
	s_delay_alu instid0(VALU_DEP_1)
	v_exp_f32_e32 v82, v82
	v_fmac_f32_e32 v68, v97, v91
	s_delay_alu instid0(TRANS32_DEP_3) | instid1(VALU_DEP_1)
	v_fmac_f32_e32 v68, v95, v92
	s_waitcnt_depctr 0xfff
	v_fmac_f32_e32 v68, v82, v93
	s_delay_alu instid0(VALU_DEP_1) | instskip(NEXT) | instid1(VALU_DEP_1)
	v_fmac_f32_e32 v68, v89, v94
	v_add_f32_e32 v90, 0x358637bd, v68
	s_delay_alu instid0(VALU_DEP_1) | instskip(NEXT) | instid1(VALU_DEP_1)
	v_div_scale_f32 v91, null, v90, v90, 1.0
	v_rcp_f32_e32 v92, v91
	s_waitcnt_depctr 0xfff
	v_fma_f32 v93, -v91, v92, 1.0
	s_delay_alu instid0(VALU_DEP_1) | instskip(SKIP_1) | instid1(VALU_DEP_2)
	v_dual_fmac_f32 v92, v93, v92 :: v_dual_cndmask_b32 v93, v100, v99
	v_cmp_eq_u32_e32 vcc_lo, 3, v66
	v_cndmask_b32_e64 v93, v93, v101, s2
	v_cmp_eq_u32_e64 s2, 4, v66
	s_delay_alu instid0(VALU_DEP_2) | instskip(SKIP_1) | instid1(VALU_DEP_2)
	v_cndmask_b32_e32 v93, v93, v102, vcc_lo
	v_cmp_eq_u32_e32 vcc_lo, 5, v66
	v_cndmask_b32_e64 v93, v93, v97, s2
	v_cmp_eq_u32_e64 s2, 6, v66
	s_delay_alu instid0(VALU_DEP_2) | instskip(SKIP_1) | instid1(VALU_DEP_1)
	v_cndmask_b32_e32 v93, v93, v95, vcc_lo
	v_div_scale_f32 v94, s3, 1.0, v90, 1.0
	s_mov_b32 vcc_lo, s3
	s_delay_alu instid0(VALU_DEP_2) | instskip(NEXT) | instid1(VALU_DEP_2)
	v_cndmask_b32_e64 v82, v93, v82, s2
	v_mul_f32_e32 v96, v94, v92
	s_mov_b32 s2, exec_lo
	s_delay_alu instid0(VALU_DEP_2) | instskip(NEXT) | instid1(VALU_DEP_2)
	v_cndmask_b32_e64 v82, v82, v89, s4
	v_fma_f32 v98, -v91, v96, v94
	s_delay_alu instid0(VALU_DEP_1) | instskip(NEXT) | instid1(VALU_DEP_1)
	v_fmac_f32_e32 v96, v98, v92
	v_fma_f32 v91, -v91, v96, v94
	s_delay_alu instid0(VALU_DEP_1) | instskip(NEXT) | instid1(VALU_DEP_1)
	v_div_fmas_f32 v91, v91, v92, v96
	v_div_fixup_f32 v90, v91, v90, 1.0
	s_delay_alu instid0(VALU_DEP_1) | instskip(NEXT) | instid1(VALU_DEP_1)
	v_mul_f32_e32 v82, v82, v90
	v_mul_f32_e32 v87, v82, v87
	v_mul_f32_e32 v90, v82, v80
	v_mul_f32_e32 v80, v82, v88
	v_mul_f32_e32 v84, v82, v84
	v_mul_f32_e32 v88, v82, v86
	v_mul_f32_e32 v89, v82, v85
	v_dual_mul_f32 v86, v82, v83 :: v_dual_and_b32 v91, 0x7f800000, v90
	v_mul_f32_e32 v85, v82, v76
                                        ; implicit-def: $vgpr76
	s_delay_alu instid0(VALU_DEP_2)
	v_cmpx_ne_u32_e32 0x7f800000, v91
	s_xor_b32 s2, exec_lo, s2
; %bb.13:
	v_bfe_u32 v76, v90, 16, 1
	s_delay_alu instid0(VALU_DEP_1)
	v_add3_u32 v76, v90, v76, 0x7fff
                                        ; implicit-def: $vgpr90
; %bb.14:
	s_and_not1_saveexec_b32 s2, s2
; %bb.15:
	v_and_b32_e32 v76, 0xffff, v90
	v_or_b32_e32 v83, 0x10000, v90
	s_delay_alu instid0(VALU_DEP_2) | instskip(NEXT) | instid1(VALU_DEP_2)
	v_cmp_eq_u32_e32 vcc_lo, 0, v76
	v_cndmask_b32_e32 v76, v83, v90, vcc_lo
; %bb.16:
	s_or_b32 exec_lo, exec_lo, s2
	v_and_b32_e32 v83, 0x7f800000, v85
	s_delay_alu instid0(VALU_DEP_1) | instskip(SKIP_1) | instid1(SALU_CYCLE_1)
	v_cmp_ne_u32_e32 vcc_lo, 0x7f800000, v83
                                        ; implicit-def: $vgpr83
	s_and_saveexec_b32 s2, vcc_lo
	s_xor_b32 s2, exec_lo, s2
; %bb.17:
	v_bfe_u32 v83, v85, 16, 1
	s_delay_alu instid0(VALU_DEP_1)
	v_add3_u32 v83, v85, v83, 0x7fff
                                        ; implicit-def: $vgpr85
; %bb.18:
	s_and_not1_saveexec_b32 s2, s2
; %bb.19:
	v_and_b32_e32 v83, 0xffff, v85
	v_or_b32_e32 v90, 0x10000, v85
	s_delay_alu instid0(VALU_DEP_2) | instskip(NEXT) | instid1(VALU_DEP_2)
	v_cmp_eq_u32_e32 vcc_lo, 0, v83
	v_cndmask_b32_e32 v83, v90, v85, vcc_lo
; %bb.20:
	s_or_b32 exec_lo, exec_lo, s2
	v_and_b32_e32 v85, 0x7f800000, v86
	s_delay_alu instid0(VALU_DEP_1) | instskip(SKIP_1) | instid1(SALU_CYCLE_1)
	v_cmp_ne_u32_e32 vcc_lo, 0x7f800000, v85
                                        ; implicit-def: $vgpr85
	s_and_saveexec_b32 s2, vcc_lo
	s_xor_b32 s2, exec_lo, s2
; %bb.21:
	v_bfe_u32 v85, v86, 16, 1
	s_delay_alu instid0(VALU_DEP_1)
	v_add3_u32 v85, v86, v85, 0x7fff
                                        ; implicit-def: $vgpr86
; %bb.22:
	s_and_not1_saveexec_b32 s2, s2
; %bb.23:
	v_and_b32_e32 v85, 0xffff, v86
	v_or_b32_e32 v90, 0x10000, v86
	s_delay_alu instid0(VALU_DEP_2) | instskip(NEXT) | instid1(VALU_DEP_2)
	v_cmp_eq_u32_e32 vcc_lo, 0, v85
	v_cndmask_b32_e32 v85, v90, v86, vcc_lo
; %bb.24:
	s_or_b32 exec_lo, exec_lo, s2
	v_and_b32_e32 v86, 0x7f800000, v89
	s_delay_alu instid0(VALU_DEP_1) | instskip(SKIP_1) | instid1(SALU_CYCLE_1)
	v_cmp_ne_u32_e32 vcc_lo, 0x7f800000, v86
                                        ; implicit-def: $vgpr86
	s_and_saveexec_b32 s2, vcc_lo
	s_xor_b32 s2, exec_lo, s2
; %bb.25:
	v_bfe_u32 v86, v89, 16, 1
	s_delay_alu instid0(VALU_DEP_1)
	v_add3_u32 v86, v89, v86, 0x7fff
                                        ; implicit-def: $vgpr89
; %bb.26:
	s_and_not1_saveexec_b32 s2, s2
; %bb.27:
	v_and_b32_e32 v86, 0xffff, v89
	v_or_b32_e32 v90, 0x10000, v89
	s_delay_alu instid0(VALU_DEP_2) | instskip(NEXT) | instid1(VALU_DEP_2)
	v_cmp_eq_u32_e32 vcc_lo, 0, v86
	v_cndmask_b32_e32 v86, v90, v89, vcc_lo
; %bb.28:
	s_or_b32 exec_lo, exec_lo, s2
	v_and_b32_e32 v89, 0x7f800000, v88
	s_delay_alu instid0(VALU_DEP_1) | instskip(SKIP_1) | instid1(SALU_CYCLE_1)
	v_cmp_ne_u32_e32 vcc_lo, 0x7f800000, v89
                                        ; implicit-def: $vgpr89
	s_and_saveexec_b32 s2, vcc_lo
	s_xor_b32 s2, exec_lo, s2
; %bb.29:
	v_bfe_u32 v89, v88, 16, 1
	s_delay_alu instid0(VALU_DEP_1)
	v_add3_u32 v89, v88, v89, 0x7fff
                                        ; implicit-def: $vgpr88
; %bb.30:
	s_and_not1_saveexec_b32 s2, s2
; %bb.31:
	v_and_b32_e32 v89, 0xffff, v88
	v_or_b32_e32 v90, 0x10000, v88
	s_delay_alu instid0(VALU_DEP_2) | instskip(NEXT) | instid1(VALU_DEP_2)
	v_cmp_eq_u32_e32 vcc_lo, 0, v89
	v_cndmask_b32_e32 v89, v90, v88, vcc_lo
; %bb.32:
	s_or_b32 exec_lo, exec_lo, s2
	v_and_b32_e32 v88, 0x7f800000, v87
	s_delay_alu instid0(VALU_DEP_1) | instskip(SKIP_1) | instid1(SALU_CYCLE_1)
	v_cmp_ne_u32_e32 vcc_lo, 0x7f800000, v88
                                        ; implicit-def: $vgpr88
	s_and_saveexec_b32 s2, vcc_lo
	s_xor_b32 s2, exec_lo, s2
; %bb.33:
	v_bfe_u32 v88, v87, 16, 1
	s_delay_alu instid0(VALU_DEP_1)
	v_add3_u32 v88, v87, v88, 0x7fff
                                        ; implicit-def: $vgpr87
; %bb.34:
	s_and_not1_saveexec_b32 s2, s2
; %bb.35:
	v_and_b32_e32 v88, 0xffff, v87
	v_or_b32_e32 v90, 0x10000, v87
	s_delay_alu instid0(VALU_DEP_2) | instskip(NEXT) | instid1(VALU_DEP_2)
	v_cmp_eq_u32_e32 vcc_lo, 0, v88
	v_cndmask_b32_e32 v88, v90, v87, vcc_lo
; %bb.36:
	s_or_b32 exec_lo, exec_lo, s2
	v_and_b32_e32 v87, 0x7f800000, v84
	s_delay_alu instid0(VALU_DEP_1) | instskip(SKIP_1) | instid1(SALU_CYCLE_1)
	v_cmp_ne_u32_e32 vcc_lo, 0x7f800000, v87
                                        ; implicit-def: $vgpr87
	s_and_saveexec_b32 s2, vcc_lo
	s_xor_b32 s2, exec_lo, s2
; %bb.37:
	v_bfe_u32 v87, v84, 16, 1
	s_delay_alu instid0(VALU_DEP_1)
	v_add3_u32 v87, v84, v87, 0x7fff
                                        ; implicit-def: $vgpr84
; %bb.38:
	s_and_not1_saveexec_b32 s2, s2
; %bb.39:
	v_and_b32_e32 v87, 0xffff, v84
	v_or_b32_e32 v90, 0x10000, v84
	s_delay_alu instid0(VALU_DEP_2) | instskip(NEXT) | instid1(VALU_DEP_2)
	v_cmp_eq_u32_e32 vcc_lo, 0, v87
	v_cndmask_b32_e32 v87, v90, v84, vcc_lo
; %bb.40:
	s_or_b32 exec_lo, exec_lo, s2
	v_and_b32_e32 v84, 0x7f800000, v80
	s_delay_alu instid0(VALU_DEP_1) | instskip(SKIP_1) | instid1(SALU_CYCLE_1)
	v_cmp_ne_u32_e32 vcc_lo, 0x7f800000, v84
                                        ; implicit-def: $vgpr84
	s_and_saveexec_b32 s2, vcc_lo
	s_xor_b32 s2, exec_lo, s2
; %bb.41:
	v_bfe_u32 v84, v80, 16, 1
	s_delay_alu instid0(VALU_DEP_1)
	v_add3_u32 v84, v80, v84, 0x7fff
                                        ; implicit-def: $vgpr80
; %bb.42:
	s_and_not1_saveexec_b32 s2, s2
; %bb.43:
	v_and_b32_e32 v84, 0xffff, v80
	v_or_b32_e32 v90, 0x10000, v80
	s_delay_alu instid0(VALU_DEP_2) | instskip(NEXT) | instid1(VALU_DEP_2)
	v_cmp_eq_u32_e32 vcc_lo, 0, v84
	v_cndmask_b32_e32 v84, v90, v80, vcc_lo
; %bb.44:
	s_or_b32 exec_lo, exec_lo, s2
	s_load_b64 s[34:35], s[0:1], 0x94
	v_lshlrev_b32_e32 v91, 4, v74
	s_delay_alu instid0(VALU_DEP_2)
	v_perm_b32 v90, v84, v87, 0x7060302
	v_dual_mul_f32 v79, v82, v79 :: v_dual_lshlrev_b32 v80, 6, v65
	v_dual_mul_f32 v77, v82, v77 :: v_dual_lshlrev_b32 v92, 11, v66
	v_mul_f32_e32 v84, v82, v70
	v_perm_b32 v89, v88, v89, 0x7060302
	v_perm_b32 v88, v86, v85, 0x7060302
	;; [unrolled: 1-line block ×3, first 2 shown]
	v_mul_f32_e32 v70, v82, v81
	v_or3_b32 v76, v91, v92, v80
	v_dual_mul_f32 v78, v82, v78 :: v_dual_and_b32 v85, 0x7f800000, v84
	v_mul_f32_e32 v83, v82, v72
	v_mul_f32_e32 v81, v82, v71
	;; [unrolled: 1-line block ×3, first 2 shown]
	s_mov_b32 s2, exec_lo
	ds_store_b128 v76, v[87:90]
                                        ; implicit-def: $vgpr69
	v_cmpx_ne_u32_e32 0x7f800000, v85
	s_xor_b32 s2, exec_lo, s2
; %bb.45:
	v_bfe_u32 v69, v84, 16, 1
	s_delay_alu instid0(VALU_DEP_1)
	v_add3_u32 v69, v84, v69, 0x7fff
                                        ; implicit-def: $vgpr84
; %bb.46:
	s_and_not1_saveexec_b32 s2, s2
; %bb.47:
	v_and_b32_e32 v69, 0xffff, v84
	v_or_b32_e32 v71, 0x10000, v84
	s_delay_alu instid0(VALU_DEP_2) | instskip(NEXT) | instid1(VALU_DEP_2)
	v_cmp_eq_u32_e32 vcc_lo, 0, v69
	v_cndmask_b32_e32 v69, v71, v84, vcc_lo
; %bb.48:
	s_or_b32 exec_lo, exec_lo, s2
	v_and_b32_e32 v71, 0x7f800000, v72
	s_delay_alu instid0(VALU_DEP_1) | instskip(SKIP_1) | instid1(SALU_CYCLE_1)
	v_cmp_ne_u32_e32 vcc_lo, 0x7f800000, v71
                                        ; implicit-def: $vgpr71
	s_and_saveexec_b32 s2, vcc_lo
	s_xor_b32 s2, exec_lo, s2
; %bb.49:
	v_bfe_u32 v71, v72, 16, 1
	s_delay_alu instid0(VALU_DEP_1)
	v_add3_u32 v71, v72, v71, 0x7fff
                                        ; implicit-def: $vgpr72
; %bb.50:
	s_and_not1_saveexec_b32 s2, s2
; %bb.51:
	v_and_b32_e32 v71, 0xffff, v72
	v_or_b32_e32 v82, 0x10000, v72
	s_delay_alu instid0(VALU_DEP_2) | instskip(NEXT) | instid1(VALU_DEP_2)
	v_cmp_eq_u32_e32 vcc_lo, 0, v71
	v_cndmask_b32_e32 v71, v82, v72, vcc_lo
; %bb.52:
	s_or_b32 exec_lo, exec_lo, s2
	v_and_b32_e32 v72, 0x7f800000, v81
	s_delay_alu instid0(VALU_DEP_1) | instskip(SKIP_1) | instid1(SALU_CYCLE_1)
	v_cmp_ne_u32_e32 vcc_lo, 0x7f800000, v72
                                        ; implicit-def: $vgpr72
	s_and_saveexec_b32 s2, vcc_lo
	s_xor_b32 s2, exec_lo, s2
; %bb.53:
	v_bfe_u32 v72, v81, 16, 1
	s_delay_alu instid0(VALU_DEP_1)
	v_add3_u32 v72, v81, v72, 0x7fff
                                        ; implicit-def: $vgpr81
; %bb.54:
	s_and_not1_saveexec_b32 s2, s2
; %bb.55:
	v_and_b32_e32 v72, 0xffff, v81
	v_or_b32_e32 v82, 0x10000, v81
	s_delay_alu instid0(VALU_DEP_2) | instskip(NEXT) | instid1(VALU_DEP_2)
	v_cmp_eq_u32_e32 vcc_lo, 0, v72
	v_cndmask_b32_e32 v72, v82, v81, vcc_lo
; %bb.56:
	s_or_b32 exec_lo, exec_lo, s2
	v_and_b32_e32 v81, 0x7f800000, v83
	s_delay_alu instid0(VALU_DEP_1) | instskip(SKIP_1) | instid1(SALU_CYCLE_1)
	v_cmp_ne_u32_e32 vcc_lo, 0x7f800000, v81
                                        ; implicit-def: $vgpr81
	s_and_saveexec_b32 s2, vcc_lo
	s_xor_b32 s2, exec_lo, s2
; %bb.57:
	v_bfe_u32 v81, v83, 16, 1
	s_delay_alu instid0(VALU_DEP_1)
	v_add3_u32 v81, v83, v81, 0x7fff
                                        ; implicit-def: $vgpr83
; %bb.58:
	s_and_not1_saveexec_b32 s2, s2
; %bb.59:
	v_and_b32_e32 v81, 0xffff, v83
	v_or_b32_e32 v82, 0x10000, v83
	s_delay_alu instid0(VALU_DEP_2) | instskip(NEXT) | instid1(VALU_DEP_2)
	v_cmp_eq_u32_e32 vcc_lo, 0, v81
	v_cndmask_b32_e32 v81, v82, v83, vcc_lo
; %bb.60:
	s_or_b32 exec_lo, exec_lo, s2
	v_and_b32_e32 v82, 0x7f800000, v77
	s_delay_alu instid0(VALU_DEP_1) | instskip(SKIP_1) | instid1(SALU_CYCLE_1)
	v_cmp_ne_u32_e32 vcc_lo, 0x7f800000, v82
                                        ; implicit-def: $vgpr82
	s_and_saveexec_b32 s2, vcc_lo
	s_xor_b32 s2, exec_lo, s2
; %bb.61:
	v_bfe_u32 v82, v77, 16, 1
	s_delay_alu instid0(VALU_DEP_1)
	v_add3_u32 v82, v77, v82, 0x7fff
                                        ; implicit-def: $vgpr77
; %bb.62:
	s_and_not1_saveexec_b32 s2, s2
; %bb.63:
	v_and_b32_e32 v82, 0xffff, v77
	v_or_b32_e32 v83, 0x10000, v77
	s_delay_alu instid0(VALU_DEP_2) | instskip(NEXT) | instid1(VALU_DEP_2)
	v_cmp_eq_u32_e32 vcc_lo, 0, v82
	v_cndmask_b32_e32 v82, v83, v77, vcc_lo
; %bb.64:
	s_or_b32 exec_lo, exec_lo, s2
	v_and_b32_e32 v77, 0x7f800000, v78
	s_delay_alu instid0(VALU_DEP_1) | instskip(SKIP_1) | instid1(SALU_CYCLE_1)
	v_cmp_ne_u32_e32 vcc_lo, 0x7f800000, v77
                                        ; implicit-def: $vgpr77
	s_and_saveexec_b32 s2, vcc_lo
	s_xor_b32 s2, exec_lo, s2
; %bb.65:
	v_bfe_u32 v77, v78, 16, 1
	s_delay_alu instid0(VALU_DEP_1)
	v_add3_u32 v77, v78, v77, 0x7fff
                                        ; implicit-def: $vgpr78
; %bb.66:
	s_and_not1_saveexec_b32 s2, s2
; %bb.67:
	v_and_b32_e32 v77, 0xffff, v78
	v_or_b32_e32 v83, 0x10000, v78
	s_delay_alu instid0(VALU_DEP_2) | instskip(NEXT) | instid1(VALU_DEP_2)
	v_cmp_eq_u32_e32 vcc_lo, 0, v77
	v_cndmask_b32_e32 v77, v83, v78, vcc_lo
; %bb.68:
	s_or_b32 exec_lo, exec_lo, s2
	v_and_b32_e32 v78, 0x7f800000, v79
	s_delay_alu instid0(VALU_DEP_1) | instskip(SKIP_1) | instid1(SALU_CYCLE_1)
	v_cmp_ne_u32_e32 vcc_lo, 0x7f800000, v78
                                        ; implicit-def: $vgpr78
	s_and_saveexec_b32 s2, vcc_lo
	s_xor_b32 s2, exec_lo, s2
; %bb.69:
	v_bfe_u32 v78, v79, 16, 1
	s_delay_alu instid0(VALU_DEP_1)
	v_add3_u32 v78, v79, v78, 0x7fff
                                        ; implicit-def: $vgpr79
; %bb.70:
	s_and_not1_saveexec_b32 s2, s2
; %bb.71:
	v_and_b32_e32 v78, 0xffff, v79
	v_or_b32_e32 v83, 0x10000, v79
	s_delay_alu instid0(VALU_DEP_2) | instskip(NEXT) | instid1(VALU_DEP_2)
	v_cmp_eq_u32_e32 vcc_lo, 0, v78
	v_cndmask_b32_e32 v78, v83, v79, vcc_lo
; %bb.72:
	s_or_b32 exec_lo, exec_lo, s2
	v_and_b32_e32 v79, 0x7f800000, v70
	s_delay_alu instid0(VALU_DEP_1) | instskip(SKIP_1) | instid1(SALU_CYCLE_1)
	v_cmp_ne_u32_e32 vcc_lo, 0x7f800000, v79
                                        ; implicit-def: $vgpr79
	s_and_saveexec_b32 s2, vcc_lo
	s_xor_b32 s2, exec_lo, s2
; %bb.73:
	v_bfe_u32 v79, v70, 16, 1
	s_delay_alu instid0(VALU_DEP_1)
	v_add3_u32 v79, v70, v79, 0x7fff
                                        ; implicit-def: $vgpr70
; %bb.74:
	s_and_not1_saveexec_b32 s2, s2
; %bb.75:
	v_and_b32_e32 v79, 0xffff, v70
	v_or_b32_e32 v83, 0x10000, v70
	s_delay_alu instid0(VALU_DEP_2) | instskip(NEXT) | instid1(VALU_DEP_2)
	v_cmp_eq_u32_e32 vcc_lo, 0, v79
	v_cndmask_b32_e32 v79, v83, v70, vcc_lo
; %bb.76:
	s_or_b32 exec_lo, exec_lo, s2
	s_delay_alu instid0(VALU_DEP_1)
	v_perm_b32 v86, v79, v78, 0x7060302
	v_perm_b32 v85, v77, v82, 0x7060302
	v_perm_b32 v84, v81, v72, 0x7060302
	v_perm_b32 v83, v71, v69, 0x7060302
	v_lshl_or_b32 v82, v66, 11, v80
	ds_store_b128 v76, v[83:86] offset:1024
	s_waitcnt lgkmcnt(0)
	s_barrier
	buffer_gl0_inv
	ds_load_b128 v[69:72], v82
	ds_load_b128 v[83:86], v82 offset:16
	s_waitcnt lgkmcnt(1)
	v_lshrrev_b32_e32 v66, 16, v69
	s_waitcnt lgkmcnt(0)
	v_lshrrev_b32_e32 v91, 16, v83
	v_lshlrev_b32_e32 v78, 2, v74
	v_lshrrev_b32_e32 v95, 16, v70
	v_lshrrev_b32_e32 v98, 16, v84
	;; [unrolled: 1-line block ×4, first 2 shown]
	v_cmp_eq_u32_e32 vcc_lo, 1, v78
	v_lshrrev_b32_e32 v97, 16, v72
	v_lshrrev_b32_e32 v100, 16, v86
	v_cndmask_b32_e32 v87, v83, v91, vcc_lo
	v_or_b32_e32 v79, 1, v78
	v_cndmask_b32_e32 v81, v69, v66, vcc_lo
	v_cmp_eq_u32_e64 s3, 2, v78
	v_cmp_eq_u32_e64 s6, 3, v78
	;; [unrolled: 1-line block ×5, first 2 shown]
	v_cndmask_b32_e64 v81, v81, v70, s3
	v_cndmask_b32_e64 v87, v87, v84, s3
	v_cmp_eq_u32_e64 s7, 3, v79
	v_cndmask_b32_e64 v88, v69, v66, s2
	v_or_b32_e32 v77, 2, v78
	v_cndmask_b32_e64 v81, v81, v95, s6
	v_cndmask_b32_e64 v87, v87, v98, s6
	;; [unrolled: 1-line block ×4, first 2 shown]
	v_cmp_eq_u32_e64 s9, 5, v78
	v_cndmask_b32_e64 v81, v81, v71, s8
	v_cndmask_b32_e64 v87, v87, v85, s8
	v_cmp_eq_u32_e64 s10, 4, v79
	v_cndmask_b32_e64 v88, v88, v95, s7
	v_cmp_eq_u32_e64 s4, 1, v77
	v_cndmask_b32_e64 v89, v89, v84, s5
	v_cndmask_b32_e64 v81, v81, v96, s9
	v_cmp_eq_u32_e64 s11, 6, v78
	v_cndmask_b32_e64 v88, v88, v71, s10
	;; [unrolled: 3-line block ×3, first 2 shown]
	v_cndmask_b32_e64 v89, v89, v98, s7
	v_cndmask_b32_e64 v81, v81, v72, s11
	v_cmp_eq_u32_e64 s13, 7, v78
	v_cndmask_b32_e64 v88, v88, v96, s12
	v_cndmask_b32_e64 v87, v87, v86, s11
	v_cmp_eq_u32_e64 s15, 6, v79
	v_cmp_eq_u32_e64 s16, 2, v77
	v_cndmask_b32_e64 v89, v89, v85, s10
	v_cndmask_b32_e64 v101, v81, v97, s13
	v_cndmask_b32_e64 v102, v87, v100, s13
	v_cndmask_b32_e64 v88, v88, v72, s15
	v_cndmask_b32_e64 v81, v90, v70, s16
	v_cndmask_b32_e64 v87, v83, v91, s4
	v_cmp_eq_u32_e64 s17, 7, v79
	v_cmp_eq_u32_e64 s18, 3, v77
	;; [unrolled: 1-line block ×4, first 2 shown]
	v_cndmask_b32_e64 v87, v87, v84, s16
	v_cndmask_b32_e64 v103, v88, v97, s17
	;; [unrolled: 1-line block ×4, first 2 shown]
	v_or_b32_e32 v81, 3, v78
	v_cndmask_b32_e64 v93, v87, v98, s18
	v_cmp_eq_u32_e64 s23, 6, v77
	v_cndmask_b32_e64 v104, v88, v86, s15
	v_cndmask_b32_e64 v92, v89, v71, s19
	v_cmp_eq_u32_e64 s20, 1, v81
	ds_load_b128 v[87:90], v82 offset:1024
	v_cmp_eq_u32_e64 s22, 2, v81
	v_cmp_eq_u32_e64 s24, 3, v81
	v_cndmask_b32_e64 v105, v92, v96, s21
	v_cndmask_b32_e64 v66, v69, v66, s20
	v_cndmask_b32_e64 v69, v93, v85, s19
	v_cndmask_b32_e64 v83, v83, v91, s20
	ds_load_b128 v[91:94], v82 offset:1040
	v_cmp_eq_u32_e64 s25, 4, v81
	v_cndmask_b32_e64 v66, v66, v70, s22
	v_cmp_eq_u32_e64 s26, 7, v77
	v_cndmask_b32_e64 v70, v83, v84, s22
	v_cndmask_b32_e64 v84, v105, v72, s23
	v_cmp_eq_u32_e64 s27, 5, v81
	v_cndmask_b32_e64 v66, v66, v95, s24
	v_cmp_eq_u32_e64 s28, 6, v81
	v_cndmask_b32_e64 v70, v70, v98, s24
	v_cndmask_b32_e64 v69, v69, v99, s21
	;; [unrolled: 1-line block ×4, first 2 shown]
	s_waitcnt lgkmcnt(1)
	v_lshrrev_b32_e32 v95, 16, v87
	v_cndmask_b32_e64 v70, v70, v85, s25
	v_cndmask_b32_e64 v71, v84, v97, s26
	v_cndmask_b32_e64 v69, v69, v86, s23
	v_cndmask_b32_e64 v66, v66, v96, s27
	v_cndmask_b32_e32 v84, v87, v95, vcc_lo
	v_cndmask_b32_e64 v70, v70, v99, s27
	s_waitcnt lgkmcnt(0)
	v_lshrrev_b32_e32 v85, 16, v91
	v_lshrrev_b32_e32 v96, 16, v88
	v_cndmask_b32_e64 v98, v87, v95, s2
	v_cndmask_b32_e64 v84, v84, v88, s3
	;; [unrolled: 1-line block ×3, first 2 shown]
	v_cndmask_b32_e32 v99, v91, v85, vcc_lo
	v_cmp_eq_u32_e32 vcc_lo, 7, v81
	v_cndmask_b32_e64 v66, v66, v72, s28
	v_cndmask_b32_e64 v72, v84, v96, s6
	;; [unrolled: 1-line block ×3, first 2 shown]
	v_lshrrev_b32_e32 v98, 16, v92
	v_cndmask_b32_e32 v70, v70, v100, vcc_lo
	v_cndmask_b32_e64 v86, v99, v92, s3
	v_cndmask_b32_e64 v69, v69, v100, s26
	v_lshrrev_b32_e32 v100, 16, v93
	v_cndmask_b32_e64 v72, v72, v89, s8
	v_lshrrev_b32_e32 v99, 16, v89
	v_cndmask_b32_e64 v86, v86, v98, s6
	v_perm_b32 v71, v69, v71, 0x5040100
	v_cndmask_b32_e64 v84, v84, v96, s7
	s_delay_alu instid0(VALU_DEP_3) | instskip(NEXT) | instid1(VALU_DEP_2)
	v_cndmask_b32_e64 v86, v86, v93, s8
	v_cndmask_b32_e64 v84, v84, v89, s10
	s_delay_alu instid0(VALU_DEP_2) | instskip(NEXT) | instid1(VALU_DEP_1)
	v_cndmask_b32_e64 v86, v86, v100, s9
	v_cndmask_b32_e64 v69, v86, v94, s11
	;; [unrolled: 1-line block ×5, first 2 shown]
	s_delay_alu instid0(VALU_DEP_3) | instskip(NEXT) | instid1(VALU_DEP_3)
	v_cndmask_b32_e64 v86, v86, v88, s16
	v_cndmask_b32_e64 v87, v87, v88, s22
	s_delay_alu instid0(VALU_DEP_3) | instskip(NEXT) | instid1(VALU_DEP_3)
	v_cndmask_b32_e64 v88, v95, v92, s22
	v_cndmask_b32_e64 v86, v86, v96, s18
	s_delay_alu instid0(VALU_DEP_3) | instskip(NEXT) | instid1(VALU_DEP_3)
	v_cndmask_b32_e64 v87, v87, v96, s24
	v_cndmask_b32_e64 v88, v88, v98, s24
	s_delay_alu instid0(VALU_DEP_3) | instskip(NEXT) | instid1(VALU_DEP_3)
	v_cndmask_b32_e64 v86, v86, v89, s19
	v_cndmask_b32_e64 v87, v87, v89, s25
	s_delay_alu instid0(VALU_DEP_3) | instskip(NEXT) | instid1(VALU_DEP_3)
	v_cndmask_b32_e64 v88, v88, v93, s25
	v_cndmask_b32_e64 v86, v86, v99, s21
	s_delay_alu instid0(VALU_DEP_3) | instskip(NEXT) | instid1(VALU_DEP_3)
	v_cndmask_b32_e64 v87, v87, v99, s27
	v_cndmask_b32_e64 v88, v88, v100, s27
	s_delay_alu instid0(VALU_DEP_3) | instskip(NEXT) | instid1(VALU_DEP_3)
	v_cndmask_b32_e64 v86, v86, v90, s23
	v_cndmask_b32_e64 v87, v87, v90, s28
	s_delay_alu instid0(VALU_DEP_3) | instskip(SKIP_2) | instid1(VALU_DEP_2)
	v_cndmask_b32_e64 v88, v88, v94, s28
	v_cndmask_b32_e32 v66, v66, v97, vcc_lo
	v_cndmask_b32_e64 v97, v72, v99, s9
	v_perm_b32 v72, v70, v66, 0x5040100
	v_perm_b32 v70, v83, v103, 0x5040100
	v_cndmask_b32_e64 v103, v91, v85, s4
	v_cndmask_b32_e64 v85, v91, v85, s2
	v_cndmask_b32_e64 v66, v84, v99, s12
	v_cndmask_b32_e64 v84, v97, v90, s11
	v_lshrrev_b32_e32 v97, 16, v90
	v_cndmask_b32_e64 v91, v103, v92, s16
	v_cndmask_b32_e64 v85, v85, v92, s5
	;; [unrolled: 1-line block ×3, first 2 shown]
	s_mov_b32 s2, exec_lo
	v_cndmask_b32_e64 v83, v84, v97, s13
	v_cndmask_b32_e64 v91, v91, v98, s18
	v_cndmask_b32_e64 v85, v85, v98, s7
	v_lshrrev_b32_e32 v84, 16, v94
	v_cndmask_b32_e64 v66, v66, v97, s17
	v_cndmask_b32_e64 v90, v86, v97, s26
	;; [unrolled: 1-line block ×4, first 2 shown]
	v_dual_cndmask_b32 v86, v87, v97 :: v_dual_cndmask_b32 v87, v88, v84
	v_cndmask_b32_e64 v91, v69, v84, s13
	s_delay_alu instid0(VALU_DEP_4) | instskip(NEXT) | instid1(VALU_DEP_4)
	v_cndmask_b32_e64 v89, v89, v100, s21
	v_cndmask_b32_e64 v85, v85, v100, s12
	v_perm_b32 v69, v102, v101, 0x5040100
	v_perm_b32 v86, v87, v86, 0x5040100
	;; [unrolled: 1-line block ×3, first 2 shown]
	v_cndmask_b32_e64 v89, v89, v94, s23
	v_cndmask_b32_e64 v85, v85, v94, s15
	s_mul_i32 s7, s35, 10
	s_delay_alu instid0(VALU_DEP_2) | instskip(NEXT) | instid1(VALU_DEP_2)
	v_cndmask_b32_e64 v88, v89, v84, s26
	v_cndmask_b32_e64 v89, v85, v84, s17
	s_delay_alu instid0(VALU_DEP_2) | instskip(NEXT) | instid1(VALU_DEP_2)
	v_perm_b32 v85, v88, v90, 0x5040100
	v_perm_b32 v84, v89, v66, 0x5040100
	ds_store_b128 v76, v[69:72]
	ds_store_b128 v76, v[83:86] offset:1024
	v_cmpx_gt_u32_e32 10, v0
	s_cbranch_execz .LBB1831_78
; %bb.77:
	s_mul_i32 s3, s7, s30
	s_load_b128 s[8:11], s[0:1], 0x58
	v_add3_u32 v69, s3, s29, v65
	s_delay_alu instid0(VALU_DEP_1) | instskip(NEXT) | instid1(VALU_DEP_1)
	v_mad_u64_u32 v[65:66], null, v69, s34, s[14:15]
	v_ashrrev_i32_e32 v66, 31, v65
	s_delay_alu instid0(VALU_DEP_1) | instskip(SKIP_1) | instid1(VALU_DEP_1)
	v_lshlrev_b64 v[65:66], 2, v[65:66]
	s_waitcnt lgkmcnt(0)
	v_add_co_u32 v69, vcc_lo, s10, v65
	s_delay_alu instid0(VALU_DEP_2)
	v_add_co_ci_u32_e32 v70, vcc_lo, s11, v66, vcc_lo
	v_add_co_u32 v65, vcc_lo, s8, v65
	v_add_co_ci_u32_e32 v66, vcc_lo, s9, v66, vcc_lo
	global_store_b32 v[69:70], v67, off
	global_store_b32 v[65:66], v68, off
.LBB1831_78:
	s_or_b32 exec_lo, exec_lo, s2
	s_waitcnt lgkmcnt(0)
	s_waitcnt_vscnt null, 0x0
	s_barrier
	buffer_gl0_inv
	ds_load_b128 v[83:86], v80
	ds_load_b128 v[87:90], v80 offset:16
	ds_load_b128 v[95:98], v80 offset:2064
	;; [unrolled: 1-line block ×3, first 2 shown]
	v_mov_b32_e32 v65, 0
	ds_load_b128 v[103:106], v80 offset:4112
	ds_load_b128 v[99:102], v80 offset:4096
	;; [unrolled: 1-line block ×4, first 2 shown]
	v_mov_b32_e32 v66, v65
	v_mov_b32_e32 v67, v65
	;; [unrolled: 1-line block ×7, first 2 shown]
	s_waitcnt lgkmcnt(6)
	s_delay_alu instid0(VALU_DEP_1)
	v_wmma_f32_16x16x16_bf16 v[65:72], v[49:56], v[83:90], v[65:72]
	ds_load_b128 v[53:56], v80 offset:8208
	ds_load_b128 v[49:52], v80 offset:8192
	s_waitcnt lgkmcnt(6)
	v_wmma_f32_16x16x16_bf16 v[65:72], v[41:48], v[91:98], v[65:72]
	ds_load_b128 v[45:48], v80 offset:10256
	ds_load_b128 v[41:44], v80 offset:10240
	s_waitcnt lgkmcnt(6)
	;; [unrolled: 4-line block ×4, first 2 shown]
	v_wmma_f32_16x16x16_bf16 v[65:72], v[1:8], v[49:56], v[65:72]
	s_waitcnt lgkmcnt(4)
	s_delay_alu instid0(VALU_DEP_1) | instskip(SKIP_1) | instid1(VALU_DEP_1)
	v_wmma_f32_16x16x16_bf16 v[65:72], v[9:16], v[41:48], v[65:72]
	s_waitcnt lgkmcnt(2)
	v_wmma_f32_16x16x16_bf16 v[65:72], v[17:24], v[33:40], v[65:72]
	s_waitcnt lgkmcnt(0)
	s_delay_alu instid0(VALU_DEP_1) | instskip(NEXT) | instid1(VALU_DEP_1)
	v_wmma_f32_16x16x16_bf16 v[65:72], v[57:64], v[25:32], v[65:72]
	v_and_b32_e32 v1, 0x7f800000, v65
	s_delay_alu instid0(VALU_DEP_1) | instskip(SKIP_1) | instid1(SALU_CYCLE_1)
	v_cmp_ne_u32_e32 vcc_lo, 0x7f800000, v1
                                        ; implicit-def: $vgpr1
	s_and_saveexec_b32 s2, vcc_lo
	s_xor_b32 s2, exec_lo, s2
; %bb.79:
	v_bfe_u32 v1, v65, 16, 1
	s_delay_alu instid0(VALU_DEP_1)
	v_add3_u32 v1, v65, v1, 0x7fff
; %bb.80:
	s_and_not1_saveexec_b32 s2, s2
; %bb.81:
	v_and_b32_e32 v1, 0xffff, v65
	v_or_b32_e32 v2, 0x10000, v65
	s_delay_alu instid0(VALU_DEP_2) | instskip(NEXT) | instid1(VALU_DEP_2)
	v_cmp_eq_u32_e32 vcc_lo, 0, v1
	v_cndmask_b32_e32 v1, v2, v65, vcc_lo
; %bb.82:
	s_or_b32 exec_lo, exec_lo, s2
	v_and_b32_e32 v2, 0x7f800000, v66
	s_delay_alu instid0(VALU_DEP_1) | instskip(SKIP_1) | instid1(SALU_CYCLE_1)
	v_cmp_ne_u32_e32 vcc_lo, 0x7f800000, v2
                                        ; implicit-def: $vgpr2
	s_and_saveexec_b32 s2, vcc_lo
	s_xor_b32 s2, exec_lo, s2
; %bb.83:
	v_bfe_u32 v2, v66, 16, 1
	s_delay_alu instid0(VALU_DEP_1)
	v_add3_u32 v2, v66, v2, 0x7fff
; %bb.84:
	s_and_not1_saveexec_b32 s2, s2
; %bb.85:
	v_and_b32_e32 v2, 0xffff, v66
	v_or_b32_e32 v3, 0x10000, v66
	s_delay_alu instid0(VALU_DEP_2) | instskip(NEXT) | instid1(VALU_DEP_2)
	v_cmp_eq_u32_e32 vcc_lo, 0, v2
	v_cndmask_b32_e32 v2, v3, v66, vcc_lo
; %bb.86:
	s_or_b32 exec_lo, exec_lo, s2
	v_and_b32_e32 v3, 0x7f800000, v67
	s_delay_alu instid0(VALU_DEP_1) | instskip(SKIP_1) | instid1(SALU_CYCLE_1)
	v_cmp_ne_u32_e32 vcc_lo, 0x7f800000, v3
                                        ; implicit-def: $vgpr3
	s_and_saveexec_b32 s2, vcc_lo
	s_xor_b32 s2, exec_lo, s2
; %bb.87:
	v_bfe_u32 v3, v67, 16, 1
	s_delay_alu instid0(VALU_DEP_1)
	v_add3_u32 v3, v67, v3, 0x7fff
; %bb.88:
	s_and_not1_saveexec_b32 s2, s2
; %bb.89:
	v_and_b32_e32 v3, 0xffff, v67
	v_or_b32_e32 v4, 0x10000, v67
	s_delay_alu instid0(VALU_DEP_2) | instskip(NEXT) | instid1(VALU_DEP_2)
	v_cmp_eq_u32_e32 vcc_lo, 0, v3
	v_cndmask_b32_e32 v3, v4, v67, vcc_lo
; %bb.90:
	s_or_b32 exec_lo, exec_lo, s2
	v_and_b32_e32 v4, 0x7f800000, v68
	s_delay_alu instid0(VALU_DEP_1) | instskip(SKIP_1) | instid1(SALU_CYCLE_1)
	v_cmp_ne_u32_e32 vcc_lo, 0x7f800000, v4
                                        ; implicit-def: $vgpr4
	s_and_saveexec_b32 s2, vcc_lo
	s_xor_b32 s2, exec_lo, s2
; %bb.91:
	v_bfe_u32 v4, v68, 16, 1
	s_delay_alu instid0(VALU_DEP_1)
	v_add3_u32 v4, v68, v4, 0x7fff
; %bb.92:
	s_and_not1_saveexec_b32 s2, s2
; %bb.93:
	v_and_b32_e32 v4, 0xffff, v68
	v_or_b32_e32 v5, 0x10000, v68
	s_delay_alu instid0(VALU_DEP_2) | instskip(NEXT) | instid1(VALU_DEP_2)
	v_cmp_eq_u32_e32 vcc_lo, 0, v4
	v_cndmask_b32_e32 v4, v5, v68, vcc_lo
; %bb.94:
	s_or_b32 exec_lo, exec_lo, s2
	v_and_b32_e32 v5, 0x7f800000, v69
	s_delay_alu instid0(VALU_DEP_1) | instskip(SKIP_1) | instid1(SALU_CYCLE_1)
	v_cmp_ne_u32_e32 vcc_lo, 0x7f800000, v5
                                        ; implicit-def: $vgpr5
	s_and_saveexec_b32 s2, vcc_lo
	s_xor_b32 s2, exec_lo, s2
; %bb.95:
	v_bfe_u32 v5, v69, 16, 1
	s_delay_alu instid0(VALU_DEP_1)
	v_add3_u32 v5, v69, v5, 0x7fff
; %bb.96:
	s_and_not1_saveexec_b32 s2, s2
; %bb.97:
	v_and_b32_e32 v5, 0xffff, v69
	v_or_b32_e32 v6, 0x10000, v69
	s_delay_alu instid0(VALU_DEP_2) | instskip(NEXT) | instid1(VALU_DEP_2)
	v_cmp_eq_u32_e32 vcc_lo, 0, v5
	v_cndmask_b32_e32 v5, v6, v69, vcc_lo
; %bb.98:
	s_or_b32 exec_lo, exec_lo, s2
	v_and_b32_e32 v6, 0x7f800000, v70
	s_delay_alu instid0(VALU_DEP_1) | instskip(SKIP_1) | instid1(SALU_CYCLE_1)
	v_cmp_ne_u32_e32 vcc_lo, 0x7f800000, v6
                                        ; implicit-def: $vgpr6
	s_and_saveexec_b32 s2, vcc_lo
	s_xor_b32 s2, exec_lo, s2
; %bb.99:
	v_bfe_u32 v6, v70, 16, 1
	s_delay_alu instid0(VALU_DEP_1)
	v_add3_u32 v6, v70, v6, 0x7fff
; %bb.100:
	s_and_not1_saveexec_b32 s2, s2
; %bb.101:
	v_and_b32_e32 v6, 0xffff, v70
	v_or_b32_e32 v7, 0x10000, v70
	s_delay_alu instid0(VALU_DEP_2) | instskip(NEXT) | instid1(VALU_DEP_2)
	v_cmp_eq_u32_e32 vcc_lo, 0, v6
	v_cndmask_b32_e32 v6, v7, v70, vcc_lo
; %bb.102:
	s_or_b32 exec_lo, exec_lo, s2
	v_and_b32_e32 v7, 0x7f800000, v71
	s_delay_alu instid0(VALU_DEP_1) | instskip(SKIP_1) | instid1(SALU_CYCLE_1)
	v_cmp_ne_u32_e32 vcc_lo, 0x7f800000, v7
                                        ; implicit-def: $vgpr7
	s_and_saveexec_b32 s2, vcc_lo
	s_xor_b32 s2, exec_lo, s2
; %bb.103:
	v_bfe_u32 v7, v71, 16, 1
	s_delay_alu instid0(VALU_DEP_1)
	v_add3_u32 v7, v71, v7, 0x7fff
; %bb.104:
	s_and_not1_saveexec_b32 s2, s2
; %bb.105:
	v_and_b32_e32 v7, 0xffff, v71
	v_or_b32_e32 v8, 0x10000, v71
	s_delay_alu instid0(VALU_DEP_2) | instskip(NEXT) | instid1(VALU_DEP_2)
	v_cmp_eq_u32_e32 vcc_lo, 0, v7
	v_cndmask_b32_e32 v7, v8, v71, vcc_lo
; %bb.106:
	s_or_b32 exec_lo, exec_lo, s2
	v_and_b32_e32 v8, 0x7f800000, v72
	s_delay_alu instid0(VALU_DEP_1) | instskip(SKIP_1) | instid1(SALU_CYCLE_1)
	v_cmp_ne_u32_e32 vcc_lo, 0x7f800000, v8
                                        ; implicit-def: $vgpr8
	s_and_saveexec_b32 s2, vcc_lo
	s_xor_b32 s2, exec_lo, s2
; %bb.107:
	v_bfe_u32 v8, v72, 16, 1
	s_delay_alu instid0(VALU_DEP_1)
	v_add3_u32 v8, v72, v8, 0x7fff
                                        ; implicit-def: $vgpr65_vgpr66_vgpr67_vgpr68_vgpr69_vgpr70_vgpr71_vgpr72
; %bb.108:
	s_and_not1_saveexec_b32 s2, s2
; %bb.109:
	v_and_b32_e32 v8, 0xffff, v72
	v_or_b32_e32 v9, 0x10000, v72
	s_delay_alu instid0(VALU_DEP_2) | instskip(NEXT) | instid1(VALU_DEP_2)
	v_cmp_eq_u32_e32 vcc_lo, 0, v8
	v_cndmask_b32_e32 v8, v9, v72, vcc_lo
; %bb.110:
	s_or_b32 exec_lo, exec_lo, s2
	s_delay_alu instid0(VALU_DEP_1)
	v_perm_b32 v7, v8, v7, 0x7060302
	v_perm_b32 v6, v6, v5, 0x7060302
	;; [unrolled: 1-line block ×4, first 2 shown]
	s_barrier
	buffer_gl0_inv
	v_cmp_eq_u32_e32 vcc_lo, 1, v78
	ds_store_b128 v76, v[4:7]
	s_waitcnt lgkmcnt(0)
	s_barrier
	buffer_gl0_inv
	ds_load_b128 v[1:4], v82
	ds_load_b128 v[5:8], v82 offset:16
	v_cmp_eq_u32_e64 s2, 1, v79
	v_cmp_eq_u32_e64 s3, 2, v78
	;; [unrolled: 1-line block ×5, first 2 shown]
	s_waitcnt lgkmcnt(1)
	v_lshrrev_b32_e32 v9, 16, v1
	s_waitcnt lgkmcnt(0)
	v_lshrrev_b32_e32 v13, 16, v5
	v_lshrrev_b32_e32 v10, 16, v2
	;; [unrolled: 1-line block ×4, first 2 shown]
	v_cndmask_b32_e64 v19, v1, v9, s2
	v_cndmask_b32_e32 v18, v5, v13, vcc_lo
	v_cndmask_b32_e64 v20, v5, v13, s2
	v_cndmask_b32_e32 v17, v1, v9, vcc_lo
	v_cmp_eq_u32_e32 vcc_lo, 2, v79
	v_lshrrev_b32_e32 v15, 16, v7
	v_cmp_eq_u32_e64 s2, 1, v77
	v_lshrrev_b32_e32 v12, 16, v4
	v_lshrrev_b32_e32 v16, 16, v8
	v_cndmask_b32_e32 v20, v20, v6, vcc_lo
	v_cndmask_b32_e64 v17, v17, v2, s3
	v_cndmask_b32_e32 v19, v19, v2, vcc_lo
	v_cndmask_b32_e64 v18, v18, v6, s3
	v_cmp_eq_u32_e32 vcc_lo, 4, v78
	v_cmp_eq_u32_e64 s3, 3, v79
	v_cndmask_b32_e64 v17, v17, v10, s4
	v_cndmask_b32_e64 v21, v1, v9, s2
	;; [unrolled: 1-line block ×5, first 2 shown]
	v_cndmask_b32_e32 v17, v17, v3, vcc_lo
	v_cndmask_b32_e64 v20, v20, v14, s3
	v_cndmask_b32_e32 v18, v18, v7, vcc_lo
	v_cmp_eq_u32_e32 vcc_lo, 4, v79
	v_cmp_eq_u32_e64 s3, 5, v79
	v_cmp_eq_u32_e64 s2, 2, v81
	v_cndmask_b32_e64 v21, v21, v2, s6
	v_cmp_eq_u32_e64 s4, 5, v78
	v_cndmask_b32_e32 v19, v19, v3, vcc_lo
	v_cndmask_b32_e32 v20, v20, v7, vcc_lo
	v_cmp_eq_u32_e32 vcc_lo, 6, v79
	s_delay_alu instid0(VALU_DEP_4) | instskip(NEXT) | instid1(VALU_DEP_4)
	v_cndmask_b32_e64 v17, v17, v11, s4
	v_cndmask_b32_e64 v19, v19, v11, s3
	s_delay_alu instid0(VALU_DEP_4) | instskip(SKIP_1) | instid1(VALU_DEP_3)
	v_cndmask_b32_e64 v20, v20, v15, s3
	v_cmp_eq_u32_e64 s3, 1, v81
	v_cndmask_b32_e32 v19, v19, v4, vcc_lo
	v_cndmask_b32_e64 v18, v18, v15, s4
	s_delay_alu instid0(VALU_DEP_3)
	v_cndmask_b32_e64 v1, v1, v9, s3
	v_cndmask_b32_e64 v5, v5, v13, s3
	v_cmp_eq_u32_e64 s3, 3, v77
	v_cndmask_b32_e64 v13, v22, v6, s6
	v_cmp_eq_u32_e64 s6, 3, v81
	v_cndmask_b32_e64 v1, v1, v2, s2
	v_cndmask_b32_e64 v2, v5, v6, s2
	v_cndmask_b32_e64 v9, v21, v10, s3
	v_cmp_eq_u32_e64 s2, 4, v77
	v_cndmask_b32_e64 v6, v13, v14, s3
	v_cndmask_b32_e64 v1, v1, v10, s6
	v_cmp_eq_u32_e64 s3, 4, v81
	v_cndmask_b32_e64 v2, v2, v14, s6
	v_cndmask_b32_e64 v5, v9, v3, s2
	;; [unrolled: 3-line block ×3, first 2 shown]
	v_cndmask_b32_e64 v2, v2, v7, s3
	v_cmp_eq_u32_e64 s2, 5, v81
	v_cmp_eq_u32_e64 s4, 6, v78
	v_cndmask_b32_e64 v5, v5, v11, s6
	v_cmp_eq_u32_e64 s3, 6, v77
	v_cndmask_b32_e64 v3, v6, v15, s6
	v_cndmask_b32_e64 v1, v1, v11, s2
	v_cmp_eq_u32_e64 s6, 6, v81
	v_cndmask_b32_e64 v2, v2, v15, s2
	v_cndmask_b32_e64 v17, v17, v4, s4
	v_cndmask_b32_e64 v18, v18, v8, s4
	v_cmp_eq_u32_e64 s4, 7, v78
	v_cndmask_b32_e64 v5, v5, v4, s3
	;; [unrolled: 4-line block ×3, first 2 shown]
	v_cmp_eq_u32_e64 s3, 7, v77
	v_cndmask_b32_e32 v4, v20, v8, vcc_lo
	v_cndmask_b32_e64 v17, v17, v12, s4
	v_cndmask_b32_e64 v19, v19, v12, s5
	;; [unrolled: 1-line block ×8, first 2 shown]
	s_mov_b32 s2, exec_lo
	v_perm_b32 v4, v2, v1, 0x5040100
	v_perm_b32 v3, v3, v5, 0x5040100
	;; [unrolled: 1-line block ×4, first 2 shown]
	ds_store_b128 v76, v[1:4]
	s_waitcnt lgkmcnt(0)
	s_barrier
	buffer_gl0_inv
	v_cmpx_gt_u32_e32 32, v0
	s_cbranch_execz .LBB1831_2
; %bb.111:
	s_load_b64 s[0:1], s[0:1], 0x68
	s_lshl_b32 s4, s34, 7
	v_or_b32_e32 v2, s29, v74
	s_mul_i32 s2, s4, s30
	v_lshlrev_b32_e32 v0, 10, v0
	s_mul_i32 s2, s2, s7
	v_lshlrev_b32_e32 v1, 4, v75
	s_ashr_i32 s3, s2, 31
	v_mul_lo_u32 v20, v2, s4
	s_lshl_b64 s[2:3], s[2:3], 1
	v_lshlrev_b32_e32 v3, 6, v74
	v_and_b32_e32 v0, 0x3800, v0
	s_delay_alu instid0(VALU_DEP_1) | instskip(NEXT) | instid1(VALU_DEP_4)
	v_or3_b32 v16, v0, v1, v3
	v_ashrrev_i32_e32 v21, 31, v20
	ds_load_b128 v[0:3], v16
	ds_load_b128 v[4:7], v16 offset:128
	s_waitcnt lgkmcnt(0)
	s_add_u32 s2, s0, s2
	s_addc_u32 s3, s1, s3
	s_lshl_b32 s0, s14, 7
	ds_load_b128 v[8:11], v16 offset:256
	ds_load_b128 v[12:15], v16 offset:384
	;; [unrolled: 1-line block ×3, first 2 shown]
	s_ashr_i32 s1, s0, 31
	s_delay_alu instid0(SALU_CYCLE_1) | instskip(NEXT) | instid1(SALU_CYCLE_1)
	s_lshl_b64 s[0:1], s[0:1], 1
	s_add_u32 s0, s2, s0
	s_addc_u32 s1, s3, s1
	s_lshl_b32 s2, s34, 8
	v_add_co_u32 v30, s0, s0, v73
	v_add_nc_u32_e32 v22, s2, v20
	v_lshlrev_b64 v[20:21], 1, v[20:21]
	v_add_co_ci_u32_e64 v31, null, s1, 0, s0
	s_delay_alu instid0(VALU_DEP_3) | instskip(SKIP_1) | instid1(VALU_DEP_4)
	v_add_nc_u32_e32 v24, s2, v22
	v_ashrrev_i32_e32 v23, 31, v22
	v_add_co_u32 v20, vcc_lo, v30, v20
	s_delay_alu instid0(VALU_DEP_4) | instskip(NEXT) | instid1(VALU_DEP_4)
	v_add_co_ci_u32_e32 v21, vcc_lo, v31, v21, vcc_lo
	v_add_nc_u32_e32 v26, s2, v24
	v_ashrrev_i32_e32 v25, 31, v24
	v_lshlrev_b64 v[22:23], 1, v[22:23]
	s_delay_alu instid0(VALU_DEP_3) | instskip(SKIP_1) | instid1(VALU_DEP_4)
	v_add_nc_u32_e32 v28, s2, v26
	v_ashrrev_i32_e32 v27, 31, v26
	v_lshlrev_b64 v[24:25], 1, v[24:25]
	s_delay_alu instid0(VALU_DEP_4) | instskip(NEXT) | instid1(VALU_DEP_4)
	v_add_co_u32 v22, vcc_lo, v30, v22
	v_ashrrev_i32_e32 v29, 31, v28
	s_delay_alu instid0(VALU_DEP_4) | instskip(SKIP_2) | instid1(VALU_DEP_4)
	v_lshlrev_b64 v[26:27], 1, v[26:27]
	v_add_co_ci_u32_e32 v23, vcc_lo, v31, v23, vcc_lo
	v_add_co_u32 v24, vcc_lo, v30, v24
	v_lshlrev_b64 v[28:29], 1, v[28:29]
	v_add_co_ci_u32_e32 v25, vcc_lo, v31, v25, vcc_lo
	v_add_co_u32 v26, vcc_lo, v30, v26
	v_add_co_ci_u32_e32 v27, vcc_lo, v31, v27, vcc_lo
	s_delay_alu instid0(VALU_DEP_4)
	v_add_co_u32 v28, vcc_lo, v30, v28
	v_add_co_ci_u32_e32 v29, vcc_lo, v31, v29, vcc_lo
	s_clause 0x1
	global_store_b128 v[20:21], v[0:3], off
	global_store_b128 v[22:23], v[4:7], off
	s_waitcnt lgkmcnt(2)
	global_store_b128 v[24:25], v[8:11], off
	s_waitcnt lgkmcnt(1)
	;; [unrolled: 2-line block ×3, first 2 shown]
	global_store_b128 v[28:29], v[16:19], off
	s_nop 0
	s_sendmsg sendmsg(MSG_DEALLOC_VGPRS)
	s_endpgm
	.section	.rodata,"a",@progbits
	.p2align	6, 0x0
	.amdhsa_kernel _Z39paged_attention_ll4mi_QKV_mfma16_kernelI14__hip_bfloat16hLN4vllm18Fp8KVCacheDataTypeE1ES0_Li16ELi128ELi256ELb1ELi10EL8MFMAType0EEvPKT_PKT0_S9_ifPKiSB_SB_iPKfiiiPfSE_PS4_PT2_iSD_SD_
		.amdhsa_group_segment_fixed_size 17472
		.amdhsa_private_segment_fixed_size 0
		.amdhsa_kernarg_size 400
		.amdhsa_user_sgpr_count 13
		.amdhsa_user_sgpr_dispatch_ptr 0
		.amdhsa_user_sgpr_queue_ptr 0
		.amdhsa_user_sgpr_kernarg_segment_ptr 1
		.amdhsa_user_sgpr_dispatch_id 0
		.amdhsa_user_sgpr_private_segment_size 0
		.amdhsa_wavefront_size32 1
		.amdhsa_uses_dynamic_stack 0
		.amdhsa_enable_private_segment 0
		.amdhsa_system_sgpr_workgroup_id_x 1
		.amdhsa_system_sgpr_workgroup_id_y 1
		.amdhsa_system_sgpr_workgroup_id_z 1
		.amdhsa_system_sgpr_workgroup_info 0
		.amdhsa_system_vgpr_workitem_id 0
		.amdhsa_next_free_vgpr 140
		.amdhsa_next_free_sgpr 36
		.amdhsa_reserve_vcc 1
		.amdhsa_float_round_mode_32 0
		.amdhsa_float_round_mode_16_64 0
		.amdhsa_float_denorm_mode_32 3
		.amdhsa_float_denorm_mode_16_64 3
		.amdhsa_dx10_clamp 1
		.amdhsa_ieee_mode 1
		.amdhsa_fp16_overflow 0
		.amdhsa_workgroup_processor_mode 1
		.amdhsa_memory_ordered 1
		.amdhsa_forward_progress 0
		.amdhsa_shared_vgpr_count 0
		.amdhsa_exception_fp_ieee_invalid_op 0
		.amdhsa_exception_fp_denorm_src 0
		.amdhsa_exception_fp_ieee_div_zero 0
		.amdhsa_exception_fp_ieee_overflow 0
		.amdhsa_exception_fp_ieee_underflow 0
		.amdhsa_exception_fp_ieee_inexact 0
		.amdhsa_exception_int_div_zero 0
	.end_amdhsa_kernel
	.section	.text._Z39paged_attention_ll4mi_QKV_mfma16_kernelI14__hip_bfloat16hLN4vllm18Fp8KVCacheDataTypeE1ES0_Li16ELi128ELi256ELb1ELi10EL8MFMAType0EEvPKT_PKT0_S9_ifPKiSB_SB_iPKfiiiPfSE_PS4_PT2_iSD_SD_,"axG",@progbits,_Z39paged_attention_ll4mi_QKV_mfma16_kernelI14__hip_bfloat16hLN4vllm18Fp8KVCacheDataTypeE1ES0_Li16ELi128ELi256ELb1ELi10EL8MFMAType0EEvPKT_PKT0_S9_ifPKiSB_SB_iPKfiiiPfSE_PS4_PT2_iSD_SD_,comdat
.Lfunc_end1831:
	.size	_Z39paged_attention_ll4mi_QKV_mfma16_kernelI14__hip_bfloat16hLN4vllm18Fp8KVCacheDataTypeE1ES0_Li16ELi128ELi256ELb1ELi10EL8MFMAType0EEvPKT_PKT0_S9_ifPKiSB_SB_iPKfiiiPfSE_PS4_PT2_iSD_SD_, .Lfunc_end1831-_Z39paged_attention_ll4mi_QKV_mfma16_kernelI14__hip_bfloat16hLN4vllm18Fp8KVCacheDataTypeE1ES0_Li16ELi128ELi256ELb1ELi10EL8MFMAType0EEvPKT_PKT0_S9_ifPKiSB_SB_iPKfiiiPfSE_PS4_PT2_iSD_SD_
                                        ; -- End function
	.section	.AMDGPU.csdata,"",@progbits
; Kernel info:
; codeLenInByte = 8908
; NumSgprs: 38
; NumVgprs: 140
; ScratchSize: 0
; MemoryBound: 0
; FloatMode: 240
; IeeeMode: 1
; LDSByteSize: 17472 bytes/workgroup (compile time only)
; SGPRBlocks: 4
; VGPRBlocks: 17
; NumSGPRsForWavesPerEU: 38
; NumVGPRsForWavesPerEU: 140
; Occupancy: 10
; WaveLimiterHint : 1
; COMPUTE_PGM_RSRC2:SCRATCH_EN: 0
; COMPUTE_PGM_RSRC2:USER_SGPR: 13
; COMPUTE_PGM_RSRC2:TRAP_HANDLER: 0
; COMPUTE_PGM_RSRC2:TGID_X_EN: 1
; COMPUTE_PGM_RSRC2:TGID_Y_EN: 1
; COMPUTE_PGM_RSRC2:TGID_Z_EN: 1
; COMPUTE_PGM_RSRC2:TIDIG_COMP_CNT: 0
	.section	.text._Z39paged_attention_ll4mi_QKV_mfma16_kernelI14__hip_bfloat16hLN4vllm18Fp8KVCacheDataTypeE1ES0_Li16ELi128ELi256ELb1ELi11EL8MFMAType0EEvPKT_PKT0_S9_ifPKiSB_SB_iPKfiiiPfSE_PS4_PT2_iSD_SD_,"axG",@progbits,_Z39paged_attention_ll4mi_QKV_mfma16_kernelI14__hip_bfloat16hLN4vllm18Fp8KVCacheDataTypeE1ES0_Li16ELi128ELi256ELb1ELi11EL8MFMAType0EEvPKT_PKT0_S9_ifPKiSB_SB_iPKfiiiPfSE_PS4_PT2_iSD_SD_,comdat
	.protected	_Z39paged_attention_ll4mi_QKV_mfma16_kernelI14__hip_bfloat16hLN4vllm18Fp8KVCacheDataTypeE1ES0_Li16ELi128ELi256ELb1ELi11EL8MFMAType0EEvPKT_PKT0_S9_ifPKiSB_SB_iPKfiiiPfSE_PS4_PT2_iSD_SD_ ; -- Begin function _Z39paged_attention_ll4mi_QKV_mfma16_kernelI14__hip_bfloat16hLN4vllm18Fp8KVCacheDataTypeE1ES0_Li16ELi128ELi256ELb1ELi11EL8MFMAType0EEvPKT_PKT0_S9_ifPKiSB_SB_iPKfiiiPfSE_PS4_PT2_iSD_SD_
	.globl	_Z39paged_attention_ll4mi_QKV_mfma16_kernelI14__hip_bfloat16hLN4vllm18Fp8KVCacheDataTypeE1ES0_Li16ELi128ELi256ELb1ELi11EL8MFMAType0EEvPKT_PKT0_S9_ifPKiSB_SB_iPKfiiiPfSE_PS4_PT2_iSD_SD_
	.p2align	8
	.type	_Z39paged_attention_ll4mi_QKV_mfma16_kernelI14__hip_bfloat16hLN4vllm18Fp8KVCacheDataTypeE1ES0_Li16ELi128ELi256ELb1ELi11EL8MFMAType0EEvPKT_PKT0_S9_ifPKiSB_SB_iPKfiiiPfSE_PS4_PT2_iSD_SD_,@function
_Z39paged_attention_ll4mi_QKV_mfma16_kernelI14__hip_bfloat16hLN4vllm18Fp8KVCacheDataTypeE1ES0_Li16ELi128ELi256ELb1ELi11EL8MFMAType0EEvPKT_PKT0_S9_ifPKiSB_SB_iPKfiiiPfSE_PS4_PT2_iSD_SD_: ; @_Z39paged_attention_ll4mi_QKV_mfma16_kernelI14__hip_bfloat16hLN4vllm18Fp8KVCacheDataTypeE1ES0_Li16ELi128ELi256ELb1ELi11EL8MFMAType0EEvPKT_PKT0_S9_ifPKiSB_SB_iPKfiiiPfSE_PS4_PT2_iSD_SD_
; %bb.0:
	s_load_b64 s[4:5], s[0:1], 0x30
	s_mov_b32 s30, s13
	s_waitcnt lgkmcnt(0)
	s_cmp_lg_u64 s[4:5], 0
	s_cselect_b32 s13, -1, 0
	s_ashr_i32 s31, s30, 31
	s_cmp_eq_u64 s[4:5], 0
	s_cbranch_scc1 .LBB1832_3
; %bb.1:
	s_lshl_b64 s[2:3], s[30:31], 2
	s_delay_alu instid0(SALU_CYCLE_1) | instskip(SKIP_4) | instid1(SALU_CYCLE_1)
	s_add_u32 s2, s4, s2
	s_addc_u32 s3, s5, s3
	s_load_b64 s[2:3], s[2:3], 0x0
	s_waitcnt lgkmcnt(0)
	s_sub_i32 s2, s3, s2
	s_cmp_eq_u32 s2, 1
	s_cselect_b32 s2, -1, 0
	s_delay_alu instid0(SALU_CYCLE_1)
	s_and_not1_b32 vcc_lo, exec_lo, s2
	s_cbranch_vccz .LBB1832_4
.LBB1832_2:
	s_nop 0
	s_sendmsg sendmsg(MSG_DEALLOC_VGPRS)
	s_endpgm
.LBB1832_3:
.LBB1832_4:
	s_load_b64 s[2:3], s[0:1], 0x28
	s_lshl_b64 s[6:7], s[30:31], 2
	s_waitcnt lgkmcnt(0)
	s_add_u32 s2, s2, s6
	s_addc_u32 s3, s3, s7
	s_lshl_b32 s12, s14, 8
	s_load_b32 s17, s[2:3], 0x0
	s_waitcnt lgkmcnt(0)
	s_cmp_ge_i32 s12, s17
	s_cbranch_scc1 .LBB1832_2
; %bb.5:
	s_clause 0x1
	s_load_b128 s[8:11], s[0:1], 0x8
	s_load_b64 s[2:3], s[0:1], 0x20
	s_and_not1_b32 vcc_lo, exec_lo, s13
	s_cbranch_vccnz .LBB1832_7
; %bb.6:
	s_add_u32 s4, s4, s6
	s_addc_u32 s5, s5, s7
	s_load_b32 s13, s[4:5], 0x0
	s_branch .LBB1832_8
.LBB1832_7:
	s_mov_b32 s13, s30
.LBB1832_8:
	s_load_b128 s[4:7], s[0:1], 0x48
	v_and_b32_e32 v65, 15, v0
	v_lshrrev_b32_e32 v66, 5, v0
	v_bfe_u32 v74, v0, 4, 1
	v_and_b32_e32 v67, 31, v0
	v_and_b32_e32 v75, 1, v0
	v_lshlrev_b32_e32 v2, 3, v65
	s_mul_i32 s31, s15, 11
	v_lshl_or_b32 v1, v66, 1, v74
	s_waitcnt lgkmcnt(0)
	s_mov_b32 s7, exec_lo
	v_lshlrev_b32_e32 v73, 1, v2
	s_delay_alu instid0(VALU_DEP_2)
	v_cmpx_gt_u32_e32 11, v1
	s_cbranch_execz .LBB1832_10
; %bb.9:
	s_load_b64 s[18:19], s[0:1], 0x0
	v_add_lshl_u32 v2, v1, s31, 7
	s_mul_hi_i32 s21, s13, s4
	s_mul_i32 s20, s13, s4
	v_lshlrev_b32_e32 v6, 10, v65
	s_lshl_b64 s[20:21], s[20:21], 1
	v_ashrrev_i32_e32 v3, 31, v2
	v_lshlrev_b32_e32 v1, 6, v1
	v_lshlrev_b32_e32 v7, 10, v75
	v_and_b32_e32 v6, 0x3800, v6
	s_delay_alu instid0(VALU_DEP_4) | instskip(NEXT) | instid1(VALU_DEP_2)
	v_lshlrev_b64 v[2:3], 1, v[2:3]
	v_or3_b32 v1, v6, v7, v1
	s_waitcnt lgkmcnt(0)
	s_add_u32 s4, s18, s20
	s_addc_u32 s13, s19, s21
	s_delay_alu instid0(VALU_DEP_2) | instskip(SKIP_1) | instid1(VALU_DEP_2)
	v_add_co_u32 v2, vcc_lo, s4, v2
	v_add_co_ci_u32_e32 v3, vcc_lo, s13, v3, vcc_lo
	v_add_co_u32 v2, vcc_lo, v2, v73
	s_delay_alu instid0(VALU_DEP_2)
	v_add_co_ci_u32_e32 v3, vcc_lo, 0, v3, vcc_lo
	global_load_b128 v[2:5], v[2:3], off
	s_waitcnt vmcnt(0)
	ds_store_b128 v1, v[2:5]
.LBB1832_10:
	s_or_b32 exec_lo, exec_lo, s7
	v_and_b32_e32 v1, 0xef, v0
	s_add_i32 s4, s17, 15
	s_clause 0x1
	s_load_b32 s7, s[0:1], 0x38
	s_load_b32 s18, s[0:1], 0x1c
	s_ashr_i32 s13, s4, 31
	v_add_nc_u32_e32 v1, s12, v1
	s_lshr_b32 s13, s13, 28
	s_waitcnt lgkmcnt(0)
	s_add_i32 s4, s4, s13
	s_barrier
	v_ashrrev_i32_e32 v2, 31, v1
	v_or_b32_e32 v3, 16, v1
	s_ashr_i32 s4, s4, 4
	v_cmp_gt_i32_e32 vcc_lo, s17, v1
	s_add_i32 s4, s4, -1
	v_lshrrev_b32_e32 v2, 28, v2
	buffer_gl0_inv
	s_mul_i32 s15, s15, s6
	v_add_nc_u32_e32 v4, v1, v2
	s_mul_i32 s20, s30, s7
	s_delay_alu instid0(SALU_CYCLE_1) | instskip(NEXT) | instid1(VALU_DEP_1)
	s_ashr_i32 s21, s20, 31
	v_ashrrev_i32_e32 v4, 4, v4
	v_add_nc_u32_e32 v2, v3, v2
	s_lshl_b64 s[20:21], s[20:21], 2
	s_delay_alu instid0(SALU_CYCLE_1) | instskip(NEXT) | instid1(VALU_DEP_2)
	s_add_u32 s13, s2, s20
	v_cndmask_b32_e32 v1, s4, v4, vcc_lo
	s_delay_alu instid0(VALU_DEP_2)
	v_ashrrev_i32_e32 v2, 4, v2
	v_cmp_gt_i32_e32 vcc_lo, s17, v3
	s_addc_u32 s16, s3, s21
	s_ashr_i32 s19, s15, 31
	s_add_u32 s26, s8, s15
	s_addc_u32 s27, s9, s19
	v_cndmask_b32_e32 v3, s4, v2, vcc_lo
	v_ashrrev_i32_e32 v2, 31, v1
	s_lshl_b32 s2, s14, 4
	s_delay_alu instid0(SALU_CYCLE_1) | instskip(NEXT) | instid1(VALU_DEP_2)
	s_ashr_i32 s3, s2, 31
	v_ashrrev_i32_e32 v4, 31, v3
	s_delay_alu instid0(VALU_DEP_2) | instskip(SKIP_1) | instid1(SALU_CYCLE_1)
	v_lshlrev_b64 v[1:2], 2, v[1:2]
	s_lshl_b64 s[2:3], s[2:3], 2
	s_add_u32 s2, s13, s2
	s_delay_alu instid0(VALU_DEP_2) | instskip(SKIP_1) | instid1(VALU_DEP_2)
	v_lshlrev_b64 v[3:4], 2, v[3:4]
	s_addc_u32 s3, s16, s3
	v_add_co_u32 v1, vcc_lo, s13, v1
	v_add_co_ci_u32_e32 v2, vcc_lo, s16, v2, vcc_lo
	s_delay_alu instid0(VALU_DEP_3) | instskip(NEXT) | instid1(VALU_DEP_4)
	v_add_co_u32 v3, vcc_lo, s13, v3
	v_add_co_ci_u32_e32 v4, vcc_lo, s16, v4, vcc_lo
	s_clause 0x1
	global_load_b32 v5, v[1:2], off
	global_load_b32 v3, v[3:4], off
	s_or_b32 s6, s12, 32
	v_cmp_gt_u32_e32 vcc_lo, 11, v65
	s_ashr_i32 s7, s6, 4
	s_cmp_lt_i32 s6, s17
	s_cselect_b32 s6, s7, s4
	s_delay_alu instid0(SALU_CYCLE_1) | instskip(NEXT) | instid1(SALU_CYCLE_1)
	s_ashr_i32 s7, s6, 31
	s_lshl_b64 s[6:7], s[6:7], 2
	s_delay_alu instid0(SALU_CYCLE_1) | instskip(SKIP_2) | instid1(SALU_CYCLE_1)
	s_add_u32 s6, s13, s6
	s_addc_u32 s7, s16, s7
	s_or_b32 s8, s12, 64
	s_ashr_i32 s9, s8, 4
	s_cmp_lt_i32 s8, s17
	s_cselect_b32 s8, s9, s4
	s_delay_alu instid0(SALU_CYCLE_1) | instskip(NEXT) | instid1(SALU_CYCLE_1)
	s_ashr_i32 s9, s8, 31
	s_lshl_b64 s[8:9], s[8:9], 2
	s_delay_alu instid0(SALU_CYCLE_1) | instskip(SKIP_2) | instid1(SALU_CYCLE_1)
	s_add_u32 s8, s13, s8
	s_addc_u32 s9, s16, s9
	s_or_b32 s20, s12, 0x60
	;; [unrolled: 10-line block ×4, first 2 shown]
	s_ashr_i32 s25, s24, 4
	s_cmp_lt_i32 s24, s17
	s_cselect_b32 s24, s25, s4
	s_delay_alu instid0(SALU_CYCLE_1) | instskip(NEXT) | instid1(SALU_CYCLE_1)
	s_ashr_i32 s25, s24, 31
	s_lshl_b64 s[24:25], s[24:25], 2
	s_delay_alu instid0(SALU_CYCLE_1)
	s_add_u32 s24, s13, s24
	s_addc_u32 s25, s16, s25
	s_clause 0x5
	s_load_b32 s28, s[2:3], 0x0
	s_load_b32 s29, s[6:7], 0x0
	;; [unrolled: 1-line block ×6, first 2 shown]
	s_mov_b32 s20, 0
	s_or_b32 s2, s12, 0xc0
	s_mov_b32 s21, s20
	s_mov_b32 s22, s20
	s_mov_b32 s23, s20
	s_mov_b32 s24, s20
	s_mov_b32 s25, s20
	v_lshlrev_b32_e32 v1, 4, v0
	s_ashr_i32 s3, s2, 4
	s_cmp_lt_i32 s2, s17
	s_cselect_b32 s2, s3, s4
	s_delay_alu instid0(VALU_DEP_1) | instskip(SKIP_1) | instid1(SALU_CYCLE_1)
	v_and_b32_e32 v1, 0xf0, v1
	s_ashr_i32 s3, s2, 31
	s_lshl_b64 s[2:3], s[2:3], 2
	s_delay_alu instid0(VALU_DEP_1) | instskip(NEXT) | instid1(VALU_DEP_1)
	v_add_co_u32 v1, s26, s26, v1
	v_add_co_ci_u32_e64 v2, null, s27, 0, s26
	s_add_u32 s2, s13, s2
	s_addc_u32 s3, s16, s3
	s_or_b32 s6, s12, 0xe0
	s_mov_b32 s27, s20
	s_ashr_i32 s7, s6, 4
	s_cmp_lt_i32 s6, s17
	s_mov_b32 s26, s20
	v_dual_mov_b32 v107, s27 :: v_dual_mov_b32 v100, s20
	s_cselect_b32 s6, s7, s4
	v_mov_b32_e32 v106, s26
	s_ashr_i32 s7, s6, 31
	v_mov_b32_e32 v104, s24
	s_lshl_b64 s[6:7], s[6:7], 2
	v_dual_mov_b32 v103, s23 :: v_dual_mov_b32 v102, s22
	v_mov_b32_e32 v101, s21
	s_waitcnt vmcnt(1)
	v_mad_i64_i32 v[33:34], null, v5, s5, v[1:2]
	s_waitcnt vmcnt(0)
	v_mad_i64_i32 v[35:36], null, v3, s5, v[1:2]
	s_clause 0xf
	global_load_b128 v[1:4], v[33:34], off
	global_load_b128 v[5:8], v[33:34], off offset:256
	global_load_b128 v[9:12], v[35:36], off
	global_load_b128 v[13:16], v[35:36], off offset:256
	global_load_b128 v[17:20], v[33:34], off offset:512
	;; [unrolled: 1-line block ×13, first 2 shown]
	v_add_nc_u32_e32 v33, -11, v65
	v_lshlrev_b32_e32 v34, 4, v65
	s_delay_alu instid0(VALU_DEP_2) | instskip(SKIP_1) | instid1(VALU_DEP_3)
	v_cndmask_b32_e32 v33, v33, v65, vcc_lo
	v_mov_b32_e32 v105, s25
	v_lshl_or_b32 v41, v66, 8, v34
	s_delay_alu instid0(VALU_DEP_3)
	v_lshlrev_b32_e32 v72, 6, v33
	ds_load_b128 v[33:36], v72
	ds_load_b128 v[37:40], v72 offset:1024
	ds_load_b128 v[108:111], v72 offset:2048
	ds_load_b128 v[112:115], v72 offset:3072
	s_load_b32 s4, s[2:3], 0x0
	s_add_u32 s2, s13, s6
	s_addc_u32 s3, s16, s7
	ds_load_b128 v[116:119], v72 offset:4096
	ds_load_b128 v[120:123], v72 offset:5120
	s_load_b32 s2, s[2:3], 0x0
	s_add_u32 s6, s10, s15
	s_addc_u32 s7, s11, s19
	v_add_co_u32 v68, s6, s6, v41
	s_delay_alu instid0(VALU_DEP_1) | instskip(SKIP_1) | instid1(VALU_DEP_1)
	v_add_co_ci_u32_e64 v69, null, s7, 0, s6
	s_waitcnt lgkmcnt(0)
	v_mad_i64_i32 v[41:42], null, s28, s5, v[68:69]
	v_mad_i64_i32 v[70:71], null, s8, s5, v[68:69]
	;; [unrolled: 1-line block ×7, first 2 shown]
	s_clause 0x3
	global_load_b128 v[49:52], v[41:42], off
	global_load_b128 v[53:56], v[41:42], off offset:16
	global_load_b128 v[41:44], v[45:46], off
	global_load_b128 v[45:48], v[45:46], off offset:16
	s_waitcnt vmcnt(18)
	v_wmma_f32_16x16x16_bf16 v[124:131], v[1:8], v[33:40], v[100:107]
	s_waitcnt vmcnt(16)
	v_wmma_f32_16x16x16_bf16 v[100:107], v[9:16], v[33:40], v[100:107]
	s_clause 0x1
	global_load_b128 v[33:36], v[70:71], off
	global_load_b128 v[37:40], v[70:71], off offset:16
	v_mad_i64_i32 v[70:71], null, s2, s5, v[68:69]
	s_waitcnt vmcnt(16)
	v_wmma_f32_16x16x16_bf16 v[124:131], v[17:24], v[108:115], v[124:131]
	s_waitcnt vmcnt(14)
	v_wmma_f32_16x16x16_bf16 v[100:107], v[25:32], v[108:115], v[100:107]
	s_clause 0x7
	global_load_b128 v[25:28], v[132:133], off
	global_load_b128 v[29:32], v[132:133], off offset:16
	global_load_b128 v[1:4], v[134:135], off
	global_load_b128 v[5:8], v[134:135], off offset:16
	;; [unrolled: 2-line block ×4, first 2 shown]
	s_waitcnt vmcnt(20)
	v_wmma_f32_16x16x16_bf16 v[124:131], v[57:64], v[116:123], v[124:131]
	s_clause 0x1
	global_load_b128 v[57:60], v[70:71], off
	global_load_b128 v[61:64], v[70:71], off offset:16
	s_waitcnt vmcnt(20)
	v_wmma_f32_16x16x16_bf16 v[100:107], v[76:83], v[116:123], v[100:107]
	ds_load_b128 v[76:79], v72 offset:6144
	ds_load_b128 v[80:83], v72 offset:7168
	v_and_b32_e32 v68, 0xe0, v0
	v_mbcnt_lo_u32_b32 v69, -1, 0
	s_waitcnt vmcnt(0) lgkmcnt(0)
	s_barrier
	buffer_gl0_inv
	v_add_nc_u32_e32 v68, s12, v68
	v_xor_b32_e32 v70, 16, v69
	s_delay_alu instid0(VALU_DEP_2) | instskip(NEXT) | instid1(VALU_DEP_2)
	v_or_b32_e32 v68, v68, v74
	v_cmp_gt_i32_e32 vcc_lo, 32, v70
	s_delay_alu instid0(VALU_DEP_2)
	v_or_b32_e32 v71, 4, v68
	v_or_b32_e32 v72, 6, v68
	v_cmp_gt_i32_e64 s2, s17, v68
	v_or_b32_e32 v108, 8, v68
	v_wmma_f32_16x16x16_bf16 v[124:131], v[84:91], v[76:83], v[124:131]
	v_cndmask_b32_e32 v69, v69, v70, vcc_lo
	v_or_b32_e32 v70, 2, v68
	v_wmma_f32_16x16x16_bf16 v[100:107], v[92:99], v[76:83], v[100:107]
	v_or_b32_e32 v109, 10, v68
	v_dual_mul_f32 v82, s18, v127 :: v_dual_mul_f32 v79, s18, v130
	v_dual_mul_f32 v92, s18, v125 :: v_dual_mul_f32 v93, s18, v124
	s_delay_alu instid0(VALU_DEP_4)
	v_mul_f32_e32 v98, s18, v103
	v_cmp_gt_i32_e32 vcc_lo, s17, v70
	v_or_b32_e32 v89, 22, v68
	v_dual_mul_f32 v83, s18, v126 :: v_dual_mul_f32 v96, s18, v105
	v_cndmask_b32_e64 v93, 0xff7fffff, v93, s2
	v_cndmask_b32_e32 v92, 0xff7fffff, v92, vcc_lo
	v_cmp_gt_i32_e64 s3, s17, v71
	v_cmp_gt_i32_e64 s4, s17, v72
	v_or_b32_e32 v84, 12, v68
	v_or_b32_e32 v85, 14, v68
	v_dual_mul_f32 v80, s18, v129 :: v_dual_mul_f32 v81, s18, v128
	v_mul_f32_e32 v94, s18, v107
	v_cndmask_b32_e64 v71, 0xff7fffff, v83, s3
	v_cndmask_b32_e64 v72, 0xff7fffff, v82, s4
	v_cmp_gt_i32_e64 s5, s17, v108
	v_cmp_gt_i32_e64 s6, s17, v109
	;; [unrolled: 1-line block ×3, first 2 shown]
	v_lshlrev_b32_e32 v89, 2, v69
	v_max3_f32 v82, v93, 0xff7fffff, v92
	v_or_b32_e32 v86, 16, v68
	v_or_b32_e32 v87, 18, v68
	v_mul_f32_e32 v78, s18, v131
	v_cndmask_b32_e64 v81, 0xff7fffff, v81, s5
	v_cndmask_b32_e64 v80, 0xff7fffff, v80, s6
	v_max3_f32 v71, v82, v71, v72
	v_cmp_gt_i32_e64 s7, s17, v84
	v_cmp_gt_i32_e64 s8, s17, v85
	v_or_b32_e32 v88, 20, v68
	v_or_b32_e32 v90, 24, v68
	;; [unrolled: 1-line block ×5, first 2 shown]
	v_dual_mul_f32 v95, s18, v106 :: v_dual_mul_f32 v70, s18, v101
	v_dual_mul_f32 v99, s18, v102 :: v_dual_mul_f32 v68, s18, v100
	v_cndmask_b32_e64 v72, 0xff7fffff, v79, s7
	v_cndmask_b32_e64 v78, 0xff7fffff, v78, s8
	v_max3_f32 v71, v71, v81, v80
	v_cmp_gt_i32_e64 s9, s17, v86
	v_cmp_gt_i32_e64 s10, s17, v87
	;; [unrolled: 1-line block ×3, first 2 shown]
	v_mul_f32_e32 v97, s18, v104
	v_max3_f32 v71, v71, v72, v78
	v_cndmask_b32_e64 v68, 0xff7fffff, v68, s9
	v_cndmask_b32_e64 v70, 0xff7fffff, v70, s10
	;; [unrolled: 1-line block ×4, first 2 shown]
	v_cmp_gt_i32_e64 s13, s17, v90
	v_cmp_gt_i32_e64 s15, s17, v91
	v_max3_f32 v68, v71, v68, v70
	v_cmp_gt_i32_e64 s16, s17, v76
	v_cmp_gt_i32_e64 s17, s17, v77
	v_cndmask_b32_e64 v70, 0xff7fffff, v97, s13
	v_cndmask_b32_e64 v71, 0xff7fffff, v96, s15
	v_max3_f32 v68, v68, v72, v78
	v_cndmask_b32_e64 v72, 0xff7fffff, v95, s16
	v_cndmask_b32_e64 v76, 0xff7fffff, v94, s17
	s_delay_alu instid0(VALU_DEP_3) | instskip(NEXT) | instid1(VALU_DEP_1)
	v_max3_f32 v68, v68, v70, v71
	v_max3_f32 v68, v68, v72, v76
	ds_bpermute_b32 v69, v89, v68
	s_waitcnt lgkmcnt(0)
	v_max_f32_e32 v69, v69, v69
	s_delay_alu instid0(VALU_DEP_1) | instskip(NEXT) | instid1(VALU_DEP_1)
	v_max_f32_e32 v68, v68, v69
	v_fma_f32 v69, s18, v124, -v68
	v_fma_f32 v70, s18, v125, -v68
	v_fma_f32 v72, s18, v127, -v68
	v_fma_f32 v71, s18, v126, -v68
	v_fma_f32 v76, s18, v128, -v68
	s_delay_alu instid0(VALU_DEP_4) | instskip(NEXT) | instid1(VALU_DEP_4)
	v_dual_mul_f32 v69, 0x3fb8aa3b, v69 :: v_dual_mul_f32 v70, 0x3fb8aa3b, v70
	v_mul_f32_e32 v72, 0x3fb8aa3b, v72
	v_fma_f32 v78, s18, v130, -v68
	s_delay_alu instid0(VALU_DEP_4) | instskip(NEXT) | instid1(VALU_DEP_4)
	v_mul_f32_e32 v77, 0x3fb8aa3b, v76
	v_exp_f32_e32 v69, v69
	v_exp_f32_e32 v70, v70
	v_mul_f32_e32 v71, 0x3fb8aa3b, v71
	v_exp_f32_e32 v72, v72
	v_mul_f32_e32 v78, 0x3fb8aa3b, v78
	v_exp_f32_e32 v77, v77
	v_fma_f32 v81, s18, v105, -v68
	s_delay_alu instid0(VALU_DEP_2)
	v_exp_f32_e32 v78, v78
	v_cndmask_b32_e64 v80, 0, v69, s2
	v_cndmask_b32_e32 v76, 0, v70, vcc_lo
	v_exp_f32_e32 v71, v71
	v_fma_f32 v69, s18, v129, -v68
	v_cndmask_b32_e64 v85, 0, v72, s4
	v_add_f32_e32 v70, 0, v80
	s_delay_alu instid0(TRANS32_DEP_3)
	v_cndmask_b32_e64 v86, 0, v77, s5
	v_fma_f32 v77, s18, v101, -v68
	v_mul_f32_e32 v69, 0x3fb8aa3b, v69
	v_fma_f32 v72, s18, v100, -v68
	v_cndmask_b32_e64 v84, 0, v78, s7
	v_fma_f32 v78, s18, v103, -v68
	v_cndmask_b32_e64 v83, 0, v71, s3
	v_fma_f32 v71, s18, v131, -v68
	v_add_f32_e32 v70, v70, v76
	v_exp_f32_e32 v69, v69
	v_mul_f32_e32 v77, 0x3fb8aa3b, v77
	v_mul_f32_e32 v81, 0x3fb8aa3b, v81
	;; [unrolled: 1-line block ×3, first 2 shown]
	v_add_f32_e32 v70, v70, v83
	v_cmp_gt_u32_e64 s2, 16, v67
	v_exp_f32_e32 v77, v77
	v_exp_f32_e32 v81, v81
	;; [unrolled: 1-line block ×3, first 2 shown]
	v_cndmask_b32_e64 v87, 0, v69, s6
	v_add_f32_e32 v70, v70, v85
	s_delay_alu instid0(VALU_DEP_1) | instskip(SKIP_1) | instid1(VALU_DEP_2)
	v_dual_mul_f32 v72, 0x3fb8aa3b, v72 :: v_dual_add_f32 v69, v70, v86
	v_fma_f32 v70, s18, v102, -v68
	v_exp_f32_e32 v72, v72
	s_waitcnt_depctr 0xfff
	v_cndmask_b32_e64 v88, 0, v71, s8
	v_fma_f32 v71, s18, v104, -v68
	v_dual_add_f32 v69, v69, v87 :: v_dual_mul_f32 v70, 0x3fb8aa3b, v70
	s_delay_alu instid0(VALU_DEP_2) | instskip(NEXT) | instid1(VALU_DEP_2)
	v_dual_mul_f32 v78, 0x3fb8aa3b, v78 :: v_dual_mul_f32 v71, 0x3fb8aa3b, v71
	v_add_f32_e32 v69, v69, v84
	s_delay_alu instid0(VALU_DEP_3) | instskip(SKIP_1) | instid1(VALU_DEP_3)
	v_exp_f32_e32 v79, v70
	v_cndmask_b32_e64 v70, 0, v72, s9
	v_exp_f32_e32 v78, v78
	v_exp_f32_e32 v82, v71
	v_add_f32_e32 v72, v69, v88
	v_cndmask_b32_e64 v69, 0, v77, s10
	v_fma_f32 v77, s18, v106, -v68
	s_delay_alu instid0(VALU_DEP_3) | instskip(NEXT) | instid1(TRANS32_DEP_3)
	v_add_f32_e32 v72, v72, v70
	v_cndmask_b32_e64 v71, 0, v79, s11
	s_delay_alu instid0(VALU_DEP_3) | instskip(NEXT) | instid1(VALU_DEP_3)
	v_mul_f32_e32 v77, 0x3fb8aa3b, v77
	v_add_f32_e32 v79, v72, v69
	s_delay_alu instid0(TRANS32_DEP_2) | instskip(NEXT) | instid1(VALU_DEP_3)
	v_cndmask_b32_e64 v72, 0, v78, s12
	v_exp_f32_e32 v90, v77
	v_cndmask_b32_e64 v77, 0, v82, s13
	s_delay_alu instid0(VALU_DEP_3) | instskip(SKIP_1) | instid1(VALU_DEP_1)
	v_add_f32_e32 v78, v79, v71
	v_fma_f32 v79, s18, v107, -v68
	v_dual_add_f32 v82, v78, v72 :: v_dual_mul_f32 v79, 0x3fb8aa3b, v79
	v_cndmask_b32_e64 v78, 0, v81, s15
	s_delay_alu instid0(VALU_DEP_2) | instskip(NEXT) | instid1(VALU_DEP_3)
	v_add_f32_e32 v81, v82, v77
	v_exp_f32_e32 v82, v79
	s_delay_alu instid0(TRANS32_DEP_2) | instskip(NEXT) | instid1(VALU_DEP_2)
	v_cndmask_b32_e64 v79, 0, v90, s16
	v_add_f32_e32 v81, v81, v78
	s_delay_alu instid0(VALU_DEP_1) | instskip(SKIP_2) | instid1(VALU_DEP_1)
	v_add_f32_e32 v90, v81, v79
	s_waitcnt_depctr 0xfff
	v_cndmask_b32_e64 v81, 0, v82, s17
	v_add_f32_e32 v82, v90, v81
	ds_bpermute_b32 v89, v89, v82
	s_and_saveexec_b32 s3, s2
	s_cbranch_execz .LBB1832_12
; %bb.11:
	v_mul_u32_u24_e32 v67, 0x44, v66
	s_delay_alu instid0(VALU_DEP_1) | instskip(SKIP_1) | instid1(VALU_DEP_1)
	v_lshl_add_u32 v67, v65, 2, v67
	s_waitcnt lgkmcnt(0)
	v_dual_add_f32 v82, v82, v89 :: v_dual_add_nc_u32 v67, 0x4000, v67
	ds_store_2addr_b32 v67, v68, v82 offset1:136
.LBB1832_12:
	s_or_b32 exec_lo, exec_lo, s3
	v_lshlrev_b32_e32 v67, 2, v65
	s_waitcnt lgkmcnt(0)
	s_barrier
	buffer_gl0_inv
	v_cmp_eq_u32_e32 vcc_lo, 1, v66
	v_add_nc_u32_e32 v82, 0x4000, v67
	v_cmp_eq_u32_e64 s3, 2, v66
	v_cmp_eq_u32_e64 s5, 7, v66
	ds_load_2addr_b32 v[89:90], v82 offset1:17
	ds_load_2addr_b32 v[91:92], v82 offset0:34 offset1:51
	ds_load_2addr_b32 v[93:94], v82 offset0:68 offset1:85
	;; [unrolled: 1-line block ×4, first 2 shown]
	s_waitcnt lgkmcnt(4)
	v_max3_f32 v67, v89, 0xff7fffff, v90
	s_waitcnt lgkmcnt(3)
	s_delay_alu instid0(VALU_DEP_1) | instskip(SKIP_1) | instid1(VALU_DEP_1)
	v_max3_f32 v67, v67, v91, v92
	s_waitcnt lgkmcnt(2)
	v_max3_f32 v67, v67, v93, v94
	s_waitcnt lgkmcnt(1)
	s_delay_alu instid0(VALU_DEP_1) | instskip(NEXT) | instid1(VALU_DEP_1)
	v_max3_f32 v67, v67, v95, v96
	v_sub_f32_e32 v93, v93, v67
	s_delay_alu instid0(VALU_DEP_1) | instskip(NEXT) | instid1(VALU_DEP_1)
	v_dual_sub_f32 v68, v89, v67 :: v_dual_mul_f32 v103, 0x3fb8aa3b, v93
	v_mul_f32_e32 v68, 0x3fb8aa3b, v68
	s_delay_alu instid0(VALU_DEP_1)
	v_exp_f32_e32 v100, v68
	v_sub_f32_e32 v68, v92, v67
	v_sub_f32_e32 v99, v90, v67
	ds_load_2addr_b32 v[89:90], v82 offset0:170 offset1:187
	v_dual_mul_f32 v102, 0x3fb8aa3b, v68 :: v_dual_mul_f32 v99, 0x3fb8aa3b, v99
	s_waitcnt lgkmcnt(1)
	v_fma_f32 v68, v100, v97, 0
	s_delay_alu instid0(VALU_DEP_2) | instskip(NEXT) | instid1(VALU_DEP_2)
	v_exp_f32_e32 v102, v102
	v_exp_f32_e32 v99, v99
	s_waitcnt_depctr 0xfff
	v_fmac_f32_e32 v68, v99, v98
	v_sub_f32_e32 v91, v91, v67
	s_delay_alu instid0(VALU_DEP_1)
	v_mul_f32_e32 v101, 0x3fb8aa3b, v91
	ds_load_2addr_b32 v[91:92], v82 offset0:204 offset1:221
	v_sub_f32_e32 v97, v94, v67
	ds_load_2addr_b32 v[93:94], v82 offset0:238 offset1:255
	s_waitcnt lgkmcnt(0)
	v_exp_f32_e32 v101, v101
	s_barrier
	buffer_gl0_inv
	v_dual_fmac_f32 v68, v101, v89 :: v_dual_sub_f32 v89, v96, v67
	v_dual_sub_f32 v82, v95, v67 :: v_dual_mul_f32 v95, 0x3fb8aa3b, v97
	v_exp_f32_e32 v97, v103
	s_delay_alu instid0(VALU_DEP_2) | instskip(NEXT) | instid1(VALU_DEP_2)
	v_dual_fmac_f32 v68, v102, v90 :: v_dual_mul_f32 v89, 0x3fb8aa3b, v89
	v_mul_f32_e32 v82, 0x3fb8aa3b, v82
	s_delay_alu instid0(VALU_DEP_3) | instskip(NEXT) | instid1(VALU_DEP_2)
	v_exp_f32_e32 v95, v95
	v_exp_f32_e32 v89, v89
	s_delay_alu instid0(VALU_DEP_1)
	v_exp_f32_e32 v82, v82
	v_fmac_f32_e32 v68, v97, v91
	s_delay_alu instid0(TRANS32_DEP_3) | instid1(VALU_DEP_1)
	v_fmac_f32_e32 v68, v95, v92
	s_waitcnt_depctr 0xfff
	v_fmac_f32_e32 v68, v82, v93
	s_delay_alu instid0(VALU_DEP_1) | instskip(NEXT) | instid1(VALU_DEP_1)
	v_fmac_f32_e32 v68, v89, v94
	v_add_f32_e32 v90, 0x358637bd, v68
	s_delay_alu instid0(VALU_DEP_1) | instskip(NEXT) | instid1(VALU_DEP_1)
	v_div_scale_f32 v91, null, v90, v90, 1.0
	v_rcp_f32_e32 v92, v91
	s_waitcnt_depctr 0xfff
	v_fma_f32 v93, -v91, v92, 1.0
	s_delay_alu instid0(VALU_DEP_1) | instskip(SKIP_1) | instid1(VALU_DEP_2)
	v_dual_fmac_f32 v92, v93, v92 :: v_dual_cndmask_b32 v93, v100, v99
	v_cmp_eq_u32_e32 vcc_lo, 3, v66
	v_cndmask_b32_e64 v93, v93, v101, s3
	v_cmp_eq_u32_e64 s3, 4, v66
	s_delay_alu instid0(VALU_DEP_2) | instskip(SKIP_1) | instid1(VALU_DEP_2)
	v_cndmask_b32_e32 v93, v93, v102, vcc_lo
	v_cmp_eq_u32_e32 vcc_lo, 5, v66
	v_cndmask_b32_e64 v93, v93, v97, s3
	v_cmp_eq_u32_e64 s3, 6, v66
	s_delay_alu instid0(VALU_DEP_2) | instskip(SKIP_1) | instid1(VALU_DEP_1)
	v_cndmask_b32_e32 v93, v93, v95, vcc_lo
	v_div_scale_f32 v94, s4, 1.0, v90, 1.0
	s_mov_b32 vcc_lo, s4
	s_delay_alu instid0(VALU_DEP_2) | instskip(NEXT) | instid1(VALU_DEP_2)
	v_cndmask_b32_e64 v82, v93, v82, s3
	v_mul_f32_e32 v96, v94, v92
	s_mov_b32 s3, exec_lo
	s_delay_alu instid0(VALU_DEP_2) | instskip(NEXT) | instid1(VALU_DEP_2)
	v_cndmask_b32_e64 v82, v82, v89, s5
	v_fma_f32 v98, -v91, v96, v94
	s_delay_alu instid0(VALU_DEP_1) | instskip(NEXT) | instid1(VALU_DEP_1)
	v_fmac_f32_e32 v96, v98, v92
	v_fma_f32 v91, -v91, v96, v94
	s_delay_alu instid0(VALU_DEP_1) | instskip(NEXT) | instid1(VALU_DEP_1)
	v_div_fmas_f32 v91, v91, v92, v96
	v_div_fixup_f32 v90, v91, v90, 1.0
	s_delay_alu instid0(VALU_DEP_1) | instskip(NEXT) | instid1(VALU_DEP_1)
	v_mul_f32_e32 v82, v82, v90
	v_mul_f32_e32 v87, v82, v87
	;; [unrolled: 1-line block ×7, first 2 shown]
	v_dual_mul_f32 v86, v82, v83 :: v_dual_and_b32 v91, 0x7f800000, v90
	v_mul_f32_e32 v85, v82, v76
                                        ; implicit-def: $vgpr76
	s_delay_alu instid0(VALU_DEP_2)
	v_cmpx_ne_u32_e32 0x7f800000, v91
	s_xor_b32 s3, exec_lo, s3
; %bb.13:
	v_bfe_u32 v76, v90, 16, 1
	s_delay_alu instid0(VALU_DEP_1)
	v_add3_u32 v76, v90, v76, 0x7fff
                                        ; implicit-def: $vgpr90
; %bb.14:
	s_and_not1_saveexec_b32 s3, s3
; %bb.15:
	v_and_b32_e32 v76, 0xffff, v90
	v_or_b32_e32 v83, 0x10000, v90
	s_delay_alu instid0(VALU_DEP_2) | instskip(NEXT) | instid1(VALU_DEP_2)
	v_cmp_eq_u32_e32 vcc_lo, 0, v76
	v_cndmask_b32_e32 v76, v83, v90, vcc_lo
; %bb.16:
	s_or_b32 exec_lo, exec_lo, s3
	v_and_b32_e32 v83, 0x7f800000, v85
	s_delay_alu instid0(VALU_DEP_1) | instskip(SKIP_1) | instid1(SALU_CYCLE_1)
	v_cmp_ne_u32_e32 vcc_lo, 0x7f800000, v83
                                        ; implicit-def: $vgpr83
	s_and_saveexec_b32 s3, vcc_lo
	s_xor_b32 s3, exec_lo, s3
; %bb.17:
	v_bfe_u32 v83, v85, 16, 1
	s_delay_alu instid0(VALU_DEP_1)
	v_add3_u32 v83, v85, v83, 0x7fff
                                        ; implicit-def: $vgpr85
; %bb.18:
	s_and_not1_saveexec_b32 s3, s3
; %bb.19:
	v_and_b32_e32 v83, 0xffff, v85
	v_or_b32_e32 v90, 0x10000, v85
	s_delay_alu instid0(VALU_DEP_2) | instskip(NEXT) | instid1(VALU_DEP_2)
	v_cmp_eq_u32_e32 vcc_lo, 0, v83
	v_cndmask_b32_e32 v83, v90, v85, vcc_lo
; %bb.20:
	s_or_b32 exec_lo, exec_lo, s3
	v_and_b32_e32 v85, 0x7f800000, v86
	s_delay_alu instid0(VALU_DEP_1) | instskip(SKIP_1) | instid1(SALU_CYCLE_1)
	v_cmp_ne_u32_e32 vcc_lo, 0x7f800000, v85
                                        ; implicit-def: $vgpr85
	s_and_saveexec_b32 s3, vcc_lo
	s_xor_b32 s3, exec_lo, s3
; %bb.21:
	v_bfe_u32 v85, v86, 16, 1
	s_delay_alu instid0(VALU_DEP_1)
	v_add3_u32 v85, v86, v85, 0x7fff
                                        ; implicit-def: $vgpr86
; %bb.22:
	s_and_not1_saveexec_b32 s3, s3
; %bb.23:
	v_and_b32_e32 v85, 0xffff, v86
	v_or_b32_e32 v90, 0x10000, v86
	s_delay_alu instid0(VALU_DEP_2) | instskip(NEXT) | instid1(VALU_DEP_2)
	v_cmp_eq_u32_e32 vcc_lo, 0, v85
	v_cndmask_b32_e32 v85, v90, v86, vcc_lo
; %bb.24:
	s_or_b32 exec_lo, exec_lo, s3
	v_and_b32_e32 v86, 0x7f800000, v89
	s_delay_alu instid0(VALU_DEP_1) | instskip(SKIP_1) | instid1(SALU_CYCLE_1)
	v_cmp_ne_u32_e32 vcc_lo, 0x7f800000, v86
                                        ; implicit-def: $vgpr86
	s_and_saveexec_b32 s3, vcc_lo
	s_xor_b32 s3, exec_lo, s3
; %bb.25:
	v_bfe_u32 v86, v89, 16, 1
	s_delay_alu instid0(VALU_DEP_1)
	v_add3_u32 v86, v89, v86, 0x7fff
                                        ; implicit-def: $vgpr89
; %bb.26:
	s_and_not1_saveexec_b32 s3, s3
; %bb.27:
	v_and_b32_e32 v86, 0xffff, v89
	v_or_b32_e32 v90, 0x10000, v89
	s_delay_alu instid0(VALU_DEP_2) | instskip(NEXT) | instid1(VALU_DEP_2)
	v_cmp_eq_u32_e32 vcc_lo, 0, v86
	v_cndmask_b32_e32 v86, v90, v89, vcc_lo
; %bb.28:
	s_or_b32 exec_lo, exec_lo, s3
	v_and_b32_e32 v89, 0x7f800000, v88
	s_delay_alu instid0(VALU_DEP_1) | instskip(SKIP_1) | instid1(SALU_CYCLE_1)
	v_cmp_ne_u32_e32 vcc_lo, 0x7f800000, v89
                                        ; implicit-def: $vgpr89
	s_and_saveexec_b32 s3, vcc_lo
	s_xor_b32 s3, exec_lo, s3
; %bb.29:
	v_bfe_u32 v89, v88, 16, 1
	s_delay_alu instid0(VALU_DEP_1)
	v_add3_u32 v89, v88, v89, 0x7fff
                                        ; implicit-def: $vgpr88
; %bb.30:
	s_and_not1_saveexec_b32 s3, s3
; %bb.31:
	v_and_b32_e32 v89, 0xffff, v88
	v_or_b32_e32 v90, 0x10000, v88
	s_delay_alu instid0(VALU_DEP_2) | instskip(NEXT) | instid1(VALU_DEP_2)
	v_cmp_eq_u32_e32 vcc_lo, 0, v89
	v_cndmask_b32_e32 v89, v90, v88, vcc_lo
; %bb.32:
	s_or_b32 exec_lo, exec_lo, s3
	v_and_b32_e32 v88, 0x7f800000, v87
	s_delay_alu instid0(VALU_DEP_1) | instskip(SKIP_1) | instid1(SALU_CYCLE_1)
	v_cmp_ne_u32_e32 vcc_lo, 0x7f800000, v88
                                        ; implicit-def: $vgpr88
	s_and_saveexec_b32 s3, vcc_lo
	s_xor_b32 s3, exec_lo, s3
; %bb.33:
	v_bfe_u32 v88, v87, 16, 1
	s_delay_alu instid0(VALU_DEP_1)
	v_add3_u32 v88, v87, v88, 0x7fff
                                        ; implicit-def: $vgpr87
; %bb.34:
	s_and_not1_saveexec_b32 s3, s3
; %bb.35:
	v_and_b32_e32 v88, 0xffff, v87
	v_or_b32_e32 v90, 0x10000, v87
	s_delay_alu instid0(VALU_DEP_2) | instskip(NEXT) | instid1(VALU_DEP_2)
	v_cmp_eq_u32_e32 vcc_lo, 0, v88
	v_cndmask_b32_e32 v88, v90, v87, vcc_lo
; %bb.36:
	s_or_b32 exec_lo, exec_lo, s3
	v_and_b32_e32 v87, 0x7f800000, v84
	s_delay_alu instid0(VALU_DEP_1) | instskip(SKIP_1) | instid1(SALU_CYCLE_1)
	v_cmp_ne_u32_e32 vcc_lo, 0x7f800000, v87
                                        ; implicit-def: $vgpr87
	s_and_saveexec_b32 s3, vcc_lo
	s_xor_b32 s3, exec_lo, s3
; %bb.37:
	v_bfe_u32 v87, v84, 16, 1
	s_delay_alu instid0(VALU_DEP_1)
	v_add3_u32 v87, v84, v87, 0x7fff
                                        ; implicit-def: $vgpr84
; %bb.38:
	s_and_not1_saveexec_b32 s3, s3
; %bb.39:
	v_and_b32_e32 v87, 0xffff, v84
	v_or_b32_e32 v90, 0x10000, v84
	s_delay_alu instid0(VALU_DEP_2) | instskip(NEXT) | instid1(VALU_DEP_2)
	v_cmp_eq_u32_e32 vcc_lo, 0, v87
	v_cndmask_b32_e32 v87, v90, v84, vcc_lo
; %bb.40:
	s_or_b32 exec_lo, exec_lo, s3
	v_and_b32_e32 v84, 0x7f800000, v80
	s_delay_alu instid0(VALU_DEP_1) | instskip(SKIP_1) | instid1(SALU_CYCLE_1)
	v_cmp_ne_u32_e32 vcc_lo, 0x7f800000, v84
                                        ; implicit-def: $vgpr84
	s_and_saveexec_b32 s3, vcc_lo
	s_xor_b32 s3, exec_lo, s3
; %bb.41:
	v_bfe_u32 v84, v80, 16, 1
	s_delay_alu instid0(VALU_DEP_1)
	v_add3_u32 v84, v80, v84, 0x7fff
                                        ; implicit-def: $vgpr80
; %bb.42:
	s_and_not1_saveexec_b32 s3, s3
; %bb.43:
	v_and_b32_e32 v84, 0xffff, v80
	v_or_b32_e32 v90, 0x10000, v80
	s_delay_alu instid0(VALU_DEP_2) | instskip(NEXT) | instid1(VALU_DEP_2)
	v_cmp_eq_u32_e32 vcc_lo, 0, v84
	v_cndmask_b32_e32 v84, v90, v80, vcc_lo
; %bb.44:
	s_or_b32 exec_lo, exec_lo, s3
	s_load_b64 s[34:35], s[0:1], 0x94
	v_lshlrev_b32_e32 v91, 4, v74
	s_delay_alu instid0(VALU_DEP_2)
	v_perm_b32 v90, v84, v87, 0x7060302
	v_dual_mul_f32 v79, v82, v79 :: v_dual_lshlrev_b32 v80, 6, v65
	v_dual_mul_f32 v77, v82, v77 :: v_dual_lshlrev_b32 v92, 11, v66
	v_mul_f32_e32 v84, v82, v70
	v_perm_b32 v89, v88, v89, 0x7060302
	v_perm_b32 v88, v86, v85, 0x7060302
	;; [unrolled: 1-line block ×3, first 2 shown]
	v_mul_f32_e32 v70, v82, v81
	v_or3_b32 v76, v91, v92, v80
	v_dual_mul_f32 v78, v82, v78 :: v_dual_and_b32 v85, 0x7f800000, v84
	v_mul_f32_e32 v83, v82, v72
	v_mul_f32_e32 v81, v82, v71
	;; [unrolled: 1-line block ×3, first 2 shown]
	s_mov_b32 s3, exec_lo
	ds_store_b128 v76, v[87:90]
                                        ; implicit-def: $vgpr69
	v_cmpx_ne_u32_e32 0x7f800000, v85
	s_xor_b32 s3, exec_lo, s3
; %bb.45:
	v_bfe_u32 v69, v84, 16, 1
	s_delay_alu instid0(VALU_DEP_1)
	v_add3_u32 v69, v84, v69, 0x7fff
                                        ; implicit-def: $vgpr84
; %bb.46:
	s_and_not1_saveexec_b32 s3, s3
; %bb.47:
	v_and_b32_e32 v69, 0xffff, v84
	v_or_b32_e32 v71, 0x10000, v84
	s_delay_alu instid0(VALU_DEP_2) | instskip(NEXT) | instid1(VALU_DEP_2)
	v_cmp_eq_u32_e32 vcc_lo, 0, v69
	v_cndmask_b32_e32 v69, v71, v84, vcc_lo
; %bb.48:
	s_or_b32 exec_lo, exec_lo, s3
	v_and_b32_e32 v71, 0x7f800000, v72
	s_delay_alu instid0(VALU_DEP_1) | instskip(SKIP_1) | instid1(SALU_CYCLE_1)
	v_cmp_ne_u32_e32 vcc_lo, 0x7f800000, v71
                                        ; implicit-def: $vgpr71
	s_and_saveexec_b32 s3, vcc_lo
	s_xor_b32 s3, exec_lo, s3
; %bb.49:
	v_bfe_u32 v71, v72, 16, 1
	s_delay_alu instid0(VALU_DEP_1)
	v_add3_u32 v71, v72, v71, 0x7fff
                                        ; implicit-def: $vgpr72
; %bb.50:
	s_and_not1_saveexec_b32 s3, s3
; %bb.51:
	v_and_b32_e32 v71, 0xffff, v72
	v_or_b32_e32 v82, 0x10000, v72
	s_delay_alu instid0(VALU_DEP_2) | instskip(NEXT) | instid1(VALU_DEP_2)
	v_cmp_eq_u32_e32 vcc_lo, 0, v71
	v_cndmask_b32_e32 v71, v82, v72, vcc_lo
; %bb.52:
	s_or_b32 exec_lo, exec_lo, s3
	v_and_b32_e32 v72, 0x7f800000, v81
	s_delay_alu instid0(VALU_DEP_1) | instskip(SKIP_1) | instid1(SALU_CYCLE_1)
	v_cmp_ne_u32_e32 vcc_lo, 0x7f800000, v72
                                        ; implicit-def: $vgpr72
	s_and_saveexec_b32 s3, vcc_lo
	s_xor_b32 s3, exec_lo, s3
; %bb.53:
	v_bfe_u32 v72, v81, 16, 1
	s_delay_alu instid0(VALU_DEP_1)
	v_add3_u32 v72, v81, v72, 0x7fff
                                        ; implicit-def: $vgpr81
; %bb.54:
	s_and_not1_saveexec_b32 s3, s3
; %bb.55:
	v_and_b32_e32 v72, 0xffff, v81
	v_or_b32_e32 v82, 0x10000, v81
	s_delay_alu instid0(VALU_DEP_2) | instskip(NEXT) | instid1(VALU_DEP_2)
	v_cmp_eq_u32_e32 vcc_lo, 0, v72
	v_cndmask_b32_e32 v72, v82, v81, vcc_lo
; %bb.56:
	s_or_b32 exec_lo, exec_lo, s3
	v_and_b32_e32 v81, 0x7f800000, v83
	s_delay_alu instid0(VALU_DEP_1) | instskip(SKIP_1) | instid1(SALU_CYCLE_1)
	v_cmp_ne_u32_e32 vcc_lo, 0x7f800000, v81
                                        ; implicit-def: $vgpr81
	s_and_saveexec_b32 s3, vcc_lo
	s_xor_b32 s3, exec_lo, s3
; %bb.57:
	v_bfe_u32 v81, v83, 16, 1
	s_delay_alu instid0(VALU_DEP_1)
	v_add3_u32 v81, v83, v81, 0x7fff
                                        ; implicit-def: $vgpr83
; %bb.58:
	s_and_not1_saveexec_b32 s3, s3
; %bb.59:
	v_and_b32_e32 v81, 0xffff, v83
	v_or_b32_e32 v82, 0x10000, v83
	s_delay_alu instid0(VALU_DEP_2) | instskip(NEXT) | instid1(VALU_DEP_2)
	v_cmp_eq_u32_e32 vcc_lo, 0, v81
	v_cndmask_b32_e32 v81, v82, v83, vcc_lo
; %bb.60:
	s_or_b32 exec_lo, exec_lo, s3
	v_and_b32_e32 v82, 0x7f800000, v77
	s_delay_alu instid0(VALU_DEP_1) | instskip(SKIP_1) | instid1(SALU_CYCLE_1)
	v_cmp_ne_u32_e32 vcc_lo, 0x7f800000, v82
                                        ; implicit-def: $vgpr82
	s_and_saveexec_b32 s3, vcc_lo
	s_xor_b32 s3, exec_lo, s3
; %bb.61:
	v_bfe_u32 v82, v77, 16, 1
	s_delay_alu instid0(VALU_DEP_1)
	v_add3_u32 v82, v77, v82, 0x7fff
                                        ; implicit-def: $vgpr77
; %bb.62:
	s_and_not1_saveexec_b32 s3, s3
; %bb.63:
	v_and_b32_e32 v82, 0xffff, v77
	v_or_b32_e32 v83, 0x10000, v77
	s_delay_alu instid0(VALU_DEP_2) | instskip(NEXT) | instid1(VALU_DEP_2)
	v_cmp_eq_u32_e32 vcc_lo, 0, v82
	v_cndmask_b32_e32 v82, v83, v77, vcc_lo
; %bb.64:
	s_or_b32 exec_lo, exec_lo, s3
	v_and_b32_e32 v77, 0x7f800000, v78
	s_delay_alu instid0(VALU_DEP_1) | instskip(SKIP_1) | instid1(SALU_CYCLE_1)
	v_cmp_ne_u32_e32 vcc_lo, 0x7f800000, v77
                                        ; implicit-def: $vgpr77
	s_and_saveexec_b32 s3, vcc_lo
	s_xor_b32 s3, exec_lo, s3
; %bb.65:
	v_bfe_u32 v77, v78, 16, 1
	s_delay_alu instid0(VALU_DEP_1)
	v_add3_u32 v77, v78, v77, 0x7fff
                                        ; implicit-def: $vgpr78
; %bb.66:
	s_and_not1_saveexec_b32 s3, s3
; %bb.67:
	v_and_b32_e32 v77, 0xffff, v78
	v_or_b32_e32 v83, 0x10000, v78
	s_delay_alu instid0(VALU_DEP_2) | instskip(NEXT) | instid1(VALU_DEP_2)
	v_cmp_eq_u32_e32 vcc_lo, 0, v77
	v_cndmask_b32_e32 v77, v83, v78, vcc_lo
; %bb.68:
	s_or_b32 exec_lo, exec_lo, s3
	v_and_b32_e32 v78, 0x7f800000, v79
	s_delay_alu instid0(VALU_DEP_1) | instskip(SKIP_1) | instid1(SALU_CYCLE_1)
	v_cmp_ne_u32_e32 vcc_lo, 0x7f800000, v78
                                        ; implicit-def: $vgpr78
	s_and_saveexec_b32 s3, vcc_lo
	s_xor_b32 s3, exec_lo, s3
; %bb.69:
	v_bfe_u32 v78, v79, 16, 1
	s_delay_alu instid0(VALU_DEP_1)
	v_add3_u32 v78, v79, v78, 0x7fff
                                        ; implicit-def: $vgpr79
; %bb.70:
	s_and_not1_saveexec_b32 s3, s3
; %bb.71:
	v_and_b32_e32 v78, 0xffff, v79
	v_or_b32_e32 v83, 0x10000, v79
	s_delay_alu instid0(VALU_DEP_2) | instskip(NEXT) | instid1(VALU_DEP_2)
	v_cmp_eq_u32_e32 vcc_lo, 0, v78
	v_cndmask_b32_e32 v78, v83, v79, vcc_lo
; %bb.72:
	s_or_b32 exec_lo, exec_lo, s3
	v_and_b32_e32 v79, 0x7f800000, v70
	s_delay_alu instid0(VALU_DEP_1) | instskip(SKIP_1) | instid1(SALU_CYCLE_1)
	v_cmp_ne_u32_e32 vcc_lo, 0x7f800000, v79
                                        ; implicit-def: $vgpr79
	s_and_saveexec_b32 s3, vcc_lo
	s_xor_b32 s3, exec_lo, s3
; %bb.73:
	v_bfe_u32 v79, v70, 16, 1
	s_delay_alu instid0(VALU_DEP_1)
	v_add3_u32 v79, v70, v79, 0x7fff
                                        ; implicit-def: $vgpr70
; %bb.74:
	s_and_not1_saveexec_b32 s3, s3
; %bb.75:
	v_and_b32_e32 v79, 0xffff, v70
	v_or_b32_e32 v83, 0x10000, v70
	s_delay_alu instid0(VALU_DEP_2) | instskip(NEXT) | instid1(VALU_DEP_2)
	v_cmp_eq_u32_e32 vcc_lo, 0, v79
	v_cndmask_b32_e32 v79, v83, v70, vcc_lo
; %bb.76:
	s_or_b32 exec_lo, exec_lo, s3
	s_delay_alu instid0(VALU_DEP_1)
	v_perm_b32 v86, v79, v78, 0x7060302
	v_perm_b32 v85, v77, v82, 0x7060302
	;; [unrolled: 1-line block ×4, first 2 shown]
	v_lshl_or_b32 v82, v66, 11, v80
	ds_store_b128 v76, v[83:86] offset:1024
	s_waitcnt lgkmcnt(0)
	s_barrier
	buffer_gl0_inv
	ds_load_b128 v[69:72], v82
	ds_load_b128 v[83:86], v82 offset:16
	s_waitcnt lgkmcnt(1)
	v_lshrrev_b32_e32 v66, 16, v69
	s_waitcnt lgkmcnt(0)
	v_lshrrev_b32_e32 v91, 16, v83
	v_lshlrev_b32_e32 v78, 2, v74
	v_lshrrev_b32_e32 v95, 16, v70
	v_lshrrev_b32_e32 v98, 16, v84
	;; [unrolled: 1-line block ×4, first 2 shown]
	v_cmp_eq_u32_e32 vcc_lo, 1, v78
	v_lshrrev_b32_e32 v97, 16, v72
	v_lshrrev_b32_e32 v100, 16, v86
	v_cndmask_b32_e32 v87, v83, v91, vcc_lo
	v_or_b32_e32 v79, 1, v78
	v_cndmask_b32_e32 v81, v69, v66, vcc_lo
	v_cmp_eq_u32_e64 s4, 2, v78
	v_cmp_eq_u32_e64 s7, 3, v78
	;; [unrolled: 1-line block ×5, first 2 shown]
	v_cndmask_b32_e64 v81, v81, v70, s4
	v_cndmask_b32_e64 v87, v87, v84, s4
	v_cmp_eq_u32_e64 s8, 3, v79
	v_cndmask_b32_e64 v88, v69, v66, s3
	v_or_b32_e32 v77, 2, v78
	v_cndmask_b32_e64 v81, v81, v95, s7
	v_cndmask_b32_e64 v87, v87, v98, s7
	;; [unrolled: 1-line block ×4, first 2 shown]
	v_cmp_eq_u32_e64 s10, 5, v78
	v_cndmask_b32_e64 v81, v81, v71, s9
	v_cndmask_b32_e64 v87, v87, v85, s9
	v_cmp_eq_u32_e64 s11, 4, v79
	v_cndmask_b32_e64 v88, v88, v95, s8
	v_cmp_eq_u32_e64 s5, 1, v77
	v_cndmask_b32_e64 v89, v89, v84, s6
	v_cndmask_b32_e64 v81, v81, v96, s10
	v_cmp_eq_u32_e64 s12, 6, v78
	v_cndmask_b32_e64 v88, v88, v71, s11
	v_cndmask_b32_e64 v87, v87, v99, s10
	v_cmp_eq_u32_e64 s13, 5, v79
	v_cndmask_b32_e64 v90, v69, v66, s5
	v_cndmask_b32_e64 v89, v89, v98, s8
	v_cndmask_b32_e64 v81, v81, v72, s12
	v_cmp_eq_u32_e64 s15, 7, v78
	v_cndmask_b32_e64 v88, v88, v96, s13
	v_cndmask_b32_e64 v87, v87, v86, s12
	v_cmp_eq_u32_e64 s16, 6, v79
	v_cmp_eq_u32_e64 s17, 2, v77
	v_cndmask_b32_e64 v89, v89, v85, s11
	v_cndmask_b32_e64 v101, v81, v97, s15
	v_cndmask_b32_e64 v102, v87, v100, s15
	v_cndmask_b32_e64 v88, v88, v72, s16
	v_cndmask_b32_e64 v81, v90, v70, s17
	v_cndmask_b32_e64 v87, v83, v91, s5
	v_cmp_eq_u32_e64 s18, 7, v79
	v_cmp_eq_u32_e64 s19, 3, v77
	;; [unrolled: 1-line block ×4, first 2 shown]
	v_cndmask_b32_e64 v87, v87, v84, s17
	v_cndmask_b32_e64 v103, v88, v97, s18
	;; [unrolled: 1-line block ×4, first 2 shown]
	v_or_b32_e32 v81, 3, v78
	v_cndmask_b32_e64 v93, v87, v98, s19
	v_cmp_eq_u32_e64 s24, 6, v77
	v_cndmask_b32_e64 v104, v88, v86, s16
	v_cndmask_b32_e64 v92, v89, v71, s20
	v_cmp_eq_u32_e64 s21, 1, v81
	ds_load_b128 v[87:90], v82 offset:1024
	v_cmp_eq_u32_e64 s23, 2, v81
	v_cmp_eq_u32_e64 s25, 3, v81
	v_cndmask_b32_e64 v105, v92, v96, s22
	v_cndmask_b32_e64 v66, v69, v66, s21
	;; [unrolled: 1-line block ×4, first 2 shown]
	ds_load_b128 v[91:94], v82 offset:1040
	v_cmp_eq_u32_e64 s26, 4, v81
	v_cndmask_b32_e64 v66, v66, v70, s23
	v_cmp_eq_u32_e64 s27, 7, v77
	v_cndmask_b32_e64 v70, v83, v84, s23
	v_cndmask_b32_e64 v84, v105, v72, s24
	v_cmp_eq_u32_e64 s28, 5, v81
	v_cndmask_b32_e64 v66, v66, v95, s25
	v_cmp_eq_u32_e64 s29, 6, v81
	v_cndmask_b32_e64 v70, v70, v98, s25
	v_cndmask_b32_e64 v69, v69, v99, s22
	;; [unrolled: 1-line block ×4, first 2 shown]
	s_waitcnt lgkmcnt(1)
	v_lshrrev_b32_e32 v95, 16, v87
	v_cndmask_b32_e64 v70, v70, v85, s26
	v_cndmask_b32_e64 v71, v84, v97, s27
	;; [unrolled: 1-line block ×4, first 2 shown]
	v_cndmask_b32_e32 v84, v87, v95, vcc_lo
	v_cndmask_b32_e64 v70, v70, v99, s28
	s_waitcnt lgkmcnt(0)
	v_lshrrev_b32_e32 v85, 16, v91
	v_lshrrev_b32_e32 v96, 16, v88
	v_cndmask_b32_e64 v98, v87, v95, s3
	v_cndmask_b32_e64 v84, v84, v88, s4
	;; [unrolled: 1-line block ×3, first 2 shown]
	v_cndmask_b32_e32 v99, v91, v85, vcc_lo
	v_cmp_eq_u32_e32 vcc_lo, 7, v81
	v_cndmask_b32_e64 v66, v66, v72, s29
	v_cndmask_b32_e64 v72, v84, v96, s7
	;; [unrolled: 1-line block ×3, first 2 shown]
	v_lshrrev_b32_e32 v98, 16, v92
	v_cndmask_b32_e32 v70, v70, v100, vcc_lo
	v_cndmask_b32_e64 v86, v99, v92, s4
	v_cndmask_b32_e64 v69, v69, v100, s27
	v_lshrrev_b32_e32 v100, 16, v93
	v_cndmask_b32_e64 v72, v72, v89, s9
	v_lshrrev_b32_e32 v99, 16, v89
	v_cndmask_b32_e64 v86, v86, v98, s7
	v_perm_b32 v71, v69, v71, 0x5040100
	v_cndmask_b32_e64 v84, v84, v96, s8
	s_delay_alu instid0(VALU_DEP_3) | instskip(NEXT) | instid1(VALU_DEP_2)
	v_cndmask_b32_e64 v86, v86, v93, s9
	v_cndmask_b32_e64 v84, v84, v89, s11
	s_delay_alu instid0(VALU_DEP_2) | instskip(NEXT) | instid1(VALU_DEP_1)
	v_cndmask_b32_e64 v86, v86, v100, s10
	v_cndmask_b32_e64 v69, v86, v94, s12
	v_cndmask_b32_e64 v86, v87, v95, s5
	v_cndmask_b32_e64 v87, v87, v95, s21
	v_cndmask_b32_e64 v95, v91, v85, s21
	s_delay_alu instid0(VALU_DEP_3) | instskip(NEXT) | instid1(VALU_DEP_3)
	v_cndmask_b32_e64 v86, v86, v88, s17
	v_cndmask_b32_e64 v87, v87, v88, s23
	s_delay_alu instid0(VALU_DEP_3) | instskip(NEXT) | instid1(VALU_DEP_3)
	v_cndmask_b32_e64 v88, v95, v92, s23
	v_cndmask_b32_e64 v86, v86, v96, s19
	;; [unrolled: 3-line block ×7, first 2 shown]
	s_delay_alu instid0(VALU_DEP_3) | instskip(SKIP_2) | instid1(VALU_DEP_2)
	v_cndmask_b32_e64 v88, v88, v94, s29
	v_cndmask_b32_e32 v66, v66, v97, vcc_lo
	v_cndmask_b32_e64 v97, v72, v99, s10
	v_perm_b32 v72, v70, v66, 0x5040100
	v_perm_b32 v70, v83, v103, 0x5040100
	v_cndmask_b32_e64 v103, v91, v85, s5
	v_cndmask_b32_e64 v85, v91, v85, s3
	;; [unrolled: 1-line block ×4, first 2 shown]
	v_lshrrev_b32_e32 v97, 16, v90
	v_cndmask_b32_e64 v91, v103, v92, s17
	v_cndmask_b32_e64 v85, v85, v92, s6
	;; [unrolled: 1-line block ×3, first 2 shown]
	s_mov_b32 s3, exec_lo
	v_cndmask_b32_e64 v83, v84, v97, s15
	v_cndmask_b32_e64 v91, v91, v98, s19
	;; [unrolled: 1-line block ×3, first 2 shown]
	v_lshrrev_b32_e32 v84, 16, v94
	v_cndmask_b32_e64 v66, v66, v97, s18
	v_cndmask_b32_e64 v90, v86, v97, s27
	;; [unrolled: 1-line block ×4, first 2 shown]
	v_dual_cndmask_b32 v86, v87, v97 :: v_dual_cndmask_b32 v87, v88, v84
	v_cndmask_b32_e64 v91, v69, v84, s15
	s_delay_alu instid0(VALU_DEP_4) | instskip(NEXT) | instid1(VALU_DEP_4)
	v_cndmask_b32_e64 v89, v89, v100, s22
	v_cndmask_b32_e64 v85, v85, v100, s13
	v_perm_b32 v69, v102, v101, 0x5040100
	v_perm_b32 v86, v87, v86, 0x5040100
	;; [unrolled: 1-line block ×3, first 2 shown]
	v_cndmask_b32_e64 v89, v89, v94, s24
	v_cndmask_b32_e64 v85, v85, v94, s16
	s_mul_i32 s8, s35, 11
	s_delay_alu instid0(VALU_DEP_2) | instskip(NEXT) | instid1(VALU_DEP_2)
	v_cndmask_b32_e64 v88, v89, v84, s27
	v_cndmask_b32_e64 v89, v85, v84, s18
	s_delay_alu instid0(VALU_DEP_2) | instskip(NEXT) | instid1(VALU_DEP_2)
	v_perm_b32 v85, v88, v90, 0x5040100
	v_perm_b32 v84, v89, v66, 0x5040100
	ds_store_b128 v76, v[69:72]
	ds_store_b128 v76, v[83:86] offset:1024
	v_cmpx_gt_u32_e32 11, v0
	s_cbranch_execz .LBB1832_78
; %bb.77:
	s_mul_i32 s4, s8, s30
	s_delay_alu instid0(SALU_CYCLE_1) | instskip(SKIP_1) | instid1(VALU_DEP_1)
	v_add3_u32 v69, s4, s31, v65
	s_load_b128 s[4:7], s[0:1], 0x58
	v_mad_u64_u32 v[65:66], null, v69, s34, s[14:15]
	s_delay_alu instid0(VALU_DEP_1) | instskip(NEXT) | instid1(VALU_DEP_1)
	v_ashrrev_i32_e32 v66, 31, v65
	v_lshlrev_b64 v[65:66], 2, v[65:66]
	s_waitcnt lgkmcnt(0)
	s_delay_alu instid0(VALU_DEP_1) | instskip(NEXT) | instid1(VALU_DEP_2)
	v_add_co_u32 v69, vcc_lo, s6, v65
	v_add_co_ci_u32_e32 v70, vcc_lo, s7, v66, vcc_lo
	v_add_co_u32 v65, vcc_lo, s4, v65
	v_add_co_ci_u32_e32 v66, vcc_lo, s5, v66, vcc_lo
	global_store_b32 v[69:70], v67, off
	global_store_b32 v[65:66], v68, off
.LBB1832_78:
	s_or_b32 exec_lo, exec_lo, s3
	s_waitcnt lgkmcnt(0)
	s_waitcnt_vscnt null, 0x0
	s_barrier
	buffer_gl0_inv
	ds_load_b128 v[83:86], v80
	ds_load_b128 v[87:90], v80 offset:16
	ds_load_b128 v[95:98], v80 offset:2064
	;; [unrolled: 1-line block ×3, first 2 shown]
	v_mov_b32_e32 v65, 0
	ds_load_b128 v[103:106], v80 offset:4112
	ds_load_b128 v[99:102], v80 offset:4096
	;; [unrolled: 1-line block ×4, first 2 shown]
	v_mov_b32_e32 v66, v65
	v_mov_b32_e32 v67, v65
	;; [unrolled: 1-line block ×7, first 2 shown]
	s_waitcnt lgkmcnt(6)
	s_delay_alu instid0(VALU_DEP_1)
	v_wmma_f32_16x16x16_bf16 v[65:72], v[49:56], v[83:90], v[65:72]
	ds_load_b128 v[53:56], v80 offset:8208
	ds_load_b128 v[49:52], v80 offset:8192
	s_waitcnt lgkmcnt(6)
	v_wmma_f32_16x16x16_bf16 v[65:72], v[41:48], v[91:98], v[65:72]
	ds_load_b128 v[45:48], v80 offset:10256
	ds_load_b128 v[41:44], v80 offset:10240
	s_waitcnt lgkmcnt(6)
	v_wmma_f32_16x16x16_bf16 v[65:72], v[33:40], v[99:106], v[65:72]
	ds_load_b128 v[37:40], v80 offset:12304
	ds_load_b128 v[33:36], v80 offset:12288
	s_waitcnt lgkmcnt(6)
	v_wmma_f32_16x16x16_bf16 v[65:72], v[25:32], v[107:114], v[65:72]
	ds_load_b128 v[29:32], v80 offset:14352
	ds_load_b128 v[25:28], v80 offset:14336
	s_waitcnt lgkmcnt(6)
	v_wmma_f32_16x16x16_bf16 v[65:72], v[1:8], v[49:56], v[65:72]
	s_waitcnt lgkmcnt(4)
	s_delay_alu instid0(VALU_DEP_1) | instskip(SKIP_1) | instid1(VALU_DEP_1)
	v_wmma_f32_16x16x16_bf16 v[65:72], v[9:16], v[41:48], v[65:72]
	s_waitcnt lgkmcnt(2)
	v_wmma_f32_16x16x16_bf16 v[65:72], v[17:24], v[33:40], v[65:72]
	s_waitcnt lgkmcnt(0)
	s_delay_alu instid0(VALU_DEP_1) | instskip(NEXT) | instid1(VALU_DEP_1)
	v_wmma_f32_16x16x16_bf16 v[65:72], v[57:64], v[25:32], v[65:72]
	v_and_b32_e32 v1, 0x7f800000, v65
	s_delay_alu instid0(VALU_DEP_1) | instskip(SKIP_1) | instid1(SALU_CYCLE_1)
	v_cmp_ne_u32_e32 vcc_lo, 0x7f800000, v1
                                        ; implicit-def: $vgpr1
	s_and_saveexec_b32 s3, vcc_lo
	s_xor_b32 s3, exec_lo, s3
; %bb.79:
	v_bfe_u32 v1, v65, 16, 1
	s_delay_alu instid0(VALU_DEP_1)
	v_add3_u32 v1, v65, v1, 0x7fff
; %bb.80:
	s_and_not1_saveexec_b32 s3, s3
; %bb.81:
	v_and_b32_e32 v1, 0xffff, v65
	v_or_b32_e32 v2, 0x10000, v65
	s_delay_alu instid0(VALU_DEP_2) | instskip(NEXT) | instid1(VALU_DEP_2)
	v_cmp_eq_u32_e32 vcc_lo, 0, v1
	v_cndmask_b32_e32 v1, v2, v65, vcc_lo
; %bb.82:
	s_or_b32 exec_lo, exec_lo, s3
	v_and_b32_e32 v2, 0x7f800000, v66
	s_delay_alu instid0(VALU_DEP_1) | instskip(SKIP_1) | instid1(SALU_CYCLE_1)
	v_cmp_ne_u32_e32 vcc_lo, 0x7f800000, v2
                                        ; implicit-def: $vgpr2
	s_and_saveexec_b32 s3, vcc_lo
	s_xor_b32 s3, exec_lo, s3
; %bb.83:
	v_bfe_u32 v2, v66, 16, 1
	s_delay_alu instid0(VALU_DEP_1)
	v_add3_u32 v2, v66, v2, 0x7fff
; %bb.84:
	s_and_not1_saveexec_b32 s3, s3
; %bb.85:
	v_and_b32_e32 v2, 0xffff, v66
	v_or_b32_e32 v3, 0x10000, v66
	s_delay_alu instid0(VALU_DEP_2) | instskip(NEXT) | instid1(VALU_DEP_2)
	v_cmp_eq_u32_e32 vcc_lo, 0, v2
	v_cndmask_b32_e32 v2, v3, v66, vcc_lo
; %bb.86:
	s_or_b32 exec_lo, exec_lo, s3
	v_and_b32_e32 v3, 0x7f800000, v67
	s_delay_alu instid0(VALU_DEP_1) | instskip(SKIP_1) | instid1(SALU_CYCLE_1)
	v_cmp_ne_u32_e32 vcc_lo, 0x7f800000, v3
                                        ; implicit-def: $vgpr3
	s_and_saveexec_b32 s3, vcc_lo
	s_xor_b32 s3, exec_lo, s3
; %bb.87:
	v_bfe_u32 v3, v67, 16, 1
	s_delay_alu instid0(VALU_DEP_1)
	v_add3_u32 v3, v67, v3, 0x7fff
; %bb.88:
	s_and_not1_saveexec_b32 s3, s3
; %bb.89:
	v_and_b32_e32 v3, 0xffff, v67
	v_or_b32_e32 v4, 0x10000, v67
	s_delay_alu instid0(VALU_DEP_2) | instskip(NEXT) | instid1(VALU_DEP_2)
	v_cmp_eq_u32_e32 vcc_lo, 0, v3
	v_cndmask_b32_e32 v3, v4, v67, vcc_lo
; %bb.90:
	s_or_b32 exec_lo, exec_lo, s3
	v_and_b32_e32 v4, 0x7f800000, v68
	s_delay_alu instid0(VALU_DEP_1) | instskip(SKIP_1) | instid1(SALU_CYCLE_1)
	v_cmp_ne_u32_e32 vcc_lo, 0x7f800000, v4
                                        ; implicit-def: $vgpr4
	s_and_saveexec_b32 s3, vcc_lo
	s_xor_b32 s3, exec_lo, s3
; %bb.91:
	v_bfe_u32 v4, v68, 16, 1
	s_delay_alu instid0(VALU_DEP_1)
	v_add3_u32 v4, v68, v4, 0x7fff
; %bb.92:
	s_and_not1_saveexec_b32 s3, s3
; %bb.93:
	v_and_b32_e32 v4, 0xffff, v68
	v_or_b32_e32 v5, 0x10000, v68
	s_delay_alu instid0(VALU_DEP_2) | instskip(NEXT) | instid1(VALU_DEP_2)
	v_cmp_eq_u32_e32 vcc_lo, 0, v4
	v_cndmask_b32_e32 v4, v5, v68, vcc_lo
; %bb.94:
	s_or_b32 exec_lo, exec_lo, s3
	v_and_b32_e32 v5, 0x7f800000, v69
	s_delay_alu instid0(VALU_DEP_1) | instskip(SKIP_1) | instid1(SALU_CYCLE_1)
	v_cmp_ne_u32_e32 vcc_lo, 0x7f800000, v5
                                        ; implicit-def: $vgpr5
	s_and_saveexec_b32 s3, vcc_lo
	s_xor_b32 s3, exec_lo, s3
; %bb.95:
	v_bfe_u32 v5, v69, 16, 1
	s_delay_alu instid0(VALU_DEP_1)
	v_add3_u32 v5, v69, v5, 0x7fff
; %bb.96:
	s_and_not1_saveexec_b32 s3, s3
; %bb.97:
	v_and_b32_e32 v5, 0xffff, v69
	v_or_b32_e32 v6, 0x10000, v69
	s_delay_alu instid0(VALU_DEP_2) | instskip(NEXT) | instid1(VALU_DEP_2)
	v_cmp_eq_u32_e32 vcc_lo, 0, v5
	v_cndmask_b32_e32 v5, v6, v69, vcc_lo
; %bb.98:
	s_or_b32 exec_lo, exec_lo, s3
	v_and_b32_e32 v6, 0x7f800000, v70
	s_delay_alu instid0(VALU_DEP_1) | instskip(SKIP_1) | instid1(SALU_CYCLE_1)
	v_cmp_ne_u32_e32 vcc_lo, 0x7f800000, v6
                                        ; implicit-def: $vgpr6
	s_and_saveexec_b32 s3, vcc_lo
	s_xor_b32 s3, exec_lo, s3
; %bb.99:
	v_bfe_u32 v6, v70, 16, 1
	s_delay_alu instid0(VALU_DEP_1)
	v_add3_u32 v6, v70, v6, 0x7fff
; %bb.100:
	s_and_not1_saveexec_b32 s3, s3
; %bb.101:
	v_and_b32_e32 v6, 0xffff, v70
	v_or_b32_e32 v7, 0x10000, v70
	s_delay_alu instid0(VALU_DEP_2) | instskip(NEXT) | instid1(VALU_DEP_2)
	v_cmp_eq_u32_e32 vcc_lo, 0, v6
	v_cndmask_b32_e32 v6, v7, v70, vcc_lo
; %bb.102:
	s_or_b32 exec_lo, exec_lo, s3
	v_and_b32_e32 v7, 0x7f800000, v71
	s_delay_alu instid0(VALU_DEP_1) | instskip(SKIP_1) | instid1(SALU_CYCLE_1)
	v_cmp_ne_u32_e32 vcc_lo, 0x7f800000, v7
                                        ; implicit-def: $vgpr7
	s_and_saveexec_b32 s3, vcc_lo
	s_xor_b32 s3, exec_lo, s3
; %bb.103:
	v_bfe_u32 v7, v71, 16, 1
	s_delay_alu instid0(VALU_DEP_1)
	v_add3_u32 v7, v71, v7, 0x7fff
; %bb.104:
	s_and_not1_saveexec_b32 s3, s3
; %bb.105:
	v_and_b32_e32 v7, 0xffff, v71
	v_or_b32_e32 v8, 0x10000, v71
	s_delay_alu instid0(VALU_DEP_2) | instskip(NEXT) | instid1(VALU_DEP_2)
	v_cmp_eq_u32_e32 vcc_lo, 0, v7
	v_cndmask_b32_e32 v7, v8, v71, vcc_lo
; %bb.106:
	s_or_b32 exec_lo, exec_lo, s3
	v_and_b32_e32 v8, 0x7f800000, v72
	s_delay_alu instid0(VALU_DEP_1) | instskip(SKIP_1) | instid1(SALU_CYCLE_1)
	v_cmp_ne_u32_e32 vcc_lo, 0x7f800000, v8
                                        ; implicit-def: $vgpr8
	s_and_saveexec_b32 s3, vcc_lo
	s_xor_b32 s3, exec_lo, s3
; %bb.107:
	v_bfe_u32 v8, v72, 16, 1
	s_delay_alu instid0(VALU_DEP_1)
	v_add3_u32 v8, v72, v8, 0x7fff
                                        ; implicit-def: $vgpr65_vgpr66_vgpr67_vgpr68_vgpr69_vgpr70_vgpr71_vgpr72
; %bb.108:
	s_and_not1_saveexec_b32 s3, s3
; %bb.109:
	v_and_b32_e32 v8, 0xffff, v72
	v_or_b32_e32 v9, 0x10000, v72
	s_delay_alu instid0(VALU_DEP_2) | instskip(NEXT) | instid1(VALU_DEP_2)
	v_cmp_eq_u32_e32 vcc_lo, 0, v8
	v_cndmask_b32_e32 v8, v9, v72, vcc_lo
; %bb.110:
	s_or_b32 exec_lo, exec_lo, s3
	s_delay_alu instid0(VALU_DEP_1)
	v_perm_b32 v7, v8, v7, 0x7060302
	v_perm_b32 v6, v6, v5, 0x7060302
	;; [unrolled: 1-line block ×4, first 2 shown]
	s_barrier
	buffer_gl0_inv
	v_cmp_eq_u32_e32 vcc_lo, 1, v78
	ds_store_b128 v76, v[4:7]
	s_waitcnt lgkmcnt(0)
	s_barrier
	buffer_gl0_inv
	ds_load_b128 v[1:4], v82
	ds_load_b128 v[5:8], v82 offset:16
	v_cmp_eq_u32_e64 s3, 1, v79
	v_cmp_eq_u32_e64 s4, 2, v78
	;; [unrolled: 1-line block ×5, first 2 shown]
	s_waitcnt lgkmcnt(1)
	v_lshrrev_b32_e32 v9, 16, v1
	s_waitcnt lgkmcnt(0)
	v_lshrrev_b32_e32 v13, 16, v5
	v_lshrrev_b32_e32 v10, 16, v2
	;; [unrolled: 1-line block ×4, first 2 shown]
	v_cndmask_b32_e64 v19, v1, v9, s3
	v_cndmask_b32_e32 v18, v5, v13, vcc_lo
	v_cndmask_b32_e64 v20, v5, v13, s3
	v_cndmask_b32_e32 v17, v1, v9, vcc_lo
	v_cmp_eq_u32_e32 vcc_lo, 2, v79
	v_lshrrev_b32_e32 v15, 16, v7
	v_cmp_eq_u32_e64 s3, 1, v77
	v_lshrrev_b32_e32 v12, 16, v4
	v_lshrrev_b32_e32 v16, 16, v8
	v_cndmask_b32_e32 v20, v20, v6, vcc_lo
	v_cndmask_b32_e64 v17, v17, v2, s4
	v_cndmask_b32_e32 v19, v19, v2, vcc_lo
	v_cndmask_b32_e64 v18, v18, v6, s4
	v_cmp_eq_u32_e32 vcc_lo, 4, v78
	v_cmp_eq_u32_e64 s4, 3, v79
	v_cndmask_b32_e64 v17, v17, v10, s5
	v_cndmask_b32_e64 v21, v1, v9, s3
	v_cndmask_b32_e64 v18, v18, v14, s5
	v_cndmask_b32_e64 v22, v5, v13, s3
	v_cndmask_b32_e64 v19, v19, v10, s4
	v_cndmask_b32_e32 v17, v17, v3, vcc_lo
	v_cndmask_b32_e64 v20, v20, v14, s4
	v_cndmask_b32_e32 v18, v18, v7, vcc_lo
	v_cmp_eq_u32_e32 vcc_lo, 4, v79
	v_cmp_eq_u32_e64 s4, 5, v79
	v_cmp_eq_u32_e64 s3, 2, v81
	v_cndmask_b32_e64 v21, v21, v2, s7
	v_cmp_eq_u32_e64 s5, 5, v78
	v_cndmask_b32_e32 v19, v19, v3, vcc_lo
	v_cndmask_b32_e32 v20, v20, v7, vcc_lo
	v_cmp_eq_u32_e32 vcc_lo, 6, v79
	s_delay_alu instid0(VALU_DEP_4) | instskip(NEXT) | instid1(VALU_DEP_4)
	v_cndmask_b32_e64 v17, v17, v11, s5
	v_cndmask_b32_e64 v19, v19, v11, s4
	s_delay_alu instid0(VALU_DEP_4) | instskip(SKIP_1) | instid1(VALU_DEP_3)
	v_cndmask_b32_e64 v20, v20, v15, s4
	v_cmp_eq_u32_e64 s4, 1, v81
	v_cndmask_b32_e32 v19, v19, v4, vcc_lo
	v_cndmask_b32_e64 v18, v18, v15, s5
	s_delay_alu instid0(VALU_DEP_3)
	v_cndmask_b32_e64 v1, v1, v9, s4
	v_cndmask_b32_e64 v5, v5, v13, s4
	v_cmp_eq_u32_e64 s4, 3, v77
	v_cndmask_b32_e64 v13, v22, v6, s7
	v_cmp_eq_u32_e64 s7, 3, v81
	v_cndmask_b32_e64 v1, v1, v2, s3
	v_cndmask_b32_e64 v2, v5, v6, s3
	v_cndmask_b32_e64 v9, v21, v10, s4
	v_cmp_eq_u32_e64 s3, 4, v77
	v_cndmask_b32_e64 v6, v13, v14, s4
	v_cndmask_b32_e64 v1, v1, v10, s7
	v_cmp_eq_u32_e64 s4, 4, v81
	v_cndmask_b32_e64 v2, v2, v14, s7
	v_cndmask_b32_e64 v5, v9, v3, s3
	;; [unrolled: 3-line block ×3, first 2 shown]
	v_cndmask_b32_e64 v2, v2, v7, s4
	v_cmp_eq_u32_e64 s3, 5, v81
	v_cmp_eq_u32_e64 s5, 6, v78
	v_cndmask_b32_e64 v5, v5, v11, s7
	v_cmp_eq_u32_e64 s4, 6, v77
	v_cndmask_b32_e64 v3, v6, v15, s7
	v_cndmask_b32_e64 v1, v1, v11, s3
	v_cmp_eq_u32_e64 s7, 6, v81
	v_cndmask_b32_e64 v2, v2, v15, s3
	v_cndmask_b32_e64 v17, v17, v4, s5
	v_cndmask_b32_e64 v18, v18, v8, s5
	v_cmp_eq_u32_e64 s5, 7, v78
	v_cndmask_b32_e64 v5, v5, v4, s4
	;; [unrolled: 4-line block ×3, first 2 shown]
	v_cmp_eq_u32_e64 s4, 7, v77
	v_cndmask_b32_e32 v4, v20, v8, vcc_lo
	v_cndmask_b32_e64 v17, v17, v12, s5
	v_cndmask_b32_e64 v19, v19, v12, s6
	;; [unrolled: 1-line block ×8, first 2 shown]
	s_mov_b32 s3, exec_lo
	v_perm_b32 v4, v2, v1, 0x5040100
	v_perm_b32 v3, v3, v5, 0x5040100
	;; [unrolled: 1-line block ×4, first 2 shown]
	ds_store_b128 v76, v[1:4]
	s_waitcnt lgkmcnt(0)
	s_barrier
	buffer_gl0_inv
	v_cmpx_gt_u32_e32 32, v0
	s_cbranch_execz .LBB1832_2
; %bb.111:
	s_load_b64 s[4:5], s[0:1], 0x68
	v_lshlrev_b32_e32 v0, 10, v0
	v_lshlrev_b32_e32 v1, 4, v75
	s_lshl_b32 s0, s34, 7
	v_add_nc_u32_e32 v7, s31, v74
	s_mul_i32 s1, s0, s30
	s_delay_alu instid0(SALU_CYCLE_1) | instskip(SKIP_1) | instid1(VALU_DEP_2)
	s_mul_i32 s6, s1, s8
	v_and_or_b32 v0, 0x3800, v0, v1
	v_mul_lo_u32 v1, v7, s0
	v_add_nc_u32_e32 v2, 2, v7
	s_ashr_i32 s7, s6, 31
	v_add_nc_u32_e32 v4, 4, v7
	s_lshl_b64 s[6:7], s[6:7], 1
	v_add_nc_u32_e32 v8, 6, v7
	v_mul_lo_u32 v3, v2, s0
	v_lshl_or_b32 v19, v74, 6, v0
	v_ashrrev_i32_e32 v2, 31, v1
	v_mul_lo_u32 v11, v4, s0
	v_mul_lo_u32 v25, v8, s0
	s_waitcnt lgkmcnt(0)
	s_add_u32 s1, s4, s6
	s_addc_u32 s3, s5, s7
	s_lshl_b32 s4, s14, 7
	v_lshlrev_b64 v[5:6], 1, v[1:2]
	s_ashr_i32 s5, s4, 31
	v_ashrrev_i32_e32 v4, 31, v3
	s_lshl_b64 s[4:5], s[4:5], 1
	v_ashrrev_i32_e32 v12, 31, v11
	s_add_u32 s1, s1, s4
	s_addc_u32 s3, s3, s5
	v_add_co_u32 v1, s1, s1, v73
	s_delay_alu instid0(VALU_DEP_1) | instskip(SKIP_1) | instid1(VALU_DEP_3)
	v_add_co_ci_u32_e64 v2, null, s3, 0, s1
	v_lshlrev_b64 v[3:4], 1, v[3:4]
	v_add_co_u32 v23, vcc_lo, v1, v5
	v_add_nc_u32_e32 v5, 8, v7
	s_delay_alu instid0(VALU_DEP_4) | instskip(NEXT) | instid1(VALU_DEP_4)
	v_add_co_ci_u32_e32 v24, vcc_lo, v2, v6, vcc_lo
	v_add_co_u32 v27, vcc_lo, v1, v3
	s_delay_alu instid0(VALU_DEP_3)
	v_mul_lo_u32 v29, v5, s0
	v_add_co_ci_u32_e32 v28, vcc_lo, v2, v4, vcc_lo
	ds_load_b128 v[3:6], v19
	ds_load_b128 v[7:10], v19 offset:128
	v_lshlrev_b64 v[31:32], 1, v[11:12]
	ds_load_b128 v[11:14], v19 offset:256
	ds_load_b128 v[15:18], v19 offset:384
	;; [unrolled: 1-line block ×3, first 2 shown]
	v_ashrrev_i32_e32 v26, 31, v25
	v_ashrrev_i32_e32 v30, 31, v29
	v_add_co_u32 v31, vcc_lo, v1, v31
	s_delay_alu instid0(VALU_DEP_3) | instskip(NEXT) | instid1(VALU_DEP_3)
	v_lshlrev_b64 v[25:26], 1, v[25:26]
	v_lshlrev_b64 v[29:30], 1, v[29:30]
	v_add_co_ci_u32_e32 v32, vcc_lo, v2, v32, vcc_lo
	s_delay_alu instid0(VALU_DEP_3) | instskip(NEXT) | instid1(VALU_DEP_4)
	v_add_co_u32 v25, vcc_lo, v1, v25
	v_add_co_ci_u32_e32 v26, vcc_lo, v2, v26, vcc_lo
	s_delay_alu instid0(VALU_DEP_4)
	v_add_co_u32 v29, vcc_lo, v1, v29
	v_add_co_ci_u32_e32 v30, vcc_lo, v2, v30, vcc_lo
	s_waitcnt lgkmcnt(4)
	global_store_b128 v[23:24], v[3:6], off
	s_waitcnt lgkmcnt(3)
	global_store_b128 v[27:28], v[7:10], off
	;; [unrolled: 2-line block ×5, first 2 shown]
	s_and_b32 exec_lo, exec_lo, s2
	s_cbranch_execz .LBB1832_2
; %bb.112:
	ds_load_b128 v[3:6], v0 offset:640
	s_add_i32 s1, s31, 10
	s_delay_alu instid0(SALU_CYCLE_1) | instskip(NEXT) | instid1(SALU_CYCLE_1)
	s_mul_i32 s0, s1, s0
	s_ashr_i32 s1, s0, 31
	s_delay_alu instid0(SALU_CYCLE_1) | instskip(NEXT) | instid1(SALU_CYCLE_1)
	s_lshl_b64 s[0:1], s[0:1], 1
	v_add_co_u32 v0, vcc_lo, v1, s0
	v_add_co_ci_u32_e32 v1, vcc_lo, s1, v2, vcc_lo
	s_waitcnt lgkmcnt(0)
	global_store_b128 v[0:1], v[3:6], off
	s_nop 0
	s_sendmsg sendmsg(MSG_DEALLOC_VGPRS)
	s_endpgm
	.section	.rodata,"a",@progbits
	.p2align	6, 0x0
	.amdhsa_kernel _Z39paged_attention_ll4mi_QKV_mfma16_kernelI14__hip_bfloat16hLN4vllm18Fp8KVCacheDataTypeE1ES0_Li16ELi128ELi256ELb1ELi11EL8MFMAType0EEvPKT_PKT0_S9_ifPKiSB_SB_iPKfiiiPfSE_PS4_PT2_iSD_SD_
		.amdhsa_group_segment_fixed_size 17472
		.amdhsa_private_segment_fixed_size 0
		.amdhsa_kernarg_size 400
		.amdhsa_user_sgpr_count 13
		.amdhsa_user_sgpr_dispatch_ptr 0
		.amdhsa_user_sgpr_queue_ptr 0
		.amdhsa_user_sgpr_kernarg_segment_ptr 1
		.amdhsa_user_sgpr_dispatch_id 0
		.amdhsa_user_sgpr_private_segment_size 0
		.amdhsa_wavefront_size32 1
		.amdhsa_uses_dynamic_stack 0
		.amdhsa_enable_private_segment 0
		.amdhsa_system_sgpr_workgroup_id_x 1
		.amdhsa_system_sgpr_workgroup_id_y 1
		.amdhsa_system_sgpr_workgroup_id_z 1
		.amdhsa_system_sgpr_workgroup_info 0
		.amdhsa_system_vgpr_workitem_id 0
		.amdhsa_next_free_vgpr 140
		.amdhsa_next_free_sgpr 36
		.amdhsa_reserve_vcc 1
		.amdhsa_float_round_mode_32 0
		.amdhsa_float_round_mode_16_64 0
		.amdhsa_float_denorm_mode_32 3
		.amdhsa_float_denorm_mode_16_64 3
		.amdhsa_dx10_clamp 1
		.amdhsa_ieee_mode 1
		.amdhsa_fp16_overflow 0
		.amdhsa_workgroup_processor_mode 1
		.amdhsa_memory_ordered 1
		.amdhsa_forward_progress 0
		.amdhsa_shared_vgpr_count 0
		.amdhsa_exception_fp_ieee_invalid_op 0
		.amdhsa_exception_fp_denorm_src 0
		.amdhsa_exception_fp_ieee_div_zero 0
		.amdhsa_exception_fp_ieee_overflow 0
		.amdhsa_exception_fp_ieee_underflow 0
		.amdhsa_exception_fp_ieee_inexact 0
		.amdhsa_exception_int_div_zero 0
	.end_amdhsa_kernel
	.section	.text._Z39paged_attention_ll4mi_QKV_mfma16_kernelI14__hip_bfloat16hLN4vllm18Fp8KVCacheDataTypeE1ES0_Li16ELi128ELi256ELb1ELi11EL8MFMAType0EEvPKT_PKT0_S9_ifPKiSB_SB_iPKfiiiPfSE_PS4_PT2_iSD_SD_,"axG",@progbits,_Z39paged_attention_ll4mi_QKV_mfma16_kernelI14__hip_bfloat16hLN4vllm18Fp8KVCacheDataTypeE1ES0_Li16ELi128ELi256ELb1ELi11EL8MFMAType0EEvPKT_PKT0_S9_ifPKiSB_SB_iPKfiiiPfSE_PS4_PT2_iSD_SD_,comdat
.Lfunc_end1832:
	.size	_Z39paged_attention_ll4mi_QKV_mfma16_kernelI14__hip_bfloat16hLN4vllm18Fp8KVCacheDataTypeE1ES0_Li16ELi128ELi256ELb1ELi11EL8MFMAType0EEvPKT_PKT0_S9_ifPKiSB_SB_iPKfiiiPfSE_PS4_PT2_iSD_SD_, .Lfunc_end1832-_Z39paged_attention_ll4mi_QKV_mfma16_kernelI14__hip_bfloat16hLN4vllm18Fp8KVCacheDataTypeE1ES0_Li16ELi128ELi256ELb1ELi11EL8MFMAType0EEvPKT_PKT0_S9_ifPKiSB_SB_iPKfiiiPfSE_PS4_PT2_iSD_SD_
                                        ; -- End function
	.section	.AMDGPU.csdata,"",@progbits
; Kernel info:
; codeLenInByte = 9004
; NumSgprs: 38
; NumVgprs: 140
; ScratchSize: 0
; MemoryBound: 0
; FloatMode: 240
; IeeeMode: 1
; LDSByteSize: 17472 bytes/workgroup (compile time only)
; SGPRBlocks: 4
; VGPRBlocks: 17
; NumSGPRsForWavesPerEU: 38
; NumVGPRsForWavesPerEU: 140
; Occupancy: 10
; WaveLimiterHint : 1
; COMPUTE_PGM_RSRC2:SCRATCH_EN: 0
; COMPUTE_PGM_RSRC2:USER_SGPR: 13
; COMPUTE_PGM_RSRC2:TRAP_HANDLER: 0
; COMPUTE_PGM_RSRC2:TGID_X_EN: 1
; COMPUTE_PGM_RSRC2:TGID_Y_EN: 1
; COMPUTE_PGM_RSRC2:TGID_Z_EN: 1
; COMPUTE_PGM_RSRC2:TIDIG_COMP_CNT: 0
	.section	.text._Z39paged_attention_ll4mi_QKV_mfma16_kernelI14__hip_bfloat16hLN4vllm18Fp8KVCacheDataTypeE1ES0_Li16ELi128ELi256ELb1ELi12EL8MFMAType0EEvPKT_PKT0_S9_ifPKiSB_SB_iPKfiiiPfSE_PS4_PT2_iSD_SD_,"axG",@progbits,_Z39paged_attention_ll4mi_QKV_mfma16_kernelI14__hip_bfloat16hLN4vllm18Fp8KVCacheDataTypeE1ES0_Li16ELi128ELi256ELb1ELi12EL8MFMAType0EEvPKT_PKT0_S9_ifPKiSB_SB_iPKfiiiPfSE_PS4_PT2_iSD_SD_,comdat
	.protected	_Z39paged_attention_ll4mi_QKV_mfma16_kernelI14__hip_bfloat16hLN4vllm18Fp8KVCacheDataTypeE1ES0_Li16ELi128ELi256ELb1ELi12EL8MFMAType0EEvPKT_PKT0_S9_ifPKiSB_SB_iPKfiiiPfSE_PS4_PT2_iSD_SD_ ; -- Begin function _Z39paged_attention_ll4mi_QKV_mfma16_kernelI14__hip_bfloat16hLN4vllm18Fp8KVCacheDataTypeE1ES0_Li16ELi128ELi256ELb1ELi12EL8MFMAType0EEvPKT_PKT0_S9_ifPKiSB_SB_iPKfiiiPfSE_PS4_PT2_iSD_SD_
	.globl	_Z39paged_attention_ll4mi_QKV_mfma16_kernelI14__hip_bfloat16hLN4vllm18Fp8KVCacheDataTypeE1ES0_Li16ELi128ELi256ELb1ELi12EL8MFMAType0EEvPKT_PKT0_S9_ifPKiSB_SB_iPKfiiiPfSE_PS4_PT2_iSD_SD_
	.p2align	8
	.type	_Z39paged_attention_ll4mi_QKV_mfma16_kernelI14__hip_bfloat16hLN4vllm18Fp8KVCacheDataTypeE1ES0_Li16ELi128ELi256ELb1ELi12EL8MFMAType0EEvPKT_PKT0_S9_ifPKiSB_SB_iPKfiiiPfSE_PS4_PT2_iSD_SD_,@function
_Z39paged_attention_ll4mi_QKV_mfma16_kernelI14__hip_bfloat16hLN4vllm18Fp8KVCacheDataTypeE1ES0_Li16ELi128ELi256ELb1ELi12EL8MFMAType0EEvPKT_PKT0_S9_ifPKiSB_SB_iPKfiiiPfSE_PS4_PT2_iSD_SD_: ; @_Z39paged_attention_ll4mi_QKV_mfma16_kernelI14__hip_bfloat16hLN4vllm18Fp8KVCacheDataTypeE1ES0_Li16ELi128ELi256ELb1ELi12EL8MFMAType0EEvPKT_PKT0_S9_ifPKiSB_SB_iPKfiiiPfSE_PS4_PT2_iSD_SD_
; %bb.0:
	s_load_b64 s[4:5], s[0:1], 0x30
	s_mov_b32 s30, s13
	s_waitcnt lgkmcnt(0)
	s_cmp_lg_u64 s[4:5], 0
	s_cselect_b32 s13, -1, 0
	s_ashr_i32 s31, s30, 31
	s_cmp_eq_u64 s[4:5], 0
	s_cbranch_scc1 .LBB1833_3
; %bb.1:
	s_lshl_b64 s[2:3], s[30:31], 2
	s_delay_alu instid0(SALU_CYCLE_1) | instskip(SKIP_4) | instid1(SALU_CYCLE_1)
	s_add_u32 s2, s4, s2
	s_addc_u32 s3, s5, s3
	s_load_b64 s[2:3], s[2:3], 0x0
	s_waitcnt lgkmcnt(0)
	s_sub_i32 s2, s3, s2
	s_cmp_eq_u32 s2, 1
	s_cselect_b32 s2, -1, 0
	s_delay_alu instid0(SALU_CYCLE_1)
	s_and_not1_b32 vcc_lo, exec_lo, s2
	s_cbranch_vccz .LBB1833_4
.LBB1833_2:
	s_endpgm
.LBB1833_3:
.LBB1833_4:
	s_load_b64 s[2:3], s[0:1], 0x28
	s_lshl_b64 s[6:7], s[30:31], 2
	s_waitcnt lgkmcnt(0)
	s_add_u32 s2, s2, s6
	s_addc_u32 s3, s3, s7
	s_lshl_b32 s12, s14, 8
	s_load_b32 s17, s[2:3], 0x0
	s_waitcnt lgkmcnt(0)
	s_cmp_ge_i32 s12, s17
	s_cbranch_scc1 .LBB1833_2
; %bb.5:
	s_clause 0x1
	s_load_b128 s[8:11], s[0:1], 0x8
	s_load_b64 s[2:3], s[0:1], 0x20
	s_and_not1_b32 vcc_lo, exec_lo, s13
	s_cbranch_vccnz .LBB1833_7
; %bb.6:
	s_add_u32 s4, s4, s6
	s_addc_u32 s5, s5, s7
	s_load_b32 s13, s[4:5], 0x0
	s_branch .LBB1833_8
.LBB1833_7:
	s_mov_b32 s13, s30
.LBB1833_8:
	s_load_b128 s[4:7], s[0:1], 0x48
	v_and_b32_e32 v65, 15, v0
	v_lshrrev_b32_e32 v66, 5, v0
	v_and_b32_e32 v67, 31, v0
	v_and_b32_e32 v75, 1, v0
	v_bfe_u32 v74, v0, 4, 1
	v_lshlrev_b32_e32 v1, 3, v65
	s_mul_i32 s29, s15, 12
	s_waitcnt lgkmcnt(0)
	s_mov_b32 s7, exec_lo
	s_delay_alu instid0(VALU_DEP_1)
	v_lshlrev_b32_e32 v73, 1, v1
	v_cmpx_gt_u32_e32 0xc0, v0
	s_cbranch_execz .LBB1833_10
; %bb.9:
	s_load_b64 s[18:19], s[0:1], 0x0
	v_lshl_or_b32 v5, v66, 1, v74
	s_mul_hi_i32 s21, s13, s4
	s_mul_i32 s20, s13, s4
	v_lshlrev_b32_e32 v6, 10, v65
	s_lshl_b64 s[20:21], s[20:21], 1
	v_add_lshl_u32 v1, v5, s29, 7
	v_lshlrev_b32_e32 v5, 6, v5
	v_lshlrev_b32_e32 v7, 10, v75
	v_and_b32_e32 v6, 0x3800, v6
	s_delay_alu instid0(VALU_DEP_4) | instskip(NEXT) | instid1(VALU_DEP_2)
	v_ashrrev_i32_e32 v2, 31, v1
	v_or3_b32 v5, v6, v7, v5
	s_delay_alu instid0(VALU_DEP_2) | instskip(SKIP_3) | instid1(VALU_DEP_1)
	v_lshlrev_b64 v[1:2], 1, v[1:2]
	s_waitcnt lgkmcnt(0)
	s_add_u32 s4, s18, s20
	s_addc_u32 s13, s19, s21
	v_add_co_u32 v1, vcc_lo, s4, v1
	s_delay_alu instid0(VALU_DEP_2) | instskip(NEXT) | instid1(VALU_DEP_2)
	v_add_co_ci_u32_e32 v2, vcc_lo, s13, v2, vcc_lo
	v_add_co_u32 v1, vcc_lo, v1, v73
	s_delay_alu instid0(VALU_DEP_2)
	v_add_co_ci_u32_e32 v2, vcc_lo, 0, v2, vcc_lo
	global_load_b128 v[1:4], v[1:2], off
	s_waitcnt vmcnt(0)
	ds_store_b128 v5, v[1:4]
.LBB1833_10:
	s_or_b32 exec_lo, exec_lo, s7
	v_and_b32_e32 v1, 0xef, v0
	s_add_i32 s4, s17, 15
	s_clause 0x1
	s_load_b32 s7, s[0:1], 0x38
	s_load_b32 s18, s[0:1], 0x1c
	s_ashr_i32 s13, s4, 31
	v_add_nc_u32_e32 v1, s12, v1
	s_lshr_b32 s13, s13, 28
	s_waitcnt lgkmcnt(0)
	s_add_i32 s4, s4, s13
	s_barrier
	v_ashrrev_i32_e32 v2, 31, v1
	v_or_b32_e32 v3, 16, v1
	s_ashr_i32 s4, s4, 4
	v_cmp_gt_i32_e32 vcc_lo, s17, v1
	s_add_i32 s4, s4, -1
	v_lshrrev_b32_e32 v2, 28, v2
	buffer_gl0_inv
	s_mul_i32 s15, s15, s6
	v_add_nc_u32_e32 v4, v1, v2
	s_mul_i32 s20, s30, s7
	s_delay_alu instid0(SALU_CYCLE_1) | instskip(NEXT) | instid1(VALU_DEP_1)
	s_ashr_i32 s21, s20, 31
	v_ashrrev_i32_e32 v4, 4, v4
	v_add_nc_u32_e32 v2, v3, v2
	s_lshl_b64 s[20:21], s[20:21], 2
	s_delay_alu instid0(SALU_CYCLE_1) | instskip(NEXT) | instid1(VALU_DEP_2)
	s_add_u32 s13, s2, s20
	v_cndmask_b32_e32 v1, s4, v4, vcc_lo
	s_delay_alu instid0(VALU_DEP_2)
	v_ashrrev_i32_e32 v2, 4, v2
	v_cmp_gt_i32_e32 vcc_lo, s17, v3
	s_addc_u32 s16, s3, s21
	s_ashr_i32 s19, s15, 31
	s_add_u32 s26, s8, s15
	s_addc_u32 s27, s9, s19
	v_cndmask_b32_e32 v3, s4, v2, vcc_lo
	v_ashrrev_i32_e32 v2, 31, v1
	s_lshl_b32 s2, s14, 4
	s_delay_alu instid0(SALU_CYCLE_1) | instskip(NEXT) | instid1(VALU_DEP_2)
	s_ashr_i32 s3, s2, 31
	v_ashrrev_i32_e32 v4, 31, v3
	s_delay_alu instid0(VALU_DEP_2) | instskip(SKIP_1) | instid1(SALU_CYCLE_1)
	v_lshlrev_b64 v[1:2], 2, v[1:2]
	s_lshl_b64 s[2:3], s[2:3], 2
	s_add_u32 s2, s13, s2
	s_delay_alu instid0(VALU_DEP_2) | instskip(SKIP_1) | instid1(VALU_DEP_2)
	v_lshlrev_b64 v[3:4], 2, v[3:4]
	s_addc_u32 s3, s16, s3
	v_add_co_u32 v1, vcc_lo, s13, v1
	v_add_co_ci_u32_e32 v2, vcc_lo, s16, v2, vcc_lo
	s_delay_alu instid0(VALU_DEP_3) | instskip(NEXT) | instid1(VALU_DEP_4)
	v_add_co_u32 v3, vcc_lo, s13, v3
	v_add_co_ci_u32_e32 v4, vcc_lo, s16, v4, vcc_lo
	s_clause 0x1
	global_load_b32 v5, v[1:2], off
	global_load_b32 v3, v[3:4], off
	s_or_b32 s6, s12, 32
	v_cmp_gt_u32_e32 vcc_lo, 12, v65
	s_ashr_i32 s7, s6, 4
	s_cmp_lt_i32 s6, s17
	s_cselect_b32 s6, s7, s4
	s_delay_alu instid0(SALU_CYCLE_1) | instskip(NEXT) | instid1(SALU_CYCLE_1)
	s_ashr_i32 s7, s6, 31
	s_lshl_b64 s[6:7], s[6:7], 2
	s_delay_alu instid0(SALU_CYCLE_1) | instskip(SKIP_2) | instid1(SALU_CYCLE_1)
	s_add_u32 s6, s13, s6
	s_addc_u32 s7, s16, s7
	s_or_b32 s8, s12, 64
	s_ashr_i32 s9, s8, 4
	s_cmp_lt_i32 s8, s17
	s_cselect_b32 s8, s9, s4
	s_delay_alu instid0(SALU_CYCLE_1) | instskip(NEXT) | instid1(SALU_CYCLE_1)
	s_ashr_i32 s9, s8, 31
	s_lshl_b64 s[8:9], s[8:9], 2
	s_delay_alu instid0(SALU_CYCLE_1) | instskip(SKIP_2) | instid1(SALU_CYCLE_1)
	s_add_u32 s8, s13, s8
	s_addc_u32 s9, s16, s9
	s_or_b32 s20, s12, 0x60
	;; [unrolled: 10-line block ×4, first 2 shown]
	s_ashr_i32 s25, s24, 4
	s_cmp_lt_i32 s24, s17
	s_cselect_b32 s24, s25, s4
	s_delay_alu instid0(SALU_CYCLE_1) | instskip(NEXT) | instid1(SALU_CYCLE_1)
	s_ashr_i32 s25, s24, 31
	s_lshl_b64 s[24:25], s[24:25], 2
	s_delay_alu instid0(SALU_CYCLE_1)
	s_add_u32 s24, s13, s24
	s_addc_u32 s25, s16, s25
	s_clause 0x5
	s_load_b32 s28, s[2:3], 0x0
	s_load_b32 s31, s[6:7], 0x0
	;; [unrolled: 1-line block ×6, first 2 shown]
	s_mov_b32 s20, 0
	s_or_b32 s2, s12, 0xc0
	s_mov_b32 s21, s20
	s_mov_b32 s22, s20
	;; [unrolled: 1-line block ×5, first 2 shown]
	v_lshlrev_b32_e32 v1, 4, v0
	s_ashr_i32 s3, s2, 4
	s_cmp_lt_i32 s2, s17
	s_cselect_b32 s2, s3, s4
	s_delay_alu instid0(VALU_DEP_1) | instskip(SKIP_1) | instid1(SALU_CYCLE_1)
	v_and_b32_e32 v1, 0xf0, v1
	s_ashr_i32 s3, s2, 31
	s_lshl_b64 s[2:3], s[2:3], 2
	s_delay_alu instid0(VALU_DEP_1) | instskip(NEXT) | instid1(VALU_DEP_1)
	v_add_co_u32 v1, s26, s26, v1
	v_add_co_ci_u32_e64 v2, null, s27, 0, s26
	s_add_u32 s2, s13, s2
	s_addc_u32 s3, s16, s3
	s_or_b32 s6, s12, 0xe0
	s_mov_b32 s27, s20
	s_ashr_i32 s7, s6, 4
	s_cmp_lt_i32 s6, s17
	s_mov_b32 s26, s20
	v_dual_mov_b32 v107, s27 :: v_dual_mov_b32 v100, s20
	s_cselect_b32 s6, s7, s4
	v_mov_b32_e32 v106, s26
	s_ashr_i32 s7, s6, 31
	v_mov_b32_e32 v104, s24
	s_lshl_b64 s[6:7], s[6:7], 2
	v_dual_mov_b32 v103, s23 :: v_dual_mov_b32 v102, s22
	v_mov_b32_e32 v101, s21
	s_waitcnt vmcnt(1)
	v_mad_i64_i32 v[33:34], null, v5, s5, v[1:2]
	s_waitcnt vmcnt(0)
	v_mad_i64_i32 v[35:36], null, v3, s5, v[1:2]
	s_clause 0xf
	global_load_b128 v[1:4], v[33:34], off
	global_load_b128 v[5:8], v[33:34], off offset:256
	global_load_b128 v[9:12], v[35:36], off
	global_load_b128 v[13:16], v[35:36], off offset:256
	global_load_b128 v[17:20], v[33:34], off offset:512
	;; [unrolled: 1-line block ×13, first 2 shown]
	v_add_nc_u32_e32 v33, -12, v65
	v_lshlrev_b32_e32 v34, 4, v65
	s_delay_alu instid0(VALU_DEP_2) | instskip(SKIP_1) | instid1(VALU_DEP_3)
	v_cndmask_b32_e32 v33, v33, v65, vcc_lo
	v_mov_b32_e32 v105, s25
	v_lshl_or_b32 v41, v66, 8, v34
	s_delay_alu instid0(VALU_DEP_3)
	v_lshlrev_b32_e32 v72, 6, v33
	ds_load_b128 v[33:36], v72
	ds_load_b128 v[37:40], v72 offset:1024
	ds_load_b128 v[108:111], v72 offset:2048
	;; [unrolled: 1-line block ×3, first 2 shown]
	s_load_b32 s4, s[2:3], 0x0
	s_add_u32 s2, s13, s6
	s_addc_u32 s3, s16, s7
	ds_load_b128 v[116:119], v72 offset:4096
	ds_load_b128 v[120:123], v72 offset:5120
	s_load_b32 s2, s[2:3], 0x0
	s_add_u32 s6, s10, s15
	s_addc_u32 s7, s11, s19
	v_add_co_u32 v68, s6, s6, v41
	s_delay_alu instid0(VALU_DEP_1) | instskip(SKIP_1) | instid1(VALU_DEP_1)
	v_add_co_ci_u32_e64 v69, null, s7, 0, s6
	s_waitcnt lgkmcnt(0)
	v_mad_i64_i32 v[41:42], null, s28, s5, v[68:69]
	v_mad_i64_i32 v[70:71], null, s8, s5, v[68:69]
	;; [unrolled: 1-line block ×7, first 2 shown]
	s_clause 0x3
	global_load_b128 v[49:52], v[41:42], off
	global_load_b128 v[53:56], v[41:42], off offset:16
	global_load_b128 v[41:44], v[45:46], off
	global_load_b128 v[45:48], v[45:46], off offset:16
	s_waitcnt vmcnt(18)
	v_wmma_f32_16x16x16_bf16 v[124:131], v[1:8], v[33:40], v[100:107]
	s_waitcnt vmcnt(16)
	v_wmma_f32_16x16x16_bf16 v[100:107], v[9:16], v[33:40], v[100:107]
	s_clause 0x1
	global_load_b128 v[33:36], v[70:71], off
	global_load_b128 v[37:40], v[70:71], off offset:16
	v_mad_i64_i32 v[70:71], null, s2, s5, v[68:69]
	s_waitcnt vmcnt(16)
	v_wmma_f32_16x16x16_bf16 v[124:131], v[17:24], v[108:115], v[124:131]
	s_waitcnt vmcnt(14)
	v_wmma_f32_16x16x16_bf16 v[100:107], v[25:32], v[108:115], v[100:107]
	s_clause 0x7
	global_load_b128 v[25:28], v[132:133], off
	global_load_b128 v[29:32], v[132:133], off offset:16
	global_load_b128 v[1:4], v[134:135], off
	global_load_b128 v[5:8], v[134:135], off offset:16
	;; [unrolled: 2-line block ×4, first 2 shown]
	s_waitcnt vmcnt(20)
	v_wmma_f32_16x16x16_bf16 v[124:131], v[57:64], v[116:123], v[124:131]
	s_clause 0x1
	global_load_b128 v[57:60], v[70:71], off
	global_load_b128 v[61:64], v[70:71], off offset:16
	s_waitcnt vmcnt(20)
	v_wmma_f32_16x16x16_bf16 v[100:107], v[76:83], v[116:123], v[100:107]
	ds_load_b128 v[76:79], v72 offset:6144
	ds_load_b128 v[80:83], v72 offset:7168
	v_and_b32_e32 v68, 0xe0, v0
	v_mbcnt_lo_u32_b32 v69, -1, 0
	s_waitcnt vmcnt(0) lgkmcnt(0)
	s_barrier
	buffer_gl0_inv
	v_add_nc_u32_e32 v68, s12, v68
	v_xor_b32_e32 v70, 16, v69
	s_delay_alu instid0(VALU_DEP_2) | instskip(NEXT) | instid1(VALU_DEP_2)
	v_or_b32_e32 v68, v68, v74
	v_cmp_gt_i32_e32 vcc_lo, 32, v70
	s_delay_alu instid0(VALU_DEP_2)
	v_or_b32_e32 v71, 4, v68
	v_or_b32_e32 v72, 6, v68
	v_cmp_gt_i32_e64 s2, s17, v68
	v_or_b32_e32 v108, 8, v68
	v_wmma_f32_16x16x16_bf16 v[124:131], v[84:91], v[76:83], v[124:131]
	v_cndmask_b32_e32 v69, v69, v70, vcc_lo
	v_or_b32_e32 v70, 2, v68
	v_wmma_f32_16x16x16_bf16 v[100:107], v[92:99], v[76:83], v[100:107]
	v_or_b32_e32 v109, 10, v68
	v_dual_mul_f32 v82, s18, v127 :: v_dual_mul_f32 v79, s18, v130
	v_dual_mul_f32 v92, s18, v125 :: v_dual_mul_f32 v93, s18, v124
	s_delay_alu instid0(VALU_DEP_4)
	v_mul_f32_e32 v98, s18, v103
	v_cmp_gt_i32_e32 vcc_lo, s17, v70
	v_or_b32_e32 v89, 22, v68
	v_dual_mul_f32 v83, s18, v126 :: v_dual_mul_f32 v96, s18, v105
	v_cndmask_b32_e64 v93, 0xff7fffff, v93, s2
	v_cndmask_b32_e32 v92, 0xff7fffff, v92, vcc_lo
	v_cmp_gt_i32_e64 s3, s17, v71
	v_cmp_gt_i32_e64 s4, s17, v72
	v_or_b32_e32 v84, 12, v68
	v_or_b32_e32 v85, 14, v68
	v_dual_mul_f32 v80, s18, v129 :: v_dual_mul_f32 v81, s18, v128
	v_mul_f32_e32 v94, s18, v107
	v_cndmask_b32_e64 v71, 0xff7fffff, v83, s3
	v_cndmask_b32_e64 v72, 0xff7fffff, v82, s4
	v_cmp_gt_i32_e64 s5, s17, v108
	v_cmp_gt_i32_e64 s6, s17, v109
	v_cmp_gt_i32_e64 s12, s17, v89
	v_lshlrev_b32_e32 v89, 2, v69
	v_max3_f32 v82, v93, 0xff7fffff, v92
	v_or_b32_e32 v86, 16, v68
	v_or_b32_e32 v87, 18, v68
	v_mul_f32_e32 v78, s18, v131
	v_cndmask_b32_e64 v81, 0xff7fffff, v81, s5
	v_cndmask_b32_e64 v80, 0xff7fffff, v80, s6
	v_max3_f32 v71, v82, v71, v72
	v_cmp_gt_i32_e64 s7, s17, v84
	v_cmp_gt_i32_e64 s8, s17, v85
	v_or_b32_e32 v88, 20, v68
	v_or_b32_e32 v90, 24, v68
	;; [unrolled: 1-line block ×5, first 2 shown]
	v_dual_mul_f32 v95, s18, v106 :: v_dual_mul_f32 v70, s18, v101
	v_dual_mul_f32 v99, s18, v102 :: v_dual_mul_f32 v68, s18, v100
	v_cndmask_b32_e64 v72, 0xff7fffff, v79, s7
	v_cndmask_b32_e64 v78, 0xff7fffff, v78, s8
	v_max3_f32 v71, v71, v81, v80
	v_cmp_gt_i32_e64 s9, s17, v86
	v_cmp_gt_i32_e64 s10, s17, v87
	;; [unrolled: 1-line block ×3, first 2 shown]
	v_mul_f32_e32 v97, s18, v104
	v_max3_f32 v71, v71, v72, v78
	v_cndmask_b32_e64 v68, 0xff7fffff, v68, s9
	v_cndmask_b32_e64 v70, 0xff7fffff, v70, s10
	;; [unrolled: 1-line block ×4, first 2 shown]
	v_cmp_gt_i32_e64 s13, s17, v90
	v_cmp_gt_i32_e64 s15, s17, v91
	v_max3_f32 v68, v71, v68, v70
	v_cmp_gt_i32_e64 s16, s17, v76
	v_cmp_gt_i32_e64 s17, s17, v77
	v_cndmask_b32_e64 v70, 0xff7fffff, v97, s13
	v_cndmask_b32_e64 v71, 0xff7fffff, v96, s15
	v_max3_f32 v68, v68, v72, v78
	v_cndmask_b32_e64 v72, 0xff7fffff, v95, s16
	v_cndmask_b32_e64 v76, 0xff7fffff, v94, s17
	s_delay_alu instid0(VALU_DEP_3) | instskip(NEXT) | instid1(VALU_DEP_1)
	v_max3_f32 v68, v68, v70, v71
	v_max3_f32 v68, v68, v72, v76
	ds_bpermute_b32 v69, v89, v68
	s_waitcnt lgkmcnt(0)
	v_max_f32_e32 v69, v69, v69
	s_delay_alu instid0(VALU_DEP_1) | instskip(NEXT) | instid1(VALU_DEP_1)
	v_max_f32_e32 v68, v68, v69
	v_fma_f32 v69, s18, v124, -v68
	v_fma_f32 v70, s18, v125, -v68
	;; [unrolled: 1-line block ×5, first 2 shown]
	s_delay_alu instid0(VALU_DEP_4) | instskip(NEXT) | instid1(VALU_DEP_4)
	v_dual_mul_f32 v69, 0x3fb8aa3b, v69 :: v_dual_mul_f32 v70, 0x3fb8aa3b, v70
	v_mul_f32_e32 v72, 0x3fb8aa3b, v72
	v_fma_f32 v78, s18, v130, -v68
	s_delay_alu instid0(VALU_DEP_4) | instskip(NEXT) | instid1(VALU_DEP_4)
	v_mul_f32_e32 v77, 0x3fb8aa3b, v76
	v_exp_f32_e32 v69, v69
	v_exp_f32_e32 v70, v70
	v_mul_f32_e32 v71, 0x3fb8aa3b, v71
	v_exp_f32_e32 v72, v72
	v_mul_f32_e32 v78, 0x3fb8aa3b, v78
	v_exp_f32_e32 v77, v77
	v_fma_f32 v81, s18, v105, -v68
	s_delay_alu instid0(VALU_DEP_2)
	v_exp_f32_e32 v78, v78
	v_cndmask_b32_e64 v80, 0, v69, s2
	v_cndmask_b32_e32 v76, 0, v70, vcc_lo
	v_exp_f32_e32 v71, v71
	v_fma_f32 v69, s18, v129, -v68
	v_cndmask_b32_e64 v85, 0, v72, s4
	v_add_f32_e32 v70, 0, v80
	s_delay_alu instid0(TRANS32_DEP_3)
	v_cndmask_b32_e64 v86, 0, v77, s5
	v_fma_f32 v77, s18, v101, -v68
	v_mul_f32_e32 v69, 0x3fb8aa3b, v69
	v_fma_f32 v72, s18, v100, -v68
	v_cndmask_b32_e64 v84, 0, v78, s7
	v_fma_f32 v78, s18, v103, -v68
	v_cndmask_b32_e64 v83, 0, v71, s3
	v_fma_f32 v71, s18, v131, -v68
	v_add_f32_e32 v70, v70, v76
	v_exp_f32_e32 v69, v69
	v_mul_f32_e32 v77, 0x3fb8aa3b, v77
	v_mul_f32_e32 v81, 0x3fb8aa3b, v81
	;; [unrolled: 1-line block ×3, first 2 shown]
	v_add_f32_e32 v70, v70, v83
	s_mov_b32 s2, exec_lo
	v_exp_f32_e32 v77, v77
	v_exp_f32_e32 v81, v81
	;; [unrolled: 1-line block ×3, first 2 shown]
	v_cndmask_b32_e64 v87, 0, v69, s6
	v_add_f32_e32 v70, v70, v85
	s_delay_alu instid0(VALU_DEP_1) | instskip(SKIP_1) | instid1(VALU_DEP_2)
	v_dual_mul_f32 v72, 0x3fb8aa3b, v72 :: v_dual_add_f32 v69, v70, v86
	v_fma_f32 v70, s18, v102, -v68
	v_exp_f32_e32 v72, v72
	s_waitcnt_depctr 0xfff
	v_cndmask_b32_e64 v88, 0, v71, s8
	v_fma_f32 v71, s18, v104, -v68
	v_dual_add_f32 v69, v69, v87 :: v_dual_mul_f32 v70, 0x3fb8aa3b, v70
	s_delay_alu instid0(VALU_DEP_2) | instskip(NEXT) | instid1(VALU_DEP_2)
	v_dual_mul_f32 v78, 0x3fb8aa3b, v78 :: v_dual_mul_f32 v71, 0x3fb8aa3b, v71
	v_add_f32_e32 v69, v69, v84
	s_delay_alu instid0(VALU_DEP_3) | instskip(SKIP_1) | instid1(VALU_DEP_3)
	v_exp_f32_e32 v79, v70
	v_cndmask_b32_e64 v70, 0, v72, s9
	v_exp_f32_e32 v78, v78
	v_exp_f32_e32 v82, v71
	v_add_f32_e32 v72, v69, v88
	v_cndmask_b32_e64 v69, 0, v77, s10
	v_fma_f32 v77, s18, v106, -v68
	s_delay_alu instid0(VALU_DEP_3) | instskip(NEXT) | instid1(TRANS32_DEP_3)
	v_add_f32_e32 v72, v72, v70
	v_cndmask_b32_e64 v71, 0, v79, s11
	s_delay_alu instid0(VALU_DEP_3) | instskip(NEXT) | instid1(VALU_DEP_3)
	v_mul_f32_e32 v77, 0x3fb8aa3b, v77
	v_add_f32_e32 v79, v72, v69
	s_delay_alu instid0(TRANS32_DEP_2) | instskip(NEXT) | instid1(VALU_DEP_3)
	v_cndmask_b32_e64 v72, 0, v78, s12
	v_exp_f32_e32 v90, v77
	v_cndmask_b32_e64 v77, 0, v82, s13
	s_delay_alu instid0(VALU_DEP_3) | instskip(SKIP_1) | instid1(VALU_DEP_1)
	v_add_f32_e32 v78, v79, v71
	v_fma_f32 v79, s18, v107, -v68
	v_dual_add_f32 v82, v78, v72 :: v_dual_mul_f32 v79, 0x3fb8aa3b, v79
	v_cndmask_b32_e64 v78, 0, v81, s15
	s_delay_alu instid0(VALU_DEP_2) | instskip(NEXT) | instid1(VALU_DEP_3)
	v_add_f32_e32 v81, v82, v77
	v_exp_f32_e32 v82, v79
	s_delay_alu instid0(TRANS32_DEP_2) | instskip(NEXT) | instid1(VALU_DEP_2)
	v_cndmask_b32_e64 v79, 0, v90, s16
	v_add_f32_e32 v81, v81, v78
	s_delay_alu instid0(VALU_DEP_1) | instskip(SKIP_2) | instid1(VALU_DEP_1)
	v_add_f32_e32 v90, v81, v79
	s_waitcnt_depctr 0xfff
	v_cndmask_b32_e64 v81, 0, v82, s17
	v_add_f32_e32 v82, v90, v81
	ds_bpermute_b32 v89, v89, v82
	v_cmpx_gt_u32_e32 16, v67
	s_cbranch_execz .LBB1833_12
; %bb.11:
	v_mul_u32_u24_e32 v67, 0x44, v66
	s_delay_alu instid0(VALU_DEP_1) | instskip(SKIP_1) | instid1(VALU_DEP_1)
	v_lshl_add_u32 v67, v65, 2, v67
	s_waitcnt lgkmcnt(0)
	v_dual_add_f32 v82, v82, v89 :: v_dual_add_nc_u32 v67, 0x4000, v67
	ds_store_2addr_b32 v67, v68, v82 offset1:136
.LBB1833_12:
	s_or_b32 exec_lo, exec_lo, s2
	v_lshlrev_b32_e32 v67, 2, v65
	s_waitcnt lgkmcnt(0)
	s_barrier
	buffer_gl0_inv
	v_cmp_eq_u32_e32 vcc_lo, 1, v66
	v_add_nc_u32_e32 v82, 0x4000, v67
	v_cmp_eq_u32_e64 s2, 2, v66
	v_cmp_eq_u32_e64 s4, 7, v66
	ds_load_2addr_b32 v[89:90], v82 offset1:17
	ds_load_2addr_b32 v[91:92], v82 offset0:34 offset1:51
	ds_load_2addr_b32 v[93:94], v82 offset0:68 offset1:85
	;; [unrolled: 1-line block ×4, first 2 shown]
	s_waitcnt lgkmcnt(4)
	v_max3_f32 v67, v89, 0xff7fffff, v90
	s_waitcnt lgkmcnt(3)
	s_delay_alu instid0(VALU_DEP_1) | instskip(SKIP_1) | instid1(VALU_DEP_1)
	v_max3_f32 v67, v67, v91, v92
	s_waitcnt lgkmcnt(2)
	v_max3_f32 v67, v67, v93, v94
	s_waitcnt lgkmcnt(1)
	s_delay_alu instid0(VALU_DEP_1) | instskip(NEXT) | instid1(VALU_DEP_1)
	v_max3_f32 v67, v67, v95, v96
	v_sub_f32_e32 v93, v93, v67
	s_delay_alu instid0(VALU_DEP_1) | instskip(NEXT) | instid1(VALU_DEP_1)
	v_dual_sub_f32 v68, v89, v67 :: v_dual_mul_f32 v103, 0x3fb8aa3b, v93
	v_mul_f32_e32 v68, 0x3fb8aa3b, v68
	s_delay_alu instid0(VALU_DEP_1)
	v_exp_f32_e32 v100, v68
	v_sub_f32_e32 v68, v92, v67
	v_sub_f32_e32 v99, v90, v67
	ds_load_2addr_b32 v[89:90], v82 offset0:170 offset1:187
	v_dual_mul_f32 v102, 0x3fb8aa3b, v68 :: v_dual_mul_f32 v99, 0x3fb8aa3b, v99
	s_waitcnt lgkmcnt(1)
	v_fma_f32 v68, v100, v97, 0
	s_delay_alu instid0(VALU_DEP_2) | instskip(NEXT) | instid1(VALU_DEP_2)
	v_exp_f32_e32 v102, v102
	v_exp_f32_e32 v99, v99
	s_waitcnt_depctr 0xfff
	v_fmac_f32_e32 v68, v99, v98
	v_sub_f32_e32 v91, v91, v67
	s_delay_alu instid0(VALU_DEP_1)
	v_mul_f32_e32 v101, 0x3fb8aa3b, v91
	ds_load_2addr_b32 v[91:92], v82 offset0:204 offset1:221
	v_sub_f32_e32 v97, v94, v67
	ds_load_2addr_b32 v[93:94], v82 offset0:238 offset1:255
	s_waitcnt lgkmcnt(0)
	v_exp_f32_e32 v101, v101
	s_barrier
	buffer_gl0_inv
	v_dual_fmac_f32 v68, v101, v89 :: v_dual_sub_f32 v89, v96, v67
	v_dual_sub_f32 v82, v95, v67 :: v_dual_mul_f32 v95, 0x3fb8aa3b, v97
	v_exp_f32_e32 v97, v103
	s_delay_alu instid0(VALU_DEP_2) | instskip(NEXT) | instid1(VALU_DEP_2)
	v_dual_fmac_f32 v68, v102, v90 :: v_dual_mul_f32 v89, 0x3fb8aa3b, v89
	v_mul_f32_e32 v82, 0x3fb8aa3b, v82
	s_delay_alu instid0(VALU_DEP_3) | instskip(NEXT) | instid1(VALU_DEP_2)
	v_exp_f32_e32 v95, v95
	v_exp_f32_e32 v89, v89
	s_delay_alu instid0(VALU_DEP_1)
	v_exp_f32_e32 v82, v82
	v_fmac_f32_e32 v68, v97, v91
	s_delay_alu instid0(TRANS32_DEP_3) | instid1(VALU_DEP_1)
	v_fmac_f32_e32 v68, v95, v92
	s_waitcnt_depctr 0xfff
	v_fmac_f32_e32 v68, v82, v93
	s_delay_alu instid0(VALU_DEP_1) | instskip(NEXT) | instid1(VALU_DEP_1)
	v_fmac_f32_e32 v68, v89, v94
	v_add_f32_e32 v90, 0x358637bd, v68
	s_delay_alu instid0(VALU_DEP_1) | instskip(NEXT) | instid1(VALU_DEP_1)
	v_div_scale_f32 v91, null, v90, v90, 1.0
	v_rcp_f32_e32 v92, v91
	s_waitcnt_depctr 0xfff
	v_fma_f32 v93, -v91, v92, 1.0
	s_delay_alu instid0(VALU_DEP_1) | instskip(SKIP_1) | instid1(VALU_DEP_2)
	v_dual_fmac_f32 v92, v93, v92 :: v_dual_cndmask_b32 v93, v100, v99
	v_cmp_eq_u32_e32 vcc_lo, 3, v66
	v_cndmask_b32_e64 v93, v93, v101, s2
	v_cmp_eq_u32_e64 s2, 4, v66
	s_delay_alu instid0(VALU_DEP_2) | instskip(SKIP_1) | instid1(VALU_DEP_2)
	v_cndmask_b32_e32 v93, v93, v102, vcc_lo
	v_cmp_eq_u32_e32 vcc_lo, 5, v66
	v_cndmask_b32_e64 v93, v93, v97, s2
	v_cmp_eq_u32_e64 s2, 6, v66
	s_delay_alu instid0(VALU_DEP_2) | instskip(SKIP_1) | instid1(VALU_DEP_1)
	v_cndmask_b32_e32 v93, v93, v95, vcc_lo
	v_div_scale_f32 v94, s3, 1.0, v90, 1.0
	s_mov_b32 vcc_lo, s3
	s_delay_alu instid0(VALU_DEP_2) | instskip(NEXT) | instid1(VALU_DEP_2)
	v_cndmask_b32_e64 v82, v93, v82, s2
	v_mul_f32_e32 v96, v94, v92
	s_mov_b32 s2, exec_lo
	s_delay_alu instid0(VALU_DEP_2) | instskip(NEXT) | instid1(VALU_DEP_2)
	v_cndmask_b32_e64 v82, v82, v89, s4
	v_fma_f32 v98, -v91, v96, v94
	s_delay_alu instid0(VALU_DEP_1) | instskip(NEXT) | instid1(VALU_DEP_1)
	v_fmac_f32_e32 v96, v98, v92
	v_fma_f32 v91, -v91, v96, v94
	s_delay_alu instid0(VALU_DEP_1) | instskip(NEXT) | instid1(VALU_DEP_1)
	v_div_fmas_f32 v91, v91, v92, v96
	v_div_fixup_f32 v90, v91, v90, 1.0
	s_delay_alu instid0(VALU_DEP_1) | instskip(NEXT) | instid1(VALU_DEP_1)
	v_mul_f32_e32 v82, v82, v90
	v_mul_f32_e32 v87, v82, v87
	;; [unrolled: 1-line block ×7, first 2 shown]
	v_dual_mul_f32 v86, v82, v83 :: v_dual_and_b32 v91, 0x7f800000, v90
	v_mul_f32_e32 v85, v82, v76
                                        ; implicit-def: $vgpr76
	s_delay_alu instid0(VALU_DEP_2)
	v_cmpx_ne_u32_e32 0x7f800000, v91
	s_xor_b32 s2, exec_lo, s2
; %bb.13:
	v_bfe_u32 v76, v90, 16, 1
	s_delay_alu instid0(VALU_DEP_1)
	v_add3_u32 v76, v90, v76, 0x7fff
                                        ; implicit-def: $vgpr90
; %bb.14:
	s_and_not1_saveexec_b32 s2, s2
; %bb.15:
	v_and_b32_e32 v76, 0xffff, v90
	v_or_b32_e32 v83, 0x10000, v90
	s_delay_alu instid0(VALU_DEP_2) | instskip(NEXT) | instid1(VALU_DEP_2)
	v_cmp_eq_u32_e32 vcc_lo, 0, v76
	v_cndmask_b32_e32 v76, v83, v90, vcc_lo
; %bb.16:
	s_or_b32 exec_lo, exec_lo, s2
	v_and_b32_e32 v83, 0x7f800000, v85
	s_delay_alu instid0(VALU_DEP_1) | instskip(SKIP_1) | instid1(SALU_CYCLE_1)
	v_cmp_ne_u32_e32 vcc_lo, 0x7f800000, v83
                                        ; implicit-def: $vgpr83
	s_and_saveexec_b32 s2, vcc_lo
	s_xor_b32 s2, exec_lo, s2
; %bb.17:
	v_bfe_u32 v83, v85, 16, 1
	s_delay_alu instid0(VALU_DEP_1)
	v_add3_u32 v83, v85, v83, 0x7fff
                                        ; implicit-def: $vgpr85
; %bb.18:
	s_and_not1_saveexec_b32 s2, s2
; %bb.19:
	v_and_b32_e32 v83, 0xffff, v85
	v_or_b32_e32 v90, 0x10000, v85
	s_delay_alu instid0(VALU_DEP_2) | instskip(NEXT) | instid1(VALU_DEP_2)
	v_cmp_eq_u32_e32 vcc_lo, 0, v83
	v_cndmask_b32_e32 v83, v90, v85, vcc_lo
; %bb.20:
	s_or_b32 exec_lo, exec_lo, s2
	v_and_b32_e32 v85, 0x7f800000, v86
	s_delay_alu instid0(VALU_DEP_1) | instskip(SKIP_1) | instid1(SALU_CYCLE_1)
	v_cmp_ne_u32_e32 vcc_lo, 0x7f800000, v85
                                        ; implicit-def: $vgpr85
	s_and_saveexec_b32 s2, vcc_lo
	s_xor_b32 s2, exec_lo, s2
; %bb.21:
	v_bfe_u32 v85, v86, 16, 1
	s_delay_alu instid0(VALU_DEP_1)
	v_add3_u32 v85, v86, v85, 0x7fff
                                        ; implicit-def: $vgpr86
; %bb.22:
	s_and_not1_saveexec_b32 s2, s2
; %bb.23:
	v_and_b32_e32 v85, 0xffff, v86
	v_or_b32_e32 v90, 0x10000, v86
	s_delay_alu instid0(VALU_DEP_2) | instskip(NEXT) | instid1(VALU_DEP_2)
	v_cmp_eq_u32_e32 vcc_lo, 0, v85
	v_cndmask_b32_e32 v85, v90, v86, vcc_lo
; %bb.24:
	s_or_b32 exec_lo, exec_lo, s2
	v_and_b32_e32 v86, 0x7f800000, v89
	s_delay_alu instid0(VALU_DEP_1) | instskip(SKIP_1) | instid1(SALU_CYCLE_1)
	v_cmp_ne_u32_e32 vcc_lo, 0x7f800000, v86
                                        ; implicit-def: $vgpr86
	s_and_saveexec_b32 s2, vcc_lo
	s_xor_b32 s2, exec_lo, s2
; %bb.25:
	v_bfe_u32 v86, v89, 16, 1
	s_delay_alu instid0(VALU_DEP_1)
	v_add3_u32 v86, v89, v86, 0x7fff
                                        ; implicit-def: $vgpr89
; %bb.26:
	s_and_not1_saveexec_b32 s2, s2
; %bb.27:
	v_and_b32_e32 v86, 0xffff, v89
	v_or_b32_e32 v90, 0x10000, v89
	s_delay_alu instid0(VALU_DEP_2) | instskip(NEXT) | instid1(VALU_DEP_2)
	v_cmp_eq_u32_e32 vcc_lo, 0, v86
	v_cndmask_b32_e32 v86, v90, v89, vcc_lo
; %bb.28:
	s_or_b32 exec_lo, exec_lo, s2
	v_and_b32_e32 v89, 0x7f800000, v88
	s_delay_alu instid0(VALU_DEP_1) | instskip(SKIP_1) | instid1(SALU_CYCLE_1)
	v_cmp_ne_u32_e32 vcc_lo, 0x7f800000, v89
                                        ; implicit-def: $vgpr89
	s_and_saveexec_b32 s2, vcc_lo
	s_xor_b32 s2, exec_lo, s2
; %bb.29:
	v_bfe_u32 v89, v88, 16, 1
	s_delay_alu instid0(VALU_DEP_1)
	v_add3_u32 v89, v88, v89, 0x7fff
                                        ; implicit-def: $vgpr88
; %bb.30:
	s_and_not1_saveexec_b32 s2, s2
; %bb.31:
	v_and_b32_e32 v89, 0xffff, v88
	v_or_b32_e32 v90, 0x10000, v88
	s_delay_alu instid0(VALU_DEP_2) | instskip(NEXT) | instid1(VALU_DEP_2)
	v_cmp_eq_u32_e32 vcc_lo, 0, v89
	v_cndmask_b32_e32 v89, v90, v88, vcc_lo
; %bb.32:
	s_or_b32 exec_lo, exec_lo, s2
	v_and_b32_e32 v88, 0x7f800000, v87
	s_delay_alu instid0(VALU_DEP_1) | instskip(SKIP_1) | instid1(SALU_CYCLE_1)
	v_cmp_ne_u32_e32 vcc_lo, 0x7f800000, v88
                                        ; implicit-def: $vgpr88
	s_and_saveexec_b32 s2, vcc_lo
	s_xor_b32 s2, exec_lo, s2
; %bb.33:
	v_bfe_u32 v88, v87, 16, 1
	s_delay_alu instid0(VALU_DEP_1)
	v_add3_u32 v88, v87, v88, 0x7fff
                                        ; implicit-def: $vgpr87
; %bb.34:
	s_and_not1_saveexec_b32 s2, s2
; %bb.35:
	v_and_b32_e32 v88, 0xffff, v87
	v_or_b32_e32 v90, 0x10000, v87
	s_delay_alu instid0(VALU_DEP_2) | instskip(NEXT) | instid1(VALU_DEP_2)
	v_cmp_eq_u32_e32 vcc_lo, 0, v88
	v_cndmask_b32_e32 v88, v90, v87, vcc_lo
; %bb.36:
	s_or_b32 exec_lo, exec_lo, s2
	v_and_b32_e32 v87, 0x7f800000, v84
	s_delay_alu instid0(VALU_DEP_1) | instskip(SKIP_1) | instid1(SALU_CYCLE_1)
	v_cmp_ne_u32_e32 vcc_lo, 0x7f800000, v87
                                        ; implicit-def: $vgpr87
	s_and_saveexec_b32 s2, vcc_lo
	s_xor_b32 s2, exec_lo, s2
; %bb.37:
	v_bfe_u32 v87, v84, 16, 1
	s_delay_alu instid0(VALU_DEP_1)
	v_add3_u32 v87, v84, v87, 0x7fff
                                        ; implicit-def: $vgpr84
; %bb.38:
	s_and_not1_saveexec_b32 s2, s2
; %bb.39:
	v_and_b32_e32 v87, 0xffff, v84
	v_or_b32_e32 v90, 0x10000, v84
	s_delay_alu instid0(VALU_DEP_2) | instskip(NEXT) | instid1(VALU_DEP_2)
	v_cmp_eq_u32_e32 vcc_lo, 0, v87
	v_cndmask_b32_e32 v87, v90, v84, vcc_lo
; %bb.40:
	s_or_b32 exec_lo, exec_lo, s2
	v_and_b32_e32 v84, 0x7f800000, v80
	s_delay_alu instid0(VALU_DEP_1) | instskip(SKIP_1) | instid1(SALU_CYCLE_1)
	v_cmp_ne_u32_e32 vcc_lo, 0x7f800000, v84
                                        ; implicit-def: $vgpr84
	s_and_saveexec_b32 s2, vcc_lo
	s_xor_b32 s2, exec_lo, s2
; %bb.41:
	v_bfe_u32 v84, v80, 16, 1
	s_delay_alu instid0(VALU_DEP_1)
	v_add3_u32 v84, v80, v84, 0x7fff
                                        ; implicit-def: $vgpr80
; %bb.42:
	s_and_not1_saveexec_b32 s2, s2
; %bb.43:
	v_and_b32_e32 v84, 0xffff, v80
	v_or_b32_e32 v90, 0x10000, v80
	s_delay_alu instid0(VALU_DEP_2) | instskip(NEXT) | instid1(VALU_DEP_2)
	v_cmp_eq_u32_e32 vcc_lo, 0, v84
	v_cndmask_b32_e32 v84, v90, v80, vcc_lo
; %bb.44:
	s_or_b32 exec_lo, exec_lo, s2
	s_load_b64 s[34:35], s[0:1], 0x94
	v_lshlrev_b32_e32 v91, 4, v74
	s_delay_alu instid0(VALU_DEP_2)
	v_perm_b32 v90, v84, v87, 0x7060302
	v_dual_mul_f32 v79, v82, v79 :: v_dual_lshlrev_b32 v80, 6, v65
	v_dual_mul_f32 v77, v82, v77 :: v_dual_lshlrev_b32 v92, 11, v66
	v_mul_f32_e32 v84, v82, v70
	v_perm_b32 v89, v88, v89, 0x7060302
	v_perm_b32 v88, v86, v85, 0x7060302
	;; [unrolled: 1-line block ×3, first 2 shown]
	v_mul_f32_e32 v70, v82, v81
	v_or3_b32 v76, v91, v92, v80
	v_dual_mul_f32 v78, v82, v78 :: v_dual_and_b32 v85, 0x7f800000, v84
	v_mul_f32_e32 v83, v82, v72
	v_mul_f32_e32 v81, v82, v71
	v_mul_f32_e32 v72, v82, v69
	s_mov_b32 s2, exec_lo
	ds_store_b128 v76, v[87:90]
                                        ; implicit-def: $vgpr69
	v_cmpx_ne_u32_e32 0x7f800000, v85
	s_xor_b32 s2, exec_lo, s2
; %bb.45:
	v_bfe_u32 v69, v84, 16, 1
	s_delay_alu instid0(VALU_DEP_1)
	v_add3_u32 v69, v84, v69, 0x7fff
                                        ; implicit-def: $vgpr84
; %bb.46:
	s_and_not1_saveexec_b32 s2, s2
; %bb.47:
	v_and_b32_e32 v69, 0xffff, v84
	v_or_b32_e32 v71, 0x10000, v84
	s_delay_alu instid0(VALU_DEP_2) | instskip(NEXT) | instid1(VALU_DEP_2)
	v_cmp_eq_u32_e32 vcc_lo, 0, v69
	v_cndmask_b32_e32 v69, v71, v84, vcc_lo
; %bb.48:
	s_or_b32 exec_lo, exec_lo, s2
	v_and_b32_e32 v71, 0x7f800000, v72
	s_delay_alu instid0(VALU_DEP_1) | instskip(SKIP_1) | instid1(SALU_CYCLE_1)
	v_cmp_ne_u32_e32 vcc_lo, 0x7f800000, v71
                                        ; implicit-def: $vgpr71
	s_and_saveexec_b32 s2, vcc_lo
	s_xor_b32 s2, exec_lo, s2
; %bb.49:
	v_bfe_u32 v71, v72, 16, 1
	s_delay_alu instid0(VALU_DEP_1)
	v_add3_u32 v71, v72, v71, 0x7fff
                                        ; implicit-def: $vgpr72
; %bb.50:
	s_and_not1_saveexec_b32 s2, s2
; %bb.51:
	v_and_b32_e32 v71, 0xffff, v72
	v_or_b32_e32 v82, 0x10000, v72
	s_delay_alu instid0(VALU_DEP_2) | instskip(NEXT) | instid1(VALU_DEP_2)
	v_cmp_eq_u32_e32 vcc_lo, 0, v71
	v_cndmask_b32_e32 v71, v82, v72, vcc_lo
; %bb.52:
	s_or_b32 exec_lo, exec_lo, s2
	v_and_b32_e32 v72, 0x7f800000, v81
	s_delay_alu instid0(VALU_DEP_1) | instskip(SKIP_1) | instid1(SALU_CYCLE_1)
	v_cmp_ne_u32_e32 vcc_lo, 0x7f800000, v72
                                        ; implicit-def: $vgpr72
	s_and_saveexec_b32 s2, vcc_lo
	s_xor_b32 s2, exec_lo, s2
; %bb.53:
	v_bfe_u32 v72, v81, 16, 1
	s_delay_alu instid0(VALU_DEP_1)
	v_add3_u32 v72, v81, v72, 0x7fff
                                        ; implicit-def: $vgpr81
; %bb.54:
	s_and_not1_saveexec_b32 s2, s2
; %bb.55:
	v_and_b32_e32 v72, 0xffff, v81
	v_or_b32_e32 v82, 0x10000, v81
	s_delay_alu instid0(VALU_DEP_2) | instskip(NEXT) | instid1(VALU_DEP_2)
	v_cmp_eq_u32_e32 vcc_lo, 0, v72
	v_cndmask_b32_e32 v72, v82, v81, vcc_lo
; %bb.56:
	s_or_b32 exec_lo, exec_lo, s2
	v_and_b32_e32 v81, 0x7f800000, v83
	s_delay_alu instid0(VALU_DEP_1) | instskip(SKIP_1) | instid1(SALU_CYCLE_1)
	v_cmp_ne_u32_e32 vcc_lo, 0x7f800000, v81
                                        ; implicit-def: $vgpr81
	s_and_saveexec_b32 s2, vcc_lo
	s_xor_b32 s2, exec_lo, s2
; %bb.57:
	v_bfe_u32 v81, v83, 16, 1
	s_delay_alu instid0(VALU_DEP_1)
	v_add3_u32 v81, v83, v81, 0x7fff
                                        ; implicit-def: $vgpr83
; %bb.58:
	s_and_not1_saveexec_b32 s2, s2
; %bb.59:
	v_and_b32_e32 v81, 0xffff, v83
	v_or_b32_e32 v82, 0x10000, v83
	s_delay_alu instid0(VALU_DEP_2) | instskip(NEXT) | instid1(VALU_DEP_2)
	v_cmp_eq_u32_e32 vcc_lo, 0, v81
	v_cndmask_b32_e32 v81, v82, v83, vcc_lo
; %bb.60:
	s_or_b32 exec_lo, exec_lo, s2
	v_and_b32_e32 v82, 0x7f800000, v77
	s_delay_alu instid0(VALU_DEP_1) | instskip(SKIP_1) | instid1(SALU_CYCLE_1)
	v_cmp_ne_u32_e32 vcc_lo, 0x7f800000, v82
                                        ; implicit-def: $vgpr82
	s_and_saveexec_b32 s2, vcc_lo
	s_xor_b32 s2, exec_lo, s2
; %bb.61:
	v_bfe_u32 v82, v77, 16, 1
	s_delay_alu instid0(VALU_DEP_1)
	v_add3_u32 v82, v77, v82, 0x7fff
                                        ; implicit-def: $vgpr77
; %bb.62:
	s_and_not1_saveexec_b32 s2, s2
; %bb.63:
	v_and_b32_e32 v82, 0xffff, v77
	v_or_b32_e32 v83, 0x10000, v77
	s_delay_alu instid0(VALU_DEP_2) | instskip(NEXT) | instid1(VALU_DEP_2)
	v_cmp_eq_u32_e32 vcc_lo, 0, v82
	v_cndmask_b32_e32 v82, v83, v77, vcc_lo
; %bb.64:
	s_or_b32 exec_lo, exec_lo, s2
	v_and_b32_e32 v77, 0x7f800000, v78
	s_delay_alu instid0(VALU_DEP_1) | instskip(SKIP_1) | instid1(SALU_CYCLE_1)
	v_cmp_ne_u32_e32 vcc_lo, 0x7f800000, v77
                                        ; implicit-def: $vgpr77
	s_and_saveexec_b32 s2, vcc_lo
	s_xor_b32 s2, exec_lo, s2
; %bb.65:
	v_bfe_u32 v77, v78, 16, 1
	s_delay_alu instid0(VALU_DEP_1)
	v_add3_u32 v77, v78, v77, 0x7fff
                                        ; implicit-def: $vgpr78
; %bb.66:
	s_and_not1_saveexec_b32 s2, s2
; %bb.67:
	v_and_b32_e32 v77, 0xffff, v78
	v_or_b32_e32 v83, 0x10000, v78
	s_delay_alu instid0(VALU_DEP_2) | instskip(NEXT) | instid1(VALU_DEP_2)
	v_cmp_eq_u32_e32 vcc_lo, 0, v77
	v_cndmask_b32_e32 v77, v83, v78, vcc_lo
; %bb.68:
	s_or_b32 exec_lo, exec_lo, s2
	v_and_b32_e32 v78, 0x7f800000, v79
	s_delay_alu instid0(VALU_DEP_1) | instskip(SKIP_1) | instid1(SALU_CYCLE_1)
	v_cmp_ne_u32_e32 vcc_lo, 0x7f800000, v78
                                        ; implicit-def: $vgpr78
	s_and_saveexec_b32 s2, vcc_lo
	s_xor_b32 s2, exec_lo, s2
; %bb.69:
	v_bfe_u32 v78, v79, 16, 1
	s_delay_alu instid0(VALU_DEP_1)
	v_add3_u32 v78, v79, v78, 0x7fff
                                        ; implicit-def: $vgpr79
; %bb.70:
	s_and_not1_saveexec_b32 s2, s2
; %bb.71:
	v_and_b32_e32 v78, 0xffff, v79
	v_or_b32_e32 v83, 0x10000, v79
	s_delay_alu instid0(VALU_DEP_2) | instskip(NEXT) | instid1(VALU_DEP_2)
	v_cmp_eq_u32_e32 vcc_lo, 0, v78
	v_cndmask_b32_e32 v78, v83, v79, vcc_lo
; %bb.72:
	s_or_b32 exec_lo, exec_lo, s2
	v_and_b32_e32 v79, 0x7f800000, v70
	s_delay_alu instid0(VALU_DEP_1) | instskip(SKIP_1) | instid1(SALU_CYCLE_1)
	v_cmp_ne_u32_e32 vcc_lo, 0x7f800000, v79
                                        ; implicit-def: $vgpr79
	s_and_saveexec_b32 s2, vcc_lo
	s_xor_b32 s2, exec_lo, s2
; %bb.73:
	v_bfe_u32 v79, v70, 16, 1
	s_delay_alu instid0(VALU_DEP_1)
	v_add3_u32 v79, v70, v79, 0x7fff
                                        ; implicit-def: $vgpr70
; %bb.74:
	s_and_not1_saveexec_b32 s2, s2
; %bb.75:
	v_and_b32_e32 v79, 0xffff, v70
	v_or_b32_e32 v83, 0x10000, v70
	s_delay_alu instid0(VALU_DEP_2) | instskip(NEXT) | instid1(VALU_DEP_2)
	v_cmp_eq_u32_e32 vcc_lo, 0, v79
	v_cndmask_b32_e32 v79, v83, v70, vcc_lo
; %bb.76:
	s_or_b32 exec_lo, exec_lo, s2
	s_delay_alu instid0(VALU_DEP_1)
	v_perm_b32 v86, v79, v78, 0x7060302
	v_perm_b32 v85, v77, v82, 0x7060302
	;; [unrolled: 1-line block ×4, first 2 shown]
	v_lshl_or_b32 v82, v66, 11, v80
	ds_store_b128 v76, v[83:86] offset:1024
	s_waitcnt lgkmcnt(0)
	s_barrier
	buffer_gl0_inv
	ds_load_b128 v[69:72], v82
	ds_load_b128 v[83:86], v82 offset:16
	s_waitcnt lgkmcnt(1)
	v_lshrrev_b32_e32 v66, 16, v69
	s_waitcnt lgkmcnt(0)
	v_lshrrev_b32_e32 v91, 16, v83
	v_lshlrev_b32_e32 v78, 2, v74
	v_lshrrev_b32_e32 v95, 16, v70
	v_lshrrev_b32_e32 v98, 16, v84
	;; [unrolled: 1-line block ×4, first 2 shown]
	v_cmp_eq_u32_e32 vcc_lo, 1, v78
	v_lshrrev_b32_e32 v97, 16, v72
	v_lshrrev_b32_e32 v100, 16, v86
	v_cndmask_b32_e32 v87, v83, v91, vcc_lo
	v_or_b32_e32 v79, 1, v78
	v_cndmask_b32_e32 v81, v69, v66, vcc_lo
	v_cmp_eq_u32_e64 s3, 2, v78
	v_cmp_eq_u32_e64 s6, 3, v78
	;; [unrolled: 1-line block ×5, first 2 shown]
	v_cndmask_b32_e64 v81, v81, v70, s3
	v_cndmask_b32_e64 v87, v87, v84, s3
	v_cmp_eq_u32_e64 s7, 3, v79
	v_cndmask_b32_e64 v88, v69, v66, s2
	v_or_b32_e32 v77, 2, v78
	v_cndmask_b32_e64 v81, v81, v95, s6
	v_cndmask_b32_e64 v87, v87, v98, s6
	;; [unrolled: 1-line block ×4, first 2 shown]
	v_cmp_eq_u32_e64 s9, 5, v78
	v_cndmask_b32_e64 v81, v81, v71, s8
	v_cndmask_b32_e64 v87, v87, v85, s8
	v_cmp_eq_u32_e64 s10, 4, v79
	v_cndmask_b32_e64 v88, v88, v95, s7
	v_cmp_eq_u32_e64 s4, 1, v77
	v_cndmask_b32_e64 v89, v89, v84, s5
	v_cndmask_b32_e64 v81, v81, v96, s9
	v_cmp_eq_u32_e64 s11, 6, v78
	v_cndmask_b32_e64 v88, v88, v71, s10
	v_cndmask_b32_e64 v87, v87, v99, s9
	v_cmp_eq_u32_e64 s12, 5, v79
	v_cndmask_b32_e64 v90, v69, v66, s4
	v_cndmask_b32_e64 v89, v89, v98, s7
	v_cndmask_b32_e64 v81, v81, v72, s11
	v_cmp_eq_u32_e64 s13, 7, v78
	v_cndmask_b32_e64 v88, v88, v96, s12
	v_cndmask_b32_e64 v87, v87, v86, s11
	v_cmp_eq_u32_e64 s15, 6, v79
	v_cmp_eq_u32_e64 s16, 2, v77
	v_cndmask_b32_e64 v89, v89, v85, s10
	v_cndmask_b32_e64 v101, v81, v97, s13
	;; [unrolled: 1-line block ×6, first 2 shown]
	v_cmp_eq_u32_e64 s17, 7, v79
	v_cmp_eq_u32_e64 s18, 3, v77
	;; [unrolled: 1-line block ×4, first 2 shown]
	v_cndmask_b32_e64 v87, v87, v84, s16
	v_cndmask_b32_e64 v103, v88, v97, s17
	;; [unrolled: 1-line block ×4, first 2 shown]
	v_or_b32_e32 v81, 3, v78
	v_cndmask_b32_e64 v93, v87, v98, s18
	v_cmp_eq_u32_e64 s23, 6, v77
	v_cndmask_b32_e64 v104, v88, v86, s15
	v_cndmask_b32_e64 v92, v89, v71, s19
	v_cmp_eq_u32_e64 s20, 1, v81
	ds_load_b128 v[87:90], v82 offset:1024
	v_cmp_eq_u32_e64 s22, 2, v81
	v_cmp_eq_u32_e64 s24, 3, v81
	v_cndmask_b32_e64 v105, v92, v96, s21
	v_cndmask_b32_e64 v66, v69, v66, s20
	;; [unrolled: 1-line block ×4, first 2 shown]
	ds_load_b128 v[91:94], v82 offset:1040
	v_cmp_eq_u32_e64 s25, 4, v81
	v_cndmask_b32_e64 v66, v66, v70, s22
	v_cmp_eq_u32_e64 s26, 7, v77
	v_cndmask_b32_e64 v70, v83, v84, s22
	v_cndmask_b32_e64 v84, v105, v72, s23
	v_cmp_eq_u32_e64 s27, 5, v81
	v_cndmask_b32_e64 v66, v66, v95, s24
	v_cmp_eq_u32_e64 s28, 6, v81
	v_cndmask_b32_e64 v70, v70, v98, s24
	v_cndmask_b32_e64 v69, v69, v99, s21
	;; [unrolled: 1-line block ×4, first 2 shown]
	s_waitcnt lgkmcnt(1)
	v_lshrrev_b32_e32 v95, 16, v87
	v_cndmask_b32_e64 v70, v70, v85, s25
	v_cndmask_b32_e64 v71, v84, v97, s26
	;; [unrolled: 1-line block ×4, first 2 shown]
	v_cndmask_b32_e32 v84, v87, v95, vcc_lo
	v_cndmask_b32_e64 v70, v70, v99, s27
	s_waitcnt lgkmcnt(0)
	v_lshrrev_b32_e32 v85, 16, v91
	v_lshrrev_b32_e32 v96, 16, v88
	v_cndmask_b32_e64 v98, v87, v95, s2
	v_cndmask_b32_e64 v84, v84, v88, s3
	;; [unrolled: 1-line block ×3, first 2 shown]
	v_cndmask_b32_e32 v99, v91, v85, vcc_lo
	v_cmp_eq_u32_e32 vcc_lo, 7, v81
	v_cndmask_b32_e64 v66, v66, v72, s28
	v_cndmask_b32_e64 v72, v84, v96, s6
	;; [unrolled: 1-line block ×3, first 2 shown]
	v_lshrrev_b32_e32 v98, 16, v92
	v_cndmask_b32_e32 v70, v70, v100, vcc_lo
	v_cndmask_b32_e64 v86, v99, v92, s3
	v_cndmask_b32_e64 v69, v69, v100, s26
	v_lshrrev_b32_e32 v100, 16, v93
	v_cndmask_b32_e64 v72, v72, v89, s8
	v_lshrrev_b32_e32 v99, 16, v89
	v_cndmask_b32_e64 v86, v86, v98, s6
	v_perm_b32 v71, v69, v71, 0x5040100
	v_cndmask_b32_e64 v84, v84, v96, s7
	s_delay_alu instid0(VALU_DEP_3) | instskip(NEXT) | instid1(VALU_DEP_2)
	v_cndmask_b32_e64 v86, v86, v93, s8
	v_cndmask_b32_e64 v84, v84, v89, s10
	s_delay_alu instid0(VALU_DEP_2) | instskip(NEXT) | instid1(VALU_DEP_1)
	v_cndmask_b32_e64 v86, v86, v100, s9
	v_cndmask_b32_e64 v69, v86, v94, s11
	;; [unrolled: 1-line block ×5, first 2 shown]
	s_delay_alu instid0(VALU_DEP_3) | instskip(NEXT) | instid1(VALU_DEP_3)
	v_cndmask_b32_e64 v86, v86, v88, s16
	v_cndmask_b32_e64 v87, v87, v88, s22
	s_delay_alu instid0(VALU_DEP_3) | instskip(NEXT) | instid1(VALU_DEP_3)
	v_cndmask_b32_e64 v88, v95, v92, s22
	v_cndmask_b32_e64 v86, v86, v96, s18
	;; [unrolled: 3-line block ×7, first 2 shown]
	s_delay_alu instid0(VALU_DEP_3) | instskip(SKIP_2) | instid1(VALU_DEP_2)
	v_cndmask_b32_e64 v88, v88, v94, s28
	v_cndmask_b32_e32 v66, v66, v97, vcc_lo
	v_cndmask_b32_e64 v97, v72, v99, s9
	v_perm_b32 v72, v70, v66, 0x5040100
	v_perm_b32 v70, v83, v103, 0x5040100
	v_cndmask_b32_e64 v103, v91, v85, s4
	v_cndmask_b32_e64 v85, v91, v85, s2
	;; [unrolled: 1-line block ×4, first 2 shown]
	v_lshrrev_b32_e32 v97, 16, v90
	v_cndmask_b32_e64 v91, v103, v92, s16
	v_cndmask_b32_e64 v85, v85, v92, s5
	;; [unrolled: 1-line block ×3, first 2 shown]
	s_mov_b32 s2, exec_lo
	v_cndmask_b32_e64 v83, v84, v97, s13
	v_cndmask_b32_e64 v91, v91, v98, s18
	;; [unrolled: 1-line block ×3, first 2 shown]
	v_lshrrev_b32_e32 v84, 16, v94
	v_cndmask_b32_e64 v66, v66, v97, s17
	v_cndmask_b32_e64 v90, v86, v97, s26
	;; [unrolled: 1-line block ×4, first 2 shown]
	v_dual_cndmask_b32 v86, v87, v97 :: v_dual_cndmask_b32 v87, v88, v84
	v_cndmask_b32_e64 v91, v69, v84, s13
	s_delay_alu instid0(VALU_DEP_4) | instskip(NEXT) | instid1(VALU_DEP_4)
	v_cndmask_b32_e64 v89, v89, v100, s21
	v_cndmask_b32_e64 v85, v85, v100, s12
	v_perm_b32 v69, v102, v101, 0x5040100
	v_perm_b32 v86, v87, v86, 0x5040100
	;; [unrolled: 1-line block ×3, first 2 shown]
	v_cndmask_b32_e64 v89, v89, v94, s23
	v_cndmask_b32_e64 v85, v85, v94, s15
	s_mul_i32 s7, s35, 12
	s_delay_alu instid0(VALU_DEP_2) | instskip(NEXT) | instid1(VALU_DEP_2)
	v_cndmask_b32_e64 v88, v89, v84, s26
	v_cndmask_b32_e64 v89, v85, v84, s17
	s_delay_alu instid0(VALU_DEP_2) | instskip(NEXT) | instid1(VALU_DEP_2)
	v_perm_b32 v85, v88, v90, 0x5040100
	v_perm_b32 v84, v89, v66, 0x5040100
	ds_store_b128 v76, v[69:72]
	ds_store_b128 v76, v[83:86] offset:1024
	v_cmpx_gt_u32_e32 12, v0
	s_cbranch_execz .LBB1833_78
; %bb.77:
	s_mul_i32 s3, s7, s30
	s_load_b128 s[8:11], s[0:1], 0x58
	v_add3_u32 v69, s3, s29, v65
	s_delay_alu instid0(VALU_DEP_1) | instskip(NEXT) | instid1(VALU_DEP_1)
	v_mad_u64_u32 v[65:66], null, v69, s34, s[14:15]
	v_ashrrev_i32_e32 v66, 31, v65
	s_delay_alu instid0(VALU_DEP_1) | instskip(SKIP_1) | instid1(VALU_DEP_1)
	v_lshlrev_b64 v[65:66], 2, v[65:66]
	s_waitcnt lgkmcnt(0)
	v_add_co_u32 v69, vcc_lo, s10, v65
	s_delay_alu instid0(VALU_DEP_2)
	v_add_co_ci_u32_e32 v70, vcc_lo, s11, v66, vcc_lo
	v_add_co_u32 v65, vcc_lo, s8, v65
	v_add_co_ci_u32_e32 v66, vcc_lo, s9, v66, vcc_lo
	global_store_b32 v[69:70], v67, off
	global_store_b32 v[65:66], v68, off
.LBB1833_78:
	s_or_b32 exec_lo, exec_lo, s2
	s_waitcnt lgkmcnt(0)
	s_waitcnt_vscnt null, 0x0
	s_barrier
	buffer_gl0_inv
	ds_load_b128 v[83:86], v80
	ds_load_b128 v[87:90], v80 offset:16
	ds_load_b128 v[95:98], v80 offset:2064
	;; [unrolled: 1-line block ×3, first 2 shown]
	v_mov_b32_e32 v65, 0
	ds_load_b128 v[103:106], v80 offset:4112
	ds_load_b128 v[99:102], v80 offset:4096
	;; [unrolled: 1-line block ×4, first 2 shown]
	v_mov_b32_e32 v66, v65
	v_mov_b32_e32 v67, v65
	;; [unrolled: 1-line block ×7, first 2 shown]
	s_waitcnt lgkmcnt(6)
	s_delay_alu instid0(VALU_DEP_1)
	v_wmma_f32_16x16x16_bf16 v[65:72], v[49:56], v[83:90], v[65:72]
	ds_load_b128 v[53:56], v80 offset:8208
	ds_load_b128 v[49:52], v80 offset:8192
	s_waitcnt lgkmcnt(6)
	v_wmma_f32_16x16x16_bf16 v[65:72], v[41:48], v[91:98], v[65:72]
	ds_load_b128 v[45:48], v80 offset:10256
	ds_load_b128 v[41:44], v80 offset:10240
	s_waitcnt lgkmcnt(6)
	;; [unrolled: 4-line block ×4, first 2 shown]
	v_wmma_f32_16x16x16_bf16 v[65:72], v[1:8], v[49:56], v[65:72]
	s_waitcnt lgkmcnt(4)
	s_delay_alu instid0(VALU_DEP_1) | instskip(SKIP_1) | instid1(VALU_DEP_1)
	v_wmma_f32_16x16x16_bf16 v[65:72], v[9:16], v[41:48], v[65:72]
	s_waitcnt lgkmcnt(2)
	v_wmma_f32_16x16x16_bf16 v[65:72], v[17:24], v[33:40], v[65:72]
	s_waitcnt lgkmcnt(0)
	s_delay_alu instid0(VALU_DEP_1) | instskip(NEXT) | instid1(VALU_DEP_1)
	v_wmma_f32_16x16x16_bf16 v[65:72], v[57:64], v[25:32], v[65:72]
	v_and_b32_e32 v1, 0x7f800000, v65
	s_delay_alu instid0(VALU_DEP_1) | instskip(SKIP_1) | instid1(SALU_CYCLE_1)
	v_cmp_ne_u32_e32 vcc_lo, 0x7f800000, v1
                                        ; implicit-def: $vgpr1
	s_and_saveexec_b32 s2, vcc_lo
	s_xor_b32 s2, exec_lo, s2
; %bb.79:
	v_bfe_u32 v1, v65, 16, 1
	s_delay_alu instid0(VALU_DEP_1)
	v_add3_u32 v1, v65, v1, 0x7fff
; %bb.80:
	s_and_not1_saveexec_b32 s2, s2
; %bb.81:
	v_and_b32_e32 v1, 0xffff, v65
	v_or_b32_e32 v2, 0x10000, v65
	s_delay_alu instid0(VALU_DEP_2) | instskip(NEXT) | instid1(VALU_DEP_2)
	v_cmp_eq_u32_e32 vcc_lo, 0, v1
	v_cndmask_b32_e32 v1, v2, v65, vcc_lo
; %bb.82:
	s_or_b32 exec_lo, exec_lo, s2
	v_and_b32_e32 v2, 0x7f800000, v66
	s_delay_alu instid0(VALU_DEP_1) | instskip(SKIP_1) | instid1(SALU_CYCLE_1)
	v_cmp_ne_u32_e32 vcc_lo, 0x7f800000, v2
                                        ; implicit-def: $vgpr2
	s_and_saveexec_b32 s2, vcc_lo
	s_xor_b32 s2, exec_lo, s2
; %bb.83:
	v_bfe_u32 v2, v66, 16, 1
	s_delay_alu instid0(VALU_DEP_1)
	v_add3_u32 v2, v66, v2, 0x7fff
; %bb.84:
	s_and_not1_saveexec_b32 s2, s2
; %bb.85:
	v_and_b32_e32 v2, 0xffff, v66
	v_or_b32_e32 v3, 0x10000, v66
	s_delay_alu instid0(VALU_DEP_2) | instskip(NEXT) | instid1(VALU_DEP_2)
	v_cmp_eq_u32_e32 vcc_lo, 0, v2
	v_cndmask_b32_e32 v2, v3, v66, vcc_lo
; %bb.86:
	s_or_b32 exec_lo, exec_lo, s2
	v_and_b32_e32 v3, 0x7f800000, v67
	s_delay_alu instid0(VALU_DEP_1) | instskip(SKIP_1) | instid1(SALU_CYCLE_1)
	v_cmp_ne_u32_e32 vcc_lo, 0x7f800000, v3
                                        ; implicit-def: $vgpr3
	s_and_saveexec_b32 s2, vcc_lo
	s_xor_b32 s2, exec_lo, s2
; %bb.87:
	v_bfe_u32 v3, v67, 16, 1
	s_delay_alu instid0(VALU_DEP_1)
	v_add3_u32 v3, v67, v3, 0x7fff
; %bb.88:
	s_and_not1_saveexec_b32 s2, s2
; %bb.89:
	v_and_b32_e32 v3, 0xffff, v67
	v_or_b32_e32 v4, 0x10000, v67
	s_delay_alu instid0(VALU_DEP_2) | instskip(NEXT) | instid1(VALU_DEP_2)
	v_cmp_eq_u32_e32 vcc_lo, 0, v3
	v_cndmask_b32_e32 v3, v4, v67, vcc_lo
; %bb.90:
	s_or_b32 exec_lo, exec_lo, s2
	v_and_b32_e32 v4, 0x7f800000, v68
	s_delay_alu instid0(VALU_DEP_1) | instskip(SKIP_1) | instid1(SALU_CYCLE_1)
	v_cmp_ne_u32_e32 vcc_lo, 0x7f800000, v4
                                        ; implicit-def: $vgpr4
	s_and_saveexec_b32 s2, vcc_lo
	s_xor_b32 s2, exec_lo, s2
; %bb.91:
	v_bfe_u32 v4, v68, 16, 1
	s_delay_alu instid0(VALU_DEP_1)
	v_add3_u32 v4, v68, v4, 0x7fff
; %bb.92:
	s_and_not1_saveexec_b32 s2, s2
; %bb.93:
	v_and_b32_e32 v4, 0xffff, v68
	v_or_b32_e32 v5, 0x10000, v68
	s_delay_alu instid0(VALU_DEP_2) | instskip(NEXT) | instid1(VALU_DEP_2)
	v_cmp_eq_u32_e32 vcc_lo, 0, v4
	v_cndmask_b32_e32 v4, v5, v68, vcc_lo
; %bb.94:
	s_or_b32 exec_lo, exec_lo, s2
	v_and_b32_e32 v5, 0x7f800000, v69
	s_delay_alu instid0(VALU_DEP_1) | instskip(SKIP_1) | instid1(SALU_CYCLE_1)
	v_cmp_ne_u32_e32 vcc_lo, 0x7f800000, v5
                                        ; implicit-def: $vgpr5
	s_and_saveexec_b32 s2, vcc_lo
	s_xor_b32 s2, exec_lo, s2
; %bb.95:
	v_bfe_u32 v5, v69, 16, 1
	s_delay_alu instid0(VALU_DEP_1)
	v_add3_u32 v5, v69, v5, 0x7fff
; %bb.96:
	s_and_not1_saveexec_b32 s2, s2
; %bb.97:
	v_and_b32_e32 v5, 0xffff, v69
	v_or_b32_e32 v6, 0x10000, v69
	s_delay_alu instid0(VALU_DEP_2) | instskip(NEXT) | instid1(VALU_DEP_2)
	v_cmp_eq_u32_e32 vcc_lo, 0, v5
	v_cndmask_b32_e32 v5, v6, v69, vcc_lo
; %bb.98:
	s_or_b32 exec_lo, exec_lo, s2
	v_and_b32_e32 v6, 0x7f800000, v70
	s_delay_alu instid0(VALU_DEP_1) | instskip(SKIP_1) | instid1(SALU_CYCLE_1)
	v_cmp_ne_u32_e32 vcc_lo, 0x7f800000, v6
                                        ; implicit-def: $vgpr6
	s_and_saveexec_b32 s2, vcc_lo
	s_xor_b32 s2, exec_lo, s2
; %bb.99:
	v_bfe_u32 v6, v70, 16, 1
	s_delay_alu instid0(VALU_DEP_1)
	v_add3_u32 v6, v70, v6, 0x7fff
; %bb.100:
	s_and_not1_saveexec_b32 s2, s2
; %bb.101:
	v_and_b32_e32 v6, 0xffff, v70
	v_or_b32_e32 v7, 0x10000, v70
	s_delay_alu instid0(VALU_DEP_2) | instskip(NEXT) | instid1(VALU_DEP_2)
	v_cmp_eq_u32_e32 vcc_lo, 0, v6
	v_cndmask_b32_e32 v6, v7, v70, vcc_lo
; %bb.102:
	s_or_b32 exec_lo, exec_lo, s2
	v_and_b32_e32 v7, 0x7f800000, v71
	s_delay_alu instid0(VALU_DEP_1) | instskip(SKIP_1) | instid1(SALU_CYCLE_1)
	v_cmp_ne_u32_e32 vcc_lo, 0x7f800000, v7
                                        ; implicit-def: $vgpr7
	s_and_saveexec_b32 s2, vcc_lo
	s_xor_b32 s2, exec_lo, s2
; %bb.103:
	v_bfe_u32 v7, v71, 16, 1
	s_delay_alu instid0(VALU_DEP_1)
	v_add3_u32 v7, v71, v7, 0x7fff
; %bb.104:
	s_and_not1_saveexec_b32 s2, s2
; %bb.105:
	v_and_b32_e32 v7, 0xffff, v71
	v_or_b32_e32 v8, 0x10000, v71
	s_delay_alu instid0(VALU_DEP_2) | instskip(NEXT) | instid1(VALU_DEP_2)
	v_cmp_eq_u32_e32 vcc_lo, 0, v7
	v_cndmask_b32_e32 v7, v8, v71, vcc_lo
; %bb.106:
	s_or_b32 exec_lo, exec_lo, s2
	v_and_b32_e32 v8, 0x7f800000, v72
	s_delay_alu instid0(VALU_DEP_1) | instskip(SKIP_1) | instid1(SALU_CYCLE_1)
	v_cmp_ne_u32_e32 vcc_lo, 0x7f800000, v8
                                        ; implicit-def: $vgpr8
	s_and_saveexec_b32 s2, vcc_lo
	s_xor_b32 s2, exec_lo, s2
; %bb.107:
	v_bfe_u32 v8, v72, 16, 1
	s_delay_alu instid0(VALU_DEP_1)
	v_add3_u32 v8, v72, v8, 0x7fff
                                        ; implicit-def: $vgpr65_vgpr66_vgpr67_vgpr68_vgpr69_vgpr70_vgpr71_vgpr72
; %bb.108:
	s_and_not1_saveexec_b32 s2, s2
; %bb.109:
	v_and_b32_e32 v8, 0xffff, v72
	v_or_b32_e32 v9, 0x10000, v72
	s_delay_alu instid0(VALU_DEP_2) | instskip(NEXT) | instid1(VALU_DEP_2)
	v_cmp_eq_u32_e32 vcc_lo, 0, v8
	v_cndmask_b32_e32 v8, v9, v72, vcc_lo
; %bb.110:
	s_or_b32 exec_lo, exec_lo, s2
	s_delay_alu instid0(VALU_DEP_1)
	v_perm_b32 v7, v8, v7, 0x7060302
	v_perm_b32 v6, v6, v5, 0x7060302
	;; [unrolled: 1-line block ×4, first 2 shown]
	s_barrier
	buffer_gl0_inv
	v_cmp_eq_u32_e32 vcc_lo, 1, v78
	ds_store_b128 v76, v[4:7]
	s_waitcnt lgkmcnt(0)
	s_barrier
	buffer_gl0_inv
	ds_load_b128 v[1:4], v82
	ds_load_b128 v[5:8], v82 offset:16
	v_cmp_eq_u32_e64 s2, 1, v79
	v_cmp_eq_u32_e64 s3, 2, v78
	;; [unrolled: 1-line block ×5, first 2 shown]
	s_waitcnt lgkmcnt(1)
	v_lshrrev_b32_e32 v9, 16, v1
	s_waitcnt lgkmcnt(0)
	v_lshrrev_b32_e32 v13, 16, v5
	v_lshrrev_b32_e32 v10, 16, v2
	v_lshrrev_b32_e32 v14, 16, v6
	v_lshrrev_b32_e32 v11, 16, v3
	v_cndmask_b32_e64 v19, v1, v9, s2
	v_cndmask_b32_e32 v18, v5, v13, vcc_lo
	v_cndmask_b32_e64 v20, v5, v13, s2
	v_cndmask_b32_e32 v17, v1, v9, vcc_lo
	v_cmp_eq_u32_e32 vcc_lo, 2, v79
	v_lshrrev_b32_e32 v15, 16, v7
	v_cmp_eq_u32_e64 s2, 1, v77
	v_lshrrev_b32_e32 v12, 16, v4
	v_lshrrev_b32_e32 v16, 16, v8
	v_cndmask_b32_e32 v20, v20, v6, vcc_lo
	v_cndmask_b32_e64 v17, v17, v2, s3
	v_cndmask_b32_e32 v19, v19, v2, vcc_lo
	v_cndmask_b32_e64 v18, v18, v6, s3
	v_cmp_eq_u32_e32 vcc_lo, 4, v78
	v_cmp_eq_u32_e64 s3, 3, v79
	v_cndmask_b32_e64 v17, v17, v10, s4
	v_cndmask_b32_e64 v21, v1, v9, s2
	;; [unrolled: 1-line block ×5, first 2 shown]
	v_cndmask_b32_e32 v17, v17, v3, vcc_lo
	v_cndmask_b32_e64 v20, v20, v14, s3
	v_cndmask_b32_e32 v18, v18, v7, vcc_lo
	v_cmp_eq_u32_e32 vcc_lo, 4, v79
	v_cmp_eq_u32_e64 s3, 5, v79
	v_cmp_eq_u32_e64 s2, 2, v81
	v_cndmask_b32_e64 v21, v21, v2, s6
	v_cmp_eq_u32_e64 s4, 5, v78
	v_cndmask_b32_e32 v19, v19, v3, vcc_lo
	v_cndmask_b32_e32 v20, v20, v7, vcc_lo
	v_cmp_eq_u32_e32 vcc_lo, 6, v79
	s_delay_alu instid0(VALU_DEP_4) | instskip(NEXT) | instid1(VALU_DEP_4)
	v_cndmask_b32_e64 v17, v17, v11, s4
	v_cndmask_b32_e64 v19, v19, v11, s3
	s_delay_alu instid0(VALU_DEP_4) | instskip(SKIP_1) | instid1(VALU_DEP_3)
	v_cndmask_b32_e64 v20, v20, v15, s3
	v_cmp_eq_u32_e64 s3, 1, v81
	v_cndmask_b32_e32 v19, v19, v4, vcc_lo
	v_cndmask_b32_e64 v18, v18, v15, s4
	s_delay_alu instid0(VALU_DEP_3)
	v_cndmask_b32_e64 v1, v1, v9, s3
	v_cndmask_b32_e64 v5, v5, v13, s3
	v_cmp_eq_u32_e64 s3, 3, v77
	v_cndmask_b32_e64 v13, v22, v6, s6
	v_cmp_eq_u32_e64 s6, 3, v81
	v_cndmask_b32_e64 v1, v1, v2, s2
	v_cndmask_b32_e64 v2, v5, v6, s2
	;; [unrolled: 1-line block ×3, first 2 shown]
	v_cmp_eq_u32_e64 s2, 4, v77
	v_cndmask_b32_e64 v6, v13, v14, s3
	v_cndmask_b32_e64 v1, v1, v10, s6
	v_cmp_eq_u32_e64 s3, 4, v81
	v_cndmask_b32_e64 v2, v2, v14, s6
	v_cndmask_b32_e64 v5, v9, v3, s2
	;; [unrolled: 3-line block ×3, first 2 shown]
	v_cndmask_b32_e64 v2, v2, v7, s3
	v_cmp_eq_u32_e64 s2, 5, v81
	v_cmp_eq_u32_e64 s4, 6, v78
	v_cndmask_b32_e64 v5, v5, v11, s6
	v_cmp_eq_u32_e64 s3, 6, v77
	v_cndmask_b32_e64 v3, v6, v15, s6
	v_cndmask_b32_e64 v1, v1, v11, s2
	v_cmp_eq_u32_e64 s6, 6, v81
	v_cndmask_b32_e64 v2, v2, v15, s2
	v_cndmask_b32_e64 v17, v17, v4, s4
	v_cndmask_b32_e64 v18, v18, v8, s4
	v_cmp_eq_u32_e64 s4, 7, v78
	v_cndmask_b32_e64 v5, v5, v4, s3
	;; [unrolled: 4-line block ×3, first 2 shown]
	v_cmp_eq_u32_e64 s3, 7, v77
	v_cndmask_b32_e32 v4, v20, v8, vcc_lo
	v_cndmask_b32_e64 v17, v17, v12, s4
	v_cndmask_b32_e64 v19, v19, v12, s5
	;; [unrolled: 1-line block ×8, first 2 shown]
	s_mov_b32 s2, exec_lo
	v_perm_b32 v4, v2, v1, 0x5040100
	v_perm_b32 v3, v3, v5, 0x5040100
	;; [unrolled: 1-line block ×4, first 2 shown]
	ds_store_b128 v76, v[1:4]
	s_waitcnt lgkmcnt(0)
	s_barrier
	buffer_gl0_inv
	v_cmpx_gt_u32_e32 32, v0
	s_cbranch_execz .LBB1833_2
; %bb.111:
	s_load_b64 s[0:1], s[0:1], 0x68
	v_lshlrev_b32_e32 v0, 10, v0
	s_lshl_b32 s4, s34, 7
	v_or_b32_e32 v3, s29, v74
	s_mul_i32 s2, s4, s30
	v_lshlrev_b32_e32 v1, 4, v75
	s_mul_i32 s2, s2, s7
	v_lshlrev_b32_e32 v2, 6, v74
	v_and_b32_e32 v0, 0x3800, v0
	s_ashr_i32 s3, s2, 31
	v_mul_lo_u32 v4, v3, s4
	s_lshl_b64 s[2:3], s[2:3], 1
	s_delay_alu instid0(VALU_DEP_2) | instskip(NEXT) | instid1(VALU_DEP_2)
	v_or3_b32 v16, v0, v1, v2
	v_ashrrev_i32_e32 v5, 31, v4
	ds_load_b128 v[0:3], v16
	s_waitcnt lgkmcnt(0)
	s_add_u32 s2, s0, s2
	s_addc_u32 s3, s1, s3
	s_lshl_b32 s0, s14, 7
	v_lshlrev_b64 v[5:6], 1, v[4:5]
	s_ashr_i32 s1, s0, 31
	s_delay_alu instid0(SALU_CYCLE_1) | instskip(NEXT) | instid1(SALU_CYCLE_1)
	s_lshl_b64 s[0:1], s[0:1], 1
	s_add_u32 s0, s2, s0
	s_addc_u32 s1, s3, s1
	s_lshl_b32 s2, s34, 8
	v_add_co_u32 v30, s0, s0, v73
	v_add_nc_u32_e32 v8, s2, v4
	v_add_co_ci_u32_e64 v31, null, s1, 0, s0
	s_delay_alu instid0(VALU_DEP_3) | instskip(NEXT) | instid1(VALU_DEP_3)
	v_add_co_u32 v12, vcc_lo, v30, v5
	v_add_nc_u32_e32 v10, s2, v8
	v_ashrrev_i32_e32 v9, 31, v8
	s_delay_alu instid0(VALU_DEP_4)
	v_add_co_ci_u32_e32 v13, vcc_lo, v31, v6, vcc_lo
	ds_load_b128 v[4:7], v16 offset:128
	v_ashrrev_i32_e32 v11, 31, v10
	v_lshlrev_b64 v[8:9], 1, v[8:9]
	v_add_nc_u32_e32 v14, s2, v10
	global_store_b128 v[12:13], v[0:3], off
	v_lshlrev_b64 v[0:1], 1, v[10:11]
	v_ashrrev_i32_e32 v15, 31, v14
	v_add_co_u32 v22, vcc_lo, v30, v8
	v_add_nc_u32_e32 v20, s2, v14
	v_add_co_ci_u32_e32 v23, vcc_lo, v31, v9, vcc_lo
	v_add_co_u32 v26, vcc_lo, v30, v0
	v_lshlrev_b64 v[24:25], 1, v[14:15]
	v_add_co_ci_u32_e32 v27, vcc_lo, v31, v1, vcc_lo
	ds_load_b128 v[0:3], v16 offset:256
	ds_load_b128 v[8:11], v16 offset:384
	ds_load_b128 v[12:15], v16 offset:512
	ds_load_b128 v[16:19], v16 offset:640
	v_add_nc_u32_e32 v28, s2, v20
	v_ashrrev_i32_e32 v21, 31, v20
	v_add_co_u32 v24, vcc_lo, v30, v24
	v_add_co_ci_u32_e32 v25, vcc_lo, v31, v25, vcc_lo
	s_delay_alu instid0(VALU_DEP_4) | instskip(NEXT) | instid1(VALU_DEP_4)
	v_ashrrev_i32_e32 v29, 31, v28
	v_lshlrev_b64 v[20:21], 1, v[20:21]
	s_delay_alu instid0(VALU_DEP_2) | instskip(NEXT) | instid1(VALU_DEP_2)
	v_lshlrev_b64 v[28:29], 1, v[28:29]
	v_add_co_u32 v20, vcc_lo, v30, v20
	s_delay_alu instid0(VALU_DEP_3) | instskip(NEXT) | instid1(VALU_DEP_3)
	v_add_co_ci_u32_e32 v21, vcc_lo, v31, v21, vcc_lo
	v_add_co_u32 v28, vcc_lo, v30, v28
	s_delay_alu instid0(VALU_DEP_4)
	v_add_co_ci_u32_e32 v29, vcc_lo, v31, v29, vcc_lo
	s_waitcnt lgkmcnt(4)
	global_store_b128 v[22:23], v[4:7], off
	s_waitcnt lgkmcnt(3)
	global_store_b128 v[26:27], v[0:3], off
	;; [unrolled: 2-line block ×5, first 2 shown]
	s_nop 0
	s_sendmsg sendmsg(MSG_DEALLOC_VGPRS)
	s_endpgm
	.section	.rodata,"a",@progbits
	.p2align	6, 0x0
	.amdhsa_kernel _Z39paged_attention_ll4mi_QKV_mfma16_kernelI14__hip_bfloat16hLN4vllm18Fp8KVCacheDataTypeE1ES0_Li16ELi128ELi256ELb1ELi12EL8MFMAType0EEvPKT_PKT0_S9_ifPKiSB_SB_iPKfiiiPfSE_PS4_PT2_iSD_SD_
		.amdhsa_group_segment_fixed_size 17472
		.amdhsa_private_segment_fixed_size 0
		.amdhsa_kernarg_size 400
		.amdhsa_user_sgpr_count 13
		.amdhsa_user_sgpr_dispatch_ptr 0
		.amdhsa_user_sgpr_queue_ptr 0
		.amdhsa_user_sgpr_kernarg_segment_ptr 1
		.amdhsa_user_sgpr_dispatch_id 0
		.amdhsa_user_sgpr_private_segment_size 0
		.amdhsa_wavefront_size32 1
		.amdhsa_uses_dynamic_stack 0
		.amdhsa_enable_private_segment 0
		.amdhsa_system_sgpr_workgroup_id_x 1
		.amdhsa_system_sgpr_workgroup_id_y 1
		.amdhsa_system_sgpr_workgroup_id_z 1
		.amdhsa_system_sgpr_workgroup_info 0
		.amdhsa_system_vgpr_workitem_id 0
		.amdhsa_next_free_vgpr 140
		.amdhsa_next_free_sgpr 36
		.amdhsa_reserve_vcc 1
		.amdhsa_float_round_mode_32 0
		.amdhsa_float_round_mode_16_64 0
		.amdhsa_float_denorm_mode_32 3
		.amdhsa_float_denorm_mode_16_64 3
		.amdhsa_dx10_clamp 1
		.amdhsa_ieee_mode 1
		.amdhsa_fp16_overflow 0
		.amdhsa_workgroup_processor_mode 1
		.amdhsa_memory_ordered 1
		.amdhsa_forward_progress 0
		.amdhsa_shared_vgpr_count 0
		.amdhsa_exception_fp_ieee_invalid_op 0
		.amdhsa_exception_fp_denorm_src 0
		.amdhsa_exception_fp_ieee_div_zero 0
		.amdhsa_exception_fp_ieee_overflow 0
		.amdhsa_exception_fp_ieee_underflow 0
		.amdhsa_exception_fp_ieee_inexact 0
		.amdhsa_exception_int_div_zero 0
	.end_amdhsa_kernel
	.section	.text._Z39paged_attention_ll4mi_QKV_mfma16_kernelI14__hip_bfloat16hLN4vllm18Fp8KVCacheDataTypeE1ES0_Li16ELi128ELi256ELb1ELi12EL8MFMAType0EEvPKT_PKT0_S9_ifPKiSB_SB_iPKfiiiPfSE_PS4_PT2_iSD_SD_,"axG",@progbits,_Z39paged_attention_ll4mi_QKV_mfma16_kernelI14__hip_bfloat16hLN4vllm18Fp8KVCacheDataTypeE1ES0_Li16ELi128ELi256ELb1ELi12EL8MFMAType0EEvPKT_PKT0_S9_ifPKiSB_SB_iPKfiiiPfSE_PS4_PT2_iSD_SD_,comdat
.Lfunc_end1833:
	.size	_Z39paged_attention_ll4mi_QKV_mfma16_kernelI14__hip_bfloat16hLN4vllm18Fp8KVCacheDataTypeE1ES0_Li16ELi128ELi256ELb1ELi12EL8MFMAType0EEvPKT_PKT0_S9_ifPKiSB_SB_iPKfiiiPfSE_PS4_PT2_iSD_SD_, .Lfunc_end1833-_Z39paged_attention_ll4mi_QKV_mfma16_kernelI14__hip_bfloat16hLN4vllm18Fp8KVCacheDataTypeE1ES0_Li16ELi128ELi256ELb1ELi12EL8MFMAType0EEvPKT_PKT0_S9_ifPKiSB_SB_iPKfiiiPfSE_PS4_PT2_iSD_SD_
                                        ; -- End function
	.section	.AMDGPU.csdata,"",@progbits
; Kernel info:
; codeLenInByte = 8956
; NumSgprs: 38
; NumVgprs: 140
; ScratchSize: 0
; MemoryBound: 0
; FloatMode: 240
; IeeeMode: 1
; LDSByteSize: 17472 bytes/workgroup (compile time only)
; SGPRBlocks: 4
; VGPRBlocks: 17
; NumSGPRsForWavesPerEU: 38
; NumVGPRsForWavesPerEU: 140
; Occupancy: 10
; WaveLimiterHint : 1
; COMPUTE_PGM_RSRC2:SCRATCH_EN: 0
; COMPUTE_PGM_RSRC2:USER_SGPR: 13
; COMPUTE_PGM_RSRC2:TRAP_HANDLER: 0
; COMPUTE_PGM_RSRC2:TGID_X_EN: 1
; COMPUTE_PGM_RSRC2:TGID_Y_EN: 1
; COMPUTE_PGM_RSRC2:TGID_Z_EN: 1
; COMPUTE_PGM_RSRC2:TIDIG_COMP_CNT: 0
	.section	.text._Z39paged_attention_ll4mi_QKV_mfma16_kernelI14__hip_bfloat16hLN4vllm18Fp8KVCacheDataTypeE1ES0_Li16ELi128ELi256ELb1ELi13EL8MFMAType0EEvPKT_PKT0_S9_ifPKiSB_SB_iPKfiiiPfSE_PS4_PT2_iSD_SD_,"axG",@progbits,_Z39paged_attention_ll4mi_QKV_mfma16_kernelI14__hip_bfloat16hLN4vllm18Fp8KVCacheDataTypeE1ES0_Li16ELi128ELi256ELb1ELi13EL8MFMAType0EEvPKT_PKT0_S9_ifPKiSB_SB_iPKfiiiPfSE_PS4_PT2_iSD_SD_,comdat
	.protected	_Z39paged_attention_ll4mi_QKV_mfma16_kernelI14__hip_bfloat16hLN4vllm18Fp8KVCacheDataTypeE1ES0_Li16ELi128ELi256ELb1ELi13EL8MFMAType0EEvPKT_PKT0_S9_ifPKiSB_SB_iPKfiiiPfSE_PS4_PT2_iSD_SD_ ; -- Begin function _Z39paged_attention_ll4mi_QKV_mfma16_kernelI14__hip_bfloat16hLN4vllm18Fp8KVCacheDataTypeE1ES0_Li16ELi128ELi256ELb1ELi13EL8MFMAType0EEvPKT_PKT0_S9_ifPKiSB_SB_iPKfiiiPfSE_PS4_PT2_iSD_SD_
	.globl	_Z39paged_attention_ll4mi_QKV_mfma16_kernelI14__hip_bfloat16hLN4vllm18Fp8KVCacheDataTypeE1ES0_Li16ELi128ELi256ELb1ELi13EL8MFMAType0EEvPKT_PKT0_S9_ifPKiSB_SB_iPKfiiiPfSE_PS4_PT2_iSD_SD_
	.p2align	8
	.type	_Z39paged_attention_ll4mi_QKV_mfma16_kernelI14__hip_bfloat16hLN4vllm18Fp8KVCacheDataTypeE1ES0_Li16ELi128ELi256ELb1ELi13EL8MFMAType0EEvPKT_PKT0_S9_ifPKiSB_SB_iPKfiiiPfSE_PS4_PT2_iSD_SD_,@function
_Z39paged_attention_ll4mi_QKV_mfma16_kernelI14__hip_bfloat16hLN4vllm18Fp8KVCacheDataTypeE1ES0_Li16ELi128ELi256ELb1ELi13EL8MFMAType0EEvPKT_PKT0_S9_ifPKiSB_SB_iPKfiiiPfSE_PS4_PT2_iSD_SD_: ; @_Z39paged_attention_ll4mi_QKV_mfma16_kernelI14__hip_bfloat16hLN4vllm18Fp8KVCacheDataTypeE1ES0_Li16ELi128ELi256ELb1ELi13EL8MFMAType0EEvPKT_PKT0_S9_ifPKiSB_SB_iPKfiiiPfSE_PS4_PT2_iSD_SD_
; %bb.0:
	s_load_b64 s[4:5], s[0:1], 0x30
	s_mov_b32 s30, s13
	s_waitcnt lgkmcnt(0)
	s_cmp_lg_u64 s[4:5], 0
	s_cselect_b32 s13, -1, 0
	s_ashr_i32 s31, s30, 31
	s_cmp_eq_u64 s[4:5], 0
	s_cbranch_scc1 .LBB1834_3
; %bb.1:
	s_lshl_b64 s[2:3], s[30:31], 2
	s_delay_alu instid0(SALU_CYCLE_1) | instskip(SKIP_4) | instid1(SALU_CYCLE_1)
	s_add_u32 s2, s4, s2
	s_addc_u32 s3, s5, s3
	s_load_b64 s[2:3], s[2:3], 0x0
	s_waitcnt lgkmcnt(0)
	s_sub_i32 s2, s3, s2
	s_cmp_eq_u32 s2, 1
	s_cselect_b32 s2, -1, 0
	s_delay_alu instid0(SALU_CYCLE_1)
	s_and_not1_b32 vcc_lo, exec_lo, s2
	s_cbranch_vccz .LBB1834_4
.LBB1834_2:
	s_nop 0
	s_sendmsg sendmsg(MSG_DEALLOC_VGPRS)
	s_endpgm
.LBB1834_3:
.LBB1834_4:
	s_load_b64 s[2:3], s[0:1], 0x28
	s_lshl_b64 s[6:7], s[30:31], 2
	s_waitcnt lgkmcnt(0)
	s_add_u32 s2, s2, s6
	s_addc_u32 s3, s3, s7
	s_lshl_b32 s12, s14, 8
	s_load_b32 s17, s[2:3], 0x0
	s_waitcnt lgkmcnt(0)
	s_cmp_ge_i32 s12, s17
	s_cbranch_scc1 .LBB1834_2
; %bb.5:
	s_clause 0x1
	s_load_b128 s[8:11], s[0:1], 0x8
	s_load_b64 s[2:3], s[0:1], 0x20
	s_and_not1_b32 vcc_lo, exec_lo, s13
	s_cbranch_vccnz .LBB1834_7
; %bb.6:
	s_add_u32 s4, s4, s6
	s_addc_u32 s5, s5, s7
	s_load_b32 s13, s[4:5], 0x0
	s_branch .LBB1834_8
.LBB1834_7:
	s_mov_b32 s13, s30
.LBB1834_8:
	s_load_b128 s[4:7], s[0:1], 0x48
	v_and_b32_e32 v65, 15, v0
	v_lshrrev_b32_e32 v66, 5, v0
	v_bfe_u32 v74, v0, 4, 1
	v_and_b32_e32 v67, 31, v0
	v_and_b32_e32 v75, 1, v0
	v_lshlrev_b32_e32 v2, 3, v65
	s_mul_i32 s31, s15, 13
	v_lshl_or_b32 v1, v66, 1, v74
	s_waitcnt lgkmcnt(0)
	s_mov_b32 s7, exec_lo
	v_lshlrev_b32_e32 v73, 1, v2
	s_delay_alu instid0(VALU_DEP_2)
	v_cmpx_gt_u32_e32 13, v1
	s_cbranch_execz .LBB1834_10
; %bb.9:
	s_load_b64 s[18:19], s[0:1], 0x0
	v_add_lshl_u32 v2, v1, s31, 7
	s_mul_hi_i32 s21, s13, s4
	s_mul_i32 s20, s13, s4
	v_lshlrev_b32_e32 v6, 10, v65
	s_lshl_b64 s[20:21], s[20:21], 1
	v_ashrrev_i32_e32 v3, 31, v2
	v_lshlrev_b32_e32 v1, 6, v1
	v_lshlrev_b32_e32 v7, 10, v75
	v_and_b32_e32 v6, 0x3800, v6
	s_delay_alu instid0(VALU_DEP_4) | instskip(NEXT) | instid1(VALU_DEP_2)
	v_lshlrev_b64 v[2:3], 1, v[2:3]
	v_or3_b32 v1, v6, v7, v1
	s_waitcnt lgkmcnt(0)
	s_add_u32 s4, s18, s20
	s_addc_u32 s13, s19, s21
	s_delay_alu instid0(VALU_DEP_2) | instskip(SKIP_1) | instid1(VALU_DEP_2)
	v_add_co_u32 v2, vcc_lo, s4, v2
	v_add_co_ci_u32_e32 v3, vcc_lo, s13, v3, vcc_lo
	v_add_co_u32 v2, vcc_lo, v2, v73
	s_delay_alu instid0(VALU_DEP_2)
	v_add_co_ci_u32_e32 v3, vcc_lo, 0, v3, vcc_lo
	global_load_b128 v[2:5], v[2:3], off
	s_waitcnt vmcnt(0)
	ds_store_b128 v1, v[2:5]
.LBB1834_10:
	s_or_b32 exec_lo, exec_lo, s7
	v_and_b32_e32 v1, 0xef, v0
	s_add_i32 s4, s17, 15
	s_clause 0x1
	s_load_b32 s7, s[0:1], 0x38
	s_load_b32 s18, s[0:1], 0x1c
	s_ashr_i32 s13, s4, 31
	v_add_nc_u32_e32 v1, s12, v1
	s_lshr_b32 s13, s13, 28
	s_waitcnt lgkmcnt(0)
	s_add_i32 s4, s4, s13
	s_barrier
	v_ashrrev_i32_e32 v2, 31, v1
	v_or_b32_e32 v3, 16, v1
	s_ashr_i32 s4, s4, 4
	v_cmp_gt_i32_e32 vcc_lo, s17, v1
	s_add_i32 s4, s4, -1
	v_lshrrev_b32_e32 v2, 28, v2
	buffer_gl0_inv
	s_mul_i32 s15, s15, s6
	v_add_nc_u32_e32 v4, v1, v2
	s_mul_i32 s20, s30, s7
	s_delay_alu instid0(SALU_CYCLE_1) | instskip(NEXT) | instid1(VALU_DEP_1)
	s_ashr_i32 s21, s20, 31
	v_ashrrev_i32_e32 v4, 4, v4
	v_add_nc_u32_e32 v2, v3, v2
	s_lshl_b64 s[20:21], s[20:21], 2
	s_delay_alu instid0(SALU_CYCLE_1) | instskip(NEXT) | instid1(VALU_DEP_2)
	s_add_u32 s13, s2, s20
	v_cndmask_b32_e32 v1, s4, v4, vcc_lo
	s_delay_alu instid0(VALU_DEP_2)
	v_ashrrev_i32_e32 v2, 4, v2
	v_cmp_gt_i32_e32 vcc_lo, s17, v3
	s_addc_u32 s16, s3, s21
	s_ashr_i32 s19, s15, 31
	s_add_u32 s26, s8, s15
	s_addc_u32 s27, s9, s19
	v_cndmask_b32_e32 v3, s4, v2, vcc_lo
	v_ashrrev_i32_e32 v2, 31, v1
	s_lshl_b32 s2, s14, 4
	s_delay_alu instid0(SALU_CYCLE_1) | instskip(NEXT) | instid1(VALU_DEP_2)
	s_ashr_i32 s3, s2, 31
	v_ashrrev_i32_e32 v4, 31, v3
	s_delay_alu instid0(VALU_DEP_2) | instskip(SKIP_1) | instid1(SALU_CYCLE_1)
	v_lshlrev_b64 v[1:2], 2, v[1:2]
	s_lshl_b64 s[2:3], s[2:3], 2
	s_add_u32 s2, s13, s2
	s_delay_alu instid0(VALU_DEP_2) | instskip(SKIP_1) | instid1(VALU_DEP_2)
	v_lshlrev_b64 v[3:4], 2, v[3:4]
	s_addc_u32 s3, s16, s3
	v_add_co_u32 v1, vcc_lo, s13, v1
	v_add_co_ci_u32_e32 v2, vcc_lo, s16, v2, vcc_lo
	s_delay_alu instid0(VALU_DEP_3) | instskip(NEXT) | instid1(VALU_DEP_4)
	v_add_co_u32 v3, vcc_lo, s13, v3
	v_add_co_ci_u32_e32 v4, vcc_lo, s16, v4, vcc_lo
	s_clause 0x1
	global_load_b32 v5, v[1:2], off
	global_load_b32 v3, v[3:4], off
	s_or_b32 s6, s12, 32
	v_cmp_gt_u32_e32 vcc_lo, 13, v65
	s_ashr_i32 s7, s6, 4
	s_cmp_lt_i32 s6, s17
	s_cselect_b32 s6, s7, s4
	s_delay_alu instid0(SALU_CYCLE_1) | instskip(NEXT) | instid1(SALU_CYCLE_1)
	s_ashr_i32 s7, s6, 31
	s_lshl_b64 s[6:7], s[6:7], 2
	s_delay_alu instid0(SALU_CYCLE_1) | instskip(SKIP_2) | instid1(SALU_CYCLE_1)
	s_add_u32 s6, s13, s6
	s_addc_u32 s7, s16, s7
	s_or_b32 s8, s12, 64
	s_ashr_i32 s9, s8, 4
	s_cmp_lt_i32 s8, s17
	s_cselect_b32 s8, s9, s4
	s_delay_alu instid0(SALU_CYCLE_1) | instskip(NEXT) | instid1(SALU_CYCLE_1)
	s_ashr_i32 s9, s8, 31
	s_lshl_b64 s[8:9], s[8:9], 2
	s_delay_alu instid0(SALU_CYCLE_1) | instskip(SKIP_2) | instid1(SALU_CYCLE_1)
	s_add_u32 s8, s13, s8
	s_addc_u32 s9, s16, s9
	s_or_b32 s20, s12, 0x60
	;; [unrolled: 10-line block ×4, first 2 shown]
	s_ashr_i32 s25, s24, 4
	s_cmp_lt_i32 s24, s17
	s_cselect_b32 s24, s25, s4
	s_delay_alu instid0(SALU_CYCLE_1) | instskip(NEXT) | instid1(SALU_CYCLE_1)
	s_ashr_i32 s25, s24, 31
	s_lshl_b64 s[24:25], s[24:25], 2
	s_delay_alu instid0(SALU_CYCLE_1)
	s_add_u32 s24, s13, s24
	s_addc_u32 s25, s16, s25
	s_clause 0x5
	s_load_b32 s28, s[2:3], 0x0
	s_load_b32 s29, s[6:7], 0x0
	;; [unrolled: 1-line block ×6, first 2 shown]
	s_mov_b32 s20, 0
	s_or_b32 s2, s12, 0xc0
	s_mov_b32 s21, s20
	s_mov_b32 s22, s20
	s_mov_b32 s23, s20
	s_mov_b32 s24, s20
	s_mov_b32 s25, s20
	v_lshlrev_b32_e32 v1, 4, v0
	s_ashr_i32 s3, s2, 4
	s_cmp_lt_i32 s2, s17
	s_cselect_b32 s2, s3, s4
	s_delay_alu instid0(VALU_DEP_1) | instskip(SKIP_1) | instid1(SALU_CYCLE_1)
	v_and_b32_e32 v1, 0xf0, v1
	s_ashr_i32 s3, s2, 31
	s_lshl_b64 s[2:3], s[2:3], 2
	s_delay_alu instid0(VALU_DEP_1) | instskip(NEXT) | instid1(VALU_DEP_1)
	v_add_co_u32 v1, s26, s26, v1
	v_add_co_ci_u32_e64 v2, null, s27, 0, s26
	s_add_u32 s2, s13, s2
	s_addc_u32 s3, s16, s3
	s_or_b32 s6, s12, 0xe0
	s_mov_b32 s27, s20
	s_ashr_i32 s7, s6, 4
	s_cmp_lt_i32 s6, s17
	s_mov_b32 s26, s20
	v_dual_mov_b32 v107, s27 :: v_dual_mov_b32 v100, s20
	s_cselect_b32 s6, s7, s4
	v_mov_b32_e32 v106, s26
	s_ashr_i32 s7, s6, 31
	v_mov_b32_e32 v104, s24
	s_lshl_b64 s[6:7], s[6:7], 2
	v_dual_mov_b32 v103, s23 :: v_dual_mov_b32 v102, s22
	v_mov_b32_e32 v101, s21
	s_waitcnt vmcnt(1)
	v_mad_i64_i32 v[33:34], null, v5, s5, v[1:2]
	s_waitcnt vmcnt(0)
	v_mad_i64_i32 v[35:36], null, v3, s5, v[1:2]
	s_clause 0xf
	global_load_b128 v[1:4], v[33:34], off
	global_load_b128 v[5:8], v[33:34], off offset:256
	global_load_b128 v[9:12], v[35:36], off
	global_load_b128 v[13:16], v[35:36], off offset:256
	global_load_b128 v[17:20], v[33:34], off offset:512
	;; [unrolled: 1-line block ×13, first 2 shown]
	v_add_nc_u32_e32 v33, -13, v65
	v_lshlrev_b32_e32 v34, 4, v65
	s_delay_alu instid0(VALU_DEP_2) | instskip(SKIP_1) | instid1(VALU_DEP_3)
	v_cndmask_b32_e32 v33, v33, v65, vcc_lo
	v_mov_b32_e32 v105, s25
	v_lshl_or_b32 v41, v66, 8, v34
	s_delay_alu instid0(VALU_DEP_3)
	v_lshlrev_b32_e32 v72, 6, v33
	ds_load_b128 v[33:36], v72
	ds_load_b128 v[37:40], v72 offset:1024
	ds_load_b128 v[108:111], v72 offset:2048
	;; [unrolled: 1-line block ×3, first 2 shown]
	s_load_b32 s4, s[2:3], 0x0
	s_add_u32 s2, s13, s6
	s_addc_u32 s3, s16, s7
	ds_load_b128 v[116:119], v72 offset:4096
	ds_load_b128 v[120:123], v72 offset:5120
	s_load_b32 s2, s[2:3], 0x0
	s_add_u32 s6, s10, s15
	s_addc_u32 s7, s11, s19
	v_add_co_u32 v68, s6, s6, v41
	s_delay_alu instid0(VALU_DEP_1) | instskip(SKIP_1) | instid1(VALU_DEP_1)
	v_add_co_ci_u32_e64 v69, null, s7, 0, s6
	s_waitcnt lgkmcnt(0)
	v_mad_i64_i32 v[41:42], null, s28, s5, v[68:69]
	v_mad_i64_i32 v[70:71], null, s8, s5, v[68:69]
	;; [unrolled: 1-line block ×7, first 2 shown]
	s_clause 0x3
	global_load_b128 v[49:52], v[41:42], off
	global_load_b128 v[53:56], v[41:42], off offset:16
	global_load_b128 v[41:44], v[45:46], off
	global_load_b128 v[45:48], v[45:46], off offset:16
	s_waitcnt vmcnt(18)
	v_wmma_f32_16x16x16_bf16 v[124:131], v[1:8], v[33:40], v[100:107]
	s_waitcnt vmcnt(16)
	v_wmma_f32_16x16x16_bf16 v[100:107], v[9:16], v[33:40], v[100:107]
	s_clause 0x1
	global_load_b128 v[33:36], v[70:71], off
	global_load_b128 v[37:40], v[70:71], off offset:16
	v_mad_i64_i32 v[70:71], null, s2, s5, v[68:69]
	s_waitcnt vmcnt(16)
	v_wmma_f32_16x16x16_bf16 v[124:131], v[17:24], v[108:115], v[124:131]
	s_waitcnt vmcnt(14)
	v_wmma_f32_16x16x16_bf16 v[100:107], v[25:32], v[108:115], v[100:107]
	s_clause 0x7
	global_load_b128 v[25:28], v[132:133], off
	global_load_b128 v[29:32], v[132:133], off offset:16
	global_load_b128 v[1:4], v[134:135], off
	global_load_b128 v[5:8], v[134:135], off offset:16
	;; [unrolled: 2-line block ×4, first 2 shown]
	s_waitcnt vmcnt(20)
	v_wmma_f32_16x16x16_bf16 v[124:131], v[57:64], v[116:123], v[124:131]
	s_clause 0x1
	global_load_b128 v[57:60], v[70:71], off
	global_load_b128 v[61:64], v[70:71], off offset:16
	s_waitcnt vmcnt(20)
	v_wmma_f32_16x16x16_bf16 v[100:107], v[76:83], v[116:123], v[100:107]
	ds_load_b128 v[76:79], v72 offset:6144
	ds_load_b128 v[80:83], v72 offset:7168
	v_and_b32_e32 v68, 0xe0, v0
	v_mbcnt_lo_u32_b32 v69, -1, 0
	s_waitcnt vmcnt(0) lgkmcnt(0)
	s_barrier
	buffer_gl0_inv
	v_add_nc_u32_e32 v68, s12, v68
	v_xor_b32_e32 v70, 16, v69
	s_delay_alu instid0(VALU_DEP_2) | instskip(NEXT) | instid1(VALU_DEP_2)
	v_or_b32_e32 v68, v68, v74
	v_cmp_gt_i32_e32 vcc_lo, 32, v70
	s_delay_alu instid0(VALU_DEP_2)
	v_or_b32_e32 v71, 4, v68
	v_or_b32_e32 v72, 6, v68
	v_cmp_gt_i32_e64 s2, s17, v68
	v_or_b32_e32 v108, 8, v68
	v_wmma_f32_16x16x16_bf16 v[124:131], v[84:91], v[76:83], v[124:131]
	v_cndmask_b32_e32 v69, v69, v70, vcc_lo
	v_or_b32_e32 v70, 2, v68
	v_wmma_f32_16x16x16_bf16 v[100:107], v[92:99], v[76:83], v[100:107]
	v_or_b32_e32 v109, 10, v68
	v_dual_mul_f32 v82, s18, v127 :: v_dual_mul_f32 v79, s18, v130
	v_dual_mul_f32 v92, s18, v125 :: v_dual_mul_f32 v93, s18, v124
	s_delay_alu instid0(VALU_DEP_4)
	v_mul_f32_e32 v98, s18, v103
	v_cmp_gt_i32_e32 vcc_lo, s17, v70
	v_or_b32_e32 v89, 22, v68
	v_dual_mul_f32 v83, s18, v126 :: v_dual_mul_f32 v96, s18, v105
	v_cndmask_b32_e64 v93, 0xff7fffff, v93, s2
	v_cndmask_b32_e32 v92, 0xff7fffff, v92, vcc_lo
	v_cmp_gt_i32_e64 s3, s17, v71
	v_cmp_gt_i32_e64 s4, s17, v72
	v_or_b32_e32 v84, 12, v68
	v_or_b32_e32 v85, 14, v68
	v_dual_mul_f32 v80, s18, v129 :: v_dual_mul_f32 v81, s18, v128
	v_mul_f32_e32 v94, s18, v107
	v_cndmask_b32_e64 v71, 0xff7fffff, v83, s3
	v_cndmask_b32_e64 v72, 0xff7fffff, v82, s4
	v_cmp_gt_i32_e64 s5, s17, v108
	v_cmp_gt_i32_e64 s6, s17, v109
	v_cmp_gt_i32_e64 s12, s17, v89
	v_lshlrev_b32_e32 v89, 2, v69
	v_max3_f32 v82, v93, 0xff7fffff, v92
	v_or_b32_e32 v86, 16, v68
	v_or_b32_e32 v87, 18, v68
	v_mul_f32_e32 v78, s18, v131
	v_cndmask_b32_e64 v81, 0xff7fffff, v81, s5
	v_cndmask_b32_e64 v80, 0xff7fffff, v80, s6
	v_max3_f32 v71, v82, v71, v72
	v_cmp_gt_i32_e64 s7, s17, v84
	v_cmp_gt_i32_e64 s8, s17, v85
	v_or_b32_e32 v88, 20, v68
	v_or_b32_e32 v90, 24, v68
	;; [unrolled: 1-line block ×5, first 2 shown]
	v_dual_mul_f32 v95, s18, v106 :: v_dual_mul_f32 v70, s18, v101
	v_dual_mul_f32 v99, s18, v102 :: v_dual_mul_f32 v68, s18, v100
	v_cndmask_b32_e64 v72, 0xff7fffff, v79, s7
	v_cndmask_b32_e64 v78, 0xff7fffff, v78, s8
	v_max3_f32 v71, v71, v81, v80
	v_cmp_gt_i32_e64 s9, s17, v86
	v_cmp_gt_i32_e64 s10, s17, v87
	;; [unrolled: 1-line block ×3, first 2 shown]
	v_mul_f32_e32 v97, s18, v104
	v_max3_f32 v71, v71, v72, v78
	v_cndmask_b32_e64 v68, 0xff7fffff, v68, s9
	v_cndmask_b32_e64 v70, 0xff7fffff, v70, s10
	;; [unrolled: 1-line block ×4, first 2 shown]
	v_cmp_gt_i32_e64 s13, s17, v90
	v_cmp_gt_i32_e64 s15, s17, v91
	v_max3_f32 v68, v71, v68, v70
	v_cmp_gt_i32_e64 s16, s17, v76
	v_cmp_gt_i32_e64 s17, s17, v77
	v_cndmask_b32_e64 v70, 0xff7fffff, v97, s13
	v_cndmask_b32_e64 v71, 0xff7fffff, v96, s15
	v_max3_f32 v68, v68, v72, v78
	v_cndmask_b32_e64 v72, 0xff7fffff, v95, s16
	v_cndmask_b32_e64 v76, 0xff7fffff, v94, s17
	s_delay_alu instid0(VALU_DEP_3) | instskip(NEXT) | instid1(VALU_DEP_1)
	v_max3_f32 v68, v68, v70, v71
	v_max3_f32 v68, v68, v72, v76
	ds_bpermute_b32 v69, v89, v68
	s_waitcnt lgkmcnt(0)
	v_max_f32_e32 v69, v69, v69
	s_delay_alu instid0(VALU_DEP_1) | instskip(NEXT) | instid1(VALU_DEP_1)
	v_max_f32_e32 v68, v68, v69
	v_fma_f32 v69, s18, v124, -v68
	v_fma_f32 v70, s18, v125, -v68
	;; [unrolled: 1-line block ×5, first 2 shown]
	s_delay_alu instid0(VALU_DEP_4) | instskip(NEXT) | instid1(VALU_DEP_4)
	v_dual_mul_f32 v69, 0x3fb8aa3b, v69 :: v_dual_mul_f32 v70, 0x3fb8aa3b, v70
	v_mul_f32_e32 v72, 0x3fb8aa3b, v72
	v_fma_f32 v78, s18, v130, -v68
	s_delay_alu instid0(VALU_DEP_4) | instskip(NEXT) | instid1(VALU_DEP_4)
	v_mul_f32_e32 v77, 0x3fb8aa3b, v76
	v_exp_f32_e32 v69, v69
	v_exp_f32_e32 v70, v70
	v_mul_f32_e32 v71, 0x3fb8aa3b, v71
	v_exp_f32_e32 v72, v72
	v_mul_f32_e32 v78, 0x3fb8aa3b, v78
	v_exp_f32_e32 v77, v77
	v_fma_f32 v81, s18, v105, -v68
	s_delay_alu instid0(VALU_DEP_2)
	v_exp_f32_e32 v78, v78
	v_cndmask_b32_e64 v80, 0, v69, s2
	v_cndmask_b32_e32 v76, 0, v70, vcc_lo
	v_exp_f32_e32 v71, v71
	v_fma_f32 v69, s18, v129, -v68
	v_cndmask_b32_e64 v85, 0, v72, s4
	v_add_f32_e32 v70, 0, v80
	s_delay_alu instid0(TRANS32_DEP_3)
	v_cndmask_b32_e64 v86, 0, v77, s5
	v_fma_f32 v77, s18, v101, -v68
	v_mul_f32_e32 v69, 0x3fb8aa3b, v69
	v_fma_f32 v72, s18, v100, -v68
	v_cndmask_b32_e64 v84, 0, v78, s7
	v_fma_f32 v78, s18, v103, -v68
	v_cndmask_b32_e64 v83, 0, v71, s3
	v_fma_f32 v71, s18, v131, -v68
	v_add_f32_e32 v70, v70, v76
	v_exp_f32_e32 v69, v69
	v_mul_f32_e32 v77, 0x3fb8aa3b, v77
	v_mul_f32_e32 v81, 0x3fb8aa3b, v81
	;; [unrolled: 1-line block ×3, first 2 shown]
	v_add_f32_e32 v70, v70, v83
	v_cmp_gt_u32_e64 s2, 16, v67
	v_exp_f32_e32 v77, v77
	v_exp_f32_e32 v81, v81
	;; [unrolled: 1-line block ×3, first 2 shown]
	v_cndmask_b32_e64 v87, 0, v69, s6
	v_add_f32_e32 v70, v70, v85
	s_delay_alu instid0(VALU_DEP_1) | instskip(SKIP_1) | instid1(VALU_DEP_2)
	v_dual_mul_f32 v72, 0x3fb8aa3b, v72 :: v_dual_add_f32 v69, v70, v86
	v_fma_f32 v70, s18, v102, -v68
	v_exp_f32_e32 v72, v72
	s_waitcnt_depctr 0xfff
	v_cndmask_b32_e64 v88, 0, v71, s8
	v_fma_f32 v71, s18, v104, -v68
	v_dual_add_f32 v69, v69, v87 :: v_dual_mul_f32 v70, 0x3fb8aa3b, v70
	s_delay_alu instid0(VALU_DEP_2) | instskip(NEXT) | instid1(VALU_DEP_2)
	v_dual_mul_f32 v78, 0x3fb8aa3b, v78 :: v_dual_mul_f32 v71, 0x3fb8aa3b, v71
	v_add_f32_e32 v69, v69, v84
	s_delay_alu instid0(VALU_DEP_3) | instskip(SKIP_1) | instid1(VALU_DEP_3)
	v_exp_f32_e32 v79, v70
	v_cndmask_b32_e64 v70, 0, v72, s9
	v_exp_f32_e32 v78, v78
	v_exp_f32_e32 v82, v71
	v_add_f32_e32 v72, v69, v88
	v_cndmask_b32_e64 v69, 0, v77, s10
	v_fma_f32 v77, s18, v106, -v68
	s_delay_alu instid0(VALU_DEP_3) | instskip(NEXT) | instid1(TRANS32_DEP_3)
	v_add_f32_e32 v72, v72, v70
	v_cndmask_b32_e64 v71, 0, v79, s11
	s_delay_alu instid0(VALU_DEP_3) | instskip(NEXT) | instid1(VALU_DEP_3)
	v_mul_f32_e32 v77, 0x3fb8aa3b, v77
	v_add_f32_e32 v79, v72, v69
	s_delay_alu instid0(TRANS32_DEP_2) | instskip(NEXT) | instid1(VALU_DEP_3)
	v_cndmask_b32_e64 v72, 0, v78, s12
	v_exp_f32_e32 v90, v77
	v_cndmask_b32_e64 v77, 0, v82, s13
	s_delay_alu instid0(VALU_DEP_3) | instskip(SKIP_1) | instid1(VALU_DEP_1)
	v_add_f32_e32 v78, v79, v71
	v_fma_f32 v79, s18, v107, -v68
	v_dual_add_f32 v82, v78, v72 :: v_dual_mul_f32 v79, 0x3fb8aa3b, v79
	v_cndmask_b32_e64 v78, 0, v81, s15
	s_delay_alu instid0(VALU_DEP_2) | instskip(NEXT) | instid1(VALU_DEP_3)
	v_add_f32_e32 v81, v82, v77
	v_exp_f32_e32 v82, v79
	s_delay_alu instid0(TRANS32_DEP_2) | instskip(NEXT) | instid1(VALU_DEP_2)
	v_cndmask_b32_e64 v79, 0, v90, s16
	v_add_f32_e32 v81, v81, v78
	s_delay_alu instid0(VALU_DEP_1) | instskip(SKIP_2) | instid1(VALU_DEP_1)
	v_add_f32_e32 v90, v81, v79
	s_waitcnt_depctr 0xfff
	v_cndmask_b32_e64 v81, 0, v82, s17
	v_add_f32_e32 v82, v90, v81
	ds_bpermute_b32 v89, v89, v82
	s_and_saveexec_b32 s3, s2
	s_cbranch_execz .LBB1834_12
; %bb.11:
	v_mul_u32_u24_e32 v67, 0x44, v66
	s_delay_alu instid0(VALU_DEP_1) | instskip(SKIP_1) | instid1(VALU_DEP_1)
	v_lshl_add_u32 v67, v65, 2, v67
	s_waitcnt lgkmcnt(0)
	v_dual_add_f32 v82, v82, v89 :: v_dual_add_nc_u32 v67, 0x4000, v67
	ds_store_2addr_b32 v67, v68, v82 offset1:136
.LBB1834_12:
	s_or_b32 exec_lo, exec_lo, s3
	v_lshlrev_b32_e32 v67, 2, v65
	s_waitcnt lgkmcnt(0)
	s_barrier
	buffer_gl0_inv
	v_cmp_eq_u32_e32 vcc_lo, 1, v66
	v_add_nc_u32_e32 v82, 0x4000, v67
	v_cmp_eq_u32_e64 s3, 2, v66
	v_cmp_eq_u32_e64 s5, 7, v66
	ds_load_2addr_b32 v[89:90], v82 offset1:17
	ds_load_2addr_b32 v[91:92], v82 offset0:34 offset1:51
	ds_load_2addr_b32 v[93:94], v82 offset0:68 offset1:85
	ds_load_2addr_b32 v[95:96], v82 offset0:102 offset1:119
	ds_load_2addr_b32 v[97:98], v82 offset0:136 offset1:153
	s_waitcnt lgkmcnt(4)
	v_max3_f32 v67, v89, 0xff7fffff, v90
	s_waitcnt lgkmcnt(3)
	s_delay_alu instid0(VALU_DEP_1) | instskip(SKIP_1) | instid1(VALU_DEP_1)
	v_max3_f32 v67, v67, v91, v92
	s_waitcnt lgkmcnt(2)
	v_max3_f32 v67, v67, v93, v94
	s_waitcnt lgkmcnt(1)
	s_delay_alu instid0(VALU_DEP_1) | instskip(NEXT) | instid1(VALU_DEP_1)
	v_max3_f32 v67, v67, v95, v96
	v_sub_f32_e32 v93, v93, v67
	s_delay_alu instid0(VALU_DEP_1) | instskip(NEXT) | instid1(VALU_DEP_1)
	v_dual_sub_f32 v68, v89, v67 :: v_dual_mul_f32 v103, 0x3fb8aa3b, v93
	v_mul_f32_e32 v68, 0x3fb8aa3b, v68
	s_delay_alu instid0(VALU_DEP_1)
	v_exp_f32_e32 v100, v68
	v_sub_f32_e32 v68, v92, v67
	v_sub_f32_e32 v99, v90, v67
	ds_load_2addr_b32 v[89:90], v82 offset0:170 offset1:187
	v_dual_mul_f32 v102, 0x3fb8aa3b, v68 :: v_dual_mul_f32 v99, 0x3fb8aa3b, v99
	s_waitcnt lgkmcnt(1)
	v_fma_f32 v68, v100, v97, 0
	s_delay_alu instid0(VALU_DEP_2) | instskip(NEXT) | instid1(VALU_DEP_2)
	v_exp_f32_e32 v102, v102
	v_exp_f32_e32 v99, v99
	s_waitcnt_depctr 0xfff
	v_fmac_f32_e32 v68, v99, v98
	v_sub_f32_e32 v91, v91, v67
	s_delay_alu instid0(VALU_DEP_1)
	v_mul_f32_e32 v101, 0x3fb8aa3b, v91
	ds_load_2addr_b32 v[91:92], v82 offset0:204 offset1:221
	v_sub_f32_e32 v97, v94, v67
	ds_load_2addr_b32 v[93:94], v82 offset0:238 offset1:255
	s_waitcnt lgkmcnt(0)
	v_exp_f32_e32 v101, v101
	s_barrier
	buffer_gl0_inv
	v_dual_fmac_f32 v68, v101, v89 :: v_dual_sub_f32 v89, v96, v67
	v_dual_sub_f32 v82, v95, v67 :: v_dual_mul_f32 v95, 0x3fb8aa3b, v97
	v_exp_f32_e32 v97, v103
	s_delay_alu instid0(VALU_DEP_2) | instskip(NEXT) | instid1(VALU_DEP_2)
	v_dual_fmac_f32 v68, v102, v90 :: v_dual_mul_f32 v89, 0x3fb8aa3b, v89
	v_mul_f32_e32 v82, 0x3fb8aa3b, v82
	s_delay_alu instid0(VALU_DEP_3) | instskip(NEXT) | instid1(VALU_DEP_2)
	v_exp_f32_e32 v95, v95
	v_exp_f32_e32 v89, v89
	s_delay_alu instid0(VALU_DEP_1)
	v_exp_f32_e32 v82, v82
	v_fmac_f32_e32 v68, v97, v91
	s_delay_alu instid0(TRANS32_DEP_3) | instid1(VALU_DEP_1)
	v_fmac_f32_e32 v68, v95, v92
	s_waitcnt_depctr 0xfff
	v_fmac_f32_e32 v68, v82, v93
	s_delay_alu instid0(VALU_DEP_1) | instskip(NEXT) | instid1(VALU_DEP_1)
	v_fmac_f32_e32 v68, v89, v94
	v_add_f32_e32 v90, 0x358637bd, v68
	s_delay_alu instid0(VALU_DEP_1) | instskip(NEXT) | instid1(VALU_DEP_1)
	v_div_scale_f32 v91, null, v90, v90, 1.0
	v_rcp_f32_e32 v92, v91
	s_waitcnt_depctr 0xfff
	v_fma_f32 v93, -v91, v92, 1.0
	s_delay_alu instid0(VALU_DEP_1) | instskip(SKIP_1) | instid1(VALU_DEP_2)
	v_dual_fmac_f32 v92, v93, v92 :: v_dual_cndmask_b32 v93, v100, v99
	v_cmp_eq_u32_e32 vcc_lo, 3, v66
	v_cndmask_b32_e64 v93, v93, v101, s3
	v_cmp_eq_u32_e64 s3, 4, v66
	s_delay_alu instid0(VALU_DEP_2) | instskip(SKIP_1) | instid1(VALU_DEP_2)
	v_cndmask_b32_e32 v93, v93, v102, vcc_lo
	v_cmp_eq_u32_e32 vcc_lo, 5, v66
	v_cndmask_b32_e64 v93, v93, v97, s3
	v_cmp_eq_u32_e64 s3, 6, v66
	s_delay_alu instid0(VALU_DEP_2) | instskip(SKIP_1) | instid1(VALU_DEP_1)
	v_cndmask_b32_e32 v93, v93, v95, vcc_lo
	v_div_scale_f32 v94, s4, 1.0, v90, 1.0
	s_mov_b32 vcc_lo, s4
	s_delay_alu instid0(VALU_DEP_2) | instskip(NEXT) | instid1(VALU_DEP_2)
	v_cndmask_b32_e64 v82, v93, v82, s3
	v_mul_f32_e32 v96, v94, v92
	s_mov_b32 s3, exec_lo
	s_delay_alu instid0(VALU_DEP_2) | instskip(NEXT) | instid1(VALU_DEP_2)
	v_cndmask_b32_e64 v82, v82, v89, s5
	v_fma_f32 v98, -v91, v96, v94
	s_delay_alu instid0(VALU_DEP_1) | instskip(NEXT) | instid1(VALU_DEP_1)
	v_fmac_f32_e32 v96, v98, v92
	v_fma_f32 v91, -v91, v96, v94
	s_delay_alu instid0(VALU_DEP_1) | instskip(NEXT) | instid1(VALU_DEP_1)
	v_div_fmas_f32 v91, v91, v92, v96
	v_div_fixup_f32 v90, v91, v90, 1.0
	s_delay_alu instid0(VALU_DEP_1) | instskip(NEXT) | instid1(VALU_DEP_1)
	v_mul_f32_e32 v82, v82, v90
	v_mul_f32_e32 v87, v82, v87
	;; [unrolled: 1-line block ×7, first 2 shown]
	v_dual_mul_f32 v86, v82, v83 :: v_dual_and_b32 v91, 0x7f800000, v90
	v_mul_f32_e32 v85, v82, v76
                                        ; implicit-def: $vgpr76
	s_delay_alu instid0(VALU_DEP_2)
	v_cmpx_ne_u32_e32 0x7f800000, v91
	s_xor_b32 s3, exec_lo, s3
; %bb.13:
	v_bfe_u32 v76, v90, 16, 1
	s_delay_alu instid0(VALU_DEP_1)
	v_add3_u32 v76, v90, v76, 0x7fff
                                        ; implicit-def: $vgpr90
; %bb.14:
	s_and_not1_saveexec_b32 s3, s3
; %bb.15:
	v_and_b32_e32 v76, 0xffff, v90
	v_or_b32_e32 v83, 0x10000, v90
	s_delay_alu instid0(VALU_DEP_2) | instskip(NEXT) | instid1(VALU_DEP_2)
	v_cmp_eq_u32_e32 vcc_lo, 0, v76
	v_cndmask_b32_e32 v76, v83, v90, vcc_lo
; %bb.16:
	s_or_b32 exec_lo, exec_lo, s3
	v_and_b32_e32 v83, 0x7f800000, v85
	s_delay_alu instid0(VALU_DEP_1) | instskip(SKIP_1) | instid1(SALU_CYCLE_1)
	v_cmp_ne_u32_e32 vcc_lo, 0x7f800000, v83
                                        ; implicit-def: $vgpr83
	s_and_saveexec_b32 s3, vcc_lo
	s_xor_b32 s3, exec_lo, s3
; %bb.17:
	v_bfe_u32 v83, v85, 16, 1
	s_delay_alu instid0(VALU_DEP_1)
	v_add3_u32 v83, v85, v83, 0x7fff
                                        ; implicit-def: $vgpr85
; %bb.18:
	s_and_not1_saveexec_b32 s3, s3
; %bb.19:
	v_and_b32_e32 v83, 0xffff, v85
	v_or_b32_e32 v90, 0x10000, v85
	s_delay_alu instid0(VALU_DEP_2) | instskip(NEXT) | instid1(VALU_DEP_2)
	v_cmp_eq_u32_e32 vcc_lo, 0, v83
	v_cndmask_b32_e32 v83, v90, v85, vcc_lo
; %bb.20:
	s_or_b32 exec_lo, exec_lo, s3
	v_and_b32_e32 v85, 0x7f800000, v86
	s_delay_alu instid0(VALU_DEP_1) | instskip(SKIP_1) | instid1(SALU_CYCLE_1)
	v_cmp_ne_u32_e32 vcc_lo, 0x7f800000, v85
                                        ; implicit-def: $vgpr85
	s_and_saveexec_b32 s3, vcc_lo
	s_xor_b32 s3, exec_lo, s3
; %bb.21:
	v_bfe_u32 v85, v86, 16, 1
	s_delay_alu instid0(VALU_DEP_1)
	v_add3_u32 v85, v86, v85, 0x7fff
                                        ; implicit-def: $vgpr86
; %bb.22:
	s_and_not1_saveexec_b32 s3, s3
; %bb.23:
	v_and_b32_e32 v85, 0xffff, v86
	v_or_b32_e32 v90, 0x10000, v86
	s_delay_alu instid0(VALU_DEP_2) | instskip(NEXT) | instid1(VALU_DEP_2)
	v_cmp_eq_u32_e32 vcc_lo, 0, v85
	v_cndmask_b32_e32 v85, v90, v86, vcc_lo
; %bb.24:
	s_or_b32 exec_lo, exec_lo, s3
	v_and_b32_e32 v86, 0x7f800000, v89
	s_delay_alu instid0(VALU_DEP_1) | instskip(SKIP_1) | instid1(SALU_CYCLE_1)
	v_cmp_ne_u32_e32 vcc_lo, 0x7f800000, v86
                                        ; implicit-def: $vgpr86
	s_and_saveexec_b32 s3, vcc_lo
	s_xor_b32 s3, exec_lo, s3
; %bb.25:
	v_bfe_u32 v86, v89, 16, 1
	s_delay_alu instid0(VALU_DEP_1)
	v_add3_u32 v86, v89, v86, 0x7fff
                                        ; implicit-def: $vgpr89
; %bb.26:
	s_and_not1_saveexec_b32 s3, s3
; %bb.27:
	v_and_b32_e32 v86, 0xffff, v89
	v_or_b32_e32 v90, 0x10000, v89
	s_delay_alu instid0(VALU_DEP_2) | instskip(NEXT) | instid1(VALU_DEP_2)
	v_cmp_eq_u32_e32 vcc_lo, 0, v86
	v_cndmask_b32_e32 v86, v90, v89, vcc_lo
; %bb.28:
	s_or_b32 exec_lo, exec_lo, s3
	v_and_b32_e32 v89, 0x7f800000, v88
	s_delay_alu instid0(VALU_DEP_1) | instskip(SKIP_1) | instid1(SALU_CYCLE_1)
	v_cmp_ne_u32_e32 vcc_lo, 0x7f800000, v89
                                        ; implicit-def: $vgpr89
	s_and_saveexec_b32 s3, vcc_lo
	s_xor_b32 s3, exec_lo, s3
; %bb.29:
	v_bfe_u32 v89, v88, 16, 1
	s_delay_alu instid0(VALU_DEP_1)
	v_add3_u32 v89, v88, v89, 0x7fff
                                        ; implicit-def: $vgpr88
; %bb.30:
	s_and_not1_saveexec_b32 s3, s3
; %bb.31:
	v_and_b32_e32 v89, 0xffff, v88
	v_or_b32_e32 v90, 0x10000, v88
	s_delay_alu instid0(VALU_DEP_2) | instskip(NEXT) | instid1(VALU_DEP_2)
	v_cmp_eq_u32_e32 vcc_lo, 0, v89
	v_cndmask_b32_e32 v89, v90, v88, vcc_lo
; %bb.32:
	s_or_b32 exec_lo, exec_lo, s3
	v_and_b32_e32 v88, 0x7f800000, v87
	s_delay_alu instid0(VALU_DEP_1) | instskip(SKIP_1) | instid1(SALU_CYCLE_1)
	v_cmp_ne_u32_e32 vcc_lo, 0x7f800000, v88
                                        ; implicit-def: $vgpr88
	s_and_saveexec_b32 s3, vcc_lo
	s_xor_b32 s3, exec_lo, s3
; %bb.33:
	v_bfe_u32 v88, v87, 16, 1
	s_delay_alu instid0(VALU_DEP_1)
	v_add3_u32 v88, v87, v88, 0x7fff
                                        ; implicit-def: $vgpr87
; %bb.34:
	s_and_not1_saveexec_b32 s3, s3
; %bb.35:
	v_and_b32_e32 v88, 0xffff, v87
	v_or_b32_e32 v90, 0x10000, v87
	s_delay_alu instid0(VALU_DEP_2) | instskip(NEXT) | instid1(VALU_DEP_2)
	v_cmp_eq_u32_e32 vcc_lo, 0, v88
	v_cndmask_b32_e32 v88, v90, v87, vcc_lo
; %bb.36:
	s_or_b32 exec_lo, exec_lo, s3
	v_and_b32_e32 v87, 0x7f800000, v84
	s_delay_alu instid0(VALU_DEP_1) | instskip(SKIP_1) | instid1(SALU_CYCLE_1)
	v_cmp_ne_u32_e32 vcc_lo, 0x7f800000, v87
                                        ; implicit-def: $vgpr87
	s_and_saveexec_b32 s3, vcc_lo
	s_xor_b32 s3, exec_lo, s3
; %bb.37:
	v_bfe_u32 v87, v84, 16, 1
	s_delay_alu instid0(VALU_DEP_1)
	v_add3_u32 v87, v84, v87, 0x7fff
                                        ; implicit-def: $vgpr84
; %bb.38:
	s_and_not1_saveexec_b32 s3, s3
; %bb.39:
	v_and_b32_e32 v87, 0xffff, v84
	v_or_b32_e32 v90, 0x10000, v84
	s_delay_alu instid0(VALU_DEP_2) | instskip(NEXT) | instid1(VALU_DEP_2)
	v_cmp_eq_u32_e32 vcc_lo, 0, v87
	v_cndmask_b32_e32 v87, v90, v84, vcc_lo
; %bb.40:
	s_or_b32 exec_lo, exec_lo, s3
	v_and_b32_e32 v84, 0x7f800000, v80
	s_delay_alu instid0(VALU_DEP_1) | instskip(SKIP_1) | instid1(SALU_CYCLE_1)
	v_cmp_ne_u32_e32 vcc_lo, 0x7f800000, v84
                                        ; implicit-def: $vgpr84
	s_and_saveexec_b32 s3, vcc_lo
	s_xor_b32 s3, exec_lo, s3
; %bb.41:
	v_bfe_u32 v84, v80, 16, 1
	s_delay_alu instid0(VALU_DEP_1)
	v_add3_u32 v84, v80, v84, 0x7fff
                                        ; implicit-def: $vgpr80
; %bb.42:
	s_and_not1_saveexec_b32 s3, s3
; %bb.43:
	v_and_b32_e32 v84, 0xffff, v80
	v_or_b32_e32 v90, 0x10000, v80
	s_delay_alu instid0(VALU_DEP_2) | instskip(NEXT) | instid1(VALU_DEP_2)
	v_cmp_eq_u32_e32 vcc_lo, 0, v84
	v_cndmask_b32_e32 v84, v90, v80, vcc_lo
; %bb.44:
	s_or_b32 exec_lo, exec_lo, s3
	s_load_b64 s[34:35], s[0:1], 0x94
	v_lshlrev_b32_e32 v91, 4, v74
	s_delay_alu instid0(VALU_DEP_2)
	v_perm_b32 v90, v84, v87, 0x7060302
	v_dual_mul_f32 v79, v82, v79 :: v_dual_lshlrev_b32 v80, 6, v65
	v_dual_mul_f32 v77, v82, v77 :: v_dual_lshlrev_b32 v92, 11, v66
	v_mul_f32_e32 v84, v82, v70
	v_perm_b32 v89, v88, v89, 0x7060302
	v_perm_b32 v88, v86, v85, 0x7060302
	v_perm_b32 v87, v83, v76, 0x7060302
	v_mul_f32_e32 v70, v82, v81
	v_or3_b32 v76, v91, v92, v80
	v_dual_mul_f32 v78, v82, v78 :: v_dual_and_b32 v85, 0x7f800000, v84
	v_mul_f32_e32 v83, v82, v72
	v_mul_f32_e32 v81, v82, v71
	;; [unrolled: 1-line block ×3, first 2 shown]
	s_mov_b32 s3, exec_lo
	ds_store_b128 v76, v[87:90]
                                        ; implicit-def: $vgpr69
	v_cmpx_ne_u32_e32 0x7f800000, v85
	s_xor_b32 s3, exec_lo, s3
; %bb.45:
	v_bfe_u32 v69, v84, 16, 1
	s_delay_alu instid0(VALU_DEP_1)
	v_add3_u32 v69, v84, v69, 0x7fff
                                        ; implicit-def: $vgpr84
; %bb.46:
	s_and_not1_saveexec_b32 s3, s3
; %bb.47:
	v_and_b32_e32 v69, 0xffff, v84
	v_or_b32_e32 v71, 0x10000, v84
	s_delay_alu instid0(VALU_DEP_2) | instskip(NEXT) | instid1(VALU_DEP_2)
	v_cmp_eq_u32_e32 vcc_lo, 0, v69
	v_cndmask_b32_e32 v69, v71, v84, vcc_lo
; %bb.48:
	s_or_b32 exec_lo, exec_lo, s3
	v_and_b32_e32 v71, 0x7f800000, v72
	s_delay_alu instid0(VALU_DEP_1) | instskip(SKIP_1) | instid1(SALU_CYCLE_1)
	v_cmp_ne_u32_e32 vcc_lo, 0x7f800000, v71
                                        ; implicit-def: $vgpr71
	s_and_saveexec_b32 s3, vcc_lo
	s_xor_b32 s3, exec_lo, s3
; %bb.49:
	v_bfe_u32 v71, v72, 16, 1
	s_delay_alu instid0(VALU_DEP_1)
	v_add3_u32 v71, v72, v71, 0x7fff
                                        ; implicit-def: $vgpr72
; %bb.50:
	s_and_not1_saveexec_b32 s3, s3
; %bb.51:
	v_and_b32_e32 v71, 0xffff, v72
	v_or_b32_e32 v82, 0x10000, v72
	s_delay_alu instid0(VALU_DEP_2) | instskip(NEXT) | instid1(VALU_DEP_2)
	v_cmp_eq_u32_e32 vcc_lo, 0, v71
	v_cndmask_b32_e32 v71, v82, v72, vcc_lo
; %bb.52:
	s_or_b32 exec_lo, exec_lo, s3
	v_and_b32_e32 v72, 0x7f800000, v81
	s_delay_alu instid0(VALU_DEP_1) | instskip(SKIP_1) | instid1(SALU_CYCLE_1)
	v_cmp_ne_u32_e32 vcc_lo, 0x7f800000, v72
                                        ; implicit-def: $vgpr72
	s_and_saveexec_b32 s3, vcc_lo
	s_xor_b32 s3, exec_lo, s3
; %bb.53:
	v_bfe_u32 v72, v81, 16, 1
	s_delay_alu instid0(VALU_DEP_1)
	v_add3_u32 v72, v81, v72, 0x7fff
                                        ; implicit-def: $vgpr81
; %bb.54:
	s_and_not1_saveexec_b32 s3, s3
; %bb.55:
	v_and_b32_e32 v72, 0xffff, v81
	v_or_b32_e32 v82, 0x10000, v81
	s_delay_alu instid0(VALU_DEP_2) | instskip(NEXT) | instid1(VALU_DEP_2)
	v_cmp_eq_u32_e32 vcc_lo, 0, v72
	v_cndmask_b32_e32 v72, v82, v81, vcc_lo
; %bb.56:
	s_or_b32 exec_lo, exec_lo, s3
	v_and_b32_e32 v81, 0x7f800000, v83
	s_delay_alu instid0(VALU_DEP_1) | instskip(SKIP_1) | instid1(SALU_CYCLE_1)
	v_cmp_ne_u32_e32 vcc_lo, 0x7f800000, v81
                                        ; implicit-def: $vgpr81
	s_and_saveexec_b32 s3, vcc_lo
	s_xor_b32 s3, exec_lo, s3
; %bb.57:
	v_bfe_u32 v81, v83, 16, 1
	s_delay_alu instid0(VALU_DEP_1)
	v_add3_u32 v81, v83, v81, 0x7fff
                                        ; implicit-def: $vgpr83
; %bb.58:
	s_and_not1_saveexec_b32 s3, s3
; %bb.59:
	v_and_b32_e32 v81, 0xffff, v83
	v_or_b32_e32 v82, 0x10000, v83
	s_delay_alu instid0(VALU_DEP_2) | instskip(NEXT) | instid1(VALU_DEP_2)
	v_cmp_eq_u32_e32 vcc_lo, 0, v81
	v_cndmask_b32_e32 v81, v82, v83, vcc_lo
; %bb.60:
	s_or_b32 exec_lo, exec_lo, s3
	v_and_b32_e32 v82, 0x7f800000, v77
	s_delay_alu instid0(VALU_DEP_1) | instskip(SKIP_1) | instid1(SALU_CYCLE_1)
	v_cmp_ne_u32_e32 vcc_lo, 0x7f800000, v82
                                        ; implicit-def: $vgpr82
	s_and_saveexec_b32 s3, vcc_lo
	s_xor_b32 s3, exec_lo, s3
; %bb.61:
	v_bfe_u32 v82, v77, 16, 1
	s_delay_alu instid0(VALU_DEP_1)
	v_add3_u32 v82, v77, v82, 0x7fff
                                        ; implicit-def: $vgpr77
; %bb.62:
	s_and_not1_saveexec_b32 s3, s3
; %bb.63:
	v_and_b32_e32 v82, 0xffff, v77
	v_or_b32_e32 v83, 0x10000, v77
	s_delay_alu instid0(VALU_DEP_2) | instskip(NEXT) | instid1(VALU_DEP_2)
	v_cmp_eq_u32_e32 vcc_lo, 0, v82
	v_cndmask_b32_e32 v82, v83, v77, vcc_lo
; %bb.64:
	s_or_b32 exec_lo, exec_lo, s3
	v_and_b32_e32 v77, 0x7f800000, v78
	s_delay_alu instid0(VALU_DEP_1) | instskip(SKIP_1) | instid1(SALU_CYCLE_1)
	v_cmp_ne_u32_e32 vcc_lo, 0x7f800000, v77
                                        ; implicit-def: $vgpr77
	s_and_saveexec_b32 s3, vcc_lo
	s_xor_b32 s3, exec_lo, s3
; %bb.65:
	v_bfe_u32 v77, v78, 16, 1
	s_delay_alu instid0(VALU_DEP_1)
	v_add3_u32 v77, v78, v77, 0x7fff
                                        ; implicit-def: $vgpr78
; %bb.66:
	s_and_not1_saveexec_b32 s3, s3
; %bb.67:
	v_and_b32_e32 v77, 0xffff, v78
	v_or_b32_e32 v83, 0x10000, v78
	s_delay_alu instid0(VALU_DEP_2) | instskip(NEXT) | instid1(VALU_DEP_2)
	v_cmp_eq_u32_e32 vcc_lo, 0, v77
	v_cndmask_b32_e32 v77, v83, v78, vcc_lo
; %bb.68:
	s_or_b32 exec_lo, exec_lo, s3
	v_and_b32_e32 v78, 0x7f800000, v79
	s_delay_alu instid0(VALU_DEP_1) | instskip(SKIP_1) | instid1(SALU_CYCLE_1)
	v_cmp_ne_u32_e32 vcc_lo, 0x7f800000, v78
                                        ; implicit-def: $vgpr78
	s_and_saveexec_b32 s3, vcc_lo
	s_xor_b32 s3, exec_lo, s3
; %bb.69:
	v_bfe_u32 v78, v79, 16, 1
	s_delay_alu instid0(VALU_DEP_1)
	v_add3_u32 v78, v79, v78, 0x7fff
                                        ; implicit-def: $vgpr79
; %bb.70:
	s_and_not1_saveexec_b32 s3, s3
; %bb.71:
	v_and_b32_e32 v78, 0xffff, v79
	v_or_b32_e32 v83, 0x10000, v79
	s_delay_alu instid0(VALU_DEP_2) | instskip(NEXT) | instid1(VALU_DEP_2)
	v_cmp_eq_u32_e32 vcc_lo, 0, v78
	v_cndmask_b32_e32 v78, v83, v79, vcc_lo
; %bb.72:
	s_or_b32 exec_lo, exec_lo, s3
	v_and_b32_e32 v79, 0x7f800000, v70
	s_delay_alu instid0(VALU_DEP_1) | instskip(SKIP_1) | instid1(SALU_CYCLE_1)
	v_cmp_ne_u32_e32 vcc_lo, 0x7f800000, v79
                                        ; implicit-def: $vgpr79
	s_and_saveexec_b32 s3, vcc_lo
	s_xor_b32 s3, exec_lo, s3
; %bb.73:
	v_bfe_u32 v79, v70, 16, 1
	s_delay_alu instid0(VALU_DEP_1)
	v_add3_u32 v79, v70, v79, 0x7fff
                                        ; implicit-def: $vgpr70
; %bb.74:
	s_and_not1_saveexec_b32 s3, s3
; %bb.75:
	v_and_b32_e32 v79, 0xffff, v70
	v_or_b32_e32 v83, 0x10000, v70
	s_delay_alu instid0(VALU_DEP_2) | instskip(NEXT) | instid1(VALU_DEP_2)
	v_cmp_eq_u32_e32 vcc_lo, 0, v79
	v_cndmask_b32_e32 v79, v83, v70, vcc_lo
; %bb.76:
	s_or_b32 exec_lo, exec_lo, s3
	s_delay_alu instid0(VALU_DEP_1)
	v_perm_b32 v86, v79, v78, 0x7060302
	v_perm_b32 v85, v77, v82, 0x7060302
	;; [unrolled: 1-line block ×4, first 2 shown]
	v_lshl_or_b32 v82, v66, 11, v80
	ds_store_b128 v76, v[83:86] offset:1024
	s_waitcnt lgkmcnt(0)
	s_barrier
	buffer_gl0_inv
	ds_load_b128 v[69:72], v82
	ds_load_b128 v[83:86], v82 offset:16
	s_waitcnt lgkmcnt(1)
	v_lshrrev_b32_e32 v66, 16, v69
	s_waitcnt lgkmcnt(0)
	v_lshrrev_b32_e32 v91, 16, v83
	v_lshlrev_b32_e32 v78, 2, v74
	v_lshrrev_b32_e32 v95, 16, v70
	v_lshrrev_b32_e32 v98, 16, v84
	;; [unrolled: 1-line block ×4, first 2 shown]
	v_cmp_eq_u32_e32 vcc_lo, 1, v78
	v_lshrrev_b32_e32 v97, 16, v72
	v_lshrrev_b32_e32 v100, 16, v86
	v_cndmask_b32_e32 v87, v83, v91, vcc_lo
	v_or_b32_e32 v79, 1, v78
	v_cndmask_b32_e32 v81, v69, v66, vcc_lo
	v_cmp_eq_u32_e64 s4, 2, v78
	v_cmp_eq_u32_e64 s7, 3, v78
	v_cmp_eq_u32_e64 s9, 4, v78
	v_cmp_eq_u32_e64 s3, 1, v79
	v_cmp_eq_u32_e64 s6, 2, v79
	v_cndmask_b32_e64 v81, v81, v70, s4
	v_cndmask_b32_e64 v87, v87, v84, s4
	v_cmp_eq_u32_e64 s8, 3, v79
	v_cndmask_b32_e64 v88, v69, v66, s3
	v_or_b32_e32 v77, 2, v78
	v_cndmask_b32_e64 v81, v81, v95, s7
	v_cndmask_b32_e64 v87, v87, v98, s7
	;; [unrolled: 1-line block ×4, first 2 shown]
	v_cmp_eq_u32_e64 s10, 5, v78
	v_cndmask_b32_e64 v81, v81, v71, s9
	v_cndmask_b32_e64 v87, v87, v85, s9
	v_cmp_eq_u32_e64 s11, 4, v79
	v_cndmask_b32_e64 v88, v88, v95, s8
	v_cmp_eq_u32_e64 s5, 1, v77
	v_cndmask_b32_e64 v89, v89, v84, s6
	v_cndmask_b32_e64 v81, v81, v96, s10
	v_cmp_eq_u32_e64 s12, 6, v78
	v_cndmask_b32_e64 v88, v88, v71, s11
	;; [unrolled: 3-line block ×3, first 2 shown]
	v_cndmask_b32_e64 v89, v89, v98, s8
	v_cndmask_b32_e64 v81, v81, v72, s12
	v_cmp_eq_u32_e64 s15, 7, v78
	v_cndmask_b32_e64 v88, v88, v96, s13
	v_cndmask_b32_e64 v87, v87, v86, s12
	v_cmp_eq_u32_e64 s16, 6, v79
	v_cmp_eq_u32_e64 s17, 2, v77
	v_cndmask_b32_e64 v89, v89, v85, s11
	v_cndmask_b32_e64 v101, v81, v97, s15
	;; [unrolled: 1-line block ×6, first 2 shown]
	v_cmp_eq_u32_e64 s18, 7, v79
	v_cmp_eq_u32_e64 s19, 3, v77
	;; [unrolled: 1-line block ×4, first 2 shown]
	v_cndmask_b32_e64 v87, v87, v84, s17
	v_cndmask_b32_e64 v103, v88, v97, s18
	;; [unrolled: 1-line block ×4, first 2 shown]
	v_or_b32_e32 v81, 3, v78
	v_cndmask_b32_e64 v93, v87, v98, s19
	v_cmp_eq_u32_e64 s24, 6, v77
	v_cndmask_b32_e64 v104, v88, v86, s16
	v_cndmask_b32_e64 v92, v89, v71, s20
	v_cmp_eq_u32_e64 s21, 1, v81
	ds_load_b128 v[87:90], v82 offset:1024
	v_cmp_eq_u32_e64 s23, 2, v81
	v_cmp_eq_u32_e64 s25, 3, v81
	v_cndmask_b32_e64 v105, v92, v96, s22
	v_cndmask_b32_e64 v66, v69, v66, s21
	;; [unrolled: 1-line block ×4, first 2 shown]
	ds_load_b128 v[91:94], v82 offset:1040
	v_cmp_eq_u32_e64 s26, 4, v81
	v_cndmask_b32_e64 v66, v66, v70, s23
	v_cmp_eq_u32_e64 s27, 7, v77
	v_cndmask_b32_e64 v70, v83, v84, s23
	v_cndmask_b32_e64 v84, v105, v72, s24
	v_cmp_eq_u32_e64 s28, 5, v81
	v_cndmask_b32_e64 v66, v66, v95, s25
	v_cmp_eq_u32_e64 s29, 6, v81
	v_cndmask_b32_e64 v70, v70, v98, s25
	v_cndmask_b32_e64 v69, v69, v99, s22
	;; [unrolled: 1-line block ×4, first 2 shown]
	s_waitcnt lgkmcnt(1)
	v_lshrrev_b32_e32 v95, 16, v87
	v_cndmask_b32_e64 v70, v70, v85, s26
	v_cndmask_b32_e64 v71, v84, v97, s27
	;; [unrolled: 1-line block ×4, first 2 shown]
	v_cndmask_b32_e32 v84, v87, v95, vcc_lo
	v_cndmask_b32_e64 v70, v70, v99, s28
	s_waitcnt lgkmcnt(0)
	v_lshrrev_b32_e32 v85, 16, v91
	v_lshrrev_b32_e32 v96, 16, v88
	v_cndmask_b32_e64 v98, v87, v95, s3
	v_cndmask_b32_e64 v84, v84, v88, s4
	;; [unrolled: 1-line block ×3, first 2 shown]
	v_cndmask_b32_e32 v99, v91, v85, vcc_lo
	v_cmp_eq_u32_e32 vcc_lo, 7, v81
	v_cndmask_b32_e64 v66, v66, v72, s29
	v_cndmask_b32_e64 v72, v84, v96, s7
	;; [unrolled: 1-line block ×3, first 2 shown]
	v_lshrrev_b32_e32 v98, 16, v92
	v_cndmask_b32_e32 v70, v70, v100, vcc_lo
	v_cndmask_b32_e64 v86, v99, v92, s4
	v_cndmask_b32_e64 v69, v69, v100, s27
	v_lshrrev_b32_e32 v100, 16, v93
	v_cndmask_b32_e64 v72, v72, v89, s9
	v_lshrrev_b32_e32 v99, 16, v89
	v_cndmask_b32_e64 v86, v86, v98, s7
	v_perm_b32 v71, v69, v71, 0x5040100
	v_cndmask_b32_e64 v84, v84, v96, s8
	s_delay_alu instid0(VALU_DEP_3) | instskip(NEXT) | instid1(VALU_DEP_2)
	v_cndmask_b32_e64 v86, v86, v93, s9
	v_cndmask_b32_e64 v84, v84, v89, s11
	s_delay_alu instid0(VALU_DEP_2) | instskip(NEXT) | instid1(VALU_DEP_1)
	v_cndmask_b32_e64 v86, v86, v100, s10
	v_cndmask_b32_e64 v69, v86, v94, s12
	;; [unrolled: 1-line block ×5, first 2 shown]
	s_delay_alu instid0(VALU_DEP_3) | instskip(NEXT) | instid1(VALU_DEP_3)
	v_cndmask_b32_e64 v86, v86, v88, s17
	v_cndmask_b32_e64 v87, v87, v88, s23
	s_delay_alu instid0(VALU_DEP_3) | instskip(NEXT) | instid1(VALU_DEP_3)
	v_cndmask_b32_e64 v88, v95, v92, s23
	v_cndmask_b32_e64 v86, v86, v96, s19
	;; [unrolled: 3-line block ×7, first 2 shown]
	s_delay_alu instid0(VALU_DEP_3) | instskip(SKIP_2) | instid1(VALU_DEP_2)
	v_cndmask_b32_e64 v88, v88, v94, s29
	v_cndmask_b32_e32 v66, v66, v97, vcc_lo
	v_cndmask_b32_e64 v97, v72, v99, s10
	v_perm_b32 v72, v70, v66, 0x5040100
	v_perm_b32 v70, v83, v103, 0x5040100
	v_cndmask_b32_e64 v103, v91, v85, s5
	v_cndmask_b32_e64 v85, v91, v85, s3
	v_cndmask_b32_e64 v66, v84, v99, s13
	v_cndmask_b32_e64 v84, v97, v90, s12
	v_lshrrev_b32_e32 v97, 16, v90
	v_cndmask_b32_e64 v91, v103, v92, s17
	v_cndmask_b32_e64 v85, v85, v92, s6
	;; [unrolled: 1-line block ×3, first 2 shown]
	s_mov_b32 s3, exec_lo
	v_cndmask_b32_e64 v83, v84, v97, s15
	v_cndmask_b32_e64 v91, v91, v98, s19
	;; [unrolled: 1-line block ×3, first 2 shown]
	v_lshrrev_b32_e32 v84, 16, v94
	v_cndmask_b32_e64 v66, v66, v97, s18
	v_cndmask_b32_e64 v90, v86, v97, s27
	;; [unrolled: 1-line block ×4, first 2 shown]
	v_dual_cndmask_b32 v86, v87, v97 :: v_dual_cndmask_b32 v87, v88, v84
	v_cndmask_b32_e64 v91, v69, v84, s15
	s_delay_alu instid0(VALU_DEP_4) | instskip(NEXT) | instid1(VALU_DEP_4)
	v_cndmask_b32_e64 v89, v89, v100, s22
	v_cndmask_b32_e64 v85, v85, v100, s13
	v_perm_b32 v69, v102, v101, 0x5040100
	v_perm_b32 v86, v87, v86, 0x5040100
	;; [unrolled: 1-line block ×3, first 2 shown]
	v_cndmask_b32_e64 v89, v89, v94, s24
	v_cndmask_b32_e64 v85, v85, v94, s16
	s_mul_i32 s8, s35, 13
	s_delay_alu instid0(VALU_DEP_2) | instskip(NEXT) | instid1(VALU_DEP_2)
	v_cndmask_b32_e64 v88, v89, v84, s27
	v_cndmask_b32_e64 v89, v85, v84, s18
	s_delay_alu instid0(VALU_DEP_2) | instskip(NEXT) | instid1(VALU_DEP_2)
	v_perm_b32 v85, v88, v90, 0x5040100
	v_perm_b32 v84, v89, v66, 0x5040100
	ds_store_b128 v76, v[69:72]
	ds_store_b128 v76, v[83:86] offset:1024
	v_cmpx_gt_u32_e32 13, v0
	s_cbranch_execz .LBB1834_78
; %bb.77:
	s_mul_i32 s4, s8, s30
	s_delay_alu instid0(SALU_CYCLE_1) | instskip(SKIP_1) | instid1(VALU_DEP_1)
	v_add3_u32 v69, s4, s31, v65
	s_load_b128 s[4:7], s[0:1], 0x58
	v_mad_u64_u32 v[65:66], null, v69, s34, s[14:15]
	s_delay_alu instid0(VALU_DEP_1) | instskip(NEXT) | instid1(VALU_DEP_1)
	v_ashrrev_i32_e32 v66, 31, v65
	v_lshlrev_b64 v[65:66], 2, v[65:66]
	s_waitcnt lgkmcnt(0)
	s_delay_alu instid0(VALU_DEP_1) | instskip(NEXT) | instid1(VALU_DEP_2)
	v_add_co_u32 v69, vcc_lo, s6, v65
	v_add_co_ci_u32_e32 v70, vcc_lo, s7, v66, vcc_lo
	v_add_co_u32 v65, vcc_lo, s4, v65
	v_add_co_ci_u32_e32 v66, vcc_lo, s5, v66, vcc_lo
	global_store_b32 v[69:70], v67, off
	global_store_b32 v[65:66], v68, off
.LBB1834_78:
	s_or_b32 exec_lo, exec_lo, s3
	s_waitcnt lgkmcnt(0)
	s_waitcnt_vscnt null, 0x0
	s_barrier
	buffer_gl0_inv
	ds_load_b128 v[83:86], v80
	ds_load_b128 v[87:90], v80 offset:16
	ds_load_b128 v[95:98], v80 offset:2064
	;; [unrolled: 1-line block ×3, first 2 shown]
	v_mov_b32_e32 v65, 0
	ds_load_b128 v[103:106], v80 offset:4112
	ds_load_b128 v[99:102], v80 offset:4096
	;; [unrolled: 1-line block ×4, first 2 shown]
	v_mov_b32_e32 v66, v65
	v_mov_b32_e32 v67, v65
	;; [unrolled: 1-line block ×7, first 2 shown]
	s_waitcnt lgkmcnt(6)
	s_delay_alu instid0(VALU_DEP_1)
	v_wmma_f32_16x16x16_bf16 v[65:72], v[49:56], v[83:90], v[65:72]
	ds_load_b128 v[53:56], v80 offset:8208
	ds_load_b128 v[49:52], v80 offset:8192
	s_waitcnt lgkmcnt(6)
	v_wmma_f32_16x16x16_bf16 v[65:72], v[41:48], v[91:98], v[65:72]
	ds_load_b128 v[45:48], v80 offset:10256
	ds_load_b128 v[41:44], v80 offset:10240
	s_waitcnt lgkmcnt(6)
	v_wmma_f32_16x16x16_bf16 v[65:72], v[33:40], v[99:106], v[65:72]
	ds_load_b128 v[37:40], v80 offset:12304
	ds_load_b128 v[33:36], v80 offset:12288
	s_waitcnt lgkmcnt(6)
	v_wmma_f32_16x16x16_bf16 v[65:72], v[25:32], v[107:114], v[65:72]
	ds_load_b128 v[29:32], v80 offset:14352
	ds_load_b128 v[25:28], v80 offset:14336
	s_waitcnt lgkmcnt(6)
	v_wmma_f32_16x16x16_bf16 v[65:72], v[1:8], v[49:56], v[65:72]
	s_waitcnt lgkmcnt(4)
	s_delay_alu instid0(VALU_DEP_1) | instskip(SKIP_1) | instid1(VALU_DEP_1)
	v_wmma_f32_16x16x16_bf16 v[65:72], v[9:16], v[41:48], v[65:72]
	s_waitcnt lgkmcnt(2)
	v_wmma_f32_16x16x16_bf16 v[65:72], v[17:24], v[33:40], v[65:72]
	s_waitcnt lgkmcnt(0)
	s_delay_alu instid0(VALU_DEP_1) | instskip(NEXT) | instid1(VALU_DEP_1)
	v_wmma_f32_16x16x16_bf16 v[65:72], v[57:64], v[25:32], v[65:72]
	v_and_b32_e32 v1, 0x7f800000, v65
	s_delay_alu instid0(VALU_DEP_1) | instskip(SKIP_1) | instid1(SALU_CYCLE_1)
	v_cmp_ne_u32_e32 vcc_lo, 0x7f800000, v1
                                        ; implicit-def: $vgpr1
	s_and_saveexec_b32 s3, vcc_lo
	s_xor_b32 s3, exec_lo, s3
; %bb.79:
	v_bfe_u32 v1, v65, 16, 1
	s_delay_alu instid0(VALU_DEP_1)
	v_add3_u32 v1, v65, v1, 0x7fff
; %bb.80:
	s_and_not1_saveexec_b32 s3, s3
; %bb.81:
	v_and_b32_e32 v1, 0xffff, v65
	v_or_b32_e32 v2, 0x10000, v65
	s_delay_alu instid0(VALU_DEP_2) | instskip(NEXT) | instid1(VALU_DEP_2)
	v_cmp_eq_u32_e32 vcc_lo, 0, v1
	v_cndmask_b32_e32 v1, v2, v65, vcc_lo
; %bb.82:
	s_or_b32 exec_lo, exec_lo, s3
	v_and_b32_e32 v2, 0x7f800000, v66
	s_delay_alu instid0(VALU_DEP_1) | instskip(SKIP_1) | instid1(SALU_CYCLE_1)
	v_cmp_ne_u32_e32 vcc_lo, 0x7f800000, v2
                                        ; implicit-def: $vgpr2
	s_and_saveexec_b32 s3, vcc_lo
	s_xor_b32 s3, exec_lo, s3
; %bb.83:
	v_bfe_u32 v2, v66, 16, 1
	s_delay_alu instid0(VALU_DEP_1)
	v_add3_u32 v2, v66, v2, 0x7fff
; %bb.84:
	s_and_not1_saveexec_b32 s3, s3
; %bb.85:
	v_and_b32_e32 v2, 0xffff, v66
	v_or_b32_e32 v3, 0x10000, v66
	s_delay_alu instid0(VALU_DEP_2) | instskip(NEXT) | instid1(VALU_DEP_2)
	v_cmp_eq_u32_e32 vcc_lo, 0, v2
	v_cndmask_b32_e32 v2, v3, v66, vcc_lo
; %bb.86:
	s_or_b32 exec_lo, exec_lo, s3
	v_and_b32_e32 v3, 0x7f800000, v67
	s_delay_alu instid0(VALU_DEP_1) | instskip(SKIP_1) | instid1(SALU_CYCLE_1)
	v_cmp_ne_u32_e32 vcc_lo, 0x7f800000, v3
                                        ; implicit-def: $vgpr3
	s_and_saveexec_b32 s3, vcc_lo
	s_xor_b32 s3, exec_lo, s3
; %bb.87:
	v_bfe_u32 v3, v67, 16, 1
	s_delay_alu instid0(VALU_DEP_1)
	v_add3_u32 v3, v67, v3, 0x7fff
; %bb.88:
	s_and_not1_saveexec_b32 s3, s3
; %bb.89:
	v_and_b32_e32 v3, 0xffff, v67
	v_or_b32_e32 v4, 0x10000, v67
	s_delay_alu instid0(VALU_DEP_2) | instskip(NEXT) | instid1(VALU_DEP_2)
	v_cmp_eq_u32_e32 vcc_lo, 0, v3
	v_cndmask_b32_e32 v3, v4, v67, vcc_lo
; %bb.90:
	s_or_b32 exec_lo, exec_lo, s3
	v_and_b32_e32 v4, 0x7f800000, v68
	s_delay_alu instid0(VALU_DEP_1) | instskip(SKIP_1) | instid1(SALU_CYCLE_1)
	v_cmp_ne_u32_e32 vcc_lo, 0x7f800000, v4
                                        ; implicit-def: $vgpr4
	s_and_saveexec_b32 s3, vcc_lo
	s_xor_b32 s3, exec_lo, s3
; %bb.91:
	v_bfe_u32 v4, v68, 16, 1
	s_delay_alu instid0(VALU_DEP_1)
	v_add3_u32 v4, v68, v4, 0x7fff
; %bb.92:
	s_and_not1_saveexec_b32 s3, s3
; %bb.93:
	v_and_b32_e32 v4, 0xffff, v68
	v_or_b32_e32 v5, 0x10000, v68
	s_delay_alu instid0(VALU_DEP_2) | instskip(NEXT) | instid1(VALU_DEP_2)
	v_cmp_eq_u32_e32 vcc_lo, 0, v4
	v_cndmask_b32_e32 v4, v5, v68, vcc_lo
; %bb.94:
	s_or_b32 exec_lo, exec_lo, s3
	v_and_b32_e32 v5, 0x7f800000, v69
	s_delay_alu instid0(VALU_DEP_1) | instskip(SKIP_1) | instid1(SALU_CYCLE_1)
	v_cmp_ne_u32_e32 vcc_lo, 0x7f800000, v5
                                        ; implicit-def: $vgpr5
	s_and_saveexec_b32 s3, vcc_lo
	s_xor_b32 s3, exec_lo, s3
; %bb.95:
	v_bfe_u32 v5, v69, 16, 1
	s_delay_alu instid0(VALU_DEP_1)
	v_add3_u32 v5, v69, v5, 0x7fff
; %bb.96:
	s_and_not1_saveexec_b32 s3, s3
; %bb.97:
	v_and_b32_e32 v5, 0xffff, v69
	v_or_b32_e32 v6, 0x10000, v69
	s_delay_alu instid0(VALU_DEP_2) | instskip(NEXT) | instid1(VALU_DEP_2)
	v_cmp_eq_u32_e32 vcc_lo, 0, v5
	v_cndmask_b32_e32 v5, v6, v69, vcc_lo
; %bb.98:
	s_or_b32 exec_lo, exec_lo, s3
	v_and_b32_e32 v6, 0x7f800000, v70
	s_delay_alu instid0(VALU_DEP_1) | instskip(SKIP_1) | instid1(SALU_CYCLE_1)
	v_cmp_ne_u32_e32 vcc_lo, 0x7f800000, v6
                                        ; implicit-def: $vgpr6
	s_and_saveexec_b32 s3, vcc_lo
	s_xor_b32 s3, exec_lo, s3
; %bb.99:
	v_bfe_u32 v6, v70, 16, 1
	s_delay_alu instid0(VALU_DEP_1)
	v_add3_u32 v6, v70, v6, 0x7fff
; %bb.100:
	s_and_not1_saveexec_b32 s3, s3
; %bb.101:
	v_and_b32_e32 v6, 0xffff, v70
	v_or_b32_e32 v7, 0x10000, v70
	s_delay_alu instid0(VALU_DEP_2) | instskip(NEXT) | instid1(VALU_DEP_2)
	v_cmp_eq_u32_e32 vcc_lo, 0, v6
	v_cndmask_b32_e32 v6, v7, v70, vcc_lo
; %bb.102:
	s_or_b32 exec_lo, exec_lo, s3
	v_and_b32_e32 v7, 0x7f800000, v71
	s_delay_alu instid0(VALU_DEP_1) | instskip(SKIP_1) | instid1(SALU_CYCLE_1)
	v_cmp_ne_u32_e32 vcc_lo, 0x7f800000, v7
                                        ; implicit-def: $vgpr7
	s_and_saveexec_b32 s3, vcc_lo
	s_xor_b32 s3, exec_lo, s3
; %bb.103:
	v_bfe_u32 v7, v71, 16, 1
	s_delay_alu instid0(VALU_DEP_1)
	v_add3_u32 v7, v71, v7, 0x7fff
; %bb.104:
	s_and_not1_saveexec_b32 s3, s3
; %bb.105:
	v_and_b32_e32 v7, 0xffff, v71
	v_or_b32_e32 v8, 0x10000, v71
	s_delay_alu instid0(VALU_DEP_2) | instskip(NEXT) | instid1(VALU_DEP_2)
	v_cmp_eq_u32_e32 vcc_lo, 0, v7
	v_cndmask_b32_e32 v7, v8, v71, vcc_lo
; %bb.106:
	s_or_b32 exec_lo, exec_lo, s3
	v_and_b32_e32 v8, 0x7f800000, v72
	s_delay_alu instid0(VALU_DEP_1) | instskip(SKIP_1) | instid1(SALU_CYCLE_1)
	v_cmp_ne_u32_e32 vcc_lo, 0x7f800000, v8
                                        ; implicit-def: $vgpr8
	s_and_saveexec_b32 s3, vcc_lo
	s_xor_b32 s3, exec_lo, s3
; %bb.107:
	v_bfe_u32 v8, v72, 16, 1
	s_delay_alu instid0(VALU_DEP_1)
	v_add3_u32 v8, v72, v8, 0x7fff
                                        ; implicit-def: $vgpr65_vgpr66_vgpr67_vgpr68_vgpr69_vgpr70_vgpr71_vgpr72
; %bb.108:
	s_and_not1_saveexec_b32 s3, s3
; %bb.109:
	v_and_b32_e32 v8, 0xffff, v72
	v_or_b32_e32 v9, 0x10000, v72
	s_delay_alu instid0(VALU_DEP_2) | instskip(NEXT) | instid1(VALU_DEP_2)
	v_cmp_eq_u32_e32 vcc_lo, 0, v8
	v_cndmask_b32_e32 v8, v9, v72, vcc_lo
; %bb.110:
	s_or_b32 exec_lo, exec_lo, s3
	s_delay_alu instid0(VALU_DEP_1)
	v_perm_b32 v7, v8, v7, 0x7060302
	v_perm_b32 v6, v6, v5, 0x7060302
	;; [unrolled: 1-line block ×4, first 2 shown]
	s_barrier
	buffer_gl0_inv
	v_cmp_eq_u32_e32 vcc_lo, 1, v78
	ds_store_b128 v76, v[4:7]
	s_waitcnt lgkmcnt(0)
	s_barrier
	buffer_gl0_inv
	ds_load_b128 v[1:4], v82
	ds_load_b128 v[5:8], v82 offset:16
	v_cmp_eq_u32_e64 s3, 1, v79
	v_cmp_eq_u32_e64 s4, 2, v78
	;; [unrolled: 1-line block ×5, first 2 shown]
	s_waitcnt lgkmcnt(1)
	v_lshrrev_b32_e32 v9, 16, v1
	s_waitcnt lgkmcnt(0)
	v_lshrrev_b32_e32 v13, 16, v5
	v_lshrrev_b32_e32 v10, 16, v2
	;; [unrolled: 1-line block ×4, first 2 shown]
	v_cndmask_b32_e64 v19, v1, v9, s3
	v_cndmask_b32_e32 v18, v5, v13, vcc_lo
	v_cndmask_b32_e64 v20, v5, v13, s3
	v_cndmask_b32_e32 v17, v1, v9, vcc_lo
	v_cmp_eq_u32_e32 vcc_lo, 2, v79
	v_lshrrev_b32_e32 v15, 16, v7
	v_cmp_eq_u32_e64 s3, 1, v77
	v_lshrrev_b32_e32 v12, 16, v4
	v_lshrrev_b32_e32 v16, 16, v8
	v_cndmask_b32_e32 v20, v20, v6, vcc_lo
	v_cndmask_b32_e64 v17, v17, v2, s4
	v_cndmask_b32_e32 v19, v19, v2, vcc_lo
	v_cndmask_b32_e64 v18, v18, v6, s4
	v_cmp_eq_u32_e32 vcc_lo, 4, v78
	v_cmp_eq_u32_e64 s4, 3, v79
	v_cndmask_b32_e64 v17, v17, v10, s5
	v_cndmask_b32_e64 v21, v1, v9, s3
	;; [unrolled: 1-line block ×5, first 2 shown]
	v_cndmask_b32_e32 v17, v17, v3, vcc_lo
	v_cndmask_b32_e64 v20, v20, v14, s4
	v_cndmask_b32_e32 v18, v18, v7, vcc_lo
	v_cmp_eq_u32_e32 vcc_lo, 4, v79
	v_cmp_eq_u32_e64 s4, 5, v79
	v_cmp_eq_u32_e64 s3, 2, v81
	v_cndmask_b32_e64 v21, v21, v2, s7
	v_cmp_eq_u32_e64 s5, 5, v78
	v_cndmask_b32_e32 v19, v19, v3, vcc_lo
	v_cndmask_b32_e32 v20, v20, v7, vcc_lo
	v_cmp_eq_u32_e32 vcc_lo, 6, v79
	s_delay_alu instid0(VALU_DEP_4) | instskip(NEXT) | instid1(VALU_DEP_4)
	v_cndmask_b32_e64 v17, v17, v11, s5
	v_cndmask_b32_e64 v19, v19, v11, s4
	s_delay_alu instid0(VALU_DEP_4) | instskip(SKIP_1) | instid1(VALU_DEP_3)
	v_cndmask_b32_e64 v20, v20, v15, s4
	v_cmp_eq_u32_e64 s4, 1, v81
	v_cndmask_b32_e32 v19, v19, v4, vcc_lo
	v_cndmask_b32_e64 v18, v18, v15, s5
	s_delay_alu instid0(VALU_DEP_3)
	v_cndmask_b32_e64 v1, v1, v9, s4
	v_cndmask_b32_e64 v5, v5, v13, s4
	v_cmp_eq_u32_e64 s4, 3, v77
	v_cndmask_b32_e64 v13, v22, v6, s7
	v_cmp_eq_u32_e64 s7, 3, v81
	v_cndmask_b32_e64 v1, v1, v2, s3
	v_cndmask_b32_e64 v2, v5, v6, s3
	v_cndmask_b32_e64 v9, v21, v10, s4
	v_cmp_eq_u32_e64 s3, 4, v77
	v_cndmask_b32_e64 v6, v13, v14, s4
	v_cndmask_b32_e64 v1, v1, v10, s7
	v_cmp_eq_u32_e64 s4, 4, v81
	v_cndmask_b32_e64 v2, v2, v14, s7
	v_cndmask_b32_e64 v5, v9, v3, s3
	;; [unrolled: 3-line block ×3, first 2 shown]
	v_cndmask_b32_e64 v2, v2, v7, s4
	v_cmp_eq_u32_e64 s3, 5, v81
	v_cmp_eq_u32_e64 s5, 6, v78
	v_cndmask_b32_e64 v5, v5, v11, s7
	v_cmp_eq_u32_e64 s4, 6, v77
	v_cndmask_b32_e64 v3, v6, v15, s7
	v_cndmask_b32_e64 v1, v1, v11, s3
	v_cmp_eq_u32_e64 s7, 6, v81
	v_cndmask_b32_e64 v2, v2, v15, s3
	v_cndmask_b32_e64 v17, v17, v4, s5
	v_cndmask_b32_e64 v18, v18, v8, s5
	v_cmp_eq_u32_e64 s5, 7, v78
	v_cndmask_b32_e64 v5, v5, v4, s4
	;; [unrolled: 4-line block ×3, first 2 shown]
	v_cmp_eq_u32_e64 s4, 7, v77
	v_cndmask_b32_e32 v4, v20, v8, vcc_lo
	v_cndmask_b32_e64 v17, v17, v12, s5
	v_cndmask_b32_e64 v19, v19, v12, s6
	;; [unrolled: 1-line block ×8, first 2 shown]
	s_mov_b32 s3, exec_lo
	v_perm_b32 v4, v2, v1, 0x5040100
	v_perm_b32 v3, v3, v5, 0x5040100
	;; [unrolled: 1-line block ×4, first 2 shown]
	ds_store_b128 v76, v[1:4]
	s_waitcnt lgkmcnt(0)
	s_barrier
	buffer_gl0_inv
	v_cmpx_gt_u32_e32 32, v0
	s_cbranch_execz .LBB1834_2
; %bb.111:
	s_load_b64 s[4:5], s[0:1], 0x68
	v_lshlrev_b32_e32 v0, 10, v0
	v_lshlrev_b32_e32 v1, 4, v75
	s_lshl_b32 s0, s34, 7
	v_add_nc_u32_e32 v18, s31, v74
	s_mul_i32 s1, s0, s30
	s_delay_alu instid0(VALU_DEP_2) | instskip(SKIP_1) | instid1(VALU_DEP_2)
	v_and_or_b32 v0, 0x3800, v0, v1
	s_mul_i32 s6, s1, s8
	v_mul_lo_u32 v1, v18, s0
	s_ashr_i32 s7, s6, 31
	v_add_nc_u32_e32 v2, 2, v18
	v_lshl_or_b32 v19, v74, 6, v0
	s_lshl_b64 s[6:7], s[6:7], 1
	v_add_nc_u32_e32 v8, 4, v18
	v_add_nc_u32_e32 v15, 6, v18
	v_mul_lo_u32 v7, v2, s0
	ds_load_b128 v[3:6], v19
	v_ashrrev_i32_e32 v2, 31, v1
	v_mul_lo_u32 v11, v8, s0
	s_waitcnt lgkmcnt(0)
	s_add_u32 s1, s4, s6
	s_addc_u32 s3, s5, s7
	s_lshl_b32 s4, s14, 7
	v_lshlrev_b64 v[9:10], 1, v[1:2]
	s_ashr_i32 s5, s4, 31
	v_ashrrev_i32_e32 v8, 31, v7
	s_lshl_b64 s[4:5], s[4:5], 1
	v_ashrrev_i32_e32 v12, 31, v11
	s_add_u32 s1, s1, s4
	s_addc_u32 s3, s3, s5
	v_add_co_u32 v1, s1, s1, v73
	s_delay_alu instid0(VALU_DEP_1) | instskip(SKIP_1) | instid1(VALU_DEP_3)
	v_add_co_ci_u32_e64 v2, null, s3, 0, s1
	v_mul_lo_u32 v15, v15, s0
	v_add_co_u32 v13, vcc_lo, v1, v9
	s_delay_alu instid0(VALU_DEP_3)
	v_add_co_ci_u32_e32 v14, vcc_lo, v2, v10, vcc_lo
	v_lshlrev_b64 v[16:17], 1, v[7:8]
	ds_load_b128 v[7:10], v19 offset:128
	global_store_b128 v[13:14], v[3:6], off
	v_add_nc_u32_e32 v5, 8, v18
	v_lshlrev_b64 v[3:4], 1, v[11:12]
	v_add_co_u32 v23, vcc_lo, v1, v16
	v_ashrrev_i32_e32 v16, 31, v15
	s_delay_alu instid0(VALU_DEP_4) | instskip(SKIP_3) | instid1(VALU_DEP_3)
	v_mul_lo_u32 v25, v5, s0
	v_add_nc_u32_e32 v5, 10, v18
	v_add_co_ci_u32_e32 v24, vcc_lo, v2, v17, vcc_lo
	v_add_co_u32 v27, vcc_lo, v1, v3
	v_mul_lo_u32 v29, v5, s0
	v_add_co_ci_u32_e32 v28, vcc_lo, v2, v4, vcc_lo
	v_lshlrev_b64 v[31:32], 1, v[15:16]
	ds_load_b128 v[3:6], v19 offset:256
	ds_load_b128 v[11:14], v19 offset:384
	;; [unrolled: 1-line block ×4, first 2 shown]
	v_ashrrev_i32_e32 v26, 31, v25
	v_ashrrev_i32_e32 v30, 31, v29
	v_add_co_u32 v31, vcc_lo, v1, v31
	s_delay_alu instid0(VALU_DEP_3) | instskip(SKIP_1) | instid1(VALU_DEP_4)
	v_lshlrev_b64 v[25:26], 1, v[25:26]
	v_add_co_ci_u32_e32 v32, vcc_lo, v2, v32, vcc_lo
	v_lshlrev_b64 v[29:30], 1, v[29:30]
	s_delay_alu instid0(VALU_DEP_3) | instskip(NEXT) | instid1(VALU_DEP_4)
	v_add_co_u32 v25, vcc_lo, v1, v25
	v_add_co_ci_u32_e32 v26, vcc_lo, v2, v26, vcc_lo
	s_delay_alu instid0(VALU_DEP_3) | instskip(NEXT) | instid1(VALU_DEP_4)
	v_add_co_u32 v29, vcc_lo, v1, v29
	v_add_co_ci_u32_e32 v30, vcc_lo, v2, v30, vcc_lo
	s_waitcnt lgkmcnt(4)
	global_store_b128 v[23:24], v[7:10], off
	s_waitcnt lgkmcnt(3)
	global_store_b128 v[27:28], v[3:6], off
	;; [unrolled: 2-line block ×5, first 2 shown]
	s_and_b32 exec_lo, exec_lo, s2
	s_cbranch_execz .LBB1834_2
; %bb.112:
	ds_load_b128 v[3:6], v0 offset:768
	s_add_i32 s1, s31, 12
	s_delay_alu instid0(SALU_CYCLE_1) | instskip(NEXT) | instid1(SALU_CYCLE_1)
	s_mul_i32 s0, s1, s0
	s_ashr_i32 s1, s0, 31
	s_delay_alu instid0(SALU_CYCLE_1) | instskip(NEXT) | instid1(SALU_CYCLE_1)
	s_lshl_b64 s[0:1], s[0:1], 1
	v_add_co_u32 v0, vcc_lo, v1, s0
	v_add_co_ci_u32_e32 v1, vcc_lo, s1, v2, vcc_lo
	s_waitcnt lgkmcnt(0)
	global_store_b128 v[0:1], v[3:6], off
	s_nop 0
	s_sendmsg sendmsg(MSG_DEALLOC_VGPRS)
	s_endpgm
	.section	.rodata,"a",@progbits
	.p2align	6, 0x0
	.amdhsa_kernel _Z39paged_attention_ll4mi_QKV_mfma16_kernelI14__hip_bfloat16hLN4vllm18Fp8KVCacheDataTypeE1ES0_Li16ELi128ELi256ELb1ELi13EL8MFMAType0EEvPKT_PKT0_S9_ifPKiSB_SB_iPKfiiiPfSE_PS4_PT2_iSD_SD_
		.amdhsa_group_segment_fixed_size 17472
		.amdhsa_private_segment_fixed_size 0
		.amdhsa_kernarg_size 400
		.amdhsa_user_sgpr_count 13
		.amdhsa_user_sgpr_dispatch_ptr 0
		.amdhsa_user_sgpr_queue_ptr 0
		.amdhsa_user_sgpr_kernarg_segment_ptr 1
		.amdhsa_user_sgpr_dispatch_id 0
		.amdhsa_user_sgpr_private_segment_size 0
		.amdhsa_wavefront_size32 1
		.amdhsa_uses_dynamic_stack 0
		.amdhsa_enable_private_segment 0
		.amdhsa_system_sgpr_workgroup_id_x 1
		.amdhsa_system_sgpr_workgroup_id_y 1
		.amdhsa_system_sgpr_workgroup_id_z 1
		.amdhsa_system_sgpr_workgroup_info 0
		.amdhsa_system_vgpr_workitem_id 0
		.amdhsa_next_free_vgpr 140
		.amdhsa_next_free_sgpr 36
		.amdhsa_reserve_vcc 1
		.amdhsa_float_round_mode_32 0
		.amdhsa_float_round_mode_16_64 0
		.amdhsa_float_denorm_mode_32 3
		.amdhsa_float_denorm_mode_16_64 3
		.amdhsa_dx10_clamp 1
		.amdhsa_ieee_mode 1
		.amdhsa_fp16_overflow 0
		.amdhsa_workgroup_processor_mode 1
		.amdhsa_memory_ordered 1
		.amdhsa_forward_progress 0
		.amdhsa_shared_vgpr_count 0
		.amdhsa_exception_fp_ieee_invalid_op 0
		.amdhsa_exception_fp_denorm_src 0
		.amdhsa_exception_fp_ieee_div_zero 0
		.amdhsa_exception_fp_ieee_overflow 0
		.amdhsa_exception_fp_ieee_underflow 0
		.amdhsa_exception_fp_ieee_inexact 0
		.amdhsa_exception_int_div_zero 0
	.end_amdhsa_kernel
	.section	.text._Z39paged_attention_ll4mi_QKV_mfma16_kernelI14__hip_bfloat16hLN4vllm18Fp8KVCacheDataTypeE1ES0_Li16ELi128ELi256ELb1ELi13EL8MFMAType0EEvPKT_PKT0_S9_ifPKiSB_SB_iPKfiiiPfSE_PS4_PT2_iSD_SD_,"axG",@progbits,_Z39paged_attention_ll4mi_QKV_mfma16_kernelI14__hip_bfloat16hLN4vllm18Fp8KVCacheDataTypeE1ES0_Li16ELi128ELi256ELb1ELi13EL8MFMAType0EEvPKT_PKT0_S9_ifPKiSB_SB_iPKfiiiPfSE_PS4_PT2_iSD_SD_,comdat
.Lfunc_end1834:
	.size	_Z39paged_attention_ll4mi_QKV_mfma16_kernelI14__hip_bfloat16hLN4vllm18Fp8KVCacheDataTypeE1ES0_Li16ELi128ELi256ELb1ELi13EL8MFMAType0EEvPKT_PKT0_S9_ifPKiSB_SB_iPKfiiiPfSE_PS4_PT2_iSD_SD_, .Lfunc_end1834-_Z39paged_attention_ll4mi_QKV_mfma16_kernelI14__hip_bfloat16hLN4vllm18Fp8KVCacheDataTypeE1ES0_Li16ELi128ELi256ELb1ELi13EL8MFMAType0EEvPKT_PKT0_S9_ifPKiSB_SB_iPKfiiiPfSE_PS4_PT2_iSD_SD_
                                        ; -- End function
	.section	.AMDGPU.csdata,"",@progbits
; Kernel info:
; codeLenInByte = 9056
; NumSgprs: 38
; NumVgprs: 140
; ScratchSize: 0
; MemoryBound: 0
; FloatMode: 240
; IeeeMode: 1
; LDSByteSize: 17472 bytes/workgroup (compile time only)
; SGPRBlocks: 4
; VGPRBlocks: 17
; NumSGPRsForWavesPerEU: 38
; NumVGPRsForWavesPerEU: 140
; Occupancy: 10
; WaveLimiterHint : 1
; COMPUTE_PGM_RSRC2:SCRATCH_EN: 0
; COMPUTE_PGM_RSRC2:USER_SGPR: 13
; COMPUTE_PGM_RSRC2:TRAP_HANDLER: 0
; COMPUTE_PGM_RSRC2:TGID_X_EN: 1
; COMPUTE_PGM_RSRC2:TGID_Y_EN: 1
; COMPUTE_PGM_RSRC2:TGID_Z_EN: 1
; COMPUTE_PGM_RSRC2:TIDIG_COMP_CNT: 0
	.section	.text._Z39paged_attention_ll4mi_QKV_mfma16_kernelI14__hip_bfloat16hLN4vllm18Fp8KVCacheDataTypeE1ES0_Li16ELi128ELi256ELb1ELi14EL8MFMAType0EEvPKT_PKT0_S9_ifPKiSB_SB_iPKfiiiPfSE_PS4_PT2_iSD_SD_,"axG",@progbits,_Z39paged_attention_ll4mi_QKV_mfma16_kernelI14__hip_bfloat16hLN4vllm18Fp8KVCacheDataTypeE1ES0_Li16ELi128ELi256ELb1ELi14EL8MFMAType0EEvPKT_PKT0_S9_ifPKiSB_SB_iPKfiiiPfSE_PS4_PT2_iSD_SD_,comdat
	.protected	_Z39paged_attention_ll4mi_QKV_mfma16_kernelI14__hip_bfloat16hLN4vllm18Fp8KVCacheDataTypeE1ES0_Li16ELi128ELi256ELb1ELi14EL8MFMAType0EEvPKT_PKT0_S9_ifPKiSB_SB_iPKfiiiPfSE_PS4_PT2_iSD_SD_ ; -- Begin function _Z39paged_attention_ll4mi_QKV_mfma16_kernelI14__hip_bfloat16hLN4vllm18Fp8KVCacheDataTypeE1ES0_Li16ELi128ELi256ELb1ELi14EL8MFMAType0EEvPKT_PKT0_S9_ifPKiSB_SB_iPKfiiiPfSE_PS4_PT2_iSD_SD_
	.globl	_Z39paged_attention_ll4mi_QKV_mfma16_kernelI14__hip_bfloat16hLN4vllm18Fp8KVCacheDataTypeE1ES0_Li16ELi128ELi256ELb1ELi14EL8MFMAType0EEvPKT_PKT0_S9_ifPKiSB_SB_iPKfiiiPfSE_PS4_PT2_iSD_SD_
	.p2align	8
	.type	_Z39paged_attention_ll4mi_QKV_mfma16_kernelI14__hip_bfloat16hLN4vllm18Fp8KVCacheDataTypeE1ES0_Li16ELi128ELi256ELb1ELi14EL8MFMAType0EEvPKT_PKT0_S9_ifPKiSB_SB_iPKfiiiPfSE_PS4_PT2_iSD_SD_,@function
_Z39paged_attention_ll4mi_QKV_mfma16_kernelI14__hip_bfloat16hLN4vllm18Fp8KVCacheDataTypeE1ES0_Li16ELi128ELi256ELb1ELi14EL8MFMAType0EEvPKT_PKT0_S9_ifPKiSB_SB_iPKfiiiPfSE_PS4_PT2_iSD_SD_: ; @_Z39paged_attention_ll4mi_QKV_mfma16_kernelI14__hip_bfloat16hLN4vllm18Fp8KVCacheDataTypeE1ES0_Li16ELi128ELi256ELb1ELi14EL8MFMAType0EEvPKT_PKT0_S9_ifPKiSB_SB_iPKfiiiPfSE_PS4_PT2_iSD_SD_
; %bb.0:
	s_load_b64 s[4:5], s[0:1], 0x30
	s_mov_b32 s30, s13
	s_waitcnt lgkmcnt(0)
	s_cmp_lg_u64 s[4:5], 0
	s_cselect_b32 s13, -1, 0
	s_ashr_i32 s31, s30, 31
	s_cmp_eq_u64 s[4:5], 0
	s_cbranch_scc1 .LBB1835_3
; %bb.1:
	s_lshl_b64 s[2:3], s[30:31], 2
	s_delay_alu instid0(SALU_CYCLE_1) | instskip(SKIP_4) | instid1(SALU_CYCLE_1)
	s_add_u32 s2, s4, s2
	s_addc_u32 s3, s5, s3
	s_load_b64 s[2:3], s[2:3], 0x0
	s_waitcnt lgkmcnt(0)
	s_sub_i32 s2, s3, s2
	s_cmp_eq_u32 s2, 1
	s_cselect_b32 s2, -1, 0
	s_delay_alu instid0(SALU_CYCLE_1)
	s_and_not1_b32 vcc_lo, exec_lo, s2
	s_cbranch_vccz .LBB1835_4
.LBB1835_2:
	s_endpgm
.LBB1835_3:
.LBB1835_4:
	s_load_b64 s[2:3], s[0:1], 0x28
	s_lshl_b64 s[6:7], s[30:31], 2
	s_waitcnt lgkmcnt(0)
	s_add_u32 s2, s2, s6
	s_addc_u32 s3, s3, s7
	s_lshl_b32 s12, s14, 8
	s_load_b32 s17, s[2:3], 0x0
	s_waitcnt lgkmcnt(0)
	s_cmp_ge_i32 s12, s17
	s_cbranch_scc1 .LBB1835_2
; %bb.5:
	s_clause 0x1
	s_load_b128 s[8:11], s[0:1], 0x8
	s_load_b64 s[2:3], s[0:1], 0x20
	s_and_not1_b32 vcc_lo, exec_lo, s13
	s_cbranch_vccnz .LBB1835_7
; %bb.6:
	s_add_u32 s4, s4, s6
	s_addc_u32 s5, s5, s7
	s_load_b32 s13, s[4:5], 0x0
	s_branch .LBB1835_8
.LBB1835_7:
	s_mov_b32 s13, s30
.LBB1835_8:
	s_load_b128 s[4:7], s[0:1], 0x48
	v_and_b32_e32 v65, 15, v0
	v_lshrrev_b32_e32 v66, 5, v0
	v_and_b32_e32 v67, 31, v0
	v_and_b32_e32 v75, 1, v0
	v_bfe_u32 v74, v0, 4, 1
	v_lshlrev_b32_e32 v1, 3, v65
	s_mul_i32 s29, s15, 14
	s_waitcnt lgkmcnt(0)
	s_mov_b32 s7, exec_lo
	s_delay_alu instid0(VALU_DEP_1)
	v_lshlrev_b32_e32 v73, 1, v1
	v_cmpx_gt_u32_e32 0xe0, v0
	s_cbranch_execz .LBB1835_10
; %bb.9:
	s_load_b64 s[18:19], s[0:1], 0x0
	v_lshl_or_b32 v5, v66, 1, v74
	s_mul_hi_i32 s21, s13, s4
	s_mul_i32 s20, s13, s4
	v_lshlrev_b32_e32 v6, 10, v65
	s_lshl_b64 s[20:21], s[20:21], 1
	v_add_lshl_u32 v1, v5, s29, 7
	v_lshlrev_b32_e32 v5, 6, v5
	v_lshlrev_b32_e32 v7, 10, v75
	v_and_b32_e32 v6, 0x3800, v6
	s_delay_alu instid0(VALU_DEP_4) | instskip(NEXT) | instid1(VALU_DEP_2)
	v_ashrrev_i32_e32 v2, 31, v1
	v_or3_b32 v5, v6, v7, v5
	s_delay_alu instid0(VALU_DEP_2) | instskip(SKIP_3) | instid1(VALU_DEP_1)
	v_lshlrev_b64 v[1:2], 1, v[1:2]
	s_waitcnt lgkmcnt(0)
	s_add_u32 s4, s18, s20
	s_addc_u32 s13, s19, s21
	v_add_co_u32 v1, vcc_lo, s4, v1
	s_delay_alu instid0(VALU_DEP_2) | instskip(NEXT) | instid1(VALU_DEP_2)
	v_add_co_ci_u32_e32 v2, vcc_lo, s13, v2, vcc_lo
	v_add_co_u32 v1, vcc_lo, v1, v73
	s_delay_alu instid0(VALU_DEP_2)
	v_add_co_ci_u32_e32 v2, vcc_lo, 0, v2, vcc_lo
	global_load_b128 v[1:4], v[1:2], off
	s_waitcnt vmcnt(0)
	ds_store_b128 v5, v[1:4]
.LBB1835_10:
	s_or_b32 exec_lo, exec_lo, s7
	v_and_b32_e32 v1, 0xef, v0
	s_add_i32 s4, s17, 15
	s_clause 0x1
	s_load_b32 s7, s[0:1], 0x38
	s_load_b32 s18, s[0:1], 0x1c
	s_ashr_i32 s13, s4, 31
	v_add_nc_u32_e32 v1, s12, v1
	s_lshr_b32 s13, s13, 28
	s_waitcnt lgkmcnt(0)
	s_add_i32 s4, s4, s13
	s_barrier
	v_ashrrev_i32_e32 v2, 31, v1
	v_or_b32_e32 v3, 16, v1
	s_ashr_i32 s4, s4, 4
	v_cmp_gt_i32_e32 vcc_lo, s17, v1
	s_add_i32 s4, s4, -1
	v_lshrrev_b32_e32 v2, 28, v2
	buffer_gl0_inv
	s_mul_i32 s15, s15, s6
	v_add_nc_u32_e32 v4, v1, v2
	s_mul_i32 s20, s30, s7
	s_delay_alu instid0(SALU_CYCLE_1) | instskip(NEXT) | instid1(VALU_DEP_1)
	s_ashr_i32 s21, s20, 31
	v_ashrrev_i32_e32 v4, 4, v4
	v_add_nc_u32_e32 v2, v3, v2
	s_lshl_b64 s[20:21], s[20:21], 2
	s_delay_alu instid0(SALU_CYCLE_1) | instskip(NEXT) | instid1(VALU_DEP_2)
	s_add_u32 s13, s2, s20
	v_cndmask_b32_e32 v1, s4, v4, vcc_lo
	s_delay_alu instid0(VALU_DEP_2)
	v_ashrrev_i32_e32 v2, 4, v2
	v_cmp_gt_i32_e32 vcc_lo, s17, v3
	s_addc_u32 s16, s3, s21
	s_ashr_i32 s19, s15, 31
	s_add_u32 s26, s8, s15
	s_addc_u32 s27, s9, s19
	v_cndmask_b32_e32 v3, s4, v2, vcc_lo
	v_ashrrev_i32_e32 v2, 31, v1
	s_lshl_b32 s2, s14, 4
	s_delay_alu instid0(SALU_CYCLE_1) | instskip(NEXT) | instid1(VALU_DEP_2)
	s_ashr_i32 s3, s2, 31
	v_ashrrev_i32_e32 v4, 31, v3
	s_delay_alu instid0(VALU_DEP_2) | instskip(SKIP_1) | instid1(SALU_CYCLE_1)
	v_lshlrev_b64 v[1:2], 2, v[1:2]
	s_lshl_b64 s[2:3], s[2:3], 2
	s_add_u32 s2, s13, s2
	s_delay_alu instid0(VALU_DEP_2) | instskip(SKIP_1) | instid1(VALU_DEP_2)
	v_lshlrev_b64 v[3:4], 2, v[3:4]
	s_addc_u32 s3, s16, s3
	v_add_co_u32 v1, vcc_lo, s13, v1
	v_add_co_ci_u32_e32 v2, vcc_lo, s16, v2, vcc_lo
	s_delay_alu instid0(VALU_DEP_3) | instskip(NEXT) | instid1(VALU_DEP_4)
	v_add_co_u32 v3, vcc_lo, s13, v3
	v_add_co_ci_u32_e32 v4, vcc_lo, s16, v4, vcc_lo
	s_clause 0x1
	global_load_b32 v5, v[1:2], off
	global_load_b32 v3, v[3:4], off
	s_or_b32 s6, s12, 32
	v_cmp_gt_u32_e32 vcc_lo, 14, v65
	s_ashr_i32 s7, s6, 4
	s_cmp_lt_i32 s6, s17
	s_cselect_b32 s6, s7, s4
	s_delay_alu instid0(SALU_CYCLE_1) | instskip(NEXT) | instid1(SALU_CYCLE_1)
	s_ashr_i32 s7, s6, 31
	s_lshl_b64 s[6:7], s[6:7], 2
	s_delay_alu instid0(SALU_CYCLE_1) | instskip(SKIP_2) | instid1(SALU_CYCLE_1)
	s_add_u32 s6, s13, s6
	s_addc_u32 s7, s16, s7
	s_or_b32 s8, s12, 64
	s_ashr_i32 s9, s8, 4
	s_cmp_lt_i32 s8, s17
	s_cselect_b32 s8, s9, s4
	s_delay_alu instid0(SALU_CYCLE_1) | instskip(NEXT) | instid1(SALU_CYCLE_1)
	s_ashr_i32 s9, s8, 31
	s_lshl_b64 s[8:9], s[8:9], 2
	s_delay_alu instid0(SALU_CYCLE_1) | instskip(SKIP_2) | instid1(SALU_CYCLE_1)
	s_add_u32 s8, s13, s8
	s_addc_u32 s9, s16, s9
	s_or_b32 s20, s12, 0x60
	;; [unrolled: 10-line block ×4, first 2 shown]
	s_ashr_i32 s25, s24, 4
	s_cmp_lt_i32 s24, s17
	s_cselect_b32 s24, s25, s4
	s_delay_alu instid0(SALU_CYCLE_1) | instskip(NEXT) | instid1(SALU_CYCLE_1)
	s_ashr_i32 s25, s24, 31
	s_lshl_b64 s[24:25], s[24:25], 2
	s_delay_alu instid0(SALU_CYCLE_1)
	s_add_u32 s24, s13, s24
	s_addc_u32 s25, s16, s25
	s_clause 0x5
	s_load_b32 s28, s[2:3], 0x0
	s_load_b32 s31, s[6:7], 0x0
	;; [unrolled: 1-line block ×6, first 2 shown]
	s_mov_b32 s20, 0
	s_or_b32 s2, s12, 0xc0
	s_mov_b32 s21, s20
	s_mov_b32 s22, s20
	;; [unrolled: 1-line block ×5, first 2 shown]
	v_lshlrev_b32_e32 v1, 4, v0
	s_ashr_i32 s3, s2, 4
	s_cmp_lt_i32 s2, s17
	s_cselect_b32 s2, s3, s4
	s_delay_alu instid0(VALU_DEP_1) | instskip(SKIP_1) | instid1(SALU_CYCLE_1)
	v_and_b32_e32 v1, 0xf0, v1
	s_ashr_i32 s3, s2, 31
	s_lshl_b64 s[2:3], s[2:3], 2
	s_delay_alu instid0(VALU_DEP_1) | instskip(NEXT) | instid1(VALU_DEP_1)
	v_add_co_u32 v1, s26, s26, v1
	v_add_co_ci_u32_e64 v2, null, s27, 0, s26
	s_add_u32 s2, s13, s2
	s_addc_u32 s3, s16, s3
	s_or_b32 s6, s12, 0xe0
	s_mov_b32 s27, s20
	s_ashr_i32 s7, s6, 4
	s_cmp_lt_i32 s6, s17
	s_mov_b32 s26, s20
	v_dual_mov_b32 v107, s27 :: v_dual_mov_b32 v100, s20
	s_cselect_b32 s6, s7, s4
	v_mov_b32_e32 v106, s26
	s_ashr_i32 s7, s6, 31
	v_mov_b32_e32 v104, s24
	s_lshl_b64 s[6:7], s[6:7], 2
	v_dual_mov_b32 v103, s23 :: v_dual_mov_b32 v102, s22
	v_mov_b32_e32 v101, s21
	s_waitcnt vmcnt(1)
	v_mad_i64_i32 v[33:34], null, v5, s5, v[1:2]
	s_waitcnt vmcnt(0)
	v_mad_i64_i32 v[35:36], null, v3, s5, v[1:2]
	s_clause 0xf
	global_load_b128 v[1:4], v[33:34], off
	global_load_b128 v[5:8], v[33:34], off offset:256
	global_load_b128 v[9:12], v[35:36], off
	global_load_b128 v[13:16], v[35:36], off offset:256
	global_load_b128 v[17:20], v[33:34], off offset:512
	global_load_b128 v[21:24], v[33:34], off offset:768
	global_load_b128 v[25:28], v[35:36], off offset:512
	global_load_b128 v[29:32], v[35:36], off offset:768
	global_load_b128 v[57:60], v[33:34], off offset:1024
	global_load_b128 v[61:64], v[33:34], off offset:1280
	global_load_b128 v[76:79], v[35:36], off offset:1024
	global_load_b128 v[80:83], v[35:36], off offset:1280
	global_load_b128 v[84:87], v[33:34], off offset:1536
	global_load_b128 v[88:91], v[33:34], off offset:1792
	global_load_b128 v[92:95], v[35:36], off offset:1536
	global_load_b128 v[96:99], v[35:36], off offset:1792
	v_add_nc_u32_e32 v33, -14, v65
	v_lshlrev_b32_e32 v34, 4, v65
	s_delay_alu instid0(VALU_DEP_2) | instskip(SKIP_1) | instid1(VALU_DEP_3)
	v_cndmask_b32_e32 v33, v33, v65, vcc_lo
	v_mov_b32_e32 v105, s25
	v_lshl_or_b32 v41, v66, 8, v34
	s_delay_alu instid0(VALU_DEP_3)
	v_lshlrev_b32_e32 v72, 6, v33
	ds_load_b128 v[33:36], v72
	ds_load_b128 v[37:40], v72 offset:1024
	ds_load_b128 v[108:111], v72 offset:2048
	;; [unrolled: 1-line block ×3, first 2 shown]
	s_load_b32 s4, s[2:3], 0x0
	s_add_u32 s2, s13, s6
	s_addc_u32 s3, s16, s7
	ds_load_b128 v[116:119], v72 offset:4096
	ds_load_b128 v[120:123], v72 offset:5120
	s_load_b32 s2, s[2:3], 0x0
	s_add_u32 s6, s10, s15
	s_addc_u32 s7, s11, s19
	v_add_co_u32 v68, s6, s6, v41
	s_delay_alu instid0(VALU_DEP_1) | instskip(SKIP_1) | instid1(VALU_DEP_1)
	v_add_co_ci_u32_e64 v69, null, s7, 0, s6
	s_waitcnt lgkmcnt(0)
	v_mad_i64_i32 v[41:42], null, s28, s5, v[68:69]
	v_mad_i64_i32 v[70:71], null, s8, s5, v[68:69]
	;; [unrolled: 1-line block ×7, first 2 shown]
	s_clause 0x3
	global_load_b128 v[49:52], v[41:42], off
	global_load_b128 v[53:56], v[41:42], off offset:16
	global_load_b128 v[41:44], v[45:46], off
	global_load_b128 v[45:48], v[45:46], off offset:16
	s_waitcnt vmcnt(18)
	v_wmma_f32_16x16x16_bf16 v[124:131], v[1:8], v[33:40], v[100:107]
	s_waitcnt vmcnt(16)
	v_wmma_f32_16x16x16_bf16 v[100:107], v[9:16], v[33:40], v[100:107]
	s_clause 0x1
	global_load_b128 v[33:36], v[70:71], off
	global_load_b128 v[37:40], v[70:71], off offset:16
	v_mad_i64_i32 v[70:71], null, s2, s5, v[68:69]
	s_waitcnt vmcnt(16)
	v_wmma_f32_16x16x16_bf16 v[124:131], v[17:24], v[108:115], v[124:131]
	s_waitcnt vmcnt(14)
	v_wmma_f32_16x16x16_bf16 v[100:107], v[25:32], v[108:115], v[100:107]
	s_clause 0x7
	global_load_b128 v[25:28], v[132:133], off
	global_load_b128 v[29:32], v[132:133], off offset:16
	global_load_b128 v[1:4], v[134:135], off
	global_load_b128 v[5:8], v[134:135], off offset:16
	;; [unrolled: 2-line block ×4, first 2 shown]
	s_waitcnt vmcnt(20)
	v_wmma_f32_16x16x16_bf16 v[124:131], v[57:64], v[116:123], v[124:131]
	s_clause 0x1
	global_load_b128 v[57:60], v[70:71], off
	global_load_b128 v[61:64], v[70:71], off offset:16
	s_waitcnt vmcnt(20)
	v_wmma_f32_16x16x16_bf16 v[100:107], v[76:83], v[116:123], v[100:107]
	ds_load_b128 v[76:79], v72 offset:6144
	ds_load_b128 v[80:83], v72 offset:7168
	v_and_b32_e32 v68, 0xe0, v0
	v_mbcnt_lo_u32_b32 v69, -1, 0
	s_waitcnt vmcnt(0) lgkmcnt(0)
	s_barrier
	buffer_gl0_inv
	v_add_nc_u32_e32 v68, s12, v68
	v_xor_b32_e32 v70, 16, v69
	s_delay_alu instid0(VALU_DEP_2) | instskip(NEXT) | instid1(VALU_DEP_2)
	v_or_b32_e32 v68, v68, v74
	v_cmp_gt_i32_e32 vcc_lo, 32, v70
	s_delay_alu instid0(VALU_DEP_2)
	v_or_b32_e32 v71, 4, v68
	v_or_b32_e32 v72, 6, v68
	v_cmp_gt_i32_e64 s2, s17, v68
	v_or_b32_e32 v108, 8, v68
	v_wmma_f32_16x16x16_bf16 v[124:131], v[84:91], v[76:83], v[124:131]
	v_cndmask_b32_e32 v69, v69, v70, vcc_lo
	v_or_b32_e32 v70, 2, v68
	v_wmma_f32_16x16x16_bf16 v[100:107], v[92:99], v[76:83], v[100:107]
	v_or_b32_e32 v109, 10, v68
	v_dual_mul_f32 v82, s18, v127 :: v_dual_mul_f32 v79, s18, v130
	v_dual_mul_f32 v92, s18, v125 :: v_dual_mul_f32 v93, s18, v124
	s_delay_alu instid0(VALU_DEP_4)
	v_mul_f32_e32 v98, s18, v103
	v_cmp_gt_i32_e32 vcc_lo, s17, v70
	v_or_b32_e32 v89, 22, v68
	v_dual_mul_f32 v83, s18, v126 :: v_dual_mul_f32 v96, s18, v105
	v_cndmask_b32_e64 v93, 0xff7fffff, v93, s2
	v_cndmask_b32_e32 v92, 0xff7fffff, v92, vcc_lo
	v_cmp_gt_i32_e64 s3, s17, v71
	v_cmp_gt_i32_e64 s4, s17, v72
	v_or_b32_e32 v84, 12, v68
	v_or_b32_e32 v85, 14, v68
	v_dual_mul_f32 v80, s18, v129 :: v_dual_mul_f32 v81, s18, v128
	v_mul_f32_e32 v94, s18, v107
	v_cndmask_b32_e64 v71, 0xff7fffff, v83, s3
	v_cndmask_b32_e64 v72, 0xff7fffff, v82, s4
	v_cmp_gt_i32_e64 s5, s17, v108
	v_cmp_gt_i32_e64 s6, s17, v109
	;; [unrolled: 1-line block ×3, first 2 shown]
	v_lshlrev_b32_e32 v89, 2, v69
	v_max3_f32 v82, v93, 0xff7fffff, v92
	v_or_b32_e32 v86, 16, v68
	v_or_b32_e32 v87, 18, v68
	v_mul_f32_e32 v78, s18, v131
	v_cndmask_b32_e64 v81, 0xff7fffff, v81, s5
	v_cndmask_b32_e64 v80, 0xff7fffff, v80, s6
	v_max3_f32 v71, v82, v71, v72
	v_cmp_gt_i32_e64 s7, s17, v84
	v_cmp_gt_i32_e64 s8, s17, v85
	v_or_b32_e32 v88, 20, v68
	v_or_b32_e32 v90, 24, v68
	v_or_b32_e32 v91, 26, v68
	v_or_b32_e32 v76, 28, v68
	v_or_b32_e32 v77, 30, v68
	v_dual_mul_f32 v95, s18, v106 :: v_dual_mul_f32 v70, s18, v101
	v_dual_mul_f32 v99, s18, v102 :: v_dual_mul_f32 v68, s18, v100
	v_cndmask_b32_e64 v72, 0xff7fffff, v79, s7
	v_cndmask_b32_e64 v78, 0xff7fffff, v78, s8
	v_max3_f32 v71, v71, v81, v80
	v_cmp_gt_i32_e64 s9, s17, v86
	v_cmp_gt_i32_e64 s10, s17, v87
	;; [unrolled: 1-line block ×3, first 2 shown]
	v_mul_f32_e32 v97, s18, v104
	v_max3_f32 v71, v71, v72, v78
	v_cndmask_b32_e64 v68, 0xff7fffff, v68, s9
	v_cndmask_b32_e64 v70, 0xff7fffff, v70, s10
	;; [unrolled: 1-line block ×4, first 2 shown]
	v_cmp_gt_i32_e64 s13, s17, v90
	v_cmp_gt_i32_e64 s15, s17, v91
	v_max3_f32 v68, v71, v68, v70
	v_cmp_gt_i32_e64 s16, s17, v76
	v_cmp_gt_i32_e64 s17, s17, v77
	v_cndmask_b32_e64 v70, 0xff7fffff, v97, s13
	v_cndmask_b32_e64 v71, 0xff7fffff, v96, s15
	v_max3_f32 v68, v68, v72, v78
	v_cndmask_b32_e64 v72, 0xff7fffff, v95, s16
	v_cndmask_b32_e64 v76, 0xff7fffff, v94, s17
	s_delay_alu instid0(VALU_DEP_3) | instskip(NEXT) | instid1(VALU_DEP_1)
	v_max3_f32 v68, v68, v70, v71
	v_max3_f32 v68, v68, v72, v76
	ds_bpermute_b32 v69, v89, v68
	s_waitcnt lgkmcnt(0)
	v_max_f32_e32 v69, v69, v69
	s_delay_alu instid0(VALU_DEP_1) | instskip(NEXT) | instid1(VALU_DEP_1)
	v_max_f32_e32 v68, v68, v69
	v_fma_f32 v69, s18, v124, -v68
	v_fma_f32 v70, s18, v125, -v68
	;; [unrolled: 1-line block ×5, first 2 shown]
	s_delay_alu instid0(VALU_DEP_4) | instskip(NEXT) | instid1(VALU_DEP_4)
	v_dual_mul_f32 v69, 0x3fb8aa3b, v69 :: v_dual_mul_f32 v70, 0x3fb8aa3b, v70
	v_mul_f32_e32 v72, 0x3fb8aa3b, v72
	v_fma_f32 v78, s18, v130, -v68
	s_delay_alu instid0(VALU_DEP_4) | instskip(NEXT) | instid1(VALU_DEP_4)
	v_mul_f32_e32 v77, 0x3fb8aa3b, v76
	v_exp_f32_e32 v69, v69
	v_exp_f32_e32 v70, v70
	v_mul_f32_e32 v71, 0x3fb8aa3b, v71
	v_exp_f32_e32 v72, v72
	v_mul_f32_e32 v78, 0x3fb8aa3b, v78
	v_exp_f32_e32 v77, v77
	v_fma_f32 v81, s18, v105, -v68
	s_delay_alu instid0(VALU_DEP_2)
	v_exp_f32_e32 v78, v78
	v_cndmask_b32_e64 v80, 0, v69, s2
	v_cndmask_b32_e32 v76, 0, v70, vcc_lo
	v_exp_f32_e32 v71, v71
	v_fma_f32 v69, s18, v129, -v68
	v_cndmask_b32_e64 v85, 0, v72, s4
	v_add_f32_e32 v70, 0, v80
	s_delay_alu instid0(TRANS32_DEP_3)
	v_cndmask_b32_e64 v86, 0, v77, s5
	v_fma_f32 v77, s18, v101, -v68
	v_mul_f32_e32 v69, 0x3fb8aa3b, v69
	v_fma_f32 v72, s18, v100, -v68
	v_cndmask_b32_e64 v84, 0, v78, s7
	v_fma_f32 v78, s18, v103, -v68
	v_cndmask_b32_e64 v83, 0, v71, s3
	v_fma_f32 v71, s18, v131, -v68
	v_add_f32_e32 v70, v70, v76
	v_exp_f32_e32 v69, v69
	v_mul_f32_e32 v77, 0x3fb8aa3b, v77
	v_mul_f32_e32 v81, 0x3fb8aa3b, v81
	;; [unrolled: 1-line block ×3, first 2 shown]
	v_add_f32_e32 v70, v70, v83
	s_mov_b32 s2, exec_lo
	v_exp_f32_e32 v77, v77
	v_exp_f32_e32 v81, v81
	;; [unrolled: 1-line block ×3, first 2 shown]
	v_cndmask_b32_e64 v87, 0, v69, s6
	v_add_f32_e32 v70, v70, v85
	s_delay_alu instid0(VALU_DEP_1) | instskip(SKIP_1) | instid1(VALU_DEP_2)
	v_dual_mul_f32 v72, 0x3fb8aa3b, v72 :: v_dual_add_f32 v69, v70, v86
	v_fma_f32 v70, s18, v102, -v68
	v_exp_f32_e32 v72, v72
	s_waitcnt_depctr 0xfff
	v_cndmask_b32_e64 v88, 0, v71, s8
	v_fma_f32 v71, s18, v104, -v68
	v_dual_add_f32 v69, v69, v87 :: v_dual_mul_f32 v70, 0x3fb8aa3b, v70
	s_delay_alu instid0(VALU_DEP_2) | instskip(NEXT) | instid1(VALU_DEP_2)
	v_dual_mul_f32 v78, 0x3fb8aa3b, v78 :: v_dual_mul_f32 v71, 0x3fb8aa3b, v71
	v_add_f32_e32 v69, v69, v84
	s_delay_alu instid0(VALU_DEP_3) | instskip(SKIP_1) | instid1(VALU_DEP_3)
	v_exp_f32_e32 v79, v70
	v_cndmask_b32_e64 v70, 0, v72, s9
	v_exp_f32_e32 v78, v78
	v_exp_f32_e32 v82, v71
	v_add_f32_e32 v72, v69, v88
	v_cndmask_b32_e64 v69, 0, v77, s10
	v_fma_f32 v77, s18, v106, -v68
	s_delay_alu instid0(VALU_DEP_3) | instskip(NEXT) | instid1(TRANS32_DEP_3)
	v_add_f32_e32 v72, v72, v70
	v_cndmask_b32_e64 v71, 0, v79, s11
	s_delay_alu instid0(VALU_DEP_3) | instskip(NEXT) | instid1(VALU_DEP_3)
	v_mul_f32_e32 v77, 0x3fb8aa3b, v77
	v_add_f32_e32 v79, v72, v69
	s_delay_alu instid0(TRANS32_DEP_2) | instskip(NEXT) | instid1(VALU_DEP_3)
	v_cndmask_b32_e64 v72, 0, v78, s12
	v_exp_f32_e32 v90, v77
	v_cndmask_b32_e64 v77, 0, v82, s13
	s_delay_alu instid0(VALU_DEP_3) | instskip(SKIP_1) | instid1(VALU_DEP_1)
	v_add_f32_e32 v78, v79, v71
	v_fma_f32 v79, s18, v107, -v68
	v_dual_add_f32 v82, v78, v72 :: v_dual_mul_f32 v79, 0x3fb8aa3b, v79
	v_cndmask_b32_e64 v78, 0, v81, s15
	s_delay_alu instid0(VALU_DEP_2) | instskip(NEXT) | instid1(VALU_DEP_3)
	v_add_f32_e32 v81, v82, v77
	v_exp_f32_e32 v82, v79
	s_delay_alu instid0(TRANS32_DEP_2) | instskip(NEXT) | instid1(VALU_DEP_2)
	v_cndmask_b32_e64 v79, 0, v90, s16
	v_add_f32_e32 v81, v81, v78
	s_delay_alu instid0(VALU_DEP_1) | instskip(SKIP_2) | instid1(VALU_DEP_1)
	v_add_f32_e32 v90, v81, v79
	s_waitcnt_depctr 0xfff
	v_cndmask_b32_e64 v81, 0, v82, s17
	v_add_f32_e32 v82, v90, v81
	ds_bpermute_b32 v89, v89, v82
	v_cmpx_gt_u32_e32 16, v67
	s_cbranch_execz .LBB1835_12
; %bb.11:
	v_mul_u32_u24_e32 v67, 0x44, v66
	s_delay_alu instid0(VALU_DEP_1) | instskip(SKIP_1) | instid1(VALU_DEP_1)
	v_lshl_add_u32 v67, v65, 2, v67
	s_waitcnt lgkmcnt(0)
	v_dual_add_f32 v82, v82, v89 :: v_dual_add_nc_u32 v67, 0x4000, v67
	ds_store_2addr_b32 v67, v68, v82 offset1:136
.LBB1835_12:
	s_or_b32 exec_lo, exec_lo, s2
	v_lshlrev_b32_e32 v67, 2, v65
	s_waitcnt lgkmcnt(0)
	s_barrier
	buffer_gl0_inv
	v_cmp_eq_u32_e32 vcc_lo, 1, v66
	v_add_nc_u32_e32 v82, 0x4000, v67
	v_cmp_eq_u32_e64 s2, 2, v66
	v_cmp_eq_u32_e64 s4, 7, v66
	ds_load_2addr_b32 v[89:90], v82 offset1:17
	ds_load_2addr_b32 v[91:92], v82 offset0:34 offset1:51
	ds_load_2addr_b32 v[93:94], v82 offset0:68 offset1:85
	;; [unrolled: 1-line block ×4, first 2 shown]
	s_waitcnt lgkmcnt(4)
	v_max3_f32 v67, v89, 0xff7fffff, v90
	s_waitcnt lgkmcnt(3)
	s_delay_alu instid0(VALU_DEP_1) | instskip(SKIP_1) | instid1(VALU_DEP_1)
	v_max3_f32 v67, v67, v91, v92
	s_waitcnt lgkmcnt(2)
	v_max3_f32 v67, v67, v93, v94
	s_waitcnt lgkmcnt(1)
	s_delay_alu instid0(VALU_DEP_1) | instskip(NEXT) | instid1(VALU_DEP_1)
	v_max3_f32 v67, v67, v95, v96
	v_sub_f32_e32 v93, v93, v67
	s_delay_alu instid0(VALU_DEP_1) | instskip(NEXT) | instid1(VALU_DEP_1)
	v_dual_sub_f32 v68, v89, v67 :: v_dual_mul_f32 v103, 0x3fb8aa3b, v93
	v_mul_f32_e32 v68, 0x3fb8aa3b, v68
	s_delay_alu instid0(VALU_DEP_1)
	v_exp_f32_e32 v100, v68
	v_sub_f32_e32 v68, v92, v67
	v_sub_f32_e32 v99, v90, v67
	ds_load_2addr_b32 v[89:90], v82 offset0:170 offset1:187
	v_dual_mul_f32 v102, 0x3fb8aa3b, v68 :: v_dual_mul_f32 v99, 0x3fb8aa3b, v99
	s_waitcnt lgkmcnt(1)
	v_fma_f32 v68, v100, v97, 0
	s_delay_alu instid0(VALU_DEP_2) | instskip(NEXT) | instid1(VALU_DEP_2)
	v_exp_f32_e32 v102, v102
	v_exp_f32_e32 v99, v99
	s_waitcnt_depctr 0xfff
	v_fmac_f32_e32 v68, v99, v98
	v_sub_f32_e32 v91, v91, v67
	s_delay_alu instid0(VALU_DEP_1)
	v_mul_f32_e32 v101, 0x3fb8aa3b, v91
	ds_load_2addr_b32 v[91:92], v82 offset0:204 offset1:221
	v_sub_f32_e32 v97, v94, v67
	ds_load_2addr_b32 v[93:94], v82 offset0:238 offset1:255
	s_waitcnt lgkmcnt(0)
	v_exp_f32_e32 v101, v101
	s_barrier
	buffer_gl0_inv
	v_dual_fmac_f32 v68, v101, v89 :: v_dual_sub_f32 v89, v96, v67
	v_dual_sub_f32 v82, v95, v67 :: v_dual_mul_f32 v95, 0x3fb8aa3b, v97
	v_exp_f32_e32 v97, v103
	s_delay_alu instid0(VALU_DEP_2) | instskip(NEXT) | instid1(VALU_DEP_2)
	v_dual_fmac_f32 v68, v102, v90 :: v_dual_mul_f32 v89, 0x3fb8aa3b, v89
	v_mul_f32_e32 v82, 0x3fb8aa3b, v82
	s_delay_alu instid0(VALU_DEP_3) | instskip(NEXT) | instid1(VALU_DEP_2)
	v_exp_f32_e32 v95, v95
	v_exp_f32_e32 v89, v89
	s_delay_alu instid0(VALU_DEP_1)
	v_exp_f32_e32 v82, v82
	v_fmac_f32_e32 v68, v97, v91
	s_delay_alu instid0(TRANS32_DEP_3) | instid1(VALU_DEP_1)
	v_fmac_f32_e32 v68, v95, v92
	s_waitcnt_depctr 0xfff
	v_fmac_f32_e32 v68, v82, v93
	s_delay_alu instid0(VALU_DEP_1) | instskip(NEXT) | instid1(VALU_DEP_1)
	v_fmac_f32_e32 v68, v89, v94
	v_add_f32_e32 v90, 0x358637bd, v68
	s_delay_alu instid0(VALU_DEP_1) | instskip(NEXT) | instid1(VALU_DEP_1)
	v_div_scale_f32 v91, null, v90, v90, 1.0
	v_rcp_f32_e32 v92, v91
	s_waitcnt_depctr 0xfff
	v_fma_f32 v93, -v91, v92, 1.0
	s_delay_alu instid0(VALU_DEP_1) | instskip(SKIP_1) | instid1(VALU_DEP_2)
	v_dual_fmac_f32 v92, v93, v92 :: v_dual_cndmask_b32 v93, v100, v99
	v_cmp_eq_u32_e32 vcc_lo, 3, v66
	v_cndmask_b32_e64 v93, v93, v101, s2
	v_cmp_eq_u32_e64 s2, 4, v66
	s_delay_alu instid0(VALU_DEP_2) | instskip(SKIP_1) | instid1(VALU_DEP_2)
	v_cndmask_b32_e32 v93, v93, v102, vcc_lo
	v_cmp_eq_u32_e32 vcc_lo, 5, v66
	v_cndmask_b32_e64 v93, v93, v97, s2
	v_cmp_eq_u32_e64 s2, 6, v66
	s_delay_alu instid0(VALU_DEP_2) | instskip(SKIP_1) | instid1(VALU_DEP_1)
	v_cndmask_b32_e32 v93, v93, v95, vcc_lo
	v_div_scale_f32 v94, s3, 1.0, v90, 1.0
	s_mov_b32 vcc_lo, s3
	s_delay_alu instid0(VALU_DEP_2) | instskip(NEXT) | instid1(VALU_DEP_2)
	v_cndmask_b32_e64 v82, v93, v82, s2
	v_mul_f32_e32 v96, v94, v92
	s_mov_b32 s2, exec_lo
	s_delay_alu instid0(VALU_DEP_2) | instskip(NEXT) | instid1(VALU_DEP_2)
	v_cndmask_b32_e64 v82, v82, v89, s4
	v_fma_f32 v98, -v91, v96, v94
	s_delay_alu instid0(VALU_DEP_1) | instskip(NEXT) | instid1(VALU_DEP_1)
	v_fmac_f32_e32 v96, v98, v92
	v_fma_f32 v91, -v91, v96, v94
	s_delay_alu instid0(VALU_DEP_1) | instskip(NEXT) | instid1(VALU_DEP_1)
	v_div_fmas_f32 v91, v91, v92, v96
	v_div_fixup_f32 v90, v91, v90, 1.0
	s_delay_alu instid0(VALU_DEP_1) | instskip(NEXT) | instid1(VALU_DEP_1)
	v_mul_f32_e32 v82, v82, v90
	v_mul_f32_e32 v87, v82, v87
	;; [unrolled: 1-line block ×7, first 2 shown]
	v_dual_mul_f32 v86, v82, v83 :: v_dual_and_b32 v91, 0x7f800000, v90
	v_mul_f32_e32 v85, v82, v76
                                        ; implicit-def: $vgpr76
	s_delay_alu instid0(VALU_DEP_2)
	v_cmpx_ne_u32_e32 0x7f800000, v91
	s_xor_b32 s2, exec_lo, s2
; %bb.13:
	v_bfe_u32 v76, v90, 16, 1
	s_delay_alu instid0(VALU_DEP_1)
	v_add3_u32 v76, v90, v76, 0x7fff
                                        ; implicit-def: $vgpr90
; %bb.14:
	s_and_not1_saveexec_b32 s2, s2
; %bb.15:
	v_and_b32_e32 v76, 0xffff, v90
	v_or_b32_e32 v83, 0x10000, v90
	s_delay_alu instid0(VALU_DEP_2) | instskip(NEXT) | instid1(VALU_DEP_2)
	v_cmp_eq_u32_e32 vcc_lo, 0, v76
	v_cndmask_b32_e32 v76, v83, v90, vcc_lo
; %bb.16:
	s_or_b32 exec_lo, exec_lo, s2
	v_and_b32_e32 v83, 0x7f800000, v85
	s_delay_alu instid0(VALU_DEP_1) | instskip(SKIP_1) | instid1(SALU_CYCLE_1)
	v_cmp_ne_u32_e32 vcc_lo, 0x7f800000, v83
                                        ; implicit-def: $vgpr83
	s_and_saveexec_b32 s2, vcc_lo
	s_xor_b32 s2, exec_lo, s2
; %bb.17:
	v_bfe_u32 v83, v85, 16, 1
	s_delay_alu instid0(VALU_DEP_1)
	v_add3_u32 v83, v85, v83, 0x7fff
                                        ; implicit-def: $vgpr85
; %bb.18:
	s_and_not1_saveexec_b32 s2, s2
; %bb.19:
	v_and_b32_e32 v83, 0xffff, v85
	v_or_b32_e32 v90, 0x10000, v85
	s_delay_alu instid0(VALU_DEP_2) | instskip(NEXT) | instid1(VALU_DEP_2)
	v_cmp_eq_u32_e32 vcc_lo, 0, v83
	v_cndmask_b32_e32 v83, v90, v85, vcc_lo
; %bb.20:
	s_or_b32 exec_lo, exec_lo, s2
	v_and_b32_e32 v85, 0x7f800000, v86
	s_delay_alu instid0(VALU_DEP_1) | instskip(SKIP_1) | instid1(SALU_CYCLE_1)
	v_cmp_ne_u32_e32 vcc_lo, 0x7f800000, v85
                                        ; implicit-def: $vgpr85
	s_and_saveexec_b32 s2, vcc_lo
	s_xor_b32 s2, exec_lo, s2
; %bb.21:
	v_bfe_u32 v85, v86, 16, 1
	s_delay_alu instid0(VALU_DEP_1)
	v_add3_u32 v85, v86, v85, 0x7fff
                                        ; implicit-def: $vgpr86
; %bb.22:
	s_and_not1_saveexec_b32 s2, s2
; %bb.23:
	v_and_b32_e32 v85, 0xffff, v86
	v_or_b32_e32 v90, 0x10000, v86
	s_delay_alu instid0(VALU_DEP_2) | instskip(NEXT) | instid1(VALU_DEP_2)
	v_cmp_eq_u32_e32 vcc_lo, 0, v85
	v_cndmask_b32_e32 v85, v90, v86, vcc_lo
; %bb.24:
	s_or_b32 exec_lo, exec_lo, s2
	v_and_b32_e32 v86, 0x7f800000, v89
	s_delay_alu instid0(VALU_DEP_1) | instskip(SKIP_1) | instid1(SALU_CYCLE_1)
	v_cmp_ne_u32_e32 vcc_lo, 0x7f800000, v86
                                        ; implicit-def: $vgpr86
	s_and_saveexec_b32 s2, vcc_lo
	s_xor_b32 s2, exec_lo, s2
; %bb.25:
	v_bfe_u32 v86, v89, 16, 1
	s_delay_alu instid0(VALU_DEP_1)
	v_add3_u32 v86, v89, v86, 0x7fff
                                        ; implicit-def: $vgpr89
; %bb.26:
	s_and_not1_saveexec_b32 s2, s2
; %bb.27:
	v_and_b32_e32 v86, 0xffff, v89
	v_or_b32_e32 v90, 0x10000, v89
	s_delay_alu instid0(VALU_DEP_2) | instskip(NEXT) | instid1(VALU_DEP_2)
	v_cmp_eq_u32_e32 vcc_lo, 0, v86
	v_cndmask_b32_e32 v86, v90, v89, vcc_lo
; %bb.28:
	s_or_b32 exec_lo, exec_lo, s2
	v_and_b32_e32 v89, 0x7f800000, v88
	s_delay_alu instid0(VALU_DEP_1) | instskip(SKIP_1) | instid1(SALU_CYCLE_1)
	v_cmp_ne_u32_e32 vcc_lo, 0x7f800000, v89
                                        ; implicit-def: $vgpr89
	s_and_saveexec_b32 s2, vcc_lo
	s_xor_b32 s2, exec_lo, s2
; %bb.29:
	v_bfe_u32 v89, v88, 16, 1
	s_delay_alu instid0(VALU_DEP_1)
	v_add3_u32 v89, v88, v89, 0x7fff
                                        ; implicit-def: $vgpr88
; %bb.30:
	s_and_not1_saveexec_b32 s2, s2
; %bb.31:
	v_and_b32_e32 v89, 0xffff, v88
	v_or_b32_e32 v90, 0x10000, v88
	s_delay_alu instid0(VALU_DEP_2) | instskip(NEXT) | instid1(VALU_DEP_2)
	v_cmp_eq_u32_e32 vcc_lo, 0, v89
	v_cndmask_b32_e32 v89, v90, v88, vcc_lo
; %bb.32:
	s_or_b32 exec_lo, exec_lo, s2
	v_and_b32_e32 v88, 0x7f800000, v87
	s_delay_alu instid0(VALU_DEP_1) | instskip(SKIP_1) | instid1(SALU_CYCLE_1)
	v_cmp_ne_u32_e32 vcc_lo, 0x7f800000, v88
                                        ; implicit-def: $vgpr88
	s_and_saveexec_b32 s2, vcc_lo
	s_xor_b32 s2, exec_lo, s2
; %bb.33:
	v_bfe_u32 v88, v87, 16, 1
	s_delay_alu instid0(VALU_DEP_1)
	v_add3_u32 v88, v87, v88, 0x7fff
                                        ; implicit-def: $vgpr87
; %bb.34:
	s_and_not1_saveexec_b32 s2, s2
; %bb.35:
	v_and_b32_e32 v88, 0xffff, v87
	v_or_b32_e32 v90, 0x10000, v87
	s_delay_alu instid0(VALU_DEP_2) | instskip(NEXT) | instid1(VALU_DEP_2)
	v_cmp_eq_u32_e32 vcc_lo, 0, v88
	v_cndmask_b32_e32 v88, v90, v87, vcc_lo
; %bb.36:
	s_or_b32 exec_lo, exec_lo, s2
	v_and_b32_e32 v87, 0x7f800000, v84
	s_delay_alu instid0(VALU_DEP_1) | instskip(SKIP_1) | instid1(SALU_CYCLE_1)
	v_cmp_ne_u32_e32 vcc_lo, 0x7f800000, v87
                                        ; implicit-def: $vgpr87
	s_and_saveexec_b32 s2, vcc_lo
	s_xor_b32 s2, exec_lo, s2
; %bb.37:
	v_bfe_u32 v87, v84, 16, 1
	s_delay_alu instid0(VALU_DEP_1)
	v_add3_u32 v87, v84, v87, 0x7fff
                                        ; implicit-def: $vgpr84
; %bb.38:
	s_and_not1_saveexec_b32 s2, s2
; %bb.39:
	v_and_b32_e32 v87, 0xffff, v84
	v_or_b32_e32 v90, 0x10000, v84
	s_delay_alu instid0(VALU_DEP_2) | instskip(NEXT) | instid1(VALU_DEP_2)
	v_cmp_eq_u32_e32 vcc_lo, 0, v87
	v_cndmask_b32_e32 v87, v90, v84, vcc_lo
; %bb.40:
	s_or_b32 exec_lo, exec_lo, s2
	v_and_b32_e32 v84, 0x7f800000, v80
	s_delay_alu instid0(VALU_DEP_1) | instskip(SKIP_1) | instid1(SALU_CYCLE_1)
	v_cmp_ne_u32_e32 vcc_lo, 0x7f800000, v84
                                        ; implicit-def: $vgpr84
	s_and_saveexec_b32 s2, vcc_lo
	s_xor_b32 s2, exec_lo, s2
; %bb.41:
	v_bfe_u32 v84, v80, 16, 1
	s_delay_alu instid0(VALU_DEP_1)
	v_add3_u32 v84, v80, v84, 0x7fff
                                        ; implicit-def: $vgpr80
; %bb.42:
	s_and_not1_saveexec_b32 s2, s2
; %bb.43:
	v_and_b32_e32 v84, 0xffff, v80
	v_or_b32_e32 v90, 0x10000, v80
	s_delay_alu instid0(VALU_DEP_2) | instskip(NEXT) | instid1(VALU_DEP_2)
	v_cmp_eq_u32_e32 vcc_lo, 0, v84
	v_cndmask_b32_e32 v84, v90, v80, vcc_lo
; %bb.44:
	s_or_b32 exec_lo, exec_lo, s2
	s_load_b64 s[34:35], s[0:1], 0x94
	v_lshlrev_b32_e32 v91, 4, v74
	s_delay_alu instid0(VALU_DEP_2)
	v_perm_b32 v90, v84, v87, 0x7060302
	v_dual_mul_f32 v79, v82, v79 :: v_dual_lshlrev_b32 v80, 6, v65
	v_dual_mul_f32 v77, v82, v77 :: v_dual_lshlrev_b32 v92, 11, v66
	v_mul_f32_e32 v84, v82, v70
	v_perm_b32 v89, v88, v89, 0x7060302
	v_perm_b32 v88, v86, v85, 0x7060302
	;; [unrolled: 1-line block ×3, first 2 shown]
	v_mul_f32_e32 v70, v82, v81
	v_or3_b32 v76, v91, v92, v80
	v_dual_mul_f32 v78, v82, v78 :: v_dual_and_b32 v85, 0x7f800000, v84
	v_mul_f32_e32 v83, v82, v72
	v_mul_f32_e32 v81, v82, v71
	;; [unrolled: 1-line block ×3, first 2 shown]
	s_mov_b32 s2, exec_lo
	ds_store_b128 v76, v[87:90]
                                        ; implicit-def: $vgpr69
	v_cmpx_ne_u32_e32 0x7f800000, v85
	s_xor_b32 s2, exec_lo, s2
; %bb.45:
	v_bfe_u32 v69, v84, 16, 1
	s_delay_alu instid0(VALU_DEP_1)
	v_add3_u32 v69, v84, v69, 0x7fff
                                        ; implicit-def: $vgpr84
; %bb.46:
	s_and_not1_saveexec_b32 s2, s2
; %bb.47:
	v_and_b32_e32 v69, 0xffff, v84
	v_or_b32_e32 v71, 0x10000, v84
	s_delay_alu instid0(VALU_DEP_2) | instskip(NEXT) | instid1(VALU_DEP_2)
	v_cmp_eq_u32_e32 vcc_lo, 0, v69
	v_cndmask_b32_e32 v69, v71, v84, vcc_lo
; %bb.48:
	s_or_b32 exec_lo, exec_lo, s2
	v_and_b32_e32 v71, 0x7f800000, v72
	s_delay_alu instid0(VALU_DEP_1) | instskip(SKIP_1) | instid1(SALU_CYCLE_1)
	v_cmp_ne_u32_e32 vcc_lo, 0x7f800000, v71
                                        ; implicit-def: $vgpr71
	s_and_saveexec_b32 s2, vcc_lo
	s_xor_b32 s2, exec_lo, s2
; %bb.49:
	v_bfe_u32 v71, v72, 16, 1
	s_delay_alu instid0(VALU_DEP_1)
	v_add3_u32 v71, v72, v71, 0x7fff
                                        ; implicit-def: $vgpr72
; %bb.50:
	s_and_not1_saveexec_b32 s2, s2
; %bb.51:
	v_and_b32_e32 v71, 0xffff, v72
	v_or_b32_e32 v82, 0x10000, v72
	s_delay_alu instid0(VALU_DEP_2) | instskip(NEXT) | instid1(VALU_DEP_2)
	v_cmp_eq_u32_e32 vcc_lo, 0, v71
	v_cndmask_b32_e32 v71, v82, v72, vcc_lo
; %bb.52:
	s_or_b32 exec_lo, exec_lo, s2
	v_and_b32_e32 v72, 0x7f800000, v81
	s_delay_alu instid0(VALU_DEP_1) | instskip(SKIP_1) | instid1(SALU_CYCLE_1)
	v_cmp_ne_u32_e32 vcc_lo, 0x7f800000, v72
                                        ; implicit-def: $vgpr72
	s_and_saveexec_b32 s2, vcc_lo
	s_xor_b32 s2, exec_lo, s2
; %bb.53:
	v_bfe_u32 v72, v81, 16, 1
	s_delay_alu instid0(VALU_DEP_1)
	v_add3_u32 v72, v81, v72, 0x7fff
                                        ; implicit-def: $vgpr81
; %bb.54:
	s_and_not1_saveexec_b32 s2, s2
; %bb.55:
	v_and_b32_e32 v72, 0xffff, v81
	v_or_b32_e32 v82, 0x10000, v81
	s_delay_alu instid0(VALU_DEP_2) | instskip(NEXT) | instid1(VALU_DEP_2)
	v_cmp_eq_u32_e32 vcc_lo, 0, v72
	v_cndmask_b32_e32 v72, v82, v81, vcc_lo
; %bb.56:
	s_or_b32 exec_lo, exec_lo, s2
	v_and_b32_e32 v81, 0x7f800000, v83
	s_delay_alu instid0(VALU_DEP_1) | instskip(SKIP_1) | instid1(SALU_CYCLE_1)
	v_cmp_ne_u32_e32 vcc_lo, 0x7f800000, v81
                                        ; implicit-def: $vgpr81
	s_and_saveexec_b32 s2, vcc_lo
	s_xor_b32 s2, exec_lo, s2
; %bb.57:
	v_bfe_u32 v81, v83, 16, 1
	s_delay_alu instid0(VALU_DEP_1)
	v_add3_u32 v81, v83, v81, 0x7fff
                                        ; implicit-def: $vgpr83
; %bb.58:
	s_and_not1_saveexec_b32 s2, s2
; %bb.59:
	v_and_b32_e32 v81, 0xffff, v83
	v_or_b32_e32 v82, 0x10000, v83
	s_delay_alu instid0(VALU_DEP_2) | instskip(NEXT) | instid1(VALU_DEP_2)
	v_cmp_eq_u32_e32 vcc_lo, 0, v81
	v_cndmask_b32_e32 v81, v82, v83, vcc_lo
; %bb.60:
	s_or_b32 exec_lo, exec_lo, s2
	v_and_b32_e32 v82, 0x7f800000, v77
	s_delay_alu instid0(VALU_DEP_1) | instskip(SKIP_1) | instid1(SALU_CYCLE_1)
	v_cmp_ne_u32_e32 vcc_lo, 0x7f800000, v82
                                        ; implicit-def: $vgpr82
	s_and_saveexec_b32 s2, vcc_lo
	s_xor_b32 s2, exec_lo, s2
; %bb.61:
	v_bfe_u32 v82, v77, 16, 1
	s_delay_alu instid0(VALU_DEP_1)
	v_add3_u32 v82, v77, v82, 0x7fff
                                        ; implicit-def: $vgpr77
; %bb.62:
	s_and_not1_saveexec_b32 s2, s2
; %bb.63:
	v_and_b32_e32 v82, 0xffff, v77
	v_or_b32_e32 v83, 0x10000, v77
	s_delay_alu instid0(VALU_DEP_2) | instskip(NEXT) | instid1(VALU_DEP_2)
	v_cmp_eq_u32_e32 vcc_lo, 0, v82
	v_cndmask_b32_e32 v82, v83, v77, vcc_lo
; %bb.64:
	s_or_b32 exec_lo, exec_lo, s2
	v_and_b32_e32 v77, 0x7f800000, v78
	s_delay_alu instid0(VALU_DEP_1) | instskip(SKIP_1) | instid1(SALU_CYCLE_1)
	v_cmp_ne_u32_e32 vcc_lo, 0x7f800000, v77
                                        ; implicit-def: $vgpr77
	s_and_saveexec_b32 s2, vcc_lo
	s_xor_b32 s2, exec_lo, s2
; %bb.65:
	v_bfe_u32 v77, v78, 16, 1
	s_delay_alu instid0(VALU_DEP_1)
	v_add3_u32 v77, v78, v77, 0x7fff
                                        ; implicit-def: $vgpr78
; %bb.66:
	s_and_not1_saveexec_b32 s2, s2
; %bb.67:
	v_and_b32_e32 v77, 0xffff, v78
	v_or_b32_e32 v83, 0x10000, v78
	s_delay_alu instid0(VALU_DEP_2) | instskip(NEXT) | instid1(VALU_DEP_2)
	v_cmp_eq_u32_e32 vcc_lo, 0, v77
	v_cndmask_b32_e32 v77, v83, v78, vcc_lo
; %bb.68:
	s_or_b32 exec_lo, exec_lo, s2
	v_and_b32_e32 v78, 0x7f800000, v79
	s_delay_alu instid0(VALU_DEP_1) | instskip(SKIP_1) | instid1(SALU_CYCLE_1)
	v_cmp_ne_u32_e32 vcc_lo, 0x7f800000, v78
                                        ; implicit-def: $vgpr78
	s_and_saveexec_b32 s2, vcc_lo
	s_xor_b32 s2, exec_lo, s2
; %bb.69:
	v_bfe_u32 v78, v79, 16, 1
	s_delay_alu instid0(VALU_DEP_1)
	v_add3_u32 v78, v79, v78, 0x7fff
                                        ; implicit-def: $vgpr79
; %bb.70:
	s_and_not1_saveexec_b32 s2, s2
; %bb.71:
	v_and_b32_e32 v78, 0xffff, v79
	v_or_b32_e32 v83, 0x10000, v79
	s_delay_alu instid0(VALU_DEP_2) | instskip(NEXT) | instid1(VALU_DEP_2)
	v_cmp_eq_u32_e32 vcc_lo, 0, v78
	v_cndmask_b32_e32 v78, v83, v79, vcc_lo
; %bb.72:
	s_or_b32 exec_lo, exec_lo, s2
	v_and_b32_e32 v79, 0x7f800000, v70
	s_delay_alu instid0(VALU_DEP_1) | instskip(SKIP_1) | instid1(SALU_CYCLE_1)
	v_cmp_ne_u32_e32 vcc_lo, 0x7f800000, v79
                                        ; implicit-def: $vgpr79
	s_and_saveexec_b32 s2, vcc_lo
	s_xor_b32 s2, exec_lo, s2
; %bb.73:
	v_bfe_u32 v79, v70, 16, 1
	s_delay_alu instid0(VALU_DEP_1)
	v_add3_u32 v79, v70, v79, 0x7fff
                                        ; implicit-def: $vgpr70
; %bb.74:
	s_and_not1_saveexec_b32 s2, s2
; %bb.75:
	v_and_b32_e32 v79, 0xffff, v70
	v_or_b32_e32 v83, 0x10000, v70
	s_delay_alu instid0(VALU_DEP_2) | instskip(NEXT) | instid1(VALU_DEP_2)
	v_cmp_eq_u32_e32 vcc_lo, 0, v79
	v_cndmask_b32_e32 v79, v83, v70, vcc_lo
; %bb.76:
	s_or_b32 exec_lo, exec_lo, s2
	s_delay_alu instid0(VALU_DEP_1)
	v_perm_b32 v86, v79, v78, 0x7060302
	v_perm_b32 v85, v77, v82, 0x7060302
	v_perm_b32 v84, v81, v72, 0x7060302
	v_perm_b32 v83, v71, v69, 0x7060302
	v_lshl_or_b32 v82, v66, 11, v80
	ds_store_b128 v76, v[83:86] offset:1024
	s_waitcnt lgkmcnt(0)
	s_barrier
	buffer_gl0_inv
	ds_load_b128 v[69:72], v82
	ds_load_b128 v[83:86], v82 offset:16
	s_waitcnt lgkmcnt(1)
	v_lshrrev_b32_e32 v66, 16, v69
	s_waitcnt lgkmcnt(0)
	v_lshrrev_b32_e32 v91, 16, v83
	v_lshlrev_b32_e32 v78, 2, v74
	v_lshrrev_b32_e32 v95, 16, v70
	v_lshrrev_b32_e32 v98, 16, v84
	v_lshrrev_b32_e32 v96, 16, v71
	v_lshrrev_b32_e32 v99, 16, v85
	v_cmp_eq_u32_e32 vcc_lo, 1, v78
	v_lshrrev_b32_e32 v97, 16, v72
	v_lshrrev_b32_e32 v100, 16, v86
	v_cndmask_b32_e32 v87, v83, v91, vcc_lo
	v_or_b32_e32 v79, 1, v78
	v_cndmask_b32_e32 v81, v69, v66, vcc_lo
	v_cmp_eq_u32_e64 s3, 2, v78
	v_cmp_eq_u32_e64 s6, 3, v78
	;; [unrolled: 1-line block ×5, first 2 shown]
	v_cndmask_b32_e64 v81, v81, v70, s3
	v_cndmask_b32_e64 v87, v87, v84, s3
	v_cmp_eq_u32_e64 s7, 3, v79
	v_cndmask_b32_e64 v88, v69, v66, s2
	v_or_b32_e32 v77, 2, v78
	v_cndmask_b32_e64 v81, v81, v95, s6
	v_cndmask_b32_e64 v87, v87, v98, s6
	;; [unrolled: 1-line block ×4, first 2 shown]
	v_cmp_eq_u32_e64 s9, 5, v78
	v_cndmask_b32_e64 v81, v81, v71, s8
	v_cndmask_b32_e64 v87, v87, v85, s8
	v_cmp_eq_u32_e64 s10, 4, v79
	v_cndmask_b32_e64 v88, v88, v95, s7
	v_cmp_eq_u32_e64 s4, 1, v77
	v_cndmask_b32_e64 v89, v89, v84, s5
	v_cndmask_b32_e64 v81, v81, v96, s9
	v_cmp_eq_u32_e64 s11, 6, v78
	v_cndmask_b32_e64 v88, v88, v71, s10
	;; [unrolled: 3-line block ×3, first 2 shown]
	v_cndmask_b32_e64 v89, v89, v98, s7
	v_cndmask_b32_e64 v81, v81, v72, s11
	v_cmp_eq_u32_e64 s13, 7, v78
	v_cndmask_b32_e64 v88, v88, v96, s12
	v_cndmask_b32_e64 v87, v87, v86, s11
	v_cmp_eq_u32_e64 s15, 6, v79
	v_cmp_eq_u32_e64 s16, 2, v77
	v_cndmask_b32_e64 v89, v89, v85, s10
	v_cndmask_b32_e64 v101, v81, v97, s13
	;; [unrolled: 1-line block ×6, first 2 shown]
	v_cmp_eq_u32_e64 s17, 7, v79
	v_cmp_eq_u32_e64 s18, 3, v77
	v_cmp_eq_u32_e64 s19, 4, v77
	v_cmp_eq_u32_e64 s21, 5, v77
	v_cndmask_b32_e64 v87, v87, v84, s16
	v_cndmask_b32_e64 v103, v88, v97, s17
	;; [unrolled: 1-line block ×4, first 2 shown]
	v_or_b32_e32 v81, 3, v78
	v_cndmask_b32_e64 v93, v87, v98, s18
	v_cmp_eq_u32_e64 s23, 6, v77
	v_cndmask_b32_e64 v104, v88, v86, s15
	v_cndmask_b32_e64 v92, v89, v71, s19
	v_cmp_eq_u32_e64 s20, 1, v81
	ds_load_b128 v[87:90], v82 offset:1024
	v_cmp_eq_u32_e64 s22, 2, v81
	v_cmp_eq_u32_e64 s24, 3, v81
	v_cndmask_b32_e64 v105, v92, v96, s21
	v_cndmask_b32_e64 v66, v69, v66, s20
	;; [unrolled: 1-line block ×4, first 2 shown]
	ds_load_b128 v[91:94], v82 offset:1040
	v_cmp_eq_u32_e64 s25, 4, v81
	v_cndmask_b32_e64 v66, v66, v70, s22
	v_cmp_eq_u32_e64 s26, 7, v77
	v_cndmask_b32_e64 v70, v83, v84, s22
	v_cndmask_b32_e64 v84, v105, v72, s23
	v_cmp_eq_u32_e64 s27, 5, v81
	v_cndmask_b32_e64 v66, v66, v95, s24
	v_cmp_eq_u32_e64 s28, 6, v81
	v_cndmask_b32_e64 v70, v70, v98, s24
	v_cndmask_b32_e64 v69, v69, v99, s21
	;; [unrolled: 1-line block ×4, first 2 shown]
	s_waitcnt lgkmcnt(1)
	v_lshrrev_b32_e32 v95, 16, v87
	v_cndmask_b32_e64 v70, v70, v85, s25
	v_cndmask_b32_e64 v71, v84, v97, s26
	v_cndmask_b32_e64 v69, v69, v86, s23
	v_cndmask_b32_e64 v66, v66, v96, s27
	v_cndmask_b32_e32 v84, v87, v95, vcc_lo
	v_cndmask_b32_e64 v70, v70, v99, s27
	s_waitcnt lgkmcnt(0)
	v_lshrrev_b32_e32 v85, 16, v91
	v_lshrrev_b32_e32 v96, 16, v88
	v_cndmask_b32_e64 v98, v87, v95, s2
	v_cndmask_b32_e64 v84, v84, v88, s3
	;; [unrolled: 1-line block ×3, first 2 shown]
	v_cndmask_b32_e32 v99, v91, v85, vcc_lo
	v_cmp_eq_u32_e32 vcc_lo, 7, v81
	v_cndmask_b32_e64 v66, v66, v72, s28
	v_cndmask_b32_e64 v72, v84, v96, s6
	;; [unrolled: 1-line block ×3, first 2 shown]
	v_lshrrev_b32_e32 v98, 16, v92
	v_cndmask_b32_e32 v70, v70, v100, vcc_lo
	v_cndmask_b32_e64 v86, v99, v92, s3
	v_cndmask_b32_e64 v69, v69, v100, s26
	v_lshrrev_b32_e32 v100, 16, v93
	v_cndmask_b32_e64 v72, v72, v89, s8
	v_lshrrev_b32_e32 v99, 16, v89
	v_cndmask_b32_e64 v86, v86, v98, s6
	v_perm_b32 v71, v69, v71, 0x5040100
	v_cndmask_b32_e64 v84, v84, v96, s7
	s_delay_alu instid0(VALU_DEP_3) | instskip(NEXT) | instid1(VALU_DEP_2)
	v_cndmask_b32_e64 v86, v86, v93, s8
	v_cndmask_b32_e64 v84, v84, v89, s10
	s_delay_alu instid0(VALU_DEP_2) | instskip(NEXT) | instid1(VALU_DEP_1)
	v_cndmask_b32_e64 v86, v86, v100, s9
	v_cndmask_b32_e64 v69, v86, v94, s11
	;; [unrolled: 1-line block ×5, first 2 shown]
	s_delay_alu instid0(VALU_DEP_3) | instskip(NEXT) | instid1(VALU_DEP_3)
	v_cndmask_b32_e64 v86, v86, v88, s16
	v_cndmask_b32_e64 v87, v87, v88, s22
	s_delay_alu instid0(VALU_DEP_3) | instskip(NEXT) | instid1(VALU_DEP_3)
	v_cndmask_b32_e64 v88, v95, v92, s22
	v_cndmask_b32_e64 v86, v86, v96, s18
	;; [unrolled: 3-line block ×7, first 2 shown]
	s_delay_alu instid0(VALU_DEP_3) | instskip(SKIP_2) | instid1(VALU_DEP_2)
	v_cndmask_b32_e64 v88, v88, v94, s28
	v_cndmask_b32_e32 v66, v66, v97, vcc_lo
	v_cndmask_b32_e64 v97, v72, v99, s9
	v_perm_b32 v72, v70, v66, 0x5040100
	v_perm_b32 v70, v83, v103, 0x5040100
	v_cndmask_b32_e64 v103, v91, v85, s4
	v_cndmask_b32_e64 v85, v91, v85, s2
	;; [unrolled: 1-line block ×4, first 2 shown]
	v_lshrrev_b32_e32 v97, 16, v90
	v_cndmask_b32_e64 v91, v103, v92, s16
	v_cndmask_b32_e64 v85, v85, v92, s5
	;; [unrolled: 1-line block ×3, first 2 shown]
	s_mov_b32 s2, exec_lo
	v_cndmask_b32_e64 v83, v84, v97, s13
	v_cndmask_b32_e64 v91, v91, v98, s18
	;; [unrolled: 1-line block ×3, first 2 shown]
	v_lshrrev_b32_e32 v84, 16, v94
	v_cndmask_b32_e64 v66, v66, v97, s17
	v_cndmask_b32_e64 v90, v86, v97, s26
	;; [unrolled: 1-line block ×4, first 2 shown]
	v_dual_cndmask_b32 v86, v87, v97 :: v_dual_cndmask_b32 v87, v88, v84
	v_cndmask_b32_e64 v91, v69, v84, s13
	s_delay_alu instid0(VALU_DEP_4) | instskip(NEXT) | instid1(VALU_DEP_4)
	v_cndmask_b32_e64 v89, v89, v100, s21
	v_cndmask_b32_e64 v85, v85, v100, s12
	v_perm_b32 v69, v102, v101, 0x5040100
	v_perm_b32 v86, v87, v86, 0x5040100
	;; [unrolled: 1-line block ×3, first 2 shown]
	v_cndmask_b32_e64 v89, v89, v94, s23
	v_cndmask_b32_e64 v85, v85, v94, s15
	s_mul_i32 s7, s35, 14
	s_delay_alu instid0(VALU_DEP_2) | instskip(NEXT) | instid1(VALU_DEP_2)
	v_cndmask_b32_e64 v88, v89, v84, s26
	v_cndmask_b32_e64 v89, v85, v84, s17
	s_delay_alu instid0(VALU_DEP_2) | instskip(NEXT) | instid1(VALU_DEP_2)
	v_perm_b32 v85, v88, v90, 0x5040100
	v_perm_b32 v84, v89, v66, 0x5040100
	ds_store_b128 v76, v[69:72]
	ds_store_b128 v76, v[83:86] offset:1024
	v_cmpx_gt_u32_e32 14, v0
	s_cbranch_execz .LBB1835_78
; %bb.77:
	s_mul_i32 s3, s7, s30
	s_load_b128 s[8:11], s[0:1], 0x58
	v_add3_u32 v69, s3, s29, v65
	s_delay_alu instid0(VALU_DEP_1) | instskip(NEXT) | instid1(VALU_DEP_1)
	v_mad_u64_u32 v[65:66], null, v69, s34, s[14:15]
	v_ashrrev_i32_e32 v66, 31, v65
	s_delay_alu instid0(VALU_DEP_1) | instskip(SKIP_1) | instid1(VALU_DEP_1)
	v_lshlrev_b64 v[65:66], 2, v[65:66]
	s_waitcnt lgkmcnt(0)
	v_add_co_u32 v69, vcc_lo, s10, v65
	s_delay_alu instid0(VALU_DEP_2)
	v_add_co_ci_u32_e32 v70, vcc_lo, s11, v66, vcc_lo
	v_add_co_u32 v65, vcc_lo, s8, v65
	v_add_co_ci_u32_e32 v66, vcc_lo, s9, v66, vcc_lo
	global_store_b32 v[69:70], v67, off
	global_store_b32 v[65:66], v68, off
.LBB1835_78:
	s_or_b32 exec_lo, exec_lo, s2
	s_waitcnt lgkmcnt(0)
	s_waitcnt_vscnt null, 0x0
	s_barrier
	buffer_gl0_inv
	ds_load_b128 v[83:86], v80
	ds_load_b128 v[87:90], v80 offset:16
	ds_load_b128 v[95:98], v80 offset:2064
	;; [unrolled: 1-line block ×3, first 2 shown]
	v_mov_b32_e32 v65, 0
	ds_load_b128 v[103:106], v80 offset:4112
	ds_load_b128 v[99:102], v80 offset:4096
	ds_load_b128 v[111:114], v80 offset:6160
	ds_load_b128 v[107:110], v80 offset:6144
	v_mov_b32_e32 v66, v65
	v_mov_b32_e32 v67, v65
	;; [unrolled: 1-line block ×7, first 2 shown]
	s_waitcnt lgkmcnt(6)
	s_delay_alu instid0(VALU_DEP_1)
	v_wmma_f32_16x16x16_bf16 v[65:72], v[49:56], v[83:90], v[65:72]
	ds_load_b128 v[53:56], v80 offset:8208
	ds_load_b128 v[49:52], v80 offset:8192
	s_waitcnt lgkmcnt(6)
	v_wmma_f32_16x16x16_bf16 v[65:72], v[41:48], v[91:98], v[65:72]
	ds_load_b128 v[45:48], v80 offset:10256
	ds_load_b128 v[41:44], v80 offset:10240
	s_waitcnt lgkmcnt(6)
	;; [unrolled: 4-line block ×4, first 2 shown]
	v_wmma_f32_16x16x16_bf16 v[65:72], v[1:8], v[49:56], v[65:72]
	s_waitcnt lgkmcnt(4)
	s_delay_alu instid0(VALU_DEP_1) | instskip(SKIP_1) | instid1(VALU_DEP_1)
	v_wmma_f32_16x16x16_bf16 v[65:72], v[9:16], v[41:48], v[65:72]
	s_waitcnt lgkmcnt(2)
	v_wmma_f32_16x16x16_bf16 v[65:72], v[17:24], v[33:40], v[65:72]
	s_waitcnt lgkmcnt(0)
	s_delay_alu instid0(VALU_DEP_1) | instskip(NEXT) | instid1(VALU_DEP_1)
	v_wmma_f32_16x16x16_bf16 v[65:72], v[57:64], v[25:32], v[65:72]
	v_and_b32_e32 v1, 0x7f800000, v65
	s_delay_alu instid0(VALU_DEP_1) | instskip(SKIP_1) | instid1(SALU_CYCLE_1)
	v_cmp_ne_u32_e32 vcc_lo, 0x7f800000, v1
                                        ; implicit-def: $vgpr1
	s_and_saveexec_b32 s2, vcc_lo
	s_xor_b32 s2, exec_lo, s2
; %bb.79:
	v_bfe_u32 v1, v65, 16, 1
	s_delay_alu instid0(VALU_DEP_1)
	v_add3_u32 v1, v65, v1, 0x7fff
; %bb.80:
	s_and_not1_saveexec_b32 s2, s2
; %bb.81:
	v_and_b32_e32 v1, 0xffff, v65
	v_or_b32_e32 v2, 0x10000, v65
	s_delay_alu instid0(VALU_DEP_2) | instskip(NEXT) | instid1(VALU_DEP_2)
	v_cmp_eq_u32_e32 vcc_lo, 0, v1
	v_cndmask_b32_e32 v1, v2, v65, vcc_lo
; %bb.82:
	s_or_b32 exec_lo, exec_lo, s2
	v_and_b32_e32 v2, 0x7f800000, v66
	s_delay_alu instid0(VALU_DEP_1) | instskip(SKIP_1) | instid1(SALU_CYCLE_1)
	v_cmp_ne_u32_e32 vcc_lo, 0x7f800000, v2
                                        ; implicit-def: $vgpr2
	s_and_saveexec_b32 s2, vcc_lo
	s_xor_b32 s2, exec_lo, s2
; %bb.83:
	v_bfe_u32 v2, v66, 16, 1
	s_delay_alu instid0(VALU_DEP_1)
	v_add3_u32 v2, v66, v2, 0x7fff
; %bb.84:
	s_and_not1_saveexec_b32 s2, s2
; %bb.85:
	v_and_b32_e32 v2, 0xffff, v66
	v_or_b32_e32 v3, 0x10000, v66
	s_delay_alu instid0(VALU_DEP_2) | instskip(NEXT) | instid1(VALU_DEP_2)
	v_cmp_eq_u32_e32 vcc_lo, 0, v2
	v_cndmask_b32_e32 v2, v3, v66, vcc_lo
; %bb.86:
	s_or_b32 exec_lo, exec_lo, s2
	v_and_b32_e32 v3, 0x7f800000, v67
	s_delay_alu instid0(VALU_DEP_1) | instskip(SKIP_1) | instid1(SALU_CYCLE_1)
	v_cmp_ne_u32_e32 vcc_lo, 0x7f800000, v3
                                        ; implicit-def: $vgpr3
	s_and_saveexec_b32 s2, vcc_lo
	s_xor_b32 s2, exec_lo, s2
; %bb.87:
	v_bfe_u32 v3, v67, 16, 1
	s_delay_alu instid0(VALU_DEP_1)
	v_add3_u32 v3, v67, v3, 0x7fff
; %bb.88:
	s_and_not1_saveexec_b32 s2, s2
; %bb.89:
	v_and_b32_e32 v3, 0xffff, v67
	v_or_b32_e32 v4, 0x10000, v67
	s_delay_alu instid0(VALU_DEP_2) | instskip(NEXT) | instid1(VALU_DEP_2)
	v_cmp_eq_u32_e32 vcc_lo, 0, v3
	v_cndmask_b32_e32 v3, v4, v67, vcc_lo
; %bb.90:
	s_or_b32 exec_lo, exec_lo, s2
	v_and_b32_e32 v4, 0x7f800000, v68
	s_delay_alu instid0(VALU_DEP_1) | instskip(SKIP_1) | instid1(SALU_CYCLE_1)
	v_cmp_ne_u32_e32 vcc_lo, 0x7f800000, v4
                                        ; implicit-def: $vgpr4
	s_and_saveexec_b32 s2, vcc_lo
	s_xor_b32 s2, exec_lo, s2
; %bb.91:
	v_bfe_u32 v4, v68, 16, 1
	s_delay_alu instid0(VALU_DEP_1)
	v_add3_u32 v4, v68, v4, 0x7fff
; %bb.92:
	s_and_not1_saveexec_b32 s2, s2
; %bb.93:
	v_and_b32_e32 v4, 0xffff, v68
	v_or_b32_e32 v5, 0x10000, v68
	s_delay_alu instid0(VALU_DEP_2) | instskip(NEXT) | instid1(VALU_DEP_2)
	v_cmp_eq_u32_e32 vcc_lo, 0, v4
	v_cndmask_b32_e32 v4, v5, v68, vcc_lo
; %bb.94:
	s_or_b32 exec_lo, exec_lo, s2
	v_and_b32_e32 v5, 0x7f800000, v69
	s_delay_alu instid0(VALU_DEP_1) | instskip(SKIP_1) | instid1(SALU_CYCLE_1)
	v_cmp_ne_u32_e32 vcc_lo, 0x7f800000, v5
                                        ; implicit-def: $vgpr5
	s_and_saveexec_b32 s2, vcc_lo
	s_xor_b32 s2, exec_lo, s2
; %bb.95:
	v_bfe_u32 v5, v69, 16, 1
	s_delay_alu instid0(VALU_DEP_1)
	v_add3_u32 v5, v69, v5, 0x7fff
; %bb.96:
	s_and_not1_saveexec_b32 s2, s2
; %bb.97:
	v_and_b32_e32 v5, 0xffff, v69
	v_or_b32_e32 v6, 0x10000, v69
	s_delay_alu instid0(VALU_DEP_2) | instskip(NEXT) | instid1(VALU_DEP_2)
	v_cmp_eq_u32_e32 vcc_lo, 0, v5
	v_cndmask_b32_e32 v5, v6, v69, vcc_lo
; %bb.98:
	s_or_b32 exec_lo, exec_lo, s2
	v_and_b32_e32 v6, 0x7f800000, v70
	s_delay_alu instid0(VALU_DEP_1) | instskip(SKIP_1) | instid1(SALU_CYCLE_1)
	v_cmp_ne_u32_e32 vcc_lo, 0x7f800000, v6
                                        ; implicit-def: $vgpr6
	s_and_saveexec_b32 s2, vcc_lo
	s_xor_b32 s2, exec_lo, s2
; %bb.99:
	v_bfe_u32 v6, v70, 16, 1
	s_delay_alu instid0(VALU_DEP_1)
	v_add3_u32 v6, v70, v6, 0x7fff
; %bb.100:
	s_and_not1_saveexec_b32 s2, s2
; %bb.101:
	v_and_b32_e32 v6, 0xffff, v70
	v_or_b32_e32 v7, 0x10000, v70
	s_delay_alu instid0(VALU_DEP_2) | instskip(NEXT) | instid1(VALU_DEP_2)
	v_cmp_eq_u32_e32 vcc_lo, 0, v6
	v_cndmask_b32_e32 v6, v7, v70, vcc_lo
; %bb.102:
	s_or_b32 exec_lo, exec_lo, s2
	v_and_b32_e32 v7, 0x7f800000, v71
	s_delay_alu instid0(VALU_DEP_1) | instskip(SKIP_1) | instid1(SALU_CYCLE_1)
	v_cmp_ne_u32_e32 vcc_lo, 0x7f800000, v7
                                        ; implicit-def: $vgpr7
	s_and_saveexec_b32 s2, vcc_lo
	s_xor_b32 s2, exec_lo, s2
; %bb.103:
	v_bfe_u32 v7, v71, 16, 1
	s_delay_alu instid0(VALU_DEP_1)
	v_add3_u32 v7, v71, v7, 0x7fff
; %bb.104:
	s_and_not1_saveexec_b32 s2, s2
; %bb.105:
	v_and_b32_e32 v7, 0xffff, v71
	v_or_b32_e32 v8, 0x10000, v71
	s_delay_alu instid0(VALU_DEP_2) | instskip(NEXT) | instid1(VALU_DEP_2)
	v_cmp_eq_u32_e32 vcc_lo, 0, v7
	v_cndmask_b32_e32 v7, v8, v71, vcc_lo
; %bb.106:
	s_or_b32 exec_lo, exec_lo, s2
	v_and_b32_e32 v8, 0x7f800000, v72
	s_delay_alu instid0(VALU_DEP_1) | instskip(SKIP_1) | instid1(SALU_CYCLE_1)
	v_cmp_ne_u32_e32 vcc_lo, 0x7f800000, v8
                                        ; implicit-def: $vgpr8
	s_and_saveexec_b32 s2, vcc_lo
	s_xor_b32 s2, exec_lo, s2
; %bb.107:
	v_bfe_u32 v8, v72, 16, 1
	s_delay_alu instid0(VALU_DEP_1)
	v_add3_u32 v8, v72, v8, 0x7fff
                                        ; implicit-def: $vgpr65_vgpr66_vgpr67_vgpr68_vgpr69_vgpr70_vgpr71_vgpr72
; %bb.108:
	s_and_not1_saveexec_b32 s2, s2
; %bb.109:
	v_and_b32_e32 v8, 0xffff, v72
	v_or_b32_e32 v9, 0x10000, v72
	s_delay_alu instid0(VALU_DEP_2) | instskip(NEXT) | instid1(VALU_DEP_2)
	v_cmp_eq_u32_e32 vcc_lo, 0, v8
	v_cndmask_b32_e32 v8, v9, v72, vcc_lo
; %bb.110:
	s_or_b32 exec_lo, exec_lo, s2
	s_delay_alu instid0(VALU_DEP_1)
	v_perm_b32 v7, v8, v7, 0x7060302
	v_perm_b32 v6, v6, v5, 0x7060302
	v_perm_b32 v5, v4, v3, 0x7060302
	v_perm_b32 v4, v2, v1, 0x7060302
	s_barrier
	buffer_gl0_inv
	v_cmp_eq_u32_e32 vcc_lo, 1, v78
	ds_store_b128 v76, v[4:7]
	s_waitcnt lgkmcnt(0)
	s_barrier
	buffer_gl0_inv
	ds_load_b128 v[1:4], v82
	ds_load_b128 v[5:8], v82 offset:16
	v_cmp_eq_u32_e64 s2, 1, v79
	v_cmp_eq_u32_e64 s3, 2, v78
	;; [unrolled: 1-line block ×5, first 2 shown]
	s_waitcnt lgkmcnt(1)
	v_lshrrev_b32_e32 v9, 16, v1
	s_waitcnt lgkmcnt(0)
	v_lshrrev_b32_e32 v13, 16, v5
	v_lshrrev_b32_e32 v10, 16, v2
	;; [unrolled: 1-line block ×4, first 2 shown]
	v_cndmask_b32_e64 v19, v1, v9, s2
	v_cndmask_b32_e32 v18, v5, v13, vcc_lo
	v_cndmask_b32_e64 v20, v5, v13, s2
	v_cndmask_b32_e32 v17, v1, v9, vcc_lo
	v_cmp_eq_u32_e32 vcc_lo, 2, v79
	v_lshrrev_b32_e32 v15, 16, v7
	v_cmp_eq_u32_e64 s2, 1, v77
	v_lshrrev_b32_e32 v12, 16, v4
	v_lshrrev_b32_e32 v16, 16, v8
	v_cndmask_b32_e32 v20, v20, v6, vcc_lo
	v_cndmask_b32_e64 v17, v17, v2, s3
	v_cndmask_b32_e32 v19, v19, v2, vcc_lo
	v_cndmask_b32_e64 v18, v18, v6, s3
	v_cmp_eq_u32_e32 vcc_lo, 4, v78
	v_cmp_eq_u32_e64 s3, 3, v79
	v_cndmask_b32_e64 v17, v17, v10, s4
	v_cndmask_b32_e64 v21, v1, v9, s2
	;; [unrolled: 1-line block ×5, first 2 shown]
	v_cndmask_b32_e32 v17, v17, v3, vcc_lo
	v_cndmask_b32_e64 v20, v20, v14, s3
	v_cndmask_b32_e32 v18, v18, v7, vcc_lo
	v_cmp_eq_u32_e32 vcc_lo, 4, v79
	v_cmp_eq_u32_e64 s3, 5, v79
	v_cmp_eq_u32_e64 s2, 2, v81
	v_cndmask_b32_e64 v21, v21, v2, s6
	v_cmp_eq_u32_e64 s4, 5, v78
	v_cndmask_b32_e32 v19, v19, v3, vcc_lo
	v_cndmask_b32_e32 v20, v20, v7, vcc_lo
	v_cmp_eq_u32_e32 vcc_lo, 6, v79
	s_delay_alu instid0(VALU_DEP_4) | instskip(NEXT) | instid1(VALU_DEP_4)
	v_cndmask_b32_e64 v17, v17, v11, s4
	v_cndmask_b32_e64 v19, v19, v11, s3
	s_delay_alu instid0(VALU_DEP_4) | instskip(SKIP_1) | instid1(VALU_DEP_3)
	v_cndmask_b32_e64 v20, v20, v15, s3
	v_cmp_eq_u32_e64 s3, 1, v81
	v_cndmask_b32_e32 v19, v19, v4, vcc_lo
	v_cndmask_b32_e64 v18, v18, v15, s4
	s_delay_alu instid0(VALU_DEP_3)
	v_cndmask_b32_e64 v1, v1, v9, s3
	v_cndmask_b32_e64 v5, v5, v13, s3
	v_cmp_eq_u32_e64 s3, 3, v77
	v_cndmask_b32_e64 v13, v22, v6, s6
	v_cmp_eq_u32_e64 s6, 3, v81
	v_cndmask_b32_e64 v1, v1, v2, s2
	v_cndmask_b32_e64 v2, v5, v6, s2
	;; [unrolled: 1-line block ×3, first 2 shown]
	v_cmp_eq_u32_e64 s2, 4, v77
	v_cndmask_b32_e64 v6, v13, v14, s3
	v_cndmask_b32_e64 v1, v1, v10, s6
	v_cmp_eq_u32_e64 s3, 4, v81
	v_cndmask_b32_e64 v2, v2, v14, s6
	v_cndmask_b32_e64 v5, v9, v3, s2
	v_cmp_eq_u32_e64 s6, 5, v77
	v_cndmask_b32_e64 v6, v6, v7, s2
	v_cndmask_b32_e64 v1, v1, v3, s3
	v_cndmask_b32_e64 v2, v2, v7, s3
	v_cmp_eq_u32_e64 s2, 5, v81
	v_cmp_eq_u32_e64 s4, 6, v78
	v_cndmask_b32_e64 v5, v5, v11, s6
	v_cmp_eq_u32_e64 s3, 6, v77
	v_cndmask_b32_e64 v3, v6, v15, s6
	v_cndmask_b32_e64 v1, v1, v11, s2
	v_cmp_eq_u32_e64 s6, 6, v81
	v_cndmask_b32_e64 v2, v2, v15, s2
	v_cndmask_b32_e64 v17, v17, v4, s4
	v_cndmask_b32_e64 v18, v18, v8, s4
	v_cmp_eq_u32_e64 s4, 7, v78
	v_cndmask_b32_e64 v5, v5, v4, s3
	v_cndmask_b32_e64 v3, v3, v8, s3
	v_cndmask_b32_e64 v1, v1, v4, s6
	v_cmp_eq_u32_e64 s2, 7, v81
	v_cndmask_b32_e64 v2, v2, v8, s6
	v_cmp_eq_u32_e64 s3, 7, v77
	v_cndmask_b32_e32 v4, v20, v8, vcc_lo
	v_cndmask_b32_e64 v17, v17, v12, s4
	v_cndmask_b32_e64 v19, v19, v12, s5
	;; [unrolled: 1-line block ×8, first 2 shown]
	s_mov_b32 s2, exec_lo
	v_perm_b32 v4, v2, v1, 0x5040100
	v_perm_b32 v3, v3, v5, 0x5040100
	;; [unrolled: 1-line block ×4, first 2 shown]
	ds_store_b128 v76, v[1:4]
	s_waitcnt lgkmcnt(0)
	s_barrier
	buffer_gl0_inv
	v_cmpx_gt_u32_e32 32, v0
	s_cbranch_execz .LBB1835_2
; %bb.111:
	s_load_b64 s[0:1], s[0:1], 0x68
	v_lshlrev_b32_e32 v0, 10, v0
	s_lshl_b32 s4, s34, 7
	v_or_b32_e32 v3, s29, v74
	s_mul_i32 s2, s4, s30
	v_lshlrev_b32_e32 v1, 4, v75
	v_lshlrev_b32_e32 v2, 6, v74
	v_and_b32_e32 v0, 0x3800, v0
	s_mul_i32 s2, s2, s7
	v_mul_lo_u32 v8, v3, s4
	s_ashr_i32 s3, s2, 31
	s_delay_alu instid0(SALU_CYCLE_1)
	s_lshl_b64 s[2:3], s[2:3], 1
	v_or3_b32 v16, v0, v1, v2
	ds_load_b128 v[0:3], v16
	ds_load_b128 v[4:7], v16 offset:128
	v_ashrrev_i32_e32 v9, 31, v8
	s_waitcnt lgkmcnt(0)
	s_add_u32 s2, s0, s2
	s_addc_u32 s3, s1, s3
	s_lshl_b32 s0, s14, 7
	s_delay_alu instid0(SALU_CYCLE_1) | instskip(SKIP_2) | instid1(SALU_CYCLE_1)
	s_ashr_i32 s1, s0, 31
	v_lshlrev_b64 v[9:10], 1, v[8:9]
	s_lshl_b64 s[0:1], s[0:1], 1
	s_add_u32 s0, s2, s0
	s_addc_u32 s1, s3, s1
	s_lshl_b32 s2, s34, 8
	v_add_co_u32 v30, s0, s0, v73
	v_add_nc_u32_e32 v11, s2, v8
	v_add_co_ci_u32_e64 v31, null, s1, 0, s0
	s_delay_alu instid0(VALU_DEP_3) | instskip(NEXT) | instid1(VALU_DEP_3)
	v_add_co_u32 v9, vcc_lo, v30, v9
	v_add_nc_u32_e32 v8, s2, v11
	s_delay_alu instid0(VALU_DEP_3) | instskip(SKIP_1) | instid1(VALU_DEP_3)
	v_add_co_ci_u32_e32 v10, vcc_lo, v31, v10, vcc_lo
	v_ashrrev_i32_e32 v12, 31, v11
	v_add_nc_u32_e32 v13, s2, v8
	global_store_b128 v[9:10], v[0:3], off
	v_ashrrev_i32_e32 v9, 31, v8
	v_lshlrev_b64 v[11:12], 1, v[11:12]
	v_ashrrev_i32_e32 v14, 31, v13
	v_add_nc_u32_e32 v10, s2, v13
	s_delay_alu instid0(VALU_DEP_4) | instskip(NEXT) | instid1(VALU_DEP_4)
	v_lshlrev_b64 v[2:3], 1, v[8:9]
	v_add_co_u32 v0, vcc_lo, v30, v11
	s_delay_alu instid0(VALU_DEP_4)
	v_lshlrev_b64 v[8:9], 1, v[13:14]
	v_add_co_ci_u32_e32 v1, vcc_lo, v31, v12, vcc_lo
	v_ashrrev_i32_e32 v11, 31, v10
	v_add_co_u32 v22, vcc_lo, v30, v2
	v_add_nc_u32_e32 v20, s2, v10
	v_add_co_ci_u32_e32 v23, vcc_lo, v31, v3, vcc_lo
	v_add_co_u32 v24, vcc_lo, v30, v8
	global_store_b128 v[0:1], v[4:7], off
	v_add_co_ci_u32_e32 v25, vcc_lo, v31, v9, vcc_lo
	ds_load_b128 v[0:3], v16 offset:256
	ds_load_b128 v[4:7], v16 offset:384
	v_lshlrev_b64 v[26:27], 1, v[10:11]
	ds_load_b128 v[8:11], v16 offset:512
	ds_load_b128 v[12:15], v16 offset:640
	;; [unrolled: 1-line block ×3, first 2 shown]
	v_add_nc_u32_e32 v28, s2, v20
	v_ashrrev_i32_e32 v21, 31, v20
	v_add_co_u32 v26, vcc_lo, v30, v26
	s_delay_alu instid0(VALU_DEP_3) | instskip(NEXT) | instid1(VALU_DEP_3)
	v_ashrrev_i32_e32 v29, 31, v28
	v_lshlrev_b64 v[20:21], 1, v[20:21]
	v_add_co_ci_u32_e32 v27, vcc_lo, v31, v27, vcc_lo
	s_delay_alu instid0(VALU_DEP_3) | instskip(NEXT) | instid1(VALU_DEP_3)
	v_lshlrev_b64 v[28:29], 1, v[28:29]
	v_add_co_u32 v20, vcc_lo, v30, v20
	s_delay_alu instid0(VALU_DEP_4) | instskip(NEXT) | instid1(VALU_DEP_3)
	v_add_co_ci_u32_e32 v21, vcc_lo, v31, v21, vcc_lo
	v_add_co_u32 v28, vcc_lo, v30, v28
	s_delay_alu instid0(VALU_DEP_4)
	v_add_co_ci_u32_e32 v29, vcc_lo, v31, v29, vcc_lo
	s_waitcnt lgkmcnt(4)
	global_store_b128 v[22:23], v[0:3], off
	s_waitcnt lgkmcnt(3)
	global_store_b128 v[24:25], v[4:7], off
	;; [unrolled: 2-line block ×5, first 2 shown]
	s_nop 0
	s_sendmsg sendmsg(MSG_DEALLOC_VGPRS)
	s_endpgm
	.section	.rodata,"a",@progbits
	.p2align	6, 0x0
	.amdhsa_kernel _Z39paged_attention_ll4mi_QKV_mfma16_kernelI14__hip_bfloat16hLN4vllm18Fp8KVCacheDataTypeE1ES0_Li16ELi128ELi256ELb1ELi14EL8MFMAType0EEvPKT_PKT0_S9_ifPKiSB_SB_iPKfiiiPfSE_PS4_PT2_iSD_SD_
		.amdhsa_group_segment_fixed_size 17472
		.amdhsa_private_segment_fixed_size 0
		.amdhsa_kernarg_size 400
		.amdhsa_user_sgpr_count 13
		.amdhsa_user_sgpr_dispatch_ptr 0
		.amdhsa_user_sgpr_queue_ptr 0
		.amdhsa_user_sgpr_kernarg_segment_ptr 1
		.amdhsa_user_sgpr_dispatch_id 0
		.amdhsa_user_sgpr_private_segment_size 0
		.amdhsa_wavefront_size32 1
		.amdhsa_uses_dynamic_stack 0
		.amdhsa_enable_private_segment 0
		.amdhsa_system_sgpr_workgroup_id_x 1
		.amdhsa_system_sgpr_workgroup_id_y 1
		.amdhsa_system_sgpr_workgroup_id_z 1
		.amdhsa_system_sgpr_workgroup_info 0
		.amdhsa_system_vgpr_workitem_id 0
		.amdhsa_next_free_vgpr 140
		.amdhsa_next_free_sgpr 36
		.amdhsa_reserve_vcc 1
		.amdhsa_float_round_mode_32 0
		.amdhsa_float_round_mode_16_64 0
		.amdhsa_float_denorm_mode_32 3
		.amdhsa_float_denorm_mode_16_64 3
		.amdhsa_dx10_clamp 1
		.amdhsa_ieee_mode 1
		.amdhsa_fp16_overflow 0
		.amdhsa_workgroup_processor_mode 1
		.amdhsa_memory_ordered 1
		.amdhsa_forward_progress 0
		.amdhsa_shared_vgpr_count 0
		.amdhsa_exception_fp_ieee_invalid_op 0
		.amdhsa_exception_fp_denorm_src 0
		.amdhsa_exception_fp_ieee_div_zero 0
		.amdhsa_exception_fp_ieee_overflow 0
		.amdhsa_exception_fp_ieee_underflow 0
		.amdhsa_exception_fp_ieee_inexact 0
		.amdhsa_exception_int_div_zero 0
	.end_amdhsa_kernel
	.section	.text._Z39paged_attention_ll4mi_QKV_mfma16_kernelI14__hip_bfloat16hLN4vllm18Fp8KVCacheDataTypeE1ES0_Li16ELi128ELi256ELb1ELi14EL8MFMAType0EEvPKT_PKT0_S9_ifPKiSB_SB_iPKfiiiPfSE_PS4_PT2_iSD_SD_,"axG",@progbits,_Z39paged_attention_ll4mi_QKV_mfma16_kernelI14__hip_bfloat16hLN4vllm18Fp8KVCacheDataTypeE1ES0_Li16ELi128ELi256ELb1ELi14EL8MFMAType0EEvPKT_PKT0_S9_ifPKiSB_SB_iPKfiiiPfSE_PS4_PT2_iSD_SD_,comdat
.Lfunc_end1835:
	.size	_Z39paged_attention_ll4mi_QKV_mfma16_kernelI14__hip_bfloat16hLN4vllm18Fp8KVCacheDataTypeE1ES0_Li16ELi128ELi256ELb1ELi14EL8MFMAType0EEvPKT_PKT0_S9_ifPKiSB_SB_iPKfiiiPfSE_PS4_PT2_iSD_SD_, .Lfunc_end1835-_Z39paged_attention_ll4mi_QKV_mfma16_kernelI14__hip_bfloat16hLN4vllm18Fp8KVCacheDataTypeE1ES0_Li16ELi128ELi256ELb1ELi14EL8MFMAType0EEvPKT_PKT0_S9_ifPKiSB_SB_iPKfiiiPfSE_PS4_PT2_iSD_SD_
                                        ; -- End function
	.section	.AMDGPU.csdata,"",@progbits
; Kernel info:
; codeLenInByte = 9008
; NumSgprs: 38
; NumVgprs: 140
; ScratchSize: 0
; MemoryBound: 0
; FloatMode: 240
; IeeeMode: 1
; LDSByteSize: 17472 bytes/workgroup (compile time only)
; SGPRBlocks: 4
; VGPRBlocks: 17
; NumSGPRsForWavesPerEU: 38
; NumVGPRsForWavesPerEU: 140
; Occupancy: 10
; WaveLimiterHint : 1
; COMPUTE_PGM_RSRC2:SCRATCH_EN: 0
; COMPUTE_PGM_RSRC2:USER_SGPR: 13
; COMPUTE_PGM_RSRC2:TRAP_HANDLER: 0
; COMPUTE_PGM_RSRC2:TGID_X_EN: 1
; COMPUTE_PGM_RSRC2:TGID_Y_EN: 1
; COMPUTE_PGM_RSRC2:TGID_Z_EN: 1
; COMPUTE_PGM_RSRC2:TIDIG_COMP_CNT: 0
	.section	.text._Z39paged_attention_ll4mi_QKV_mfma16_kernelI14__hip_bfloat16hLN4vllm18Fp8KVCacheDataTypeE1ES0_Li16ELi128ELi256ELb1ELi15EL8MFMAType0EEvPKT_PKT0_S9_ifPKiSB_SB_iPKfiiiPfSE_PS4_PT2_iSD_SD_,"axG",@progbits,_Z39paged_attention_ll4mi_QKV_mfma16_kernelI14__hip_bfloat16hLN4vllm18Fp8KVCacheDataTypeE1ES0_Li16ELi128ELi256ELb1ELi15EL8MFMAType0EEvPKT_PKT0_S9_ifPKiSB_SB_iPKfiiiPfSE_PS4_PT2_iSD_SD_,comdat
	.protected	_Z39paged_attention_ll4mi_QKV_mfma16_kernelI14__hip_bfloat16hLN4vllm18Fp8KVCacheDataTypeE1ES0_Li16ELi128ELi256ELb1ELi15EL8MFMAType0EEvPKT_PKT0_S9_ifPKiSB_SB_iPKfiiiPfSE_PS4_PT2_iSD_SD_ ; -- Begin function _Z39paged_attention_ll4mi_QKV_mfma16_kernelI14__hip_bfloat16hLN4vllm18Fp8KVCacheDataTypeE1ES0_Li16ELi128ELi256ELb1ELi15EL8MFMAType0EEvPKT_PKT0_S9_ifPKiSB_SB_iPKfiiiPfSE_PS4_PT2_iSD_SD_
	.globl	_Z39paged_attention_ll4mi_QKV_mfma16_kernelI14__hip_bfloat16hLN4vllm18Fp8KVCacheDataTypeE1ES0_Li16ELi128ELi256ELb1ELi15EL8MFMAType0EEvPKT_PKT0_S9_ifPKiSB_SB_iPKfiiiPfSE_PS4_PT2_iSD_SD_
	.p2align	8
	.type	_Z39paged_attention_ll4mi_QKV_mfma16_kernelI14__hip_bfloat16hLN4vllm18Fp8KVCacheDataTypeE1ES0_Li16ELi128ELi256ELb1ELi15EL8MFMAType0EEvPKT_PKT0_S9_ifPKiSB_SB_iPKfiiiPfSE_PS4_PT2_iSD_SD_,@function
_Z39paged_attention_ll4mi_QKV_mfma16_kernelI14__hip_bfloat16hLN4vllm18Fp8KVCacheDataTypeE1ES0_Li16ELi128ELi256ELb1ELi15EL8MFMAType0EEvPKT_PKT0_S9_ifPKiSB_SB_iPKfiiiPfSE_PS4_PT2_iSD_SD_: ; @_Z39paged_attention_ll4mi_QKV_mfma16_kernelI14__hip_bfloat16hLN4vllm18Fp8KVCacheDataTypeE1ES0_Li16ELi128ELi256ELb1ELi15EL8MFMAType0EEvPKT_PKT0_S9_ifPKiSB_SB_iPKfiiiPfSE_PS4_PT2_iSD_SD_
; %bb.0:
	s_load_b64 s[4:5], s[0:1], 0x30
	s_mov_b32 s30, s13
	s_waitcnt lgkmcnt(0)
	s_cmp_lg_u64 s[4:5], 0
	s_cselect_b32 s13, -1, 0
	s_ashr_i32 s31, s30, 31
	s_cmp_eq_u64 s[4:5], 0
	s_cbranch_scc1 .LBB1836_3
; %bb.1:
	s_lshl_b64 s[2:3], s[30:31], 2
	s_delay_alu instid0(SALU_CYCLE_1) | instskip(SKIP_4) | instid1(SALU_CYCLE_1)
	s_add_u32 s2, s4, s2
	s_addc_u32 s3, s5, s3
	s_load_b64 s[2:3], s[2:3], 0x0
	s_waitcnt lgkmcnt(0)
	s_sub_i32 s2, s3, s2
	s_cmp_eq_u32 s2, 1
	s_cselect_b32 s2, -1, 0
	s_delay_alu instid0(SALU_CYCLE_1)
	s_and_not1_b32 vcc_lo, exec_lo, s2
	s_cbranch_vccz .LBB1836_4
.LBB1836_2:
	s_nop 0
	s_sendmsg sendmsg(MSG_DEALLOC_VGPRS)
	s_endpgm
.LBB1836_3:
.LBB1836_4:
	s_load_b64 s[2:3], s[0:1], 0x28
	s_lshl_b64 s[6:7], s[30:31], 2
	s_waitcnt lgkmcnt(0)
	s_add_u32 s2, s2, s6
	s_addc_u32 s3, s3, s7
	s_lshl_b32 s12, s14, 8
	s_load_b32 s17, s[2:3], 0x0
	s_waitcnt lgkmcnt(0)
	s_cmp_ge_i32 s12, s17
	s_cbranch_scc1 .LBB1836_2
; %bb.5:
	s_clause 0x1
	s_load_b128 s[8:11], s[0:1], 0x8
	s_load_b64 s[2:3], s[0:1], 0x20
	s_and_not1_b32 vcc_lo, exec_lo, s13
	s_cbranch_vccnz .LBB1836_7
; %bb.6:
	s_add_u32 s4, s4, s6
	s_addc_u32 s5, s5, s7
	s_load_b32 s13, s[4:5], 0x0
	s_branch .LBB1836_8
.LBB1836_7:
	s_mov_b32 s13, s30
.LBB1836_8:
	s_load_b128 s[4:7], s[0:1], 0x48
	v_and_b32_e32 v65, 15, v0
	v_lshrrev_b32_e32 v66, 5, v0
	v_bfe_u32 v74, v0, 4, 1
	v_and_b32_e32 v67, 31, v0
	v_and_b32_e32 v75, 1, v0
	v_lshlrev_b32_e32 v2, 3, v65
	s_mul_i32 s31, s15, 15
	v_lshl_or_b32 v1, v66, 1, v74
	s_waitcnt lgkmcnt(0)
	s_mov_b32 s7, exec_lo
	v_lshlrev_b32_e32 v73, 1, v2
	s_delay_alu instid0(VALU_DEP_2)
	v_cmpx_gt_u32_e32 15, v1
	s_cbranch_execz .LBB1836_10
; %bb.9:
	s_load_b64 s[18:19], s[0:1], 0x0
	v_add_lshl_u32 v2, v1, s31, 7
	s_mul_hi_i32 s21, s13, s4
	s_mul_i32 s20, s13, s4
	v_lshlrev_b32_e32 v6, 10, v65
	s_lshl_b64 s[20:21], s[20:21], 1
	v_ashrrev_i32_e32 v3, 31, v2
	v_lshlrev_b32_e32 v1, 6, v1
	v_lshlrev_b32_e32 v7, 10, v75
	v_and_b32_e32 v6, 0x3800, v6
	s_delay_alu instid0(VALU_DEP_4) | instskip(NEXT) | instid1(VALU_DEP_2)
	v_lshlrev_b64 v[2:3], 1, v[2:3]
	v_or3_b32 v1, v6, v7, v1
	s_waitcnt lgkmcnt(0)
	s_add_u32 s4, s18, s20
	s_addc_u32 s13, s19, s21
	s_delay_alu instid0(VALU_DEP_2) | instskip(SKIP_1) | instid1(VALU_DEP_2)
	v_add_co_u32 v2, vcc_lo, s4, v2
	v_add_co_ci_u32_e32 v3, vcc_lo, s13, v3, vcc_lo
	v_add_co_u32 v2, vcc_lo, v2, v73
	s_delay_alu instid0(VALU_DEP_2)
	v_add_co_ci_u32_e32 v3, vcc_lo, 0, v3, vcc_lo
	global_load_b128 v[2:5], v[2:3], off
	s_waitcnt vmcnt(0)
	ds_store_b128 v1, v[2:5]
.LBB1836_10:
	s_or_b32 exec_lo, exec_lo, s7
	v_and_b32_e32 v1, 0xef, v0
	s_add_i32 s4, s17, 15
	s_clause 0x1
	s_load_b32 s7, s[0:1], 0x38
	s_load_b32 s18, s[0:1], 0x1c
	s_ashr_i32 s13, s4, 31
	v_add_nc_u32_e32 v1, s12, v1
	s_lshr_b32 s13, s13, 28
	s_waitcnt lgkmcnt(0)
	s_add_i32 s4, s4, s13
	s_barrier
	v_ashrrev_i32_e32 v2, 31, v1
	v_or_b32_e32 v3, 16, v1
	s_ashr_i32 s4, s4, 4
	v_cmp_gt_i32_e32 vcc_lo, s17, v1
	s_add_i32 s4, s4, -1
	v_lshrrev_b32_e32 v2, 28, v2
	buffer_gl0_inv
	s_mul_i32 s15, s15, s6
	v_add_nc_u32_e32 v4, v1, v2
	s_mul_i32 s20, s30, s7
	s_delay_alu instid0(SALU_CYCLE_1) | instskip(NEXT) | instid1(VALU_DEP_1)
	s_ashr_i32 s21, s20, 31
	v_ashrrev_i32_e32 v4, 4, v4
	v_add_nc_u32_e32 v2, v3, v2
	s_lshl_b64 s[20:21], s[20:21], 2
	s_delay_alu instid0(SALU_CYCLE_1) | instskip(NEXT) | instid1(VALU_DEP_2)
	s_add_u32 s13, s2, s20
	v_cndmask_b32_e32 v1, s4, v4, vcc_lo
	s_delay_alu instid0(VALU_DEP_2)
	v_ashrrev_i32_e32 v2, 4, v2
	v_cmp_gt_i32_e32 vcc_lo, s17, v3
	s_addc_u32 s16, s3, s21
	s_ashr_i32 s19, s15, 31
	s_add_u32 s26, s8, s15
	s_addc_u32 s27, s9, s19
	v_cndmask_b32_e32 v3, s4, v2, vcc_lo
	v_ashrrev_i32_e32 v2, 31, v1
	s_lshl_b32 s2, s14, 4
	s_delay_alu instid0(SALU_CYCLE_1) | instskip(NEXT) | instid1(VALU_DEP_2)
	s_ashr_i32 s3, s2, 31
	v_ashrrev_i32_e32 v4, 31, v3
	s_delay_alu instid0(VALU_DEP_2) | instskip(SKIP_1) | instid1(SALU_CYCLE_1)
	v_lshlrev_b64 v[1:2], 2, v[1:2]
	s_lshl_b64 s[2:3], s[2:3], 2
	s_add_u32 s2, s13, s2
	s_delay_alu instid0(VALU_DEP_2) | instskip(SKIP_1) | instid1(VALU_DEP_2)
	v_lshlrev_b64 v[3:4], 2, v[3:4]
	s_addc_u32 s3, s16, s3
	v_add_co_u32 v1, vcc_lo, s13, v1
	v_add_co_ci_u32_e32 v2, vcc_lo, s16, v2, vcc_lo
	s_delay_alu instid0(VALU_DEP_3) | instskip(NEXT) | instid1(VALU_DEP_4)
	v_add_co_u32 v3, vcc_lo, s13, v3
	v_add_co_ci_u32_e32 v4, vcc_lo, s16, v4, vcc_lo
	s_clause 0x1
	global_load_b32 v5, v[1:2], off
	global_load_b32 v3, v[3:4], off
	s_or_b32 s6, s12, 32
	v_cmp_ne_u32_e32 vcc_lo, 15, v65
	s_ashr_i32 s7, s6, 4
	s_cmp_lt_i32 s6, s17
	s_cselect_b32 s6, s7, s4
	s_delay_alu instid0(SALU_CYCLE_1) | instskip(NEXT) | instid1(SALU_CYCLE_1)
	s_ashr_i32 s7, s6, 31
	s_lshl_b64 s[6:7], s[6:7], 2
	s_delay_alu instid0(SALU_CYCLE_1) | instskip(SKIP_2) | instid1(SALU_CYCLE_1)
	s_add_u32 s6, s13, s6
	s_addc_u32 s7, s16, s7
	s_or_b32 s8, s12, 64
	s_ashr_i32 s9, s8, 4
	s_cmp_lt_i32 s8, s17
	s_cselect_b32 s8, s9, s4
	s_delay_alu instid0(SALU_CYCLE_1) | instskip(NEXT) | instid1(SALU_CYCLE_1)
	s_ashr_i32 s9, s8, 31
	s_lshl_b64 s[8:9], s[8:9], 2
	s_delay_alu instid0(SALU_CYCLE_1) | instskip(SKIP_2) | instid1(SALU_CYCLE_1)
	s_add_u32 s8, s13, s8
	s_addc_u32 s9, s16, s9
	s_or_b32 s20, s12, 0x60
	;; [unrolled: 10-line block ×4, first 2 shown]
	s_ashr_i32 s25, s24, 4
	s_cmp_lt_i32 s24, s17
	s_cselect_b32 s24, s25, s4
	s_delay_alu instid0(SALU_CYCLE_1) | instskip(NEXT) | instid1(SALU_CYCLE_1)
	s_ashr_i32 s25, s24, 31
	s_lshl_b64 s[24:25], s[24:25], 2
	s_delay_alu instid0(SALU_CYCLE_1)
	s_add_u32 s24, s13, s24
	s_addc_u32 s25, s16, s25
	s_clause 0x5
	s_load_b32 s28, s[2:3], 0x0
	s_load_b32 s29, s[6:7], 0x0
	;; [unrolled: 1-line block ×6, first 2 shown]
	s_mov_b32 s20, 0
	s_or_b32 s2, s12, 0xc0
	s_mov_b32 s21, s20
	s_mov_b32 s22, s20
	;; [unrolled: 1-line block ×5, first 2 shown]
	v_lshlrev_b32_e32 v1, 4, v0
	s_ashr_i32 s3, s2, 4
	s_cmp_lt_i32 s2, s17
	s_cselect_b32 s2, s3, s4
	s_delay_alu instid0(VALU_DEP_1) | instskip(SKIP_1) | instid1(SALU_CYCLE_1)
	v_and_b32_e32 v1, 0xf0, v1
	s_ashr_i32 s3, s2, 31
	s_lshl_b64 s[2:3], s[2:3], 2
	s_delay_alu instid0(VALU_DEP_1) | instskip(NEXT) | instid1(VALU_DEP_1)
	v_add_co_u32 v1, s26, s26, v1
	v_add_co_ci_u32_e64 v2, null, s27, 0, s26
	s_add_u32 s2, s13, s2
	s_addc_u32 s3, s16, s3
	s_or_b32 s6, s12, 0xe0
	s_mov_b32 s27, s20
	s_ashr_i32 s7, s6, 4
	s_cmp_lt_i32 s6, s17
	s_mov_b32 s26, s20
	s_cselect_b32 s6, s7, s4
	s_delay_alu instid0(SALU_CYCLE_1) | instskip(NEXT) | instid1(SALU_CYCLE_1)
	s_ashr_i32 s7, s6, 31
	s_lshl_b64 s[6:7], s[6:7], 2
	s_waitcnt vmcnt(1)
	v_mad_i64_i32 v[33:34], null, v5, s5, v[1:2]
	s_waitcnt vmcnt(0)
	v_mad_i64_i32 v[35:36], null, v3, s5, v[1:2]
	s_clause 0xf
	global_load_b128 v[1:4], v[33:34], off
	global_load_b128 v[5:8], v[33:34], off offset:256
	global_load_b128 v[9:12], v[35:36], off
	global_load_b128 v[13:16], v[35:36], off offset:256
	global_load_b128 v[17:20], v[33:34], off offset:512
	;; [unrolled: 1-line block ×13, first 2 shown]
	v_cndmask_b32_e32 v33, 0, v65, vcc_lo
	v_dual_mov_b32 v107, s27 :: v_dual_lshlrev_b32 v34, 4, v65
	v_dual_mov_b32 v106, s26 :: v_dual_mov_b32 v105, s25
	s_delay_alu instid0(VALU_DEP_3) | instskip(NEXT) | instid1(VALU_DEP_3)
	v_lshlrev_b32_e32 v72, 6, v33
	v_lshl_or_b32 v41, v66, 8, v34
	ds_load_b128 v[33:36], v72
	ds_load_b128 v[37:40], v72 offset:1024
	ds_load_b128 v[108:111], v72 offset:2048
	;; [unrolled: 1-line block ×3, first 2 shown]
	s_load_b32 s4, s[2:3], 0x0
	s_add_u32 s2, s13, s6
	s_addc_u32 s3, s16, s7
	ds_load_b128 v[116:119], v72 offset:4096
	ds_load_b128 v[120:123], v72 offset:5120
	s_load_b32 s2, s[2:3], 0x0
	s_add_u32 s6, s10, s15
	s_addc_u32 s7, s11, s19
	v_add_co_u32 v68, s6, s6, v41
	s_delay_alu instid0(VALU_DEP_1) | instskip(SKIP_3) | instid1(VALU_DEP_3)
	v_add_co_ci_u32_e64 v69, null, s7, 0, s6
	v_dual_mov_b32 v104, s24 :: v_dual_mov_b32 v103, s23
	v_mov_b32_e32 v102, s22
	s_waitcnt lgkmcnt(0)
	v_mad_i64_i32 v[41:42], null, s28, s5, v[68:69]
	v_mad_i64_i32 v[70:71], null, s8, s5, v[68:69]
	v_dual_mov_b32 v101, s21 :: v_dual_mov_b32 v100, s20
	v_mad_i64_i32 v[45:46], null, s29, s5, v[68:69]
	v_mad_i64_i32 v[132:133], null, s9, s5, v[68:69]
	;; [unrolled: 1-line block ×5, first 2 shown]
	s_clause 0x3
	global_load_b128 v[49:52], v[41:42], off
	global_load_b128 v[53:56], v[41:42], off offset:16
	global_load_b128 v[41:44], v[45:46], off
	global_load_b128 v[45:48], v[45:46], off offset:16
	s_waitcnt vmcnt(18)
	v_wmma_f32_16x16x16_bf16 v[124:131], v[1:8], v[33:40], v[100:107]
	s_waitcnt vmcnt(16)
	v_wmma_f32_16x16x16_bf16 v[100:107], v[9:16], v[33:40], v[100:107]
	s_clause 0x1
	global_load_b128 v[33:36], v[70:71], off
	global_load_b128 v[37:40], v[70:71], off offset:16
	v_mad_i64_i32 v[70:71], null, s2, s5, v[68:69]
	s_waitcnt vmcnt(16)
	v_wmma_f32_16x16x16_bf16 v[124:131], v[17:24], v[108:115], v[124:131]
	s_waitcnt vmcnt(14)
	v_wmma_f32_16x16x16_bf16 v[100:107], v[25:32], v[108:115], v[100:107]
	s_clause 0x7
	global_load_b128 v[25:28], v[132:133], off
	global_load_b128 v[29:32], v[132:133], off offset:16
	global_load_b128 v[1:4], v[134:135], off
	global_load_b128 v[5:8], v[134:135], off offset:16
	;; [unrolled: 2-line block ×4, first 2 shown]
	s_waitcnt vmcnt(20)
	v_wmma_f32_16x16x16_bf16 v[124:131], v[57:64], v[116:123], v[124:131]
	s_clause 0x1
	global_load_b128 v[57:60], v[70:71], off
	global_load_b128 v[61:64], v[70:71], off offset:16
	s_waitcnt vmcnt(20)
	v_wmma_f32_16x16x16_bf16 v[100:107], v[76:83], v[116:123], v[100:107]
	ds_load_b128 v[76:79], v72 offset:6144
	ds_load_b128 v[80:83], v72 offset:7168
	v_and_b32_e32 v68, 0xe0, v0
	v_mbcnt_lo_u32_b32 v69, -1, 0
	s_waitcnt vmcnt(0) lgkmcnt(0)
	s_barrier
	buffer_gl0_inv
	v_add_nc_u32_e32 v68, s12, v68
	v_xor_b32_e32 v70, 16, v69
	s_delay_alu instid0(VALU_DEP_2) | instskip(NEXT) | instid1(VALU_DEP_2)
	v_or_b32_e32 v68, v68, v74
	v_cmp_gt_i32_e32 vcc_lo, 32, v70
	s_delay_alu instid0(VALU_DEP_2)
	v_or_b32_e32 v71, 4, v68
	v_or_b32_e32 v72, 6, v68
	v_cmp_gt_i32_e64 s2, s17, v68
	v_or_b32_e32 v108, 8, v68
	v_wmma_f32_16x16x16_bf16 v[124:131], v[84:91], v[76:83], v[124:131]
	v_cndmask_b32_e32 v69, v69, v70, vcc_lo
	v_or_b32_e32 v70, 2, v68
	v_wmma_f32_16x16x16_bf16 v[100:107], v[92:99], v[76:83], v[100:107]
	v_or_b32_e32 v109, 10, v68
	v_dual_mul_f32 v80, s18, v129 :: v_dual_mul_f32 v81, s18, v128
	v_dual_mul_f32 v92, s18, v125 :: v_dual_mul_f32 v93, s18, v124
	s_delay_alu instid0(VALU_DEP_4)
	v_mul_f32_e32 v96, s18, v105
	v_cmp_gt_i32_e32 vcc_lo, s17, v70
	v_or_b32_e32 v89, 22, v68
	v_dual_mul_f32 v79, s18, v130 :: v_dual_mul_f32 v82, s18, v127
	v_dual_mul_f32 v83, s18, v126 :: v_dual_mul_f32 v94, s18, v107
	v_cndmask_b32_e64 v93, 0xff7fffff, v93, s2
	v_cndmask_b32_e32 v92, 0xff7fffff, v92, vcc_lo
	v_cmp_gt_i32_e64 s3, s17, v71
	v_cmp_gt_i32_e64 s4, s17, v72
	v_or_b32_e32 v84, 12, v68
	v_or_b32_e32 v85, 14, v68
	v_cmp_gt_i32_e64 s5, s17, v108
	v_cndmask_b32_e64 v71, 0xff7fffff, v83, s3
	v_cndmask_b32_e64 v72, 0xff7fffff, v82, s4
	v_cmp_gt_i32_e64 s6, s17, v109
	v_cmp_gt_i32_e64 s12, s17, v89
	v_lshlrev_b32_e32 v89, 2, v69
	v_max3_f32 v82, v93, 0xff7fffff, v92
	v_or_b32_e32 v86, 16, v68
	v_or_b32_e32 v87, 18, v68
	v_mul_f32_e32 v78, s18, v131
	v_cndmask_b32_e64 v81, 0xff7fffff, v81, s5
	v_cndmask_b32_e64 v80, 0xff7fffff, v80, s6
	v_max3_f32 v71, v82, v71, v72
	v_cmp_gt_i32_e64 s7, s17, v84
	v_cmp_gt_i32_e64 s8, s17, v85
	v_or_b32_e32 v88, 20, v68
	v_or_b32_e32 v90, 24, v68
	v_or_b32_e32 v91, 26, v68
	v_or_b32_e32 v76, 28, v68
	v_or_b32_e32 v77, 30, v68
	v_dual_mul_f32 v97, s18, v104 :: v_dual_mul_f32 v70, s18, v101
	v_dual_mul_f32 v99, s18, v102 :: v_dual_mul_f32 v68, s18, v100
	v_cndmask_b32_e64 v72, 0xff7fffff, v79, s7
	v_cndmask_b32_e64 v78, 0xff7fffff, v78, s8
	v_max3_f32 v71, v71, v81, v80
	v_cmp_gt_i32_e64 s9, s17, v86
	v_cmp_gt_i32_e64 s10, s17, v87
	v_dual_mul_f32 v95, s18, v106 :: v_dual_mul_f32 v98, s18, v103
	s_delay_alu instid0(VALU_DEP_4) | instskip(NEXT) | instid1(VALU_DEP_4)
	v_max3_f32 v71, v71, v72, v78
	v_cndmask_b32_e64 v68, 0xff7fffff, v68, s9
	s_delay_alu instid0(VALU_DEP_4)
	v_cndmask_b32_e64 v70, 0xff7fffff, v70, s10
	v_cmp_gt_i32_e64 s11, s17, v88
	v_cndmask_b32_e64 v78, 0xff7fffff, v98, s12
	v_cmp_gt_i32_e64 s13, s17, v90
	v_cmp_gt_i32_e64 s15, s17, v91
	v_max3_f32 v68, v71, v68, v70
	v_cndmask_b32_e64 v72, 0xff7fffff, v99, s11
	v_cmp_gt_i32_e64 s16, s17, v76
	v_cndmask_b32_e64 v70, 0xff7fffff, v97, s13
	v_cndmask_b32_e64 v71, 0xff7fffff, v96, s15
	v_cmp_gt_i32_e64 s17, s17, v77
	v_max3_f32 v68, v68, v72, v78
	v_cndmask_b32_e64 v72, 0xff7fffff, v95, s16
	s_delay_alu instid0(VALU_DEP_3) | instskip(NEXT) | instid1(VALU_DEP_3)
	v_cndmask_b32_e64 v76, 0xff7fffff, v94, s17
	v_max3_f32 v68, v68, v70, v71
	s_delay_alu instid0(VALU_DEP_1) | instskip(SKIP_3) | instid1(VALU_DEP_1)
	v_max3_f32 v68, v68, v72, v76
	ds_bpermute_b32 v69, v89, v68
	s_waitcnt lgkmcnt(0)
	v_max_f32_e32 v69, v69, v69
	v_max_f32_e32 v68, v68, v69
	s_delay_alu instid0(VALU_DEP_1) | instskip(NEXT) | instid1(VALU_DEP_1)
	v_fma_f32 v71, s18, v126, -v68
	v_mul_f32_e32 v71, 0x3fb8aa3b, v71
	v_fma_f32 v70, s18, v125, -v68
	v_fma_f32 v69, s18, v124, -v68
	;; [unrolled: 1-line block ×5, first 2 shown]
	s_delay_alu instid0(VALU_DEP_4) | instskip(SKIP_1) | instid1(VALU_DEP_3)
	v_dual_mul_f32 v70, 0x3fb8aa3b, v70 :: v_dual_mul_f32 v69, 0x3fb8aa3b, v69
	v_exp_f32_e32 v71, v71
	v_mul_f32_e32 v72, 0x3fb8aa3b, v72
	v_fma_f32 v81, s18, v105, -v68
	s_delay_alu instid0(VALU_DEP_3)
	v_exp_f32_e32 v70, v70
	v_mul_f32_e32 v77, 0x3fb8aa3b, v76
	v_exp_f32_e32 v69, v69
	v_exp_f32_e32 v72, v72
	v_mul_f32_e32 v81, 0x3fb8aa3b, v81
	v_cndmask_b32_e64 v83, 0, v71, s3
	v_fma_f32 v71, s18, v131, -v68
	s_delay_alu instid0(VALU_DEP_3) | instskip(SKIP_4) | instid1(TRANS32_DEP_3)
	v_exp_f32_e32 v81, v81
	v_cndmask_b32_e32 v76, 0, v70, vcc_lo
	v_exp_f32_e32 v77, v77
	v_cndmask_b32_e64 v80, 0, v69, s2
	v_fma_f32 v69, s18, v129, -v68
	v_cndmask_b32_e64 v85, 0, v72, s4
	v_mul_f32_e32 v71, 0x3fb8aa3b, v71
	v_fma_f32 v72, s18, v100, -v68
	s_delay_alu instid0(VALU_DEP_4) | instskip(SKIP_1) | instid1(VALU_DEP_4)
	v_dual_add_f32 v70, 0, v80 :: v_dual_mul_f32 v69, 0x3fb8aa3b, v69
	v_cmp_gt_u32_e64 s2, 16, v67
	v_exp_f32_e32 v71, v71
	s_delay_alu instid0(TRANS32_DEP_2) | instskip(SKIP_4) | instid1(VALU_DEP_3)
	v_cndmask_b32_e64 v86, 0, v77, s5
	v_fma_f32 v77, s18, v101, -v68
	v_mul_f32_e32 v78, 0x3fb8aa3b, v78
	v_add_f32_e32 v70, v70, v76
	v_exp_f32_e32 v69, v69
	v_mul_f32_e32 v77, 0x3fb8aa3b, v77
	s_delay_alu instid0(VALU_DEP_3) | instskip(NEXT) | instid1(TRANS32_DEP_3)
	v_exp_f32_e32 v78, v78
	v_cndmask_b32_e64 v88, 0, v71, s8
	v_fma_f32 v71, s18, v104, -v68
	s_delay_alu instid0(VALU_DEP_3) | instskip(NEXT) | instid1(TRANS32_DEP_3)
	v_exp_f32_e32 v77, v77
	v_cndmask_b32_e64 v87, 0, v69, s6
	s_delay_alu instid0(VALU_DEP_2)
	v_mul_f32_e32 v71, 0x3fb8aa3b, v71
	s_waitcnt_depctr 0xfff
	v_cndmask_b32_e64 v84, 0, v78, s7
	v_add_f32_e32 v70, v70, v83
	v_fma_f32 v78, s18, v103, -v68
	v_exp_f32_e32 v82, v71
	s_delay_alu instid0(VALU_DEP_2) | instskip(SKIP_1) | instid1(VALU_DEP_3)
	v_add_f32_e32 v70, v70, v85
	v_mul_f32_e32 v72, 0x3fb8aa3b, v72
	v_mul_f32_e32 v78, 0x3fb8aa3b, v78
	s_delay_alu instid0(VALU_DEP_3) | instskip(SKIP_1) | instid1(VALU_DEP_4)
	v_add_f32_e32 v69, v70, v86
	v_fma_f32 v70, s18, v102, -v68
	v_exp_f32_e32 v72, v72
	s_delay_alu instid0(VALU_DEP_3) | instskip(NEXT) | instid1(VALU_DEP_1)
	v_exp_f32_e32 v78, v78
	v_dual_add_f32 v69, v69, v87 :: v_dual_mul_f32 v70, 0x3fb8aa3b, v70
	s_delay_alu instid0(VALU_DEP_1) | instskip(NEXT) | instid1(VALU_DEP_2)
	v_add_f32_e32 v69, v69, v84
	v_exp_f32_e32 v79, v70
	s_delay_alu instid0(TRANS32_DEP_3) | instskip(NEXT) | instid1(VALU_DEP_2)
	v_cndmask_b32_e64 v70, 0, v72, s9
	v_add_f32_e32 v72, v69, v88
	v_cndmask_b32_e64 v69, 0, v77, s10
	v_fma_f32 v77, s18, v106, -v68
	s_waitcnt_depctr 0xfff
	v_cndmask_b32_e64 v71, 0, v79, s11
	v_dual_mul_f32 v77, 0x3fb8aa3b, v77 :: v_dual_add_f32 v72, v72, v70
	s_delay_alu instid0(VALU_DEP_1) | instskip(NEXT) | instid1(VALU_DEP_1)
	v_exp_f32_e32 v90, v77
	v_add_f32_e32 v79, v72, v69
	v_cndmask_b32_e64 v72, 0, v78, s12
	v_cndmask_b32_e64 v77, 0, v82, s13
	s_delay_alu instid0(VALU_DEP_3) | instskip(SKIP_1) | instid1(VALU_DEP_1)
	v_add_f32_e32 v78, v79, v71
	v_fma_f32 v79, s18, v107, -v68
	v_dual_add_f32 v82, v78, v72 :: v_dual_mul_f32 v79, 0x3fb8aa3b, v79
	v_cndmask_b32_e64 v78, 0, v81, s15
	s_delay_alu instid0(VALU_DEP_2) | instskip(NEXT) | instid1(VALU_DEP_3)
	v_add_f32_e32 v81, v82, v77
	v_exp_f32_e32 v82, v79
	v_cndmask_b32_e64 v79, 0, v90, s16
	s_delay_alu instid0(VALU_DEP_2) | instskip(NEXT) | instid1(VALU_DEP_1)
	v_add_f32_e32 v81, v81, v78
	v_add_f32_e32 v90, v81, v79
	s_waitcnt_depctr 0xfff
	v_cndmask_b32_e64 v81, 0, v82, s17
	s_delay_alu instid0(VALU_DEP_1)
	v_add_f32_e32 v82, v90, v81
	ds_bpermute_b32 v89, v89, v82
	s_and_saveexec_b32 s3, s2
	s_cbranch_execz .LBB1836_12
; %bb.11:
	v_mul_u32_u24_e32 v67, 0x44, v66
	s_delay_alu instid0(VALU_DEP_1) | instskip(SKIP_1) | instid1(VALU_DEP_1)
	v_lshl_add_u32 v67, v65, 2, v67
	s_waitcnt lgkmcnt(0)
	v_dual_add_f32 v82, v82, v89 :: v_dual_add_nc_u32 v67, 0x4000, v67
	ds_store_2addr_b32 v67, v68, v82 offset1:136
.LBB1836_12:
	s_or_b32 exec_lo, exec_lo, s3
	v_lshlrev_b32_e32 v67, 2, v65
	s_waitcnt lgkmcnt(0)
	s_barrier
	buffer_gl0_inv
	v_cmp_eq_u32_e32 vcc_lo, 1, v66
	v_add_nc_u32_e32 v82, 0x4000, v67
	v_cmp_eq_u32_e64 s3, 2, v66
	v_cmp_eq_u32_e64 s5, 7, v66
	ds_load_2addr_b32 v[89:90], v82 offset1:17
	ds_load_2addr_b32 v[91:92], v82 offset0:34 offset1:51
	ds_load_2addr_b32 v[93:94], v82 offset0:68 offset1:85
	;; [unrolled: 1-line block ×4, first 2 shown]
	s_waitcnt lgkmcnt(4)
	v_max3_f32 v67, v89, 0xff7fffff, v90
	s_waitcnt lgkmcnt(3)
	s_delay_alu instid0(VALU_DEP_1) | instskip(SKIP_1) | instid1(VALU_DEP_1)
	v_max3_f32 v67, v67, v91, v92
	s_waitcnt lgkmcnt(2)
	v_max3_f32 v67, v67, v93, v94
	s_waitcnt lgkmcnt(1)
	s_delay_alu instid0(VALU_DEP_1) | instskip(NEXT) | instid1(VALU_DEP_1)
	v_max3_f32 v67, v67, v95, v96
	v_sub_f32_e32 v93, v93, v67
	s_delay_alu instid0(VALU_DEP_1) | instskip(NEXT) | instid1(VALU_DEP_1)
	v_dual_sub_f32 v68, v89, v67 :: v_dual_mul_f32 v103, 0x3fb8aa3b, v93
	v_mul_f32_e32 v68, 0x3fb8aa3b, v68
	s_delay_alu instid0(VALU_DEP_1)
	v_exp_f32_e32 v100, v68
	v_sub_f32_e32 v68, v92, v67
	v_sub_f32_e32 v99, v90, v67
	ds_load_2addr_b32 v[89:90], v82 offset0:170 offset1:187
	v_dual_mul_f32 v102, 0x3fb8aa3b, v68 :: v_dual_mul_f32 v99, 0x3fb8aa3b, v99
	s_waitcnt lgkmcnt(1)
	v_fma_f32 v68, v100, v97, 0
	s_delay_alu instid0(VALU_DEP_2) | instskip(NEXT) | instid1(VALU_DEP_2)
	v_exp_f32_e32 v102, v102
	v_exp_f32_e32 v99, v99
	s_waitcnt_depctr 0xfff
	v_fmac_f32_e32 v68, v99, v98
	v_sub_f32_e32 v91, v91, v67
	s_delay_alu instid0(VALU_DEP_1)
	v_mul_f32_e32 v101, 0x3fb8aa3b, v91
	ds_load_2addr_b32 v[91:92], v82 offset0:204 offset1:221
	v_sub_f32_e32 v97, v94, v67
	ds_load_2addr_b32 v[93:94], v82 offset0:238 offset1:255
	s_waitcnt lgkmcnt(0)
	v_exp_f32_e32 v101, v101
	s_barrier
	buffer_gl0_inv
	v_dual_fmac_f32 v68, v101, v89 :: v_dual_sub_f32 v89, v96, v67
	v_dual_sub_f32 v82, v95, v67 :: v_dual_mul_f32 v95, 0x3fb8aa3b, v97
	v_exp_f32_e32 v97, v103
	s_delay_alu instid0(VALU_DEP_2) | instskip(NEXT) | instid1(VALU_DEP_2)
	v_dual_fmac_f32 v68, v102, v90 :: v_dual_mul_f32 v89, 0x3fb8aa3b, v89
	v_mul_f32_e32 v82, 0x3fb8aa3b, v82
	s_delay_alu instid0(VALU_DEP_3) | instskip(NEXT) | instid1(VALU_DEP_2)
	v_exp_f32_e32 v95, v95
	v_exp_f32_e32 v89, v89
	s_delay_alu instid0(VALU_DEP_1)
	v_exp_f32_e32 v82, v82
	v_fmac_f32_e32 v68, v97, v91
	s_delay_alu instid0(TRANS32_DEP_3) | instid1(VALU_DEP_1)
	v_fmac_f32_e32 v68, v95, v92
	s_waitcnt_depctr 0xfff
	v_fmac_f32_e32 v68, v82, v93
	s_delay_alu instid0(VALU_DEP_1) | instskip(NEXT) | instid1(VALU_DEP_1)
	v_fmac_f32_e32 v68, v89, v94
	v_add_f32_e32 v90, 0x358637bd, v68
	s_delay_alu instid0(VALU_DEP_1) | instskip(NEXT) | instid1(VALU_DEP_1)
	v_div_scale_f32 v91, null, v90, v90, 1.0
	v_rcp_f32_e32 v92, v91
	s_waitcnt_depctr 0xfff
	v_fma_f32 v93, -v91, v92, 1.0
	s_delay_alu instid0(VALU_DEP_1) | instskip(SKIP_1) | instid1(VALU_DEP_2)
	v_dual_fmac_f32 v92, v93, v92 :: v_dual_cndmask_b32 v93, v100, v99
	v_cmp_eq_u32_e32 vcc_lo, 3, v66
	v_cndmask_b32_e64 v93, v93, v101, s3
	v_cmp_eq_u32_e64 s3, 4, v66
	s_delay_alu instid0(VALU_DEP_2) | instskip(SKIP_1) | instid1(VALU_DEP_2)
	v_cndmask_b32_e32 v93, v93, v102, vcc_lo
	v_cmp_eq_u32_e32 vcc_lo, 5, v66
	v_cndmask_b32_e64 v93, v93, v97, s3
	v_cmp_eq_u32_e64 s3, 6, v66
	s_delay_alu instid0(VALU_DEP_2) | instskip(SKIP_1) | instid1(VALU_DEP_1)
	v_cndmask_b32_e32 v93, v93, v95, vcc_lo
	v_div_scale_f32 v94, s4, 1.0, v90, 1.0
	s_mov_b32 vcc_lo, s4
	s_delay_alu instid0(VALU_DEP_2) | instskip(NEXT) | instid1(VALU_DEP_2)
	v_cndmask_b32_e64 v82, v93, v82, s3
	v_mul_f32_e32 v96, v94, v92
	s_mov_b32 s3, exec_lo
	s_delay_alu instid0(VALU_DEP_2) | instskip(NEXT) | instid1(VALU_DEP_2)
	v_cndmask_b32_e64 v82, v82, v89, s5
	v_fma_f32 v98, -v91, v96, v94
	s_delay_alu instid0(VALU_DEP_1) | instskip(NEXT) | instid1(VALU_DEP_1)
	v_fmac_f32_e32 v96, v98, v92
	v_fma_f32 v91, -v91, v96, v94
	s_delay_alu instid0(VALU_DEP_1) | instskip(NEXT) | instid1(VALU_DEP_1)
	v_div_fmas_f32 v91, v91, v92, v96
	v_div_fixup_f32 v90, v91, v90, 1.0
	s_delay_alu instid0(VALU_DEP_1) | instskip(NEXT) | instid1(VALU_DEP_1)
	v_mul_f32_e32 v82, v82, v90
	v_mul_f32_e32 v87, v82, v87
	;; [unrolled: 1-line block ×7, first 2 shown]
	v_dual_mul_f32 v86, v82, v83 :: v_dual_and_b32 v91, 0x7f800000, v90
	v_mul_f32_e32 v85, v82, v76
                                        ; implicit-def: $vgpr76
	s_delay_alu instid0(VALU_DEP_2)
	v_cmpx_ne_u32_e32 0x7f800000, v91
	s_xor_b32 s3, exec_lo, s3
; %bb.13:
	v_bfe_u32 v76, v90, 16, 1
	s_delay_alu instid0(VALU_DEP_1)
	v_add3_u32 v76, v90, v76, 0x7fff
                                        ; implicit-def: $vgpr90
; %bb.14:
	s_and_not1_saveexec_b32 s3, s3
; %bb.15:
	v_and_b32_e32 v76, 0xffff, v90
	v_or_b32_e32 v83, 0x10000, v90
	s_delay_alu instid0(VALU_DEP_2) | instskip(NEXT) | instid1(VALU_DEP_2)
	v_cmp_eq_u32_e32 vcc_lo, 0, v76
	v_cndmask_b32_e32 v76, v83, v90, vcc_lo
; %bb.16:
	s_or_b32 exec_lo, exec_lo, s3
	v_and_b32_e32 v83, 0x7f800000, v85
	s_delay_alu instid0(VALU_DEP_1) | instskip(SKIP_1) | instid1(SALU_CYCLE_1)
	v_cmp_ne_u32_e32 vcc_lo, 0x7f800000, v83
                                        ; implicit-def: $vgpr83
	s_and_saveexec_b32 s3, vcc_lo
	s_xor_b32 s3, exec_lo, s3
; %bb.17:
	v_bfe_u32 v83, v85, 16, 1
	s_delay_alu instid0(VALU_DEP_1)
	v_add3_u32 v83, v85, v83, 0x7fff
                                        ; implicit-def: $vgpr85
; %bb.18:
	s_and_not1_saveexec_b32 s3, s3
; %bb.19:
	v_and_b32_e32 v83, 0xffff, v85
	v_or_b32_e32 v90, 0x10000, v85
	s_delay_alu instid0(VALU_DEP_2) | instskip(NEXT) | instid1(VALU_DEP_2)
	v_cmp_eq_u32_e32 vcc_lo, 0, v83
	v_cndmask_b32_e32 v83, v90, v85, vcc_lo
; %bb.20:
	s_or_b32 exec_lo, exec_lo, s3
	v_and_b32_e32 v85, 0x7f800000, v86
	s_delay_alu instid0(VALU_DEP_1) | instskip(SKIP_1) | instid1(SALU_CYCLE_1)
	v_cmp_ne_u32_e32 vcc_lo, 0x7f800000, v85
                                        ; implicit-def: $vgpr85
	s_and_saveexec_b32 s3, vcc_lo
	s_xor_b32 s3, exec_lo, s3
; %bb.21:
	v_bfe_u32 v85, v86, 16, 1
	s_delay_alu instid0(VALU_DEP_1)
	v_add3_u32 v85, v86, v85, 0x7fff
                                        ; implicit-def: $vgpr86
; %bb.22:
	s_and_not1_saveexec_b32 s3, s3
; %bb.23:
	v_and_b32_e32 v85, 0xffff, v86
	v_or_b32_e32 v90, 0x10000, v86
	s_delay_alu instid0(VALU_DEP_2) | instskip(NEXT) | instid1(VALU_DEP_2)
	v_cmp_eq_u32_e32 vcc_lo, 0, v85
	v_cndmask_b32_e32 v85, v90, v86, vcc_lo
; %bb.24:
	s_or_b32 exec_lo, exec_lo, s3
	v_and_b32_e32 v86, 0x7f800000, v89
	s_delay_alu instid0(VALU_DEP_1) | instskip(SKIP_1) | instid1(SALU_CYCLE_1)
	v_cmp_ne_u32_e32 vcc_lo, 0x7f800000, v86
                                        ; implicit-def: $vgpr86
	s_and_saveexec_b32 s3, vcc_lo
	s_xor_b32 s3, exec_lo, s3
; %bb.25:
	v_bfe_u32 v86, v89, 16, 1
	s_delay_alu instid0(VALU_DEP_1)
	v_add3_u32 v86, v89, v86, 0x7fff
                                        ; implicit-def: $vgpr89
; %bb.26:
	s_and_not1_saveexec_b32 s3, s3
; %bb.27:
	v_and_b32_e32 v86, 0xffff, v89
	v_or_b32_e32 v90, 0x10000, v89
	s_delay_alu instid0(VALU_DEP_2) | instskip(NEXT) | instid1(VALU_DEP_2)
	v_cmp_eq_u32_e32 vcc_lo, 0, v86
	v_cndmask_b32_e32 v86, v90, v89, vcc_lo
; %bb.28:
	s_or_b32 exec_lo, exec_lo, s3
	v_and_b32_e32 v89, 0x7f800000, v88
	s_delay_alu instid0(VALU_DEP_1) | instskip(SKIP_1) | instid1(SALU_CYCLE_1)
	v_cmp_ne_u32_e32 vcc_lo, 0x7f800000, v89
                                        ; implicit-def: $vgpr89
	s_and_saveexec_b32 s3, vcc_lo
	s_xor_b32 s3, exec_lo, s3
; %bb.29:
	v_bfe_u32 v89, v88, 16, 1
	s_delay_alu instid0(VALU_DEP_1)
	v_add3_u32 v89, v88, v89, 0x7fff
                                        ; implicit-def: $vgpr88
; %bb.30:
	s_and_not1_saveexec_b32 s3, s3
; %bb.31:
	v_and_b32_e32 v89, 0xffff, v88
	v_or_b32_e32 v90, 0x10000, v88
	s_delay_alu instid0(VALU_DEP_2) | instskip(NEXT) | instid1(VALU_DEP_2)
	v_cmp_eq_u32_e32 vcc_lo, 0, v89
	v_cndmask_b32_e32 v89, v90, v88, vcc_lo
; %bb.32:
	s_or_b32 exec_lo, exec_lo, s3
	v_and_b32_e32 v88, 0x7f800000, v87
	s_delay_alu instid0(VALU_DEP_1) | instskip(SKIP_1) | instid1(SALU_CYCLE_1)
	v_cmp_ne_u32_e32 vcc_lo, 0x7f800000, v88
                                        ; implicit-def: $vgpr88
	s_and_saveexec_b32 s3, vcc_lo
	s_xor_b32 s3, exec_lo, s3
; %bb.33:
	v_bfe_u32 v88, v87, 16, 1
	s_delay_alu instid0(VALU_DEP_1)
	v_add3_u32 v88, v87, v88, 0x7fff
                                        ; implicit-def: $vgpr87
; %bb.34:
	s_and_not1_saveexec_b32 s3, s3
; %bb.35:
	v_and_b32_e32 v88, 0xffff, v87
	v_or_b32_e32 v90, 0x10000, v87
	s_delay_alu instid0(VALU_DEP_2) | instskip(NEXT) | instid1(VALU_DEP_2)
	v_cmp_eq_u32_e32 vcc_lo, 0, v88
	v_cndmask_b32_e32 v88, v90, v87, vcc_lo
; %bb.36:
	s_or_b32 exec_lo, exec_lo, s3
	v_and_b32_e32 v87, 0x7f800000, v84
	s_delay_alu instid0(VALU_DEP_1) | instskip(SKIP_1) | instid1(SALU_CYCLE_1)
	v_cmp_ne_u32_e32 vcc_lo, 0x7f800000, v87
                                        ; implicit-def: $vgpr87
	s_and_saveexec_b32 s3, vcc_lo
	s_xor_b32 s3, exec_lo, s3
; %bb.37:
	v_bfe_u32 v87, v84, 16, 1
	s_delay_alu instid0(VALU_DEP_1)
	v_add3_u32 v87, v84, v87, 0x7fff
                                        ; implicit-def: $vgpr84
; %bb.38:
	s_and_not1_saveexec_b32 s3, s3
; %bb.39:
	v_and_b32_e32 v87, 0xffff, v84
	v_or_b32_e32 v90, 0x10000, v84
	s_delay_alu instid0(VALU_DEP_2) | instskip(NEXT) | instid1(VALU_DEP_2)
	v_cmp_eq_u32_e32 vcc_lo, 0, v87
	v_cndmask_b32_e32 v87, v90, v84, vcc_lo
; %bb.40:
	s_or_b32 exec_lo, exec_lo, s3
	v_and_b32_e32 v84, 0x7f800000, v80
	s_delay_alu instid0(VALU_DEP_1) | instskip(SKIP_1) | instid1(SALU_CYCLE_1)
	v_cmp_ne_u32_e32 vcc_lo, 0x7f800000, v84
                                        ; implicit-def: $vgpr84
	s_and_saveexec_b32 s3, vcc_lo
	s_xor_b32 s3, exec_lo, s3
; %bb.41:
	v_bfe_u32 v84, v80, 16, 1
	s_delay_alu instid0(VALU_DEP_1)
	v_add3_u32 v84, v80, v84, 0x7fff
                                        ; implicit-def: $vgpr80
; %bb.42:
	s_and_not1_saveexec_b32 s3, s3
; %bb.43:
	v_and_b32_e32 v84, 0xffff, v80
	v_or_b32_e32 v90, 0x10000, v80
	s_delay_alu instid0(VALU_DEP_2) | instskip(NEXT) | instid1(VALU_DEP_2)
	v_cmp_eq_u32_e32 vcc_lo, 0, v84
	v_cndmask_b32_e32 v84, v90, v80, vcc_lo
; %bb.44:
	s_or_b32 exec_lo, exec_lo, s3
	s_load_b64 s[34:35], s[0:1], 0x94
	v_lshlrev_b32_e32 v91, 4, v74
	s_delay_alu instid0(VALU_DEP_2)
	v_perm_b32 v90, v84, v87, 0x7060302
	v_dual_mul_f32 v79, v82, v79 :: v_dual_lshlrev_b32 v80, 6, v65
	v_dual_mul_f32 v77, v82, v77 :: v_dual_lshlrev_b32 v92, 11, v66
	v_mul_f32_e32 v84, v82, v70
	v_perm_b32 v89, v88, v89, 0x7060302
	v_perm_b32 v88, v86, v85, 0x7060302
	;; [unrolled: 1-line block ×3, first 2 shown]
	v_mul_f32_e32 v70, v82, v81
	v_or3_b32 v76, v91, v92, v80
	v_dual_mul_f32 v78, v82, v78 :: v_dual_and_b32 v85, 0x7f800000, v84
	v_mul_f32_e32 v83, v82, v72
	v_mul_f32_e32 v81, v82, v71
	;; [unrolled: 1-line block ×3, first 2 shown]
	s_mov_b32 s3, exec_lo
	ds_store_b128 v76, v[87:90]
                                        ; implicit-def: $vgpr69
	v_cmpx_ne_u32_e32 0x7f800000, v85
	s_xor_b32 s3, exec_lo, s3
; %bb.45:
	v_bfe_u32 v69, v84, 16, 1
	s_delay_alu instid0(VALU_DEP_1)
	v_add3_u32 v69, v84, v69, 0x7fff
                                        ; implicit-def: $vgpr84
; %bb.46:
	s_and_not1_saveexec_b32 s3, s3
; %bb.47:
	v_and_b32_e32 v69, 0xffff, v84
	v_or_b32_e32 v71, 0x10000, v84
	s_delay_alu instid0(VALU_DEP_2) | instskip(NEXT) | instid1(VALU_DEP_2)
	v_cmp_eq_u32_e32 vcc_lo, 0, v69
	v_cndmask_b32_e32 v69, v71, v84, vcc_lo
; %bb.48:
	s_or_b32 exec_lo, exec_lo, s3
	v_and_b32_e32 v71, 0x7f800000, v72
	s_delay_alu instid0(VALU_DEP_1) | instskip(SKIP_1) | instid1(SALU_CYCLE_1)
	v_cmp_ne_u32_e32 vcc_lo, 0x7f800000, v71
                                        ; implicit-def: $vgpr71
	s_and_saveexec_b32 s3, vcc_lo
	s_xor_b32 s3, exec_lo, s3
; %bb.49:
	v_bfe_u32 v71, v72, 16, 1
	s_delay_alu instid0(VALU_DEP_1)
	v_add3_u32 v71, v72, v71, 0x7fff
                                        ; implicit-def: $vgpr72
; %bb.50:
	s_and_not1_saveexec_b32 s3, s3
; %bb.51:
	v_and_b32_e32 v71, 0xffff, v72
	v_or_b32_e32 v82, 0x10000, v72
	s_delay_alu instid0(VALU_DEP_2) | instskip(NEXT) | instid1(VALU_DEP_2)
	v_cmp_eq_u32_e32 vcc_lo, 0, v71
	v_cndmask_b32_e32 v71, v82, v72, vcc_lo
; %bb.52:
	s_or_b32 exec_lo, exec_lo, s3
	v_and_b32_e32 v72, 0x7f800000, v81
	s_delay_alu instid0(VALU_DEP_1) | instskip(SKIP_1) | instid1(SALU_CYCLE_1)
	v_cmp_ne_u32_e32 vcc_lo, 0x7f800000, v72
                                        ; implicit-def: $vgpr72
	s_and_saveexec_b32 s3, vcc_lo
	s_xor_b32 s3, exec_lo, s3
; %bb.53:
	v_bfe_u32 v72, v81, 16, 1
	s_delay_alu instid0(VALU_DEP_1)
	v_add3_u32 v72, v81, v72, 0x7fff
                                        ; implicit-def: $vgpr81
; %bb.54:
	s_and_not1_saveexec_b32 s3, s3
; %bb.55:
	v_and_b32_e32 v72, 0xffff, v81
	v_or_b32_e32 v82, 0x10000, v81
	s_delay_alu instid0(VALU_DEP_2) | instskip(NEXT) | instid1(VALU_DEP_2)
	v_cmp_eq_u32_e32 vcc_lo, 0, v72
	v_cndmask_b32_e32 v72, v82, v81, vcc_lo
; %bb.56:
	s_or_b32 exec_lo, exec_lo, s3
	v_and_b32_e32 v81, 0x7f800000, v83
	s_delay_alu instid0(VALU_DEP_1) | instskip(SKIP_1) | instid1(SALU_CYCLE_1)
	v_cmp_ne_u32_e32 vcc_lo, 0x7f800000, v81
                                        ; implicit-def: $vgpr81
	s_and_saveexec_b32 s3, vcc_lo
	s_xor_b32 s3, exec_lo, s3
; %bb.57:
	v_bfe_u32 v81, v83, 16, 1
	s_delay_alu instid0(VALU_DEP_1)
	v_add3_u32 v81, v83, v81, 0x7fff
                                        ; implicit-def: $vgpr83
; %bb.58:
	s_and_not1_saveexec_b32 s3, s3
; %bb.59:
	v_and_b32_e32 v81, 0xffff, v83
	v_or_b32_e32 v82, 0x10000, v83
	s_delay_alu instid0(VALU_DEP_2) | instskip(NEXT) | instid1(VALU_DEP_2)
	v_cmp_eq_u32_e32 vcc_lo, 0, v81
	v_cndmask_b32_e32 v81, v82, v83, vcc_lo
; %bb.60:
	s_or_b32 exec_lo, exec_lo, s3
	v_and_b32_e32 v82, 0x7f800000, v77
	s_delay_alu instid0(VALU_DEP_1) | instskip(SKIP_1) | instid1(SALU_CYCLE_1)
	v_cmp_ne_u32_e32 vcc_lo, 0x7f800000, v82
                                        ; implicit-def: $vgpr82
	s_and_saveexec_b32 s3, vcc_lo
	s_xor_b32 s3, exec_lo, s3
; %bb.61:
	v_bfe_u32 v82, v77, 16, 1
	s_delay_alu instid0(VALU_DEP_1)
	v_add3_u32 v82, v77, v82, 0x7fff
                                        ; implicit-def: $vgpr77
; %bb.62:
	s_and_not1_saveexec_b32 s3, s3
; %bb.63:
	v_and_b32_e32 v82, 0xffff, v77
	v_or_b32_e32 v83, 0x10000, v77
	s_delay_alu instid0(VALU_DEP_2) | instskip(NEXT) | instid1(VALU_DEP_2)
	v_cmp_eq_u32_e32 vcc_lo, 0, v82
	v_cndmask_b32_e32 v82, v83, v77, vcc_lo
; %bb.64:
	s_or_b32 exec_lo, exec_lo, s3
	v_and_b32_e32 v77, 0x7f800000, v78
	s_delay_alu instid0(VALU_DEP_1) | instskip(SKIP_1) | instid1(SALU_CYCLE_1)
	v_cmp_ne_u32_e32 vcc_lo, 0x7f800000, v77
                                        ; implicit-def: $vgpr77
	s_and_saveexec_b32 s3, vcc_lo
	s_xor_b32 s3, exec_lo, s3
; %bb.65:
	v_bfe_u32 v77, v78, 16, 1
	s_delay_alu instid0(VALU_DEP_1)
	v_add3_u32 v77, v78, v77, 0x7fff
                                        ; implicit-def: $vgpr78
; %bb.66:
	s_and_not1_saveexec_b32 s3, s3
; %bb.67:
	v_and_b32_e32 v77, 0xffff, v78
	v_or_b32_e32 v83, 0x10000, v78
	s_delay_alu instid0(VALU_DEP_2) | instskip(NEXT) | instid1(VALU_DEP_2)
	v_cmp_eq_u32_e32 vcc_lo, 0, v77
	v_cndmask_b32_e32 v77, v83, v78, vcc_lo
; %bb.68:
	s_or_b32 exec_lo, exec_lo, s3
	v_and_b32_e32 v78, 0x7f800000, v79
	s_delay_alu instid0(VALU_DEP_1) | instskip(SKIP_1) | instid1(SALU_CYCLE_1)
	v_cmp_ne_u32_e32 vcc_lo, 0x7f800000, v78
                                        ; implicit-def: $vgpr78
	s_and_saveexec_b32 s3, vcc_lo
	s_xor_b32 s3, exec_lo, s3
; %bb.69:
	v_bfe_u32 v78, v79, 16, 1
	s_delay_alu instid0(VALU_DEP_1)
	v_add3_u32 v78, v79, v78, 0x7fff
                                        ; implicit-def: $vgpr79
; %bb.70:
	s_and_not1_saveexec_b32 s3, s3
; %bb.71:
	v_and_b32_e32 v78, 0xffff, v79
	v_or_b32_e32 v83, 0x10000, v79
	s_delay_alu instid0(VALU_DEP_2) | instskip(NEXT) | instid1(VALU_DEP_2)
	v_cmp_eq_u32_e32 vcc_lo, 0, v78
	v_cndmask_b32_e32 v78, v83, v79, vcc_lo
; %bb.72:
	s_or_b32 exec_lo, exec_lo, s3
	v_and_b32_e32 v79, 0x7f800000, v70
	s_delay_alu instid0(VALU_DEP_1) | instskip(SKIP_1) | instid1(SALU_CYCLE_1)
	v_cmp_ne_u32_e32 vcc_lo, 0x7f800000, v79
                                        ; implicit-def: $vgpr79
	s_and_saveexec_b32 s3, vcc_lo
	s_xor_b32 s3, exec_lo, s3
; %bb.73:
	v_bfe_u32 v79, v70, 16, 1
	s_delay_alu instid0(VALU_DEP_1)
	v_add3_u32 v79, v70, v79, 0x7fff
                                        ; implicit-def: $vgpr70
; %bb.74:
	s_and_not1_saveexec_b32 s3, s3
; %bb.75:
	v_and_b32_e32 v79, 0xffff, v70
	v_or_b32_e32 v83, 0x10000, v70
	s_delay_alu instid0(VALU_DEP_2) | instskip(NEXT) | instid1(VALU_DEP_2)
	v_cmp_eq_u32_e32 vcc_lo, 0, v79
	v_cndmask_b32_e32 v79, v83, v70, vcc_lo
; %bb.76:
	s_or_b32 exec_lo, exec_lo, s3
	s_delay_alu instid0(VALU_DEP_1)
	v_perm_b32 v86, v79, v78, 0x7060302
	v_perm_b32 v85, v77, v82, 0x7060302
	;; [unrolled: 1-line block ×4, first 2 shown]
	v_lshl_or_b32 v82, v66, 11, v80
	ds_store_b128 v76, v[83:86] offset:1024
	s_waitcnt lgkmcnt(0)
	s_barrier
	buffer_gl0_inv
	ds_load_b128 v[69:72], v82
	ds_load_b128 v[83:86], v82 offset:16
	s_waitcnt lgkmcnt(1)
	v_lshrrev_b32_e32 v66, 16, v69
	s_waitcnt lgkmcnt(0)
	v_lshrrev_b32_e32 v91, 16, v83
	v_lshlrev_b32_e32 v78, 2, v74
	v_lshrrev_b32_e32 v95, 16, v70
	v_lshrrev_b32_e32 v98, 16, v84
	;; [unrolled: 1-line block ×4, first 2 shown]
	v_cmp_eq_u32_e32 vcc_lo, 1, v78
	v_lshrrev_b32_e32 v97, 16, v72
	v_lshrrev_b32_e32 v100, 16, v86
	v_cndmask_b32_e32 v87, v83, v91, vcc_lo
	v_or_b32_e32 v79, 1, v78
	v_cndmask_b32_e32 v81, v69, v66, vcc_lo
	v_cmp_eq_u32_e64 s4, 2, v78
	v_cmp_eq_u32_e64 s7, 3, v78
	;; [unrolled: 1-line block ×5, first 2 shown]
	v_cndmask_b32_e64 v81, v81, v70, s4
	v_cndmask_b32_e64 v87, v87, v84, s4
	v_cmp_eq_u32_e64 s8, 3, v79
	v_cndmask_b32_e64 v88, v69, v66, s3
	v_or_b32_e32 v77, 2, v78
	v_cndmask_b32_e64 v81, v81, v95, s7
	v_cndmask_b32_e64 v87, v87, v98, s7
	;; [unrolled: 1-line block ×4, first 2 shown]
	v_cmp_eq_u32_e64 s10, 5, v78
	v_cndmask_b32_e64 v81, v81, v71, s9
	v_cndmask_b32_e64 v87, v87, v85, s9
	v_cmp_eq_u32_e64 s11, 4, v79
	v_cndmask_b32_e64 v88, v88, v95, s8
	v_cmp_eq_u32_e64 s5, 1, v77
	v_cndmask_b32_e64 v89, v89, v84, s6
	v_cndmask_b32_e64 v81, v81, v96, s10
	v_cmp_eq_u32_e64 s12, 6, v78
	v_cndmask_b32_e64 v88, v88, v71, s11
	;; [unrolled: 3-line block ×3, first 2 shown]
	v_cndmask_b32_e64 v89, v89, v98, s8
	v_cndmask_b32_e64 v81, v81, v72, s12
	v_cmp_eq_u32_e64 s15, 7, v78
	v_cndmask_b32_e64 v88, v88, v96, s13
	v_cndmask_b32_e64 v87, v87, v86, s12
	v_cmp_eq_u32_e64 s16, 6, v79
	v_cmp_eq_u32_e64 s17, 2, v77
	v_cndmask_b32_e64 v89, v89, v85, s11
	v_cndmask_b32_e64 v101, v81, v97, s15
	;; [unrolled: 1-line block ×6, first 2 shown]
	v_cmp_eq_u32_e64 s18, 7, v79
	v_cmp_eq_u32_e64 s19, 3, v77
	;; [unrolled: 1-line block ×4, first 2 shown]
	v_cndmask_b32_e64 v87, v87, v84, s17
	v_cndmask_b32_e64 v103, v88, v97, s18
	;; [unrolled: 1-line block ×4, first 2 shown]
	v_or_b32_e32 v81, 3, v78
	v_cndmask_b32_e64 v93, v87, v98, s19
	v_cmp_eq_u32_e64 s24, 6, v77
	v_cndmask_b32_e64 v104, v88, v86, s16
	v_cndmask_b32_e64 v92, v89, v71, s20
	v_cmp_eq_u32_e64 s21, 1, v81
	ds_load_b128 v[87:90], v82 offset:1024
	v_cmp_eq_u32_e64 s23, 2, v81
	v_cmp_eq_u32_e64 s25, 3, v81
	v_cndmask_b32_e64 v105, v92, v96, s22
	v_cndmask_b32_e64 v66, v69, v66, s21
	;; [unrolled: 1-line block ×4, first 2 shown]
	ds_load_b128 v[91:94], v82 offset:1040
	v_cmp_eq_u32_e64 s26, 4, v81
	v_cndmask_b32_e64 v66, v66, v70, s23
	v_cmp_eq_u32_e64 s27, 7, v77
	v_cndmask_b32_e64 v70, v83, v84, s23
	v_cndmask_b32_e64 v84, v105, v72, s24
	v_cmp_eq_u32_e64 s28, 5, v81
	v_cndmask_b32_e64 v66, v66, v95, s25
	v_cmp_eq_u32_e64 s29, 6, v81
	v_cndmask_b32_e64 v70, v70, v98, s25
	v_cndmask_b32_e64 v69, v69, v99, s22
	v_cndmask_b32_e64 v83, v104, v100, s18
	v_cndmask_b32_e64 v66, v66, v71, s26
	s_waitcnt lgkmcnt(1)
	v_lshrrev_b32_e32 v95, 16, v87
	v_cndmask_b32_e64 v70, v70, v85, s26
	v_cndmask_b32_e64 v71, v84, v97, s27
	v_cndmask_b32_e64 v69, v69, v86, s24
	v_cndmask_b32_e64 v66, v66, v96, s28
	v_cndmask_b32_e32 v84, v87, v95, vcc_lo
	v_cndmask_b32_e64 v70, v70, v99, s28
	s_waitcnt lgkmcnt(0)
	v_lshrrev_b32_e32 v85, 16, v91
	v_lshrrev_b32_e32 v96, 16, v88
	v_cndmask_b32_e64 v98, v87, v95, s3
	v_cndmask_b32_e64 v84, v84, v88, s4
	;; [unrolled: 1-line block ×3, first 2 shown]
	v_cndmask_b32_e32 v99, v91, v85, vcc_lo
	v_cmp_eq_u32_e32 vcc_lo, 7, v81
	v_cndmask_b32_e64 v66, v66, v72, s29
	v_cndmask_b32_e64 v72, v84, v96, s7
	;; [unrolled: 1-line block ×3, first 2 shown]
	v_lshrrev_b32_e32 v98, 16, v92
	v_cndmask_b32_e32 v70, v70, v100, vcc_lo
	v_cndmask_b32_e64 v86, v99, v92, s4
	v_cndmask_b32_e64 v69, v69, v100, s27
	v_lshrrev_b32_e32 v100, 16, v93
	v_cndmask_b32_e64 v72, v72, v89, s9
	v_lshrrev_b32_e32 v99, 16, v89
	v_cndmask_b32_e64 v86, v86, v98, s7
	v_perm_b32 v71, v69, v71, 0x5040100
	v_cndmask_b32_e64 v84, v84, v96, s8
	s_delay_alu instid0(VALU_DEP_3) | instskip(NEXT) | instid1(VALU_DEP_2)
	v_cndmask_b32_e64 v86, v86, v93, s9
	v_cndmask_b32_e64 v84, v84, v89, s11
	s_delay_alu instid0(VALU_DEP_2) | instskip(NEXT) | instid1(VALU_DEP_1)
	v_cndmask_b32_e64 v86, v86, v100, s10
	v_cndmask_b32_e64 v69, v86, v94, s12
	;; [unrolled: 1-line block ×5, first 2 shown]
	s_delay_alu instid0(VALU_DEP_3) | instskip(NEXT) | instid1(VALU_DEP_3)
	v_cndmask_b32_e64 v86, v86, v88, s17
	v_cndmask_b32_e64 v87, v87, v88, s23
	s_delay_alu instid0(VALU_DEP_3) | instskip(NEXT) | instid1(VALU_DEP_3)
	v_cndmask_b32_e64 v88, v95, v92, s23
	v_cndmask_b32_e64 v86, v86, v96, s19
	;; [unrolled: 3-line block ×7, first 2 shown]
	s_delay_alu instid0(VALU_DEP_3) | instskip(SKIP_2) | instid1(VALU_DEP_2)
	v_cndmask_b32_e64 v88, v88, v94, s29
	v_cndmask_b32_e32 v66, v66, v97, vcc_lo
	v_cndmask_b32_e64 v97, v72, v99, s10
	v_perm_b32 v72, v70, v66, 0x5040100
	v_perm_b32 v70, v83, v103, 0x5040100
	v_cndmask_b32_e64 v103, v91, v85, s5
	v_cndmask_b32_e64 v85, v91, v85, s3
	;; [unrolled: 1-line block ×4, first 2 shown]
	v_lshrrev_b32_e32 v97, 16, v90
	v_cndmask_b32_e64 v91, v103, v92, s17
	v_cndmask_b32_e64 v85, v85, v92, s6
	;; [unrolled: 1-line block ×3, first 2 shown]
	s_mov_b32 s3, exec_lo
	v_cndmask_b32_e64 v83, v84, v97, s15
	v_cndmask_b32_e64 v91, v91, v98, s19
	;; [unrolled: 1-line block ×3, first 2 shown]
	v_lshrrev_b32_e32 v84, 16, v94
	v_cndmask_b32_e64 v66, v66, v97, s18
	v_cndmask_b32_e64 v90, v86, v97, s27
	;; [unrolled: 1-line block ×4, first 2 shown]
	v_dual_cndmask_b32 v86, v87, v97 :: v_dual_cndmask_b32 v87, v88, v84
	v_cndmask_b32_e64 v91, v69, v84, s15
	s_delay_alu instid0(VALU_DEP_4) | instskip(NEXT) | instid1(VALU_DEP_4)
	v_cndmask_b32_e64 v89, v89, v100, s22
	v_cndmask_b32_e64 v85, v85, v100, s13
	v_perm_b32 v69, v102, v101, 0x5040100
	v_perm_b32 v86, v87, v86, 0x5040100
	v_perm_b32 v83, v91, v83, 0x5040100
	v_cndmask_b32_e64 v89, v89, v94, s24
	v_cndmask_b32_e64 v85, v85, v94, s16
	s_mul_i32 s8, s35, 15
	s_delay_alu instid0(VALU_DEP_2) | instskip(NEXT) | instid1(VALU_DEP_2)
	v_cndmask_b32_e64 v88, v89, v84, s27
	v_cndmask_b32_e64 v89, v85, v84, s18
	s_delay_alu instid0(VALU_DEP_2) | instskip(NEXT) | instid1(VALU_DEP_2)
	v_perm_b32 v85, v88, v90, 0x5040100
	v_perm_b32 v84, v89, v66, 0x5040100
	ds_store_b128 v76, v[69:72]
	ds_store_b128 v76, v[83:86] offset:1024
	v_cmpx_gt_u32_e32 15, v0
	s_cbranch_execz .LBB1836_78
; %bb.77:
	s_mul_i32 s4, s8, s30
	s_delay_alu instid0(SALU_CYCLE_1) | instskip(SKIP_1) | instid1(VALU_DEP_1)
	v_add3_u32 v69, s4, s31, v65
	s_load_b128 s[4:7], s[0:1], 0x58
	v_mad_u64_u32 v[65:66], null, v69, s34, s[14:15]
	s_delay_alu instid0(VALU_DEP_1) | instskip(NEXT) | instid1(VALU_DEP_1)
	v_ashrrev_i32_e32 v66, 31, v65
	v_lshlrev_b64 v[65:66], 2, v[65:66]
	s_waitcnt lgkmcnt(0)
	s_delay_alu instid0(VALU_DEP_1) | instskip(NEXT) | instid1(VALU_DEP_2)
	v_add_co_u32 v69, vcc_lo, s6, v65
	v_add_co_ci_u32_e32 v70, vcc_lo, s7, v66, vcc_lo
	v_add_co_u32 v65, vcc_lo, s4, v65
	v_add_co_ci_u32_e32 v66, vcc_lo, s5, v66, vcc_lo
	global_store_b32 v[69:70], v67, off
	global_store_b32 v[65:66], v68, off
.LBB1836_78:
	s_or_b32 exec_lo, exec_lo, s3
	s_waitcnt lgkmcnt(0)
	s_waitcnt_vscnt null, 0x0
	s_barrier
	buffer_gl0_inv
	ds_load_b128 v[83:86], v80
	ds_load_b128 v[87:90], v80 offset:16
	ds_load_b128 v[95:98], v80 offset:2064
	;; [unrolled: 1-line block ×3, first 2 shown]
	v_mov_b32_e32 v65, 0
	ds_load_b128 v[103:106], v80 offset:4112
	ds_load_b128 v[99:102], v80 offset:4096
	;; [unrolled: 1-line block ×4, first 2 shown]
	v_mov_b32_e32 v66, v65
	v_mov_b32_e32 v67, v65
	;; [unrolled: 1-line block ×7, first 2 shown]
	s_waitcnt lgkmcnt(6)
	s_delay_alu instid0(VALU_DEP_1)
	v_wmma_f32_16x16x16_bf16 v[65:72], v[49:56], v[83:90], v[65:72]
	ds_load_b128 v[53:56], v80 offset:8208
	ds_load_b128 v[49:52], v80 offset:8192
	s_waitcnt lgkmcnt(6)
	v_wmma_f32_16x16x16_bf16 v[65:72], v[41:48], v[91:98], v[65:72]
	ds_load_b128 v[45:48], v80 offset:10256
	ds_load_b128 v[41:44], v80 offset:10240
	s_waitcnt lgkmcnt(6)
	;; [unrolled: 4-line block ×4, first 2 shown]
	v_wmma_f32_16x16x16_bf16 v[65:72], v[1:8], v[49:56], v[65:72]
	s_waitcnt lgkmcnt(4)
	s_delay_alu instid0(VALU_DEP_1) | instskip(SKIP_1) | instid1(VALU_DEP_1)
	v_wmma_f32_16x16x16_bf16 v[65:72], v[9:16], v[41:48], v[65:72]
	s_waitcnt lgkmcnt(2)
	v_wmma_f32_16x16x16_bf16 v[65:72], v[17:24], v[33:40], v[65:72]
	s_waitcnt lgkmcnt(0)
	s_delay_alu instid0(VALU_DEP_1) | instskip(NEXT) | instid1(VALU_DEP_1)
	v_wmma_f32_16x16x16_bf16 v[65:72], v[57:64], v[25:32], v[65:72]
	v_and_b32_e32 v1, 0x7f800000, v65
	s_delay_alu instid0(VALU_DEP_1) | instskip(SKIP_1) | instid1(SALU_CYCLE_1)
	v_cmp_ne_u32_e32 vcc_lo, 0x7f800000, v1
                                        ; implicit-def: $vgpr1
	s_and_saveexec_b32 s3, vcc_lo
	s_xor_b32 s3, exec_lo, s3
; %bb.79:
	v_bfe_u32 v1, v65, 16, 1
	s_delay_alu instid0(VALU_DEP_1)
	v_add3_u32 v1, v65, v1, 0x7fff
; %bb.80:
	s_and_not1_saveexec_b32 s3, s3
; %bb.81:
	v_and_b32_e32 v1, 0xffff, v65
	v_or_b32_e32 v2, 0x10000, v65
	s_delay_alu instid0(VALU_DEP_2) | instskip(NEXT) | instid1(VALU_DEP_2)
	v_cmp_eq_u32_e32 vcc_lo, 0, v1
	v_cndmask_b32_e32 v1, v2, v65, vcc_lo
; %bb.82:
	s_or_b32 exec_lo, exec_lo, s3
	v_and_b32_e32 v2, 0x7f800000, v66
	s_delay_alu instid0(VALU_DEP_1) | instskip(SKIP_1) | instid1(SALU_CYCLE_1)
	v_cmp_ne_u32_e32 vcc_lo, 0x7f800000, v2
                                        ; implicit-def: $vgpr2
	s_and_saveexec_b32 s3, vcc_lo
	s_xor_b32 s3, exec_lo, s3
; %bb.83:
	v_bfe_u32 v2, v66, 16, 1
	s_delay_alu instid0(VALU_DEP_1)
	v_add3_u32 v2, v66, v2, 0x7fff
; %bb.84:
	s_and_not1_saveexec_b32 s3, s3
; %bb.85:
	v_and_b32_e32 v2, 0xffff, v66
	v_or_b32_e32 v3, 0x10000, v66
	s_delay_alu instid0(VALU_DEP_2) | instskip(NEXT) | instid1(VALU_DEP_2)
	v_cmp_eq_u32_e32 vcc_lo, 0, v2
	v_cndmask_b32_e32 v2, v3, v66, vcc_lo
; %bb.86:
	s_or_b32 exec_lo, exec_lo, s3
	v_and_b32_e32 v3, 0x7f800000, v67
	s_delay_alu instid0(VALU_DEP_1) | instskip(SKIP_1) | instid1(SALU_CYCLE_1)
	v_cmp_ne_u32_e32 vcc_lo, 0x7f800000, v3
                                        ; implicit-def: $vgpr3
	s_and_saveexec_b32 s3, vcc_lo
	s_xor_b32 s3, exec_lo, s3
; %bb.87:
	v_bfe_u32 v3, v67, 16, 1
	s_delay_alu instid0(VALU_DEP_1)
	v_add3_u32 v3, v67, v3, 0x7fff
; %bb.88:
	s_and_not1_saveexec_b32 s3, s3
; %bb.89:
	v_and_b32_e32 v3, 0xffff, v67
	v_or_b32_e32 v4, 0x10000, v67
	s_delay_alu instid0(VALU_DEP_2) | instskip(NEXT) | instid1(VALU_DEP_2)
	v_cmp_eq_u32_e32 vcc_lo, 0, v3
	v_cndmask_b32_e32 v3, v4, v67, vcc_lo
; %bb.90:
	s_or_b32 exec_lo, exec_lo, s3
	v_and_b32_e32 v4, 0x7f800000, v68
	s_delay_alu instid0(VALU_DEP_1) | instskip(SKIP_1) | instid1(SALU_CYCLE_1)
	v_cmp_ne_u32_e32 vcc_lo, 0x7f800000, v4
                                        ; implicit-def: $vgpr4
	s_and_saveexec_b32 s3, vcc_lo
	s_xor_b32 s3, exec_lo, s3
; %bb.91:
	v_bfe_u32 v4, v68, 16, 1
	s_delay_alu instid0(VALU_DEP_1)
	v_add3_u32 v4, v68, v4, 0x7fff
; %bb.92:
	s_and_not1_saveexec_b32 s3, s3
; %bb.93:
	v_and_b32_e32 v4, 0xffff, v68
	v_or_b32_e32 v5, 0x10000, v68
	s_delay_alu instid0(VALU_DEP_2) | instskip(NEXT) | instid1(VALU_DEP_2)
	v_cmp_eq_u32_e32 vcc_lo, 0, v4
	v_cndmask_b32_e32 v4, v5, v68, vcc_lo
; %bb.94:
	s_or_b32 exec_lo, exec_lo, s3
	v_and_b32_e32 v5, 0x7f800000, v69
	s_delay_alu instid0(VALU_DEP_1) | instskip(SKIP_1) | instid1(SALU_CYCLE_1)
	v_cmp_ne_u32_e32 vcc_lo, 0x7f800000, v5
                                        ; implicit-def: $vgpr5
	s_and_saveexec_b32 s3, vcc_lo
	s_xor_b32 s3, exec_lo, s3
; %bb.95:
	v_bfe_u32 v5, v69, 16, 1
	s_delay_alu instid0(VALU_DEP_1)
	v_add3_u32 v5, v69, v5, 0x7fff
; %bb.96:
	s_and_not1_saveexec_b32 s3, s3
; %bb.97:
	v_and_b32_e32 v5, 0xffff, v69
	v_or_b32_e32 v6, 0x10000, v69
	s_delay_alu instid0(VALU_DEP_2) | instskip(NEXT) | instid1(VALU_DEP_2)
	v_cmp_eq_u32_e32 vcc_lo, 0, v5
	v_cndmask_b32_e32 v5, v6, v69, vcc_lo
; %bb.98:
	s_or_b32 exec_lo, exec_lo, s3
	v_and_b32_e32 v6, 0x7f800000, v70
	s_delay_alu instid0(VALU_DEP_1) | instskip(SKIP_1) | instid1(SALU_CYCLE_1)
	v_cmp_ne_u32_e32 vcc_lo, 0x7f800000, v6
                                        ; implicit-def: $vgpr6
	s_and_saveexec_b32 s3, vcc_lo
	s_xor_b32 s3, exec_lo, s3
; %bb.99:
	v_bfe_u32 v6, v70, 16, 1
	s_delay_alu instid0(VALU_DEP_1)
	v_add3_u32 v6, v70, v6, 0x7fff
; %bb.100:
	s_and_not1_saveexec_b32 s3, s3
; %bb.101:
	v_and_b32_e32 v6, 0xffff, v70
	v_or_b32_e32 v7, 0x10000, v70
	s_delay_alu instid0(VALU_DEP_2) | instskip(NEXT) | instid1(VALU_DEP_2)
	v_cmp_eq_u32_e32 vcc_lo, 0, v6
	v_cndmask_b32_e32 v6, v7, v70, vcc_lo
; %bb.102:
	s_or_b32 exec_lo, exec_lo, s3
	v_and_b32_e32 v7, 0x7f800000, v71
	s_delay_alu instid0(VALU_DEP_1) | instskip(SKIP_1) | instid1(SALU_CYCLE_1)
	v_cmp_ne_u32_e32 vcc_lo, 0x7f800000, v7
                                        ; implicit-def: $vgpr7
	s_and_saveexec_b32 s3, vcc_lo
	s_xor_b32 s3, exec_lo, s3
; %bb.103:
	v_bfe_u32 v7, v71, 16, 1
	s_delay_alu instid0(VALU_DEP_1)
	v_add3_u32 v7, v71, v7, 0x7fff
; %bb.104:
	s_and_not1_saveexec_b32 s3, s3
; %bb.105:
	v_and_b32_e32 v7, 0xffff, v71
	v_or_b32_e32 v8, 0x10000, v71
	s_delay_alu instid0(VALU_DEP_2) | instskip(NEXT) | instid1(VALU_DEP_2)
	v_cmp_eq_u32_e32 vcc_lo, 0, v7
	v_cndmask_b32_e32 v7, v8, v71, vcc_lo
; %bb.106:
	s_or_b32 exec_lo, exec_lo, s3
	v_and_b32_e32 v8, 0x7f800000, v72
	s_delay_alu instid0(VALU_DEP_1) | instskip(SKIP_1) | instid1(SALU_CYCLE_1)
	v_cmp_ne_u32_e32 vcc_lo, 0x7f800000, v8
                                        ; implicit-def: $vgpr8
	s_and_saveexec_b32 s3, vcc_lo
	s_xor_b32 s3, exec_lo, s3
; %bb.107:
	v_bfe_u32 v8, v72, 16, 1
	s_delay_alu instid0(VALU_DEP_1)
	v_add3_u32 v8, v72, v8, 0x7fff
                                        ; implicit-def: $vgpr65_vgpr66_vgpr67_vgpr68_vgpr69_vgpr70_vgpr71_vgpr72
; %bb.108:
	s_and_not1_saveexec_b32 s3, s3
; %bb.109:
	v_and_b32_e32 v8, 0xffff, v72
	v_or_b32_e32 v9, 0x10000, v72
	s_delay_alu instid0(VALU_DEP_2) | instskip(NEXT) | instid1(VALU_DEP_2)
	v_cmp_eq_u32_e32 vcc_lo, 0, v8
	v_cndmask_b32_e32 v8, v9, v72, vcc_lo
; %bb.110:
	s_or_b32 exec_lo, exec_lo, s3
	s_delay_alu instid0(VALU_DEP_1)
	v_perm_b32 v7, v8, v7, 0x7060302
	v_perm_b32 v6, v6, v5, 0x7060302
	;; [unrolled: 1-line block ×4, first 2 shown]
	s_barrier
	buffer_gl0_inv
	v_cmp_eq_u32_e32 vcc_lo, 1, v78
	ds_store_b128 v76, v[4:7]
	s_waitcnt lgkmcnt(0)
	s_barrier
	buffer_gl0_inv
	ds_load_b128 v[1:4], v82
	ds_load_b128 v[5:8], v82 offset:16
	v_cmp_eq_u32_e64 s3, 1, v79
	v_cmp_eq_u32_e64 s4, 2, v78
	;; [unrolled: 1-line block ×5, first 2 shown]
	s_waitcnt lgkmcnt(1)
	v_lshrrev_b32_e32 v9, 16, v1
	s_waitcnt lgkmcnt(0)
	v_lshrrev_b32_e32 v13, 16, v5
	v_lshrrev_b32_e32 v10, 16, v2
	;; [unrolled: 1-line block ×4, first 2 shown]
	v_cndmask_b32_e64 v19, v1, v9, s3
	v_cndmask_b32_e32 v18, v5, v13, vcc_lo
	v_cndmask_b32_e64 v20, v5, v13, s3
	v_cndmask_b32_e32 v17, v1, v9, vcc_lo
	v_cmp_eq_u32_e32 vcc_lo, 2, v79
	v_lshrrev_b32_e32 v15, 16, v7
	v_cmp_eq_u32_e64 s3, 1, v77
	v_lshrrev_b32_e32 v12, 16, v4
	v_lshrrev_b32_e32 v16, 16, v8
	v_cndmask_b32_e32 v20, v20, v6, vcc_lo
	v_cndmask_b32_e64 v17, v17, v2, s4
	v_cndmask_b32_e32 v19, v19, v2, vcc_lo
	v_cndmask_b32_e64 v18, v18, v6, s4
	v_cmp_eq_u32_e32 vcc_lo, 4, v78
	v_cmp_eq_u32_e64 s4, 3, v79
	v_cndmask_b32_e64 v17, v17, v10, s5
	v_cndmask_b32_e64 v21, v1, v9, s3
	;; [unrolled: 1-line block ×5, first 2 shown]
	v_cndmask_b32_e32 v17, v17, v3, vcc_lo
	v_cndmask_b32_e64 v20, v20, v14, s4
	v_cndmask_b32_e32 v18, v18, v7, vcc_lo
	v_cmp_eq_u32_e32 vcc_lo, 4, v79
	v_cmp_eq_u32_e64 s4, 5, v79
	v_cmp_eq_u32_e64 s3, 2, v81
	v_cndmask_b32_e64 v21, v21, v2, s7
	v_cmp_eq_u32_e64 s5, 5, v78
	v_cndmask_b32_e32 v19, v19, v3, vcc_lo
	v_cndmask_b32_e32 v20, v20, v7, vcc_lo
	v_cmp_eq_u32_e32 vcc_lo, 6, v79
	s_delay_alu instid0(VALU_DEP_4) | instskip(NEXT) | instid1(VALU_DEP_4)
	v_cndmask_b32_e64 v17, v17, v11, s5
	v_cndmask_b32_e64 v19, v19, v11, s4
	s_delay_alu instid0(VALU_DEP_4) | instskip(SKIP_1) | instid1(VALU_DEP_3)
	v_cndmask_b32_e64 v20, v20, v15, s4
	v_cmp_eq_u32_e64 s4, 1, v81
	v_cndmask_b32_e32 v19, v19, v4, vcc_lo
	v_cndmask_b32_e64 v18, v18, v15, s5
	s_delay_alu instid0(VALU_DEP_3)
	v_cndmask_b32_e64 v1, v1, v9, s4
	v_cndmask_b32_e64 v5, v5, v13, s4
	v_cmp_eq_u32_e64 s4, 3, v77
	v_cndmask_b32_e64 v13, v22, v6, s7
	v_cmp_eq_u32_e64 s7, 3, v81
	v_cndmask_b32_e64 v1, v1, v2, s3
	v_cndmask_b32_e64 v2, v5, v6, s3
	;; [unrolled: 1-line block ×3, first 2 shown]
	v_cmp_eq_u32_e64 s3, 4, v77
	v_cndmask_b32_e64 v6, v13, v14, s4
	v_cndmask_b32_e64 v1, v1, v10, s7
	v_cmp_eq_u32_e64 s4, 4, v81
	v_cndmask_b32_e64 v2, v2, v14, s7
	v_cndmask_b32_e64 v5, v9, v3, s3
	;; [unrolled: 3-line block ×3, first 2 shown]
	v_cndmask_b32_e64 v2, v2, v7, s4
	v_cmp_eq_u32_e64 s3, 5, v81
	v_cmp_eq_u32_e64 s5, 6, v78
	v_cndmask_b32_e64 v5, v5, v11, s7
	v_cmp_eq_u32_e64 s4, 6, v77
	v_cndmask_b32_e64 v3, v6, v15, s7
	v_cndmask_b32_e64 v1, v1, v11, s3
	v_cmp_eq_u32_e64 s7, 6, v81
	v_cndmask_b32_e64 v2, v2, v15, s3
	v_cndmask_b32_e64 v17, v17, v4, s5
	v_cndmask_b32_e64 v18, v18, v8, s5
	v_cmp_eq_u32_e64 s5, 7, v78
	v_cndmask_b32_e64 v5, v5, v4, s4
	;; [unrolled: 4-line block ×3, first 2 shown]
	v_cmp_eq_u32_e64 s4, 7, v77
	v_cndmask_b32_e32 v4, v20, v8, vcc_lo
	v_cndmask_b32_e64 v17, v17, v12, s5
	v_cndmask_b32_e64 v19, v19, v12, s6
	;; [unrolled: 1-line block ×8, first 2 shown]
	s_mov_b32 s3, exec_lo
	v_perm_b32 v4, v2, v1, 0x5040100
	v_perm_b32 v3, v3, v5, 0x5040100
	;; [unrolled: 1-line block ×4, first 2 shown]
	ds_store_b128 v76, v[1:4]
	s_waitcnt lgkmcnt(0)
	s_barrier
	buffer_gl0_inv
	v_cmpx_gt_u32_e32 32, v0
	s_cbranch_execz .LBB1836_2
; %bb.111:
	s_load_b64 s[4:5], s[0:1], 0x68
	v_add_nc_u32_e32 v20, s31, v74
	v_lshlrev_b32_e32 v0, 10, v0
	v_lshlrev_b32_e32 v1, 4, v75
	s_lshl_b32 s0, s34, 7
	s_delay_alu instid0(SALU_CYCLE_1)
	s_mul_i32 s1, s0, s30
	v_add_nc_u32_e32 v2, 2, v20
	s_mul_i32 s6, s1, s8
	v_and_or_b32 v0, 0x3800, v0, v1
	v_mul_lo_u32 v1, v20, s0
	s_ashr_i32 s7, s6, 31
	v_mul_lo_u32 v11, v2, s0
	s_lshl_b64 s[6:7], s[6:7], 1
	v_add_nc_u32_e32 v3, 4, v20
	v_lshl_or_b32 v21, v74, 6, v0
	v_add_nc_u32_e32 v16, 6, v20
	v_ashrrev_i32_e32 v2, 31, v1
	s_delay_alu instid0(VALU_DEP_4)
	v_mul_lo_u32 v13, v3, s0
	s_waitcnt lgkmcnt(0)
	s_add_u32 s1, s4, s6
	s_addc_u32 s3, s5, s7
	s_lshl_b32 s4, s14, 7
	ds_load_b128 v[3:6], v21
	ds_load_b128 v[7:10], v21 offset:128
	s_ashr_i32 s5, s4, 31
	v_ashrrev_i32_e32 v12, 31, v11
	s_lshl_b64 s[4:5], s[4:5], 1
	v_lshlrev_b64 v[14:15], 1, v[1:2]
	s_add_u32 s1, s1, s4
	s_addc_u32 s3, s3, s5
	v_add_co_u32 v1, s1, s1, v73
	s_delay_alu instid0(VALU_DEP_1) | instskip(SKIP_1) | instid1(VALU_DEP_3)
	v_add_co_ci_u32_e64 v2, null, s3, 0, s1
	v_lshlrev_b64 v[11:12], 1, v[11:12]
	v_add_co_u32 v18, vcc_lo, v1, v14
	v_mul_lo_u32 v16, v16, s0
	s_delay_alu instid0(VALU_DEP_4) | instskip(NEXT) | instid1(VALU_DEP_4)
	v_add_co_ci_u32_e32 v19, vcc_lo, v2, v15, vcc_lo
	v_add_co_u32 v11, vcc_lo, v1, v11
	v_ashrrev_i32_e32 v14, 31, v13
	v_add_co_ci_u32_e32 v12, vcc_lo, v2, v12, vcc_lo
	v_add_nc_u32_e32 v15, 8, v20
	v_ashrrev_i32_e32 v17, 31, v16
	s_waitcnt lgkmcnt(1)
	global_store_b128 v[18:19], v[3:6], off
	v_lshlrev_b64 v[3:4], 1, v[13:14]
	s_waitcnt lgkmcnt(0)
	global_store_b128 v[11:12], v[7:10], off
	v_mul_lo_u32 v11, v15, s0
	v_add_nc_u32_e32 v7, 10, v20
	v_lshlrev_b64 v[5:6], 1, v[16:17]
	v_add_co_u32 v23, vcc_lo, v1, v3
	v_add_nc_u32_e32 v3, 12, v20
	s_delay_alu instid0(VALU_DEP_4)
	v_mul_lo_u32 v25, v7, s0
	v_ashrrev_i32_e32 v12, 31, v11
	v_add_co_ci_u32_e32 v24, vcc_lo, v2, v4, vcc_lo
	v_add_co_u32 v27, vcc_lo, v1, v5
	v_mul_lo_u32 v29, v3, s0
	v_add_co_ci_u32_e32 v28, vcc_lo, v2, v6, vcc_lo
	ds_load_b128 v[3:6], v21 offset:256
	ds_load_b128 v[7:10], v21 offset:384
	v_lshlrev_b64 v[31:32], 1, v[11:12]
	ds_load_b128 v[11:14], v21 offset:512
	ds_load_b128 v[15:18], v21 offset:640
	;; [unrolled: 1-line block ×3, first 2 shown]
	v_ashrrev_i32_e32 v26, 31, v25
	v_ashrrev_i32_e32 v30, 31, v29
	v_add_co_u32 v31, vcc_lo, v1, v31
	s_delay_alu instid0(VALU_DEP_3) | instskip(NEXT) | instid1(VALU_DEP_3)
	v_lshlrev_b64 v[25:26], 1, v[25:26]
	v_lshlrev_b64 v[29:30], 1, v[29:30]
	v_add_co_ci_u32_e32 v32, vcc_lo, v2, v32, vcc_lo
	s_delay_alu instid0(VALU_DEP_3) | instskip(NEXT) | instid1(VALU_DEP_4)
	v_add_co_u32 v25, vcc_lo, v1, v25
	v_add_co_ci_u32_e32 v26, vcc_lo, v2, v26, vcc_lo
	s_delay_alu instid0(VALU_DEP_4)
	v_add_co_u32 v29, vcc_lo, v1, v29
	v_add_co_ci_u32_e32 v30, vcc_lo, v2, v30, vcc_lo
	s_waitcnt lgkmcnt(4)
	global_store_b128 v[23:24], v[3:6], off
	s_waitcnt lgkmcnt(3)
	global_store_b128 v[27:28], v[7:10], off
	s_waitcnt lgkmcnt(2)
	global_store_b128 v[31:32], v[11:14], off
	s_waitcnt lgkmcnt(1)
	global_store_b128 v[25:26], v[15:18], off
	s_waitcnt lgkmcnt(0)
	global_store_b128 v[29:30], v[19:22], off
	s_and_b32 exec_lo, exec_lo, s2
	s_cbranch_execz .LBB1836_2
; %bb.112:
	ds_load_b128 v[3:6], v0 offset:896
	s_add_i32 s1, s31, 14
	s_delay_alu instid0(SALU_CYCLE_1) | instskip(NEXT) | instid1(SALU_CYCLE_1)
	s_mul_i32 s0, s1, s0
	s_ashr_i32 s1, s0, 31
	s_delay_alu instid0(SALU_CYCLE_1) | instskip(NEXT) | instid1(SALU_CYCLE_1)
	s_lshl_b64 s[0:1], s[0:1], 1
	v_add_co_u32 v0, vcc_lo, v1, s0
	v_add_co_ci_u32_e32 v1, vcc_lo, s1, v2, vcc_lo
	s_waitcnt lgkmcnt(0)
	global_store_b128 v[0:1], v[3:6], off
	s_nop 0
	s_sendmsg sendmsg(MSG_DEALLOC_VGPRS)
	s_endpgm
	.section	.rodata,"a",@progbits
	.p2align	6, 0x0
	.amdhsa_kernel _Z39paged_attention_ll4mi_QKV_mfma16_kernelI14__hip_bfloat16hLN4vllm18Fp8KVCacheDataTypeE1ES0_Li16ELi128ELi256ELb1ELi15EL8MFMAType0EEvPKT_PKT0_S9_ifPKiSB_SB_iPKfiiiPfSE_PS4_PT2_iSD_SD_
		.amdhsa_group_segment_fixed_size 17472
		.amdhsa_private_segment_fixed_size 0
		.amdhsa_kernarg_size 400
		.amdhsa_user_sgpr_count 13
		.amdhsa_user_sgpr_dispatch_ptr 0
		.amdhsa_user_sgpr_queue_ptr 0
		.amdhsa_user_sgpr_kernarg_segment_ptr 1
		.amdhsa_user_sgpr_dispatch_id 0
		.amdhsa_user_sgpr_private_segment_size 0
		.amdhsa_wavefront_size32 1
		.amdhsa_uses_dynamic_stack 0
		.amdhsa_enable_private_segment 0
		.amdhsa_system_sgpr_workgroup_id_x 1
		.amdhsa_system_sgpr_workgroup_id_y 1
		.amdhsa_system_sgpr_workgroup_id_z 1
		.amdhsa_system_sgpr_workgroup_info 0
		.amdhsa_system_vgpr_workitem_id 0
		.amdhsa_next_free_vgpr 140
		.amdhsa_next_free_sgpr 36
		.amdhsa_reserve_vcc 1
		.amdhsa_float_round_mode_32 0
		.amdhsa_float_round_mode_16_64 0
		.amdhsa_float_denorm_mode_32 3
		.amdhsa_float_denorm_mode_16_64 3
		.amdhsa_dx10_clamp 1
		.amdhsa_ieee_mode 1
		.amdhsa_fp16_overflow 0
		.amdhsa_workgroup_processor_mode 1
		.amdhsa_memory_ordered 1
		.amdhsa_forward_progress 0
		.amdhsa_shared_vgpr_count 0
		.amdhsa_exception_fp_ieee_invalid_op 0
		.amdhsa_exception_fp_denorm_src 0
		.amdhsa_exception_fp_ieee_div_zero 0
		.amdhsa_exception_fp_ieee_overflow 0
		.amdhsa_exception_fp_ieee_underflow 0
		.amdhsa_exception_fp_ieee_inexact 0
		.amdhsa_exception_int_div_zero 0
	.end_amdhsa_kernel
	.section	.text._Z39paged_attention_ll4mi_QKV_mfma16_kernelI14__hip_bfloat16hLN4vllm18Fp8KVCacheDataTypeE1ES0_Li16ELi128ELi256ELb1ELi15EL8MFMAType0EEvPKT_PKT0_S9_ifPKiSB_SB_iPKfiiiPfSE_PS4_PT2_iSD_SD_,"axG",@progbits,_Z39paged_attention_ll4mi_QKV_mfma16_kernelI14__hip_bfloat16hLN4vllm18Fp8KVCacheDataTypeE1ES0_Li16ELi128ELi256ELb1ELi15EL8MFMAType0EEvPKT_PKT0_S9_ifPKiSB_SB_iPKfiiiPfSE_PS4_PT2_iSD_SD_,comdat
.Lfunc_end1836:
	.size	_Z39paged_attention_ll4mi_QKV_mfma16_kernelI14__hip_bfloat16hLN4vllm18Fp8KVCacheDataTypeE1ES0_Li16ELi128ELi256ELb1ELi15EL8MFMAType0EEvPKT_PKT0_S9_ifPKiSB_SB_iPKfiiiPfSE_PS4_PT2_iSD_SD_, .Lfunc_end1836-_Z39paged_attention_ll4mi_QKV_mfma16_kernelI14__hip_bfloat16hLN4vllm18Fp8KVCacheDataTypeE1ES0_Li16ELi128ELi256ELb1ELi15EL8MFMAType0EEvPKT_PKT0_S9_ifPKiSB_SB_iPKfiiiPfSE_PS4_PT2_iSD_SD_
                                        ; -- End function
	.section	.AMDGPU.csdata,"",@progbits
; Kernel info:
; codeLenInByte = 9152
; NumSgprs: 38
; NumVgprs: 140
; ScratchSize: 0
; MemoryBound: 0
; FloatMode: 240
; IeeeMode: 1
; LDSByteSize: 17472 bytes/workgroup (compile time only)
; SGPRBlocks: 4
; VGPRBlocks: 17
; NumSGPRsForWavesPerEU: 38
; NumVGPRsForWavesPerEU: 140
; Occupancy: 10
; WaveLimiterHint : 1
; COMPUTE_PGM_RSRC2:SCRATCH_EN: 0
; COMPUTE_PGM_RSRC2:USER_SGPR: 13
; COMPUTE_PGM_RSRC2:TRAP_HANDLER: 0
; COMPUTE_PGM_RSRC2:TGID_X_EN: 1
; COMPUTE_PGM_RSRC2:TGID_Y_EN: 1
; COMPUTE_PGM_RSRC2:TGID_Z_EN: 1
; COMPUTE_PGM_RSRC2:TIDIG_COMP_CNT: 0
	.section	.text._Z39paged_attention_ll4mi_QKV_mfma16_kernelI14__hip_bfloat16hLN4vllm18Fp8KVCacheDataTypeE1ES0_Li16ELi128ELi256ELb1ELi16EL8MFMAType0EEvPKT_PKT0_S9_ifPKiSB_SB_iPKfiiiPfSE_PS4_PT2_iSD_SD_,"axG",@progbits,_Z39paged_attention_ll4mi_QKV_mfma16_kernelI14__hip_bfloat16hLN4vllm18Fp8KVCacheDataTypeE1ES0_Li16ELi128ELi256ELb1ELi16EL8MFMAType0EEvPKT_PKT0_S9_ifPKiSB_SB_iPKfiiiPfSE_PS4_PT2_iSD_SD_,comdat
	.protected	_Z39paged_attention_ll4mi_QKV_mfma16_kernelI14__hip_bfloat16hLN4vllm18Fp8KVCacheDataTypeE1ES0_Li16ELi128ELi256ELb1ELi16EL8MFMAType0EEvPKT_PKT0_S9_ifPKiSB_SB_iPKfiiiPfSE_PS4_PT2_iSD_SD_ ; -- Begin function _Z39paged_attention_ll4mi_QKV_mfma16_kernelI14__hip_bfloat16hLN4vllm18Fp8KVCacheDataTypeE1ES0_Li16ELi128ELi256ELb1ELi16EL8MFMAType0EEvPKT_PKT0_S9_ifPKiSB_SB_iPKfiiiPfSE_PS4_PT2_iSD_SD_
	.globl	_Z39paged_attention_ll4mi_QKV_mfma16_kernelI14__hip_bfloat16hLN4vllm18Fp8KVCacheDataTypeE1ES0_Li16ELi128ELi256ELb1ELi16EL8MFMAType0EEvPKT_PKT0_S9_ifPKiSB_SB_iPKfiiiPfSE_PS4_PT2_iSD_SD_
	.p2align	8
	.type	_Z39paged_attention_ll4mi_QKV_mfma16_kernelI14__hip_bfloat16hLN4vllm18Fp8KVCacheDataTypeE1ES0_Li16ELi128ELi256ELb1ELi16EL8MFMAType0EEvPKT_PKT0_S9_ifPKiSB_SB_iPKfiiiPfSE_PS4_PT2_iSD_SD_,@function
_Z39paged_attention_ll4mi_QKV_mfma16_kernelI14__hip_bfloat16hLN4vllm18Fp8KVCacheDataTypeE1ES0_Li16ELi128ELi256ELb1ELi16EL8MFMAType0EEvPKT_PKT0_S9_ifPKiSB_SB_iPKfiiiPfSE_PS4_PT2_iSD_SD_: ; @_Z39paged_attention_ll4mi_QKV_mfma16_kernelI14__hip_bfloat16hLN4vllm18Fp8KVCacheDataTypeE1ES0_Li16ELi128ELi256ELb1ELi16EL8MFMAType0EEvPKT_PKT0_S9_ifPKiSB_SB_iPKfiiiPfSE_PS4_PT2_iSD_SD_
; %bb.0:
	s_load_b64 s[4:5], s[0:1], 0x30
	s_mov_b32 s30, s13
	s_waitcnt lgkmcnt(0)
	s_cmp_lg_u64 s[4:5], 0
	s_cselect_b32 s8, -1, 0
	s_ashr_i32 s31, s13, 31
	s_cmp_eq_u64 s[4:5], 0
	s_cbranch_scc1 .LBB1837_3
; %bb.1:
	s_lshl_b64 s[2:3], s[30:31], 2
	s_delay_alu instid0(SALU_CYCLE_1) | instskip(SKIP_4) | instid1(SALU_CYCLE_1)
	s_add_u32 s2, s4, s2
	s_addc_u32 s3, s5, s3
	s_load_b64 s[2:3], s[2:3], 0x0
	s_waitcnt lgkmcnt(0)
	s_sub_i32 s2, s3, s2
	s_cmp_eq_u32 s2, 1
	s_cselect_b32 s2, -1, 0
	s_delay_alu instid0(SALU_CYCLE_1)
	s_and_not1_b32 vcc_lo, exec_lo, s2
	s_cbranch_vccz .LBB1837_4
.LBB1837_2:
	s_endpgm
.LBB1837_3:
.LBB1837_4:
	s_load_b64 s[2:3], s[0:1], 0x28
	s_lshl_b64 s[6:7], s[30:31], 2
	s_waitcnt lgkmcnt(0)
	s_add_u32 s2, s2, s6
	s_addc_u32 s3, s3, s7
	s_lshl_b32 s12, s14, 8
	s_load_b32 s24, s[2:3], 0x0
	s_waitcnt lgkmcnt(0)
	s_cmp_ge_i32 s12, s24
	s_cbranch_scc1 .LBB1837_2
; %bb.5:
	s_clause 0x1
	s_load_b128 s[20:23], s[0:1], 0x8
	s_load_b64 s[2:3], s[0:1], 0x20
	s_and_not1_b32 vcc_lo, exec_lo, s8
	s_cbranch_vccnz .LBB1837_7
; %bb.6:
	s_add_u32 s4, s4, s6
	s_addc_u32 s5, s5, s7
	s_load_b32 s5, s[4:5], 0x0
	s_branch .LBB1837_8
.LBB1837_7:
	s_mov_b32 s5, s30
.LBB1837_8:
	s_load_b128 s[16:19], s[0:1], 0x48
	v_and_b32_e32 v66, 15, v0
	v_lshrrev_b32_e32 v65, 5, v0
	v_and_b32_e32 v67, 31, v0
	v_and_b32_e32 v75, 1, v0
	v_bfe_u32 v74, v0, 4, 1
	v_lshlrev_b32_e32 v1, 3, v66
	s_lshl_b32 s29, s15, 4
	s_mov_b32 s4, exec_lo
	s_delay_alu instid0(VALU_DEP_1)
	v_lshlrev_b32_e32 v73, 1, v1
	v_cmpx_gt_u32_e32 0x100, v0
	s_cbranch_execz .LBB1837_10
; %bb.9:
	v_lshl_or_b32 v5, v65, 1, v74
	s_load_b64 s[6:7], s[0:1], 0x0
	s_waitcnt lgkmcnt(0)
	s_mul_hi_i32 s9, s5, s16
	s_mul_i32 s8, s5, s16
	v_lshlrev_b32_e32 v6, 10, v66
	v_or_b32_e32 v1, s29, v5
	s_lshl_b64 s[8:9], s[8:9], 1
	v_lshlrev_b32_e32 v5, 6, v5
	v_lshlrev_b32_e32 v7, 10, v75
	v_and_b32_e32 v6, 0x3800, v6
	v_lshlrev_b32_e32 v1, 7, v1
	s_delay_alu instid0(VALU_DEP_2) | instskip(NEXT) | instid1(VALU_DEP_2)
	v_or3_b32 v5, v6, v7, v5
	v_ashrrev_i32_e32 v2, 31, v1
	s_delay_alu instid0(VALU_DEP_1) | instskip(SKIP_2) | instid1(VALU_DEP_1)
	v_lshlrev_b64 v[1:2], 1, v[1:2]
	s_add_u32 s5, s6, s8
	s_addc_u32 s6, s7, s9
	v_add_co_u32 v1, vcc_lo, s5, v1
	s_delay_alu instid0(VALU_DEP_2) | instskip(NEXT) | instid1(VALU_DEP_2)
	v_add_co_ci_u32_e32 v2, vcc_lo, s6, v2, vcc_lo
	v_add_co_u32 v1, vcc_lo, v1, v73
	s_delay_alu instid0(VALU_DEP_2)
	v_add_co_ci_u32_e32 v2, vcc_lo, 0, v2, vcc_lo
	global_load_b128 v[1:4], v[1:2], off
	s_waitcnt vmcnt(0)
	ds_store_b128 v5, v[1:4]
.LBB1837_10:
	s_or_b32 exec_lo, exec_lo, s4
	v_and_b32_e32 v1, 0xef, v0
	s_waitcnt lgkmcnt(0)
	s_add_i32 s5, s24, 15
	s_clause 0x1
	s_load_b32 s4, s[0:1], 0x38
	s_load_b32 s19, s[0:1], 0x1c
	s_ashr_i32 s6, s5, 31
	v_add_nc_u32_e32 v1, s12, v1
	s_lshr_b32 s6, s6, 28
	s_waitcnt lgkmcnt(0)
	s_add_i32 s5, s5, s6
	s_barrier
	v_ashrrev_i32_e32 v2, 31, v1
	v_or_b32_e32 v3, 16, v1
	s_ashr_i32 s13, s5, 4
	v_cmp_gt_i32_e32 vcc_lo, s24, v1
	s_add_i32 s13, s13, -1
	v_lshrrev_b32_e32 v2, 28, v2
	buffer_gl0_inv
	s_mul_i32 s15, s15, s18
	v_lshlrev_b32_e32 v41, 4, v66
	v_add_nc_u32_e32 v4, v1, v2
	s_mul_i32 s4, s30, s4
	s_delay_alu instid0(VALU_DEP_2) | instskip(SKIP_1) | instid1(VALU_DEP_2)
	v_lshl_or_b32 v41, v65, 8, v41
	s_ashr_i32 s5, s4, 31
	v_ashrrev_i32_e32 v4, 4, v4
	v_add_nc_u32_e32 v2, v3, v2
	s_lshl_b64 s[4:5], s[4:5], 2
	s_delay_alu instid0(SALU_CYCLE_1) | instskip(NEXT) | instid1(VALU_DEP_2)
	s_add_u32 s16, s2, s4
	v_cndmask_b32_e32 v1, s13, v4, vcc_lo
	s_delay_alu instid0(VALU_DEP_2)
	v_ashrrev_i32_e32 v2, 4, v2
	v_cmp_gt_i32_e32 vcc_lo, s24, v3
	s_addc_u32 s25, s3, s5
	s_ashr_i32 s18, s15, 31
	s_add_u32 s26, s20, s15
	s_addc_u32 s27, s21, s18
	v_cndmask_b32_e32 v3, s13, v2, vcc_lo
	v_ashrrev_i32_e32 v2, 31, v1
	s_lshl_b32 s2, s14, 4
	s_delay_alu instid0(SALU_CYCLE_1) | instskip(NEXT) | instid1(VALU_DEP_2)
	s_ashr_i32 s3, s2, 31
	v_ashrrev_i32_e32 v4, 31, v3
	s_delay_alu instid0(VALU_DEP_2) | instskip(SKIP_1) | instid1(SALU_CYCLE_1)
	v_lshlrev_b64 v[1:2], 2, v[1:2]
	s_lshl_b64 s[2:3], s[2:3], 2
	s_add_u32 s2, s16, s2
	s_delay_alu instid0(VALU_DEP_2) | instskip(SKIP_1) | instid1(VALU_DEP_2)
	v_lshlrev_b64 v[3:4], 2, v[3:4]
	s_addc_u32 s3, s25, s3
	v_add_co_u32 v1, vcc_lo, s16, v1
	v_add_co_ci_u32_e32 v2, vcc_lo, s25, v2, vcc_lo
	s_delay_alu instid0(VALU_DEP_3) | instskip(NEXT) | instid1(VALU_DEP_4)
	v_add_co_u32 v3, vcc_lo, s16, v3
	v_add_co_ci_u32_e32 v4, vcc_lo, s25, v4, vcc_lo
	s_clause 0x1
	global_load_b32 v5, v[1:2], off
	global_load_b32 v3, v[3:4], off
	s_or_b32 s4, s12, 32
	v_lshlrev_b32_e32 v1, 4, v0
	s_ashr_i32 s5, s4, 4
	s_cmp_lt_i32 s4, s24
	s_cselect_b32 s4, s5, s13
	s_delay_alu instid0(VALU_DEP_1) | instskip(SKIP_1) | instid1(SALU_CYCLE_1)
	v_and_b32_e32 v1, 0xf0, v1
	s_ashr_i32 s5, s4, 31
	s_lshl_b64 s[4:5], s[4:5], 2
	s_delay_alu instid0(SALU_CYCLE_1)
	s_add_u32 s4, s16, s4
	s_addc_u32 s5, s25, s5
	s_or_b32 s6, s12, 64
	v_add_co_u32 v1, s26, s26, v1
	s_ashr_i32 s7, s6, 4
	s_cmp_lt_i32 s6, s24
	v_add_co_ci_u32_e64 v2, null, s27, 0, s26
	s_cselect_b32 s6, s7, s13
	s_delay_alu instid0(SALU_CYCLE_1) | instskip(NEXT) | instid1(SALU_CYCLE_1)
	s_ashr_i32 s7, s6, 31
	s_lshl_b64 s[6:7], s[6:7], 2
	s_delay_alu instid0(SALU_CYCLE_1) | instskip(SKIP_2) | instid1(SALU_CYCLE_1)
	s_add_u32 s6, s16, s6
	s_addc_u32 s7, s25, s7
	s_or_b32 s8, s12, 0x60
	s_ashr_i32 s9, s8, 4
	s_cmp_lt_i32 s8, s24
	s_cselect_b32 s8, s9, s13
	s_delay_alu instid0(SALU_CYCLE_1) | instskip(NEXT) | instid1(SALU_CYCLE_1)
	s_ashr_i32 s9, s8, 31
	s_lshl_b64 s[8:9], s[8:9], 2
	s_delay_alu instid0(SALU_CYCLE_1) | instskip(SKIP_2) | instid1(SALU_CYCLE_1)
	s_add_u32 s8, s16, s8
	s_addc_u32 s9, s25, s9
	s_or_b32 s10, s12, 0x80
	s_ashr_i32 s11, s10, 4
	s_cmp_lt_i32 s10, s24
	;; [unrolled: 10-line block ×3, first 2 shown]
	s_cselect_b32 s20, s21, s13
	s_delay_alu instid0(SALU_CYCLE_1) | instskip(NEXT) | instid1(SALU_CYCLE_1)
	s_ashr_i32 s21, s20, 31
	s_lshl_b64 s[20:21], s[20:21], 2
	s_delay_alu instid0(SALU_CYCLE_1)
	s_add_u32 s20, s16, s20
	s_addc_u32 s21, s25, s21
	s_clause 0x5
	s_load_b32 s26, s[2:3], 0x0
	s_load_b32 s27, s[4:5], 0x0
	;; [unrolled: 1-line block ×6, first 2 shown]
	s_or_b32 s2, s12, 0xc0
	s_mov_b32 s4, 0
	s_ashr_i32 s3, s2, 4
	s_cmp_lt_i32 s2, s24
	s_mov_b32 s11, s4
	s_cselect_b32 s2, s3, s13
	s_mov_b32 s5, s4
	s_ashr_i32 s3, s2, 31
	s_mov_b32 s6, s4
	s_lshl_b64 s[2:3], s[2:3], 2
	s_mov_b32 s7, s4
	s_add_u32 s2, s16, s2
	s_mov_b32 s8, s4
	s_mov_b32 s9, s4
	;; [unrolled: 1-line block ×3, first 2 shown]
	s_addc_u32 s3, s25, s3
	s_or_b32 s21, s12, 0xe0
	v_mov_b32_e32 v108, s11
	v_mov_b32_e32 v102, s5
	v_dual_mov_b32 v105, s8 :: v_dual_lshlrev_b32 v76, 6, v66
	v_dual_mov_b32 v107, s10 :: v_dual_mov_b32 v106, s9
	v_dual_mov_b32 v104, s7 :: v_dual_mov_b32 v103, s6
	v_mov_b32_e32 v101, s4
	s_ashr_i32 s4, s21, 4
	s_cmp_lt_i32 s21, s24
	s_cselect_b32 s4, s4, s13
	s_delay_alu instid0(SALU_CYCLE_1) | instskip(NEXT) | instid1(SALU_CYCLE_1)
	s_ashr_i32 s5, s4, 31
	s_lshl_b64 s[4:5], s[4:5], 2
	s_waitcnt vmcnt(1)
	v_mad_i64_i32 v[33:34], null, v5, s17, v[1:2]
	s_waitcnt vmcnt(0)
	v_mad_i64_i32 v[35:36], null, v3, s17, v[1:2]
	s_clause 0xf
	global_load_b128 v[1:4], v[33:34], off
	global_load_b128 v[5:8], v[33:34], off offset:256
	global_load_b128 v[9:12], v[35:36], off
	global_load_b128 v[13:16], v[35:36], off offset:256
	global_load_b128 v[17:20], v[33:34], off offset:512
	;; [unrolled: 1-line block ×13, first 2 shown]
	ds_load_b128 v[33:36], v76
	ds_load_b128 v[37:40], v76 offset:1024
	ds_load_b128 v[109:112], v76 offset:2048
	;; [unrolled: 1-line block ×3, first 2 shown]
	s_load_b32 s6, s[2:3], 0x0
	s_add_u32 s2, s16, s4
	s_addc_u32 s3, s25, s5
	ds_load_b128 v[117:120], v76 offset:4096
	ds_load_b128 v[121:124], v76 offset:5120
	s_load_b32 s2, s[2:3], 0x0
	s_add_u32 s4, s22, s15
	s_addc_u32 s5, s23, s18
	v_add_co_u32 v68, s4, s4, v41
	s_delay_alu instid0(VALU_DEP_1) | instskip(SKIP_1) | instid1(VALU_DEP_1)
	v_add_co_ci_u32_e64 v69, null, s5, 0, s4
	s_waitcnt lgkmcnt(0)
	v_mad_i64_i32 v[41:42], null, s26, s17, v[68:69]
	v_mad_i64_i32 v[70:71], null, s28, s17, v[68:69]
	;; [unrolled: 1-line block ×7, first 2 shown]
	s_clause 0x3
	global_load_b128 v[49:52], v[41:42], off
	global_load_b128 v[53:56], v[41:42], off offset:16
	global_load_b128 v[41:44], v[45:46], off
	global_load_b128 v[45:48], v[45:46], off offset:16
	s_waitcnt vmcnt(18)
	v_wmma_f32_16x16x16_bf16 v[125:132], v[1:8], v[33:40], v[101:108]
	s_waitcnt vmcnt(16)
	v_wmma_f32_16x16x16_bf16 v[101:108], v[9:16], v[33:40], v[101:108]
	s_clause 0x1
	global_load_b128 v[33:36], v[70:71], off
	global_load_b128 v[37:40], v[70:71], off offset:16
	v_mad_i64_i32 v[70:71], null, s2, s17, v[68:69]
	s_waitcnt vmcnt(16)
	v_wmma_f32_16x16x16_bf16 v[125:132], v[17:24], v[109:116], v[125:132]
	s_waitcnt vmcnt(14)
	v_wmma_f32_16x16x16_bf16 v[101:108], v[25:32], v[109:116], v[101:108]
	s_clause 0x7
	global_load_b128 v[25:28], v[133:134], off
	global_load_b128 v[29:32], v[133:134], off offset:16
	global_load_b128 v[1:4], v[135:136], off
	global_load_b128 v[5:8], v[135:136], off offset:16
	;; [unrolled: 2-line block ×4, first 2 shown]
	s_waitcnt vmcnt(20)
	v_wmma_f32_16x16x16_bf16 v[125:132], v[57:64], v[117:124], v[125:132]
	s_clause 0x1
	global_load_b128 v[57:60], v[70:71], off
	global_load_b128 v[61:64], v[70:71], off offset:16
	s_waitcnt vmcnt(20)
	v_wmma_f32_16x16x16_bf16 v[101:108], v[77:84], v[117:124], v[101:108]
	ds_load_b128 v[77:80], v76 offset:6144
	ds_load_b128 v[81:84], v76 offset:7168
	v_and_b32_e32 v68, 0xe0, v0
	v_mbcnt_lo_u32_b32 v69, -1, 0
	s_waitcnt vmcnt(0) lgkmcnt(0)
	s_barrier
	buffer_gl0_inv
	v_add_nc_u32_e32 v68, s12, v68
	v_xor_b32_e32 v70, 16, v69
	s_delay_alu instid0(VALU_DEP_2) | instskip(NEXT) | instid1(VALU_DEP_2)
	v_or_b32_e32 v68, v68, v74
	v_cmp_gt_i32_e32 vcc_lo, 32, v70
	s_delay_alu instid0(VALU_DEP_2)
	v_or_b32_e32 v71, 4, v68
	v_or_b32_e32 v72, 6, v68
	v_cmp_gt_i32_e64 s2, s24, v68
	v_or_b32_e32 v109, 8, v68
	v_wmma_f32_16x16x16_bf16 v[125:132], v[85:92], v[77:84], v[125:132]
	v_cndmask_b32_e32 v69, v69, v70, vcc_lo
	v_or_b32_e32 v70, 2, v68
	v_wmma_f32_16x16x16_bf16 v[101:108], v[93:100], v[77:84], v[101:108]
	v_or_b32_e32 v85, 10, v68
	v_dual_mul_f32 v84, s19, v128 :: v_dual_mul_f32 v83, s19, v129
	v_dual_mul_f32 v94, s19, v126 :: v_dual_mul_f32 v95, s19, v125
	s_delay_alu instid0(VALU_DEP_4) | instskip(SKIP_2) | instid1(VALU_DEP_4)
	v_mul_f32_e32 v98, s19, v106
	v_cmp_gt_i32_e32 vcc_lo, s24, v70
	v_dual_mul_f32 v93, s19, v127 :: v_dual_mul_f32 v96, s19, v108
	v_cndmask_b32_e64 v95, 0xff7fffff, v95, s2
	v_cmp_gt_i32_e64 s3, s24, v71
	v_cndmask_b32_e32 v94, 0xff7fffff, v94, vcc_lo
	v_cmp_gt_i32_e64 s4, s24, v72
	v_or_b32_e32 v86, 12, v68
	v_or_b32_e32 v87, 14, v68
	v_dual_mul_f32 v81, s19, v131 :: v_dual_mul_f32 v82, s19, v130
	v_cndmask_b32_e64 v93, 0xff7fffff, v93, s3
	v_cndmask_b32_e64 v72, 0xff7fffff, v84, s4
	v_max3_f32 v84, v95, 0xff7fffff, v94
	v_cmp_gt_i32_e64 s5, s24, v109
	v_cmp_gt_i32_e64 s6, s24, v85
	v_or_b32_e32 v88, 16, v68
	v_or_b32_e32 v89, 18, v68
	v_mul_f32_e32 v80, s19, v132
	v_cndmask_b32_e64 v83, 0xff7fffff, v83, s5
	v_cndmask_b32_e64 v82, 0xff7fffff, v82, s6
	v_max3_f32 v72, v84, v93, v72
	v_cmp_gt_i32_e64 s7, s24, v86
	v_cmp_gt_i32_e64 s8, s24, v87
	v_or_b32_e32 v90, 20, v68
	v_or_b32_e32 v91, 22, v68
	;; [unrolled: 1-line block ×6, first 2 shown]
	v_dual_mul_f32 v68, s19, v102 :: v_dual_mul_f32 v71, s19, v101
	v_cndmask_b32_e64 v81, 0xff7fffff, v81, s7
	v_cndmask_b32_e64 v80, 0xff7fffff, v80, s8
	v_max3_f32 v72, v72, v83, v82
	v_cmp_gt_i32_e64 s9, s24, v88
	v_cmp_gt_i32_e64 s10, s24, v89
	v_dual_mul_f32 v97, s19, v107 :: v_dual_mul_f32 v100, s19, v104
	v_dual_mul_f32 v99, s19, v105 :: v_dual_mul_f32 v70, s19, v103
	s_delay_alu instid0(VALU_DEP_4) | instskip(NEXT) | instid1(VALU_DEP_4)
	v_cndmask_b32_e64 v71, 0xff7fffff, v71, s9
	v_cndmask_b32_e64 v68, 0xff7fffff, v68, s10
	v_max3_f32 v72, v72, v81, v80
	v_cmp_gt_i32_e64 s11, s24, v90
	v_cmp_gt_i32_e64 s12, s24, v91
	;; [unrolled: 1-line block ×4, first 2 shown]
	v_max3_f32 v68, v72, v71, v68
	v_cndmask_b32_e64 v70, 0xff7fffff, v70, s11
	v_cndmask_b32_e64 v80, 0xff7fffff, v100, s12
	;; [unrolled: 1-line block ×4, first 2 shown]
	v_cmp_gt_i32_e64 s16, s24, v78
	v_cmp_gt_i32_e64 s17, s24, v79
	v_max3_f32 v68, v68, v70, v80
	v_lshlrev_b32_e32 v90, 2, v69
	s_delay_alu instid0(VALU_DEP_4) | instskip(NEXT) | instid1(VALU_DEP_4)
	v_cndmask_b32_e64 v70, 0xff7fffff, v97, s16
	v_cndmask_b32_e64 v77, 0xff7fffff, v96, s17
	s_delay_alu instid0(VALU_DEP_4) | instskip(NEXT) | instid1(VALU_DEP_1)
	v_max3_f32 v68, v68, v71, v72
	v_max3_f32 v68, v68, v70, v77
	ds_bpermute_b32 v69, v90, v68
	s_waitcnt lgkmcnt(0)
	v_max_f32_e32 v69, v69, v69
	s_delay_alu instid0(VALU_DEP_1) | instskip(NEXT) | instid1(VALU_DEP_1)
	v_max_f32_e32 v81, v68, v69
	v_fma_f32 v68, s19, v125, -v81
	s_delay_alu instid0(VALU_DEP_1)
	v_mul_f32_e32 v68, 0x3fb8aa3b, v68
	v_fma_f32 v69, s19, v126, -v81
	v_fma_f32 v71, s19, v128, -v81
	;; [unrolled: 1-line block ×4, first 2 shown]
	v_exp_f32_e32 v68, v68
	v_mul_f32_e32 v69, 0x3fb8aa3b, v69
	s_delay_alu instid0(VALU_DEP_3) | instskip(NEXT) | instid1(VALU_DEP_3)
	v_dual_mul_f32 v71, 0x3fb8aa3b, v71 :: v_dual_mul_f32 v72, 0x3fb8aa3b, v72
	v_mul_f32_e32 v70, 0x3fb8aa3b, v70
	v_fma_f32 v78, s19, v131, -v81
	s_delay_alu instid0(VALU_DEP_4) | instskip(NEXT) | instid1(VALU_DEP_3)
	v_exp_f32_e32 v69, v69
	v_exp_f32_e32 v71, v71
	;; [unrolled: 1-line block ×4, first 2 shown]
	v_cndmask_b32_e64 v82, 0, v68, s2
	v_fma_f32 v68, s19, v130, -v81
	v_mul_f32_e32 v78, 0x3fb8aa3b, v78
	v_fma_f32 v80, s19, v106, -v81
	s_mov_b32 s2, exec_lo
	s_delay_alu instid0(VALU_DEP_3) | instskip(NEXT) | instid1(TRANS32_DEP_2)
	v_dual_cndmask_b32 v77, 0, v69 :: v_dual_mul_f32 v68, 0x3fb8aa3b, v68
	v_cndmask_b32_e64 v86, 0, v72, s5
	v_fma_f32 v72, s19, v102, -v81
	v_add_f32_e32 v69, 0, v82
	v_cndmask_b32_e64 v83, 0, v70, s3
	v_exp_f32_e32 v68, v68
	v_fma_f32 v70, s19, v132, -v81
	s_delay_alu instid0(VALU_DEP_3) | instskip(SKIP_2) | instid1(VALU_DEP_4)
	v_dual_mul_f32 v72, 0x3fb8aa3b, v72 :: v_dual_add_f32 v69, v69, v77
	v_cndmask_b32_e64 v85, 0, v71, s4
	v_fma_f32 v71, s19, v101, -v81
	v_mul_f32_e32 v70, 0x3fb8aa3b, v70
	v_exp_f32_e32 v78, v78
	v_add_f32_e32 v69, v69, v83
	v_exp_f32_e32 v72, v72
	s_delay_alu instid0(TRANS32_DEP_3) | instskip(SKIP_1) | instid1(VALU_DEP_2)
	v_cndmask_b32_e64 v87, 0, v68, s6
	v_exp_f32_e32 v70, v70
	v_add_f32_e32 v69, v69, v85
	v_mul_f32_e32 v71, 0x3fb8aa3b, v71
	s_delay_alu instid0(TRANS32_DEP_3) | instskip(NEXT) | instid1(VALU_DEP_3)
	v_cndmask_b32_e64 v84, 0, v78, s7
	v_add_f32_e32 v68, v69, v86
	v_fma_f32 v69, s19, v103, -v81
	s_delay_alu instid0(VALU_DEP_4) | instskip(SKIP_1) | instid1(TRANS32_DEP_2)
	v_exp_f32_e32 v71, v71
	v_fma_f32 v78, s19, v104, -v81
	v_cndmask_b32_e64 v88, 0, v70, s8
	s_delay_alu instid0(VALU_DEP_3) | instskip(SKIP_1) | instid1(VALU_DEP_2)
	v_dual_add_f32 v68, v68, v87 :: v_dual_mul_f32 v69, 0x3fb8aa3b, v69
	v_fma_f32 v70, s19, v105, -v81
	v_add_f32_e32 v68, v68, v84
	v_mul_f32_e32 v78, 0x3fb8aa3b, v78
	s_delay_alu instid0(VALU_DEP_4) | instskip(NEXT) | instid1(TRANS32_DEP_2)
	v_exp_f32_e32 v79, v69
	v_cndmask_b32_e64 v69, 0, v71, s9
	s_delay_alu instid0(VALU_DEP_3) | instskip(NEXT) | instid1(VALU_DEP_3)
	v_dual_add_f32 v71, v68, v88 :: v_dual_mul_f32 v70, 0x3fb8aa3b, v70
	v_exp_f32_e32 v78, v78
	v_cndmask_b32_e64 v68, 0, v72, s10
	v_fma_f32 v72, s19, v107, -v81
	s_delay_alu instid0(VALU_DEP_3) | instskip(SKIP_1) | instid1(TRANS32_DEP_3)
	v_add_f32_e32 v71, v71, v69
	v_exp_f32_e32 v89, v70
	v_cndmask_b32_e64 v70, 0, v79, s11
	s_delay_alu instid0(VALU_DEP_2) | instskip(NEXT) | instid1(TRANS32_DEP_2)
	v_add_f32_e32 v79, v71, v68
	v_cndmask_b32_e64 v71, 0, v78, s12
	s_delay_alu instid0(VALU_DEP_2) | instskip(SKIP_2) | instid1(VALU_DEP_1)
	v_add_f32_e32 v78, v79, v70
	v_mul_f32_e32 v80, 0x3fb8aa3b, v80
	v_fma_f32 v79, s19, v108, -v81
	v_dual_mul_f32 v72, 0x3fb8aa3b, v72 :: v_dual_mul_f32 v79, 0x3fb8aa3b, v79
	s_delay_alu instid0(VALU_DEP_1) | instskip(NEXT) | instid1(TRANS32_DEP_2)
	v_exp_f32_e32 v91, v72
	v_cndmask_b32_e64 v72, 0, v89, s13
	v_add_f32_e32 v89, v78, v71
	v_exp_f32_e32 v80, v80
	s_waitcnt_depctr 0xfff
	v_cndmask_b32_e64 v78, 0, v80, s15
	v_add_f32_e32 v80, v89, v72
	v_exp_f32_e32 v89, v79
	v_cndmask_b32_e64 v79, 0, v91, s16
	s_delay_alu instid0(VALU_DEP_2) | instskip(NEXT) | instid1(VALU_DEP_1)
	v_add_f32_e32 v80, v80, v78
	v_add_f32_e32 v91, v80, v79
	s_waitcnt_depctr 0xfff
	v_cndmask_b32_e64 v80, 0, v89, s17
	s_delay_alu instid0(VALU_DEP_1)
	v_add_f32_e32 v89, v91, v80
	ds_bpermute_b32 v90, v90, v89
	v_cmpx_gt_u32_e32 16, v67
	s_cbranch_execz .LBB1837_12
; %bb.11:
	v_mul_u32_u24_e32 v67, 0x44, v65
	s_waitcnt lgkmcnt(0)
	v_add_f32_e32 v89, v89, v90
	s_delay_alu instid0(VALU_DEP_2) | instskip(NEXT) | instid1(VALU_DEP_1)
	v_lshl_add_u32 v67, v66, 2, v67
	v_add_nc_u32_e32 v67, 0x4000, v67
	ds_store_2addr_b32 v67, v81, v89 offset1:136
.LBB1837_12:
	s_or_b32 exec_lo, exec_lo, s2
	v_lshlrev_b32_e32 v66, 2, v66
	s_waitcnt lgkmcnt(0)
	s_barrier
	buffer_gl0_inv
	v_cmp_eq_u32_e32 vcc_lo, 1, v65
	v_add_nc_u32_e32 v81, 0x4000, v66
	v_cmp_eq_u32_e64 s2, 2, v65
	v_cmp_eq_u32_e64 s4, 7, v65
	ds_load_2addr_b32 v[89:90], v81 offset1:17
	ds_load_2addr_b32 v[91:92], v81 offset0:34 offset1:51
	ds_load_2addr_b32 v[93:94], v81 offset0:68 offset1:85
	;; [unrolled: 1-line block ×4, first 2 shown]
	s_waitcnt lgkmcnt(4)
	v_max3_f32 v66, v89, 0xff7fffff, v90
	s_waitcnt lgkmcnt(3)
	s_delay_alu instid0(VALU_DEP_1) | instskip(SKIP_1) | instid1(VALU_DEP_1)
	v_max3_f32 v66, v66, v91, v92
	s_waitcnt lgkmcnt(2)
	v_max3_f32 v66, v66, v93, v94
	s_waitcnt lgkmcnt(1)
	s_delay_alu instid0(VALU_DEP_1) | instskip(NEXT) | instid1(VALU_DEP_1)
	v_max3_f32 v66, v66, v95, v96
	v_sub_f32_e32 v67, v89, v66
	v_sub_f32_e32 v91, v91, v66
	;; [unrolled: 1-line block ×3, first 2 shown]
	s_delay_alu instid0(VALU_DEP_3) | instskip(NEXT) | instid1(VALU_DEP_3)
	v_mul_f32_e32 v67, 0x3fb8aa3b, v67
	v_mul_f32_e32 v101, 0x3fb8aa3b, v91
	s_delay_alu instid0(VALU_DEP_3) | instskip(NEXT) | instid1(VALU_DEP_3)
	v_mul_f32_e32 v103, 0x3fb8aa3b, v93
	v_exp_f32_e32 v100, v67
	v_sub_f32_e32 v67, v92, v66
	v_sub_f32_e32 v99, v90, v66
	ds_load_2addr_b32 v[89:90], v81 offset0:170 offset1:187
	ds_load_2addr_b32 v[91:92], v81 offset0:204 offset1:221
	v_exp_f32_e32 v101, v101
	v_mul_f32_e32 v102, 0x3fb8aa3b, v67
	v_mul_f32_e32 v99, 0x3fb8aa3b, v99
	s_waitcnt lgkmcnt(2)
	v_fma_f32 v67, v100, v97, 0
	v_sub_f32_e32 v97, v94, v66
	s_delay_alu instid0(VALU_DEP_3)
	v_exp_f32_e32 v99, v99
	v_exp_f32_e32 v102, v102
	ds_load_2addr_b32 v[93:94], v81 offset0:238 offset1:255
	v_sub_f32_e32 v81, v95, v66
	v_mul_f32_e32 v95, 0x3fb8aa3b, v97
	v_exp_f32_e32 v97, v103
	s_waitcnt lgkmcnt(0)
	s_barrier
	v_mul_f32_e32 v81, 0x3fb8aa3b, v81
	v_exp_f32_e32 v95, v95
	v_fmac_f32_e32 v67, v99, v98
	buffer_gl0_inv
	v_exp_f32_e32 v81, v81
	v_fmac_f32_e32 v67, v101, v89
	v_sub_f32_e32 v89, v96, v66
	s_delay_alu instid0(VALU_DEP_2) | instskip(NEXT) | instid1(VALU_DEP_2)
	v_fmac_f32_e32 v67, v102, v90
	v_mul_f32_e32 v89, 0x3fb8aa3b, v89
	s_delay_alu instid0(VALU_DEP_2) | instskip(NEXT) | instid1(VALU_DEP_2)
	v_fmac_f32_e32 v67, v97, v91
	v_exp_f32_e32 v89, v89
	s_delay_alu instid0(VALU_DEP_1)
	v_fmac_f32_e32 v67, v95, v92
	s_delay_alu instid0(TRANS32_DEP_2) | instid1(VALU_DEP_1)
	v_fmac_f32_e32 v67, v81, v93
	s_waitcnt_depctr 0xfff
	v_fmac_f32_e32 v67, v89, v94
	s_delay_alu instid0(VALU_DEP_1) | instskip(NEXT) | instid1(VALU_DEP_1)
	v_add_f32_e32 v90, 0x358637bd, v67
	v_div_scale_f32 v91, null, v90, v90, 1.0
	v_div_scale_f32 v94, s3, 1.0, v90, 1.0
	s_delay_alu instid0(VALU_DEP_2) | instskip(SKIP_2) | instid1(VALU_DEP_1)
	v_rcp_f32_e32 v92, v91
	s_waitcnt_depctr 0xfff
	v_fma_f32 v93, -v91, v92, 1.0
	v_dual_fmac_f32 v92, v93, v92 :: v_dual_cndmask_b32 v93, v100, v99
	v_cmp_eq_u32_e32 vcc_lo, 3, v65
	s_delay_alu instid0(VALU_DEP_2) | instskip(NEXT) | instid1(VALU_DEP_3)
	v_mul_f32_e32 v96, v94, v92
	v_cndmask_b32_e64 v93, v93, v101, s2
	v_cmp_eq_u32_e64 s2, 4, v65
	s_delay_alu instid0(VALU_DEP_3) | instskip(NEXT) | instid1(VALU_DEP_3)
	v_fma_f32 v98, -v91, v96, v94
	v_cndmask_b32_e32 v93, v93, v102, vcc_lo
	v_cmp_eq_u32_e32 vcc_lo, 5, v65
	s_delay_alu instid0(VALU_DEP_3) | instskip(NEXT) | instid1(VALU_DEP_3)
	v_fmac_f32_e32 v96, v98, v92
	v_cndmask_b32_e64 v93, v93, v97, s2
	v_cmp_eq_u32_e64 s2, 6, v65
	s_delay_alu instid0(VALU_DEP_3) | instskip(NEXT) | instid1(VALU_DEP_3)
	v_fma_f32 v91, -v91, v96, v94
	v_cndmask_b32_e32 v93, v93, v95, vcc_lo
	s_mov_b32 vcc_lo, s3
	s_delay_alu instid0(VALU_DEP_2) | instskip(NEXT) | instid1(VALU_DEP_2)
	v_div_fmas_f32 v91, v91, v92, v96
	v_cndmask_b32_e64 v81, v93, v81, s2
	s_mov_b32 s2, exec_lo
	s_delay_alu instid0(VALU_DEP_2) | instskip(NEXT) | instid1(VALU_DEP_2)
	v_div_fixup_f32 v90, v91, v90, 1.0
	v_cndmask_b32_e64 v81, v81, v89, s4
	s_delay_alu instid0(VALU_DEP_1) | instskip(NEXT) | instid1(VALU_DEP_1)
	v_mul_f32_e32 v81, v81, v90
	v_mul_f32_e32 v90, v81, v82
	;; [unrolled: 1-line block ×6, first 2 shown]
	v_dual_mul_f32 v86, v81, v83 :: v_dual_and_b32 v91, 0x7f800000, v90
	v_mul_f32_e32 v89, v81, v85
	v_mul_f32_e32 v85, v81, v77
                                        ; implicit-def: $vgpr77
	s_delay_alu instid0(VALU_DEP_3)
	v_cmpx_ne_u32_e32 0x7f800000, v91
	s_xor_b32 s2, exec_lo, s2
; %bb.13:
	v_bfe_u32 v77, v90, 16, 1
	s_delay_alu instid0(VALU_DEP_1)
	v_add3_u32 v77, v90, v77, 0x7fff
                                        ; implicit-def: $vgpr90
; %bb.14:
	s_and_not1_saveexec_b32 s2, s2
; %bb.15:
	v_and_b32_e32 v77, 0xffff, v90
	v_or_b32_e32 v83, 0x10000, v90
	s_delay_alu instid0(VALU_DEP_2) | instskip(NEXT) | instid1(VALU_DEP_2)
	v_cmp_eq_u32_e32 vcc_lo, 0, v77
	v_cndmask_b32_e32 v77, v83, v90, vcc_lo
; %bb.16:
	s_or_b32 exec_lo, exec_lo, s2
	v_and_b32_e32 v83, 0x7f800000, v85
	s_delay_alu instid0(VALU_DEP_1) | instskip(SKIP_1) | instid1(SALU_CYCLE_1)
	v_cmp_ne_u32_e32 vcc_lo, 0x7f800000, v83
                                        ; implicit-def: $vgpr83
	s_and_saveexec_b32 s2, vcc_lo
	s_xor_b32 s2, exec_lo, s2
; %bb.17:
	v_bfe_u32 v83, v85, 16, 1
	s_delay_alu instid0(VALU_DEP_1)
	v_add3_u32 v83, v85, v83, 0x7fff
                                        ; implicit-def: $vgpr85
; %bb.18:
	s_and_not1_saveexec_b32 s2, s2
; %bb.19:
	v_and_b32_e32 v83, 0xffff, v85
	v_or_b32_e32 v90, 0x10000, v85
	s_delay_alu instid0(VALU_DEP_2) | instskip(NEXT) | instid1(VALU_DEP_2)
	v_cmp_eq_u32_e32 vcc_lo, 0, v83
	v_cndmask_b32_e32 v83, v90, v85, vcc_lo
; %bb.20:
	s_or_b32 exec_lo, exec_lo, s2
	v_and_b32_e32 v85, 0x7f800000, v86
	s_delay_alu instid0(VALU_DEP_1) | instskip(SKIP_1) | instid1(SALU_CYCLE_1)
	v_cmp_ne_u32_e32 vcc_lo, 0x7f800000, v85
                                        ; implicit-def: $vgpr85
	s_and_saveexec_b32 s2, vcc_lo
	s_xor_b32 s2, exec_lo, s2
; %bb.21:
	v_bfe_u32 v85, v86, 16, 1
	s_delay_alu instid0(VALU_DEP_1)
	v_add3_u32 v85, v86, v85, 0x7fff
                                        ; implicit-def: $vgpr86
; %bb.22:
	s_and_not1_saveexec_b32 s2, s2
; %bb.23:
	v_and_b32_e32 v85, 0xffff, v86
	v_or_b32_e32 v90, 0x10000, v86
	s_delay_alu instid0(VALU_DEP_2) | instskip(NEXT) | instid1(VALU_DEP_2)
	v_cmp_eq_u32_e32 vcc_lo, 0, v85
	v_cndmask_b32_e32 v85, v90, v86, vcc_lo
; %bb.24:
	s_or_b32 exec_lo, exec_lo, s2
	v_and_b32_e32 v86, 0x7f800000, v89
	s_delay_alu instid0(VALU_DEP_1) | instskip(SKIP_1) | instid1(SALU_CYCLE_1)
	v_cmp_ne_u32_e32 vcc_lo, 0x7f800000, v86
                                        ; implicit-def: $vgpr86
	s_and_saveexec_b32 s2, vcc_lo
	s_xor_b32 s2, exec_lo, s2
; %bb.25:
	v_bfe_u32 v86, v89, 16, 1
	s_delay_alu instid0(VALU_DEP_1)
	v_add3_u32 v86, v89, v86, 0x7fff
                                        ; implicit-def: $vgpr89
; %bb.26:
	s_and_not1_saveexec_b32 s2, s2
; %bb.27:
	v_and_b32_e32 v86, 0xffff, v89
	v_or_b32_e32 v90, 0x10000, v89
	s_delay_alu instid0(VALU_DEP_2) | instskip(NEXT) | instid1(VALU_DEP_2)
	v_cmp_eq_u32_e32 vcc_lo, 0, v86
	v_cndmask_b32_e32 v86, v90, v89, vcc_lo
; %bb.28:
	s_or_b32 exec_lo, exec_lo, s2
	v_and_b32_e32 v89, 0x7f800000, v88
	s_delay_alu instid0(VALU_DEP_1) | instskip(SKIP_1) | instid1(SALU_CYCLE_1)
	v_cmp_ne_u32_e32 vcc_lo, 0x7f800000, v89
                                        ; implicit-def: $vgpr89
	s_and_saveexec_b32 s2, vcc_lo
	s_xor_b32 s2, exec_lo, s2
; %bb.29:
	v_bfe_u32 v89, v88, 16, 1
	s_delay_alu instid0(VALU_DEP_1)
	v_add3_u32 v89, v88, v89, 0x7fff
                                        ; implicit-def: $vgpr88
; %bb.30:
	s_and_not1_saveexec_b32 s2, s2
; %bb.31:
	v_and_b32_e32 v89, 0xffff, v88
	v_or_b32_e32 v90, 0x10000, v88
	s_delay_alu instid0(VALU_DEP_2) | instskip(NEXT) | instid1(VALU_DEP_2)
	v_cmp_eq_u32_e32 vcc_lo, 0, v89
	v_cndmask_b32_e32 v89, v90, v88, vcc_lo
; %bb.32:
	s_or_b32 exec_lo, exec_lo, s2
	v_and_b32_e32 v88, 0x7f800000, v87
	s_delay_alu instid0(VALU_DEP_1) | instskip(SKIP_1) | instid1(SALU_CYCLE_1)
	v_cmp_ne_u32_e32 vcc_lo, 0x7f800000, v88
                                        ; implicit-def: $vgpr88
	s_and_saveexec_b32 s2, vcc_lo
	s_xor_b32 s2, exec_lo, s2
; %bb.33:
	v_bfe_u32 v88, v87, 16, 1
	s_delay_alu instid0(VALU_DEP_1)
	v_add3_u32 v88, v87, v88, 0x7fff
                                        ; implicit-def: $vgpr87
; %bb.34:
	s_and_not1_saveexec_b32 s2, s2
; %bb.35:
	v_and_b32_e32 v88, 0xffff, v87
	v_or_b32_e32 v90, 0x10000, v87
	s_delay_alu instid0(VALU_DEP_2) | instskip(NEXT) | instid1(VALU_DEP_2)
	v_cmp_eq_u32_e32 vcc_lo, 0, v88
	v_cndmask_b32_e32 v88, v90, v87, vcc_lo
; %bb.36:
	s_or_b32 exec_lo, exec_lo, s2
	v_and_b32_e32 v87, 0x7f800000, v84
	s_delay_alu instid0(VALU_DEP_1) | instskip(SKIP_1) | instid1(SALU_CYCLE_1)
	v_cmp_ne_u32_e32 vcc_lo, 0x7f800000, v87
                                        ; implicit-def: $vgpr87
	s_and_saveexec_b32 s2, vcc_lo
	s_xor_b32 s2, exec_lo, s2
; %bb.37:
	v_bfe_u32 v87, v84, 16, 1
	s_delay_alu instid0(VALU_DEP_1)
	v_add3_u32 v87, v84, v87, 0x7fff
                                        ; implicit-def: $vgpr84
; %bb.38:
	s_and_not1_saveexec_b32 s2, s2
; %bb.39:
	v_and_b32_e32 v87, 0xffff, v84
	v_or_b32_e32 v90, 0x10000, v84
	s_delay_alu instid0(VALU_DEP_2) | instskip(NEXT) | instid1(VALU_DEP_2)
	v_cmp_eq_u32_e32 vcc_lo, 0, v87
	v_cndmask_b32_e32 v87, v90, v84, vcc_lo
; %bb.40:
	s_or_b32 exec_lo, exec_lo, s2
	v_and_b32_e32 v84, 0x7f800000, v82
	s_delay_alu instid0(VALU_DEP_1) | instskip(SKIP_1) | instid1(SALU_CYCLE_1)
	v_cmp_ne_u32_e32 vcc_lo, 0x7f800000, v84
                                        ; implicit-def: $vgpr84
	s_and_saveexec_b32 s2, vcc_lo
	s_xor_b32 s2, exec_lo, s2
; %bb.41:
	v_bfe_u32 v84, v82, 16, 1
	s_delay_alu instid0(VALU_DEP_1)
	v_add3_u32 v84, v82, v84, 0x7fff
                                        ; implicit-def: $vgpr82
; %bb.42:
	s_and_not1_saveexec_b32 s2, s2
; %bb.43:
	v_and_b32_e32 v84, 0xffff, v82
	v_or_b32_e32 v90, 0x10000, v82
	s_delay_alu instid0(VALU_DEP_2) | instskip(NEXT) | instid1(VALU_DEP_2)
	v_cmp_eq_u32_e32 vcc_lo, 0, v84
	v_cndmask_b32_e32 v84, v90, v82, vcc_lo
; %bb.44:
	s_or_b32 exec_lo, exec_lo, s2
	s_load_b64 s[34:35], s[0:1], 0x94
	v_lshlrev_b32_e32 v82, 4, v74
	s_delay_alu instid0(VALU_DEP_2)
	v_perm_b32 v90, v84, v87, 0x7060302
	v_lshlrev_b32_e32 v84, 11, v65
	v_perm_b32 v87, v83, v77, 0x7060302
	v_mul_f32_e32 v83, v81, v69
	v_mul_f32_e32 v69, v81, v80
	v_perm_b32 v89, v88, v89, 0x7060302
	v_perm_b32 v88, v86, v85, 0x7060302
	v_or3_b32 v77, v82, v84, v76
	v_mul_f32_e32 v79, v81, v79
	v_mul_f32_e32 v78, v81, v78
	v_and_b32_e32 v84, 0x7f800000, v83
	v_mul_f32_e32 v72, v81, v72
	v_mul_f32_e32 v82, v81, v71
	v_mul_f32_e32 v71, v81, v68
	v_mul_f32_e32 v80, v81, v70
	s_mov_b32 s2, exec_lo
	ds_store_b128 v77, v[87:90]
                                        ; implicit-def: $vgpr68
	v_cmpx_ne_u32_e32 0x7f800000, v84
	s_xor_b32 s2, exec_lo, s2
; %bb.45:
	v_bfe_u32 v68, v83, 16, 1
	s_delay_alu instid0(VALU_DEP_1)
	v_add3_u32 v68, v83, v68, 0x7fff
                                        ; implicit-def: $vgpr83
; %bb.46:
	s_and_not1_saveexec_b32 s2, s2
; %bb.47:
	v_and_b32_e32 v68, 0xffff, v83
	v_or_b32_e32 v70, 0x10000, v83
	s_delay_alu instid0(VALU_DEP_2) | instskip(NEXT) | instid1(VALU_DEP_2)
	v_cmp_eq_u32_e32 vcc_lo, 0, v68
	v_cndmask_b32_e32 v68, v70, v83, vcc_lo
; %bb.48:
	s_or_b32 exec_lo, exec_lo, s2
	v_and_b32_e32 v70, 0x7f800000, v71
	s_delay_alu instid0(VALU_DEP_1) | instskip(SKIP_1) | instid1(SALU_CYCLE_1)
	v_cmp_ne_u32_e32 vcc_lo, 0x7f800000, v70
                                        ; implicit-def: $vgpr70
	s_and_saveexec_b32 s2, vcc_lo
	s_xor_b32 s2, exec_lo, s2
; %bb.49:
	v_bfe_u32 v70, v71, 16, 1
	s_delay_alu instid0(VALU_DEP_1)
	v_add3_u32 v70, v71, v70, 0x7fff
                                        ; implicit-def: $vgpr71
; %bb.50:
	s_and_not1_saveexec_b32 s2, s2
; %bb.51:
	v_and_b32_e32 v70, 0xffff, v71
	v_or_b32_e32 v81, 0x10000, v71
	s_delay_alu instid0(VALU_DEP_2) | instskip(NEXT) | instid1(VALU_DEP_2)
	v_cmp_eq_u32_e32 vcc_lo, 0, v70
	v_cndmask_b32_e32 v70, v81, v71, vcc_lo
; %bb.52:
	s_or_b32 exec_lo, exec_lo, s2
	v_and_b32_e32 v71, 0x7f800000, v80
	s_delay_alu instid0(VALU_DEP_1) | instskip(SKIP_1) | instid1(SALU_CYCLE_1)
	v_cmp_ne_u32_e32 vcc_lo, 0x7f800000, v71
                                        ; implicit-def: $vgpr71
	s_and_saveexec_b32 s2, vcc_lo
	s_xor_b32 s2, exec_lo, s2
; %bb.53:
	v_bfe_u32 v71, v80, 16, 1
	s_delay_alu instid0(VALU_DEP_1)
	v_add3_u32 v71, v80, v71, 0x7fff
                                        ; implicit-def: $vgpr80
; %bb.54:
	s_and_not1_saveexec_b32 s2, s2
; %bb.55:
	v_and_b32_e32 v71, 0xffff, v80
	v_or_b32_e32 v81, 0x10000, v80
	s_delay_alu instid0(VALU_DEP_2) | instskip(NEXT) | instid1(VALU_DEP_2)
	v_cmp_eq_u32_e32 vcc_lo, 0, v71
	v_cndmask_b32_e32 v71, v81, v80, vcc_lo
; %bb.56:
	s_or_b32 exec_lo, exec_lo, s2
	v_and_b32_e32 v80, 0x7f800000, v82
	s_delay_alu instid0(VALU_DEP_1) | instskip(SKIP_1) | instid1(SALU_CYCLE_1)
	v_cmp_ne_u32_e32 vcc_lo, 0x7f800000, v80
                                        ; implicit-def: $vgpr80
	s_and_saveexec_b32 s2, vcc_lo
	s_xor_b32 s2, exec_lo, s2
; %bb.57:
	v_bfe_u32 v80, v82, 16, 1
	s_delay_alu instid0(VALU_DEP_1)
	v_add3_u32 v80, v82, v80, 0x7fff
                                        ; implicit-def: $vgpr82
; %bb.58:
	s_and_not1_saveexec_b32 s2, s2
; %bb.59:
	v_and_b32_e32 v80, 0xffff, v82
	v_or_b32_e32 v81, 0x10000, v82
	s_delay_alu instid0(VALU_DEP_2) | instskip(NEXT) | instid1(VALU_DEP_2)
	v_cmp_eq_u32_e32 vcc_lo, 0, v80
	v_cndmask_b32_e32 v80, v81, v82, vcc_lo
; %bb.60:
	s_or_b32 exec_lo, exec_lo, s2
	v_and_b32_e32 v81, 0x7f800000, v72
	s_delay_alu instid0(VALU_DEP_1) | instskip(SKIP_1) | instid1(SALU_CYCLE_1)
	v_cmp_ne_u32_e32 vcc_lo, 0x7f800000, v81
                                        ; implicit-def: $vgpr81
	s_and_saveexec_b32 s2, vcc_lo
	s_xor_b32 s2, exec_lo, s2
; %bb.61:
	v_bfe_u32 v81, v72, 16, 1
	s_delay_alu instid0(VALU_DEP_1)
	v_add3_u32 v81, v72, v81, 0x7fff
                                        ; implicit-def: $vgpr72
; %bb.62:
	s_and_not1_saveexec_b32 s2, s2
; %bb.63:
	v_and_b32_e32 v81, 0xffff, v72
	v_or_b32_e32 v82, 0x10000, v72
	s_delay_alu instid0(VALU_DEP_2) | instskip(NEXT) | instid1(VALU_DEP_2)
	v_cmp_eq_u32_e32 vcc_lo, 0, v81
	v_cndmask_b32_e32 v81, v82, v72, vcc_lo
; %bb.64:
	s_or_b32 exec_lo, exec_lo, s2
	v_and_b32_e32 v72, 0x7f800000, v78
	s_delay_alu instid0(VALU_DEP_1) | instskip(SKIP_1) | instid1(SALU_CYCLE_1)
	v_cmp_ne_u32_e32 vcc_lo, 0x7f800000, v72
                                        ; implicit-def: $vgpr72
	s_and_saveexec_b32 s2, vcc_lo
	s_xor_b32 s2, exec_lo, s2
; %bb.65:
	v_bfe_u32 v72, v78, 16, 1
	s_delay_alu instid0(VALU_DEP_1)
	v_add3_u32 v72, v78, v72, 0x7fff
                                        ; implicit-def: $vgpr78
; %bb.66:
	s_and_not1_saveexec_b32 s2, s2
; %bb.67:
	v_and_b32_e32 v72, 0xffff, v78
	v_or_b32_e32 v82, 0x10000, v78
	s_delay_alu instid0(VALU_DEP_2) | instskip(NEXT) | instid1(VALU_DEP_2)
	v_cmp_eq_u32_e32 vcc_lo, 0, v72
	v_cndmask_b32_e32 v72, v82, v78, vcc_lo
; %bb.68:
	s_or_b32 exec_lo, exec_lo, s2
	v_and_b32_e32 v78, 0x7f800000, v79
	s_delay_alu instid0(VALU_DEP_1) | instskip(SKIP_1) | instid1(SALU_CYCLE_1)
	v_cmp_ne_u32_e32 vcc_lo, 0x7f800000, v78
                                        ; implicit-def: $vgpr78
	s_and_saveexec_b32 s2, vcc_lo
	s_xor_b32 s2, exec_lo, s2
; %bb.69:
	v_bfe_u32 v78, v79, 16, 1
	s_delay_alu instid0(VALU_DEP_1)
	v_add3_u32 v78, v79, v78, 0x7fff
                                        ; implicit-def: $vgpr79
; %bb.70:
	s_and_not1_saveexec_b32 s2, s2
; %bb.71:
	v_and_b32_e32 v78, 0xffff, v79
	v_or_b32_e32 v82, 0x10000, v79
	s_delay_alu instid0(VALU_DEP_2) | instskip(NEXT) | instid1(VALU_DEP_2)
	v_cmp_eq_u32_e32 vcc_lo, 0, v78
	v_cndmask_b32_e32 v78, v82, v79, vcc_lo
; %bb.72:
	s_or_b32 exec_lo, exec_lo, s2
	v_and_b32_e32 v79, 0x7f800000, v69
	s_delay_alu instid0(VALU_DEP_1) | instskip(SKIP_1) | instid1(SALU_CYCLE_1)
	v_cmp_ne_u32_e32 vcc_lo, 0x7f800000, v79
                                        ; implicit-def: $vgpr79
	s_and_saveexec_b32 s2, vcc_lo
	s_xor_b32 s2, exec_lo, s2
; %bb.73:
	v_bfe_u32 v79, v69, 16, 1
	s_delay_alu instid0(VALU_DEP_1)
	v_add3_u32 v79, v69, v79, 0x7fff
                                        ; implicit-def: $vgpr69
; %bb.74:
	s_and_not1_saveexec_b32 s2, s2
; %bb.75:
	v_and_b32_e32 v79, 0xffff, v69
	v_or_b32_e32 v82, 0x10000, v69
	s_delay_alu instid0(VALU_DEP_2) | instskip(NEXT) | instid1(VALU_DEP_2)
	v_cmp_eq_u32_e32 vcc_lo, 0, v79
	v_cndmask_b32_e32 v79, v82, v69, vcc_lo
; %bb.76:
	s_or_b32 exec_lo, exec_lo, s2
	s_delay_alu instid0(VALU_DEP_1)
	v_perm_b32 v86, v79, v78, 0x7060302
	v_perm_b32 v85, v72, v81, 0x7060302
	;; [unrolled: 1-line block ×4, first 2 shown]
	v_lshl_or_b32 v82, v65, 11, v76
	v_lshlrev_b32_e32 v79, 2, v74
	ds_store_b128 v77, v[83:86] offset:1024
	s_waitcnt lgkmcnt(0)
	s_barrier
	buffer_gl0_inv
	ds_load_b128 v[68:71], v82
	ds_load_b128 v[83:86], v82 offset:16
	v_or_b32_e32 v80, 1, v79
	v_cmp_eq_u32_e32 vcc_lo, 1, v79
	v_cmp_eq_u32_e64 s3, 2, v79
	v_cmp_eq_u32_e64 s6, 3, v79
	;; [unrolled: 1-line block ×6, first 2 shown]
	v_or_b32_e32 v78, 2, v79
	v_cmp_eq_u32_e64 s9, 5, v79
	v_cmp_eq_u32_e64 s10, 4, v80
	;; [unrolled: 1-line block ×9, first 2 shown]
	s_waitcnt lgkmcnt(1)
	v_lshrrev_b32_e32 v65, 16, v68
	s_waitcnt lgkmcnt(0)
	v_lshrrev_b32_e32 v91, 16, v83
	v_lshrrev_b32_e32 v72, 16, v69
	;; [unrolled: 1-line block ×4, first 2 shown]
	v_cndmask_b32_e32 v81, v68, v65, vcc_lo
	v_cndmask_b32_e32 v87, v83, v91, vcc_lo
	v_cndmask_b32_e64 v88, v68, v65, s2
	v_lshrrev_b32_e32 v98, 16, v85
	v_cndmask_b32_e64 v89, v83, v91, s2
	v_cndmask_b32_e64 v81, v81, v69, s3
	v_cndmask_b32_e64 v87, v87, v84, s3
	v_cndmask_b32_e64 v88, v88, v69, s5
	v_lshrrev_b32_e32 v96, 16, v71
	v_cndmask_b32_e64 v89, v89, v84, s5
	v_cndmask_b32_e64 v81, v81, v72, s6
	v_cndmask_b32_e64 v87, v87, v97, s6
	;; [unrolled: 5-line block ×3, first 2 shown]
	v_cndmask_b32_e64 v88, v88, v70, s10
	v_cndmask_b32_e64 v89, v89, v97, s7
	v_cmp_eq_u32_e64 s18, 3, v78
	v_cndmask_b32_e64 v81, v81, v95, s9
	v_cndmask_b32_e64 v87, v87, v98, s9
	;; [unrolled: 1-line block ×4, first 2 shown]
	v_cmp_eq_u32_e64 s19, 4, v78
	v_cndmask_b32_e64 v81, v81, v71, s11
	v_cndmask_b32_e64 v87, v87, v86, s11
	;; [unrolled: 1-line block ×3, first 2 shown]
	v_cmp_eq_u32_e64 s21, 5, v78
	v_cmp_eq_u32_e64 s23, 6, v78
	v_cndmask_b32_e64 v100, v81, v96, s13
	v_cndmask_b32_e64 v101, v87, v99, s13
	;; [unrolled: 1-line block ×6, first 2 shown]
	v_cmp_eq_u32_e64 s26, 7, v78
	v_cndmask_b32_e64 v89, v81, v72, s18
	v_cndmask_b32_e64 v87, v87, v84, s16
	v_or_b32_e32 v81, 3, v79
	v_cndmask_b32_e64 v103, v88, v86, s15
	s_delay_alu instid0(VALU_DEP_4) | instskip(NEXT) | instid1(VALU_DEP_4)
	v_cndmask_b32_e64 v92, v89, v70, s19
	v_cndmask_b32_e64 v93, v87, v97, s18
	s_delay_alu instid0(VALU_DEP_4)
	v_cmp_eq_u32_e64 s20, 1, v81
	ds_load_b128 v[87:90], v82 offset:1024
	v_cmp_eq_u32_e64 s22, 2, v81
	v_cndmask_b32_e64 v104, v92, v95, s21
	v_cmp_eq_u32_e64 s24, 3, v81
	v_cndmask_b32_e64 v65, v68, v65, s20
	v_cndmask_b32_e64 v68, v93, v85, s19
	v_cndmask_b32_e64 v83, v83, v91, s20
	ds_load_b128 v[91:94], v82 offset:1040
	v_cmp_eq_u32_e64 s25, 4, v81
	v_cndmask_b32_e64 v65, v65, v69, s22
	v_cmp_eq_u32_e64 s27, 5, v81
	v_cndmask_b32_e64 v69, v83, v84, s22
	;; [unrolled: 2-line block ×3, first 2 shown]
	v_cndmask_b32_e64 v65, v65, v72, s24
	v_cndmask_b32_e64 v72, v104, v71, s23
	;; [unrolled: 1-line block ×6, first 2 shown]
	s_waitcnt lgkmcnt(1)
	v_lshrrev_b32_e32 v84, 16, v87
	v_cndmask_b32_e64 v69, v69, v85, s25
	v_cndmask_b32_e64 v70, v72, v96, s26
	v_cndmask_b32_e64 v68, v68, v99, s26
	v_cndmask_b32_e64 v65, v65, v95, s27
	v_cndmask_b32_e32 v72, v87, v84, vcc_lo
	v_cndmask_b32_e64 v69, v69, v98, s27
	s_waitcnt lgkmcnt(0)
	v_lshrrev_b32_e32 v85, 16, v91
	v_lshrrev_b32_e32 v95, 16, v88
	v_cndmask_b32_e64 v97, v87, v84, s2
	v_cndmask_b32_e64 v72, v72, v88, s3
	;; [unrolled: 1-line block ×3, first 2 shown]
	v_cndmask_b32_e32 v98, v91, v85, vcc_lo
	v_cmp_eq_u32_e32 vcc_lo, 7, v81
	v_cndmask_b32_e64 v69, v69, v86, s28
	v_cndmask_b32_e64 v71, v72, v95, s6
	;; [unrolled: 1-line block ×3, first 2 shown]
	v_lshrrev_b32_e32 v97, 16, v92
	v_cndmask_b32_e32 v65, v65, v96, vcc_lo
	v_cndmask_b32_e64 v86, v98, v92, s3
	v_cndmask_b32_e32 v69, v69, v99, vcc_lo
	v_lshrrev_b32_e32 v99, 16, v93
	v_cndmask_b32_e64 v71, v71, v89, s8
	v_lshrrev_b32_e32 v98, 16, v89
	v_cndmask_b32_e64 v86, v86, v97, s6
	v_perm_b32 v70, v68, v70, 0x5040100
	v_cndmask_b32_e64 v72, v72, v95, s7
	s_delay_alu instid0(VALU_DEP_4) | instskip(NEXT) | instid1(VALU_DEP_4)
	v_cndmask_b32_e64 v96, v71, v98, s9
	v_cndmask_b32_e64 v86, v86, v93, s8
	v_perm_b32 v71, v69, v65, 0x5040100
	v_perm_b32 v69, v83, v102, 0x5040100
	v_cndmask_b32_e64 v102, v91, v85, s4
	v_cndmask_b32_e64 v72, v72, v89, s10
	;; [unrolled: 1-line block ×3, first 2 shown]
	v_lshrrev_b32_e32 v83, 16, v94
	s_delay_alu instid0(VALU_DEP_3) | instskip(NEXT) | instid1(VALU_DEP_3)
	v_cndmask_b32_e64 v65, v72, v98, s12
	v_cndmask_b32_e64 v68, v86, v94, s11
	;; [unrolled: 1-line block ×27, first 2 shown]
	v_lshrrev_b32_e32 v96, 16, v90
	v_cndmask_b32_e64 v65, v65, v90, s15
	v_cndmask_b32_e64 v86, v86, v90, s23
	;; [unrolled: 1-line block ×9, first 2 shown]
	v_cndmask_b32_e32 v84, v84, v96, vcc_lo
	v_cndmask_b32_e32 v86, v87, v83, vcc_lo
	v_cndmask_b32_e64 v87, v88, v83, s26
	v_cndmask_b32_e64 v88, v85, v83, s17
	;; [unrolled: 1-line block ×3, first 2 shown]
	v_perm_b32 v68, v101, v100, 0x5040100
	v_perm_b32 v86, v86, v84, 0x5040100
	;; [unrolled: 1-line block ×5, first 2 shown]
	s_lshl_b32 s7, s35, 4
	s_mov_b32 s2, exec_lo
	ds_store_b128 v77, v[68:71]
	ds_store_b128 v77, v[83:86] offset:1024
	v_cmpx_gt_u32_e32 16, v0
	s_cbranch_execz .LBB1837_78
; %bb.77:
	v_or_b32_e32 v65, s29, v0
	s_load_b128 s[8:11], s[0:1], 0x58
	s_delay_alu instid0(VALU_DEP_1) | instskip(NEXT) | instid1(VALU_DEP_1)
	v_mad_u64_u32 v[68:69], null, s7, s30, v[65:66]
	v_mad_u64_u32 v[69:70], null, v68, s34, s[14:15]
	s_delay_alu instid0(VALU_DEP_1) | instskip(NEXT) | instid1(VALU_DEP_1)
	v_ashrrev_i32_e32 v70, 31, v69
	v_lshlrev_b64 v[68:69], 2, v[69:70]
	s_waitcnt lgkmcnt(0)
	s_delay_alu instid0(VALU_DEP_1) | instskip(NEXT) | instid1(VALU_DEP_2)
	v_add_co_u32 v70, vcc_lo, s10, v68
	v_add_co_ci_u32_e32 v71, vcc_lo, s11, v69, vcc_lo
	v_add_co_u32 v68, vcc_lo, s8, v68
	v_add_co_ci_u32_e32 v69, vcc_lo, s9, v69, vcc_lo
	global_store_b32 v[70:71], v66, off
	global_store_b32 v[68:69], v67, off
.LBB1837_78:
	s_or_b32 exec_lo, exec_lo, s2
	s_waitcnt lgkmcnt(0)
	s_waitcnt_vscnt null, 0x0
	s_barrier
	buffer_gl0_inv
	ds_load_b128 v[83:86], v76
	ds_load_b128 v[87:90], v76 offset:16
	ds_load_b128 v[95:98], v76 offset:2064
	;; [unrolled: 1-line block ×3, first 2 shown]
	v_mov_b32_e32 v65, 0
	ds_load_b128 v[103:106], v76 offset:4112
	ds_load_b128 v[99:102], v76 offset:4096
	;; [unrolled: 1-line block ×4, first 2 shown]
	v_mov_b32_e32 v66, v65
	v_mov_b32_e32 v67, v65
	;; [unrolled: 1-line block ×7, first 2 shown]
	s_waitcnt lgkmcnt(6)
	s_delay_alu instid0(VALU_DEP_1)
	v_wmma_f32_16x16x16_bf16 v[65:72], v[49:56], v[83:90], v[65:72]
	ds_load_b128 v[53:56], v76 offset:8208
	ds_load_b128 v[49:52], v76 offset:8192
	s_waitcnt lgkmcnt(6)
	v_wmma_f32_16x16x16_bf16 v[65:72], v[41:48], v[91:98], v[65:72]
	ds_load_b128 v[45:48], v76 offset:10256
	ds_load_b128 v[41:44], v76 offset:10240
	s_waitcnt lgkmcnt(6)
	;; [unrolled: 4-line block ×4, first 2 shown]
	v_wmma_f32_16x16x16_bf16 v[65:72], v[1:8], v[49:56], v[65:72]
	s_waitcnt lgkmcnt(4)
	s_delay_alu instid0(VALU_DEP_1) | instskip(SKIP_1) | instid1(VALU_DEP_1)
	v_wmma_f32_16x16x16_bf16 v[65:72], v[9:16], v[41:48], v[65:72]
	s_waitcnt lgkmcnt(2)
	v_wmma_f32_16x16x16_bf16 v[65:72], v[17:24], v[33:40], v[65:72]
	s_waitcnt lgkmcnt(0)
	s_delay_alu instid0(VALU_DEP_1) | instskip(NEXT) | instid1(VALU_DEP_1)
	v_wmma_f32_16x16x16_bf16 v[65:72], v[57:64], v[25:32], v[65:72]
	v_and_b32_e32 v1, 0x7f800000, v65
	s_delay_alu instid0(VALU_DEP_1) | instskip(SKIP_1) | instid1(SALU_CYCLE_1)
	v_cmp_ne_u32_e32 vcc_lo, 0x7f800000, v1
                                        ; implicit-def: $vgpr1
	s_and_saveexec_b32 s2, vcc_lo
	s_xor_b32 s2, exec_lo, s2
; %bb.79:
	v_bfe_u32 v1, v65, 16, 1
	s_delay_alu instid0(VALU_DEP_1)
	v_add3_u32 v1, v65, v1, 0x7fff
; %bb.80:
	s_and_not1_saveexec_b32 s2, s2
; %bb.81:
	v_and_b32_e32 v1, 0xffff, v65
	v_or_b32_e32 v2, 0x10000, v65
	s_delay_alu instid0(VALU_DEP_2) | instskip(NEXT) | instid1(VALU_DEP_2)
	v_cmp_eq_u32_e32 vcc_lo, 0, v1
	v_cndmask_b32_e32 v1, v2, v65, vcc_lo
; %bb.82:
	s_or_b32 exec_lo, exec_lo, s2
	v_and_b32_e32 v2, 0x7f800000, v66
	s_delay_alu instid0(VALU_DEP_1) | instskip(SKIP_1) | instid1(SALU_CYCLE_1)
	v_cmp_ne_u32_e32 vcc_lo, 0x7f800000, v2
                                        ; implicit-def: $vgpr2
	s_and_saveexec_b32 s2, vcc_lo
	s_xor_b32 s2, exec_lo, s2
; %bb.83:
	v_bfe_u32 v2, v66, 16, 1
	s_delay_alu instid0(VALU_DEP_1)
	v_add3_u32 v2, v66, v2, 0x7fff
; %bb.84:
	s_and_not1_saveexec_b32 s2, s2
; %bb.85:
	v_and_b32_e32 v2, 0xffff, v66
	v_or_b32_e32 v3, 0x10000, v66
	s_delay_alu instid0(VALU_DEP_2) | instskip(NEXT) | instid1(VALU_DEP_2)
	v_cmp_eq_u32_e32 vcc_lo, 0, v2
	v_cndmask_b32_e32 v2, v3, v66, vcc_lo
; %bb.86:
	s_or_b32 exec_lo, exec_lo, s2
	v_and_b32_e32 v3, 0x7f800000, v67
	s_delay_alu instid0(VALU_DEP_1) | instskip(SKIP_1) | instid1(SALU_CYCLE_1)
	v_cmp_ne_u32_e32 vcc_lo, 0x7f800000, v3
                                        ; implicit-def: $vgpr3
	s_and_saveexec_b32 s2, vcc_lo
	s_xor_b32 s2, exec_lo, s2
; %bb.87:
	v_bfe_u32 v3, v67, 16, 1
	s_delay_alu instid0(VALU_DEP_1)
	v_add3_u32 v3, v67, v3, 0x7fff
; %bb.88:
	s_and_not1_saveexec_b32 s2, s2
; %bb.89:
	v_and_b32_e32 v3, 0xffff, v67
	v_or_b32_e32 v4, 0x10000, v67
	s_delay_alu instid0(VALU_DEP_2) | instskip(NEXT) | instid1(VALU_DEP_2)
	v_cmp_eq_u32_e32 vcc_lo, 0, v3
	v_cndmask_b32_e32 v3, v4, v67, vcc_lo
; %bb.90:
	s_or_b32 exec_lo, exec_lo, s2
	v_and_b32_e32 v4, 0x7f800000, v68
	s_delay_alu instid0(VALU_DEP_1) | instskip(SKIP_1) | instid1(SALU_CYCLE_1)
	v_cmp_ne_u32_e32 vcc_lo, 0x7f800000, v4
                                        ; implicit-def: $vgpr4
	s_and_saveexec_b32 s2, vcc_lo
	s_xor_b32 s2, exec_lo, s2
; %bb.91:
	v_bfe_u32 v4, v68, 16, 1
	s_delay_alu instid0(VALU_DEP_1)
	v_add3_u32 v4, v68, v4, 0x7fff
; %bb.92:
	s_and_not1_saveexec_b32 s2, s2
; %bb.93:
	v_and_b32_e32 v4, 0xffff, v68
	v_or_b32_e32 v5, 0x10000, v68
	s_delay_alu instid0(VALU_DEP_2) | instskip(NEXT) | instid1(VALU_DEP_2)
	v_cmp_eq_u32_e32 vcc_lo, 0, v4
	v_cndmask_b32_e32 v4, v5, v68, vcc_lo
; %bb.94:
	s_or_b32 exec_lo, exec_lo, s2
	v_and_b32_e32 v5, 0x7f800000, v69
	s_delay_alu instid0(VALU_DEP_1) | instskip(SKIP_1) | instid1(SALU_CYCLE_1)
	v_cmp_ne_u32_e32 vcc_lo, 0x7f800000, v5
                                        ; implicit-def: $vgpr5
	s_and_saveexec_b32 s2, vcc_lo
	s_xor_b32 s2, exec_lo, s2
; %bb.95:
	v_bfe_u32 v5, v69, 16, 1
	s_delay_alu instid0(VALU_DEP_1)
	v_add3_u32 v5, v69, v5, 0x7fff
; %bb.96:
	s_and_not1_saveexec_b32 s2, s2
; %bb.97:
	v_and_b32_e32 v5, 0xffff, v69
	v_or_b32_e32 v6, 0x10000, v69
	s_delay_alu instid0(VALU_DEP_2) | instskip(NEXT) | instid1(VALU_DEP_2)
	v_cmp_eq_u32_e32 vcc_lo, 0, v5
	v_cndmask_b32_e32 v5, v6, v69, vcc_lo
; %bb.98:
	s_or_b32 exec_lo, exec_lo, s2
	v_and_b32_e32 v6, 0x7f800000, v70
	s_delay_alu instid0(VALU_DEP_1) | instskip(SKIP_1) | instid1(SALU_CYCLE_1)
	v_cmp_ne_u32_e32 vcc_lo, 0x7f800000, v6
                                        ; implicit-def: $vgpr6
	s_and_saveexec_b32 s2, vcc_lo
	s_xor_b32 s2, exec_lo, s2
; %bb.99:
	v_bfe_u32 v6, v70, 16, 1
	s_delay_alu instid0(VALU_DEP_1)
	v_add3_u32 v6, v70, v6, 0x7fff
; %bb.100:
	s_and_not1_saveexec_b32 s2, s2
; %bb.101:
	v_and_b32_e32 v6, 0xffff, v70
	v_or_b32_e32 v7, 0x10000, v70
	s_delay_alu instid0(VALU_DEP_2) | instskip(NEXT) | instid1(VALU_DEP_2)
	v_cmp_eq_u32_e32 vcc_lo, 0, v6
	v_cndmask_b32_e32 v6, v7, v70, vcc_lo
; %bb.102:
	s_or_b32 exec_lo, exec_lo, s2
	v_and_b32_e32 v7, 0x7f800000, v71
	s_delay_alu instid0(VALU_DEP_1) | instskip(SKIP_1) | instid1(SALU_CYCLE_1)
	v_cmp_ne_u32_e32 vcc_lo, 0x7f800000, v7
                                        ; implicit-def: $vgpr7
	s_and_saveexec_b32 s2, vcc_lo
	s_xor_b32 s2, exec_lo, s2
; %bb.103:
	v_bfe_u32 v7, v71, 16, 1
	s_delay_alu instid0(VALU_DEP_1)
	v_add3_u32 v7, v71, v7, 0x7fff
; %bb.104:
	s_and_not1_saveexec_b32 s2, s2
; %bb.105:
	v_and_b32_e32 v7, 0xffff, v71
	v_or_b32_e32 v8, 0x10000, v71
	s_delay_alu instid0(VALU_DEP_2) | instskip(NEXT) | instid1(VALU_DEP_2)
	v_cmp_eq_u32_e32 vcc_lo, 0, v7
	v_cndmask_b32_e32 v7, v8, v71, vcc_lo
; %bb.106:
	s_or_b32 exec_lo, exec_lo, s2
	v_and_b32_e32 v8, 0x7f800000, v72
	s_delay_alu instid0(VALU_DEP_1) | instskip(SKIP_1) | instid1(SALU_CYCLE_1)
	v_cmp_ne_u32_e32 vcc_lo, 0x7f800000, v8
                                        ; implicit-def: $vgpr8
	s_and_saveexec_b32 s2, vcc_lo
	s_xor_b32 s2, exec_lo, s2
; %bb.107:
	v_bfe_u32 v8, v72, 16, 1
	s_delay_alu instid0(VALU_DEP_1)
	v_add3_u32 v8, v72, v8, 0x7fff
                                        ; implicit-def: $vgpr65_vgpr66_vgpr67_vgpr68_vgpr69_vgpr70_vgpr71_vgpr72
; %bb.108:
	s_and_not1_saveexec_b32 s2, s2
; %bb.109:
	v_and_b32_e32 v8, 0xffff, v72
	v_or_b32_e32 v9, 0x10000, v72
	s_delay_alu instid0(VALU_DEP_2) | instskip(NEXT) | instid1(VALU_DEP_2)
	v_cmp_eq_u32_e32 vcc_lo, 0, v8
	v_cndmask_b32_e32 v8, v9, v72, vcc_lo
; %bb.110:
	s_or_b32 exec_lo, exec_lo, s2
	s_delay_alu instid0(VALU_DEP_1)
	v_perm_b32 v7, v8, v7, 0x7060302
	v_perm_b32 v6, v6, v5, 0x7060302
	;; [unrolled: 1-line block ×4, first 2 shown]
	s_barrier
	buffer_gl0_inv
	v_cmp_eq_u32_e32 vcc_lo, 1, v79
	ds_store_b128 v77, v[4:7]
	s_waitcnt lgkmcnt(0)
	s_barrier
	buffer_gl0_inv
	ds_load_b128 v[1:4], v82
	ds_load_b128 v[5:8], v82 offset:16
	v_cmp_eq_u32_e64 s2, 1, v80
	v_cmp_eq_u32_e64 s3, 2, v79
	;; [unrolled: 1-line block ×5, first 2 shown]
	s_waitcnt lgkmcnt(1)
	v_lshrrev_b32_e32 v9, 16, v1
	s_waitcnt lgkmcnt(0)
	v_lshrrev_b32_e32 v13, 16, v5
	v_lshrrev_b32_e32 v10, 16, v2
	;; [unrolled: 1-line block ×4, first 2 shown]
	v_cndmask_b32_e64 v19, v1, v9, s2
	v_cndmask_b32_e32 v18, v5, v13, vcc_lo
	v_cndmask_b32_e64 v20, v5, v13, s2
	v_cndmask_b32_e32 v17, v1, v9, vcc_lo
	v_cmp_eq_u32_e32 vcc_lo, 2, v80
	v_lshrrev_b32_e32 v15, 16, v7
	v_cmp_eq_u32_e64 s2, 1, v78
	v_lshrrev_b32_e32 v12, 16, v4
	v_lshrrev_b32_e32 v16, 16, v8
	v_cndmask_b32_e32 v20, v20, v6, vcc_lo
	v_cndmask_b32_e64 v17, v17, v2, s3
	v_cndmask_b32_e32 v19, v19, v2, vcc_lo
	v_cndmask_b32_e64 v18, v18, v6, s3
	v_cmp_eq_u32_e32 vcc_lo, 4, v79
	v_cmp_eq_u32_e64 s3, 3, v80
	v_cndmask_b32_e64 v17, v17, v10, s4
	v_cndmask_b32_e64 v21, v1, v9, s2
	;; [unrolled: 1-line block ×5, first 2 shown]
	v_cndmask_b32_e32 v17, v17, v3, vcc_lo
	v_cndmask_b32_e64 v20, v20, v14, s3
	v_cndmask_b32_e32 v18, v18, v7, vcc_lo
	v_cmp_eq_u32_e32 vcc_lo, 4, v80
	v_cmp_eq_u32_e64 s3, 5, v80
	v_cmp_eq_u32_e64 s2, 2, v81
	v_cndmask_b32_e64 v21, v21, v2, s6
	v_cmp_eq_u32_e64 s4, 5, v79
	v_cndmask_b32_e32 v19, v19, v3, vcc_lo
	v_cndmask_b32_e32 v20, v20, v7, vcc_lo
	v_cmp_eq_u32_e32 vcc_lo, 6, v80
	s_delay_alu instid0(VALU_DEP_4) | instskip(NEXT) | instid1(VALU_DEP_4)
	v_cndmask_b32_e64 v17, v17, v11, s4
	v_cndmask_b32_e64 v19, v19, v11, s3
	s_delay_alu instid0(VALU_DEP_4) | instskip(SKIP_1) | instid1(VALU_DEP_3)
	v_cndmask_b32_e64 v20, v20, v15, s3
	v_cmp_eq_u32_e64 s3, 1, v81
	v_cndmask_b32_e32 v19, v19, v4, vcc_lo
	v_cndmask_b32_e64 v18, v18, v15, s4
	s_delay_alu instid0(VALU_DEP_3)
	v_cndmask_b32_e64 v1, v1, v9, s3
	v_cndmask_b32_e64 v5, v5, v13, s3
	v_cmp_eq_u32_e64 s3, 3, v78
	v_cndmask_b32_e64 v13, v22, v6, s6
	v_cmp_eq_u32_e64 s6, 3, v81
	v_cndmask_b32_e64 v1, v1, v2, s2
	v_cndmask_b32_e64 v2, v5, v6, s2
	;; [unrolled: 1-line block ×3, first 2 shown]
	v_cmp_eq_u32_e64 s2, 4, v78
	v_cndmask_b32_e64 v6, v13, v14, s3
	v_cndmask_b32_e64 v1, v1, v10, s6
	v_cmp_eq_u32_e64 s3, 4, v81
	v_cndmask_b32_e64 v2, v2, v14, s6
	v_cndmask_b32_e64 v5, v9, v3, s2
	;; [unrolled: 3-line block ×3, first 2 shown]
	v_cndmask_b32_e64 v2, v2, v7, s3
	v_cmp_eq_u32_e64 s2, 5, v81
	v_cmp_eq_u32_e64 s4, 6, v79
	v_cndmask_b32_e64 v5, v5, v11, s6
	v_cmp_eq_u32_e64 s3, 6, v78
	v_cndmask_b32_e64 v3, v6, v15, s6
	v_cndmask_b32_e64 v1, v1, v11, s2
	v_cmp_eq_u32_e64 s6, 6, v81
	v_cndmask_b32_e64 v2, v2, v15, s2
	v_cndmask_b32_e64 v17, v17, v4, s4
	v_cndmask_b32_e64 v18, v18, v8, s4
	v_cmp_eq_u32_e64 s4, 7, v79
	v_cndmask_b32_e64 v5, v5, v4, s3
	;; [unrolled: 4-line block ×3, first 2 shown]
	v_cmp_eq_u32_e64 s3, 7, v78
	v_cndmask_b32_e32 v4, v20, v8, vcc_lo
	v_cndmask_b32_e64 v17, v17, v12, s4
	v_cndmask_b32_e64 v19, v19, v12, s5
	;; [unrolled: 1-line block ×8, first 2 shown]
	s_mov_b32 s2, exec_lo
	v_perm_b32 v4, v2, v1, 0x5040100
	v_perm_b32 v3, v3, v5, 0x5040100
	;; [unrolled: 1-line block ×4, first 2 shown]
	ds_store_b128 v77, v[1:4]
	s_waitcnt lgkmcnt(0)
	s_barrier
	buffer_gl0_inv
	v_cmpx_gt_u32_e32 32, v0
	s_cbranch_execz .LBB1837_2
; %bb.111:
	s_load_b64 s[0:1], s[0:1], 0x68
	v_lshlrev_b32_e32 v0, 10, v0
	s_lshl_b32 s4, s34, 7
	v_or_b32_e32 v23, s29, v74
	s_mul_i32 s2, s4, s30
	v_lshlrev_b32_e32 v1, 4, v75
	v_lshlrev_b32_e32 v2, 6, v74
	s_mul_i32 s2, s2, s7
	v_and_b32_e32 v0, 0x3800, v0
	v_mul_lo_u32 v8, v23, s4
	s_ashr_i32 s3, s2, 31
	v_or_b32_e32 v3, 2, v23
	s_lshl_b64 s[2:3], s[2:3], 1
	v_or3_b32 v27, v0, v1, v2
	v_or_b32_e32 v11, 4, v23
	v_or_b32_e32 v18, 6, v23
	v_mul_lo_u32 v10, v3, s4
	v_ashrrev_i32_e32 v9, 31, v8
	ds_load_b128 v[0:3], v27
	ds_load_b128 v[4:7], v27 offset:128
	v_mul_lo_u32 v12, v11, s4
	s_waitcnt lgkmcnt(0)
	s_add_u32 s2, s0, s2
	s_addc_u32 s3, s1, s3
	s_lshl_b32 s0, s14, 7
	v_lshlrev_b64 v[8:9], 1, v[8:9]
	s_ashr_i32 s1, s0, 31
	v_ashrrev_i32_e32 v11, 31, v10
	s_lshl_b64 s[0:1], s[0:1], 1
	v_ashrrev_i32_e32 v13, 31, v12
	s_add_u32 s0, s2, s0
	s_addc_u32 s1, s3, s1
	v_add_co_u32 v30, s0, s0, v73
	s_delay_alu instid0(VALU_DEP_1) | instskip(SKIP_1) | instid1(VALU_DEP_3)
	v_add_co_ci_u32_e64 v31, null, s1, 0, s0
	v_lshlrev_b64 v[16:17], 1, v[10:11]
	v_add_co_u32 v14, vcc_lo, v30, v8
	s_delay_alu instid0(VALU_DEP_3)
	v_add_co_ci_u32_e32 v15, vcc_lo, v31, v9, vcc_lo
	ds_load_b128 v[8:11], v27 offset:256
	v_mul_lo_u32 v18, v18, s4
	v_or_b32_e32 v19, 8, v23
	v_add_co_u32 v16, vcc_lo, v30, v16
	global_store_b128 v[14:15], v[0:3], off
	v_lshlrev_b64 v[0:1], 1, v[12:13]
	v_add_co_ci_u32_e32 v17, vcc_lo, v31, v17, vcc_lo
	v_mul_lo_u32 v12, v19, s4
	v_ashrrev_i32_e32 v19, 31, v18
	v_or_b32_e32 v14, 10, v23
	global_store_b128 v[16:17], v[4:7], off
	v_add_co_u32 v4, vcc_lo, v30, v0
	v_add_co_ci_u32_e32 v5, vcc_lo, v31, v1, vcc_lo
	ds_load_b128 v[0:3], v27 offset:384
	v_ashrrev_i32_e32 v13, 31, v12
	v_lshlrev_b64 v[6:7], 1, v[18:19]
	v_mul_lo_u32 v14, v14, s4
	s_waitcnt lgkmcnt(1)
	global_store_b128 v[4:5], v[8:11], off
	v_or_b32_e32 v8, 12, v23
	v_lshlrev_b64 v[4:5], 1, v[12:13]
	v_add_co_u32 v20, vcc_lo, v30, v6
	v_or_b32_e32 v6, 14, v23
	v_ashrrev_i32_e32 v15, 31, v14
	v_mul_lo_u32 v22, v8, s4
	v_add_co_ci_u32_e32 v21, vcc_lo, v31, v7, vcc_lo
	v_add_co_u32 v24, vcc_lo, v30, v4
	v_mul_lo_u32 v26, v6, s4
	v_add_co_ci_u32_e32 v25, vcc_lo, v31, v5, vcc_lo
	v_lshlrev_b64 v[28:29], 1, v[14:15]
	ds_load_b128 v[4:7], v27 offset:512
	ds_load_b128 v[8:11], v27 offset:640
	;; [unrolled: 1-line block ×4, first 2 shown]
	v_ashrrev_i32_e32 v23, 31, v22
	v_ashrrev_i32_e32 v27, 31, v26
	v_add_co_u32 v28, vcc_lo, v30, v28
	s_delay_alu instid0(VALU_DEP_3) | instskip(SKIP_1) | instid1(VALU_DEP_4)
	v_lshlrev_b64 v[22:23], 1, v[22:23]
	v_add_co_ci_u32_e32 v29, vcc_lo, v31, v29, vcc_lo
	v_lshlrev_b64 v[26:27], 1, v[26:27]
	s_delay_alu instid0(VALU_DEP_3) | instskip(NEXT) | instid1(VALU_DEP_4)
	v_add_co_u32 v22, vcc_lo, v30, v22
	v_add_co_ci_u32_e32 v23, vcc_lo, v31, v23, vcc_lo
	s_delay_alu instid0(VALU_DEP_3) | instskip(NEXT) | instid1(VALU_DEP_4)
	v_add_co_u32 v26, vcc_lo, v30, v26
	v_add_co_ci_u32_e32 v27, vcc_lo, v31, v27, vcc_lo
	s_waitcnt lgkmcnt(4)
	global_store_b128 v[20:21], v[0:3], off
	s_waitcnt lgkmcnt(3)
	global_store_b128 v[24:25], v[4:7], off
	;; [unrolled: 2-line block ×5, first 2 shown]
	s_nop 0
	s_sendmsg sendmsg(MSG_DEALLOC_VGPRS)
	s_endpgm
	.section	.rodata,"a",@progbits
	.p2align	6, 0x0
	.amdhsa_kernel _Z39paged_attention_ll4mi_QKV_mfma16_kernelI14__hip_bfloat16hLN4vllm18Fp8KVCacheDataTypeE1ES0_Li16ELi128ELi256ELb1ELi16EL8MFMAType0EEvPKT_PKT0_S9_ifPKiSB_SB_iPKfiiiPfSE_PS4_PT2_iSD_SD_
		.amdhsa_group_segment_fixed_size 17472
		.amdhsa_private_segment_fixed_size 0
		.amdhsa_kernarg_size 400
		.amdhsa_user_sgpr_count 13
		.amdhsa_user_sgpr_dispatch_ptr 0
		.amdhsa_user_sgpr_queue_ptr 0
		.amdhsa_user_sgpr_kernarg_segment_ptr 1
		.amdhsa_user_sgpr_dispatch_id 0
		.amdhsa_user_sgpr_private_segment_size 0
		.amdhsa_wavefront_size32 1
		.amdhsa_uses_dynamic_stack 0
		.amdhsa_enable_private_segment 0
		.amdhsa_system_sgpr_workgroup_id_x 1
		.amdhsa_system_sgpr_workgroup_id_y 1
		.amdhsa_system_sgpr_workgroup_id_z 1
		.amdhsa_system_sgpr_workgroup_info 0
		.amdhsa_system_vgpr_workitem_id 0
		.amdhsa_next_free_vgpr 141
		.amdhsa_next_free_sgpr 36
		.amdhsa_reserve_vcc 1
		.amdhsa_float_round_mode_32 0
		.amdhsa_float_round_mode_16_64 0
		.amdhsa_float_denorm_mode_32 3
		.amdhsa_float_denorm_mode_16_64 3
		.amdhsa_dx10_clamp 1
		.amdhsa_ieee_mode 1
		.amdhsa_fp16_overflow 0
		.amdhsa_workgroup_processor_mode 1
		.amdhsa_memory_ordered 1
		.amdhsa_forward_progress 0
		.amdhsa_shared_vgpr_count 0
		.amdhsa_exception_fp_ieee_invalid_op 0
		.amdhsa_exception_fp_denorm_src 0
		.amdhsa_exception_fp_ieee_div_zero 0
		.amdhsa_exception_fp_ieee_overflow 0
		.amdhsa_exception_fp_ieee_underflow 0
		.amdhsa_exception_fp_ieee_inexact 0
		.amdhsa_exception_int_div_zero 0
	.end_amdhsa_kernel
	.section	.text._Z39paged_attention_ll4mi_QKV_mfma16_kernelI14__hip_bfloat16hLN4vllm18Fp8KVCacheDataTypeE1ES0_Li16ELi128ELi256ELb1ELi16EL8MFMAType0EEvPKT_PKT0_S9_ifPKiSB_SB_iPKfiiiPfSE_PS4_PT2_iSD_SD_,"axG",@progbits,_Z39paged_attention_ll4mi_QKV_mfma16_kernelI14__hip_bfloat16hLN4vllm18Fp8KVCacheDataTypeE1ES0_Li16ELi128ELi256ELb1ELi16EL8MFMAType0EEvPKT_PKT0_S9_ifPKiSB_SB_iPKfiiiPfSE_PS4_PT2_iSD_SD_,comdat
.Lfunc_end1837:
	.size	_Z39paged_attention_ll4mi_QKV_mfma16_kernelI14__hip_bfloat16hLN4vllm18Fp8KVCacheDataTypeE1ES0_Li16ELi128ELi256ELb1ELi16EL8MFMAType0EEvPKT_PKT0_S9_ifPKiSB_SB_iPKfiiiPfSE_PS4_PT2_iSD_SD_, .Lfunc_end1837-_Z39paged_attention_ll4mi_QKV_mfma16_kernelI14__hip_bfloat16hLN4vllm18Fp8KVCacheDataTypeE1ES0_Li16ELi128ELi256ELb1ELi16EL8MFMAType0EEvPKT_PKT0_S9_ifPKiSB_SB_iPKfiiiPfSE_PS4_PT2_iSD_SD_
                                        ; -- End function
	.section	.AMDGPU.csdata,"",@progbits
; Kernel info:
; codeLenInByte = 9036
; NumSgprs: 38
; NumVgprs: 141
; ScratchSize: 0
; MemoryBound: 0
; FloatMode: 240
; IeeeMode: 1
; LDSByteSize: 17472 bytes/workgroup (compile time only)
; SGPRBlocks: 4
; VGPRBlocks: 17
; NumSGPRsForWavesPerEU: 38
; NumVGPRsForWavesPerEU: 141
; Occupancy: 10
; WaveLimiterHint : 1
; COMPUTE_PGM_RSRC2:SCRATCH_EN: 0
; COMPUTE_PGM_RSRC2:USER_SGPR: 13
; COMPUTE_PGM_RSRC2:TRAP_HANDLER: 0
; COMPUTE_PGM_RSRC2:TGID_X_EN: 1
; COMPUTE_PGM_RSRC2:TGID_Y_EN: 1
; COMPUTE_PGM_RSRC2:TGID_Z_EN: 1
; COMPUTE_PGM_RSRC2:TIDIG_COMP_CNT: 0
	.section	.text._Z39paged_attention_ll4mi_QKV_mfma16_kernelI14__hip_bfloat16hLN4vllm18Fp8KVCacheDataTypeE1ES0_Li16ELi128ELi256ELb1ELi1EL8MFMAType0EEvPKT_PKT0_S9_ifPKiSB_SB_iPKfiiiPfSE_PS4_PT2_iSD_SD_,"axG",@progbits,_Z39paged_attention_ll4mi_QKV_mfma16_kernelI14__hip_bfloat16hLN4vllm18Fp8KVCacheDataTypeE1ES0_Li16ELi128ELi256ELb1ELi1EL8MFMAType0EEvPKT_PKT0_S9_ifPKiSB_SB_iPKfiiiPfSE_PS4_PT2_iSD_SD_,comdat
	.protected	_Z39paged_attention_ll4mi_QKV_mfma16_kernelI14__hip_bfloat16hLN4vllm18Fp8KVCacheDataTypeE1ES0_Li16ELi128ELi256ELb1ELi1EL8MFMAType0EEvPKT_PKT0_S9_ifPKiSB_SB_iPKfiiiPfSE_PS4_PT2_iSD_SD_ ; -- Begin function _Z39paged_attention_ll4mi_QKV_mfma16_kernelI14__hip_bfloat16hLN4vllm18Fp8KVCacheDataTypeE1ES0_Li16ELi128ELi256ELb1ELi1EL8MFMAType0EEvPKT_PKT0_S9_ifPKiSB_SB_iPKfiiiPfSE_PS4_PT2_iSD_SD_
	.globl	_Z39paged_attention_ll4mi_QKV_mfma16_kernelI14__hip_bfloat16hLN4vllm18Fp8KVCacheDataTypeE1ES0_Li16ELi128ELi256ELb1ELi1EL8MFMAType0EEvPKT_PKT0_S9_ifPKiSB_SB_iPKfiiiPfSE_PS4_PT2_iSD_SD_
	.p2align	8
	.type	_Z39paged_attention_ll4mi_QKV_mfma16_kernelI14__hip_bfloat16hLN4vllm18Fp8KVCacheDataTypeE1ES0_Li16ELi128ELi256ELb1ELi1EL8MFMAType0EEvPKT_PKT0_S9_ifPKiSB_SB_iPKfiiiPfSE_PS4_PT2_iSD_SD_,@function
_Z39paged_attention_ll4mi_QKV_mfma16_kernelI14__hip_bfloat16hLN4vllm18Fp8KVCacheDataTypeE1ES0_Li16ELi128ELi256ELb1ELi1EL8MFMAType0EEvPKT_PKT0_S9_ifPKiSB_SB_iPKfiiiPfSE_PS4_PT2_iSD_SD_: ; @_Z39paged_attention_ll4mi_QKV_mfma16_kernelI14__hip_bfloat16hLN4vllm18Fp8KVCacheDataTypeE1ES0_Li16ELi128ELi256ELb1ELi1EL8MFMAType0EEvPKT_PKT0_S9_ifPKiSB_SB_iPKfiiiPfSE_PS4_PT2_iSD_SD_
; %bb.0:
	s_load_b64 s[4:5], s[0:1], 0x30
	s_mov_b32 s34, s13
	s_waitcnt lgkmcnt(0)
	s_cmp_lg_u64 s[4:5], 0
	s_cselect_b32 s6, -1, 0
	s_ashr_i32 s35, s13, 31
	s_cmp_eq_u64 s[4:5], 0
	s_cbranch_scc1 .LBB1838_3
; %bb.1:
	s_lshl_b64 s[2:3], s[34:35], 2
	s_delay_alu instid0(SALU_CYCLE_1) | instskip(SKIP_4) | instid1(SALU_CYCLE_1)
	s_add_u32 s2, s4, s2
	s_addc_u32 s3, s5, s3
	s_load_b64 s[2:3], s[2:3], 0x0
	s_waitcnt lgkmcnt(0)
	s_sub_i32 s2, s3, s2
	s_cmp_eq_u32 s2, 1
	s_cselect_b32 s2, -1, 0
	s_delay_alu instid0(SALU_CYCLE_1)
	s_and_not1_b32 vcc_lo, exec_lo, s2
	s_cbranch_vccz .LBB1838_4
.LBB1838_2:
	s_endpgm
.LBB1838_3:
.LBB1838_4:
	s_load_b64 s[2:3], s[0:1], 0x28
	s_lshl_b64 s[8:9], s[34:35], 2
	s_waitcnt lgkmcnt(0)
	s_add_u32 s2, s2, s8
	s_addc_u32 s3, s3, s9
	s_lshl_b32 s12, s14, 8
	s_load_b32 s33, s[2:3], 0x0
	s_waitcnt lgkmcnt(0)
	s_cmp_ge_i32 s12, s33
	s_cbranch_scc1 .LBB1838_2
; %bb.5:
	s_clause 0x1
	s_load_b128 s[56:59], s[0:1], 0x8
	s_load_b64 s[2:3], s[0:1], 0x20
	s_and_not1_b32 vcc_lo, exec_lo, s6
	s_mov_b64 s[6:7], s[34:35]
	s_cbranch_vccnz .LBB1838_7
; %bb.6:
	s_add_u32 s4, s4, s8
	s_addc_u32 s5, s5, s9
	s_load_b32 s6, s[4:5], 0x0
.LBB1838_7:
	s_load_b128 s[52:55], s[0:1], 0x48
	v_and_b32_e32 v65, 15, v0
	s_mov_b32 s13, exec_lo
                                        ; implicit-def: $sgpr36
                                        ; implicit-def: $sgpr24
                                        ; implicit-def: $sgpr16
                                        ; implicit-def: $sgpr4
	s_delay_alu instid0(VALU_DEP_1)
	v_cmpx_eq_u32_e32 0, v65
	s_cbranch_execz .LBB1838_9
; %bb.8:
	s_load_b64 s[4:5], s[0:1], 0x0
	s_waitcnt lgkmcnt(0)
	s_mul_hi_i32 s7, s6, s52
	s_mul_i32 s6, s6, s52
	s_delay_alu instid0(SALU_CYCLE_1) | instskip(NEXT) | instid1(SALU_CYCLE_1)
	s_lshl_b64 s[6:7], s[6:7], 1
	s_add_u32 s6, s4, s6
	s_addc_u32 s7, s5, s7
	s_lshl_b32 s4, s15, 7
	s_delay_alu instid0(SALU_CYCLE_1) | instskip(NEXT) | instid1(SALU_CYCLE_1)
	s_ashr_i32 s5, s4, 31
	s_lshl_b64 s[4:5], s[4:5], 1
	s_delay_alu instid0(SALU_CYCLE_1)
	s_add_u32 s4, s6, s4
	s_addc_u32 s5, s7, s5
	s_clause 0x3
	s_load_b256 s[36:43], s[4:5], 0x0
	s_load_b256 s[24:31], s[4:5], 0x40
	;; [unrolled: 1-line block ×4, first 2 shown]
.LBB1838_9:
	s_or_b32 exec_lo, exec_lo, s13
	v_and_b32_e32 v1, 0xef, v0
	s_add_i32 s13, s33, 15
	s_load_b32 s44, s[0:1], 0x38
	s_ashr_i32 s35, s13, 31
	s_waitcnt lgkmcnt(0)
	s_mul_i32 s62, s15, s54
	v_add_nc_u32_e32 v1, s12, v1
	s_lshr_b32 s35, s35, 28
	v_dual_mov_b32 v113, s31 :: v_dual_mov_b32 v106, s24
	s_add_i32 s13, s13, s35
	s_delay_alu instid0(VALU_DEP_2)
	v_ashrrev_i32_e32 v2, 31, v1
	v_or_b32_e32 v3, 16, v1
	s_ashr_i32 s13, s13, 4
	v_cmp_gt_i32_e32 vcc_lo, s33, v1
	s_add_i32 s13, s13, -1
	v_lshrrev_b32_e32 v2, 28, v2
	s_load_b32 s35, s[0:1], 0x1c
	v_mov_b32_e32 v111, s29
	v_mov_b32_e32 v109, s27
	s_delay_alu instid0(VALU_DEP_3)
	v_dual_mov_b32 v107, s25 :: v_dual_add_nc_u32 v4, v1, v2
	v_lshlrev_b32_e32 v73, 4, v65
	s_mul_i32 s44, s34, s44
	v_lshrrev_b32_e32 v66, 5, v0
	s_ashr_i32 s45, s44, 31
	v_ashrrev_i32_e32 v4, 4, v4
	v_add_nc_u32_e32 v2, v3, v2
	s_lshl_b64 s[44:45], s[44:45], 2
	v_mov_b32_e32 v112, s30
	s_add_u32 s61, s2, s44
	v_cndmask_b32_e32 v1, s13, v4, vcc_lo
	v_ashrrev_i32_e32 v2, 4, v2
	v_cmp_gt_i32_e32 vcc_lo, s33, v3
	s_addc_u32 s60, s3, s45
	s_ashr_i32 s63, s62, 31
	s_add_u32 s52, s56, s62
	s_addc_u32 s56, s57, s63
	v_cndmask_b32_e32 v3, s13, v2, vcc_lo
	v_ashrrev_i32_e32 v2, 31, v1
	s_lshl_b32 s2, s14, 4
	v_mov_b32_e32 v110, s28
	s_ashr_i32 s3, s2, 31
	v_ashrrev_i32_e32 v4, 31, v3
	v_lshlrev_b64 v[1:2], 2, v[1:2]
	s_lshl_b64 s[2:3], s[2:3], 2
	v_mov_b32_e32 v108, s26
	s_add_u32 s2, s61, s2
	v_lshlrev_b64 v[3:4], 2, v[3:4]
	s_addc_u32 s3, s60, s3
	v_add_co_u32 v1, vcc_lo, s61, v1
	v_add_co_ci_u32_e32 v2, vcc_lo, s60, v2, vcc_lo
	s_delay_alu instid0(VALU_DEP_3) | instskip(NEXT) | instid1(VALU_DEP_4)
	v_add_co_u32 v3, vcc_lo, s61, v3
	v_add_co_ci_u32_e32 v4, vcc_lo, s60, v4, vcc_lo
	s_clause 0x1
	global_load_b32 v5, v[1:2], off
	global_load_b32 v3, v[3:4], off
	s_or_b32 s44, s12, 32
	v_lshlrev_b32_e32 v1, 4, v0
	s_ashr_i32 s45, s44, 4
	s_cmp_lt_i32 s44, s33
	s_cselect_b32 s44, s45, s13
	s_delay_alu instid0(VALU_DEP_1) | instskip(SKIP_1) | instid1(SALU_CYCLE_1)
	v_and_b32_e32 v1, 0xf0, v1
	s_ashr_i32 s45, s44, 31
	s_lshl_b64 s[44:45], s[44:45], 2
	s_delay_alu instid0(SALU_CYCLE_1)
	s_add_u32 s44, s61, s44
	s_addc_u32 s45, s60, s45
	s_or_b32 s46, s12, 64
	v_add_co_u32 v1, s52, s52, v1
	s_ashr_i32 s47, s46, 4
	s_cmp_lt_i32 s46, s33
	v_add_co_ci_u32_e64 v2, null, s56, 0, s52
	s_cselect_b32 s46, s47, s13
	s_delay_alu instid0(SALU_CYCLE_1) | instskip(NEXT) | instid1(SALU_CYCLE_1)
	s_ashr_i32 s47, s46, 31
	s_lshl_b64 s[46:47], s[46:47], 2
	s_delay_alu instid0(SALU_CYCLE_1) | instskip(SKIP_2) | instid1(SALU_CYCLE_1)
	s_add_u32 s46, s61, s46
	s_addc_u32 s47, s60, s47
	s_or_b32 s48, s12, 0x60
	s_ashr_i32 s49, s48, 4
	s_cmp_lt_i32 s48, s33
	s_cselect_b32 s48, s49, s13
	s_delay_alu instid0(SALU_CYCLE_1) | instskip(NEXT) | instid1(SALU_CYCLE_1)
	s_ashr_i32 s49, s48, 31
	s_lshl_b64 s[48:49], s[48:49], 2
	s_delay_alu instid0(SALU_CYCLE_1) | instskip(SKIP_2) | instid1(SALU_CYCLE_1)
	s_add_u32 s48, s61, s48
	s_addc_u32 s49, s60, s49
	s_or_b32 s50, s12, 0x80
	s_ashr_i32 s51, s50, 4
	s_cmp_lt_i32 s50, s33
	;; [unrolled: 10-line block ×3, first 2 shown]
	s_cselect_b32 s54, s55, s13
	s_delay_alu instid0(SALU_CYCLE_1) | instskip(NEXT) | instid1(SALU_CYCLE_1)
	s_ashr_i32 s55, s54, 31
	s_lshl_b64 s[54:55], s[54:55], 2
	s_delay_alu instid0(SALU_CYCLE_1)
	s_add_u32 s64, s61, s54
	s_addc_u32 s65, s60, s55
	s_clause 0x5
	s_load_b32 s56, s[2:3], 0x0
	s_load_b32 s3, s[44:45], 0x0
	;; [unrolled: 1-line block ×6, first 2 shown]
	s_or_b32 s24, s12, 0xc0
	s_mov_b32 s44, 0
	s_ashr_i32 s25, s24, 4
	s_mov_b32 s45, s44
	s_mov_b32 s46, s44
	;; [unrolled: 1-line block ×7, first 2 shown]
	v_dual_mov_b32 v121, s23 :: v_dual_mov_b32 v120, s22
	v_dual_mov_b32 v119, s21 :: v_dual_mov_b32 v118, s20
	;; [unrolled: 1-line block ×4, first 2 shown]
	v_lshl_or_b32 v33, v66, 8, v73
	v_dual_mov_b32 v129, s51 :: v_dual_mov_b32 v128, s50
	v_dual_mov_b32 v127, s49 :: v_dual_mov_b32 v126, s48
	;; [unrolled: 1-line block ×4, first 2 shown]
	s_cmp_lt_i32 s24, s33
	s_cselect_b32 s16, s25, s13
	s_delay_alu instid0(SALU_CYCLE_1) | instskip(NEXT) | instid1(SALU_CYCLE_1)
	s_ashr_i32 s17, s16, 31
	s_lshl_b64 s[16:17], s[16:17], 2
	s_delay_alu instid0(SALU_CYCLE_1) | instskip(SKIP_2) | instid1(SALU_CYCLE_1)
	s_add_u32 s16, s61, s16
	s_addc_u32 s17, s60, s17
	s_or_b32 s18, s12, 0xe0
	s_ashr_i32 s19, s18, 4
	s_cmp_lt_i32 s18, s33
	s_cselect_b32 s18, s19, s13
	s_delay_alu instid0(SALU_CYCLE_1) | instskip(NEXT) | instid1(SALU_CYCLE_1)
	s_ashr_i32 s19, s18, 31
	s_lshl_b64 s[18:19], s[18:19], 2
	s_delay_alu instid0(SALU_CYCLE_1) | instskip(SKIP_4) | instid1(VALU_DEP_1)
	s_add_u32 s18, s61, s18
	s_addc_u32 s19, s60, s19
	s_add_u32 s13, s58, s62
	s_addc_u32 s20, s59, s63
	v_add_co_u32 v67, s13, s13, v33
	v_add_co_ci_u32_e64 v68, null, s20, 0, s13
	s_waitcnt lgkmcnt(0)
	s_delay_alu instid0(VALU_DEP_1)
	v_mad_i64_i32 v[33:34], null, s56, s53, v[67:68]
	v_mad_i64_i32 v[69:70], null, s54, s53, v[67:68]
	;; [unrolled: 1-line block ×5, first 2 shown]
	s_waitcnt vmcnt(1)
	v_mad_i64_i32 v[25:26], null, v5, s53, v[1:2]
	s_waitcnt vmcnt(0)
	v_mad_i64_i32 v[27:28], null, v3, s53, v[1:2]
	s_clause 0xf
	global_load_b128 v[1:4], v[25:26], off
	global_load_b128 v[5:8], v[25:26], off offset:256
	global_load_b128 v[9:12], v[27:28], off
	global_load_b128 v[13:16], v[27:28], off offset:256
	global_load_b128 v[17:20], v[25:26], off offset:512
	;; [unrolled: 1-line block ×13, first 2 shown]
	v_mov_b32_e32 v25, s36
	v_mov_b32_e32 v27, s38
	;; [unrolled: 1-line block ×4, first 2 shown]
	s_clause 0x1
	s_load_b32 s13, s[16:17], 0x0
	s_load_b32 s16, s[18:19], 0x0
	v_mov_b32_e32 v26, s37
	v_mov_b32_e32 v28, s39
	;; [unrolled: 1-line block ×4, first 2 shown]
	s_clause 0x5
	global_load_b128 v[49:52], v[33:34], off
	global_load_b128 v[53:56], v[33:34], off offset:16
	global_load_b128 v[41:44], v[35:36], off
	global_load_b128 v[45:48], v[35:36], off offset:16
	;; [unrolled: 2-line block ×3, first 2 shown]
	s_waitcnt vmcnt(20)
	v_wmma_f32_16x16x16_bf16 v[130:137], v[1:8], v[25:32], v[122:129]
	s_waitcnt vmcnt(18)
	v_wmma_f32_16x16x16_bf16 v[122:129], v[9:16], v[25:32], v[122:129]
	v_mad_i64_i32 v[13:14], null, s2, s53, v[67:68]
	s_waitcnt vmcnt(16)
	v_wmma_f32_16x16x16_bf16 v[130:137], v[17:24], v[106:113], v[130:137]
	s_waitcnt lgkmcnt(0)
	v_mad_i64_i32 v[21:22], null, s13, s53, v[67:68]
	s_clause 0x1
	global_load_b128 v[25:28], v[69:70], off
	global_load_b128 v[29:32], v[69:70], off offset:16
	v_mad_i64_i32 v[69:70], null, s16, s53, v[67:68]
	s_waitcnt vmcnt(16)
	v_wmma_f32_16x16x16_bf16 v[122:129], v[57:64], v[106:113], v[122:129]
	s_clause 0x7
	global_load_b128 v[1:4], v[71:72], off
	global_load_b128 v[5:8], v[71:72], off offset:16
	global_load_b128 v[9:12], v[13:14], off
	global_load_b128 v[13:16], v[13:14], off offset:16
	;; [unrolled: 2-line block ×4, first 2 shown]
	v_mbcnt_lo_u32_b32 v68, -1, 0
	s_waitcnt vmcnt(22)
	v_wmma_f32_16x16x16_bf16 v[130:137], v[74:81], v[114:121], v[130:137]
	s_waitcnt vmcnt(20)
	v_wmma_f32_16x16x16_bf16 v[122:129], v[82:89], v[114:121], v[122:129]
	v_dual_mov_b32 v82, s11 :: v_dual_mov_b32 v81, s10
	v_xor_b32_e32 v69, 16, v68
	v_dual_mov_b32 v80, s9 :: v_dual_mov_b32 v79, s8
	v_dual_mov_b32 v78, s7 :: v_dual_mov_b32 v77, s6
	;; [unrolled: 1-line block ×3, first 2 shown]
	s_delay_alu instid0(VALU_DEP_4) | instskip(SKIP_4) | instid1(VALU_DEP_3)
	v_cmp_gt_i32_e32 vcc_lo, 32, v69
	v_and_b32_e32 v67, 0xe0, v0
	v_bfe_u32 v74, v0, 4, 1
	s_waitcnt vmcnt(0)
	v_wmma_f32_16x16x16_bf16 v[130:137], v[90:97], v[75:82], v[130:137]
	v_dual_cndmask_b32 v68, v68, v69 :: v_dual_add_nc_u32 v67, s12, v67
	s_barrier
	buffer_gl0_inv
	v_mul_f32_e32 v92, s35, v131
	v_wmma_f32_16x16x16_bf16 v[122:129], v[98:105], v[75:82], v[122:129]
	v_mul_f32_e32 v78, s35, v136
	v_or_b32_e32 v67, v67, v74
	v_mul_f32_e32 v93, s35, v130
	v_dual_mul_f32 v81, s35, v133 :: v_dual_mul_f32 v82, s35, v132
	v_dual_mul_f32 v79, s35, v135 :: v_dual_mul_f32 v98, s35, v125
	s_delay_alu instid0(VALU_DEP_4)
	v_or_b32_e32 v69, 2, v67
	v_or_b32_e32 v70, 4, v67
	;; [unrolled: 1-line block ×3, first 2 shown]
	v_cmp_gt_i32_e64 s2, s33, v67
	v_or_b32_e32 v72, 8, v67
	v_cmp_gt_i32_e32 vcc_lo, s33, v69
	v_or_b32_e32 v83, 10, v67
	v_cmp_gt_i32_e64 s3, s33, v70
	v_cndmask_b32_e64 v93, 0xff7fffff, v93, s2
	v_cmp_gt_i32_e64 s4, s33, v71
	v_cndmask_b32_e32 v92, 0xff7fffff, v92, vcc_lo
	v_or_b32_e32 v84, 12, v67
	v_or_b32_e32 v85, 14, v67
	v_mul_f32_e32 v80, s35, v134
	v_cndmask_b32_e64 v70, 0xff7fffff, v82, s3
	v_cndmask_b32_e64 v71, 0xff7fffff, v81, s4
	v_max3_f32 v81, v93, 0xff7fffff, v92
	v_cmp_gt_i32_e64 s5, s33, v72
	v_cmp_gt_i32_e64 s6, s33, v83
	v_or_b32_e32 v86, 16, v67
	v_or_b32_e32 v87, 18, v67
	v_dual_mul_f32 v77, s35, v137 :: v_dual_mul_f32 v96, s35, v127
	v_cndmask_b32_e64 v72, 0xff7fffff, v80, s5
	v_cndmask_b32_e64 v79, 0xff7fffff, v79, s6
	v_max3_f32 v70, v81, v70, v71
	v_cmp_gt_i32_e64 s7, s33, v84
	v_cmp_gt_i32_e64 s8, s33, v85
	v_or_b32_e32 v88, 20, v67
	v_or_b32_e32 v89, 22, v67
	;; [unrolled: 1-line block ×6, first 2 shown]
	v_mul_f32_e32 v69, s35, v123
	v_mul_f32_e32 v67, s35, v122
	v_cndmask_b32_e64 v71, 0xff7fffff, v78, s7
	v_cndmask_b32_e64 v77, 0xff7fffff, v77, s8
	v_max3_f32 v70, v70, v72, v79
	v_cmp_gt_i32_e64 s9, s33, v86
	v_cmp_gt_i32_e64 s10, s33, v87
	v_mul_f32_e32 v99, s35, v124
	v_cmp_gt_i32_e64 s11, s33, v88
	v_max3_f32 v70, v70, v71, v77
	v_cndmask_b32_e64 v67, 0xff7fffff, v67, s9
	v_cndmask_b32_e64 v69, 0xff7fffff, v69, s10
	v_cmp_gt_i32_e64 s12, s33, v89
	v_mul_f32_e32 v97, s35, v126
	v_cndmask_b32_e64 v71, 0xff7fffff, v99, s11
	v_cmp_gt_i32_e64 s13, s33, v90
	v_max3_f32 v67, v70, v67, v69
	v_cndmask_b32_e64 v72, 0xff7fffff, v98, s12
	v_cmp_gt_i32_e64 s16, s33, v91
	v_dual_mul_f32 v94, s35, v129 :: v_dual_mul_f32 v95, s35, v128
	v_cndmask_b32_e64 v69, 0xff7fffff, v97, s13
	s_delay_alu instid0(VALU_DEP_4) | instskip(NEXT) | instid1(VALU_DEP_4)
	v_max3_f32 v67, v67, v71, v72
	v_cndmask_b32_e64 v70, 0xff7fffff, v96, s16
	v_cmp_gt_i32_e64 s17, s33, v75
	v_cmp_gt_i32_e64 s18, s33, v76
	v_lshlrev_b32_e32 v81, 2, v68
	s_delay_alu instid0(VALU_DEP_4) | instskip(NEXT) | instid1(VALU_DEP_4)
	v_max3_f32 v67, v67, v69, v70
	v_cndmask_b32_e64 v71, 0xff7fffff, v95, s17
	s_delay_alu instid0(VALU_DEP_4) | instskip(NEXT) | instid1(VALU_DEP_1)
	v_cndmask_b32_e64 v72, 0xff7fffff, v94, s18
	v_max3_f32 v67, v67, v71, v72
	ds_bpermute_b32 v68, v81, v67
	s_waitcnt lgkmcnt(0)
	v_max_f32_e32 v68, v68, v68
	s_delay_alu instid0(VALU_DEP_1) | instskip(NEXT) | instid1(VALU_DEP_1)
	v_max_f32_e32 v67, v67, v68
	v_fma_f32 v68, s35, v130, -v67
	v_fma_f32 v69, s35, v131, -v67
	;; [unrolled: 1-line block ×5, first 2 shown]
	s_delay_alu instid0(VALU_DEP_4) | instskip(NEXT) | instid1(VALU_DEP_3)
	v_dual_mul_f32 v68, 0x3fb8aa3b, v68 :: v_dual_mul_f32 v69, 0x3fb8aa3b, v69
	v_dual_mul_f32 v70, 0x3fb8aa3b, v70 :: v_dual_mul_f32 v71, 0x3fb8aa3b, v71
	s_delay_alu instid0(VALU_DEP_3) | instskip(NEXT) | instid1(VALU_DEP_3)
	v_mul_f32_e32 v72, 0x3fb8aa3b, v72
	v_exp_f32_e32 v68, v68
	s_delay_alu instid0(VALU_DEP_3) | instskip(NEXT) | instid1(VALU_DEP_2)
	v_exp_f32_e32 v69, v69
	v_exp_f32_e32 v70, v70
	;; [unrolled: 1-line block ×3, first 2 shown]
	v_fma_f32 v76, s35, v136, -v67
	v_exp_f32_e32 v72, v72
	s_delay_alu instid0(VALU_DEP_1) | instskip(SKIP_3) | instid1(TRANS32_DEP_3)
	v_mul_f32_e32 v76, 0x3fb8aa3b, v76
	v_cndmask_b32_e64 v79, 0, v68, s2
	v_fma_f32 v68, s35, v135, -v67
	v_cndmask_b32_e32 v75, 0, v69, vcc_lo
	v_cndmask_b32_e64 v82, 0, v70, s3
	s_delay_alu instid0(TRANS32_DEP_2) | instskip(NEXT) | instid1(VALU_DEP_4)
	v_cndmask_b32_e64 v84, 0, v71, s4
	v_dual_add_f32 v69, 0, v79 :: v_dual_mul_f32 v68, 0x3fb8aa3b, v68
	v_exp_f32_e32 v76, v76
	s_delay_alu instid0(TRANS32_DEP_2) | instskip(SKIP_1) | instid1(VALU_DEP_2)
	v_cndmask_b32_e64 v85, 0, v72, s5
	s_mov_b32 s3, exec_lo
	v_add_f32_e32 v69, v69, v75
	v_exp_f32_e32 v68, v68
	s_delay_alu instid0(VALU_DEP_1) | instskip(SKIP_4) | instid1(VALU_DEP_2)
	v_add_f32_e32 v69, v69, v82
	s_waitcnt_depctr 0xfff
	v_cndmask_b32_e64 v83, 0, v76, s7
	v_add_f32_e32 v69, v69, v84
	v_cndmask_b32_e64 v86, 0, v68, s6
	v_add_f32_e32 v68, v69, v85
	s_delay_alu instid0(VALU_DEP_1) | instskip(NEXT) | instid1(VALU_DEP_1)
	v_add_f32_e32 v68, v68, v86
	v_add_f32_e32 v68, v68, v83
	v_fma_f32 v72, s35, v123, -v67
	v_fma_f32 v70, s35, v137, -v67
	;; [unrolled: 1-line block ×5, first 2 shown]
	v_mul_f32_e32 v72, 0x3fb8aa3b, v72
	s_delay_alu instid0(VALU_DEP_4) | instskip(SKIP_1) | instid1(VALU_DEP_4)
	v_dual_mul_f32 v70, 0x3fb8aa3b, v70 :: v_dual_mul_f32 v69, 0x3fb8aa3b, v69
	v_fma_f32 v77, s35, v126, -v67
	v_mul_f32_e32 v76, 0x3fb8aa3b, v76
	s_delay_alu instid0(VALU_DEP_4) | instskip(NEXT) | instid1(VALU_DEP_3)
	v_exp_f32_e32 v72, v72
	v_exp_f32_e32 v70, v70
	;; [unrolled: 1-line block ×3, first 2 shown]
	v_fma_f32 v88, s35, v129, -v67
	v_exp_f32_e32 v76, v76
	s_delay_alu instid0(VALU_DEP_1) | instskip(SKIP_2) | instid1(TRANS32_DEP_3)
	v_mul_f32_e32 v88, 0x3fb8aa3b, v88
	v_cndmask_b32_e64 v69, 0, v72, s10
	v_mul_f32_e32 v71, 0x3fb8aa3b, v71
	v_cndmask_b32_e64 v87, 0, v70, s8
	v_fma_f32 v72, s35, v128, -v67
	s_delay_alu instid0(VALU_DEP_3) | instskip(NEXT) | instid1(VALU_DEP_2)
	v_exp_f32_e32 v71, v71
	v_add_f32_e32 v68, v68, v87
	s_waitcnt_depctr 0xfff
	v_cndmask_b32_e64 v70, 0, v71, s9
	v_fma_f32 v71, s35, v127, -v67
	s_delay_alu instid0(VALU_DEP_2) | instskip(NEXT) | instid1(VALU_DEP_2)
	v_add_f32_e32 v68, v68, v70
	v_mul_f32_e32 v80, 0x3fb8aa3b, v71
	v_cndmask_b32_e64 v71, 0, v78, s11
	v_mul_f32_e32 v78, 0x3fb8aa3b, v72
	v_cndmask_b32_e64 v72, 0, v76, s12
	v_add_f32_e32 v68, v68, v69
	v_exp_f32_e32 v80, v80
	s_delay_alu instid0(VALU_DEP_3) | instskip(NEXT) | instid1(VALU_DEP_1)
	v_exp_f32_e32 v78, v78
	v_dual_add_f32 v68, v68, v71 :: v_dual_mul_f32 v77, 0x3fb8aa3b, v77
	s_delay_alu instid0(VALU_DEP_1) | instskip(NEXT) | instid1(VALU_DEP_2)
	v_add_f32_e32 v68, v68, v72
	v_exp_f32_e32 v77, v77
	s_waitcnt_depctr 0xfff
	v_cndmask_b32_e64 v78, 0, v78, s17
	v_cndmask_b32_e64 v76, 0, v77, s13
	;; [unrolled: 1-line block ×3, first 2 shown]
	v_exp_f32_e32 v80, v88
	v_and_b32_e32 v88, 31, v0
	s_delay_alu instid0(VALU_DEP_3) | instskip(NEXT) | instid1(VALU_DEP_2)
	v_add_f32_e32 v68, v68, v76
	v_cmp_lt_u32_e64 s2, 15, v88
	s_delay_alu instid0(VALU_DEP_2) | instskip(SKIP_3) | instid1(VALU_DEP_1)
	v_add_f32_e32 v68, v68, v77
	s_waitcnt_depctr 0xfff
	v_cndmask_b32_e64 v80, 0, v80, s18
	v_add_f32_e32 v68, v68, v78
	v_add_f32_e32 v68, v68, v80
	ds_bpermute_b32 v81, v81, v68
	v_cmpx_gt_u32_e32 16, v88
	s_cbranch_execz .LBB1838_11
; %bb.10:
	v_mul_u32_u24_e32 v88, 0x44, v66
	s_delay_alu instid0(VALU_DEP_1) | instskip(SKIP_1) | instid1(VALU_DEP_1)
	v_lshl_add_u32 v88, v65, 2, v88
	s_waitcnt lgkmcnt(0)
	v_dual_add_f32 v68, v68, v81 :: v_dual_add_nc_u32 v81, 0x4000, v88
	ds_store_2addr_b32 v81, v67, v68 offset1:136
.LBB1838_11:
	s_or_b32 exec_lo, exec_lo, s3
	v_lshlrev_b32_e32 v67, 2, v65
	s_waitcnt lgkmcnt(0)
	s_barrier
	buffer_gl0_inv
	v_cmp_eq_u32_e32 vcc_lo, 1, v66
	v_add_nc_u32_e32 v81, 0x4000, v67
	v_cmp_eq_u32_e64 s3, 2, v66
	v_cmp_eq_u32_e64 s5, 7, v66
	ds_load_2addr_b32 v[88:89], v81 offset1:17
	ds_load_2addr_b32 v[90:91], v81 offset0:34 offset1:51
	ds_load_2addr_b32 v[92:93], v81 offset0:68 offset1:85
	;; [unrolled: 1-line block ×4, first 2 shown]
	s_waitcnt lgkmcnt(4)
	v_max3_f32 v67, v88, 0xff7fffff, v89
	s_waitcnt lgkmcnt(3)
	s_delay_alu instid0(VALU_DEP_1) | instskip(SKIP_1) | instid1(VALU_DEP_1)
	v_max3_f32 v67, v67, v90, v91
	s_waitcnt lgkmcnt(2)
	v_max3_f32 v67, v67, v92, v93
	s_waitcnt lgkmcnt(1)
	s_delay_alu instid0(VALU_DEP_1) | instskip(NEXT) | instid1(VALU_DEP_1)
	v_max3_f32 v67, v67, v94, v95
	v_sub_f32_e32 v68, v88, v67
	v_sub_f32_e32 v90, v90, v67
	;; [unrolled: 1-line block ×3, first 2 shown]
	s_delay_alu instid0(VALU_DEP_3) | instskip(NEXT) | instid1(VALU_DEP_3)
	v_mul_f32_e32 v68, 0x3fb8aa3b, v68
	v_mul_f32_e32 v100, 0x3fb8aa3b, v90
	s_delay_alu instid0(VALU_DEP_3) | instskip(NEXT) | instid1(VALU_DEP_3)
	v_mul_f32_e32 v102, 0x3fb8aa3b, v92
	v_exp_f32_e32 v99, v68
	v_sub_f32_e32 v68, v91, v67
	v_sub_f32_e32 v98, v89, v67
	v_exp_f32_e32 v100, v100
	s_delay_alu instid0(VALU_DEP_1)
	v_dual_mul_f32 v101, 0x3fb8aa3b, v68 :: v_dual_mul_f32 v98, 0x3fb8aa3b, v98
	s_waitcnt lgkmcnt(0)
	s_waitcnt_depctr 0xfff
	v_fma_f32 v68, v99, v96, 0
	v_sub_f32_e32 v96, v93, v67
	v_exp_f32_e32 v98, v98
	v_exp_f32_e32 v101, v101
	s_waitcnt_depctr 0xfff
	v_fmac_f32_e32 v68, v98, v97
	ds_load_2addr_b32 v[88:89], v81 offset0:170 offset1:187
	ds_load_2addr_b32 v[90:91], v81 offset0:204 offset1:221
	ds_load_2addr_b32 v[92:93], v81 offset0:238 offset1:255
	v_dual_sub_f32 v81, v94, v67 :: v_dual_mul_f32 v94, 0x3fb8aa3b, v96
	v_exp_f32_e32 v96, v102
	s_waitcnt lgkmcnt(0)
	s_barrier
	s_delay_alu instid0(VALU_DEP_1)
	v_mul_f32_e32 v81, 0x3fb8aa3b, v81
	v_exp_f32_e32 v94, v94
	buffer_gl0_inv
	v_exp_f32_e32 v81, v81
	v_fmac_f32_e32 v68, v100, v88
	v_sub_f32_e32 v88, v95, v67
	s_delay_alu instid0(VALU_DEP_2) | instskip(NEXT) | instid1(VALU_DEP_2)
	v_fmac_f32_e32 v68, v101, v89
	v_mul_f32_e32 v88, 0x3fb8aa3b, v88
	s_delay_alu instid0(VALU_DEP_2) | instskip(NEXT) | instid1(VALU_DEP_2)
	v_fmac_f32_e32 v68, v96, v90
	v_exp_f32_e32 v88, v88
	s_delay_alu instid0(VALU_DEP_1)
	v_fmac_f32_e32 v68, v94, v91
	s_delay_alu instid0(TRANS32_DEP_2) | instid1(VALU_DEP_1)
	v_fmac_f32_e32 v68, v81, v92
	s_waitcnt_depctr 0xfff
	v_fmac_f32_e32 v68, v88, v93
	s_delay_alu instid0(VALU_DEP_1) | instskip(NEXT) | instid1(VALU_DEP_1)
	v_add_f32_e32 v89, 0x358637bd, v68
	v_div_scale_f32 v90, null, v89, v89, 1.0
	v_div_scale_f32 v93, s4, 1.0, v89, 1.0
	s_delay_alu instid0(VALU_DEP_2) | instskip(SKIP_2) | instid1(VALU_DEP_1)
	v_rcp_f32_e32 v91, v90
	s_waitcnt_depctr 0xfff
	v_fma_f32 v92, -v90, v91, 1.0
	v_dual_fmac_f32 v91, v92, v91 :: v_dual_cndmask_b32 v92, v99, v98
	v_cmp_eq_u32_e32 vcc_lo, 3, v66
	s_delay_alu instid0(VALU_DEP_2) | instskip(NEXT) | instid1(VALU_DEP_3)
	v_mul_f32_e32 v95, v93, v91
	v_cndmask_b32_e64 v92, v92, v100, s3
	v_cmp_eq_u32_e64 s3, 4, v66
	s_delay_alu instid0(VALU_DEP_3) | instskip(NEXT) | instid1(VALU_DEP_3)
	v_fma_f32 v97, -v90, v95, v93
	v_cndmask_b32_e32 v92, v92, v101, vcc_lo
	v_cmp_eq_u32_e32 vcc_lo, 5, v66
	s_delay_alu instid0(VALU_DEP_3) | instskip(NEXT) | instid1(VALU_DEP_3)
	v_fmac_f32_e32 v95, v97, v91
	v_cndmask_b32_e64 v92, v92, v96, s3
	v_cmp_eq_u32_e64 s3, 6, v66
	s_delay_alu instid0(VALU_DEP_3) | instskip(NEXT) | instid1(VALU_DEP_3)
	v_fma_f32 v90, -v90, v95, v93
	v_cndmask_b32_e32 v92, v92, v94, vcc_lo
	s_mov_b32 vcc_lo, s4
	s_delay_alu instid0(VALU_DEP_2) | instskip(NEXT) | instid1(VALU_DEP_2)
	v_div_fmas_f32 v90, v90, v91, v95
	v_cndmask_b32_e64 v81, v92, v81, s3
	s_mov_b32 s3, exec_lo
	s_delay_alu instid0(VALU_DEP_2) | instskip(NEXT) | instid1(VALU_DEP_2)
	v_div_fixup_f32 v89, v90, v89, 1.0
	v_cndmask_b32_e64 v81, v81, v88, s5
	s_delay_alu instid0(VALU_DEP_1) | instskip(NEXT) | instid1(VALU_DEP_1)
	v_mul_f32_e32 v81, v81, v89
	v_mul_f32_e32 v83, v81, v83
	v_mul_f32_e32 v89, v81, v79
	v_mul_f32_e32 v79, v81, v87
	v_mul_f32_e32 v86, v81, v86
	v_mul_f32_e32 v87, v81, v85
	v_mul_f32_e32 v88, v81, v84
	v_dual_mul_f32 v85, v81, v82 :: v_dual_and_b32 v90, 0x7f800000, v89
	v_mul_f32_e32 v84, v81, v75
                                        ; implicit-def: $vgpr75
	s_delay_alu instid0(VALU_DEP_2)
	v_cmpx_ne_u32_e32 0x7f800000, v90
	s_xor_b32 s3, exec_lo, s3
; %bb.12:
	v_bfe_u32 v75, v89, 16, 1
	s_delay_alu instid0(VALU_DEP_1)
	v_add3_u32 v75, v89, v75, 0x7fff
                                        ; implicit-def: $vgpr89
; %bb.13:
	s_and_not1_saveexec_b32 s3, s3
; %bb.14:
	v_and_b32_e32 v75, 0xffff, v89
	v_or_b32_e32 v82, 0x10000, v89
	s_delay_alu instid0(VALU_DEP_2) | instskip(NEXT) | instid1(VALU_DEP_2)
	v_cmp_eq_u32_e32 vcc_lo, 0, v75
	v_cndmask_b32_e32 v75, v82, v89, vcc_lo
; %bb.15:
	s_or_b32 exec_lo, exec_lo, s3
	v_and_b32_e32 v82, 0x7f800000, v84
	s_delay_alu instid0(VALU_DEP_1) | instskip(SKIP_1) | instid1(SALU_CYCLE_1)
	v_cmp_ne_u32_e32 vcc_lo, 0x7f800000, v82
                                        ; implicit-def: $vgpr82
	s_and_saveexec_b32 s3, vcc_lo
	s_xor_b32 s3, exec_lo, s3
; %bb.16:
	v_bfe_u32 v82, v84, 16, 1
	s_delay_alu instid0(VALU_DEP_1)
	v_add3_u32 v82, v84, v82, 0x7fff
                                        ; implicit-def: $vgpr84
; %bb.17:
	s_and_not1_saveexec_b32 s3, s3
; %bb.18:
	v_and_b32_e32 v82, 0xffff, v84
	v_or_b32_e32 v89, 0x10000, v84
	s_delay_alu instid0(VALU_DEP_2) | instskip(NEXT) | instid1(VALU_DEP_2)
	v_cmp_eq_u32_e32 vcc_lo, 0, v82
	v_cndmask_b32_e32 v82, v89, v84, vcc_lo
; %bb.19:
	s_or_b32 exec_lo, exec_lo, s3
	v_and_b32_e32 v84, 0x7f800000, v85
	s_delay_alu instid0(VALU_DEP_1) | instskip(SKIP_1) | instid1(SALU_CYCLE_1)
	v_cmp_ne_u32_e32 vcc_lo, 0x7f800000, v84
                                        ; implicit-def: $vgpr84
	s_and_saveexec_b32 s3, vcc_lo
	s_xor_b32 s3, exec_lo, s3
; %bb.20:
	v_bfe_u32 v84, v85, 16, 1
	s_delay_alu instid0(VALU_DEP_1)
	v_add3_u32 v84, v85, v84, 0x7fff
                                        ; implicit-def: $vgpr85
; %bb.21:
	s_and_not1_saveexec_b32 s3, s3
; %bb.22:
	v_and_b32_e32 v84, 0xffff, v85
	v_or_b32_e32 v89, 0x10000, v85
	s_delay_alu instid0(VALU_DEP_2) | instskip(NEXT) | instid1(VALU_DEP_2)
	v_cmp_eq_u32_e32 vcc_lo, 0, v84
	v_cndmask_b32_e32 v84, v89, v85, vcc_lo
; %bb.23:
	s_or_b32 exec_lo, exec_lo, s3
	v_and_b32_e32 v85, 0x7f800000, v88
	s_delay_alu instid0(VALU_DEP_1) | instskip(SKIP_1) | instid1(SALU_CYCLE_1)
	v_cmp_ne_u32_e32 vcc_lo, 0x7f800000, v85
                                        ; implicit-def: $vgpr85
	s_and_saveexec_b32 s3, vcc_lo
	s_xor_b32 s3, exec_lo, s3
; %bb.24:
	v_bfe_u32 v85, v88, 16, 1
	s_delay_alu instid0(VALU_DEP_1)
	v_add3_u32 v85, v88, v85, 0x7fff
                                        ; implicit-def: $vgpr88
; %bb.25:
	s_and_not1_saveexec_b32 s3, s3
; %bb.26:
	v_and_b32_e32 v85, 0xffff, v88
	v_or_b32_e32 v89, 0x10000, v88
	s_delay_alu instid0(VALU_DEP_2) | instskip(NEXT) | instid1(VALU_DEP_2)
	v_cmp_eq_u32_e32 vcc_lo, 0, v85
	v_cndmask_b32_e32 v85, v89, v88, vcc_lo
; %bb.27:
	s_or_b32 exec_lo, exec_lo, s3
	v_and_b32_e32 v88, 0x7f800000, v87
	s_delay_alu instid0(VALU_DEP_1) | instskip(SKIP_1) | instid1(SALU_CYCLE_1)
	v_cmp_ne_u32_e32 vcc_lo, 0x7f800000, v88
                                        ; implicit-def: $vgpr88
	s_and_saveexec_b32 s3, vcc_lo
	s_xor_b32 s3, exec_lo, s3
; %bb.28:
	v_bfe_u32 v88, v87, 16, 1
	s_delay_alu instid0(VALU_DEP_1)
	v_add3_u32 v88, v87, v88, 0x7fff
                                        ; implicit-def: $vgpr87
; %bb.29:
	s_and_not1_saveexec_b32 s3, s3
; %bb.30:
	v_and_b32_e32 v88, 0xffff, v87
	v_or_b32_e32 v89, 0x10000, v87
	s_delay_alu instid0(VALU_DEP_2) | instskip(NEXT) | instid1(VALU_DEP_2)
	v_cmp_eq_u32_e32 vcc_lo, 0, v88
	v_cndmask_b32_e32 v88, v89, v87, vcc_lo
; %bb.31:
	s_or_b32 exec_lo, exec_lo, s3
	v_and_b32_e32 v87, 0x7f800000, v86
	s_delay_alu instid0(VALU_DEP_1) | instskip(SKIP_1) | instid1(SALU_CYCLE_1)
	v_cmp_ne_u32_e32 vcc_lo, 0x7f800000, v87
                                        ; implicit-def: $vgpr87
	s_and_saveexec_b32 s3, vcc_lo
	s_xor_b32 s3, exec_lo, s3
; %bb.32:
	v_bfe_u32 v87, v86, 16, 1
	s_delay_alu instid0(VALU_DEP_1)
	v_add3_u32 v87, v86, v87, 0x7fff
                                        ; implicit-def: $vgpr86
; %bb.33:
	s_and_not1_saveexec_b32 s3, s3
; %bb.34:
	v_and_b32_e32 v87, 0xffff, v86
	v_or_b32_e32 v89, 0x10000, v86
	s_delay_alu instid0(VALU_DEP_2) | instskip(NEXT) | instid1(VALU_DEP_2)
	v_cmp_eq_u32_e32 vcc_lo, 0, v87
	v_cndmask_b32_e32 v87, v89, v86, vcc_lo
; %bb.35:
	s_or_b32 exec_lo, exec_lo, s3
	v_and_b32_e32 v86, 0x7f800000, v83
	s_delay_alu instid0(VALU_DEP_1) | instskip(SKIP_1) | instid1(SALU_CYCLE_1)
	v_cmp_ne_u32_e32 vcc_lo, 0x7f800000, v86
                                        ; implicit-def: $vgpr86
	s_and_saveexec_b32 s3, vcc_lo
	s_xor_b32 s3, exec_lo, s3
; %bb.36:
	v_bfe_u32 v86, v83, 16, 1
	s_delay_alu instid0(VALU_DEP_1)
	v_add3_u32 v86, v83, v86, 0x7fff
                                        ; implicit-def: $vgpr83
; %bb.37:
	s_and_not1_saveexec_b32 s3, s3
; %bb.38:
	v_and_b32_e32 v86, 0xffff, v83
	v_or_b32_e32 v89, 0x10000, v83
	s_delay_alu instid0(VALU_DEP_2) | instskip(NEXT) | instid1(VALU_DEP_2)
	v_cmp_eq_u32_e32 vcc_lo, 0, v86
	v_cndmask_b32_e32 v86, v89, v83, vcc_lo
; %bb.39:
	s_or_b32 exec_lo, exec_lo, s3
	v_and_b32_e32 v83, 0x7f800000, v79
	s_delay_alu instid0(VALU_DEP_1) | instskip(SKIP_1) | instid1(SALU_CYCLE_1)
	v_cmp_ne_u32_e32 vcc_lo, 0x7f800000, v83
                                        ; implicit-def: $vgpr83
	s_and_saveexec_b32 s3, vcc_lo
	s_xor_b32 s3, exec_lo, s3
; %bb.40:
	v_bfe_u32 v83, v79, 16, 1
	s_delay_alu instid0(VALU_DEP_1)
	v_add3_u32 v83, v79, v83, 0x7fff
                                        ; implicit-def: $vgpr79
; %bb.41:
	s_and_not1_saveexec_b32 s3, s3
; %bb.42:
	v_and_b32_e32 v83, 0xffff, v79
	v_or_b32_e32 v89, 0x10000, v79
	s_delay_alu instid0(VALU_DEP_2) | instskip(NEXT) | instid1(VALU_DEP_2)
	v_cmp_eq_u32_e32 vcc_lo, 0, v83
	v_cndmask_b32_e32 v83, v89, v79, vcc_lo
; %bb.43:
	s_or_b32 exec_lo, exec_lo, s3
	s_load_b64 s[36:37], s[0:1], 0x94
	v_lshlrev_b32_e32 v90, 4, v74
	s_delay_alu instid0(VALU_DEP_2)
	v_perm_b32 v89, v83, v86, 0x7060302
	v_lshlrev_b32_e32 v79, 6, v65
	v_dual_mul_f32 v76, v81, v76 :: v_dual_lshlrev_b32 v65, 11, v66
	v_perm_b32 v86, v82, v75, 0x7060302
	v_mul_f32_e32 v82, v81, v70
	v_perm_b32 v88, v87, v88, 0x7060302
	v_perm_b32 v87, v85, v84, 0x7060302
	v_or3_b32 v75, v90, v65, v79
	v_mul_f32_e32 v65, v81, v80
	v_mul_f32_e32 v70, v81, v78
	;; [unrolled: 1-line block ×3, first 2 shown]
	v_dual_mul_f32 v80, v81, v72 :: v_dual_and_b32 v83, 0x7f800000, v82
	v_mul_f32_e32 v78, v81, v71
	v_mul_f32_e32 v72, v81, v69
	s_mov_b32 s3, exec_lo
	ds_store_b128 v75, v[86:89]
                                        ; implicit-def: $vgpr69
	v_cmpx_ne_u32_e32 0x7f800000, v83
	s_xor_b32 s3, exec_lo, s3
; %bb.44:
	v_bfe_u32 v69, v82, 16, 1
	s_delay_alu instid0(VALU_DEP_1)
	v_add3_u32 v69, v82, v69, 0x7fff
                                        ; implicit-def: $vgpr82
; %bb.45:
	s_and_not1_saveexec_b32 s3, s3
; %bb.46:
	v_and_b32_e32 v69, 0xffff, v82
	v_or_b32_e32 v71, 0x10000, v82
	s_delay_alu instid0(VALU_DEP_2) | instskip(NEXT) | instid1(VALU_DEP_2)
	v_cmp_eq_u32_e32 vcc_lo, 0, v69
	v_cndmask_b32_e32 v69, v71, v82, vcc_lo
; %bb.47:
	s_or_b32 exec_lo, exec_lo, s3
	v_and_b32_e32 v71, 0x7f800000, v72
	s_delay_alu instid0(VALU_DEP_1) | instskip(SKIP_1) | instid1(SALU_CYCLE_1)
	v_cmp_ne_u32_e32 vcc_lo, 0x7f800000, v71
                                        ; implicit-def: $vgpr71
	s_and_saveexec_b32 s3, vcc_lo
	s_xor_b32 s3, exec_lo, s3
; %bb.48:
	v_bfe_u32 v71, v72, 16, 1
	s_delay_alu instid0(VALU_DEP_1)
	v_add3_u32 v71, v72, v71, 0x7fff
                                        ; implicit-def: $vgpr72
; %bb.49:
	s_and_not1_saveexec_b32 s3, s3
; %bb.50:
	v_and_b32_e32 v71, 0xffff, v72
	v_or_b32_e32 v81, 0x10000, v72
	s_delay_alu instid0(VALU_DEP_2) | instskip(NEXT) | instid1(VALU_DEP_2)
	v_cmp_eq_u32_e32 vcc_lo, 0, v71
	v_cndmask_b32_e32 v71, v81, v72, vcc_lo
; %bb.51:
	s_or_b32 exec_lo, exec_lo, s3
	v_and_b32_e32 v72, 0x7f800000, v78
	s_delay_alu instid0(VALU_DEP_1) | instskip(SKIP_1) | instid1(SALU_CYCLE_1)
	v_cmp_ne_u32_e32 vcc_lo, 0x7f800000, v72
                                        ; implicit-def: $vgpr72
	s_and_saveexec_b32 s3, vcc_lo
	s_xor_b32 s3, exec_lo, s3
; %bb.52:
	v_bfe_u32 v72, v78, 16, 1
	s_delay_alu instid0(VALU_DEP_1)
	v_add3_u32 v72, v78, v72, 0x7fff
                                        ; implicit-def: $vgpr78
; %bb.53:
	s_and_not1_saveexec_b32 s3, s3
; %bb.54:
	v_and_b32_e32 v72, 0xffff, v78
	v_or_b32_e32 v81, 0x10000, v78
	s_delay_alu instid0(VALU_DEP_2) | instskip(NEXT) | instid1(VALU_DEP_2)
	v_cmp_eq_u32_e32 vcc_lo, 0, v72
	v_cndmask_b32_e32 v72, v81, v78, vcc_lo
; %bb.55:
	s_or_b32 exec_lo, exec_lo, s3
	v_and_b32_e32 v78, 0x7f800000, v80
	s_delay_alu instid0(VALU_DEP_1) | instskip(SKIP_1) | instid1(SALU_CYCLE_1)
	v_cmp_ne_u32_e32 vcc_lo, 0x7f800000, v78
                                        ; implicit-def: $vgpr78
	s_and_saveexec_b32 s3, vcc_lo
	s_xor_b32 s3, exec_lo, s3
; %bb.56:
	v_bfe_u32 v78, v80, 16, 1
	s_delay_alu instid0(VALU_DEP_1)
	v_add3_u32 v78, v80, v78, 0x7fff
                                        ; implicit-def: $vgpr80
; %bb.57:
	s_and_not1_saveexec_b32 s3, s3
; %bb.58:
	v_and_b32_e32 v78, 0xffff, v80
	v_or_b32_e32 v81, 0x10000, v80
	s_delay_alu instid0(VALU_DEP_2) | instskip(NEXT) | instid1(VALU_DEP_2)
	v_cmp_eq_u32_e32 vcc_lo, 0, v78
	v_cndmask_b32_e32 v78, v81, v80, vcc_lo
; %bb.59:
	s_or_b32 exec_lo, exec_lo, s3
	v_and_b32_e32 v80, 0x7f800000, v76
	s_delay_alu instid0(VALU_DEP_1) | instskip(SKIP_1) | instid1(SALU_CYCLE_1)
	v_cmp_ne_u32_e32 vcc_lo, 0x7f800000, v80
                                        ; implicit-def: $vgpr80
	s_and_saveexec_b32 s3, vcc_lo
	s_xor_b32 s3, exec_lo, s3
; %bb.60:
	v_bfe_u32 v80, v76, 16, 1
	s_delay_alu instid0(VALU_DEP_1)
	v_add3_u32 v80, v76, v80, 0x7fff
                                        ; implicit-def: $vgpr76
; %bb.61:
	s_and_not1_saveexec_b32 s3, s3
; %bb.62:
	v_and_b32_e32 v80, 0xffff, v76
	v_or_b32_e32 v81, 0x10000, v76
	s_delay_alu instid0(VALU_DEP_2) | instskip(NEXT) | instid1(VALU_DEP_2)
	v_cmp_eq_u32_e32 vcc_lo, 0, v80
	v_cndmask_b32_e32 v80, v81, v76, vcc_lo
; %bb.63:
	s_or_b32 exec_lo, exec_lo, s3
	v_and_b32_e32 v76, 0x7f800000, v77
	s_delay_alu instid0(VALU_DEP_1) | instskip(SKIP_1) | instid1(SALU_CYCLE_1)
	v_cmp_ne_u32_e32 vcc_lo, 0x7f800000, v76
                                        ; implicit-def: $vgpr76
	s_and_saveexec_b32 s3, vcc_lo
	s_xor_b32 s3, exec_lo, s3
; %bb.64:
	v_bfe_u32 v76, v77, 16, 1
	s_delay_alu instid0(VALU_DEP_1)
	v_add3_u32 v76, v77, v76, 0x7fff
                                        ; implicit-def: $vgpr77
; %bb.65:
	s_and_not1_saveexec_b32 s3, s3
; %bb.66:
	v_and_b32_e32 v76, 0xffff, v77
	v_or_b32_e32 v81, 0x10000, v77
	s_delay_alu instid0(VALU_DEP_2) | instskip(NEXT) | instid1(VALU_DEP_2)
	v_cmp_eq_u32_e32 vcc_lo, 0, v76
	v_cndmask_b32_e32 v76, v81, v77, vcc_lo
; %bb.67:
	s_or_b32 exec_lo, exec_lo, s3
	v_and_b32_e32 v77, 0x7f800000, v70
	s_delay_alu instid0(VALU_DEP_1) | instskip(SKIP_1) | instid1(SALU_CYCLE_1)
	v_cmp_ne_u32_e32 vcc_lo, 0x7f800000, v77
                                        ; implicit-def: $vgpr77
	s_and_saveexec_b32 s3, vcc_lo
	s_xor_b32 s3, exec_lo, s3
; %bb.68:
	v_bfe_u32 v77, v70, 16, 1
	s_delay_alu instid0(VALU_DEP_1)
	v_add3_u32 v77, v70, v77, 0x7fff
                                        ; implicit-def: $vgpr70
; %bb.69:
	s_and_not1_saveexec_b32 s3, s3
; %bb.70:
	v_and_b32_e32 v77, 0xffff, v70
	v_or_b32_e32 v81, 0x10000, v70
	s_delay_alu instid0(VALU_DEP_2) | instskip(NEXT) | instid1(VALU_DEP_2)
	v_cmp_eq_u32_e32 vcc_lo, 0, v77
	v_cndmask_b32_e32 v77, v81, v70, vcc_lo
; %bb.71:
	s_or_b32 exec_lo, exec_lo, s3
	v_and_b32_e32 v70, 0x7f800000, v65
	s_delay_alu instid0(VALU_DEP_1) | instskip(SKIP_1) | instid1(SALU_CYCLE_1)
	v_cmp_ne_u32_e32 vcc_lo, 0x7f800000, v70
                                        ; implicit-def: $vgpr70
	s_and_saveexec_b32 s3, vcc_lo
	s_xor_b32 s3, exec_lo, s3
; %bb.72:
	v_bfe_u32 v70, v65, 16, 1
	s_delay_alu instid0(VALU_DEP_1)
	v_add3_u32 v70, v65, v70, 0x7fff
                                        ; implicit-def: $vgpr65
; %bb.73:
	s_and_not1_saveexec_b32 s3, s3
; %bb.74:
	v_and_b32_e32 v70, 0xffff, v65
	v_or_b32_e32 v81, 0x10000, v65
	s_delay_alu instid0(VALU_DEP_2) | instskip(NEXT) | instid1(VALU_DEP_2)
	v_cmp_eq_u32_e32 vcc_lo, 0, v70
	v_cndmask_b32_e32 v70, v81, v65, vcc_lo
; %bb.75:
	s_or_b32 exec_lo, exec_lo, s3
	s_delay_alu instid0(VALU_DEP_1)
	v_perm_b32 v85, v70, v77, 0x7060302
	v_perm_b32 v84, v76, v80, 0x7060302
	;; [unrolled: 1-line block ×4, first 2 shown]
	v_lshl_or_b32 v81, v66, 11, v79
	ds_store_b128 v75, v[82:85] offset:1024
	s_waitcnt lgkmcnt(0)
	s_barrier
	buffer_gl0_inv
	ds_load_b128 v[69:72], v81
	ds_load_b128 v[82:85], v81 offset:16
	s_waitcnt lgkmcnt(1)
	v_lshrrev_b32_e32 v65, 16, v69
	v_lshlrev_b32_e32 v77, 2, v74
	v_lshrrev_b32_e32 v66, 16, v70
	s_waitcnt lgkmcnt(0)
	v_lshrrev_b32_e32 v90, 16, v82
	v_lshrrev_b32_e32 v94, 16, v71
	;; [unrolled: 1-line block ×3, first 2 shown]
	v_cmp_eq_u32_e32 vcc_lo, 1, v77
	v_lshrrev_b32_e32 v95, 16, v72
	v_lshrrev_b32_e32 v97, 16, v84
	;; [unrolled: 1-line block ×3, first 2 shown]
	v_cndmask_b32_e32 v80, v69, v65, vcc_lo
	v_or_b32_e32 v78, 1, v77
	v_cmp_eq_u32_e64 s4, 2, v77
	v_cmp_eq_u32_e64 s7, 3, v77
	;; [unrolled: 1-line block ×3, first 2 shown]
	v_or_b32_e32 v76, 2, v77
	v_cmp_eq_u32_e64 s3, 1, v78
	v_cndmask_b32_e64 v80, v80, v70, s4
	v_cmp_eq_u32_e64 s6, 2, v78
	v_cmp_eq_u32_e64 s8, 3, v78
	;; [unrolled: 1-line block ×3, first 2 shown]
	v_cndmask_b32_e64 v87, v69, v65, s3
	v_cndmask_b32_e64 v80, v80, v66, s7
	v_cndmask_b32_e64 v88, v82, v90, s3
	v_cmp_eq_u32_e64 s11, 4, v78
	v_cmp_eq_u32_e64 s5, 1, v76
	v_cndmask_b32_e64 v87, v87, v70, s6
	v_cndmask_b32_e64 v80, v80, v71, s9
	;; [unrolled: 1-line block ×3, first 2 shown]
	v_cmp_eq_u32_e64 s12, 6, v77
	v_cmp_eq_u32_e64 s13, 5, v78
	v_cndmask_b32_e64 v87, v87, v66, s8
	v_cndmask_b32_e64 v80, v80, v94, s10
	;; [unrolled: 1-line block ×4, first 2 shown]
	v_cmp_eq_u32_e64 s16, 7, v77
	v_cndmask_b32_e64 v87, v87, v71, s11
	v_cndmask_b32_e64 v80, v80, v72, s12
	v_cmp_eq_u32_e64 s17, 6, v78
	v_cmp_eq_u32_e64 s18, 2, v76
	v_cndmask_b32_e64 v88, v88, v84, s11
	v_cndmask_b32_e64 v87, v87, v94, s13
	;; [unrolled: 1-line block ×3, first 2 shown]
	v_cmp_eq_u32_e64 s19, 7, v78
	v_cndmask_b32_e64 v80, v89, v70, s18
	v_cmp_eq_u32_e64 s20, 3, v76
	v_cndmask_b32_e64 v87, v87, v72, s17
	v_cmp_eq_u32_e64 s21, 4, v76
	v_cmp_eq_u32_e64 s23, 5, v76
	;; [unrolled: 1-line block ×4, first 2 shown]
	v_cndmask_b32_e64 v101, v87, v95, s19
	v_cndmask_b32_e64 v87, v88, v97, s13
	;; [unrolled: 1-line block ×3, first 2 shown]
	v_or_b32_e32 v80, 3, v77
	s_delay_alu instid0(VALU_DEP_3) | instskip(NEXT) | instid1(VALU_DEP_3)
	v_cndmask_b32_e64 v102, v87, v85, s17
	v_cndmask_b32_e64 v91, v88, v71, s21
	s_delay_alu instid0(VALU_DEP_3)
	v_cmp_eq_u32_e64 s22, 1, v80
	v_cmp_eq_u32_e64 s24, 2, v80
	;; [unrolled: 1-line block ×5, first 2 shown]
	v_cndmask_b32_e64 v65, v69, v65, s22
	v_cmp_eq_u32_e64 s30, 6, v80
	v_cndmask_b32_e64 v103, v91, v94, s23
	s_delay_alu instid0(VALU_DEP_3) | instskip(NEXT) | instid1(VALU_DEP_1)
	v_cndmask_b32_e64 v65, v65, v70, s24
	v_cndmask_b32_e64 v65, v65, v66, s26
	s_delay_alu instid0(VALU_DEP_3) | instskip(NEXT) | instid1(VALU_DEP_2)
	v_cndmask_b32_e64 v66, v103, v72, s25
	v_cndmask_b32_e64 v65, v65, v71, s27
	s_delay_alu instid0(VALU_DEP_2) | instskip(NEXT) | instid1(VALU_DEP_2)
	v_cndmask_b32_e64 v66, v66, v95, s28
	v_cndmask_b32_e64 v65, v65, v94, s29
	s_delay_alu instid0(VALU_DEP_1) | instskip(SKIP_1) | instid1(VALU_DEP_1)
	v_cndmask_b32_e64 v65, v65, v72, s30
	v_cndmask_b32_e32 v86, v82, v90, vcc_lo
	v_cndmask_b32_e64 v86, v86, v83, s4
	s_delay_alu instid0(VALU_DEP_1) | instskip(NEXT) | instid1(VALU_DEP_1)
	v_cndmask_b32_e64 v86, v86, v96, s7
	v_cndmask_b32_e64 v86, v86, v84, s9
	s_delay_alu instid0(VALU_DEP_1) | instskip(NEXT) | instid1(VALU_DEP_1)
	v_cndmask_b32_e64 v86, v86, v97, s10
	v_cndmask_b32_e64 v86, v86, v85, s12
	s_delay_alu instid0(VALU_DEP_1) | instskip(SKIP_2) | instid1(VALU_DEP_2)
	v_cndmask_b32_e64 v100, v86, v98, s16
	v_cndmask_b32_e64 v86, v82, v90, s5
	;; [unrolled: 1-line block ×4, first 2 shown]
	s_delay_alu instid0(VALU_DEP_2) | instskip(SKIP_1) | instid1(VALU_DEP_3)
	v_cndmask_b32_e64 v70, v82, v83, s24
	v_cndmask_b32_e64 v82, v102, v98, s19
	;; [unrolled: 1-line block ×3, first 2 shown]
	ds_load_b128 v[86:89], v81 offset:1024
	v_cndmask_b32_e64 v70, v70, v96, s26
	v_cndmask_b32_e64 v69, v92, v84, s21
	ds_load_b128 v[90:93], v81 offset:1040
	v_cndmask_b32_e64 v70, v70, v84, s27
	v_cndmask_b32_e64 v69, v69, v97, s23
	s_delay_alu instid0(VALU_DEP_2) | instskip(NEXT) | instid1(VALU_DEP_2)
	v_cndmask_b32_e64 v70, v70, v97, s29
	v_cndmask_b32_e64 v69, v69, v85, s25
	s_delay_alu instid0(VALU_DEP_2) | instskip(NEXT) | instid1(VALU_DEP_2)
	v_cndmask_b32_e64 v70, v70, v85, s30
	v_cndmask_b32_e64 v69, v69, v98, s28
	s_waitcnt lgkmcnt(1)
	v_lshrrev_b32_e32 v83, 16, v86
	v_lshrrev_b32_e32 v94, 16, v87
	;; [unrolled: 1-line block ×3, first 2 shown]
	s_delay_alu instid0(VALU_DEP_3) | instskip(SKIP_3) | instid1(VALU_DEP_3)
	v_cndmask_b32_e32 v71, v86, v83, vcc_lo
	s_waitcnt lgkmcnt(0)
	v_lshrrev_b32_e32 v84, 16, v90
	v_cndmask_b32_e64 v96, v86, v83, s3
	v_cndmask_b32_e64 v71, v71, v87, s4
	s_delay_alu instid0(VALU_DEP_3) | instskip(NEXT) | instid1(VALU_DEP_3)
	v_cndmask_b32_e32 v97, v90, v84, vcc_lo
	v_cndmask_b32_e64 v72, v96, v87, s6
	v_lshrrev_b32_e32 v96, 16, v91
	v_cmp_eq_u32_e32 vcc_lo, 7, v80
	v_cndmask_b32_e64 v71, v71, v94, s7
	v_cndmask_b32_e64 v85, v97, v91, s4
	;; [unrolled: 1-line block ×3, first 2 shown]
	v_lshrrev_b32_e32 v97, 16, v88
	v_cndmask_b32_e32 v65, v65, v95, vcc_lo
	v_cndmask_b32_e64 v71, v71, v88, s9
	v_cndmask_b32_e64 v85, v85, v96, s7
	v_cndmask_b32_e32 v70, v70, v98, vcc_lo
	v_cndmask_b32_e64 v95, v72, v88, s11
	v_lshrrev_b32_e32 v98, 16, v92
	v_cndmask_b32_e64 v71, v71, v97, s10
	v_cndmask_b32_e64 v85, v85, v92, s9
	v_perm_b32 v72, v70, v65, 0x5040100
	v_cndmask_b32_e64 v65, v95, v97, s13
	v_perm_b32 v70, v82, v101, 0x5040100
	v_cndmask_b32_e64 v95, v71, v89, s12
	v_cndmask_b32_e64 v85, v85, v98, s10
	v_perm_b32 v71, v69, v66, 0x5040100
	v_cndmask_b32_e64 v65, v65, v89, s17
	v_lshrrev_b32_e32 v82, 16, v93
	v_cndmask_b32_e64 v66, v95, v102, s16
	v_cndmask_b32_e64 v69, v85, v93, s12
	v_cndmask_b32_e64 v85, v86, v83, s5
	v_cndmask_b32_e64 v83, v86, v83, s22
	v_cndmask_b32_e64 v86, v90, v84, s22
	v_cndmask_b32_e64 v95, v90, v84, s5
	v_cndmask_b32_e64 v84, v90, v84, s3
	v_cndmask_b32_e64 v85, v85, v87, s18
	v_cndmask_b32_e64 v83, v83, v87, s24
	v_cndmask_b32_e64 v86, v86, v91, s24
	v_cndmask_b32_e64 v87, v95, v91, s18
	v_cndmask_b32_e64 v84, v84, v91, s6
	v_cndmask_b32_e64 v85, v85, v94, s20
	v_cndmask_b32_e64 v83, v83, v94, s26
	v_cndmask_b32_e64 v86, v86, v96, s26
	v_cndmask_b32_e64 v87, v87, v96, s20
	v_cndmask_b32_e64 v84, v84, v96, s8
	v_cndmask_b32_e64 v85, v85, v88, s21
	v_cndmask_b32_e64 v83, v83, v88, s27
	v_cndmask_b32_e64 v86, v86, v92, s27
	v_cndmask_b32_e64 v87, v87, v92, s21
	v_cndmask_b32_e64 v84, v84, v92, s11
	v_cndmask_b32_e64 v85, v85, v97, s23
	v_cndmask_b32_e64 v83, v83, v97, s29
	v_cndmask_b32_e64 v86, v86, v98, s29
	v_cndmask_b32_e64 v87, v87, v98, s23
	v_cndmask_b32_e64 v84, v84, v98, s13
	v_cndmask_b32_e64 v85, v85, v89, s25
	v_cndmask_b32_e64 v83, v83, v89, s30
	v_cndmask_b32_e64 v86, v86, v93, s30
	v_cndmask_b32_e64 v87, v87, v93, s25
	v_cndmask_b32_e64 v84, v84, v93, s17
	v_cndmask_b32_e64 v65, v65, v102, s19
	v_cndmask_b32_e64 v88, v85, v102, s28
	v_cndmask_b32_e32 v83, v83, v102, vcc_lo
	v_cndmask_b32_e32 v85, v86, v82, vcc_lo
	v_cndmask_b32_e64 v86, v87, v82, s28
	v_cndmask_b32_e64 v87, v84, v82, s19
	;; [unrolled: 1-line block ×3, first 2 shown]
	v_perm_b32 v69, v100, v99, 0x5040100
	v_perm_b32 v85, v85, v83, 0x5040100
	;; [unrolled: 1-line block ×5, first 2 shown]
	s_mov_b32 s3, exec_lo
	ds_store_b128 v75, v[69:72]
	ds_store_b128 v75, v[82:85] offset:1024
	v_cmpx_eq_u32_e32 0, v0
	s_cbranch_execz .LBB1838_77
; %bb.76:
	s_load_b128 s[4:7], s[0:1], 0x58
	s_mul_i32 s8, s37, s34
	v_mov_b32_e32 v65, 0
	s_add_i32 s8, s8, s15
	s_delay_alu instid0(SALU_CYCLE_1) | instskip(NEXT) | instid1(SALU_CYCLE_1)
	s_mul_i32 s8, s8, s36
	s_add_i32 s8, s8, s14
	s_delay_alu instid0(SALU_CYCLE_1) | instskip(NEXT) | instid1(SALU_CYCLE_1)
	s_ashr_i32 s9, s8, 31
	s_lshl_b64 s[8:9], s[8:9], 2
	s_waitcnt lgkmcnt(0)
	s_add_u32 s6, s6, s8
	s_addc_u32 s7, s7, s9
	s_add_u32 s4, s4, s8
	s_addc_u32 s5, s5, s9
	s_clause 0x1
	global_store_b32 v65, v67, s[6:7]
	global_store_b32 v65, v68, s[4:5]
.LBB1838_77:
	s_or_b32 exec_lo, exec_lo, s3
	s_waitcnt lgkmcnt(0)
	s_waitcnt_vscnt null, 0x0
	s_barrier
	buffer_gl0_inv
	ds_load_b128 v[82:85], v79
	ds_load_b128 v[86:89], v79 offset:16
	ds_load_b128 v[94:97], v79 offset:2064
	;; [unrolled: 1-line block ×3, first 2 shown]
	v_mov_b32_e32 v65, 0
	ds_load_b128 v[102:105], v79 offset:4112
	ds_load_b128 v[98:101], v79 offset:4096
	;; [unrolled: 1-line block ×4, first 2 shown]
	v_mov_b32_e32 v66, v65
	v_mov_b32_e32 v67, v65
	;; [unrolled: 1-line block ×7, first 2 shown]
	s_waitcnt lgkmcnt(6)
	s_delay_alu instid0(VALU_DEP_1)
	v_wmma_f32_16x16x16_bf16 v[65:72], v[49:56], v[82:89], v[65:72]
	ds_load_b128 v[53:56], v79 offset:8208
	ds_load_b128 v[49:52], v79 offset:8192
	s_waitcnt lgkmcnt(6)
	v_wmma_f32_16x16x16_bf16 v[65:72], v[41:48], v[90:97], v[65:72]
	ds_load_b128 v[45:48], v79 offset:10256
	ds_load_b128 v[41:44], v79 offset:10240
	s_waitcnt lgkmcnt(6)
	;; [unrolled: 4-line block ×4, first 2 shown]
	v_wmma_f32_16x16x16_bf16 v[65:72], v[1:8], v[49:56], v[65:72]
	s_waitcnt lgkmcnt(4)
	s_delay_alu instid0(VALU_DEP_1) | instskip(SKIP_1) | instid1(VALU_DEP_1)
	v_wmma_f32_16x16x16_bf16 v[65:72], v[9:16], v[41:48], v[65:72]
	s_waitcnt lgkmcnt(2)
	v_wmma_f32_16x16x16_bf16 v[65:72], v[17:24], v[33:40], v[65:72]
	s_waitcnt lgkmcnt(0)
	s_delay_alu instid0(VALU_DEP_1) | instskip(NEXT) | instid1(VALU_DEP_1)
	v_wmma_f32_16x16x16_bf16 v[65:72], v[57:64], v[25:32], v[65:72]
	v_and_b32_e32 v1, 0x7f800000, v65
	s_delay_alu instid0(VALU_DEP_1) | instskip(SKIP_1) | instid1(SALU_CYCLE_1)
	v_cmp_ne_u32_e32 vcc_lo, 0x7f800000, v1
                                        ; implicit-def: $vgpr1
	s_and_saveexec_b32 s3, vcc_lo
	s_xor_b32 s3, exec_lo, s3
; %bb.78:
	v_bfe_u32 v1, v65, 16, 1
	s_delay_alu instid0(VALU_DEP_1)
	v_add3_u32 v1, v65, v1, 0x7fff
; %bb.79:
	s_and_not1_saveexec_b32 s3, s3
; %bb.80:
	v_and_b32_e32 v1, 0xffff, v65
	v_or_b32_e32 v2, 0x10000, v65
	s_delay_alu instid0(VALU_DEP_2) | instskip(NEXT) | instid1(VALU_DEP_2)
	v_cmp_eq_u32_e32 vcc_lo, 0, v1
	v_cndmask_b32_e32 v1, v2, v65, vcc_lo
; %bb.81:
	s_or_b32 exec_lo, exec_lo, s3
	v_and_b32_e32 v2, 0x7f800000, v66
	s_delay_alu instid0(VALU_DEP_1) | instskip(SKIP_1) | instid1(SALU_CYCLE_1)
	v_cmp_ne_u32_e32 vcc_lo, 0x7f800000, v2
                                        ; implicit-def: $vgpr2
	s_and_saveexec_b32 s3, vcc_lo
	s_xor_b32 s3, exec_lo, s3
; %bb.82:
	v_bfe_u32 v2, v66, 16, 1
	s_delay_alu instid0(VALU_DEP_1)
	v_add3_u32 v2, v66, v2, 0x7fff
; %bb.83:
	s_and_not1_saveexec_b32 s3, s3
; %bb.84:
	v_and_b32_e32 v2, 0xffff, v66
	v_or_b32_e32 v3, 0x10000, v66
	s_delay_alu instid0(VALU_DEP_2) | instskip(NEXT) | instid1(VALU_DEP_2)
	v_cmp_eq_u32_e32 vcc_lo, 0, v2
	v_cndmask_b32_e32 v2, v3, v66, vcc_lo
; %bb.85:
	s_or_b32 exec_lo, exec_lo, s3
	v_and_b32_e32 v3, 0x7f800000, v67
	s_delay_alu instid0(VALU_DEP_1) | instskip(SKIP_1) | instid1(SALU_CYCLE_1)
	v_cmp_ne_u32_e32 vcc_lo, 0x7f800000, v3
                                        ; implicit-def: $vgpr3
	s_and_saveexec_b32 s3, vcc_lo
	s_xor_b32 s3, exec_lo, s3
; %bb.86:
	v_bfe_u32 v3, v67, 16, 1
	s_delay_alu instid0(VALU_DEP_1)
	v_add3_u32 v3, v67, v3, 0x7fff
; %bb.87:
	s_and_not1_saveexec_b32 s3, s3
; %bb.88:
	v_and_b32_e32 v3, 0xffff, v67
	v_or_b32_e32 v4, 0x10000, v67
	s_delay_alu instid0(VALU_DEP_2) | instskip(NEXT) | instid1(VALU_DEP_2)
	v_cmp_eq_u32_e32 vcc_lo, 0, v3
	v_cndmask_b32_e32 v3, v4, v67, vcc_lo
; %bb.89:
	s_or_b32 exec_lo, exec_lo, s3
	v_and_b32_e32 v4, 0x7f800000, v68
	s_delay_alu instid0(VALU_DEP_1) | instskip(SKIP_1) | instid1(SALU_CYCLE_1)
	v_cmp_ne_u32_e32 vcc_lo, 0x7f800000, v4
                                        ; implicit-def: $vgpr4
	s_and_saveexec_b32 s3, vcc_lo
	s_xor_b32 s3, exec_lo, s3
; %bb.90:
	v_bfe_u32 v4, v68, 16, 1
	s_delay_alu instid0(VALU_DEP_1)
	v_add3_u32 v4, v68, v4, 0x7fff
; %bb.91:
	s_and_not1_saveexec_b32 s3, s3
; %bb.92:
	v_and_b32_e32 v4, 0xffff, v68
	v_or_b32_e32 v5, 0x10000, v68
	s_delay_alu instid0(VALU_DEP_2) | instskip(NEXT) | instid1(VALU_DEP_2)
	v_cmp_eq_u32_e32 vcc_lo, 0, v4
	v_cndmask_b32_e32 v4, v5, v68, vcc_lo
; %bb.93:
	s_or_b32 exec_lo, exec_lo, s3
	v_and_b32_e32 v5, 0x7f800000, v69
	s_delay_alu instid0(VALU_DEP_1) | instskip(SKIP_1) | instid1(SALU_CYCLE_1)
	v_cmp_ne_u32_e32 vcc_lo, 0x7f800000, v5
                                        ; implicit-def: $vgpr5
	s_and_saveexec_b32 s3, vcc_lo
	s_xor_b32 s3, exec_lo, s3
; %bb.94:
	v_bfe_u32 v5, v69, 16, 1
	s_delay_alu instid0(VALU_DEP_1)
	v_add3_u32 v5, v69, v5, 0x7fff
; %bb.95:
	s_and_not1_saveexec_b32 s3, s3
; %bb.96:
	v_and_b32_e32 v5, 0xffff, v69
	v_or_b32_e32 v6, 0x10000, v69
	s_delay_alu instid0(VALU_DEP_2) | instskip(NEXT) | instid1(VALU_DEP_2)
	v_cmp_eq_u32_e32 vcc_lo, 0, v5
	v_cndmask_b32_e32 v5, v6, v69, vcc_lo
; %bb.97:
	s_or_b32 exec_lo, exec_lo, s3
	v_and_b32_e32 v6, 0x7f800000, v70
	s_delay_alu instid0(VALU_DEP_1) | instskip(SKIP_1) | instid1(SALU_CYCLE_1)
	v_cmp_ne_u32_e32 vcc_lo, 0x7f800000, v6
                                        ; implicit-def: $vgpr6
	s_and_saveexec_b32 s3, vcc_lo
	s_xor_b32 s3, exec_lo, s3
; %bb.98:
	v_bfe_u32 v6, v70, 16, 1
	s_delay_alu instid0(VALU_DEP_1)
	v_add3_u32 v6, v70, v6, 0x7fff
; %bb.99:
	s_and_not1_saveexec_b32 s3, s3
; %bb.100:
	v_and_b32_e32 v6, 0xffff, v70
	v_or_b32_e32 v7, 0x10000, v70
	s_delay_alu instid0(VALU_DEP_2) | instskip(NEXT) | instid1(VALU_DEP_2)
	v_cmp_eq_u32_e32 vcc_lo, 0, v6
	v_cndmask_b32_e32 v6, v7, v70, vcc_lo
; %bb.101:
	s_or_b32 exec_lo, exec_lo, s3
	v_and_b32_e32 v7, 0x7f800000, v71
	s_delay_alu instid0(VALU_DEP_1) | instskip(SKIP_1) | instid1(SALU_CYCLE_1)
	v_cmp_ne_u32_e32 vcc_lo, 0x7f800000, v7
                                        ; implicit-def: $vgpr7
	s_and_saveexec_b32 s3, vcc_lo
	s_xor_b32 s3, exec_lo, s3
; %bb.102:
	v_bfe_u32 v7, v71, 16, 1
	s_delay_alu instid0(VALU_DEP_1)
	v_add3_u32 v7, v71, v7, 0x7fff
; %bb.103:
	s_and_not1_saveexec_b32 s3, s3
; %bb.104:
	v_and_b32_e32 v7, 0xffff, v71
	v_or_b32_e32 v8, 0x10000, v71
	s_delay_alu instid0(VALU_DEP_2) | instskip(NEXT) | instid1(VALU_DEP_2)
	v_cmp_eq_u32_e32 vcc_lo, 0, v7
	v_cndmask_b32_e32 v7, v8, v71, vcc_lo
; %bb.105:
	s_or_b32 exec_lo, exec_lo, s3
	v_and_b32_e32 v8, 0x7f800000, v72
	s_delay_alu instid0(VALU_DEP_1) | instskip(SKIP_1) | instid1(SALU_CYCLE_1)
	v_cmp_ne_u32_e32 vcc_lo, 0x7f800000, v8
                                        ; implicit-def: $vgpr8
	s_and_saveexec_b32 s3, vcc_lo
	s_xor_b32 s3, exec_lo, s3
; %bb.106:
	v_bfe_u32 v8, v72, 16, 1
	s_delay_alu instid0(VALU_DEP_1)
	v_add3_u32 v8, v72, v8, 0x7fff
                                        ; implicit-def: $vgpr65_vgpr66_vgpr67_vgpr68_vgpr69_vgpr70_vgpr71_vgpr72
; %bb.107:
	s_and_not1_saveexec_b32 s3, s3
; %bb.108:
	v_and_b32_e32 v8, 0xffff, v72
	v_or_b32_e32 v9, 0x10000, v72
	s_delay_alu instid0(VALU_DEP_2) | instskip(NEXT) | instid1(VALU_DEP_2)
	v_cmp_eq_u32_e32 vcc_lo, 0, v8
	v_cndmask_b32_e32 v8, v9, v72, vcc_lo
; %bb.109:
	s_or_b32 exec_lo, exec_lo, s3
	s_delay_alu instid0(VALU_DEP_1)
	v_perm_b32 v7, v8, v7, 0x7060302
	v_perm_b32 v6, v6, v5, 0x7060302
	;; [unrolled: 1-line block ×4, first 2 shown]
	s_barrier
	buffer_gl0_inv
	v_cmp_eq_u32_e32 vcc_lo, 1, v77
	ds_store_b128 v75, v[4:7]
	s_waitcnt lgkmcnt(0)
	s_barrier
	buffer_gl0_inv
	ds_load_b128 v[1:4], v81
	ds_load_b128 v[5:8], v81 offset:16
	v_cmp_eq_u32_e64 s3, 1, v78
	v_cmp_eq_u32_e64 s4, 2, v77
	;; [unrolled: 1-line block ×5, first 2 shown]
	s_xor_b32 s2, s2, -1
	s_waitcnt lgkmcnt(1)
	v_lshrrev_b32_e32 v9, 16, v1
	s_waitcnt lgkmcnt(0)
	v_lshrrev_b32_e32 v13, 16, v5
	v_lshrrev_b32_e32 v10, 16, v2
	v_lshrrev_b32_e32 v14, 16, v6
	v_lshrrev_b32_e32 v11, 16, v3
	v_cndmask_b32_e64 v19, v1, v9, s3
	v_cndmask_b32_e32 v18, v5, v13, vcc_lo
	v_cndmask_b32_e64 v20, v5, v13, s3
	v_cndmask_b32_e32 v17, v1, v9, vcc_lo
	v_cmp_eq_u32_e32 vcc_lo, 2, v78
	v_lshrrev_b32_e32 v15, 16, v7
	v_cmp_eq_u32_e64 s3, 1, v76
	v_lshrrev_b32_e32 v12, 16, v4
	v_lshrrev_b32_e32 v16, 16, v8
	v_cndmask_b32_e32 v20, v20, v6, vcc_lo
	v_cndmask_b32_e64 v17, v17, v2, s4
	v_cndmask_b32_e32 v19, v19, v2, vcc_lo
	v_cndmask_b32_e64 v18, v18, v6, s4
	v_cmp_eq_u32_e32 vcc_lo, 4, v77
	v_cmp_eq_u32_e64 s4, 3, v78
	v_cndmask_b32_e64 v17, v17, v10, s5
	v_cndmask_b32_e64 v21, v1, v9, s3
	v_cndmask_b32_e64 v18, v18, v14, s5
	v_cndmask_b32_e64 v22, v5, v13, s3
	v_cndmask_b32_e64 v19, v19, v10, s4
	v_cndmask_b32_e32 v17, v17, v3, vcc_lo
	v_cndmask_b32_e64 v20, v20, v14, s4
	v_cndmask_b32_e32 v18, v18, v7, vcc_lo
	v_cmp_eq_u32_e32 vcc_lo, 4, v78
	v_cmp_eq_u32_e64 s4, 5, v78
	v_cmp_eq_u32_e64 s3, 2, v80
	v_cndmask_b32_e64 v21, v21, v2, s7
	v_cmp_eq_u32_e64 s5, 5, v77
	v_cndmask_b32_e32 v19, v19, v3, vcc_lo
	v_cndmask_b32_e32 v20, v20, v7, vcc_lo
	v_cmp_eq_u32_e32 vcc_lo, 6, v78
	s_delay_alu instid0(VALU_DEP_4) | instskip(NEXT) | instid1(VALU_DEP_4)
	v_cndmask_b32_e64 v17, v17, v11, s5
	v_cndmask_b32_e64 v19, v19, v11, s4
	s_delay_alu instid0(VALU_DEP_4) | instskip(SKIP_1) | instid1(VALU_DEP_3)
	v_cndmask_b32_e64 v20, v20, v15, s4
	v_cmp_eq_u32_e64 s4, 1, v80
	v_cndmask_b32_e32 v19, v19, v4, vcc_lo
	v_cndmask_b32_e64 v18, v18, v15, s5
	s_delay_alu instid0(VALU_DEP_3)
	v_cndmask_b32_e64 v1, v1, v9, s4
	v_cndmask_b32_e64 v5, v5, v13, s4
	v_cmp_eq_u32_e64 s4, 3, v76
	v_cndmask_b32_e64 v13, v22, v6, s7
	v_cmp_eq_u32_e64 s7, 3, v80
	v_cndmask_b32_e64 v1, v1, v2, s3
	v_cndmask_b32_e64 v2, v5, v6, s3
	;; [unrolled: 1-line block ×3, first 2 shown]
	v_cmp_eq_u32_e64 s3, 4, v76
	v_cndmask_b32_e64 v6, v13, v14, s4
	v_cndmask_b32_e64 v1, v1, v10, s7
	v_cmp_eq_u32_e64 s4, 4, v80
	v_cndmask_b32_e64 v2, v2, v14, s7
	v_cndmask_b32_e64 v5, v9, v3, s3
	;; [unrolled: 3-line block ×3, first 2 shown]
	v_cndmask_b32_e64 v2, v2, v7, s4
	v_cmp_eq_u32_e64 s3, 5, v80
	v_cmp_eq_u32_e64 s5, 6, v77
	v_cndmask_b32_e64 v5, v5, v11, s7
	v_cmp_eq_u32_e64 s4, 6, v76
	v_cndmask_b32_e64 v3, v6, v15, s7
	v_cndmask_b32_e64 v1, v1, v11, s3
	v_cmp_eq_u32_e64 s7, 6, v80
	v_cndmask_b32_e64 v2, v2, v15, s3
	v_cndmask_b32_e64 v17, v17, v4, s5
	v_cndmask_b32_e64 v18, v18, v8, s5
	v_cmp_eq_u32_e64 s5, 7, v77
	v_cndmask_b32_e64 v5, v5, v4, s4
	;; [unrolled: 4-line block ×3, first 2 shown]
	v_cmp_eq_u32_e64 s4, 7, v76
	v_cndmask_b32_e32 v4, v20, v8, vcc_lo
	v_cndmask_b32_e64 v17, v17, v12, s5
	v_cndmask_b32_e64 v19, v19, v12, s6
	;; [unrolled: 1-line block ×8, first 2 shown]
	v_cmp_gt_u32_e32 vcc_lo, 32, v0
	v_perm_b32 v4, v2, v1, 0x5040100
	v_perm_b32 v3, v3, v5, 0x5040100
	;; [unrolled: 1-line block ×4, first 2 shown]
	s_and_b32 s2, vcc_lo, s2
	ds_store_b128 v75, v[1:4]
	s_waitcnt lgkmcnt(0)
	s_barrier
	buffer_gl0_inv
	s_and_saveexec_b32 s3, s2
	s_cbranch_execz .LBB1838_2
; %bb.110:
	s_load_b64 s[0:1], s[0:1], 0x68
	v_lshlrev_b32_e32 v1, 10, v0
	v_and_b32_e32 v0, 1, v0
	v_lshlrev_b32_e32 v2, 6, v74
	s_lshl_b32 s4, s36, 7
	s_delay_alu instid0(VALU_DEP_3) | instskip(NEXT) | instid1(VALU_DEP_3)
	v_and_b32_e32 v1, 0x3800, v1
	v_lshlrev_b32_e32 v0, 4, v0
	s_mul_i32 s2, s4, s34
	s_delay_alu instid0(SALU_CYCLE_1) | instskip(NEXT) | instid1(VALU_DEP_1)
	s_mul_i32 s2, s2, s37
	v_or3_b32 v0, v1, v2, v0
	s_ashr_i32 s3, s2, 31
	s_delay_alu instid0(SALU_CYCLE_1)
	s_lshl_b64 s[2:3], s[2:3], 1
	ds_load_b128 v[0:3], v0
	s_waitcnt lgkmcnt(0)
	s_add_u32 s5, s0, s2
	s_addc_u32 s3, s1, s3
	s_lshl_b32 s0, s14, 7
	s_mul_i32 s2, s4, s15
	s_ashr_i32 s1, s0, 31
	s_delay_alu instid0(SALU_CYCLE_1) | instskip(NEXT) | instid1(SALU_CYCLE_1)
	s_lshl_b64 s[0:1], s[0:1], 1
	s_add_u32 s4, s5, s0
	s_addc_u32 s5, s3, s1
	s_ashr_i32 s3, s2, 31
	s_delay_alu instid0(SALU_CYCLE_1) | instskip(NEXT) | instid1(SALU_CYCLE_1)
	s_lshl_b64 s[0:1], s[2:3], 1
	s_add_u32 s0, s4, s0
	s_addc_u32 s1, s5, s1
	global_store_b128 v73, v[0:3], s[0:1]
	s_nop 0
	s_sendmsg sendmsg(MSG_DEALLOC_VGPRS)
	s_endpgm
	.section	.rodata,"a",@progbits
	.p2align	6, 0x0
	.amdhsa_kernel _Z39paged_attention_ll4mi_QKV_mfma16_kernelI14__hip_bfloat16hLN4vllm18Fp8KVCacheDataTypeE1ES0_Li16ELi128ELi256ELb1ELi1EL8MFMAType0EEvPKT_PKT0_S9_ifPKiSB_SB_iPKfiiiPfSE_PS4_PT2_iSD_SD_
		.amdhsa_group_segment_fixed_size 17472
		.amdhsa_private_segment_fixed_size 0
		.amdhsa_kernarg_size 400
		.amdhsa_user_sgpr_count 13
		.amdhsa_user_sgpr_dispatch_ptr 0
		.amdhsa_user_sgpr_queue_ptr 0
		.amdhsa_user_sgpr_kernarg_segment_ptr 1
		.amdhsa_user_sgpr_dispatch_id 0
		.amdhsa_user_sgpr_private_segment_size 0
		.amdhsa_wavefront_size32 1
		.amdhsa_uses_dynamic_stack 0
		.amdhsa_enable_private_segment 0
		.amdhsa_system_sgpr_workgroup_id_x 1
		.amdhsa_system_sgpr_workgroup_id_y 1
		.amdhsa_system_sgpr_workgroup_id_z 1
		.amdhsa_system_sgpr_workgroup_info 0
		.amdhsa_system_vgpr_workitem_id 0
		.amdhsa_next_free_vgpr 138
		.amdhsa_next_free_sgpr 66
		.amdhsa_reserve_vcc 1
		.amdhsa_float_round_mode_32 0
		.amdhsa_float_round_mode_16_64 0
		.amdhsa_float_denorm_mode_32 3
		.amdhsa_float_denorm_mode_16_64 3
		.amdhsa_dx10_clamp 1
		.amdhsa_ieee_mode 1
		.amdhsa_fp16_overflow 0
		.amdhsa_workgroup_processor_mode 1
		.amdhsa_memory_ordered 1
		.amdhsa_forward_progress 0
		.amdhsa_shared_vgpr_count 0
		.amdhsa_exception_fp_ieee_invalid_op 0
		.amdhsa_exception_fp_denorm_src 0
		.amdhsa_exception_fp_ieee_div_zero 0
		.amdhsa_exception_fp_ieee_overflow 0
		.amdhsa_exception_fp_ieee_underflow 0
		.amdhsa_exception_fp_ieee_inexact 0
		.amdhsa_exception_int_div_zero 0
	.end_amdhsa_kernel
	.section	.text._Z39paged_attention_ll4mi_QKV_mfma16_kernelI14__hip_bfloat16hLN4vllm18Fp8KVCacheDataTypeE1ES0_Li16ELi128ELi256ELb1ELi1EL8MFMAType0EEvPKT_PKT0_S9_ifPKiSB_SB_iPKfiiiPfSE_PS4_PT2_iSD_SD_,"axG",@progbits,_Z39paged_attention_ll4mi_QKV_mfma16_kernelI14__hip_bfloat16hLN4vllm18Fp8KVCacheDataTypeE1ES0_Li16ELi128ELi256ELb1ELi1EL8MFMAType0EEvPKT_PKT0_S9_ifPKiSB_SB_iPKfiiiPfSE_PS4_PT2_iSD_SD_,comdat
.Lfunc_end1838:
	.size	_Z39paged_attention_ll4mi_QKV_mfma16_kernelI14__hip_bfloat16hLN4vllm18Fp8KVCacheDataTypeE1ES0_Li16ELi128ELi256ELb1ELi1EL8MFMAType0EEvPKT_PKT0_S9_ifPKiSB_SB_iPKfiiiPfSE_PS4_PT2_iSD_SD_, .Lfunc_end1838-_Z39paged_attention_ll4mi_QKV_mfma16_kernelI14__hip_bfloat16hLN4vllm18Fp8KVCacheDataTypeE1ES0_Li16ELi128ELi256ELb1ELi1EL8MFMAType0EEvPKT_PKT0_S9_ifPKiSB_SB_iPKfiiiPfSE_PS4_PT2_iSD_SD_
                                        ; -- End function
	.section	.AMDGPU.csdata,"",@progbits
; Kernel info:
; codeLenInByte = 8640
; NumSgprs: 68
; NumVgprs: 138
; ScratchSize: 0
; MemoryBound: 1
; FloatMode: 240
; IeeeMode: 1
; LDSByteSize: 17472 bytes/workgroup (compile time only)
; SGPRBlocks: 8
; VGPRBlocks: 17
; NumSGPRsForWavesPerEU: 68
; NumVGPRsForWavesPerEU: 138
; Occupancy: 10
; WaveLimiterHint : 1
; COMPUTE_PGM_RSRC2:SCRATCH_EN: 0
; COMPUTE_PGM_RSRC2:USER_SGPR: 13
; COMPUTE_PGM_RSRC2:TRAP_HANDLER: 0
; COMPUTE_PGM_RSRC2:TGID_X_EN: 1
; COMPUTE_PGM_RSRC2:TGID_Y_EN: 1
; COMPUTE_PGM_RSRC2:TGID_Z_EN: 1
; COMPUTE_PGM_RSRC2:TIDIG_COMP_CNT: 0
	.section	.text._Z39paged_attention_ll4mi_QKV_mfma16_kernelI14__hip_bfloat16hLN4vllm18Fp8KVCacheDataTypeE1ES0_Li16ELi128ELi256ELb1ELi2EL8MFMAType0EEvPKT_PKT0_S9_ifPKiSB_SB_iPKfiiiPfSE_PS4_PT2_iSD_SD_,"axG",@progbits,_Z39paged_attention_ll4mi_QKV_mfma16_kernelI14__hip_bfloat16hLN4vllm18Fp8KVCacheDataTypeE1ES0_Li16ELi128ELi256ELb1ELi2EL8MFMAType0EEvPKT_PKT0_S9_ifPKiSB_SB_iPKfiiiPfSE_PS4_PT2_iSD_SD_,comdat
	.protected	_Z39paged_attention_ll4mi_QKV_mfma16_kernelI14__hip_bfloat16hLN4vllm18Fp8KVCacheDataTypeE1ES0_Li16ELi128ELi256ELb1ELi2EL8MFMAType0EEvPKT_PKT0_S9_ifPKiSB_SB_iPKfiiiPfSE_PS4_PT2_iSD_SD_ ; -- Begin function _Z39paged_attention_ll4mi_QKV_mfma16_kernelI14__hip_bfloat16hLN4vllm18Fp8KVCacheDataTypeE1ES0_Li16ELi128ELi256ELb1ELi2EL8MFMAType0EEvPKT_PKT0_S9_ifPKiSB_SB_iPKfiiiPfSE_PS4_PT2_iSD_SD_
	.globl	_Z39paged_attention_ll4mi_QKV_mfma16_kernelI14__hip_bfloat16hLN4vllm18Fp8KVCacheDataTypeE1ES0_Li16ELi128ELi256ELb1ELi2EL8MFMAType0EEvPKT_PKT0_S9_ifPKiSB_SB_iPKfiiiPfSE_PS4_PT2_iSD_SD_
	.p2align	8
	.type	_Z39paged_attention_ll4mi_QKV_mfma16_kernelI14__hip_bfloat16hLN4vllm18Fp8KVCacheDataTypeE1ES0_Li16ELi128ELi256ELb1ELi2EL8MFMAType0EEvPKT_PKT0_S9_ifPKiSB_SB_iPKfiiiPfSE_PS4_PT2_iSD_SD_,@function
_Z39paged_attention_ll4mi_QKV_mfma16_kernelI14__hip_bfloat16hLN4vllm18Fp8KVCacheDataTypeE1ES0_Li16ELi128ELi256ELb1ELi2EL8MFMAType0EEvPKT_PKT0_S9_ifPKiSB_SB_iPKfiiiPfSE_PS4_PT2_iSD_SD_: ; @_Z39paged_attention_ll4mi_QKV_mfma16_kernelI14__hip_bfloat16hLN4vllm18Fp8KVCacheDataTypeE1ES0_Li16ELi128ELi256ELb1ELi2EL8MFMAType0EEvPKT_PKT0_S9_ifPKiSB_SB_iPKfiiiPfSE_PS4_PT2_iSD_SD_
; %bb.0:
	s_load_b64 s[2:3], s[0:1], 0x30
	s_mov_b32 s30, s13
	s_waitcnt lgkmcnt(0)
	s_cmp_lg_u64 s[2:3], 0
	s_cselect_b32 s6, -1, 0
	s_ashr_i32 s31, s13, 31
	s_cmp_eq_u64 s[2:3], 0
	s_cbranch_scc1 .LBB1839_3
; %bb.1:
	s_lshl_b64 s[4:5], s[30:31], 2
	s_delay_alu instid0(SALU_CYCLE_1) | instskip(SKIP_4) | instid1(SALU_CYCLE_1)
	s_add_u32 s4, s2, s4
	s_addc_u32 s5, s3, s5
	s_load_b64 s[4:5], s[4:5], 0x0
	s_waitcnt lgkmcnt(0)
	s_sub_i32 s4, s5, s4
	s_cmp_eq_u32 s4, 1
	s_cselect_b32 s4, -1, 0
	s_delay_alu instid0(SALU_CYCLE_1)
	s_and_not1_b32 vcc_lo, exec_lo, s4
	s_cbranch_vccz .LBB1839_4
.LBB1839_2:
	s_endpgm
.LBB1839_3:
.LBB1839_4:
	s_load_b64 s[8:9], s[0:1], 0x28
	s_lshl_b64 s[4:5], s[30:31], 2
	s_waitcnt lgkmcnt(0)
	s_add_u32 s8, s8, s4
	s_addc_u32 s9, s9, s5
	s_lshl_b32 s16, s14, 8
	s_load_b32 s18, s[8:9], 0x0
	s_waitcnt lgkmcnt(0)
	s_cmp_ge_i32 s16, s18
	s_cbranch_scc1 .LBB1839_2
; %bb.5:
	s_clause 0x1
	s_load_b128 s[8:11], s[0:1], 0x8
	s_load_b64 s[12:13], s[0:1], 0x20
	s_and_not1_b32 vcc_lo, exec_lo, s6
	s_cbranch_vccnz .LBB1839_7
; %bb.6:
	s_add_u32 s2, s2, s4
	s_addc_u32 s3, s3, s5
	s_load_b32 s3, s[2:3], 0x0
	s_branch .LBB1839_8
.LBB1839_7:
	s_mov_b32 s3, s30
.LBB1839_8:
	s_load_b128 s[4:7], s[0:1], 0x48
	v_and_b32_e32 v66, 15, v0
	v_bfe_u32 v65, v0, 4, 1
	s_lshl_b32 s31, s15, 1
	v_and_b32_e32 v67, 31, v0
	v_and_b32_e32 v76, 1, v0
	v_lshlrev_b32_e32 v1, 3, v66
	v_cmp_gt_u32_e64 s2, 32, v0
	v_or_b32_e32 v75, s31, v65
	v_lshlrev_b32_e32 v74, 6, v65
	s_delay_alu instid0(VALU_DEP_4)
	v_lshlrev_b32_e32 v73, 1, v1
	s_waitcnt lgkmcnt(0)
	s_and_saveexec_b32 s7, s2
	s_cbranch_execz .LBB1839_10
; %bb.9:
	s_load_b64 s[20:21], s[0:1], 0x0
	v_lshlrev_b32_e32 v1, 7, v75
	s_mul_hi_i32 s23, s3, s4
	s_mul_i32 s22, s3, s4
	v_lshlrev_b32_e32 v5, 10, v66
	s_lshl_b64 s[22:23], s[22:23], 1
	v_ashrrev_i32_e32 v2, 31, v1
	v_lshlrev_b32_e32 v6, 10, v76
	s_delay_alu instid0(VALU_DEP_3) | instskip(NEXT) | instid1(VALU_DEP_3)
	v_and_b32_e32 v5, 0x3800, v5
	v_lshlrev_b64 v[1:2], 1, v[1:2]
	s_delay_alu instid0(VALU_DEP_2) | instskip(SKIP_3) | instid1(VALU_DEP_2)
	v_or3_b32 v5, v5, v6, v74
	s_waitcnt lgkmcnt(0)
	s_add_u32 s3, s20, s22
	s_addc_u32 s4, s21, s23
	v_add_co_u32 v1, vcc_lo, s3, v1
	v_add_co_ci_u32_e32 v2, vcc_lo, s4, v2, vcc_lo
	s_delay_alu instid0(VALU_DEP_2) | instskip(NEXT) | instid1(VALU_DEP_2)
	v_add_co_u32 v1, vcc_lo, v1, v73
	v_add_co_ci_u32_e32 v2, vcc_lo, 0, v2, vcc_lo
	global_load_b128 v[1:4], v[1:2], off
	s_waitcnt vmcnt(0)
	ds_store_b128 v5, v[1:4]
.LBB1839_10:
	s_or_b32 exec_lo, exec_lo, s7
	v_and_b32_e32 v1, 0xef, v0
	s_add_i32 s3, s18, 15
	s_clause 0x1
	s_load_b32 s4, s[0:1], 0x38
	s_load_b32 s19, s[0:1], 0x1c
	s_ashr_i32 s7, s3, 31
	v_add_nc_u32_e32 v1, s16, v1
	s_lshr_b32 s7, s7, 28
	s_waitcnt lgkmcnt(0)
	s_add_i32 s3, s3, s7
	s_barrier
	v_ashrrev_i32_e32 v2, 31, v1
	v_or_b32_e32 v3, 16, v1
	s_ashr_i32 s3, s3, 4
	v_cmp_gt_i32_e32 vcc_lo, s18, v1
	s_add_i32 s3, s3, -1
	v_lshrrev_b32_e32 v2, 28, v2
	buffer_gl0_inv
	s_mul_i32 s15, s15, s6
	v_lshrrev_b32_e32 v68, 5, v0
	v_lshlrev_b32_e32 v33, 4, v66
	v_add_nc_u32_e32 v4, v1, v2
	v_lshlrev_b32_e32 v137, 6, v76
	s_mul_i32 s20, s30, s4
	s_delay_alu instid0(SALU_CYCLE_1) | instskip(NEXT) | instid1(VALU_DEP_2)
	s_ashr_i32 s21, s20, 31
	v_ashrrev_i32_e32 v4, 4, v4
	v_add_nc_u32_e32 v2, v3, v2
	s_lshl_b64 s[20:21], s[20:21], 2
	v_lshl_or_b32 v33, v68, 8, v33
	s_add_u32 s4, s12, s20
	v_cndmask_b32_e32 v1, s3, v4, vcc_lo
	v_ashrrev_i32_e32 v2, 4, v2
	v_cmp_gt_i32_e32 vcc_lo, s18, v3
	s_addc_u32 s7, s13, s21
	s_ashr_i32 s6, s15, 31
	s_add_u32 s17, s8, s15
	s_addc_u32 s28, s9, s6
	v_cndmask_b32_e32 v3, s3, v2, vcc_lo
	v_ashrrev_i32_e32 v2, 31, v1
	s_lshl_b32 s8, s14, 4
	s_delay_alu instid0(SALU_CYCLE_1) | instskip(NEXT) | instid1(VALU_DEP_2)
	s_ashr_i32 s9, s8, 31
	v_ashrrev_i32_e32 v4, 31, v3
	s_delay_alu instid0(VALU_DEP_2) | instskip(SKIP_1) | instid1(SALU_CYCLE_1)
	v_lshlrev_b64 v[1:2], 2, v[1:2]
	s_lshl_b64 s[8:9], s[8:9], 2
	s_add_u32 s8, s4, s8
	s_delay_alu instid0(VALU_DEP_2) | instskip(SKIP_1) | instid1(VALU_DEP_2)
	v_lshlrev_b64 v[3:4], 2, v[3:4]
	s_addc_u32 s9, s7, s9
	v_add_co_u32 v1, vcc_lo, s4, v1
	v_add_co_ci_u32_e32 v2, vcc_lo, s7, v2, vcc_lo
	s_delay_alu instid0(VALU_DEP_3) | instskip(NEXT) | instid1(VALU_DEP_4)
	v_add_co_u32 v3, vcc_lo, s4, v3
	v_add_co_ci_u32_e32 v4, vcc_lo, s7, v4, vcc_lo
	s_clause 0x1
	global_load_b32 v5, v[1:2], off
	global_load_b32 v3, v[3:4], off
	s_or_b32 s12, s16, 32
	v_lshlrev_b32_e32 v1, 4, v0
	s_ashr_i32 s13, s12, 4
	s_cmp_lt_i32 s12, s18
	s_cselect_b32 s12, s13, s3
	s_delay_alu instid0(VALU_DEP_1) | instskip(SKIP_1) | instid1(SALU_CYCLE_1)
	v_and_b32_e32 v1, 0xf0, v1
	s_ashr_i32 s13, s12, 31
	s_lshl_b64 s[12:13], s[12:13], 2
	s_delay_alu instid0(SALU_CYCLE_1)
	s_add_u32 s12, s4, s12
	s_addc_u32 s13, s7, s13
	s_or_b32 s20, s16, 64
	v_add_co_u32 v1, s17, s17, v1
	s_ashr_i32 s21, s20, 4
	s_cmp_lt_i32 s20, s18
	v_add_co_ci_u32_e64 v2, null, s28, 0, s17
	s_cselect_b32 s20, s21, s3
	s_delay_alu instid0(SALU_CYCLE_1) | instskip(NEXT) | instid1(SALU_CYCLE_1)
	s_ashr_i32 s21, s20, 31
	s_lshl_b64 s[20:21], s[20:21], 2
	s_delay_alu instid0(SALU_CYCLE_1) | instskip(SKIP_2) | instid1(SALU_CYCLE_1)
	s_add_u32 s20, s4, s20
	s_addc_u32 s21, s7, s21
	s_or_b32 s22, s16, 0x60
	s_ashr_i32 s23, s22, 4
	s_cmp_lt_i32 s22, s18
	s_cselect_b32 s22, s23, s3
	s_delay_alu instid0(SALU_CYCLE_1) | instskip(NEXT) | instid1(SALU_CYCLE_1)
	s_ashr_i32 s23, s22, 31
	s_lshl_b64 s[22:23], s[22:23], 2
	s_delay_alu instid0(SALU_CYCLE_1) | instskip(SKIP_2) | instid1(SALU_CYCLE_1)
	s_add_u32 s22, s4, s22
	s_addc_u32 s23, s7, s23
	s_or_b32 s24, s16, 0x80
	s_ashr_i32 s25, s24, 4
	s_cmp_lt_i32 s24, s18
	;; [unrolled: 10-line block ×3, first 2 shown]
	s_cselect_b32 s26, s27, s3
	s_delay_alu instid0(SALU_CYCLE_1) | instskip(NEXT) | instid1(SALU_CYCLE_1)
	s_ashr_i32 s27, s26, 31
	s_lshl_b64 s[26:27], s[26:27], 2
	s_delay_alu instid0(SALU_CYCLE_1)
	s_add_u32 s26, s4, s26
	s_addc_u32 s27, s7, s27
	s_clause 0x5
	s_load_b32 s17, s[8:9], 0x0
	s_load_b32 s28, s[12:13], 0x0
	;; [unrolled: 1-line block ×6, first 2 shown]
	s_or_b32 s8, s16, 0xc0
	s_mov_b32 s20, 0
	s_ashr_i32 s9, s8, 4
	s_cmp_lt_i32 s8, s18
	s_mov_b32 s27, s20
	s_cselect_b32 s8, s9, s3
	s_mov_b32 s21, s20
	s_ashr_i32 s9, s8, 31
	s_mov_b32 s22, s20
	s_lshl_b64 s[8:9], s[8:9], 2
	s_mov_b32 s23, s20
	s_add_u32 s8, s4, s8
	s_addc_u32 s9, s7, s9
	s_or_b32 s12, s16, 0xe0
	s_mov_b32 s24, s20
	s_ashr_i32 s13, s12, 4
	s_cmp_lt_i32 s12, s18
	s_mov_b32 s25, s20
	s_cselect_b32 s12, s13, s3
	s_mov_b32 s26, s20
	s_ashr_i32 s13, s12, 31
	v_mov_b32_e32 v108, s27
	v_mov_b32_e32 v102, s21
	s_lshl_b64 s[12:13], s[12:13], 2
	v_mov_b32_e32 v107, s26
	s_add_u32 s12, s4, s12
	s_addc_u32 s13, s7, s13
	s_add_u32 s3, s10, s15
	s_addc_u32 s4, s11, s6
	v_add_co_u32 v69, s3, s3, v33
	s_delay_alu instid0(VALU_DEP_1)
	v_add_co_ci_u32_e64 v70, null, s4, 0, s3
	v_dual_mov_b32 v106, s25 :: v_dual_mov_b32 v105, s24
	v_dual_mov_b32 v104, s23 :: v_dual_mov_b32 v103, s22
	v_mov_b32_e32 v101, s20
	s_waitcnt lgkmcnt(0)
	v_mad_i64_i32 v[33:34], null, s17, s5, v[69:70]
	v_mad_i64_i32 v[71:72], null, s29, s5, v[69:70]
	;; [unrolled: 1-line block ×5, first 2 shown]
	s_waitcnt vmcnt(1)
	v_mad_i64_i32 v[25:26], null, v5, s5, v[1:2]
	s_waitcnt vmcnt(0)
	v_mad_i64_i32 v[27:28], null, v3, s5, v[1:2]
	s_clause 0xf
	global_load_b128 v[1:4], v[25:26], off
	global_load_b128 v[5:8], v[25:26], off offset:256
	global_load_b128 v[9:12], v[27:28], off
	global_load_b128 v[13:16], v[27:28], off offset:256
	global_load_b128 v[17:20], v[25:26], off offset:512
	;; [unrolled: 1-line block ×13, first 2 shown]
	ds_load_b128 v[25:28], v137
	ds_load_b128 v[29:32], v137 offset:1024
	ds_load_b128 v[109:112], v137 offset:2048
	;; [unrolled: 1-line block ×5, first 2 shown]
	s_clause 0x1
	s_load_b32 s3, s[8:9], 0x0
	s_load_b32 s4, s[12:13], 0x0
	s_clause 0x3
	global_load_b128 v[41:44], v[33:34], off
	global_load_b128 v[45:48], v[33:34], off offset:16
	global_load_b128 v[33:36], v[37:38], off
	global_load_b128 v[37:40], v[37:38], off offset:16
	s_waitcnt vmcnt(18) lgkmcnt(0)
	v_wmma_f32_16x16x16_bf16 v[125:132], v[1:8], v[25:32], v[101:108]
	s_waitcnt vmcnt(16)
	v_wmma_f32_16x16x16_bf16 v[101:108], v[9:16], v[25:32], v[101:108]
	v_mad_i64_i32 v[13:14], null, s35, s5, v[69:70]
	s_waitcnt vmcnt(14)
	v_wmma_f32_16x16x16_bf16 v[125:132], v[17:24], v[109:116], v[125:132]
	s_clause 0x1
	global_load_b128 v[25:28], v[71:72], off
	global_load_b128 v[29:32], v[71:72], off offset:16
	s_waitcnt vmcnt(14)
	v_wmma_f32_16x16x16_bf16 v[101:108], v[49:56], v[109:116], v[101:108]
	v_mad_i64_i32 v[49:50], null, s3, s5, v[69:70]
	v_mad_i64_i32 v[53:54], null, s4, s5, v[69:70]
	s_clause 0x5
	global_load_b128 v[17:20], v[133:134], off
	global_load_b128 v[21:24], v[133:134], off offset:16
	global_load_b128 v[1:4], v[135:136], off
	global_load_b128 v[5:8], v[135:136], off offset:16
	;; [unrolled: 2-line block ×3, first 2 shown]
	s_waitcnt vmcnt(18)
	v_wmma_f32_16x16x16_bf16 v[125:132], v[57:64], v[117:124], v[125:132]
	s_clause 0x3
	global_load_b128 v[57:60], v[49:50], off
	global_load_b128 v[61:64], v[49:50], off offset:16
	global_load_b128 v[49:52], v[53:54], off
	global_load_b128 v[53:56], v[53:54], off offset:16
	v_mbcnt_lo_u32_b32 v70, -1, 0
	s_waitcnt vmcnt(20)
	v_wmma_f32_16x16x16_bf16 v[101:108], v[77:84], v[117:124], v[101:108]
	s_delay_alu instid0(VALU_DEP_2) | instskip(NEXT) | instid1(VALU_DEP_1)
	v_xor_b32_e32 v71, 16, v70
	v_cmp_gt_i32_e32 vcc_lo, 32, v71
	v_cndmask_b32_e32 v70, v70, v71, vcc_lo
	ds_load_b128 v[77:80], v137 offset:6144
	ds_load_b128 v[81:84], v137 offset:7168
	s_waitcnt vmcnt(0) lgkmcnt(0)
	s_barrier
	buffer_gl0_inv
	v_wmma_f32_16x16x16_bf16 v[101:108], v[93:100], v[77:84], v[101:108]
	v_and_b32_e32 v69, 0xe0, v0
	v_wmma_f32_16x16x16_bf16 v[125:132], v[85:92], v[77:84], v[125:132]
	s_delay_alu instid0(VALU_DEP_3) | instskip(NEXT) | instid1(VALU_DEP_3)
	v_mul_f32_e32 v96, s19, v101
	v_dual_mul_f32 v98, s19, v103 :: v_dual_add_nc_u32 v69, s16, v69
	s_delay_alu instid0(VALU_DEP_3) | instskip(SKIP_1) | instid1(VALU_DEP_3)
	v_dual_mul_f32 v80, s19, v126 :: v_dual_mul_f32 v81, s19, v128
	v_mul_f32_e32 v100, s19, v105
	v_or_b32_e32 v69, v69, v65
	v_dual_mul_f32 v82, s19, v127 :: v_dual_mul_f32 v83, s19, v130
	v_dual_mul_f32 v84, s19, v129 :: v_dual_mul_f32 v93, s19, v132
	s_delay_alu instid0(VALU_DEP_3)
	v_or_b32_e32 v71, 2, v69
	v_or_b32_e32 v72, 4, v69
	;; [unrolled: 1-line block ×3, first 2 shown]
	v_cmp_gt_i32_e64 s3, s18, v69
	v_or_b32_e32 v110, 8, v69
	v_cmp_gt_i32_e32 vcc_lo, s18, v71
	v_mul_f32_e32 v71, s19, v125
	v_or_b32_e32 v85, 10, v69
	v_or_b32_e32 v91, 22, v69
	v_cmp_gt_i32_e64 s4, s18, v72
	v_mul_f32_e32 v72, s19, v107
	v_cndmask_b32_e64 v71, 0xff7fffff, v71, s3
	v_cndmask_b32_e32 v80, 0xff7fffff, v80, vcc_lo
	v_cmp_gt_i32_e64 s5, s18, v109
	v_or_b32_e32 v86, 12, v69
	v_or_b32_e32 v87, 14, v69
	v_cndmask_b32_e64 v82, 0xff7fffff, v82, s4
	v_cmp_gt_i32_e64 s6, s18, v110
	v_cndmask_b32_e64 v81, 0xff7fffff, v81, s5
	v_cmp_gt_i32_e64 s7, s18, v85
	v_cmp_gt_i32_e64 s13, s18, v91
	v_lshlrev_b32_e32 v91, 2, v70
	v_max3_f32 v71, v71, 0xff7fffff, v80
	v_or_b32_e32 v88, 16, v69
	v_or_b32_e32 v89, 18, v69
	v_mul_f32_e32 v94, s19, v131
	v_cndmask_b32_e64 v80, 0xff7fffff, v84, s6
	v_cndmask_b32_e64 v83, 0xff7fffff, v83, s7
	v_max3_f32 v71, v71, v82, v81
	v_cmp_gt_i32_e64 s8, s18, v86
	v_cmp_gt_i32_e64 s9, s18, v87
	v_or_b32_e32 v90, 20, v69
	v_mul_f32_e32 v95, s19, v102
	v_max3_f32 v71, v71, v80, v83
	v_cndmask_b32_e64 v81, 0xff7fffff, v94, s8
	v_cndmask_b32_e64 v82, 0xff7fffff, v93, s9
	v_cmp_gt_i32_e64 s10, s18, v88
	v_cmp_gt_i32_e64 s11, s18, v89
	v_or_b32_e32 v92, 24, v69
	v_or_b32_e32 v77, 26, v69
	v_mul_f32_e32 v97, s19, v104
	v_cndmask_b32_e64 v80, 0xff7fffff, v96, s10
	v_cndmask_b32_e64 v83, 0xff7fffff, v95, s11
	v_max3_f32 v71, v71, v81, v82
	v_cmp_gt_i32_e64 s12, s18, v90
	v_or_b32_e32 v78, 28, v69
	v_or_b32_e32 v79, 30, v69
	v_mul_f32_e32 v99, s19, v106
	v_cndmask_b32_e64 v82, 0xff7fffff, v97, s13
	v_cndmask_b32_e64 v81, 0xff7fffff, v98, s12
	v_max3_f32 v71, v71, v80, v83
	v_cmp_gt_i32_e64 s15, s18, v92
	v_cmp_gt_i32_e64 s16, s18, v77
	v_mul_f32_e32 v69, s19, v108
	v_cmp_gt_i32_e64 s17, s18, v78
	v_max3_f32 v71, v71, v81, v82
	v_cndmask_b32_e64 v80, 0xff7fffff, v100, s15
	v_cndmask_b32_e64 v77, 0xff7fffff, v99, s16
	v_cmp_gt_i32_e64 s18, s18, v79
	v_cndmask_b32_e64 v72, 0xff7fffff, v72, s17
	s_delay_alu instid0(VALU_DEP_3) | instskip(NEXT) | instid1(VALU_DEP_3)
	v_max3_f32 v71, v71, v80, v77
	v_cndmask_b32_e64 v69, 0xff7fffff, v69, s18
	s_delay_alu instid0(VALU_DEP_1) | instskip(SKIP_3) | instid1(VALU_DEP_1)
	v_max3_f32 v69, v71, v72, v69
	ds_bpermute_b32 v70, v91, v69
	s_waitcnt lgkmcnt(0)
	v_max_f32_e32 v70, v70, v70
	v_max_f32_e32 v69, v69, v70
	s_delay_alu instid0(VALU_DEP_1)
	v_fma_f32 v70, s19, v125, -v69
	v_fma_f32 v71, s19, v126, -v69
	v_fma_f32 v72, s19, v127, -v69
	v_fma_f32 v77, s19, v128, -v69
	v_fma_f32 v78, s19, v129, -v69
	v_mul_f32_e32 v70, 0x3fb8aa3b, v70
	s_delay_alu instid0(VALU_DEP_3) | instskip(NEXT) | instid1(VALU_DEP_3)
	v_dual_mul_f32 v72, 0x3fb8aa3b, v72 :: v_dual_mul_f32 v77, 0x3fb8aa3b, v77
	v_mul_f32_e32 v78, 0x3fb8aa3b, v78
	s_delay_alu instid0(VALU_DEP_3) | instskip(NEXT) | instid1(VALU_DEP_2)
	v_exp_f32_e32 v70, v70
	v_exp_f32_e32 v72, v72
	s_delay_alu instid0(VALU_DEP_2) | instskip(NEXT) | instid1(VALU_DEP_1)
	v_exp_f32_e32 v79, v77
	v_exp_f32_e32 v78, v78
	v_cndmask_b32_e64 v81, 0, v70, s3
	v_fma_f32 v70, s19, v130, -v69
	v_mul_f32_e32 v71, 0x3fb8aa3b, v71
	s_delay_alu instid0(TRANS32_DEP_3)
	v_cndmask_b32_e64 v85, 0, v72, s4
	s_waitcnt_depctr 0xfff
	v_cndmask_b32_e64 v87, 0, v79, s5
	v_cndmask_b32_e64 v88, 0, v78, s6
	v_mul_f32_e32 v70, 0x3fb8aa3b, v70
	v_exp_f32_e32 v71, v71
	s_mov_b32 s3, exec_lo
	s_delay_alu instid0(VALU_DEP_1) | instskip(SKIP_4) | instid1(VALU_DEP_2)
	v_exp_f32_e32 v70, v70
	s_waitcnt_depctr 0xfff
	v_cndmask_b32_e32 v77, 0, v71, vcc_lo
	v_add_f32_e32 v71, 0, v81
	v_cndmask_b32_e64 v89, 0, v70, s7
	v_add_f32_e32 v71, v71, v77
	s_delay_alu instid0(VALU_DEP_1) | instskip(NEXT) | instid1(VALU_DEP_1)
	v_add_f32_e32 v71, v71, v85
	v_add_f32_e32 v71, v71, v87
	s_delay_alu instid0(VALU_DEP_1) | instskip(NEXT) | instid1(VALU_DEP_1)
	v_add_f32_e32 v70, v71, v88
	v_add_f32_e32 v70, v70, v89
	v_fma_f32 v80, s19, v131, -v69
	v_fma_f32 v72, s19, v132, -v69
	;; [unrolled: 1-line block ×5, first 2 shown]
	v_mul_f32_e32 v80, 0x3fb8aa3b, v80
	s_delay_alu instid0(VALU_DEP_4) | instskip(NEXT) | instid1(VALU_DEP_3)
	v_dual_mul_f32 v72, 0x3fb8aa3b, v72 :: v_dual_mul_f32 v79, 0x3fb8aa3b, v79
	v_dual_mul_f32 v78, 0x3fb8aa3b, v78 :: v_dual_mul_f32 v71, 0x3fb8aa3b, v71
	s_delay_alu instid0(VALU_DEP_3) | instskip(NEXT) | instid1(VALU_DEP_2)
	v_exp_f32_e32 v80, v80
	v_exp_f32_e32 v72, v72
	s_delay_alu instid0(VALU_DEP_2) | instskip(NEXT) | instid1(VALU_DEP_1)
	v_exp_f32_e32 v79, v79
	v_exp_f32_e32 v78, v78
	;; [unrolled: 1-line block ×3, first 2 shown]
	v_fma_f32 v83, s19, v106, -v69
	v_cndmask_b32_e64 v86, 0, v80, s8
	v_fma_f32 v80, s19, v104, -v69
	v_cndmask_b32_e64 v90, 0, v72, s9
	v_fma_f32 v72, s19, v105, -v69
	s_delay_alu instid0(TRANS32_DEP_3) | instskip(SKIP_2) | instid1(VALU_DEP_2)
	v_cndmask_b32_e64 v71, 0, v79, s10
	v_add_f32_e32 v70, v70, v86
	v_dual_mul_f32 v80, 0x3fb8aa3b, v80 :: v_dual_mul_f32 v83, 0x3fb8aa3b, v83
	v_dual_mul_f32 v72, 0x3fb8aa3b, v72 :: v_dual_add_f32 v79, v70, v90
	s_delay_alu instid0(VALU_DEP_2) | instskip(SKIP_1) | instid1(VALU_DEP_2)
	v_exp_f32_e32 v80, v80
	v_cndmask_b32_e64 v70, 0, v78, s11
	v_exp_f32_e32 v84, v72
	v_cndmask_b32_e64 v72, 0, v82, s12
	v_add_f32_e32 v78, v79, v71
	v_fma_f32 v79, s19, v107, -v69
	v_exp_f32_e32 v83, v83
	s_delay_alu instid0(VALU_DEP_1) | instskip(NEXT) | instid1(TRANS32_DEP_3)
	v_dual_add_f32 v82, v78, v70 :: v_dual_mul_f32 v79, 0x3fb8aa3b, v79
	v_cndmask_b32_e64 v78, 0, v80, s13
	s_delay_alu instid0(VALU_DEP_2) | instskip(SKIP_1) | instid1(VALU_DEP_4)
	v_add_f32_e32 v80, v82, v72
	v_fma_f32 v82, s19, v108, -v69
	v_exp_f32_e32 v92, v79
	v_cndmask_b32_e64 v79, 0, v84, s15
	s_delay_alu instid0(VALU_DEP_3) | instskip(NEXT) | instid1(VALU_DEP_3)
	v_add_f32_e32 v84, v80, v78
	v_mul_f32_e32 v82, 0x3fb8aa3b, v82
	s_delay_alu instid0(TRANS32_DEP_2) | instskip(NEXT) | instid1(VALU_DEP_3)
	v_cndmask_b32_e64 v80, 0, v83, s16
	v_add_f32_e32 v83, v84, v79
	s_delay_alu instid0(VALU_DEP_3) | instskip(NEXT) | instid1(TRANS32_DEP_2)
	v_exp_f32_e32 v84, v82
	v_cndmask_b32_e64 v82, 0, v92, s17
	s_delay_alu instid0(VALU_DEP_2) | instskip(NEXT) | instid1(VALU_DEP_1)
	v_add_f32_e32 v83, v83, v80
	v_add_f32_e32 v92, v83, v82
	s_waitcnt_depctr 0xfff
	v_cndmask_b32_e64 v83, 0, v84, s18
	s_delay_alu instid0(VALU_DEP_1)
	v_add_f32_e32 v84, v92, v83
	ds_bpermute_b32 v91, v91, v84
	v_cmpx_gt_u32_e32 16, v67
	s_cbranch_execz .LBB1839_12
; %bb.11:
	v_mul_u32_u24_e32 v67, 0x44, v68
	s_waitcnt lgkmcnt(0)
	v_add_f32_e32 v84, v84, v91
	s_delay_alu instid0(VALU_DEP_2) | instskip(NEXT) | instid1(VALU_DEP_1)
	v_lshl_add_u32 v67, v66, 2, v67
	v_add_nc_u32_e32 v67, 0x4000, v67
	ds_store_2addr_b32 v67, v69, v84 offset1:136
.LBB1839_12:
	s_or_b32 exec_lo, exec_lo, s3
	v_lshlrev_b32_e32 v67, 2, v66
	s_waitcnt lgkmcnt(0)
	s_barrier
	buffer_gl0_inv
	v_cmp_eq_u32_e32 vcc_lo, 1, v68
	v_add_nc_u32_e32 v84, 0x4000, v67
	v_cmp_eq_u32_e64 s3, 2, v68
	v_cmp_eq_u32_e64 s5, 7, v68
	ds_load_2addr_b32 v[91:92], v84 offset1:17
	ds_load_2addr_b32 v[93:94], v84 offset0:34 offset1:51
	ds_load_2addr_b32 v[95:96], v84 offset0:68 offset1:85
	;; [unrolled: 1-line block ×4, first 2 shown]
	s_waitcnt lgkmcnt(4)
	v_max3_f32 v67, v91, 0xff7fffff, v92
	s_waitcnt lgkmcnt(3)
	s_delay_alu instid0(VALU_DEP_1) | instskip(SKIP_1) | instid1(VALU_DEP_1)
	v_max3_f32 v67, v67, v93, v94
	s_waitcnt lgkmcnt(2)
	v_max3_f32 v67, v67, v95, v96
	s_waitcnt lgkmcnt(1)
	s_delay_alu instid0(VALU_DEP_1) | instskip(NEXT) | instid1(VALU_DEP_1)
	v_max3_f32 v67, v67, v97, v98
	v_sub_f32_e32 v69, v91, v67
	v_sub_f32_e32 v101, v92, v67
	;; [unrolled: 1-line block ×4, first 2 shown]
	s_delay_alu instid0(VALU_DEP_4) | instskip(NEXT) | instid1(VALU_DEP_4)
	v_mul_f32_e32 v69, 0x3fb8aa3b, v69
	v_mul_f32_e32 v101, 0x3fb8aa3b, v101
	s_delay_alu instid0(VALU_DEP_4) | instskip(NEXT) | instid1(VALU_DEP_4)
	v_mul_f32_e32 v103, 0x3fb8aa3b, v93
	v_mul_f32_e32 v105, 0x3fb8aa3b, v95
	s_delay_alu instid0(VALU_DEP_4) | instskip(SKIP_3) | instid1(VALU_DEP_1)
	v_exp_f32_e32 v102, v69
	v_sub_f32_e32 v69, v94, v67
	v_exp_f32_e32 v101, v101
	v_exp_f32_e32 v103, v103
	v_mul_f32_e32 v104, 0x3fb8aa3b, v69
	s_waitcnt lgkmcnt(0)
	s_delay_alu instid0(TRANS32_DEP_3) | instskip(SKIP_1) | instid1(VALU_DEP_3)
	v_fma_f32 v69, v102, v99, 0
	v_sub_f32_e32 v99, v96, v67
	v_exp_f32_e32 v104, v104
	s_delay_alu instid0(TRANS32_DEP_3) | instid1(VALU_DEP_2)
	v_fmac_f32_e32 v69, v101, v100
	ds_load_2addr_b32 v[91:92], v84 offset0:170 offset1:187
	ds_load_2addr_b32 v[93:94], v84 offset0:204 offset1:221
	;; [unrolled: 1-line block ×3, first 2 shown]
	v_sub_f32_e32 v84, v97, v67
	v_mul_f32_e32 v97, 0x3fb8aa3b, v99
	v_exp_f32_e32 v99, v105
	s_waitcnt lgkmcnt(0)
	s_barrier
	v_mul_f32_e32 v84, 0x3fb8aa3b, v84
	v_exp_f32_e32 v97, v97
	buffer_gl0_inv
	v_exp_f32_e32 v84, v84
	v_fmac_f32_e32 v69, v103, v91
	v_sub_f32_e32 v91, v98, v67
	s_delay_alu instid0(VALU_DEP_2) | instskip(NEXT) | instid1(VALU_DEP_2)
	v_fmac_f32_e32 v69, v104, v92
	v_mul_f32_e32 v91, 0x3fb8aa3b, v91
	s_delay_alu instid0(VALU_DEP_2) | instskip(NEXT) | instid1(VALU_DEP_2)
	v_fmac_f32_e32 v69, v99, v93
	v_exp_f32_e32 v91, v91
	s_delay_alu instid0(VALU_DEP_1)
	v_fmac_f32_e32 v69, v97, v94
	s_delay_alu instid0(TRANS32_DEP_2) | instid1(VALU_DEP_1)
	v_fmac_f32_e32 v69, v84, v95
	s_waitcnt_depctr 0xfff
	v_fmac_f32_e32 v69, v91, v96
	s_delay_alu instid0(VALU_DEP_1) | instskip(NEXT) | instid1(VALU_DEP_1)
	v_add_f32_e32 v92, 0x358637bd, v69
	v_div_scale_f32 v93, null, v92, v92, 1.0
	v_div_scale_f32 v96, s4, 1.0, v92, 1.0
	s_delay_alu instid0(VALU_DEP_2) | instskip(SKIP_2) | instid1(VALU_DEP_1)
	v_rcp_f32_e32 v94, v93
	s_waitcnt_depctr 0xfff
	v_fma_f32 v95, -v93, v94, 1.0
	v_dual_fmac_f32 v94, v95, v94 :: v_dual_cndmask_b32 v95, v102, v101
	v_cmp_eq_u32_e32 vcc_lo, 3, v68
	s_delay_alu instid0(VALU_DEP_2) | instskip(NEXT) | instid1(VALU_DEP_3)
	v_mul_f32_e32 v98, v96, v94
	v_cndmask_b32_e64 v95, v95, v103, s3
	v_cmp_eq_u32_e64 s3, 4, v68
	s_delay_alu instid0(VALU_DEP_3) | instskip(NEXT) | instid1(VALU_DEP_3)
	v_fma_f32 v100, -v93, v98, v96
	v_cndmask_b32_e32 v95, v95, v104, vcc_lo
	v_cmp_eq_u32_e32 vcc_lo, 5, v68
	s_delay_alu instid0(VALU_DEP_3) | instskip(NEXT) | instid1(VALU_DEP_3)
	v_fmac_f32_e32 v98, v100, v94
	v_cndmask_b32_e64 v95, v95, v99, s3
	v_cmp_eq_u32_e64 s3, 6, v68
	s_delay_alu instid0(VALU_DEP_3) | instskip(NEXT) | instid1(VALU_DEP_3)
	v_fma_f32 v93, -v93, v98, v96
	v_cndmask_b32_e32 v95, v95, v97, vcc_lo
	s_mov_b32 vcc_lo, s4
	s_delay_alu instid0(VALU_DEP_2) | instskip(NEXT) | instid1(VALU_DEP_2)
	v_div_fmas_f32 v93, v93, v94, v98
	v_cndmask_b32_e64 v84, v95, v84, s3
	s_mov_b32 s3, exec_lo
	s_delay_alu instid0(VALU_DEP_2) | instskip(NEXT) | instid1(VALU_DEP_2)
	v_div_fixup_f32 v92, v93, v92, 1.0
	v_cndmask_b32_e64 v84, v84, v91, s5
	s_delay_alu instid0(VALU_DEP_1) | instskip(NEXT) | instid1(VALU_DEP_1)
	v_mul_f32_e32 v84, v84, v92
	v_mul_f32_e32 v92, v84, v81
	;; [unrolled: 1-line block ×6, first 2 shown]
	v_dual_mul_f32 v88, v84, v85 :: v_dual_and_b32 v93, 0x7f800000, v92
	v_mul_f32_e32 v91, v84, v87
	v_mul_f32_e32 v87, v84, v77
                                        ; implicit-def: $vgpr77
	s_delay_alu instid0(VALU_DEP_3)
	v_cmpx_ne_u32_e32 0x7f800000, v93
	s_xor_b32 s3, exec_lo, s3
; %bb.13:
	v_bfe_u32 v77, v92, 16, 1
	s_delay_alu instid0(VALU_DEP_1)
	v_add3_u32 v77, v92, v77, 0x7fff
                                        ; implicit-def: $vgpr92
; %bb.14:
	s_and_not1_saveexec_b32 s3, s3
; %bb.15:
	v_and_b32_e32 v77, 0xffff, v92
	v_or_b32_e32 v85, 0x10000, v92
	s_delay_alu instid0(VALU_DEP_2) | instskip(NEXT) | instid1(VALU_DEP_2)
	v_cmp_eq_u32_e32 vcc_lo, 0, v77
	v_cndmask_b32_e32 v77, v85, v92, vcc_lo
; %bb.16:
	s_or_b32 exec_lo, exec_lo, s3
	v_and_b32_e32 v85, 0x7f800000, v87
	s_delay_alu instid0(VALU_DEP_1) | instskip(SKIP_1) | instid1(SALU_CYCLE_1)
	v_cmp_ne_u32_e32 vcc_lo, 0x7f800000, v85
                                        ; implicit-def: $vgpr85
	s_and_saveexec_b32 s3, vcc_lo
	s_xor_b32 s3, exec_lo, s3
; %bb.17:
	v_bfe_u32 v85, v87, 16, 1
	s_delay_alu instid0(VALU_DEP_1)
	v_add3_u32 v85, v87, v85, 0x7fff
                                        ; implicit-def: $vgpr87
; %bb.18:
	s_and_not1_saveexec_b32 s3, s3
; %bb.19:
	v_and_b32_e32 v85, 0xffff, v87
	v_or_b32_e32 v92, 0x10000, v87
	s_delay_alu instid0(VALU_DEP_2) | instskip(NEXT) | instid1(VALU_DEP_2)
	v_cmp_eq_u32_e32 vcc_lo, 0, v85
	v_cndmask_b32_e32 v85, v92, v87, vcc_lo
; %bb.20:
	s_or_b32 exec_lo, exec_lo, s3
	v_and_b32_e32 v87, 0x7f800000, v88
	s_delay_alu instid0(VALU_DEP_1) | instskip(SKIP_1) | instid1(SALU_CYCLE_1)
	v_cmp_ne_u32_e32 vcc_lo, 0x7f800000, v87
                                        ; implicit-def: $vgpr87
	s_and_saveexec_b32 s3, vcc_lo
	s_xor_b32 s3, exec_lo, s3
; %bb.21:
	v_bfe_u32 v87, v88, 16, 1
	s_delay_alu instid0(VALU_DEP_1)
	v_add3_u32 v87, v88, v87, 0x7fff
                                        ; implicit-def: $vgpr88
; %bb.22:
	s_and_not1_saveexec_b32 s3, s3
; %bb.23:
	v_and_b32_e32 v87, 0xffff, v88
	v_or_b32_e32 v92, 0x10000, v88
	s_delay_alu instid0(VALU_DEP_2) | instskip(NEXT) | instid1(VALU_DEP_2)
	v_cmp_eq_u32_e32 vcc_lo, 0, v87
	v_cndmask_b32_e32 v87, v92, v88, vcc_lo
; %bb.24:
	s_or_b32 exec_lo, exec_lo, s3
	v_and_b32_e32 v88, 0x7f800000, v91
	s_delay_alu instid0(VALU_DEP_1) | instskip(SKIP_1) | instid1(SALU_CYCLE_1)
	v_cmp_ne_u32_e32 vcc_lo, 0x7f800000, v88
                                        ; implicit-def: $vgpr88
	s_and_saveexec_b32 s3, vcc_lo
	s_xor_b32 s3, exec_lo, s3
; %bb.25:
	v_bfe_u32 v88, v91, 16, 1
	s_delay_alu instid0(VALU_DEP_1)
	v_add3_u32 v88, v91, v88, 0x7fff
                                        ; implicit-def: $vgpr91
; %bb.26:
	s_and_not1_saveexec_b32 s3, s3
; %bb.27:
	v_and_b32_e32 v88, 0xffff, v91
	v_or_b32_e32 v92, 0x10000, v91
	s_delay_alu instid0(VALU_DEP_2) | instskip(NEXT) | instid1(VALU_DEP_2)
	v_cmp_eq_u32_e32 vcc_lo, 0, v88
	v_cndmask_b32_e32 v88, v92, v91, vcc_lo
; %bb.28:
	s_or_b32 exec_lo, exec_lo, s3
	v_and_b32_e32 v91, 0x7f800000, v90
	s_delay_alu instid0(VALU_DEP_1) | instskip(SKIP_1) | instid1(SALU_CYCLE_1)
	v_cmp_ne_u32_e32 vcc_lo, 0x7f800000, v91
                                        ; implicit-def: $vgpr91
	s_and_saveexec_b32 s3, vcc_lo
	s_xor_b32 s3, exec_lo, s3
; %bb.29:
	v_bfe_u32 v91, v90, 16, 1
	s_delay_alu instid0(VALU_DEP_1)
	v_add3_u32 v91, v90, v91, 0x7fff
                                        ; implicit-def: $vgpr90
; %bb.30:
	s_and_not1_saveexec_b32 s3, s3
; %bb.31:
	v_and_b32_e32 v91, 0xffff, v90
	v_or_b32_e32 v92, 0x10000, v90
	s_delay_alu instid0(VALU_DEP_2) | instskip(NEXT) | instid1(VALU_DEP_2)
	v_cmp_eq_u32_e32 vcc_lo, 0, v91
	v_cndmask_b32_e32 v91, v92, v90, vcc_lo
; %bb.32:
	s_or_b32 exec_lo, exec_lo, s3
	v_and_b32_e32 v90, 0x7f800000, v89
	s_delay_alu instid0(VALU_DEP_1) | instskip(SKIP_1) | instid1(SALU_CYCLE_1)
	v_cmp_ne_u32_e32 vcc_lo, 0x7f800000, v90
                                        ; implicit-def: $vgpr90
	s_and_saveexec_b32 s3, vcc_lo
	s_xor_b32 s3, exec_lo, s3
; %bb.33:
	v_bfe_u32 v90, v89, 16, 1
	s_delay_alu instid0(VALU_DEP_1)
	v_add3_u32 v90, v89, v90, 0x7fff
                                        ; implicit-def: $vgpr89
; %bb.34:
	s_and_not1_saveexec_b32 s3, s3
; %bb.35:
	v_and_b32_e32 v90, 0xffff, v89
	v_or_b32_e32 v92, 0x10000, v89
	s_delay_alu instid0(VALU_DEP_2) | instskip(NEXT) | instid1(VALU_DEP_2)
	v_cmp_eq_u32_e32 vcc_lo, 0, v90
	v_cndmask_b32_e32 v90, v92, v89, vcc_lo
; %bb.36:
	s_or_b32 exec_lo, exec_lo, s3
	v_and_b32_e32 v89, 0x7f800000, v86
	s_delay_alu instid0(VALU_DEP_1) | instskip(SKIP_1) | instid1(SALU_CYCLE_1)
	v_cmp_ne_u32_e32 vcc_lo, 0x7f800000, v89
                                        ; implicit-def: $vgpr89
	s_and_saveexec_b32 s3, vcc_lo
	s_xor_b32 s3, exec_lo, s3
; %bb.37:
	v_bfe_u32 v89, v86, 16, 1
	s_delay_alu instid0(VALU_DEP_1)
	v_add3_u32 v89, v86, v89, 0x7fff
                                        ; implicit-def: $vgpr86
; %bb.38:
	s_and_not1_saveexec_b32 s3, s3
; %bb.39:
	v_and_b32_e32 v89, 0xffff, v86
	v_or_b32_e32 v92, 0x10000, v86
	s_delay_alu instid0(VALU_DEP_2) | instskip(NEXT) | instid1(VALU_DEP_2)
	v_cmp_eq_u32_e32 vcc_lo, 0, v89
	v_cndmask_b32_e32 v89, v92, v86, vcc_lo
; %bb.40:
	s_or_b32 exec_lo, exec_lo, s3
	v_and_b32_e32 v86, 0x7f800000, v81
	s_delay_alu instid0(VALU_DEP_1) | instskip(SKIP_1) | instid1(SALU_CYCLE_1)
	v_cmp_ne_u32_e32 vcc_lo, 0x7f800000, v86
                                        ; implicit-def: $vgpr86
	s_and_saveexec_b32 s3, vcc_lo
	s_xor_b32 s3, exec_lo, s3
; %bb.41:
	v_bfe_u32 v86, v81, 16, 1
	s_delay_alu instid0(VALU_DEP_1)
	v_add3_u32 v86, v81, v86, 0x7fff
                                        ; implicit-def: $vgpr81
; %bb.42:
	s_and_not1_saveexec_b32 s3, s3
; %bb.43:
	v_and_b32_e32 v86, 0xffff, v81
	v_or_b32_e32 v92, 0x10000, v81
	s_delay_alu instid0(VALU_DEP_2) | instskip(NEXT) | instid1(VALU_DEP_2)
	v_cmp_eq_u32_e32 vcc_lo, 0, v86
	v_cndmask_b32_e32 v86, v92, v81, vcc_lo
; %bb.44:
	s_or_b32 exec_lo, exec_lo, s3
	s_load_b64 s[34:35], s[0:1], 0x94
	v_lshlrev_b32_e32 v93, 4, v65
	s_delay_alu instid0(VALU_DEP_2)
	v_perm_b32 v92, v86, v89, 0x7060302
	v_dual_mul_f32 v80, v84, v80 :: v_dual_lshlrev_b32 v81, 6, v66
	v_lshlrev_b32_e32 v66, 11, v68
	v_perm_b32 v89, v85, v77, 0x7060302
	v_mul_f32_e32 v85, v84, v71
	v_perm_b32 v91, v90, v91, 0x7060302
	v_perm_b32 v90, v88, v87, 0x7060302
	v_or3_b32 v77, v93, v66, v81
	v_mul_f32_e32 v66, v84, v83
	v_dual_mul_f32 v71, v84, v82 :: v_dual_and_b32 v86, 0x7f800000, v85
	v_mul_f32_e32 v79, v84, v79
	v_mul_f32_e32 v83, v84, v78
	v_mul_f32_e32 v82, v84, v72
	v_mul_f32_e32 v78, v84, v70
	s_mov_b32 s3, exec_lo
	ds_store_b128 v77, v[89:92]
                                        ; implicit-def: $vgpr70
	v_cmpx_ne_u32_e32 0x7f800000, v86
	s_xor_b32 s3, exec_lo, s3
; %bb.45:
	v_bfe_u32 v70, v85, 16, 1
	s_delay_alu instid0(VALU_DEP_1)
	v_add3_u32 v70, v85, v70, 0x7fff
                                        ; implicit-def: $vgpr85
; %bb.46:
	s_and_not1_saveexec_b32 s3, s3
; %bb.47:
	v_and_b32_e32 v70, 0xffff, v85
	v_or_b32_e32 v72, 0x10000, v85
	s_delay_alu instid0(VALU_DEP_2) | instskip(NEXT) | instid1(VALU_DEP_2)
	v_cmp_eq_u32_e32 vcc_lo, 0, v70
	v_cndmask_b32_e32 v70, v72, v85, vcc_lo
; %bb.48:
	s_or_b32 exec_lo, exec_lo, s3
	v_and_b32_e32 v72, 0x7f800000, v78
	s_delay_alu instid0(VALU_DEP_1) | instskip(SKIP_1) | instid1(SALU_CYCLE_1)
	v_cmp_ne_u32_e32 vcc_lo, 0x7f800000, v72
                                        ; implicit-def: $vgpr72
	s_and_saveexec_b32 s3, vcc_lo
	s_xor_b32 s3, exec_lo, s3
; %bb.49:
	v_bfe_u32 v72, v78, 16, 1
	s_delay_alu instid0(VALU_DEP_1)
	v_add3_u32 v72, v78, v72, 0x7fff
                                        ; implicit-def: $vgpr78
; %bb.50:
	s_and_not1_saveexec_b32 s3, s3
; %bb.51:
	v_and_b32_e32 v72, 0xffff, v78
	v_or_b32_e32 v84, 0x10000, v78
	s_delay_alu instid0(VALU_DEP_2) | instskip(NEXT) | instid1(VALU_DEP_2)
	v_cmp_eq_u32_e32 vcc_lo, 0, v72
	v_cndmask_b32_e32 v72, v84, v78, vcc_lo
; %bb.52:
	s_or_b32 exec_lo, exec_lo, s3
	v_and_b32_e32 v78, 0x7f800000, v82
	s_delay_alu instid0(VALU_DEP_1) | instskip(SKIP_1) | instid1(SALU_CYCLE_1)
	v_cmp_ne_u32_e32 vcc_lo, 0x7f800000, v78
                                        ; implicit-def: $vgpr78
	s_and_saveexec_b32 s3, vcc_lo
	s_xor_b32 s3, exec_lo, s3
; %bb.53:
	v_bfe_u32 v78, v82, 16, 1
	s_delay_alu instid0(VALU_DEP_1)
	v_add3_u32 v78, v82, v78, 0x7fff
                                        ; implicit-def: $vgpr82
; %bb.54:
	s_and_not1_saveexec_b32 s3, s3
; %bb.55:
	v_and_b32_e32 v78, 0xffff, v82
	v_or_b32_e32 v84, 0x10000, v82
	s_delay_alu instid0(VALU_DEP_2) | instskip(NEXT) | instid1(VALU_DEP_2)
	v_cmp_eq_u32_e32 vcc_lo, 0, v78
	v_cndmask_b32_e32 v78, v84, v82, vcc_lo
; %bb.56:
	s_or_b32 exec_lo, exec_lo, s3
	v_and_b32_e32 v82, 0x7f800000, v83
	s_delay_alu instid0(VALU_DEP_1) | instskip(SKIP_1) | instid1(SALU_CYCLE_1)
	v_cmp_ne_u32_e32 vcc_lo, 0x7f800000, v82
                                        ; implicit-def: $vgpr82
	s_and_saveexec_b32 s3, vcc_lo
	s_xor_b32 s3, exec_lo, s3
; %bb.57:
	v_bfe_u32 v82, v83, 16, 1
	s_delay_alu instid0(VALU_DEP_1)
	v_add3_u32 v82, v83, v82, 0x7fff
                                        ; implicit-def: $vgpr83
; %bb.58:
	s_and_not1_saveexec_b32 s3, s3
; %bb.59:
	v_and_b32_e32 v82, 0xffff, v83
	v_or_b32_e32 v84, 0x10000, v83
	s_delay_alu instid0(VALU_DEP_2) | instskip(NEXT) | instid1(VALU_DEP_2)
	v_cmp_eq_u32_e32 vcc_lo, 0, v82
	v_cndmask_b32_e32 v82, v84, v83, vcc_lo
; %bb.60:
	s_or_b32 exec_lo, exec_lo, s3
	v_and_b32_e32 v83, 0x7f800000, v79
	s_delay_alu instid0(VALU_DEP_1) | instskip(SKIP_1) | instid1(SALU_CYCLE_1)
	v_cmp_ne_u32_e32 vcc_lo, 0x7f800000, v83
                                        ; implicit-def: $vgpr83
	s_and_saveexec_b32 s3, vcc_lo
	s_xor_b32 s3, exec_lo, s3
; %bb.61:
	v_bfe_u32 v83, v79, 16, 1
	s_delay_alu instid0(VALU_DEP_1)
	v_add3_u32 v83, v79, v83, 0x7fff
                                        ; implicit-def: $vgpr79
; %bb.62:
	s_and_not1_saveexec_b32 s3, s3
; %bb.63:
	v_and_b32_e32 v83, 0xffff, v79
	v_or_b32_e32 v84, 0x10000, v79
	s_delay_alu instid0(VALU_DEP_2) | instskip(NEXT) | instid1(VALU_DEP_2)
	v_cmp_eq_u32_e32 vcc_lo, 0, v83
	v_cndmask_b32_e32 v83, v84, v79, vcc_lo
; %bb.64:
	s_or_b32 exec_lo, exec_lo, s3
	v_and_b32_e32 v79, 0x7f800000, v80
	s_delay_alu instid0(VALU_DEP_1) | instskip(SKIP_1) | instid1(SALU_CYCLE_1)
	v_cmp_ne_u32_e32 vcc_lo, 0x7f800000, v79
                                        ; implicit-def: $vgpr79
	s_and_saveexec_b32 s3, vcc_lo
	s_xor_b32 s3, exec_lo, s3
; %bb.65:
	v_bfe_u32 v79, v80, 16, 1
	s_delay_alu instid0(VALU_DEP_1)
	v_add3_u32 v79, v80, v79, 0x7fff
                                        ; implicit-def: $vgpr80
; %bb.66:
	s_and_not1_saveexec_b32 s3, s3
; %bb.67:
	v_and_b32_e32 v79, 0xffff, v80
	v_or_b32_e32 v84, 0x10000, v80
	s_delay_alu instid0(VALU_DEP_2) | instskip(NEXT) | instid1(VALU_DEP_2)
	v_cmp_eq_u32_e32 vcc_lo, 0, v79
	v_cndmask_b32_e32 v79, v84, v80, vcc_lo
; %bb.68:
	s_or_b32 exec_lo, exec_lo, s3
	v_and_b32_e32 v80, 0x7f800000, v71
	s_delay_alu instid0(VALU_DEP_1) | instskip(SKIP_1) | instid1(SALU_CYCLE_1)
	v_cmp_ne_u32_e32 vcc_lo, 0x7f800000, v80
                                        ; implicit-def: $vgpr80
	s_and_saveexec_b32 s3, vcc_lo
	s_xor_b32 s3, exec_lo, s3
; %bb.69:
	v_bfe_u32 v80, v71, 16, 1
	s_delay_alu instid0(VALU_DEP_1)
	v_add3_u32 v80, v71, v80, 0x7fff
                                        ; implicit-def: $vgpr71
; %bb.70:
	s_and_not1_saveexec_b32 s3, s3
; %bb.71:
	v_and_b32_e32 v80, 0xffff, v71
	v_or_b32_e32 v84, 0x10000, v71
	s_delay_alu instid0(VALU_DEP_2) | instskip(NEXT) | instid1(VALU_DEP_2)
	v_cmp_eq_u32_e32 vcc_lo, 0, v80
	v_cndmask_b32_e32 v80, v84, v71, vcc_lo
; %bb.72:
	s_or_b32 exec_lo, exec_lo, s3
	v_and_b32_e32 v71, 0x7f800000, v66
	s_delay_alu instid0(VALU_DEP_1) | instskip(SKIP_1) | instid1(SALU_CYCLE_1)
	v_cmp_ne_u32_e32 vcc_lo, 0x7f800000, v71
                                        ; implicit-def: $vgpr71
	s_and_saveexec_b32 s3, vcc_lo
	s_xor_b32 s3, exec_lo, s3
; %bb.73:
	v_bfe_u32 v71, v66, 16, 1
	s_delay_alu instid0(VALU_DEP_1)
	v_add3_u32 v71, v66, v71, 0x7fff
                                        ; implicit-def: $vgpr66
; %bb.74:
	s_and_not1_saveexec_b32 s3, s3
; %bb.75:
	v_and_b32_e32 v71, 0xffff, v66
	v_or_b32_e32 v84, 0x10000, v66
	s_delay_alu instid0(VALU_DEP_2) | instskip(NEXT) | instid1(VALU_DEP_2)
	v_cmp_eq_u32_e32 vcc_lo, 0, v71
	v_cndmask_b32_e32 v71, v84, v66, vcc_lo
; %bb.76:
	s_or_b32 exec_lo, exec_lo, s3
	s_delay_alu instid0(VALU_DEP_1)
	v_perm_b32 v87, v71, v80, 0x7060302
	v_perm_b32 v86, v79, v83, 0x7060302
	;; [unrolled: 1-line block ×4, first 2 shown]
	v_lshl_or_b32 v83, v68, 11, v81
	ds_store_b128 v77, v[84:87] offset:1024
	s_waitcnt lgkmcnt(0)
	s_barrier
	buffer_gl0_inv
	ds_load_b128 v[84:87], v83
	ds_load_b128 v[88:91], v83 offset:16
	s_waitcnt lgkmcnt(1)
	v_lshrrev_b32_e32 v70, 16, v87
	s_waitcnt lgkmcnt(0)
	v_lshrrev_b32_e32 v71, 16, v88
	v_lshlrev_b32_e32 v79, 2, v65
	v_lshrrev_b32_e32 v65, 16, v84
	v_lshrrev_b32_e32 v66, 16, v85
	;; [unrolled: 1-line block ×4, first 2 shown]
	v_cmp_eq_u32_e32 vcc_lo, 1, v79
	v_lshrrev_b32_e32 v100, 16, v90
	v_lshrrev_b32_e32 v101, 16, v91
	v_cndmask_b32_e32 v92, v88, v71, vcc_lo
	v_or_b32_e32 v80, 1, v79
	v_cndmask_b32_e32 v82, v84, v65, vcc_lo
	v_cmp_eq_u32_e64 s4, 2, v79
	v_cmp_eq_u32_e64 s7, 3, v79
	;; [unrolled: 1-line block ×5, first 2 shown]
	v_cndmask_b32_e64 v82, v82, v85, s4
	v_cndmask_b32_e64 v92, v92, v89, s4
	v_cmp_eq_u32_e64 s8, 3, v80
	v_cndmask_b32_e64 v93, v84, v65, s3
	v_or_b32_e32 v78, 2, v79
	v_cndmask_b32_e64 v82, v82, v66, s7
	v_cndmask_b32_e64 v92, v92, v72, s7
	;; [unrolled: 1-line block ×4, first 2 shown]
	v_cmp_eq_u32_e64 s10, 5, v79
	v_cndmask_b32_e64 v82, v82, v86, s9
	v_cndmask_b32_e64 v92, v92, v90, s9
	v_cmp_eq_u32_e64 s11, 4, v80
	v_cndmask_b32_e64 v93, v93, v66, s8
	v_cmp_eq_u32_e64 s5, 1, v78
	v_cndmask_b32_e64 v94, v94, v89, s6
	v_cndmask_b32_e64 v82, v82, v68, s10
	v_cmp_eq_u32_e64 s12, 6, v79
	v_cndmask_b32_e64 v93, v93, v86, s11
	;; [unrolled: 3-line block ×3, first 2 shown]
	v_cndmask_b32_e64 v94, v94, v72, s8
	v_cndmask_b32_e64 v82, v82, v87, s12
	v_cmp_eq_u32_e64 s15, 7, v79
	v_cndmask_b32_e64 v93, v93, v68, s13
	v_cndmask_b32_e64 v92, v92, v91, s12
	v_cmp_eq_u32_e64 s16, 6, v80
	v_cmp_eq_u32_e64 s17, 2, v78
	v_cndmask_b32_e64 v94, v94, v90, s11
	v_cndmask_b32_e64 v102, v82, v70, s15
	;; [unrolled: 1-line block ×6, first 2 shown]
	v_cmp_eq_u32_e64 s18, 7, v80
	v_cmp_eq_u32_e64 s19, 3, v78
	;; [unrolled: 1-line block ×4, first 2 shown]
	v_cndmask_b32_e64 v92, v92, v89, s17
	v_cndmask_b32_e64 v104, v93, v70, s18
	;; [unrolled: 1-line block ×4, first 2 shown]
	v_or_b32_e32 v82, 3, v79
	v_cndmask_b32_e64 v97, v92, v72, s19
	v_cmp_eq_u32_e64 s24, 6, v78
	v_cndmask_b32_e64 v105, v93, v91, s16
	v_cndmask_b32_e64 v96, v94, v86, s20
	v_cmp_eq_u32_e64 s21, 1, v82
	ds_load_b128 v[92:95], v83 offset:1024
	v_cmp_eq_u32_e64 s23, 2, v82
	v_cmp_eq_u32_e64 s25, 3, v82
	v_cndmask_b32_e64 v106, v96, v68, s22
	v_cndmask_b32_e64 v65, v84, v65, s21
	;; [unrolled: 1-line block ×3, first 2 shown]
	ds_load_b128 v[96:99], v83 offset:1040
	v_cndmask_b32_e64 v71, v88, v71, s21
	v_cmp_eq_u32_e64 s26, 4, v82
	v_cndmask_b32_e64 v65, v65, v85, s23
	v_cmp_eq_u32_e64 s28, 5, v82
	v_cmp_eq_u32_e64 s29, 6, v82
	v_cndmask_b32_e64 v71, v71, v89, s23
	v_cndmask_b32_e64 v84, v84, v100, s22
	;; [unrolled: 1-line block ×4, first 2 shown]
	v_cmp_eq_u32_e64 s27, 7, v78
	v_cndmask_b32_e64 v71, v71, v72, s25
	v_cndmask_b32_e64 v84, v84, v91, s24
	;; [unrolled: 1-line block ×3, first 2 shown]
	s_waitcnt lgkmcnt(1)
	v_lshrrev_b32_e32 v72, 16, v92
	v_lshrrev_b32_e32 v88, 16, v93
	v_cndmask_b32_e64 v71, v71, v90, s26
	v_cndmask_b32_e64 v66, v66, v70, s27
	v_cndmask_b32_e64 v65, v65, v68, s28
	v_cndmask_b32_e32 v86, v92, v72, vcc_lo
	v_cndmask_b32_e64 v89, v92, v72, s3
	v_cndmask_b32_e64 v68, v71, v100, s28
	s_waitcnt lgkmcnt(0)
	v_lshrrev_b32_e32 v71, 16, v96
	v_cndmask_b32_e64 v65, v65, v87, s29
	v_cndmask_b32_e64 v86, v86, v93, s4
	;; [unrolled: 1-line block ×4, first 2 shown]
	v_cndmask_b32_e32 v90, v96, v71, vcc_lo
	v_cmp_eq_u32_e32 vcc_lo, 7, v82
	v_cndmask_b32_e64 v86, v86, v88, s7
	v_cndmask_b32_e64 v87, v87, v88, s8
	v_lshrrev_b32_e32 v91, 16, v94
	v_cndmask_b32_e64 v89, v90, v97, s4
	v_lshrrev_b32_e32 v90, 16, v97
	v_cndmask_b32_e64 v86, v86, v94, s9
	v_dual_cndmask_b32 v65, v65, v70 :: v_dual_cndmask_b32 v68, v68, v101
	v_cndmask_b32_e64 v70, v87, v94, s11
	s_delay_alu instid0(VALU_DEP_4) | instskip(NEXT) | instid1(VALU_DEP_4)
	v_cndmask_b32_e64 v89, v89, v90, s7
	v_cndmask_b32_e64 v86, v86, v91, s10
	v_lshrrev_b32_e32 v100, 16, v98
	v_cndmask_b32_e64 v84, v84, v101, s27
	v_perm_b32 v87, v68, v65, 0x5040100
	v_cndmask_b32_e64 v89, v89, v98, s9
	v_cndmask_b32_e64 v65, v70, v91, s13
	;; [unrolled: 1-line block ×3, first 2 shown]
	v_lshrrev_b32_e32 v70, 16, v95
	v_cndmask_b32_e64 v85, v105, v101, s18
	v_cndmask_b32_e64 v89, v89, v100, s10
	v_perm_b32 v86, v84, v66, 0x5040100
	v_cndmask_b32_e64 v101, v96, v71, s5
	v_cndmask_b32_e64 v66, v68, v70, s15
	;; [unrolled: 1-line block ×8, first 2 shown]
	v_lshrrev_b32_e32 v84, 16, v99
	v_cndmask_b32_e64 v89, v89, v93, s17
	v_cndmask_b32_e64 v72, v72, v93, s23
	;; [unrolled: 1-line block ×27, first 2 shown]
	v_cndmask_b32_e32 v70, v72, v70, vcc_lo
	v_cndmask_b32_e32 v72, v88, v84, vcc_lo
	v_cndmask_b32_e64 v88, v90, v84, s27
	v_cndmask_b32_e64 v71, v71, v84, s18
	;; [unrolled: 1-line block ×3, first 2 shown]
	v_perm_b32 v85, v85, v104, 0x5040100
	v_perm_b32 v84, v103, v102, 0x5040100
	;; [unrolled: 1-line block ×6, first 2 shown]
	s_lshl_b32 s8, s35, 1
	s_mov_b32 s3, exec_lo
	ds_store_b128 v77, v[84:87]
	ds_store_b128 v77, v[88:91] offset:1024
	v_cmpx_gt_u32_e32 2, v0
	s_cbranch_execz .LBB1839_78
; %bb.77:
	v_or_b32_e32 v65, s31, v0
	s_load_b128 s[4:7], s[0:1], 0x58
	s_delay_alu instid0(VALU_DEP_1) | instskip(NEXT) | instid1(VALU_DEP_1)
	v_mad_u64_u32 v[70:71], null, s8, s30, v[65:66]
	v_mad_u64_u32 v[65:66], null, v70, s34, s[14:15]
	s_delay_alu instid0(VALU_DEP_1) | instskip(NEXT) | instid1(VALU_DEP_1)
	v_ashrrev_i32_e32 v66, 31, v65
	v_lshlrev_b64 v[65:66], 2, v[65:66]
	s_waitcnt lgkmcnt(0)
	s_delay_alu instid0(VALU_DEP_1) | instskip(NEXT) | instid1(VALU_DEP_2)
	v_add_co_u32 v70, vcc_lo, s6, v65
	v_add_co_ci_u32_e32 v71, vcc_lo, s7, v66, vcc_lo
	v_add_co_u32 v65, vcc_lo, s4, v65
	v_add_co_ci_u32_e32 v66, vcc_lo, s5, v66, vcc_lo
	global_store_b32 v[70:71], v67, off
	global_store_b32 v[65:66], v69, off
.LBB1839_78:
	s_or_b32 exec_lo, exec_lo, s3
	s_waitcnt lgkmcnt(0)
	s_waitcnt_vscnt null, 0x0
	s_barrier
	buffer_gl0_inv
	ds_load_b128 v[84:87], v81
	ds_load_b128 v[88:91], v81 offset:16
	ds_load_b128 v[96:99], v81 offset:2064
	;; [unrolled: 1-line block ×3, first 2 shown]
	v_mov_b32_e32 v65, 0
	ds_load_b128 v[104:107], v81 offset:4112
	ds_load_b128 v[100:103], v81 offset:4096
	ds_load_b128 v[112:115], v81 offset:6160
	ds_load_b128 v[108:111], v81 offset:6144
	v_mov_b32_e32 v66, v65
	v_mov_b32_e32 v67, v65
	;; [unrolled: 1-line block ×7, first 2 shown]
	s_waitcnt lgkmcnt(6)
	s_delay_alu instid0(VALU_DEP_1)
	v_wmma_f32_16x16x16_bf16 v[65:72], v[41:48], v[84:91], v[65:72]
	ds_load_b128 v[45:48], v81 offset:8208
	ds_load_b128 v[41:44], v81 offset:8192
	s_waitcnt lgkmcnt(6)
	v_wmma_f32_16x16x16_bf16 v[65:72], v[33:40], v[92:99], v[65:72]
	ds_load_b128 v[37:40], v81 offset:10256
	ds_load_b128 v[33:36], v81 offset:10240
	s_waitcnt lgkmcnt(6)
	;; [unrolled: 4-line block ×4, first 2 shown]
	v_wmma_f32_16x16x16_bf16 v[65:72], v[1:8], v[41:48], v[65:72]
	s_waitcnt lgkmcnt(4)
	s_delay_alu instid0(VALU_DEP_1) | instskip(SKIP_1) | instid1(VALU_DEP_1)
	v_wmma_f32_16x16x16_bf16 v[65:72], v[9:16], v[33:40], v[65:72]
	s_waitcnt lgkmcnt(2)
	v_wmma_f32_16x16x16_bf16 v[65:72], v[57:64], v[25:32], v[65:72]
	s_waitcnt lgkmcnt(0)
	s_delay_alu instid0(VALU_DEP_1) | instskip(NEXT) | instid1(VALU_DEP_1)
	v_wmma_f32_16x16x16_bf16 v[65:72], v[49:56], v[17:24], v[65:72]
	v_and_b32_e32 v1, 0x7f800000, v65
	s_delay_alu instid0(VALU_DEP_1) | instskip(SKIP_1) | instid1(SALU_CYCLE_1)
	v_cmp_ne_u32_e32 vcc_lo, 0x7f800000, v1
                                        ; implicit-def: $vgpr1
	s_and_saveexec_b32 s3, vcc_lo
	s_xor_b32 s3, exec_lo, s3
; %bb.79:
	v_bfe_u32 v1, v65, 16, 1
	s_delay_alu instid0(VALU_DEP_1)
	v_add3_u32 v1, v65, v1, 0x7fff
; %bb.80:
	s_and_not1_saveexec_b32 s3, s3
; %bb.81:
	v_and_b32_e32 v1, 0xffff, v65
	v_or_b32_e32 v2, 0x10000, v65
	s_delay_alu instid0(VALU_DEP_2) | instskip(NEXT) | instid1(VALU_DEP_2)
	v_cmp_eq_u32_e32 vcc_lo, 0, v1
	v_cndmask_b32_e32 v1, v2, v65, vcc_lo
; %bb.82:
	s_or_b32 exec_lo, exec_lo, s3
	v_and_b32_e32 v2, 0x7f800000, v66
	s_delay_alu instid0(VALU_DEP_1) | instskip(SKIP_1) | instid1(SALU_CYCLE_1)
	v_cmp_ne_u32_e32 vcc_lo, 0x7f800000, v2
                                        ; implicit-def: $vgpr2
	s_and_saveexec_b32 s3, vcc_lo
	s_xor_b32 s3, exec_lo, s3
; %bb.83:
	v_bfe_u32 v2, v66, 16, 1
	s_delay_alu instid0(VALU_DEP_1)
	v_add3_u32 v2, v66, v2, 0x7fff
; %bb.84:
	s_and_not1_saveexec_b32 s3, s3
; %bb.85:
	v_and_b32_e32 v2, 0xffff, v66
	v_or_b32_e32 v3, 0x10000, v66
	s_delay_alu instid0(VALU_DEP_2) | instskip(NEXT) | instid1(VALU_DEP_2)
	v_cmp_eq_u32_e32 vcc_lo, 0, v2
	v_cndmask_b32_e32 v2, v3, v66, vcc_lo
; %bb.86:
	s_or_b32 exec_lo, exec_lo, s3
	v_and_b32_e32 v3, 0x7f800000, v67
	s_delay_alu instid0(VALU_DEP_1) | instskip(SKIP_1) | instid1(SALU_CYCLE_1)
	v_cmp_ne_u32_e32 vcc_lo, 0x7f800000, v3
                                        ; implicit-def: $vgpr3
	s_and_saveexec_b32 s3, vcc_lo
	s_xor_b32 s3, exec_lo, s3
; %bb.87:
	v_bfe_u32 v3, v67, 16, 1
	s_delay_alu instid0(VALU_DEP_1)
	v_add3_u32 v3, v67, v3, 0x7fff
; %bb.88:
	s_and_not1_saveexec_b32 s3, s3
; %bb.89:
	v_and_b32_e32 v3, 0xffff, v67
	v_or_b32_e32 v4, 0x10000, v67
	s_delay_alu instid0(VALU_DEP_2) | instskip(NEXT) | instid1(VALU_DEP_2)
	v_cmp_eq_u32_e32 vcc_lo, 0, v3
	v_cndmask_b32_e32 v3, v4, v67, vcc_lo
; %bb.90:
	s_or_b32 exec_lo, exec_lo, s3
	v_and_b32_e32 v4, 0x7f800000, v68
	s_delay_alu instid0(VALU_DEP_1) | instskip(SKIP_1) | instid1(SALU_CYCLE_1)
	v_cmp_ne_u32_e32 vcc_lo, 0x7f800000, v4
                                        ; implicit-def: $vgpr4
	s_and_saveexec_b32 s3, vcc_lo
	s_xor_b32 s3, exec_lo, s3
; %bb.91:
	v_bfe_u32 v4, v68, 16, 1
	s_delay_alu instid0(VALU_DEP_1)
	v_add3_u32 v4, v68, v4, 0x7fff
; %bb.92:
	s_and_not1_saveexec_b32 s3, s3
; %bb.93:
	v_and_b32_e32 v4, 0xffff, v68
	v_or_b32_e32 v5, 0x10000, v68
	s_delay_alu instid0(VALU_DEP_2) | instskip(NEXT) | instid1(VALU_DEP_2)
	v_cmp_eq_u32_e32 vcc_lo, 0, v4
	v_cndmask_b32_e32 v4, v5, v68, vcc_lo
; %bb.94:
	s_or_b32 exec_lo, exec_lo, s3
	v_and_b32_e32 v5, 0x7f800000, v69
	s_delay_alu instid0(VALU_DEP_1) | instskip(SKIP_1) | instid1(SALU_CYCLE_1)
	v_cmp_ne_u32_e32 vcc_lo, 0x7f800000, v5
                                        ; implicit-def: $vgpr5
	s_and_saveexec_b32 s3, vcc_lo
	s_xor_b32 s3, exec_lo, s3
; %bb.95:
	v_bfe_u32 v5, v69, 16, 1
	s_delay_alu instid0(VALU_DEP_1)
	v_add3_u32 v5, v69, v5, 0x7fff
; %bb.96:
	s_and_not1_saveexec_b32 s3, s3
; %bb.97:
	v_and_b32_e32 v5, 0xffff, v69
	v_or_b32_e32 v6, 0x10000, v69
	s_delay_alu instid0(VALU_DEP_2) | instskip(NEXT) | instid1(VALU_DEP_2)
	v_cmp_eq_u32_e32 vcc_lo, 0, v5
	v_cndmask_b32_e32 v5, v6, v69, vcc_lo
; %bb.98:
	s_or_b32 exec_lo, exec_lo, s3
	v_and_b32_e32 v6, 0x7f800000, v70
	s_delay_alu instid0(VALU_DEP_1) | instskip(SKIP_1) | instid1(SALU_CYCLE_1)
	v_cmp_ne_u32_e32 vcc_lo, 0x7f800000, v6
                                        ; implicit-def: $vgpr6
	s_and_saveexec_b32 s3, vcc_lo
	s_xor_b32 s3, exec_lo, s3
; %bb.99:
	v_bfe_u32 v6, v70, 16, 1
	s_delay_alu instid0(VALU_DEP_1)
	v_add3_u32 v6, v70, v6, 0x7fff
; %bb.100:
	s_and_not1_saveexec_b32 s3, s3
; %bb.101:
	v_and_b32_e32 v6, 0xffff, v70
	v_or_b32_e32 v7, 0x10000, v70
	s_delay_alu instid0(VALU_DEP_2) | instskip(NEXT) | instid1(VALU_DEP_2)
	v_cmp_eq_u32_e32 vcc_lo, 0, v6
	v_cndmask_b32_e32 v6, v7, v70, vcc_lo
; %bb.102:
	s_or_b32 exec_lo, exec_lo, s3
	v_and_b32_e32 v7, 0x7f800000, v71
	s_delay_alu instid0(VALU_DEP_1) | instskip(SKIP_1) | instid1(SALU_CYCLE_1)
	v_cmp_ne_u32_e32 vcc_lo, 0x7f800000, v7
                                        ; implicit-def: $vgpr7
	s_and_saveexec_b32 s3, vcc_lo
	s_xor_b32 s3, exec_lo, s3
; %bb.103:
	v_bfe_u32 v7, v71, 16, 1
	s_delay_alu instid0(VALU_DEP_1)
	v_add3_u32 v7, v71, v7, 0x7fff
; %bb.104:
	s_and_not1_saveexec_b32 s3, s3
; %bb.105:
	v_and_b32_e32 v7, 0xffff, v71
	v_or_b32_e32 v8, 0x10000, v71
	s_delay_alu instid0(VALU_DEP_2) | instskip(NEXT) | instid1(VALU_DEP_2)
	v_cmp_eq_u32_e32 vcc_lo, 0, v7
	v_cndmask_b32_e32 v7, v8, v71, vcc_lo
; %bb.106:
	s_or_b32 exec_lo, exec_lo, s3
	v_and_b32_e32 v8, 0x7f800000, v72
	s_delay_alu instid0(VALU_DEP_1) | instskip(SKIP_1) | instid1(SALU_CYCLE_1)
	v_cmp_ne_u32_e32 vcc_lo, 0x7f800000, v8
                                        ; implicit-def: $vgpr8
	s_and_saveexec_b32 s3, vcc_lo
	s_xor_b32 s3, exec_lo, s3
; %bb.107:
	v_bfe_u32 v8, v72, 16, 1
	s_delay_alu instid0(VALU_DEP_1)
	v_add3_u32 v8, v72, v8, 0x7fff
                                        ; implicit-def: $vgpr65_vgpr66_vgpr67_vgpr68_vgpr69_vgpr70_vgpr71_vgpr72
; %bb.108:
	s_and_not1_saveexec_b32 s3, s3
; %bb.109:
	v_and_b32_e32 v8, 0xffff, v72
	v_or_b32_e32 v9, 0x10000, v72
	s_delay_alu instid0(VALU_DEP_2) | instskip(NEXT) | instid1(VALU_DEP_2)
	v_cmp_eq_u32_e32 vcc_lo, 0, v8
	v_cndmask_b32_e32 v8, v9, v72, vcc_lo
; %bb.110:
	s_or_b32 exec_lo, exec_lo, s3
	s_delay_alu instid0(VALU_DEP_1)
	v_perm_b32 v7, v8, v7, 0x7060302
	v_perm_b32 v6, v6, v5, 0x7060302
	;; [unrolled: 1-line block ×4, first 2 shown]
	s_barrier
	buffer_gl0_inv
	v_cmp_eq_u32_e32 vcc_lo, 1, v79
	ds_store_b128 v77, v[4:7]
	s_waitcnt lgkmcnt(0)
	s_barrier
	buffer_gl0_inv
	ds_load_b128 v[1:4], v83
	ds_load_b128 v[5:8], v83 offset:16
	v_cmp_eq_u32_e64 s3, 1, v80
	v_cmp_eq_u32_e64 s4, 2, v79
	;; [unrolled: 1-line block ×5, first 2 shown]
	s_waitcnt lgkmcnt(1)
	v_lshrrev_b32_e32 v9, 16, v1
	s_waitcnt lgkmcnt(0)
	v_lshrrev_b32_e32 v13, 16, v5
	v_lshrrev_b32_e32 v10, 16, v2
	v_lshrrev_b32_e32 v14, 16, v6
	v_lshrrev_b32_e32 v11, 16, v3
	v_cndmask_b32_e64 v19, v1, v9, s3
	v_cndmask_b32_e32 v18, v5, v13, vcc_lo
	v_cndmask_b32_e64 v20, v5, v13, s3
	v_cndmask_b32_e32 v17, v1, v9, vcc_lo
	v_cmp_eq_u32_e32 vcc_lo, 2, v80
	v_lshrrev_b32_e32 v15, 16, v7
	v_cmp_eq_u32_e64 s3, 1, v78
	v_lshrrev_b32_e32 v12, 16, v4
	v_lshrrev_b32_e32 v16, 16, v8
	v_cndmask_b32_e32 v20, v20, v6, vcc_lo
	v_cndmask_b32_e64 v17, v17, v2, s4
	v_cndmask_b32_e32 v19, v19, v2, vcc_lo
	v_cndmask_b32_e64 v18, v18, v6, s4
	v_cmp_eq_u32_e32 vcc_lo, 4, v79
	v_cmp_eq_u32_e64 s4, 3, v80
	v_cndmask_b32_e64 v17, v17, v10, s5
	v_cndmask_b32_e64 v21, v1, v9, s3
	;; [unrolled: 1-line block ×5, first 2 shown]
	v_cndmask_b32_e32 v17, v17, v3, vcc_lo
	v_cndmask_b32_e64 v20, v20, v14, s4
	v_cndmask_b32_e32 v18, v18, v7, vcc_lo
	v_cmp_eq_u32_e32 vcc_lo, 4, v80
	v_cmp_eq_u32_e64 s4, 5, v80
	v_cmp_eq_u32_e64 s3, 2, v82
	v_cndmask_b32_e64 v21, v21, v2, s7
	v_cmp_eq_u32_e64 s5, 5, v79
	v_cndmask_b32_e32 v19, v19, v3, vcc_lo
	v_cndmask_b32_e32 v20, v20, v7, vcc_lo
	v_cmp_eq_u32_e32 vcc_lo, 6, v80
	s_delay_alu instid0(VALU_DEP_4) | instskip(NEXT) | instid1(VALU_DEP_4)
	v_cndmask_b32_e64 v17, v17, v11, s5
	v_cndmask_b32_e64 v19, v19, v11, s4
	s_delay_alu instid0(VALU_DEP_4) | instskip(SKIP_1) | instid1(VALU_DEP_3)
	v_cndmask_b32_e64 v20, v20, v15, s4
	v_cmp_eq_u32_e64 s4, 1, v82
	v_cndmask_b32_e32 v19, v19, v4, vcc_lo
	v_cndmask_b32_e64 v18, v18, v15, s5
	s_delay_alu instid0(VALU_DEP_3)
	v_cndmask_b32_e64 v1, v1, v9, s4
	v_cndmask_b32_e64 v5, v5, v13, s4
	v_cmp_eq_u32_e64 s4, 3, v78
	v_cndmask_b32_e64 v13, v22, v6, s7
	v_cmp_eq_u32_e64 s7, 3, v82
	v_cndmask_b32_e64 v1, v1, v2, s3
	v_cndmask_b32_e64 v2, v5, v6, s3
	v_cndmask_b32_e64 v9, v21, v10, s4
	v_cmp_eq_u32_e64 s3, 4, v78
	v_cndmask_b32_e64 v6, v13, v14, s4
	v_cndmask_b32_e64 v1, v1, v10, s7
	v_cmp_eq_u32_e64 s4, 4, v82
	v_cndmask_b32_e64 v2, v2, v14, s7
	v_cndmask_b32_e64 v5, v9, v3, s3
	;; [unrolled: 3-line block ×3, first 2 shown]
	v_cndmask_b32_e64 v2, v2, v7, s4
	v_cmp_eq_u32_e64 s3, 5, v82
	v_cmp_eq_u32_e64 s5, 6, v79
	v_cndmask_b32_e64 v5, v5, v11, s7
	v_cmp_eq_u32_e64 s4, 6, v78
	v_cndmask_b32_e64 v3, v6, v15, s7
	v_cndmask_b32_e64 v1, v1, v11, s3
	v_cmp_eq_u32_e64 s7, 6, v82
	v_cndmask_b32_e64 v2, v2, v15, s3
	v_cndmask_b32_e64 v17, v17, v4, s5
	v_cndmask_b32_e64 v18, v18, v8, s5
	v_cmp_eq_u32_e64 s5, 7, v79
	v_cndmask_b32_e64 v5, v5, v4, s4
	;; [unrolled: 4-line block ×3, first 2 shown]
	v_cmp_eq_u32_e64 s4, 7, v78
	v_cndmask_b32_e32 v4, v20, v8, vcc_lo
	v_cndmask_b32_e64 v17, v17, v12, s5
	v_cndmask_b32_e64 v19, v19, v12, s6
	;; [unrolled: 1-line block ×8, first 2 shown]
	s_delay_alu instid0(VALU_DEP_4) | instskip(NEXT) | instid1(VALU_DEP_4)
	v_perm_b32 v4, v2, v1, 0x5040100
	v_perm_b32 v3, v3, v5, 0x5040100
	s_delay_alu instid0(VALU_DEP_4) | instskip(NEXT) | instid1(VALU_DEP_4)
	v_perm_b32 v2, v6, v19, 0x5040100
	v_perm_b32 v1, v7, v17, 0x5040100
	ds_store_b128 v77, v[1:4]
	s_waitcnt lgkmcnt(0)
	s_barrier
	buffer_gl0_inv
	s_and_saveexec_b32 s3, s2
	s_cbranch_execz .LBB1839_2
; %bb.111:
	s_load_b64 s[0:1], s[0:1], 0x68
	v_lshlrev_b32_e32 v0, 10, v0
	s_lshl_b32 s2, s34, 7
	v_lshlrev_b32_e32 v1, 4, v76
	v_mul_lo_u32 v4, s2, v75
	s_mul_i32 s3, s2, s30
	v_and_b32_e32 v0, 0x3800, v0
	s_mul_i32 s2, s3, s8
	s_delay_alu instid0(SALU_CYCLE_1) | instskip(NEXT) | instid1(VALU_DEP_1)
	s_ashr_i32 s3, s2, 31
	v_or3_b32 v0, v0, v74, v1
	s_lshl_b64 s[2:3], s[2:3], 1
	s_delay_alu instid0(VALU_DEP_3)
	v_ashrrev_i32_e32 v5, 31, v4
	ds_load_b128 v[0:3], v0
	v_lshlrev_b64 v[4:5], 1, v[4:5]
	s_waitcnt lgkmcnt(0)
	s_add_u32 s2, s0, s2
	s_addc_u32 s3, s1, s3
	s_lshl_b32 s0, s14, 7
	s_delay_alu instid0(SALU_CYCLE_1) | instskip(NEXT) | instid1(SALU_CYCLE_1)
	s_ashr_i32 s1, s0, 31
	s_lshl_b64 s[0:1], s[0:1], 1
	s_delay_alu instid0(SALU_CYCLE_1) | instskip(SKIP_3) | instid1(VALU_DEP_2)
	s_add_u32 s0, s2, s0
	s_addc_u32 s1, s3, s1
	v_add_co_u32 v4, vcc_lo, s0, v4
	v_add_co_ci_u32_e32 v5, vcc_lo, s1, v5, vcc_lo
	v_add_co_u32 v4, vcc_lo, v4, v73
	s_delay_alu instid0(VALU_DEP_2)
	v_add_co_ci_u32_e32 v5, vcc_lo, 0, v5, vcc_lo
	global_store_b128 v[4:5], v[0:3], off
	s_nop 0
	s_sendmsg sendmsg(MSG_DEALLOC_VGPRS)
	s_endpgm
	.section	.rodata,"a",@progbits
	.p2align	6, 0x0
	.amdhsa_kernel _Z39paged_attention_ll4mi_QKV_mfma16_kernelI14__hip_bfloat16hLN4vllm18Fp8KVCacheDataTypeE1ES0_Li16ELi128ELi256ELb1ELi2EL8MFMAType0EEvPKT_PKT0_S9_ifPKiSB_SB_iPKfiiiPfSE_PS4_PT2_iSD_SD_
		.amdhsa_group_segment_fixed_size 17472
		.amdhsa_private_segment_fixed_size 0
		.amdhsa_kernarg_size 400
		.amdhsa_user_sgpr_count 13
		.amdhsa_user_sgpr_dispatch_ptr 0
		.amdhsa_user_sgpr_queue_ptr 0
		.amdhsa_user_sgpr_kernarg_segment_ptr 1
		.amdhsa_user_sgpr_dispatch_id 0
		.amdhsa_user_sgpr_private_segment_size 0
		.amdhsa_wavefront_size32 1
		.amdhsa_uses_dynamic_stack 0
		.amdhsa_enable_private_segment 0
		.amdhsa_system_sgpr_workgroup_id_x 1
		.amdhsa_system_sgpr_workgroup_id_y 1
		.amdhsa_system_sgpr_workgroup_id_z 1
		.amdhsa_system_sgpr_workgroup_info 0
		.amdhsa_system_vgpr_workitem_id 0
		.amdhsa_next_free_vgpr 138
		.amdhsa_next_free_sgpr 36
		.amdhsa_reserve_vcc 1
		.amdhsa_float_round_mode_32 0
		.amdhsa_float_round_mode_16_64 0
		.amdhsa_float_denorm_mode_32 3
		.amdhsa_float_denorm_mode_16_64 3
		.amdhsa_dx10_clamp 1
		.amdhsa_ieee_mode 1
		.amdhsa_fp16_overflow 0
		.amdhsa_workgroup_processor_mode 1
		.amdhsa_memory_ordered 1
		.amdhsa_forward_progress 0
		.amdhsa_shared_vgpr_count 0
		.amdhsa_exception_fp_ieee_invalid_op 0
		.amdhsa_exception_fp_denorm_src 0
		.amdhsa_exception_fp_ieee_div_zero 0
		.amdhsa_exception_fp_ieee_overflow 0
		.amdhsa_exception_fp_ieee_underflow 0
		.amdhsa_exception_fp_ieee_inexact 0
		.amdhsa_exception_int_div_zero 0
	.end_amdhsa_kernel
	.section	.text._Z39paged_attention_ll4mi_QKV_mfma16_kernelI14__hip_bfloat16hLN4vllm18Fp8KVCacheDataTypeE1ES0_Li16ELi128ELi256ELb1ELi2EL8MFMAType0EEvPKT_PKT0_S9_ifPKiSB_SB_iPKfiiiPfSE_PS4_PT2_iSD_SD_,"axG",@progbits,_Z39paged_attention_ll4mi_QKV_mfma16_kernelI14__hip_bfloat16hLN4vllm18Fp8KVCacheDataTypeE1ES0_Li16ELi128ELi256ELb1ELi2EL8MFMAType0EEvPKT_PKT0_S9_ifPKiSB_SB_iPKfiiiPfSE_PS4_PT2_iSD_SD_,comdat
.Lfunc_end1839:
	.size	_Z39paged_attention_ll4mi_QKV_mfma16_kernelI14__hip_bfloat16hLN4vllm18Fp8KVCacheDataTypeE1ES0_Li16ELi128ELi256ELb1ELi2EL8MFMAType0EEvPKT_PKT0_S9_ifPKiSB_SB_iPKfiiiPfSE_PS4_PT2_iSD_SD_, .Lfunc_end1839-_Z39paged_attention_ll4mi_QKV_mfma16_kernelI14__hip_bfloat16hLN4vllm18Fp8KVCacheDataTypeE1ES0_Li16ELi128ELi256ELb1ELi2EL8MFMAType0EEvPKT_PKT0_S9_ifPKiSB_SB_iPKfiiiPfSE_PS4_PT2_iSD_SD_
                                        ; -- End function
	.section	.AMDGPU.csdata,"",@progbits
; Kernel info:
; codeLenInByte = 8624
; NumSgprs: 38
; NumVgprs: 138
; ScratchSize: 0
; MemoryBound: 0
; FloatMode: 240
; IeeeMode: 1
; LDSByteSize: 17472 bytes/workgroup (compile time only)
; SGPRBlocks: 4
; VGPRBlocks: 17
; NumSGPRsForWavesPerEU: 38
; NumVGPRsForWavesPerEU: 138
; Occupancy: 10
; WaveLimiterHint : 1
; COMPUTE_PGM_RSRC2:SCRATCH_EN: 0
; COMPUTE_PGM_RSRC2:USER_SGPR: 13
; COMPUTE_PGM_RSRC2:TRAP_HANDLER: 0
; COMPUTE_PGM_RSRC2:TGID_X_EN: 1
; COMPUTE_PGM_RSRC2:TGID_Y_EN: 1
; COMPUTE_PGM_RSRC2:TGID_Z_EN: 1
; COMPUTE_PGM_RSRC2:TIDIG_COMP_CNT: 0
	.section	.text._Z39paged_attention_ll4mi_QKV_mfma16_kernelI14__hip_bfloat16hLN4vllm18Fp8KVCacheDataTypeE1ES0_Li16ELi128ELi256ELb1ELi3EL8MFMAType0EEvPKT_PKT0_S9_ifPKiSB_SB_iPKfiiiPfSE_PS4_PT2_iSD_SD_,"axG",@progbits,_Z39paged_attention_ll4mi_QKV_mfma16_kernelI14__hip_bfloat16hLN4vllm18Fp8KVCacheDataTypeE1ES0_Li16ELi128ELi256ELb1ELi3EL8MFMAType0EEvPKT_PKT0_S9_ifPKiSB_SB_iPKfiiiPfSE_PS4_PT2_iSD_SD_,comdat
	.protected	_Z39paged_attention_ll4mi_QKV_mfma16_kernelI14__hip_bfloat16hLN4vllm18Fp8KVCacheDataTypeE1ES0_Li16ELi128ELi256ELb1ELi3EL8MFMAType0EEvPKT_PKT0_S9_ifPKiSB_SB_iPKfiiiPfSE_PS4_PT2_iSD_SD_ ; -- Begin function _Z39paged_attention_ll4mi_QKV_mfma16_kernelI14__hip_bfloat16hLN4vllm18Fp8KVCacheDataTypeE1ES0_Li16ELi128ELi256ELb1ELi3EL8MFMAType0EEvPKT_PKT0_S9_ifPKiSB_SB_iPKfiiiPfSE_PS4_PT2_iSD_SD_
	.globl	_Z39paged_attention_ll4mi_QKV_mfma16_kernelI14__hip_bfloat16hLN4vllm18Fp8KVCacheDataTypeE1ES0_Li16ELi128ELi256ELb1ELi3EL8MFMAType0EEvPKT_PKT0_S9_ifPKiSB_SB_iPKfiiiPfSE_PS4_PT2_iSD_SD_
	.p2align	8
	.type	_Z39paged_attention_ll4mi_QKV_mfma16_kernelI14__hip_bfloat16hLN4vllm18Fp8KVCacheDataTypeE1ES0_Li16ELi128ELi256ELb1ELi3EL8MFMAType0EEvPKT_PKT0_S9_ifPKiSB_SB_iPKfiiiPfSE_PS4_PT2_iSD_SD_,@function
_Z39paged_attention_ll4mi_QKV_mfma16_kernelI14__hip_bfloat16hLN4vllm18Fp8KVCacheDataTypeE1ES0_Li16ELi128ELi256ELb1ELi3EL8MFMAType0EEvPKT_PKT0_S9_ifPKiSB_SB_iPKfiiiPfSE_PS4_PT2_iSD_SD_: ; @_Z39paged_attention_ll4mi_QKV_mfma16_kernelI14__hip_bfloat16hLN4vllm18Fp8KVCacheDataTypeE1ES0_Li16ELi128ELi256ELb1ELi3EL8MFMAType0EEvPKT_PKT0_S9_ifPKiSB_SB_iPKfiiiPfSE_PS4_PT2_iSD_SD_
; %bb.0:
	s_load_b64 s[4:5], s[0:1], 0x30
	s_mov_b32 s30, s13
	s_waitcnt lgkmcnt(0)
	s_cmp_lg_u64 s[4:5], 0
	s_cselect_b32 s13, -1, 0
	s_ashr_i32 s31, s30, 31
	s_cmp_eq_u64 s[4:5], 0
	s_cbranch_scc1 .LBB1840_3
; %bb.1:
	s_lshl_b64 s[2:3], s[30:31], 2
	s_delay_alu instid0(SALU_CYCLE_1) | instskip(SKIP_4) | instid1(SALU_CYCLE_1)
	s_add_u32 s2, s4, s2
	s_addc_u32 s3, s5, s3
	s_load_b64 s[2:3], s[2:3], 0x0
	s_waitcnt lgkmcnt(0)
	s_sub_i32 s2, s3, s2
	s_cmp_eq_u32 s2, 1
	s_cselect_b32 s2, -1, 0
	s_delay_alu instid0(SALU_CYCLE_1)
	s_and_not1_b32 vcc_lo, exec_lo, s2
	s_cbranch_vccz .LBB1840_4
.LBB1840_2:
	s_nop 0
	s_sendmsg sendmsg(MSG_DEALLOC_VGPRS)
	s_endpgm
.LBB1840_3:
.LBB1840_4:
	s_load_b64 s[2:3], s[0:1], 0x28
	s_lshl_b64 s[6:7], s[30:31], 2
	s_waitcnt lgkmcnt(0)
	s_add_u32 s2, s2, s6
	s_addc_u32 s3, s3, s7
	s_lshl_b32 s12, s14, 8
	s_load_b32 s17, s[2:3], 0x0
	s_waitcnt lgkmcnt(0)
	s_cmp_ge_i32 s12, s17
	s_cbranch_scc1 .LBB1840_2
; %bb.5:
	s_clause 0x1
	s_load_b128 s[8:11], s[0:1], 0x8
	s_load_b64 s[2:3], s[0:1], 0x20
	s_and_not1_b32 vcc_lo, exec_lo, s13
	s_cbranch_vccnz .LBB1840_7
; %bb.6:
	s_add_u32 s4, s4, s6
	s_addc_u32 s5, s5, s7
	s_load_b32 s13, s[4:5], 0x0
	s_branch .LBB1840_8
.LBB1840_7:
	s_mov_b32 s13, s30
.LBB1840_8:
	s_load_b128 s[4:7], s[0:1], 0x48
	v_and_b32_e32 v65, 15, v0
	v_lshrrev_b32_e32 v66, 5, v0
	v_bfe_u32 v74, v0, 4, 1
	v_and_b32_e32 v67, 31, v0
	v_and_b32_e32 v75, 1, v0
	v_lshlrev_b32_e32 v2, 3, v65
	s_mul_i32 s31, s15, 3
	v_lshl_or_b32 v1, v66, 1, v74
	s_waitcnt lgkmcnt(0)
	s_mov_b32 s7, exec_lo
	v_lshlrev_b32_e32 v73, 1, v2
	s_delay_alu instid0(VALU_DEP_2)
	v_cmpx_gt_u32_e32 3, v1
	s_cbranch_execz .LBB1840_10
; %bb.9:
	s_load_b64 s[18:19], s[0:1], 0x0
	v_add_lshl_u32 v2, v1, s31, 7
	s_mul_hi_i32 s21, s13, s4
	s_mul_i32 s20, s13, s4
	v_lshlrev_b32_e32 v6, 10, v65
	s_lshl_b64 s[20:21], s[20:21], 1
	v_ashrrev_i32_e32 v3, 31, v2
	v_lshlrev_b32_e32 v1, 6, v1
	v_lshlrev_b32_e32 v7, 10, v75
	v_and_b32_e32 v6, 0x3800, v6
	s_delay_alu instid0(VALU_DEP_4) | instskip(NEXT) | instid1(VALU_DEP_2)
	v_lshlrev_b64 v[2:3], 1, v[2:3]
	v_or3_b32 v1, v6, v7, v1
	s_waitcnt lgkmcnt(0)
	s_add_u32 s4, s18, s20
	s_addc_u32 s13, s19, s21
	s_delay_alu instid0(VALU_DEP_2) | instskip(SKIP_1) | instid1(VALU_DEP_2)
	v_add_co_u32 v2, vcc_lo, s4, v2
	v_add_co_ci_u32_e32 v3, vcc_lo, s13, v3, vcc_lo
	v_add_co_u32 v2, vcc_lo, v2, v73
	s_delay_alu instid0(VALU_DEP_2)
	v_add_co_ci_u32_e32 v3, vcc_lo, 0, v3, vcc_lo
	global_load_b128 v[2:5], v[2:3], off
	s_waitcnt vmcnt(0)
	ds_store_b128 v1, v[2:5]
.LBB1840_10:
	s_or_b32 exec_lo, exec_lo, s7
	v_and_b32_e32 v1, 0xef, v0
	s_add_i32 s4, s17, 15
	s_clause 0x1
	s_load_b32 s7, s[0:1], 0x38
	s_load_b32 s18, s[0:1], 0x1c
	s_ashr_i32 s13, s4, 31
	v_add_nc_u32_e32 v2, s12, v1
	s_lshr_b32 s13, s13, 28
	s_waitcnt lgkmcnt(0)
	s_add_i32 s4, s4, s13
	s_barrier
	v_ashrrev_i32_e32 v1, 31, v2
	s_ashr_i32 s4, s4, 4
	v_cmp_gt_i32_e32 vcc_lo, s17, v2
	s_add_i32 s4, s4, -1
	buffer_gl0_inv
	v_lshrrev_b32_e32 v3, 28, v1
	v_or_b32_e32 v1, 16, v2
	s_mul_i32 s15, s15, s6
	s_delay_alu instid0(VALU_DEP_2) | instskip(SKIP_1) | instid1(SALU_CYCLE_1)
	v_add_nc_u32_e32 v4, v2, v3
	s_mul_i32 s20, s30, s7
	s_ashr_i32 s21, s20, 31
	s_delay_alu instid0(VALU_DEP_1) | instskip(SKIP_2) | instid1(SALU_CYCLE_1)
	v_ashrrev_i32_e32 v4, 4, v4
	v_add_nc_u32_e32 v3, v1, v3
	s_lshl_b64 s[20:21], s[20:21], 2
	s_add_u32 s2, s2, s20
	s_delay_alu instid0(VALU_DEP_2) | instskip(NEXT) | instid1(VALU_DEP_2)
	v_cndmask_b32_e32 v2, s4, v4, vcc_lo
	v_ashrrev_i32_e32 v3, 4, v3
	v_cmp_gt_i32_e32 vcc_lo, s17, v1
	s_addc_u32 s3, s3, s21
	s_ashr_i32 s6, s15, 31
	s_add_u32 s7, s8, s15
	s_addc_u32 s13, s9, s6
	v_cndmask_b32_e32 v4, s4, v3, vcc_lo
	v_ashrrev_i32_e32 v3, 31, v2
	s_lshl_b32 s8, s14, 4
	s_delay_alu instid0(SALU_CYCLE_1) | instskip(NEXT) | instid1(VALU_DEP_2)
	s_ashr_i32 s9, s8, 31
	v_ashrrev_i32_e32 v5, 31, v4
	s_delay_alu instid0(VALU_DEP_2) | instskip(SKIP_1) | instid1(SALU_CYCLE_1)
	v_lshlrev_b64 v[1:2], 2, v[2:3]
	s_lshl_b64 s[8:9], s[8:9], 2
	s_add_u32 s8, s2, s8
	s_delay_alu instid0(VALU_DEP_2) | instskip(SKIP_1) | instid1(VALU_DEP_2)
	v_lshlrev_b64 v[3:4], 2, v[4:5]
	s_addc_u32 s9, s3, s9
	v_add_co_u32 v1, vcc_lo, s2, v1
	v_add_co_ci_u32_e32 v2, vcc_lo, s3, v2, vcc_lo
	s_delay_alu instid0(VALU_DEP_3) | instskip(NEXT) | instid1(VALU_DEP_4)
	v_add_co_u32 v3, vcc_lo, s2, v3
	v_add_co_ci_u32_e32 v4, vcc_lo, s3, v4, vcc_lo
	s_clause 0x1
	global_load_b32 v5, v[1:2], off
	global_load_b32 v3, v[3:4], off
	v_lshlrev_b32_e32 v1, 4, v0
	s_or_b32 s16, s12, 32
	s_delay_alu instid0(SALU_CYCLE_1) | instskip(SKIP_1) | instid1(VALU_DEP_1)
	s_ashr_i32 s19, s16, 4
	s_cmp_lt_i32 s16, s17
	v_and_b32_e32 v1, 0xf0, v1
	s_cselect_b32 s20, s19, s4
	s_delay_alu instid0(SALU_CYCLE_1) | instskip(NEXT) | instid1(SALU_CYCLE_1)
	s_ashr_i32 s21, s20, 31
	s_lshl_b64 s[20:21], s[20:21], 2
	s_delay_alu instid0(VALU_DEP_1)
	v_add_co_u32 v1, s7, s7, v1
	s_add_u32 s20, s2, s20
	s_addc_u32 s21, s3, s21
	s_or_b32 s16, s12, 64
	v_add_co_ci_u32_e64 v2, null, s13, 0, s7
	s_ashr_i32 s19, s16, 4
	s_cmp_lt_i32 s16, s17
	s_cselect_b32 s22, s19, s4
	s_delay_alu instid0(SALU_CYCLE_1) | instskip(NEXT) | instid1(SALU_CYCLE_1)
	s_ashr_i32 s23, s22, 31
	s_lshl_b64 s[22:23], s[22:23], 2
	s_delay_alu instid0(SALU_CYCLE_1) | instskip(SKIP_2) | instid1(SALU_CYCLE_1)
	s_add_u32 s22, s2, s22
	s_addc_u32 s23, s3, s23
	s_or_b32 s16, s12, 0x60
	s_ashr_i32 s19, s16, 4
	s_cmp_lt_i32 s16, s17
	s_cselect_b32 s24, s19, s4
	s_delay_alu instid0(SALU_CYCLE_1) | instskip(NEXT) | instid1(SALU_CYCLE_1)
	s_ashr_i32 s25, s24, 31
	s_lshl_b64 s[24:25], s[24:25], 2
	s_delay_alu instid0(SALU_CYCLE_1) | instskip(SKIP_2) | instid1(SALU_CYCLE_1)
	s_add_u32 s24, s2, s24
	s_addc_u32 s25, s3, s25
	s_or_b32 s16, s12, 0x80
	;; [unrolled: 10-line block ×3, first 2 shown]
	s_ashr_i32 s19, s16, 4
	s_cmp_lt_i32 s16, s17
	s_cselect_b32 s28, s19, s4
	s_delay_alu instid0(SALU_CYCLE_1) | instskip(NEXT) | instid1(SALU_CYCLE_1)
	s_ashr_i32 s29, s28, 31
	s_lshl_b64 s[28:29], s[28:29], 2
	s_delay_alu instid0(SALU_CYCLE_1)
	s_add_u32 s28, s2, s28
	s_addc_u32 s29, s3, s29
	s_clause 0x5
	s_load_b32 s7, s[8:9], 0x0
	s_load_b32 s13, s[20:21], 0x0
	;; [unrolled: 1-line block ×6, first 2 shown]
	s_or_b32 s8, s12, 0xc0
	s_mov_b32 s20, 0
	s_ashr_i32 s9, s8, 4
	s_cmp_lt_i32 s8, s17
	s_mov_b32 s27, s20
	s_cselect_b32 s8, s9, s4
	s_mov_b32 s21, s20
	s_ashr_i32 s9, s8, 31
	s_mov_b32 s22, s20
	s_lshl_b64 s[8:9], s[8:9], 2
	s_mov_b32 s23, s20
	s_mov_b32 s24, s20
	;; [unrolled: 1-line block ×4, first 2 shown]
	v_dual_mov_b32 v107, s27 :: v_dual_mov_b32 v104, s24
	s_add_u32 s8, s2, s8
	v_dual_mov_b32 v106, s26 :: v_dual_mov_b32 v105, s25
	v_dual_mov_b32 v101, s21 :: v_dual_mov_b32 v100, s20
	s_addc_u32 s9, s3, s9
	v_dual_mov_b32 v103, s23 :: v_dual_mov_b32 v102, s22
	s_or_b32 s20, s12, 0xe0
	s_delay_alu instid0(SALU_CYCLE_1) | instskip(SKIP_2) | instid1(SALU_CYCLE_1)
	s_ashr_i32 s21, s20, 4
	s_cmp_lt_i32 s20, s17
	s_cselect_b32 s20, s21, s4
	s_ashr_i32 s21, s20, 31
	s_delay_alu instid0(SALU_CYCLE_1) | instskip(NEXT) | instid1(SALU_CYCLE_1)
	s_lshl_b64 s[20:21], s[20:21], 2
	s_add_u32 s2, s2, s20
	s_addc_u32 s3, s3, s21
	s_waitcnt vmcnt(1)
	v_mad_i64_i32 v[25:26], null, v5, s5, v[1:2]
	s_waitcnt vmcnt(0)
	v_mad_i64_i32 v[27:28], null, v3, s5, v[1:2]
	s_clause 0xf
	global_load_b128 v[1:4], v[25:26], off
	global_load_b128 v[5:8], v[25:26], off offset:256
	global_load_b128 v[9:12], v[27:28], off
	global_load_b128 v[13:16], v[27:28], off offset:256
	global_load_b128 v[17:20], v[25:26], off offset:512
	;; [unrolled: 1-line block ×13, first 2 shown]
	v_mul_lo_u16 v25, 0x56, v65
	v_lshlrev_b32_e32 v26, 4, v65
	s_delay_alu instid0(VALU_DEP_2) | instskip(NEXT) | instid1(VALU_DEP_2)
	v_lshrrev_b16 v25, 8, v25
	v_lshl_or_b32 v33, v66, 8, v26
	s_delay_alu instid0(VALU_DEP_2) | instskip(NEXT) | instid1(VALU_DEP_1)
	v_mul_lo_u16 v25, v25, 3
	v_sub_nc_u16 v25, v65, v25
	s_delay_alu instid0(VALU_DEP_1) | instskip(NEXT) | instid1(VALU_DEP_1)
	v_and_b32_e32 v25, 0xff, v25
	v_lshlrev_b32_e32 v72, 6, v25
	ds_load_b128 v[25:28], v72
	ds_load_b128 v[29:32], v72 offset:1024
	ds_load_b128 v[108:111], v72 offset:2048
	;; [unrolled: 1-line block ×3, first 2 shown]
	s_load_b32 s4, s[8:9], 0x0
	ds_load_b128 v[116:119], v72 offset:4096
	ds_load_b128 v[120:123], v72 offset:5120
	s_load_b32 s2, s[2:3], 0x0
	s_add_u32 s8, s10, s15
	s_addc_u32 s6, s11, s6
	v_add_co_u32 v68, s8, s8, v33
	s_delay_alu instid0(VALU_DEP_1) | instskip(SKIP_1) | instid1(VALU_DEP_1)
	v_add_co_ci_u32_e64 v69, null, s6, 0, s8
	s_waitcnt lgkmcnt(0)
	v_mad_i64_i32 v[33:34], null, s7, s5, v[68:69]
	v_mad_i64_i32 v[70:71], null, s16, s5, v[68:69]
	;; [unrolled: 1-line block ×7, first 2 shown]
	s_clause 0x3
	global_load_b128 v[41:44], v[33:34], off
	global_load_b128 v[45:48], v[33:34], off offset:16
	global_load_b128 v[33:36], v[37:38], off
	global_load_b128 v[37:40], v[37:38], off offset:16
	s_waitcnt vmcnt(18)
	v_wmma_f32_16x16x16_bf16 v[124:131], v[1:8], v[25:32], v[100:107]
	s_waitcnt vmcnt(16)
	v_wmma_f32_16x16x16_bf16 v[100:107], v[9:16], v[25:32], v[100:107]
	s_clause 0x1
	global_load_b128 v[25:28], v[70:71], off
	global_load_b128 v[29:32], v[70:71], off offset:16
	s_waitcnt vmcnt(16)
	v_wmma_f32_16x16x16_bf16 v[124:131], v[17:24], v[108:115], v[124:131]
	s_clause 0x1
	global_load_b128 v[17:20], v[132:133], off
	global_load_b128 v[21:24], v[132:133], off offset:16
	s_waitcnt vmcnt(16)
	v_wmma_f32_16x16x16_bf16 v[100:107], v[49:56], v[108:115], v[100:107]
	v_mad_i64_i32 v[53:54], null, s2, s5, v[68:69]
	s_clause 0x3
	global_load_b128 v[1:4], v[134:135], off
	global_load_b128 v[5:8], v[134:135], off offset:16
	global_load_b128 v[9:12], v[136:137], off
	global_load_b128 v[13:16], v[136:137], off offset:16
	s_waitcnt vmcnt(18)
	v_wmma_f32_16x16x16_bf16 v[124:131], v[57:64], v[116:123], v[124:131]
	s_clause 0x3
	global_load_b128 v[57:60], v[138:139], off
	global_load_b128 v[61:64], v[138:139], off offset:16
	global_load_b128 v[49:52], v[53:54], off
	global_load_b128 v[53:56], v[53:54], off offset:16
	v_mbcnt_lo_u32_b32 v69, -1, 0
	s_waitcnt vmcnt(20)
	v_wmma_f32_16x16x16_bf16 v[100:107], v[76:83], v[116:123], v[100:107]
	s_delay_alu instid0(VALU_DEP_2) | instskip(NEXT) | instid1(VALU_DEP_1)
	v_xor_b32_e32 v70, 16, v69
	v_cmp_gt_i32_e32 vcc_lo, 32, v70
	v_cndmask_b32_e32 v69, v69, v70, vcc_lo
	ds_load_b128 v[76:79], v72 offset:6144
	ds_load_b128 v[80:83], v72 offset:7168
	s_waitcnt vmcnt(0) lgkmcnt(0)
	s_barrier
	buffer_gl0_inv
	v_wmma_f32_16x16x16_bf16 v[124:131], v[84:91], v[76:83], v[124:131]
	v_and_b32_e32 v68, 0xe0, v0
	v_wmma_f32_16x16x16_bf16 v[100:107], v[92:99], v[76:83], v[100:107]
	s_delay_alu instid0(VALU_DEP_2) | instskip(NEXT) | instid1(VALU_DEP_4)
	v_dual_mul_f32 v79, s18, v127 :: v_dual_add_nc_u32 v68, s12, v68
	v_mul_f32_e32 v81, s18, v129
	v_dual_mul_f32 v78, s18, v125 :: v_dual_mul_f32 v83, s18, v131
	s_delay_alu instid0(VALU_DEP_4) | instskip(NEXT) | instid1(VALU_DEP_4)
	v_dual_mul_f32 v80, s18, v126 :: v_dual_mul_f32 v95, s18, v103
	v_or_b32_e32 v68, v68, v74
	v_dual_mul_f32 v93, s18, v101 :: v_dual_mul_f32 v82, s18, v128
	v_dual_mul_f32 v97, s18, v105 :: v_dual_mul_f32 v92, s18, v130
	v_mul_f32_e32 v99, s18, v107
	s_delay_alu instid0(VALU_DEP_4)
	v_or_b32_e32 v70, 2, v68
	v_or_b32_e32 v71, 4, v68
	;; [unrolled: 1-line block ×3, first 2 shown]
	v_cmp_gt_i32_e64 s2, s17, v68
	v_or_b32_e32 v108, 8, v68
	v_cmp_gt_i32_e32 vcc_lo, s17, v70
	v_mul_f32_e32 v70, s18, v124
	v_or_b32_e32 v109, 10, v68
	v_cmp_gt_i32_e64 s3, s17, v71
	v_cmp_gt_i32_e64 s4, s17, v72
	v_cndmask_b32_e32 v78, 0xff7fffff, v78, vcc_lo
	v_cndmask_b32_e64 v70, 0xff7fffff, v70, s2
	v_or_b32_e32 v84, 12, v68
	v_or_b32_e32 v85, 14, v68
	v_cndmask_b32_e64 v71, 0xff7fffff, v80, s3
	v_cndmask_b32_e64 v72, 0xff7fffff, v79, s4
	v_max3_f32 v70, v70, 0xff7fffff, v78
	v_cmp_gt_i32_e64 s5, s17, v108
	v_cmp_gt_i32_e64 s6, s17, v109
	v_or_b32_e32 v86, 16, v68
	v_or_b32_e32 v87, 18, v68
	v_max3_f32 v70, v70, v71, v72
	v_cndmask_b32_e64 v78, 0xff7fffff, v82, s5
	v_cndmask_b32_e64 v79, 0xff7fffff, v81, s6
	v_cmp_gt_i32_e64 s7, s17, v84
	v_cmp_gt_i32_e64 s8, s17, v85
	v_or_b32_e32 v88, 20, v68
	v_or_b32_e32 v89, 22, v68
	v_mul_f32_e32 v94, s18, v100
	v_cndmask_b32_e64 v71, 0xff7fffff, v92, s7
	v_cndmask_b32_e64 v72, 0xff7fffff, v83, s8
	v_max3_f32 v70, v70, v78, v79
	v_cmp_gt_i32_e64 s9, s17, v86
	v_cmp_gt_i32_e64 s10, s17, v87
	v_or_b32_e32 v90, 24, v68
	v_or_b32_e32 v91, 26, v68
	v_mul_f32_e32 v96, s18, v102
	v_max3_f32 v70, v70, v71, v72
	v_cndmask_b32_e64 v79, 0xff7fffff, v93, s10
	v_cmp_gt_i32_e64 s11, s17, v88
	v_cmp_gt_i32_e64 s12, s17, v89
	v_lshlrev_b32_e32 v89, 2, v69
	v_cndmask_b32_e64 v78, 0xff7fffff, v94, s9
	v_or_b32_e32 v76, 28, v68
	v_or_b32_e32 v77, 30, v68
	v_mul_f32_e32 v98, s18, v104
	v_cndmask_b32_e64 v71, 0xff7fffff, v96, s11
	v_cndmask_b32_e64 v72, 0xff7fffff, v95, s12
	v_max3_f32 v70, v70, v78, v79
	v_cmp_gt_i32_e64 s13, s17, v90
	v_cmp_gt_i32_e64 s15, s17, v91
	v_mul_f32_e32 v68, s18, v106
	v_cmp_gt_i32_e64 s16, s17, v76
	v_max3_f32 v70, v70, v71, v72
	v_cndmask_b32_e64 v78, 0xff7fffff, v98, s13
	v_cndmask_b32_e64 v79, 0xff7fffff, v97, s15
	v_cmp_gt_i32_e64 s17, s17, v77
	v_cndmask_b32_e64 v68, 0xff7fffff, v68, s16
	s_delay_alu instid0(VALU_DEP_3) | instskip(NEXT) | instid1(VALU_DEP_3)
	v_max3_f32 v70, v70, v78, v79
	v_cndmask_b32_e64 v71, 0xff7fffff, v99, s17
	s_delay_alu instid0(VALU_DEP_1) | instskip(SKIP_3) | instid1(VALU_DEP_1)
	v_max3_f32 v68, v70, v68, v71
	ds_bpermute_b32 v69, v89, v68
	s_waitcnt lgkmcnt(0)
	v_max_f32_e32 v69, v69, v69
	v_max_f32_e32 v68, v68, v69
	s_delay_alu instid0(VALU_DEP_1) | instskip(NEXT) | instid1(VALU_DEP_1)
	v_fma_f32 v76, s18, v128, -v68
	v_mul_f32_e32 v77, 0x3fb8aa3b, v76
	v_fma_f32 v71, s18, v126, -v68
	v_fma_f32 v69, s18, v124, -v68
	;; [unrolled: 1-line block ×4, first 2 shown]
	v_exp_f32_e32 v77, v77
	v_mul_f32_e32 v71, 0x3fb8aa3b, v71
	v_mul_f32_e32 v69, 0x3fb8aa3b, v69
	v_fma_f32 v81, s18, v105, -v68
	v_fma_f32 v78, s18, v130, -v68
	s_delay_alu instid0(VALU_DEP_4) | instskip(NEXT) | instid1(VALU_DEP_3)
	v_exp_f32_e32 v71, v71
	v_exp_f32_e32 v69, v69
	s_delay_alu instid0(VALU_DEP_2) | instskip(NEXT) | instid1(TRANS32_DEP_3)
	v_mul_f32_e32 v81, 0x3fb8aa3b, v81
	v_cndmask_b32_e64 v86, 0, v77, s5
	v_fma_f32 v77, s18, v101, -v68
	s_delay_alu instid0(VALU_DEP_3) | instskip(NEXT) | instid1(TRANS32_DEP_3)
	v_exp_f32_e32 v81, v81
	v_cndmask_b32_e64 v83, 0, v71, s3
	v_fma_f32 v71, s18, v131, -v68
	v_mul_f32_e32 v72, 0x3fb8aa3b, v72
	s_delay_alu instid0(TRANS32_DEP_2) | instskip(SKIP_1) | instid1(VALU_DEP_4)
	v_cndmask_b32_e64 v80, 0, v69, s2
	v_fma_f32 v69, s18, v129, -v68
	v_dual_mul_f32 v70, 0x3fb8aa3b, v70 :: v_dual_mul_f32 v71, 0x3fb8aa3b, v71
	s_delay_alu instid0(VALU_DEP_4) | instskip(SKIP_1) | instid1(VALU_DEP_3)
	v_exp_f32_e32 v72, v72
	v_mul_f32_e32 v77, 0x3fb8aa3b, v77
	v_mul_f32_e32 v69, 0x3fb8aa3b, v69
	s_delay_alu instid0(VALU_DEP_3)
	v_exp_f32_e32 v70, v70
	v_exp_f32_e32 v71, v71
	v_cmp_gt_u32_e64 s2, 16, v67
	v_exp_f32_e32 v77, v77
	v_exp_f32_e32 v69, v69
	v_cndmask_b32_e64 v85, 0, v72, s4
	v_fma_f32 v72, s18, v100, -v68
	v_cndmask_b32_e32 v76, 0, v70, vcc_lo
	s_delay_alu instid0(TRANS32_DEP_3) | instskip(SKIP_2) | instid1(TRANS32_DEP_1)
	v_cndmask_b32_e64 v88, 0, v71, s8
	v_fma_f32 v71, s18, v104, -v68
	v_add_f32_e32 v70, 0, v80
	v_cndmask_b32_e64 v87, 0, v69, s6
	s_delay_alu instid0(VALU_DEP_2) | instskip(NEXT) | instid1(VALU_DEP_1)
	v_dual_mul_f32 v71, 0x3fb8aa3b, v71 :: v_dual_add_f32 v70, v70, v76
	v_exp_f32_e32 v82, v71
	s_delay_alu instid0(VALU_DEP_1) | instskip(NEXT) | instid1(VALU_DEP_1)
	v_add_f32_e32 v70, v70, v83
	v_add_f32_e32 v70, v70, v85
	s_delay_alu instid0(VALU_DEP_1) | instskip(SKIP_1) | instid1(VALU_DEP_2)
	v_dual_mul_f32 v72, 0x3fb8aa3b, v72 :: v_dual_add_f32 v69, v70, v86
	v_fma_f32 v70, s18, v102, -v68
	v_exp_f32_e32 v72, v72
	s_delay_alu instid0(VALU_DEP_2) | instskip(NEXT) | instid1(VALU_DEP_2)
	v_dual_add_f32 v69, v69, v87 :: v_dual_mul_f32 v78, 0x3fb8aa3b, v78
	v_mul_f32_e32 v70, 0x3fb8aa3b, v70
	s_delay_alu instid0(VALU_DEP_2) | instskip(NEXT) | instid1(VALU_DEP_1)
	v_exp_f32_e32 v78, v78
	v_exp_f32_e32 v79, v70
	s_delay_alu instid0(TRANS32_DEP_3) | instskip(SKIP_4) | instid1(VALU_DEP_3)
	v_cndmask_b32_e64 v70, 0, v72, s9
	s_waitcnt_depctr 0xfff
	v_cndmask_b32_e64 v84, 0, v78, s7
	v_fma_f32 v78, s18, v103, -v68
	v_cndmask_b32_e64 v71, 0, v79, s11
	v_add_f32_e32 v69, v69, v84
	s_delay_alu instid0(VALU_DEP_1) | instskip(SKIP_2) | instid1(VALU_DEP_1)
	v_add_f32_e32 v72, v69, v88
	v_cndmask_b32_e64 v69, 0, v77, s10
	v_fma_f32 v77, s18, v106, -v68
	v_dual_add_f32 v72, v72, v70 :: v_dual_mul_f32 v77, 0x3fb8aa3b, v77
	s_delay_alu instid0(VALU_DEP_1) | instskip(NEXT) | instid1(VALU_DEP_2)
	v_add_f32_e32 v79, v72, v69
	v_exp_f32_e32 v90, v77
	v_cndmask_b32_e64 v77, 0, v82, s13
	v_mul_f32_e32 v78, 0x3fb8aa3b, v78
	s_delay_alu instid0(VALU_DEP_1) | instskip(SKIP_4) | instid1(VALU_DEP_1)
	v_exp_f32_e32 v78, v78
	s_waitcnt_depctr 0xfff
	v_cndmask_b32_e64 v72, 0, v78, s12
	v_add_f32_e32 v78, v79, v71
	v_fma_f32 v79, s18, v107, -v68
	v_dual_add_f32 v82, v78, v72 :: v_dual_mul_f32 v79, 0x3fb8aa3b, v79
	v_cndmask_b32_e64 v78, 0, v81, s15
	s_delay_alu instid0(VALU_DEP_2) | instskip(NEXT) | instid1(VALU_DEP_3)
	v_add_f32_e32 v81, v82, v77
	v_exp_f32_e32 v82, v79
	v_cndmask_b32_e64 v79, 0, v90, s16
	s_delay_alu instid0(VALU_DEP_2) | instskip(NEXT) | instid1(VALU_DEP_1)
	v_add_f32_e32 v81, v81, v78
	v_add_f32_e32 v90, v81, v79
	s_waitcnt_depctr 0xfff
	v_cndmask_b32_e64 v81, 0, v82, s17
	s_delay_alu instid0(VALU_DEP_1)
	v_add_f32_e32 v82, v90, v81
	ds_bpermute_b32 v89, v89, v82
	s_and_saveexec_b32 s3, s2
	s_cbranch_execz .LBB1840_12
; %bb.11:
	v_mul_u32_u24_e32 v67, 0x44, v66
	s_delay_alu instid0(VALU_DEP_1) | instskip(SKIP_1) | instid1(VALU_DEP_1)
	v_lshl_add_u32 v67, v65, 2, v67
	s_waitcnt lgkmcnt(0)
	v_dual_add_f32 v82, v82, v89 :: v_dual_add_nc_u32 v67, 0x4000, v67
	ds_store_2addr_b32 v67, v68, v82 offset1:136
.LBB1840_12:
	s_or_b32 exec_lo, exec_lo, s3
	v_lshlrev_b32_e32 v67, 2, v65
	s_waitcnt lgkmcnt(0)
	s_barrier
	buffer_gl0_inv
	v_cmp_eq_u32_e32 vcc_lo, 1, v66
	v_add_nc_u32_e32 v82, 0x4000, v67
	v_cmp_eq_u32_e64 s3, 2, v66
	v_cmp_eq_u32_e64 s5, 7, v66
	ds_load_2addr_b32 v[89:90], v82 offset1:17
	ds_load_2addr_b32 v[91:92], v82 offset0:34 offset1:51
	ds_load_2addr_b32 v[93:94], v82 offset0:68 offset1:85
	ds_load_2addr_b32 v[95:96], v82 offset0:102 offset1:119
	ds_load_2addr_b32 v[97:98], v82 offset0:136 offset1:153
	s_waitcnt lgkmcnt(4)
	v_max3_f32 v67, v89, 0xff7fffff, v90
	s_waitcnt lgkmcnt(3)
	s_delay_alu instid0(VALU_DEP_1) | instskip(SKIP_1) | instid1(VALU_DEP_1)
	v_max3_f32 v67, v67, v91, v92
	s_waitcnt lgkmcnt(2)
	v_max3_f32 v67, v67, v93, v94
	s_waitcnt lgkmcnt(1)
	s_delay_alu instid0(VALU_DEP_1) | instskip(NEXT) | instid1(VALU_DEP_1)
	v_max3_f32 v67, v67, v95, v96
	v_sub_f32_e32 v93, v93, v67
	s_delay_alu instid0(VALU_DEP_1) | instskip(NEXT) | instid1(VALU_DEP_1)
	v_dual_sub_f32 v68, v89, v67 :: v_dual_mul_f32 v103, 0x3fb8aa3b, v93
	v_mul_f32_e32 v68, 0x3fb8aa3b, v68
	s_delay_alu instid0(VALU_DEP_1)
	v_exp_f32_e32 v100, v68
	v_sub_f32_e32 v68, v92, v67
	v_sub_f32_e32 v99, v90, v67
	ds_load_2addr_b32 v[89:90], v82 offset0:170 offset1:187
	v_dual_mul_f32 v102, 0x3fb8aa3b, v68 :: v_dual_mul_f32 v99, 0x3fb8aa3b, v99
	s_waitcnt lgkmcnt(1)
	v_fma_f32 v68, v100, v97, 0
	s_delay_alu instid0(VALU_DEP_2) | instskip(NEXT) | instid1(VALU_DEP_2)
	v_exp_f32_e32 v102, v102
	v_exp_f32_e32 v99, v99
	s_waitcnt_depctr 0xfff
	v_fmac_f32_e32 v68, v99, v98
	v_sub_f32_e32 v91, v91, v67
	s_delay_alu instid0(VALU_DEP_1)
	v_mul_f32_e32 v101, 0x3fb8aa3b, v91
	ds_load_2addr_b32 v[91:92], v82 offset0:204 offset1:221
	v_sub_f32_e32 v97, v94, v67
	ds_load_2addr_b32 v[93:94], v82 offset0:238 offset1:255
	s_waitcnt lgkmcnt(0)
	v_exp_f32_e32 v101, v101
	s_barrier
	buffer_gl0_inv
	v_dual_fmac_f32 v68, v101, v89 :: v_dual_sub_f32 v89, v96, v67
	v_dual_sub_f32 v82, v95, v67 :: v_dual_mul_f32 v95, 0x3fb8aa3b, v97
	v_exp_f32_e32 v97, v103
	s_delay_alu instid0(VALU_DEP_2) | instskip(NEXT) | instid1(VALU_DEP_2)
	v_dual_fmac_f32 v68, v102, v90 :: v_dual_mul_f32 v89, 0x3fb8aa3b, v89
	v_mul_f32_e32 v82, 0x3fb8aa3b, v82
	s_delay_alu instid0(VALU_DEP_3) | instskip(NEXT) | instid1(VALU_DEP_2)
	v_exp_f32_e32 v95, v95
	v_exp_f32_e32 v89, v89
	s_delay_alu instid0(VALU_DEP_1)
	v_exp_f32_e32 v82, v82
	v_fmac_f32_e32 v68, v97, v91
	s_delay_alu instid0(TRANS32_DEP_3) | instid1(VALU_DEP_1)
	v_fmac_f32_e32 v68, v95, v92
	s_waitcnt_depctr 0xfff
	v_fmac_f32_e32 v68, v82, v93
	s_delay_alu instid0(VALU_DEP_1) | instskip(NEXT) | instid1(VALU_DEP_1)
	v_fmac_f32_e32 v68, v89, v94
	v_add_f32_e32 v90, 0x358637bd, v68
	s_delay_alu instid0(VALU_DEP_1) | instskip(NEXT) | instid1(VALU_DEP_1)
	v_div_scale_f32 v91, null, v90, v90, 1.0
	v_rcp_f32_e32 v92, v91
	s_waitcnt_depctr 0xfff
	v_fma_f32 v93, -v91, v92, 1.0
	s_delay_alu instid0(VALU_DEP_1) | instskip(SKIP_1) | instid1(VALU_DEP_2)
	v_dual_fmac_f32 v92, v93, v92 :: v_dual_cndmask_b32 v93, v100, v99
	v_cmp_eq_u32_e32 vcc_lo, 3, v66
	v_cndmask_b32_e64 v93, v93, v101, s3
	v_cmp_eq_u32_e64 s3, 4, v66
	s_delay_alu instid0(VALU_DEP_2) | instskip(SKIP_1) | instid1(VALU_DEP_2)
	v_cndmask_b32_e32 v93, v93, v102, vcc_lo
	v_cmp_eq_u32_e32 vcc_lo, 5, v66
	v_cndmask_b32_e64 v93, v93, v97, s3
	v_cmp_eq_u32_e64 s3, 6, v66
	s_delay_alu instid0(VALU_DEP_2) | instskip(SKIP_1) | instid1(VALU_DEP_1)
	v_cndmask_b32_e32 v93, v93, v95, vcc_lo
	v_div_scale_f32 v94, s4, 1.0, v90, 1.0
	s_mov_b32 vcc_lo, s4
	s_delay_alu instid0(VALU_DEP_2) | instskip(NEXT) | instid1(VALU_DEP_2)
	v_cndmask_b32_e64 v82, v93, v82, s3
	v_mul_f32_e32 v96, v94, v92
	s_mov_b32 s3, exec_lo
	s_delay_alu instid0(VALU_DEP_2) | instskip(NEXT) | instid1(VALU_DEP_2)
	v_cndmask_b32_e64 v82, v82, v89, s5
	v_fma_f32 v98, -v91, v96, v94
	s_delay_alu instid0(VALU_DEP_1) | instskip(NEXT) | instid1(VALU_DEP_1)
	v_fmac_f32_e32 v96, v98, v92
	v_fma_f32 v91, -v91, v96, v94
	s_delay_alu instid0(VALU_DEP_1) | instskip(NEXT) | instid1(VALU_DEP_1)
	v_div_fmas_f32 v91, v91, v92, v96
	v_div_fixup_f32 v90, v91, v90, 1.0
	s_delay_alu instid0(VALU_DEP_1) | instskip(NEXT) | instid1(VALU_DEP_1)
	v_mul_f32_e32 v82, v82, v90
	v_mul_f32_e32 v87, v82, v87
	;; [unrolled: 1-line block ×7, first 2 shown]
	v_dual_mul_f32 v86, v82, v83 :: v_dual_and_b32 v91, 0x7f800000, v90
	v_mul_f32_e32 v85, v82, v76
                                        ; implicit-def: $vgpr76
	s_delay_alu instid0(VALU_DEP_2)
	v_cmpx_ne_u32_e32 0x7f800000, v91
	s_xor_b32 s3, exec_lo, s3
; %bb.13:
	v_bfe_u32 v76, v90, 16, 1
	s_delay_alu instid0(VALU_DEP_1)
	v_add3_u32 v76, v90, v76, 0x7fff
                                        ; implicit-def: $vgpr90
; %bb.14:
	s_and_not1_saveexec_b32 s3, s3
; %bb.15:
	v_and_b32_e32 v76, 0xffff, v90
	v_or_b32_e32 v83, 0x10000, v90
	s_delay_alu instid0(VALU_DEP_2) | instskip(NEXT) | instid1(VALU_DEP_2)
	v_cmp_eq_u32_e32 vcc_lo, 0, v76
	v_cndmask_b32_e32 v76, v83, v90, vcc_lo
; %bb.16:
	s_or_b32 exec_lo, exec_lo, s3
	v_and_b32_e32 v83, 0x7f800000, v85
	s_delay_alu instid0(VALU_DEP_1) | instskip(SKIP_1) | instid1(SALU_CYCLE_1)
	v_cmp_ne_u32_e32 vcc_lo, 0x7f800000, v83
                                        ; implicit-def: $vgpr83
	s_and_saveexec_b32 s3, vcc_lo
	s_xor_b32 s3, exec_lo, s3
; %bb.17:
	v_bfe_u32 v83, v85, 16, 1
	s_delay_alu instid0(VALU_DEP_1)
	v_add3_u32 v83, v85, v83, 0x7fff
                                        ; implicit-def: $vgpr85
; %bb.18:
	s_and_not1_saveexec_b32 s3, s3
; %bb.19:
	v_and_b32_e32 v83, 0xffff, v85
	v_or_b32_e32 v90, 0x10000, v85
	s_delay_alu instid0(VALU_DEP_2) | instskip(NEXT) | instid1(VALU_DEP_2)
	v_cmp_eq_u32_e32 vcc_lo, 0, v83
	v_cndmask_b32_e32 v83, v90, v85, vcc_lo
; %bb.20:
	s_or_b32 exec_lo, exec_lo, s3
	v_and_b32_e32 v85, 0x7f800000, v86
	s_delay_alu instid0(VALU_DEP_1) | instskip(SKIP_1) | instid1(SALU_CYCLE_1)
	v_cmp_ne_u32_e32 vcc_lo, 0x7f800000, v85
                                        ; implicit-def: $vgpr85
	s_and_saveexec_b32 s3, vcc_lo
	s_xor_b32 s3, exec_lo, s3
; %bb.21:
	v_bfe_u32 v85, v86, 16, 1
	s_delay_alu instid0(VALU_DEP_1)
	v_add3_u32 v85, v86, v85, 0x7fff
                                        ; implicit-def: $vgpr86
; %bb.22:
	s_and_not1_saveexec_b32 s3, s3
; %bb.23:
	v_and_b32_e32 v85, 0xffff, v86
	v_or_b32_e32 v90, 0x10000, v86
	s_delay_alu instid0(VALU_DEP_2) | instskip(NEXT) | instid1(VALU_DEP_2)
	v_cmp_eq_u32_e32 vcc_lo, 0, v85
	v_cndmask_b32_e32 v85, v90, v86, vcc_lo
; %bb.24:
	s_or_b32 exec_lo, exec_lo, s3
	v_and_b32_e32 v86, 0x7f800000, v89
	s_delay_alu instid0(VALU_DEP_1) | instskip(SKIP_1) | instid1(SALU_CYCLE_1)
	v_cmp_ne_u32_e32 vcc_lo, 0x7f800000, v86
                                        ; implicit-def: $vgpr86
	s_and_saveexec_b32 s3, vcc_lo
	s_xor_b32 s3, exec_lo, s3
; %bb.25:
	v_bfe_u32 v86, v89, 16, 1
	s_delay_alu instid0(VALU_DEP_1)
	v_add3_u32 v86, v89, v86, 0x7fff
                                        ; implicit-def: $vgpr89
; %bb.26:
	s_and_not1_saveexec_b32 s3, s3
; %bb.27:
	v_and_b32_e32 v86, 0xffff, v89
	v_or_b32_e32 v90, 0x10000, v89
	s_delay_alu instid0(VALU_DEP_2) | instskip(NEXT) | instid1(VALU_DEP_2)
	v_cmp_eq_u32_e32 vcc_lo, 0, v86
	v_cndmask_b32_e32 v86, v90, v89, vcc_lo
; %bb.28:
	s_or_b32 exec_lo, exec_lo, s3
	v_and_b32_e32 v89, 0x7f800000, v88
	s_delay_alu instid0(VALU_DEP_1) | instskip(SKIP_1) | instid1(SALU_CYCLE_1)
	v_cmp_ne_u32_e32 vcc_lo, 0x7f800000, v89
                                        ; implicit-def: $vgpr89
	s_and_saveexec_b32 s3, vcc_lo
	s_xor_b32 s3, exec_lo, s3
; %bb.29:
	v_bfe_u32 v89, v88, 16, 1
	s_delay_alu instid0(VALU_DEP_1)
	v_add3_u32 v89, v88, v89, 0x7fff
                                        ; implicit-def: $vgpr88
; %bb.30:
	s_and_not1_saveexec_b32 s3, s3
; %bb.31:
	v_and_b32_e32 v89, 0xffff, v88
	v_or_b32_e32 v90, 0x10000, v88
	s_delay_alu instid0(VALU_DEP_2) | instskip(NEXT) | instid1(VALU_DEP_2)
	v_cmp_eq_u32_e32 vcc_lo, 0, v89
	v_cndmask_b32_e32 v89, v90, v88, vcc_lo
; %bb.32:
	s_or_b32 exec_lo, exec_lo, s3
	v_and_b32_e32 v88, 0x7f800000, v87
	s_delay_alu instid0(VALU_DEP_1) | instskip(SKIP_1) | instid1(SALU_CYCLE_1)
	v_cmp_ne_u32_e32 vcc_lo, 0x7f800000, v88
                                        ; implicit-def: $vgpr88
	s_and_saveexec_b32 s3, vcc_lo
	s_xor_b32 s3, exec_lo, s3
; %bb.33:
	v_bfe_u32 v88, v87, 16, 1
	s_delay_alu instid0(VALU_DEP_1)
	v_add3_u32 v88, v87, v88, 0x7fff
                                        ; implicit-def: $vgpr87
; %bb.34:
	s_and_not1_saveexec_b32 s3, s3
; %bb.35:
	v_and_b32_e32 v88, 0xffff, v87
	v_or_b32_e32 v90, 0x10000, v87
	s_delay_alu instid0(VALU_DEP_2) | instskip(NEXT) | instid1(VALU_DEP_2)
	v_cmp_eq_u32_e32 vcc_lo, 0, v88
	v_cndmask_b32_e32 v88, v90, v87, vcc_lo
; %bb.36:
	s_or_b32 exec_lo, exec_lo, s3
	v_and_b32_e32 v87, 0x7f800000, v84
	s_delay_alu instid0(VALU_DEP_1) | instskip(SKIP_1) | instid1(SALU_CYCLE_1)
	v_cmp_ne_u32_e32 vcc_lo, 0x7f800000, v87
                                        ; implicit-def: $vgpr87
	s_and_saveexec_b32 s3, vcc_lo
	s_xor_b32 s3, exec_lo, s3
; %bb.37:
	v_bfe_u32 v87, v84, 16, 1
	s_delay_alu instid0(VALU_DEP_1)
	v_add3_u32 v87, v84, v87, 0x7fff
                                        ; implicit-def: $vgpr84
; %bb.38:
	s_and_not1_saveexec_b32 s3, s3
; %bb.39:
	v_and_b32_e32 v87, 0xffff, v84
	v_or_b32_e32 v90, 0x10000, v84
	s_delay_alu instid0(VALU_DEP_2) | instskip(NEXT) | instid1(VALU_DEP_2)
	v_cmp_eq_u32_e32 vcc_lo, 0, v87
	v_cndmask_b32_e32 v87, v90, v84, vcc_lo
; %bb.40:
	s_or_b32 exec_lo, exec_lo, s3
	v_and_b32_e32 v84, 0x7f800000, v80
	s_delay_alu instid0(VALU_DEP_1) | instskip(SKIP_1) | instid1(SALU_CYCLE_1)
	v_cmp_ne_u32_e32 vcc_lo, 0x7f800000, v84
                                        ; implicit-def: $vgpr84
	s_and_saveexec_b32 s3, vcc_lo
	s_xor_b32 s3, exec_lo, s3
; %bb.41:
	v_bfe_u32 v84, v80, 16, 1
	s_delay_alu instid0(VALU_DEP_1)
	v_add3_u32 v84, v80, v84, 0x7fff
                                        ; implicit-def: $vgpr80
; %bb.42:
	s_and_not1_saveexec_b32 s3, s3
; %bb.43:
	v_and_b32_e32 v84, 0xffff, v80
	v_or_b32_e32 v90, 0x10000, v80
	s_delay_alu instid0(VALU_DEP_2) | instskip(NEXT) | instid1(VALU_DEP_2)
	v_cmp_eq_u32_e32 vcc_lo, 0, v84
	v_cndmask_b32_e32 v84, v90, v80, vcc_lo
; %bb.44:
	s_or_b32 exec_lo, exec_lo, s3
	s_load_b64 s[34:35], s[0:1], 0x94
	v_lshlrev_b32_e32 v91, 4, v74
	s_delay_alu instid0(VALU_DEP_2)
	v_perm_b32 v90, v84, v87, 0x7060302
	v_dual_mul_f32 v79, v82, v79 :: v_dual_lshlrev_b32 v80, 6, v65
	v_dual_mul_f32 v77, v82, v77 :: v_dual_lshlrev_b32 v92, 11, v66
	v_mul_f32_e32 v84, v82, v70
	v_perm_b32 v89, v88, v89, 0x7060302
	v_perm_b32 v88, v86, v85, 0x7060302
	;; [unrolled: 1-line block ×3, first 2 shown]
	v_mul_f32_e32 v70, v82, v81
	v_or3_b32 v76, v91, v92, v80
	v_dual_mul_f32 v78, v82, v78 :: v_dual_and_b32 v85, 0x7f800000, v84
	v_mul_f32_e32 v83, v82, v72
	v_mul_f32_e32 v81, v82, v71
	v_mul_f32_e32 v72, v82, v69
	s_mov_b32 s3, exec_lo
	ds_store_b128 v76, v[87:90]
                                        ; implicit-def: $vgpr69
	v_cmpx_ne_u32_e32 0x7f800000, v85
	s_xor_b32 s3, exec_lo, s3
; %bb.45:
	v_bfe_u32 v69, v84, 16, 1
	s_delay_alu instid0(VALU_DEP_1)
	v_add3_u32 v69, v84, v69, 0x7fff
                                        ; implicit-def: $vgpr84
; %bb.46:
	s_and_not1_saveexec_b32 s3, s3
; %bb.47:
	v_and_b32_e32 v69, 0xffff, v84
	v_or_b32_e32 v71, 0x10000, v84
	s_delay_alu instid0(VALU_DEP_2) | instskip(NEXT) | instid1(VALU_DEP_2)
	v_cmp_eq_u32_e32 vcc_lo, 0, v69
	v_cndmask_b32_e32 v69, v71, v84, vcc_lo
; %bb.48:
	s_or_b32 exec_lo, exec_lo, s3
	v_and_b32_e32 v71, 0x7f800000, v72
	s_delay_alu instid0(VALU_DEP_1) | instskip(SKIP_1) | instid1(SALU_CYCLE_1)
	v_cmp_ne_u32_e32 vcc_lo, 0x7f800000, v71
                                        ; implicit-def: $vgpr71
	s_and_saveexec_b32 s3, vcc_lo
	s_xor_b32 s3, exec_lo, s3
; %bb.49:
	v_bfe_u32 v71, v72, 16, 1
	s_delay_alu instid0(VALU_DEP_1)
	v_add3_u32 v71, v72, v71, 0x7fff
                                        ; implicit-def: $vgpr72
; %bb.50:
	s_and_not1_saveexec_b32 s3, s3
; %bb.51:
	v_and_b32_e32 v71, 0xffff, v72
	v_or_b32_e32 v82, 0x10000, v72
	s_delay_alu instid0(VALU_DEP_2) | instskip(NEXT) | instid1(VALU_DEP_2)
	v_cmp_eq_u32_e32 vcc_lo, 0, v71
	v_cndmask_b32_e32 v71, v82, v72, vcc_lo
; %bb.52:
	s_or_b32 exec_lo, exec_lo, s3
	v_and_b32_e32 v72, 0x7f800000, v81
	s_delay_alu instid0(VALU_DEP_1) | instskip(SKIP_1) | instid1(SALU_CYCLE_1)
	v_cmp_ne_u32_e32 vcc_lo, 0x7f800000, v72
                                        ; implicit-def: $vgpr72
	s_and_saveexec_b32 s3, vcc_lo
	s_xor_b32 s3, exec_lo, s3
; %bb.53:
	v_bfe_u32 v72, v81, 16, 1
	s_delay_alu instid0(VALU_DEP_1)
	v_add3_u32 v72, v81, v72, 0x7fff
                                        ; implicit-def: $vgpr81
; %bb.54:
	s_and_not1_saveexec_b32 s3, s3
; %bb.55:
	v_and_b32_e32 v72, 0xffff, v81
	v_or_b32_e32 v82, 0x10000, v81
	s_delay_alu instid0(VALU_DEP_2) | instskip(NEXT) | instid1(VALU_DEP_2)
	v_cmp_eq_u32_e32 vcc_lo, 0, v72
	v_cndmask_b32_e32 v72, v82, v81, vcc_lo
; %bb.56:
	s_or_b32 exec_lo, exec_lo, s3
	v_and_b32_e32 v81, 0x7f800000, v83
	s_delay_alu instid0(VALU_DEP_1) | instskip(SKIP_1) | instid1(SALU_CYCLE_1)
	v_cmp_ne_u32_e32 vcc_lo, 0x7f800000, v81
                                        ; implicit-def: $vgpr81
	s_and_saveexec_b32 s3, vcc_lo
	s_xor_b32 s3, exec_lo, s3
; %bb.57:
	v_bfe_u32 v81, v83, 16, 1
	s_delay_alu instid0(VALU_DEP_1)
	v_add3_u32 v81, v83, v81, 0x7fff
                                        ; implicit-def: $vgpr83
; %bb.58:
	s_and_not1_saveexec_b32 s3, s3
; %bb.59:
	v_and_b32_e32 v81, 0xffff, v83
	v_or_b32_e32 v82, 0x10000, v83
	s_delay_alu instid0(VALU_DEP_2) | instskip(NEXT) | instid1(VALU_DEP_2)
	v_cmp_eq_u32_e32 vcc_lo, 0, v81
	v_cndmask_b32_e32 v81, v82, v83, vcc_lo
; %bb.60:
	s_or_b32 exec_lo, exec_lo, s3
	v_and_b32_e32 v82, 0x7f800000, v77
	s_delay_alu instid0(VALU_DEP_1) | instskip(SKIP_1) | instid1(SALU_CYCLE_1)
	v_cmp_ne_u32_e32 vcc_lo, 0x7f800000, v82
                                        ; implicit-def: $vgpr82
	s_and_saveexec_b32 s3, vcc_lo
	s_xor_b32 s3, exec_lo, s3
; %bb.61:
	v_bfe_u32 v82, v77, 16, 1
	s_delay_alu instid0(VALU_DEP_1)
	v_add3_u32 v82, v77, v82, 0x7fff
                                        ; implicit-def: $vgpr77
; %bb.62:
	s_and_not1_saveexec_b32 s3, s3
; %bb.63:
	v_and_b32_e32 v82, 0xffff, v77
	v_or_b32_e32 v83, 0x10000, v77
	s_delay_alu instid0(VALU_DEP_2) | instskip(NEXT) | instid1(VALU_DEP_2)
	v_cmp_eq_u32_e32 vcc_lo, 0, v82
	v_cndmask_b32_e32 v82, v83, v77, vcc_lo
; %bb.64:
	s_or_b32 exec_lo, exec_lo, s3
	v_and_b32_e32 v77, 0x7f800000, v78
	s_delay_alu instid0(VALU_DEP_1) | instskip(SKIP_1) | instid1(SALU_CYCLE_1)
	v_cmp_ne_u32_e32 vcc_lo, 0x7f800000, v77
                                        ; implicit-def: $vgpr77
	s_and_saveexec_b32 s3, vcc_lo
	s_xor_b32 s3, exec_lo, s3
; %bb.65:
	v_bfe_u32 v77, v78, 16, 1
	s_delay_alu instid0(VALU_DEP_1)
	v_add3_u32 v77, v78, v77, 0x7fff
                                        ; implicit-def: $vgpr78
; %bb.66:
	s_and_not1_saveexec_b32 s3, s3
; %bb.67:
	v_and_b32_e32 v77, 0xffff, v78
	v_or_b32_e32 v83, 0x10000, v78
	s_delay_alu instid0(VALU_DEP_2) | instskip(NEXT) | instid1(VALU_DEP_2)
	v_cmp_eq_u32_e32 vcc_lo, 0, v77
	v_cndmask_b32_e32 v77, v83, v78, vcc_lo
; %bb.68:
	s_or_b32 exec_lo, exec_lo, s3
	v_and_b32_e32 v78, 0x7f800000, v79
	s_delay_alu instid0(VALU_DEP_1) | instskip(SKIP_1) | instid1(SALU_CYCLE_1)
	v_cmp_ne_u32_e32 vcc_lo, 0x7f800000, v78
                                        ; implicit-def: $vgpr78
	s_and_saveexec_b32 s3, vcc_lo
	s_xor_b32 s3, exec_lo, s3
; %bb.69:
	v_bfe_u32 v78, v79, 16, 1
	s_delay_alu instid0(VALU_DEP_1)
	v_add3_u32 v78, v79, v78, 0x7fff
                                        ; implicit-def: $vgpr79
; %bb.70:
	s_and_not1_saveexec_b32 s3, s3
; %bb.71:
	v_and_b32_e32 v78, 0xffff, v79
	v_or_b32_e32 v83, 0x10000, v79
	s_delay_alu instid0(VALU_DEP_2) | instskip(NEXT) | instid1(VALU_DEP_2)
	v_cmp_eq_u32_e32 vcc_lo, 0, v78
	v_cndmask_b32_e32 v78, v83, v79, vcc_lo
; %bb.72:
	s_or_b32 exec_lo, exec_lo, s3
	v_and_b32_e32 v79, 0x7f800000, v70
	s_delay_alu instid0(VALU_DEP_1) | instskip(SKIP_1) | instid1(SALU_CYCLE_1)
	v_cmp_ne_u32_e32 vcc_lo, 0x7f800000, v79
                                        ; implicit-def: $vgpr79
	s_and_saveexec_b32 s3, vcc_lo
	s_xor_b32 s3, exec_lo, s3
; %bb.73:
	v_bfe_u32 v79, v70, 16, 1
	s_delay_alu instid0(VALU_DEP_1)
	v_add3_u32 v79, v70, v79, 0x7fff
                                        ; implicit-def: $vgpr70
; %bb.74:
	s_and_not1_saveexec_b32 s3, s3
; %bb.75:
	v_and_b32_e32 v79, 0xffff, v70
	v_or_b32_e32 v83, 0x10000, v70
	s_delay_alu instid0(VALU_DEP_2) | instskip(NEXT) | instid1(VALU_DEP_2)
	v_cmp_eq_u32_e32 vcc_lo, 0, v79
	v_cndmask_b32_e32 v79, v83, v70, vcc_lo
; %bb.76:
	s_or_b32 exec_lo, exec_lo, s3
	s_delay_alu instid0(VALU_DEP_1)
	v_perm_b32 v86, v79, v78, 0x7060302
	v_perm_b32 v85, v77, v82, 0x7060302
	;; [unrolled: 1-line block ×4, first 2 shown]
	v_lshl_or_b32 v82, v66, 11, v80
	ds_store_b128 v76, v[83:86] offset:1024
	s_waitcnt lgkmcnt(0)
	s_barrier
	buffer_gl0_inv
	ds_load_b128 v[69:72], v82
	ds_load_b128 v[83:86], v82 offset:16
	s_waitcnt lgkmcnt(1)
	v_lshrrev_b32_e32 v66, 16, v69
	s_waitcnt lgkmcnt(0)
	v_lshrrev_b32_e32 v91, 16, v83
	v_lshlrev_b32_e32 v78, 2, v74
	v_lshrrev_b32_e32 v95, 16, v70
	v_lshrrev_b32_e32 v98, 16, v84
	;; [unrolled: 1-line block ×4, first 2 shown]
	v_cmp_eq_u32_e32 vcc_lo, 1, v78
	v_lshrrev_b32_e32 v97, 16, v72
	v_lshrrev_b32_e32 v100, 16, v86
	v_cndmask_b32_e32 v87, v83, v91, vcc_lo
	v_or_b32_e32 v79, 1, v78
	v_cndmask_b32_e32 v81, v69, v66, vcc_lo
	v_cmp_eq_u32_e64 s4, 2, v78
	v_cmp_eq_u32_e64 s7, 3, v78
	;; [unrolled: 1-line block ×5, first 2 shown]
	v_cndmask_b32_e64 v81, v81, v70, s4
	v_cndmask_b32_e64 v87, v87, v84, s4
	v_cmp_eq_u32_e64 s8, 3, v79
	v_cndmask_b32_e64 v88, v69, v66, s3
	v_or_b32_e32 v77, 2, v78
	v_cndmask_b32_e64 v81, v81, v95, s7
	v_cndmask_b32_e64 v87, v87, v98, s7
	;; [unrolled: 1-line block ×4, first 2 shown]
	v_cmp_eq_u32_e64 s10, 5, v78
	v_cndmask_b32_e64 v81, v81, v71, s9
	v_cndmask_b32_e64 v87, v87, v85, s9
	v_cmp_eq_u32_e64 s11, 4, v79
	v_cndmask_b32_e64 v88, v88, v95, s8
	v_cmp_eq_u32_e64 s5, 1, v77
	v_cndmask_b32_e64 v89, v89, v84, s6
	v_cndmask_b32_e64 v81, v81, v96, s10
	v_cmp_eq_u32_e64 s12, 6, v78
	v_cndmask_b32_e64 v88, v88, v71, s11
	;; [unrolled: 3-line block ×3, first 2 shown]
	v_cndmask_b32_e64 v89, v89, v98, s8
	v_cndmask_b32_e64 v81, v81, v72, s12
	v_cmp_eq_u32_e64 s15, 7, v78
	v_cndmask_b32_e64 v88, v88, v96, s13
	v_cndmask_b32_e64 v87, v87, v86, s12
	v_cmp_eq_u32_e64 s16, 6, v79
	v_cmp_eq_u32_e64 s17, 2, v77
	v_cndmask_b32_e64 v89, v89, v85, s11
	v_cndmask_b32_e64 v101, v81, v97, s15
	;; [unrolled: 1-line block ×6, first 2 shown]
	v_cmp_eq_u32_e64 s18, 7, v79
	v_cmp_eq_u32_e64 s19, 3, v77
	;; [unrolled: 1-line block ×4, first 2 shown]
	v_cndmask_b32_e64 v87, v87, v84, s17
	v_cndmask_b32_e64 v103, v88, v97, s18
	;; [unrolled: 1-line block ×4, first 2 shown]
	v_or_b32_e32 v81, 3, v78
	v_cndmask_b32_e64 v93, v87, v98, s19
	v_cmp_eq_u32_e64 s24, 6, v77
	v_cndmask_b32_e64 v104, v88, v86, s16
	v_cndmask_b32_e64 v92, v89, v71, s20
	v_cmp_eq_u32_e64 s21, 1, v81
	ds_load_b128 v[87:90], v82 offset:1024
	v_cmp_eq_u32_e64 s23, 2, v81
	v_cmp_eq_u32_e64 s25, 3, v81
	v_cndmask_b32_e64 v105, v92, v96, s22
	v_cndmask_b32_e64 v66, v69, v66, s21
	;; [unrolled: 1-line block ×4, first 2 shown]
	ds_load_b128 v[91:94], v82 offset:1040
	v_cmp_eq_u32_e64 s26, 4, v81
	v_cndmask_b32_e64 v66, v66, v70, s23
	v_cmp_eq_u32_e64 s27, 7, v77
	v_cndmask_b32_e64 v70, v83, v84, s23
	v_cndmask_b32_e64 v84, v105, v72, s24
	v_cmp_eq_u32_e64 s28, 5, v81
	v_cndmask_b32_e64 v66, v66, v95, s25
	v_cmp_eq_u32_e64 s29, 6, v81
	v_cndmask_b32_e64 v70, v70, v98, s25
	v_cndmask_b32_e64 v69, v69, v99, s22
	;; [unrolled: 1-line block ×4, first 2 shown]
	s_waitcnt lgkmcnt(1)
	v_lshrrev_b32_e32 v95, 16, v87
	v_cndmask_b32_e64 v70, v70, v85, s26
	v_cndmask_b32_e64 v71, v84, v97, s27
	;; [unrolled: 1-line block ×4, first 2 shown]
	v_cndmask_b32_e32 v84, v87, v95, vcc_lo
	v_cndmask_b32_e64 v70, v70, v99, s28
	s_waitcnt lgkmcnt(0)
	v_lshrrev_b32_e32 v85, 16, v91
	v_lshrrev_b32_e32 v96, 16, v88
	v_cndmask_b32_e64 v98, v87, v95, s3
	v_cndmask_b32_e64 v84, v84, v88, s4
	;; [unrolled: 1-line block ×3, first 2 shown]
	v_cndmask_b32_e32 v99, v91, v85, vcc_lo
	v_cmp_eq_u32_e32 vcc_lo, 7, v81
	v_cndmask_b32_e64 v66, v66, v72, s29
	v_cndmask_b32_e64 v72, v84, v96, s7
	;; [unrolled: 1-line block ×3, first 2 shown]
	v_lshrrev_b32_e32 v98, 16, v92
	v_cndmask_b32_e32 v70, v70, v100, vcc_lo
	v_cndmask_b32_e64 v86, v99, v92, s4
	v_cndmask_b32_e64 v69, v69, v100, s27
	v_lshrrev_b32_e32 v100, 16, v93
	v_cndmask_b32_e64 v72, v72, v89, s9
	v_lshrrev_b32_e32 v99, 16, v89
	v_cndmask_b32_e64 v86, v86, v98, s7
	v_perm_b32 v71, v69, v71, 0x5040100
	v_cndmask_b32_e64 v84, v84, v96, s8
	s_delay_alu instid0(VALU_DEP_3) | instskip(NEXT) | instid1(VALU_DEP_2)
	v_cndmask_b32_e64 v86, v86, v93, s9
	v_cndmask_b32_e64 v84, v84, v89, s11
	s_delay_alu instid0(VALU_DEP_2) | instskip(NEXT) | instid1(VALU_DEP_1)
	v_cndmask_b32_e64 v86, v86, v100, s10
	v_cndmask_b32_e64 v69, v86, v94, s12
	;; [unrolled: 1-line block ×5, first 2 shown]
	s_delay_alu instid0(VALU_DEP_3) | instskip(NEXT) | instid1(VALU_DEP_3)
	v_cndmask_b32_e64 v86, v86, v88, s17
	v_cndmask_b32_e64 v87, v87, v88, s23
	s_delay_alu instid0(VALU_DEP_3) | instskip(NEXT) | instid1(VALU_DEP_3)
	v_cndmask_b32_e64 v88, v95, v92, s23
	v_cndmask_b32_e64 v86, v86, v96, s19
	s_delay_alu instid0(VALU_DEP_3) | instskip(NEXT) | instid1(VALU_DEP_3)
	v_cndmask_b32_e64 v87, v87, v96, s25
	v_cndmask_b32_e64 v88, v88, v98, s25
	s_delay_alu instid0(VALU_DEP_3) | instskip(NEXT) | instid1(VALU_DEP_3)
	v_cndmask_b32_e64 v86, v86, v89, s20
	v_cndmask_b32_e64 v87, v87, v89, s26
	s_delay_alu instid0(VALU_DEP_3) | instskip(NEXT) | instid1(VALU_DEP_3)
	v_cndmask_b32_e64 v88, v88, v93, s26
	v_cndmask_b32_e64 v86, v86, v99, s22
	s_delay_alu instid0(VALU_DEP_3) | instskip(NEXT) | instid1(VALU_DEP_3)
	v_cndmask_b32_e64 v87, v87, v99, s28
	v_cndmask_b32_e64 v88, v88, v100, s28
	s_delay_alu instid0(VALU_DEP_3) | instskip(NEXT) | instid1(VALU_DEP_3)
	v_cndmask_b32_e64 v86, v86, v90, s24
	v_cndmask_b32_e64 v87, v87, v90, s29
	s_delay_alu instid0(VALU_DEP_3) | instskip(SKIP_2) | instid1(VALU_DEP_2)
	v_cndmask_b32_e64 v88, v88, v94, s29
	v_cndmask_b32_e32 v66, v66, v97, vcc_lo
	v_cndmask_b32_e64 v97, v72, v99, s10
	v_perm_b32 v72, v70, v66, 0x5040100
	v_perm_b32 v70, v83, v103, 0x5040100
	v_cndmask_b32_e64 v103, v91, v85, s5
	v_cndmask_b32_e64 v85, v91, v85, s3
	;; [unrolled: 1-line block ×4, first 2 shown]
	v_lshrrev_b32_e32 v97, 16, v90
	v_cndmask_b32_e64 v91, v103, v92, s17
	v_cndmask_b32_e64 v85, v85, v92, s6
	;; [unrolled: 1-line block ×3, first 2 shown]
	s_mov_b32 s3, exec_lo
	v_cndmask_b32_e64 v83, v84, v97, s15
	v_cndmask_b32_e64 v91, v91, v98, s19
	;; [unrolled: 1-line block ×3, first 2 shown]
	v_lshrrev_b32_e32 v84, 16, v94
	v_cndmask_b32_e64 v66, v66, v97, s18
	v_cndmask_b32_e64 v90, v86, v97, s27
	;; [unrolled: 1-line block ×4, first 2 shown]
	v_dual_cndmask_b32 v86, v87, v97 :: v_dual_cndmask_b32 v87, v88, v84
	v_cndmask_b32_e64 v91, v69, v84, s15
	s_delay_alu instid0(VALU_DEP_4) | instskip(NEXT) | instid1(VALU_DEP_4)
	v_cndmask_b32_e64 v89, v89, v100, s22
	v_cndmask_b32_e64 v85, v85, v100, s13
	v_perm_b32 v69, v102, v101, 0x5040100
	v_perm_b32 v86, v87, v86, 0x5040100
	;; [unrolled: 1-line block ×3, first 2 shown]
	v_cndmask_b32_e64 v89, v89, v94, s24
	v_cndmask_b32_e64 v85, v85, v94, s16
	s_mul_i32 s8, s35, 3
	s_delay_alu instid0(VALU_DEP_2) | instskip(NEXT) | instid1(VALU_DEP_2)
	v_cndmask_b32_e64 v88, v89, v84, s27
	v_cndmask_b32_e64 v89, v85, v84, s18
	s_delay_alu instid0(VALU_DEP_2) | instskip(NEXT) | instid1(VALU_DEP_2)
	v_perm_b32 v85, v88, v90, 0x5040100
	v_perm_b32 v84, v89, v66, 0x5040100
	ds_store_b128 v76, v[69:72]
	ds_store_b128 v76, v[83:86] offset:1024
	v_cmpx_gt_u32_e32 3, v0
	s_cbranch_execz .LBB1840_78
; %bb.77:
	s_mul_i32 s4, s8, s30
	s_delay_alu instid0(SALU_CYCLE_1) | instskip(SKIP_1) | instid1(VALU_DEP_1)
	v_add3_u32 v69, s4, s31, v65
	s_load_b128 s[4:7], s[0:1], 0x58
	v_mad_u64_u32 v[65:66], null, v69, s34, s[14:15]
	s_delay_alu instid0(VALU_DEP_1) | instskip(NEXT) | instid1(VALU_DEP_1)
	v_ashrrev_i32_e32 v66, 31, v65
	v_lshlrev_b64 v[65:66], 2, v[65:66]
	s_waitcnt lgkmcnt(0)
	s_delay_alu instid0(VALU_DEP_1) | instskip(NEXT) | instid1(VALU_DEP_2)
	v_add_co_u32 v69, vcc_lo, s6, v65
	v_add_co_ci_u32_e32 v70, vcc_lo, s7, v66, vcc_lo
	v_add_co_u32 v65, vcc_lo, s4, v65
	v_add_co_ci_u32_e32 v66, vcc_lo, s5, v66, vcc_lo
	global_store_b32 v[69:70], v67, off
	global_store_b32 v[65:66], v68, off
.LBB1840_78:
	s_or_b32 exec_lo, exec_lo, s3
	s_waitcnt lgkmcnt(0)
	s_waitcnt_vscnt null, 0x0
	s_barrier
	buffer_gl0_inv
	ds_load_b128 v[83:86], v80
	ds_load_b128 v[87:90], v80 offset:16
	ds_load_b128 v[95:98], v80 offset:2064
	ds_load_b128 v[91:94], v80 offset:2048
	v_mov_b32_e32 v65, 0
	ds_load_b128 v[103:106], v80 offset:4112
	ds_load_b128 v[99:102], v80 offset:4096
	;; [unrolled: 1-line block ×4, first 2 shown]
	v_mov_b32_e32 v66, v65
	v_mov_b32_e32 v67, v65
	;; [unrolled: 1-line block ×7, first 2 shown]
	s_waitcnt lgkmcnt(6)
	s_delay_alu instid0(VALU_DEP_1)
	v_wmma_f32_16x16x16_bf16 v[65:72], v[41:48], v[83:90], v[65:72]
	ds_load_b128 v[45:48], v80 offset:8208
	ds_load_b128 v[41:44], v80 offset:8192
	s_waitcnt lgkmcnt(6)
	v_wmma_f32_16x16x16_bf16 v[65:72], v[33:40], v[91:98], v[65:72]
	ds_load_b128 v[37:40], v80 offset:10256
	ds_load_b128 v[33:36], v80 offset:10240
	s_waitcnt lgkmcnt(6)
	;; [unrolled: 4-line block ×4, first 2 shown]
	v_wmma_f32_16x16x16_bf16 v[65:72], v[1:8], v[41:48], v[65:72]
	s_waitcnt lgkmcnt(4)
	s_delay_alu instid0(VALU_DEP_1) | instskip(SKIP_1) | instid1(VALU_DEP_1)
	v_wmma_f32_16x16x16_bf16 v[65:72], v[9:16], v[33:40], v[65:72]
	s_waitcnt lgkmcnt(2)
	v_wmma_f32_16x16x16_bf16 v[65:72], v[57:64], v[25:32], v[65:72]
	s_waitcnt lgkmcnt(0)
	s_delay_alu instid0(VALU_DEP_1) | instskip(NEXT) | instid1(VALU_DEP_1)
	v_wmma_f32_16x16x16_bf16 v[65:72], v[49:56], v[17:24], v[65:72]
	v_and_b32_e32 v1, 0x7f800000, v65
	s_delay_alu instid0(VALU_DEP_1) | instskip(SKIP_1) | instid1(SALU_CYCLE_1)
	v_cmp_ne_u32_e32 vcc_lo, 0x7f800000, v1
                                        ; implicit-def: $vgpr1
	s_and_saveexec_b32 s3, vcc_lo
	s_xor_b32 s3, exec_lo, s3
; %bb.79:
	v_bfe_u32 v1, v65, 16, 1
	s_delay_alu instid0(VALU_DEP_1)
	v_add3_u32 v1, v65, v1, 0x7fff
; %bb.80:
	s_and_not1_saveexec_b32 s3, s3
; %bb.81:
	v_and_b32_e32 v1, 0xffff, v65
	v_or_b32_e32 v2, 0x10000, v65
	s_delay_alu instid0(VALU_DEP_2) | instskip(NEXT) | instid1(VALU_DEP_2)
	v_cmp_eq_u32_e32 vcc_lo, 0, v1
	v_cndmask_b32_e32 v1, v2, v65, vcc_lo
; %bb.82:
	s_or_b32 exec_lo, exec_lo, s3
	v_and_b32_e32 v2, 0x7f800000, v66
	s_delay_alu instid0(VALU_DEP_1) | instskip(SKIP_1) | instid1(SALU_CYCLE_1)
	v_cmp_ne_u32_e32 vcc_lo, 0x7f800000, v2
                                        ; implicit-def: $vgpr2
	s_and_saveexec_b32 s3, vcc_lo
	s_xor_b32 s3, exec_lo, s3
; %bb.83:
	v_bfe_u32 v2, v66, 16, 1
	s_delay_alu instid0(VALU_DEP_1)
	v_add3_u32 v2, v66, v2, 0x7fff
; %bb.84:
	s_and_not1_saveexec_b32 s3, s3
; %bb.85:
	v_and_b32_e32 v2, 0xffff, v66
	v_or_b32_e32 v3, 0x10000, v66
	s_delay_alu instid0(VALU_DEP_2) | instskip(NEXT) | instid1(VALU_DEP_2)
	v_cmp_eq_u32_e32 vcc_lo, 0, v2
	v_cndmask_b32_e32 v2, v3, v66, vcc_lo
; %bb.86:
	s_or_b32 exec_lo, exec_lo, s3
	v_and_b32_e32 v3, 0x7f800000, v67
	s_delay_alu instid0(VALU_DEP_1) | instskip(SKIP_1) | instid1(SALU_CYCLE_1)
	v_cmp_ne_u32_e32 vcc_lo, 0x7f800000, v3
                                        ; implicit-def: $vgpr3
	s_and_saveexec_b32 s3, vcc_lo
	s_xor_b32 s3, exec_lo, s3
; %bb.87:
	v_bfe_u32 v3, v67, 16, 1
	s_delay_alu instid0(VALU_DEP_1)
	v_add3_u32 v3, v67, v3, 0x7fff
; %bb.88:
	s_and_not1_saveexec_b32 s3, s3
; %bb.89:
	v_and_b32_e32 v3, 0xffff, v67
	v_or_b32_e32 v4, 0x10000, v67
	s_delay_alu instid0(VALU_DEP_2) | instskip(NEXT) | instid1(VALU_DEP_2)
	v_cmp_eq_u32_e32 vcc_lo, 0, v3
	v_cndmask_b32_e32 v3, v4, v67, vcc_lo
; %bb.90:
	s_or_b32 exec_lo, exec_lo, s3
	v_and_b32_e32 v4, 0x7f800000, v68
	s_delay_alu instid0(VALU_DEP_1) | instskip(SKIP_1) | instid1(SALU_CYCLE_1)
	v_cmp_ne_u32_e32 vcc_lo, 0x7f800000, v4
                                        ; implicit-def: $vgpr4
	s_and_saveexec_b32 s3, vcc_lo
	s_xor_b32 s3, exec_lo, s3
; %bb.91:
	v_bfe_u32 v4, v68, 16, 1
	s_delay_alu instid0(VALU_DEP_1)
	v_add3_u32 v4, v68, v4, 0x7fff
; %bb.92:
	s_and_not1_saveexec_b32 s3, s3
; %bb.93:
	v_and_b32_e32 v4, 0xffff, v68
	v_or_b32_e32 v5, 0x10000, v68
	s_delay_alu instid0(VALU_DEP_2) | instskip(NEXT) | instid1(VALU_DEP_2)
	v_cmp_eq_u32_e32 vcc_lo, 0, v4
	v_cndmask_b32_e32 v4, v5, v68, vcc_lo
; %bb.94:
	s_or_b32 exec_lo, exec_lo, s3
	v_and_b32_e32 v5, 0x7f800000, v69
	s_delay_alu instid0(VALU_DEP_1) | instskip(SKIP_1) | instid1(SALU_CYCLE_1)
	v_cmp_ne_u32_e32 vcc_lo, 0x7f800000, v5
                                        ; implicit-def: $vgpr5
	s_and_saveexec_b32 s3, vcc_lo
	s_xor_b32 s3, exec_lo, s3
; %bb.95:
	v_bfe_u32 v5, v69, 16, 1
	s_delay_alu instid0(VALU_DEP_1)
	v_add3_u32 v5, v69, v5, 0x7fff
; %bb.96:
	s_and_not1_saveexec_b32 s3, s3
; %bb.97:
	v_and_b32_e32 v5, 0xffff, v69
	v_or_b32_e32 v6, 0x10000, v69
	s_delay_alu instid0(VALU_DEP_2) | instskip(NEXT) | instid1(VALU_DEP_2)
	v_cmp_eq_u32_e32 vcc_lo, 0, v5
	v_cndmask_b32_e32 v5, v6, v69, vcc_lo
; %bb.98:
	s_or_b32 exec_lo, exec_lo, s3
	v_and_b32_e32 v6, 0x7f800000, v70
	s_delay_alu instid0(VALU_DEP_1) | instskip(SKIP_1) | instid1(SALU_CYCLE_1)
	v_cmp_ne_u32_e32 vcc_lo, 0x7f800000, v6
                                        ; implicit-def: $vgpr6
	s_and_saveexec_b32 s3, vcc_lo
	s_xor_b32 s3, exec_lo, s3
; %bb.99:
	v_bfe_u32 v6, v70, 16, 1
	s_delay_alu instid0(VALU_DEP_1)
	v_add3_u32 v6, v70, v6, 0x7fff
; %bb.100:
	s_and_not1_saveexec_b32 s3, s3
; %bb.101:
	v_and_b32_e32 v6, 0xffff, v70
	v_or_b32_e32 v7, 0x10000, v70
	s_delay_alu instid0(VALU_DEP_2) | instskip(NEXT) | instid1(VALU_DEP_2)
	v_cmp_eq_u32_e32 vcc_lo, 0, v6
	v_cndmask_b32_e32 v6, v7, v70, vcc_lo
; %bb.102:
	s_or_b32 exec_lo, exec_lo, s3
	v_and_b32_e32 v7, 0x7f800000, v71
	s_delay_alu instid0(VALU_DEP_1) | instskip(SKIP_1) | instid1(SALU_CYCLE_1)
	v_cmp_ne_u32_e32 vcc_lo, 0x7f800000, v7
                                        ; implicit-def: $vgpr7
	s_and_saveexec_b32 s3, vcc_lo
	s_xor_b32 s3, exec_lo, s3
; %bb.103:
	v_bfe_u32 v7, v71, 16, 1
	s_delay_alu instid0(VALU_DEP_1)
	v_add3_u32 v7, v71, v7, 0x7fff
; %bb.104:
	s_and_not1_saveexec_b32 s3, s3
; %bb.105:
	v_and_b32_e32 v7, 0xffff, v71
	v_or_b32_e32 v8, 0x10000, v71
	s_delay_alu instid0(VALU_DEP_2) | instskip(NEXT) | instid1(VALU_DEP_2)
	v_cmp_eq_u32_e32 vcc_lo, 0, v7
	v_cndmask_b32_e32 v7, v8, v71, vcc_lo
; %bb.106:
	s_or_b32 exec_lo, exec_lo, s3
	v_and_b32_e32 v8, 0x7f800000, v72
	s_delay_alu instid0(VALU_DEP_1) | instskip(SKIP_1) | instid1(SALU_CYCLE_1)
	v_cmp_ne_u32_e32 vcc_lo, 0x7f800000, v8
                                        ; implicit-def: $vgpr8
	s_and_saveexec_b32 s3, vcc_lo
	s_xor_b32 s3, exec_lo, s3
; %bb.107:
	v_bfe_u32 v8, v72, 16, 1
	s_delay_alu instid0(VALU_DEP_1)
	v_add3_u32 v8, v72, v8, 0x7fff
                                        ; implicit-def: $vgpr65_vgpr66_vgpr67_vgpr68_vgpr69_vgpr70_vgpr71_vgpr72
; %bb.108:
	s_and_not1_saveexec_b32 s3, s3
; %bb.109:
	v_and_b32_e32 v8, 0xffff, v72
	v_or_b32_e32 v9, 0x10000, v72
	s_delay_alu instid0(VALU_DEP_2) | instskip(NEXT) | instid1(VALU_DEP_2)
	v_cmp_eq_u32_e32 vcc_lo, 0, v8
	v_cndmask_b32_e32 v8, v9, v72, vcc_lo
; %bb.110:
	s_or_b32 exec_lo, exec_lo, s3
	s_delay_alu instid0(VALU_DEP_1)
	v_perm_b32 v7, v8, v7, 0x7060302
	v_perm_b32 v6, v6, v5, 0x7060302
	;; [unrolled: 1-line block ×4, first 2 shown]
	s_barrier
	buffer_gl0_inv
	v_cmp_eq_u32_e32 vcc_lo, 1, v78
	ds_store_b128 v76, v[4:7]
	s_waitcnt lgkmcnt(0)
	s_barrier
	buffer_gl0_inv
	ds_load_b128 v[1:4], v82
	ds_load_b128 v[5:8], v82 offset:16
	v_cmp_eq_u32_e64 s3, 1, v79
	v_cmp_eq_u32_e64 s4, 2, v78
	;; [unrolled: 1-line block ×5, first 2 shown]
	s_waitcnt lgkmcnt(1)
	v_lshrrev_b32_e32 v9, 16, v1
	s_waitcnt lgkmcnt(0)
	v_lshrrev_b32_e32 v13, 16, v5
	v_lshrrev_b32_e32 v10, 16, v2
	;; [unrolled: 1-line block ×4, first 2 shown]
	v_cndmask_b32_e64 v19, v1, v9, s3
	v_cndmask_b32_e32 v18, v5, v13, vcc_lo
	v_cndmask_b32_e64 v20, v5, v13, s3
	v_cndmask_b32_e32 v17, v1, v9, vcc_lo
	v_cmp_eq_u32_e32 vcc_lo, 2, v79
	v_lshrrev_b32_e32 v15, 16, v7
	v_cmp_eq_u32_e64 s3, 1, v77
	v_lshrrev_b32_e32 v12, 16, v4
	v_lshrrev_b32_e32 v16, 16, v8
	v_cndmask_b32_e32 v20, v20, v6, vcc_lo
	v_cndmask_b32_e64 v17, v17, v2, s4
	v_cndmask_b32_e32 v19, v19, v2, vcc_lo
	v_cndmask_b32_e64 v18, v18, v6, s4
	v_cmp_eq_u32_e32 vcc_lo, 4, v78
	v_cmp_eq_u32_e64 s4, 3, v79
	v_cndmask_b32_e64 v17, v17, v10, s5
	v_cndmask_b32_e64 v21, v1, v9, s3
	;; [unrolled: 1-line block ×5, first 2 shown]
	v_cndmask_b32_e32 v17, v17, v3, vcc_lo
	v_cndmask_b32_e64 v20, v20, v14, s4
	v_cndmask_b32_e32 v18, v18, v7, vcc_lo
	v_cmp_eq_u32_e32 vcc_lo, 4, v79
	v_cmp_eq_u32_e64 s4, 5, v79
	v_cmp_eq_u32_e64 s3, 2, v81
	v_cndmask_b32_e64 v21, v21, v2, s7
	v_cmp_eq_u32_e64 s5, 5, v78
	v_cndmask_b32_e32 v19, v19, v3, vcc_lo
	v_cndmask_b32_e32 v20, v20, v7, vcc_lo
	v_cmp_eq_u32_e32 vcc_lo, 6, v79
	s_delay_alu instid0(VALU_DEP_4) | instskip(NEXT) | instid1(VALU_DEP_4)
	v_cndmask_b32_e64 v17, v17, v11, s5
	v_cndmask_b32_e64 v19, v19, v11, s4
	s_delay_alu instid0(VALU_DEP_4) | instskip(SKIP_1) | instid1(VALU_DEP_3)
	v_cndmask_b32_e64 v20, v20, v15, s4
	v_cmp_eq_u32_e64 s4, 1, v81
	v_cndmask_b32_e32 v19, v19, v4, vcc_lo
	v_cndmask_b32_e64 v18, v18, v15, s5
	s_delay_alu instid0(VALU_DEP_3)
	v_cndmask_b32_e64 v1, v1, v9, s4
	v_cndmask_b32_e64 v5, v5, v13, s4
	v_cmp_eq_u32_e64 s4, 3, v77
	v_cndmask_b32_e64 v13, v22, v6, s7
	v_cmp_eq_u32_e64 s7, 3, v81
	v_cndmask_b32_e64 v1, v1, v2, s3
	v_cndmask_b32_e64 v2, v5, v6, s3
	;; [unrolled: 1-line block ×3, first 2 shown]
	v_cmp_eq_u32_e64 s3, 4, v77
	v_cndmask_b32_e64 v6, v13, v14, s4
	v_cndmask_b32_e64 v1, v1, v10, s7
	v_cmp_eq_u32_e64 s4, 4, v81
	v_cndmask_b32_e64 v2, v2, v14, s7
	v_cndmask_b32_e64 v5, v9, v3, s3
	;; [unrolled: 3-line block ×3, first 2 shown]
	v_cndmask_b32_e64 v2, v2, v7, s4
	v_cmp_eq_u32_e64 s3, 5, v81
	v_cmp_eq_u32_e64 s5, 6, v78
	v_cndmask_b32_e64 v5, v5, v11, s7
	v_cmp_eq_u32_e64 s4, 6, v77
	v_cndmask_b32_e64 v3, v6, v15, s7
	v_cndmask_b32_e64 v1, v1, v11, s3
	v_cmp_eq_u32_e64 s7, 6, v81
	v_cndmask_b32_e64 v2, v2, v15, s3
	v_cndmask_b32_e64 v17, v17, v4, s5
	v_cndmask_b32_e64 v18, v18, v8, s5
	v_cmp_eq_u32_e64 s5, 7, v78
	v_cndmask_b32_e64 v5, v5, v4, s4
	;; [unrolled: 4-line block ×3, first 2 shown]
	v_cmp_eq_u32_e64 s4, 7, v77
	v_cndmask_b32_e32 v4, v20, v8, vcc_lo
	v_cndmask_b32_e64 v17, v17, v12, s5
	v_cndmask_b32_e64 v19, v19, v12, s6
	;; [unrolled: 1-line block ×8, first 2 shown]
	s_mov_b32 s3, exec_lo
	v_perm_b32 v4, v2, v1, 0x5040100
	v_perm_b32 v3, v3, v5, 0x5040100
	;; [unrolled: 1-line block ×4, first 2 shown]
	ds_store_b128 v76, v[1:4]
	s_waitcnt lgkmcnt(0)
	s_barrier
	buffer_gl0_inv
	v_cmpx_gt_u32_e32 32, v0
	s_cbranch_execz .LBB1840_2
; %bb.111:
	s_load_b64 s[4:5], s[0:1], 0x68
	v_lshlrev_b32_e32 v0, 10, v0
	v_lshlrev_b32_e32 v2, 4, v75
	v_add_nc_u32_e32 v1, s31, v74
	s_lshl_b32 s0, s34, 7
	s_delay_alu instid0(SALU_CYCLE_1) | instskip(NEXT) | instid1(VALU_DEP_2)
	s_mul_i32 s1, s0, s30
	v_and_or_b32 v0, 0x3800, v0, v2
	s_mul_i32 s6, s1, s8
	v_mul_lo_u32 v1, v1, s0
	s_ashr_i32 s7, s6, 31
	s_delay_alu instid0(VALU_DEP_2) | instskip(SKIP_1) | instid1(VALU_DEP_2)
	v_lshl_or_b32 v3, v74, 6, v0
	s_lshl_b64 s[6:7], s[6:7], 1
	v_ashrrev_i32_e32 v2, 31, v1
	ds_load_b128 v[3:6], v3
	s_waitcnt lgkmcnt(0)
	s_add_u32 s1, s4, s6
	s_addc_u32 s3, s5, s7
	s_lshl_b32 s4, s14, 7
	v_lshlrev_b64 v[7:8], 1, v[1:2]
	s_ashr_i32 s5, s4, 31
	s_delay_alu instid0(SALU_CYCLE_1) | instskip(NEXT) | instid1(SALU_CYCLE_1)
	s_lshl_b64 s[4:5], s[4:5], 1
	s_add_u32 s1, s1, s4
	s_addc_u32 s3, s3, s5
	v_add_co_u32 v1, s1, s1, v73
	s_delay_alu instid0(VALU_DEP_1) | instskip(NEXT) | instid1(VALU_DEP_2)
	v_add_co_ci_u32_e64 v2, null, s3, 0, s1
	v_add_co_u32 v7, vcc_lo, v1, v7
	s_delay_alu instid0(VALU_DEP_2)
	v_add_co_ci_u32_e32 v8, vcc_lo, v2, v8, vcc_lo
	global_store_b128 v[7:8], v[3:6], off
	s_and_b32 exec_lo, exec_lo, s2
	s_cbranch_execz .LBB1840_2
; %bb.112:
	ds_load_b128 v[3:6], v0 offset:128
	s_add_i32 s1, s31, 2
	s_delay_alu instid0(SALU_CYCLE_1) | instskip(NEXT) | instid1(SALU_CYCLE_1)
	s_mul_i32 s0, s1, s0
	s_ashr_i32 s1, s0, 31
	s_delay_alu instid0(SALU_CYCLE_1) | instskip(NEXT) | instid1(SALU_CYCLE_1)
	s_lshl_b64 s[0:1], s[0:1], 1
	v_add_co_u32 v0, vcc_lo, v1, s0
	v_add_co_ci_u32_e32 v1, vcc_lo, s1, v2, vcc_lo
	s_waitcnt lgkmcnt(0)
	global_store_b128 v[0:1], v[3:6], off
	s_nop 0
	s_sendmsg sendmsg(MSG_DEALLOC_VGPRS)
	s_endpgm
	.section	.rodata,"a",@progbits
	.p2align	6, 0x0
	.amdhsa_kernel _Z39paged_attention_ll4mi_QKV_mfma16_kernelI14__hip_bfloat16hLN4vllm18Fp8KVCacheDataTypeE1ES0_Li16ELi128ELi256ELb1ELi3EL8MFMAType0EEvPKT_PKT0_S9_ifPKiSB_SB_iPKfiiiPfSE_PS4_PT2_iSD_SD_
		.amdhsa_group_segment_fixed_size 17472
		.amdhsa_private_segment_fixed_size 0
		.amdhsa_kernarg_size 400
		.amdhsa_user_sgpr_count 13
		.amdhsa_user_sgpr_dispatch_ptr 0
		.amdhsa_user_sgpr_queue_ptr 0
		.amdhsa_user_sgpr_kernarg_segment_ptr 1
		.amdhsa_user_sgpr_dispatch_id 0
		.amdhsa_user_sgpr_private_segment_size 0
		.amdhsa_wavefront_size32 1
		.amdhsa_uses_dynamic_stack 0
		.amdhsa_enable_private_segment 0
		.amdhsa_system_sgpr_workgroup_id_x 1
		.amdhsa_system_sgpr_workgroup_id_y 1
		.amdhsa_system_sgpr_workgroup_id_z 1
		.amdhsa_system_sgpr_workgroup_info 0
		.amdhsa_system_vgpr_workitem_id 0
		.amdhsa_next_free_vgpr 140
		.amdhsa_next_free_sgpr 36
		.amdhsa_reserve_vcc 1
		.amdhsa_float_round_mode_32 0
		.amdhsa_float_round_mode_16_64 0
		.amdhsa_float_denorm_mode_32 3
		.amdhsa_float_denorm_mode_16_64 3
		.amdhsa_dx10_clamp 1
		.amdhsa_ieee_mode 1
		.amdhsa_fp16_overflow 0
		.amdhsa_workgroup_processor_mode 1
		.amdhsa_memory_ordered 1
		.amdhsa_forward_progress 0
		.amdhsa_shared_vgpr_count 0
		.amdhsa_exception_fp_ieee_invalid_op 0
		.amdhsa_exception_fp_denorm_src 0
		.amdhsa_exception_fp_ieee_div_zero 0
		.amdhsa_exception_fp_ieee_overflow 0
		.amdhsa_exception_fp_ieee_underflow 0
		.amdhsa_exception_fp_ieee_inexact 0
		.amdhsa_exception_int_div_zero 0
	.end_amdhsa_kernel
	.section	.text._Z39paged_attention_ll4mi_QKV_mfma16_kernelI14__hip_bfloat16hLN4vllm18Fp8KVCacheDataTypeE1ES0_Li16ELi128ELi256ELb1ELi3EL8MFMAType0EEvPKT_PKT0_S9_ifPKiSB_SB_iPKfiiiPfSE_PS4_PT2_iSD_SD_,"axG",@progbits,_Z39paged_attention_ll4mi_QKV_mfma16_kernelI14__hip_bfloat16hLN4vllm18Fp8KVCacheDataTypeE1ES0_Li16ELi128ELi256ELb1ELi3EL8MFMAType0EEvPKT_PKT0_S9_ifPKiSB_SB_iPKfiiiPfSE_PS4_PT2_iSD_SD_,comdat
.Lfunc_end1840:
	.size	_Z39paged_attention_ll4mi_QKV_mfma16_kernelI14__hip_bfloat16hLN4vllm18Fp8KVCacheDataTypeE1ES0_Li16ELi128ELi256ELb1ELi3EL8MFMAType0EEvPKT_PKT0_S9_ifPKiSB_SB_iPKfiiiPfSE_PS4_PT2_iSD_SD_, .Lfunc_end1840-_Z39paged_attention_ll4mi_QKV_mfma16_kernelI14__hip_bfloat16hLN4vllm18Fp8KVCacheDataTypeE1ES0_Li16ELi128ELi256ELb1ELi3EL8MFMAType0EEvPKT_PKT0_S9_ifPKiSB_SB_iPKfiiiPfSE_PS4_PT2_iSD_SD_
                                        ; -- End function
	.section	.AMDGPU.csdata,"",@progbits
; Kernel info:
; codeLenInByte = 8848
; NumSgprs: 38
; NumVgprs: 140
; ScratchSize: 0
; MemoryBound: 0
; FloatMode: 240
; IeeeMode: 1
; LDSByteSize: 17472 bytes/workgroup (compile time only)
; SGPRBlocks: 4
; VGPRBlocks: 17
; NumSGPRsForWavesPerEU: 38
; NumVGPRsForWavesPerEU: 140
; Occupancy: 10
; WaveLimiterHint : 1
; COMPUTE_PGM_RSRC2:SCRATCH_EN: 0
; COMPUTE_PGM_RSRC2:USER_SGPR: 13
; COMPUTE_PGM_RSRC2:TRAP_HANDLER: 0
; COMPUTE_PGM_RSRC2:TGID_X_EN: 1
; COMPUTE_PGM_RSRC2:TGID_Y_EN: 1
; COMPUTE_PGM_RSRC2:TGID_Z_EN: 1
; COMPUTE_PGM_RSRC2:TIDIG_COMP_CNT: 0
	.section	.text._Z39paged_attention_ll4mi_QKV_mfma16_kernelI14__hip_bfloat16hLN4vllm18Fp8KVCacheDataTypeE1ES0_Li16ELi128ELi256ELb1ELi4EL8MFMAType0EEvPKT_PKT0_S9_ifPKiSB_SB_iPKfiiiPfSE_PS4_PT2_iSD_SD_,"axG",@progbits,_Z39paged_attention_ll4mi_QKV_mfma16_kernelI14__hip_bfloat16hLN4vllm18Fp8KVCacheDataTypeE1ES0_Li16ELi128ELi256ELb1ELi4EL8MFMAType0EEvPKT_PKT0_S9_ifPKiSB_SB_iPKfiiiPfSE_PS4_PT2_iSD_SD_,comdat
	.protected	_Z39paged_attention_ll4mi_QKV_mfma16_kernelI14__hip_bfloat16hLN4vllm18Fp8KVCacheDataTypeE1ES0_Li16ELi128ELi256ELb1ELi4EL8MFMAType0EEvPKT_PKT0_S9_ifPKiSB_SB_iPKfiiiPfSE_PS4_PT2_iSD_SD_ ; -- Begin function _Z39paged_attention_ll4mi_QKV_mfma16_kernelI14__hip_bfloat16hLN4vllm18Fp8KVCacheDataTypeE1ES0_Li16ELi128ELi256ELb1ELi4EL8MFMAType0EEvPKT_PKT0_S9_ifPKiSB_SB_iPKfiiiPfSE_PS4_PT2_iSD_SD_
	.globl	_Z39paged_attention_ll4mi_QKV_mfma16_kernelI14__hip_bfloat16hLN4vllm18Fp8KVCacheDataTypeE1ES0_Li16ELi128ELi256ELb1ELi4EL8MFMAType0EEvPKT_PKT0_S9_ifPKiSB_SB_iPKfiiiPfSE_PS4_PT2_iSD_SD_
	.p2align	8
	.type	_Z39paged_attention_ll4mi_QKV_mfma16_kernelI14__hip_bfloat16hLN4vllm18Fp8KVCacheDataTypeE1ES0_Li16ELi128ELi256ELb1ELi4EL8MFMAType0EEvPKT_PKT0_S9_ifPKiSB_SB_iPKfiiiPfSE_PS4_PT2_iSD_SD_,@function
_Z39paged_attention_ll4mi_QKV_mfma16_kernelI14__hip_bfloat16hLN4vllm18Fp8KVCacheDataTypeE1ES0_Li16ELi128ELi256ELb1ELi4EL8MFMAType0EEvPKT_PKT0_S9_ifPKiSB_SB_iPKfiiiPfSE_PS4_PT2_iSD_SD_: ; @_Z39paged_attention_ll4mi_QKV_mfma16_kernelI14__hip_bfloat16hLN4vllm18Fp8KVCacheDataTypeE1ES0_Li16ELi128ELi256ELb1ELi4EL8MFMAType0EEvPKT_PKT0_S9_ifPKiSB_SB_iPKfiiiPfSE_PS4_PT2_iSD_SD_
; %bb.0:
	s_load_b64 s[4:5], s[0:1], 0x30
	s_mov_b32 s30, s13
	s_waitcnt lgkmcnt(0)
	s_cmp_lg_u64 s[4:5], 0
	s_cselect_b32 s13, -1, 0
	s_ashr_i32 s31, s30, 31
	s_cmp_eq_u64 s[4:5], 0
	s_cbranch_scc1 .LBB1841_3
; %bb.1:
	s_lshl_b64 s[2:3], s[30:31], 2
	s_delay_alu instid0(SALU_CYCLE_1) | instskip(SKIP_4) | instid1(SALU_CYCLE_1)
	s_add_u32 s2, s4, s2
	s_addc_u32 s3, s5, s3
	s_load_b64 s[2:3], s[2:3], 0x0
	s_waitcnt lgkmcnt(0)
	s_sub_i32 s2, s3, s2
	s_cmp_eq_u32 s2, 1
	s_cselect_b32 s2, -1, 0
	s_delay_alu instid0(SALU_CYCLE_1)
	s_and_not1_b32 vcc_lo, exec_lo, s2
	s_cbranch_vccz .LBB1841_4
.LBB1841_2:
	s_endpgm
.LBB1841_3:
.LBB1841_4:
	s_load_b64 s[2:3], s[0:1], 0x28
	s_lshl_b64 s[6:7], s[30:31], 2
	s_waitcnt lgkmcnt(0)
	s_add_u32 s2, s2, s6
	s_addc_u32 s3, s3, s7
	s_lshl_b32 s12, s14, 8
	s_load_b32 s17, s[2:3], 0x0
	s_waitcnt lgkmcnt(0)
	s_cmp_ge_i32 s12, s17
	s_cbranch_scc1 .LBB1841_2
; %bb.5:
	s_clause 0x1
	s_load_b128 s[8:11], s[0:1], 0x8
	s_load_b64 s[2:3], s[0:1], 0x20
	s_and_not1_b32 vcc_lo, exec_lo, s13
	s_cbranch_vccnz .LBB1841_7
; %bb.6:
	s_add_u32 s4, s4, s6
	s_addc_u32 s5, s5, s7
	s_load_b32 s13, s[4:5], 0x0
	s_branch .LBB1841_8
.LBB1841_7:
	s_mov_b32 s13, s30
.LBB1841_8:
	s_load_b128 s[4:7], s[0:1], 0x48
	v_and_b32_e32 v66, 15, v0
	v_lshrrev_b32_e32 v65, 5, v0
	v_and_b32_e32 v67, 31, v0
	v_and_b32_e32 v75, 1, v0
	v_bfe_u32 v74, v0, 4, 1
	v_lshlrev_b32_e32 v1, 3, v66
	s_lshl_b32 s29, s15, 2
	s_waitcnt lgkmcnt(0)
	s_mov_b32 s7, exec_lo
	s_delay_alu instid0(VALU_DEP_1)
	v_lshlrev_b32_e32 v73, 1, v1
	v_cmpx_gt_u32_e32 64, v0
	s_cbranch_execz .LBB1841_10
; %bb.9:
	v_lshl_or_b32 v5, v65, 1, v74
	s_load_b64 s[18:19], s[0:1], 0x0
	s_mul_hi_i32 s21, s13, s4
	s_mul_i32 s20, s13, s4
	v_lshlrev_b32_e32 v6, 10, v66
	v_or_b32_e32 v1, s29, v5
	s_lshl_b64 s[20:21], s[20:21], 1
	v_lshlrev_b32_e32 v5, 6, v5
	v_lshlrev_b32_e32 v7, 10, v75
	v_and_b32_e32 v6, 0x3800, v6
	v_lshlrev_b32_e32 v1, 7, v1
	s_delay_alu instid0(VALU_DEP_2) | instskip(NEXT) | instid1(VALU_DEP_2)
	v_or3_b32 v5, v6, v7, v5
	v_ashrrev_i32_e32 v2, 31, v1
	s_delay_alu instid0(VALU_DEP_1) | instskip(SKIP_3) | instid1(VALU_DEP_1)
	v_lshlrev_b64 v[1:2], 1, v[1:2]
	s_waitcnt lgkmcnt(0)
	s_add_u32 s4, s18, s20
	s_addc_u32 s13, s19, s21
	v_add_co_u32 v1, vcc_lo, s4, v1
	s_delay_alu instid0(VALU_DEP_2) | instskip(NEXT) | instid1(VALU_DEP_2)
	v_add_co_ci_u32_e32 v2, vcc_lo, s13, v2, vcc_lo
	v_add_co_u32 v1, vcc_lo, v1, v73
	s_delay_alu instid0(VALU_DEP_2)
	v_add_co_ci_u32_e32 v2, vcc_lo, 0, v2, vcc_lo
	global_load_b128 v[1:4], v[1:2], off
	s_waitcnt vmcnt(0)
	ds_store_b128 v5, v[1:4]
.LBB1841_10:
	s_or_b32 exec_lo, exec_lo, s7
	v_and_b32_e32 v1, 0xef, v0
	s_add_i32 s4, s17, 15
	s_clause 0x1
	s_load_b32 s7, s[0:1], 0x38
	s_load_b32 s18, s[0:1], 0x1c
	s_ashr_i32 s13, s4, 31
	v_add_nc_u32_e32 v1, s12, v1
	s_lshr_b32 s13, s13, 28
	s_waitcnt lgkmcnt(0)
	s_add_i32 s4, s4, s13
	s_barrier
	v_ashrrev_i32_e32 v2, 31, v1
	v_or_b32_e32 v3, 16, v1
	s_ashr_i32 s4, s4, 4
	v_cmp_gt_i32_e32 vcc_lo, s17, v1
	s_add_i32 s4, s4, -1
	v_lshrrev_b32_e32 v2, 28, v2
	buffer_gl0_inv
	s_mul_i32 s15, s15, s6
	v_add_nc_u32_e32 v4, v1, v2
	s_mul_i32 s20, s30, s7
	s_delay_alu instid0(SALU_CYCLE_1) | instskip(NEXT) | instid1(VALU_DEP_1)
	s_ashr_i32 s21, s20, 31
	v_ashrrev_i32_e32 v4, 4, v4
	v_add_nc_u32_e32 v2, v3, v2
	s_lshl_b64 s[20:21], s[20:21], 2
	s_delay_alu instid0(SALU_CYCLE_1) | instskip(NEXT) | instid1(VALU_DEP_2)
	s_add_u32 s13, s2, s20
	v_cndmask_b32_e32 v1, s4, v4, vcc_lo
	s_delay_alu instid0(VALU_DEP_2)
	v_ashrrev_i32_e32 v2, 4, v2
	v_cmp_gt_i32_e32 vcc_lo, s17, v3
	s_addc_u32 s16, s3, s21
	s_ashr_i32 s19, s15, 31
	s_add_u32 s26, s8, s15
	s_addc_u32 s27, s9, s19
	v_cndmask_b32_e32 v3, s4, v2, vcc_lo
	v_ashrrev_i32_e32 v2, 31, v1
	s_lshl_b32 s2, s14, 4
	s_delay_alu instid0(SALU_CYCLE_1) | instskip(NEXT) | instid1(VALU_DEP_2)
	s_ashr_i32 s3, s2, 31
	v_ashrrev_i32_e32 v4, 31, v3
	s_delay_alu instid0(VALU_DEP_2) | instskip(SKIP_1) | instid1(SALU_CYCLE_1)
	v_lshlrev_b64 v[1:2], 2, v[1:2]
	s_lshl_b64 s[2:3], s[2:3], 2
	s_add_u32 s2, s13, s2
	s_delay_alu instid0(VALU_DEP_2) | instskip(SKIP_1) | instid1(VALU_DEP_2)
	v_lshlrev_b64 v[3:4], 2, v[3:4]
	s_addc_u32 s3, s16, s3
	v_add_co_u32 v1, vcc_lo, s13, v1
	v_add_co_ci_u32_e32 v2, vcc_lo, s16, v2, vcc_lo
	s_delay_alu instid0(VALU_DEP_3) | instskip(NEXT) | instid1(VALU_DEP_4)
	v_add_co_u32 v3, vcc_lo, s13, v3
	v_add_co_ci_u32_e32 v4, vcc_lo, s16, v4, vcc_lo
	s_clause 0x1
	global_load_b32 v5, v[1:2], off
	global_load_b32 v3, v[3:4], off
	s_or_b32 s6, s12, 32
	s_delay_alu instid0(SALU_CYCLE_1) | instskip(SKIP_2) | instid1(SALU_CYCLE_1)
	s_ashr_i32 s7, s6, 4
	s_cmp_lt_i32 s6, s17
	s_cselect_b32 s6, s7, s4
	s_ashr_i32 s7, s6, 31
	s_delay_alu instid0(SALU_CYCLE_1) | instskip(NEXT) | instid1(SALU_CYCLE_1)
	s_lshl_b64 s[6:7], s[6:7], 2
	s_add_u32 s6, s13, s6
	s_addc_u32 s7, s16, s7
	s_or_b32 s8, s12, 64
	s_delay_alu instid0(SALU_CYCLE_1) | instskip(SKIP_2) | instid1(SALU_CYCLE_1)
	s_ashr_i32 s9, s8, 4
	s_cmp_lt_i32 s8, s17
	s_cselect_b32 s8, s9, s4
	s_ashr_i32 s9, s8, 31
	s_delay_alu instid0(SALU_CYCLE_1) | instskip(NEXT) | instid1(SALU_CYCLE_1)
	s_lshl_b64 s[8:9], s[8:9], 2
	s_add_u32 s8, s13, s8
	s_addc_u32 s9, s16, s9
	;; [unrolled: 10-line block ×5, first 2 shown]
	s_clause 0x5
	s_load_b32 s28, s[2:3], 0x0
	s_load_b32 s31, s[6:7], 0x0
	;; [unrolled: 1-line block ×6, first 2 shown]
	s_mov_b32 s20, 0
	s_or_b32 s2, s12, 0xc0
	s_mov_b32 s21, s20
	s_mov_b32 s22, s20
	;; [unrolled: 1-line block ×5, first 2 shown]
	v_lshlrev_b32_e32 v1, 4, v0
	s_ashr_i32 s3, s2, 4
	s_cmp_lt_i32 s2, s17
	s_cselect_b32 s2, s3, s4
	s_delay_alu instid0(VALU_DEP_1) | instskip(SKIP_1) | instid1(SALU_CYCLE_1)
	v_and_b32_e32 v1, 0xf0, v1
	s_ashr_i32 s3, s2, 31
	s_lshl_b64 s[2:3], s[2:3], 2
	s_delay_alu instid0(VALU_DEP_1) | instskip(NEXT) | instid1(VALU_DEP_1)
	v_add_co_u32 v1, s26, s26, v1
	v_add_co_ci_u32_e64 v2, null, s27, 0, s26
	s_add_u32 s2, s13, s2
	s_addc_u32 s3, s16, s3
	s_or_b32 s6, s12, 0xe0
	s_mov_b32 s26, s20
	s_ashr_i32 s7, s6, 4
	s_cmp_lt_i32 s6, s17
	s_mov_b32 s27, s20
	s_cselect_b32 s6, s7, s4
	v_dual_mov_b32 v107, s27 :: v_dual_mov_b32 v100, s20
	s_ashr_i32 s7, s6, 31
	v_mov_b32_e32 v106, s26
	s_lshl_b64 s[6:7], s[6:7], 2
	v_dual_mov_b32 v104, s24 :: v_dual_mov_b32 v103, s23
	v_dual_mov_b32 v102, s22 :: v_dual_mov_b32 v101, s21
	v_mov_b32_e32 v105, s25
	s_waitcnt vmcnt(1)
	v_mad_i64_i32 v[33:34], null, v5, s5, v[1:2]
	s_waitcnt vmcnt(0)
	v_mad_i64_i32 v[35:36], null, v3, s5, v[1:2]
	s_clause 0xf
	global_load_b128 v[1:4], v[33:34], off
	global_load_b128 v[5:8], v[33:34], off offset:256
	global_load_b128 v[9:12], v[35:36], off
	global_load_b128 v[13:16], v[35:36], off offset:256
	global_load_b128 v[17:20], v[33:34], off offset:512
	global_load_b128 v[21:24], v[33:34], off offset:768
	global_load_b128 v[25:28], v[35:36], off offset:512
	global_load_b128 v[29:32], v[35:36], off offset:768
	global_load_b128 v[57:60], v[33:34], off offset:1024
	global_load_b128 v[61:64], v[33:34], off offset:1280
	global_load_b128 v[76:79], v[35:36], off offset:1024
	global_load_b128 v[80:83], v[35:36], off offset:1280
	global_load_b128 v[84:87], v[33:34], off offset:1536
	global_load_b128 v[88:91], v[33:34], off offset:1792
	global_load_b128 v[92:95], v[35:36], off offset:1536
	global_load_b128 v[96:99], v[35:36], off offset:1792
	v_and_b32_e32 v33, 3, v0
	v_lshlrev_b32_e32 v34, 4, v66
	s_delay_alu instid0(VALU_DEP_2) | instskip(NEXT) | instid1(VALU_DEP_2)
	v_lshlrev_b32_e32 v72, 6, v33
	v_lshl_or_b32 v41, v65, 8, v34
	ds_load_b128 v[33:36], v72
	ds_load_b128 v[37:40], v72 offset:1024
	ds_load_b128 v[108:111], v72 offset:2048
	;; [unrolled: 1-line block ×3, first 2 shown]
	s_load_b32 s4, s[2:3], 0x0
	s_add_u32 s2, s13, s6
	s_addc_u32 s3, s16, s7
	ds_load_b128 v[116:119], v72 offset:4096
	ds_load_b128 v[120:123], v72 offset:5120
	s_load_b32 s2, s[2:3], 0x0
	s_add_u32 s6, s10, s15
	s_addc_u32 s7, s11, s19
	v_add_co_u32 v68, s6, s6, v41
	s_delay_alu instid0(VALU_DEP_1) | instskip(SKIP_1) | instid1(VALU_DEP_1)
	v_add_co_ci_u32_e64 v69, null, s7, 0, s6
	s_waitcnt lgkmcnt(0)
	v_mad_i64_i32 v[41:42], null, s28, s5, v[68:69]
	v_mad_i64_i32 v[70:71], null, s8, s5, v[68:69]
	;; [unrolled: 1-line block ×7, first 2 shown]
	s_clause 0x3
	global_load_b128 v[49:52], v[41:42], off
	global_load_b128 v[53:56], v[41:42], off offset:16
	global_load_b128 v[41:44], v[45:46], off
	global_load_b128 v[45:48], v[45:46], off offset:16
	s_waitcnt vmcnt(18)
	v_wmma_f32_16x16x16_bf16 v[124:131], v[1:8], v[33:40], v[100:107]
	s_waitcnt vmcnt(16)
	v_wmma_f32_16x16x16_bf16 v[100:107], v[9:16], v[33:40], v[100:107]
	s_clause 0x1
	global_load_b128 v[33:36], v[70:71], off
	global_load_b128 v[37:40], v[70:71], off offset:16
	v_mad_i64_i32 v[70:71], null, s2, s5, v[68:69]
	s_waitcnt vmcnt(16)
	v_wmma_f32_16x16x16_bf16 v[124:131], v[17:24], v[108:115], v[124:131]
	s_waitcnt vmcnt(14)
	v_wmma_f32_16x16x16_bf16 v[100:107], v[25:32], v[108:115], v[100:107]
	s_clause 0x7
	global_load_b128 v[25:28], v[132:133], off
	global_load_b128 v[29:32], v[132:133], off offset:16
	global_load_b128 v[1:4], v[134:135], off
	global_load_b128 v[5:8], v[134:135], off offset:16
	;; [unrolled: 2-line block ×4, first 2 shown]
	s_waitcnt vmcnt(20)
	v_wmma_f32_16x16x16_bf16 v[124:131], v[57:64], v[116:123], v[124:131]
	s_clause 0x1
	global_load_b128 v[57:60], v[70:71], off
	global_load_b128 v[61:64], v[70:71], off offset:16
	s_waitcnt vmcnt(20)
	v_wmma_f32_16x16x16_bf16 v[100:107], v[76:83], v[116:123], v[100:107]
	ds_load_b128 v[76:79], v72 offset:6144
	ds_load_b128 v[80:83], v72 offset:7168
	v_and_b32_e32 v68, 0xe0, v0
	v_mbcnt_lo_u32_b32 v69, -1, 0
	s_waitcnt vmcnt(0) lgkmcnt(0)
	s_barrier
	buffer_gl0_inv
	v_add_nc_u32_e32 v68, s12, v68
	v_xor_b32_e32 v70, 16, v69
	s_delay_alu instid0(VALU_DEP_2) | instskip(NEXT) | instid1(VALU_DEP_2)
	v_or_b32_e32 v68, v68, v74
	v_cmp_gt_i32_e32 vcc_lo, 32, v70
	s_delay_alu instid0(VALU_DEP_2)
	v_or_b32_e32 v71, 4, v68
	v_or_b32_e32 v72, 6, v68
	v_cmp_gt_i32_e64 s2, s17, v68
	v_or_b32_e32 v108, 8, v68
	v_wmma_f32_16x16x16_bf16 v[124:131], v[84:91], v[76:83], v[124:131]
	v_cndmask_b32_e32 v69, v69, v70, vcc_lo
	v_or_b32_e32 v70, 2, v68
	v_wmma_f32_16x16x16_bf16 v[100:107], v[92:99], v[76:83], v[100:107]
	v_or_b32_e32 v109, 10, v68
	v_dual_mul_f32 v80, s18, v129 :: v_dual_mul_f32 v81, s18, v128
	v_dual_mul_f32 v92, s18, v125 :: v_dual_mul_f32 v93, s18, v124
	s_delay_alu instid0(VALU_DEP_4)
	v_mul_f32_e32 v96, s18, v105
	v_cmp_gt_i32_e32 vcc_lo, s17, v70
	v_or_b32_e32 v89, 22, v68
	v_dual_mul_f32 v79, s18, v130 :: v_dual_mul_f32 v82, s18, v127
	v_dual_mul_f32 v83, s18, v126 :: v_dual_mul_f32 v94, s18, v107
	v_cndmask_b32_e64 v93, 0xff7fffff, v93, s2
	v_cndmask_b32_e32 v92, 0xff7fffff, v92, vcc_lo
	v_cmp_gt_i32_e64 s3, s17, v71
	v_cmp_gt_i32_e64 s4, s17, v72
	v_or_b32_e32 v84, 12, v68
	v_or_b32_e32 v85, 14, v68
	v_cmp_gt_i32_e64 s5, s17, v108
	v_cndmask_b32_e64 v71, 0xff7fffff, v83, s3
	v_cndmask_b32_e64 v72, 0xff7fffff, v82, s4
	v_cmp_gt_i32_e64 s6, s17, v109
	v_cmp_gt_i32_e64 s12, s17, v89
	v_lshlrev_b32_e32 v89, 2, v69
	v_max3_f32 v82, v93, 0xff7fffff, v92
	v_or_b32_e32 v86, 16, v68
	v_or_b32_e32 v87, 18, v68
	v_mul_f32_e32 v78, s18, v131
	v_cndmask_b32_e64 v81, 0xff7fffff, v81, s5
	v_cndmask_b32_e64 v80, 0xff7fffff, v80, s6
	v_max3_f32 v71, v82, v71, v72
	v_cmp_gt_i32_e64 s7, s17, v84
	v_cmp_gt_i32_e64 s8, s17, v85
	v_or_b32_e32 v88, 20, v68
	v_or_b32_e32 v90, 24, v68
	;; [unrolled: 1-line block ×5, first 2 shown]
	v_dual_mul_f32 v97, s18, v104 :: v_dual_mul_f32 v70, s18, v101
	v_dual_mul_f32 v99, s18, v102 :: v_dual_mul_f32 v68, s18, v100
	v_cndmask_b32_e64 v72, 0xff7fffff, v79, s7
	v_cndmask_b32_e64 v78, 0xff7fffff, v78, s8
	v_max3_f32 v71, v71, v81, v80
	v_cmp_gt_i32_e64 s9, s17, v86
	v_cmp_gt_i32_e64 s10, s17, v87
	v_dual_mul_f32 v95, s18, v106 :: v_dual_mul_f32 v98, s18, v103
	s_delay_alu instid0(VALU_DEP_4) | instskip(NEXT) | instid1(VALU_DEP_4)
	v_max3_f32 v71, v71, v72, v78
	v_cndmask_b32_e64 v68, 0xff7fffff, v68, s9
	s_delay_alu instid0(VALU_DEP_4)
	v_cndmask_b32_e64 v70, 0xff7fffff, v70, s10
	v_cmp_gt_i32_e64 s11, s17, v88
	v_cndmask_b32_e64 v78, 0xff7fffff, v98, s12
	v_cmp_gt_i32_e64 s13, s17, v90
	v_cmp_gt_i32_e64 s15, s17, v91
	v_max3_f32 v68, v71, v68, v70
	v_cndmask_b32_e64 v72, 0xff7fffff, v99, s11
	v_cmp_gt_i32_e64 s16, s17, v76
	v_cndmask_b32_e64 v70, 0xff7fffff, v97, s13
	v_cndmask_b32_e64 v71, 0xff7fffff, v96, s15
	v_cmp_gt_i32_e64 s17, s17, v77
	v_max3_f32 v68, v68, v72, v78
	v_cndmask_b32_e64 v72, 0xff7fffff, v95, s16
	s_delay_alu instid0(VALU_DEP_3) | instskip(NEXT) | instid1(VALU_DEP_3)
	v_cndmask_b32_e64 v76, 0xff7fffff, v94, s17
	v_max3_f32 v68, v68, v70, v71
	s_delay_alu instid0(VALU_DEP_1) | instskip(SKIP_3) | instid1(VALU_DEP_1)
	v_max3_f32 v68, v68, v72, v76
	ds_bpermute_b32 v69, v89, v68
	s_waitcnt lgkmcnt(0)
	v_max_f32_e32 v69, v69, v69
	v_max_f32_e32 v68, v68, v69
	s_delay_alu instid0(VALU_DEP_1) | instskip(NEXT) | instid1(VALU_DEP_1)
	v_fma_f32 v71, s18, v126, -v68
	v_mul_f32_e32 v71, 0x3fb8aa3b, v71
	v_fma_f32 v70, s18, v125, -v68
	v_fma_f32 v69, s18, v124, -v68
	;; [unrolled: 1-line block ×5, first 2 shown]
	s_delay_alu instid0(VALU_DEP_4) | instskip(SKIP_1) | instid1(VALU_DEP_3)
	v_dual_mul_f32 v70, 0x3fb8aa3b, v70 :: v_dual_mul_f32 v69, 0x3fb8aa3b, v69
	v_exp_f32_e32 v71, v71
	v_mul_f32_e32 v72, 0x3fb8aa3b, v72
	v_fma_f32 v81, s18, v105, -v68
	s_delay_alu instid0(VALU_DEP_3)
	v_exp_f32_e32 v70, v70
	v_mul_f32_e32 v77, 0x3fb8aa3b, v76
	v_exp_f32_e32 v69, v69
	v_exp_f32_e32 v72, v72
	v_mul_f32_e32 v81, 0x3fb8aa3b, v81
	v_cndmask_b32_e64 v83, 0, v71, s3
	v_fma_f32 v71, s18, v131, -v68
	s_delay_alu instid0(VALU_DEP_3) | instskip(SKIP_4) | instid1(TRANS32_DEP_3)
	v_exp_f32_e32 v81, v81
	v_cndmask_b32_e32 v76, 0, v70, vcc_lo
	v_exp_f32_e32 v77, v77
	v_cndmask_b32_e64 v80, 0, v69, s2
	v_fma_f32 v69, s18, v129, -v68
	v_cndmask_b32_e64 v85, 0, v72, s4
	v_mul_f32_e32 v71, 0x3fb8aa3b, v71
	v_fma_f32 v72, s18, v100, -v68
	s_delay_alu instid0(VALU_DEP_4) | instskip(SKIP_1) | instid1(VALU_DEP_3)
	v_dual_add_f32 v70, 0, v80 :: v_dual_mul_f32 v69, 0x3fb8aa3b, v69
	s_mov_b32 s2, exec_lo
	v_exp_f32_e32 v71, v71
	s_delay_alu instid0(TRANS32_DEP_2) | instskip(SKIP_4) | instid1(VALU_DEP_3)
	v_cndmask_b32_e64 v86, 0, v77, s5
	v_fma_f32 v77, s18, v101, -v68
	v_mul_f32_e32 v78, 0x3fb8aa3b, v78
	v_add_f32_e32 v70, v70, v76
	v_exp_f32_e32 v69, v69
	v_mul_f32_e32 v77, 0x3fb8aa3b, v77
	s_delay_alu instid0(VALU_DEP_3) | instskip(NEXT) | instid1(TRANS32_DEP_3)
	v_exp_f32_e32 v78, v78
	v_cndmask_b32_e64 v88, 0, v71, s8
	v_fma_f32 v71, s18, v104, -v68
	s_delay_alu instid0(VALU_DEP_3) | instskip(NEXT) | instid1(TRANS32_DEP_3)
	v_exp_f32_e32 v77, v77
	v_cndmask_b32_e64 v87, 0, v69, s6
	s_delay_alu instid0(VALU_DEP_2)
	v_mul_f32_e32 v71, 0x3fb8aa3b, v71
	s_waitcnt_depctr 0xfff
	v_cndmask_b32_e64 v84, 0, v78, s7
	v_add_f32_e32 v70, v70, v83
	v_fma_f32 v78, s18, v103, -v68
	v_exp_f32_e32 v82, v71
	s_delay_alu instid0(VALU_DEP_2) | instskip(SKIP_1) | instid1(VALU_DEP_3)
	v_add_f32_e32 v70, v70, v85
	v_mul_f32_e32 v72, 0x3fb8aa3b, v72
	v_mul_f32_e32 v78, 0x3fb8aa3b, v78
	s_delay_alu instid0(VALU_DEP_3) | instskip(SKIP_1) | instid1(VALU_DEP_4)
	v_add_f32_e32 v69, v70, v86
	v_fma_f32 v70, s18, v102, -v68
	v_exp_f32_e32 v72, v72
	s_delay_alu instid0(VALU_DEP_3) | instskip(NEXT) | instid1(VALU_DEP_1)
	v_exp_f32_e32 v78, v78
	v_dual_add_f32 v69, v69, v87 :: v_dual_mul_f32 v70, 0x3fb8aa3b, v70
	s_delay_alu instid0(VALU_DEP_1) | instskip(NEXT) | instid1(VALU_DEP_2)
	v_add_f32_e32 v69, v69, v84
	v_exp_f32_e32 v79, v70
	s_delay_alu instid0(TRANS32_DEP_3) | instskip(NEXT) | instid1(VALU_DEP_2)
	v_cndmask_b32_e64 v70, 0, v72, s9
	v_add_f32_e32 v72, v69, v88
	v_cndmask_b32_e64 v69, 0, v77, s10
	v_fma_f32 v77, s18, v106, -v68
	s_waitcnt_depctr 0xfff
	v_cndmask_b32_e64 v71, 0, v79, s11
	v_dual_mul_f32 v77, 0x3fb8aa3b, v77 :: v_dual_add_f32 v72, v72, v70
	s_delay_alu instid0(VALU_DEP_1) | instskip(NEXT) | instid1(VALU_DEP_1)
	v_exp_f32_e32 v90, v77
	v_add_f32_e32 v79, v72, v69
	v_cndmask_b32_e64 v72, 0, v78, s12
	v_cndmask_b32_e64 v77, 0, v82, s13
	s_delay_alu instid0(VALU_DEP_3) | instskip(SKIP_1) | instid1(VALU_DEP_1)
	v_add_f32_e32 v78, v79, v71
	v_fma_f32 v79, s18, v107, -v68
	v_dual_add_f32 v82, v78, v72 :: v_dual_mul_f32 v79, 0x3fb8aa3b, v79
	v_cndmask_b32_e64 v78, 0, v81, s15
	s_delay_alu instid0(VALU_DEP_2) | instskip(NEXT) | instid1(VALU_DEP_3)
	v_add_f32_e32 v81, v82, v77
	v_exp_f32_e32 v82, v79
	v_cndmask_b32_e64 v79, 0, v90, s16
	s_delay_alu instid0(VALU_DEP_2) | instskip(NEXT) | instid1(VALU_DEP_1)
	v_add_f32_e32 v81, v81, v78
	v_add_f32_e32 v90, v81, v79
	s_waitcnt_depctr 0xfff
	v_cndmask_b32_e64 v81, 0, v82, s17
	s_delay_alu instid0(VALU_DEP_1)
	v_add_f32_e32 v82, v90, v81
	ds_bpermute_b32 v89, v89, v82
	v_cmpx_gt_u32_e32 16, v67
	s_cbranch_execz .LBB1841_12
; %bb.11:
	v_mul_u32_u24_e32 v67, 0x44, v65
	s_delay_alu instid0(VALU_DEP_1) | instskip(SKIP_1) | instid1(VALU_DEP_1)
	v_lshl_add_u32 v67, v66, 2, v67
	s_waitcnt lgkmcnt(0)
	v_dual_add_f32 v82, v82, v89 :: v_dual_add_nc_u32 v67, 0x4000, v67
	ds_store_2addr_b32 v67, v68, v82 offset1:136
.LBB1841_12:
	s_or_b32 exec_lo, exec_lo, s2
	v_lshlrev_b32_e32 v67, 2, v66
	s_waitcnt lgkmcnt(0)
	s_barrier
	buffer_gl0_inv
	v_cmp_eq_u32_e32 vcc_lo, 1, v65
	v_add_nc_u32_e32 v82, 0x4000, v67
	v_cmp_eq_u32_e64 s2, 2, v65
	v_cmp_eq_u32_e64 s4, 7, v65
	ds_load_2addr_b32 v[89:90], v82 offset1:17
	ds_load_2addr_b32 v[91:92], v82 offset0:34 offset1:51
	ds_load_2addr_b32 v[93:94], v82 offset0:68 offset1:85
	;; [unrolled: 1-line block ×4, first 2 shown]
	s_waitcnt lgkmcnt(4)
	v_max3_f32 v67, v89, 0xff7fffff, v90
	s_waitcnt lgkmcnt(3)
	s_delay_alu instid0(VALU_DEP_1) | instskip(SKIP_1) | instid1(VALU_DEP_1)
	v_max3_f32 v67, v67, v91, v92
	s_waitcnt lgkmcnt(2)
	v_max3_f32 v67, v67, v93, v94
	s_waitcnt lgkmcnt(1)
	s_delay_alu instid0(VALU_DEP_1) | instskip(NEXT) | instid1(VALU_DEP_1)
	v_max3_f32 v67, v67, v95, v96
	v_sub_f32_e32 v93, v93, v67
	s_delay_alu instid0(VALU_DEP_1) | instskip(NEXT) | instid1(VALU_DEP_1)
	v_dual_sub_f32 v68, v89, v67 :: v_dual_mul_f32 v103, 0x3fb8aa3b, v93
	v_mul_f32_e32 v68, 0x3fb8aa3b, v68
	s_delay_alu instid0(VALU_DEP_1)
	v_exp_f32_e32 v100, v68
	v_sub_f32_e32 v68, v92, v67
	v_sub_f32_e32 v99, v90, v67
	ds_load_2addr_b32 v[89:90], v82 offset0:170 offset1:187
	v_dual_mul_f32 v102, 0x3fb8aa3b, v68 :: v_dual_mul_f32 v99, 0x3fb8aa3b, v99
	s_waitcnt lgkmcnt(1)
	v_fma_f32 v68, v100, v97, 0
	s_delay_alu instid0(VALU_DEP_2) | instskip(NEXT) | instid1(VALU_DEP_2)
	v_exp_f32_e32 v102, v102
	v_exp_f32_e32 v99, v99
	s_waitcnt_depctr 0xfff
	v_fmac_f32_e32 v68, v99, v98
	v_sub_f32_e32 v91, v91, v67
	s_delay_alu instid0(VALU_DEP_1)
	v_mul_f32_e32 v101, 0x3fb8aa3b, v91
	ds_load_2addr_b32 v[91:92], v82 offset0:204 offset1:221
	v_sub_f32_e32 v97, v94, v67
	ds_load_2addr_b32 v[93:94], v82 offset0:238 offset1:255
	s_waitcnt lgkmcnt(0)
	v_exp_f32_e32 v101, v101
	s_barrier
	buffer_gl0_inv
	v_dual_fmac_f32 v68, v101, v89 :: v_dual_sub_f32 v89, v96, v67
	v_dual_sub_f32 v82, v95, v67 :: v_dual_mul_f32 v95, 0x3fb8aa3b, v97
	v_exp_f32_e32 v97, v103
	s_delay_alu instid0(VALU_DEP_2) | instskip(NEXT) | instid1(VALU_DEP_2)
	v_dual_fmac_f32 v68, v102, v90 :: v_dual_mul_f32 v89, 0x3fb8aa3b, v89
	v_mul_f32_e32 v82, 0x3fb8aa3b, v82
	s_delay_alu instid0(VALU_DEP_3) | instskip(NEXT) | instid1(VALU_DEP_2)
	v_exp_f32_e32 v95, v95
	v_exp_f32_e32 v89, v89
	s_delay_alu instid0(VALU_DEP_1)
	v_exp_f32_e32 v82, v82
	v_fmac_f32_e32 v68, v97, v91
	s_delay_alu instid0(TRANS32_DEP_3) | instid1(VALU_DEP_1)
	v_fmac_f32_e32 v68, v95, v92
	s_waitcnt_depctr 0xfff
	v_fmac_f32_e32 v68, v82, v93
	s_delay_alu instid0(VALU_DEP_1) | instskip(NEXT) | instid1(VALU_DEP_1)
	v_fmac_f32_e32 v68, v89, v94
	v_add_f32_e32 v90, 0x358637bd, v68
	s_delay_alu instid0(VALU_DEP_1) | instskip(NEXT) | instid1(VALU_DEP_1)
	v_div_scale_f32 v91, null, v90, v90, 1.0
	v_rcp_f32_e32 v92, v91
	s_waitcnt_depctr 0xfff
	v_fma_f32 v93, -v91, v92, 1.0
	s_delay_alu instid0(VALU_DEP_1) | instskip(SKIP_1) | instid1(VALU_DEP_2)
	v_dual_fmac_f32 v92, v93, v92 :: v_dual_cndmask_b32 v93, v100, v99
	v_cmp_eq_u32_e32 vcc_lo, 3, v65
	v_cndmask_b32_e64 v93, v93, v101, s2
	v_cmp_eq_u32_e64 s2, 4, v65
	s_delay_alu instid0(VALU_DEP_2) | instskip(SKIP_1) | instid1(VALU_DEP_2)
	v_cndmask_b32_e32 v93, v93, v102, vcc_lo
	v_cmp_eq_u32_e32 vcc_lo, 5, v65
	v_cndmask_b32_e64 v93, v93, v97, s2
	v_cmp_eq_u32_e64 s2, 6, v65
	s_delay_alu instid0(VALU_DEP_2) | instskip(SKIP_1) | instid1(VALU_DEP_1)
	v_cndmask_b32_e32 v93, v93, v95, vcc_lo
	v_div_scale_f32 v94, s3, 1.0, v90, 1.0
	s_mov_b32 vcc_lo, s3
	s_delay_alu instid0(VALU_DEP_2) | instskip(NEXT) | instid1(VALU_DEP_2)
	v_cndmask_b32_e64 v82, v93, v82, s2
	v_mul_f32_e32 v96, v94, v92
	s_mov_b32 s2, exec_lo
	s_delay_alu instid0(VALU_DEP_2) | instskip(NEXT) | instid1(VALU_DEP_2)
	v_cndmask_b32_e64 v82, v82, v89, s4
	v_fma_f32 v98, -v91, v96, v94
	s_delay_alu instid0(VALU_DEP_1) | instskip(NEXT) | instid1(VALU_DEP_1)
	v_fmac_f32_e32 v96, v98, v92
	v_fma_f32 v91, -v91, v96, v94
	s_delay_alu instid0(VALU_DEP_1) | instskip(NEXT) | instid1(VALU_DEP_1)
	v_div_fmas_f32 v91, v91, v92, v96
	v_div_fixup_f32 v90, v91, v90, 1.0
	s_delay_alu instid0(VALU_DEP_1) | instskip(NEXT) | instid1(VALU_DEP_1)
	v_mul_f32_e32 v82, v82, v90
	v_mul_f32_e32 v87, v82, v87
	;; [unrolled: 1-line block ×7, first 2 shown]
	v_dual_mul_f32 v86, v82, v83 :: v_dual_and_b32 v91, 0x7f800000, v90
	v_mul_f32_e32 v85, v82, v76
                                        ; implicit-def: $vgpr76
	s_delay_alu instid0(VALU_DEP_2)
	v_cmpx_ne_u32_e32 0x7f800000, v91
	s_xor_b32 s2, exec_lo, s2
; %bb.13:
	v_bfe_u32 v76, v90, 16, 1
	s_delay_alu instid0(VALU_DEP_1)
	v_add3_u32 v76, v90, v76, 0x7fff
                                        ; implicit-def: $vgpr90
; %bb.14:
	s_and_not1_saveexec_b32 s2, s2
; %bb.15:
	v_and_b32_e32 v76, 0xffff, v90
	v_or_b32_e32 v83, 0x10000, v90
	s_delay_alu instid0(VALU_DEP_2) | instskip(NEXT) | instid1(VALU_DEP_2)
	v_cmp_eq_u32_e32 vcc_lo, 0, v76
	v_cndmask_b32_e32 v76, v83, v90, vcc_lo
; %bb.16:
	s_or_b32 exec_lo, exec_lo, s2
	v_and_b32_e32 v83, 0x7f800000, v85
	s_delay_alu instid0(VALU_DEP_1) | instskip(SKIP_1) | instid1(SALU_CYCLE_1)
	v_cmp_ne_u32_e32 vcc_lo, 0x7f800000, v83
                                        ; implicit-def: $vgpr83
	s_and_saveexec_b32 s2, vcc_lo
	s_xor_b32 s2, exec_lo, s2
; %bb.17:
	v_bfe_u32 v83, v85, 16, 1
	s_delay_alu instid0(VALU_DEP_1)
	v_add3_u32 v83, v85, v83, 0x7fff
                                        ; implicit-def: $vgpr85
; %bb.18:
	s_and_not1_saveexec_b32 s2, s2
; %bb.19:
	v_and_b32_e32 v83, 0xffff, v85
	v_or_b32_e32 v90, 0x10000, v85
	s_delay_alu instid0(VALU_DEP_2) | instskip(NEXT) | instid1(VALU_DEP_2)
	v_cmp_eq_u32_e32 vcc_lo, 0, v83
	v_cndmask_b32_e32 v83, v90, v85, vcc_lo
; %bb.20:
	s_or_b32 exec_lo, exec_lo, s2
	v_and_b32_e32 v85, 0x7f800000, v86
	s_delay_alu instid0(VALU_DEP_1) | instskip(SKIP_1) | instid1(SALU_CYCLE_1)
	v_cmp_ne_u32_e32 vcc_lo, 0x7f800000, v85
                                        ; implicit-def: $vgpr85
	s_and_saveexec_b32 s2, vcc_lo
	s_xor_b32 s2, exec_lo, s2
; %bb.21:
	v_bfe_u32 v85, v86, 16, 1
	s_delay_alu instid0(VALU_DEP_1)
	v_add3_u32 v85, v86, v85, 0x7fff
                                        ; implicit-def: $vgpr86
; %bb.22:
	s_and_not1_saveexec_b32 s2, s2
; %bb.23:
	v_and_b32_e32 v85, 0xffff, v86
	v_or_b32_e32 v90, 0x10000, v86
	s_delay_alu instid0(VALU_DEP_2) | instskip(NEXT) | instid1(VALU_DEP_2)
	v_cmp_eq_u32_e32 vcc_lo, 0, v85
	v_cndmask_b32_e32 v85, v90, v86, vcc_lo
; %bb.24:
	s_or_b32 exec_lo, exec_lo, s2
	v_and_b32_e32 v86, 0x7f800000, v89
	s_delay_alu instid0(VALU_DEP_1) | instskip(SKIP_1) | instid1(SALU_CYCLE_1)
	v_cmp_ne_u32_e32 vcc_lo, 0x7f800000, v86
                                        ; implicit-def: $vgpr86
	s_and_saveexec_b32 s2, vcc_lo
	s_xor_b32 s2, exec_lo, s2
; %bb.25:
	v_bfe_u32 v86, v89, 16, 1
	s_delay_alu instid0(VALU_DEP_1)
	v_add3_u32 v86, v89, v86, 0x7fff
                                        ; implicit-def: $vgpr89
; %bb.26:
	s_and_not1_saveexec_b32 s2, s2
; %bb.27:
	v_and_b32_e32 v86, 0xffff, v89
	v_or_b32_e32 v90, 0x10000, v89
	s_delay_alu instid0(VALU_DEP_2) | instskip(NEXT) | instid1(VALU_DEP_2)
	v_cmp_eq_u32_e32 vcc_lo, 0, v86
	v_cndmask_b32_e32 v86, v90, v89, vcc_lo
; %bb.28:
	s_or_b32 exec_lo, exec_lo, s2
	v_and_b32_e32 v89, 0x7f800000, v88
	s_delay_alu instid0(VALU_DEP_1) | instskip(SKIP_1) | instid1(SALU_CYCLE_1)
	v_cmp_ne_u32_e32 vcc_lo, 0x7f800000, v89
                                        ; implicit-def: $vgpr89
	s_and_saveexec_b32 s2, vcc_lo
	s_xor_b32 s2, exec_lo, s2
; %bb.29:
	v_bfe_u32 v89, v88, 16, 1
	s_delay_alu instid0(VALU_DEP_1)
	v_add3_u32 v89, v88, v89, 0x7fff
                                        ; implicit-def: $vgpr88
; %bb.30:
	s_and_not1_saveexec_b32 s2, s2
; %bb.31:
	v_and_b32_e32 v89, 0xffff, v88
	v_or_b32_e32 v90, 0x10000, v88
	s_delay_alu instid0(VALU_DEP_2) | instskip(NEXT) | instid1(VALU_DEP_2)
	v_cmp_eq_u32_e32 vcc_lo, 0, v89
	v_cndmask_b32_e32 v89, v90, v88, vcc_lo
; %bb.32:
	s_or_b32 exec_lo, exec_lo, s2
	v_and_b32_e32 v88, 0x7f800000, v87
	s_delay_alu instid0(VALU_DEP_1) | instskip(SKIP_1) | instid1(SALU_CYCLE_1)
	v_cmp_ne_u32_e32 vcc_lo, 0x7f800000, v88
                                        ; implicit-def: $vgpr88
	s_and_saveexec_b32 s2, vcc_lo
	s_xor_b32 s2, exec_lo, s2
; %bb.33:
	v_bfe_u32 v88, v87, 16, 1
	s_delay_alu instid0(VALU_DEP_1)
	v_add3_u32 v88, v87, v88, 0x7fff
                                        ; implicit-def: $vgpr87
; %bb.34:
	s_and_not1_saveexec_b32 s2, s2
; %bb.35:
	v_and_b32_e32 v88, 0xffff, v87
	v_or_b32_e32 v90, 0x10000, v87
	s_delay_alu instid0(VALU_DEP_2) | instskip(NEXT) | instid1(VALU_DEP_2)
	v_cmp_eq_u32_e32 vcc_lo, 0, v88
	v_cndmask_b32_e32 v88, v90, v87, vcc_lo
; %bb.36:
	s_or_b32 exec_lo, exec_lo, s2
	v_and_b32_e32 v87, 0x7f800000, v84
	s_delay_alu instid0(VALU_DEP_1) | instskip(SKIP_1) | instid1(SALU_CYCLE_1)
	v_cmp_ne_u32_e32 vcc_lo, 0x7f800000, v87
                                        ; implicit-def: $vgpr87
	s_and_saveexec_b32 s2, vcc_lo
	s_xor_b32 s2, exec_lo, s2
; %bb.37:
	v_bfe_u32 v87, v84, 16, 1
	s_delay_alu instid0(VALU_DEP_1)
	v_add3_u32 v87, v84, v87, 0x7fff
                                        ; implicit-def: $vgpr84
; %bb.38:
	s_and_not1_saveexec_b32 s2, s2
; %bb.39:
	v_and_b32_e32 v87, 0xffff, v84
	v_or_b32_e32 v90, 0x10000, v84
	s_delay_alu instid0(VALU_DEP_2) | instskip(NEXT) | instid1(VALU_DEP_2)
	v_cmp_eq_u32_e32 vcc_lo, 0, v87
	v_cndmask_b32_e32 v87, v90, v84, vcc_lo
; %bb.40:
	s_or_b32 exec_lo, exec_lo, s2
	v_and_b32_e32 v84, 0x7f800000, v80
	s_delay_alu instid0(VALU_DEP_1) | instskip(SKIP_1) | instid1(SALU_CYCLE_1)
	v_cmp_ne_u32_e32 vcc_lo, 0x7f800000, v84
                                        ; implicit-def: $vgpr84
	s_and_saveexec_b32 s2, vcc_lo
	s_xor_b32 s2, exec_lo, s2
; %bb.41:
	v_bfe_u32 v84, v80, 16, 1
	s_delay_alu instid0(VALU_DEP_1)
	v_add3_u32 v84, v80, v84, 0x7fff
                                        ; implicit-def: $vgpr80
; %bb.42:
	s_and_not1_saveexec_b32 s2, s2
; %bb.43:
	v_and_b32_e32 v84, 0xffff, v80
	v_or_b32_e32 v90, 0x10000, v80
	s_delay_alu instid0(VALU_DEP_2) | instskip(NEXT) | instid1(VALU_DEP_2)
	v_cmp_eq_u32_e32 vcc_lo, 0, v84
	v_cndmask_b32_e32 v84, v90, v80, vcc_lo
; %bb.44:
	s_or_b32 exec_lo, exec_lo, s2
	s_load_b64 s[34:35], s[0:1], 0x94
	v_lshlrev_b32_e32 v91, 4, v74
	s_delay_alu instid0(VALU_DEP_2)
	v_perm_b32 v90, v84, v87, 0x7060302
	v_dual_mul_f32 v77, v82, v77 :: v_dual_lshlrev_b32 v80, 6, v66
	v_lshlrev_b32_e32 v66, 11, v65
	v_perm_b32 v87, v83, v76, 0x7060302
	v_mul_f32_e32 v83, v82, v70
	v_perm_b32 v89, v88, v89, 0x7060302
	v_perm_b32 v88, v86, v85, 0x7060302
	v_or3_b32 v76, v91, v66, v80
	v_mul_f32_e32 v66, v82, v81
	v_mul_f32_e32 v70, v82, v79
	;; [unrolled: 1-line block ×3, first 2 shown]
	v_dual_mul_f32 v81, v82, v72 :: v_dual_and_b32 v84, 0x7f800000, v83
	v_mul_f32_e32 v79, v82, v71
	v_mul_f32_e32 v72, v82, v69
	s_mov_b32 s2, exec_lo
	ds_store_b128 v76, v[87:90]
                                        ; implicit-def: $vgpr69
	v_cmpx_ne_u32_e32 0x7f800000, v84
	s_xor_b32 s2, exec_lo, s2
; %bb.45:
	v_bfe_u32 v69, v83, 16, 1
	s_delay_alu instid0(VALU_DEP_1)
	v_add3_u32 v69, v83, v69, 0x7fff
                                        ; implicit-def: $vgpr83
; %bb.46:
	s_and_not1_saveexec_b32 s2, s2
; %bb.47:
	v_and_b32_e32 v69, 0xffff, v83
	v_or_b32_e32 v71, 0x10000, v83
	s_delay_alu instid0(VALU_DEP_2) | instskip(NEXT) | instid1(VALU_DEP_2)
	v_cmp_eq_u32_e32 vcc_lo, 0, v69
	v_cndmask_b32_e32 v69, v71, v83, vcc_lo
; %bb.48:
	s_or_b32 exec_lo, exec_lo, s2
	v_and_b32_e32 v71, 0x7f800000, v72
	s_delay_alu instid0(VALU_DEP_1) | instskip(SKIP_1) | instid1(SALU_CYCLE_1)
	v_cmp_ne_u32_e32 vcc_lo, 0x7f800000, v71
                                        ; implicit-def: $vgpr71
	s_and_saveexec_b32 s2, vcc_lo
	s_xor_b32 s2, exec_lo, s2
; %bb.49:
	v_bfe_u32 v71, v72, 16, 1
	s_delay_alu instid0(VALU_DEP_1)
	v_add3_u32 v71, v72, v71, 0x7fff
                                        ; implicit-def: $vgpr72
; %bb.50:
	s_and_not1_saveexec_b32 s2, s2
; %bb.51:
	v_and_b32_e32 v71, 0xffff, v72
	v_or_b32_e32 v82, 0x10000, v72
	s_delay_alu instid0(VALU_DEP_2) | instskip(NEXT) | instid1(VALU_DEP_2)
	v_cmp_eq_u32_e32 vcc_lo, 0, v71
	v_cndmask_b32_e32 v71, v82, v72, vcc_lo
; %bb.52:
	s_or_b32 exec_lo, exec_lo, s2
	v_and_b32_e32 v72, 0x7f800000, v79
	s_delay_alu instid0(VALU_DEP_1) | instskip(SKIP_1) | instid1(SALU_CYCLE_1)
	v_cmp_ne_u32_e32 vcc_lo, 0x7f800000, v72
                                        ; implicit-def: $vgpr72
	s_and_saveexec_b32 s2, vcc_lo
	s_xor_b32 s2, exec_lo, s2
; %bb.53:
	v_bfe_u32 v72, v79, 16, 1
	s_delay_alu instid0(VALU_DEP_1)
	v_add3_u32 v72, v79, v72, 0x7fff
                                        ; implicit-def: $vgpr79
; %bb.54:
	s_and_not1_saveexec_b32 s2, s2
; %bb.55:
	v_and_b32_e32 v72, 0xffff, v79
	v_or_b32_e32 v82, 0x10000, v79
	s_delay_alu instid0(VALU_DEP_2) | instskip(NEXT) | instid1(VALU_DEP_2)
	v_cmp_eq_u32_e32 vcc_lo, 0, v72
	v_cndmask_b32_e32 v72, v82, v79, vcc_lo
; %bb.56:
	s_or_b32 exec_lo, exec_lo, s2
	v_and_b32_e32 v79, 0x7f800000, v81
	s_delay_alu instid0(VALU_DEP_1) | instskip(SKIP_1) | instid1(SALU_CYCLE_1)
	v_cmp_ne_u32_e32 vcc_lo, 0x7f800000, v79
                                        ; implicit-def: $vgpr79
	s_and_saveexec_b32 s2, vcc_lo
	s_xor_b32 s2, exec_lo, s2
; %bb.57:
	v_bfe_u32 v79, v81, 16, 1
	s_delay_alu instid0(VALU_DEP_1)
	v_add3_u32 v79, v81, v79, 0x7fff
                                        ; implicit-def: $vgpr81
; %bb.58:
	s_and_not1_saveexec_b32 s2, s2
; %bb.59:
	v_and_b32_e32 v79, 0xffff, v81
	v_or_b32_e32 v82, 0x10000, v81
	s_delay_alu instid0(VALU_DEP_2) | instskip(NEXT) | instid1(VALU_DEP_2)
	v_cmp_eq_u32_e32 vcc_lo, 0, v79
	v_cndmask_b32_e32 v79, v82, v81, vcc_lo
; %bb.60:
	s_or_b32 exec_lo, exec_lo, s2
	v_and_b32_e32 v81, 0x7f800000, v77
	s_delay_alu instid0(VALU_DEP_1) | instskip(SKIP_1) | instid1(SALU_CYCLE_1)
	v_cmp_ne_u32_e32 vcc_lo, 0x7f800000, v81
                                        ; implicit-def: $vgpr81
	s_and_saveexec_b32 s2, vcc_lo
	s_xor_b32 s2, exec_lo, s2
; %bb.61:
	v_bfe_u32 v81, v77, 16, 1
	s_delay_alu instid0(VALU_DEP_1)
	v_add3_u32 v81, v77, v81, 0x7fff
                                        ; implicit-def: $vgpr77
; %bb.62:
	s_and_not1_saveexec_b32 s2, s2
; %bb.63:
	v_and_b32_e32 v81, 0xffff, v77
	v_or_b32_e32 v82, 0x10000, v77
	s_delay_alu instid0(VALU_DEP_2) | instskip(NEXT) | instid1(VALU_DEP_2)
	v_cmp_eq_u32_e32 vcc_lo, 0, v81
	v_cndmask_b32_e32 v81, v82, v77, vcc_lo
; %bb.64:
	s_or_b32 exec_lo, exec_lo, s2
	v_and_b32_e32 v77, 0x7f800000, v78
	s_delay_alu instid0(VALU_DEP_1) | instskip(SKIP_1) | instid1(SALU_CYCLE_1)
	v_cmp_ne_u32_e32 vcc_lo, 0x7f800000, v77
                                        ; implicit-def: $vgpr77
	s_and_saveexec_b32 s2, vcc_lo
	s_xor_b32 s2, exec_lo, s2
; %bb.65:
	v_bfe_u32 v77, v78, 16, 1
	s_delay_alu instid0(VALU_DEP_1)
	v_add3_u32 v77, v78, v77, 0x7fff
                                        ; implicit-def: $vgpr78
; %bb.66:
	s_and_not1_saveexec_b32 s2, s2
; %bb.67:
	v_and_b32_e32 v77, 0xffff, v78
	v_or_b32_e32 v82, 0x10000, v78
	s_delay_alu instid0(VALU_DEP_2) | instskip(NEXT) | instid1(VALU_DEP_2)
	v_cmp_eq_u32_e32 vcc_lo, 0, v77
	v_cndmask_b32_e32 v77, v82, v78, vcc_lo
; %bb.68:
	s_or_b32 exec_lo, exec_lo, s2
	v_and_b32_e32 v78, 0x7f800000, v70
	s_delay_alu instid0(VALU_DEP_1) | instskip(SKIP_1) | instid1(SALU_CYCLE_1)
	v_cmp_ne_u32_e32 vcc_lo, 0x7f800000, v78
                                        ; implicit-def: $vgpr78
	s_and_saveexec_b32 s2, vcc_lo
	s_xor_b32 s2, exec_lo, s2
; %bb.69:
	v_bfe_u32 v78, v70, 16, 1
	s_delay_alu instid0(VALU_DEP_1)
	v_add3_u32 v78, v70, v78, 0x7fff
                                        ; implicit-def: $vgpr70
; %bb.70:
	s_and_not1_saveexec_b32 s2, s2
; %bb.71:
	v_and_b32_e32 v78, 0xffff, v70
	v_or_b32_e32 v82, 0x10000, v70
	s_delay_alu instid0(VALU_DEP_2) | instskip(NEXT) | instid1(VALU_DEP_2)
	v_cmp_eq_u32_e32 vcc_lo, 0, v78
	v_cndmask_b32_e32 v78, v82, v70, vcc_lo
; %bb.72:
	s_or_b32 exec_lo, exec_lo, s2
	v_and_b32_e32 v70, 0x7f800000, v66
	s_delay_alu instid0(VALU_DEP_1) | instskip(SKIP_1) | instid1(SALU_CYCLE_1)
	v_cmp_ne_u32_e32 vcc_lo, 0x7f800000, v70
                                        ; implicit-def: $vgpr70
	s_and_saveexec_b32 s2, vcc_lo
	s_xor_b32 s2, exec_lo, s2
; %bb.73:
	v_bfe_u32 v70, v66, 16, 1
	s_delay_alu instid0(VALU_DEP_1)
	v_add3_u32 v70, v66, v70, 0x7fff
                                        ; implicit-def: $vgpr66
; %bb.74:
	s_and_not1_saveexec_b32 s2, s2
; %bb.75:
	v_and_b32_e32 v70, 0xffff, v66
	v_or_b32_e32 v82, 0x10000, v66
	s_delay_alu instid0(VALU_DEP_2) | instskip(NEXT) | instid1(VALU_DEP_2)
	v_cmp_eq_u32_e32 vcc_lo, 0, v70
	v_cndmask_b32_e32 v70, v82, v66, vcc_lo
; %bb.76:
	s_or_b32 exec_lo, exec_lo, s2
	s_delay_alu instid0(VALU_DEP_1)
	v_perm_b32 v86, v70, v78, 0x7060302
	v_perm_b32 v85, v77, v81, 0x7060302
	;; [unrolled: 1-line block ×4, first 2 shown]
	v_lshl_or_b32 v82, v65, 11, v80
	ds_store_b128 v76, v[83:86] offset:1024
	s_waitcnt lgkmcnt(0)
	s_barrier
	buffer_gl0_inv
	ds_load_b128 v[69:72], v82
	ds_load_b128 v[83:86], v82 offset:16
	s_waitcnt lgkmcnt(1)
	v_lshrrev_b32_e32 v65, 16, v69
	v_lshlrev_b32_e32 v78, 2, v74
	s_waitcnt lgkmcnt(0)
	v_lshrrev_b32_e32 v91, 16, v83
	v_lshrrev_b32_e32 v66, 16, v70
	;; [unrolled: 1-line block ×4, first 2 shown]
	v_cmp_eq_u32_e32 vcc_lo, 1, v78
	v_lshrrev_b32_e32 v98, 16, v85
	v_lshrrev_b32_e32 v96, 16, v72
	;; [unrolled: 1-line block ×3, first 2 shown]
	v_cndmask_b32_e32 v81, v69, v65, vcc_lo
	v_or_b32_e32 v79, 1, v78
	v_cmp_eq_u32_e64 s3, 2, v78
	v_cndmask_b32_e32 v87, v83, v91, vcc_lo
	v_cmp_eq_u32_e64 s6, 3, v78
	v_cmp_eq_u32_e64 s8, 4, v78
	;; [unrolled: 1-line block ×3, first 2 shown]
	v_cndmask_b32_e64 v81, v81, v70, s3
	v_cmp_eq_u32_e64 s5, 2, v79
	v_cndmask_b32_e64 v87, v87, v84, s3
	v_cmp_eq_u32_e64 s7, 3, v79
	v_cndmask_b32_e64 v88, v69, v65, s2
	v_cndmask_b32_e64 v81, v81, v66, s6
	v_or_b32_e32 v77, 2, v78
	v_cndmask_b32_e64 v87, v87, v97, s6
	v_cndmask_b32_e64 v89, v83, v91, s2
	;; [unrolled: 1-line block ×4, first 2 shown]
	v_cmp_eq_u32_e64 s9, 5, v78
	v_cndmask_b32_e64 v87, v87, v85, s8
	v_cmp_eq_u32_e64 s10, 4, v79
	v_cndmask_b32_e64 v88, v88, v66, s7
	;; [unrolled: 2-line block ×3, first 2 shown]
	v_cndmask_b32_e64 v81, v81, v95, s9
	v_cmp_eq_u32_e64 s11, 6, v78
	v_cndmask_b32_e64 v88, v88, v71, s10
	v_cndmask_b32_e64 v87, v87, v98, s9
	v_cmp_eq_u32_e64 s12, 5, v79
	v_cndmask_b32_e64 v90, v69, v65, s4
	v_cndmask_b32_e64 v89, v89, v97, s7
	;; [unrolled: 1-line block ×3, first 2 shown]
	v_cmp_eq_u32_e64 s13, 7, v78
	v_cndmask_b32_e64 v88, v88, v95, s12
	v_cndmask_b32_e64 v87, v87, v86, s11
	v_cmp_eq_u32_e64 s15, 6, v79
	v_cmp_eq_u32_e64 s16, 2, v77
	v_cndmask_b32_e64 v89, v89, v85, s10
	v_cndmask_b32_e64 v100, v81, v96, s13
	;; [unrolled: 1-line block ×6, first 2 shown]
	v_cmp_eq_u32_e64 s17, 7, v79
	v_cmp_eq_u32_e64 s18, 3, v77
	;; [unrolled: 1-line block ×4, first 2 shown]
	v_cndmask_b32_e64 v87, v87, v84, s16
	v_cndmask_b32_e64 v102, v88, v96, s17
	;; [unrolled: 1-line block ×4, first 2 shown]
	v_or_b32_e32 v81, 3, v78
	v_cndmask_b32_e64 v93, v87, v97, s18
	v_cmp_eq_u32_e64 s23, 6, v77
	v_cndmask_b32_e64 v103, v88, v86, s15
	v_cndmask_b32_e64 v92, v89, v71, s19
	v_cmp_eq_u32_e64 s20, 1, v81
	ds_load_b128 v[87:90], v82 offset:1024
	v_cmp_eq_u32_e64 s22, 2, v81
	v_cmp_eq_u32_e64 s24, 3, v81
	v_cndmask_b32_e64 v104, v92, v95, s21
	v_cndmask_b32_e64 v65, v69, v65, s20
	;; [unrolled: 1-line block ×4, first 2 shown]
	ds_load_b128 v[91:94], v82 offset:1040
	v_cmp_eq_u32_e64 s25, 4, v81
	v_cndmask_b32_e64 v65, v65, v70, s22
	v_cmp_eq_u32_e64 s27, 5, v81
	v_cndmask_b32_e64 v70, v83, v84, s22
	;; [unrolled: 2-line block ×3, first 2 shown]
	v_cndmask_b32_e64 v65, v65, v66, s24
	v_cndmask_b32_e64 v66, v104, v72, s23
	;; [unrolled: 1-line block ×3, first 2 shown]
	v_cmp_eq_u32_e64 s26, 7, v77
	v_cndmask_b32_e64 v69, v69, v86, s23
	v_cndmask_b32_e64 v65, v65, v71, s25
	s_waitcnt lgkmcnt(1)
	v_lshrrev_b32_e32 v84, 16, v87
	v_cndmask_b32_e64 v70, v70, v85, s25
	v_cndmask_b32_e64 v83, v103, v99, s17
	;; [unrolled: 1-line block ×4, first 2 shown]
	v_lshrrev_b32_e32 v95, 16, v88
	v_cndmask_b32_e64 v70, v70, v98, s27
	s_waitcnt lgkmcnt(0)
	v_lshrrev_b32_e32 v85, 16, v91
	v_cndmask_b32_e64 v97, v87, v84, s2
	v_cndmask_b32_e64 v65, v65, v72, s28
	;; [unrolled: 1-line block ×4, first 2 shown]
	v_cndmask_b32_e32 v71, v87, v84, vcc_lo
	v_cndmask_b32_e32 v98, v91, v85, vcc_lo
	v_cmp_eq_u32_e32 vcc_lo, 7, v81
	v_cndmask_b32_e64 v72, v97, v88, s5
	v_lshrrev_b32_e32 v97, 16, v92
	v_lshrrev_b32_e32 v103, 16, v90
	v_dual_cndmask_b32 v65, v65, v96 :: v_dual_cndmask_b32 v70, v70, v99
	v_cndmask_b32_e64 v71, v71, v88, s3
	v_cndmask_b32_e64 v86, v98, v92, s3
	;; [unrolled: 1-line block ×3, first 2 shown]
	v_lshrrev_b32_e32 v98, 16, v89
	v_lshrrev_b32_e32 v99, 16, v93
	v_cndmask_b32_e64 v71, v71, v95, s6
	v_cndmask_b32_e64 v86, v86, v97, s6
	;; [unrolled: 1-line block ×3, first 2 shown]
	v_perm_b32 v72, v70, v65, 0x5040100
	v_perm_b32 v70, v83, v102, 0x5040100
	v_cndmask_b32_e64 v71, v71, v89, s8
	v_cndmask_b32_e64 v86, v86, v93, s8
	;; [unrolled: 1-line block ×3, first 2 shown]
	v_lshrrev_b32_e32 v83, 16, v94
	s_delay_alu instid0(VALU_DEP_4) | instskip(NEXT) | instid1(VALU_DEP_4)
	v_cndmask_b32_e64 v71, v71, v98, s9
	v_cndmask_b32_e64 v86, v86, v99, s9
	s_delay_alu instid0(VALU_DEP_4) | instskip(NEXT) | instid1(VALU_DEP_3)
	v_cndmask_b32_e64 v65, v65, v90, s15
	v_cndmask_b32_e64 v96, v71, v90, s11
	v_perm_b32 v71, v69, v66, 0x5040100
	s_delay_alu instid0(VALU_DEP_4)
	v_cndmask_b32_e64 v69, v86, v94, s11
	v_cndmask_b32_e64 v86, v87, v84, s4
	;; [unrolled: 1-line block ×34, first 2 shown]
	v_cndmask_b32_e32 v84, v84, v103, vcc_lo
	v_cndmask_b32_e32 v86, v87, v83, vcc_lo
	v_cndmask_b32_e64 v87, v88, v83, s26
	v_cndmask_b32_e64 v88, v85, v83, s17
	;; [unrolled: 1-line block ×3, first 2 shown]
	v_perm_b32 v69, v101, v100, 0x5040100
	v_perm_b32 v86, v86, v84, 0x5040100
	;; [unrolled: 1-line block ×5, first 2 shown]
	s_lshl_b32 s7, s35, 2
	s_mov_b32 s2, exec_lo
	ds_store_b128 v76, v[69:72]
	ds_store_b128 v76, v[83:86] offset:1024
	v_cmpx_gt_u32_e32 4, v0
	s_cbranch_execz .LBB1841_78
; %bb.77:
	v_or_b32_e32 v65, s29, v0
	s_load_b128 s[8:11], s[0:1], 0x58
	s_delay_alu instid0(VALU_DEP_1) | instskip(NEXT) | instid1(VALU_DEP_1)
	v_mad_u64_u32 v[69:70], null, s7, s30, v[65:66]
	v_mad_u64_u32 v[65:66], null, v69, s34, s[14:15]
	s_delay_alu instid0(VALU_DEP_1) | instskip(NEXT) | instid1(VALU_DEP_1)
	v_ashrrev_i32_e32 v66, 31, v65
	v_lshlrev_b64 v[65:66], 2, v[65:66]
	s_waitcnt lgkmcnt(0)
	s_delay_alu instid0(VALU_DEP_1) | instskip(NEXT) | instid1(VALU_DEP_2)
	v_add_co_u32 v69, vcc_lo, s10, v65
	v_add_co_ci_u32_e32 v70, vcc_lo, s11, v66, vcc_lo
	v_add_co_u32 v65, vcc_lo, s8, v65
	v_add_co_ci_u32_e32 v66, vcc_lo, s9, v66, vcc_lo
	global_store_b32 v[69:70], v67, off
	global_store_b32 v[65:66], v68, off
.LBB1841_78:
	s_or_b32 exec_lo, exec_lo, s2
	s_waitcnt lgkmcnt(0)
	s_waitcnt_vscnt null, 0x0
	s_barrier
	buffer_gl0_inv
	ds_load_b128 v[83:86], v80
	ds_load_b128 v[87:90], v80 offset:16
	ds_load_b128 v[95:98], v80 offset:2064
	;; [unrolled: 1-line block ×3, first 2 shown]
	v_mov_b32_e32 v65, 0
	ds_load_b128 v[103:106], v80 offset:4112
	ds_load_b128 v[99:102], v80 offset:4096
	;; [unrolled: 1-line block ×4, first 2 shown]
	v_mov_b32_e32 v66, v65
	v_mov_b32_e32 v67, v65
	;; [unrolled: 1-line block ×7, first 2 shown]
	s_waitcnt lgkmcnt(6)
	s_delay_alu instid0(VALU_DEP_1)
	v_wmma_f32_16x16x16_bf16 v[65:72], v[49:56], v[83:90], v[65:72]
	ds_load_b128 v[53:56], v80 offset:8208
	ds_load_b128 v[49:52], v80 offset:8192
	s_waitcnt lgkmcnt(6)
	v_wmma_f32_16x16x16_bf16 v[65:72], v[41:48], v[91:98], v[65:72]
	ds_load_b128 v[45:48], v80 offset:10256
	ds_load_b128 v[41:44], v80 offset:10240
	s_waitcnt lgkmcnt(6)
	;; [unrolled: 4-line block ×4, first 2 shown]
	v_wmma_f32_16x16x16_bf16 v[65:72], v[1:8], v[49:56], v[65:72]
	s_waitcnt lgkmcnt(4)
	s_delay_alu instid0(VALU_DEP_1) | instskip(SKIP_1) | instid1(VALU_DEP_1)
	v_wmma_f32_16x16x16_bf16 v[65:72], v[9:16], v[41:48], v[65:72]
	s_waitcnt lgkmcnt(2)
	v_wmma_f32_16x16x16_bf16 v[65:72], v[17:24], v[33:40], v[65:72]
	s_waitcnt lgkmcnt(0)
	s_delay_alu instid0(VALU_DEP_1) | instskip(NEXT) | instid1(VALU_DEP_1)
	v_wmma_f32_16x16x16_bf16 v[65:72], v[57:64], v[25:32], v[65:72]
	v_and_b32_e32 v1, 0x7f800000, v65
	s_delay_alu instid0(VALU_DEP_1) | instskip(SKIP_1) | instid1(SALU_CYCLE_1)
	v_cmp_ne_u32_e32 vcc_lo, 0x7f800000, v1
                                        ; implicit-def: $vgpr1
	s_and_saveexec_b32 s2, vcc_lo
	s_xor_b32 s2, exec_lo, s2
; %bb.79:
	v_bfe_u32 v1, v65, 16, 1
	s_delay_alu instid0(VALU_DEP_1)
	v_add3_u32 v1, v65, v1, 0x7fff
; %bb.80:
	s_and_not1_saveexec_b32 s2, s2
; %bb.81:
	v_and_b32_e32 v1, 0xffff, v65
	v_or_b32_e32 v2, 0x10000, v65
	s_delay_alu instid0(VALU_DEP_2) | instskip(NEXT) | instid1(VALU_DEP_2)
	v_cmp_eq_u32_e32 vcc_lo, 0, v1
	v_cndmask_b32_e32 v1, v2, v65, vcc_lo
; %bb.82:
	s_or_b32 exec_lo, exec_lo, s2
	v_and_b32_e32 v2, 0x7f800000, v66
	s_delay_alu instid0(VALU_DEP_1) | instskip(SKIP_1) | instid1(SALU_CYCLE_1)
	v_cmp_ne_u32_e32 vcc_lo, 0x7f800000, v2
                                        ; implicit-def: $vgpr2
	s_and_saveexec_b32 s2, vcc_lo
	s_xor_b32 s2, exec_lo, s2
; %bb.83:
	v_bfe_u32 v2, v66, 16, 1
	s_delay_alu instid0(VALU_DEP_1)
	v_add3_u32 v2, v66, v2, 0x7fff
; %bb.84:
	s_and_not1_saveexec_b32 s2, s2
; %bb.85:
	v_and_b32_e32 v2, 0xffff, v66
	v_or_b32_e32 v3, 0x10000, v66
	s_delay_alu instid0(VALU_DEP_2) | instskip(NEXT) | instid1(VALU_DEP_2)
	v_cmp_eq_u32_e32 vcc_lo, 0, v2
	v_cndmask_b32_e32 v2, v3, v66, vcc_lo
; %bb.86:
	s_or_b32 exec_lo, exec_lo, s2
	v_and_b32_e32 v3, 0x7f800000, v67
	s_delay_alu instid0(VALU_DEP_1) | instskip(SKIP_1) | instid1(SALU_CYCLE_1)
	v_cmp_ne_u32_e32 vcc_lo, 0x7f800000, v3
                                        ; implicit-def: $vgpr3
	s_and_saveexec_b32 s2, vcc_lo
	s_xor_b32 s2, exec_lo, s2
; %bb.87:
	v_bfe_u32 v3, v67, 16, 1
	s_delay_alu instid0(VALU_DEP_1)
	v_add3_u32 v3, v67, v3, 0x7fff
; %bb.88:
	s_and_not1_saveexec_b32 s2, s2
; %bb.89:
	v_and_b32_e32 v3, 0xffff, v67
	v_or_b32_e32 v4, 0x10000, v67
	s_delay_alu instid0(VALU_DEP_2) | instskip(NEXT) | instid1(VALU_DEP_2)
	v_cmp_eq_u32_e32 vcc_lo, 0, v3
	v_cndmask_b32_e32 v3, v4, v67, vcc_lo
; %bb.90:
	s_or_b32 exec_lo, exec_lo, s2
	v_and_b32_e32 v4, 0x7f800000, v68
	s_delay_alu instid0(VALU_DEP_1) | instskip(SKIP_1) | instid1(SALU_CYCLE_1)
	v_cmp_ne_u32_e32 vcc_lo, 0x7f800000, v4
                                        ; implicit-def: $vgpr4
	s_and_saveexec_b32 s2, vcc_lo
	s_xor_b32 s2, exec_lo, s2
; %bb.91:
	v_bfe_u32 v4, v68, 16, 1
	s_delay_alu instid0(VALU_DEP_1)
	v_add3_u32 v4, v68, v4, 0x7fff
; %bb.92:
	s_and_not1_saveexec_b32 s2, s2
; %bb.93:
	v_and_b32_e32 v4, 0xffff, v68
	v_or_b32_e32 v5, 0x10000, v68
	s_delay_alu instid0(VALU_DEP_2) | instskip(NEXT) | instid1(VALU_DEP_2)
	v_cmp_eq_u32_e32 vcc_lo, 0, v4
	v_cndmask_b32_e32 v4, v5, v68, vcc_lo
; %bb.94:
	s_or_b32 exec_lo, exec_lo, s2
	v_and_b32_e32 v5, 0x7f800000, v69
	s_delay_alu instid0(VALU_DEP_1) | instskip(SKIP_1) | instid1(SALU_CYCLE_1)
	v_cmp_ne_u32_e32 vcc_lo, 0x7f800000, v5
                                        ; implicit-def: $vgpr5
	s_and_saveexec_b32 s2, vcc_lo
	s_xor_b32 s2, exec_lo, s2
; %bb.95:
	v_bfe_u32 v5, v69, 16, 1
	s_delay_alu instid0(VALU_DEP_1)
	v_add3_u32 v5, v69, v5, 0x7fff
; %bb.96:
	s_and_not1_saveexec_b32 s2, s2
; %bb.97:
	v_and_b32_e32 v5, 0xffff, v69
	v_or_b32_e32 v6, 0x10000, v69
	s_delay_alu instid0(VALU_DEP_2) | instskip(NEXT) | instid1(VALU_DEP_2)
	v_cmp_eq_u32_e32 vcc_lo, 0, v5
	v_cndmask_b32_e32 v5, v6, v69, vcc_lo
; %bb.98:
	s_or_b32 exec_lo, exec_lo, s2
	v_and_b32_e32 v6, 0x7f800000, v70
	s_delay_alu instid0(VALU_DEP_1) | instskip(SKIP_1) | instid1(SALU_CYCLE_1)
	v_cmp_ne_u32_e32 vcc_lo, 0x7f800000, v6
                                        ; implicit-def: $vgpr6
	s_and_saveexec_b32 s2, vcc_lo
	s_xor_b32 s2, exec_lo, s2
; %bb.99:
	v_bfe_u32 v6, v70, 16, 1
	s_delay_alu instid0(VALU_DEP_1)
	v_add3_u32 v6, v70, v6, 0x7fff
; %bb.100:
	s_and_not1_saveexec_b32 s2, s2
; %bb.101:
	v_and_b32_e32 v6, 0xffff, v70
	v_or_b32_e32 v7, 0x10000, v70
	s_delay_alu instid0(VALU_DEP_2) | instskip(NEXT) | instid1(VALU_DEP_2)
	v_cmp_eq_u32_e32 vcc_lo, 0, v6
	v_cndmask_b32_e32 v6, v7, v70, vcc_lo
; %bb.102:
	s_or_b32 exec_lo, exec_lo, s2
	v_and_b32_e32 v7, 0x7f800000, v71
	s_delay_alu instid0(VALU_DEP_1) | instskip(SKIP_1) | instid1(SALU_CYCLE_1)
	v_cmp_ne_u32_e32 vcc_lo, 0x7f800000, v7
                                        ; implicit-def: $vgpr7
	s_and_saveexec_b32 s2, vcc_lo
	s_xor_b32 s2, exec_lo, s2
; %bb.103:
	v_bfe_u32 v7, v71, 16, 1
	s_delay_alu instid0(VALU_DEP_1)
	v_add3_u32 v7, v71, v7, 0x7fff
; %bb.104:
	s_and_not1_saveexec_b32 s2, s2
; %bb.105:
	v_and_b32_e32 v7, 0xffff, v71
	v_or_b32_e32 v8, 0x10000, v71
	s_delay_alu instid0(VALU_DEP_2) | instskip(NEXT) | instid1(VALU_DEP_2)
	v_cmp_eq_u32_e32 vcc_lo, 0, v7
	v_cndmask_b32_e32 v7, v8, v71, vcc_lo
; %bb.106:
	s_or_b32 exec_lo, exec_lo, s2
	v_and_b32_e32 v8, 0x7f800000, v72
	s_delay_alu instid0(VALU_DEP_1) | instskip(SKIP_1) | instid1(SALU_CYCLE_1)
	v_cmp_ne_u32_e32 vcc_lo, 0x7f800000, v8
                                        ; implicit-def: $vgpr8
	s_and_saveexec_b32 s2, vcc_lo
	s_xor_b32 s2, exec_lo, s2
; %bb.107:
	v_bfe_u32 v8, v72, 16, 1
	s_delay_alu instid0(VALU_DEP_1)
	v_add3_u32 v8, v72, v8, 0x7fff
                                        ; implicit-def: $vgpr65_vgpr66_vgpr67_vgpr68_vgpr69_vgpr70_vgpr71_vgpr72
; %bb.108:
	s_and_not1_saveexec_b32 s2, s2
; %bb.109:
	v_and_b32_e32 v8, 0xffff, v72
	v_or_b32_e32 v9, 0x10000, v72
	s_delay_alu instid0(VALU_DEP_2) | instskip(NEXT) | instid1(VALU_DEP_2)
	v_cmp_eq_u32_e32 vcc_lo, 0, v8
	v_cndmask_b32_e32 v8, v9, v72, vcc_lo
; %bb.110:
	s_or_b32 exec_lo, exec_lo, s2
	s_delay_alu instid0(VALU_DEP_1)
	v_perm_b32 v7, v8, v7, 0x7060302
	v_perm_b32 v6, v6, v5, 0x7060302
	;; [unrolled: 1-line block ×4, first 2 shown]
	s_barrier
	buffer_gl0_inv
	v_cmp_eq_u32_e32 vcc_lo, 1, v78
	ds_store_b128 v76, v[4:7]
	s_waitcnt lgkmcnt(0)
	s_barrier
	buffer_gl0_inv
	ds_load_b128 v[1:4], v82
	ds_load_b128 v[5:8], v82 offset:16
	v_cmp_eq_u32_e64 s2, 1, v79
	v_cmp_eq_u32_e64 s3, 2, v78
	v_cmp_eq_u32_e64 s4, 3, v78
	v_cmp_eq_u32_e64 s6, 2, v77
	v_cmp_eq_u32_e64 s5, 7, v79
	s_waitcnt lgkmcnt(1)
	v_lshrrev_b32_e32 v9, 16, v1
	s_waitcnt lgkmcnt(0)
	v_lshrrev_b32_e32 v13, 16, v5
	v_lshrrev_b32_e32 v10, 16, v2
	;; [unrolled: 1-line block ×4, first 2 shown]
	v_cndmask_b32_e64 v19, v1, v9, s2
	v_cndmask_b32_e32 v18, v5, v13, vcc_lo
	v_cndmask_b32_e64 v20, v5, v13, s2
	v_cndmask_b32_e32 v17, v1, v9, vcc_lo
	v_cmp_eq_u32_e32 vcc_lo, 2, v79
	v_lshrrev_b32_e32 v15, 16, v7
	v_cmp_eq_u32_e64 s2, 1, v77
	v_lshrrev_b32_e32 v12, 16, v4
	v_lshrrev_b32_e32 v16, 16, v8
	v_cndmask_b32_e32 v20, v20, v6, vcc_lo
	v_cndmask_b32_e64 v17, v17, v2, s3
	v_cndmask_b32_e32 v19, v19, v2, vcc_lo
	v_cndmask_b32_e64 v18, v18, v6, s3
	v_cmp_eq_u32_e32 vcc_lo, 4, v78
	v_cmp_eq_u32_e64 s3, 3, v79
	v_cndmask_b32_e64 v17, v17, v10, s4
	v_cndmask_b32_e64 v21, v1, v9, s2
	;; [unrolled: 1-line block ×5, first 2 shown]
	v_cndmask_b32_e32 v17, v17, v3, vcc_lo
	v_cndmask_b32_e64 v20, v20, v14, s3
	v_cndmask_b32_e32 v18, v18, v7, vcc_lo
	v_cmp_eq_u32_e32 vcc_lo, 4, v79
	v_cmp_eq_u32_e64 s3, 5, v79
	v_cmp_eq_u32_e64 s2, 2, v81
	v_cndmask_b32_e64 v21, v21, v2, s6
	v_cmp_eq_u32_e64 s4, 5, v78
	v_cndmask_b32_e32 v19, v19, v3, vcc_lo
	v_cndmask_b32_e32 v20, v20, v7, vcc_lo
	v_cmp_eq_u32_e32 vcc_lo, 6, v79
	s_delay_alu instid0(VALU_DEP_4) | instskip(NEXT) | instid1(VALU_DEP_4)
	v_cndmask_b32_e64 v17, v17, v11, s4
	v_cndmask_b32_e64 v19, v19, v11, s3
	s_delay_alu instid0(VALU_DEP_4) | instskip(SKIP_1) | instid1(VALU_DEP_3)
	v_cndmask_b32_e64 v20, v20, v15, s3
	v_cmp_eq_u32_e64 s3, 1, v81
	v_cndmask_b32_e32 v19, v19, v4, vcc_lo
	v_cndmask_b32_e64 v18, v18, v15, s4
	s_delay_alu instid0(VALU_DEP_3)
	v_cndmask_b32_e64 v1, v1, v9, s3
	v_cndmask_b32_e64 v5, v5, v13, s3
	v_cmp_eq_u32_e64 s3, 3, v77
	v_cndmask_b32_e64 v13, v22, v6, s6
	v_cmp_eq_u32_e64 s6, 3, v81
	v_cndmask_b32_e64 v1, v1, v2, s2
	v_cndmask_b32_e64 v2, v5, v6, s2
	;; [unrolled: 1-line block ×3, first 2 shown]
	v_cmp_eq_u32_e64 s2, 4, v77
	v_cndmask_b32_e64 v6, v13, v14, s3
	v_cndmask_b32_e64 v1, v1, v10, s6
	v_cmp_eq_u32_e64 s3, 4, v81
	v_cndmask_b32_e64 v2, v2, v14, s6
	v_cndmask_b32_e64 v5, v9, v3, s2
	;; [unrolled: 3-line block ×3, first 2 shown]
	v_cndmask_b32_e64 v2, v2, v7, s3
	v_cmp_eq_u32_e64 s2, 5, v81
	v_cmp_eq_u32_e64 s4, 6, v78
	v_cndmask_b32_e64 v5, v5, v11, s6
	v_cmp_eq_u32_e64 s3, 6, v77
	v_cndmask_b32_e64 v3, v6, v15, s6
	v_cndmask_b32_e64 v1, v1, v11, s2
	v_cmp_eq_u32_e64 s6, 6, v81
	v_cndmask_b32_e64 v2, v2, v15, s2
	v_cndmask_b32_e64 v17, v17, v4, s4
	v_cndmask_b32_e64 v18, v18, v8, s4
	v_cmp_eq_u32_e64 s4, 7, v78
	v_cndmask_b32_e64 v5, v5, v4, s3
	v_cndmask_b32_e64 v3, v3, v8, s3
	v_cndmask_b32_e64 v1, v1, v4, s6
	v_cmp_eq_u32_e64 s2, 7, v81
	v_cndmask_b32_e64 v2, v2, v8, s6
	v_cmp_eq_u32_e64 s3, 7, v77
	v_cndmask_b32_e32 v4, v20, v8, vcc_lo
	v_cndmask_b32_e64 v17, v17, v12, s4
	v_cndmask_b32_e64 v19, v19, v12, s5
	;; [unrolled: 1-line block ×8, first 2 shown]
	s_mov_b32 s2, exec_lo
	v_perm_b32 v4, v2, v1, 0x5040100
	v_perm_b32 v3, v3, v5, 0x5040100
	;; [unrolled: 1-line block ×4, first 2 shown]
	ds_store_b128 v76, v[1:4]
	s_waitcnt lgkmcnt(0)
	s_barrier
	buffer_gl0_inv
	v_cmpx_gt_u32_e32 32, v0
	s_cbranch_execz .LBB1841_2
; %bb.111:
	s_load_b64 s[0:1], s[0:1], 0x68
	v_lshlrev_b32_e32 v0, 10, v0
	v_or_b32_e32 v1, s29, v74
	s_lshl_b32 s4, s34, 7
	v_lshlrev_b32_e32 v2, 4, v75
	s_mul_i32 s2, s4, s30
	v_lshlrev_b32_e32 v3, 6, v74
	v_mul_lo_u32 v8, v1, s4
	v_and_b32_e32 v0, 0x3800, v0
	v_or_b32_e32 v1, 2, v1
	s_mul_i32 s2, s2, s7
	s_delay_alu instid0(SALU_CYCLE_1) | instskip(NEXT) | instid1(VALU_DEP_2)
	s_ashr_i32 s3, s2, 31
	v_or3_b32 v4, v0, v2, v3
	s_lshl_b64 s[2:3], s[2:3], 1
	v_mul_lo_u32 v10, v1, s4
	v_ashrrev_i32_e32 v9, 31, v8
	ds_load_b128 v[0:3], v4
	ds_load_b128 v[4:7], v4 offset:128
	s_waitcnt lgkmcnt(0)
	s_add_u32 s2, s0, s2
	s_addc_u32 s3, s1, s3
	s_lshl_b32 s0, s14, 7
	v_ashrrev_i32_e32 v11, 31, v10
	s_ashr_i32 s1, s0, 31
	v_lshlrev_b64 v[8:9], 1, v[8:9]
	s_lshl_b64 s[0:1], s[0:1], 1
	s_delay_alu instid0(SALU_CYCLE_1) | instskip(SKIP_2) | instid1(VALU_DEP_1)
	s_add_u32 s0, s2, s0
	s_addc_u32 s1, s3, s1
	v_add_co_u32 v12, s0, s0, v73
	v_add_co_ci_u32_e64 v13, null, s1, 0, s0
	v_lshlrev_b64 v[10:11], 1, v[10:11]
	s_delay_alu instid0(VALU_DEP_3) | instskip(NEXT) | instid1(VALU_DEP_3)
	v_add_co_u32 v8, vcc_lo, v12, v8
	v_add_co_ci_u32_e32 v9, vcc_lo, v13, v9, vcc_lo
	s_delay_alu instid0(VALU_DEP_3) | instskip(NEXT) | instid1(VALU_DEP_4)
	v_add_co_u32 v10, vcc_lo, v12, v10
	v_add_co_ci_u32_e32 v11, vcc_lo, v13, v11, vcc_lo
	s_clause 0x1
	global_store_b128 v[8:9], v[0:3], off
	global_store_b128 v[10:11], v[4:7], off
	s_nop 0
	s_sendmsg sendmsg(MSG_DEALLOC_VGPRS)
	s_endpgm
	.section	.rodata,"a",@progbits
	.p2align	6, 0x0
	.amdhsa_kernel _Z39paged_attention_ll4mi_QKV_mfma16_kernelI14__hip_bfloat16hLN4vllm18Fp8KVCacheDataTypeE1ES0_Li16ELi128ELi256ELb1ELi4EL8MFMAType0EEvPKT_PKT0_S9_ifPKiSB_SB_iPKfiiiPfSE_PS4_PT2_iSD_SD_
		.amdhsa_group_segment_fixed_size 17472
		.amdhsa_private_segment_fixed_size 0
		.amdhsa_kernarg_size 400
		.amdhsa_user_sgpr_count 13
		.amdhsa_user_sgpr_dispatch_ptr 0
		.amdhsa_user_sgpr_queue_ptr 0
		.amdhsa_user_sgpr_kernarg_segment_ptr 1
		.amdhsa_user_sgpr_dispatch_id 0
		.amdhsa_user_sgpr_private_segment_size 0
		.amdhsa_wavefront_size32 1
		.amdhsa_uses_dynamic_stack 0
		.amdhsa_enable_private_segment 0
		.amdhsa_system_sgpr_workgroup_id_x 1
		.amdhsa_system_sgpr_workgroup_id_y 1
		.amdhsa_system_sgpr_workgroup_id_z 1
		.amdhsa_system_sgpr_workgroup_info 0
		.amdhsa_system_vgpr_workitem_id 0
		.amdhsa_next_free_vgpr 140
		.amdhsa_next_free_sgpr 36
		.amdhsa_reserve_vcc 1
		.amdhsa_float_round_mode_32 0
		.amdhsa_float_round_mode_16_64 0
		.amdhsa_float_denorm_mode_32 3
		.amdhsa_float_denorm_mode_16_64 3
		.amdhsa_dx10_clamp 1
		.amdhsa_ieee_mode 1
		.amdhsa_fp16_overflow 0
		.amdhsa_workgroup_processor_mode 1
		.amdhsa_memory_ordered 1
		.amdhsa_forward_progress 0
		.amdhsa_shared_vgpr_count 0
		.amdhsa_exception_fp_ieee_invalid_op 0
		.amdhsa_exception_fp_denorm_src 0
		.amdhsa_exception_fp_ieee_div_zero 0
		.amdhsa_exception_fp_ieee_overflow 0
		.amdhsa_exception_fp_ieee_underflow 0
		.amdhsa_exception_fp_ieee_inexact 0
		.amdhsa_exception_int_div_zero 0
	.end_amdhsa_kernel
	.section	.text._Z39paged_attention_ll4mi_QKV_mfma16_kernelI14__hip_bfloat16hLN4vllm18Fp8KVCacheDataTypeE1ES0_Li16ELi128ELi256ELb1ELi4EL8MFMAType0EEvPKT_PKT0_S9_ifPKiSB_SB_iPKfiiiPfSE_PS4_PT2_iSD_SD_,"axG",@progbits,_Z39paged_attention_ll4mi_QKV_mfma16_kernelI14__hip_bfloat16hLN4vllm18Fp8KVCacheDataTypeE1ES0_Li16ELi128ELi256ELb1ELi4EL8MFMAType0EEvPKT_PKT0_S9_ifPKiSB_SB_iPKfiiiPfSE_PS4_PT2_iSD_SD_,comdat
.Lfunc_end1841:
	.size	_Z39paged_attention_ll4mi_QKV_mfma16_kernelI14__hip_bfloat16hLN4vllm18Fp8KVCacheDataTypeE1ES0_Li16ELi128ELi256ELb1ELi4EL8MFMAType0EEvPKT_PKT0_S9_ifPKiSB_SB_iPKfiiiPfSE_PS4_PT2_iSD_SD_, .Lfunc_end1841-_Z39paged_attention_ll4mi_QKV_mfma16_kernelI14__hip_bfloat16hLN4vllm18Fp8KVCacheDataTypeE1ES0_Li16ELi128ELi256ELb1ELi4EL8MFMAType0EEvPKT_PKT0_S9_ifPKiSB_SB_iPKfiiiPfSE_PS4_PT2_iSD_SD_
                                        ; -- End function
	.section	.AMDGPU.csdata,"",@progbits
; Kernel info:
; codeLenInByte = 8732
; NumSgprs: 38
; NumVgprs: 140
; ScratchSize: 0
; MemoryBound: 0
; FloatMode: 240
; IeeeMode: 1
; LDSByteSize: 17472 bytes/workgroup (compile time only)
; SGPRBlocks: 4
; VGPRBlocks: 17
; NumSGPRsForWavesPerEU: 38
; NumVGPRsForWavesPerEU: 140
; Occupancy: 10
; WaveLimiterHint : 1
; COMPUTE_PGM_RSRC2:SCRATCH_EN: 0
; COMPUTE_PGM_RSRC2:USER_SGPR: 13
; COMPUTE_PGM_RSRC2:TRAP_HANDLER: 0
; COMPUTE_PGM_RSRC2:TGID_X_EN: 1
; COMPUTE_PGM_RSRC2:TGID_Y_EN: 1
; COMPUTE_PGM_RSRC2:TGID_Z_EN: 1
; COMPUTE_PGM_RSRC2:TIDIG_COMP_CNT: 0
	.section	.text._Z39paged_attention_ll4mi_QKV_mfma16_kernelI14__hip_bfloat16hLN4vllm18Fp8KVCacheDataTypeE1ES0_Li16ELi128ELi256ELb0ELi5EL8MFMAType0EEvPKT_PKT0_S9_ifPKiSB_SB_iPKfiiiPfSE_PS4_PT2_iSD_SD_,"axG",@progbits,_Z39paged_attention_ll4mi_QKV_mfma16_kernelI14__hip_bfloat16hLN4vllm18Fp8KVCacheDataTypeE1ES0_Li16ELi128ELi256ELb0ELi5EL8MFMAType0EEvPKT_PKT0_S9_ifPKiSB_SB_iPKfiiiPfSE_PS4_PT2_iSD_SD_,comdat
	.protected	_Z39paged_attention_ll4mi_QKV_mfma16_kernelI14__hip_bfloat16hLN4vllm18Fp8KVCacheDataTypeE1ES0_Li16ELi128ELi256ELb0ELi5EL8MFMAType0EEvPKT_PKT0_S9_ifPKiSB_SB_iPKfiiiPfSE_PS4_PT2_iSD_SD_ ; -- Begin function _Z39paged_attention_ll4mi_QKV_mfma16_kernelI14__hip_bfloat16hLN4vllm18Fp8KVCacheDataTypeE1ES0_Li16ELi128ELi256ELb0ELi5EL8MFMAType0EEvPKT_PKT0_S9_ifPKiSB_SB_iPKfiiiPfSE_PS4_PT2_iSD_SD_
	.globl	_Z39paged_attention_ll4mi_QKV_mfma16_kernelI14__hip_bfloat16hLN4vllm18Fp8KVCacheDataTypeE1ES0_Li16ELi128ELi256ELb0ELi5EL8MFMAType0EEvPKT_PKT0_S9_ifPKiSB_SB_iPKfiiiPfSE_PS4_PT2_iSD_SD_
	.p2align	8
	.type	_Z39paged_attention_ll4mi_QKV_mfma16_kernelI14__hip_bfloat16hLN4vllm18Fp8KVCacheDataTypeE1ES0_Li16ELi128ELi256ELb0ELi5EL8MFMAType0EEvPKT_PKT0_S9_ifPKiSB_SB_iPKfiiiPfSE_PS4_PT2_iSD_SD_,@function
_Z39paged_attention_ll4mi_QKV_mfma16_kernelI14__hip_bfloat16hLN4vllm18Fp8KVCacheDataTypeE1ES0_Li16ELi128ELi256ELb0ELi5EL8MFMAType0EEvPKT_PKT0_S9_ifPKiSB_SB_iPKfiiiPfSE_PS4_PT2_iSD_SD_: ; @_Z39paged_attention_ll4mi_QKV_mfma16_kernelI14__hip_bfloat16hLN4vllm18Fp8KVCacheDataTypeE1ES0_Li16ELi128ELi256ELb0ELi5EL8MFMAType0EEvPKT_PKT0_S9_ifPKiSB_SB_iPKfiiiPfSE_PS4_PT2_iSD_SD_
; %bb.0:
	s_load_b64 s[4:5], s[0:1], 0x30
	s_mov_b32 s30, s13
	s_waitcnt lgkmcnt(0)
	s_cmp_lg_u64 s[4:5], 0
	s_cselect_b32 s13, -1, 0
	s_ashr_i32 s31, s30, 31
	s_cmp_eq_u64 s[4:5], 0
	s_cbranch_scc1 .LBB1842_3
; %bb.1:
	s_lshl_b64 s[2:3], s[30:31], 2
	s_delay_alu instid0(SALU_CYCLE_1) | instskip(SKIP_4) | instid1(SALU_CYCLE_1)
	s_add_u32 s2, s4, s2
	s_addc_u32 s3, s5, s3
	s_load_b64 s[2:3], s[2:3], 0x0
	s_waitcnt lgkmcnt(0)
	s_sub_i32 s2, s3, s2
	s_cmp_eq_u32 s2, 1
	s_cselect_b32 s2, -1, 0
	s_delay_alu instid0(SALU_CYCLE_1)
	s_and_not1_b32 vcc_lo, exec_lo, s2
	s_cbranch_vccz .LBB1842_4
.LBB1842_2:
	s_nop 0
	s_sendmsg sendmsg(MSG_DEALLOC_VGPRS)
	s_endpgm
.LBB1842_3:
.LBB1842_4:
	s_load_b64 s[2:3], s[0:1], 0x28
	s_lshl_b64 s[6:7], s[30:31], 2
	s_waitcnt lgkmcnt(0)
	s_add_u32 s2, s2, s6
	s_addc_u32 s3, s3, s7
	s_lshl_b32 s12, s14, 8
	s_load_b32 s17, s[2:3], 0x0
	s_waitcnt lgkmcnt(0)
	s_cmp_ge_i32 s12, s17
	s_cbranch_scc1 .LBB1842_2
; %bb.5:
	s_clause 0x1
	s_load_b128 s[8:11], s[0:1], 0x8
	s_load_b64 s[2:3], s[0:1], 0x20
	s_and_not1_b32 vcc_lo, exec_lo, s13
	s_cbranch_vccnz .LBB1842_7
; %bb.6:
	s_add_u32 s4, s4, s6
	s_addc_u32 s5, s5, s7
	s_load_b32 s13, s[4:5], 0x0
	s_branch .LBB1842_8
.LBB1842_7:
	s_mov_b32 s13, s30
.LBB1842_8:
	s_load_b128 s[4:7], s[0:1], 0x48
	v_and_b32_e32 v65, 15, v0
	v_lshrrev_b32_e32 v66, 5, v0
	v_bfe_u32 v74, v0, 4, 1
	v_and_b32_e32 v67, 31, v0
	v_and_b32_e32 v75, 1, v0
	v_lshlrev_b32_e32 v2, 3, v65
	s_mul_i32 s31, s15, 5
	v_lshl_or_b32 v1, v66, 1, v74
	s_waitcnt lgkmcnt(0)
	s_mov_b32 s7, exec_lo
	v_lshlrev_b32_e32 v73, 1, v2
	s_delay_alu instid0(VALU_DEP_2)
	v_cmpx_gt_u32_e32 5, v1
	s_cbranch_execz .LBB1842_10
; %bb.9:
	s_load_b64 s[18:19], s[0:1], 0x0
	v_add_lshl_u32 v2, v1, s31, 7
	s_mul_hi_i32 s21, s13, s4
	s_mul_i32 s20, s13, s4
	v_lshlrev_b32_e32 v6, 10, v65
	s_lshl_b64 s[20:21], s[20:21], 1
	v_ashrrev_i32_e32 v3, 31, v2
	v_lshlrev_b32_e32 v1, 6, v1
	v_lshlrev_b32_e32 v7, 10, v75
	v_and_b32_e32 v6, 0x3800, v6
	s_delay_alu instid0(VALU_DEP_4) | instskip(NEXT) | instid1(VALU_DEP_2)
	v_lshlrev_b64 v[2:3], 1, v[2:3]
	v_or3_b32 v1, v6, v7, v1
	s_waitcnt lgkmcnt(0)
	s_add_u32 s4, s18, s20
	s_addc_u32 s13, s19, s21
	s_delay_alu instid0(VALU_DEP_2) | instskip(SKIP_1) | instid1(VALU_DEP_2)
	v_add_co_u32 v2, vcc_lo, s4, v2
	v_add_co_ci_u32_e32 v3, vcc_lo, s13, v3, vcc_lo
	v_add_co_u32 v2, vcc_lo, v2, v73
	s_delay_alu instid0(VALU_DEP_2)
	v_add_co_ci_u32_e32 v3, vcc_lo, 0, v3, vcc_lo
	global_load_b128 v[2:5], v[2:3], off
	s_waitcnt vmcnt(0)
	ds_store_b128 v1, v[2:5]
.LBB1842_10:
	s_or_b32 exec_lo, exec_lo, s7
	v_and_b32_e32 v1, 0xef, v0
	s_add_i32 s4, s17, 15
	s_clause 0x1
	s_load_b32 s7, s[0:1], 0x38
	s_load_b32 s18, s[0:1], 0x1c
	s_ashr_i32 s13, s4, 31
	v_add_nc_u32_e32 v2, s12, v1
	s_lshr_b32 s13, s13, 28
	s_waitcnt lgkmcnt(0)
	s_add_i32 s4, s4, s13
	s_barrier
	v_ashrrev_i32_e32 v1, 31, v2
	s_ashr_i32 s4, s4, 4
	v_cmp_gt_i32_e32 vcc_lo, s17, v2
	s_add_i32 s4, s4, -1
	buffer_gl0_inv
	v_lshrrev_b32_e32 v3, 28, v1
	v_or_b32_e32 v1, 16, v2
	s_mul_i32 s15, s15, s6
	s_delay_alu instid0(VALU_DEP_2) | instskip(SKIP_1) | instid1(SALU_CYCLE_1)
	v_add_nc_u32_e32 v4, v2, v3
	s_mul_i32 s20, s30, s7
	s_ashr_i32 s21, s20, 31
	s_delay_alu instid0(VALU_DEP_1) | instskip(SKIP_2) | instid1(SALU_CYCLE_1)
	v_ashrrev_i32_e32 v4, 4, v4
	v_add_nc_u32_e32 v3, v1, v3
	s_lshl_b64 s[20:21], s[20:21], 2
	s_add_u32 s2, s2, s20
	s_delay_alu instid0(VALU_DEP_2) | instskip(NEXT) | instid1(VALU_DEP_2)
	v_cndmask_b32_e32 v2, s4, v4, vcc_lo
	v_ashrrev_i32_e32 v3, 4, v3
	v_cmp_gt_i32_e32 vcc_lo, s17, v1
	s_addc_u32 s3, s3, s21
	s_ashr_i32 s6, s15, 31
	s_add_u32 s7, s8, s15
	s_addc_u32 s13, s9, s6
	v_cndmask_b32_e32 v4, s4, v3, vcc_lo
	v_ashrrev_i32_e32 v3, 31, v2
	s_lshl_b32 s8, s14, 4
	s_delay_alu instid0(SALU_CYCLE_1) | instskip(NEXT) | instid1(VALU_DEP_2)
	s_ashr_i32 s9, s8, 31
	v_ashrrev_i32_e32 v5, 31, v4
	s_delay_alu instid0(VALU_DEP_2) | instskip(SKIP_1) | instid1(SALU_CYCLE_1)
	v_lshlrev_b64 v[1:2], 2, v[2:3]
	s_lshl_b64 s[8:9], s[8:9], 2
	s_add_u32 s8, s2, s8
	s_delay_alu instid0(VALU_DEP_2) | instskip(SKIP_1) | instid1(VALU_DEP_2)
	v_lshlrev_b64 v[3:4], 2, v[4:5]
	s_addc_u32 s9, s3, s9
	v_add_co_u32 v1, vcc_lo, s2, v1
	v_add_co_ci_u32_e32 v2, vcc_lo, s3, v2, vcc_lo
	s_delay_alu instid0(VALU_DEP_3) | instskip(NEXT) | instid1(VALU_DEP_4)
	v_add_co_u32 v3, vcc_lo, s2, v3
	v_add_co_ci_u32_e32 v4, vcc_lo, s3, v4, vcc_lo
	s_clause 0x1
	global_load_b32 v5, v[1:2], off
	global_load_b32 v3, v[3:4], off
	v_lshlrev_b32_e32 v1, 4, v0
	s_or_b32 s16, s12, 32
	s_delay_alu instid0(SALU_CYCLE_1) | instskip(SKIP_1) | instid1(VALU_DEP_1)
	s_ashr_i32 s19, s16, 4
	s_cmp_lt_i32 s16, s17
	v_and_b32_e32 v1, 0xf0, v1
	s_cselect_b32 s20, s19, s4
	s_delay_alu instid0(SALU_CYCLE_1) | instskip(NEXT) | instid1(SALU_CYCLE_1)
	s_ashr_i32 s21, s20, 31
	s_lshl_b64 s[20:21], s[20:21], 2
	s_delay_alu instid0(VALU_DEP_1)
	v_add_co_u32 v1, s7, s7, v1
	s_add_u32 s20, s2, s20
	s_addc_u32 s21, s3, s21
	s_or_b32 s16, s12, 64
	v_add_co_ci_u32_e64 v2, null, s13, 0, s7
	s_ashr_i32 s19, s16, 4
	s_cmp_lt_i32 s16, s17
	s_cselect_b32 s22, s19, s4
	s_delay_alu instid0(SALU_CYCLE_1) | instskip(NEXT) | instid1(SALU_CYCLE_1)
	s_ashr_i32 s23, s22, 31
	s_lshl_b64 s[22:23], s[22:23], 2
	s_delay_alu instid0(SALU_CYCLE_1) | instskip(SKIP_2) | instid1(SALU_CYCLE_1)
	s_add_u32 s22, s2, s22
	s_addc_u32 s23, s3, s23
	s_or_b32 s16, s12, 0x60
	s_ashr_i32 s19, s16, 4
	s_cmp_lt_i32 s16, s17
	s_cselect_b32 s24, s19, s4
	s_delay_alu instid0(SALU_CYCLE_1) | instskip(NEXT) | instid1(SALU_CYCLE_1)
	s_ashr_i32 s25, s24, 31
	s_lshl_b64 s[24:25], s[24:25], 2
	s_delay_alu instid0(SALU_CYCLE_1) | instskip(SKIP_2) | instid1(SALU_CYCLE_1)
	s_add_u32 s24, s2, s24
	s_addc_u32 s25, s3, s25
	s_or_b32 s16, s12, 0x80
	s_ashr_i32 s19, s16, 4
	s_cmp_lt_i32 s16, s17
	s_cselect_b32 s26, s19, s4
	s_delay_alu instid0(SALU_CYCLE_1) | instskip(NEXT) | instid1(SALU_CYCLE_1)
	s_ashr_i32 s27, s26, 31
	s_lshl_b64 s[26:27], s[26:27], 2
	s_delay_alu instid0(SALU_CYCLE_1) | instskip(SKIP_2) | instid1(SALU_CYCLE_1)
	s_add_u32 s26, s2, s26
	s_addc_u32 s27, s3, s27
	s_or_b32 s16, s12, 0xa0
	s_ashr_i32 s19, s16, 4
	s_cmp_lt_i32 s16, s17
	s_cselect_b32 s28, s19, s4
	s_delay_alu instid0(SALU_CYCLE_1) | instskip(NEXT) | instid1(SALU_CYCLE_1)
	s_ashr_i32 s29, s28, 31
	s_lshl_b64 s[28:29], s[28:29], 2
	s_delay_alu instid0(SALU_CYCLE_1)
	s_add_u32 s28, s2, s28
	s_addc_u32 s29, s3, s29
	s_clause 0x5
	s_load_b32 s7, s[8:9], 0x0
	s_load_b32 s13, s[20:21], 0x0
	;; [unrolled: 1-line block ×6, first 2 shown]
	s_or_b32 s8, s12, 0xc0
	s_mov_b32 s20, 0
	s_ashr_i32 s9, s8, 4
	s_cmp_lt_i32 s8, s17
	s_mov_b32 s27, s20
	s_cselect_b32 s8, s9, s4
	s_mov_b32 s21, s20
	s_ashr_i32 s9, s8, 31
	s_mov_b32 s22, s20
	s_lshl_b64 s[8:9], s[8:9], 2
	s_mov_b32 s23, s20
	s_mov_b32 s24, s20
	;; [unrolled: 1-line block ×4, first 2 shown]
	v_dual_mov_b32 v107, s27 :: v_dual_mov_b32 v104, s24
	s_add_u32 s8, s2, s8
	v_dual_mov_b32 v106, s26 :: v_dual_mov_b32 v105, s25
	v_dual_mov_b32 v101, s21 :: v_dual_mov_b32 v100, s20
	s_addc_u32 s9, s3, s9
	v_dual_mov_b32 v103, s23 :: v_dual_mov_b32 v102, s22
	s_or_b32 s20, s12, 0xe0
	s_delay_alu instid0(SALU_CYCLE_1) | instskip(SKIP_2) | instid1(SALU_CYCLE_1)
	s_ashr_i32 s21, s20, 4
	s_cmp_lt_i32 s20, s17
	s_cselect_b32 s20, s21, s4
	s_ashr_i32 s21, s20, 31
	s_delay_alu instid0(SALU_CYCLE_1) | instskip(NEXT) | instid1(SALU_CYCLE_1)
	s_lshl_b64 s[20:21], s[20:21], 2
	s_add_u32 s2, s2, s20
	s_addc_u32 s3, s3, s21
	s_waitcnt vmcnt(1)
	v_mad_i64_i32 v[25:26], null, v5, s5, v[1:2]
	s_waitcnt vmcnt(0)
	v_mad_i64_i32 v[27:28], null, v3, s5, v[1:2]
	s_clause 0xf
	global_load_b128 v[1:4], v[25:26], off
	global_load_b128 v[5:8], v[25:26], off offset:256
	global_load_b128 v[9:12], v[27:28], off
	global_load_b128 v[13:16], v[27:28], off offset:256
	global_load_b128 v[17:20], v[25:26], off offset:512
	;; [unrolled: 1-line block ×13, first 2 shown]
	v_mul_lo_u16 v25, v65, 52
	v_lshlrev_b32_e32 v26, 4, v65
	s_delay_alu instid0(VALU_DEP_2) | instskip(NEXT) | instid1(VALU_DEP_2)
	v_lshrrev_b16 v25, 8, v25
	v_lshl_or_b32 v33, v66, 8, v26
	s_delay_alu instid0(VALU_DEP_2) | instskip(NEXT) | instid1(VALU_DEP_1)
	v_mul_lo_u16 v25, v25, 5
	v_sub_nc_u16 v25, v65, v25
	s_delay_alu instid0(VALU_DEP_1) | instskip(NEXT) | instid1(VALU_DEP_1)
	v_and_b32_e32 v25, 0xff, v25
	v_lshlrev_b32_e32 v72, 6, v25
	ds_load_b128 v[25:28], v72
	ds_load_b128 v[29:32], v72 offset:1024
	ds_load_b128 v[108:111], v72 offset:2048
	;; [unrolled: 1-line block ×3, first 2 shown]
	s_load_b32 s4, s[8:9], 0x0
	ds_load_b128 v[116:119], v72 offset:4096
	ds_load_b128 v[120:123], v72 offset:5120
	s_load_b32 s2, s[2:3], 0x0
	s_add_u32 s8, s10, s15
	s_addc_u32 s6, s11, s6
	v_add_co_u32 v68, s8, s8, v33
	s_delay_alu instid0(VALU_DEP_1) | instskip(SKIP_1) | instid1(VALU_DEP_1)
	v_add_co_ci_u32_e64 v69, null, s6, 0, s8
	s_waitcnt lgkmcnt(0)
	v_mad_i64_i32 v[33:34], null, s7, s5, v[68:69]
	v_mad_i64_i32 v[70:71], null, s16, s5, v[68:69]
	;; [unrolled: 1-line block ×7, first 2 shown]
	s_clause 0x3
	global_load_b128 v[41:44], v[33:34], off
	global_load_b128 v[45:48], v[33:34], off offset:16
	global_load_b128 v[33:36], v[37:38], off
	global_load_b128 v[37:40], v[37:38], off offset:16
	s_waitcnt vmcnt(18)
	v_wmma_f32_16x16x16_bf16 v[124:131], v[1:8], v[25:32], v[100:107]
	s_waitcnt vmcnt(16)
	v_wmma_f32_16x16x16_bf16 v[100:107], v[9:16], v[25:32], v[100:107]
	s_clause 0x1
	global_load_b128 v[25:28], v[70:71], off
	global_load_b128 v[29:32], v[70:71], off offset:16
	s_waitcnt vmcnt(16)
	v_wmma_f32_16x16x16_bf16 v[124:131], v[17:24], v[108:115], v[124:131]
	s_clause 0x1
	global_load_b128 v[17:20], v[132:133], off
	global_load_b128 v[21:24], v[132:133], off offset:16
	s_waitcnt vmcnt(16)
	v_wmma_f32_16x16x16_bf16 v[100:107], v[49:56], v[108:115], v[100:107]
	v_mad_i64_i32 v[53:54], null, s2, s5, v[68:69]
	s_clause 0x3
	global_load_b128 v[1:4], v[134:135], off
	global_load_b128 v[5:8], v[134:135], off offset:16
	global_load_b128 v[9:12], v[136:137], off
	global_load_b128 v[13:16], v[136:137], off offset:16
	s_waitcnt vmcnt(18)
	v_wmma_f32_16x16x16_bf16 v[124:131], v[57:64], v[116:123], v[124:131]
	s_clause 0x3
	global_load_b128 v[57:60], v[138:139], off
	global_load_b128 v[61:64], v[138:139], off offset:16
	global_load_b128 v[49:52], v[53:54], off
	global_load_b128 v[53:56], v[53:54], off offset:16
	v_mbcnt_lo_u32_b32 v69, -1, 0
	s_waitcnt vmcnt(20)
	v_wmma_f32_16x16x16_bf16 v[100:107], v[76:83], v[116:123], v[100:107]
	s_delay_alu instid0(VALU_DEP_2) | instskip(NEXT) | instid1(VALU_DEP_1)
	v_xor_b32_e32 v70, 16, v69
	v_cmp_gt_i32_e32 vcc_lo, 32, v70
	v_cndmask_b32_e32 v69, v69, v70, vcc_lo
	ds_load_b128 v[76:79], v72 offset:6144
	ds_load_b128 v[80:83], v72 offset:7168
	s_waitcnt vmcnt(0) lgkmcnt(0)
	s_barrier
	buffer_gl0_inv
	v_wmma_f32_16x16x16_bf16 v[124:131], v[84:91], v[76:83], v[124:131]
	v_and_b32_e32 v68, 0xe0, v0
	v_wmma_f32_16x16x16_bf16 v[100:107], v[92:99], v[76:83], v[100:107]
	s_delay_alu instid0(VALU_DEP_2) | instskip(NEXT) | instid1(VALU_DEP_4)
	v_dual_mul_f32 v79, s18, v127 :: v_dual_add_nc_u32 v68, s12, v68
	v_mul_f32_e32 v81, s18, v129
	v_dual_mul_f32 v78, s18, v125 :: v_dual_mul_f32 v83, s18, v131
	s_delay_alu instid0(VALU_DEP_4) | instskip(NEXT) | instid1(VALU_DEP_4)
	v_dual_mul_f32 v80, s18, v126 :: v_dual_mul_f32 v95, s18, v103
	v_or_b32_e32 v68, v68, v74
	v_dual_mul_f32 v93, s18, v101 :: v_dual_mul_f32 v82, s18, v128
	v_dual_mul_f32 v97, s18, v105 :: v_dual_mul_f32 v92, s18, v130
	v_mul_f32_e32 v99, s18, v107
	s_delay_alu instid0(VALU_DEP_4)
	v_or_b32_e32 v70, 2, v68
	v_or_b32_e32 v71, 4, v68
	;; [unrolled: 1-line block ×3, first 2 shown]
	v_cmp_gt_i32_e64 s2, s17, v68
	v_or_b32_e32 v108, 8, v68
	v_cmp_gt_i32_e32 vcc_lo, s17, v70
	v_mul_f32_e32 v70, s18, v124
	v_or_b32_e32 v109, 10, v68
	v_cmp_gt_i32_e64 s3, s17, v71
	v_cmp_gt_i32_e64 s4, s17, v72
	v_cndmask_b32_e32 v78, 0xff7fffff, v78, vcc_lo
	v_cndmask_b32_e64 v70, 0xff7fffff, v70, s2
	v_or_b32_e32 v84, 12, v68
	v_or_b32_e32 v85, 14, v68
	v_cndmask_b32_e64 v71, 0xff7fffff, v80, s3
	v_cndmask_b32_e64 v72, 0xff7fffff, v79, s4
	v_max3_f32 v70, v70, 0xff7fffff, v78
	v_cmp_gt_i32_e64 s5, s17, v108
	v_cmp_gt_i32_e64 s6, s17, v109
	v_or_b32_e32 v86, 16, v68
	v_or_b32_e32 v87, 18, v68
	v_max3_f32 v70, v70, v71, v72
	v_cndmask_b32_e64 v78, 0xff7fffff, v82, s5
	v_cndmask_b32_e64 v79, 0xff7fffff, v81, s6
	v_cmp_gt_i32_e64 s7, s17, v84
	v_cmp_gt_i32_e64 s8, s17, v85
	v_or_b32_e32 v88, 20, v68
	v_or_b32_e32 v89, 22, v68
	v_mul_f32_e32 v94, s18, v100
	v_cndmask_b32_e64 v71, 0xff7fffff, v92, s7
	v_cndmask_b32_e64 v72, 0xff7fffff, v83, s8
	v_max3_f32 v70, v70, v78, v79
	v_cmp_gt_i32_e64 s9, s17, v86
	v_cmp_gt_i32_e64 s10, s17, v87
	v_or_b32_e32 v90, 24, v68
	v_or_b32_e32 v91, 26, v68
	v_mul_f32_e32 v96, s18, v102
	v_max3_f32 v70, v70, v71, v72
	v_cndmask_b32_e64 v79, 0xff7fffff, v93, s10
	v_cmp_gt_i32_e64 s11, s17, v88
	v_cmp_gt_i32_e64 s12, s17, v89
	v_lshlrev_b32_e32 v89, 2, v69
	v_cndmask_b32_e64 v78, 0xff7fffff, v94, s9
	v_or_b32_e32 v76, 28, v68
	v_or_b32_e32 v77, 30, v68
	v_mul_f32_e32 v98, s18, v104
	v_cndmask_b32_e64 v71, 0xff7fffff, v96, s11
	v_cndmask_b32_e64 v72, 0xff7fffff, v95, s12
	v_max3_f32 v70, v70, v78, v79
	v_cmp_gt_i32_e64 s13, s17, v90
	v_cmp_gt_i32_e64 s15, s17, v91
	v_mul_f32_e32 v68, s18, v106
	v_cmp_gt_i32_e64 s16, s17, v76
	v_max3_f32 v70, v70, v71, v72
	v_cndmask_b32_e64 v78, 0xff7fffff, v98, s13
	v_cndmask_b32_e64 v79, 0xff7fffff, v97, s15
	v_cmp_gt_i32_e64 s17, s17, v77
	v_cndmask_b32_e64 v68, 0xff7fffff, v68, s16
	s_delay_alu instid0(VALU_DEP_3) | instskip(NEXT) | instid1(VALU_DEP_3)
	v_max3_f32 v70, v70, v78, v79
	v_cndmask_b32_e64 v71, 0xff7fffff, v99, s17
	s_delay_alu instid0(VALU_DEP_1) | instskip(SKIP_3) | instid1(VALU_DEP_1)
	v_max3_f32 v68, v70, v68, v71
	ds_bpermute_b32 v69, v89, v68
	s_waitcnt lgkmcnt(0)
	v_max_f32_e32 v69, v69, v69
	v_max_f32_e32 v68, v68, v69
	s_delay_alu instid0(VALU_DEP_1) | instskip(NEXT) | instid1(VALU_DEP_1)
	v_fma_f32 v76, s18, v128, -v68
	v_mul_f32_e32 v77, 0x3fb8aa3b, v76
	v_fma_f32 v71, s18, v126, -v68
	v_fma_f32 v69, s18, v124, -v68
	;; [unrolled: 1-line block ×4, first 2 shown]
	v_exp_f32_e32 v77, v77
	v_mul_f32_e32 v71, 0x3fb8aa3b, v71
	v_mul_f32_e32 v69, 0x3fb8aa3b, v69
	v_fma_f32 v81, s18, v105, -v68
	v_fma_f32 v78, s18, v130, -v68
	s_delay_alu instid0(VALU_DEP_4) | instskip(NEXT) | instid1(VALU_DEP_3)
	v_exp_f32_e32 v71, v71
	v_exp_f32_e32 v69, v69
	s_delay_alu instid0(VALU_DEP_2) | instskip(NEXT) | instid1(TRANS32_DEP_3)
	v_mul_f32_e32 v81, 0x3fb8aa3b, v81
	v_cndmask_b32_e64 v86, 0, v77, s5
	v_fma_f32 v77, s18, v101, -v68
	s_delay_alu instid0(VALU_DEP_3) | instskip(NEXT) | instid1(TRANS32_DEP_3)
	v_exp_f32_e32 v81, v81
	v_cndmask_b32_e64 v83, 0, v71, s3
	v_fma_f32 v71, s18, v131, -v68
	v_mul_f32_e32 v72, 0x3fb8aa3b, v72
	s_delay_alu instid0(TRANS32_DEP_2) | instskip(SKIP_1) | instid1(VALU_DEP_4)
	v_cndmask_b32_e64 v80, 0, v69, s2
	v_fma_f32 v69, s18, v129, -v68
	v_dual_mul_f32 v70, 0x3fb8aa3b, v70 :: v_dual_mul_f32 v71, 0x3fb8aa3b, v71
	s_delay_alu instid0(VALU_DEP_4) | instskip(SKIP_1) | instid1(VALU_DEP_3)
	v_exp_f32_e32 v72, v72
	v_mul_f32_e32 v77, 0x3fb8aa3b, v77
	v_mul_f32_e32 v69, 0x3fb8aa3b, v69
	s_delay_alu instid0(VALU_DEP_3)
	v_exp_f32_e32 v70, v70
	v_exp_f32_e32 v71, v71
	v_cmp_gt_u32_e64 s2, 16, v67
	v_exp_f32_e32 v77, v77
	v_exp_f32_e32 v69, v69
	v_cndmask_b32_e64 v85, 0, v72, s4
	v_fma_f32 v72, s18, v100, -v68
	v_cndmask_b32_e32 v76, 0, v70, vcc_lo
	s_delay_alu instid0(TRANS32_DEP_3) | instskip(SKIP_2) | instid1(TRANS32_DEP_1)
	v_cndmask_b32_e64 v88, 0, v71, s8
	v_fma_f32 v71, s18, v104, -v68
	v_add_f32_e32 v70, 0, v80
	v_cndmask_b32_e64 v87, 0, v69, s6
	s_delay_alu instid0(VALU_DEP_2) | instskip(NEXT) | instid1(VALU_DEP_1)
	v_dual_mul_f32 v71, 0x3fb8aa3b, v71 :: v_dual_add_f32 v70, v70, v76
	v_exp_f32_e32 v82, v71
	s_delay_alu instid0(VALU_DEP_1) | instskip(NEXT) | instid1(VALU_DEP_1)
	v_add_f32_e32 v70, v70, v83
	v_add_f32_e32 v70, v70, v85
	s_delay_alu instid0(VALU_DEP_1) | instskip(SKIP_1) | instid1(VALU_DEP_2)
	v_dual_mul_f32 v72, 0x3fb8aa3b, v72 :: v_dual_add_f32 v69, v70, v86
	v_fma_f32 v70, s18, v102, -v68
	v_exp_f32_e32 v72, v72
	s_delay_alu instid0(VALU_DEP_2) | instskip(NEXT) | instid1(VALU_DEP_2)
	v_dual_add_f32 v69, v69, v87 :: v_dual_mul_f32 v78, 0x3fb8aa3b, v78
	v_mul_f32_e32 v70, 0x3fb8aa3b, v70
	s_delay_alu instid0(VALU_DEP_2) | instskip(NEXT) | instid1(VALU_DEP_1)
	v_exp_f32_e32 v78, v78
	v_exp_f32_e32 v79, v70
	s_delay_alu instid0(TRANS32_DEP_3) | instskip(SKIP_4) | instid1(VALU_DEP_3)
	v_cndmask_b32_e64 v70, 0, v72, s9
	s_waitcnt_depctr 0xfff
	v_cndmask_b32_e64 v84, 0, v78, s7
	v_fma_f32 v78, s18, v103, -v68
	v_cndmask_b32_e64 v71, 0, v79, s11
	v_add_f32_e32 v69, v69, v84
	s_delay_alu instid0(VALU_DEP_1) | instskip(SKIP_2) | instid1(VALU_DEP_1)
	v_add_f32_e32 v72, v69, v88
	v_cndmask_b32_e64 v69, 0, v77, s10
	v_fma_f32 v77, s18, v106, -v68
	v_dual_add_f32 v72, v72, v70 :: v_dual_mul_f32 v77, 0x3fb8aa3b, v77
	s_delay_alu instid0(VALU_DEP_1) | instskip(NEXT) | instid1(VALU_DEP_2)
	v_add_f32_e32 v79, v72, v69
	v_exp_f32_e32 v90, v77
	v_cndmask_b32_e64 v77, 0, v82, s13
	v_mul_f32_e32 v78, 0x3fb8aa3b, v78
	s_delay_alu instid0(VALU_DEP_1) | instskip(SKIP_4) | instid1(VALU_DEP_1)
	v_exp_f32_e32 v78, v78
	s_waitcnt_depctr 0xfff
	v_cndmask_b32_e64 v72, 0, v78, s12
	v_add_f32_e32 v78, v79, v71
	v_fma_f32 v79, s18, v107, -v68
	v_dual_add_f32 v82, v78, v72 :: v_dual_mul_f32 v79, 0x3fb8aa3b, v79
	v_cndmask_b32_e64 v78, 0, v81, s15
	s_delay_alu instid0(VALU_DEP_2) | instskip(NEXT) | instid1(VALU_DEP_3)
	v_add_f32_e32 v81, v82, v77
	v_exp_f32_e32 v82, v79
	v_cndmask_b32_e64 v79, 0, v90, s16
	s_delay_alu instid0(VALU_DEP_2) | instskip(NEXT) | instid1(VALU_DEP_1)
	v_add_f32_e32 v81, v81, v78
	v_add_f32_e32 v90, v81, v79
	s_waitcnt_depctr 0xfff
	v_cndmask_b32_e64 v81, 0, v82, s17
	s_delay_alu instid0(VALU_DEP_1)
	v_add_f32_e32 v82, v90, v81
	ds_bpermute_b32 v89, v89, v82
	s_and_saveexec_b32 s3, s2
	s_cbranch_execz .LBB1842_12
; %bb.11:
	v_mul_u32_u24_e32 v67, 0x44, v66
	s_delay_alu instid0(VALU_DEP_1) | instskip(SKIP_1) | instid1(VALU_DEP_1)
	v_lshl_add_u32 v67, v65, 2, v67
	s_waitcnt lgkmcnt(0)
	v_dual_add_f32 v82, v82, v89 :: v_dual_add_nc_u32 v67, 0x4000, v67
	ds_store_2addr_b32 v67, v68, v82 offset1:136
.LBB1842_12:
	s_or_b32 exec_lo, exec_lo, s3
	v_lshlrev_b32_e32 v67, 2, v65
	s_waitcnt lgkmcnt(0)
	s_barrier
	buffer_gl0_inv
	v_cmp_eq_u32_e32 vcc_lo, 1, v66
	v_add_nc_u32_e32 v82, 0x4000, v67
	v_cmp_eq_u32_e64 s3, 2, v66
	v_cmp_eq_u32_e64 s5, 7, v66
	ds_load_2addr_b32 v[89:90], v82 offset1:17
	ds_load_2addr_b32 v[91:92], v82 offset0:34 offset1:51
	ds_load_2addr_b32 v[93:94], v82 offset0:68 offset1:85
	;; [unrolled: 1-line block ×4, first 2 shown]
	s_waitcnt lgkmcnt(4)
	v_max3_f32 v67, v89, 0xff7fffff, v90
	s_waitcnt lgkmcnt(3)
	s_delay_alu instid0(VALU_DEP_1) | instskip(SKIP_1) | instid1(VALU_DEP_1)
	v_max3_f32 v67, v67, v91, v92
	s_waitcnt lgkmcnt(2)
	v_max3_f32 v67, v67, v93, v94
	s_waitcnt lgkmcnt(1)
	s_delay_alu instid0(VALU_DEP_1) | instskip(NEXT) | instid1(VALU_DEP_1)
	v_max3_f32 v67, v67, v95, v96
	v_sub_f32_e32 v93, v93, v67
	s_delay_alu instid0(VALU_DEP_1) | instskip(NEXT) | instid1(VALU_DEP_1)
	v_dual_sub_f32 v68, v89, v67 :: v_dual_mul_f32 v103, 0x3fb8aa3b, v93
	v_mul_f32_e32 v68, 0x3fb8aa3b, v68
	s_delay_alu instid0(VALU_DEP_1)
	v_exp_f32_e32 v100, v68
	v_sub_f32_e32 v68, v92, v67
	v_sub_f32_e32 v99, v90, v67
	ds_load_2addr_b32 v[89:90], v82 offset0:170 offset1:187
	v_dual_mul_f32 v102, 0x3fb8aa3b, v68 :: v_dual_mul_f32 v99, 0x3fb8aa3b, v99
	s_waitcnt lgkmcnt(1)
	v_fma_f32 v68, v100, v97, 0
	s_delay_alu instid0(VALU_DEP_2) | instskip(NEXT) | instid1(VALU_DEP_2)
	v_exp_f32_e32 v102, v102
	v_exp_f32_e32 v99, v99
	s_waitcnt_depctr 0xfff
	v_fmac_f32_e32 v68, v99, v98
	v_sub_f32_e32 v91, v91, v67
	s_delay_alu instid0(VALU_DEP_1)
	v_mul_f32_e32 v101, 0x3fb8aa3b, v91
	ds_load_2addr_b32 v[91:92], v82 offset0:204 offset1:221
	v_sub_f32_e32 v97, v94, v67
	ds_load_2addr_b32 v[93:94], v82 offset0:238 offset1:255
	s_waitcnt lgkmcnt(0)
	v_exp_f32_e32 v101, v101
	s_barrier
	buffer_gl0_inv
	v_dual_fmac_f32 v68, v101, v89 :: v_dual_sub_f32 v89, v96, v67
	v_dual_sub_f32 v82, v95, v67 :: v_dual_mul_f32 v95, 0x3fb8aa3b, v97
	v_exp_f32_e32 v97, v103
	s_delay_alu instid0(VALU_DEP_2) | instskip(NEXT) | instid1(VALU_DEP_2)
	v_dual_fmac_f32 v68, v102, v90 :: v_dual_mul_f32 v89, 0x3fb8aa3b, v89
	v_mul_f32_e32 v82, 0x3fb8aa3b, v82
	s_delay_alu instid0(VALU_DEP_3) | instskip(NEXT) | instid1(VALU_DEP_2)
	v_exp_f32_e32 v95, v95
	v_exp_f32_e32 v89, v89
	s_delay_alu instid0(VALU_DEP_1)
	v_exp_f32_e32 v82, v82
	v_fmac_f32_e32 v68, v97, v91
	s_delay_alu instid0(TRANS32_DEP_3) | instid1(VALU_DEP_1)
	v_fmac_f32_e32 v68, v95, v92
	s_waitcnt_depctr 0xfff
	v_fmac_f32_e32 v68, v82, v93
	s_delay_alu instid0(VALU_DEP_1) | instskip(NEXT) | instid1(VALU_DEP_1)
	v_fmac_f32_e32 v68, v89, v94
	v_add_f32_e32 v90, 0x358637bd, v68
	s_delay_alu instid0(VALU_DEP_1) | instskip(NEXT) | instid1(VALU_DEP_1)
	v_div_scale_f32 v91, null, v90, v90, 1.0
	v_rcp_f32_e32 v92, v91
	s_waitcnt_depctr 0xfff
	v_fma_f32 v93, -v91, v92, 1.0
	s_delay_alu instid0(VALU_DEP_1) | instskip(SKIP_1) | instid1(VALU_DEP_2)
	v_dual_fmac_f32 v92, v93, v92 :: v_dual_cndmask_b32 v93, v100, v99
	v_cmp_eq_u32_e32 vcc_lo, 3, v66
	v_cndmask_b32_e64 v93, v93, v101, s3
	v_cmp_eq_u32_e64 s3, 4, v66
	s_delay_alu instid0(VALU_DEP_2) | instskip(SKIP_1) | instid1(VALU_DEP_2)
	v_cndmask_b32_e32 v93, v93, v102, vcc_lo
	v_cmp_eq_u32_e32 vcc_lo, 5, v66
	v_cndmask_b32_e64 v93, v93, v97, s3
	v_cmp_eq_u32_e64 s3, 6, v66
	s_delay_alu instid0(VALU_DEP_2) | instskip(SKIP_1) | instid1(VALU_DEP_1)
	v_cndmask_b32_e32 v93, v93, v95, vcc_lo
	v_div_scale_f32 v94, s4, 1.0, v90, 1.0
	s_mov_b32 vcc_lo, s4
	s_delay_alu instid0(VALU_DEP_2) | instskip(NEXT) | instid1(VALU_DEP_2)
	v_cndmask_b32_e64 v82, v93, v82, s3
	v_mul_f32_e32 v96, v94, v92
	s_mov_b32 s3, exec_lo
	s_delay_alu instid0(VALU_DEP_2) | instskip(NEXT) | instid1(VALU_DEP_2)
	v_cndmask_b32_e64 v82, v82, v89, s5
	v_fma_f32 v98, -v91, v96, v94
	s_delay_alu instid0(VALU_DEP_1) | instskip(NEXT) | instid1(VALU_DEP_1)
	v_fmac_f32_e32 v96, v98, v92
	v_fma_f32 v91, -v91, v96, v94
	s_delay_alu instid0(VALU_DEP_1) | instskip(NEXT) | instid1(VALU_DEP_1)
	v_div_fmas_f32 v91, v91, v92, v96
	v_div_fixup_f32 v90, v91, v90, 1.0
	s_delay_alu instid0(VALU_DEP_1) | instskip(NEXT) | instid1(VALU_DEP_1)
	v_mul_f32_e32 v82, v82, v90
	v_mul_f32_e32 v87, v82, v87
	;; [unrolled: 1-line block ×7, first 2 shown]
	v_dual_mul_f32 v86, v82, v83 :: v_dual_and_b32 v91, 0x7f800000, v90
	v_mul_f32_e32 v85, v82, v76
                                        ; implicit-def: $vgpr76
	s_delay_alu instid0(VALU_DEP_2)
	v_cmpx_ne_u32_e32 0x7f800000, v91
	s_xor_b32 s3, exec_lo, s3
; %bb.13:
	v_bfe_u32 v76, v90, 16, 1
	s_delay_alu instid0(VALU_DEP_1)
	v_add3_u32 v76, v90, v76, 0x7fff
                                        ; implicit-def: $vgpr90
; %bb.14:
	s_and_not1_saveexec_b32 s3, s3
; %bb.15:
	v_and_b32_e32 v76, 0xffff, v90
	v_or_b32_e32 v83, 0x10000, v90
	s_delay_alu instid0(VALU_DEP_2) | instskip(NEXT) | instid1(VALU_DEP_2)
	v_cmp_eq_u32_e32 vcc_lo, 0, v76
	v_cndmask_b32_e32 v76, v83, v90, vcc_lo
; %bb.16:
	s_or_b32 exec_lo, exec_lo, s3
	v_and_b32_e32 v83, 0x7f800000, v85
	s_delay_alu instid0(VALU_DEP_1) | instskip(SKIP_1) | instid1(SALU_CYCLE_1)
	v_cmp_ne_u32_e32 vcc_lo, 0x7f800000, v83
                                        ; implicit-def: $vgpr83
	s_and_saveexec_b32 s3, vcc_lo
	s_xor_b32 s3, exec_lo, s3
; %bb.17:
	v_bfe_u32 v83, v85, 16, 1
	s_delay_alu instid0(VALU_DEP_1)
	v_add3_u32 v83, v85, v83, 0x7fff
                                        ; implicit-def: $vgpr85
; %bb.18:
	s_and_not1_saveexec_b32 s3, s3
; %bb.19:
	v_and_b32_e32 v83, 0xffff, v85
	v_or_b32_e32 v90, 0x10000, v85
	s_delay_alu instid0(VALU_DEP_2) | instskip(NEXT) | instid1(VALU_DEP_2)
	v_cmp_eq_u32_e32 vcc_lo, 0, v83
	v_cndmask_b32_e32 v83, v90, v85, vcc_lo
; %bb.20:
	s_or_b32 exec_lo, exec_lo, s3
	v_and_b32_e32 v85, 0x7f800000, v86
	s_delay_alu instid0(VALU_DEP_1) | instskip(SKIP_1) | instid1(SALU_CYCLE_1)
	v_cmp_ne_u32_e32 vcc_lo, 0x7f800000, v85
                                        ; implicit-def: $vgpr85
	s_and_saveexec_b32 s3, vcc_lo
	s_xor_b32 s3, exec_lo, s3
; %bb.21:
	v_bfe_u32 v85, v86, 16, 1
	s_delay_alu instid0(VALU_DEP_1)
	v_add3_u32 v85, v86, v85, 0x7fff
                                        ; implicit-def: $vgpr86
; %bb.22:
	s_and_not1_saveexec_b32 s3, s3
; %bb.23:
	v_and_b32_e32 v85, 0xffff, v86
	v_or_b32_e32 v90, 0x10000, v86
	s_delay_alu instid0(VALU_DEP_2) | instskip(NEXT) | instid1(VALU_DEP_2)
	v_cmp_eq_u32_e32 vcc_lo, 0, v85
	v_cndmask_b32_e32 v85, v90, v86, vcc_lo
; %bb.24:
	s_or_b32 exec_lo, exec_lo, s3
	v_and_b32_e32 v86, 0x7f800000, v89
	s_delay_alu instid0(VALU_DEP_1) | instskip(SKIP_1) | instid1(SALU_CYCLE_1)
	v_cmp_ne_u32_e32 vcc_lo, 0x7f800000, v86
                                        ; implicit-def: $vgpr86
	s_and_saveexec_b32 s3, vcc_lo
	s_xor_b32 s3, exec_lo, s3
; %bb.25:
	v_bfe_u32 v86, v89, 16, 1
	s_delay_alu instid0(VALU_DEP_1)
	v_add3_u32 v86, v89, v86, 0x7fff
                                        ; implicit-def: $vgpr89
; %bb.26:
	s_and_not1_saveexec_b32 s3, s3
; %bb.27:
	v_and_b32_e32 v86, 0xffff, v89
	v_or_b32_e32 v90, 0x10000, v89
	s_delay_alu instid0(VALU_DEP_2) | instskip(NEXT) | instid1(VALU_DEP_2)
	v_cmp_eq_u32_e32 vcc_lo, 0, v86
	v_cndmask_b32_e32 v86, v90, v89, vcc_lo
; %bb.28:
	s_or_b32 exec_lo, exec_lo, s3
	v_and_b32_e32 v89, 0x7f800000, v88
	s_delay_alu instid0(VALU_DEP_1) | instskip(SKIP_1) | instid1(SALU_CYCLE_1)
	v_cmp_ne_u32_e32 vcc_lo, 0x7f800000, v89
                                        ; implicit-def: $vgpr89
	s_and_saveexec_b32 s3, vcc_lo
	s_xor_b32 s3, exec_lo, s3
; %bb.29:
	v_bfe_u32 v89, v88, 16, 1
	s_delay_alu instid0(VALU_DEP_1)
	v_add3_u32 v89, v88, v89, 0x7fff
                                        ; implicit-def: $vgpr88
; %bb.30:
	s_and_not1_saveexec_b32 s3, s3
; %bb.31:
	v_and_b32_e32 v89, 0xffff, v88
	v_or_b32_e32 v90, 0x10000, v88
	s_delay_alu instid0(VALU_DEP_2) | instskip(NEXT) | instid1(VALU_DEP_2)
	v_cmp_eq_u32_e32 vcc_lo, 0, v89
	v_cndmask_b32_e32 v89, v90, v88, vcc_lo
; %bb.32:
	s_or_b32 exec_lo, exec_lo, s3
	v_and_b32_e32 v88, 0x7f800000, v87
	s_delay_alu instid0(VALU_DEP_1) | instskip(SKIP_1) | instid1(SALU_CYCLE_1)
	v_cmp_ne_u32_e32 vcc_lo, 0x7f800000, v88
                                        ; implicit-def: $vgpr88
	s_and_saveexec_b32 s3, vcc_lo
	s_xor_b32 s3, exec_lo, s3
; %bb.33:
	v_bfe_u32 v88, v87, 16, 1
	s_delay_alu instid0(VALU_DEP_1)
	v_add3_u32 v88, v87, v88, 0x7fff
                                        ; implicit-def: $vgpr87
; %bb.34:
	s_and_not1_saveexec_b32 s3, s3
; %bb.35:
	v_and_b32_e32 v88, 0xffff, v87
	v_or_b32_e32 v90, 0x10000, v87
	s_delay_alu instid0(VALU_DEP_2) | instskip(NEXT) | instid1(VALU_DEP_2)
	v_cmp_eq_u32_e32 vcc_lo, 0, v88
	v_cndmask_b32_e32 v88, v90, v87, vcc_lo
; %bb.36:
	s_or_b32 exec_lo, exec_lo, s3
	v_and_b32_e32 v87, 0x7f800000, v84
	s_delay_alu instid0(VALU_DEP_1) | instskip(SKIP_1) | instid1(SALU_CYCLE_1)
	v_cmp_ne_u32_e32 vcc_lo, 0x7f800000, v87
                                        ; implicit-def: $vgpr87
	s_and_saveexec_b32 s3, vcc_lo
	s_xor_b32 s3, exec_lo, s3
; %bb.37:
	v_bfe_u32 v87, v84, 16, 1
	s_delay_alu instid0(VALU_DEP_1)
	v_add3_u32 v87, v84, v87, 0x7fff
                                        ; implicit-def: $vgpr84
; %bb.38:
	s_and_not1_saveexec_b32 s3, s3
; %bb.39:
	v_and_b32_e32 v87, 0xffff, v84
	v_or_b32_e32 v90, 0x10000, v84
	s_delay_alu instid0(VALU_DEP_2) | instskip(NEXT) | instid1(VALU_DEP_2)
	v_cmp_eq_u32_e32 vcc_lo, 0, v87
	v_cndmask_b32_e32 v87, v90, v84, vcc_lo
; %bb.40:
	s_or_b32 exec_lo, exec_lo, s3
	v_and_b32_e32 v84, 0x7f800000, v80
	s_delay_alu instid0(VALU_DEP_1) | instskip(SKIP_1) | instid1(SALU_CYCLE_1)
	v_cmp_ne_u32_e32 vcc_lo, 0x7f800000, v84
                                        ; implicit-def: $vgpr84
	s_and_saveexec_b32 s3, vcc_lo
	s_xor_b32 s3, exec_lo, s3
; %bb.41:
	v_bfe_u32 v84, v80, 16, 1
	s_delay_alu instid0(VALU_DEP_1)
	v_add3_u32 v84, v80, v84, 0x7fff
                                        ; implicit-def: $vgpr80
; %bb.42:
	s_and_not1_saveexec_b32 s3, s3
; %bb.43:
	v_and_b32_e32 v84, 0xffff, v80
	v_or_b32_e32 v90, 0x10000, v80
	s_delay_alu instid0(VALU_DEP_2) | instskip(NEXT) | instid1(VALU_DEP_2)
	v_cmp_eq_u32_e32 vcc_lo, 0, v84
	v_cndmask_b32_e32 v84, v90, v80, vcc_lo
; %bb.44:
	s_or_b32 exec_lo, exec_lo, s3
	s_load_b64 s[34:35], s[0:1], 0x94
	v_lshlrev_b32_e32 v91, 4, v74
	s_delay_alu instid0(VALU_DEP_2)
	v_perm_b32 v90, v84, v87, 0x7060302
	v_dual_mul_f32 v79, v82, v79 :: v_dual_lshlrev_b32 v80, 6, v65
	v_dual_mul_f32 v77, v82, v77 :: v_dual_lshlrev_b32 v92, 11, v66
	v_mul_f32_e32 v84, v82, v70
	v_perm_b32 v89, v88, v89, 0x7060302
	v_perm_b32 v88, v86, v85, 0x7060302
	;; [unrolled: 1-line block ×3, first 2 shown]
	v_mul_f32_e32 v70, v82, v81
	v_or3_b32 v76, v91, v92, v80
	v_dual_mul_f32 v78, v82, v78 :: v_dual_and_b32 v85, 0x7f800000, v84
	v_mul_f32_e32 v83, v82, v72
	v_mul_f32_e32 v81, v82, v71
	;; [unrolled: 1-line block ×3, first 2 shown]
	s_mov_b32 s3, exec_lo
	ds_store_b128 v76, v[87:90]
                                        ; implicit-def: $vgpr69
	v_cmpx_ne_u32_e32 0x7f800000, v85
	s_xor_b32 s3, exec_lo, s3
; %bb.45:
	v_bfe_u32 v69, v84, 16, 1
	s_delay_alu instid0(VALU_DEP_1)
	v_add3_u32 v69, v84, v69, 0x7fff
                                        ; implicit-def: $vgpr84
; %bb.46:
	s_and_not1_saveexec_b32 s3, s3
; %bb.47:
	v_and_b32_e32 v69, 0xffff, v84
	v_or_b32_e32 v71, 0x10000, v84
	s_delay_alu instid0(VALU_DEP_2) | instskip(NEXT) | instid1(VALU_DEP_2)
	v_cmp_eq_u32_e32 vcc_lo, 0, v69
	v_cndmask_b32_e32 v69, v71, v84, vcc_lo
; %bb.48:
	s_or_b32 exec_lo, exec_lo, s3
	v_and_b32_e32 v71, 0x7f800000, v72
	s_delay_alu instid0(VALU_DEP_1) | instskip(SKIP_1) | instid1(SALU_CYCLE_1)
	v_cmp_ne_u32_e32 vcc_lo, 0x7f800000, v71
                                        ; implicit-def: $vgpr71
	s_and_saveexec_b32 s3, vcc_lo
	s_xor_b32 s3, exec_lo, s3
; %bb.49:
	v_bfe_u32 v71, v72, 16, 1
	s_delay_alu instid0(VALU_DEP_1)
	v_add3_u32 v71, v72, v71, 0x7fff
                                        ; implicit-def: $vgpr72
; %bb.50:
	s_and_not1_saveexec_b32 s3, s3
; %bb.51:
	v_and_b32_e32 v71, 0xffff, v72
	v_or_b32_e32 v82, 0x10000, v72
	s_delay_alu instid0(VALU_DEP_2) | instskip(NEXT) | instid1(VALU_DEP_2)
	v_cmp_eq_u32_e32 vcc_lo, 0, v71
	v_cndmask_b32_e32 v71, v82, v72, vcc_lo
; %bb.52:
	s_or_b32 exec_lo, exec_lo, s3
	v_and_b32_e32 v72, 0x7f800000, v81
	s_delay_alu instid0(VALU_DEP_1) | instskip(SKIP_1) | instid1(SALU_CYCLE_1)
	v_cmp_ne_u32_e32 vcc_lo, 0x7f800000, v72
                                        ; implicit-def: $vgpr72
	s_and_saveexec_b32 s3, vcc_lo
	s_xor_b32 s3, exec_lo, s3
; %bb.53:
	v_bfe_u32 v72, v81, 16, 1
	s_delay_alu instid0(VALU_DEP_1)
	v_add3_u32 v72, v81, v72, 0x7fff
                                        ; implicit-def: $vgpr81
; %bb.54:
	s_and_not1_saveexec_b32 s3, s3
; %bb.55:
	v_and_b32_e32 v72, 0xffff, v81
	v_or_b32_e32 v82, 0x10000, v81
	s_delay_alu instid0(VALU_DEP_2) | instskip(NEXT) | instid1(VALU_DEP_2)
	v_cmp_eq_u32_e32 vcc_lo, 0, v72
	v_cndmask_b32_e32 v72, v82, v81, vcc_lo
; %bb.56:
	s_or_b32 exec_lo, exec_lo, s3
	v_and_b32_e32 v81, 0x7f800000, v83
	s_delay_alu instid0(VALU_DEP_1) | instskip(SKIP_1) | instid1(SALU_CYCLE_1)
	v_cmp_ne_u32_e32 vcc_lo, 0x7f800000, v81
                                        ; implicit-def: $vgpr81
	s_and_saveexec_b32 s3, vcc_lo
	s_xor_b32 s3, exec_lo, s3
; %bb.57:
	v_bfe_u32 v81, v83, 16, 1
	s_delay_alu instid0(VALU_DEP_1)
	v_add3_u32 v81, v83, v81, 0x7fff
                                        ; implicit-def: $vgpr83
; %bb.58:
	s_and_not1_saveexec_b32 s3, s3
; %bb.59:
	v_and_b32_e32 v81, 0xffff, v83
	v_or_b32_e32 v82, 0x10000, v83
	s_delay_alu instid0(VALU_DEP_2) | instskip(NEXT) | instid1(VALU_DEP_2)
	v_cmp_eq_u32_e32 vcc_lo, 0, v81
	v_cndmask_b32_e32 v81, v82, v83, vcc_lo
; %bb.60:
	s_or_b32 exec_lo, exec_lo, s3
	v_and_b32_e32 v82, 0x7f800000, v77
	s_delay_alu instid0(VALU_DEP_1) | instskip(SKIP_1) | instid1(SALU_CYCLE_1)
	v_cmp_ne_u32_e32 vcc_lo, 0x7f800000, v82
                                        ; implicit-def: $vgpr82
	s_and_saveexec_b32 s3, vcc_lo
	s_xor_b32 s3, exec_lo, s3
; %bb.61:
	v_bfe_u32 v82, v77, 16, 1
	s_delay_alu instid0(VALU_DEP_1)
	v_add3_u32 v82, v77, v82, 0x7fff
                                        ; implicit-def: $vgpr77
; %bb.62:
	s_and_not1_saveexec_b32 s3, s3
; %bb.63:
	v_and_b32_e32 v82, 0xffff, v77
	v_or_b32_e32 v83, 0x10000, v77
	s_delay_alu instid0(VALU_DEP_2) | instskip(NEXT) | instid1(VALU_DEP_2)
	v_cmp_eq_u32_e32 vcc_lo, 0, v82
	v_cndmask_b32_e32 v82, v83, v77, vcc_lo
; %bb.64:
	s_or_b32 exec_lo, exec_lo, s3
	v_and_b32_e32 v77, 0x7f800000, v78
	s_delay_alu instid0(VALU_DEP_1) | instskip(SKIP_1) | instid1(SALU_CYCLE_1)
	v_cmp_ne_u32_e32 vcc_lo, 0x7f800000, v77
                                        ; implicit-def: $vgpr77
	s_and_saveexec_b32 s3, vcc_lo
	s_xor_b32 s3, exec_lo, s3
; %bb.65:
	v_bfe_u32 v77, v78, 16, 1
	s_delay_alu instid0(VALU_DEP_1)
	v_add3_u32 v77, v78, v77, 0x7fff
                                        ; implicit-def: $vgpr78
; %bb.66:
	s_and_not1_saveexec_b32 s3, s3
; %bb.67:
	v_and_b32_e32 v77, 0xffff, v78
	v_or_b32_e32 v83, 0x10000, v78
	s_delay_alu instid0(VALU_DEP_2) | instskip(NEXT) | instid1(VALU_DEP_2)
	v_cmp_eq_u32_e32 vcc_lo, 0, v77
	v_cndmask_b32_e32 v77, v83, v78, vcc_lo
; %bb.68:
	s_or_b32 exec_lo, exec_lo, s3
	v_and_b32_e32 v78, 0x7f800000, v79
	s_delay_alu instid0(VALU_DEP_1) | instskip(SKIP_1) | instid1(SALU_CYCLE_1)
	v_cmp_ne_u32_e32 vcc_lo, 0x7f800000, v78
                                        ; implicit-def: $vgpr78
	s_and_saveexec_b32 s3, vcc_lo
	s_xor_b32 s3, exec_lo, s3
; %bb.69:
	v_bfe_u32 v78, v79, 16, 1
	s_delay_alu instid0(VALU_DEP_1)
	v_add3_u32 v78, v79, v78, 0x7fff
                                        ; implicit-def: $vgpr79
; %bb.70:
	s_and_not1_saveexec_b32 s3, s3
; %bb.71:
	v_and_b32_e32 v78, 0xffff, v79
	v_or_b32_e32 v83, 0x10000, v79
	s_delay_alu instid0(VALU_DEP_2) | instskip(NEXT) | instid1(VALU_DEP_2)
	v_cmp_eq_u32_e32 vcc_lo, 0, v78
	v_cndmask_b32_e32 v78, v83, v79, vcc_lo
; %bb.72:
	s_or_b32 exec_lo, exec_lo, s3
	v_and_b32_e32 v79, 0x7f800000, v70
	s_delay_alu instid0(VALU_DEP_1) | instskip(SKIP_1) | instid1(SALU_CYCLE_1)
	v_cmp_ne_u32_e32 vcc_lo, 0x7f800000, v79
                                        ; implicit-def: $vgpr79
	s_and_saveexec_b32 s3, vcc_lo
	s_xor_b32 s3, exec_lo, s3
; %bb.73:
	v_bfe_u32 v79, v70, 16, 1
	s_delay_alu instid0(VALU_DEP_1)
	v_add3_u32 v79, v70, v79, 0x7fff
                                        ; implicit-def: $vgpr70
; %bb.74:
	s_and_not1_saveexec_b32 s3, s3
; %bb.75:
	v_and_b32_e32 v79, 0xffff, v70
	v_or_b32_e32 v83, 0x10000, v70
	s_delay_alu instid0(VALU_DEP_2) | instskip(NEXT) | instid1(VALU_DEP_2)
	v_cmp_eq_u32_e32 vcc_lo, 0, v79
	v_cndmask_b32_e32 v79, v83, v70, vcc_lo
; %bb.76:
	s_or_b32 exec_lo, exec_lo, s3
	s_delay_alu instid0(VALU_DEP_1)
	v_perm_b32 v86, v79, v78, 0x7060302
	v_perm_b32 v85, v77, v82, 0x7060302
	;; [unrolled: 1-line block ×4, first 2 shown]
	v_lshl_or_b32 v82, v66, 11, v80
	ds_store_b128 v76, v[83:86] offset:1024
	s_waitcnt lgkmcnt(0)
	s_barrier
	buffer_gl0_inv
	ds_load_b128 v[69:72], v82
	ds_load_b128 v[83:86], v82 offset:16
	s_waitcnt lgkmcnt(1)
	v_lshrrev_b32_e32 v66, 16, v69
	s_waitcnt lgkmcnt(0)
	v_lshrrev_b32_e32 v91, 16, v83
	v_lshlrev_b32_e32 v78, 2, v74
	v_lshrrev_b32_e32 v95, 16, v70
	v_lshrrev_b32_e32 v98, 16, v84
	;; [unrolled: 1-line block ×4, first 2 shown]
	v_cmp_eq_u32_e32 vcc_lo, 1, v78
	v_lshrrev_b32_e32 v97, 16, v72
	v_lshrrev_b32_e32 v100, 16, v86
	v_cndmask_b32_e32 v87, v83, v91, vcc_lo
	v_or_b32_e32 v79, 1, v78
	v_cndmask_b32_e32 v81, v69, v66, vcc_lo
	v_cmp_eq_u32_e64 s4, 2, v78
	v_cmp_eq_u32_e64 s7, 3, v78
	;; [unrolled: 1-line block ×5, first 2 shown]
	v_cndmask_b32_e64 v81, v81, v70, s4
	v_cndmask_b32_e64 v87, v87, v84, s4
	v_cmp_eq_u32_e64 s8, 3, v79
	v_cndmask_b32_e64 v88, v69, v66, s3
	v_or_b32_e32 v77, 2, v78
	v_cndmask_b32_e64 v81, v81, v95, s7
	v_cndmask_b32_e64 v87, v87, v98, s7
	;; [unrolled: 1-line block ×4, first 2 shown]
	v_cmp_eq_u32_e64 s10, 5, v78
	v_cndmask_b32_e64 v81, v81, v71, s9
	v_cndmask_b32_e64 v87, v87, v85, s9
	v_cmp_eq_u32_e64 s11, 4, v79
	v_cndmask_b32_e64 v88, v88, v95, s8
	v_cmp_eq_u32_e64 s5, 1, v77
	v_cndmask_b32_e64 v89, v89, v84, s6
	v_cndmask_b32_e64 v81, v81, v96, s10
	v_cmp_eq_u32_e64 s12, 6, v78
	v_cndmask_b32_e64 v88, v88, v71, s11
	v_cndmask_b32_e64 v87, v87, v99, s10
	v_cmp_eq_u32_e64 s13, 5, v79
	v_cndmask_b32_e64 v90, v69, v66, s5
	v_cndmask_b32_e64 v89, v89, v98, s8
	v_cndmask_b32_e64 v81, v81, v72, s12
	v_cmp_eq_u32_e64 s15, 7, v78
	v_cndmask_b32_e64 v88, v88, v96, s13
	v_cndmask_b32_e64 v87, v87, v86, s12
	v_cmp_eq_u32_e64 s16, 6, v79
	v_cmp_eq_u32_e64 s17, 2, v77
	v_cndmask_b32_e64 v89, v89, v85, s11
	v_cndmask_b32_e64 v101, v81, v97, s15
	;; [unrolled: 1-line block ×6, first 2 shown]
	v_cmp_eq_u32_e64 s18, 7, v79
	v_cmp_eq_u32_e64 s19, 3, v77
	;; [unrolled: 1-line block ×4, first 2 shown]
	v_cndmask_b32_e64 v87, v87, v84, s17
	v_cndmask_b32_e64 v103, v88, v97, s18
	;; [unrolled: 1-line block ×4, first 2 shown]
	v_or_b32_e32 v81, 3, v78
	v_cndmask_b32_e64 v93, v87, v98, s19
	v_cmp_eq_u32_e64 s24, 6, v77
	v_cndmask_b32_e64 v104, v88, v86, s16
	v_cndmask_b32_e64 v92, v89, v71, s20
	v_cmp_eq_u32_e64 s21, 1, v81
	ds_load_b128 v[87:90], v82 offset:1024
	v_cmp_eq_u32_e64 s23, 2, v81
	v_cmp_eq_u32_e64 s25, 3, v81
	v_cndmask_b32_e64 v105, v92, v96, s22
	v_cndmask_b32_e64 v66, v69, v66, s21
	;; [unrolled: 1-line block ×4, first 2 shown]
	ds_load_b128 v[91:94], v82 offset:1040
	v_cmp_eq_u32_e64 s26, 4, v81
	v_cndmask_b32_e64 v66, v66, v70, s23
	v_cmp_eq_u32_e64 s27, 7, v77
	v_cndmask_b32_e64 v70, v83, v84, s23
	v_cndmask_b32_e64 v84, v105, v72, s24
	v_cmp_eq_u32_e64 s28, 5, v81
	v_cndmask_b32_e64 v66, v66, v95, s25
	v_cmp_eq_u32_e64 s29, 6, v81
	v_cndmask_b32_e64 v70, v70, v98, s25
	v_cndmask_b32_e64 v69, v69, v99, s22
	v_cndmask_b32_e64 v83, v104, v100, s18
	v_cndmask_b32_e64 v66, v66, v71, s26
	s_waitcnt lgkmcnt(1)
	v_lshrrev_b32_e32 v95, 16, v87
	v_cndmask_b32_e64 v70, v70, v85, s26
	v_cndmask_b32_e64 v71, v84, v97, s27
	;; [unrolled: 1-line block ×4, first 2 shown]
	v_cndmask_b32_e32 v84, v87, v95, vcc_lo
	v_cndmask_b32_e64 v70, v70, v99, s28
	s_waitcnt lgkmcnt(0)
	v_lshrrev_b32_e32 v85, 16, v91
	v_lshrrev_b32_e32 v96, 16, v88
	v_cndmask_b32_e64 v98, v87, v95, s3
	v_cndmask_b32_e64 v84, v84, v88, s4
	;; [unrolled: 1-line block ×3, first 2 shown]
	v_cndmask_b32_e32 v99, v91, v85, vcc_lo
	v_cmp_eq_u32_e32 vcc_lo, 7, v81
	v_cndmask_b32_e64 v66, v66, v72, s29
	v_cndmask_b32_e64 v72, v84, v96, s7
	;; [unrolled: 1-line block ×3, first 2 shown]
	v_lshrrev_b32_e32 v98, 16, v92
	v_cndmask_b32_e32 v70, v70, v100, vcc_lo
	v_cndmask_b32_e64 v86, v99, v92, s4
	v_cndmask_b32_e64 v69, v69, v100, s27
	v_lshrrev_b32_e32 v100, 16, v93
	v_cndmask_b32_e64 v72, v72, v89, s9
	v_lshrrev_b32_e32 v99, 16, v89
	v_cndmask_b32_e64 v86, v86, v98, s7
	v_perm_b32 v71, v69, v71, 0x5040100
	v_cndmask_b32_e64 v84, v84, v96, s8
	s_delay_alu instid0(VALU_DEP_3) | instskip(NEXT) | instid1(VALU_DEP_2)
	v_cndmask_b32_e64 v86, v86, v93, s9
	v_cndmask_b32_e64 v84, v84, v89, s11
	s_delay_alu instid0(VALU_DEP_2) | instskip(NEXT) | instid1(VALU_DEP_1)
	v_cndmask_b32_e64 v86, v86, v100, s10
	v_cndmask_b32_e64 v69, v86, v94, s12
	;; [unrolled: 1-line block ×5, first 2 shown]
	s_delay_alu instid0(VALU_DEP_3) | instskip(NEXT) | instid1(VALU_DEP_3)
	v_cndmask_b32_e64 v86, v86, v88, s17
	v_cndmask_b32_e64 v87, v87, v88, s23
	s_delay_alu instid0(VALU_DEP_3) | instskip(NEXT) | instid1(VALU_DEP_3)
	v_cndmask_b32_e64 v88, v95, v92, s23
	v_cndmask_b32_e64 v86, v86, v96, s19
	;; [unrolled: 3-line block ×7, first 2 shown]
	s_delay_alu instid0(VALU_DEP_3) | instskip(SKIP_2) | instid1(VALU_DEP_2)
	v_cndmask_b32_e64 v88, v88, v94, s29
	v_cndmask_b32_e32 v66, v66, v97, vcc_lo
	v_cndmask_b32_e64 v97, v72, v99, s10
	v_perm_b32 v72, v70, v66, 0x5040100
	v_perm_b32 v70, v83, v103, 0x5040100
	v_cndmask_b32_e64 v103, v91, v85, s5
	v_cndmask_b32_e64 v85, v91, v85, s3
	;; [unrolled: 1-line block ×4, first 2 shown]
	v_lshrrev_b32_e32 v97, 16, v90
	v_cndmask_b32_e64 v91, v103, v92, s17
	v_cndmask_b32_e64 v85, v85, v92, s6
	;; [unrolled: 1-line block ×3, first 2 shown]
	s_mov_b32 s3, exec_lo
	v_cndmask_b32_e64 v83, v84, v97, s15
	v_cndmask_b32_e64 v91, v91, v98, s19
	;; [unrolled: 1-line block ×3, first 2 shown]
	v_lshrrev_b32_e32 v84, 16, v94
	v_cndmask_b32_e64 v66, v66, v97, s18
	v_cndmask_b32_e64 v90, v86, v97, s27
	;; [unrolled: 1-line block ×4, first 2 shown]
	v_dual_cndmask_b32 v86, v87, v97 :: v_dual_cndmask_b32 v87, v88, v84
	v_cndmask_b32_e64 v91, v69, v84, s15
	s_delay_alu instid0(VALU_DEP_4) | instskip(NEXT) | instid1(VALU_DEP_4)
	v_cndmask_b32_e64 v89, v89, v100, s22
	v_cndmask_b32_e64 v85, v85, v100, s13
	v_perm_b32 v69, v102, v101, 0x5040100
	v_perm_b32 v86, v87, v86, 0x5040100
	;; [unrolled: 1-line block ×3, first 2 shown]
	v_cndmask_b32_e64 v89, v89, v94, s24
	v_cndmask_b32_e64 v85, v85, v94, s16
	s_mul_i32 s8, s35, 5
	s_delay_alu instid0(VALU_DEP_2) | instskip(NEXT) | instid1(VALU_DEP_2)
	v_cndmask_b32_e64 v88, v89, v84, s27
	v_cndmask_b32_e64 v89, v85, v84, s18
	s_delay_alu instid0(VALU_DEP_2) | instskip(NEXT) | instid1(VALU_DEP_2)
	v_perm_b32 v85, v88, v90, 0x5040100
	v_perm_b32 v84, v89, v66, 0x5040100
	ds_store_b128 v76, v[69:72]
	ds_store_b128 v76, v[83:86] offset:1024
	v_cmpx_gt_u32_e32 5, v0
	s_cbranch_execz .LBB1842_78
; %bb.77:
	s_mul_i32 s4, s8, s30
	s_delay_alu instid0(SALU_CYCLE_1) | instskip(SKIP_1) | instid1(VALU_DEP_1)
	v_add3_u32 v69, s4, s31, v65
	s_load_b128 s[4:7], s[0:1], 0x58
	v_mad_u64_u32 v[65:66], null, v69, s34, s[14:15]
	s_delay_alu instid0(VALU_DEP_1) | instskip(NEXT) | instid1(VALU_DEP_1)
	v_ashrrev_i32_e32 v66, 31, v65
	v_lshlrev_b64 v[65:66], 2, v[65:66]
	s_waitcnt lgkmcnt(0)
	s_delay_alu instid0(VALU_DEP_1) | instskip(NEXT) | instid1(VALU_DEP_2)
	v_add_co_u32 v69, vcc_lo, s6, v65
	v_add_co_ci_u32_e32 v70, vcc_lo, s7, v66, vcc_lo
	v_add_co_u32 v65, vcc_lo, s4, v65
	v_add_co_ci_u32_e32 v66, vcc_lo, s5, v66, vcc_lo
	global_store_b32 v[69:70], v67, off
	global_store_b32 v[65:66], v68, off
.LBB1842_78:
	s_or_b32 exec_lo, exec_lo, s3
	s_waitcnt lgkmcnt(0)
	s_waitcnt_vscnt null, 0x0
	s_barrier
	buffer_gl0_inv
	ds_load_b128 v[83:86], v80
	ds_load_b128 v[87:90], v80 offset:16
	ds_load_b128 v[95:98], v80 offset:2064
	;; [unrolled: 1-line block ×3, first 2 shown]
	v_mov_b32_e32 v65, 0
	ds_load_b128 v[103:106], v80 offset:4112
	ds_load_b128 v[99:102], v80 offset:4096
	;; [unrolled: 1-line block ×4, first 2 shown]
	v_mov_b32_e32 v66, v65
	v_mov_b32_e32 v67, v65
	;; [unrolled: 1-line block ×7, first 2 shown]
	s_waitcnt lgkmcnt(6)
	s_delay_alu instid0(VALU_DEP_1)
	v_wmma_f32_16x16x16_bf16 v[65:72], v[41:48], v[83:90], v[65:72]
	ds_load_b128 v[45:48], v80 offset:8208
	ds_load_b128 v[41:44], v80 offset:8192
	s_waitcnt lgkmcnt(6)
	v_wmma_f32_16x16x16_bf16 v[65:72], v[33:40], v[91:98], v[65:72]
	ds_load_b128 v[37:40], v80 offset:10256
	ds_load_b128 v[33:36], v80 offset:10240
	s_waitcnt lgkmcnt(6)
	;; [unrolled: 4-line block ×4, first 2 shown]
	v_wmma_f32_16x16x16_bf16 v[65:72], v[1:8], v[41:48], v[65:72]
	s_waitcnt lgkmcnt(4)
	s_delay_alu instid0(VALU_DEP_1) | instskip(SKIP_1) | instid1(VALU_DEP_1)
	v_wmma_f32_16x16x16_bf16 v[65:72], v[9:16], v[33:40], v[65:72]
	s_waitcnt lgkmcnt(2)
	v_wmma_f32_16x16x16_bf16 v[65:72], v[57:64], v[25:32], v[65:72]
	s_waitcnt lgkmcnt(0)
	s_delay_alu instid0(VALU_DEP_1) | instskip(NEXT) | instid1(VALU_DEP_1)
	v_wmma_f32_16x16x16_bf16 v[65:72], v[49:56], v[17:24], v[65:72]
	v_and_b32_e32 v1, 0x7f800000, v65
	s_delay_alu instid0(VALU_DEP_1) | instskip(SKIP_1) | instid1(SALU_CYCLE_1)
	v_cmp_ne_u32_e32 vcc_lo, 0x7f800000, v1
                                        ; implicit-def: $vgpr1
	s_and_saveexec_b32 s3, vcc_lo
	s_xor_b32 s3, exec_lo, s3
; %bb.79:
	v_bfe_u32 v1, v65, 16, 1
	s_delay_alu instid0(VALU_DEP_1)
	v_add3_u32 v1, v65, v1, 0x7fff
; %bb.80:
	s_and_not1_saveexec_b32 s3, s3
; %bb.81:
	v_and_b32_e32 v1, 0xffff, v65
	v_or_b32_e32 v2, 0x10000, v65
	s_delay_alu instid0(VALU_DEP_2) | instskip(NEXT) | instid1(VALU_DEP_2)
	v_cmp_eq_u32_e32 vcc_lo, 0, v1
	v_cndmask_b32_e32 v1, v2, v65, vcc_lo
; %bb.82:
	s_or_b32 exec_lo, exec_lo, s3
	v_and_b32_e32 v2, 0x7f800000, v66
	s_delay_alu instid0(VALU_DEP_1) | instskip(SKIP_1) | instid1(SALU_CYCLE_1)
	v_cmp_ne_u32_e32 vcc_lo, 0x7f800000, v2
                                        ; implicit-def: $vgpr2
	s_and_saveexec_b32 s3, vcc_lo
	s_xor_b32 s3, exec_lo, s3
; %bb.83:
	v_bfe_u32 v2, v66, 16, 1
	s_delay_alu instid0(VALU_DEP_1)
	v_add3_u32 v2, v66, v2, 0x7fff
; %bb.84:
	s_and_not1_saveexec_b32 s3, s3
; %bb.85:
	v_and_b32_e32 v2, 0xffff, v66
	v_or_b32_e32 v3, 0x10000, v66
	s_delay_alu instid0(VALU_DEP_2) | instskip(NEXT) | instid1(VALU_DEP_2)
	v_cmp_eq_u32_e32 vcc_lo, 0, v2
	v_cndmask_b32_e32 v2, v3, v66, vcc_lo
; %bb.86:
	s_or_b32 exec_lo, exec_lo, s3
	v_and_b32_e32 v3, 0x7f800000, v67
	s_delay_alu instid0(VALU_DEP_1) | instskip(SKIP_1) | instid1(SALU_CYCLE_1)
	v_cmp_ne_u32_e32 vcc_lo, 0x7f800000, v3
                                        ; implicit-def: $vgpr3
	s_and_saveexec_b32 s3, vcc_lo
	s_xor_b32 s3, exec_lo, s3
; %bb.87:
	v_bfe_u32 v3, v67, 16, 1
	s_delay_alu instid0(VALU_DEP_1)
	v_add3_u32 v3, v67, v3, 0x7fff
; %bb.88:
	s_and_not1_saveexec_b32 s3, s3
; %bb.89:
	v_and_b32_e32 v3, 0xffff, v67
	v_or_b32_e32 v4, 0x10000, v67
	s_delay_alu instid0(VALU_DEP_2) | instskip(NEXT) | instid1(VALU_DEP_2)
	v_cmp_eq_u32_e32 vcc_lo, 0, v3
	v_cndmask_b32_e32 v3, v4, v67, vcc_lo
; %bb.90:
	s_or_b32 exec_lo, exec_lo, s3
	v_and_b32_e32 v4, 0x7f800000, v68
	s_delay_alu instid0(VALU_DEP_1) | instskip(SKIP_1) | instid1(SALU_CYCLE_1)
	v_cmp_ne_u32_e32 vcc_lo, 0x7f800000, v4
                                        ; implicit-def: $vgpr4
	s_and_saveexec_b32 s3, vcc_lo
	s_xor_b32 s3, exec_lo, s3
; %bb.91:
	v_bfe_u32 v4, v68, 16, 1
	s_delay_alu instid0(VALU_DEP_1)
	v_add3_u32 v4, v68, v4, 0x7fff
; %bb.92:
	s_and_not1_saveexec_b32 s3, s3
; %bb.93:
	v_and_b32_e32 v4, 0xffff, v68
	v_or_b32_e32 v5, 0x10000, v68
	s_delay_alu instid0(VALU_DEP_2) | instskip(NEXT) | instid1(VALU_DEP_2)
	v_cmp_eq_u32_e32 vcc_lo, 0, v4
	v_cndmask_b32_e32 v4, v5, v68, vcc_lo
; %bb.94:
	s_or_b32 exec_lo, exec_lo, s3
	v_and_b32_e32 v5, 0x7f800000, v69
	s_delay_alu instid0(VALU_DEP_1) | instskip(SKIP_1) | instid1(SALU_CYCLE_1)
	v_cmp_ne_u32_e32 vcc_lo, 0x7f800000, v5
                                        ; implicit-def: $vgpr5
	s_and_saveexec_b32 s3, vcc_lo
	s_xor_b32 s3, exec_lo, s3
; %bb.95:
	v_bfe_u32 v5, v69, 16, 1
	s_delay_alu instid0(VALU_DEP_1)
	v_add3_u32 v5, v69, v5, 0x7fff
; %bb.96:
	s_and_not1_saveexec_b32 s3, s3
; %bb.97:
	v_and_b32_e32 v5, 0xffff, v69
	v_or_b32_e32 v6, 0x10000, v69
	s_delay_alu instid0(VALU_DEP_2) | instskip(NEXT) | instid1(VALU_DEP_2)
	v_cmp_eq_u32_e32 vcc_lo, 0, v5
	v_cndmask_b32_e32 v5, v6, v69, vcc_lo
; %bb.98:
	s_or_b32 exec_lo, exec_lo, s3
	v_and_b32_e32 v6, 0x7f800000, v70
	s_delay_alu instid0(VALU_DEP_1) | instskip(SKIP_1) | instid1(SALU_CYCLE_1)
	v_cmp_ne_u32_e32 vcc_lo, 0x7f800000, v6
                                        ; implicit-def: $vgpr6
	s_and_saveexec_b32 s3, vcc_lo
	s_xor_b32 s3, exec_lo, s3
; %bb.99:
	v_bfe_u32 v6, v70, 16, 1
	s_delay_alu instid0(VALU_DEP_1)
	v_add3_u32 v6, v70, v6, 0x7fff
; %bb.100:
	s_and_not1_saveexec_b32 s3, s3
; %bb.101:
	v_and_b32_e32 v6, 0xffff, v70
	v_or_b32_e32 v7, 0x10000, v70
	s_delay_alu instid0(VALU_DEP_2) | instskip(NEXT) | instid1(VALU_DEP_2)
	v_cmp_eq_u32_e32 vcc_lo, 0, v6
	v_cndmask_b32_e32 v6, v7, v70, vcc_lo
; %bb.102:
	s_or_b32 exec_lo, exec_lo, s3
	v_and_b32_e32 v7, 0x7f800000, v71
	s_delay_alu instid0(VALU_DEP_1) | instskip(SKIP_1) | instid1(SALU_CYCLE_1)
	v_cmp_ne_u32_e32 vcc_lo, 0x7f800000, v7
                                        ; implicit-def: $vgpr7
	s_and_saveexec_b32 s3, vcc_lo
	s_xor_b32 s3, exec_lo, s3
; %bb.103:
	v_bfe_u32 v7, v71, 16, 1
	s_delay_alu instid0(VALU_DEP_1)
	v_add3_u32 v7, v71, v7, 0x7fff
; %bb.104:
	s_and_not1_saveexec_b32 s3, s3
; %bb.105:
	v_and_b32_e32 v7, 0xffff, v71
	v_or_b32_e32 v8, 0x10000, v71
	s_delay_alu instid0(VALU_DEP_2) | instskip(NEXT) | instid1(VALU_DEP_2)
	v_cmp_eq_u32_e32 vcc_lo, 0, v7
	v_cndmask_b32_e32 v7, v8, v71, vcc_lo
; %bb.106:
	s_or_b32 exec_lo, exec_lo, s3
	v_and_b32_e32 v8, 0x7f800000, v72
	s_delay_alu instid0(VALU_DEP_1) | instskip(SKIP_1) | instid1(SALU_CYCLE_1)
	v_cmp_ne_u32_e32 vcc_lo, 0x7f800000, v8
                                        ; implicit-def: $vgpr8
	s_and_saveexec_b32 s3, vcc_lo
	s_xor_b32 s3, exec_lo, s3
; %bb.107:
	v_bfe_u32 v8, v72, 16, 1
	s_delay_alu instid0(VALU_DEP_1)
	v_add3_u32 v8, v72, v8, 0x7fff
                                        ; implicit-def: $vgpr65_vgpr66_vgpr67_vgpr68_vgpr69_vgpr70_vgpr71_vgpr72
; %bb.108:
	s_and_not1_saveexec_b32 s3, s3
; %bb.109:
	v_and_b32_e32 v8, 0xffff, v72
	v_or_b32_e32 v9, 0x10000, v72
	s_delay_alu instid0(VALU_DEP_2) | instskip(NEXT) | instid1(VALU_DEP_2)
	v_cmp_eq_u32_e32 vcc_lo, 0, v8
	v_cndmask_b32_e32 v8, v9, v72, vcc_lo
; %bb.110:
	s_or_b32 exec_lo, exec_lo, s3
	s_delay_alu instid0(VALU_DEP_1)
	v_perm_b32 v7, v8, v7, 0x7060302
	v_perm_b32 v6, v6, v5, 0x7060302
	;; [unrolled: 1-line block ×4, first 2 shown]
	s_barrier
	buffer_gl0_inv
	v_cmp_eq_u32_e32 vcc_lo, 1, v78
	ds_store_b128 v76, v[4:7]
	s_waitcnt lgkmcnt(0)
	s_barrier
	buffer_gl0_inv
	ds_load_b128 v[1:4], v82
	ds_load_b128 v[5:8], v82 offset:16
	v_cmp_eq_u32_e64 s3, 1, v79
	v_cmp_eq_u32_e64 s4, 2, v78
	;; [unrolled: 1-line block ×5, first 2 shown]
	s_waitcnt lgkmcnt(1)
	v_lshrrev_b32_e32 v9, 16, v1
	s_waitcnt lgkmcnt(0)
	v_lshrrev_b32_e32 v13, 16, v5
	v_lshrrev_b32_e32 v10, 16, v2
	v_lshrrev_b32_e32 v14, 16, v6
	v_lshrrev_b32_e32 v11, 16, v3
	v_cndmask_b32_e64 v19, v1, v9, s3
	v_cndmask_b32_e32 v18, v5, v13, vcc_lo
	v_cndmask_b32_e64 v20, v5, v13, s3
	v_cndmask_b32_e32 v17, v1, v9, vcc_lo
	v_cmp_eq_u32_e32 vcc_lo, 2, v79
	v_lshrrev_b32_e32 v15, 16, v7
	v_cmp_eq_u32_e64 s3, 1, v77
	v_lshrrev_b32_e32 v12, 16, v4
	v_lshrrev_b32_e32 v16, 16, v8
	v_cndmask_b32_e32 v20, v20, v6, vcc_lo
	v_cndmask_b32_e64 v17, v17, v2, s4
	v_cndmask_b32_e32 v19, v19, v2, vcc_lo
	v_cndmask_b32_e64 v18, v18, v6, s4
	v_cmp_eq_u32_e32 vcc_lo, 4, v78
	v_cmp_eq_u32_e64 s4, 3, v79
	v_cndmask_b32_e64 v17, v17, v10, s5
	v_cndmask_b32_e64 v21, v1, v9, s3
	;; [unrolled: 1-line block ×5, first 2 shown]
	v_cndmask_b32_e32 v17, v17, v3, vcc_lo
	v_cndmask_b32_e64 v20, v20, v14, s4
	v_cndmask_b32_e32 v18, v18, v7, vcc_lo
	v_cmp_eq_u32_e32 vcc_lo, 4, v79
	v_cmp_eq_u32_e64 s4, 5, v79
	v_cmp_eq_u32_e64 s3, 2, v81
	v_cndmask_b32_e64 v21, v21, v2, s7
	v_cmp_eq_u32_e64 s5, 5, v78
	v_cndmask_b32_e32 v19, v19, v3, vcc_lo
	v_cndmask_b32_e32 v20, v20, v7, vcc_lo
	v_cmp_eq_u32_e32 vcc_lo, 6, v79
	s_delay_alu instid0(VALU_DEP_4) | instskip(NEXT) | instid1(VALU_DEP_4)
	v_cndmask_b32_e64 v17, v17, v11, s5
	v_cndmask_b32_e64 v19, v19, v11, s4
	s_delay_alu instid0(VALU_DEP_4) | instskip(SKIP_1) | instid1(VALU_DEP_3)
	v_cndmask_b32_e64 v20, v20, v15, s4
	v_cmp_eq_u32_e64 s4, 1, v81
	v_cndmask_b32_e32 v19, v19, v4, vcc_lo
	v_cndmask_b32_e64 v18, v18, v15, s5
	s_delay_alu instid0(VALU_DEP_3)
	v_cndmask_b32_e64 v1, v1, v9, s4
	v_cndmask_b32_e64 v5, v5, v13, s4
	v_cmp_eq_u32_e64 s4, 3, v77
	v_cndmask_b32_e64 v13, v22, v6, s7
	v_cmp_eq_u32_e64 s7, 3, v81
	v_cndmask_b32_e64 v1, v1, v2, s3
	v_cndmask_b32_e64 v2, v5, v6, s3
	;; [unrolled: 1-line block ×3, first 2 shown]
	v_cmp_eq_u32_e64 s3, 4, v77
	v_cndmask_b32_e64 v6, v13, v14, s4
	v_cndmask_b32_e64 v1, v1, v10, s7
	v_cmp_eq_u32_e64 s4, 4, v81
	v_cndmask_b32_e64 v2, v2, v14, s7
	v_cndmask_b32_e64 v5, v9, v3, s3
	;; [unrolled: 3-line block ×3, first 2 shown]
	v_cndmask_b32_e64 v2, v2, v7, s4
	v_cmp_eq_u32_e64 s3, 5, v81
	v_cmp_eq_u32_e64 s5, 6, v78
	v_cndmask_b32_e64 v5, v5, v11, s7
	v_cmp_eq_u32_e64 s4, 6, v77
	v_cndmask_b32_e64 v3, v6, v15, s7
	v_cndmask_b32_e64 v1, v1, v11, s3
	v_cmp_eq_u32_e64 s7, 6, v81
	v_cndmask_b32_e64 v2, v2, v15, s3
	v_cndmask_b32_e64 v17, v17, v4, s5
	v_cndmask_b32_e64 v18, v18, v8, s5
	v_cmp_eq_u32_e64 s5, 7, v78
	v_cndmask_b32_e64 v5, v5, v4, s4
	;; [unrolled: 4-line block ×3, first 2 shown]
	v_cmp_eq_u32_e64 s4, 7, v77
	v_cndmask_b32_e32 v4, v20, v8, vcc_lo
	v_cndmask_b32_e64 v17, v17, v12, s5
	v_cndmask_b32_e64 v19, v19, v12, s6
	;; [unrolled: 1-line block ×8, first 2 shown]
	s_mov_b32 s3, exec_lo
	v_perm_b32 v4, v2, v1, 0x5040100
	v_perm_b32 v3, v3, v5, 0x5040100
	;; [unrolled: 1-line block ×4, first 2 shown]
	ds_store_b128 v76, v[1:4]
	s_waitcnt lgkmcnt(0)
	s_barrier
	buffer_gl0_inv
	v_cmpx_gt_u32_e32 32, v0
	s_cbranch_execz .LBB1842_2
; %bb.111:
	s_load_b64 s[4:5], s[0:1], 0x68
	v_lshlrev_b32_e32 v0, 10, v0
	v_add_nc_u32_e32 v2, s31, v74
	v_lshlrev_b32_e32 v3, 4, v75
	s_lshl_b32 s0, s34, 7
	s_delay_alu instid0(SALU_CYCLE_1) | instskip(NEXT) | instid1(VALU_DEP_2)
	s_mul_i32 s1, s0, s30
	v_mul_lo_u32 v1, v2, s0
	s_delay_alu instid0(VALU_DEP_2) | instskip(SKIP_2) | instid1(SALU_CYCLE_1)
	v_and_or_b32 v0, 0x3800, v0, v3
	v_add_nc_u32_e32 v2, 2, v2
	s_mul_i32 s6, s1, s8
	s_ashr_i32 s7, s6, 31
	s_delay_alu instid0(VALU_DEP_2)
	v_lshl_or_b32 v7, v74, 6, v0
	s_lshl_b64 s[6:7], s[6:7], 1
	v_mul_lo_u32 v11, v2, s0
	v_ashrrev_i32_e32 v2, 31, v1
	ds_load_b128 v[3:6], v7
	ds_load_b128 v[7:10], v7 offset:128
	s_waitcnt lgkmcnt(0)
	s_add_u32 s1, s4, s6
	s_addc_u32 s3, s5, s7
	s_lshl_b32 s4, s14, 7
	v_ashrrev_i32_e32 v12, 31, v11
	s_ashr_i32 s5, s4, 31
	v_lshlrev_b64 v[13:14], 1, v[1:2]
	s_lshl_b64 s[4:5], s[4:5], 1
	s_delay_alu instid0(SALU_CYCLE_1) | instskip(SKIP_2) | instid1(VALU_DEP_1)
	s_add_u32 s1, s1, s4
	s_addc_u32 s3, s3, s5
	v_add_co_u32 v1, s1, s1, v73
	v_add_co_ci_u32_e64 v2, null, s3, 0, s1
	v_lshlrev_b64 v[11:12], 1, v[11:12]
	s_delay_alu instid0(VALU_DEP_3) | instskip(NEXT) | instid1(VALU_DEP_3)
	v_add_co_u32 v13, vcc_lo, v1, v13
	v_add_co_ci_u32_e32 v14, vcc_lo, v2, v14, vcc_lo
	s_delay_alu instid0(VALU_DEP_3) | instskip(NEXT) | instid1(VALU_DEP_4)
	v_add_co_u32 v11, vcc_lo, v1, v11
	v_add_co_ci_u32_e32 v12, vcc_lo, v2, v12, vcc_lo
	s_clause 0x1
	global_store_b128 v[13:14], v[3:6], off
	global_store_b128 v[11:12], v[7:10], off
	s_and_b32 exec_lo, exec_lo, s2
	s_cbranch_execz .LBB1842_2
; %bb.112:
	ds_load_b128 v[3:6], v0 offset:256
	s_add_i32 s1, s31, 4
	s_delay_alu instid0(SALU_CYCLE_1) | instskip(NEXT) | instid1(SALU_CYCLE_1)
	s_mul_i32 s0, s1, s0
	s_ashr_i32 s1, s0, 31
	s_delay_alu instid0(SALU_CYCLE_1) | instskip(NEXT) | instid1(SALU_CYCLE_1)
	s_lshl_b64 s[0:1], s[0:1], 1
	v_add_co_u32 v0, vcc_lo, v1, s0
	v_add_co_ci_u32_e32 v1, vcc_lo, s1, v2, vcc_lo
	s_waitcnt lgkmcnt(0)
	global_store_b128 v[0:1], v[3:6], off
	s_nop 0
	s_sendmsg sendmsg(MSG_DEALLOC_VGPRS)
	s_endpgm
	.section	.rodata,"a",@progbits
	.p2align	6, 0x0
	.amdhsa_kernel _Z39paged_attention_ll4mi_QKV_mfma16_kernelI14__hip_bfloat16hLN4vllm18Fp8KVCacheDataTypeE1ES0_Li16ELi128ELi256ELb0ELi5EL8MFMAType0EEvPKT_PKT0_S9_ifPKiSB_SB_iPKfiiiPfSE_PS4_PT2_iSD_SD_
		.amdhsa_group_segment_fixed_size 17472
		.amdhsa_private_segment_fixed_size 0
		.amdhsa_kernarg_size 400
		.amdhsa_user_sgpr_count 13
		.amdhsa_user_sgpr_dispatch_ptr 0
		.amdhsa_user_sgpr_queue_ptr 0
		.amdhsa_user_sgpr_kernarg_segment_ptr 1
		.amdhsa_user_sgpr_dispatch_id 0
		.amdhsa_user_sgpr_private_segment_size 0
		.amdhsa_wavefront_size32 1
		.amdhsa_uses_dynamic_stack 0
		.amdhsa_enable_private_segment 0
		.amdhsa_system_sgpr_workgroup_id_x 1
		.amdhsa_system_sgpr_workgroup_id_y 1
		.amdhsa_system_sgpr_workgroup_id_z 1
		.amdhsa_system_sgpr_workgroup_info 0
		.amdhsa_system_vgpr_workitem_id 0
		.amdhsa_next_free_vgpr 140
		.amdhsa_next_free_sgpr 36
		.amdhsa_reserve_vcc 1
		.amdhsa_float_round_mode_32 0
		.amdhsa_float_round_mode_16_64 0
		.amdhsa_float_denorm_mode_32 3
		.amdhsa_float_denorm_mode_16_64 3
		.amdhsa_dx10_clamp 1
		.amdhsa_ieee_mode 1
		.amdhsa_fp16_overflow 0
		.amdhsa_workgroup_processor_mode 1
		.amdhsa_memory_ordered 1
		.amdhsa_forward_progress 0
		.amdhsa_shared_vgpr_count 0
		.amdhsa_exception_fp_ieee_invalid_op 0
		.amdhsa_exception_fp_denorm_src 0
		.amdhsa_exception_fp_ieee_div_zero 0
		.amdhsa_exception_fp_ieee_overflow 0
		.amdhsa_exception_fp_ieee_underflow 0
		.amdhsa_exception_fp_ieee_inexact 0
		.amdhsa_exception_int_div_zero 0
	.end_amdhsa_kernel
	.section	.text._Z39paged_attention_ll4mi_QKV_mfma16_kernelI14__hip_bfloat16hLN4vllm18Fp8KVCacheDataTypeE1ES0_Li16ELi128ELi256ELb0ELi5EL8MFMAType0EEvPKT_PKT0_S9_ifPKiSB_SB_iPKfiiiPfSE_PS4_PT2_iSD_SD_,"axG",@progbits,_Z39paged_attention_ll4mi_QKV_mfma16_kernelI14__hip_bfloat16hLN4vllm18Fp8KVCacheDataTypeE1ES0_Li16ELi128ELi256ELb0ELi5EL8MFMAType0EEvPKT_PKT0_S9_ifPKiSB_SB_iPKfiiiPfSE_PS4_PT2_iSD_SD_,comdat
.Lfunc_end1842:
	.size	_Z39paged_attention_ll4mi_QKV_mfma16_kernelI14__hip_bfloat16hLN4vllm18Fp8KVCacheDataTypeE1ES0_Li16ELi128ELi256ELb0ELi5EL8MFMAType0EEvPKT_PKT0_S9_ifPKiSB_SB_iPKfiiiPfSE_PS4_PT2_iSD_SD_, .Lfunc_end1842-_Z39paged_attention_ll4mi_QKV_mfma16_kernelI14__hip_bfloat16hLN4vllm18Fp8KVCacheDataTypeE1ES0_Li16ELi128ELi256ELb0ELi5EL8MFMAType0EEvPKT_PKT0_S9_ifPKiSB_SB_iPKfiiiPfSE_PS4_PT2_iSD_SD_
                                        ; -- End function
	.section	.AMDGPU.csdata,"",@progbits
; Kernel info:
; codeLenInByte = 8904
; NumSgprs: 38
; NumVgprs: 140
; ScratchSize: 0
; MemoryBound: 0
; FloatMode: 240
; IeeeMode: 1
; LDSByteSize: 17472 bytes/workgroup (compile time only)
; SGPRBlocks: 4
; VGPRBlocks: 17
; NumSGPRsForWavesPerEU: 38
; NumVGPRsForWavesPerEU: 140
; Occupancy: 10
; WaveLimiterHint : 1
; COMPUTE_PGM_RSRC2:SCRATCH_EN: 0
; COMPUTE_PGM_RSRC2:USER_SGPR: 13
; COMPUTE_PGM_RSRC2:TRAP_HANDLER: 0
; COMPUTE_PGM_RSRC2:TGID_X_EN: 1
; COMPUTE_PGM_RSRC2:TGID_Y_EN: 1
; COMPUTE_PGM_RSRC2:TGID_Z_EN: 1
; COMPUTE_PGM_RSRC2:TIDIG_COMP_CNT: 0
	.section	.text._Z39paged_attention_ll4mi_QKV_mfma16_kernelI14__hip_bfloat16hLN4vllm18Fp8KVCacheDataTypeE1ES0_Li16ELi128ELi256ELb0ELi6EL8MFMAType0EEvPKT_PKT0_S9_ifPKiSB_SB_iPKfiiiPfSE_PS4_PT2_iSD_SD_,"axG",@progbits,_Z39paged_attention_ll4mi_QKV_mfma16_kernelI14__hip_bfloat16hLN4vllm18Fp8KVCacheDataTypeE1ES0_Li16ELi128ELi256ELb0ELi6EL8MFMAType0EEvPKT_PKT0_S9_ifPKiSB_SB_iPKfiiiPfSE_PS4_PT2_iSD_SD_,comdat
	.protected	_Z39paged_attention_ll4mi_QKV_mfma16_kernelI14__hip_bfloat16hLN4vllm18Fp8KVCacheDataTypeE1ES0_Li16ELi128ELi256ELb0ELi6EL8MFMAType0EEvPKT_PKT0_S9_ifPKiSB_SB_iPKfiiiPfSE_PS4_PT2_iSD_SD_ ; -- Begin function _Z39paged_attention_ll4mi_QKV_mfma16_kernelI14__hip_bfloat16hLN4vllm18Fp8KVCacheDataTypeE1ES0_Li16ELi128ELi256ELb0ELi6EL8MFMAType0EEvPKT_PKT0_S9_ifPKiSB_SB_iPKfiiiPfSE_PS4_PT2_iSD_SD_
	.globl	_Z39paged_attention_ll4mi_QKV_mfma16_kernelI14__hip_bfloat16hLN4vllm18Fp8KVCacheDataTypeE1ES0_Li16ELi128ELi256ELb0ELi6EL8MFMAType0EEvPKT_PKT0_S9_ifPKiSB_SB_iPKfiiiPfSE_PS4_PT2_iSD_SD_
	.p2align	8
	.type	_Z39paged_attention_ll4mi_QKV_mfma16_kernelI14__hip_bfloat16hLN4vllm18Fp8KVCacheDataTypeE1ES0_Li16ELi128ELi256ELb0ELi6EL8MFMAType0EEvPKT_PKT0_S9_ifPKiSB_SB_iPKfiiiPfSE_PS4_PT2_iSD_SD_,@function
_Z39paged_attention_ll4mi_QKV_mfma16_kernelI14__hip_bfloat16hLN4vllm18Fp8KVCacheDataTypeE1ES0_Li16ELi128ELi256ELb0ELi6EL8MFMAType0EEvPKT_PKT0_S9_ifPKiSB_SB_iPKfiiiPfSE_PS4_PT2_iSD_SD_: ; @_Z39paged_attention_ll4mi_QKV_mfma16_kernelI14__hip_bfloat16hLN4vllm18Fp8KVCacheDataTypeE1ES0_Li16ELi128ELi256ELb0ELi6EL8MFMAType0EEvPKT_PKT0_S9_ifPKiSB_SB_iPKfiiiPfSE_PS4_PT2_iSD_SD_
; %bb.0:
	s_load_b64 s[4:5], s[0:1], 0x30
	s_mov_b32 s30, s13
	s_waitcnt lgkmcnt(0)
	s_cmp_lg_u64 s[4:5], 0
	s_cselect_b32 s13, -1, 0
	s_ashr_i32 s31, s30, 31
	s_cmp_eq_u64 s[4:5], 0
	s_cbranch_scc1 .LBB1843_3
; %bb.1:
	s_lshl_b64 s[2:3], s[30:31], 2
	s_delay_alu instid0(SALU_CYCLE_1) | instskip(SKIP_4) | instid1(SALU_CYCLE_1)
	s_add_u32 s2, s4, s2
	s_addc_u32 s3, s5, s3
	s_load_b64 s[2:3], s[2:3], 0x0
	s_waitcnt lgkmcnt(0)
	s_sub_i32 s2, s3, s2
	s_cmp_eq_u32 s2, 1
	s_cselect_b32 s2, -1, 0
	s_delay_alu instid0(SALU_CYCLE_1)
	s_and_not1_b32 vcc_lo, exec_lo, s2
	s_cbranch_vccz .LBB1843_4
.LBB1843_2:
	s_endpgm
.LBB1843_3:
.LBB1843_4:
	s_load_b64 s[2:3], s[0:1], 0x28
	s_lshl_b64 s[6:7], s[30:31], 2
	s_waitcnt lgkmcnt(0)
	s_add_u32 s2, s2, s6
	s_addc_u32 s3, s3, s7
	s_lshl_b32 s12, s14, 8
	s_load_b32 s17, s[2:3], 0x0
	s_waitcnt lgkmcnt(0)
	s_cmp_ge_i32 s12, s17
	s_cbranch_scc1 .LBB1843_2
; %bb.5:
	s_clause 0x1
	s_load_b128 s[8:11], s[0:1], 0x8
	s_load_b64 s[2:3], s[0:1], 0x20
	s_and_not1_b32 vcc_lo, exec_lo, s13
	s_cbranch_vccnz .LBB1843_7
; %bb.6:
	s_add_u32 s4, s4, s6
	s_addc_u32 s5, s5, s7
	s_load_b32 s13, s[4:5], 0x0
	s_branch .LBB1843_8
.LBB1843_7:
	s_mov_b32 s13, s30
.LBB1843_8:
	s_load_b128 s[4:7], s[0:1], 0x48
	v_and_b32_e32 v65, 15, v0
	v_lshrrev_b32_e32 v66, 5, v0
	v_and_b32_e32 v67, 31, v0
	v_and_b32_e32 v75, 1, v0
	v_bfe_u32 v74, v0, 4, 1
	v_lshlrev_b32_e32 v1, 3, v65
	s_mul_i32 s29, s15, 6
	s_waitcnt lgkmcnt(0)
	s_mov_b32 s7, exec_lo
	s_delay_alu instid0(VALU_DEP_1)
	v_lshlrev_b32_e32 v73, 1, v1
	v_cmpx_gt_u32_e32 0x60, v0
	s_cbranch_execz .LBB1843_10
; %bb.9:
	s_load_b64 s[18:19], s[0:1], 0x0
	v_lshl_or_b32 v5, v66, 1, v74
	s_mul_hi_i32 s21, s13, s4
	s_mul_i32 s20, s13, s4
	v_lshlrev_b32_e32 v6, 10, v65
	s_lshl_b64 s[20:21], s[20:21], 1
	v_add_lshl_u32 v1, v5, s29, 7
	v_lshlrev_b32_e32 v5, 6, v5
	v_lshlrev_b32_e32 v7, 10, v75
	v_and_b32_e32 v6, 0x3800, v6
	s_delay_alu instid0(VALU_DEP_4) | instskip(NEXT) | instid1(VALU_DEP_2)
	v_ashrrev_i32_e32 v2, 31, v1
	v_or3_b32 v5, v6, v7, v5
	s_delay_alu instid0(VALU_DEP_2) | instskip(SKIP_3) | instid1(VALU_DEP_1)
	v_lshlrev_b64 v[1:2], 1, v[1:2]
	s_waitcnt lgkmcnt(0)
	s_add_u32 s4, s18, s20
	s_addc_u32 s13, s19, s21
	v_add_co_u32 v1, vcc_lo, s4, v1
	s_delay_alu instid0(VALU_DEP_2) | instskip(NEXT) | instid1(VALU_DEP_2)
	v_add_co_ci_u32_e32 v2, vcc_lo, s13, v2, vcc_lo
	v_add_co_u32 v1, vcc_lo, v1, v73
	s_delay_alu instid0(VALU_DEP_2)
	v_add_co_ci_u32_e32 v2, vcc_lo, 0, v2, vcc_lo
	global_load_b128 v[1:4], v[1:2], off
	s_waitcnt vmcnt(0)
	ds_store_b128 v5, v[1:4]
.LBB1843_10:
	s_or_b32 exec_lo, exec_lo, s7
	v_and_b32_e32 v1, 0xef, v0
	s_add_i32 s4, s17, 15
	s_clause 0x1
	s_load_b32 s7, s[0:1], 0x38
	s_load_b32 s18, s[0:1], 0x1c
	s_ashr_i32 s13, s4, 31
	v_add_nc_u32_e32 v2, s12, v1
	s_lshr_b32 s13, s13, 28
	s_waitcnt lgkmcnt(0)
	s_add_i32 s4, s4, s13
	s_barrier
	v_ashrrev_i32_e32 v1, 31, v2
	s_ashr_i32 s4, s4, 4
	v_cmp_gt_i32_e32 vcc_lo, s17, v2
	s_add_i32 s4, s4, -1
	buffer_gl0_inv
	v_lshrrev_b32_e32 v3, 28, v1
	v_or_b32_e32 v1, 16, v2
	s_mul_i32 s15, s15, s6
	s_delay_alu instid0(VALU_DEP_2) | instskip(SKIP_1) | instid1(SALU_CYCLE_1)
	v_add_nc_u32_e32 v4, v2, v3
	s_mul_i32 s20, s30, s7
	s_ashr_i32 s21, s20, 31
	s_delay_alu instid0(VALU_DEP_1) | instskip(SKIP_2) | instid1(SALU_CYCLE_1)
	v_ashrrev_i32_e32 v4, 4, v4
	v_add_nc_u32_e32 v3, v1, v3
	s_lshl_b64 s[20:21], s[20:21], 2
	s_add_u32 s2, s2, s20
	s_delay_alu instid0(VALU_DEP_2) | instskip(NEXT) | instid1(VALU_DEP_2)
	v_cndmask_b32_e32 v2, s4, v4, vcc_lo
	v_ashrrev_i32_e32 v3, 4, v3
	v_cmp_gt_i32_e32 vcc_lo, s17, v1
	s_addc_u32 s3, s3, s21
	s_ashr_i32 s6, s15, 31
	s_add_u32 s7, s8, s15
	s_addc_u32 s13, s9, s6
	v_cndmask_b32_e32 v4, s4, v3, vcc_lo
	v_ashrrev_i32_e32 v3, 31, v2
	s_lshl_b32 s8, s14, 4
	s_delay_alu instid0(SALU_CYCLE_1) | instskip(NEXT) | instid1(VALU_DEP_2)
	s_ashr_i32 s9, s8, 31
	v_ashrrev_i32_e32 v5, 31, v4
	s_delay_alu instid0(VALU_DEP_2) | instskip(SKIP_1) | instid1(SALU_CYCLE_1)
	v_lshlrev_b64 v[1:2], 2, v[2:3]
	s_lshl_b64 s[8:9], s[8:9], 2
	s_add_u32 s8, s2, s8
	s_delay_alu instid0(VALU_DEP_2) | instskip(SKIP_1) | instid1(VALU_DEP_2)
	v_lshlrev_b64 v[3:4], 2, v[4:5]
	s_addc_u32 s9, s3, s9
	v_add_co_u32 v1, vcc_lo, s2, v1
	v_add_co_ci_u32_e32 v2, vcc_lo, s3, v2, vcc_lo
	s_delay_alu instid0(VALU_DEP_3) | instskip(NEXT) | instid1(VALU_DEP_4)
	v_add_co_u32 v3, vcc_lo, s2, v3
	v_add_co_ci_u32_e32 v4, vcc_lo, s3, v4, vcc_lo
	s_clause 0x1
	global_load_b32 v5, v[1:2], off
	global_load_b32 v3, v[3:4], off
	v_lshlrev_b32_e32 v1, 4, v0
	s_or_b32 s16, s12, 32
	s_delay_alu instid0(SALU_CYCLE_1) | instskip(SKIP_1) | instid1(VALU_DEP_1)
	s_ashr_i32 s19, s16, 4
	s_cmp_lt_i32 s16, s17
	v_and_b32_e32 v1, 0xf0, v1
	s_cselect_b32 s20, s19, s4
	s_delay_alu instid0(SALU_CYCLE_1) | instskip(NEXT) | instid1(SALU_CYCLE_1)
	s_ashr_i32 s21, s20, 31
	s_lshl_b64 s[20:21], s[20:21], 2
	s_delay_alu instid0(VALU_DEP_1)
	v_add_co_u32 v1, s7, s7, v1
	s_add_u32 s20, s2, s20
	s_addc_u32 s21, s3, s21
	s_or_b32 s16, s12, 64
	v_add_co_ci_u32_e64 v2, null, s13, 0, s7
	s_ashr_i32 s19, s16, 4
	s_cmp_lt_i32 s16, s17
	s_cselect_b32 s22, s19, s4
	s_delay_alu instid0(SALU_CYCLE_1) | instskip(NEXT) | instid1(SALU_CYCLE_1)
	s_ashr_i32 s23, s22, 31
	s_lshl_b64 s[22:23], s[22:23], 2
	s_delay_alu instid0(SALU_CYCLE_1) | instskip(SKIP_2) | instid1(SALU_CYCLE_1)
	s_add_u32 s22, s2, s22
	s_addc_u32 s23, s3, s23
	s_or_b32 s16, s12, 0x60
	s_ashr_i32 s19, s16, 4
	s_cmp_lt_i32 s16, s17
	s_cselect_b32 s24, s19, s4
	s_delay_alu instid0(SALU_CYCLE_1) | instskip(NEXT) | instid1(SALU_CYCLE_1)
	s_ashr_i32 s25, s24, 31
	s_lshl_b64 s[24:25], s[24:25], 2
	s_delay_alu instid0(SALU_CYCLE_1) | instskip(SKIP_2) | instid1(SALU_CYCLE_1)
	s_add_u32 s24, s2, s24
	s_addc_u32 s25, s3, s25
	s_or_b32 s16, s12, 0x80
	;; [unrolled: 10-line block ×3, first 2 shown]
	s_ashr_i32 s19, s16, 4
	s_cmp_lt_i32 s16, s17
	s_cselect_b32 s34, s19, s4
	s_delay_alu instid0(SALU_CYCLE_1) | instskip(NEXT) | instid1(SALU_CYCLE_1)
	s_ashr_i32 s35, s34, 31
	s_lshl_b64 s[34:35], s[34:35], 2
	s_delay_alu instid0(SALU_CYCLE_1)
	s_add_u32 s34, s2, s34
	s_addc_u32 s35, s3, s35
	s_clause 0x5
	s_load_b32 s7, s[8:9], 0x0
	s_load_b32 s13, s[20:21], 0x0
	;; [unrolled: 1-line block ×6, first 2 shown]
	s_or_b32 s8, s12, 0xc0
	s_mov_b32 s20, 0
	s_ashr_i32 s9, s8, 4
	s_cmp_lt_i32 s8, s17
	s_mov_b32 s27, s20
	s_cselect_b32 s8, s9, s4
	s_mov_b32 s21, s20
	s_ashr_i32 s9, s8, 31
	s_mov_b32 s22, s20
	s_lshl_b64 s[8:9], s[8:9], 2
	s_mov_b32 s23, s20
	s_mov_b32 s24, s20
	;; [unrolled: 1-line block ×4, first 2 shown]
	v_dual_mov_b32 v107, s27 :: v_dual_mov_b32 v104, s24
	s_add_u32 s8, s2, s8
	v_dual_mov_b32 v106, s26 :: v_dual_mov_b32 v105, s25
	v_dual_mov_b32 v101, s21 :: v_dual_mov_b32 v100, s20
	s_addc_u32 s9, s3, s9
	v_dual_mov_b32 v103, s23 :: v_dual_mov_b32 v102, s22
	s_or_b32 s20, s12, 0xe0
	s_delay_alu instid0(SALU_CYCLE_1) | instskip(SKIP_2) | instid1(SALU_CYCLE_1)
	s_ashr_i32 s21, s20, 4
	s_cmp_lt_i32 s20, s17
	s_cselect_b32 s20, s21, s4
	s_ashr_i32 s21, s20, 31
	s_delay_alu instid0(SALU_CYCLE_1) | instskip(NEXT) | instid1(SALU_CYCLE_1)
	s_lshl_b64 s[20:21], s[20:21], 2
	s_add_u32 s2, s2, s20
	s_addc_u32 s3, s3, s21
	s_waitcnt vmcnt(1)
	v_mad_i64_i32 v[25:26], null, v5, s5, v[1:2]
	s_waitcnt vmcnt(0)
	v_mad_i64_i32 v[27:28], null, v3, s5, v[1:2]
	s_clause 0xf
	global_load_b128 v[1:4], v[25:26], off
	global_load_b128 v[5:8], v[25:26], off offset:256
	global_load_b128 v[9:12], v[27:28], off
	global_load_b128 v[13:16], v[27:28], off offset:256
	global_load_b128 v[17:20], v[25:26], off offset:512
	global_load_b128 v[21:24], v[25:26], off offset:768
	global_load_b128 v[49:52], v[27:28], off offset:512
	global_load_b128 v[53:56], v[27:28], off offset:768
	global_load_b128 v[57:60], v[25:26], off offset:1024
	global_load_b128 v[61:64], v[25:26], off offset:1280
	global_load_b128 v[76:79], v[27:28], off offset:1024
	global_load_b128 v[80:83], v[27:28], off offset:1280
	global_load_b128 v[84:87], v[25:26], off offset:1536
	global_load_b128 v[88:91], v[25:26], off offset:1792
	global_load_b128 v[92:95], v[27:28], off offset:1536
	global_load_b128 v[96:99], v[27:28], off offset:1792
	v_mul_lo_u16 v25, v65, 43
	v_lshlrev_b32_e32 v26, 4, v65
	s_delay_alu instid0(VALU_DEP_2) | instskip(NEXT) | instid1(VALU_DEP_2)
	v_lshrrev_b16 v25, 8, v25
	v_lshl_or_b32 v33, v66, 8, v26
	s_delay_alu instid0(VALU_DEP_2) | instskip(NEXT) | instid1(VALU_DEP_1)
	v_mul_lo_u16 v25, v25, 6
	v_sub_nc_u16 v25, v65, v25
	s_delay_alu instid0(VALU_DEP_1) | instskip(NEXT) | instid1(VALU_DEP_1)
	v_and_b32_e32 v25, 0xff, v25
	v_lshlrev_b32_e32 v72, 6, v25
	ds_load_b128 v[25:28], v72
	ds_load_b128 v[29:32], v72 offset:1024
	ds_load_b128 v[108:111], v72 offset:2048
	;; [unrolled: 1-line block ×3, first 2 shown]
	s_load_b32 s4, s[8:9], 0x0
	ds_load_b128 v[116:119], v72 offset:4096
	ds_load_b128 v[120:123], v72 offset:5120
	s_load_b32 s2, s[2:3], 0x0
	s_add_u32 s8, s10, s15
	s_addc_u32 s6, s11, s6
	v_add_co_u32 v68, s8, s8, v33
	s_delay_alu instid0(VALU_DEP_1) | instskip(SKIP_1) | instid1(VALU_DEP_1)
	v_add_co_ci_u32_e64 v69, null, s6, 0, s8
	s_waitcnt lgkmcnt(0)
	v_mad_i64_i32 v[33:34], null, s7, s5, v[68:69]
	v_mad_i64_i32 v[70:71], null, s16, s5, v[68:69]
	;; [unrolled: 1-line block ×7, first 2 shown]
	s_clause 0x3
	global_load_b128 v[41:44], v[33:34], off
	global_load_b128 v[45:48], v[33:34], off offset:16
	global_load_b128 v[33:36], v[37:38], off
	global_load_b128 v[37:40], v[37:38], off offset:16
	s_waitcnt vmcnt(18)
	v_wmma_f32_16x16x16_bf16 v[124:131], v[1:8], v[25:32], v[100:107]
	s_waitcnt vmcnt(16)
	v_wmma_f32_16x16x16_bf16 v[100:107], v[9:16], v[25:32], v[100:107]
	s_clause 0x1
	global_load_b128 v[25:28], v[70:71], off
	global_load_b128 v[29:32], v[70:71], off offset:16
	s_waitcnt vmcnt(16)
	v_wmma_f32_16x16x16_bf16 v[124:131], v[17:24], v[108:115], v[124:131]
	s_clause 0x1
	global_load_b128 v[17:20], v[132:133], off
	global_load_b128 v[21:24], v[132:133], off offset:16
	s_waitcnt vmcnt(16)
	v_wmma_f32_16x16x16_bf16 v[100:107], v[49:56], v[108:115], v[100:107]
	v_mad_i64_i32 v[53:54], null, s2, s5, v[68:69]
	s_clause 0x3
	global_load_b128 v[1:4], v[134:135], off
	global_load_b128 v[5:8], v[134:135], off offset:16
	global_load_b128 v[9:12], v[136:137], off
	global_load_b128 v[13:16], v[136:137], off offset:16
	s_waitcnt vmcnt(18)
	v_wmma_f32_16x16x16_bf16 v[124:131], v[57:64], v[116:123], v[124:131]
	s_clause 0x3
	global_load_b128 v[57:60], v[138:139], off
	global_load_b128 v[61:64], v[138:139], off offset:16
	global_load_b128 v[49:52], v[53:54], off
	global_load_b128 v[53:56], v[53:54], off offset:16
	v_mbcnt_lo_u32_b32 v69, -1, 0
	s_waitcnt vmcnt(20)
	v_wmma_f32_16x16x16_bf16 v[100:107], v[76:83], v[116:123], v[100:107]
	s_delay_alu instid0(VALU_DEP_2) | instskip(NEXT) | instid1(VALU_DEP_1)
	v_xor_b32_e32 v70, 16, v69
	v_cmp_gt_i32_e32 vcc_lo, 32, v70
	v_cndmask_b32_e32 v69, v69, v70, vcc_lo
	ds_load_b128 v[76:79], v72 offset:6144
	ds_load_b128 v[80:83], v72 offset:7168
	s_waitcnt vmcnt(0) lgkmcnt(0)
	s_barrier
	buffer_gl0_inv
	v_wmma_f32_16x16x16_bf16 v[124:131], v[84:91], v[76:83], v[124:131]
	v_and_b32_e32 v68, 0xe0, v0
	v_wmma_f32_16x16x16_bf16 v[100:107], v[92:99], v[76:83], v[100:107]
	s_delay_alu instid0(VALU_DEP_2) | instskip(NEXT) | instid1(VALU_DEP_4)
	v_dual_mul_f32 v79, s18, v127 :: v_dual_add_nc_u32 v68, s12, v68
	v_mul_f32_e32 v81, s18, v129
	v_dual_mul_f32 v78, s18, v125 :: v_dual_mul_f32 v83, s18, v131
	s_delay_alu instid0(VALU_DEP_4) | instskip(NEXT) | instid1(VALU_DEP_4)
	v_dual_mul_f32 v80, s18, v126 :: v_dual_mul_f32 v95, s18, v103
	v_or_b32_e32 v68, v68, v74
	v_dual_mul_f32 v93, s18, v101 :: v_dual_mul_f32 v82, s18, v128
	v_dual_mul_f32 v97, s18, v105 :: v_dual_mul_f32 v92, s18, v130
	v_mul_f32_e32 v99, s18, v107
	s_delay_alu instid0(VALU_DEP_4)
	v_or_b32_e32 v70, 2, v68
	v_or_b32_e32 v71, 4, v68
	;; [unrolled: 1-line block ×3, first 2 shown]
	v_cmp_gt_i32_e64 s2, s17, v68
	v_or_b32_e32 v108, 8, v68
	v_cmp_gt_i32_e32 vcc_lo, s17, v70
	v_mul_f32_e32 v70, s18, v124
	v_or_b32_e32 v109, 10, v68
	v_cmp_gt_i32_e64 s3, s17, v71
	v_cmp_gt_i32_e64 s4, s17, v72
	v_cndmask_b32_e32 v78, 0xff7fffff, v78, vcc_lo
	v_cndmask_b32_e64 v70, 0xff7fffff, v70, s2
	v_or_b32_e32 v84, 12, v68
	v_or_b32_e32 v85, 14, v68
	v_cndmask_b32_e64 v71, 0xff7fffff, v80, s3
	v_cndmask_b32_e64 v72, 0xff7fffff, v79, s4
	v_max3_f32 v70, v70, 0xff7fffff, v78
	v_cmp_gt_i32_e64 s5, s17, v108
	v_cmp_gt_i32_e64 s6, s17, v109
	v_or_b32_e32 v86, 16, v68
	v_or_b32_e32 v87, 18, v68
	v_max3_f32 v70, v70, v71, v72
	v_cndmask_b32_e64 v78, 0xff7fffff, v82, s5
	v_cndmask_b32_e64 v79, 0xff7fffff, v81, s6
	v_cmp_gt_i32_e64 s7, s17, v84
	v_cmp_gt_i32_e64 s8, s17, v85
	v_or_b32_e32 v88, 20, v68
	v_or_b32_e32 v89, 22, v68
	v_mul_f32_e32 v94, s18, v100
	v_cndmask_b32_e64 v71, 0xff7fffff, v92, s7
	v_cndmask_b32_e64 v72, 0xff7fffff, v83, s8
	v_max3_f32 v70, v70, v78, v79
	v_cmp_gt_i32_e64 s9, s17, v86
	v_cmp_gt_i32_e64 s10, s17, v87
	v_or_b32_e32 v90, 24, v68
	v_or_b32_e32 v91, 26, v68
	v_mul_f32_e32 v96, s18, v102
	v_max3_f32 v70, v70, v71, v72
	v_cndmask_b32_e64 v79, 0xff7fffff, v93, s10
	v_cmp_gt_i32_e64 s11, s17, v88
	v_cmp_gt_i32_e64 s12, s17, v89
	v_lshlrev_b32_e32 v89, 2, v69
	v_cndmask_b32_e64 v78, 0xff7fffff, v94, s9
	v_or_b32_e32 v76, 28, v68
	v_or_b32_e32 v77, 30, v68
	v_mul_f32_e32 v98, s18, v104
	v_cndmask_b32_e64 v71, 0xff7fffff, v96, s11
	v_cndmask_b32_e64 v72, 0xff7fffff, v95, s12
	v_max3_f32 v70, v70, v78, v79
	v_cmp_gt_i32_e64 s13, s17, v90
	v_cmp_gt_i32_e64 s15, s17, v91
	v_mul_f32_e32 v68, s18, v106
	v_cmp_gt_i32_e64 s16, s17, v76
	v_max3_f32 v70, v70, v71, v72
	v_cndmask_b32_e64 v78, 0xff7fffff, v98, s13
	v_cndmask_b32_e64 v79, 0xff7fffff, v97, s15
	v_cmp_gt_i32_e64 s17, s17, v77
	v_cndmask_b32_e64 v68, 0xff7fffff, v68, s16
	s_delay_alu instid0(VALU_DEP_3) | instskip(NEXT) | instid1(VALU_DEP_3)
	v_max3_f32 v70, v70, v78, v79
	v_cndmask_b32_e64 v71, 0xff7fffff, v99, s17
	s_delay_alu instid0(VALU_DEP_1) | instskip(SKIP_3) | instid1(VALU_DEP_1)
	v_max3_f32 v68, v70, v68, v71
	ds_bpermute_b32 v69, v89, v68
	s_waitcnt lgkmcnt(0)
	v_max_f32_e32 v69, v69, v69
	v_max_f32_e32 v68, v68, v69
	s_delay_alu instid0(VALU_DEP_1) | instskip(NEXT) | instid1(VALU_DEP_1)
	v_fma_f32 v76, s18, v128, -v68
	v_mul_f32_e32 v77, 0x3fb8aa3b, v76
	v_fma_f32 v71, s18, v126, -v68
	v_fma_f32 v69, s18, v124, -v68
	;; [unrolled: 1-line block ×4, first 2 shown]
	v_exp_f32_e32 v77, v77
	v_mul_f32_e32 v71, 0x3fb8aa3b, v71
	v_mul_f32_e32 v69, 0x3fb8aa3b, v69
	v_fma_f32 v81, s18, v105, -v68
	v_fma_f32 v78, s18, v130, -v68
	s_delay_alu instid0(VALU_DEP_4) | instskip(NEXT) | instid1(VALU_DEP_3)
	v_exp_f32_e32 v71, v71
	v_exp_f32_e32 v69, v69
	s_delay_alu instid0(VALU_DEP_2) | instskip(NEXT) | instid1(TRANS32_DEP_3)
	v_mul_f32_e32 v81, 0x3fb8aa3b, v81
	v_cndmask_b32_e64 v86, 0, v77, s5
	v_fma_f32 v77, s18, v101, -v68
	s_delay_alu instid0(VALU_DEP_3) | instskip(NEXT) | instid1(TRANS32_DEP_3)
	v_exp_f32_e32 v81, v81
	v_cndmask_b32_e64 v83, 0, v71, s3
	v_fma_f32 v71, s18, v131, -v68
	v_mul_f32_e32 v72, 0x3fb8aa3b, v72
	s_delay_alu instid0(TRANS32_DEP_2) | instskip(SKIP_1) | instid1(VALU_DEP_4)
	v_cndmask_b32_e64 v80, 0, v69, s2
	v_fma_f32 v69, s18, v129, -v68
	v_dual_mul_f32 v70, 0x3fb8aa3b, v70 :: v_dual_mul_f32 v71, 0x3fb8aa3b, v71
	s_delay_alu instid0(VALU_DEP_4) | instskip(SKIP_1) | instid1(VALU_DEP_3)
	v_exp_f32_e32 v72, v72
	v_mul_f32_e32 v77, 0x3fb8aa3b, v77
	v_mul_f32_e32 v69, 0x3fb8aa3b, v69
	s_delay_alu instid0(VALU_DEP_3)
	v_exp_f32_e32 v70, v70
	v_exp_f32_e32 v71, v71
	s_mov_b32 s2, exec_lo
	v_exp_f32_e32 v77, v77
	v_exp_f32_e32 v69, v69
	v_cndmask_b32_e64 v85, 0, v72, s4
	v_fma_f32 v72, s18, v100, -v68
	v_cndmask_b32_e32 v76, 0, v70, vcc_lo
	s_delay_alu instid0(TRANS32_DEP_3) | instskip(SKIP_2) | instid1(TRANS32_DEP_1)
	v_cndmask_b32_e64 v88, 0, v71, s8
	v_fma_f32 v71, s18, v104, -v68
	v_add_f32_e32 v70, 0, v80
	v_cndmask_b32_e64 v87, 0, v69, s6
	s_delay_alu instid0(VALU_DEP_2) | instskip(NEXT) | instid1(VALU_DEP_1)
	v_dual_mul_f32 v71, 0x3fb8aa3b, v71 :: v_dual_add_f32 v70, v70, v76
	v_exp_f32_e32 v82, v71
	s_delay_alu instid0(VALU_DEP_1) | instskip(NEXT) | instid1(VALU_DEP_1)
	v_add_f32_e32 v70, v70, v83
	v_add_f32_e32 v70, v70, v85
	s_delay_alu instid0(VALU_DEP_1) | instskip(SKIP_1) | instid1(VALU_DEP_2)
	v_dual_mul_f32 v72, 0x3fb8aa3b, v72 :: v_dual_add_f32 v69, v70, v86
	v_fma_f32 v70, s18, v102, -v68
	v_exp_f32_e32 v72, v72
	s_delay_alu instid0(VALU_DEP_2) | instskip(NEXT) | instid1(VALU_DEP_2)
	v_dual_add_f32 v69, v69, v87 :: v_dual_mul_f32 v78, 0x3fb8aa3b, v78
	v_mul_f32_e32 v70, 0x3fb8aa3b, v70
	s_delay_alu instid0(VALU_DEP_2) | instskip(NEXT) | instid1(VALU_DEP_1)
	v_exp_f32_e32 v78, v78
	v_exp_f32_e32 v79, v70
	s_delay_alu instid0(TRANS32_DEP_3) | instskip(SKIP_4) | instid1(VALU_DEP_3)
	v_cndmask_b32_e64 v70, 0, v72, s9
	s_waitcnt_depctr 0xfff
	v_cndmask_b32_e64 v84, 0, v78, s7
	v_fma_f32 v78, s18, v103, -v68
	v_cndmask_b32_e64 v71, 0, v79, s11
	v_add_f32_e32 v69, v69, v84
	s_delay_alu instid0(VALU_DEP_1) | instskip(SKIP_2) | instid1(VALU_DEP_1)
	v_add_f32_e32 v72, v69, v88
	v_cndmask_b32_e64 v69, 0, v77, s10
	v_fma_f32 v77, s18, v106, -v68
	v_dual_add_f32 v72, v72, v70 :: v_dual_mul_f32 v77, 0x3fb8aa3b, v77
	s_delay_alu instid0(VALU_DEP_1) | instskip(NEXT) | instid1(VALU_DEP_2)
	v_add_f32_e32 v79, v72, v69
	v_exp_f32_e32 v90, v77
	v_cndmask_b32_e64 v77, 0, v82, s13
	v_mul_f32_e32 v78, 0x3fb8aa3b, v78
	s_delay_alu instid0(VALU_DEP_1) | instskip(SKIP_4) | instid1(VALU_DEP_1)
	v_exp_f32_e32 v78, v78
	s_waitcnt_depctr 0xfff
	v_cndmask_b32_e64 v72, 0, v78, s12
	v_add_f32_e32 v78, v79, v71
	v_fma_f32 v79, s18, v107, -v68
	v_dual_add_f32 v82, v78, v72 :: v_dual_mul_f32 v79, 0x3fb8aa3b, v79
	v_cndmask_b32_e64 v78, 0, v81, s15
	s_delay_alu instid0(VALU_DEP_2) | instskip(NEXT) | instid1(VALU_DEP_3)
	v_add_f32_e32 v81, v82, v77
	v_exp_f32_e32 v82, v79
	v_cndmask_b32_e64 v79, 0, v90, s16
	s_delay_alu instid0(VALU_DEP_2) | instskip(NEXT) | instid1(VALU_DEP_1)
	v_add_f32_e32 v81, v81, v78
	v_add_f32_e32 v90, v81, v79
	s_waitcnt_depctr 0xfff
	v_cndmask_b32_e64 v81, 0, v82, s17
	s_delay_alu instid0(VALU_DEP_1)
	v_add_f32_e32 v82, v90, v81
	ds_bpermute_b32 v89, v89, v82
	v_cmpx_gt_u32_e32 16, v67
	s_cbranch_execz .LBB1843_12
; %bb.11:
	v_mul_u32_u24_e32 v67, 0x44, v66
	s_delay_alu instid0(VALU_DEP_1) | instskip(SKIP_1) | instid1(VALU_DEP_1)
	v_lshl_add_u32 v67, v65, 2, v67
	s_waitcnt lgkmcnt(0)
	v_dual_add_f32 v82, v82, v89 :: v_dual_add_nc_u32 v67, 0x4000, v67
	ds_store_2addr_b32 v67, v68, v82 offset1:136
.LBB1843_12:
	s_or_b32 exec_lo, exec_lo, s2
	v_lshlrev_b32_e32 v67, 2, v65
	s_waitcnt lgkmcnt(0)
	s_barrier
	buffer_gl0_inv
	v_cmp_eq_u32_e32 vcc_lo, 1, v66
	v_add_nc_u32_e32 v82, 0x4000, v67
	v_cmp_eq_u32_e64 s2, 2, v66
	v_cmp_eq_u32_e64 s4, 7, v66
	ds_load_2addr_b32 v[89:90], v82 offset1:17
	ds_load_2addr_b32 v[91:92], v82 offset0:34 offset1:51
	ds_load_2addr_b32 v[93:94], v82 offset0:68 offset1:85
	;; [unrolled: 1-line block ×4, first 2 shown]
	s_waitcnt lgkmcnt(4)
	v_max3_f32 v67, v89, 0xff7fffff, v90
	s_waitcnt lgkmcnt(3)
	s_delay_alu instid0(VALU_DEP_1) | instskip(SKIP_1) | instid1(VALU_DEP_1)
	v_max3_f32 v67, v67, v91, v92
	s_waitcnt lgkmcnt(2)
	v_max3_f32 v67, v67, v93, v94
	s_waitcnt lgkmcnt(1)
	s_delay_alu instid0(VALU_DEP_1) | instskip(NEXT) | instid1(VALU_DEP_1)
	v_max3_f32 v67, v67, v95, v96
	v_sub_f32_e32 v93, v93, v67
	s_delay_alu instid0(VALU_DEP_1) | instskip(NEXT) | instid1(VALU_DEP_1)
	v_dual_sub_f32 v68, v89, v67 :: v_dual_mul_f32 v103, 0x3fb8aa3b, v93
	v_mul_f32_e32 v68, 0x3fb8aa3b, v68
	s_delay_alu instid0(VALU_DEP_1)
	v_exp_f32_e32 v100, v68
	v_sub_f32_e32 v68, v92, v67
	v_sub_f32_e32 v99, v90, v67
	ds_load_2addr_b32 v[89:90], v82 offset0:170 offset1:187
	v_dual_mul_f32 v102, 0x3fb8aa3b, v68 :: v_dual_mul_f32 v99, 0x3fb8aa3b, v99
	s_waitcnt lgkmcnt(1)
	v_fma_f32 v68, v100, v97, 0
	s_delay_alu instid0(VALU_DEP_2) | instskip(NEXT) | instid1(VALU_DEP_2)
	v_exp_f32_e32 v102, v102
	v_exp_f32_e32 v99, v99
	s_waitcnt_depctr 0xfff
	v_fmac_f32_e32 v68, v99, v98
	v_sub_f32_e32 v91, v91, v67
	s_delay_alu instid0(VALU_DEP_1)
	v_mul_f32_e32 v101, 0x3fb8aa3b, v91
	ds_load_2addr_b32 v[91:92], v82 offset0:204 offset1:221
	v_sub_f32_e32 v97, v94, v67
	ds_load_2addr_b32 v[93:94], v82 offset0:238 offset1:255
	s_waitcnt lgkmcnt(0)
	v_exp_f32_e32 v101, v101
	s_barrier
	buffer_gl0_inv
	v_dual_fmac_f32 v68, v101, v89 :: v_dual_sub_f32 v89, v96, v67
	v_dual_sub_f32 v82, v95, v67 :: v_dual_mul_f32 v95, 0x3fb8aa3b, v97
	v_exp_f32_e32 v97, v103
	s_delay_alu instid0(VALU_DEP_2) | instskip(NEXT) | instid1(VALU_DEP_2)
	v_dual_fmac_f32 v68, v102, v90 :: v_dual_mul_f32 v89, 0x3fb8aa3b, v89
	v_mul_f32_e32 v82, 0x3fb8aa3b, v82
	s_delay_alu instid0(VALU_DEP_3) | instskip(NEXT) | instid1(VALU_DEP_2)
	v_exp_f32_e32 v95, v95
	v_exp_f32_e32 v89, v89
	s_delay_alu instid0(VALU_DEP_1)
	v_exp_f32_e32 v82, v82
	v_fmac_f32_e32 v68, v97, v91
	s_delay_alu instid0(TRANS32_DEP_3) | instid1(VALU_DEP_1)
	v_fmac_f32_e32 v68, v95, v92
	s_waitcnt_depctr 0xfff
	v_fmac_f32_e32 v68, v82, v93
	s_delay_alu instid0(VALU_DEP_1) | instskip(NEXT) | instid1(VALU_DEP_1)
	v_fmac_f32_e32 v68, v89, v94
	v_add_f32_e32 v90, 0x358637bd, v68
	s_delay_alu instid0(VALU_DEP_1) | instskip(NEXT) | instid1(VALU_DEP_1)
	v_div_scale_f32 v91, null, v90, v90, 1.0
	v_rcp_f32_e32 v92, v91
	s_waitcnt_depctr 0xfff
	v_fma_f32 v93, -v91, v92, 1.0
	s_delay_alu instid0(VALU_DEP_1) | instskip(SKIP_1) | instid1(VALU_DEP_2)
	v_dual_fmac_f32 v92, v93, v92 :: v_dual_cndmask_b32 v93, v100, v99
	v_cmp_eq_u32_e32 vcc_lo, 3, v66
	v_cndmask_b32_e64 v93, v93, v101, s2
	v_cmp_eq_u32_e64 s2, 4, v66
	s_delay_alu instid0(VALU_DEP_2) | instskip(SKIP_1) | instid1(VALU_DEP_2)
	v_cndmask_b32_e32 v93, v93, v102, vcc_lo
	v_cmp_eq_u32_e32 vcc_lo, 5, v66
	v_cndmask_b32_e64 v93, v93, v97, s2
	v_cmp_eq_u32_e64 s2, 6, v66
	s_delay_alu instid0(VALU_DEP_2) | instskip(SKIP_1) | instid1(VALU_DEP_1)
	v_cndmask_b32_e32 v93, v93, v95, vcc_lo
	v_div_scale_f32 v94, s3, 1.0, v90, 1.0
	s_mov_b32 vcc_lo, s3
	s_delay_alu instid0(VALU_DEP_2) | instskip(NEXT) | instid1(VALU_DEP_2)
	v_cndmask_b32_e64 v82, v93, v82, s2
	v_mul_f32_e32 v96, v94, v92
	s_mov_b32 s2, exec_lo
	s_delay_alu instid0(VALU_DEP_2) | instskip(NEXT) | instid1(VALU_DEP_2)
	v_cndmask_b32_e64 v82, v82, v89, s4
	v_fma_f32 v98, -v91, v96, v94
	s_delay_alu instid0(VALU_DEP_1) | instskip(NEXT) | instid1(VALU_DEP_1)
	v_fmac_f32_e32 v96, v98, v92
	v_fma_f32 v91, -v91, v96, v94
	s_delay_alu instid0(VALU_DEP_1) | instskip(NEXT) | instid1(VALU_DEP_1)
	v_div_fmas_f32 v91, v91, v92, v96
	v_div_fixup_f32 v90, v91, v90, 1.0
	s_delay_alu instid0(VALU_DEP_1) | instskip(NEXT) | instid1(VALU_DEP_1)
	v_mul_f32_e32 v82, v82, v90
	v_mul_f32_e32 v87, v82, v87
	;; [unrolled: 1-line block ×7, first 2 shown]
	v_dual_mul_f32 v86, v82, v83 :: v_dual_and_b32 v91, 0x7f800000, v90
	v_mul_f32_e32 v85, v82, v76
                                        ; implicit-def: $vgpr76
	s_delay_alu instid0(VALU_DEP_2)
	v_cmpx_ne_u32_e32 0x7f800000, v91
	s_xor_b32 s2, exec_lo, s2
; %bb.13:
	v_bfe_u32 v76, v90, 16, 1
	s_delay_alu instid0(VALU_DEP_1)
	v_add3_u32 v76, v90, v76, 0x7fff
                                        ; implicit-def: $vgpr90
; %bb.14:
	s_and_not1_saveexec_b32 s2, s2
; %bb.15:
	v_and_b32_e32 v76, 0xffff, v90
	v_or_b32_e32 v83, 0x10000, v90
	s_delay_alu instid0(VALU_DEP_2) | instskip(NEXT) | instid1(VALU_DEP_2)
	v_cmp_eq_u32_e32 vcc_lo, 0, v76
	v_cndmask_b32_e32 v76, v83, v90, vcc_lo
; %bb.16:
	s_or_b32 exec_lo, exec_lo, s2
	v_and_b32_e32 v83, 0x7f800000, v85
	s_delay_alu instid0(VALU_DEP_1) | instskip(SKIP_1) | instid1(SALU_CYCLE_1)
	v_cmp_ne_u32_e32 vcc_lo, 0x7f800000, v83
                                        ; implicit-def: $vgpr83
	s_and_saveexec_b32 s2, vcc_lo
	s_xor_b32 s2, exec_lo, s2
; %bb.17:
	v_bfe_u32 v83, v85, 16, 1
	s_delay_alu instid0(VALU_DEP_1)
	v_add3_u32 v83, v85, v83, 0x7fff
                                        ; implicit-def: $vgpr85
; %bb.18:
	s_and_not1_saveexec_b32 s2, s2
; %bb.19:
	v_and_b32_e32 v83, 0xffff, v85
	v_or_b32_e32 v90, 0x10000, v85
	s_delay_alu instid0(VALU_DEP_2) | instskip(NEXT) | instid1(VALU_DEP_2)
	v_cmp_eq_u32_e32 vcc_lo, 0, v83
	v_cndmask_b32_e32 v83, v90, v85, vcc_lo
; %bb.20:
	s_or_b32 exec_lo, exec_lo, s2
	v_and_b32_e32 v85, 0x7f800000, v86
	s_delay_alu instid0(VALU_DEP_1) | instskip(SKIP_1) | instid1(SALU_CYCLE_1)
	v_cmp_ne_u32_e32 vcc_lo, 0x7f800000, v85
                                        ; implicit-def: $vgpr85
	s_and_saveexec_b32 s2, vcc_lo
	s_xor_b32 s2, exec_lo, s2
; %bb.21:
	v_bfe_u32 v85, v86, 16, 1
	s_delay_alu instid0(VALU_DEP_1)
	v_add3_u32 v85, v86, v85, 0x7fff
                                        ; implicit-def: $vgpr86
; %bb.22:
	s_and_not1_saveexec_b32 s2, s2
; %bb.23:
	v_and_b32_e32 v85, 0xffff, v86
	v_or_b32_e32 v90, 0x10000, v86
	s_delay_alu instid0(VALU_DEP_2) | instskip(NEXT) | instid1(VALU_DEP_2)
	v_cmp_eq_u32_e32 vcc_lo, 0, v85
	v_cndmask_b32_e32 v85, v90, v86, vcc_lo
; %bb.24:
	s_or_b32 exec_lo, exec_lo, s2
	v_and_b32_e32 v86, 0x7f800000, v89
	s_delay_alu instid0(VALU_DEP_1) | instskip(SKIP_1) | instid1(SALU_CYCLE_1)
	v_cmp_ne_u32_e32 vcc_lo, 0x7f800000, v86
                                        ; implicit-def: $vgpr86
	s_and_saveexec_b32 s2, vcc_lo
	s_xor_b32 s2, exec_lo, s2
; %bb.25:
	v_bfe_u32 v86, v89, 16, 1
	s_delay_alu instid0(VALU_DEP_1)
	v_add3_u32 v86, v89, v86, 0x7fff
                                        ; implicit-def: $vgpr89
; %bb.26:
	s_and_not1_saveexec_b32 s2, s2
; %bb.27:
	v_and_b32_e32 v86, 0xffff, v89
	v_or_b32_e32 v90, 0x10000, v89
	s_delay_alu instid0(VALU_DEP_2) | instskip(NEXT) | instid1(VALU_DEP_2)
	v_cmp_eq_u32_e32 vcc_lo, 0, v86
	v_cndmask_b32_e32 v86, v90, v89, vcc_lo
; %bb.28:
	s_or_b32 exec_lo, exec_lo, s2
	v_and_b32_e32 v89, 0x7f800000, v88
	s_delay_alu instid0(VALU_DEP_1) | instskip(SKIP_1) | instid1(SALU_CYCLE_1)
	v_cmp_ne_u32_e32 vcc_lo, 0x7f800000, v89
                                        ; implicit-def: $vgpr89
	s_and_saveexec_b32 s2, vcc_lo
	s_xor_b32 s2, exec_lo, s2
; %bb.29:
	v_bfe_u32 v89, v88, 16, 1
	s_delay_alu instid0(VALU_DEP_1)
	v_add3_u32 v89, v88, v89, 0x7fff
                                        ; implicit-def: $vgpr88
; %bb.30:
	s_and_not1_saveexec_b32 s2, s2
; %bb.31:
	v_and_b32_e32 v89, 0xffff, v88
	v_or_b32_e32 v90, 0x10000, v88
	s_delay_alu instid0(VALU_DEP_2) | instskip(NEXT) | instid1(VALU_DEP_2)
	v_cmp_eq_u32_e32 vcc_lo, 0, v89
	v_cndmask_b32_e32 v89, v90, v88, vcc_lo
; %bb.32:
	s_or_b32 exec_lo, exec_lo, s2
	v_and_b32_e32 v88, 0x7f800000, v87
	s_delay_alu instid0(VALU_DEP_1) | instskip(SKIP_1) | instid1(SALU_CYCLE_1)
	v_cmp_ne_u32_e32 vcc_lo, 0x7f800000, v88
                                        ; implicit-def: $vgpr88
	s_and_saveexec_b32 s2, vcc_lo
	s_xor_b32 s2, exec_lo, s2
; %bb.33:
	v_bfe_u32 v88, v87, 16, 1
	s_delay_alu instid0(VALU_DEP_1)
	v_add3_u32 v88, v87, v88, 0x7fff
                                        ; implicit-def: $vgpr87
; %bb.34:
	s_and_not1_saveexec_b32 s2, s2
; %bb.35:
	v_and_b32_e32 v88, 0xffff, v87
	v_or_b32_e32 v90, 0x10000, v87
	s_delay_alu instid0(VALU_DEP_2) | instskip(NEXT) | instid1(VALU_DEP_2)
	v_cmp_eq_u32_e32 vcc_lo, 0, v88
	v_cndmask_b32_e32 v88, v90, v87, vcc_lo
; %bb.36:
	s_or_b32 exec_lo, exec_lo, s2
	v_and_b32_e32 v87, 0x7f800000, v84
	s_delay_alu instid0(VALU_DEP_1) | instskip(SKIP_1) | instid1(SALU_CYCLE_1)
	v_cmp_ne_u32_e32 vcc_lo, 0x7f800000, v87
                                        ; implicit-def: $vgpr87
	s_and_saveexec_b32 s2, vcc_lo
	s_xor_b32 s2, exec_lo, s2
; %bb.37:
	v_bfe_u32 v87, v84, 16, 1
	s_delay_alu instid0(VALU_DEP_1)
	v_add3_u32 v87, v84, v87, 0x7fff
                                        ; implicit-def: $vgpr84
; %bb.38:
	s_and_not1_saveexec_b32 s2, s2
; %bb.39:
	v_and_b32_e32 v87, 0xffff, v84
	v_or_b32_e32 v90, 0x10000, v84
	s_delay_alu instid0(VALU_DEP_2) | instskip(NEXT) | instid1(VALU_DEP_2)
	v_cmp_eq_u32_e32 vcc_lo, 0, v87
	v_cndmask_b32_e32 v87, v90, v84, vcc_lo
; %bb.40:
	s_or_b32 exec_lo, exec_lo, s2
	v_and_b32_e32 v84, 0x7f800000, v80
	s_delay_alu instid0(VALU_DEP_1) | instskip(SKIP_1) | instid1(SALU_CYCLE_1)
	v_cmp_ne_u32_e32 vcc_lo, 0x7f800000, v84
                                        ; implicit-def: $vgpr84
	s_and_saveexec_b32 s2, vcc_lo
	s_xor_b32 s2, exec_lo, s2
; %bb.41:
	v_bfe_u32 v84, v80, 16, 1
	s_delay_alu instid0(VALU_DEP_1)
	v_add3_u32 v84, v80, v84, 0x7fff
                                        ; implicit-def: $vgpr80
; %bb.42:
	s_and_not1_saveexec_b32 s2, s2
; %bb.43:
	v_and_b32_e32 v84, 0xffff, v80
	v_or_b32_e32 v90, 0x10000, v80
	s_delay_alu instid0(VALU_DEP_2) | instskip(NEXT) | instid1(VALU_DEP_2)
	v_cmp_eq_u32_e32 vcc_lo, 0, v84
	v_cndmask_b32_e32 v84, v90, v80, vcc_lo
; %bb.44:
	s_or_b32 exec_lo, exec_lo, s2
	s_load_b64 s[34:35], s[0:1], 0x94
	v_lshlrev_b32_e32 v91, 4, v74
	s_delay_alu instid0(VALU_DEP_2)
	v_perm_b32 v90, v84, v87, 0x7060302
	v_dual_mul_f32 v79, v82, v79 :: v_dual_lshlrev_b32 v80, 6, v65
	v_dual_mul_f32 v77, v82, v77 :: v_dual_lshlrev_b32 v92, 11, v66
	v_mul_f32_e32 v84, v82, v70
	v_perm_b32 v89, v88, v89, 0x7060302
	v_perm_b32 v88, v86, v85, 0x7060302
	v_perm_b32 v87, v83, v76, 0x7060302
	v_mul_f32_e32 v70, v82, v81
	v_or3_b32 v76, v91, v92, v80
	v_dual_mul_f32 v78, v82, v78 :: v_dual_and_b32 v85, 0x7f800000, v84
	v_mul_f32_e32 v83, v82, v72
	v_mul_f32_e32 v81, v82, v71
	;; [unrolled: 1-line block ×3, first 2 shown]
	s_mov_b32 s2, exec_lo
	ds_store_b128 v76, v[87:90]
                                        ; implicit-def: $vgpr69
	v_cmpx_ne_u32_e32 0x7f800000, v85
	s_xor_b32 s2, exec_lo, s2
; %bb.45:
	v_bfe_u32 v69, v84, 16, 1
	s_delay_alu instid0(VALU_DEP_1)
	v_add3_u32 v69, v84, v69, 0x7fff
                                        ; implicit-def: $vgpr84
; %bb.46:
	s_and_not1_saveexec_b32 s2, s2
; %bb.47:
	v_and_b32_e32 v69, 0xffff, v84
	v_or_b32_e32 v71, 0x10000, v84
	s_delay_alu instid0(VALU_DEP_2) | instskip(NEXT) | instid1(VALU_DEP_2)
	v_cmp_eq_u32_e32 vcc_lo, 0, v69
	v_cndmask_b32_e32 v69, v71, v84, vcc_lo
; %bb.48:
	s_or_b32 exec_lo, exec_lo, s2
	v_and_b32_e32 v71, 0x7f800000, v72
	s_delay_alu instid0(VALU_DEP_1) | instskip(SKIP_1) | instid1(SALU_CYCLE_1)
	v_cmp_ne_u32_e32 vcc_lo, 0x7f800000, v71
                                        ; implicit-def: $vgpr71
	s_and_saveexec_b32 s2, vcc_lo
	s_xor_b32 s2, exec_lo, s2
; %bb.49:
	v_bfe_u32 v71, v72, 16, 1
	s_delay_alu instid0(VALU_DEP_1)
	v_add3_u32 v71, v72, v71, 0x7fff
                                        ; implicit-def: $vgpr72
; %bb.50:
	s_and_not1_saveexec_b32 s2, s2
; %bb.51:
	v_and_b32_e32 v71, 0xffff, v72
	v_or_b32_e32 v82, 0x10000, v72
	s_delay_alu instid0(VALU_DEP_2) | instskip(NEXT) | instid1(VALU_DEP_2)
	v_cmp_eq_u32_e32 vcc_lo, 0, v71
	v_cndmask_b32_e32 v71, v82, v72, vcc_lo
; %bb.52:
	s_or_b32 exec_lo, exec_lo, s2
	v_and_b32_e32 v72, 0x7f800000, v81
	s_delay_alu instid0(VALU_DEP_1) | instskip(SKIP_1) | instid1(SALU_CYCLE_1)
	v_cmp_ne_u32_e32 vcc_lo, 0x7f800000, v72
                                        ; implicit-def: $vgpr72
	s_and_saveexec_b32 s2, vcc_lo
	s_xor_b32 s2, exec_lo, s2
; %bb.53:
	v_bfe_u32 v72, v81, 16, 1
	s_delay_alu instid0(VALU_DEP_1)
	v_add3_u32 v72, v81, v72, 0x7fff
                                        ; implicit-def: $vgpr81
; %bb.54:
	s_and_not1_saveexec_b32 s2, s2
; %bb.55:
	v_and_b32_e32 v72, 0xffff, v81
	v_or_b32_e32 v82, 0x10000, v81
	s_delay_alu instid0(VALU_DEP_2) | instskip(NEXT) | instid1(VALU_DEP_2)
	v_cmp_eq_u32_e32 vcc_lo, 0, v72
	v_cndmask_b32_e32 v72, v82, v81, vcc_lo
; %bb.56:
	s_or_b32 exec_lo, exec_lo, s2
	v_and_b32_e32 v81, 0x7f800000, v83
	s_delay_alu instid0(VALU_DEP_1) | instskip(SKIP_1) | instid1(SALU_CYCLE_1)
	v_cmp_ne_u32_e32 vcc_lo, 0x7f800000, v81
                                        ; implicit-def: $vgpr81
	s_and_saveexec_b32 s2, vcc_lo
	s_xor_b32 s2, exec_lo, s2
; %bb.57:
	v_bfe_u32 v81, v83, 16, 1
	s_delay_alu instid0(VALU_DEP_1)
	v_add3_u32 v81, v83, v81, 0x7fff
                                        ; implicit-def: $vgpr83
; %bb.58:
	s_and_not1_saveexec_b32 s2, s2
; %bb.59:
	v_and_b32_e32 v81, 0xffff, v83
	v_or_b32_e32 v82, 0x10000, v83
	s_delay_alu instid0(VALU_DEP_2) | instskip(NEXT) | instid1(VALU_DEP_2)
	v_cmp_eq_u32_e32 vcc_lo, 0, v81
	v_cndmask_b32_e32 v81, v82, v83, vcc_lo
; %bb.60:
	s_or_b32 exec_lo, exec_lo, s2
	v_and_b32_e32 v82, 0x7f800000, v77
	s_delay_alu instid0(VALU_DEP_1) | instskip(SKIP_1) | instid1(SALU_CYCLE_1)
	v_cmp_ne_u32_e32 vcc_lo, 0x7f800000, v82
                                        ; implicit-def: $vgpr82
	s_and_saveexec_b32 s2, vcc_lo
	s_xor_b32 s2, exec_lo, s2
; %bb.61:
	v_bfe_u32 v82, v77, 16, 1
	s_delay_alu instid0(VALU_DEP_1)
	v_add3_u32 v82, v77, v82, 0x7fff
                                        ; implicit-def: $vgpr77
; %bb.62:
	s_and_not1_saveexec_b32 s2, s2
; %bb.63:
	v_and_b32_e32 v82, 0xffff, v77
	v_or_b32_e32 v83, 0x10000, v77
	s_delay_alu instid0(VALU_DEP_2) | instskip(NEXT) | instid1(VALU_DEP_2)
	v_cmp_eq_u32_e32 vcc_lo, 0, v82
	v_cndmask_b32_e32 v82, v83, v77, vcc_lo
; %bb.64:
	s_or_b32 exec_lo, exec_lo, s2
	v_and_b32_e32 v77, 0x7f800000, v78
	s_delay_alu instid0(VALU_DEP_1) | instskip(SKIP_1) | instid1(SALU_CYCLE_1)
	v_cmp_ne_u32_e32 vcc_lo, 0x7f800000, v77
                                        ; implicit-def: $vgpr77
	s_and_saveexec_b32 s2, vcc_lo
	s_xor_b32 s2, exec_lo, s2
; %bb.65:
	v_bfe_u32 v77, v78, 16, 1
	s_delay_alu instid0(VALU_DEP_1)
	v_add3_u32 v77, v78, v77, 0x7fff
                                        ; implicit-def: $vgpr78
; %bb.66:
	s_and_not1_saveexec_b32 s2, s2
; %bb.67:
	v_and_b32_e32 v77, 0xffff, v78
	v_or_b32_e32 v83, 0x10000, v78
	s_delay_alu instid0(VALU_DEP_2) | instskip(NEXT) | instid1(VALU_DEP_2)
	v_cmp_eq_u32_e32 vcc_lo, 0, v77
	v_cndmask_b32_e32 v77, v83, v78, vcc_lo
; %bb.68:
	s_or_b32 exec_lo, exec_lo, s2
	v_and_b32_e32 v78, 0x7f800000, v79
	s_delay_alu instid0(VALU_DEP_1) | instskip(SKIP_1) | instid1(SALU_CYCLE_1)
	v_cmp_ne_u32_e32 vcc_lo, 0x7f800000, v78
                                        ; implicit-def: $vgpr78
	s_and_saveexec_b32 s2, vcc_lo
	s_xor_b32 s2, exec_lo, s2
; %bb.69:
	v_bfe_u32 v78, v79, 16, 1
	s_delay_alu instid0(VALU_DEP_1)
	v_add3_u32 v78, v79, v78, 0x7fff
                                        ; implicit-def: $vgpr79
; %bb.70:
	s_and_not1_saveexec_b32 s2, s2
; %bb.71:
	v_and_b32_e32 v78, 0xffff, v79
	v_or_b32_e32 v83, 0x10000, v79
	s_delay_alu instid0(VALU_DEP_2) | instskip(NEXT) | instid1(VALU_DEP_2)
	v_cmp_eq_u32_e32 vcc_lo, 0, v78
	v_cndmask_b32_e32 v78, v83, v79, vcc_lo
; %bb.72:
	s_or_b32 exec_lo, exec_lo, s2
	v_and_b32_e32 v79, 0x7f800000, v70
	s_delay_alu instid0(VALU_DEP_1) | instskip(SKIP_1) | instid1(SALU_CYCLE_1)
	v_cmp_ne_u32_e32 vcc_lo, 0x7f800000, v79
                                        ; implicit-def: $vgpr79
	s_and_saveexec_b32 s2, vcc_lo
	s_xor_b32 s2, exec_lo, s2
; %bb.73:
	v_bfe_u32 v79, v70, 16, 1
	s_delay_alu instid0(VALU_DEP_1)
	v_add3_u32 v79, v70, v79, 0x7fff
                                        ; implicit-def: $vgpr70
; %bb.74:
	s_and_not1_saveexec_b32 s2, s2
; %bb.75:
	v_and_b32_e32 v79, 0xffff, v70
	v_or_b32_e32 v83, 0x10000, v70
	s_delay_alu instid0(VALU_DEP_2) | instskip(NEXT) | instid1(VALU_DEP_2)
	v_cmp_eq_u32_e32 vcc_lo, 0, v79
	v_cndmask_b32_e32 v79, v83, v70, vcc_lo
; %bb.76:
	s_or_b32 exec_lo, exec_lo, s2
	s_delay_alu instid0(VALU_DEP_1)
	v_perm_b32 v86, v79, v78, 0x7060302
	v_perm_b32 v85, v77, v82, 0x7060302
	;; [unrolled: 1-line block ×4, first 2 shown]
	v_lshl_or_b32 v82, v66, 11, v80
	ds_store_b128 v76, v[83:86] offset:1024
	s_waitcnt lgkmcnt(0)
	s_barrier
	buffer_gl0_inv
	ds_load_b128 v[69:72], v82
	ds_load_b128 v[83:86], v82 offset:16
	s_waitcnt lgkmcnt(1)
	v_lshrrev_b32_e32 v66, 16, v69
	s_waitcnt lgkmcnt(0)
	v_lshrrev_b32_e32 v91, 16, v83
	v_lshlrev_b32_e32 v78, 2, v74
	v_lshrrev_b32_e32 v95, 16, v70
	v_lshrrev_b32_e32 v98, 16, v84
	;; [unrolled: 1-line block ×4, first 2 shown]
	v_cmp_eq_u32_e32 vcc_lo, 1, v78
	v_lshrrev_b32_e32 v97, 16, v72
	v_lshrrev_b32_e32 v100, 16, v86
	v_cndmask_b32_e32 v87, v83, v91, vcc_lo
	v_or_b32_e32 v79, 1, v78
	v_cndmask_b32_e32 v81, v69, v66, vcc_lo
	v_cmp_eq_u32_e64 s3, 2, v78
	v_cmp_eq_u32_e64 s6, 3, v78
	v_cmp_eq_u32_e64 s8, 4, v78
	v_cmp_eq_u32_e64 s2, 1, v79
	v_cmp_eq_u32_e64 s5, 2, v79
	v_cndmask_b32_e64 v81, v81, v70, s3
	v_cndmask_b32_e64 v87, v87, v84, s3
	v_cmp_eq_u32_e64 s7, 3, v79
	v_cndmask_b32_e64 v88, v69, v66, s2
	v_or_b32_e32 v77, 2, v78
	v_cndmask_b32_e64 v81, v81, v95, s6
	v_cndmask_b32_e64 v87, v87, v98, s6
	;; [unrolled: 1-line block ×4, first 2 shown]
	v_cmp_eq_u32_e64 s9, 5, v78
	v_cndmask_b32_e64 v81, v81, v71, s8
	v_cndmask_b32_e64 v87, v87, v85, s8
	v_cmp_eq_u32_e64 s10, 4, v79
	v_cndmask_b32_e64 v88, v88, v95, s7
	v_cmp_eq_u32_e64 s4, 1, v77
	v_cndmask_b32_e64 v89, v89, v84, s5
	v_cndmask_b32_e64 v81, v81, v96, s9
	v_cmp_eq_u32_e64 s11, 6, v78
	v_cndmask_b32_e64 v88, v88, v71, s10
	;; [unrolled: 3-line block ×3, first 2 shown]
	v_cndmask_b32_e64 v89, v89, v98, s7
	v_cndmask_b32_e64 v81, v81, v72, s11
	v_cmp_eq_u32_e64 s13, 7, v78
	v_cndmask_b32_e64 v88, v88, v96, s12
	v_cndmask_b32_e64 v87, v87, v86, s11
	v_cmp_eq_u32_e64 s15, 6, v79
	v_cmp_eq_u32_e64 s16, 2, v77
	v_cndmask_b32_e64 v89, v89, v85, s10
	v_cndmask_b32_e64 v101, v81, v97, s13
	;; [unrolled: 1-line block ×6, first 2 shown]
	v_cmp_eq_u32_e64 s17, 7, v79
	v_cmp_eq_u32_e64 s18, 3, v77
	v_cmp_eq_u32_e64 s19, 4, v77
	v_cmp_eq_u32_e64 s21, 5, v77
	v_cndmask_b32_e64 v87, v87, v84, s16
	v_cndmask_b32_e64 v103, v88, v97, s17
	;; [unrolled: 1-line block ×4, first 2 shown]
	v_or_b32_e32 v81, 3, v78
	v_cndmask_b32_e64 v93, v87, v98, s18
	v_cmp_eq_u32_e64 s23, 6, v77
	v_cndmask_b32_e64 v104, v88, v86, s15
	v_cndmask_b32_e64 v92, v89, v71, s19
	v_cmp_eq_u32_e64 s20, 1, v81
	ds_load_b128 v[87:90], v82 offset:1024
	v_cmp_eq_u32_e64 s22, 2, v81
	v_cmp_eq_u32_e64 s24, 3, v81
	v_cndmask_b32_e64 v105, v92, v96, s21
	v_cndmask_b32_e64 v66, v69, v66, s20
	;; [unrolled: 1-line block ×4, first 2 shown]
	ds_load_b128 v[91:94], v82 offset:1040
	v_cmp_eq_u32_e64 s25, 4, v81
	v_cndmask_b32_e64 v66, v66, v70, s22
	v_cmp_eq_u32_e64 s26, 7, v77
	v_cndmask_b32_e64 v70, v83, v84, s22
	v_cndmask_b32_e64 v84, v105, v72, s23
	v_cmp_eq_u32_e64 s27, 5, v81
	v_cndmask_b32_e64 v66, v66, v95, s24
	v_cmp_eq_u32_e64 s28, 6, v81
	v_cndmask_b32_e64 v70, v70, v98, s24
	v_cndmask_b32_e64 v69, v69, v99, s21
	;; [unrolled: 1-line block ×4, first 2 shown]
	s_waitcnt lgkmcnt(1)
	v_lshrrev_b32_e32 v95, 16, v87
	v_cndmask_b32_e64 v70, v70, v85, s25
	v_cndmask_b32_e64 v71, v84, v97, s26
	;; [unrolled: 1-line block ×4, first 2 shown]
	v_cndmask_b32_e32 v84, v87, v95, vcc_lo
	v_cndmask_b32_e64 v70, v70, v99, s27
	s_waitcnt lgkmcnt(0)
	v_lshrrev_b32_e32 v85, 16, v91
	v_lshrrev_b32_e32 v96, 16, v88
	v_cndmask_b32_e64 v98, v87, v95, s2
	v_cndmask_b32_e64 v84, v84, v88, s3
	;; [unrolled: 1-line block ×3, first 2 shown]
	v_cndmask_b32_e32 v99, v91, v85, vcc_lo
	v_cmp_eq_u32_e32 vcc_lo, 7, v81
	v_cndmask_b32_e64 v66, v66, v72, s28
	v_cndmask_b32_e64 v72, v84, v96, s6
	v_cndmask_b32_e64 v84, v98, v88, s5
	v_lshrrev_b32_e32 v98, 16, v92
	v_cndmask_b32_e32 v70, v70, v100, vcc_lo
	v_cndmask_b32_e64 v86, v99, v92, s3
	v_cndmask_b32_e64 v69, v69, v100, s26
	v_lshrrev_b32_e32 v100, 16, v93
	v_cndmask_b32_e64 v72, v72, v89, s8
	v_lshrrev_b32_e32 v99, 16, v89
	v_cndmask_b32_e64 v86, v86, v98, s6
	v_perm_b32 v71, v69, v71, 0x5040100
	v_cndmask_b32_e64 v84, v84, v96, s7
	s_delay_alu instid0(VALU_DEP_3) | instskip(NEXT) | instid1(VALU_DEP_2)
	v_cndmask_b32_e64 v86, v86, v93, s8
	v_cndmask_b32_e64 v84, v84, v89, s10
	s_delay_alu instid0(VALU_DEP_2) | instskip(NEXT) | instid1(VALU_DEP_1)
	v_cndmask_b32_e64 v86, v86, v100, s9
	v_cndmask_b32_e64 v69, v86, v94, s11
	;; [unrolled: 1-line block ×5, first 2 shown]
	s_delay_alu instid0(VALU_DEP_3) | instskip(NEXT) | instid1(VALU_DEP_3)
	v_cndmask_b32_e64 v86, v86, v88, s16
	v_cndmask_b32_e64 v87, v87, v88, s22
	s_delay_alu instid0(VALU_DEP_3) | instskip(NEXT) | instid1(VALU_DEP_3)
	v_cndmask_b32_e64 v88, v95, v92, s22
	v_cndmask_b32_e64 v86, v86, v96, s18
	;; [unrolled: 3-line block ×7, first 2 shown]
	s_delay_alu instid0(VALU_DEP_3) | instskip(SKIP_2) | instid1(VALU_DEP_2)
	v_cndmask_b32_e64 v88, v88, v94, s28
	v_cndmask_b32_e32 v66, v66, v97, vcc_lo
	v_cndmask_b32_e64 v97, v72, v99, s9
	v_perm_b32 v72, v70, v66, 0x5040100
	v_perm_b32 v70, v83, v103, 0x5040100
	v_cndmask_b32_e64 v103, v91, v85, s4
	v_cndmask_b32_e64 v85, v91, v85, s2
	;; [unrolled: 1-line block ×4, first 2 shown]
	v_lshrrev_b32_e32 v97, 16, v90
	v_cndmask_b32_e64 v91, v103, v92, s16
	v_cndmask_b32_e64 v85, v85, v92, s5
	v_cndmask_b32_e64 v66, v66, v90, s15
	s_mov_b32 s2, exec_lo
	v_cndmask_b32_e64 v83, v84, v97, s13
	v_cndmask_b32_e64 v91, v91, v98, s18
	;; [unrolled: 1-line block ×3, first 2 shown]
	v_lshrrev_b32_e32 v84, 16, v94
	v_cndmask_b32_e64 v66, v66, v97, s17
	v_cndmask_b32_e64 v90, v86, v97, s26
	;; [unrolled: 1-line block ×4, first 2 shown]
	v_dual_cndmask_b32 v86, v87, v97 :: v_dual_cndmask_b32 v87, v88, v84
	v_cndmask_b32_e64 v91, v69, v84, s13
	s_delay_alu instid0(VALU_DEP_4) | instskip(NEXT) | instid1(VALU_DEP_4)
	v_cndmask_b32_e64 v89, v89, v100, s21
	v_cndmask_b32_e64 v85, v85, v100, s12
	v_perm_b32 v69, v102, v101, 0x5040100
	v_perm_b32 v86, v87, v86, 0x5040100
	;; [unrolled: 1-line block ×3, first 2 shown]
	v_cndmask_b32_e64 v89, v89, v94, s23
	v_cndmask_b32_e64 v85, v85, v94, s15
	s_mul_i32 s7, s35, 6
	s_delay_alu instid0(VALU_DEP_2) | instskip(NEXT) | instid1(VALU_DEP_2)
	v_cndmask_b32_e64 v88, v89, v84, s26
	v_cndmask_b32_e64 v89, v85, v84, s17
	s_delay_alu instid0(VALU_DEP_2) | instskip(NEXT) | instid1(VALU_DEP_2)
	v_perm_b32 v85, v88, v90, 0x5040100
	v_perm_b32 v84, v89, v66, 0x5040100
	ds_store_b128 v76, v[69:72]
	ds_store_b128 v76, v[83:86] offset:1024
	v_cmpx_gt_u32_e32 6, v0
	s_cbranch_execz .LBB1843_78
; %bb.77:
	s_mul_i32 s3, s7, s30
	s_load_b128 s[8:11], s[0:1], 0x58
	v_add3_u32 v69, s3, s29, v65
	s_delay_alu instid0(VALU_DEP_1) | instskip(NEXT) | instid1(VALU_DEP_1)
	v_mad_u64_u32 v[65:66], null, v69, s34, s[14:15]
	v_ashrrev_i32_e32 v66, 31, v65
	s_delay_alu instid0(VALU_DEP_1) | instskip(SKIP_1) | instid1(VALU_DEP_1)
	v_lshlrev_b64 v[65:66], 2, v[65:66]
	s_waitcnt lgkmcnt(0)
	v_add_co_u32 v69, vcc_lo, s10, v65
	s_delay_alu instid0(VALU_DEP_2)
	v_add_co_ci_u32_e32 v70, vcc_lo, s11, v66, vcc_lo
	v_add_co_u32 v65, vcc_lo, s8, v65
	v_add_co_ci_u32_e32 v66, vcc_lo, s9, v66, vcc_lo
	global_store_b32 v[69:70], v67, off
	global_store_b32 v[65:66], v68, off
.LBB1843_78:
	s_or_b32 exec_lo, exec_lo, s2
	s_waitcnt lgkmcnt(0)
	s_waitcnt_vscnt null, 0x0
	s_barrier
	buffer_gl0_inv
	ds_load_b128 v[83:86], v80
	ds_load_b128 v[87:90], v80 offset:16
	ds_load_b128 v[95:98], v80 offset:2064
	ds_load_b128 v[91:94], v80 offset:2048
	v_mov_b32_e32 v65, 0
	ds_load_b128 v[103:106], v80 offset:4112
	ds_load_b128 v[99:102], v80 offset:4096
	;; [unrolled: 1-line block ×4, first 2 shown]
	v_mov_b32_e32 v66, v65
	v_mov_b32_e32 v67, v65
	;; [unrolled: 1-line block ×7, first 2 shown]
	s_waitcnt lgkmcnt(6)
	s_delay_alu instid0(VALU_DEP_1)
	v_wmma_f32_16x16x16_bf16 v[65:72], v[41:48], v[83:90], v[65:72]
	ds_load_b128 v[45:48], v80 offset:8208
	ds_load_b128 v[41:44], v80 offset:8192
	s_waitcnt lgkmcnt(6)
	v_wmma_f32_16x16x16_bf16 v[65:72], v[33:40], v[91:98], v[65:72]
	ds_load_b128 v[37:40], v80 offset:10256
	ds_load_b128 v[33:36], v80 offset:10240
	s_waitcnt lgkmcnt(6)
	;; [unrolled: 4-line block ×4, first 2 shown]
	v_wmma_f32_16x16x16_bf16 v[65:72], v[1:8], v[41:48], v[65:72]
	s_waitcnt lgkmcnt(4)
	s_delay_alu instid0(VALU_DEP_1) | instskip(SKIP_1) | instid1(VALU_DEP_1)
	v_wmma_f32_16x16x16_bf16 v[65:72], v[9:16], v[33:40], v[65:72]
	s_waitcnt lgkmcnt(2)
	v_wmma_f32_16x16x16_bf16 v[65:72], v[57:64], v[25:32], v[65:72]
	s_waitcnt lgkmcnt(0)
	s_delay_alu instid0(VALU_DEP_1) | instskip(NEXT) | instid1(VALU_DEP_1)
	v_wmma_f32_16x16x16_bf16 v[65:72], v[49:56], v[17:24], v[65:72]
	v_and_b32_e32 v1, 0x7f800000, v65
	s_delay_alu instid0(VALU_DEP_1) | instskip(SKIP_1) | instid1(SALU_CYCLE_1)
	v_cmp_ne_u32_e32 vcc_lo, 0x7f800000, v1
                                        ; implicit-def: $vgpr1
	s_and_saveexec_b32 s2, vcc_lo
	s_xor_b32 s2, exec_lo, s2
; %bb.79:
	v_bfe_u32 v1, v65, 16, 1
	s_delay_alu instid0(VALU_DEP_1)
	v_add3_u32 v1, v65, v1, 0x7fff
; %bb.80:
	s_and_not1_saveexec_b32 s2, s2
; %bb.81:
	v_and_b32_e32 v1, 0xffff, v65
	v_or_b32_e32 v2, 0x10000, v65
	s_delay_alu instid0(VALU_DEP_2) | instskip(NEXT) | instid1(VALU_DEP_2)
	v_cmp_eq_u32_e32 vcc_lo, 0, v1
	v_cndmask_b32_e32 v1, v2, v65, vcc_lo
; %bb.82:
	s_or_b32 exec_lo, exec_lo, s2
	v_and_b32_e32 v2, 0x7f800000, v66
	s_delay_alu instid0(VALU_DEP_1) | instskip(SKIP_1) | instid1(SALU_CYCLE_1)
	v_cmp_ne_u32_e32 vcc_lo, 0x7f800000, v2
                                        ; implicit-def: $vgpr2
	s_and_saveexec_b32 s2, vcc_lo
	s_xor_b32 s2, exec_lo, s2
; %bb.83:
	v_bfe_u32 v2, v66, 16, 1
	s_delay_alu instid0(VALU_DEP_1)
	v_add3_u32 v2, v66, v2, 0x7fff
; %bb.84:
	s_and_not1_saveexec_b32 s2, s2
; %bb.85:
	v_and_b32_e32 v2, 0xffff, v66
	v_or_b32_e32 v3, 0x10000, v66
	s_delay_alu instid0(VALU_DEP_2) | instskip(NEXT) | instid1(VALU_DEP_2)
	v_cmp_eq_u32_e32 vcc_lo, 0, v2
	v_cndmask_b32_e32 v2, v3, v66, vcc_lo
; %bb.86:
	s_or_b32 exec_lo, exec_lo, s2
	v_and_b32_e32 v3, 0x7f800000, v67
	s_delay_alu instid0(VALU_DEP_1) | instskip(SKIP_1) | instid1(SALU_CYCLE_1)
	v_cmp_ne_u32_e32 vcc_lo, 0x7f800000, v3
                                        ; implicit-def: $vgpr3
	s_and_saveexec_b32 s2, vcc_lo
	s_xor_b32 s2, exec_lo, s2
; %bb.87:
	v_bfe_u32 v3, v67, 16, 1
	s_delay_alu instid0(VALU_DEP_1)
	v_add3_u32 v3, v67, v3, 0x7fff
; %bb.88:
	s_and_not1_saveexec_b32 s2, s2
; %bb.89:
	v_and_b32_e32 v3, 0xffff, v67
	v_or_b32_e32 v4, 0x10000, v67
	s_delay_alu instid0(VALU_DEP_2) | instskip(NEXT) | instid1(VALU_DEP_2)
	v_cmp_eq_u32_e32 vcc_lo, 0, v3
	v_cndmask_b32_e32 v3, v4, v67, vcc_lo
; %bb.90:
	s_or_b32 exec_lo, exec_lo, s2
	v_and_b32_e32 v4, 0x7f800000, v68
	s_delay_alu instid0(VALU_DEP_1) | instskip(SKIP_1) | instid1(SALU_CYCLE_1)
	v_cmp_ne_u32_e32 vcc_lo, 0x7f800000, v4
                                        ; implicit-def: $vgpr4
	s_and_saveexec_b32 s2, vcc_lo
	s_xor_b32 s2, exec_lo, s2
; %bb.91:
	v_bfe_u32 v4, v68, 16, 1
	s_delay_alu instid0(VALU_DEP_1)
	v_add3_u32 v4, v68, v4, 0x7fff
; %bb.92:
	s_and_not1_saveexec_b32 s2, s2
; %bb.93:
	v_and_b32_e32 v4, 0xffff, v68
	v_or_b32_e32 v5, 0x10000, v68
	s_delay_alu instid0(VALU_DEP_2) | instskip(NEXT) | instid1(VALU_DEP_2)
	v_cmp_eq_u32_e32 vcc_lo, 0, v4
	v_cndmask_b32_e32 v4, v5, v68, vcc_lo
; %bb.94:
	s_or_b32 exec_lo, exec_lo, s2
	v_and_b32_e32 v5, 0x7f800000, v69
	s_delay_alu instid0(VALU_DEP_1) | instskip(SKIP_1) | instid1(SALU_CYCLE_1)
	v_cmp_ne_u32_e32 vcc_lo, 0x7f800000, v5
                                        ; implicit-def: $vgpr5
	s_and_saveexec_b32 s2, vcc_lo
	s_xor_b32 s2, exec_lo, s2
; %bb.95:
	v_bfe_u32 v5, v69, 16, 1
	s_delay_alu instid0(VALU_DEP_1)
	v_add3_u32 v5, v69, v5, 0x7fff
; %bb.96:
	s_and_not1_saveexec_b32 s2, s2
; %bb.97:
	v_and_b32_e32 v5, 0xffff, v69
	v_or_b32_e32 v6, 0x10000, v69
	s_delay_alu instid0(VALU_DEP_2) | instskip(NEXT) | instid1(VALU_DEP_2)
	v_cmp_eq_u32_e32 vcc_lo, 0, v5
	v_cndmask_b32_e32 v5, v6, v69, vcc_lo
; %bb.98:
	s_or_b32 exec_lo, exec_lo, s2
	v_and_b32_e32 v6, 0x7f800000, v70
	s_delay_alu instid0(VALU_DEP_1) | instskip(SKIP_1) | instid1(SALU_CYCLE_1)
	v_cmp_ne_u32_e32 vcc_lo, 0x7f800000, v6
                                        ; implicit-def: $vgpr6
	s_and_saveexec_b32 s2, vcc_lo
	s_xor_b32 s2, exec_lo, s2
; %bb.99:
	v_bfe_u32 v6, v70, 16, 1
	s_delay_alu instid0(VALU_DEP_1)
	v_add3_u32 v6, v70, v6, 0x7fff
; %bb.100:
	s_and_not1_saveexec_b32 s2, s2
; %bb.101:
	v_and_b32_e32 v6, 0xffff, v70
	v_or_b32_e32 v7, 0x10000, v70
	s_delay_alu instid0(VALU_DEP_2) | instskip(NEXT) | instid1(VALU_DEP_2)
	v_cmp_eq_u32_e32 vcc_lo, 0, v6
	v_cndmask_b32_e32 v6, v7, v70, vcc_lo
; %bb.102:
	s_or_b32 exec_lo, exec_lo, s2
	v_and_b32_e32 v7, 0x7f800000, v71
	s_delay_alu instid0(VALU_DEP_1) | instskip(SKIP_1) | instid1(SALU_CYCLE_1)
	v_cmp_ne_u32_e32 vcc_lo, 0x7f800000, v7
                                        ; implicit-def: $vgpr7
	s_and_saveexec_b32 s2, vcc_lo
	s_xor_b32 s2, exec_lo, s2
; %bb.103:
	v_bfe_u32 v7, v71, 16, 1
	s_delay_alu instid0(VALU_DEP_1)
	v_add3_u32 v7, v71, v7, 0x7fff
; %bb.104:
	s_and_not1_saveexec_b32 s2, s2
; %bb.105:
	v_and_b32_e32 v7, 0xffff, v71
	v_or_b32_e32 v8, 0x10000, v71
	s_delay_alu instid0(VALU_DEP_2) | instskip(NEXT) | instid1(VALU_DEP_2)
	v_cmp_eq_u32_e32 vcc_lo, 0, v7
	v_cndmask_b32_e32 v7, v8, v71, vcc_lo
; %bb.106:
	s_or_b32 exec_lo, exec_lo, s2
	v_and_b32_e32 v8, 0x7f800000, v72
	s_delay_alu instid0(VALU_DEP_1) | instskip(SKIP_1) | instid1(SALU_CYCLE_1)
	v_cmp_ne_u32_e32 vcc_lo, 0x7f800000, v8
                                        ; implicit-def: $vgpr8
	s_and_saveexec_b32 s2, vcc_lo
	s_xor_b32 s2, exec_lo, s2
; %bb.107:
	v_bfe_u32 v8, v72, 16, 1
	s_delay_alu instid0(VALU_DEP_1)
	v_add3_u32 v8, v72, v8, 0x7fff
                                        ; implicit-def: $vgpr65_vgpr66_vgpr67_vgpr68_vgpr69_vgpr70_vgpr71_vgpr72
; %bb.108:
	s_and_not1_saveexec_b32 s2, s2
; %bb.109:
	v_and_b32_e32 v8, 0xffff, v72
	v_or_b32_e32 v9, 0x10000, v72
	s_delay_alu instid0(VALU_DEP_2) | instskip(NEXT) | instid1(VALU_DEP_2)
	v_cmp_eq_u32_e32 vcc_lo, 0, v8
	v_cndmask_b32_e32 v8, v9, v72, vcc_lo
; %bb.110:
	s_or_b32 exec_lo, exec_lo, s2
	s_delay_alu instid0(VALU_DEP_1)
	v_perm_b32 v7, v8, v7, 0x7060302
	v_perm_b32 v6, v6, v5, 0x7060302
	;; [unrolled: 1-line block ×4, first 2 shown]
	s_barrier
	buffer_gl0_inv
	v_cmp_eq_u32_e32 vcc_lo, 1, v78
	ds_store_b128 v76, v[4:7]
	s_waitcnt lgkmcnt(0)
	s_barrier
	buffer_gl0_inv
	ds_load_b128 v[1:4], v82
	ds_load_b128 v[5:8], v82 offset:16
	v_cmp_eq_u32_e64 s2, 1, v79
	v_cmp_eq_u32_e64 s3, 2, v78
	;; [unrolled: 1-line block ×5, first 2 shown]
	s_waitcnt lgkmcnt(1)
	v_lshrrev_b32_e32 v9, 16, v1
	s_waitcnt lgkmcnt(0)
	v_lshrrev_b32_e32 v13, 16, v5
	v_lshrrev_b32_e32 v10, 16, v2
	;; [unrolled: 1-line block ×4, first 2 shown]
	v_cndmask_b32_e64 v19, v1, v9, s2
	v_cndmask_b32_e32 v18, v5, v13, vcc_lo
	v_cndmask_b32_e64 v20, v5, v13, s2
	v_cndmask_b32_e32 v17, v1, v9, vcc_lo
	v_cmp_eq_u32_e32 vcc_lo, 2, v79
	v_lshrrev_b32_e32 v15, 16, v7
	v_cmp_eq_u32_e64 s2, 1, v77
	v_lshrrev_b32_e32 v12, 16, v4
	v_lshrrev_b32_e32 v16, 16, v8
	v_cndmask_b32_e32 v20, v20, v6, vcc_lo
	v_cndmask_b32_e64 v17, v17, v2, s3
	v_cndmask_b32_e32 v19, v19, v2, vcc_lo
	v_cndmask_b32_e64 v18, v18, v6, s3
	v_cmp_eq_u32_e32 vcc_lo, 4, v78
	v_cmp_eq_u32_e64 s3, 3, v79
	v_cndmask_b32_e64 v17, v17, v10, s4
	v_cndmask_b32_e64 v21, v1, v9, s2
	;; [unrolled: 1-line block ×5, first 2 shown]
	v_cndmask_b32_e32 v17, v17, v3, vcc_lo
	v_cndmask_b32_e64 v20, v20, v14, s3
	v_cndmask_b32_e32 v18, v18, v7, vcc_lo
	v_cmp_eq_u32_e32 vcc_lo, 4, v79
	v_cmp_eq_u32_e64 s3, 5, v79
	v_cmp_eq_u32_e64 s2, 2, v81
	v_cndmask_b32_e64 v21, v21, v2, s6
	v_cmp_eq_u32_e64 s4, 5, v78
	v_cndmask_b32_e32 v19, v19, v3, vcc_lo
	v_cndmask_b32_e32 v20, v20, v7, vcc_lo
	v_cmp_eq_u32_e32 vcc_lo, 6, v79
	s_delay_alu instid0(VALU_DEP_4) | instskip(NEXT) | instid1(VALU_DEP_4)
	v_cndmask_b32_e64 v17, v17, v11, s4
	v_cndmask_b32_e64 v19, v19, v11, s3
	s_delay_alu instid0(VALU_DEP_4) | instskip(SKIP_1) | instid1(VALU_DEP_3)
	v_cndmask_b32_e64 v20, v20, v15, s3
	v_cmp_eq_u32_e64 s3, 1, v81
	v_cndmask_b32_e32 v19, v19, v4, vcc_lo
	v_cndmask_b32_e64 v18, v18, v15, s4
	s_delay_alu instid0(VALU_DEP_3)
	v_cndmask_b32_e64 v1, v1, v9, s3
	v_cndmask_b32_e64 v5, v5, v13, s3
	v_cmp_eq_u32_e64 s3, 3, v77
	v_cndmask_b32_e64 v13, v22, v6, s6
	v_cmp_eq_u32_e64 s6, 3, v81
	v_cndmask_b32_e64 v1, v1, v2, s2
	v_cndmask_b32_e64 v2, v5, v6, s2
	;; [unrolled: 1-line block ×3, first 2 shown]
	v_cmp_eq_u32_e64 s2, 4, v77
	v_cndmask_b32_e64 v6, v13, v14, s3
	v_cndmask_b32_e64 v1, v1, v10, s6
	v_cmp_eq_u32_e64 s3, 4, v81
	v_cndmask_b32_e64 v2, v2, v14, s6
	v_cndmask_b32_e64 v5, v9, v3, s2
	;; [unrolled: 3-line block ×3, first 2 shown]
	v_cndmask_b32_e64 v2, v2, v7, s3
	v_cmp_eq_u32_e64 s2, 5, v81
	v_cmp_eq_u32_e64 s4, 6, v78
	v_cndmask_b32_e64 v5, v5, v11, s6
	v_cmp_eq_u32_e64 s3, 6, v77
	v_cndmask_b32_e64 v3, v6, v15, s6
	v_cndmask_b32_e64 v1, v1, v11, s2
	v_cmp_eq_u32_e64 s6, 6, v81
	v_cndmask_b32_e64 v2, v2, v15, s2
	v_cndmask_b32_e64 v17, v17, v4, s4
	v_cndmask_b32_e64 v18, v18, v8, s4
	v_cmp_eq_u32_e64 s4, 7, v78
	v_cndmask_b32_e64 v5, v5, v4, s3
	;; [unrolled: 4-line block ×3, first 2 shown]
	v_cmp_eq_u32_e64 s3, 7, v77
	v_cndmask_b32_e32 v4, v20, v8, vcc_lo
	v_cndmask_b32_e64 v17, v17, v12, s4
	v_cndmask_b32_e64 v19, v19, v12, s5
	;; [unrolled: 1-line block ×8, first 2 shown]
	s_mov_b32 s2, exec_lo
	v_perm_b32 v4, v2, v1, 0x5040100
	v_perm_b32 v3, v3, v5, 0x5040100
	;; [unrolled: 1-line block ×4, first 2 shown]
	ds_store_b128 v76, v[1:4]
	s_waitcnt lgkmcnt(0)
	s_barrier
	buffer_gl0_inv
	v_cmpx_gt_u32_e32 32, v0
	s_cbranch_execz .LBB1843_2
; %bb.111:
	s_load_b64 s[0:1], s[0:1], 0x68
	s_lshl_b32 s4, s34, 7
	v_or_b32_e32 v3, s29, v74
	s_mul_i32 s2, s4, s30
	v_lshlrev_b32_e32 v0, 10, v0
	s_mul_i32 s2, s2, s7
	v_lshlrev_b32_e32 v1, 4, v75
	s_ashr_i32 s3, s2, 31
	v_mul_lo_u32 v12, v3, s4
	s_lshl_b64 s[2:3], s[2:3], 1
	v_lshlrev_b32_e32 v2, 6, v74
	v_and_b32_e32 v0, 0x3800, v0
	s_delay_alu instid0(VALU_DEP_1) | instskip(NEXT) | instid1(VALU_DEP_4)
	v_or3_b32 v8, v0, v1, v2
	v_ashrrev_i32_e32 v13, 31, v12
	ds_load_b128 v[0:3], v8
	ds_load_b128 v[4:7], v8 offset:128
	ds_load_b128 v[8:11], v8 offset:256
	s_waitcnt lgkmcnt(0)
	s_add_u32 s2, s0, s2
	s_addc_u32 s3, s1, s3
	s_lshl_b32 s0, s14, 7
	s_delay_alu instid0(SALU_CYCLE_1) | instskip(NEXT) | instid1(SALU_CYCLE_1)
	s_ashr_i32 s1, s0, 31
	s_lshl_b64 s[0:1], s[0:1], 1
	s_delay_alu instid0(SALU_CYCLE_1)
	s_add_u32 s0, s2, s0
	s_addc_u32 s1, s3, s1
	s_lshl_b32 s2, s34, 8
	v_add_co_u32 v18, s0, s0, v73
	v_add_nc_u32_e32 v14, s2, v12
	v_lshlrev_b64 v[12:13], 1, v[12:13]
	v_add_co_ci_u32_e64 v19, null, s1, 0, s0
	s_delay_alu instid0(VALU_DEP_3) | instskip(SKIP_1) | instid1(VALU_DEP_4)
	v_add_nc_u32_e32 v16, s2, v14
	v_ashrrev_i32_e32 v15, 31, v14
	v_add_co_u32 v12, vcc_lo, v18, v12
	s_delay_alu instid0(VALU_DEP_4) | instskip(NEXT) | instid1(VALU_DEP_4)
	v_add_co_ci_u32_e32 v13, vcc_lo, v19, v13, vcc_lo
	v_ashrrev_i32_e32 v17, 31, v16
	s_delay_alu instid0(VALU_DEP_4) | instskip(NEXT) | instid1(VALU_DEP_2)
	v_lshlrev_b64 v[14:15], 1, v[14:15]
	v_lshlrev_b64 v[16:17], 1, v[16:17]
	s_delay_alu instid0(VALU_DEP_2) | instskip(NEXT) | instid1(VALU_DEP_3)
	v_add_co_u32 v14, vcc_lo, v18, v14
	v_add_co_ci_u32_e32 v15, vcc_lo, v19, v15, vcc_lo
	s_delay_alu instid0(VALU_DEP_3) | instskip(NEXT) | instid1(VALU_DEP_4)
	v_add_co_u32 v16, vcc_lo, v18, v16
	v_add_co_ci_u32_e32 v17, vcc_lo, v19, v17, vcc_lo
	s_clause 0x2
	global_store_b128 v[12:13], v[0:3], off
	global_store_b128 v[14:15], v[4:7], off
	;; [unrolled: 1-line block ×3, first 2 shown]
	s_nop 0
	s_sendmsg sendmsg(MSG_DEALLOC_VGPRS)
	s_endpgm
	.section	.rodata,"a",@progbits
	.p2align	6, 0x0
	.amdhsa_kernel _Z39paged_attention_ll4mi_QKV_mfma16_kernelI14__hip_bfloat16hLN4vllm18Fp8KVCacheDataTypeE1ES0_Li16ELi128ELi256ELb0ELi6EL8MFMAType0EEvPKT_PKT0_S9_ifPKiSB_SB_iPKfiiiPfSE_PS4_PT2_iSD_SD_
		.amdhsa_group_segment_fixed_size 17472
		.amdhsa_private_segment_fixed_size 0
		.amdhsa_kernarg_size 400
		.amdhsa_user_sgpr_count 13
		.amdhsa_user_sgpr_dispatch_ptr 0
		.amdhsa_user_sgpr_queue_ptr 0
		.amdhsa_user_sgpr_kernarg_segment_ptr 1
		.amdhsa_user_sgpr_dispatch_id 0
		.amdhsa_user_sgpr_private_segment_size 0
		.amdhsa_wavefront_size32 1
		.amdhsa_uses_dynamic_stack 0
		.amdhsa_enable_private_segment 0
		.amdhsa_system_sgpr_workgroup_id_x 1
		.amdhsa_system_sgpr_workgroup_id_y 1
		.amdhsa_system_sgpr_workgroup_id_z 1
		.amdhsa_system_sgpr_workgroup_info 0
		.amdhsa_system_vgpr_workitem_id 0
		.amdhsa_next_free_vgpr 140
		.amdhsa_next_free_sgpr 36
		.amdhsa_reserve_vcc 1
		.amdhsa_float_round_mode_32 0
		.amdhsa_float_round_mode_16_64 0
		.amdhsa_float_denorm_mode_32 3
		.amdhsa_float_denorm_mode_16_64 3
		.amdhsa_dx10_clamp 1
		.amdhsa_ieee_mode 1
		.amdhsa_fp16_overflow 0
		.amdhsa_workgroup_processor_mode 1
		.amdhsa_memory_ordered 1
		.amdhsa_forward_progress 0
		.amdhsa_shared_vgpr_count 0
		.amdhsa_exception_fp_ieee_invalid_op 0
		.amdhsa_exception_fp_denorm_src 0
		.amdhsa_exception_fp_ieee_div_zero 0
		.amdhsa_exception_fp_ieee_overflow 0
		.amdhsa_exception_fp_ieee_underflow 0
		.amdhsa_exception_fp_ieee_inexact 0
		.amdhsa_exception_int_div_zero 0
	.end_amdhsa_kernel
	.section	.text._Z39paged_attention_ll4mi_QKV_mfma16_kernelI14__hip_bfloat16hLN4vllm18Fp8KVCacheDataTypeE1ES0_Li16ELi128ELi256ELb0ELi6EL8MFMAType0EEvPKT_PKT0_S9_ifPKiSB_SB_iPKfiiiPfSE_PS4_PT2_iSD_SD_,"axG",@progbits,_Z39paged_attention_ll4mi_QKV_mfma16_kernelI14__hip_bfloat16hLN4vllm18Fp8KVCacheDataTypeE1ES0_Li16ELi128ELi256ELb0ELi6EL8MFMAType0EEvPKT_PKT0_S9_ifPKiSB_SB_iPKfiiiPfSE_PS4_PT2_iSD_SD_,comdat
.Lfunc_end1843:
	.size	_Z39paged_attention_ll4mi_QKV_mfma16_kernelI14__hip_bfloat16hLN4vllm18Fp8KVCacheDataTypeE1ES0_Li16ELi128ELi256ELb0ELi6EL8MFMAType0EEvPKT_PKT0_S9_ifPKiSB_SB_iPKfiiiPfSE_PS4_PT2_iSD_SD_, .Lfunc_end1843-_Z39paged_attention_ll4mi_QKV_mfma16_kernelI14__hip_bfloat16hLN4vllm18Fp8KVCacheDataTypeE1ES0_Li16ELi128ELi256ELb0ELi6EL8MFMAType0EEvPKT_PKT0_S9_ifPKiSB_SB_iPKfiiiPfSE_PS4_PT2_iSD_SD_
                                        ; -- End function
	.section	.AMDGPU.csdata,"",@progbits
; Kernel info:
; codeLenInByte = 8884
; NumSgprs: 38
; NumVgprs: 140
; ScratchSize: 0
; MemoryBound: 0
; FloatMode: 240
; IeeeMode: 1
; LDSByteSize: 17472 bytes/workgroup (compile time only)
; SGPRBlocks: 4
; VGPRBlocks: 17
; NumSGPRsForWavesPerEU: 38
; NumVGPRsForWavesPerEU: 140
; Occupancy: 10
; WaveLimiterHint : 1
; COMPUTE_PGM_RSRC2:SCRATCH_EN: 0
; COMPUTE_PGM_RSRC2:USER_SGPR: 13
; COMPUTE_PGM_RSRC2:TRAP_HANDLER: 0
; COMPUTE_PGM_RSRC2:TGID_X_EN: 1
; COMPUTE_PGM_RSRC2:TGID_Y_EN: 1
; COMPUTE_PGM_RSRC2:TGID_Z_EN: 1
; COMPUTE_PGM_RSRC2:TIDIG_COMP_CNT: 0
	.section	.text._Z39paged_attention_ll4mi_QKV_mfma16_kernelI14__hip_bfloat16hLN4vllm18Fp8KVCacheDataTypeE1ES0_Li16ELi128ELi256ELb0ELi7EL8MFMAType0EEvPKT_PKT0_S9_ifPKiSB_SB_iPKfiiiPfSE_PS4_PT2_iSD_SD_,"axG",@progbits,_Z39paged_attention_ll4mi_QKV_mfma16_kernelI14__hip_bfloat16hLN4vllm18Fp8KVCacheDataTypeE1ES0_Li16ELi128ELi256ELb0ELi7EL8MFMAType0EEvPKT_PKT0_S9_ifPKiSB_SB_iPKfiiiPfSE_PS4_PT2_iSD_SD_,comdat
	.protected	_Z39paged_attention_ll4mi_QKV_mfma16_kernelI14__hip_bfloat16hLN4vllm18Fp8KVCacheDataTypeE1ES0_Li16ELi128ELi256ELb0ELi7EL8MFMAType0EEvPKT_PKT0_S9_ifPKiSB_SB_iPKfiiiPfSE_PS4_PT2_iSD_SD_ ; -- Begin function _Z39paged_attention_ll4mi_QKV_mfma16_kernelI14__hip_bfloat16hLN4vllm18Fp8KVCacheDataTypeE1ES0_Li16ELi128ELi256ELb0ELi7EL8MFMAType0EEvPKT_PKT0_S9_ifPKiSB_SB_iPKfiiiPfSE_PS4_PT2_iSD_SD_
	.globl	_Z39paged_attention_ll4mi_QKV_mfma16_kernelI14__hip_bfloat16hLN4vllm18Fp8KVCacheDataTypeE1ES0_Li16ELi128ELi256ELb0ELi7EL8MFMAType0EEvPKT_PKT0_S9_ifPKiSB_SB_iPKfiiiPfSE_PS4_PT2_iSD_SD_
	.p2align	8
	.type	_Z39paged_attention_ll4mi_QKV_mfma16_kernelI14__hip_bfloat16hLN4vllm18Fp8KVCacheDataTypeE1ES0_Li16ELi128ELi256ELb0ELi7EL8MFMAType0EEvPKT_PKT0_S9_ifPKiSB_SB_iPKfiiiPfSE_PS4_PT2_iSD_SD_,@function
_Z39paged_attention_ll4mi_QKV_mfma16_kernelI14__hip_bfloat16hLN4vllm18Fp8KVCacheDataTypeE1ES0_Li16ELi128ELi256ELb0ELi7EL8MFMAType0EEvPKT_PKT0_S9_ifPKiSB_SB_iPKfiiiPfSE_PS4_PT2_iSD_SD_: ; @_Z39paged_attention_ll4mi_QKV_mfma16_kernelI14__hip_bfloat16hLN4vllm18Fp8KVCacheDataTypeE1ES0_Li16ELi128ELi256ELb0ELi7EL8MFMAType0EEvPKT_PKT0_S9_ifPKiSB_SB_iPKfiiiPfSE_PS4_PT2_iSD_SD_
; %bb.0:
	s_load_b64 s[4:5], s[0:1], 0x30
	s_mov_b32 s30, s13
	s_waitcnt lgkmcnt(0)
	s_cmp_lg_u64 s[4:5], 0
	s_cselect_b32 s13, -1, 0
	s_ashr_i32 s31, s30, 31
	s_cmp_eq_u64 s[4:5], 0
	s_cbranch_scc1 .LBB1844_3
; %bb.1:
	s_lshl_b64 s[2:3], s[30:31], 2
	s_delay_alu instid0(SALU_CYCLE_1) | instskip(SKIP_4) | instid1(SALU_CYCLE_1)
	s_add_u32 s2, s4, s2
	s_addc_u32 s3, s5, s3
	s_load_b64 s[2:3], s[2:3], 0x0
	s_waitcnt lgkmcnt(0)
	s_sub_i32 s2, s3, s2
	s_cmp_eq_u32 s2, 1
	s_cselect_b32 s2, -1, 0
	s_delay_alu instid0(SALU_CYCLE_1)
	s_and_not1_b32 vcc_lo, exec_lo, s2
	s_cbranch_vccz .LBB1844_4
.LBB1844_2:
	s_nop 0
	s_sendmsg sendmsg(MSG_DEALLOC_VGPRS)
	s_endpgm
.LBB1844_3:
.LBB1844_4:
	s_load_b64 s[2:3], s[0:1], 0x28
	s_lshl_b64 s[6:7], s[30:31], 2
	s_waitcnt lgkmcnt(0)
	s_add_u32 s2, s2, s6
	s_addc_u32 s3, s3, s7
	s_lshl_b32 s12, s14, 8
	s_load_b32 s17, s[2:3], 0x0
	s_waitcnt lgkmcnt(0)
	s_cmp_ge_i32 s12, s17
	s_cbranch_scc1 .LBB1844_2
; %bb.5:
	s_clause 0x1
	s_load_b128 s[8:11], s[0:1], 0x8
	s_load_b64 s[2:3], s[0:1], 0x20
	s_and_not1_b32 vcc_lo, exec_lo, s13
	s_cbranch_vccnz .LBB1844_7
; %bb.6:
	s_add_u32 s4, s4, s6
	s_addc_u32 s5, s5, s7
	s_load_b32 s13, s[4:5], 0x0
	s_branch .LBB1844_8
.LBB1844_7:
	s_mov_b32 s13, s30
.LBB1844_8:
	s_load_b128 s[4:7], s[0:1], 0x48
	v_and_b32_e32 v65, 15, v0
	v_lshrrev_b32_e32 v66, 5, v0
	v_bfe_u32 v74, v0, 4, 1
	v_and_b32_e32 v67, 31, v0
	v_and_b32_e32 v75, 1, v0
	v_lshlrev_b32_e32 v2, 3, v65
	s_mul_i32 s31, s15, 7
	v_lshl_or_b32 v1, v66, 1, v74
	s_waitcnt lgkmcnt(0)
	s_mov_b32 s7, exec_lo
	v_lshlrev_b32_e32 v73, 1, v2
	s_delay_alu instid0(VALU_DEP_2)
	v_cmpx_gt_u32_e32 7, v1
	s_cbranch_execz .LBB1844_10
; %bb.9:
	s_load_b64 s[18:19], s[0:1], 0x0
	v_add_lshl_u32 v2, v1, s31, 7
	s_mul_hi_i32 s21, s13, s4
	s_mul_i32 s20, s13, s4
	v_lshlrev_b32_e32 v6, 10, v65
	s_lshl_b64 s[20:21], s[20:21], 1
	v_ashrrev_i32_e32 v3, 31, v2
	v_lshlrev_b32_e32 v1, 6, v1
	v_lshlrev_b32_e32 v7, 10, v75
	v_and_b32_e32 v6, 0x3800, v6
	s_delay_alu instid0(VALU_DEP_4) | instskip(NEXT) | instid1(VALU_DEP_2)
	v_lshlrev_b64 v[2:3], 1, v[2:3]
	v_or3_b32 v1, v6, v7, v1
	s_waitcnt lgkmcnt(0)
	s_add_u32 s4, s18, s20
	s_addc_u32 s13, s19, s21
	s_delay_alu instid0(VALU_DEP_2) | instskip(SKIP_1) | instid1(VALU_DEP_2)
	v_add_co_u32 v2, vcc_lo, s4, v2
	v_add_co_ci_u32_e32 v3, vcc_lo, s13, v3, vcc_lo
	v_add_co_u32 v2, vcc_lo, v2, v73
	s_delay_alu instid0(VALU_DEP_2)
	v_add_co_ci_u32_e32 v3, vcc_lo, 0, v3, vcc_lo
	global_load_b128 v[2:5], v[2:3], off
	s_waitcnt vmcnt(0)
	ds_store_b128 v1, v[2:5]
.LBB1844_10:
	s_or_b32 exec_lo, exec_lo, s7
	v_and_b32_e32 v1, 0xef, v0
	s_add_i32 s4, s17, 15
	s_clause 0x1
	s_load_b32 s7, s[0:1], 0x38
	s_load_b32 s18, s[0:1], 0x1c
	s_ashr_i32 s13, s4, 31
	v_add_nc_u32_e32 v2, s12, v1
	s_lshr_b32 s13, s13, 28
	s_waitcnt lgkmcnt(0)
	s_add_i32 s4, s4, s13
	s_barrier
	v_ashrrev_i32_e32 v1, 31, v2
	s_ashr_i32 s4, s4, 4
	v_cmp_gt_i32_e32 vcc_lo, s17, v2
	s_add_i32 s4, s4, -1
	buffer_gl0_inv
	v_lshrrev_b32_e32 v3, 28, v1
	v_or_b32_e32 v1, 16, v2
	s_mul_i32 s15, s15, s6
	s_delay_alu instid0(VALU_DEP_2) | instskip(SKIP_1) | instid1(SALU_CYCLE_1)
	v_add_nc_u32_e32 v4, v2, v3
	s_mul_i32 s20, s30, s7
	s_ashr_i32 s21, s20, 31
	s_delay_alu instid0(VALU_DEP_1) | instskip(SKIP_2) | instid1(SALU_CYCLE_1)
	v_ashrrev_i32_e32 v4, 4, v4
	v_add_nc_u32_e32 v3, v1, v3
	s_lshl_b64 s[20:21], s[20:21], 2
	s_add_u32 s2, s2, s20
	s_delay_alu instid0(VALU_DEP_2) | instskip(NEXT) | instid1(VALU_DEP_2)
	v_cndmask_b32_e32 v2, s4, v4, vcc_lo
	v_ashrrev_i32_e32 v3, 4, v3
	v_cmp_gt_i32_e32 vcc_lo, s17, v1
	s_addc_u32 s3, s3, s21
	s_ashr_i32 s6, s15, 31
	s_add_u32 s7, s8, s15
	s_addc_u32 s13, s9, s6
	v_cndmask_b32_e32 v4, s4, v3, vcc_lo
	v_ashrrev_i32_e32 v3, 31, v2
	s_lshl_b32 s8, s14, 4
	s_delay_alu instid0(SALU_CYCLE_1) | instskip(NEXT) | instid1(VALU_DEP_2)
	s_ashr_i32 s9, s8, 31
	v_ashrrev_i32_e32 v5, 31, v4
	s_delay_alu instid0(VALU_DEP_2) | instskip(SKIP_1) | instid1(SALU_CYCLE_1)
	v_lshlrev_b64 v[1:2], 2, v[2:3]
	s_lshl_b64 s[8:9], s[8:9], 2
	s_add_u32 s8, s2, s8
	s_delay_alu instid0(VALU_DEP_2) | instskip(SKIP_1) | instid1(VALU_DEP_2)
	v_lshlrev_b64 v[3:4], 2, v[4:5]
	s_addc_u32 s9, s3, s9
	v_add_co_u32 v1, vcc_lo, s2, v1
	v_add_co_ci_u32_e32 v2, vcc_lo, s3, v2, vcc_lo
	s_delay_alu instid0(VALU_DEP_3) | instskip(NEXT) | instid1(VALU_DEP_4)
	v_add_co_u32 v3, vcc_lo, s2, v3
	v_add_co_ci_u32_e32 v4, vcc_lo, s3, v4, vcc_lo
	s_clause 0x1
	global_load_b32 v5, v[1:2], off
	global_load_b32 v3, v[3:4], off
	v_lshlrev_b32_e32 v1, 4, v0
	s_or_b32 s16, s12, 32
	s_delay_alu instid0(SALU_CYCLE_1) | instskip(SKIP_1) | instid1(VALU_DEP_1)
	s_ashr_i32 s19, s16, 4
	s_cmp_lt_i32 s16, s17
	v_and_b32_e32 v1, 0xf0, v1
	s_cselect_b32 s20, s19, s4
	s_delay_alu instid0(SALU_CYCLE_1) | instskip(NEXT) | instid1(SALU_CYCLE_1)
	s_ashr_i32 s21, s20, 31
	s_lshl_b64 s[20:21], s[20:21], 2
	s_delay_alu instid0(VALU_DEP_1)
	v_add_co_u32 v1, s7, s7, v1
	s_add_u32 s20, s2, s20
	s_addc_u32 s21, s3, s21
	s_or_b32 s16, s12, 64
	v_add_co_ci_u32_e64 v2, null, s13, 0, s7
	s_ashr_i32 s19, s16, 4
	s_cmp_lt_i32 s16, s17
	s_cselect_b32 s22, s19, s4
	s_delay_alu instid0(SALU_CYCLE_1) | instskip(NEXT) | instid1(SALU_CYCLE_1)
	s_ashr_i32 s23, s22, 31
	s_lshl_b64 s[22:23], s[22:23], 2
	s_delay_alu instid0(SALU_CYCLE_1) | instskip(SKIP_2) | instid1(SALU_CYCLE_1)
	s_add_u32 s22, s2, s22
	s_addc_u32 s23, s3, s23
	s_or_b32 s16, s12, 0x60
	s_ashr_i32 s19, s16, 4
	s_cmp_lt_i32 s16, s17
	s_cselect_b32 s24, s19, s4
	s_delay_alu instid0(SALU_CYCLE_1) | instskip(NEXT) | instid1(SALU_CYCLE_1)
	s_ashr_i32 s25, s24, 31
	s_lshl_b64 s[24:25], s[24:25], 2
	s_delay_alu instid0(SALU_CYCLE_1) | instskip(SKIP_2) | instid1(SALU_CYCLE_1)
	s_add_u32 s24, s2, s24
	s_addc_u32 s25, s3, s25
	s_or_b32 s16, s12, 0x80
	;; [unrolled: 10-line block ×3, first 2 shown]
	s_ashr_i32 s19, s16, 4
	s_cmp_lt_i32 s16, s17
	s_cselect_b32 s28, s19, s4
	s_delay_alu instid0(SALU_CYCLE_1) | instskip(NEXT) | instid1(SALU_CYCLE_1)
	s_ashr_i32 s29, s28, 31
	s_lshl_b64 s[28:29], s[28:29], 2
	s_delay_alu instid0(SALU_CYCLE_1)
	s_add_u32 s28, s2, s28
	s_addc_u32 s29, s3, s29
	s_clause 0x5
	s_load_b32 s7, s[8:9], 0x0
	s_load_b32 s13, s[20:21], 0x0
	;; [unrolled: 1-line block ×6, first 2 shown]
	s_or_b32 s8, s12, 0xc0
	s_mov_b32 s20, 0
	s_ashr_i32 s9, s8, 4
	s_cmp_lt_i32 s8, s17
	s_mov_b32 s27, s20
	s_cselect_b32 s8, s9, s4
	s_mov_b32 s21, s20
	s_ashr_i32 s9, s8, 31
	s_mov_b32 s22, s20
	s_lshl_b64 s[8:9], s[8:9], 2
	s_mov_b32 s23, s20
	s_mov_b32 s24, s20
	;; [unrolled: 1-line block ×4, first 2 shown]
	v_dual_mov_b32 v107, s27 :: v_dual_mov_b32 v104, s24
	s_add_u32 s8, s2, s8
	v_dual_mov_b32 v106, s26 :: v_dual_mov_b32 v105, s25
	v_dual_mov_b32 v101, s21 :: v_dual_mov_b32 v100, s20
	s_addc_u32 s9, s3, s9
	v_dual_mov_b32 v103, s23 :: v_dual_mov_b32 v102, s22
	s_or_b32 s20, s12, 0xe0
	s_delay_alu instid0(SALU_CYCLE_1) | instskip(SKIP_2) | instid1(SALU_CYCLE_1)
	s_ashr_i32 s21, s20, 4
	s_cmp_lt_i32 s20, s17
	s_cselect_b32 s20, s21, s4
	s_ashr_i32 s21, s20, 31
	s_delay_alu instid0(SALU_CYCLE_1) | instskip(NEXT) | instid1(SALU_CYCLE_1)
	s_lshl_b64 s[20:21], s[20:21], 2
	s_add_u32 s2, s2, s20
	s_addc_u32 s3, s3, s21
	s_waitcnt vmcnt(1)
	v_mad_i64_i32 v[25:26], null, v5, s5, v[1:2]
	s_waitcnt vmcnt(0)
	v_mad_i64_i32 v[27:28], null, v3, s5, v[1:2]
	s_clause 0xf
	global_load_b128 v[1:4], v[25:26], off
	global_load_b128 v[5:8], v[25:26], off offset:256
	global_load_b128 v[9:12], v[27:28], off
	global_load_b128 v[13:16], v[27:28], off offset:256
	global_load_b128 v[17:20], v[25:26], off offset:512
	;; [unrolled: 1-line block ×13, first 2 shown]
	v_mul_lo_u16 v25, v65, 37
	v_lshlrev_b32_e32 v26, 4, v65
	s_delay_alu instid0(VALU_DEP_2) | instskip(NEXT) | instid1(VALU_DEP_2)
	v_lshrrev_b16 v25, 8, v25
	v_lshl_or_b32 v33, v66, 8, v26
	s_delay_alu instid0(VALU_DEP_2) | instskip(NEXT) | instid1(VALU_DEP_1)
	v_mul_lo_u16 v25, v25, 7
	v_sub_nc_u16 v25, v65, v25
	s_delay_alu instid0(VALU_DEP_1) | instskip(NEXT) | instid1(VALU_DEP_1)
	v_and_b32_e32 v25, 0xff, v25
	v_lshlrev_b32_e32 v72, 6, v25
	ds_load_b128 v[25:28], v72
	ds_load_b128 v[29:32], v72 offset:1024
	ds_load_b128 v[108:111], v72 offset:2048
	;; [unrolled: 1-line block ×3, first 2 shown]
	s_load_b32 s4, s[8:9], 0x0
	ds_load_b128 v[116:119], v72 offset:4096
	ds_load_b128 v[120:123], v72 offset:5120
	s_load_b32 s2, s[2:3], 0x0
	s_add_u32 s8, s10, s15
	s_addc_u32 s6, s11, s6
	v_add_co_u32 v68, s8, s8, v33
	s_delay_alu instid0(VALU_DEP_1) | instskip(SKIP_1) | instid1(VALU_DEP_1)
	v_add_co_ci_u32_e64 v69, null, s6, 0, s8
	s_waitcnt lgkmcnt(0)
	v_mad_i64_i32 v[33:34], null, s7, s5, v[68:69]
	v_mad_i64_i32 v[70:71], null, s16, s5, v[68:69]
	;; [unrolled: 1-line block ×7, first 2 shown]
	s_clause 0x3
	global_load_b128 v[41:44], v[33:34], off
	global_load_b128 v[45:48], v[33:34], off offset:16
	global_load_b128 v[33:36], v[37:38], off
	global_load_b128 v[37:40], v[37:38], off offset:16
	s_waitcnt vmcnt(18)
	v_wmma_f32_16x16x16_bf16 v[124:131], v[1:8], v[25:32], v[100:107]
	s_waitcnt vmcnt(16)
	v_wmma_f32_16x16x16_bf16 v[100:107], v[9:16], v[25:32], v[100:107]
	s_clause 0x1
	global_load_b128 v[25:28], v[70:71], off
	global_load_b128 v[29:32], v[70:71], off offset:16
	s_waitcnt vmcnt(16)
	v_wmma_f32_16x16x16_bf16 v[124:131], v[17:24], v[108:115], v[124:131]
	s_clause 0x1
	global_load_b128 v[17:20], v[132:133], off
	global_load_b128 v[21:24], v[132:133], off offset:16
	s_waitcnt vmcnt(16)
	v_wmma_f32_16x16x16_bf16 v[100:107], v[49:56], v[108:115], v[100:107]
	v_mad_i64_i32 v[53:54], null, s2, s5, v[68:69]
	s_clause 0x3
	global_load_b128 v[1:4], v[134:135], off
	global_load_b128 v[5:8], v[134:135], off offset:16
	global_load_b128 v[9:12], v[136:137], off
	global_load_b128 v[13:16], v[136:137], off offset:16
	s_waitcnt vmcnt(18)
	v_wmma_f32_16x16x16_bf16 v[124:131], v[57:64], v[116:123], v[124:131]
	s_clause 0x3
	global_load_b128 v[57:60], v[138:139], off
	global_load_b128 v[61:64], v[138:139], off offset:16
	global_load_b128 v[49:52], v[53:54], off
	global_load_b128 v[53:56], v[53:54], off offset:16
	v_mbcnt_lo_u32_b32 v69, -1, 0
	s_waitcnt vmcnt(20)
	v_wmma_f32_16x16x16_bf16 v[100:107], v[76:83], v[116:123], v[100:107]
	s_delay_alu instid0(VALU_DEP_2) | instskip(NEXT) | instid1(VALU_DEP_1)
	v_xor_b32_e32 v70, 16, v69
	v_cmp_gt_i32_e32 vcc_lo, 32, v70
	v_cndmask_b32_e32 v69, v69, v70, vcc_lo
	ds_load_b128 v[76:79], v72 offset:6144
	ds_load_b128 v[80:83], v72 offset:7168
	s_waitcnt vmcnt(0) lgkmcnt(0)
	s_barrier
	buffer_gl0_inv
	v_wmma_f32_16x16x16_bf16 v[124:131], v[84:91], v[76:83], v[124:131]
	v_and_b32_e32 v68, 0xe0, v0
	v_wmma_f32_16x16x16_bf16 v[100:107], v[92:99], v[76:83], v[100:107]
	s_delay_alu instid0(VALU_DEP_2) | instskip(NEXT) | instid1(VALU_DEP_4)
	v_dual_mul_f32 v79, s18, v127 :: v_dual_add_nc_u32 v68, s12, v68
	v_mul_f32_e32 v81, s18, v129
	v_dual_mul_f32 v78, s18, v125 :: v_dual_mul_f32 v83, s18, v131
	s_delay_alu instid0(VALU_DEP_4) | instskip(NEXT) | instid1(VALU_DEP_4)
	v_dual_mul_f32 v80, s18, v126 :: v_dual_mul_f32 v95, s18, v103
	v_or_b32_e32 v68, v68, v74
	v_dual_mul_f32 v93, s18, v101 :: v_dual_mul_f32 v82, s18, v128
	v_dual_mul_f32 v97, s18, v105 :: v_dual_mul_f32 v92, s18, v130
	v_mul_f32_e32 v99, s18, v107
	s_delay_alu instid0(VALU_DEP_4)
	v_or_b32_e32 v70, 2, v68
	v_or_b32_e32 v71, 4, v68
	;; [unrolled: 1-line block ×3, first 2 shown]
	v_cmp_gt_i32_e64 s2, s17, v68
	v_or_b32_e32 v108, 8, v68
	v_cmp_gt_i32_e32 vcc_lo, s17, v70
	v_mul_f32_e32 v70, s18, v124
	v_or_b32_e32 v109, 10, v68
	v_cmp_gt_i32_e64 s3, s17, v71
	v_cmp_gt_i32_e64 s4, s17, v72
	v_cndmask_b32_e32 v78, 0xff7fffff, v78, vcc_lo
	v_cndmask_b32_e64 v70, 0xff7fffff, v70, s2
	v_or_b32_e32 v84, 12, v68
	v_or_b32_e32 v85, 14, v68
	v_cndmask_b32_e64 v71, 0xff7fffff, v80, s3
	v_cndmask_b32_e64 v72, 0xff7fffff, v79, s4
	v_max3_f32 v70, v70, 0xff7fffff, v78
	v_cmp_gt_i32_e64 s5, s17, v108
	v_cmp_gt_i32_e64 s6, s17, v109
	v_or_b32_e32 v86, 16, v68
	v_or_b32_e32 v87, 18, v68
	v_max3_f32 v70, v70, v71, v72
	v_cndmask_b32_e64 v78, 0xff7fffff, v82, s5
	v_cndmask_b32_e64 v79, 0xff7fffff, v81, s6
	v_cmp_gt_i32_e64 s7, s17, v84
	v_cmp_gt_i32_e64 s8, s17, v85
	v_or_b32_e32 v88, 20, v68
	v_or_b32_e32 v89, 22, v68
	v_mul_f32_e32 v94, s18, v100
	v_cndmask_b32_e64 v71, 0xff7fffff, v92, s7
	v_cndmask_b32_e64 v72, 0xff7fffff, v83, s8
	v_max3_f32 v70, v70, v78, v79
	v_cmp_gt_i32_e64 s9, s17, v86
	v_cmp_gt_i32_e64 s10, s17, v87
	v_or_b32_e32 v90, 24, v68
	v_or_b32_e32 v91, 26, v68
	v_mul_f32_e32 v96, s18, v102
	v_max3_f32 v70, v70, v71, v72
	v_cndmask_b32_e64 v79, 0xff7fffff, v93, s10
	v_cmp_gt_i32_e64 s11, s17, v88
	v_cmp_gt_i32_e64 s12, s17, v89
	v_lshlrev_b32_e32 v89, 2, v69
	v_cndmask_b32_e64 v78, 0xff7fffff, v94, s9
	v_or_b32_e32 v76, 28, v68
	v_or_b32_e32 v77, 30, v68
	v_mul_f32_e32 v98, s18, v104
	v_cndmask_b32_e64 v71, 0xff7fffff, v96, s11
	v_cndmask_b32_e64 v72, 0xff7fffff, v95, s12
	v_max3_f32 v70, v70, v78, v79
	v_cmp_gt_i32_e64 s13, s17, v90
	v_cmp_gt_i32_e64 s15, s17, v91
	v_mul_f32_e32 v68, s18, v106
	v_cmp_gt_i32_e64 s16, s17, v76
	v_max3_f32 v70, v70, v71, v72
	v_cndmask_b32_e64 v78, 0xff7fffff, v98, s13
	v_cndmask_b32_e64 v79, 0xff7fffff, v97, s15
	v_cmp_gt_i32_e64 s17, s17, v77
	v_cndmask_b32_e64 v68, 0xff7fffff, v68, s16
	s_delay_alu instid0(VALU_DEP_3) | instskip(NEXT) | instid1(VALU_DEP_3)
	v_max3_f32 v70, v70, v78, v79
	v_cndmask_b32_e64 v71, 0xff7fffff, v99, s17
	s_delay_alu instid0(VALU_DEP_1) | instskip(SKIP_3) | instid1(VALU_DEP_1)
	v_max3_f32 v68, v70, v68, v71
	ds_bpermute_b32 v69, v89, v68
	s_waitcnt lgkmcnt(0)
	v_max_f32_e32 v69, v69, v69
	v_max_f32_e32 v68, v68, v69
	s_delay_alu instid0(VALU_DEP_1) | instskip(NEXT) | instid1(VALU_DEP_1)
	v_fma_f32 v76, s18, v128, -v68
	v_mul_f32_e32 v77, 0x3fb8aa3b, v76
	v_fma_f32 v71, s18, v126, -v68
	v_fma_f32 v69, s18, v124, -v68
	;; [unrolled: 1-line block ×4, first 2 shown]
	v_exp_f32_e32 v77, v77
	v_mul_f32_e32 v71, 0x3fb8aa3b, v71
	v_mul_f32_e32 v69, 0x3fb8aa3b, v69
	v_fma_f32 v81, s18, v105, -v68
	v_fma_f32 v78, s18, v130, -v68
	s_delay_alu instid0(VALU_DEP_4) | instskip(NEXT) | instid1(VALU_DEP_3)
	v_exp_f32_e32 v71, v71
	v_exp_f32_e32 v69, v69
	s_delay_alu instid0(VALU_DEP_2) | instskip(NEXT) | instid1(TRANS32_DEP_3)
	v_mul_f32_e32 v81, 0x3fb8aa3b, v81
	v_cndmask_b32_e64 v86, 0, v77, s5
	v_fma_f32 v77, s18, v101, -v68
	s_delay_alu instid0(VALU_DEP_3) | instskip(NEXT) | instid1(TRANS32_DEP_3)
	v_exp_f32_e32 v81, v81
	v_cndmask_b32_e64 v83, 0, v71, s3
	v_fma_f32 v71, s18, v131, -v68
	v_mul_f32_e32 v72, 0x3fb8aa3b, v72
	s_delay_alu instid0(TRANS32_DEP_2) | instskip(SKIP_1) | instid1(VALU_DEP_4)
	v_cndmask_b32_e64 v80, 0, v69, s2
	v_fma_f32 v69, s18, v129, -v68
	v_dual_mul_f32 v70, 0x3fb8aa3b, v70 :: v_dual_mul_f32 v71, 0x3fb8aa3b, v71
	s_delay_alu instid0(VALU_DEP_4) | instskip(SKIP_1) | instid1(VALU_DEP_3)
	v_exp_f32_e32 v72, v72
	v_mul_f32_e32 v77, 0x3fb8aa3b, v77
	v_mul_f32_e32 v69, 0x3fb8aa3b, v69
	s_delay_alu instid0(VALU_DEP_3)
	v_exp_f32_e32 v70, v70
	v_exp_f32_e32 v71, v71
	v_cmp_gt_u32_e64 s2, 16, v67
	v_exp_f32_e32 v77, v77
	v_exp_f32_e32 v69, v69
	v_cndmask_b32_e64 v85, 0, v72, s4
	v_fma_f32 v72, s18, v100, -v68
	v_cndmask_b32_e32 v76, 0, v70, vcc_lo
	s_delay_alu instid0(TRANS32_DEP_3) | instskip(SKIP_2) | instid1(TRANS32_DEP_1)
	v_cndmask_b32_e64 v88, 0, v71, s8
	v_fma_f32 v71, s18, v104, -v68
	v_add_f32_e32 v70, 0, v80
	v_cndmask_b32_e64 v87, 0, v69, s6
	s_delay_alu instid0(VALU_DEP_2) | instskip(NEXT) | instid1(VALU_DEP_1)
	v_dual_mul_f32 v71, 0x3fb8aa3b, v71 :: v_dual_add_f32 v70, v70, v76
	v_exp_f32_e32 v82, v71
	s_delay_alu instid0(VALU_DEP_1) | instskip(NEXT) | instid1(VALU_DEP_1)
	v_add_f32_e32 v70, v70, v83
	v_add_f32_e32 v70, v70, v85
	s_delay_alu instid0(VALU_DEP_1) | instskip(SKIP_1) | instid1(VALU_DEP_2)
	v_dual_mul_f32 v72, 0x3fb8aa3b, v72 :: v_dual_add_f32 v69, v70, v86
	v_fma_f32 v70, s18, v102, -v68
	v_exp_f32_e32 v72, v72
	s_delay_alu instid0(VALU_DEP_2) | instskip(NEXT) | instid1(VALU_DEP_2)
	v_dual_add_f32 v69, v69, v87 :: v_dual_mul_f32 v78, 0x3fb8aa3b, v78
	v_mul_f32_e32 v70, 0x3fb8aa3b, v70
	s_delay_alu instid0(VALU_DEP_2) | instskip(NEXT) | instid1(VALU_DEP_1)
	v_exp_f32_e32 v78, v78
	v_exp_f32_e32 v79, v70
	s_delay_alu instid0(TRANS32_DEP_3) | instskip(SKIP_4) | instid1(VALU_DEP_3)
	v_cndmask_b32_e64 v70, 0, v72, s9
	s_waitcnt_depctr 0xfff
	v_cndmask_b32_e64 v84, 0, v78, s7
	v_fma_f32 v78, s18, v103, -v68
	v_cndmask_b32_e64 v71, 0, v79, s11
	v_add_f32_e32 v69, v69, v84
	s_delay_alu instid0(VALU_DEP_1) | instskip(SKIP_2) | instid1(VALU_DEP_1)
	v_add_f32_e32 v72, v69, v88
	v_cndmask_b32_e64 v69, 0, v77, s10
	v_fma_f32 v77, s18, v106, -v68
	v_dual_add_f32 v72, v72, v70 :: v_dual_mul_f32 v77, 0x3fb8aa3b, v77
	s_delay_alu instid0(VALU_DEP_1) | instskip(NEXT) | instid1(VALU_DEP_2)
	v_add_f32_e32 v79, v72, v69
	v_exp_f32_e32 v90, v77
	v_cndmask_b32_e64 v77, 0, v82, s13
	v_mul_f32_e32 v78, 0x3fb8aa3b, v78
	s_delay_alu instid0(VALU_DEP_1) | instskip(SKIP_4) | instid1(VALU_DEP_1)
	v_exp_f32_e32 v78, v78
	s_waitcnt_depctr 0xfff
	v_cndmask_b32_e64 v72, 0, v78, s12
	v_add_f32_e32 v78, v79, v71
	v_fma_f32 v79, s18, v107, -v68
	v_dual_add_f32 v82, v78, v72 :: v_dual_mul_f32 v79, 0x3fb8aa3b, v79
	v_cndmask_b32_e64 v78, 0, v81, s15
	s_delay_alu instid0(VALU_DEP_2) | instskip(NEXT) | instid1(VALU_DEP_3)
	v_add_f32_e32 v81, v82, v77
	v_exp_f32_e32 v82, v79
	v_cndmask_b32_e64 v79, 0, v90, s16
	s_delay_alu instid0(VALU_DEP_2) | instskip(NEXT) | instid1(VALU_DEP_1)
	v_add_f32_e32 v81, v81, v78
	v_add_f32_e32 v90, v81, v79
	s_waitcnt_depctr 0xfff
	v_cndmask_b32_e64 v81, 0, v82, s17
	s_delay_alu instid0(VALU_DEP_1)
	v_add_f32_e32 v82, v90, v81
	ds_bpermute_b32 v89, v89, v82
	s_and_saveexec_b32 s3, s2
	s_cbranch_execz .LBB1844_12
; %bb.11:
	v_mul_u32_u24_e32 v67, 0x44, v66
	s_delay_alu instid0(VALU_DEP_1) | instskip(SKIP_1) | instid1(VALU_DEP_1)
	v_lshl_add_u32 v67, v65, 2, v67
	s_waitcnt lgkmcnt(0)
	v_dual_add_f32 v82, v82, v89 :: v_dual_add_nc_u32 v67, 0x4000, v67
	ds_store_2addr_b32 v67, v68, v82 offset1:136
.LBB1844_12:
	s_or_b32 exec_lo, exec_lo, s3
	v_lshlrev_b32_e32 v67, 2, v65
	s_waitcnt lgkmcnt(0)
	s_barrier
	buffer_gl0_inv
	v_cmp_eq_u32_e32 vcc_lo, 1, v66
	v_add_nc_u32_e32 v82, 0x4000, v67
	v_cmp_eq_u32_e64 s3, 2, v66
	v_cmp_eq_u32_e64 s5, 7, v66
	ds_load_2addr_b32 v[89:90], v82 offset1:17
	ds_load_2addr_b32 v[91:92], v82 offset0:34 offset1:51
	ds_load_2addr_b32 v[93:94], v82 offset0:68 offset1:85
	;; [unrolled: 1-line block ×4, first 2 shown]
	s_waitcnt lgkmcnt(4)
	v_max3_f32 v67, v89, 0xff7fffff, v90
	s_waitcnt lgkmcnt(3)
	s_delay_alu instid0(VALU_DEP_1) | instskip(SKIP_1) | instid1(VALU_DEP_1)
	v_max3_f32 v67, v67, v91, v92
	s_waitcnt lgkmcnt(2)
	v_max3_f32 v67, v67, v93, v94
	s_waitcnt lgkmcnt(1)
	s_delay_alu instid0(VALU_DEP_1) | instskip(NEXT) | instid1(VALU_DEP_1)
	v_max3_f32 v67, v67, v95, v96
	v_sub_f32_e32 v93, v93, v67
	s_delay_alu instid0(VALU_DEP_1) | instskip(NEXT) | instid1(VALU_DEP_1)
	v_dual_sub_f32 v68, v89, v67 :: v_dual_mul_f32 v103, 0x3fb8aa3b, v93
	v_mul_f32_e32 v68, 0x3fb8aa3b, v68
	s_delay_alu instid0(VALU_DEP_1)
	v_exp_f32_e32 v100, v68
	v_sub_f32_e32 v68, v92, v67
	v_sub_f32_e32 v99, v90, v67
	ds_load_2addr_b32 v[89:90], v82 offset0:170 offset1:187
	v_dual_mul_f32 v102, 0x3fb8aa3b, v68 :: v_dual_mul_f32 v99, 0x3fb8aa3b, v99
	s_waitcnt lgkmcnt(1)
	v_fma_f32 v68, v100, v97, 0
	s_delay_alu instid0(VALU_DEP_2) | instskip(NEXT) | instid1(VALU_DEP_2)
	v_exp_f32_e32 v102, v102
	v_exp_f32_e32 v99, v99
	s_waitcnt_depctr 0xfff
	v_fmac_f32_e32 v68, v99, v98
	v_sub_f32_e32 v91, v91, v67
	s_delay_alu instid0(VALU_DEP_1)
	v_mul_f32_e32 v101, 0x3fb8aa3b, v91
	ds_load_2addr_b32 v[91:92], v82 offset0:204 offset1:221
	v_sub_f32_e32 v97, v94, v67
	ds_load_2addr_b32 v[93:94], v82 offset0:238 offset1:255
	s_waitcnt lgkmcnt(0)
	v_exp_f32_e32 v101, v101
	s_barrier
	buffer_gl0_inv
	v_dual_fmac_f32 v68, v101, v89 :: v_dual_sub_f32 v89, v96, v67
	v_dual_sub_f32 v82, v95, v67 :: v_dual_mul_f32 v95, 0x3fb8aa3b, v97
	v_exp_f32_e32 v97, v103
	s_delay_alu instid0(VALU_DEP_2) | instskip(NEXT) | instid1(VALU_DEP_2)
	v_dual_fmac_f32 v68, v102, v90 :: v_dual_mul_f32 v89, 0x3fb8aa3b, v89
	v_mul_f32_e32 v82, 0x3fb8aa3b, v82
	s_delay_alu instid0(VALU_DEP_3) | instskip(NEXT) | instid1(VALU_DEP_2)
	v_exp_f32_e32 v95, v95
	v_exp_f32_e32 v89, v89
	s_delay_alu instid0(VALU_DEP_1)
	v_exp_f32_e32 v82, v82
	v_fmac_f32_e32 v68, v97, v91
	s_delay_alu instid0(TRANS32_DEP_3) | instid1(VALU_DEP_1)
	v_fmac_f32_e32 v68, v95, v92
	s_waitcnt_depctr 0xfff
	v_fmac_f32_e32 v68, v82, v93
	s_delay_alu instid0(VALU_DEP_1) | instskip(NEXT) | instid1(VALU_DEP_1)
	v_fmac_f32_e32 v68, v89, v94
	v_add_f32_e32 v90, 0x358637bd, v68
	s_delay_alu instid0(VALU_DEP_1) | instskip(NEXT) | instid1(VALU_DEP_1)
	v_div_scale_f32 v91, null, v90, v90, 1.0
	v_rcp_f32_e32 v92, v91
	s_waitcnt_depctr 0xfff
	v_fma_f32 v93, -v91, v92, 1.0
	s_delay_alu instid0(VALU_DEP_1) | instskip(SKIP_1) | instid1(VALU_DEP_2)
	v_dual_fmac_f32 v92, v93, v92 :: v_dual_cndmask_b32 v93, v100, v99
	v_cmp_eq_u32_e32 vcc_lo, 3, v66
	v_cndmask_b32_e64 v93, v93, v101, s3
	v_cmp_eq_u32_e64 s3, 4, v66
	s_delay_alu instid0(VALU_DEP_2) | instskip(SKIP_1) | instid1(VALU_DEP_2)
	v_cndmask_b32_e32 v93, v93, v102, vcc_lo
	v_cmp_eq_u32_e32 vcc_lo, 5, v66
	v_cndmask_b32_e64 v93, v93, v97, s3
	v_cmp_eq_u32_e64 s3, 6, v66
	s_delay_alu instid0(VALU_DEP_2) | instskip(SKIP_1) | instid1(VALU_DEP_1)
	v_cndmask_b32_e32 v93, v93, v95, vcc_lo
	v_div_scale_f32 v94, s4, 1.0, v90, 1.0
	s_mov_b32 vcc_lo, s4
	s_delay_alu instid0(VALU_DEP_2) | instskip(NEXT) | instid1(VALU_DEP_2)
	v_cndmask_b32_e64 v82, v93, v82, s3
	v_mul_f32_e32 v96, v94, v92
	s_mov_b32 s3, exec_lo
	s_delay_alu instid0(VALU_DEP_2) | instskip(NEXT) | instid1(VALU_DEP_2)
	v_cndmask_b32_e64 v82, v82, v89, s5
	v_fma_f32 v98, -v91, v96, v94
	s_delay_alu instid0(VALU_DEP_1) | instskip(NEXT) | instid1(VALU_DEP_1)
	v_fmac_f32_e32 v96, v98, v92
	v_fma_f32 v91, -v91, v96, v94
	s_delay_alu instid0(VALU_DEP_1) | instskip(NEXT) | instid1(VALU_DEP_1)
	v_div_fmas_f32 v91, v91, v92, v96
	v_div_fixup_f32 v90, v91, v90, 1.0
	s_delay_alu instid0(VALU_DEP_1) | instskip(NEXT) | instid1(VALU_DEP_1)
	v_mul_f32_e32 v82, v82, v90
	v_mul_f32_e32 v87, v82, v87
	;; [unrolled: 1-line block ×7, first 2 shown]
	v_dual_mul_f32 v86, v82, v83 :: v_dual_and_b32 v91, 0x7f800000, v90
	v_mul_f32_e32 v85, v82, v76
                                        ; implicit-def: $vgpr76
	s_delay_alu instid0(VALU_DEP_2)
	v_cmpx_ne_u32_e32 0x7f800000, v91
	s_xor_b32 s3, exec_lo, s3
; %bb.13:
	v_bfe_u32 v76, v90, 16, 1
	s_delay_alu instid0(VALU_DEP_1)
	v_add3_u32 v76, v90, v76, 0x7fff
                                        ; implicit-def: $vgpr90
; %bb.14:
	s_and_not1_saveexec_b32 s3, s3
; %bb.15:
	v_and_b32_e32 v76, 0xffff, v90
	v_or_b32_e32 v83, 0x10000, v90
	s_delay_alu instid0(VALU_DEP_2) | instskip(NEXT) | instid1(VALU_DEP_2)
	v_cmp_eq_u32_e32 vcc_lo, 0, v76
	v_cndmask_b32_e32 v76, v83, v90, vcc_lo
; %bb.16:
	s_or_b32 exec_lo, exec_lo, s3
	v_and_b32_e32 v83, 0x7f800000, v85
	s_delay_alu instid0(VALU_DEP_1) | instskip(SKIP_1) | instid1(SALU_CYCLE_1)
	v_cmp_ne_u32_e32 vcc_lo, 0x7f800000, v83
                                        ; implicit-def: $vgpr83
	s_and_saveexec_b32 s3, vcc_lo
	s_xor_b32 s3, exec_lo, s3
; %bb.17:
	v_bfe_u32 v83, v85, 16, 1
	s_delay_alu instid0(VALU_DEP_1)
	v_add3_u32 v83, v85, v83, 0x7fff
                                        ; implicit-def: $vgpr85
; %bb.18:
	s_and_not1_saveexec_b32 s3, s3
; %bb.19:
	v_and_b32_e32 v83, 0xffff, v85
	v_or_b32_e32 v90, 0x10000, v85
	s_delay_alu instid0(VALU_DEP_2) | instskip(NEXT) | instid1(VALU_DEP_2)
	v_cmp_eq_u32_e32 vcc_lo, 0, v83
	v_cndmask_b32_e32 v83, v90, v85, vcc_lo
; %bb.20:
	s_or_b32 exec_lo, exec_lo, s3
	v_and_b32_e32 v85, 0x7f800000, v86
	s_delay_alu instid0(VALU_DEP_1) | instskip(SKIP_1) | instid1(SALU_CYCLE_1)
	v_cmp_ne_u32_e32 vcc_lo, 0x7f800000, v85
                                        ; implicit-def: $vgpr85
	s_and_saveexec_b32 s3, vcc_lo
	s_xor_b32 s3, exec_lo, s3
; %bb.21:
	v_bfe_u32 v85, v86, 16, 1
	s_delay_alu instid0(VALU_DEP_1)
	v_add3_u32 v85, v86, v85, 0x7fff
                                        ; implicit-def: $vgpr86
; %bb.22:
	s_and_not1_saveexec_b32 s3, s3
; %bb.23:
	v_and_b32_e32 v85, 0xffff, v86
	v_or_b32_e32 v90, 0x10000, v86
	s_delay_alu instid0(VALU_DEP_2) | instskip(NEXT) | instid1(VALU_DEP_2)
	v_cmp_eq_u32_e32 vcc_lo, 0, v85
	v_cndmask_b32_e32 v85, v90, v86, vcc_lo
; %bb.24:
	s_or_b32 exec_lo, exec_lo, s3
	v_and_b32_e32 v86, 0x7f800000, v89
	s_delay_alu instid0(VALU_DEP_1) | instskip(SKIP_1) | instid1(SALU_CYCLE_1)
	v_cmp_ne_u32_e32 vcc_lo, 0x7f800000, v86
                                        ; implicit-def: $vgpr86
	s_and_saveexec_b32 s3, vcc_lo
	s_xor_b32 s3, exec_lo, s3
; %bb.25:
	v_bfe_u32 v86, v89, 16, 1
	s_delay_alu instid0(VALU_DEP_1)
	v_add3_u32 v86, v89, v86, 0x7fff
                                        ; implicit-def: $vgpr89
; %bb.26:
	s_and_not1_saveexec_b32 s3, s3
; %bb.27:
	v_and_b32_e32 v86, 0xffff, v89
	v_or_b32_e32 v90, 0x10000, v89
	s_delay_alu instid0(VALU_DEP_2) | instskip(NEXT) | instid1(VALU_DEP_2)
	v_cmp_eq_u32_e32 vcc_lo, 0, v86
	v_cndmask_b32_e32 v86, v90, v89, vcc_lo
; %bb.28:
	s_or_b32 exec_lo, exec_lo, s3
	v_and_b32_e32 v89, 0x7f800000, v88
	s_delay_alu instid0(VALU_DEP_1) | instskip(SKIP_1) | instid1(SALU_CYCLE_1)
	v_cmp_ne_u32_e32 vcc_lo, 0x7f800000, v89
                                        ; implicit-def: $vgpr89
	s_and_saveexec_b32 s3, vcc_lo
	s_xor_b32 s3, exec_lo, s3
; %bb.29:
	v_bfe_u32 v89, v88, 16, 1
	s_delay_alu instid0(VALU_DEP_1)
	v_add3_u32 v89, v88, v89, 0x7fff
                                        ; implicit-def: $vgpr88
; %bb.30:
	s_and_not1_saveexec_b32 s3, s3
; %bb.31:
	v_and_b32_e32 v89, 0xffff, v88
	v_or_b32_e32 v90, 0x10000, v88
	s_delay_alu instid0(VALU_DEP_2) | instskip(NEXT) | instid1(VALU_DEP_2)
	v_cmp_eq_u32_e32 vcc_lo, 0, v89
	v_cndmask_b32_e32 v89, v90, v88, vcc_lo
; %bb.32:
	s_or_b32 exec_lo, exec_lo, s3
	v_and_b32_e32 v88, 0x7f800000, v87
	s_delay_alu instid0(VALU_DEP_1) | instskip(SKIP_1) | instid1(SALU_CYCLE_1)
	v_cmp_ne_u32_e32 vcc_lo, 0x7f800000, v88
                                        ; implicit-def: $vgpr88
	s_and_saveexec_b32 s3, vcc_lo
	s_xor_b32 s3, exec_lo, s3
; %bb.33:
	v_bfe_u32 v88, v87, 16, 1
	s_delay_alu instid0(VALU_DEP_1)
	v_add3_u32 v88, v87, v88, 0x7fff
                                        ; implicit-def: $vgpr87
; %bb.34:
	s_and_not1_saveexec_b32 s3, s3
; %bb.35:
	v_and_b32_e32 v88, 0xffff, v87
	v_or_b32_e32 v90, 0x10000, v87
	s_delay_alu instid0(VALU_DEP_2) | instskip(NEXT) | instid1(VALU_DEP_2)
	v_cmp_eq_u32_e32 vcc_lo, 0, v88
	v_cndmask_b32_e32 v88, v90, v87, vcc_lo
; %bb.36:
	s_or_b32 exec_lo, exec_lo, s3
	v_and_b32_e32 v87, 0x7f800000, v84
	s_delay_alu instid0(VALU_DEP_1) | instskip(SKIP_1) | instid1(SALU_CYCLE_1)
	v_cmp_ne_u32_e32 vcc_lo, 0x7f800000, v87
                                        ; implicit-def: $vgpr87
	s_and_saveexec_b32 s3, vcc_lo
	s_xor_b32 s3, exec_lo, s3
; %bb.37:
	v_bfe_u32 v87, v84, 16, 1
	s_delay_alu instid0(VALU_DEP_1)
	v_add3_u32 v87, v84, v87, 0x7fff
                                        ; implicit-def: $vgpr84
; %bb.38:
	s_and_not1_saveexec_b32 s3, s3
; %bb.39:
	v_and_b32_e32 v87, 0xffff, v84
	v_or_b32_e32 v90, 0x10000, v84
	s_delay_alu instid0(VALU_DEP_2) | instskip(NEXT) | instid1(VALU_DEP_2)
	v_cmp_eq_u32_e32 vcc_lo, 0, v87
	v_cndmask_b32_e32 v87, v90, v84, vcc_lo
; %bb.40:
	s_or_b32 exec_lo, exec_lo, s3
	v_and_b32_e32 v84, 0x7f800000, v80
	s_delay_alu instid0(VALU_DEP_1) | instskip(SKIP_1) | instid1(SALU_CYCLE_1)
	v_cmp_ne_u32_e32 vcc_lo, 0x7f800000, v84
                                        ; implicit-def: $vgpr84
	s_and_saveexec_b32 s3, vcc_lo
	s_xor_b32 s3, exec_lo, s3
; %bb.41:
	v_bfe_u32 v84, v80, 16, 1
	s_delay_alu instid0(VALU_DEP_1)
	v_add3_u32 v84, v80, v84, 0x7fff
                                        ; implicit-def: $vgpr80
; %bb.42:
	s_and_not1_saveexec_b32 s3, s3
; %bb.43:
	v_and_b32_e32 v84, 0xffff, v80
	v_or_b32_e32 v90, 0x10000, v80
	s_delay_alu instid0(VALU_DEP_2) | instskip(NEXT) | instid1(VALU_DEP_2)
	v_cmp_eq_u32_e32 vcc_lo, 0, v84
	v_cndmask_b32_e32 v84, v90, v80, vcc_lo
; %bb.44:
	s_or_b32 exec_lo, exec_lo, s3
	s_load_b64 s[34:35], s[0:1], 0x94
	v_lshlrev_b32_e32 v91, 4, v74
	s_delay_alu instid0(VALU_DEP_2)
	v_perm_b32 v90, v84, v87, 0x7060302
	v_dual_mul_f32 v79, v82, v79 :: v_dual_lshlrev_b32 v80, 6, v65
	v_dual_mul_f32 v77, v82, v77 :: v_dual_lshlrev_b32 v92, 11, v66
	v_mul_f32_e32 v84, v82, v70
	v_perm_b32 v89, v88, v89, 0x7060302
	v_perm_b32 v88, v86, v85, 0x7060302
	;; [unrolled: 1-line block ×3, first 2 shown]
	v_mul_f32_e32 v70, v82, v81
	v_or3_b32 v76, v91, v92, v80
	v_dual_mul_f32 v78, v82, v78 :: v_dual_and_b32 v85, 0x7f800000, v84
	v_mul_f32_e32 v83, v82, v72
	v_mul_f32_e32 v81, v82, v71
	;; [unrolled: 1-line block ×3, first 2 shown]
	s_mov_b32 s3, exec_lo
	ds_store_b128 v76, v[87:90]
                                        ; implicit-def: $vgpr69
	v_cmpx_ne_u32_e32 0x7f800000, v85
	s_xor_b32 s3, exec_lo, s3
; %bb.45:
	v_bfe_u32 v69, v84, 16, 1
	s_delay_alu instid0(VALU_DEP_1)
	v_add3_u32 v69, v84, v69, 0x7fff
                                        ; implicit-def: $vgpr84
; %bb.46:
	s_and_not1_saveexec_b32 s3, s3
; %bb.47:
	v_and_b32_e32 v69, 0xffff, v84
	v_or_b32_e32 v71, 0x10000, v84
	s_delay_alu instid0(VALU_DEP_2) | instskip(NEXT) | instid1(VALU_DEP_2)
	v_cmp_eq_u32_e32 vcc_lo, 0, v69
	v_cndmask_b32_e32 v69, v71, v84, vcc_lo
; %bb.48:
	s_or_b32 exec_lo, exec_lo, s3
	v_and_b32_e32 v71, 0x7f800000, v72
	s_delay_alu instid0(VALU_DEP_1) | instskip(SKIP_1) | instid1(SALU_CYCLE_1)
	v_cmp_ne_u32_e32 vcc_lo, 0x7f800000, v71
                                        ; implicit-def: $vgpr71
	s_and_saveexec_b32 s3, vcc_lo
	s_xor_b32 s3, exec_lo, s3
; %bb.49:
	v_bfe_u32 v71, v72, 16, 1
	s_delay_alu instid0(VALU_DEP_1)
	v_add3_u32 v71, v72, v71, 0x7fff
                                        ; implicit-def: $vgpr72
; %bb.50:
	s_and_not1_saveexec_b32 s3, s3
; %bb.51:
	v_and_b32_e32 v71, 0xffff, v72
	v_or_b32_e32 v82, 0x10000, v72
	s_delay_alu instid0(VALU_DEP_2) | instskip(NEXT) | instid1(VALU_DEP_2)
	v_cmp_eq_u32_e32 vcc_lo, 0, v71
	v_cndmask_b32_e32 v71, v82, v72, vcc_lo
; %bb.52:
	s_or_b32 exec_lo, exec_lo, s3
	v_and_b32_e32 v72, 0x7f800000, v81
	s_delay_alu instid0(VALU_DEP_1) | instskip(SKIP_1) | instid1(SALU_CYCLE_1)
	v_cmp_ne_u32_e32 vcc_lo, 0x7f800000, v72
                                        ; implicit-def: $vgpr72
	s_and_saveexec_b32 s3, vcc_lo
	s_xor_b32 s3, exec_lo, s3
; %bb.53:
	v_bfe_u32 v72, v81, 16, 1
	s_delay_alu instid0(VALU_DEP_1)
	v_add3_u32 v72, v81, v72, 0x7fff
                                        ; implicit-def: $vgpr81
; %bb.54:
	s_and_not1_saveexec_b32 s3, s3
; %bb.55:
	v_and_b32_e32 v72, 0xffff, v81
	v_or_b32_e32 v82, 0x10000, v81
	s_delay_alu instid0(VALU_DEP_2) | instskip(NEXT) | instid1(VALU_DEP_2)
	v_cmp_eq_u32_e32 vcc_lo, 0, v72
	v_cndmask_b32_e32 v72, v82, v81, vcc_lo
; %bb.56:
	s_or_b32 exec_lo, exec_lo, s3
	v_and_b32_e32 v81, 0x7f800000, v83
	s_delay_alu instid0(VALU_DEP_1) | instskip(SKIP_1) | instid1(SALU_CYCLE_1)
	v_cmp_ne_u32_e32 vcc_lo, 0x7f800000, v81
                                        ; implicit-def: $vgpr81
	s_and_saveexec_b32 s3, vcc_lo
	s_xor_b32 s3, exec_lo, s3
; %bb.57:
	v_bfe_u32 v81, v83, 16, 1
	s_delay_alu instid0(VALU_DEP_1)
	v_add3_u32 v81, v83, v81, 0x7fff
                                        ; implicit-def: $vgpr83
; %bb.58:
	s_and_not1_saveexec_b32 s3, s3
; %bb.59:
	v_and_b32_e32 v81, 0xffff, v83
	v_or_b32_e32 v82, 0x10000, v83
	s_delay_alu instid0(VALU_DEP_2) | instskip(NEXT) | instid1(VALU_DEP_2)
	v_cmp_eq_u32_e32 vcc_lo, 0, v81
	v_cndmask_b32_e32 v81, v82, v83, vcc_lo
; %bb.60:
	s_or_b32 exec_lo, exec_lo, s3
	v_and_b32_e32 v82, 0x7f800000, v77
	s_delay_alu instid0(VALU_DEP_1) | instskip(SKIP_1) | instid1(SALU_CYCLE_1)
	v_cmp_ne_u32_e32 vcc_lo, 0x7f800000, v82
                                        ; implicit-def: $vgpr82
	s_and_saveexec_b32 s3, vcc_lo
	s_xor_b32 s3, exec_lo, s3
; %bb.61:
	v_bfe_u32 v82, v77, 16, 1
	s_delay_alu instid0(VALU_DEP_1)
	v_add3_u32 v82, v77, v82, 0x7fff
                                        ; implicit-def: $vgpr77
; %bb.62:
	s_and_not1_saveexec_b32 s3, s3
; %bb.63:
	v_and_b32_e32 v82, 0xffff, v77
	v_or_b32_e32 v83, 0x10000, v77
	s_delay_alu instid0(VALU_DEP_2) | instskip(NEXT) | instid1(VALU_DEP_2)
	v_cmp_eq_u32_e32 vcc_lo, 0, v82
	v_cndmask_b32_e32 v82, v83, v77, vcc_lo
; %bb.64:
	s_or_b32 exec_lo, exec_lo, s3
	v_and_b32_e32 v77, 0x7f800000, v78
	s_delay_alu instid0(VALU_DEP_1) | instskip(SKIP_1) | instid1(SALU_CYCLE_1)
	v_cmp_ne_u32_e32 vcc_lo, 0x7f800000, v77
                                        ; implicit-def: $vgpr77
	s_and_saveexec_b32 s3, vcc_lo
	s_xor_b32 s3, exec_lo, s3
; %bb.65:
	v_bfe_u32 v77, v78, 16, 1
	s_delay_alu instid0(VALU_DEP_1)
	v_add3_u32 v77, v78, v77, 0x7fff
                                        ; implicit-def: $vgpr78
; %bb.66:
	s_and_not1_saveexec_b32 s3, s3
; %bb.67:
	v_and_b32_e32 v77, 0xffff, v78
	v_or_b32_e32 v83, 0x10000, v78
	s_delay_alu instid0(VALU_DEP_2) | instskip(NEXT) | instid1(VALU_DEP_2)
	v_cmp_eq_u32_e32 vcc_lo, 0, v77
	v_cndmask_b32_e32 v77, v83, v78, vcc_lo
; %bb.68:
	s_or_b32 exec_lo, exec_lo, s3
	v_and_b32_e32 v78, 0x7f800000, v79
	s_delay_alu instid0(VALU_DEP_1) | instskip(SKIP_1) | instid1(SALU_CYCLE_1)
	v_cmp_ne_u32_e32 vcc_lo, 0x7f800000, v78
                                        ; implicit-def: $vgpr78
	s_and_saveexec_b32 s3, vcc_lo
	s_xor_b32 s3, exec_lo, s3
; %bb.69:
	v_bfe_u32 v78, v79, 16, 1
	s_delay_alu instid0(VALU_DEP_1)
	v_add3_u32 v78, v79, v78, 0x7fff
                                        ; implicit-def: $vgpr79
; %bb.70:
	s_and_not1_saveexec_b32 s3, s3
; %bb.71:
	v_and_b32_e32 v78, 0xffff, v79
	v_or_b32_e32 v83, 0x10000, v79
	s_delay_alu instid0(VALU_DEP_2) | instskip(NEXT) | instid1(VALU_DEP_2)
	v_cmp_eq_u32_e32 vcc_lo, 0, v78
	v_cndmask_b32_e32 v78, v83, v79, vcc_lo
; %bb.72:
	s_or_b32 exec_lo, exec_lo, s3
	v_and_b32_e32 v79, 0x7f800000, v70
	s_delay_alu instid0(VALU_DEP_1) | instskip(SKIP_1) | instid1(SALU_CYCLE_1)
	v_cmp_ne_u32_e32 vcc_lo, 0x7f800000, v79
                                        ; implicit-def: $vgpr79
	s_and_saveexec_b32 s3, vcc_lo
	s_xor_b32 s3, exec_lo, s3
; %bb.73:
	v_bfe_u32 v79, v70, 16, 1
	s_delay_alu instid0(VALU_DEP_1)
	v_add3_u32 v79, v70, v79, 0x7fff
                                        ; implicit-def: $vgpr70
; %bb.74:
	s_and_not1_saveexec_b32 s3, s3
; %bb.75:
	v_and_b32_e32 v79, 0xffff, v70
	v_or_b32_e32 v83, 0x10000, v70
	s_delay_alu instid0(VALU_DEP_2) | instskip(NEXT) | instid1(VALU_DEP_2)
	v_cmp_eq_u32_e32 vcc_lo, 0, v79
	v_cndmask_b32_e32 v79, v83, v70, vcc_lo
; %bb.76:
	s_or_b32 exec_lo, exec_lo, s3
	s_delay_alu instid0(VALU_DEP_1)
	v_perm_b32 v86, v79, v78, 0x7060302
	v_perm_b32 v85, v77, v82, 0x7060302
	;; [unrolled: 1-line block ×4, first 2 shown]
	v_lshl_or_b32 v82, v66, 11, v80
	ds_store_b128 v76, v[83:86] offset:1024
	s_waitcnt lgkmcnt(0)
	s_barrier
	buffer_gl0_inv
	ds_load_b128 v[69:72], v82
	ds_load_b128 v[83:86], v82 offset:16
	s_waitcnt lgkmcnt(1)
	v_lshrrev_b32_e32 v66, 16, v69
	s_waitcnt lgkmcnt(0)
	v_lshrrev_b32_e32 v91, 16, v83
	v_lshlrev_b32_e32 v78, 2, v74
	v_lshrrev_b32_e32 v95, 16, v70
	v_lshrrev_b32_e32 v98, 16, v84
	;; [unrolled: 1-line block ×4, first 2 shown]
	v_cmp_eq_u32_e32 vcc_lo, 1, v78
	v_lshrrev_b32_e32 v97, 16, v72
	v_lshrrev_b32_e32 v100, 16, v86
	v_cndmask_b32_e32 v87, v83, v91, vcc_lo
	v_or_b32_e32 v79, 1, v78
	v_cndmask_b32_e32 v81, v69, v66, vcc_lo
	v_cmp_eq_u32_e64 s4, 2, v78
	v_cmp_eq_u32_e64 s7, 3, v78
	;; [unrolled: 1-line block ×5, first 2 shown]
	v_cndmask_b32_e64 v81, v81, v70, s4
	v_cndmask_b32_e64 v87, v87, v84, s4
	v_cmp_eq_u32_e64 s8, 3, v79
	v_cndmask_b32_e64 v88, v69, v66, s3
	v_or_b32_e32 v77, 2, v78
	v_cndmask_b32_e64 v81, v81, v95, s7
	v_cndmask_b32_e64 v87, v87, v98, s7
	;; [unrolled: 1-line block ×4, first 2 shown]
	v_cmp_eq_u32_e64 s10, 5, v78
	v_cndmask_b32_e64 v81, v81, v71, s9
	v_cndmask_b32_e64 v87, v87, v85, s9
	v_cmp_eq_u32_e64 s11, 4, v79
	v_cndmask_b32_e64 v88, v88, v95, s8
	v_cmp_eq_u32_e64 s5, 1, v77
	v_cndmask_b32_e64 v89, v89, v84, s6
	v_cndmask_b32_e64 v81, v81, v96, s10
	v_cmp_eq_u32_e64 s12, 6, v78
	v_cndmask_b32_e64 v88, v88, v71, s11
	;; [unrolled: 3-line block ×3, first 2 shown]
	v_cndmask_b32_e64 v89, v89, v98, s8
	v_cndmask_b32_e64 v81, v81, v72, s12
	v_cmp_eq_u32_e64 s15, 7, v78
	v_cndmask_b32_e64 v88, v88, v96, s13
	v_cndmask_b32_e64 v87, v87, v86, s12
	v_cmp_eq_u32_e64 s16, 6, v79
	v_cmp_eq_u32_e64 s17, 2, v77
	v_cndmask_b32_e64 v89, v89, v85, s11
	v_cndmask_b32_e64 v101, v81, v97, s15
	v_cndmask_b32_e64 v102, v87, v100, s15
	v_cndmask_b32_e64 v88, v88, v72, s16
	v_cndmask_b32_e64 v81, v90, v70, s17
	v_cndmask_b32_e64 v87, v83, v91, s5
	v_cmp_eq_u32_e64 s18, 7, v79
	v_cmp_eq_u32_e64 s19, 3, v77
	;; [unrolled: 1-line block ×4, first 2 shown]
	v_cndmask_b32_e64 v87, v87, v84, s17
	v_cndmask_b32_e64 v103, v88, v97, s18
	;; [unrolled: 1-line block ×4, first 2 shown]
	v_or_b32_e32 v81, 3, v78
	v_cndmask_b32_e64 v93, v87, v98, s19
	v_cmp_eq_u32_e64 s24, 6, v77
	v_cndmask_b32_e64 v104, v88, v86, s16
	v_cndmask_b32_e64 v92, v89, v71, s20
	v_cmp_eq_u32_e64 s21, 1, v81
	ds_load_b128 v[87:90], v82 offset:1024
	v_cmp_eq_u32_e64 s23, 2, v81
	v_cmp_eq_u32_e64 s25, 3, v81
	v_cndmask_b32_e64 v105, v92, v96, s22
	v_cndmask_b32_e64 v66, v69, v66, s21
	;; [unrolled: 1-line block ×4, first 2 shown]
	ds_load_b128 v[91:94], v82 offset:1040
	v_cmp_eq_u32_e64 s26, 4, v81
	v_cndmask_b32_e64 v66, v66, v70, s23
	v_cmp_eq_u32_e64 s27, 7, v77
	v_cndmask_b32_e64 v70, v83, v84, s23
	v_cndmask_b32_e64 v84, v105, v72, s24
	v_cmp_eq_u32_e64 s28, 5, v81
	v_cndmask_b32_e64 v66, v66, v95, s25
	v_cmp_eq_u32_e64 s29, 6, v81
	v_cndmask_b32_e64 v70, v70, v98, s25
	v_cndmask_b32_e64 v69, v69, v99, s22
	;; [unrolled: 1-line block ×4, first 2 shown]
	s_waitcnt lgkmcnt(1)
	v_lshrrev_b32_e32 v95, 16, v87
	v_cndmask_b32_e64 v70, v70, v85, s26
	v_cndmask_b32_e64 v71, v84, v97, s27
	;; [unrolled: 1-line block ×4, first 2 shown]
	v_cndmask_b32_e32 v84, v87, v95, vcc_lo
	v_cndmask_b32_e64 v70, v70, v99, s28
	s_waitcnt lgkmcnt(0)
	v_lshrrev_b32_e32 v85, 16, v91
	v_lshrrev_b32_e32 v96, 16, v88
	v_cndmask_b32_e64 v98, v87, v95, s3
	v_cndmask_b32_e64 v84, v84, v88, s4
	;; [unrolled: 1-line block ×3, first 2 shown]
	v_cndmask_b32_e32 v99, v91, v85, vcc_lo
	v_cmp_eq_u32_e32 vcc_lo, 7, v81
	v_cndmask_b32_e64 v66, v66, v72, s29
	v_cndmask_b32_e64 v72, v84, v96, s7
	;; [unrolled: 1-line block ×3, first 2 shown]
	v_lshrrev_b32_e32 v98, 16, v92
	v_cndmask_b32_e32 v70, v70, v100, vcc_lo
	v_cndmask_b32_e64 v86, v99, v92, s4
	v_cndmask_b32_e64 v69, v69, v100, s27
	v_lshrrev_b32_e32 v100, 16, v93
	v_cndmask_b32_e64 v72, v72, v89, s9
	v_lshrrev_b32_e32 v99, 16, v89
	v_cndmask_b32_e64 v86, v86, v98, s7
	v_perm_b32 v71, v69, v71, 0x5040100
	v_cndmask_b32_e64 v84, v84, v96, s8
	s_delay_alu instid0(VALU_DEP_3) | instskip(NEXT) | instid1(VALU_DEP_2)
	v_cndmask_b32_e64 v86, v86, v93, s9
	v_cndmask_b32_e64 v84, v84, v89, s11
	s_delay_alu instid0(VALU_DEP_2) | instskip(NEXT) | instid1(VALU_DEP_1)
	v_cndmask_b32_e64 v86, v86, v100, s10
	v_cndmask_b32_e64 v69, v86, v94, s12
	;; [unrolled: 1-line block ×5, first 2 shown]
	s_delay_alu instid0(VALU_DEP_3) | instskip(NEXT) | instid1(VALU_DEP_3)
	v_cndmask_b32_e64 v86, v86, v88, s17
	v_cndmask_b32_e64 v87, v87, v88, s23
	s_delay_alu instid0(VALU_DEP_3) | instskip(NEXT) | instid1(VALU_DEP_3)
	v_cndmask_b32_e64 v88, v95, v92, s23
	v_cndmask_b32_e64 v86, v86, v96, s19
	;; [unrolled: 3-line block ×7, first 2 shown]
	s_delay_alu instid0(VALU_DEP_3) | instskip(SKIP_2) | instid1(VALU_DEP_2)
	v_cndmask_b32_e64 v88, v88, v94, s29
	v_cndmask_b32_e32 v66, v66, v97, vcc_lo
	v_cndmask_b32_e64 v97, v72, v99, s10
	v_perm_b32 v72, v70, v66, 0x5040100
	v_perm_b32 v70, v83, v103, 0x5040100
	v_cndmask_b32_e64 v103, v91, v85, s5
	v_cndmask_b32_e64 v85, v91, v85, s3
	;; [unrolled: 1-line block ×4, first 2 shown]
	v_lshrrev_b32_e32 v97, 16, v90
	v_cndmask_b32_e64 v91, v103, v92, s17
	v_cndmask_b32_e64 v85, v85, v92, s6
	;; [unrolled: 1-line block ×3, first 2 shown]
	s_mov_b32 s3, exec_lo
	v_cndmask_b32_e64 v83, v84, v97, s15
	v_cndmask_b32_e64 v91, v91, v98, s19
	;; [unrolled: 1-line block ×3, first 2 shown]
	v_lshrrev_b32_e32 v84, 16, v94
	v_cndmask_b32_e64 v66, v66, v97, s18
	v_cndmask_b32_e64 v90, v86, v97, s27
	;; [unrolled: 1-line block ×4, first 2 shown]
	v_dual_cndmask_b32 v86, v87, v97 :: v_dual_cndmask_b32 v87, v88, v84
	v_cndmask_b32_e64 v91, v69, v84, s15
	s_delay_alu instid0(VALU_DEP_4) | instskip(NEXT) | instid1(VALU_DEP_4)
	v_cndmask_b32_e64 v89, v89, v100, s22
	v_cndmask_b32_e64 v85, v85, v100, s13
	v_perm_b32 v69, v102, v101, 0x5040100
	v_perm_b32 v86, v87, v86, 0x5040100
	;; [unrolled: 1-line block ×3, first 2 shown]
	v_cndmask_b32_e64 v89, v89, v94, s24
	v_cndmask_b32_e64 v85, v85, v94, s16
	s_mul_i32 s8, s35, 7
	s_delay_alu instid0(VALU_DEP_2) | instskip(NEXT) | instid1(VALU_DEP_2)
	v_cndmask_b32_e64 v88, v89, v84, s27
	v_cndmask_b32_e64 v89, v85, v84, s18
	s_delay_alu instid0(VALU_DEP_2) | instskip(NEXT) | instid1(VALU_DEP_2)
	v_perm_b32 v85, v88, v90, 0x5040100
	v_perm_b32 v84, v89, v66, 0x5040100
	ds_store_b128 v76, v[69:72]
	ds_store_b128 v76, v[83:86] offset:1024
	v_cmpx_gt_u32_e32 7, v0
	s_cbranch_execz .LBB1844_78
; %bb.77:
	s_mul_i32 s4, s8, s30
	s_delay_alu instid0(SALU_CYCLE_1) | instskip(SKIP_1) | instid1(VALU_DEP_1)
	v_add3_u32 v69, s4, s31, v65
	s_load_b128 s[4:7], s[0:1], 0x58
	v_mad_u64_u32 v[65:66], null, v69, s34, s[14:15]
	s_delay_alu instid0(VALU_DEP_1) | instskip(NEXT) | instid1(VALU_DEP_1)
	v_ashrrev_i32_e32 v66, 31, v65
	v_lshlrev_b64 v[65:66], 2, v[65:66]
	s_waitcnt lgkmcnt(0)
	s_delay_alu instid0(VALU_DEP_1) | instskip(NEXT) | instid1(VALU_DEP_2)
	v_add_co_u32 v69, vcc_lo, s6, v65
	v_add_co_ci_u32_e32 v70, vcc_lo, s7, v66, vcc_lo
	v_add_co_u32 v65, vcc_lo, s4, v65
	v_add_co_ci_u32_e32 v66, vcc_lo, s5, v66, vcc_lo
	global_store_b32 v[69:70], v67, off
	global_store_b32 v[65:66], v68, off
.LBB1844_78:
	s_or_b32 exec_lo, exec_lo, s3
	s_waitcnt lgkmcnt(0)
	s_waitcnt_vscnt null, 0x0
	s_barrier
	buffer_gl0_inv
	ds_load_b128 v[83:86], v80
	ds_load_b128 v[87:90], v80 offset:16
	ds_load_b128 v[95:98], v80 offset:2064
	;; [unrolled: 1-line block ×3, first 2 shown]
	v_mov_b32_e32 v65, 0
	ds_load_b128 v[103:106], v80 offset:4112
	ds_load_b128 v[99:102], v80 offset:4096
	;; [unrolled: 1-line block ×4, first 2 shown]
	v_mov_b32_e32 v66, v65
	v_mov_b32_e32 v67, v65
	;; [unrolled: 1-line block ×7, first 2 shown]
	s_waitcnt lgkmcnt(6)
	s_delay_alu instid0(VALU_DEP_1)
	v_wmma_f32_16x16x16_bf16 v[65:72], v[41:48], v[83:90], v[65:72]
	ds_load_b128 v[45:48], v80 offset:8208
	ds_load_b128 v[41:44], v80 offset:8192
	s_waitcnt lgkmcnt(6)
	v_wmma_f32_16x16x16_bf16 v[65:72], v[33:40], v[91:98], v[65:72]
	ds_load_b128 v[37:40], v80 offset:10256
	ds_load_b128 v[33:36], v80 offset:10240
	s_waitcnt lgkmcnt(6)
	;; [unrolled: 4-line block ×4, first 2 shown]
	v_wmma_f32_16x16x16_bf16 v[65:72], v[1:8], v[41:48], v[65:72]
	s_waitcnt lgkmcnt(4)
	s_delay_alu instid0(VALU_DEP_1) | instskip(SKIP_1) | instid1(VALU_DEP_1)
	v_wmma_f32_16x16x16_bf16 v[65:72], v[9:16], v[33:40], v[65:72]
	s_waitcnt lgkmcnt(2)
	v_wmma_f32_16x16x16_bf16 v[65:72], v[57:64], v[25:32], v[65:72]
	s_waitcnt lgkmcnt(0)
	s_delay_alu instid0(VALU_DEP_1) | instskip(NEXT) | instid1(VALU_DEP_1)
	v_wmma_f32_16x16x16_bf16 v[65:72], v[49:56], v[17:24], v[65:72]
	v_and_b32_e32 v1, 0x7f800000, v65
	s_delay_alu instid0(VALU_DEP_1) | instskip(SKIP_1) | instid1(SALU_CYCLE_1)
	v_cmp_ne_u32_e32 vcc_lo, 0x7f800000, v1
                                        ; implicit-def: $vgpr1
	s_and_saveexec_b32 s3, vcc_lo
	s_xor_b32 s3, exec_lo, s3
; %bb.79:
	v_bfe_u32 v1, v65, 16, 1
	s_delay_alu instid0(VALU_DEP_1)
	v_add3_u32 v1, v65, v1, 0x7fff
; %bb.80:
	s_and_not1_saveexec_b32 s3, s3
; %bb.81:
	v_and_b32_e32 v1, 0xffff, v65
	v_or_b32_e32 v2, 0x10000, v65
	s_delay_alu instid0(VALU_DEP_2) | instskip(NEXT) | instid1(VALU_DEP_2)
	v_cmp_eq_u32_e32 vcc_lo, 0, v1
	v_cndmask_b32_e32 v1, v2, v65, vcc_lo
; %bb.82:
	s_or_b32 exec_lo, exec_lo, s3
	v_and_b32_e32 v2, 0x7f800000, v66
	s_delay_alu instid0(VALU_DEP_1) | instskip(SKIP_1) | instid1(SALU_CYCLE_1)
	v_cmp_ne_u32_e32 vcc_lo, 0x7f800000, v2
                                        ; implicit-def: $vgpr2
	s_and_saveexec_b32 s3, vcc_lo
	s_xor_b32 s3, exec_lo, s3
; %bb.83:
	v_bfe_u32 v2, v66, 16, 1
	s_delay_alu instid0(VALU_DEP_1)
	v_add3_u32 v2, v66, v2, 0x7fff
; %bb.84:
	s_and_not1_saveexec_b32 s3, s3
; %bb.85:
	v_and_b32_e32 v2, 0xffff, v66
	v_or_b32_e32 v3, 0x10000, v66
	s_delay_alu instid0(VALU_DEP_2) | instskip(NEXT) | instid1(VALU_DEP_2)
	v_cmp_eq_u32_e32 vcc_lo, 0, v2
	v_cndmask_b32_e32 v2, v3, v66, vcc_lo
; %bb.86:
	s_or_b32 exec_lo, exec_lo, s3
	v_and_b32_e32 v3, 0x7f800000, v67
	s_delay_alu instid0(VALU_DEP_1) | instskip(SKIP_1) | instid1(SALU_CYCLE_1)
	v_cmp_ne_u32_e32 vcc_lo, 0x7f800000, v3
                                        ; implicit-def: $vgpr3
	s_and_saveexec_b32 s3, vcc_lo
	s_xor_b32 s3, exec_lo, s3
; %bb.87:
	v_bfe_u32 v3, v67, 16, 1
	s_delay_alu instid0(VALU_DEP_1)
	v_add3_u32 v3, v67, v3, 0x7fff
; %bb.88:
	s_and_not1_saveexec_b32 s3, s3
; %bb.89:
	v_and_b32_e32 v3, 0xffff, v67
	v_or_b32_e32 v4, 0x10000, v67
	s_delay_alu instid0(VALU_DEP_2) | instskip(NEXT) | instid1(VALU_DEP_2)
	v_cmp_eq_u32_e32 vcc_lo, 0, v3
	v_cndmask_b32_e32 v3, v4, v67, vcc_lo
; %bb.90:
	s_or_b32 exec_lo, exec_lo, s3
	v_and_b32_e32 v4, 0x7f800000, v68
	s_delay_alu instid0(VALU_DEP_1) | instskip(SKIP_1) | instid1(SALU_CYCLE_1)
	v_cmp_ne_u32_e32 vcc_lo, 0x7f800000, v4
                                        ; implicit-def: $vgpr4
	s_and_saveexec_b32 s3, vcc_lo
	s_xor_b32 s3, exec_lo, s3
; %bb.91:
	v_bfe_u32 v4, v68, 16, 1
	s_delay_alu instid0(VALU_DEP_1)
	v_add3_u32 v4, v68, v4, 0x7fff
; %bb.92:
	s_and_not1_saveexec_b32 s3, s3
; %bb.93:
	v_and_b32_e32 v4, 0xffff, v68
	v_or_b32_e32 v5, 0x10000, v68
	s_delay_alu instid0(VALU_DEP_2) | instskip(NEXT) | instid1(VALU_DEP_2)
	v_cmp_eq_u32_e32 vcc_lo, 0, v4
	v_cndmask_b32_e32 v4, v5, v68, vcc_lo
; %bb.94:
	s_or_b32 exec_lo, exec_lo, s3
	v_and_b32_e32 v5, 0x7f800000, v69
	s_delay_alu instid0(VALU_DEP_1) | instskip(SKIP_1) | instid1(SALU_CYCLE_1)
	v_cmp_ne_u32_e32 vcc_lo, 0x7f800000, v5
                                        ; implicit-def: $vgpr5
	s_and_saveexec_b32 s3, vcc_lo
	s_xor_b32 s3, exec_lo, s3
; %bb.95:
	v_bfe_u32 v5, v69, 16, 1
	s_delay_alu instid0(VALU_DEP_1)
	v_add3_u32 v5, v69, v5, 0x7fff
; %bb.96:
	s_and_not1_saveexec_b32 s3, s3
; %bb.97:
	v_and_b32_e32 v5, 0xffff, v69
	v_or_b32_e32 v6, 0x10000, v69
	s_delay_alu instid0(VALU_DEP_2) | instskip(NEXT) | instid1(VALU_DEP_2)
	v_cmp_eq_u32_e32 vcc_lo, 0, v5
	v_cndmask_b32_e32 v5, v6, v69, vcc_lo
; %bb.98:
	s_or_b32 exec_lo, exec_lo, s3
	v_and_b32_e32 v6, 0x7f800000, v70
	s_delay_alu instid0(VALU_DEP_1) | instskip(SKIP_1) | instid1(SALU_CYCLE_1)
	v_cmp_ne_u32_e32 vcc_lo, 0x7f800000, v6
                                        ; implicit-def: $vgpr6
	s_and_saveexec_b32 s3, vcc_lo
	s_xor_b32 s3, exec_lo, s3
; %bb.99:
	v_bfe_u32 v6, v70, 16, 1
	s_delay_alu instid0(VALU_DEP_1)
	v_add3_u32 v6, v70, v6, 0x7fff
; %bb.100:
	s_and_not1_saveexec_b32 s3, s3
; %bb.101:
	v_and_b32_e32 v6, 0xffff, v70
	v_or_b32_e32 v7, 0x10000, v70
	s_delay_alu instid0(VALU_DEP_2) | instskip(NEXT) | instid1(VALU_DEP_2)
	v_cmp_eq_u32_e32 vcc_lo, 0, v6
	v_cndmask_b32_e32 v6, v7, v70, vcc_lo
; %bb.102:
	s_or_b32 exec_lo, exec_lo, s3
	v_and_b32_e32 v7, 0x7f800000, v71
	s_delay_alu instid0(VALU_DEP_1) | instskip(SKIP_1) | instid1(SALU_CYCLE_1)
	v_cmp_ne_u32_e32 vcc_lo, 0x7f800000, v7
                                        ; implicit-def: $vgpr7
	s_and_saveexec_b32 s3, vcc_lo
	s_xor_b32 s3, exec_lo, s3
; %bb.103:
	v_bfe_u32 v7, v71, 16, 1
	s_delay_alu instid0(VALU_DEP_1)
	v_add3_u32 v7, v71, v7, 0x7fff
; %bb.104:
	s_and_not1_saveexec_b32 s3, s3
; %bb.105:
	v_and_b32_e32 v7, 0xffff, v71
	v_or_b32_e32 v8, 0x10000, v71
	s_delay_alu instid0(VALU_DEP_2) | instskip(NEXT) | instid1(VALU_DEP_2)
	v_cmp_eq_u32_e32 vcc_lo, 0, v7
	v_cndmask_b32_e32 v7, v8, v71, vcc_lo
; %bb.106:
	s_or_b32 exec_lo, exec_lo, s3
	v_and_b32_e32 v8, 0x7f800000, v72
	s_delay_alu instid0(VALU_DEP_1) | instskip(SKIP_1) | instid1(SALU_CYCLE_1)
	v_cmp_ne_u32_e32 vcc_lo, 0x7f800000, v8
                                        ; implicit-def: $vgpr8
	s_and_saveexec_b32 s3, vcc_lo
	s_xor_b32 s3, exec_lo, s3
; %bb.107:
	v_bfe_u32 v8, v72, 16, 1
	s_delay_alu instid0(VALU_DEP_1)
	v_add3_u32 v8, v72, v8, 0x7fff
                                        ; implicit-def: $vgpr65_vgpr66_vgpr67_vgpr68_vgpr69_vgpr70_vgpr71_vgpr72
; %bb.108:
	s_and_not1_saveexec_b32 s3, s3
; %bb.109:
	v_and_b32_e32 v8, 0xffff, v72
	v_or_b32_e32 v9, 0x10000, v72
	s_delay_alu instid0(VALU_DEP_2) | instskip(NEXT) | instid1(VALU_DEP_2)
	v_cmp_eq_u32_e32 vcc_lo, 0, v8
	v_cndmask_b32_e32 v8, v9, v72, vcc_lo
; %bb.110:
	s_or_b32 exec_lo, exec_lo, s3
	s_delay_alu instid0(VALU_DEP_1)
	v_perm_b32 v7, v8, v7, 0x7060302
	v_perm_b32 v6, v6, v5, 0x7060302
	;; [unrolled: 1-line block ×4, first 2 shown]
	s_barrier
	buffer_gl0_inv
	v_cmp_eq_u32_e32 vcc_lo, 1, v78
	ds_store_b128 v76, v[4:7]
	s_waitcnt lgkmcnt(0)
	s_barrier
	buffer_gl0_inv
	ds_load_b128 v[1:4], v82
	ds_load_b128 v[5:8], v82 offset:16
	v_cmp_eq_u32_e64 s3, 1, v79
	v_cmp_eq_u32_e64 s4, 2, v78
	;; [unrolled: 1-line block ×5, first 2 shown]
	s_waitcnt lgkmcnt(1)
	v_lshrrev_b32_e32 v9, 16, v1
	s_waitcnt lgkmcnt(0)
	v_lshrrev_b32_e32 v13, 16, v5
	v_lshrrev_b32_e32 v10, 16, v2
	;; [unrolled: 1-line block ×4, first 2 shown]
	v_cndmask_b32_e64 v19, v1, v9, s3
	v_cndmask_b32_e32 v18, v5, v13, vcc_lo
	v_cndmask_b32_e64 v20, v5, v13, s3
	v_cndmask_b32_e32 v17, v1, v9, vcc_lo
	v_cmp_eq_u32_e32 vcc_lo, 2, v79
	v_lshrrev_b32_e32 v15, 16, v7
	v_cmp_eq_u32_e64 s3, 1, v77
	v_lshrrev_b32_e32 v12, 16, v4
	v_lshrrev_b32_e32 v16, 16, v8
	v_cndmask_b32_e32 v20, v20, v6, vcc_lo
	v_cndmask_b32_e64 v17, v17, v2, s4
	v_cndmask_b32_e32 v19, v19, v2, vcc_lo
	v_cndmask_b32_e64 v18, v18, v6, s4
	v_cmp_eq_u32_e32 vcc_lo, 4, v78
	v_cmp_eq_u32_e64 s4, 3, v79
	v_cndmask_b32_e64 v17, v17, v10, s5
	v_cndmask_b32_e64 v21, v1, v9, s3
	;; [unrolled: 1-line block ×5, first 2 shown]
	v_cndmask_b32_e32 v17, v17, v3, vcc_lo
	v_cndmask_b32_e64 v20, v20, v14, s4
	v_cndmask_b32_e32 v18, v18, v7, vcc_lo
	v_cmp_eq_u32_e32 vcc_lo, 4, v79
	v_cmp_eq_u32_e64 s4, 5, v79
	v_cmp_eq_u32_e64 s3, 2, v81
	v_cndmask_b32_e64 v21, v21, v2, s7
	v_cmp_eq_u32_e64 s5, 5, v78
	v_cndmask_b32_e32 v19, v19, v3, vcc_lo
	v_cndmask_b32_e32 v20, v20, v7, vcc_lo
	v_cmp_eq_u32_e32 vcc_lo, 6, v79
	s_delay_alu instid0(VALU_DEP_4) | instskip(NEXT) | instid1(VALU_DEP_4)
	v_cndmask_b32_e64 v17, v17, v11, s5
	v_cndmask_b32_e64 v19, v19, v11, s4
	s_delay_alu instid0(VALU_DEP_4) | instskip(SKIP_1) | instid1(VALU_DEP_3)
	v_cndmask_b32_e64 v20, v20, v15, s4
	v_cmp_eq_u32_e64 s4, 1, v81
	v_cndmask_b32_e32 v19, v19, v4, vcc_lo
	v_cndmask_b32_e64 v18, v18, v15, s5
	s_delay_alu instid0(VALU_DEP_3)
	v_cndmask_b32_e64 v1, v1, v9, s4
	v_cndmask_b32_e64 v5, v5, v13, s4
	v_cmp_eq_u32_e64 s4, 3, v77
	v_cndmask_b32_e64 v13, v22, v6, s7
	v_cmp_eq_u32_e64 s7, 3, v81
	v_cndmask_b32_e64 v1, v1, v2, s3
	v_cndmask_b32_e64 v2, v5, v6, s3
	;; [unrolled: 1-line block ×3, first 2 shown]
	v_cmp_eq_u32_e64 s3, 4, v77
	v_cndmask_b32_e64 v6, v13, v14, s4
	v_cndmask_b32_e64 v1, v1, v10, s7
	v_cmp_eq_u32_e64 s4, 4, v81
	v_cndmask_b32_e64 v2, v2, v14, s7
	v_cndmask_b32_e64 v5, v9, v3, s3
	;; [unrolled: 3-line block ×3, first 2 shown]
	v_cndmask_b32_e64 v2, v2, v7, s4
	v_cmp_eq_u32_e64 s3, 5, v81
	v_cmp_eq_u32_e64 s5, 6, v78
	v_cndmask_b32_e64 v5, v5, v11, s7
	v_cmp_eq_u32_e64 s4, 6, v77
	v_cndmask_b32_e64 v3, v6, v15, s7
	v_cndmask_b32_e64 v1, v1, v11, s3
	v_cmp_eq_u32_e64 s7, 6, v81
	v_cndmask_b32_e64 v2, v2, v15, s3
	v_cndmask_b32_e64 v17, v17, v4, s5
	v_cndmask_b32_e64 v18, v18, v8, s5
	v_cmp_eq_u32_e64 s5, 7, v78
	v_cndmask_b32_e64 v5, v5, v4, s4
	;; [unrolled: 4-line block ×3, first 2 shown]
	v_cmp_eq_u32_e64 s4, 7, v77
	v_cndmask_b32_e32 v4, v20, v8, vcc_lo
	v_cndmask_b32_e64 v17, v17, v12, s5
	v_cndmask_b32_e64 v19, v19, v12, s6
	;; [unrolled: 1-line block ×8, first 2 shown]
	s_mov_b32 s3, exec_lo
	v_perm_b32 v4, v2, v1, 0x5040100
	v_perm_b32 v3, v3, v5, 0x5040100
	;; [unrolled: 1-line block ×4, first 2 shown]
	ds_store_b128 v76, v[1:4]
	s_waitcnt lgkmcnt(0)
	s_barrier
	buffer_gl0_inv
	v_cmpx_gt_u32_e32 32, v0
	s_cbranch_execz .LBB1844_2
; %bb.111:
	s_load_b64 s[4:5], s[0:1], 0x68
	v_lshlrev_b32_e32 v0, 10, v0
	v_add_nc_u32_e32 v2, s31, v74
	v_lshlrev_b32_e32 v3, 4, v75
	s_lshl_b32 s0, s34, 7
	s_delay_alu instid0(SALU_CYCLE_1) | instskip(NEXT) | instid1(VALU_DEP_2)
	s_mul_i32 s1, s0, s30
	v_mul_lo_u32 v1, v2, s0
	s_delay_alu instid0(VALU_DEP_2)
	v_and_or_b32 v0, 0x3800, v0, v3
	v_add_nc_u32_e32 v3, 2, v2
	s_mul_i32 s6, s1, s8
	v_add_nc_u32_e32 v4, 4, v2
	s_ashr_i32 s7, s6, 31
	v_lshl_or_b32 v11, v74, 6, v0
	s_lshl_b64 s[6:7], s[6:7], 1
	v_mul_lo_u32 v15, v3, s0
	v_mul_lo_u32 v17, v4, s0
	v_ashrrev_i32_e32 v2, 31, v1
	ds_load_b128 v[3:6], v11
	ds_load_b128 v[7:10], v11 offset:128
	ds_load_b128 v[11:14], v11 offset:256
	s_waitcnt lgkmcnt(0)
	s_add_u32 s1, s4, s6
	s_addc_u32 s3, s5, s7
	s_lshl_b32 s4, s14, 7
	v_ashrrev_i32_e32 v16, 31, v15
	s_ashr_i32 s5, s4, 31
	v_lshlrev_b64 v[19:20], 1, v[1:2]
	s_lshl_b64 s[4:5], s[4:5], 1
	v_ashrrev_i32_e32 v18, 31, v17
	s_add_u32 s1, s1, s4
	s_addc_u32 s3, s3, s5
	v_add_co_u32 v1, s1, s1, v73
	s_delay_alu instid0(VALU_DEP_1) | instskip(SKIP_1) | instid1(VALU_DEP_3)
	v_add_co_ci_u32_e64 v2, null, s3, 0, s1
	v_lshlrev_b64 v[15:16], 1, v[15:16]
	v_add_co_u32 v19, vcc_lo, v1, v19
	v_lshlrev_b64 v[17:18], 1, v[17:18]
	s_delay_alu instid0(VALU_DEP_4) | instskip(NEXT) | instid1(VALU_DEP_4)
	v_add_co_ci_u32_e32 v20, vcc_lo, v2, v20, vcc_lo
	v_add_co_u32 v15, vcc_lo, v1, v15
	v_add_co_ci_u32_e32 v16, vcc_lo, v2, v16, vcc_lo
	s_delay_alu instid0(VALU_DEP_4)
	v_add_co_u32 v17, vcc_lo, v1, v17
	v_add_co_ci_u32_e32 v18, vcc_lo, v2, v18, vcc_lo
	s_clause 0x2
	global_store_b128 v[19:20], v[3:6], off
	global_store_b128 v[15:16], v[7:10], off
	;; [unrolled: 1-line block ×3, first 2 shown]
	s_and_b32 exec_lo, exec_lo, s2
	s_cbranch_execz .LBB1844_2
; %bb.112:
	ds_load_b128 v[3:6], v0 offset:384
	s_add_i32 s1, s31, 6
	s_delay_alu instid0(SALU_CYCLE_1) | instskip(NEXT) | instid1(SALU_CYCLE_1)
	s_mul_i32 s0, s1, s0
	s_ashr_i32 s1, s0, 31
	s_delay_alu instid0(SALU_CYCLE_1) | instskip(NEXT) | instid1(SALU_CYCLE_1)
	s_lshl_b64 s[0:1], s[0:1], 1
	v_add_co_u32 v0, vcc_lo, v1, s0
	v_add_co_ci_u32_e32 v1, vcc_lo, s1, v2, vcc_lo
	s_waitcnt lgkmcnt(0)
	global_store_b128 v[0:1], v[3:6], off
	s_nop 0
	s_sendmsg sendmsg(MSG_DEALLOC_VGPRS)
	s_endpgm
	.section	.rodata,"a",@progbits
	.p2align	6, 0x0
	.amdhsa_kernel _Z39paged_attention_ll4mi_QKV_mfma16_kernelI14__hip_bfloat16hLN4vllm18Fp8KVCacheDataTypeE1ES0_Li16ELi128ELi256ELb0ELi7EL8MFMAType0EEvPKT_PKT0_S9_ifPKiSB_SB_iPKfiiiPfSE_PS4_PT2_iSD_SD_
		.amdhsa_group_segment_fixed_size 17472
		.amdhsa_private_segment_fixed_size 0
		.amdhsa_kernarg_size 400
		.amdhsa_user_sgpr_count 13
		.amdhsa_user_sgpr_dispatch_ptr 0
		.amdhsa_user_sgpr_queue_ptr 0
		.amdhsa_user_sgpr_kernarg_segment_ptr 1
		.amdhsa_user_sgpr_dispatch_id 0
		.amdhsa_user_sgpr_private_segment_size 0
		.amdhsa_wavefront_size32 1
		.amdhsa_uses_dynamic_stack 0
		.amdhsa_enable_private_segment 0
		.amdhsa_system_sgpr_workgroup_id_x 1
		.amdhsa_system_sgpr_workgroup_id_y 1
		.amdhsa_system_sgpr_workgroup_id_z 1
		.amdhsa_system_sgpr_workgroup_info 0
		.amdhsa_system_vgpr_workitem_id 0
		.amdhsa_next_free_vgpr 140
		.amdhsa_next_free_sgpr 36
		.amdhsa_reserve_vcc 1
		.amdhsa_float_round_mode_32 0
		.amdhsa_float_round_mode_16_64 0
		.amdhsa_float_denorm_mode_32 3
		.amdhsa_float_denorm_mode_16_64 3
		.amdhsa_dx10_clamp 1
		.amdhsa_ieee_mode 1
		.amdhsa_fp16_overflow 0
		.amdhsa_workgroup_processor_mode 1
		.amdhsa_memory_ordered 1
		.amdhsa_forward_progress 0
		.amdhsa_shared_vgpr_count 0
		.amdhsa_exception_fp_ieee_invalid_op 0
		.amdhsa_exception_fp_denorm_src 0
		.amdhsa_exception_fp_ieee_div_zero 0
		.amdhsa_exception_fp_ieee_overflow 0
		.amdhsa_exception_fp_ieee_underflow 0
		.amdhsa_exception_fp_ieee_inexact 0
		.amdhsa_exception_int_div_zero 0
	.end_amdhsa_kernel
	.section	.text._Z39paged_attention_ll4mi_QKV_mfma16_kernelI14__hip_bfloat16hLN4vllm18Fp8KVCacheDataTypeE1ES0_Li16ELi128ELi256ELb0ELi7EL8MFMAType0EEvPKT_PKT0_S9_ifPKiSB_SB_iPKfiiiPfSE_PS4_PT2_iSD_SD_,"axG",@progbits,_Z39paged_attention_ll4mi_QKV_mfma16_kernelI14__hip_bfloat16hLN4vllm18Fp8KVCacheDataTypeE1ES0_Li16ELi128ELi256ELb0ELi7EL8MFMAType0EEvPKT_PKT0_S9_ifPKiSB_SB_iPKfiiiPfSE_PS4_PT2_iSD_SD_,comdat
.Lfunc_end1844:
	.size	_Z39paged_attention_ll4mi_QKV_mfma16_kernelI14__hip_bfloat16hLN4vllm18Fp8KVCacheDataTypeE1ES0_Li16ELi128ELi256ELb0ELi7EL8MFMAType0EEvPKT_PKT0_S9_ifPKiSB_SB_iPKfiiiPfSE_PS4_PT2_iSD_SD_, .Lfunc_end1844-_Z39paged_attention_ll4mi_QKV_mfma16_kernelI14__hip_bfloat16hLN4vllm18Fp8KVCacheDataTypeE1ES0_Li16ELi128ELi256ELb0ELi7EL8MFMAType0EEvPKT_PKT0_S9_ifPKiSB_SB_iPKfiiiPfSE_PS4_PT2_iSD_SD_
                                        ; -- End function
	.section	.AMDGPU.csdata,"",@progbits
; Kernel info:
; codeLenInByte = 8952
; NumSgprs: 38
; NumVgprs: 140
; ScratchSize: 0
; MemoryBound: 0
; FloatMode: 240
; IeeeMode: 1
; LDSByteSize: 17472 bytes/workgroup (compile time only)
; SGPRBlocks: 4
; VGPRBlocks: 17
; NumSGPRsForWavesPerEU: 38
; NumVGPRsForWavesPerEU: 140
; Occupancy: 10
; WaveLimiterHint : 1
; COMPUTE_PGM_RSRC2:SCRATCH_EN: 0
; COMPUTE_PGM_RSRC2:USER_SGPR: 13
; COMPUTE_PGM_RSRC2:TRAP_HANDLER: 0
; COMPUTE_PGM_RSRC2:TGID_X_EN: 1
; COMPUTE_PGM_RSRC2:TGID_Y_EN: 1
; COMPUTE_PGM_RSRC2:TGID_Z_EN: 1
; COMPUTE_PGM_RSRC2:TIDIG_COMP_CNT: 0
	.section	.text._Z39paged_attention_ll4mi_QKV_mfma16_kernelI14__hip_bfloat16hLN4vllm18Fp8KVCacheDataTypeE1ES0_Li16ELi128ELi256ELb0ELi8EL8MFMAType0EEvPKT_PKT0_S9_ifPKiSB_SB_iPKfiiiPfSE_PS4_PT2_iSD_SD_,"axG",@progbits,_Z39paged_attention_ll4mi_QKV_mfma16_kernelI14__hip_bfloat16hLN4vllm18Fp8KVCacheDataTypeE1ES0_Li16ELi128ELi256ELb0ELi8EL8MFMAType0EEvPKT_PKT0_S9_ifPKiSB_SB_iPKfiiiPfSE_PS4_PT2_iSD_SD_,comdat
	.protected	_Z39paged_attention_ll4mi_QKV_mfma16_kernelI14__hip_bfloat16hLN4vllm18Fp8KVCacheDataTypeE1ES0_Li16ELi128ELi256ELb0ELi8EL8MFMAType0EEvPKT_PKT0_S9_ifPKiSB_SB_iPKfiiiPfSE_PS4_PT2_iSD_SD_ ; -- Begin function _Z39paged_attention_ll4mi_QKV_mfma16_kernelI14__hip_bfloat16hLN4vllm18Fp8KVCacheDataTypeE1ES0_Li16ELi128ELi256ELb0ELi8EL8MFMAType0EEvPKT_PKT0_S9_ifPKiSB_SB_iPKfiiiPfSE_PS4_PT2_iSD_SD_
	.globl	_Z39paged_attention_ll4mi_QKV_mfma16_kernelI14__hip_bfloat16hLN4vllm18Fp8KVCacheDataTypeE1ES0_Li16ELi128ELi256ELb0ELi8EL8MFMAType0EEvPKT_PKT0_S9_ifPKiSB_SB_iPKfiiiPfSE_PS4_PT2_iSD_SD_
	.p2align	8
	.type	_Z39paged_attention_ll4mi_QKV_mfma16_kernelI14__hip_bfloat16hLN4vllm18Fp8KVCacheDataTypeE1ES0_Li16ELi128ELi256ELb0ELi8EL8MFMAType0EEvPKT_PKT0_S9_ifPKiSB_SB_iPKfiiiPfSE_PS4_PT2_iSD_SD_,@function
_Z39paged_attention_ll4mi_QKV_mfma16_kernelI14__hip_bfloat16hLN4vllm18Fp8KVCacheDataTypeE1ES0_Li16ELi128ELi256ELb0ELi8EL8MFMAType0EEvPKT_PKT0_S9_ifPKiSB_SB_iPKfiiiPfSE_PS4_PT2_iSD_SD_: ; @_Z39paged_attention_ll4mi_QKV_mfma16_kernelI14__hip_bfloat16hLN4vllm18Fp8KVCacheDataTypeE1ES0_Li16ELi128ELi256ELb0ELi8EL8MFMAType0EEvPKT_PKT0_S9_ifPKiSB_SB_iPKfiiiPfSE_PS4_PT2_iSD_SD_
; %bb.0:
	s_load_b64 s[4:5], s[0:1], 0x30
	s_mov_b32 s30, s13
	s_waitcnt lgkmcnt(0)
	s_cmp_lg_u64 s[4:5], 0
	s_cselect_b32 s13, -1, 0
	s_ashr_i32 s31, s30, 31
	s_cmp_eq_u64 s[4:5], 0
	s_cbranch_scc1 .LBB1845_3
; %bb.1:
	s_lshl_b64 s[2:3], s[30:31], 2
	s_delay_alu instid0(SALU_CYCLE_1) | instskip(SKIP_4) | instid1(SALU_CYCLE_1)
	s_add_u32 s2, s4, s2
	s_addc_u32 s3, s5, s3
	s_load_b64 s[2:3], s[2:3], 0x0
	s_waitcnt lgkmcnt(0)
	s_sub_i32 s2, s3, s2
	s_cmp_eq_u32 s2, 1
	s_cselect_b32 s2, -1, 0
	s_delay_alu instid0(SALU_CYCLE_1)
	s_and_not1_b32 vcc_lo, exec_lo, s2
	s_cbranch_vccz .LBB1845_4
.LBB1845_2:
	s_endpgm
.LBB1845_3:
.LBB1845_4:
	s_load_b64 s[2:3], s[0:1], 0x28
	s_lshl_b64 s[6:7], s[30:31], 2
	s_waitcnt lgkmcnt(0)
	s_add_u32 s2, s2, s6
	s_addc_u32 s3, s3, s7
	s_lshl_b32 s12, s14, 8
	s_load_b32 s17, s[2:3], 0x0
	s_waitcnt lgkmcnt(0)
	s_cmp_ge_i32 s12, s17
	s_cbranch_scc1 .LBB1845_2
; %bb.5:
	s_clause 0x1
	s_load_b128 s[8:11], s[0:1], 0x8
	s_load_b64 s[2:3], s[0:1], 0x20
	s_and_not1_b32 vcc_lo, exec_lo, s13
	s_cbranch_vccnz .LBB1845_7
; %bb.6:
	s_add_u32 s4, s4, s6
	s_addc_u32 s5, s5, s7
	s_load_b32 s13, s[4:5], 0x0
	s_branch .LBB1845_8
.LBB1845_7:
	s_mov_b32 s13, s30
.LBB1845_8:
	s_load_b128 s[4:7], s[0:1], 0x48
	v_and_b32_e32 v66, 15, v0
	v_lshrrev_b32_e32 v65, 5, v0
	v_and_b32_e32 v67, 31, v0
	v_and_b32_e32 v75, 1, v0
	v_bfe_u32 v74, v0, 4, 1
	v_lshlrev_b32_e32 v1, 3, v66
	s_lshl_b32 s29, s15, 3
	s_waitcnt lgkmcnt(0)
	s_mov_b32 s7, exec_lo
	s_delay_alu instid0(VALU_DEP_1)
	v_lshlrev_b32_e32 v73, 1, v1
	v_cmpx_gt_u32_e32 0x80, v0
	s_cbranch_execz .LBB1845_10
; %bb.9:
	v_lshl_or_b32 v5, v65, 1, v74
	s_load_b64 s[18:19], s[0:1], 0x0
	s_mul_hi_i32 s21, s13, s4
	s_mul_i32 s20, s13, s4
	v_lshlrev_b32_e32 v6, 10, v66
	v_or_b32_e32 v1, s29, v5
	s_lshl_b64 s[20:21], s[20:21], 1
	v_lshlrev_b32_e32 v5, 6, v5
	v_lshlrev_b32_e32 v7, 10, v75
	v_and_b32_e32 v6, 0x3800, v6
	v_lshlrev_b32_e32 v1, 7, v1
	s_delay_alu instid0(VALU_DEP_2) | instskip(NEXT) | instid1(VALU_DEP_2)
	v_or3_b32 v5, v6, v7, v5
	v_ashrrev_i32_e32 v2, 31, v1
	s_delay_alu instid0(VALU_DEP_1) | instskip(SKIP_3) | instid1(VALU_DEP_1)
	v_lshlrev_b64 v[1:2], 1, v[1:2]
	s_waitcnt lgkmcnt(0)
	s_add_u32 s4, s18, s20
	s_addc_u32 s13, s19, s21
	v_add_co_u32 v1, vcc_lo, s4, v1
	s_delay_alu instid0(VALU_DEP_2) | instskip(NEXT) | instid1(VALU_DEP_2)
	v_add_co_ci_u32_e32 v2, vcc_lo, s13, v2, vcc_lo
	v_add_co_u32 v1, vcc_lo, v1, v73
	s_delay_alu instid0(VALU_DEP_2)
	v_add_co_ci_u32_e32 v2, vcc_lo, 0, v2, vcc_lo
	global_load_b128 v[1:4], v[1:2], off
	s_waitcnt vmcnt(0)
	ds_store_b128 v5, v[1:4]
.LBB1845_10:
	s_or_b32 exec_lo, exec_lo, s7
	v_and_b32_e32 v1, 0xef, v0
	s_add_i32 s4, s17, 15
	s_clause 0x1
	s_load_b32 s7, s[0:1], 0x38
	s_load_b32 s18, s[0:1], 0x1c
	s_ashr_i32 s13, s4, 31
	v_add_nc_u32_e32 v1, s12, v1
	s_lshr_b32 s13, s13, 28
	s_waitcnt lgkmcnt(0)
	s_add_i32 s4, s4, s13
	s_barrier
	v_ashrrev_i32_e32 v2, 31, v1
	v_or_b32_e32 v3, 16, v1
	s_ashr_i32 s4, s4, 4
	v_cmp_gt_i32_e32 vcc_lo, s17, v1
	s_add_i32 s4, s4, -1
	v_lshrrev_b32_e32 v2, 28, v2
	buffer_gl0_inv
	s_mul_i32 s15, s15, s6
	v_add_nc_u32_e32 v4, v1, v2
	s_mul_i32 s20, s30, s7
	s_delay_alu instid0(SALU_CYCLE_1) | instskip(NEXT) | instid1(VALU_DEP_1)
	s_ashr_i32 s21, s20, 31
	v_ashrrev_i32_e32 v4, 4, v4
	v_add_nc_u32_e32 v2, v3, v2
	s_lshl_b64 s[20:21], s[20:21], 2
	s_delay_alu instid0(SALU_CYCLE_1) | instskip(NEXT) | instid1(VALU_DEP_2)
	s_add_u32 s13, s2, s20
	v_cndmask_b32_e32 v1, s4, v4, vcc_lo
	s_delay_alu instid0(VALU_DEP_2)
	v_ashrrev_i32_e32 v2, 4, v2
	v_cmp_gt_i32_e32 vcc_lo, s17, v3
	s_addc_u32 s16, s3, s21
	s_ashr_i32 s19, s15, 31
	s_add_u32 s26, s8, s15
	s_addc_u32 s27, s9, s19
	v_cndmask_b32_e32 v3, s4, v2, vcc_lo
	v_ashrrev_i32_e32 v2, 31, v1
	s_lshl_b32 s2, s14, 4
	s_delay_alu instid0(SALU_CYCLE_1) | instskip(NEXT) | instid1(VALU_DEP_2)
	s_ashr_i32 s3, s2, 31
	v_ashrrev_i32_e32 v4, 31, v3
	s_delay_alu instid0(VALU_DEP_2) | instskip(SKIP_1) | instid1(SALU_CYCLE_1)
	v_lshlrev_b64 v[1:2], 2, v[1:2]
	s_lshl_b64 s[2:3], s[2:3], 2
	s_add_u32 s2, s13, s2
	s_delay_alu instid0(VALU_DEP_2) | instskip(SKIP_1) | instid1(VALU_DEP_2)
	v_lshlrev_b64 v[3:4], 2, v[3:4]
	s_addc_u32 s3, s16, s3
	v_add_co_u32 v1, vcc_lo, s13, v1
	v_add_co_ci_u32_e32 v2, vcc_lo, s16, v2, vcc_lo
	s_delay_alu instid0(VALU_DEP_3) | instskip(NEXT) | instid1(VALU_DEP_4)
	v_add_co_u32 v3, vcc_lo, s13, v3
	v_add_co_ci_u32_e32 v4, vcc_lo, s16, v4, vcc_lo
	s_clause 0x1
	global_load_b32 v5, v[1:2], off
	global_load_b32 v3, v[3:4], off
	s_or_b32 s6, s12, 32
	s_delay_alu instid0(SALU_CYCLE_1) | instskip(SKIP_2) | instid1(SALU_CYCLE_1)
	s_ashr_i32 s7, s6, 4
	s_cmp_lt_i32 s6, s17
	s_cselect_b32 s6, s7, s4
	s_ashr_i32 s7, s6, 31
	s_delay_alu instid0(SALU_CYCLE_1) | instskip(NEXT) | instid1(SALU_CYCLE_1)
	s_lshl_b64 s[6:7], s[6:7], 2
	s_add_u32 s6, s13, s6
	s_addc_u32 s7, s16, s7
	s_or_b32 s8, s12, 64
	s_delay_alu instid0(SALU_CYCLE_1) | instskip(SKIP_2) | instid1(SALU_CYCLE_1)
	s_ashr_i32 s9, s8, 4
	s_cmp_lt_i32 s8, s17
	s_cselect_b32 s8, s9, s4
	s_ashr_i32 s9, s8, 31
	s_delay_alu instid0(SALU_CYCLE_1) | instskip(NEXT) | instid1(SALU_CYCLE_1)
	s_lshl_b64 s[8:9], s[8:9], 2
	s_add_u32 s8, s13, s8
	s_addc_u32 s9, s16, s9
	s_or_b32 s20, s12, 0x60
	s_delay_alu instid0(SALU_CYCLE_1) | instskip(SKIP_2) | instid1(SALU_CYCLE_1)
	s_ashr_i32 s21, s20, 4
	s_cmp_lt_i32 s20, s17
	s_cselect_b32 s20, s21, s4
	s_ashr_i32 s21, s20, 31
	s_delay_alu instid0(SALU_CYCLE_1) | instskip(NEXT) | instid1(SALU_CYCLE_1)
	s_lshl_b64 s[20:21], s[20:21], 2
	s_add_u32 s20, s13, s20
	s_addc_u32 s21, s16, s21
	s_or_b32 s22, s12, 0x80
	s_delay_alu instid0(SALU_CYCLE_1) | instskip(SKIP_2) | instid1(SALU_CYCLE_1)
	s_ashr_i32 s23, s22, 4
	s_cmp_lt_i32 s22, s17
	s_cselect_b32 s22, s23, s4
	s_ashr_i32 s23, s22, 31
	s_delay_alu instid0(SALU_CYCLE_1) | instskip(NEXT) | instid1(SALU_CYCLE_1)
	s_lshl_b64 s[22:23], s[22:23], 2
	s_add_u32 s22, s13, s22
	s_addc_u32 s23, s16, s23
	s_or_b32 s24, s12, 0xa0
	s_delay_alu instid0(SALU_CYCLE_1) | instskip(SKIP_2) | instid1(SALU_CYCLE_1)
	s_ashr_i32 s25, s24, 4
	s_cmp_lt_i32 s24, s17
	s_cselect_b32 s24, s25, s4
	s_ashr_i32 s25, s24, 31
	s_delay_alu instid0(SALU_CYCLE_1) | instskip(NEXT) | instid1(SALU_CYCLE_1)
	s_lshl_b64 s[24:25], s[24:25], 2
	s_add_u32 s24, s13, s24
	s_addc_u32 s25, s16, s25
	s_clause 0x5
	s_load_b32 s28, s[2:3], 0x0
	s_load_b32 s31, s[6:7], 0x0
	;; [unrolled: 1-line block ×6, first 2 shown]
	s_mov_b32 s20, 0
	s_or_b32 s2, s12, 0xc0
	s_mov_b32 s21, s20
	s_mov_b32 s22, s20
	;; [unrolled: 1-line block ×5, first 2 shown]
	v_lshlrev_b32_e32 v1, 4, v0
	s_ashr_i32 s3, s2, 4
	s_cmp_lt_i32 s2, s17
	s_cselect_b32 s2, s3, s4
	s_delay_alu instid0(VALU_DEP_1) | instskip(SKIP_1) | instid1(SALU_CYCLE_1)
	v_and_b32_e32 v1, 0xf0, v1
	s_ashr_i32 s3, s2, 31
	s_lshl_b64 s[2:3], s[2:3], 2
	s_delay_alu instid0(VALU_DEP_1) | instskip(NEXT) | instid1(VALU_DEP_1)
	v_add_co_u32 v1, s26, s26, v1
	v_add_co_ci_u32_e64 v2, null, s27, 0, s26
	s_add_u32 s2, s13, s2
	s_addc_u32 s3, s16, s3
	s_or_b32 s6, s12, 0xe0
	s_mov_b32 s26, s20
	s_ashr_i32 s7, s6, 4
	s_cmp_lt_i32 s6, s17
	s_mov_b32 s27, s20
	s_cselect_b32 s6, s7, s4
	v_dual_mov_b32 v107, s27 :: v_dual_mov_b32 v100, s20
	s_ashr_i32 s7, s6, 31
	v_mov_b32_e32 v106, s26
	s_lshl_b64 s[6:7], s[6:7], 2
	v_dual_mov_b32 v104, s24 :: v_dual_mov_b32 v103, s23
	v_dual_mov_b32 v102, s22 :: v_dual_mov_b32 v101, s21
	v_mov_b32_e32 v105, s25
	s_waitcnt vmcnt(1)
	v_mad_i64_i32 v[33:34], null, v5, s5, v[1:2]
	s_waitcnt vmcnt(0)
	v_mad_i64_i32 v[35:36], null, v3, s5, v[1:2]
	s_clause 0xf
	global_load_b128 v[1:4], v[33:34], off
	global_load_b128 v[5:8], v[33:34], off offset:256
	global_load_b128 v[9:12], v[35:36], off
	global_load_b128 v[13:16], v[35:36], off offset:256
	global_load_b128 v[17:20], v[33:34], off offset:512
	;; [unrolled: 1-line block ×13, first 2 shown]
	v_and_b32_e32 v33, 7, v0
	v_lshlrev_b32_e32 v34, 4, v66
	s_delay_alu instid0(VALU_DEP_2) | instskip(NEXT) | instid1(VALU_DEP_2)
	v_lshlrev_b32_e32 v72, 6, v33
	v_lshl_or_b32 v41, v65, 8, v34
	ds_load_b128 v[33:36], v72
	ds_load_b128 v[37:40], v72 offset:1024
	ds_load_b128 v[108:111], v72 offset:2048
	;; [unrolled: 1-line block ×3, first 2 shown]
	s_load_b32 s4, s[2:3], 0x0
	s_add_u32 s2, s13, s6
	s_addc_u32 s3, s16, s7
	ds_load_b128 v[116:119], v72 offset:4096
	ds_load_b128 v[120:123], v72 offset:5120
	s_load_b32 s2, s[2:3], 0x0
	s_add_u32 s6, s10, s15
	s_addc_u32 s7, s11, s19
	v_add_co_u32 v68, s6, s6, v41
	s_delay_alu instid0(VALU_DEP_1) | instskip(SKIP_1) | instid1(VALU_DEP_1)
	v_add_co_ci_u32_e64 v69, null, s7, 0, s6
	s_waitcnt lgkmcnt(0)
	v_mad_i64_i32 v[41:42], null, s28, s5, v[68:69]
	v_mad_i64_i32 v[70:71], null, s8, s5, v[68:69]
	;; [unrolled: 1-line block ×7, first 2 shown]
	s_clause 0x3
	global_load_b128 v[49:52], v[41:42], off
	global_load_b128 v[53:56], v[41:42], off offset:16
	global_load_b128 v[41:44], v[45:46], off
	global_load_b128 v[45:48], v[45:46], off offset:16
	s_waitcnt vmcnt(18)
	v_wmma_f32_16x16x16_bf16 v[124:131], v[1:8], v[33:40], v[100:107]
	s_waitcnt vmcnt(16)
	v_wmma_f32_16x16x16_bf16 v[100:107], v[9:16], v[33:40], v[100:107]
	s_clause 0x1
	global_load_b128 v[33:36], v[70:71], off
	global_load_b128 v[37:40], v[70:71], off offset:16
	v_mad_i64_i32 v[70:71], null, s2, s5, v[68:69]
	s_waitcnt vmcnt(16)
	v_wmma_f32_16x16x16_bf16 v[124:131], v[17:24], v[108:115], v[124:131]
	s_waitcnt vmcnt(14)
	v_wmma_f32_16x16x16_bf16 v[100:107], v[25:32], v[108:115], v[100:107]
	s_clause 0x7
	global_load_b128 v[25:28], v[132:133], off
	global_load_b128 v[29:32], v[132:133], off offset:16
	global_load_b128 v[1:4], v[134:135], off
	global_load_b128 v[5:8], v[134:135], off offset:16
	;; [unrolled: 2-line block ×4, first 2 shown]
	s_waitcnt vmcnt(20)
	v_wmma_f32_16x16x16_bf16 v[124:131], v[57:64], v[116:123], v[124:131]
	s_clause 0x1
	global_load_b128 v[57:60], v[70:71], off
	global_load_b128 v[61:64], v[70:71], off offset:16
	s_waitcnt vmcnt(20)
	v_wmma_f32_16x16x16_bf16 v[100:107], v[76:83], v[116:123], v[100:107]
	ds_load_b128 v[76:79], v72 offset:6144
	ds_load_b128 v[80:83], v72 offset:7168
	v_and_b32_e32 v68, 0xe0, v0
	v_mbcnt_lo_u32_b32 v69, -1, 0
	s_waitcnt vmcnt(0) lgkmcnt(0)
	s_barrier
	buffer_gl0_inv
	v_add_nc_u32_e32 v68, s12, v68
	v_xor_b32_e32 v70, 16, v69
	s_delay_alu instid0(VALU_DEP_2) | instskip(NEXT) | instid1(VALU_DEP_2)
	v_or_b32_e32 v68, v68, v74
	v_cmp_gt_i32_e32 vcc_lo, 32, v70
	s_delay_alu instid0(VALU_DEP_2)
	v_or_b32_e32 v71, 4, v68
	v_or_b32_e32 v72, 6, v68
	v_cmp_gt_i32_e64 s2, s17, v68
	v_or_b32_e32 v108, 8, v68
	v_wmma_f32_16x16x16_bf16 v[124:131], v[84:91], v[76:83], v[124:131]
	v_cndmask_b32_e32 v69, v69, v70, vcc_lo
	v_or_b32_e32 v70, 2, v68
	v_wmma_f32_16x16x16_bf16 v[100:107], v[92:99], v[76:83], v[100:107]
	v_or_b32_e32 v109, 10, v68
	v_dual_mul_f32 v80, s18, v129 :: v_dual_mul_f32 v81, s18, v128
	v_dual_mul_f32 v92, s18, v125 :: v_dual_mul_f32 v93, s18, v124
	s_delay_alu instid0(VALU_DEP_4)
	v_mul_f32_e32 v96, s18, v105
	v_cmp_gt_i32_e32 vcc_lo, s17, v70
	v_or_b32_e32 v89, 22, v68
	v_dual_mul_f32 v79, s18, v130 :: v_dual_mul_f32 v82, s18, v127
	v_dual_mul_f32 v83, s18, v126 :: v_dual_mul_f32 v94, s18, v107
	v_cndmask_b32_e64 v93, 0xff7fffff, v93, s2
	v_cndmask_b32_e32 v92, 0xff7fffff, v92, vcc_lo
	v_cmp_gt_i32_e64 s3, s17, v71
	v_cmp_gt_i32_e64 s4, s17, v72
	v_or_b32_e32 v84, 12, v68
	v_or_b32_e32 v85, 14, v68
	v_cmp_gt_i32_e64 s5, s17, v108
	v_cndmask_b32_e64 v71, 0xff7fffff, v83, s3
	v_cndmask_b32_e64 v72, 0xff7fffff, v82, s4
	v_cmp_gt_i32_e64 s6, s17, v109
	v_cmp_gt_i32_e64 s12, s17, v89
	v_lshlrev_b32_e32 v89, 2, v69
	v_max3_f32 v82, v93, 0xff7fffff, v92
	v_or_b32_e32 v86, 16, v68
	v_or_b32_e32 v87, 18, v68
	v_mul_f32_e32 v78, s18, v131
	v_cndmask_b32_e64 v81, 0xff7fffff, v81, s5
	v_cndmask_b32_e64 v80, 0xff7fffff, v80, s6
	v_max3_f32 v71, v82, v71, v72
	v_cmp_gt_i32_e64 s7, s17, v84
	v_cmp_gt_i32_e64 s8, s17, v85
	v_or_b32_e32 v88, 20, v68
	v_or_b32_e32 v90, 24, v68
	;; [unrolled: 1-line block ×5, first 2 shown]
	v_dual_mul_f32 v97, s18, v104 :: v_dual_mul_f32 v70, s18, v101
	v_dual_mul_f32 v99, s18, v102 :: v_dual_mul_f32 v68, s18, v100
	v_cndmask_b32_e64 v72, 0xff7fffff, v79, s7
	v_cndmask_b32_e64 v78, 0xff7fffff, v78, s8
	v_max3_f32 v71, v71, v81, v80
	v_cmp_gt_i32_e64 s9, s17, v86
	v_cmp_gt_i32_e64 s10, s17, v87
	v_dual_mul_f32 v95, s18, v106 :: v_dual_mul_f32 v98, s18, v103
	s_delay_alu instid0(VALU_DEP_4) | instskip(NEXT) | instid1(VALU_DEP_4)
	v_max3_f32 v71, v71, v72, v78
	v_cndmask_b32_e64 v68, 0xff7fffff, v68, s9
	s_delay_alu instid0(VALU_DEP_4)
	v_cndmask_b32_e64 v70, 0xff7fffff, v70, s10
	v_cmp_gt_i32_e64 s11, s17, v88
	v_cndmask_b32_e64 v78, 0xff7fffff, v98, s12
	v_cmp_gt_i32_e64 s13, s17, v90
	v_cmp_gt_i32_e64 s15, s17, v91
	v_max3_f32 v68, v71, v68, v70
	v_cndmask_b32_e64 v72, 0xff7fffff, v99, s11
	v_cmp_gt_i32_e64 s16, s17, v76
	v_cndmask_b32_e64 v70, 0xff7fffff, v97, s13
	v_cndmask_b32_e64 v71, 0xff7fffff, v96, s15
	v_cmp_gt_i32_e64 s17, s17, v77
	v_max3_f32 v68, v68, v72, v78
	v_cndmask_b32_e64 v72, 0xff7fffff, v95, s16
	s_delay_alu instid0(VALU_DEP_3) | instskip(NEXT) | instid1(VALU_DEP_3)
	v_cndmask_b32_e64 v76, 0xff7fffff, v94, s17
	v_max3_f32 v68, v68, v70, v71
	s_delay_alu instid0(VALU_DEP_1) | instskip(SKIP_3) | instid1(VALU_DEP_1)
	v_max3_f32 v68, v68, v72, v76
	ds_bpermute_b32 v69, v89, v68
	s_waitcnt lgkmcnt(0)
	v_max_f32_e32 v69, v69, v69
	v_max_f32_e32 v68, v68, v69
	s_delay_alu instid0(VALU_DEP_1) | instskip(NEXT) | instid1(VALU_DEP_1)
	v_fma_f32 v71, s18, v126, -v68
	v_mul_f32_e32 v71, 0x3fb8aa3b, v71
	v_fma_f32 v70, s18, v125, -v68
	v_fma_f32 v69, s18, v124, -v68
	;; [unrolled: 1-line block ×5, first 2 shown]
	s_delay_alu instid0(VALU_DEP_4) | instskip(SKIP_1) | instid1(VALU_DEP_3)
	v_dual_mul_f32 v70, 0x3fb8aa3b, v70 :: v_dual_mul_f32 v69, 0x3fb8aa3b, v69
	v_exp_f32_e32 v71, v71
	v_mul_f32_e32 v72, 0x3fb8aa3b, v72
	v_fma_f32 v81, s18, v105, -v68
	s_delay_alu instid0(VALU_DEP_3)
	v_exp_f32_e32 v70, v70
	v_mul_f32_e32 v77, 0x3fb8aa3b, v76
	v_exp_f32_e32 v69, v69
	v_exp_f32_e32 v72, v72
	v_mul_f32_e32 v81, 0x3fb8aa3b, v81
	v_cndmask_b32_e64 v83, 0, v71, s3
	v_fma_f32 v71, s18, v131, -v68
	s_delay_alu instid0(VALU_DEP_3) | instskip(SKIP_4) | instid1(TRANS32_DEP_3)
	v_exp_f32_e32 v81, v81
	v_cndmask_b32_e32 v76, 0, v70, vcc_lo
	v_exp_f32_e32 v77, v77
	v_cndmask_b32_e64 v80, 0, v69, s2
	v_fma_f32 v69, s18, v129, -v68
	v_cndmask_b32_e64 v85, 0, v72, s4
	v_mul_f32_e32 v71, 0x3fb8aa3b, v71
	v_fma_f32 v72, s18, v100, -v68
	s_delay_alu instid0(VALU_DEP_4) | instskip(SKIP_1) | instid1(VALU_DEP_3)
	v_dual_add_f32 v70, 0, v80 :: v_dual_mul_f32 v69, 0x3fb8aa3b, v69
	s_mov_b32 s2, exec_lo
	v_exp_f32_e32 v71, v71
	s_delay_alu instid0(TRANS32_DEP_2) | instskip(SKIP_4) | instid1(VALU_DEP_3)
	v_cndmask_b32_e64 v86, 0, v77, s5
	v_fma_f32 v77, s18, v101, -v68
	v_mul_f32_e32 v78, 0x3fb8aa3b, v78
	v_add_f32_e32 v70, v70, v76
	v_exp_f32_e32 v69, v69
	v_mul_f32_e32 v77, 0x3fb8aa3b, v77
	s_delay_alu instid0(VALU_DEP_3) | instskip(NEXT) | instid1(TRANS32_DEP_3)
	v_exp_f32_e32 v78, v78
	v_cndmask_b32_e64 v88, 0, v71, s8
	v_fma_f32 v71, s18, v104, -v68
	s_delay_alu instid0(VALU_DEP_3) | instskip(NEXT) | instid1(TRANS32_DEP_3)
	v_exp_f32_e32 v77, v77
	v_cndmask_b32_e64 v87, 0, v69, s6
	s_delay_alu instid0(VALU_DEP_2)
	v_mul_f32_e32 v71, 0x3fb8aa3b, v71
	s_waitcnt_depctr 0xfff
	v_cndmask_b32_e64 v84, 0, v78, s7
	v_add_f32_e32 v70, v70, v83
	v_fma_f32 v78, s18, v103, -v68
	v_exp_f32_e32 v82, v71
	s_delay_alu instid0(VALU_DEP_2) | instskip(SKIP_1) | instid1(VALU_DEP_3)
	v_add_f32_e32 v70, v70, v85
	v_mul_f32_e32 v72, 0x3fb8aa3b, v72
	v_mul_f32_e32 v78, 0x3fb8aa3b, v78
	s_delay_alu instid0(VALU_DEP_3) | instskip(SKIP_1) | instid1(VALU_DEP_4)
	v_add_f32_e32 v69, v70, v86
	v_fma_f32 v70, s18, v102, -v68
	v_exp_f32_e32 v72, v72
	s_delay_alu instid0(VALU_DEP_3) | instskip(NEXT) | instid1(VALU_DEP_1)
	v_exp_f32_e32 v78, v78
	v_dual_add_f32 v69, v69, v87 :: v_dual_mul_f32 v70, 0x3fb8aa3b, v70
	s_delay_alu instid0(VALU_DEP_1) | instskip(NEXT) | instid1(VALU_DEP_2)
	v_add_f32_e32 v69, v69, v84
	v_exp_f32_e32 v79, v70
	s_delay_alu instid0(TRANS32_DEP_3) | instskip(NEXT) | instid1(VALU_DEP_2)
	v_cndmask_b32_e64 v70, 0, v72, s9
	v_add_f32_e32 v72, v69, v88
	v_cndmask_b32_e64 v69, 0, v77, s10
	v_fma_f32 v77, s18, v106, -v68
	s_waitcnt_depctr 0xfff
	v_cndmask_b32_e64 v71, 0, v79, s11
	v_dual_mul_f32 v77, 0x3fb8aa3b, v77 :: v_dual_add_f32 v72, v72, v70
	s_delay_alu instid0(VALU_DEP_1) | instskip(NEXT) | instid1(VALU_DEP_1)
	v_exp_f32_e32 v90, v77
	v_add_f32_e32 v79, v72, v69
	v_cndmask_b32_e64 v72, 0, v78, s12
	v_cndmask_b32_e64 v77, 0, v82, s13
	s_delay_alu instid0(VALU_DEP_3) | instskip(SKIP_1) | instid1(VALU_DEP_1)
	v_add_f32_e32 v78, v79, v71
	v_fma_f32 v79, s18, v107, -v68
	v_dual_add_f32 v82, v78, v72 :: v_dual_mul_f32 v79, 0x3fb8aa3b, v79
	v_cndmask_b32_e64 v78, 0, v81, s15
	s_delay_alu instid0(VALU_DEP_2) | instskip(NEXT) | instid1(VALU_DEP_3)
	v_add_f32_e32 v81, v82, v77
	v_exp_f32_e32 v82, v79
	v_cndmask_b32_e64 v79, 0, v90, s16
	s_delay_alu instid0(VALU_DEP_2) | instskip(NEXT) | instid1(VALU_DEP_1)
	v_add_f32_e32 v81, v81, v78
	v_add_f32_e32 v90, v81, v79
	s_waitcnt_depctr 0xfff
	v_cndmask_b32_e64 v81, 0, v82, s17
	s_delay_alu instid0(VALU_DEP_1)
	v_add_f32_e32 v82, v90, v81
	ds_bpermute_b32 v89, v89, v82
	v_cmpx_gt_u32_e32 16, v67
	s_cbranch_execz .LBB1845_12
; %bb.11:
	v_mul_u32_u24_e32 v67, 0x44, v65
	s_delay_alu instid0(VALU_DEP_1) | instskip(SKIP_1) | instid1(VALU_DEP_1)
	v_lshl_add_u32 v67, v66, 2, v67
	s_waitcnt lgkmcnt(0)
	v_dual_add_f32 v82, v82, v89 :: v_dual_add_nc_u32 v67, 0x4000, v67
	ds_store_2addr_b32 v67, v68, v82 offset1:136
.LBB1845_12:
	s_or_b32 exec_lo, exec_lo, s2
	v_lshlrev_b32_e32 v67, 2, v66
	s_waitcnt lgkmcnt(0)
	s_barrier
	buffer_gl0_inv
	v_cmp_eq_u32_e32 vcc_lo, 1, v65
	v_add_nc_u32_e32 v82, 0x4000, v67
	v_cmp_eq_u32_e64 s2, 2, v65
	v_cmp_eq_u32_e64 s4, 7, v65
	ds_load_2addr_b32 v[89:90], v82 offset1:17
	ds_load_2addr_b32 v[91:92], v82 offset0:34 offset1:51
	ds_load_2addr_b32 v[93:94], v82 offset0:68 offset1:85
	;; [unrolled: 1-line block ×4, first 2 shown]
	s_waitcnt lgkmcnt(4)
	v_max3_f32 v67, v89, 0xff7fffff, v90
	s_waitcnt lgkmcnt(3)
	s_delay_alu instid0(VALU_DEP_1) | instskip(SKIP_1) | instid1(VALU_DEP_1)
	v_max3_f32 v67, v67, v91, v92
	s_waitcnt lgkmcnt(2)
	v_max3_f32 v67, v67, v93, v94
	s_waitcnt lgkmcnt(1)
	s_delay_alu instid0(VALU_DEP_1) | instskip(NEXT) | instid1(VALU_DEP_1)
	v_max3_f32 v67, v67, v95, v96
	v_sub_f32_e32 v93, v93, v67
	s_delay_alu instid0(VALU_DEP_1) | instskip(NEXT) | instid1(VALU_DEP_1)
	v_dual_sub_f32 v68, v89, v67 :: v_dual_mul_f32 v103, 0x3fb8aa3b, v93
	v_mul_f32_e32 v68, 0x3fb8aa3b, v68
	s_delay_alu instid0(VALU_DEP_1)
	v_exp_f32_e32 v100, v68
	v_sub_f32_e32 v68, v92, v67
	v_sub_f32_e32 v99, v90, v67
	ds_load_2addr_b32 v[89:90], v82 offset0:170 offset1:187
	v_dual_mul_f32 v102, 0x3fb8aa3b, v68 :: v_dual_mul_f32 v99, 0x3fb8aa3b, v99
	s_waitcnt lgkmcnt(1)
	v_fma_f32 v68, v100, v97, 0
	s_delay_alu instid0(VALU_DEP_2) | instskip(NEXT) | instid1(VALU_DEP_2)
	v_exp_f32_e32 v102, v102
	v_exp_f32_e32 v99, v99
	s_waitcnt_depctr 0xfff
	v_fmac_f32_e32 v68, v99, v98
	v_sub_f32_e32 v91, v91, v67
	s_delay_alu instid0(VALU_DEP_1)
	v_mul_f32_e32 v101, 0x3fb8aa3b, v91
	ds_load_2addr_b32 v[91:92], v82 offset0:204 offset1:221
	v_sub_f32_e32 v97, v94, v67
	ds_load_2addr_b32 v[93:94], v82 offset0:238 offset1:255
	s_waitcnt lgkmcnt(0)
	v_exp_f32_e32 v101, v101
	s_barrier
	buffer_gl0_inv
	v_dual_fmac_f32 v68, v101, v89 :: v_dual_sub_f32 v89, v96, v67
	v_dual_sub_f32 v82, v95, v67 :: v_dual_mul_f32 v95, 0x3fb8aa3b, v97
	v_exp_f32_e32 v97, v103
	s_delay_alu instid0(VALU_DEP_2) | instskip(NEXT) | instid1(VALU_DEP_2)
	v_dual_fmac_f32 v68, v102, v90 :: v_dual_mul_f32 v89, 0x3fb8aa3b, v89
	v_mul_f32_e32 v82, 0x3fb8aa3b, v82
	s_delay_alu instid0(VALU_DEP_3) | instskip(NEXT) | instid1(VALU_DEP_2)
	v_exp_f32_e32 v95, v95
	v_exp_f32_e32 v89, v89
	s_delay_alu instid0(VALU_DEP_1)
	v_exp_f32_e32 v82, v82
	v_fmac_f32_e32 v68, v97, v91
	s_delay_alu instid0(TRANS32_DEP_3) | instid1(VALU_DEP_1)
	v_fmac_f32_e32 v68, v95, v92
	s_waitcnt_depctr 0xfff
	v_fmac_f32_e32 v68, v82, v93
	s_delay_alu instid0(VALU_DEP_1) | instskip(NEXT) | instid1(VALU_DEP_1)
	v_fmac_f32_e32 v68, v89, v94
	v_add_f32_e32 v90, 0x358637bd, v68
	s_delay_alu instid0(VALU_DEP_1) | instskip(NEXT) | instid1(VALU_DEP_1)
	v_div_scale_f32 v91, null, v90, v90, 1.0
	v_rcp_f32_e32 v92, v91
	s_waitcnt_depctr 0xfff
	v_fma_f32 v93, -v91, v92, 1.0
	s_delay_alu instid0(VALU_DEP_1) | instskip(SKIP_1) | instid1(VALU_DEP_2)
	v_dual_fmac_f32 v92, v93, v92 :: v_dual_cndmask_b32 v93, v100, v99
	v_cmp_eq_u32_e32 vcc_lo, 3, v65
	v_cndmask_b32_e64 v93, v93, v101, s2
	v_cmp_eq_u32_e64 s2, 4, v65
	s_delay_alu instid0(VALU_DEP_2) | instskip(SKIP_1) | instid1(VALU_DEP_2)
	v_cndmask_b32_e32 v93, v93, v102, vcc_lo
	v_cmp_eq_u32_e32 vcc_lo, 5, v65
	v_cndmask_b32_e64 v93, v93, v97, s2
	v_cmp_eq_u32_e64 s2, 6, v65
	s_delay_alu instid0(VALU_DEP_2) | instskip(SKIP_1) | instid1(VALU_DEP_1)
	v_cndmask_b32_e32 v93, v93, v95, vcc_lo
	v_div_scale_f32 v94, s3, 1.0, v90, 1.0
	s_mov_b32 vcc_lo, s3
	s_delay_alu instid0(VALU_DEP_2) | instskip(NEXT) | instid1(VALU_DEP_2)
	v_cndmask_b32_e64 v82, v93, v82, s2
	v_mul_f32_e32 v96, v94, v92
	s_mov_b32 s2, exec_lo
	s_delay_alu instid0(VALU_DEP_2) | instskip(NEXT) | instid1(VALU_DEP_2)
	v_cndmask_b32_e64 v82, v82, v89, s4
	v_fma_f32 v98, -v91, v96, v94
	s_delay_alu instid0(VALU_DEP_1) | instskip(NEXT) | instid1(VALU_DEP_1)
	v_fmac_f32_e32 v96, v98, v92
	v_fma_f32 v91, -v91, v96, v94
	s_delay_alu instid0(VALU_DEP_1) | instskip(NEXT) | instid1(VALU_DEP_1)
	v_div_fmas_f32 v91, v91, v92, v96
	v_div_fixup_f32 v90, v91, v90, 1.0
	s_delay_alu instid0(VALU_DEP_1) | instskip(NEXT) | instid1(VALU_DEP_1)
	v_mul_f32_e32 v82, v82, v90
	v_mul_f32_e32 v87, v82, v87
	;; [unrolled: 1-line block ×7, first 2 shown]
	v_dual_mul_f32 v86, v82, v83 :: v_dual_and_b32 v91, 0x7f800000, v90
	v_mul_f32_e32 v85, v82, v76
                                        ; implicit-def: $vgpr76
	s_delay_alu instid0(VALU_DEP_2)
	v_cmpx_ne_u32_e32 0x7f800000, v91
	s_xor_b32 s2, exec_lo, s2
; %bb.13:
	v_bfe_u32 v76, v90, 16, 1
	s_delay_alu instid0(VALU_DEP_1)
	v_add3_u32 v76, v90, v76, 0x7fff
                                        ; implicit-def: $vgpr90
; %bb.14:
	s_and_not1_saveexec_b32 s2, s2
; %bb.15:
	v_and_b32_e32 v76, 0xffff, v90
	v_or_b32_e32 v83, 0x10000, v90
	s_delay_alu instid0(VALU_DEP_2) | instskip(NEXT) | instid1(VALU_DEP_2)
	v_cmp_eq_u32_e32 vcc_lo, 0, v76
	v_cndmask_b32_e32 v76, v83, v90, vcc_lo
; %bb.16:
	s_or_b32 exec_lo, exec_lo, s2
	v_and_b32_e32 v83, 0x7f800000, v85
	s_delay_alu instid0(VALU_DEP_1) | instskip(SKIP_1) | instid1(SALU_CYCLE_1)
	v_cmp_ne_u32_e32 vcc_lo, 0x7f800000, v83
                                        ; implicit-def: $vgpr83
	s_and_saveexec_b32 s2, vcc_lo
	s_xor_b32 s2, exec_lo, s2
; %bb.17:
	v_bfe_u32 v83, v85, 16, 1
	s_delay_alu instid0(VALU_DEP_1)
	v_add3_u32 v83, v85, v83, 0x7fff
                                        ; implicit-def: $vgpr85
; %bb.18:
	s_and_not1_saveexec_b32 s2, s2
; %bb.19:
	v_and_b32_e32 v83, 0xffff, v85
	v_or_b32_e32 v90, 0x10000, v85
	s_delay_alu instid0(VALU_DEP_2) | instskip(NEXT) | instid1(VALU_DEP_2)
	v_cmp_eq_u32_e32 vcc_lo, 0, v83
	v_cndmask_b32_e32 v83, v90, v85, vcc_lo
; %bb.20:
	s_or_b32 exec_lo, exec_lo, s2
	v_and_b32_e32 v85, 0x7f800000, v86
	s_delay_alu instid0(VALU_DEP_1) | instskip(SKIP_1) | instid1(SALU_CYCLE_1)
	v_cmp_ne_u32_e32 vcc_lo, 0x7f800000, v85
                                        ; implicit-def: $vgpr85
	s_and_saveexec_b32 s2, vcc_lo
	s_xor_b32 s2, exec_lo, s2
; %bb.21:
	v_bfe_u32 v85, v86, 16, 1
	s_delay_alu instid0(VALU_DEP_1)
	v_add3_u32 v85, v86, v85, 0x7fff
                                        ; implicit-def: $vgpr86
; %bb.22:
	s_and_not1_saveexec_b32 s2, s2
; %bb.23:
	v_and_b32_e32 v85, 0xffff, v86
	v_or_b32_e32 v90, 0x10000, v86
	s_delay_alu instid0(VALU_DEP_2) | instskip(NEXT) | instid1(VALU_DEP_2)
	v_cmp_eq_u32_e32 vcc_lo, 0, v85
	v_cndmask_b32_e32 v85, v90, v86, vcc_lo
; %bb.24:
	s_or_b32 exec_lo, exec_lo, s2
	v_and_b32_e32 v86, 0x7f800000, v89
	s_delay_alu instid0(VALU_DEP_1) | instskip(SKIP_1) | instid1(SALU_CYCLE_1)
	v_cmp_ne_u32_e32 vcc_lo, 0x7f800000, v86
                                        ; implicit-def: $vgpr86
	s_and_saveexec_b32 s2, vcc_lo
	s_xor_b32 s2, exec_lo, s2
; %bb.25:
	v_bfe_u32 v86, v89, 16, 1
	s_delay_alu instid0(VALU_DEP_1)
	v_add3_u32 v86, v89, v86, 0x7fff
                                        ; implicit-def: $vgpr89
; %bb.26:
	s_and_not1_saveexec_b32 s2, s2
; %bb.27:
	v_and_b32_e32 v86, 0xffff, v89
	v_or_b32_e32 v90, 0x10000, v89
	s_delay_alu instid0(VALU_DEP_2) | instskip(NEXT) | instid1(VALU_DEP_2)
	v_cmp_eq_u32_e32 vcc_lo, 0, v86
	v_cndmask_b32_e32 v86, v90, v89, vcc_lo
; %bb.28:
	s_or_b32 exec_lo, exec_lo, s2
	v_and_b32_e32 v89, 0x7f800000, v88
	s_delay_alu instid0(VALU_DEP_1) | instskip(SKIP_1) | instid1(SALU_CYCLE_1)
	v_cmp_ne_u32_e32 vcc_lo, 0x7f800000, v89
                                        ; implicit-def: $vgpr89
	s_and_saveexec_b32 s2, vcc_lo
	s_xor_b32 s2, exec_lo, s2
; %bb.29:
	v_bfe_u32 v89, v88, 16, 1
	s_delay_alu instid0(VALU_DEP_1)
	v_add3_u32 v89, v88, v89, 0x7fff
                                        ; implicit-def: $vgpr88
; %bb.30:
	s_and_not1_saveexec_b32 s2, s2
; %bb.31:
	v_and_b32_e32 v89, 0xffff, v88
	v_or_b32_e32 v90, 0x10000, v88
	s_delay_alu instid0(VALU_DEP_2) | instskip(NEXT) | instid1(VALU_DEP_2)
	v_cmp_eq_u32_e32 vcc_lo, 0, v89
	v_cndmask_b32_e32 v89, v90, v88, vcc_lo
; %bb.32:
	s_or_b32 exec_lo, exec_lo, s2
	v_and_b32_e32 v88, 0x7f800000, v87
	s_delay_alu instid0(VALU_DEP_1) | instskip(SKIP_1) | instid1(SALU_CYCLE_1)
	v_cmp_ne_u32_e32 vcc_lo, 0x7f800000, v88
                                        ; implicit-def: $vgpr88
	s_and_saveexec_b32 s2, vcc_lo
	s_xor_b32 s2, exec_lo, s2
; %bb.33:
	v_bfe_u32 v88, v87, 16, 1
	s_delay_alu instid0(VALU_DEP_1)
	v_add3_u32 v88, v87, v88, 0x7fff
                                        ; implicit-def: $vgpr87
; %bb.34:
	s_and_not1_saveexec_b32 s2, s2
; %bb.35:
	v_and_b32_e32 v88, 0xffff, v87
	v_or_b32_e32 v90, 0x10000, v87
	s_delay_alu instid0(VALU_DEP_2) | instskip(NEXT) | instid1(VALU_DEP_2)
	v_cmp_eq_u32_e32 vcc_lo, 0, v88
	v_cndmask_b32_e32 v88, v90, v87, vcc_lo
; %bb.36:
	s_or_b32 exec_lo, exec_lo, s2
	v_and_b32_e32 v87, 0x7f800000, v84
	s_delay_alu instid0(VALU_DEP_1) | instskip(SKIP_1) | instid1(SALU_CYCLE_1)
	v_cmp_ne_u32_e32 vcc_lo, 0x7f800000, v87
                                        ; implicit-def: $vgpr87
	s_and_saveexec_b32 s2, vcc_lo
	s_xor_b32 s2, exec_lo, s2
; %bb.37:
	v_bfe_u32 v87, v84, 16, 1
	s_delay_alu instid0(VALU_DEP_1)
	v_add3_u32 v87, v84, v87, 0x7fff
                                        ; implicit-def: $vgpr84
; %bb.38:
	s_and_not1_saveexec_b32 s2, s2
; %bb.39:
	v_and_b32_e32 v87, 0xffff, v84
	v_or_b32_e32 v90, 0x10000, v84
	s_delay_alu instid0(VALU_DEP_2) | instskip(NEXT) | instid1(VALU_DEP_2)
	v_cmp_eq_u32_e32 vcc_lo, 0, v87
	v_cndmask_b32_e32 v87, v90, v84, vcc_lo
; %bb.40:
	s_or_b32 exec_lo, exec_lo, s2
	v_and_b32_e32 v84, 0x7f800000, v80
	s_delay_alu instid0(VALU_DEP_1) | instskip(SKIP_1) | instid1(SALU_CYCLE_1)
	v_cmp_ne_u32_e32 vcc_lo, 0x7f800000, v84
                                        ; implicit-def: $vgpr84
	s_and_saveexec_b32 s2, vcc_lo
	s_xor_b32 s2, exec_lo, s2
; %bb.41:
	v_bfe_u32 v84, v80, 16, 1
	s_delay_alu instid0(VALU_DEP_1)
	v_add3_u32 v84, v80, v84, 0x7fff
                                        ; implicit-def: $vgpr80
; %bb.42:
	s_and_not1_saveexec_b32 s2, s2
; %bb.43:
	v_and_b32_e32 v84, 0xffff, v80
	v_or_b32_e32 v90, 0x10000, v80
	s_delay_alu instid0(VALU_DEP_2) | instskip(NEXT) | instid1(VALU_DEP_2)
	v_cmp_eq_u32_e32 vcc_lo, 0, v84
	v_cndmask_b32_e32 v84, v90, v80, vcc_lo
; %bb.44:
	s_or_b32 exec_lo, exec_lo, s2
	s_load_b64 s[34:35], s[0:1], 0x94
	v_lshlrev_b32_e32 v91, 4, v74
	s_delay_alu instid0(VALU_DEP_2)
	v_perm_b32 v90, v84, v87, 0x7060302
	v_dual_mul_f32 v77, v82, v77 :: v_dual_lshlrev_b32 v80, 6, v66
	v_lshlrev_b32_e32 v66, 11, v65
	v_perm_b32 v87, v83, v76, 0x7060302
	v_mul_f32_e32 v83, v82, v70
	v_perm_b32 v89, v88, v89, 0x7060302
	v_perm_b32 v88, v86, v85, 0x7060302
	v_or3_b32 v76, v91, v66, v80
	v_mul_f32_e32 v66, v82, v81
	v_mul_f32_e32 v70, v82, v79
	;; [unrolled: 1-line block ×3, first 2 shown]
	v_dual_mul_f32 v81, v82, v72 :: v_dual_and_b32 v84, 0x7f800000, v83
	v_mul_f32_e32 v79, v82, v71
	v_mul_f32_e32 v72, v82, v69
	s_mov_b32 s2, exec_lo
	ds_store_b128 v76, v[87:90]
                                        ; implicit-def: $vgpr69
	v_cmpx_ne_u32_e32 0x7f800000, v84
	s_xor_b32 s2, exec_lo, s2
; %bb.45:
	v_bfe_u32 v69, v83, 16, 1
	s_delay_alu instid0(VALU_DEP_1)
	v_add3_u32 v69, v83, v69, 0x7fff
                                        ; implicit-def: $vgpr83
; %bb.46:
	s_and_not1_saveexec_b32 s2, s2
; %bb.47:
	v_and_b32_e32 v69, 0xffff, v83
	v_or_b32_e32 v71, 0x10000, v83
	s_delay_alu instid0(VALU_DEP_2) | instskip(NEXT) | instid1(VALU_DEP_2)
	v_cmp_eq_u32_e32 vcc_lo, 0, v69
	v_cndmask_b32_e32 v69, v71, v83, vcc_lo
; %bb.48:
	s_or_b32 exec_lo, exec_lo, s2
	v_and_b32_e32 v71, 0x7f800000, v72
	s_delay_alu instid0(VALU_DEP_1) | instskip(SKIP_1) | instid1(SALU_CYCLE_1)
	v_cmp_ne_u32_e32 vcc_lo, 0x7f800000, v71
                                        ; implicit-def: $vgpr71
	s_and_saveexec_b32 s2, vcc_lo
	s_xor_b32 s2, exec_lo, s2
; %bb.49:
	v_bfe_u32 v71, v72, 16, 1
	s_delay_alu instid0(VALU_DEP_1)
	v_add3_u32 v71, v72, v71, 0x7fff
                                        ; implicit-def: $vgpr72
; %bb.50:
	s_and_not1_saveexec_b32 s2, s2
; %bb.51:
	v_and_b32_e32 v71, 0xffff, v72
	v_or_b32_e32 v82, 0x10000, v72
	s_delay_alu instid0(VALU_DEP_2) | instskip(NEXT) | instid1(VALU_DEP_2)
	v_cmp_eq_u32_e32 vcc_lo, 0, v71
	v_cndmask_b32_e32 v71, v82, v72, vcc_lo
; %bb.52:
	s_or_b32 exec_lo, exec_lo, s2
	v_and_b32_e32 v72, 0x7f800000, v79
	s_delay_alu instid0(VALU_DEP_1) | instskip(SKIP_1) | instid1(SALU_CYCLE_1)
	v_cmp_ne_u32_e32 vcc_lo, 0x7f800000, v72
                                        ; implicit-def: $vgpr72
	s_and_saveexec_b32 s2, vcc_lo
	s_xor_b32 s2, exec_lo, s2
; %bb.53:
	v_bfe_u32 v72, v79, 16, 1
	s_delay_alu instid0(VALU_DEP_1)
	v_add3_u32 v72, v79, v72, 0x7fff
                                        ; implicit-def: $vgpr79
; %bb.54:
	s_and_not1_saveexec_b32 s2, s2
; %bb.55:
	v_and_b32_e32 v72, 0xffff, v79
	v_or_b32_e32 v82, 0x10000, v79
	s_delay_alu instid0(VALU_DEP_2) | instskip(NEXT) | instid1(VALU_DEP_2)
	v_cmp_eq_u32_e32 vcc_lo, 0, v72
	v_cndmask_b32_e32 v72, v82, v79, vcc_lo
; %bb.56:
	s_or_b32 exec_lo, exec_lo, s2
	v_and_b32_e32 v79, 0x7f800000, v81
	s_delay_alu instid0(VALU_DEP_1) | instskip(SKIP_1) | instid1(SALU_CYCLE_1)
	v_cmp_ne_u32_e32 vcc_lo, 0x7f800000, v79
                                        ; implicit-def: $vgpr79
	s_and_saveexec_b32 s2, vcc_lo
	s_xor_b32 s2, exec_lo, s2
; %bb.57:
	v_bfe_u32 v79, v81, 16, 1
	s_delay_alu instid0(VALU_DEP_1)
	v_add3_u32 v79, v81, v79, 0x7fff
                                        ; implicit-def: $vgpr81
; %bb.58:
	s_and_not1_saveexec_b32 s2, s2
; %bb.59:
	v_and_b32_e32 v79, 0xffff, v81
	v_or_b32_e32 v82, 0x10000, v81
	s_delay_alu instid0(VALU_DEP_2) | instskip(NEXT) | instid1(VALU_DEP_2)
	v_cmp_eq_u32_e32 vcc_lo, 0, v79
	v_cndmask_b32_e32 v79, v82, v81, vcc_lo
; %bb.60:
	s_or_b32 exec_lo, exec_lo, s2
	v_and_b32_e32 v81, 0x7f800000, v77
	s_delay_alu instid0(VALU_DEP_1) | instskip(SKIP_1) | instid1(SALU_CYCLE_1)
	v_cmp_ne_u32_e32 vcc_lo, 0x7f800000, v81
                                        ; implicit-def: $vgpr81
	s_and_saveexec_b32 s2, vcc_lo
	s_xor_b32 s2, exec_lo, s2
; %bb.61:
	v_bfe_u32 v81, v77, 16, 1
	s_delay_alu instid0(VALU_DEP_1)
	v_add3_u32 v81, v77, v81, 0x7fff
                                        ; implicit-def: $vgpr77
; %bb.62:
	s_and_not1_saveexec_b32 s2, s2
; %bb.63:
	v_and_b32_e32 v81, 0xffff, v77
	v_or_b32_e32 v82, 0x10000, v77
	s_delay_alu instid0(VALU_DEP_2) | instskip(NEXT) | instid1(VALU_DEP_2)
	v_cmp_eq_u32_e32 vcc_lo, 0, v81
	v_cndmask_b32_e32 v81, v82, v77, vcc_lo
; %bb.64:
	s_or_b32 exec_lo, exec_lo, s2
	v_and_b32_e32 v77, 0x7f800000, v78
	s_delay_alu instid0(VALU_DEP_1) | instskip(SKIP_1) | instid1(SALU_CYCLE_1)
	v_cmp_ne_u32_e32 vcc_lo, 0x7f800000, v77
                                        ; implicit-def: $vgpr77
	s_and_saveexec_b32 s2, vcc_lo
	s_xor_b32 s2, exec_lo, s2
; %bb.65:
	v_bfe_u32 v77, v78, 16, 1
	s_delay_alu instid0(VALU_DEP_1)
	v_add3_u32 v77, v78, v77, 0x7fff
                                        ; implicit-def: $vgpr78
; %bb.66:
	s_and_not1_saveexec_b32 s2, s2
; %bb.67:
	v_and_b32_e32 v77, 0xffff, v78
	v_or_b32_e32 v82, 0x10000, v78
	s_delay_alu instid0(VALU_DEP_2) | instskip(NEXT) | instid1(VALU_DEP_2)
	v_cmp_eq_u32_e32 vcc_lo, 0, v77
	v_cndmask_b32_e32 v77, v82, v78, vcc_lo
; %bb.68:
	s_or_b32 exec_lo, exec_lo, s2
	v_and_b32_e32 v78, 0x7f800000, v70
	s_delay_alu instid0(VALU_DEP_1) | instskip(SKIP_1) | instid1(SALU_CYCLE_1)
	v_cmp_ne_u32_e32 vcc_lo, 0x7f800000, v78
                                        ; implicit-def: $vgpr78
	s_and_saveexec_b32 s2, vcc_lo
	s_xor_b32 s2, exec_lo, s2
; %bb.69:
	v_bfe_u32 v78, v70, 16, 1
	s_delay_alu instid0(VALU_DEP_1)
	v_add3_u32 v78, v70, v78, 0x7fff
                                        ; implicit-def: $vgpr70
; %bb.70:
	s_and_not1_saveexec_b32 s2, s2
; %bb.71:
	v_and_b32_e32 v78, 0xffff, v70
	v_or_b32_e32 v82, 0x10000, v70
	s_delay_alu instid0(VALU_DEP_2) | instskip(NEXT) | instid1(VALU_DEP_2)
	v_cmp_eq_u32_e32 vcc_lo, 0, v78
	v_cndmask_b32_e32 v78, v82, v70, vcc_lo
; %bb.72:
	s_or_b32 exec_lo, exec_lo, s2
	v_and_b32_e32 v70, 0x7f800000, v66
	s_delay_alu instid0(VALU_DEP_1) | instskip(SKIP_1) | instid1(SALU_CYCLE_1)
	v_cmp_ne_u32_e32 vcc_lo, 0x7f800000, v70
                                        ; implicit-def: $vgpr70
	s_and_saveexec_b32 s2, vcc_lo
	s_xor_b32 s2, exec_lo, s2
; %bb.73:
	v_bfe_u32 v70, v66, 16, 1
	s_delay_alu instid0(VALU_DEP_1)
	v_add3_u32 v70, v66, v70, 0x7fff
                                        ; implicit-def: $vgpr66
; %bb.74:
	s_and_not1_saveexec_b32 s2, s2
; %bb.75:
	v_and_b32_e32 v70, 0xffff, v66
	v_or_b32_e32 v82, 0x10000, v66
	s_delay_alu instid0(VALU_DEP_2) | instskip(NEXT) | instid1(VALU_DEP_2)
	v_cmp_eq_u32_e32 vcc_lo, 0, v70
	v_cndmask_b32_e32 v70, v82, v66, vcc_lo
; %bb.76:
	s_or_b32 exec_lo, exec_lo, s2
	s_delay_alu instid0(VALU_DEP_1)
	v_perm_b32 v86, v70, v78, 0x7060302
	v_perm_b32 v85, v77, v81, 0x7060302
	;; [unrolled: 1-line block ×4, first 2 shown]
	v_lshl_or_b32 v82, v65, 11, v80
	ds_store_b128 v76, v[83:86] offset:1024
	s_waitcnt lgkmcnt(0)
	s_barrier
	buffer_gl0_inv
	ds_load_b128 v[69:72], v82
	ds_load_b128 v[83:86], v82 offset:16
	s_waitcnt lgkmcnt(1)
	v_lshrrev_b32_e32 v65, 16, v69
	v_lshlrev_b32_e32 v78, 2, v74
	s_waitcnt lgkmcnt(0)
	v_lshrrev_b32_e32 v91, 16, v83
	v_lshrrev_b32_e32 v66, 16, v70
	v_lshrrev_b32_e32 v97, 16, v84
	v_lshrrev_b32_e32 v95, 16, v71
	v_cmp_eq_u32_e32 vcc_lo, 1, v78
	v_lshrrev_b32_e32 v98, 16, v85
	v_lshrrev_b32_e32 v96, 16, v72
	;; [unrolled: 1-line block ×3, first 2 shown]
	v_cndmask_b32_e32 v81, v69, v65, vcc_lo
	v_or_b32_e32 v79, 1, v78
	v_cmp_eq_u32_e64 s3, 2, v78
	v_cndmask_b32_e32 v87, v83, v91, vcc_lo
	v_cmp_eq_u32_e64 s6, 3, v78
	v_cmp_eq_u32_e64 s8, 4, v78
	;; [unrolled: 1-line block ×3, first 2 shown]
	v_cndmask_b32_e64 v81, v81, v70, s3
	v_cmp_eq_u32_e64 s5, 2, v79
	v_cndmask_b32_e64 v87, v87, v84, s3
	v_cmp_eq_u32_e64 s7, 3, v79
	v_cndmask_b32_e64 v88, v69, v65, s2
	v_cndmask_b32_e64 v81, v81, v66, s6
	v_or_b32_e32 v77, 2, v78
	v_cndmask_b32_e64 v87, v87, v97, s6
	v_cndmask_b32_e64 v89, v83, v91, s2
	;; [unrolled: 1-line block ×4, first 2 shown]
	v_cmp_eq_u32_e64 s9, 5, v78
	v_cndmask_b32_e64 v87, v87, v85, s8
	v_cmp_eq_u32_e64 s10, 4, v79
	v_cndmask_b32_e64 v88, v88, v66, s7
	;; [unrolled: 2-line block ×3, first 2 shown]
	v_cndmask_b32_e64 v81, v81, v95, s9
	v_cmp_eq_u32_e64 s11, 6, v78
	v_cndmask_b32_e64 v88, v88, v71, s10
	v_cndmask_b32_e64 v87, v87, v98, s9
	v_cmp_eq_u32_e64 s12, 5, v79
	v_cndmask_b32_e64 v90, v69, v65, s4
	v_cndmask_b32_e64 v89, v89, v97, s7
	;; [unrolled: 1-line block ×3, first 2 shown]
	v_cmp_eq_u32_e64 s13, 7, v78
	v_cndmask_b32_e64 v88, v88, v95, s12
	v_cndmask_b32_e64 v87, v87, v86, s11
	v_cmp_eq_u32_e64 s15, 6, v79
	v_cmp_eq_u32_e64 s16, 2, v77
	v_cndmask_b32_e64 v89, v89, v85, s10
	v_cndmask_b32_e64 v100, v81, v96, s13
	;; [unrolled: 1-line block ×6, first 2 shown]
	v_cmp_eq_u32_e64 s17, 7, v79
	v_cmp_eq_u32_e64 s18, 3, v77
	;; [unrolled: 1-line block ×4, first 2 shown]
	v_cndmask_b32_e64 v87, v87, v84, s16
	v_cndmask_b32_e64 v102, v88, v96, s17
	;; [unrolled: 1-line block ×4, first 2 shown]
	v_or_b32_e32 v81, 3, v78
	v_cndmask_b32_e64 v93, v87, v97, s18
	v_cmp_eq_u32_e64 s23, 6, v77
	v_cndmask_b32_e64 v103, v88, v86, s15
	v_cndmask_b32_e64 v92, v89, v71, s19
	v_cmp_eq_u32_e64 s20, 1, v81
	ds_load_b128 v[87:90], v82 offset:1024
	v_cmp_eq_u32_e64 s22, 2, v81
	v_cmp_eq_u32_e64 s24, 3, v81
	v_cndmask_b32_e64 v104, v92, v95, s21
	v_cndmask_b32_e64 v65, v69, v65, s20
	v_cndmask_b32_e64 v69, v93, v85, s19
	v_cndmask_b32_e64 v83, v83, v91, s20
	ds_load_b128 v[91:94], v82 offset:1040
	v_cmp_eq_u32_e64 s25, 4, v81
	v_cndmask_b32_e64 v65, v65, v70, s22
	v_cmp_eq_u32_e64 s27, 5, v81
	v_cndmask_b32_e64 v70, v83, v84, s22
	;; [unrolled: 2-line block ×3, first 2 shown]
	v_cndmask_b32_e64 v65, v65, v66, s24
	v_cndmask_b32_e64 v66, v104, v72, s23
	;; [unrolled: 1-line block ×3, first 2 shown]
	v_cmp_eq_u32_e64 s26, 7, v77
	v_cndmask_b32_e64 v69, v69, v86, s23
	v_cndmask_b32_e64 v65, v65, v71, s25
	s_waitcnt lgkmcnt(1)
	v_lshrrev_b32_e32 v84, 16, v87
	v_cndmask_b32_e64 v70, v70, v85, s25
	v_cndmask_b32_e64 v83, v103, v99, s17
	;; [unrolled: 1-line block ×4, first 2 shown]
	v_lshrrev_b32_e32 v95, 16, v88
	v_cndmask_b32_e64 v70, v70, v98, s27
	s_waitcnt lgkmcnt(0)
	v_lshrrev_b32_e32 v85, 16, v91
	v_cndmask_b32_e64 v97, v87, v84, s2
	v_cndmask_b32_e64 v65, v65, v72, s28
	;; [unrolled: 1-line block ×4, first 2 shown]
	v_cndmask_b32_e32 v71, v87, v84, vcc_lo
	v_cndmask_b32_e32 v98, v91, v85, vcc_lo
	v_cmp_eq_u32_e32 vcc_lo, 7, v81
	v_cndmask_b32_e64 v72, v97, v88, s5
	v_lshrrev_b32_e32 v97, 16, v92
	v_lshrrev_b32_e32 v103, 16, v90
	v_dual_cndmask_b32 v65, v65, v96 :: v_dual_cndmask_b32 v70, v70, v99
	v_cndmask_b32_e64 v71, v71, v88, s3
	v_cndmask_b32_e64 v86, v98, v92, s3
	;; [unrolled: 1-line block ×3, first 2 shown]
	v_lshrrev_b32_e32 v98, 16, v89
	v_lshrrev_b32_e32 v99, 16, v93
	v_cndmask_b32_e64 v71, v71, v95, s6
	v_cndmask_b32_e64 v86, v86, v97, s6
	;; [unrolled: 1-line block ×3, first 2 shown]
	v_perm_b32 v72, v70, v65, 0x5040100
	v_perm_b32 v70, v83, v102, 0x5040100
	v_cndmask_b32_e64 v71, v71, v89, s8
	v_cndmask_b32_e64 v86, v86, v93, s8
	;; [unrolled: 1-line block ×3, first 2 shown]
	v_lshrrev_b32_e32 v83, 16, v94
	s_delay_alu instid0(VALU_DEP_4) | instskip(NEXT) | instid1(VALU_DEP_4)
	v_cndmask_b32_e64 v71, v71, v98, s9
	v_cndmask_b32_e64 v86, v86, v99, s9
	s_delay_alu instid0(VALU_DEP_4) | instskip(NEXT) | instid1(VALU_DEP_3)
	v_cndmask_b32_e64 v65, v65, v90, s15
	v_cndmask_b32_e64 v96, v71, v90, s11
	v_perm_b32 v71, v69, v66, 0x5040100
	s_delay_alu instid0(VALU_DEP_4)
	v_cndmask_b32_e64 v69, v86, v94, s11
	v_cndmask_b32_e64 v86, v87, v84, s4
	;; [unrolled: 1-line block ×34, first 2 shown]
	v_cndmask_b32_e32 v84, v84, v103, vcc_lo
	v_cndmask_b32_e32 v86, v87, v83, vcc_lo
	v_cndmask_b32_e64 v87, v88, v83, s26
	v_cndmask_b32_e64 v88, v85, v83, s17
	;; [unrolled: 1-line block ×3, first 2 shown]
	v_perm_b32 v69, v101, v100, 0x5040100
	v_perm_b32 v86, v86, v84, 0x5040100
	;; [unrolled: 1-line block ×5, first 2 shown]
	s_lshl_b32 s7, s35, 3
	s_mov_b32 s2, exec_lo
	ds_store_b128 v76, v[69:72]
	ds_store_b128 v76, v[83:86] offset:1024
	v_cmpx_gt_u32_e32 8, v0
	s_cbranch_execz .LBB1845_78
; %bb.77:
	v_or_b32_e32 v65, s29, v0
	s_load_b128 s[8:11], s[0:1], 0x58
	s_delay_alu instid0(VALU_DEP_1) | instskip(NEXT) | instid1(VALU_DEP_1)
	v_mad_u64_u32 v[69:70], null, s7, s30, v[65:66]
	v_mad_u64_u32 v[65:66], null, v69, s34, s[14:15]
	s_delay_alu instid0(VALU_DEP_1) | instskip(NEXT) | instid1(VALU_DEP_1)
	v_ashrrev_i32_e32 v66, 31, v65
	v_lshlrev_b64 v[65:66], 2, v[65:66]
	s_waitcnt lgkmcnt(0)
	s_delay_alu instid0(VALU_DEP_1) | instskip(NEXT) | instid1(VALU_DEP_2)
	v_add_co_u32 v69, vcc_lo, s10, v65
	v_add_co_ci_u32_e32 v70, vcc_lo, s11, v66, vcc_lo
	v_add_co_u32 v65, vcc_lo, s8, v65
	v_add_co_ci_u32_e32 v66, vcc_lo, s9, v66, vcc_lo
	global_store_b32 v[69:70], v67, off
	global_store_b32 v[65:66], v68, off
.LBB1845_78:
	s_or_b32 exec_lo, exec_lo, s2
	s_waitcnt lgkmcnt(0)
	s_waitcnt_vscnt null, 0x0
	s_barrier
	buffer_gl0_inv
	ds_load_b128 v[83:86], v80
	ds_load_b128 v[87:90], v80 offset:16
	ds_load_b128 v[95:98], v80 offset:2064
	;; [unrolled: 1-line block ×3, first 2 shown]
	v_mov_b32_e32 v65, 0
	ds_load_b128 v[103:106], v80 offset:4112
	ds_load_b128 v[99:102], v80 offset:4096
	;; [unrolled: 1-line block ×4, first 2 shown]
	v_mov_b32_e32 v66, v65
	v_mov_b32_e32 v67, v65
	;; [unrolled: 1-line block ×7, first 2 shown]
	s_waitcnt lgkmcnt(6)
	s_delay_alu instid0(VALU_DEP_1)
	v_wmma_f32_16x16x16_bf16 v[65:72], v[49:56], v[83:90], v[65:72]
	ds_load_b128 v[53:56], v80 offset:8208
	ds_load_b128 v[49:52], v80 offset:8192
	s_waitcnt lgkmcnt(6)
	v_wmma_f32_16x16x16_bf16 v[65:72], v[41:48], v[91:98], v[65:72]
	ds_load_b128 v[45:48], v80 offset:10256
	ds_load_b128 v[41:44], v80 offset:10240
	s_waitcnt lgkmcnt(6)
	;; [unrolled: 4-line block ×4, first 2 shown]
	v_wmma_f32_16x16x16_bf16 v[65:72], v[1:8], v[49:56], v[65:72]
	s_waitcnt lgkmcnt(4)
	s_delay_alu instid0(VALU_DEP_1) | instskip(SKIP_1) | instid1(VALU_DEP_1)
	v_wmma_f32_16x16x16_bf16 v[65:72], v[9:16], v[41:48], v[65:72]
	s_waitcnt lgkmcnt(2)
	v_wmma_f32_16x16x16_bf16 v[65:72], v[17:24], v[33:40], v[65:72]
	s_waitcnt lgkmcnt(0)
	s_delay_alu instid0(VALU_DEP_1) | instskip(NEXT) | instid1(VALU_DEP_1)
	v_wmma_f32_16x16x16_bf16 v[65:72], v[57:64], v[25:32], v[65:72]
	v_and_b32_e32 v1, 0x7f800000, v65
	s_delay_alu instid0(VALU_DEP_1) | instskip(SKIP_1) | instid1(SALU_CYCLE_1)
	v_cmp_ne_u32_e32 vcc_lo, 0x7f800000, v1
                                        ; implicit-def: $vgpr1
	s_and_saveexec_b32 s2, vcc_lo
	s_xor_b32 s2, exec_lo, s2
; %bb.79:
	v_bfe_u32 v1, v65, 16, 1
	s_delay_alu instid0(VALU_DEP_1)
	v_add3_u32 v1, v65, v1, 0x7fff
; %bb.80:
	s_and_not1_saveexec_b32 s2, s2
; %bb.81:
	v_and_b32_e32 v1, 0xffff, v65
	v_or_b32_e32 v2, 0x10000, v65
	s_delay_alu instid0(VALU_DEP_2) | instskip(NEXT) | instid1(VALU_DEP_2)
	v_cmp_eq_u32_e32 vcc_lo, 0, v1
	v_cndmask_b32_e32 v1, v2, v65, vcc_lo
; %bb.82:
	s_or_b32 exec_lo, exec_lo, s2
	v_and_b32_e32 v2, 0x7f800000, v66
	s_delay_alu instid0(VALU_DEP_1) | instskip(SKIP_1) | instid1(SALU_CYCLE_1)
	v_cmp_ne_u32_e32 vcc_lo, 0x7f800000, v2
                                        ; implicit-def: $vgpr2
	s_and_saveexec_b32 s2, vcc_lo
	s_xor_b32 s2, exec_lo, s2
; %bb.83:
	v_bfe_u32 v2, v66, 16, 1
	s_delay_alu instid0(VALU_DEP_1)
	v_add3_u32 v2, v66, v2, 0x7fff
; %bb.84:
	s_and_not1_saveexec_b32 s2, s2
; %bb.85:
	v_and_b32_e32 v2, 0xffff, v66
	v_or_b32_e32 v3, 0x10000, v66
	s_delay_alu instid0(VALU_DEP_2) | instskip(NEXT) | instid1(VALU_DEP_2)
	v_cmp_eq_u32_e32 vcc_lo, 0, v2
	v_cndmask_b32_e32 v2, v3, v66, vcc_lo
; %bb.86:
	s_or_b32 exec_lo, exec_lo, s2
	v_and_b32_e32 v3, 0x7f800000, v67
	s_delay_alu instid0(VALU_DEP_1) | instskip(SKIP_1) | instid1(SALU_CYCLE_1)
	v_cmp_ne_u32_e32 vcc_lo, 0x7f800000, v3
                                        ; implicit-def: $vgpr3
	s_and_saveexec_b32 s2, vcc_lo
	s_xor_b32 s2, exec_lo, s2
; %bb.87:
	v_bfe_u32 v3, v67, 16, 1
	s_delay_alu instid0(VALU_DEP_1)
	v_add3_u32 v3, v67, v3, 0x7fff
; %bb.88:
	s_and_not1_saveexec_b32 s2, s2
; %bb.89:
	v_and_b32_e32 v3, 0xffff, v67
	v_or_b32_e32 v4, 0x10000, v67
	s_delay_alu instid0(VALU_DEP_2) | instskip(NEXT) | instid1(VALU_DEP_2)
	v_cmp_eq_u32_e32 vcc_lo, 0, v3
	v_cndmask_b32_e32 v3, v4, v67, vcc_lo
; %bb.90:
	s_or_b32 exec_lo, exec_lo, s2
	v_and_b32_e32 v4, 0x7f800000, v68
	s_delay_alu instid0(VALU_DEP_1) | instskip(SKIP_1) | instid1(SALU_CYCLE_1)
	v_cmp_ne_u32_e32 vcc_lo, 0x7f800000, v4
                                        ; implicit-def: $vgpr4
	s_and_saveexec_b32 s2, vcc_lo
	s_xor_b32 s2, exec_lo, s2
; %bb.91:
	v_bfe_u32 v4, v68, 16, 1
	s_delay_alu instid0(VALU_DEP_1)
	v_add3_u32 v4, v68, v4, 0x7fff
; %bb.92:
	s_and_not1_saveexec_b32 s2, s2
; %bb.93:
	v_and_b32_e32 v4, 0xffff, v68
	v_or_b32_e32 v5, 0x10000, v68
	s_delay_alu instid0(VALU_DEP_2) | instskip(NEXT) | instid1(VALU_DEP_2)
	v_cmp_eq_u32_e32 vcc_lo, 0, v4
	v_cndmask_b32_e32 v4, v5, v68, vcc_lo
; %bb.94:
	s_or_b32 exec_lo, exec_lo, s2
	v_and_b32_e32 v5, 0x7f800000, v69
	s_delay_alu instid0(VALU_DEP_1) | instskip(SKIP_1) | instid1(SALU_CYCLE_1)
	v_cmp_ne_u32_e32 vcc_lo, 0x7f800000, v5
                                        ; implicit-def: $vgpr5
	s_and_saveexec_b32 s2, vcc_lo
	s_xor_b32 s2, exec_lo, s2
; %bb.95:
	v_bfe_u32 v5, v69, 16, 1
	s_delay_alu instid0(VALU_DEP_1)
	v_add3_u32 v5, v69, v5, 0x7fff
; %bb.96:
	s_and_not1_saveexec_b32 s2, s2
; %bb.97:
	v_and_b32_e32 v5, 0xffff, v69
	v_or_b32_e32 v6, 0x10000, v69
	s_delay_alu instid0(VALU_DEP_2) | instskip(NEXT) | instid1(VALU_DEP_2)
	v_cmp_eq_u32_e32 vcc_lo, 0, v5
	v_cndmask_b32_e32 v5, v6, v69, vcc_lo
; %bb.98:
	s_or_b32 exec_lo, exec_lo, s2
	v_and_b32_e32 v6, 0x7f800000, v70
	s_delay_alu instid0(VALU_DEP_1) | instskip(SKIP_1) | instid1(SALU_CYCLE_1)
	v_cmp_ne_u32_e32 vcc_lo, 0x7f800000, v6
                                        ; implicit-def: $vgpr6
	s_and_saveexec_b32 s2, vcc_lo
	s_xor_b32 s2, exec_lo, s2
; %bb.99:
	v_bfe_u32 v6, v70, 16, 1
	s_delay_alu instid0(VALU_DEP_1)
	v_add3_u32 v6, v70, v6, 0x7fff
; %bb.100:
	s_and_not1_saveexec_b32 s2, s2
; %bb.101:
	v_and_b32_e32 v6, 0xffff, v70
	v_or_b32_e32 v7, 0x10000, v70
	s_delay_alu instid0(VALU_DEP_2) | instskip(NEXT) | instid1(VALU_DEP_2)
	v_cmp_eq_u32_e32 vcc_lo, 0, v6
	v_cndmask_b32_e32 v6, v7, v70, vcc_lo
; %bb.102:
	s_or_b32 exec_lo, exec_lo, s2
	v_and_b32_e32 v7, 0x7f800000, v71
	s_delay_alu instid0(VALU_DEP_1) | instskip(SKIP_1) | instid1(SALU_CYCLE_1)
	v_cmp_ne_u32_e32 vcc_lo, 0x7f800000, v7
                                        ; implicit-def: $vgpr7
	s_and_saveexec_b32 s2, vcc_lo
	s_xor_b32 s2, exec_lo, s2
; %bb.103:
	v_bfe_u32 v7, v71, 16, 1
	s_delay_alu instid0(VALU_DEP_1)
	v_add3_u32 v7, v71, v7, 0x7fff
; %bb.104:
	s_and_not1_saveexec_b32 s2, s2
; %bb.105:
	v_and_b32_e32 v7, 0xffff, v71
	v_or_b32_e32 v8, 0x10000, v71
	s_delay_alu instid0(VALU_DEP_2) | instskip(NEXT) | instid1(VALU_DEP_2)
	v_cmp_eq_u32_e32 vcc_lo, 0, v7
	v_cndmask_b32_e32 v7, v8, v71, vcc_lo
; %bb.106:
	s_or_b32 exec_lo, exec_lo, s2
	v_and_b32_e32 v8, 0x7f800000, v72
	s_delay_alu instid0(VALU_DEP_1) | instskip(SKIP_1) | instid1(SALU_CYCLE_1)
	v_cmp_ne_u32_e32 vcc_lo, 0x7f800000, v8
                                        ; implicit-def: $vgpr8
	s_and_saveexec_b32 s2, vcc_lo
	s_xor_b32 s2, exec_lo, s2
; %bb.107:
	v_bfe_u32 v8, v72, 16, 1
	s_delay_alu instid0(VALU_DEP_1)
	v_add3_u32 v8, v72, v8, 0x7fff
                                        ; implicit-def: $vgpr65_vgpr66_vgpr67_vgpr68_vgpr69_vgpr70_vgpr71_vgpr72
; %bb.108:
	s_and_not1_saveexec_b32 s2, s2
; %bb.109:
	v_and_b32_e32 v8, 0xffff, v72
	v_or_b32_e32 v9, 0x10000, v72
	s_delay_alu instid0(VALU_DEP_2) | instskip(NEXT) | instid1(VALU_DEP_2)
	v_cmp_eq_u32_e32 vcc_lo, 0, v8
	v_cndmask_b32_e32 v8, v9, v72, vcc_lo
; %bb.110:
	s_or_b32 exec_lo, exec_lo, s2
	s_delay_alu instid0(VALU_DEP_1)
	v_perm_b32 v7, v8, v7, 0x7060302
	v_perm_b32 v6, v6, v5, 0x7060302
	;; [unrolled: 1-line block ×4, first 2 shown]
	s_barrier
	buffer_gl0_inv
	v_cmp_eq_u32_e32 vcc_lo, 1, v78
	ds_store_b128 v76, v[4:7]
	s_waitcnt lgkmcnt(0)
	s_barrier
	buffer_gl0_inv
	ds_load_b128 v[1:4], v82
	ds_load_b128 v[5:8], v82 offset:16
	v_cmp_eq_u32_e64 s2, 1, v79
	v_cmp_eq_u32_e64 s3, 2, v78
	;; [unrolled: 1-line block ×5, first 2 shown]
	s_waitcnt lgkmcnt(1)
	v_lshrrev_b32_e32 v9, 16, v1
	s_waitcnt lgkmcnt(0)
	v_lshrrev_b32_e32 v13, 16, v5
	v_lshrrev_b32_e32 v10, 16, v2
	;; [unrolled: 1-line block ×4, first 2 shown]
	v_cndmask_b32_e64 v19, v1, v9, s2
	v_cndmask_b32_e32 v18, v5, v13, vcc_lo
	v_cndmask_b32_e64 v20, v5, v13, s2
	v_cndmask_b32_e32 v17, v1, v9, vcc_lo
	v_cmp_eq_u32_e32 vcc_lo, 2, v79
	v_lshrrev_b32_e32 v15, 16, v7
	v_cmp_eq_u32_e64 s2, 1, v77
	v_lshrrev_b32_e32 v12, 16, v4
	v_lshrrev_b32_e32 v16, 16, v8
	v_cndmask_b32_e32 v20, v20, v6, vcc_lo
	v_cndmask_b32_e64 v17, v17, v2, s3
	v_cndmask_b32_e32 v19, v19, v2, vcc_lo
	v_cndmask_b32_e64 v18, v18, v6, s3
	v_cmp_eq_u32_e32 vcc_lo, 4, v78
	v_cmp_eq_u32_e64 s3, 3, v79
	v_cndmask_b32_e64 v17, v17, v10, s4
	v_cndmask_b32_e64 v21, v1, v9, s2
	;; [unrolled: 1-line block ×5, first 2 shown]
	v_cndmask_b32_e32 v17, v17, v3, vcc_lo
	v_cndmask_b32_e64 v20, v20, v14, s3
	v_cndmask_b32_e32 v18, v18, v7, vcc_lo
	v_cmp_eq_u32_e32 vcc_lo, 4, v79
	v_cmp_eq_u32_e64 s3, 5, v79
	v_cmp_eq_u32_e64 s2, 2, v81
	v_cndmask_b32_e64 v21, v21, v2, s6
	v_cmp_eq_u32_e64 s4, 5, v78
	v_cndmask_b32_e32 v19, v19, v3, vcc_lo
	v_cndmask_b32_e32 v20, v20, v7, vcc_lo
	v_cmp_eq_u32_e32 vcc_lo, 6, v79
	s_delay_alu instid0(VALU_DEP_4) | instskip(NEXT) | instid1(VALU_DEP_4)
	v_cndmask_b32_e64 v17, v17, v11, s4
	v_cndmask_b32_e64 v19, v19, v11, s3
	s_delay_alu instid0(VALU_DEP_4) | instskip(SKIP_1) | instid1(VALU_DEP_3)
	v_cndmask_b32_e64 v20, v20, v15, s3
	v_cmp_eq_u32_e64 s3, 1, v81
	v_cndmask_b32_e32 v19, v19, v4, vcc_lo
	v_cndmask_b32_e64 v18, v18, v15, s4
	s_delay_alu instid0(VALU_DEP_3)
	v_cndmask_b32_e64 v1, v1, v9, s3
	v_cndmask_b32_e64 v5, v5, v13, s3
	v_cmp_eq_u32_e64 s3, 3, v77
	v_cndmask_b32_e64 v13, v22, v6, s6
	v_cmp_eq_u32_e64 s6, 3, v81
	v_cndmask_b32_e64 v1, v1, v2, s2
	v_cndmask_b32_e64 v2, v5, v6, s2
	;; [unrolled: 1-line block ×3, first 2 shown]
	v_cmp_eq_u32_e64 s2, 4, v77
	v_cndmask_b32_e64 v6, v13, v14, s3
	v_cndmask_b32_e64 v1, v1, v10, s6
	v_cmp_eq_u32_e64 s3, 4, v81
	v_cndmask_b32_e64 v2, v2, v14, s6
	v_cndmask_b32_e64 v5, v9, v3, s2
	;; [unrolled: 3-line block ×3, first 2 shown]
	v_cndmask_b32_e64 v2, v2, v7, s3
	v_cmp_eq_u32_e64 s2, 5, v81
	v_cmp_eq_u32_e64 s4, 6, v78
	v_cndmask_b32_e64 v5, v5, v11, s6
	v_cmp_eq_u32_e64 s3, 6, v77
	v_cndmask_b32_e64 v3, v6, v15, s6
	v_cndmask_b32_e64 v1, v1, v11, s2
	v_cmp_eq_u32_e64 s6, 6, v81
	v_cndmask_b32_e64 v2, v2, v15, s2
	v_cndmask_b32_e64 v17, v17, v4, s4
	v_cndmask_b32_e64 v18, v18, v8, s4
	v_cmp_eq_u32_e64 s4, 7, v78
	v_cndmask_b32_e64 v5, v5, v4, s3
	v_cndmask_b32_e64 v3, v3, v8, s3
	v_cndmask_b32_e64 v1, v1, v4, s6
	v_cmp_eq_u32_e64 s2, 7, v81
	v_cndmask_b32_e64 v2, v2, v8, s6
	v_cmp_eq_u32_e64 s3, 7, v77
	v_cndmask_b32_e32 v4, v20, v8, vcc_lo
	v_cndmask_b32_e64 v17, v17, v12, s4
	v_cndmask_b32_e64 v19, v19, v12, s5
	;; [unrolled: 1-line block ×8, first 2 shown]
	s_mov_b32 s2, exec_lo
	v_perm_b32 v4, v2, v1, 0x5040100
	v_perm_b32 v3, v3, v5, 0x5040100
	;; [unrolled: 1-line block ×4, first 2 shown]
	ds_store_b128 v76, v[1:4]
	s_waitcnt lgkmcnt(0)
	s_barrier
	buffer_gl0_inv
	v_cmpx_gt_u32_e32 32, v0
	s_cbranch_execz .LBB1845_2
; %bb.111:
	s_load_b64 s[0:1], s[0:1], 0x68
	s_lshl_b32 s4, s34, 7
	v_or_b32_e32 v2, s29, v74
	s_mul_i32 s2, s4, s30
	v_lshlrev_b32_e32 v1, 10, v0
	s_mul_i32 s2, s2, s7
	v_lshlrev_b32_e32 v3, 4, v75
	v_mul_lo_u32 v0, v2, s4
	s_ashr_i32 s3, s2, 31
	v_lshlrev_b32_e32 v4, 6, v74
	v_and_b32_e32 v1, 0x3800, v1
	v_or_b32_e32 v5, 2, v2
	s_lshl_b64 s[2:3], s[2:3], 1
	v_or_b32_e32 v6, 4, v2
	v_or_b32_e32 v7, 6, v2
	v_or3_b32 v12, v1, v3, v4
	v_ashrrev_i32_e32 v1, 31, v0
	v_mul_lo_u32 v2, v5, s4
	v_mul_lo_u32 v16, v6, s4
	;; [unrolled: 1-line block ×3, first 2 shown]
	s_waitcnt lgkmcnt(0)
	s_add_u32 s2, s0, s2
	s_addc_u32 s3, s1, s3
	s_lshl_b32 s0, s14, 7
	v_lshlrev_b64 v[0:1], 1, v[0:1]
	s_ashr_i32 s1, s0, 31
	v_ashrrev_i32_e32 v3, 31, v2
	s_lshl_b64 s[0:1], s[0:1], 1
	v_ashrrev_i32_e32 v17, 31, v16
	s_add_u32 s0, s2, s0
	s_addc_u32 s1, s3, s1
	v_add_co_u32 v24, s0, s0, v73
	s_delay_alu instid0(VALU_DEP_1) | instskip(SKIP_1) | instid1(VALU_DEP_3)
	v_add_co_ci_u32_e64 v25, null, s1, 0, s0
	v_lshlrev_b64 v[22:23], 1, v[2:3]
	v_add_co_u32 v18, vcc_lo, v24, v0
	s_delay_alu instid0(VALU_DEP_3)
	v_add_co_ci_u32_e32 v19, vcc_lo, v25, v1, vcc_lo
	ds_load_b128 v[0:3], v12
	ds_load_b128 v[4:7], v12 offset:128
	ds_load_b128 v[8:11], v12 offset:256
	;; [unrolled: 1-line block ×3, first 2 shown]
	v_ashrrev_i32_e32 v21, 31, v20
	v_lshlrev_b64 v[16:17], 1, v[16:17]
	v_add_co_u32 v22, vcc_lo, v24, v22
	v_add_co_ci_u32_e32 v23, vcc_lo, v25, v23, vcc_lo
	s_delay_alu instid0(VALU_DEP_4) | instskip(NEXT) | instid1(VALU_DEP_4)
	v_lshlrev_b64 v[20:21], 1, v[20:21]
	v_add_co_u32 v16, vcc_lo, v24, v16
	v_add_co_ci_u32_e32 v17, vcc_lo, v25, v17, vcc_lo
	s_delay_alu instid0(VALU_DEP_3) | instskip(NEXT) | instid1(VALU_DEP_4)
	v_add_co_u32 v20, vcc_lo, v24, v20
	v_add_co_ci_u32_e32 v21, vcc_lo, v25, v21, vcc_lo
	s_waitcnt lgkmcnt(3)
	global_store_b128 v[18:19], v[0:3], off
	s_waitcnt lgkmcnt(2)
	global_store_b128 v[22:23], v[4:7], off
	;; [unrolled: 2-line block ×4, first 2 shown]
	s_nop 0
	s_sendmsg sendmsg(MSG_DEALLOC_VGPRS)
	s_endpgm
	.section	.rodata,"a",@progbits
	.p2align	6, 0x0
	.amdhsa_kernel _Z39paged_attention_ll4mi_QKV_mfma16_kernelI14__hip_bfloat16hLN4vllm18Fp8KVCacheDataTypeE1ES0_Li16ELi128ELi256ELb0ELi8EL8MFMAType0EEvPKT_PKT0_S9_ifPKiSB_SB_iPKfiiiPfSE_PS4_PT2_iSD_SD_
		.amdhsa_group_segment_fixed_size 17472
		.amdhsa_private_segment_fixed_size 0
		.amdhsa_kernarg_size 400
		.amdhsa_user_sgpr_count 13
		.amdhsa_user_sgpr_dispatch_ptr 0
		.amdhsa_user_sgpr_queue_ptr 0
		.amdhsa_user_sgpr_kernarg_segment_ptr 1
		.amdhsa_user_sgpr_dispatch_id 0
		.amdhsa_user_sgpr_private_segment_size 0
		.amdhsa_wavefront_size32 1
		.amdhsa_uses_dynamic_stack 0
		.amdhsa_enable_private_segment 0
		.amdhsa_system_sgpr_workgroup_id_x 1
		.amdhsa_system_sgpr_workgroup_id_y 1
		.amdhsa_system_sgpr_workgroup_id_z 1
		.amdhsa_system_sgpr_workgroup_info 0
		.amdhsa_system_vgpr_workitem_id 0
		.amdhsa_next_free_vgpr 140
		.amdhsa_next_free_sgpr 36
		.amdhsa_reserve_vcc 1
		.amdhsa_float_round_mode_32 0
		.amdhsa_float_round_mode_16_64 0
		.amdhsa_float_denorm_mode_32 3
		.amdhsa_float_denorm_mode_16_64 3
		.amdhsa_dx10_clamp 1
		.amdhsa_ieee_mode 1
		.amdhsa_fp16_overflow 0
		.amdhsa_workgroup_processor_mode 1
		.amdhsa_memory_ordered 1
		.amdhsa_forward_progress 0
		.amdhsa_shared_vgpr_count 0
		.amdhsa_exception_fp_ieee_invalid_op 0
		.amdhsa_exception_fp_denorm_src 0
		.amdhsa_exception_fp_ieee_div_zero 0
		.amdhsa_exception_fp_ieee_overflow 0
		.amdhsa_exception_fp_ieee_underflow 0
		.amdhsa_exception_fp_ieee_inexact 0
		.amdhsa_exception_int_div_zero 0
	.end_amdhsa_kernel
	.section	.text._Z39paged_attention_ll4mi_QKV_mfma16_kernelI14__hip_bfloat16hLN4vllm18Fp8KVCacheDataTypeE1ES0_Li16ELi128ELi256ELb0ELi8EL8MFMAType0EEvPKT_PKT0_S9_ifPKiSB_SB_iPKfiiiPfSE_PS4_PT2_iSD_SD_,"axG",@progbits,_Z39paged_attention_ll4mi_QKV_mfma16_kernelI14__hip_bfloat16hLN4vllm18Fp8KVCacheDataTypeE1ES0_Li16ELi128ELi256ELb0ELi8EL8MFMAType0EEvPKT_PKT0_S9_ifPKiSB_SB_iPKfiiiPfSE_PS4_PT2_iSD_SD_,comdat
.Lfunc_end1845:
	.size	_Z39paged_attention_ll4mi_QKV_mfma16_kernelI14__hip_bfloat16hLN4vllm18Fp8KVCacheDataTypeE1ES0_Li16ELi128ELi256ELb0ELi8EL8MFMAType0EEvPKT_PKT0_S9_ifPKiSB_SB_iPKfiiiPfSE_PS4_PT2_iSD_SD_, .Lfunc_end1845-_Z39paged_attention_ll4mi_QKV_mfma16_kernelI14__hip_bfloat16hLN4vllm18Fp8KVCacheDataTypeE1ES0_Li16ELi128ELi256ELb0ELi8EL8MFMAType0EEvPKT_PKT0_S9_ifPKiSB_SB_iPKfiiiPfSE_PS4_PT2_iSD_SD_
                                        ; -- End function
	.section	.AMDGPU.csdata,"",@progbits
; Kernel info:
; codeLenInByte = 8852
; NumSgprs: 38
; NumVgprs: 140
; ScratchSize: 0
; MemoryBound: 0
; FloatMode: 240
; IeeeMode: 1
; LDSByteSize: 17472 bytes/workgroup (compile time only)
; SGPRBlocks: 4
; VGPRBlocks: 17
; NumSGPRsForWavesPerEU: 38
; NumVGPRsForWavesPerEU: 140
; Occupancy: 10
; WaveLimiterHint : 1
; COMPUTE_PGM_RSRC2:SCRATCH_EN: 0
; COMPUTE_PGM_RSRC2:USER_SGPR: 13
; COMPUTE_PGM_RSRC2:TRAP_HANDLER: 0
; COMPUTE_PGM_RSRC2:TGID_X_EN: 1
; COMPUTE_PGM_RSRC2:TGID_Y_EN: 1
; COMPUTE_PGM_RSRC2:TGID_Z_EN: 1
; COMPUTE_PGM_RSRC2:TIDIG_COMP_CNT: 0
	.section	.text._Z39paged_attention_ll4mi_QKV_mfma16_kernelI14__hip_bfloat16hLN4vllm18Fp8KVCacheDataTypeE1ES0_Li16ELi128ELi256ELb0ELi9EL8MFMAType0EEvPKT_PKT0_S9_ifPKiSB_SB_iPKfiiiPfSE_PS4_PT2_iSD_SD_,"axG",@progbits,_Z39paged_attention_ll4mi_QKV_mfma16_kernelI14__hip_bfloat16hLN4vllm18Fp8KVCacheDataTypeE1ES0_Li16ELi128ELi256ELb0ELi9EL8MFMAType0EEvPKT_PKT0_S9_ifPKiSB_SB_iPKfiiiPfSE_PS4_PT2_iSD_SD_,comdat
	.protected	_Z39paged_attention_ll4mi_QKV_mfma16_kernelI14__hip_bfloat16hLN4vllm18Fp8KVCacheDataTypeE1ES0_Li16ELi128ELi256ELb0ELi9EL8MFMAType0EEvPKT_PKT0_S9_ifPKiSB_SB_iPKfiiiPfSE_PS4_PT2_iSD_SD_ ; -- Begin function _Z39paged_attention_ll4mi_QKV_mfma16_kernelI14__hip_bfloat16hLN4vllm18Fp8KVCacheDataTypeE1ES0_Li16ELi128ELi256ELb0ELi9EL8MFMAType0EEvPKT_PKT0_S9_ifPKiSB_SB_iPKfiiiPfSE_PS4_PT2_iSD_SD_
	.globl	_Z39paged_attention_ll4mi_QKV_mfma16_kernelI14__hip_bfloat16hLN4vllm18Fp8KVCacheDataTypeE1ES0_Li16ELi128ELi256ELb0ELi9EL8MFMAType0EEvPKT_PKT0_S9_ifPKiSB_SB_iPKfiiiPfSE_PS4_PT2_iSD_SD_
	.p2align	8
	.type	_Z39paged_attention_ll4mi_QKV_mfma16_kernelI14__hip_bfloat16hLN4vllm18Fp8KVCacheDataTypeE1ES0_Li16ELi128ELi256ELb0ELi9EL8MFMAType0EEvPKT_PKT0_S9_ifPKiSB_SB_iPKfiiiPfSE_PS4_PT2_iSD_SD_,@function
_Z39paged_attention_ll4mi_QKV_mfma16_kernelI14__hip_bfloat16hLN4vllm18Fp8KVCacheDataTypeE1ES0_Li16ELi128ELi256ELb0ELi9EL8MFMAType0EEvPKT_PKT0_S9_ifPKiSB_SB_iPKfiiiPfSE_PS4_PT2_iSD_SD_: ; @_Z39paged_attention_ll4mi_QKV_mfma16_kernelI14__hip_bfloat16hLN4vllm18Fp8KVCacheDataTypeE1ES0_Li16ELi128ELi256ELb0ELi9EL8MFMAType0EEvPKT_PKT0_S9_ifPKiSB_SB_iPKfiiiPfSE_PS4_PT2_iSD_SD_
; %bb.0:
	s_load_b64 s[4:5], s[0:1], 0x30
	s_mov_b32 s30, s13
	s_waitcnt lgkmcnt(0)
	s_cmp_lg_u64 s[4:5], 0
	s_cselect_b32 s13, -1, 0
	s_ashr_i32 s31, s30, 31
	s_cmp_eq_u64 s[4:5], 0
	s_cbranch_scc1 .LBB1846_3
; %bb.1:
	s_lshl_b64 s[2:3], s[30:31], 2
	s_delay_alu instid0(SALU_CYCLE_1) | instskip(SKIP_4) | instid1(SALU_CYCLE_1)
	s_add_u32 s2, s4, s2
	s_addc_u32 s3, s5, s3
	s_load_b64 s[2:3], s[2:3], 0x0
	s_waitcnt lgkmcnt(0)
	s_sub_i32 s2, s3, s2
	s_cmp_eq_u32 s2, 1
	s_cselect_b32 s2, -1, 0
	s_delay_alu instid0(SALU_CYCLE_1)
	s_and_not1_b32 vcc_lo, exec_lo, s2
	s_cbranch_vccz .LBB1846_4
.LBB1846_2:
	s_nop 0
	s_sendmsg sendmsg(MSG_DEALLOC_VGPRS)
	s_endpgm
.LBB1846_3:
.LBB1846_4:
	s_load_b64 s[2:3], s[0:1], 0x28
	s_lshl_b64 s[6:7], s[30:31], 2
	s_waitcnt lgkmcnt(0)
	s_add_u32 s2, s2, s6
	s_addc_u32 s3, s3, s7
	s_lshl_b32 s12, s14, 8
	s_load_b32 s17, s[2:3], 0x0
	s_waitcnt lgkmcnt(0)
	s_cmp_ge_i32 s12, s17
	s_cbranch_scc1 .LBB1846_2
; %bb.5:
	s_clause 0x1
	s_load_b128 s[8:11], s[0:1], 0x8
	s_load_b64 s[2:3], s[0:1], 0x20
	s_and_not1_b32 vcc_lo, exec_lo, s13
	s_cbranch_vccnz .LBB1846_7
; %bb.6:
	s_add_u32 s4, s4, s6
	s_addc_u32 s5, s5, s7
	s_load_b32 s13, s[4:5], 0x0
	s_branch .LBB1846_8
.LBB1846_7:
	s_mov_b32 s13, s30
.LBB1846_8:
	s_load_b128 s[4:7], s[0:1], 0x48
	v_and_b32_e32 v65, 15, v0
	v_lshrrev_b32_e32 v66, 5, v0
	v_bfe_u32 v74, v0, 4, 1
	v_and_b32_e32 v67, 31, v0
	v_and_b32_e32 v75, 1, v0
	v_lshlrev_b32_e32 v2, 3, v65
	s_mul_i32 s31, s15, 9
	v_lshl_or_b32 v1, v66, 1, v74
	s_waitcnt lgkmcnt(0)
	s_mov_b32 s7, exec_lo
	v_lshlrev_b32_e32 v73, 1, v2
	s_delay_alu instid0(VALU_DEP_2)
	v_cmpx_gt_u32_e32 9, v1
	s_cbranch_execz .LBB1846_10
; %bb.9:
	s_load_b64 s[18:19], s[0:1], 0x0
	v_add_lshl_u32 v2, v1, s31, 7
	s_mul_hi_i32 s21, s13, s4
	s_mul_i32 s20, s13, s4
	v_lshlrev_b32_e32 v6, 10, v65
	s_lshl_b64 s[20:21], s[20:21], 1
	v_ashrrev_i32_e32 v3, 31, v2
	v_lshlrev_b32_e32 v1, 6, v1
	v_lshlrev_b32_e32 v7, 10, v75
	v_and_b32_e32 v6, 0x3800, v6
	s_delay_alu instid0(VALU_DEP_4) | instskip(NEXT) | instid1(VALU_DEP_2)
	v_lshlrev_b64 v[2:3], 1, v[2:3]
	v_or3_b32 v1, v6, v7, v1
	s_waitcnt lgkmcnt(0)
	s_add_u32 s4, s18, s20
	s_addc_u32 s13, s19, s21
	s_delay_alu instid0(VALU_DEP_2) | instskip(SKIP_1) | instid1(VALU_DEP_2)
	v_add_co_u32 v2, vcc_lo, s4, v2
	v_add_co_ci_u32_e32 v3, vcc_lo, s13, v3, vcc_lo
	v_add_co_u32 v2, vcc_lo, v2, v73
	s_delay_alu instid0(VALU_DEP_2)
	v_add_co_ci_u32_e32 v3, vcc_lo, 0, v3, vcc_lo
	global_load_b128 v[2:5], v[2:3], off
	s_waitcnt vmcnt(0)
	ds_store_b128 v1, v[2:5]
.LBB1846_10:
	s_or_b32 exec_lo, exec_lo, s7
	v_and_b32_e32 v1, 0xef, v0
	s_add_i32 s4, s17, 15
	s_clause 0x1
	s_load_b32 s7, s[0:1], 0x38
	s_load_b32 s18, s[0:1], 0x1c
	s_ashr_i32 s13, s4, 31
	v_add_nc_u32_e32 v1, s12, v1
	s_lshr_b32 s13, s13, 28
	s_waitcnt lgkmcnt(0)
	s_add_i32 s4, s4, s13
	s_barrier
	v_ashrrev_i32_e32 v2, 31, v1
	v_or_b32_e32 v3, 16, v1
	s_ashr_i32 s4, s4, 4
	v_cmp_gt_i32_e32 vcc_lo, s17, v1
	s_add_i32 s4, s4, -1
	v_lshrrev_b32_e32 v2, 28, v2
	buffer_gl0_inv
	s_mul_i32 s15, s15, s6
	v_add_nc_u32_e32 v4, v1, v2
	s_mul_i32 s20, s30, s7
	s_delay_alu instid0(SALU_CYCLE_1) | instskip(NEXT) | instid1(VALU_DEP_1)
	s_ashr_i32 s21, s20, 31
	v_ashrrev_i32_e32 v4, 4, v4
	v_add_nc_u32_e32 v2, v3, v2
	s_lshl_b64 s[20:21], s[20:21], 2
	s_delay_alu instid0(SALU_CYCLE_1) | instskip(NEXT) | instid1(VALU_DEP_2)
	s_add_u32 s13, s2, s20
	v_cndmask_b32_e32 v1, s4, v4, vcc_lo
	s_delay_alu instid0(VALU_DEP_2)
	v_ashrrev_i32_e32 v2, 4, v2
	v_cmp_gt_i32_e32 vcc_lo, s17, v3
	s_addc_u32 s16, s3, s21
	s_ashr_i32 s19, s15, 31
	s_add_u32 s26, s8, s15
	s_addc_u32 s27, s9, s19
	v_cndmask_b32_e32 v3, s4, v2, vcc_lo
	v_ashrrev_i32_e32 v2, 31, v1
	s_lshl_b32 s2, s14, 4
	s_delay_alu instid0(SALU_CYCLE_1) | instskip(NEXT) | instid1(VALU_DEP_2)
	s_ashr_i32 s3, s2, 31
	v_ashrrev_i32_e32 v4, 31, v3
	s_delay_alu instid0(VALU_DEP_2) | instskip(SKIP_1) | instid1(SALU_CYCLE_1)
	v_lshlrev_b64 v[1:2], 2, v[1:2]
	s_lshl_b64 s[2:3], s[2:3], 2
	s_add_u32 s2, s13, s2
	s_delay_alu instid0(VALU_DEP_2) | instskip(SKIP_1) | instid1(VALU_DEP_2)
	v_lshlrev_b64 v[3:4], 2, v[3:4]
	s_addc_u32 s3, s16, s3
	v_add_co_u32 v1, vcc_lo, s13, v1
	v_add_co_ci_u32_e32 v2, vcc_lo, s16, v2, vcc_lo
	s_delay_alu instid0(VALU_DEP_3) | instskip(NEXT) | instid1(VALU_DEP_4)
	v_add_co_u32 v3, vcc_lo, s13, v3
	v_add_co_ci_u32_e32 v4, vcc_lo, s16, v4, vcc_lo
	s_clause 0x1
	global_load_b32 v5, v[1:2], off
	global_load_b32 v3, v[3:4], off
	s_or_b32 s6, s12, 32
	v_cmp_gt_u32_e32 vcc_lo, 9, v65
	s_ashr_i32 s7, s6, 4
	s_cmp_lt_i32 s6, s17
	s_cselect_b32 s6, s7, s4
	s_delay_alu instid0(SALU_CYCLE_1) | instskip(NEXT) | instid1(SALU_CYCLE_1)
	s_ashr_i32 s7, s6, 31
	s_lshl_b64 s[6:7], s[6:7], 2
	s_delay_alu instid0(SALU_CYCLE_1) | instskip(SKIP_2) | instid1(SALU_CYCLE_1)
	s_add_u32 s6, s13, s6
	s_addc_u32 s7, s16, s7
	s_or_b32 s8, s12, 64
	s_ashr_i32 s9, s8, 4
	s_cmp_lt_i32 s8, s17
	s_cselect_b32 s8, s9, s4
	s_delay_alu instid0(SALU_CYCLE_1) | instskip(NEXT) | instid1(SALU_CYCLE_1)
	s_ashr_i32 s9, s8, 31
	s_lshl_b64 s[8:9], s[8:9], 2
	s_delay_alu instid0(SALU_CYCLE_1) | instskip(SKIP_2) | instid1(SALU_CYCLE_1)
	s_add_u32 s8, s13, s8
	s_addc_u32 s9, s16, s9
	s_or_b32 s20, s12, 0x60
	;; [unrolled: 10-line block ×4, first 2 shown]
	s_ashr_i32 s25, s24, 4
	s_cmp_lt_i32 s24, s17
	s_cselect_b32 s24, s25, s4
	s_delay_alu instid0(SALU_CYCLE_1) | instskip(NEXT) | instid1(SALU_CYCLE_1)
	s_ashr_i32 s25, s24, 31
	s_lshl_b64 s[24:25], s[24:25], 2
	s_delay_alu instid0(SALU_CYCLE_1)
	s_add_u32 s24, s13, s24
	s_addc_u32 s25, s16, s25
	s_clause 0x5
	s_load_b32 s28, s[2:3], 0x0
	s_load_b32 s29, s[6:7], 0x0
	;; [unrolled: 1-line block ×6, first 2 shown]
	s_mov_b32 s20, 0
	s_or_b32 s2, s12, 0xc0
	s_mov_b32 s21, s20
	s_mov_b32 s22, s20
	;; [unrolled: 1-line block ×5, first 2 shown]
	v_lshlrev_b32_e32 v1, 4, v0
	s_ashr_i32 s3, s2, 4
	s_cmp_lt_i32 s2, s17
	s_cselect_b32 s2, s3, s4
	s_delay_alu instid0(VALU_DEP_1) | instskip(SKIP_1) | instid1(SALU_CYCLE_1)
	v_and_b32_e32 v1, 0xf0, v1
	s_ashr_i32 s3, s2, 31
	s_lshl_b64 s[2:3], s[2:3], 2
	s_delay_alu instid0(VALU_DEP_1) | instskip(NEXT) | instid1(VALU_DEP_1)
	v_add_co_u32 v1, s26, s26, v1
	v_add_co_ci_u32_e64 v2, null, s27, 0, s26
	s_add_u32 s2, s13, s2
	s_addc_u32 s3, s16, s3
	s_or_b32 s6, s12, 0xe0
	s_mov_b32 s27, s20
	s_ashr_i32 s7, s6, 4
	s_cmp_lt_i32 s6, s17
	s_mov_b32 s26, s20
	v_dual_mov_b32 v107, s27 :: v_dual_mov_b32 v100, s20
	s_cselect_b32 s6, s7, s4
	v_mov_b32_e32 v106, s26
	s_ashr_i32 s7, s6, 31
	v_mov_b32_e32 v104, s24
	s_lshl_b64 s[6:7], s[6:7], 2
	v_dual_mov_b32 v103, s23 :: v_dual_mov_b32 v102, s22
	v_mov_b32_e32 v101, s21
	s_waitcnt vmcnt(1)
	v_mad_i64_i32 v[33:34], null, v5, s5, v[1:2]
	s_waitcnt vmcnt(0)
	v_mad_i64_i32 v[35:36], null, v3, s5, v[1:2]
	s_clause 0xf
	global_load_b128 v[1:4], v[33:34], off
	global_load_b128 v[5:8], v[33:34], off offset:256
	global_load_b128 v[9:12], v[35:36], off
	global_load_b128 v[13:16], v[35:36], off offset:256
	global_load_b128 v[17:20], v[33:34], off offset:512
	;; [unrolled: 1-line block ×13, first 2 shown]
	v_add_nc_u32_e32 v33, -9, v65
	v_lshlrev_b32_e32 v34, 4, v65
	s_delay_alu instid0(VALU_DEP_2) | instskip(SKIP_1) | instid1(VALU_DEP_3)
	v_cndmask_b32_e32 v33, v33, v65, vcc_lo
	v_mov_b32_e32 v105, s25
	v_lshl_or_b32 v41, v66, 8, v34
	s_delay_alu instid0(VALU_DEP_3)
	v_lshlrev_b32_e32 v72, 6, v33
	ds_load_b128 v[33:36], v72
	ds_load_b128 v[37:40], v72 offset:1024
	ds_load_b128 v[108:111], v72 offset:2048
	ds_load_b128 v[112:115], v72 offset:3072
	s_load_b32 s4, s[2:3], 0x0
	s_add_u32 s2, s13, s6
	s_addc_u32 s3, s16, s7
	ds_load_b128 v[116:119], v72 offset:4096
	ds_load_b128 v[120:123], v72 offset:5120
	s_load_b32 s2, s[2:3], 0x0
	s_add_u32 s6, s10, s15
	s_addc_u32 s7, s11, s19
	v_add_co_u32 v68, s6, s6, v41
	s_delay_alu instid0(VALU_DEP_1) | instskip(SKIP_1) | instid1(VALU_DEP_1)
	v_add_co_ci_u32_e64 v69, null, s7, 0, s6
	s_waitcnt lgkmcnt(0)
	v_mad_i64_i32 v[41:42], null, s28, s5, v[68:69]
	v_mad_i64_i32 v[70:71], null, s8, s5, v[68:69]
	;; [unrolled: 1-line block ×7, first 2 shown]
	s_clause 0x3
	global_load_b128 v[49:52], v[41:42], off
	global_load_b128 v[53:56], v[41:42], off offset:16
	global_load_b128 v[41:44], v[45:46], off
	global_load_b128 v[45:48], v[45:46], off offset:16
	s_waitcnt vmcnt(18)
	v_wmma_f32_16x16x16_bf16 v[124:131], v[1:8], v[33:40], v[100:107]
	s_waitcnt vmcnt(16)
	v_wmma_f32_16x16x16_bf16 v[100:107], v[9:16], v[33:40], v[100:107]
	s_clause 0x1
	global_load_b128 v[33:36], v[70:71], off
	global_load_b128 v[37:40], v[70:71], off offset:16
	v_mad_i64_i32 v[70:71], null, s2, s5, v[68:69]
	s_waitcnt vmcnt(16)
	v_wmma_f32_16x16x16_bf16 v[124:131], v[17:24], v[108:115], v[124:131]
	s_waitcnt vmcnt(14)
	v_wmma_f32_16x16x16_bf16 v[100:107], v[25:32], v[108:115], v[100:107]
	s_clause 0x7
	global_load_b128 v[25:28], v[132:133], off
	global_load_b128 v[29:32], v[132:133], off offset:16
	global_load_b128 v[1:4], v[134:135], off
	global_load_b128 v[5:8], v[134:135], off offset:16
	;; [unrolled: 2-line block ×4, first 2 shown]
	s_waitcnt vmcnt(20)
	v_wmma_f32_16x16x16_bf16 v[124:131], v[57:64], v[116:123], v[124:131]
	s_clause 0x1
	global_load_b128 v[57:60], v[70:71], off
	global_load_b128 v[61:64], v[70:71], off offset:16
	s_waitcnt vmcnt(20)
	v_wmma_f32_16x16x16_bf16 v[100:107], v[76:83], v[116:123], v[100:107]
	ds_load_b128 v[76:79], v72 offset:6144
	ds_load_b128 v[80:83], v72 offset:7168
	v_and_b32_e32 v68, 0xe0, v0
	v_mbcnt_lo_u32_b32 v69, -1, 0
	s_waitcnt vmcnt(0) lgkmcnt(0)
	s_barrier
	buffer_gl0_inv
	v_add_nc_u32_e32 v68, s12, v68
	v_xor_b32_e32 v70, 16, v69
	s_delay_alu instid0(VALU_DEP_2) | instskip(NEXT) | instid1(VALU_DEP_2)
	v_or_b32_e32 v68, v68, v74
	v_cmp_gt_i32_e32 vcc_lo, 32, v70
	s_delay_alu instid0(VALU_DEP_2)
	v_or_b32_e32 v71, 4, v68
	v_or_b32_e32 v72, 6, v68
	v_cmp_gt_i32_e64 s2, s17, v68
	v_or_b32_e32 v108, 8, v68
	v_wmma_f32_16x16x16_bf16 v[124:131], v[84:91], v[76:83], v[124:131]
	v_cndmask_b32_e32 v69, v69, v70, vcc_lo
	v_or_b32_e32 v70, 2, v68
	v_wmma_f32_16x16x16_bf16 v[100:107], v[92:99], v[76:83], v[100:107]
	v_or_b32_e32 v109, 10, v68
	v_dual_mul_f32 v82, s18, v127 :: v_dual_mul_f32 v79, s18, v130
	v_dual_mul_f32 v92, s18, v125 :: v_dual_mul_f32 v93, s18, v124
	s_delay_alu instid0(VALU_DEP_4)
	v_mul_f32_e32 v98, s18, v103
	v_cmp_gt_i32_e32 vcc_lo, s17, v70
	v_or_b32_e32 v89, 22, v68
	v_dual_mul_f32 v83, s18, v126 :: v_dual_mul_f32 v96, s18, v105
	v_cndmask_b32_e64 v93, 0xff7fffff, v93, s2
	v_cndmask_b32_e32 v92, 0xff7fffff, v92, vcc_lo
	v_cmp_gt_i32_e64 s3, s17, v71
	v_cmp_gt_i32_e64 s4, s17, v72
	v_or_b32_e32 v84, 12, v68
	v_or_b32_e32 v85, 14, v68
	v_dual_mul_f32 v80, s18, v129 :: v_dual_mul_f32 v81, s18, v128
	v_mul_f32_e32 v94, s18, v107
	v_cndmask_b32_e64 v71, 0xff7fffff, v83, s3
	v_cndmask_b32_e64 v72, 0xff7fffff, v82, s4
	v_cmp_gt_i32_e64 s5, s17, v108
	v_cmp_gt_i32_e64 s6, s17, v109
	;; [unrolled: 1-line block ×3, first 2 shown]
	v_lshlrev_b32_e32 v89, 2, v69
	v_max3_f32 v82, v93, 0xff7fffff, v92
	v_or_b32_e32 v86, 16, v68
	v_or_b32_e32 v87, 18, v68
	v_mul_f32_e32 v78, s18, v131
	v_cndmask_b32_e64 v81, 0xff7fffff, v81, s5
	v_cndmask_b32_e64 v80, 0xff7fffff, v80, s6
	v_max3_f32 v71, v82, v71, v72
	v_cmp_gt_i32_e64 s7, s17, v84
	v_cmp_gt_i32_e64 s8, s17, v85
	v_or_b32_e32 v88, 20, v68
	v_or_b32_e32 v90, 24, v68
	;; [unrolled: 1-line block ×5, first 2 shown]
	v_dual_mul_f32 v95, s18, v106 :: v_dual_mul_f32 v70, s18, v101
	v_dual_mul_f32 v99, s18, v102 :: v_dual_mul_f32 v68, s18, v100
	v_cndmask_b32_e64 v72, 0xff7fffff, v79, s7
	v_cndmask_b32_e64 v78, 0xff7fffff, v78, s8
	v_max3_f32 v71, v71, v81, v80
	v_cmp_gt_i32_e64 s9, s17, v86
	v_cmp_gt_i32_e64 s10, s17, v87
	;; [unrolled: 1-line block ×3, first 2 shown]
	v_mul_f32_e32 v97, s18, v104
	v_max3_f32 v71, v71, v72, v78
	v_cndmask_b32_e64 v68, 0xff7fffff, v68, s9
	v_cndmask_b32_e64 v70, 0xff7fffff, v70, s10
	;; [unrolled: 1-line block ×4, first 2 shown]
	v_cmp_gt_i32_e64 s13, s17, v90
	v_cmp_gt_i32_e64 s15, s17, v91
	v_max3_f32 v68, v71, v68, v70
	v_cmp_gt_i32_e64 s16, s17, v76
	v_cmp_gt_i32_e64 s17, s17, v77
	v_cndmask_b32_e64 v70, 0xff7fffff, v97, s13
	v_cndmask_b32_e64 v71, 0xff7fffff, v96, s15
	v_max3_f32 v68, v68, v72, v78
	v_cndmask_b32_e64 v72, 0xff7fffff, v95, s16
	v_cndmask_b32_e64 v76, 0xff7fffff, v94, s17
	s_delay_alu instid0(VALU_DEP_3) | instskip(NEXT) | instid1(VALU_DEP_1)
	v_max3_f32 v68, v68, v70, v71
	v_max3_f32 v68, v68, v72, v76
	ds_bpermute_b32 v69, v89, v68
	s_waitcnt lgkmcnt(0)
	v_max_f32_e32 v69, v69, v69
	s_delay_alu instid0(VALU_DEP_1) | instskip(NEXT) | instid1(VALU_DEP_1)
	v_max_f32_e32 v68, v68, v69
	v_fma_f32 v69, s18, v124, -v68
	v_fma_f32 v70, s18, v125, -v68
	;; [unrolled: 1-line block ×5, first 2 shown]
	s_delay_alu instid0(VALU_DEP_4) | instskip(NEXT) | instid1(VALU_DEP_4)
	v_dual_mul_f32 v69, 0x3fb8aa3b, v69 :: v_dual_mul_f32 v70, 0x3fb8aa3b, v70
	v_mul_f32_e32 v72, 0x3fb8aa3b, v72
	v_fma_f32 v78, s18, v130, -v68
	s_delay_alu instid0(VALU_DEP_4) | instskip(NEXT) | instid1(VALU_DEP_4)
	v_mul_f32_e32 v77, 0x3fb8aa3b, v76
	v_exp_f32_e32 v69, v69
	v_exp_f32_e32 v70, v70
	v_mul_f32_e32 v71, 0x3fb8aa3b, v71
	v_exp_f32_e32 v72, v72
	v_mul_f32_e32 v78, 0x3fb8aa3b, v78
	v_exp_f32_e32 v77, v77
	v_fma_f32 v81, s18, v105, -v68
	s_delay_alu instid0(VALU_DEP_2)
	v_exp_f32_e32 v78, v78
	v_cndmask_b32_e64 v80, 0, v69, s2
	v_cndmask_b32_e32 v76, 0, v70, vcc_lo
	v_exp_f32_e32 v71, v71
	v_fma_f32 v69, s18, v129, -v68
	v_cndmask_b32_e64 v85, 0, v72, s4
	v_add_f32_e32 v70, 0, v80
	s_delay_alu instid0(TRANS32_DEP_3)
	v_cndmask_b32_e64 v86, 0, v77, s5
	v_fma_f32 v77, s18, v101, -v68
	v_mul_f32_e32 v69, 0x3fb8aa3b, v69
	v_fma_f32 v72, s18, v100, -v68
	v_cndmask_b32_e64 v84, 0, v78, s7
	v_fma_f32 v78, s18, v103, -v68
	v_cndmask_b32_e64 v83, 0, v71, s3
	v_fma_f32 v71, s18, v131, -v68
	v_add_f32_e32 v70, v70, v76
	v_exp_f32_e32 v69, v69
	v_mul_f32_e32 v77, 0x3fb8aa3b, v77
	v_mul_f32_e32 v81, 0x3fb8aa3b, v81
	;; [unrolled: 1-line block ×3, first 2 shown]
	v_add_f32_e32 v70, v70, v83
	v_cmp_gt_u32_e64 s2, 16, v67
	v_exp_f32_e32 v77, v77
	v_exp_f32_e32 v81, v81
	;; [unrolled: 1-line block ×3, first 2 shown]
	v_cndmask_b32_e64 v87, 0, v69, s6
	v_add_f32_e32 v70, v70, v85
	s_delay_alu instid0(VALU_DEP_1) | instskip(SKIP_1) | instid1(VALU_DEP_2)
	v_dual_mul_f32 v72, 0x3fb8aa3b, v72 :: v_dual_add_f32 v69, v70, v86
	v_fma_f32 v70, s18, v102, -v68
	v_exp_f32_e32 v72, v72
	s_waitcnt_depctr 0xfff
	v_cndmask_b32_e64 v88, 0, v71, s8
	v_fma_f32 v71, s18, v104, -v68
	v_dual_add_f32 v69, v69, v87 :: v_dual_mul_f32 v70, 0x3fb8aa3b, v70
	s_delay_alu instid0(VALU_DEP_2) | instskip(NEXT) | instid1(VALU_DEP_2)
	v_dual_mul_f32 v78, 0x3fb8aa3b, v78 :: v_dual_mul_f32 v71, 0x3fb8aa3b, v71
	v_add_f32_e32 v69, v69, v84
	s_delay_alu instid0(VALU_DEP_3) | instskip(SKIP_1) | instid1(VALU_DEP_3)
	v_exp_f32_e32 v79, v70
	v_cndmask_b32_e64 v70, 0, v72, s9
	v_exp_f32_e32 v78, v78
	v_exp_f32_e32 v82, v71
	v_add_f32_e32 v72, v69, v88
	v_cndmask_b32_e64 v69, 0, v77, s10
	v_fma_f32 v77, s18, v106, -v68
	s_delay_alu instid0(VALU_DEP_3) | instskip(NEXT) | instid1(TRANS32_DEP_3)
	v_add_f32_e32 v72, v72, v70
	v_cndmask_b32_e64 v71, 0, v79, s11
	s_delay_alu instid0(VALU_DEP_3) | instskip(NEXT) | instid1(VALU_DEP_3)
	v_mul_f32_e32 v77, 0x3fb8aa3b, v77
	v_add_f32_e32 v79, v72, v69
	s_delay_alu instid0(TRANS32_DEP_2) | instskip(NEXT) | instid1(VALU_DEP_3)
	v_cndmask_b32_e64 v72, 0, v78, s12
	v_exp_f32_e32 v90, v77
	v_cndmask_b32_e64 v77, 0, v82, s13
	s_delay_alu instid0(VALU_DEP_3) | instskip(SKIP_1) | instid1(VALU_DEP_1)
	v_add_f32_e32 v78, v79, v71
	v_fma_f32 v79, s18, v107, -v68
	v_dual_add_f32 v82, v78, v72 :: v_dual_mul_f32 v79, 0x3fb8aa3b, v79
	v_cndmask_b32_e64 v78, 0, v81, s15
	s_delay_alu instid0(VALU_DEP_2) | instskip(NEXT) | instid1(VALU_DEP_3)
	v_add_f32_e32 v81, v82, v77
	v_exp_f32_e32 v82, v79
	s_delay_alu instid0(TRANS32_DEP_2) | instskip(NEXT) | instid1(VALU_DEP_2)
	v_cndmask_b32_e64 v79, 0, v90, s16
	v_add_f32_e32 v81, v81, v78
	s_delay_alu instid0(VALU_DEP_1) | instskip(SKIP_2) | instid1(VALU_DEP_1)
	v_add_f32_e32 v90, v81, v79
	s_waitcnt_depctr 0xfff
	v_cndmask_b32_e64 v81, 0, v82, s17
	v_add_f32_e32 v82, v90, v81
	ds_bpermute_b32 v89, v89, v82
	s_and_saveexec_b32 s3, s2
	s_cbranch_execz .LBB1846_12
; %bb.11:
	v_mul_u32_u24_e32 v67, 0x44, v66
	s_delay_alu instid0(VALU_DEP_1) | instskip(SKIP_1) | instid1(VALU_DEP_1)
	v_lshl_add_u32 v67, v65, 2, v67
	s_waitcnt lgkmcnt(0)
	v_dual_add_f32 v82, v82, v89 :: v_dual_add_nc_u32 v67, 0x4000, v67
	ds_store_2addr_b32 v67, v68, v82 offset1:136
.LBB1846_12:
	s_or_b32 exec_lo, exec_lo, s3
	v_lshlrev_b32_e32 v67, 2, v65
	s_waitcnt lgkmcnt(0)
	s_barrier
	buffer_gl0_inv
	v_cmp_eq_u32_e32 vcc_lo, 1, v66
	v_add_nc_u32_e32 v82, 0x4000, v67
	v_cmp_eq_u32_e64 s3, 2, v66
	v_cmp_eq_u32_e64 s5, 7, v66
	ds_load_2addr_b32 v[89:90], v82 offset1:17
	ds_load_2addr_b32 v[91:92], v82 offset0:34 offset1:51
	ds_load_2addr_b32 v[93:94], v82 offset0:68 offset1:85
	;; [unrolled: 1-line block ×4, first 2 shown]
	s_waitcnt lgkmcnt(4)
	v_max3_f32 v67, v89, 0xff7fffff, v90
	s_waitcnt lgkmcnt(3)
	s_delay_alu instid0(VALU_DEP_1) | instskip(SKIP_1) | instid1(VALU_DEP_1)
	v_max3_f32 v67, v67, v91, v92
	s_waitcnt lgkmcnt(2)
	v_max3_f32 v67, v67, v93, v94
	s_waitcnt lgkmcnt(1)
	s_delay_alu instid0(VALU_DEP_1) | instskip(NEXT) | instid1(VALU_DEP_1)
	v_max3_f32 v67, v67, v95, v96
	v_sub_f32_e32 v93, v93, v67
	s_delay_alu instid0(VALU_DEP_1) | instskip(NEXT) | instid1(VALU_DEP_1)
	v_dual_sub_f32 v68, v89, v67 :: v_dual_mul_f32 v103, 0x3fb8aa3b, v93
	v_mul_f32_e32 v68, 0x3fb8aa3b, v68
	s_delay_alu instid0(VALU_DEP_1)
	v_exp_f32_e32 v100, v68
	v_sub_f32_e32 v68, v92, v67
	v_sub_f32_e32 v99, v90, v67
	ds_load_2addr_b32 v[89:90], v82 offset0:170 offset1:187
	v_dual_mul_f32 v102, 0x3fb8aa3b, v68 :: v_dual_mul_f32 v99, 0x3fb8aa3b, v99
	s_waitcnt lgkmcnt(1)
	v_fma_f32 v68, v100, v97, 0
	s_delay_alu instid0(VALU_DEP_2) | instskip(NEXT) | instid1(VALU_DEP_2)
	v_exp_f32_e32 v102, v102
	v_exp_f32_e32 v99, v99
	s_waitcnt_depctr 0xfff
	v_fmac_f32_e32 v68, v99, v98
	v_sub_f32_e32 v91, v91, v67
	s_delay_alu instid0(VALU_DEP_1)
	v_mul_f32_e32 v101, 0x3fb8aa3b, v91
	ds_load_2addr_b32 v[91:92], v82 offset0:204 offset1:221
	v_sub_f32_e32 v97, v94, v67
	ds_load_2addr_b32 v[93:94], v82 offset0:238 offset1:255
	s_waitcnt lgkmcnt(0)
	v_exp_f32_e32 v101, v101
	s_barrier
	buffer_gl0_inv
	v_dual_fmac_f32 v68, v101, v89 :: v_dual_sub_f32 v89, v96, v67
	v_dual_sub_f32 v82, v95, v67 :: v_dual_mul_f32 v95, 0x3fb8aa3b, v97
	v_exp_f32_e32 v97, v103
	s_delay_alu instid0(VALU_DEP_2) | instskip(NEXT) | instid1(VALU_DEP_2)
	v_dual_fmac_f32 v68, v102, v90 :: v_dual_mul_f32 v89, 0x3fb8aa3b, v89
	v_mul_f32_e32 v82, 0x3fb8aa3b, v82
	s_delay_alu instid0(VALU_DEP_3) | instskip(NEXT) | instid1(VALU_DEP_2)
	v_exp_f32_e32 v95, v95
	v_exp_f32_e32 v89, v89
	s_delay_alu instid0(VALU_DEP_1)
	v_exp_f32_e32 v82, v82
	v_fmac_f32_e32 v68, v97, v91
	s_delay_alu instid0(TRANS32_DEP_3) | instid1(VALU_DEP_1)
	v_fmac_f32_e32 v68, v95, v92
	s_waitcnt_depctr 0xfff
	v_fmac_f32_e32 v68, v82, v93
	s_delay_alu instid0(VALU_DEP_1) | instskip(NEXT) | instid1(VALU_DEP_1)
	v_fmac_f32_e32 v68, v89, v94
	v_add_f32_e32 v90, 0x358637bd, v68
	s_delay_alu instid0(VALU_DEP_1) | instskip(NEXT) | instid1(VALU_DEP_1)
	v_div_scale_f32 v91, null, v90, v90, 1.0
	v_rcp_f32_e32 v92, v91
	s_waitcnt_depctr 0xfff
	v_fma_f32 v93, -v91, v92, 1.0
	s_delay_alu instid0(VALU_DEP_1) | instskip(SKIP_1) | instid1(VALU_DEP_2)
	v_dual_fmac_f32 v92, v93, v92 :: v_dual_cndmask_b32 v93, v100, v99
	v_cmp_eq_u32_e32 vcc_lo, 3, v66
	v_cndmask_b32_e64 v93, v93, v101, s3
	v_cmp_eq_u32_e64 s3, 4, v66
	s_delay_alu instid0(VALU_DEP_2) | instskip(SKIP_1) | instid1(VALU_DEP_2)
	v_cndmask_b32_e32 v93, v93, v102, vcc_lo
	v_cmp_eq_u32_e32 vcc_lo, 5, v66
	v_cndmask_b32_e64 v93, v93, v97, s3
	v_cmp_eq_u32_e64 s3, 6, v66
	s_delay_alu instid0(VALU_DEP_2) | instskip(SKIP_1) | instid1(VALU_DEP_1)
	v_cndmask_b32_e32 v93, v93, v95, vcc_lo
	v_div_scale_f32 v94, s4, 1.0, v90, 1.0
	s_mov_b32 vcc_lo, s4
	s_delay_alu instid0(VALU_DEP_2) | instskip(NEXT) | instid1(VALU_DEP_2)
	v_cndmask_b32_e64 v82, v93, v82, s3
	v_mul_f32_e32 v96, v94, v92
	s_mov_b32 s3, exec_lo
	s_delay_alu instid0(VALU_DEP_2) | instskip(NEXT) | instid1(VALU_DEP_2)
	v_cndmask_b32_e64 v82, v82, v89, s5
	v_fma_f32 v98, -v91, v96, v94
	s_delay_alu instid0(VALU_DEP_1) | instskip(NEXT) | instid1(VALU_DEP_1)
	v_fmac_f32_e32 v96, v98, v92
	v_fma_f32 v91, -v91, v96, v94
	s_delay_alu instid0(VALU_DEP_1) | instskip(NEXT) | instid1(VALU_DEP_1)
	v_div_fmas_f32 v91, v91, v92, v96
	v_div_fixup_f32 v90, v91, v90, 1.0
	s_delay_alu instid0(VALU_DEP_1) | instskip(NEXT) | instid1(VALU_DEP_1)
	v_mul_f32_e32 v82, v82, v90
	v_mul_f32_e32 v87, v82, v87
	;; [unrolled: 1-line block ×7, first 2 shown]
	v_dual_mul_f32 v86, v82, v83 :: v_dual_and_b32 v91, 0x7f800000, v90
	v_mul_f32_e32 v85, v82, v76
                                        ; implicit-def: $vgpr76
	s_delay_alu instid0(VALU_DEP_2)
	v_cmpx_ne_u32_e32 0x7f800000, v91
	s_xor_b32 s3, exec_lo, s3
; %bb.13:
	v_bfe_u32 v76, v90, 16, 1
	s_delay_alu instid0(VALU_DEP_1)
	v_add3_u32 v76, v90, v76, 0x7fff
                                        ; implicit-def: $vgpr90
; %bb.14:
	s_and_not1_saveexec_b32 s3, s3
; %bb.15:
	v_and_b32_e32 v76, 0xffff, v90
	v_or_b32_e32 v83, 0x10000, v90
	s_delay_alu instid0(VALU_DEP_2) | instskip(NEXT) | instid1(VALU_DEP_2)
	v_cmp_eq_u32_e32 vcc_lo, 0, v76
	v_cndmask_b32_e32 v76, v83, v90, vcc_lo
; %bb.16:
	s_or_b32 exec_lo, exec_lo, s3
	v_and_b32_e32 v83, 0x7f800000, v85
	s_delay_alu instid0(VALU_DEP_1) | instskip(SKIP_1) | instid1(SALU_CYCLE_1)
	v_cmp_ne_u32_e32 vcc_lo, 0x7f800000, v83
                                        ; implicit-def: $vgpr83
	s_and_saveexec_b32 s3, vcc_lo
	s_xor_b32 s3, exec_lo, s3
; %bb.17:
	v_bfe_u32 v83, v85, 16, 1
	s_delay_alu instid0(VALU_DEP_1)
	v_add3_u32 v83, v85, v83, 0x7fff
                                        ; implicit-def: $vgpr85
; %bb.18:
	s_and_not1_saveexec_b32 s3, s3
; %bb.19:
	v_and_b32_e32 v83, 0xffff, v85
	v_or_b32_e32 v90, 0x10000, v85
	s_delay_alu instid0(VALU_DEP_2) | instskip(NEXT) | instid1(VALU_DEP_2)
	v_cmp_eq_u32_e32 vcc_lo, 0, v83
	v_cndmask_b32_e32 v83, v90, v85, vcc_lo
; %bb.20:
	s_or_b32 exec_lo, exec_lo, s3
	v_and_b32_e32 v85, 0x7f800000, v86
	s_delay_alu instid0(VALU_DEP_1) | instskip(SKIP_1) | instid1(SALU_CYCLE_1)
	v_cmp_ne_u32_e32 vcc_lo, 0x7f800000, v85
                                        ; implicit-def: $vgpr85
	s_and_saveexec_b32 s3, vcc_lo
	s_xor_b32 s3, exec_lo, s3
; %bb.21:
	v_bfe_u32 v85, v86, 16, 1
	s_delay_alu instid0(VALU_DEP_1)
	v_add3_u32 v85, v86, v85, 0x7fff
                                        ; implicit-def: $vgpr86
; %bb.22:
	s_and_not1_saveexec_b32 s3, s3
; %bb.23:
	v_and_b32_e32 v85, 0xffff, v86
	v_or_b32_e32 v90, 0x10000, v86
	s_delay_alu instid0(VALU_DEP_2) | instskip(NEXT) | instid1(VALU_DEP_2)
	v_cmp_eq_u32_e32 vcc_lo, 0, v85
	v_cndmask_b32_e32 v85, v90, v86, vcc_lo
; %bb.24:
	s_or_b32 exec_lo, exec_lo, s3
	v_and_b32_e32 v86, 0x7f800000, v89
	s_delay_alu instid0(VALU_DEP_1) | instskip(SKIP_1) | instid1(SALU_CYCLE_1)
	v_cmp_ne_u32_e32 vcc_lo, 0x7f800000, v86
                                        ; implicit-def: $vgpr86
	s_and_saveexec_b32 s3, vcc_lo
	s_xor_b32 s3, exec_lo, s3
; %bb.25:
	v_bfe_u32 v86, v89, 16, 1
	s_delay_alu instid0(VALU_DEP_1)
	v_add3_u32 v86, v89, v86, 0x7fff
                                        ; implicit-def: $vgpr89
; %bb.26:
	s_and_not1_saveexec_b32 s3, s3
; %bb.27:
	v_and_b32_e32 v86, 0xffff, v89
	v_or_b32_e32 v90, 0x10000, v89
	s_delay_alu instid0(VALU_DEP_2) | instskip(NEXT) | instid1(VALU_DEP_2)
	v_cmp_eq_u32_e32 vcc_lo, 0, v86
	v_cndmask_b32_e32 v86, v90, v89, vcc_lo
; %bb.28:
	s_or_b32 exec_lo, exec_lo, s3
	v_and_b32_e32 v89, 0x7f800000, v88
	s_delay_alu instid0(VALU_DEP_1) | instskip(SKIP_1) | instid1(SALU_CYCLE_1)
	v_cmp_ne_u32_e32 vcc_lo, 0x7f800000, v89
                                        ; implicit-def: $vgpr89
	s_and_saveexec_b32 s3, vcc_lo
	s_xor_b32 s3, exec_lo, s3
; %bb.29:
	v_bfe_u32 v89, v88, 16, 1
	s_delay_alu instid0(VALU_DEP_1)
	v_add3_u32 v89, v88, v89, 0x7fff
                                        ; implicit-def: $vgpr88
; %bb.30:
	s_and_not1_saveexec_b32 s3, s3
; %bb.31:
	v_and_b32_e32 v89, 0xffff, v88
	v_or_b32_e32 v90, 0x10000, v88
	s_delay_alu instid0(VALU_DEP_2) | instskip(NEXT) | instid1(VALU_DEP_2)
	v_cmp_eq_u32_e32 vcc_lo, 0, v89
	v_cndmask_b32_e32 v89, v90, v88, vcc_lo
; %bb.32:
	s_or_b32 exec_lo, exec_lo, s3
	v_and_b32_e32 v88, 0x7f800000, v87
	s_delay_alu instid0(VALU_DEP_1) | instskip(SKIP_1) | instid1(SALU_CYCLE_1)
	v_cmp_ne_u32_e32 vcc_lo, 0x7f800000, v88
                                        ; implicit-def: $vgpr88
	s_and_saveexec_b32 s3, vcc_lo
	s_xor_b32 s3, exec_lo, s3
; %bb.33:
	v_bfe_u32 v88, v87, 16, 1
	s_delay_alu instid0(VALU_DEP_1)
	v_add3_u32 v88, v87, v88, 0x7fff
                                        ; implicit-def: $vgpr87
; %bb.34:
	s_and_not1_saveexec_b32 s3, s3
; %bb.35:
	v_and_b32_e32 v88, 0xffff, v87
	v_or_b32_e32 v90, 0x10000, v87
	s_delay_alu instid0(VALU_DEP_2) | instskip(NEXT) | instid1(VALU_DEP_2)
	v_cmp_eq_u32_e32 vcc_lo, 0, v88
	v_cndmask_b32_e32 v88, v90, v87, vcc_lo
; %bb.36:
	s_or_b32 exec_lo, exec_lo, s3
	v_and_b32_e32 v87, 0x7f800000, v84
	s_delay_alu instid0(VALU_DEP_1) | instskip(SKIP_1) | instid1(SALU_CYCLE_1)
	v_cmp_ne_u32_e32 vcc_lo, 0x7f800000, v87
                                        ; implicit-def: $vgpr87
	s_and_saveexec_b32 s3, vcc_lo
	s_xor_b32 s3, exec_lo, s3
; %bb.37:
	v_bfe_u32 v87, v84, 16, 1
	s_delay_alu instid0(VALU_DEP_1)
	v_add3_u32 v87, v84, v87, 0x7fff
                                        ; implicit-def: $vgpr84
; %bb.38:
	s_and_not1_saveexec_b32 s3, s3
; %bb.39:
	v_and_b32_e32 v87, 0xffff, v84
	v_or_b32_e32 v90, 0x10000, v84
	s_delay_alu instid0(VALU_DEP_2) | instskip(NEXT) | instid1(VALU_DEP_2)
	v_cmp_eq_u32_e32 vcc_lo, 0, v87
	v_cndmask_b32_e32 v87, v90, v84, vcc_lo
; %bb.40:
	s_or_b32 exec_lo, exec_lo, s3
	v_and_b32_e32 v84, 0x7f800000, v80
	s_delay_alu instid0(VALU_DEP_1) | instskip(SKIP_1) | instid1(SALU_CYCLE_1)
	v_cmp_ne_u32_e32 vcc_lo, 0x7f800000, v84
                                        ; implicit-def: $vgpr84
	s_and_saveexec_b32 s3, vcc_lo
	s_xor_b32 s3, exec_lo, s3
; %bb.41:
	v_bfe_u32 v84, v80, 16, 1
	s_delay_alu instid0(VALU_DEP_1)
	v_add3_u32 v84, v80, v84, 0x7fff
                                        ; implicit-def: $vgpr80
; %bb.42:
	s_and_not1_saveexec_b32 s3, s3
; %bb.43:
	v_and_b32_e32 v84, 0xffff, v80
	v_or_b32_e32 v90, 0x10000, v80
	s_delay_alu instid0(VALU_DEP_2) | instskip(NEXT) | instid1(VALU_DEP_2)
	v_cmp_eq_u32_e32 vcc_lo, 0, v84
	v_cndmask_b32_e32 v84, v90, v80, vcc_lo
; %bb.44:
	s_or_b32 exec_lo, exec_lo, s3
	s_load_b64 s[34:35], s[0:1], 0x94
	v_lshlrev_b32_e32 v91, 4, v74
	s_delay_alu instid0(VALU_DEP_2)
	v_perm_b32 v90, v84, v87, 0x7060302
	v_dual_mul_f32 v79, v82, v79 :: v_dual_lshlrev_b32 v80, 6, v65
	v_dual_mul_f32 v77, v82, v77 :: v_dual_lshlrev_b32 v92, 11, v66
	v_mul_f32_e32 v84, v82, v70
	v_perm_b32 v89, v88, v89, 0x7060302
	v_perm_b32 v88, v86, v85, 0x7060302
	;; [unrolled: 1-line block ×3, first 2 shown]
	v_mul_f32_e32 v70, v82, v81
	v_or3_b32 v76, v91, v92, v80
	v_dual_mul_f32 v78, v82, v78 :: v_dual_and_b32 v85, 0x7f800000, v84
	v_mul_f32_e32 v83, v82, v72
	v_mul_f32_e32 v81, v82, v71
	;; [unrolled: 1-line block ×3, first 2 shown]
	s_mov_b32 s3, exec_lo
	ds_store_b128 v76, v[87:90]
                                        ; implicit-def: $vgpr69
	v_cmpx_ne_u32_e32 0x7f800000, v85
	s_xor_b32 s3, exec_lo, s3
; %bb.45:
	v_bfe_u32 v69, v84, 16, 1
	s_delay_alu instid0(VALU_DEP_1)
	v_add3_u32 v69, v84, v69, 0x7fff
                                        ; implicit-def: $vgpr84
; %bb.46:
	s_and_not1_saveexec_b32 s3, s3
; %bb.47:
	v_and_b32_e32 v69, 0xffff, v84
	v_or_b32_e32 v71, 0x10000, v84
	s_delay_alu instid0(VALU_DEP_2) | instskip(NEXT) | instid1(VALU_DEP_2)
	v_cmp_eq_u32_e32 vcc_lo, 0, v69
	v_cndmask_b32_e32 v69, v71, v84, vcc_lo
; %bb.48:
	s_or_b32 exec_lo, exec_lo, s3
	v_and_b32_e32 v71, 0x7f800000, v72
	s_delay_alu instid0(VALU_DEP_1) | instskip(SKIP_1) | instid1(SALU_CYCLE_1)
	v_cmp_ne_u32_e32 vcc_lo, 0x7f800000, v71
                                        ; implicit-def: $vgpr71
	s_and_saveexec_b32 s3, vcc_lo
	s_xor_b32 s3, exec_lo, s3
; %bb.49:
	v_bfe_u32 v71, v72, 16, 1
	s_delay_alu instid0(VALU_DEP_1)
	v_add3_u32 v71, v72, v71, 0x7fff
                                        ; implicit-def: $vgpr72
; %bb.50:
	s_and_not1_saveexec_b32 s3, s3
; %bb.51:
	v_and_b32_e32 v71, 0xffff, v72
	v_or_b32_e32 v82, 0x10000, v72
	s_delay_alu instid0(VALU_DEP_2) | instskip(NEXT) | instid1(VALU_DEP_2)
	v_cmp_eq_u32_e32 vcc_lo, 0, v71
	v_cndmask_b32_e32 v71, v82, v72, vcc_lo
; %bb.52:
	s_or_b32 exec_lo, exec_lo, s3
	v_and_b32_e32 v72, 0x7f800000, v81
	s_delay_alu instid0(VALU_DEP_1) | instskip(SKIP_1) | instid1(SALU_CYCLE_1)
	v_cmp_ne_u32_e32 vcc_lo, 0x7f800000, v72
                                        ; implicit-def: $vgpr72
	s_and_saveexec_b32 s3, vcc_lo
	s_xor_b32 s3, exec_lo, s3
; %bb.53:
	v_bfe_u32 v72, v81, 16, 1
	s_delay_alu instid0(VALU_DEP_1)
	v_add3_u32 v72, v81, v72, 0x7fff
                                        ; implicit-def: $vgpr81
; %bb.54:
	s_and_not1_saveexec_b32 s3, s3
; %bb.55:
	v_and_b32_e32 v72, 0xffff, v81
	v_or_b32_e32 v82, 0x10000, v81
	s_delay_alu instid0(VALU_DEP_2) | instskip(NEXT) | instid1(VALU_DEP_2)
	v_cmp_eq_u32_e32 vcc_lo, 0, v72
	v_cndmask_b32_e32 v72, v82, v81, vcc_lo
; %bb.56:
	s_or_b32 exec_lo, exec_lo, s3
	v_and_b32_e32 v81, 0x7f800000, v83
	s_delay_alu instid0(VALU_DEP_1) | instskip(SKIP_1) | instid1(SALU_CYCLE_1)
	v_cmp_ne_u32_e32 vcc_lo, 0x7f800000, v81
                                        ; implicit-def: $vgpr81
	s_and_saveexec_b32 s3, vcc_lo
	s_xor_b32 s3, exec_lo, s3
; %bb.57:
	v_bfe_u32 v81, v83, 16, 1
	s_delay_alu instid0(VALU_DEP_1)
	v_add3_u32 v81, v83, v81, 0x7fff
                                        ; implicit-def: $vgpr83
; %bb.58:
	s_and_not1_saveexec_b32 s3, s3
; %bb.59:
	v_and_b32_e32 v81, 0xffff, v83
	v_or_b32_e32 v82, 0x10000, v83
	s_delay_alu instid0(VALU_DEP_2) | instskip(NEXT) | instid1(VALU_DEP_2)
	v_cmp_eq_u32_e32 vcc_lo, 0, v81
	v_cndmask_b32_e32 v81, v82, v83, vcc_lo
; %bb.60:
	s_or_b32 exec_lo, exec_lo, s3
	v_and_b32_e32 v82, 0x7f800000, v77
	s_delay_alu instid0(VALU_DEP_1) | instskip(SKIP_1) | instid1(SALU_CYCLE_1)
	v_cmp_ne_u32_e32 vcc_lo, 0x7f800000, v82
                                        ; implicit-def: $vgpr82
	s_and_saveexec_b32 s3, vcc_lo
	s_xor_b32 s3, exec_lo, s3
; %bb.61:
	v_bfe_u32 v82, v77, 16, 1
	s_delay_alu instid0(VALU_DEP_1)
	v_add3_u32 v82, v77, v82, 0x7fff
                                        ; implicit-def: $vgpr77
; %bb.62:
	s_and_not1_saveexec_b32 s3, s3
; %bb.63:
	v_and_b32_e32 v82, 0xffff, v77
	v_or_b32_e32 v83, 0x10000, v77
	s_delay_alu instid0(VALU_DEP_2) | instskip(NEXT) | instid1(VALU_DEP_2)
	v_cmp_eq_u32_e32 vcc_lo, 0, v82
	v_cndmask_b32_e32 v82, v83, v77, vcc_lo
; %bb.64:
	s_or_b32 exec_lo, exec_lo, s3
	v_and_b32_e32 v77, 0x7f800000, v78
	s_delay_alu instid0(VALU_DEP_1) | instskip(SKIP_1) | instid1(SALU_CYCLE_1)
	v_cmp_ne_u32_e32 vcc_lo, 0x7f800000, v77
                                        ; implicit-def: $vgpr77
	s_and_saveexec_b32 s3, vcc_lo
	s_xor_b32 s3, exec_lo, s3
; %bb.65:
	v_bfe_u32 v77, v78, 16, 1
	s_delay_alu instid0(VALU_DEP_1)
	v_add3_u32 v77, v78, v77, 0x7fff
                                        ; implicit-def: $vgpr78
; %bb.66:
	s_and_not1_saveexec_b32 s3, s3
; %bb.67:
	v_and_b32_e32 v77, 0xffff, v78
	v_or_b32_e32 v83, 0x10000, v78
	s_delay_alu instid0(VALU_DEP_2) | instskip(NEXT) | instid1(VALU_DEP_2)
	v_cmp_eq_u32_e32 vcc_lo, 0, v77
	v_cndmask_b32_e32 v77, v83, v78, vcc_lo
; %bb.68:
	s_or_b32 exec_lo, exec_lo, s3
	v_and_b32_e32 v78, 0x7f800000, v79
	s_delay_alu instid0(VALU_DEP_1) | instskip(SKIP_1) | instid1(SALU_CYCLE_1)
	v_cmp_ne_u32_e32 vcc_lo, 0x7f800000, v78
                                        ; implicit-def: $vgpr78
	s_and_saveexec_b32 s3, vcc_lo
	s_xor_b32 s3, exec_lo, s3
; %bb.69:
	v_bfe_u32 v78, v79, 16, 1
	s_delay_alu instid0(VALU_DEP_1)
	v_add3_u32 v78, v79, v78, 0x7fff
                                        ; implicit-def: $vgpr79
; %bb.70:
	s_and_not1_saveexec_b32 s3, s3
; %bb.71:
	v_and_b32_e32 v78, 0xffff, v79
	v_or_b32_e32 v83, 0x10000, v79
	s_delay_alu instid0(VALU_DEP_2) | instskip(NEXT) | instid1(VALU_DEP_2)
	v_cmp_eq_u32_e32 vcc_lo, 0, v78
	v_cndmask_b32_e32 v78, v83, v79, vcc_lo
; %bb.72:
	s_or_b32 exec_lo, exec_lo, s3
	v_and_b32_e32 v79, 0x7f800000, v70
	s_delay_alu instid0(VALU_DEP_1) | instskip(SKIP_1) | instid1(SALU_CYCLE_1)
	v_cmp_ne_u32_e32 vcc_lo, 0x7f800000, v79
                                        ; implicit-def: $vgpr79
	s_and_saveexec_b32 s3, vcc_lo
	s_xor_b32 s3, exec_lo, s3
; %bb.73:
	v_bfe_u32 v79, v70, 16, 1
	s_delay_alu instid0(VALU_DEP_1)
	v_add3_u32 v79, v70, v79, 0x7fff
                                        ; implicit-def: $vgpr70
; %bb.74:
	s_and_not1_saveexec_b32 s3, s3
; %bb.75:
	v_and_b32_e32 v79, 0xffff, v70
	v_or_b32_e32 v83, 0x10000, v70
	s_delay_alu instid0(VALU_DEP_2) | instskip(NEXT) | instid1(VALU_DEP_2)
	v_cmp_eq_u32_e32 vcc_lo, 0, v79
	v_cndmask_b32_e32 v79, v83, v70, vcc_lo
; %bb.76:
	s_or_b32 exec_lo, exec_lo, s3
	s_delay_alu instid0(VALU_DEP_1)
	v_perm_b32 v86, v79, v78, 0x7060302
	v_perm_b32 v85, v77, v82, 0x7060302
	;; [unrolled: 1-line block ×4, first 2 shown]
	v_lshl_or_b32 v82, v66, 11, v80
	ds_store_b128 v76, v[83:86] offset:1024
	s_waitcnt lgkmcnt(0)
	s_barrier
	buffer_gl0_inv
	ds_load_b128 v[69:72], v82
	ds_load_b128 v[83:86], v82 offset:16
	s_waitcnt lgkmcnt(1)
	v_lshrrev_b32_e32 v66, 16, v69
	s_waitcnt lgkmcnt(0)
	v_lshrrev_b32_e32 v91, 16, v83
	v_lshlrev_b32_e32 v78, 2, v74
	v_lshrrev_b32_e32 v95, 16, v70
	v_lshrrev_b32_e32 v98, 16, v84
	;; [unrolled: 1-line block ×4, first 2 shown]
	v_cmp_eq_u32_e32 vcc_lo, 1, v78
	v_lshrrev_b32_e32 v97, 16, v72
	v_lshrrev_b32_e32 v100, 16, v86
	v_cndmask_b32_e32 v87, v83, v91, vcc_lo
	v_or_b32_e32 v79, 1, v78
	v_cndmask_b32_e32 v81, v69, v66, vcc_lo
	v_cmp_eq_u32_e64 s4, 2, v78
	v_cmp_eq_u32_e64 s7, 3, v78
	v_cmp_eq_u32_e64 s9, 4, v78
	v_cmp_eq_u32_e64 s3, 1, v79
	v_cmp_eq_u32_e64 s6, 2, v79
	v_cndmask_b32_e64 v81, v81, v70, s4
	v_cndmask_b32_e64 v87, v87, v84, s4
	v_cmp_eq_u32_e64 s8, 3, v79
	v_cndmask_b32_e64 v88, v69, v66, s3
	v_or_b32_e32 v77, 2, v78
	v_cndmask_b32_e64 v81, v81, v95, s7
	v_cndmask_b32_e64 v87, v87, v98, s7
	;; [unrolled: 1-line block ×4, first 2 shown]
	v_cmp_eq_u32_e64 s10, 5, v78
	v_cndmask_b32_e64 v81, v81, v71, s9
	v_cndmask_b32_e64 v87, v87, v85, s9
	v_cmp_eq_u32_e64 s11, 4, v79
	v_cndmask_b32_e64 v88, v88, v95, s8
	v_cmp_eq_u32_e64 s5, 1, v77
	v_cndmask_b32_e64 v89, v89, v84, s6
	v_cndmask_b32_e64 v81, v81, v96, s10
	v_cmp_eq_u32_e64 s12, 6, v78
	v_cndmask_b32_e64 v88, v88, v71, s11
	;; [unrolled: 3-line block ×3, first 2 shown]
	v_cndmask_b32_e64 v89, v89, v98, s8
	v_cndmask_b32_e64 v81, v81, v72, s12
	v_cmp_eq_u32_e64 s15, 7, v78
	v_cndmask_b32_e64 v88, v88, v96, s13
	v_cndmask_b32_e64 v87, v87, v86, s12
	v_cmp_eq_u32_e64 s16, 6, v79
	v_cmp_eq_u32_e64 s17, 2, v77
	v_cndmask_b32_e64 v89, v89, v85, s11
	v_cndmask_b32_e64 v101, v81, v97, s15
	;; [unrolled: 1-line block ×6, first 2 shown]
	v_cmp_eq_u32_e64 s18, 7, v79
	v_cmp_eq_u32_e64 s19, 3, v77
	v_cmp_eq_u32_e64 s20, 4, v77
	v_cmp_eq_u32_e64 s22, 5, v77
	v_cndmask_b32_e64 v87, v87, v84, s17
	v_cndmask_b32_e64 v103, v88, v97, s18
	;; [unrolled: 1-line block ×4, first 2 shown]
	v_or_b32_e32 v81, 3, v78
	v_cndmask_b32_e64 v93, v87, v98, s19
	v_cmp_eq_u32_e64 s24, 6, v77
	v_cndmask_b32_e64 v104, v88, v86, s16
	v_cndmask_b32_e64 v92, v89, v71, s20
	v_cmp_eq_u32_e64 s21, 1, v81
	ds_load_b128 v[87:90], v82 offset:1024
	v_cmp_eq_u32_e64 s23, 2, v81
	v_cmp_eq_u32_e64 s25, 3, v81
	v_cndmask_b32_e64 v105, v92, v96, s22
	v_cndmask_b32_e64 v66, v69, v66, s21
	;; [unrolled: 1-line block ×4, first 2 shown]
	ds_load_b128 v[91:94], v82 offset:1040
	v_cmp_eq_u32_e64 s26, 4, v81
	v_cndmask_b32_e64 v66, v66, v70, s23
	v_cmp_eq_u32_e64 s27, 7, v77
	v_cndmask_b32_e64 v70, v83, v84, s23
	v_cndmask_b32_e64 v84, v105, v72, s24
	v_cmp_eq_u32_e64 s28, 5, v81
	v_cndmask_b32_e64 v66, v66, v95, s25
	v_cmp_eq_u32_e64 s29, 6, v81
	v_cndmask_b32_e64 v70, v70, v98, s25
	v_cndmask_b32_e64 v69, v69, v99, s22
	;; [unrolled: 1-line block ×4, first 2 shown]
	s_waitcnt lgkmcnt(1)
	v_lshrrev_b32_e32 v95, 16, v87
	v_cndmask_b32_e64 v70, v70, v85, s26
	v_cndmask_b32_e64 v71, v84, v97, s27
	;; [unrolled: 1-line block ×4, first 2 shown]
	v_cndmask_b32_e32 v84, v87, v95, vcc_lo
	v_cndmask_b32_e64 v70, v70, v99, s28
	s_waitcnt lgkmcnt(0)
	v_lshrrev_b32_e32 v85, 16, v91
	v_lshrrev_b32_e32 v96, 16, v88
	v_cndmask_b32_e64 v98, v87, v95, s3
	v_cndmask_b32_e64 v84, v84, v88, s4
	;; [unrolled: 1-line block ×3, first 2 shown]
	v_cndmask_b32_e32 v99, v91, v85, vcc_lo
	v_cmp_eq_u32_e32 vcc_lo, 7, v81
	v_cndmask_b32_e64 v66, v66, v72, s29
	v_cndmask_b32_e64 v72, v84, v96, s7
	;; [unrolled: 1-line block ×3, first 2 shown]
	v_lshrrev_b32_e32 v98, 16, v92
	v_cndmask_b32_e32 v70, v70, v100, vcc_lo
	v_cndmask_b32_e64 v86, v99, v92, s4
	v_cndmask_b32_e64 v69, v69, v100, s27
	v_lshrrev_b32_e32 v100, 16, v93
	v_cndmask_b32_e64 v72, v72, v89, s9
	v_lshrrev_b32_e32 v99, 16, v89
	v_cndmask_b32_e64 v86, v86, v98, s7
	v_perm_b32 v71, v69, v71, 0x5040100
	v_cndmask_b32_e64 v84, v84, v96, s8
	s_delay_alu instid0(VALU_DEP_3) | instskip(NEXT) | instid1(VALU_DEP_2)
	v_cndmask_b32_e64 v86, v86, v93, s9
	v_cndmask_b32_e64 v84, v84, v89, s11
	s_delay_alu instid0(VALU_DEP_2) | instskip(NEXT) | instid1(VALU_DEP_1)
	v_cndmask_b32_e64 v86, v86, v100, s10
	v_cndmask_b32_e64 v69, v86, v94, s12
	;; [unrolled: 1-line block ×5, first 2 shown]
	s_delay_alu instid0(VALU_DEP_3) | instskip(NEXT) | instid1(VALU_DEP_3)
	v_cndmask_b32_e64 v86, v86, v88, s17
	v_cndmask_b32_e64 v87, v87, v88, s23
	s_delay_alu instid0(VALU_DEP_3) | instskip(NEXT) | instid1(VALU_DEP_3)
	v_cndmask_b32_e64 v88, v95, v92, s23
	v_cndmask_b32_e64 v86, v86, v96, s19
	;; [unrolled: 3-line block ×7, first 2 shown]
	s_delay_alu instid0(VALU_DEP_3) | instskip(SKIP_2) | instid1(VALU_DEP_2)
	v_cndmask_b32_e64 v88, v88, v94, s29
	v_cndmask_b32_e32 v66, v66, v97, vcc_lo
	v_cndmask_b32_e64 v97, v72, v99, s10
	v_perm_b32 v72, v70, v66, 0x5040100
	v_perm_b32 v70, v83, v103, 0x5040100
	v_cndmask_b32_e64 v103, v91, v85, s5
	v_cndmask_b32_e64 v85, v91, v85, s3
	;; [unrolled: 1-line block ×4, first 2 shown]
	v_lshrrev_b32_e32 v97, 16, v90
	v_cndmask_b32_e64 v91, v103, v92, s17
	v_cndmask_b32_e64 v85, v85, v92, s6
	v_cndmask_b32_e64 v66, v66, v90, s16
	s_mov_b32 s3, exec_lo
	v_cndmask_b32_e64 v83, v84, v97, s15
	v_cndmask_b32_e64 v91, v91, v98, s19
	;; [unrolled: 1-line block ×3, first 2 shown]
	v_lshrrev_b32_e32 v84, 16, v94
	v_cndmask_b32_e64 v66, v66, v97, s18
	v_cndmask_b32_e64 v90, v86, v97, s27
	;; [unrolled: 1-line block ×4, first 2 shown]
	v_dual_cndmask_b32 v86, v87, v97 :: v_dual_cndmask_b32 v87, v88, v84
	v_cndmask_b32_e64 v91, v69, v84, s15
	s_delay_alu instid0(VALU_DEP_4) | instskip(NEXT) | instid1(VALU_DEP_4)
	v_cndmask_b32_e64 v89, v89, v100, s22
	v_cndmask_b32_e64 v85, v85, v100, s13
	v_perm_b32 v69, v102, v101, 0x5040100
	v_perm_b32 v86, v87, v86, 0x5040100
	;; [unrolled: 1-line block ×3, first 2 shown]
	v_cndmask_b32_e64 v89, v89, v94, s24
	v_cndmask_b32_e64 v85, v85, v94, s16
	s_mul_i32 s8, s35, 9
	s_delay_alu instid0(VALU_DEP_2) | instskip(NEXT) | instid1(VALU_DEP_2)
	v_cndmask_b32_e64 v88, v89, v84, s27
	v_cndmask_b32_e64 v89, v85, v84, s18
	s_delay_alu instid0(VALU_DEP_2) | instskip(NEXT) | instid1(VALU_DEP_2)
	v_perm_b32 v85, v88, v90, 0x5040100
	v_perm_b32 v84, v89, v66, 0x5040100
	ds_store_b128 v76, v[69:72]
	ds_store_b128 v76, v[83:86] offset:1024
	v_cmpx_gt_u32_e32 9, v0
	s_cbranch_execz .LBB1846_78
; %bb.77:
	s_mul_i32 s4, s8, s30
	s_delay_alu instid0(SALU_CYCLE_1) | instskip(SKIP_1) | instid1(VALU_DEP_1)
	v_add3_u32 v69, s4, s31, v65
	s_load_b128 s[4:7], s[0:1], 0x58
	v_mad_u64_u32 v[65:66], null, v69, s34, s[14:15]
	s_delay_alu instid0(VALU_DEP_1) | instskip(NEXT) | instid1(VALU_DEP_1)
	v_ashrrev_i32_e32 v66, 31, v65
	v_lshlrev_b64 v[65:66], 2, v[65:66]
	s_waitcnt lgkmcnt(0)
	s_delay_alu instid0(VALU_DEP_1) | instskip(NEXT) | instid1(VALU_DEP_2)
	v_add_co_u32 v69, vcc_lo, s6, v65
	v_add_co_ci_u32_e32 v70, vcc_lo, s7, v66, vcc_lo
	v_add_co_u32 v65, vcc_lo, s4, v65
	v_add_co_ci_u32_e32 v66, vcc_lo, s5, v66, vcc_lo
	global_store_b32 v[69:70], v67, off
	global_store_b32 v[65:66], v68, off
.LBB1846_78:
	s_or_b32 exec_lo, exec_lo, s3
	s_waitcnt lgkmcnt(0)
	s_waitcnt_vscnt null, 0x0
	s_barrier
	buffer_gl0_inv
	ds_load_b128 v[83:86], v80
	ds_load_b128 v[87:90], v80 offset:16
	ds_load_b128 v[95:98], v80 offset:2064
	;; [unrolled: 1-line block ×3, first 2 shown]
	v_mov_b32_e32 v65, 0
	ds_load_b128 v[103:106], v80 offset:4112
	ds_load_b128 v[99:102], v80 offset:4096
	;; [unrolled: 1-line block ×4, first 2 shown]
	v_mov_b32_e32 v66, v65
	v_mov_b32_e32 v67, v65
	v_mov_b32_e32 v68, v65
	v_mov_b32_e32 v69, v65
	v_mov_b32_e32 v70, v65
	v_mov_b32_e32 v71, v65
	v_mov_b32_e32 v72, v65
	s_waitcnt lgkmcnt(6)
	s_delay_alu instid0(VALU_DEP_1)
	v_wmma_f32_16x16x16_bf16 v[65:72], v[49:56], v[83:90], v[65:72]
	ds_load_b128 v[53:56], v80 offset:8208
	ds_load_b128 v[49:52], v80 offset:8192
	s_waitcnt lgkmcnt(6)
	v_wmma_f32_16x16x16_bf16 v[65:72], v[41:48], v[91:98], v[65:72]
	ds_load_b128 v[45:48], v80 offset:10256
	ds_load_b128 v[41:44], v80 offset:10240
	s_waitcnt lgkmcnt(6)
	;; [unrolled: 4-line block ×4, first 2 shown]
	v_wmma_f32_16x16x16_bf16 v[65:72], v[1:8], v[49:56], v[65:72]
	s_waitcnt lgkmcnt(4)
	s_delay_alu instid0(VALU_DEP_1) | instskip(SKIP_1) | instid1(VALU_DEP_1)
	v_wmma_f32_16x16x16_bf16 v[65:72], v[9:16], v[41:48], v[65:72]
	s_waitcnt lgkmcnt(2)
	v_wmma_f32_16x16x16_bf16 v[65:72], v[17:24], v[33:40], v[65:72]
	s_waitcnt lgkmcnt(0)
	s_delay_alu instid0(VALU_DEP_1) | instskip(NEXT) | instid1(VALU_DEP_1)
	v_wmma_f32_16x16x16_bf16 v[65:72], v[57:64], v[25:32], v[65:72]
	v_and_b32_e32 v1, 0x7f800000, v65
	s_delay_alu instid0(VALU_DEP_1) | instskip(SKIP_1) | instid1(SALU_CYCLE_1)
	v_cmp_ne_u32_e32 vcc_lo, 0x7f800000, v1
                                        ; implicit-def: $vgpr1
	s_and_saveexec_b32 s3, vcc_lo
	s_xor_b32 s3, exec_lo, s3
; %bb.79:
	v_bfe_u32 v1, v65, 16, 1
	s_delay_alu instid0(VALU_DEP_1)
	v_add3_u32 v1, v65, v1, 0x7fff
; %bb.80:
	s_and_not1_saveexec_b32 s3, s3
; %bb.81:
	v_and_b32_e32 v1, 0xffff, v65
	v_or_b32_e32 v2, 0x10000, v65
	s_delay_alu instid0(VALU_DEP_2) | instskip(NEXT) | instid1(VALU_DEP_2)
	v_cmp_eq_u32_e32 vcc_lo, 0, v1
	v_cndmask_b32_e32 v1, v2, v65, vcc_lo
; %bb.82:
	s_or_b32 exec_lo, exec_lo, s3
	v_and_b32_e32 v2, 0x7f800000, v66
	s_delay_alu instid0(VALU_DEP_1) | instskip(SKIP_1) | instid1(SALU_CYCLE_1)
	v_cmp_ne_u32_e32 vcc_lo, 0x7f800000, v2
                                        ; implicit-def: $vgpr2
	s_and_saveexec_b32 s3, vcc_lo
	s_xor_b32 s3, exec_lo, s3
; %bb.83:
	v_bfe_u32 v2, v66, 16, 1
	s_delay_alu instid0(VALU_DEP_1)
	v_add3_u32 v2, v66, v2, 0x7fff
; %bb.84:
	s_and_not1_saveexec_b32 s3, s3
; %bb.85:
	v_and_b32_e32 v2, 0xffff, v66
	v_or_b32_e32 v3, 0x10000, v66
	s_delay_alu instid0(VALU_DEP_2) | instskip(NEXT) | instid1(VALU_DEP_2)
	v_cmp_eq_u32_e32 vcc_lo, 0, v2
	v_cndmask_b32_e32 v2, v3, v66, vcc_lo
; %bb.86:
	s_or_b32 exec_lo, exec_lo, s3
	v_and_b32_e32 v3, 0x7f800000, v67
	s_delay_alu instid0(VALU_DEP_1) | instskip(SKIP_1) | instid1(SALU_CYCLE_1)
	v_cmp_ne_u32_e32 vcc_lo, 0x7f800000, v3
                                        ; implicit-def: $vgpr3
	s_and_saveexec_b32 s3, vcc_lo
	s_xor_b32 s3, exec_lo, s3
; %bb.87:
	v_bfe_u32 v3, v67, 16, 1
	s_delay_alu instid0(VALU_DEP_1)
	v_add3_u32 v3, v67, v3, 0x7fff
; %bb.88:
	s_and_not1_saveexec_b32 s3, s3
; %bb.89:
	v_and_b32_e32 v3, 0xffff, v67
	v_or_b32_e32 v4, 0x10000, v67
	s_delay_alu instid0(VALU_DEP_2) | instskip(NEXT) | instid1(VALU_DEP_2)
	v_cmp_eq_u32_e32 vcc_lo, 0, v3
	v_cndmask_b32_e32 v3, v4, v67, vcc_lo
; %bb.90:
	s_or_b32 exec_lo, exec_lo, s3
	v_and_b32_e32 v4, 0x7f800000, v68
	s_delay_alu instid0(VALU_DEP_1) | instskip(SKIP_1) | instid1(SALU_CYCLE_1)
	v_cmp_ne_u32_e32 vcc_lo, 0x7f800000, v4
                                        ; implicit-def: $vgpr4
	s_and_saveexec_b32 s3, vcc_lo
	s_xor_b32 s3, exec_lo, s3
; %bb.91:
	v_bfe_u32 v4, v68, 16, 1
	s_delay_alu instid0(VALU_DEP_1)
	v_add3_u32 v4, v68, v4, 0x7fff
; %bb.92:
	s_and_not1_saveexec_b32 s3, s3
; %bb.93:
	v_and_b32_e32 v4, 0xffff, v68
	v_or_b32_e32 v5, 0x10000, v68
	s_delay_alu instid0(VALU_DEP_2) | instskip(NEXT) | instid1(VALU_DEP_2)
	v_cmp_eq_u32_e32 vcc_lo, 0, v4
	v_cndmask_b32_e32 v4, v5, v68, vcc_lo
; %bb.94:
	s_or_b32 exec_lo, exec_lo, s3
	v_and_b32_e32 v5, 0x7f800000, v69
	s_delay_alu instid0(VALU_DEP_1) | instskip(SKIP_1) | instid1(SALU_CYCLE_1)
	v_cmp_ne_u32_e32 vcc_lo, 0x7f800000, v5
                                        ; implicit-def: $vgpr5
	s_and_saveexec_b32 s3, vcc_lo
	s_xor_b32 s3, exec_lo, s3
; %bb.95:
	v_bfe_u32 v5, v69, 16, 1
	s_delay_alu instid0(VALU_DEP_1)
	v_add3_u32 v5, v69, v5, 0x7fff
; %bb.96:
	s_and_not1_saveexec_b32 s3, s3
; %bb.97:
	v_and_b32_e32 v5, 0xffff, v69
	v_or_b32_e32 v6, 0x10000, v69
	s_delay_alu instid0(VALU_DEP_2) | instskip(NEXT) | instid1(VALU_DEP_2)
	v_cmp_eq_u32_e32 vcc_lo, 0, v5
	v_cndmask_b32_e32 v5, v6, v69, vcc_lo
; %bb.98:
	s_or_b32 exec_lo, exec_lo, s3
	v_and_b32_e32 v6, 0x7f800000, v70
	s_delay_alu instid0(VALU_DEP_1) | instskip(SKIP_1) | instid1(SALU_CYCLE_1)
	v_cmp_ne_u32_e32 vcc_lo, 0x7f800000, v6
                                        ; implicit-def: $vgpr6
	s_and_saveexec_b32 s3, vcc_lo
	s_xor_b32 s3, exec_lo, s3
; %bb.99:
	v_bfe_u32 v6, v70, 16, 1
	s_delay_alu instid0(VALU_DEP_1)
	v_add3_u32 v6, v70, v6, 0x7fff
; %bb.100:
	s_and_not1_saveexec_b32 s3, s3
; %bb.101:
	v_and_b32_e32 v6, 0xffff, v70
	v_or_b32_e32 v7, 0x10000, v70
	s_delay_alu instid0(VALU_DEP_2) | instskip(NEXT) | instid1(VALU_DEP_2)
	v_cmp_eq_u32_e32 vcc_lo, 0, v6
	v_cndmask_b32_e32 v6, v7, v70, vcc_lo
; %bb.102:
	s_or_b32 exec_lo, exec_lo, s3
	v_and_b32_e32 v7, 0x7f800000, v71
	s_delay_alu instid0(VALU_DEP_1) | instskip(SKIP_1) | instid1(SALU_CYCLE_1)
	v_cmp_ne_u32_e32 vcc_lo, 0x7f800000, v7
                                        ; implicit-def: $vgpr7
	s_and_saveexec_b32 s3, vcc_lo
	s_xor_b32 s3, exec_lo, s3
; %bb.103:
	v_bfe_u32 v7, v71, 16, 1
	s_delay_alu instid0(VALU_DEP_1)
	v_add3_u32 v7, v71, v7, 0x7fff
; %bb.104:
	s_and_not1_saveexec_b32 s3, s3
; %bb.105:
	v_and_b32_e32 v7, 0xffff, v71
	v_or_b32_e32 v8, 0x10000, v71
	s_delay_alu instid0(VALU_DEP_2) | instskip(NEXT) | instid1(VALU_DEP_2)
	v_cmp_eq_u32_e32 vcc_lo, 0, v7
	v_cndmask_b32_e32 v7, v8, v71, vcc_lo
; %bb.106:
	s_or_b32 exec_lo, exec_lo, s3
	v_and_b32_e32 v8, 0x7f800000, v72
	s_delay_alu instid0(VALU_DEP_1) | instskip(SKIP_1) | instid1(SALU_CYCLE_1)
	v_cmp_ne_u32_e32 vcc_lo, 0x7f800000, v8
                                        ; implicit-def: $vgpr8
	s_and_saveexec_b32 s3, vcc_lo
	s_xor_b32 s3, exec_lo, s3
; %bb.107:
	v_bfe_u32 v8, v72, 16, 1
	s_delay_alu instid0(VALU_DEP_1)
	v_add3_u32 v8, v72, v8, 0x7fff
                                        ; implicit-def: $vgpr65_vgpr66_vgpr67_vgpr68_vgpr69_vgpr70_vgpr71_vgpr72
; %bb.108:
	s_and_not1_saveexec_b32 s3, s3
; %bb.109:
	v_and_b32_e32 v8, 0xffff, v72
	v_or_b32_e32 v9, 0x10000, v72
	s_delay_alu instid0(VALU_DEP_2) | instskip(NEXT) | instid1(VALU_DEP_2)
	v_cmp_eq_u32_e32 vcc_lo, 0, v8
	v_cndmask_b32_e32 v8, v9, v72, vcc_lo
; %bb.110:
	s_or_b32 exec_lo, exec_lo, s3
	s_delay_alu instid0(VALU_DEP_1)
	v_perm_b32 v7, v8, v7, 0x7060302
	v_perm_b32 v6, v6, v5, 0x7060302
	;; [unrolled: 1-line block ×4, first 2 shown]
	s_barrier
	buffer_gl0_inv
	v_cmp_eq_u32_e32 vcc_lo, 1, v78
	ds_store_b128 v76, v[4:7]
	s_waitcnt lgkmcnt(0)
	s_barrier
	buffer_gl0_inv
	ds_load_b128 v[1:4], v82
	ds_load_b128 v[5:8], v82 offset:16
	v_cmp_eq_u32_e64 s3, 1, v79
	v_cmp_eq_u32_e64 s4, 2, v78
	;; [unrolled: 1-line block ×5, first 2 shown]
	s_waitcnt lgkmcnt(1)
	v_lshrrev_b32_e32 v9, 16, v1
	s_waitcnt lgkmcnt(0)
	v_lshrrev_b32_e32 v13, 16, v5
	v_lshrrev_b32_e32 v10, 16, v2
	;; [unrolled: 1-line block ×4, first 2 shown]
	v_cndmask_b32_e64 v19, v1, v9, s3
	v_cndmask_b32_e32 v18, v5, v13, vcc_lo
	v_cndmask_b32_e64 v20, v5, v13, s3
	v_cndmask_b32_e32 v17, v1, v9, vcc_lo
	v_cmp_eq_u32_e32 vcc_lo, 2, v79
	v_lshrrev_b32_e32 v15, 16, v7
	v_cmp_eq_u32_e64 s3, 1, v77
	v_lshrrev_b32_e32 v12, 16, v4
	v_lshrrev_b32_e32 v16, 16, v8
	v_cndmask_b32_e32 v20, v20, v6, vcc_lo
	v_cndmask_b32_e64 v17, v17, v2, s4
	v_cndmask_b32_e32 v19, v19, v2, vcc_lo
	v_cndmask_b32_e64 v18, v18, v6, s4
	v_cmp_eq_u32_e32 vcc_lo, 4, v78
	v_cmp_eq_u32_e64 s4, 3, v79
	v_cndmask_b32_e64 v17, v17, v10, s5
	v_cndmask_b32_e64 v21, v1, v9, s3
	;; [unrolled: 1-line block ×5, first 2 shown]
	v_cndmask_b32_e32 v17, v17, v3, vcc_lo
	v_cndmask_b32_e64 v20, v20, v14, s4
	v_cndmask_b32_e32 v18, v18, v7, vcc_lo
	v_cmp_eq_u32_e32 vcc_lo, 4, v79
	v_cmp_eq_u32_e64 s4, 5, v79
	v_cmp_eq_u32_e64 s3, 2, v81
	v_cndmask_b32_e64 v21, v21, v2, s7
	v_cmp_eq_u32_e64 s5, 5, v78
	v_cndmask_b32_e32 v19, v19, v3, vcc_lo
	v_cndmask_b32_e32 v20, v20, v7, vcc_lo
	v_cmp_eq_u32_e32 vcc_lo, 6, v79
	s_delay_alu instid0(VALU_DEP_4) | instskip(NEXT) | instid1(VALU_DEP_4)
	v_cndmask_b32_e64 v17, v17, v11, s5
	v_cndmask_b32_e64 v19, v19, v11, s4
	s_delay_alu instid0(VALU_DEP_4) | instskip(SKIP_1) | instid1(VALU_DEP_3)
	v_cndmask_b32_e64 v20, v20, v15, s4
	v_cmp_eq_u32_e64 s4, 1, v81
	v_cndmask_b32_e32 v19, v19, v4, vcc_lo
	v_cndmask_b32_e64 v18, v18, v15, s5
	s_delay_alu instid0(VALU_DEP_3)
	v_cndmask_b32_e64 v1, v1, v9, s4
	v_cndmask_b32_e64 v5, v5, v13, s4
	v_cmp_eq_u32_e64 s4, 3, v77
	v_cndmask_b32_e64 v13, v22, v6, s7
	v_cmp_eq_u32_e64 s7, 3, v81
	v_cndmask_b32_e64 v1, v1, v2, s3
	v_cndmask_b32_e64 v2, v5, v6, s3
	;; [unrolled: 1-line block ×3, first 2 shown]
	v_cmp_eq_u32_e64 s3, 4, v77
	v_cndmask_b32_e64 v6, v13, v14, s4
	v_cndmask_b32_e64 v1, v1, v10, s7
	v_cmp_eq_u32_e64 s4, 4, v81
	v_cndmask_b32_e64 v2, v2, v14, s7
	v_cndmask_b32_e64 v5, v9, v3, s3
	;; [unrolled: 3-line block ×3, first 2 shown]
	v_cndmask_b32_e64 v2, v2, v7, s4
	v_cmp_eq_u32_e64 s3, 5, v81
	v_cmp_eq_u32_e64 s5, 6, v78
	v_cndmask_b32_e64 v5, v5, v11, s7
	v_cmp_eq_u32_e64 s4, 6, v77
	v_cndmask_b32_e64 v3, v6, v15, s7
	v_cndmask_b32_e64 v1, v1, v11, s3
	v_cmp_eq_u32_e64 s7, 6, v81
	v_cndmask_b32_e64 v2, v2, v15, s3
	v_cndmask_b32_e64 v17, v17, v4, s5
	v_cndmask_b32_e64 v18, v18, v8, s5
	v_cmp_eq_u32_e64 s5, 7, v78
	v_cndmask_b32_e64 v5, v5, v4, s4
	;; [unrolled: 4-line block ×3, first 2 shown]
	v_cmp_eq_u32_e64 s4, 7, v77
	v_cndmask_b32_e32 v4, v20, v8, vcc_lo
	v_cndmask_b32_e64 v17, v17, v12, s5
	v_cndmask_b32_e64 v19, v19, v12, s6
	;; [unrolled: 1-line block ×8, first 2 shown]
	s_mov_b32 s3, exec_lo
	v_perm_b32 v4, v2, v1, 0x5040100
	v_perm_b32 v3, v3, v5, 0x5040100
	;; [unrolled: 1-line block ×4, first 2 shown]
	ds_store_b128 v76, v[1:4]
	s_waitcnt lgkmcnt(0)
	s_barrier
	buffer_gl0_inv
	v_cmpx_gt_u32_e32 32, v0
	s_cbranch_execz .LBB1846_2
; %bb.111:
	s_load_b64 s[4:5], s[0:1], 0x68
	v_lshlrev_b32_e32 v0, 10, v0
	v_lshlrev_b32_e32 v1, 4, v75
	s_lshl_b32 s0, s34, 7
	v_add_nc_u32_e32 v2, s31, v74
	s_mul_i32 s1, s0, s30
	s_delay_alu instid0(SALU_CYCLE_1) | instskip(SKIP_1) | instid1(VALU_DEP_2)
	s_mul_i32 s6, s1, s8
	v_and_or_b32 v0, 0x3800, v0, v1
	v_mul_lo_u32 v1, v2, s0
	s_ashr_i32 s7, s6, 31
	v_add_nc_u32_e32 v3, 2, v2
	s_lshl_b64 s[6:7], s[6:7], 1
	v_add_nc_u32_e32 v4, 4, v2
	v_add_nc_u32_e32 v5, 6, v2
	v_lshl_or_b32 v15, v74, 6, v0
	v_mul_lo_u32 v3, v3, s0
	v_ashrrev_i32_e32 v2, 31, v1
	v_mul_lo_u32 v19, v4, s0
	v_mul_lo_u32 v21, v5, s0
	s_waitcnt lgkmcnt(0)
	s_add_u32 s1, s4, s6
	s_addc_u32 s3, s5, s7
	s_lshl_b32 s4, s14, 7
	v_lshlrev_b64 v[5:6], 1, v[1:2]
	s_ashr_i32 s5, s4, 31
	v_ashrrev_i32_e32 v4, 31, v3
	s_lshl_b64 s[4:5], s[4:5], 1
	v_ashrrev_i32_e32 v20, 31, v19
	s_add_u32 s1, s1, s4
	s_addc_u32 s3, s3, s5
	v_add_co_u32 v1, s1, s1, v73
	s_delay_alu instid0(VALU_DEP_1) | instskip(SKIP_1) | instid1(VALU_DEP_3)
	v_add_co_ci_u32_e64 v2, null, s3, 0, s1
	v_lshlrev_b64 v[25:26], 1, v[3:4]
	v_add_co_u32 v23, vcc_lo, v1, v5
	s_delay_alu instid0(VALU_DEP_3)
	v_add_co_ci_u32_e32 v24, vcc_lo, v2, v6, vcc_lo
	ds_load_b128 v[3:6], v15
	ds_load_b128 v[7:10], v15 offset:128
	ds_load_b128 v[11:14], v15 offset:256
	;; [unrolled: 1-line block ×3, first 2 shown]
	v_ashrrev_i32_e32 v22, 31, v21
	v_lshlrev_b64 v[19:20], 1, v[19:20]
	v_add_co_u32 v25, vcc_lo, v1, v25
	v_add_co_ci_u32_e32 v26, vcc_lo, v2, v26, vcc_lo
	s_delay_alu instid0(VALU_DEP_4) | instskip(NEXT) | instid1(VALU_DEP_4)
	v_lshlrev_b64 v[21:22], 1, v[21:22]
	v_add_co_u32 v19, vcc_lo, v1, v19
	v_add_co_ci_u32_e32 v20, vcc_lo, v2, v20, vcc_lo
	s_delay_alu instid0(VALU_DEP_3) | instskip(NEXT) | instid1(VALU_DEP_4)
	v_add_co_u32 v21, vcc_lo, v1, v21
	v_add_co_ci_u32_e32 v22, vcc_lo, v2, v22, vcc_lo
	s_waitcnt lgkmcnt(3)
	global_store_b128 v[23:24], v[3:6], off
	s_waitcnt lgkmcnt(2)
	global_store_b128 v[25:26], v[7:10], off
	;; [unrolled: 2-line block ×4, first 2 shown]
	s_and_b32 exec_lo, exec_lo, s2
	s_cbranch_execz .LBB1846_2
; %bb.112:
	ds_load_b128 v[3:6], v0 offset:512
	s_add_i32 s1, s31, 8
	s_delay_alu instid0(SALU_CYCLE_1) | instskip(NEXT) | instid1(SALU_CYCLE_1)
	s_mul_i32 s0, s1, s0
	s_ashr_i32 s1, s0, 31
	s_delay_alu instid0(SALU_CYCLE_1) | instskip(NEXT) | instid1(SALU_CYCLE_1)
	s_lshl_b64 s[0:1], s[0:1], 1
	v_add_co_u32 v0, vcc_lo, v1, s0
	v_add_co_ci_u32_e32 v1, vcc_lo, s1, v2, vcc_lo
	s_waitcnt lgkmcnt(0)
	global_store_b128 v[0:1], v[3:6], off
	s_nop 0
	s_sendmsg sendmsg(MSG_DEALLOC_VGPRS)
	s_endpgm
	.section	.rodata,"a",@progbits
	.p2align	6, 0x0
	.amdhsa_kernel _Z39paged_attention_ll4mi_QKV_mfma16_kernelI14__hip_bfloat16hLN4vllm18Fp8KVCacheDataTypeE1ES0_Li16ELi128ELi256ELb0ELi9EL8MFMAType0EEvPKT_PKT0_S9_ifPKiSB_SB_iPKfiiiPfSE_PS4_PT2_iSD_SD_
		.amdhsa_group_segment_fixed_size 17472
		.amdhsa_private_segment_fixed_size 0
		.amdhsa_kernarg_size 400
		.amdhsa_user_sgpr_count 13
		.amdhsa_user_sgpr_dispatch_ptr 0
		.amdhsa_user_sgpr_queue_ptr 0
		.amdhsa_user_sgpr_kernarg_segment_ptr 1
		.amdhsa_user_sgpr_dispatch_id 0
		.amdhsa_user_sgpr_private_segment_size 0
		.amdhsa_wavefront_size32 1
		.amdhsa_uses_dynamic_stack 0
		.amdhsa_enable_private_segment 0
		.amdhsa_system_sgpr_workgroup_id_x 1
		.amdhsa_system_sgpr_workgroup_id_y 1
		.amdhsa_system_sgpr_workgroup_id_z 1
		.amdhsa_system_sgpr_workgroup_info 0
		.amdhsa_system_vgpr_workitem_id 0
		.amdhsa_next_free_vgpr 140
		.amdhsa_next_free_sgpr 36
		.amdhsa_reserve_vcc 1
		.amdhsa_float_round_mode_32 0
		.amdhsa_float_round_mode_16_64 0
		.amdhsa_float_denorm_mode_32 3
		.amdhsa_float_denorm_mode_16_64 3
		.amdhsa_dx10_clamp 1
		.amdhsa_ieee_mode 1
		.amdhsa_fp16_overflow 0
		.amdhsa_workgroup_processor_mode 1
		.amdhsa_memory_ordered 1
		.amdhsa_forward_progress 0
		.amdhsa_shared_vgpr_count 0
		.amdhsa_exception_fp_ieee_invalid_op 0
		.amdhsa_exception_fp_denorm_src 0
		.amdhsa_exception_fp_ieee_div_zero 0
		.amdhsa_exception_fp_ieee_overflow 0
		.amdhsa_exception_fp_ieee_underflow 0
		.amdhsa_exception_fp_ieee_inexact 0
		.amdhsa_exception_int_div_zero 0
	.end_amdhsa_kernel
	.section	.text._Z39paged_attention_ll4mi_QKV_mfma16_kernelI14__hip_bfloat16hLN4vllm18Fp8KVCacheDataTypeE1ES0_Li16ELi128ELi256ELb0ELi9EL8MFMAType0EEvPKT_PKT0_S9_ifPKiSB_SB_iPKfiiiPfSE_PS4_PT2_iSD_SD_,"axG",@progbits,_Z39paged_attention_ll4mi_QKV_mfma16_kernelI14__hip_bfloat16hLN4vllm18Fp8KVCacheDataTypeE1ES0_Li16ELi128ELi256ELb0ELi9EL8MFMAType0EEvPKT_PKT0_S9_ifPKiSB_SB_iPKfiiiPfSE_PS4_PT2_iSD_SD_,comdat
.Lfunc_end1846:
	.size	_Z39paged_attention_ll4mi_QKV_mfma16_kernelI14__hip_bfloat16hLN4vllm18Fp8KVCacheDataTypeE1ES0_Li16ELi128ELi256ELb0ELi9EL8MFMAType0EEvPKT_PKT0_S9_ifPKiSB_SB_iPKfiiiPfSE_PS4_PT2_iSD_SD_, .Lfunc_end1846-_Z39paged_attention_ll4mi_QKV_mfma16_kernelI14__hip_bfloat16hLN4vllm18Fp8KVCacheDataTypeE1ES0_Li16ELi128ELi256ELb0ELi9EL8MFMAType0EEvPKT_PKT0_S9_ifPKiSB_SB_iPKfiiiPfSE_PS4_PT2_iSD_SD_
                                        ; -- End function
	.section	.AMDGPU.csdata,"",@progbits
; Kernel info:
; codeLenInByte = 8940
; NumSgprs: 38
; NumVgprs: 140
; ScratchSize: 0
; MemoryBound: 0
; FloatMode: 240
; IeeeMode: 1
; LDSByteSize: 17472 bytes/workgroup (compile time only)
; SGPRBlocks: 4
; VGPRBlocks: 17
; NumSGPRsForWavesPerEU: 38
; NumVGPRsForWavesPerEU: 140
; Occupancy: 10
; WaveLimiterHint : 1
; COMPUTE_PGM_RSRC2:SCRATCH_EN: 0
; COMPUTE_PGM_RSRC2:USER_SGPR: 13
; COMPUTE_PGM_RSRC2:TRAP_HANDLER: 0
; COMPUTE_PGM_RSRC2:TGID_X_EN: 1
; COMPUTE_PGM_RSRC2:TGID_Y_EN: 1
; COMPUTE_PGM_RSRC2:TGID_Z_EN: 1
; COMPUTE_PGM_RSRC2:TIDIG_COMP_CNT: 0
	.section	.text._Z39paged_attention_ll4mi_QKV_mfma16_kernelI14__hip_bfloat16hLN4vllm18Fp8KVCacheDataTypeE1ES0_Li16ELi128ELi256ELb0ELi10EL8MFMAType0EEvPKT_PKT0_S9_ifPKiSB_SB_iPKfiiiPfSE_PS4_PT2_iSD_SD_,"axG",@progbits,_Z39paged_attention_ll4mi_QKV_mfma16_kernelI14__hip_bfloat16hLN4vllm18Fp8KVCacheDataTypeE1ES0_Li16ELi128ELi256ELb0ELi10EL8MFMAType0EEvPKT_PKT0_S9_ifPKiSB_SB_iPKfiiiPfSE_PS4_PT2_iSD_SD_,comdat
	.protected	_Z39paged_attention_ll4mi_QKV_mfma16_kernelI14__hip_bfloat16hLN4vllm18Fp8KVCacheDataTypeE1ES0_Li16ELi128ELi256ELb0ELi10EL8MFMAType0EEvPKT_PKT0_S9_ifPKiSB_SB_iPKfiiiPfSE_PS4_PT2_iSD_SD_ ; -- Begin function _Z39paged_attention_ll4mi_QKV_mfma16_kernelI14__hip_bfloat16hLN4vllm18Fp8KVCacheDataTypeE1ES0_Li16ELi128ELi256ELb0ELi10EL8MFMAType0EEvPKT_PKT0_S9_ifPKiSB_SB_iPKfiiiPfSE_PS4_PT2_iSD_SD_
	.globl	_Z39paged_attention_ll4mi_QKV_mfma16_kernelI14__hip_bfloat16hLN4vllm18Fp8KVCacheDataTypeE1ES0_Li16ELi128ELi256ELb0ELi10EL8MFMAType0EEvPKT_PKT0_S9_ifPKiSB_SB_iPKfiiiPfSE_PS4_PT2_iSD_SD_
	.p2align	8
	.type	_Z39paged_attention_ll4mi_QKV_mfma16_kernelI14__hip_bfloat16hLN4vllm18Fp8KVCacheDataTypeE1ES0_Li16ELi128ELi256ELb0ELi10EL8MFMAType0EEvPKT_PKT0_S9_ifPKiSB_SB_iPKfiiiPfSE_PS4_PT2_iSD_SD_,@function
_Z39paged_attention_ll4mi_QKV_mfma16_kernelI14__hip_bfloat16hLN4vllm18Fp8KVCacheDataTypeE1ES0_Li16ELi128ELi256ELb0ELi10EL8MFMAType0EEvPKT_PKT0_S9_ifPKiSB_SB_iPKfiiiPfSE_PS4_PT2_iSD_SD_: ; @_Z39paged_attention_ll4mi_QKV_mfma16_kernelI14__hip_bfloat16hLN4vllm18Fp8KVCacheDataTypeE1ES0_Li16ELi128ELi256ELb0ELi10EL8MFMAType0EEvPKT_PKT0_S9_ifPKiSB_SB_iPKfiiiPfSE_PS4_PT2_iSD_SD_
; %bb.0:
	s_load_b64 s[4:5], s[0:1], 0x30
	s_mov_b32 s30, s13
	s_waitcnt lgkmcnt(0)
	s_cmp_lg_u64 s[4:5], 0
	s_cselect_b32 s13, -1, 0
	s_ashr_i32 s31, s30, 31
	s_cmp_eq_u64 s[4:5], 0
	s_cbranch_scc1 .LBB1847_3
; %bb.1:
	s_lshl_b64 s[2:3], s[30:31], 2
	s_delay_alu instid0(SALU_CYCLE_1) | instskip(SKIP_4) | instid1(SALU_CYCLE_1)
	s_add_u32 s2, s4, s2
	s_addc_u32 s3, s5, s3
	s_load_b64 s[2:3], s[2:3], 0x0
	s_waitcnt lgkmcnt(0)
	s_sub_i32 s2, s3, s2
	s_cmp_eq_u32 s2, 1
	s_cselect_b32 s2, -1, 0
	s_delay_alu instid0(SALU_CYCLE_1)
	s_and_not1_b32 vcc_lo, exec_lo, s2
	s_cbranch_vccz .LBB1847_4
.LBB1847_2:
	s_endpgm
.LBB1847_3:
.LBB1847_4:
	s_load_b64 s[2:3], s[0:1], 0x28
	s_lshl_b64 s[6:7], s[30:31], 2
	s_waitcnt lgkmcnt(0)
	s_add_u32 s2, s2, s6
	s_addc_u32 s3, s3, s7
	s_lshl_b32 s12, s14, 8
	s_load_b32 s17, s[2:3], 0x0
	s_waitcnt lgkmcnt(0)
	s_cmp_ge_i32 s12, s17
	s_cbranch_scc1 .LBB1847_2
; %bb.5:
	s_clause 0x1
	s_load_b128 s[8:11], s[0:1], 0x8
	s_load_b64 s[2:3], s[0:1], 0x20
	s_and_not1_b32 vcc_lo, exec_lo, s13
	s_cbranch_vccnz .LBB1847_7
; %bb.6:
	s_add_u32 s4, s4, s6
	s_addc_u32 s5, s5, s7
	s_load_b32 s13, s[4:5], 0x0
	s_branch .LBB1847_8
.LBB1847_7:
	s_mov_b32 s13, s30
.LBB1847_8:
	s_load_b128 s[4:7], s[0:1], 0x48
	v_and_b32_e32 v65, 15, v0
	v_lshrrev_b32_e32 v66, 5, v0
	v_and_b32_e32 v67, 31, v0
	v_and_b32_e32 v75, 1, v0
	v_bfe_u32 v74, v0, 4, 1
	v_lshlrev_b32_e32 v1, 3, v65
	s_mul_i32 s29, s15, 10
	s_waitcnt lgkmcnt(0)
	s_mov_b32 s7, exec_lo
	s_delay_alu instid0(VALU_DEP_1)
	v_lshlrev_b32_e32 v73, 1, v1
	v_cmpx_gt_u32_e32 0xa0, v0
	s_cbranch_execz .LBB1847_10
; %bb.9:
	s_load_b64 s[18:19], s[0:1], 0x0
	v_lshl_or_b32 v5, v66, 1, v74
	s_mul_hi_i32 s21, s13, s4
	s_mul_i32 s20, s13, s4
	v_lshlrev_b32_e32 v6, 10, v65
	s_lshl_b64 s[20:21], s[20:21], 1
	v_add_lshl_u32 v1, v5, s29, 7
	v_lshlrev_b32_e32 v5, 6, v5
	v_lshlrev_b32_e32 v7, 10, v75
	v_and_b32_e32 v6, 0x3800, v6
	s_delay_alu instid0(VALU_DEP_4) | instskip(NEXT) | instid1(VALU_DEP_2)
	v_ashrrev_i32_e32 v2, 31, v1
	v_or3_b32 v5, v6, v7, v5
	s_delay_alu instid0(VALU_DEP_2) | instskip(SKIP_3) | instid1(VALU_DEP_1)
	v_lshlrev_b64 v[1:2], 1, v[1:2]
	s_waitcnt lgkmcnt(0)
	s_add_u32 s4, s18, s20
	s_addc_u32 s13, s19, s21
	v_add_co_u32 v1, vcc_lo, s4, v1
	s_delay_alu instid0(VALU_DEP_2) | instskip(NEXT) | instid1(VALU_DEP_2)
	v_add_co_ci_u32_e32 v2, vcc_lo, s13, v2, vcc_lo
	v_add_co_u32 v1, vcc_lo, v1, v73
	s_delay_alu instid0(VALU_DEP_2)
	v_add_co_ci_u32_e32 v2, vcc_lo, 0, v2, vcc_lo
	global_load_b128 v[1:4], v[1:2], off
	s_waitcnt vmcnt(0)
	ds_store_b128 v5, v[1:4]
.LBB1847_10:
	s_or_b32 exec_lo, exec_lo, s7
	v_and_b32_e32 v1, 0xef, v0
	s_add_i32 s4, s17, 15
	s_clause 0x1
	s_load_b32 s7, s[0:1], 0x38
	s_load_b32 s18, s[0:1], 0x1c
	s_ashr_i32 s13, s4, 31
	v_add_nc_u32_e32 v1, s12, v1
	s_lshr_b32 s13, s13, 28
	s_waitcnt lgkmcnt(0)
	s_add_i32 s4, s4, s13
	s_barrier
	v_ashrrev_i32_e32 v2, 31, v1
	v_or_b32_e32 v3, 16, v1
	s_ashr_i32 s4, s4, 4
	v_cmp_gt_i32_e32 vcc_lo, s17, v1
	s_add_i32 s4, s4, -1
	v_lshrrev_b32_e32 v2, 28, v2
	buffer_gl0_inv
	s_mul_i32 s15, s15, s6
	v_add_nc_u32_e32 v4, v1, v2
	s_mul_i32 s20, s30, s7
	s_delay_alu instid0(SALU_CYCLE_1) | instskip(NEXT) | instid1(VALU_DEP_1)
	s_ashr_i32 s21, s20, 31
	v_ashrrev_i32_e32 v4, 4, v4
	v_add_nc_u32_e32 v2, v3, v2
	s_lshl_b64 s[20:21], s[20:21], 2
	s_delay_alu instid0(SALU_CYCLE_1) | instskip(NEXT) | instid1(VALU_DEP_2)
	s_add_u32 s13, s2, s20
	v_cndmask_b32_e32 v1, s4, v4, vcc_lo
	s_delay_alu instid0(VALU_DEP_2)
	v_ashrrev_i32_e32 v2, 4, v2
	v_cmp_gt_i32_e32 vcc_lo, s17, v3
	s_addc_u32 s16, s3, s21
	s_ashr_i32 s19, s15, 31
	s_add_u32 s26, s8, s15
	s_addc_u32 s27, s9, s19
	v_cndmask_b32_e32 v3, s4, v2, vcc_lo
	v_ashrrev_i32_e32 v2, 31, v1
	s_lshl_b32 s2, s14, 4
	s_delay_alu instid0(SALU_CYCLE_1) | instskip(NEXT) | instid1(VALU_DEP_2)
	s_ashr_i32 s3, s2, 31
	v_ashrrev_i32_e32 v4, 31, v3
	s_delay_alu instid0(VALU_DEP_2) | instskip(SKIP_1) | instid1(SALU_CYCLE_1)
	v_lshlrev_b64 v[1:2], 2, v[1:2]
	s_lshl_b64 s[2:3], s[2:3], 2
	s_add_u32 s2, s13, s2
	s_delay_alu instid0(VALU_DEP_2) | instskip(SKIP_1) | instid1(VALU_DEP_2)
	v_lshlrev_b64 v[3:4], 2, v[3:4]
	s_addc_u32 s3, s16, s3
	v_add_co_u32 v1, vcc_lo, s13, v1
	v_add_co_ci_u32_e32 v2, vcc_lo, s16, v2, vcc_lo
	s_delay_alu instid0(VALU_DEP_3) | instskip(NEXT) | instid1(VALU_DEP_4)
	v_add_co_u32 v3, vcc_lo, s13, v3
	v_add_co_ci_u32_e32 v4, vcc_lo, s16, v4, vcc_lo
	s_clause 0x1
	global_load_b32 v5, v[1:2], off
	global_load_b32 v3, v[3:4], off
	s_or_b32 s6, s12, 32
	v_cmp_gt_u32_e32 vcc_lo, 10, v65
	s_ashr_i32 s7, s6, 4
	s_cmp_lt_i32 s6, s17
	s_cselect_b32 s6, s7, s4
	s_delay_alu instid0(SALU_CYCLE_1) | instskip(NEXT) | instid1(SALU_CYCLE_1)
	s_ashr_i32 s7, s6, 31
	s_lshl_b64 s[6:7], s[6:7], 2
	s_delay_alu instid0(SALU_CYCLE_1) | instskip(SKIP_2) | instid1(SALU_CYCLE_1)
	s_add_u32 s6, s13, s6
	s_addc_u32 s7, s16, s7
	s_or_b32 s8, s12, 64
	s_ashr_i32 s9, s8, 4
	s_cmp_lt_i32 s8, s17
	s_cselect_b32 s8, s9, s4
	s_delay_alu instid0(SALU_CYCLE_1) | instskip(NEXT) | instid1(SALU_CYCLE_1)
	s_ashr_i32 s9, s8, 31
	s_lshl_b64 s[8:9], s[8:9], 2
	s_delay_alu instid0(SALU_CYCLE_1) | instskip(SKIP_2) | instid1(SALU_CYCLE_1)
	s_add_u32 s8, s13, s8
	s_addc_u32 s9, s16, s9
	s_or_b32 s20, s12, 0x60
	s_ashr_i32 s21, s20, 4
	s_cmp_lt_i32 s20, s17
	s_cselect_b32 s20, s21, s4
	s_delay_alu instid0(SALU_CYCLE_1) | instskip(NEXT) | instid1(SALU_CYCLE_1)
	s_ashr_i32 s21, s20, 31
	s_lshl_b64 s[20:21], s[20:21], 2
	s_delay_alu instid0(SALU_CYCLE_1) | instskip(SKIP_2) | instid1(SALU_CYCLE_1)
	s_add_u32 s20, s13, s20
	s_addc_u32 s21, s16, s21
	s_or_b32 s22, s12, 0x80
	s_ashr_i32 s23, s22, 4
	s_cmp_lt_i32 s22, s17
	s_cselect_b32 s22, s23, s4
	s_delay_alu instid0(SALU_CYCLE_1) | instskip(NEXT) | instid1(SALU_CYCLE_1)
	s_ashr_i32 s23, s22, 31
	s_lshl_b64 s[22:23], s[22:23], 2
	s_delay_alu instid0(SALU_CYCLE_1) | instskip(SKIP_2) | instid1(SALU_CYCLE_1)
	s_add_u32 s22, s13, s22
	s_addc_u32 s23, s16, s23
	s_or_b32 s24, s12, 0xa0
	s_ashr_i32 s25, s24, 4
	s_cmp_lt_i32 s24, s17
	s_cselect_b32 s24, s25, s4
	s_delay_alu instid0(SALU_CYCLE_1) | instskip(NEXT) | instid1(SALU_CYCLE_1)
	s_ashr_i32 s25, s24, 31
	s_lshl_b64 s[24:25], s[24:25], 2
	s_delay_alu instid0(SALU_CYCLE_1)
	s_add_u32 s24, s13, s24
	s_addc_u32 s25, s16, s25
	s_clause 0x5
	s_load_b32 s28, s[2:3], 0x0
	s_load_b32 s31, s[6:7], 0x0
	;; [unrolled: 1-line block ×6, first 2 shown]
	s_mov_b32 s20, 0
	s_or_b32 s2, s12, 0xc0
	s_mov_b32 s21, s20
	s_mov_b32 s22, s20
	s_mov_b32 s23, s20
	s_mov_b32 s24, s20
	s_mov_b32 s25, s20
	v_lshlrev_b32_e32 v1, 4, v0
	s_ashr_i32 s3, s2, 4
	s_cmp_lt_i32 s2, s17
	s_cselect_b32 s2, s3, s4
	s_delay_alu instid0(VALU_DEP_1) | instskip(SKIP_1) | instid1(SALU_CYCLE_1)
	v_and_b32_e32 v1, 0xf0, v1
	s_ashr_i32 s3, s2, 31
	s_lshl_b64 s[2:3], s[2:3], 2
	s_delay_alu instid0(VALU_DEP_1) | instskip(NEXT) | instid1(VALU_DEP_1)
	v_add_co_u32 v1, s26, s26, v1
	v_add_co_ci_u32_e64 v2, null, s27, 0, s26
	s_add_u32 s2, s13, s2
	s_addc_u32 s3, s16, s3
	s_or_b32 s6, s12, 0xe0
	s_mov_b32 s27, s20
	s_ashr_i32 s7, s6, 4
	s_cmp_lt_i32 s6, s17
	s_mov_b32 s26, s20
	v_dual_mov_b32 v107, s27 :: v_dual_mov_b32 v100, s20
	s_cselect_b32 s6, s7, s4
	v_mov_b32_e32 v106, s26
	s_ashr_i32 s7, s6, 31
	v_mov_b32_e32 v104, s24
	s_lshl_b64 s[6:7], s[6:7], 2
	v_dual_mov_b32 v103, s23 :: v_dual_mov_b32 v102, s22
	v_mov_b32_e32 v101, s21
	s_waitcnt vmcnt(1)
	v_mad_i64_i32 v[33:34], null, v5, s5, v[1:2]
	s_waitcnt vmcnt(0)
	v_mad_i64_i32 v[35:36], null, v3, s5, v[1:2]
	s_clause 0xf
	global_load_b128 v[1:4], v[33:34], off
	global_load_b128 v[5:8], v[33:34], off offset:256
	global_load_b128 v[9:12], v[35:36], off
	global_load_b128 v[13:16], v[35:36], off offset:256
	global_load_b128 v[17:20], v[33:34], off offset:512
	global_load_b128 v[21:24], v[33:34], off offset:768
	global_load_b128 v[25:28], v[35:36], off offset:512
	global_load_b128 v[29:32], v[35:36], off offset:768
	global_load_b128 v[57:60], v[33:34], off offset:1024
	global_load_b128 v[61:64], v[33:34], off offset:1280
	global_load_b128 v[76:79], v[35:36], off offset:1024
	global_load_b128 v[80:83], v[35:36], off offset:1280
	global_load_b128 v[84:87], v[33:34], off offset:1536
	global_load_b128 v[88:91], v[33:34], off offset:1792
	global_load_b128 v[92:95], v[35:36], off offset:1536
	global_load_b128 v[96:99], v[35:36], off offset:1792
	v_add_nc_u32_e32 v33, -10, v65
	v_lshlrev_b32_e32 v34, 4, v65
	s_delay_alu instid0(VALU_DEP_2) | instskip(SKIP_1) | instid1(VALU_DEP_3)
	v_cndmask_b32_e32 v33, v33, v65, vcc_lo
	v_mov_b32_e32 v105, s25
	v_lshl_or_b32 v41, v66, 8, v34
	s_delay_alu instid0(VALU_DEP_3)
	v_lshlrev_b32_e32 v72, 6, v33
	ds_load_b128 v[33:36], v72
	ds_load_b128 v[37:40], v72 offset:1024
	ds_load_b128 v[108:111], v72 offset:2048
	;; [unrolled: 1-line block ×3, first 2 shown]
	s_load_b32 s4, s[2:3], 0x0
	s_add_u32 s2, s13, s6
	s_addc_u32 s3, s16, s7
	ds_load_b128 v[116:119], v72 offset:4096
	ds_load_b128 v[120:123], v72 offset:5120
	s_load_b32 s2, s[2:3], 0x0
	s_add_u32 s6, s10, s15
	s_addc_u32 s7, s11, s19
	v_add_co_u32 v68, s6, s6, v41
	s_delay_alu instid0(VALU_DEP_1) | instskip(SKIP_1) | instid1(VALU_DEP_1)
	v_add_co_ci_u32_e64 v69, null, s7, 0, s6
	s_waitcnt lgkmcnt(0)
	v_mad_i64_i32 v[41:42], null, s28, s5, v[68:69]
	v_mad_i64_i32 v[70:71], null, s8, s5, v[68:69]
	;; [unrolled: 1-line block ×7, first 2 shown]
	s_clause 0x3
	global_load_b128 v[49:52], v[41:42], off
	global_load_b128 v[53:56], v[41:42], off offset:16
	global_load_b128 v[41:44], v[45:46], off
	global_load_b128 v[45:48], v[45:46], off offset:16
	s_waitcnt vmcnt(18)
	v_wmma_f32_16x16x16_bf16 v[124:131], v[1:8], v[33:40], v[100:107]
	s_waitcnt vmcnt(16)
	v_wmma_f32_16x16x16_bf16 v[100:107], v[9:16], v[33:40], v[100:107]
	s_clause 0x1
	global_load_b128 v[33:36], v[70:71], off
	global_load_b128 v[37:40], v[70:71], off offset:16
	v_mad_i64_i32 v[70:71], null, s2, s5, v[68:69]
	s_waitcnt vmcnt(16)
	v_wmma_f32_16x16x16_bf16 v[124:131], v[17:24], v[108:115], v[124:131]
	s_waitcnt vmcnt(14)
	v_wmma_f32_16x16x16_bf16 v[100:107], v[25:32], v[108:115], v[100:107]
	s_clause 0x7
	global_load_b128 v[25:28], v[132:133], off
	global_load_b128 v[29:32], v[132:133], off offset:16
	global_load_b128 v[1:4], v[134:135], off
	global_load_b128 v[5:8], v[134:135], off offset:16
	global_load_b128 v[9:12], v[136:137], off
	global_load_b128 v[13:16], v[136:137], off offset:16
	global_load_b128 v[17:20], v[138:139], off
	global_load_b128 v[21:24], v[138:139], off offset:16
	s_waitcnt vmcnt(20)
	v_wmma_f32_16x16x16_bf16 v[124:131], v[57:64], v[116:123], v[124:131]
	s_clause 0x1
	global_load_b128 v[57:60], v[70:71], off
	global_load_b128 v[61:64], v[70:71], off offset:16
	s_waitcnt vmcnt(20)
	v_wmma_f32_16x16x16_bf16 v[100:107], v[76:83], v[116:123], v[100:107]
	ds_load_b128 v[76:79], v72 offset:6144
	ds_load_b128 v[80:83], v72 offset:7168
	v_and_b32_e32 v68, 0xe0, v0
	v_mbcnt_lo_u32_b32 v69, -1, 0
	s_waitcnt vmcnt(0) lgkmcnt(0)
	s_barrier
	buffer_gl0_inv
	v_add_nc_u32_e32 v68, s12, v68
	v_xor_b32_e32 v70, 16, v69
	s_delay_alu instid0(VALU_DEP_2) | instskip(NEXT) | instid1(VALU_DEP_2)
	v_or_b32_e32 v68, v68, v74
	v_cmp_gt_i32_e32 vcc_lo, 32, v70
	s_delay_alu instid0(VALU_DEP_2)
	v_or_b32_e32 v71, 4, v68
	v_or_b32_e32 v72, 6, v68
	v_cmp_gt_i32_e64 s2, s17, v68
	v_or_b32_e32 v108, 8, v68
	v_wmma_f32_16x16x16_bf16 v[124:131], v[84:91], v[76:83], v[124:131]
	v_cndmask_b32_e32 v69, v69, v70, vcc_lo
	v_or_b32_e32 v70, 2, v68
	v_wmma_f32_16x16x16_bf16 v[100:107], v[92:99], v[76:83], v[100:107]
	v_or_b32_e32 v109, 10, v68
	v_dual_mul_f32 v82, s18, v127 :: v_dual_mul_f32 v79, s18, v130
	v_dual_mul_f32 v92, s18, v125 :: v_dual_mul_f32 v93, s18, v124
	s_delay_alu instid0(VALU_DEP_4)
	v_mul_f32_e32 v98, s18, v103
	v_cmp_gt_i32_e32 vcc_lo, s17, v70
	v_or_b32_e32 v89, 22, v68
	v_dual_mul_f32 v83, s18, v126 :: v_dual_mul_f32 v96, s18, v105
	v_cndmask_b32_e64 v93, 0xff7fffff, v93, s2
	v_cndmask_b32_e32 v92, 0xff7fffff, v92, vcc_lo
	v_cmp_gt_i32_e64 s3, s17, v71
	v_cmp_gt_i32_e64 s4, s17, v72
	v_or_b32_e32 v84, 12, v68
	v_or_b32_e32 v85, 14, v68
	v_dual_mul_f32 v80, s18, v129 :: v_dual_mul_f32 v81, s18, v128
	v_mul_f32_e32 v94, s18, v107
	v_cndmask_b32_e64 v71, 0xff7fffff, v83, s3
	v_cndmask_b32_e64 v72, 0xff7fffff, v82, s4
	v_cmp_gt_i32_e64 s5, s17, v108
	v_cmp_gt_i32_e64 s6, s17, v109
	;; [unrolled: 1-line block ×3, first 2 shown]
	v_lshlrev_b32_e32 v89, 2, v69
	v_max3_f32 v82, v93, 0xff7fffff, v92
	v_or_b32_e32 v86, 16, v68
	v_or_b32_e32 v87, 18, v68
	v_mul_f32_e32 v78, s18, v131
	v_cndmask_b32_e64 v81, 0xff7fffff, v81, s5
	v_cndmask_b32_e64 v80, 0xff7fffff, v80, s6
	v_max3_f32 v71, v82, v71, v72
	v_cmp_gt_i32_e64 s7, s17, v84
	v_cmp_gt_i32_e64 s8, s17, v85
	v_or_b32_e32 v88, 20, v68
	v_or_b32_e32 v90, 24, v68
	;; [unrolled: 1-line block ×5, first 2 shown]
	v_dual_mul_f32 v95, s18, v106 :: v_dual_mul_f32 v70, s18, v101
	v_dual_mul_f32 v99, s18, v102 :: v_dual_mul_f32 v68, s18, v100
	v_cndmask_b32_e64 v72, 0xff7fffff, v79, s7
	v_cndmask_b32_e64 v78, 0xff7fffff, v78, s8
	v_max3_f32 v71, v71, v81, v80
	v_cmp_gt_i32_e64 s9, s17, v86
	v_cmp_gt_i32_e64 s10, s17, v87
	;; [unrolled: 1-line block ×3, first 2 shown]
	v_mul_f32_e32 v97, s18, v104
	v_max3_f32 v71, v71, v72, v78
	v_cndmask_b32_e64 v68, 0xff7fffff, v68, s9
	v_cndmask_b32_e64 v70, 0xff7fffff, v70, s10
	;; [unrolled: 1-line block ×4, first 2 shown]
	v_cmp_gt_i32_e64 s13, s17, v90
	v_cmp_gt_i32_e64 s15, s17, v91
	v_max3_f32 v68, v71, v68, v70
	v_cmp_gt_i32_e64 s16, s17, v76
	v_cmp_gt_i32_e64 s17, s17, v77
	v_cndmask_b32_e64 v70, 0xff7fffff, v97, s13
	v_cndmask_b32_e64 v71, 0xff7fffff, v96, s15
	v_max3_f32 v68, v68, v72, v78
	v_cndmask_b32_e64 v72, 0xff7fffff, v95, s16
	v_cndmask_b32_e64 v76, 0xff7fffff, v94, s17
	s_delay_alu instid0(VALU_DEP_3) | instskip(NEXT) | instid1(VALU_DEP_1)
	v_max3_f32 v68, v68, v70, v71
	v_max3_f32 v68, v68, v72, v76
	ds_bpermute_b32 v69, v89, v68
	s_waitcnt lgkmcnt(0)
	v_max_f32_e32 v69, v69, v69
	s_delay_alu instid0(VALU_DEP_1) | instskip(NEXT) | instid1(VALU_DEP_1)
	v_max_f32_e32 v68, v68, v69
	v_fma_f32 v69, s18, v124, -v68
	v_fma_f32 v70, s18, v125, -v68
	;; [unrolled: 1-line block ×5, first 2 shown]
	s_delay_alu instid0(VALU_DEP_4) | instskip(NEXT) | instid1(VALU_DEP_4)
	v_dual_mul_f32 v69, 0x3fb8aa3b, v69 :: v_dual_mul_f32 v70, 0x3fb8aa3b, v70
	v_mul_f32_e32 v72, 0x3fb8aa3b, v72
	v_fma_f32 v78, s18, v130, -v68
	s_delay_alu instid0(VALU_DEP_4) | instskip(NEXT) | instid1(VALU_DEP_4)
	v_mul_f32_e32 v77, 0x3fb8aa3b, v76
	v_exp_f32_e32 v69, v69
	v_exp_f32_e32 v70, v70
	v_mul_f32_e32 v71, 0x3fb8aa3b, v71
	v_exp_f32_e32 v72, v72
	v_mul_f32_e32 v78, 0x3fb8aa3b, v78
	v_exp_f32_e32 v77, v77
	v_fma_f32 v81, s18, v105, -v68
	s_delay_alu instid0(VALU_DEP_2)
	v_exp_f32_e32 v78, v78
	v_cndmask_b32_e64 v80, 0, v69, s2
	v_cndmask_b32_e32 v76, 0, v70, vcc_lo
	v_exp_f32_e32 v71, v71
	v_fma_f32 v69, s18, v129, -v68
	v_cndmask_b32_e64 v85, 0, v72, s4
	v_add_f32_e32 v70, 0, v80
	s_delay_alu instid0(TRANS32_DEP_3)
	v_cndmask_b32_e64 v86, 0, v77, s5
	v_fma_f32 v77, s18, v101, -v68
	v_mul_f32_e32 v69, 0x3fb8aa3b, v69
	v_fma_f32 v72, s18, v100, -v68
	v_cndmask_b32_e64 v84, 0, v78, s7
	v_fma_f32 v78, s18, v103, -v68
	v_cndmask_b32_e64 v83, 0, v71, s3
	v_fma_f32 v71, s18, v131, -v68
	v_add_f32_e32 v70, v70, v76
	v_exp_f32_e32 v69, v69
	v_mul_f32_e32 v77, 0x3fb8aa3b, v77
	v_mul_f32_e32 v81, 0x3fb8aa3b, v81
	;; [unrolled: 1-line block ×3, first 2 shown]
	v_add_f32_e32 v70, v70, v83
	s_mov_b32 s2, exec_lo
	v_exp_f32_e32 v77, v77
	v_exp_f32_e32 v81, v81
	;; [unrolled: 1-line block ×3, first 2 shown]
	v_cndmask_b32_e64 v87, 0, v69, s6
	v_add_f32_e32 v70, v70, v85
	s_delay_alu instid0(VALU_DEP_1) | instskip(SKIP_1) | instid1(VALU_DEP_2)
	v_dual_mul_f32 v72, 0x3fb8aa3b, v72 :: v_dual_add_f32 v69, v70, v86
	v_fma_f32 v70, s18, v102, -v68
	v_exp_f32_e32 v72, v72
	s_waitcnt_depctr 0xfff
	v_cndmask_b32_e64 v88, 0, v71, s8
	v_fma_f32 v71, s18, v104, -v68
	v_dual_add_f32 v69, v69, v87 :: v_dual_mul_f32 v70, 0x3fb8aa3b, v70
	s_delay_alu instid0(VALU_DEP_2) | instskip(NEXT) | instid1(VALU_DEP_2)
	v_dual_mul_f32 v78, 0x3fb8aa3b, v78 :: v_dual_mul_f32 v71, 0x3fb8aa3b, v71
	v_add_f32_e32 v69, v69, v84
	s_delay_alu instid0(VALU_DEP_3) | instskip(SKIP_1) | instid1(VALU_DEP_3)
	v_exp_f32_e32 v79, v70
	v_cndmask_b32_e64 v70, 0, v72, s9
	v_exp_f32_e32 v78, v78
	v_exp_f32_e32 v82, v71
	v_add_f32_e32 v72, v69, v88
	v_cndmask_b32_e64 v69, 0, v77, s10
	v_fma_f32 v77, s18, v106, -v68
	s_delay_alu instid0(VALU_DEP_3) | instskip(NEXT) | instid1(TRANS32_DEP_3)
	v_add_f32_e32 v72, v72, v70
	v_cndmask_b32_e64 v71, 0, v79, s11
	s_delay_alu instid0(VALU_DEP_3) | instskip(NEXT) | instid1(VALU_DEP_3)
	v_mul_f32_e32 v77, 0x3fb8aa3b, v77
	v_add_f32_e32 v79, v72, v69
	s_delay_alu instid0(TRANS32_DEP_2) | instskip(NEXT) | instid1(VALU_DEP_3)
	v_cndmask_b32_e64 v72, 0, v78, s12
	v_exp_f32_e32 v90, v77
	v_cndmask_b32_e64 v77, 0, v82, s13
	s_delay_alu instid0(VALU_DEP_3) | instskip(SKIP_1) | instid1(VALU_DEP_1)
	v_add_f32_e32 v78, v79, v71
	v_fma_f32 v79, s18, v107, -v68
	v_dual_add_f32 v82, v78, v72 :: v_dual_mul_f32 v79, 0x3fb8aa3b, v79
	v_cndmask_b32_e64 v78, 0, v81, s15
	s_delay_alu instid0(VALU_DEP_2) | instskip(NEXT) | instid1(VALU_DEP_3)
	v_add_f32_e32 v81, v82, v77
	v_exp_f32_e32 v82, v79
	s_delay_alu instid0(TRANS32_DEP_2) | instskip(NEXT) | instid1(VALU_DEP_2)
	v_cndmask_b32_e64 v79, 0, v90, s16
	v_add_f32_e32 v81, v81, v78
	s_delay_alu instid0(VALU_DEP_1) | instskip(SKIP_2) | instid1(VALU_DEP_1)
	v_add_f32_e32 v90, v81, v79
	s_waitcnt_depctr 0xfff
	v_cndmask_b32_e64 v81, 0, v82, s17
	v_add_f32_e32 v82, v90, v81
	ds_bpermute_b32 v89, v89, v82
	v_cmpx_gt_u32_e32 16, v67
	s_cbranch_execz .LBB1847_12
; %bb.11:
	v_mul_u32_u24_e32 v67, 0x44, v66
	s_delay_alu instid0(VALU_DEP_1) | instskip(SKIP_1) | instid1(VALU_DEP_1)
	v_lshl_add_u32 v67, v65, 2, v67
	s_waitcnt lgkmcnt(0)
	v_dual_add_f32 v82, v82, v89 :: v_dual_add_nc_u32 v67, 0x4000, v67
	ds_store_2addr_b32 v67, v68, v82 offset1:136
.LBB1847_12:
	s_or_b32 exec_lo, exec_lo, s2
	v_lshlrev_b32_e32 v67, 2, v65
	s_waitcnt lgkmcnt(0)
	s_barrier
	buffer_gl0_inv
	v_cmp_eq_u32_e32 vcc_lo, 1, v66
	v_add_nc_u32_e32 v82, 0x4000, v67
	v_cmp_eq_u32_e64 s2, 2, v66
	v_cmp_eq_u32_e64 s4, 7, v66
	ds_load_2addr_b32 v[89:90], v82 offset1:17
	ds_load_2addr_b32 v[91:92], v82 offset0:34 offset1:51
	ds_load_2addr_b32 v[93:94], v82 offset0:68 offset1:85
	;; [unrolled: 1-line block ×4, first 2 shown]
	s_waitcnt lgkmcnt(4)
	v_max3_f32 v67, v89, 0xff7fffff, v90
	s_waitcnt lgkmcnt(3)
	s_delay_alu instid0(VALU_DEP_1) | instskip(SKIP_1) | instid1(VALU_DEP_1)
	v_max3_f32 v67, v67, v91, v92
	s_waitcnt lgkmcnt(2)
	v_max3_f32 v67, v67, v93, v94
	s_waitcnt lgkmcnt(1)
	s_delay_alu instid0(VALU_DEP_1) | instskip(NEXT) | instid1(VALU_DEP_1)
	v_max3_f32 v67, v67, v95, v96
	v_sub_f32_e32 v93, v93, v67
	s_delay_alu instid0(VALU_DEP_1) | instskip(NEXT) | instid1(VALU_DEP_1)
	v_dual_sub_f32 v68, v89, v67 :: v_dual_mul_f32 v103, 0x3fb8aa3b, v93
	v_mul_f32_e32 v68, 0x3fb8aa3b, v68
	s_delay_alu instid0(VALU_DEP_1)
	v_exp_f32_e32 v100, v68
	v_sub_f32_e32 v68, v92, v67
	v_sub_f32_e32 v99, v90, v67
	ds_load_2addr_b32 v[89:90], v82 offset0:170 offset1:187
	v_dual_mul_f32 v102, 0x3fb8aa3b, v68 :: v_dual_mul_f32 v99, 0x3fb8aa3b, v99
	s_waitcnt lgkmcnt(1)
	v_fma_f32 v68, v100, v97, 0
	s_delay_alu instid0(VALU_DEP_2) | instskip(NEXT) | instid1(VALU_DEP_2)
	v_exp_f32_e32 v102, v102
	v_exp_f32_e32 v99, v99
	s_waitcnt_depctr 0xfff
	v_fmac_f32_e32 v68, v99, v98
	v_sub_f32_e32 v91, v91, v67
	s_delay_alu instid0(VALU_DEP_1)
	v_mul_f32_e32 v101, 0x3fb8aa3b, v91
	ds_load_2addr_b32 v[91:92], v82 offset0:204 offset1:221
	v_sub_f32_e32 v97, v94, v67
	ds_load_2addr_b32 v[93:94], v82 offset0:238 offset1:255
	s_waitcnt lgkmcnt(0)
	v_exp_f32_e32 v101, v101
	s_barrier
	buffer_gl0_inv
	v_dual_fmac_f32 v68, v101, v89 :: v_dual_sub_f32 v89, v96, v67
	v_dual_sub_f32 v82, v95, v67 :: v_dual_mul_f32 v95, 0x3fb8aa3b, v97
	v_exp_f32_e32 v97, v103
	s_delay_alu instid0(VALU_DEP_2) | instskip(NEXT) | instid1(VALU_DEP_2)
	v_dual_fmac_f32 v68, v102, v90 :: v_dual_mul_f32 v89, 0x3fb8aa3b, v89
	v_mul_f32_e32 v82, 0x3fb8aa3b, v82
	s_delay_alu instid0(VALU_DEP_3) | instskip(NEXT) | instid1(VALU_DEP_2)
	v_exp_f32_e32 v95, v95
	v_exp_f32_e32 v89, v89
	s_delay_alu instid0(VALU_DEP_1)
	v_exp_f32_e32 v82, v82
	v_fmac_f32_e32 v68, v97, v91
	s_delay_alu instid0(TRANS32_DEP_3) | instid1(VALU_DEP_1)
	v_fmac_f32_e32 v68, v95, v92
	s_waitcnt_depctr 0xfff
	v_fmac_f32_e32 v68, v82, v93
	s_delay_alu instid0(VALU_DEP_1) | instskip(NEXT) | instid1(VALU_DEP_1)
	v_fmac_f32_e32 v68, v89, v94
	v_add_f32_e32 v90, 0x358637bd, v68
	s_delay_alu instid0(VALU_DEP_1) | instskip(NEXT) | instid1(VALU_DEP_1)
	v_div_scale_f32 v91, null, v90, v90, 1.0
	v_rcp_f32_e32 v92, v91
	s_waitcnt_depctr 0xfff
	v_fma_f32 v93, -v91, v92, 1.0
	s_delay_alu instid0(VALU_DEP_1) | instskip(SKIP_1) | instid1(VALU_DEP_2)
	v_dual_fmac_f32 v92, v93, v92 :: v_dual_cndmask_b32 v93, v100, v99
	v_cmp_eq_u32_e32 vcc_lo, 3, v66
	v_cndmask_b32_e64 v93, v93, v101, s2
	v_cmp_eq_u32_e64 s2, 4, v66
	s_delay_alu instid0(VALU_DEP_2) | instskip(SKIP_1) | instid1(VALU_DEP_2)
	v_cndmask_b32_e32 v93, v93, v102, vcc_lo
	v_cmp_eq_u32_e32 vcc_lo, 5, v66
	v_cndmask_b32_e64 v93, v93, v97, s2
	v_cmp_eq_u32_e64 s2, 6, v66
	s_delay_alu instid0(VALU_DEP_2) | instskip(SKIP_1) | instid1(VALU_DEP_1)
	v_cndmask_b32_e32 v93, v93, v95, vcc_lo
	v_div_scale_f32 v94, s3, 1.0, v90, 1.0
	s_mov_b32 vcc_lo, s3
	s_delay_alu instid0(VALU_DEP_2) | instskip(NEXT) | instid1(VALU_DEP_2)
	v_cndmask_b32_e64 v82, v93, v82, s2
	v_mul_f32_e32 v96, v94, v92
	s_mov_b32 s2, exec_lo
	s_delay_alu instid0(VALU_DEP_2) | instskip(NEXT) | instid1(VALU_DEP_2)
	v_cndmask_b32_e64 v82, v82, v89, s4
	v_fma_f32 v98, -v91, v96, v94
	s_delay_alu instid0(VALU_DEP_1) | instskip(NEXT) | instid1(VALU_DEP_1)
	v_fmac_f32_e32 v96, v98, v92
	v_fma_f32 v91, -v91, v96, v94
	s_delay_alu instid0(VALU_DEP_1) | instskip(NEXT) | instid1(VALU_DEP_1)
	v_div_fmas_f32 v91, v91, v92, v96
	v_div_fixup_f32 v90, v91, v90, 1.0
	s_delay_alu instid0(VALU_DEP_1) | instskip(NEXT) | instid1(VALU_DEP_1)
	v_mul_f32_e32 v82, v82, v90
	v_mul_f32_e32 v87, v82, v87
	;; [unrolled: 1-line block ×7, first 2 shown]
	v_dual_mul_f32 v86, v82, v83 :: v_dual_and_b32 v91, 0x7f800000, v90
	v_mul_f32_e32 v85, v82, v76
                                        ; implicit-def: $vgpr76
	s_delay_alu instid0(VALU_DEP_2)
	v_cmpx_ne_u32_e32 0x7f800000, v91
	s_xor_b32 s2, exec_lo, s2
; %bb.13:
	v_bfe_u32 v76, v90, 16, 1
	s_delay_alu instid0(VALU_DEP_1)
	v_add3_u32 v76, v90, v76, 0x7fff
                                        ; implicit-def: $vgpr90
; %bb.14:
	s_and_not1_saveexec_b32 s2, s2
; %bb.15:
	v_and_b32_e32 v76, 0xffff, v90
	v_or_b32_e32 v83, 0x10000, v90
	s_delay_alu instid0(VALU_DEP_2) | instskip(NEXT) | instid1(VALU_DEP_2)
	v_cmp_eq_u32_e32 vcc_lo, 0, v76
	v_cndmask_b32_e32 v76, v83, v90, vcc_lo
; %bb.16:
	s_or_b32 exec_lo, exec_lo, s2
	v_and_b32_e32 v83, 0x7f800000, v85
	s_delay_alu instid0(VALU_DEP_1) | instskip(SKIP_1) | instid1(SALU_CYCLE_1)
	v_cmp_ne_u32_e32 vcc_lo, 0x7f800000, v83
                                        ; implicit-def: $vgpr83
	s_and_saveexec_b32 s2, vcc_lo
	s_xor_b32 s2, exec_lo, s2
; %bb.17:
	v_bfe_u32 v83, v85, 16, 1
	s_delay_alu instid0(VALU_DEP_1)
	v_add3_u32 v83, v85, v83, 0x7fff
                                        ; implicit-def: $vgpr85
; %bb.18:
	s_and_not1_saveexec_b32 s2, s2
; %bb.19:
	v_and_b32_e32 v83, 0xffff, v85
	v_or_b32_e32 v90, 0x10000, v85
	s_delay_alu instid0(VALU_DEP_2) | instskip(NEXT) | instid1(VALU_DEP_2)
	v_cmp_eq_u32_e32 vcc_lo, 0, v83
	v_cndmask_b32_e32 v83, v90, v85, vcc_lo
; %bb.20:
	s_or_b32 exec_lo, exec_lo, s2
	v_and_b32_e32 v85, 0x7f800000, v86
	s_delay_alu instid0(VALU_DEP_1) | instskip(SKIP_1) | instid1(SALU_CYCLE_1)
	v_cmp_ne_u32_e32 vcc_lo, 0x7f800000, v85
                                        ; implicit-def: $vgpr85
	s_and_saveexec_b32 s2, vcc_lo
	s_xor_b32 s2, exec_lo, s2
; %bb.21:
	v_bfe_u32 v85, v86, 16, 1
	s_delay_alu instid0(VALU_DEP_1)
	v_add3_u32 v85, v86, v85, 0x7fff
                                        ; implicit-def: $vgpr86
; %bb.22:
	s_and_not1_saveexec_b32 s2, s2
; %bb.23:
	v_and_b32_e32 v85, 0xffff, v86
	v_or_b32_e32 v90, 0x10000, v86
	s_delay_alu instid0(VALU_DEP_2) | instskip(NEXT) | instid1(VALU_DEP_2)
	v_cmp_eq_u32_e32 vcc_lo, 0, v85
	v_cndmask_b32_e32 v85, v90, v86, vcc_lo
; %bb.24:
	s_or_b32 exec_lo, exec_lo, s2
	v_and_b32_e32 v86, 0x7f800000, v89
	s_delay_alu instid0(VALU_DEP_1) | instskip(SKIP_1) | instid1(SALU_CYCLE_1)
	v_cmp_ne_u32_e32 vcc_lo, 0x7f800000, v86
                                        ; implicit-def: $vgpr86
	s_and_saveexec_b32 s2, vcc_lo
	s_xor_b32 s2, exec_lo, s2
; %bb.25:
	v_bfe_u32 v86, v89, 16, 1
	s_delay_alu instid0(VALU_DEP_1)
	v_add3_u32 v86, v89, v86, 0x7fff
                                        ; implicit-def: $vgpr89
; %bb.26:
	s_and_not1_saveexec_b32 s2, s2
; %bb.27:
	v_and_b32_e32 v86, 0xffff, v89
	v_or_b32_e32 v90, 0x10000, v89
	s_delay_alu instid0(VALU_DEP_2) | instskip(NEXT) | instid1(VALU_DEP_2)
	v_cmp_eq_u32_e32 vcc_lo, 0, v86
	v_cndmask_b32_e32 v86, v90, v89, vcc_lo
; %bb.28:
	s_or_b32 exec_lo, exec_lo, s2
	v_and_b32_e32 v89, 0x7f800000, v88
	s_delay_alu instid0(VALU_DEP_1) | instskip(SKIP_1) | instid1(SALU_CYCLE_1)
	v_cmp_ne_u32_e32 vcc_lo, 0x7f800000, v89
                                        ; implicit-def: $vgpr89
	s_and_saveexec_b32 s2, vcc_lo
	s_xor_b32 s2, exec_lo, s2
; %bb.29:
	v_bfe_u32 v89, v88, 16, 1
	s_delay_alu instid0(VALU_DEP_1)
	v_add3_u32 v89, v88, v89, 0x7fff
                                        ; implicit-def: $vgpr88
; %bb.30:
	s_and_not1_saveexec_b32 s2, s2
; %bb.31:
	v_and_b32_e32 v89, 0xffff, v88
	v_or_b32_e32 v90, 0x10000, v88
	s_delay_alu instid0(VALU_DEP_2) | instskip(NEXT) | instid1(VALU_DEP_2)
	v_cmp_eq_u32_e32 vcc_lo, 0, v89
	v_cndmask_b32_e32 v89, v90, v88, vcc_lo
; %bb.32:
	s_or_b32 exec_lo, exec_lo, s2
	v_and_b32_e32 v88, 0x7f800000, v87
	s_delay_alu instid0(VALU_DEP_1) | instskip(SKIP_1) | instid1(SALU_CYCLE_1)
	v_cmp_ne_u32_e32 vcc_lo, 0x7f800000, v88
                                        ; implicit-def: $vgpr88
	s_and_saveexec_b32 s2, vcc_lo
	s_xor_b32 s2, exec_lo, s2
; %bb.33:
	v_bfe_u32 v88, v87, 16, 1
	s_delay_alu instid0(VALU_DEP_1)
	v_add3_u32 v88, v87, v88, 0x7fff
                                        ; implicit-def: $vgpr87
; %bb.34:
	s_and_not1_saveexec_b32 s2, s2
; %bb.35:
	v_and_b32_e32 v88, 0xffff, v87
	v_or_b32_e32 v90, 0x10000, v87
	s_delay_alu instid0(VALU_DEP_2) | instskip(NEXT) | instid1(VALU_DEP_2)
	v_cmp_eq_u32_e32 vcc_lo, 0, v88
	v_cndmask_b32_e32 v88, v90, v87, vcc_lo
; %bb.36:
	s_or_b32 exec_lo, exec_lo, s2
	v_and_b32_e32 v87, 0x7f800000, v84
	s_delay_alu instid0(VALU_DEP_1) | instskip(SKIP_1) | instid1(SALU_CYCLE_1)
	v_cmp_ne_u32_e32 vcc_lo, 0x7f800000, v87
                                        ; implicit-def: $vgpr87
	s_and_saveexec_b32 s2, vcc_lo
	s_xor_b32 s2, exec_lo, s2
; %bb.37:
	v_bfe_u32 v87, v84, 16, 1
	s_delay_alu instid0(VALU_DEP_1)
	v_add3_u32 v87, v84, v87, 0x7fff
                                        ; implicit-def: $vgpr84
; %bb.38:
	s_and_not1_saveexec_b32 s2, s2
; %bb.39:
	v_and_b32_e32 v87, 0xffff, v84
	v_or_b32_e32 v90, 0x10000, v84
	s_delay_alu instid0(VALU_DEP_2) | instskip(NEXT) | instid1(VALU_DEP_2)
	v_cmp_eq_u32_e32 vcc_lo, 0, v87
	v_cndmask_b32_e32 v87, v90, v84, vcc_lo
; %bb.40:
	s_or_b32 exec_lo, exec_lo, s2
	v_and_b32_e32 v84, 0x7f800000, v80
	s_delay_alu instid0(VALU_DEP_1) | instskip(SKIP_1) | instid1(SALU_CYCLE_1)
	v_cmp_ne_u32_e32 vcc_lo, 0x7f800000, v84
                                        ; implicit-def: $vgpr84
	s_and_saveexec_b32 s2, vcc_lo
	s_xor_b32 s2, exec_lo, s2
; %bb.41:
	v_bfe_u32 v84, v80, 16, 1
	s_delay_alu instid0(VALU_DEP_1)
	v_add3_u32 v84, v80, v84, 0x7fff
                                        ; implicit-def: $vgpr80
; %bb.42:
	s_and_not1_saveexec_b32 s2, s2
; %bb.43:
	v_and_b32_e32 v84, 0xffff, v80
	v_or_b32_e32 v90, 0x10000, v80
	s_delay_alu instid0(VALU_DEP_2) | instskip(NEXT) | instid1(VALU_DEP_2)
	v_cmp_eq_u32_e32 vcc_lo, 0, v84
	v_cndmask_b32_e32 v84, v90, v80, vcc_lo
; %bb.44:
	s_or_b32 exec_lo, exec_lo, s2
	s_load_b64 s[34:35], s[0:1], 0x94
	v_lshlrev_b32_e32 v91, 4, v74
	s_delay_alu instid0(VALU_DEP_2)
	v_perm_b32 v90, v84, v87, 0x7060302
	v_dual_mul_f32 v79, v82, v79 :: v_dual_lshlrev_b32 v80, 6, v65
	v_dual_mul_f32 v77, v82, v77 :: v_dual_lshlrev_b32 v92, 11, v66
	v_mul_f32_e32 v84, v82, v70
	v_perm_b32 v89, v88, v89, 0x7060302
	v_perm_b32 v88, v86, v85, 0x7060302
	;; [unrolled: 1-line block ×3, first 2 shown]
	v_mul_f32_e32 v70, v82, v81
	v_or3_b32 v76, v91, v92, v80
	v_dual_mul_f32 v78, v82, v78 :: v_dual_and_b32 v85, 0x7f800000, v84
	v_mul_f32_e32 v83, v82, v72
	v_mul_f32_e32 v81, v82, v71
	;; [unrolled: 1-line block ×3, first 2 shown]
	s_mov_b32 s2, exec_lo
	ds_store_b128 v76, v[87:90]
                                        ; implicit-def: $vgpr69
	v_cmpx_ne_u32_e32 0x7f800000, v85
	s_xor_b32 s2, exec_lo, s2
; %bb.45:
	v_bfe_u32 v69, v84, 16, 1
	s_delay_alu instid0(VALU_DEP_1)
	v_add3_u32 v69, v84, v69, 0x7fff
                                        ; implicit-def: $vgpr84
; %bb.46:
	s_and_not1_saveexec_b32 s2, s2
; %bb.47:
	v_and_b32_e32 v69, 0xffff, v84
	v_or_b32_e32 v71, 0x10000, v84
	s_delay_alu instid0(VALU_DEP_2) | instskip(NEXT) | instid1(VALU_DEP_2)
	v_cmp_eq_u32_e32 vcc_lo, 0, v69
	v_cndmask_b32_e32 v69, v71, v84, vcc_lo
; %bb.48:
	s_or_b32 exec_lo, exec_lo, s2
	v_and_b32_e32 v71, 0x7f800000, v72
	s_delay_alu instid0(VALU_DEP_1) | instskip(SKIP_1) | instid1(SALU_CYCLE_1)
	v_cmp_ne_u32_e32 vcc_lo, 0x7f800000, v71
                                        ; implicit-def: $vgpr71
	s_and_saveexec_b32 s2, vcc_lo
	s_xor_b32 s2, exec_lo, s2
; %bb.49:
	v_bfe_u32 v71, v72, 16, 1
	s_delay_alu instid0(VALU_DEP_1)
	v_add3_u32 v71, v72, v71, 0x7fff
                                        ; implicit-def: $vgpr72
; %bb.50:
	s_and_not1_saveexec_b32 s2, s2
; %bb.51:
	v_and_b32_e32 v71, 0xffff, v72
	v_or_b32_e32 v82, 0x10000, v72
	s_delay_alu instid0(VALU_DEP_2) | instskip(NEXT) | instid1(VALU_DEP_2)
	v_cmp_eq_u32_e32 vcc_lo, 0, v71
	v_cndmask_b32_e32 v71, v82, v72, vcc_lo
; %bb.52:
	s_or_b32 exec_lo, exec_lo, s2
	v_and_b32_e32 v72, 0x7f800000, v81
	s_delay_alu instid0(VALU_DEP_1) | instskip(SKIP_1) | instid1(SALU_CYCLE_1)
	v_cmp_ne_u32_e32 vcc_lo, 0x7f800000, v72
                                        ; implicit-def: $vgpr72
	s_and_saveexec_b32 s2, vcc_lo
	s_xor_b32 s2, exec_lo, s2
; %bb.53:
	v_bfe_u32 v72, v81, 16, 1
	s_delay_alu instid0(VALU_DEP_1)
	v_add3_u32 v72, v81, v72, 0x7fff
                                        ; implicit-def: $vgpr81
; %bb.54:
	s_and_not1_saveexec_b32 s2, s2
; %bb.55:
	v_and_b32_e32 v72, 0xffff, v81
	v_or_b32_e32 v82, 0x10000, v81
	s_delay_alu instid0(VALU_DEP_2) | instskip(NEXT) | instid1(VALU_DEP_2)
	v_cmp_eq_u32_e32 vcc_lo, 0, v72
	v_cndmask_b32_e32 v72, v82, v81, vcc_lo
; %bb.56:
	s_or_b32 exec_lo, exec_lo, s2
	v_and_b32_e32 v81, 0x7f800000, v83
	s_delay_alu instid0(VALU_DEP_1) | instskip(SKIP_1) | instid1(SALU_CYCLE_1)
	v_cmp_ne_u32_e32 vcc_lo, 0x7f800000, v81
                                        ; implicit-def: $vgpr81
	s_and_saveexec_b32 s2, vcc_lo
	s_xor_b32 s2, exec_lo, s2
; %bb.57:
	v_bfe_u32 v81, v83, 16, 1
	s_delay_alu instid0(VALU_DEP_1)
	v_add3_u32 v81, v83, v81, 0x7fff
                                        ; implicit-def: $vgpr83
; %bb.58:
	s_and_not1_saveexec_b32 s2, s2
; %bb.59:
	v_and_b32_e32 v81, 0xffff, v83
	v_or_b32_e32 v82, 0x10000, v83
	s_delay_alu instid0(VALU_DEP_2) | instskip(NEXT) | instid1(VALU_DEP_2)
	v_cmp_eq_u32_e32 vcc_lo, 0, v81
	v_cndmask_b32_e32 v81, v82, v83, vcc_lo
; %bb.60:
	s_or_b32 exec_lo, exec_lo, s2
	v_and_b32_e32 v82, 0x7f800000, v77
	s_delay_alu instid0(VALU_DEP_1) | instskip(SKIP_1) | instid1(SALU_CYCLE_1)
	v_cmp_ne_u32_e32 vcc_lo, 0x7f800000, v82
                                        ; implicit-def: $vgpr82
	s_and_saveexec_b32 s2, vcc_lo
	s_xor_b32 s2, exec_lo, s2
; %bb.61:
	v_bfe_u32 v82, v77, 16, 1
	s_delay_alu instid0(VALU_DEP_1)
	v_add3_u32 v82, v77, v82, 0x7fff
                                        ; implicit-def: $vgpr77
; %bb.62:
	s_and_not1_saveexec_b32 s2, s2
; %bb.63:
	v_and_b32_e32 v82, 0xffff, v77
	v_or_b32_e32 v83, 0x10000, v77
	s_delay_alu instid0(VALU_DEP_2) | instskip(NEXT) | instid1(VALU_DEP_2)
	v_cmp_eq_u32_e32 vcc_lo, 0, v82
	v_cndmask_b32_e32 v82, v83, v77, vcc_lo
; %bb.64:
	s_or_b32 exec_lo, exec_lo, s2
	v_and_b32_e32 v77, 0x7f800000, v78
	s_delay_alu instid0(VALU_DEP_1) | instskip(SKIP_1) | instid1(SALU_CYCLE_1)
	v_cmp_ne_u32_e32 vcc_lo, 0x7f800000, v77
                                        ; implicit-def: $vgpr77
	s_and_saveexec_b32 s2, vcc_lo
	s_xor_b32 s2, exec_lo, s2
; %bb.65:
	v_bfe_u32 v77, v78, 16, 1
	s_delay_alu instid0(VALU_DEP_1)
	v_add3_u32 v77, v78, v77, 0x7fff
                                        ; implicit-def: $vgpr78
; %bb.66:
	s_and_not1_saveexec_b32 s2, s2
; %bb.67:
	v_and_b32_e32 v77, 0xffff, v78
	v_or_b32_e32 v83, 0x10000, v78
	s_delay_alu instid0(VALU_DEP_2) | instskip(NEXT) | instid1(VALU_DEP_2)
	v_cmp_eq_u32_e32 vcc_lo, 0, v77
	v_cndmask_b32_e32 v77, v83, v78, vcc_lo
; %bb.68:
	s_or_b32 exec_lo, exec_lo, s2
	v_and_b32_e32 v78, 0x7f800000, v79
	s_delay_alu instid0(VALU_DEP_1) | instskip(SKIP_1) | instid1(SALU_CYCLE_1)
	v_cmp_ne_u32_e32 vcc_lo, 0x7f800000, v78
                                        ; implicit-def: $vgpr78
	s_and_saveexec_b32 s2, vcc_lo
	s_xor_b32 s2, exec_lo, s2
; %bb.69:
	v_bfe_u32 v78, v79, 16, 1
	s_delay_alu instid0(VALU_DEP_1)
	v_add3_u32 v78, v79, v78, 0x7fff
                                        ; implicit-def: $vgpr79
; %bb.70:
	s_and_not1_saveexec_b32 s2, s2
; %bb.71:
	v_and_b32_e32 v78, 0xffff, v79
	v_or_b32_e32 v83, 0x10000, v79
	s_delay_alu instid0(VALU_DEP_2) | instskip(NEXT) | instid1(VALU_DEP_2)
	v_cmp_eq_u32_e32 vcc_lo, 0, v78
	v_cndmask_b32_e32 v78, v83, v79, vcc_lo
; %bb.72:
	s_or_b32 exec_lo, exec_lo, s2
	v_and_b32_e32 v79, 0x7f800000, v70
	s_delay_alu instid0(VALU_DEP_1) | instskip(SKIP_1) | instid1(SALU_CYCLE_1)
	v_cmp_ne_u32_e32 vcc_lo, 0x7f800000, v79
                                        ; implicit-def: $vgpr79
	s_and_saveexec_b32 s2, vcc_lo
	s_xor_b32 s2, exec_lo, s2
; %bb.73:
	v_bfe_u32 v79, v70, 16, 1
	s_delay_alu instid0(VALU_DEP_1)
	v_add3_u32 v79, v70, v79, 0x7fff
                                        ; implicit-def: $vgpr70
; %bb.74:
	s_and_not1_saveexec_b32 s2, s2
; %bb.75:
	v_and_b32_e32 v79, 0xffff, v70
	v_or_b32_e32 v83, 0x10000, v70
	s_delay_alu instid0(VALU_DEP_2) | instskip(NEXT) | instid1(VALU_DEP_2)
	v_cmp_eq_u32_e32 vcc_lo, 0, v79
	v_cndmask_b32_e32 v79, v83, v70, vcc_lo
; %bb.76:
	s_or_b32 exec_lo, exec_lo, s2
	s_delay_alu instid0(VALU_DEP_1)
	v_perm_b32 v86, v79, v78, 0x7060302
	v_perm_b32 v85, v77, v82, 0x7060302
	;; [unrolled: 1-line block ×4, first 2 shown]
	v_lshl_or_b32 v82, v66, 11, v80
	ds_store_b128 v76, v[83:86] offset:1024
	s_waitcnt lgkmcnt(0)
	s_barrier
	buffer_gl0_inv
	ds_load_b128 v[69:72], v82
	ds_load_b128 v[83:86], v82 offset:16
	s_waitcnt lgkmcnt(1)
	v_lshrrev_b32_e32 v66, 16, v69
	s_waitcnt lgkmcnt(0)
	v_lshrrev_b32_e32 v91, 16, v83
	v_lshlrev_b32_e32 v78, 2, v74
	v_lshrrev_b32_e32 v95, 16, v70
	v_lshrrev_b32_e32 v98, 16, v84
	v_lshrrev_b32_e32 v96, 16, v71
	v_lshrrev_b32_e32 v99, 16, v85
	v_cmp_eq_u32_e32 vcc_lo, 1, v78
	v_lshrrev_b32_e32 v97, 16, v72
	v_lshrrev_b32_e32 v100, 16, v86
	v_cndmask_b32_e32 v87, v83, v91, vcc_lo
	v_or_b32_e32 v79, 1, v78
	v_cndmask_b32_e32 v81, v69, v66, vcc_lo
	v_cmp_eq_u32_e64 s3, 2, v78
	v_cmp_eq_u32_e64 s6, 3, v78
	;; [unrolled: 1-line block ×5, first 2 shown]
	v_cndmask_b32_e64 v81, v81, v70, s3
	v_cndmask_b32_e64 v87, v87, v84, s3
	v_cmp_eq_u32_e64 s7, 3, v79
	v_cndmask_b32_e64 v88, v69, v66, s2
	v_or_b32_e32 v77, 2, v78
	v_cndmask_b32_e64 v81, v81, v95, s6
	v_cndmask_b32_e64 v87, v87, v98, s6
	;; [unrolled: 1-line block ×4, first 2 shown]
	v_cmp_eq_u32_e64 s9, 5, v78
	v_cndmask_b32_e64 v81, v81, v71, s8
	v_cndmask_b32_e64 v87, v87, v85, s8
	v_cmp_eq_u32_e64 s10, 4, v79
	v_cndmask_b32_e64 v88, v88, v95, s7
	v_cmp_eq_u32_e64 s4, 1, v77
	v_cndmask_b32_e64 v89, v89, v84, s5
	v_cndmask_b32_e64 v81, v81, v96, s9
	v_cmp_eq_u32_e64 s11, 6, v78
	v_cndmask_b32_e64 v88, v88, v71, s10
	;; [unrolled: 3-line block ×3, first 2 shown]
	v_cndmask_b32_e64 v89, v89, v98, s7
	v_cndmask_b32_e64 v81, v81, v72, s11
	v_cmp_eq_u32_e64 s13, 7, v78
	v_cndmask_b32_e64 v88, v88, v96, s12
	v_cndmask_b32_e64 v87, v87, v86, s11
	v_cmp_eq_u32_e64 s15, 6, v79
	v_cmp_eq_u32_e64 s16, 2, v77
	v_cndmask_b32_e64 v89, v89, v85, s10
	v_cndmask_b32_e64 v101, v81, v97, s13
	;; [unrolled: 1-line block ×6, first 2 shown]
	v_cmp_eq_u32_e64 s17, 7, v79
	v_cmp_eq_u32_e64 s18, 3, v77
	;; [unrolled: 1-line block ×4, first 2 shown]
	v_cndmask_b32_e64 v87, v87, v84, s16
	v_cndmask_b32_e64 v103, v88, v97, s17
	;; [unrolled: 1-line block ×4, first 2 shown]
	v_or_b32_e32 v81, 3, v78
	v_cndmask_b32_e64 v93, v87, v98, s18
	v_cmp_eq_u32_e64 s23, 6, v77
	v_cndmask_b32_e64 v104, v88, v86, s15
	v_cndmask_b32_e64 v92, v89, v71, s19
	v_cmp_eq_u32_e64 s20, 1, v81
	ds_load_b128 v[87:90], v82 offset:1024
	v_cmp_eq_u32_e64 s22, 2, v81
	v_cmp_eq_u32_e64 s24, 3, v81
	v_cndmask_b32_e64 v105, v92, v96, s21
	v_cndmask_b32_e64 v66, v69, v66, s20
	;; [unrolled: 1-line block ×4, first 2 shown]
	ds_load_b128 v[91:94], v82 offset:1040
	v_cmp_eq_u32_e64 s25, 4, v81
	v_cndmask_b32_e64 v66, v66, v70, s22
	v_cmp_eq_u32_e64 s26, 7, v77
	v_cndmask_b32_e64 v70, v83, v84, s22
	v_cndmask_b32_e64 v84, v105, v72, s23
	v_cmp_eq_u32_e64 s27, 5, v81
	v_cndmask_b32_e64 v66, v66, v95, s24
	v_cmp_eq_u32_e64 s28, 6, v81
	v_cndmask_b32_e64 v70, v70, v98, s24
	v_cndmask_b32_e64 v69, v69, v99, s21
	;; [unrolled: 1-line block ×4, first 2 shown]
	s_waitcnt lgkmcnt(1)
	v_lshrrev_b32_e32 v95, 16, v87
	v_cndmask_b32_e64 v70, v70, v85, s25
	v_cndmask_b32_e64 v71, v84, v97, s26
	;; [unrolled: 1-line block ×4, first 2 shown]
	v_cndmask_b32_e32 v84, v87, v95, vcc_lo
	v_cndmask_b32_e64 v70, v70, v99, s27
	s_waitcnt lgkmcnt(0)
	v_lshrrev_b32_e32 v85, 16, v91
	v_lshrrev_b32_e32 v96, 16, v88
	v_cndmask_b32_e64 v98, v87, v95, s2
	v_cndmask_b32_e64 v84, v84, v88, s3
	;; [unrolled: 1-line block ×3, first 2 shown]
	v_cndmask_b32_e32 v99, v91, v85, vcc_lo
	v_cmp_eq_u32_e32 vcc_lo, 7, v81
	v_cndmask_b32_e64 v66, v66, v72, s28
	v_cndmask_b32_e64 v72, v84, v96, s6
	;; [unrolled: 1-line block ×3, first 2 shown]
	v_lshrrev_b32_e32 v98, 16, v92
	v_cndmask_b32_e32 v70, v70, v100, vcc_lo
	v_cndmask_b32_e64 v86, v99, v92, s3
	v_cndmask_b32_e64 v69, v69, v100, s26
	v_lshrrev_b32_e32 v100, 16, v93
	v_cndmask_b32_e64 v72, v72, v89, s8
	v_lshrrev_b32_e32 v99, 16, v89
	v_cndmask_b32_e64 v86, v86, v98, s6
	v_perm_b32 v71, v69, v71, 0x5040100
	v_cndmask_b32_e64 v84, v84, v96, s7
	s_delay_alu instid0(VALU_DEP_3) | instskip(NEXT) | instid1(VALU_DEP_2)
	v_cndmask_b32_e64 v86, v86, v93, s8
	v_cndmask_b32_e64 v84, v84, v89, s10
	s_delay_alu instid0(VALU_DEP_2) | instskip(NEXT) | instid1(VALU_DEP_1)
	v_cndmask_b32_e64 v86, v86, v100, s9
	v_cndmask_b32_e64 v69, v86, v94, s11
	;; [unrolled: 1-line block ×5, first 2 shown]
	s_delay_alu instid0(VALU_DEP_3) | instskip(NEXT) | instid1(VALU_DEP_3)
	v_cndmask_b32_e64 v86, v86, v88, s16
	v_cndmask_b32_e64 v87, v87, v88, s22
	s_delay_alu instid0(VALU_DEP_3) | instskip(NEXT) | instid1(VALU_DEP_3)
	v_cndmask_b32_e64 v88, v95, v92, s22
	v_cndmask_b32_e64 v86, v86, v96, s18
	;; [unrolled: 3-line block ×7, first 2 shown]
	s_delay_alu instid0(VALU_DEP_3) | instskip(SKIP_2) | instid1(VALU_DEP_2)
	v_cndmask_b32_e64 v88, v88, v94, s28
	v_cndmask_b32_e32 v66, v66, v97, vcc_lo
	v_cndmask_b32_e64 v97, v72, v99, s9
	v_perm_b32 v72, v70, v66, 0x5040100
	v_perm_b32 v70, v83, v103, 0x5040100
	v_cndmask_b32_e64 v103, v91, v85, s4
	v_cndmask_b32_e64 v85, v91, v85, s2
	;; [unrolled: 1-line block ×4, first 2 shown]
	v_lshrrev_b32_e32 v97, 16, v90
	v_cndmask_b32_e64 v91, v103, v92, s16
	v_cndmask_b32_e64 v85, v85, v92, s5
	;; [unrolled: 1-line block ×3, first 2 shown]
	s_mov_b32 s2, exec_lo
	v_cndmask_b32_e64 v83, v84, v97, s13
	v_cndmask_b32_e64 v91, v91, v98, s18
	;; [unrolled: 1-line block ×3, first 2 shown]
	v_lshrrev_b32_e32 v84, 16, v94
	v_cndmask_b32_e64 v66, v66, v97, s17
	v_cndmask_b32_e64 v90, v86, v97, s26
	;; [unrolled: 1-line block ×4, first 2 shown]
	v_dual_cndmask_b32 v86, v87, v97 :: v_dual_cndmask_b32 v87, v88, v84
	v_cndmask_b32_e64 v91, v69, v84, s13
	s_delay_alu instid0(VALU_DEP_4) | instskip(NEXT) | instid1(VALU_DEP_4)
	v_cndmask_b32_e64 v89, v89, v100, s21
	v_cndmask_b32_e64 v85, v85, v100, s12
	v_perm_b32 v69, v102, v101, 0x5040100
	v_perm_b32 v86, v87, v86, 0x5040100
	v_perm_b32 v83, v91, v83, 0x5040100
	v_cndmask_b32_e64 v89, v89, v94, s23
	v_cndmask_b32_e64 v85, v85, v94, s15
	s_mul_i32 s7, s35, 10
	s_delay_alu instid0(VALU_DEP_2) | instskip(NEXT) | instid1(VALU_DEP_2)
	v_cndmask_b32_e64 v88, v89, v84, s26
	v_cndmask_b32_e64 v89, v85, v84, s17
	s_delay_alu instid0(VALU_DEP_2) | instskip(NEXT) | instid1(VALU_DEP_2)
	v_perm_b32 v85, v88, v90, 0x5040100
	v_perm_b32 v84, v89, v66, 0x5040100
	ds_store_b128 v76, v[69:72]
	ds_store_b128 v76, v[83:86] offset:1024
	v_cmpx_gt_u32_e32 10, v0
	s_cbranch_execz .LBB1847_78
; %bb.77:
	s_mul_i32 s3, s7, s30
	s_load_b128 s[8:11], s[0:1], 0x58
	v_add3_u32 v69, s3, s29, v65
	s_delay_alu instid0(VALU_DEP_1) | instskip(NEXT) | instid1(VALU_DEP_1)
	v_mad_u64_u32 v[65:66], null, v69, s34, s[14:15]
	v_ashrrev_i32_e32 v66, 31, v65
	s_delay_alu instid0(VALU_DEP_1) | instskip(SKIP_1) | instid1(VALU_DEP_1)
	v_lshlrev_b64 v[65:66], 2, v[65:66]
	s_waitcnt lgkmcnt(0)
	v_add_co_u32 v69, vcc_lo, s10, v65
	s_delay_alu instid0(VALU_DEP_2)
	v_add_co_ci_u32_e32 v70, vcc_lo, s11, v66, vcc_lo
	v_add_co_u32 v65, vcc_lo, s8, v65
	v_add_co_ci_u32_e32 v66, vcc_lo, s9, v66, vcc_lo
	global_store_b32 v[69:70], v67, off
	global_store_b32 v[65:66], v68, off
.LBB1847_78:
	s_or_b32 exec_lo, exec_lo, s2
	s_waitcnt lgkmcnt(0)
	s_waitcnt_vscnt null, 0x0
	s_barrier
	buffer_gl0_inv
	ds_load_b128 v[83:86], v80
	ds_load_b128 v[87:90], v80 offset:16
	ds_load_b128 v[95:98], v80 offset:2064
	;; [unrolled: 1-line block ×3, first 2 shown]
	v_mov_b32_e32 v65, 0
	ds_load_b128 v[103:106], v80 offset:4112
	ds_load_b128 v[99:102], v80 offset:4096
	;; [unrolled: 1-line block ×4, first 2 shown]
	v_mov_b32_e32 v66, v65
	v_mov_b32_e32 v67, v65
	;; [unrolled: 1-line block ×7, first 2 shown]
	s_waitcnt lgkmcnt(6)
	s_delay_alu instid0(VALU_DEP_1)
	v_wmma_f32_16x16x16_bf16 v[65:72], v[49:56], v[83:90], v[65:72]
	ds_load_b128 v[53:56], v80 offset:8208
	ds_load_b128 v[49:52], v80 offset:8192
	s_waitcnt lgkmcnt(6)
	v_wmma_f32_16x16x16_bf16 v[65:72], v[41:48], v[91:98], v[65:72]
	ds_load_b128 v[45:48], v80 offset:10256
	ds_load_b128 v[41:44], v80 offset:10240
	s_waitcnt lgkmcnt(6)
	;; [unrolled: 4-line block ×4, first 2 shown]
	v_wmma_f32_16x16x16_bf16 v[65:72], v[1:8], v[49:56], v[65:72]
	s_waitcnt lgkmcnt(4)
	s_delay_alu instid0(VALU_DEP_1) | instskip(SKIP_1) | instid1(VALU_DEP_1)
	v_wmma_f32_16x16x16_bf16 v[65:72], v[9:16], v[41:48], v[65:72]
	s_waitcnt lgkmcnt(2)
	v_wmma_f32_16x16x16_bf16 v[65:72], v[17:24], v[33:40], v[65:72]
	s_waitcnt lgkmcnt(0)
	s_delay_alu instid0(VALU_DEP_1) | instskip(NEXT) | instid1(VALU_DEP_1)
	v_wmma_f32_16x16x16_bf16 v[65:72], v[57:64], v[25:32], v[65:72]
	v_and_b32_e32 v1, 0x7f800000, v65
	s_delay_alu instid0(VALU_DEP_1) | instskip(SKIP_1) | instid1(SALU_CYCLE_1)
	v_cmp_ne_u32_e32 vcc_lo, 0x7f800000, v1
                                        ; implicit-def: $vgpr1
	s_and_saveexec_b32 s2, vcc_lo
	s_xor_b32 s2, exec_lo, s2
; %bb.79:
	v_bfe_u32 v1, v65, 16, 1
	s_delay_alu instid0(VALU_DEP_1)
	v_add3_u32 v1, v65, v1, 0x7fff
; %bb.80:
	s_and_not1_saveexec_b32 s2, s2
; %bb.81:
	v_and_b32_e32 v1, 0xffff, v65
	v_or_b32_e32 v2, 0x10000, v65
	s_delay_alu instid0(VALU_DEP_2) | instskip(NEXT) | instid1(VALU_DEP_2)
	v_cmp_eq_u32_e32 vcc_lo, 0, v1
	v_cndmask_b32_e32 v1, v2, v65, vcc_lo
; %bb.82:
	s_or_b32 exec_lo, exec_lo, s2
	v_and_b32_e32 v2, 0x7f800000, v66
	s_delay_alu instid0(VALU_DEP_1) | instskip(SKIP_1) | instid1(SALU_CYCLE_1)
	v_cmp_ne_u32_e32 vcc_lo, 0x7f800000, v2
                                        ; implicit-def: $vgpr2
	s_and_saveexec_b32 s2, vcc_lo
	s_xor_b32 s2, exec_lo, s2
; %bb.83:
	v_bfe_u32 v2, v66, 16, 1
	s_delay_alu instid0(VALU_DEP_1)
	v_add3_u32 v2, v66, v2, 0x7fff
; %bb.84:
	s_and_not1_saveexec_b32 s2, s2
; %bb.85:
	v_and_b32_e32 v2, 0xffff, v66
	v_or_b32_e32 v3, 0x10000, v66
	s_delay_alu instid0(VALU_DEP_2) | instskip(NEXT) | instid1(VALU_DEP_2)
	v_cmp_eq_u32_e32 vcc_lo, 0, v2
	v_cndmask_b32_e32 v2, v3, v66, vcc_lo
; %bb.86:
	s_or_b32 exec_lo, exec_lo, s2
	v_and_b32_e32 v3, 0x7f800000, v67
	s_delay_alu instid0(VALU_DEP_1) | instskip(SKIP_1) | instid1(SALU_CYCLE_1)
	v_cmp_ne_u32_e32 vcc_lo, 0x7f800000, v3
                                        ; implicit-def: $vgpr3
	s_and_saveexec_b32 s2, vcc_lo
	s_xor_b32 s2, exec_lo, s2
; %bb.87:
	v_bfe_u32 v3, v67, 16, 1
	s_delay_alu instid0(VALU_DEP_1)
	v_add3_u32 v3, v67, v3, 0x7fff
; %bb.88:
	s_and_not1_saveexec_b32 s2, s2
; %bb.89:
	v_and_b32_e32 v3, 0xffff, v67
	v_or_b32_e32 v4, 0x10000, v67
	s_delay_alu instid0(VALU_DEP_2) | instskip(NEXT) | instid1(VALU_DEP_2)
	v_cmp_eq_u32_e32 vcc_lo, 0, v3
	v_cndmask_b32_e32 v3, v4, v67, vcc_lo
; %bb.90:
	s_or_b32 exec_lo, exec_lo, s2
	v_and_b32_e32 v4, 0x7f800000, v68
	s_delay_alu instid0(VALU_DEP_1) | instskip(SKIP_1) | instid1(SALU_CYCLE_1)
	v_cmp_ne_u32_e32 vcc_lo, 0x7f800000, v4
                                        ; implicit-def: $vgpr4
	s_and_saveexec_b32 s2, vcc_lo
	s_xor_b32 s2, exec_lo, s2
; %bb.91:
	v_bfe_u32 v4, v68, 16, 1
	s_delay_alu instid0(VALU_DEP_1)
	v_add3_u32 v4, v68, v4, 0x7fff
; %bb.92:
	s_and_not1_saveexec_b32 s2, s2
; %bb.93:
	v_and_b32_e32 v4, 0xffff, v68
	v_or_b32_e32 v5, 0x10000, v68
	s_delay_alu instid0(VALU_DEP_2) | instskip(NEXT) | instid1(VALU_DEP_2)
	v_cmp_eq_u32_e32 vcc_lo, 0, v4
	v_cndmask_b32_e32 v4, v5, v68, vcc_lo
; %bb.94:
	s_or_b32 exec_lo, exec_lo, s2
	v_and_b32_e32 v5, 0x7f800000, v69
	s_delay_alu instid0(VALU_DEP_1) | instskip(SKIP_1) | instid1(SALU_CYCLE_1)
	v_cmp_ne_u32_e32 vcc_lo, 0x7f800000, v5
                                        ; implicit-def: $vgpr5
	s_and_saveexec_b32 s2, vcc_lo
	s_xor_b32 s2, exec_lo, s2
; %bb.95:
	v_bfe_u32 v5, v69, 16, 1
	s_delay_alu instid0(VALU_DEP_1)
	v_add3_u32 v5, v69, v5, 0x7fff
; %bb.96:
	s_and_not1_saveexec_b32 s2, s2
; %bb.97:
	v_and_b32_e32 v5, 0xffff, v69
	v_or_b32_e32 v6, 0x10000, v69
	s_delay_alu instid0(VALU_DEP_2) | instskip(NEXT) | instid1(VALU_DEP_2)
	v_cmp_eq_u32_e32 vcc_lo, 0, v5
	v_cndmask_b32_e32 v5, v6, v69, vcc_lo
; %bb.98:
	s_or_b32 exec_lo, exec_lo, s2
	v_and_b32_e32 v6, 0x7f800000, v70
	s_delay_alu instid0(VALU_DEP_1) | instskip(SKIP_1) | instid1(SALU_CYCLE_1)
	v_cmp_ne_u32_e32 vcc_lo, 0x7f800000, v6
                                        ; implicit-def: $vgpr6
	s_and_saveexec_b32 s2, vcc_lo
	s_xor_b32 s2, exec_lo, s2
; %bb.99:
	v_bfe_u32 v6, v70, 16, 1
	s_delay_alu instid0(VALU_DEP_1)
	v_add3_u32 v6, v70, v6, 0x7fff
; %bb.100:
	s_and_not1_saveexec_b32 s2, s2
; %bb.101:
	v_and_b32_e32 v6, 0xffff, v70
	v_or_b32_e32 v7, 0x10000, v70
	s_delay_alu instid0(VALU_DEP_2) | instskip(NEXT) | instid1(VALU_DEP_2)
	v_cmp_eq_u32_e32 vcc_lo, 0, v6
	v_cndmask_b32_e32 v6, v7, v70, vcc_lo
; %bb.102:
	s_or_b32 exec_lo, exec_lo, s2
	v_and_b32_e32 v7, 0x7f800000, v71
	s_delay_alu instid0(VALU_DEP_1) | instskip(SKIP_1) | instid1(SALU_CYCLE_1)
	v_cmp_ne_u32_e32 vcc_lo, 0x7f800000, v7
                                        ; implicit-def: $vgpr7
	s_and_saveexec_b32 s2, vcc_lo
	s_xor_b32 s2, exec_lo, s2
; %bb.103:
	v_bfe_u32 v7, v71, 16, 1
	s_delay_alu instid0(VALU_DEP_1)
	v_add3_u32 v7, v71, v7, 0x7fff
; %bb.104:
	s_and_not1_saveexec_b32 s2, s2
; %bb.105:
	v_and_b32_e32 v7, 0xffff, v71
	v_or_b32_e32 v8, 0x10000, v71
	s_delay_alu instid0(VALU_DEP_2) | instskip(NEXT) | instid1(VALU_DEP_2)
	v_cmp_eq_u32_e32 vcc_lo, 0, v7
	v_cndmask_b32_e32 v7, v8, v71, vcc_lo
; %bb.106:
	s_or_b32 exec_lo, exec_lo, s2
	v_and_b32_e32 v8, 0x7f800000, v72
	s_delay_alu instid0(VALU_DEP_1) | instskip(SKIP_1) | instid1(SALU_CYCLE_1)
	v_cmp_ne_u32_e32 vcc_lo, 0x7f800000, v8
                                        ; implicit-def: $vgpr8
	s_and_saveexec_b32 s2, vcc_lo
	s_xor_b32 s2, exec_lo, s2
; %bb.107:
	v_bfe_u32 v8, v72, 16, 1
	s_delay_alu instid0(VALU_DEP_1)
	v_add3_u32 v8, v72, v8, 0x7fff
                                        ; implicit-def: $vgpr65_vgpr66_vgpr67_vgpr68_vgpr69_vgpr70_vgpr71_vgpr72
; %bb.108:
	s_and_not1_saveexec_b32 s2, s2
; %bb.109:
	v_and_b32_e32 v8, 0xffff, v72
	v_or_b32_e32 v9, 0x10000, v72
	s_delay_alu instid0(VALU_DEP_2) | instskip(NEXT) | instid1(VALU_DEP_2)
	v_cmp_eq_u32_e32 vcc_lo, 0, v8
	v_cndmask_b32_e32 v8, v9, v72, vcc_lo
; %bb.110:
	s_or_b32 exec_lo, exec_lo, s2
	s_delay_alu instid0(VALU_DEP_1)
	v_perm_b32 v7, v8, v7, 0x7060302
	v_perm_b32 v6, v6, v5, 0x7060302
	v_perm_b32 v5, v4, v3, 0x7060302
	v_perm_b32 v4, v2, v1, 0x7060302
	s_barrier
	buffer_gl0_inv
	v_cmp_eq_u32_e32 vcc_lo, 1, v78
	ds_store_b128 v76, v[4:7]
	s_waitcnt lgkmcnt(0)
	s_barrier
	buffer_gl0_inv
	ds_load_b128 v[1:4], v82
	ds_load_b128 v[5:8], v82 offset:16
	v_cmp_eq_u32_e64 s2, 1, v79
	v_cmp_eq_u32_e64 s3, 2, v78
	;; [unrolled: 1-line block ×5, first 2 shown]
	s_waitcnt lgkmcnt(1)
	v_lshrrev_b32_e32 v9, 16, v1
	s_waitcnt lgkmcnt(0)
	v_lshrrev_b32_e32 v13, 16, v5
	v_lshrrev_b32_e32 v10, 16, v2
	;; [unrolled: 1-line block ×4, first 2 shown]
	v_cndmask_b32_e64 v19, v1, v9, s2
	v_cndmask_b32_e32 v18, v5, v13, vcc_lo
	v_cndmask_b32_e64 v20, v5, v13, s2
	v_cndmask_b32_e32 v17, v1, v9, vcc_lo
	v_cmp_eq_u32_e32 vcc_lo, 2, v79
	v_lshrrev_b32_e32 v15, 16, v7
	v_cmp_eq_u32_e64 s2, 1, v77
	v_lshrrev_b32_e32 v12, 16, v4
	v_lshrrev_b32_e32 v16, 16, v8
	v_cndmask_b32_e32 v20, v20, v6, vcc_lo
	v_cndmask_b32_e64 v17, v17, v2, s3
	v_cndmask_b32_e32 v19, v19, v2, vcc_lo
	v_cndmask_b32_e64 v18, v18, v6, s3
	v_cmp_eq_u32_e32 vcc_lo, 4, v78
	v_cmp_eq_u32_e64 s3, 3, v79
	v_cndmask_b32_e64 v17, v17, v10, s4
	v_cndmask_b32_e64 v21, v1, v9, s2
	;; [unrolled: 1-line block ×5, first 2 shown]
	v_cndmask_b32_e32 v17, v17, v3, vcc_lo
	v_cndmask_b32_e64 v20, v20, v14, s3
	v_cndmask_b32_e32 v18, v18, v7, vcc_lo
	v_cmp_eq_u32_e32 vcc_lo, 4, v79
	v_cmp_eq_u32_e64 s3, 5, v79
	v_cmp_eq_u32_e64 s2, 2, v81
	v_cndmask_b32_e64 v21, v21, v2, s6
	v_cmp_eq_u32_e64 s4, 5, v78
	v_cndmask_b32_e32 v19, v19, v3, vcc_lo
	v_cndmask_b32_e32 v20, v20, v7, vcc_lo
	v_cmp_eq_u32_e32 vcc_lo, 6, v79
	s_delay_alu instid0(VALU_DEP_4) | instskip(NEXT) | instid1(VALU_DEP_4)
	v_cndmask_b32_e64 v17, v17, v11, s4
	v_cndmask_b32_e64 v19, v19, v11, s3
	s_delay_alu instid0(VALU_DEP_4) | instskip(SKIP_1) | instid1(VALU_DEP_3)
	v_cndmask_b32_e64 v20, v20, v15, s3
	v_cmp_eq_u32_e64 s3, 1, v81
	v_cndmask_b32_e32 v19, v19, v4, vcc_lo
	v_cndmask_b32_e64 v18, v18, v15, s4
	s_delay_alu instid0(VALU_DEP_3)
	v_cndmask_b32_e64 v1, v1, v9, s3
	v_cndmask_b32_e64 v5, v5, v13, s3
	v_cmp_eq_u32_e64 s3, 3, v77
	v_cndmask_b32_e64 v13, v22, v6, s6
	v_cmp_eq_u32_e64 s6, 3, v81
	v_cndmask_b32_e64 v1, v1, v2, s2
	v_cndmask_b32_e64 v2, v5, v6, s2
	v_cndmask_b32_e64 v9, v21, v10, s3
	v_cmp_eq_u32_e64 s2, 4, v77
	v_cndmask_b32_e64 v6, v13, v14, s3
	v_cndmask_b32_e64 v1, v1, v10, s6
	v_cmp_eq_u32_e64 s3, 4, v81
	v_cndmask_b32_e64 v2, v2, v14, s6
	v_cndmask_b32_e64 v5, v9, v3, s2
	;; [unrolled: 3-line block ×3, first 2 shown]
	v_cndmask_b32_e64 v2, v2, v7, s3
	v_cmp_eq_u32_e64 s2, 5, v81
	v_cmp_eq_u32_e64 s4, 6, v78
	v_cndmask_b32_e64 v5, v5, v11, s6
	v_cmp_eq_u32_e64 s3, 6, v77
	v_cndmask_b32_e64 v3, v6, v15, s6
	v_cndmask_b32_e64 v1, v1, v11, s2
	v_cmp_eq_u32_e64 s6, 6, v81
	v_cndmask_b32_e64 v2, v2, v15, s2
	v_cndmask_b32_e64 v17, v17, v4, s4
	v_cndmask_b32_e64 v18, v18, v8, s4
	v_cmp_eq_u32_e64 s4, 7, v78
	v_cndmask_b32_e64 v5, v5, v4, s3
	;; [unrolled: 4-line block ×3, first 2 shown]
	v_cmp_eq_u32_e64 s3, 7, v77
	v_cndmask_b32_e32 v4, v20, v8, vcc_lo
	v_cndmask_b32_e64 v17, v17, v12, s4
	v_cndmask_b32_e64 v19, v19, v12, s5
	;; [unrolled: 1-line block ×8, first 2 shown]
	s_mov_b32 s2, exec_lo
	v_perm_b32 v4, v2, v1, 0x5040100
	v_perm_b32 v3, v3, v5, 0x5040100
	v_perm_b32 v2, v6, v19, 0x5040100
	v_perm_b32 v1, v7, v17, 0x5040100
	ds_store_b128 v76, v[1:4]
	s_waitcnt lgkmcnt(0)
	s_barrier
	buffer_gl0_inv
	v_cmpx_gt_u32_e32 32, v0
	s_cbranch_execz .LBB1847_2
; %bb.111:
	s_load_b64 s[0:1], s[0:1], 0x68
	s_lshl_b32 s4, s34, 7
	v_or_b32_e32 v2, s29, v74
	s_mul_i32 s2, s4, s30
	v_lshlrev_b32_e32 v0, 10, v0
	s_mul_i32 s2, s2, s7
	v_lshlrev_b32_e32 v1, 4, v75
	s_ashr_i32 s3, s2, 31
	v_mul_lo_u32 v20, v2, s4
	s_lshl_b64 s[2:3], s[2:3], 1
	v_lshlrev_b32_e32 v3, 6, v74
	v_and_b32_e32 v0, 0x3800, v0
	s_delay_alu instid0(VALU_DEP_1) | instskip(NEXT) | instid1(VALU_DEP_4)
	v_or3_b32 v16, v0, v1, v3
	v_ashrrev_i32_e32 v21, 31, v20
	ds_load_b128 v[0:3], v16
	ds_load_b128 v[4:7], v16 offset:128
	s_waitcnt lgkmcnt(0)
	s_add_u32 s2, s0, s2
	s_addc_u32 s3, s1, s3
	s_lshl_b32 s0, s14, 7
	ds_load_b128 v[8:11], v16 offset:256
	ds_load_b128 v[12:15], v16 offset:384
	;; [unrolled: 1-line block ×3, first 2 shown]
	s_ashr_i32 s1, s0, 31
	s_delay_alu instid0(SALU_CYCLE_1) | instskip(NEXT) | instid1(SALU_CYCLE_1)
	s_lshl_b64 s[0:1], s[0:1], 1
	s_add_u32 s0, s2, s0
	s_addc_u32 s1, s3, s1
	s_lshl_b32 s2, s34, 8
	v_add_co_u32 v30, s0, s0, v73
	v_add_nc_u32_e32 v22, s2, v20
	v_lshlrev_b64 v[20:21], 1, v[20:21]
	v_add_co_ci_u32_e64 v31, null, s1, 0, s0
	s_delay_alu instid0(VALU_DEP_3) | instskip(SKIP_1) | instid1(VALU_DEP_4)
	v_add_nc_u32_e32 v24, s2, v22
	v_ashrrev_i32_e32 v23, 31, v22
	v_add_co_u32 v20, vcc_lo, v30, v20
	s_delay_alu instid0(VALU_DEP_4) | instskip(NEXT) | instid1(VALU_DEP_4)
	v_add_co_ci_u32_e32 v21, vcc_lo, v31, v21, vcc_lo
	v_add_nc_u32_e32 v26, s2, v24
	v_ashrrev_i32_e32 v25, 31, v24
	v_lshlrev_b64 v[22:23], 1, v[22:23]
	s_delay_alu instid0(VALU_DEP_3) | instskip(SKIP_1) | instid1(VALU_DEP_4)
	v_add_nc_u32_e32 v28, s2, v26
	v_ashrrev_i32_e32 v27, 31, v26
	v_lshlrev_b64 v[24:25], 1, v[24:25]
	s_delay_alu instid0(VALU_DEP_4) | instskip(NEXT) | instid1(VALU_DEP_4)
	v_add_co_u32 v22, vcc_lo, v30, v22
	v_ashrrev_i32_e32 v29, 31, v28
	s_delay_alu instid0(VALU_DEP_4) | instskip(SKIP_2) | instid1(VALU_DEP_4)
	v_lshlrev_b64 v[26:27], 1, v[26:27]
	v_add_co_ci_u32_e32 v23, vcc_lo, v31, v23, vcc_lo
	v_add_co_u32 v24, vcc_lo, v30, v24
	v_lshlrev_b64 v[28:29], 1, v[28:29]
	v_add_co_ci_u32_e32 v25, vcc_lo, v31, v25, vcc_lo
	v_add_co_u32 v26, vcc_lo, v30, v26
	v_add_co_ci_u32_e32 v27, vcc_lo, v31, v27, vcc_lo
	s_delay_alu instid0(VALU_DEP_4)
	v_add_co_u32 v28, vcc_lo, v30, v28
	v_add_co_ci_u32_e32 v29, vcc_lo, v31, v29, vcc_lo
	s_clause 0x1
	global_store_b128 v[20:21], v[0:3], off
	global_store_b128 v[22:23], v[4:7], off
	s_waitcnt lgkmcnt(2)
	global_store_b128 v[24:25], v[8:11], off
	s_waitcnt lgkmcnt(1)
	;; [unrolled: 2-line block ×3, first 2 shown]
	global_store_b128 v[28:29], v[16:19], off
	s_nop 0
	s_sendmsg sendmsg(MSG_DEALLOC_VGPRS)
	s_endpgm
	.section	.rodata,"a",@progbits
	.p2align	6, 0x0
	.amdhsa_kernel _Z39paged_attention_ll4mi_QKV_mfma16_kernelI14__hip_bfloat16hLN4vllm18Fp8KVCacheDataTypeE1ES0_Li16ELi128ELi256ELb0ELi10EL8MFMAType0EEvPKT_PKT0_S9_ifPKiSB_SB_iPKfiiiPfSE_PS4_PT2_iSD_SD_
		.amdhsa_group_segment_fixed_size 17472
		.amdhsa_private_segment_fixed_size 0
		.amdhsa_kernarg_size 400
		.amdhsa_user_sgpr_count 13
		.amdhsa_user_sgpr_dispatch_ptr 0
		.amdhsa_user_sgpr_queue_ptr 0
		.amdhsa_user_sgpr_kernarg_segment_ptr 1
		.amdhsa_user_sgpr_dispatch_id 0
		.amdhsa_user_sgpr_private_segment_size 0
		.amdhsa_wavefront_size32 1
		.amdhsa_uses_dynamic_stack 0
		.amdhsa_enable_private_segment 0
		.amdhsa_system_sgpr_workgroup_id_x 1
		.amdhsa_system_sgpr_workgroup_id_y 1
		.amdhsa_system_sgpr_workgroup_id_z 1
		.amdhsa_system_sgpr_workgroup_info 0
		.amdhsa_system_vgpr_workitem_id 0
		.amdhsa_next_free_vgpr 140
		.amdhsa_next_free_sgpr 36
		.amdhsa_reserve_vcc 1
		.amdhsa_float_round_mode_32 0
		.amdhsa_float_round_mode_16_64 0
		.amdhsa_float_denorm_mode_32 3
		.amdhsa_float_denorm_mode_16_64 3
		.amdhsa_dx10_clamp 1
		.amdhsa_ieee_mode 1
		.amdhsa_fp16_overflow 0
		.amdhsa_workgroup_processor_mode 1
		.amdhsa_memory_ordered 1
		.amdhsa_forward_progress 0
		.amdhsa_shared_vgpr_count 0
		.amdhsa_exception_fp_ieee_invalid_op 0
		.amdhsa_exception_fp_denorm_src 0
		.amdhsa_exception_fp_ieee_div_zero 0
		.amdhsa_exception_fp_ieee_overflow 0
		.amdhsa_exception_fp_ieee_underflow 0
		.amdhsa_exception_fp_ieee_inexact 0
		.amdhsa_exception_int_div_zero 0
	.end_amdhsa_kernel
	.section	.text._Z39paged_attention_ll4mi_QKV_mfma16_kernelI14__hip_bfloat16hLN4vllm18Fp8KVCacheDataTypeE1ES0_Li16ELi128ELi256ELb0ELi10EL8MFMAType0EEvPKT_PKT0_S9_ifPKiSB_SB_iPKfiiiPfSE_PS4_PT2_iSD_SD_,"axG",@progbits,_Z39paged_attention_ll4mi_QKV_mfma16_kernelI14__hip_bfloat16hLN4vllm18Fp8KVCacheDataTypeE1ES0_Li16ELi128ELi256ELb0ELi10EL8MFMAType0EEvPKT_PKT0_S9_ifPKiSB_SB_iPKfiiiPfSE_PS4_PT2_iSD_SD_,comdat
.Lfunc_end1847:
	.size	_Z39paged_attention_ll4mi_QKV_mfma16_kernelI14__hip_bfloat16hLN4vllm18Fp8KVCacheDataTypeE1ES0_Li16ELi128ELi256ELb0ELi10EL8MFMAType0EEvPKT_PKT0_S9_ifPKiSB_SB_iPKfiiiPfSE_PS4_PT2_iSD_SD_, .Lfunc_end1847-_Z39paged_attention_ll4mi_QKV_mfma16_kernelI14__hip_bfloat16hLN4vllm18Fp8KVCacheDataTypeE1ES0_Li16ELi128ELi256ELb0ELi10EL8MFMAType0EEvPKT_PKT0_S9_ifPKiSB_SB_iPKfiiiPfSE_PS4_PT2_iSD_SD_
                                        ; -- End function
	.section	.AMDGPU.csdata,"",@progbits
; Kernel info:
; codeLenInByte = 8908
; NumSgprs: 38
; NumVgprs: 140
; ScratchSize: 0
; MemoryBound: 0
; FloatMode: 240
; IeeeMode: 1
; LDSByteSize: 17472 bytes/workgroup (compile time only)
; SGPRBlocks: 4
; VGPRBlocks: 17
; NumSGPRsForWavesPerEU: 38
; NumVGPRsForWavesPerEU: 140
; Occupancy: 10
; WaveLimiterHint : 1
; COMPUTE_PGM_RSRC2:SCRATCH_EN: 0
; COMPUTE_PGM_RSRC2:USER_SGPR: 13
; COMPUTE_PGM_RSRC2:TRAP_HANDLER: 0
; COMPUTE_PGM_RSRC2:TGID_X_EN: 1
; COMPUTE_PGM_RSRC2:TGID_Y_EN: 1
; COMPUTE_PGM_RSRC2:TGID_Z_EN: 1
; COMPUTE_PGM_RSRC2:TIDIG_COMP_CNT: 0
	.section	.text._Z39paged_attention_ll4mi_QKV_mfma16_kernelI14__hip_bfloat16hLN4vllm18Fp8KVCacheDataTypeE1ES0_Li16ELi128ELi256ELb0ELi11EL8MFMAType0EEvPKT_PKT0_S9_ifPKiSB_SB_iPKfiiiPfSE_PS4_PT2_iSD_SD_,"axG",@progbits,_Z39paged_attention_ll4mi_QKV_mfma16_kernelI14__hip_bfloat16hLN4vllm18Fp8KVCacheDataTypeE1ES0_Li16ELi128ELi256ELb0ELi11EL8MFMAType0EEvPKT_PKT0_S9_ifPKiSB_SB_iPKfiiiPfSE_PS4_PT2_iSD_SD_,comdat
	.protected	_Z39paged_attention_ll4mi_QKV_mfma16_kernelI14__hip_bfloat16hLN4vllm18Fp8KVCacheDataTypeE1ES0_Li16ELi128ELi256ELb0ELi11EL8MFMAType0EEvPKT_PKT0_S9_ifPKiSB_SB_iPKfiiiPfSE_PS4_PT2_iSD_SD_ ; -- Begin function _Z39paged_attention_ll4mi_QKV_mfma16_kernelI14__hip_bfloat16hLN4vllm18Fp8KVCacheDataTypeE1ES0_Li16ELi128ELi256ELb0ELi11EL8MFMAType0EEvPKT_PKT0_S9_ifPKiSB_SB_iPKfiiiPfSE_PS4_PT2_iSD_SD_
	.globl	_Z39paged_attention_ll4mi_QKV_mfma16_kernelI14__hip_bfloat16hLN4vllm18Fp8KVCacheDataTypeE1ES0_Li16ELi128ELi256ELb0ELi11EL8MFMAType0EEvPKT_PKT0_S9_ifPKiSB_SB_iPKfiiiPfSE_PS4_PT2_iSD_SD_
	.p2align	8
	.type	_Z39paged_attention_ll4mi_QKV_mfma16_kernelI14__hip_bfloat16hLN4vllm18Fp8KVCacheDataTypeE1ES0_Li16ELi128ELi256ELb0ELi11EL8MFMAType0EEvPKT_PKT0_S9_ifPKiSB_SB_iPKfiiiPfSE_PS4_PT2_iSD_SD_,@function
_Z39paged_attention_ll4mi_QKV_mfma16_kernelI14__hip_bfloat16hLN4vllm18Fp8KVCacheDataTypeE1ES0_Li16ELi128ELi256ELb0ELi11EL8MFMAType0EEvPKT_PKT0_S9_ifPKiSB_SB_iPKfiiiPfSE_PS4_PT2_iSD_SD_: ; @_Z39paged_attention_ll4mi_QKV_mfma16_kernelI14__hip_bfloat16hLN4vllm18Fp8KVCacheDataTypeE1ES0_Li16ELi128ELi256ELb0ELi11EL8MFMAType0EEvPKT_PKT0_S9_ifPKiSB_SB_iPKfiiiPfSE_PS4_PT2_iSD_SD_
; %bb.0:
	s_load_b64 s[4:5], s[0:1], 0x30
	s_mov_b32 s30, s13
	s_waitcnt lgkmcnt(0)
	s_cmp_lg_u64 s[4:5], 0
	s_cselect_b32 s13, -1, 0
	s_ashr_i32 s31, s30, 31
	s_cmp_eq_u64 s[4:5], 0
	s_cbranch_scc1 .LBB1848_3
; %bb.1:
	s_lshl_b64 s[2:3], s[30:31], 2
	s_delay_alu instid0(SALU_CYCLE_1) | instskip(SKIP_4) | instid1(SALU_CYCLE_1)
	s_add_u32 s2, s4, s2
	s_addc_u32 s3, s5, s3
	s_load_b64 s[2:3], s[2:3], 0x0
	s_waitcnt lgkmcnt(0)
	s_sub_i32 s2, s3, s2
	s_cmp_eq_u32 s2, 1
	s_cselect_b32 s2, -1, 0
	s_delay_alu instid0(SALU_CYCLE_1)
	s_and_not1_b32 vcc_lo, exec_lo, s2
	s_cbranch_vccz .LBB1848_4
.LBB1848_2:
	s_nop 0
	s_sendmsg sendmsg(MSG_DEALLOC_VGPRS)
	s_endpgm
.LBB1848_3:
.LBB1848_4:
	s_load_b64 s[2:3], s[0:1], 0x28
	s_lshl_b64 s[6:7], s[30:31], 2
	s_waitcnt lgkmcnt(0)
	s_add_u32 s2, s2, s6
	s_addc_u32 s3, s3, s7
	s_lshl_b32 s12, s14, 8
	s_load_b32 s17, s[2:3], 0x0
	s_waitcnt lgkmcnt(0)
	s_cmp_ge_i32 s12, s17
	s_cbranch_scc1 .LBB1848_2
; %bb.5:
	s_clause 0x1
	s_load_b128 s[8:11], s[0:1], 0x8
	s_load_b64 s[2:3], s[0:1], 0x20
	s_and_not1_b32 vcc_lo, exec_lo, s13
	s_cbranch_vccnz .LBB1848_7
; %bb.6:
	s_add_u32 s4, s4, s6
	s_addc_u32 s5, s5, s7
	s_load_b32 s13, s[4:5], 0x0
	s_branch .LBB1848_8
.LBB1848_7:
	s_mov_b32 s13, s30
.LBB1848_8:
	s_load_b128 s[4:7], s[0:1], 0x48
	v_and_b32_e32 v65, 15, v0
	v_lshrrev_b32_e32 v66, 5, v0
	v_bfe_u32 v74, v0, 4, 1
	v_and_b32_e32 v67, 31, v0
	v_and_b32_e32 v75, 1, v0
	v_lshlrev_b32_e32 v2, 3, v65
	s_mul_i32 s31, s15, 11
	v_lshl_or_b32 v1, v66, 1, v74
	s_waitcnt lgkmcnt(0)
	s_mov_b32 s7, exec_lo
	v_lshlrev_b32_e32 v73, 1, v2
	s_delay_alu instid0(VALU_DEP_2)
	v_cmpx_gt_u32_e32 11, v1
	s_cbranch_execz .LBB1848_10
; %bb.9:
	s_load_b64 s[18:19], s[0:1], 0x0
	v_add_lshl_u32 v2, v1, s31, 7
	s_mul_hi_i32 s21, s13, s4
	s_mul_i32 s20, s13, s4
	v_lshlrev_b32_e32 v6, 10, v65
	s_lshl_b64 s[20:21], s[20:21], 1
	v_ashrrev_i32_e32 v3, 31, v2
	v_lshlrev_b32_e32 v1, 6, v1
	v_lshlrev_b32_e32 v7, 10, v75
	v_and_b32_e32 v6, 0x3800, v6
	s_delay_alu instid0(VALU_DEP_4) | instskip(NEXT) | instid1(VALU_DEP_2)
	v_lshlrev_b64 v[2:3], 1, v[2:3]
	v_or3_b32 v1, v6, v7, v1
	s_waitcnt lgkmcnt(0)
	s_add_u32 s4, s18, s20
	s_addc_u32 s13, s19, s21
	s_delay_alu instid0(VALU_DEP_2) | instskip(SKIP_1) | instid1(VALU_DEP_2)
	v_add_co_u32 v2, vcc_lo, s4, v2
	v_add_co_ci_u32_e32 v3, vcc_lo, s13, v3, vcc_lo
	v_add_co_u32 v2, vcc_lo, v2, v73
	s_delay_alu instid0(VALU_DEP_2)
	v_add_co_ci_u32_e32 v3, vcc_lo, 0, v3, vcc_lo
	global_load_b128 v[2:5], v[2:3], off
	s_waitcnt vmcnt(0)
	ds_store_b128 v1, v[2:5]
.LBB1848_10:
	s_or_b32 exec_lo, exec_lo, s7
	v_and_b32_e32 v1, 0xef, v0
	s_add_i32 s4, s17, 15
	s_clause 0x1
	s_load_b32 s7, s[0:1], 0x38
	s_load_b32 s18, s[0:1], 0x1c
	s_ashr_i32 s13, s4, 31
	v_add_nc_u32_e32 v1, s12, v1
	s_lshr_b32 s13, s13, 28
	s_waitcnt lgkmcnt(0)
	s_add_i32 s4, s4, s13
	s_barrier
	v_ashrrev_i32_e32 v2, 31, v1
	v_or_b32_e32 v3, 16, v1
	s_ashr_i32 s4, s4, 4
	v_cmp_gt_i32_e32 vcc_lo, s17, v1
	s_add_i32 s4, s4, -1
	v_lshrrev_b32_e32 v2, 28, v2
	buffer_gl0_inv
	s_mul_i32 s15, s15, s6
	v_add_nc_u32_e32 v4, v1, v2
	s_mul_i32 s20, s30, s7
	s_delay_alu instid0(SALU_CYCLE_1) | instskip(NEXT) | instid1(VALU_DEP_1)
	s_ashr_i32 s21, s20, 31
	v_ashrrev_i32_e32 v4, 4, v4
	v_add_nc_u32_e32 v2, v3, v2
	s_lshl_b64 s[20:21], s[20:21], 2
	s_delay_alu instid0(SALU_CYCLE_1) | instskip(NEXT) | instid1(VALU_DEP_2)
	s_add_u32 s13, s2, s20
	v_cndmask_b32_e32 v1, s4, v4, vcc_lo
	s_delay_alu instid0(VALU_DEP_2)
	v_ashrrev_i32_e32 v2, 4, v2
	v_cmp_gt_i32_e32 vcc_lo, s17, v3
	s_addc_u32 s16, s3, s21
	s_ashr_i32 s19, s15, 31
	s_add_u32 s26, s8, s15
	s_addc_u32 s27, s9, s19
	v_cndmask_b32_e32 v3, s4, v2, vcc_lo
	v_ashrrev_i32_e32 v2, 31, v1
	s_lshl_b32 s2, s14, 4
	s_delay_alu instid0(SALU_CYCLE_1) | instskip(NEXT) | instid1(VALU_DEP_2)
	s_ashr_i32 s3, s2, 31
	v_ashrrev_i32_e32 v4, 31, v3
	s_delay_alu instid0(VALU_DEP_2) | instskip(SKIP_1) | instid1(SALU_CYCLE_1)
	v_lshlrev_b64 v[1:2], 2, v[1:2]
	s_lshl_b64 s[2:3], s[2:3], 2
	s_add_u32 s2, s13, s2
	s_delay_alu instid0(VALU_DEP_2) | instskip(SKIP_1) | instid1(VALU_DEP_2)
	v_lshlrev_b64 v[3:4], 2, v[3:4]
	s_addc_u32 s3, s16, s3
	v_add_co_u32 v1, vcc_lo, s13, v1
	v_add_co_ci_u32_e32 v2, vcc_lo, s16, v2, vcc_lo
	s_delay_alu instid0(VALU_DEP_3) | instskip(NEXT) | instid1(VALU_DEP_4)
	v_add_co_u32 v3, vcc_lo, s13, v3
	v_add_co_ci_u32_e32 v4, vcc_lo, s16, v4, vcc_lo
	s_clause 0x1
	global_load_b32 v5, v[1:2], off
	global_load_b32 v3, v[3:4], off
	s_or_b32 s6, s12, 32
	v_cmp_gt_u32_e32 vcc_lo, 11, v65
	s_ashr_i32 s7, s6, 4
	s_cmp_lt_i32 s6, s17
	s_cselect_b32 s6, s7, s4
	s_delay_alu instid0(SALU_CYCLE_1) | instskip(NEXT) | instid1(SALU_CYCLE_1)
	s_ashr_i32 s7, s6, 31
	s_lshl_b64 s[6:7], s[6:7], 2
	s_delay_alu instid0(SALU_CYCLE_1) | instskip(SKIP_2) | instid1(SALU_CYCLE_1)
	s_add_u32 s6, s13, s6
	s_addc_u32 s7, s16, s7
	s_or_b32 s8, s12, 64
	s_ashr_i32 s9, s8, 4
	s_cmp_lt_i32 s8, s17
	s_cselect_b32 s8, s9, s4
	s_delay_alu instid0(SALU_CYCLE_1) | instskip(NEXT) | instid1(SALU_CYCLE_1)
	s_ashr_i32 s9, s8, 31
	s_lshl_b64 s[8:9], s[8:9], 2
	s_delay_alu instid0(SALU_CYCLE_1) | instskip(SKIP_2) | instid1(SALU_CYCLE_1)
	s_add_u32 s8, s13, s8
	s_addc_u32 s9, s16, s9
	s_or_b32 s20, s12, 0x60
	;; [unrolled: 10-line block ×4, first 2 shown]
	s_ashr_i32 s25, s24, 4
	s_cmp_lt_i32 s24, s17
	s_cselect_b32 s24, s25, s4
	s_delay_alu instid0(SALU_CYCLE_1) | instskip(NEXT) | instid1(SALU_CYCLE_1)
	s_ashr_i32 s25, s24, 31
	s_lshl_b64 s[24:25], s[24:25], 2
	s_delay_alu instid0(SALU_CYCLE_1)
	s_add_u32 s24, s13, s24
	s_addc_u32 s25, s16, s25
	s_clause 0x5
	s_load_b32 s28, s[2:3], 0x0
	s_load_b32 s29, s[6:7], 0x0
	s_load_b32 s8, s[8:9], 0x0
	s_load_b32 s9, s[20:21], 0x0
	s_load_b32 s33, s[22:23], 0x0
	s_load_b32 s34, s[24:25], 0x0
	s_mov_b32 s20, 0
	s_or_b32 s2, s12, 0xc0
	s_mov_b32 s21, s20
	s_mov_b32 s22, s20
	;; [unrolled: 1-line block ×5, first 2 shown]
	v_lshlrev_b32_e32 v1, 4, v0
	s_ashr_i32 s3, s2, 4
	s_cmp_lt_i32 s2, s17
	s_cselect_b32 s2, s3, s4
	s_delay_alu instid0(VALU_DEP_1) | instskip(SKIP_1) | instid1(SALU_CYCLE_1)
	v_and_b32_e32 v1, 0xf0, v1
	s_ashr_i32 s3, s2, 31
	s_lshl_b64 s[2:3], s[2:3], 2
	s_delay_alu instid0(VALU_DEP_1) | instskip(NEXT) | instid1(VALU_DEP_1)
	v_add_co_u32 v1, s26, s26, v1
	v_add_co_ci_u32_e64 v2, null, s27, 0, s26
	s_add_u32 s2, s13, s2
	s_addc_u32 s3, s16, s3
	s_or_b32 s6, s12, 0xe0
	s_mov_b32 s27, s20
	s_ashr_i32 s7, s6, 4
	s_cmp_lt_i32 s6, s17
	s_mov_b32 s26, s20
	v_dual_mov_b32 v107, s27 :: v_dual_mov_b32 v100, s20
	s_cselect_b32 s6, s7, s4
	v_mov_b32_e32 v106, s26
	s_ashr_i32 s7, s6, 31
	v_mov_b32_e32 v104, s24
	s_lshl_b64 s[6:7], s[6:7], 2
	v_dual_mov_b32 v103, s23 :: v_dual_mov_b32 v102, s22
	v_mov_b32_e32 v101, s21
	s_waitcnt vmcnt(1)
	v_mad_i64_i32 v[33:34], null, v5, s5, v[1:2]
	s_waitcnt vmcnt(0)
	v_mad_i64_i32 v[35:36], null, v3, s5, v[1:2]
	s_clause 0xf
	global_load_b128 v[1:4], v[33:34], off
	global_load_b128 v[5:8], v[33:34], off offset:256
	global_load_b128 v[9:12], v[35:36], off
	global_load_b128 v[13:16], v[35:36], off offset:256
	global_load_b128 v[17:20], v[33:34], off offset:512
	;; [unrolled: 1-line block ×13, first 2 shown]
	v_add_nc_u32_e32 v33, -11, v65
	v_lshlrev_b32_e32 v34, 4, v65
	s_delay_alu instid0(VALU_DEP_2) | instskip(SKIP_1) | instid1(VALU_DEP_3)
	v_cndmask_b32_e32 v33, v33, v65, vcc_lo
	v_mov_b32_e32 v105, s25
	v_lshl_or_b32 v41, v66, 8, v34
	s_delay_alu instid0(VALU_DEP_3)
	v_lshlrev_b32_e32 v72, 6, v33
	ds_load_b128 v[33:36], v72
	ds_load_b128 v[37:40], v72 offset:1024
	ds_load_b128 v[108:111], v72 offset:2048
	;; [unrolled: 1-line block ×3, first 2 shown]
	s_load_b32 s4, s[2:3], 0x0
	s_add_u32 s2, s13, s6
	s_addc_u32 s3, s16, s7
	ds_load_b128 v[116:119], v72 offset:4096
	ds_load_b128 v[120:123], v72 offset:5120
	s_load_b32 s2, s[2:3], 0x0
	s_add_u32 s6, s10, s15
	s_addc_u32 s7, s11, s19
	v_add_co_u32 v68, s6, s6, v41
	s_delay_alu instid0(VALU_DEP_1) | instskip(SKIP_1) | instid1(VALU_DEP_1)
	v_add_co_ci_u32_e64 v69, null, s7, 0, s6
	s_waitcnt lgkmcnt(0)
	v_mad_i64_i32 v[41:42], null, s28, s5, v[68:69]
	v_mad_i64_i32 v[70:71], null, s8, s5, v[68:69]
	;; [unrolled: 1-line block ×7, first 2 shown]
	s_clause 0x3
	global_load_b128 v[49:52], v[41:42], off
	global_load_b128 v[53:56], v[41:42], off offset:16
	global_load_b128 v[41:44], v[45:46], off
	global_load_b128 v[45:48], v[45:46], off offset:16
	s_waitcnt vmcnt(18)
	v_wmma_f32_16x16x16_bf16 v[124:131], v[1:8], v[33:40], v[100:107]
	s_waitcnt vmcnt(16)
	v_wmma_f32_16x16x16_bf16 v[100:107], v[9:16], v[33:40], v[100:107]
	s_clause 0x1
	global_load_b128 v[33:36], v[70:71], off
	global_load_b128 v[37:40], v[70:71], off offset:16
	v_mad_i64_i32 v[70:71], null, s2, s5, v[68:69]
	s_waitcnt vmcnt(16)
	v_wmma_f32_16x16x16_bf16 v[124:131], v[17:24], v[108:115], v[124:131]
	s_waitcnt vmcnt(14)
	v_wmma_f32_16x16x16_bf16 v[100:107], v[25:32], v[108:115], v[100:107]
	s_clause 0x7
	global_load_b128 v[25:28], v[132:133], off
	global_load_b128 v[29:32], v[132:133], off offset:16
	global_load_b128 v[1:4], v[134:135], off
	global_load_b128 v[5:8], v[134:135], off offset:16
	;; [unrolled: 2-line block ×4, first 2 shown]
	s_waitcnt vmcnt(20)
	v_wmma_f32_16x16x16_bf16 v[124:131], v[57:64], v[116:123], v[124:131]
	s_clause 0x1
	global_load_b128 v[57:60], v[70:71], off
	global_load_b128 v[61:64], v[70:71], off offset:16
	s_waitcnt vmcnt(20)
	v_wmma_f32_16x16x16_bf16 v[100:107], v[76:83], v[116:123], v[100:107]
	ds_load_b128 v[76:79], v72 offset:6144
	ds_load_b128 v[80:83], v72 offset:7168
	v_and_b32_e32 v68, 0xe0, v0
	v_mbcnt_lo_u32_b32 v69, -1, 0
	s_waitcnt vmcnt(0) lgkmcnt(0)
	s_barrier
	buffer_gl0_inv
	v_add_nc_u32_e32 v68, s12, v68
	v_xor_b32_e32 v70, 16, v69
	s_delay_alu instid0(VALU_DEP_2) | instskip(NEXT) | instid1(VALU_DEP_2)
	v_or_b32_e32 v68, v68, v74
	v_cmp_gt_i32_e32 vcc_lo, 32, v70
	s_delay_alu instid0(VALU_DEP_2)
	v_or_b32_e32 v71, 4, v68
	v_or_b32_e32 v72, 6, v68
	v_cmp_gt_i32_e64 s2, s17, v68
	v_or_b32_e32 v108, 8, v68
	v_wmma_f32_16x16x16_bf16 v[124:131], v[84:91], v[76:83], v[124:131]
	v_cndmask_b32_e32 v69, v69, v70, vcc_lo
	v_or_b32_e32 v70, 2, v68
	v_wmma_f32_16x16x16_bf16 v[100:107], v[92:99], v[76:83], v[100:107]
	v_or_b32_e32 v109, 10, v68
	v_dual_mul_f32 v82, s18, v127 :: v_dual_mul_f32 v79, s18, v130
	v_dual_mul_f32 v92, s18, v125 :: v_dual_mul_f32 v93, s18, v124
	s_delay_alu instid0(VALU_DEP_4)
	v_mul_f32_e32 v98, s18, v103
	v_cmp_gt_i32_e32 vcc_lo, s17, v70
	v_or_b32_e32 v89, 22, v68
	v_dual_mul_f32 v83, s18, v126 :: v_dual_mul_f32 v96, s18, v105
	v_cndmask_b32_e64 v93, 0xff7fffff, v93, s2
	v_cndmask_b32_e32 v92, 0xff7fffff, v92, vcc_lo
	v_cmp_gt_i32_e64 s3, s17, v71
	v_cmp_gt_i32_e64 s4, s17, v72
	v_or_b32_e32 v84, 12, v68
	v_or_b32_e32 v85, 14, v68
	v_dual_mul_f32 v80, s18, v129 :: v_dual_mul_f32 v81, s18, v128
	v_mul_f32_e32 v94, s18, v107
	v_cndmask_b32_e64 v71, 0xff7fffff, v83, s3
	v_cndmask_b32_e64 v72, 0xff7fffff, v82, s4
	v_cmp_gt_i32_e64 s5, s17, v108
	v_cmp_gt_i32_e64 s6, s17, v109
	;; [unrolled: 1-line block ×3, first 2 shown]
	v_lshlrev_b32_e32 v89, 2, v69
	v_max3_f32 v82, v93, 0xff7fffff, v92
	v_or_b32_e32 v86, 16, v68
	v_or_b32_e32 v87, 18, v68
	v_mul_f32_e32 v78, s18, v131
	v_cndmask_b32_e64 v81, 0xff7fffff, v81, s5
	v_cndmask_b32_e64 v80, 0xff7fffff, v80, s6
	v_max3_f32 v71, v82, v71, v72
	v_cmp_gt_i32_e64 s7, s17, v84
	v_cmp_gt_i32_e64 s8, s17, v85
	v_or_b32_e32 v88, 20, v68
	v_or_b32_e32 v90, 24, v68
	;; [unrolled: 1-line block ×5, first 2 shown]
	v_dual_mul_f32 v95, s18, v106 :: v_dual_mul_f32 v70, s18, v101
	v_dual_mul_f32 v99, s18, v102 :: v_dual_mul_f32 v68, s18, v100
	v_cndmask_b32_e64 v72, 0xff7fffff, v79, s7
	v_cndmask_b32_e64 v78, 0xff7fffff, v78, s8
	v_max3_f32 v71, v71, v81, v80
	v_cmp_gt_i32_e64 s9, s17, v86
	v_cmp_gt_i32_e64 s10, s17, v87
	;; [unrolled: 1-line block ×3, first 2 shown]
	v_mul_f32_e32 v97, s18, v104
	v_max3_f32 v71, v71, v72, v78
	v_cndmask_b32_e64 v68, 0xff7fffff, v68, s9
	v_cndmask_b32_e64 v70, 0xff7fffff, v70, s10
	;; [unrolled: 1-line block ×4, first 2 shown]
	v_cmp_gt_i32_e64 s13, s17, v90
	v_cmp_gt_i32_e64 s15, s17, v91
	v_max3_f32 v68, v71, v68, v70
	v_cmp_gt_i32_e64 s16, s17, v76
	v_cmp_gt_i32_e64 s17, s17, v77
	v_cndmask_b32_e64 v70, 0xff7fffff, v97, s13
	v_cndmask_b32_e64 v71, 0xff7fffff, v96, s15
	v_max3_f32 v68, v68, v72, v78
	v_cndmask_b32_e64 v72, 0xff7fffff, v95, s16
	v_cndmask_b32_e64 v76, 0xff7fffff, v94, s17
	s_delay_alu instid0(VALU_DEP_3) | instskip(NEXT) | instid1(VALU_DEP_1)
	v_max3_f32 v68, v68, v70, v71
	v_max3_f32 v68, v68, v72, v76
	ds_bpermute_b32 v69, v89, v68
	s_waitcnt lgkmcnt(0)
	v_max_f32_e32 v69, v69, v69
	s_delay_alu instid0(VALU_DEP_1) | instskip(NEXT) | instid1(VALU_DEP_1)
	v_max_f32_e32 v68, v68, v69
	v_fma_f32 v69, s18, v124, -v68
	v_fma_f32 v70, s18, v125, -v68
	;; [unrolled: 1-line block ×5, first 2 shown]
	s_delay_alu instid0(VALU_DEP_4) | instskip(NEXT) | instid1(VALU_DEP_4)
	v_dual_mul_f32 v69, 0x3fb8aa3b, v69 :: v_dual_mul_f32 v70, 0x3fb8aa3b, v70
	v_mul_f32_e32 v72, 0x3fb8aa3b, v72
	v_fma_f32 v78, s18, v130, -v68
	s_delay_alu instid0(VALU_DEP_4) | instskip(NEXT) | instid1(VALU_DEP_4)
	v_mul_f32_e32 v77, 0x3fb8aa3b, v76
	v_exp_f32_e32 v69, v69
	v_exp_f32_e32 v70, v70
	v_mul_f32_e32 v71, 0x3fb8aa3b, v71
	v_exp_f32_e32 v72, v72
	v_mul_f32_e32 v78, 0x3fb8aa3b, v78
	v_exp_f32_e32 v77, v77
	v_fma_f32 v81, s18, v105, -v68
	s_delay_alu instid0(VALU_DEP_2)
	v_exp_f32_e32 v78, v78
	v_cndmask_b32_e64 v80, 0, v69, s2
	v_cndmask_b32_e32 v76, 0, v70, vcc_lo
	v_exp_f32_e32 v71, v71
	v_fma_f32 v69, s18, v129, -v68
	v_cndmask_b32_e64 v85, 0, v72, s4
	v_add_f32_e32 v70, 0, v80
	s_delay_alu instid0(TRANS32_DEP_3)
	v_cndmask_b32_e64 v86, 0, v77, s5
	v_fma_f32 v77, s18, v101, -v68
	v_mul_f32_e32 v69, 0x3fb8aa3b, v69
	v_fma_f32 v72, s18, v100, -v68
	v_cndmask_b32_e64 v84, 0, v78, s7
	v_fma_f32 v78, s18, v103, -v68
	v_cndmask_b32_e64 v83, 0, v71, s3
	v_fma_f32 v71, s18, v131, -v68
	v_add_f32_e32 v70, v70, v76
	v_exp_f32_e32 v69, v69
	v_mul_f32_e32 v77, 0x3fb8aa3b, v77
	v_mul_f32_e32 v81, 0x3fb8aa3b, v81
	;; [unrolled: 1-line block ×3, first 2 shown]
	v_add_f32_e32 v70, v70, v83
	v_cmp_gt_u32_e64 s2, 16, v67
	v_exp_f32_e32 v77, v77
	v_exp_f32_e32 v81, v81
	;; [unrolled: 1-line block ×3, first 2 shown]
	v_cndmask_b32_e64 v87, 0, v69, s6
	v_add_f32_e32 v70, v70, v85
	s_delay_alu instid0(VALU_DEP_1) | instskip(SKIP_1) | instid1(VALU_DEP_2)
	v_dual_mul_f32 v72, 0x3fb8aa3b, v72 :: v_dual_add_f32 v69, v70, v86
	v_fma_f32 v70, s18, v102, -v68
	v_exp_f32_e32 v72, v72
	s_waitcnt_depctr 0xfff
	v_cndmask_b32_e64 v88, 0, v71, s8
	v_fma_f32 v71, s18, v104, -v68
	v_dual_add_f32 v69, v69, v87 :: v_dual_mul_f32 v70, 0x3fb8aa3b, v70
	s_delay_alu instid0(VALU_DEP_2) | instskip(NEXT) | instid1(VALU_DEP_2)
	v_dual_mul_f32 v78, 0x3fb8aa3b, v78 :: v_dual_mul_f32 v71, 0x3fb8aa3b, v71
	v_add_f32_e32 v69, v69, v84
	s_delay_alu instid0(VALU_DEP_3) | instskip(SKIP_1) | instid1(VALU_DEP_3)
	v_exp_f32_e32 v79, v70
	v_cndmask_b32_e64 v70, 0, v72, s9
	v_exp_f32_e32 v78, v78
	v_exp_f32_e32 v82, v71
	v_add_f32_e32 v72, v69, v88
	v_cndmask_b32_e64 v69, 0, v77, s10
	v_fma_f32 v77, s18, v106, -v68
	s_delay_alu instid0(VALU_DEP_3) | instskip(NEXT) | instid1(TRANS32_DEP_3)
	v_add_f32_e32 v72, v72, v70
	v_cndmask_b32_e64 v71, 0, v79, s11
	s_delay_alu instid0(VALU_DEP_3) | instskip(NEXT) | instid1(VALU_DEP_3)
	v_mul_f32_e32 v77, 0x3fb8aa3b, v77
	v_add_f32_e32 v79, v72, v69
	s_delay_alu instid0(TRANS32_DEP_2) | instskip(NEXT) | instid1(VALU_DEP_3)
	v_cndmask_b32_e64 v72, 0, v78, s12
	v_exp_f32_e32 v90, v77
	v_cndmask_b32_e64 v77, 0, v82, s13
	s_delay_alu instid0(VALU_DEP_3) | instskip(SKIP_1) | instid1(VALU_DEP_1)
	v_add_f32_e32 v78, v79, v71
	v_fma_f32 v79, s18, v107, -v68
	v_dual_add_f32 v82, v78, v72 :: v_dual_mul_f32 v79, 0x3fb8aa3b, v79
	v_cndmask_b32_e64 v78, 0, v81, s15
	s_delay_alu instid0(VALU_DEP_2) | instskip(NEXT) | instid1(VALU_DEP_3)
	v_add_f32_e32 v81, v82, v77
	v_exp_f32_e32 v82, v79
	s_delay_alu instid0(TRANS32_DEP_2) | instskip(NEXT) | instid1(VALU_DEP_2)
	v_cndmask_b32_e64 v79, 0, v90, s16
	v_add_f32_e32 v81, v81, v78
	s_delay_alu instid0(VALU_DEP_1) | instskip(SKIP_2) | instid1(VALU_DEP_1)
	v_add_f32_e32 v90, v81, v79
	s_waitcnt_depctr 0xfff
	v_cndmask_b32_e64 v81, 0, v82, s17
	v_add_f32_e32 v82, v90, v81
	ds_bpermute_b32 v89, v89, v82
	s_and_saveexec_b32 s3, s2
	s_cbranch_execz .LBB1848_12
; %bb.11:
	v_mul_u32_u24_e32 v67, 0x44, v66
	s_delay_alu instid0(VALU_DEP_1) | instskip(SKIP_1) | instid1(VALU_DEP_1)
	v_lshl_add_u32 v67, v65, 2, v67
	s_waitcnt lgkmcnt(0)
	v_dual_add_f32 v82, v82, v89 :: v_dual_add_nc_u32 v67, 0x4000, v67
	ds_store_2addr_b32 v67, v68, v82 offset1:136
.LBB1848_12:
	s_or_b32 exec_lo, exec_lo, s3
	v_lshlrev_b32_e32 v67, 2, v65
	s_waitcnt lgkmcnt(0)
	s_barrier
	buffer_gl0_inv
	v_cmp_eq_u32_e32 vcc_lo, 1, v66
	v_add_nc_u32_e32 v82, 0x4000, v67
	v_cmp_eq_u32_e64 s3, 2, v66
	v_cmp_eq_u32_e64 s5, 7, v66
	ds_load_2addr_b32 v[89:90], v82 offset1:17
	ds_load_2addr_b32 v[91:92], v82 offset0:34 offset1:51
	ds_load_2addr_b32 v[93:94], v82 offset0:68 offset1:85
	;; [unrolled: 1-line block ×4, first 2 shown]
	s_waitcnt lgkmcnt(4)
	v_max3_f32 v67, v89, 0xff7fffff, v90
	s_waitcnt lgkmcnt(3)
	s_delay_alu instid0(VALU_DEP_1) | instskip(SKIP_1) | instid1(VALU_DEP_1)
	v_max3_f32 v67, v67, v91, v92
	s_waitcnt lgkmcnt(2)
	v_max3_f32 v67, v67, v93, v94
	s_waitcnt lgkmcnt(1)
	s_delay_alu instid0(VALU_DEP_1) | instskip(NEXT) | instid1(VALU_DEP_1)
	v_max3_f32 v67, v67, v95, v96
	v_sub_f32_e32 v93, v93, v67
	s_delay_alu instid0(VALU_DEP_1) | instskip(NEXT) | instid1(VALU_DEP_1)
	v_dual_sub_f32 v68, v89, v67 :: v_dual_mul_f32 v103, 0x3fb8aa3b, v93
	v_mul_f32_e32 v68, 0x3fb8aa3b, v68
	s_delay_alu instid0(VALU_DEP_1)
	v_exp_f32_e32 v100, v68
	v_sub_f32_e32 v68, v92, v67
	v_sub_f32_e32 v99, v90, v67
	ds_load_2addr_b32 v[89:90], v82 offset0:170 offset1:187
	v_dual_mul_f32 v102, 0x3fb8aa3b, v68 :: v_dual_mul_f32 v99, 0x3fb8aa3b, v99
	s_waitcnt lgkmcnt(1)
	v_fma_f32 v68, v100, v97, 0
	s_delay_alu instid0(VALU_DEP_2) | instskip(NEXT) | instid1(VALU_DEP_2)
	v_exp_f32_e32 v102, v102
	v_exp_f32_e32 v99, v99
	s_waitcnt_depctr 0xfff
	v_fmac_f32_e32 v68, v99, v98
	v_sub_f32_e32 v91, v91, v67
	s_delay_alu instid0(VALU_DEP_1)
	v_mul_f32_e32 v101, 0x3fb8aa3b, v91
	ds_load_2addr_b32 v[91:92], v82 offset0:204 offset1:221
	v_sub_f32_e32 v97, v94, v67
	ds_load_2addr_b32 v[93:94], v82 offset0:238 offset1:255
	s_waitcnt lgkmcnt(0)
	v_exp_f32_e32 v101, v101
	s_barrier
	buffer_gl0_inv
	v_dual_fmac_f32 v68, v101, v89 :: v_dual_sub_f32 v89, v96, v67
	v_dual_sub_f32 v82, v95, v67 :: v_dual_mul_f32 v95, 0x3fb8aa3b, v97
	v_exp_f32_e32 v97, v103
	s_delay_alu instid0(VALU_DEP_2) | instskip(NEXT) | instid1(VALU_DEP_2)
	v_dual_fmac_f32 v68, v102, v90 :: v_dual_mul_f32 v89, 0x3fb8aa3b, v89
	v_mul_f32_e32 v82, 0x3fb8aa3b, v82
	s_delay_alu instid0(VALU_DEP_3) | instskip(NEXT) | instid1(VALU_DEP_2)
	v_exp_f32_e32 v95, v95
	v_exp_f32_e32 v89, v89
	s_delay_alu instid0(VALU_DEP_1)
	v_exp_f32_e32 v82, v82
	v_fmac_f32_e32 v68, v97, v91
	s_delay_alu instid0(TRANS32_DEP_3) | instid1(VALU_DEP_1)
	v_fmac_f32_e32 v68, v95, v92
	s_waitcnt_depctr 0xfff
	v_fmac_f32_e32 v68, v82, v93
	s_delay_alu instid0(VALU_DEP_1) | instskip(NEXT) | instid1(VALU_DEP_1)
	v_fmac_f32_e32 v68, v89, v94
	v_add_f32_e32 v90, 0x358637bd, v68
	s_delay_alu instid0(VALU_DEP_1) | instskip(NEXT) | instid1(VALU_DEP_1)
	v_div_scale_f32 v91, null, v90, v90, 1.0
	v_rcp_f32_e32 v92, v91
	s_waitcnt_depctr 0xfff
	v_fma_f32 v93, -v91, v92, 1.0
	s_delay_alu instid0(VALU_DEP_1) | instskip(SKIP_1) | instid1(VALU_DEP_2)
	v_dual_fmac_f32 v92, v93, v92 :: v_dual_cndmask_b32 v93, v100, v99
	v_cmp_eq_u32_e32 vcc_lo, 3, v66
	v_cndmask_b32_e64 v93, v93, v101, s3
	v_cmp_eq_u32_e64 s3, 4, v66
	s_delay_alu instid0(VALU_DEP_2) | instskip(SKIP_1) | instid1(VALU_DEP_2)
	v_cndmask_b32_e32 v93, v93, v102, vcc_lo
	v_cmp_eq_u32_e32 vcc_lo, 5, v66
	v_cndmask_b32_e64 v93, v93, v97, s3
	v_cmp_eq_u32_e64 s3, 6, v66
	s_delay_alu instid0(VALU_DEP_2) | instskip(SKIP_1) | instid1(VALU_DEP_1)
	v_cndmask_b32_e32 v93, v93, v95, vcc_lo
	v_div_scale_f32 v94, s4, 1.0, v90, 1.0
	s_mov_b32 vcc_lo, s4
	s_delay_alu instid0(VALU_DEP_2) | instskip(NEXT) | instid1(VALU_DEP_2)
	v_cndmask_b32_e64 v82, v93, v82, s3
	v_mul_f32_e32 v96, v94, v92
	s_mov_b32 s3, exec_lo
	s_delay_alu instid0(VALU_DEP_2) | instskip(NEXT) | instid1(VALU_DEP_2)
	v_cndmask_b32_e64 v82, v82, v89, s5
	v_fma_f32 v98, -v91, v96, v94
	s_delay_alu instid0(VALU_DEP_1) | instskip(NEXT) | instid1(VALU_DEP_1)
	v_fmac_f32_e32 v96, v98, v92
	v_fma_f32 v91, -v91, v96, v94
	s_delay_alu instid0(VALU_DEP_1) | instskip(NEXT) | instid1(VALU_DEP_1)
	v_div_fmas_f32 v91, v91, v92, v96
	v_div_fixup_f32 v90, v91, v90, 1.0
	s_delay_alu instid0(VALU_DEP_1) | instskip(NEXT) | instid1(VALU_DEP_1)
	v_mul_f32_e32 v82, v82, v90
	v_mul_f32_e32 v87, v82, v87
	;; [unrolled: 1-line block ×7, first 2 shown]
	v_dual_mul_f32 v86, v82, v83 :: v_dual_and_b32 v91, 0x7f800000, v90
	v_mul_f32_e32 v85, v82, v76
                                        ; implicit-def: $vgpr76
	s_delay_alu instid0(VALU_DEP_2)
	v_cmpx_ne_u32_e32 0x7f800000, v91
	s_xor_b32 s3, exec_lo, s3
; %bb.13:
	v_bfe_u32 v76, v90, 16, 1
	s_delay_alu instid0(VALU_DEP_1)
	v_add3_u32 v76, v90, v76, 0x7fff
                                        ; implicit-def: $vgpr90
; %bb.14:
	s_and_not1_saveexec_b32 s3, s3
; %bb.15:
	v_and_b32_e32 v76, 0xffff, v90
	v_or_b32_e32 v83, 0x10000, v90
	s_delay_alu instid0(VALU_DEP_2) | instskip(NEXT) | instid1(VALU_DEP_2)
	v_cmp_eq_u32_e32 vcc_lo, 0, v76
	v_cndmask_b32_e32 v76, v83, v90, vcc_lo
; %bb.16:
	s_or_b32 exec_lo, exec_lo, s3
	v_and_b32_e32 v83, 0x7f800000, v85
	s_delay_alu instid0(VALU_DEP_1) | instskip(SKIP_1) | instid1(SALU_CYCLE_1)
	v_cmp_ne_u32_e32 vcc_lo, 0x7f800000, v83
                                        ; implicit-def: $vgpr83
	s_and_saveexec_b32 s3, vcc_lo
	s_xor_b32 s3, exec_lo, s3
; %bb.17:
	v_bfe_u32 v83, v85, 16, 1
	s_delay_alu instid0(VALU_DEP_1)
	v_add3_u32 v83, v85, v83, 0x7fff
                                        ; implicit-def: $vgpr85
; %bb.18:
	s_and_not1_saveexec_b32 s3, s3
; %bb.19:
	v_and_b32_e32 v83, 0xffff, v85
	v_or_b32_e32 v90, 0x10000, v85
	s_delay_alu instid0(VALU_DEP_2) | instskip(NEXT) | instid1(VALU_DEP_2)
	v_cmp_eq_u32_e32 vcc_lo, 0, v83
	v_cndmask_b32_e32 v83, v90, v85, vcc_lo
; %bb.20:
	s_or_b32 exec_lo, exec_lo, s3
	v_and_b32_e32 v85, 0x7f800000, v86
	s_delay_alu instid0(VALU_DEP_1) | instskip(SKIP_1) | instid1(SALU_CYCLE_1)
	v_cmp_ne_u32_e32 vcc_lo, 0x7f800000, v85
                                        ; implicit-def: $vgpr85
	s_and_saveexec_b32 s3, vcc_lo
	s_xor_b32 s3, exec_lo, s3
; %bb.21:
	v_bfe_u32 v85, v86, 16, 1
	s_delay_alu instid0(VALU_DEP_1)
	v_add3_u32 v85, v86, v85, 0x7fff
                                        ; implicit-def: $vgpr86
; %bb.22:
	s_and_not1_saveexec_b32 s3, s3
; %bb.23:
	v_and_b32_e32 v85, 0xffff, v86
	v_or_b32_e32 v90, 0x10000, v86
	s_delay_alu instid0(VALU_DEP_2) | instskip(NEXT) | instid1(VALU_DEP_2)
	v_cmp_eq_u32_e32 vcc_lo, 0, v85
	v_cndmask_b32_e32 v85, v90, v86, vcc_lo
; %bb.24:
	s_or_b32 exec_lo, exec_lo, s3
	v_and_b32_e32 v86, 0x7f800000, v89
	s_delay_alu instid0(VALU_DEP_1) | instskip(SKIP_1) | instid1(SALU_CYCLE_1)
	v_cmp_ne_u32_e32 vcc_lo, 0x7f800000, v86
                                        ; implicit-def: $vgpr86
	s_and_saveexec_b32 s3, vcc_lo
	s_xor_b32 s3, exec_lo, s3
; %bb.25:
	v_bfe_u32 v86, v89, 16, 1
	s_delay_alu instid0(VALU_DEP_1)
	v_add3_u32 v86, v89, v86, 0x7fff
                                        ; implicit-def: $vgpr89
; %bb.26:
	s_and_not1_saveexec_b32 s3, s3
; %bb.27:
	v_and_b32_e32 v86, 0xffff, v89
	v_or_b32_e32 v90, 0x10000, v89
	s_delay_alu instid0(VALU_DEP_2) | instskip(NEXT) | instid1(VALU_DEP_2)
	v_cmp_eq_u32_e32 vcc_lo, 0, v86
	v_cndmask_b32_e32 v86, v90, v89, vcc_lo
; %bb.28:
	s_or_b32 exec_lo, exec_lo, s3
	v_and_b32_e32 v89, 0x7f800000, v88
	s_delay_alu instid0(VALU_DEP_1) | instskip(SKIP_1) | instid1(SALU_CYCLE_1)
	v_cmp_ne_u32_e32 vcc_lo, 0x7f800000, v89
                                        ; implicit-def: $vgpr89
	s_and_saveexec_b32 s3, vcc_lo
	s_xor_b32 s3, exec_lo, s3
; %bb.29:
	v_bfe_u32 v89, v88, 16, 1
	s_delay_alu instid0(VALU_DEP_1)
	v_add3_u32 v89, v88, v89, 0x7fff
                                        ; implicit-def: $vgpr88
; %bb.30:
	s_and_not1_saveexec_b32 s3, s3
; %bb.31:
	v_and_b32_e32 v89, 0xffff, v88
	v_or_b32_e32 v90, 0x10000, v88
	s_delay_alu instid0(VALU_DEP_2) | instskip(NEXT) | instid1(VALU_DEP_2)
	v_cmp_eq_u32_e32 vcc_lo, 0, v89
	v_cndmask_b32_e32 v89, v90, v88, vcc_lo
; %bb.32:
	s_or_b32 exec_lo, exec_lo, s3
	v_and_b32_e32 v88, 0x7f800000, v87
	s_delay_alu instid0(VALU_DEP_1) | instskip(SKIP_1) | instid1(SALU_CYCLE_1)
	v_cmp_ne_u32_e32 vcc_lo, 0x7f800000, v88
                                        ; implicit-def: $vgpr88
	s_and_saveexec_b32 s3, vcc_lo
	s_xor_b32 s3, exec_lo, s3
; %bb.33:
	v_bfe_u32 v88, v87, 16, 1
	s_delay_alu instid0(VALU_DEP_1)
	v_add3_u32 v88, v87, v88, 0x7fff
                                        ; implicit-def: $vgpr87
; %bb.34:
	s_and_not1_saveexec_b32 s3, s3
; %bb.35:
	v_and_b32_e32 v88, 0xffff, v87
	v_or_b32_e32 v90, 0x10000, v87
	s_delay_alu instid0(VALU_DEP_2) | instskip(NEXT) | instid1(VALU_DEP_2)
	v_cmp_eq_u32_e32 vcc_lo, 0, v88
	v_cndmask_b32_e32 v88, v90, v87, vcc_lo
; %bb.36:
	s_or_b32 exec_lo, exec_lo, s3
	v_and_b32_e32 v87, 0x7f800000, v84
	s_delay_alu instid0(VALU_DEP_1) | instskip(SKIP_1) | instid1(SALU_CYCLE_1)
	v_cmp_ne_u32_e32 vcc_lo, 0x7f800000, v87
                                        ; implicit-def: $vgpr87
	s_and_saveexec_b32 s3, vcc_lo
	s_xor_b32 s3, exec_lo, s3
; %bb.37:
	v_bfe_u32 v87, v84, 16, 1
	s_delay_alu instid0(VALU_DEP_1)
	v_add3_u32 v87, v84, v87, 0x7fff
                                        ; implicit-def: $vgpr84
; %bb.38:
	s_and_not1_saveexec_b32 s3, s3
; %bb.39:
	v_and_b32_e32 v87, 0xffff, v84
	v_or_b32_e32 v90, 0x10000, v84
	s_delay_alu instid0(VALU_DEP_2) | instskip(NEXT) | instid1(VALU_DEP_2)
	v_cmp_eq_u32_e32 vcc_lo, 0, v87
	v_cndmask_b32_e32 v87, v90, v84, vcc_lo
; %bb.40:
	s_or_b32 exec_lo, exec_lo, s3
	v_and_b32_e32 v84, 0x7f800000, v80
	s_delay_alu instid0(VALU_DEP_1) | instskip(SKIP_1) | instid1(SALU_CYCLE_1)
	v_cmp_ne_u32_e32 vcc_lo, 0x7f800000, v84
                                        ; implicit-def: $vgpr84
	s_and_saveexec_b32 s3, vcc_lo
	s_xor_b32 s3, exec_lo, s3
; %bb.41:
	v_bfe_u32 v84, v80, 16, 1
	s_delay_alu instid0(VALU_DEP_1)
	v_add3_u32 v84, v80, v84, 0x7fff
                                        ; implicit-def: $vgpr80
; %bb.42:
	s_and_not1_saveexec_b32 s3, s3
; %bb.43:
	v_and_b32_e32 v84, 0xffff, v80
	v_or_b32_e32 v90, 0x10000, v80
	s_delay_alu instid0(VALU_DEP_2) | instskip(NEXT) | instid1(VALU_DEP_2)
	v_cmp_eq_u32_e32 vcc_lo, 0, v84
	v_cndmask_b32_e32 v84, v90, v80, vcc_lo
; %bb.44:
	s_or_b32 exec_lo, exec_lo, s3
	s_load_b64 s[34:35], s[0:1], 0x94
	v_lshlrev_b32_e32 v91, 4, v74
	s_delay_alu instid0(VALU_DEP_2)
	v_perm_b32 v90, v84, v87, 0x7060302
	v_dual_mul_f32 v79, v82, v79 :: v_dual_lshlrev_b32 v80, 6, v65
	v_dual_mul_f32 v77, v82, v77 :: v_dual_lshlrev_b32 v92, 11, v66
	v_mul_f32_e32 v84, v82, v70
	v_perm_b32 v89, v88, v89, 0x7060302
	v_perm_b32 v88, v86, v85, 0x7060302
	;; [unrolled: 1-line block ×3, first 2 shown]
	v_mul_f32_e32 v70, v82, v81
	v_or3_b32 v76, v91, v92, v80
	v_dual_mul_f32 v78, v82, v78 :: v_dual_and_b32 v85, 0x7f800000, v84
	v_mul_f32_e32 v83, v82, v72
	v_mul_f32_e32 v81, v82, v71
	;; [unrolled: 1-line block ×3, first 2 shown]
	s_mov_b32 s3, exec_lo
	ds_store_b128 v76, v[87:90]
                                        ; implicit-def: $vgpr69
	v_cmpx_ne_u32_e32 0x7f800000, v85
	s_xor_b32 s3, exec_lo, s3
; %bb.45:
	v_bfe_u32 v69, v84, 16, 1
	s_delay_alu instid0(VALU_DEP_1)
	v_add3_u32 v69, v84, v69, 0x7fff
                                        ; implicit-def: $vgpr84
; %bb.46:
	s_and_not1_saveexec_b32 s3, s3
; %bb.47:
	v_and_b32_e32 v69, 0xffff, v84
	v_or_b32_e32 v71, 0x10000, v84
	s_delay_alu instid0(VALU_DEP_2) | instskip(NEXT) | instid1(VALU_DEP_2)
	v_cmp_eq_u32_e32 vcc_lo, 0, v69
	v_cndmask_b32_e32 v69, v71, v84, vcc_lo
; %bb.48:
	s_or_b32 exec_lo, exec_lo, s3
	v_and_b32_e32 v71, 0x7f800000, v72
	s_delay_alu instid0(VALU_DEP_1) | instskip(SKIP_1) | instid1(SALU_CYCLE_1)
	v_cmp_ne_u32_e32 vcc_lo, 0x7f800000, v71
                                        ; implicit-def: $vgpr71
	s_and_saveexec_b32 s3, vcc_lo
	s_xor_b32 s3, exec_lo, s3
; %bb.49:
	v_bfe_u32 v71, v72, 16, 1
	s_delay_alu instid0(VALU_DEP_1)
	v_add3_u32 v71, v72, v71, 0x7fff
                                        ; implicit-def: $vgpr72
; %bb.50:
	s_and_not1_saveexec_b32 s3, s3
; %bb.51:
	v_and_b32_e32 v71, 0xffff, v72
	v_or_b32_e32 v82, 0x10000, v72
	s_delay_alu instid0(VALU_DEP_2) | instskip(NEXT) | instid1(VALU_DEP_2)
	v_cmp_eq_u32_e32 vcc_lo, 0, v71
	v_cndmask_b32_e32 v71, v82, v72, vcc_lo
; %bb.52:
	s_or_b32 exec_lo, exec_lo, s3
	v_and_b32_e32 v72, 0x7f800000, v81
	s_delay_alu instid0(VALU_DEP_1) | instskip(SKIP_1) | instid1(SALU_CYCLE_1)
	v_cmp_ne_u32_e32 vcc_lo, 0x7f800000, v72
                                        ; implicit-def: $vgpr72
	s_and_saveexec_b32 s3, vcc_lo
	s_xor_b32 s3, exec_lo, s3
; %bb.53:
	v_bfe_u32 v72, v81, 16, 1
	s_delay_alu instid0(VALU_DEP_1)
	v_add3_u32 v72, v81, v72, 0x7fff
                                        ; implicit-def: $vgpr81
; %bb.54:
	s_and_not1_saveexec_b32 s3, s3
; %bb.55:
	v_and_b32_e32 v72, 0xffff, v81
	v_or_b32_e32 v82, 0x10000, v81
	s_delay_alu instid0(VALU_DEP_2) | instskip(NEXT) | instid1(VALU_DEP_2)
	v_cmp_eq_u32_e32 vcc_lo, 0, v72
	v_cndmask_b32_e32 v72, v82, v81, vcc_lo
; %bb.56:
	s_or_b32 exec_lo, exec_lo, s3
	v_and_b32_e32 v81, 0x7f800000, v83
	s_delay_alu instid0(VALU_DEP_1) | instskip(SKIP_1) | instid1(SALU_CYCLE_1)
	v_cmp_ne_u32_e32 vcc_lo, 0x7f800000, v81
                                        ; implicit-def: $vgpr81
	s_and_saveexec_b32 s3, vcc_lo
	s_xor_b32 s3, exec_lo, s3
; %bb.57:
	v_bfe_u32 v81, v83, 16, 1
	s_delay_alu instid0(VALU_DEP_1)
	v_add3_u32 v81, v83, v81, 0x7fff
                                        ; implicit-def: $vgpr83
; %bb.58:
	s_and_not1_saveexec_b32 s3, s3
; %bb.59:
	v_and_b32_e32 v81, 0xffff, v83
	v_or_b32_e32 v82, 0x10000, v83
	s_delay_alu instid0(VALU_DEP_2) | instskip(NEXT) | instid1(VALU_DEP_2)
	v_cmp_eq_u32_e32 vcc_lo, 0, v81
	v_cndmask_b32_e32 v81, v82, v83, vcc_lo
; %bb.60:
	s_or_b32 exec_lo, exec_lo, s3
	v_and_b32_e32 v82, 0x7f800000, v77
	s_delay_alu instid0(VALU_DEP_1) | instskip(SKIP_1) | instid1(SALU_CYCLE_1)
	v_cmp_ne_u32_e32 vcc_lo, 0x7f800000, v82
                                        ; implicit-def: $vgpr82
	s_and_saveexec_b32 s3, vcc_lo
	s_xor_b32 s3, exec_lo, s3
; %bb.61:
	v_bfe_u32 v82, v77, 16, 1
	s_delay_alu instid0(VALU_DEP_1)
	v_add3_u32 v82, v77, v82, 0x7fff
                                        ; implicit-def: $vgpr77
; %bb.62:
	s_and_not1_saveexec_b32 s3, s3
; %bb.63:
	v_and_b32_e32 v82, 0xffff, v77
	v_or_b32_e32 v83, 0x10000, v77
	s_delay_alu instid0(VALU_DEP_2) | instskip(NEXT) | instid1(VALU_DEP_2)
	v_cmp_eq_u32_e32 vcc_lo, 0, v82
	v_cndmask_b32_e32 v82, v83, v77, vcc_lo
; %bb.64:
	s_or_b32 exec_lo, exec_lo, s3
	v_and_b32_e32 v77, 0x7f800000, v78
	s_delay_alu instid0(VALU_DEP_1) | instskip(SKIP_1) | instid1(SALU_CYCLE_1)
	v_cmp_ne_u32_e32 vcc_lo, 0x7f800000, v77
                                        ; implicit-def: $vgpr77
	s_and_saveexec_b32 s3, vcc_lo
	s_xor_b32 s3, exec_lo, s3
; %bb.65:
	v_bfe_u32 v77, v78, 16, 1
	s_delay_alu instid0(VALU_DEP_1)
	v_add3_u32 v77, v78, v77, 0x7fff
                                        ; implicit-def: $vgpr78
; %bb.66:
	s_and_not1_saveexec_b32 s3, s3
; %bb.67:
	v_and_b32_e32 v77, 0xffff, v78
	v_or_b32_e32 v83, 0x10000, v78
	s_delay_alu instid0(VALU_DEP_2) | instskip(NEXT) | instid1(VALU_DEP_2)
	v_cmp_eq_u32_e32 vcc_lo, 0, v77
	v_cndmask_b32_e32 v77, v83, v78, vcc_lo
; %bb.68:
	s_or_b32 exec_lo, exec_lo, s3
	v_and_b32_e32 v78, 0x7f800000, v79
	s_delay_alu instid0(VALU_DEP_1) | instskip(SKIP_1) | instid1(SALU_CYCLE_1)
	v_cmp_ne_u32_e32 vcc_lo, 0x7f800000, v78
                                        ; implicit-def: $vgpr78
	s_and_saveexec_b32 s3, vcc_lo
	s_xor_b32 s3, exec_lo, s3
; %bb.69:
	v_bfe_u32 v78, v79, 16, 1
	s_delay_alu instid0(VALU_DEP_1)
	v_add3_u32 v78, v79, v78, 0x7fff
                                        ; implicit-def: $vgpr79
; %bb.70:
	s_and_not1_saveexec_b32 s3, s3
; %bb.71:
	v_and_b32_e32 v78, 0xffff, v79
	v_or_b32_e32 v83, 0x10000, v79
	s_delay_alu instid0(VALU_DEP_2) | instskip(NEXT) | instid1(VALU_DEP_2)
	v_cmp_eq_u32_e32 vcc_lo, 0, v78
	v_cndmask_b32_e32 v78, v83, v79, vcc_lo
; %bb.72:
	s_or_b32 exec_lo, exec_lo, s3
	v_and_b32_e32 v79, 0x7f800000, v70
	s_delay_alu instid0(VALU_DEP_1) | instskip(SKIP_1) | instid1(SALU_CYCLE_1)
	v_cmp_ne_u32_e32 vcc_lo, 0x7f800000, v79
                                        ; implicit-def: $vgpr79
	s_and_saveexec_b32 s3, vcc_lo
	s_xor_b32 s3, exec_lo, s3
; %bb.73:
	v_bfe_u32 v79, v70, 16, 1
	s_delay_alu instid0(VALU_DEP_1)
	v_add3_u32 v79, v70, v79, 0x7fff
                                        ; implicit-def: $vgpr70
; %bb.74:
	s_and_not1_saveexec_b32 s3, s3
; %bb.75:
	v_and_b32_e32 v79, 0xffff, v70
	v_or_b32_e32 v83, 0x10000, v70
	s_delay_alu instid0(VALU_DEP_2) | instskip(NEXT) | instid1(VALU_DEP_2)
	v_cmp_eq_u32_e32 vcc_lo, 0, v79
	v_cndmask_b32_e32 v79, v83, v70, vcc_lo
; %bb.76:
	s_or_b32 exec_lo, exec_lo, s3
	s_delay_alu instid0(VALU_DEP_1)
	v_perm_b32 v86, v79, v78, 0x7060302
	v_perm_b32 v85, v77, v82, 0x7060302
	;; [unrolled: 1-line block ×4, first 2 shown]
	v_lshl_or_b32 v82, v66, 11, v80
	ds_store_b128 v76, v[83:86] offset:1024
	s_waitcnt lgkmcnt(0)
	s_barrier
	buffer_gl0_inv
	ds_load_b128 v[69:72], v82
	ds_load_b128 v[83:86], v82 offset:16
	s_waitcnt lgkmcnt(1)
	v_lshrrev_b32_e32 v66, 16, v69
	s_waitcnt lgkmcnt(0)
	v_lshrrev_b32_e32 v91, 16, v83
	v_lshlrev_b32_e32 v78, 2, v74
	v_lshrrev_b32_e32 v95, 16, v70
	v_lshrrev_b32_e32 v98, 16, v84
	;; [unrolled: 1-line block ×4, first 2 shown]
	v_cmp_eq_u32_e32 vcc_lo, 1, v78
	v_lshrrev_b32_e32 v97, 16, v72
	v_lshrrev_b32_e32 v100, 16, v86
	v_cndmask_b32_e32 v87, v83, v91, vcc_lo
	v_or_b32_e32 v79, 1, v78
	v_cndmask_b32_e32 v81, v69, v66, vcc_lo
	v_cmp_eq_u32_e64 s4, 2, v78
	v_cmp_eq_u32_e64 s7, 3, v78
	;; [unrolled: 1-line block ×5, first 2 shown]
	v_cndmask_b32_e64 v81, v81, v70, s4
	v_cndmask_b32_e64 v87, v87, v84, s4
	v_cmp_eq_u32_e64 s8, 3, v79
	v_cndmask_b32_e64 v88, v69, v66, s3
	v_or_b32_e32 v77, 2, v78
	v_cndmask_b32_e64 v81, v81, v95, s7
	v_cndmask_b32_e64 v87, v87, v98, s7
	;; [unrolled: 1-line block ×4, first 2 shown]
	v_cmp_eq_u32_e64 s10, 5, v78
	v_cndmask_b32_e64 v81, v81, v71, s9
	v_cndmask_b32_e64 v87, v87, v85, s9
	v_cmp_eq_u32_e64 s11, 4, v79
	v_cndmask_b32_e64 v88, v88, v95, s8
	v_cmp_eq_u32_e64 s5, 1, v77
	v_cndmask_b32_e64 v89, v89, v84, s6
	v_cndmask_b32_e64 v81, v81, v96, s10
	v_cmp_eq_u32_e64 s12, 6, v78
	v_cndmask_b32_e64 v88, v88, v71, s11
	;; [unrolled: 3-line block ×3, first 2 shown]
	v_cndmask_b32_e64 v89, v89, v98, s8
	v_cndmask_b32_e64 v81, v81, v72, s12
	v_cmp_eq_u32_e64 s15, 7, v78
	v_cndmask_b32_e64 v88, v88, v96, s13
	v_cndmask_b32_e64 v87, v87, v86, s12
	v_cmp_eq_u32_e64 s16, 6, v79
	v_cmp_eq_u32_e64 s17, 2, v77
	v_cndmask_b32_e64 v89, v89, v85, s11
	v_cndmask_b32_e64 v101, v81, v97, s15
	;; [unrolled: 1-line block ×6, first 2 shown]
	v_cmp_eq_u32_e64 s18, 7, v79
	v_cmp_eq_u32_e64 s19, 3, v77
	v_cmp_eq_u32_e64 s20, 4, v77
	v_cmp_eq_u32_e64 s22, 5, v77
	v_cndmask_b32_e64 v87, v87, v84, s17
	v_cndmask_b32_e64 v103, v88, v97, s18
	;; [unrolled: 1-line block ×4, first 2 shown]
	v_or_b32_e32 v81, 3, v78
	v_cndmask_b32_e64 v93, v87, v98, s19
	v_cmp_eq_u32_e64 s24, 6, v77
	v_cndmask_b32_e64 v104, v88, v86, s16
	v_cndmask_b32_e64 v92, v89, v71, s20
	v_cmp_eq_u32_e64 s21, 1, v81
	ds_load_b128 v[87:90], v82 offset:1024
	v_cmp_eq_u32_e64 s23, 2, v81
	v_cmp_eq_u32_e64 s25, 3, v81
	v_cndmask_b32_e64 v105, v92, v96, s22
	v_cndmask_b32_e64 v66, v69, v66, s21
	;; [unrolled: 1-line block ×4, first 2 shown]
	ds_load_b128 v[91:94], v82 offset:1040
	v_cmp_eq_u32_e64 s26, 4, v81
	v_cndmask_b32_e64 v66, v66, v70, s23
	v_cmp_eq_u32_e64 s27, 7, v77
	v_cndmask_b32_e64 v70, v83, v84, s23
	v_cndmask_b32_e64 v84, v105, v72, s24
	v_cmp_eq_u32_e64 s28, 5, v81
	v_cndmask_b32_e64 v66, v66, v95, s25
	v_cmp_eq_u32_e64 s29, 6, v81
	v_cndmask_b32_e64 v70, v70, v98, s25
	v_cndmask_b32_e64 v69, v69, v99, s22
	;; [unrolled: 1-line block ×4, first 2 shown]
	s_waitcnt lgkmcnt(1)
	v_lshrrev_b32_e32 v95, 16, v87
	v_cndmask_b32_e64 v70, v70, v85, s26
	v_cndmask_b32_e64 v71, v84, v97, s27
	;; [unrolled: 1-line block ×4, first 2 shown]
	v_cndmask_b32_e32 v84, v87, v95, vcc_lo
	v_cndmask_b32_e64 v70, v70, v99, s28
	s_waitcnt lgkmcnt(0)
	v_lshrrev_b32_e32 v85, 16, v91
	v_lshrrev_b32_e32 v96, 16, v88
	v_cndmask_b32_e64 v98, v87, v95, s3
	v_cndmask_b32_e64 v84, v84, v88, s4
	;; [unrolled: 1-line block ×3, first 2 shown]
	v_cndmask_b32_e32 v99, v91, v85, vcc_lo
	v_cmp_eq_u32_e32 vcc_lo, 7, v81
	v_cndmask_b32_e64 v66, v66, v72, s29
	v_cndmask_b32_e64 v72, v84, v96, s7
	;; [unrolled: 1-line block ×3, first 2 shown]
	v_lshrrev_b32_e32 v98, 16, v92
	v_cndmask_b32_e32 v70, v70, v100, vcc_lo
	v_cndmask_b32_e64 v86, v99, v92, s4
	v_cndmask_b32_e64 v69, v69, v100, s27
	v_lshrrev_b32_e32 v100, 16, v93
	v_cndmask_b32_e64 v72, v72, v89, s9
	v_lshrrev_b32_e32 v99, 16, v89
	v_cndmask_b32_e64 v86, v86, v98, s7
	v_perm_b32 v71, v69, v71, 0x5040100
	v_cndmask_b32_e64 v84, v84, v96, s8
	s_delay_alu instid0(VALU_DEP_3) | instskip(NEXT) | instid1(VALU_DEP_2)
	v_cndmask_b32_e64 v86, v86, v93, s9
	v_cndmask_b32_e64 v84, v84, v89, s11
	s_delay_alu instid0(VALU_DEP_2) | instskip(NEXT) | instid1(VALU_DEP_1)
	v_cndmask_b32_e64 v86, v86, v100, s10
	v_cndmask_b32_e64 v69, v86, v94, s12
	;; [unrolled: 1-line block ×5, first 2 shown]
	s_delay_alu instid0(VALU_DEP_3) | instskip(NEXT) | instid1(VALU_DEP_3)
	v_cndmask_b32_e64 v86, v86, v88, s17
	v_cndmask_b32_e64 v87, v87, v88, s23
	s_delay_alu instid0(VALU_DEP_3) | instskip(NEXT) | instid1(VALU_DEP_3)
	v_cndmask_b32_e64 v88, v95, v92, s23
	v_cndmask_b32_e64 v86, v86, v96, s19
	;; [unrolled: 3-line block ×7, first 2 shown]
	s_delay_alu instid0(VALU_DEP_3) | instskip(SKIP_2) | instid1(VALU_DEP_2)
	v_cndmask_b32_e64 v88, v88, v94, s29
	v_cndmask_b32_e32 v66, v66, v97, vcc_lo
	v_cndmask_b32_e64 v97, v72, v99, s10
	v_perm_b32 v72, v70, v66, 0x5040100
	v_perm_b32 v70, v83, v103, 0x5040100
	v_cndmask_b32_e64 v103, v91, v85, s5
	v_cndmask_b32_e64 v85, v91, v85, s3
	;; [unrolled: 1-line block ×4, first 2 shown]
	v_lshrrev_b32_e32 v97, 16, v90
	v_cndmask_b32_e64 v91, v103, v92, s17
	v_cndmask_b32_e64 v85, v85, v92, s6
	;; [unrolled: 1-line block ×3, first 2 shown]
	s_mov_b32 s3, exec_lo
	v_cndmask_b32_e64 v83, v84, v97, s15
	v_cndmask_b32_e64 v91, v91, v98, s19
	;; [unrolled: 1-line block ×3, first 2 shown]
	v_lshrrev_b32_e32 v84, 16, v94
	v_cndmask_b32_e64 v66, v66, v97, s18
	v_cndmask_b32_e64 v90, v86, v97, s27
	;; [unrolled: 1-line block ×4, first 2 shown]
	v_dual_cndmask_b32 v86, v87, v97 :: v_dual_cndmask_b32 v87, v88, v84
	v_cndmask_b32_e64 v91, v69, v84, s15
	s_delay_alu instid0(VALU_DEP_4) | instskip(NEXT) | instid1(VALU_DEP_4)
	v_cndmask_b32_e64 v89, v89, v100, s22
	v_cndmask_b32_e64 v85, v85, v100, s13
	v_perm_b32 v69, v102, v101, 0x5040100
	v_perm_b32 v86, v87, v86, 0x5040100
	;; [unrolled: 1-line block ×3, first 2 shown]
	v_cndmask_b32_e64 v89, v89, v94, s24
	v_cndmask_b32_e64 v85, v85, v94, s16
	s_mul_i32 s8, s35, 11
	s_delay_alu instid0(VALU_DEP_2) | instskip(NEXT) | instid1(VALU_DEP_2)
	v_cndmask_b32_e64 v88, v89, v84, s27
	v_cndmask_b32_e64 v89, v85, v84, s18
	s_delay_alu instid0(VALU_DEP_2) | instskip(NEXT) | instid1(VALU_DEP_2)
	v_perm_b32 v85, v88, v90, 0x5040100
	v_perm_b32 v84, v89, v66, 0x5040100
	ds_store_b128 v76, v[69:72]
	ds_store_b128 v76, v[83:86] offset:1024
	v_cmpx_gt_u32_e32 11, v0
	s_cbranch_execz .LBB1848_78
; %bb.77:
	s_mul_i32 s4, s8, s30
	s_delay_alu instid0(SALU_CYCLE_1) | instskip(SKIP_1) | instid1(VALU_DEP_1)
	v_add3_u32 v69, s4, s31, v65
	s_load_b128 s[4:7], s[0:1], 0x58
	v_mad_u64_u32 v[65:66], null, v69, s34, s[14:15]
	s_delay_alu instid0(VALU_DEP_1) | instskip(NEXT) | instid1(VALU_DEP_1)
	v_ashrrev_i32_e32 v66, 31, v65
	v_lshlrev_b64 v[65:66], 2, v[65:66]
	s_waitcnt lgkmcnt(0)
	s_delay_alu instid0(VALU_DEP_1) | instskip(NEXT) | instid1(VALU_DEP_2)
	v_add_co_u32 v69, vcc_lo, s6, v65
	v_add_co_ci_u32_e32 v70, vcc_lo, s7, v66, vcc_lo
	v_add_co_u32 v65, vcc_lo, s4, v65
	v_add_co_ci_u32_e32 v66, vcc_lo, s5, v66, vcc_lo
	global_store_b32 v[69:70], v67, off
	global_store_b32 v[65:66], v68, off
.LBB1848_78:
	s_or_b32 exec_lo, exec_lo, s3
	s_waitcnt lgkmcnt(0)
	s_waitcnt_vscnt null, 0x0
	s_barrier
	buffer_gl0_inv
	ds_load_b128 v[83:86], v80
	ds_load_b128 v[87:90], v80 offset:16
	ds_load_b128 v[95:98], v80 offset:2064
	;; [unrolled: 1-line block ×3, first 2 shown]
	v_mov_b32_e32 v65, 0
	ds_load_b128 v[103:106], v80 offset:4112
	ds_load_b128 v[99:102], v80 offset:4096
	;; [unrolled: 1-line block ×4, first 2 shown]
	v_mov_b32_e32 v66, v65
	v_mov_b32_e32 v67, v65
	;; [unrolled: 1-line block ×7, first 2 shown]
	s_waitcnt lgkmcnt(6)
	s_delay_alu instid0(VALU_DEP_1)
	v_wmma_f32_16x16x16_bf16 v[65:72], v[49:56], v[83:90], v[65:72]
	ds_load_b128 v[53:56], v80 offset:8208
	ds_load_b128 v[49:52], v80 offset:8192
	s_waitcnt lgkmcnt(6)
	v_wmma_f32_16x16x16_bf16 v[65:72], v[41:48], v[91:98], v[65:72]
	ds_load_b128 v[45:48], v80 offset:10256
	ds_load_b128 v[41:44], v80 offset:10240
	s_waitcnt lgkmcnt(6)
	;; [unrolled: 4-line block ×4, first 2 shown]
	v_wmma_f32_16x16x16_bf16 v[65:72], v[1:8], v[49:56], v[65:72]
	s_waitcnt lgkmcnt(4)
	s_delay_alu instid0(VALU_DEP_1) | instskip(SKIP_1) | instid1(VALU_DEP_1)
	v_wmma_f32_16x16x16_bf16 v[65:72], v[9:16], v[41:48], v[65:72]
	s_waitcnt lgkmcnt(2)
	v_wmma_f32_16x16x16_bf16 v[65:72], v[17:24], v[33:40], v[65:72]
	s_waitcnt lgkmcnt(0)
	s_delay_alu instid0(VALU_DEP_1) | instskip(NEXT) | instid1(VALU_DEP_1)
	v_wmma_f32_16x16x16_bf16 v[65:72], v[57:64], v[25:32], v[65:72]
	v_and_b32_e32 v1, 0x7f800000, v65
	s_delay_alu instid0(VALU_DEP_1) | instskip(SKIP_1) | instid1(SALU_CYCLE_1)
	v_cmp_ne_u32_e32 vcc_lo, 0x7f800000, v1
                                        ; implicit-def: $vgpr1
	s_and_saveexec_b32 s3, vcc_lo
	s_xor_b32 s3, exec_lo, s3
; %bb.79:
	v_bfe_u32 v1, v65, 16, 1
	s_delay_alu instid0(VALU_DEP_1)
	v_add3_u32 v1, v65, v1, 0x7fff
; %bb.80:
	s_and_not1_saveexec_b32 s3, s3
; %bb.81:
	v_and_b32_e32 v1, 0xffff, v65
	v_or_b32_e32 v2, 0x10000, v65
	s_delay_alu instid0(VALU_DEP_2) | instskip(NEXT) | instid1(VALU_DEP_2)
	v_cmp_eq_u32_e32 vcc_lo, 0, v1
	v_cndmask_b32_e32 v1, v2, v65, vcc_lo
; %bb.82:
	s_or_b32 exec_lo, exec_lo, s3
	v_and_b32_e32 v2, 0x7f800000, v66
	s_delay_alu instid0(VALU_DEP_1) | instskip(SKIP_1) | instid1(SALU_CYCLE_1)
	v_cmp_ne_u32_e32 vcc_lo, 0x7f800000, v2
                                        ; implicit-def: $vgpr2
	s_and_saveexec_b32 s3, vcc_lo
	s_xor_b32 s3, exec_lo, s3
; %bb.83:
	v_bfe_u32 v2, v66, 16, 1
	s_delay_alu instid0(VALU_DEP_1)
	v_add3_u32 v2, v66, v2, 0x7fff
; %bb.84:
	s_and_not1_saveexec_b32 s3, s3
; %bb.85:
	v_and_b32_e32 v2, 0xffff, v66
	v_or_b32_e32 v3, 0x10000, v66
	s_delay_alu instid0(VALU_DEP_2) | instskip(NEXT) | instid1(VALU_DEP_2)
	v_cmp_eq_u32_e32 vcc_lo, 0, v2
	v_cndmask_b32_e32 v2, v3, v66, vcc_lo
; %bb.86:
	s_or_b32 exec_lo, exec_lo, s3
	v_and_b32_e32 v3, 0x7f800000, v67
	s_delay_alu instid0(VALU_DEP_1) | instskip(SKIP_1) | instid1(SALU_CYCLE_1)
	v_cmp_ne_u32_e32 vcc_lo, 0x7f800000, v3
                                        ; implicit-def: $vgpr3
	s_and_saveexec_b32 s3, vcc_lo
	s_xor_b32 s3, exec_lo, s3
; %bb.87:
	v_bfe_u32 v3, v67, 16, 1
	s_delay_alu instid0(VALU_DEP_1)
	v_add3_u32 v3, v67, v3, 0x7fff
; %bb.88:
	s_and_not1_saveexec_b32 s3, s3
; %bb.89:
	v_and_b32_e32 v3, 0xffff, v67
	v_or_b32_e32 v4, 0x10000, v67
	s_delay_alu instid0(VALU_DEP_2) | instskip(NEXT) | instid1(VALU_DEP_2)
	v_cmp_eq_u32_e32 vcc_lo, 0, v3
	v_cndmask_b32_e32 v3, v4, v67, vcc_lo
; %bb.90:
	s_or_b32 exec_lo, exec_lo, s3
	v_and_b32_e32 v4, 0x7f800000, v68
	s_delay_alu instid0(VALU_DEP_1) | instskip(SKIP_1) | instid1(SALU_CYCLE_1)
	v_cmp_ne_u32_e32 vcc_lo, 0x7f800000, v4
                                        ; implicit-def: $vgpr4
	s_and_saveexec_b32 s3, vcc_lo
	s_xor_b32 s3, exec_lo, s3
; %bb.91:
	v_bfe_u32 v4, v68, 16, 1
	s_delay_alu instid0(VALU_DEP_1)
	v_add3_u32 v4, v68, v4, 0x7fff
; %bb.92:
	s_and_not1_saveexec_b32 s3, s3
; %bb.93:
	v_and_b32_e32 v4, 0xffff, v68
	v_or_b32_e32 v5, 0x10000, v68
	s_delay_alu instid0(VALU_DEP_2) | instskip(NEXT) | instid1(VALU_DEP_2)
	v_cmp_eq_u32_e32 vcc_lo, 0, v4
	v_cndmask_b32_e32 v4, v5, v68, vcc_lo
; %bb.94:
	s_or_b32 exec_lo, exec_lo, s3
	v_and_b32_e32 v5, 0x7f800000, v69
	s_delay_alu instid0(VALU_DEP_1) | instskip(SKIP_1) | instid1(SALU_CYCLE_1)
	v_cmp_ne_u32_e32 vcc_lo, 0x7f800000, v5
                                        ; implicit-def: $vgpr5
	s_and_saveexec_b32 s3, vcc_lo
	s_xor_b32 s3, exec_lo, s3
; %bb.95:
	v_bfe_u32 v5, v69, 16, 1
	s_delay_alu instid0(VALU_DEP_1)
	v_add3_u32 v5, v69, v5, 0x7fff
; %bb.96:
	s_and_not1_saveexec_b32 s3, s3
; %bb.97:
	v_and_b32_e32 v5, 0xffff, v69
	v_or_b32_e32 v6, 0x10000, v69
	s_delay_alu instid0(VALU_DEP_2) | instskip(NEXT) | instid1(VALU_DEP_2)
	v_cmp_eq_u32_e32 vcc_lo, 0, v5
	v_cndmask_b32_e32 v5, v6, v69, vcc_lo
; %bb.98:
	s_or_b32 exec_lo, exec_lo, s3
	v_and_b32_e32 v6, 0x7f800000, v70
	s_delay_alu instid0(VALU_DEP_1) | instskip(SKIP_1) | instid1(SALU_CYCLE_1)
	v_cmp_ne_u32_e32 vcc_lo, 0x7f800000, v6
                                        ; implicit-def: $vgpr6
	s_and_saveexec_b32 s3, vcc_lo
	s_xor_b32 s3, exec_lo, s3
; %bb.99:
	v_bfe_u32 v6, v70, 16, 1
	s_delay_alu instid0(VALU_DEP_1)
	v_add3_u32 v6, v70, v6, 0x7fff
; %bb.100:
	s_and_not1_saveexec_b32 s3, s3
; %bb.101:
	v_and_b32_e32 v6, 0xffff, v70
	v_or_b32_e32 v7, 0x10000, v70
	s_delay_alu instid0(VALU_DEP_2) | instskip(NEXT) | instid1(VALU_DEP_2)
	v_cmp_eq_u32_e32 vcc_lo, 0, v6
	v_cndmask_b32_e32 v6, v7, v70, vcc_lo
; %bb.102:
	s_or_b32 exec_lo, exec_lo, s3
	v_and_b32_e32 v7, 0x7f800000, v71
	s_delay_alu instid0(VALU_DEP_1) | instskip(SKIP_1) | instid1(SALU_CYCLE_1)
	v_cmp_ne_u32_e32 vcc_lo, 0x7f800000, v7
                                        ; implicit-def: $vgpr7
	s_and_saveexec_b32 s3, vcc_lo
	s_xor_b32 s3, exec_lo, s3
; %bb.103:
	v_bfe_u32 v7, v71, 16, 1
	s_delay_alu instid0(VALU_DEP_1)
	v_add3_u32 v7, v71, v7, 0x7fff
; %bb.104:
	s_and_not1_saveexec_b32 s3, s3
; %bb.105:
	v_and_b32_e32 v7, 0xffff, v71
	v_or_b32_e32 v8, 0x10000, v71
	s_delay_alu instid0(VALU_DEP_2) | instskip(NEXT) | instid1(VALU_DEP_2)
	v_cmp_eq_u32_e32 vcc_lo, 0, v7
	v_cndmask_b32_e32 v7, v8, v71, vcc_lo
; %bb.106:
	s_or_b32 exec_lo, exec_lo, s3
	v_and_b32_e32 v8, 0x7f800000, v72
	s_delay_alu instid0(VALU_DEP_1) | instskip(SKIP_1) | instid1(SALU_CYCLE_1)
	v_cmp_ne_u32_e32 vcc_lo, 0x7f800000, v8
                                        ; implicit-def: $vgpr8
	s_and_saveexec_b32 s3, vcc_lo
	s_xor_b32 s3, exec_lo, s3
; %bb.107:
	v_bfe_u32 v8, v72, 16, 1
	s_delay_alu instid0(VALU_DEP_1)
	v_add3_u32 v8, v72, v8, 0x7fff
                                        ; implicit-def: $vgpr65_vgpr66_vgpr67_vgpr68_vgpr69_vgpr70_vgpr71_vgpr72
; %bb.108:
	s_and_not1_saveexec_b32 s3, s3
; %bb.109:
	v_and_b32_e32 v8, 0xffff, v72
	v_or_b32_e32 v9, 0x10000, v72
	s_delay_alu instid0(VALU_DEP_2) | instskip(NEXT) | instid1(VALU_DEP_2)
	v_cmp_eq_u32_e32 vcc_lo, 0, v8
	v_cndmask_b32_e32 v8, v9, v72, vcc_lo
; %bb.110:
	s_or_b32 exec_lo, exec_lo, s3
	s_delay_alu instid0(VALU_DEP_1)
	v_perm_b32 v7, v8, v7, 0x7060302
	v_perm_b32 v6, v6, v5, 0x7060302
	;; [unrolled: 1-line block ×4, first 2 shown]
	s_barrier
	buffer_gl0_inv
	v_cmp_eq_u32_e32 vcc_lo, 1, v78
	ds_store_b128 v76, v[4:7]
	s_waitcnt lgkmcnt(0)
	s_barrier
	buffer_gl0_inv
	ds_load_b128 v[1:4], v82
	ds_load_b128 v[5:8], v82 offset:16
	v_cmp_eq_u32_e64 s3, 1, v79
	v_cmp_eq_u32_e64 s4, 2, v78
	;; [unrolled: 1-line block ×5, first 2 shown]
	s_waitcnt lgkmcnt(1)
	v_lshrrev_b32_e32 v9, 16, v1
	s_waitcnt lgkmcnt(0)
	v_lshrrev_b32_e32 v13, 16, v5
	v_lshrrev_b32_e32 v10, 16, v2
	;; [unrolled: 1-line block ×4, first 2 shown]
	v_cndmask_b32_e64 v19, v1, v9, s3
	v_cndmask_b32_e32 v18, v5, v13, vcc_lo
	v_cndmask_b32_e64 v20, v5, v13, s3
	v_cndmask_b32_e32 v17, v1, v9, vcc_lo
	v_cmp_eq_u32_e32 vcc_lo, 2, v79
	v_lshrrev_b32_e32 v15, 16, v7
	v_cmp_eq_u32_e64 s3, 1, v77
	v_lshrrev_b32_e32 v12, 16, v4
	v_lshrrev_b32_e32 v16, 16, v8
	v_cndmask_b32_e32 v20, v20, v6, vcc_lo
	v_cndmask_b32_e64 v17, v17, v2, s4
	v_cndmask_b32_e32 v19, v19, v2, vcc_lo
	v_cndmask_b32_e64 v18, v18, v6, s4
	v_cmp_eq_u32_e32 vcc_lo, 4, v78
	v_cmp_eq_u32_e64 s4, 3, v79
	v_cndmask_b32_e64 v17, v17, v10, s5
	v_cndmask_b32_e64 v21, v1, v9, s3
	;; [unrolled: 1-line block ×5, first 2 shown]
	v_cndmask_b32_e32 v17, v17, v3, vcc_lo
	v_cndmask_b32_e64 v20, v20, v14, s4
	v_cndmask_b32_e32 v18, v18, v7, vcc_lo
	v_cmp_eq_u32_e32 vcc_lo, 4, v79
	v_cmp_eq_u32_e64 s4, 5, v79
	v_cmp_eq_u32_e64 s3, 2, v81
	v_cndmask_b32_e64 v21, v21, v2, s7
	v_cmp_eq_u32_e64 s5, 5, v78
	v_cndmask_b32_e32 v19, v19, v3, vcc_lo
	v_cndmask_b32_e32 v20, v20, v7, vcc_lo
	v_cmp_eq_u32_e32 vcc_lo, 6, v79
	s_delay_alu instid0(VALU_DEP_4) | instskip(NEXT) | instid1(VALU_DEP_4)
	v_cndmask_b32_e64 v17, v17, v11, s5
	v_cndmask_b32_e64 v19, v19, v11, s4
	s_delay_alu instid0(VALU_DEP_4) | instskip(SKIP_1) | instid1(VALU_DEP_3)
	v_cndmask_b32_e64 v20, v20, v15, s4
	v_cmp_eq_u32_e64 s4, 1, v81
	v_cndmask_b32_e32 v19, v19, v4, vcc_lo
	v_cndmask_b32_e64 v18, v18, v15, s5
	s_delay_alu instid0(VALU_DEP_3)
	v_cndmask_b32_e64 v1, v1, v9, s4
	v_cndmask_b32_e64 v5, v5, v13, s4
	v_cmp_eq_u32_e64 s4, 3, v77
	v_cndmask_b32_e64 v13, v22, v6, s7
	v_cmp_eq_u32_e64 s7, 3, v81
	v_cndmask_b32_e64 v1, v1, v2, s3
	v_cndmask_b32_e64 v2, v5, v6, s3
	;; [unrolled: 1-line block ×3, first 2 shown]
	v_cmp_eq_u32_e64 s3, 4, v77
	v_cndmask_b32_e64 v6, v13, v14, s4
	v_cndmask_b32_e64 v1, v1, v10, s7
	v_cmp_eq_u32_e64 s4, 4, v81
	v_cndmask_b32_e64 v2, v2, v14, s7
	v_cndmask_b32_e64 v5, v9, v3, s3
	;; [unrolled: 3-line block ×3, first 2 shown]
	v_cndmask_b32_e64 v2, v2, v7, s4
	v_cmp_eq_u32_e64 s3, 5, v81
	v_cmp_eq_u32_e64 s5, 6, v78
	v_cndmask_b32_e64 v5, v5, v11, s7
	v_cmp_eq_u32_e64 s4, 6, v77
	v_cndmask_b32_e64 v3, v6, v15, s7
	v_cndmask_b32_e64 v1, v1, v11, s3
	v_cmp_eq_u32_e64 s7, 6, v81
	v_cndmask_b32_e64 v2, v2, v15, s3
	v_cndmask_b32_e64 v17, v17, v4, s5
	v_cndmask_b32_e64 v18, v18, v8, s5
	v_cmp_eq_u32_e64 s5, 7, v78
	v_cndmask_b32_e64 v5, v5, v4, s4
	;; [unrolled: 4-line block ×3, first 2 shown]
	v_cmp_eq_u32_e64 s4, 7, v77
	v_cndmask_b32_e32 v4, v20, v8, vcc_lo
	v_cndmask_b32_e64 v17, v17, v12, s5
	v_cndmask_b32_e64 v19, v19, v12, s6
	;; [unrolled: 1-line block ×8, first 2 shown]
	s_mov_b32 s3, exec_lo
	v_perm_b32 v4, v2, v1, 0x5040100
	v_perm_b32 v3, v3, v5, 0x5040100
	;; [unrolled: 1-line block ×4, first 2 shown]
	ds_store_b128 v76, v[1:4]
	s_waitcnt lgkmcnt(0)
	s_barrier
	buffer_gl0_inv
	v_cmpx_gt_u32_e32 32, v0
	s_cbranch_execz .LBB1848_2
; %bb.111:
	s_load_b64 s[4:5], s[0:1], 0x68
	v_lshlrev_b32_e32 v0, 10, v0
	v_lshlrev_b32_e32 v1, 4, v75
	s_lshl_b32 s0, s34, 7
	v_add_nc_u32_e32 v7, s31, v74
	s_mul_i32 s1, s0, s30
	s_delay_alu instid0(SALU_CYCLE_1) | instskip(SKIP_1) | instid1(VALU_DEP_2)
	s_mul_i32 s6, s1, s8
	v_and_or_b32 v0, 0x3800, v0, v1
	v_mul_lo_u32 v1, v7, s0
	v_add_nc_u32_e32 v2, 2, v7
	s_ashr_i32 s7, s6, 31
	v_add_nc_u32_e32 v4, 4, v7
	s_lshl_b64 s[6:7], s[6:7], 1
	v_add_nc_u32_e32 v8, 6, v7
	v_mul_lo_u32 v3, v2, s0
	v_lshl_or_b32 v19, v74, 6, v0
	v_ashrrev_i32_e32 v2, 31, v1
	v_mul_lo_u32 v11, v4, s0
	v_mul_lo_u32 v25, v8, s0
	s_waitcnt lgkmcnt(0)
	s_add_u32 s1, s4, s6
	s_addc_u32 s3, s5, s7
	s_lshl_b32 s4, s14, 7
	v_lshlrev_b64 v[5:6], 1, v[1:2]
	s_ashr_i32 s5, s4, 31
	v_ashrrev_i32_e32 v4, 31, v3
	s_lshl_b64 s[4:5], s[4:5], 1
	v_ashrrev_i32_e32 v12, 31, v11
	s_add_u32 s1, s1, s4
	s_addc_u32 s3, s3, s5
	v_add_co_u32 v1, s1, s1, v73
	s_delay_alu instid0(VALU_DEP_1) | instskip(SKIP_1) | instid1(VALU_DEP_3)
	v_add_co_ci_u32_e64 v2, null, s3, 0, s1
	v_lshlrev_b64 v[3:4], 1, v[3:4]
	v_add_co_u32 v23, vcc_lo, v1, v5
	v_add_nc_u32_e32 v5, 8, v7
	s_delay_alu instid0(VALU_DEP_4) | instskip(NEXT) | instid1(VALU_DEP_4)
	v_add_co_ci_u32_e32 v24, vcc_lo, v2, v6, vcc_lo
	v_add_co_u32 v27, vcc_lo, v1, v3
	s_delay_alu instid0(VALU_DEP_3)
	v_mul_lo_u32 v29, v5, s0
	v_add_co_ci_u32_e32 v28, vcc_lo, v2, v4, vcc_lo
	ds_load_b128 v[3:6], v19
	ds_load_b128 v[7:10], v19 offset:128
	v_lshlrev_b64 v[31:32], 1, v[11:12]
	ds_load_b128 v[11:14], v19 offset:256
	ds_load_b128 v[15:18], v19 offset:384
	;; [unrolled: 1-line block ×3, first 2 shown]
	v_ashrrev_i32_e32 v26, 31, v25
	v_ashrrev_i32_e32 v30, 31, v29
	v_add_co_u32 v31, vcc_lo, v1, v31
	s_delay_alu instid0(VALU_DEP_3) | instskip(NEXT) | instid1(VALU_DEP_3)
	v_lshlrev_b64 v[25:26], 1, v[25:26]
	v_lshlrev_b64 v[29:30], 1, v[29:30]
	v_add_co_ci_u32_e32 v32, vcc_lo, v2, v32, vcc_lo
	s_delay_alu instid0(VALU_DEP_3) | instskip(NEXT) | instid1(VALU_DEP_4)
	v_add_co_u32 v25, vcc_lo, v1, v25
	v_add_co_ci_u32_e32 v26, vcc_lo, v2, v26, vcc_lo
	s_delay_alu instid0(VALU_DEP_4)
	v_add_co_u32 v29, vcc_lo, v1, v29
	v_add_co_ci_u32_e32 v30, vcc_lo, v2, v30, vcc_lo
	s_waitcnt lgkmcnt(4)
	global_store_b128 v[23:24], v[3:6], off
	s_waitcnt lgkmcnt(3)
	global_store_b128 v[27:28], v[7:10], off
	;; [unrolled: 2-line block ×5, first 2 shown]
	s_and_b32 exec_lo, exec_lo, s2
	s_cbranch_execz .LBB1848_2
; %bb.112:
	ds_load_b128 v[3:6], v0 offset:640
	s_add_i32 s1, s31, 10
	s_delay_alu instid0(SALU_CYCLE_1) | instskip(NEXT) | instid1(SALU_CYCLE_1)
	s_mul_i32 s0, s1, s0
	s_ashr_i32 s1, s0, 31
	s_delay_alu instid0(SALU_CYCLE_1) | instskip(NEXT) | instid1(SALU_CYCLE_1)
	s_lshl_b64 s[0:1], s[0:1], 1
	v_add_co_u32 v0, vcc_lo, v1, s0
	v_add_co_ci_u32_e32 v1, vcc_lo, s1, v2, vcc_lo
	s_waitcnt lgkmcnt(0)
	global_store_b128 v[0:1], v[3:6], off
	s_nop 0
	s_sendmsg sendmsg(MSG_DEALLOC_VGPRS)
	s_endpgm
	.section	.rodata,"a",@progbits
	.p2align	6, 0x0
	.amdhsa_kernel _Z39paged_attention_ll4mi_QKV_mfma16_kernelI14__hip_bfloat16hLN4vllm18Fp8KVCacheDataTypeE1ES0_Li16ELi128ELi256ELb0ELi11EL8MFMAType0EEvPKT_PKT0_S9_ifPKiSB_SB_iPKfiiiPfSE_PS4_PT2_iSD_SD_
		.amdhsa_group_segment_fixed_size 17472
		.amdhsa_private_segment_fixed_size 0
		.amdhsa_kernarg_size 400
		.amdhsa_user_sgpr_count 13
		.amdhsa_user_sgpr_dispatch_ptr 0
		.amdhsa_user_sgpr_queue_ptr 0
		.amdhsa_user_sgpr_kernarg_segment_ptr 1
		.amdhsa_user_sgpr_dispatch_id 0
		.amdhsa_user_sgpr_private_segment_size 0
		.amdhsa_wavefront_size32 1
		.amdhsa_uses_dynamic_stack 0
		.amdhsa_enable_private_segment 0
		.amdhsa_system_sgpr_workgroup_id_x 1
		.amdhsa_system_sgpr_workgroup_id_y 1
		.amdhsa_system_sgpr_workgroup_id_z 1
		.amdhsa_system_sgpr_workgroup_info 0
		.amdhsa_system_vgpr_workitem_id 0
		.amdhsa_next_free_vgpr 140
		.amdhsa_next_free_sgpr 36
		.amdhsa_reserve_vcc 1
		.amdhsa_float_round_mode_32 0
		.amdhsa_float_round_mode_16_64 0
		.amdhsa_float_denorm_mode_32 3
		.amdhsa_float_denorm_mode_16_64 3
		.amdhsa_dx10_clamp 1
		.amdhsa_ieee_mode 1
		.amdhsa_fp16_overflow 0
		.amdhsa_workgroup_processor_mode 1
		.amdhsa_memory_ordered 1
		.amdhsa_forward_progress 0
		.amdhsa_shared_vgpr_count 0
		.amdhsa_exception_fp_ieee_invalid_op 0
		.amdhsa_exception_fp_denorm_src 0
		.amdhsa_exception_fp_ieee_div_zero 0
		.amdhsa_exception_fp_ieee_overflow 0
		.amdhsa_exception_fp_ieee_underflow 0
		.amdhsa_exception_fp_ieee_inexact 0
		.amdhsa_exception_int_div_zero 0
	.end_amdhsa_kernel
	.section	.text._Z39paged_attention_ll4mi_QKV_mfma16_kernelI14__hip_bfloat16hLN4vllm18Fp8KVCacheDataTypeE1ES0_Li16ELi128ELi256ELb0ELi11EL8MFMAType0EEvPKT_PKT0_S9_ifPKiSB_SB_iPKfiiiPfSE_PS4_PT2_iSD_SD_,"axG",@progbits,_Z39paged_attention_ll4mi_QKV_mfma16_kernelI14__hip_bfloat16hLN4vllm18Fp8KVCacheDataTypeE1ES0_Li16ELi128ELi256ELb0ELi11EL8MFMAType0EEvPKT_PKT0_S9_ifPKiSB_SB_iPKfiiiPfSE_PS4_PT2_iSD_SD_,comdat
.Lfunc_end1848:
	.size	_Z39paged_attention_ll4mi_QKV_mfma16_kernelI14__hip_bfloat16hLN4vllm18Fp8KVCacheDataTypeE1ES0_Li16ELi128ELi256ELb0ELi11EL8MFMAType0EEvPKT_PKT0_S9_ifPKiSB_SB_iPKfiiiPfSE_PS4_PT2_iSD_SD_, .Lfunc_end1848-_Z39paged_attention_ll4mi_QKV_mfma16_kernelI14__hip_bfloat16hLN4vllm18Fp8KVCacheDataTypeE1ES0_Li16ELi128ELi256ELb0ELi11EL8MFMAType0EEvPKT_PKT0_S9_ifPKiSB_SB_iPKfiiiPfSE_PS4_PT2_iSD_SD_
                                        ; -- End function
	.section	.AMDGPU.csdata,"",@progbits
; Kernel info:
; codeLenInByte = 9004
; NumSgprs: 38
; NumVgprs: 140
; ScratchSize: 0
; MemoryBound: 0
; FloatMode: 240
; IeeeMode: 1
; LDSByteSize: 17472 bytes/workgroup (compile time only)
; SGPRBlocks: 4
; VGPRBlocks: 17
; NumSGPRsForWavesPerEU: 38
; NumVGPRsForWavesPerEU: 140
; Occupancy: 10
; WaveLimiterHint : 1
; COMPUTE_PGM_RSRC2:SCRATCH_EN: 0
; COMPUTE_PGM_RSRC2:USER_SGPR: 13
; COMPUTE_PGM_RSRC2:TRAP_HANDLER: 0
; COMPUTE_PGM_RSRC2:TGID_X_EN: 1
; COMPUTE_PGM_RSRC2:TGID_Y_EN: 1
; COMPUTE_PGM_RSRC2:TGID_Z_EN: 1
; COMPUTE_PGM_RSRC2:TIDIG_COMP_CNT: 0
	.section	.text._Z39paged_attention_ll4mi_QKV_mfma16_kernelI14__hip_bfloat16hLN4vllm18Fp8KVCacheDataTypeE1ES0_Li16ELi128ELi256ELb0ELi12EL8MFMAType0EEvPKT_PKT0_S9_ifPKiSB_SB_iPKfiiiPfSE_PS4_PT2_iSD_SD_,"axG",@progbits,_Z39paged_attention_ll4mi_QKV_mfma16_kernelI14__hip_bfloat16hLN4vllm18Fp8KVCacheDataTypeE1ES0_Li16ELi128ELi256ELb0ELi12EL8MFMAType0EEvPKT_PKT0_S9_ifPKiSB_SB_iPKfiiiPfSE_PS4_PT2_iSD_SD_,comdat
	.protected	_Z39paged_attention_ll4mi_QKV_mfma16_kernelI14__hip_bfloat16hLN4vllm18Fp8KVCacheDataTypeE1ES0_Li16ELi128ELi256ELb0ELi12EL8MFMAType0EEvPKT_PKT0_S9_ifPKiSB_SB_iPKfiiiPfSE_PS4_PT2_iSD_SD_ ; -- Begin function _Z39paged_attention_ll4mi_QKV_mfma16_kernelI14__hip_bfloat16hLN4vllm18Fp8KVCacheDataTypeE1ES0_Li16ELi128ELi256ELb0ELi12EL8MFMAType0EEvPKT_PKT0_S9_ifPKiSB_SB_iPKfiiiPfSE_PS4_PT2_iSD_SD_
	.globl	_Z39paged_attention_ll4mi_QKV_mfma16_kernelI14__hip_bfloat16hLN4vllm18Fp8KVCacheDataTypeE1ES0_Li16ELi128ELi256ELb0ELi12EL8MFMAType0EEvPKT_PKT0_S9_ifPKiSB_SB_iPKfiiiPfSE_PS4_PT2_iSD_SD_
	.p2align	8
	.type	_Z39paged_attention_ll4mi_QKV_mfma16_kernelI14__hip_bfloat16hLN4vllm18Fp8KVCacheDataTypeE1ES0_Li16ELi128ELi256ELb0ELi12EL8MFMAType0EEvPKT_PKT0_S9_ifPKiSB_SB_iPKfiiiPfSE_PS4_PT2_iSD_SD_,@function
_Z39paged_attention_ll4mi_QKV_mfma16_kernelI14__hip_bfloat16hLN4vllm18Fp8KVCacheDataTypeE1ES0_Li16ELi128ELi256ELb0ELi12EL8MFMAType0EEvPKT_PKT0_S9_ifPKiSB_SB_iPKfiiiPfSE_PS4_PT2_iSD_SD_: ; @_Z39paged_attention_ll4mi_QKV_mfma16_kernelI14__hip_bfloat16hLN4vllm18Fp8KVCacheDataTypeE1ES0_Li16ELi128ELi256ELb0ELi12EL8MFMAType0EEvPKT_PKT0_S9_ifPKiSB_SB_iPKfiiiPfSE_PS4_PT2_iSD_SD_
; %bb.0:
	s_load_b64 s[4:5], s[0:1], 0x30
	s_mov_b32 s30, s13
	s_waitcnt lgkmcnt(0)
	s_cmp_lg_u64 s[4:5], 0
	s_cselect_b32 s13, -1, 0
	s_ashr_i32 s31, s30, 31
	s_cmp_eq_u64 s[4:5], 0
	s_cbranch_scc1 .LBB1849_3
; %bb.1:
	s_lshl_b64 s[2:3], s[30:31], 2
	s_delay_alu instid0(SALU_CYCLE_1) | instskip(SKIP_4) | instid1(SALU_CYCLE_1)
	s_add_u32 s2, s4, s2
	s_addc_u32 s3, s5, s3
	s_load_b64 s[2:3], s[2:3], 0x0
	s_waitcnt lgkmcnt(0)
	s_sub_i32 s2, s3, s2
	s_cmp_eq_u32 s2, 1
	s_cselect_b32 s2, -1, 0
	s_delay_alu instid0(SALU_CYCLE_1)
	s_and_not1_b32 vcc_lo, exec_lo, s2
	s_cbranch_vccz .LBB1849_4
.LBB1849_2:
	s_endpgm
.LBB1849_3:
.LBB1849_4:
	s_load_b64 s[2:3], s[0:1], 0x28
	s_lshl_b64 s[6:7], s[30:31], 2
	s_waitcnt lgkmcnt(0)
	s_add_u32 s2, s2, s6
	s_addc_u32 s3, s3, s7
	s_lshl_b32 s12, s14, 8
	s_load_b32 s17, s[2:3], 0x0
	s_waitcnt lgkmcnt(0)
	s_cmp_ge_i32 s12, s17
	s_cbranch_scc1 .LBB1849_2
; %bb.5:
	s_clause 0x1
	s_load_b128 s[8:11], s[0:1], 0x8
	s_load_b64 s[2:3], s[0:1], 0x20
	s_and_not1_b32 vcc_lo, exec_lo, s13
	s_cbranch_vccnz .LBB1849_7
; %bb.6:
	s_add_u32 s4, s4, s6
	s_addc_u32 s5, s5, s7
	s_load_b32 s13, s[4:5], 0x0
	s_branch .LBB1849_8
.LBB1849_7:
	s_mov_b32 s13, s30
.LBB1849_8:
	s_load_b128 s[4:7], s[0:1], 0x48
	v_and_b32_e32 v65, 15, v0
	v_lshrrev_b32_e32 v66, 5, v0
	v_and_b32_e32 v67, 31, v0
	v_and_b32_e32 v75, 1, v0
	v_bfe_u32 v74, v0, 4, 1
	v_lshlrev_b32_e32 v1, 3, v65
	s_mul_i32 s29, s15, 12
	s_waitcnt lgkmcnt(0)
	s_mov_b32 s7, exec_lo
	s_delay_alu instid0(VALU_DEP_1)
	v_lshlrev_b32_e32 v73, 1, v1
	v_cmpx_gt_u32_e32 0xc0, v0
	s_cbranch_execz .LBB1849_10
; %bb.9:
	s_load_b64 s[18:19], s[0:1], 0x0
	v_lshl_or_b32 v5, v66, 1, v74
	s_mul_hi_i32 s21, s13, s4
	s_mul_i32 s20, s13, s4
	v_lshlrev_b32_e32 v6, 10, v65
	s_lshl_b64 s[20:21], s[20:21], 1
	v_add_lshl_u32 v1, v5, s29, 7
	v_lshlrev_b32_e32 v5, 6, v5
	v_lshlrev_b32_e32 v7, 10, v75
	v_and_b32_e32 v6, 0x3800, v6
	s_delay_alu instid0(VALU_DEP_4) | instskip(NEXT) | instid1(VALU_DEP_2)
	v_ashrrev_i32_e32 v2, 31, v1
	v_or3_b32 v5, v6, v7, v5
	s_delay_alu instid0(VALU_DEP_2) | instskip(SKIP_3) | instid1(VALU_DEP_1)
	v_lshlrev_b64 v[1:2], 1, v[1:2]
	s_waitcnt lgkmcnt(0)
	s_add_u32 s4, s18, s20
	s_addc_u32 s13, s19, s21
	v_add_co_u32 v1, vcc_lo, s4, v1
	s_delay_alu instid0(VALU_DEP_2) | instskip(NEXT) | instid1(VALU_DEP_2)
	v_add_co_ci_u32_e32 v2, vcc_lo, s13, v2, vcc_lo
	v_add_co_u32 v1, vcc_lo, v1, v73
	s_delay_alu instid0(VALU_DEP_2)
	v_add_co_ci_u32_e32 v2, vcc_lo, 0, v2, vcc_lo
	global_load_b128 v[1:4], v[1:2], off
	s_waitcnt vmcnt(0)
	ds_store_b128 v5, v[1:4]
.LBB1849_10:
	s_or_b32 exec_lo, exec_lo, s7
	v_and_b32_e32 v1, 0xef, v0
	s_add_i32 s4, s17, 15
	s_clause 0x1
	s_load_b32 s7, s[0:1], 0x38
	s_load_b32 s18, s[0:1], 0x1c
	s_ashr_i32 s13, s4, 31
	v_add_nc_u32_e32 v1, s12, v1
	s_lshr_b32 s13, s13, 28
	s_waitcnt lgkmcnt(0)
	s_add_i32 s4, s4, s13
	s_barrier
	v_ashrrev_i32_e32 v2, 31, v1
	v_or_b32_e32 v3, 16, v1
	s_ashr_i32 s4, s4, 4
	v_cmp_gt_i32_e32 vcc_lo, s17, v1
	s_add_i32 s4, s4, -1
	v_lshrrev_b32_e32 v2, 28, v2
	buffer_gl0_inv
	s_mul_i32 s15, s15, s6
	v_add_nc_u32_e32 v4, v1, v2
	s_mul_i32 s20, s30, s7
	s_delay_alu instid0(SALU_CYCLE_1) | instskip(NEXT) | instid1(VALU_DEP_1)
	s_ashr_i32 s21, s20, 31
	v_ashrrev_i32_e32 v4, 4, v4
	v_add_nc_u32_e32 v2, v3, v2
	s_lshl_b64 s[20:21], s[20:21], 2
	s_delay_alu instid0(SALU_CYCLE_1) | instskip(NEXT) | instid1(VALU_DEP_2)
	s_add_u32 s13, s2, s20
	v_cndmask_b32_e32 v1, s4, v4, vcc_lo
	s_delay_alu instid0(VALU_DEP_2)
	v_ashrrev_i32_e32 v2, 4, v2
	v_cmp_gt_i32_e32 vcc_lo, s17, v3
	s_addc_u32 s16, s3, s21
	s_ashr_i32 s19, s15, 31
	s_add_u32 s26, s8, s15
	s_addc_u32 s27, s9, s19
	v_cndmask_b32_e32 v3, s4, v2, vcc_lo
	v_ashrrev_i32_e32 v2, 31, v1
	s_lshl_b32 s2, s14, 4
	s_delay_alu instid0(SALU_CYCLE_1) | instskip(NEXT) | instid1(VALU_DEP_2)
	s_ashr_i32 s3, s2, 31
	v_ashrrev_i32_e32 v4, 31, v3
	s_delay_alu instid0(VALU_DEP_2) | instskip(SKIP_1) | instid1(SALU_CYCLE_1)
	v_lshlrev_b64 v[1:2], 2, v[1:2]
	s_lshl_b64 s[2:3], s[2:3], 2
	s_add_u32 s2, s13, s2
	s_delay_alu instid0(VALU_DEP_2) | instskip(SKIP_1) | instid1(VALU_DEP_2)
	v_lshlrev_b64 v[3:4], 2, v[3:4]
	s_addc_u32 s3, s16, s3
	v_add_co_u32 v1, vcc_lo, s13, v1
	v_add_co_ci_u32_e32 v2, vcc_lo, s16, v2, vcc_lo
	s_delay_alu instid0(VALU_DEP_3) | instskip(NEXT) | instid1(VALU_DEP_4)
	v_add_co_u32 v3, vcc_lo, s13, v3
	v_add_co_ci_u32_e32 v4, vcc_lo, s16, v4, vcc_lo
	s_clause 0x1
	global_load_b32 v5, v[1:2], off
	global_load_b32 v3, v[3:4], off
	s_or_b32 s6, s12, 32
	v_cmp_gt_u32_e32 vcc_lo, 12, v65
	s_ashr_i32 s7, s6, 4
	s_cmp_lt_i32 s6, s17
	s_cselect_b32 s6, s7, s4
	s_delay_alu instid0(SALU_CYCLE_1) | instskip(NEXT) | instid1(SALU_CYCLE_1)
	s_ashr_i32 s7, s6, 31
	s_lshl_b64 s[6:7], s[6:7], 2
	s_delay_alu instid0(SALU_CYCLE_1) | instskip(SKIP_2) | instid1(SALU_CYCLE_1)
	s_add_u32 s6, s13, s6
	s_addc_u32 s7, s16, s7
	s_or_b32 s8, s12, 64
	s_ashr_i32 s9, s8, 4
	s_cmp_lt_i32 s8, s17
	s_cselect_b32 s8, s9, s4
	s_delay_alu instid0(SALU_CYCLE_1) | instskip(NEXT) | instid1(SALU_CYCLE_1)
	s_ashr_i32 s9, s8, 31
	s_lshl_b64 s[8:9], s[8:9], 2
	s_delay_alu instid0(SALU_CYCLE_1) | instskip(SKIP_2) | instid1(SALU_CYCLE_1)
	s_add_u32 s8, s13, s8
	s_addc_u32 s9, s16, s9
	s_or_b32 s20, s12, 0x60
	;; [unrolled: 10-line block ×4, first 2 shown]
	s_ashr_i32 s25, s24, 4
	s_cmp_lt_i32 s24, s17
	s_cselect_b32 s24, s25, s4
	s_delay_alu instid0(SALU_CYCLE_1) | instskip(NEXT) | instid1(SALU_CYCLE_1)
	s_ashr_i32 s25, s24, 31
	s_lshl_b64 s[24:25], s[24:25], 2
	s_delay_alu instid0(SALU_CYCLE_1)
	s_add_u32 s24, s13, s24
	s_addc_u32 s25, s16, s25
	s_clause 0x5
	s_load_b32 s28, s[2:3], 0x0
	s_load_b32 s31, s[6:7], 0x0
	;; [unrolled: 1-line block ×6, first 2 shown]
	s_mov_b32 s20, 0
	s_or_b32 s2, s12, 0xc0
	s_mov_b32 s21, s20
	s_mov_b32 s22, s20
	;; [unrolled: 1-line block ×5, first 2 shown]
	v_lshlrev_b32_e32 v1, 4, v0
	s_ashr_i32 s3, s2, 4
	s_cmp_lt_i32 s2, s17
	s_cselect_b32 s2, s3, s4
	s_delay_alu instid0(VALU_DEP_1) | instskip(SKIP_1) | instid1(SALU_CYCLE_1)
	v_and_b32_e32 v1, 0xf0, v1
	s_ashr_i32 s3, s2, 31
	s_lshl_b64 s[2:3], s[2:3], 2
	s_delay_alu instid0(VALU_DEP_1) | instskip(NEXT) | instid1(VALU_DEP_1)
	v_add_co_u32 v1, s26, s26, v1
	v_add_co_ci_u32_e64 v2, null, s27, 0, s26
	s_add_u32 s2, s13, s2
	s_addc_u32 s3, s16, s3
	s_or_b32 s6, s12, 0xe0
	s_mov_b32 s27, s20
	s_ashr_i32 s7, s6, 4
	s_cmp_lt_i32 s6, s17
	s_mov_b32 s26, s20
	v_dual_mov_b32 v107, s27 :: v_dual_mov_b32 v100, s20
	s_cselect_b32 s6, s7, s4
	v_mov_b32_e32 v106, s26
	s_ashr_i32 s7, s6, 31
	v_mov_b32_e32 v104, s24
	s_lshl_b64 s[6:7], s[6:7], 2
	v_dual_mov_b32 v103, s23 :: v_dual_mov_b32 v102, s22
	v_mov_b32_e32 v101, s21
	s_waitcnt vmcnt(1)
	v_mad_i64_i32 v[33:34], null, v5, s5, v[1:2]
	s_waitcnt vmcnt(0)
	v_mad_i64_i32 v[35:36], null, v3, s5, v[1:2]
	s_clause 0xf
	global_load_b128 v[1:4], v[33:34], off
	global_load_b128 v[5:8], v[33:34], off offset:256
	global_load_b128 v[9:12], v[35:36], off
	global_load_b128 v[13:16], v[35:36], off offset:256
	global_load_b128 v[17:20], v[33:34], off offset:512
	;; [unrolled: 1-line block ×13, first 2 shown]
	v_add_nc_u32_e32 v33, -12, v65
	v_lshlrev_b32_e32 v34, 4, v65
	s_delay_alu instid0(VALU_DEP_2) | instskip(SKIP_1) | instid1(VALU_DEP_3)
	v_cndmask_b32_e32 v33, v33, v65, vcc_lo
	v_mov_b32_e32 v105, s25
	v_lshl_or_b32 v41, v66, 8, v34
	s_delay_alu instid0(VALU_DEP_3)
	v_lshlrev_b32_e32 v72, 6, v33
	ds_load_b128 v[33:36], v72
	ds_load_b128 v[37:40], v72 offset:1024
	ds_load_b128 v[108:111], v72 offset:2048
	;; [unrolled: 1-line block ×3, first 2 shown]
	s_load_b32 s4, s[2:3], 0x0
	s_add_u32 s2, s13, s6
	s_addc_u32 s3, s16, s7
	ds_load_b128 v[116:119], v72 offset:4096
	ds_load_b128 v[120:123], v72 offset:5120
	s_load_b32 s2, s[2:3], 0x0
	s_add_u32 s6, s10, s15
	s_addc_u32 s7, s11, s19
	v_add_co_u32 v68, s6, s6, v41
	s_delay_alu instid0(VALU_DEP_1) | instskip(SKIP_1) | instid1(VALU_DEP_1)
	v_add_co_ci_u32_e64 v69, null, s7, 0, s6
	s_waitcnt lgkmcnt(0)
	v_mad_i64_i32 v[41:42], null, s28, s5, v[68:69]
	v_mad_i64_i32 v[70:71], null, s8, s5, v[68:69]
	v_mad_i64_i32 v[45:46], null, s31, s5, v[68:69]
	v_mad_i64_i32 v[132:133], null, s9, s5, v[68:69]
	v_mad_i64_i32 v[134:135], null, s33, s5, v[68:69]
	v_mad_i64_i32 v[136:137], null, s34, s5, v[68:69]
	v_mad_i64_i32 v[138:139], null, s4, s5, v[68:69]
	s_clause 0x3
	global_load_b128 v[49:52], v[41:42], off
	global_load_b128 v[53:56], v[41:42], off offset:16
	global_load_b128 v[41:44], v[45:46], off
	global_load_b128 v[45:48], v[45:46], off offset:16
	s_waitcnt vmcnt(18)
	v_wmma_f32_16x16x16_bf16 v[124:131], v[1:8], v[33:40], v[100:107]
	s_waitcnt vmcnt(16)
	v_wmma_f32_16x16x16_bf16 v[100:107], v[9:16], v[33:40], v[100:107]
	s_clause 0x1
	global_load_b128 v[33:36], v[70:71], off
	global_load_b128 v[37:40], v[70:71], off offset:16
	v_mad_i64_i32 v[70:71], null, s2, s5, v[68:69]
	s_waitcnt vmcnt(16)
	v_wmma_f32_16x16x16_bf16 v[124:131], v[17:24], v[108:115], v[124:131]
	s_waitcnt vmcnt(14)
	v_wmma_f32_16x16x16_bf16 v[100:107], v[25:32], v[108:115], v[100:107]
	s_clause 0x7
	global_load_b128 v[25:28], v[132:133], off
	global_load_b128 v[29:32], v[132:133], off offset:16
	global_load_b128 v[1:4], v[134:135], off
	global_load_b128 v[5:8], v[134:135], off offset:16
	;; [unrolled: 2-line block ×4, first 2 shown]
	s_waitcnt vmcnt(20)
	v_wmma_f32_16x16x16_bf16 v[124:131], v[57:64], v[116:123], v[124:131]
	s_clause 0x1
	global_load_b128 v[57:60], v[70:71], off
	global_load_b128 v[61:64], v[70:71], off offset:16
	s_waitcnt vmcnt(20)
	v_wmma_f32_16x16x16_bf16 v[100:107], v[76:83], v[116:123], v[100:107]
	ds_load_b128 v[76:79], v72 offset:6144
	ds_load_b128 v[80:83], v72 offset:7168
	v_and_b32_e32 v68, 0xe0, v0
	v_mbcnt_lo_u32_b32 v69, -1, 0
	s_waitcnt vmcnt(0) lgkmcnt(0)
	s_barrier
	buffer_gl0_inv
	v_add_nc_u32_e32 v68, s12, v68
	v_xor_b32_e32 v70, 16, v69
	s_delay_alu instid0(VALU_DEP_2) | instskip(NEXT) | instid1(VALU_DEP_2)
	v_or_b32_e32 v68, v68, v74
	v_cmp_gt_i32_e32 vcc_lo, 32, v70
	s_delay_alu instid0(VALU_DEP_2)
	v_or_b32_e32 v71, 4, v68
	v_or_b32_e32 v72, 6, v68
	v_cmp_gt_i32_e64 s2, s17, v68
	v_or_b32_e32 v108, 8, v68
	v_wmma_f32_16x16x16_bf16 v[124:131], v[84:91], v[76:83], v[124:131]
	v_cndmask_b32_e32 v69, v69, v70, vcc_lo
	v_or_b32_e32 v70, 2, v68
	v_wmma_f32_16x16x16_bf16 v[100:107], v[92:99], v[76:83], v[100:107]
	v_or_b32_e32 v109, 10, v68
	v_dual_mul_f32 v82, s18, v127 :: v_dual_mul_f32 v79, s18, v130
	v_dual_mul_f32 v92, s18, v125 :: v_dual_mul_f32 v93, s18, v124
	s_delay_alu instid0(VALU_DEP_4)
	v_mul_f32_e32 v98, s18, v103
	v_cmp_gt_i32_e32 vcc_lo, s17, v70
	v_or_b32_e32 v89, 22, v68
	v_dual_mul_f32 v83, s18, v126 :: v_dual_mul_f32 v96, s18, v105
	v_cndmask_b32_e64 v93, 0xff7fffff, v93, s2
	v_cndmask_b32_e32 v92, 0xff7fffff, v92, vcc_lo
	v_cmp_gt_i32_e64 s3, s17, v71
	v_cmp_gt_i32_e64 s4, s17, v72
	v_or_b32_e32 v84, 12, v68
	v_or_b32_e32 v85, 14, v68
	v_dual_mul_f32 v80, s18, v129 :: v_dual_mul_f32 v81, s18, v128
	v_mul_f32_e32 v94, s18, v107
	v_cndmask_b32_e64 v71, 0xff7fffff, v83, s3
	v_cndmask_b32_e64 v72, 0xff7fffff, v82, s4
	v_cmp_gt_i32_e64 s5, s17, v108
	v_cmp_gt_i32_e64 s6, s17, v109
	;; [unrolled: 1-line block ×3, first 2 shown]
	v_lshlrev_b32_e32 v89, 2, v69
	v_max3_f32 v82, v93, 0xff7fffff, v92
	v_or_b32_e32 v86, 16, v68
	v_or_b32_e32 v87, 18, v68
	v_mul_f32_e32 v78, s18, v131
	v_cndmask_b32_e64 v81, 0xff7fffff, v81, s5
	v_cndmask_b32_e64 v80, 0xff7fffff, v80, s6
	v_max3_f32 v71, v82, v71, v72
	v_cmp_gt_i32_e64 s7, s17, v84
	v_cmp_gt_i32_e64 s8, s17, v85
	v_or_b32_e32 v88, 20, v68
	v_or_b32_e32 v90, 24, v68
	;; [unrolled: 1-line block ×5, first 2 shown]
	v_dual_mul_f32 v95, s18, v106 :: v_dual_mul_f32 v70, s18, v101
	v_dual_mul_f32 v99, s18, v102 :: v_dual_mul_f32 v68, s18, v100
	v_cndmask_b32_e64 v72, 0xff7fffff, v79, s7
	v_cndmask_b32_e64 v78, 0xff7fffff, v78, s8
	v_max3_f32 v71, v71, v81, v80
	v_cmp_gt_i32_e64 s9, s17, v86
	v_cmp_gt_i32_e64 s10, s17, v87
	;; [unrolled: 1-line block ×3, first 2 shown]
	v_mul_f32_e32 v97, s18, v104
	v_max3_f32 v71, v71, v72, v78
	v_cndmask_b32_e64 v68, 0xff7fffff, v68, s9
	v_cndmask_b32_e64 v70, 0xff7fffff, v70, s10
	;; [unrolled: 1-line block ×4, first 2 shown]
	v_cmp_gt_i32_e64 s13, s17, v90
	v_cmp_gt_i32_e64 s15, s17, v91
	v_max3_f32 v68, v71, v68, v70
	v_cmp_gt_i32_e64 s16, s17, v76
	v_cmp_gt_i32_e64 s17, s17, v77
	v_cndmask_b32_e64 v70, 0xff7fffff, v97, s13
	v_cndmask_b32_e64 v71, 0xff7fffff, v96, s15
	v_max3_f32 v68, v68, v72, v78
	v_cndmask_b32_e64 v72, 0xff7fffff, v95, s16
	v_cndmask_b32_e64 v76, 0xff7fffff, v94, s17
	s_delay_alu instid0(VALU_DEP_3) | instskip(NEXT) | instid1(VALU_DEP_1)
	v_max3_f32 v68, v68, v70, v71
	v_max3_f32 v68, v68, v72, v76
	ds_bpermute_b32 v69, v89, v68
	s_waitcnt lgkmcnt(0)
	v_max_f32_e32 v69, v69, v69
	s_delay_alu instid0(VALU_DEP_1) | instskip(NEXT) | instid1(VALU_DEP_1)
	v_max_f32_e32 v68, v68, v69
	v_fma_f32 v69, s18, v124, -v68
	v_fma_f32 v70, s18, v125, -v68
	;; [unrolled: 1-line block ×5, first 2 shown]
	s_delay_alu instid0(VALU_DEP_4) | instskip(NEXT) | instid1(VALU_DEP_4)
	v_dual_mul_f32 v69, 0x3fb8aa3b, v69 :: v_dual_mul_f32 v70, 0x3fb8aa3b, v70
	v_mul_f32_e32 v72, 0x3fb8aa3b, v72
	v_fma_f32 v78, s18, v130, -v68
	s_delay_alu instid0(VALU_DEP_4) | instskip(NEXT) | instid1(VALU_DEP_4)
	v_mul_f32_e32 v77, 0x3fb8aa3b, v76
	v_exp_f32_e32 v69, v69
	v_exp_f32_e32 v70, v70
	v_mul_f32_e32 v71, 0x3fb8aa3b, v71
	v_exp_f32_e32 v72, v72
	v_mul_f32_e32 v78, 0x3fb8aa3b, v78
	v_exp_f32_e32 v77, v77
	v_fma_f32 v81, s18, v105, -v68
	s_delay_alu instid0(VALU_DEP_2)
	v_exp_f32_e32 v78, v78
	v_cndmask_b32_e64 v80, 0, v69, s2
	v_cndmask_b32_e32 v76, 0, v70, vcc_lo
	v_exp_f32_e32 v71, v71
	v_fma_f32 v69, s18, v129, -v68
	v_cndmask_b32_e64 v85, 0, v72, s4
	v_add_f32_e32 v70, 0, v80
	s_delay_alu instid0(TRANS32_DEP_3)
	v_cndmask_b32_e64 v86, 0, v77, s5
	v_fma_f32 v77, s18, v101, -v68
	v_mul_f32_e32 v69, 0x3fb8aa3b, v69
	v_fma_f32 v72, s18, v100, -v68
	v_cndmask_b32_e64 v84, 0, v78, s7
	v_fma_f32 v78, s18, v103, -v68
	v_cndmask_b32_e64 v83, 0, v71, s3
	v_fma_f32 v71, s18, v131, -v68
	v_add_f32_e32 v70, v70, v76
	v_exp_f32_e32 v69, v69
	v_mul_f32_e32 v77, 0x3fb8aa3b, v77
	v_mul_f32_e32 v81, 0x3fb8aa3b, v81
	;; [unrolled: 1-line block ×3, first 2 shown]
	v_add_f32_e32 v70, v70, v83
	s_mov_b32 s2, exec_lo
	v_exp_f32_e32 v77, v77
	v_exp_f32_e32 v81, v81
	;; [unrolled: 1-line block ×3, first 2 shown]
	v_cndmask_b32_e64 v87, 0, v69, s6
	v_add_f32_e32 v70, v70, v85
	s_delay_alu instid0(VALU_DEP_1) | instskip(SKIP_1) | instid1(VALU_DEP_2)
	v_dual_mul_f32 v72, 0x3fb8aa3b, v72 :: v_dual_add_f32 v69, v70, v86
	v_fma_f32 v70, s18, v102, -v68
	v_exp_f32_e32 v72, v72
	s_waitcnt_depctr 0xfff
	v_cndmask_b32_e64 v88, 0, v71, s8
	v_fma_f32 v71, s18, v104, -v68
	v_dual_add_f32 v69, v69, v87 :: v_dual_mul_f32 v70, 0x3fb8aa3b, v70
	s_delay_alu instid0(VALU_DEP_2) | instskip(NEXT) | instid1(VALU_DEP_2)
	v_dual_mul_f32 v78, 0x3fb8aa3b, v78 :: v_dual_mul_f32 v71, 0x3fb8aa3b, v71
	v_add_f32_e32 v69, v69, v84
	s_delay_alu instid0(VALU_DEP_3) | instskip(SKIP_1) | instid1(VALU_DEP_3)
	v_exp_f32_e32 v79, v70
	v_cndmask_b32_e64 v70, 0, v72, s9
	v_exp_f32_e32 v78, v78
	v_exp_f32_e32 v82, v71
	v_add_f32_e32 v72, v69, v88
	v_cndmask_b32_e64 v69, 0, v77, s10
	v_fma_f32 v77, s18, v106, -v68
	s_delay_alu instid0(VALU_DEP_3) | instskip(NEXT) | instid1(TRANS32_DEP_3)
	v_add_f32_e32 v72, v72, v70
	v_cndmask_b32_e64 v71, 0, v79, s11
	s_delay_alu instid0(VALU_DEP_3) | instskip(NEXT) | instid1(VALU_DEP_3)
	v_mul_f32_e32 v77, 0x3fb8aa3b, v77
	v_add_f32_e32 v79, v72, v69
	s_delay_alu instid0(TRANS32_DEP_2) | instskip(NEXT) | instid1(VALU_DEP_3)
	v_cndmask_b32_e64 v72, 0, v78, s12
	v_exp_f32_e32 v90, v77
	v_cndmask_b32_e64 v77, 0, v82, s13
	s_delay_alu instid0(VALU_DEP_3) | instskip(SKIP_1) | instid1(VALU_DEP_1)
	v_add_f32_e32 v78, v79, v71
	v_fma_f32 v79, s18, v107, -v68
	v_dual_add_f32 v82, v78, v72 :: v_dual_mul_f32 v79, 0x3fb8aa3b, v79
	v_cndmask_b32_e64 v78, 0, v81, s15
	s_delay_alu instid0(VALU_DEP_2) | instskip(NEXT) | instid1(VALU_DEP_3)
	v_add_f32_e32 v81, v82, v77
	v_exp_f32_e32 v82, v79
	s_delay_alu instid0(TRANS32_DEP_2) | instskip(NEXT) | instid1(VALU_DEP_2)
	v_cndmask_b32_e64 v79, 0, v90, s16
	v_add_f32_e32 v81, v81, v78
	s_delay_alu instid0(VALU_DEP_1) | instskip(SKIP_2) | instid1(VALU_DEP_1)
	v_add_f32_e32 v90, v81, v79
	s_waitcnt_depctr 0xfff
	v_cndmask_b32_e64 v81, 0, v82, s17
	v_add_f32_e32 v82, v90, v81
	ds_bpermute_b32 v89, v89, v82
	v_cmpx_gt_u32_e32 16, v67
	s_cbranch_execz .LBB1849_12
; %bb.11:
	v_mul_u32_u24_e32 v67, 0x44, v66
	s_delay_alu instid0(VALU_DEP_1) | instskip(SKIP_1) | instid1(VALU_DEP_1)
	v_lshl_add_u32 v67, v65, 2, v67
	s_waitcnt lgkmcnt(0)
	v_dual_add_f32 v82, v82, v89 :: v_dual_add_nc_u32 v67, 0x4000, v67
	ds_store_2addr_b32 v67, v68, v82 offset1:136
.LBB1849_12:
	s_or_b32 exec_lo, exec_lo, s2
	v_lshlrev_b32_e32 v67, 2, v65
	s_waitcnt lgkmcnt(0)
	s_barrier
	buffer_gl0_inv
	v_cmp_eq_u32_e32 vcc_lo, 1, v66
	v_add_nc_u32_e32 v82, 0x4000, v67
	v_cmp_eq_u32_e64 s2, 2, v66
	v_cmp_eq_u32_e64 s4, 7, v66
	ds_load_2addr_b32 v[89:90], v82 offset1:17
	ds_load_2addr_b32 v[91:92], v82 offset0:34 offset1:51
	ds_load_2addr_b32 v[93:94], v82 offset0:68 offset1:85
	;; [unrolled: 1-line block ×4, first 2 shown]
	s_waitcnt lgkmcnt(4)
	v_max3_f32 v67, v89, 0xff7fffff, v90
	s_waitcnt lgkmcnt(3)
	s_delay_alu instid0(VALU_DEP_1) | instskip(SKIP_1) | instid1(VALU_DEP_1)
	v_max3_f32 v67, v67, v91, v92
	s_waitcnt lgkmcnt(2)
	v_max3_f32 v67, v67, v93, v94
	s_waitcnt lgkmcnt(1)
	s_delay_alu instid0(VALU_DEP_1) | instskip(NEXT) | instid1(VALU_DEP_1)
	v_max3_f32 v67, v67, v95, v96
	v_sub_f32_e32 v93, v93, v67
	s_delay_alu instid0(VALU_DEP_1) | instskip(NEXT) | instid1(VALU_DEP_1)
	v_dual_sub_f32 v68, v89, v67 :: v_dual_mul_f32 v103, 0x3fb8aa3b, v93
	v_mul_f32_e32 v68, 0x3fb8aa3b, v68
	s_delay_alu instid0(VALU_DEP_1)
	v_exp_f32_e32 v100, v68
	v_sub_f32_e32 v68, v92, v67
	v_sub_f32_e32 v99, v90, v67
	ds_load_2addr_b32 v[89:90], v82 offset0:170 offset1:187
	v_dual_mul_f32 v102, 0x3fb8aa3b, v68 :: v_dual_mul_f32 v99, 0x3fb8aa3b, v99
	s_waitcnt lgkmcnt(1)
	v_fma_f32 v68, v100, v97, 0
	s_delay_alu instid0(VALU_DEP_2) | instskip(NEXT) | instid1(VALU_DEP_2)
	v_exp_f32_e32 v102, v102
	v_exp_f32_e32 v99, v99
	s_waitcnt_depctr 0xfff
	v_fmac_f32_e32 v68, v99, v98
	v_sub_f32_e32 v91, v91, v67
	s_delay_alu instid0(VALU_DEP_1)
	v_mul_f32_e32 v101, 0x3fb8aa3b, v91
	ds_load_2addr_b32 v[91:92], v82 offset0:204 offset1:221
	v_sub_f32_e32 v97, v94, v67
	ds_load_2addr_b32 v[93:94], v82 offset0:238 offset1:255
	s_waitcnt lgkmcnt(0)
	v_exp_f32_e32 v101, v101
	s_barrier
	buffer_gl0_inv
	v_dual_fmac_f32 v68, v101, v89 :: v_dual_sub_f32 v89, v96, v67
	v_dual_sub_f32 v82, v95, v67 :: v_dual_mul_f32 v95, 0x3fb8aa3b, v97
	v_exp_f32_e32 v97, v103
	s_delay_alu instid0(VALU_DEP_2) | instskip(NEXT) | instid1(VALU_DEP_2)
	v_dual_fmac_f32 v68, v102, v90 :: v_dual_mul_f32 v89, 0x3fb8aa3b, v89
	v_mul_f32_e32 v82, 0x3fb8aa3b, v82
	s_delay_alu instid0(VALU_DEP_3) | instskip(NEXT) | instid1(VALU_DEP_2)
	v_exp_f32_e32 v95, v95
	v_exp_f32_e32 v89, v89
	s_delay_alu instid0(VALU_DEP_1)
	v_exp_f32_e32 v82, v82
	v_fmac_f32_e32 v68, v97, v91
	s_delay_alu instid0(TRANS32_DEP_3) | instid1(VALU_DEP_1)
	v_fmac_f32_e32 v68, v95, v92
	s_waitcnt_depctr 0xfff
	v_fmac_f32_e32 v68, v82, v93
	s_delay_alu instid0(VALU_DEP_1) | instskip(NEXT) | instid1(VALU_DEP_1)
	v_fmac_f32_e32 v68, v89, v94
	v_add_f32_e32 v90, 0x358637bd, v68
	s_delay_alu instid0(VALU_DEP_1) | instskip(NEXT) | instid1(VALU_DEP_1)
	v_div_scale_f32 v91, null, v90, v90, 1.0
	v_rcp_f32_e32 v92, v91
	s_waitcnt_depctr 0xfff
	v_fma_f32 v93, -v91, v92, 1.0
	s_delay_alu instid0(VALU_DEP_1) | instskip(SKIP_1) | instid1(VALU_DEP_2)
	v_dual_fmac_f32 v92, v93, v92 :: v_dual_cndmask_b32 v93, v100, v99
	v_cmp_eq_u32_e32 vcc_lo, 3, v66
	v_cndmask_b32_e64 v93, v93, v101, s2
	v_cmp_eq_u32_e64 s2, 4, v66
	s_delay_alu instid0(VALU_DEP_2) | instskip(SKIP_1) | instid1(VALU_DEP_2)
	v_cndmask_b32_e32 v93, v93, v102, vcc_lo
	v_cmp_eq_u32_e32 vcc_lo, 5, v66
	v_cndmask_b32_e64 v93, v93, v97, s2
	v_cmp_eq_u32_e64 s2, 6, v66
	s_delay_alu instid0(VALU_DEP_2) | instskip(SKIP_1) | instid1(VALU_DEP_1)
	v_cndmask_b32_e32 v93, v93, v95, vcc_lo
	v_div_scale_f32 v94, s3, 1.0, v90, 1.0
	s_mov_b32 vcc_lo, s3
	s_delay_alu instid0(VALU_DEP_2) | instskip(NEXT) | instid1(VALU_DEP_2)
	v_cndmask_b32_e64 v82, v93, v82, s2
	v_mul_f32_e32 v96, v94, v92
	s_mov_b32 s2, exec_lo
	s_delay_alu instid0(VALU_DEP_2) | instskip(NEXT) | instid1(VALU_DEP_2)
	v_cndmask_b32_e64 v82, v82, v89, s4
	v_fma_f32 v98, -v91, v96, v94
	s_delay_alu instid0(VALU_DEP_1) | instskip(NEXT) | instid1(VALU_DEP_1)
	v_fmac_f32_e32 v96, v98, v92
	v_fma_f32 v91, -v91, v96, v94
	s_delay_alu instid0(VALU_DEP_1) | instskip(NEXT) | instid1(VALU_DEP_1)
	v_div_fmas_f32 v91, v91, v92, v96
	v_div_fixup_f32 v90, v91, v90, 1.0
	s_delay_alu instid0(VALU_DEP_1) | instskip(NEXT) | instid1(VALU_DEP_1)
	v_mul_f32_e32 v82, v82, v90
	v_mul_f32_e32 v87, v82, v87
	;; [unrolled: 1-line block ×7, first 2 shown]
	v_dual_mul_f32 v86, v82, v83 :: v_dual_and_b32 v91, 0x7f800000, v90
	v_mul_f32_e32 v85, v82, v76
                                        ; implicit-def: $vgpr76
	s_delay_alu instid0(VALU_DEP_2)
	v_cmpx_ne_u32_e32 0x7f800000, v91
	s_xor_b32 s2, exec_lo, s2
; %bb.13:
	v_bfe_u32 v76, v90, 16, 1
	s_delay_alu instid0(VALU_DEP_1)
	v_add3_u32 v76, v90, v76, 0x7fff
                                        ; implicit-def: $vgpr90
; %bb.14:
	s_and_not1_saveexec_b32 s2, s2
; %bb.15:
	v_and_b32_e32 v76, 0xffff, v90
	v_or_b32_e32 v83, 0x10000, v90
	s_delay_alu instid0(VALU_DEP_2) | instskip(NEXT) | instid1(VALU_DEP_2)
	v_cmp_eq_u32_e32 vcc_lo, 0, v76
	v_cndmask_b32_e32 v76, v83, v90, vcc_lo
; %bb.16:
	s_or_b32 exec_lo, exec_lo, s2
	v_and_b32_e32 v83, 0x7f800000, v85
	s_delay_alu instid0(VALU_DEP_1) | instskip(SKIP_1) | instid1(SALU_CYCLE_1)
	v_cmp_ne_u32_e32 vcc_lo, 0x7f800000, v83
                                        ; implicit-def: $vgpr83
	s_and_saveexec_b32 s2, vcc_lo
	s_xor_b32 s2, exec_lo, s2
; %bb.17:
	v_bfe_u32 v83, v85, 16, 1
	s_delay_alu instid0(VALU_DEP_1)
	v_add3_u32 v83, v85, v83, 0x7fff
                                        ; implicit-def: $vgpr85
; %bb.18:
	s_and_not1_saveexec_b32 s2, s2
; %bb.19:
	v_and_b32_e32 v83, 0xffff, v85
	v_or_b32_e32 v90, 0x10000, v85
	s_delay_alu instid0(VALU_DEP_2) | instskip(NEXT) | instid1(VALU_DEP_2)
	v_cmp_eq_u32_e32 vcc_lo, 0, v83
	v_cndmask_b32_e32 v83, v90, v85, vcc_lo
; %bb.20:
	s_or_b32 exec_lo, exec_lo, s2
	v_and_b32_e32 v85, 0x7f800000, v86
	s_delay_alu instid0(VALU_DEP_1) | instskip(SKIP_1) | instid1(SALU_CYCLE_1)
	v_cmp_ne_u32_e32 vcc_lo, 0x7f800000, v85
                                        ; implicit-def: $vgpr85
	s_and_saveexec_b32 s2, vcc_lo
	s_xor_b32 s2, exec_lo, s2
; %bb.21:
	v_bfe_u32 v85, v86, 16, 1
	s_delay_alu instid0(VALU_DEP_1)
	v_add3_u32 v85, v86, v85, 0x7fff
                                        ; implicit-def: $vgpr86
; %bb.22:
	s_and_not1_saveexec_b32 s2, s2
; %bb.23:
	v_and_b32_e32 v85, 0xffff, v86
	v_or_b32_e32 v90, 0x10000, v86
	s_delay_alu instid0(VALU_DEP_2) | instskip(NEXT) | instid1(VALU_DEP_2)
	v_cmp_eq_u32_e32 vcc_lo, 0, v85
	v_cndmask_b32_e32 v85, v90, v86, vcc_lo
; %bb.24:
	s_or_b32 exec_lo, exec_lo, s2
	v_and_b32_e32 v86, 0x7f800000, v89
	s_delay_alu instid0(VALU_DEP_1) | instskip(SKIP_1) | instid1(SALU_CYCLE_1)
	v_cmp_ne_u32_e32 vcc_lo, 0x7f800000, v86
                                        ; implicit-def: $vgpr86
	s_and_saveexec_b32 s2, vcc_lo
	s_xor_b32 s2, exec_lo, s2
; %bb.25:
	v_bfe_u32 v86, v89, 16, 1
	s_delay_alu instid0(VALU_DEP_1)
	v_add3_u32 v86, v89, v86, 0x7fff
                                        ; implicit-def: $vgpr89
; %bb.26:
	s_and_not1_saveexec_b32 s2, s2
; %bb.27:
	v_and_b32_e32 v86, 0xffff, v89
	v_or_b32_e32 v90, 0x10000, v89
	s_delay_alu instid0(VALU_DEP_2) | instskip(NEXT) | instid1(VALU_DEP_2)
	v_cmp_eq_u32_e32 vcc_lo, 0, v86
	v_cndmask_b32_e32 v86, v90, v89, vcc_lo
; %bb.28:
	s_or_b32 exec_lo, exec_lo, s2
	v_and_b32_e32 v89, 0x7f800000, v88
	s_delay_alu instid0(VALU_DEP_1) | instskip(SKIP_1) | instid1(SALU_CYCLE_1)
	v_cmp_ne_u32_e32 vcc_lo, 0x7f800000, v89
                                        ; implicit-def: $vgpr89
	s_and_saveexec_b32 s2, vcc_lo
	s_xor_b32 s2, exec_lo, s2
; %bb.29:
	v_bfe_u32 v89, v88, 16, 1
	s_delay_alu instid0(VALU_DEP_1)
	v_add3_u32 v89, v88, v89, 0x7fff
                                        ; implicit-def: $vgpr88
; %bb.30:
	s_and_not1_saveexec_b32 s2, s2
; %bb.31:
	v_and_b32_e32 v89, 0xffff, v88
	v_or_b32_e32 v90, 0x10000, v88
	s_delay_alu instid0(VALU_DEP_2) | instskip(NEXT) | instid1(VALU_DEP_2)
	v_cmp_eq_u32_e32 vcc_lo, 0, v89
	v_cndmask_b32_e32 v89, v90, v88, vcc_lo
; %bb.32:
	s_or_b32 exec_lo, exec_lo, s2
	v_and_b32_e32 v88, 0x7f800000, v87
	s_delay_alu instid0(VALU_DEP_1) | instskip(SKIP_1) | instid1(SALU_CYCLE_1)
	v_cmp_ne_u32_e32 vcc_lo, 0x7f800000, v88
                                        ; implicit-def: $vgpr88
	s_and_saveexec_b32 s2, vcc_lo
	s_xor_b32 s2, exec_lo, s2
; %bb.33:
	v_bfe_u32 v88, v87, 16, 1
	s_delay_alu instid0(VALU_DEP_1)
	v_add3_u32 v88, v87, v88, 0x7fff
                                        ; implicit-def: $vgpr87
; %bb.34:
	s_and_not1_saveexec_b32 s2, s2
; %bb.35:
	v_and_b32_e32 v88, 0xffff, v87
	v_or_b32_e32 v90, 0x10000, v87
	s_delay_alu instid0(VALU_DEP_2) | instskip(NEXT) | instid1(VALU_DEP_2)
	v_cmp_eq_u32_e32 vcc_lo, 0, v88
	v_cndmask_b32_e32 v88, v90, v87, vcc_lo
; %bb.36:
	s_or_b32 exec_lo, exec_lo, s2
	v_and_b32_e32 v87, 0x7f800000, v84
	s_delay_alu instid0(VALU_DEP_1) | instskip(SKIP_1) | instid1(SALU_CYCLE_1)
	v_cmp_ne_u32_e32 vcc_lo, 0x7f800000, v87
                                        ; implicit-def: $vgpr87
	s_and_saveexec_b32 s2, vcc_lo
	s_xor_b32 s2, exec_lo, s2
; %bb.37:
	v_bfe_u32 v87, v84, 16, 1
	s_delay_alu instid0(VALU_DEP_1)
	v_add3_u32 v87, v84, v87, 0x7fff
                                        ; implicit-def: $vgpr84
; %bb.38:
	s_and_not1_saveexec_b32 s2, s2
; %bb.39:
	v_and_b32_e32 v87, 0xffff, v84
	v_or_b32_e32 v90, 0x10000, v84
	s_delay_alu instid0(VALU_DEP_2) | instskip(NEXT) | instid1(VALU_DEP_2)
	v_cmp_eq_u32_e32 vcc_lo, 0, v87
	v_cndmask_b32_e32 v87, v90, v84, vcc_lo
; %bb.40:
	s_or_b32 exec_lo, exec_lo, s2
	v_and_b32_e32 v84, 0x7f800000, v80
	s_delay_alu instid0(VALU_DEP_1) | instskip(SKIP_1) | instid1(SALU_CYCLE_1)
	v_cmp_ne_u32_e32 vcc_lo, 0x7f800000, v84
                                        ; implicit-def: $vgpr84
	s_and_saveexec_b32 s2, vcc_lo
	s_xor_b32 s2, exec_lo, s2
; %bb.41:
	v_bfe_u32 v84, v80, 16, 1
	s_delay_alu instid0(VALU_DEP_1)
	v_add3_u32 v84, v80, v84, 0x7fff
                                        ; implicit-def: $vgpr80
; %bb.42:
	s_and_not1_saveexec_b32 s2, s2
; %bb.43:
	v_and_b32_e32 v84, 0xffff, v80
	v_or_b32_e32 v90, 0x10000, v80
	s_delay_alu instid0(VALU_DEP_2) | instskip(NEXT) | instid1(VALU_DEP_2)
	v_cmp_eq_u32_e32 vcc_lo, 0, v84
	v_cndmask_b32_e32 v84, v90, v80, vcc_lo
; %bb.44:
	s_or_b32 exec_lo, exec_lo, s2
	s_load_b64 s[34:35], s[0:1], 0x94
	v_lshlrev_b32_e32 v91, 4, v74
	s_delay_alu instid0(VALU_DEP_2)
	v_perm_b32 v90, v84, v87, 0x7060302
	v_dual_mul_f32 v79, v82, v79 :: v_dual_lshlrev_b32 v80, 6, v65
	v_dual_mul_f32 v77, v82, v77 :: v_dual_lshlrev_b32 v92, 11, v66
	v_mul_f32_e32 v84, v82, v70
	v_perm_b32 v89, v88, v89, 0x7060302
	v_perm_b32 v88, v86, v85, 0x7060302
	v_perm_b32 v87, v83, v76, 0x7060302
	v_mul_f32_e32 v70, v82, v81
	v_or3_b32 v76, v91, v92, v80
	v_dual_mul_f32 v78, v82, v78 :: v_dual_and_b32 v85, 0x7f800000, v84
	v_mul_f32_e32 v83, v82, v72
	v_mul_f32_e32 v81, v82, v71
	;; [unrolled: 1-line block ×3, first 2 shown]
	s_mov_b32 s2, exec_lo
	ds_store_b128 v76, v[87:90]
                                        ; implicit-def: $vgpr69
	v_cmpx_ne_u32_e32 0x7f800000, v85
	s_xor_b32 s2, exec_lo, s2
; %bb.45:
	v_bfe_u32 v69, v84, 16, 1
	s_delay_alu instid0(VALU_DEP_1)
	v_add3_u32 v69, v84, v69, 0x7fff
                                        ; implicit-def: $vgpr84
; %bb.46:
	s_and_not1_saveexec_b32 s2, s2
; %bb.47:
	v_and_b32_e32 v69, 0xffff, v84
	v_or_b32_e32 v71, 0x10000, v84
	s_delay_alu instid0(VALU_DEP_2) | instskip(NEXT) | instid1(VALU_DEP_2)
	v_cmp_eq_u32_e32 vcc_lo, 0, v69
	v_cndmask_b32_e32 v69, v71, v84, vcc_lo
; %bb.48:
	s_or_b32 exec_lo, exec_lo, s2
	v_and_b32_e32 v71, 0x7f800000, v72
	s_delay_alu instid0(VALU_DEP_1) | instskip(SKIP_1) | instid1(SALU_CYCLE_1)
	v_cmp_ne_u32_e32 vcc_lo, 0x7f800000, v71
                                        ; implicit-def: $vgpr71
	s_and_saveexec_b32 s2, vcc_lo
	s_xor_b32 s2, exec_lo, s2
; %bb.49:
	v_bfe_u32 v71, v72, 16, 1
	s_delay_alu instid0(VALU_DEP_1)
	v_add3_u32 v71, v72, v71, 0x7fff
                                        ; implicit-def: $vgpr72
; %bb.50:
	s_and_not1_saveexec_b32 s2, s2
; %bb.51:
	v_and_b32_e32 v71, 0xffff, v72
	v_or_b32_e32 v82, 0x10000, v72
	s_delay_alu instid0(VALU_DEP_2) | instskip(NEXT) | instid1(VALU_DEP_2)
	v_cmp_eq_u32_e32 vcc_lo, 0, v71
	v_cndmask_b32_e32 v71, v82, v72, vcc_lo
; %bb.52:
	s_or_b32 exec_lo, exec_lo, s2
	v_and_b32_e32 v72, 0x7f800000, v81
	s_delay_alu instid0(VALU_DEP_1) | instskip(SKIP_1) | instid1(SALU_CYCLE_1)
	v_cmp_ne_u32_e32 vcc_lo, 0x7f800000, v72
                                        ; implicit-def: $vgpr72
	s_and_saveexec_b32 s2, vcc_lo
	s_xor_b32 s2, exec_lo, s2
; %bb.53:
	v_bfe_u32 v72, v81, 16, 1
	s_delay_alu instid0(VALU_DEP_1)
	v_add3_u32 v72, v81, v72, 0x7fff
                                        ; implicit-def: $vgpr81
; %bb.54:
	s_and_not1_saveexec_b32 s2, s2
; %bb.55:
	v_and_b32_e32 v72, 0xffff, v81
	v_or_b32_e32 v82, 0x10000, v81
	s_delay_alu instid0(VALU_DEP_2) | instskip(NEXT) | instid1(VALU_DEP_2)
	v_cmp_eq_u32_e32 vcc_lo, 0, v72
	v_cndmask_b32_e32 v72, v82, v81, vcc_lo
; %bb.56:
	s_or_b32 exec_lo, exec_lo, s2
	v_and_b32_e32 v81, 0x7f800000, v83
	s_delay_alu instid0(VALU_DEP_1) | instskip(SKIP_1) | instid1(SALU_CYCLE_1)
	v_cmp_ne_u32_e32 vcc_lo, 0x7f800000, v81
                                        ; implicit-def: $vgpr81
	s_and_saveexec_b32 s2, vcc_lo
	s_xor_b32 s2, exec_lo, s2
; %bb.57:
	v_bfe_u32 v81, v83, 16, 1
	s_delay_alu instid0(VALU_DEP_1)
	v_add3_u32 v81, v83, v81, 0x7fff
                                        ; implicit-def: $vgpr83
; %bb.58:
	s_and_not1_saveexec_b32 s2, s2
; %bb.59:
	v_and_b32_e32 v81, 0xffff, v83
	v_or_b32_e32 v82, 0x10000, v83
	s_delay_alu instid0(VALU_DEP_2) | instskip(NEXT) | instid1(VALU_DEP_2)
	v_cmp_eq_u32_e32 vcc_lo, 0, v81
	v_cndmask_b32_e32 v81, v82, v83, vcc_lo
; %bb.60:
	s_or_b32 exec_lo, exec_lo, s2
	v_and_b32_e32 v82, 0x7f800000, v77
	s_delay_alu instid0(VALU_DEP_1) | instskip(SKIP_1) | instid1(SALU_CYCLE_1)
	v_cmp_ne_u32_e32 vcc_lo, 0x7f800000, v82
                                        ; implicit-def: $vgpr82
	s_and_saveexec_b32 s2, vcc_lo
	s_xor_b32 s2, exec_lo, s2
; %bb.61:
	v_bfe_u32 v82, v77, 16, 1
	s_delay_alu instid0(VALU_DEP_1)
	v_add3_u32 v82, v77, v82, 0x7fff
                                        ; implicit-def: $vgpr77
; %bb.62:
	s_and_not1_saveexec_b32 s2, s2
; %bb.63:
	v_and_b32_e32 v82, 0xffff, v77
	v_or_b32_e32 v83, 0x10000, v77
	s_delay_alu instid0(VALU_DEP_2) | instskip(NEXT) | instid1(VALU_DEP_2)
	v_cmp_eq_u32_e32 vcc_lo, 0, v82
	v_cndmask_b32_e32 v82, v83, v77, vcc_lo
; %bb.64:
	s_or_b32 exec_lo, exec_lo, s2
	v_and_b32_e32 v77, 0x7f800000, v78
	s_delay_alu instid0(VALU_DEP_1) | instskip(SKIP_1) | instid1(SALU_CYCLE_1)
	v_cmp_ne_u32_e32 vcc_lo, 0x7f800000, v77
                                        ; implicit-def: $vgpr77
	s_and_saveexec_b32 s2, vcc_lo
	s_xor_b32 s2, exec_lo, s2
; %bb.65:
	v_bfe_u32 v77, v78, 16, 1
	s_delay_alu instid0(VALU_DEP_1)
	v_add3_u32 v77, v78, v77, 0x7fff
                                        ; implicit-def: $vgpr78
; %bb.66:
	s_and_not1_saveexec_b32 s2, s2
; %bb.67:
	v_and_b32_e32 v77, 0xffff, v78
	v_or_b32_e32 v83, 0x10000, v78
	s_delay_alu instid0(VALU_DEP_2) | instskip(NEXT) | instid1(VALU_DEP_2)
	v_cmp_eq_u32_e32 vcc_lo, 0, v77
	v_cndmask_b32_e32 v77, v83, v78, vcc_lo
; %bb.68:
	s_or_b32 exec_lo, exec_lo, s2
	v_and_b32_e32 v78, 0x7f800000, v79
	s_delay_alu instid0(VALU_DEP_1) | instskip(SKIP_1) | instid1(SALU_CYCLE_1)
	v_cmp_ne_u32_e32 vcc_lo, 0x7f800000, v78
                                        ; implicit-def: $vgpr78
	s_and_saveexec_b32 s2, vcc_lo
	s_xor_b32 s2, exec_lo, s2
; %bb.69:
	v_bfe_u32 v78, v79, 16, 1
	s_delay_alu instid0(VALU_DEP_1)
	v_add3_u32 v78, v79, v78, 0x7fff
                                        ; implicit-def: $vgpr79
; %bb.70:
	s_and_not1_saveexec_b32 s2, s2
; %bb.71:
	v_and_b32_e32 v78, 0xffff, v79
	v_or_b32_e32 v83, 0x10000, v79
	s_delay_alu instid0(VALU_DEP_2) | instskip(NEXT) | instid1(VALU_DEP_2)
	v_cmp_eq_u32_e32 vcc_lo, 0, v78
	v_cndmask_b32_e32 v78, v83, v79, vcc_lo
; %bb.72:
	s_or_b32 exec_lo, exec_lo, s2
	v_and_b32_e32 v79, 0x7f800000, v70
	s_delay_alu instid0(VALU_DEP_1) | instskip(SKIP_1) | instid1(SALU_CYCLE_1)
	v_cmp_ne_u32_e32 vcc_lo, 0x7f800000, v79
                                        ; implicit-def: $vgpr79
	s_and_saveexec_b32 s2, vcc_lo
	s_xor_b32 s2, exec_lo, s2
; %bb.73:
	v_bfe_u32 v79, v70, 16, 1
	s_delay_alu instid0(VALU_DEP_1)
	v_add3_u32 v79, v70, v79, 0x7fff
                                        ; implicit-def: $vgpr70
; %bb.74:
	s_and_not1_saveexec_b32 s2, s2
; %bb.75:
	v_and_b32_e32 v79, 0xffff, v70
	v_or_b32_e32 v83, 0x10000, v70
	s_delay_alu instid0(VALU_DEP_2) | instskip(NEXT) | instid1(VALU_DEP_2)
	v_cmp_eq_u32_e32 vcc_lo, 0, v79
	v_cndmask_b32_e32 v79, v83, v70, vcc_lo
; %bb.76:
	s_or_b32 exec_lo, exec_lo, s2
	s_delay_alu instid0(VALU_DEP_1)
	v_perm_b32 v86, v79, v78, 0x7060302
	v_perm_b32 v85, v77, v82, 0x7060302
	;; [unrolled: 1-line block ×4, first 2 shown]
	v_lshl_or_b32 v82, v66, 11, v80
	ds_store_b128 v76, v[83:86] offset:1024
	s_waitcnt lgkmcnt(0)
	s_barrier
	buffer_gl0_inv
	ds_load_b128 v[69:72], v82
	ds_load_b128 v[83:86], v82 offset:16
	s_waitcnt lgkmcnt(1)
	v_lshrrev_b32_e32 v66, 16, v69
	s_waitcnt lgkmcnt(0)
	v_lshrrev_b32_e32 v91, 16, v83
	v_lshlrev_b32_e32 v78, 2, v74
	v_lshrrev_b32_e32 v95, 16, v70
	v_lshrrev_b32_e32 v98, 16, v84
	;; [unrolled: 1-line block ×4, first 2 shown]
	v_cmp_eq_u32_e32 vcc_lo, 1, v78
	v_lshrrev_b32_e32 v97, 16, v72
	v_lshrrev_b32_e32 v100, 16, v86
	v_cndmask_b32_e32 v87, v83, v91, vcc_lo
	v_or_b32_e32 v79, 1, v78
	v_cndmask_b32_e32 v81, v69, v66, vcc_lo
	v_cmp_eq_u32_e64 s3, 2, v78
	v_cmp_eq_u32_e64 s6, 3, v78
	;; [unrolled: 1-line block ×5, first 2 shown]
	v_cndmask_b32_e64 v81, v81, v70, s3
	v_cndmask_b32_e64 v87, v87, v84, s3
	v_cmp_eq_u32_e64 s7, 3, v79
	v_cndmask_b32_e64 v88, v69, v66, s2
	v_or_b32_e32 v77, 2, v78
	v_cndmask_b32_e64 v81, v81, v95, s6
	v_cndmask_b32_e64 v87, v87, v98, s6
	;; [unrolled: 1-line block ×4, first 2 shown]
	v_cmp_eq_u32_e64 s9, 5, v78
	v_cndmask_b32_e64 v81, v81, v71, s8
	v_cndmask_b32_e64 v87, v87, v85, s8
	v_cmp_eq_u32_e64 s10, 4, v79
	v_cndmask_b32_e64 v88, v88, v95, s7
	v_cmp_eq_u32_e64 s4, 1, v77
	v_cndmask_b32_e64 v89, v89, v84, s5
	v_cndmask_b32_e64 v81, v81, v96, s9
	v_cmp_eq_u32_e64 s11, 6, v78
	v_cndmask_b32_e64 v88, v88, v71, s10
	;; [unrolled: 3-line block ×3, first 2 shown]
	v_cndmask_b32_e64 v89, v89, v98, s7
	v_cndmask_b32_e64 v81, v81, v72, s11
	v_cmp_eq_u32_e64 s13, 7, v78
	v_cndmask_b32_e64 v88, v88, v96, s12
	v_cndmask_b32_e64 v87, v87, v86, s11
	v_cmp_eq_u32_e64 s15, 6, v79
	v_cmp_eq_u32_e64 s16, 2, v77
	v_cndmask_b32_e64 v89, v89, v85, s10
	v_cndmask_b32_e64 v101, v81, v97, s13
	;; [unrolled: 1-line block ×6, first 2 shown]
	v_cmp_eq_u32_e64 s17, 7, v79
	v_cmp_eq_u32_e64 s18, 3, v77
	v_cmp_eq_u32_e64 s19, 4, v77
	v_cmp_eq_u32_e64 s21, 5, v77
	v_cndmask_b32_e64 v87, v87, v84, s16
	v_cndmask_b32_e64 v103, v88, v97, s17
	;; [unrolled: 1-line block ×4, first 2 shown]
	v_or_b32_e32 v81, 3, v78
	v_cndmask_b32_e64 v93, v87, v98, s18
	v_cmp_eq_u32_e64 s23, 6, v77
	v_cndmask_b32_e64 v104, v88, v86, s15
	v_cndmask_b32_e64 v92, v89, v71, s19
	v_cmp_eq_u32_e64 s20, 1, v81
	ds_load_b128 v[87:90], v82 offset:1024
	v_cmp_eq_u32_e64 s22, 2, v81
	v_cmp_eq_u32_e64 s24, 3, v81
	v_cndmask_b32_e64 v105, v92, v96, s21
	v_cndmask_b32_e64 v66, v69, v66, s20
	;; [unrolled: 1-line block ×4, first 2 shown]
	ds_load_b128 v[91:94], v82 offset:1040
	v_cmp_eq_u32_e64 s25, 4, v81
	v_cndmask_b32_e64 v66, v66, v70, s22
	v_cmp_eq_u32_e64 s26, 7, v77
	v_cndmask_b32_e64 v70, v83, v84, s22
	v_cndmask_b32_e64 v84, v105, v72, s23
	v_cmp_eq_u32_e64 s27, 5, v81
	v_cndmask_b32_e64 v66, v66, v95, s24
	v_cmp_eq_u32_e64 s28, 6, v81
	v_cndmask_b32_e64 v70, v70, v98, s24
	v_cndmask_b32_e64 v69, v69, v99, s21
	;; [unrolled: 1-line block ×4, first 2 shown]
	s_waitcnt lgkmcnt(1)
	v_lshrrev_b32_e32 v95, 16, v87
	v_cndmask_b32_e64 v70, v70, v85, s25
	v_cndmask_b32_e64 v71, v84, v97, s26
	;; [unrolled: 1-line block ×4, first 2 shown]
	v_cndmask_b32_e32 v84, v87, v95, vcc_lo
	v_cndmask_b32_e64 v70, v70, v99, s27
	s_waitcnt lgkmcnt(0)
	v_lshrrev_b32_e32 v85, 16, v91
	v_lshrrev_b32_e32 v96, 16, v88
	v_cndmask_b32_e64 v98, v87, v95, s2
	v_cndmask_b32_e64 v84, v84, v88, s3
	v_cndmask_b32_e64 v70, v70, v86, s28
	v_cndmask_b32_e32 v99, v91, v85, vcc_lo
	v_cmp_eq_u32_e32 vcc_lo, 7, v81
	v_cndmask_b32_e64 v66, v66, v72, s28
	v_cndmask_b32_e64 v72, v84, v96, s6
	;; [unrolled: 1-line block ×3, first 2 shown]
	v_lshrrev_b32_e32 v98, 16, v92
	v_cndmask_b32_e32 v70, v70, v100, vcc_lo
	v_cndmask_b32_e64 v86, v99, v92, s3
	v_cndmask_b32_e64 v69, v69, v100, s26
	v_lshrrev_b32_e32 v100, 16, v93
	v_cndmask_b32_e64 v72, v72, v89, s8
	v_lshrrev_b32_e32 v99, 16, v89
	v_cndmask_b32_e64 v86, v86, v98, s6
	v_perm_b32 v71, v69, v71, 0x5040100
	v_cndmask_b32_e64 v84, v84, v96, s7
	s_delay_alu instid0(VALU_DEP_3) | instskip(NEXT) | instid1(VALU_DEP_2)
	v_cndmask_b32_e64 v86, v86, v93, s8
	v_cndmask_b32_e64 v84, v84, v89, s10
	s_delay_alu instid0(VALU_DEP_2) | instskip(NEXT) | instid1(VALU_DEP_1)
	v_cndmask_b32_e64 v86, v86, v100, s9
	v_cndmask_b32_e64 v69, v86, v94, s11
	v_cndmask_b32_e64 v86, v87, v95, s4
	v_cndmask_b32_e64 v87, v87, v95, s20
	v_cndmask_b32_e64 v95, v91, v85, s20
	s_delay_alu instid0(VALU_DEP_3) | instskip(NEXT) | instid1(VALU_DEP_3)
	v_cndmask_b32_e64 v86, v86, v88, s16
	v_cndmask_b32_e64 v87, v87, v88, s22
	s_delay_alu instid0(VALU_DEP_3) | instskip(NEXT) | instid1(VALU_DEP_3)
	v_cndmask_b32_e64 v88, v95, v92, s22
	v_cndmask_b32_e64 v86, v86, v96, s18
	;; [unrolled: 3-line block ×7, first 2 shown]
	s_delay_alu instid0(VALU_DEP_3) | instskip(SKIP_2) | instid1(VALU_DEP_2)
	v_cndmask_b32_e64 v88, v88, v94, s28
	v_cndmask_b32_e32 v66, v66, v97, vcc_lo
	v_cndmask_b32_e64 v97, v72, v99, s9
	v_perm_b32 v72, v70, v66, 0x5040100
	v_perm_b32 v70, v83, v103, 0x5040100
	v_cndmask_b32_e64 v103, v91, v85, s4
	v_cndmask_b32_e64 v85, v91, v85, s2
	;; [unrolled: 1-line block ×4, first 2 shown]
	v_lshrrev_b32_e32 v97, 16, v90
	v_cndmask_b32_e64 v91, v103, v92, s16
	v_cndmask_b32_e64 v85, v85, v92, s5
	;; [unrolled: 1-line block ×3, first 2 shown]
	s_mov_b32 s2, exec_lo
	v_cndmask_b32_e64 v83, v84, v97, s13
	v_cndmask_b32_e64 v91, v91, v98, s18
	;; [unrolled: 1-line block ×3, first 2 shown]
	v_lshrrev_b32_e32 v84, 16, v94
	v_cndmask_b32_e64 v66, v66, v97, s17
	v_cndmask_b32_e64 v90, v86, v97, s26
	;; [unrolled: 1-line block ×4, first 2 shown]
	v_dual_cndmask_b32 v86, v87, v97 :: v_dual_cndmask_b32 v87, v88, v84
	v_cndmask_b32_e64 v91, v69, v84, s13
	s_delay_alu instid0(VALU_DEP_4) | instskip(NEXT) | instid1(VALU_DEP_4)
	v_cndmask_b32_e64 v89, v89, v100, s21
	v_cndmask_b32_e64 v85, v85, v100, s12
	v_perm_b32 v69, v102, v101, 0x5040100
	v_perm_b32 v86, v87, v86, 0x5040100
	;; [unrolled: 1-line block ×3, first 2 shown]
	v_cndmask_b32_e64 v89, v89, v94, s23
	v_cndmask_b32_e64 v85, v85, v94, s15
	s_mul_i32 s7, s35, 12
	s_delay_alu instid0(VALU_DEP_2) | instskip(NEXT) | instid1(VALU_DEP_2)
	v_cndmask_b32_e64 v88, v89, v84, s26
	v_cndmask_b32_e64 v89, v85, v84, s17
	s_delay_alu instid0(VALU_DEP_2) | instskip(NEXT) | instid1(VALU_DEP_2)
	v_perm_b32 v85, v88, v90, 0x5040100
	v_perm_b32 v84, v89, v66, 0x5040100
	ds_store_b128 v76, v[69:72]
	ds_store_b128 v76, v[83:86] offset:1024
	v_cmpx_gt_u32_e32 12, v0
	s_cbranch_execz .LBB1849_78
; %bb.77:
	s_mul_i32 s3, s7, s30
	s_load_b128 s[8:11], s[0:1], 0x58
	v_add3_u32 v69, s3, s29, v65
	s_delay_alu instid0(VALU_DEP_1) | instskip(NEXT) | instid1(VALU_DEP_1)
	v_mad_u64_u32 v[65:66], null, v69, s34, s[14:15]
	v_ashrrev_i32_e32 v66, 31, v65
	s_delay_alu instid0(VALU_DEP_1) | instskip(SKIP_1) | instid1(VALU_DEP_1)
	v_lshlrev_b64 v[65:66], 2, v[65:66]
	s_waitcnt lgkmcnt(0)
	v_add_co_u32 v69, vcc_lo, s10, v65
	s_delay_alu instid0(VALU_DEP_2)
	v_add_co_ci_u32_e32 v70, vcc_lo, s11, v66, vcc_lo
	v_add_co_u32 v65, vcc_lo, s8, v65
	v_add_co_ci_u32_e32 v66, vcc_lo, s9, v66, vcc_lo
	global_store_b32 v[69:70], v67, off
	global_store_b32 v[65:66], v68, off
.LBB1849_78:
	s_or_b32 exec_lo, exec_lo, s2
	s_waitcnt lgkmcnt(0)
	s_waitcnt_vscnt null, 0x0
	s_barrier
	buffer_gl0_inv
	ds_load_b128 v[83:86], v80
	ds_load_b128 v[87:90], v80 offset:16
	ds_load_b128 v[95:98], v80 offset:2064
	;; [unrolled: 1-line block ×3, first 2 shown]
	v_mov_b32_e32 v65, 0
	ds_load_b128 v[103:106], v80 offset:4112
	ds_load_b128 v[99:102], v80 offset:4096
	;; [unrolled: 1-line block ×4, first 2 shown]
	v_mov_b32_e32 v66, v65
	v_mov_b32_e32 v67, v65
	;; [unrolled: 1-line block ×7, first 2 shown]
	s_waitcnt lgkmcnt(6)
	s_delay_alu instid0(VALU_DEP_1)
	v_wmma_f32_16x16x16_bf16 v[65:72], v[49:56], v[83:90], v[65:72]
	ds_load_b128 v[53:56], v80 offset:8208
	ds_load_b128 v[49:52], v80 offset:8192
	s_waitcnt lgkmcnt(6)
	v_wmma_f32_16x16x16_bf16 v[65:72], v[41:48], v[91:98], v[65:72]
	ds_load_b128 v[45:48], v80 offset:10256
	ds_load_b128 v[41:44], v80 offset:10240
	s_waitcnt lgkmcnt(6)
	;; [unrolled: 4-line block ×4, first 2 shown]
	v_wmma_f32_16x16x16_bf16 v[65:72], v[1:8], v[49:56], v[65:72]
	s_waitcnt lgkmcnt(4)
	s_delay_alu instid0(VALU_DEP_1) | instskip(SKIP_1) | instid1(VALU_DEP_1)
	v_wmma_f32_16x16x16_bf16 v[65:72], v[9:16], v[41:48], v[65:72]
	s_waitcnt lgkmcnt(2)
	v_wmma_f32_16x16x16_bf16 v[65:72], v[17:24], v[33:40], v[65:72]
	s_waitcnt lgkmcnt(0)
	s_delay_alu instid0(VALU_DEP_1) | instskip(NEXT) | instid1(VALU_DEP_1)
	v_wmma_f32_16x16x16_bf16 v[65:72], v[57:64], v[25:32], v[65:72]
	v_and_b32_e32 v1, 0x7f800000, v65
	s_delay_alu instid0(VALU_DEP_1) | instskip(SKIP_1) | instid1(SALU_CYCLE_1)
	v_cmp_ne_u32_e32 vcc_lo, 0x7f800000, v1
                                        ; implicit-def: $vgpr1
	s_and_saveexec_b32 s2, vcc_lo
	s_xor_b32 s2, exec_lo, s2
; %bb.79:
	v_bfe_u32 v1, v65, 16, 1
	s_delay_alu instid0(VALU_DEP_1)
	v_add3_u32 v1, v65, v1, 0x7fff
; %bb.80:
	s_and_not1_saveexec_b32 s2, s2
; %bb.81:
	v_and_b32_e32 v1, 0xffff, v65
	v_or_b32_e32 v2, 0x10000, v65
	s_delay_alu instid0(VALU_DEP_2) | instskip(NEXT) | instid1(VALU_DEP_2)
	v_cmp_eq_u32_e32 vcc_lo, 0, v1
	v_cndmask_b32_e32 v1, v2, v65, vcc_lo
; %bb.82:
	s_or_b32 exec_lo, exec_lo, s2
	v_and_b32_e32 v2, 0x7f800000, v66
	s_delay_alu instid0(VALU_DEP_1) | instskip(SKIP_1) | instid1(SALU_CYCLE_1)
	v_cmp_ne_u32_e32 vcc_lo, 0x7f800000, v2
                                        ; implicit-def: $vgpr2
	s_and_saveexec_b32 s2, vcc_lo
	s_xor_b32 s2, exec_lo, s2
; %bb.83:
	v_bfe_u32 v2, v66, 16, 1
	s_delay_alu instid0(VALU_DEP_1)
	v_add3_u32 v2, v66, v2, 0x7fff
; %bb.84:
	s_and_not1_saveexec_b32 s2, s2
; %bb.85:
	v_and_b32_e32 v2, 0xffff, v66
	v_or_b32_e32 v3, 0x10000, v66
	s_delay_alu instid0(VALU_DEP_2) | instskip(NEXT) | instid1(VALU_DEP_2)
	v_cmp_eq_u32_e32 vcc_lo, 0, v2
	v_cndmask_b32_e32 v2, v3, v66, vcc_lo
; %bb.86:
	s_or_b32 exec_lo, exec_lo, s2
	v_and_b32_e32 v3, 0x7f800000, v67
	s_delay_alu instid0(VALU_DEP_1) | instskip(SKIP_1) | instid1(SALU_CYCLE_1)
	v_cmp_ne_u32_e32 vcc_lo, 0x7f800000, v3
                                        ; implicit-def: $vgpr3
	s_and_saveexec_b32 s2, vcc_lo
	s_xor_b32 s2, exec_lo, s2
; %bb.87:
	v_bfe_u32 v3, v67, 16, 1
	s_delay_alu instid0(VALU_DEP_1)
	v_add3_u32 v3, v67, v3, 0x7fff
; %bb.88:
	s_and_not1_saveexec_b32 s2, s2
; %bb.89:
	v_and_b32_e32 v3, 0xffff, v67
	v_or_b32_e32 v4, 0x10000, v67
	s_delay_alu instid0(VALU_DEP_2) | instskip(NEXT) | instid1(VALU_DEP_2)
	v_cmp_eq_u32_e32 vcc_lo, 0, v3
	v_cndmask_b32_e32 v3, v4, v67, vcc_lo
; %bb.90:
	s_or_b32 exec_lo, exec_lo, s2
	v_and_b32_e32 v4, 0x7f800000, v68
	s_delay_alu instid0(VALU_DEP_1) | instskip(SKIP_1) | instid1(SALU_CYCLE_1)
	v_cmp_ne_u32_e32 vcc_lo, 0x7f800000, v4
                                        ; implicit-def: $vgpr4
	s_and_saveexec_b32 s2, vcc_lo
	s_xor_b32 s2, exec_lo, s2
; %bb.91:
	v_bfe_u32 v4, v68, 16, 1
	s_delay_alu instid0(VALU_DEP_1)
	v_add3_u32 v4, v68, v4, 0x7fff
; %bb.92:
	s_and_not1_saveexec_b32 s2, s2
; %bb.93:
	v_and_b32_e32 v4, 0xffff, v68
	v_or_b32_e32 v5, 0x10000, v68
	s_delay_alu instid0(VALU_DEP_2) | instskip(NEXT) | instid1(VALU_DEP_2)
	v_cmp_eq_u32_e32 vcc_lo, 0, v4
	v_cndmask_b32_e32 v4, v5, v68, vcc_lo
; %bb.94:
	s_or_b32 exec_lo, exec_lo, s2
	v_and_b32_e32 v5, 0x7f800000, v69
	s_delay_alu instid0(VALU_DEP_1) | instskip(SKIP_1) | instid1(SALU_CYCLE_1)
	v_cmp_ne_u32_e32 vcc_lo, 0x7f800000, v5
                                        ; implicit-def: $vgpr5
	s_and_saveexec_b32 s2, vcc_lo
	s_xor_b32 s2, exec_lo, s2
; %bb.95:
	v_bfe_u32 v5, v69, 16, 1
	s_delay_alu instid0(VALU_DEP_1)
	v_add3_u32 v5, v69, v5, 0x7fff
; %bb.96:
	s_and_not1_saveexec_b32 s2, s2
; %bb.97:
	v_and_b32_e32 v5, 0xffff, v69
	v_or_b32_e32 v6, 0x10000, v69
	s_delay_alu instid0(VALU_DEP_2) | instskip(NEXT) | instid1(VALU_DEP_2)
	v_cmp_eq_u32_e32 vcc_lo, 0, v5
	v_cndmask_b32_e32 v5, v6, v69, vcc_lo
; %bb.98:
	s_or_b32 exec_lo, exec_lo, s2
	v_and_b32_e32 v6, 0x7f800000, v70
	s_delay_alu instid0(VALU_DEP_1) | instskip(SKIP_1) | instid1(SALU_CYCLE_1)
	v_cmp_ne_u32_e32 vcc_lo, 0x7f800000, v6
                                        ; implicit-def: $vgpr6
	s_and_saveexec_b32 s2, vcc_lo
	s_xor_b32 s2, exec_lo, s2
; %bb.99:
	v_bfe_u32 v6, v70, 16, 1
	s_delay_alu instid0(VALU_DEP_1)
	v_add3_u32 v6, v70, v6, 0x7fff
; %bb.100:
	s_and_not1_saveexec_b32 s2, s2
; %bb.101:
	v_and_b32_e32 v6, 0xffff, v70
	v_or_b32_e32 v7, 0x10000, v70
	s_delay_alu instid0(VALU_DEP_2) | instskip(NEXT) | instid1(VALU_DEP_2)
	v_cmp_eq_u32_e32 vcc_lo, 0, v6
	v_cndmask_b32_e32 v6, v7, v70, vcc_lo
; %bb.102:
	s_or_b32 exec_lo, exec_lo, s2
	v_and_b32_e32 v7, 0x7f800000, v71
	s_delay_alu instid0(VALU_DEP_1) | instskip(SKIP_1) | instid1(SALU_CYCLE_1)
	v_cmp_ne_u32_e32 vcc_lo, 0x7f800000, v7
                                        ; implicit-def: $vgpr7
	s_and_saveexec_b32 s2, vcc_lo
	s_xor_b32 s2, exec_lo, s2
; %bb.103:
	v_bfe_u32 v7, v71, 16, 1
	s_delay_alu instid0(VALU_DEP_1)
	v_add3_u32 v7, v71, v7, 0x7fff
; %bb.104:
	s_and_not1_saveexec_b32 s2, s2
; %bb.105:
	v_and_b32_e32 v7, 0xffff, v71
	v_or_b32_e32 v8, 0x10000, v71
	s_delay_alu instid0(VALU_DEP_2) | instskip(NEXT) | instid1(VALU_DEP_2)
	v_cmp_eq_u32_e32 vcc_lo, 0, v7
	v_cndmask_b32_e32 v7, v8, v71, vcc_lo
; %bb.106:
	s_or_b32 exec_lo, exec_lo, s2
	v_and_b32_e32 v8, 0x7f800000, v72
	s_delay_alu instid0(VALU_DEP_1) | instskip(SKIP_1) | instid1(SALU_CYCLE_1)
	v_cmp_ne_u32_e32 vcc_lo, 0x7f800000, v8
                                        ; implicit-def: $vgpr8
	s_and_saveexec_b32 s2, vcc_lo
	s_xor_b32 s2, exec_lo, s2
; %bb.107:
	v_bfe_u32 v8, v72, 16, 1
	s_delay_alu instid0(VALU_DEP_1)
	v_add3_u32 v8, v72, v8, 0x7fff
                                        ; implicit-def: $vgpr65_vgpr66_vgpr67_vgpr68_vgpr69_vgpr70_vgpr71_vgpr72
; %bb.108:
	s_and_not1_saveexec_b32 s2, s2
; %bb.109:
	v_and_b32_e32 v8, 0xffff, v72
	v_or_b32_e32 v9, 0x10000, v72
	s_delay_alu instid0(VALU_DEP_2) | instskip(NEXT) | instid1(VALU_DEP_2)
	v_cmp_eq_u32_e32 vcc_lo, 0, v8
	v_cndmask_b32_e32 v8, v9, v72, vcc_lo
; %bb.110:
	s_or_b32 exec_lo, exec_lo, s2
	s_delay_alu instid0(VALU_DEP_1)
	v_perm_b32 v7, v8, v7, 0x7060302
	v_perm_b32 v6, v6, v5, 0x7060302
	;; [unrolled: 1-line block ×4, first 2 shown]
	s_barrier
	buffer_gl0_inv
	v_cmp_eq_u32_e32 vcc_lo, 1, v78
	ds_store_b128 v76, v[4:7]
	s_waitcnt lgkmcnt(0)
	s_barrier
	buffer_gl0_inv
	ds_load_b128 v[1:4], v82
	ds_load_b128 v[5:8], v82 offset:16
	v_cmp_eq_u32_e64 s2, 1, v79
	v_cmp_eq_u32_e64 s3, 2, v78
	;; [unrolled: 1-line block ×5, first 2 shown]
	s_waitcnt lgkmcnt(1)
	v_lshrrev_b32_e32 v9, 16, v1
	s_waitcnt lgkmcnt(0)
	v_lshrrev_b32_e32 v13, 16, v5
	v_lshrrev_b32_e32 v10, 16, v2
	v_lshrrev_b32_e32 v14, 16, v6
	v_lshrrev_b32_e32 v11, 16, v3
	v_cndmask_b32_e64 v19, v1, v9, s2
	v_cndmask_b32_e32 v18, v5, v13, vcc_lo
	v_cndmask_b32_e64 v20, v5, v13, s2
	v_cndmask_b32_e32 v17, v1, v9, vcc_lo
	v_cmp_eq_u32_e32 vcc_lo, 2, v79
	v_lshrrev_b32_e32 v15, 16, v7
	v_cmp_eq_u32_e64 s2, 1, v77
	v_lshrrev_b32_e32 v12, 16, v4
	v_lshrrev_b32_e32 v16, 16, v8
	v_cndmask_b32_e32 v20, v20, v6, vcc_lo
	v_cndmask_b32_e64 v17, v17, v2, s3
	v_cndmask_b32_e32 v19, v19, v2, vcc_lo
	v_cndmask_b32_e64 v18, v18, v6, s3
	v_cmp_eq_u32_e32 vcc_lo, 4, v78
	v_cmp_eq_u32_e64 s3, 3, v79
	v_cndmask_b32_e64 v17, v17, v10, s4
	v_cndmask_b32_e64 v21, v1, v9, s2
	;; [unrolled: 1-line block ×5, first 2 shown]
	v_cndmask_b32_e32 v17, v17, v3, vcc_lo
	v_cndmask_b32_e64 v20, v20, v14, s3
	v_cndmask_b32_e32 v18, v18, v7, vcc_lo
	v_cmp_eq_u32_e32 vcc_lo, 4, v79
	v_cmp_eq_u32_e64 s3, 5, v79
	v_cmp_eq_u32_e64 s2, 2, v81
	v_cndmask_b32_e64 v21, v21, v2, s6
	v_cmp_eq_u32_e64 s4, 5, v78
	v_cndmask_b32_e32 v19, v19, v3, vcc_lo
	v_cndmask_b32_e32 v20, v20, v7, vcc_lo
	v_cmp_eq_u32_e32 vcc_lo, 6, v79
	s_delay_alu instid0(VALU_DEP_4) | instskip(NEXT) | instid1(VALU_DEP_4)
	v_cndmask_b32_e64 v17, v17, v11, s4
	v_cndmask_b32_e64 v19, v19, v11, s3
	s_delay_alu instid0(VALU_DEP_4) | instskip(SKIP_1) | instid1(VALU_DEP_3)
	v_cndmask_b32_e64 v20, v20, v15, s3
	v_cmp_eq_u32_e64 s3, 1, v81
	v_cndmask_b32_e32 v19, v19, v4, vcc_lo
	v_cndmask_b32_e64 v18, v18, v15, s4
	s_delay_alu instid0(VALU_DEP_3)
	v_cndmask_b32_e64 v1, v1, v9, s3
	v_cndmask_b32_e64 v5, v5, v13, s3
	v_cmp_eq_u32_e64 s3, 3, v77
	v_cndmask_b32_e64 v13, v22, v6, s6
	v_cmp_eq_u32_e64 s6, 3, v81
	v_cndmask_b32_e64 v1, v1, v2, s2
	v_cndmask_b32_e64 v2, v5, v6, s2
	v_cndmask_b32_e64 v9, v21, v10, s3
	v_cmp_eq_u32_e64 s2, 4, v77
	v_cndmask_b32_e64 v6, v13, v14, s3
	v_cndmask_b32_e64 v1, v1, v10, s6
	v_cmp_eq_u32_e64 s3, 4, v81
	v_cndmask_b32_e64 v2, v2, v14, s6
	v_cndmask_b32_e64 v5, v9, v3, s2
	;; [unrolled: 3-line block ×3, first 2 shown]
	v_cndmask_b32_e64 v2, v2, v7, s3
	v_cmp_eq_u32_e64 s2, 5, v81
	v_cmp_eq_u32_e64 s4, 6, v78
	v_cndmask_b32_e64 v5, v5, v11, s6
	v_cmp_eq_u32_e64 s3, 6, v77
	v_cndmask_b32_e64 v3, v6, v15, s6
	v_cndmask_b32_e64 v1, v1, v11, s2
	v_cmp_eq_u32_e64 s6, 6, v81
	v_cndmask_b32_e64 v2, v2, v15, s2
	v_cndmask_b32_e64 v17, v17, v4, s4
	v_cndmask_b32_e64 v18, v18, v8, s4
	v_cmp_eq_u32_e64 s4, 7, v78
	v_cndmask_b32_e64 v5, v5, v4, s3
	;; [unrolled: 4-line block ×3, first 2 shown]
	v_cmp_eq_u32_e64 s3, 7, v77
	v_cndmask_b32_e32 v4, v20, v8, vcc_lo
	v_cndmask_b32_e64 v17, v17, v12, s4
	v_cndmask_b32_e64 v19, v19, v12, s5
	;; [unrolled: 1-line block ×8, first 2 shown]
	s_mov_b32 s2, exec_lo
	v_perm_b32 v4, v2, v1, 0x5040100
	v_perm_b32 v3, v3, v5, 0x5040100
	;; [unrolled: 1-line block ×4, first 2 shown]
	ds_store_b128 v76, v[1:4]
	s_waitcnt lgkmcnt(0)
	s_barrier
	buffer_gl0_inv
	v_cmpx_gt_u32_e32 32, v0
	s_cbranch_execz .LBB1849_2
; %bb.111:
	s_load_b64 s[0:1], s[0:1], 0x68
	v_lshlrev_b32_e32 v0, 10, v0
	s_lshl_b32 s4, s34, 7
	v_or_b32_e32 v3, s29, v74
	s_mul_i32 s2, s4, s30
	v_lshlrev_b32_e32 v1, 4, v75
	s_mul_i32 s2, s2, s7
	v_lshlrev_b32_e32 v2, 6, v74
	v_and_b32_e32 v0, 0x3800, v0
	s_ashr_i32 s3, s2, 31
	v_mul_lo_u32 v4, v3, s4
	s_lshl_b64 s[2:3], s[2:3], 1
	s_delay_alu instid0(VALU_DEP_2) | instskip(NEXT) | instid1(VALU_DEP_2)
	v_or3_b32 v16, v0, v1, v2
	v_ashrrev_i32_e32 v5, 31, v4
	ds_load_b128 v[0:3], v16
	s_waitcnt lgkmcnt(0)
	s_add_u32 s2, s0, s2
	s_addc_u32 s3, s1, s3
	s_lshl_b32 s0, s14, 7
	v_lshlrev_b64 v[5:6], 1, v[4:5]
	s_ashr_i32 s1, s0, 31
	s_delay_alu instid0(SALU_CYCLE_1) | instskip(NEXT) | instid1(SALU_CYCLE_1)
	s_lshl_b64 s[0:1], s[0:1], 1
	s_add_u32 s0, s2, s0
	s_addc_u32 s1, s3, s1
	s_lshl_b32 s2, s34, 8
	v_add_co_u32 v30, s0, s0, v73
	v_add_nc_u32_e32 v8, s2, v4
	v_add_co_ci_u32_e64 v31, null, s1, 0, s0
	s_delay_alu instid0(VALU_DEP_3) | instskip(NEXT) | instid1(VALU_DEP_3)
	v_add_co_u32 v12, vcc_lo, v30, v5
	v_add_nc_u32_e32 v10, s2, v8
	v_ashrrev_i32_e32 v9, 31, v8
	s_delay_alu instid0(VALU_DEP_4)
	v_add_co_ci_u32_e32 v13, vcc_lo, v31, v6, vcc_lo
	ds_load_b128 v[4:7], v16 offset:128
	v_ashrrev_i32_e32 v11, 31, v10
	v_lshlrev_b64 v[8:9], 1, v[8:9]
	v_add_nc_u32_e32 v14, s2, v10
	global_store_b128 v[12:13], v[0:3], off
	v_lshlrev_b64 v[0:1], 1, v[10:11]
	v_ashrrev_i32_e32 v15, 31, v14
	v_add_co_u32 v22, vcc_lo, v30, v8
	v_add_nc_u32_e32 v20, s2, v14
	v_add_co_ci_u32_e32 v23, vcc_lo, v31, v9, vcc_lo
	v_add_co_u32 v26, vcc_lo, v30, v0
	v_lshlrev_b64 v[24:25], 1, v[14:15]
	v_add_co_ci_u32_e32 v27, vcc_lo, v31, v1, vcc_lo
	ds_load_b128 v[0:3], v16 offset:256
	ds_load_b128 v[8:11], v16 offset:384
	;; [unrolled: 1-line block ×4, first 2 shown]
	v_add_nc_u32_e32 v28, s2, v20
	v_ashrrev_i32_e32 v21, 31, v20
	v_add_co_u32 v24, vcc_lo, v30, v24
	v_add_co_ci_u32_e32 v25, vcc_lo, v31, v25, vcc_lo
	s_delay_alu instid0(VALU_DEP_4) | instskip(NEXT) | instid1(VALU_DEP_4)
	v_ashrrev_i32_e32 v29, 31, v28
	v_lshlrev_b64 v[20:21], 1, v[20:21]
	s_delay_alu instid0(VALU_DEP_2) | instskip(NEXT) | instid1(VALU_DEP_2)
	v_lshlrev_b64 v[28:29], 1, v[28:29]
	v_add_co_u32 v20, vcc_lo, v30, v20
	s_delay_alu instid0(VALU_DEP_3) | instskip(NEXT) | instid1(VALU_DEP_3)
	v_add_co_ci_u32_e32 v21, vcc_lo, v31, v21, vcc_lo
	v_add_co_u32 v28, vcc_lo, v30, v28
	s_delay_alu instid0(VALU_DEP_4)
	v_add_co_ci_u32_e32 v29, vcc_lo, v31, v29, vcc_lo
	s_waitcnt lgkmcnt(4)
	global_store_b128 v[22:23], v[4:7], off
	s_waitcnt lgkmcnt(3)
	global_store_b128 v[26:27], v[0:3], off
	;; [unrolled: 2-line block ×5, first 2 shown]
	s_nop 0
	s_sendmsg sendmsg(MSG_DEALLOC_VGPRS)
	s_endpgm
	.section	.rodata,"a",@progbits
	.p2align	6, 0x0
	.amdhsa_kernel _Z39paged_attention_ll4mi_QKV_mfma16_kernelI14__hip_bfloat16hLN4vllm18Fp8KVCacheDataTypeE1ES0_Li16ELi128ELi256ELb0ELi12EL8MFMAType0EEvPKT_PKT0_S9_ifPKiSB_SB_iPKfiiiPfSE_PS4_PT2_iSD_SD_
		.amdhsa_group_segment_fixed_size 17472
		.amdhsa_private_segment_fixed_size 0
		.amdhsa_kernarg_size 400
		.amdhsa_user_sgpr_count 13
		.amdhsa_user_sgpr_dispatch_ptr 0
		.amdhsa_user_sgpr_queue_ptr 0
		.amdhsa_user_sgpr_kernarg_segment_ptr 1
		.amdhsa_user_sgpr_dispatch_id 0
		.amdhsa_user_sgpr_private_segment_size 0
		.amdhsa_wavefront_size32 1
		.amdhsa_uses_dynamic_stack 0
		.amdhsa_enable_private_segment 0
		.amdhsa_system_sgpr_workgroup_id_x 1
		.amdhsa_system_sgpr_workgroup_id_y 1
		.amdhsa_system_sgpr_workgroup_id_z 1
		.amdhsa_system_sgpr_workgroup_info 0
		.amdhsa_system_vgpr_workitem_id 0
		.amdhsa_next_free_vgpr 140
		.amdhsa_next_free_sgpr 36
		.amdhsa_reserve_vcc 1
		.amdhsa_float_round_mode_32 0
		.amdhsa_float_round_mode_16_64 0
		.amdhsa_float_denorm_mode_32 3
		.amdhsa_float_denorm_mode_16_64 3
		.amdhsa_dx10_clamp 1
		.amdhsa_ieee_mode 1
		.amdhsa_fp16_overflow 0
		.amdhsa_workgroup_processor_mode 1
		.amdhsa_memory_ordered 1
		.amdhsa_forward_progress 0
		.amdhsa_shared_vgpr_count 0
		.amdhsa_exception_fp_ieee_invalid_op 0
		.amdhsa_exception_fp_denorm_src 0
		.amdhsa_exception_fp_ieee_div_zero 0
		.amdhsa_exception_fp_ieee_overflow 0
		.amdhsa_exception_fp_ieee_underflow 0
		.amdhsa_exception_fp_ieee_inexact 0
		.amdhsa_exception_int_div_zero 0
	.end_amdhsa_kernel
	.section	.text._Z39paged_attention_ll4mi_QKV_mfma16_kernelI14__hip_bfloat16hLN4vllm18Fp8KVCacheDataTypeE1ES0_Li16ELi128ELi256ELb0ELi12EL8MFMAType0EEvPKT_PKT0_S9_ifPKiSB_SB_iPKfiiiPfSE_PS4_PT2_iSD_SD_,"axG",@progbits,_Z39paged_attention_ll4mi_QKV_mfma16_kernelI14__hip_bfloat16hLN4vllm18Fp8KVCacheDataTypeE1ES0_Li16ELi128ELi256ELb0ELi12EL8MFMAType0EEvPKT_PKT0_S9_ifPKiSB_SB_iPKfiiiPfSE_PS4_PT2_iSD_SD_,comdat
.Lfunc_end1849:
	.size	_Z39paged_attention_ll4mi_QKV_mfma16_kernelI14__hip_bfloat16hLN4vllm18Fp8KVCacheDataTypeE1ES0_Li16ELi128ELi256ELb0ELi12EL8MFMAType0EEvPKT_PKT0_S9_ifPKiSB_SB_iPKfiiiPfSE_PS4_PT2_iSD_SD_, .Lfunc_end1849-_Z39paged_attention_ll4mi_QKV_mfma16_kernelI14__hip_bfloat16hLN4vllm18Fp8KVCacheDataTypeE1ES0_Li16ELi128ELi256ELb0ELi12EL8MFMAType0EEvPKT_PKT0_S9_ifPKiSB_SB_iPKfiiiPfSE_PS4_PT2_iSD_SD_
                                        ; -- End function
	.section	.AMDGPU.csdata,"",@progbits
; Kernel info:
; codeLenInByte = 8956
; NumSgprs: 38
; NumVgprs: 140
; ScratchSize: 0
; MemoryBound: 0
; FloatMode: 240
; IeeeMode: 1
; LDSByteSize: 17472 bytes/workgroup (compile time only)
; SGPRBlocks: 4
; VGPRBlocks: 17
; NumSGPRsForWavesPerEU: 38
; NumVGPRsForWavesPerEU: 140
; Occupancy: 10
; WaveLimiterHint : 1
; COMPUTE_PGM_RSRC2:SCRATCH_EN: 0
; COMPUTE_PGM_RSRC2:USER_SGPR: 13
; COMPUTE_PGM_RSRC2:TRAP_HANDLER: 0
; COMPUTE_PGM_RSRC2:TGID_X_EN: 1
; COMPUTE_PGM_RSRC2:TGID_Y_EN: 1
; COMPUTE_PGM_RSRC2:TGID_Z_EN: 1
; COMPUTE_PGM_RSRC2:TIDIG_COMP_CNT: 0
	.section	.text._Z39paged_attention_ll4mi_QKV_mfma16_kernelI14__hip_bfloat16hLN4vllm18Fp8KVCacheDataTypeE1ES0_Li16ELi128ELi256ELb0ELi13EL8MFMAType0EEvPKT_PKT0_S9_ifPKiSB_SB_iPKfiiiPfSE_PS4_PT2_iSD_SD_,"axG",@progbits,_Z39paged_attention_ll4mi_QKV_mfma16_kernelI14__hip_bfloat16hLN4vllm18Fp8KVCacheDataTypeE1ES0_Li16ELi128ELi256ELb0ELi13EL8MFMAType0EEvPKT_PKT0_S9_ifPKiSB_SB_iPKfiiiPfSE_PS4_PT2_iSD_SD_,comdat
	.protected	_Z39paged_attention_ll4mi_QKV_mfma16_kernelI14__hip_bfloat16hLN4vllm18Fp8KVCacheDataTypeE1ES0_Li16ELi128ELi256ELb0ELi13EL8MFMAType0EEvPKT_PKT0_S9_ifPKiSB_SB_iPKfiiiPfSE_PS4_PT2_iSD_SD_ ; -- Begin function _Z39paged_attention_ll4mi_QKV_mfma16_kernelI14__hip_bfloat16hLN4vllm18Fp8KVCacheDataTypeE1ES0_Li16ELi128ELi256ELb0ELi13EL8MFMAType0EEvPKT_PKT0_S9_ifPKiSB_SB_iPKfiiiPfSE_PS4_PT2_iSD_SD_
	.globl	_Z39paged_attention_ll4mi_QKV_mfma16_kernelI14__hip_bfloat16hLN4vllm18Fp8KVCacheDataTypeE1ES0_Li16ELi128ELi256ELb0ELi13EL8MFMAType0EEvPKT_PKT0_S9_ifPKiSB_SB_iPKfiiiPfSE_PS4_PT2_iSD_SD_
	.p2align	8
	.type	_Z39paged_attention_ll4mi_QKV_mfma16_kernelI14__hip_bfloat16hLN4vllm18Fp8KVCacheDataTypeE1ES0_Li16ELi128ELi256ELb0ELi13EL8MFMAType0EEvPKT_PKT0_S9_ifPKiSB_SB_iPKfiiiPfSE_PS4_PT2_iSD_SD_,@function
_Z39paged_attention_ll4mi_QKV_mfma16_kernelI14__hip_bfloat16hLN4vllm18Fp8KVCacheDataTypeE1ES0_Li16ELi128ELi256ELb0ELi13EL8MFMAType0EEvPKT_PKT0_S9_ifPKiSB_SB_iPKfiiiPfSE_PS4_PT2_iSD_SD_: ; @_Z39paged_attention_ll4mi_QKV_mfma16_kernelI14__hip_bfloat16hLN4vllm18Fp8KVCacheDataTypeE1ES0_Li16ELi128ELi256ELb0ELi13EL8MFMAType0EEvPKT_PKT0_S9_ifPKiSB_SB_iPKfiiiPfSE_PS4_PT2_iSD_SD_
; %bb.0:
	s_load_b64 s[4:5], s[0:1], 0x30
	s_mov_b32 s30, s13
	s_waitcnt lgkmcnt(0)
	s_cmp_lg_u64 s[4:5], 0
	s_cselect_b32 s13, -1, 0
	s_ashr_i32 s31, s30, 31
	s_cmp_eq_u64 s[4:5], 0
	s_cbranch_scc1 .LBB1850_3
; %bb.1:
	s_lshl_b64 s[2:3], s[30:31], 2
	s_delay_alu instid0(SALU_CYCLE_1) | instskip(SKIP_4) | instid1(SALU_CYCLE_1)
	s_add_u32 s2, s4, s2
	s_addc_u32 s3, s5, s3
	s_load_b64 s[2:3], s[2:3], 0x0
	s_waitcnt lgkmcnt(0)
	s_sub_i32 s2, s3, s2
	s_cmp_eq_u32 s2, 1
	s_cselect_b32 s2, -1, 0
	s_delay_alu instid0(SALU_CYCLE_1)
	s_and_not1_b32 vcc_lo, exec_lo, s2
	s_cbranch_vccz .LBB1850_4
.LBB1850_2:
	s_nop 0
	s_sendmsg sendmsg(MSG_DEALLOC_VGPRS)
	s_endpgm
.LBB1850_3:
.LBB1850_4:
	s_load_b64 s[2:3], s[0:1], 0x28
	s_lshl_b64 s[6:7], s[30:31], 2
	s_waitcnt lgkmcnt(0)
	s_add_u32 s2, s2, s6
	s_addc_u32 s3, s3, s7
	s_lshl_b32 s12, s14, 8
	s_load_b32 s17, s[2:3], 0x0
	s_waitcnt lgkmcnt(0)
	s_cmp_ge_i32 s12, s17
	s_cbranch_scc1 .LBB1850_2
; %bb.5:
	s_clause 0x1
	s_load_b128 s[8:11], s[0:1], 0x8
	s_load_b64 s[2:3], s[0:1], 0x20
	s_and_not1_b32 vcc_lo, exec_lo, s13
	s_cbranch_vccnz .LBB1850_7
; %bb.6:
	s_add_u32 s4, s4, s6
	s_addc_u32 s5, s5, s7
	s_load_b32 s13, s[4:5], 0x0
	s_branch .LBB1850_8
.LBB1850_7:
	s_mov_b32 s13, s30
.LBB1850_8:
	s_load_b128 s[4:7], s[0:1], 0x48
	v_and_b32_e32 v65, 15, v0
	v_lshrrev_b32_e32 v66, 5, v0
	v_bfe_u32 v74, v0, 4, 1
	v_and_b32_e32 v67, 31, v0
	v_and_b32_e32 v75, 1, v0
	v_lshlrev_b32_e32 v2, 3, v65
	s_mul_i32 s31, s15, 13
	v_lshl_or_b32 v1, v66, 1, v74
	s_waitcnt lgkmcnt(0)
	s_mov_b32 s7, exec_lo
	v_lshlrev_b32_e32 v73, 1, v2
	s_delay_alu instid0(VALU_DEP_2)
	v_cmpx_gt_u32_e32 13, v1
	s_cbranch_execz .LBB1850_10
; %bb.9:
	s_load_b64 s[18:19], s[0:1], 0x0
	v_add_lshl_u32 v2, v1, s31, 7
	s_mul_hi_i32 s21, s13, s4
	s_mul_i32 s20, s13, s4
	v_lshlrev_b32_e32 v6, 10, v65
	s_lshl_b64 s[20:21], s[20:21], 1
	v_ashrrev_i32_e32 v3, 31, v2
	v_lshlrev_b32_e32 v1, 6, v1
	v_lshlrev_b32_e32 v7, 10, v75
	v_and_b32_e32 v6, 0x3800, v6
	s_delay_alu instid0(VALU_DEP_4) | instskip(NEXT) | instid1(VALU_DEP_2)
	v_lshlrev_b64 v[2:3], 1, v[2:3]
	v_or3_b32 v1, v6, v7, v1
	s_waitcnt lgkmcnt(0)
	s_add_u32 s4, s18, s20
	s_addc_u32 s13, s19, s21
	s_delay_alu instid0(VALU_DEP_2) | instskip(SKIP_1) | instid1(VALU_DEP_2)
	v_add_co_u32 v2, vcc_lo, s4, v2
	v_add_co_ci_u32_e32 v3, vcc_lo, s13, v3, vcc_lo
	v_add_co_u32 v2, vcc_lo, v2, v73
	s_delay_alu instid0(VALU_DEP_2)
	v_add_co_ci_u32_e32 v3, vcc_lo, 0, v3, vcc_lo
	global_load_b128 v[2:5], v[2:3], off
	s_waitcnt vmcnt(0)
	ds_store_b128 v1, v[2:5]
.LBB1850_10:
	s_or_b32 exec_lo, exec_lo, s7
	v_and_b32_e32 v1, 0xef, v0
	s_add_i32 s4, s17, 15
	s_clause 0x1
	s_load_b32 s7, s[0:1], 0x38
	s_load_b32 s18, s[0:1], 0x1c
	s_ashr_i32 s13, s4, 31
	v_add_nc_u32_e32 v1, s12, v1
	s_lshr_b32 s13, s13, 28
	s_waitcnt lgkmcnt(0)
	s_add_i32 s4, s4, s13
	s_barrier
	v_ashrrev_i32_e32 v2, 31, v1
	v_or_b32_e32 v3, 16, v1
	s_ashr_i32 s4, s4, 4
	v_cmp_gt_i32_e32 vcc_lo, s17, v1
	s_add_i32 s4, s4, -1
	v_lshrrev_b32_e32 v2, 28, v2
	buffer_gl0_inv
	s_mul_i32 s15, s15, s6
	v_add_nc_u32_e32 v4, v1, v2
	s_mul_i32 s20, s30, s7
	s_delay_alu instid0(SALU_CYCLE_1) | instskip(NEXT) | instid1(VALU_DEP_1)
	s_ashr_i32 s21, s20, 31
	v_ashrrev_i32_e32 v4, 4, v4
	v_add_nc_u32_e32 v2, v3, v2
	s_lshl_b64 s[20:21], s[20:21], 2
	s_delay_alu instid0(SALU_CYCLE_1) | instskip(NEXT) | instid1(VALU_DEP_2)
	s_add_u32 s13, s2, s20
	v_cndmask_b32_e32 v1, s4, v4, vcc_lo
	s_delay_alu instid0(VALU_DEP_2)
	v_ashrrev_i32_e32 v2, 4, v2
	v_cmp_gt_i32_e32 vcc_lo, s17, v3
	s_addc_u32 s16, s3, s21
	s_ashr_i32 s19, s15, 31
	s_add_u32 s26, s8, s15
	s_addc_u32 s27, s9, s19
	v_cndmask_b32_e32 v3, s4, v2, vcc_lo
	v_ashrrev_i32_e32 v2, 31, v1
	s_lshl_b32 s2, s14, 4
	s_delay_alu instid0(SALU_CYCLE_1) | instskip(NEXT) | instid1(VALU_DEP_2)
	s_ashr_i32 s3, s2, 31
	v_ashrrev_i32_e32 v4, 31, v3
	s_delay_alu instid0(VALU_DEP_2) | instskip(SKIP_1) | instid1(SALU_CYCLE_1)
	v_lshlrev_b64 v[1:2], 2, v[1:2]
	s_lshl_b64 s[2:3], s[2:3], 2
	s_add_u32 s2, s13, s2
	s_delay_alu instid0(VALU_DEP_2) | instskip(SKIP_1) | instid1(VALU_DEP_2)
	v_lshlrev_b64 v[3:4], 2, v[3:4]
	s_addc_u32 s3, s16, s3
	v_add_co_u32 v1, vcc_lo, s13, v1
	v_add_co_ci_u32_e32 v2, vcc_lo, s16, v2, vcc_lo
	s_delay_alu instid0(VALU_DEP_3) | instskip(NEXT) | instid1(VALU_DEP_4)
	v_add_co_u32 v3, vcc_lo, s13, v3
	v_add_co_ci_u32_e32 v4, vcc_lo, s16, v4, vcc_lo
	s_clause 0x1
	global_load_b32 v5, v[1:2], off
	global_load_b32 v3, v[3:4], off
	s_or_b32 s6, s12, 32
	v_cmp_gt_u32_e32 vcc_lo, 13, v65
	s_ashr_i32 s7, s6, 4
	s_cmp_lt_i32 s6, s17
	s_cselect_b32 s6, s7, s4
	s_delay_alu instid0(SALU_CYCLE_1) | instskip(NEXT) | instid1(SALU_CYCLE_1)
	s_ashr_i32 s7, s6, 31
	s_lshl_b64 s[6:7], s[6:7], 2
	s_delay_alu instid0(SALU_CYCLE_1) | instskip(SKIP_2) | instid1(SALU_CYCLE_1)
	s_add_u32 s6, s13, s6
	s_addc_u32 s7, s16, s7
	s_or_b32 s8, s12, 64
	s_ashr_i32 s9, s8, 4
	s_cmp_lt_i32 s8, s17
	s_cselect_b32 s8, s9, s4
	s_delay_alu instid0(SALU_CYCLE_1) | instskip(NEXT) | instid1(SALU_CYCLE_1)
	s_ashr_i32 s9, s8, 31
	s_lshl_b64 s[8:9], s[8:9], 2
	s_delay_alu instid0(SALU_CYCLE_1) | instskip(SKIP_2) | instid1(SALU_CYCLE_1)
	s_add_u32 s8, s13, s8
	s_addc_u32 s9, s16, s9
	s_or_b32 s20, s12, 0x60
	;; [unrolled: 10-line block ×4, first 2 shown]
	s_ashr_i32 s25, s24, 4
	s_cmp_lt_i32 s24, s17
	s_cselect_b32 s24, s25, s4
	s_delay_alu instid0(SALU_CYCLE_1) | instskip(NEXT) | instid1(SALU_CYCLE_1)
	s_ashr_i32 s25, s24, 31
	s_lshl_b64 s[24:25], s[24:25], 2
	s_delay_alu instid0(SALU_CYCLE_1)
	s_add_u32 s24, s13, s24
	s_addc_u32 s25, s16, s25
	s_clause 0x5
	s_load_b32 s28, s[2:3], 0x0
	s_load_b32 s29, s[6:7], 0x0
	;; [unrolled: 1-line block ×6, first 2 shown]
	s_mov_b32 s20, 0
	s_or_b32 s2, s12, 0xc0
	s_mov_b32 s21, s20
	s_mov_b32 s22, s20
	s_mov_b32 s23, s20
	s_mov_b32 s24, s20
	s_mov_b32 s25, s20
	v_lshlrev_b32_e32 v1, 4, v0
	s_ashr_i32 s3, s2, 4
	s_cmp_lt_i32 s2, s17
	s_cselect_b32 s2, s3, s4
	s_delay_alu instid0(VALU_DEP_1) | instskip(SKIP_1) | instid1(SALU_CYCLE_1)
	v_and_b32_e32 v1, 0xf0, v1
	s_ashr_i32 s3, s2, 31
	s_lshl_b64 s[2:3], s[2:3], 2
	s_delay_alu instid0(VALU_DEP_1) | instskip(NEXT) | instid1(VALU_DEP_1)
	v_add_co_u32 v1, s26, s26, v1
	v_add_co_ci_u32_e64 v2, null, s27, 0, s26
	s_add_u32 s2, s13, s2
	s_addc_u32 s3, s16, s3
	s_or_b32 s6, s12, 0xe0
	s_mov_b32 s27, s20
	s_ashr_i32 s7, s6, 4
	s_cmp_lt_i32 s6, s17
	s_mov_b32 s26, s20
	v_dual_mov_b32 v107, s27 :: v_dual_mov_b32 v100, s20
	s_cselect_b32 s6, s7, s4
	v_mov_b32_e32 v106, s26
	s_ashr_i32 s7, s6, 31
	v_mov_b32_e32 v104, s24
	s_lshl_b64 s[6:7], s[6:7], 2
	v_dual_mov_b32 v103, s23 :: v_dual_mov_b32 v102, s22
	v_mov_b32_e32 v101, s21
	s_waitcnt vmcnt(1)
	v_mad_i64_i32 v[33:34], null, v5, s5, v[1:2]
	s_waitcnt vmcnt(0)
	v_mad_i64_i32 v[35:36], null, v3, s5, v[1:2]
	s_clause 0xf
	global_load_b128 v[1:4], v[33:34], off
	global_load_b128 v[5:8], v[33:34], off offset:256
	global_load_b128 v[9:12], v[35:36], off
	global_load_b128 v[13:16], v[35:36], off offset:256
	global_load_b128 v[17:20], v[33:34], off offset:512
	;; [unrolled: 1-line block ×13, first 2 shown]
	v_add_nc_u32_e32 v33, -13, v65
	v_lshlrev_b32_e32 v34, 4, v65
	s_delay_alu instid0(VALU_DEP_2) | instskip(SKIP_1) | instid1(VALU_DEP_3)
	v_cndmask_b32_e32 v33, v33, v65, vcc_lo
	v_mov_b32_e32 v105, s25
	v_lshl_or_b32 v41, v66, 8, v34
	s_delay_alu instid0(VALU_DEP_3)
	v_lshlrev_b32_e32 v72, 6, v33
	ds_load_b128 v[33:36], v72
	ds_load_b128 v[37:40], v72 offset:1024
	ds_load_b128 v[108:111], v72 offset:2048
	;; [unrolled: 1-line block ×3, first 2 shown]
	s_load_b32 s4, s[2:3], 0x0
	s_add_u32 s2, s13, s6
	s_addc_u32 s3, s16, s7
	ds_load_b128 v[116:119], v72 offset:4096
	ds_load_b128 v[120:123], v72 offset:5120
	s_load_b32 s2, s[2:3], 0x0
	s_add_u32 s6, s10, s15
	s_addc_u32 s7, s11, s19
	v_add_co_u32 v68, s6, s6, v41
	s_delay_alu instid0(VALU_DEP_1) | instskip(SKIP_1) | instid1(VALU_DEP_1)
	v_add_co_ci_u32_e64 v69, null, s7, 0, s6
	s_waitcnt lgkmcnt(0)
	v_mad_i64_i32 v[41:42], null, s28, s5, v[68:69]
	v_mad_i64_i32 v[70:71], null, s8, s5, v[68:69]
	;; [unrolled: 1-line block ×7, first 2 shown]
	s_clause 0x3
	global_load_b128 v[49:52], v[41:42], off
	global_load_b128 v[53:56], v[41:42], off offset:16
	global_load_b128 v[41:44], v[45:46], off
	global_load_b128 v[45:48], v[45:46], off offset:16
	s_waitcnt vmcnt(18)
	v_wmma_f32_16x16x16_bf16 v[124:131], v[1:8], v[33:40], v[100:107]
	s_waitcnt vmcnt(16)
	v_wmma_f32_16x16x16_bf16 v[100:107], v[9:16], v[33:40], v[100:107]
	s_clause 0x1
	global_load_b128 v[33:36], v[70:71], off
	global_load_b128 v[37:40], v[70:71], off offset:16
	v_mad_i64_i32 v[70:71], null, s2, s5, v[68:69]
	s_waitcnt vmcnt(16)
	v_wmma_f32_16x16x16_bf16 v[124:131], v[17:24], v[108:115], v[124:131]
	s_waitcnt vmcnt(14)
	v_wmma_f32_16x16x16_bf16 v[100:107], v[25:32], v[108:115], v[100:107]
	s_clause 0x7
	global_load_b128 v[25:28], v[132:133], off
	global_load_b128 v[29:32], v[132:133], off offset:16
	global_load_b128 v[1:4], v[134:135], off
	global_load_b128 v[5:8], v[134:135], off offset:16
	;; [unrolled: 2-line block ×4, first 2 shown]
	s_waitcnt vmcnt(20)
	v_wmma_f32_16x16x16_bf16 v[124:131], v[57:64], v[116:123], v[124:131]
	s_clause 0x1
	global_load_b128 v[57:60], v[70:71], off
	global_load_b128 v[61:64], v[70:71], off offset:16
	s_waitcnt vmcnt(20)
	v_wmma_f32_16x16x16_bf16 v[100:107], v[76:83], v[116:123], v[100:107]
	ds_load_b128 v[76:79], v72 offset:6144
	ds_load_b128 v[80:83], v72 offset:7168
	v_and_b32_e32 v68, 0xe0, v0
	v_mbcnt_lo_u32_b32 v69, -1, 0
	s_waitcnt vmcnt(0) lgkmcnt(0)
	s_barrier
	buffer_gl0_inv
	v_add_nc_u32_e32 v68, s12, v68
	v_xor_b32_e32 v70, 16, v69
	s_delay_alu instid0(VALU_DEP_2) | instskip(NEXT) | instid1(VALU_DEP_2)
	v_or_b32_e32 v68, v68, v74
	v_cmp_gt_i32_e32 vcc_lo, 32, v70
	s_delay_alu instid0(VALU_DEP_2)
	v_or_b32_e32 v71, 4, v68
	v_or_b32_e32 v72, 6, v68
	v_cmp_gt_i32_e64 s2, s17, v68
	v_or_b32_e32 v108, 8, v68
	v_wmma_f32_16x16x16_bf16 v[124:131], v[84:91], v[76:83], v[124:131]
	v_cndmask_b32_e32 v69, v69, v70, vcc_lo
	v_or_b32_e32 v70, 2, v68
	v_wmma_f32_16x16x16_bf16 v[100:107], v[92:99], v[76:83], v[100:107]
	v_or_b32_e32 v109, 10, v68
	v_dual_mul_f32 v82, s18, v127 :: v_dual_mul_f32 v79, s18, v130
	v_dual_mul_f32 v92, s18, v125 :: v_dual_mul_f32 v93, s18, v124
	s_delay_alu instid0(VALU_DEP_4)
	v_mul_f32_e32 v98, s18, v103
	v_cmp_gt_i32_e32 vcc_lo, s17, v70
	v_or_b32_e32 v89, 22, v68
	v_dual_mul_f32 v83, s18, v126 :: v_dual_mul_f32 v96, s18, v105
	v_cndmask_b32_e64 v93, 0xff7fffff, v93, s2
	v_cndmask_b32_e32 v92, 0xff7fffff, v92, vcc_lo
	v_cmp_gt_i32_e64 s3, s17, v71
	v_cmp_gt_i32_e64 s4, s17, v72
	v_or_b32_e32 v84, 12, v68
	v_or_b32_e32 v85, 14, v68
	v_dual_mul_f32 v80, s18, v129 :: v_dual_mul_f32 v81, s18, v128
	v_mul_f32_e32 v94, s18, v107
	v_cndmask_b32_e64 v71, 0xff7fffff, v83, s3
	v_cndmask_b32_e64 v72, 0xff7fffff, v82, s4
	v_cmp_gt_i32_e64 s5, s17, v108
	v_cmp_gt_i32_e64 s6, s17, v109
	v_cmp_gt_i32_e64 s12, s17, v89
	v_lshlrev_b32_e32 v89, 2, v69
	v_max3_f32 v82, v93, 0xff7fffff, v92
	v_or_b32_e32 v86, 16, v68
	v_or_b32_e32 v87, 18, v68
	v_mul_f32_e32 v78, s18, v131
	v_cndmask_b32_e64 v81, 0xff7fffff, v81, s5
	v_cndmask_b32_e64 v80, 0xff7fffff, v80, s6
	v_max3_f32 v71, v82, v71, v72
	v_cmp_gt_i32_e64 s7, s17, v84
	v_cmp_gt_i32_e64 s8, s17, v85
	v_or_b32_e32 v88, 20, v68
	v_or_b32_e32 v90, 24, v68
	;; [unrolled: 1-line block ×5, first 2 shown]
	v_dual_mul_f32 v95, s18, v106 :: v_dual_mul_f32 v70, s18, v101
	v_dual_mul_f32 v99, s18, v102 :: v_dual_mul_f32 v68, s18, v100
	v_cndmask_b32_e64 v72, 0xff7fffff, v79, s7
	v_cndmask_b32_e64 v78, 0xff7fffff, v78, s8
	v_max3_f32 v71, v71, v81, v80
	v_cmp_gt_i32_e64 s9, s17, v86
	v_cmp_gt_i32_e64 s10, s17, v87
	;; [unrolled: 1-line block ×3, first 2 shown]
	v_mul_f32_e32 v97, s18, v104
	v_max3_f32 v71, v71, v72, v78
	v_cndmask_b32_e64 v68, 0xff7fffff, v68, s9
	v_cndmask_b32_e64 v70, 0xff7fffff, v70, s10
	;; [unrolled: 1-line block ×4, first 2 shown]
	v_cmp_gt_i32_e64 s13, s17, v90
	v_cmp_gt_i32_e64 s15, s17, v91
	v_max3_f32 v68, v71, v68, v70
	v_cmp_gt_i32_e64 s16, s17, v76
	v_cmp_gt_i32_e64 s17, s17, v77
	v_cndmask_b32_e64 v70, 0xff7fffff, v97, s13
	v_cndmask_b32_e64 v71, 0xff7fffff, v96, s15
	v_max3_f32 v68, v68, v72, v78
	v_cndmask_b32_e64 v72, 0xff7fffff, v95, s16
	v_cndmask_b32_e64 v76, 0xff7fffff, v94, s17
	s_delay_alu instid0(VALU_DEP_3) | instskip(NEXT) | instid1(VALU_DEP_1)
	v_max3_f32 v68, v68, v70, v71
	v_max3_f32 v68, v68, v72, v76
	ds_bpermute_b32 v69, v89, v68
	s_waitcnt lgkmcnt(0)
	v_max_f32_e32 v69, v69, v69
	s_delay_alu instid0(VALU_DEP_1) | instskip(NEXT) | instid1(VALU_DEP_1)
	v_max_f32_e32 v68, v68, v69
	v_fma_f32 v69, s18, v124, -v68
	v_fma_f32 v70, s18, v125, -v68
	v_fma_f32 v72, s18, v127, -v68
	v_fma_f32 v71, s18, v126, -v68
	v_fma_f32 v76, s18, v128, -v68
	s_delay_alu instid0(VALU_DEP_4) | instskip(NEXT) | instid1(VALU_DEP_4)
	v_dual_mul_f32 v69, 0x3fb8aa3b, v69 :: v_dual_mul_f32 v70, 0x3fb8aa3b, v70
	v_mul_f32_e32 v72, 0x3fb8aa3b, v72
	v_fma_f32 v78, s18, v130, -v68
	s_delay_alu instid0(VALU_DEP_4) | instskip(NEXT) | instid1(VALU_DEP_4)
	v_mul_f32_e32 v77, 0x3fb8aa3b, v76
	v_exp_f32_e32 v69, v69
	v_exp_f32_e32 v70, v70
	v_mul_f32_e32 v71, 0x3fb8aa3b, v71
	v_exp_f32_e32 v72, v72
	v_mul_f32_e32 v78, 0x3fb8aa3b, v78
	v_exp_f32_e32 v77, v77
	v_fma_f32 v81, s18, v105, -v68
	s_delay_alu instid0(VALU_DEP_2)
	v_exp_f32_e32 v78, v78
	v_cndmask_b32_e64 v80, 0, v69, s2
	v_cndmask_b32_e32 v76, 0, v70, vcc_lo
	v_exp_f32_e32 v71, v71
	v_fma_f32 v69, s18, v129, -v68
	v_cndmask_b32_e64 v85, 0, v72, s4
	v_add_f32_e32 v70, 0, v80
	s_delay_alu instid0(TRANS32_DEP_3)
	v_cndmask_b32_e64 v86, 0, v77, s5
	v_fma_f32 v77, s18, v101, -v68
	v_mul_f32_e32 v69, 0x3fb8aa3b, v69
	v_fma_f32 v72, s18, v100, -v68
	v_cndmask_b32_e64 v84, 0, v78, s7
	v_fma_f32 v78, s18, v103, -v68
	v_cndmask_b32_e64 v83, 0, v71, s3
	v_fma_f32 v71, s18, v131, -v68
	v_add_f32_e32 v70, v70, v76
	v_exp_f32_e32 v69, v69
	v_mul_f32_e32 v77, 0x3fb8aa3b, v77
	v_mul_f32_e32 v81, 0x3fb8aa3b, v81
	v_mul_f32_e32 v71, 0x3fb8aa3b, v71
	v_add_f32_e32 v70, v70, v83
	v_cmp_gt_u32_e64 s2, 16, v67
	v_exp_f32_e32 v77, v77
	v_exp_f32_e32 v81, v81
	;; [unrolled: 1-line block ×3, first 2 shown]
	v_cndmask_b32_e64 v87, 0, v69, s6
	v_add_f32_e32 v70, v70, v85
	s_delay_alu instid0(VALU_DEP_1) | instskip(SKIP_1) | instid1(VALU_DEP_2)
	v_dual_mul_f32 v72, 0x3fb8aa3b, v72 :: v_dual_add_f32 v69, v70, v86
	v_fma_f32 v70, s18, v102, -v68
	v_exp_f32_e32 v72, v72
	s_waitcnt_depctr 0xfff
	v_cndmask_b32_e64 v88, 0, v71, s8
	v_fma_f32 v71, s18, v104, -v68
	v_dual_add_f32 v69, v69, v87 :: v_dual_mul_f32 v70, 0x3fb8aa3b, v70
	s_delay_alu instid0(VALU_DEP_2) | instskip(NEXT) | instid1(VALU_DEP_2)
	v_dual_mul_f32 v78, 0x3fb8aa3b, v78 :: v_dual_mul_f32 v71, 0x3fb8aa3b, v71
	v_add_f32_e32 v69, v69, v84
	s_delay_alu instid0(VALU_DEP_3) | instskip(SKIP_1) | instid1(VALU_DEP_3)
	v_exp_f32_e32 v79, v70
	v_cndmask_b32_e64 v70, 0, v72, s9
	v_exp_f32_e32 v78, v78
	v_exp_f32_e32 v82, v71
	v_add_f32_e32 v72, v69, v88
	v_cndmask_b32_e64 v69, 0, v77, s10
	v_fma_f32 v77, s18, v106, -v68
	s_delay_alu instid0(VALU_DEP_3) | instskip(NEXT) | instid1(TRANS32_DEP_3)
	v_add_f32_e32 v72, v72, v70
	v_cndmask_b32_e64 v71, 0, v79, s11
	s_delay_alu instid0(VALU_DEP_3) | instskip(NEXT) | instid1(VALU_DEP_3)
	v_mul_f32_e32 v77, 0x3fb8aa3b, v77
	v_add_f32_e32 v79, v72, v69
	s_delay_alu instid0(TRANS32_DEP_2) | instskip(NEXT) | instid1(VALU_DEP_3)
	v_cndmask_b32_e64 v72, 0, v78, s12
	v_exp_f32_e32 v90, v77
	v_cndmask_b32_e64 v77, 0, v82, s13
	s_delay_alu instid0(VALU_DEP_3) | instskip(SKIP_1) | instid1(VALU_DEP_1)
	v_add_f32_e32 v78, v79, v71
	v_fma_f32 v79, s18, v107, -v68
	v_dual_add_f32 v82, v78, v72 :: v_dual_mul_f32 v79, 0x3fb8aa3b, v79
	v_cndmask_b32_e64 v78, 0, v81, s15
	s_delay_alu instid0(VALU_DEP_2) | instskip(NEXT) | instid1(VALU_DEP_3)
	v_add_f32_e32 v81, v82, v77
	v_exp_f32_e32 v82, v79
	s_delay_alu instid0(TRANS32_DEP_2) | instskip(NEXT) | instid1(VALU_DEP_2)
	v_cndmask_b32_e64 v79, 0, v90, s16
	v_add_f32_e32 v81, v81, v78
	s_delay_alu instid0(VALU_DEP_1) | instskip(SKIP_2) | instid1(VALU_DEP_1)
	v_add_f32_e32 v90, v81, v79
	s_waitcnt_depctr 0xfff
	v_cndmask_b32_e64 v81, 0, v82, s17
	v_add_f32_e32 v82, v90, v81
	ds_bpermute_b32 v89, v89, v82
	s_and_saveexec_b32 s3, s2
	s_cbranch_execz .LBB1850_12
; %bb.11:
	v_mul_u32_u24_e32 v67, 0x44, v66
	s_delay_alu instid0(VALU_DEP_1) | instskip(SKIP_1) | instid1(VALU_DEP_1)
	v_lshl_add_u32 v67, v65, 2, v67
	s_waitcnt lgkmcnt(0)
	v_dual_add_f32 v82, v82, v89 :: v_dual_add_nc_u32 v67, 0x4000, v67
	ds_store_2addr_b32 v67, v68, v82 offset1:136
.LBB1850_12:
	s_or_b32 exec_lo, exec_lo, s3
	v_lshlrev_b32_e32 v67, 2, v65
	s_waitcnt lgkmcnt(0)
	s_barrier
	buffer_gl0_inv
	v_cmp_eq_u32_e32 vcc_lo, 1, v66
	v_add_nc_u32_e32 v82, 0x4000, v67
	v_cmp_eq_u32_e64 s3, 2, v66
	v_cmp_eq_u32_e64 s5, 7, v66
	ds_load_2addr_b32 v[89:90], v82 offset1:17
	ds_load_2addr_b32 v[91:92], v82 offset0:34 offset1:51
	ds_load_2addr_b32 v[93:94], v82 offset0:68 offset1:85
	;; [unrolled: 1-line block ×4, first 2 shown]
	s_waitcnt lgkmcnt(4)
	v_max3_f32 v67, v89, 0xff7fffff, v90
	s_waitcnt lgkmcnt(3)
	s_delay_alu instid0(VALU_DEP_1) | instskip(SKIP_1) | instid1(VALU_DEP_1)
	v_max3_f32 v67, v67, v91, v92
	s_waitcnt lgkmcnt(2)
	v_max3_f32 v67, v67, v93, v94
	s_waitcnt lgkmcnt(1)
	s_delay_alu instid0(VALU_DEP_1) | instskip(NEXT) | instid1(VALU_DEP_1)
	v_max3_f32 v67, v67, v95, v96
	v_sub_f32_e32 v93, v93, v67
	s_delay_alu instid0(VALU_DEP_1) | instskip(NEXT) | instid1(VALU_DEP_1)
	v_dual_sub_f32 v68, v89, v67 :: v_dual_mul_f32 v103, 0x3fb8aa3b, v93
	v_mul_f32_e32 v68, 0x3fb8aa3b, v68
	s_delay_alu instid0(VALU_DEP_1)
	v_exp_f32_e32 v100, v68
	v_sub_f32_e32 v68, v92, v67
	v_sub_f32_e32 v99, v90, v67
	ds_load_2addr_b32 v[89:90], v82 offset0:170 offset1:187
	v_dual_mul_f32 v102, 0x3fb8aa3b, v68 :: v_dual_mul_f32 v99, 0x3fb8aa3b, v99
	s_waitcnt lgkmcnt(1)
	v_fma_f32 v68, v100, v97, 0
	s_delay_alu instid0(VALU_DEP_2) | instskip(NEXT) | instid1(VALU_DEP_2)
	v_exp_f32_e32 v102, v102
	v_exp_f32_e32 v99, v99
	s_waitcnt_depctr 0xfff
	v_fmac_f32_e32 v68, v99, v98
	v_sub_f32_e32 v91, v91, v67
	s_delay_alu instid0(VALU_DEP_1)
	v_mul_f32_e32 v101, 0x3fb8aa3b, v91
	ds_load_2addr_b32 v[91:92], v82 offset0:204 offset1:221
	v_sub_f32_e32 v97, v94, v67
	ds_load_2addr_b32 v[93:94], v82 offset0:238 offset1:255
	s_waitcnt lgkmcnt(0)
	v_exp_f32_e32 v101, v101
	s_barrier
	buffer_gl0_inv
	v_dual_fmac_f32 v68, v101, v89 :: v_dual_sub_f32 v89, v96, v67
	v_dual_sub_f32 v82, v95, v67 :: v_dual_mul_f32 v95, 0x3fb8aa3b, v97
	v_exp_f32_e32 v97, v103
	s_delay_alu instid0(VALU_DEP_2) | instskip(NEXT) | instid1(VALU_DEP_2)
	v_dual_fmac_f32 v68, v102, v90 :: v_dual_mul_f32 v89, 0x3fb8aa3b, v89
	v_mul_f32_e32 v82, 0x3fb8aa3b, v82
	s_delay_alu instid0(VALU_DEP_3) | instskip(NEXT) | instid1(VALU_DEP_2)
	v_exp_f32_e32 v95, v95
	v_exp_f32_e32 v89, v89
	s_delay_alu instid0(VALU_DEP_1)
	v_exp_f32_e32 v82, v82
	v_fmac_f32_e32 v68, v97, v91
	s_delay_alu instid0(TRANS32_DEP_3) | instid1(VALU_DEP_1)
	v_fmac_f32_e32 v68, v95, v92
	s_waitcnt_depctr 0xfff
	v_fmac_f32_e32 v68, v82, v93
	s_delay_alu instid0(VALU_DEP_1) | instskip(NEXT) | instid1(VALU_DEP_1)
	v_fmac_f32_e32 v68, v89, v94
	v_add_f32_e32 v90, 0x358637bd, v68
	s_delay_alu instid0(VALU_DEP_1) | instskip(NEXT) | instid1(VALU_DEP_1)
	v_div_scale_f32 v91, null, v90, v90, 1.0
	v_rcp_f32_e32 v92, v91
	s_waitcnt_depctr 0xfff
	v_fma_f32 v93, -v91, v92, 1.0
	s_delay_alu instid0(VALU_DEP_1) | instskip(SKIP_1) | instid1(VALU_DEP_2)
	v_dual_fmac_f32 v92, v93, v92 :: v_dual_cndmask_b32 v93, v100, v99
	v_cmp_eq_u32_e32 vcc_lo, 3, v66
	v_cndmask_b32_e64 v93, v93, v101, s3
	v_cmp_eq_u32_e64 s3, 4, v66
	s_delay_alu instid0(VALU_DEP_2) | instskip(SKIP_1) | instid1(VALU_DEP_2)
	v_cndmask_b32_e32 v93, v93, v102, vcc_lo
	v_cmp_eq_u32_e32 vcc_lo, 5, v66
	v_cndmask_b32_e64 v93, v93, v97, s3
	v_cmp_eq_u32_e64 s3, 6, v66
	s_delay_alu instid0(VALU_DEP_2) | instskip(SKIP_1) | instid1(VALU_DEP_1)
	v_cndmask_b32_e32 v93, v93, v95, vcc_lo
	v_div_scale_f32 v94, s4, 1.0, v90, 1.0
	s_mov_b32 vcc_lo, s4
	s_delay_alu instid0(VALU_DEP_2) | instskip(NEXT) | instid1(VALU_DEP_2)
	v_cndmask_b32_e64 v82, v93, v82, s3
	v_mul_f32_e32 v96, v94, v92
	s_mov_b32 s3, exec_lo
	s_delay_alu instid0(VALU_DEP_2) | instskip(NEXT) | instid1(VALU_DEP_2)
	v_cndmask_b32_e64 v82, v82, v89, s5
	v_fma_f32 v98, -v91, v96, v94
	s_delay_alu instid0(VALU_DEP_1) | instskip(NEXT) | instid1(VALU_DEP_1)
	v_fmac_f32_e32 v96, v98, v92
	v_fma_f32 v91, -v91, v96, v94
	s_delay_alu instid0(VALU_DEP_1) | instskip(NEXT) | instid1(VALU_DEP_1)
	v_div_fmas_f32 v91, v91, v92, v96
	v_div_fixup_f32 v90, v91, v90, 1.0
	s_delay_alu instid0(VALU_DEP_1) | instskip(NEXT) | instid1(VALU_DEP_1)
	v_mul_f32_e32 v82, v82, v90
	v_mul_f32_e32 v87, v82, v87
	;; [unrolled: 1-line block ×7, first 2 shown]
	v_dual_mul_f32 v86, v82, v83 :: v_dual_and_b32 v91, 0x7f800000, v90
	v_mul_f32_e32 v85, v82, v76
                                        ; implicit-def: $vgpr76
	s_delay_alu instid0(VALU_DEP_2)
	v_cmpx_ne_u32_e32 0x7f800000, v91
	s_xor_b32 s3, exec_lo, s3
; %bb.13:
	v_bfe_u32 v76, v90, 16, 1
	s_delay_alu instid0(VALU_DEP_1)
	v_add3_u32 v76, v90, v76, 0x7fff
                                        ; implicit-def: $vgpr90
; %bb.14:
	s_and_not1_saveexec_b32 s3, s3
; %bb.15:
	v_and_b32_e32 v76, 0xffff, v90
	v_or_b32_e32 v83, 0x10000, v90
	s_delay_alu instid0(VALU_DEP_2) | instskip(NEXT) | instid1(VALU_DEP_2)
	v_cmp_eq_u32_e32 vcc_lo, 0, v76
	v_cndmask_b32_e32 v76, v83, v90, vcc_lo
; %bb.16:
	s_or_b32 exec_lo, exec_lo, s3
	v_and_b32_e32 v83, 0x7f800000, v85
	s_delay_alu instid0(VALU_DEP_1) | instskip(SKIP_1) | instid1(SALU_CYCLE_1)
	v_cmp_ne_u32_e32 vcc_lo, 0x7f800000, v83
                                        ; implicit-def: $vgpr83
	s_and_saveexec_b32 s3, vcc_lo
	s_xor_b32 s3, exec_lo, s3
; %bb.17:
	v_bfe_u32 v83, v85, 16, 1
	s_delay_alu instid0(VALU_DEP_1)
	v_add3_u32 v83, v85, v83, 0x7fff
                                        ; implicit-def: $vgpr85
; %bb.18:
	s_and_not1_saveexec_b32 s3, s3
; %bb.19:
	v_and_b32_e32 v83, 0xffff, v85
	v_or_b32_e32 v90, 0x10000, v85
	s_delay_alu instid0(VALU_DEP_2) | instskip(NEXT) | instid1(VALU_DEP_2)
	v_cmp_eq_u32_e32 vcc_lo, 0, v83
	v_cndmask_b32_e32 v83, v90, v85, vcc_lo
; %bb.20:
	s_or_b32 exec_lo, exec_lo, s3
	v_and_b32_e32 v85, 0x7f800000, v86
	s_delay_alu instid0(VALU_DEP_1) | instskip(SKIP_1) | instid1(SALU_CYCLE_1)
	v_cmp_ne_u32_e32 vcc_lo, 0x7f800000, v85
                                        ; implicit-def: $vgpr85
	s_and_saveexec_b32 s3, vcc_lo
	s_xor_b32 s3, exec_lo, s3
; %bb.21:
	v_bfe_u32 v85, v86, 16, 1
	s_delay_alu instid0(VALU_DEP_1)
	v_add3_u32 v85, v86, v85, 0x7fff
                                        ; implicit-def: $vgpr86
; %bb.22:
	s_and_not1_saveexec_b32 s3, s3
; %bb.23:
	v_and_b32_e32 v85, 0xffff, v86
	v_or_b32_e32 v90, 0x10000, v86
	s_delay_alu instid0(VALU_DEP_2) | instskip(NEXT) | instid1(VALU_DEP_2)
	v_cmp_eq_u32_e32 vcc_lo, 0, v85
	v_cndmask_b32_e32 v85, v90, v86, vcc_lo
; %bb.24:
	s_or_b32 exec_lo, exec_lo, s3
	v_and_b32_e32 v86, 0x7f800000, v89
	s_delay_alu instid0(VALU_DEP_1) | instskip(SKIP_1) | instid1(SALU_CYCLE_1)
	v_cmp_ne_u32_e32 vcc_lo, 0x7f800000, v86
                                        ; implicit-def: $vgpr86
	s_and_saveexec_b32 s3, vcc_lo
	s_xor_b32 s3, exec_lo, s3
; %bb.25:
	v_bfe_u32 v86, v89, 16, 1
	s_delay_alu instid0(VALU_DEP_1)
	v_add3_u32 v86, v89, v86, 0x7fff
                                        ; implicit-def: $vgpr89
; %bb.26:
	s_and_not1_saveexec_b32 s3, s3
; %bb.27:
	v_and_b32_e32 v86, 0xffff, v89
	v_or_b32_e32 v90, 0x10000, v89
	s_delay_alu instid0(VALU_DEP_2) | instskip(NEXT) | instid1(VALU_DEP_2)
	v_cmp_eq_u32_e32 vcc_lo, 0, v86
	v_cndmask_b32_e32 v86, v90, v89, vcc_lo
; %bb.28:
	s_or_b32 exec_lo, exec_lo, s3
	v_and_b32_e32 v89, 0x7f800000, v88
	s_delay_alu instid0(VALU_DEP_1) | instskip(SKIP_1) | instid1(SALU_CYCLE_1)
	v_cmp_ne_u32_e32 vcc_lo, 0x7f800000, v89
                                        ; implicit-def: $vgpr89
	s_and_saveexec_b32 s3, vcc_lo
	s_xor_b32 s3, exec_lo, s3
; %bb.29:
	v_bfe_u32 v89, v88, 16, 1
	s_delay_alu instid0(VALU_DEP_1)
	v_add3_u32 v89, v88, v89, 0x7fff
                                        ; implicit-def: $vgpr88
; %bb.30:
	s_and_not1_saveexec_b32 s3, s3
; %bb.31:
	v_and_b32_e32 v89, 0xffff, v88
	v_or_b32_e32 v90, 0x10000, v88
	s_delay_alu instid0(VALU_DEP_2) | instskip(NEXT) | instid1(VALU_DEP_2)
	v_cmp_eq_u32_e32 vcc_lo, 0, v89
	v_cndmask_b32_e32 v89, v90, v88, vcc_lo
; %bb.32:
	s_or_b32 exec_lo, exec_lo, s3
	v_and_b32_e32 v88, 0x7f800000, v87
	s_delay_alu instid0(VALU_DEP_1) | instskip(SKIP_1) | instid1(SALU_CYCLE_1)
	v_cmp_ne_u32_e32 vcc_lo, 0x7f800000, v88
                                        ; implicit-def: $vgpr88
	s_and_saveexec_b32 s3, vcc_lo
	s_xor_b32 s3, exec_lo, s3
; %bb.33:
	v_bfe_u32 v88, v87, 16, 1
	s_delay_alu instid0(VALU_DEP_1)
	v_add3_u32 v88, v87, v88, 0x7fff
                                        ; implicit-def: $vgpr87
; %bb.34:
	s_and_not1_saveexec_b32 s3, s3
; %bb.35:
	v_and_b32_e32 v88, 0xffff, v87
	v_or_b32_e32 v90, 0x10000, v87
	s_delay_alu instid0(VALU_DEP_2) | instskip(NEXT) | instid1(VALU_DEP_2)
	v_cmp_eq_u32_e32 vcc_lo, 0, v88
	v_cndmask_b32_e32 v88, v90, v87, vcc_lo
; %bb.36:
	s_or_b32 exec_lo, exec_lo, s3
	v_and_b32_e32 v87, 0x7f800000, v84
	s_delay_alu instid0(VALU_DEP_1) | instskip(SKIP_1) | instid1(SALU_CYCLE_1)
	v_cmp_ne_u32_e32 vcc_lo, 0x7f800000, v87
                                        ; implicit-def: $vgpr87
	s_and_saveexec_b32 s3, vcc_lo
	s_xor_b32 s3, exec_lo, s3
; %bb.37:
	v_bfe_u32 v87, v84, 16, 1
	s_delay_alu instid0(VALU_DEP_1)
	v_add3_u32 v87, v84, v87, 0x7fff
                                        ; implicit-def: $vgpr84
; %bb.38:
	s_and_not1_saveexec_b32 s3, s3
; %bb.39:
	v_and_b32_e32 v87, 0xffff, v84
	v_or_b32_e32 v90, 0x10000, v84
	s_delay_alu instid0(VALU_DEP_2) | instskip(NEXT) | instid1(VALU_DEP_2)
	v_cmp_eq_u32_e32 vcc_lo, 0, v87
	v_cndmask_b32_e32 v87, v90, v84, vcc_lo
; %bb.40:
	s_or_b32 exec_lo, exec_lo, s3
	v_and_b32_e32 v84, 0x7f800000, v80
	s_delay_alu instid0(VALU_DEP_1) | instskip(SKIP_1) | instid1(SALU_CYCLE_1)
	v_cmp_ne_u32_e32 vcc_lo, 0x7f800000, v84
                                        ; implicit-def: $vgpr84
	s_and_saveexec_b32 s3, vcc_lo
	s_xor_b32 s3, exec_lo, s3
; %bb.41:
	v_bfe_u32 v84, v80, 16, 1
	s_delay_alu instid0(VALU_DEP_1)
	v_add3_u32 v84, v80, v84, 0x7fff
                                        ; implicit-def: $vgpr80
; %bb.42:
	s_and_not1_saveexec_b32 s3, s3
; %bb.43:
	v_and_b32_e32 v84, 0xffff, v80
	v_or_b32_e32 v90, 0x10000, v80
	s_delay_alu instid0(VALU_DEP_2) | instskip(NEXT) | instid1(VALU_DEP_2)
	v_cmp_eq_u32_e32 vcc_lo, 0, v84
	v_cndmask_b32_e32 v84, v90, v80, vcc_lo
; %bb.44:
	s_or_b32 exec_lo, exec_lo, s3
	s_load_b64 s[34:35], s[0:1], 0x94
	v_lshlrev_b32_e32 v91, 4, v74
	s_delay_alu instid0(VALU_DEP_2)
	v_perm_b32 v90, v84, v87, 0x7060302
	v_dual_mul_f32 v79, v82, v79 :: v_dual_lshlrev_b32 v80, 6, v65
	v_dual_mul_f32 v77, v82, v77 :: v_dual_lshlrev_b32 v92, 11, v66
	v_mul_f32_e32 v84, v82, v70
	v_perm_b32 v89, v88, v89, 0x7060302
	v_perm_b32 v88, v86, v85, 0x7060302
	;; [unrolled: 1-line block ×3, first 2 shown]
	v_mul_f32_e32 v70, v82, v81
	v_or3_b32 v76, v91, v92, v80
	v_dual_mul_f32 v78, v82, v78 :: v_dual_and_b32 v85, 0x7f800000, v84
	v_mul_f32_e32 v83, v82, v72
	v_mul_f32_e32 v81, v82, v71
	;; [unrolled: 1-line block ×3, first 2 shown]
	s_mov_b32 s3, exec_lo
	ds_store_b128 v76, v[87:90]
                                        ; implicit-def: $vgpr69
	v_cmpx_ne_u32_e32 0x7f800000, v85
	s_xor_b32 s3, exec_lo, s3
; %bb.45:
	v_bfe_u32 v69, v84, 16, 1
	s_delay_alu instid0(VALU_DEP_1)
	v_add3_u32 v69, v84, v69, 0x7fff
                                        ; implicit-def: $vgpr84
; %bb.46:
	s_and_not1_saveexec_b32 s3, s3
; %bb.47:
	v_and_b32_e32 v69, 0xffff, v84
	v_or_b32_e32 v71, 0x10000, v84
	s_delay_alu instid0(VALU_DEP_2) | instskip(NEXT) | instid1(VALU_DEP_2)
	v_cmp_eq_u32_e32 vcc_lo, 0, v69
	v_cndmask_b32_e32 v69, v71, v84, vcc_lo
; %bb.48:
	s_or_b32 exec_lo, exec_lo, s3
	v_and_b32_e32 v71, 0x7f800000, v72
	s_delay_alu instid0(VALU_DEP_1) | instskip(SKIP_1) | instid1(SALU_CYCLE_1)
	v_cmp_ne_u32_e32 vcc_lo, 0x7f800000, v71
                                        ; implicit-def: $vgpr71
	s_and_saveexec_b32 s3, vcc_lo
	s_xor_b32 s3, exec_lo, s3
; %bb.49:
	v_bfe_u32 v71, v72, 16, 1
	s_delay_alu instid0(VALU_DEP_1)
	v_add3_u32 v71, v72, v71, 0x7fff
                                        ; implicit-def: $vgpr72
; %bb.50:
	s_and_not1_saveexec_b32 s3, s3
; %bb.51:
	v_and_b32_e32 v71, 0xffff, v72
	v_or_b32_e32 v82, 0x10000, v72
	s_delay_alu instid0(VALU_DEP_2) | instskip(NEXT) | instid1(VALU_DEP_2)
	v_cmp_eq_u32_e32 vcc_lo, 0, v71
	v_cndmask_b32_e32 v71, v82, v72, vcc_lo
; %bb.52:
	s_or_b32 exec_lo, exec_lo, s3
	v_and_b32_e32 v72, 0x7f800000, v81
	s_delay_alu instid0(VALU_DEP_1) | instskip(SKIP_1) | instid1(SALU_CYCLE_1)
	v_cmp_ne_u32_e32 vcc_lo, 0x7f800000, v72
                                        ; implicit-def: $vgpr72
	s_and_saveexec_b32 s3, vcc_lo
	s_xor_b32 s3, exec_lo, s3
; %bb.53:
	v_bfe_u32 v72, v81, 16, 1
	s_delay_alu instid0(VALU_DEP_1)
	v_add3_u32 v72, v81, v72, 0x7fff
                                        ; implicit-def: $vgpr81
; %bb.54:
	s_and_not1_saveexec_b32 s3, s3
; %bb.55:
	v_and_b32_e32 v72, 0xffff, v81
	v_or_b32_e32 v82, 0x10000, v81
	s_delay_alu instid0(VALU_DEP_2) | instskip(NEXT) | instid1(VALU_DEP_2)
	v_cmp_eq_u32_e32 vcc_lo, 0, v72
	v_cndmask_b32_e32 v72, v82, v81, vcc_lo
; %bb.56:
	s_or_b32 exec_lo, exec_lo, s3
	v_and_b32_e32 v81, 0x7f800000, v83
	s_delay_alu instid0(VALU_DEP_1) | instskip(SKIP_1) | instid1(SALU_CYCLE_1)
	v_cmp_ne_u32_e32 vcc_lo, 0x7f800000, v81
                                        ; implicit-def: $vgpr81
	s_and_saveexec_b32 s3, vcc_lo
	s_xor_b32 s3, exec_lo, s3
; %bb.57:
	v_bfe_u32 v81, v83, 16, 1
	s_delay_alu instid0(VALU_DEP_1)
	v_add3_u32 v81, v83, v81, 0x7fff
                                        ; implicit-def: $vgpr83
; %bb.58:
	s_and_not1_saveexec_b32 s3, s3
; %bb.59:
	v_and_b32_e32 v81, 0xffff, v83
	v_or_b32_e32 v82, 0x10000, v83
	s_delay_alu instid0(VALU_DEP_2) | instskip(NEXT) | instid1(VALU_DEP_2)
	v_cmp_eq_u32_e32 vcc_lo, 0, v81
	v_cndmask_b32_e32 v81, v82, v83, vcc_lo
; %bb.60:
	s_or_b32 exec_lo, exec_lo, s3
	v_and_b32_e32 v82, 0x7f800000, v77
	s_delay_alu instid0(VALU_DEP_1) | instskip(SKIP_1) | instid1(SALU_CYCLE_1)
	v_cmp_ne_u32_e32 vcc_lo, 0x7f800000, v82
                                        ; implicit-def: $vgpr82
	s_and_saveexec_b32 s3, vcc_lo
	s_xor_b32 s3, exec_lo, s3
; %bb.61:
	v_bfe_u32 v82, v77, 16, 1
	s_delay_alu instid0(VALU_DEP_1)
	v_add3_u32 v82, v77, v82, 0x7fff
                                        ; implicit-def: $vgpr77
; %bb.62:
	s_and_not1_saveexec_b32 s3, s3
; %bb.63:
	v_and_b32_e32 v82, 0xffff, v77
	v_or_b32_e32 v83, 0x10000, v77
	s_delay_alu instid0(VALU_DEP_2) | instskip(NEXT) | instid1(VALU_DEP_2)
	v_cmp_eq_u32_e32 vcc_lo, 0, v82
	v_cndmask_b32_e32 v82, v83, v77, vcc_lo
; %bb.64:
	s_or_b32 exec_lo, exec_lo, s3
	v_and_b32_e32 v77, 0x7f800000, v78
	s_delay_alu instid0(VALU_DEP_1) | instskip(SKIP_1) | instid1(SALU_CYCLE_1)
	v_cmp_ne_u32_e32 vcc_lo, 0x7f800000, v77
                                        ; implicit-def: $vgpr77
	s_and_saveexec_b32 s3, vcc_lo
	s_xor_b32 s3, exec_lo, s3
; %bb.65:
	v_bfe_u32 v77, v78, 16, 1
	s_delay_alu instid0(VALU_DEP_1)
	v_add3_u32 v77, v78, v77, 0x7fff
                                        ; implicit-def: $vgpr78
; %bb.66:
	s_and_not1_saveexec_b32 s3, s3
; %bb.67:
	v_and_b32_e32 v77, 0xffff, v78
	v_or_b32_e32 v83, 0x10000, v78
	s_delay_alu instid0(VALU_DEP_2) | instskip(NEXT) | instid1(VALU_DEP_2)
	v_cmp_eq_u32_e32 vcc_lo, 0, v77
	v_cndmask_b32_e32 v77, v83, v78, vcc_lo
; %bb.68:
	s_or_b32 exec_lo, exec_lo, s3
	v_and_b32_e32 v78, 0x7f800000, v79
	s_delay_alu instid0(VALU_DEP_1) | instskip(SKIP_1) | instid1(SALU_CYCLE_1)
	v_cmp_ne_u32_e32 vcc_lo, 0x7f800000, v78
                                        ; implicit-def: $vgpr78
	s_and_saveexec_b32 s3, vcc_lo
	s_xor_b32 s3, exec_lo, s3
; %bb.69:
	v_bfe_u32 v78, v79, 16, 1
	s_delay_alu instid0(VALU_DEP_1)
	v_add3_u32 v78, v79, v78, 0x7fff
                                        ; implicit-def: $vgpr79
; %bb.70:
	s_and_not1_saveexec_b32 s3, s3
; %bb.71:
	v_and_b32_e32 v78, 0xffff, v79
	v_or_b32_e32 v83, 0x10000, v79
	s_delay_alu instid0(VALU_DEP_2) | instskip(NEXT) | instid1(VALU_DEP_2)
	v_cmp_eq_u32_e32 vcc_lo, 0, v78
	v_cndmask_b32_e32 v78, v83, v79, vcc_lo
; %bb.72:
	s_or_b32 exec_lo, exec_lo, s3
	v_and_b32_e32 v79, 0x7f800000, v70
	s_delay_alu instid0(VALU_DEP_1) | instskip(SKIP_1) | instid1(SALU_CYCLE_1)
	v_cmp_ne_u32_e32 vcc_lo, 0x7f800000, v79
                                        ; implicit-def: $vgpr79
	s_and_saveexec_b32 s3, vcc_lo
	s_xor_b32 s3, exec_lo, s3
; %bb.73:
	v_bfe_u32 v79, v70, 16, 1
	s_delay_alu instid0(VALU_DEP_1)
	v_add3_u32 v79, v70, v79, 0x7fff
                                        ; implicit-def: $vgpr70
; %bb.74:
	s_and_not1_saveexec_b32 s3, s3
; %bb.75:
	v_and_b32_e32 v79, 0xffff, v70
	v_or_b32_e32 v83, 0x10000, v70
	s_delay_alu instid0(VALU_DEP_2) | instskip(NEXT) | instid1(VALU_DEP_2)
	v_cmp_eq_u32_e32 vcc_lo, 0, v79
	v_cndmask_b32_e32 v79, v83, v70, vcc_lo
; %bb.76:
	s_or_b32 exec_lo, exec_lo, s3
	s_delay_alu instid0(VALU_DEP_1)
	v_perm_b32 v86, v79, v78, 0x7060302
	v_perm_b32 v85, v77, v82, 0x7060302
	;; [unrolled: 1-line block ×4, first 2 shown]
	v_lshl_or_b32 v82, v66, 11, v80
	ds_store_b128 v76, v[83:86] offset:1024
	s_waitcnt lgkmcnt(0)
	s_barrier
	buffer_gl0_inv
	ds_load_b128 v[69:72], v82
	ds_load_b128 v[83:86], v82 offset:16
	s_waitcnt lgkmcnt(1)
	v_lshrrev_b32_e32 v66, 16, v69
	s_waitcnt lgkmcnt(0)
	v_lshrrev_b32_e32 v91, 16, v83
	v_lshlrev_b32_e32 v78, 2, v74
	v_lshrrev_b32_e32 v95, 16, v70
	v_lshrrev_b32_e32 v98, 16, v84
	;; [unrolled: 1-line block ×4, first 2 shown]
	v_cmp_eq_u32_e32 vcc_lo, 1, v78
	v_lshrrev_b32_e32 v97, 16, v72
	v_lshrrev_b32_e32 v100, 16, v86
	v_cndmask_b32_e32 v87, v83, v91, vcc_lo
	v_or_b32_e32 v79, 1, v78
	v_cndmask_b32_e32 v81, v69, v66, vcc_lo
	v_cmp_eq_u32_e64 s4, 2, v78
	v_cmp_eq_u32_e64 s7, 3, v78
	;; [unrolled: 1-line block ×5, first 2 shown]
	v_cndmask_b32_e64 v81, v81, v70, s4
	v_cndmask_b32_e64 v87, v87, v84, s4
	v_cmp_eq_u32_e64 s8, 3, v79
	v_cndmask_b32_e64 v88, v69, v66, s3
	v_or_b32_e32 v77, 2, v78
	v_cndmask_b32_e64 v81, v81, v95, s7
	v_cndmask_b32_e64 v87, v87, v98, s7
	v_cndmask_b32_e64 v89, v83, v91, s3
	v_cndmask_b32_e64 v88, v88, v70, s6
	v_cmp_eq_u32_e64 s10, 5, v78
	v_cndmask_b32_e64 v81, v81, v71, s9
	v_cndmask_b32_e64 v87, v87, v85, s9
	v_cmp_eq_u32_e64 s11, 4, v79
	v_cndmask_b32_e64 v88, v88, v95, s8
	v_cmp_eq_u32_e64 s5, 1, v77
	v_cndmask_b32_e64 v89, v89, v84, s6
	v_cndmask_b32_e64 v81, v81, v96, s10
	v_cmp_eq_u32_e64 s12, 6, v78
	v_cndmask_b32_e64 v88, v88, v71, s11
	;; [unrolled: 3-line block ×3, first 2 shown]
	v_cndmask_b32_e64 v89, v89, v98, s8
	v_cndmask_b32_e64 v81, v81, v72, s12
	v_cmp_eq_u32_e64 s15, 7, v78
	v_cndmask_b32_e64 v88, v88, v96, s13
	v_cndmask_b32_e64 v87, v87, v86, s12
	v_cmp_eq_u32_e64 s16, 6, v79
	v_cmp_eq_u32_e64 s17, 2, v77
	v_cndmask_b32_e64 v89, v89, v85, s11
	v_cndmask_b32_e64 v101, v81, v97, s15
	;; [unrolled: 1-line block ×6, first 2 shown]
	v_cmp_eq_u32_e64 s18, 7, v79
	v_cmp_eq_u32_e64 s19, 3, v77
	;; [unrolled: 1-line block ×4, first 2 shown]
	v_cndmask_b32_e64 v87, v87, v84, s17
	v_cndmask_b32_e64 v103, v88, v97, s18
	;; [unrolled: 1-line block ×4, first 2 shown]
	v_or_b32_e32 v81, 3, v78
	v_cndmask_b32_e64 v93, v87, v98, s19
	v_cmp_eq_u32_e64 s24, 6, v77
	v_cndmask_b32_e64 v104, v88, v86, s16
	v_cndmask_b32_e64 v92, v89, v71, s20
	v_cmp_eq_u32_e64 s21, 1, v81
	ds_load_b128 v[87:90], v82 offset:1024
	v_cmp_eq_u32_e64 s23, 2, v81
	v_cmp_eq_u32_e64 s25, 3, v81
	v_cndmask_b32_e64 v105, v92, v96, s22
	v_cndmask_b32_e64 v66, v69, v66, s21
	v_cndmask_b32_e64 v69, v93, v85, s20
	v_cndmask_b32_e64 v83, v83, v91, s21
	ds_load_b128 v[91:94], v82 offset:1040
	v_cmp_eq_u32_e64 s26, 4, v81
	v_cndmask_b32_e64 v66, v66, v70, s23
	v_cmp_eq_u32_e64 s27, 7, v77
	v_cndmask_b32_e64 v70, v83, v84, s23
	v_cndmask_b32_e64 v84, v105, v72, s24
	v_cmp_eq_u32_e64 s28, 5, v81
	v_cndmask_b32_e64 v66, v66, v95, s25
	v_cmp_eq_u32_e64 s29, 6, v81
	v_cndmask_b32_e64 v70, v70, v98, s25
	v_cndmask_b32_e64 v69, v69, v99, s22
	;; [unrolled: 1-line block ×4, first 2 shown]
	s_waitcnt lgkmcnt(1)
	v_lshrrev_b32_e32 v95, 16, v87
	v_cndmask_b32_e64 v70, v70, v85, s26
	v_cndmask_b32_e64 v71, v84, v97, s27
	;; [unrolled: 1-line block ×4, first 2 shown]
	v_cndmask_b32_e32 v84, v87, v95, vcc_lo
	v_cndmask_b32_e64 v70, v70, v99, s28
	s_waitcnt lgkmcnt(0)
	v_lshrrev_b32_e32 v85, 16, v91
	v_lshrrev_b32_e32 v96, 16, v88
	v_cndmask_b32_e64 v98, v87, v95, s3
	v_cndmask_b32_e64 v84, v84, v88, s4
	;; [unrolled: 1-line block ×3, first 2 shown]
	v_cndmask_b32_e32 v99, v91, v85, vcc_lo
	v_cmp_eq_u32_e32 vcc_lo, 7, v81
	v_cndmask_b32_e64 v66, v66, v72, s29
	v_cndmask_b32_e64 v72, v84, v96, s7
	;; [unrolled: 1-line block ×3, first 2 shown]
	v_lshrrev_b32_e32 v98, 16, v92
	v_cndmask_b32_e32 v70, v70, v100, vcc_lo
	v_cndmask_b32_e64 v86, v99, v92, s4
	v_cndmask_b32_e64 v69, v69, v100, s27
	v_lshrrev_b32_e32 v100, 16, v93
	v_cndmask_b32_e64 v72, v72, v89, s9
	v_lshrrev_b32_e32 v99, 16, v89
	v_cndmask_b32_e64 v86, v86, v98, s7
	v_perm_b32 v71, v69, v71, 0x5040100
	v_cndmask_b32_e64 v84, v84, v96, s8
	s_delay_alu instid0(VALU_DEP_3) | instskip(NEXT) | instid1(VALU_DEP_2)
	v_cndmask_b32_e64 v86, v86, v93, s9
	v_cndmask_b32_e64 v84, v84, v89, s11
	s_delay_alu instid0(VALU_DEP_2) | instskip(NEXT) | instid1(VALU_DEP_1)
	v_cndmask_b32_e64 v86, v86, v100, s10
	v_cndmask_b32_e64 v69, v86, v94, s12
	;; [unrolled: 1-line block ×5, first 2 shown]
	s_delay_alu instid0(VALU_DEP_3) | instskip(NEXT) | instid1(VALU_DEP_3)
	v_cndmask_b32_e64 v86, v86, v88, s17
	v_cndmask_b32_e64 v87, v87, v88, s23
	s_delay_alu instid0(VALU_DEP_3) | instskip(NEXT) | instid1(VALU_DEP_3)
	v_cndmask_b32_e64 v88, v95, v92, s23
	v_cndmask_b32_e64 v86, v86, v96, s19
	;; [unrolled: 3-line block ×7, first 2 shown]
	s_delay_alu instid0(VALU_DEP_3) | instskip(SKIP_2) | instid1(VALU_DEP_2)
	v_cndmask_b32_e64 v88, v88, v94, s29
	v_cndmask_b32_e32 v66, v66, v97, vcc_lo
	v_cndmask_b32_e64 v97, v72, v99, s10
	v_perm_b32 v72, v70, v66, 0x5040100
	v_perm_b32 v70, v83, v103, 0x5040100
	v_cndmask_b32_e64 v103, v91, v85, s5
	v_cndmask_b32_e64 v85, v91, v85, s3
	;; [unrolled: 1-line block ×4, first 2 shown]
	v_lshrrev_b32_e32 v97, 16, v90
	v_cndmask_b32_e64 v91, v103, v92, s17
	v_cndmask_b32_e64 v85, v85, v92, s6
	;; [unrolled: 1-line block ×3, first 2 shown]
	s_mov_b32 s3, exec_lo
	v_cndmask_b32_e64 v83, v84, v97, s15
	v_cndmask_b32_e64 v91, v91, v98, s19
	;; [unrolled: 1-line block ×3, first 2 shown]
	v_lshrrev_b32_e32 v84, 16, v94
	v_cndmask_b32_e64 v66, v66, v97, s18
	v_cndmask_b32_e64 v90, v86, v97, s27
	;; [unrolled: 1-line block ×4, first 2 shown]
	v_dual_cndmask_b32 v86, v87, v97 :: v_dual_cndmask_b32 v87, v88, v84
	v_cndmask_b32_e64 v91, v69, v84, s15
	s_delay_alu instid0(VALU_DEP_4) | instskip(NEXT) | instid1(VALU_DEP_4)
	v_cndmask_b32_e64 v89, v89, v100, s22
	v_cndmask_b32_e64 v85, v85, v100, s13
	v_perm_b32 v69, v102, v101, 0x5040100
	v_perm_b32 v86, v87, v86, 0x5040100
	;; [unrolled: 1-line block ×3, first 2 shown]
	v_cndmask_b32_e64 v89, v89, v94, s24
	v_cndmask_b32_e64 v85, v85, v94, s16
	s_mul_i32 s8, s35, 13
	s_delay_alu instid0(VALU_DEP_2) | instskip(NEXT) | instid1(VALU_DEP_2)
	v_cndmask_b32_e64 v88, v89, v84, s27
	v_cndmask_b32_e64 v89, v85, v84, s18
	s_delay_alu instid0(VALU_DEP_2) | instskip(NEXT) | instid1(VALU_DEP_2)
	v_perm_b32 v85, v88, v90, 0x5040100
	v_perm_b32 v84, v89, v66, 0x5040100
	ds_store_b128 v76, v[69:72]
	ds_store_b128 v76, v[83:86] offset:1024
	v_cmpx_gt_u32_e32 13, v0
	s_cbranch_execz .LBB1850_78
; %bb.77:
	s_mul_i32 s4, s8, s30
	s_delay_alu instid0(SALU_CYCLE_1) | instskip(SKIP_1) | instid1(VALU_DEP_1)
	v_add3_u32 v69, s4, s31, v65
	s_load_b128 s[4:7], s[0:1], 0x58
	v_mad_u64_u32 v[65:66], null, v69, s34, s[14:15]
	s_delay_alu instid0(VALU_DEP_1) | instskip(NEXT) | instid1(VALU_DEP_1)
	v_ashrrev_i32_e32 v66, 31, v65
	v_lshlrev_b64 v[65:66], 2, v[65:66]
	s_waitcnt lgkmcnt(0)
	s_delay_alu instid0(VALU_DEP_1) | instskip(NEXT) | instid1(VALU_DEP_2)
	v_add_co_u32 v69, vcc_lo, s6, v65
	v_add_co_ci_u32_e32 v70, vcc_lo, s7, v66, vcc_lo
	v_add_co_u32 v65, vcc_lo, s4, v65
	v_add_co_ci_u32_e32 v66, vcc_lo, s5, v66, vcc_lo
	global_store_b32 v[69:70], v67, off
	global_store_b32 v[65:66], v68, off
.LBB1850_78:
	s_or_b32 exec_lo, exec_lo, s3
	s_waitcnt lgkmcnt(0)
	s_waitcnt_vscnt null, 0x0
	s_barrier
	buffer_gl0_inv
	ds_load_b128 v[83:86], v80
	ds_load_b128 v[87:90], v80 offset:16
	ds_load_b128 v[95:98], v80 offset:2064
	;; [unrolled: 1-line block ×3, first 2 shown]
	v_mov_b32_e32 v65, 0
	ds_load_b128 v[103:106], v80 offset:4112
	ds_load_b128 v[99:102], v80 offset:4096
	;; [unrolled: 1-line block ×4, first 2 shown]
	v_mov_b32_e32 v66, v65
	v_mov_b32_e32 v67, v65
	;; [unrolled: 1-line block ×7, first 2 shown]
	s_waitcnt lgkmcnt(6)
	s_delay_alu instid0(VALU_DEP_1)
	v_wmma_f32_16x16x16_bf16 v[65:72], v[49:56], v[83:90], v[65:72]
	ds_load_b128 v[53:56], v80 offset:8208
	ds_load_b128 v[49:52], v80 offset:8192
	s_waitcnt lgkmcnt(6)
	v_wmma_f32_16x16x16_bf16 v[65:72], v[41:48], v[91:98], v[65:72]
	ds_load_b128 v[45:48], v80 offset:10256
	ds_load_b128 v[41:44], v80 offset:10240
	s_waitcnt lgkmcnt(6)
	v_wmma_f32_16x16x16_bf16 v[65:72], v[33:40], v[99:106], v[65:72]
	ds_load_b128 v[37:40], v80 offset:12304
	ds_load_b128 v[33:36], v80 offset:12288
	s_waitcnt lgkmcnt(6)
	v_wmma_f32_16x16x16_bf16 v[65:72], v[25:32], v[107:114], v[65:72]
	ds_load_b128 v[29:32], v80 offset:14352
	ds_load_b128 v[25:28], v80 offset:14336
	s_waitcnt lgkmcnt(6)
	v_wmma_f32_16x16x16_bf16 v[65:72], v[1:8], v[49:56], v[65:72]
	s_waitcnt lgkmcnt(4)
	s_delay_alu instid0(VALU_DEP_1) | instskip(SKIP_1) | instid1(VALU_DEP_1)
	v_wmma_f32_16x16x16_bf16 v[65:72], v[9:16], v[41:48], v[65:72]
	s_waitcnt lgkmcnt(2)
	v_wmma_f32_16x16x16_bf16 v[65:72], v[17:24], v[33:40], v[65:72]
	s_waitcnt lgkmcnt(0)
	s_delay_alu instid0(VALU_DEP_1) | instskip(NEXT) | instid1(VALU_DEP_1)
	v_wmma_f32_16x16x16_bf16 v[65:72], v[57:64], v[25:32], v[65:72]
	v_and_b32_e32 v1, 0x7f800000, v65
	s_delay_alu instid0(VALU_DEP_1) | instskip(SKIP_1) | instid1(SALU_CYCLE_1)
	v_cmp_ne_u32_e32 vcc_lo, 0x7f800000, v1
                                        ; implicit-def: $vgpr1
	s_and_saveexec_b32 s3, vcc_lo
	s_xor_b32 s3, exec_lo, s3
; %bb.79:
	v_bfe_u32 v1, v65, 16, 1
	s_delay_alu instid0(VALU_DEP_1)
	v_add3_u32 v1, v65, v1, 0x7fff
; %bb.80:
	s_and_not1_saveexec_b32 s3, s3
; %bb.81:
	v_and_b32_e32 v1, 0xffff, v65
	v_or_b32_e32 v2, 0x10000, v65
	s_delay_alu instid0(VALU_DEP_2) | instskip(NEXT) | instid1(VALU_DEP_2)
	v_cmp_eq_u32_e32 vcc_lo, 0, v1
	v_cndmask_b32_e32 v1, v2, v65, vcc_lo
; %bb.82:
	s_or_b32 exec_lo, exec_lo, s3
	v_and_b32_e32 v2, 0x7f800000, v66
	s_delay_alu instid0(VALU_DEP_1) | instskip(SKIP_1) | instid1(SALU_CYCLE_1)
	v_cmp_ne_u32_e32 vcc_lo, 0x7f800000, v2
                                        ; implicit-def: $vgpr2
	s_and_saveexec_b32 s3, vcc_lo
	s_xor_b32 s3, exec_lo, s3
; %bb.83:
	v_bfe_u32 v2, v66, 16, 1
	s_delay_alu instid0(VALU_DEP_1)
	v_add3_u32 v2, v66, v2, 0x7fff
; %bb.84:
	s_and_not1_saveexec_b32 s3, s3
; %bb.85:
	v_and_b32_e32 v2, 0xffff, v66
	v_or_b32_e32 v3, 0x10000, v66
	s_delay_alu instid0(VALU_DEP_2) | instskip(NEXT) | instid1(VALU_DEP_2)
	v_cmp_eq_u32_e32 vcc_lo, 0, v2
	v_cndmask_b32_e32 v2, v3, v66, vcc_lo
; %bb.86:
	s_or_b32 exec_lo, exec_lo, s3
	v_and_b32_e32 v3, 0x7f800000, v67
	s_delay_alu instid0(VALU_DEP_1) | instskip(SKIP_1) | instid1(SALU_CYCLE_1)
	v_cmp_ne_u32_e32 vcc_lo, 0x7f800000, v3
                                        ; implicit-def: $vgpr3
	s_and_saveexec_b32 s3, vcc_lo
	s_xor_b32 s3, exec_lo, s3
; %bb.87:
	v_bfe_u32 v3, v67, 16, 1
	s_delay_alu instid0(VALU_DEP_1)
	v_add3_u32 v3, v67, v3, 0x7fff
; %bb.88:
	s_and_not1_saveexec_b32 s3, s3
; %bb.89:
	v_and_b32_e32 v3, 0xffff, v67
	v_or_b32_e32 v4, 0x10000, v67
	s_delay_alu instid0(VALU_DEP_2) | instskip(NEXT) | instid1(VALU_DEP_2)
	v_cmp_eq_u32_e32 vcc_lo, 0, v3
	v_cndmask_b32_e32 v3, v4, v67, vcc_lo
; %bb.90:
	s_or_b32 exec_lo, exec_lo, s3
	v_and_b32_e32 v4, 0x7f800000, v68
	s_delay_alu instid0(VALU_DEP_1) | instskip(SKIP_1) | instid1(SALU_CYCLE_1)
	v_cmp_ne_u32_e32 vcc_lo, 0x7f800000, v4
                                        ; implicit-def: $vgpr4
	s_and_saveexec_b32 s3, vcc_lo
	s_xor_b32 s3, exec_lo, s3
; %bb.91:
	v_bfe_u32 v4, v68, 16, 1
	s_delay_alu instid0(VALU_DEP_1)
	v_add3_u32 v4, v68, v4, 0x7fff
; %bb.92:
	s_and_not1_saveexec_b32 s3, s3
; %bb.93:
	v_and_b32_e32 v4, 0xffff, v68
	v_or_b32_e32 v5, 0x10000, v68
	s_delay_alu instid0(VALU_DEP_2) | instskip(NEXT) | instid1(VALU_DEP_2)
	v_cmp_eq_u32_e32 vcc_lo, 0, v4
	v_cndmask_b32_e32 v4, v5, v68, vcc_lo
; %bb.94:
	s_or_b32 exec_lo, exec_lo, s3
	v_and_b32_e32 v5, 0x7f800000, v69
	s_delay_alu instid0(VALU_DEP_1) | instskip(SKIP_1) | instid1(SALU_CYCLE_1)
	v_cmp_ne_u32_e32 vcc_lo, 0x7f800000, v5
                                        ; implicit-def: $vgpr5
	s_and_saveexec_b32 s3, vcc_lo
	s_xor_b32 s3, exec_lo, s3
; %bb.95:
	v_bfe_u32 v5, v69, 16, 1
	s_delay_alu instid0(VALU_DEP_1)
	v_add3_u32 v5, v69, v5, 0x7fff
; %bb.96:
	s_and_not1_saveexec_b32 s3, s3
; %bb.97:
	v_and_b32_e32 v5, 0xffff, v69
	v_or_b32_e32 v6, 0x10000, v69
	s_delay_alu instid0(VALU_DEP_2) | instskip(NEXT) | instid1(VALU_DEP_2)
	v_cmp_eq_u32_e32 vcc_lo, 0, v5
	v_cndmask_b32_e32 v5, v6, v69, vcc_lo
; %bb.98:
	s_or_b32 exec_lo, exec_lo, s3
	v_and_b32_e32 v6, 0x7f800000, v70
	s_delay_alu instid0(VALU_DEP_1) | instskip(SKIP_1) | instid1(SALU_CYCLE_1)
	v_cmp_ne_u32_e32 vcc_lo, 0x7f800000, v6
                                        ; implicit-def: $vgpr6
	s_and_saveexec_b32 s3, vcc_lo
	s_xor_b32 s3, exec_lo, s3
; %bb.99:
	v_bfe_u32 v6, v70, 16, 1
	s_delay_alu instid0(VALU_DEP_1)
	v_add3_u32 v6, v70, v6, 0x7fff
; %bb.100:
	s_and_not1_saveexec_b32 s3, s3
; %bb.101:
	v_and_b32_e32 v6, 0xffff, v70
	v_or_b32_e32 v7, 0x10000, v70
	s_delay_alu instid0(VALU_DEP_2) | instskip(NEXT) | instid1(VALU_DEP_2)
	v_cmp_eq_u32_e32 vcc_lo, 0, v6
	v_cndmask_b32_e32 v6, v7, v70, vcc_lo
; %bb.102:
	s_or_b32 exec_lo, exec_lo, s3
	v_and_b32_e32 v7, 0x7f800000, v71
	s_delay_alu instid0(VALU_DEP_1) | instskip(SKIP_1) | instid1(SALU_CYCLE_1)
	v_cmp_ne_u32_e32 vcc_lo, 0x7f800000, v7
                                        ; implicit-def: $vgpr7
	s_and_saveexec_b32 s3, vcc_lo
	s_xor_b32 s3, exec_lo, s3
; %bb.103:
	v_bfe_u32 v7, v71, 16, 1
	s_delay_alu instid0(VALU_DEP_1)
	v_add3_u32 v7, v71, v7, 0x7fff
; %bb.104:
	s_and_not1_saveexec_b32 s3, s3
; %bb.105:
	v_and_b32_e32 v7, 0xffff, v71
	v_or_b32_e32 v8, 0x10000, v71
	s_delay_alu instid0(VALU_DEP_2) | instskip(NEXT) | instid1(VALU_DEP_2)
	v_cmp_eq_u32_e32 vcc_lo, 0, v7
	v_cndmask_b32_e32 v7, v8, v71, vcc_lo
; %bb.106:
	s_or_b32 exec_lo, exec_lo, s3
	v_and_b32_e32 v8, 0x7f800000, v72
	s_delay_alu instid0(VALU_DEP_1) | instskip(SKIP_1) | instid1(SALU_CYCLE_1)
	v_cmp_ne_u32_e32 vcc_lo, 0x7f800000, v8
                                        ; implicit-def: $vgpr8
	s_and_saveexec_b32 s3, vcc_lo
	s_xor_b32 s3, exec_lo, s3
; %bb.107:
	v_bfe_u32 v8, v72, 16, 1
	s_delay_alu instid0(VALU_DEP_1)
	v_add3_u32 v8, v72, v8, 0x7fff
                                        ; implicit-def: $vgpr65_vgpr66_vgpr67_vgpr68_vgpr69_vgpr70_vgpr71_vgpr72
; %bb.108:
	s_and_not1_saveexec_b32 s3, s3
; %bb.109:
	v_and_b32_e32 v8, 0xffff, v72
	v_or_b32_e32 v9, 0x10000, v72
	s_delay_alu instid0(VALU_DEP_2) | instskip(NEXT) | instid1(VALU_DEP_2)
	v_cmp_eq_u32_e32 vcc_lo, 0, v8
	v_cndmask_b32_e32 v8, v9, v72, vcc_lo
; %bb.110:
	s_or_b32 exec_lo, exec_lo, s3
	s_delay_alu instid0(VALU_DEP_1)
	v_perm_b32 v7, v8, v7, 0x7060302
	v_perm_b32 v6, v6, v5, 0x7060302
	;; [unrolled: 1-line block ×4, first 2 shown]
	s_barrier
	buffer_gl0_inv
	v_cmp_eq_u32_e32 vcc_lo, 1, v78
	ds_store_b128 v76, v[4:7]
	s_waitcnt lgkmcnt(0)
	s_barrier
	buffer_gl0_inv
	ds_load_b128 v[1:4], v82
	ds_load_b128 v[5:8], v82 offset:16
	v_cmp_eq_u32_e64 s3, 1, v79
	v_cmp_eq_u32_e64 s4, 2, v78
	;; [unrolled: 1-line block ×5, first 2 shown]
	s_waitcnt lgkmcnt(1)
	v_lshrrev_b32_e32 v9, 16, v1
	s_waitcnt lgkmcnt(0)
	v_lshrrev_b32_e32 v13, 16, v5
	v_lshrrev_b32_e32 v10, 16, v2
	;; [unrolled: 1-line block ×4, first 2 shown]
	v_cndmask_b32_e64 v19, v1, v9, s3
	v_cndmask_b32_e32 v18, v5, v13, vcc_lo
	v_cndmask_b32_e64 v20, v5, v13, s3
	v_cndmask_b32_e32 v17, v1, v9, vcc_lo
	v_cmp_eq_u32_e32 vcc_lo, 2, v79
	v_lshrrev_b32_e32 v15, 16, v7
	v_cmp_eq_u32_e64 s3, 1, v77
	v_lshrrev_b32_e32 v12, 16, v4
	v_lshrrev_b32_e32 v16, 16, v8
	v_cndmask_b32_e32 v20, v20, v6, vcc_lo
	v_cndmask_b32_e64 v17, v17, v2, s4
	v_cndmask_b32_e32 v19, v19, v2, vcc_lo
	v_cndmask_b32_e64 v18, v18, v6, s4
	v_cmp_eq_u32_e32 vcc_lo, 4, v78
	v_cmp_eq_u32_e64 s4, 3, v79
	v_cndmask_b32_e64 v17, v17, v10, s5
	v_cndmask_b32_e64 v21, v1, v9, s3
	v_cndmask_b32_e64 v18, v18, v14, s5
	v_cndmask_b32_e64 v22, v5, v13, s3
	v_cndmask_b32_e64 v19, v19, v10, s4
	v_cndmask_b32_e32 v17, v17, v3, vcc_lo
	v_cndmask_b32_e64 v20, v20, v14, s4
	v_cndmask_b32_e32 v18, v18, v7, vcc_lo
	v_cmp_eq_u32_e32 vcc_lo, 4, v79
	v_cmp_eq_u32_e64 s4, 5, v79
	v_cmp_eq_u32_e64 s3, 2, v81
	v_cndmask_b32_e64 v21, v21, v2, s7
	v_cmp_eq_u32_e64 s5, 5, v78
	v_cndmask_b32_e32 v19, v19, v3, vcc_lo
	v_cndmask_b32_e32 v20, v20, v7, vcc_lo
	v_cmp_eq_u32_e32 vcc_lo, 6, v79
	s_delay_alu instid0(VALU_DEP_4) | instskip(NEXT) | instid1(VALU_DEP_4)
	v_cndmask_b32_e64 v17, v17, v11, s5
	v_cndmask_b32_e64 v19, v19, v11, s4
	s_delay_alu instid0(VALU_DEP_4) | instskip(SKIP_1) | instid1(VALU_DEP_3)
	v_cndmask_b32_e64 v20, v20, v15, s4
	v_cmp_eq_u32_e64 s4, 1, v81
	v_cndmask_b32_e32 v19, v19, v4, vcc_lo
	v_cndmask_b32_e64 v18, v18, v15, s5
	s_delay_alu instid0(VALU_DEP_3)
	v_cndmask_b32_e64 v1, v1, v9, s4
	v_cndmask_b32_e64 v5, v5, v13, s4
	v_cmp_eq_u32_e64 s4, 3, v77
	v_cndmask_b32_e64 v13, v22, v6, s7
	v_cmp_eq_u32_e64 s7, 3, v81
	v_cndmask_b32_e64 v1, v1, v2, s3
	v_cndmask_b32_e64 v2, v5, v6, s3
	;; [unrolled: 1-line block ×3, first 2 shown]
	v_cmp_eq_u32_e64 s3, 4, v77
	v_cndmask_b32_e64 v6, v13, v14, s4
	v_cndmask_b32_e64 v1, v1, v10, s7
	v_cmp_eq_u32_e64 s4, 4, v81
	v_cndmask_b32_e64 v2, v2, v14, s7
	v_cndmask_b32_e64 v5, v9, v3, s3
	;; [unrolled: 3-line block ×3, first 2 shown]
	v_cndmask_b32_e64 v2, v2, v7, s4
	v_cmp_eq_u32_e64 s3, 5, v81
	v_cmp_eq_u32_e64 s5, 6, v78
	v_cndmask_b32_e64 v5, v5, v11, s7
	v_cmp_eq_u32_e64 s4, 6, v77
	v_cndmask_b32_e64 v3, v6, v15, s7
	v_cndmask_b32_e64 v1, v1, v11, s3
	v_cmp_eq_u32_e64 s7, 6, v81
	v_cndmask_b32_e64 v2, v2, v15, s3
	v_cndmask_b32_e64 v17, v17, v4, s5
	v_cndmask_b32_e64 v18, v18, v8, s5
	v_cmp_eq_u32_e64 s5, 7, v78
	v_cndmask_b32_e64 v5, v5, v4, s4
	;; [unrolled: 4-line block ×3, first 2 shown]
	v_cmp_eq_u32_e64 s4, 7, v77
	v_cndmask_b32_e32 v4, v20, v8, vcc_lo
	v_cndmask_b32_e64 v17, v17, v12, s5
	v_cndmask_b32_e64 v19, v19, v12, s6
	;; [unrolled: 1-line block ×8, first 2 shown]
	s_mov_b32 s3, exec_lo
	v_perm_b32 v4, v2, v1, 0x5040100
	v_perm_b32 v3, v3, v5, 0x5040100
	;; [unrolled: 1-line block ×4, first 2 shown]
	ds_store_b128 v76, v[1:4]
	s_waitcnt lgkmcnt(0)
	s_barrier
	buffer_gl0_inv
	v_cmpx_gt_u32_e32 32, v0
	s_cbranch_execz .LBB1850_2
; %bb.111:
	s_load_b64 s[4:5], s[0:1], 0x68
	v_lshlrev_b32_e32 v0, 10, v0
	v_lshlrev_b32_e32 v1, 4, v75
	s_lshl_b32 s0, s34, 7
	v_add_nc_u32_e32 v18, s31, v74
	s_mul_i32 s1, s0, s30
	s_delay_alu instid0(VALU_DEP_2) | instskip(SKIP_1) | instid1(VALU_DEP_2)
	v_and_or_b32 v0, 0x3800, v0, v1
	s_mul_i32 s6, s1, s8
	v_mul_lo_u32 v1, v18, s0
	s_ashr_i32 s7, s6, 31
	v_add_nc_u32_e32 v2, 2, v18
	v_lshl_or_b32 v19, v74, 6, v0
	s_lshl_b64 s[6:7], s[6:7], 1
	v_add_nc_u32_e32 v8, 4, v18
	v_add_nc_u32_e32 v15, 6, v18
	v_mul_lo_u32 v7, v2, s0
	ds_load_b128 v[3:6], v19
	v_ashrrev_i32_e32 v2, 31, v1
	v_mul_lo_u32 v11, v8, s0
	s_waitcnt lgkmcnt(0)
	s_add_u32 s1, s4, s6
	s_addc_u32 s3, s5, s7
	s_lshl_b32 s4, s14, 7
	v_lshlrev_b64 v[9:10], 1, v[1:2]
	s_ashr_i32 s5, s4, 31
	v_ashrrev_i32_e32 v8, 31, v7
	s_lshl_b64 s[4:5], s[4:5], 1
	v_ashrrev_i32_e32 v12, 31, v11
	s_add_u32 s1, s1, s4
	s_addc_u32 s3, s3, s5
	v_add_co_u32 v1, s1, s1, v73
	s_delay_alu instid0(VALU_DEP_1) | instskip(SKIP_1) | instid1(VALU_DEP_3)
	v_add_co_ci_u32_e64 v2, null, s3, 0, s1
	v_mul_lo_u32 v15, v15, s0
	v_add_co_u32 v13, vcc_lo, v1, v9
	s_delay_alu instid0(VALU_DEP_3)
	v_add_co_ci_u32_e32 v14, vcc_lo, v2, v10, vcc_lo
	v_lshlrev_b64 v[16:17], 1, v[7:8]
	ds_load_b128 v[7:10], v19 offset:128
	global_store_b128 v[13:14], v[3:6], off
	v_add_nc_u32_e32 v5, 8, v18
	v_lshlrev_b64 v[3:4], 1, v[11:12]
	v_add_co_u32 v23, vcc_lo, v1, v16
	v_ashrrev_i32_e32 v16, 31, v15
	s_delay_alu instid0(VALU_DEP_4) | instskip(SKIP_3) | instid1(VALU_DEP_3)
	v_mul_lo_u32 v25, v5, s0
	v_add_nc_u32_e32 v5, 10, v18
	v_add_co_ci_u32_e32 v24, vcc_lo, v2, v17, vcc_lo
	v_add_co_u32 v27, vcc_lo, v1, v3
	v_mul_lo_u32 v29, v5, s0
	v_add_co_ci_u32_e32 v28, vcc_lo, v2, v4, vcc_lo
	v_lshlrev_b64 v[31:32], 1, v[15:16]
	ds_load_b128 v[3:6], v19 offset:256
	ds_load_b128 v[11:14], v19 offset:384
	;; [unrolled: 1-line block ×4, first 2 shown]
	v_ashrrev_i32_e32 v26, 31, v25
	v_ashrrev_i32_e32 v30, 31, v29
	v_add_co_u32 v31, vcc_lo, v1, v31
	s_delay_alu instid0(VALU_DEP_3) | instskip(SKIP_1) | instid1(VALU_DEP_4)
	v_lshlrev_b64 v[25:26], 1, v[25:26]
	v_add_co_ci_u32_e32 v32, vcc_lo, v2, v32, vcc_lo
	v_lshlrev_b64 v[29:30], 1, v[29:30]
	s_delay_alu instid0(VALU_DEP_3) | instskip(NEXT) | instid1(VALU_DEP_4)
	v_add_co_u32 v25, vcc_lo, v1, v25
	v_add_co_ci_u32_e32 v26, vcc_lo, v2, v26, vcc_lo
	s_delay_alu instid0(VALU_DEP_3) | instskip(NEXT) | instid1(VALU_DEP_4)
	v_add_co_u32 v29, vcc_lo, v1, v29
	v_add_co_ci_u32_e32 v30, vcc_lo, v2, v30, vcc_lo
	s_waitcnt lgkmcnt(4)
	global_store_b128 v[23:24], v[7:10], off
	s_waitcnt lgkmcnt(3)
	global_store_b128 v[27:28], v[3:6], off
	;; [unrolled: 2-line block ×5, first 2 shown]
	s_and_b32 exec_lo, exec_lo, s2
	s_cbranch_execz .LBB1850_2
; %bb.112:
	ds_load_b128 v[3:6], v0 offset:768
	s_add_i32 s1, s31, 12
	s_delay_alu instid0(SALU_CYCLE_1) | instskip(NEXT) | instid1(SALU_CYCLE_1)
	s_mul_i32 s0, s1, s0
	s_ashr_i32 s1, s0, 31
	s_delay_alu instid0(SALU_CYCLE_1) | instskip(NEXT) | instid1(SALU_CYCLE_1)
	s_lshl_b64 s[0:1], s[0:1], 1
	v_add_co_u32 v0, vcc_lo, v1, s0
	v_add_co_ci_u32_e32 v1, vcc_lo, s1, v2, vcc_lo
	s_waitcnt lgkmcnt(0)
	global_store_b128 v[0:1], v[3:6], off
	s_nop 0
	s_sendmsg sendmsg(MSG_DEALLOC_VGPRS)
	s_endpgm
	.section	.rodata,"a",@progbits
	.p2align	6, 0x0
	.amdhsa_kernel _Z39paged_attention_ll4mi_QKV_mfma16_kernelI14__hip_bfloat16hLN4vllm18Fp8KVCacheDataTypeE1ES0_Li16ELi128ELi256ELb0ELi13EL8MFMAType0EEvPKT_PKT0_S9_ifPKiSB_SB_iPKfiiiPfSE_PS4_PT2_iSD_SD_
		.amdhsa_group_segment_fixed_size 17472
		.amdhsa_private_segment_fixed_size 0
		.amdhsa_kernarg_size 400
		.amdhsa_user_sgpr_count 13
		.amdhsa_user_sgpr_dispatch_ptr 0
		.amdhsa_user_sgpr_queue_ptr 0
		.amdhsa_user_sgpr_kernarg_segment_ptr 1
		.amdhsa_user_sgpr_dispatch_id 0
		.amdhsa_user_sgpr_private_segment_size 0
		.amdhsa_wavefront_size32 1
		.amdhsa_uses_dynamic_stack 0
		.amdhsa_enable_private_segment 0
		.amdhsa_system_sgpr_workgroup_id_x 1
		.amdhsa_system_sgpr_workgroup_id_y 1
		.amdhsa_system_sgpr_workgroup_id_z 1
		.amdhsa_system_sgpr_workgroup_info 0
		.amdhsa_system_vgpr_workitem_id 0
		.amdhsa_next_free_vgpr 140
		.amdhsa_next_free_sgpr 36
		.amdhsa_reserve_vcc 1
		.amdhsa_float_round_mode_32 0
		.amdhsa_float_round_mode_16_64 0
		.amdhsa_float_denorm_mode_32 3
		.amdhsa_float_denorm_mode_16_64 3
		.amdhsa_dx10_clamp 1
		.amdhsa_ieee_mode 1
		.amdhsa_fp16_overflow 0
		.amdhsa_workgroup_processor_mode 1
		.amdhsa_memory_ordered 1
		.amdhsa_forward_progress 0
		.amdhsa_shared_vgpr_count 0
		.amdhsa_exception_fp_ieee_invalid_op 0
		.amdhsa_exception_fp_denorm_src 0
		.amdhsa_exception_fp_ieee_div_zero 0
		.amdhsa_exception_fp_ieee_overflow 0
		.amdhsa_exception_fp_ieee_underflow 0
		.amdhsa_exception_fp_ieee_inexact 0
		.amdhsa_exception_int_div_zero 0
	.end_amdhsa_kernel
	.section	.text._Z39paged_attention_ll4mi_QKV_mfma16_kernelI14__hip_bfloat16hLN4vllm18Fp8KVCacheDataTypeE1ES0_Li16ELi128ELi256ELb0ELi13EL8MFMAType0EEvPKT_PKT0_S9_ifPKiSB_SB_iPKfiiiPfSE_PS4_PT2_iSD_SD_,"axG",@progbits,_Z39paged_attention_ll4mi_QKV_mfma16_kernelI14__hip_bfloat16hLN4vllm18Fp8KVCacheDataTypeE1ES0_Li16ELi128ELi256ELb0ELi13EL8MFMAType0EEvPKT_PKT0_S9_ifPKiSB_SB_iPKfiiiPfSE_PS4_PT2_iSD_SD_,comdat
.Lfunc_end1850:
	.size	_Z39paged_attention_ll4mi_QKV_mfma16_kernelI14__hip_bfloat16hLN4vllm18Fp8KVCacheDataTypeE1ES0_Li16ELi128ELi256ELb0ELi13EL8MFMAType0EEvPKT_PKT0_S9_ifPKiSB_SB_iPKfiiiPfSE_PS4_PT2_iSD_SD_, .Lfunc_end1850-_Z39paged_attention_ll4mi_QKV_mfma16_kernelI14__hip_bfloat16hLN4vllm18Fp8KVCacheDataTypeE1ES0_Li16ELi128ELi256ELb0ELi13EL8MFMAType0EEvPKT_PKT0_S9_ifPKiSB_SB_iPKfiiiPfSE_PS4_PT2_iSD_SD_
                                        ; -- End function
	.section	.AMDGPU.csdata,"",@progbits
; Kernel info:
; codeLenInByte = 9056
; NumSgprs: 38
; NumVgprs: 140
; ScratchSize: 0
; MemoryBound: 0
; FloatMode: 240
; IeeeMode: 1
; LDSByteSize: 17472 bytes/workgroup (compile time only)
; SGPRBlocks: 4
; VGPRBlocks: 17
; NumSGPRsForWavesPerEU: 38
; NumVGPRsForWavesPerEU: 140
; Occupancy: 10
; WaveLimiterHint : 1
; COMPUTE_PGM_RSRC2:SCRATCH_EN: 0
; COMPUTE_PGM_RSRC2:USER_SGPR: 13
; COMPUTE_PGM_RSRC2:TRAP_HANDLER: 0
; COMPUTE_PGM_RSRC2:TGID_X_EN: 1
; COMPUTE_PGM_RSRC2:TGID_Y_EN: 1
; COMPUTE_PGM_RSRC2:TGID_Z_EN: 1
; COMPUTE_PGM_RSRC2:TIDIG_COMP_CNT: 0
	.section	.text._Z39paged_attention_ll4mi_QKV_mfma16_kernelI14__hip_bfloat16hLN4vllm18Fp8KVCacheDataTypeE1ES0_Li16ELi128ELi256ELb0ELi14EL8MFMAType0EEvPKT_PKT0_S9_ifPKiSB_SB_iPKfiiiPfSE_PS4_PT2_iSD_SD_,"axG",@progbits,_Z39paged_attention_ll4mi_QKV_mfma16_kernelI14__hip_bfloat16hLN4vllm18Fp8KVCacheDataTypeE1ES0_Li16ELi128ELi256ELb0ELi14EL8MFMAType0EEvPKT_PKT0_S9_ifPKiSB_SB_iPKfiiiPfSE_PS4_PT2_iSD_SD_,comdat
	.protected	_Z39paged_attention_ll4mi_QKV_mfma16_kernelI14__hip_bfloat16hLN4vllm18Fp8KVCacheDataTypeE1ES0_Li16ELi128ELi256ELb0ELi14EL8MFMAType0EEvPKT_PKT0_S9_ifPKiSB_SB_iPKfiiiPfSE_PS4_PT2_iSD_SD_ ; -- Begin function _Z39paged_attention_ll4mi_QKV_mfma16_kernelI14__hip_bfloat16hLN4vllm18Fp8KVCacheDataTypeE1ES0_Li16ELi128ELi256ELb0ELi14EL8MFMAType0EEvPKT_PKT0_S9_ifPKiSB_SB_iPKfiiiPfSE_PS4_PT2_iSD_SD_
	.globl	_Z39paged_attention_ll4mi_QKV_mfma16_kernelI14__hip_bfloat16hLN4vllm18Fp8KVCacheDataTypeE1ES0_Li16ELi128ELi256ELb0ELi14EL8MFMAType0EEvPKT_PKT0_S9_ifPKiSB_SB_iPKfiiiPfSE_PS4_PT2_iSD_SD_
	.p2align	8
	.type	_Z39paged_attention_ll4mi_QKV_mfma16_kernelI14__hip_bfloat16hLN4vllm18Fp8KVCacheDataTypeE1ES0_Li16ELi128ELi256ELb0ELi14EL8MFMAType0EEvPKT_PKT0_S9_ifPKiSB_SB_iPKfiiiPfSE_PS4_PT2_iSD_SD_,@function
_Z39paged_attention_ll4mi_QKV_mfma16_kernelI14__hip_bfloat16hLN4vllm18Fp8KVCacheDataTypeE1ES0_Li16ELi128ELi256ELb0ELi14EL8MFMAType0EEvPKT_PKT0_S9_ifPKiSB_SB_iPKfiiiPfSE_PS4_PT2_iSD_SD_: ; @_Z39paged_attention_ll4mi_QKV_mfma16_kernelI14__hip_bfloat16hLN4vllm18Fp8KVCacheDataTypeE1ES0_Li16ELi128ELi256ELb0ELi14EL8MFMAType0EEvPKT_PKT0_S9_ifPKiSB_SB_iPKfiiiPfSE_PS4_PT2_iSD_SD_
; %bb.0:
	s_load_b64 s[4:5], s[0:1], 0x30
	s_mov_b32 s30, s13
	s_waitcnt lgkmcnt(0)
	s_cmp_lg_u64 s[4:5], 0
	s_cselect_b32 s13, -1, 0
	s_ashr_i32 s31, s30, 31
	s_cmp_eq_u64 s[4:5], 0
	s_cbranch_scc1 .LBB1851_3
; %bb.1:
	s_lshl_b64 s[2:3], s[30:31], 2
	s_delay_alu instid0(SALU_CYCLE_1) | instskip(SKIP_4) | instid1(SALU_CYCLE_1)
	s_add_u32 s2, s4, s2
	s_addc_u32 s3, s5, s3
	s_load_b64 s[2:3], s[2:3], 0x0
	s_waitcnt lgkmcnt(0)
	s_sub_i32 s2, s3, s2
	s_cmp_eq_u32 s2, 1
	s_cselect_b32 s2, -1, 0
	s_delay_alu instid0(SALU_CYCLE_1)
	s_and_not1_b32 vcc_lo, exec_lo, s2
	s_cbranch_vccz .LBB1851_4
.LBB1851_2:
	s_endpgm
.LBB1851_3:
.LBB1851_4:
	s_load_b64 s[2:3], s[0:1], 0x28
	s_lshl_b64 s[6:7], s[30:31], 2
	s_waitcnt lgkmcnt(0)
	s_add_u32 s2, s2, s6
	s_addc_u32 s3, s3, s7
	s_lshl_b32 s12, s14, 8
	s_load_b32 s17, s[2:3], 0x0
	s_waitcnt lgkmcnt(0)
	s_cmp_ge_i32 s12, s17
	s_cbranch_scc1 .LBB1851_2
; %bb.5:
	s_clause 0x1
	s_load_b128 s[8:11], s[0:1], 0x8
	s_load_b64 s[2:3], s[0:1], 0x20
	s_and_not1_b32 vcc_lo, exec_lo, s13
	s_cbranch_vccnz .LBB1851_7
; %bb.6:
	s_add_u32 s4, s4, s6
	s_addc_u32 s5, s5, s7
	s_load_b32 s13, s[4:5], 0x0
	s_branch .LBB1851_8
.LBB1851_7:
	s_mov_b32 s13, s30
.LBB1851_8:
	s_load_b128 s[4:7], s[0:1], 0x48
	v_and_b32_e32 v65, 15, v0
	v_lshrrev_b32_e32 v66, 5, v0
	v_and_b32_e32 v67, 31, v0
	v_and_b32_e32 v75, 1, v0
	v_bfe_u32 v74, v0, 4, 1
	v_lshlrev_b32_e32 v1, 3, v65
	s_mul_i32 s29, s15, 14
	s_waitcnt lgkmcnt(0)
	s_mov_b32 s7, exec_lo
	s_delay_alu instid0(VALU_DEP_1)
	v_lshlrev_b32_e32 v73, 1, v1
	v_cmpx_gt_u32_e32 0xe0, v0
	s_cbranch_execz .LBB1851_10
; %bb.9:
	s_load_b64 s[18:19], s[0:1], 0x0
	v_lshl_or_b32 v5, v66, 1, v74
	s_mul_hi_i32 s21, s13, s4
	s_mul_i32 s20, s13, s4
	v_lshlrev_b32_e32 v6, 10, v65
	s_lshl_b64 s[20:21], s[20:21], 1
	v_add_lshl_u32 v1, v5, s29, 7
	v_lshlrev_b32_e32 v5, 6, v5
	v_lshlrev_b32_e32 v7, 10, v75
	v_and_b32_e32 v6, 0x3800, v6
	s_delay_alu instid0(VALU_DEP_4) | instskip(NEXT) | instid1(VALU_DEP_2)
	v_ashrrev_i32_e32 v2, 31, v1
	v_or3_b32 v5, v6, v7, v5
	s_delay_alu instid0(VALU_DEP_2) | instskip(SKIP_3) | instid1(VALU_DEP_1)
	v_lshlrev_b64 v[1:2], 1, v[1:2]
	s_waitcnt lgkmcnt(0)
	s_add_u32 s4, s18, s20
	s_addc_u32 s13, s19, s21
	v_add_co_u32 v1, vcc_lo, s4, v1
	s_delay_alu instid0(VALU_DEP_2) | instskip(NEXT) | instid1(VALU_DEP_2)
	v_add_co_ci_u32_e32 v2, vcc_lo, s13, v2, vcc_lo
	v_add_co_u32 v1, vcc_lo, v1, v73
	s_delay_alu instid0(VALU_DEP_2)
	v_add_co_ci_u32_e32 v2, vcc_lo, 0, v2, vcc_lo
	global_load_b128 v[1:4], v[1:2], off
	s_waitcnt vmcnt(0)
	ds_store_b128 v5, v[1:4]
.LBB1851_10:
	s_or_b32 exec_lo, exec_lo, s7
	v_and_b32_e32 v1, 0xef, v0
	s_add_i32 s4, s17, 15
	s_clause 0x1
	s_load_b32 s7, s[0:1], 0x38
	s_load_b32 s18, s[0:1], 0x1c
	s_ashr_i32 s13, s4, 31
	v_add_nc_u32_e32 v1, s12, v1
	s_lshr_b32 s13, s13, 28
	s_waitcnt lgkmcnt(0)
	s_add_i32 s4, s4, s13
	s_barrier
	v_ashrrev_i32_e32 v2, 31, v1
	v_or_b32_e32 v3, 16, v1
	s_ashr_i32 s4, s4, 4
	v_cmp_gt_i32_e32 vcc_lo, s17, v1
	s_add_i32 s4, s4, -1
	v_lshrrev_b32_e32 v2, 28, v2
	buffer_gl0_inv
	s_mul_i32 s15, s15, s6
	v_add_nc_u32_e32 v4, v1, v2
	s_mul_i32 s20, s30, s7
	s_delay_alu instid0(SALU_CYCLE_1) | instskip(NEXT) | instid1(VALU_DEP_1)
	s_ashr_i32 s21, s20, 31
	v_ashrrev_i32_e32 v4, 4, v4
	v_add_nc_u32_e32 v2, v3, v2
	s_lshl_b64 s[20:21], s[20:21], 2
	s_delay_alu instid0(SALU_CYCLE_1) | instskip(NEXT) | instid1(VALU_DEP_2)
	s_add_u32 s13, s2, s20
	v_cndmask_b32_e32 v1, s4, v4, vcc_lo
	s_delay_alu instid0(VALU_DEP_2)
	v_ashrrev_i32_e32 v2, 4, v2
	v_cmp_gt_i32_e32 vcc_lo, s17, v3
	s_addc_u32 s16, s3, s21
	s_ashr_i32 s19, s15, 31
	s_add_u32 s26, s8, s15
	s_addc_u32 s27, s9, s19
	v_cndmask_b32_e32 v3, s4, v2, vcc_lo
	v_ashrrev_i32_e32 v2, 31, v1
	s_lshl_b32 s2, s14, 4
	s_delay_alu instid0(SALU_CYCLE_1) | instskip(NEXT) | instid1(VALU_DEP_2)
	s_ashr_i32 s3, s2, 31
	v_ashrrev_i32_e32 v4, 31, v3
	s_delay_alu instid0(VALU_DEP_2) | instskip(SKIP_1) | instid1(SALU_CYCLE_1)
	v_lshlrev_b64 v[1:2], 2, v[1:2]
	s_lshl_b64 s[2:3], s[2:3], 2
	s_add_u32 s2, s13, s2
	s_delay_alu instid0(VALU_DEP_2) | instskip(SKIP_1) | instid1(VALU_DEP_2)
	v_lshlrev_b64 v[3:4], 2, v[3:4]
	s_addc_u32 s3, s16, s3
	v_add_co_u32 v1, vcc_lo, s13, v1
	v_add_co_ci_u32_e32 v2, vcc_lo, s16, v2, vcc_lo
	s_delay_alu instid0(VALU_DEP_3) | instskip(NEXT) | instid1(VALU_DEP_4)
	v_add_co_u32 v3, vcc_lo, s13, v3
	v_add_co_ci_u32_e32 v4, vcc_lo, s16, v4, vcc_lo
	s_clause 0x1
	global_load_b32 v5, v[1:2], off
	global_load_b32 v3, v[3:4], off
	s_or_b32 s6, s12, 32
	v_cmp_gt_u32_e32 vcc_lo, 14, v65
	s_ashr_i32 s7, s6, 4
	s_cmp_lt_i32 s6, s17
	s_cselect_b32 s6, s7, s4
	s_delay_alu instid0(SALU_CYCLE_1) | instskip(NEXT) | instid1(SALU_CYCLE_1)
	s_ashr_i32 s7, s6, 31
	s_lshl_b64 s[6:7], s[6:7], 2
	s_delay_alu instid0(SALU_CYCLE_1) | instskip(SKIP_2) | instid1(SALU_CYCLE_1)
	s_add_u32 s6, s13, s6
	s_addc_u32 s7, s16, s7
	s_or_b32 s8, s12, 64
	s_ashr_i32 s9, s8, 4
	s_cmp_lt_i32 s8, s17
	s_cselect_b32 s8, s9, s4
	s_delay_alu instid0(SALU_CYCLE_1) | instskip(NEXT) | instid1(SALU_CYCLE_1)
	s_ashr_i32 s9, s8, 31
	s_lshl_b64 s[8:9], s[8:9], 2
	s_delay_alu instid0(SALU_CYCLE_1) | instskip(SKIP_2) | instid1(SALU_CYCLE_1)
	s_add_u32 s8, s13, s8
	s_addc_u32 s9, s16, s9
	s_or_b32 s20, s12, 0x60
	;; [unrolled: 10-line block ×4, first 2 shown]
	s_ashr_i32 s25, s24, 4
	s_cmp_lt_i32 s24, s17
	s_cselect_b32 s24, s25, s4
	s_delay_alu instid0(SALU_CYCLE_1) | instskip(NEXT) | instid1(SALU_CYCLE_1)
	s_ashr_i32 s25, s24, 31
	s_lshl_b64 s[24:25], s[24:25], 2
	s_delay_alu instid0(SALU_CYCLE_1)
	s_add_u32 s24, s13, s24
	s_addc_u32 s25, s16, s25
	s_clause 0x5
	s_load_b32 s28, s[2:3], 0x0
	s_load_b32 s31, s[6:7], 0x0
	;; [unrolled: 1-line block ×6, first 2 shown]
	s_mov_b32 s20, 0
	s_or_b32 s2, s12, 0xc0
	s_mov_b32 s21, s20
	s_mov_b32 s22, s20
	;; [unrolled: 1-line block ×5, first 2 shown]
	v_lshlrev_b32_e32 v1, 4, v0
	s_ashr_i32 s3, s2, 4
	s_cmp_lt_i32 s2, s17
	s_cselect_b32 s2, s3, s4
	s_delay_alu instid0(VALU_DEP_1) | instskip(SKIP_1) | instid1(SALU_CYCLE_1)
	v_and_b32_e32 v1, 0xf0, v1
	s_ashr_i32 s3, s2, 31
	s_lshl_b64 s[2:3], s[2:3], 2
	s_delay_alu instid0(VALU_DEP_1) | instskip(NEXT) | instid1(VALU_DEP_1)
	v_add_co_u32 v1, s26, s26, v1
	v_add_co_ci_u32_e64 v2, null, s27, 0, s26
	s_add_u32 s2, s13, s2
	s_addc_u32 s3, s16, s3
	s_or_b32 s6, s12, 0xe0
	s_mov_b32 s27, s20
	s_ashr_i32 s7, s6, 4
	s_cmp_lt_i32 s6, s17
	s_mov_b32 s26, s20
	v_dual_mov_b32 v107, s27 :: v_dual_mov_b32 v100, s20
	s_cselect_b32 s6, s7, s4
	v_mov_b32_e32 v106, s26
	s_ashr_i32 s7, s6, 31
	v_mov_b32_e32 v104, s24
	s_lshl_b64 s[6:7], s[6:7], 2
	v_dual_mov_b32 v103, s23 :: v_dual_mov_b32 v102, s22
	v_mov_b32_e32 v101, s21
	s_waitcnt vmcnt(1)
	v_mad_i64_i32 v[33:34], null, v5, s5, v[1:2]
	s_waitcnt vmcnt(0)
	v_mad_i64_i32 v[35:36], null, v3, s5, v[1:2]
	s_clause 0xf
	global_load_b128 v[1:4], v[33:34], off
	global_load_b128 v[5:8], v[33:34], off offset:256
	global_load_b128 v[9:12], v[35:36], off
	global_load_b128 v[13:16], v[35:36], off offset:256
	global_load_b128 v[17:20], v[33:34], off offset:512
	;; [unrolled: 1-line block ×13, first 2 shown]
	v_add_nc_u32_e32 v33, -14, v65
	v_lshlrev_b32_e32 v34, 4, v65
	s_delay_alu instid0(VALU_DEP_2) | instskip(SKIP_1) | instid1(VALU_DEP_3)
	v_cndmask_b32_e32 v33, v33, v65, vcc_lo
	v_mov_b32_e32 v105, s25
	v_lshl_or_b32 v41, v66, 8, v34
	s_delay_alu instid0(VALU_DEP_3)
	v_lshlrev_b32_e32 v72, 6, v33
	ds_load_b128 v[33:36], v72
	ds_load_b128 v[37:40], v72 offset:1024
	ds_load_b128 v[108:111], v72 offset:2048
	;; [unrolled: 1-line block ×3, first 2 shown]
	s_load_b32 s4, s[2:3], 0x0
	s_add_u32 s2, s13, s6
	s_addc_u32 s3, s16, s7
	ds_load_b128 v[116:119], v72 offset:4096
	ds_load_b128 v[120:123], v72 offset:5120
	s_load_b32 s2, s[2:3], 0x0
	s_add_u32 s6, s10, s15
	s_addc_u32 s7, s11, s19
	v_add_co_u32 v68, s6, s6, v41
	s_delay_alu instid0(VALU_DEP_1) | instskip(SKIP_1) | instid1(VALU_DEP_1)
	v_add_co_ci_u32_e64 v69, null, s7, 0, s6
	s_waitcnt lgkmcnt(0)
	v_mad_i64_i32 v[41:42], null, s28, s5, v[68:69]
	v_mad_i64_i32 v[70:71], null, s8, s5, v[68:69]
	;; [unrolled: 1-line block ×7, first 2 shown]
	s_clause 0x3
	global_load_b128 v[49:52], v[41:42], off
	global_load_b128 v[53:56], v[41:42], off offset:16
	global_load_b128 v[41:44], v[45:46], off
	global_load_b128 v[45:48], v[45:46], off offset:16
	s_waitcnt vmcnt(18)
	v_wmma_f32_16x16x16_bf16 v[124:131], v[1:8], v[33:40], v[100:107]
	s_waitcnt vmcnt(16)
	v_wmma_f32_16x16x16_bf16 v[100:107], v[9:16], v[33:40], v[100:107]
	s_clause 0x1
	global_load_b128 v[33:36], v[70:71], off
	global_load_b128 v[37:40], v[70:71], off offset:16
	v_mad_i64_i32 v[70:71], null, s2, s5, v[68:69]
	s_waitcnt vmcnt(16)
	v_wmma_f32_16x16x16_bf16 v[124:131], v[17:24], v[108:115], v[124:131]
	s_waitcnt vmcnt(14)
	v_wmma_f32_16x16x16_bf16 v[100:107], v[25:32], v[108:115], v[100:107]
	s_clause 0x7
	global_load_b128 v[25:28], v[132:133], off
	global_load_b128 v[29:32], v[132:133], off offset:16
	global_load_b128 v[1:4], v[134:135], off
	global_load_b128 v[5:8], v[134:135], off offset:16
	;; [unrolled: 2-line block ×4, first 2 shown]
	s_waitcnt vmcnt(20)
	v_wmma_f32_16x16x16_bf16 v[124:131], v[57:64], v[116:123], v[124:131]
	s_clause 0x1
	global_load_b128 v[57:60], v[70:71], off
	global_load_b128 v[61:64], v[70:71], off offset:16
	s_waitcnt vmcnt(20)
	v_wmma_f32_16x16x16_bf16 v[100:107], v[76:83], v[116:123], v[100:107]
	ds_load_b128 v[76:79], v72 offset:6144
	ds_load_b128 v[80:83], v72 offset:7168
	v_and_b32_e32 v68, 0xe0, v0
	v_mbcnt_lo_u32_b32 v69, -1, 0
	s_waitcnt vmcnt(0) lgkmcnt(0)
	s_barrier
	buffer_gl0_inv
	v_add_nc_u32_e32 v68, s12, v68
	v_xor_b32_e32 v70, 16, v69
	s_delay_alu instid0(VALU_DEP_2) | instskip(NEXT) | instid1(VALU_DEP_2)
	v_or_b32_e32 v68, v68, v74
	v_cmp_gt_i32_e32 vcc_lo, 32, v70
	s_delay_alu instid0(VALU_DEP_2)
	v_or_b32_e32 v71, 4, v68
	v_or_b32_e32 v72, 6, v68
	v_cmp_gt_i32_e64 s2, s17, v68
	v_or_b32_e32 v108, 8, v68
	v_wmma_f32_16x16x16_bf16 v[124:131], v[84:91], v[76:83], v[124:131]
	v_cndmask_b32_e32 v69, v69, v70, vcc_lo
	v_or_b32_e32 v70, 2, v68
	v_wmma_f32_16x16x16_bf16 v[100:107], v[92:99], v[76:83], v[100:107]
	v_or_b32_e32 v109, 10, v68
	v_dual_mul_f32 v82, s18, v127 :: v_dual_mul_f32 v79, s18, v130
	v_dual_mul_f32 v92, s18, v125 :: v_dual_mul_f32 v93, s18, v124
	s_delay_alu instid0(VALU_DEP_4)
	v_mul_f32_e32 v98, s18, v103
	v_cmp_gt_i32_e32 vcc_lo, s17, v70
	v_or_b32_e32 v89, 22, v68
	v_dual_mul_f32 v83, s18, v126 :: v_dual_mul_f32 v96, s18, v105
	v_cndmask_b32_e64 v93, 0xff7fffff, v93, s2
	v_cndmask_b32_e32 v92, 0xff7fffff, v92, vcc_lo
	v_cmp_gt_i32_e64 s3, s17, v71
	v_cmp_gt_i32_e64 s4, s17, v72
	v_or_b32_e32 v84, 12, v68
	v_or_b32_e32 v85, 14, v68
	v_dual_mul_f32 v80, s18, v129 :: v_dual_mul_f32 v81, s18, v128
	v_mul_f32_e32 v94, s18, v107
	v_cndmask_b32_e64 v71, 0xff7fffff, v83, s3
	v_cndmask_b32_e64 v72, 0xff7fffff, v82, s4
	v_cmp_gt_i32_e64 s5, s17, v108
	v_cmp_gt_i32_e64 s6, s17, v109
	;; [unrolled: 1-line block ×3, first 2 shown]
	v_lshlrev_b32_e32 v89, 2, v69
	v_max3_f32 v82, v93, 0xff7fffff, v92
	v_or_b32_e32 v86, 16, v68
	v_or_b32_e32 v87, 18, v68
	v_mul_f32_e32 v78, s18, v131
	v_cndmask_b32_e64 v81, 0xff7fffff, v81, s5
	v_cndmask_b32_e64 v80, 0xff7fffff, v80, s6
	v_max3_f32 v71, v82, v71, v72
	v_cmp_gt_i32_e64 s7, s17, v84
	v_cmp_gt_i32_e64 s8, s17, v85
	v_or_b32_e32 v88, 20, v68
	v_or_b32_e32 v90, 24, v68
	v_or_b32_e32 v91, 26, v68
	v_or_b32_e32 v76, 28, v68
	v_or_b32_e32 v77, 30, v68
	v_dual_mul_f32 v95, s18, v106 :: v_dual_mul_f32 v70, s18, v101
	v_dual_mul_f32 v99, s18, v102 :: v_dual_mul_f32 v68, s18, v100
	v_cndmask_b32_e64 v72, 0xff7fffff, v79, s7
	v_cndmask_b32_e64 v78, 0xff7fffff, v78, s8
	v_max3_f32 v71, v71, v81, v80
	v_cmp_gt_i32_e64 s9, s17, v86
	v_cmp_gt_i32_e64 s10, s17, v87
	;; [unrolled: 1-line block ×3, first 2 shown]
	v_mul_f32_e32 v97, s18, v104
	v_max3_f32 v71, v71, v72, v78
	v_cndmask_b32_e64 v68, 0xff7fffff, v68, s9
	v_cndmask_b32_e64 v70, 0xff7fffff, v70, s10
	;; [unrolled: 1-line block ×4, first 2 shown]
	v_cmp_gt_i32_e64 s13, s17, v90
	v_cmp_gt_i32_e64 s15, s17, v91
	v_max3_f32 v68, v71, v68, v70
	v_cmp_gt_i32_e64 s16, s17, v76
	v_cmp_gt_i32_e64 s17, s17, v77
	v_cndmask_b32_e64 v70, 0xff7fffff, v97, s13
	v_cndmask_b32_e64 v71, 0xff7fffff, v96, s15
	v_max3_f32 v68, v68, v72, v78
	v_cndmask_b32_e64 v72, 0xff7fffff, v95, s16
	v_cndmask_b32_e64 v76, 0xff7fffff, v94, s17
	s_delay_alu instid0(VALU_DEP_3) | instskip(NEXT) | instid1(VALU_DEP_1)
	v_max3_f32 v68, v68, v70, v71
	v_max3_f32 v68, v68, v72, v76
	ds_bpermute_b32 v69, v89, v68
	s_waitcnt lgkmcnt(0)
	v_max_f32_e32 v69, v69, v69
	s_delay_alu instid0(VALU_DEP_1) | instskip(NEXT) | instid1(VALU_DEP_1)
	v_max_f32_e32 v68, v68, v69
	v_fma_f32 v69, s18, v124, -v68
	v_fma_f32 v70, s18, v125, -v68
	v_fma_f32 v72, s18, v127, -v68
	v_fma_f32 v71, s18, v126, -v68
	v_fma_f32 v76, s18, v128, -v68
	s_delay_alu instid0(VALU_DEP_4) | instskip(NEXT) | instid1(VALU_DEP_4)
	v_dual_mul_f32 v69, 0x3fb8aa3b, v69 :: v_dual_mul_f32 v70, 0x3fb8aa3b, v70
	v_mul_f32_e32 v72, 0x3fb8aa3b, v72
	v_fma_f32 v78, s18, v130, -v68
	s_delay_alu instid0(VALU_DEP_4) | instskip(NEXT) | instid1(VALU_DEP_4)
	v_mul_f32_e32 v77, 0x3fb8aa3b, v76
	v_exp_f32_e32 v69, v69
	v_exp_f32_e32 v70, v70
	v_mul_f32_e32 v71, 0x3fb8aa3b, v71
	v_exp_f32_e32 v72, v72
	v_mul_f32_e32 v78, 0x3fb8aa3b, v78
	v_exp_f32_e32 v77, v77
	v_fma_f32 v81, s18, v105, -v68
	s_delay_alu instid0(VALU_DEP_2)
	v_exp_f32_e32 v78, v78
	v_cndmask_b32_e64 v80, 0, v69, s2
	v_cndmask_b32_e32 v76, 0, v70, vcc_lo
	v_exp_f32_e32 v71, v71
	v_fma_f32 v69, s18, v129, -v68
	v_cndmask_b32_e64 v85, 0, v72, s4
	v_add_f32_e32 v70, 0, v80
	s_delay_alu instid0(TRANS32_DEP_3)
	v_cndmask_b32_e64 v86, 0, v77, s5
	v_fma_f32 v77, s18, v101, -v68
	v_mul_f32_e32 v69, 0x3fb8aa3b, v69
	v_fma_f32 v72, s18, v100, -v68
	v_cndmask_b32_e64 v84, 0, v78, s7
	v_fma_f32 v78, s18, v103, -v68
	v_cndmask_b32_e64 v83, 0, v71, s3
	v_fma_f32 v71, s18, v131, -v68
	v_add_f32_e32 v70, v70, v76
	v_exp_f32_e32 v69, v69
	v_mul_f32_e32 v77, 0x3fb8aa3b, v77
	v_mul_f32_e32 v81, 0x3fb8aa3b, v81
	;; [unrolled: 1-line block ×3, first 2 shown]
	v_add_f32_e32 v70, v70, v83
	s_mov_b32 s2, exec_lo
	v_exp_f32_e32 v77, v77
	v_exp_f32_e32 v81, v81
	;; [unrolled: 1-line block ×3, first 2 shown]
	v_cndmask_b32_e64 v87, 0, v69, s6
	v_add_f32_e32 v70, v70, v85
	s_delay_alu instid0(VALU_DEP_1) | instskip(SKIP_1) | instid1(VALU_DEP_2)
	v_dual_mul_f32 v72, 0x3fb8aa3b, v72 :: v_dual_add_f32 v69, v70, v86
	v_fma_f32 v70, s18, v102, -v68
	v_exp_f32_e32 v72, v72
	s_waitcnt_depctr 0xfff
	v_cndmask_b32_e64 v88, 0, v71, s8
	v_fma_f32 v71, s18, v104, -v68
	v_dual_add_f32 v69, v69, v87 :: v_dual_mul_f32 v70, 0x3fb8aa3b, v70
	s_delay_alu instid0(VALU_DEP_2) | instskip(NEXT) | instid1(VALU_DEP_2)
	v_dual_mul_f32 v78, 0x3fb8aa3b, v78 :: v_dual_mul_f32 v71, 0x3fb8aa3b, v71
	v_add_f32_e32 v69, v69, v84
	s_delay_alu instid0(VALU_DEP_3) | instskip(SKIP_1) | instid1(VALU_DEP_3)
	v_exp_f32_e32 v79, v70
	v_cndmask_b32_e64 v70, 0, v72, s9
	v_exp_f32_e32 v78, v78
	v_exp_f32_e32 v82, v71
	v_add_f32_e32 v72, v69, v88
	v_cndmask_b32_e64 v69, 0, v77, s10
	v_fma_f32 v77, s18, v106, -v68
	s_delay_alu instid0(VALU_DEP_3) | instskip(NEXT) | instid1(TRANS32_DEP_3)
	v_add_f32_e32 v72, v72, v70
	v_cndmask_b32_e64 v71, 0, v79, s11
	s_delay_alu instid0(VALU_DEP_3) | instskip(NEXT) | instid1(VALU_DEP_3)
	v_mul_f32_e32 v77, 0x3fb8aa3b, v77
	v_add_f32_e32 v79, v72, v69
	s_delay_alu instid0(TRANS32_DEP_2) | instskip(NEXT) | instid1(VALU_DEP_3)
	v_cndmask_b32_e64 v72, 0, v78, s12
	v_exp_f32_e32 v90, v77
	v_cndmask_b32_e64 v77, 0, v82, s13
	s_delay_alu instid0(VALU_DEP_3) | instskip(SKIP_1) | instid1(VALU_DEP_1)
	v_add_f32_e32 v78, v79, v71
	v_fma_f32 v79, s18, v107, -v68
	v_dual_add_f32 v82, v78, v72 :: v_dual_mul_f32 v79, 0x3fb8aa3b, v79
	v_cndmask_b32_e64 v78, 0, v81, s15
	s_delay_alu instid0(VALU_DEP_2) | instskip(NEXT) | instid1(VALU_DEP_3)
	v_add_f32_e32 v81, v82, v77
	v_exp_f32_e32 v82, v79
	s_delay_alu instid0(TRANS32_DEP_2) | instskip(NEXT) | instid1(VALU_DEP_2)
	v_cndmask_b32_e64 v79, 0, v90, s16
	v_add_f32_e32 v81, v81, v78
	s_delay_alu instid0(VALU_DEP_1) | instskip(SKIP_2) | instid1(VALU_DEP_1)
	v_add_f32_e32 v90, v81, v79
	s_waitcnt_depctr 0xfff
	v_cndmask_b32_e64 v81, 0, v82, s17
	v_add_f32_e32 v82, v90, v81
	ds_bpermute_b32 v89, v89, v82
	v_cmpx_gt_u32_e32 16, v67
	s_cbranch_execz .LBB1851_12
; %bb.11:
	v_mul_u32_u24_e32 v67, 0x44, v66
	s_delay_alu instid0(VALU_DEP_1) | instskip(SKIP_1) | instid1(VALU_DEP_1)
	v_lshl_add_u32 v67, v65, 2, v67
	s_waitcnt lgkmcnt(0)
	v_dual_add_f32 v82, v82, v89 :: v_dual_add_nc_u32 v67, 0x4000, v67
	ds_store_2addr_b32 v67, v68, v82 offset1:136
.LBB1851_12:
	s_or_b32 exec_lo, exec_lo, s2
	v_lshlrev_b32_e32 v67, 2, v65
	s_waitcnt lgkmcnt(0)
	s_barrier
	buffer_gl0_inv
	v_cmp_eq_u32_e32 vcc_lo, 1, v66
	v_add_nc_u32_e32 v82, 0x4000, v67
	v_cmp_eq_u32_e64 s2, 2, v66
	v_cmp_eq_u32_e64 s4, 7, v66
	ds_load_2addr_b32 v[89:90], v82 offset1:17
	ds_load_2addr_b32 v[91:92], v82 offset0:34 offset1:51
	ds_load_2addr_b32 v[93:94], v82 offset0:68 offset1:85
	;; [unrolled: 1-line block ×4, first 2 shown]
	s_waitcnt lgkmcnt(4)
	v_max3_f32 v67, v89, 0xff7fffff, v90
	s_waitcnt lgkmcnt(3)
	s_delay_alu instid0(VALU_DEP_1) | instskip(SKIP_1) | instid1(VALU_DEP_1)
	v_max3_f32 v67, v67, v91, v92
	s_waitcnt lgkmcnt(2)
	v_max3_f32 v67, v67, v93, v94
	s_waitcnt lgkmcnt(1)
	s_delay_alu instid0(VALU_DEP_1) | instskip(NEXT) | instid1(VALU_DEP_1)
	v_max3_f32 v67, v67, v95, v96
	v_sub_f32_e32 v93, v93, v67
	s_delay_alu instid0(VALU_DEP_1) | instskip(NEXT) | instid1(VALU_DEP_1)
	v_dual_sub_f32 v68, v89, v67 :: v_dual_mul_f32 v103, 0x3fb8aa3b, v93
	v_mul_f32_e32 v68, 0x3fb8aa3b, v68
	s_delay_alu instid0(VALU_DEP_1)
	v_exp_f32_e32 v100, v68
	v_sub_f32_e32 v68, v92, v67
	v_sub_f32_e32 v99, v90, v67
	ds_load_2addr_b32 v[89:90], v82 offset0:170 offset1:187
	v_dual_mul_f32 v102, 0x3fb8aa3b, v68 :: v_dual_mul_f32 v99, 0x3fb8aa3b, v99
	s_waitcnt lgkmcnt(1)
	v_fma_f32 v68, v100, v97, 0
	s_delay_alu instid0(VALU_DEP_2) | instskip(NEXT) | instid1(VALU_DEP_2)
	v_exp_f32_e32 v102, v102
	v_exp_f32_e32 v99, v99
	s_waitcnt_depctr 0xfff
	v_fmac_f32_e32 v68, v99, v98
	v_sub_f32_e32 v91, v91, v67
	s_delay_alu instid0(VALU_DEP_1)
	v_mul_f32_e32 v101, 0x3fb8aa3b, v91
	ds_load_2addr_b32 v[91:92], v82 offset0:204 offset1:221
	v_sub_f32_e32 v97, v94, v67
	ds_load_2addr_b32 v[93:94], v82 offset0:238 offset1:255
	s_waitcnt lgkmcnt(0)
	v_exp_f32_e32 v101, v101
	s_barrier
	buffer_gl0_inv
	v_dual_fmac_f32 v68, v101, v89 :: v_dual_sub_f32 v89, v96, v67
	v_dual_sub_f32 v82, v95, v67 :: v_dual_mul_f32 v95, 0x3fb8aa3b, v97
	v_exp_f32_e32 v97, v103
	s_delay_alu instid0(VALU_DEP_2) | instskip(NEXT) | instid1(VALU_DEP_2)
	v_dual_fmac_f32 v68, v102, v90 :: v_dual_mul_f32 v89, 0x3fb8aa3b, v89
	v_mul_f32_e32 v82, 0x3fb8aa3b, v82
	s_delay_alu instid0(VALU_DEP_3) | instskip(NEXT) | instid1(VALU_DEP_2)
	v_exp_f32_e32 v95, v95
	v_exp_f32_e32 v89, v89
	s_delay_alu instid0(VALU_DEP_1)
	v_exp_f32_e32 v82, v82
	v_fmac_f32_e32 v68, v97, v91
	s_delay_alu instid0(TRANS32_DEP_3) | instid1(VALU_DEP_1)
	v_fmac_f32_e32 v68, v95, v92
	s_waitcnt_depctr 0xfff
	v_fmac_f32_e32 v68, v82, v93
	s_delay_alu instid0(VALU_DEP_1) | instskip(NEXT) | instid1(VALU_DEP_1)
	v_fmac_f32_e32 v68, v89, v94
	v_add_f32_e32 v90, 0x358637bd, v68
	s_delay_alu instid0(VALU_DEP_1) | instskip(NEXT) | instid1(VALU_DEP_1)
	v_div_scale_f32 v91, null, v90, v90, 1.0
	v_rcp_f32_e32 v92, v91
	s_waitcnt_depctr 0xfff
	v_fma_f32 v93, -v91, v92, 1.0
	s_delay_alu instid0(VALU_DEP_1) | instskip(SKIP_1) | instid1(VALU_DEP_2)
	v_dual_fmac_f32 v92, v93, v92 :: v_dual_cndmask_b32 v93, v100, v99
	v_cmp_eq_u32_e32 vcc_lo, 3, v66
	v_cndmask_b32_e64 v93, v93, v101, s2
	v_cmp_eq_u32_e64 s2, 4, v66
	s_delay_alu instid0(VALU_DEP_2) | instskip(SKIP_1) | instid1(VALU_DEP_2)
	v_cndmask_b32_e32 v93, v93, v102, vcc_lo
	v_cmp_eq_u32_e32 vcc_lo, 5, v66
	v_cndmask_b32_e64 v93, v93, v97, s2
	v_cmp_eq_u32_e64 s2, 6, v66
	s_delay_alu instid0(VALU_DEP_2) | instskip(SKIP_1) | instid1(VALU_DEP_1)
	v_cndmask_b32_e32 v93, v93, v95, vcc_lo
	v_div_scale_f32 v94, s3, 1.0, v90, 1.0
	s_mov_b32 vcc_lo, s3
	s_delay_alu instid0(VALU_DEP_2) | instskip(NEXT) | instid1(VALU_DEP_2)
	v_cndmask_b32_e64 v82, v93, v82, s2
	v_mul_f32_e32 v96, v94, v92
	s_mov_b32 s2, exec_lo
	s_delay_alu instid0(VALU_DEP_2) | instskip(NEXT) | instid1(VALU_DEP_2)
	v_cndmask_b32_e64 v82, v82, v89, s4
	v_fma_f32 v98, -v91, v96, v94
	s_delay_alu instid0(VALU_DEP_1) | instskip(NEXT) | instid1(VALU_DEP_1)
	v_fmac_f32_e32 v96, v98, v92
	v_fma_f32 v91, -v91, v96, v94
	s_delay_alu instid0(VALU_DEP_1) | instskip(NEXT) | instid1(VALU_DEP_1)
	v_div_fmas_f32 v91, v91, v92, v96
	v_div_fixup_f32 v90, v91, v90, 1.0
	s_delay_alu instid0(VALU_DEP_1) | instskip(NEXT) | instid1(VALU_DEP_1)
	v_mul_f32_e32 v82, v82, v90
	v_mul_f32_e32 v87, v82, v87
	;; [unrolled: 1-line block ×7, first 2 shown]
	v_dual_mul_f32 v86, v82, v83 :: v_dual_and_b32 v91, 0x7f800000, v90
	v_mul_f32_e32 v85, v82, v76
                                        ; implicit-def: $vgpr76
	s_delay_alu instid0(VALU_DEP_2)
	v_cmpx_ne_u32_e32 0x7f800000, v91
	s_xor_b32 s2, exec_lo, s2
; %bb.13:
	v_bfe_u32 v76, v90, 16, 1
	s_delay_alu instid0(VALU_DEP_1)
	v_add3_u32 v76, v90, v76, 0x7fff
                                        ; implicit-def: $vgpr90
; %bb.14:
	s_and_not1_saveexec_b32 s2, s2
; %bb.15:
	v_and_b32_e32 v76, 0xffff, v90
	v_or_b32_e32 v83, 0x10000, v90
	s_delay_alu instid0(VALU_DEP_2) | instskip(NEXT) | instid1(VALU_DEP_2)
	v_cmp_eq_u32_e32 vcc_lo, 0, v76
	v_cndmask_b32_e32 v76, v83, v90, vcc_lo
; %bb.16:
	s_or_b32 exec_lo, exec_lo, s2
	v_and_b32_e32 v83, 0x7f800000, v85
	s_delay_alu instid0(VALU_DEP_1) | instskip(SKIP_1) | instid1(SALU_CYCLE_1)
	v_cmp_ne_u32_e32 vcc_lo, 0x7f800000, v83
                                        ; implicit-def: $vgpr83
	s_and_saveexec_b32 s2, vcc_lo
	s_xor_b32 s2, exec_lo, s2
; %bb.17:
	v_bfe_u32 v83, v85, 16, 1
	s_delay_alu instid0(VALU_DEP_1)
	v_add3_u32 v83, v85, v83, 0x7fff
                                        ; implicit-def: $vgpr85
; %bb.18:
	s_and_not1_saveexec_b32 s2, s2
; %bb.19:
	v_and_b32_e32 v83, 0xffff, v85
	v_or_b32_e32 v90, 0x10000, v85
	s_delay_alu instid0(VALU_DEP_2) | instskip(NEXT) | instid1(VALU_DEP_2)
	v_cmp_eq_u32_e32 vcc_lo, 0, v83
	v_cndmask_b32_e32 v83, v90, v85, vcc_lo
; %bb.20:
	s_or_b32 exec_lo, exec_lo, s2
	v_and_b32_e32 v85, 0x7f800000, v86
	s_delay_alu instid0(VALU_DEP_1) | instskip(SKIP_1) | instid1(SALU_CYCLE_1)
	v_cmp_ne_u32_e32 vcc_lo, 0x7f800000, v85
                                        ; implicit-def: $vgpr85
	s_and_saveexec_b32 s2, vcc_lo
	s_xor_b32 s2, exec_lo, s2
; %bb.21:
	v_bfe_u32 v85, v86, 16, 1
	s_delay_alu instid0(VALU_DEP_1)
	v_add3_u32 v85, v86, v85, 0x7fff
                                        ; implicit-def: $vgpr86
; %bb.22:
	s_and_not1_saveexec_b32 s2, s2
; %bb.23:
	v_and_b32_e32 v85, 0xffff, v86
	v_or_b32_e32 v90, 0x10000, v86
	s_delay_alu instid0(VALU_DEP_2) | instskip(NEXT) | instid1(VALU_DEP_2)
	v_cmp_eq_u32_e32 vcc_lo, 0, v85
	v_cndmask_b32_e32 v85, v90, v86, vcc_lo
; %bb.24:
	s_or_b32 exec_lo, exec_lo, s2
	v_and_b32_e32 v86, 0x7f800000, v89
	s_delay_alu instid0(VALU_DEP_1) | instskip(SKIP_1) | instid1(SALU_CYCLE_1)
	v_cmp_ne_u32_e32 vcc_lo, 0x7f800000, v86
                                        ; implicit-def: $vgpr86
	s_and_saveexec_b32 s2, vcc_lo
	s_xor_b32 s2, exec_lo, s2
; %bb.25:
	v_bfe_u32 v86, v89, 16, 1
	s_delay_alu instid0(VALU_DEP_1)
	v_add3_u32 v86, v89, v86, 0x7fff
                                        ; implicit-def: $vgpr89
; %bb.26:
	s_and_not1_saveexec_b32 s2, s2
; %bb.27:
	v_and_b32_e32 v86, 0xffff, v89
	v_or_b32_e32 v90, 0x10000, v89
	s_delay_alu instid0(VALU_DEP_2) | instskip(NEXT) | instid1(VALU_DEP_2)
	v_cmp_eq_u32_e32 vcc_lo, 0, v86
	v_cndmask_b32_e32 v86, v90, v89, vcc_lo
; %bb.28:
	s_or_b32 exec_lo, exec_lo, s2
	v_and_b32_e32 v89, 0x7f800000, v88
	s_delay_alu instid0(VALU_DEP_1) | instskip(SKIP_1) | instid1(SALU_CYCLE_1)
	v_cmp_ne_u32_e32 vcc_lo, 0x7f800000, v89
                                        ; implicit-def: $vgpr89
	s_and_saveexec_b32 s2, vcc_lo
	s_xor_b32 s2, exec_lo, s2
; %bb.29:
	v_bfe_u32 v89, v88, 16, 1
	s_delay_alu instid0(VALU_DEP_1)
	v_add3_u32 v89, v88, v89, 0x7fff
                                        ; implicit-def: $vgpr88
; %bb.30:
	s_and_not1_saveexec_b32 s2, s2
; %bb.31:
	v_and_b32_e32 v89, 0xffff, v88
	v_or_b32_e32 v90, 0x10000, v88
	s_delay_alu instid0(VALU_DEP_2) | instskip(NEXT) | instid1(VALU_DEP_2)
	v_cmp_eq_u32_e32 vcc_lo, 0, v89
	v_cndmask_b32_e32 v89, v90, v88, vcc_lo
; %bb.32:
	s_or_b32 exec_lo, exec_lo, s2
	v_and_b32_e32 v88, 0x7f800000, v87
	s_delay_alu instid0(VALU_DEP_1) | instskip(SKIP_1) | instid1(SALU_CYCLE_1)
	v_cmp_ne_u32_e32 vcc_lo, 0x7f800000, v88
                                        ; implicit-def: $vgpr88
	s_and_saveexec_b32 s2, vcc_lo
	s_xor_b32 s2, exec_lo, s2
; %bb.33:
	v_bfe_u32 v88, v87, 16, 1
	s_delay_alu instid0(VALU_DEP_1)
	v_add3_u32 v88, v87, v88, 0x7fff
                                        ; implicit-def: $vgpr87
; %bb.34:
	s_and_not1_saveexec_b32 s2, s2
; %bb.35:
	v_and_b32_e32 v88, 0xffff, v87
	v_or_b32_e32 v90, 0x10000, v87
	s_delay_alu instid0(VALU_DEP_2) | instskip(NEXT) | instid1(VALU_DEP_2)
	v_cmp_eq_u32_e32 vcc_lo, 0, v88
	v_cndmask_b32_e32 v88, v90, v87, vcc_lo
; %bb.36:
	s_or_b32 exec_lo, exec_lo, s2
	v_and_b32_e32 v87, 0x7f800000, v84
	s_delay_alu instid0(VALU_DEP_1) | instskip(SKIP_1) | instid1(SALU_CYCLE_1)
	v_cmp_ne_u32_e32 vcc_lo, 0x7f800000, v87
                                        ; implicit-def: $vgpr87
	s_and_saveexec_b32 s2, vcc_lo
	s_xor_b32 s2, exec_lo, s2
; %bb.37:
	v_bfe_u32 v87, v84, 16, 1
	s_delay_alu instid0(VALU_DEP_1)
	v_add3_u32 v87, v84, v87, 0x7fff
                                        ; implicit-def: $vgpr84
; %bb.38:
	s_and_not1_saveexec_b32 s2, s2
; %bb.39:
	v_and_b32_e32 v87, 0xffff, v84
	v_or_b32_e32 v90, 0x10000, v84
	s_delay_alu instid0(VALU_DEP_2) | instskip(NEXT) | instid1(VALU_DEP_2)
	v_cmp_eq_u32_e32 vcc_lo, 0, v87
	v_cndmask_b32_e32 v87, v90, v84, vcc_lo
; %bb.40:
	s_or_b32 exec_lo, exec_lo, s2
	v_and_b32_e32 v84, 0x7f800000, v80
	s_delay_alu instid0(VALU_DEP_1) | instskip(SKIP_1) | instid1(SALU_CYCLE_1)
	v_cmp_ne_u32_e32 vcc_lo, 0x7f800000, v84
                                        ; implicit-def: $vgpr84
	s_and_saveexec_b32 s2, vcc_lo
	s_xor_b32 s2, exec_lo, s2
; %bb.41:
	v_bfe_u32 v84, v80, 16, 1
	s_delay_alu instid0(VALU_DEP_1)
	v_add3_u32 v84, v80, v84, 0x7fff
                                        ; implicit-def: $vgpr80
; %bb.42:
	s_and_not1_saveexec_b32 s2, s2
; %bb.43:
	v_and_b32_e32 v84, 0xffff, v80
	v_or_b32_e32 v90, 0x10000, v80
	s_delay_alu instid0(VALU_DEP_2) | instskip(NEXT) | instid1(VALU_DEP_2)
	v_cmp_eq_u32_e32 vcc_lo, 0, v84
	v_cndmask_b32_e32 v84, v90, v80, vcc_lo
; %bb.44:
	s_or_b32 exec_lo, exec_lo, s2
	s_load_b64 s[34:35], s[0:1], 0x94
	v_lshlrev_b32_e32 v91, 4, v74
	s_delay_alu instid0(VALU_DEP_2)
	v_perm_b32 v90, v84, v87, 0x7060302
	v_dual_mul_f32 v79, v82, v79 :: v_dual_lshlrev_b32 v80, 6, v65
	v_dual_mul_f32 v77, v82, v77 :: v_dual_lshlrev_b32 v92, 11, v66
	v_mul_f32_e32 v84, v82, v70
	v_perm_b32 v89, v88, v89, 0x7060302
	v_perm_b32 v88, v86, v85, 0x7060302
	;; [unrolled: 1-line block ×3, first 2 shown]
	v_mul_f32_e32 v70, v82, v81
	v_or3_b32 v76, v91, v92, v80
	v_dual_mul_f32 v78, v82, v78 :: v_dual_and_b32 v85, 0x7f800000, v84
	v_mul_f32_e32 v83, v82, v72
	v_mul_f32_e32 v81, v82, v71
	;; [unrolled: 1-line block ×3, first 2 shown]
	s_mov_b32 s2, exec_lo
	ds_store_b128 v76, v[87:90]
                                        ; implicit-def: $vgpr69
	v_cmpx_ne_u32_e32 0x7f800000, v85
	s_xor_b32 s2, exec_lo, s2
; %bb.45:
	v_bfe_u32 v69, v84, 16, 1
	s_delay_alu instid0(VALU_DEP_1)
	v_add3_u32 v69, v84, v69, 0x7fff
                                        ; implicit-def: $vgpr84
; %bb.46:
	s_and_not1_saveexec_b32 s2, s2
; %bb.47:
	v_and_b32_e32 v69, 0xffff, v84
	v_or_b32_e32 v71, 0x10000, v84
	s_delay_alu instid0(VALU_DEP_2) | instskip(NEXT) | instid1(VALU_DEP_2)
	v_cmp_eq_u32_e32 vcc_lo, 0, v69
	v_cndmask_b32_e32 v69, v71, v84, vcc_lo
; %bb.48:
	s_or_b32 exec_lo, exec_lo, s2
	v_and_b32_e32 v71, 0x7f800000, v72
	s_delay_alu instid0(VALU_DEP_1) | instskip(SKIP_1) | instid1(SALU_CYCLE_1)
	v_cmp_ne_u32_e32 vcc_lo, 0x7f800000, v71
                                        ; implicit-def: $vgpr71
	s_and_saveexec_b32 s2, vcc_lo
	s_xor_b32 s2, exec_lo, s2
; %bb.49:
	v_bfe_u32 v71, v72, 16, 1
	s_delay_alu instid0(VALU_DEP_1)
	v_add3_u32 v71, v72, v71, 0x7fff
                                        ; implicit-def: $vgpr72
; %bb.50:
	s_and_not1_saveexec_b32 s2, s2
; %bb.51:
	v_and_b32_e32 v71, 0xffff, v72
	v_or_b32_e32 v82, 0x10000, v72
	s_delay_alu instid0(VALU_DEP_2) | instskip(NEXT) | instid1(VALU_DEP_2)
	v_cmp_eq_u32_e32 vcc_lo, 0, v71
	v_cndmask_b32_e32 v71, v82, v72, vcc_lo
; %bb.52:
	s_or_b32 exec_lo, exec_lo, s2
	v_and_b32_e32 v72, 0x7f800000, v81
	s_delay_alu instid0(VALU_DEP_1) | instskip(SKIP_1) | instid1(SALU_CYCLE_1)
	v_cmp_ne_u32_e32 vcc_lo, 0x7f800000, v72
                                        ; implicit-def: $vgpr72
	s_and_saveexec_b32 s2, vcc_lo
	s_xor_b32 s2, exec_lo, s2
; %bb.53:
	v_bfe_u32 v72, v81, 16, 1
	s_delay_alu instid0(VALU_DEP_1)
	v_add3_u32 v72, v81, v72, 0x7fff
                                        ; implicit-def: $vgpr81
; %bb.54:
	s_and_not1_saveexec_b32 s2, s2
; %bb.55:
	v_and_b32_e32 v72, 0xffff, v81
	v_or_b32_e32 v82, 0x10000, v81
	s_delay_alu instid0(VALU_DEP_2) | instskip(NEXT) | instid1(VALU_DEP_2)
	v_cmp_eq_u32_e32 vcc_lo, 0, v72
	v_cndmask_b32_e32 v72, v82, v81, vcc_lo
; %bb.56:
	s_or_b32 exec_lo, exec_lo, s2
	v_and_b32_e32 v81, 0x7f800000, v83
	s_delay_alu instid0(VALU_DEP_1) | instskip(SKIP_1) | instid1(SALU_CYCLE_1)
	v_cmp_ne_u32_e32 vcc_lo, 0x7f800000, v81
                                        ; implicit-def: $vgpr81
	s_and_saveexec_b32 s2, vcc_lo
	s_xor_b32 s2, exec_lo, s2
; %bb.57:
	v_bfe_u32 v81, v83, 16, 1
	s_delay_alu instid0(VALU_DEP_1)
	v_add3_u32 v81, v83, v81, 0x7fff
                                        ; implicit-def: $vgpr83
; %bb.58:
	s_and_not1_saveexec_b32 s2, s2
; %bb.59:
	v_and_b32_e32 v81, 0xffff, v83
	v_or_b32_e32 v82, 0x10000, v83
	s_delay_alu instid0(VALU_DEP_2) | instskip(NEXT) | instid1(VALU_DEP_2)
	v_cmp_eq_u32_e32 vcc_lo, 0, v81
	v_cndmask_b32_e32 v81, v82, v83, vcc_lo
; %bb.60:
	s_or_b32 exec_lo, exec_lo, s2
	v_and_b32_e32 v82, 0x7f800000, v77
	s_delay_alu instid0(VALU_DEP_1) | instskip(SKIP_1) | instid1(SALU_CYCLE_1)
	v_cmp_ne_u32_e32 vcc_lo, 0x7f800000, v82
                                        ; implicit-def: $vgpr82
	s_and_saveexec_b32 s2, vcc_lo
	s_xor_b32 s2, exec_lo, s2
; %bb.61:
	v_bfe_u32 v82, v77, 16, 1
	s_delay_alu instid0(VALU_DEP_1)
	v_add3_u32 v82, v77, v82, 0x7fff
                                        ; implicit-def: $vgpr77
; %bb.62:
	s_and_not1_saveexec_b32 s2, s2
; %bb.63:
	v_and_b32_e32 v82, 0xffff, v77
	v_or_b32_e32 v83, 0x10000, v77
	s_delay_alu instid0(VALU_DEP_2) | instskip(NEXT) | instid1(VALU_DEP_2)
	v_cmp_eq_u32_e32 vcc_lo, 0, v82
	v_cndmask_b32_e32 v82, v83, v77, vcc_lo
; %bb.64:
	s_or_b32 exec_lo, exec_lo, s2
	v_and_b32_e32 v77, 0x7f800000, v78
	s_delay_alu instid0(VALU_DEP_1) | instskip(SKIP_1) | instid1(SALU_CYCLE_1)
	v_cmp_ne_u32_e32 vcc_lo, 0x7f800000, v77
                                        ; implicit-def: $vgpr77
	s_and_saveexec_b32 s2, vcc_lo
	s_xor_b32 s2, exec_lo, s2
; %bb.65:
	v_bfe_u32 v77, v78, 16, 1
	s_delay_alu instid0(VALU_DEP_1)
	v_add3_u32 v77, v78, v77, 0x7fff
                                        ; implicit-def: $vgpr78
; %bb.66:
	s_and_not1_saveexec_b32 s2, s2
; %bb.67:
	v_and_b32_e32 v77, 0xffff, v78
	v_or_b32_e32 v83, 0x10000, v78
	s_delay_alu instid0(VALU_DEP_2) | instskip(NEXT) | instid1(VALU_DEP_2)
	v_cmp_eq_u32_e32 vcc_lo, 0, v77
	v_cndmask_b32_e32 v77, v83, v78, vcc_lo
; %bb.68:
	s_or_b32 exec_lo, exec_lo, s2
	v_and_b32_e32 v78, 0x7f800000, v79
	s_delay_alu instid0(VALU_DEP_1) | instskip(SKIP_1) | instid1(SALU_CYCLE_1)
	v_cmp_ne_u32_e32 vcc_lo, 0x7f800000, v78
                                        ; implicit-def: $vgpr78
	s_and_saveexec_b32 s2, vcc_lo
	s_xor_b32 s2, exec_lo, s2
; %bb.69:
	v_bfe_u32 v78, v79, 16, 1
	s_delay_alu instid0(VALU_DEP_1)
	v_add3_u32 v78, v79, v78, 0x7fff
                                        ; implicit-def: $vgpr79
; %bb.70:
	s_and_not1_saveexec_b32 s2, s2
; %bb.71:
	v_and_b32_e32 v78, 0xffff, v79
	v_or_b32_e32 v83, 0x10000, v79
	s_delay_alu instid0(VALU_DEP_2) | instskip(NEXT) | instid1(VALU_DEP_2)
	v_cmp_eq_u32_e32 vcc_lo, 0, v78
	v_cndmask_b32_e32 v78, v83, v79, vcc_lo
; %bb.72:
	s_or_b32 exec_lo, exec_lo, s2
	v_and_b32_e32 v79, 0x7f800000, v70
	s_delay_alu instid0(VALU_DEP_1) | instskip(SKIP_1) | instid1(SALU_CYCLE_1)
	v_cmp_ne_u32_e32 vcc_lo, 0x7f800000, v79
                                        ; implicit-def: $vgpr79
	s_and_saveexec_b32 s2, vcc_lo
	s_xor_b32 s2, exec_lo, s2
; %bb.73:
	v_bfe_u32 v79, v70, 16, 1
	s_delay_alu instid0(VALU_DEP_1)
	v_add3_u32 v79, v70, v79, 0x7fff
                                        ; implicit-def: $vgpr70
; %bb.74:
	s_and_not1_saveexec_b32 s2, s2
; %bb.75:
	v_and_b32_e32 v79, 0xffff, v70
	v_or_b32_e32 v83, 0x10000, v70
	s_delay_alu instid0(VALU_DEP_2) | instskip(NEXT) | instid1(VALU_DEP_2)
	v_cmp_eq_u32_e32 vcc_lo, 0, v79
	v_cndmask_b32_e32 v79, v83, v70, vcc_lo
; %bb.76:
	s_or_b32 exec_lo, exec_lo, s2
	s_delay_alu instid0(VALU_DEP_1)
	v_perm_b32 v86, v79, v78, 0x7060302
	v_perm_b32 v85, v77, v82, 0x7060302
	;; [unrolled: 1-line block ×4, first 2 shown]
	v_lshl_or_b32 v82, v66, 11, v80
	ds_store_b128 v76, v[83:86] offset:1024
	s_waitcnt lgkmcnt(0)
	s_barrier
	buffer_gl0_inv
	ds_load_b128 v[69:72], v82
	ds_load_b128 v[83:86], v82 offset:16
	s_waitcnt lgkmcnt(1)
	v_lshrrev_b32_e32 v66, 16, v69
	s_waitcnt lgkmcnt(0)
	v_lshrrev_b32_e32 v91, 16, v83
	v_lshlrev_b32_e32 v78, 2, v74
	v_lshrrev_b32_e32 v95, 16, v70
	v_lshrrev_b32_e32 v98, 16, v84
	;; [unrolled: 1-line block ×4, first 2 shown]
	v_cmp_eq_u32_e32 vcc_lo, 1, v78
	v_lshrrev_b32_e32 v97, 16, v72
	v_lshrrev_b32_e32 v100, 16, v86
	v_cndmask_b32_e32 v87, v83, v91, vcc_lo
	v_or_b32_e32 v79, 1, v78
	v_cndmask_b32_e32 v81, v69, v66, vcc_lo
	v_cmp_eq_u32_e64 s3, 2, v78
	v_cmp_eq_u32_e64 s6, 3, v78
	;; [unrolled: 1-line block ×5, first 2 shown]
	v_cndmask_b32_e64 v81, v81, v70, s3
	v_cndmask_b32_e64 v87, v87, v84, s3
	v_cmp_eq_u32_e64 s7, 3, v79
	v_cndmask_b32_e64 v88, v69, v66, s2
	v_or_b32_e32 v77, 2, v78
	v_cndmask_b32_e64 v81, v81, v95, s6
	v_cndmask_b32_e64 v87, v87, v98, s6
	;; [unrolled: 1-line block ×4, first 2 shown]
	v_cmp_eq_u32_e64 s9, 5, v78
	v_cndmask_b32_e64 v81, v81, v71, s8
	v_cndmask_b32_e64 v87, v87, v85, s8
	v_cmp_eq_u32_e64 s10, 4, v79
	v_cndmask_b32_e64 v88, v88, v95, s7
	v_cmp_eq_u32_e64 s4, 1, v77
	v_cndmask_b32_e64 v89, v89, v84, s5
	v_cndmask_b32_e64 v81, v81, v96, s9
	v_cmp_eq_u32_e64 s11, 6, v78
	v_cndmask_b32_e64 v88, v88, v71, s10
	;; [unrolled: 3-line block ×3, first 2 shown]
	v_cndmask_b32_e64 v89, v89, v98, s7
	v_cndmask_b32_e64 v81, v81, v72, s11
	v_cmp_eq_u32_e64 s13, 7, v78
	v_cndmask_b32_e64 v88, v88, v96, s12
	v_cndmask_b32_e64 v87, v87, v86, s11
	v_cmp_eq_u32_e64 s15, 6, v79
	v_cmp_eq_u32_e64 s16, 2, v77
	v_cndmask_b32_e64 v89, v89, v85, s10
	v_cndmask_b32_e64 v101, v81, v97, s13
	;; [unrolled: 1-line block ×6, first 2 shown]
	v_cmp_eq_u32_e64 s17, 7, v79
	v_cmp_eq_u32_e64 s18, 3, v77
	;; [unrolled: 1-line block ×4, first 2 shown]
	v_cndmask_b32_e64 v87, v87, v84, s16
	v_cndmask_b32_e64 v103, v88, v97, s17
	;; [unrolled: 1-line block ×4, first 2 shown]
	v_or_b32_e32 v81, 3, v78
	v_cndmask_b32_e64 v93, v87, v98, s18
	v_cmp_eq_u32_e64 s23, 6, v77
	v_cndmask_b32_e64 v104, v88, v86, s15
	v_cndmask_b32_e64 v92, v89, v71, s19
	v_cmp_eq_u32_e64 s20, 1, v81
	ds_load_b128 v[87:90], v82 offset:1024
	v_cmp_eq_u32_e64 s22, 2, v81
	v_cmp_eq_u32_e64 s24, 3, v81
	v_cndmask_b32_e64 v105, v92, v96, s21
	v_cndmask_b32_e64 v66, v69, v66, s20
	;; [unrolled: 1-line block ×4, first 2 shown]
	ds_load_b128 v[91:94], v82 offset:1040
	v_cmp_eq_u32_e64 s25, 4, v81
	v_cndmask_b32_e64 v66, v66, v70, s22
	v_cmp_eq_u32_e64 s26, 7, v77
	v_cndmask_b32_e64 v70, v83, v84, s22
	v_cndmask_b32_e64 v84, v105, v72, s23
	v_cmp_eq_u32_e64 s27, 5, v81
	v_cndmask_b32_e64 v66, v66, v95, s24
	v_cmp_eq_u32_e64 s28, 6, v81
	v_cndmask_b32_e64 v70, v70, v98, s24
	v_cndmask_b32_e64 v69, v69, v99, s21
	;; [unrolled: 1-line block ×4, first 2 shown]
	s_waitcnt lgkmcnt(1)
	v_lshrrev_b32_e32 v95, 16, v87
	v_cndmask_b32_e64 v70, v70, v85, s25
	v_cndmask_b32_e64 v71, v84, v97, s26
	;; [unrolled: 1-line block ×4, first 2 shown]
	v_cndmask_b32_e32 v84, v87, v95, vcc_lo
	v_cndmask_b32_e64 v70, v70, v99, s27
	s_waitcnt lgkmcnt(0)
	v_lshrrev_b32_e32 v85, 16, v91
	v_lshrrev_b32_e32 v96, 16, v88
	v_cndmask_b32_e64 v98, v87, v95, s2
	v_cndmask_b32_e64 v84, v84, v88, s3
	;; [unrolled: 1-line block ×3, first 2 shown]
	v_cndmask_b32_e32 v99, v91, v85, vcc_lo
	v_cmp_eq_u32_e32 vcc_lo, 7, v81
	v_cndmask_b32_e64 v66, v66, v72, s28
	v_cndmask_b32_e64 v72, v84, v96, s6
	;; [unrolled: 1-line block ×3, first 2 shown]
	v_lshrrev_b32_e32 v98, 16, v92
	v_cndmask_b32_e32 v70, v70, v100, vcc_lo
	v_cndmask_b32_e64 v86, v99, v92, s3
	v_cndmask_b32_e64 v69, v69, v100, s26
	v_lshrrev_b32_e32 v100, 16, v93
	v_cndmask_b32_e64 v72, v72, v89, s8
	v_lshrrev_b32_e32 v99, 16, v89
	v_cndmask_b32_e64 v86, v86, v98, s6
	v_perm_b32 v71, v69, v71, 0x5040100
	v_cndmask_b32_e64 v84, v84, v96, s7
	s_delay_alu instid0(VALU_DEP_3) | instskip(NEXT) | instid1(VALU_DEP_2)
	v_cndmask_b32_e64 v86, v86, v93, s8
	v_cndmask_b32_e64 v84, v84, v89, s10
	s_delay_alu instid0(VALU_DEP_2) | instskip(NEXT) | instid1(VALU_DEP_1)
	v_cndmask_b32_e64 v86, v86, v100, s9
	v_cndmask_b32_e64 v69, v86, v94, s11
	;; [unrolled: 1-line block ×5, first 2 shown]
	s_delay_alu instid0(VALU_DEP_3) | instskip(NEXT) | instid1(VALU_DEP_3)
	v_cndmask_b32_e64 v86, v86, v88, s16
	v_cndmask_b32_e64 v87, v87, v88, s22
	s_delay_alu instid0(VALU_DEP_3) | instskip(NEXT) | instid1(VALU_DEP_3)
	v_cndmask_b32_e64 v88, v95, v92, s22
	v_cndmask_b32_e64 v86, v86, v96, s18
	;; [unrolled: 3-line block ×7, first 2 shown]
	s_delay_alu instid0(VALU_DEP_3) | instskip(SKIP_2) | instid1(VALU_DEP_2)
	v_cndmask_b32_e64 v88, v88, v94, s28
	v_cndmask_b32_e32 v66, v66, v97, vcc_lo
	v_cndmask_b32_e64 v97, v72, v99, s9
	v_perm_b32 v72, v70, v66, 0x5040100
	v_perm_b32 v70, v83, v103, 0x5040100
	v_cndmask_b32_e64 v103, v91, v85, s4
	v_cndmask_b32_e64 v85, v91, v85, s2
	;; [unrolled: 1-line block ×4, first 2 shown]
	v_lshrrev_b32_e32 v97, 16, v90
	v_cndmask_b32_e64 v91, v103, v92, s16
	v_cndmask_b32_e64 v85, v85, v92, s5
	;; [unrolled: 1-line block ×3, first 2 shown]
	s_mov_b32 s2, exec_lo
	v_cndmask_b32_e64 v83, v84, v97, s13
	v_cndmask_b32_e64 v91, v91, v98, s18
	;; [unrolled: 1-line block ×3, first 2 shown]
	v_lshrrev_b32_e32 v84, 16, v94
	v_cndmask_b32_e64 v66, v66, v97, s17
	v_cndmask_b32_e64 v90, v86, v97, s26
	v_cndmask_b32_e64 v89, v91, v93, s19
	v_cndmask_b32_e64 v85, v85, v93, s10
	v_dual_cndmask_b32 v86, v87, v97 :: v_dual_cndmask_b32 v87, v88, v84
	v_cndmask_b32_e64 v91, v69, v84, s13
	s_delay_alu instid0(VALU_DEP_4) | instskip(NEXT) | instid1(VALU_DEP_4)
	v_cndmask_b32_e64 v89, v89, v100, s21
	v_cndmask_b32_e64 v85, v85, v100, s12
	v_perm_b32 v69, v102, v101, 0x5040100
	v_perm_b32 v86, v87, v86, 0x5040100
	;; [unrolled: 1-line block ×3, first 2 shown]
	v_cndmask_b32_e64 v89, v89, v94, s23
	v_cndmask_b32_e64 v85, v85, v94, s15
	s_mul_i32 s7, s35, 14
	s_delay_alu instid0(VALU_DEP_2) | instskip(NEXT) | instid1(VALU_DEP_2)
	v_cndmask_b32_e64 v88, v89, v84, s26
	v_cndmask_b32_e64 v89, v85, v84, s17
	s_delay_alu instid0(VALU_DEP_2) | instskip(NEXT) | instid1(VALU_DEP_2)
	v_perm_b32 v85, v88, v90, 0x5040100
	v_perm_b32 v84, v89, v66, 0x5040100
	ds_store_b128 v76, v[69:72]
	ds_store_b128 v76, v[83:86] offset:1024
	v_cmpx_gt_u32_e32 14, v0
	s_cbranch_execz .LBB1851_78
; %bb.77:
	s_mul_i32 s3, s7, s30
	s_load_b128 s[8:11], s[0:1], 0x58
	v_add3_u32 v69, s3, s29, v65
	s_delay_alu instid0(VALU_DEP_1) | instskip(NEXT) | instid1(VALU_DEP_1)
	v_mad_u64_u32 v[65:66], null, v69, s34, s[14:15]
	v_ashrrev_i32_e32 v66, 31, v65
	s_delay_alu instid0(VALU_DEP_1) | instskip(SKIP_1) | instid1(VALU_DEP_1)
	v_lshlrev_b64 v[65:66], 2, v[65:66]
	s_waitcnt lgkmcnt(0)
	v_add_co_u32 v69, vcc_lo, s10, v65
	s_delay_alu instid0(VALU_DEP_2)
	v_add_co_ci_u32_e32 v70, vcc_lo, s11, v66, vcc_lo
	v_add_co_u32 v65, vcc_lo, s8, v65
	v_add_co_ci_u32_e32 v66, vcc_lo, s9, v66, vcc_lo
	global_store_b32 v[69:70], v67, off
	global_store_b32 v[65:66], v68, off
.LBB1851_78:
	s_or_b32 exec_lo, exec_lo, s2
	s_waitcnt lgkmcnt(0)
	s_waitcnt_vscnt null, 0x0
	s_barrier
	buffer_gl0_inv
	ds_load_b128 v[83:86], v80
	ds_load_b128 v[87:90], v80 offset:16
	ds_load_b128 v[95:98], v80 offset:2064
	;; [unrolled: 1-line block ×3, first 2 shown]
	v_mov_b32_e32 v65, 0
	ds_load_b128 v[103:106], v80 offset:4112
	ds_load_b128 v[99:102], v80 offset:4096
	;; [unrolled: 1-line block ×4, first 2 shown]
	v_mov_b32_e32 v66, v65
	v_mov_b32_e32 v67, v65
	v_mov_b32_e32 v68, v65
	v_mov_b32_e32 v69, v65
	v_mov_b32_e32 v70, v65
	v_mov_b32_e32 v71, v65
	v_mov_b32_e32 v72, v65
	s_waitcnt lgkmcnt(6)
	s_delay_alu instid0(VALU_DEP_1)
	v_wmma_f32_16x16x16_bf16 v[65:72], v[49:56], v[83:90], v[65:72]
	ds_load_b128 v[53:56], v80 offset:8208
	ds_load_b128 v[49:52], v80 offset:8192
	s_waitcnt lgkmcnt(6)
	v_wmma_f32_16x16x16_bf16 v[65:72], v[41:48], v[91:98], v[65:72]
	ds_load_b128 v[45:48], v80 offset:10256
	ds_load_b128 v[41:44], v80 offset:10240
	s_waitcnt lgkmcnt(6)
	;; [unrolled: 4-line block ×4, first 2 shown]
	v_wmma_f32_16x16x16_bf16 v[65:72], v[1:8], v[49:56], v[65:72]
	s_waitcnt lgkmcnt(4)
	s_delay_alu instid0(VALU_DEP_1) | instskip(SKIP_1) | instid1(VALU_DEP_1)
	v_wmma_f32_16x16x16_bf16 v[65:72], v[9:16], v[41:48], v[65:72]
	s_waitcnt lgkmcnt(2)
	v_wmma_f32_16x16x16_bf16 v[65:72], v[17:24], v[33:40], v[65:72]
	s_waitcnt lgkmcnt(0)
	s_delay_alu instid0(VALU_DEP_1) | instskip(NEXT) | instid1(VALU_DEP_1)
	v_wmma_f32_16x16x16_bf16 v[65:72], v[57:64], v[25:32], v[65:72]
	v_and_b32_e32 v1, 0x7f800000, v65
	s_delay_alu instid0(VALU_DEP_1) | instskip(SKIP_1) | instid1(SALU_CYCLE_1)
	v_cmp_ne_u32_e32 vcc_lo, 0x7f800000, v1
                                        ; implicit-def: $vgpr1
	s_and_saveexec_b32 s2, vcc_lo
	s_xor_b32 s2, exec_lo, s2
; %bb.79:
	v_bfe_u32 v1, v65, 16, 1
	s_delay_alu instid0(VALU_DEP_1)
	v_add3_u32 v1, v65, v1, 0x7fff
; %bb.80:
	s_and_not1_saveexec_b32 s2, s2
; %bb.81:
	v_and_b32_e32 v1, 0xffff, v65
	v_or_b32_e32 v2, 0x10000, v65
	s_delay_alu instid0(VALU_DEP_2) | instskip(NEXT) | instid1(VALU_DEP_2)
	v_cmp_eq_u32_e32 vcc_lo, 0, v1
	v_cndmask_b32_e32 v1, v2, v65, vcc_lo
; %bb.82:
	s_or_b32 exec_lo, exec_lo, s2
	v_and_b32_e32 v2, 0x7f800000, v66
	s_delay_alu instid0(VALU_DEP_1) | instskip(SKIP_1) | instid1(SALU_CYCLE_1)
	v_cmp_ne_u32_e32 vcc_lo, 0x7f800000, v2
                                        ; implicit-def: $vgpr2
	s_and_saveexec_b32 s2, vcc_lo
	s_xor_b32 s2, exec_lo, s2
; %bb.83:
	v_bfe_u32 v2, v66, 16, 1
	s_delay_alu instid0(VALU_DEP_1)
	v_add3_u32 v2, v66, v2, 0x7fff
; %bb.84:
	s_and_not1_saveexec_b32 s2, s2
; %bb.85:
	v_and_b32_e32 v2, 0xffff, v66
	v_or_b32_e32 v3, 0x10000, v66
	s_delay_alu instid0(VALU_DEP_2) | instskip(NEXT) | instid1(VALU_DEP_2)
	v_cmp_eq_u32_e32 vcc_lo, 0, v2
	v_cndmask_b32_e32 v2, v3, v66, vcc_lo
; %bb.86:
	s_or_b32 exec_lo, exec_lo, s2
	v_and_b32_e32 v3, 0x7f800000, v67
	s_delay_alu instid0(VALU_DEP_1) | instskip(SKIP_1) | instid1(SALU_CYCLE_1)
	v_cmp_ne_u32_e32 vcc_lo, 0x7f800000, v3
                                        ; implicit-def: $vgpr3
	s_and_saveexec_b32 s2, vcc_lo
	s_xor_b32 s2, exec_lo, s2
; %bb.87:
	v_bfe_u32 v3, v67, 16, 1
	s_delay_alu instid0(VALU_DEP_1)
	v_add3_u32 v3, v67, v3, 0x7fff
; %bb.88:
	s_and_not1_saveexec_b32 s2, s2
; %bb.89:
	v_and_b32_e32 v3, 0xffff, v67
	v_or_b32_e32 v4, 0x10000, v67
	s_delay_alu instid0(VALU_DEP_2) | instskip(NEXT) | instid1(VALU_DEP_2)
	v_cmp_eq_u32_e32 vcc_lo, 0, v3
	v_cndmask_b32_e32 v3, v4, v67, vcc_lo
; %bb.90:
	s_or_b32 exec_lo, exec_lo, s2
	v_and_b32_e32 v4, 0x7f800000, v68
	s_delay_alu instid0(VALU_DEP_1) | instskip(SKIP_1) | instid1(SALU_CYCLE_1)
	v_cmp_ne_u32_e32 vcc_lo, 0x7f800000, v4
                                        ; implicit-def: $vgpr4
	s_and_saveexec_b32 s2, vcc_lo
	s_xor_b32 s2, exec_lo, s2
; %bb.91:
	v_bfe_u32 v4, v68, 16, 1
	s_delay_alu instid0(VALU_DEP_1)
	v_add3_u32 v4, v68, v4, 0x7fff
; %bb.92:
	s_and_not1_saveexec_b32 s2, s2
; %bb.93:
	v_and_b32_e32 v4, 0xffff, v68
	v_or_b32_e32 v5, 0x10000, v68
	s_delay_alu instid0(VALU_DEP_2) | instskip(NEXT) | instid1(VALU_DEP_2)
	v_cmp_eq_u32_e32 vcc_lo, 0, v4
	v_cndmask_b32_e32 v4, v5, v68, vcc_lo
; %bb.94:
	s_or_b32 exec_lo, exec_lo, s2
	v_and_b32_e32 v5, 0x7f800000, v69
	s_delay_alu instid0(VALU_DEP_1) | instskip(SKIP_1) | instid1(SALU_CYCLE_1)
	v_cmp_ne_u32_e32 vcc_lo, 0x7f800000, v5
                                        ; implicit-def: $vgpr5
	s_and_saveexec_b32 s2, vcc_lo
	s_xor_b32 s2, exec_lo, s2
; %bb.95:
	v_bfe_u32 v5, v69, 16, 1
	s_delay_alu instid0(VALU_DEP_1)
	v_add3_u32 v5, v69, v5, 0x7fff
; %bb.96:
	s_and_not1_saveexec_b32 s2, s2
; %bb.97:
	v_and_b32_e32 v5, 0xffff, v69
	v_or_b32_e32 v6, 0x10000, v69
	s_delay_alu instid0(VALU_DEP_2) | instskip(NEXT) | instid1(VALU_DEP_2)
	v_cmp_eq_u32_e32 vcc_lo, 0, v5
	v_cndmask_b32_e32 v5, v6, v69, vcc_lo
; %bb.98:
	s_or_b32 exec_lo, exec_lo, s2
	v_and_b32_e32 v6, 0x7f800000, v70
	s_delay_alu instid0(VALU_DEP_1) | instskip(SKIP_1) | instid1(SALU_CYCLE_1)
	v_cmp_ne_u32_e32 vcc_lo, 0x7f800000, v6
                                        ; implicit-def: $vgpr6
	s_and_saveexec_b32 s2, vcc_lo
	s_xor_b32 s2, exec_lo, s2
; %bb.99:
	v_bfe_u32 v6, v70, 16, 1
	s_delay_alu instid0(VALU_DEP_1)
	v_add3_u32 v6, v70, v6, 0x7fff
; %bb.100:
	s_and_not1_saveexec_b32 s2, s2
; %bb.101:
	v_and_b32_e32 v6, 0xffff, v70
	v_or_b32_e32 v7, 0x10000, v70
	s_delay_alu instid0(VALU_DEP_2) | instskip(NEXT) | instid1(VALU_DEP_2)
	v_cmp_eq_u32_e32 vcc_lo, 0, v6
	v_cndmask_b32_e32 v6, v7, v70, vcc_lo
; %bb.102:
	s_or_b32 exec_lo, exec_lo, s2
	v_and_b32_e32 v7, 0x7f800000, v71
	s_delay_alu instid0(VALU_DEP_1) | instskip(SKIP_1) | instid1(SALU_CYCLE_1)
	v_cmp_ne_u32_e32 vcc_lo, 0x7f800000, v7
                                        ; implicit-def: $vgpr7
	s_and_saveexec_b32 s2, vcc_lo
	s_xor_b32 s2, exec_lo, s2
; %bb.103:
	v_bfe_u32 v7, v71, 16, 1
	s_delay_alu instid0(VALU_DEP_1)
	v_add3_u32 v7, v71, v7, 0x7fff
; %bb.104:
	s_and_not1_saveexec_b32 s2, s2
; %bb.105:
	v_and_b32_e32 v7, 0xffff, v71
	v_or_b32_e32 v8, 0x10000, v71
	s_delay_alu instid0(VALU_DEP_2) | instskip(NEXT) | instid1(VALU_DEP_2)
	v_cmp_eq_u32_e32 vcc_lo, 0, v7
	v_cndmask_b32_e32 v7, v8, v71, vcc_lo
; %bb.106:
	s_or_b32 exec_lo, exec_lo, s2
	v_and_b32_e32 v8, 0x7f800000, v72
	s_delay_alu instid0(VALU_DEP_1) | instskip(SKIP_1) | instid1(SALU_CYCLE_1)
	v_cmp_ne_u32_e32 vcc_lo, 0x7f800000, v8
                                        ; implicit-def: $vgpr8
	s_and_saveexec_b32 s2, vcc_lo
	s_xor_b32 s2, exec_lo, s2
; %bb.107:
	v_bfe_u32 v8, v72, 16, 1
	s_delay_alu instid0(VALU_DEP_1)
	v_add3_u32 v8, v72, v8, 0x7fff
                                        ; implicit-def: $vgpr65_vgpr66_vgpr67_vgpr68_vgpr69_vgpr70_vgpr71_vgpr72
; %bb.108:
	s_and_not1_saveexec_b32 s2, s2
; %bb.109:
	v_and_b32_e32 v8, 0xffff, v72
	v_or_b32_e32 v9, 0x10000, v72
	s_delay_alu instid0(VALU_DEP_2) | instskip(NEXT) | instid1(VALU_DEP_2)
	v_cmp_eq_u32_e32 vcc_lo, 0, v8
	v_cndmask_b32_e32 v8, v9, v72, vcc_lo
; %bb.110:
	s_or_b32 exec_lo, exec_lo, s2
	s_delay_alu instid0(VALU_DEP_1)
	v_perm_b32 v7, v8, v7, 0x7060302
	v_perm_b32 v6, v6, v5, 0x7060302
	;; [unrolled: 1-line block ×4, first 2 shown]
	s_barrier
	buffer_gl0_inv
	v_cmp_eq_u32_e32 vcc_lo, 1, v78
	ds_store_b128 v76, v[4:7]
	s_waitcnt lgkmcnt(0)
	s_barrier
	buffer_gl0_inv
	ds_load_b128 v[1:4], v82
	ds_load_b128 v[5:8], v82 offset:16
	v_cmp_eq_u32_e64 s2, 1, v79
	v_cmp_eq_u32_e64 s3, 2, v78
	;; [unrolled: 1-line block ×5, first 2 shown]
	s_waitcnt lgkmcnt(1)
	v_lshrrev_b32_e32 v9, 16, v1
	s_waitcnt lgkmcnt(0)
	v_lshrrev_b32_e32 v13, 16, v5
	v_lshrrev_b32_e32 v10, 16, v2
	;; [unrolled: 1-line block ×4, first 2 shown]
	v_cndmask_b32_e64 v19, v1, v9, s2
	v_cndmask_b32_e32 v18, v5, v13, vcc_lo
	v_cndmask_b32_e64 v20, v5, v13, s2
	v_cndmask_b32_e32 v17, v1, v9, vcc_lo
	v_cmp_eq_u32_e32 vcc_lo, 2, v79
	v_lshrrev_b32_e32 v15, 16, v7
	v_cmp_eq_u32_e64 s2, 1, v77
	v_lshrrev_b32_e32 v12, 16, v4
	v_lshrrev_b32_e32 v16, 16, v8
	v_cndmask_b32_e32 v20, v20, v6, vcc_lo
	v_cndmask_b32_e64 v17, v17, v2, s3
	v_cndmask_b32_e32 v19, v19, v2, vcc_lo
	v_cndmask_b32_e64 v18, v18, v6, s3
	v_cmp_eq_u32_e32 vcc_lo, 4, v78
	v_cmp_eq_u32_e64 s3, 3, v79
	v_cndmask_b32_e64 v17, v17, v10, s4
	v_cndmask_b32_e64 v21, v1, v9, s2
	;; [unrolled: 1-line block ×5, first 2 shown]
	v_cndmask_b32_e32 v17, v17, v3, vcc_lo
	v_cndmask_b32_e64 v20, v20, v14, s3
	v_cndmask_b32_e32 v18, v18, v7, vcc_lo
	v_cmp_eq_u32_e32 vcc_lo, 4, v79
	v_cmp_eq_u32_e64 s3, 5, v79
	v_cmp_eq_u32_e64 s2, 2, v81
	v_cndmask_b32_e64 v21, v21, v2, s6
	v_cmp_eq_u32_e64 s4, 5, v78
	v_cndmask_b32_e32 v19, v19, v3, vcc_lo
	v_cndmask_b32_e32 v20, v20, v7, vcc_lo
	v_cmp_eq_u32_e32 vcc_lo, 6, v79
	s_delay_alu instid0(VALU_DEP_4) | instskip(NEXT) | instid1(VALU_DEP_4)
	v_cndmask_b32_e64 v17, v17, v11, s4
	v_cndmask_b32_e64 v19, v19, v11, s3
	s_delay_alu instid0(VALU_DEP_4) | instskip(SKIP_1) | instid1(VALU_DEP_3)
	v_cndmask_b32_e64 v20, v20, v15, s3
	v_cmp_eq_u32_e64 s3, 1, v81
	v_cndmask_b32_e32 v19, v19, v4, vcc_lo
	v_cndmask_b32_e64 v18, v18, v15, s4
	s_delay_alu instid0(VALU_DEP_3)
	v_cndmask_b32_e64 v1, v1, v9, s3
	v_cndmask_b32_e64 v5, v5, v13, s3
	v_cmp_eq_u32_e64 s3, 3, v77
	v_cndmask_b32_e64 v13, v22, v6, s6
	v_cmp_eq_u32_e64 s6, 3, v81
	v_cndmask_b32_e64 v1, v1, v2, s2
	v_cndmask_b32_e64 v2, v5, v6, s2
	;; [unrolled: 1-line block ×3, first 2 shown]
	v_cmp_eq_u32_e64 s2, 4, v77
	v_cndmask_b32_e64 v6, v13, v14, s3
	v_cndmask_b32_e64 v1, v1, v10, s6
	v_cmp_eq_u32_e64 s3, 4, v81
	v_cndmask_b32_e64 v2, v2, v14, s6
	v_cndmask_b32_e64 v5, v9, v3, s2
	;; [unrolled: 3-line block ×3, first 2 shown]
	v_cndmask_b32_e64 v2, v2, v7, s3
	v_cmp_eq_u32_e64 s2, 5, v81
	v_cmp_eq_u32_e64 s4, 6, v78
	v_cndmask_b32_e64 v5, v5, v11, s6
	v_cmp_eq_u32_e64 s3, 6, v77
	v_cndmask_b32_e64 v3, v6, v15, s6
	v_cndmask_b32_e64 v1, v1, v11, s2
	v_cmp_eq_u32_e64 s6, 6, v81
	v_cndmask_b32_e64 v2, v2, v15, s2
	v_cndmask_b32_e64 v17, v17, v4, s4
	v_cndmask_b32_e64 v18, v18, v8, s4
	v_cmp_eq_u32_e64 s4, 7, v78
	v_cndmask_b32_e64 v5, v5, v4, s3
	;; [unrolled: 4-line block ×3, first 2 shown]
	v_cmp_eq_u32_e64 s3, 7, v77
	v_cndmask_b32_e32 v4, v20, v8, vcc_lo
	v_cndmask_b32_e64 v17, v17, v12, s4
	v_cndmask_b32_e64 v19, v19, v12, s5
	;; [unrolled: 1-line block ×8, first 2 shown]
	s_mov_b32 s2, exec_lo
	v_perm_b32 v4, v2, v1, 0x5040100
	v_perm_b32 v3, v3, v5, 0x5040100
	;; [unrolled: 1-line block ×4, first 2 shown]
	ds_store_b128 v76, v[1:4]
	s_waitcnt lgkmcnt(0)
	s_barrier
	buffer_gl0_inv
	v_cmpx_gt_u32_e32 32, v0
	s_cbranch_execz .LBB1851_2
; %bb.111:
	s_load_b64 s[0:1], s[0:1], 0x68
	v_lshlrev_b32_e32 v0, 10, v0
	s_lshl_b32 s4, s34, 7
	v_or_b32_e32 v3, s29, v74
	s_mul_i32 s2, s4, s30
	v_lshlrev_b32_e32 v1, 4, v75
	v_lshlrev_b32_e32 v2, 6, v74
	v_and_b32_e32 v0, 0x3800, v0
	s_mul_i32 s2, s2, s7
	v_mul_lo_u32 v8, v3, s4
	s_ashr_i32 s3, s2, 31
	s_delay_alu instid0(SALU_CYCLE_1)
	s_lshl_b64 s[2:3], s[2:3], 1
	v_or3_b32 v16, v0, v1, v2
	ds_load_b128 v[0:3], v16
	ds_load_b128 v[4:7], v16 offset:128
	v_ashrrev_i32_e32 v9, 31, v8
	s_waitcnt lgkmcnt(0)
	s_add_u32 s2, s0, s2
	s_addc_u32 s3, s1, s3
	s_lshl_b32 s0, s14, 7
	s_delay_alu instid0(SALU_CYCLE_1) | instskip(SKIP_2) | instid1(SALU_CYCLE_1)
	s_ashr_i32 s1, s0, 31
	v_lshlrev_b64 v[9:10], 1, v[8:9]
	s_lshl_b64 s[0:1], s[0:1], 1
	s_add_u32 s0, s2, s0
	s_addc_u32 s1, s3, s1
	s_lshl_b32 s2, s34, 8
	v_add_co_u32 v30, s0, s0, v73
	v_add_nc_u32_e32 v11, s2, v8
	v_add_co_ci_u32_e64 v31, null, s1, 0, s0
	s_delay_alu instid0(VALU_DEP_3) | instskip(NEXT) | instid1(VALU_DEP_3)
	v_add_co_u32 v9, vcc_lo, v30, v9
	v_add_nc_u32_e32 v8, s2, v11
	s_delay_alu instid0(VALU_DEP_3) | instskip(SKIP_1) | instid1(VALU_DEP_3)
	v_add_co_ci_u32_e32 v10, vcc_lo, v31, v10, vcc_lo
	v_ashrrev_i32_e32 v12, 31, v11
	v_add_nc_u32_e32 v13, s2, v8
	global_store_b128 v[9:10], v[0:3], off
	v_ashrrev_i32_e32 v9, 31, v8
	v_lshlrev_b64 v[11:12], 1, v[11:12]
	v_ashrrev_i32_e32 v14, 31, v13
	v_add_nc_u32_e32 v10, s2, v13
	s_delay_alu instid0(VALU_DEP_4) | instskip(NEXT) | instid1(VALU_DEP_4)
	v_lshlrev_b64 v[2:3], 1, v[8:9]
	v_add_co_u32 v0, vcc_lo, v30, v11
	s_delay_alu instid0(VALU_DEP_4)
	v_lshlrev_b64 v[8:9], 1, v[13:14]
	v_add_co_ci_u32_e32 v1, vcc_lo, v31, v12, vcc_lo
	v_ashrrev_i32_e32 v11, 31, v10
	v_add_co_u32 v22, vcc_lo, v30, v2
	v_add_nc_u32_e32 v20, s2, v10
	v_add_co_ci_u32_e32 v23, vcc_lo, v31, v3, vcc_lo
	v_add_co_u32 v24, vcc_lo, v30, v8
	global_store_b128 v[0:1], v[4:7], off
	v_add_co_ci_u32_e32 v25, vcc_lo, v31, v9, vcc_lo
	ds_load_b128 v[0:3], v16 offset:256
	ds_load_b128 v[4:7], v16 offset:384
	v_lshlrev_b64 v[26:27], 1, v[10:11]
	ds_load_b128 v[8:11], v16 offset:512
	ds_load_b128 v[12:15], v16 offset:640
	;; [unrolled: 1-line block ×3, first 2 shown]
	v_add_nc_u32_e32 v28, s2, v20
	v_ashrrev_i32_e32 v21, 31, v20
	v_add_co_u32 v26, vcc_lo, v30, v26
	s_delay_alu instid0(VALU_DEP_3) | instskip(NEXT) | instid1(VALU_DEP_3)
	v_ashrrev_i32_e32 v29, 31, v28
	v_lshlrev_b64 v[20:21], 1, v[20:21]
	v_add_co_ci_u32_e32 v27, vcc_lo, v31, v27, vcc_lo
	s_delay_alu instid0(VALU_DEP_3) | instskip(NEXT) | instid1(VALU_DEP_3)
	v_lshlrev_b64 v[28:29], 1, v[28:29]
	v_add_co_u32 v20, vcc_lo, v30, v20
	s_delay_alu instid0(VALU_DEP_4) | instskip(NEXT) | instid1(VALU_DEP_3)
	v_add_co_ci_u32_e32 v21, vcc_lo, v31, v21, vcc_lo
	v_add_co_u32 v28, vcc_lo, v30, v28
	s_delay_alu instid0(VALU_DEP_4)
	v_add_co_ci_u32_e32 v29, vcc_lo, v31, v29, vcc_lo
	s_waitcnt lgkmcnt(4)
	global_store_b128 v[22:23], v[0:3], off
	s_waitcnt lgkmcnt(3)
	global_store_b128 v[24:25], v[4:7], off
	;; [unrolled: 2-line block ×5, first 2 shown]
	s_nop 0
	s_sendmsg sendmsg(MSG_DEALLOC_VGPRS)
	s_endpgm
	.section	.rodata,"a",@progbits
	.p2align	6, 0x0
	.amdhsa_kernel _Z39paged_attention_ll4mi_QKV_mfma16_kernelI14__hip_bfloat16hLN4vllm18Fp8KVCacheDataTypeE1ES0_Li16ELi128ELi256ELb0ELi14EL8MFMAType0EEvPKT_PKT0_S9_ifPKiSB_SB_iPKfiiiPfSE_PS4_PT2_iSD_SD_
		.amdhsa_group_segment_fixed_size 17472
		.amdhsa_private_segment_fixed_size 0
		.amdhsa_kernarg_size 400
		.amdhsa_user_sgpr_count 13
		.amdhsa_user_sgpr_dispatch_ptr 0
		.amdhsa_user_sgpr_queue_ptr 0
		.amdhsa_user_sgpr_kernarg_segment_ptr 1
		.amdhsa_user_sgpr_dispatch_id 0
		.amdhsa_user_sgpr_private_segment_size 0
		.amdhsa_wavefront_size32 1
		.amdhsa_uses_dynamic_stack 0
		.amdhsa_enable_private_segment 0
		.amdhsa_system_sgpr_workgroup_id_x 1
		.amdhsa_system_sgpr_workgroup_id_y 1
		.amdhsa_system_sgpr_workgroup_id_z 1
		.amdhsa_system_sgpr_workgroup_info 0
		.amdhsa_system_vgpr_workitem_id 0
		.amdhsa_next_free_vgpr 140
		.amdhsa_next_free_sgpr 36
		.amdhsa_reserve_vcc 1
		.amdhsa_float_round_mode_32 0
		.amdhsa_float_round_mode_16_64 0
		.amdhsa_float_denorm_mode_32 3
		.amdhsa_float_denorm_mode_16_64 3
		.amdhsa_dx10_clamp 1
		.amdhsa_ieee_mode 1
		.amdhsa_fp16_overflow 0
		.amdhsa_workgroup_processor_mode 1
		.amdhsa_memory_ordered 1
		.amdhsa_forward_progress 0
		.amdhsa_shared_vgpr_count 0
		.amdhsa_exception_fp_ieee_invalid_op 0
		.amdhsa_exception_fp_denorm_src 0
		.amdhsa_exception_fp_ieee_div_zero 0
		.amdhsa_exception_fp_ieee_overflow 0
		.amdhsa_exception_fp_ieee_underflow 0
		.amdhsa_exception_fp_ieee_inexact 0
		.amdhsa_exception_int_div_zero 0
	.end_amdhsa_kernel
	.section	.text._Z39paged_attention_ll4mi_QKV_mfma16_kernelI14__hip_bfloat16hLN4vllm18Fp8KVCacheDataTypeE1ES0_Li16ELi128ELi256ELb0ELi14EL8MFMAType0EEvPKT_PKT0_S9_ifPKiSB_SB_iPKfiiiPfSE_PS4_PT2_iSD_SD_,"axG",@progbits,_Z39paged_attention_ll4mi_QKV_mfma16_kernelI14__hip_bfloat16hLN4vllm18Fp8KVCacheDataTypeE1ES0_Li16ELi128ELi256ELb0ELi14EL8MFMAType0EEvPKT_PKT0_S9_ifPKiSB_SB_iPKfiiiPfSE_PS4_PT2_iSD_SD_,comdat
.Lfunc_end1851:
	.size	_Z39paged_attention_ll4mi_QKV_mfma16_kernelI14__hip_bfloat16hLN4vllm18Fp8KVCacheDataTypeE1ES0_Li16ELi128ELi256ELb0ELi14EL8MFMAType0EEvPKT_PKT0_S9_ifPKiSB_SB_iPKfiiiPfSE_PS4_PT2_iSD_SD_, .Lfunc_end1851-_Z39paged_attention_ll4mi_QKV_mfma16_kernelI14__hip_bfloat16hLN4vllm18Fp8KVCacheDataTypeE1ES0_Li16ELi128ELi256ELb0ELi14EL8MFMAType0EEvPKT_PKT0_S9_ifPKiSB_SB_iPKfiiiPfSE_PS4_PT2_iSD_SD_
                                        ; -- End function
	.section	.AMDGPU.csdata,"",@progbits
; Kernel info:
; codeLenInByte = 9008
; NumSgprs: 38
; NumVgprs: 140
; ScratchSize: 0
; MemoryBound: 0
; FloatMode: 240
; IeeeMode: 1
; LDSByteSize: 17472 bytes/workgroup (compile time only)
; SGPRBlocks: 4
; VGPRBlocks: 17
; NumSGPRsForWavesPerEU: 38
; NumVGPRsForWavesPerEU: 140
; Occupancy: 10
; WaveLimiterHint : 1
; COMPUTE_PGM_RSRC2:SCRATCH_EN: 0
; COMPUTE_PGM_RSRC2:USER_SGPR: 13
; COMPUTE_PGM_RSRC2:TRAP_HANDLER: 0
; COMPUTE_PGM_RSRC2:TGID_X_EN: 1
; COMPUTE_PGM_RSRC2:TGID_Y_EN: 1
; COMPUTE_PGM_RSRC2:TGID_Z_EN: 1
; COMPUTE_PGM_RSRC2:TIDIG_COMP_CNT: 0
	.section	.text._Z39paged_attention_ll4mi_QKV_mfma16_kernelI14__hip_bfloat16hLN4vllm18Fp8KVCacheDataTypeE1ES0_Li16ELi128ELi256ELb0ELi15EL8MFMAType0EEvPKT_PKT0_S9_ifPKiSB_SB_iPKfiiiPfSE_PS4_PT2_iSD_SD_,"axG",@progbits,_Z39paged_attention_ll4mi_QKV_mfma16_kernelI14__hip_bfloat16hLN4vllm18Fp8KVCacheDataTypeE1ES0_Li16ELi128ELi256ELb0ELi15EL8MFMAType0EEvPKT_PKT0_S9_ifPKiSB_SB_iPKfiiiPfSE_PS4_PT2_iSD_SD_,comdat
	.protected	_Z39paged_attention_ll4mi_QKV_mfma16_kernelI14__hip_bfloat16hLN4vllm18Fp8KVCacheDataTypeE1ES0_Li16ELi128ELi256ELb0ELi15EL8MFMAType0EEvPKT_PKT0_S9_ifPKiSB_SB_iPKfiiiPfSE_PS4_PT2_iSD_SD_ ; -- Begin function _Z39paged_attention_ll4mi_QKV_mfma16_kernelI14__hip_bfloat16hLN4vllm18Fp8KVCacheDataTypeE1ES0_Li16ELi128ELi256ELb0ELi15EL8MFMAType0EEvPKT_PKT0_S9_ifPKiSB_SB_iPKfiiiPfSE_PS4_PT2_iSD_SD_
	.globl	_Z39paged_attention_ll4mi_QKV_mfma16_kernelI14__hip_bfloat16hLN4vllm18Fp8KVCacheDataTypeE1ES0_Li16ELi128ELi256ELb0ELi15EL8MFMAType0EEvPKT_PKT0_S9_ifPKiSB_SB_iPKfiiiPfSE_PS4_PT2_iSD_SD_
	.p2align	8
	.type	_Z39paged_attention_ll4mi_QKV_mfma16_kernelI14__hip_bfloat16hLN4vllm18Fp8KVCacheDataTypeE1ES0_Li16ELi128ELi256ELb0ELi15EL8MFMAType0EEvPKT_PKT0_S9_ifPKiSB_SB_iPKfiiiPfSE_PS4_PT2_iSD_SD_,@function
_Z39paged_attention_ll4mi_QKV_mfma16_kernelI14__hip_bfloat16hLN4vllm18Fp8KVCacheDataTypeE1ES0_Li16ELi128ELi256ELb0ELi15EL8MFMAType0EEvPKT_PKT0_S9_ifPKiSB_SB_iPKfiiiPfSE_PS4_PT2_iSD_SD_: ; @_Z39paged_attention_ll4mi_QKV_mfma16_kernelI14__hip_bfloat16hLN4vllm18Fp8KVCacheDataTypeE1ES0_Li16ELi128ELi256ELb0ELi15EL8MFMAType0EEvPKT_PKT0_S9_ifPKiSB_SB_iPKfiiiPfSE_PS4_PT2_iSD_SD_
; %bb.0:
	s_load_b64 s[4:5], s[0:1], 0x30
	s_mov_b32 s30, s13
	s_waitcnt lgkmcnt(0)
	s_cmp_lg_u64 s[4:5], 0
	s_cselect_b32 s13, -1, 0
	s_ashr_i32 s31, s30, 31
	s_cmp_eq_u64 s[4:5], 0
	s_cbranch_scc1 .LBB1852_3
; %bb.1:
	s_lshl_b64 s[2:3], s[30:31], 2
	s_delay_alu instid0(SALU_CYCLE_1) | instskip(SKIP_4) | instid1(SALU_CYCLE_1)
	s_add_u32 s2, s4, s2
	s_addc_u32 s3, s5, s3
	s_load_b64 s[2:3], s[2:3], 0x0
	s_waitcnt lgkmcnt(0)
	s_sub_i32 s2, s3, s2
	s_cmp_eq_u32 s2, 1
	s_cselect_b32 s2, -1, 0
	s_delay_alu instid0(SALU_CYCLE_1)
	s_and_not1_b32 vcc_lo, exec_lo, s2
	s_cbranch_vccz .LBB1852_4
.LBB1852_2:
	s_nop 0
	s_sendmsg sendmsg(MSG_DEALLOC_VGPRS)
	s_endpgm
.LBB1852_3:
.LBB1852_4:
	s_load_b64 s[2:3], s[0:1], 0x28
	s_lshl_b64 s[6:7], s[30:31], 2
	s_waitcnt lgkmcnt(0)
	s_add_u32 s2, s2, s6
	s_addc_u32 s3, s3, s7
	s_lshl_b32 s12, s14, 8
	s_load_b32 s17, s[2:3], 0x0
	s_waitcnt lgkmcnt(0)
	s_cmp_ge_i32 s12, s17
	s_cbranch_scc1 .LBB1852_2
; %bb.5:
	s_clause 0x1
	s_load_b128 s[8:11], s[0:1], 0x8
	s_load_b64 s[2:3], s[0:1], 0x20
	s_and_not1_b32 vcc_lo, exec_lo, s13
	s_cbranch_vccnz .LBB1852_7
; %bb.6:
	s_add_u32 s4, s4, s6
	s_addc_u32 s5, s5, s7
	s_load_b32 s13, s[4:5], 0x0
	s_branch .LBB1852_8
.LBB1852_7:
	s_mov_b32 s13, s30
.LBB1852_8:
	s_load_b128 s[4:7], s[0:1], 0x48
	v_and_b32_e32 v65, 15, v0
	v_lshrrev_b32_e32 v66, 5, v0
	v_bfe_u32 v74, v0, 4, 1
	v_and_b32_e32 v67, 31, v0
	v_and_b32_e32 v75, 1, v0
	v_lshlrev_b32_e32 v2, 3, v65
	s_mul_i32 s31, s15, 15
	v_lshl_or_b32 v1, v66, 1, v74
	s_waitcnt lgkmcnt(0)
	s_mov_b32 s7, exec_lo
	v_lshlrev_b32_e32 v73, 1, v2
	s_delay_alu instid0(VALU_DEP_2)
	v_cmpx_gt_u32_e32 15, v1
	s_cbranch_execz .LBB1852_10
; %bb.9:
	s_load_b64 s[18:19], s[0:1], 0x0
	v_add_lshl_u32 v2, v1, s31, 7
	s_mul_hi_i32 s21, s13, s4
	s_mul_i32 s20, s13, s4
	v_lshlrev_b32_e32 v6, 10, v65
	s_lshl_b64 s[20:21], s[20:21], 1
	v_ashrrev_i32_e32 v3, 31, v2
	v_lshlrev_b32_e32 v1, 6, v1
	v_lshlrev_b32_e32 v7, 10, v75
	v_and_b32_e32 v6, 0x3800, v6
	s_delay_alu instid0(VALU_DEP_4) | instskip(NEXT) | instid1(VALU_DEP_2)
	v_lshlrev_b64 v[2:3], 1, v[2:3]
	v_or3_b32 v1, v6, v7, v1
	s_waitcnt lgkmcnt(0)
	s_add_u32 s4, s18, s20
	s_addc_u32 s13, s19, s21
	s_delay_alu instid0(VALU_DEP_2) | instskip(SKIP_1) | instid1(VALU_DEP_2)
	v_add_co_u32 v2, vcc_lo, s4, v2
	v_add_co_ci_u32_e32 v3, vcc_lo, s13, v3, vcc_lo
	v_add_co_u32 v2, vcc_lo, v2, v73
	s_delay_alu instid0(VALU_DEP_2)
	v_add_co_ci_u32_e32 v3, vcc_lo, 0, v3, vcc_lo
	global_load_b128 v[2:5], v[2:3], off
	s_waitcnt vmcnt(0)
	ds_store_b128 v1, v[2:5]
.LBB1852_10:
	s_or_b32 exec_lo, exec_lo, s7
	v_and_b32_e32 v1, 0xef, v0
	s_add_i32 s4, s17, 15
	s_clause 0x1
	s_load_b32 s7, s[0:1], 0x38
	s_load_b32 s18, s[0:1], 0x1c
	s_ashr_i32 s13, s4, 31
	v_add_nc_u32_e32 v1, s12, v1
	s_lshr_b32 s13, s13, 28
	s_waitcnt lgkmcnt(0)
	s_add_i32 s4, s4, s13
	s_barrier
	v_ashrrev_i32_e32 v2, 31, v1
	v_or_b32_e32 v3, 16, v1
	s_ashr_i32 s4, s4, 4
	v_cmp_gt_i32_e32 vcc_lo, s17, v1
	s_add_i32 s4, s4, -1
	v_lshrrev_b32_e32 v2, 28, v2
	buffer_gl0_inv
	s_mul_i32 s15, s15, s6
	v_add_nc_u32_e32 v4, v1, v2
	s_mul_i32 s20, s30, s7
	s_delay_alu instid0(SALU_CYCLE_1) | instskip(NEXT) | instid1(VALU_DEP_1)
	s_ashr_i32 s21, s20, 31
	v_ashrrev_i32_e32 v4, 4, v4
	v_add_nc_u32_e32 v2, v3, v2
	s_lshl_b64 s[20:21], s[20:21], 2
	s_delay_alu instid0(SALU_CYCLE_1) | instskip(NEXT) | instid1(VALU_DEP_2)
	s_add_u32 s13, s2, s20
	v_cndmask_b32_e32 v1, s4, v4, vcc_lo
	s_delay_alu instid0(VALU_DEP_2)
	v_ashrrev_i32_e32 v2, 4, v2
	v_cmp_gt_i32_e32 vcc_lo, s17, v3
	s_addc_u32 s16, s3, s21
	s_ashr_i32 s19, s15, 31
	s_add_u32 s26, s8, s15
	s_addc_u32 s27, s9, s19
	v_cndmask_b32_e32 v3, s4, v2, vcc_lo
	v_ashrrev_i32_e32 v2, 31, v1
	s_lshl_b32 s2, s14, 4
	s_delay_alu instid0(SALU_CYCLE_1) | instskip(NEXT) | instid1(VALU_DEP_2)
	s_ashr_i32 s3, s2, 31
	v_ashrrev_i32_e32 v4, 31, v3
	s_delay_alu instid0(VALU_DEP_2) | instskip(SKIP_1) | instid1(SALU_CYCLE_1)
	v_lshlrev_b64 v[1:2], 2, v[1:2]
	s_lshl_b64 s[2:3], s[2:3], 2
	s_add_u32 s2, s13, s2
	s_delay_alu instid0(VALU_DEP_2) | instskip(SKIP_1) | instid1(VALU_DEP_2)
	v_lshlrev_b64 v[3:4], 2, v[3:4]
	s_addc_u32 s3, s16, s3
	v_add_co_u32 v1, vcc_lo, s13, v1
	v_add_co_ci_u32_e32 v2, vcc_lo, s16, v2, vcc_lo
	s_delay_alu instid0(VALU_DEP_3) | instskip(NEXT) | instid1(VALU_DEP_4)
	v_add_co_u32 v3, vcc_lo, s13, v3
	v_add_co_ci_u32_e32 v4, vcc_lo, s16, v4, vcc_lo
	s_clause 0x1
	global_load_b32 v5, v[1:2], off
	global_load_b32 v3, v[3:4], off
	s_or_b32 s6, s12, 32
	v_cmp_ne_u32_e32 vcc_lo, 15, v65
	s_ashr_i32 s7, s6, 4
	s_cmp_lt_i32 s6, s17
	s_cselect_b32 s6, s7, s4
	s_delay_alu instid0(SALU_CYCLE_1) | instskip(NEXT) | instid1(SALU_CYCLE_1)
	s_ashr_i32 s7, s6, 31
	s_lshl_b64 s[6:7], s[6:7], 2
	s_delay_alu instid0(SALU_CYCLE_1) | instskip(SKIP_2) | instid1(SALU_CYCLE_1)
	s_add_u32 s6, s13, s6
	s_addc_u32 s7, s16, s7
	s_or_b32 s8, s12, 64
	s_ashr_i32 s9, s8, 4
	s_cmp_lt_i32 s8, s17
	s_cselect_b32 s8, s9, s4
	s_delay_alu instid0(SALU_CYCLE_1) | instskip(NEXT) | instid1(SALU_CYCLE_1)
	s_ashr_i32 s9, s8, 31
	s_lshl_b64 s[8:9], s[8:9], 2
	s_delay_alu instid0(SALU_CYCLE_1) | instskip(SKIP_2) | instid1(SALU_CYCLE_1)
	s_add_u32 s8, s13, s8
	s_addc_u32 s9, s16, s9
	s_or_b32 s20, s12, 0x60
	;; [unrolled: 10-line block ×4, first 2 shown]
	s_ashr_i32 s25, s24, 4
	s_cmp_lt_i32 s24, s17
	s_cselect_b32 s24, s25, s4
	s_delay_alu instid0(SALU_CYCLE_1) | instskip(NEXT) | instid1(SALU_CYCLE_1)
	s_ashr_i32 s25, s24, 31
	s_lshl_b64 s[24:25], s[24:25], 2
	s_delay_alu instid0(SALU_CYCLE_1)
	s_add_u32 s24, s13, s24
	s_addc_u32 s25, s16, s25
	s_clause 0x5
	s_load_b32 s28, s[2:3], 0x0
	s_load_b32 s29, s[6:7], 0x0
	s_load_b32 s8, s[8:9], 0x0
	s_load_b32 s9, s[20:21], 0x0
	s_load_b32 s33, s[22:23], 0x0
	s_load_b32 s34, s[24:25], 0x0
	s_mov_b32 s20, 0
	s_or_b32 s2, s12, 0xc0
	s_mov_b32 s21, s20
	s_mov_b32 s22, s20
	s_mov_b32 s23, s20
	s_mov_b32 s24, s20
	s_mov_b32 s25, s20
	v_lshlrev_b32_e32 v1, 4, v0
	s_ashr_i32 s3, s2, 4
	s_cmp_lt_i32 s2, s17
	s_cselect_b32 s2, s3, s4
	s_delay_alu instid0(VALU_DEP_1) | instskip(SKIP_1) | instid1(SALU_CYCLE_1)
	v_and_b32_e32 v1, 0xf0, v1
	s_ashr_i32 s3, s2, 31
	s_lshl_b64 s[2:3], s[2:3], 2
	s_delay_alu instid0(VALU_DEP_1) | instskip(NEXT) | instid1(VALU_DEP_1)
	v_add_co_u32 v1, s26, s26, v1
	v_add_co_ci_u32_e64 v2, null, s27, 0, s26
	s_add_u32 s2, s13, s2
	s_addc_u32 s3, s16, s3
	s_or_b32 s6, s12, 0xe0
	s_mov_b32 s27, s20
	s_ashr_i32 s7, s6, 4
	s_cmp_lt_i32 s6, s17
	s_mov_b32 s26, s20
	s_cselect_b32 s6, s7, s4
	s_delay_alu instid0(SALU_CYCLE_1) | instskip(NEXT) | instid1(SALU_CYCLE_1)
	s_ashr_i32 s7, s6, 31
	s_lshl_b64 s[6:7], s[6:7], 2
	s_waitcnt vmcnt(1)
	v_mad_i64_i32 v[33:34], null, v5, s5, v[1:2]
	s_waitcnt vmcnt(0)
	v_mad_i64_i32 v[35:36], null, v3, s5, v[1:2]
	s_clause 0xf
	global_load_b128 v[1:4], v[33:34], off
	global_load_b128 v[5:8], v[33:34], off offset:256
	global_load_b128 v[9:12], v[35:36], off
	global_load_b128 v[13:16], v[35:36], off offset:256
	global_load_b128 v[17:20], v[33:34], off offset:512
	;; [unrolled: 1-line block ×13, first 2 shown]
	v_cndmask_b32_e32 v33, 0, v65, vcc_lo
	v_dual_mov_b32 v107, s27 :: v_dual_lshlrev_b32 v34, 4, v65
	v_dual_mov_b32 v106, s26 :: v_dual_mov_b32 v105, s25
	s_delay_alu instid0(VALU_DEP_3) | instskip(NEXT) | instid1(VALU_DEP_3)
	v_lshlrev_b32_e32 v72, 6, v33
	v_lshl_or_b32 v41, v66, 8, v34
	ds_load_b128 v[33:36], v72
	ds_load_b128 v[37:40], v72 offset:1024
	ds_load_b128 v[108:111], v72 offset:2048
	;; [unrolled: 1-line block ×3, first 2 shown]
	s_load_b32 s4, s[2:3], 0x0
	s_add_u32 s2, s13, s6
	s_addc_u32 s3, s16, s7
	ds_load_b128 v[116:119], v72 offset:4096
	ds_load_b128 v[120:123], v72 offset:5120
	s_load_b32 s2, s[2:3], 0x0
	s_add_u32 s6, s10, s15
	s_addc_u32 s7, s11, s19
	v_add_co_u32 v68, s6, s6, v41
	s_delay_alu instid0(VALU_DEP_1) | instskip(SKIP_3) | instid1(VALU_DEP_3)
	v_add_co_ci_u32_e64 v69, null, s7, 0, s6
	v_dual_mov_b32 v104, s24 :: v_dual_mov_b32 v103, s23
	v_mov_b32_e32 v102, s22
	s_waitcnt lgkmcnt(0)
	v_mad_i64_i32 v[41:42], null, s28, s5, v[68:69]
	v_mad_i64_i32 v[70:71], null, s8, s5, v[68:69]
	v_dual_mov_b32 v101, s21 :: v_dual_mov_b32 v100, s20
	v_mad_i64_i32 v[45:46], null, s29, s5, v[68:69]
	v_mad_i64_i32 v[132:133], null, s9, s5, v[68:69]
	;; [unrolled: 1-line block ×5, first 2 shown]
	s_clause 0x3
	global_load_b128 v[49:52], v[41:42], off
	global_load_b128 v[53:56], v[41:42], off offset:16
	global_load_b128 v[41:44], v[45:46], off
	global_load_b128 v[45:48], v[45:46], off offset:16
	s_waitcnt vmcnt(18)
	v_wmma_f32_16x16x16_bf16 v[124:131], v[1:8], v[33:40], v[100:107]
	s_waitcnt vmcnt(16)
	v_wmma_f32_16x16x16_bf16 v[100:107], v[9:16], v[33:40], v[100:107]
	s_clause 0x1
	global_load_b128 v[33:36], v[70:71], off
	global_load_b128 v[37:40], v[70:71], off offset:16
	v_mad_i64_i32 v[70:71], null, s2, s5, v[68:69]
	s_waitcnt vmcnt(16)
	v_wmma_f32_16x16x16_bf16 v[124:131], v[17:24], v[108:115], v[124:131]
	s_waitcnt vmcnt(14)
	v_wmma_f32_16x16x16_bf16 v[100:107], v[25:32], v[108:115], v[100:107]
	s_clause 0x7
	global_load_b128 v[25:28], v[132:133], off
	global_load_b128 v[29:32], v[132:133], off offset:16
	global_load_b128 v[1:4], v[134:135], off
	global_load_b128 v[5:8], v[134:135], off offset:16
	;; [unrolled: 2-line block ×4, first 2 shown]
	s_waitcnt vmcnt(20)
	v_wmma_f32_16x16x16_bf16 v[124:131], v[57:64], v[116:123], v[124:131]
	s_clause 0x1
	global_load_b128 v[57:60], v[70:71], off
	global_load_b128 v[61:64], v[70:71], off offset:16
	s_waitcnt vmcnt(20)
	v_wmma_f32_16x16x16_bf16 v[100:107], v[76:83], v[116:123], v[100:107]
	ds_load_b128 v[76:79], v72 offset:6144
	ds_load_b128 v[80:83], v72 offset:7168
	v_and_b32_e32 v68, 0xe0, v0
	v_mbcnt_lo_u32_b32 v69, -1, 0
	s_waitcnt vmcnt(0) lgkmcnt(0)
	s_barrier
	buffer_gl0_inv
	v_add_nc_u32_e32 v68, s12, v68
	v_xor_b32_e32 v70, 16, v69
	s_delay_alu instid0(VALU_DEP_2) | instskip(NEXT) | instid1(VALU_DEP_2)
	v_or_b32_e32 v68, v68, v74
	v_cmp_gt_i32_e32 vcc_lo, 32, v70
	s_delay_alu instid0(VALU_DEP_2)
	v_or_b32_e32 v71, 4, v68
	v_or_b32_e32 v72, 6, v68
	v_cmp_gt_i32_e64 s2, s17, v68
	v_or_b32_e32 v108, 8, v68
	v_wmma_f32_16x16x16_bf16 v[124:131], v[84:91], v[76:83], v[124:131]
	v_cndmask_b32_e32 v69, v69, v70, vcc_lo
	v_or_b32_e32 v70, 2, v68
	v_wmma_f32_16x16x16_bf16 v[100:107], v[92:99], v[76:83], v[100:107]
	v_or_b32_e32 v109, 10, v68
	v_dual_mul_f32 v80, s18, v129 :: v_dual_mul_f32 v81, s18, v128
	v_dual_mul_f32 v92, s18, v125 :: v_dual_mul_f32 v93, s18, v124
	s_delay_alu instid0(VALU_DEP_4)
	v_mul_f32_e32 v96, s18, v105
	v_cmp_gt_i32_e32 vcc_lo, s17, v70
	v_or_b32_e32 v89, 22, v68
	v_dual_mul_f32 v79, s18, v130 :: v_dual_mul_f32 v82, s18, v127
	v_dual_mul_f32 v83, s18, v126 :: v_dual_mul_f32 v94, s18, v107
	v_cndmask_b32_e64 v93, 0xff7fffff, v93, s2
	v_cndmask_b32_e32 v92, 0xff7fffff, v92, vcc_lo
	v_cmp_gt_i32_e64 s3, s17, v71
	v_cmp_gt_i32_e64 s4, s17, v72
	v_or_b32_e32 v84, 12, v68
	v_or_b32_e32 v85, 14, v68
	v_cmp_gt_i32_e64 s5, s17, v108
	v_cndmask_b32_e64 v71, 0xff7fffff, v83, s3
	v_cndmask_b32_e64 v72, 0xff7fffff, v82, s4
	v_cmp_gt_i32_e64 s6, s17, v109
	v_cmp_gt_i32_e64 s12, s17, v89
	v_lshlrev_b32_e32 v89, 2, v69
	v_max3_f32 v82, v93, 0xff7fffff, v92
	v_or_b32_e32 v86, 16, v68
	v_or_b32_e32 v87, 18, v68
	v_mul_f32_e32 v78, s18, v131
	v_cndmask_b32_e64 v81, 0xff7fffff, v81, s5
	v_cndmask_b32_e64 v80, 0xff7fffff, v80, s6
	v_max3_f32 v71, v82, v71, v72
	v_cmp_gt_i32_e64 s7, s17, v84
	v_cmp_gt_i32_e64 s8, s17, v85
	v_or_b32_e32 v88, 20, v68
	v_or_b32_e32 v90, 24, v68
	;; [unrolled: 1-line block ×5, first 2 shown]
	v_dual_mul_f32 v97, s18, v104 :: v_dual_mul_f32 v70, s18, v101
	v_dual_mul_f32 v99, s18, v102 :: v_dual_mul_f32 v68, s18, v100
	v_cndmask_b32_e64 v72, 0xff7fffff, v79, s7
	v_cndmask_b32_e64 v78, 0xff7fffff, v78, s8
	v_max3_f32 v71, v71, v81, v80
	v_cmp_gt_i32_e64 s9, s17, v86
	v_cmp_gt_i32_e64 s10, s17, v87
	v_dual_mul_f32 v95, s18, v106 :: v_dual_mul_f32 v98, s18, v103
	s_delay_alu instid0(VALU_DEP_4) | instskip(NEXT) | instid1(VALU_DEP_4)
	v_max3_f32 v71, v71, v72, v78
	v_cndmask_b32_e64 v68, 0xff7fffff, v68, s9
	s_delay_alu instid0(VALU_DEP_4)
	v_cndmask_b32_e64 v70, 0xff7fffff, v70, s10
	v_cmp_gt_i32_e64 s11, s17, v88
	v_cndmask_b32_e64 v78, 0xff7fffff, v98, s12
	v_cmp_gt_i32_e64 s13, s17, v90
	v_cmp_gt_i32_e64 s15, s17, v91
	v_max3_f32 v68, v71, v68, v70
	v_cndmask_b32_e64 v72, 0xff7fffff, v99, s11
	v_cmp_gt_i32_e64 s16, s17, v76
	v_cndmask_b32_e64 v70, 0xff7fffff, v97, s13
	v_cndmask_b32_e64 v71, 0xff7fffff, v96, s15
	v_cmp_gt_i32_e64 s17, s17, v77
	v_max3_f32 v68, v68, v72, v78
	v_cndmask_b32_e64 v72, 0xff7fffff, v95, s16
	s_delay_alu instid0(VALU_DEP_3) | instskip(NEXT) | instid1(VALU_DEP_3)
	v_cndmask_b32_e64 v76, 0xff7fffff, v94, s17
	v_max3_f32 v68, v68, v70, v71
	s_delay_alu instid0(VALU_DEP_1) | instskip(SKIP_3) | instid1(VALU_DEP_1)
	v_max3_f32 v68, v68, v72, v76
	ds_bpermute_b32 v69, v89, v68
	s_waitcnt lgkmcnt(0)
	v_max_f32_e32 v69, v69, v69
	v_max_f32_e32 v68, v68, v69
	s_delay_alu instid0(VALU_DEP_1) | instskip(NEXT) | instid1(VALU_DEP_1)
	v_fma_f32 v71, s18, v126, -v68
	v_mul_f32_e32 v71, 0x3fb8aa3b, v71
	v_fma_f32 v70, s18, v125, -v68
	v_fma_f32 v69, s18, v124, -v68
	;; [unrolled: 1-line block ×5, first 2 shown]
	s_delay_alu instid0(VALU_DEP_4) | instskip(SKIP_1) | instid1(VALU_DEP_3)
	v_dual_mul_f32 v70, 0x3fb8aa3b, v70 :: v_dual_mul_f32 v69, 0x3fb8aa3b, v69
	v_exp_f32_e32 v71, v71
	v_mul_f32_e32 v72, 0x3fb8aa3b, v72
	v_fma_f32 v81, s18, v105, -v68
	s_delay_alu instid0(VALU_DEP_3)
	v_exp_f32_e32 v70, v70
	v_mul_f32_e32 v77, 0x3fb8aa3b, v76
	v_exp_f32_e32 v69, v69
	v_exp_f32_e32 v72, v72
	v_mul_f32_e32 v81, 0x3fb8aa3b, v81
	v_cndmask_b32_e64 v83, 0, v71, s3
	v_fma_f32 v71, s18, v131, -v68
	s_delay_alu instid0(VALU_DEP_3) | instskip(SKIP_4) | instid1(TRANS32_DEP_3)
	v_exp_f32_e32 v81, v81
	v_cndmask_b32_e32 v76, 0, v70, vcc_lo
	v_exp_f32_e32 v77, v77
	v_cndmask_b32_e64 v80, 0, v69, s2
	v_fma_f32 v69, s18, v129, -v68
	v_cndmask_b32_e64 v85, 0, v72, s4
	v_mul_f32_e32 v71, 0x3fb8aa3b, v71
	v_fma_f32 v72, s18, v100, -v68
	s_delay_alu instid0(VALU_DEP_4) | instskip(SKIP_1) | instid1(VALU_DEP_4)
	v_dual_add_f32 v70, 0, v80 :: v_dual_mul_f32 v69, 0x3fb8aa3b, v69
	v_cmp_gt_u32_e64 s2, 16, v67
	v_exp_f32_e32 v71, v71
	s_delay_alu instid0(TRANS32_DEP_2) | instskip(SKIP_4) | instid1(VALU_DEP_3)
	v_cndmask_b32_e64 v86, 0, v77, s5
	v_fma_f32 v77, s18, v101, -v68
	v_mul_f32_e32 v78, 0x3fb8aa3b, v78
	v_add_f32_e32 v70, v70, v76
	v_exp_f32_e32 v69, v69
	v_mul_f32_e32 v77, 0x3fb8aa3b, v77
	s_delay_alu instid0(VALU_DEP_3) | instskip(NEXT) | instid1(TRANS32_DEP_3)
	v_exp_f32_e32 v78, v78
	v_cndmask_b32_e64 v88, 0, v71, s8
	v_fma_f32 v71, s18, v104, -v68
	s_delay_alu instid0(VALU_DEP_3) | instskip(NEXT) | instid1(TRANS32_DEP_3)
	v_exp_f32_e32 v77, v77
	v_cndmask_b32_e64 v87, 0, v69, s6
	s_delay_alu instid0(VALU_DEP_2)
	v_mul_f32_e32 v71, 0x3fb8aa3b, v71
	s_waitcnt_depctr 0xfff
	v_cndmask_b32_e64 v84, 0, v78, s7
	v_add_f32_e32 v70, v70, v83
	v_fma_f32 v78, s18, v103, -v68
	v_exp_f32_e32 v82, v71
	s_delay_alu instid0(VALU_DEP_2) | instskip(SKIP_1) | instid1(VALU_DEP_3)
	v_add_f32_e32 v70, v70, v85
	v_mul_f32_e32 v72, 0x3fb8aa3b, v72
	v_mul_f32_e32 v78, 0x3fb8aa3b, v78
	s_delay_alu instid0(VALU_DEP_3) | instskip(SKIP_1) | instid1(VALU_DEP_4)
	v_add_f32_e32 v69, v70, v86
	v_fma_f32 v70, s18, v102, -v68
	v_exp_f32_e32 v72, v72
	s_delay_alu instid0(VALU_DEP_3) | instskip(NEXT) | instid1(VALU_DEP_1)
	v_exp_f32_e32 v78, v78
	v_dual_add_f32 v69, v69, v87 :: v_dual_mul_f32 v70, 0x3fb8aa3b, v70
	s_delay_alu instid0(VALU_DEP_1) | instskip(NEXT) | instid1(VALU_DEP_2)
	v_add_f32_e32 v69, v69, v84
	v_exp_f32_e32 v79, v70
	s_delay_alu instid0(TRANS32_DEP_3) | instskip(NEXT) | instid1(VALU_DEP_2)
	v_cndmask_b32_e64 v70, 0, v72, s9
	v_add_f32_e32 v72, v69, v88
	v_cndmask_b32_e64 v69, 0, v77, s10
	v_fma_f32 v77, s18, v106, -v68
	s_waitcnt_depctr 0xfff
	v_cndmask_b32_e64 v71, 0, v79, s11
	v_dual_mul_f32 v77, 0x3fb8aa3b, v77 :: v_dual_add_f32 v72, v72, v70
	s_delay_alu instid0(VALU_DEP_1) | instskip(NEXT) | instid1(VALU_DEP_1)
	v_exp_f32_e32 v90, v77
	v_add_f32_e32 v79, v72, v69
	v_cndmask_b32_e64 v72, 0, v78, s12
	v_cndmask_b32_e64 v77, 0, v82, s13
	s_delay_alu instid0(VALU_DEP_3) | instskip(SKIP_1) | instid1(VALU_DEP_1)
	v_add_f32_e32 v78, v79, v71
	v_fma_f32 v79, s18, v107, -v68
	v_dual_add_f32 v82, v78, v72 :: v_dual_mul_f32 v79, 0x3fb8aa3b, v79
	v_cndmask_b32_e64 v78, 0, v81, s15
	s_delay_alu instid0(VALU_DEP_2) | instskip(NEXT) | instid1(VALU_DEP_3)
	v_add_f32_e32 v81, v82, v77
	v_exp_f32_e32 v82, v79
	v_cndmask_b32_e64 v79, 0, v90, s16
	s_delay_alu instid0(VALU_DEP_2) | instskip(NEXT) | instid1(VALU_DEP_1)
	v_add_f32_e32 v81, v81, v78
	v_add_f32_e32 v90, v81, v79
	s_waitcnt_depctr 0xfff
	v_cndmask_b32_e64 v81, 0, v82, s17
	s_delay_alu instid0(VALU_DEP_1)
	v_add_f32_e32 v82, v90, v81
	ds_bpermute_b32 v89, v89, v82
	s_and_saveexec_b32 s3, s2
	s_cbranch_execz .LBB1852_12
; %bb.11:
	v_mul_u32_u24_e32 v67, 0x44, v66
	s_delay_alu instid0(VALU_DEP_1) | instskip(SKIP_1) | instid1(VALU_DEP_1)
	v_lshl_add_u32 v67, v65, 2, v67
	s_waitcnt lgkmcnt(0)
	v_dual_add_f32 v82, v82, v89 :: v_dual_add_nc_u32 v67, 0x4000, v67
	ds_store_2addr_b32 v67, v68, v82 offset1:136
.LBB1852_12:
	s_or_b32 exec_lo, exec_lo, s3
	v_lshlrev_b32_e32 v67, 2, v65
	s_waitcnt lgkmcnt(0)
	s_barrier
	buffer_gl0_inv
	v_cmp_eq_u32_e32 vcc_lo, 1, v66
	v_add_nc_u32_e32 v82, 0x4000, v67
	v_cmp_eq_u32_e64 s3, 2, v66
	v_cmp_eq_u32_e64 s5, 7, v66
	ds_load_2addr_b32 v[89:90], v82 offset1:17
	ds_load_2addr_b32 v[91:92], v82 offset0:34 offset1:51
	ds_load_2addr_b32 v[93:94], v82 offset0:68 offset1:85
	;; [unrolled: 1-line block ×4, first 2 shown]
	s_waitcnt lgkmcnt(4)
	v_max3_f32 v67, v89, 0xff7fffff, v90
	s_waitcnt lgkmcnt(3)
	s_delay_alu instid0(VALU_DEP_1) | instskip(SKIP_1) | instid1(VALU_DEP_1)
	v_max3_f32 v67, v67, v91, v92
	s_waitcnt lgkmcnt(2)
	v_max3_f32 v67, v67, v93, v94
	s_waitcnt lgkmcnt(1)
	s_delay_alu instid0(VALU_DEP_1) | instskip(NEXT) | instid1(VALU_DEP_1)
	v_max3_f32 v67, v67, v95, v96
	v_sub_f32_e32 v93, v93, v67
	s_delay_alu instid0(VALU_DEP_1) | instskip(NEXT) | instid1(VALU_DEP_1)
	v_dual_sub_f32 v68, v89, v67 :: v_dual_mul_f32 v103, 0x3fb8aa3b, v93
	v_mul_f32_e32 v68, 0x3fb8aa3b, v68
	s_delay_alu instid0(VALU_DEP_1)
	v_exp_f32_e32 v100, v68
	v_sub_f32_e32 v68, v92, v67
	v_sub_f32_e32 v99, v90, v67
	ds_load_2addr_b32 v[89:90], v82 offset0:170 offset1:187
	v_dual_mul_f32 v102, 0x3fb8aa3b, v68 :: v_dual_mul_f32 v99, 0x3fb8aa3b, v99
	s_waitcnt lgkmcnt(1)
	v_fma_f32 v68, v100, v97, 0
	s_delay_alu instid0(VALU_DEP_2) | instskip(NEXT) | instid1(VALU_DEP_2)
	v_exp_f32_e32 v102, v102
	v_exp_f32_e32 v99, v99
	s_waitcnt_depctr 0xfff
	v_fmac_f32_e32 v68, v99, v98
	v_sub_f32_e32 v91, v91, v67
	s_delay_alu instid0(VALU_DEP_1)
	v_mul_f32_e32 v101, 0x3fb8aa3b, v91
	ds_load_2addr_b32 v[91:92], v82 offset0:204 offset1:221
	v_sub_f32_e32 v97, v94, v67
	ds_load_2addr_b32 v[93:94], v82 offset0:238 offset1:255
	s_waitcnt lgkmcnt(0)
	v_exp_f32_e32 v101, v101
	s_barrier
	buffer_gl0_inv
	v_dual_fmac_f32 v68, v101, v89 :: v_dual_sub_f32 v89, v96, v67
	v_dual_sub_f32 v82, v95, v67 :: v_dual_mul_f32 v95, 0x3fb8aa3b, v97
	v_exp_f32_e32 v97, v103
	s_delay_alu instid0(VALU_DEP_2) | instskip(NEXT) | instid1(VALU_DEP_2)
	v_dual_fmac_f32 v68, v102, v90 :: v_dual_mul_f32 v89, 0x3fb8aa3b, v89
	v_mul_f32_e32 v82, 0x3fb8aa3b, v82
	s_delay_alu instid0(VALU_DEP_3) | instskip(NEXT) | instid1(VALU_DEP_2)
	v_exp_f32_e32 v95, v95
	v_exp_f32_e32 v89, v89
	s_delay_alu instid0(VALU_DEP_1)
	v_exp_f32_e32 v82, v82
	v_fmac_f32_e32 v68, v97, v91
	s_delay_alu instid0(TRANS32_DEP_3) | instid1(VALU_DEP_1)
	v_fmac_f32_e32 v68, v95, v92
	s_waitcnt_depctr 0xfff
	v_fmac_f32_e32 v68, v82, v93
	s_delay_alu instid0(VALU_DEP_1) | instskip(NEXT) | instid1(VALU_DEP_1)
	v_fmac_f32_e32 v68, v89, v94
	v_add_f32_e32 v90, 0x358637bd, v68
	s_delay_alu instid0(VALU_DEP_1) | instskip(NEXT) | instid1(VALU_DEP_1)
	v_div_scale_f32 v91, null, v90, v90, 1.0
	v_rcp_f32_e32 v92, v91
	s_waitcnt_depctr 0xfff
	v_fma_f32 v93, -v91, v92, 1.0
	s_delay_alu instid0(VALU_DEP_1) | instskip(SKIP_1) | instid1(VALU_DEP_2)
	v_dual_fmac_f32 v92, v93, v92 :: v_dual_cndmask_b32 v93, v100, v99
	v_cmp_eq_u32_e32 vcc_lo, 3, v66
	v_cndmask_b32_e64 v93, v93, v101, s3
	v_cmp_eq_u32_e64 s3, 4, v66
	s_delay_alu instid0(VALU_DEP_2) | instskip(SKIP_1) | instid1(VALU_DEP_2)
	v_cndmask_b32_e32 v93, v93, v102, vcc_lo
	v_cmp_eq_u32_e32 vcc_lo, 5, v66
	v_cndmask_b32_e64 v93, v93, v97, s3
	v_cmp_eq_u32_e64 s3, 6, v66
	s_delay_alu instid0(VALU_DEP_2) | instskip(SKIP_1) | instid1(VALU_DEP_1)
	v_cndmask_b32_e32 v93, v93, v95, vcc_lo
	v_div_scale_f32 v94, s4, 1.0, v90, 1.0
	s_mov_b32 vcc_lo, s4
	s_delay_alu instid0(VALU_DEP_2) | instskip(NEXT) | instid1(VALU_DEP_2)
	v_cndmask_b32_e64 v82, v93, v82, s3
	v_mul_f32_e32 v96, v94, v92
	s_mov_b32 s3, exec_lo
	s_delay_alu instid0(VALU_DEP_2) | instskip(NEXT) | instid1(VALU_DEP_2)
	v_cndmask_b32_e64 v82, v82, v89, s5
	v_fma_f32 v98, -v91, v96, v94
	s_delay_alu instid0(VALU_DEP_1) | instskip(NEXT) | instid1(VALU_DEP_1)
	v_fmac_f32_e32 v96, v98, v92
	v_fma_f32 v91, -v91, v96, v94
	s_delay_alu instid0(VALU_DEP_1) | instskip(NEXT) | instid1(VALU_DEP_1)
	v_div_fmas_f32 v91, v91, v92, v96
	v_div_fixup_f32 v90, v91, v90, 1.0
	s_delay_alu instid0(VALU_DEP_1) | instskip(NEXT) | instid1(VALU_DEP_1)
	v_mul_f32_e32 v82, v82, v90
	v_mul_f32_e32 v87, v82, v87
	;; [unrolled: 1-line block ×7, first 2 shown]
	v_dual_mul_f32 v86, v82, v83 :: v_dual_and_b32 v91, 0x7f800000, v90
	v_mul_f32_e32 v85, v82, v76
                                        ; implicit-def: $vgpr76
	s_delay_alu instid0(VALU_DEP_2)
	v_cmpx_ne_u32_e32 0x7f800000, v91
	s_xor_b32 s3, exec_lo, s3
; %bb.13:
	v_bfe_u32 v76, v90, 16, 1
	s_delay_alu instid0(VALU_DEP_1)
	v_add3_u32 v76, v90, v76, 0x7fff
                                        ; implicit-def: $vgpr90
; %bb.14:
	s_and_not1_saveexec_b32 s3, s3
; %bb.15:
	v_and_b32_e32 v76, 0xffff, v90
	v_or_b32_e32 v83, 0x10000, v90
	s_delay_alu instid0(VALU_DEP_2) | instskip(NEXT) | instid1(VALU_DEP_2)
	v_cmp_eq_u32_e32 vcc_lo, 0, v76
	v_cndmask_b32_e32 v76, v83, v90, vcc_lo
; %bb.16:
	s_or_b32 exec_lo, exec_lo, s3
	v_and_b32_e32 v83, 0x7f800000, v85
	s_delay_alu instid0(VALU_DEP_1) | instskip(SKIP_1) | instid1(SALU_CYCLE_1)
	v_cmp_ne_u32_e32 vcc_lo, 0x7f800000, v83
                                        ; implicit-def: $vgpr83
	s_and_saveexec_b32 s3, vcc_lo
	s_xor_b32 s3, exec_lo, s3
; %bb.17:
	v_bfe_u32 v83, v85, 16, 1
	s_delay_alu instid0(VALU_DEP_1)
	v_add3_u32 v83, v85, v83, 0x7fff
                                        ; implicit-def: $vgpr85
; %bb.18:
	s_and_not1_saveexec_b32 s3, s3
; %bb.19:
	v_and_b32_e32 v83, 0xffff, v85
	v_or_b32_e32 v90, 0x10000, v85
	s_delay_alu instid0(VALU_DEP_2) | instskip(NEXT) | instid1(VALU_DEP_2)
	v_cmp_eq_u32_e32 vcc_lo, 0, v83
	v_cndmask_b32_e32 v83, v90, v85, vcc_lo
; %bb.20:
	s_or_b32 exec_lo, exec_lo, s3
	v_and_b32_e32 v85, 0x7f800000, v86
	s_delay_alu instid0(VALU_DEP_1) | instskip(SKIP_1) | instid1(SALU_CYCLE_1)
	v_cmp_ne_u32_e32 vcc_lo, 0x7f800000, v85
                                        ; implicit-def: $vgpr85
	s_and_saveexec_b32 s3, vcc_lo
	s_xor_b32 s3, exec_lo, s3
; %bb.21:
	v_bfe_u32 v85, v86, 16, 1
	s_delay_alu instid0(VALU_DEP_1)
	v_add3_u32 v85, v86, v85, 0x7fff
                                        ; implicit-def: $vgpr86
; %bb.22:
	s_and_not1_saveexec_b32 s3, s3
; %bb.23:
	v_and_b32_e32 v85, 0xffff, v86
	v_or_b32_e32 v90, 0x10000, v86
	s_delay_alu instid0(VALU_DEP_2) | instskip(NEXT) | instid1(VALU_DEP_2)
	v_cmp_eq_u32_e32 vcc_lo, 0, v85
	v_cndmask_b32_e32 v85, v90, v86, vcc_lo
; %bb.24:
	s_or_b32 exec_lo, exec_lo, s3
	v_and_b32_e32 v86, 0x7f800000, v89
	s_delay_alu instid0(VALU_DEP_1) | instskip(SKIP_1) | instid1(SALU_CYCLE_1)
	v_cmp_ne_u32_e32 vcc_lo, 0x7f800000, v86
                                        ; implicit-def: $vgpr86
	s_and_saveexec_b32 s3, vcc_lo
	s_xor_b32 s3, exec_lo, s3
; %bb.25:
	v_bfe_u32 v86, v89, 16, 1
	s_delay_alu instid0(VALU_DEP_1)
	v_add3_u32 v86, v89, v86, 0x7fff
                                        ; implicit-def: $vgpr89
; %bb.26:
	s_and_not1_saveexec_b32 s3, s3
; %bb.27:
	v_and_b32_e32 v86, 0xffff, v89
	v_or_b32_e32 v90, 0x10000, v89
	s_delay_alu instid0(VALU_DEP_2) | instskip(NEXT) | instid1(VALU_DEP_2)
	v_cmp_eq_u32_e32 vcc_lo, 0, v86
	v_cndmask_b32_e32 v86, v90, v89, vcc_lo
; %bb.28:
	s_or_b32 exec_lo, exec_lo, s3
	v_and_b32_e32 v89, 0x7f800000, v88
	s_delay_alu instid0(VALU_DEP_1) | instskip(SKIP_1) | instid1(SALU_CYCLE_1)
	v_cmp_ne_u32_e32 vcc_lo, 0x7f800000, v89
                                        ; implicit-def: $vgpr89
	s_and_saveexec_b32 s3, vcc_lo
	s_xor_b32 s3, exec_lo, s3
; %bb.29:
	v_bfe_u32 v89, v88, 16, 1
	s_delay_alu instid0(VALU_DEP_1)
	v_add3_u32 v89, v88, v89, 0x7fff
                                        ; implicit-def: $vgpr88
; %bb.30:
	s_and_not1_saveexec_b32 s3, s3
; %bb.31:
	v_and_b32_e32 v89, 0xffff, v88
	v_or_b32_e32 v90, 0x10000, v88
	s_delay_alu instid0(VALU_DEP_2) | instskip(NEXT) | instid1(VALU_DEP_2)
	v_cmp_eq_u32_e32 vcc_lo, 0, v89
	v_cndmask_b32_e32 v89, v90, v88, vcc_lo
; %bb.32:
	s_or_b32 exec_lo, exec_lo, s3
	v_and_b32_e32 v88, 0x7f800000, v87
	s_delay_alu instid0(VALU_DEP_1) | instskip(SKIP_1) | instid1(SALU_CYCLE_1)
	v_cmp_ne_u32_e32 vcc_lo, 0x7f800000, v88
                                        ; implicit-def: $vgpr88
	s_and_saveexec_b32 s3, vcc_lo
	s_xor_b32 s3, exec_lo, s3
; %bb.33:
	v_bfe_u32 v88, v87, 16, 1
	s_delay_alu instid0(VALU_DEP_1)
	v_add3_u32 v88, v87, v88, 0x7fff
                                        ; implicit-def: $vgpr87
; %bb.34:
	s_and_not1_saveexec_b32 s3, s3
; %bb.35:
	v_and_b32_e32 v88, 0xffff, v87
	v_or_b32_e32 v90, 0x10000, v87
	s_delay_alu instid0(VALU_DEP_2) | instskip(NEXT) | instid1(VALU_DEP_2)
	v_cmp_eq_u32_e32 vcc_lo, 0, v88
	v_cndmask_b32_e32 v88, v90, v87, vcc_lo
; %bb.36:
	s_or_b32 exec_lo, exec_lo, s3
	v_and_b32_e32 v87, 0x7f800000, v84
	s_delay_alu instid0(VALU_DEP_1) | instskip(SKIP_1) | instid1(SALU_CYCLE_1)
	v_cmp_ne_u32_e32 vcc_lo, 0x7f800000, v87
                                        ; implicit-def: $vgpr87
	s_and_saveexec_b32 s3, vcc_lo
	s_xor_b32 s3, exec_lo, s3
; %bb.37:
	v_bfe_u32 v87, v84, 16, 1
	s_delay_alu instid0(VALU_DEP_1)
	v_add3_u32 v87, v84, v87, 0x7fff
                                        ; implicit-def: $vgpr84
; %bb.38:
	s_and_not1_saveexec_b32 s3, s3
; %bb.39:
	v_and_b32_e32 v87, 0xffff, v84
	v_or_b32_e32 v90, 0x10000, v84
	s_delay_alu instid0(VALU_DEP_2) | instskip(NEXT) | instid1(VALU_DEP_2)
	v_cmp_eq_u32_e32 vcc_lo, 0, v87
	v_cndmask_b32_e32 v87, v90, v84, vcc_lo
; %bb.40:
	s_or_b32 exec_lo, exec_lo, s3
	v_and_b32_e32 v84, 0x7f800000, v80
	s_delay_alu instid0(VALU_DEP_1) | instskip(SKIP_1) | instid1(SALU_CYCLE_1)
	v_cmp_ne_u32_e32 vcc_lo, 0x7f800000, v84
                                        ; implicit-def: $vgpr84
	s_and_saveexec_b32 s3, vcc_lo
	s_xor_b32 s3, exec_lo, s3
; %bb.41:
	v_bfe_u32 v84, v80, 16, 1
	s_delay_alu instid0(VALU_DEP_1)
	v_add3_u32 v84, v80, v84, 0x7fff
                                        ; implicit-def: $vgpr80
; %bb.42:
	s_and_not1_saveexec_b32 s3, s3
; %bb.43:
	v_and_b32_e32 v84, 0xffff, v80
	v_or_b32_e32 v90, 0x10000, v80
	s_delay_alu instid0(VALU_DEP_2) | instskip(NEXT) | instid1(VALU_DEP_2)
	v_cmp_eq_u32_e32 vcc_lo, 0, v84
	v_cndmask_b32_e32 v84, v90, v80, vcc_lo
; %bb.44:
	s_or_b32 exec_lo, exec_lo, s3
	s_load_b64 s[34:35], s[0:1], 0x94
	v_lshlrev_b32_e32 v91, 4, v74
	s_delay_alu instid0(VALU_DEP_2)
	v_perm_b32 v90, v84, v87, 0x7060302
	v_dual_mul_f32 v79, v82, v79 :: v_dual_lshlrev_b32 v80, 6, v65
	v_dual_mul_f32 v77, v82, v77 :: v_dual_lshlrev_b32 v92, 11, v66
	v_mul_f32_e32 v84, v82, v70
	v_perm_b32 v89, v88, v89, 0x7060302
	v_perm_b32 v88, v86, v85, 0x7060302
	;; [unrolled: 1-line block ×3, first 2 shown]
	v_mul_f32_e32 v70, v82, v81
	v_or3_b32 v76, v91, v92, v80
	v_dual_mul_f32 v78, v82, v78 :: v_dual_and_b32 v85, 0x7f800000, v84
	v_mul_f32_e32 v83, v82, v72
	v_mul_f32_e32 v81, v82, v71
	;; [unrolled: 1-line block ×3, first 2 shown]
	s_mov_b32 s3, exec_lo
	ds_store_b128 v76, v[87:90]
                                        ; implicit-def: $vgpr69
	v_cmpx_ne_u32_e32 0x7f800000, v85
	s_xor_b32 s3, exec_lo, s3
; %bb.45:
	v_bfe_u32 v69, v84, 16, 1
	s_delay_alu instid0(VALU_DEP_1)
	v_add3_u32 v69, v84, v69, 0x7fff
                                        ; implicit-def: $vgpr84
; %bb.46:
	s_and_not1_saveexec_b32 s3, s3
; %bb.47:
	v_and_b32_e32 v69, 0xffff, v84
	v_or_b32_e32 v71, 0x10000, v84
	s_delay_alu instid0(VALU_DEP_2) | instskip(NEXT) | instid1(VALU_DEP_2)
	v_cmp_eq_u32_e32 vcc_lo, 0, v69
	v_cndmask_b32_e32 v69, v71, v84, vcc_lo
; %bb.48:
	s_or_b32 exec_lo, exec_lo, s3
	v_and_b32_e32 v71, 0x7f800000, v72
	s_delay_alu instid0(VALU_DEP_1) | instskip(SKIP_1) | instid1(SALU_CYCLE_1)
	v_cmp_ne_u32_e32 vcc_lo, 0x7f800000, v71
                                        ; implicit-def: $vgpr71
	s_and_saveexec_b32 s3, vcc_lo
	s_xor_b32 s3, exec_lo, s3
; %bb.49:
	v_bfe_u32 v71, v72, 16, 1
	s_delay_alu instid0(VALU_DEP_1)
	v_add3_u32 v71, v72, v71, 0x7fff
                                        ; implicit-def: $vgpr72
; %bb.50:
	s_and_not1_saveexec_b32 s3, s3
; %bb.51:
	v_and_b32_e32 v71, 0xffff, v72
	v_or_b32_e32 v82, 0x10000, v72
	s_delay_alu instid0(VALU_DEP_2) | instskip(NEXT) | instid1(VALU_DEP_2)
	v_cmp_eq_u32_e32 vcc_lo, 0, v71
	v_cndmask_b32_e32 v71, v82, v72, vcc_lo
; %bb.52:
	s_or_b32 exec_lo, exec_lo, s3
	v_and_b32_e32 v72, 0x7f800000, v81
	s_delay_alu instid0(VALU_DEP_1) | instskip(SKIP_1) | instid1(SALU_CYCLE_1)
	v_cmp_ne_u32_e32 vcc_lo, 0x7f800000, v72
                                        ; implicit-def: $vgpr72
	s_and_saveexec_b32 s3, vcc_lo
	s_xor_b32 s3, exec_lo, s3
; %bb.53:
	v_bfe_u32 v72, v81, 16, 1
	s_delay_alu instid0(VALU_DEP_1)
	v_add3_u32 v72, v81, v72, 0x7fff
                                        ; implicit-def: $vgpr81
; %bb.54:
	s_and_not1_saveexec_b32 s3, s3
; %bb.55:
	v_and_b32_e32 v72, 0xffff, v81
	v_or_b32_e32 v82, 0x10000, v81
	s_delay_alu instid0(VALU_DEP_2) | instskip(NEXT) | instid1(VALU_DEP_2)
	v_cmp_eq_u32_e32 vcc_lo, 0, v72
	v_cndmask_b32_e32 v72, v82, v81, vcc_lo
; %bb.56:
	s_or_b32 exec_lo, exec_lo, s3
	v_and_b32_e32 v81, 0x7f800000, v83
	s_delay_alu instid0(VALU_DEP_1) | instskip(SKIP_1) | instid1(SALU_CYCLE_1)
	v_cmp_ne_u32_e32 vcc_lo, 0x7f800000, v81
                                        ; implicit-def: $vgpr81
	s_and_saveexec_b32 s3, vcc_lo
	s_xor_b32 s3, exec_lo, s3
; %bb.57:
	v_bfe_u32 v81, v83, 16, 1
	s_delay_alu instid0(VALU_DEP_1)
	v_add3_u32 v81, v83, v81, 0x7fff
                                        ; implicit-def: $vgpr83
; %bb.58:
	s_and_not1_saveexec_b32 s3, s3
; %bb.59:
	v_and_b32_e32 v81, 0xffff, v83
	v_or_b32_e32 v82, 0x10000, v83
	s_delay_alu instid0(VALU_DEP_2) | instskip(NEXT) | instid1(VALU_DEP_2)
	v_cmp_eq_u32_e32 vcc_lo, 0, v81
	v_cndmask_b32_e32 v81, v82, v83, vcc_lo
; %bb.60:
	s_or_b32 exec_lo, exec_lo, s3
	v_and_b32_e32 v82, 0x7f800000, v77
	s_delay_alu instid0(VALU_DEP_1) | instskip(SKIP_1) | instid1(SALU_CYCLE_1)
	v_cmp_ne_u32_e32 vcc_lo, 0x7f800000, v82
                                        ; implicit-def: $vgpr82
	s_and_saveexec_b32 s3, vcc_lo
	s_xor_b32 s3, exec_lo, s3
; %bb.61:
	v_bfe_u32 v82, v77, 16, 1
	s_delay_alu instid0(VALU_DEP_1)
	v_add3_u32 v82, v77, v82, 0x7fff
                                        ; implicit-def: $vgpr77
; %bb.62:
	s_and_not1_saveexec_b32 s3, s3
; %bb.63:
	v_and_b32_e32 v82, 0xffff, v77
	v_or_b32_e32 v83, 0x10000, v77
	s_delay_alu instid0(VALU_DEP_2) | instskip(NEXT) | instid1(VALU_DEP_2)
	v_cmp_eq_u32_e32 vcc_lo, 0, v82
	v_cndmask_b32_e32 v82, v83, v77, vcc_lo
; %bb.64:
	s_or_b32 exec_lo, exec_lo, s3
	v_and_b32_e32 v77, 0x7f800000, v78
	s_delay_alu instid0(VALU_DEP_1) | instskip(SKIP_1) | instid1(SALU_CYCLE_1)
	v_cmp_ne_u32_e32 vcc_lo, 0x7f800000, v77
                                        ; implicit-def: $vgpr77
	s_and_saveexec_b32 s3, vcc_lo
	s_xor_b32 s3, exec_lo, s3
; %bb.65:
	v_bfe_u32 v77, v78, 16, 1
	s_delay_alu instid0(VALU_DEP_1)
	v_add3_u32 v77, v78, v77, 0x7fff
                                        ; implicit-def: $vgpr78
; %bb.66:
	s_and_not1_saveexec_b32 s3, s3
; %bb.67:
	v_and_b32_e32 v77, 0xffff, v78
	v_or_b32_e32 v83, 0x10000, v78
	s_delay_alu instid0(VALU_DEP_2) | instskip(NEXT) | instid1(VALU_DEP_2)
	v_cmp_eq_u32_e32 vcc_lo, 0, v77
	v_cndmask_b32_e32 v77, v83, v78, vcc_lo
; %bb.68:
	s_or_b32 exec_lo, exec_lo, s3
	v_and_b32_e32 v78, 0x7f800000, v79
	s_delay_alu instid0(VALU_DEP_1) | instskip(SKIP_1) | instid1(SALU_CYCLE_1)
	v_cmp_ne_u32_e32 vcc_lo, 0x7f800000, v78
                                        ; implicit-def: $vgpr78
	s_and_saveexec_b32 s3, vcc_lo
	s_xor_b32 s3, exec_lo, s3
; %bb.69:
	v_bfe_u32 v78, v79, 16, 1
	s_delay_alu instid0(VALU_DEP_1)
	v_add3_u32 v78, v79, v78, 0x7fff
                                        ; implicit-def: $vgpr79
; %bb.70:
	s_and_not1_saveexec_b32 s3, s3
; %bb.71:
	v_and_b32_e32 v78, 0xffff, v79
	v_or_b32_e32 v83, 0x10000, v79
	s_delay_alu instid0(VALU_DEP_2) | instskip(NEXT) | instid1(VALU_DEP_2)
	v_cmp_eq_u32_e32 vcc_lo, 0, v78
	v_cndmask_b32_e32 v78, v83, v79, vcc_lo
; %bb.72:
	s_or_b32 exec_lo, exec_lo, s3
	v_and_b32_e32 v79, 0x7f800000, v70
	s_delay_alu instid0(VALU_DEP_1) | instskip(SKIP_1) | instid1(SALU_CYCLE_1)
	v_cmp_ne_u32_e32 vcc_lo, 0x7f800000, v79
                                        ; implicit-def: $vgpr79
	s_and_saveexec_b32 s3, vcc_lo
	s_xor_b32 s3, exec_lo, s3
; %bb.73:
	v_bfe_u32 v79, v70, 16, 1
	s_delay_alu instid0(VALU_DEP_1)
	v_add3_u32 v79, v70, v79, 0x7fff
                                        ; implicit-def: $vgpr70
; %bb.74:
	s_and_not1_saveexec_b32 s3, s3
; %bb.75:
	v_and_b32_e32 v79, 0xffff, v70
	v_or_b32_e32 v83, 0x10000, v70
	s_delay_alu instid0(VALU_DEP_2) | instskip(NEXT) | instid1(VALU_DEP_2)
	v_cmp_eq_u32_e32 vcc_lo, 0, v79
	v_cndmask_b32_e32 v79, v83, v70, vcc_lo
; %bb.76:
	s_or_b32 exec_lo, exec_lo, s3
	s_delay_alu instid0(VALU_DEP_1)
	v_perm_b32 v86, v79, v78, 0x7060302
	v_perm_b32 v85, v77, v82, 0x7060302
	;; [unrolled: 1-line block ×4, first 2 shown]
	v_lshl_or_b32 v82, v66, 11, v80
	ds_store_b128 v76, v[83:86] offset:1024
	s_waitcnt lgkmcnt(0)
	s_barrier
	buffer_gl0_inv
	ds_load_b128 v[69:72], v82
	ds_load_b128 v[83:86], v82 offset:16
	s_waitcnt lgkmcnt(1)
	v_lshrrev_b32_e32 v66, 16, v69
	s_waitcnt lgkmcnt(0)
	v_lshrrev_b32_e32 v91, 16, v83
	v_lshlrev_b32_e32 v78, 2, v74
	v_lshrrev_b32_e32 v95, 16, v70
	v_lshrrev_b32_e32 v98, 16, v84
	;; [unrolled: 1-line block ×4, first 2 shown]
	v_cmp_eq_u32_e32 vcc_lo, 1, v78
	v_lshrrev_b32_e32 v97, 16, v72
	v_lshrrev_b32_e32 v100, 16, v86
	v_cndmask_b32_e32 v87, v83, v91, vcc_lo
	v_or_b32_e32 v79, 1, v78
	v_cndmask_b32_e32 v81, v69, v66, vcc_lo
	v_cmp_eq_u32_e64 s4, 2, v78
	v_cmp_eq_u32_e64 s7, 3, v78
	;; [unrolled: 1-line block ×5, first 2 shown]
	v_cndmask_b32_e64 v81, v81, v70, s4
	v_cndmask_b32_e64 v87, v87, v84, s4
	v_cmp_eq_u32_e64 s8, 3, v79
	v_cndmask_b32_e64 v88, v69, v66, s3
	v_or_b32_e32 v77, 2, v78
	v_cndmask_b32_e64 v81, v81, v95, s7
	v_cndmask_b32_e64 v87, v87, v98, s7
	;; [unrolled: 1-line block ×4, first 2 shown]
	v_cmp_eq_u32_e64 s10, 5, v78
	v_cndmask_b32_e64 v81, v81, v71, s9
	v_cndmask_b32_e64 v87, v87, v85, s9
	v_cmp_eq_u32_e64 s11, 4, v79
	v_cndmask_b32_e64 v88, v88, v95, s8
	v_cmp_eq_u32_e64 s5, 1, v77
	v_cndmask_b32_e64 v89, v89, v84, s6
	v_cndmask_b32_e64 v81, v81, v96, s10
	v_cmp_eq_u32_e64 s12, 6, v78
	v_cndmask_b32_e64 v88, v88, v71, s11
	;; [unrolled: 3-line block ×3, first 2 shown]
	v_cndmask_b32_e64 v89, v89, v98, s8
	v_cndmask_b32_e64 v81, v81, v72, s12
	v_cmp_eq_u32_e64 s15, 7, v78
	v_cndmask_b32_e64 v88, v88, v96, s13
	v_cndmask_b32_e64 v87, v87, v86, s12
	v_cmp_eq_u32_e64 s16, 6, v79
	v_cmp_eq_u32_e64 s17, 2, v77
	v_cndmask_b32_e64 v89, v89, v85, s11
	v_cndmask_b32_e64 v101, v81, v97, s15
	;; [unrolled: 1-line block ×6, first 2 shown]
	v_cmp_eq_u32_e64 s18, 7, v79
	v_cmp_eq_u32_e64 s19, 3, v77
	;; [unrolled: 1-line block ×4, first 2 shown]
	v_cndmask_b32_e64 v87, v87, v84, s17
	v_cndmask_b32_e64 v103, v88, v97, s18
	;; [unrolled: 1-line block ×4, first 2 shown]
	v_or_b32_e32 v81, 3, v78
	v_cndmask_b32_e64 v93, v87, v98, s19
	v_cmp_eq_u32_e64 s24, 6, v77
	v_cndmask_b32_e64 v104, v88, v86, s16
	v_cndmask_b32_e64 v92, v89, v71, s20
	v_cmp_eq_u32_e64 s21, 1, v81
	ds_load_b128 v[87:90], v82 offset:1024
	v_cmp_eq_u32_e64 s23, 2, v81
	v_cmp_eq_u32_e64 s25, 3, v81
	v_cndmask_b32_e64 v105, v92, v96, s22
	v_cndmask_b32_e64 v66, v69, v66, s21
	;; [unrolled: 1-line block ×4, first 2 shown]
	ds_load_b128 v[91:94], v82 offset:1040
	v_cmp_eq_u32_e64 s26, 4, v81
	v_cndmask_b32_e64 v66, v66, v70, s23
	v_cmp_eq_u32_e64 s27, 7, v77
	v_cndmask_b32_e64 v70, v83, v84, s23
	v_cndmask_b32_e64 v84, v105, v72, s24
	v_cmp_eq_u32_e64 s28, 5, v81
	v_cndmask_b32_e64 v66, v66, v95, s25
	v_cmp_eq_u32_e64 s29, 6, v81
	v_cndmask_b32_e64 v70, v70, v98, s25
	v_cndmask_b32_e64 v69, v69, v99, s22
	;; [unrolled: 1-line block ×4, first 2 shown]
	s_waitcnt lgkmcnt(1)
	v_lshrrev_b32_e32 v95, 16, v87
	v_cndmask_b32_e64 v70, v70, v85, s26
	v_cndmask_b32_e64 v71, v84, v97, s27
	;; [unrolled: 1-line block ×4, first 2 shown]
	v_cndmask_b32_e32 v84, v87, v95, vcc_lo
	v_cndmask_b32_e64 v70, v70, v99, s28
	s_waitcnt lgkmcnt(0)
	v_lshrrev_b32_e32 v85, 16, v91
	v_lshrrev_b32_e32 v96, 16, v88
	v_cndmask_b32_e64 v98, v87, v95, s3
	v_cndmask_b32_e64 v84, v84, v88, s4
	;; [unrolled: 1-line block ×3, first 2 shown]
	v_cndmask_b32_e32 v99, v91, v85, vcc_lo
	v_cmp_eq_u32_e32 vcc_lo, 7, v81
	v_cndmask_b32_e64 v66, v66, v72, s29
	v_cndmask_b32_e64 v72, v84, v96, s7
	;; [unrolled: 1-line block ×3, first 2 shown]
	v_lshrrev_b32_e32 v98, 16, v92
	v_cndmask_b32_e32 v70, v70, v100, vcc_lo
	v_cndmask_b32_e64 v86, v99, v92, s4
	v_cndmask_b32_e64 v69, v69, v100, s27
	v_lshrrev_b32_e32 v100, 16, v93
	v_cndmask_b32_e64 v72, v72, v89, s9
	v_lshrrev_b32_e32 v99, 16, v89
	v_cndmask_b32_e64 v86, v86, v98, s7
	v_perm_b32 v71, v69, v71, 0x5040100
	v_cndmask_b32_e64 v84, v84, v96, s8
	s_delay_alu instid0(VALU_DEP_3) | instskip(NEXT) | instid1(VALU_DEP_2)
	v_cndmask_b32_e64 v86, v86, v93, s9
	v_cndmask_b32_e64 v84, v84, v89, s11
	s_delay_alu instid0(VALU_DEP_2) | instskip(NEXT) | instid1(VALU_DEP_1)
	v_cndmask_b32_e64 v86, v86, v100, s10
	v_cndmask_b32_e64 v69, v86, v94, s12
	;; [unrolled: 1-line block ×5, first 2 shown]
	s_delay_alu instid0(VALU_DEP_3) | instskip(NEXT) | instid1(VALU_DEP_3)
	v_cndmask_b32_e64 v86, v86, v88, s17
	v_cndmask_b32_e64 v87, v87, v88, s23
	s_delay_alu instid0(VALU_DEP_3) | instskip(NEXT) | instid1(VALU_DEP_3)
	v_cndmask_b32_e64 v88, v95, v92, s23
	v_cndmask_b32_e64 v86, v86, v96, s19
	;; [unrolled: 3-line block ×7, first 2 shown]
	s_delay_alu instid0(VALU_DEP_3) | instskip(SKIP_2) | instid1(VALU_DEP_2)
	v_cndmask_b32_e64 v88, v88, v94, s29
	v_cndmask_b32_e32 v66, v66, v97, vcc_lo
	v_cndmask_b32_e64 v97, v72, v99, s10
	v_perm_b32 v72, v70, v66, 0x5040100
	v_perm_b32 v70, v83, v103, 0x5040100
	v_cndmask_b32_e64 v103, v91, v85, s5
	v_cndmask_b32_e64 v85, v91, v85, s3
	;; [unrolled: 1-line block ×4, first 2 shown]
	v_lshrrev_b32_e32 v97, 16, v90
	v_cndmask_b32_e64 v91, v103, v92, s17
	v_cndmask_b32_e64 v85, v85, v92, s6
	v_cndmask_b32_e64 v66, v66, v90, s16
	s_mov_b32 s3, exec_lo
	v_cndmask_b32_e64 v83, v84, v97, s15
	v_cndmask_b32_e64 v91, v91, v98, s19
	;; [unrolled: 1-line block ×3, first 2 shown]
	v_lshrrev_b32_e32 v84, 16, v94
	v_cndmask_b32_e64 v66, v66, v97, s18
	v_cndmask_b32_e64 v90, v86, v97, s27
	;; [unrolled: 1-line block ×4, first 2 shown]
	v_dual_cndmask_b32 v86, v87, v97 :: v_dual_cndmask_b32 v87, v88, v84
	v_cndmask_b32_e64 v91, v69, v84, s15
	s_delay_alu instid0(VALU_DEP_4) | instskip(NEXT) | instid1(VALU_DEP_4)
	v_cndmask_b32_e64 v89, v89, v100, s22
	v_cndmask_b32_e64 v85, v85, v100, s13
	v_perm_b32 v69, v102, v101, 0x5040100
	v_perm_b32 v86, v87, v86, 0x5040100
	;; [unrolled: 1-line block ×3, first 2 shown]
	v_cndmask_b32_e64 v89, v89, v94, s24
	v_cndmask_b32_e64 v85, v85, v94, s16
	s_mul_i32 s8, s35, 15
	s_delay_alu instid0(VALU_DEP_2) | instskip(NEXT) | instid1(VALU_DEP_2)
	v_cndmask_b32_e64 v88, v89, v84, s27
	v_cndmask_b32_e64 v89, v85, v84, s18
	s_delay_alu instid0(VALU_DEP_2) | instskip(NEXT) | instid1(VALU_DEP_2)
	v_perm_b32 v85, v88, v90, 0x5040100
	v_perm_b32 v84, v89, v66, 0x5040100
	ds_store_b128 v76, v[69:72]
	ds_store_b128 v76, v[83:86] offset:1024
	v_cmpx_gt_u32_e32 15, v0
	s_cbranch_execz .LBB1852_78
; %bb.77:
	s_mul_i32 s4, s8, s30
	s_delay_alu instid0(SALU_CYCLE_1) | instskip(SKIP_1) | instid1(VALU_DEP_1)
	v_add3_u32 v69, s4, s31, v65
	s_load_b128 s[4:7], s[0:1], 0x58
	v_mad_u64_u32 v[65:66], null, v69, s34, s[14:15]
	s_delay_alu instid0(VALU_DEP_1) | instskip(NEXT) | instid1(VALU_DEP_1)
	v_ashrrev_i32_e32 v66, 31, v65
	v_lshlrev_b64 v[65:66], 2, v[65:66]
	s_waitcnt lgkmcnt(0)
	s_delay_alu instid0(VALU_DEP_1) | instskip(NEXT) | instid1(VALU_DEP_2)
	v_add_co_u32 v69, vcc_lo, s6, v65
	v_add_co_ci_u32_e32 v70, vcc_lo, s7, v66, vcc_lo
	v_add_co_u32 v65, vcc_lo, s4, v65
	v_add_co_ci_u32_e32 v66, vcc_lo, s5, v66, vcc_lo
	global_store_b32 v[69:70], v67, off
	global_store_b32 v[65:66], v68, off
.LBB1852_78:
	s_or_b32 exec_lo, exec_lo, s3
	s_waitcnt lgkmcnt(0)
	s_waitcnt_vscnt null, 0x0
	s_barrier
	buffer_gl0_inv
	ds_load_b128 v[83:86], v80
	ds_load_b128 v[87:90], v80 offset:16
	ds_load_b128 v[95:98], v80 offset:2064
	;; [unrolled: 1-line block ×3, first 2 shown]
	v_mov_b32_e32 v65, 0
	ds_load_b128 v[103:106], v80 offset:4112
	ds_load_b128 v[99:102], v80 offset:4096
	;; [unrolled: 1-line block ×4, first 2 shown]
	v_mov_b32_e32 v66, v65
	v_mov_b32_e32 v67, v65
	;; [unrolled: 1-line block ×7, first 2 shown]
	s_waitcnt lgkmcnt(6)
	s_delay_alu instid0(VALU_DEP_1)
	v_wmma_f32_16x16x16_bf16 v[65:72], v[49:56], v[83:90], v[65:72]
	ds_load_b128 v[53:56], v80 offset:8208
	ds_load_b128 v[49:52], v80 offset:8192
	s_waitcnt lgkmcnt(6)
	v_wmma_f32_16x16x16_bf16 v[65:72], v[41:48], v[91:98], v[65:72]
	ds_load_b128 v[45:48], v80 offset:10256
	ds_load_b128 v[41:44], v80 offset:10240
	s_waitcnt lgkmcnt(6)
	;; [unrolled: 4-line block ×4, first 2 shown]
	v_wmma_f32_16x16x16_bf16 v[65:72], v[1:8], v[49:56], v[65:72]
	s_waitcnt lgkmcnt(4)
	s_delay_alu instid0(VALU_DEP_1) | instskip(SKIP_1) | instid1(VALU_DEP_1)
	v_wmma_f32_16x16x16_bf16 v[65:72], v[9:16], v[41:48], v[65:72]
	s_waitcnt lgkmcnt(2)
	v_wmma_f32_16x16x16_bf16 v[65:72], v[17:24], v[33:40], v[65:72]
	s_waitcnt lgkmcnt(0)
	s_delay_alu instid0(VALU_DEP_1) | instskip(NEXT) | instid1(VALU_DEP_1)
	v_wmma_f32_16x16x16_bf16 v[65:72], v[57:64], v[25:32], v[65:72]
	v_and_b32_e32 v1, 0x7f800000, v65
	s_delay_alu instid0(VALU_DEP_1) | instskip(SKIP_1) | instid1(SALU_CYCLE_1)
	v_cmp_ne_u32_e32 vcc_lo, 0x7f800000, v1
                                        ; implicit-def: $vgpr1
	s_and_saveexec_b32 s3, vcc_lo
	s_xor_b32 s3, exec_lo, s3
; %bb.79:
	v_bfe_u32 v1, v65, 16, 1
	s_delay_alu instid0(VALU_DEP_1)
	v_add3_u32 v1, v65, v1, 0x7fff
; %bb.80:
	s_and_not1_saveexec_b32 s3, s3
; %bb.81:
	v_and_b32_e32 v1, 0xffff, v65
	v_or_b32_e32 v2, 0x10000, v65
	s_delay_alu instid0(VALU_DEP_2) | instskip(NEXT) | instid1(VALU_DEP_2)
	v_cmp_eq_u32_e32 vcc_lo, 0, v1
	v_cndmask_b32_e32 v1, v2, v65, vcc_lo
; %bb.82:
	s_or_b32 exec_lo, exec_lo, s3
	v_and_b32_e32 v2, 0x7f800000, v66
	s_delay_alu instid0(VALU_DEP_1) | instskip(SKIP_1) | instid1(SALU_CYCLE_1)
	v_cmp_ne_u32_e32 vcc_lo, 0x7f800000, v2
                                        ; implicit-def: $vgpr2
	s_and_saveexec_b32 s3, vcc_lo
	s_xor_b32 s3, exec_lo, s3
; %bb.83:
	v_bfe_u32 v2, v66, 16, 1
	s_delay_alu instid0(VALU_DEP_1)
	v_add3_u32 v2, v66, v2, 0x7fff
; %bb.84:
	s_and_not1_saveexec_b32 s3, s3
; %bb.85:
	v_and_b32_e32 v2, 0xffff, v66
	v_or_b32_e32 v3, 0x10000, v66
	s_delay_alu instid0(VALU_DEP_2) | instskip(NEXT) | instid1(VALU_DEP_2)
	v_cmp_eq_u32_e32 vcc_lo, 0, v2
	v_cndmask_b32_e32 v2, v3, v66, vcc_lo
; %bb.86:
	s_or_b32 exec_lo, exec_lo, s3
	v_and_b32_e32 v3, 0x7f800000, v67
	s_delay_alu instid0(VALU_DEP_1) | instskip(SKIP_1) | instid1(SALU_CYCLE_1)
	v_cmp_ne_u32_e32 vcc_lo, 0x7f800000, v3
                                        ; implicit-def: $vgpr3
	s_and_saveexec_b32 s3, vcc_lo
	s_xor_b32 s3, exec_lo, s3
; %bb.87:
	v_bfe_u32 v3, v67, 16, 1
	s_delay_alu instid0(VALU_DEP_1)
	v_add3_u32 v3, v67, v3, 0x7fff
; %bb.88:
	s_and_not1_saveexec_b32 s3, s3
; %bb.89:
	v_and_b32_e32 v3, 0xffff, v67
	v_or_b32_e32 v4, 0x10000, v67
	s_delay_alu instid0(VALU_DEP_2) | instskip(NEXT) | instid1(VALU_DEP_2)
	v_cmp_eq_u32_e32 vcc_lo, 0, v3
	v_cndmask_b32_e32 v3, v4, v67, vcc_lo
; %bb.90:
	s_or_b32 exec_lo, exec_lo, s3
	v_and_b32_e32 v4, 0x7f800000, v68
	s_delay_alu instid0(VALU_DEP_1) | instskip(SKIP_1) | instid1(SALU_CYCLE_1)
	v_cmp_ne_u32_e32 vcc_lo, 0x7f800000, v4
                                        ; implicit-def: $vgpr4
	s_and_saveexec_b32 s3, vcc_lo
	s_xor_b32 s3, exec_lo, s3
; %bb.91:
	v_bfe_u32 v4, v68, 16, 1
	s_delay_alu instid0(VALU_DEP_1)
	v_add3_u32 v4, v68, v4, 0x7fff
; %bb.92:
	s_and_not1_saveexec_b32 s3, s3
; %bb.93:
	v_and_b32_e32 v4, 0xffff, v68
	v_or_b32_e32 v5, 0x10000, v68
	s_delay_alu instid0(VALU_DEP_2) | instskip(NEXT) | instid1(VALU_DEP_2)
	v_cmp_eq_u32_e32 vcc_lo, 0, v4
	v_cndmask_b32_e32 v4, v5, v68, vcc_lo
; %bb.94:
	s_or_b32 exec_lo, exec_lo, s3
	v_and_b32_e32 v5, 0x7f800000, v69
	s_delay_alu instid0(VALU_DEP_1) | instskip(SKIP_1) | instid1(SALU_CYCLE_1)
	v_cmp_ne_u32_e32 vcc_lo, 0x7f800000, v5
                                        ; implicit-def: $vgpr5
	s_and_saveexec_b32 s3, vcc_lo
	s_xor_b32 s3, exec_lo, s3
; %bb.95:
	v_bfe_u32 v5, v69, 16, 1
	s_delay_alu instid0(VALU_DEP_1)
	v_add3_u32 v5, v69, v5, 0x7fff
; %bb.96:
	s_and_not1_saveexec_b32 s3, s3
; %bb.97:
	v_and_b32_e32 v5, 0xffff, v69
	v_or_b32_e32 v6, 0x10000, v69
	s_delay_alu instid0(VALU_DEP_2) | instskip(NEXT) | instid1(VALU_DEP_2)
	v_cmp_eq_u32_e32 vcc_lo, 0, v5
	v_cndmask_b32_e32 v5, v6, v69, vcc_lo
; %bb.98:
	s_or_b32 exec_lo, exec_lo, s3
	v_and_b32_e32 v6, 0x7f800000, v70
	s_delay_alu instid0(VALU_DEP_1) | instskip(SKIP_1) | instid1(SALU_CYCLE_1)
	v_cmp_ne_u32_e32 vcc_lo, 0x7f800000, v6
                                        ; implicit-def: $vgpr6
	s_and_saveexec_b32 s3, vcc_lo
	s_xor_b32 s3, exec_lo, s3
; %bb.99:
	v_bfe_u32 v6, v70, 16, 1
	s_delay_alu instid0(VALU_DEP_1)
	v_add3_u32 v6, v70, v6, 0x7fff
; %bb.100:
	s_and_not1_saveexec_b32 s3, s3
; %bb.101:
	v_and_b32_e32 v6, 0xffff, v70
	v_or_b32_e32 v7, 0x10000, v70
	s_delay_alu instid0(VALU_DEP_2) | instskip(NEXT) | instid1(VALU_DEP_2)
	v_cmp_eq_u32_e32 vcc_lo, 0, v6
	v_cndmask_b32_e32 v6, v7, v70, vcc_lo
; %bb.102:
	s_or_b32 exec_lo, exec_lo, s3
	v_and_b32_e32 v7, 0x7f800000, v71
	s_delay_alu instid0(VALU_DEP_1) | instskip(SKIP_1) | instid1(SALU_CYCLE_1)
	v_cmp_ne_u32_e32 vcc_lo, 0x7f800000, v7
                                        ; implicit-def: $vgpr7
	s_and_saveexec_b32 s3, vcc_lo
	s_xor_b32 s3, exec_lo, s3
; %bb.103:
	v_bfe_u32 v7, v71, 16, 1
	s_delay_alu instid0(VALU_DEP_1)
	v_add3_u32 v7, v71, v7, 0x7fff
; %bb.104:
	s_and_not1_saveexec_b32 s3, s3
; %bb.105:
	v_and_b32_e32 v7, 0xffff, v71
	v_or_b32_e32 v8, 0x10000, v71
	s_delay_alu instid0(VALU_DEP_2) | instskip(NEXT) | instid1(VALU_DEP_2)
	v_cmp_eq_u32_e32 vcc_lo, 0, v7
	v_cndmask_b32_e32 v7, v8, v71, vcc_lo
; %bb.106:
	s_or_b32 exec_lo, exec_lo, s3
	v_and_b32_e32 v8, 0x7f800000, v72
	s_delay_alu instid0(VALU_DEP_1) | instskip(SKIP_1) | instid1(SALU_CYCLE_1)
	v_cmp_ne_u32_e32 vcc_lo, 0x7f800000, v8
                                        ; implicit-def: $vgpr8
	s_and_saveexec_b32 s3, vcc_lo
	s_xor_b32 s3, exec_lo, s3
; %bb.107:
	v_bfe_u32 v8, v72, 16, 1
	s_delay_alu instid0(VALU_DEP_1)
	v_add3_u32 v8, v72, v8, 0x7fff
                                        ; implicit-def: $vgpr65_vgpr66_vgpr67_vgpr68_vgpr69_vgpr70_vgpr71_vgpr72
; %bb.108:
	s_and_not1_saveexec_b32 s3, s3
; %bb.109:
	v_and_b32_e32 v8, 0xffff, v72
	v_or_b32_e32 v9, 0x10000, v72
	s_delay_alu instid0(VALU_DEP_2) | instskip(NEXT) | instid1(VALU_DEP_2)
	v_cmp_eq_u32_e32 vcc_lo, 0, v8
	v_cndmask_b32_e32 v8, v9, v72, vcc_lo
; %bb.110:
	s_or_b32 exec_lo, exec_lo, s3
	s_delay_alu instid0(VALU_DEP_1)
	v_perm_b32 v7, v8, v7, 0x7060302
	v_perm_b32 v6, v6, v5, 0x7060302
	;; [unrolled: 1-line block ×4, first 2 shown]
	s_barrier
	buffer_gl0_inv
	v_cmp_eq_u32_e32 vcc_lo, 1, v78
	ds_store_b128 v76, v[4:7]
	s_waitcnt lgkmcnt(0)
	s_barrier
	buffer_gl0_inv
	ds_load_b128 v[1:4], v82
	ds_load_b128 v[5:8], v82 offset:16
	v_cmp_eq_u32_e64 s3, 1, v79
	v_cmp_eq_u32_e64 s4, 2, v78
	;; [unrolled: 1-line block ×5, first 2 shown]
	s_waitcnt lgkmcnt(1)
	v_lshrrev_b32_e32 v9, 16, v1
	s_waitcnt lgkmcnt(0)
	v_lshrrev_b32_e32 v13, 16, v5
	v_lshrrev_b32_e32 v10, 16, v2
	v_lshrrev_b32_e32 v14, 16, v6
	v_lshrrev_b32_e32 v11, 16, v3
	v_cndmask_b32_e64 v19, v1, v9, s3
	v_cndmask_b32_e32 v18, v5, v13, vcc_lo
	v_cndmask_b32_e64 v20, v5, v13, s3
	v_cndmask_b32_e32 v17, v1, v9, vcc_lo
	v_cmp_eq_u32_e32 vcc_lo, 2, v79
	v_lshrrev_b32_e32 v15, 16, v7
	v_cmp_eq_u32_e64 s3, 1, v77
	v_lshrrev_b32_e32 v12, 16, v4
	v_lshrrev_b32_e32 v16, 16, v8
	v_cndmask_b32_e32 v20, v20, v6, vcc_lo
	v_cndmask_b32_e64 v17, v17, v2, s4
	v_cndmask_b32_e32 v19, v19, v2, vcc_lo
	v_cndmask_b32_e64 v18, v18, v6, s4
	v_cmp_eq_u32_e32 vcc_lo, 4, v78
	v_cmp_eq_u32_e64 s4, 3, v79
	v_cndmask_b32_e64 v17, v17, v10, s5
	v_cndmask_b32_e64 v21, v1, v9, s3
	;; [unrolled: 1-line block ×5, first 2 shown]
	v_cndmask_b32_e32 v17, v17, v3, vcc_lo
	v_cndmask_b32_e64 v20, v20, v14, s4
	v_cndmask_b32_e32 v18, v18, v7, vcc_lo
	v_cmp_eq_u32_e32 vcc_lo, 4, v79
	v_cmp_eq_u32_e64 s4, 5, v79
	v_cmp_eq_u32_e64 s3, 2, v81
	v_cndmask_b32_e64 v21, v21, v2, s7
	v_cmp_eq_u32_e64 s5, 5, v78
	v_cndmask_b32_e32 v19, v19, v3, vcc_lo
	v_cndmask_b32_e32 v20, v20, v7, vcc_lo
	v_cmp_eq_u32_e32 vcc_lo, 6, v79
	s_delay_alu instid0(VALU_DEP_4) | instskip(NEXT) | instid1(VALU_DEP_4)
	v_cndmask_b32_e64 v17, v17, v11, s5
	v_cndmask_b32_e64 v19, v19, v11, s4
	s_delay_alu instid0(VALU_DEP_4) | instskip(SKIP_1) | instid1(VALU_DEP_3)
	v_cndmask_b32_e64 v20, v20, v15, s4
	v_cmp_eq_u32_e64 s4, 1, v81
	v_cndmask_b32_e32 v19, v19, v4, vcc_lo
	v_cndmask_b32_e64 v18, v18, v15, s5
	s_delay_alu instid0(VALU_DEP_3)
	v_cndmask_b32_e64 v1, v1, v9, s4
	v_cndmask_b32_e64 v5, v5, v13, s4
	v_cmp_eq_u32_e64 s4, 3, v77
	v_cndmask_b32_e64 v13, v22, v6, s7
	v_cmp_eq_u32_e64 s7, 3, v81
	v_cndmask_b32_e64 v1, v1, v2, s3
	v_cndmask_b32_e64 v2, v5, v6, s3
	;; [unrolled: 1-line block ×3, first 2 shown]
	v_cmp_eq_u32_e64 s3, 4, v77
	v_cndmask_b32_e64 v6, v13, v14, s4
	v_cndmask_b32_e64 v1, v1, v10, s7
	v_cmp_eq_u32_e64 s4, 4, v81
	v_cndmask_b32_e64 v2, v2, v14, s7
	v_cndmask_b32_e64 v5, v9, v3, s3
	;; [unrolled: 3-line block ×3, first 2 shown]
	v_cndmask_b32_e64 v2, v2, v7, s4
	v_cmp_eq_u32_e64 s3, 5, v81
	v_cmp_eq_u32_e64 s5, 6, v78
	v_cndmask_b32_e64 v5, v5, v11, s7
	v_cmp_eq_u32_e64 s4, 6, v77
	v_cndmask_b32_e64 v3, v6, v15, s7
	v_cndmask_b32_e64 v1, v1, v11, s3
	v_cmp_eq_u32_e64 s7, 6, v81
	v_cndmask_b32_e64 v2, v2, v15, s3
	v_cndmask_b32_e64 v17, v17, v4, s5
	v_cndmask_b32_e64 v18, v18, v8, s5
	v_cmp_eq_u32_e64 s5, 7, v78
	v_cndmask_b32_e64 v5, v5, v4, s4
	;; [unrolled: 4-line block ×3, first 2 shown]
	v_cmp_eq_u32_e64 s4, 7, v77
	v_cndmask_b32_e32 v4, v20, v8, vcc_lo
	v_cndmask_b32_e64 v17, v17, v12, s5
	v_cndmask_b32_e64 v19, v19, v12, s6
	;; [unrolled: 1-line block ×8, first 2 shown]
	s_mov_b32 s3, exec_lo
	v_perm_b32 v4, v2, v1, 0x5040100
	v_perm_b32 v3, v3, v5, 0x5040100
	;; [unrolled: 1-line block ×4, first 2 shown]
	ds_store_b128 v76, v[1:4]
	s_waitcnt lgkmcnt(0)
	s_barrier
	buffer_gl0_inv
	v_cmpx_gt_u32_e32 32, v0
	s_cbranch_execz .LBB1852_2
; %bb.111:
	s_load_b64 s[4:5], s[0:1], 0x68
	v_add_nc_u32_e32 v20, s31, v74
	v_lshlrev_b32_e32 v0, 10, v0
	v_lshlrev_b32_e32 v1, 4, v75
	s_lshl_b32 s0, s34, 7
	s_delay_alu instid0(SALU_CYCLE_1)
	s_mul_i32 s1, s0, s30
	v_add_nc_u32_e32 v2, 2, v20
	s_mul_i32 s6, s1, s8
	v_and_or_b32 v0, 0x3800, v0, v1
	v_mul_lo_u32 v1, v20, s0
	s_ashr_i32 s7, s6, 31
	v_mul_lo_u32 v11, v2, s0
	s_lshl_b64 s[6:7], s[6:7], 1
	v_add_nc_u32_e32 v3, 4, v20
	v_lshl_or_b32 v21, v74, 6, v0
	v_add_nc_u32_e32 v16, 6, v20
	v_ashrrev_i32_e32 v2, 31, v1
	s_delay_alu instid0(VALU_DEP_4)
	v_mul_lo_u32 v13, v3, s0
	s_waitcnt lgkmcnt(0)
	s_add_u32 s1, s4, s6
	s_addc_u32 s3, s5, s7
	s_lshl_b32 s4, s14, 7
	ds_load_b128 v[3:6], v21
	ds_load_b128 v[7:10], v21 offset:128
	s_ashr_i32 s5, s4, 31
	v_ashrrev_i32_e32 v12, 31, v11
	s_lshl_b64 s[4:5], s[4:5], 1
	v_lshlrev_b64 v[14:15], 1, v[1:2]
	s_add_u32 s1, s1, s4
	s_addc_u32 s3, s3, s5
	v_add_co_u32 v1, s1, s1, v73
	s_delay_alu instid0(VALU_DEP_1) | instskip(SKIP_1) | instid1(VALU_DEP_3)
	v_add_co_ci_u32_e64 v2, null, s3, 0, s1
	v_lshlrev_b64 v[11:12], 1, v[11:12]
	v_add_co_u32 v18, vcc_lo, v1, v14
	v_mul_lo_u32 v16, v16, s0
	s_delay_alu instid0(VALU_DEP_4) | instskip(NEXT) | instid1(VALU_DEP_4)
	v_add_co_ci_u32_e32 v19, vcc_lo, v2, v15, vcc_lo
	v_add_co_u32 v11, vcc_lo, v1, v11
	v_ashrrev_i32_e32 v14, 31, v13
	v_add_co_ci_u32_e32 v12, vcc_lo, v2, v12, vcc_lo
	v_add_nc_u32_e32 v15, 8, v20
	v_ashrrev_i32_e32 v17, 31, v16
	s_waitcnt lgkmcnt(1)
	global_store_b128 v[18:19], v[3:6], off
	v_lshlrev_b64 v[3:4], 1, v[13:14]
	s_waitcnt lgkmcnt(0)
	global_store_b128 v[11:12], v[7:10], off
	v_mul_lo_u32 v11, v15, s0
	v_add_nc_u32_e32 v7, 10, v20
	v_lshlrev_b64 v[5:6], 1, v[16:17]
	v_add_co_u32 v23, vcc_lo, v1, v3
	v_add_nc_u32_e32 v3, 12, v20
	s_delay_alu instid0(VALU_DEP_4)
	v_mul_lo_u32 v25, v7, s0
	v_ashrrev_i32_e32 v12, 31, v11
	v_add_co_ci_u32_e32 v24, vcc_lo, v2, v4, vcc_lo
	v_add_co_u32 v27, vcc_lo, v1, v5
	v_mul_lo_u32 v29, v3, s0
	v_add_co_ci_u32_e32 v28, vcc_lo, v2, v6, vcc_lo
	ds_load_b128 v[3:6], v21 offset:256
	ds_load_b128 v[7:10], v21 offset:384
	v_lshlrev_b64 v[31:32], 1, v[11:12]
	ds_load_b128 v[11:14], v21 offset:512
	ds_load_b128 v[15:18], v21 offset:640
	;; [unrolled: 1-line block ×3, first 2 shown]
	v_ashrrev_i32_e32 v26, 31, v25
	v_ashrrev_i32_e32 v30, 31, v29
	v_add_co_u32 v31, vcc_lo, v1, v31
	s_delay_alu instid0(VALU_DEP_3) | instskip(NEXT) | instid1(VALU_DEP_3)
	v_lshlrev_b64 v[25:26], 1, v[25:26]
	v_lshlrev_b64 v[29:30], 1, v[29:30]
	v_add_co_ci_u32_e32 v32, vcc_lo, v2, v32, vcc_lo
	s_delay_alu instid0(VALU_DEP_3) | instskip(NEXT) | instid1(VALU_DEP_4)
	v_add_co_u32 v25, vcc_lo, v1, v25
	v_add_co_ci_u32_e32 v26, vcc_lo, v2, v26, vcc_lo
	s_delay_alu instid0(VALU_DEP_4)
	v_add_co_u32 v29, vcc_lo, v1, v29
	v_add_co_ci_u32_e32 v30, vcc_lo, v2, v30, vcc_lo
	s_waitcnt lgkmcnt(4)
	global_store_b128 v[23:24], v[3:6], off
	s_waitcnt lgkmcnt(3)
	global_store_b128 v[27:28], v[7:10], off
	;; [unrolled: 2-line block ×5, first 2 shown]
	s_and_b32 exec_lo, exec_lo, s2
	s_cbranch_execz .LBB1852_2
; %bb.112:
	ds_load_b128 v[3:6], v0 offset:896
	s_add_i32 s1, s31, 14
	s_delay_alu instid0(SALU_CYCLE_1) | instskip(NEXT) | instid1(SALU_CYCLE_1)
	s_mul_i32 s0, s1, s0
	s_ashr_i32 s1, s0, 31
	s_delay_alu instid0(SALU_CYCLE_1) | instskip(NEXT) | instid1(SALU_CYCLE_1)
	s_lshl_b64 s[0:1], s[0:1], 1
	v_add_co_u32 v0, vcc_lo, v1, s0
	v_add_co_ci_u32_e32 v1, vcc_lo, s1, v2, vcc_lo
	s_waitcnt lgkmcnt(0)
	global_store_b128 v[0:1], v[3:6], off
	s_nop 0
	s_sendmsg sendmsg(MSG_DEALLOC_VGPRS)
	s_endpgm
	.section	.rodata,"a",@progbits
	.p2align	6, 0x0
	.amdhsa_kernel _Z39paged_attention_ll4mi_QKV_mfma16_kernelI14__hip_bfloat16hLN4vllm18Fp8KVCacheDataTypeE1ES0_Li16ELi128ELi256ELb0ELi15EL8MFMAType0EEvPKT_PKT0_S9_ifPKiSB_SB_iPKfiiiPfSE_PS4_PT2_iSD_SD_
		.amdhsa_group_segment_fixed_size 17472
		.amdhsa_private_segment_fixed_size 0
		.amdhsa_kernarg_size 400
		.amdhsa_user_sgpr_count 13
		.amdhsa_user_sgpr_dispatch_ptr 0
		.amdhsa_user_sgpr_queue_ptr 0
		.amdhsa_user_sgpr_kernarg_segment_ptr 1
		.amdhsa_user_sgpr_dispatch_id 0
		.amdhsa_user_sgpr_private_segment_size 0
		.amdhsa_wavefront_size32 1
		.amdhsa_uses_dynamic_stack 0
		.amdhsa_enable_private_segment 0
		.amdhsa_system_sgpr_workgroup_id_x 1
		.amdhsa_system_sgpr_workgroup_id_y 1
		.amdhsa_system_sgpr_workgroup_id_z 1
		.amdhsa_system_sgpr_workgroup_info 0
		.amdhsa_system_vgpr_workitem_id 0
		.amdhsa_next_free_vgpr 140
		.amdhsa_next_free_sgpr 36
		.amdhsa_reserve_vcc 1
		.amdhsa_float_round_mode_32 0
		.amdhsa_float_round_mode_16_64 0
		.amdhsa_float_denorm_mode_32 3
		.amdhsa_float_denorm_mode_16_64 3
		.amdhsa_dx10_clamp 1
		.amdhsa_ieee_mode 1
		.amdhsa_fp16_overflow 0
		.amdhsa_workgroup_processor_mode 1
		.amdhsa_memory_ordered 1
		.amdhsa_forward_progress 0
		.amdhsa_shared_vgpr_count 0
		.amdhsa_exception_fp_ieee_invalid_op 0
		.amdhsa_exception_fp_denorm_src 0
		.amdhsa_exception_fp_ieee_div_zero 0
		.amdhsa_exception_fp_ieee_overflow 0
		.amdhsa_exception_fp_ieee_underflow 0
		.amdhsa_exception_fp_ieee_inexact 0
		.amdhsa_exception_int_div_zero 0
	.end_amdhsa_kernel
	.section	.text._Z39paged_attention_ll4mi_QKV_mfma16_kernelI14__hip_bfloat16hLN4vllm18Fp8KVCacheDataTypeE1ES0_Li16ELi128ELi256ELb0ELi15EL8MFMAType0EEvPKT_PKT0_S9_ifPKiSB_SB_iPKfiiiPfSE_PS4_PT2_iSD_SD_,"axG",@progbits,_Z39paged_attention_ll4mi_QKV_mfma16_kernelI14__hip_bfloat16hLN4vllm18Fp8KVCacheDataTypeE1ES0_Li16ELi128ELi256ELb0ELi15EL8MFMAType0EEvPKT_PKT0_S9_ifPKiSB_SB_iPKfiiiPfSE_PS4_PT2_iSD_SD_,comdat
.Lfunc_end1852:
	.size	_Z39paged_attention_ll4mi_QKV_mfma16_kernelI14__hip_bfloat16hLN4vllm18Fp8KVCacheDataTypeE1ES0_Li16ELi128ELi256ELb0ELi15EL8MFMAType0EEvPKT_PKT0_S9_ifPKiSB_SB_iPKfiiiPfSE_PS4_PT2_iSD_SD_, .Lfunc_end1852-_Z39paged_attention_ll4mi_QKV_mfma16_kernelI14__hip_bfloat16hLN4vllm18Fp8KVCacheDataTypeE1ES0_Li16ELi128ELi256ELb0ELi15EL8MFMAType0EEvPKT_PKT0_S9_ifPKiSB_SB_iPKfiiiPfSE_PS4_PT2_iSD_SD_
                                        ; -- End function
	.section	.AMDGPU.csdata,"",@progbits
; Kernel info:
; codeLenInByte = 9152
; NumSgprs: 38
; NumVgprs: 140
; ScratchSize: 0
; MemoryBound: 0
; FloatMode: 240
; IeeeMode: 1
; LDSByteSize: 17472 bytes/workgroup (compile time only)
; SGPRBlocks: 4
; VGPRBlocks: 17
; NumSGPRsForWavesPerEU: 38
; NumVGPRsForWavesPerEU: 140
; Occupancy: 10
; WaveLimiterHint : 1
; COMPUTE_PGM_RSRC2:SCRATCH_EN: 0
; COMPUTE_PGM_RSRC2:USER_SGPR: 13
; COMPUTE_PGM_RSRC2:TRAP_HANDLER: 0
; COMPUTE_PGM_RSRC2:TGID_X_EN: 1
; COMPUTE_PGM_RSRC2:TGID_Y_EN: 1
; COMPUTE_PGM_RSRC2:TGID_Z_EN: 1
; COMPUTE_PGM_RSRC2:TIDIG_COMP_CNT: 0
	.section	.text._Z39paged_attention_ll4mi_QKV_mfma16_kernelI14__hip_bfloat16hLN4vllm18Fp8KVCacheDataTypeE1ES0_Li16ELi128ELi256ELb0ELi16EL8MFMAType0EEvPKT_PKT0_S9_ifPKiSB_SB_iPKfiiiPfSE_PS4_PT2_iSD_SD_,"axG",@progbits,_Z39paged_attention_ll4mi_QKV_mfma16_kernelI14__hip_bfloat16hLN4vllm18Fp8KVCacheDataTypeE1ES0_Li16ELi128ELi256ELb0ELi16EL8MFMAType0EEvPKT_PKT0_S9_ifPKiSB_SB_iPKfiiiPfSE_PS4_PT2_iSD_SD_,comdat
	.protected	_Z39paged_attention_ll4mi_QKV_mfma16_kernelI14__hip_bfloat16hLN4vllm18Fp8KVCacheDataTypeE1ES0_Li16ELi128ELi256ELb0ELi16EL8MFMAType0EEvPKT_PKT0_S9_ifPKiSB_SB_iPKfiiiPfSE_PS4_PT2_iSD_SD_ ; -- Begin function _Z39paged_attention_ll4mi_QKV_mfma16_kernelI14__hip_bfloat16hLN4vllm18Fp8KVCacheDataTypeE1ES0_Li16ELi128ELi256ELb0ELi16EL8MFMAType0EEvPKT_PKT0_S9_ifPKiSB_SB_iPKfiiiPfSE_PS4_PT2_iSD_SD_
	.globl	_Z39paged_attention_ll4mi_QKV_mfma16_kernelI14__hip_bfloat16hLN4vllm18Fp8KVCacheDataTypeE1ES0_Li16ELi128ELi256ELb0ELi16EL8MFMAType0EEvPKT_PKT0_S9_ifPKiSB_SB_iPKfiiiPfSE_PS4_PT2_iSD_SD_
	.p2align	8
	.type	_Z39paged_attention_ll4mi_QKV_mfma16_kernelI14__hip_bfloat16hLN4vllm18Fp8KVCacheDataTypeE1ES0_Li16ELi128ELi256ELb0ELi16EL8MFMAType0EEvPKT_PKT0_S9_ifPKiSB_SB_iPKfiiiPfSE_PS4_PT2_iSD_SD_,@function
_Z39paged_attention_ll4mi_QKV_mfma16_kernelI14__hip_bfloat16hLN4vllm18Fp8KVCacheDataTypeE1ES0_Li16ELi128ELi256ELb0ELi16EL8MFMAType0EEvPKT_PKT0_S9_ifPKiSB_SB_iPKfiiiPfSE_PS4_PT2_iSD_SD_: ; @_Z39paged_attention_ll4mi_QKV_mfma16_kernelI14__hip_bfloat16hLN4vllm18Fp8KVCacheDataTypeE1ES0_Li16ELi128ELi256ELb0ELi16EL8MFMAType0EEvPKT_PKT0_S9_ifPKiSB_SB_iPKfiiiPfSE_PS4_PT2_iSD_SD_
; %bb.0:
	s_load_b64 s[4:5], s[0:1], 0x30
	s_mov_b32 s30, s13
	s_waitcnt lgkmcnt(0)
	s_cmp_lg_u64 s[4:5], 0
	s_cselect_b32 s8, -1, 0
	s_ashr_i32 s31, s13, 31
	s_cmp_eq_u64 s[4:5], 0
	s_cbranch_scc1 .LBB1853_3
; %bb.1:
	s_lshl_b64 s[2:3], s[30:31], 2
	s_delay_alu instid0(SALU_CYCLE_1) | instskip(SKIP_4) | instid1(SALU_CYCLE_1)
	s_add_u32 s2, s4, s2
	s_addc_u32 s3, s5, s3
	s_load_b64 s[2:3], s[2:3], 0x0
	s_waitcnt lgkmcnt(0)
	s_sub_i32 s2, s3, s2
	s_cmp_eq_u32 s2, 1
	s_cselect_b32 s2, -1, 0
	s_delay_alu instid0(SALU_CYCLE_1)
	s_and_not1_b32 vcc_lo, exec_lo, s2
	s_cbranch_vccz .LBB1853_4
.LBB1853_2:
	s_endpgm
.LBB1853_3:
.LBB1853_4:
	s_load_b64 s[2:3], s[0:1], 0x28
	s_lshl_b64 s[6:7], s[30:31], 2
	s_waitcnt lgkmcnt(0)
	s_add_u32 s2, s2, s6
	s_addc_u32 s3, s3, s7
	s_lshl_b32 s12, s14, 8
	s_load_b32 s24, s[2:3], 0x0
	s_waitcnt lgkmcnt(0)
	s_cmp_ge_i32 s12, s24
	s_cbranch_scc1 .LBB1853_2
; %bb.5:
	s_clause 0x1
	s_load_b128 s[20:23], s[0:1], 0x8
	s_load_b64 s[2:3], s[0:1], 0x20
	s_and_not1_b32 vcc_lo, exec_lo, s8
	s_cbranch_vccnz .LBB1853_7
; %bb.6:
	s_add_u32 s4, s4, s6
	s_addc_u32 s5, s5, s7
	s_load_b32 s5, s[4:5], 0x0
	s_branch .LBB1853_8
.LBB1853_7:
	s_mov_b32 s5, s30
.LBB1853_8:
	s_load_b128 s[16:19], s[0:1], 0x48
	v_and_b32_e32 v66, 15, v0
	v_lshrrev_b32_e32 v65, 5, v0
	v_and_b32_e32 v67, 31, v0
	v_and_b32_e32 v75, 1, v0
	v_bfe_u32 v74, v0, 4, 1
	v_lshlrev_b32_e32 v1, 3, v66
	s_lshl_b32 s29, s15, 4
	s_mov_b32 s4, exec_lo
	s_delay_alu instid0(VALU_DEP_1)
	v_lshlrev_b32_e32 v73, 1, v1
	v_cmpx_gt_u32_e32 0x100, v0
	s_cbranch_execz .LBB1853_10
; %bb.9:
	v_lshl_or_b32 v5, v65, 1, v74
	s_load_b64 s[6:7], s[0:1], 0x0
	s_waitcnt lgkmcnt(0)
	s_mul_hi_i32 s9, s5, s16
	s_mul_i32 s8, s5, s16
	v_lshlrev_b32_e32 v6, 10, v66
	v_or_b32_e32 v1, s29, v5
	s_lshl_b64 s[8:9], s[8:9], 1
	v_lshlrev_b32_e32 v5, 6, v5
	v_lshlrev_b32_e32 v7, 10, v75
	v_and_b32_e32 v6, 0x3800, v6
	v_lshlrev_b32_e32 v1, 7, v1
	s_delay_alu instid0(VALU_DEP_2) | instskip(NEXT) | instid1(VALU_DEP_2)
	v_or3_b32 v5, v6, v7, v5
	v_ashrrev_i32_e32 v2, 31, v1
	s_delay_alu instid0(VALU_DEP_1) | instskip(SKIP_2) | instid1(VALU_DEP_1)
	v_lshlrev_b64 v[1:2], 1, v[1:2]
	s_add_u32 s5, s6, s8
	s_addc_u32 s6, s7, s9
	v_add_co_u32 v1, vcc_lo, s5, v1
	s_delay_alu instid0(VALU_DEP_2) | instskip(NEXT) | instid1(VALU_DEP_2)
	v_add_co_ci_u32_e32 v2, vcc_lo, s6, v2, vcc_lo
	v_add_co_u32 v1, vcc_lo, v1, v73
	s_delay_alu instid0(VALU_DEP_2)
	v_add_co_ci_u32_e32 v2, vcc_lo, 0, v2, vcc_lo
	global_load_b128 v[1:4], v[1:2], off
	s_waitcnt vmcnt(0)
	ds_store_b128 v5, v[1:4]
.LBB1853_10:
	s_or_b32 exec_lo, exec_lo, s4
	v_and_b32_e32 v1, 0xef, v0
	s_waitcnt lgkmcnt(0)
	s_add_i32 s5, s24, 15
	s_clause 0x1
	s_load_b32 s4, s[0:1], 0x38
	s_load_b32 s19, s[0:1], 0x1c
	s_ashr_i32 s6, s5, 31
	v_add_nc_u32_e32 v1, s12, v1
	s_lshr_b32 s6, s6, 28
	s_waitcnt lgkmcnt(0)
	s_add_i32 s5, s5, s6
	s_barrier
	v_ashrrev_i32_e32 v2, 31, v1
	v_or_b32_e32 v3, 16, v1
	s_ashr_i32 s13, s5, 4
	v_cmp_gt_i32_e32 vcc_lo, s24, v1
	s_add_i32 s13, s13, -1
	v_lshrrev_b32_e32 v2, 28, v2
	buffer_gl0_inv
	s_mul_i32 s15, s15, s18
	v_lshlrev_b32_e32 v41, 4, v66
	v_add_nc_u32_e32 v4, v1, v2
	s_mul_i32 s4, s30, s4
	s_delay_alu instid0(VALU_DEP_2) | instskip(SKIP_1) | instid1(VALU_DEP_2)
	v_lshl_or_b32 v41, v65, 8, v41
	s_ashr_i32 s5, s4, 31
	v_ashrrev_i32_e32 v4, 4, v4
	v_add_nc_u32_e32 v2, v3, v2
	s_lshl_b64 s[4:5], s[4:5], 2
	s_delay_alu instid0(SALU_CYCLE_1) | instskip(NEXT) | instid1(VALU_DEP_2)
	s_add_u32 s16, s2, s4
	v_cndmask_b32_e32 v1, s13, v4, vcc_lo
	s_delay_alu instid0(VALU_DEP_2)
	v_ashrrev_i32_e32 v2, 4, v2
	v_cmp_gt_i32_e32 vcc_lo, s24, v3
	s_addc_u32 s25, s3, s5
	s_ashr_i32 s18, s15, 31
	s_add_u32 s26, s20, s15
	s_addc_u32 s27, s21, s18
	v_cndmask_b32_e32 v3, s13, v2, vcc_lo
	v_ashrrev_i32_e32 v2, 31, v1
	s_lshl_b32 s2, s14, 4
	s_delay_alu instid0(SALU_CYCLE_1) | instskip(NEXT) | instid1(VALU_DEP_2)
	s_ashr_i32 s3, s2, 31
	v_ashrrev_i32_e32 v4, 31, v3
	s_delay_alu instid0(VALU_DEP_2) | instskip(SKIP_1) | instid1(SALU_CYCLE_1)
	v_lshlrev_b64 v[1:2], 2, v[1:2]
	s_lshl_b64 s[2:3], s[2:3], 2
	s_add_u32 s2, s16, s2
	s_delay_alu instid0(VALU_DEP_2) | instskip(SKIP_1) | instid1(VALU_DEP_2)
	v_lshlrev_b64 v[3:4], 2, v[3:4]
	s_addc_u32 s3, s25, s3
	v_add_co_u32 v1, vcc_lo, s16, v1
	v_add_co_ci_u32_e32 v2, vcc_lo, s25, v2, vcc_lo
	s_delay_alu instid0(VALU_DEP_3) | instskip(NEXT) | instid1(VALU_DEP_4)
	v_add_co_u32 v3, vcc_lo, s16, v3
	v_add_co_ci_u32_e32 v4, vcc_lo, s25, v4, vcc_lo
	s_clause 0x1
	global_load_b32 v5, v[1:2], off
	global_load_b32 v3, v[3:4], off
	s_or_b32 s4, s12, 32
	v_lshlrev_b32_e32 v1, 4, v0
	s_ashr_i32 s5, s4, 4
	s_cmp_lt_i32 s4, s24
	s_cselect_b32 s4, s5, s13
	s_delay_alu instid0(VALU_DEP_1) | instskip(SKIP_1) | instid1(SALU_CYCLE_1)
	v_and_b32_e32 v1, 0xf0, v1
	s_ashr_i32 s5, s4, 31
	s_lshl_b64 s[4:5], s[4:5], 2
	s_delay_alu instid0(SALU_CYCLE_1)
	s_add_u32 s4, s16, s4
	s_addc_u32 s5, s25, s5
	s_or_b32 s6, s12, 64
	v_add_co_u32 v1, s26, s26, v1
	s_ashr_i32 s7, s6, 4
	s_cmp_lt_i32 s6, s24
	v_add_co_ci_u32_e64 v2, null, s27, 0, s26
	s_cselect_b32 s6, s7, s13
	s_delay_alu instid0(SALU_CYCLE_1) | instskip(NEXT) | instid1(SALU_CYCLE_1)
	s_ashr_i32 s7, s6, 31
	s_lshl_b64 s[6:7], s[6:7], 2
	s_delay_alu instid0(SALU_CYCLE_1) | instskip(SKIP_2) | instid1(SALU_CYCLE_1)
	s_add_u32 s6, s16, s6
	s_addc_u32 s7, s25, s7
	s_or_b32 s8, s12, 0x60
	s_ashr_i32 s9, s8, 4
	s_cmp_lt_i32 s8, s24
	s_cselect_b32 s8, s9, s13
	s_delay_alu instid0(SALU_CYCLE_1) | instskip(NEXT) | instid1(SALU_CYCLE_1)
	s_ashr_i32 s9, s8, 31
	s_lshl_b64 s[8:9], s[8:9], 2
	s_delay_alu instid0(SALU_CYCLE_1) | instskip(SKIP_2) | instid1(SALU_CYCLE_1)
	s_add_u32 s8, s16, s8
	s_addc_u32 s9, s25, s9
	s_or_b32 s10, s12, 0x80
	s_ashr_i32 s11, s10, 4
	s_cmp_lt_i32 s10, s24
	;; [unrolled: 10-line block ×3, first 2 shown]
	s_cselect_b32 s20, s21, s13
	s_delay_alu instid0(SALU_CYCLE_1) | instskip(NEXT) | instid1(SALU_CYCLE_1)
	s_ashr_i32 s21, s20, 31
	s_lshl_b64 s[20:21], s[20:21], 2
	s_delay_alu instid0(SALU_CYCLE_1)
	s_add_u32 s20, s16, s20
	s_addc_u32 s21, s25, s21
	s_clause 0x5
	s_load_b32 s26, s[2:3], 0x0
	s_load_b32 s27, s[4:5], 0x0
	;; [unrolled: 1-line block ×6, first 2 shown]
	s_or_b32 s2, s12, 0xc0
	s_mov_b32 s4, 0
	s_ashr_i32 s3, s2, 4
	s_cmp_lt_i32 s2, s24
	s_mov_b32 s11, s4
	s_cselect_b32 s2, s3, s13
	s_mov_b32 s5, s4
	s_ashr_i32 s3, s2, 31
	s_mov_b32 s6, s4
	s_lshl_b64 s[2:3], s[2:3], 2
	s_mov_b32 s7, s4
	s_add_u32 s2, s16, s2
	s_mov_b32 s8, s4
	s_mov_b32 s9, s4
	;; [unrolled: 1-line block ×3, first 2 shown]
	s_addc_u32 s3, s25, s3
	s_or_b32 s21, s12, 0xe0
	v_mov_b32_e32 v108, s11
	v_mov_b32_e32 v102, s5
	v_dual_mov_b32 v105, s8 :: v_dual_lshlrev_b32 v76, 6, v66
	v_dual_mov_b32 v107, s10 :: v_dual_mov_b32 v106, s9
	v_dual_mov_b32 v104, s7 :: v_dual_mov_b32 v103, s6
	v_mov_b32_e32 v101, s4
	s_ashr_i32 s4, s21, 4
	s_cmp_lt_i32 s21, s24
	s_cselect_b32 s4, s4, s13
	s_delay_alu instid0(SALU_CYCLE_1) | instskip(NEXT) | instid1(SALU_CYCLE_1)
	s_ashr_i32 s5, s4, 31
	s_lshl_b64 s[4:5], s[4:5], 2
	s_waitcnt vmcnt(1)
	v_mad_i64_i32 v[33:34], null, v5, s17, v[1:2]
	s_waitcnt vmcnt(0)
	v_mad_i64_i32 v[35:36], null, v3, s17, v[1:2]
	s_clause 0xf
	global_load_b128 v[1:4], v[33:34], off
	global_load_b128 v[5:8], v[33:34], off offset:256
	global_load_b128 v[9:12], v[35:36], off
	global_load_b128 v[13:16], v[35:36], off offset:256
	global_load_b128 v[17:20], v[33:34], off offset:512
	;; [unrolled: 1-line block ×13, first 2 shown]
	ds_load_b128 v[33:36], v76
	ds_load_b128 v[37:40], v76 offset:1024
	ds_load_b128 v[109:112], v76 offset:2048
	;; [unrolled: 1-line block ×3, first 2 shown]
	s_load_b32 s6, s[2:3], 0x0
	s_add_u32 s2, s16, s4
	s_addc_u32 s3, s25, s5
	ds_load_b128 v[117:120], v76 offset:4096
	ds_load_b128 v[121:124], v76 offset:5120
	s_load_b32 s2, s[2:3], 0x0
	s_add_u32 s4, s22, s15
	s_addc_u32 s5, s23, s18
	v_add_co_u32 v68, s4, s4, v41
	s_delay_alu instid0(VALU_DEP_1) | instskip(SKIP_1) | instid1(VALU_DEP_1)
	v_add_co_ci_u32_e64 v69, null, s5, 0, s4
	s_waitcnt lgkmcnt(0)
	v_mad_i64_i32 v[41:42], null, s26, s17, v[68:69]
	v_mad_i64_i32 v[70:71], null, s28, s17, v[68:69]
	;; [unrolled: 1-line block ×7, first 2 shown]
	s_clause 0x3
	global_load_b128 v[49:52], v[41:42], off
	global_load_b128 v[53:56], v[41:42], off offset:16
	global_load_b128 v[41:44], v[45:46], off
	global_load_b128 v[45:48], v[45:46], off offset:16
	s_waitcnt vmcnt(18)
	v_wmma_f32_16x16x16_bf16 v[125:132], v[1:8], v[33:40], v[101:108]
	s_waitcnt vmcnt(16)
	v_wmma_f32_16x16x16_bf16 v[101:108], v[9:16], v[33:40], v[101:108]
	s_clause 0x1
	global_load_b128 v[33:36], v[70:71], off
	global_load_b128 v[37:40], v[70:71], off offset:16
	v_mad_i64_i32 v[70:71], null, s2, s17, v[68:69]
	s_waitcnt vmcnt(16)
	v_wmma_f32_16x16x16_bf16 v[125:132], v[17:24], v[109:116], v[125:132]
	s_waitcnt vmcnt(14)
	v_wmma_f32_16x16x16_bf16 v[101:108], v[25:32], v[109:116], v[101:108]
	s_clause 0x7
	global_load_b128 v[25:28], v[133:134], off
	global_load_b128 v[29:32], v[133:134], off offset:16
	global_load_b128 v[1:4], v[135:136], off
	global_load_b128 v[5:8], v[135:136], off offset:16
	;; [unrolled: 2-line block ×4, first 2 shown]
	s_waitcnt vmcnt(20)
	v_wmma_f32_16x16x16_bf16 v[125:132], v[57:64], v[117:124], v[125:132]
	s_clause 0x1
	global_load_b128 v[57:60], v[70:71], off
	global_load_b128 v[61:64], v[70:71], off offset:16
	s_waitcnt vmcnt(20)
	v_wmma_f32_16x16x16_bf16 v[101:108], v[77:84], v[117:124], v[101:108]
	ds_load_b128 v[77:80], v76 offset:6144
	ds_load_b128 v[81:84], v76 offset:7168
	v_and_b32_e32 v68, 0xe0, v0
	v_mbcnt_lo_u32_b32 v69, -1, 0
	s_waitcnt vmcnt(0) lgkmcnt(0)
	s_barrier
	buffer_gl0_inv
	v_add_nc_u32_e32 v68, s12, v68
	v_xor_b32_e32 v70, 16, v69
	s_delay_alu instid0(VALU_DEP_2) | instskip(NEXT) | instid1(VALU_DEP_2)
	v_or_b32_e32 v68, v68, v74
	v_cmp_gt_i32_e32 vcc_lo, 32, v70
	s_delay_alu instid0(VALU_DEP_2)
	v_or_b32_e32 v71, 4, v68
	v_or_b32_e32 v72, 6, v68
	v_cmp_gt_i32_e64 s2, s24, v68
	v_or_b32_e32 v109, 8, v68
	v_wmma_f32_16x16x16_bf16 v[125:132], v[85:92], v[77:84], v[125:132]
	v_cndmask_b32_e32 v69, v69, v70, vcc_lo
	v_or_b32_e32 v70, 2, v68
	v_wmma_f32_16x16x16_bf16 v[101:108], v[93:100], v[77:84], v[101:108]
	v_or_b32_e32 v85, 10, v68
	v_dual_mul_f32 v84, s19, v128 :: v_dual_mul_f32 v83, s19, v129
	v_dual_mul_f32 v94, s19, v126 :: v_dual_mul_f32 v95, s19, v125
	s_delay_alu instid0(VALU_DEP_4) | instskip(SKIP_2) | instid1(VALU_DEP_4)
	v_mul_f32_e32 v98, s19, v106
	v_cmp_gt_i32_e32 vcc_lo, s24, v70
	v_dual_mul_f32 v93, s19, v127 :: v_dual_mul_f32 v96, s19, v108
	v_cndmask_b32_e64 v95, 0xff7fffff, v95, s2
	v_cmp_gt_i32_e64 s3, s24, v71
	v_cndmask_b32_e32 v94, 0xff7fffff, v94, vcc_lo
	v_cmp_gt_i32_e64 s4, s24, v72
	v_or_b32_e32 v86, 12, v68
	v_or_b32_e32 v87, 14, v68
	v_dual_mul_f32 v81, s19, v131 :: v_dual_mul_f32 v82, s19, v130
	v_cndmask_b32_e64 v93, 0xff7fffff, v93, s3
	v_cndmask_b32_e64 v72, 0xff7fffff, v84, s4
	v_max3_f32 v84, v95, 0xff7fffff, v94
	v_cmp_gt_i32_e64 s5, s24, v109
	v_cmp_gt_i32_e64 s6, s24, v85
	v_or_b32_e32 v88, 16, v68
	v_or_b32_e32 v89, 18, v68
	v_mul_f32_e32 v80, s19, v132
	v_cndmask_b32_e64 v83, 0xff7fffff, v83, s5
	v_cndmask_b32_e64 v82, 0xff7fffff, v82, s6
	v_max3_f32 v72, v84, v93, v72
	v_cmp_gt_i32_e64 s7, s24, v86
	v_cmp_gt_i32_e64 s8, s24, v87
	v_or_b32_e32 v90, 20, v68
	v_or_b32_e32 v91, 22, v68
	;; [unrolled: 1-line block ×6, first 2 shown]
	v_dual_mul_f32 v68, s19, v102 :: v_dual_mul_f32 v71, s19, v101
	v_cndmask_b32_e64 v81, 0xff7fffff, v81, s7
	v_cndmask_b32_e64 v80, 0xff7fffff, v80, s8
	v_max3_f32 v72, v72, v83, v82
	v_cmp_gt_i32_e64 s9, s24, v88
	v_cmp_gt_i32_e64 s10, s24, v89
	v_dual_mul_f32 v97, s19, v107 :: v_dual_mul_f32 v100, s19, v104
	v_dual_mul_f32 v99, s19, v105 :: v_dual_mul_f32 v70, s19, v103
	s_delay_alu instid0(VALU_DEP_4) | instskip(NEXT) | instid1(VALU_DEP_4)
	v_cndmask_b32_e64 v71, 0xff7fffff, v71, s9
	v_cndmask_b32_e64 v68, 0xff7fffff, v68, s10
	v_max3_f32 v72, v72, v81, v80
	v_cmp_gt_i32_e64 s11, s24, v90
	v_cmp_gt_i32_e64 s12, s24, v91
	;; [unrolled: 1-line block ×4, first 2 shown]
	v_max3_f32 v68, v72, v71, v68
	v_cndmask_b32_e64 v70, 0xff7fffff, v70, s11
	v_cndmask_b32_e64 v80, 0xff7fffff, v100, s12
	v_cndmask_b32_e64 v71, 0xff7fffff, v99, s13
	v_cndmask_b32_e64 v72, 0xff7fffff, v98, s15
	v_cmp_gt_i32_e64 s16, s24, v78
	v_cmp_gt_i32_e64 s17, s24, v79
	v_max3_f32 v68, v68, v70, v80
	v_lshlrev_b32_e32 v90, 2, v69
	s_delay_alu instid0(VALU_DEP_4) | instskip(NEXT) | instid1(VALU_DEP_4)
	v_cndmask_b32_e64 v70, 0xff7fffff, v97, s16
	v_cndmask_b32_e64 v77, 0xff7fffff, v96, s17
	s_delay_alu instid0(VALU_DEP_4) | instskip(NEXT) | instid1(VALU_DEP_1)
	v_max3_f32 v68, v68, v71, v72
	v_max3_f32 v68, v68, v70, v77
	ds_bpermute_b32 v69, v90, v68
	s_waitcnt lgkmcnt(0)
	v_max_f32_e32 v69, v69, v69
	s_delay_alu instid0(VALU_DEP_1) | instskip(NEXT) | instid1(VALU_DEP_1)
	v_max_f32_e32 v81, v68, v69
	v_fma_f32 v68, s19, v125, -v81
	s_delay_alu instid0(VALU_DEP_1)
	v_mul_f32_e32 v68, 0x3fb8aa3b, v68
	v_fma_f32 v69, s19, v126, -v81
	v_fma_f32 v71, s19, v128, -v81
	;; [unrolled: 1-line block ×4, first 2 shown]
	v_exp_f32_e32 v68, v68
	v_mul_f32_e32 v69, 0x3fb8aa3b, v69
	s_delay_alu instid0(VALU_DEP_3) | instskip(NEXT) | instid1(VALU_DEP_3)
	v_dual_mul_f32 v71, 0x3fb8aa3b, v71 :: v_dual_mul_f32 v72, 0x3fb8aa3b, v72
	v_mul_f32_e32 v70, 0x3fb8aa3b, v70
	v_fma_f32 v78, s19, v131, -v81
	s_delay_alu instid0(VALU_DEP_4) | instskip(NEXT) | instid1(VALU_DEP_3)
	v_exp_f32_e32 v69, v69
	v_exp_f32_e32 v71, v71
	;; [unrolled: 1-line block ×4, first 2 shown]
	v_cndmask_b32_e64 v82, 0, v68, s2
	v_fma_f32 v68, s19, v130, -v81
	v_mul_f32_e32 v78, 0x3fb8aa3b, v78
	v_fma_f32 v80, s19, v106, -v81
	s_mov_b32 s2, exec_lo
	s_delay_alu instid0(VALU_DEP_3) | instskip(NEXT) | instid1(TRANS32_DEP_2)
	v_dual_cndmask_b32 v77, 0, v69 :: v_dual_mul_f32 v68, 0x3fb8aa3b, v68
	v_cndmask_b32_e64 v86, 0, v72, s5
	v_fma_f32 v72, s19, v102, -v81
	v_add_f32_e32 v69, 0, v82
	v_cndmask_b32_e64 v83, 0, v70, s3
	v_exp_f32_e32 v68, v68
	v_fma_f32 v70, s19, v132, -v81
	s_delay_alu instid0(VALU_DEP_3) | instskip(SKIP_2) | instid1(VALU_DEP_4)
	v_dual_mul_f32 v72, 0x3fb8aa3b, v72 :: v_dual_add_f32 v69, v69, v77
	v_cndmask_b32_e64 v85, 0, v71, s4
	v_fma_f32 v71, s19, v101, -v81
	v_mul_f32_e32 v70, 0x3fb8aa3b, v70
	v_exp_f32_e32 v78, v78
	v_add_f32_e32 v69, v69, v83
	v_exp_f32_e32 v72, v72
	s_delay_alu instid0(TRANS32_DEP_3) | instskip(SKIP_1) | instid1(VALU_DEP_2)
	v_cndmask_b32_e64 v87, 0, v68, s6
	v_exp_f32_e32 v70, v70
	v_add_f32_e32 v69, v69, v85
	v_mul_f32_e32 v71, 0x3fb8aa3b, v71
	s_delay_alu instid0(TRANS32_DEP_3) | instskip(NEXT) | instid1(VALU_DEP_3)
	v_cndmask_b32_e64 v84, 0, v78, s7
	v_add_f32_e32 v68, v69, v86
	v_fma_f32 v69, s19, v103, -v81
	s_delay_alu instid0(VALU_DEP_4) | instskip(SKIP_1) | instid1(TRANS32_DEP_2)
	v_exp_f32_e32 v71, v71
	v_fma_f32 v78, s19, v104, -v81
	v_cndmask_b32_e64 v88, 0, v70, s8
	s_delay_alu instid0(VALU_DEP_3) | instskip(SKIP_1) | instid1(VALU_DEP_2)
	v_dual_add_f32 v68, v68, v87 :: v_dual_mul_f32 v69, 0x3fb8aa3b, v69
	v_fma_f32 v70, s19, v105, -v81
	v_add_f32_e32 v68, v68, v84
	v_mul_f32_e32 v78, 0x3fb8aa3b, v78
	s_delay_alu instid0(VALU_DEP_4) | instskip(NEXT) | instid1(TRANS32_DEP_2)
	v_exp_f32_e32 v79, v69
	v_cndmask_b32_e64 v69, 0, v71, s9
	s_delay_alu instid0(VALU_DEP_3) | instskip(NEXT) | instid1(VALU_DEP_3)
	v_dual_add_f32 v71, v68, v88 :: v_dual_mul_f32 v70, 0x3fb8aa3b, v70
	v_exp_f32_e32 v78, v78
	v_cndmask_b32_e64 v68, 0, v72, s10
	v_fma_f32 v72, s19, v107, -v81
	s_delay_alu instid0(VALU_DEP_3) | instskip(SKIP_1) | instid1(TRANS32_DEP_3)
	v_add_f32_e32 v71, v71, v69
	v_exp_f32_e32 v89, v70
	v_cndmask_b32_e64 v70, 0, v79, s11
	s_delay_alu instid0(VALU_DEP_2) | instskip(NEXT) | instid1(TRANS32_DEP_2)
	v_add_f32_e32 v79, v71, v68
	v_cndmask_b32_e64 v71, 0, v78, s12
	s_delay_alu instid0(VALU_DEP_2) | instskip(SKIP_2) | instid1(VALU_DEP_1)
	v_add_f32_e32 v78, v79, v70
	v_mul_f32_e32 v80, 0x3fb8aa3b, v80
	v_fma_f32 v79, s19, v108, -v81
	v_dual_mul_f32 v72, 0x3fb8aa3b, v72 :: v_dual_mul_f32 v79, 0x3fb8aa3b, v79
	s_delay_alu instid0(VALU_DEP_1) | instskip(NEXT) | instid1(TRANS32_DEP_2)
	v_exp_f32_e32 v91, v72
	v_cndmask_b32_e64 v72, 0, v89, s13
	v_add_f32_e32 v89, v78, v71
	v_exp_f32_e32 v80, v80
	s_waitcnt_depctr 0xfff
	v_cndmask_b32_e64 v78, 0, v80, s15
	v_add_f32_e32 v80, v89, v72
	v_exp_f32_e32 v89, v79
	v_cndmask_b32_e64 v79, 0, v91, s16
	s_delay_alu instid0(VALU_DEP_2) | instskip(NEXT) | instid1(VALU_DEP_1)
	v_add_f32_e32 v80, v80, v78
	v_add_f32_e32 v91, v80, v79
	s_waitcnt_depctr 0xfff
	v_cndmask_b32_e64 v80, 0, v89, s17
	s_delay_alu instid0(VALU_DEP_1)
	v_add_f32_e32 v89, v91, v80
	ds_bpermute_b32 v90, v90, v89
	v_cmpx_gt_u32_e32 16, v67
	s_cbranch_execz .LBB1853_12
; %bb.11:
	v_mul_u32_u24_e32 v67, 0x44, v65
	s_waitcnt lgkmcnt(0)
	v_add_f32_e32 v89, v89, v90
	s_delay_alu instid0(VALU_DEP_2) | instskip(NEXT) | instid1(VALU_DEP_1)
	v_lshl_add_u32 v67, v66, 2, v67
	v_add_nc_u32_e32 v67, 0x4000, v67
	ds_store_2addr_b32 v67, v81, v89 offset1:136
.LBB1853_12:
	s_or_b32 exec_lo, exec_lo, s2
	v_lshlrev_b32_e32 v66, 2, v66
	s_waitcnt lgkmcnt(0)
	s_barrier
	buffer_gl0_inv
	v_cmp_eq_u32_e32 vcc_lo, 1, v65
	v_add_nc_u32_e32 v81, 0x4000, v66
	v_cmp_eq_u32_e64 s2, 2, v65
	v_cmp_eq_u32_e64 s4, 7, v65
	ds_load_2addr_b32 v[89:90], v81 offset1:17
	ds_load_2addr_b32 v[91:92], v81 offset0:34 offset1:51
	ds_load_2addr_b32 v[93:94], v81 offset0:68 offset1:85
	;; [unrolled: 1-line block ×4, first 2 shown]
	s_waitcnt lgkmcnt(4)
	v_max3_f32 v66, v89, 0xff7fffff, v90
	s_waitcnt lgkmcnt(3)
	s_delay_alu instid0(VALU_DEP_1) | instskip(SKIP_1) | instid1(VALU_DEP_1)
	v_max3_f32 v66, v66, v91, v92
	s_waitcnt lgkmcnt(2)
	v_max3_f32 v66, v66, v93, v94
	s_waitcnt lgkmcnt(1)
	s_delay_alu instid0(VALU_DEP_1) | instskip(NEXT) | instid1(VALU_DEP_1)
	v_max3_f32 v66, v66, v95, v96
	v_sub_f32_e32 v67, v89, v66
	v_sub_f32_e32 v91, v91, v66
	;; [unrolled: 1-line block ×3, first 2 shown]
	s_delay_alu instid0(VALU_DEP_3) | instskip(NEXT) | instid1(VALU_DEP_3)
	v_mul_f32_e32 v67, 0x3fb8aa3b, v67
	v_mul_f32_e32 v101, 0x3fb8aa3b, v91
	s_delay_alu instid0(VALU_DEP_3) | instskip(NEXT) | instid1(VALU_DEP_3)
	v_mul_f32_e32 v103, 0x3fb8aa3b, v93
	v_exp_f32_e32 v100, v67
	v_sub_f32_e32 v67, v92, v66
	v_sub_f32_e32 v99, v90, v66
	ds_load_2addr_b32 v[89:90], v81 offset0:170 offset1:187
	ds_load_2addr_b32 v[91:92], v81 offset0:204 offset1:221
	v_exp_f32_e32 v101, v101
	v_mul_f32_e32 v102, 0x3fb8aa3b, v67
	v_mul_f32_e32 v99, 0x3fb8aa3b, v99
	s_waitcnt lgkmcnt(2)
	v_fma_f32 v67, v100, v97, 0
	v_sub_f32_e32 v97, v94, v66
	s_delay_alu instid0(VALU_DEP_3)
	v_exp_f32_e32 v99, v99
	v_exp_f32_e32 v102, v102
	ds_load_2addr_b32 v[93:94], v81 offset0:238 offset1:255
	v_sub_f32_e32 v81, v95, v66
	v_mul_f32_e32 v95, 0x3fb8aa3b, v97
	v_exp_f32_e32 v97, v103
	s_waitcnt lgkmcnt(0)
	s_barrier
	v_mul_f32_e32 v81, 0x3fb8aa3b, v81
	v_exp_f32_e32 v95, v95
	v_fmac_f32_e32 v67, v99, v98
	buffer_gl0_inv
	v_exp_f32_e32 v81, v81
	v_fmac_f32_e32 v67, v101, v89
	v_sub_f32_e32 v89, v96, v66
	s_delay_alu instid0(VALU_DEP_2) | instskip(NEXT) | instid1(VALU_DEP_2)
	v_fmac_f32_e32 v67, v102, v90
	v_mul_f32_e32 v89, 0x3fb8aa3b, v89
	s_delay_alu instid0(VALU_DEP_2) | instskip(NEXT) | instid1(VALU_DEP_2)
	v_fmac_f32_e32 v67, v97, v91
	v_exp_f32_e32 v89, v89
	s_delay_alu instid0(VALU_DEP_1)
	v_fmac_f32_e32 v67, v95, v92
	s_delay_alu instid0(TRANS32_DEP_2) | instid1(VALU_DEP_1)
	v_fmac_f32_e32 v67, v81, v93
	s_waitcnt_depctr 0xfff
	v_fmac_f32_e32 v67, v89, v94
	s_delay_alu instid0(VALU_DEP_1) | instskip(NEXT) | instid1(VALU_DEP_1)
	v_add_f32_e32 v90, 0x358637bd, v67
	v_div_scale_f32 v91, null, v90, v90, 1.0
	v_div_scale_f32 v94, s3, 1.0, v90, 1.0
	s_delay_alu instid0(VALU_DEP_2) | instskip(SKIP_2) | instid1(VALU_DEP_1)
	v_rcp_f32_e32 v92, v91
	s_waitcnt_depctr 0xfff
	v_fma_f32 v93, -v91, v92, 1.0
	v_dual_fmac_f32 v92, v93, v92 :: v_dual_cndmask_b32 v93, v100, v99
	v_cmp_eq_u32_e32 vcc_lo, 3, v65
	s_delay_alu instid0(VALU_DEP_2) | instskip(NEXT) | instid1(VALU_DEP_3)
	v_mul_f32_e32 v96, v94, v92
	v_cndmask_b32_e64 v93, v93, v101, s2
	v_cmp_eq_u32_e64 s2, 4, v65
	s_delay_alu instid0(VALU_DEP_3) | instskip(NEXT) | instid1(VALU_DEP_3)
	v_fma_f32 v98, -v91, v96, v94
	v_cndmask_b32_e32 v93, v93, v102, vcc_lo
	v_cmp_eq_u32_e32 vcc_lo, 5, v65
	s_delay_alu instid0(VALU_DEP_3) | instskip(NEXT) | instid1(VALU_DEP_3)
	v_fmac_f32_e32 v96, v98, v92
	v_cndmask_b32_e64 v93, v93, v97, s2
	v_cmp_eq_u32_e64 s2, 6, v65
	s_delay_alu instid0(VALU_DEP_3) | instskip(NEXT) | instid1(VALU_DEP_3)
	v_fma_f32 v91, -v91, v96, v94
	v_cndmask_b32_e32 v93, v93, v95, vcc_lo
	s_mov_b32 vcc_lo, s3
	s_delay_alu instid0(VALU_DEP_2) | instskip(NEXT) | instid1(VALU_DEP_2)
	v_div_fmas_f32 v91, v91, v92, v96
	v_cndmask_b32_e64 v81, v93, v81, s2
	s_mov_b32 s2, exec_lo
	s_delay_alu instid0(VALU_DEP_2) | instskip(NEXT) | instid1(VALU_DEP_2)
	v_div_fixup_f32 v90, v91, v90, 1.0
	v_cndmask_b32_e64 v81, v81, v89, s4
	s_delay_alu instid0(VALU_DEP_1) | instskip(NEXT) | instid1(VALU_DEP_1)
	v_mul_f32_e32 v81, v81, v90
	v_mul_f32_e32 v90, v81, v82
	v_mul_f32_e32 v82, v81, v88
	v_mul_f32_e32 v84, v81, v84
	v_mul_f32_e32 v87, v81, v87
	v_mul_f32_e32 v88, v81, v86
	v_dual_mul_f32 v86, v81, v83 :: v_dual_and_b32 v91, 0x7f800000, v90
	v_mul_f32_e32 v89, v81, v85
	v_mul_f32_e32 v85, v81, v77
                                        ; implicit-def: $vgpr77
	s_delay_alu instid0(VALU_DEP_3)
	v_cmpx_ne_u32_e32 0x7f800000, v91
	s_xor_b32 s2, exec_lo, s2
; %bb.13:
	v_bfe_u32 v77, v90, 16, 1
	s_delay_alu instid0(VALU_DEP_1)
	v_add3_u32 v77, v90, v77, 0x7fff
                                        ; implicit-def: $vgpr90
; %bb.14:
	s_and_not1_saveexec_b32 s2, s2
; %bb.15:
	v_and_b32_e32 v77, 0xffff, v90
	v_or_b32_e32 v83, 0x10000, v90
	s_delay_alu instid0(VALU_DEP_2) | instskip(NEXT) | instid1(VALU_DEP_2)
	v_cmp_eq_u32_e32 vcc_lo, 0, v77
	v_cndmask_b32_e32 v77, v83, v90, vcc_lo
; %bb.16:
	s_or_b32 exec_lo, exec_lo, s2
	v_and_b32_e32 v83, 0x7f800000, v85
	s_delay_alu instid0(VALU_DEP_1) | instskip(SKIP_1) | instid1(SALU_CYCLE_1)
	v_cmp_ne_u32_e32 vcc_lo, 0x7f800000, v83
                                        ; implicit-def: $vgpr83
	s_and_saveexec_b32 s2, vcc_lo
	s_xor_b32 s2, exec_lo, s2
; %bb.17:
	v_bfe_u32 v83, v85, 16, 1
	s_delay_alu instid0(VALU_DEP_1)
	v_add3_u32 v83, v85, v83, 0x7fff
                                        ; implicit-def: $vgpr85
; %bb.18:
	s_and_not1_saveexec_b32 s2, s2
; %bb.19:
	v_and_b32_e32 v83, 0xffff, v85
	v_or_b32_e32 v90, 0x10000, v85
	s_delay_alu instid0(VALU_DEP_2) | instskip(NEXT) | instid1(VALU_DEP_2)
	v_cmp_eq_u32_e32 vcc_lo, 0, v83
	v_cndmask_b32_e32 v83, v90, v85, vcc_lo
; %bb.20:
	s_or_b32 exec_lo, exec_lo, s2
	v_and_b32_e32 v85, 0x7f800000, v86
	s_delay_alu instid0(VALU_DEP_1) | instskip(SKIP_1) | instid1(SALU_CYCLE_1)
	v_cmp_ne_u32_e32 vcc_lo, 0x7f800000, v85
                                        ; implicit-def: $vgpr85
	s_and_saveexec_b32 s2, vcc_lo
	s_xor_b32 s2, exec_lo, s2
; %bb.21:
	v_bfe_u32 v85, v86, 16, 1
	s_delay_alu instid0(VALU_DEP_1)
	v_add3_u32 v85, v86, v85, 0x7fff
                                        ; implicit-def: $vgpr86
; %bb.22:
	s_and_not1_saveexec_b32 s2, s2
; %bb.23:
	v_and_b32_e32 v85, 0xffff, v86
	v_or_b32_e32 v90, 0x10000, v86
	s_delay_alu instid0(VALU_DEP_2) | instskip(NEXT) | instid1(VALU_DEP_2)
	v_cmp_eq_u32_e32 vcc_lo, 0, v85
	v_cndmask_b32_e32 v85, v90, v86, vcc_lo
; %bb.24:
	s_or_b32 exec_lo, exec_lo, s2
	v_and_b32_e32 v86, 0x7f800000, v89
	s_delay_alu instid0(VALU_DEP_1) | instskip(SKIP_1) | instid1(SALU_CYCLE_1)
	v_cmp_ne_u32_e32 vcc_lo, 0x7f800000, v86
                                        ; implicit-def: $vgpr86
	s_and_saveexec_b32 s2, vcc_lo
	s_xor_b32 s2, exec_lo, s2
; %bb.25:
	v_bfe_u32 v86, v89, 16, 1
	s_delay_alu instid0(VALU_DEP_1)
	v_add3_u32 v86, v89, v86, 0x7fff
                                        ; implicit-def: $vgpr89
; %bb.26:
	s_and_not1_saveexec_b32 s2, s2
; %bb.27:
	v_and_b32_e32 v86, 0xffff, v89
	v_or_b32_e32 v90, 0x10000, v89
	s_delay_alu instid0(VALU_DEP_2) | instskip(NEXT) | instid1(VALU_DEP_2)
	v_cmp_eq_u32_e32 vcc_lo, 0, v86
	v_cndmask_b32_e32 v86, v90, v89, vcc_lo
; %bb.28:
	s_or_b32 exec_lo, exec_lo, s2
	v_and_b32_e32 v89, 0x7f800000, v88
	s_delay_alu instid0(VALU_DEP_1) | instskip(SKIP_1) | instid1(SALU_CYCLE_1)
	v_cmp_ne_u32_e32 vcc_lo, 0x7f800000, v89
                                        ; implicit-def: $vgpr89
	s_and_saveexec_b32 s2, vcc_lo
	s_xor_b32 s2, exec_lo, s2
; %bb.29:
	v_bfe_u32 v89, v88, 16, 1
	s_delay_alu instid0(VALU_DEP_1)
	v_add3_u32 v89, v88, v89, 0x7fff
                                        ; implicit-def: $vgpr88
; %bb.30:
	s_and_not1_saveexec_b32 s2, s2
; %bb.31:
	v_and_b32_e32 v89, 0xffff, v88
	v_or_b32_e32 v90, 0x10000, v88
	s_delay_alu instid0(VALU_DEP_2) | instskip(NEXT) | instid1(VALU_DEP_2)
	v_cmp_eq_u32_e32 vcc_lo, 0, v89
	v_cndmask_b32_e32 v89, v90, v88, vcc_lo
; %bb.32:
	s_or_b32 exec_lo, exec_lo, s2
	v_and_b32_e32 v88, 0x7f800000, v87
	s_delay_alu instid0(VALU_DEP_1) | instskip(SKIP_1) | instid1(SALU_CYCLE_1)
	v_cmp_ne_u32_e32 vcc_lo, 0x7f800000, v88
                                        ; implicit-def: $vgpr88
	s_and_saveexec_b32 s2, vcc_lo
	s_xor_b32 s2, exec_lo, s2
; %bb.33:
	v_bfe_u32 v88, v87, 16, 1
	s_delay_alu instid0(VALU_DEP_1)
	v_add3_u32 v88, v87, v88, 0x7fff
                                        ; implicit-def: $vgpr87
; %bb.34:
	s_and_not1_saveexec_b32 s2, s2
; %bb.35:
	v_and_b32_e32 v88, 0xffff, v87
	v_or_b32_e32 v90, 0x10000, v87
	s_delay_alu instid0(VALU_DEP_2) | instskip(NEXT) | instid1(VALU_DEP_2)
	v_cmp_eq_u32_e32 vcc_lo, 0, v88
	v_cndmask_b32_e32 v88, v90, v87, vcc_lo
; %bb.36:
	s_or_b32 exec_lo, exec_lo, s2
	v_and_b32_e32 v87, 0x7f800000, v84
	s_delay_alu instid0(VALU_DEP_1) | instskip(SKIP_1) | instid1(SALU_CYCLE_1)
	v_cmp_ne_u32_e32 vcc_lo, 0x7f800000, v87
                                        ; implicit-def: $vgpr87
	s_and_saveexec_b32 s2, vcc_lo
	s_xor_b32 s2, exec_lo, s2
; %bb.37:
	v_bfe_u32 v87, v84, 16, 1
	s_delay_alu instid0(VALU_DEP_1)
	v_add3_u32 v87, v84, v87, 0x7fff
                                        ; implicit-def: $vgpr84
; %bb.38:
	s_and_not1_saveexec_b32 s2, s2
; %bb.39:
	v_and_b32_e32 v87, 0xffff, v84
	v_or_b32_e32 v90, 0x10000, v84
	s_delay_alu instid0(VALU_DEP_2) | instskip(NEXT) | instid1(VALU_DEP_2)
	v_cmp_eq_u32_e32 vcc_lo, 0, v87
	v_cndmask_b32_e32 v87, v90, v84, vcc_lo
; %bb.40:
	s_or_b32 exec_lo, exec_lo, s2
	v_and_b32_e32 v84, 0x7f800000, v82
	s_delay_alu instid0(VALU_DEP_1) | instskip(SKIP_1) | instid1(SALU_CYCLE_1)
	v_cmp_ne_u32_e32 vcc_lo, 0x7f800000, v84
                                        ; implicit-def: $vgpr84
	s_and_saveexec_b32 s2, vcc_lo
	s_xor_b32 s2, exec_lo, s2
; %bb.41:
	v_bfe_u32 v84, v82, 16, 1
	s_delay_alu instid0(VALU_DEP_1)
	v_add3_u32 v84, v82, v84, 0x7fff
                                        ; implicit-def: $vgpr82
; %bb.42:
	s_and_not1_saveexec_b32 s2, s2
; %bb.43:
	v_and_b32_e32 v84, 0xffff, v82
	v_or_b32_e32 v90, 0x10000, v82
	s_delay_alu instid0(VALU_DEP_2) | instskip(NEXT) | instid1(VALU_DEP_2)
	v_cmp_eq_u32_e32 vcc_lo, 0, v84
	v_cndmask_b32_e32 v84, v90, v82, vcc_lo
; %bb.44:
	s_or_b32 exec_lo, exec_lo, s2
	s_load_b64 s[34:35], s[0:1], 0x94
	v_lshlrev_b32_e32 v82, 4, v74
	s_delay_alu instid0(VALU_DEP_2)
	v_perm_b32 v90, v84, v87, 0x7060302
	v_lshlrev_b32_e32 v84, 11, v65
	v_perm_b32 v87, v83, v77, 0x7060302
	v_mul_f32_e32 v83, v81, v69
	v_mul_f32_e32 v69, v81, v80
	v_perm_b32 v89, v88, v89, 0x7060302
	v_perm_b32 v88, v86, v85, 0x7060302
	v_or3_b32 v77, v82, v84, v76
	v_mul_f32_e32 v79, v81, v79
	v_mul_f32_e32 v78, v81, v78
	v_and_b32_e32 v84, 0x7f800000, v83
	v_mul_f32_e32 v72, v81, v72
	v_mul_f32_e32 v82, v81, v71
	;; [unrolled: 1-line block ×4, first 2 shown]
	s_mov_b32 s2, exec_lo
	ds_store_b128 v77, v[87:90]
                                        ; implicit-def: $vgpr68
	v_cmpx_ne_u32_e32 0x7f800000, v84
	s_xor_b32 s2, exec_lo, s2
; %bb.45:
	v_bfe_u32 v68, v83, 16, 1
	s_delay_alu instid0(VALU_DEP_1)
	v_add3_u32 v68, v83, v68, 0x7fff
                                        ; implicit-def: $vgpr83
; %bb.46:
	s_and_not1_saveexec_b32 s2, s2
; %bb.47:
	v_and_b32_e32 v68, 0xffff, v83
	v_or_b32_e32 v70, 0x10000, v83
	s_delay_alu instid0(VALU_DEP_2) | instskip(NEXT) | instid1(VALU_DEP_2)
	v_cmp_eq_u32_e32 vcc_lo, 0, v68
	v_cndmask_b32_e32 v68, v70, v83, vcc_lo
; %bb.48:
	s_or_b32 exec_lo, exec_lo, s2
	v_and_b32_e32 v70, 0x7f800000, v71
	s_delay_alu instid0(VALU_DEP_1) | instskip(SKIP_1) | instid1(SALU_CYCLE_1)
	v_cmp_ne_u32_e32 vcc_lo, 0x7f800000, v70
                                        ; implicit-def: $vgpr70
	s_and_saveexec_b32 s2, vcc_lo
	s_xor_b32 s2, exec_lo, s2
; %bb.49:
	v_bfe_u32 v70, v71, 16, 1
	s_delay_alu instid0(VALU_DEP_1)
	v_add3_u32 v70, v71, v70, 0x7fff
                                        ; implicit-def: $vgpr71
; %bb.50:
	s_and_not1_saveexec_b32 s2, s2
; %bb.51:
	v_and_b32_e32 v70, 0xffff, v71
	v_or_b32_e32 v81, 0x10000, v71
	s_delay_alu instid0(VALU_DEP_2) | instskip(NEXT) | instid1(VALU_DEP_2)
	v_cmp_eq_u32_e32 vcc_lo, 0, v70
	v_cndmask_b32_e32 v70, v81, v71, vcc_lo
; %bb.52:
	s_or_b32 exec_lo, exec_lo, s2
	v_and_b32_e32 v71, 0x7f800000, v80
	s_delay_alu instid0(VALU_DEP_1) | instskip(SKIP_1) | instid1(SALU_CYCLE_1)
	v_cmp_ne_u32_e32 vcc_lo, 0x7f800000, v71
                                        ; implicit-def: $vgpr71
	s_and_saveexec_b32 s2, vcc_lo
	s_xor_b32 s2, exec_lo, s2
; %bb.53:
	v_bfe_u32 v71, v80, 16, 1
	s_delay_alu instid0(VALU_DEP_1)
	v_add3_u32 v71, v80, v71, 0x7fff
                                        ; implicit-def: $vgpr80
; %bb.54:
	s_and_not1_saveexec_b32 s2, s2
; %bb.55:
	v_and_b32_e32 v71, 0xffff, v80
	v_or_b32_e32 v81, 0x10000, v80
	s_delay_alu instid0(VALU_DEP_2) | instskip(NEXT) | instid1(VALU_DEP_2)
	v_cmp_eq_u32_e32 vcc_lo, 0, v71
	v_cndmask_b32_e32 v71, v81, v80, vcc_lo
; %bb.56:
	s_or_b32 exec_lo, exec_lo, s2
	v_and_b32_e32 v80, 0x7f800000, v82
	s_delay_alu instid0(VALU_DEP_1) | instskip(SKIP_1) | instid1(SALU_CYCLE_1)
	v_cmp_ne_u32_e32 vcc_lo, 0x7f800000, v80
                                        ; implicit-def: $vgpr80
	s_and_saveexec_b32 s2, vcc_lo
	s_xor_b32 s2, exec_lo, s2
; %bb.57:
	v_bfe_u32 v80, v82, 16, 1
	s_delay_alu instid0(VALU_DEP_1)
	v_add3_u32 v80, v82, v80, 0x7fff
                                        ; implicit-def: $vgpr82
; %bb.58:
	s_and_not1_saveexec_b32 s2, s2
; %bb.59:
	v_and_b32_e32 v80, 0xffff, v82
	v_or_b32_e32 v81, 0x10000, v82
	s_delay_alu instid0(VALU_DEP_2) | instskip(NEXT) | instid1(VALU_DEP_2)
	v_cmp_eq_u32_e32 vcc_lo, 0, v80
	v_cndmask_b32_e32 v80, v81, v82, vcc_lo
; %bb.60:
	s_or_b32 exec_lo, exec_lo, s2
	v_and_b32_e32 v81, 0x7f800000, v72
	s_delay_alu instid0(VALU_DEP_1) | instskip(SKIP_1) | instid1(SALU_CYCLE_1)
	v_cmp_ne_u32_e32 vcc_lo, 0x7f800000, v81
                                        ; implicit-def: $vgpr81
	s_and_saveexec_b32 s2, vcc_lo
	s_xor_b32 s2, exec_lo, s2
; %bb.61:
	v_bfe_u32 v81, v72, 16, 1
	s_delay_alu instid0(VALU_DEP_1)
	v_add3_u32 v81, v72, v81, 0x7fff
                                        ; implicit-def: $vgpr72
; %bb.62:
	s_and_not1_saveexec_b32 s2, s2
; %bb.63:
	v_and_b32_e32 v81, 0xffff, v72
	v_or_b32_e32 v82, 0x10000, v72
	s_delay_alu instid0(VALU_DEP_2) | instskip(NEXT) | instid1(VALU_DEP_2)
	v_cmp_eq_u32_e32 vcc_lo, 0, v81
	v_cndmask_b32_e32 v81, v82, v72, vcc_lo
; %bb.64:
	s_or_b32 exec_lo, exec_lo, s2
	v_and_b32_e32 v72, 0x7f800000, v78
	s_delay_alu instid0(VALU_DEP_1) | instskip(SKIP_1) | instid1(SALU_CYCLE_1)
	v_cmp_ne_u32_e32 vcc_lo, 0x7f800000, v72
                                        ; implicit-def: $vgpr72
	s_and_saveexec_b32 s2, vcc_lo
	s_xor_b32 s2, exec_lo, s2
; %bb.65:
	v_bfe_u32 v72, v78, 16, 1
	s_delay_alu instid0(VALU_DEP_1)
	v_add3_u32 v72, v78, v72, 0x7fff
                                        ; implicit-def: $vgpr78
; %bb.66:
	s_and_not1_saveexec_b32 s2, s2
; %bb.67:
	v_and_b32_e32 v72, 0xffff, v78
	v_or_b32_e32 v82, 0x10000, v78
	s_delay_alu instid0(VALU_DEP_2) | instskip(NEXT) | instid1(VALU_DEP_2)
	v_cmp_eq_u32_e32 vcc_lo, 0, v72
	v_cndmask_b32_e32 v72, v82, v78, vcc_lo
; %bb.68:
	s_or_b32 exec_lo, exec_lo, s2
	v_and_b32_e32 v78, 0x7f800000, v79
	s_delay_alu instid0(VALU_DEP_1) | instskip(SKIP_1) | instid1(SALU_CYCLE_1)
	v_cmp_ne_u32_e32 vcc_lo, 0x7f800000, v78
                                        ; implicit-def: $vgpr78
	s_and_saveexec_b32 s2, vcc_lo
	s_xor_b32 s2, exec_lo, s2
; %bb.69:
	v_bfe_u32 v78, v79, 16, 1
	s_delay_alu instid0(VALU_DEP_1)
	v_add3_u32 v78, v79, v78, 0x7fff
                                        ; implicit-def: $vgpr79
; %bb.70:
	s_and_not1_saveexec_b32 s2, s2
; %bb.71:
	v_and_b32_e32 v78, 0xffff, v79
	v_or_b32_e32 v82, 0x10000, v79
	s_delay_alu instid0(VALU_DEP_2) | instskip(NEXT) | instid1(VALU_DEP_2)
	v_cmp_eq_u32_e32 vcc_lo, 0, v78
	v_cndmask_b32_e32 v78, v82, v79, vcc_lo
; %bb.72:
	s_or_b32 exec_lo, exec_lo, s2
	v_and_b32_e32 v79, 0x7f800000, v69
	s_delay_alu instid0(VALU_DEP_1) | instskip(SKIP_1) | instid1(SALU_CYCLE_1)
	v_cmp_ne_u32_e32 vcc_lo, 0x7f800000, v79
                                        ; implicit-def: $vgpr79
	s_and_saveexec_b32 s2, vcc_lo
	s_xor_b32 s2, exec_lo, s2
; %bb.73:
	v_bfe_u32 v79, v69, 16, 1
	s_delay_alu instid0(VALU_DEP_1)
	v_add3_u32 v79, v69, v79, 0x7fff
                                        ; implicit-def: $vgpr69
; %bb.74:
	s_and_not1_saveexec_b32 s2, s2
; %bb.75:
	v_and_b32_e32 v79, 0xffff, v69
	v_or_b32_e32 v82, 0x10000, v69
	s_delay_alu instid0(VALU_DEP_2) | instskip(NEXT) | instid1(VALU_DEP_2)
	v_cmp_eq_u32_e32 vcc_lo, 0, v79
	v_cndmask_b32_e32 v79, v82, v69, vcc_lo
; %bb.76:
	s_or_b32 exec_lo, exec_lo, s2
	s_delay_alu instid0(VALU_DEP_1)
	v_perm_b32 v86, v79, v78, 0x7060302
	v_perm_b32 v85, v72, v81, 0x7060302
	;; [unrolled: 1-line block ×4, first 2 shown]
	v_lshl_or_b32 v82, v65, 11, v76
	v_lshlrev_b32_e32 v79, 2, v74
	ds_store_b128 v77, v[83:86] offset:1024
	s_waitcnt lgkmcnt(0)
	s_barrier
	buffer_gl0_inv
	ds_load_b128 v[68:71], v82
	ds_load_b128 v[83:86], v82 offset:16
	v_or_b32_e32 v80, 1, v79
	v_cmp_eq_u32_e32 vcc_lo, 1, v79
	v_cmp_eq_u32_e64 s3, 2, v79
	v_cmp_eq_u32_e64 s6, 3, v79
	;; [unrolled: 1-line block ×6, first 2 shown]
	v_or_b32_e32 v78, 2, v79
	v_cmp_eq_u32_e64 s9, 5, v79
	v_cmp_eq_u32_e64 s10, 4, v80
	;; [unrolled: 1-line block ×9, first 2 shown]
	s_waitcnt lgkmcnt(1)
	v_lshrrev_b32_e32 v65, 16, v68
	s_waitcnt lgkmcnt(0)
	v_lshrrev_b32_e32 v91, 16, v83
	v_lshrrev_b32_e32 v72, 16, v69
	;; [unrolled: 1-line block ×4, first 2 shown]
	v_cndmask_b32_e32 v81, v68, v65, vcc_lo
	v_cndmask_b32_e32 v87, v83, v91, vcc_lo
	v_cndmask_b32_e64 v88, v68, v65, s2
	v_lshrrev_b32_e32 v98, 16, v85
	v_cndmask_b32_e64 v89, v83, v91, s2
	v_cndmask_b32_e64 v81, v81, v69, s3
	v_cndmask_b32_e64 v87, v87, v84, s3
	v_cndmask_b32_e64 v88, v88, v69, s5
	v_lshrrev_b32_e32 v96, 16, v71
	v_cndmask_b32_e64 v89, v89, v84, s5
	v_cndmask_b32_e64 v81, v81, v72, s6
	v_cndmask_b32_e64 v87, v87, v97, s6
	;; [unrolled: 5-line block ×3, first 2 shown]
	v_cndmask_b32_e64 v88, v88, v70, s10
	v_cndmask_b32_e64 v89, v89, v97, s7
	v_cmp_eq_u32_e64 s18, 3, v78
	v_cndmask_b32_e64 v81, v81, v95, s9
	v_cndmask_b32_e64 v87, v87, v98, s9
	;; [unrolled: 1-line block ×4, first 2 shown]
	v_cmp_eq_u32_e64 s19, 4, v78
	v_cndmask_b32_e64 v81, v81, v71, s11
	v_cndmask_b32_e64 v87, v87, v86, s11
	;; [unrolled: 1-line block ×3, first 2 shown]
	v_cmp_eq_u32_e64 s21, 5, v78
	v_cmp_eq_u32_e64 s23, 6, v78
	v_cndmask_b32_e64 v100, v81, v96, s13
	v_cndmask_b32_e64 v101, v87, v99, s13
	;; [unrolled: 1-line block ×6, first 2 shown]
	v_cmp_eq_u32_e64 s26, 7, v78
	v_cndmask_b32_e64 v89, v81, v72, s18
	v_cndmask_b32_e64 v87, v87, v84, s16
	v_or_b32_e32 v81, 3, v79
	v_cndmask_b32_e64 v103, v88, v86, s15
	s_delay_alu instid0(VALU_DEP_4) | instskip(NEXT) | instid1(VALU_DEP_4)
	v_cndmask_b32_e64 v92, v89, v70, s19
	v_cndmask_b32_e64 v93, v87, v97, s18
	s_delay_alu instid0(VALU_DEP_4)
	v_cmp_eq_u32_e64 s20, 1, v81
	ds_load_b128 v[87:90], v82 offset:1024
	v_cmp_eq_u32_e64 s22, 2, v81
	v_cndmask_b32_e64 v104, v92, v95, s21
	v_cmp_eq_u32_e64 s24, 3, v81
	v_cndmask_b32_e64 v65, v68, v65, s20
	v_cndmask_b32_e64 v68, v93, v85, s19
	v_cndmask_b32_e64 v83, v83, v91, s20
	ds_load_b128 v[91:94], v82 offset:1040
	v_cmp_eq_u32_e64 s25, 4, v81
	v_cndmask_b32_e64 v65, v65, v69, s22
	v_cmp_eq_u32_e64 s27, 5, v81
	v_cndmask_b32_e64 v69, v83, v84, s22
	;; [unrolled: 2-line block ×3, first 2 shown]
	v_cndmask_b32_e64 v65, v65, v72, s24
	v_cndmask_b32_e64 v72, v104, v71, s23
	;; [unrolled: 1-line block ×6, first 2 shown]
	s_waitcnt lgkmcnt(1)
	v_lshrrev_b32_e32 v84, 16, v87
	v_cndmask_b32_e64 v69, v69, v85, s25
	v_cndmask_b32_e64 v70, v72, v96, s26
	;; [unrolled: 1-line block ×4, first 2 shown]
	v_cndmask_b32_e32 v72, v87, v84, vcc_lo
	v_cndmask_b32_e64 v69, v69, v98, s27
	s_waitcnt lgkmcnt(0)
	v_lshrrev_b32_e32 v85, 16, v91
	v_lshrrev_b32_e32 v95, 16, v88
	v_cndmask_b32_e64 v97, v87, v84, s2
	v_cndmask_b32_e64 v72, v72, v88, s3
	;; [unrolled: 1-line block ×3, first 2 shown]
	v_cndmask_b32_e32 v98, v91, v85, vcc_lo
	v_cmp_eq_u32_e32 vcc_lo, 7, v81
	v_cndmask_b32_e64 v69, v69, v86, s28
	v_cndmask_b32_e64 v71, v72, v95, s6
	v_cndmask_b32_e64 v72, v97, v88, s5
	v_lshrrev_b32_e32 v97, 16, v92
	v_cndmask_b32_e32 v65, v65, v96, vcc_lo
	v_cndmask_b32_e64 v86, v98, v92, s3
	v_cndmask_b32_e32 v69, v69, v99, vcc_lo
	v_lshrrev_b32_e32 v99, 16, v93
	v_cndmask_b32_e64 v71, v71, v89, s8
	v_lshrrev_b32_e32 v98, 16, v89
	v_cndmask_b32_e64 v86, v86, v97, s6
	v_perm_b32 v70, v68, v70, 0x5040100
	v_cndmask_b32_e64 v72, v72, v95, s7
	s_delay_alu instid0(VALU_DEP_4) | instskip(NEXT) | instid1(VALU_DEP_4)
	v_cndmask_b32_e64 v96, v71, v98, s9
	v_cndmask_b32_e64 v86, v86, v93, s8
	v_perm_b32 v71, v69, v65, 0x5040100
	v_perm_b32 v69, v83, v102, 0x5040100
	v_cndmask_b32_e64 v102, v91, v85, s4
	v_cndmask_b32_e64 v72, v72, v89, s10
	;; [unrolled: 1-line block ×3, first 2 shown]
	v_lshrrev_b32_e32 v83, 16, v94
	s_delay_alu instid0(VALU_DEP_3) | instskip(NEXT) | instid1(VALU_DEP_3)
	v_cndmask_b32_e64 v65, v72, v98, s12
	v_cndmask_b32_e64 v68, v86, v94, s11
	;; [unrolled: 1-line block ×27, first 2 shown]
	v_lshrrev_b32_e32 v96, 16, v90
	v_cndmask_b32_e64 v65, v65, v90, s15
	v_cndmask_b32_e64 v86, v86, v90, s23
	v_cndmask_b32_e64 v84, v84, v90, s28
	v_cndmask_b32_e64 v87, v87, v94, s28
	v_cndmask_b32_e64 v88, v88, v94, s23
	v_cndmask_b32_e64 v85, v85, v94, s15
	v_cndmask_b32_e64 v72, v72, v96, s13
	v_cndmask_b32_e64 v65, v65, v96, s17
	v_cndmask_b32_e64 v89, v86, v96, s26
	v_cndmask_b32_e32 v84, v84, v96, vcc_lo
	v_cndmask_b32_e32 v86, v87, v83, vcc_lo
	v_cndmask_b32_e64 v87, v88, v83, s26
	v_cndmask_b32_e64 v88, v85, v83, s17
	;; [unrolled: 1-line block ×3, first 2 shown]
	v_perm_b32 v68, v101, v100, 0x5040100
	v_perm_b32 v86, v86, v84, 0x5040100
	v_perm_b32 v85, v87, v89, 0x5040100
	v_perm_b32 v84, v88, v65, 0x5040100
	v_perm_b32 v83, v83, v72, 0x5040100
	s_lshl_b32 s7, s35, 4
	s_mov_b32 s2, exec_lo
	ds_store_b128 v77, v[68:71]
	ds_store_b128 v77, v[83:86] offset:1024
	v_cmpx_gt_u32_e32 16, v0
	s_cbranch_execz .LBB1853_78
; %bb.77:
	v_or_b32_e32 v65, s29, v0
	s_load_b128 s[8:11], s[0:1], 0x58
	s_delay_alu instid0(VALU_DEP_1) | instskip(NEXT) | instid1(VALU_DEP_1)
	v_mad_u64_u32 v[68:69], null, s7, s30, v[65:66]
	v_mad_u64_u32 v[69:70], null, v68, s34, s[14:15]
	s_delay_alu instid0(VALU_DEP_1) | instskip(NEXT) | instid1(VALU_DEP_1)
	v_ashrrev_i32_e32 v70, 31, v69
	v_lshlrev_b64 v[68:69], 2, v[69:70]
	s_waitcnt lgkmcnt(0)
	s_delay_alu instid0(VALU_DEP_1) | instskip(NEXT) | instid1(VALU_DEP_2)
	v_add_co_u32 v70, vcc_lo, s10, v68
	v_add_co_ci_u32_e32 v71, vcc_lo, s11, v69, vcc_lo
	v_add_co_u32 v68, vcc_lo, s8, v68
	v_add_co_ci_u32_e32 v69, vcc_lo, s9, v69, vcc_lo
	global_store_b32 v[70:71], v66, off
	global_store_b32 v[68:69], v67, off
.LBB1853_78:
	s_or_b32 exec_lo, exec_lo, s2
	s_waitcnt lgkmcnt(0)
	s_waitcnt_vscnt null, 0x0
	s_barrier
	buffer_gl0_inv
	ds_load_b128 v[83:86], v76
	ds_load_b128 v[87:90], v76 offset:16
	ds_load_b128 v[95:98], v76 offset:2064
	;; [unrolled: 1-line block ×3, first 2 shown]
	v_mov_b32_e32 v65, 0
	ds_load_b128 v[103:106], v76 offset:4112
	ds_load_b128 v[99:102], v76 offset:4096
	;; [unrolled: 1-line block ×4, first 2 shown]
	v_mov_b32_e32 v66, v65
	v_mov_b32_e32 v67, v65
	;; [unrolled: 1-line block ×7, first 2 shown]
	s_waitcnt lgkmcnt(6)
	s_delay_alu instid0(VALU_DEP_1)
	v_wmma_f32_16x16x16_bf16 v[65:72], v[49:56], v[83:90], v[65:72]
	ds_load_b128 v[53:56], v76 offset:8208
	ds_load_b128 v[49:52], v76 offset:8192
	s_waitcnt lgkmcnt(6)
	v_wmma_f32_16x16x16_bf16 v[65:72], v[41:48], v[91:98], v[65:72]
	ds_load_b128 v[45:48], v76 offset:10256
	ds_load_b128 v[41:44], v76 offset:10240
	s_waitcnt lgkmcnt(6)
	;; [unrolled: 4-line block ×4, first 2 shown]
	v_wmma_f32_16x16x16_bf16 v[65:72], v[1:8], v[49:56], v[65:72]
	s_waitcnt lgkmcnt(4)
	s_delay_alu instid0(VALU_DEP_1) | instskip(SKIP_1) | instid1(VALU_DEP_1)
	v_wmma_f32_16x16x16_bf16 v[65:72], v[9:16], v[41:48], v[65:72]
	s_waitcnt lgkmcnt(2)
	v_wmma_f32_16x16x16_bf16 v[65:72], v[17:24], v[33:40], v[65:72]
	s_waitcnt lgkmcnt(0)
	s_delay_alu instid0(VALU_DEP_1) | instskip(NEXT) | instid1(VALU_DEP_1)
	v_wmma_f32_16x16x16_bf16 v[65:72], v[57:64], v[25:32], v[65:72]
	v_and_b32_e32 v1, 0x7f800000, v65
	s_delay_alu instid0(VALU_DEP_1) | instskip(SKIP_1) | instid1(SALU_CYCLE_1)
	v_cmp_ne_u32_e32 vcc_lo, 0x7f800000, v1
                                        ; implicit-def: $vgpr1
	s_and_saveexec_b32 s2, vcc_lo
	s_xor_b32 s2, exec_lo, s2
; %bb.79:
	v_bfe_u32 v1, v65, 16, 1
	s_delay_alu instid0(VALU_DEP_1)
	v_add3_u32 v1, v65, v1, 0x7fff
; %bb.80:
	s_and_not1_saveexec_b32 s2, s2
; %bb.81:
	v_and_b32_e32 v1, 0xffff, v65
	v_or_b32_e32 v2, 0x10000, v65
	s_delay_alu instid0(VALU_DEP_2) | instskip(NEXT) | instid1(VALU_DEP_2)
	v_cmp_eq_u32_e32 vcc_lo, 0, v1
	v_cndmask_b32_e32 v1, v2, v65, vcc_lo
; %bb.82:
	s_or_b32 exec_lo, exec_lo, s2
	v_and_b32_e32 v2, 0x7f800000, v66
	s_delay_alu instid0(VALU_DEP_1) | instskip(SKIP_1) | instid1(SALU_CYCLE_1)
	v_cmp_ne_u32_e32 vcc_lo, 0x7f800000, v2
                                        ; implicit-def: $vgpr2
	s_and_saveexec_b32 s2, vcc_lo
	s_xor_b32 s2, exec_lo, s2
; %bb.83:
	v_bfe_u32 v2, v66, 16, 1
	s_delay_alu instid0(VALU_DEP_1)
	v_add3_u32 v2, v66, v2, 0x7fff
; %bb.84:
	s_and_not1_saveexec_b32 s2, s2
; %bb.85:
	v_and_b32_e32 v2, 0xffff, v66
	v_or_b32_e32 v3, 0x10000, v66
	s_delay_alu instid0(VALU_DEP_2) | instskip(NEXT) | instid1(VALU_DEP_2)
	v_cmp_eq_u32_e32 vcc_lo, 0, v2
	v_cndmask_b32_e32 v2, v3, v66, vcc_lo
; %bb.86:
	s_or_b32 exec_lo, exec_lo, s2
	v_and_b32_e32 v3, 0x7f800000, v67
	s_delay_alu instid0(VALU_DEP_1) | instskip(SKIP_1) | instid1(SALU_CYCLE_1)
	v_cmp_ne_u32_e32 vcc_lo, 0x7f800000, v3
                                        ; implicit-def: $vgpr3
	s_and_saveexec_b32 s2, vcc_lo
	s_xor_b32 s2, exec_lo, s2
; %bb.87:
	v_bfe_u32 v3, v67, 16, 1
	s_delay_alu instid0(VALU_DEP_1)
	v_add3_u32 v3, v67, v3, 0x7fff
; %bb.88:
	s_and_not1_saveexec_b32 s2, s2
; %bb.89:
	v_and_b32_e32 v3, 0xffff, v67
	v_or_b32_e32 v4, 0x10000, v67
	s_delay_alu instid0(VALU_DEP_2) | instskip(NEXT) | instid1(VALU_DEP_2)
	v_cmp_eq_u32_e32 vcc_lo, 0, v3
	v_cndmask_b32_e32 v3, v4, v67, vcc_lo
; %bb.90:
	s_or_b32 exec_lo, exec_lo, s2
	v_and_b32_e32 v4, 0x7f800000, v68
	s_delay_alu instid0(VALU_DEP_1) | instskip(SKIP_1) | instid1(SALU_CYCLE_1)
	v_cmp_ne_u32_e32 vcc_lo, 0x7f800000, v4
                                        ; implicit-def: $vgpr4
	s_and_saveexec_b32 s2, vcc_lo
	s_xor_b32 s2, exec_lo, s2
; %bb.91:
	v_bfe_u32 v4, v68, 16, 1
	s_delay_alu instid0(VALU_DEP_1)
	v_add3_u32 v4, v68, v4, 0x7fff
; %bb.92:
	s_and_not1_saveexec_b32 s2, s2
; %bb.93:
	v_and_b32_e32 v4, 0xffff, v68
	v_or_b32_e32 v5, 0x10000, v68
	s_delay_alu instid0(VALU_DEP_2) | instskip(NEXT) | instid1(VALU_DEP_2)
	v_cmp_eq_u32_e32 vcc_lo, 0, v4
	v_cndmask_b32_e32 v4, v5, v68, vcc_lo
; %bb.94:
	s_or_b32 exec_lo, exec_lo, s2
	v_and_b32_e32 v5, 0x7f800000, v69
	s_delay_alu instid0(VALU_DEP_1) | instskip(SKIP_1) | instid1(SALU_CYCLE_1)
	v_cmp_ne_u32_e32 vcc_lo, 0x7f800000, v5
                                        ; implicit-def: $vgpr5
	s_and_saveexec_b32 s2, vcc_lo
	s_xor_b32 s2, exec_lo, s2
; %bb.95:
	v_bfe_u32 v5, v69, 16, 1
	s_delay_alu instid0(VALU_DEP_1)
	v_add3_u32 v5, v69, v5, 0x7fff
; %bb.96:
	s_and_not1_saveexec_b32 s2, s2
; %bb.97:
	v_and_b32_e32 v5, 0xffff, v69
	v_or_b32_e32 v6, 0x10000, v69
	s_delay_alu instid0(VALU_DEP_2) | instskip(NEXT) | instid1(VALU_DEP_2)
	v_cmp_eq_u32_e32 vcc_lo, 0, v5
	v_cndmask_b32_e32 v5, v6, v69, vcc_lo
; %bb.98:
	s_or_b32 exec_lo, exec_lo, s2
	v_and_b32_e32 v6, 0x7f800000, v70
	s_delay_alu instid0(VALU_DEP_1) | instskip(SKIP_1) | instid1(SALU_CYCLE_1)
	v_cmp_ne_u32_e32 vcc_lo, 0x7f800000, v6
                                        ; implicit-def: $vgpr6
	s_and_saveexec_b32 s2, vcc_lo
	s_xor_b32 s2, exec_lo, s2
; %bb.99:
	v_bfe_u32 v6, v70, 16, 1
	s_delay_alu instid0(VALU_DEP_1)
	v_add3_u32 v6, v70, v6, 0x7fff
; %bb.100:
	s_and_not1_saveexec_b32 s2, s2
; %bb.101:
	v_and_b32_e32 v6, 0xffff, v70
	v_or_b32_e32 v7, 0x10000, v70
	s_delay_alu instid0(VALU_DEP_2) | instskip(NEXT) | instid1(VALU_DEP_2)
	v_cmp_eq_u32_e32 vcc_lo, 0, v6
	v_cndmask_b32_e32 v6, v7, v70, vcc_lo
; %bb.102:
	s_or_b32 exec_lo, exec_lo, s2
	v_and_b32_e32 v7, 0x7f800000, v71
	s_delay_alu instid0(VALU_DEP_1) | instskip(SKIP_1) | instid1(SALU_CYCLE_1)
	v_cmp_ne_u32_e32 vcc_lo, 0x7f800000, v7
                                        ; implicit-def: $vgpr7
	s_and_saveexec_b32 s2, vcc_lo
	s_xor_b32 s2, exec_lo, s2
; %bb.103:
	v_bfe_u32 v7, v71, 16, 1
	s_delay_alu instid0(VALU_DEP_1)
	v_add3_u32 v7, v71, v7, 0x7fff
; %bb.104:
	s_and_not1_saveexec_b32 s2, s2
; %bb.105:
	v_and_b32_e32 v7, 0xffff, v71
	v_or_b32_e32 v8, 0x10000, v71
	s_delay_alu instid0(VALU_DEP_2) | instskip(NEXT) | instid1(VALU_DEP_2)
	v_cmp_eq_u32_e32 vcc_lo, 0, v7
	v_cndmask_b32_e32 v7, v8, v71, vcc_lo
; %bb.106:
	s_or_b32 exec_lo, exec_lo, s2
	v_and_b32_e32 v8, 0x7f800000, v72
	s_delay_alu instid0(VALU_DEP_1) | instskip(SKIP_1) | instid1(SALU_CYCLE_1)
	v_cmp_ne_u32_e32 vcc_lo, 0x7f800000, v8
                                        ; implicit-def: $vgpr8
	s_and_saveexec_b32 s2, vcc_lo
	s_xor_b32 s2, exec_lo, s2
; %bb.107:
	v_bfe_u32 v8, v72, 16, 1
	s_delay_alu instid0(VALU_DEP_1)
	v_add3_u32 v8, v72, v8, 0x7fff
                                        ; implicit-def: $vgpr65_vgpr66_vgpr67_vgpr68_vgpr69_vgpr70_vgpr71_vgpr72
; %bb.108:
	s_and_not1_saveexec_b32 s2, s2
; %bb.109:
	v_and_b32_e32 v8, 0xffff, v72
	v_or_b32_e32 v9, 0x10000, v72
	s_delay_alu instid0(VALU_DEP_2) | instskip(NEXT) | instid1(VALU_DEP_2)
	v_cmp_eq_u32_e32 vcc_lo, 0, v8
	v_cndmask_b32_e32 v8, v9, v72, vcc_lo
; %bb.110:
	s_or_b32 exec_lo, exec_lo, s2
	s_delay_alu instid0(VALU_DEP_1)
	v_perm_b32 v7, v8, v7, 0x7060302
	v_perm_b32 v6, v6, v5, 0x7060302
	;; [unrolled: 1-line block ×4, first 2 shown]
	s_barrier
	buffer_gl0_inv
	v_cmp_eq_u32_e32 vcc_lo, 1, v79
	ds_store_b128 v77, v[4:7]
	s_waitcnt lgkmcnt(0)
	s_barrier
	buffer_gl0_inv
	ds_load_b128 v[1:4], v82
	ds_load_b128 v[5:8], v82 offset:16
	v_cmp_eq_u32_e64 s2, 1, v80
	v_cmp_eq_u32_e64 s3, 2, v79
	;; [unrolled: 1-line block ×5, first 2 shown]
	s_waitcnt lgkmcnt(1)
	v_lshrrev_b32_e32 v9, 16, v1
	s_waitcnt lgkmcnt(0)
	v_lshrrev_b32_e32 v13, 16, v5
	v_lshrrev_b32_e32 v10, 16, v2
	;; [unrolled: 1-line block ×4, first 2 shown]
	v_cndmask_b32_e64 v19, v1, v9, s2
	v_cndmask_b32_e32 v18, v5, v13, vcc_lo
	v_cndmask_b32_e64 v20, v5, v13, s2
	v_cndmask_b32_e32 v17, v1, v9, vcc_lo
	v_cmp_eq_u32_e32 vcc_lo, 2, v80
	v_lshrrev_b32_e32 v15, 16, v7
	v_cmp_eq_u32_e64 s2, 1, v78
	v_lshrrev_b32_e32 v12, 16, v4
	v_lshrrev_b32_e32 v16, 16, v8
	v_cndmask_b32_e32 v20, v20, v6, vcc_lo
	v_cndmask_b32_e64 v17, v17, v2, s3
	v_cndmask_b32_e32 v19, v19, v2, vcc_lo
	v_cndmask_b32_e64 v18, v18, v6, s3
	v_cmp_eq_u32_e32 vcc_lo, 4, v79
	v_cmp_eq_u32_e64 s3, 3, v80
	v_cndmask_b32_e64 v17, v17, v10, s4
	v_cndmask_b32_e64 v21, v1, v9, s2
	;; [unrolled: 1-line block ×5, first 2 shown]
	v_cndmask_b32_e32 v17, v17, v3, vcc_lo
	v_cndmask_b32_e64 v20, v20, v14, s3
	v_cndmask_b32_e32 v18, v18, v7, vcc_lo
	v_cmp_eq_u32_e32 vcc_lo, 4, v80
	v_cmp_eq_u32_e64 s3, 5, v80
	v_cmp_eq_u32_e64 s2, 2, v81
	v_cndmask_b32_e64 v21, v21, v2, s6
	v_cmp_eq_u32_e64 s4, 5, v79
	v_cndmask_b32_e32 v19, v19, v3, vcc_lo
	v_cndmask_b32_e32 v20, v20, v7, vcc_lo
	v_cmp_eq_u32_e32 vcc_lo, 6, v80
	s_delay_alu instid0(VALU_DEP_4) | instskip(NEXT) | instid1(VALU_DEP_4)
	v_cndmask_b32_e64 v17, v17, v11, s4
	v_cndmask_b32_e64 v19, v19, v11, s3
	s_delay_alu instid0(VALU_DEP_4) | instskip(SKIP_1) | instid1(VALU_DEP_3)
	v_cndmask_b32_e64 v20, v20, v15, s3
	v_cmp_eq_u32_e64 s3, 1, v81
	v_cndmask_b32_e32 v19, v19, v4, vcc_lo
	v_cndmask_b32_e64 v18, v18, v15, s4
	s_delay_alu instid0(VALU_DEP_3)
	v_cndmask_b32_e64 v1, v1, v9, s3
	v_cndmask_b32_e64 v5, v5, v13, s3
	v_cmp_eq_u32_e64 s3, 3, v78
	v_cndmask_b32_e64 v13, v22, v6, s6
	v_cmp_eq_u32_e64 s6, 3, v81
	v_cndmask_b32_e64 v1, v1, v2, s2
	v_cndmask_b32_e64 v2, v5, v6, s2
	;; [unrolled: 1-line block ×3, first 2 shown]
	v_cmp_eq_u32_e64 s2, 4, v78
	v_cndmask_b32_e64 v6, v13, v14, s3
	v_cndmask_b32_e64 v1, v1, v10, s6
	v_cmp_eq_u32_e64 s3, 4, v81
	v_cndmask_b32_e64 v2, v2, v14, s6
	v_cndmask_b32_e64 v5, v9, v3, s2
	;; [unrolled: 3-line block ×3, first 2 shown]
	v_cndmask_b32_e64 v2, v2, v7, s3
	v_cmp_eq_u32_e64 s2, 5, v81
	v_cmp_eq_u32_e64 s4, 6, v79
	v_cndmask_b32_e64 v5, v5, v11, s6
	v_cmp_eq_u32_e64 s3, 6, v78
	v_cndmask_b32_e64 v3, v6, v15, s6
	v_cndmask_b32_e64 v1, v1, v11, s2
	v_cmp_eq_u32_e64 s6, 6, v81
	v_cndmask_b32_e64 v2, v2, v15, s2
	v_cndmask_b32_e64 v17, v17, v4, s4
	v_cndmask_b32_e64 v18, v18, v8, s4
	v_cmp_eq_u32_e64 s4, 7, v79
	v_cndmask_b32_e64 v5, v5, v4, s3
	;; [unrolled: 4-line block ×3, first 2 shown]
	v_cmp_eq_u32_e64 s3, 7, v78
	v_cndmask_b32_e32 v4, v20, v8, vcc_lo
	v_cndmask_b32_e64 v17, v17, v12, s4
	v_cndmask_b32_e64 v19, v19, v12, s5
	;; [unrolled: 1-line block ×8, first 2 shown]
	s_mov_b32 s2, exec_lo
	v_perm_b32 v4, v2, v1, 0x5040100
	v_perm_b32 v3, v3, v5, 0x5040100
	;; [unrolled: 1-line block ×4, first 2 shown]
	ds_store_b128 v77, v[1:4]
	s_waitcnt lgkmcnt(0)
	s_barrier
	buffer_gl0_inv
	v_cmpx_gt_u32_e32 32, v0
	s_cbranch_execz .LBB1853_2
; %bb.111:
	s_load_b64 s[0:1], s[0:1], 0x68
	v_lshlrev_b32_e32 v0, 10, v0
	s_lshl_b32 s4, s34, 7
	v_or_b32_e32 v23, s29, v74
	s_mul_i32 s2, s4, s30
	v_lshlrev_b32_e32 v1, 4, v75
	v_lshlrev_b32_e32 v2, 6, v74
	s_mul_i32 s2, s2, s7
	v_and_b32_e32 v0, 0x3800, v0
	v_mul_lo_u32 v8, v23, s4
	s_ashr_i32 s3, s2, 31
	v_or_b32_e32 v3, 2, v23
	s_lshl_b64 s[2:3], s[2:3], 1
	v_or3_b32 v27, v0, v1, v2
	v_or_b32_e32 v11, 4, v23
	v_or_b32_e32 v18, 6, v23
	v_mul_lo_u32 v10, v3, s4
	v_ashrrev_i32_e32 v9, 31, v8
	ds_load_b128 v[0:3], v27
	ds_load_b128 v[4:7], v27 offset:128
	v_mul_lo_u32 v12, v11, s4
	s_waitcnt lgkmcnt(0)
	s_add_u32 s2, s0, s2
	s_addc_u32 s3, s1, s3
	s_lshl_b32 s0, s14, 7
	v_lshlrev_b64 v[8:9], 1, v[8:9]
	s_ashr_i32 s1, s0, 31
	v_ashrrev_i32_e32 v11, 31, v10
	s_lshl_b64 s[0:1], s[0:1], 1
	v_ashrrev_i32_e32 v13, 31, v12
	s_add_u32 s0, s2, s0
	s_addc_u32 s1, s3, s1
	v_add_co_u32 v30, s0, s0, v73
	s_delay_alu instid0(VALU_DEP_1) | instskip(SKIP_1) | instid1(VALU_DEP_3)
	v_add_co_ci_u32_e64 v31, null, s1, 0, s0
	v_lshlrev_b64 v[16:17], 1, v[10:11]
	v_add_co_u32 v14, vcc_lo, v30, v8
	s_delay_alu instid0(VALU_DEP_3)
	v_add_co_ci_u32_e32 v15, vcc_lo, v31, v9, vcc_lo
	ds_load_b128 v[8:11], v27 offset:256
	v_mul_lo_u32 v18, v18, s4
	v_or_b32_e32 v19, 8, v23
	v_add_co_u32 v16, vcc_lo, v30, v16
	global_store_b128 v[14:15], v[0:3], off
	v_lshlrev_b64 v[0:1], 1, v[12:13]
	v_add_co_ci_u32_e32 v17, vcc_lo, v31, v17, vcc_lo
	v_mul_lo_u32 v12, v19, s4
	v_ashrrev_i32_e32 v19, 31, v18
	v_or_b32_e32 v14, 10, v23
	global_store_b128 v[16:17], v[4:7], off
	v_add_co_u32 v4, vcc_lo, v30, v0
	v_add_co_ci_u32_e32 v5, vcc_lo, v31, v1, vcc_lo
	ds_load_b128 v[0:3], v27 offset:384
	v_ashrrev_i32_e32 v13, 31, v12
	v_lshlrev_b64 v[6:7], 1, v[18:19]
	v_mul_lo_u32 v14, v14, s4
	s_waitcnt lgkmcnt(1)
	global_store_b128 v[4:5], v[8:11], off
	v_or_b32_e32 v8, 12, v23
	v_lshlrev_b64 v[4:5], 1, v[12:13]
	v_add_co_u32 v20, vcc_lo, v30, v6
	v_or_b32_e32 v6, 14, v23
	v_ashrrev_i32_e32 v15, 31, v14
	v_mul_lo_u32 v22, v8, s4
	v_add_co_ci_u32_e32 v21, vcc_lo, v31, v7, vcc_lo
	v_add_co_u32 v24, vcc_lo, v30, v4
	v_mul_lo_u32 v26, v6, s4
	v_add_co_ci_u32_e32 v25, vcc_lo, v31, v5, vcc_lo
	v_lshlrev_b64 v[28:29], 1, v[14:15]
	ds_load_b128 v[4:7], v27 offset:512
	ds_load_b128 v[8:11], v27 offset:640
	;; [unrolled: 1-line block ×4, first 2 shown]
	v_ashrrev_i32_e32 v23, 31, v22
	v_ashrrev_i32_e32 v27, 31, v26
	v_add_co_u32 v28, vcc_lo, v30, v28
	s_delay_alu instid0(VALU_DEP_3) | instskip(SKIP_1) | instid1(VALU_DEP_4)
	v_lshlrev_b64 v[22:23], 1, v[22:23]
	v_add_co_ci_u32_e32 v29, vcc_lo, v31, v29, vcc_lo
	v_lshlrev_b64 v[26:27], 1, v[26:27]
	s_delay_alu instid0(VALU_DEP_3) | instskip(NEXT) | instid1(VALU_DEP_4)
	v_add_co_u32 v22, vcc_lo, v30, v22
	v_add_co_ci_u32_e32 v23, vcc_lo, v31, v23, vcc_lo
	s_delay_alu instid0(VALU_DEP_3) | instskip(NEXT) | instid1(VALU_DEP_4)
	v_add_co_u32 v26, vcc_lo, v30, v26
	v_add_co_ci_u32_e32 v27, vcc_lo, v31, v27, vcc_lo
	s_waitcnt lgkmcnt(4)
	global_store_b128 v[20:21], v[0:3], off
	s_waitcnt lgkmcnt(3)
	global_store_b128 v[24:25], v[4:7], off
	;; [unrolled: 2-line block ×5, first 2 shown]
	s_nop 0
	s_sendmsg sendmsg(MSG_DEALLOC_VGPRS)
	s_endpgm
	.section	.rodata,"a",@progbits
	.p2align	6, 0x0
	.amdhsa_kernel _Z39paged_attention_ll4mi_QKV_mfma16_kernelI14__hip_bfloat16hLN4vllm18Fp8KVCacheDataTypeE1ES0_Li16ELi128ELi256ELb0ELi16EL8MFMAType0EEvPKT_PKT0_S9_ifPKiSB_SB_iPKfiiiPfSE_PS4_PT2_iSD_SD_
		.amdhsa_group_segment_fixed_size 17472
		.amdhsa_private_segment_fixed_size 0
		.amdhsa_kernarg_size 400
		.amdhsa_user_sgpr_count 13
		.amdhsa_user_sgpr_dispatch_ptr 0
		.amdhsa_user_sgpr_queue_ptr 0
		.amdhsa_user_sgpr_kernarg_segment_ptr 1
		.amdhsa_user_sgpr_dispatch_id 0
		.amdhsa_user_sgpr_private_segment_size 0
		.amdhsa_wavefront_size32 1
		.amdhsa_uses_dynamic_stack 0
		.amdhsa_enable_private_segment 0
		.amdhsa_system_sgpr_workgroup_id_x 1
		.amdhsa_system_sgpr_workgroup_id_y 1
		.amdhsa_system_sgpr_workgroup_id_z 1
		.amdhsa_system_sgpr_workgroup_info 0
		.amdhsa_system_vgpr_workitem_id 0
		.amdhsa_next_free_vgpr 141
		.amdhsa_next_free_sgpr 36
		.amdhsa_reserve_vcc 1
		.amdhsa_float_round_mode_32 0
		.amdhsa_float_round_mode_16_64 0
		.amdhsa_float_denorm_mode_32 3
		.amdhsa_float_denorm_mode_16_64 3
		.amdhsa_dx10_clamp 1
		.amdhsa_ieee_mode 1
		.amdhsa_fp16_overflow 0
		.amdhsa_workgroup_processor_mode 1
		.amdhsa_memory_ordered 1
		.amdhsa_forward_progress 0
		.amdhsa_shared_vgpr_count 0
		.amdhsa_exception_fp_ieee_invalid_op 0
		.amdhsa_exception_fp_denorm_src 0
		.amdhsa_exception_fp_ieee_div_zero 0
		.amdhsa_exception_fp_ieee_overflow 0
		.amdhsa_exception_fp_ieee_underflow 0
		.amdhsa_exception_fp_ieee_inexact 0
		.amdhsa_exception_int_div_zero 0
	.end_amdhsa_kernel
	.section	.text._Z39paged_attention_ll4mi_QKV_mfma16_kernelI14__hip_bfloat16hLN4vllm18Fp8KVCacheDataTypeE1ES0_Li16ELi128ELi256ELb0ELi16EL8MFMAType0EEvPKT_PKT0_S9_ifPKiSB_SB_iPKfiiiPfSE_PS4_PT2_iSD_SD_,"axG",@progbits,_Z39paged_attention_ll4mi_QKV_mfma16_kernelI14__hip_bfloat16hLN4vllm18Fp8KVCacheDataTypeE1ES0_Li16ELi128ELi256ELb0ELi16EL8MFMAType0EEvPKT_PKT0_S9_ifPKiSB_SB_iPKfiiiPfSE_PS4_PT2_iSD_SD_,comdat
.Lfunc_end1853:
	.size	_Z39paged_attention_ll4mi_QKV_mfma16_kernelI14__hip_bfloat16hLN4vllm18Fp8KVCacheDataTypeE1ES0_Li16ELi128ELi256ELb0ELi16EL8MFMAType0EEvPKT_PKT0_S9_ifPKiSB_SB_iPKfiiiPfSE_PS4_PT2_iSD_SD_, .Lfunc_end1853-_Z39paged_attention_ll4mi_QKV_mfma16_kernelI14__hip_bfloat16hLN4vllm18Fp8KVCacheDataTypeE1ES0_Li16ELi128ELi256ELb0ELi16EL8MFMAType0EEvPKT_PKT0_S9_ifPKiSB_SB_iPKfiiiPfSE_PS4_PT2_iSD_SD_
                                        ; -- End function
	.section	.AMDGPU.csdata,"",@progbits
; Kernel info:
; codeLenInByte = 9036
; NumSgprs: 38
; NumVgprs: 141
; ScratchSize: 0
; MemoryBound: 0
; FloatMode: 240
; IeeeMode: 1
; LDSByteSize: 17472 bytes/workgroup (compile time only)
; SGPRBlocks: 4
; VGPRBlocks: 17
; NumSGPRsForWavesPerEU: 38
; NumVGPRsForWavesPerEU: 141
; Occupancy: 10
; WaveLimiterHint : 1
; COMPUTE_PGM_RSRC2:SCRATCH_EN: 0
; COMPUTE_PGM_RSRC2:USER_SGPR: 13
; COMPUTE_PGM_RSRC2:TRAP_HANDLER: 0
; COMPUTE_PGM_RSRC2:TGID_X_EN: 1
; COMPUTE_PGM_RSRC2:TGID_Y_EN: 1
; COMPUTE_PGM_RSRC2:TGID_Z_EN: 1
; COMPUTE_PGM_RSRC2:TIDIG_COMP_CNT: 0
	.section	.text._Z39paged_attention_ll4mi_QKV_mfma16_kernelI14__hip_bfloat16hLN4vllm18Fp8KVCacheDataTypeE1ES0_Li16ELi128ELi256ELb0ELi1EL8MFMAType0EEvPKT_PKT0_S9_ifPKiSB_SB_iPKfiiiPfSE_PS4_PT2_iSD_SD_,"axG",@progbits,_Z39paged_attention_ll4mi_QKV_mfma16_kernelI14__hip_bfloat16hLN4vllm18Fp8KVCacheDataTypeE1ES0_Li16ELi128ELi256ELb0ELi1EL8MFMAType0EEvPKT_PKT0_S9_ifPKiSB_SB_iPKfiiiPfSE_PS4_PT2_iSD_SD_,comdat
	.protected	_Z39paged_attention_ll4mi_QKV_mfma16_kernelI14__hip_bfloat16hLN4vllm18Fp8KVCacheDataTypeE1ES0_Li16ELi128ELi256ELb0ELi1EL8MFMAType0EEvPKT_PKT0_S9_ifPKiSB_SB_iPKfiiiPfSE_PS4_PT2_iSD_SD_ ; -- Begin function _Z39paged_attention_ll4mi_QKV_mfma16_kernelI14__hip_bfloat16hLN4vllm18Fp8KVCacheDataTypeE1ES0_Li16ELi128ELi256ELb0ELi1EL8MFMAType0EEvPKT_PKT0_S9_ifPKiSB_SB_iPKfiiiPfSE_PS4_PT2_iSD_SD_
	.globl	_Z39paged_attention_ll4mi_QKV_mfma16_kernelI14__hip_bfloat16hLN4vllm18Fp8KVCacheDataTypeE1ES0_Li16ELi128ELi256ELb0ELi1EL8MFMAType0EEvPKT_PKT0_S9_ifPKiSB_SB_iPKfiiiPfSE_PS4_PT2_iSD_SD_
	.p2align	8
	.type	_Z39paged_attention_ll4mi_QKV_mfma16_kernelI14__hip_bfloat16hLN4vllm18Fp8KVCacheDataTypeE1ES0_Li16ELi128ELi256ELb0ELi1EL8MFMAType0EEvPKT_PKT0_S9_ifPKiSB_SB_iPKfiiiPfSE_PS4_PT2_iSD_SD_,@function
_Z39paged_attention_ll4mi_QKV_mfma16_kernelI14__hip_bfloat16hLN4vllm18Fp8KVCacheDataTypeE1ES0_Li16ELi128ELi256ELb0ELi1EL8MFMAType0EEvPKT_PKT0_S9_ifPKiSB_SB_iPKfiiiPfSE_PS4_PT2_iSD_SD_: ; @_Z39paged_attention_ll4mi_QKV_mfma16_kernelI14__hip_bfloat16hLN4vllm18Fp8KVCacheDataTypeE1ES0_Li16ELi128ELi256ELb0ELi1EL8MFMAType0EEvPKT_PKT0_S9_ifPKiSB_SB_iPKfiiiPfSE_PS4_PT2_iSD_SD_
; %bb.0:
	s_load_b64 s[4:5], s[0:1], 0x30
	s_mov_b32 s34, s13
	s_waitcnt lgkmcnt(0)
	s_cmp_lg_u64 s[4:5], 0
	s_cselect_b32 s6, -1, 0
	s_ashr_i32 s35, s13, 31
	s_cmp_eq_u64 s[4:5], 0
	s_cbranch_scc1 .LBB1854_3
; %bb.1:
	s_lshl_b64 s[2:3], s[34:35], 2
	s_delay_alu instid0(SALU_CYCLE_1) | instskip(SKIP_4) | instid1(SALU_CYCLE_1)
	s_add_u32 s2, s4, s2
	s_addc_u32 s3, s5, s3
	s_load_b64 s[2:3], s[2:3], 0x0
	s_waitcnt lgkmcnt(0)
	s_sub_i32 s2, s3, s2
	s_cmp_eq_u32 s2, 1
	s_cselect_b32 s2, -1, 0
	s_delay_alu instid0(SALU_CYCLE_1)
	s_and_not1_b32 vcc_lo, exec_lo, s2
	s_cbranch_vccz .LBB1854_4
.LBB1854_2:
	s_endpgm
.LBB1854_3:
.LBB1854_4:
	s_load_b64 s[2:3], s[0:1], 0x28
	s_lshl_b64 s[8:9], s[34:35], 2
	s_waitcnt lgkmcnt(0)
	s_add_u32 s2, s2, s8
	s_addc_u32 s3, s3, s9
	s_lshl_b32 s12, s14, 8
	s_load_b32 s33, s[2:3], 0x0
	s_waitcnt lgkmcnt(0)
	s_cmp_ge_i32 s12, s33
	s_cbranch_scc1 .LBB1854_2
; %bb.5:
	s_clause 0x1
	s_load_b128 s[56:59], s[0:1], 0x8
	s_load_b64 s[2:3], s[0:1], 0x20
	s_and_not1_b32 vcc_lo, exec_lo, s6
	s_mov_b64 s[6:7], s[34:35]
	s_cbranch_vccnz .LBB1854_7
; %bb.6:
	s_add_u32 s4, s4, s8
	s_addc_u32 s5, s5, s9
	s_load_b32 s6, s[4:5], 0x0
.LBB1854_7:
	s_load_b128 s[52:55], s[0:1], 0x48
	v_and_b32_e32 v65, 15, v0
	s_mov_b32 s13, exec_lo
                                        ; implicit-def: $sgpr36
                                        ; implicit-def: $sgpr24
                                        ; implicit-def: $sgpr16
                                        ; implicit-def: $sgpr4
	s_delay_alu instid0(VALU_DEP_1)
	v_cmpx_eq_u32_e32 0, v65
	s_cbranch_execz .LBB1854_9
; %bb.8:
	s_load_b64 s[4:5], s[0:1], 0x0
	s_waitcnt lgkmcnt(0)
	s_mul_hi_i32 s7, s6, s52
	s_mul_i32 s6, s6, s52
	s_delay_alu instid0(SALU_CYCLE_1) | instskip(NEXT) | instid1(SALU_CYCLE_1)
	s_lshl_b64 s[6:7], s[6:7], 1
	s_add_u32 s6, s4, s6
	s_addc_u32 s7, s5, s7
	s_lshl_b32 s4, s15, 7
	s_delay_alu instid0(SALU_CYCLE_1) | instskip(NEXT) | instid1(SALU_CYCLE_1)
	s_ashr_i32 s5, s4, 31
	s_lshl_b64 s[4:5], s[4:5], 1
	s_delay_alu instid0(SALU_CYCLE_1)
	s_add_u32 s4, s6, s4
	s_addc_u32 s5, s7, s5
	s_clause 0x3
	s_load_b256 s[36:43], s[4:5], 0x0
	s_load_b256 s[24:31], s[4:5], 0x40
	;; [unrolled: 1-line block ×4, first 2 shown]
.LBB1854_9:
	s_or_b32 exec_lo, exec_lo, s13
	v_and_b32_e32 v1, 0xef, v0
	s_add_i32 s13, s33, 15
	s_load_b32 s44, s[0:1], 0x38
	s_ashr_i32 s35, s13, 31
	s_waitcnt lgkmcnt(0)
	s_mul_i32 s62, s15, s54
	v_add_nc_u32_e32 v1, s12, v1
	s_lshr_b32 s35, s35, 28
	v_dual_mov_b32 v113, s31 :: v_dual_mov_b32 v106, s24
	s_add_i32 s13, s13, s35
	s_delay_alu instid0(VALU_DEP_2)
	v_ashrrev_i32_e32 v2, 31, v1
	v_or_b32_e32 v3, 16, v1
	s_ashr_i32 s13, s13, 4
	v_cmp_gt_i32_e32 vcc_lo, s33, v1
	s_add_i32 s13, s13, -1
	v_lshrrev_b32_e32 v2, 28, v2
	s_load_b32 s35, s[0:1], 0x1c
	v_mov_b32_e32 v111, s29
	v_mov_b32_e32 v109, s27
	s_delay_alu instid0(VALU_DEP_3)
	v_dual_mov_b32 v107, s25 :: v_dual_add_nc_u32 v4, v1, v2
	v_lshlrev_b32_e32 v73, 4, v65
	s_mul_i32 s44, s34, s44
	v_lshrrev_b32_e32 v66, 5, v0
	s_ashr_i32 s45, s44, 31
	v_ashrrev_i32_e32 v4, 4, v4
	v_add_nc_u32_e32 v2, v3, v2
	s_lshl_b64 s[44:45], s[44:45], 2
	v_mov_b32_e32 v112, s30
	s_add_u32 s61, s2, s44
	v_cndmask_b32_e32 v1, s13, v4, vcc_lo
	v_ashrrev_i32_e32 v2, 4, v2
	v_cmp_gt_i32_e32 vcc_lo, s33, v3
	s_addc_u32 s60, s3, s45
	s_ashr_i32 s63, s62, 31
	s_add_u32 s52, s56, s62
	s_addc_u32 s56, s57, s63
	v_cndmask_b32_e32 v3, s13, v2, vcc_lo
	v_ashrrev_i32_e32 v2, 31, v1
	s_lshl_b32 s2, s14, 4
	v_mov_b32_e32 v110, s28
	s_ashr_i32 s3, s2, 31
	v_ashrrev_i32_e32 v4, 31, v3
	v_lshlrev_b64 v[1:2], 2, v[1:2]
	s_lshl_b64 s[2:3], s[2:3], 2
	v_mov_b32_e32 v108, s26
	s_add_u32 s2, s61, s2
	v_lshlrev_b64 v[3:4], 2, v[3:4]
	s_addc_u32 s3, s60, s3
	v_add_co_u32 v1, vcc_lo, s61, v1
	v_add_co_ci_u32_e32 v2, vcc_lo, s60, v2, vcc_lo
	s_delay_alu instid0(VALU_DEP_3) | instskip(NEXT) | instid1(VALU_DEP_4)
	v_add_co_u32 v3, vcc_lo, s61, v3
	v_add_co_ci_u32_e32 v4, vcc_lo, s60, v4, vcc_lo
	s_clause 0x1
	global_load_b32 v5, v[1:2], off
	global_load_b32 v3, v[3:4], off
	s_or_b32 s44, s12, 32
	v_lshlrev_b32_e32 v1, 4, v0
	s_ashr_i32 s45, s44, 4
	s_cmp_lt_i32 s44, s33
	s_cselect_b32 s44, s45, s13
	s_delay_alu instid0(VALU_DEP_1) | instskip(SKIP_1) | instid1(SALU_CYCLE_1)
	v_and_b32_e32 v1, 0xf0, v1
	s_ashr_i32 s45, s44, 31
	s_lshl_b64 s[44:45], s[44:45], 2
	s_delay_alu instid0(SALU_CYCLE_1)
	s_add_u32 s44, s61, s44
	s_addc_u32 s45, s60, s45
	s_or_b32 s46, s12, 64
	v_add_co_u32 v1, s52, s52, v1
	s_ashr_i32 s47, s46, 4
	s_cmp_lt_i32 s46, s33
	v_add_co_ci_u32_e64 v2, null, s56, 0, s52
	s_cselect_b32 s46, s47, s13
	s_delay_alu instid0(SALU_CYCLE_1) | instskip(NEXT) | instid1(SALU_CYCLE_1)
	s_ashr_i32 s47, s46, 31
	s_lshl_b64 s[46:47], s[46:47], 2
	s_delay_alu instid0(SALU_CYCLE_1) | instskip(SKIP_2) | instid1(SALU_CYCLE_1)
	s_add_u32 s46, s61, s46
	s_addc_u32 s47, s60, s47
	s_or_b32 s48, s12, 0x60
	s_ashr_i32 s49, s48, 4
	s_cmp_lt_i32 s48, s33
	s_cselect_b32 s48, s49, s13
	s_delay_alu instid0(SALU_CYCLE_1) | instskip(NEXT) | instid1(SALU_CYCLE_1)
	s_ashr_i32 s49, s48, 31
	s_lshl_b64 s[48:49], s[48:49], 2
	s_delay_alu instid0(SALU_CYCLE_1) | instskip(SKIP_2) | instid1(SALU_CYCLE_1)
	s_add_u32 s48, s61, s48
	s_addc_u32 s49, s60, s49
	s_or_b32 s50, s12, 0x80
	s_ashr_i32 s51, s50, 4
	s_cmp_lt_i32 s50, s33
	;; [unrolled: 10-line block ×3, first 2 shown]
	s_cselect_b32 s54, s55, s13
	s_delay_alu instid0(SALU_CYCLE_1) | instskip(NEXT) | instid1(SALU_CYCLE_1)
	s_ashr_i32 s55, s54, 31
	s_lshl_b64 s[54:55], s[54:55], 2
	s_delay_alu instid0(SALU_CYCLE_1)
	s_add_u32 s64, s61, s54
	s_addc_u32 s65, s60, s55
	s_clause 0x5
	s_load_b32 s56, s[2:3], 0x0
	s_load_b32 s3, s[44:45], 0x0
	;; [unrolled: 1-line block ×6, first 2 shown]
	s_or_b32 s24, s12, 0xc0
	s_mov_b32 s44, 0
	s_ashr_i32 s25, s24, 4
	s_mov_b32 s45, s44
	s_mov_b32 s46, s44
	;; [unrolled: 1-line block ×7, first 2 shown]
	v_dual_mov_b32 v121, s23 :: v_dual_mov_b32 v120, s22
	v_dual_mov_b32 v119, s21 :: v_dual_mov_b32 v118, s20
	v_dual_mov_b32 v117, s19 :: v_dual_mov_b32 v116, s18
	v_dual_mov_b32 v115, s17 :: v_dual_mov_b32 v114, s16
	v_lshl_or_b32 v33, v66, 8, v73
	v_dual_mov_b32 v129, s51 :: v_dual_mov_b32 v128, s50
	v_dual_mov_b32 v127, s49 :: v_dual_mov_b32 v126, s48
	v_dual_mov_b32 v125, s47 :: v_dual_mov_b32 v124, s46
	v_dual_mov_b32 v123, s45 :: v_dual_mov_b32 v122, s44
	s_cmp_lt_i32 s24, s33
	s_cselect_b32 s16, s25, s13
	s_delay_alu instid0(SALU_CYCLE_1) | instskip(NEXT) | instid1(SALU_CYCLE_1)
	s_ashr_i32 s17, s16, 31
	s_lshl_b64 s[16:17], s[16:17], 2
	s_delay_alu instid0(SALU_CYCLE_1) | instskip(SKIP_2) | instid1(SALU_CYCLE_1)
	s_add_u32 s16, s61, s16
	s_addc_u32 s17, s60, s17
	s_or_b32 s18, s12, 0xe0
	s_ashr_i32 s19, s18, 4
	s_cmp_lt_i32 s18, s33
	s_cselect_b32 s18, s19, s13
	s_delay_alu instid0(SALU_CYCLE_1) | instskip(NEXT) | instid1(SALU_CYCLE_1)
	s_ashr_i32 s19, s18, 31
	s_lshl_b64 s[18:19], s[18:19], 2
	s_delay_alu instid0(SALU_CYCLE_1) | instskip(SKIP_4) | instid1(VALU_DEP_1)
	s_add_u32 s18, s61, s18
	s_addc_u32 s19, s60, s19
	s_add_u32 s13, s58, s62
	s_addc_u32 s20, s59, s63
	v_add_co_u32 v67, s13, s13, v33
	v_add_co_ci_u32_e64 v68, null, s20, 0, s13
	s_waitcnt lgkmcnt(0)
	s_delay_alu instid0(VALU_DEP_1)
	v_mad_i64_i32 v[33:34], null, s56, s53, v[67:68]
	v_mad_i64_i32 v[69:70], null, s54, s53, v[67:68]
	;; [unrolled: 1-line block ×5, first 2 shown]
	s_waitcnt vmcnt(1)
	v_mad_i64_i32 v[25:26], null, v5, s53, v[1:2]
	s_waitcnt vmcnt(0)
	v_mad_i64_i32 v[27:28], null, v3, s53, v[1:2]
	s_clause 0xf
	global_load_b128 v[1:4], v[25:26], off
	global_load_b128 v[5:8], v[25:26], off offset:256
	global_load_b128 v[9:12], v[27:28], off
	global_load_b128 v[13:16], v[27:28], off offset:256
	global_load_b128 v[17:20], v[25:26], off offset:512
	;; [unrolled: 1-line block ×13, first 2 shown]
	v_mov_b32_e32 v25, s36
	v_mov_b32_e32 v27, s38
	;; [unrolled: 1-line block ×4, first 2 shown]
	s_clause 0x1
	s_load_b32 s13, s[16:17], 0x0
	s_load_b32 s16, s[18:19], 0x0
	v_mov_b32_e32 v26, s37
	v_mov_b32_e32 v28, s39
	;; [unrolled: 1-line block ×4, first 2 shown]
	s_clause 0x5
	global_load_b128 v[49:52], v[33:34], off
	global_load_b128 v[53:56], v[33:34], off offset:16
	global_load_b128 v[41:44], v[35:36], off
	global_load_b128 v[45:48], v[35:36], off offset:16
	;; [unrolled: 2-line block ×3, first 2 shown]
	s_waitcnt vmcnt(20)
	v_wmma_f32_16x16x16_bf16 v[130:137], v[1:8], v[25:32], v[122:129]
	s_waitcnt vmcnt(18)
	v_wmma_f32_16x16x16_bf16 v[122:129], v[9:16], v[25:32], v[122:129]
	v_mad_i64_i32 v[13:14], null, s2, s53, v[67:68]
	s_waitcnt vmcnt(16)
	v_wmma_f32_16x16x16_bf16 v[130:137], v[17:24], v[106:113], v[130:137]
	s_waitcnt lgkmcnt(0)
	v_mad_i64_i32 v[21:22], null, s13, s53, v[67:68]
	s_clause 0x1
	global_load_b128 v[25:28], v[69:70], off
	global_load_b128 v[29:32], v[69:70], off offset:16
	v_mad_i64_i32 v[69:70], null, s16, s53, v[67:68]
	s_waitcnt vmcnt(16)
	v_wmma_f32_16x16x16_bf16 v[122:129], v[57:64], v[106:113], v[122:129]
	s_clause 0x7
	global_load_b128 v[1:4], v[71:72], off
	global_load_b128 v[5:8], v[71:72], off offset:16
	global_load_b128 v[9:12], v[13:14], off
	global_load_b128 v[13:16], v[13:14], off offset:16
	;; [unrolled: 2-line block ×4, first 2 shown]
	v_mbcnt_lo_u32_b32 v68, -1, 0
	s_waitcnt vmcnt(22)
	v_wmma_f32_16x16x16_bf16 v[130:137], v[74:81], v[114:121], v[130:137]
	s_waitcnt vmcnt(20)
	v_wmma_f32_16x16x16_bf16 v[122:129], v[82:89], v[114:121], v[122:129]
	v_dual_mov_b32 v82, s11 :: v_dual_mov_b32 v81, s10
	v_xor_b32_e32 v69, 16, v68
	v_dual_mov_b32 v80, s9 :: v_dual_mov_b32 v79, s8
	v_dual_mov_b32 v78, s7 :: v_dual_mov_b32 v77, s6
	;; [unrolled: 1-line block ×3, first 2 shown]
	s_delay_alu instid0(VALU_DEP_4) | instskip(SKIP_4) | instid1(VALU_DEP_3)
	v_cmp_gt_i32_e32 vcc_lo, 32, v69
	v_and_b32_e32 v67, 0xe0, v0
	v_bfe_u32 v74, v0, 4, 1
	s_waitcnt vmcnt(0)
	v_wmma_f32_16x16x16_bf16 v[130:137], v[90:97], v[75:82], v[130:137]
	v_dual_cndmask_b32 v68, v68, v69 :: v_dual_add_nc_u32 v67, s12, v67
	s_barrier
	buffer_gl0_inv
	v_mul_f32_e32 v92, s35, v131
	v_wmma_f32_16x16x16_bf16 v[122:129], v[98:105], v[75:82], v[122:129]
	v_mul_f32_e32 v78, s35, v136
	v_or_b32_e32 v67, v67, v74
	v_mul_f32_e32 v93, s35, v130
	v_dual_mul_f32 v81, s35, v133 :: v_dual_mul_f32 v82, s35, v132
	v_dual_mul_f32 v79, s35, v135 :: v_dual_mul_f32 v98, s35, v125
	s_delay_alu instid0(VALU_DEP_4)
	v_or_b32_e32 v69, 2, v67
	v_or_b32_e32 v70, 4, v67
	;; [unrolled: 1-line block ×3, first 2 shown]
	v_cmp_gt_i32_e64 s2, s33, v67
	v_or_b32_e32 v72, 8, v67
	v_cmp_gt_i32_e32 vcc_lo, s33, v69
	v_or_b32_e32 v83, 10, v67
	v_cmp_gt_i32_e64 s3, s33, v70
	v_cndmask_b32_e64 v93, 0xff7fffff, v93, s2
	v_cmp_gt_i32_e64 s4, s33, v71
	v_cndmask_b32_e32 v92, 0xff7fffff, v92, vcc_lo
	v_or_b32_e32 v84, 12, v67
	v_or_b32_e32 v85, 14, v67
	v_mul_f32_e32 v80, s35, v134
	v_cndmask_b32_e64 v70, 0xff7fffff, v82, s3
	v_cndmask_b32_e64 v71, 0xff7fffff, v81, s4
	v_max3_f32 v81, v93, 0xff7fffff, v92
	v_cmp_gt_i32_e64 s5, s33, v72
	v_cmp_gt_i32_e64 s6, s33, v83
	v_or_b32_e32 v86, 16, v67
	v_or_b32_e32 v87, 18, v67
	v_dual_mul_f32 v77, s35, v137 :: v_dual_mul_f32 v96, s35, v127
	v_cndmask_b32_e64 v72, 0xff7fffff, v80, s5
	v_cndmask_b32_e64 v79, 0xff7fffff, v79, s6
	v_max3_f32 v70, v81, v70, v71
	v_cmp_gt_i32_e64 s7, s33, v84
	v_cmp_gt_i32_e64 s8, s33, v85
	v_or_b32_e32 v88, 20, v67
	v_or_b32_e32 v89, 22, v67
	;; [unrolled: 1-line block ×6, first 2 shown]
	v_mul_f32_e32 v69, s35, v123
	v_mul_f32_e32 v67, s35, v122
	v_cndmask_b32_e64 v71, 0xff7fffff, v78, s7
	v_cndmask_b32_e64 v77, 0xff7fffff, v77, s8
	v_max3_f32 v70, v70, v72, v79
	v_cmp_gt_i32_e64 s9, s33, v86
	v_cmp_gt_i32_e64 s10, s33, v87
	v_mul_f32_e32 v99, s35, v124
	v_cmp_gt_i32_e64 s11, s33, v88
	v_max3_f32 v70, v70, v71, v77
	v_cndmask_b32_e64 v67, 0xff7fffff, v67, s9
	v_cndmask_b32_e64 v69, 0xff7fffff, v69, s10
	v_cmp_gt_i32_e64 s12, s33, v89
	v_mul_f32_e32 v97, s35, v126
	v_cndmask_b32_e64 v71, 0xff7fffff, v99, s11
	v_cmp_gt_i32_e64 s13, s33, v90
	v_max3_f32 v67, v70, v67, v69
	v_cndmask_b32_e64 v72, 0xff7fffff, v98, s12
	v_cmp_gt_i32_e64 s16, s33, v91
	v_dual_mul_f32 v94, s35, v129 :: v_dual_mul_f32 v95, s35, v128
	v_cndmask_b32_e64 v69, 0xff7fffff, v97, s13
	s_delay_alu instid0(VALU_DEP_4) | instskip(NEXT) | instid1(VALU_DEP_4)
	v_max3_f32 v67, v67, v71, v72
	v_cndmask_b32_e64 v70, 0xff7fffff, v96, s16
	v_cmp_gt_i32_e64 s17, s33, v75
	v_cmp_gt_i32_e64 s18, s33, v76
	v_lshlrev_b32_e32 v81, 2, v68
	s_delay_alu instid0(VALU_DEP_4) | instskip(NEXT) | instid1(VALU_DEP_4)
	v_max3_f32 v67, v67, v69, v70
	v_cndmask_b32_e64 v71, 0xff7fffff, v95, s17
	s_delay_alu instid0(VALU_DEP_4) | instskip(NEXT) | instid1(VALU_DEP_1)
	v_cndmask_b32_e64 v72, 0xff7fffff, v94, s18
	v_max3_f32 v67, v67, v71, v72
	ds_bpermute_b32 v68, v81, v67
	s_waitcnt lgkmcnt(0)
	v_max_f32_e32 v68, v68, v68
	s_delay_alu instid0(VALU_DEP_1) | instskip(NEXT) | instid1(VALU_DEP_1)
	v_max_f32_e32 v67, v67, v68
	v_fma_f32 v68, s35, v130, -v67
	v_fma_f32 v69, s35, v131, -v67
	;; [unrolled: 1-line block ×5, first 2 shown]
	s_delay_alu instid0(VALU_DEP_4) | instskip(NEXT) | instid1(VALU_DEP_3)
	v_dual_mul_f32 v68, 0x3fb8aa3b, v68 :: v_dual_mul_f32 v69, 0x3fb8aa3b, v69
	v_dual_mul_f32 v70, 0x3fb8aa3b, v70 :: v_dual_mul_f32 v71, 0x3fb8aa3b, v71
	s_delay_alu instid0(VALU_DEP_3) | instskip(NEXT) | instid1(VALU_DEP_3)
	v_mul_f32_e32 v72, 0x3fb8aa3b, v72
	v_exp_f32_e32 v68, v68
	s_delay_alu instid0(VALU_DEP_3) | instskip(NEXT) | instid1(VALU_DEP_2)
	v_exp_f32_e32 v69, v69
	v_exp_f32_e32 v70, v70
	;; [unrolled: 1-line block ×3, first 2 shown]
	v_fma_f32 v76, s35, v136, -v67
	v_exp_f32_e32 v72, v72
	s_delay_alu instid0(VALU_DEP_1) | instskip(SKIP_3) | instid1(TRANS32_DEP_3)
	v_mul_f32_e32 v76, 0x3fb8aa3b, v76
	v_cndmask_b32_e64 v79, 0, v68, s2
	v_fma_f32 v68, s35, v135, -v67
	v_cndmask_b32_e32 v75, 0, v69, vcc_lo
	v_cndmask_b32_e64 v82, 0, v70, s3
	s_delay_alu instid0(TRANS32_DEP_2) | instskip(NEXT) | instid1(VALU_DEP_4)
	v_cndmask_b32_e64 v84, 0, v71, s4
	v_dual_add_f32 v69, 0, v79 :: v_dual_mul_f32 v68, 0x3fb8aa3b, v68
	v_exp_f32_e32 v76, v76
	s_delay_alu instid0(TRANS32_DEP_2) | instskip(SKIP_1) | instid1(VALU_DEP_2)
	v_cndmask_b32_e64 v85, 0, v72, s5
	s_mov_b32 s3, exec_lo
	v_add_f32_e32 v69, v69, v75
	v_exp_f32_e32 v68, v68
	s_delay_alu instid0(VALU_DEP_1) | instskip(SKIP_4) | instid1(VALU_DEP_2)
	v_add_f32_e32 v69, v69, v82
	s_waitcnt_depctr 0xfff
	v_cndmask_b32_e64 v83, 0, v76, s7
	v_add_f32_e32 v69, v69, v84
	v_cndmask_b32_e64 v86, 0, v68, s6
	v_add_f32_e32 v68, v69, v85
	s_delay_alu instid0(VALU_DEP_1) | instskip(NEXT) | instid1(VALU_DEP_1)
	v_add_f32_e32 v68, v68, v86
	v_add_f32_e32 v68, v68, v83
	v_fma_f32 v72, s35, v123, -v67
	v_fma_f32 v70, s35, v137, -v67
	;; [unrolled: 1-line block ×5, first 2 shown]
	v_mul_f32_e32 v72, 0x3fb8aa3b, v72
	s_delay_alu instid0(VALU_DEP_4) | instskip(SKIP_1) | instid1(VALU_DEP_4)
	v_dual_mul_f32 v70, 0x3fb8aa3b, v70 :: v_dual_mul_f32 v69, 0x3fb8aa3b, v69
	v_fma_f32 v77, s35, v126, -v67
	v_mul_f32_e32 v76, 0x3fb8aa3b, v76
	s_delay_alu instid0(VALU_DEP_4) | instskip(NEXT) | instid1(VALU_DEP_3)
	v_exp_f32_e32 v72, v72
	v_exp_f32_e32 v70, v70
	v_exp_f32_e32 v78, v69
	v_fma_f32 v88, s35, v129, -v67
	v_exp_f32_e32 v76, v76
	s_delay_alu instid0(VALU_DEP_1) | instskip(SKIP_2) | instid1(TRANS32_DEP_3)
	v_mul_f32_e32 v88, 0x3fb8aa3b, v88
	v_cndmask_b32_e64 v69, 0, v72, s10
	v_mul_f32_e32 v71, 0x3fb8aa3b, v71
	v_cndmask_b32_e64 v87, 0, v70, s8
	v_fma_f32 v72, s35, v128, -v67
	s_delay_alu instid0(VALU_DEP_3) | instskip(NEXT) | instid1(VALU_DEP_2)
	v_exp_f32_e32 v71, v71
	v_add_f32_e32 v68, v68, v87
	s_waitcnt_depctr 0xfff
	v_cndmask_b32_e64 v70, 0, v71, s9
	v_fma_f32 v71, s35, v127, -v67
	s_delay_alu instid0(VALU_DEP_2) | instskip(NEXT) | instid1(VALU_DEP_2)
	v_add_f32_e32 v68, v68, v70
	v_mul_f32_e32 v80, 0x3fb8aa3b, v71
	v_cndmask_b32_e64 v71, 0, v78, s11
	v_mul_f32_e32 v78, 0x3fb8aa3b, v72
	v_cndmask_b32_e64 v72, 0, v76, s12
	v_add_f32_e32 v68, v68, v69
	v_exp_f32_e32 v80, v80
	s_delay_alu instid0(VALU_DEP_3) | instskip(NEXT) | instid1(VALU_DEP_1)
	v_exp_f32_e32 v78, v78
	v_dual_add_f32 v68, v68, v71 :: v_dual_mul_f32 v77, 0x3fb8aa3b, v77
	s_delay_alu instid0(VALU_DEP_1) | instskip(NEXT) | instid1(VALU_DEP_2)
	v_add_f32_e32 v68, v68, v72
	v_exp_f32_e32 v77, v77
	s_waitcnt_depctr 0xfff
	v_cndmask_b32_e64 v78, 0, v78, s17
	v_cndmask_b32_e64 v76, 0, v77, s13
	;; [unrolled: 1-line block ×3, first 2 shown]
	v_exp_f32_e32 v80, v88
	v_and_b32_e32 v88, 31, v0
	s_delay_alu instid0(VALU_DEP_3) | instskip(NEXT) | instid1(VALU_DEP_2)
	v_add_f32_e32 v68, v68, v76
	v_cmp_lt_u32_e64 s2, 15, v88
	s_delay_alu instid0(VALU_DEP_2) | instskip(SKIP_3) | instid1(VALU_DEP_1)
	v_add_f32_e32 v68, v68, v77
	s_waitcnt_depctr 0xfff
	v_cndmask_b32_e64 v80, 0, v80, s18
	v_add_f32_e32 v68, v68, v78
	v_add_f32_e32 v68, v68, v80
	ds_bpermute_b32 v81, v81, v68
	v_cmpx_gt_u32_e32 16, v88
	s_cbranch_execz .LBB1854_11
; %bb.10:
	v_mul_u32_u24_e32 v88, 0x44, v66
	s_delay_alu instid0(VALU_DEP_1) | instskip(SKIP_1) | instid1(VALU_DEP_1)
	v_lshl_add_u32 v88, v65, 2, v88
	s_waitcnt lgkmcnt(0)
	v_dual_add_f32 v68, v68, v81 :: v_dual_add_nc_u32 v81, 0x4000, v88
	ds_store_2addr_b32 v81, v67, v68 offset1:136
.LBB1854_11:
	s_or_b32 exec_lo, exec_lo, s3
	v_lshlrev_b32_e32 v67, 2, v65
	s_waitcnt lgkmcnt(0)
	s_barrier
	buffer_gl0_inv
	v_cmp_eq_u32_e32 vcc_lo, 1, v66
	v_add_nc_u32_e32 v81, 0x4000, v67
	v_cmp_eq_u32_e64 s3, 2, v66
	v_cmp_eq_u32_e64 s5, 7, v66
	ds_load_2addr_b32 v[88:89], v81 offset1:17
	ds_load_2addr_b32 v[90:91], v81 offset0:34 offset1:51
	ds_load_2addr_b32 v[92:93], v81 offset0:68 offset1:85
	;; [unrolled: 1-line block ×4, first 2 shown]
	s_waitcnt lgkmcnt(4)
	v_max3_f32 v67, v88, 0xff7fffff, v89
	s_waitcnt lgkmcnt(3)
	s_delay_alu instid0(VALU_DEP_1) | instskip(SKIP_1) | instid1(VALU_DEP_1)
	v_max3_f32 v67, v67, v90, v91
	s_waitcnt lgkmcnt(2)
	v_max3_f32 v67, v67, v92, v93
	s_waitcnt lgkmcnt(1)
	s_delay_alu instid0(VALU_DEP_1) | instskip(NEXT) | instid1(VALU_DEP_1)
	v_max3_f32 v67, v67, v94, v95
	v_sub_f32_e32 v68, v88, v67
	v_sub_f32_e32 v90, v90, v67
	;; [unrolled: 1-line block ×3, first 2 shown]
	s_delay_alu instid0(VALU_DEP_3) | instskip(NEXT) | instid1(VALU_DEP_3)
	v_mul_f32_e32 v68, 0x3fb8aa3b, v68
	v_mul_f32_e32 v100, 0x3fb8aa3b, v90
	s_delay_alu instid0(VALU_DEP_3) | instskip(NEXT) | instid1(VALU_DEP_3)
	v_mul_f32_e32 v102, 0x3fb8aa3b, v92
	v_exp_f32_e32 v99, v68
	v_sub_f32_e32 v68, v91, v67
	v_sub_f32_e32 v98, v89, v67
	v_exp_f32_e32 v100, v100
	s_delay_alu instid0(VALU_DEP_1)
	v_dual_mul_f32 v101, 0x3fb8aa3b, v68 :: v_dual_mul_f32 v98, 0x3fb8aa3b, v98
	s_waitcnt lgkmcnt(0)
	s_waitcnt_depctr 0xfff
	v_fma_f32 v68, v99, v96, 0
	v_sub_f32_e32 v96, v93, v67
	v_exp_f32_e32 v98, v98
	v_exp_f32_e32 v101, v101
	s_waitcnt_depctr 0xfff
	v_fmac_f32_e32 v68, v98, v97
	ds_load_2addr_b32 v[88:89], v81 offset0:170 offset1:187
	ds_load_2addr_b32 v[90:91], v81 offset0:204 offset1:221
	;; [unrolled: 1-line block ×3, first 2 shown]
	v_dual_sub_f32 v81, v94, v67 :: v_dual_mul_f32 v94, 0x3fb8aa3b, v96
	v_exp_f32_e32 v96, v102
	s_waitcnt lgkmcnt(0)
	s_barrier
	s_delay_alu instid0(VALU_DEP_1)
	v_mul_f32_e32 v81, 0x3fb8aa3b, v81
	v_exp_f32_e32 v94, v94
	buffer_gl0_inv
	v_exp_f32_e32 v81, v81
	v_fmac_f32_e32 v68, v100, v88
	v_sub_f32_e32 v88, v95, v67
	s_delay_alu instid0(VALU_DEP_2) | instskip(NEXT) | instid1(VALU_DEP_2)
	v_fmac_f32_e32 v68, v101, v89
	v_mul_f32_e32 v88, 0x3fb8aa3b, v88
	s_delay_alu instid0(VALU_DEP_2) | instskip(NEXT) | instid1(VALU_DEP_2)
	v_fmac_f32_e32 v68, v96, v90
	v_exp_f32_e32 v88, v88
	s_delay_alu instid0(VALU_DEP_1)
	v_fmac_f32_e32 v68, v94, v91
	s_delay_alu instid0(TRANS32_DEP_2) | instid1(VALU_DEP_1)
	v_fmac_f32_e32 v68, v81, v92
	s_waitcnt_depctr 0xfff
	v_fmac_f32_e32 v68, v88, v93
	s_delay_alu instid0(VALU_DEP_1) | instskip(NEXT) | instid1(VALU_DEP_1)
	v_add_f32_e32 v89, 0x358637bd, v68
	v_div_scale_f32 v90, null, v89, v89, 1.0
	v_div_scale_f32 v93, s4, 1.0, v89, 1.0
	s_delay_alu instid0(VALU_DEP_2) | instskip(SKIP_2) | instid1(VALU_DEP_1)
	v_rcp_f32_e32 v91, v90
	s_waitcnt_depctr 0xfff
	v_fma_f32 v92, -v90, v91, 1.0
	v_dual_fmac_f32 v91, v92, v91 :: v_dual_cndmask_b32 v92, v99, v98
	v_cmp_eq_u32_e32 vcc_lo, 3, v66
	s_delay_alu instid0(VALU_DEP_2) | instskip(NEXT) | instid1(VALU_DEP_3)
	v_mul_f32_e32 v95, v93, v91
	v_cndmask_b32_e64 v92, v92, v100, s3
	v_cmp_eq_u32_e64 s3, 4, v66
	s_delay_alu instid0(VALU_DEP_3) | instskip(NEXT) | instid1(VALU_DEP_3)
	v_fma_f32 v97, -v90, v95, v93
	v_cndmask_b32_e32 v92, v92, v101, vcc_lo
	v_cmp_eq_u32_e32 vcc_lo, 5, v66
	s_delay_alu instid0(VALU_DEP_3) | instskip(NEXT) | instid1(VALU_DEP_3)
	v_fmac_f32_e32 v95, v97, v91
	v_cndmask_b32_e64 v92, v92, v96, s3
	v_cmp_eq_u32_e64 s3, 6, v66
	s_delay_alu instid0(VALU_DEP_3) | instskip(NEXT) | instid1(VALU_DEP_3)
	v_fma_f32 v90, -v90, v95, v93
	v_cndmask_b32_e32 v92, v92, v94, vcc_lo
	s_mov_b32 vcc_lo, s4
	s_delay_alu instid0(VALU_DEP_2) | instskip(NEXT) | instid1(VALU_DEP_2)
	v_div_fmas_f32 v90, v90, v91, v95
	v_cndmask_b32_e64 v81, v92, v81, s3
	s_mov_b32 s3, exec_lo
	s_delay_alu instid0(VALU_DEP_2) | instskip(NEXT) | instid1(VALU_DEP_2)
	v_div_fixup_f32 v89, v90, v89, 1.0
	v_cndmask_b32_e64 v81, v81, v88, s5
	s_delay_alu instid0(VALU_DEP_1) | instskip(NEXT) | instid1(VALU_DEP_1)
	v_mul_f32_e32 v81, v81, v89
	v_mul_f32_e32 v83, v81, v83
	;; [unrolled: 1-line block ×7, first 2 shown]
	v_dual_mul_f32 v85, v81, v82 :: v_dual_and_b32 v90, 0x7f800000, v89
	v_mul_f32_e32 v84, v81, v75
                                        ; implicit-def: $vgpr75
	s_delay_alu instid0(VALU_DEP_2)
	v_cmpx_ne_u32_e32 0x7f800000, v90
	s_xor_b32 s3, exec_lo, s3
; %bb.12:
	v_bfe_u32 v75, v89, 16, 1
	s_delay_alu instid0(VALU_DEP_1)
	v_add3_u32 v75, v89, v75, 0x7fff
                                        ; implicit-def: $vgpr89
; %bb.13:
	s_and_not1_saveexec_b32 s3, s3
; %bb.14:
	v_and_b32_e32 v75, 0xffff, v89
	v_or_b32_e32 v82, 0x10000, v89
	s_delay_alu instid0(VALU_DEP_2) | instskip(NEXT) | instid1(VALU_DEP_2)
	v_cmp_eq_u32_e32 vcc_lo, 0, v75
	v_cndmask_b32_e32 v75, v82, v89, vcc_lo
; %bb.15:
	s_or_b32 exec_lo, exec_lo, s3
	v_and_b32_e32 v82, 0x7f800000, v84
	s_delay_alu instid0(VALU_DEP_1) | instskip(SKIP_1) | instid1(SALU_CYCLE_1)
	v_cmp_ne_u32_e32 vcc_lo, 0x7f800000, v82
                                        ; implicit-def: $vgpr82
	s_and_saveexec_b32 s3, vcc_lo
	s_xor_b32 s3, exec_lo, s3
; %bb.16:
	v_bfe_u32 v82, v84, 16, 1
	s_delay_alu instid0(VALU_DEP_1)
	v_add3_u32 v82, v84, v82, 0x7fff
                                        ; implicit-def: $vgpr84
; %bb.17:
	s_and_not1_saveexec_b32 s3, s3
; %bb.18:
	v_and_b32_e32 v82, 0xffff, v84
	v_or_b32_e32 v89, 0x10000, v84
	s_delay_alu instid0(VALU_DEP_2) | instskip(NEXT) | instid1(VALU_DEP_2)
	v_cmp_eq_u32_e32 vcc_lo, 0, v82
	v_cndmask_b32_e32 v82, v89, v84, vcc_lo
; %bb.19:
	s_or_b32 exec_lo, exec_lo, s3
	v_and_b32_e32 v84, 0x7f800000, v85
	s_delay_alu instid0(VALU_DEP_1) | instskip(SKIP_1) | instid1(SALU_CYCLE_1)
	v_cmp_ne_u32_e32 vcc_lo, 0x7f800000, v84
                                        ; implicit-def: $vgpr84
	s_and_saveexec_b32 s3, vcc_lo
	s_xor_b32 s3, exec_lo, s3
; %bb.20:
	v_bfe_u32 v84, v85, 16, 1
	s_delay_alu instid0(VALU_DEP_1)
	v_add3_u32 v84, v85, v84, 0x7fff
                                        ; implicit-def: $vgpr85
; %bb.21:
	s_and_not1_saveexec_b32 s3, s3
; %bb.22:
	v_and_b32_e32 v84, 0xffff, v85
	v_or_b32_e32 v89, 0x10000, v85
	s_delay_alu instid0(VALU_DEP_2) | instskip(NEXT) | instid1(VALU_DEP_2)
	v_cmp_eq_u32_e32 vcc_lo, 0, v84
	v_cndmask_b32_e32 v84, v89, v85, vcc_lo
; %bb.23:
	s_or_b32 exec_lo, exec_lo, s3
	v_and_b32_e32 v85, 0x7f800000, v88
	s_delay_alu instid0(VALU_DEP_1) | instskip(SKIP_1) | instid1(SALU_CYCLE_1)
	v_cmp_ne_u32_e32 vcc_lo, 0x7f800000, v85
                                        ; implicit-def: $vgpr85
	s_and_saveexec_b32 s3, vcc_lo
	s_xor_b32 s3, exec_lo, s3
; %bb.24:
	v_bfe_u32 v85, v88, 16, 1
	s_delay_alu instid0(VALU_DEP_1)
	v_add3_u32 v85, v88, v85, 0x7fff
                                        ; implicit-def: $vgpr88
; %bb.25:
	s_and_not1_saveexec_b32 s3, s3
; %bb.26:
	v_and_b32_e32 v85, 0xffff, v88
	v_or_b32_e32 v89, 0x10000, v88
	s_delay_alu instid0(VALU_DEP_2) | instskip(NEXT) | instid1(VALU_DEP_2)
	v_cmp_eq_u32_e32 vcc_lo, 0, v85
	v_cndmask_b32_e32 v85, v89, v88, vcc_lo
; %bb.27:
	s_or_b32 exec_lo, exec_lo, s3
	v_and_b32_e32 v88, 0x7f800000, v87
	s_delay_alu instid0(VALU_DEP_1) | instskip(SKIP_1) | instid1(SALU_CYCLE_1)
	v_cmp_ne_u32_e32 vcc_lo, 0x7f800000, v88
                                        ; implicit-def: $vgpr88
	s_and_saveexec_b32 s3, vcc_lo
	s_xor_b32 s3, exec_lo, s3
; %bb.28:
	v_bfe_u32 v88, v87, 16, 1
	s_delay_alu instid0(VALU_DEP_1)
	v_add3_u32 v88, v87, v88, 0x7fff
                                        ; implicit-def: $vgpr87
; %bb.29:
	s_and_not1_saveexec_b32 s3, s3
; %bb.30:
	v_and_b32_e32 v88, 0xffff, v87
	v_or_b32_e32 v89, 0x10000, v87
	s_delay_alu instid0(VALU_DEP_2) | instskip(NEXT) | instid1(VALU_DEP_2)
	v_cmp_eq_u32_e32 vcc_lo, 0, v88
	v_cndmask_b32_e32 v88, v89, v87, vcc_lo
; %bb.31:
	s_or_b32 exec_lo, exec_lo, s3
	v_and_b32_e32 v87, 0x7f800000, v86
	s_delay_alu instid0(VALU_DEP_1) | instskip(SKIP_1) | instid1(SALU_CYCLE_1)
	v_cmp_ne_u32_e32 vcc_lo, 0x7f800000, v87
                                        ; implicit-def: $vgpr87
	s_and_saveexec_b32 s3, vcc_lo
	s_xor_b32 s3, exec_lo, s3
; %bb.32:
	v_bfe_u32 v87, v86, 16, 1
	s_delay_alu instid0(VALU_DEP_1)
	v_add3_u32 v87, v86, v87, 0x7fff
                                        ; implicit-def: $vgpr86
; %bb.33:
	s_and_not1_saveexec_b32 s3, s3
; %bb.34:
	v_and_b32_e32 v87, 0xffff, v86
	v_or_b32_e32 v89, 0x10000, v86
	s_delay_alu instid0(VALU_DEP_2) | instskip(NEXT) | instid1(VALU_DEP_2)
	v_cmp_eq_u32_e32 vcc_lo, 0, v87
	v_cndmask_b32_e32 v87, v89, v86, vcc_lo
; %bb.35:
	s_or_b32 exec_lo, exec_lo, s3
	v_and_b32_e32 v86, 0x7f800000, v83
	s_delay_alu instid0(VALU_DEP_1) | instskip(SKIP_1) | instid1(SALU_CYCLE_1)
	v_cmp_ne_u32_e32 vcc_lo, 0x7f800000, v86
                                        ; implicit-def: $vgpr86
	s_and_saveexec_b32 s3, vcc_lo
	s_xor_b32 s3, exec_lo, s3
; %bb.36:
	v_bfe_u32 v86, v83, 16, 1
	s_delay_alu instid0(VALU_DEP_1)
	v_add3_u32 v86, v83, v86, 0x7fff
                                        ; implicit-def: $vgpr83
; %bb.37:
	s_and_not1_saveexec_b32 s3, s3
; %bb.38:
	v_and_b32_e32 v86, 0xffff, v83
	v_or_b32_e32 v89, 0x10000, v83
	s_delay_alu instid0(VALU_DEP_2) | instskip(NEXT) | instid1(VALU_DEP_2)
	v_cmp_eq_u32_e32 vcc_lo, 0, v86
	v_cndmask_b32_e32 v86, v89, v83, vcc_lo
; %bb.39:
	s_or_b32 exec_lo, exec_lo, s3
	v_and_b32_e32 v83, 0x7f800000, v79
	s_delay_alu instid0(VALU_DEP_1) | instskip(SKIP_1) | instid1(SALU_CYCLE_1)
	v_cmp_ne_u32_e32 vcc_lo, 0x7f800000, v83
                                        ; implicit-def: $vgpr83
	s_and_saveexec_b32 s3, vcc_lo
	s_xor_b32 s3, exec_lo, s3
; %bb.40:
	v_bfe_u32 v83, v79, 16, 1
	s_delay_alu instid0(VALU_DEP_1)
	v_add3_u32 v83, v79, v83, 0x7fff
                                        ; implicit-def: $vgpr79
; %bb.41:
	s_and_not1_saveexec_b32 s3, s3
; %bb.42:
	v_and_b32_e32 v83, 0xffff, v79
	v_or_b32_e32 v89, 0x10000, v79
	s_delay_alu instid0(VALU_DEP_2) | instskip(NEXT) | instid1(VALU_DEP_2)
	v_cmp_eq_u32_e32 vcc_lo, 0, v83
	v_cndmask_b32_e32 v83, v89, v79, vcc_lo
; %bb.43:
	s_or_b32 exec_lo, exec_lo, s3
	s_load_b64 s[36:37], s[0:1], 0x94
	v_lshlrev_b32_e32 v90, 4, v74
	s_delay_alu instid0(VALU_DEP_2)
	v_perm_b32 v89, v83, v86, 0x7060302
	v_lshlrev_b32_e32 v79, 6, v65
	v_dual_mul_f32 v76, v81, v76 :: v_dual_lshlrev_b32 v65, 11, v66
	v_perm_b32 v86, v82, v75, 0x7060302
	v_mul_f32_e32 v82, v81, v70
	v_perm_b32 v88, v87, v88, 0x7060302
	v_perm_b32 v87, v85, v84, 0x7060302
	v_or3_b32 v75, v90, v65, v79
	v_mul_f32_e32 v65, v81, v80
	v_mul_f32_e32 v70, v81, v78
	;; [unrolled: 1-line block ×3, first 2 shown]
	v_dual_mul_f32 v80, v81, v72 :: v_dual_and_b32 v83, 0x7f800000, v82
	v_mul_f32_e32 v78, v81, v71
	v_mul_f32_e32 v72, v81, v69
	s_mov_b32 s3, exec_lo
	ds_store_b128 v75, v[86:89]
                                        ; implicit-def: $vgpr69
	v_cmpx_ne_u32_e32 0x7f800000, v83
	s_xor_b32 s3, exec_lo, s3
; %bb.44:
	v_bfe_u32 v69, v82, 16, 1
	s_delay_alu instid0(VALU_DEP_1)
	v_add3_u32 v69, v82, v69, 0x7fff
                                        ; implicit-def: $vgpr82
; %bb.45:
	s_and_not1_saveexec_b32 s3, s3
; %bb.46:
	v_and_b32_e32 v69, 0xffff, v82
	v_or_b32_e32 v71, 0x10000, v82
	s_delay_alu instid0(VALU_DEP_2) | instskip(NEXT) | instid1(VALU_DEP_2)
	v_cmp_eq_u32_e32 vcc_lo, 0, v69
	v_cndmask_b32_e32 v69, v71, v82, vcc_lo
; %bb.47:
	s_or_b32 exec_lo, exec_lo, s3
	v_and_b32_e32 v71, 0x7f800000, v72
	s_delay_alu instid0(VALU_DEP_1) | instskip(SKIP_1) | instid1(SALU_CYCLE_1)
	v_cmp_ne_u32_e32 vcc_lo, 0x7f800000, v71
                                        ; implicit-def: $vgpr71
	s_and_saveexec_b32 s3, vcc_lo
	s_xor_b32 s3, exec_lo, s3
; %bb.48:
	v_bfe_u32 v71, v72, 16, 1
	s_delay_alu instid0(VALU_DEP_1)
	v_add3_u32 v71, v72, v71, 0x7fff
                                        ; implicit-def: $vgpr72
; %bb.49:
	s_and_not1_saveexec_b32 s3, s3
; %bb.50:
	v_and_b32_e32 v71, 0xffff, v72
	v_or_b32_e32 v81, 0x10000, v72
	s_delay_alu instid0(VALU_DEP_2) | instskip(NEXT) | instid1(VALU_DEP_2)
	v_cmp_eq_u32_e32 vcc_lo, 0, v71
	v_cndmask_b32_e32 v71, v81, v72, vcc_lo
; %bb.51:
	s_or_b32 exec_lo, exec_lo, s3
	v_and_b32_e32 v72, 0x7f800000, v78
	s_delay_alu instid0(VALU_DEP_1) | instskip(SKIP_1) | instid1(SALU_CYCLE_1)
	v_cmp_ne_u32_e32 vcc_lo, 0x7f800000, v72
                                        ; implicit-def: $vgpr72
	s_and_saveexec_b32 s3, vcc_lo
	s_xor_b32 s3, exec_lo, s3
; %bb.52:
	v_bfe_u32 v72, v78, 16, 1
	s_delay_alu instid0(VALU_DEP_1)
	v_add3_u32 v72, v78, v72, 0x7fff
                                        ; implicit-def: $vgpr78
; %bb.53:
	s_and_not1_saveexec_b32 s3, s3
; %bb.54:
	v_and_b32_e32 v72, 0xffff, v78
	v_or_b32_e32 v81, 0x10000, v78
	s_delay_alu instid0(VALU_DEP_2) | instskip(NEXT) | instid1(VALU_DEP_2)
	v_cmp_eq_u32_e32 vcc_lo, 0, v72
	v_cndmask_b32_e32 v72, v81, v78, vcc_lo
; %bb.55:
	s_or_b32 exec_lo, exec_lo, s3
	v_and_b32_e32 v78, 0x7f800000, v80
	s_delay_alu instid0(VALU_DEP_1) | instskip(SKIP_1) | instid1(SALU_CYCLE_1)
	v_cmp_ne_u32_e32 vcc_lo, 0x7f800000, v78
                                        ; implicit-def: $vgpr78
	s_and_saveexec_b32 s3, vcc_lo
	s_xor_b32 s3, exec_lo, s3
; %bb.56:
	v_bfe_u32 v78, v80, 16, 1
	s_delay_alu instid0(VALU_DEP_1)
	v_add3_u32 v78, v80, v78, 0x7fff
                                        ; implicit-def: $vgpr80
; %bb.57:
	s_and_not1_saveexec_b32 s3, s3
; %bb.58:
	v_and_b32_e32 v78, 0xffff, v80
	v_or_b32_e32 v81, 0x10000, v80
	s_delay_alu instid0(VALU_DEP_2) | instskip(NEXT) | instid1(VALU_DEP_2)
	v_cmp_eq_u32_e32 vcc_lo, 0, v78
	v_cndmask_b32_e32 v78, v81, v80, vcc_lo
; %bb.59:
	s_or_b32 exec_lo, exec_lo, s3
	v_and_b32_e32 v80, 0x7f800000, v76
	s_delay_alu instid0(VALU_DEP_1) | instskip(SKIP_1) | instid1(SALU_CYCLE_1)
	v_cmp_ne_u32_e32 vcc_lo, 0x7f800000, v80
                                        ; implicit-def: $vgpr80
	s_and_saveexec_b32 s3, vcc_lo
	s_xor_b32 s3, exec_lo, s3
; %bb.60:
	v_bfe_u32 v80, v76, 16, 1
	s_delay_alu instid0(VALU_DEP_1)
	v_add3_u32 v80, v76, v80, 0x7fff
                                        ; implicit-def: $vgpr76
; %bb.61:
	s_and_not1_saveexec_b32 s3, s3
; %bb.62:
	v_and_b32_e32 v80, 0xffff, v76
	v_or_b32_e32 v81, 0x10000, v76
	s_delay_alu instid0(VALU_DEP_2) | instskip(NEXT) | instid1(VALU_DEP_2)
	v_cmp_eq_u32_e32 vcc_lo, 0, v80
	v_cndmask_b32_e32 v80, v81, v76, vcc_lo
; %bb.63:
	s_or_b32 exec_lo, exec_lo, s3
	v_and_b32_e32 v76, 0x7f800000, v77
	s_delay_alu instid0(VALU_DEP_1) | instskip(SKIP_1) | instid1(SALU_CYCLE_1)
	v_cmp_ne_u32_e32 vcc_lo, 0x7f800000, v76
                                        ; implicit-def: $vgpr76
	s_and_saveexec_b32 s3, vcc_lo
	s_xor_b32 s3, exec_lo, s3
; %bb.64:
	v_bfe_u32 v76, v77, 16, 1
	s_delay_alu instid0(VALU_DEP_1)
	v_add3_u32 v76, v77, v76, 0x7fff
                                        ; implicit-def: $vgpr77
; %bb.65:
	s_and_not1_saveexec_b32 s3, s3
; %bb.66:
	v_and_b32_e32 v76, 0xffff, v77
	v_or_b32_e32 v81, 0x10000, v77
	s_delay_alu instid0(VALU_DEP_2) | instskip(NEXT) | instid1(VALU_DEP_2)
	v_cmp_eq_u32_e32 vcc_lo, 0, v76
	v_cndmask_b32_e32 v76, v81, v77, vcc_lo
; %bb.67:
	s_or_b32 exec_lo, exec_lo, s3
	v_and_b32_e32 v77, 0x7f800000, v70
	s_delay_alu instid0(VALU_DEP_1) | instskip(SKIP_1) | instid1(SALU_CYCLE_1)
	v_cmp_ne_u32_e32 vcc_lo, 0x7f800000, v77
                                        ; implicit-def: $vgpr77
	s_and_saveexec_b32 s3, vcc_lo
	s_xor_b32 s3, exec_lo, s3
; %bb.68:
	v_bfe_u32 v77, v70, 16, 1
	s_delay_alu instid0(VALU_DEP_1)
	v_add3_u32 v77, v70, v77, 0x7fff
                                        ; implicit-def: $vgpr70
; %bb.69:
	s_and_not1_saveexec_b32 s3, s3
; %bb.70:
	v_and_b32_e32 v77, 0xffff, v70
	v_or_b32_e32 v81, 0x10000, v70
	s_delay_alu instid0(VALU_DEP_2) | instskip(NEXT) | instid1(VALU_DEP_2)
	v_cmp_eq_u32_e32 vcc_lo, 0, v77
	v_cndmask_b32_e32 v77, v81, v70, vcc_lo
; %bb.71:
	s_or_b32 exec_lo, exec_lo, s3
	v_and_b32_e32 v70, 0x7f800000, v65
	s_delay_alu instid0(VALU_DEP_1) | instskip(SKIP_1) | instid1(SALU_CYCLE_1)
	v_cmp_ne_u32_e32 vcc_lo, 0x7f800000, v70
                                        ; implicit-def: $vgpr70
	s_and_saveexec_b32 s3, vcc_lo
	s_xor_b32 s3, exec_lo, s3
; %bb.72:
	v_bfe_u32 v70, v65, 16, 1
	s_delay_alu instid0(VALU_DEP_1)
	v_add3_u32 v70, v65, v70, 0x7fff
                                        ; implicit-def: $vgpr65
; %bb.73:
	s_and_not1_saveexec_b32 s3, s3
; %bb.74:
	v_and_b32_e32 v70, 0xffff, v65
	v_or_b32_e32 v81, 0x10000, v65
	s_delay_alu instid0(VALU_DEP_2) | instskip(NEXT) | instid1(VALU_DEP_2)
	v_cmp_eq_u32_e32 vcc_lo, 0, v70
	v_cndmask_b32_e32 v70, v81, v65, vcc_lo
; %bb.75:
	s_or_b32 exec_lo, exec_lo, s3
	s_delay_alu instid0(VALU_DEP_1)
	v_perm_b32 v85, v70, v77, 0x7060302
	v_perm_b32 v84, v76, v80, 0x7060302
	;; [unrolled: 1-line block ×4, first 2 shown]
	v_lshl_or_b32 v81, v66, 11, v79
	ds_store_b128 v75, v[82:85] offset:1024
	s_waitcnt lgkmcnt(0)
	s_barrier
	buffer_gl0_inv
	ds_load_b128 v[69:72], v81
	ds_load_b128 v[82:85], v81 offset:16
	s_waitcnt lgkmcnt(1)
	v_lshrrev_b32_e32 v65, 16, v69
	v_lshlrev_b32_e32 v77, 2, v74
	v_lshrrev_b32_e32 v66, 16, v70
	s_waitcnt lgkmcnt(0)
	v_lshrrev_b32_e32 v90, 16, v82
	v_lshrrev_b32_e32 v94, 16, v71
	;; [unrolled: 1-line block ×3, first 2 shown]
	v_cmp_eq_u32_e32 vcc_lo, 1, v77
	v_lshrrev_b32_e32 v95, 16, v72
	v_lshrrev_b32_e32 v97, 16, v84
	;; [unrolled: 1-line block ×3, first 2 shown]
	v_cndmask_b32_e32 v80, v69, v65, vcc_lo
	v_or_b32_e32 v78, 1, v77
	v_cmp_eq_u32_e64 s4, 2, v77
	v_cmp_eq_u32_e64 s7, 3, v77
	;; [unrolled: 1-line block ×3, first 2 shown]
	v_or_b32_e32 v76, 2, v77
	v_cmp_eq_u32_e64 s3, 1, v78
	v_cndmask_b32_e64 v80, v80, v70, s4
	v_cmp_eq_u32_e64 s6, 2, v78
	v_cmp_eq_u32_e64 s8, 3, v78
	;; [unrolled: 1-line block ×3, first 2 shown]
	v_cndmask_b32_e64 v87, v69, v65, s3
	v_cndmask_b32_e64 v80, v80, v66, s7
	;; [unrolled: 1-line block ×3, first 2 shown]
	v_cmp_eq_u32_e64 s11, 4, v78
	v_cmp_eq_u32_e64 s5, 1, v76
	v_cndmask_b32_e64 v87, v87, v70, s6
	v_cndmask_b32_e64 v80, v80, v71, s9
	;; [unrolled: 1-line block ×3, first 2 shown]
	v_cmp_eq_u32_e64 s12, 6, v77
	v_cmp_eq_u32_e64 s13, 5, v78
	v_cndmask_b32_e64 v87, v87, v66, s8
	v_cndmask_b32_e64 v80, v80, v94, s10
	;; [unrolled: 1-line block ×4, first 2 shown]
	v_cmp_eq_u32_e64 s16, 7, v77
	v_cndmask_b32_e64 v87, v87, v71, s11
	v_cndmask_b32_e64 v80, v80, v72, s12
	v_cmp_eq_u32_e64 s17, 6, v78
	v_cmp_eq_u32_e64 s18, 2, v76
	v_cndmask_b32_e64 v88, v88, v84, s11
	v_cndmask_b32_e64 v87, v87, v94, s13
	v_cndmask_b32_e64 v99, v80, v95, s16
	v_cmp_eq_u32_e64 s19, 7, v78
	v_cndmask_b32_e64 v80, v89, v70, s18
	v_cmp_eq_u32_e64 s20, 3, v76
	v_cndmask_b32_e64 v87, v87, v72, s17
	v_cmp_eq_u32_e64 s21, 4, v76
	v_cmp_eq_u32_e64 s23, 5, v76
	;; [unrolled: 1-line block ×4, first 2 shown]
	v_cndmask_b32_e64 v101, v87, v95, s19
	v_cndmask_b32_e64 v87, v88, v97, s13
	;; [unrolled: 1-line block ×3, first 2 shown]
	v_or_b32_e32 v80, 3, v77
	s_delay_alu instid0(VALU_DEP_3) | instskip(NEXT) | instid1(VALU_DEP_3)
	v_cndmask_b32_e64 v102, v87, v85, s17
	v_cndmask_b32_e64 v91, v88, v71, s21
	s_delay_alu instid0(VALU_DEP_3)
	v_cmp_eq_u32_e64 s22, 1, v80
	v_cmp_eq_u32_e64 s24, 2, v80
	;; [unrolled: 1-line block ×5, first 2 shown]
	v_cndmask_b32_e64 v65, v69, v65, s22
	v_cmp_eq_u32_e64 s30, 6, v80
	v_cndmask_b32_e64 v103, v91, v94, s23
	s_delay_alu instid0(VALU_DEP_3) | instskip(NEXT) | instid1(VALU_DEP_1)
	v_cndmask_b32_e64 v65, v65, v70, s24
	v_cndmask_b32_e64 v65, v65, v66, s26
	s_delay_alu instid0(VALU_DEP_3) | instskip(NEXT) | instid1(VALU_DEP_2)
	v_cndmask_b32_e64 v66, v103, v72, s25
	v_cndmask_b32_e64 v65, v65, v71, s27
	s_delay_alu instid0(VALU_DEP_2) | instskip(NEXT) | instid1(VALU_DEP_2)
	v_cndmask_b32_e64 v66, v66, v95, s28
	v_cndmask_b32_e64 v65, v65, v94, s29
	s_delay_alu instid0(VALU_DEP_1) | instskip(SKIP_1) | instid1(VALU_DEP_1)
	v_cndmask_b32_e64 v65, v65, v72, s30
	v_cndmask_b32_e32 v86, v82, v90, vcc_lo
	v_cndmask_b32_e64 v86, v86, v83, s4
	s_delay_alu instid0(VALU_DEP_1) | instskip(NEXT) | instid1(VALU_DEP_1)
	v_cndmask_b32_e64 v86, v86, v96, s7
	v_cndmask_b32_e64 v86, v86, v84, s9
	s_delay_alu instid0(VALU_DEP_1) | instskip(NEXT) | instid1(VALU_DEP_1)
	v_cndmask_b32_e64 v86, v86, v97, s10
	v_cndmask_b32_e64 v86, v86, v85, s12
	s_delay_alu instid0(VALU_DEP_1) | instskip(SKIP_2) | instid1(VALU_DEP_2)
	v_cndmask_b32_e64 v100, v86, v98, s16
	v_cndmask_b32_e64 v86, v82, v90, s5
	;; [unrolled: 1-line block ×4, first 2 shown]
	s_delay_alu instid0(VALU_DEP_2) | instskip(SKIP_1) | instid1(VALU_DEP_3)
	v_cndmask_b32_e64 v70, v82, v83, s24
	v_cndmask_b32_e64 v82, v102, v98, s19
	;; [unrolled: 1-line block ×3, first 2 shown]
	ds_load_b128 v[86:89], v81 offset:1024
	v_cndmask_b32_e64 v70, v70, v96, s26
	v_cndmask_b32_e64 v69, v92, v84, s21
	ds_load_b128 v[90:93], v81 offset:1040
	v_cndmask_b32_e64 v70, v70, v84, s27
	v_cndmask_b32_e64 v69, v69, v97, s23
	s_delay_alu instid0(VALU_DEP_2) | instskip(NEXT) | instid1(VALU_DEP_2)
	v_cndmask_b32_e64 v70, v70, v97, s29
	v_cndmask_b32_e64 v69, v69, v85, s25
	s_delay_alu instid0(VALU_DEP_2) | instskip(NEXT) | instid1(VALU_DEP_2)
	v_cndmask_b32_e64 v70, v70, v85, s30
	v_cndmask_b32_e64 v69, v69, v98, s28
	s_waitcnt lgkmcnt(1)
	v_lshrrev_b32_e32 v83, 16, v86
	v_lshrrev_b32_e32 v94, 16, v87
	;; [unrolled: 1-line block ×3, first 2 shown]
	s_delay_alu instid0(VALU_DEP_3) | instskip(SKIP_3) | instid1(VALU_DEP_3)
	v_cndmask_b32_e32 v71, v86, v83, vcc_lo
	s_waitcnt lgkmcnt(0)
	v_lshrrev_b32_e32 v84, 16, v90
	v_cndmask_b32_e64 v96, v86, v83, s3
	v_cndmask_b32_e64 v71, v71, v87, s4
	s_delay_alu instid0(VALU_DEP_3) | instskip(NEXT) | instid1(VALU_DEP_3)
	v_cndmask_b32_e32 v97, v90, v84, vcc_lo
	v_cndmask_b32_e64 v72, v96, v87, s6
	v_lshrrev_b32_e32 v96, 16, v91
	v_cmp_eq_u32_e32 vcc_lo, 7, v80
	v_cndmask_b32_e64 v71, v71, v94, s7
	v_cndmask_b32_e64 v85, v97, v91, s4
	;; [unrolled: 1-line block ×3, first 2 shown]
	v_lshrrev_b32_e32 v97, 16, v88
	v_cndmask_b32_e32 v65, v65, v95, vcc_lo
	v_cndmask_b32_e64 v71, v71, v88, s9
	v_cndmask_b32_e64 v85, v85, v96, s7
	v_cndmask_b32_e32 v70, v70, v98, vcc_lo
	v_cndmask_b32_e64 v95, v72, v88, s11
	v_lshrrev_b32_e32 v98, 16, v92
	v_cndmask_b32_e64 v71, v71, v97, s10
	v_cndmask_b32_e64 v85, v85, v92, s9
	v_perm_b32 v72, v70, v65, 0x5040100
	v_cndmask_b32_e64 v65, v95, v97, s13
	v_perm_b32 v70, v82, v101, 0x5040100
	v_cndmask_b32_e64 v95, v71, v89, s12
	v_cndmask_b32_e64 v85, v85, v98, s10
	v_perm_b32 v71, v69, v66, 0x5040100
	v_cndmask_b32_e64 v65, v65, v89, s17
	v_lshrrev_b32_e32 v82, 16, v93
	v_cndmask_b32_e64 v66, v95, v102, s16
	v_cndmask_b32_e64 v69, v85, v93, s12
	;; [unrolled: 1-line block ×34, first 2 shown]
	v_cndmask_b32_e32 v83, v83, v102, vcc_lo
	v_cndmask_b32_e32 v85, v86, v82, vcc_lo
	v_cndmask_b32_e64 v86, v87, v82, s28
	v_cndmask_b32_e64 v87, v84, v82, s19
	;; [unrolled: 1-line block ×3, first 2 shown]
	v_perm_b32 v69, v100, v99, 0x5040100
	v_perm_b32 v85, v85, v83, 0x5040100
	;; [unrolled: 1-line block ×5, first 2 shown]
	s_mov_b32 s3, exec_lo
	ds_store_b128 v75, v[69:72]
	ds_store_b128 v75, v[82:85] offset:1024
	v_cmpx_eq_u32_e32 0, v0
	s_cbranch_execz .LBB1854_77
; %bb.76:
	s_load_b128 s[4:7], s[0:1], 0x58
	s_mul_i32 s8, s37, s34
	v_mov_b32_e32 v65, 0
	s_add_i32 s8, s8, s15
	s_delay_alu instid0(SALU_CYCLE_1) | instskip(NEXT) | instid1(SALU_CYCLE_1)
	s_mul_i32 s8, s8, s36
	s_add_i32 s8, s8, s14
	s_delay_alu instid0(SALU_CYCLE_1) | instskip(NEXT) | instid1(SALU_CYCLE_1)
	s_ashr_i32 s9, s8, 31
	s_lshl_b64 s[8:9], s[8:9], 2
	s_waitcnt lgkmcnt(0)
	s_add_u32 s6, s6, s8
	s_addc_u32 s7, s7, s9
	s_add_u32 s4, s4, s8
	s_addc_u32 s5, s5, s9
	s_clause 0x1
	global_store_b32 v65, v67, s[6:7]
	global_store_b32 v65, v68, s[4:5]
.LBB1854_77:
	s_or_b32 exec_lo, exec_lo, s3
	s_waitcnt lgkmcnt(0)
	s_waitcnt_vscnt null, 0x0
	s_barrier
	buffer_gl0_inv
	ds_load_b128 v[82:85], v79
	ds_load_b128 v[86:89], v79 offset:16
	ds_load_b128 v[94:97], v79 offset:2064
	;; [unrolled: 1-line block ×3, first 2 shown]
	v_mov_b32_e32 v65, 0
	ds_load_b128 v[102:105], v79 offset:4112
	ds_load_b128 v[98:101], v79 offset:4096
	;; [unrolled: 1-line block ×4, first 2 shown]
	v_mov_b32_e32 v66, v65
	v_mov_b32_e32 v67, v65
	;; [unrolled: 1-line block ×7, first 2 shown]
	s_waitcnt lgkmcnt(6)
	s_delay_alu instid0(VALU_DEP_1)
	v_wmma_f32_16x16x16_bf16 v[65:72], v[49:56], v[82:89], v[65:72]
	ds_load_b128 v[53:56], v79 offset:8208
	ds_load_b128 v[49:52], v79 offset:8192
	s_waitcnt lgkmcnt(6)
	v_wmma_f32_16x16x16_bf16 v[65:72], v[41:48], v[90:97], v[65:72]
	ds_load_b128 v[45:48], v79 offset:10256
	ds_load_b128 v[41:44], v79 offset:10240
	s_waitcnt lgkmcnt(6)
	;; [unrolled: 4-line block ×4, first 2 shown]
	v_wmma_f32_16x16x16_bf16 v[65:72], v[1:8], v[49:56], v[65:72]
	s_waitcnt lgkmcnt(4)
	s_delay_alu instid0(VALU_DEP_1) | instskip(SKIP_1) | instid1(VALU_DEP_1)
	v_wmma_f32_16x16x16_bf16 v[65:72], v[9:16], v[41:48], v[65:72]
	s_waitcnt lgkmcnt(2)
	v_wmma_f32_16x16x16_bf16 v[65:72], v[17:24], v[33:40], v[65:72]
	s_waitcnt lgkmcnt(0)
	s_delay_alu instid0(VALU_DEP_1) | instskip(NEXT) | instid1(VALU_DEP_1)
	v_wmma_f32_16x16x16_bf16 v[65:72], v[57:64], v[25:32], v[65:72]
	v_and_b32_e32 v1, 0x7f800000, v65
	s_delay_alu instid0(VALU_DEP_1) | instskip(SKIP_1) | instid1(SALU_CYCLE_1)
	v_cmp_ne_u32_e32 vcc_lo, 0x7f800000, v1
                                        ; implicit-def: $vgpr1
	s_and_saveexec_b32 s3, vcc_lo
	s_xor_b32 s3, exec_lo, s3
; %bb.78:
	v_bfe_u32 v1, v65, 16, 1
	s_delay_alu instid0(VALU_DEP_1)
	v_add3_u32 v1, v65, v1, 0x7fff
; %bb.79:
	s_and_not1_saveexec_b32 s3, s3
; %bb.80:
	v_and_b32_e32 v1, 0xffff, v65
	v_or_b32_e32 v2, 0x10000, v65
	s_delay_alu instid0(VALU_DEP_2) | instskip(NEXT) | instid1(VALU_DEP_2)
	v_cmp_eq_u32_e32 vcc_lo, 0, v1
	v_cndmask_b32_e32 v1, v2, v65, vcc_lo
; %bb.81:
	s_or_b32 exec_lo, exec_lo, s3
	v_and_b32_e32 v2, 0x7f800000, v66
	s_delay_alu instid0(VALU_DEP_1) | instskip(SKIP_1) | instid1(SALU_CYCLE_1)
	v_cmp_ne_u32_e32 vcc_lo, 0x7f800000, v2
                                        ; implicit-def: $vgpr2
	s_and_saveexec_b32 s3, vcc_lo
	s_xor_b32 s3, exec_lo, s3
; %bb.82:
	v_bfe_u32 v2, v66, 16, 1
	s_delay_alu instid0(VALU_DEP_1)
	v_add3_u32 v2, v66, v2, 0x7fff
; %bb.83:
	s_and_not1_saveexec_b32 s3, s3
; %bb.84:
	v_and_b32_e32 v2, 0xffff, v66
	v_or_b32_e32 v3, 0x10000, v66
	s_delay_alu instid0(VALU_DEP_2) | instskip(NEXT) | instid1(VALU_DEP_2)
	v_cmp_eq_u32_e32 vcc_lo, 0, v2
	v_cndmask_b32_e32 v2, v3, v66, vcc_lo
; %bb.85:
	s_or_b32 exec_lo, exec_lo, s3
	v_and_b32_e32 v3, 0x7f800000, v67
	s_delay_alu instid0(VALU_DEP_1) | instskip(SKIP_1) | instid1(SALU_CYCLE_1)
	v_cmp_ne_u32_e32 vcc_lo, 0x7f800000, v3
                                        ; implicit-def: $vgpr3
	s_and_saveexec_b32 s3, vcc_lo
	s_xor_b32 s3, exec_lo, s3
; %bb.86:
	v_bfe_u32 v3, v67, 16, 1
	s_delay_alu instid0(VALU_DEP_1)
	v_add3_u32 v3, v67, v3, 0x7fff
; %bb.87:
	s_and_not1_saveexec_b32 s3, s3
; %bb.88:
	v_and_b32_e32 v3, 0xffff, v67
	v_or_b32_e32 v4, 0x10000, v67
	s_delay_alu instid0(VALU_DEP_2) | instskip(NEXT) | instid1(VALU_DEP_2)
	v_cmp_eq_u32_e32 vcc_lo, 0, v3
	v_cndmask_b32_e32 v3, v4, v67, vcc_lo
; %bb.89:
	s_or_b32 exec_lo, exec_lo, s3
	v_and_b32_e32 v4, 0x7f800000, v68
	s_delay_alu instid0(VALU_DEP_1) | instskip(SKIP_1) | instid1(SALU_CYCLE_1)
	v_cmp_ne_u32_e32 vcc_lo, 0x7f800000, v4
                                        ; implicit-def: $vgpr4
	s_and_saveexec_b32 s3, vcc_lo
	s_xor_b32 s3, exec_lo, s3
; %bb.90:
	v_bfe_u32 v4, v68, 16, 1
	s_delay_alu instid0(VALU_DEP_1)
	v_add3_u32 v4, v68, v4, 0x7fff
; %bb.91:
	s_and_not1_saveexec_b32 s3, s3
; %bb.92:
	v_and_b32_e32 v4, 0xffff, v68
	v_or_b32_e32 v5, 0x10000, v68
	s_delay_alu instid0(VALU_DEP_2) | instskip(NEXT) | instid1(VALU_DEP_2)
	v_cmp_eq_u32_e32 vcc_lo, 0, v4
	v_cndmask_b32_e32 v4, v5, v68, vcc_lo
; %bb.93:
	s_or_b32 exec_lo, exec_lo, s3
	v_and_b32_e32 v5, 0x7f800000, v69
	s_delay_alu instid0(VALU_DEP_1) | instskip(SKIP_1) | instid1(SALU_CYCLE_1)
	v_cmp_ne_u32_e32 vcc_lo, 0x7f800000, v5
                                        ; implicit-def: $vgpr5
	s_and_saveexec_b32 s3, vcc_lo
	s_xor_b32 s3, exec_lo, s3
; %bb.94:
	v_bfe_u32 v5, v69, 16, 1
	s_delay_alu instid0(VALU_DEP_1)
	v_add3_u32 v5, v69, v5, 0x7fff
; %bb.95:
	s_and_not1_saveexec_b32 s3, s3
; %bb.96:
	v_and_b32_e32 v5, 0xffff, v69
	v_or_b32_e32 v6, 0x10000, v69
	s_delay_alu instid0(VALU_DEP_2) | instskip(NEXT) | instid1(VALU_DEP_2)
	v_cmp_eq_u32_e32 vcc_lo, 0, v5
	v_cndmask_b32_e32 v5, v6, v69, vcc_lo
; %bb.97:
	s_or_b32 exec_lo, exec_lo, s3
	v_and_b32_e32 v6, 0x7f800000, v70
	s_delay_alu instid0(VALU_DEP_1) | instskip(SKIP_1) | instid1(SALU_CYCLE_1)
	v_cmp_ne_u32_e32 vcc_lo, 0x7f800000, v6
                                        ; implicit-def: $vgpr6
	s_and_saveexec_b32 s3, vcc_lo
	s_xor_b32 s3, exec_lo, s3
; %bb.98:
	v_bfe_u32 v6, v70, 16, 1
	s_delay_alu instid0(VALU_DEP_1)
	v_add3_u32 v6, v70, v6, 0x7fff
; %bb.99:
	s_and_not1_saveexec_b32 s3, s3
; %bb.100:
	v_and_b32_e32 v6, 0xffff, v70
	v_or_b32_e32 v7, 0x10000, v70
	s_delay_alu instid0(VALU_DEP_2) | instskip(NEXT) | instid1(VALU_DEP_2)
	v_cmp_eq_u32_e32 vcc_lo, 0, v6
	v_cndmask_b32_e32 v6, v7, v70, vcc_lo
; %bb.101:
	s_or_b32 exec_lo, exec_lo, s3
	v_and_b32_e32 v7, 0x7f800000, v71
	s_delay_alu instid0(VALU_DEP_1) | instskip(SKIP_1) | instid1(SALU_CYCLE_1)
	v_cmp_ne_u32_e32 vcc_lo, 0x7f800000, v7
                                        ; implicit-def: $vgpr7
	s_and_saveexec_b32 s3, vcc_lo
	s_xor_b32 s3, exec_lo, s3
; %bb.102:
	v_bfe_u32 v7, v71, 16, 1
	s_delay_alu instid0(VALU_DEP_1)
	v_add3_u32 v7, v71, v7, 0x7fff
; %bb.103:
	s_and_not1_saveexec_b32 s3, s3
; %bb.104:
	v_and_b32_e32 v7, 0xffff, v71
	v_or_b32_e32 v8, 0x10000, v71
	s_delay_alu instid0(VALU_DEP_2) | instskip(NEXT) | instid1(VALU_DEP_2)
	v_cmp_eq_u32_e32 vcc_lo, 0, v7
	v_cndmask_b32_e32 v7, v8, v71, vcc_lo
; %bb.105:
	s_or_b32 exec_lo, exec_lo, s3
	v_and_b32_e32 v8, 0x7f800000, v72
	s_delay_alu instid0(VALU_DEP_1) | instskip(SKIP_1) | instid1(SALU_CYCLE_1)
	v_cmp_ne_u32_e32 vcc_lo, 0x7f800000, v8
                                        ; implicit-def: $vgpr8
	s_and_saveexec_b32 s3, vcc_lo
	s_xor_b32 s3, exec_lo, s3
; %bb.106:
	v_bfe_u32 v8, v72, 16, 1
	s_delay_alu instid0(VALU_DEP_1)
	v_add3_u32 v8, v72, v8, 0x7fff
                                        ; implicit-def: $vgpr65_vgpr66_vgpr67_vgpr68_vgpr69_vgpr70_vgpr71_vgpr72
; %bb.107:
	s_and_not1_saveexec_b32 s3, s3
; %bb.108:
	v_and_b32_e32 v8, 0xffff, v72
	v_or_b32_e32 v9, 0x10000, v72
	s_delay_alu instid0(VALU_DEP_2) | instskip(NEXT) | instid1(VALU_DEP_2)
	v_cmp_eq_u32_e32 vcc_lo, 0, v8
	v_cndmask_b32_e32 v8, v9, v72, vcc_lo
; %bb.109:
	s_or_b32 exec_lo, exec_lo, s3
	s_delay_alu instid0(VALU_DEP_1)
	v_perm_b32 v7, v8, v7, 0x7060302
	v_perm_b32 v6, v6, v5, 0x7060302
	;; [unrolled: 1-line block ×4, first 2 shown]
	s_barrier
	buffer_gl0_inv
	v_cmp_eq_u32_e32 vcc_lo, 1, v77
	ds_store_b128 v75, v[4:7]
	s_waitcnt lgkmcnt(0)
	s_barrier
	buffer_gl0_inv
	ds_load_b128 v[1:4], v81
	ds_load_b128 v[5:8], v81 offset:16
	v_cmp_eq_u32_e64 s3, 1, v78
	v_cmp_eq_u32_e64 s4, 2, v77
	;; [unrolled: 1-line block ×5, first 2 shown]
	s_xor_b32 s2, s2, -1
	s_waitcnt lgkmcnt(1)
	v_lshrrev_b32_e32 v9, 16, v1
	s_waitcnt lgkmcnt(0)
	v_lshrrev_b32_e32 v13, 16, v5
	v_lshrrev_b32_e32 v10, 16, v2
	;; [unrolled: 1-line block ×4, first 2 shown]
	v_cndmask_b32_e64 v19, v1, v9, s3
	v_cndmask_b32_e32 v18, v5, v13, vcc_lo
	v_cndmask_b32_e64 v20, v5, v13, s3
	v_cndmask_b32_e32 v17, v1, v9, vcc_lo
	v_cmp_eq_u32_e32 vcc_lo, 2, v78
	v_lshrrev_b32_e32 v15, 16, v7
	v_cmp_eq_u32_e64 s3, 1, v76
	v_lshrrev_b32_e32 v12, 16, v4
	v_lshrrev_b32_e32 v16, 16, v8
	v_cndmask_b32_e32 v20, v20, v6, vcc_lo
	v_cndmask_b32_e64 v17, v17, v2, s4
	v_cndmask_b32_e32 v19, v19, v2, vcc_lo
	v_cndmask_b32_e64 v18, v18, v6, s4
	v_cmp_eq_u32_e32 vcc_lo, 4, v77
	v_cmp_eq_u32_e64 s4, 3, v78
	v_cndmask_b32_e64 v17, v17, v10, s5
	v_cndmask_b32_e64 v21, v1, v9, s3
	;; [unrolled: 1-line block ×5, first 2 shown]
	v_cndmask_b32_e32 v17, v17, v3, vcc_lo
	v_cndmask_b32_e64 v20, v20, v14, s4
	v_cndmask_b32_e32 v18, v18, v7, vcc_lo
	v_cmp_eq_u32_e32 vcc_lo, 4, v78
	v_cmp_eq_u32_e64 s4, 5, v78
	v_cmp_eq_u32_e64 s3, 2, v80
	v_cndmask_b32_e64 v21, v21, v2, s7
	v_cmp_eq_u32_e64 s5, 5, v77
	v_cndmask_b32_e32 v19, v19, v3, vcc_lo
	v_cndmask_b32_e32 v20, v20, v7, vcc_lo
	v_cmp_eq_u32_e32 vcc_lo, 6, v78
	s_delay_alu instid0(VALU_DEP_4) | instskip(NEXT) | instid1(VALU_DEP_4)
	v_cndmask_b32_e64 v17, v17, v11, s5
	v_cndmask_b32_e64 v19, v19, v11, s4
	s_delay_alu instid0(VALU_DEP_4) | instskip(SKIP_1) | instid1(VALU_DEP_3)
	v_cndmask_b32_e64 v20, v20, v15, s4
	v_cmp_eq_u32_e64 s4, 1, v80
	v_cndmask_b32_e32 v19, v19, v4, vcc_lo
	v_cndmask_b32_e64 v18, v18, v15, s5
	s_delay_alu instid0(VALU_DEP_3)
	v_cndmask_b32_e64 v1, v1, v9, s4
	v_cndmask_b32_e64 v5, v5, v13, s4
	v_cmp_eq_u32_e64 s4, 3, v76
	v_cndmask_b32_e64 v13, v22, v6, s7
	v_cmp_eq_u32_e64 s7, 3, v80
	v_cndmask_b32_e64 v1, v1, v2, s3
	v_cndmask_b32_e64 v2, v5, v6, s3
	;; [unrolled: 1-line block ×3, first 2 shown]
	v_cmp_eq_u32_e64 s3, 4, v76
	v_cndmask_b32_e64 v6, v13, v14, s4
	v_cndmask_b32_e64 v1, v1, v10, s7
	v_cmp_eq_u32_e64 s4, 4, v80
	v_cndmask_b32_e64 v2, v2, v14, s7
	v_cndmask_b32_e64 v5, v9, v3, s3
	;; [unrolled: 3-line block ×3, first 2 shown]
	v_cndmask_b32_e64 v2, v2, v7, s4
	v_cmp_eq_u32_e64 s3, 5, v80
	v_cmp_eq_u32_e64 s5, 6, v77
	v_cndmask_b32_e64 v5, v5, v11, s7
	v_cmp_eq_u32_e64 s4, 6, v76
	v_cndmask_b32_e64 v3, v6, v15, s7
	v_cndmask_b32_e64 v1, v1, v11, s3
	v_cmp_eq_u32_e64 s7, 6, v80
	v_cndmask_b32_e64 v2, v2, v15, s3
	v_cndmask_b32_e64 v17, v17, v4, s5
	v_cndmask_b32_e64 v18, v18, v8, s5
	v_cmp_eq_u32_e64 s5, 7, v77
	v_cndmask_b32_e64 v5, v5, v4, s4
	;; [unrolled: 4-line block ×3, first 2 shown]
	v_cmp_eq_u32_e64 s4, 7, v76
	v_cndmask_b32_e32 v4, v20, v8, vcc_lo
	v_cndmask_b32_e64 v17, v17, v12, s5
	v_cndmask_b32_e64 v19, v19, v12, s6
	;; [unrolled: 1-line block ×8, first 2 shown]
	v_cmp_gt_u32_e32 vcc_lo, 32, v0
	v_perm_b32 v4, v2, v1, 0x5040100
	v_perm_b32 v3, v3, v5, 0x5040100
	;; [unrolled: 1-line block ×4, first 2 shown]
	s_and_b32 s2, vcc_lo, s2
	ds_store_b128 v75, v[1:4]
	s_waitcnt lgkmcnt(0)
	s_barrier
	buffer_gl0_inv
	s_and_saveexec_b32 s3, s2
	s_cbranch_execz .LBB1854_2
; %bb.110:
	s_load_b64 s[0:1], s[0:1], 0x68
	v_lshlrev_b32_e32 v1, 10, v0
	v_and_b32_e32 v0, 1, v0
	v_lshlrev_b32_e32 v2, 6, v74
	s_lshl_b32 s4, s36, 7
	s_delay_alu instid0(VALU_DEP_3) | instskip(NEXT) | instid1(VALU_DEP_3)
	v_and_b32_e32 v1, 0x3800, v1
	v_lshlrev_b32_e32 v0, 4, v0
	s_mul_i32 s2, s4, s34
	s_delay_alu instid0(SALU_CYCLE_1) | instskip(NEXT) | instid1(VALU_DEP_1)
	s_mul_i32 s2, s2, s37
	v_or3_b32 v0, v1, v2, v0
	s_ashr_i32 s3, s2, 31
	s_delay_alu instid0(SALU_CYCLE_1)
	s_lshl_b64 s[2:3], s[2:3], 1
	ds_load_b128 v[0:3], v0
	s_waitcnt lgkmcnt(0)
	s_add_u32 s5, s0, s2
	s_addc_u32 s3, s1, s3
	s_lshl_b32 s0, s14, 7
	s_mul_i32 s2, s4, s15
	s_ashr_i32 s1, s0, 31
	s_delay_alu instid0(SALU_CYCLE_1) | instskip(NEXT) | instid1(SALU_CYCLE_1)
	s_lshl_b64 s[0:1], s[0:1], 1
	s_add_u32 s4, s5, s0
	s_addc_u32 s5, s3, s1
	s_ashr_i32 s3, s2, 31
	s_delay_alu instid0(SALU_CYCLE_1) | instskip(NEXT) | instid1(SALU_CYCLE_1)
	s_lshl_b64 s[0:1], s[2:3], 1
	s_add_u32 s0, s4, s0
	s_addc_u32 s1, s5, s1
	global_store_b128 v73, v[0:3], s[0:1]
	s_nop 0
	s_sendmsg sendmsg(MSG_DEALLOC_VGPRS)
	s_endpgm
	.section	.rodata,"a",@progbits
	.p2align	6, 0x0
	.amdhsa_kernel _Z39paged_attention_ll4mi_QKV_mfma16_kernelI14__hip_bfloat16hLN4vllm18Fp8KVCacheDataTypeE1ES0_Li16ELi128ELi256ELb0ELi1EL8MFMAType0EEvPKT_PKT0_S9_ifPKiSB_SB_iPKfiiiPfSE_PS4_PT2_iSD_SD_
		.amdhsa_group_segment_fixed_size 17472
		.amdhsa_private_segment_fixed_size 0
		.amdhsa_kernarg_size 400
		.amdhsa_user_sgpr_count 13
		.amdhsa_user_sgpr_dispatch_ptr 0
		.amdhsa_user_sgpr_queue_ptr 0
		.amdhsa_user_sgpr_kernarg_segment_ptr 1
		.amdhsa_user_sgpr_dispatch_id 0
		.amdhsa_user_sgpr_private_segment_size 0
		.amdhsa_wavefront_size32 1
		.amdhsa_uses_dynamic_stack 0
		.amdhsa_enable_private_segment 0
		.amdhsa_system_sgpr_workgroup_id_x 1
		.amdhsa_system_sgpr_workgroup_id_y 1
		.amdhsa_system_sgpr_workgroup_id_z 1
		.amdhsa_system_sgpr_workgroup_info 0
		.amdhsa_system_vgpr_workitem_id 0
		.amdhsa_next_free_vgpr 138
		.amdhsa_next_free_sgpr 66
		.amdhsa_reserve_vcc 1
		.amdhsa_float_round_mode_32 0
		.amdhsa_float_round_mode_16_64 0
		.amdhsa_float_denorm_mode_32 3
		.amdhsa_float_denorm_mode_16_64 3
		.amdhsa_dx10_clamp 1
		.amdhsa_ieee_mode 1
		.amdhsa_fp16_overflow 0
		.amdhsa_workgroup_processor_mode 1
		.amdhsa_memory_ordered 1
		.amdhsa_forward_progress 0
		.amdhsa_shared_vgpr_count 0
		.amdhsa_exception_fp_ieee_invalid_op 0
		.amdhsa_exception_fp_denorm_src 0
		.amdhsa_exception_fp_ieee_div_zero 0
		.amdhsa_exception_fp_ieee_overflow 0
		.amdhsa_exception_fp_ieee_underflow 0
		.amdhsa_exception_fp_ieee_inexact 0
		.amdhsa_exception_int_div_zero 0
	.end_amdhsa_kernel
	.section	.text._Z39paged_attention_ll4mi_QKV_mfma16_kernelI14__hip_bfloat16hLN4vllm18Fp8KVCacheDataTypeE1ES0_Li16ELi128ELi256ELb0ELi1EL8MFMAType0EEvPKT_PKT0_S9_ifPKiSB_SB_iPKfiiiPfSE_PS4_PT2_iSD_SD_,"axG",@progbits,_Z39paged_attention_ll4mi_QKV_mfma16_kernelI14__hip_bfloat16hLN4vllm18Fp8KVCacheDataTypeE1ES0_Li16ELi128ELi256ELb0ELi1EL8MFMAType0EEvPKT_PKT0_S9_ifPKiSB_SB_iPKfiiiPfSE_PS4_PT2_iSD_SD_,comdat
.Lfunc_end1854:
	.size	_Z39paged_attention_ll4mi_QKV_mfma16_kernelI14__hip_bfloat16hLN4vllm18Fp8KVCacheDataTypeE1ES0_Li16ELi128ELi256ELb0ELi1EL8MFMAType0EEvPKT_PKT0_S9_ifPKiSB_SB_iPKfiiiPfSE_PS4_PT2_iSD_SD_, .Lfunc_end1854-_Z39paged_attention_ll4mi_QKV_mfma16_kernelI14__hip_bfloat16hLN4vllm18Fp8KVCacheDataTypeE1ES0_Li16ELi128ELi256ELb0ELi1EL8MFMAType0EEvPKT_PKT0_S9_ifPKiSB_SB_iPKfiiiPfSE_PS4_PT2_iSD_SD_
                                        ; -- End function
	.section	.AMDGPU.csdata,"",@progbits
; Kernel info:
; codeLenInByte = 8640
; NumSgprs: 68
; NumVgprs: 138
; ScratchSize: 0
; MemoryBound: 1
; FloatMode: 240
; IeeeMode: 1
; LDSByteSize: 17472 bytes/workgroup (compile time only)
; SGPRBlocks: 8
; VGPRBlocks: 17
; NumSGPRsForWavesPerEU: 68
; NumVGPRsForWavesPerEU: 138
; Occupancy: 10
; WaveLimiterHint : 1
; COMPUTE_PGM_RSRC2:SCRATCH_EN: 0
; COMPUTE_PGM_RSRC2:USER_SGPR: 13
; COMPUTE_PGM_RSRC2:TRAP_HANDLER: 0
; COMPUTE_PGM_RSRC2:TGID_X_EN: 1
; COMPUTE_PGM_RSRC2:TGID_Y_EN: 1
; COMPUTE_PGM_RSRC2:TGID_Z_EN: 1
; COMPUTE_PGM_RSRC2:TIDIG_COMP_CNT: 0
	.section	.text._Z39paged_attention_ll4mi_QKV_mfma16_kernelI14__hip_bfloat16hLN4vllm18Fp8KVCacheDataTypeE1ES0_Li16ELi128ELi256ELb0ELi2EL8MFMAType0EEvPKT_PKT0_S9_ifPKiSB_SB_iPKfiiiPfSE_PS4_PT2_iSD_SD_,"axG",@progbits,_Z39paged_attention_ll4mi_QKV_mfma16_kernelI14__hip_bfloat16hLN4vllm18Fp8KVCacheDataTypeE1ES0_Li16ELi128ELi256ELb0ELi2EL8MFMAType0EEvPKT_PKT0_S9_ifPKiSB_SB_iPKfiiiPfSE_PS4_PT2_iSD_SD_,comdat
	.protected	_Z39paged_attention_ll4mi_QKV_mfma16_kernelI14__hip_bfloat16hLN4vllm18Fp8KVCacheDataTypeE1ES0_Li16ELi128ELi256ELb0ELi2EL8MFMAType0EEvPKT_PKT0_S9_ifPKiSB_SB_iPKfiiiPfSE_PS4_PT2_iSD_SD_ ; -- Begin function _Z39paged_attention_ll4mi_QKV_mfma16_kernelI14__hip_bfloat16hLN4vllm18Fp8KVCacheDataTypeE1ES0_Li16ELi128ELi256ELb0ELi2EL8MFMAType0EEvPKT_PKT0_S9_ifPKiSB_SB_iPKfiiiPfSE_PS4_PT2_iSD_SD_
	.globl	_Z39paged_attention_ll4mi_QKV_mfma16_kernelI14__hip_bfloat16hLN4vllm18Fp8KVCacheDataTypeE1ES0_Li16ELi128ELi256ELb0ELi2EL8MFMAType0EEvPKT_PKT0_S9_ifPKiSB_SB_iPKfiiiPfSE_PS4_PT2_iSD_SD_
	.p2align	8
	.type	_Z39paged_attention_ll4mi_QKV_mfma16_kernelI14__hip_bfloat16hLN4vllm18Fp8KVCacheDataTypeE1ES0_Li16ELi128ELi256ELb0ELi2EL8MFMAType0EEvPKT_PKT0_S9_ifPKiSB_SB_iPKfiiiPfSE_PS4_PT2_iSD_SD_,@function
_Z39paged_attention_ll4mi_QKV_mfma16_kernelI14__hip_bfloat16hLN4vllm18Fp8KVCacheDataTypeE1ES0_Li16ELi128ELi256ELb0ELi2EL8MFMAType0EEvPKT_PKT0_S9_ifPKiSB_SB_iPKfiiiPfSE_PS4_PT2_iSD_SD_: ; @_Z39paged_attention_ll4mi_QKV_mfma16_kernelI14__hip_bfloat16hLN4vllm18Fp8KVCacheDataTypeE1ES0_Li16ELi128ELi256ELb0ELi2EL8MFMAType0EEvPKT_PKT0_S9_ifPKiSB_SB_iPKfiiiPfSE_PS4_PT2_iSD_SD_
; %bb.0:
	s_load_b64 s[2:3], s[0:1], 0x30
	s_mov_b32 s30, s13
	s_waitcnt lgkmcnt(0)
	s_cmp_lg_u64 s[2:3], 0
	s_cselect_b32 s6, -1, 0
	s_ashr_i32 s31, s13, 31
	s_cmp_eq_u64 s[2:3], 0
	s_cbranch_scc1 .LBB1855_3
; %bb.1:
	s_lshl_b64 s[4:5], s[30:31], 2
	s_delay_alu instid0(SALU_CYCLE_1) | instskip(SKIP_4) | instid1(SALU_CYCLE_1)
	s_add_u32 s4, s2, s4
	s_addc_u32 s5, s3, s5
	s_load_b64 s[4:5], s[4:5], 0x0
	s_waitcnt lgkmcnt(0)
	s_sub_i32 s4, s5, s4
	s_cmp_eq_u32 s4, 1
	s_cselect_b32 s4, -1, 0
	s_delay_alu instid0(SALU_CYCLE_1)
	s_and_not1_b32 vcc_lo, exec_lo, s4
	s_cbranch_vccz .LBB1855_4
.LBB1855_2:
	s_endpgm
.LBB1855_3:
.LBB1855_4:
	s_load_b64 s[8:9], s[0:1], 0x28
	s_lshl_b64 s[4:5], s[30:31], 2
	s_waitcnt lgkmcnt(0)
	s_add_u32 s8, s8, s4
	s_addc_u32 s9, s9, s5
	s_lshl_b32 s16, s14, 8
	s_load_b32 s18, s[8:9], 0x0
	s_waitcnt lgkmcnt(0)
	s_cmp_ge_i32 s16, s18
	s_cbranch_scc1 .LBB1855_2
; %bb.5:
	s_clause 0x1
	s_load_b128 s[8:11], s[0:1], 0x8
	s_load_b64 s[12:13], s[0:1], 0x20
	s_and_not1_b32 vcc_lo, exec_lo, s6
	s_cbranch_vccnz .LBB1855_7
; %bb.6:
	s_add_u32 s2, s2, s4
	s_addc_u32 s3, s3, s5
	s_load_b32 s3, s[2:3], 0x0
	s_branch .LBB1855_8
.LBB1855_7:
	s_mov_b32 s3, s30
.LBB1855_8:
	s_load_b128 s[4:7], s[0:1], 0x48
	v_and_b32_e32 v66, 15, v0
	v_bfe_u32 v65, v0, 4, 1
	s_lshl_b32 s31, s15, 1
	v_and_b32_e32 v67, 31, v0
	v_and_b32_e32 v76, 1, v0
	v_lshlrev_b32_e32 v1, 3, v66
	v_cmp_gt_u32_e64 s2, 32, v0
	v_or_b32_e32 v75, s31, v65
	v_lshlrev_b32_e32 v74, 6, v65
	s_delay_alu instid0(VALU_DEP_4)
	v_lshlrev_b32_e32 v73, 1, v1
	s_waitcnt lgkmcnt(0)
	s_and_saveexec_b32 s7, s2
	s_cbranch_execz .LBB1855_10
; %bb.9:
	s_load_b64 s[20:21], s[0:1], 0x0
	v_lshlrev_b32_e32 v1, 7, v75
	s_mul_hi_i32 s23, s3, s4
	s_mul_i32 s22, s3, s4
	v_lshlrev_b32_e32 v5, 10, v66
	s_lshl_b64 s[22:23], s[22:23], 1
	v_ashrrev_i32_e32 v2, 31, v1
	v_lshlrev_b32_e32 v6, 10, v76
	s_delay_alu instid0(VALU_DEP_3) | instskip(NEXT) | instid1(VALU_DEP_3)
	v_and_b32_e32 v5, 0x3800, v5
	v_lshlrev_b64 v[1:2], 1, v[1:2]
	s_delay_alu instid0(VALU_DEP_2) | instskip(SKIP_3) | instid1(VALU_DEP_2)
	v_or3_b32 v5, v5, v6, v74
	s_waitcnt lgkmcnt(0)
	s_add_u32 s3, s20, s22
	s_addc_u32 s4, s21, s23
	v_add_co_u32 v1, vcc_lo, s3, v1
	v_add_co_ci_u32_e32 v2, vcc_lo, s4, v2, vcc_lo
	s_delay_alu instid0(VALU_DEP_2) | instskip(NEXT) | instid1(VALU_DEP_2)
	v_add_co_u32 v1, vcc_lo, v1, v73
	v_add_co_ci_u32_e32 v2, vcc_lo, 0, v2, vcc_lo
	global_load_b128 v[1:4], v[1:2], off
	s_waitcnt vmcnt(0)
	ds_store_b128 v5, v[1:4]
.LBB1855_10:
	s_or_b32 exec_lo, exec_lo, s7
	v_and_b32_e32 v1, 0xef, v0
	s_add_i32 s3, s18, 15
	s_clause 0x1
	s_load_b32 s4, s[0:1], 0x38
	s_load_b32 s19, s[0:1], 0x1c
	s_ashr_i32 s7, s3, 31
	v_add_nc_u32_e32 v1, s16, v1
	s_lshr_b32 s7, s7, 28
	s_waitcnt lgkmcnt(0)
	s_add_i32 s3, s3, s7
	s_barrier
	v_ashrrev_i32_e32 v2, 31, v1
	v_or_b32_e32 v3, 16, v1
	s_ashr_i32 s3, s3, 4
	v_cmp_gt_i32_e32 vcc_lo, s18, v1
	s_add_i32 s3, s3, -1
	v_lshrrev_b32_e32 v2, 28, v2
	buffer_gl0_inv
	s_mul_i32 s15, s15, s6
	v_lshrrev_b32_e32 v68, 5, v0
	v_lshlrev_b32_e32 v33, 4, v66
	v_add_nc_u32_e32 v4, v1, v2
	v_lshlrev_b32_e32 v137, 6, v76
	s_mul_i32 s20, s30, s4
	s_delay_alu instid0(SALU_CYCLE_1) | instskip(NEXT) | instid1(VALU_DEP_2)
	s_ashr_i32 s21, s20, 31
	v_ashrrev_i32_e32 v4, 4, v4
	v_add_nc_u32_e32 v2, v3, v2
	s_lshl_b64 s[20:21], s[20:21], 2
	v_lshl_or_b32 v33, v68, 8, v33
	s_add_u32 s4, s12, s20
	v_cndmask_b32_e32 v1, s3, v4, vcc_lo
	v_ashrrev_i32_e32 v2, 4, v2
	v_cmp_gt_i32_e32 vcc_lo, s18, v3
	s_addc_u32 s7, s13, s21
	s_ashr_i32 s6, s15, 31
	s_add_u32 s17, s8, s15
	s_addc_u32 s28, s9, s6
	v_cndmask_b32_e32 v3, s3, v2, vcc_lo
	v_ashrrev_i32_e32 v2, 31, v1
	s_lshl_b32 s8, s14, 4
	s_delay_alu instid0(SALU_CYCLE_1) | instskip(NEXT) | instid1(VALU_DEP_2)
	s_ashr_i32 s9, s8, 31
	v_ashrrev_i32_e32 v4, 31, v3
	s_delay_alu instid0(VALU_DEP_2) | instskip(SKIP_1) | instid1(SALU_CYCLE_1)
	v_lshlrev_b64 v[1:2], 2, v[1:2]
	s_lshl_b64 s[8:9], s[8:9], 2
	s_add_u32 s8, s4, s8
	s_delay_alu instid0(VALU_DEP_2) | instskip(SKIP_1) | instid1(VALU_DEP_2)
	v_lshlrev_b64 v[3:4], 2, v[3:4]
	s_addc_u32 s9, s7, s9
	v_add_co_u32 v1, vcc_lo, s4, v1
	v_add_co_ci_u32_e32 v2, vcc_lo, s7, v2, vcc_lo
	s_delay_alu instid0(VALU_DEP_3) | instskip(NEXT) | instid1(VALU_DEP_4)
	v_add_co_u32 v3, vcc_lo, s4, v3
	v_add_co_ci_u32_e32 v4, vcc_lo, s7, v4, vcc_lo
	s_clause 0x1
	global_load_b32 v5, v[1:2], off
	global_load_b32 v3, v[3:4], off
	s_or_b32 s12, s16, 32
	v_lshlrev_b32_e32 v1, 4, v0
	s_ashr_i32 s13, s12, 4
	s_cmp_lt_i32 s12, s18
	s_cselect_b32 s12, s13, s3
	s_delay_alu instid0(VALU_DEP_1) | instskip(SKIP_1) | instid1(SALU_CYCLE_1)
	v_and_b32_e32 v1, 0xf0, v1
	s_ashr_i32 s13, s12, 31
	s_lshl_b64 s[12:13], s[12:13], 2
	s_delay_alu instid0(SALU_CYCLE_1)
	s_add_u32 s12, s4, s12
	s_addc_u32 s13, s7, s13
	s_or_b32 s20, s16, 64
	v_add_co_u32 v1, s17, s17, v1
	s_ashr_i32 s21, s20, 4
	s_cmp_lt_i32 s20, s18
	v_add_co_ci_u32_e64 v2, null, s28, 0, s17
	s_cselect_b32 s20, s21, s3
	s_delay_alu instid0(SALU_CYCLE_1) | instskip(NEXT) | instid1(SALU_CYCLE_1)
	s_ashr_i32 s21, s20, 31
	s_lshl_b64 s[20:21], s[20:21], 2
	s_delay_alu instid0(SALU_CYCLE_1) | instskip(SKIP_2) | instid1(SALU_CYCLE_1)
	s_add_u32 s20, s4, s20
	s_addc_u32 s21, s7, s21
	s_or_b32 s22, s16, 0x60
	s_ashr_i32 s23, s22, 4
	s_cmp_lt_i32 s22, s18
	s_cselect_b32 s22, s23, s3
	s_delay_alu instid0(SALU_CYCLE_1) | instskip(NEXT) | instid1(SALU_CYCLE_1)
	s_ashr_i32 s23, s22, 31
	s_lshl_b64 s[22:23], s[22:23], 2
	s_delay_alu instid0(SALU_CYCLE_1) | instskip(SKIP_2) | instid1(SALU_CYCLE_1)
	s_add_u32 s22, s4, s22
	s_addc_u32 s23, s7, s23
	s_or_b32 s24, s16, 0x80
	s_ashr_i32 s25, s24, 4
	s_cmp_lt_i32 s24, s18
	;; [unrolled: 10-line block ×3, first 2 shown]
	s_cselect_b32 s26, s27, s3
	s_delay_alu instid0(SALU_CYCLE_1) | instskip(NEXT) | instid1(SALU_CYCLE_1)
	s_ashr_i32 s27, s26, 31
	s_lshl_b64 s[26:27], s[26:27], 2
	s_delay_alu instid0(SALU_CYCLE_1)
	s_add_u32 s26, s4, s26
	s_addc_u32 s27, s7, s27
	s_clause 0x5
	s_load_b32 s17, s[8:9], 0x0
	s_load_b32 s28, s[12:13], 0x0
	;; [unrolled: 1-line block ×6, first 2 shown]
	s_or_b32 s8, s16, 0xc0
	s_mov_b32 s20, 0
	s_ashr_i32 s9, s8, 4
	s_cmp_lt_i32 s8, s18
	s_mov_b32 s27, s20
	s_cselect_b32 s8, s9, s3
	s_mov_b32 s21, s20
	s_ashr_i32 s9, s8, 31
	s_mov_b32 s22, s20
	s_lshl_b64 s[8:9], s[8:9], 2
	s_mov_b32 s23, s20
	s_add_u32 s8, s4, s8
	s_addc_u32 s9, s7, s9
	s_or_b32 s12, s16, 0xe0
	s_mov_b32 s24, s20
	s_ashr_i32 s13, s12, 4
	s_cmp_lt_i32 s12, s18
	s_mov_b32 s25, s20
	s_cselect_b32 s12, s13, s3
	s_mov_b32 s26, s20
	s_ashr_i32 s13, s12, 31
	v_mov_b32_e32 v108, s27
	v_mov_b32_e32 v102, s21
	s_lshl_b64 s[12:13], s[12:13], 2
	v_mov_b32_e32 v107, s26
	s_add_u32 s12, s4, s12
	s_addc_u32 s13, s7, s13
	s_add_u32 s3, s10, s15
	s_addc_u32 s4, s11, s6
	v_add_co_u32 v69, s3, s3, v33
	s_delay_alu instid0(VALU_DEP_1)
	v_add_co_ci_u32_e64 v70, null, s4, 0, s3
	v_dual_mov_b32 v106, s25 :: v_dual_mov_b32 v105, s24
	v_dual_mov_b32 v104, s23 :: v_dual_mov_b32 v103, s22
	v_mov_b32_e32 v101, s20
	s_waitcnt lgkmcnt(0)
	v_mad_i64_i32 v[33:34], null, s17, s5, v[69:70]
	v_mad_i64_i32 v[71:72], null, s29, s5, v[69:70]
	;; [unrolled: 1-line block ×5, first 2 shown]
	s_waitcnt vmcnt(1)
	v_mad_i64_i32 v[25:26], null, v5, s5, v[1:2]
	s_waitcnt vmcnt(0)
	v_mad_i64_i32 v[27:28], null, v3, s5, v[1:2]
	s_clause 0xf
	global_load_b128 v[1:4], v[25:26], off
	global_load_b128 v[5:8], v[25:26], off offset:256
	global_load_b128 v[9:12], v[27:28], off
	global_load_b128 v[13:16], v[27:28], off offset:256
	global_load_b128 v[17:20], v[25:26], off offset:512
	;; [unrolled: 1-line block ×13, first 2 shown]
	ds_load_b128 v[25:28], v137
	ds_load_b128 v[29:32], v137 offset:1024
	ds_load_b128 v[109:112], v137 offset:2048
	;; [unrolled: 1-line block ×5, first 2 shown]
	s_clause 0x1
	s_load_b32 s3, s[8:9], 0x0
	s_load_b32 s4, s[12:13], 0x0
	s_clause 0x3
	global_load_b128 v[41:44], v[33:34], off
	global_load_b128 v[45:48], v[33:34], off offset:16
	global_load_b128 v[33:36], v[37:38], off
	global_load_b128 v[37:40], v[37:38], off offset:16
	s_waitcnt vmcnt(18) lgkmcnt(0)
	v_wmma_f32_16x16x16_bf16 v[125:132], v[1:8], v[25:32], v[101:108]
	s_waitcnt vmcnt(16)
	v_wmma_f32_16x16x16_bf16 v[101:108], v[9:16], v[25:32], v[101:108]
	v_mad_i64_i32 v[13:14], null, s35, s5, v[69:70]
	s_waitcnt vmcnt(14)
	v_wmma_f32_16x16x16_bf16 v[125:132], v[17:24], v[109:116], v[125:132]
	s_clause 0x1
	global_load_b128 v[25:28], v[71:72], off
	global_load_b128 v[29:32], v[71:72], off offset:16
	s_waitcnt vmcnt(14)
	v_wmma_f32_16x16x16_bf16 v[101:108], v[49:56], v[109:116], v[101:108]
	v_mad_i64_i32 v[49:50], null, s3, s5, v[69:70]
	v_mad_i64_i32 v[53:54], null, s4, s5, v[69:70]
	s_clause 0x5
	global_load_b128 v[17:20], v[133:134], off
	global_load_b128 v[21:24], v[133:134], off offset:16
	global_load_b128 v[1:4], v[135:136], off
	global_load_b128 v[5:8], v[135:136], off offset:16
	;; [unrolled: 2-line block ×3, first 2 shown]
	s_waitcnt vmcnt(18)
	v_wmma_f32_16x16x16_bf16 v[125:132], v[57:64], v[117:124], v[125:132]
	s_clause 0x3
	global_load_b128 v[57:60], v[49:50], off
	global_load_b128 v[61:64], v[49:50], off offset:16
	global_load_b128 v[49:52], v[53:54], off
	global_load_b128 v[53:56], v[53:54], off offset:16
	v_mbcnt_lo_u32_b32 v70, -1, 0
	s_waitcnt vmcnt(20)
	v_wmma_f32_16x16x16_bf16 v[101:108], v[77:84], v[117:124], v[101:108]
	s_delay_alu instid0(VALU_DEP_2) | instskip(NEXT) | instid1(VALU_DEP_1)
	v_xor_b32_e32 v71, 16, v70
	v_cmp_gt_i32_e32 vcc_lo, 32, v71
	v_cndmask_b32_e32 v70, v70, v71, vcc_lo
	ds_load_b128 v[77:80], v137 offset:6144
	ds_load_b128 v[81:84], v137 offset:7168
	s_waitcnt vmcnt(0) lgkmcnt(0)
	s_barrier
	buffer_gl0_inv
	v_wmma_f32_16x16x16_bf16 v[101:108], v[93:100], v[77:84], v[101:108]
	v_and_b32_e32 v69, 0xe0, v0
	v_wmma_f32_16x16x16_bf16 v[125:132], v[85:92], v[77:84], v[125:132]
	s_delay_alu instid0(VALU_DEP_3) | instskip(NEXT) | instid1(VALU_DEP_3)
	v_mul_f32_e32 v96, s19, v101
	v_dual_mul_f32 v98, s19, v103 :: v_dual_add_nc_u32 v69, s16, v69
	s_delay_alu instid0(VALU_DEP_3) | instskip(SKIP_1) | instid1(VALU_DEP_3)
	v_dual_mul_f32 v80, s19, v126 :: v_dual_mul_f32 v81, s19, v128
	v_mul_f32_e32 v100, s19, v105
	v_or_b32_e32 v69, v69, v65
	v_dual_mul_f32 v82, s19, v127 :: v_dual_mul_f32 v83, s19, v130
	v_dual_mul_f32 v84, s19, v129 :: v_dual_mul_f32 v93, s19, v132
	s_delay_alu instid0(VALU_DEP_3)
	v_or_b32_e32 v71, 2, v69
	v_or_b32_e32 v72, 4, v69
	;; [unrolled: 1-line block ×3, first 2 shown]
	v_cmp_gt_i32_e64 s3, s18, v69
	v_or_b32_e32 v110, 8, v69
	v_cmp_gt_i32_e32 vcc_lo, s18, v71
	v_mul_f32_e32 v71, s19, v125
	v_or_b32_e32 v85, 10, v69
	v_or_b32_e32 v91, 22, v69
	v_cmp_gt_i32_e64 s4, s18, v72
	v_mul_f32_e32 v72, s19, v107
	v_cndmask_b32_e64 v71, 0xff7fffff, v71, s3
	v_cndmask_b32_e32 v80, 0xff7fffff, v80, vcc_lo
	v_cmp_gt_i32_e64 s5, s18, v109
	v_or_b32_e32 v86, 12, v69
	v_or_b32_e32 v87, 14, v69
	v_cndmask_b32_e64 v82, 0xff7fffff, v82, s4
	v_cmp_gt_i32_e64 s6, s18, v110
	v_cndmask_b32_e64 v81, 0xff7fffff, v81, s5
	v_cmp_gt_i32_e64 s7, s18, v85
	v_cmp_gt_i32_e64 s13, s18, v91
	v_lshlrev_b32_e32 v91, 2, v70
	v_max3_f32 v71, v71, 0xff7fffff, v80
	v_or_b32_e32 v88, 16, v69
	v_or_b32_e32 v89, 18, v69
	v_mul_f32_e32 v94, s19, v131
	v_cndmask_b32_e64 v80, 0xff7fffff, v84, s6
	v_cndmask_b32_e64 v83, 0xff7fffff, v83, s7
	v_max3_f32 v71, v71, v82, v81
	v_cmp_gt_i32_e64 s8, s18, v86
	v_cmp_gt_i32_e64 s9, s18, v87
	v_or_b32_e32 v90, 20, v69
	v_mul_f32_e32 v95, s19, v102
	v_max3_f32 v71, v71, v80, v83
	v_cndmask_b32_e64 v81, 0xff7fffff, v94, s8
	v_cndmask_b32_e64 v82, 0xff7fffff, v93, s9
	v_cmp_gt_i32_e64 s10, s18, v88
	v_cmp_gt_i32_e64 s11, s18, v89
	v_or_b32_e32 v92, 24, v69
	v_or_b32_e32 v77, 26, v69
	v_mul_f32_e32 v97, s19, v104
	v_cndmask_b32_e64 v80, 0xff7fffff, v96, s10
	v_cndmask_b32_e64 v83, 0xff7fffff, v95, s11
	v_max3_f32 v71, v71, v81, v82
	v_cmp_gt_i32_e64 s12, s18, v90
	v_or_b32_e32 v78, 28, v69
	v_or_b32_e32 v79, 30, v69
	v_mul_f32_e32 v99, s19, v106
	v_cndmask_b32_e64 v82, 0xff7fffff, v97, s13
	v_cndmask_b32_e64 v81, 0xff7fffff, v98, s12
	v_max3_f32 v71, v71, v80, v83
	v_cmp_gt_i32_e64 s15, s18, v92
	v_cmp_gt_i32_e64 s16, s18, v77
	v_mul_f32_e32 v69, s19, v108
	v_cmp_gt_i32_e64 s17, s18, v78
	v_max3_f32 v71, v71, v81, v82
	v_cndmask_b32_e64 v80, 0xff7fffff, v100, s15
	v_cndmask_b32_e64 v77, 0xff7fffff, v99, s16
	v_cmp_gt_i32_e64 s18, s18, v79
	v_cndmask_b32_e64 v72, 0xff7fffff, v72, s17
	s_delay_alu instid0(VALU_DEP_3) | instskip(NEXT) | instid1(VALU_DEP_3)
	v_max3_f32 v71, v71, v80, v77
	v_cndmask_b32_e64 v69, 0xff7fffff, v69, s18
	s_delay_alu instid0(VALU_DEP_1) | instskip(SKIP_3) | instid1(VALU_DEP_1)
	v_max3_f32 v69, v71, v72, v69
	ds_bpermute_b32 v70, v91, v69
	s_waitcnt lgkmcnt(0)
	v_max_f32_e32 v70, v70, v70
	v_max_f32_e32 v69, v69, v70
	s_delay_alu instid0(VALU_DEP_1)
	v_fma_f32 v70, s19, v125, -v69
	v_fma_f32 v71, s19, v126, -v69
	v_fma_f32 v72, s19, v127, -v69
	v_fma_f32 v77, s19, v128, -v69
	v_fma_f32 v78, s19, v129, -v69
	v_mul_f32_e32 v70, 0x3fb8aa3b, v70
	s_delay_alu instid0(VALU_DEP_3) | instskip(NEXT) | instid1(VALU_DEP_3)
	v_dual_mul_f32 v72, 0x3fb8aa3b, v72 :: v_dual_mul_f32 v77, 0x3fb8aa3b, v77
	v_mul_f32_e32 v78, 0x3fb8aa3b, v78
	s_delay_alu instid0(VALU_DEP_3) | instskip(NEXT) | instid1(VALU_DEP_2)
	v_exp_f32_e32 v70, v70
	v_exp_f32_e32 v72, v72
	s_delay_alu instid0(VALU_DEP_2) | instskip(NEXT) | instid1(VALU_DEP_1)
	v_exp_f32_e32 v79, v77
	v_exp_f32_e32 v78, v78
	v_cndmask_b32_e64 v81, 0, v70, s3
	v_fma_f32 v70, s19, v130, -v69
	v_mul_f32_e32 v71, 0x3fb8aa3b, v71
	s_delay_alu instid0(TRANS32_DEP_3)
	v_cndmask_b32_e64 v85, 0, v72, s4
	s_waitcnt_depctr 0xfff
	v_cndmask_b32_e64 v87, 0, v79, s5
	v_cndmask_b32_e64 v88, 0, v78, s6
	v_mul_f32_e32 v70, 0x3fb8aa3b, v70
	v_exp_f32_e32 v71, v71
	s_mov_b32 s3, exec_lo
	s_delay_alu instid0(VALU_DEP_1) | instskip(SKIP_4) | instid1(VALU_DEP_2)
	v_exp_f32_e32 v70, v70
	s_waitcnt_depctr 0xfff
	v_cndmask_b32_e32 v77, 0, v71, vcc_lo
	v_add_f32_e32 v71, 0, v81
	v_cndmask_b32_e64 v89, 0, v70, s7
	v_add_f32_e32 v71, v71, v77
	s_delay_alu instid0(VALU_DEP_1) | instskip(NEXT) | instid1(VALU_DEP_1)
	v_add_f32_e32 v71, v71, v85
	v_add_f32_e32 v71, v71, v87
	s_delay_alu instid0(VALU_DEP_1) | instskip(NEXT) | instid1(VALU_DEP_1)
	v_add_f32_e32 v70, v71, v88
	v_add_f32_e32 v70, v70, v89
	v_fma_f32 v80, s19, v131, -v69
	v_fma_f32 v72, s19, v132, -v69
	v_fma_f32 v79, s19, v101, -v69
	v_fma_f32 v78, s19, v102, -v69
	v_fma_f32 v71, s19, v103, -v69
	v_mul_f32_e32 v80, 0x3fb8aa3b, v80
	s_delay_alu instid0(VALU_DEP_4) | instskip(NEXT) | instid1(VALU_DEP_3)
	v_dual_mul_f32 v72, 0x3fb8aa3b, v72 :: v_dual_mul_f32 v79, 0x3fb8aa3b, v79
	v_dual_mul_f32 v78, 0x3fb8aa3b, v78 :: v_dual_mul_f32 v71, 0x3fb8aa3b, v71
	s_delay_alu instid0(VALU_DEP_3) | instskip(NEXT) | instid1(VALU_DEP_2)
	v_exp_f32_e32 v80, v80
	v_exp_f32_e32 v72, v72
	s_delay_alu instid0(VALU_DEP_2) | instskip(NEXT) | instid1(VALU_DEP_1)
	v_exp_f32_e32 v79, v79
	v_exp_f32_e32 v78, v78
	;; [unrolled: 1-line block ×3, first 2 shown]
	v_fma_f32 v83, s19, v106, -v69
	v_cndmask_b32_e64 v86, 0, v80, s8
	v_fma_f32 v80, s19, v104, -v69
	v_cndmask_b32_e64 v90, 0, v72, s9
	v_fma_f32 v72, s19, v105, -v69
	s_delay_alu instid0(TRANS32_DEP_3) | instskip(SKIP_2) | instid1(VALU_DEP_2)
	v_cndmask_b32_e64 v71, 0, v79, s10
	v_add_f32_e32 v70, v70, v86
	v_dual_mul_f32 v80, 0x3fb8aa3b, v80 :: v_dual_mul_f32 v83, 0x3fb8aa3b, v83
	v_dual_mul_f32 v72, 0x3fb8aa3b, v72 :: v_dual_add_f32 v79, v70, v90
	s_delay_alu instid0(VALU_DEP_2) | instskip(SKIP_1) | instid1(VALU_DEP_2)
	v_exp_f32_e32 v80, v80
	v_cndmask_b32_e64 v70, 0, v78, s11
	v_exp_f32_e32 v84, v72
	v_cndmask_b32_e64 v72, 0, v82, s12
	v_add_f32_e32 v78, v79, v71
	v_fma_f32 v79, s19, v107, -v69
	v_exp_f32_e32 v83, v83
	s_delay_alu instid0(VALU_DEP_1) | instskip(NEXT) | instid1(TRANS32_DEP_3)
	v_dual_add_f32 v82, v78, v70 :: v_dual_mul_f32 v79, 0x3fb8aa3b, v79
	v_cndmask_b32_e64 v78, 0, v80, s13
	s_delay_alu instid0(VALU_DEP_2) | instskip(SKIP_1) | instid1(VALU_DEP_4)
	v_add_f32_e32 v80, v82, v72
	v_fma_f32 v82, s19, v108, -v69
	v_exp_f32_e32 v92, v79
	v_cndmask_b32_e64 v79, 0, v84, s15
	s_delay_alu instid0(VALU_DEP_3) | instskip(NEXT) | instid1(VALU_DEP_3)
	v_add_f32_e32 v84, v80, v78
	v_mul_f32_e32 v82, 0x3fb8aa3b, v82
	s_delay_alu instid0(TRANS32_DEP_2) | instskip(NEXT) | instid1(VALU_DEP_3)
	v_cndmask_b32_e64 v80, 0, v83, s16
	v_add_f32_e32 v83, v84, v79
	s_delay_alu instid0(VALU_DEP_3) | instskip(NEXT) | instid1(TRANS32_DEP_2)
	v_exp_f32_e32 v84, v82
	v_cndmask_b32_e64 v82, 0, v92, s17
	s_delay_alu instid0(VALU_DEP_2) | instskip(NEXT) | instid1(VALU_DEP_1)
	v_add_f32_e32 v83, v83, v80
	v_add_f32_e32 v92, v83, v82
	s_waitcnt_depctr 0xfff
	v_cndmask_b32_e64 v83, 0, v84, s18
	s_delay_alu instid0(VALU_DEP_1)
	v_add_f32_e32 v84, v92, v83
	ds_bpermute_b32 v91, v91, v84
	v_cmpx_gt_u32_e32 16, v67
	s_cbranch_execz .LBB1855_12
; %bb.11:
	v_mul_u32_u24_e32 v67, 0x44, v68
	s_waitcnt lgkmcnt(0)
	v_add_f32_e32 v84, v84, v91
	s_delay_alu instid0(VALU_DEP_2) | instskip(NEXT) | instid1(VALU_DEP_1)
	v_lshl_add_u32 v67, v66, 2, v67
	v_add_nc_u32_e32 v67, 0x4000, v67
	ds_store_2addr_b32 v67, v69, v84 offset1:136
.LBB1855_12:
	s_or_b32 exec_lo, exec_lo, s3
	v_lshlrev_b32_e32 v67, 2, v66
	s_waitcnt lgkmcnt(0)
	s_barrier
	buffer_gl0_inv
	v_cmp_eq_u32_e32 vcc_lo, 1, v68
	v_add_nc_u32_e32 v84, 0x4000, v67
	v_cmp_eq_u32_e64 s3, 2, v68
	v_cmp_eq_u32_e64 s5, 7, v68
	ds_load_2addr_b32 v[91:92], v84 offset1:17
	ds_load_2addr_b32 v[93:94], v84 offset0:34 offset1:51
	ds_load_2addr_b32 v[95:96], v84 offset0:68 offset1:85
	;; [unrolled: 1-line block ×4, first 2 shown]
	s_waitcnt lgkmcnt(4)
	v_max3_f32 v67, v91, 0xff7fffff, v92
	s_waitcnt lgkmcnt(3)
	s_delay_alu instid0(VALU_DEP_1) | instskip(SKIP_1) | instid1(VALU_DEP_1)
	v_max3_f32 v67, v67, v93, v94
	s_waitcnt lgkmcnt(2)
	v_max3_f32 v67, v67, v95, v96
	s_waitcnt lgkmcnt(1)
	s_delay_alu instid0(VALU_DEP_1) | instskip(NEXT) | instid1(VALU_DEP_1)
	v_max3_f32 v67, v67, v97, v98
	v_sub_f32_e32 v69, v91, v67
	v_sub_f32_e32 v101, v92, v67
	;; [unrolled: 1-line block ×4, first 2 shown]
	s_delay_alu instid0(VALU_DEP_4) | instskip(NEXT) | instid1(VALU_DEP_4)
	v_mul_f32_e32 v69, 0x3fb8aa3b, v69
	v_mul_f32_e32 v101, 0x3fb8aa3b, v101
	s_delay_alu instid0(VALU_DEP_4) | instskip(NEXT) | instid1(VALU_DEP_4)
	v_mul_f32_e32 v103, 0x3fb8aa3b, v93
	v_mul_f32_e32 v105, 0x3fb8aa3b, v95
	s_delay_alu instid0(VALU_DEP_4) | instskip(SKIP_3) | instid1(VALU_DEP_1)
	v_exp_f32_e32 v102, v69
	v_sub_f32_e32 v69, v94, v67
	v_exp_f32_e32 v101, v101
	v_exp_f32_e32 v103, v103
	v_mul_f32_e32 v104, 0x3fb8aa3b, v69
	s_waitcnt lgkmcnt(0)
	s_delay_alu instid0(TRANS32_DEP_3) | instskip(SKIP_1) | instid1(VALU_DEP_3)
	v_fma_f32 v69, v102, v99, 0
	v_sub_f32_e32 v99, v96, v67
	v_exp_f32_e32 v104, v104
	s_delay_alu instid0(TRANS32_DEP_3) | instid1(VALU_DEP_2)
	v_fmac_f32_e32 v69, v101, v100
	ds_load_2addr_b32 v[91:92], v84 offset0:170 offset1:187
	ds_load_2addr_b32 v[93:94], v84 offset0:204 offset1:221
	;; [unrolled: 1-line block ×3, first 2 shown]
	v_sub_f32_e32 v84, v97, v67
	v_mul_f32_e32 v97, 0x3fb8aa3b, v99
	v_exp_f32_e32 v99, v105
	s_waitcnt lgkmcnt(0)
	s_barrier
	v_mul_f32_e32 v84, 0x3fb8aa3b, v84
	v_exp_f32_e32 v97, v97
	buffer_gl0_inv
	v_exp_f32_e32 v84, v84
	v_fmac_f32_e32 v69, v103, v91
	v_sub_f32_e32 v91, v98, v67
	s_delay_alu instid0(VALU_DEP_2) | instskip(NEXT) | instid1(VALU_DEP_2)
	v_fmac_f32_e32 v69, v104, v92
	v_mul_f32_e32 v91, 0x3fb8aa3b, v91
	s_delay_alu instid0(VALU_DEP_2) | instskip(NEXT) | instid1(VALU_DEP_2)
	v_fmac_f32_e32 v69, v99, v93
	v_exp_f32_e32 v91, v91
	s_delay_alu instid0(VALU_DEP_1)
	v_fmac_f32_e32 v69, v97, v94
	s_delay_alu instid0(TRANS32_DEP_2) | instid1(VALU_DEP_1)
	v_fmac_f32_e32 v69, v84, v95
	s_waitcnt_depctr 0xfff
	v_fmac_f32_e32 v69, v91, v96
	s_delay_alu instid0(VALU_DEP_1) | instskip(NEXT) | instid1(VALU_DEP_1)
	v_add_f32_e32 v92, 0x358637bd, v69
	v_div_scale_f32 v93, null, v92, v92, 1.0
	v_div_scale_f32 v96, s4, 1.0, v92, 1.0
	s_delay_alu instid0(VALU_DEP_2) | instskip(SKIP_2) | instid1(VALU_DEP_1)
	v_rcp_f32_e32 v94, v93
	s_waitcnt_depctr 0xfff
	v_fma_f32 v95, -v93, v94, 1.0
	v_dual_fmac_f32 v94, v95, v94 :: v_dual_cndmask_b32 v95, v102, v101
	v_cmp_eq_u32_e32 vcc_lo, 3, v68
	s_delay_alu instid0(VALU_DEP_2) | instskip(NEXT) | instid1(VALU_DEP_3)
	v_mul_f32_e32 v98, v96, v94
	v_cndmask_b32_e64 v95, v95, v103, s3
	v_cmp_eq_u32_e64 s3, 4, v68
	s_delay_alu instid0(VALU_DEP_3) | instskip(NEXT) | instid1(VALU_DEP_3)
	v_fma_f32 v100, -v93, v98, v96
	v_cndmask_b32_e32 v95, v95, v104, vcc_lo
	v_cmp_eq_u32_e32 vcc_lo, 5, v68
	s_delay_alu instid0(VALU_DEP_3) | instskip(NEXT) | instid1(VALU_DEP_3)
	v_fmac_f32_e32 v98, v100, v94
	v_cndmask_b32_e64 v95, v95, v99, s3
	v_cmp_eq_u32_e64 s3, 6, v68
	s_delay_alu instid0(VALU_DEP_3) | instskip(NEXT) | instid1(VALU_DEP_3)
	v_fma_f32 v93, -v93, v98, v96
	v_cndmask_b32_e32 v95, v95, v97, vcc_lo
	s_mov_b32 vcc_lo, s4
	s_delay_alu instid0(VALU_DEP_2) | instskip(NEXT) | instid1(VALU_DEP_2)
	v_div_fmas_f32 v93, v93, v94, v98
	v_cndmask_b32_e64 v84, v95, v84, s3
	s_mov_b32 s3, exec_lo
	s_delay_alu instid0(VALU_DEP_2) | instskip(NEXT) | instid1(VALU_DEP_2)
	v_div_fixup_f32 v92, v93, v92, 1.0
	v_cndmask_b32_e64 v84, v84, v91, s5
	s_delay_alu instid0(VALU_DEP_1) | instskip(NEXT) | instid1(VALU_DEP_1)
	v_mul_f32_e32 v84, v84, v92
	v_mul_f32_e32 v92, v84, v81
	v_mul_f32_e32 v81, v84, v90
	v_mul_f32_e32 v86, v84, v86
	v_mul_f32_e32 v89, v84, v89
	v_mul_f32_e32 v90, v84, v88
	v_dual_mul_f32 v88, v84, v85 :: v_dual_and_b32 v93, 0x7f800000, v92
	v_mul_f32_e32 v91, v84, v87
	v_mul_f32_e32 v87, v84, v77
                                        ; implicit-def: $vgpr77
	s_delay_alu instid0(VALU_DEP_3)
	v_cmpx_ne_u32_e32 0x7f800000, v93
	s_xor_b32 s3, exec_lo, s3
; %bb.13:
	v_bfe_u32 v77, v92, 16, 1
	s_delay_alu instid0(VALU_DEP_1)
	v_add3_u32 v77, v92, v77, 0x7fff
                                        ; implicit-def: $vgpr92
; %bb.14:
	s_and_not1_saveexec_b32 s3, s3
; %bb.15:
	v_and_b32_e32 v77, 0xffff, v92
	v_or_b32_e32 v85, 0x10000, v92
	s_delay_alu instid0(VALU_DEP_2) | instskip(NEXT) | instid1(VALU_DEP_2)
	v_cmp_eq_u32_e32 vcc_lo, 0, v77
	v_cndmask_b32_e32 v77, v85, v92, vcc_lo
; %bb.16:
	s_or_b32 exec_lo, exec_lo, s3
	v_and_b32_e32 v85, 0x7f800000, v87
	s_delay_alu instid0(VALU_DEP_1) | instskip(SKIP_1) | instid1(SALU_CYCLE_1)
	v_cmp_ne_u32_e32 vcc_lo, 0x7f800000, v85
                                        ; implicit-def: $vgpr85
	s_and_saveexec_b32 s3, vcc_lo
	s_xor_b32 s3, exec_lo, s3
; %bb.17:
	v_bfe_u32 v85, v87, 16, 1
	s_delay_alu instid0(VALU_DEP_1)
	v_add3_u32 v85, v87, v85, 0x7fff
                                        ; implicit-def: $vgpr87
; %bb.18:
	s_and_not1_saveexec_b32 s3, s3
; %bb.19:
	v_and_b32_e32 v85, 0xffff, v87
	v_or_b32_e32 v92, 0x10000, v87
	s_delay_alu instid0(VALU_DEP_2) | instskip(NEXT) | instid1(VALU_DEP_2)
	v_cmp_eq_u32_e32 vcc_lo, 0, v85
	v_cndmask_b32_e32 v85, v92, v87, vcc_lo
; %bb.20:
	s_or_b32 exec_lo, exec_lo, s3
	v_and_b32_e32 v87, 0x7f800000, v88
	s_delay_alu instid0(VALU_DEP_1) | instskip(SKIP_1) | instid1(SALU_CYCLE_1)
	v_cmp_ne_u32_e32 vcc_lo, 0x7f800000, v87
                                        ; implicit-def: $vgpr87
	s_and_saveexec_b32 s3, vcc_lo
	s_xor_b32 s3, exec_lo, s3
; %bb.21:
	v_bfe_u32 v87, v88, 16, 1
	s_delay_alu instid0(VALU_DEP_1)
	v_add3_u32 v87, v88, v87, 0x7fff
                                        ; implicit-def: $vgpr88
; %bb.22:
	s_and_not1_saveexec_b32 s3, s3
; %bb.23:
	v_and_b32_e32 v87, 0xffff, v88
	v_or_b32_e32 v92, 0x10000, v88
	s_delay_alu instid0(VALU_DEP_2) | instskip(NEXT) | instid1(VALU_DEP_2)
	v_cmp_eq_u32_e32 vcc_lo, 0, v87
	v_cndmask_b32_e32 v87, v92, v88, vcc_lo
; %bb.24:
	s_or_b32 exec_lo, exec_lo, s3
	v_and_b32_e32 v88, 0x7f800000, v91
	s_delay_alu instid0(VALU_DEP_1) | instskip(SKIP_1) | instid1(SALU_CYCLE_1)
	v_cmp_ne_u32_e32 vcc_lo, 0x7f800000, v88
                                        ; implicit-def: $vgpr88
	s_and_saveexec_b32 s3, vcc_lo
	s_xor_b32 s3, exec_lo, s3
; %bb.25:
	v_bfe_u32 v88, v91, 16, 1
	s_delay_alu instid0(VALU_DEP_1)
	v_add3_u32 v88, v91, v88, 0x7fff
                                        ; implicit-def: $vgpr91
; %bb.26:
	s_and_not1_saveexec_b32 s3, s3
; %bb.27:
	v_and_b32_e32 v88, 0xffff, v91
	v_or_b32_e32 v92, 0x10000, v91
	s_delay_alu instid0(VALU_DEP_2) | instskip(NEXT) | instid1(VALU_DEP_2)
	v_cmp_eq_u32_e32 vcc_lo, 0, v88
	v_cndmask_b32_e32 v88, v92, v91, vcc_lo
; %bb.28:
	s_or_b32 exec_lo, exec_lo, s3
	v_and_b32_e32 v91, 0x7f800000, v90
	s_delay_alu instid0(VALU_DEP_1) | instskip(SKIP_1) | instid1(SALU_CYCLE_1)
	v_cmp_ne_u32_e32 vcc_lo, 0x7f800000, v91
                                        ; implicit-def: $vgpr91
	s_and_saveexec_b32 s3, vcc_lo
	s_xor_b32 s3, exec_lo, s3
; %bb.29:
	v_bfe_u32 v91, v90, 16, 1
	s_delay_alu instid0(VALU_DEP_1)
	v_add3_u32 v91, v90, v91, 0x7fff
                                        ; implicit-def: $vgpr90
; %bb.30:
	s_and_not1_saveexec_b32 s3, s3
; %bb.31:
	v_and_b32_e32 v91, 0xffff, v90
	v_or_b32_e32 v92, 0x10000, v90
	s_delay_alu instid0(VALU_DEP_2) | instskip(NEXT) | instid1(VALU_DEP_2)
	v_cmp_eq_u32_e32 vcc_lo, 0, v91
	v_cndmask_b32_e32 v91, v92, v90, vcc_lo
; %bb.32:
	s_or_b32 exec_lo, exec_lo, s3
	v_and_b32_e32 v90, 0x7f800000, v89
	s_delay_alu instid0(VALU_DEP_1) | instskip(SKIP_1) | instid1(SALU_CYCLE_1)
	v_cmp_ne_u32_e32 vcc_lo, 0x7f800000, v90
                                        ; implicit-def: $vgpr90
	s_and_saveexec_b32 s3, vcc_lo
	s_xor_b32 s3, exec_lo, s3
; %bb.33:
	v_bfe_u32 v90, v89, 16, 1
	s_delay_alu instid0(VALU_DEP_1)
	v_add3_u32 v90, v89, v90, 0x7fff
                                        ; implicit-def: $vgpr89
; %bb.34:
	s_and_not1_saveexec_b32 s3, s3
; %bb.35:
	v_and_b32_e32 v90, 0xffff, v89
	v_or_b32_e32 v92, 0x10000, v89
	s_delay_alu instid0(VALU_DEP_2) | instskip(NEXT) | instid1(VALU_DEP_2)
	v_cmp_eq_u32_e32 vcc_lo, 0, v90
	v_cndmask_b32_e32 v90, v92, v89, vcc_lo
; %bb.36:
	s_or_b32 exec_lo, exec_lo, s3
	v_and_b32_e32 v89, 0x7f800000, v86
	s_delay_alu instid0(VALU_DEP_1) | instskip(SKIP_1) | instid1(SALU_CYCLE_1)
	v_cmp_ne_u32_e32 vcc_lo, 0x7f800000, v89
                                        ; implicit-def: $vgpr89
	s_and_saveexec_b32 s3, vcc_lo
	s_xor_b32 s3, exec_lo, s3
; %bb.37:
	v_bfe_u32 v89, v86, 16, 1
	s_delay_alu instid0(VALU_DEP_1)
	v_add3_u32 v89, v86, v89, 0x7fff
                                        ; implicit-def: $vgpr86
; %bb.38:
	s_and_not1_saveexec_b32 s3, s3
; %bb.39:
	v_and_b32_e32 v89, 0xffff, v86
	v_or_b32_e32 v92, 0x10000, v86
	s_delay_alu instid0(VALU_DEP_2) | instskip(NEXT) | instid1(VALU_DEP_2)
	v_cmp_eq_u32_e32 vcc_lo, 0, v89
	v_cndmask_b32_e32 v89, v92, v86, vcc_lo
; %bb.40:
	s_or_b32 exec_lo, exec_lo, s3
	v_and_b32_e32 v86, 0x7f800000, v81
	s_delay_alu instid0(VALU_DEP_1) | instskip(SKIP_1) | instid1(SALU_CYCLE_1)
	v_cmp_ne_u32_e32 vcc_lo, 0x7f800000, v86
                                        ; implicit-def: $vgpr86
	s_and_saveexec_b32 s3, vcc_lo
	s_xor_b32 s3, exec_lo, s3
; %bb.41:
	v_bfe_u32 v86, v81, 16, 1
	s_delay_alu instid0(VALU_DEP_1)
	v_add3_u32 v86, v81, v86, 0x7fff
                                        ; implicit-def: $vgpr81
; %bb.42:
	s_and_not1_saveexec_b32 s3, s3
; %bb.43:
	v_and_b32_e32 v86, 0xffff, v81
	v_or_b32_e32 v92, 0x10000, v81
	s_delay_alu instid0(VALU_DEP_2) | instskip(NEXT) | instid1(VALU_DEP_2)
	v_cmp_eq_u32_e32 vcc_lo, 0, v86
	v_cndmask_b32_e32 v86, v92, v81, vcc_lo
; %bb.44:
	s_or_b32 exec_lo, exec_lo, s3
	s_load_b64 s[34:35], s[0:1], 0x94
	v_lshlrev_b32_e32 v93, 4, v65
	s_delay_alu instid0(VALU_DEP_2)
	v_perm_b32 v92, v86, v89, 0x7060302
	v_dual_mul_f32 v80, v84, v80 :: v_dual_lshlrev_b32 v81, 6, v66
	v_lshlrev_b32_e32 v66, 11, v68
	v_perm_b32 v89, v85, v77, 0x7060302
	v_mul_f32_e32 v85, v84, v71
	v_perm_b32 v91, v90, v91, 0x7060302
	v_perm_b32 v90, v88, v87, 0x7060302
	v_or3_b32 v77, v93, v66, v81
	v_mul_f32_e32 v66, v84, v83
	v_dual_mul_f32 v71, v84, v82 :: v_dual_and_b32 v86, 0x7f800000, v85
	v_mul_f32_e32 v79, v84, v79
	v_mul_f32_e32 v83, v84, v78
	;; [unrolled: 1-line block ×4, first 2 shown]
	s_mov_b32 s3, exec_lo
	ds_store_b128 v77, v[89:92]
                                        ; implicit-def: $vgpr70
	v_cmpx_ne_u32_e32 0x7f800000, v86
	s_xor_b32 s3, exec_lo, s3
; %bb.45:
	v_bfe_u32 v70, v85, 16, 1
	s_delay_alu instid0(VALU_DEP_1)
	v_add3_u32 v70, v85, v70, 0x7fff
                                        ; implicit-def: $vgpr85
; %bb.46:
	s_and_not1_saveexec_b32 s3, s3
; %bb.47:
	v_and_b32_e32 v70, 0xffff, v85
	v_or_b32_e32 v72, 0x10000, v85
	s_delay_alu instid0(VALU_DEP_2) | instskip(NEXT) | instid1(VALU_DEP_2)
	v_cmp_eq_u32_e32 vcc_lo, 0, v70
	v_cndmask_b32_e32 v70, v72, v85, vcc_lo
; %bb.48:
	s_or_b32 exec_lo, exec_lo, s3
	v_and_b32_e32 v72, 0x7f800000, v78
	s_delay_alu instid0(VALU_DEP_1) | instskip(SKIP_1) | instid1(SALU_CYCLE_1)
	v_cmp_ne_u32_e32 vcc_lo, 0x7f800000, v72
                                        ; implicit-def: $vgpr72
	s_and_saveexec_b32 s3, vcc_lo
	s_xor_b32 s3, exec_lo, s3
; %bb.49:
	v_bfe_u32 v72, v78, 16, 1
	s_delay_alu instid0(VALU_DEP_1)
	v_add3_u32 v72, v78, v72, 0x7fff
                                        ; implicit-def: $vgpr78
; %bb.50:
	s_and_not1_saveexec_b32 s3, s3
; %bb.51:
	v_and_b32_e32 v72, 0xffff, v78
	v_or_b32_e32 v84, 0x10000, v78
	s_delay_alu instid0(VALU_DEP_2) | instskip(NEXT) | instid1(VALU_DEP_2)
	v_cmp_eq_u32_e32 vcc_lo, 0, v72
	v_cndmask_b32_e32 v72, v84, v78, vcc_lo
; %bb.52:
	s_or_b32 exec_lo, exec_lo, s3
	v_and_b32_e32 v78, 0x7f800000, v82
	s_delay_alu instid0(VALU_DEP_1) | instskip(SKIP_1) | instid1(SALU_CYCLE_1)
	v_cmp_ne_u32_e32 vcc_lo, 0x7f800000, v78
                                        ; implicit-def: $vgpr78
	s_and_saveexec_b32 s3, vcc_lo
	s_xor_b32 s3, exec_lo, s3
; %bb.53:
	v_bfe_u32 v78, v82, 16, 1
	s_delay_alu instid0(VALU_DEP_1)
	v_add3_u32 v78, v82, v78, 0x7fff
                                        ; implicit-def: $vgpr82
; %bb.54:
	s_and_not1_saveexec_b32 s3, s3
; %bb.55:
	v_and_b32_e32 v78, 0xffff, v82
	v_or_b32_e32 v84, 0x10000, v82
	s_delay_alu instid0(VALU_DEP_2) | instskip(NEXT) | instid1(VALU_DEP_2)
	v_cmp_eq_u32_e32 vcc_lo, 0, v78
	v_cndmask_b32_e32 v78, v84, v82, vcc_lo
; %bb.56:
	s_or_b32 exec_lo, exec_lo, s3
	v_and_b32_e32 v82, 0x7f800000, v83
	s_delay_alu instid0(VALU_DEP_1) | instskip(SKIP_1) | instid1(SALU_CYCLE_1)
	v_cmp_ne_u32_e32 vcc_lo, 0x7f800000, v82
                                        ; implicit-def: $vgpr82
	s_and_saveexec_b32 s3, vcc_lo
	s_xor_b32 s3, exec_lo, s3
; %bb.57:
	v_bfe_u32 v82, v83, 16, 1
	s_delay_alu instid0(VALU_DEP_1)
	v_add3_u32 v82, v83, v82, 0x7fff
                                        ; implicit-def: $vgpr83
; %bb.58:
	s_and_not1_saveexec_b32 s3, s3
; %bb.59:
	v_and_b32_e32 v82, 0xffff, v83
	v_or_b32_e32 v84, 0x10000, v83
	s_delay_alu instid0(VALU_DEP_2) | instskip(NEXT) | instid1(VALU_DEP_2)
	v_cmp_eq_u32_e32 vcc_lo, 0, v82
	v_cndmask_b32_e32 v82, v84, v83, vcc_lo
; %bb.60:
	s_or_b32 exec_lo, exec_lo, s3
	v_and_b32_e32 v83, 0x7f800000, v79
	s_delay_alu instid0(VALU_DEP_1) | instskip(SKIP_1) | instid1(SALU_CYCLE_1)
	v_cmp_ne_u32_e32 vcc_lo, 0x7f800000, v83
                                        ; implicit-def: $vgpr83
	s_and_saveexec_b32 s3, vcc_lo
	s_xor_b32 s3, exec_lo, s3
; %bb.61:
	v_bfe_u32 v83, v79, 16, 1
	s_delay_alu instid0(VALU_DEP_1)
	v_add3_u32 v83, v79, v83, 0x7fff
                                        ; implicit-def: $vgpr79
; %bb.62:
	s_and_not1_saveexec_b32 s3, s3
; %bb.63:
	v_and_b32_e32 v83, 0xffff, v79
	v_or_b32_e32 v84, 0x10000, v79
	s_delay_alu instid0(VALU_DEP_2) | instskip(NEXT) | instid1(VALU_DEP_2)
	v_cmp_eq_u32_e32 vcc_lo, 0, v83
	v_cndmask_b32_e32 v83, v84, v79, vcc_lo
; %bb.64:
	s_or_b32 exec_lo, exec_lo, s3
	v_and_b32_e32 v79, 0x7f800000, v80
	s_delay_alu instid0(VALU_DEP_1) | instskip(SKIP_1) | instid1(SALU_CYCLE_1)
	v_cmp_ne_u32_e32 vcc_lo, 0x7f800000, v79
                                        ; implicit-def: $vgpr79
	s_and_saveexec_b32 s3, vcc_lo
	s_xor_b32 s3, exec_lo, s3
; %bb.65:
	v_bfe_u32 v79, v80, 16, 1
	s_delay_alu instid0(VALU_DEP_1)
	v_add3_u32 v79, v80, v79, 0x7fff
                                        ; implicit-def: $vgpr80
; %bb.66:
	s_and_not1_saveexec_b32 s3, s3
; %bb.67:
	v_and_b32_e32 v79, 0xffff, v80
	v_or_b32_e32 v84, 0x10000, v80
	s_delay_alu instid0(VALU_DEP_2) | instskip(NEXT) | instid1(VALU_DEP_2)
	v_cmp_eq_u32_e32 vcc_lo, 0, v79
	v_cndmask_b32_e32 v79, v84, v80, vcc_lo
; %bb.68:
	s_or_b32 exec_lo, exec_lo, s3
	v_and_b32_e32 v80, 0x7f800000, v71
	s_delay_alu instid0(VALU_DEP_1) | instskip(SKIP_1) | instid1(SALU_CYCLE_1)
	v_cmp_ne_u32_e32 vcc_lo, 0x7f800000, v80
                                        ; implicit-def: $vgpr80
	s_and_saveexec_b32 s3, vcc_lo
	s_xor_b32 s3, exec_lo, s3
; %bb.69:
	v_bfe_u32 v80, v71, 16, 1
	s_delay_alu instid0(VALU_DEP_1)
	v_add3_u32 v80, v71, v80, 0x7fff
                                        ; implicit-def: $vgpr71
; %bb.70:
	s_and_not1_saveexec_b32 s3, s3
; %bb.71:
	v_and_b32_e32 v80, 0xffff, v71
	v_or_b32_e32 v84, 0x10000, v71
	s_delay_alu instid0(VALU_DEP_2) | instskip(NEXT) | instid1(VALU_DEP_2)
	v_cmp_eq_u32_e32 vcc_lo, 0, v80
	v_cndmask_b32_e32 v80, v84, v71, vcc_lo
; %bb.72:
	s_or_b32 exec_lo, exec_lo, s3
	v_and_b32_e32 v71, 0x7f800000, v66
	s_delay_alu instid0(VALU_DEP_1) | instskip(SKIP_1) | instid1(SALU_CYCLE_1)
	v_cmp_ne_u32_e32 vcc_lo, 0x7f800000, v71
                                        ; implicit-def: $vgpr71
	s_and_saveexec_b32 s3, vcc_lo
	s_xor_b32 s3, exec_lo, s3
; %bb.73:
	v_bfe_u32 v71, v66, 16, 1
	s_delay_alu instid0(VALU_DEP_1)
	v_add3_u32 v71, v66, v71, 0x7fff
                                        ; implicit-def: $vgpr66
; %bb.74:
	s_and_not1_saveexec_b32 s3, s3
; %bb.75:
	v_and_b32_e32 v71, 0xffff, v66
	v_or_b32_e32 v84, 0x10000, v66
	s_delay_alu instid0(VALU_DEP_2) | instskip(NEXT) | instid1(VALU_DEP_2)
	v_cmp_eq_u32_e32 vcc_lo, 0, v71
	v_cndmask_b32_e32 v71, v84, v66, vcc_lo
; %bb.76:
	s_or_b32 exec_lo, exec_lo, s3
	s_delay_alu instid0(VALU_DEP_1)
	v_perm_b32 v87, v71, v80, 0x7060302
	v_perm_b32 v86, v79, v83, 0x7060302
	;; [unrolled: 1-line block ×4, first 2 shown]
	v_lshl_or_b32 v83, v68, 11, v81
	ds_store_b128 v77, v[84:87] offset:1024
	s_waitcnt lgkmcnt(0)
	s_barrier
	buffer_gl0_inv
	ds_load_b128 v[84:87], v83
	ds_load_b128 v[88:91], v83 offset:16
	s_waitcnt lgkmcnt(1)
	v_lshrrev_b32_e32 v70, 16, v87
	s_waitcnt lgkmcnt(0)
	v_lshrrev_b32_e32 v71, 16, v88
	v_lshlrev_b32_e32 v79, 2, v65
	v_lshrrev_b32_e32 v65, 16, v84
	v_lshrrev_b32_e32 v66, 16, v85
	;; [unrolled: 1-line block ×4, first 2 shown]
	v_cmp_eq_u32_e32 vcc_lo, 1, v79
	v_lshrrev_b32_e32 v100, 16, v90
	v_lshrrev_b32_e32 v101, 16, v91
	v_cndmask_b32_e32 v92, v88, v71, vcc_lo
	v_or_b32_e32 v80, 1, v79
	v_cndmask_b32_e32 v82, v84, v65, vcc_lo
	v_cmp_eq_u32_e64 s4, 2, v79
	v_cmp_eq_u32_e64 s7, 3, v79
	;; [unrolled: 1-line block ×5, first 2 shown]
	v_cndmask_b32_e64 v82, v82, v85, s4
	v_cndmask_b32_e64 v92, v92, v89, s4
	v_cmp_eq_u32_e64 s8, 3, v80
	v_cndmask_b32_e64 v93, v84, v65, s3
	v_or_b32_e32 v78, 2, v79
	v_cndmask_b32_e64 v82, v82, v66, s7
	v_cndmask_b32_e64 v92, v92, v72, s7
	;; [unrolled: 1-line block ×4, first 2 shown]
	v_cmp_eq_u32_e64 s10, 5, v79
	v_cndmask_b32_e64 v82, v82, v86, s9
	v_cndmask_b32_e64 v92, v92, v90, s9
	v_cmp_eq_u32_e64 s11, 4, v80
	v_cndmask_b32_e64 v93, v93, v66, s8
	v_cmp_eq_u32_e64 s5, 1, v78
	v_cndmask_b32_e64 v94, v94, v89, s6
	v_cndmask_b32_e64 v82, v82, v68, s10
	v_cmp_eq_u32_e64 s12, 6, v79
	v_cndmask_b32_e64 v93, v93, v86, s11
	;; [unrolled: 3-line block ×3, first 2 shown]
	v_cndmask_b32_e64 v94, v94, v72, s8
	v_cndmask_b32_e64 v82, v82, v87, s12
	v_cmp_eq_u32_e64 s15, 7, v79
	v_cndmask_b32_e64 v93, v93, v68, s13
	v_cndmask_b32_e64 v92, v92, v91, s12
	v_cmp_eq_u32_e64 s16, 6, v80
	v_cmp_eq_u32_e64 s17, 2, v78
	v_cndmask_b32_e64 v94, v94, v90, s11
	v_cndmask_b32_e64 v102, v82, v70, s15
	;; [unrolled: 1-line block ×6, first 2 shown]
	v_cmp_eq_u32_e64 s18, 7, v80
	v_cmp_eq_u32_e64 s19, 3, v78
	v_cmp_eq_u32_e64 s20, 4, v78
	v_cmp_eq_u32_e64 s22, 5, v78
	v_cndmask_b32_e64 v92, v92, v89, s17
	v_cndmask_b32_e64 v104, v93, v70, s18
	;; [unrolled: 1-line block ×4, first 2 shown]
	v_or_b32_e32 v82, 3, v79
	v_cndmask_b32_e64 v97, v92, v72, s19
	v_cmp_eq_u32_e64 s24, 6, v78
	v_cndmask_b32_e64 v105, v93, v91, s16
	v_cndmask_b32_e64 v96, v94, v86, s20
	v_cmp_eq_u32_e64 s21, 1, v82
	ds_load_b128 v[92:95], v83 offset:1024
	v_cmp_eq_u32_e64 s23, 2, v82
	v_cmp_eq_u32_e64 s25, 3, v82
	v_cndmask_b32_e64 v106, v96, v68, s22
	v_cndmask_b32_e64 v65, v84, v65, s21
	;; [unrolled: 1-line block ×3, first 2 shown]
	ds_load_b128 v[96:99], v83 offset:1040
	v_cndmask_b32_e64 v71, v88, v71, s21
	v_cmp_eq_u32_e64 s26, 4, v82
	v_cndmask_b32_e64 v65, v65, v85, s23
	v_cmp_eq_u32_e64 s28, 5, v82
	v_cmp_eq_u32_e64 s29, 6, v82
	v_cndmask_b32_e64 v71, v71, v89, s23
	v_cndmask_b32_e64 v84, v84, v100, s22
	;; [unrolled: 1-line block ×4, first 2 shown]
	v_cmp_eq_u32_e64 s27, 7, v78
	v_cndmask_b32_e64 v71, v71, v72, s25
	v_cndmask_b32_e64 v84, v84, v91, s24
	v_cndmask_b32_e64 v65, v65, v86, s26
	s_waitcnt lgkmcnt(1)
	v_lshrrev_b32_e32 v72, 16, v92
	v_lshrrev_b32_e32 v88, 16, v93
	v_cndmask_b32_e64 v71, v71, v90, s26
	v_cndmask_b32_e64 v66, v66, v70, s27
	;; [unrolled: 1-line block ×3, first 2 shown]
	v_cndmask_b32_e32 v86, v92, v72, vcc_lo
	v_cndmask_b32_e64 v89, v92, v72, s3
	v_cndmask_b32_e64 v68, v71, v100, s28
	s_waitcnt lgkmcnt(0)
	v_lshrrev_b32_e32 v71, 16, v96
	v_cndmask_b32_e64 v65, v65, v87, s29
	v_cndmask_b32_e64 v86, v86, v93, s4
	;; [unrolled: 1-line block ×4, first 2 shown]
	v_cndmask_b32_e32 v90, v96, v71, vcc_lo
	v_cmp_eq_u32_e32 vcc_lo, 7, v82
	v_cndmask_b32_e64 v86, v86, v88, s7
	v_cndmask_b32_e64 v87, v87, v88, s8
	v_lshrrev_b32_e32 v91, 16, v94
	v_cndmask_b32_e64 v89, v90, v97, s4
	v_lshrrev_b32_e32 v90, 16, v97
	v_cndmask_b32_e64 v86, v86, v94, s9
	v_dual_cndmask_b32 v65, v65, v70 :: v_dual_cndmask_b32 v68, v68, v101
	v_cndmask_b32_e64 v70, v87, v94, s11
	s_delay_alu instid0(VALU_DEP_4) | instskip(NEXT) | instid1(VALU_DEP_4)
	v_cndmask_b32_e64 v89, v89, v90, s7
	v_cndmask_b32_e64 v86, v86, v91, s10
	v_lshrrev_b32_e32 v100, 16, v98
	v_cndmask_b32_e64 v84, v84, v101, s27
	v_perm_b32 v87, v68, v65, 0x5040100
	v_cndmask_b32_e64 v89, v89, v98, s9
	v_cndmask_b32_e64 v65, v70, v91, s13
	;; [unrolled: 1-line block ×3, first 2 shown]
	v_lshrrev_b32_e32 v70, 16, v95
	v_cndmask_b32_e64 v85, v105, v101, s18
	v_cndmask_b32_e64 v89, v89, v100, s10
	v_perm_b32 v86, v84, v66, 0x5040100
	v_cndmask_b32_e64 v101, v96, v71, s5
	v_cndmask_b32_e64 v66, v68, v70, s15
	;; [unrolled: 1-line block ×8, first 2 shown]
	v_lshrrev_b32_e32 v84, 16, v99
	v_cndmask_b32_e64 v89, v89, v93, s17
	v_cndmask_b32_e64 v72, v72, v93, s23
	;; [unrolled: 1-line block ×27, first 2 shown]
	v_cndmask_b32_e32 v70, v72, v70, vcc_lo
	v_cndmask_b32_e32 v72, v88, v84, vcc_lo
	v_cndmask_b32_e64 v88, v90, v84, s27
	v_cndmask_b32_e64 v71, v71, v84, s18
	;; [unrolled: 1-line block ×3, first 2 shown]
	v_perm_b32 v85, v85, v104, 0x5040100
	v_perm_b32 v84, v103, v102, 0x5040100
	;; [unrolled: 1-line block ×6, first 2 shown]
	s_lshl_b32 s8, s35, 1
	s_mov_b32 s3, exec_lo
	ds_store_b128 v77, v[84:87]
	ds_store_b128 v77, v[88:91] offset:1024
	v_cmpx_gt_u32_e32 2, v0
	s_cbranch_execz .LBB1855_78
; %bb.77:
	v_or_b32_e32 v65, s31, v0
	s_load_b128 s[4:7], s[0:1], 0x58
	s_delay_alu instid0(VALU_DEP_1) | instskip(NEXT) | instid1(VALU_DEP_1)
	v_mad_u64_u32 v[70:71], null, s8, s30, v[65:66]
	v_mad_u64_u32 v[65:66], null, v70, s34, s[14:15]
	s_delay_alu instid0(VALU_DEP_1) | instskip(NEXT) | instid1(VALU_DEP_1)
	v_ashrrev_i32_e32 v66, 31, v65
	v_lshlrev_b64 v[65:66], 2, v[65:66]
	s_waitcnt lgkmcnt(0)
	s_delay_alu instid0(VALU_DEP_1) | instskip(NEXT) | instid1(VALU_DEP_2)
	v_add_co_u32 v70, vcc_lo, s6, v65
	v_add_co_ci_u32_e32 v71, vcc_lo, s7, v66, vcc_lo
	v_add_co_u32 v65, vcc_lo, s4, v65
	v_add_co_ci_u32_e32 v66, vcc_lo, s5, v66, vcc_lo
	global_store_b32 v[70:71], v67, off
	global_store_b32 v[65:66], v69, off
.LBB1855_78:
	s_or_b32 exec_lo, exec_lo, s3
	s_waitcnt lgkmcnt(0)
	s_waitcnt_vscnt null, 0x0
	s_barrier
	buffer_gl0_inv
	ds_load_b128 v[84:87], v81
	ds_load_b128 v[88:91], v81 offset:16
	ds_load_b128 v[96:99], v81 offset:2064
	;; [unrolled: 1-line block ×3, first 2 shown]
	v_mov_b32_e32 v65, 0
	ds_load_b128 v[104:107], v81 offset:4112
	ds_load_b128 v[100:103], v81 offset:4096
	;; [unrolled: 1-line block ×4, first 2 shown]
	v_mov_b32_e32 v66, v65
	v_mov_b32_e32 v67, v65
	;; [unrolled: 1-line block ×7, first 2 shown]
	s_waitcnt lgkmcnt(6)
	s_delay_alu instid0(VALU_DEP_1)
	v_wmma_f32_16x16x16_bf16 v[65:72], v[41:48], v[84:91], v[65:72]
	ds_load_b128 v[45:48], v81 offset:8208
	ds_load_b128 v[41:44], v81 offset:8192
	s_waitcnt lgkmcnt(6)
	v_wmma_f32_16x16x16_bf16 v[65:72], v[33:40], v[92:99], v[65:72]
	ds_load_b128 v[37:40], v81 offset:10256
	ds_load_b128 v[33:36], v81 offset:10240
	s_waitcnt lgkmcnt(6)
	;; [unrolled: 4-line block ×4, first 2 shown]
	v_wmma_f32_16x16x16_bf16 v[65:72], v[1:8], v[41:48], v[65:72]
	s_waitcnt lgkmcnt(4)
	s_delay_alu instid0(VALU_DEP_1) | instskip(SKIP_1) | instid1(VALU_DEP_1)
	v_wmma_f32_16x16x16_bf16 v[65:72], v[9:16], v[33:40], v[65:72]
	s_waitcnt lgkmcnt(2)
	v_wmma_f32_16x16x16_bf16 v[65:72], v[57:64], v[25:32], v[65:72]
	s_waitcnt lgkmcnt(0)
	s_delay_alu instid0(VALU_DEP_1) | instskip(NEXT) | instid1(VALU_DEP_1)
	v_wmma_f32_16x16x16_bf16 v[65:72], v[49:56], v[17:24], v[65:72]
	v_and_b32_e32 v1, 0x7f800000, v65
	s_delay_alu instid0(VALU_DEP_1) | instskip(SKIP_1) | instid1(SALU_CYCLE_1)
	v_cmp_ne_u32_e32 vcc_lo, 0x7f800000, v1
                                        ; implicit-def: $vgpr1
	s_and_saveexec_b32 s3, vcc_lo
	s_xor_b32 s3, exec_lo, s3
; %bb.79:
	v_bfe_u32 v1, v65, 16, 1
	s_delay_alu instid0(VALU_DEP_1)
	v_add3_u32 v1, v65, v1, 0x7fff
; %bb.80:
	s_and_not1_saveexec_b32 s3, s3
; %bb.81:
	v_and_b32_e32 v1, 0xffff, v65
	v_or_b32_e32 v2, 0x10000, v65
	s_delay_alu instid0(VALU_DEP_2) | instskip(NEXT) | instid1(VALU_DEP_2)
	v_cmp_eq_u32_e32 vcc_lo, 0, v1
	v_cndmask_b32_e32 v1, v2, v65, vcc_lo
; %bb.82:
	s_or_b32 exec_lo, exec_lo, s3
	v_and_b32_e32 v2, 0x7f800000, v66
	s_delay_alu instid0(VALU_DEP_1) | instskip(SKIP_1) | instid1(SALU_CYCLE_1)
	v_cmp_ne_u32_e32 vcc_lo, 0x7f800000, v2
                                        ; implicit-def: $vgpr2
	s_and_saveexec_b32 s3, vcc_lo
	s_xor_b32 s3, exec_lo, s3
; %bb.83:
	v_bfe_u32 v2, v66, 16, 1
	s_delay_alu instid0(VALU_DEP_1)
	v_add3_u32 v2, v66, v2, 0x7fff
; %bb.84:
	s_and_not1_saveexec_b32 s3, s3
; %bb.85:
	v_and_b32_e32 v2, 0xffff, v66
	v_or_b32_e32 v3, 0x10000, v66
	s_delay_alu instid0(VALU_DEP_2) | instskip(NEXT) | instid1(VALU_DEP_2)
	v_cmp_eq_u32_e32 vcc_lo, 0, v2
	v_cndmask_b32_e32 v2, v3, v66, vcc_lo
; %bb.86:
	s_or_b32 exec_lo, exec_lo, s3
	v_and_b32_e32 v3, 0x7f800000, v67
	s_delay_alu instid0(VALU_DEP_1) | instskip(SKIP_1) | instid1(SALU_CYCLE_1)
	v_cmp_ne_u32_e32 vcc_lo, 0x7f800000, v3
                                        ; implicit-def: $vgpr3
	s_and_saveexec_b32 s3, vcc_lo
	s_xor_b32 s3, exec_lo, s3
; %bb.87:
	v_bfe_u32 v3, v67, 16, 1
	s_delay_alu instid0(VALU_DEP_1)
	v_add3_u32 v3, v67, v3, 0x7fff
; %bb.88:
	s_and_not1_saveexec_b32 s3, s3
; %bb.89:
	v_and_b32_e32 v3, 0xffff, v67
	v_or_b32_e32 v4, 0x10000, v67
	s_delay_alu instid0(VALU_DEP_2) | instskip(NEXT) | instid1(VALU_DEP_2)
	v_cmp_eq_u32_e32 vcc_lo, 0, v3
	v_cndmask_b32_e32 v3, v4, v67, vcc_lo
; %bb.90:
	s_or_b32 exec_lo, exec_lo, s3
	v_and_b32_e32 v4, 0x7f800000, v68
	s_delay_alu instid0(VALU_DEP_1) | instskip(SKIP_1) | instid1(SALU_CYCLE_1)
	v_cmp_ne_u32_e32 vcc_lo, 0x7f800000, v4
                                        ; implicit-def: $vgpr4
	s_and_saveexec_b32 s3, vcc_lo
	s_xor_b32 s3, exec_lo, s3
; %bb.91:
	v_bfe_u32 v4, v68, 16, 1
	s_delay_alu instid0(VALU_DEP_1)
	v_add3_u32 v4, v68, v4, 0x7fff
; %bb.92:
	s_and_not1_saveexec_b32 s3, s3
; %bb.93:
	v_and_b32_e32 v4, 0xffff, v68
	v_or_b32_e32 v5, 0x10000, v68
	s_delay_alu instid0(VALU_DEP_2) | instskip(NEXT) | instid1(VALU_DEP_2)
	v_cmp_eq_u32_e32 vcc_lo, 0, v4
	v_cndmask_b32_e32 v4, v5, v68, vcc_lo
; %bb.94:
	s_or_b32 exec_lo, exec_lo, s3
	v_and_b32_e32 v5, 0x7f800000, v69
	s_delay_alu instid0(VALU_DEP_1) | instskip(SKIP_1) | instid1(SALU_CYCLE_1)
	v_cmp_ne_u32_e32 vcc_lo, 0x7f800000, v5
                                        ; implicit-def: $vgpr5
	s_and_saveexec_b32 s3, vcc_lo
	s_xor_b32 s3, exec_lo, s3
; %bb.95:
	v_bfe_u32 v5, v69, 16, 1
	s_delay_alu instid0(VALU_DEP_1)
	v_add3_u32 v5, v69, v5, 0x7fff
; %bb.96:
	s_and_not1_saveexec_b32 s3, s3
; %bb.97:
	v_and_b32_e32 v5, 0xffff, v69
	v_or_b32_e32 v6, 0x10000, v69
	s_delay_alu instid0(VALU_DEP_2) | instskip(NEXT) | instid1(VALU_DEP_2)
	v_cmp_eq_u32_e32 vcc_lo, 0, v5
	v_cndmask_b32_e32 v5, v6, v69, vcc_lo
; %bb.98:
	s_or_b32 exec_lo, exec_lo, s3
	v_and_b32_e32 v6, 0x7f800000, v70
	s_delay_alu instid0(VALU_DEP_1) | instskip(SKIP_1) | instid1(SALU_CYCLE_1)
	v_cmp_ne_u32_e32 vcc_lo, 0x7f800000, v6
                                        ; implicit-def: $vgpr6
	s_and_saveexec_b32 s3, vcc_lo
	s_xor_b32 s3, exec_lo, s3
; %bb.99:
	v_bfe_u32 v6, v70, 16, 1
	s_delay_alu instid0(VALU_DEP_1)
	v_add3_u32 v6, v70, v6, 0x7fff
; %bb.100:
	s_and_not1_saveexec_b32 s3, s3
; %bb.101:
	v_and_b32_e32 v6, 0xffff, v70
	v_or_b32_e32 v7, 0x10000, v70
	s_delay_alu instid0(VALU_DEP_2) | instskip(NEXT) | instid1(VALU_DEP_2)
	v_cmp_eq_u32_e32 vcc_lo, 0, v6
	v_cndmask_b32_e32 v6, v7, v70, vcc_lo
; %bb.102:
	s_or_b32 exec_lo, exec_lo, s3
	v_and_b32_e32 v7, 0x7f800000, v71
	s_delay_alu instid0(VALU_DEP_1) | instskip(SKIP_1) | instid1(SALU_CYCLE_1)
	v_cmp_ne_u32_e32 vcc_lo, 0x7f800000, v7
                                        ; implicit-def: $vgpr7
	s_and_saveexec_b32 s3, vcc_lo
	s_xor_b32 s3, exec_lo, s3
; %bb.103:
	v_bfe_u32 v7, v71, 16, 1
	s_delay_alu instid0(VALU_DEP_1)
	v_add3_u32 v7, v71, v7, 0x7fff
; %bb.104:
	s_and_not1_saveexec_b32 s3, s3
; %bb.105:
	v_and_b32_e32 v7, 0xffff, v71
	v_or_b32_e32 v8, 0x10000, v71
	s_delay_alu instid0(VALU_DEP_2) | instskip(NEXT) | instid1(VALU_DEP_2)
	v_cmp_eq_u32_e32 vcc_lo, 0, v7
	v_cndmask_b32_e32 v7, v8, v71, vcc_lo
; %bb.106:
	s_or_b32 exec_lo, exec_lo, s3
	v_and_b32_e32 v8, 0x7f800000, v72
	s_delay_alu instid0(VALU_DEP_1) | instskip(SKIP_1) | instid1(SALU_CYCLE_1)
	v_cmp_ne_u32_e32 vcc_lo, 0x7f800000, v8
                                        ; implicit-def: $vgpr8
	s_and_saveexec_b32 s3, vcc_lo
	s_xor_b32 s3, exec_lo, s3
; %bb.107:
	v_bfe_u32 v8, v72, 16, 1
	s_delay_alu instid0(VALU_DEP_1)
	v_add3_u32 v8, v72, v8, 0x7fff
                                        ; implicit-def: $vgpr65_vgpr66_vgpr67_vgpr68_vgpr69_vgpr70_vgpr71_vgpr72
; %bb.108:
	s_and_not1_saveexec_b32 s3, s3
; %bb.109:
	v_and_b32_e32 v8, 0xffff, v72
	v_or_b32_e32 v9, 0x10000, v72
	s_delay_alu instid0(VALU_DEP_2) | instskip(NEXT) | instid1(VALU_DEP_2)
	v_cmp_eq_u32_e32 vcc_lo, 0, v8
	v_cndmask_b32_e32 v8, v9, v72, vcc_lo
; %bb.110:
	s_or_b32 exec_lo, exec_lo, s3
	s_delay_alu instid0(VALU_DEP_1)
	v_perm_b32 v7, v8, v7, 0x7060302
	v_perm_b32 v6, v6, v5, 0x7060302
	;; [unrolled: 1-line block ×4, first 2 shown]
	s_barrier
	buffer_gl0_inv
	v_cmp_eq_u32_e32 vcc_lo, 1, v79
	ds_store_b128 v77, v[4:7]
	s_waitcnt lgkmcnt(0)
	s_barrier
	buffer_gl0_inv
	ds_load_b128 v[1:4], v83
	ds_load_b128 v[5:8], v83 offset:16
	v_cmp_eq_u32_e64 s3, 1, v80
	v_cmp_eq_u32_e64 s4, 2, v79
	;; [unrolled: 1-line block ×5, first 2 shown]
	s_waitcnt lgkmcnt(1)
	v_lshrrev_b32_e32 v9, 16, v1
	s_waitcnt lgkmcnt(0)
	v_lshrrev_b32_e32 v13, 16, v5
	v_lshrrev_b32_e32 v10, 16, v2
	;; [unrolled: 1-line block ×4, first 2 shown]
	v_cndmask_b32_e64 v19, v1, v9, s3
	v_cndmask_b32_e32 v18, v5, v13, vcc_lo
	v_cndmask_b32_e64 v20, v5, v13, s3
	v_cndmask_b32_e32 v17, v1, v9, vcc_lo
	v_cmp_eq_u32_e32 vcc_lo, 2, v80
	v_lshrrev_b32_e32 v15, 16, v7
	v_cmp_eq_u32_e64 s3, 1, v78
	v_lshrrev_b32_e32 v12, 16, v4
	v_lshrrev_b32_e32 v16, 16, v8
	v_cndmask_b32_e32 v20, v20, v6, vcc_lo
	v_cndmask_b32_e64 v17, v17, v2, s4
	v_cndmask_b32_e32 v19, v19, v2, vcc_lo
	v_cndmask_b32_e64 v18, v18, v6, s4
	v_cmp_eq_u32_e32 vcc_lo, 4, v79
	v_cmp_eq_u32_e64 s4, 3, v80
	v_cndmask_b32_e64 v17, v17, v10, s5
	v_cndmask_b32_e64 v21, v1, v9, s3
	v_cndmask_b32_e64 v18, v18, v14, s5
	v_cndmask_b32_e64 v22, v5, v13, s3
	v_cndmask_b32_e64 v19, v19, v10, s4
	v_cndmask_b32_e32 v17, v17, v3, vcc_lo
	v_cndmask_b32_e64 v20, v20, v14, s4
	v_cndmask_b32_e32 v18, v18, v7, vcc_lo
	v_cmp_eq_u32_e32 vcc_lo, 4, v80
	v_cmp_eq_u32_e64 s4, 5, v80
	v_cmp_eq_u32_e64 s3, 2, v82
	v_cndmask_b32_e64 v21, v21, v2, s7
	v_cmp_eq_u32_e64 s5, 5, v79
	v_cndmask_b32_e32 v19, v19, v3, vcc_lo
	v_cndmask_b32_e32 v20, v20, v7, vcc_lo
	v_cmp_eq_u32_e32 vcc_lo, 6, v80
	s_delay_alu instid0(VALU_DEP_4) | instskip(NEXT) | instid1(VALU_DEP_4)
	v_cndmask_b32_e64 v17, v17, v11, s5
	v_cndmask_b32_e64 v19, v19, v11, s4
	s_delay_alu instid0(VALU_DEP_4) | instskip(SKIP_1) | instid1(VALU_DEP_3)
	v_cndmask_b32_e64 v20, v20, v15, s4
	v_cmp_eq_u32_e64 s4, 1, v82
	v_cndmask_b32_e32 v19, v19, v4, vcc_lo
	v_cndmask_b32_e64 v18, v18, v15, s5
	s_delay_alu instid0(VALU_DEP_3)
	v_cndmask_b32_e64 v1, v1, v9, s4
	v_cndmask_b32_e64 v5, v5, v13, s4
	v_cmp_eq_u32_e64 s4, 3, v78
	v_cndmask_b32_e64 v13, v22, v6, s7
	v_cmp_eq_u32_e64 s7, 3, v82
	v_cndmask_b32_e64 v1, v1, v2, s3
	v_cndmask_b32_e64 v2, v5, v6, s3
	;; [unrolled: 1-line block ×3, first 2 shown]
	v_cmp_eq_u32_e64 s3, 4, v78
	v_cndmask_b32_e64 v6, v13, v14, s4
	v_cndmask_b32_e64 v1, v1, v10, s7
	v_cmp_eq_u32_e64 s4, 4, v82
	v_cndmask_b32_e64 v2, v2, v14, s7
	v_cndmask_b32_e64 v5, v9, v3, s3
	;; [unrolled: 3-line block ×3, first 2 shown]
	v_cndmask_b32_e64 v2, v2, v7, s4
	v_cmp_eq_u32_e64 s3, 5, v82
	v_cmp_eq_u32_e64 s5, 6, v79
	v_cndmask_b32_e64 v5, v5, v11, s7
	v_cmp_eq_u32_e64 s4, 6, v78
	v_cndmask_b32_e64 v3, v6, v15, s7
	v_cndmask_b32_e64 v1, v1, v11, s3
	v_cmp_eq_u32_e64 s7, 6, v82
	v_cndmask_b32_e64 v2, v2, v15, s3
	v_cndmask_b32_e64 v17, v17, v4, s5
	v_cndmask_b32_e64 v18, v18, v8, s5
	v_cmp_eq_u32_e64 s5, 7, v79
	v_cndmask_b32_e64 v5, v5, v4, s4
	;; [unrolled: 4-line block ×3, first 2 shown]
	v_cmp_eq_u32_e64 s4, 7, v78
	v_cndmask_b32_e32 v4, v20, v8, vcc_lo
	v_cndmask_b32_e64 v17, v17, v12, s5
	v_cndmask_b32_e64 v19, v19, v12, s6
	;; [unrolled: 1-line block ×8, first 2 shown]
	s_delay_alu instid0(VALU_DEP_4) | instskip(NEXT) | instid1(VALU_DEP_4)
	v_perm_b32 v4, v2, v1, 0x5040100
	v_perm_b32 v3, v3, v5, 0x5040100
	s_delay_alu instid0(VALU_DEP_4) | instskip(NEXT) | instid1(VALU_DEP_4)
	v_perm_b32 v2, v6, v19, 0x5040100
	v_perm_b32 v1, v7, v17, 0x5040100
	ds_store_b128 v77, v[1:4]
	s_waitcnt lgkmcnt(0)
	s_barrier
	buffer_gl0_inv
	s_and_saveexec_b32 s3, s2
	s_cbranch_execz .LBB1855_2
; %bb.111:
	s_load_b64 s[0:1], s[0:1], 0x68
	v_lshlrev_b32_e32 v0, 10, v0
	s_lshl_b32 s2, s34, 7
	v_lshlrev_b32_e32 v1, 4, v76
	v_mul_lo_u32 v4, s2, v75
	s_mul_i32 s3, s2, s30
	v_and_b32_e32 v0, 0x3800, v0
	s_mul_i32 s2, s3, s8
	s_delay_alu instid0(SALU_CYCLE_1) | instskip(NEXT) | instid1(VALU_DEP_1)
	s_ashr_i32 s3, s2, 31
	v_or3_b32 v0, v0, v74, v1
	s_lshl_b64 s[2:3], s[2:3], 1
	s_delay_alu instid0(VALU_DEP_3)
	v_ashrrev_i32_e32 v5, 31, v4
	ds_load_b128 v[0:3], v0
	v_lshlrev_b64 v[4:5], 1, v[4:5]
	s_waitcnt lgkmcnt(0)
	s_add_u32 s2, s0, s2
	s_addc_u32 s3, s1, s3
	s_lshl_b32 s0, s14, 7
	s_delay_alu instid0(SALU_CYCLE_1) | instskip(NEXT) | instid1(SALU_CYCLE_1)
	s_ashr_i32 s1, s0, 31
	s_lshl_b64 s[0:1], s[0:1], 1
	s_delay_alu instid0(SALU_CYCLE_1) | instskip(SKIP_3) | instid1(VALU_DEP_2)
	s_add_u32 s0, s2, s0
	s_addc_u32 s1, s3, s1
	v_add_co_u32 v4, vcc_lo, s0, v4
	v_add_co_ci_u32_e32 v5, vcc_lo, s1, v5, vcc_lo
	v_add_co_u32 v4, vcc_lo, v4, v73
	s_delay_alu instid0(VALU_DEP_2)
	v_add_co_ci_u32_e32 v5, vcc_lo, 0, v5, vcc_lo
	global_store_b128 v[4:5], v[0:3], off
	s_nop 0
	s_sendmsg sendmsg(MSG_DEALLOC_VGPRS)
	s_endpgm
	.section	.rodata,"a",@progbits
	.p2align	6, 0x0
	.amdhsa_kernel _Z39paged_attention_ll4mi_QKV_mfma16_kernelI14__hip_bfloat16hLN4vllm18Fp8KVCacheDataTypeE1ES0_Li16ELi128ELi256ELb0ELi2EL8MFMAType0EEvPKT_PKT0_S9_ifPKiSB_SB_iPKfiiiPfSE_PS4_PT2_iSD_SD_
		.amdhsa_group_segment_fixed_size 17472
		.amdhsa_private_segment_fixed_size 0
		.amdhsa_kernarg_size 400
		.amdhsa_user_sgpr_count 13
		.amdhsa_user_sgpr_dispatch_ptr 0
		.amdhsa_user_sgpr_queue_ptr 0
		.amdhsa_user_sgpr_kernarg_segment_ptr 1
		.amdhsa_user_sgpr_dispatch_id 0
		.amdhsa_user_sgpr_private_segment_size 0
		.amdhsa_wavefront_size32 1
		.amdhsa_uses_dynamic_stack 0
		.amdhsa_enable_private_segment 0
		.amdhsa_system_sgpr_workgroup_id_x 1
		.amdhsa_system_sgpr_workgroup_id_y 1
		.amdhsa_system_sgpr_workgroup_id_z 1
		.amdhsa_system_sgpr_workgroup_info 0
		.amdhsa_system_vgpr_workitem_id 0
		.amdhsa_next_free_vgpr 138
		.amdhsa_next_free_sgpr 36
		.amdhsa_reserve_vcc 1
		.amdhsa_float_round_mode_32 0
		.amdhsa_float_round_mode_16_64 0
		.amdhsa_float_denorm_mode_32 3
		.amdhsa_float_denorm_mode_16_64 3
		.amdhsa_dx10_clamp 1
		.amdhsa_ieee_mode 1
		.amdhsa_fp16_overflow 0
		.amdhsa_workgroup_processor_mode 1
		.amdhsa_memory_ordered 1
		.amdhsa_forward_progress 0
		.amdhsa_shared_vgpr_count 0
		.amdhsa_exception_fp_ieee_invalid_op 0
		.amdhsa_exception_fp_denorm_src 0
		.amdhsa_exception_fp_ieee_div_zero 0
		.amdhsa_exception_fp_ieee_overflow 0
		.amdhsa_exception_fp_ieee_underflow 0
		.amdhsa_exception_fp_ieee_inexact 0
		.amdhsa_exception_int_div_zero 0
	.end_amdhsa_kernel
	.section	.text._Z39paged_attention_ll4mi_QKV_mfma16_kernelI14__hip_bfloat16hLN4vllm18Fp8KVCacheDataTypeE1ES0_Li16ELi128ELi256ELb0ELi2EL8MFMAType0EEvPKT_PKT0_S9_ifPKiSB_SB_iPKfiiiPfSE_PS4_PT2_iSD_SD_,"axG",@progbits,_Z39paged_attention_ll4mi_QKV_mfma16_kernelI14__hip_bfloat16hLN4vllm18Fp8KVCacheDataTypeE1ES0_Li16ELi128ELi256ELb0ELi2EL8MFMAType0EEvPKT_PKT0_S9_ifPKiSB_SB_iPKfiiiPfSE_PS4_PT2_iSD_SD_,comdat
.Lfunc_end1855:
	.size	_Z39paged_attention_ll4mi_QKV_mfma16_kernelI14__hip_bfloat16hLN4vllm18Fp8KVCacheDataTypeE1ES0_Li16ELi128ELi256ELb0ELi2EL8MFMAType0EEvPKT_PKT0_S9_ifPKiSB_SB_iPKfiiiPfSE_PS4_PT2_iSD_SD_, .Lfunc_end1855-_Z39paged_attention_ll4mi_QKV_mfma16_kernelI14__hip_bfloat16hLN4vllm18Fp8KVCacheDataTypeE1ES0_Li16ELi128ELi256ELb0ELi2EL8MFMAType0EEvPKT_PKT0_S9_ifPKiSB_SB_iPKfiiiPfSE_PS4_PT2_iSD_SD_
                                        ; -- End function
	.section	.AMDGPU.csdata,"",@progbits
; Kernel info:
; codeLenInByte = 8624
; NumSgprs: 38
; NumVgprs: 138
; ScratchSize: 0
; MemoryBound: 0
; FloatMode: 240
; IeeeMode: 1
; LDSByteSize: 17472 bytes/workgroup (compile time only)
; SGPRBlocks: 4
; VGPRBlocks: 17
; NumSGPRsForWavesPerEU: 38
; NumVGPRsForWavesPerEU: 138
; Occupancy: 10
; WaveLimiterHint : 1
; COMPUTE_PGM_RSRC2:SCRATCH_EN: 0
; COMPUTE_PGM_RSRC2:USER_SGPR: 13
; COMPUTE_PGM_RSRC2:TRAP_HANDLER: 0
; COMPUTE_PGM_RSRC2:TGID_X_EN: 1
; COMPUTE_PGM_RSRC2:TGID_Y_EN: 1
; COMPUTE_PGM_RSRC2:TGID_Z_EN: 1
; COMPUTE_PGM_RSRC2:TIDIG_COMP_CNT: 0
	.section	.text._Z39paged_attention_ll4mi_QKV_mfma16_kernelI14__hip_bfloat16hLN4vllm18Fp8KVCacheDataTypeE1ES0_Li16ELi128ELi256ELb0ELi3EL8MFMAType0EEvPKT_PKT0_S9_ifPKiSB_SB_iPKfiiiPfSE_PS4_PT2_iSD_SD_,"axG",@progbits,_Z39paged_attention_ll4mi_QKV_mfma16_kernelI14__hip_bfloat16hLN4vllm18Fp8KVCacheDataTypeE1ES0_Li16ELi128ELi256ELb0ELi3EL8MFMAType0EEvPKT_PKT0_S9_ifPKiSB_SB_iPKfiiiPfSE_PS4_PT2_iSD_SD_,comdat
	.protected	_Z39paged_attention_ll4mi_QKV_mfma16_kernelI14__hip_bfloat16hLN4vllm18Fp8KVCacheDataTypeE1ES0_Li16ELi128ELi256ELb0ELi3EL8MFMAType0EEvPKT_PKT0_S9_ifPKiSB_SB_iPKfiiiPfSE_PS4_PT2_iSD_SD_ ; -- Begin function _Z39paged_attention_ll4mi_QKV_mfma16_kernelI14__hip_bfloat16hLN4vllm18Fp8KVCacheDataTypeE1ES0_Li16ELi128ELi256ELb0ELi3EL8MFMAType0EEvPKT_PKT0_S9_ifPKiSB_SB_iPKfiiiPfSE_PS4_PT2_iSD_SD_
	.globl	_Z39paged_attention_ll4mi_QKV_mfma16_kernelI14__hip_bfloat16hLN4vllm18Fp8KVCacheDataTypeE1ES0_Li16ELi128ELi256ELb0ELi3EL8MFMAType0EEvPKT_PKT0_S9_ifPKiSB_SB_iPKfiiiPfSE_PS4_PT2_iSD_SD_
	.p2align	8
	.type	_Z39paged_attention_ll4mi_QKV_mfma16_kernelI14__hip_bfloat16hLN4vllm18Fp8KVCacheDataTypeE1ES0_Li16ELi128ELi256ELb0ELi3EL8MFMAType0EEvPKT_PKT0_S9_ifPKiSB_SB_iPKfiiiPfSE_PS4_PT2_iSD_SD_,@function
_Z39paged_attention_ll4mi_QKV_mfma16_kernelI14__hip_bfloat16hLN4vllm18Fp8KVCacheDataTypeE1ES0_Li16ELi128ELi256ELb0ELi3EL8MFMAType0EEvPKT_PKT0_S9_ifPKiSB_SB_iPKfiiiPfSE_PS4_PT2_iSD_SD_: ; @_Z39paged_attention_ll4mi_QKV_mfma16_kernelI14__hip_bfloat16hLN4vllm18Fp8KVCacheDataTypeE1ES0_Li16ELi128ELi256ELb0ELi3EL8MFMAType0EEvPKT_PKT0_S9_ifPKiSB_SB_iPKfiiiPfSE_PS4_PT2_iSD_SD_
; %bb.0:
	s_load_b64 s[4:5], s[0:1], 0x30
	s_mov_b32 s30, s13
	s_waitcnt lgkmcnt(0)
	s_cmp_lg_u64 s[4:5], 0
	s_cselect_b32 s13, -1, 0
	s_ashr_i32 s31, s30, 31
	s_cmp_eq_u64 s[4:5], 0
	s_cbranch_scc1 .LBB1856_3
; %bb.1:
	s_lshl_b64 s[2:3], s[30:31], 2
	s_delay_alu instid0(SALU_CYCLE_1) | instskip(SKIP_4) | instid1(SALU_CYCLE_1)
	s_add_u32 s2, s4, s2
	s_addc_u32 s3, s5, s3
	s_load_b64 s[2:3], s[2:3], 0x0
	s_waitcnt lgkmcnt(0)
	s_sub_i32 s2, s3, s2
	s_cmp_eq_u32 s2, 1
	s_cselect_b32 s2, -1, 0
	s_delay_alu instid0(SALU_CYCLE_1)
	s_and_not1_b32 vcc_lo, exec_lo, s2
	s_cbranch_vccz .LBB1856_4
.LBB1856_2:
	s_nop 0
	s_sendmsg sendmsg(MSG_DEALLOC_VGPRS)
	s_endpgm
.LBB1856_3:
.LBB1856_4:
	s_load_b64 s[2:3], s[0:1], 0x28
	s_lshl_b64 s[6:7], s[30:31], 2
	s_waitcnt lgkmcnt(0)
	s_add_u32 s2, s2, s6
	s_addc_u32 s3, s3, s7
	s_lshl_b32 s12, s14, 8
	s_load_b32 s17, s[2:3], 0x0
	s_waitcnt lgkmcnt(0)
	s_cmp_ge_i32 s12, s17
	s_cbranch_scc1 .LBB1856_2
; %bb.5:
	s_clause 0x1
	s_load_b128 s[8:11], s[0:1], 0x8
	s_load_b64 s[2:3], s[0:1], 0x20
	s_and_not1_b32 vcc_lo, exec_lo, s13
	s_cbranch_vccnz .LBB1856_7
; %bb.6:
	s_add_u32 s4, s4, s6
	s_addc_u32 s5, s5, s7
	s_load_b32 s13, s[4:5], 0x0
	s_branch .LBB1856_8
.LBB1856_7:
	s_mov_b32 s13, s30
.LBB1856_8:
	s_load_b128 s[4:7], s[0:1], 0x48
	v_and_b32_e32 v65, 15, v0
	v_lshrrev_b32_e32 v66, 5, v0
	v_bfe_u32 v74, v0, 4, 1
	v_and_b32_e32 v67, 31, v0
	v_and_b32_e32 v75, 1, v0
	v_lshlrev_b32_e32 v2, 3, v65
	s_mul_i32 s31, s15, 3
	v_lshl_or_b32 v1, v66, 1, v74
	s_waitcnt lgkmcnt(0)
	s_mov_b32 s7, exec_lo
	v_lshlrev_b32_e32 v73, 1, v2
	s_delay_alu instid0(VALU_DEP_2)
	v_cmpx_gt_u32_e32 3, v1
	s_cbranch_execz .LBB1856_10
; %bb.9:
	s_load_b64 s[18:19], s[0:1], 0x0
	v_add_lshl_u32 v2, v1, s31, 7
	s_mul_hi_i32 s21, s13, s4
	s_mul_i32 s20, s13, s4
	v_lshlrev_b32_e32 v6, 10, v65
	s_lshl_b64 s[20:21], s[20:21], 1
	v_ashrrev_i32_e32 v3, 31, v2
	v_lshlrev_b32_e32 v1, 6, v1
	v_lshlrev_b32_e32 v7, 10, v75
	v_and_b32_e32 v6, 0x3800, v6
	s_delay_alu instid0(VALU_DEP_4) | instskip(NEXT) | instid1(VALU_DEP_2)
	v_lshlrev_b64 v[2:3], 1, v[2:3]
	v_or3_b32 v1, v6, v7, v1
	s_waitcnt lgkmcnt(0)
	s_add_u32 s4, s18, s20
	s_addc_u32 s13, s19, s21
	s_delay_alu instid0(VALU_DEP_2) | instskip(SKIP_1) | instid1(VALU_DEP_2)
	v_add_co_u32 v2, vcc_lo, s4, v2
	v_add_co_ci_u32_e32 v3, vcc_lo, s13, v3, vcc_lo
	v_add_co_u32 v2, vcc_lo, v2, v73
	s_delay_alu instid0(VALU_DEP_2)
	v_add_co_ci_u32_e32 v3, vcc_lo, 0, v3, vcc_lo
	global_load_b128 v[2:5], v[2:3], off
	s_waitcnt vmcnt(0)
	ds_store_b128 v1, v[2:5]
.LBB1856_10:
	s_or_b32 exec_lo, exec_lo, s7
	v_and_b32_e32 v1, 0xef, v0
	s_add_i32 s4, s17, 15
	s_clause 0x1
	s_load_b32 s7, s[0:1], 0x38
	s_load_b32 s18, s[0:1], 0x1c
	s_ashr_i32 s13, s4, 31
	v_add_nc_u32_e32 v2, s12, v1
	s_lshr_b32 s13, s13, 28
	s_waitcnt lgkmcnt(0)
	s_add_i32 s4, s4, s13
	s_barrier
	v_ashrrev_i32_e32 v1, 31, v2
	s_ashr_i32 s4, s4, 4
	v_cmp_gt_i32_e32 vcc_lo, s17, v2
	s_add_i32 s4, s4, -1
	buffer_gl0_inv
	v_lshrrev_b32_e32 v3, 28, v1
	v_or_b32_e32 v1, 16, v2
	s_mul_i32 s15, s15, s6
	s_delay_alu instid0(VALU_DEP_2) | instskip(SKIP_1) | instid1(SALU_CYCLE_1)
	v_add_nc_u32_e32 v4, v2, v3
	s_mul_i32 s20, s30, s7
	s_ashr_i32 s21, s20, 31
	s_delay_alu instid0(VALU_DEP_1) | instskip(SKIP_2) | instid1(SALU_CYCLE_1)
	v_ashrrev_i32_e32 v4, 4, v4
	v_add_nc_u32_e32 v3, v1, v3
	s_lshl_b64 s[20:21], s[20:21], 2
	s_add_u32 s2, s2, s20
	s_delay_alu instid0(VALU_DEP_2) | instskip(NEXT) | instid1(VALU_DEP_2)
	v_cndmask_b32_e32 v2, s4, v4, vcc_lo
	v_ashrrev_i32_e32 v3, 4, v3
	v_cmp_gt_i32_e32 vcc_lo, s17, v1
	s_addc_u32 s3, s3, s21
	s_ashr_i32 s6, s15, 31
	s_add_u32 s7, s8, s15
	s_addc_u32 s13, s9, s6
	v_cndmask_b32_e32 v4, s4, v3, vcc_lo
	v_ashrrev_i32_e32 v3, 31, v2
	s_lshl_b32 s8, s14, 4
	s_delay_alu instid0(SALU_CYCLE_1) | instskip(NEXT) | instid1(VALU_DEP_2)
	s_ashr_i32 s9, s8, 31
	v_ashrrev_i32_e32 v5, 31, v4
	s_delay_alu instid0(VALU_DEP_2) | instskip(SKIP_1) | instid1(SALU_CYCLE_1)
	v_lshlrev_b64 v[1:2], 2, v[2:3]
	s_lshl_b64 s[8:9], s[8:9], 2
	s_add_u32 s8, s2, s8
	s_delay_alu instid0(VALU_DEP_2) | instskip(SKIP_1) | instid1(VALU_DEP_2)
	v_lshlrev_b64 v[3:4], 2, v[4:5]
	s_addc_u32 s9, s3, s9
	v_add_co_u32 v1, vcc_lo, s2, v1
	v_add_co_ci_u32_e32 v2, vcc_lo, s3, v2, vcc_lo
	s_delay_alu instid0(VALU_DEP_3) | instskip(NEXT) | instid1(VALU_DEP_4)
	v_add_co_u32 v3, vcc_lo, s2, v3
	v_add_co_ci_u32_e32 v4, vcc_lo, s3, v4, vcc_lo
	s_clause 0x1
	global_load_b32 v5, v[1:2], off
	global_load_b32 v3, v[3:4], off
	v_lshlrev_b32_e32 v1, 4, v0
	s_or_b32 s16, s12, 32
	s_delay_alu instid0(SALU_CYCLE_1) | instskip(SKIP_1) | instid1(VALU_DEP_1)
	s_ashr_i32 s19, s16, 4
	s_cmp_lt_i32 s16, s17
	v_and_b32_e32 v1, 0xf0, v1
	s_cselect_b32 s20, s19, s4
	s_delay_alu instid0(SALU_CYCLE_1) | instskip(NEXT) | instid1(SALU_CYCLE_1)
	s_ashr_i32 s21, s20, 31
	s_lshl_b64 s[20:21], s[20:21], 2
	s_delay_alu instid0(VALU_DEP_1)
	v_add_co_u32 v1, s7, s7, v1
	s_add_u32 s20, s2, s20
	s_addc_u32 s21, s3, s21
	s_or_b32 s16, s12, 64
	v_add_co_ci_u32_e64 v2, null, s13, 0, s7
	s_ashr_i32 s19, s16, 4
	s_cmp_lt_i32 s16, s17
	s_cselect_b32 s22, s19, s4
	s_delay_alu instid0(SALU_CYCLE_1) | instskip(NEXT) | instid1(SALU_CYCLE_1)
	s_ashr_i32 s23, s22, 31
	s_lshl_b64 s[22:23], s[22:23], 2
	s_delay_alu instid0(SALU_CYCLE_1) | instskip(SKIP_2) | instid1(SALU_CYCLE_1)
	s_add_u32 s22, s2, s22
	s_addc_u32 s23, s3, s23
	s_or_b32 s16, s12, 0x60
	s_ashr_i32 s19, s16, 4
	s_cmp_lt_i32 s16, s17
	s_cselect_b32 s24, s19, s4
	s_delay_alu instid0(SALU_CYCLE_1) | instskip(NEXT) | instid1(SALU_CYCLE_1)
	s_ashr_i32 s25, s24, 31
	s_lshl_b64 s[24:25], s[24:25], 2
	s_delay_alu instid0(SALU_CYCLE_1) | instskip(SKIP_2) | instid1(SALU_CYCLE_1)
	s_add_u32 s24, s2, s24
	s_addc_u32 s25, s3, s25
	s_or_b32 s16, s12, 0x80
	;; [unrolled: 10-line block ×3, first 2 shown]
	s_ashr_i32 s19, s16, 4
	s_cmp_lt_i32 s16, s17
	s_cselect_b32 s28, s19, s4
	s_delay_alu instid0(SALU_CYCLE_1) | instskip(NEXT) | instid1(SALU_CYCLE_1)
	s_ashr_i32 s29, s28, 31
	s_lshl_b64 s[28:29], s[28:29], 2
	s_delay_alu instid0(SALU_CYCLE_1)
	s_add_u32 s28, s2, s28
	s_addc_u32 s29, s3, s29
	s_clause 0x5
	s_load_b32 s7, s[8:9], 0x0
	s_load_b32 s13, s[20:21], 0x0
	;; [unrolled: 1-line block ×6, first 2 shown]
	s_or_b32 s8, s12, 0xc0
	s_mov_b32 s20, 0
	s_ashr_i32 s9, s8, 4
	s_cmp_lt_i32 s8, s17
	s_mov_b32 s27, s20
	s_cselect_b32 s8, s9, s4
	s_mov_b32 s21, s20
	s_ashr_i32 s9, s8, 31
	s_mov_b32 s22, s20
	s_lshl_b64 s[8:9], s[8:9], 2
	s_mov_b32 s23, s20
	s_mov_b32 s24, s20
	;; [unrolled: 1-line block ×4, first 2 shown]
	v_dual_mov_b32 v107, s27 :: v_dual_mov_b32 v104, s24
	s_add_u32 s8, s2, s8
	v_dual_mov_b32 v106, s26 :: v_dual_mov_b32 v105, s25
	v_dual_mov_b32 v101, s21 :: v_dual_mov_b32 v100, s20
	s_addc_u32 s9, s3, s9
	v_dual_mov_b32 v103, s23 :: v_dual_mov_b32 v102, s22
	s_or_b32 s20, s12, 0xe0
	s_delay_alu instid0(SALU_CYCLE_1) | instskip(SKIP_2) | instid1(SALU_CYCLE_1)
	s_ashr_i32 s21, s20, 4
	s_cmp_lt_i32 s20, s17
	s_cselect_b32 s20, s21, s4
	s_ashr_i32 s21, s20, 31
	s_delay_alu instid0(SALU_CYCLE_1) | instskip(NEXT) | instid1(SALU_CYCLE_1)
	s_lshl_b64 s[20:21], s[20:21], 2
	s_add_u32 s2, s2, s20
	s_addc_u32 s3, s3, s21
	s_waitcnt vmcnt(1)
	v_mad_i64_i32 v[25:26], null, v5, s5, v[1:2]
	s_waitcnt vmcnt(0)
	v_mad_i64_i32 v[27:28], null, v3, s5, v[1:2]
	s_clause 0xf
	global_load_b128 v[1:4], v[25:26], off
	global_load_b128 v[5:8], v[25:26], off offset:256
	global_load_b128 v[9:12], v[27:28], off
	global_load_b128 v[13:16], v[27:28], off offset:256
	global_load_b128 v[17:20], v[25:26], off offset:512
	;; [unrolled: 1-line block ×13, first 2 shown]
	v_mul_lo_u16 v25, 0x56, v65
	v_lshlrev_b32_e32 v26, 4, v65
	s_delay_alu instid0(VALU_DEP_2) | instskip(NEXT) | instid1(VALU_DEP_2)
	v_lshrrev_b16 v25, 8, v25
	v_lshl_or_b32 v33, v66, 8, v26
	s_delay_alu instid0(VALU_DEP_2) | instskip(NEXT) | instid1(VALU_DEP_1)
	v_mul_lo_u16 v25, v25, 3
	v_sub_nc_u16 v25, v65, v25
	s_delay_alu instid0(VALU_DEP_1) | instskip(NEXT) | instid1(VALU_DEP_1)
	v_and_b32_e32 v25, 0xff, v25
	v_lshlrev_b32_e32 v72, 6, v25
	ds_load_b128 v[25:28], v72
	ds_load_b128 v[29:32], v72 offset:1024
	ds_load_b128 v[108:111], v72 offset:2048
	;; [unrolled: 1-line block ×3, first 2 shown]
	s_load_b32 s4, s[8:9], 0x0
	ds_load_b128 v[116:119], v72 offset:4096
	ds_load_b128 v[120:123], v72 offset:5120
	s_load_b32 s2, s[2:3], 0x0
	s_add_u32 s8, s10, s15
	s_addc_u32 s6, s11, s6
	v_add_co_u32 v68, s8, s8, v33
	s_delay_alu instid0(VALU_DEP_1) | instskip(SKIP_1) | instid1(VALU_DEP_1)
	v_add_co_ci_u32_e64 v69, null, s6, 0, s8
	s_waitcnt lgkmcnt(0)
	v_mad_i64_i32 v[33:34], null, s7, s5, v[68:69]
	v_mad_i64_i32 v[70:71], null, s16, s5, v[68:69]
	;; [unrolled: 1-line block ×7, first 2 shown]
	s_clause 0x3
	global_load_b128 v[41:44], v[33:34], off
	global_load_b128 v[45:48], v[33:34], off offset:16
	global_load_b128 v[33:36], v[37:38], off
	global_load_b128 v[37:40], v[37:38], off offset:16
	s_waitcnt vmcnt(18)
	v_wmma_f32_16x16x16_bf16 v[124:131], v[1:8], v[25:32], v[100:107]
	s_waitcnt vmcnt(16)
	v_wmma_f32_16x16x16_bf16 v[100:107], v[9:16], v[25:32], v[100:107]
	s_clause 0x1
	global_load_b128 v[25:28], v[70:71], off
	global_load_b128 v[29:32], v[70:71], off offset:16
	s_waitcnt vmcnt(16)
	v_wmma_f32_16x16x16_bf16 v[124:131], v[17:24], v[108:115], v[124:131]
	s_clause 0x1
	global_load_b128 v[17:20], v[132:133], off
	global_load_b128 v[21:24], v[132:133], off offset:16
	s_waitcnt vmcnt(16)
	v_wmma_f32_16x16x16_bf16 v[100:107], v[49:56], v[108:115], v[100:107]
	v_mad_i64_i32 v[53:54], null, s2, s5, v[68:69]
	s_clause 0x3
	global_load_b128 v[1:4], v[134:135], off
	global_load_b128 v[5:8], v[134:135], off offset:16
	global_load_b128 v[9:12], v[136:137], off
	global_load_b128 v[13:16], v[136:137], off offset:16
	s_waitcnt vmcnt(18)
	v_wmma_f32_16x16x16_bf16 v[124:131], v[57:64], v[116:123], v[124:131]
	s_clause 0x3
	global_load_b128 v[57:60], v[138:139], off
	global_load_b128 v[61:64], v[138:139], off offset:16
	global_load_b128 v[49:52], v[53:54], off
	global_load_b128 v[53:56], v[53:54], off offset:16
	v_mbcnt_lo_u32_b32 v69, -1, 0
	s_waitcnt vmcnt(20)
	v_wmma_f32_16x16x16_bf16 v[100:107], v[76:83], v[116:123], v[100:107]
	s_delay_alu instid0(VALU_DEP_2) | instskip(NEXT) | instid1(VALU_DEP_1)
	v_xor_b32_e32 v70, 16, v69
	v_cmp_gt_i32_e32 vcc_lo, 32, v70
	v_cndmask_b32_e32 v69, v69, v70, vcc_lo
	ds_load_b128 v[76:79], v72 offset:6144
	ds_load_b128 v[80:83], v72 offset:7168
	s_waitcnt vmcnt(0) lgkmcnt(0)
	s_barrier
	buffer_gl0_inv
	v_wmma_f32_16x16x16_bf16 v[124:131], v[84:91], v[76:83], v[124:131]
	v_and_b32_e32 v68, 0xe0, v0
	v_wmma_f32_16x16x16_bf16 v[100:107], v[92:99], v[76:83], v[100:107]
	s_delay_alu instid0(VALU_DEP_2) | instskip(NEXT) | instid1(VALU_DEP_4)
	v_dual_mul_f32 v79, s18, v127 :: v_dual_add_nc_u32 v68, s12, v68
	v_mul_f32_e32 v81, s18, v129
	v_dual_mul_f32 v78, s18, v125 :: v_dual_mul_f32 v83, s18, v131
	s_delay_alu instid0(VALU_DEP_4) | instskip(NEXT) | instid1(VALU_DEP_4)
	v_dual_mul_f32 v80, s18, v126 :: v_dual_mul_f32 v95, s18, v103
	v_or_b32_e32 v68, v68, v74
	v_dual_mul_f32 v93, s18, v101 :: v_dual_mul_f32 v82, s18, v128
	v_dual_mul_f32 v97, s18, v105 :: v_dual_mul_f32 v92, s18, v130
	v_mul_f32_e32 v99, s18, v107
	s_delay_alu instid0(VALU_DEP_4)
	v_or_b32_e32 v70, 2, v68
	v_or_b32_e32 v71, 4, v68
	;; [unrolled: 1-line block ×3, first 2 shown]
	v_cmp_gt_i32_e64 s2, s17, v68
	v_or_b32_e32 v108, 8, v68
	v_cmp_gt_i32_e32 vcc_lo, s17, v70
	v_mul_f32_e32 v70, s18, v124
	v_or_b32_e32 v109, 10, v68
	v_cmp_gt_i32_e64 s3, s17, v71
	v_cmp_gt_i32_e64 s4, s17, v72
	v_cndmask_b32_e32 v78, 0xff7fffff, v78, vcc_lo
	v_cndmask_b32_e64 v70, 0xff7fffff, v70, s2
	v_or_b32_e32 v84, 12, v68
	v_or_b32_e32 v85, 14, v68
	v_cndmask_b32_e64 v71, 0xff7fffff, v80, s3
	v_cndmask_b32_e64 v72, 0xff7fffff, v79, s4
	v_max3_f32 v70, v70, 0xff7fffff, v78
	v_cmp_gt_i32_e64 s5, s17, v108
	v_cmp_gt_i32_e64 s6, s17, v109
	v_or_b32_e32 v86, 16, v68
	v_or_b32_e32 v87, 18, v68
	v_max3_f32 v70, v70, v71, v72
	v_cndmask_b32_e64 v78, 0xff7fffff, v82, s5
	v_cndmask_b32_e64 v79, 0xff7fffff, v81, s6
	v_cmp_gt_i32_e64 s7, s17, v84
	v_cmp_gt_i32_e64 s8, s17, v85
	v_or_b32_e32 v88, 20, v68
	v_or_b32_e32 v89, 22, v68
	v_mul_f32_e32 v94, s18, v100
	v_cndmask_b32_e64 v71, 0xff7fffff, v92, s7
	v_cndmask_b32_e64 v72, 0xff7fffff, v83, s8
	v_max3_f32 v70, v70, v78, v79
	v_cmp_gt_i32_e64 s9, s17, v86
	v_cmp_gt_i32_e64 s10, s17, v87
	v_or_b32_e32 v90, 24, v68
	v_or_b32_e32 v91, 26, v68
	v_mul_f32_e32 v96, s18, v102
	v_max3_f32 v70, v70, v71, v72
	v_cndmask_b32_e64 v79, 0xff7fffff, v93, s10
	v_cmp_gt_i32_e64 s11, s17, v88
	v_cmp_gt_i32_e64 s12, s17, v89
	v_lshlrev_b32_e32 v89, 2, v69
	v_cndmask_b32_e64 v78, 0xff7fffff, v94, s9
	v_or_b32_e32 v76, 28, v68
	v_or_b32_e32 v77, 30, v68
	v_mul_f32_e32 v98, s18, v104
	v_cndmask_b32_e64 v71, 0xff7fffff, v96, s11
	v_cndmask_b32_e64 v72, 0xff7fffff, v95, s12
	v_max3_f32 v70, v70, v78, v79
	v_cmp_gt_i32_e64 s13, s17, v90
	v_cmp_gt_i32_e64 s15, s17, v91
	v_mul_f32_e32 v68, s18, v106
	v_cmp_gt_i32_e64 s16, s17, v76
	v_max3_f32 v70, v70, v71, v72
	v_cndmask_b32_e64 v78, 0xff7fffff, v98, s13
	v_cndmask_b32_e64 v79, 0xff7fffff, v97, s15
	v_cmp_gt_i32_e64 s17, s17, v77
	v_cndmask_b32_e64 v68, 0xff7fffff, v68, s16
	s_delay_alu instid0(VALU_DEP_3) | instskip(NEXT) | instid1(VALU_DEP_3)
	v_max3_f32 v70, v70, v78, v79
	v_cndmask_b32_e64 v71, 0xff7fffff, v99, s17
	s_delay_alu instid0(VALU_DEP_1) | instskip(SKIP_3) | instid1(VALU_DEP_1)
	v_max3_f32 v68, v70, v68, v71
	ds_bpermute_b32 v69, v89, v68
	s_waitcnt lgkmcnt(0)
	v_max_f32_e32 v69, v69, v69
	v_max_f32_e32 v68, v68, v69
	s_delay_alu instid0(VALU_DEP_1) | instskip(NEXT) | instid1(VALU_DEP_1)
	v_fma_f32 v76, s18, v128, -v68
	v_mul_f32_e32 v77, 0x3fb8aa3b, v76
	v_fma_f32 v71, s18, v126, -v68
	v_fma_f32 v69, s18, v124, -v68
	;; [unrolled: 1-line block ×4, first 2 shown]
	v_exp_f32_e32 v77, v77
	v_mul_f32_e32 v71, 0x3fb8aa3b, v71
	v_mul_f32_e32 v69, 0x3fb8aa3b, v69
	v_fma_f32 v81, s18, v105, -v68
	v_fma_f32 v78, s18, v130, -v68
	s_delay_alu instid0(VALU_DEP_4) | instskip(NEXT) | instid1(VALU_DEP_3)
	v_exp_f32_e32 v71, v71
	v_exp_f32_e32 v69, v69
	s_delay_alu instid0(VALU_DEP_2) | instskip(NEXT) | instid1(TRANS32_DEP_3)
	v_mul_f32_e32 v81, 0x3fb8aa3b, v81
	v_cndmask_b32_e64 v86, 0, v77, s5
	v_fma_f32 v77, s18, v101, -v68
	s_delay_alu instid0(VALU_DEP_3) | instskip(NEXT) | instid1(TRANS32_DEP_3)
	v_exp_f32_e32 v81, v81
	v_cndmask_b32_e64 v83, 0, v71, s3
	v_fma_f32 v71, s18, v131, -v68
	v_mul_f32_e32 v72, 0x3fb8aa3b, v72
	s_delay_alu instid0(TRANS32_DEP_2) | instskip(SKIP_1) | instid1(VALU_DEP_4)
	v_cndmask_b32_e64 v80, 0, v69, s2
	v_fma_f32 v69, s18, v129, -v68
	v_dual_mul_f32 v70, 0x3fb8aa3b, v70 :: v_dual_mul_f32 v71, 0x3fb8aa3b, v71
	s_delay_alu instid0(VALU_DEP_4) | instskip(SKIP_1) | instid1(VALU_DEP_3)
	v_exp_f32_e32 v72, v72
	v_mul_f32_e32 v77, 0x3fb8aa3b, v77
	v_mul_f32_e32 v69, 0x3fb8aa3b, v69
	s_delay_alu instid0(VALU_DEP_3)
	v_exp_f32_e32 v70, v70
	v_exp_f32_e32 v71, v71
	v_cmp_gt_u32_e64 s2, 16, v67
	v_exp_f32_e32 v77, v77
	v_exp_f32_e32 v69, v69
	v_cndmask_b32_e64 v85, 0, v72, s4
	v_fma_f32 v72, s18, v100, -v68
	v_cndmask_b32_e32 v76, 0, v70, vcc_lo
	s_delay_alu instid0(TRANS32_DEP_3) | instskip(SKIP_2) | instid1(TRANS32_DEP_1)
	v_cndmask_b32_e64 v88, 0, v71, s8
	v_fma_f32 v71, s18, v104, -v68
	v_add_f32_e32 v70, 0, v80
	v_cndmask_b32_e64 v87, 0, v69, s6
	s_delay_alu instid0(VALU_DEP_2) | instskip(NEXT) | instid1(VALU_DEP_1)
	v_dual_mul_f32 v71, 0x3fb8aa3b, v71 :: v_dual_add_f32 v70, v70, v76
	v_exp_f32_e32 v82, v71
	s_delay_alu instid0(VALU_DEP_1) | instskip(NEXT) | instid1(VALU_DEP_1)
	v_add_f32_e32 v70, v70, v83
	v_add_f32_e32 v70, v70, v85
	s_delay_alu instid0(VALU_DEP_1) | instskip(SKIP_1) | instid1(VALU_DEP_2)
	v_dual_mul_f32 v72, 0x3fb8aa3b, v72 :: v_dual_add_f32 v69, v70, v86
	v_fma_f32 v70, s18, v102, -v68
	v_exp_f32_e32 v72, v72
	s_delay_alu instid0(VALU_DEP_2) | instskip(NEXT) | instid1(VALU_DEP_2)
	v_dual_add_f32 v69, v69, v87 :: v_dual_mul_f32 v78, 0x3fb8aa3b, v78
	v_mul_f32_e32 v70, 0x3fb8aa3b, v70
	s_delay_alu instid0(VALU_DEP_2) | instskip(NEXT) | instid1(VALU_DEP_1)
	v_exp_f32_e32 v78, v78
	v_exp_f32_e32 v79, v70
	s_delay_alu instid0(TRANS32_DEP_3) | instskip(SKIP_4) | instid1(VALU_DEP_3)
	v_cndmask_b32_e64 v70, 0, v72, s9
	s_waitcnt_depctr 0xfff
	v_cndmask_b32_e64 v84, 0, v78, s7
	v_fma_f32 v78, s18, v103, -v68
	v_cndmask_b32_e64 v71, 0, v79, s11
	v_add_f32_e32 v69, v69, v84
	s_delay_alu instid0(VALU_DEP_1) | instskip(SKIP_2) | instid1(VALU_DEP_1)
	v_add_f32_e32 v72, v69, v88
	v_cndmask_b32_e64 v69, 0, v77, s10
	v_fma_f32 v77, s18, v106, -v68
	v_dual_add_f32 v72, v72, v70 :: v_dual_mul_f32 v77, 0x3fb8aa3b, v77
	s_delay_alu instid0(VALU_DEP_1) | instskip(NEXT) | instid1(VALU_DEP_2)
	v_add_f32_e32 v79, v72, v69
	v_exp_f32_e32 v90, v77
	v_cndmask_b32_e64 v77, 0, v82, s13
	v_mul_f32_e32 v78, 0x3fb8aa3b, v78
	s_delay_alu instid0(VALU_DEP_1) | instskip(SKIP_4) | instid1(VALU_DEP_1)
	v_exp_f32_e32 v78, v78
	s_waitcnt_depctr 0xfff
	v_cndmask_b32_e64 v72, 0, v78, s12
	v_add_f32_e32 v78, v79, v71
	v_fma_f32 v79, s18, v107, -v68
	v_dual_add_f32 v82, v78, v72 :: v_dual_mul_f32 v79, 0x3fb8aa3b, v79
	v_cndmask_b32_e64 v78, 0, v81, s15
	s_delay_alu instid0(VALU_DEP_2) | instskip(NEXT) | instid1(VALU_DEP_3)
	v_add_f32_e32 v81, v82, v77
	v_exp_f32_e32 v82, v79
	v_cndmask_b32_e64 v79, 0, v90, s16
	s_delay_alu instid0(VALU_DEP_2) | instskip(NEXT) | instid1(VALU_DEP_1)
	v_add_f32_e32 v81, v81, v78
	v_add_f32_e32 v90, v81, v79
	s_waitcnt_depctr 0xfff
	v_cndmask_b32_e64 v81, 0, v82, s17
	s_delay_alu instid0(VALU_DEP_1)
	v_add_f32_e32 v82, v90, v81
	ds_bpermute_b32 v89, v89, v82
	s_and_saveexec_b32 s3, s2
	s_cbranch_execz .LBB1856_12
; %bb.11:
	v_mul_u32_u24_e32 v67, 0x44, v66
	s_delay_alu instid0(VALU_DEP_1) | instskip(SKIP_1) | instid1(VALU_DEP_1)
	v_lshl_add_u32 v67, v65, 2, v67
	s_waitcnt lgkmcnt(0)
	v_dual_add_f32 v82, v82, v89 :: v_dual_add_nc_u32 v67, 0x4000, v67
	ds_store_2addr_b32 v67, v68, v82 offset1:136
.LBB1856_12:
	s_or_b32 exec_lo, exec_lo, s3
	v_lshlrev_b32_e32 v67, 2, v65
	s_waitcnt lgkmcnt(0)
	s_barrier
	buffer_gl0_inv
	v_cmp_eq_u32_e32 vcc_lo, 1, v66
	v_add_nc_u32_e32 v82, 0x4000, v67
	v_cmp_eq_u32_e64 s3, 2, v66
	v_cmp_eq_u32_e64 s5, 7, v66
	ds_load_2addr_b32 v[89:90], v82 offset1:17
	ds_load_2addr_b32 v[91:92], v82 offset0:34 offset1:51
	ds_load_2addr_b32 v[93:94], v82 offset0:68 offset1:85
	;; [unrolled: 1-line block ×4, first 2 shown]
	s_waitcnt lgkmcnt(4)
	v_max3_f32 v67, v89, 0xff7fffff, v90
	s_waitcnt lgkmcnt(3)
	s_delay_alu instid0(VALU_DEP_1) | instskip(SKIP_1) | instid1(VALU_DEP_1)
	v_max3_f32 v67, v67, v91, v92
	s_waitcnt lgkmcnt(2)
	v_max3_f32 v67, v67, v93, v94
	s_waitcnt lgkmcnt(1)
	s_delay_alu instid0(VALU_DEP_1) | instskip(NEXT) | instid1(VALU_DEP_1)
	v_max3_f32 v67, v67, v95, v96
	v_sub_f32_e32 v93, v93, v67
	s_delay_alu instid0(VALU_DEP_1) | instskip(NEXT) | instid1(VALU_DEP_1)
	v_dual_sub_f32 v68, v89, v67 :: v_dual_mul_f32 v103, 0x3fb8aa3b, v93
	v_mul_f32_e32 v68, 0x3fb8aa3b, v68
	s_delay_alu instid0(VALU_DEP_1)
	v_exp_f32_e32 v100, v68
	v_sub_f32_e32 v68, v92, v67
	v_sub_f32_e32 v99, v90, v67
	ds_load_2addr_b32 v[89:90], v82 offset0:170 offset1:187
	v_dual_mul_f32 v102, 0x3fb8aa3b, v68 :: v_dual_mul_f32 v99, 0x3fb8aa3b, v99
	s_waitcnt lgkmcnt(1)
	v_fma_f32 v68, v100, v97, 0
	s_delay_alu instid0(VALU_DEP_2) | instskip(NEXT) | instid1(VALU_DEP_2)
	v_exp_f32_e32 v102, v102
	v_exp_f32_e32 v99, v99
	s_waitcnt_depctr 0xfff
	v_fmac_f32_e32 v68, v99, v98
	v_sub_f32_e32 v91, v91, v67
	s_delay_alu instid0(VALU_DEP_1)
	v_mul_f32_e32 v101, 0x3fb8aa3b, v91
	ds_load_2addr_b32 v[91:92], v82 offset0:204 offset1:221
	v_sub_f32_e32 v97, v94, v67
	ds_load_2addr_b32 v[93:94], v82 offset0:238 offset1:255
	s_waitcnt lgkmcnt(0)
	v_exp_f32_e32 v101, v101
	s_barrier
	buffer_gl0_inv
	v_dual_fmac_f32 v68, v101, v89 :: v_dual_sub_f32 v89, v96, v67
	v_dual_sub_f32 v82, v95, v67 :: v_dual_mul_f32 v95, 0x3fb8aa3b, v97
	v_exp_f32_e32 v97, v103
	s_delay_alu instid0(VALU_DEP_2) | instskip(NEXT) | instid1(VALU_DEP_2)
	v_dual_fmac_f32 v68, v102, v90 :: v_dual_mul_f32 v89, 0x3fb8aa3b, v89
	v_mul_f32_e32 v82, 0x3fb8aa3b, v82
	s_delay_alu instid0(VALU_DEP_3) | instskip(NEXT) | instid1(VALU_DEP_2)
	v_exp_f32_e32 v95, v95
	v_exp_f32_e32 v89, v89
	s_delay_alu instid0(VALU_DEP_1)
	v_exp_f32_e32 v82, v82
	v_fmac_f32_e32 v68, v97, v91
	s_delay_alu instid0(TRANS32_DEP_3) | instid1(VALU_DEP_1)
	v_fmac_f32_e32 v68, v95, v92
	s_waitcnt_depctr 0xfff
	v_fmac_f32_e32 v68, v82, v93
	s_delay_alu instid0(VALU_DEP_1) | instskip(NEXT) | instid1(VALU_DEP_1)
	v_fmac_f32_e32 v68, v89, v94
	v_add_f32_e32 v90, 0x358637bd, v68
	s_delay_alu instid0(VALU_DEP_1) | instskip(NEXT) | instid1(VALU_DEP_1)
	v_div_scale_f32 v91, null, v90, v90, 1.0
	v_rcp_f32_e32 v92, v91
	s_waitcnt_depctr 0xfff
	v_fma_f32 v93, -v91, v92, 1.0
	s_delay_alu instid0(VALU_DEP_1) | instskip(SKIP_1) | instid1(VALU_DEP_2)
	v_dual_fmac_f32 v92, v93, v92 :: v_dual_cndmask_b32 v93, v100, v99
	v_cmp_eq_u32_e32 vcc_lo, 3, v66
	v_cndmask_b32_e64 v93, v93, v101, s3
	v_cmp_eq_u32_e64 s3, 4, v66
	s_delay_alu instid0(VALU_DEP_2) | instskip(SKIP_1) | instid1(VALU_DEP_2)
	v_cndmask_b32_e32 v93, v93, v102, vcc_lo
	v_cmp_eq_u32_e32 vcc_lo, 5, v66
	v_cndmask_b32_e64 v93, v93, v97, s3
	v_cmp_eq_u32_e64 s3, 6, v66
	s_delay_alu instid0(VALU_DEP_2) | instskip(SKIP_1) | instid1(VALU_DEP_1)
	v_cndmask_b32_e32 v93, v93, v95, vcc_lo
	v_div_scale_f32 v94, s4, 1.0, v90, 1.0
	s_mov_b32 vcc_lo, s4
	s_delay_alu instid0(VALU_DEP_2) | instskip(NEXT) | instid1(VALU_DEP_2)
	v_cndmask_b32_e64 v82, v93, v82, s3
	v_mul_f32_e32 v96, v94, v92
	s_mov_b32 s3, exec_lo
	s_delay_alu instid0(VALU_DEP_2) | instskip(NEXT) | instid1(VALU_DEP_2)
	v_cndmask_b32_e64 v82, v82, v89, s5
	v_fma_f32 v98, -v91, v96, v94
	s_delay_alu instid0(VALU_DEP_1) | instskip(NEXT) | instid1(VALU_DEP_1)
	v_fmac_f32_e32 v96, v98, v92
	v_fma_f32 v91, -v91, v96, v94
	s_delay_alu instid0(VALU_DEP_1) | instskip(NEXT) | instid1(VALU_DEP_1)
	v_div_fmas_f32 v91, v91, v92, v96
	v_div_fixup_f32 v90, v91, v90, 1.0
	s_delay_alu instid0(VALU_DEP_1) | instskip(NEXT) | instid1(VALU_DEP_1)
	v_mul_f32_e32 v82, v82, v90
	v_mul_f32_e32 v87, v82, v87
	;; [unrolled: 1-line block ×7, first 2 shown]
	v_dual_mul_f32 v86, v82, v83 :: v_dual_and_b32 v91, 0x7f800000, v90
	v_mul_f32_e32 v85, v82, v76
                                        ; implicit-def: $vgpr76
	s_delay_alu instid0(VALU_DEP_2)
	v_cmpx_ne_u32_e32 0x7f800000, v91
	s_xor_b32 s3, exec_lo, s3
; %bb.13:
	v_bfe_u32 v76, v90, 16, 1
	s_delay_alu instid0(VALU_DEP_1)
	v_add3_u32 v76, v90, v76, 0x7fff
                                        ; implicit-def: $vgpr90
; %bb.14:
	s_and_not1_saveexec_b32 s3, s3
; %bb.15:
	v_and_b32_e32 v76, 0xffff, v90
	v_or_b32_e32 v83, 0x10000, v90
	s_delay_alu instid0(VALU_DEP_2) | instskip(NEXT) | instid1(VALU_DEP_2)
	v_cmp_eq_u32_e32 vcc_lo, 0, v76
	v_cndmask_b32_e32 v76, v83, v90, vcc_lo
; %bb.16:
	s_or_b32 exec_lo, exec_lo, s3
	v_and_b32_e32 v83, 0x7f800000, v85
	s_delay_alu instid0(VALU_DEP_1) | instskip(SKIP_1) | instid1(SALU_CYCLE_1)
	v_cmp_ne_u32_e32 vcc_lo, 0x7f800000, v83
                                        ; implicit-def: $vgpr83
	s_and_saveexec_b32 s3, vcc_lo
	s_xor_b32 s3, exec_lo, s3
; %bb.17:
	v_bfe_u32 v83, v85, 16, 1
	s_delay_alu instid0(VALU_DEP_1)
	v_add3_u32 v83, v85, v83, 0x7fff
                                        ; implicit-def: $vgpr85
; %bb.18:
	s_and_not1_saveexec_b32 s3, s3
; %bb.19:
	v_and_b32_e32 v83, 0xffff, v85
	v_or_b32_e32 v90, 0x10000, v85
	s_delay_alu instid0(VALU_DEP_2) | instskip(NEXT) | instid1(VALU_DEP_2)
	v_cmp_eq_u32_e32 vcc_lo, 0, v83
	v_cndmask_b32_e32 v83, v90, v85, vcc_lo
; %bb.20:
	s_or_b32 exec_lo, exec_lo, s3
	v_and_b32_e32 v85, 0x7f800000, v86
	s_delay_alu instid0(VALU_DEP_1) | instskip(SKIP_1) | instid1(SALU_CYCLE_1)
	v_cmp_ne_u32_e32 vcc_lo, 0x7f800000, v85
                                        ; implicit-def: $vgpr85
	s_and_saveexec_b32 s3, vcc_lo
	s_xor_b32 s3, exec_lo, s3
; %bb.21:
	v_bfe_u32 v85, v86, 16, 1
	s_delay_alu instid0(VALU_DEP_1)
	v_add3_u32 v85, v86, v85, 0x7fff
                                        ; implicit-def: $vgpr86
; %bb.22:
	s_and_not1_saveexec_b32 s3, s3
; %bb.23:
	v_and_b32_e32 v85, 0xffff, v86
	v_or_b32_e32 v90, 0x10000, v86
	s_delay_alu instid0(VALU_DEP_2) | instskip(NEXT) | instid1(VALU_DEP_2)
	v_cmp_eq_u32_e32 vcc_lo, 0, v85
	v_cndmask_b32_e32 v85, v90, v86, vcc_lo
; %bb.24:
	s_or_b32 exec_lo, exec_lo, s3
	v_and_b32_e32 v86, 0x7f800000, v89
	s_delay_alu instid0(VALU_DEP_1) | instskip(SKIP_1) | instid1(SALU_CYCLE_1)
	v_cmp_ne_u32_e32 vcc_lo, 0x7f800000, v86
                                        ; implicit-def: $vgpr86
	s_and_saveexec_b32 s3, vcc_lo
	s_xor_b32 s3, exec_lo, s3
; %bb.25:
	v_bfe_u32 v86, v89, 16, 1
	s_delay_alu instid0(VALU_DEP_1)
	v_add3_u32 v86, v89, v86, 0x7fff
                                        ; implicit-def: $vgpr89
; %bb.26:
	s_and_not1_saveexec_b32 s3, s3
; %bb.27:
	v_and_b32_e32 v86, 0xffff, v89
	v_or_b32_e32 v90, 0x10000, v89
	s_delay_alu instid0(VALU_DEP_2) | instskip(NEXT) | instid1(VALU_DEP_2)
	v_cmp_eq_u32_e32 vcc_lo, 0, v86
	v_cndmask_b32_e32 v86, v90, v89, vcc_lo
; %bb.28:
	s_or_b32 exec_lo, exec_lo, s3
	v_and_b32_e32 v89, 0x7f800000, v88
	s_delay_alu instid0(VALU_DEP_1) | instskip(SKIP_1) | instid1(SALU_CYCLE_1)
	v_cmp_ne_u32_e32 vcc_lo, 0x7f800000, v89
                                        ; implicit-def: $vgpr89
	s_and_saveexec_b32 s3, vcc_lo
	s_xor_b32 s3, exec_lo, s3
; %bb.29:
	v_bfe_u32 v89, v88, 16, 1
	s_delay_alu instid0(VALU_DEP_1)
	v_add3_u32 v89, v88, v89, 0x7fff
                                        ; implicit-def: $vgpr88
; %bb.30:
	s_and_not1_saveexec_b32 s3, s3
; %bb.31:
	v_and_b32_e32 v89, 0xffff, v88
	v_or_b32_e32 v90, 0x10000, v88
	s_delay_alu instid0(VALU_DEP_2) | instskip(NEXT) | instid1(VALU_DEP_2)
	v_cmp_eq_u32_e32 vcc_lo, 0, v89
	v_cndmask_b32_e32 v89, v90, v88, vcc_lo
; %bb.32:
	s_or_b32 exec_lo, exec_lo, s3
	v_and_b32_e32 v88, 0x7f800000, v87
	s_delay_alu instid0(VALU_DEP_1) | instskip(SKIP_1) | instid1(SALU_CYCLE_1)
	v_cmp_ne_u32_e32 vcc_lo, 0x7f800000, v88
                                        ; implicit-def: $vgpr88
	s_and_saveexec_b32 s3, vcc_lo
	s_xor_b32 s3, exec_lo, s3
; %bb.33:
	v_bfe_u32 v88, v87, 16, 1
	s_delay_alu instid0(VALU_DEP_1)
	v_add3_u32 v88, v87, v88, 0x7fff
                                        ; implicit-def: $vgpr87
; %bb.34:
	s_and_not1_saveexec_b32 s3, s3
; %bb.35:
	v_and_b32_e32 v88, 0xffff, v87
	v_or_b32_e32 v90, 0x10000, v87
	s_delay_alu instid0(VALU_DEP_2) | instskip(NEXT) | instid1(VALU_DEP_2)
	v_cmp_eq_u32_e32 vcc_lo, 0, v88
	v_cndmask_b32_e32 v88, v90, v87, vcc_lo
; %bb.36:
	s_or_b32 exec_lo, exec_lo, s3
	v_and_b32_e32 v87, 0x7f800000, v84
	s_delay_alu instid0(VALU_DEP_1) | instskip(SKIP_1) | instid1(SALU_CYCLE_1)
	v_cmp_ne_u32_e32 vcc_lo, 0x7f800000, v87
                                        ; implicit-def: $vgpr87
	s_and_saveexec_b32 s3, vcc_lo
	s_xor_b32 s3, exec_lo, s3
; %bb.37:
	v_bfe_u32 v87, v84, 16, 1
	s_delay_alu instid0(VALU_DEP_1)
	v_add3_u32 v87, v84, v87, 0x7fff
                                        ; implicit-def: $vgpr84
; %bb.38:
	s_and_not1_saveexec_b32 s3, s3
; %bb.39:
	v_and_b32_e32 v87, 0xffff, v84
	v_or_b32_e32 v90, 0x10000, v84
	s_delay_alu instid0(VALU_DEP_2) | instskip(NEXT) | instid1(VALU_DEP_2)
	v_cmp_eq_u32_e32 vcc_lo, 0, v87
	v_cndmask_b32_e32 v87, v90, v84, vcc_lo
; %bb.40:
	s_or_b32 exec_lo, exec_lo, s3
	v_and_b32_e32 v84, 0x7f800000, v80
	s_delay_alu instid0(VALU_DEP_1) | instskip(SKIP_1) | instid1(SALU_CYCLE_1)
	v_cmp_ne_u32_e32 vcc_lo, 0x7f800000, v84
                                        ; implicit-def: $vgpr84
	s_and_saveexec_b32 s3, vcc_lo
	s_xor_b32 s3, exec_lo, s3
; %bb.41:
	v_bfe_u32 v84, v80, 16, 1
	s_delay_alu instid0(VALU_DEP_1)
	v_add3_u32 v84, v80, v84, 0x7fff
                                        ; implicit-def: $vgpr80
; %bb.42:
	s_and_not1_saveexec_b32 s3, s3
; %bb.43:
	v_and_b32_e32 v84, 0xffff, v80
	v_or_b32_e32 v90, 0x10000, v80
	s_delay_alu instid0(VALU_DEP_2) | instskip(NEXT) | instid1(VALU_DEP_2)
	v_cmp_eq_u32_e32 vcc_lo, 0, v84
	v_cndmask_b32_e32 v84, v90, v80, vcc_lo
; %bb.44:
	s_or_b32 exec_lo, exec_lo, s3
	s_load_b64 s[34:35], s[0:1], 0x94
	v_lshlrev_b32_e32 v91, 4, v74
	s_delay_alu instid0(VALU_DEP_2)
	v_perm_b32 v90, v84, v87, 0x7060302
	v_dual_mul_f32 v79, v82, v79 :: v_dual_lshlrev_b32 v80, 6, v65
	v_dual_mul_f32 v77, v82, v77 :: v_dual_lshlrev_b32 v92, 11, v66
	v_mul_f32_e32 v84, v82, v70
	v_perm_b32 v89, v88, v89, 0x7060302
	v_perm_b32 v88, v86, v85, 0x7060302
	v_perm_b32 v87, v83, v76, 0x7060302
	v_mul_f32_e32 v70, v82, v81
	v_or3_b32 v76, v91, v92, v80
	v_dual_mul_f32 v78, v82, v78 :: v_dual_and_b32 v85, 0x7f800000, v84
	v_mul_f32_e32 v83, v82, v72
	v_mul_f32_e32 v81, v82, v71
	v_mul_f32_e32 v72, v82, v69
	s_mov_b32 s3, exec_lo
	ds_store_b128 v76, v[87:90]
                                        ; implicit-def: $vgpr69
	v_cmpx_ne_u32_e32 0x7f800000, v85
	s_xor_b32 s3, exec_lo, s3
; %bb.45:
	v_bfe_u32 v69, v84, 16, 1
	s_delay_alu instid0(VALU_DEP_1)
	v_add3_u32 v69, v84, v69, 0x7fff
                                        ; implicit-def: $vgpr84
; %bb.46:
	s_and_not1_saveexec_b32 s3, s3
; %bb.47:
	v_and_b32_e32 v69, 0xffff, v84
	v_or_b32_e32 v71, 0x10000, v84
	s_delay_alu instid0(VALU_DEP_2) | instskip(NEXT) | instid1(VALU_DEP_2)
	v_cmp_eq_u32_e32 vcc_lo, 0, v69
	v_cndmask_b32_e32 v69, v71, v84, vcc_lo
; %bb.48:
	s_or_b32 exec_lo, exec_lo, s3
	v_and_b32_e32 v71, 0x7f800000, v72
	s_delay_alu instid0(VALU_DEP_1) | instskip(SKIP_1) | instid1(SALU_CYCLE_1)
	v_cmp_ne_u32_e32 vcc_lo, 0x7f800000, v71
                                        ; implicit-def: $vgpr71
	s_and_saveexec_b32 s3, vcc_lo
	s_xor_b32 s3, exec_lo, s3
; %bb.49:
	v_bfe_u32 v71, v72, 16, 1
	s_delay_alu instid0(VALU_DEP_1)
	v_add3_u32 v71, v72, v71, 0x7fff
                                        ; implicit-def: $vgpr72
; %bb.50:
	s_and_not1_saveexec_b32 s3, s3
; %bb.51:
	v_and_b32_e32 v71, 0xffff, v72
	v_or_b32_e32 v82, 0x10000, v72
	s_delay_alu instid0(VALU_DEP_2) | instskip(NEXT) | instid1(VALU_DEP_2)
	v_cmp_eq_u32_e32 vcc_lo, 0, v71
	v_cndmask_b32_e32 v71, v82, v72, vcc_lo
; %bb.52:
	s_or_b32 exec_lo, exec_lo, s3
	v_and_b32_e32 v72, 0x7f800000, v81
	s_delay_alu instid0(VALU_DEP_1) | instskip(SKIP_1) | instid1(SALU_CYCLE_1)
	v_cmp_ne_u32_e32 vcc_lo, 0x7f800000, v72
                                        ; implicit-def: $vgpr72
	s_and_saveexec_b32 s3, vcc_lo
	s_xor_b32 s3, exec_lo, s3
; %bb.53:
	v_bfe_u32 v72, v81, 16, 1
	s_delay_alu instid0(VALU_DEP_1)
	v_add3_u32 v72, v81, v72, 0x7fff
                                        ; implicit-def: $vgpr81
; %bb.54:
	s_and_not1_saveexec_b32 s3, s3
; %bb.55:
	v_and_b32_e32 v72, 0xffff, v81
	v_or_b32_e32 v82, 0x10000, v81
	s_delay_alu instid0(VALU_DEP_2) | instskip(NEXT) | instid1(VALU_DEP_2)
	v_cmp_eq_u32_e32 vcc_lo, 0, v72
	v_cndmask_b32_e32 v72, v82, v81, vcc_lo
; %bb.56:
	s_or_b32 exec_lo, exec_lo, s3
	v_and_b32_e32 v81, 0x7f800000, v83
	s_delay_alu instid0(VALU_DEP_1) | instskip(SKIP_1) | instid1(SALU_CYCLE_1)
	v_cmp_ne_u32_e32 vcc_lo, 0x7f800000, v81
                                        ; implicit-def: $vgpr81
	s_and_saveexec_b32 s3, vcc_lo
	s_xor_b32 s3, exec_lo, s3
; %bb.57:
	v_bfe_u32 v81, v83, 16, 1
	s_delay_alu instid0(VALU_DEP_1)
	v_add3_u32 v81, v83, v81, 0x7fff
                                        ; implicit-def: $vgpr83
; %bb.58:
	s_and_not1_saveexec_b32 s3, s3
; %bb.59:
	v_and_b32_e32 v81, 0xffff, v83
	v_or_b32_e32 v82, 0x10000, v83
	s_delay_alu instid0(VALU_DEP_2) | instskip(NEXT) | instid1(VALU_DEP_2)
	v_cmp_eq_u32_e32 vcc_lo, 0, v81
	v_cndmask_b32_e32 v81, v82, v83, vcc_lo
; %bb.60:
	s_or_b32 exec_lo, exec_lo, s3
	v_and_b32_e32 v82, 0x7f800000, v77
	s_delay_alu instid0(VALU_DEP_1) | instskip(SKIP_1) | instid1(SALU_CYCLE_1)
	v_cmp_ne_u32_e32 vcc_lo, 0x7f800000, v82
                                        ; implicit-def: $vgpr82
	s_and_saveexec_b32 s3, vcc_lo
	s_xor_b32 s3, exec_lo, s3
; %bb.61:
	v_bfe_u32 v82, v77, 16, 1
	s_delay_alu instid0(VALU_DEP_1)
	v_add3_u32 v82, v77, v82, 0x7fff
                                        ; implicit-def: $vgpr77
; %bb.62:
	s_and_not1_saveexec_b32 s3, s3
; %bb.63:
	v_and_b32_e32 v82, 0xffff, v77
	v_or_b32_e32 v83, 0x10000, v77
	s_delay_alu instid0(VALU_DEP_2) | instskip(NEXT) | instid1(VALU_DEP_2)
	v_cmp_eq_u32_e32 vcc_lo, 0, v82
	v_cndmask_b32_e32 v82, v83, v77, vcc_lo
; %bb.64:
	s_or_b32 exec_lo, exec_lo, s3
	v_and_b32_e32 v77, 0x7f800000, v78
	s_delay_alu instid0(VALU_DEP_1) | instskip(SKIP_1) | instid1(SALU_CYCLE_1)
	v_cmp_ne_u32_e32 vcc_lo, 0x7f800000, v77
                                        ; implicit-def: $vgpr77
	s_and_saveexec_b32 s3, vcc_lo
	s_xor_b32 s3, exec_lo, s3
; %bb.65:
	v_bfe_u32 v77, v78, 16, 1
	s_delay_alu instid0(VALU_DEP_1)
	v_add3_u32 v77, v78, v77, 0x7fff
                                        ; implicit-def: $vgpr78
; %bb.66:
	s_and_not1_saveexec_b32 s3, s3
; %bb.67:
	v_and_b32_e32 v77, 0xffff, v78
	v_or_b32_e32 v83, 0x10000, v78
	s_delay_alu instid0(VALU_DEP_2) | instskip(NEXT) | instid1(VALU_DEP_2)
	v_cmp_eq_u32_e32 vcc_lo, 0, v77
	v_cndmask_b32_e32 v77, v83, v78, vcc_lo
; %bb.68:
	s_or_b32 exec_lo, exec_lo, s3
	v_and_b32_e32 v78, 0x7f800000, v79
	s_delay_alu instid0(VALU_DEP_1) | instskip(SKIP_1) | instid1(SALU_CYCLE_1)
	v_cmp_ne_u32_e32 vcc_lo, 0x7f800000, v78
                                        ; implicit-def: $vgpr78
	s_and_saveexec_b32 s3, vcc_lo
	s_xor_b32 s3, exec_lo, s3
; %bb.69:
	v_bfe_u32 v78, v79, 16, 1
	s_delay_alu instid0(VALU_DEP_1)
	v_add3_u32 v78, v79, v78, 0x7fff
                                        ; implicit-def: $vgpr79
; %bb.70:
	s_and_not1_saveexec_b32 s3, s3
; %bb.71:
	v_and_b32_e32 v78, 0xffff, v79
	v_or_b32_e32 v83, 0x10000, v79
	s_delay_alu instid0(VALU_DEP_2) | instskip(NEXT) | instid1(VALU_DEP_2)
	v_cmp_eq_u32_e32 vcc_lo, 0, v78
	v_cndmask_b32_e32 v78, v83, v79, vcc_lo
; %bb.72:
	s_or_b32 exec_lo, exec_lo, s3
	v_and_b32_e32 v79, 0x7f800000, v70
	s_delay_alu instid0(VALU_DEP_1) | instskip(SKIP_1) | instid1(SALU_CYCLE_1)
	v_cmp_ne_u32_e32 vcc_lo, 0x7f800000, v79
                                        ; implicit-def: $vgpr79
	s_and_saveexec_b32 s3, vcc_lo
	s_xor_b32 s3, exec_lo, s3
; %bb.73:
	v_bfe_u32 v79, v70, 16, 1
	s_delay_alu instid0(VALU_DEP_1)
	v_add3_u32 v79, v70, v79, 0x7fff
                                        ; implicit-def: $vgpr70
; %bb.74:
	s_and_not1_saveexec_b32 s3, s3
; %bb.75:
	v_and_b32_e32 v79, 0xffff, v70
	v_or_b32_e32 v83, 0x10000, v70
	s_delay_alu instid0(VALU_DEP_2) | instskip(NEXT) | instid1(VALU_DEP_2)
	v_cmp_eq_u32_e32 vcc_lo, 0, v79
	v_cndmask_b32_e32 v79, v83, v70, vcc_lo
; %bb.76:
	s_or_b32 exec_lo, exec_lo, s3
	s_delay_alu instid0(VALU_DEP_1)
	v_perm_b32 v86, v79, v78, 0x7060302
	v_perm_b32 v85, v77, v82, 0x7060302
	;; [unrolled: 1-line block ×4, first 2 shown]
	v_lshl_or_b32 v82, v66, 11, v80
	ds_store_b128 v76, v[83:86] offset:1024
	s_waitcnt lgkmcnt(0)
	s_barrier
	buffer_gl0_inv
	ds_load_b128 v[69:72], v82
	ds_load_b128 v[83:86], v82 offset:16
	s_waitcnt lgkmcnt(1)
	v_lshrrev_b32_e32 v66, 16, v69
	s_waitcnt lgkmcnt(0)
	v_lshrrev_b32_e32 v91, 16, v83
	v_lshlrev_b32_e32 v78, 2, v74
	v_lshrrev_b32_e32 v95, 16, v70
	v_lshrrev_b32_e32 v98, 16, v84
	v_lshrrev_b32_e32 v96, 16, v71
	v_lshrrev_b32_e32 v99, 16, v85
	v_cmp_eq_u32_e32 vcc_lo, 1, v78
	v_lshrrev_b32_e32 v97, 16, v72
	v_lshrrev_b32_e32 v100, 16, v86
	v_cndmask_b32_e32 v87, v83, v91, vcc_lo
	v_or_b32_e32 v79, 1, v78
	v_cndmask_b32_e32 v81, v69, v66, vcc_lo
	v_cmp_eq_u32_e64 s4, 2, v78
	v_cmp_eq_u32_e64 s7, 3, v78
	;; [unrolled: 1-line block ×5, first 2 shown]
	v_cndmask_b32_e64 v81, v81, v70, s4
	v_cndmask_b32_e64 v87, v87, v84, s4
	v_cmp_eq_u32_e64 s8, 3, v79
	v_cndmask_b32_e64 v88, v69, v66, s3
	v_or_b32_e32 v77, 2, v78
	v_cndmask_b32_e64 v81, v81, v95, s7
	v_cndmask_b32_e64 v87, v87, v98, s7
	;; [unrolled: 1-line block ×4, first 2 shown]
	v_cmp_eq_u32_e64 s10, 5, v78
	v_cndmask_b32_e64 v81, v81, v71, s9
	v_cndmask_b32_e64 v87, v87, v85, s9
	v_cmp_eq_u32_e64 s11, 4, v79
	v_cndmask_b32_e64 v88, v88, v95, s8
	v_cmp_eq_u32_e64 s5, 1, v77
	v_cndmask_b32_e64 v89, v89, v84, s6
	v_cndmask_b32_e64 v81, v81, v96, s10
	v_cmp_eq_u32_e64 s12, 6, v78
	v_cndmask_b32_e64 v88, v88, v71, s11
	;; [unrolled: 3-line block ×3, first 2 shown]
	v_cndmask_b32_e64 v89, v89, v98, s8
	v_cndmask_b32_e64 v81, v81, v72, s12
	v_cmp_eq_u32_e64 s15, 7, v78
	v_cndmask_b32_e64 v88, v88, v96, s13
	v_cndmask_b32_e64 v87, v87, v86, s12
	v_cmp_eq_u32_e64 s16, 6, v79
	v_cmp_eq_u32_e64 s17, 2, v77
	v_cndmask_b32_e64 v89, v89, v85, s11
	v_cndmask_b32_e64 v101, v81, v97, s15
	;; [unrolled: 1-line block ×6, first 2 shown]
	v_cmp_eq_u32_e64 s18, 7, v79
	v_cmp_eq_u32_e64 s19, 3, v77
	;; [unrolled: 1-line block ×4, first 2 shown]
	v_cndmask_b32_e64 v87, v87, v84, s17
	v_cndmask_b32_e64 v103, v88, v97, s18
	;; [unrolled: 1-line block ×4, first 2 shown]
	v_or_b32_e32 v81, 3, v78
	v_cndmask_b32_e64 v93, v87, v98, s19
	v_cmp_eq_u32_e64 s24, 6, v77
	v_cndmask_b32_e64 v104, v88, v86, s16
	v_cndmask_b32_e64 v92, v89, v71, s20
	v_cmp_eq_u32_e64 s21, 1, v81
	ds_load_b128 v[87:90], v82 offset:1024
	v_cmp_eq_u32_e64 s23, 2, v81
	v_cmp_eq_u32_e64 s25, 3, v81
	v_cndmask_b32_e64 v105, v92, v96, s22
	v_cndmask_b32_e64 v66, v69, v66, s21
	;; [unrolled: 1-line block ×4, first 2 shown]
	ds_load_b128 v[91:94], v82 offset:1040
	v_cmp_eq_u32_e64 s26, 4, v81
	v_cndmask_b32_e64 v66, v66, v70, s23
	v_cmp_eq_u32_e64 s27, 7, v77
	v_cndmask_b32_e64 v70, v83, v84, s23
	v_cndmask_b32_e64 v84, v105, v72, s24
	v_cmp_eq_u32_e64 s28, 5, v81
	v_cndmask_b32_e64 v66, v66, v95, s25
	v_cmp_eq_u32_e64 s29, 6, v81
	v_cndmask_b32_e64 v70, v70, v98, s25
	v_cndmask_b32_e64 v69, v69, v99, s22
	;; [unrolled: 1-line block ×4, first 2 shown]
	s_waitcnt lgkmcnt(1)
	v_lshrrev_b32_e32 v95, 16, v87
	v_cndmask_b32_e64 v70, v70, v85, s26
	v_cndmask_b32_e64 v71, v84, v97, s27
	;; [unrolled: 1-line block ×4, first 2 shown]
	v_cndmask_b32_e32 v84, v87, v95, vcc_lo
	v_cndmask_b32_e64 v70, v70, v99, s28
	s_waitcnt lgkmcnt(0)
	v_lshrrev_b32_e32 v85, 16, v91
	v_lshrrev_b32_e32 v96, 16, v88
	v_cndmask_b32_e64 v98, v87, v95, s3
	v_cndmask_b32_e64 v84, v84, v88, s4
	;; [unrolled: 1-line block ×3, first 2 shown]
	v_cndmask_b32_e32 v99, v91, v85, vcc_lo
	v_cmp_eq_u32_e32 vcc_lo, 7, v81
	v_cndmask_b32_e64 v66, v66, v72, s29
	v_cndmask_b32_e64 v72, v84, v96, s7
	;; [unrolled: 1-line block ×3, first 2 shown]
	v_lshrrev_b32_e32 v98, 16, v92
	v_cndmask_b32_e32 v70, v70, v100, vcc_lo
	v_cndmask_b32_e64 v86, v99, v92, s4
	v_cndmask_b32_e64 v69, v69, v100, s27
	v_lshrrev_b32_e32 v100, 16, v93
	v_cndmask_b32_e64 v72, v72, v89, s9
	v_lshrrev_b32_e32 v99, 16, v89
	v_cndmask_b32_e64 v86, v86, v98, s7
	v_perm_b32 v71, v69, v71, 0x5040100
	v_cndmask_b32_e64 v84, v84, v96, s8
	s_delay_alu instid0(VALU_DEP_3) | instskip(NEXT) | instid1(VALU_DEP_2)
	v_cndmask_b32_e64 v86, v86, v93, s9
	v_cndmask_b32_e64 v84, v84, v89, s11
	s_delay_alu instid0(VALU_DEP_2) | instskip(NEXT) | instid1(VALU_DEP_1)
	v_cndmask_b32_e64 v86, v86, v100, s10
	v_cndmask_b32_e64 v69, v86, v94, s12
	;; [unrolled: 1-line block ×5, first 2 shown]
	s_delay_alu instid0(VALU_DEP_3) | instskip(NEXT) | instid1(VALU_DEP_3)
	v_cndmask_b32_e64 v86, v86, v88, s17
	v_cndmask_b32_e64 v87, v87, v88, s23
	s_delay_alu instid0(VALU_DEP_3) | instskip(NEXT) | instid1(VALU_DEP_3)
	v_cndmask_b32_e64 v88, v95, v92, s23
	v_cndmask_b32_e64 v86, v86, v96, s19
	;; [unrolled: 3-line block ×7, first 2 shown]
	s_delay_alu instid0(VALU_DEP_3) | instskip(SKIP_2) | instid1(VALU_DEP_2)
	v_cndmask_b32_e64 v88, v88, v94, s29
	v_cndmask_b32_e32 v66, v66, v97, vcc_lo
	v_cndmask_b32_e64 v97, v72, v99, s10
	v_perm_b32 v72, v70, v66, 0x5040100
	v_perm_b32 v70, v83, v103, 0x5040100
	v_cndmask_b32_e64 v103, v91, v85, s5
	v_cndmask_b32_e64 v85, v91, v85, s3
	;; [unrolled: 1-line block ×4, first 2 shown]
	v_lshrrev_b32_e32 v97, 16, v90
	v_cndmask_b32_e64 v91, v103, v92, s17
	v_cndmask_b32_e64 v85, v85, v92, s6
	;; [unrolled: 1-line block ×3, first 2 shown]
	s_mov_b32 s3, exec_lo
	v_cndmask_b32_e64 v83, v84, v97, s15
	v_cndmask_b32_e64 v91, v91, v98, s19
	;; [unrolled: 1-line block ×3, first 2 shown]
	v_lshrrev_b32_e32 v84, 16, v94
	v_cndmask_b32_e64 v66, v66, v97, s18
	v_cndmask_b32_e64 v90, v86, v97, s27
	;; [unrolled: 1-line block ×4, first 2 shown]
	v_dual_cndmask_b32 v86, v87, v97 :: v_dual_cndmask_b32 v87, v88, v84
	v_cndmask_b32_e64 v91, v69, v84, s15
	s_delay_alu instid0(VALU_DEP_4) | instskip(NEXT) | instid1(VALU_DEP_4)
	v_cndmask_b32_e64 v89, v89, v100, s22
	v_cndmask_b32_e64 v85, v85, v100, s13
	v_perm_b32 v69, v102, v101, 0x5040100
	v_perm_b32 v86, v87, v86, 0x5040100
	;; [unrolled: 1-line block ×3, first 2 shown]
	v_cndmask_b32_e64 v89, v89, v94, s24
	v_cndmask_b32_e64 v85, v85, v94, s16
	s_mul_i32 s8, s35, 3
	s_delay_alu instid0(VALU_DEP_2) | instskip(NEXT) | instid1(VALU_DEP_2)
	v_cndmask_b32_e64 v88, v89, v84, s27
	v_cndmask_b32_e64 v89, v85, v84, s18
	s_delay_alu instid0(VALU_DEP_2) | instskip(NEXT) | instid1(VALU_DEP_2)
	v_perm_b32 v85, v88, v90, 0x5040100
	v_perm_b32 v84, v89, v66, 0x5040100
	ds_store_b128 v76, v[69:72]
	ds_store_b128 v76, v[83:86] offset:1024
	v_cmpx_gt_u32_e32 3, v0
	s_cbranch_execz .LBB1856_78
; %bb.77:
	s_mul_i32 s4, s8, s30
	s_delay_alu instid0(SALU_CYCLE_1) | instskip(SKIP_1) | instid1(VALU_DEP_1)
	v_add3_u32 v69, s4, s31, v65
	s_load_b128 s[4:7], s[0:1], 0x58
	v_mad_u64_u32 v[65:66], null, v69, s34, s[14:15]
	s_delay_alu instid0(VALU_DEP_1) | instskip(NEXT) | instid1(VALU_DEP_1)
	v_ashrrev_i32_e32 v66, 31, v65
	v_lshlrev_b64 v[65:66], 2, v[65:66]
	s_waitcnt lgkmcnt(0)
	s_delay_alu instid0(VALU_DEP_1) | instskip(NEXT) | instid1(VALU_DEP_2)
	v_add_co_u32 v69, vcc_lo, s6, v65
	v_add_co_ci_u32_e32 v70, vcc_lo, s7, v66, vcc_lo
	v_add_co_u32 v65, vcc_lo, s4, v65
	v_add_co_ci_u32_e32 v66, vcc_lo, s5, v66, vcc_lo
	global_store_b32 v[69:70], v67, off
	global_store_b32 v[65:66], v68, off
.LBB1856_78:
	s_or_b32 exec_lo, exec_lo, s3
	s_waitcnt lgkmcnt(0)
	s_waitcnt_vscnt null, 0x0
	s_barrier
	buffer_gl0_inv
	ds_load_b128 v[83:86], v80
	ds_load_b128 v[87:90], v80 offset:16
	ds_load_b128 v[95:98], v80 offset:2064
	;; [unrolled: 1-line block ×3, first 2 shown]
	v_mov_b32_e32 v65, 0
	ds_load_b128 v[103:106], v80 offset:4112
	ds_load_b128 v[99:102], v80 offset:4096
	;; [unrolled: 1-line block ×4, first 2 shown]
	v_mov_b32_e32 v66, v65
	v_mov_b32_e32 v67, v65
	;; [unrolled: 1-line block ×7, first 2 shown]
	s_waitcnt lgkmcnt(6)
	s_delay_alu instid0(VALU_DEP_1)
	v_wmma_f32_16x16x16_bf16 v[65:72], v[41:48], v[83:90], v[65:72]
	ds_load_b128 v[45:48], v80 offset:8208
	ds_load_b128 v[41:44], v80 offset:8192
	s_waitcnt lgkmcnt(6)
	v_wmma_f32_16x16x16_bf16 v[65:72], v[33:40], v[91:98], v[65:72]
	ds_load_b128 v[37:40], v80 offset:10256
	ds_load_b128 v[33:36], v80 offset:10240
	s_waitcnt lgkmcnt(6)
	;; [unrolled: 4-line block ×4, first 2 shown]
	v_wmma_f32_16x16x16_bf16 v[65:72], v[1:8], v[41:48], v[65:72]
	s_waitcnt lgkmcnt(4)
	s_delay_alu instid0(VALU_DEP_1) | instskip(SKIP_1) | instid1(VALU_DEP_1)
	v_wmma_f32_16x16x16_bf16 v[65:72], v[9:16], v[33:40], v[65:72]
	s_waitcnt lgkmcnt(2)
	v_wmma_f32_16x16x16_bf16 v[65:72], v[57:64], v[25:32], v[65:72]
	s_waitcnt lgkmcnt(0)
	s_delay_alu instid0(VALU_DEP_1) | instskip(NEXT) | instid1(VALU_DEP_1)
	v_wmma_f32_16x16x16_bf16 v[65:72], v[49:56], v[17:24], v[65:72]
	v_and_b32_e32 v1, 0x7f800000, v65
	s_delay_alu instid0(VALU_DEP_1) | instskip(SKIP_1) | instid1(SALU_CYCLE_1)
	v_cmp_ne_u32_e32 vcc_lo, 0x7f800000, v1
                                        ; implicit-def: $vgpr1
	s_and_saveexec_b32 s3, vcc_lo
	s_xor_b32 s3, exec_lo, s3
; %bb.79:
	v_bfe_u32 v1, v65, 16, 1
	s_delay_alu instid0(VALU_DEP_1)
	v_add3_u32 v1, v65, v1, 0x7fff
; %bb.80:
	s_and_not1_saveexec_b32 s3, s3
; %bb.81:
	v_and_b32_e32 v1, 0xffff, v65
	v_or_b32_e32 v2, 0x10000, v65
	s_delay_alu instid0(VALU_DEP_2) | instskip(NEXT) | instid1(VALU_DEP_2)
	v_cmp_eq_u32_e32 vcc_lo, 0, v1
	v_cndmask_b32_e32 v1, v2, v65, vcc_lo
; %bb.82:
	s_or_b32 exec_lo, exec_lo, s3
	v_and_b32_e32 v2, 0x7f800000, v66
	s_delay_alu instid0(VALU_DEP_1) | instskip(SKIP_1) | instid1(SALU_CYCLE_1)
	v_cmp_ne_u32_e32 vcc_lo, 0x7f800000, v2
                                        ; implicit-def: $vgpr2
	s_and_saveexec_b32 s3, vcc_lo
	s_xor_b32 s3, exec_lo, s3
; %bb.83:
	v_bfe_u32 v2, v66, 16, 1
	s_delay_alu instid0(VALU_DEP_1)
	v_add3_u32 v2, v66, v2, 0x7fff
; %bb.84:
	s_and_not1_saveexec_b32 s3, s3
; %bb.85:
	v_and_b32_e32 v2, 0xffff, v66
	v_or_b32_e32 v3, 0x10000, v66
	s_delay_alu instid0(VALU_DEP_2) | instskip(NEXT) | instid1(VALU_DEP_2)
	v_cmp_eq_u32_e32 vcc_lo, 0, v2
	v_cndmask_b32_e32 v2, v3, v66, vcc_lo
; %bb.86:
	s_or_b32 exec_lo, exec_lo, s3
	v_and_b32_e32 v3, 0x7f800000, v67
	s_delay_alu instid0(VALU_DEP_1) | instskip(SKIP_1) | instid1(SALU_CYCLE_1)
	v_cmp_ne_u32_e32 vcc_lo, 0x7f800000, v3
                                        ; implicit-def: $vgpr3
	s_and_saveexec_b32 s3, vcc_lo
	s_xor_b32 s3, exec_lo, s3
; %bb.87:
	v_bfe_u32 v3, v67, 16, 1
	s_delay_alu instid0(VALU_DEP_1)
	v_add3_u32 v3, v67, v3, 0x7fff
; %bb.88:
	s_and_not1_saveexec_b32 s3, s3
; %bb.89:
	v_and_b32_e32 v3, 0xffff, v67
	v_or_b32_e32 v4, 0x10000, v67
	s_delay_alu instid0(VALU_DEP_2) | instskip(NEXT) | instid1(VALU_DEP_2)
	v_cmp_eq_u32_e32 vcc_lo, 0, v3
	v_cndmask_b32_e32 v3, v4, v67, vcc_lo
; %bb.90:
	s_or_b32 exec_lo, exec_lo, s3
	v_and_b32_e32 v4, 0x7f800000, v68
	s_delay_alu instid0(VALU_DEP_1) | instskip(SKIP_1) | instid1(SALU_CYCLE_1)
	v_cmp_ne_u32_e32 vcc_lo, 0x7f800000, v4
                                        ; implicit-def: $vgpr4
	s_and_saveexec_b32 s3, vcc_lo
	s_xor_b32 s3, exec_lo, s3
; %bb.91:
	v_bfe_u32 v4, v68, 16, 1
	s_delay_alu instid0(VALU_DEP_1)
	v_add3_u32 v4, v68, v4, 0x7fff
; %bb.92:
	s_and_not1_saveexec_b32 s3, s3
; %bb.93:
	v_and_b32_e32 v4, 0xffff, v68
	v_or_b32_e32 v5, 0x10000, v68
	s_delay_alu instid0(VALU_DEP_2) | instskip(NEXT) | instid1(VALU_DEP_2)
	v_cmp_eq_u32_e32 vcc_lo, 0, v4
	v_cndmask_b32_e32 v4, v5, v68, vcc_lo
; %bb.94:
	s_or_b32 exec_lo, exec_lo, s3
	v_and_b32_e32 v5, 0x7f800000, v69
	s_delay_alu instid0(VALU_DEP_1) | instskip(SKIP_1) | instid1(SALU_CYCLE_1)
	v_cmp_ne_u32_e32 vcc_lo, 0x7f800000, v5
                                        ; implicit-def: $vgpr5
	s_and_saveexec_b32 s3, vcc_lo
	s_xor_b32 s3, exec_lo, s3
; %bb.95:
	v_bfe_u32 v5, v69, 16, 1
	s_delay_alu instid0(VALU_DEP_1)
	v_add3_u32 v5, v69, v5, 0x7fff
; %bb.96:
	s_and_not1_saveexec_b32 s3, s3
; %bb.97:
	v_and_b32_e32 v5, 0xffff, v69
	v_or_b32_e32 v6, 0x10000, v69
	s_delay_alu instid0(VALU_DEP_2) | instskip(NEXT) | instid1(VALU_DEP_2)
	v_cmp_eq_u32_e32 vcc_lo, 0, v5
	v_cndmask_b32_e32 v5, v6, v69, vcc_lo
; %bb.98:
	s_or_b32 exec_lo, exec_lo, s3
	v_and_b32_e32 v6, 0x7f800000, v70
	s_delay_alu instid0(VALU_DEP_1) | instskip(SKIP_1) | instid1(SALU_CYCLE_1)
	v_cmp_ne_u32_e32 vcc_lo, 0x7f800000, v6
                                        ; implicit-def: $vgpr6
	s_and_saveexec_b32 s3, vcc_lo
	s_xor_b32 s3, exec_lo, s3
; %bb.99:
	v_bfe_u32 v6, v70, 16, 1
	s_delay_alu instid0(VALU_DEP_1)
	v_add3_u32 v6, v70, v6, 0x7fff
; %bb.100:
	s_and_not1_saveexec_b32 s3, s3
; %bb.101:
	v_and_b32_e32 v6, 0xffff, v70
	v_or_b32_e32 v7, 0x10000, v70
	s_delay_alu instid0(VALU_DEP_2) | instskip(NEXT) | instid1(VALU_DEP_2)
	v_cmp_eq_u32_e32 vcc_lo, 0, v6
	v_cndmask_b32_e32 v6, v7, v70, vcc_lo
; %bb.102:
	s_or_b32 exec_lo, exec_lo, s3
	v_and_b32_e32 v7, 0x7f800000, v71
	s_delay_alu instid0(VALU_DEP_1) | instskip(SKIP_1) | instid1(SALU_CYCLE_1)
	v_cmp_ne_u32_e32 vcc_lo, 0x7f800000, v7
                                        ; implicit-def: $vgpr7
	s_and_saveexec_b32 s3, vcc_lo
	s_xor_b32 s3, exec_lo, s3
; %bb.103:
	v_bfe_u32 v7, v71, 16, 1
	s_delay_alu instid0(VALU_DEP_1)
	v_add3_u32 v7, v71, v7, 0x7fff
; %bb.104:
	s_and_not1_saveexec_b32 s3, s3
; %bb.105:
	v_and_b32_e32 v7, 0xffff, v71
	v_or_b32_e32 v8, 0x10000, v71
	s_delay_alu instid0(VALU_DEP_2) | instskip(NEXT) | instid1(VALU_DEP_2)
	v_cmp_eq_u32_e32 vcc_lo, 0, v7
	v_cndmask_b32_e32 v7, v8, v71, vcc_lo
; %bb.106:
	s_or_b32 exec_lo, exec_lo, s3
	v_and_b32_e32 v8, 0x7f800000, v72
	s_delay_alu instid0(VALU_DEP_1) | instskip(SKIP_1) | instid1(SALU_CYCLE_1)
	v_cmp_ne_u32_e32 vcc_lo, 0x7f800000, v8
                                        ; implicit-def: $vgpr8
	s_and_saveexec_b32 s3, vcc_lo
	s_xor_b32 s3, exec_lo, s3
; %bb.107:
	v_bfe_u32 v8, v72, 16, 1
	s_delay_alu instid0(VALU_DEP_1)
	v_add3_u32 v8, v72, v8, 0x7fff
                                        ; implicit-def: $vgpr65_vgpr66_vgpr67_vgpr68_vgpr69_vgpr70_vgpr71_vgpr72
; %bb.108:
	s_and_not1_saveexec_b32 s3, s3
; %bb.109:
	v_and_b32_e32 v8, 0xffff, v72
	v_or_b32_e32 v9, 0x10000, v72
	s_delay_alu instid0(VALU_DEP_2) | instskip(NEXT) | instid1(VALU_DEP_2)
	v_cmp_eq_u32_e32 vcc_lo, 0, v8
	v_cndmask_b32_e32 v8, v9, v72, vcc_lo
; %bb.110:
	s_or_b32 exec_lo, exec_lo, s3
	s_delay_alu instid0(VALU_DEP_1)
	v_perm_b32 v7, v8, v7, 0x7060302
	v_perm_b32 v6, v6, v5, 0x7060302
	;; [unrolled: 1-line block ×4, first 2 shown]
	s_barrier
	buffer_gl0_inv
	v_cmp_eq_u32_e32 vcc_lo, 1, v78
	ds_store_b128 v76, v[4:7]
	s_waitcnt lgkmcnt(0)
	s_barrier
	buffer_gl0_inv
	ds_load_b128 v[1:4], v82
	ds_load_b128 v[5:8], v82 offset:16
	v_cmp_eq_u32_e64 s3, 1, v79
	v_cmp_eq_u32_e64 s4, 2, v78
	;; [unrolled: 1-line block ×5, first 2 shown]
	s_waitcnt lgkmcnt(1)
	v_lshrrev_b32_e32 v9, 16, v1
	s_waitcnt lgkmcnt(0)
	v_lshrrev_b32_e32 v13, 16, v5
	v_lshrrev_b32_e32 v10, 16, v2
	;; [unrolled: 1-line block ×4, first 2 shown]
	v_cndmask_b32_e64 v19, v1, v9, s3
	v_cndmask_b32_e32 v18, v5, v13, vcc_lo
	v_cndmask_b32_e64 v20, v5, v13, s3
	v_cndmask_b32_e32 v17, v1, v9, vcc_lo
	v_cmp_eq_u32_e32 vcc_lo, 2, v79
	v_lshrrev_b32_e32 v15, 16, v7
	v_cmp_eq_u32_e64 s3, 1, v77
	v_lshrrev_b32_e32 v12, 16, v4
	v_lshrrev_b32_e32 v16, 16, v8
	v_cndmask_b32_e32 v20, v20, v6, vcc_lo
	v_cndmask_b32_e64 v17, v17, v2, s4
	v_cndmask_b32_e32 v19, v19, v2, vcc_lo
	v_cndmask_b32_e64 v18, v18, v6, s4
	v_cmp_eq_u32_e32 vcc_lo, 4, v78
	v_cmp_eq_u32_e64 s4, 3, v79
	v_cndmask_b32_e64 v17, v17, v10, s5
	v_cndmask_b32_e64 v21, v1, v9, s3
	;; [unrolled: 1-line block ×5, first 2 shown]
	v_cndmask_b32_e32 v17, v17, v3, vcc_lo
	v_cndmask_b32_e64 v20, v20, v14, s4
	v_cndmask_b32_e32 v18, v18, v7, vcc_lo
	v_cmp_eq_u32_e32 vcc_lo, 4, v79
	v_cmp_eq_u32_e64 s4, 5, v79
	v_cmp_eq_u32_e64 s3, 2, v81
	v_cndmask_b32_e64 v21, v21, v2, s7
	v_cmp_eq_u32_e64 s5, 5, v78
	v_cndmask_b32_e32 v19, v19, v3, vcc_lo
	v_cndmask_b32_e32 v20, v20, v7, vcc_lo
	v_cmp_eq_u32_e32 vcc_lo, 6, v79
	s_delay_alu instid0(VALU_DEP_4) | instskip(NEXT) | instid1(VALU_DEP_4)
	v_cndmask_b32_e64 v17, v17, v11, s5
	v_cndmask_b32_e64 v19, v19, v11, s4
	s_delay_alu instid0(VALU_DEP_4) | instskip(SKIP_1) | instid1(VALU_DEP_3)
	v_cndmask_b32_e64 v20, v20, v15, s4
	v_cmp_eq_u32_e64 s4, 1, v81
	v_cndmask_b32_e32 v19, v19, v4, vcc_lo
	v_cndmask_b32_e64 v18, v18, v15, s5
	s_delay_alu instid0(VALU_DEP_3)
	v_cndmask_b32_e64 v1, v1, v9, s4
	v_cndmask_b32_e64 v5, v5, v13, s4
	v_cmp_eq_u32_e64 s4, 3, v77
	v_cndmask_b32_e64 v13, v22, v6, s7
	v_cmp_eq_u32_e64 s7, 3, v81
	v_cndmask_b32_e64 v1, v1, v2, s3
	v_cndmask_b32_e64 v2, v5, v6, s3
	;; [unrolled: 1-line block ×3, first 2 shown]
	v_cmp_eq_u32_e64 s3, 4, v77
	v_cndmask_b32_e64 v6, v13, v14, s4
	v_cndmask_b32_e64 v1, v1, v10, s7
	v_cmp_eq_u32_e64 s4, 4, v81
	v_cndmask_b32_e64 v2, v2, v14, s7
	v_cndmask_b32_e64 v5, v9, v3, s3
	;; [unrolled: 3-line block ×3, first 2 shown]
	v_cndmask_b32_e64 v2, v2, v7, s4
	v_cmp_eq_u32_e64 s3, 5, v81
	v_cmp_eq_u32_e64 s5, 6, v78
	v_cndmask_b32_e64 v5, v5, v11, s7
	v_cmp_eq_u32_e64 s4, 6, v77
	v_cndmask_b32_e64 v3, v6, v15, s7
	v_cndmask_b32_e64 v1, v1, v11, s3
	v_cmp_eq_u32_e64 s7, 6, v81
	v_cndmask_b32_e64 v2, v2, v15, s3
	v_cndmask_b32_e64 v17, v17, v4, s5
	v_cndmask_b32_e64 v18, v18, v8, s5
	v_cmp_eq_u32_e64 s5, 7, v78
	v_cndmask_b32_e64 v5, v5, v4, s4
	;; [unrolled: 4-line block ×3, first 2 shown]
	v_cmp_eq_u32_e64 s4, 7, v77
	v_cndmask_b32_e32 v4, v20, v8, vcc_lo
	v_cndmask_b32_e64 v17, v17, v12, s5
	v_cndmask_b32_e64 v19, v19, v12, s6
	;; [unrolled: 1-line block ×8, first 2 shown]
	s_mov_b32 s3, exec_lo
	v_perm_b32 v4, v2, v1, 0x5040100
	v_perm_b32 v3, v3, v5, 0x5040100
	;; [unrolled: 1-line block ×4, first 2 shown]
	ds_store_b128 v76, v[1:4]
	s_waitcnt lgkmcnt(0)
	s_barrier
	buffer_gl0_inv
	v_cmpx_gt_u32_e32 32, v0
	s_cbranch_execz .LBB1856_2
; %bb.111:
	s_load_b64 s[4:5], s[0:1], 0x68
	v_lshlrev_b32_e32 v0, 10, v0
	v_lshlrev_b32_e32 v2, 4, v75
	v_add_nc_u32_e32 v1, s31, v74
	s_lshl_b32 s0, s34, 7
	s_delay_alu instid0(SALU_CYCLE_1) | instskip(NEXT) | instid1(VALU_DEP_2)
	s_mul_i32 s1, s0, s30
	v_and_or_b32 v0, 0x3800, v0, v2
	s_mul_i32 s6, s1, s8
	v_mul_lo_u32 v1, v1, s0
	s_ashr_i32 s7, s6, 31
	s_delay_alu instid0(VALU_DEP_2) | instskip(SKIP_1) | instid1(VALU_DEP_2)
	v_lshl_or_b32 v3, v74, 6, v0
	s_lshl_b64 s[6:7], s[6:7], 1
	v_ashrrev_i32_e32 v2, 31, v1
	ds_load_b128 v[3:6], v3
	s_waitcnt lgkmcnt(0)
	s_add_u32 s1, s4, s6
	s_addc_u32 s3, s5, s7
	s_lshl_b32 s4, s14, 7
	v_lshlrev_b64 v[7:8], 1, v[1:2]
	s_ashr_i32 s5, s4, 31
	s_delay_alu instid0(SALU_CYCLE_1) | instskip(NEXT) | instid1(SALU_CYCLE_1)
	s_lshl_b64 s[4:5], s[4:5], 1
	s_add_u32 s1, s1, s4
	s_addc_u32 s3, s3, s5
	v_add_co_u32 v1, s1, s1, v73
	s_delay_alu instid0(VALU_DEP_1) | instskip(NEXT) | instid1(VALU_DEP_2)
	v_add_co_ci_u32_e64 v2, null, s3, 0, s1
	v_add_co_u32 v7, vcc_lo, v1, v7
	s_delay_alu instid0(VALU_DEP_2)
	v_add_co_ci_u32_e32 v8, vcc_lo, v2, v8, vcc_lo
	global_store_b128 v[7:8], v[3:6], off
	s_and_b32 exec_lo, exec_lo, s2
	s_cbranch_execz .LBB1856_2
; %bb.112:
	ds_load_b128 v[3:6], v0 offset:128
	s_add_i32 s1, s31, 2
	s_delay_alu instid0(SALU_CYCLE_1) | instskip(NEXT) | instid1(SALU_CYCLE_1)
	s_mul_i32 s0, s1, s0
	s_ashr_i32 s1, s0, 31
	s_delay_alu instid0(SALU_CYCLE_1) | instskip(NEXT) | instid1(SALU_CYCLE_1)
	s_lshl_b64 s[0:1], s[0:1], 1
	v_add_co_u32 v0, vcc_lo, v1, s0
	v_add_co_ci_u32_e32 v1, vcc_lo, s1, v2, vcc_lo
	s_waitcnt lgkmcnt(0)
	global_store_b128 v[0:1], v[3:6], off
	s_nop 0
	s_sendmsg sendmsg(MSG_DEALLOC_VGPRS)
	s_endpgm
	.section	.rodata,"a",@progbits
	.p2align	6, 0x0
	.amdhsa_kernel _Z39paged_attention_ll4mi_QKV_mfma16_kernelI14__hip_bfloat16hLN4vllm18Fp8KVCacheDataTypeE1ES0_Li16ELi128ELi256ELb0ELi3EL8MFMAType0EEvPKT_PKT0_S9_ifPKiSB_SB_iPKfiiiPfSE_PS4_PT2_iSD_SD_
		.amdhsa_group_segment_fixed_size 17472
		.amdhsa_private_segment_fixed_size 0
		.amdhsa_kernarg_size 400
		.amdhsa_user_sgpr_count 13
		.amdhsa_user_sgpr_dispatch_ptr 0
		.amdhsa_user_sgpr_queue_ptr 0
		.amdhsa_user_sgpr_kernarg_segment_ptr 1
		.amdhsa_user_sgpr_dispatch_id 0
		.amdhsa_user_sgpr_private_segment_size 0
		.amdhsa_wavefront_size32 1
		.amdhsa_uses_dynamic_stack 0
		.amdhsa_enable_private_segment 0
		.amdhsa_system_sgpr_workgroup_id_x 1
		.amdhsa_system_sgpr_workgroup_id_y 1
		.amdhsa_system_sgpr_workgroup_id_z 1
		.amdhsa_system_sgpr_workgroup_info 0
		.amdhsa_system_vgpr_workitem_id 0
		.amdhsa_next_free_vgpr 140
		.amdhsa_next_free_sgpr 36
		.amdhsa_reserve_vcc 1
		.amdhsa_float_round_mode_32 0
		.amdhsa_float_round_mode_16_64 0
		.amdhsa_float_denorm_mode_32 3
		.amdhsa_float_denorm_mode_16_64 3
		.amdhsa_dx10_clamp 1
		.amdhsa_ieee_mode 1
		.amdhsa_fp16_overflow 0
		.amdhsa_workgroup_processor_mode 1
		.amdhsa_memory_ordered 1
		.amdhsa_forward_progress 0
		.amdhsa_shared_vgpr_count 0
		.amdhsa_exception_fp_ieee_invalid_op 0
		.amdhsa_exception_fp_denorm_src 0
		.amdhsa_exception_fp_ieee_div_zero 0
		.amdhsa_exception_fp_ieee_overflow 0
		.amdhsa_exception_fp_ieee_underflow 0
		.amdhsa_exception_fp_ieee_inexact 0
		.amdhsa_exception_int_div_zero 0
	.end_amdhsa_kernel
	.section	.text._Z39paged_attention_ll4mi_QKV_mfma16_kernelI14__hip_bfloat16hLN4vllm18Fp8KVCacheDataTypeE1ES0_Li16ELi128ELi256ELb0ELi3EL8MFMAType0EEvPKT_PKT0_S9_ifPKiSB_SB_iPKfiiiPfSE_PS4_PT2_iSD_SD_,"axG",@progbits,_Z39paged_attention_ll4mi_QKV_mfma16_kernelI14__hip_bfloat16hLN4vllm18Fp8KVCacheDataTypeE1ES0_Li16ELi128ELi256ELb0ELi3EL8MFMAType0EEvPKT_PKT0_S9_ifPKiSB_SB_iPKfiiiPfSE_PS4_PT2_iSD_SD_,comdat
.Lfunc_end1856:
	.size	_Z39paged_attention_ll4mi_QKV_mfma16_kernelI14__hip_bfloat16hLN4vllm18Fp8KVCacheDataTypeE1ES0_Li16ELi128ELi256ELb0ELi3EL8MFMAType0EEvPKT_PKT0_S9_ifPKiSB_SB_iPKfiiiPfSE_PS4_PT2_iSD_SD_, .Lfunc_end1856-_Z39paged_attention_ll4mi_QKV_mfma16_kernelI14__hip_bfloat16hLN4vllm18Fp8KVCacheDataTypeE1ES0_Li16ELi128ELi256ELb0ELi3EL8MFMAType0EEvPKT_PKT0_S9_ifPKiSB_SB_iPKfiiiPfSE_PS4_PT2_iSD_SD_
                                        ; -- End function
	.section	.AMDGPU.csdata,"",@progbits
; Kernel info:
; codeLenInByte = 8848
; NumSgprs: 38
; NumVgprs: 140
; ScratchSize: 0
; MemoryBound: 0
; FloatMode: 240
; IeeeMode: 1
; LDSByteSize: 17472 bytes/workgroup (compile time only)
; SGPRBlocks: 4
; VGPRBlocks: 17
; NumSGPRsForWavesPerEU: 38
; NumVGPRsForWavesPerEU: 140
; Occupancy: 10
; WaveLimiterHint : 1
; COMPUTE_PGM_RSRC2:SCRATCH_EN: 0
; COMPUTE_PGM_RSRC2:USER_SGPR: 13
; COMPUTE_PGM_RSRC2:TRAP_HANDLER: 0
; COMPUTE_PGM_RSRC2:TGID_X_EN: 1
; COMPUTE_PGM_RSRC2:TGID_Y_EN: 1
; COMPUTE_PGM_RSRC2:TGID_Z_EN: 1
; COMPUTE_PGM_RSRC2:TIDIG_COMP_CNT: 0
	.section	.text._Z39paged_attention_ll4mi_QKV_mfma16_kernelI14__hip_bfloat16hLN4vllm18Fp8KVCacheDataTypeE1ES0_Li16ELi128ELi256ELb0ELi4EL8MFMAType0EEvPKT_PKT0_S9_ifPKiSB_SB_iPKfiiiPfSE_PS4_PT2_iSD_SD_,"axG",@progbits,_Z39paged_attention_ll4mi_QKV_mfma16_kernelI14__hip_bfloat16hLN4vllm18Fp8KVCacheDataTypeE1ES0_Li16ELi128ELi256ELb0ELi4EL8MFMAType0EEvPKT_PKT0_S9_ifPKiSB_SB_iPKfiiiPfSE_PS4_PT2_iSD_SD_,comdat
	.protected	_Z39paged_attention_ll4mi_QKV_mfma16_kernelI14__hip_bfloat16hLN4vllm18Fp8KVCacheDataTypeE1ES0_Li16ELi128ELi256ELb0ELi4EL8MFMAType0EEvPKT_PKT0_S9_ifPKiSB_SB_iPKfiiiPfSE_PS4_PT2_iSD_SD_ ; -- Begin function _Z39paged_attention_ll4mi_QKV_mfma16_kernelI14__hip_bfloat16hLN4vllm18Fp8KVCacheDataTypeE1ES0_Li16ELi128ELi256ELb0ELi4EL8MFMAType0EEvPKT_PKT0_S9_ifPKiSB_SB_iPKfiiiPfSE_PS4_PT2_iSD_SD_
	.globl	_Z39paged_attention_ll4mi_QKV_mfma16_kernelI14__hip_bfloat16hLN4vllm18Fp8KVCacheDataTypeE1ES0_Li16ELi128ELi256ELb0ELi4EL8MFMAType0EEvPKT_PKT0_S9_ifPKiSB_SB_iPKfiiiPfSE_PS4_PT2_iSD_SD_
	.p2align	8
	.type	_Z39paged_attention_ll4mi_QKV_mfma16_kernelI14__hip_bfloat16hLN4vllm18Fp8KVCacheDataTypeE1ES0_Li16ELi128ELi256ELb0ELi4EL8MFMAType0EEvPKT_PKT0_S9_ifPKiSB_SB_iPKfiiiPfSE_PS4_PT2_iSD_SD_,@function
_Z39paged_attention_ll4mi_QKV_mfma16_kernelI14__hip_bfloat16hLN4vllm18Fp8KVCacheDataTypeE1ES0_Li16ELi128ELi256ELb0ELi4EL8MFMAType0EEvPKT_PKT0_S9_ifPKiSB_SB_iPKfiiiPfSE_PS4_PT2_iSD_SD_: ; @_Z39paged_attention_ll4mi_QKV_mfma16_kernelI14__hip_bfloat16hLN4vllm18Fp8KVCacheDataTypeE1ES0_Li16ELi128ELi256ELb0ELi4EL8MFMAType0EEvPKT_PKT0_S9_ifPKiSB_SB_iPKfiiiPfSE_PS4_PT2_iSD_SD_
; %bb.0:
	s_load_b64 s[4:5], s[0:1], 0x30
	s_mov_b32 s30, s13
	s_waitcnt lgkmcnt(0)
	s_cmp_lg_u64 s[4:5], 0
	s_cselect_b32 s13, -1, 0
	s_ashr_i32 s31, s30, 31
	s_cmp_eq_u64 s[4:5], 0
	s_cbranch_scc1 .LBB1857_3
; %bb.1:
	s_lshl_b64 s[2:3], s[30:31], 2
	s_delay_alu instid0(SALU_CYCLE_1) | instskip(SKIP_4) | instid1(SALU_CYCLE_1)
	s_add_u32 s2, s4, s2
	s_addc_u32 s3, s5, s3
	s_load_b64 s[2:3], s[2:3], 0x0
	s_waitcnt lgkmcnt(0)
	s_sub_i32 s2, s3, s2
	s_cmp_eq_u32 s2, 1
	s_cselect_b32 s2, -1, 0
	s_delay_alu instid0(SALU_CYCLE_1)
	s_and_not1_b32 vcc_lo, exec_lo, s2
	s_cbranch_vccz .LBB1857_4
.LBB1857_2:
	s_endpgm
.LBB1857_3:
.LBB1857_4:
	s_load_b64 s[2:3], s[0:1], 0x28
	s_lshl_b64 s[6:7], s[30:31], 2
	s_waitcnt lgkmcnt(0)
	s_add_u32 s2, s2, s6
	s_addc_u32 s3, s3, s7
	s_lshl_b32 s12, s14, 8
	s_load_b32 s17, s[2:3], 0x0
	s_waitcnt lgkmcnt(0)
	s_cmp_ge_i32 s12, s17
	s_cbranch_scc1 .LBB1857_2
; %bb.5:
	s_clause 0x1
	s_load_b128 s[8:11], s[0:1], 0x8
	s_load_b64 s[2:3], s[0:1], 0x20
	s_and_not1_b32 vcc_lo, exec_lo, s13
	s_cbranch_vccnz .LBB1857_7
; %bb.6:
	s_add_u32 s4, s4, s6
	s_addc_u32 s5, s5, s7
	s_load_b32 s13, s[4:5], 0x0
	s_branch .LBB1857_8
.LBB1857_7:
	s_mov_b32 s13, s30
.LBB1857_8:
	s_load_b128 s[4:7], s[0:1], 0x48
	v_and_b32_e32 v66, 15, v0
	v_lshrrev_b32_e32 v65, 5, v0
	v_and_b32_e32 v67, 31, v0
	v_and_b32_e32 v75, 1, v0
	v_bfe_u32 v74, v0, 4, 1
	v_lshlrev_b32_e32 v1, 3, v66
	s_lshl_b32 s29, s15, 2
	s_waitcnt lgkmcnt(0)
	s_mov_b32 s7, exec_lo
	s_delay_alu instid0(VALU_DEP_1)
	v_lshlrev_b32_e32 v73, 1, v1
	v_cmpx_gt_u32_e32 64, v0
	s_cbranch_execz .LBB1857_10
; %bb.9:
	v_lshl_or_b32 v5, v65, 1, v74
	s_load_b64 s[18:19], s[0:1], 0x0
	s_mul_hi_i32 s21, s13, s4
	s_mul_i32 s20, s13, s4
	v_lshlrev_b32_e32 v6, 10, v66
	v_or_b32_e32 v1, s29, v5
	s_lshl_b64 s[20:21], s[20:21], 1
	v_lshlrev_b32_e32 v5, 6, v5
	v_lshlrev_b32_e32 v7, 10, v75
	v_and_b32_e32 v6, 0x3800, v6
	v_lshlrev_b32_e32 v1, 7, v1
	s_delay_alu instid0(VALU_DEP_2) | instskip(NEXT) | instid1(VALU_DEP_2)
	v_or3_b32 v5, v6, v7, v5
	v_ashrrev_i32_e32 v2, 31, v1
	s_delay_alu instid0(VALU_DEP_1) | instskip(SKIP_3) | instid1(VALU_DEP_1)
	v_lshlrev_b64 v[1:2], 1, v[1:2]
	s_waitcnt lgkmcnt(0)
	s_add_u32 s4, s18, s20
	s_addc_u32 s13, s19, s21
	v_add_co_u32 v1, vcc_lo, s4, v1
	s_delay_alu instid0(VALU_DEP_2) | instskip(NEXT) | instid1(VALU_DEP_2)
	v_add_co_ci_u32_e32 v2, vcc_lo, s13, v2, vcc_lo
	v_add_co_u32 v1, vcc_lo, v1, v73
	s_delay_alu instid0(VALU_DEP_2)
	v_add_co_ci_u32_e32 v2, vcc_lo, 0, v2, vcc_lo
	global_load_b128 v[1:4], v[1:2], off
	s_waitcnt vmcnt(0)
	ds_store_b128 v5, v[1:4]
.LBB1857_10:
	s_or_b32 exec_lo, exec_lo, s7
	v_and_b32_e32 v1, 0xef, v0
	s_add_i32 s4, s17, 15
	s_clause 0x1
	s_load_b32 s7, s[0:1], 0x38
	s_load_b32 s18, s[0:1], 0x1c
	s_ashr_i32 s13, s4, 31
	v_add_nc_u32_e32 v1, s12, v1
	s_lshr_b32 s13, s13, 28
	s_waitcnt lgkmcnt(0)
	s_add_i32 s4, s4, s13
	s_barrier
	v_ashrrev_i32_e32 v2, 31, v1
	v_or_b32_e32 v3, 16, v1
	s_ashr_i32 s4, s4, 4
	v_cmp_gt_i32_e32 vcc_lo, s17, v1
	s_add_i32 s4, s4, -1
	v_lshrrev_b32_e32 v2, 28, v2
	buffer_gl0_inv
	s_mul_i32 s15, s15, s6
	v_add_nc_u32_e32 v4, v1, v2
	s_mul_i32 s20, s30, s7
	s_delay_alu instid0(SALU_CYCLE_1) | instskip(NEXT) | instid1(VALU_DEP_1)
	s_ashr_i32 s21, s20, 31
	v_ashrrev_i32_e32 v4, 4, v4
	v_add_nc_u32_e32 v2, v3, v2
	s_lshl_b64 s[20:21], s[20:21], 2
	s_delay_alu instid0(SALU_CYCLE_1) | instskip(NEXT) | instid1(VALU_DEP_2)
	s_add_u32 s13, s2, s20
	v_cndmask_b32_e32 v1, s4, v4, vcc_lo
	s_delay_alu instid0(VALU_DEP_2)
	v_ashrrev_i32_e32 v2, 4, v2
	v_cmp_gt_i32_e32 vcc_lo, s17, v3
	s_addc_u32 s16, s3, s21
	s_ashr_i32 s19, s15, 31
	s_add_u32 s26, s8, s15
	s_addc_u32 s27, s9, s19
	v_cndmask_b32_e32 v3, s4, v2, vcc_lo
	v_ashrrev_i32_e32 v2, 31, v1
	s_lshl_b32 s2, s14, 4
	s_delay_alu instid0(SALU_CYCLE_1) | instskip(NEXT) | instid1(VALU_DEP_2)
	s_ashr_i32 s3, s2, 31
	v_ashrrev_i32_e32 v4, 31, v3
	s_delay_alu instid0(VALU_DEP_2) | instskip(SKIP_1) | instid1(SALU_CYCLE_1)
	v_lshlrev_b64 v[1:2], 2, v[1:2]
	s_lshl_b64 s[2:3], s[2:3], 2
	s_add_u32 s2, s13, s2
	s_delay_alu instid0(VALU_DEP_2) | instskip(SKIP_1) | instid1(VALU_DEP_2)
	v_lshlrev_b64 v[3:4], 2, v[3:4]
	s_addc_u32 s3, s16, s3
	v_add_co_u32 v1, vcc_lo, s13, v1
	v_add_co_ci_u32_e32 v2, vcc_lo, s16, v2, vcc_lo
	s_delay_alu instid0(VALU_DEP_3) | instskip(NEXT) | instid1(VALU_DEP_4)
	v_add_co_u32 v3, vcc_lo, s13, v3
	v_add_co_ci_u32_e32 v4, vcc_lo, s16, v4, vcc_lo
	s_clause 0x1
	global_load_b32 v5, v[1:2], off
	global_load_b32 v3, v[3:4], off
	s_or_b32 s6, s12, 32
	s_delay_alu instid0(SALU_CYCLE_1) | instskip(SKIP_2) | instid1(SALU_CYCLE_1)
	s_ashr_i32 s7, s6, 4
	s_cmp_lt_i32 s6, s17
	s_cselect_b32 s6, s7, s4
	s_ashr_i32 s7, s6, 31
	s_delay_alu instid0(SALU_CYCLE_1) | instskip(NEXT) | instid1(SALU_CYCLE_1)
	s_lshl_b64 s[6:7], s[6:7], 2
	s_add_u32 s6, s13, s6
	s_addc_u32 s7, s16, s7
	s_or_b32 s8, s12, 64
	s_delay_alu instid0(SALU_CYCLE_1) | instskip(SKIP_2) | instid1(SALU_CYCLE_1)
	s_ashr_i32 s9, s8, 4
	s_cmp_lt_i32 s8, s17
	s_cselect_b32 s8, s9, s4
	s_ashr_i32 s9, s8, 31
	s_delay_alu instid0(SALU_CYCLE_1) | instskip(NEXT) | instid1(SALU_CYCLE_1)
	s_lshl_b64 s[8:9], s[8:9], 2
	s_add_u32 s8, s13, s8
	s_addc_u32 s9, s16, s9
	;; [unrolled: 10-line block ×5, first 2 shown]
	s_clause 0x5
	s_load_b32 s28, s[2:3], 0x0
	s_load_b32 s31, s[6:7], 0x0
	;; [unrolled: 1-line block ×6, first 2 shown]
	s_mov_b32 s20, 0
	s_or_b32 s2, s12, 0xc0
	s_mov_b32 s21, s20
	s_mov_b32 s22, s20
	;; [unrolled: 1-line block ×5, first 2 shown]
	v_lshlrev_b32_e32 v1, 4, v0
	s_ashr_i32 s3, s2, 4
	s_cmp_lt_i32 s2, s17
	s_cselect_b32 s2, s3, s4
	s_delay_alu instid0(VALU_DEP_1) | instskip(SKIP_1) | instid1(SALU_CYCLE_1)
	v_and_b32_e32 v1, 0xf0, v1
	s_ashr_i32 s3, s2, 31
	s_lshl_b64 s[2:3], s[2:3], 2
	s_delay_alu instid0(VALU_DEP_1) | instskip(NEXT) | instid1(VALU_DEP_1)
	v_add_co_u32 v1, s26, s26, v1
	v_add_co_ci_u32_e64 v2, null, s27, 0, s26
	s_add_u32 s2, s13, s2
	s_addc_u32 s3, s16, s3
	s_or_b32 s6, s12, 0xe0
	s_mov_b32 s26, s20
	s_ashr_i32 s7, s6, 4
	s_cmp_lt_i32 s6, s17
	s_mov_b32 s27, s20
	s_cselect_b32 s6, s7, s4
	v_dual_mov_b32 v107, s27 :: v_dual_mov_b32 v100, s20
	s_ashr_i32 s7, s6, 31
	v_mov_b32_e32 v106, s26
	s_lshl_b64 s[6:7], s[6:7], 2
	v_dual_mov_b32 v104, s24 :: v_dual_mov_b32 v103, s23
	v_dual_mov_b32 v102, s22 :: v_dual_mov_b32 v101, s21
	v_mov_b32_e32 v105, s25
	s_waitcnt vmcnt(1)
	v_mad_i64_i32 v[33:34], null, v5, s5, v[1:2]
	s_waitcnt vmcnt(0)
	v_mad_i64_i32 v[35:36], null, v3, s5, v[1:2]
	s_clause 0xf
	global_load_b128 v[1:4], v[33:34], off
	global_load_b128 v[5:8], v[33:34], off offset:256
	global_load_b128 v[9:12], v[35:36], off
	global_load_b128 v[13:16], v[35:36], off offset:256
	global_load_b128 v[17:20], v[33:34], off offset:512
	;; [unrolled: 1-line block ×13, first 2 shown]
	v_and_b32_e32 v33, 3, v0
	v_lshlrev_b32_e32 v34, 4, v66
	s_delay_alu instid0(VALU_DEP_2) | instskip(NEXT) | instid1(VALU_DEP_2)
	v_lshlrev_b32_e32 v72, 6, v33
	v_lshl_or_b32 v41, v65, 8, v34
	ds_load_b128 v[33:36], v72
	ds_load_b128 v[37:40], v72 offset:1024
	ds_load_b128 v[108:111], v72 offset:2048
	;; [unrolled: 1-line block ×3, first 2 shown]
	s_load_b32 s4, s[2:3], 0x0
	s_add_u32 s2, s13, s6
	s_addc_u32 s3, s16, s7
	ds_load_b128 v[116:119], v72 offset:4096
	ds_load_b128 v[120:123], v72 offset:5120
	s_load_b32 s2, s[2:3], 0x0
	s_add_u32 s6, s10, s15
	s_addc_u32 s7, s11, s19
	v_add_co_u32 v68, s6, s6, v41
	s_delay_alu instid0(VALU_DEP_1) | instskip(SKIP_1) | instid1(VALU_DEP_1)
	v_add_co_ci_u32_e64 v69, null, s7, 0, s6
	s_waitcnt lgkmcnt(0)
	v_mad_i64_i32 v[41:42], null, s28, s5, v[68:69]
	v_mad_i64_i32 v[70:71], null, s8, s5, v[68:69]
	;; [unrolled: 1-line block ×7, first 2 shown]
	s_clause 0x3
	global_load_b128 v[49:52], v[41:42], off
	global_load_b128 v[53:56], v[41:42], off offset:16
	global_load_b128 v[41:44], v[45:46], off
	global_load_b128 v[45:48], v[45:46], off offset:16
	s_waitcnt vmcnt(18)
	v_wmma_f32_16x16x16_bf16 v[124:131], v[1:8], v[33:40], v[100:107]
	s_waitcnt vmcnt(16)
	v_wmma_f32_16x16x16_bf16 v[100:107], v[9:16], v[33:40], v[100:107]
	s_clause 0x1
	global_load_b128 v[33:36], v[70:71], off
	global_load_b128 v[37:40], v[70:71], off offset:16
	v_mad_i64_i32 v[70:71], null, s2, s5, v[68:69]
	s_waitcnt vmcnt(16)
	v_wmma_f32_16x16x16_bf16 v[124:131], v[17:24], v[108:115], v[124:131]
	s_waitcnt vmcnt(14)
	v_wmma_f32_16x16x16_bf16 v[100:107], v[25:32], v[108:115], v[100:107]
	s_clause 0x7
	global_load_b128 v[25:28], v[132:133], off
	global_load_b128 v[29:32], v[132:133], off offset:16
	global_load_b128 v[1:4], v[134:135], off
	global_load_b128 v[5:8], v[134:135], off offset:16
	;; [unrolled: 2-line block ×4, first 2 shown]
	s_waitcnt vmcnt(20)
	v_wmma_f32_16x16x16_bf16 v[124:131], v[57:64], v[116:123], v[124:131]
	s_clause 0x1
	global_load_b128 v[57:60], v[70:71], off
	global_load_b128 v[61:64], v[70:71], off offset:16
	s_waitcnt vmcnt(20)
	v_wmma_f32_16x16x16_bf16 v[100:107], v[76:83], v[116:123], v[100:107]
	ds_load_b128 v[76:79], v72 offset:6144
	ds_load_b128 v[80:83], v72 offset:7168
	v_and_b32_e32 v68, 0xe0, v0
	v_mbcnt_lo_u32_b32 v69, -1, 0
	s_waitcnt vmcnt(0) lgkmcnt(0)
	s_barrier
	buffer_gl0_inv
	v_add_nc_u32_e32 v68, s12, v68
	v_xor_b32_e32 v70, 16, v69
	s_delay_alu instid0(VALU_DEP_2) | instskip(NEXT) | instid1(VALU_DEP_2)
	v_or_b32_e32 v68, v68, v74
	v_cmp_gt_i32_e32 vcc_lo, 32, v70
	s_delay_alu instid0(VALU_DEP_2)
	v_or_b32_e32 v71, 4, v68
	v_or_b32_e32 v72, 6, v68
	v_cmp_gt_i32_e64 s2, s17, v68
	v_or_b32_e32 v108, 8, v68
	v_wmma_f32_16x16x16_bf16 v[124:131], v[84:91], v[76:83], v[124:131]
	v_cndmask_b32_e32 v69, v69, v70, vcc_lo
	v_or_b32_e32 v70, 2, v68
	v_wmma_f32_16x16x16_bf16 v[100:107], v[92:99], v[76:83], v[100:107]
	v_or_b32_e32 v109, 10, v68
	v_dual_mul_f32 v80, s18, v129 :: v_dual_mul_f32 v81, s18, v128
	v_dual_mul_f32 v92, s18, v125 :: v_dual_mul_f32 v93, s18, v124
	s_delay_alu instid0(VALU_DEP_4)
	v_mul_f32_e32 v96, s18, v105
	v_cmp_gt_i32_e32 vcc_lo, s17, v70
	v_or_b32_e32 v89, 22, v68
	v_dual_mul_f32 v79, s18, v130 :: v_dual_mul_f32 v82, s18, v127
	v_dual_mul_f32 v83, s18, v126 :: v_dual_mul_f32 v94, s18, v107
	v_cndmask_b32_e64 v93, 0xff7fffff, v93, s2
	v_cndmask_b32_e32 v92, 0xff7fffff, v92, vcc_lo
	v_cmp_gt_i32_e64 s3, s17, v71
	v_cmp_gt_i32_e64 s4, s17, v72
	v_or_b32_e32 v84, 12, v68
	v_or_b32_e32 v85, 14, v68
	v_cmp_gt_i32_e64 s5, s17, v108
	v_cndmask_b32_e64 v71, 0xff7fffff, v83, s3
	v_cndmask_b32_e64 v72, 0xff7fffff, v82, s4
	v_cmp_gt_i32_e64 s6, s17, v109
	v_cmp_gt_i32_e64 s12, s17, v89
	v_lshlrev_b32_e32 v89, 2, v69
	v_max3_f32 v82, v93, 0xff7fffff, v92
	v_or_b32_e32 v86, 16, v68
	v_or_b32_e32 v87, 18, v68
	v_mul_f32_e32 v78, s18, v131
	v_cndmask_b32_e64 v81, 0xff7fffff, v81, s5
	v_cndmask_b32_e64 v80, 0xff7fffff, v80, s6
	v_max3_f32 v71, v82, v71, v72
	v_cmp_gt_i32_e64 s7, s17, v84
	v_cmp_gt_i32_e64 s8, s17, v85
	v_or_b32_e32 v88, 20, v68
	v_or_b32_e32 v90, 24, v68
	;; [unrolled: 1-line block ×5, first 2 shown]
	v_dual_mul_f32 v97, s18, v104 :: v_dual_mul_f32 v70, s18, v101
	v_dual_mul_f32 v99, s18, v102 :: v_dual_mul_f32 v68, s18, v100
	v_cndmask_b32_e64 v72, 0xff7fffff, v79, s7
	v_cndmask_b32_e64 v78, 0xff7fffff, v78, s8
	v_max3_f32 v71, v71, v81, v80
	v_cmp_gt_i32_e64 s9, s17, v86
	v_cmp_gt_i32_e64 s10, s17, v87
	v_dual_mul_f32 v95, s18, v106 :: v_dual_mul_f32 v98, s18, v103
	s_delay_alu instid0(VALU_DEP_4) | instskip(NEXT) | instid1(VALU_DEP_4)
	v_max3_f32 v71, v71, v72, v78
	v_cndmask_b32_e64 v68, 0xff7fffff, v68, s9
	s_delay_alu instid0(VALU_DEP_4)
	v_cndmask_b32_e64 v70, 0xff7fffff, v70, s10
	v_cmp_gt_i32_e64 s11, s17, v88
	v_cndmask_b32_e64 v78, 0xff7fffff, v98, s12
	v_cmp_gt_i32_e64 s13, s17, v90
	v_cmp_gt_i32_e64 s15, s17, v91
	v_max3_f32 v68, v71, v68, v70
	v_cndmask_b32_e64 v72, 0xff7fffff, v99, s11
	v_cmp_gt_i32_e64 s16, s17, v76
	v_cndmask_b32_e64 v70, 0xff7fffff, v97, s13
	v_cndmask_b32_e64 v71, 0xff7fffff, v96, s15
	v_cmp_gt_i32_e64 s17, s17, v77
	v_max3_f32 v68, v68, v72, v78
	v_cndmask_b32_e64 v72, 0xff7fffff, v95, s16
	s_delay_alu instid0(VALU_DEP_3) | instskip(NEXT) | instid1(VALU_DEP_3)
	v_cndmask_b32_e64 v76, 0xff7fffff, v94, s17
	v_max3_f32 v68, v68, v70, v71
	s_delay_alu instid0(VALU_DEP_1) | instskip(SKIP_3) | instid1(VALU_DEP_1)
	v_max3_f32 v68, v68, v72, v76
	ds_bpermute_b32 v69, v89, v68
	s_waitcnt lgkmcnt(0)
	v_max_f32_e32 v69, v69, v69
	v_max_f32_e32 v68, v68, v69
	s_delay_alu instid0(VALU_DEP_1) | instskip(NEXT) | instid1(VALU_DEP_1)
	v_fma_f32 v71, s18, v126, -v68
	v_mul_f32_e32 v71, 0x3fb8aa3b, v71
	v_fma_f32 v70, s18, v125, -v68
	v_fma_f32 v69, s18, v124, -v68
	;; [unrolled: 1-line block ×5, first 2 shown]
	s_delay_alu instid0(VALU_DEP_4) | instskip(SKIP_1) | instid1(VALU_DEP_3)
	v_dual_mul_f32 v70, 0x3fb8aa3b, v70 :: v_dual_mul_f32 v69, 0x3fb8aa3b, v69
	v_exp_f32_e32 v71, v71
	v_mul_f32_e32 v72, 0x3fb8aa3b, v72
	v_fma_f32 v81, s18, v105, -v68
	s_delay_alu instid0(VALU_DEP_3)
	v_exp_f32_e32 v70, v70
	v_mul_f32_e32 v77, 0x3fb8aa3b, v76
	v_exp_f32_e32 v69, v69
	v_exp_f32_e32 v72, v72
	v_mul_f32_e32 v81, 0x3fb8aa3b, v81
	v_cndmask_b32_e64 v83, 0, v71, s3
	v_fma_f32 v71, s18, v131, -v68
	s_delay_alu instid0(VALU_DEP_3) | instskip(SKIP_4) | instid1(TRANS32_DEP_3)
	v_exp_f32_e32 v81, v81
	v_cndmask_b32_e32 v76, 0, v70, vcc_lo
	v_exp_f32_e32 v77, v77
	v_cndmask_b32_e64 v80, 0, v69, s2
	v_fma_f32 v69, s18, v129, -v68
	v_cndmask_b32_e64 v85, 0, v72, s4
	v_mul_f32_e32 v71, 0x3fb8aa3b, v71
	v_fma_f32 v72, s18, v100, -v68
	s_delay_alu instid0(VALU_DEP_4) | instskip(SKIP_1) | instid1(VALU_DEP_3)
	v_dual_add_f32 v70, 0, v80 :: v_dual_mul_f32 v69, 0x3fb8aa3b, v69
	s_mov_b32 s2, exec_lo
	v_exp_f32_e32 v71, v71
	s_delay_alu instid0(TRANS32_DEP_2) | instskip(SKIP_4) | instid1(VALU_DEP_3)
	v_cndmask_b32_e64 v86, 0, v77, s5
	v_fma_f32 v77, s18, v101, -v68
	v_mul_f32_e32 v78, 0x3fb8aa3b, v78
	v_add_f32_e32 v70, v70, v76
	v_exp_f32_e32 v69, v69
	v_mul_f32_e32 v77, 0x3fb8aa3b, v77
	s_delay_alu instid0(VALU_DEP_3) | instskip(NEXT) | instid1(TRANS32_DEP_3)
	v_exp_f32_e32 v78, v78
	v_cndmask_b32_e64 v88, 0, v71, s8
	v_fma_f32 v71, s18, v104, -v68
	s_delay_alu instid0(VALU_DEP_3) | instskip(NEXT) | instid1(TRANS32_DEP_3)
	v_exp_f32_e32 v77, v77
	v_cndmask_b32_e64 v87, 0, v69, s6
	s_delay_alu instid0(VALU_DEP_2)
	v_mul_f32_e32 v71, 0x3fb8aa3b, v71
	s_waitcnt_depctr 0xfff
	v_cndmask_b32_e64 v84, 0, v78, s7
	v_add_f32_e32 v70, v70, v83
	v_fma_f32 v78, s18, v103, -v68
	v_exp_f32_e32 v82, v71
	s_delay_alu instid0(VALU_DEP_2) | instskip(SKIP_1) | instid1(VALU_DEP_3)
	v_add_f32_e32 v70, v70, v85
	v_mul_f32_e32 v72, 0x3fb8aa3b, v72
	v_mul_f32_e32 v78, 0x3fb8aa3b, v78
	s_delay_alu instid0(VALU_DEP_3) | instskip(SKIP_1) | instid1(VALU_DEP_4)
	v_add_f32_e32 v69, v70, v86
	v_fma_f32 v70, s18, v102, -v68
	v_exp_f32_e32 v72, v72
	s_delay_alu instid0(VALU_DEP_3) | instskip(NEXT) | instid1(VALU_DEP_1)
	v_exp_f32_e32 v78, v78
	v_dual_add_f32 v69, v69, v87 :: v_dual_mul_f32 v70, 0x3fb8aa3b, v70
	s_delay_alu instid0(VALU_DEP_1) | instskip(NEXT) | instid1(VALU_DEP_2)
	v_add_f32_e32 v69, v69, v84
	v_exp_f32_e32 v79, v70
	s_delay_alu instid0(TRANS32_DEP_3) | instskip(NEXT) | instid1(VALU_DEP_2)
	v_cndmask_b32_e64 v70, 0, v72, s9
	v_add_f32_e32 v72, v69, v88
	v_cndmask_b32_e64 v69, 0, v77, s10
	v_fma_f32 v77, s18, v106, -v68
	s_waitcnt_depctr 0xfff
	v_cndmask_b32_e64 v71, 0, v79, s11
	v_dual_mul_f32 v77, 0x3fb8aa3b, v77 :: v_dual_add_f32 v72, v72, v70
	s_delay_alu instid0(VALU_DEP_1) | instskip(NEXT) | instid1(VALU_DEP_1)
	v_exp_f32_e32 v90, v77
	v_add_f32_e32 v79, v72, v69
	v_cndmask_b32_e64 v72, 0, v78, s12
	v_cndmask_b32_e64 v77, 0, v82, s13
	s_delay_alu instid0(VALU_DEP_3) | instskip(SKIP_1) | instid1(VALU_DEP_1)
	v_add_f32_e32 v78, v79, v71
	v_fma_f32 v79, s18, v107, -v68
	v_dual_add_f32 v82, v78, v72 :: v_dual_mul_f32 v79, 0x3fb8aa3b, v79
	v_cndmask_b32_e64 v78, 0, v81, s15
	s_delay_alu instid0(VALU_DEP_2) | instskip(NEXT) | instid1(VALU_DEP_3)
	v_add_f32_e32 v81, v82, v77
	v_exp_f32_e32 v82, v79
	v_cndmask_b32_e64 v79, 0, v90, s16
	s_delay_alu instid0(VALU_DEP_2) | instskip(NEXT) | instid1(VALU_DEP_1)
	v_add_f32_e32 v81, v81, v78
	v_add_f32_e32 v90, v81, v79
	s_waitcnt_depctr 0xfff
	v_cndmask_b32_e64 v81, 0, v82, s17
	s_delay_alu instid0(VALU_DEP_1)
	v_add_f32_e32 v82, v90, v81
	ds_bpermute_b32 v89, v89, v82
	v_cmpx_gt_u32_e32 16, v67
	s_cbranch_execz .LBB1857_12
; %bb.11:
	v_mul_u32_u24_e32 v67, 0x44, v65
	s_delay_alu instid0(VALU_DEP_1) | instskip(SKIP_1) | instid1(VALU_DEP_1)
	v_lshl_add_u32 v67, v66, 2, v67
	s_waitcnt lgkmcnt(0)
	v_dual_add_f32 v82, v82, v89 :: v_dual_add_nc_u32 v67, 0x4000, v67
	ds_store_2addr_b32 v67, v68, v82 offset1:136
.LBB1857_12:
	s_or_b32 exec_lo, exec_lo, s2
	v_lshlrev_b32_e32 v67, 2, v66
	s_waitcnt lgkmcnt(0)
	s_barrier
	buffer_gl0_inv
	v_cmp_eq_u32_e32 vcc_lo, 1, v65
	v_add_nc_u32_e32 v82, 0x4000, v67
	v_cmp_eq_u32_e64 s2, 2, v65
	v_cmp_eq_u32_e64 s4, 7, v65
	ds_load_2addr_b32 v[89:90], v82 offset1:17
	ds_load_2addr_b32 v[91:92], v82 offset0:34 offset1:51
	ds_load_2addr_b32 v[93:94], v82 offset0:68 offset1:85
	ds_load_2addr_b32 v[95:96], v82 offset0:102 offset1:119
	ds_load_2addr_b32 v[97:98], v82 offset0:136 offset1:153
	s_waitcnt lgkmcnt(4)
	v_max3_f32 v67, v89, 0xff7fffff, v90
	s_waitcnt lgkmcnt(3)
	s_delay_alu instid0(VALU_DEP_1) | instskip(SKIP_1) | instid1(VALU_DEP_1)
	v_max3_f32 v67, v67, v91, v92
	s_waitcnt lgkmcnt(2)
	v_max3_f32 v67, v67, v93, v94
	s_waitcnt lgkmcnt(1)
	s_delay_alu instid0(VALU_DEP_1) | instskip(NEXT) | instid1(VALU_DEP_1)
	v_max3_f32 v67, v67, v95, v96
	v_sub_f32_e32 v93, v93, v67
	s_delay_alu instid0(VALU_DEP_1) | instskip(NEXT) | instid1(VALU_DEP_1)
	v_dual_sub_f32 v68, v89, v67 :: v_dual_mul_f32 v103, 0x3fb8aa3b, v93
	v_mul_f32_e32 v68, 0x3fb8aa3b, v68
	s_delay_alu instid0(VALU_DEP_1)
	v_exp_f32_e32 v100, v68
	v_sub_f32_e32 v68, v92, v67
	v_sub_f32_e32 v99, v90, v67
	ds_load_2addr_b32 v[89:90], v82 offset0:170 offset1:187
	v_dual_mul_f32 v102, 0x3fb8aa3b, v68 :: v_dual_mul_f32 v99, 0x3fb8aa3b, v99
	s_waitcnt lgkmcnt(1)
	v_fma_f32 v68, v100, v97, 0
	s_delay_alu instid0(VALU_DEP_2) | instskip(NEXT) | instid1(VALU_DEP_2)
	v_exp_f32_e32 v102, v102
	v_exp_f32_e32 v99, v99
	s_waitcnt_depctr 0xfff
	v_fmac_f32_e32 v68, v99, v98
	v_sub_f32_e32 v91, v91, v67
	s_delay_alu instid0(VALU_DEP_1)
	v_mul_f32_e32 v101, 0x3fb8aa3b, v91
	ds_load_2addr_b32 v[91:92], v82 offset0:204 offset1:221
	v_sub_f32_e32 v97, v94, v67
	ds_load_2addr_b32 v[93:94], v82 offset0:238 offset1:255
	s_waitcnt lgkmcnt(0)
	v_exp_f32_e32 v101, v101
	s_barrier
	buffer_gl0_inv
	v_dual_fmac_f32 v68, v101, v89 :: v_dual_sub_f32 v89, v96, v67
	v_dual_sub_f32 v82, v95, v67 :: v_dual_mul_f32 v95, 0x3fb8aa3b, v97
	v_exp_f32_e32 v97, v103
	s_delay_alu instid0(VALU_DEP_2) | instskip(NEXT) | instid1(VALU_DEP_2)
	v_dual_fmac_f32 v68, v102, v90 :: v_dual_mul_f32 v89, 0x3fb8aa3b, v89
	v_mul_f32_e32 v82, 0x3fb8aa3b, v82
	s_delay_alu instid0(VALU_DEP_3) | instskip(NEXT) | instid1(VALU_DEP_2)
	v_exp_f32_e32 v95, v95
	v_exp_f32_e32 v89, v89
	s_delay_alu instid0(VALU_DEP_1)
	v_exp_f32_e32 v82, v82
	v_fmac_f32_e32 v68, v97, v91
	s_delay_alu instid0(TRANS32_DEP_3) | instid1(VALU_DEP_1)
	v_fmac_f32_e32 v68, v95, v92
	s_waitcnt_depctr 0xfff
	v_fmac_f32_e32 v68, v82, v93
	s_delay_alu instid0(VALU_DEP_1) | instskip(NEXT) | instid1(VALU_DEP_1)
	v_fmac_f32_e32 v68, v89, v94
	v_add_f32_e32 v90, 0x358637bd, v68
	s_delay_alu instid0(VALU_DEP_1) | instskip(NEXT) | instid1(VALU_DEP_1)
	v_div_scale_f32 v91, null, v90, v90, 1.0
	v_rcp_f32_e32 v92, v91
	s_waitcnt_depctr 0xfff
	v_fma_f32 v93, -v91, v92, 1.0
	s_delay_alu instid0(VALU_DEP_1) | instskip(SKIP_1) | instid1(VALU_DEP_2)
	v_dual_fmac_f32 v92, v93, v92 :: v_dual_cndmask_b32 v93, v100, v99
	v_cmp_eq_u32_e32 vcc_lo, 3, v65
	v_cndmask_b32_e64 v93, v93, v101, s2
	v_cmp_eq_u32_e64 s2, 4, v65
	s_delay_alu instid0(VALU_DEP_2) | instskip(SKIP_1) | instid1(VALU_DEP_2)
	v_cndmask_b32_e32 v93, v93, v102, vcc_lo
	v_cmp_eq_u32_e32 vcc_lo, 5, v65
	v_cndmask_b32_e64 v93, v93, v97, s2
	v_cmp_eq_u32_e64 s2, 6, v65
	s_delay_alu instid0(VALU_DEP_2) | instskip(SKIP_1) | instid1(VALU_DEP_1)
	v_cndmask_b32_e32 v93, v93, v95, vcc_lo
	v_div_scale_f32 v94, s3, 1.0, v90, 1.0
	s_mov_b32 vcc_lo, s3
	s_delay_alu instid0(VALU_DEP_2) | instskip(NEXT) | instid1(VALU_DEP_2)
	v_cndmask_b32_e64 v82, v93, v82, s2
	v_mul_f32_e32 v96, v94, v92
	s_mov_b32 s2, exec_lo
	s_delay_alu instid0(VALU_DEP_2) | instskip(NEXT) | instid1(VALU_DEP_2)
	v_cndmask_b32_e64 v82, v82, v89, s4
	v_fma_f32 v98, -v91, v96, v94
	s_delay_alu instid0(VALU_DEP_1) | instskip(NEXT) | instid1(VALU_DEP_1)
	v_fmac_f32_e32 v96, v98, v92
	v_fma_f32 v91, -v91, v96, v94
	s_delay_alu instid0(VALU_DEP_1) | instskip(NEXT) | instid1(VALU_DEP_1)
	v_div_fmas_f32 v91, v91, v92, v96
	v_div_fixup_f32 v90, v91, v90, 1.0
	s_delay_alu instid0(VALU_DEP_1) | instskip(NEXT) | instid1(VALU_DEP_1)
	v_mul_f32_e32 v82, v82, v90
	v_mul_f32_e32 v87, v82, v87
	;; [unrolled: 1-line block ×7, first 2 shown]
	v_dual_mul_f32 v86, v82, v83 :: v_dual_and_b32 v91, 0x7f800000, v90
	v_mul_f32_e32 v85, v82, v76
                                        ; implicit-def: $vgpr76
	s_delay_alu instid0(VALU_DEP_2)
	v_cmpx_ne_u32_e32 0x7f800000, v91
	s_xor_b32 s2, exec_lo, s2
; %bb.13:
	v_bfe_u32 v76, v90, 16, 1
	s_delay_alu instid0(VALU_DEP_1)
	v_add3_u32 v76, v90, v76, 0x7fff
                                        ; implicit-def: $vgpr90
; %bb.14:
	s_and_not1_saveexec_b32 s2, s2
; %bb.15:
	v_and_b32_e32 v76, 0xffff, v90
	v_or_b32_e32 v83, 0x10000, v90
	s_delay_alu instid0(VALU_DEP_2) | instskip(NEXT) | instid1(VALU_DEP_2)
	v_cmp_eq_u32_e32 vcc_lo, 0, v76
	v_cndmask_b32_e32 v76, v83, v90, vcc_lo
; %bb.16:
	s_or_b32 exec_lo, exec_lo, s2
	v_and_b32_e32 v83, 0x7f800000, v85
	s_delay_alu instid0(VALU_DEP_1) | instskip(SKIP_1) | instid1(SALU_CYCLE_1)
	v_cmp_ne_u32_e32 vcc_lo, 0x7f800000, v83
                                        ; implicit-def: $vgpr83
	s_and_saveexec_b32 s2, vcc_lo
	s_xor_b32 s2, exec_lo, s2
; %bb.17:
	v_bfe_u32 v83, v85, 16, 1
	s_delay_alu instid0(VALU_DEP_1)
	v_add3_u32 v83, v85, v83, 0x7fff
                                        ; implicit-def: $vgpr85
; %bb.18:
	s_and_not1_saveexec_b32 s2, s2
; %bb.19:
	v_and_b32_e32 v83, 0xffff, v85
	v_or_b32_e32 v90, 0x10000, v85
	s_delay_alu instid0(VALU_DEP_2) | instskip(NEXT) | instid1(VALU_DEP_2)
	v_cmp_eq_u32_e32 vcc_lo, 0, v83
	v_cndmask_b32_e32 v83, v90, v85, vcc_lo
; %bb.20:
	s_or_b32 exec_lo, exec_lo, s2
	v_and_b32_e32 v85, 0x7f800000, v86
	s_delay_alu instid0(VALU_DEP_1) | instskip(SKIP_1) | instid1(SALU_CYCLE_1)
	v_cmp_ne_u32_e32 vcc_lo, 0x7f800000, v85
                                        ; implicit-def: $vgpr85
	s_and_saveexec_b32 s2, vcc_lo
	s_xor_b32 s2, exec_lo, s2
; %bb.21:
	v_bfe_u32 v85, v86, 16, 1
	s_delay_alu instid0(VALU_DEP_1)
	v_add3_u32 v85, v86, v85, 0x7fff
                                        ; implicit-def: $vgpr86
; %bb.22:
	s_and_not1_saveexec_b32 s2, s2
; %bb.23:
	v_and_b32_e32 v85, 0xffff, v86
	v_or_b32_e32 v90, 0x10000, v86
	s_delay_alu instid0(VALU_DEP_2) | instskip(NEXT) | instid1(VALU_DEP_2)
	v_cmp_eq_u32_e32 vcc_lo, 0, v85
	v_cndmask_b32_e32 v85, v90, v86, vcc_lo
; %bb.24:
	s_or_b32 exec_lo, exec_lo, s2
	v_and_b32_e32 v86, 0x7f800000, v89
	s_delay_alu instid0(VALU_DEP_1) | instskip(SKIP_1) | instid1(SALU_CYCLE_1)
	v_cmp_ne_u32_e32 vcc_lo, 0x7f800000, v86
                                        ; implicit-def: $vgpr86
	s_and_saveexec_b32 s2, vcc_lo
	s_xor_b32 s2, exec_lo, s2
; %bb.25:
	v_bfe_u32 v86, v89, 16, 1
	s_delay_alu instid0(VALU_DEP_1)
	v_add3_u32 v86, v89, v86, 0x7fff
                                        ; implicit-def: $vgpr89
; %bb.26:
	s_and_not1_saveexec_b32 s2, s2
; %bb.27:
	v_and_b32_e32 v86, 0xffff, v89
	v_or_b32_e32 v90, 0x10000, v89
	s_delay_alu instid0(VALU_DEP_2) | instskip(NEXT) | instid1(VALU_DEP_2)
	v_cmp_eq_u32_e32 vcc_lo, 0, v86
	v_cndmask_b32_e32 v86, v90, v89, vcc_lo
; %bb.28:
	s_or_b32 exec_lo, exec_lo, s2
	v_and_b32_e32 v89, 0x7f800000, v88
	s_delay_alu instid0(VALU_DEP_1) | instskip(SKIP_1) | instid1(SALU_CYCLE_1)
	v_cmp_ne_u32_e32 vcc_lo, 0x7f800000, v89
                                        ; implicit-def: $vgpr89
	s_and_saveexec_b32 s2, vcc_lo
	s_xor_b32 s2, exec_lo, s2
; %bb.29:
	v_bfe_u32 v89, v88, 16, 1
	s_delay_alu instid0(VALU_DEP_1)
	v_add3_u32 v89, v88, v89, 0x7fff
                                        ; implicit-def: $vgpr88
; %bb.30:
	s_and_not1_saveexec_b32 s2, s2
; %bb.31:
	v_and_b32_e32 v89, 0xffff, v88
	v_or_b32_e32 v90, 0x10000, v88
	s_delay_alu instid0(VALU_DEP_2) | instskip(NEXT) | instid1(VALU_DEP_2)
	v_cmp_eq_u32_e32 vcc_lo, 0, v89
	v_cndmask_b32_e32 v89, v90, v88, vcc_lo
; %bb.32:
	s_or_b32 exec_lo, exec_lo, s2
	v_and_b32_e32 v88, 0x7f800000, v87
	s_delay_alu instid0(VALU_DEP_1) | instskip(SKIP_1) | instid1(SALU_CYCLE_1)
	v_cmp_ne_u32_e32 vcc_lo, 0x7f800000, v88
                                        ; implicit-def: $vgpr88
	s_and_saveexec_b32 s2, vcc_lo
	s_xor_b32 s2, exec_lo, s2
; %bb.33:
	v_bfe_u32 v88, v87, 16, 1
	s_delay_alu instid0(VALU_DEP_1)
	v_add3_u32 v88, v87, v88, 0x7fff
                                        ; implicit-def: $vgpr87
; %bb.34:
	s_and_not1_saveexec_b32 s2, s2
; %bb.35:
	v_and_b32_e32 v88, 0xffff, v87
	v_or_b32_e32 v90, 0x10000, v87
	s_delay_alu instid0(VALU_DEP_2) | instskip(NEXT) | instid1(VALU_DEP_2)
	v_cmp_eq_u32_e32 vcc_lo, 0, v88
	v_cndmask_b32_e32 v88, v90, v87, vcc_lo
; %bb.36:
	s_or_b32 exec_lo, exec_lo, s2
	v_and_b32_e32 v87, 0x7f800000, v84
	s_delay_alu instid0(VALU_DEP_1) | instskip(SKIP_1) | instid1(SALU_CYCLE_1)
	v_cmp_ne_u32_e32 vcc_lo, 0x7f800000, v87
                                        ; implicit-def: $vgpr87
	s_and_saveexec_b32 s2, vcc_lo
	s_xor_b32 s2, exec_lo, s2
; %bb.37:
	v_bfe_u32 v87, v84, 16, 1
	s_delay_alu instid0(VALU_DEP_1)
	v_add3_u32 v87, v84, v87, 0x7fff
                                        ; implicit-def: $vgpr84
; %bb.38:
	s_and_not1_saveexec_b32 s2, s2
; %bb.39:
	v_and_b32_e32 v87, 0xffff, v84
	v_or_b32_e32 v90, 0x10000, v84
	s_delay_alu instid0(VALU_DEP_2) | instskip(NEXT) | instid1(VALU_DEP_2)
	v_cmp_eq_u32_e32 vcc_lo, 0, v87
	v_cndmask_b32_e32 v87, v90, v84, vcc_lo
; %bb.40:
	s_or_b32 exec_lo, exec_lo, s2
	v_and_b32_e32 v84, 0x7f800000, v80
	s_delay_alu instid0(VALU_DEP_1) | instskip(SKIP_1) | instid1(SALU_CYCLE_1)
	v_cmp_ne_u32_e32 vcc_lo, 0x7f800000, v84
                                        ; implicit-def: $vgpr84
	s_and_saveexec_b32 s2, vcc_lo
	s_xor_b32 s2, exec_lo, s2
; %bb.41:
	v_bfe_u32 v84, v80, 16, 1
	s_delay_alu instid0(VALU_DEP_1)
	v_add3_u32 v84, v80, v84, 0x7fff
                                        ; implicit-def: $vgpr80
; %bb.42:
	s_and_not1_saveexec_b32 s2, s2
; %bb.43:
	v_and_b32_e32 v84, 0xffff, v80
	v_or_b32_e32 v90, 0x10000, v80
	s_delay_alu instid0(VALU_DEP_2) | instskip(NEXT) | instid1(VALU_DEP_2)
	v_cmp_eq_u32_e32 vcc_lo, 0, v84
	v_cndmask_b32_e32 v84, v90, v80, vcc_lo
; %bb.44:
	s_or_b32 exec_lo, exec_lo, s2
	s_load_b64 s[34:35], s[0:1], 0x94
	v_lshlrev_b32_e32 v91, 4, v74
	s_delay_alu instid0(VALU_DEP_2)
	v_perm_b32 v90, v84, v87, 0x7060302
	v_dual_mul_f32 v77, v82, v77 :: v_dual_lshlrev_b32 v80, 6, v66
	v_lshlrev_b32_e32 v66, 11, v65
	v_perm_b32 v87, v83, v76, 0x7060302
	v_mul_f32_e32 v83, v82, v70
	v_perm_b32 v89, v88, v89, 0x7060302
	v_perm_b32 v88, v86, v85, 0x7060302
	v_or3_b32 v76, v91, v66, v80
	v_mul_f32_e32 v66, v82, v81
	v_mul_f32_e32 v70, v82, v79
	v_mul_f32_e32 v78, v82, v78
	v_dual_mul_f32 v81, v82, v72 :: v_dual_and_b32 v84, 0x7f800000, v83
	v_mul_f32_e32 v79, v82, v71
	v_mul_f32_e32 v72, v82, v69
	s_mov_b32 s2, exec_lo
	ds_store_b128 v76, v[87:90]
                                        ; implicit-def: $vgpr69
	v_cmpx_ne_u32_e32 0x7f800000, v84
	s_xor_b32 s2, exec_lo, s2
; %bb.45:
	v_bfe_u32 v69, v83, 16, 1
	s_delay_alu instid0(VALU_DEP_1)
	v_add3_u32 v69, v83, v69, 0x7fff
                                        ; implicit-def: $vgpr83
; %bb.46:
	s_and_not1_saveexec_b32 s2, s2
; %bb.47:
	v_and_b32_e32 v69, 0xffff, v83
	v_or_b32_e32 v71, 0x10000, v83
	s_delay_alu instid0(VALU_DEP_2) | instskip(NEXT) | instid1(VALU_DEP_2)
	v_cmp_eq_u32_e32 vcc_lo, 0, v69
	v_cndmask_b32_e32 v69, v71, v83, vcc_lo
; %bb.48:
	s_or_b32 exec_lo, exec_lo, s2
	v_and_b32_e32 v71, 0x7f800000, v72
	s_delay_alu instid0(VALU_DEP_1) | instskip(SKIP_1) | instid1(SALU_CYCLE_1)
	v_cmp_ne_u32_e32 vcc_lo, 0x7f800000, v71
                                        ; implicit-def: $vgpr71
	s_and_saveexec_b32 s2, vcc_lo
	s_xor_b32 s2, exec_lo, s2
; %bb.49:
	v_bfe_u32 v71, v72, 16, 1
	s_delay_alu instid0(VALU_DEP_1)
	v_add3_u32 v71, v72, v71, 0x7fff
                                        ; implicit-def: $vgpr72
; %bb.50:
	s_and_not1_saveexec_b32 s2, s2
; %bb.51:
	v_and_b32_e32 v71, 0xffff, v72
	v_or_b32_e32 v82, 0x10000, v72
	s_delay_alu instid0(VALU_DEP_2) | instskip(NEXT) | instid1(VALU_DEP_2)
	v_cmp_eq_u32_e32 vcc_lo, 0, v71
	v_cndmask_b32_e32 v71, v82, v72, vcc_lo
; %bb.52:
	s_or_b32 exec_lo, exec_lo, s2
	v_and_b32_e32 v72, 0x7f800000, v79
	s_delay_alu instid0(VALU_DEP_1) | instskip(SKIP_1) | instid1(SALU_CYCLE_1)
	v_cmp_ne_u32_e32 vcc_lo, 0x7f800000, v72
                                        ; implicit-def: $vgpr72
	s_and_saveexec_b32 s2, vcc_lo
	s_xor_b32 s2, exec_lo, s2
; %bb.53:
	v_bfe_u32 v72, v79, 16, 1
	s_delay_alu instid0(VALU_DEP_1)
	v_add3_u32 v72, v79, v72, 0x7fff
                                        ; implicit-def: $vgpr79
; %bb.54:
	s_and_not1_saveexec_b32 s2, s2
; %bb.55:
	v_and_b32_e32 v72, 0xffff, v79
	v_or_b32_e32 v82, 0x10000, v79
	s_delay_alu instid0(VALU_DEP_2) | instskip(NEXT) | instid1(VALU_DEP_2)
	v_cmp_eq_u32_e32 vcc_lo, 0, v72
	v_cndmask_b32_e32 v72, v82, v79, vcc_lo
; %bb.56:
	s_or_b32 exec_lo, exec_lo, s2
	v_and_b32_e32 v79, 0x7f800000, v81
	s_delay_alu instid0(VALU_DEP_1) | instskip(SKIP_1) | instid1(SALU_CYCLE_1)
	v_cmp_ne_u32_e32 vcc_lo, 0x7f800000, v79
                                        ; implicit-def: $vgpr79
	s_and_saveexec_b32 s2, vcc_lo
	s_xor_b32 s2, exec_lo, s2
; %bb.57:
	v_bfe_u32 v79, v81, 16, 1
	s_delay_alu instid0(VALU_DEP_1)
	v_add3_u32 v79, v81, v79, 0x7fff
                                        ; implicit-def: $vgpr81
; %bb.58:
	s_and_not1_saveexec_b32 s2, s2
; %bb.59:
	v_and_b32_e32 v79, 0xffff, v81
	v_or_b32_e32 v82, 0x10000, v81
	s_delay_alu instid0(VALU_DEP_2) | instskip(NEXT) | instid1(VALU_DEP_2)
	v_cmp_eq_u32_e32 vcc_lo, 0, v79
	v_cndmask_b32_e32 v79, v82, v81, vcc_lo
; %bb.60:
	s_or_b32 exec_lo, exec_lo, s2
	v_and_b32_e32 v81, 0x7f800000, v77
	s_delay_alu instid0(VALU_DEP_1) | instskip(SKIP_1) | instid1(SALU_CYCLE_1)
	v_cmp_ne_u32_e32 vcc_lo, 0x7f800000, v81
                                        ; implicit-def: $vgpr81
	s_and_saveexec_b32 s2, vcc_lo
	s_xor_b32 s2, exec_lo, s2
; %bb.61:
	v_bfe_u32 v81, v77, 16, 1
	s_delay_alu instid0(VALU_DEP_1)
	v_add3_u32 v81, v77, v81, 0x7fff
                                        ; implicit-def: $vgpr77
; %bb.62:
	s_and_not1_saveexec_b32 s2, s2
; %bb.63:
	v_and_b32_e32 v81, 0xffff, v77
	v_or_b32_e32 v82, 0x10000, v77
	s_delay_alu instid0(VALU_DEP_2) | instskip(NEXT) | instid1(VALU_DEP_2)
	v_cmp_eq_u32_e32 vcc_lo, 0, v81
	v_cndmask_b32_e32 v81, v82, v77, vcc_lo
; %bb.64:
	s_or_b32 exec_lo, exec_lo, s2
	v_and_b32_e32 v77, 0x7f800000, v78
	s_delay_alu instid0(VALU_DEP_1) | instskip(SKIP_1) | instid1(SALU_CYCLE_1)
	v_cmp_ne_u32_e32 vcc_lo, 0x7f800000, v77
                                        ; implicit-def: $vgpr77
	s_and_saveexec_b32 s2, vcc_lo
	s_xor_b32 s2, exec_lo, s2
; %bb.65:
	v_bfe_u32 v77, v78, 16, 1
	s_delay_alu instid0(VALU_DEP_1)
	v_add3_u32 v77, v78, v77, 0x7fff
                                        ; implicit-def: $vgpr78
; %bb.66:
	s_and_not1_saveexec_b32 s2, s2
; %bb.67:
	v_and_b32_e32 v77, 0xffff, v78
	v_or_b32_e32 v82, 0x10000, v78
	s_delay_alu instid0(VALU_DEP_2) | instskip(NEXT) | instid1(VALU_DEP_2)
	v_cmp_eq_u32_e32 vcc_lo, 0, v77
	v_cndmask_b32_e32 v77, v82, v78, vcc_lo
; %bb.68:
	s_or_b32 exec_lo, exec_lo, s2
	v_and_b32_e32 v78, 0x7f800000, v70
	s_delay_alu instid0(VALU_DEP_1) | instskip(SKIP_1) | instid1(SALU_CYCLE_1)
	v_cmp_ne_u32_e32 vcc_lo, 0x7f800000, v78
                                        ; implicit-def: $vgpr78
	s_and_saveexec_b32 s2, vcc_lo
	s_xor_b32 s2, exec_lo, s2
; %bb.69:
	v_bfe_u32 v78, v70, 16, 1
	s_delay_alu instid0(VALU_DEP_1)
	v_add3_u32 v78, v70, v78, 0x7fff
                                        ; implicit-def: $vgpr70
; %bb.70:
	s_and_not1_saveexec_b32 s2, s2
; %bb.71:
	v_and_b32_e32 v78, 0xffff, v70
	v_or_b32_e32 v82, 0x10000, v70
	s_delay_alu instid0(VALU_DEP_2) | instskip(NEXT) | instid1(VALU_DEP_2)
	v_cmp_eq_u32_e32 vcc_lo, 0, v78
	v_cndmask_b32_e32 v78, v82, v70, vcc_lo
; %bb.72:
	s_or_b32 exec_lo, exec_lo, s2
	v_and_b32_e32 v70, 0x7f800000, v66
	s_delay_alu instid0(VALU_DEP_1) | instskip(SKIP_1) | instid1(SALU_CYCLE_1)
	v_cmp_ne_u32_e32 vcc_lo, 0x7f800000, v70
                                        ; implicit-def: $vgpr70
	s_and_saveexec_b32 s2, vcc_lo
	s_xor_b32 s2, exec_lo, s2
; %bb.73:
	v_bfe_u32 v70, v66, 16, 1
	s_delay_alu instid0(VALU_DEP_1)
	v_add3_u32 v70, v66, v70, 0x7fff
                                        ; implicit-def: $vgpr66
; %bb.74:
	s_and_not1_saveexec_b32 s2, s2
; %bb.75:
	v_and_b32_e32 v70, 0xffff, v66
	v_or_b32_e32 v82, 0x10000, v66
	s_delay_alu instid0(VALU_DEP_2) | instskip(NEXT) | instid1(VALU_DEP_2)
	v_cmp_eq_u32_e32 vcc_lo, 0, v70
	v_cndmask_b32_e32 v70, v82, v66, vcc_lo
; %bb.76:
	s_or_b32 exec_lo, exec_lo, s2
	s_delay_alu instid0(VALU_DEP_1)
	v_perm_b32 v86, v70, v78, 0x7060302
	v_perm_b32 v85, v77, v81, 0x7060302
	v_perm_b32 v84, v79, v72, 0x7060302
	v_perm_b32 v83, v71, v69, 0x7060302
	v_lshl_or_b32 v82, v65, 11, v80
	ds_store_b128 v76, v[83:86] offset:1024
	s_waitcnt lgkmcnt(0)
	s_barrier
	buffer_gl0_inv
	ds_load_b128 v[69:72], v82
	ds_load_b128 v[83:86], v82 offset:16
	s_waitcnt lgkmcnt(1)
	v_lshrrev_b32_e32 v65, 16, v69
	v_lshlrev_b32_e32 v78, 2, v74
	s_waitcnt lgkmcnt(0)
	v_lshrrev_b32_e32 v91, 16, v83
	v_lshrrev_b32_e32 v66, 16, v70
	;; [unrolled: 1-line block ×4, first 2 shown]
	v_cmp_eq_u32_e32 vcc_lo, 1, v78
	v_lshrrev_b32_e32 v98, 16, v85
	v_lshrrev_b32_e32 v96, 16, v72
	;; [unrolled: 1-line block ×3, first 2 shown]
	v_cndmask_b32_e32 v81, v69, v65, vcc_lo
	v_or_b32_e32 v79, 1, v78
	v_cmp_eq_u32_e64 s3, 2, v78
	v_cndmask_b32_e32 v87, v83, v91, vcc_lo
	v_cmp_eq_u32_e64 s6, 3, v78
	v_cmp_eq_u32_e64 s8, 4, v78
	;; [unrolled: 1-line block ×3, first 2 shown]
	v_cndmask_b32_e64 v81, v81, v70, s3
	v_cmp_eq_u32_e64 s5, 2, v79
	v_cndmask_b32_e64 v87, v87, v84, s3
	v_cmp_eq_u32_e64 s7, 3, v79
	v_cndmask_b32_e64 v88, v69, v65, s2
	v_cndmask_b32_e64 v81, v81, v66, s6
	v_or_b32_e32 v77, 2, v78
	v_cndmask_b32_e64 v87, v87, v97, s6
	v_cndmask_b32_e64 v89, v83, v91, s2
	;; [unrolled: 1-line block ×4, first 2 shown]
	v_cmp_eq_u32_e64 s9, 5, v78
	v_cndmask_b32_e64 v87, v87, v85, s8
	v_cmp_eq_u32_e64 s10, 4, v79
	v_cndmask_b32_e64 v88, v88, v66, s7
	;; [unrolled: 2-line block ×3, first 2 shown]
	v_cndmask_b32_e64 v81, v81, v95, s9
	v_cmp_eq_u32_e64 s11, 6, v78
	v_cndmask_b32_e64 v88, v88, v71, s10
	v_cndmask_b32_e64 v87, v87, v98, s9
	v_cmp_eq_u32_e64 s12, 5, v79
	v_cndmask_b32_e64 v90, v69, v65, s4
	v_cndmask_b32_e64 v89, v89, v97, s7
	;; [unrolled: 1-line block ×3, first 2 shown]
	v_cmp_eq_u32_e64 s13, 7, v78
	v_cndmask_b32_e64 v88, v88, v95, s12
	v_cndmask_b32_e64 v87, v87, v86, s11
	v_cmp_eq_u32_e64 s15, 6, v79
	v_cmp_eq_u32_e64 s16, 2, v77
	v_cndmask_b32_e64 v89, v89, v85, s10
	v_cndmask_b32_e64 v100, v81, v96, s13
	;; [unrolled: 1-line block ×6, first 2 shown]
	v_cmp_eq_u32_e64 s17, 7, v79
	v_cmp_eq_u32_e64 s18, 3, v77
	;; [unrolled: 1-line block ×4, first 2 shown]
	v_cndmask_b32_e64 v87, v87, v84, s16
	v_cndmask_b32_e64 v102, v88, v96, s17
	v_cndmask_b32_e64 v88, v89, v98, s12
	v_cndmask_b32_e64 v89, v81, v66, s18
	v_or_b32_e32 v81, 3, v78
	v_cndmask_b32_e64 v93, v87, v97, s18
	v_cmp_eq_u32_e64 s23, 6, v77
	v_cndmask_b32_e64 v103, v88, v86, s15
	v_cndmask_b32_e64 v92, v89, v71, s19
	v_cmp_eq_u32_e64 s20, 1, v81
	ds_load_b128 v[87:90], v82 offset:1024
	v_cmp_eq_u32_e64 s22, 2, v81
	v_cmp_eq_u32_e64 s24, 3, v81
	v_cndmask_b32_e64 v104, v92, v95, s21
	v_cndmask_b32_e64 v65, v69, v65, s20
	;; [unrolled: 1-line block ×4, first 2 shown]
	ds_load_b128 v[91:94], v82 offset:1040
	v_cmp_eq_u32_e64 s25, 4, v81
	v_cndmask_b32_e64 v65, v65, v70, s22
	v_cmp_eq_u32_e64 s27, 5, v81
	v_cndmask_b32_e64 v70, v83, v84, s22
	;; [unrolled: 2-line block ×3, first 2 shown]
	v_cndmask_b32_e64 v65, v65, v66, s24
	v_cndmask_b32_e64 v66, v104, v72, s23
	;; [unrolled: 1-line block ×3, first 2 shown]
	v_cmp_eq_u32_e64 s26, 7, v77
	v_cndmask_b32_e64 v69, v69, v86, s23
	v_cndmask_b32_e64 v65, v65, v71, s25
	s_waitcnt lgkmcnt(1)
	v_lshrrev_b32_e32 v84, 16, v87
	v_cndmask_b32_e64 v70, v70, v85, s25
	v_cndmask_b32_e64 v83, v103, v99, s17
	;; [unrolled: 1-line block ×4, first 2 shown]
	v_lshrrev_b32_e32 v95, 16, v88
	v_cndmask_b32_e64 v70, v70, v98, s27
	s_waitcnt lgkmcnt(0)
	v_lshrrev_b32_e32 v85, 16, v91
	v_cndmask_b32_e64 v97, v87, v84, s2
	v_cndmask_b32_e64 v65, v65, v72, s28
	;; [unrolled: 1-line block ×4, first 2 shown]
	v_cndmask_b32_e32 v71, v87, v84, vcc_lo
	v_cndmask_b32_e32 v98, v91, v85, vcc_lo
	v_cmp_eq_u32_e32 vcc_lo, 7, v81
	v_cndmask_b32_e64 v72, v97, v88, s5
	v_lshrrev_b32_e32 v97, 16, v92
	v_lshrrev_b32_e32 v103, 16, v90
	v_dual_cndmask_b32 v65, v65, v96 :: v_dual_cndmask_b32 v70, v70, v99
	v_cndmask_b32_e64 v71, v71, v88, s3
	v_cndmask_b32_e64 v86, v98, v92, s3
	;; [unrolled: 1-line block ×3, first 2 shown]
	v_lshrrev_b32_e32 v98, 16, v89
	v_lshrrev_b32_e32 v99, 16, v93
	v_cndmask_b32_e64 v71, v71, v95, s6
	v_cndmask_b32_e64 v86, v86, v97, s6
	;; [unrolled: 1-line block ×3, first 2 shown]
	v_perm_b32 v72, v70, v65, 0x5040100
	v_perm_b32 v70, v83, v102, 0x5040100
	v_cndmask_b32_e64 v71, v71, v89, s8
	v_cndmask_b32_e64 v86, v86, v93, s8
	;; [unrolled: 1-line block ×3, first 2 shown]
	v_lshrrev_b32_e32 v83, 16, v94
	s_delay_alu instid0(VALU_DEP_4) | instskip(NEXT) | instid1(VALU_DEP_4)
	v_cndmask_b32_e64 v71, v71, v98, s9
	v_cndmask_b32_e64 v86, v86, v99, s9
	s_delay_alu instid0(VALU_DEP_4) | instskip(NEXT) | instid1(VALU_DEP_3)
	v_cndmask_b32_e64 v65, v65, v90, s15
	v_cndmask_b32_e64 v96, v71, v90, s11
	v_perm_b32 v71, v69, v66, 0x5040100
	s_delay_alu instid0(VALU_DEP_4)
	v_cndmask_b32_e64 v69, v86, v94, s11
	v_cndmask_b32_e64 v86, v87, v84, s4
	;; [unrolled: 1-line block ×34, first 2 shown]
	v_cndmask_b32_e32 v84, v84, v103, vcc_lo
	v_cndmask_b32_e32 v86, v87, v83, vcc_lo
	v_cndmask_b32_e64 v87, v88, v83, s26
	v_cndmask_b32_e64 v88, v85, v83, s17
	;; [unrolled: 1-line block ×3, first 2 shown]
	v_perm_b32 v69, v101, v100, 0x5040100
	v_perm_b32 v86, v86, v84, 0x5040100
	;; [unrolled: 1-line block ×5, first 2 shown]
	s_lshl_b32 s7, s35, 2
	s_mov_b32 s2, exec_lo
	ds_store_b128 v76, v[69:72]
	ds_store_b128 v76, v[83:86] offset:1024
	v_cmpx_gt_u32_e32 4, v0
	s_cbranch_execz .LBB1857_78
; %bb.77:
	v_or_b32_e32 v65, s29, v0
	s_load_b128 s[8:11], s[0:1], 0x58
	s_delay_alu instid0(VALU_DEP_1) | instskip(NEXT) | instid1(VALU_DEP_1)
	v_mad_u64_u32 v[69:70], null, s7, s30, v[65:66]
	v_mad_u64_u32 v[65:66], null, v69, s34, s[14:15]
	s_delay_alu instid0(VALU_DEP_1) | instskip(NEXT) | instid1(VALU_DEP_1)
	v_ashrrev_i32_e32 v66, 31, v65
	v_lshlrev_b64 v[65:66], 2, v[65:66]
	s_waitcnt lgkmcnt(0)
	s_delay_alu instid0(VALU_DEP_1) | instskip(NEXT) | instid1(VALU_DEP_2)
	v_add_co_u32 v69, vcc_lo, s10, v65
	v_add_co_ci_u32_e32 v70, vcc_lo, s11, v66, vcc_lo
	v_add_co_u32 v65, vcc_lo, s8, v65
	v_add_co_ci_u32_e32 v66, vcc_lo, s9, v66, vcc_lo
	global_store_b32 v[69:70], v67, off
	global_store_b32 v[65:66], v68, off
.LBB1857_78:
	s_or_b32 exec_lo, exec_lo, s2
	s_waitcnt lgkmcnt(0)
	s_waitcnt_vscnt null, 0x0
	s_barrier
	buffer_gl0_inv
	ds_load_b128 v[83:86], v80
	ds_load_b128 v[87:90], v80 offset:16
	ds_load_b128 v[95:98], v80 offset:2064
	;; [unrolled: 1-line block ×3, first 2 shown]
	v_mov_b32_e32 v65, 0
	ds_load_b128 v[103:106], v80 offset:4112
	ds_load_b128 v[99:102], v80 offset:4096
	;; [unrolled: 1-line block ×4, first 2 shown]
	v_mov_b32_e32 v66, v65
	v_mov_b32_e32 v67, v65
	;; [unrolled: 1-line block ×7, first 2 shown]
	s_waitcnt lgkmcnt(6)
	s_delay_alu instid0(VALU_DEP_1)
	v_wmma_f32_16x16x16_bf16 v[65:72], v[49:56], v[83:90], v[65:72]
	ds_load_b128 v[53:56], v80 offset:8208
	ds_load_b128 v[49:52], v80 offset:8192
	s_waitcnt lgkmcnt(6)
	v_wmma_f32_16x16x16_bf16 v[65:72], v[41:48], v[91:98], v[65:72]
	ds_load_b128 v[45:48], v80 offset:10256
	ds_load_b128 v[41:44], v80 offset:10240
	s_waitcnt lgkmcnt(6)
	;; [unrolled: 4-line block ×4, first 2 shown]
	v_wmma_f32_16x16x16_bf16 v[65:72], v[1:8], v[49:56], v[65:72]
	s_waitcnt lgkmcnt(4)
	s_delay_alu instid0(VALU_DEP_1) | instskip(SKIP_1) | instid1(VALU_DEP_1)
	v_wmma_f32_16x16x16_bf16 v[65:72], v[9:16], v[41:48], v[65:72]
	s_waitcnt lgkmcnt(2)
	v_wmma_f32_16x16x16_bf16 v[65:72], v[17:24], v[33:40], v[65:72]
	s_waitcnt lgkmcnt(0)
	s_delay_alu instid0(VALU_DEP_1) | instskip(NEXT) | instid1(VALU_DEP_1)
	v_wmma_f32_16x16x16_bf16 v[65:72], v[57:64], v[25:32], v[65:72]
	v_and_b32_e32 v1, 0x7f800000, v65
	s_delay_alu instid0(VALU_DEP_1) | instskip(SKIP_1) | instid1(SALU_CYCLE_1)
	v_cmp_ne_u32_e32 vcc_lo, 0x7f800000, v1
                                        ; implicit-def: $vgpr1
	s_and_saveexec_b32 s2, vcc_lo
	s_xor_b32 s2, exec_lo, s2
; %bb.79:
	v_bfe_u32 v1, v65, 16, 1
	s_delay_alu instid0(VALU_DEP_1)
	v_add3_u32 v1, v65, v1, 0x7fff
; %bb.80:
	s_and_not1_saveexec_b32 s2, s2
; %bb.81:
	v_and_b32_e32 v1, 0xffff, v65
	v_or_b32_e32 v2, 0x10000, v65
	s_delay_alu instid0(VALU_DEP_2) | instskip(NEXT) | instid1(VALU_DEP_2)
	v_cmp_eq_u32_e32 vcc_lo, 0, v1
	v_cndmask_b32_e32 v1, v2, v65, vcc_lo
; %bb.82:
	s_or_b32 exec_lo, exec_lo, s2
	v_and_b32_e32 v2, 0x7f800000, v66
	s_delay_alu instid0(VALU_DEP_1) | instskip(SKIP_1) | instid1(SALU_CYCLE_1)
	v_cmp_ne_u32_e32 vcc_lo, 0x7f800000, v2
                                        ; implicit-def: $vgpr2
	s_and_saveexec_b32 s2, vcc_lo
	s_xor_b32 s2, exec_lo, s2
; %bb.83:
	v_bfe_u32 v2, v66, 16, 1
	s_delay_alu instid0(VALU_DEP_1)
	v_add3_u32 v2, v66, v2, 0x7fff
; %bb.84:
	s_and_not1_saveexec_b32 s2, s2
; %bb.85:
	v_and_b32_e32 v2, 0xffff, v66
	v_or_b32_e32 v3, 0x10000, v66
	s_delay_alu instid0(VALU_DEP_2) | instskip(NEXT) | instid1(VALU_DEP_2)
	v_cmp_eq_u32_e32 vcc_lo, 0, v2
	v_cndmask_b32_e32 v2, v3, v66, vcc_lo
; %bb.86:
	s_or_b32 exec_lo, exec_lo, s2
	v_and_b32_e32 v3, 0x7f800000, v67
	s_delay_alu instid0(VALU_DEP_1) | instskip(SKIP_1) | instid1(SALU_CYCLE_1)
	v_cmp_ne_u32_e32 vcc_lo, 0x7f800000, v3
                                        ; implicit-def: $vgpr3
	s_and_saveexec_b32 s2, vcc_lo
	s_xor_b32 s2, exec_lo, s2
; %bb.87:
	v_bfe_u32 v3, v67, 16, 1
	s_delay_alu instid0(VALU_DEP_1)
	v_add3_u32 v3, v67, v3, 0x7fff
; %bb.88:
	s_and_not1_saveexec_b32 s2, s2
; %bb.89:
	v_and_b32_e32 v3, 0xffff, v67
	v_or_b32_e32 v4, 0x10000, v67
	s_delay_alu instid0(VALU_DEP_2) | instskip(NEXT) | instid1(VALU_DEP_2)
	v_cmp_eq_u32_e32 vcc_lo, 0, v3
	v_cndmask_b32_e32 v3, v4, v67, vcc_lo
; %bb.90:
	s_or_b32 exec_lo, exec_lo, s2
	v_and_b32_e32 v4, 0x7f800000, v68
	s_delay_alu instid0(VALU_DEP_1) | instskip(SKIP_1) | instid1(SALU_CYCLE_1)
	v_cmp_ne_u32_e32 vcc_lo, 0x7f800000, v4
                                        ; implicit-def: $vgpr4
	s_and_saveexec_b32 s2, vcc_lo
	s_xor_b32 s2, exec_lo, s2
; %bb.91:
	v_bfe_u32 v4, v68, 16, 1
	s_delay_alu instid0(VALU_DEP_1)
	v_add3_u32 v4, v68, v4, 0x7fff
; %bb.92:
	s_and_not1_saveexec_b32 s2, s2
; %bb.93:
	v_and_b32_e32 v4, 0xffff, v68
	v_or_b32_e32 v5, 0x10000, v68
	s_delay_alu instid0(VALU_DEP_2) | instskip(NEXT) | instid1(VALU_DEP_2)
	v_cmp_eq_u32_e32 vcc_lo, 0, v4
	v_cndmask_b32_e32 v4, v5, v68, vcc_lo
; %bb.94:
	s_or_b32 exec_lo, exec_lo, s2
	v_and_b32_e32 v5, 0x7f800000, v69
	s_delay_alu instid0(VALU_DEP_1) | instskip(SKIP_1) | instid1(SALU_CYCLE_1)
	v_cmp_ne_u32_e32 vcc_lo, 0x7f800000, v5
                                        ; implicit-def: $vgpr5
	s_and_saveexec_b32 s2, vcc_lo
	s_xor_b32 s2, exec_lo, s2
; %bb.95:
	v_bfe_u32 v5, v69, 16, 1
	s_delay_alu instid0(VALU_DEP_1)
	v_add3_u32 v5, v69, v5, 0x7fff
; %bb.96:
	s_and_not1_saveexec_b32 s2, s2
; %bb.97:
	v_and_b32_e32 v5, 0xffff, v69
	v_or_b32_e32 v6, 0x10000, v69
	s_delay_alu instid0(VALU_DEP_2) | instskip(NEXT) | instid1(VALU_DEP_2)
	v_cmp_eq_u32_e32 vcc_lo, 0, v5
	v_cndmask_b32_e32 v5, v6, v69, vcc_lo
; %bb.98:
	s_or_b32 exec_lo, exec_lo, s2
	v_and_b32_e32 v6, 0x7f800000, v70
	s_delay_alu instid0(VALU_DEP_1) | instskip(SKIP_1) | instid1(SALU_CYCLE_1)
	v_cmp_ne_u32_e32 vcc_lo, 0x7f800000, v6
                                        ; implicit-def: $vgpr6
	s_and_saveexec_b32 s2, vcc_lo
	s_xor_b32 s2, exec_lo, s2
; %bb.99:
	v_bfe_u32 v6, v70, 16, 1
	s_delay_alu instid0(VALU_DEP_1)
	v_add3_u32 v6, v70, v6, 0x7fff
; %bb.100:
	s_and_not1_saveexec_b32 s2, s2
; %bb.101:
	v_and_b32_e32 v6, 0xffff, v70
	v_or_b32_e32 v7, 0x10000, v70
	s_delay_alu instid0(VALU_DEP_2) | instskip(NEXT) | instid1(VALU_DEP_2)
	v_cmp_eq_u32_e32 vcc_lo, 0, v6
	v_cndmask_b32_e32 v6, v7, v70, vcc_lo
; %bb.102:
	s_or_b32 exec_lo, exec_lo, s2
	v_and_b32_e32 v7, 0x7f800000, v71
	s_delay_alu instid0(VALU_DEP_1) | instskip(SKIP_1) | instid1(SALU_CYCLE_1)
	v_cmp_ne_u32_e32 vcc_lo, 0x7f800000, v7
                                        ; implicit-def: $vgpr7
	s_and_saveexec_b32 s2, vcc_lo
	s_xor_b32 s2, exec_lo, s2
; %bb.103:
	v_bfe_u32 v7, v71, 16, 1
	s_delay_alu instid0(VALU_DEP_1)
	v_add3_u32 v7, v71, v7, 0x7fff
; %bb.104:
	s_and_not1_saveexec_b32 s2, s2
; %bb.105:
	v_and_b32_e32 v7, 0xffff, v71
	v_or_b32_e32 v8, 0x10000, v71
	s_delay_alu instid0(VALU_DEP_2) | instskip(NEXT) | instid1(VALU_DEP_2)
	v_cmp_eq_u32_e32 vcc_lo, 0, v7
	v_cndmask_b32_e32 v7, v8, v71, vcc_lo
; %bb.106:
	s_or_b32 exec_lo, exec_lo, s2
	v_and_b32_e32 v8, 0x7f800000, v72
	s_delay_alu instid0(VALU_DEP_1) | instskip(SKIP_1) | instid1(SALU_CYCLE_1)
	v_cmp_ne_u32_e32 vcc_lo, 0x7f800000, v8
                                        ; implicit-def: $vgpr8
	s_and_saveexec_b32 s2, vcc_lo
	s_xor_b32 s2, exec_lo, s2
; %bb.107:
	v_bfe_u32 v8, v72, 16, 1
	s_delay_alu instid0(VALU_DEP_1)
	v_add3_u32 v8, v72, v8, 0x7fff
                                        ; implicit-def: $vgpr65_vgpr66_vgpr67_vgpr68_vgpr69_vgpr70_vgpr71_vgpr72
; %bb.108:
	s_and_not1_saveexec_b32 s2, s2
; %bb.109:
	v_and_b32_e32 v8, 0xffff, v72
	v_or_b32_e32 v9, 0x10000, v72
	s_delay_alu instid0(VALU_DEP_2) | instskip(NEXT) | instid1(VALU_DEP_2)
	v_cmp_eq_u32_e32 vcc_lo, 0, v8
	v_cndmask_b32_e32 v8, v9, v72, vcc_lo
; %bb.110:
	s_or_b32 exec_lo, exec_lo, s2
	s_delay_alu instid0(VALU_DEP_1)
	v_perm_b32 v7, v8, v7, 0x7060302
	v_perm_b32 v6, v6, v5, 0x7060302
	;; [unrolled: 1-line block ×4, first 2 shown]
	s_barrier
	buffer_gl0_inv
	v_cmp_eq_u32_e32 vcc_lo, 1, v78
	ds_store_b128 v76, v[4:7]
	s_waitcnt lgkmcnt(0)
	s_barrier
	buffer_gl0_inv
	ds_load_b128 v[1:4], v82
	ds_load_b128 v[5:8], v82 offset:16
	v_cmp_eq_u32_e64 s2, 1, v79
	v_cmp_eq_u32_e64 s3, 2, v78
	;; [unrolled: 1-line block ×5, first 2 shown]
	s_waitcnt lgkmcnt(1)
	v_lshrrev_b32_e32 v9, 16, v1
	s_waitcnt lgkmcnt(0)
	v_lshrrev_b32_e32 v13, 16, v5
	v_lshrrev_b32_e32 v10, 16, v2
	;; [unrolled: 1-line block ×4, first 2 shown]
	v_cndmask_b32_e64 v19, v1, v9, s2
	v_cndmask_b32_e32 v18, v5, v13, vcc_lo
	v_cndmask_b32_e64 v20, v5, v13, s2
	v_cndmask_b32_e32 v17, v1, v9, vcc_lo
	v_cmp_eq_u32_e32 vcc_lo, 2, v79
	v_lshrrev_b32_e32 v15, 16, v7
	v_cmp_eq_u32_e64 s2, 1, v77
	v_lshrrev_b32_e32 v12, 16, v4
	v_lshrrev_b32_e32 v16, 16, v8
	v_cndmask_b32_e32 v20, v20, v6, vcc_lo
	v_cndmask_b32_e64 v17, v17, v2, s3
	v_cndmask_b32_e32 v19, v19, v2, vcc_lo
	v_cndmask_b32_e64 v18, v18, v6, s3
	v_cmp_eq_u32_e32 vcc_lo, 4, v78
	v_cmp_eq_u32_e64 s3, 3, v79
	v_cndmask_b32_e64 v17, v17, v10, s4
	v_cndmask_b32_e64 v21, v1, v9, s2
	;; [unrolled: 1-line block ×5, first 2 shown]
	v_cndmask_b32_e32 v17, v17, v3, vcc_lo
	v_cndmask_b32_e64 v20, v20, v14, s3
	v_cndmask_b32_e32 v18, v18, v7, vcc_lo
	v_cmp_eq_u32_e32 vcc_lo, 4, v79
	v_cmp_eq_u32_e64 s3, 5, v79
	v_cmp_eq_u32_e64 s2, 2, v81
	v_cndmask_b32_e64 v21, v21, v2, s6
	v_cmp_eq_u32_e64 s4, 5, v78
	v_cndmask_b32_e32 v19, v19, v3, vcc_lo
	v_cndmask_b32_e32 v20, v20, v7, vcc_lo
	v_cmp_eq_u32_e32 vcc_lo, 6, v79
	s_delay_alu instid0(VALU_DEP_4) | instskip(NEXT) | instid1(VALU_DEP_4)
	v_cndmask_b32_e64 v17, v17, v11, s4
	v_cndmask_b32_e64 v19, v19, v11, s3
	s_delay_alu instid0(VALU_DEP_4) | instskip(SKIP_1) | instid1(VALU_DEP_3)
	v_cndmask_b32_e64 v20, v20, v15, s3
	v_cmp_eq_u32_e64 s3, 1, v81
	v_cndmask_b32_e32 v19, v19, v4, vcc_lo
	v_cndmask_b32_e64 v18, v18, v15, s4
	s_delay_alu instid0(VALU_DEP_3)
	v_cndmask_b32_e64 v1, v1, v9, s3
	v_cndmask_b32_e64 v5, v5, v13, s3
	v_cmp_eq_u32_e64 s3, 3, v77
	v_cndmask_b32_e64 v13, v22, v6, s6
	v_cmp_eq_u32_e64 s6, 3, v81
	v_cndmask_b32_e64 v1, v1, v2, s2
	v_cndmask_b32_e64 v2, v5, v6, s2
	v_cndmask_b32_e64 v9, v21, v10, s3
	v_cmp_eq_u32_e64 s2, 4, v77
	v_cndmask_b32_e64 v6, v13, v14, s3
	v_cndmask_b32_e64 v1, v1, v10, s6
	v_cmp_eq_u32_e64 s3, 4, v81
	v_cndmask_b32_e64 v2, v2, v14, s6
	v_cndmask_b32_e64 v5, v9, v3, s2
	;; [unrolled: 3-line block ×3, first 2 shown]
	v_cndmask_b32_e64 v2, v2, v7, s3
	v_cmp_eq_u32_e64 s2, 5, v81
	v_cmp_eq_u32_e64 s4, 6, v78
	v_cndmask_b32_e64 v5, v5, v11, s6
	v_cmp_eq_u32_e64 s3, 6, v77
	v_cndmask_b32_e64 v3, v6, v15, s6
	v_cndmask_b32_e64 v1, v1, v11, s2
	v_cmp_eq_u32_e64 s6, 6, v81
	v_cndmask_b32_e64 v2, v2, v15, s2
	v_cndmask_b32_e64 v17, v17, v4, s4
	v_cndmask_b32_e64 v18, v18, v8, s4
	v_cmp_eq_u32_e64 s4, 7, v78
	v_cndmask_b32_e64 v5, v5, v4, s3
	;; [unrolled: 4-line block ×3, first 2 shown]
	v_cmp_eq_u32_e64 s3, 7, v77
	v_cndmask_b32_e32 v4, v20, v8, vcc_lo
	v_cndmask_b32_e64 v17, v17, v12, s4
	v_cndmask_b32_e64 v19, v19, v12, s5
	;; [unrolled: 1-line block ×8, first 2 shown]
	s_mov_b32 s2, exec_lo
	v_perm_b32 v4, v2, v1, 0x5040100
	v_perm_b32 v3, v3, v5, 0x5040100
	;; [unrolled: 1-line block ×4, first 2 shown]
	ds_store_b128 v76, v[1:4]
	s_waitcnt lgkmcnt(0)
	s_barrier
	buffer_gl0_inv
	v_cmpx_gt_u32_e32 32, v0
	s_cbranch_execz .LBB1857_2
; %bb.111:
	s_load_b64 s[0:1], s[0:1], 0x68
	v_lshlrev_b32_e32 v0, 10, v0
	v_or_b32_e32 v1, s29, v74
	s_lshl_b32 s4, s34, 7
	v_lshlrev_b32_e32 v2, 4, v75
	s_mul_i32 s2, s4, s30
	v_lshlrev_b32_e32 v3, 6, v74
	v_mul_lo_u32 v8, v1, s4
	v_and_b32_e32 v0, 0x3800, v0
	v_or_b32_e32 v1, 2, v1
	s_mul_i32 s2, s2, s7
	s_delay_alu instid0(SALU_CYCLE_1) | instskip(NEXT) | instid1(VALU_DEP_2)
	s_ashr_i32 s3, s2, 31
	v_or3_b32 v4, v0, v2, v3
	s_lshl_b64 s[2:3], s[2:3], 1
	v_mul_lo_u32 v10, v1, s4
	v_ashrrev_i32_e32 v9, 31, v8
	ds_load_b128 v[0:3], v4
	ds_load_b128 v[4:7], v4 offset:128
	s_waitcnt lgkmcnt(0)
	s_add_u32 s2, s0, s2
	s_addc_u32 s3, s1, s3
	s_lshl_b32 s0, s14, 7
	v_ashrrev_i32_e32 v11, 31, v10
	s_ashr_i32 s1, s0, 31
	v_lshlrev_b64 v[8:9], 1, v[8:9]
	s_lshl_b64 s[0:1], s[0:1], 1
	s_delay_alu instid0(SALU_CYCLE_1) | instskip(SKIP_2) | instid1(VALU_DEP_1)
	s_add_u32 s0, s2, s0
	s_addc_u32 s1, s3, s1
	v_add_co_u32 v12, s0, s0, v73
	v_add_co_ci_u32_e64 v13, null, s1, 0, s0
	v_lshlrev_b64 v[10:11], 1, v[10:11]
	s_delay_alu instid0(VALU_DEP_3) | instskip(NEXT) | instid1(VALU_DEP_3)
	v_add_co_u32 v8, vcc_lo, v12, v8
	v_add_co_ci_u32_e32 v9, vcc_lo, v13, v9, vcc_lo
	s_delay_alu instid0(VALU_DEP_3) | instskip(NEXT) | instid1(VALU_DEP_4)
	v_add_co_u32 v10, vcc_lo, v12, v10
	v_add_co_ci_u32_e32 v11, vcc_lo, v13, v11, vcc_lo
	s_clause 0x1
	global_store_b128 v[8:9], v[0:3], off
	global_store_b128 v[10:11], v[4:7], off
	s_nop 0
	s_sendmsg sendmsg(MSG_DEALLOC_VGPRS)
	s_endpgm
	.section	.rodata,"a",@progbits
	.p2align	6, 0x0
	.amdhsa_kernel _Z39paged_attention_ll4mi_QKV_mfma16_kernelI14__hip_bfloat16hLN4vllm18Fp8KVCacheDataTypeE1ES0_Li16ELi128ELi256ELb0ELi4EL8MFMAType0EEvPKT_PKT0_S9_ifPKiSB_SB_iPKfiiiPfSE_PS4_PT2_iSD_SD_
		.amdhsa_group_segment_fixed_size 17472
		.amdhsa_private_segment_fixed_size 0
		.amdhsa_kernarg_size 400
		.amdhsa_user_sgpr_count 13
		.amdhsa_user_sgpr_dispatch_ptr 0
		.amdhsa_user_sgpr_queue_ptr 0
		.amdhsa_user_sgpr_kernarg_segment_ptr 1
		.amdhsa_user_sgpr_dispatch_id 0
		.amdhsa_user_sgpr_private_segment_size 0
		.amdhsa_wavefront_size32 1
		.amdhsa_uses_dynamic_stack 0
		.amdhsa_enable_private_segment 0
		.amdhsa_system_sgpr_workgroup_id_x 1
		.amdhsa_system_sgpr_workgroup_id_y 1
		.amdhsa_system_sgpr_workgroup_id_z 1
		.amdhsa_system_sgpr_workgroup_info 0
		.amdhsa_system_vgpr_workitem_id 0
		.amdhsa_next_free_vgpr 140
		.amdhsa_next_free_sgpr 36
		.amdhsa_reserve_vcc 1
		.amdhsa_float_round_mode_32 0
		.amdhsa_float_round_mode_16_64 0
		.amdhsa_float_denorm_mode_32 3
		.amdhsa_float_denorm_mode_16_64 3
		.amdhsa_dx10_clamp 1
		.amdhsa_ieee_mode 1
		.amdhsa_fp16_overflow 0
		.amdhsa_workgroup_processor_mode 1
		.amdhsa_memory_ordered 1
		.amdhsa_forward_progress 0
		.amdhsa_shared_vgpr_count 0
		.amdhsa_exception_fp_ieee_invalid_op 0
		.amdhsa_exception_fp_denorm_src 0
		.amdhsa_exception_fp_ieee_div_zero 0
		.amdhsa_exception_fp_ieee_overflow 0
		.amdhsa_exception_fp_ieee_underflow 0
		.amdhsa_exception_fp_ieee_inexact 0
		.amdhsa_exception_int_div_zero 0
	.end_amdhsa_kernel
	.section	.text._Z39paged_attention_ll4mi_QKV_mfma16_kernelI14__hip_bfloat16hLN4vllm18Fp8KVCacheDataTypeE1ES0_Li16ELi128ELi256ELb0ELi4EL8MFMAType0EEvPKT_PKT0_S9_ifPKiSB_SB_iPKfiiiPfSE_PS4_PT2_iSD_SD_,"axG",@progbits,_Z39paged_attention_ll4mi_QKV_mfma16_kernelI14__hip_bfloat16hLN4vllm18Fp8KVCacheDataTypeE1ES0_Li16ELi128ELi256ELb0ELi4EL8MFMAType0EEvPKT_PKT0_S9_ifPKiSB_SB_iPKfiiiPfSE_PS4_PT2_iSD_SD_,comdat
.Lfunc_end1857:
	.size	_Z39paged_attention_ll4mi_QKV_mfma16_kernelI14__hip_bfloat16hLN4vllm18Fp8KVCacheDataTypeE1ES0_Li16ELi128ELi256ELb0ELi4EL8MFMAType0EEvPKT_PKT0_S9_ifPKiSB_SB_iPKfiiiPfSE_PS4_PT2_iSD_SD_, .Lfunc_end1857-_Z39paged_attention_ll4mi_QKV_mfma16_kernelI14__hip_bfloat16hLN4vllm18Fp8KVCacheDataTypeE1ES0_Li16ELi128ELi256ELb0ELi4EL8MFMAType0EEvPKT_PKT0_S9_ifPKiSB_SB_iPKfiiiPfSE_PS4_PT2_iSD_SD_
                                        ; -- End function
	.section	.AMDGPU.csdata,"",@progbits
; Kernel info:
; codeLenInByte = 8732
; NumSgprs: 38
; NumVgprs: 140
; ScratchSize: 0
; MemoryBound: 0
; FloatMode: 240
; IeeeMode: 1
; LDSByteSize: 17472 bytes/workgroup (compile time only)
; SGPRBlocks: 4
; VGPRBlocks: 17
; NumSGPRsForWavesPerEU: 38
; NumVGPRsForWavesPerEU: 140
; Occupancy: 10
; WaveLimiterHint : 1
; COMPUTE_PGM_RSRC2:SCRATCH_EN: 0
; COMPUTE_PGM_RSRC2:USER_SGPR: 13
; COMPUTE_PGM_RSRC2:TRAP_HANDLER: 0
; COMPUTE_PGM_RSRC2:TGID_X_EN: 1
; COMPUTE_PGM_RSRC2:TGID_Y_EN: 1
; COMPUTE_PGM_RSRC2:TGID_Z_EN: 1
; COMPUTE_PGM_RSRC2:TIDIG_COMP_CNT: 0
	.section	.text._Z39paged_attention_ll4mi_QKV_mfma16_kernelI14__hip_bfloat16hLN4vllm18Fp8KVCacheDataTypeE1EhLi32ELi128ELi256ELb1ELi5EL8MFMAType0EEvPKT_PKT0_S9_ifPKiSB_SB_iPKfiiiPfSE_PS4_PT2_iSD_SD_,"axG",@progbits,_Z39paged_attention_ll4mi_QKV_mfma16_kernelI14__hip_bfloat16hLN4vllm18Fp8KVCacheDataTypeE1EhLi32ELi128ELi256ELb1ELi5EL8MFMAType0EEvPKT_PKT0_S9_ifPKiSB_SB_iPKfiiiPfSE_PS4_PT2_iSD_SD_,comdat
	.protected	_Z39paged_attention_ll4mi_QKV_mfma16_kernelI14__hip_bfloat16hLN4vllm18Fp8KVCacheDataTypeE1EhLi32ELi128ELi256ELb1ELi5EL8MFMAType0EEvPKT_PKT0_S9_ifPKiSB_SB_iPKfiiiPfSE_PS4_PT2_iSD_SD_ ; -- Begin function _Z39paged_attention_ll4mi_QKV_mfma16_kernelI14__hip_bfloat16hLN4vllm18Fp8KVCacheDataTypeE1EhLi32ELi128ELi256ELb1ELi5EL8MFMAType0EEvPKT_PKT0_S9_ifPKiSB_SB_iPKfiiiPfSE_PS4_PT2_iSD_SD_
	.globl	_Z39paged_attention_ll4mi_QKV_mfma16_kernelI14__hip_bfloat16hLN4vllm18Fp8KVCacheDataTypeE1EhLi32ELi128ELi256ELb1ELi5EL8MFMAType0EEvPKT_PKT0_S9_ifPKiSB_SB_iPKfiiiPfSE_PS4_PT2_iSD_SD_
	.p2align	8
	.type	_Z39paged_attention_ll4mi_QKV_mfma16_kernelI14__hip_bfloat16hLN4vllm18Fp8KVCacheDataTypeE1EhLi32ELi128ELi256ELb1ELi5EL8MFMAType0EEvPKT_PKT0_S9_ifPKiSB_SB_iPKfiiiPfSE_PS4_PT2_iSD_SD_,@function
_Z39paged_attention_ll4mi_QKV_mfma16_kernelI14__hip_bfloat16hLN4vllm18Fp8KVCacheDataTypeE1EhLi32ELi128ELi256ELb1ELi5EL8MFMAType0EEvPKT_PKT0_S9_ifPKiSB_SB_iPKfiiiPfSE_PS4_PT2_iSD_SD_: ; @_Z39paged_attention_ll4mi_QKV_mfma16_kernelI14__hip_bfloat16hLN4vllm18Fp8KVCacheDataTypeE1EhLi32ELi128ELi256ELb1ELi5EL8MFMAType0EEvPKT_PKT0_S9_ifPKiSB_SB_iPKfiiiPfSE_PS4_PT2_iSD_SD_
; %bb.0:
	s_load_b64 s[4:5], s[0:1], 0x30
	s_mov_b32 s30, s13
	s_waitcnt lgkmcnt(0)
	s_cmp_lg_u64 s[4:5], 0
	s_cselect_b32 s13, -1, 0
	s_ashr_i32 s31, s30, 31
	s_cmp_eq_u64 s[4:5], 0
	s_cbranch_scc1 .LBB1858_3
; %bb.1:
	s_lshl_b64 s[2:3], s[30:31], 2
	s_delay_alu instid0(SALU_CYCLE_1) | instskip(SKIP_4) | instid1(SALU_CYCLE_1)
	s_add_u32 s2, s4, s2
	s_addc_u32 s3, s5, s3
	s_load_b64 s[2:3], s[2:3], 0x0
	s_waitcnt lgkmcnt(0)
	s_sub_i32 s2, s3, s2
	s_cmp_eq_u32 s2, 1
	s_cselect_b32 s2, -1, 0
	s_delay_alu instid0(SALU_CYCLE_1)
	s_and_not1_b32 vcc_lo, exec_lo, s2
	s_cbranch_vccz .LBB1858_4
.LBB1858_2:
	s_nop 0
	s_sendmsg sendmsg(MSG_DEALLOC_VGPRS)
	s_endpgm
.LBB1858_3:
.LBB1858_4:
	s_load_b64 s[2:3], s[0:1], 0x28
	s_lshl_b64 s[6:7], s[30:31], 2
	s_waitcnt lgkmcnt(0)
	s_add_u32 s2, s2, s6
	s_addc_u32 s3, s3, s7
	s_lshl_b32 s12, s14, 8
	s_load_b32 s17, s[2:3], 0x0
	s_waitcnt lgkmcnt(0)
	s_cmp_ge_i32 s12, s17
	s_cbranch_scc1 .LBB1858_2
; %bb.5:
	s_clause 0x1
	s_load_b128 s[8:11], s[0:1], 0x8
	s_load_b64 s[2:3], s[0:1], 0x20
	s_and_not1_b32 vcc_lo, exec_lo, s13
	s_cbranch_vccnz .LBB1858_7
; %bb.6:
	s_add_u32 s4, s4, s6
	s_addc_u32 s5, s5, s7
	s_load_b32 s13, s[4:5], 0x0
	s_branch .LBB1858_8
.LBB1858_7:
	s_mov_b32 s13, s30
.LBB1858_8:
	s_load_b128 s[4:7], s[0:1], 0x48
	v_and_b32_e32 v65, 15, v0
	v_lshrrev_b32_e32 v66, 5, v0
	v_bfe_u32 v74, v0, 4, 1
	v_and_b32_e32 v67, 31, v0
	v_and_b32_e32 v75, 1, v0
	v_lshlrev_b32_e32 v2, 3, v65
	s_mul_i32 s31, s15, 5
	v_lshl_or_b32 v1, v66, 1, v74
	s_waitcnt lgkmcnt(0)
	s_mov_b32 s7, exec_lo
	v_lshlrev_b32_e32 v73, 1, v2
	s_delay_alu instid0(VALU_DEP_2)
	v_cmpx_gt_u32_e32 5, v1
	s_cbranch_execz .LBB1858_10
; %bb.9:
	s_load_b64 s[18:19], s[0:1], 0x0
	v_add_lshl_u32 v2, v1, s31, 7
	s_mul_hi_i32 s21, s13, s4
	s_mul_i32 s20, s13, s4
	v_lshlrev_b32_e32 v6, 10, v65
	s_lshl_b64 s[20:21], s[20:21], 1
	v_ashrrev_i32_e32 v3, 31, v2
	v_lshlrev_b32_e32 v1, 6, v1
	v_lshlrev_b32_e32 v7, 10, v75
	v_and_b32_e32 v6, 0x3800, v6
	s_delay_alu instid0(VALU_DEP_4) | instskip(NEXT) | instid1(VALU_DEP_2)
	v_lshlrev_b64 v[2:3], 1, v[2:3]
	v_or3_b32 v1, v6, v7, v1
	s_waitcnt lgkmcnt(0)
	s_add_u32 s4, s18, s20
	s_addc_u32 s13, s19, s21
	s_delay_alu instid0(VALU_DEP_2) | instskip(SKIP_1) | instid1(VALU_DEP_2)
	v_add_co_u32 v2, vcc_lo, s4, v2
	v_add_co_ci_u32_e32 v3, vcc_lo, s13, v3, vcc_lo
	v_add_co_u32 v2, vcc_lo, v2, v73
	s_delay_alu instid0(VALU_DEP_2)
	v_add_co_ci_u32_e32 v3, vcc_lo, 0, v3, vcc_lo
	global_load_b128 v[2:5], v[2:3], off
	s_waitcnt vmcnt(0)
	ds_store_b128 v1, v[2:5]
.LBB1858_10:
	s_or_b32 exec_lo, exec_lo, s7
	v_and_b32_e32 v1, 0xef, v0
	s_add_i32 s4, s17, 31
	s_clause 0x1
	s_load_b32 s7, s[0:1], 0x38
	s_load_b32 s18, s[0:1], 0x1c
	s_ashr_i32 s13, s4, 31
	v_add_nc_u32_e32 v2, s12, v1
	s_lshr_b32 s13, s13, 27
	s_waitcnt lgkmcnt(0)
	s_add_i32 s4, s4, s13
	s_barrier
	v_ashrrev_i32_e32 v1, 31, v2
	s_ashr_i32 s4, s4, 5
	v_cmp_gt_i32_e32 vcc_lo, s17, v2
	s_add_i32 s4, s4, -1
	buffer_gl0_inv
	v_lshrrev_b32_e32 v3, 27, v1
	v_or_b32_e32 v1, 16, v2
	s_mul_i32 s15, s15, s6
	s_delay_alu instid0(VALU_DEP_2) | instskip(SKIP_1) | instid1(SALU_CYCLE_1)
	v_add_nc_u32_e32 v4, v2, v3
	s_mul_i32 s20, s30, s7
	s_ashr_i32 s21, s20, 31
	s_delay_alu instid0(VALU_DEP_1) | instskip(SKIP_2) | instid1(SALU_CYCLE_1)
	v_ashrrev_i32_e32 v4, 5, v4
	v_add_nc_u32_e32 v3, v1, v3
	s_lshl_b64 s[20:21], s[20:21], 2
	s_add_u32 s7, s2, s20
	s_delay_alu instid0(VALU_DEP_2) | instskip(NEXT) | instid1(VALU_DEP_2)
	v_cndmask_b32_e32 v2, s4, v4, vcc_lo
	v_ashrrev_i32_e32 v3, 5, v3
	v_cmp_gt_i32_e32 vcc_lo, s17, v1
	s_addc_u32 s13, s3, s21
	s_ashr_i32 s6, s15, 31
	s_add_u32 s2, s8, s15
	s_addc_u32 s3, s9, s6
	v_cndmask_b32_e32 v4, s4, v3, vcc_lo
	v_ashrrev_i32_e32 v3, 31, v2
	s_lshl_b32 s8, s14, 3
	s_delay_alu instid0(SALU_CYCLE_1) | instskip(NEXT) | instid1(VALU_DEP_2)
	s_ashr_i32 s9, s8, 31
	v_ashrrev_i32_e32 v5, 31, v4
	s_delay_alu instid0(VALU_DEP_2) | instskip(SKIP_1) | instid1(SALU_CYCLE_1)
	v_lshlrev_b64 v[1:2], 2, v[2:3]
	s_lshl_b64 s[8:9], s[8:9], 2
	s_add_u32 s8, s7, s8
	s_delay_alu instid0(VALU_DEP_2) | instskip(SKIP_1) | instid1(VALU_DEP_2)
	v_lshlrev_b64 v[3:4], 2, v[4:5]
	s_addc_u32 s9, s13, s9
	v_add_co_u32 v1, vcc_lo, s7, v1
	v_add_co_ci_u32_e32 v2, vcc_lo, s13, v2, vcc_lo
	s_delay_alu instid0(VALU_DEP_3) | instskip(NEXT) | instid1(VALU_DEP_4)
	v_add_co_u32 v3, vcc_lo, s7, v3
	v_add_co_ci_u32_e32 v4, vcc_lo, s13, v4, vcc_lo
	s_clause 0x1
	global_load_b32 v5, v[1:2], off
	global_load_b32 v6, v[3:4], off
	s_or_b32 s16, s12, 32
	s_delay_alu instid0(SALU_CYCLE_1) | instskip(SKIP_2) | instid1(SALU_CYCLE_1)
	s_ashr_i32 s19, s16, 5
	s_cmp_lt_i32 s16, s17
	s_cselect_b32 s20, s19, s4
	s_ashr_i32 s21, s20, 31
	s_delay_alu instid0(SALU_CYCLE_1) | instskip(NEXT) | instid1(SALU_CYCLE_1)
	s_lshl_b64 s[20:21], s[20:21], 2
	s_add_u32 s20, s7, s20
	s_addc_u32 s21, s13, s21
	s_or_b32 s16, s12, 64
	s_delay_alu instid0(SALU_CYCLE_1) | instskip(SKIP_2) | instid1(SALU_CYCLE_1)
	s_ashr_i32 s19, s16, 5
	s_cmp_lt_i32 s16, s17
	s_cselect_b32 s22, s19, s4
	s_ashr_i32 s23, s22, 31
	s_delay_alu instid0(SALU_CYCLE_1) | instskip(NEXT) | instid1(SALU_CYCLE_1)
	s_lshl_b64 s[22:23], s[22:23], 2
	s_add_u32 s22, s7, s22
	s_addc_u32 s23, s13, s23
	;; [unrolled: 10-line block ×5, first 2 shown]
	s_clause 0x5
	s_load_b32 s16, s[8:9], 0x0
	s_load_b32 s19, s[20:21], 0x0
	;; [unrolled: 1-line block ×6, first 2 shown]
	s_mov_b32 s20, 0
	s_delay_alu instid0(SALU_CYCLE_1)
	s_mov_b32 s21, s20
	s_mov_b32 s22, s20
	;; [unrolled: 1-line block ×7, first 2 shown]
	s_delay_alu instid0(SALU_CYCLE_1)
	v_dual_mov_b32 v107, s27 :: v_dual_mov_b32 v106, s26
	v_dual_mov_b32 v105, s25 :: v_dual_mov_b32 v102, s22
	;; [unrolled: 1-line block ×4, first 2 shown]
	s_waitcnt vmcnt(1)
	v_mad_i64_i32 v[1:2], null, v5, s5, s[2:3]
	v_lshlrev_b32_e32 v5, 4, v65
	s_waitcnt vmcnt(0)
	v_mad_i64_i32 v[3:4], null, v6, s5, s[2:3]
	s_or_b32 s2, s12, 0xc0
	s_delay_alu instid0(SALU_CYCLE_1) | instskip(NEXT) | instid1(VALU_DEP_3)
	s_ashr_i32 s3, s2, 5
	v_add_co_u32 v25, vcc_lo, v1, v5
	s_delay_alu instid0(VALU_DEP_4) | instskip(NEXT) | instid1(VALU_DEP_3)
	v_add_co_ci_u32_e32 v26, vcc_lo, 0, v2, vcc_lo
	v_add_co_u32 v27, vcc_lo, v3, v5
	s_delay_alu instid0(VALU_DEP_4)
	v_add_co_ci_u32_e32 v28, vcc_lo, 0, v4, vcc_lo
	s_clause 0xf
	global_load_b128 v[1:4], v[25:26], off
	global_load_b128 v[5:8], v[25:26], off offset:512
	global_load_b128 v[9:12], v[27:28], off offset:256
	;; [unrolled: 1-line block ×15, first 2 shown]
	v_mul_lo_u16 v25, v65, 52
	s_cmp_lt_i32 s2, s17
	v_lshlrev_b32_e32 v26, 5, v65
	s_cselect_b32 s2, s3, s4
	s_delay_alu instid0(VALU_DEP_2) | instskip(SKIP_1) | instid1(VALU_DEP_2)
	v_lshrrev_b16 v25, 8, v25
	s_ashr_i32 s3, s2, 31
	v_lshl_or_b32 v33, v66, 9, v26
	s_lshl_b64 s[2:3], s[2:3], 2
	s_delay_alu instid0(VALU_DEP_2) | instskip(SKIP_3) | instid1(VALU_DEP_1)
	v_mul_lo_u16 v25, v25, 5
	s_add_u32 s2, s7, s2
	s_addc_u32 s3, s13, s3
	s_or_b32 s8, s12, 0xe0
	v_sub_nc_u16 v25, v65, v25
	s_ashr_i32 s9, s8, 5
	s_cmp_lt_i32 s8, s17
	s_cselect_b32 s8, s9, s4
	s_delay_alu instid0(VALU_DEP_1) | instskip(SKIP_1) | instid1(SALU_CYCLE_1)
	v_and_b32_e32 v25, 0xff, v25
	s_ashr_i32 s9, s8, 31
	s_lshl_b64 s[8:9], s[8:9], 2
	s_delay_alu instid0(VALU_DEP_1)
	v_lshlrev_b32_e32 v72, 6, v25
	ds_load_b128 v[25:28], v72
	ds_load_b128 v[29:32], v72 offset:1024
	ds_load_b128 v[108:111], v72 offset:2048
	;; [unrolled: 1-line block ×3, first 2 shown]
	s_load_b32 s4, s[2:3], 0x0
	s_add_u32 s2, s7, s8
	s_addc_u32 s3, s13, s9
	ds_load_b128 v[116:119], v72 offset:4096
	ds_load_b128 v[120:123], v72 offset:5120
	s_load_b32 s2, s[2:3], 0x0
	s_add_u32 s7, s10, s15
	s_addc_u32 s6, s11, s6
	v_add_co_u32 v68, s7, s7, v33
	s_delay_alu instid0(VALU_DEP_1) | instskip(SKIP_1) | instid1(VALU_DEP_1)
	v_add_co_ci_u32_e64 v69, null, s6, 0, s7
	s_waitcnt lgkmcnt(0)
	v_mad_i64_i32 v[33:34], null, s16, s5, v[68:69]
	v_mad_i64_i32 v[70:71], null, s33, s5, v[68:69]
	;; [unrolled: 1-line block ×7, first 2 shown]
	s_clause 0x3
	global_load_b128 v[41:44], v[33:34], off
	global_load_b128 v[45:48], v[33:34], off offset:16
	global_load_b128 v[33:36], v[37:38], off
	global_load_b128 v[37:40], v[37:38], off offset:16
	s_waitcnt vmcnt(18)
	v_wmma_f32_16x16x16_bf16 v[124:131], v[1:8], v[25:32], v[100:107]
	s_waitcnt vmcnt(16)
	v_wmma_f32_16x16x16_bf16 v[100:107], v[9:16], v[25:32], v[100:107]
	s_clause 0x1
	global_load_b128 v[25:28], v[70:71], off
	global_load_b128 v[29:32], v[70:71], off offset:16
	s_waitcnt vmcnt(16)
	v_wmma_f32_16x16x16_bf16 v[124:131], v[17:24], v[108:115], v[124:131]
	s_clause 0x1
	global_load_b128 v[17:20], v[132:133], off
	global_load_b128 v[21:24], v[132:133], off offset:16
	s_waitcnt vmcnt(16)
	v_wmma_f32_16x16x16_bf16 v[100:107], v[49:56], v[108:115], v[100:107]
	v_mad_i64_i32 v[53:54], null, s2, s5, v[68:69]
	s_clause 0x3
	global_load_b128 v[1:4], v[134:135], off
	global_load_b128 v[5:8], v[134:135], off offset:16
	global_load_b128 v[9:12], v[136:137], off
	global_load_b128 v[13:16], v[136:137], off offset:16
	s_waitcnt vmcnt(18)
	v_wmma_f32_16x16x16_bf16 v[124:131], v[57:64], v[116:123], v[124:131]
	s_clause 0x3
	global_load_b128 v[57:60], v[138:139], off
	global_load_b128 v[61:64], v[138:139], off offset:16
	global_load_b128 v[49:52], v[53:54], off
	global_load_b128 v[53:56], v[53:54], off offset:16
	s_waitcnt vmcnt(20)
	v_wmma_f32_16x16x16_bf16 v[100:107], v[76:83], v[116:123], v[100:107]
	ds_load_b128 v[76:79], v72 offset:6144
	ds_load_b128 v[80:83], v72 offset:7168
	v_mbcnt_lo_u32_b32 v69, -1, 0
	s_waitcnt vmcnt(0) lgkmcnt(0)
	s_barrier
	buffer_gl0_inv
	v_xor_b32_e32 v70, 16, v69
	s_delay_alu instid0(VALU_DEP_1) | instskip(SKIP_4) | instid1(VALU_DEP_2)
	v_cmp_gt_i32_e32 vcc_lo, 32, v70
	v_cndmask_b32_e32 v69, v69, v70, vcc_lo
	v_wmma_f32_16x16x16_bf16 v[124:131], v[84:91], v[76:83], v[124:131]
	v_and_b32_e32 v68, 0xe0, v0
	v_wmma_f32_16x16x16_bf16 v[100:107], v[92:99], v[76:83], v[100:107]
	v_dual_mul_f32 v81, s18, v129 :: v_dual_add_nc_u32 v68, s12, v68
	s_delay_alu instid0(VALU_DEP_4) | instskip(NEXT) | instid1(VALU_DEP_3)
	v_dual_mul_f32 v83, s18, v131 :: v_dual_mul_f32 v78, s18, v125
	v_mul_f32_e32 v95, s18, v103
	v_mul_f32_e32 v79, s18, v127
	s_delay_alu instid0(VALU_DEP_4) | instskip(SKIP_3) | instid1(VALU_DEP_4)
	v_or_b32_e32 v68, v68, v74
	v_dual_mul_f32 v80, s18, v126 :: v_dual_mul_f32 v97, s18, v105
	v_dual_mul_f32 v93, s18, v101 :: v_dual_mul_f32 v82, s18, v128
	v_mul_f32_e32 v99, s18, v107
	v_or_b32_e32 v70, 2, v68
	v_or_b32_e32 v71, 4, v68
	;; [unrolled: 1-line block ×3, first 2 shown]
	v_cmp_gt_i32_e64 s2, s17, v68
	v_or_b32_e32 v108, 8, v68
	v_cmp_gt_i32_e32 vcc_lo, s17, v70
	v_mul_f32_e32 v70, s18, v124
	v_or_b32_e32 v109, 10, v68
	v_cmp_gt_i32_e64 s3, s17, v71
	v_cmp_gt_i32_e64 s4, s17, v72
	v_cndmask_b32_e32 v78, 0xff7fffff, v78, vcc_lo
	v_cndmask_b32_e64 v70, 0xff7fffff, v70, s2
	v_or_b32_e32 v84, 12, v68
	v_or_b32_e32 v85, 14, v68
	v_cndmask_b32_e64 v71, 0xff7fffff, v80, s3
	v_cndmask_b32_e64 v72, 0xff7fffff, v79, s4
	v_max3_f32 v70, v70, 0xff7fffff, v78
	v_cmp_gt_i32_e64 s5, s17, v108
	v_cmp_gt_i32_e64 s6, s17, v109
	v_or_b32_e32 v86, 16, v68
	v_or_b32_e32 v87, 18, v68
	;; [unrolled: 1-line block ×3, first 2 shown]
	v_mul_f32_e32 v92, s18, v130
	v_cndmask_b32_e64 v78, 0xff7fffff, v82, s5
	v_cndmask_b32_e64 v79, 0xff7fffff, v81, s6
	v_max3_f32 v70, v70, v71, v72
	v_cmp_gt_i32_e64 s7, s17, v84
	v_cmp_gt_i32_e64 s8, s17, v85
	v_or_b32_e32 v88, 20, v68
	v_mul_f32_e32 v94, s18, v100
	v_max3_f32 v70, v70, v78, v79
	v_cmp_gt_i32_e64 s9, s17, v86
	v_cndmask_b32_e64 v72, 0xff7fffff, v83, s8
	v_cmp_gt_i32_e64 s10, s17, v87
	v_cmp_gt_i32_e64 s12, s17, v89
	v_lshlrev_b32_e32 v89, 2, v69
	v_cndmask_b32_e64 v71, 0xff7fffff, v92, s7
	v_or_b32_e32 v90, 24, v68
	v_or_b32_e32 v91, 26, v68
	v_mul_f32_e32 v96, s18, v102
	v_cndmask_b32_e64 v78, 0xff7fffff, v94, s9
	v_cndmask_b32_e64 v79, 0xff7fffff, v93, s10
	v_max3_f32 v70, v70, v71, v72
	v_cmp_gt_i32_e64 s11, s17, v88
	v_or_b32_e32 v76, 28, v68
	v_or_b32_e32 v77, 30, v68
	v_mul_f32_e32 v98, s18, v104
	v_cndmask_b32_e64 v72, 0xff7fffff, v95, s12
	v_cndmask_b32_e64 v71, 0xff7fffff, v96, s11
	v_max3_f32 v70, v70, v78, v79
	v_cmp_gt_i32_e64 s13, s17, v90
	v_cmp_gt_i32_e64 s15, s17, v91
	v_mul_f32_e32 v68, s18, v106
	v_cmp_gt_i32_e64 s16, s17, v76
	v_max3_f32 v70, v70, v71, v72
	v_cndmask_b32_e64 v78, 0xff7fffff, v98, s13
	v_cndmask_b32_e64 v79, 0xff7fffff, v97, s15
	v_cmp_gt_i32_e64 s17, s17, v77
	v_cndmask_b32_e64 v68, 0xff7fffff, v68, s16
	s_delay_alu instid0(VALU_DEP_3) | instskip(NEXT) | instid1(VALU_DEP_3)
	v_max3_f32 v70, v70, v78, v79
	v_cndmask_b32_e64 v71, 0xff7fffff, v99, s17
	s_delay_alu instid0(VALU_DEP_1) | instskip(SKIP_3) | instid1(VALU_DEP_1)
	v_max3_f32 v68, v70, v68, v71
	ds_bpermute_b32 v69, v89, v68
	s_waitcnt lgkmcnt(0)
	v_max_f32_e32 v69, v69, v69
	v_max_f32_e32 v68, v68, v69
	s_delay_alu instid0(VALU_DEP_1) | instskip(NEXT) | instid1(VALU_DEP_1)
	v_fma_f32 v71, s18, v126, -v68
	v_mul_f32_e32 v71, 0x3fb8aa3b, v71
	s_delay_alu instid0(VALU_DEP_1) | instskip(SKIP_3) | instid1(VALU_DEP_1)
	v_exp_f32_e32 v71, v71
	s_waitcnt_depctr 0xfff
	v_cndmask_b32_e64 v83, 0, v71, s3
	v_fma_f32 v71, s18, v131, -v68
	v_mul_f32_e32 v71, 0x3fb8aa3b, v71
	v_fma_f32 v69, s18, v124, -v68
	v_fma_f32 v76, s18, v128, -v68
	;; [unrolled: 1-line block ×4, first 2 shown]
	v_exp_f32_e32 v71, v71
	v_mul_f32_e32 v69, 0x3fb8aa3b, v69
	v_mul_f32_e32 v77, 0x3fb8aa3b, v76
	v_fma_f32 v81, s18, v105, -v68
	v_fma_f32 v78, s18, v130, -v68
	s_delay_alu instid0(VALU_DEP_4) | instskip(NEXT) | instid1(VALU_DEP_3)
	v_exp_f32_e32 v69, v69
	v_exp_f32_e32 v77, v77
	s_delay_alu instid0(VALU_DEP_2) | instskip(NEXT) | instid1(TRANS32_DEP_3)
	v_mul_f32_e32 v81, 0x3fb8aa3b, v81
	v_cndmask_b32_e64 v88, 0, v71, s8
	v_fma_f32 v71, s18, v104, -v68
	s_delay_alu instid0(VALU_DEP_3) | instskip(NEXT) | instid1(TRANS32_DEP_3)
	v_exp_f32_e32 v81, v81
	v_cndmask_b32_e64 v80, 0, v69, s2
	v_fma_f32 v69, s18, v129, -v68
	v_mul_f32_e32 v70, 0x3fb8aa3b, v70
	s_delay_alu instid0(TRANS32_DEP_2)
	v_cndmask_b32_e64 v86, 0, v77, s5
	v_mul_f32_e32 v72, 0x3fb8aa3b, v72
	v_fma_f32 v77, s18, v101, -v68
	v_mul_f32_e32 v69, 0x3fb8aa3b, v69
	v_exp_f32_e32 v70, v70
	v_mul_f32_e32 v71, 0x3fb8aa3b, v71
	v_exp_f32_e32 v72, v72
	;; [unrolled: 2-line block ×3, first 2 shown]
	v_cmp_gt_u32_e64 s2, 16, v67
	v_exp_f32_e32 v82, v71
	s_delay_alu instid0(VALU_DEP_2) | instskip(SKIP_4) | instid1(TRANS32_DEP_3)
	v_exp_f32_e32 v77, v77
	v_cndmask_b32_e32 v76, 0, v70, vcc_lo
	v_add_f32_e32 v70, 0, v80
	v_cndmask_b32_e64 v85, 0, v72, s4
	v_fma_f32 v72, s18, v100, -v68
	v_cndmask_b32_e64 v87, 0, v69, s6
	s_delay_alu instid0(VALU_DEP_4) | instskip(NEXT) | instid1(VALU_DEP_3)
	v_add_f32_e32 v70, v70, v76
	v_mul_f32_e32 v72, 0x3fb8aa3b, v72
	s_delay_alu instid0(VALU_DEP_2) | instskip(NEXT) | instid1(VALU_DEP_2)
	v_add_f32_e32 v70, v70, v83
	v_exp_f32_e32 v72, v72
	s_delay_alu instid0(VALU_DEP_1) | instskip(NEXT) | instid1(VALU_DEP_1)
	v_add_f32_e32 v70, v70, v85
	v_add_f32_e32 v69, v70, v86
	v_fma_f32 v70, s18, v102, -v68
	s_delay_alu instid0(VALU_DEP_2) | instskip(NEXT) | instid1(VALU_DEP_2)
	v_dual_add_f32 v69, v69, v87 :: v_dual_mul_f32 v78, 0x3fb8aa3b, v78
	v_mul_f32_e32 v70, 0x3fb8aa3b, v70
	s_delay_alu instid0(VALU_DEP_2) | instskip(NEXT) | instid1(VALU_DEP_1)
	v_exp_f32_e32 v78, v78
	v_exp_f32_e32 v79, v70
	s_delay_alu instid0(TRANS32_DEP_3) | instskip(SKIP_4) | instid1(VALU_DEP_2)
	v_cndmask_b32_e64 v70, 0, v72, s9
	s_waitcnt_depctr 0xfff
	v_cndmask_b32_e64 v84, 0, v78, s7
	v_fma_f32 v78, s18, v103, -v68
	v_cndmask_b32_e64 v71, 0, v79, s11
	v_dual_add_f32 v69, v69, v84 :: v_dual_mul_f32 v78, 0x3fb8aa3b, v78
	s_delay_alu instid0(VALU_DEP_1) | instskip(NEXT) | instid1(VALU_DEP_2)
	v_add_f32_e32 v72, v69, v88
	v_exp_f32_e32 v78, v78
	v_cndmask_b32_e64 v69, 0, v77, s10
	v_fma_f32 v77, s18, v106, -v68
	s_delay_alu instid0(VALU_DEP_1) | instskip(NEXT) | instid1(VALU_DEP_1)
	v_dual_add_f32 v72, v72, v70 :: v_dual_mul_f32 v77, 0x3fb8aa3b, v77
	v_add_f32_e32 v79, v72, v69
	s_waitcnt_depctr 0xfff
	v_cndmask_b32_e64 v72, 0, v78, s12
	v_exp_f32_e32 v90, v77
	v_cndmask_b32_e64 v77, 0, v82, s13
	v_add_f32_e32 v78, v79, v71
	v_fma_f32 v79, s18, v107, -v68
	s_delay_alu instid0(VALU_DEP_1) | instskip(SKIP_1) | instid1(VALU_DEP_2)
	v_dual_add_f32 v82, v78, v72 :: v_dual_mul_f32 v79, 0x3fb8aa3b, v79
	v_cndmask_b32_e64 v78, 0, v81, s15
	v_add_f32_e32 v81, v82, v77
	s_delay_alu instid0(VALU_DEP_3) | instskip(NEXT) | instid1(TRANS32_DEP_2)
	v_exp_f32_e32 v82, v79
	v_cndmask_b32_e64 v79, 0, v90, s16
	s_delay_alu instid0(VALU_DEP_2) | instskip(NEXT) | instid1(VALU_DEP_1)
	v_add_f32_e32 v81, v81, v78
	v_add_f32_e32 v90, v81, v79
	s_waitcnt_depctr 0xfff
	v_cndmask_b32_e64 v81, 0, v82, s17
	s_delay_alu instid0(VALU_DEP_1)
	v_add_f32_e32 v82, v90, v81
	ds_bpermute_b32 v89, v89, v82
	s_and_saveexec_b32 s3, s2
	s_cbranch_execz .LBB1858_12
; %bb.11:
	v_mul_u32_u24_e32 v67, 0x44, v66
	s_delay_alu instid0(VALU_DEP_1) | instskip(SKIP_1) | instid1(VALU_DEP_1)
	v_lshl_add_u32 v67, v65, 2, v67
	s_waitcnt lgkmcnt(0)
	v_dual_add_f32 v82, v82, v89 :: v_dual_add_nc_u32 v67, 0x4000, v67
	ds_store_2addr_b32 v67, v68, v82 offset1:136
.LBB1858_12:
	s_or_b32 exec_lo, exec_lo, s3
	v_lshlrev_b32_e32 v67, 2, v65
	s_waitcnt lgkmcnt(0)
	s_barrier
	buffer_gl0_inv
	v_cmp_eq_u32_e32 vcc_lo, 1, v66
	v_add_nc_u32_e32 v82, 0x4000, v67
	v_cmp_eq_u32_e64 s3, 2, v66
	v_cmp_eq_u32_e64 s5, 7, v66
	ds_load_2addr_b32 v[89:90], v82 offset1:17
	ds_load_2addr_b32 v[91:92], v82 offset0:34 offset1:51
	ds_load_2addr_b32 v[93:94], v82 offset0:68 offset1:85
	ds_load_2addr_b32 v[95:96], v82 offset0:102 offset1:119
	ds_load_2addr_b32 v[97:98], v82 offset0:136 offset1:153
	s_waitcnt lgkmcnt(4)
	v_max3_f32 v67, v89, 0xff7fffff, v90
	s_waitcnt lgkmcnt(3)
	s_delay_alu instid0(VALU_DEP_1) | instskip(SKIP_1) | instid1(VALU_DEP_1)
	v_max3_f32 v67, v67, v91, v92
	s_waitcnt lgkmcnt(2)
	v_max3_f32 v67, v67, v93, v94
	s_waitcnt lgkmcnt(1)
	s_delay_alu instid0(VALU_DEP_1) | instskip(NEXT) | instid1(VALU_DEP_1)
	v_max3_f32 v67, v67, v95, v96
	v_sub_f32_e32 v93, v93, v67
	s_delay_alu instid0(VALU_DEP_1) | instskip(NEXT) | instid1(VALU_DEP_1)
	v_dual_sub_f32 v68, v89, v67 :: v_dual_mul_f32 v103, 0x3fb8aa3b, v93
	v_mul_f32_e32 v68, 0x3fb8aa3b, v68
	s_delay_alu instid0(VALU_DEP_1)
	v_exp_f32_e32 v100, v68
	v_sub_f32_e32 v68, v92, v67
	v_sub_f32_e32 v99, v90, v67
	ds_load_2addr_b32 v[89:90], v82 offset0:170 offset1:187
	v_dual_mul_f32 v102, 0x3fb8aa3b, v68 :: v_dual_mul_f32 v99, 0x3fb8aa3b, v99
	s_waitcnt lgkmcnt(1)
	v_fma_f32 v68, v100, v97, 0
	s_delay_alu instid0(VALU_DEP_2) | instskip(NEXT) | instid1(VALU_DEP_2)
	v_exp_f32_e32 v102, v102
	v_exp_f32_e32 v99, v99
	s_waitcnt_depctr 0xfff
	v_fmac_f32_e32 v68, v99, v98
	v_sub_f32_e32 v91, v91, v67
	s_delay_alu instid0(VALU_DEP_1)
	v_mul_f32_e32 v101, 0x3fb8aa3b, v91
	ds_load_2addr_b32 v[91:92], v82 offset0:204 offset1:221
	v_sub_f32_e32 v97, v94, v67
	ds_load_2addr_b32 v[93:94], v82 offset0:238 offset1:255
	s_waitcnt lgkmcnt(0)
	v_exp_f32_e32 v101, v101
	s_barrier
	buffer_gl0_inv
	v_dual_fmac_f32 v68, v101, v89 :: v_dual_sub_f32 v89, v96, v67
	v_dual_sub_f32 v82, v95, v67 :: v_dual_mul_f32 v95, 0x3fb8aa3b, v97
	v_exp_f32_e32 v97, v103
	s_delay_alu instid0(VALU_DEP_2) | instskip(NEXT) | instid1(VALU_DEP_2)
	v_dual_fmac_f32 v68, v102, v90 :: v_dual_mul_f32 v89, 0x3fb8aa3b, v89
	v_mul_f32_e32 v82, 0x3fb8aa3b, v82
	s_delay_alu instid0(VALU_DEP_3) | instskip(NEXT) | instid1(VALU_DEP_2)
	v_exp_f32_e32 v95, v95
	v_exp_f32_e32 v89, v89
	s_delay_alu instid0(VALU_DEP_1)
	v_exp_f32_e32 v82, v82
	v_fmac_f32_e32 v68, v97, v91
	s_delay_alu instid0(TRANS32_DEP_3) | instid1(VALU_DEP_1)
	v_fmac_f32_e32 v68, v95, v92
	s_waitcnt_depctr 0xfff
	v_fmac_f32_e32 v68, v82, v93
	s_delay_alu instid0(VALU_DEP_1) | instskip(NEXT) | instid1(VALU_DEP_1)
	v_fmac_f32_e32 v68, v89, v94
	v_add_f32_e32 v90, 0x358637bd, v68
	s_delay_alu instid0(VALU_DEP_1) | instskip(NEXT) | instid1(VALU_DEP_1)
	v_div_scale_f32 v91, null, v90, v90, 1.0
	v_rcp_f32_e32 v92, v91
	s_waitcnt_depctr 0xfff
	v_fma_f32 v93, -v91, v92, 1.0
	s_delay_alu instid0(VALU_DEP_1) | instskip(SKIP_1) | instid1(VALU_DEP_2)
	v_dual_fmac_f32 v92, v93, v92 :: v_dual_cndmask_b32 v93, v100, v99
	v_cmp_eq_u32_e32 vcc_lo, 3, v66
	v_cndmask_b32_e64 v93, v93, v101, s3
	v_cmp_eq_u32_e64 s3, 4, v66
	s_delay_alu instid0(VALU_DEP_2) | instskip(SKIP_1) | instid1(VALU_DEP_2)
	v_cndmask_b32_e32 v93, v93, v102, vcc_lo
	v_cmp_eq_u32_e32 vcc_lo, 5, v66
	v_cndmask_b32_e64 v93, v93, v97, s3
	v_cmp_eq_u32_e64 s3, 6, v66
	s_delay_alu instid0(VALU_DEP_2) | instskip(SKIP_1) | instid1(VALU_DEP_1)
	v_cndmask_b32_e32 v93, v93, v95, vcc_lo
	v_div_scale_f32 v94, s4, 1.0, v90, 1.0
	s_mov_b32 vcc_lo, s4
	s_delay_alu instid0(VALU_DEP_2) | instskip(NEXT) | instid1(VALU_DEP_2)
	v_cndmask_b32_e64 v82, v93, v82, s3
	v_mul_f32_e32 v96, v94, v92
	s_mov_b32 s3, exec_lo
	s_delay_alu instid0(VALU_DEP_2) | instskip(NEXT) | instid1(VALU_DEP_2)
	v_cndmask_b32_e64 v82, v82, v89, s5
	v_fma_f32 v98, -v91, v96, v94
	s_delay_alu instid0(VALU_DEP_1) | instskip(NEXT) | instid1(VALU_DEP_1)
	v_fmac_f32_e32 v96, v98, v92
	v_fma_f32 v91, -v91, v96, v94
	s_delay_alu instid0(VALU_DEP_1) | instskip(NEXT) | instid1(VALU_DEP_1)
	v_div_fmas_f32 v91, v91, v92, v96
	v_div_fixup_f32 v90, v91, v90, 1.0
	s_delay_alu instid0(VALU_DEP_1) | instskip(NEXT) | instid1(VALU_DEP_1)
	v_mul_f32_e32 v82, v82, v90
	v_mul_f32_e32 v87, v82, v87
	v_mul_f32_e32 v90, v82, v80
	v_mul_f32_e32 v80, v82, v88
	v_mul_f32_e32 v84, v82, v84
	v_mul_f32_e32 v88, v82, v86
	v_mul_f32_e32 v89, v82, v85
	v_dual_mul_f32 v86, v82, v83 :: v_dual_and_b32 v91, 0x7f800000, v90
	v_mul_f32_e32 v85, v82, v76
                                        ; implicit-def: $vgpr76
	s_delay_alu instid0(VALU_DEP_2)
	v_cmpx_ne_u32_e32 0x7f800000, v91
	s_xor_b32 s3, exec_lo, s3
; %bb.13:
	v_bfe_u32 v76, v90, 16, 1
	s_delay_alu instid0(VALU_DEP_1)
	v_add3_u32 v76, v90, v76, 0x7fff
                                        ; implicit-def: $vgpr90
; %bb.14:
	s_and_not1_saveexec_b32 s3, s3
; %bb.15:
	v_and_b32_e32 v76, 0xffff, v90
	v_or_b32_e32 v83, 0x10000, v90
	s_delay_alu instid0(VALU_DEP_2) | instskip(NEXT) | instid1(VALU_DEP_2)
	v_cmp_eq_u32_e32 vcc_lo, 0, v76
	v_cndmask_b32_e32 v76, v83, v90, vcc_lo
; %bb.16:
	s_or_b32 exec_lo, exec_lo, s3
	v_and_b32_e32 v83, 0x7f800000, v85
	s_delay_alu instid0(VALU_DEP_1) | instskip(SKIP_1) | instid1(SALU_CYCLE_1)
	v_cmp_ne_u32_e32 vcc_lo, 0x7f800000, v83
                                        ; implicit-def: $vgpr83
	s_and_saveexec_b32 s3, vcc_lo
	s_xor_b32 s3, exec_lo, s3
; %bb.17:
	v_bfe_u32 v83, v85, 16, 1
	s_delay_alu instid0(VALU_DEP_1)
	v_add3_u32 v83, v85, v83, 0x7fff
                                        ; implicit-def: $vgpr85
; %bb.18:
	s_and_not1_saveexec_b32 s3, s3
; %bb.19:
	v_and_b32_e32 v83, 0xffff, v85
	v_or_b32_e32 v90, 0x10000, v85
	s_delay_alu instid0(VALU_DEP_2) | instskip(NEXT) | instid1(VALU_DEP_2)
	v_cmp_eq_u32_e32 vcc_lo, 0, v83
	v_cndmask_b32_e32 v83, v90, v85, vcc_lo
; %bb.20:
	s_or_b32 exec_lo, exec_lo, s3
	v_and_b32_e32 v85, 0x7f800000, v86
	s_delay_alu instid0(VALU_DEP_1) | instskip(SKIP_1) | instid1(SALU_CYCLE_1)
	v_cmp_ne_u32_e32 vcc_lo, 0x7f800000, v85
                                        ; implicit-def: $vgpr85
	s_and_saveexec_b32 s3, vcc_lo
	s_xor_b32 s3, exec_lo, s3
; %bb.21:
	v_bfe_u32 v85, v86, 16, 1
	s_delay_alu instid0(VALU_DEP_1)
	v_add3_u32 v85, v86, v85, 0x7fff
                                        ; implicit-def: $vgpr86
; %bb.22:
	s_and_not1_saveexec_b32 s3, s3
; %bb.23:
	v_and_b32_e32 v85, 0xffff, v86
	v_or_b32_e32 v90, 0x10000, v86
	s_delay_alu instid0(VALU_DEP_2) | instskip(NEXT) | instid1(VALU_DEP_2)
	v_cmp_eq_u32_e32 vcc_lo, 0, v85
	v_cndmask_b32_e32 v85, v90, v86, vcc_lo
; %bb.24:
	s_or_b32 exec_lo, exec_lo, s3
	v_and_b32_e32 v86, 0x7f800000, v89
	s_delay_alu instid0(VALU_DEP_1) | instskip(SKIP_1) | instid1(SALU_CYCLE_1)
	v_cmp_ne_u32_e32 vcc_lo, 0x7f800000, v86
                                        ; implicit-def: $vgpr86
	s_and_saveexec_b32 s3, vcc_lo
	s_xor_b32 s3, exec_lo, s3
; %bb.25:
	v_bfe_u32 v86, v89, 16, 1
	s_delay_alu instid0(VALU_DEP_1)
	v_add3_u32 v86, v89, v86, 0x7fff
                                        ; implicit-def: $vgpr89
; %bb.26:
	s_and_not1_saveexec_b32 s3, s3
; %bb.27:
	v_and_b32_e32 v86, 0xffff, v89
	v_or_b32_e32 v90, 0x10000, v89
	s_delay_alu instid0(VALU_DEP_2) | instskip(NEXT) | instid1(VALU_DEP_2)
	v_cmp_eq_u32_e32 vcc_lo, 0, v86
	v_cndmask_b32_e32 v86, v90, v89, vcc_lo
; %bb.28:
	s_or_b32 exec_lo, exec_lo, s3
	v_and_b32_e32 v89, 0x7f800000, v88
	s_delay_alu instid0(VALU_DEP_1) | instskip(SKIP_1) | instid1(SALU_CYCLE_1)
	v_cmp_ne_u32_e32 vcc_lo, 0x7f800000, v89
                                        ; implicit-def: $vgpr89
	s_and_saveexec_b32 s3, vcc_lo
	s_xor_b32 s3, exec_lo, s3
; %bb.29:
	v_bfe_u32 v89, v88, 16, 1
	s_delay_alu instid0(VALU_DEP_1)
	v_add3_u32 v89, v88, v89, 0x7fff
                                        ; implicit-def: $vgpr88
; %bb.30:
	s_and_not1_saveexec_b32 s3, s3
; %bb.31:
	v_and_b32_e32 v89, 0xffff, v88
	v_or_b32_e32 v90, 0x10000, v88
	s_delay_alu instid0(VALU_DEP_2) | instskip(NEXT) | instid1(VALU_DEP_2)
	v_cmp_eq_u32_e32 vcc_lo, 0, v89
	v_cndmask_b32_e32 v89, v90, v88, vcc_lo
; %bb.32:
	s_or_b32 exec_lo, exec_lo, s3
	v_and_b32_e32 v88, 0x7f800000, v87
	s_delay_alu instid0(VALU_DEP_1) | instskip(SKIP_1) | instid1(SALU_CYCLE_1)
	v_cmp_ne_u32_e32 vcc_lo, 0x7f800000, v88
                                        ; implicit-def: $vgpr88
	s_and_saveexec_b32 s3, vcc_lo
	s_xor_b32 s3, exec_lo, s3
; %bb.33:
	v_bfe_u32 v88, v87, 16, 1
	s_delay_alu instid0(VALU_DEP_1)
	v_add3_u32 v88, v87, v88, 0x7fff
                                        ; implicit-def: $vgpr87
; %bb.34:
	s_and_not1_saveexec_b32 s3, s3
; %bb.35:
	v_and_b32_e32 v88, 0xffff, v87
	v_or_b32_e32 v90, 0x10000, v87
	s_delay_alu instid0(VALU_DEP_2) | instskip(NEXT) | instid1(VALU_DEP_2)
	v_cmp_eq_u32_e32 vcc_lo, 0, v88
	v_cndmask_b32_e32 v88, v90, v87, vcc_lo
; %bb.36:
	s_or_b32 exec_lo, exec_lo, s3
	v_and_b32_e32 v87, 0x7f800000, v84
	s_delay_alu instid0(VALU_DEP_1) | instskip(SKIP_1) | instid1(SALU_CYCLE_1)
	v_cmp_ne_u32_e32 vcc_lo, 0x7f800000, v87
                                        ; implicit-def: $vgpr87
	s_and_saveexec_b32 s3, vcc_lo
	s_xor_b32 s3, exec_lo, s3
; %bb.37:
	v_bfe_u32 v87, v84, 16, 1
	s_delay_alu instid0(VALU_DEP_1)
	v_add3_u32 v87, v84, v87, 0x7fff
                                        ; implicit-def: $vgpr84
; %bb.38:
	s_and_not1_saveexec_b32 s3, s3
; %bb.39:
	v_and_b32_e32 v87, 0xffff, v84
	v_or_b32_e32 v90, 0x10000, v84
	s_delay_alu instid0(VALU_DEP_2) | instskip(NEXT) | instid1(VALU_DEP_2)
	v_cmp_eq_u32_e32 vcc_lo, 0, v87
	v_cndmask_b32_e32 v87, v90, v84, vcc_lo
; %bb.40:
	s_or_b32 exec_lo, exec_lo, s3
	v_and_b32_e32 v84, 0x7f800000, v80
	s_delay_alu instid0(VALU_DEP_1) | instskip(SKIP_1) | instid1(SALU_CYCLE_1)
	v_cmp_ne_u32_e32 vcc_lo, 0x7f800000, v84
                                        ; implicit-def: $vgpr84
	s_and_saveexec_b32 s3, vcc_lo
	s_xor_b32 s3, exec_lo, s3
; %bb.41:
	v_bfe_u32 v84, v80, 16, 1
	s_delay_alu instid0(VALU_DEP_1)
	v_add3_u32 v84, v80, v84, 0x7fff
                                        ; implicit-def: $vgpr80
; %bb.42:
	s_and_not1_saveexec_b32 s3, s3
; %bb.43:
	v_and_b32_e32 v84, 0xffff, v80
	v_or_b32_e32 v90, 0x10000, v80
	s_delay_alu instid0(VALU_DEP_2) | instskip(NEXT) | instid1(VALU_DEP_2)
	v_cmp_eq_u32_e32 vcc_lo, 0, v84
	v_cndmask_b32_e32 v84, v90, v80, vcc_lo
; %bb.44:
	s_or_b32 exec_lo, exec_lo, s3
	s_load_b64 s[34:35], s[0:1], 0x94
	v_lshlrev_b32_e32 v91, 4, v74
	s_delay_alu instid0(VALU_DEP_2)
	v_perm_b32 v90, v84, v87, 0x7060302
	v_dual_mul_f32 v79, v82, v79 :: v_dual_lshlrev_b32 v80, 6, v65
	v_dual_mul_f32 v77, v82, v77 :: v_dual_lshlrev_b32 v92, 11, v66
	v_mul_f32_e32 v84, v82, v70
	v_perm_b32 v89, v88, v89, 0x7060302
	v_perm_b32 v88, v86, v85, 0x7060302
	;; [unrolled: 1-line block ×3, first 2 shown]
	v_mul_f32_e32 v70, v82, v81
	v_or3_b32 v76, v91, v92, v80
	v_dual_mul_f32 v78, v82, v78 :: v_dual_and_b32 v85, 0x7f800000, v84
	v_mul_f32_e32 v83, v82, v72
	v_mul_f32_e32 v81, v82, v71
	;; [unrolled: 1-line block ×3, first 2 shown]
	s_mov_b32 s3, exec_lo
	ds_store_b128 v76, v[87:90]
                                        ; implicit-def: $vgpr69
	v_cmpx_ne_u32_e32 0x7f800000, v85
	s_xor_b32 s3, exec_lo, s3
; %bb.45:
	v_bfe_u32 v69, v84, 16, 1
	s_delay_alu instid0(VALU_DEP_1)
	v_add3_u32 v69, v84, v69, 0x7fff
                                        ; implicit-def: $vgpr84
; %bb.46:
	s_and_not1_saveexec_b32 s3, s3
; %bb.47:
	v_and_b32_e32 v69, 0xffff, v84
	v_or_b32_e32 v71, 0x10000, v84
	s_delay_alu instid0(VALU_DEP_2) | instskip(NEXT) | instid1(VALU_DEP_2)
	v_cmp_eq_u32_e32 vcc_lo, 0, v69
	v_cndmask_b32_e32 v69, v71, v84, vcc_lo
; %bb.48:
	s_or_b32 exec_lo, exec_lo, s3
	v_and_b32_e32 v71, 0x7f800000, v72
	s_delay_alu instid0(VALU_DEP_1) | instskip(SKIP_1) | instid1(SALU_CYCLE_1)
	v_cmp_ne_u32_e32 vcc_lo, 0x7f800000, v71
                                        ; implicit-def: $vgpr71
	s_and_saveexec_b32 s3, vcc_lo
	s_xor_b32 s3, exec_lo, s3
; %bb.49:
	v_bfe_u32 v71, v72, 16, 1
	s_delay_alu instid0(VALU_DEP_1)
	v_add3_u32 v71, v72, v71, 0x7fff
                                        ; implicit-def: $vgpr72
; %bb.50:
	s_and_not1_saveexec_b32 s3, s3
; %bb.51:
	v_and_b32_e32 v71, 0xffff, v72
	v_or_b32_e32 v82, 0x10000, v72
	s_delay_alu instid0(VALU_DEP_2) | instskip(NEXT) | instid1(VALU_DEP_2)
	v_cmp_eq_u32_e32 vcc_lo, 0, v71
	v_cndmask_b32_e32 v71, v82, v72, vcc_lo
; %bb.52:
	s_or_b32 exec_lo, exec_lo, s3
	v_and_b32_e32 v72, 0x7f800000, v81
	s_delay_alu instid0(VALU_DEP_1) | instskip(SKIP_1) | instid1(SALU_CYCLE_1)
	v_cmp_ne_u32_e32 vcc_lo, 0x7f800000, v72
                                        ; implicit-def: $vgpr72
	s_and_saveexec_b32 s3, vcc_lo
	s_xor_b32 s3, exec_lo, s3
; %bb.53:
	v_bfe_u32 v72, v81, 16, 1
	s_delay_alu instid0(VALU_DEP_1)
	v_add3_u32 v72, v81, v72, 0x7fff
                                        ; implicit-def: $vgpr81
; %bb.54:
	s_and_not1_saveexec_b32 s3, s3
; %bb.55:
	v_and_b32_e32 v72, 0xffff, v81
	v_or_b32_e32 v82, 0x10000, v81
	s_delay_alu instid0(VALU_DEP_2) | instskip(NEXT) | instid1(VALU_DEP_2)
	v_cmp_eq_u32_e32 vcc_lo, 0, v72
	v_cndmask_b32_e32 v72, v82, v81, vcc_lo
; %bb.56:
	s_or_b32 exec_lo, exec_lo, s3
	v_and_b32_e32 v81, 0x7f800000, v83
	s_delay_alu instid0(VALU_DEP_1) | instskip(SKIP_1) | instid1(SALU_CYCLE_1)
	v_cmp_ne_u32_e32 vcc_lo, 0x7f800000, v81
                                        ; implicit-def: $vgpr81
	s_and_saveexec_b32 s3, vcc_lo
	s_xor_b32 s3, exec_lo, s3
; %bb.57:
	v_bfe_u32 v81, v83, 16, 1
	s_delay_alu instid0(VALU_DEP_1)
	v_add3_u32 v81, v83, v81, 0x7fff
                                        ; implicit-def: $vgpr83
; %bb.58:
	s_and_not1_saveexec_b32 s3, s3
; %bb.59:
	v_and_b32_e32 v81, 0xffff, v83
	v_or_b32_e32 v82, 0x10000, v83
	s_delay_alu instid0(VALU_DEP_2) | instskip(NEXT) | instid1(VALU_DEP_2)
	v_cmp_eq_u32_e32 vcc_lo, 0, v81
	v_cndmask_b32_e32 v81, v82, v83, vcc_lo
; %bb.60:
	s_or_b32 exec_lo, exec_lo, s3
	v_and_b32_e32 v82, 0x7f800000, v77
	s_delay_alu instid0(VALU_DEP_1) | instskip(SKIP_1) | instid1(SALU_CYCLE_1)
	v_cmp_ne_u32_e32 vcc_lo, 0x7f800000, v82
                                        ; implicit-def: $vgpr82
	s_and_saveexec_b32 s3, vcc_lo
	s_xor_b32 s3, exec_lo, s3
; %bb.61:
	v_bfe_u32 v82, v77, 16, 1
	s_delay_alu instid0(VALU_DEP_1)
	v_add3_u32 v82, v77, v82, 0x7fff
                                        ; implicit-def: $vgpr77
; %bb.62:
	s_and_not1_saveexec_b32 s3, s3
; %bb.63:
	v_and_b32_e32 v82, 0xffff, v77
	v_or_b32_e32 v83, 0x10000, v77
	s_delay_alu instid0(VALU_DEP_2) | instskip(NEXT) | instid1(VALU_DEP_2)
	v_cmp_eq_u32_e32 vcc_lo, 0, v82
	v_cndmask_b32_e32 v82, v83, v77, vcc_lo
; %bb.64:
	s_or_b32 exec_lo, exec_lo, s3
	v_and_b32_e32 v77, 0x7f800000, v78
	s_delay_alu instid0(VALU_DEP_1) | instskip(SKIP_1) | instid1(SALU_CYCLE_1)
	v_cmp_ne_u32_e32 vcc_lo, 0x7f800000, v77
                                        ; implicit-def: $vgpr77
	s_and_saveexec_b32 s3, vcc_lo
	s_xor_b32 s3, exec_lo, s3
; %bb.65:
	v_bfe_u32 v77, v78, 16, 1
	s_delay_alu instid0(VALU_DEP_1)
	v_add3_u32 v77, v78, v77, 0x7fff
                                        ; implicit-def: $vgpr78
; %bb.66:
	s_and_not1_saveexec_b32 s3, s3
; %bb.67:
	v_and_b32_e32 v77, 0xffff, v78
	v_or_b32_e32 v83, 0x10000, v78
	s_delay_alu instid0(VALU_DEP_2) | instskip(NEXT) | instid1(VALU_DEP_2)
	v_cmp_eq_u32_e32 vcc_lo, 0, v77
	v_cndmask_b32_e32 v77, v83, v78, vcc_lo
; %bb.68:
	s_or_b32 exec_lo, exec_lo, s3
	v_and_b32_e32 v78, 0x7f800000, v79
	s_delay_alu instid0(VALU_DEP_1) | instskip(SKIP_1) | instid1(SALU_CYCLE_1)
	v_cmp_ne_u32_e32 vcc_lo, 0x7f800000, v78
                                        ; implicit-def: $vgpr78
	s_and_saveexec_b32 s3, vcc_lo
	s_xor_b32 s3, exec_lo, s3
; %bb.69:
	v_bfe_u32 v78, v79, 16, 1
	s_delay_alu instid0(VALU_DEP_1)
	v_add3_u32 v78, v79, v78, 0x7fff
                                        ; implicit-def: $vgpr79
; %bb.70:
	s_and_not1_saveexec_b32 s3, s3
; %bb.71:
	v_and_b32_e32 v78, 0xffff, v79
	v_or_b32_e32 v83, 0x10000, v79
	s_delay_alu instid0(VALU_DEP_2) | instskip(NEXT) | instid1(VALU_DEP_2)
	v_cmp_eq_u32_e32 vcc_lo, 0, v78
	v_cndmask_b32_e32 v78, v83, v79, vcc_lo
; %bb.72:
	s_or_b32 exec_lo, exec_lo, s3
	v_and_b32_e32 v79, 0x7f800000, v70
	s_delay_alu instid0(VALU_DEP_1) | instskip(SKIP_1) | instid1(SALU_CYCLE_1)
	v_cmp_ne_u32_e32 vcc_lo, 0x7f800000, v79
                                        ; implicit-def: $vgpr79
	s_and_saveexec_b32 s3, vcc_lo
	s_xor_b32 s3, exec_lo, s3
; %bb.73:
	v_bfe_u32 v79, v70, 16, 1
	s_delay_alu instid0(VALU_DEP_1)
	v_add3_u32 v79, v70, v79, 0x7fff
                                        ; implicit-def: $vgpr70
; %bb.74:
	s_and_not1_saveexec_b32 s3, s3
; %bb.75:
	v_and_b32_e32 v79, 0xffff, v70
	v_or_b32_e32 v83, 0x10000, v70
	s_delay_alu instid0(VALU_DEP_2) | instskip(NEXT) | instid1(VALU_DEP_2)
	v_cmp_eq_u32_e32 vcc_lo, 0, v79
	v_cndmask_b32_e32 v79, v83, v70, vcc_lo
; %bb.76:
	s_or_b32 exec_lo, exec_lo, s3
	s_delay_alu instid0(VALU_DEP_1)
	v_perm_b32 v86, v79, v78, 0x7060302
	v_perm_b32 v85, v77, v82, 0x7060302
	v_perm_b32 v84, v81, v72, 0x7060302
	v_perm_b32 v83, v71, v69, 0x7060302
	v_lshl_or_b32 v82, v66, 11, v80
	ds_store_b128 v76, v[83:86] offset:1024
	s_waitcnt lgkmcnt(0)
	s_barrier
	buffer_gl0_inv
	ds_load_b128 v[69:72], v82
	ds_load_b128 v[83:86], v82 offset:16
	s_waitcnt lgkmcnt(1)
	v_lshrrev_b32_e32 v66, 16, v69
	s_waitcnt lgkmcnt(0)
	v_lshrrev_b32_e32 v91, 16, v83
	v_lshlrev_b32_e32 v78, 2, v74
	v_lshrrev_b32_e32 v95, 16, v70
	v_lshrrev_b32_e32 v98, 16, v84
	;; [unrolled: 1-line block ×4, first 2 shown]
	v_cmp_eq_u32_e32 vcc_lo, 1, v78
	v_lshrrev_b32_e32 v97, 16, v72
	v_lshrrev_b32_e32 v100, 16, v86
	v_cndmask_b32_e32 v87, v83, v91, vcc_lo
	v_or_b32_e32 v79, 1, v78
	v_cndmask_b32_e32 v81, v69, v66, vcc_lo
	v_cmp_eq_u32_e64 s4, 2, v78
	v_cmp_eq_u32_e64 s7, 3, v78
	;; [unrolled: 1-line block ×5, first 2 shown]
	v_cndmask_b32_e64 v81, v81, v70, s4
	v_cndmask_b32_e64 v87, v87, v84, s4
	v_cmp_eq_u32_e64 s8, 3, v79
	v_cndmask_b32_e64 v88, v69, v66, s3
	v_or_b32_e32 v77, 2, v78
	v_cndmask_b32_e64 v81, v81, v95, s7
	v_cndmask_b32_e64 v87, v87, v98, s7
	;; [unrolled: 1-line block ×4, first 2 shown]
	v_cmp_eq_u32_e64 s10, 5, v78
	v_cndmask_b32_e64 v81, v81, v71, s9
	v_cndmask_b32_e64 v87, v87, v85, s9
	v_cmp_eq_u32_e64 s11, 4, v79
	v_cndmask_b32_e64 v88, v88, v95, s8
	v_cmp_eq_u32_e64 s5, 1, v77
	v_cndmask_b32_e64 v89, v89, v84, s6
	v_cndmask_b32_e64 v81, v81, v96, s10
	v_cmp_eq_u32_e64 s12, 6, v78
	v_cndmask_b32_e64 v88, v88, v71, s11
	;; [unrolled: 3-line block ×3, first 2 shown]
	v_cndmask_b32_e64 v89, v89, v98, s8
	v_cndmask_b32_e64 v81, v81, v72, s12
	v_cmp_eq_u32_e64 s15, 7, v78
	v_cndmask_b32_e64 v88, v88, v96, s13
	v_cndmask_b32_e64 v87, v87, v86, s12
	v_cmp_eq_u32_e64 s16, 6, v79
	v_cmp_eq_u32_e64 s17, 2, v77
	v_cndmask_b32_e64 v89, v89, v85, s11
	v_cndmask_b32_e64 v101, v81, v97, s15
	;; [unrolled: 1-line block ×6, first 2 shown]
	v_cmp_eq_u32_e64 s18, 7, v79
	v_cmp_eq_u32_e64 s19, 3, v77
	;; [unrolled: 1-line block ×4, first 2 shown]
	v_cndmask_b32_e64 v87, v87, v84, s17
	v_cndmask_b32_e64 v103, v88, v97, s18
	;; [unrolled: 1-line block ×4, first 2 shown]
	v_or_b32_e32 v81, 3, v78
	v_cndmask_b32_e64 v93, v87, v98, s19
	v_cmp_eq_u32_e64 s24, 6, v77
	v_cndmask_b32_e64 v104, v88, v86, s16
	v_cndmask_b32_e64 v92, v89, v71, s20
	v_cmp_eq_u32_e64 s21, 1, v81
	ds_load_b128 v[87:90], v82 offset:1024
	v_cmp_eq_u32_e64 s23, 2, v81
	v_cmp_eq_u32_e64 s25, 3, v81
	v_cndmask_b32_e64 v105, v92, v96, s22
	v_cndmask_b32_e64 v66, v69, v66, s21
	;; [unrolled: 1-line block ×4, first 2 shown]
	ds_load_b128 v[91:94], v82 offset:1040
	v_cmp_eq_u32_e64 s26, 4, v81
	v_cndmask_b32_e64 v66, v66, v70, s23
	v_cmp_eq_u32_e64 s27, 7, v77
	v_cndmask_b32_e64 v70, v83, v84, s23
	v_cndmask_b32_e64 v84, v105, v72, s24
	v_cmp_eq_u32_e64 s28, 5, v81
	v_cndmask_b32_e64 v66, v66, v95, s25
	v_cmp_eq_u32_e64 s29, 6, v81
	v_cndmask_b32_e64 v70, v70, v98, s25
	v_cndmask_b32_e64 v69, v69, v99, s22
	;; [unrolled: 1-line block ×4, first 2 shown]
	s_waitcnt lgkmcnt(1)
	v_lshrrev_b32_e32 v95, 16, v87
	v_cndmask_b32_e64 v70, v70, v85, s26
	v_cndmask_b32_e64 v71, v84, v97, s27
	;; [unrolled: 1-line block ×4, first 2 shown]
	v_cndmask_b32_e32 v84, v87, v95, vcc_lo
	v_cndmask_b32_e64 v70, v70, v99, s28
	s_waitcnt lgkmcnt(0)
	v_lshrrev_b32_e32 v85, 16, v91
	v_lshrrev_b32_e32 v96, 16, v88
	v_cndmask_b32_e64 v98, v87, v95, s3
	v_cndmask_b32_e64 v84, v84, v88, s4
	;; [unrolled: 1-line block ×3, first 2 shown]
	v_cndmask_b32_e32 v99, v91, v85, vcc_lo
	v_cmp_eq_u32_e32 vcc_lo, 7, v81
	v_cndmask_b32_e64 v66, v66, v72, s29
	v_cndmask_b32_e64 v72, v84, v96, s7
	;; [unrolled: 1-line block ×3, first 2 shown]
	v_lshrrev_b32_e32 v98, 16, v92
	v_cndmask_b32_e32 v70, v70, v100, vcc_lo
	v_cndmask_b32_e64 v86, v99, v92, s4
	v_cndmask_b32_e64 v69, v69, v100, s27
	v_lshrrev_b32_e32 v100, 16, v93
	v_cndmask_b32_e64 v72, v72, v89, s9
	v_lshrrev_b32_e32 v99, 16, v89
	v_cndmask_b32_e64 v86, v86, v98, s7
	v_perm_b32 v71, v69, v71, 0x5040100
	v_cndmask_b32_e64 v84, v84, v96, s8
	s_delay_alu instid0(VALU_DEP_3) | instskip(NEXT) | instid1(VALU_DEP_2)
	v_cndmask_b32_e64 v86, v86, v93, s9
	v_cndmask_b32_e64 v84, v84, v89, s11
	s_delay_alu instid0(VALU_DEP_2) | instskip(NEXT) | instid1(VALU_DEP_1)
	v_cndmask_b32_e64 v86, v86, v100, s10
	v_cndmask_b32_e64 v69, v86, v94, s12
	;; [unrolled: 1-line block ×5, first 2 shown]
	s_delay_alu instid0(VALU_DEP_3) | instskip(NEXT) | instid1(VALU_DEP_3)
	v_cndmask_b32_e64 v86, v86, v88, s17
	v_cndmask_b32_e64 v87, v87, v88, s23
	s_delay_alu instid0(VALU_DEP_3) | instskip(NEXT) | instid1(VALU_DEP_3)
	v_cndmask_b32_e64 v88, v95, v92, s23
	v_cndmask_b32_e64 v86, v86, v96, s19
	;; [unrolled: 3-line block ×7, first 2 shown]
	s_delay_alu instid0(VALU_DEP_3) | instskip(SKIP_2) | instid1(VALU_DEP_2)
	v_cndmask_b32_e64 v88, v88, v94, s29
	v_cndmask_b32_e32 v66, v66, v97, vcc_lo
	v_cndmask_b32_e64 v97, v72, v99, s10
	v_perm_b32 v72, v70, v66, 0x5040100
	v_perm_b32 v70, v83, v103, 0x5040100
	v_cndmask_b32_e64 v103, v91, v85, s5
	v_cndmask_b32_e64 v85, v91, v85, s3
	;; [unrolled: 1-line block ×4, first 2 shown]
	v_lshrrev_b32_e32 v97, 16, v90
	v_cndmask_b32_e64 v91, v103, v92, s17
	v_cndmask_b32_e64 v85, v85, v92, s6
	;; [unrolled: 1-line block ×3, first 2 shown]
	s_mov_b32 s3, exec_lo
	v_cndmask_b32_e64 v83, v84, v97, s15
	v_cndmask_b32_e64 v91, v91, v98, s19
	;; [unrolled: 1-line block ×3, first 2 shown]
	v_lshrrev_b32_e32 v84, 16, v94
	v_cndmask_b32_e64 v66, v66, v97, s18
	v_cndmask_b32_e64 v90, v86, v97, s27
	;; [unrolled: 1-line block ×4, first 2 shown]
	v_dual_cndmask_b32 v86, v87, v97 :: v_dual_cndmask_b32 v87, v88, v84
	v_cndmask_b32_e64 v91, v69, v84, s15
	s_delay_alu instid0(VALU_DEP_4) | instskip(NEXT) | instid1(VALU_DEP_4)
	v_cndmask_b32_e64 v89, v89, v100, s22
	v_cndmask_b32_e64 v85, v85, v100, s13
	v_perm_b32 v69, v102, v101, 0x5040100
	v_perm_b32 v86, v87, v86, 0x5040100
	;; [unrolled: 1-line block ×3, first 2 shown]
	v_cndmask_b32_e64 v89, v89, v94, s24
	v_cndmask_b32_e64 v85, v85, v94, s16
	s_mul_i32 s8, s35, 5
	s_delay_alu instid0(VALU_DEP_2) | instskip(NEXT) | instid1(VALU_DEP_2)
	v_cndmask_b32_e64 v88, v89, v84, s27
	v_cndmask_b32_e64 v89, v85, v84, s18
	s_delay_alu instid0(VALU_DEP_2) | instskip(NEXT) | instid1(VALU_DEP_2)
	v_perm_b32 v85, v88, v90, 0x5040100
	v_perm_b32 v84, v89, v66, 0x5040100
	ds_store_b128 v76, v[69:72]
	ds_store_b128 v76, v[83:86] offset:1024
	v_cmpx_gt_u32_e32 5, v0
	s_cbranch_execz .LBB1858_78
; %bb.77:
	s_mul_i32 s4, s8, s30
	s_delay_alu instid0(SALU_CYCLE_1) | instskip(SKIP_1) | instid1(VALU_DEP_1)
	v_add3_u32 v69, s4, s31, v65
	s_load_b128 s[4:7], s[0:1], 0x58
	v_mad_u64_u32 v[65:66], null, v69, s34, s[14:15]
	s_delay_alu instid0(VALU_DEP_1) | instskip(NEXT) | instid1(VALU_DEP_1)
	v_ashrrev_i32_e32 v66, 31, v65
	v_lshlrev_b64 v[65:66], 2, v[65:66]
	s_waitcnt lgkmcnt(0)
	s_delay_alu instid0(VALU_DEP_1) | instskip(NEXT) | instid1(VALU_DEP_2)
	v_add_co_u32 v69, vcc_lo, s6, v65
	v_add_co_ci_u32_e32 v70, vcc_lo, s7, v66, vcc_lo
	v_add_co_u32 v65, vcc_lo, s4, v65
	v_add_co_ci_u32_e32 v66, vcc_lo, s5, v66, vcc_lo
	global_store_b32 v[69:70], v67, off
	global_store_b32 v[65:66], v68, off
.LBB1858_78:
	s_or_b32 exec_lo, exec_lo, s3
	s_waitcnt lgkmcnt(0)
	s_waitcnt_vscnt null, 0x0
	s_barrier
	buffer_gl0_inv
	ds_load_b128 v[83:86], v80
	ds_load_b128 v[87:90], v80 offset:16
	ds_load_b128 v[95:98], v80 offset:2064
	ds_load_b128 v[91:94], v80 offset:2048
	v_mov_b32_e32 v65, 0
	ds_load_b128 v[103:106], v80 offset:4112
	ds_load_b128 v[99:102], v80 offset:4096
	;; [unrolled: 1-line block ×4, first 2 shown]
	v_mov_b32_e32 v66, v65
	v_mov_b32_e32 v67, v65
	;; [unrolled: 1-line block ×7, first 2 shown]
	s_waitcnt lgkmcnt(6)
	s_delay_alu instid0(VALU_DEP_1)
	v_wmma_f32_16x16x16_bf16 v[65:72], v[41:48], v[83:90], v[65:72]
	ds_load_b128 v[45:48], v80 offset:8208
	ds_load_b128 v[41:44], v80 offset:8192
	s_waitcnt lgkmcnt(6)
	v_wmma_f32_16x16x16_bf16 v[65:72], v[33:40], v[91:98], v[65:72]
	ds_load_b128 v[37:40], v80 offset:10256
	ds_load_b128 v[33:36], v80 offset:10240
	s_waitcnt lgkmcnt(6)
	;; [unrolled: 4-line block ×4, first 2 shown]
	v_wmma_f32_16x16x16_bf16 v[65:72], v[1:8], v[41:48], v[65:72]
	s_waitcnt lgkmcnt(4)
	s_delay_alu instid0(VALU_DEP_1) | instskip(SKIP_1) | instid1(VALU_DEP_1)
	v_wmma_f32_16x16x16_bf16 v[65:72], v[9:16], v[33:40], v[65:72]
	s_waitcnt lgkmcnt(2)
	v_wmma_f32_16x16x16_bf16 v[65:72], v[57:64], v[25:32], v[65:72]
	s_waitcnt lgkmcnt(0)
	s_delay_alu instid0(VALU_DEP_1) | instskip(NEXT) | instid1(VALU_DEP_1)
	v_wmma_f32_16x16x16_bf16 v[65:72], v[49:56], v[17:24], v[65:72]
	v_and_b32_e32 v1, 0x7f800000, v65
	s_delay_alu instid0(VALU_DEP_1) | instskip(SKIP_1) | instid1(SALU_CYCLE_1)
	v_cmp_ne_u32_e32 vcc_lo, 0x7f800000, v1
                                        ; implicit-def: $vgpr1
	s_and_saveexec_b32 s3, vcc_lo
	s_xor_b32 s3, exec_lo, s3
; %bb.79:
	v_bfe_u32 v1, v65, 16, 1
	s_delay_alu instid0(VALU_DEP_1)
	v_add3_u32 v1, v65, v1, 0x7fff
; %bb.80:
	s_and_not1_saveexec_b32 s3, s3
; %bb.81:
	v_and_b32_e32 v1, 0xffff, v65
	v_or_b32_e32 v2, 0x10000, v65
	s_delay_alu instid0(VALU_DEP_2) | instskip(NEXT) | instid1(VALU_DEP_2)
	v_cmp_eq_u32_e32 vcc_lo, 0, v1
	v_cndmask_b32_e32 v1, v2, v65, vcc_lo
; %bb.82:
	s_or_b32 exec_lo, exec_lo, s3
	v_and_b32_e32 v2, 0x7f800000, v66
	s_delay_alu instid0(VALU_DEP_1) | instskip(SKIP_1) | instid1(SALU_CYCLE_1)
	v_cmp_ne_u32_e32 vcc_lo, 0x7f800000, v2
                                        ; implicit-def: $vgpr2
	s_and_saveexec_b32 s3, vcc_lo
	s_xor_b32 s3, exec_lo, s3
; %bb.83:
	v_bfe_u32 v2, v66, 16, 1
	s_delay_alu instid0(VALU_DEP_1)
	v_add3_u32 v2, v66, v2, 0x7fff
; %bb.84:
	s_and_not1_saveexec_b32 s3, s3
; %bb.85:
	v_and_b32_e32 v2, 0xffff, v66
	v_or_b32_e32 v3, 0x10000, v66
	s_delay_alu instid0(VALU_DEP_2) | instskip(NEXT) | instid1(VALU_DEP_2)
	v_cmp_eq_u32_e32 vcc_lo, 0, v2
	v_cndmask_b32_e32 v2, v3, v66, vcc_lo
; %bb.86:
	s_or_b32 exec_lo, exec_lo, s3
	v_and_b32_e32 v3, 0x7f800000, v67
	s_delay_alu instid0(VALU_DEP_1) | instskip(SKIP_1) | instid1(SALU_CYCLE_1)
	v_cmp_ne_u32_e32 vcc_lo, 0x7f800000, v3
                                        ; implicit-def: $vgpr3
	s_and_saveexec_b32 s3, vcc_lo
	s_xor_b32 s3, exec_lo, s3
; %bb.87:
	v_bfe_u32 v3, v67, 16, 1
	s_delay_alu instid0(VALU_DEP_1)
	v_add3_u32 v3, v67, v3, 0x7fff
; %bb.88:
	s_and_not1_saveexec_b32 s3, s3
; %bb.89:
	v_and_b32_e32 v3, 0xffff, v67
	v_or_b32_e32 v4, 0x10000, v67
	s_delay_alu instid0(VALU_DEP_2) | instskip(NEXT) | instid1(VALU_DEP_2)
	v_cmp_eq_u32_e32 vcc_lo, 0, v3
	v_cndmask_b32_e32 v3, v4, v67, vcc_lo
; %bb.90:
	s_or_b32 exec_lo, exec_lo, s3
	v_and_b32_e32 v4, 0x7f800000, v68
	s_delay_alu instid0(VALU_DEP_1) | instskip(SKIP_1) | instid1(SALU_CYCLE_1)
	v_cmp_ne_u32_e32 vcc_lo, 0x7f800000, v4
                                        ; implicit-def: $vgpr4
	s_and_saveexec_b32 s3, vcc_lo
	s_xor_b32 s3, exec_lo, s3
; %bb.91:
	v_bfe_u32 v4, v68, 16, 1
	s_delay_alu instid0(VALU_DEP_1)
	v_add3_u32 v4, v68, v4, 0x7fff
; %bb.92:
	s_and_not1_saveexec_b32 s3, s3
; %bb.93:
	v_and_b32_e32 v4, 0xffff, v68
	v_or_b32_e32 v5, 0x10000, v68
	s_delay_alu instid0(VALU_DEP_2) | instskip(NEXT) | instid1(VALU_DEP_2)
	v_cmp_eq_u32_e32 vcc_lo, 0, v4
	v_cndmask_b32_e32 v4, v5, v68, vcc_lo
; %bb.94:
	s_or_b32 exec_lo, exec_lo, s3
	v_and_b32_e32 v5, 0x7f800000, v69
	s_delay_alu instid0(VALU_DEP_1) | instskip(SKIP_1) | instid1(SALU_CYCLE_1)
	v_cmp_ne_u32_e32 vcc_lo, 0x7f800000, v5
                                        ; implicit-def: $vgpr5
	s_and_saveexec_b32 s3, vcc_lo
	s_xor_b32 s3, exec_lo, s3
; %bb.95:
	v_bfe_u32 v5, v69, 16, 1
	s_delay_alu instid0(VALU_DEP_1)
	v_add3_u32 v5, v69, v5, 0x7fff
; %bb.96:
	s_and_not1_saveexec_b32 s3, s3
; %bb.97:
	v_and_b32_e32 v5, 0xffff, v69
	v_or_b32_e32 v6, 0x10000, v69
	s_delay_alu instid0(VALU_DEP_2) | instskip(NEXT) | instid1(VALU_DEP_2)
	v_cmp_eq_u32_e32 vcc_lo, 0, v5
	v_cndmask_b32_e32 v5, v6, v69, vcc_lo
; %bb.98:
	s_or_b32 exec_lo, exec_lo, s3
	v_and_b32_e32 v6, 0x7f800000, v70
	s_delay_alu instid0(VALU_DEP_1) | instskip(SKIP_1) | instid1(SALU_CYCLE_1)
	v_cmp_ne_u32_e32 vcc_lo, 0x7f800000, v6
                                        ; implicit-def: $vgpr6
	s_and_saveexec_b32 s3, vcc_lo
	s_xor_b32 s3, exec_lo, s3
; %bb.99:
	v_bfe_u32 v6, v70, 16, 1
	s_delay_alu instid0(VALU_DEP_1)
	v_add3_u32 v6, v70, v6, 0x7fff
; %bb.100:
	s_and_not1_saveexec_b32 s3, s3
; %bb.101:
	v_and_b32_e32 v6, 0xffff, v70
	v_or_b32_e32 v7, 0x10000, v70
	s_delay_alu instid0(VALU_DEP_2) | instskip(NEXT) | instid1(VALU_DEP_2)
	v_cmp_eq_u32_e32 vcc_lo, 0, v6
	v_cndmask_b32_e32 v6, v7, v70, vcc_lo
; %bb.102:
	s_or_b32 exec_lo, exec_lo, s3
	v_and_b32_e32 v7, 0x7f800000, v71
	s_delay_alu instid0(VALU_DEP_1) | instskip(SKIP_1) | instid1(SALU_CYCLE_1)
	v_cmp_ne_u32_e32 vcc_lo, 0x7f800000, v7
                                        ; implicit-def: $vgpr7
	s_and_saveexec_b32 s3, vcc_lo
	s_xor_b32 s3, exec_lo, s3
; %bb.103:
	v_bfe_u32 v7, v71, 16, 1
	s_delay_alu instid0(VALU_DEP_1)
	v_add3_u32 v7, v71, v7, 0x7fff
; %bb.104:
	s_and_not1_saveexec_b32 s3, s3
; %bb.105:
	v_and_b32_e32 v7, 0xffff, v71
	v_or_b32_e32 v8, 0x10000, v71
	s_delay_alu instid0(VALU_DEP_2) | instskip(NEXT) | instid1(VALU_DEP_2)
	v_cmp_eq_u32_e32 vcc_lo, 0, v7
	v_cndmask_b32_e32 v7, v8, v71, vcc_lo
; %bb.106:
	s_or_b32 exec_lo, exec_lo, s3
	v_and_b32_e32 v8, 0x7f800000, v72
	s_delay_alu instid0(VALU_DEP_1) | instskip(SKIP_1) | instid1(SALU_CYCLE_1)
	v_cmp_ne_u32_e32 vcc_lo, 0x7f800000, v8
                                        ; implicit-def: $vgpr8
	s_and_saveexec_b32 s3, vcc_lo
	s_xor_b32 s3, exec_lo, s3
; %bb.107:
	v_bfe_u32 v8, v72, 16, 1
	s_delay_alu instid0(VALU_DEP_1)
	v_add3_u32 v8, v72, v8, 0x7fff
                                        ; implicit-def: $vgpr65_vgpr66_vgpr67_vgpr68_vgpr69_vgpr70_vgpr71_vgpr72
; %bb.108:
	s_and_not1_saveexec_b32 s3, s3
; %bb.109:
	v_and_b32_e32 v8, 0xffff, v72
	v_or_b32_e32 v9, 0x10000, v72
	s_delay_alu instid0(VALU_DEP_2) | instskip(NEXT) | instid1(VALU_DEP_2)
	v_cmp_eq_u32_e32 vcc_lo, 0, v8
	v_cndmask_b32_e32 v8, v9, v72, vcc_lo
; %bb.110:
	s_or_b32 exec_lo, exec_lo, s3
	s_delay_alu instid0(VALU_DEP_1)
	v_perm_b32 v7, v8, v7, 0x7060302
	v_perm_b32 v6, v6, v5, 0x7060302
	;; [unrolled: 1-line block ×4, first 2 shown]
	s_barrier
	buffer_gl0_inv
	v_cmp_eq_u32_e32 vcc_lo, 1, v78
	ds_store_b128 v76, v[4:7]
	s_waitcnt lgkmcnt(0)
	s_barrier
	buffer_gl0_inv
	ds_load_b128 v[1:4], v82
	ds_load_b128 v[5:8], v82 offset:16
	v_cmp_eq_u32_e64 s3, 1, v79
	v_cmp_eq_u32_e64 s4, 2, v78
	;; [unrolled: 1-line block ×5, first 2 shown]
	s_waitcnt lgkmcnt(1)
	v_lshrrev_b32_e32 v9, 16, v1
	s_waitcnt lgkmcnt(0)
	v_lshrrev_b32_e32 v13, 16, v5
	v_lshrrev_b32_e32 v10, 16, v2
	;; [unrolled: 1-line block ×4, first 2 shown]
	v_cndmask_b32_e64 v19, v1, v9, s3
	v_cndmask_b32_e32 v18, v5, v13, vcc_lo
	v_cndmask_b32_e64 v20, v5, v13, s3
	v_cndmask_b32_e32 v17, v1, v9, vcc_lo
	v_cmp_eq_u32_e32 vcc_lo, 2, v79
	v_lshrrev_b32_e32 v15, 16, v7
	v_cmp_eq_u32_e64 s3, 1, v77
	v_lshrrev_b32_e32 v12, 16, v4
	v_lshrrev_b32_e32 v16, 16, v8
	v_cndmask_b32_e32 v20, v20, v6, vcc_lo
	v_cndmask_b32_e64 v17, v17, v2, s4
	v_cndmask_b32_e32 v19, v19, v2, vcc_lo
	v_cndmask_b32_e64 v18, v18, v6, s4
	v_cmp_eq_u32_e32 vcc_lo, 4, v78
	v_cmp_eq_u32_e64 s4, 3, v79
	v_cndmask_b32_e64 v17, v17, v10, s5
	v_cndmask_b32_e64 v21, v1, v9, s3
	;; [unrolled: 1-line block ×5, first 2 shown]
	v_cndmask_b32_e32 v17, v17, v3, vcc_lo
	v_cndmask_b32_e64 v20, v20, v14, s4
	v_cndmask_b32_e32 v18, v18, v7, vcc_lo
	v_cmp_eq_u32_e32 vcc_lo, 4, v79
	v_cmp_eq_u32_e64 s4, 5, v79
	v_cmp_eq_u32_e64 s3, 2, v81
	v_cndmask_b32_e64 v21, v21, v2, s7
	v_cmp_eq_u32_e64 s5, 5, v78
	v_cndmask_b32_e32 v19, v19, v3, vcc_lo
	v_cndmask_b32_e32 v20, v20, v7, vcc_lo
	v_cmp_eq_u32_e32 vcc_lo, 6, v79
	s_delay_alu instid0(VALU_DEP_4) | instskip(NEXT) | instid1(VALU_DEP_4)
	v_cndmask_b32_e64 v17, v17, v11, s5
	v_cndmask_b32_e64 v19, v19, v11, s4
	s_delay_alu instid0(VALU_DEP_4) | instskip(SKIP_1) | instid1(VALU_DEP_3)
	v_cndmask_b32_e64 v20, v20, v15, s4
	v_cmp_eq_u32_e64 s4, 1, v81
	v_cndmask_b32_e32 v19, v19, v4, vcc_lo
	v_cndmask_b32_e64 v18, v18, v15, s5
	s_delay_alu instid0(VALU_DEP_3)
	v_cndmask_b32_e64 v1, v1, v9, s4
	v_cndmask_b32_e64 v5, v5, v13, s4
	v_cmp_eq_u32_e64 s4, 3, v77
	v_cndmask_b32_e64 v13, v22, v6, s7
	v_cmp_eq_u32_e64 s7, 3, v81
	v_cndmask_b32_e64 v1, v1, v2, s3
	v_cndmask_b32_e64 v2, v5, v6, s3
	;; [unrolled: 1-line block ×3, first 2 shown]
	v_cmp_eq_u32_e64 s3, 4, v77
	v_cndmask_b32_e64 v6, v13, v14, s4
	v_cndmask_b32_e64 v1, v1, v10, s7
	v_cmp_eq_u32_e64 s4, 4, v81
	v_cndmask_b32_e64 v2, v2, v14, s7
	v_cndmask_b32_e64 v5, v9, v3, s3
	;; [unrolled: 3-line block ×3, first 2 shown]
	v_cndmask_b32_e64 v2, v2, v7, s4
	v_cmp_eq_u32_e64 s3, 5, v81
	v_cmp_eq_u32_e64 s5, 6, v78
	v_cndmask_b32_e64 v5, v5, v11, s7
	v_cmp_eq_u32_e64 s4, 6, v77
	v_cndmask_b32_e64 v3, v6, v15, s7
	v_cndmask_b32_e64 v1, v1, v11, s3
	v_cmp_eq_u32_e64 s7, 6, v81
	v_cndmask_b32_e64 v2, v2, v15, s3
	v_cndmask_b32_e64 v17, v17, v4, s5
	v_cndmask_b32_e64 v18, v18, v8, s5
	v_cmp_eq_u32_e64 s5, 7, v78
	v_cndmask_b32_e64 v5, v5, v4, s4
	;; [unrolled: 4-line block ×3, first 2 shown]
	v_cmp_eq_u32_e64 s4, 7, v77
	v_cndmask_b32_e32 v4, v20, v8, vcc_lo
	v_cndmask_b32_e64 v17, v17, v12, s5
	v_cndmask_b32_e64 v19, v19, v12, s6
	;; [unrolled: 1-line block ×8, first 2 shown]
	s_mov_b32 s3, exec_lo
	v_perm_b32 v4, v2, v1, 0x5040100
	v_perm_b32 v3, v3, v5, 0x5040100
	;; [unrolled: 1-line block ×4, first 2 shown]
	ds_store_b128 v76, v[1:4]
	s_waitcnt lgkmcnt(0)
	s_barrier
	buffer_gl0_inv
	v_cmpx_gt_u32_e32 32, v0
	s_cbranch_execz .LBB1858_2
; %bb.111:
	s_load_b64 s[4:5], s[0:1], 0x68
	v_lshlrev_b32_e32 v0, 10, v0
	v_add_nc_u32_e32 v2, s31, v74
	v_lshlrev_b32_e32 v3, 4, v75
	s_lshl_b32 s0, s34, 7
	s_delay_alu instid0(SALU_CYCLE_1) | instskip(NEXT) | instid1(VALU_DEP_2)
	s_mul_i32 s1, s0, s30
	v_mul_lo_u32 v1, v2, s0
	s_delay_alu instid0(VALU_DEP_2) | instskip(SKIP_2) | instid1(SALU_CYCLE_1)
	v_and_or_b32 v0, 0x3800, v0, v3
	v_add_nc_u32_e32 v2, 2, v2
	s_mul_i32 s6, s1, s8
	s_ashr_i32 s7, s6, 31
	s_delay_alu instid0(VALU_DEP_2)
	v_lshl_or_b32 v7, v74, 6, v0
	s_lshl_b64 s[6:7], s[6:7], 1
	v_mul_lo_u32 v11, v2, s0
	v_ashrrev_i32_e32 v2, 31, v1
	ds_load_b128 v[3:6], v7
	ds_load_b128 v[7:10], v7 offset:128
	s_waitcnt lgkmcnt(0)
	s_add_u32 s1, s4, s6
	s_addc_u32 s3, s5, s7
	s_lshl_b32 s4, s14, 7
	v_ashrrev_i32_e32 v12, 31, v11
	s_ashr_i32 s5, s4, 31
	v_lshlrev_b64 v[13:14], 1, v[1:2]
	s_lshl_b64 s[4:5], s[4:5], 1
	s_delay_alu instid0(SALU_CYCLE_1) | instskip(SKIP_2) | instid1(VALU_DEP_1)
	s_add_u32 s1, s1, s4
	s_addc_u32 s3, s3, s5
	v_add_co_u32 v1, s1, s1, v73
	v_add_co_ci_u32_e64 v2, null, s3, 0, s1
	v_lshlrev_b64 v[11:12], 1, v[11:12]
	s_delay_alu instid0(VALU_DEP_3) | instskip(NEXT) | instid1(VALU_DEP_3)
	v_add_co_u32 v13, vcc_lo, v1, v13
	v_add_co_ci_u32_e32 v14, vcc_lo, v2, v14, vcc_lo
	s_delay_alu instid0(VALU_DEP_3) | instskip(NEXT) | instid1(VALU_DEP_4)
	v_add_co_u32 v11, vcc_lo, v1, v11
	v_add_co_ci_u32_e32 v12, vcc_lo, v2, v12, vcc_lo
	s_clause 0x1
	global_store_b128 v[13:14], v[3:6], off
	global_store_b128 v[11:12], v[7:10], off
	s_and_b32 exec_lo, exec_lo, s2
	s_cbranch_execz .LBB1858_2
; %bb.112:
	ds_load_b128 v[3:6], v0 offset:256
	s_add_i32 s1, s31, 4
	s_delay_alu instid0(SALU_CYCLE_1) | instskip(NEXT) | instid1(SALU_CYCLE_1)
	s_mul_i32 s0, s1, s0
	s_ashr_i32 s1, s0, 31
	s_delay_alu instid0(SALU_CYCLE_1) | instskip(NEXT) | instid1(SALU_CYCLE_1)
	s_lshl_b64 s[0:1], s[0:1], 1
	v_add_co_u32 v0, vcc_lo, v1, s0
	v_add_co_ci_u32_e32 v1, vcc_lo, s1, v2, vcc_lo
	s_waitcnt lgkmcnt(0)
	global_store_b128 v[0:1], v[3:6], off
	s_nop 0
	s_sendmsg sendmsg(MSG_DEALLOC_VGPRS)
	s_endpgm
	.section	.rodata,"a",@progbits
	.p2align	6, 0x0
	.amdhsa_kernel _Z39paged_attention_ll4mi_QKV_mfma16_kernelI14__hip_bfloat16hLN4vllm18Fp8KVCacheDataTypeE1EhLi32ELi128ELi256ELb1ELi5EL8MFMAType0EEvPKT_PKT0_S9_ifPKiSB_SB_iPKfiiiPfSE_PS4_PT2_iSD_SD_
		.amdhsa_group_segment_fixed_size 17472
		.amdhsa_private_segment_fixed_size 0
		.amdhsa_kernarg_size 400
		.amdhsa_user_sgpr_count 13
		.amdhsa_user_sgpr_dispatch_ptr 0
		.amdhsa_user_sgpr_queue_ptr 0
		.amdhsa_user_sgpr_kernarg_segment_ptr 1
		.amdhsa_user_sgpr_dispatch_id 0
		.amdhsa_user_sgpr_private_segment_size 0
		.amdhsa_wavefront_size32 1
		.amdhsa_uses_dynamic_stack 0
		.amdhsa_enable_private_segment 0
		.amdhsa_system_sgpr_workgroup_id_x 1
		.amdhsa_system_sgpr_workgroup_id_y 1
		.amdhsa_system_sgpr_workgroup_id_z 1
		.amdhsa_system_sgpr_workgroup_info 0
		.amdhsa_system_vgpr_workitem_id 0
		.amdhsa_next_free_vgpr 140
		.amdhsa_next_free_sgpr 36
		.amdhsa_reserve_vcc 1
		.amdhsa_float_round_mode_32 0
		.amdhsa_float_round_mode_16_64 0
		.amdhsa_float_denorm_mode_32 3
		.amdhsa_float_denorm_mode_16_64 3
		.amdhsa_dx10_clamp 1
		.amdhsa_ieee_mode 1
		.amdhsa_fp16_overflow 0
		.amdhsa_workgroup_processor_mode 1
		.amdhsa_memory_ordered 1
		.amdhsa_forward_progress 0
		.amdhsa_shared_vgpr_count 0
		.amdhsa_exception_fp_ieee_invalid_op 0
		.amdhsa_exception_fp_denorm_src 0
		.amdhsa_exception_fp_ieee_div_zero 0
		.amdhsa_exception_fp_ieee_overflow 0
		.amdhsa_exception_fp_ieee_underflow 0
		.amdhsa_exception_fp_ieee_inexact 0
		.amdhsa_exception_int_div_zero 0
	.end_amdhsa_kernel
	.section	.text._Z39paged_attention_ll4mi_QKV_mfma16_kernelI14__hip_bfloat16hLN4vllm18Fp8KVCacheDataTypeE1EhLi32ELi128ELi256ELb1ELi5EL8MFMAType0EEvPKT_PKT0_S9_ifPKiSB_SB_iPKfiiiPfSE_PS4_PT2_iSD_SD_,"axG",@progbits,_Z39paged_attention_ll4mi_QKV_mfma16_kernelI14__hip_bfloat16hLN4vllm18Fp8KVCacheDataTypeE1EhLi32ELi128ELi256ELb1ELi5EL8MFMAType0EEvPKT_PKT0_S9_ifPKiSB_SB_iPKfiiiPfSE_PS4_PT2_iSD_SD_,comdat
.Lfunc_end1858:
	.size	_Z39paged_attention_ll4mi_QKV_mfma16_kernelI14__hip_bfloat16hLN4vllm18Fp8KVCacheDataTypeE1EhLi32ELi128ELi256ELb1ELi5EL8MFMAType0EEvPKT_PKT0_S9_ifPKiSB_SB_iPKfiiiPfSE_PS4_PT2_iSD_SD_, .Lfunc_end1858-_Z39paged_attention_ll4mi_QKV_mfma16_kernelI14__hip_bfloat16hLN4vllm18Fp8KVCacheDataTypeE1EhLi32ELi128ELi256ELb1ELi5EL8MFMAType0EEvPKT_PKT0_S9_ifPKiSB_SB_iPKfiiiPfSE_PS4_PT2_iSD_SD_
                                        ; -- End function
	.section	.AMDGPU.csdata,"",@progbits
; Kernel info:
; codeLenInByte = 8916
; NumSgprs: 38
; NumVgprs: 140
; ScratchSize: 0
; MemoryBound: 0
; FloatMode: 240
; IeeeMode: 1
; LDSByteSize: 17472 bytes/workgroup (compile time only)
; SGPRBlocks: 4
; VGPRBlocks: 17
; NumSGPRsForWavesPerEU: 38
; NumVGPRsForWavesPerEU: 140
; Occupancy: 10
; WaveLimiterHint : 1
; COMPUTE_PGM_RSRC2:SCRATCH_EN: 0
; COMPUTE_PGM_RSRC2:USER_SGPR: 13
; COMPUTE_PGM_RSRC2:TRAP_HANDLER: 0
; COMPUTE_PGM_RSRC2:TGID_X_EN: 1
; COMPUTE_PGM_RSRC2:TGID_Y_EN: 1
; COMPUTE_PGM_RSRC2:TGID_Z_EN: 1
; COMPUTE_PGM_RSRC2:TIDIG_COMP_CNT: 0
	.section	.text._Z39paged_attention_ll4mi_QKV_mfma16_kernelI14__hip_bfloat16hLN4vllm18Fp8KVCacheDataTypeE1EhLi32ELi128ELi256ELb1ELi6EL8MFMAType0EEvPKT_PKT0_S9_ifPKiSB_SB_iPKfiiiPfSE_PS4_PT2_iSD_SD_,"axG",@progbits,_Z39paged_attention_ll4mi_QKV_mfma16_kernelI14__hip_bfloat16hLN4vllm18Fp8KVCacheDataTypeE1EhLi32ELi128ELi256ELb1ELi6EL8MFMAType0EEvPKT_PKT0_S9_ifPKiSB_SB_iPKfiiiPfSE_PS4_PT2_iSD_SD_,comdat
	.protected	_Z39paged_attention_ll4mi_QKV_mfma16_kernelI14__hip_bfloat16hLN4vllm18Fp8KVCacheDataTypeE1EhLi32ELi128ELi256ELb1ELi6EL8MFMAType0EEvPKT_PKT0_S9_ifPKiSB_SB_iPKfiiiPfSE_PS4_PT2_iSD_SD_ ; -- Begin function _Z39paged_attention_ll4mi_QKV_mfma16_kernelI14__hip_bfloat16hLN4vllm18Fp8KVCacheDataTypeE1EhLi32ELi128ELi256ELb1ELi6EL8MFMAType0EEvPKT_PKT0_S9_ifPKiSB_SB_iPKfiiiPfSE_PS4_PT2_iSD_SD_
	.globl	_Z39paged_attention_ll4mi_QKV_mfma16_kernelI14__hip_bfloat16hLN4vllm18Fp8KVCacheDataTypeE1EhLi32ELi128ELi256ELb1ELi6EL8MFMAType0EEvPKT_PKT0_S9_ifPKiSB_SB_iPKfiiiPfSE_PS4_PT2_iSD_SD_
	.p2align	8
	.type	_Z39paged_attention_ll4mi_QKV_mfma16_kernelI14__hip_bfloat16hLN4vllm18Fp8KVCacheDataTypeE1EhLi32ELi128ELi256ELb1ELi6EL8MFMAType0EEvPKT_PKT0_S9_ifPKiSB_SB_iPKfiiiPfSE_PS4_PT2_iSD_SD_,@function
_Z39paged_attention_ll4mi_QKV_mfma16_kernelI14__hip_bfloat16hLN4vllm18Fp8KVCacheDataTypeE1EhLi32ELi128ELi256ELb1ELi6EL8MFMAType0EEvPKT_PKT0_S9_ifPKiSB_SB_iPKfiiiPfSE_PS4_PT2_iSD_SD_: ; @_Z39paged_attention_ll4mi_QKV_mfma16_kernelI14__hip_bfloat16hLN4vllm18Fp8KVCacheDataTypeE1EhLi32ELi128ELi256ELb1ELi6EL8MFMAType0EEvPKT_PKT0_S9_ifPKiSB_SB_iPKfiiiPfSE_PS4_PT2_iSD_SD_
; %bb.0:
	s_load_b64 s[4:5], s[0:1], 0x30
	s_mov_b32 s30, s13
	s_waitcnt lgkmcnt(0)
	s_cmp_lg_u64 s[4:5], 0
	s_cselect_b32 s13, -1, 0
	s_ashr_i32 s31, s30, 31
	s_cmp_eq_u64 s[4:5], 0
	s_cbranch_scc1 .LBB1859_3
; %bb.1:
	s_lshl_b64 s[2:3], s[30:31], 2
	s_delay_alu instid0(SALU_CYCLE_1) | instskip(SKIP_4) | instid1(SALU_CYCLE_1)
	s_add_u32 s2, s4, s2
	s_addc_u32 s3, s5, s3
	s_load_b64 s[2:3], s[2:3], 0x0
	s_waitcnt lgkmcnt(0)
	s_sub_i32 s2, s3, s2
	s_cmp_eq_u32 s2, 1
	s_cselect_b32 s2, -1, 0
	s_delay_alu instid0(SALU_CYCLE_1)
	s_and_not1_b32 vcc_lo, exec_lo, s2
	s_cbranch_vccz .LBB1859_4
.LBB1859_2:
	s_endpgm
.LBB1859_3:
.LBB1859_4:
	s_load_b64 s[2:3], s[0:1], 0x28
	s_lshl_b64 s[6:7], s[30:31], 2
	s_waitcnt lgkmcnt(0)
	s_add_u32 s2, s2, s6
	s_addc_u32 s3, s3, s7
	s_lshl_b32 s12, s14, 8
	s_load_b32 s17, s[2:3], 0x0
	s_waitcnt lgkmcnt(0)
	s_cmp_ge_i32 s12, s17
	s_cbranch_scc1 .LBB1859_2
; %bb.5:
	s_clause 0x1
	s_load_b128 s[8:11], s[0:1], 0x8
	s_load_b64 s[2:3], s[0:1], 0x20
	s_and_not1_b32 vcc_lo, exec_lo, s13
	s_cbranch_vccnz .LBB1859_7
; %bb.6:
	s_add_u32 s4, s4, s6
	s_addc_u32 s5, s5, s7
	s_load_b32 s13, s[4:5], 0x0
	s_branch .LBB1859_8
.LBB1859_7:
	s_mov_b32 s13, s30
.LBB1859_8:
	s_load_b128 s[4:7], s[0:1], 0x48
	v_and_b32_e32 v65, 15, v0
	v_lshrrev_b32_e32 v66, 5, v0
	v_and_b32_e32 v67, 31, v0
	v_and_b32_e32 v75, 1, v0
	v_bfe_u32 v74, v0, 4, 1
	v_lshlrev_b32_e32 v1, 3, v65
	s_mul_i32 s29, s15, 6
	s_waitcnt lgkmcnt(0)
	s_mov_b32 s7, exec_lo
	s_delay_alu instid0(VALU_DEP_1)
	v_lshlrev_b32_e32 v73, 1, v1
	v_cmpx_gt_u32_e32 0x60, v0
	s_cbranch_execz .LBB1859_10
; %bb.9:
	s_load_b64 s[18:19], s[0:1], 0x0
	v_lshl_or_b32 v5, v66, 1, v74
	s_mul_hi_i32 s21, s13, s4
	s_mul_i32 s20, s13, s4
	v_lshlrev_b32_e32 v6, 10, v65
	s_lshl_b64 s[20:21], s[20:21], 1
	v_add_lshl_u32 v1, v5, s29, 7
	v_lshlrev_b32_e32 v5, 6, v5
	v_lshlrev_b32_e32 v7, 10, v75
	v_and_b32_e32 v6, 0x3800, v6
	s_delay_alu instid0(VALU_DEP_4) | instskip(NEXT) | instid1(VALU_DEP_2)
	v_ashrrev_i32_e32 v2, 31, v1
	v_or3_b32 v5, v6, v7, v5
	s_delay_alu instid0(VALU_DEP_2) | instskip(SKIP_3) | instid1(VALU_DEP_1)
	v_lshlrev_b64 v[1:2], 1, v[1:2]
	s_waitcnt lgkmcnt(0)
	s_add_u32 s4, s18, s20
	s_addc_u32 s13, s19, s21
	v_add_co_u32 v1, vcc_lo, s4, v1
	s_delay_alu instid0(VALU_DEP_2) | instskip(NEXT) | instid1(VALU_DEP_2)
	v_add_co_ci_u32_e32 v2, vcc_lo, s13, v2, vcc_lo
	v_add_co_u32 v1, vcc_lo, v1, v73
	s_delay_alu instid0(VALU_DEP_2)
	v_add_co_ci_u32_e32 v2, vcc_lo, 0, v2, vcc_lo
	global_load_b128 v[1:4], v[1:2], off
	s_waitcnt vmcnt(0)
	ds_store_b128 v5, v[1:4]
.LBB1859_10:
	s_or_b32 exec_lo, exec_lo, s7
	v_and_b32_e32 v1, 0xef, v0
	s_add_i32 s4, s17, 31
	s_clause 0x1
	s_load_b32 s7, s[0:1], 0x38
	s_load_b32 s18, s[0:1], 0x1c
	s_ashr_i32 s13, s4, 31
	v_add_nc_u32_e32 v2, s12, v1
	s_lshr_b32 s13, s13, 27
	s_waitcnt lgkmcnt(0)
	s_add_i32 s4, s4, s13
	s_barrier
	v_ashrrev_i32_e32 v1, 31, v2
	s_ashr_i32 s4, s4, 5
	v_cmp_gt_i32_e32 vcc_lo, s17, v2
	s_add_i32 s4, s4, -1
	buffer_gl0_inv
	v_lshrrev_b32_e32 v3, 27, v1
	v_or_b32_e32 v1, 16, v2
	s_mul_i32 s15, s15, s6
	s_delay_alu instid0(VALU_DEP_2) | instskip(SKIP_1) | instid1(SALU_CYCLE_1)
	v_add_nc_u32_e32 v4, v2, v3
	s_mul_i32 s20, s30, s7
	s_ashr_i32 s21, s20, 31
	s_delay_alu instid0(VALU_DEP_1) | instskip(SKIP_2) | instid1(SALU_CYCLE_1)
	v_ashrrev_i32_e32 v4, 5, v4
	v_add_nc_u32_e32 v3, v1, v3
	s_lshl_b64 s[20:21], s[20:21], 2
	s_add_u32 s7, s2, s20
	s_delay_alu instid0(VALU_DEP_2) | instskip(NEXT) | instid1(VALU_DEP_2)
	v_cndmask_b32_e32 v2, s4, v4, vcc_lo
	v_ashrrev_i32_e32 v3, 5, v3
	v_cmp_gt_i32_e32 vcc_lo, s17, v1
	s_addc_u32 s13, s3, s21
	s_ashr_i32 s6, s15, 31
	s_add_u32 s2, s8, s15
	s_addc_u32 s3, s9, s6
	v_cndmask_b32_e32 v4, s4, v3, vcc_lo
	v_ashrrev_i32_e32 v3, 31, v2
	s_lshl_b32 s8, s14, 3
	s_delay_alu instid0(SALU_CYCLE_1) | instskip(NEXT) | instid1(VALU_DEP_2)
	s_ashr_i32 s9, s8, 31
	v_ashrrev_i32_e32 v5, 31, v4
	s_delay_alu instid0(VALU_DEP_2) | instskip(SKIP_1) | instid1(SALU_CYCLE_1)
	v_lshlrev_b64 v[1:2], 2, v[2:3]
	s_lshl_b64 s[8:9], s[8:9], 2
	s_add_u32 s8, s7, s8
	s_delay_alu instid0(VALU_DEP_2) | instskip(SKIP_1) | instid1(VALU_DEP_2)
	v_lshlrev_b64 v[3:4], 2, v[4:5]
	s_addc_u32 s9, s13, s9
	v_add_co_u32 v1, vcc_lo, s7, v1
	v_add_co_ci_u32_e32 v2, vcc_lo, s13, v2, vcc_lo
	s_delay_alu instid0(VALU_DEP_3) | instskip(NEXT) | instid1(VALU_DEP_4)
	v_add_co_u32 v3, vcc_lo, s7, v3
	v_add_co_ci_u32_e32 v4, vcc_lo, s13, v4, vcc_lo
	s_clause 0x1
	global_load_b32 v5, v[1:2], off
	global_load_b32 v6, v[3:4], off
	s_or_b32 s16, s12, 32
	s_delay_alu instid0(SALU_CYCLE_1) | instskip(SKIP_2) | instid1(SALU_CYCLE_1)
	s_ashr_i32 s19, s16, 5
	s_cmp_lt_i32 s16, s17
	s_cselect_b32 s20, s19, s4
	s_ashr_i32 s21, s20, 31
	s_delay_alu instid0(SALU_CYCLE_1) | instskip(NEXT) | instid1(SALU_CYCLE_1)
	s_lshl_b64 s[20:21], s[20:21], 2
	s_add_u32 s20, s7, s20
	s_addc_u32 s21, s13, s21
	s_or_b32 s16, s12, 64
	s_delay_alu instid0(SALU_CYCLE_1) | instskip(SKIP_2) | instid1(SALU_CYCLE_1)
	s_ashr_i32 s19, s16, 5
	s_cmp_lt_i32 s16, s17
	s_cselect_b32 s22, s19, s4
	s_ashr_i32 s23, s22, 31
	s_delay_alu instid0(SALU_CYCLE_1) | instskip(NEXT) | instid1(SALU_CYCLE_1)
	s_lshl_b64 s[22:23], s[22:23], 2
	s_add_u32 s22, s7, s22
	s_addc_u32 s23, s13, s23
	;; [unrolled: 10-line block ×5, first 2 shown]
	s_clause 0x5
	s_load_b32 s16, s[8:9], 0x0
	s_load_b32 s19, s[20:21], 0x0
	;; [unrolled: 1-line block ×6, first 2 shown]
	s_mov_b32 s20, 0
	s_delay_alu instid0(SALU_CYCLE_1)
	s_mov_b32 s21, s20
	s_mov_b32 s22, s20
	;; [unrolled: 1-line block ×7, first 2 shown]
	s_delay_alu instid0(SALU_CYCLE_1)
	v_dual_mov_b32 v107, s27 :: v_dual_mov_b32 v106, s26
	v_dual_mov_b32 v105, s25 :: v_dual_mov_b32 v102, s22
	;; [unrolled: 1-line block ×4, first 2 shown]
	s_waitcnt vmcnt(1)
	v_mad_i64_i32 v[1:2], null, v5, s5, s[2:3]
	v_lshlrev_b32_e32 v5, 4, v65
	s_waitcnt vmcnt(0)
	v_mad_i64_i32 v[3:4], null, v6, s5, s[2:3]
	s_or_b32 s2, s12, 0xc0
	s_delay_alu instid0(SALU_CYCLE_1) | instskip(NEXT) | instid1(VALU_DEP_3)
	s_ashr_i32 s3, s2, 5
	v_add_co_u32 v25, vcc_lo, v1, v5
	s_delay_alu instid0(VALU_DEP_4) | instskip(NEXT) | instid1(VALU_DEP_3)
	v_add_co_ci_u32_e32 v26, vcc_lo, 0, v2, vcc_lo
	v_add_co_u32 v27, vcc_lo, v3, v5
	s_delay_alu instid0(VALU_DEP_4)
	v_add_co_ci_u32_e32 v28, vcc_lo, 0, v4, vcc_lo
	s_clause 0xf
	global_load_b128 v[1:4], v[25:26], off
	global_load_b128 v[5:8], v[25:26], off offset:512
	global_load_b128 v[9:12], v[27:28], off offset:256
	;; [unrolled: 1-line block ×15, first 2 shown]
	v_mul_lo_u16 v25, v65, 43
	s_cmp_lt_i32 s2, s17
	v_lshlrev_b32_e32 v26, 5, v65
	s_cselect_b32 s2, s3, s4
	s_delay_alu instid0(VALU_DEP_2) | instskip(SKIP_1) | instid1(VALU_DEP_2)
	v_lshrrev_b16 v25, 8, v25
	s_ashr_i32 s3, s2, 31
	v_lshl_or_b32 v33, v66, 9, v26
	s_lshl_b64 s[2:3], s[2:3], 2
	s_delay_alu instid0(VALU_DEP_2) | instskip(SKIP_3) | instid1(VALU_DEP_1)
	v_mul_lo_u16 v25, v25, 6
	s_add_u32 s2, s7, s2
	s_addc_u32 s3, s13, s3
	s_or_b32 s8, s12, 0xe0
	v_sub_nc_u16 v25, v65, v25
	s_ashr_i32 s9, s8, 5
	s_cmp_lt_i32 s8, s17
	s_cselect_b32 s8, s9, s4
	s_delay_alu instid0(VALU_DEP_1) | instskip(SKIP_1) | instid1(SALU_CYCLE_1)
	v_and_b32_e32 v25, 0xff, v25
	s_ashr_i32 s9, s8, 31
	s_lshl_b64 s[8:9], s[8:9], 2
	s_delay_alu instid0(VALU_DEP_1)
	v_lshlrev_b32_e32 v72, 6, v25
	ds_load_b128 v[25:28], v72
	ds_load_b128 v[29:32], v72 offset:1024
	ds_load_b128 v[108:111], v72 offset:2048
	;; [unrolled: 1-line block ×3, first 2 shown]
	s_load_b32 s4, s[2:3], 0x0
	s_add_u32 s2, s7, s8
	s_addc_u32 s3, s13, s9
	ds_load_b128 v[116:119], v72 offset:4096
	ds_load_b128 v[120:123], v72 offset:5120
	s_load_b32 s2, s[2:3], 0x0
	s_add_u32 s7, s10, s15
	s_addc_u32 s6, s11, s6
	v_add_co_u32 v68, s7, s7, v33
	s_delay_alu instid0(VALU_DEP_1) | instskip(SKIP_1) | instid1(VALU_DEP_1)
	v_add_co_ci_u32_e64 v69, null, s6, 0, s7
	s_waitcnt lgkmcnt(0)
	v_mad_i64_i32 v[33:34], null, s16, s5, v[68:69]
	v_mad_i64_i32 v[70:71], null, s28, s5, v[68:69]
	;; [unrolled: 1-line block ×7, first 2 shown]
	s_clause 0x3
	global_load_b128 v[41:44], v[33:34], off
	global_load_b128 v[45:48], v[33:34], off offset:16
	global_load_b128 v[33:36], v[37:38], off
	global_load_b128 v[37:40], v[37:38], off offset:16
	s_waitcnt vmcnt(18)
	v_wmma_f32_16x16x16_bf16 v[124:131], v[1:8], v[25:32], v[100:107]
	s_waitcnt vmcnt(16)
	v_wmma_f32_16x16x16_bf16 v[100:107], v[9:16], v[25:32], v[100:107]
	s_clause 0x1
	global_load_b128 v[25:28], v[70:71], off
	global_load_b128 v[29:32], v[70:71], off offset:16
	s_waitcnt vmcnt(16)
	v_wmma_f32_16x16x16_bf16 v[124:131], v[17:24], v[108:115], v[124:131]
	s_clause 0x1
	global_load_b128 v[17:20], v[132:133], off
	global_load_b128 v[21:24], v[132:133], off offset:16
	s_waitcnt vmcnt(16)
	v_wmma_f32_16x16x16_bf16 v[100:107], v[49:56], v[108:115], v[100:107]
	v_mad_i64_i32 v[53:54], null, s2, s5, v[68:69]
	s_clause 0x3
	global_load_b128 v[1:4], v[134:135], off
	global_load_b128 v[5:8], v[134:135], off offset:16
	global_load_b128 v[9:12], v[136:137], off
	global_load_b128 v[13:16], v[136:137], off offset:16
	s_waitcnt vmcnt(18)
	v_wmma_f32_16x16x16_bf16 v[124:131], v[57:64], v[116:123], v[124:131]
	s_clause 0x3
	global_load_b128 v[57:60], v[138:139], off
	global_load_b128 v[61:64], v[138:139], off offset:16
	global_load_b128 v[49:52], v[53:54], off
	global_load_b128 v[53:56], v[53:54], off offset:16
	s_waitcnt vmcnt(20)
	v_wmma_f32_16x16x16_bf16 v[100:107], v[76:83], v[116:123], v[100:107]
	ds_load_b128 v[76:79], v72 offset:6144
	ds_load_b128 v[80:83], v72 offset:7168
	v_mbcnt_lo_u32_b32 v69, -1, 0
	s_waitcnt vmcnt(0) lgkmcnt(0)
	s_barrier
	buffer_gl0_inv
	v_xor_b32_e32 v70, 16, v69
	s_delay_alu instid0(VALU_DEP_1) | instskip(SKIP_4) | instid1(VALU_DEP_2)
	v_cmp_gt_i32_e32 vcc_lo, 32, v70
	v_cndmask_b32_e32 v69, v69, v70, vcc_lo
	v_wmma_f32_16x16x16_bf16 v[124:131], v[84:91], v[76:83], v[124:131]
	v_and_b32_e32 v68, 0xe0, v0
	v_wmma_f32_16x16x16_bf16 v[100:107], v[92:99], v[76:83], v[100:107]
	v_dual_mul_f32 v81, s18, v129 :: v_dual_add_nc_u32 v68, s12, v68
	s_delay_alu instid0(VALU_DEP_4) | instskip(NEXT) | instid1(VALU_DEP_3)
	v_dual_mul_f32 v83, s18, v131 :: v_dual_mul_f32 v78, s18, v125
	v_mul_f32_e32 v95, s18, v103
	v_mul_f32_e32 v79, s18, v127
	s_delay_alu instid0(VALU_DEP_4) | instskip(SKIP_3) | instid1(VALU_DEP_4)
	v_or_b32_e32 v68, v68, v74
	v_dual_mul_f32 v80, s18, v126 :: v_dual_mul_f32 v97, s18, v105
	v_dual_mul_f32 v93, s18, v101 :: v_dual_mul_f32 v82, s18, v128
	v_mul_f32_e32 v99, s18, v107
	v_or_b32_e32 v70, 2, v68
	v_or_b32_e32 v71, 4, v68
	;; [unrolled: 1-line block ×3, first 2 shown]
	v_cmp_gt_i32_e64 s2, s17, v68
	v_or_b32_e32 v108, 8, v68
	v_cmp_gt_i32_e32 vcc_lo, s17, v70
	v_mul_f32_e32 v70, s18, v124
	v_or_b32_e32 v109, 10, v68
	v_cmp_gt_i32_e64 s3, s17, v71
	v_cmp_gt_i32_e64 s4, s17, v72
	v_cndmask_b32_e32 v78, 0xff7fffff, v78, vcc_lo
	v_cndmask_b32_e64 v70, 0xff7fffff, v70, s2
	v_or_b32_e32 v84, 12, v68
	v_or_b32_e32 v85, 14, v68
	v_cndmask_b32_e64 v71, 0xff7fffff, v80, s3
	v_cndmask_b32_e64 v72, 0xff7fffff, v79, s4
	v_max3_f32 v70, v70, 0xff7fffff, v78
	v_cmp_gt_i32_e64 s5, s17, v108
	v_cmp_gt_i32_e64 s6, s17, v109
	v_or_b32_e32 v86, 16, v68
	v_or_b32_e32 v87, 18, v68
	;; [unrolled: 1-line block ×3, first 2 shown]
	v_mul_f32_e32 v92, s18, v130
	v_cndmask_b32_e64 v78, 0xff7fffff, v82, s5
	v_cndmask_b32_e64 v79, 0xff7fffff, v81, s6
	v_max3_f32 v70, v70, v71, v72
	v_cmp_gt_i32_e64 s7, s17, v84
	v_cmp_gt_i32_e64 s8, s17, v85
	v_or_b32_e32 v88, 20, v68
	v_mul_f32_e32 v94, s18, v100
	v_max3_f32 v70, v70, v78, v79
	v_cmp_gt_i32_e64 s9, s17, v86
	v_cndmask_b32_e64 v72, 0xff7fffff, v83, s8
	v_cmp_gt_i32_e64 s10, s17, v87
	v_cmp_gt_i32_e64 s12, s17, v89
	v_lshlrev_b32_e32 v89, 2, v69
	v_cndmask_b32_e64 v71, 0xff7fffff, v92, s7
	v_or_b32_e32 v90, 24, v68
	v_or_b32_e32 v91, 26, v68
	v_mul_f32_e32 v96, s18, v102
	v_cndmask_b32_e64 v78, 0xff7fffff, v94, s9
	v_cndmask_b32_e64 v79, 0xff7fffff, v93, s10
	v_max3_f32 v70, v70, v71, v72
	v_cmp_gt_i32_e64 s11, s17, v88
	v_or_b32_e32 v76, 28, v68
	v_or_b32_e32 v77, 30, v68
	v_mul_f32_e32 v98, s18, v104
	v_cndmask_b32_e64 v72, 0xff7fffff, v95, s12
	v_cndmask_b32_e64 v71, 0xff7fffff, v96, s11
	v_max3_f32 v70, v70, v78, v79
	v_cmp_gt_i32_e64 s13, s17, v90
	v_cmp_gt_i32_e64 s15, s17, v91
	v_mul_f32_e32 v68, s18, v106
	v_cmp_gt_i32_e64 s16, s17, v76
	v_max3_f32 v70, v70, v71, v72
	v_cndmask_b32_e64 v78, 0xff7fffff, v98, s13
	v_cndmask_b32_e64 v79, 0xff7fffff, v97, s15
	v_cmp_gt_i32_e64 s17, s17, v77
	v_cndmask_b32_e64 v68, 0xff7fffff, v68, s16
	s_delay_alu instid0(VALU_DEP_3) | instskip(NEXT) | instid1(VALU_DEP_3)
	v_max3_f32 v70, v70, v78, v79
	v_cndmask_b32_e64 v71, 0xff7fffff, v99, s17
	s_delay_alu instid0(VALU_DEP_1) | instskip(SKIP_3) | instid1(VALU_DEP_1)
	v_max3_f32 v68, v70, v68, v71
	ds_bpermute_b32 v69, v89, v68
	s_waitcnt lgkmcnt(0)
	v_max_f32_e32 v69, v69, v69
	v_max_f32_e32 v68, v68, v69
	s_delay_alu instid0(VALU_DEP_1) | instskip(NEXT) | instid1(VALU_DEP_1)
	v_fma_f32 v71, s18, v126, -v68
	v_mul_f32_e32 v71, 0x3fb8aa3b, v71
	s_delay_alu instid0(VALU_DEP_1) | instskip(SKIP_3) | instid1(VALU_DEP_1)
	v_exp_f32_e32 v71, v71
	s_waitcnt_depctr 0xfff
	v_cndmask_b32_e64 v83, 0, v71, s3
	v_fma_f32 v71, s18, v131, -v68
	v_mul_f32_e32 v71, 0x3fb8aa3b, v71
	v_fma_f32 v69, s18, v124, -v68
	v_fma_f32 v76, s18, v128, -v68
	v_fma_f32 v70, s18, v125, -v68
	v_fma_f32 v72, s18, v127, -v68
	v_exp_f32_e32 v71, v71
	v_mul_f32_e32 v69, 0x3fb8aa3b, v69
	v_mul_f32_e32 v77, 0x3fb8aa3b, v76
	v_fma_f32 v81, s18, v105, -v68
	v_fma_f32 v78, s18, v130, -v68
	s_delay_alu instid0(VALU_DEP_4) | instskip(NEXT) | instid1(VALU_DEP_3)
	v_exp_f32_e32 v69, v69
	v_exp_f32_e32 v77, v77
	s_delay_alu instid0(VALU_DEP_2) | instskip(NEXT) | instid1(TRANS32_DEP_3)
	v_mul_f32_e32 v81, 0x3fb8aa3b, v81
	v_cndmask_b32_e64 v88, 0, v71, s8
	v_fma_f32 v71, s18, v104, -v68
	s_delay_alu instid0(VALU_DEP_3) | instskip(NEXT) | instid1(TRANS32_DEP_3)
	v_exp_f32_e32 v81, v81
	v_cndmask_b32_e64 v80, 0, v69, s2
	v_fma_f32 v69, s18, v129, -v68
	v_mul_f32_e32 v70, 0x3fb8aa3b, v70
	s_delay_alu instid0(TRANS32_DEP_2)
	v_cndmask_b32_e64 v86, 0, v77, s5
	v_mul_f32_e32 v72, 0x3fb8aa3b, v72
	v_fma_f32 v77, s18, v101, -v68
	v_mul_f32_e32 v69, 0x3fb8aa3b, v69
	v_exp_f32_e32 v70, v70
	v_mul_f32_e32 v71, 0x3fb8aa3b, v71
	v_exp_f32_e32 v72, v72
	;; [unrolled: 2-line block ×3, first 2 shown]
	s_mov_b32 s2, exec_lo
	v_exp_f32_e32 v82, v71
	s_delay_alu instid0(VALU_DEP_1) | instskip(SKIP_4) | instid1(TRANS32_DEP_3)
	v_exp_f32_e32 v77, v77
	v_cndmask_b32_e32 v76, 0, v70, vcc_lo
	v_add_f32_e32 v70, 0, v80
	v_cndmask_b32_e64 v85, 0, v72, s4
	v_fma_f32 v72, s18, v100, -v68
	v_cndmask_b32_e64 v87, 0, v69, s6
	s_delay_alu instid0(VALU_DEP_4) | instskip(NEXT) | instid1(VALU_DEP_3)
	v_add_f32_e32 v70, v70, v76
	v_mul_f32_e32 v72, 0x3fb8aa3b, v72
	s_delay_alu instid0(VALU_DEP_2) | instskip(NEXT) | instid1(VALU_DEP_2)
	v_add_f32_e32 v70, v70, v83
	v_exp_f32_e32 v72, v72
	s_delay_alu instid0(VALU_DEP_1) | instskip(NEXT) | instid1(VALU_DEP_1)
	v_add_f32_e32 v70, v70, v85
	v_add_f32_e32 v69, v70, v86
	v_fma_f32 v70, s18, v102, -v68
	s_delay_alu instid0(VALU_DEP_2) | instskip(NEXT) | instid1(VALU_DEP_2)
	v_dual_add_f32 v69, v69, v87 :: v_dual_mul_f32 v78, 0x3fb8aa3b, v78
	v_mul_f32_e32 v70, 0x3fb8aa3b, v70
	s_delay_alu instid0(VALU_DEP_2) | instskip(NEXT) | instid1(VALU_DEP_1)
	v_exp_f32_e32 v78, v78
	v_exp_f32_e32 v79, v70
	s_delay_alu instid0(TRANS32_DEP_3) | instskip(SKIP_4) | instid1(VALU_DEP_2)
	v_cndmask_b32_e64 v70, 0, v72, s9
	s_waitcnt_depctr 0xfff
	v_cndmask_b32_e64 v84, 0, v78, s7
	v_fma_f32 v78, s18, v103, -v68
	v_cndmask_b32_e64 v71, 0, v79, s11
	v_dual_add_f32 v69, v69, v84 :: v_dual_mul_f32 v78, 0x3fb8aa3b, v78
	s_delay_alu instid0(VALU_DEP_1) | instskip(NEXT) | instid1(VALU_DEP_2)
	v_add_f32_e32 v72, v69, v88
	v_exp_f32_e32 v78, v78
	v_cndmask_b32_e64 v69, 0, v77, s10
	v_fma_f32 v77, s18, v106, -v68
	s_delay_alu instid0(VALU_DEP_1) | instskip(NEXT) | instid1(VALU_DEP_1)
	v_dual_add_f32 v72, v72, v70 :: v_dual_mul_f32 v77, 0x3fb8aa3b, v77
	v_add_f32_e32 v79, v72, v69
	s_waitcnt_depctr 0xfff
	v_cndmask_b32_e64 v72, 0, v78, s12
	v_exp_f32_e32 v90, v77
	v_cndmask_b32_e64 v77, 0, v82, s13
	v_add_f32_e32 v78, v79, v71
	v_fma_f32 v79, s18, v107, -v68
	s_delay_alu instid0(VALU_DEP_1) | instskip(SKIP_1) | instid1(VALU_DEP_2)
	v_dual_add_f32 v82, v78, v72 :: v_dual_mul_f32 v79, 0x3fb8aa3b, v79
	v_cndmask_b32_e64 v78, 0, v81, s15
	v_add_f32_e32 v81, v82, v77
	s_delay_alu instid0(VALU_DEP_3) | instskip(NEXT) | instid1(TRANS32_DEP_2)
	v_exp_f32_e32 v82, v79
	v_cndmask_b32_e64 v79, 0, v90, s16
	s_delay_alu instid0(VALU_DEP_2) | instskip(NEXT) | instid1(VALU_DEP_1)
	v_add_f32_e32 v81, v81, v78
	v_add_f32_e32 v90, v81, v79
	s_waitcnt_depctr 0xfff
	v_cndmask_b32_e64 v81, 0, v82, s17
	s_delay_alu instid0(VALU_DEP_1)
	v_add_f32_e32 v82, v90, v81
	ds_bpermute_b32 v89, v89, v82
	v_cmpx_gt_u32_e32 16, v67
	s_cbranch_execz .LBB1859_12
; %bb.11:
	v_mul_u32_u24_e32 v67, 0x44, v66
	s_delay_alu instid0(VALU_DEP_1) | instskip(SKIP_1) | instid1(VALU_DEP_1)
	v_lshl_add_u32 v67, v65, 2, v67
	s_waitcnt lgkmcnt(0)
	v_dual_add_f32 v82, v82, v89 :: v_dual_add_nc_u32 v67, 0x4000, v67
	ds_store_2addr_b32 v67, v68, v82 offset1:136
.LBB1859_12:
	s_or_b32 exec_lo, exec_lo, s2
	v_lshlrev_b32_e32 v67, 2, v65
	s_waitcnt lgkmcnt(0)
	s_barrier
	buffer_gl0_inv
	v_cmp_eq_u32_e32 vcc_lo, 1, v66
	v_add_nc_u32_e32 v82, 0x4000, v67
	v_cmp_eq_u32_e64 s2, 2, v66
	v_cmp_eq_u32_e64 s4, 7, v66
	ds_load_2addr_b32 v[89:90], v82 offset1:17
	ds_load_2addr_b32 v[91:92], v82 offset0:34 offset1:51
	ds_load_2addr_b32 v[93:94], v82 offset0:68 offset1:85
	;; [unrolled: 1-line block ×4, first 2 shown]
	s_waitcnt lgkmcnt(4)
	v_max3_f32 v67, v89, 0xff7fffff, v90
	s_waitcnt lgkmcnt(3)
	s_delay_alu instid0(VALU_DEP_1) | instskip(SKIP_1) | instid1(VALU_DEP_1)
	v_max3_f32 v67, v67, v91, v92
	s_waitcnt lgkmcnt(2)
	v_max3_f32 v67, v67, v93, v94
	s_waitcnt lgkmcnt(1)
	s_delay_alu instid0(VALU_DEP_1) | instskip(NEXT) | instid1(VALU_DEP_1)
	v_max3_f32 v67, v67, v95, v96
	v_sub_f32_e32 v93, v93, v67
	s_delay_alu instid0(VALU_DEP_1) | instskip(NEXT) | instid1(VALU_DEP_1)
	v_dual_sub_f32 v68, v89, v67 :: v_dual_mul_f32 v103, 0x3fb8aa3b, v93
	v_mul_f32_e32 v68, 0x3fb8aa3b, v68
	s_delay_alu instid0(VALU_DEP_1)
	v_exp_f32_e32 v100, v68
	v_sub_f32_e32 v68, v92, v67
	v_sub_f32_e32 v99, v90, v67
	ds_load_2addr_b32 v[89:90], v82 offset0:170 offset1:187
	v_dual_mul_f32 v102, 0x3fb8aa3b, v68 :: v_dual_mul_f32 v99, 0x3fb8aa3b, v99
	s_waitcnt lgkmcnt(1)
	v_fma_f32 v68, v100, v97, 0
	s_delay_alu instid0(VALU_DEP_2) | instskip(NEXT) | instid1(VALU_DEP_2)
	v_exp_f32_e32 v102, v102
	v_exp_f32_e32 v99, v99
	s_waitcnt_depctr 0xfff
	v_fmac_f32_e32 v68, v99, v98
	v_sub_f32_e32 v91, v91, v67
	s_delay_alu instid0(VALU_DEP_1)
	v_mul_f32_e32 v101, 0x3fb8aa3b, v91
	ds_load_2addr_b32 v[91:92], v82 offset0:204 offset1:221
	v_sub_f32_e32 v97, v94, v67
	ds_load_2addr_b32 v[93:94], v82 offset0:238 offset1:255
	s_waitcnt lgkmcnt(0)
	v_exp_f32_e32 v101, v101
	s_barrier
	buffer_gl0_inv
	v_dual_fmac_f32 v68, v101, v89 :: v_dual_sub_f32 v89, v96, v67
	v_dual_sub_f32 v82, v95, v67 :: v_dual_mul_f32 v95, 0x3fb8aa3b, v97
	v_exp_f32_e32 v97, v103
	s_delay_alu instid0(VALU_DEP_2) | instskip(NEXT) | instid1(VALU_DEP_2)
	v_dual_fmac_f32 v68, v102, v90 :: v_dual_mul_f32 v89, 0x3fb8aa3b, v89
	v_mul_f32_e32 v82, 0x3fb8aa3b, v82
	s_delay_alu instid0(VALU_DEP_3) | instskip(NEXT) | instid1(VALU_DEP_2)
	v_exp_f32_e32 v95, v95
	v_exp_f32_e32 v89, v89
	s_delay_alu instid0(VALU_DEP_1)
	v_exp_f32_e32 v82, v82
	v_fmac_f32_e32 v68, v97, v91
	s_delay_alu instid0(TRANS32_DEP_3) | instid1(VALU_DEP_1)
	v_fmac_f32_e32 v68, v95, v92
	s_waitcnt_depctr 0xfff
	v_fmac_f32_e32 v68, v82, v93
	s_delay_alu instid0(VALU_DEP_1) | instskip(NEXT) | instid1(VALU_DEP_1)
	v_fmac_f32_e32 v68, v89, v94
	v_add_f32_e32 v90, 0x358637bd, v68
	s_delay_alu instid0(VALU_DEP_1) | instskip(NEXT) | instid1(VALU_DEP_1)
	v_div_scale_f32 v91, null, v90, v90, 1.0
	v_rcp_f32_e32 v92, v91
	s_waitcnt_depctr 0xfff
	v_fma_f32 v93, -v91, v92, 1.0
	s_delay_alu instid0(VALU_DEP_1) | instskip(SKIP_1) | instid1(VALU_DEP_2)
	v_dual_fmac_f32 v92, v93, v92 :: v_dual_cndmask_b32 v93, v100, v99
	v_cmp_eq_u32_e32 vcc_lo, 3, v66
	v_cndmask_b32_e64 v93, v93, v101, s2
	v_cmp_eq_u32_e64 s2, 4, v66
	s_delay_alu instid0(VALU_DEP_2) | instskip(SKIP_1) | instid1(VALU_DEP_2)
	v_cndmask_b32_e32 v93, v93, v102, vcc_lo
	v_cmp_eq_u32_e32 vcc_lo, 5, v66
	v_cndmask_b32_e64 v93, v93, v97, s2
	v_cmp_eq_u32_e64 s2, 6, v66
	s_delay_alu instid0(VALU_DEP_2) | instskip(SKIP_1) | instid1(VALU_DEP_1)
	v_cndmask_b32_e32 v93, v93, v95, vcc_lo
	v_div_scale_f32 v94, s3, 1.0, v90, 1.0
	s_mov_b32 vcc_lo, s3
	s_delay_alu instid0(VALU_DEP_2) | instskip(NEXT) | instid1(VALU_DEP_2)
	v_cndmask_b32_e64 v82, v93, v82, s2
	v_mul_f32_e32 v96, v94, v92
	s_mov_b32 s2, exec_lo
	s_delay_alu instid0(VALU_DEP_2) | instskip(NEXT) | instid1(VALU_DEP_2)
	v_cndmask_b32_e64 v82, v82, v89, s4
	v_fma_f32 v98, -v91, v96, v94
	s_delay_alu instid0(VALU_DEP_1) | instskip(NEXT) | instid1(VALU_DEP_1)
	v_fmac_f32_e32 v96, v98, v92
	v_fma_f32 v91, -v91, v96, v94
	s_delay_alu instid0(VALU_DEP_1) | instskip(NEXT) | instid1(VALU_DEP_1)
	v_div_fmas_f32 v91, v91, v92, v96
	v_div_fixup_f32 v90, v91, v90, 1.0
	s_delay_alu instid0(VALU_DEP_1) | instskip(NEXT) | instid1(VALU_DEP_1)
	v_mul_f32_e32 v82, v82, v90
	v_mul_f32_e32 v87, v82, v87
	;; [unrolled: 1-line block ×7, first 2 shown]
	v_dual_mul_f32 v86, v82, v83 :: v_dual_and_b32 v91, 0x7f800000, v90
	v_mul_f32_e32 v85, v82, v76
                                        ; implicit-def: $vgpr76
	s_delay_alu instid0(VALU_DEP_2)
	v_cmpx_ne_u32_e32 0x7f800000, v91
	s_xor_b32 s2, exec_lo, s2
; %bb.13:
	v_bfe_u32 v76, v90, 16, 1
	s_delay_alu instid0(VALU_DEP_1)
	v_add3_u32 v76, v90, v76, 0x7fff
                                        ; implicit-def: $vgpr90
; %bb.14:
	s_and_not1_saveexec_b32 s2, s2
; %bb.15:
	v_and_b32_e32 v76, 0xffff, v90
	v_or_b32_e32 v83, 0x10000, v90
	s_delay_alu instid0(VALU_DEP_2) | instskip(NEXT) | instid1(VALU_DEP_2)
	v_cmp_eq_u32_e32 vcc_lo, 0, v76
	v_cndmask_b32_e32 v76, v83, v90, vcc_lo
; %bb.16:
	s_or_b32 exec_lo, exec_lo, s2
	v_and_b32_e32 v83, 0x7f800000, v85
	s_delay_alu instid0(VALU_DEP_1) | instskip(SKIP_1) | instid1(SALU_CYCLE_1)
	v_cmp_ne_u32_e32 vcc_lo, 0x7f800000, v83
                                        ; implicit-def: $vgpr83
	s_and_saveexec_b32 s2, vcc_lo
	s_xor_b32 s2, exec_lo, s2
; %bb.17:
	v_bfe_u32 v83, v85, 16, 1
	s_delay_alu instid0(VALU_DEP_1)
	v_add3_u32 v83, v85, v83, 0x7fff
                                        ; implicit-def: $vgpr85
; %bb.18:
	s_and_not1_saveexec_b32 s2, s2
; %bb.19:
	v_and_b32_e32 v83, 0xffff, v85
	v_or_b32_e32 v90, 0x10000, v85
	s_delay_alu instid0(VALU_DEP_2) | instskip(NEXT) | instid1(VALU_DEP_2)
	v_cmp_eq_u32_e32 vcc_lo, 0, v83
	v_cndmask_b32_e32 v83, v90, v85, vcc_lo
; %bb.20:
	s_or_b32 exec_lo, exec_lo, s2
	v_and_b32_e32 v85, 0x7f800000, v86
	s_delay_alu instid0(VALU_DEP_1) | instskip(SKIP_1) | instid1(SALU_CYCLE_1)
	v_cmp_ne_u32_e32 vcc_lo, 0x7f800000, v85
                                        ; implicit-def: $vgpr85
	s_and_saveexec_b32 s2, vcc_lo
	s_xor_b32 s2, exec_lo, s2
; %bb.21:
	v_bfe_u32 v85, v86, 16, 1
	s_delay_alu instid0(VALU_DEP_1)
	v_add3_u32 v85, v86, v85, 0x7fff
                                        ; implicit-def: $vgpr86
; %bb.22:
	s_and_not1_saveexec_b32 s2, s2
; %bb.23:
	v_and_b32_e32 v85, 0xffff, v86
	v_or_b32_e32 v90, 0x10000, v86
	s_delay_alu instid0(VALU_DEP_2) | instskip(NEXT) | instid1(VALU_DEP_2)
	v_cmp_eq_u32_e32 vcc_lo, 0, v85
	v_cndmask_b32_e32 v85, v90, v86, vcc_lo
; %bb.24:
	s_or_b32 exec_lo, exec_lo, s2
	v_and_b32_e32 v86, 0x7f800000, v89
	s_delay_alu instid0(VALU_DEP_1) | instskip(SKIP_1) | instid1(SALU_CYCLE_1)
	v_cmp_ne_u32_e32 vcc_lo, 0x7f800000, v86
                                        ; implicit-def: $vgpr86
	s_and_saveexec_b32 s2, vcc_lo
	s_xor_b32 s2, exec_lo, s2
; %bb.25:
	v_bfe_u32 v86, v89, 16, 1
	s_delay_alu instid0(VALU_DEP_1)
	v_add3_u32 v86, v89, v86, 0x7fff
                                        ; implicit-def: $vgpr89
; %bb.26:
	s_and_not1_saveexec_b32 s2, s2
; %bb.27:
	v_and_b32_e32 v86, 0xffff, v89
	v_or_b32_e32 v90, 0x10000, v89
	s_delay_alu instid0(VALU_DEP_2) | instskip(NEXT) | instid1(VALU_DEP_2)
	v_cmp_eq_u32_e32 vcc_lo, 0, v86
	v_cndmask_b32_e32 v86, v90, v89, vcc_lo
; %bb.28:
	s_or_b32 exec_lo, exec_lo, s2
	v_and_b32_e32 v89, 0x7f800000, v88
	s_delay_alu instid0(VALU_DEP_1) | instskip(SKIP_1) | instid1(SALU_CYCLE_1)
	v_cmp_ne_u32_e32 vcc_lo, 0x7f800000, v89
                                        ; implicit-def: $vgpr89
	s_and_saveexec_b32 s2, vcc_lo
	s_xor_b32 s2, exec_lo, s2
; %bb.29:
	v_bfe_u32 v89, v88, 16, 1
	s_delay_alu instid0(VALU_DEP_1)
	v_add3_u32 v89, v88, v89, 0x7fff
                                        ; implicit-def: $vgpr88
; %bb.30:
	s_and_not1_saveexec_b32 s2, s2
; %bb.31:
	v_and_b32_e32 v89, 0xffff, v88
	v_or_b32_e32 v90, 0x10000, v88
	s_delay_alu instid0(VALU_DEP_2) | instskip(NEXT) | instid1(VALU_DEP_2)
	v_cmp_eq_u32_e32 vcc_lo, 0, v89
	v_cndmask_b32_e32 v89, v90, v88, vcc_lo
; %bb.32:
	s_or_b32 exec_lo, exec_lo, s2
	v_and_b32_e32 v88, 0x7f800000, v87
	s_delay_alu instid0(VALU_DEP_1) | instskip(SKIP_1) | instid1(SALU_CYCLE_1)
	v_cmp_ne_u32_e32 vcc_lo, 0x7f800000, v88
                                        ; implicit-def: $vgpr88
	s_and_saveexec_b32 s2, vcc_lo
	s_xor_b32 s2, exec_lo, s2
; %bb.33:
	v_bfe_u32 v88, v87, 16, 1
	s_delay_alu instid0(VALU_DEP_1)
	v_add3_u32 v88, v87, v88, 0x7fff
                                        ; implicit-def: $vgpr87
; %bb.34:
	s_and_not1_saveexec_b32 s2, s2
; %bb.35:
	v_and_b32_e32 v88, 0xffff, v87
	v_or_b32_e32 v90, 0x10000, v87
	s_delay_alu instid0(VALU_DEP_2) | instskip(NEXT) | instid1(VALU_DEP_2)
	v_cmp_eq_u32_e32 vcc_lo, 0, v88
	v_cndmask_b32_e32 v88, v90, v87, vcc_lo
; %bb.36:
	s_or_b32 exec_lo, exec_lo, s2
	v_and_b32_e32 v87, 0x7f800000, v84
	s_delay_alu instid0(VALU_DEP_1) | instskip(SKIP_1) | instid1(SALU_CYCLE_1)
	v_cmp_ne_u32_e32 vcc_lo, 0x7f800000, v87
                                        ; implicit-def: $vgpr87
	s_and_saveexec_b32 s2, vcc_lo
	s_xor_b32 s2, exec_lo, s2
; %bb.37:
	v_bfe_u32 v87, v84, 16, 1
	s_delay_alu instid0(VALU_DEP_1)
	v_add3_u32 v87, v84, v87, 0x7fff
                                        ; implicit-def: $vgpr84
; %bb.38:
	s_and_not1_saveexec_b32 s2, s2
; %bb.39:
	v_and_b32_e32 v87, 0xffff, v84
	v_or_b32_e32 v90, 0x10000, v84
	s_delay_alu instid0(VALU_DEP_2) | instskip(NEXT) | instid1(VALU_DEP_2)
	v_cmp_eq_u32_e32 vcc_lo, 0, v87
	v_cndmask_b32_e32 v87, v90, v84, vcc_lo
; %bb.40:
	s_or_b32 exec_lo, exec_lo, s2
	v_and_b32_e32 v84, 0x7f800000, v80
	s_delay_alu instid0(VALU_DEP_1) | instskip(SKIP_1) | instid1(SALU_CYCLE_1)
	v_cmp_ne_u32_e32 vcc_lo, 0x7f800000, v84
                                        ; implicit-def: $vgpr84
	s_and_saveexec_b32 s2, vcc_lo
	s_xor_b32 s2, exec_lo, s2
; %bb.41:
	v_bfe_u32 v84, v80, 16, 1
	s_delay_alu instid0(VALU_DEP_1)
	v_add3_u32 v84, v80, v84, 0x7fff
                                        ; implicit-def: $vgpr80
; %bb.42:
	s_and_not1_saveexec_b32 s2, s2
; %bb.43:
	v_and_b32_e32 v84, 0xffff, v80
	v_or_b32_e32 v90, 0x10000, v80
	s_delay_alu instid0(VALU_DEP_2) | instskip(NEXT) | instid1(VALU_DEP_2)
	v_cmp_eq_u32_e32 vcc_lo, 0, v84
	v_cndmask_b32_e32 v84, v90, v80, vcc_lo
; %bb.44:
	s_or_b32 exec_lo, exec_lo, s2
	s_load_b64 s[34:35], s[0:1], 0x94
	v_lshlrev_b32_e32 v91, 4, v74
	s_delay_alu instid0(VALU_DEP_2)
	v_perm_b32 v90, v84, v87, 0x7060302
	v_dual_mul_f32 v79, v82, v79 :: v_dual_lshlrev_b32 v80, 6, v65
	v_dual_mul_f32 v77, v82, v77 :: v_dual_lshlrev_b32 v92, 11, v66
	v_mul_f32_e32 v84, v82, v70
	v_perm_b32 v89, v88, v89, 0x7060302
	v_perm_b32 v88, v86, v85, 0x7060302
	;; [unrolled: 1-line block ×3, first 2 shown]
	v_mul_f32_e32 v70, v82, v81
	v_or3_b32 v76, v91, v92, v80
	v_dual_mul_f32 v78, v82, v78 :: v_dual_and_b32 v85, 0x7f800000, v84
	v_mul_f32_e32 v83, v82, v72
	v_mul_f32_e32 v81, v82, v71
	;; [unrolled: 1-line block ×3, first 2 shown]
	s_mov_b32 s2, exec_lo
	ds_store_b128 v76, v[87:90]
                                        ; implicit-def: $vgpr69
	v_cmpx_ne_u32_e32 0x7f800000, v85
	s_xor_b32 s2, exec_lo, s2
; %bb.45:
	v_bfe_u32 v69, v84, 16, 1
	s_delay_alu instid0(VALU_DEP_1)
	v_add3_u32 v69, v84, v69, 0x7fff
                                        ; implicit-def: $vgpr84
; %bb.46:
	s_and_not1_saveexec_b32 s2, s2
; %bb.47:
	v_and_b32_e32 v69, 0xffff, v84
	v_or_b32_e32 v71, 0x10000, v84
	s_delay_alu instid0(VALU_DEP_2) | instskip(NEXT) | instid1(VALU_DEP_2)
	v_cmp_eq_u32_e32 vcc_lo, 0, v69
	v_cndmask_b32_e32 v69, v71, v84, vcc_lo
; %bb.48:
	s_or_b32 exec_lo, exec_lo, s2
	v_and_b32_e32 v71, 0x7f800000, v72
	s_delay_alu instid0(VALU_DEP_1) | instskip(SKIP_1) | instid1(SALU_CYCLE_1)
	v_cmp_ne_u32_e32 vcc_lo, 0x7f800000, v71
                                        ; implicit-def: $vgpr71
	s_and_saveexec_b32 s2, vcc_lo
	s_xor_b32 s2, exec_lo, s2
; %bb.49:
	v_bfe_u32 v71, v72, 16, 1
	s_delay_alu instid0(VALU_DEP_1)
	v_add3_u32 v71, v72, v71, 0x7fff
                                        ; implicit-def: $vgpr72
; %bb.50:
	s_and_not1_saveexec_b32 s2, s2
; %bb.51:
	v_and_b32_e32 v71, 0xffff, v72
	v_or_b32_e32 v82, 0x10000, v72
	s_delay_alu instid0(VALU_DEP_2) | instskip(NEXT) | instid1(VALU_DEP_2)
	v_cmp_eq_u32_e32 vcc_lo, 0, v71
	v_cndmask_b32_e32 v71, v82, v72, vcc_lo
; %bb.52:
	s_or_b32 exec_lo, exec_lo, s2
	v_and_b32_e32 v72, 0x7f800000, v81
	s_delay_alu instid0(VALU_DEP_1) | instskip(SKIP_1) | instid1(SALU_CYCLE_1)
	v_cmp_ne_u32_e32 vcc_lo, 0x7f800000, v72
                                        ; implicit-def: $vgpr72
	s_and_saveexec_b32 s2, vcc_lo
	s_xor_b32 s2, exec_lo, s2
; %bb.53:
	v_bfe_u32 v72, v81, 16, 1
	s_delay_alu instid0(VALU_DEP_1)
	v_add3_u32 v72, v81, v72, 0x7fff
                                        ; implicit-def: $vgpr81
; %bb.54:
	s_and_not1_saveexec_b32 s2, s2
; %bb.55:
	v_and_b32_e32 v72, 0xffff, v81
	v_or_b32_e32 v82, 0x10000, v81
	s_delay_alu instid0(VALU_DEP_2) | instskip(NEXT) | instid1(VALU_DEP_2)
	v_cmp_eq_u32_e32 vcc_lo, 0, v72
	v_cndmask_b32_e32 v72, v82, v81, vcc_lo
; %bb.56:
	s_or_b32 exec_lo, exec_lo, s2
	v_and_b32_e32 v81, 0x7f800000, v83
	s_delay_alu instid0(VALU_DEP_1) | instskip(SKIP_1) | instid1(SALU_CYCLE_1)
	v_cmp_ne_u32_e32 vcc_lo, 0x7f800000, v81
                                        ; implicit-def: $vgpr81
	s_and_saveexec_b32 s2, vcc_lo
	s_xor_b32 s2, exec_lo, s2
; %bb.57:
	v_bfe_u32 v81, v83, 16, 1
	s_delay_alu instid0(VALU_DEP_1)
	v_add3_u32 v81, v83, v81, 0x7fff
                                        ; implicit-def: $vgpr83
; %bb.58:
	s_and_not1_saveexec_b32 s2, s2
; %bb.59:
	v_and_b32_e32 v81, 0xffff, v83
	v_or_b32_e32 v82, 0x10000, v83
	s_delay_alu instid0(VALU_DEP_2) | instskip(NEXT) | instid1(VALU_DEP_2)
	v_cmp_eq_u32_e32 vcc_lo, 0, v81
	v_cndmask_b32_e32 v81, v82, v83, vcc_lo
; %bb.60:
	s_or_b32 exec_lo, exec_lo, s2
	v_and_b32_e32 v82, 0x7f800000, v77
	s_delay_alu instid0(VALU_DEP_1) | instskip(SKIP_1) | instid1(SALU_CYCLE_1)
	v_cmp_ne_u32_e32 vcc_lo, 0x7f800000, v82
                                        ; implicit-def: $vgpr82
	s_and_saveexec_b32 s2, vcc_lo
	s_xor_b32 s2, exec_lo, s2
; %bb.61:
	v_bfe_u32 v82, v77, 16, 1
	s_delay_alu instid0(VALU_DEP_1)
	v_add3_u32 v82, v77, v82, 0x7fff
                                        ; implicit-def: $vgpr77
; %bb.62:
	s_and_not1_saveexec_b32 s2, s2
; %bb.63:
	v_and_b32_e32 v82, 0xffff, v77
	v_or_b32_e32 v83, 0x10000, v77
	s_delay_alu instid0(VALU_DEP_2) | instskip(NEXT) | instid1(VALU_DEP_2)
	v_cmp_eq_u32_e32 vcc_lo, 0, v82
	v_cndmask_b32_e32 v82, v83, v77, vcc_lo
; %bb.64:
	s_or_b32 exec_lo, exec_lo, s2
	v_and_b32_e32 v77, 0x7f800000, v78
	s_delay_alu instid0(VALU_DEP_1) | instskip(SKIP_1) | instid1(SALU_CYCLE_1)
	v_cmp_ne_u32_e32 vcc_lo, 0x7f800000, v77
                                        ; implicit-def: $vgpr77
	s_and_saveexec_b32 s2, vcc_lo
	s_xor_b32 s2, exec_lo, s2
; %bb.65:
	v_bfe_u32 v77, v78, 16, 1
	s_delay_alu instid0(VALU_DEP_1)
	v_add3_u32 v77, v78, v77, 0x7fff
                                        ; implicit-def: $vgpr78
; %bb.66:
	s_and_not1_saveexec_b32 s2, s2
; %bb.67:
	v_and_b32_e32 v77, 0xffff, v78
	v_or_b32_e32 v83, 0x10000, v78
	s_delay_alu instid0(VALU_DEP_2) | instskip(NEXT) | instid1(VALU_DEP_2)
	v_cmp_eq_u32_e32 vcc_lo, 0, v77
	v_cndmask_b32_e32 v77, v83, v78, vcc_lo
; %bb.68:
	s_or_b32 exec_lo, exec_lo, s2
	v_and_b32_e32 v78, 0x7f800000, v79
	s_delay_alu instid0(VALU_DEP_1) | instskip(SKIP_1) | instid1(SALU_CYCLE_1)
	v_cmp_ne_u32_e32 vcc_lo, 0x7f800000, v78
                                        ; implicit-def: $vgpr78
	s_and_saveexec_b32 s2, vcc_lo
	s_xor_b32 s2, exec_lo, s2
; %bb.69:
	v_bfe_u32 v78, v79, 16, 1
	s_delay_alu instid0(VALU_DEP_1)
	v_add3_u32 v78, v79, v78, 0x7fff
                                        ; implicit-def: $vgpr79
; %bb.70:
	s_and_not1_saveexec_b32 s2, s2
; %bb.71:
	v_and_b32_e32 v78, 0xffff, v79
	v_or_b32_e32 v83, 0x10000, v79
	s_delay_alu instid0(VALU_DEP_2) | instskip(NEXT) | instid1(VALU_DEP_2)
	v_cmp_eq_u32_e32 vcc_lo, 0, v78
	v_cndmask_b32_e32 v78, v83, v79, vcc_lo
; %bb.72:
	s_or_b32 exec_lo, exec_lo, s2
	v_and_b32_e32 v79, 0x7f800000, v70
	s_delay_alu instid0(VALU_DEP_1) | instskip(SKIP_1) | instid1(SALU_CYCLE_1)
	v_cmp_ne_u32_e32 vcc_lo, 0x7f800000, v79
                                        ; implicit-def: $vgpr79
	s_and_saveexec_b32 s2, vcc_lo
	s_xor_b32 s2, exec_lo, s2
; %bb.73:
	v_bfe_u32 v79, v70, 16, 1
	s_delay_alu instid0(VALU_DEP_1)
	v_add3_u32 v79, v70, v79, 0x7fff
                                        ; implicit-def: $vgpr70
; %bb.74:
	s_and_not1_saveexec_b32 s2, s2
; %bb.75:
	v_and_b32_e32 v79, 0xffff, v70
	v_or_b32_e32 v83, 0x10000, v70
	s_delay_alu instid0(VALU_DEP_2) | instskip(NEXT) | instid1(VALU_DEP_2)
	v_cmp_eq_u32_e32 vcc_lo, 0, v79
	v_cndmask_b32_e32 v79, v83, v70, vcc_lo
; %bb.76:
	s_or_b32 exec_lo, exec_lo, s2
	s_delay_alu instid0(VALU_DEP_1)
	v_perm_b32 v86, v79, v78, 0x7060302
	v_perm_b32 v85, v77, v82, 0x7060302
	;; [unrolled: 1-line block ×4, first 2 shown]
	v_lshl_or_b32 v82, v66, 11, v80
	ds_store_b128 v76, v[83:86] offset:1024
	s_waitcnt lgkmcnt(0)
	s_barrier
	buffer_gl0_inv
	ds_load_b128 v[69:72], v82
	ds_load_b128 v[83:86], v82 offset:16
	s_waitcnt lgkmcnt(1)
	v_lshrrev_b32_e32 v66, 16, v69
	s_waitcnt lgkmcnt(0)
	v_lshrrev_b32_e32 v91, 16, v83
	v_lshlrev_b32_e32 v78, 2, v74
	v_lshrrev_b32_e32 v95, 16, v70
	v_lshrrev_b32_e32 v98, 16, v84
	;; [unrolled: 1-line block ×4, first 2 shown]
	v_cmp_eq_u32_e32 vcc_lo, 1, v78
	v_lshrrev_b32_e32 v97, 16, v72
	v_lshrrev_b32_e32 v100, 16, v86
	v_cndmask_b32_e32 v87, v83, v91, vcc_lo
	v_or_b32_e32 v79, 1, v78
	v_cndmask_b32_e32 v81, v69, v66, vcc_lo
	v_cmp_eq_u32_e64 s3, 2, v78
	v_cmp_eq_u32_e64 s6, 3, v78
	;; [unrolled: 1-line block ×5, first 2 shown]
	v_cndmask_b32_e64 v81, v81, v70, s3
	v_cndmask_b32_e64 v87, v87, v84, s3
	v_cmp_eq_u32_e64 s7, 3, v79
	v_cndmask_b32_e64 v88, v69, v66, s2
	v_or_b32_e32 v77, 2, v78
	v_cndmask_b32_e64 v81, v81, v95, s6
	v_cndmask_b32_e64 v87, v87, v98, s6
	;; [unrolled: 1-line block ×4, first 2 shown]
	v_cmp_eq_u32_e64 s9, 5, v78
	v_cndmask_b32_e64 v81, v81, v71, s8
	v_cndmask_b32_e64 v87, v87, v85, s8
	v_cmp_eq_u32_e64 s10, 4, v79
	v_cndmask_b32_e64 v88, v88, v95, s7
	v_cmp_eq_u32_e64 s4, 1, v77
	v_cndmask_b32_e64 v89, v89, v84, s5
	v_cndmask_b32_e64 v81, v81, v96, s9
	v_cmp_eq_u32_e64 s11, 6, v78
	v_cndmask_b32_e64 v88, v88, v71, s10
	;; [unrolled: 3-line block ×3, first 2 shown]
	v_cndmask_b32_e64 v89, v89, v98, s7
	v_cndmask_b32_e64 v81, v81, v72, s11
	v_cmp_eq_u32_e64 s13, 7, v78
	v_cndmask_b32_e64 v88, v88, v96, s12
	v_cndmask_b32_e64 v87, v87, v86, s11
	v_cmp_eq_u32_e64 s15, 6, v79
	v_cmp_eq_u32_e64 s16, 2, v77
	v_cndmask_b32_e64 v89, v89, v85, s10
	v_cndmask_b32_e64 v101, v81, v97, s13
	;; [unrolled: 1-line block ×6, first 2 shown]
	v_cmp_eq_u32_e64 s17, 7, v79
	v_cmp_eq_u32_e64 s18, 3, v77
	;; [unrolled: 1-line block ×4, first 2 shown]
	v_cndmask_b32_e64 v87, v87, v84, s16
	v_cndmask_b32_e64 v103, v88, v97, s17
	;; [unrolled: 1-line block ×4, first 2 shown]
	v_or_b32_e32 v81, 3, v78
	v_cndmask_b32_e64 v93, v87, v98, s18
	v_cmp_eq_u32_e64 s23, 6, v77
	v_cndmask_b32_e64 v104, v88, v86, s15
	v_cndmask_b32_e64 v92, v89, v71, s19
	v_cmp_eq_u32_e64 s20, 1, v81
	ds_load_b128 v[87:90], v82 offset:1024
	v_cmp_eq_u32_e64 s22, 2, v81
	v_cmp_eq_u32_e64 s24, 3, v81
	v_cndmask_b32_e64 v105, v92, v96, s21
	v_cndmask_b32_e64 v66, v69, v66, s20
	;; [unrolled: 1-line block ×4, first 2 shown]
	ds_load_b128 v[91:94], v82 offset:1040
	v_cmp_eq_u32_e64 s25, 4, v81
	v_cndmask_b32_e64 v66, v66, v70, s22
	v_cmp_eq_u32_e64 s26, 7, v77
	v_cndmask_b32_e64 v70, v83, v84, s22
	v_cndmask_b32_e64 v84, v105, v72, s23
	v_cmp_eq_u32_e64 s27, 5, v81
	v_cndmask_b32_e64 v66, v66, v95, s24
	v_cmp_eq_u32_e64 s28, 6, v81
	v_cndmask_b32_e64 v70, v70, v98, s24
	v_cndmask_b32_e64 v69, v69, v99, s21
	;; [unrolled: 1-line block ×4, first 2 shown]
	s_waitcnt lgkmcnt(1)
	v_lshrrev_b32_e32 v95, 16, v87
	v_cndmask_b32_e64 v70, v70, v85, s25
	v_cndmask_b32_e64 v71, v84, v97, s26
	;; [unrolled: 1-line block ×4, first 2 shown]
	v_cndmask_b32_e32 v84, v87, v95, vcc_lo
	v_cndmask_b32_e64 v70, v70, v99, s27
	s_waitcnt lgkmcnt(0)
	v_lshrrev_b32_e32 v85, 16, v91
	v_lshrrev_b32_e32 v96, 16, v88
	v_cndmask_b32_e64 v98, v87, v95, s2
	v_cndmask_b32_e64 v84, v84, v88, s3
	v_cndmask_b32_e64 v70, v70, v86, s28
	v_cndmask_b32_e32 v99, v91, v85, vcc_lo
	v_cmp_eq_u32_e32 vcc_lo, 7, v81
	v_cndmask_b32_e64 v66, v66, v72, s28
	v_cndmask_b32_e64 v72, v84, v96, s6
	;; [unrolled: 1-line block ×3, first 2 shown]
	v_lshrrev_b32_e32 v98, 16, v92
	v_cndmask_b32_e32 v70, v70, v100, vcc_lo
	v_cndmask_b32_e64 v86, v99, v92, s3
	v_cndmask_b32_e64 v69, v69, v100, s26
	v_lshrrev_b32_e32 v100, 16, v93
	v_cndmask_b32_e64 v72, v72, v89, s8
	v_lshrrev_b32_e32 v99, 16, v89
	v_cndmask_b32_e64 v86, v86, v98, s6
	v_perm_b32 v71, v69, v71, 0x5040100
	v_cndmask_b32_e64 v84, v84, v96, s7
	s_delay_alu instid0(VALU_DEP_3) | instskip(NEXT) | instid1(VALU_DEP_2)
	v_cndmask_b32_e64 v86, v86, v93, s8
	v_cndmask_b32_e64 v84, v84, v89, s10
	s_delay_alu instid0(VALU_DEP_2) | instskip(NEXT) | instid1(VALU_DEP_1)
	v_cndmask_b32_e64 v86, v86, v100, s9
	v_cndmask_b32_e64 v69, v86, v94, s11
	;; [unrolled: 1-line block ×5, first 2 shown]
	s_delay_alu instid0(VALU_DEP_3) | instskip(NEXT) | instid1(VALU_DEP_3)
	v_cndmask_b32_e64 v86, v86, v88, s16
	v_cndmask_b32_e64 v87, v87, v88, s22
	s_delay_alu instid0(VALU_DEP_3) | instskip(NEXT) | instid1(VALU_DEP_3)
	v_cndmask_b32_e64 v88, v95, v92, s22
	v_cndmask_b32_e64 v86, v86, v96, s18
	;; [unrolled: 3-line block ×7, first 2 shown]
	s_delay_alu instid0(VALU_DEP_3) | instskip(SKIP_2) | instid1(VALU_DEP_2)
	v_cndmask_b32_e64 v88, v88, v94, s28
	v_cndmask_b32_e32 v66, v66, v97, vcc_lo
	v_cndmask_b32_e64 v97, v72, v99, s9
	v_perm_b32 v72, v70, v66, 0x5040100
	v_perm_b32 v70, v83, v103, 0x5040100
	v_cndmask_b32_e64 v103, v91, v85, s4
	v_cndmask_b32_e64 v85, v91, v85, s2
	;; [unrolled: 1-line block ×4, first 2 shown]
	v_lshrrev_b32_e32 v97, 16, v90
	v_cndmask_b32_e64 v91, v103, v92, s16
	v_cndmask_b32_e64 v85, v85, v92, s5
	;; [unrolled: 1-line block ×3, first 2 shown]
	s_mov_b32 s2, exec_lo
	v_cndmask_b32_e64 v83, v84, v97, s13
	v_cndmask_b32_e64 v91, v91, v98, s18
	;; [unrolled: 1-line block ×3, first 2 shown]
	v_lshrrev_b32_e32 v84, 16, v94
	v_cndmask_b32_e64 v66, v66, v97, s17
	v_cndmask_b32_e64 v90, v86, v97, s26
	v_cndmask_b32_e64 v89, v91, v93, s19
	v_cndmask_b32_e64 v85, v85, v93, s10
	v_dual_cndmask_b32 v86, v87, v97 :: v_dual_cndmask_b32 v87, v88, v84
	v_cndmask_b32_e64 v91, v69, v84, s13
	s_delay_alu instid0(VALU_DEP_4) | instskip(NEXT) | instid1(VALU_DEP_4)
	v_cndmask_b32_e64 v89, v89, v100, s21
	v_cndmask_b32_e64 v85, v85, v100, s12
	v_perm_b32 v69, v102, v101, 0x5040100
	v_perm_b32 v86, v87, v86, 0x5040100
	;; [unrolled: 1-line block ×3, first 2 shown]
	v_cndmask_b32_e64 v89, v89, v94, s23
	v_cndmask_b32_e64 v85, v85, v94, s15
	s_mul_i32 s7, s35, 6
	s_delay_alu instid0(VALU_DEP_2) | instskip(NEXT) | instid1(VALU_DEP_2)
	v_cndmask_b32_e64 v88, v89, v84, s26
	v_cndmask_b32_e64 v89, v85, v84, s17
	s_delay_alu instid0(VALU_DEP_2) | instskip(NEXT) | instid1(VALU_DEP_2)
	v_perm_b32 v85, v88, v90, 0x5040100
	v_perm_b32 v84, v89, v66, 0x5040100
	ds_store_b128 v76, v[69:72]
	ds_store_b128 v76, v[83:86] offset:1024
	v_cmpx_gt_u32_e32 6, v0
	s_cbranch_execz .LBB1859_78
; %bb.77:
	s_mul_i32 s3, s7, s30
	s_load_b128 s[8:11], s[0:1], 0x58
	v_add3_u32 v69, s3, s29, v65
	s_delay_alu instid0(VALU_DEP_1) | instskip(NEXT) | instid1(VALU_DEP_1)
	v_mad_u64_u32 v[65:66], null, v69, s34, s[14:15]
	v_ashrrev_i32_e32 v66, 31, v65
	s_delay_alu instid0(VALU_DEP_1) | instskip(SKIP_1) | instid1(VALU_DEP_1)
	v_lshlrev_b64 v[65:66], 2, v[65:66]
	s_waitcnt lgkmcnt(0)
	v_add_co_u32 v69, vcc_lo, s10, v65
	s_delay_alu instid0(VALU_DEP_2)
	v_add_co_ci_u32_e32 v70, vcc_lo, s11, v66, vcc_lo
	v_add_co_u32 v65, vcc_lo, s8, v65
	v_add_co_ci_u32_e32 v66, vcc_lo, s9, v66, vcc_lo
	global_store_b32 v[69:70], v67, off
	global_store_b32 v[65:66], v68, off
.LBB1859_78:
	s_or_b32 exec_lo, exec_lo, s2
	s_waitcnt lgkmcnt(0)
	s_waitcnt_vscnt null, 0x0
	s_barrier
	buffer_gl0_inv
	ds_load_b128 v[83:86], v80
	ds_load_b128 v[87:90], v80 offset:16
	ds_load_b128 v[95:98], v80 offset:2064
	;; [unrolled: 1-line block ×3, first 2 shown]
	v_mov_b32_e32 v65, 0
	ds_load_b128 v[103:106], v80 offset:4112
	ds_load_b128 v[99:102], v80 offset:4096
	;; [unrolled: 1-line block ×4, first 2 shown]
	v_mov_b32_e32 v66, v65
	v_mov_b32_e32 v67, v65
	;; [unrolled: 1-line block ×7, first 2 shown]
	s_waitcnt lgkmcnt(6)
	s_delay_alu instid0(VALU_DEP_1)
	v_wmma_f32_16x16x16_bf16 v[65:72], v[41:48], v[83:90], v[65:72]
	ds_load_b128 v[45:48], v80 offset:8208
	ds_load_b128 v[41:44], v80 offset:8192
	s_waitcnt lgkmcnt(6)
	v_wmma_f32_16x16x16_bf16 v[65:72], v[33:40], v[91:98], v[65:72]
	ds_load_b128 v[37:40], v80 offset:10256
	ds_load_b128 v[33:36], v80 offset:10240
	s_waitcnt lgkmcnt(6)
	;; [unrolled: 4-line block ×4, first 2 shown]
	v_wmma_f32_16x16x16_bf16 v[65:72], v[1:8], v[41:48], v[65:72]
	s_waitcnt lgkmcnt(4)
	s_delay_alu instid0(VALU_DEP_1) | instskip(SKIP_1) | instid1(VALU_DEP_1)
	v_wmma_f32_16x16x16_bf16 v[65:72], v[9:16], v[33:40], v[65:72]
	s_waitcnt lgkmcnt(2)
	v_wmma_f32_16x16x16_bf16 v[65:72], v[57:64], v[25:32], v[65:72]
	s_waitcnt lgkmcnt(0)
	s_delay_alu instid0(VALU_DEP_1) | instskip(NEXT) | instid1(VALU_DEP_1)
	v_wmma_f32_16x16x16_bf16 v[65:72], v[49:56], v[17:24], v[65:72]
	v_and_b32_e32 v1, 0x7f800000, v65
	s_delay_alu instid0(VALU_DEP_1) | instskip(SKIP_1) | instid1(SALU_CYCLE_1)
	v_cmp_ne_u32_e32 vcc_lo, 0x7f800000, v1
                                        ; implicit-def: $vgpr1
	s_and_saveexec_b32 s2, vcc_lo
	s_xor_b32 s2, exec_lo, s2
; %bb.79:
	v_bfe_u32 v1, v65, 16, 1
	s_delay_alu instid0(VALU_DEP_1)
	v_add3_u32 v1, v65, v1, 0x7fff
; %bb.80:
	s_and_not1_saveexec_b32 s2, s2
; %bb.81:
	v_and_b32_e32 v1, 0xffff, v65
	v_or_b32_e32 v2, 0x10000, v65
	s_delay_alu instid0(VALU_DEP_2) | instskip(NEXT) | instid1(VALU_DEP_2)
	v_cmp_eq_u32_e32 vcc_lo, 0, v1
	v_cndmask_b32_e32 v1, v2, v65, vcc_lo
; %bb.82:
	s_or_b32 exec_lo, exec_lo, s2
	v_and_b32_e32 v2, 0x7f800000, v66
	s_delay_alu instid0(VALU_DEP_1) | instskip(SKIP_1) | instid1(SALU_CYCLE_1)
	v_cmp_ne_u32_e32 vcc_lo, 0x7f800000, v2
                                        ; implicit-def: $vgpr2
	s_and_saveexec_b32 s2, vcc_lo
	s_xor_b32 s2, exec_lo, s2
; %bb.83:
	v_bfe_u32 v2, v66, 16, 1
	s_delay_alu instid0(VALU_DEP_1)
	v_add3_u32 v2, v66, v2, 0x7fff
; %bb.84:
	s_and_not1_saveexec_b32 s2, s2
; %bb.85:
	v_and_b32_e32 v2, 0xffff, v66
	v_or_b32_e32 v3, 0x10000, v66
	s_delay_alu instid0(VALU_DEP_2) | instskip(NEXT) | instid1(VALU_DEP_2)
	v_cmp_eq_u32_e32 vcc_lo, 0, v2
	v_cndmask_b32_e32 v2, v3, v66, vcc_lo
; %bb.86:
	s_or_b32 exec_lo, exec_lo, s2
	v_and_b32_e32 v3, 0x7f800000, v67
	s_delay_alu instid0(VALU_DEP_1) | instskip(SKIP_1) | instid1(SALU_CYCLE_1)
	v_cmp_ne_u32_e32 vcc_lo, 0x7f800000, v3
                                        ; implicit-def: $vgpr3
	s_and_saveexec_b32 s2, vcc_lo
	s_xor_b32 s2, exec_lo, s2
; %bb.87:
	v_bfe_u32 v3, v67, 16, 1
	s_delay_alu instid0(VALU_DEP_1)
	v_add3_u32 v3, v67, v3, 0x7fff
; %bb.88:
	s_and_not1_saveexec_b32 s2, s2
; %bb.89:
	v_and_b32_e32 v3, 0xffff, v67
	v_or_b32_e32 v4, 0x10000, v67
	s_delay_alu instid0(VALU_DEP_2) | instskip(NEXT) | instid1(VALU_DEP_2)
	v_cmp_eq_u32_e32 vcc_lo, 0, v3
	v_cndmask_b32_e32 v3, v4, v67, vcc_lo
; %bb.90:
	s_or_b32 exec_lo, exec_lo, s2
	v_and_b32_e32 v4, 0x7f800000, v68
	s_delay_alu instid0(VALU_DEP_1) | instskip(SKIP_1) | instid1(SALU_CYCLE_1)
	v_cmp_ne_u32_e32 vcc_lo, 0x7f800000, v4
                                        ; implicit-def: $vgpr4
	s_and_saveexec_b32 s2, vcc_lo
	s_xor_b32 s2, exec_lo, s2
; %bb.91:
	v_bfe_u32 v4, v68, 16, 1
	s_delay_alu instid0(VALU_DEP_1)
	v_add3_u32 v4, v68, v4, 0x7fff
; %bb.92:
	s_and_not1_saveexec_b32 s2, s2
; %bb.93:
	v_and_b32_e32 v4, 0xffff, v68
	v_or_b32_e32 v5, 0x10000, v68
	s_delay_alu instid0(VALU_DEP_2) | instskip(NEXT) | instid1(VALU_DEP_2)
	v_cmp_eq_u32_e32 vcc_lo, 0, v4
	v_cndmask_b32_e32 v4, v5, v68, vcc_lo
; %bb.94:
	s_or_b32 exec_lo, exec_lo, s2
	v_and_b32_e32 v5, 0x7f800000, v69
	s_delay_alu instid0(VALU_DEP_1) | instskip(SKIP_1) | instid1(SALU_CYCLE_1)
	v_cmp_ne_u32_e32 vcc_lo, 0x7f800000, v5
                                        ; implicit-def: $vgpr5
	s_and_saveexec_b32 s2, vcc_lo
	s_xor_b32 s2, exec_lo, s2
; %bb.95:
	v_bfe_u32 v5, v69, 16, 1
	s_delay_alu instid0(VALU_DEP_1)
	v_add3_u32 v5, v69, v5, 0x7fff
; %bb.96:
	s_and_not1_saveexec_b32 s2, s2
; %bb.97:
	v_and_b32_e32 v5, 0xffff, v69
	v_or_b32_e32 v6, 0x10000, v69
	s_delay_alu instid0(VALU_DEP_2) | instskip(NEXT) | instid1(VALU_DEP_2)
	v_cmp_eq_u32_e32 vcc_lo, 0, v5
	v_cndmask_b32_e32 v5, v6, v69, vcc_lo
; %bb.98:
	s_or_b32 exec_lo, exec_lo, s2
	v_and_b32_e32 v6, 0x7f800000, v70
	s_delay_alu instid0(VALU_DEP_1) | instskip(SKIP_1) | instid1(SALU_CYCLE_1)
	v_cmp_ne_u32_e32 vcc_lo, 0x7f800000, v6
                                        ; implicit-def: $vgpr6
	s_and_saveexec_b32 s2, vcc_lo
	s_xor_b32 s2, exec_lo, s2
; %bb.99:
	v_bfe_u32 v6, v70, 16, 1
	s_delay_alu instid0(VALU_DEP_1)
	v_add3_u32 v6, v70, v6, 0x7fff
; %bb.100:
	s_and_not1_saveexec_b32 s2, s2
; %bb.101:
	v_and_b32_e32 v6, 0xffff, v70
	v_or_b32_e32 v7, 0x10000, v70
	s_delay_alu instid0(VALU_DEP_2) | instskip(NEXT) | instid1(VALU_DEP_2)
	v_cmp_eq_u32_e32 vcc_lo, 0, v6
	v_cndmask_b32_e32 v6, v7, v70, vcc_lo
; %bb.102:
	s_or_b32 exec_lo, exec_lo, s2
	v_and_b32_e32 v7, 0x7f800000, v71
	s_delay_alu instid0(VALU_DEP_1) | instskip(SKIP_1) | instid1(SALU_CYCLE_1)
	v_cmp_ne_u32_e32 vcc_lo, 0x7f800000, v7
                                        ; implicit-def: $vgpr7
	s_and_saveexec_b32 s2, vcc_lo
	s_xor_b32 s2, exec_lo, s2
; %bb.103:
	v_bfe_u32 v7, v71, 16, 1
	s_delay_alu instid0(VALU_DEP_1)
	v_add3_u32 v7, v71, v7, 0x7fff
; %bb.104:
	s_and_not1_saveexec_b32 s2, s2
; %bb.105:
	v_and_b32_e32 v7, 0xffff, v71
	v_or_b32_e32 v8, 0x10000, v71
	s_delay_alu instid0(VALU_DEP_2) | instskip(NEXT) | instid1(VALU_DEP_2)
	v_cmp_eq_u32_e32 vcc_lo, 0, v7
	v_cndmask_b32_e32 v7, v8, v71, vcc_lo
; %bb.106:
	s_or_b32 exec_lo, exec_lo, s2
	v_and_b32_e32 v8, 0x7f800000, v72
	s_delay_alu instid0(VALU_DEP_1) | instskip(SKIP_1) | instid1(SALU_CYCLE_1)
	v_cmp_ne_u32_e32 vcc_lo, 0x7f800000, v8
                                        ; implicit-def: $vgpr8
	s_and_saveexec_b32 s2, vcc_lo
	s_xor_b32 s2, exec_lo, s2
; %bb.107:
	v_bfe_u32 v8, v72, 16, 1
	s_delay_alu instid0(VALU_DEP_1)
	v_add3_u32 v8, v72, v8, 0x7fff
                                        ; implicit-def: $vgpr65_vgpr66_vgpr67_vgpr68_vgpr69_vgpr70_vgpr71_vgpr72
; %bb.108:
	s_and_not1_saveexec_b32 s2, s2
; %bb.109:
	v_and_b32_e32 v8, 0xffff, v72
	v_or_b32_e32 v9, 0x10000, v72
	s_delay_alu instid0(VALU_DEP_2) | instskip(NEXT) | instid1(VALU_DEP_2)
	v_cmp_eq_u32_e32 vcc_lo, 0, v8
	v_cndmask_b32_e32 v8, v9, v72, vcc_lo
; %bb.110:
	s_or_b32 exec_lo, exec_lo, s2
	s_delay_alu instid0(VALU_DEP_1)
	v_perm_b32 v7, v8, v7, 0x7060302
	v_perm_b32 v6, v6, v5, 0x7060302
	;; [unrolled: 1-line block ×4, first 2 shown]
	s_barrier
	buffer_gl0_inv
	v_cmp_eq_u32_e32 vcc_lo, 1, v78
	ds_store_b128 v76, v[4:7]
	s_waitcnt lgkmcnt(0)
	s_barrier
	buffer_gl0_inv
	ds_load_b128 v[1:4], v82
	ds_load_b128 v[5:8], v82 offset:16
	v_cmp_eq_u32_e64 s2, 1, v79
	v_cmp_eq_u32_e64 s3, 2, v78
	;; [unrolled: 1-line block ×5, first 2 shown]
	s_waitcnt lgkmcnt(1)
	v_lshrrev_b32_e32 v9, 16, v1
	s_waitcnt lgkmcnt(0)
	v_lshrrev_b32_e32 v13, 16, v5
	v_lshrrev_b32_e32 v10, 16, v2
	;; [unrolled: 1-line block ×4, first 2 shown]
	v_cndmask_b32_e64 v19, v1, v9, s2
	v_cndmask_b32_e32 v18, v5, v13, vcc_lo
	v_cndmask_b32_e64 v20, v5, v13, s2
	v_cndmask_b32_e32 v17, v1, v9, vcc_lo
	v_cmp_eq_u32_e32 vcc_lo, 2, v79
	v_lshrrev_b32_e32 v15, 16, v7
	v_cmp_eq_u32_e64 s2, 1, v77
	v_lshrrev_b32_e32 v12, 16, v4
	v_lshrrev_b32_e32 v16, 16, v8
	v_cndmask_b32_e32 v20, v20, v6, vcc_lo
	v_cndmask_b32_e64 v17, v17, v2, s3
	v_cndmask_b32_e32 v19, v19, v2, vcc_lo
	v_cndmask_b32_e64 v18, v18, v6, s3
	v_cmp_eq_u32_e32 vcc_lo, 4, v78
	v_cmp_eq_u32_e64 s3, 3, v79
	v_cndmask_b32_e64 v17, v17, v10, s4
	v_cndmask_b32_e64 v21, v1, v9, s2
	v_cndmask_b32_e64 v18, v18, v14, s4
	v_cndmask_b32_e64 v22, v5, v13, s2
	v_cndmask_b32_e64 v19, v19, v10, s3
	v_cndmask_b32_e32 v17, v17, v3, vcc_lo
	v_cndmask_b32_e64 v20, v20, v14, s3
	v_cndmask_b32_e32 v18, v18, v7, vcc_lo
	v_cmp_eq_u32_e32 vcc_lo, 4, v79
	v_cmp_eq_u32_e64 s3, 5, v79
	v_cmp_eq_u32_e64 s2, 2, v81
	v_cndmask_b32_e64 v21, v21, v2, s6
	v_cmp_eq_u32_e64 s4, 5, v78
	v_cndmask_b32_e32 v19, v19, v3, vcc_lo
	v_cndmask_b32_e32 v20, v20, v7, vcc_lo
	v_cmp_eq_u32_e32 vcc_lo, 6, v79
	s_delay_alu instid0(VALU_DEP_4) | instskip(NEXT) | instid1(VALU_DEP_4)
	v_cndmask_b32_e64 v17, v17, v11, s4
	v_cndmask_b32_e64 v19, v19, v11, s3
	s_delay_alu instid0(VALU_DEP_4) | instskip(SKIP_1) | instid1(VALU_DEP_3)
	v_cndmask_b32_e64 v20, v20, v15, s3
	v_cmp_eq_u32_e64 s3, 1, v81
	v_cndmask_b32_e32 v19, v19, v4, vcc_lo
	v_cndmask_b32_e64 v18, v18, v15, s4
	s_delay_alu instid0(VALU_DEP_3)
	v_cndmask_b32_e64 v1, v1, v9, s3
	v_cndmask_b32_e64 v5, v5, v13, s3
	v_cmp_eq_u32_e64 s3, 3, v77
	v_cndmask_b32_e64 v13, v22, v6, s6
	v_cmp_eq_u32_e64 s6, 3, v81
	v_cndmask_b32_e64 v1, v1, v2, s2
	v_cndmask_b32_e64 v2, v5, v6, s2
	;; [unrolled: 1-line block ×3, first 2 shown]
	v_cmp_eq_u32_e64 s2, 4, v77
	v_cndmask_b32_e64 v6, v13, v14, s3
	v_cndmask_b32_e64 v1, v1, v10, s6
	v_cmp_eq_u32_e64 s3, 4, v81
	v_cndmask_b32_e64 v2, v2, v14, s6
	v_cndmask_b32_e64 v5, v9, v3, s2
	;; [unrolled: 3-line block ×3, first 2 shown]
	v_cndmask_b32_e64 v2, v2, v7, s3
	v_cmp_eq_u32_e64 s2, 5, v81
	v_cmp_eq_u32_e64 s4, 6, v78
	v_cndmask_b32_e64 v5, v5, v11, s6
	v_cmp_eq_u32_e64 s3, 6, v77
	v_cndmask_b32_e64 v3, v6, v15, s6
	v_cndmask_b32_e64 v1, v1, v11, s2
	v_cmp_eq_u32_e64 s6, 6, v81
	v_cndmask_b32_e64 v2, v2, v15, s2
	v_cndmask_b32_e64 v17, v17, v4, s4
	v_cndmask_b32_e64 v18, v18, v8, s4
	v_cmp_eq_u32_e64 s4, 7, v78
	v_cndmask_b32_e64 v5, v5, v4, s3
	v_cndmask_b32_e64 v3, v3, v8, s3
	v_cndmask_b32_e64 v1, v1, v4, s6
	v_cmp_eq_u32_e64 s2, 7, v81
	v_cndmask_b32_e64 v2, v2, v8, s6
	v_cmp_eq_u32_e64 s3, 7, v77
	v_cndmask_b32_e32 v4, v20, v8, vcc_lo
	v_cndmask_b32_e64 v17, v17, v12, s4
	v_cndmask_b32_e64 v19, v19, v12, s5
	;; [unrolled: 1-line block ×8, first 2 shown]
	s_mov_b32 s2, exec_lo
	v_perm_b32 v4, v2, v1, 0x5040100
	v_perm_b32 v3, v3, v5, 0x5040100
	;; [unrolled: 1-line block ×4, first 2 shown]
	ds_store_b128 v76, v[1:4]
	s_waitcnt lgkmcnt(0)
	s_barrier
	buffer_gl0_inv
	v_cmpx_gt_u32_e32 32, v0
	s_cbranch_execz .LBB1859_2
; %bb.111:
	s_load_b64 s[0:1], s[0:1], 0x68
	s_lshl_b32 s4, s34, 7
	v_or_b32_e32 v3, s29, v74
	s_mul_i32 s2, s4, s30
	v_lshlrev_b32_e32 v0, 10, v0
	s_mul_i32 s2, s2, s7
	v_lshlrev_b32_e32 v1, 4, v75
	s_ashr_i32 s3, s2, 31
	v_mul_lo_u32 v12, v3, s4
	s_lshl_b64 s[2:3], s[2:3], 1
	v_lshlrev_b32_e32 v2, 6, v74
	v_and_b32_e32 v0, 0x3800, v0
	s_delay_alu instid0(VALU_DEP_1) | instskip(NEXT) | instid1(VALU_DEP_4)
	v_or3_b32 v8, v0, v1, v2
	v_ashrrev_i32_e32 v13, 31, v12
	ds_load_b128 v[0:3], v8
	ds_load_b128 v[4:7], v8 offset:128
	ds_load_b128 v[8:11], v8 offset:256
	s_waitcnt lgkmcnt(0)
	s_add_u32 s2, s0, s2
	s_addc_u32 s3, s1, s3
	s_lshl_b32 s0, s14, 7
	s_delay_alu instid0(SALU_CYCLE_1) | instskip(NEXT) | instid1(SALU_CYCLE_1)
	s_ashr_i32 s1, s0, 31
	s_lshl_b64 s[0:1], s[0:1], 1
	s_delay_alu instid0(SALU_CYCLE_1)
	s_add_u32 s0, s2, s0
	s_addc_u32 s1, s3, s1
	s_lshl_b32 s2, s34, 8
	v_add_co_u32 v18, s0, s0, v73
	v_add_nc_u32_e32 v14, s2, v12
	v_lshlrev_b64 v[12:13], 1, v[12:13]
	v_add_co_ci_u32_e64 v19, null, s1, 0, s0
	s_delay_alu instid0(VALU_DEP_3) | instskip(SKIP_1) | instid1(VALU_DEP_4)
	v_add_nc_u32_e32 v16, s2, v14
	v_ashrrev_i32_e32 v15, 31, v14
	v_add_co_u32 v12, vcc_lo, v18, v12
	s_delay_alu instid0(VALU_DEP_4) | instskip(NEXT) | instid1(VALU_DEP_4)
	v_add_co_ci_u32_e32 v13, vcc_lo, v19, v13, vcc_lo
	v_ashrrev_i32_e32 v17, 31, v16
	s_delay_alu instid0(VALU_DEP_4) | instskip(NEXT) | instid1(VALU_DEP_2)
	v_lshlrev_b64 v[14:15], 1, v[14:15]
	v_lshlrev_b64 v[16:17], 1, v[16:17]
	s_delay_alu instid0(VALU_DEP_2) | instskip(NEXT) | instid1(VALU_DEP_3)
	v_add_co_u32 v14, vcc_lo, v18, v14
	v_add_co_ci_u32_e32 v15, vcc_lo, v19, v15, vcc_lo
	s_delay_alu instid0(VALU_DEP_3) | instskip(NEXT) | instid1(VALU_DEP_4)
	v_add_co_u32 v16, vcc_lo, v18, v16
	v_add_co_ci_u32_e32 v17, vcc_lo, v19, v17, vcc_lo
	s_clause 0x2
	global_store_b128 v[12:13], v[0:3], off
	global_store_b128 v[14:15], v[4:7], off
	;; [unrolled: 1-line block ×3, first 2 shown]
	s_nop 0
	s_sendmsg sendmsg(MSG_DEALLOC_VGPRS)
	s_endpgm
	.section	.rodata,"a",@progbits
	.p2align	6, 0x0
	.amdhsa_kernel _Z39paged_attention_ll4mi_QKV_mfma16_kernelI14__hip_bfloat16hLN4vllm18Fp8KVCacheDataTypeE1EhLi32ELi128ELi256ELb1ELi6EL8MFMAType0EEvPKT_PKT0_S9_ifPKiSB_SB_iPKfiiiPfSE_PS4_PT2_iSD_SD_
		.amdhsa_group_segment_fixed_size 17472
		.amdhsa_private_segment_fixed_size 0
		.amdhsa_kernarg_size 400
		.amdhsa_user_sgpr_count 13
		.amdhsa_user_sgpr_dispatch_ptr 0
		.amdhsa_user_sgpr_queue_ptr 0
		.amdhsa_user_sgpr_kernarg_segment_ptr 1
		.amdhsa_user_sgpr_dispatch_id 0
		.amdhsa_user_sgpr_private_segment_size 0
		.amdhsa_wavefront_size32 1
		.amdhsa_uses_dynamic_stack 0
		.amdhsa_enable_private_segment 0
		.amdhsa_system_sgpr_workgroup_id_x 1
		.amdhsa_system_sgpr_workgroup_id_y 1
		.amdhsa_system_sgpr_workgroup_id_z 1
		.amdhsa_system_sgpr_workgroup_info 0
		.amdhsa_system_vgpr_workitem_id 0
		.amdhsa_next_free_vgpr 140
		.amdhsa_next_free_sgpr 36
		.amdhsa_reserve_vcc 1
		.amdhsa_float_round_mode_32 0
		.amdhsa_float_round_mode_16_64 0
		.amdhsa_float_denorm_mode_32 3
		.amdhsa_float_denorm_mode_16_64 3
		.amdhsa_dx10_clamp 1
		.amdhsa_ieee_mode 1
		.amdhsa_fp16_overflow 0
		.amdhsa_workgroup_processor_mode 1
		.amdhsa_memory_ordered 1
		.amdhsa_forward_progress 0
		.amdhsa_shared_vgpr_count 0
		.amdhsa_exception_fp_ieee_invalid_op 0
		.amdhsa_exception_fp_denorm_src 0
		.amdhsa_exception_fp_ieee_div_zero 0
		.amdhsa_exception_fp_ieee_overflow 0
		.amdhsa_exception_fp_ieee_underflow 0
		.amdhsa_exception_fp_ieee_inexact 0
		.amdhsa_exception_int_div_zero 0
	.end_amdhsa_kernel
	.section	.text._Z39paged_attention_ll4mi_QKV_mfma16_kernelI14__hip_bfloat16hLN4vllm18Fp8KVCacheDataTypeE1EhLi32ELi128ELi256ELb1ELi6EL8MFMAType0EEvPKT_PKT0_S9_ifPKiSB_SB_iPKfiiiPfSE_PS4_PT2_iSD_SD_,"axG",@progbits,_Z39paged_attention_ll4mi_QKV_mfma16_kernelI14__hip_bfloat16hLN4vllm18Fp8KVCacheDataTypeE1EhLi32ELi128ELi256ELb1ELi6EL8MFMAType0EEvPKT_PKT0_S9_ifPKiSB_SB_iPKfiiiPfSE_PS4_PT2_iSD_SD_,comdat
.Lfunc_end1859:
	.size	_Z39paged_attention_ll4mi_QKV_mfma16_kernelI14__hip_bfloat16hLN4vllm18Fp8KVCacheDataTypeE1EhLi32ELi128ELi256ELb1ELi6EL8MFMAType0EEvPKT_PKT0_S9_ifPKiSB_SB_iPKfiiiPfSE_PS4_PT2_iSD_SD_, .Lfunc_end1859-_Z39paged_attention_ll4mi_QKV_mfma16_kernelI14__hip_bfloat16hLN4vllm18Fp8KVCacheDataTypeE1EhLi32ELi128ELi256ELb1ELi6EL8MFMAType0EEvPKT_PKT0_S9_ifPKiSB_SB_iPKfiiiPfSE_PS4_PT2_iSD_SD_
                                        ; -- End function
	.section	.AMDGPU.csdata,"",@progbits
; Kernel info:
; codeLenInByte = 8896
; NumSgprs: 38
; NumVgprs: 140
; ScratchSize: 0
; MemoryBound: 0
; FloatMode: 240
; IeeeMode: 1
; LDSByteSize: 17472 bytes/workgroup (compile time only)
; SGPRBlocks: 4
; VGPRBlocks: 17
; NumSGPRsForWavesPerEU: 38
; NumVGPRsForWavesPerEU: 140
; Occupancy: 10
; WaveLimiterHint : 1
; COMPUTE_PGM_RSRC2:SCRATCH_EN: 0
; COMPUTE_PGM_RSRC2:USER_SGPR: 13
; COMPUTE_PGM_RSRC2:TRAP_HANDLER: 0
; COMPUTE_PGM_RSRC2:TGID_X_EN: 1
; COMPUTE_PGM_RSRC2:TGID_Y_EN: 1
; COMPUTE_PGM_RSRC2:TGID_Z_EN: 1
; COMPUTE_PGM_RSRC2:TIDIG_COMP_CNT: 0
	.section	.text._Z39paged_attention_ll4mi_QKV_mfma16_kernelI14__hip_bfloat16hLN4vllm18Fp8KVCacheDataTypeE1EhLi32ELi128ELi256ELb1ELi7EL8MFMAType0EEvPKT_PKT0_S9_ifPKiSB_SB_iPKfiiiPfSE_PS4_PT2_iSD_SD_,"axG",@progbits,_Z39paged_attention_ll4mi_QKV_mfma16_kernelI14__hip_bfloat16hLN4vllm18Fp8KVCacheDataTypeE1EhLi32ELi128ELi256ELb1ELi7EL8MFMAType0EEvPKT_PKT0_S9_ifPKiSB_SB_iPKfiiiPfSE_PS4_PT2_iSD_SD_,comdat
	.protected	_Z39paged_attention_ll4mi_QKV_mfma16_kernelI14__hip_bfloat16hLN4vllm18Fp8KVCacheDataTypeE1EhLi32ELi128ELi256ELb1ELi7EL8MFMAType0EEvPKT_PKT0_S9_ifPKiSB_SB_iPKfiiiPfSE_PS4_PT2_iSD_SD_ ; -- Begin function _Z39paged_attention_ll4mi_QKV_mfma16_kernelI14__hip_bfloat16hLN4vllm18Fp8KVCacheDataTypeE1EhLi32ELi128ELi256ELb1ELi7EL8MFMAType0EEvPKT_PKT0_S9_ifPKiSB_SB_iPKfiiiPfSE_PS4_PT2_iSD_SD_
	.globl	_Z39paged_attention_ll4mi_QKV_mfma16_kernelI14__hip_bfloat16hLN4vllm18Fp8KVCacheDataTypeE1EhLi32ELi128ELi256ELb1ELi7EL8MFMAType0EEvPKT_PKT0_S9_ifPKiSB_SB_iPKfiiiPfSE_PS4_PT2_iSD_SD_
	.p2align	8
	.type	_Z39paged_attention_ll4mi_QKV_mfma16_kernelI14__hip_bfloat16hLN4vllm18Fp8KVCacheDataTypeE1EhLi32ELi128ELi256ELb1ELi7EL8MFMAType0EEvPKT_PKT0_S9_ifPKiSB_SB_iPKfiiiPfSE_PS4_PT2_iSD_SD_,@function
_Z39paged_attention_ll4mi_QKV_mfma16_kernelI14__hip_bfloat16hLN4vllm18Fp8KVCacheDataTypeE1EhLi32ELi128ELi256ELb1ELi7EL8MFMAType0EEvPKT_PKT0_S9_ifPKiSB_SB_iPKfiiiPfSE_PS4_PT2_iSD_SD_: ; @_Z39paged_attention_ll4mi_QKV_mfma16_kernelI14__hip_bfloat16hLN4vllm18Fp8KVCacheDataTypeE1EhLi32ELi128ELi256ELb1ELi7EL8MFMAType0EEvPKT_PKT0_S9_ifPKiSB_SB_iPKfiiiPfSE_PS4_PT2_iSD_SD_
; %bb.0:
	s_load_b64 s[4:5], s[0:1], 0x30
	s_mov_b32 s30, s13
	s_waitcnt lgkmcnt(0)
	s_cmp_lg_u64 s[4:5], 0
	s_cselect_b32 s13, -1, 0
	s_ashr_i32 s31, s30, 31
	s_cmp_eq_u64 s[4:5], 0
	s_cbranch_scc1 .LBB1860_3
; %bb.1:
	s_lshl_b64 s[2:3], s[30:31], 2
	s_delay_alu instid0(SALU_CYCLE_1) | instskip(SKIP_4) | instid1(SALU_CYCLE_1)
	s_add_u32 s2, s4, s2
	s_addc_u32 s3, s5, s3
	s_load_b64 s[2:3], s[2:3], 0x0
	s_waitcnt lgkmcnt(0)
	s_sub_i32 s2, s3, s2
	s_cmp_eq_u32 s2, 1
	s_cselect_b32 s2, -1, 0
	s_delay_alu instid0(SALU_CYCLE_1)
	s_and_not1_b32 vcc_lo, exec_lo, s2
	s_cbranch_vccz .LBB1860_4
.LBB1860_2:
	s_nop 0
	s_sendmsg sendmsg(MSG_DEALLOC_VGPRS)
	s_endpgm
.LBB1860_3:
.LBB1860_4:
	s_load_b64 s[2:3], s[0:1], 0x28
	s_lshl_b64 s[6:7], s[30:31], 2
	s_waitcnt lgkmcnt(0)
	s_add_u32 s2, s2, s6
	s_addc_u32 s3, s3, s7
	s_lshl_b32 s12, s14, 8
	s_load_b32 s17, s[2:3], 0x0
	s_waitcnt lgkmcnt(0)
	s_cmp_ge_i32 s12, s17
	s_cbranch_scc1 .LBB1860_2
; %bb.5:
	s_clause 0x1
	s_load_b128 s[8:11], s[0:1], 0x8
	s_load_b64 s[2:3], s[0:1], 0x20
	s_and_not1_b32 vcc_lo, exec_lo, s13
	s_cbranch_vccnz .LBB1860_7
; %bb.6:
	s_add_u32 s4, s4, s6
	s_addc_u32 s5, s5, s7
	s_load_b32 s13, s[4:5], 0x0
	s_branch .LBB1860_8
.LBB1860_7:
	s_mov_b32 s13, s30
.LBB1860_8:
	s_load_b128 s[4:7], s[0:1], 0x48
	v_and_b32_e32 v65, 15, v0
	v_lshrrev_b32_e32 v66, 5, v0
	v_bfe_u32 v74, v0, 4, 1
	v_and_b32_e32 v67, 31, v0
	v_and_b32_e32 v75, 1, v0
	v_lshlrev_b32_e32 v2, 3, v65
	s_mul_i32 s31, s15, 7
	v_lshl_or_b32 v1, v66, 1, v74
	s_waitcnt lgkmcnt(0)
	s_mov_b32 s7, exec_lo
	v_lshlrev_b32_e32 v73, 1, v2
	s_delay_alu instid0(VALU_DEP_2)
	v_cmpx_gt_u32_e32 7, v1
	s_cbranch_execz .LBB1860_10
; %bb.9:
	s_load_b64 s[18:19], s[0:1], 0x0
	v_add_lshl_u32 v2, v1, s31, 7
	s_mul_hi_i32 s21, s13, s4
	s_mul_i32 s20, s13, s4
	v_lshlrev_b32_e32 v6, 10, v65
	s_lshl_b64 s[20:21], s[20:21], 1
	v_ashrrev_i32_e32 v3, 31, v2
	v_lshlrev_b32_e32 v1, 6, v1
	v_lshlrev_b32_e32 v7, 10, v75
	v_and_b32_e32 v6, 0x3800, v6
	s_delay_alu instid0(VALU_DEP_4) | instskip(NEXT) | instid1(VALU_DEP_2)
	v_lshlrev_b64 v[2:3], 1, v[2:3]
	v_or3_b32 v1, v6, v7, v1
	s_waitcnt lgkmcnt(0)
	s_add_u32 s4, s18, s20
	s_addc_u32 s13, s19, s21
	s_delay_alu instid0(VALU_DEP_2) | instskip(SKIP_1) | instid1(VALU_DEP_2)
	v_add_co_u32 v2, vcc_lo, s4, v2
	v_add_co_ci_u32_e32 v3, vcc_lo, s13, v3, vcc_lo
	v_add_co_u32 v2, vcc_lo, v2, v73
	s_delay_alu instid0(VALU_DEP_2)
	v_add_co_ci_u32_e32 v3, vcc_lo, 0, v3, vcc_lo
	global_load_b128 v[2:5], v[2:3], off
	s_waitcnt vmcnt(0)
	ds_store_b128 v1, v[2:5]
.LBB1860_10:
	s_or_b32 exec_lo, exec_lo, s7
	v_and_b32_e32 v1, 0xef, v0
	s_add_i32 s4, s17, 31
	s_clause 0x1
	s_load_b32 s7, s[0:1], 0x38
	s_load_b32 s18, s[0:1], 0x1c
	s_ashr_i32 s13, s4, 31
	v_add_nc_u32_e32 v2, s12, v1
	s_lshr_b32 s13, s13, 27
	s_waitcnt lgkmcnt(0)
	s_add_i32 s4, s4, s13
	s_barrier
	v_ashrrev_i32_e32 v1, 31, v2
	s_ashr_i32 s4, s4, 5
	v_cmp_gt_i32_e32 vcc_lo, s17, v2
	s_add_i32 s4, s4, -1
	buffer_gl0_inv
	v_lshrrev_b32_e32 v3, 27, v1
	v_or_b32_e32 v1, 16, v2
	s_mul_i32 s15, s15, s6
	s_delay_alu instid0(VALU_DEP_2) | instskip(SKIP_1) | instid1(SALU_CYCLE_1)
	v_add_nc_u32_e32 v4, v2, v3
	s_mul_i32 s20, s30, s7
	s_ashr_i32 s21, s20, 31
	s_delay_alu instid0(VALU_DEP_1) | instskip(SKIP_2) | instid1(SALU_CYCLE_1)
	v_ashrrev_i32_e32 v4, 5, v4
	v_add_nc_u32_e32 v3, v1, v3
	s_lshl_b64 s[20:21], s[20:21], 2
	s_add_u32 s7, s2, s20
	s_delay_alu instid0(VALU_DEP_2) | instskip(NEXT) | instid1(VALU_DEP_2)
	v_cndmask_b32_e32 v2, s4, v4, vcc_lo
	v_ashrrev_i32_e32 v3, 5, v3
	v_cmp_gt_i32_e32 vcc_lo, s17, v1
	s_addc_u32 s13, s3, s21
	s_ashr_i32 s6, s15, 31
	s_add_u32 s2, s8, s15
	s_addc_u32 s3, s9, s6
	v_cndmask_b32_e32 v4, s4, v3, vcc_lo
	v_ashrrev_i32_e32 v3, 31, v2
	s_lshl_b32 s8, s14, 3
	s_delay_alu instid0(SALU_CYCLE_1) | instskip(NEXT) | instid1(VALU_DEP_2)
	s_ashr_i32 s9, s8, 31
	v_ashrrev_i32_e32 v5, 31, v4
	s_delay_alu instid0(VALU_DEP_2) | instskip(SKIP_1) | instid1(SALU_CYCLE_1)
	v_lshlrev_b64 v[1:2], 2, v[2:3]
	s_lshl_b64 s[8:9], s[8:9], 2
	s_add_u32 s8, s7, s8
	s_delay_alu instid0(VALU_DEP_2) | instskip(SKIP_1) | instid1(VALU_DEP_2)
	v_lshlrev_b64 v[3:4], 2, v[4:5]
	s_addc_u32 s9, s13, s9
	v_add_co_u32 v1, vcc_lo, s7, v1
	v_add_co_ci_u32_e32 v2, vcc_lo, s13, v2, vcc_lo
	s_delay_alu instid0(VALU_DEP_3) | instskip(NEXT) | instid1(VALU_DEP_4)
	v_add_co_u32 v3, vcc_lo, s7, v3
	v_add_co_ci_u32_e32 v4, vcc_lo, s13, v4, vcc_lo
	s_clause 0x1
	global_load_b32 v5, v[1:2], off
	global_load_b32 v6, v[3:4], off
	s_or_b32 s16, s12, 32
	s_delay_alu instid0(SALU_CYCLE_1) | instskip(SKIP_2) | instid1(SALU_CYCLE_1)
	s_ashr_i32 s19, s16, 5
	s_cmp_lt_i32 s16, s17
	s_cselect_b32 s20, s19, s4
	s_ashr_i32 s21, s20, 31
	s_delay_alu instid0(SALU_CYCLE_1) | instskip(NEXT) | instid1(SALU_CYCLE_1)
	s_lshl_b64 s[20:21], s[20:21], 2
	s_add_u32 s20, s7, s20
	s_addc_u32 s21, s13, s21
	s_or_b32 s16, s12, 64
	s_delay_alu instid0(SALU_CYCLE_1) | instskip(SKIP_2) | instid1(SALU_CYCLE_1)
	s_ashr_i32 s19, s16, 5
	s_cmp_lt_i32 s16, s17
	s_cselect_b32 s22, s19, s4
	s_ashr_i32 s23, s22, 31
	s_delay_alu instid0(SALU_CYCLE_1) | instskip(NEXT) | instid1(SALU_CYCLE_1)
	s_lshl_b64 s[22:23], s[22:23], 2
	s_add_u32 s22, s7, s22
	s_addc_u32 s23, s13, s23
	;; [unrolled: 10-line block ×5, first 2 shown]
	s_clause 0x5
	s_load_b32 s16, s[8:9], 0x0
	s_load_b32 s19, s[20:21], 0x0
	;; [unrolled: 1-line block ×6, first 2 shown]
	s_mov_b32 s20, 0
	s_delay_alu instid0(SALU_CYCLE_1)
	s_mov_b32 s21, s20
	s_mov_b32 s22, s20
	;; [unrolled: 1-line block ×7, first 2 shown]
	s_delay_alu instid0(SALU_CYCLE_1)
	v_dual_mov_b32 v107, s27 :: v_dual_mov_b32 v106, s26
	v_dual_mov_b32 v105, s25 :: v_dual_mov_b32 v102, s22
	;; [unrolled: 1-line block ×4, first 2 shown]
	s_waitcnt vmcnt(1)
	v_mad_i64_i32 v[1:2], null, v5, s5, s[2:3]
	v_lshlrev_b32_e32 v5, 4, v65
	s_waitcnt vmcnt(0)
	v_mad_i64_i32 v[3:4], null, v6, s5, s[2:3]
	s_or_b32 s2, s12, 0xc0
	s_delay_alu instid0(SALU_CYCLE_1) | instskip(NEXT) | instid1(VALU_DEP_3)
	s_ashr_i32 s3, s2, 5
	v_add_co_u32 v25, vcc_lo, v1, v5
	s_delay_alu instid0(VALU_DEP_4) | instskip(NEXT) | instid1(VALU_DEP_3)
	v_add_co_ci_u32_e32 v26, vcc_lo, 0, v2, vcc_lo
	v_add_co_u32 v27, vcc_lo, v3, v5
	s_delay_alu instid0(VALU_DEP_4)
	v_add_co_ci_u32_e32 v28, vcc_lo, 0, v4, vcc_lo
	s_clause 0xf
	global_load_b128 v[1:4], v[25:26], off
	global_load_b128 v[5:8], v[25:26], off offset:512
	global_load_b128 v[9:12], v[27:28], off offset:256
	;; [unrolled: 1-line block ×15, first 2 shown]
	v_mul_lo_u16 v25, v65, 37
	s_cmp_lt_i32 s2, s17
	v_lshlrev_b32_e32 v26, 5, v65
	s_cselect_b32 s2, s3, s4
	s_delay_alu instid0(VALU_DEP_2) | instskip(SKIP_1) | instid1(VALU_DEP_2)
	v_lshrrev_b16 v25, 8, v25
	s_ashr_i32 s3, s2, 31
	v_lshl_or_b32 v33, v66, 9, v26
	s_lshl_b64 s[2:3], s[2:3], 2
	s_delay_alu instid0(VALU_DEP_2) | instskip(SKIP_3) | instid1(VALU_DEP_1)
	v_mul_lo_u16 v25, v25, 7
	s_add_u32 s2, s7, s2
	s_addc_u32 s3, s13, s3
	s_or_b32 s8, s12, 0xe0
	v_sub_nc_u16 v25, v65, v25
	s_ashr_i32 s9, s8, 5
	s_cmp_lt_i32 s8, s17
	s_cselect_b32 s8, s9, s4
	s_delay_alu instid0(VALU_DEP_1) | instskip(SKIP_1) | instid1(SALU_CYCLE_1)
	v_and_b32_e32 v25, 0xff, v25
	s_ashr_i32 s9, s8, 31
	s_lshl_b64 s[8:9], s[8:9], 2
	s_delay_alu instid0(VALU_DEP_1)
	v_lshlrev_b32_e32 v72, 6, v25
	ds_load_b128 v[25:28], v72
	ds_load_b128 v[29:32], v72 offset:1024
	ds_load_b128 v[108:111], v72 offset:2048
	;; [unrolled: 1-line block ×3, first 2 shown]
	s_load_b32 s4, s[2:3], 0x0
	s_add_u32 s2, s7, s8
	s_addc_u32 s3, s13, s9
	ds_load_b128 v[116:119], v72 offset:4096
	ds_load_b128 v[120:123], v72 offset:5120
	s_load_b32 s2, s[2:3], 0x0
	s_add_u32 s7, s10, s15
	s_addc_u32 s6, s11, s6
	v_add_co_u32 v68, s7, s7, v33
	s_delay_alu instid0(VALU_DEP_1) | instskip(SKIP_1) | instid1(VALU_DEP_1)
	v_add_co_ci_u32_e64 v69, null, s6, 0, s7
	s_waitcnt lgkmcnt(0)
	v_mad_i64_i32 v[33:34], null, s16, s5, v[68:69]
	v_mad_i64_i32 v[70:71], null, s33, s5, v[68:69]
	;; [unrolled: 1-line block ×7, first 2 shown]
	s_clause 0x3
	global_load_b128 v[41:44], v[33:34], off
	global_load_b128 v[45:48], v[33:34], off offset:16
	global_load_b128 v[33:36], v[37:38], off
	global_load_b128 v[37:40], v[37:38], off offset:16
	s_waitcnt vmcnt(18)
	v_wmma_f32_16x16x16_bf16 v[124:131], v[1:8], v[25:32], v[100:107]
	s_waitcnt vmcnt(16)
	v_wmma_f32_16x16x16_bf16 v[100:107], v[9:16], v[25:32], v[100:107]
	s_clause 0x1
	global_load_b128 v[25:28], v[70:71], off
	global_load_b128 v[29:32], v[70:71], off offset:16
	s_waitcnt vmcnt(16)
	v_wmma_f32_16x16x16_bf16 v[124:131], v[17:24], v[108:115], v[124:131]
	s_clause 0x1
	global_load_b128 v[17:20], v[132:133], off
	global_load_b128 v[21:24], v[132:133], off offset:16
	s_waitcnt vmcnt(16)
	v_wmma_f32_16x16x16_bf16 v[100:107], v[49:56], v[108:115], v[100:107]
	v_mad_i64_i32 v[53:54], null, s2, s5, v[68:69]
	s_clause 0x3
	global_load_b128 v[1:4], v[134:135], off
	global_load_b128 v[5:8], v[134:135], off offset:16
	global_load_b128 v[9:12], v[136:137], off
	global_load_b128 v[13:16], v[136:137], off offset:16
	s_waitcnt vmcnt(18)
	v_wmma_f32_16x16x16_bf16 v[124:131], v[57:64], v[116:123], v[124:131]
	s_clause 0x3
	global_load_b128 v[57:60], v[138:139], off
	global_load_b128 v[61:64], v[138:139], off offset:16
	global_load_b128 v[49:52], v[53:54], off
	global_load_b128 v[53:56], v[53:54], off offset:16
	s_waitcnt vmcnt(20)
	v_wmma_f32_16x16x16_bf16 v[100:107], v[76:83], v[116:123], v[100:107]
	ds_load_b128 v[76:79], v72 offset:6144
	ds_load_b128 v[80:83], v72 offset:7168
	v_mbcnt_lo_u32_b32 v69, -1, 0
	s_waitcnt vmcnt(0) lgkmcnt(0)
	s_barrier
	buffer_gl0_inv
	v_xor_b32_e32 v70, 16, v69
	s_delay_alu instid0(VALU_DEP_1) | instskip(SKIP_4) | instid1(VALU_DEP_2)
	v_cmp_gt_i32_e32 vcc_lo, 32, v70
	v_cndmask_b32_e32 v69, v69, v70, vcc_lo
	v_wmma_f32_16x16x16_bf16 v[124:131], v[84:91], v[76:83], v[124:131]
	v_and_b32_e32 v68, 0xe0, v0
	v_wmma_f32_16x16x16_bf16 v[100:107], v[92:99], v[76:83], v[100:107]
	v_dual_mul_f32 v81, s18, v129 :: v_dual_add_nc_u32 v68, s12, v68
	s_delay_alu instid0(VALU_DEP_4) | instskip(NEXT) | instid1(VALU_DEP_3)
	v_dual_mul_f32 v83, s18, v131 :: v_dual_mul_f32 v78, s18, v125
	v_mul_f32_e32 v95, s18, v103
	v_mul_f32_e32 v79, s18, v127
	s_delay_alu instid0(VALU_DEP_4) | instskip(SKIP_3) | instid1(VALU_DEP_4)
	v_or_b32_e32 v68, v68, v74
	v_dual_mul_f32 v80, s18, v126 :: v_dual_mul_f32 v97, s18, v105
	v_dual_mul_f32 v93, s18, v101 :: v_dual_mul_f32 v82, s18, v128
	v_mul_f32_e32 v99, s18, v107
	v_or_b32_e32 v70, 2, v68
	v_or_b32_e32 v71, 4, v68
	;; [unrolled: 1-line block ×3, first 2 shown]
	v_cmp_gt_i32_e64 s2, s17, v68
	v_or_b32_e32 v108, 8, v68
	v_cmp_gt_i32_e32 vcc_lo, s17, v70
	v_mul_f32_e32 v70, s18, v124
	v_or_b32_e32 v109, 10, v68
	v_cmp_gt_i32_e64 s3, s17, v71
	v_cmp_gt_i32_e64 s4, s17, v72
	v_cndmask_b32_e32 v78, 0xff7fffff, v78, vcc_lo
	v_cndmask_b32_e64 v70, 0xff7fffff, v70, s2
	v_or_b32_e32 v84, 12, v68
	v_or_b32_e32 v85, 14, v68
	v_cndmask_b32_e64 v71, 0xff7fffff, v80, s3
	v_cndmask_b32_e64 v72, 0xff7fffff, v79, s4
	v_max3_f32 v70, v70, 0xff7fffff, v78
	v_cmp_gt_i32_e64 s5, s17, v108
	v_cmp_gt_i32_e64 s6, s17, v109
	v_or_b32_e32 v86, 16, v68
	v_or_b32_e32 v87, 18, v68
	;; [unrolled: 1-line block ×3, first 2 shown]
	v_mul_f32_e32 v92, s18, v130
	v_cndmask_b32_e64 v78, 0xff7fffff, v82, s5
	v_cndmask_b32_e64 v79, 0xff7fffff, v81, s6
	v_max3_f32 v70, v70, v71, v72
	v_cmp_gt_i32_e64 s7, s17, v84
	v_cmp_gt_i32_e64 s8, s17, v85
	v_or_b32_e32 v88, 20, v68
	v_mul_f32_e32 v94, s18, v100
	v_max3_f32 v70, v70, v78, v79
	v_cmp_gt_i32_e64 s9, s17, v86
	v_cndmask_b32_e64 v72, 0xff7fffff, v83, s8
	v_cmp_gt_i32_e64 s10, s17, v87
	v_cmp_gt_i32_e64 s12, s17, v89
	v_lshlrev_b32_e32 v89, 2, v69
	v_cndmask_b32_e64 v71, 0xff7fffff, v92, s7
	v_or_b32_e32 v90, 24, v68
	v_or_b32_e32 v91, 26, v68
	v_mul_f32_e32 v96, s18, v102
	v_cndmask_b32_e64 v78, 0xff7fffff, v94, s9
	v_cndmask_b32_e64 v79, 0xff7fffff, v93, s10
	v_max3_f32 v70, v70, v71, v72
	v_cmp_gt_i32_e64 s11, s17, v88
	v_or_b32_e32 v76, 28, v68
	v_or_b32_e32 v77, 30, v68
	v_mul_f32_e32 v98, s18, v104
	v_cndmask_b32_e64 v72, 0xff7fffff, v95, s12
	v_cndmask_b32_e64 v71, 0xff7fffff, v96, s11
	v_max3_f32 v70, v70, v78, v79
	v_cmp_gt_i32_e64 s13, s17, v90
	v_cmp_gt_i32_e64 s15, s17, v91
	v_mul_f32_e32 v68, s18, v106
	v_cmp_gt_i32_e64 s16, s17, v76
	v_max3_f32 v70, v70, v71, v72
	v_cndmask_b32_e64 v78, 0xff7fffff, v98, s13
	v_cndmask_b32_e64 v79, 0xff7fffff, v97, s15
	v_cmp_gt_i32_e64 s17, s17, v77
	v_cndmask_b32_e64 v68, 0xff7fffff, v68, s16
	s_delay_alu instid0(VALU_DEP_3) | instskip(NEXT) | instid1(VALU_DEP_3)
	v_max3_f32 v70, v70, v78, v79
	v_cndmask_b32_e64 v71, 0xff7fffff, v99, s17
	s_delay_alu instid0(VALU_DEP_1) | instskip(SKIP_3) | instid1(VALU_DEP_1)
	v_max3_f32 v68, v70, v68, v71
	ds_bpermute_b32 v69, v89, v68
	s_waitcnt lgkmcnt(0)
	v_max_f32_e32 v69, v69, v69
	v_max_f32_e32 v68, v68, v69
	s_delay_alu instid0(VALU_DEP_1) | instskip(NEXT) | instid1(VALU_DEP_1)
	v_fma_f32 v71, s18, v126, -v68
	v_mul_f32_e32 v71, 0x3fb8aa3b, v71
	s_delay_alu instid0(VALU_DEP_1) | instskip(SKIP_3) | instid1(VALU_DEP_1)
	v_exp_f32_e32 v71, v71
	s_waitcnt_depctr 0xfff
	v_cndmask_b32_e64 v83, 0, v71, s3
	v_fma_f32 v71, s18, v131, -v68
	v_mul_f32_e32 v71, 0x3fb8aa3b, v71
	v_fma_f32 v69, s18, v124, -v68
	v_fma_f32 v76, s18, v128, -v68
	;; [unrolled: 1-line block ×4, first 2 shown]
	v_exp_f32_e32 v71, v71
	v_mul_f32_e32 v69, 0x3fb8aa3b, v69
	v_mul_f32_e32 v77, 0x3fb8aa3b, v76
	v_fma_f32 v81, s18, v105, -v68
	v_fma_f32 v78, s18, v130, -v68
	s_delay_alu instid0(VALU_DEP_4) | instskip(NEXT) | instid1(VALU_DEP_3)
	v_exp_f32_e32 v69, v69
	v_exp_f32_e32 v77, v77
	s_delay_alu instid0(VALU_DEP_2) | instskip(NEXT) | instid1(TRANS32_DEP_3)
	v_mul_f32_e32 v81, 0x3fb8aa3b, v81
	v_cndmask_b32_e64 v88, 0, v71, s8
	v_fma_f32 v71, s18, v104, -v68
	s_delay_alu instid0(VALU_DEP_3) | instskip(NEXT) | instid1(TRANS32_DEP_3)
	v_exp_f32_e32 v81, v81
	v_cndmask_b32_e64 v80, 0, v69, s2
	v_fma_f32 v69, s18, v129, -v68
	v_mul_f32_e32 v70, 0x3fb8aa3b, v70
	s_delay_alu instid0(TRANS32_DEP_2)
	v_cndmask_b32_e64 v86, 0, v77, s5
	v_mul_f32_e32 v72, 0x3fb8aa3b, v72
	v_fma_f32 v77, s18, v101, -v68
	v_mul_f32_e32 v69, 0x3fb8aa3b, v69
	v_exp_f32_e32 v70, v70
	v_mul_f32_e32 v71, 0x3fb8aa3b, v71
	v_exp_f32_e32 v72, v72
	;; [unrolled: 2-line block ×3, first 2 shown]
	v_cmp_gt_u32_e64 s2, 16, v67
	v_exp_f32_e32 v82, v71
	s_delay_alu instid0(VALU_DEP_2) | instskip(SKIP_4) | instid1(TRANS32_DEP_3)
	v_exp_f32_e32 v77, v77
	v_cndmask_b32_e32 v76, 0, v70, vcc_lo
	v_add_f32_e32 v70, 0, v80
	v_cndmask_b32_e64 v85, 0, v72, s4
	v_fma_f32 v72, s18, v100, -v68
	v_cndmask_b32_e64 v87, 0, v69, s6
	s_delay_alu instid0(VALU_DEP_4) | instskip(NEXT) | instid1(VALU_DEP_3)
	v_add_f32_e32 v70, v70, v76
	v_mul_f32_e32 v72, 0x3fb8aa3b, v72
	s_delay_alu instid0(VALU_DEP_2) | instskip(NEXT) | instid1(VALU_DEP_2)
	v_add_f32_e32 v70, v70, v83
	v_exp_f32_e32 v72, v72
	s_delay_alu instid0(VALU_DEP_1) | instskip(NEXT) | instid1(VALU_DEP_1)
	v_add_f32_e32 v70, v70, v85
	v_add_f32_e32 v69, v70, v86
	v_fma_f32 v70, s18, v102, -v68
	s_delay_alu instid0(VALU_DEP_2) | instskip(NEXT) | instid1(VALU_DEP_2)
	v_dual_add_f32 v69, v69, v87 :: v_dual_mul_f32 v78, 0x3fb8aa3b, v78
	v_mul_f32_e32 v70, 0x3fb8aa3b, v70
	s_delay_alu instid0(VALU_DEP_2) | instskip(NEXT) | instid1(VALU_DEP_1)
	v_exp_f32_e32 v78, v78
	v_exp_f32_e32 v79, v70
	s_delay_alu instid0(TRANS32_DEP_3) | instskip(SKIP_4) | instid1(VALU_DEP_2)
	v_cndmask_b32_e64 v70, 0, v72, s9
	s_waitcnt_depctr 0xfff
	v_cndmask_b32_e64 v84, 0, v78, s7
	v_fma_f32 v78, s18, v103, -v68
	v_cndmask_b32_e64 v71, 0, v79, s11
	v_dual_add_f32 v69, v69, v84 :: v_dual_mul_f32 v78, 0x3fb8aa3b, v78
	s_delay_alu instid0(VALU_DEP_1) | instskip(NEXT) | instid1(VALU_DEP_2)
	v_add_f32_e32 v72, v69, v88
	v_exp_f32_e32 v78, v78
	v_cndmask_b32_e64 v69, 0, v77, s10
	v_fma_f32 v77, s18, v106, -v68
	s_delay_alu instid0(VALU_DEP_1) | instskip(NEXT) | instid1(VALU_DEP_1)
	v_dual_add_f32 v72, v72, v70 :: v_dual_mul_f32 v77, 0x3fb8aa3b, v77
	v_add_f32_e32 v79, v72, v69
	s_waitcnt_depctr 0xfff
	v_cndmask_b32_e64 v72, 0, v78, s12
	v_exp_f32_e32 v90, v77
	v_cndmask_b32_e64 v77, 0, v82, s13
	v_add_f32_e32 v78, v79, v71
	v_fma_f32 v79, s18, v107, -v68
	s_delay_alu instid0(VALU_DEP_1) | instskip(SKIP_1) | instid1(VALU_DEP_2)
	v_dual_add_f32 v82, v78, v72 :: v_dual_mul_f32 v79, 0x3fb8aa3b, v79
	v_cndmask_b32_e64 v78, 0, v81, s15
	v_add_f32_e32 v81, v82, v77
	s_delay_alu instid0(VALU_DEP_3) | instskip(NEXT) | instid1(TRANS32_DEP_2)
	v_exp_f32_e32 v82, v79
	v_cndmask_b32_e64 v79, 0, v90, s16
	s_delay_alu instid0(VALU_DEP_2) | instskip(NEXT) | instid1(VALU_DEP_1)
	v_add_f32_e32 v81, v81, v78
	v_add_f32_e32 v90, v81, v79
	s_waitcnt_depctr 0xfff
	v_cndmask_b32_e64 v81, 0, v82, s17
	s_delay_alu instid0(VALU_DEP_1)
	v_add_f32_e32 v82, v90, v81
	ds_bpermute_b32 v89, v89, v82
	s_and_saveexec_b32 s3, s2
	s_cbranch_execz .LBB1860_12
; %bb.11:
	v_mul_u32_u24_e32 v67, 0x44, v66
	s_delay_alu instid0(VALU_DEP_1) | instskip(SKIP_1) | instid1(VALU_DEP_1)
	v_lshl_add_u32 v67, v65, 2, v67
	s_waitcnt lgkmcnt(0)
	v_dual_add_f32 v82, v82, v89 :: v_dual_add_nc_u32 v67, 0x4000, v67
	ds_store_2addr_b32 v67, v68, v82 offset1:136
.LBB1860_12:
	s_or_b32 exec_lo, exec_lo, s3
	v_lshlrev_b32_e32 v67, 2, v65
	s_waitcnt lgkmcnt(0)
	s_barrier
	buffer_gl0_inv
	v_cmp_eq_u32_e32 vcc_lo, 1, v66
	v_add_nc_u32_e32 v82, 0x4000, v67
	v_cmp_eq_u32_e64 s3, 2, v66
	v_cmp_eq_u32_e64 s5, 7, v66
	ds_load_2addr_b32 v[89:90], v82 offset1:17
	ds_load_2addr_b32 v[91:92], v82 offset0:34 offset1:51
	ds_load_2addr_b32 v[93:94], v82 offset0:68 offset1:85
	;; [unrolled: 1-line block ×4, first 2 shown]
	s_waitcnt lgkmcnt(4)
	v_max3_f32 v67, v89, 0xff7fffff, v90
	s_waitcnt lgkmcnt(3)
	s_delay_alu instid0(VALU_DEP_1) | instskip(SKIP_1) | instid1(VALU_DEP_1)
	v_max3_f32 v67, v67, v91, v92
	s_waitcnt lgkmcnt(2)
	v_max3_f32 v67, v67, v93, v94
	s_waitcnt lgkmcnt(1)
	s_delay_alu instid0(VALU_DEP_1) | instskip(NEXT) | instid1(VALU_DEP_1)
	v_max3_f32 v67, v67, v95, v96
	v_sub_f32_e32 v93, v93, v67
	s_delay_alu instid0(VALU_DEP_1) | instskip(NEXT) | instid1(VALU_DEP_1)
	v_dual_sub_f32 v68, v89, v67 :: v_dual_mul_f32 v103, 0x3fb8aa3b, v93
	v_mul_f32_e32 v68, 0x3fb8aa3b, v68
	s_delay_alu instid0(VALU_DEP_1)
	v_exp_f32_e32 v100, v68
	v_sub_f32_e32 v68, v92, v67
	v_sub_f32_e32 v99, v90, v67
	ds_load_2addr_b32 v[89:90], v82 offset0:170 offset1:187
	v_dual_mul_f32 v102, 0x3fb8aa3b, v68 :: v_dual_mul_f32 v99, 0x3fb8aa3b, v99
	s_waitcnt lgkmcnt(1)
	v_fma_f32 v68, v100, v97, 0
	s_delay_alu instid0(VALU_DEP_2) | instskip(NEXT) | instid1(VALU_DEP_2)
	v_exp_f32_e32 v102, v102
	v_exp_f32_e32 v99, v99
	s_waitcnt_depctr 0xfff
	v_fmac_f32_e32 v68, v99, v98
	v_sub_f32_e32 v91, v91, v67
	s_delay_alu instid0(VALU_DEP_1)
	v_mul_f32_e32 v101, 0x3fb8aa3b, v91
	ds_load_2addr_b32 v[91:92], v82 offset0:204 offset1:221
	v_sub_f32_e32 v97, v94, v67
	ds_load_2addr_b32 v[93:94], v82 offset0:238 offset1:255
	s_waitcnt lgkmcnt(0)
	v_exp_f32_e32 v101, v101
	s_barrier
	buffer_gl0_inv
	v_dual_fmac_f32 v68, v101, v89 :: v_dual_sub_f32 v89, v96, v67
	v_dual_sub_f32 v82, v95, v67 :: v_dual_mul_f32 v95, 0x3fb8aa3b, v97
	v_exp_f32_e32 v97, v103
	s_delay_alu instid0(VALU_DEP_2) | instskip(NEXT) | instid1(VALU_DEP_2)
	v_dual_fmac_f32 v68, v102, v90 :: v_dual_mul_f32 v89, 0x3fb8aa3b, v89
	v_mul_f32_e32 v82, 0x3fb8aa3b, v82
	s_delay_alu instid0(VALU_DEP_3) | instskip(NEXT) | instid1(VALU_DEP_2)
	v_exp_f32_e32 v95, v95
	v_exp_f32_e32 v89, v89
	s_delay_alu instid0(VALU_DEP_1)
	v_exp_f32_e32 v82, v82
	v_fmac_f32_e32 v68, v97, v91
	s_delay_alu instid0(TRANS32_DEP_3) | instid1(VALU_DEP_1)
	v_fmac_f32_e32 v68, v95, v92
	s_waitcnt_depctr 0xfff
	v_fmac_f32_e32 v68, v82, v93
	s_delay_alu instid0(VALU_DEP_1) | instskip(NEXT) | instid1(VALU_DEP_1)
	v_fmac_f32_e32 v68, v89, v94
	v_add_f32_e32 v90, 0x358637bd, v68
	s_delay_alu instid0(VALU_DEP_1) | instskip(NEXT) | instid1(VALU_DEP_1)
	v_div_scale_f32 v91, null, v90, v90, 1.0
	v_rcp_f32_e32 v92, v91
	s_waitcnt_depctr 0xfff
	v_fma_f32 v93, -v91, v92, 1.0
	s_delay_alu instid0(VALU_DEP_1) | instskip(SKIP_1) | instid1(VALU_DEP_2)
	v_dual_fmac_f32 v92, v93, v92 :: v_dual_cndmask_b32 v93, v100, v99
	v_cmp_eq_u32_e32 vcc_lo, 3, v66
	v_cndmask_b32_e64 v93, v93, v101, s3
	v_cmp_eq_u32_e64 s3, 4, v66
	s_delay_alu instid0(VALU_DEP_2) | instskip(SKIP_1) | instid1(VALU_DEP_2)
	v_cndmask_b32_e32 v93, v93, v102, vcc_lo
	v_cmp_eq_u32_e32 vcc_lo, 5, v66
	v_cndmask_b32_e64 v93, v93, v97, s3
	v_cmp_eq_u32_e64 s3, 6, v66
	s_delay_alu instid0(VALU_DEP_2) | instskip(SKIP_1) | instid1(VALU_DEP_1)
	v_cndmask_b32_e32 v93, v93, v95, vcc_lo
	v_div_scale_f32 v94, s4, 1.0, v90, 1.0
	s_mov_b32 vcc_lo, s4
	s_delay_alu instid0(VALU_DEP_2) | instskip(NEXT) | instid1(VALU_DEP_2)
	v_cndmask_b32_e64 v82, v93, v82, s3
	v_mul_f32_e32 v96, v94, v92
	s_mov_b32 s3, exec_lo
	s_delay_alu instid0(VALU_DEP_2) | instskip(NEXT) | instid1(VALU_DEP_2)
	v_cndmask_b32_e64 v82, v82, v89, s5
	v_fma_f32 v98, -v91, v96, v94
	s_delay_alu instid0(VALU_DEP_1) | instskip(NEXT) | instid1(VALU_DEP_1)
	v_fmac_f32_e32 v96, v98, v92
	v_fma_f32 v91, -v91, v96, v94
	s_delay_alu instid0(VALU_DEP_1) | instskip(NEXT) | instid1(VALU_DEP_1)
	v_div_fmas_f32 v91, v91, v92, v96
	v_div_fixup_f32 v90, v91, v90, 1.0
	s_delay_alu instid0(VALU_DEP_1) | instskip(NEXT) | instid1(VALU_DEP_1)
	v_mul_f32_e32 v82, v82, v90
	v_mul_f32_e32 v87, v82, v87
	;; [unrolled: 1-line block ×7, first 2 shown]
	v_dual_mul_f32 v86, v82, v83 :: v_dual_and_b32 v91, 0x7f800000, v90
	v_mul_f32_e32 v85, v82, v76
                                        ; implicit-def: $vgpr76
	s_delay_alu instid0(VALU_DEP_2)
	v_cmpx_ne_u32_e32 0x7f800000, v91
	s_xor_b32 s3, exec_lo, s3
; %bb.13:
	v_bfe_u32 v76, v90, 16, 1
	s_delay_alu instid0(VALU_DEP_1)
	v_add3_u32 v76, v90, v76, 0x7fff
                                        ; implicit-def: $vgpr90
; %bb.14:
	s_and_not1_saveexec_b32 s3, s3
; %bb.15:
	v_and_b32_e32 v76, 0xffff, v90
	v_or_b32_e32 v83, 0x10000, v90
	s_delay_alu instid0(VALU_DEP_2) | instskip(NEXT) | instid1(VALU_DEP_2)
	v_cmp_eq_u32_e32 vcc_lo, 0, v76
	v_cndmask_b32_e32 v76, v83, v90, vcc_lo
; %bb.16:
	s_or_b32 exec_lo, exec_lo, s3
	v_and_b32_e32 v83, 0x7f800000, v85
	s_delay_alu instid0(VALU_DEP_1) | instskip(SKIP_1) | instid1(SALU_CYCLE_1)
	v_cmp_ne_u32_e32 vcc_lo, 0x7f800000, v83
                                        ; implicit-def: $vgpr83
	s_and_saveexec_b32 s3, vcc_lo
	s_xor_b32 s3, exec_lo, s3
; %bb.17:
	v_bfe_u32 v83, v85, 16, 1
	s_delay_alu instid0(VALU_DEP_1)
	v_add3_u32 v83, v85, v83, 0x7fff
                                        ; implicit-def: $vgpr85
; %bb.18:
	s_and_not1_saveexec_b32 s3, s3
; %bb.19:
	v_and_b32_e32 v83, 0xffff, v85
	v_or_b32_e32 v90, 0x10000, v85
	s_delay_alu instid0(VALU_DEP_2) | instskip(NEXT) | instid1(VALU_DEP_2)
	v_cmp_eq_u32_e32 vcc_lo, 0, v83
	v_cndmask_b32_e32 v83, v90, v85, vcc_lo
; %bb.20:
	s_or_b32 exec_lo, exec_lo, s3
	v_and_b32_e32 v85, 0x7f800000, v86
	s_delay_alu instid0(VALU_DEP_1) | instskip(SKIP_1) | instid1(SALU_CYCLE_1)
	v_cmp_ne_u32_e32 vcc_lo, 0x7f800000, v85
                                        ; implicit-def: $vgpr85
	s_and_saveexec_b32 s3, vcc_lo
	s_xor_b32 s3, exec_lo, s3
; %bb.21:
	v_bfe_u32 v85, v86, 16, 1
	s_delay_alu instid0(VALU_DEP_1)
	v_add3_u32 v85, v86, v85, 0x7fff
                                        ; implicit-def: $vgpr86
; %bb.22:
	s_and_not1_saveexec_b32 s3, s3
; %bb.23:
	v_and_b32_e32 v85, 0xffff, v86
	v_or_b32_e32 v90, 0x10000, v86
	s_delay_alu instid0(VALU_DEP_2) | instskip(NEXT) | instid1(VALU_DEP_2)
	v_cmp_eq_u32_e32 vcc_lo, 0, v85
	v_cndmask_b32_e32 v85, v90, v86, vcc_lo
; %bb.24:
	s_or_b32 exec_lo, exec_lo, s3
	v_and_b32_e32 v86, 0x7f800000, v89
	s_delay_alu instid0(VALU_DEP_1) | instskip(SKIP_1) | instid1(SALU_CYCLE_1)
	v_cmp_ne_u32_e32 vcc_lo, 0x7f800000, v86
                                        ; implicit-def: $vgpr86
	s_and_saveexec_b32 s3, vcc_lo
	s_xor_b32 s3, exec_lo, s3
; %bb.25:
	v_bfe_u32 v86, v89, 16, 1
	s_delay_alu instid0(VALU_DEP_1)
	v_add3_u32 v86, v89, v86, 0x7fff
                                        ; implicit-def: $vgpr89
; %bb.26:
	s_and_not1_saveexec_b32 s3, s3
; %bb.27:
	v_and_b32_e32 v86, 0xffff, v89
	v_or_b32_e32 v90, 0x10000, v89
	s_delay_alu instid0(VALU_DEP_2) | instskip(NEXT) | instid1(VALU_DEP_2)
	v_cmp_eq_u32_e32 vcc_lo, 0, v86
	v_cndmask_b32_e32 v86, v90, v89, vcc_lo
; %bb.28:
	s_or_b32 exec_lo, exec_lo, s3
	v_and_b32_e32 v89, 0x7f800000, v88
	s_delay_alu instid0(VALU_DEP_1) | instskip(SKIP_1) | instid1(SALU_CYCLE_1)
	v_cmp_ne_u32_e32 vcc_lo, 0x7f800000, v89
                                        ; implicit-def: $vgpr89
	s_and_saveexec_b32 s3, vcc_lo
	s_xor_b32 s3, exec_lo, s3
; %bb.29:
	v_bfe_u32 v89, v88, 16, 1
	s_delay_alu instid0(VALU_DEP_1)
	v_add3_u32 v89, v88, v89, 0x7fff
                                        ; implicit-def: $vgpr88
; %bb.30:
	s_and_not1_saveexec_b32 s3, s3
; %bb.31:
	v_and_b32_e32 v89, 0xffff, v88
	v_or_b32_e32 v90, 0x10000, v88
	s_delay_alu instid0(VALU_DEP_2) | instskip(NEXT) | instid1(VALU_DEP_2)
	v_cmp_eq_u32_e32 vcc_lo, 0, v89
	v_cndmask_b32_e32 v89, v90, v88, vcc_lo
; %bb.32:
	s_or_b32 exec_lo, exec_lo, s3
	v_and_b32_e32 v88, 0x7f800000, v87
	s_delay_alu instid0(VALU_DEP_1) | instskip(SKIP_1) | instid1(SALU_CYCLE_1)
	v_cmp_ne_u32_e32 vcc_lo, 0x7f800000, v88
                                        ; implicit-def: $vgpr88
	s_and_saveexec_b32 s3, vcc_lo
	s_xor_b32 s3, exec_lo, s3
; %bb.33:
	v_bfe_u32 v88, v87, 16, 1
	s_delay_alu instid0(VALU_DEP_1)
	v_add3_u32 v88, v87, v88, 0x7fff
                                        ; implicit-def: $vgpr87
; %bb.34:
	s_and_not1_saveexec_b32 s3, s3
; %bb.35:
	v_and_b32_e32 v88, 0xffff, v87
	v_or_b32_e32 v90, 0x10000, v87
	s_delay_alu instid0(VALU_DEP_2) | instskip(NEXT) | instid1(VALU_DEP_2)
	v_cmp_eq_u32_e32 vcc_lo, 0, v88
	v_cndmask_b32_e32 v88, v90, v87, vcc_lo
; %bb.36:
	s_or_b32 exec_lo, exec_lo, s3
	v_and_b32_e32 v87, 0x7f800000, v84
	s_delay_alu instid0(VALU_DEP_1) | instskip(SKIP_1) | instid1(SALU_CYCLE_1)
	v_cmp_ne_u32_e32 vcc_lo, 0x7f800000, v87
                                        ; implicit-def: $vgpr87
	s_and_saveexec_b32 s3, vcc_lo
	s_xor_b32 s3, exec_lo, s3
; %bb.37:
	v_bfe_u32 v87, v84, 16, 1
	s_delay_alu instid0(VALU_DEP_1)
	v_add3_u32 v87, v84, v87, 0x7fff
                                        ; implicit-def: $vgpr84
; %bb.38:
	s_and_not1_saveexec_b32 s3, s3
; %bb.39:
	v_and_b32_e32 v87, 0xffff, v84
	v_or_b32_e32 v90, 0x10000, v84
	s_delay_alu instid0(VALU_DEP_2) | instskip(NEXT) | instid1(VALU_DEP_2)
	v_cmp_eq_u32_e32 vcc_lo, 0, v87
	v_cndmask_b32_e32 v87, v90, v84, vcc_lo
; %bb.40:
	s_or_b32 exec_lo, exec_lo, s3
	v_and_b32_e32 v84, 0x7f800000, v80
	s_delay_alu instid0(VALU_DEP_1) | instskip(SKIP_1) | instid1(SALU_CYCLE_1)
	v_cmp_ne_u32_e32 vcc_lo, 0x7f800000, v84
                                        ; implicit-def: $vgpr84
	s_and_saveexec_b32 s3, vcc_lo
	s_xor_b32 s3, exec_lo, s3
; %bb.41:
	v_bfe_u32 v84, v80, 16, 1
	s_delay_alu instid0(VALU_DEP_1)
	v_add3_u32 v84, v80, v84, 0x7fff
                                        ; implicit-def: $vgpr80
; %bb.42:
	s_and_not1_saveexec_b32 s3, s3
; %bb.43:
	v_and_b32_e32 v84, 0xffff, v80
	v_or_b32_e32 v90, 0x10000, v80
	s_delay_alu instid0(VALU_DEP_2) | instskip(NEXT) | instid1(VALU_DEP_2)
	v_cmp_eq_u32_e32 vcc_lo, 0, v84
	v_cndmask_b32_e32 v84, v90, v80, vcc_lo
; %bb.44:
	s_or_b32 exec_lo, exec_lo, s3
	s_load_b64 s[34:35], s[0:1], 0x94
	v_lshlrev_b32_e32 v91, 4, v74
	s_delay_alu instid0(VALU_DEP_2)
	v_perm_b32 v90, v84, v87, 0x7060302
	v_dual_mul_f32 v79, v82, v79 :: v_dual_lshlrev_b32 v80, 6, v65
	v_dual_mul_f32 v77, v82, v77 :: v_dual_lshlrev_b32 v92, 11, v66
	v_mul_f32_e32 v84, v82, v70
	v_perm_b32 v89, v88, v89, 0x7060302
	v_perm_b32 v88, v86, v85, 0x7060302
	v_perm_b32 v87, v83, v76, 0x7060302
	v_mul_f32_e32 v70, v82, v81
	v_or3_b32 v76, v91, v92, v80
	v_dual_mul_f32 v78, v82, v78 :: v_dual_and_b32 v85, 0x7f800000, v84
	v_mul_f32_e32 v83, v82, v72
	v_mul_f32_e32 v81, v82, v71
	v_mul_f32_e32 v72, v82, v69
	s_mov_b32 s3, exec_lo
	ds_store_b128 v76, v[87:90]
                                        ; implicit-def: $vgpr69
	v_cmpx_ne_u32_e32 0x7f800000, v85
	s_xor_b32 s3, exec_lo, s3
; %bb.45:
	v_bfe_u32 v69, v84, 16, 1
	s_delay_alu instid0(VALU_DEP_1)
	v_add3_u32 v69, v84, v69, 0x7fff
                                        ; implicit-def: $vgpr84
; %bb.46:
	s_and_not1_saveexec_b32 s3, s3
; %bb.47:
	v_and_b32_e32 v69, 0xffff, v84
	v_or_b32_e32 v71, 0x10000, v84
	s_delay_alu instid0(VALU_DEP_2) | instskip(NEXT) | instid1(VALU_DEP_2)
	v_cmp_eq_u32_e32 vcc_lo, 0, v69
	v_cndmask_b32_e32 v69, v71, v84, vcc_lo
; %bb.48:
	s_or_b32 exec_lo, exec_lo, s3
	v_and_b32_e32 v71, 0x7f800000, v72
	s_delay_alu instid0(VALU_DEP_1) | instskip(SKIP_1) | instid1(SALU_CYCLE_1)
	v_cmp_ne_u32_e32 vcc_lo, 0x7f800000, v71
                                        ; implicit-def: $vgpr71
	s_and_saveexec_b32 s3, vcc_lo
	s_xor_b32 s3, exec_lo, s3
; %bb.49:
	v_bfe_u32 v71, v72, 16, 1
	s_delay_alu instid0(VALU_DEP_1)
	v_add3_u32 v71, v72, v71, 0x7fff
                                        ; implicit-def: $vgpr72
; %bb.50:
	s_and_not1_saveexec_b32 s3, s3
; %bb.51:
	v_and_b32_e32 v71, 0xffff, v72
	v_or_b32_e32 v82, 0x10000, v72
	s_delay_alu instid0(VALU_DEP_2) | instskip(NEXT) | instid1(VALU_DEP_2)
	v_cmp_eq_u32_e32 vcc_lo, 0, v71
	v_cndmask_b32_e32 v71, v82, v72, vcc_lo
; %bb.52:
	s_or_b32 exec_lo, exec_lo, s3
	v_and_b32_e32 v72, 0x7f800000, v81
	s_delay_alu instid0(VALU_DEP_1) | instskip(SKIP_1) | instid1(SALU_CYCLE_1)
	v_cmp_ne_u32_e32 vcc_lo, 0x7f800000, v72
                                        ; implicit-def: $vgpr72
	s_and_saveexec_b32 s3, vcc_lo
	s_xor_b32 s3, exec_lo, s3
; %bb.53:
	v_bfe_u32 v72, v81, 16, 1
	s_delay_alu instid0(VALU_DEP_1)
	v_add3_u32 v72, v81, v72, 0x7fff
                                        ; implicit-def: $vgpr81
; %bb.54:
	s_and_not1_saveexec_b32 s3, s3
; %bb.55:
	v_and_b32_e32 v72, 0xffff, v81
	v_or_b32_e32 v82, 0x10000, v81
	s_delay_alu instid0(VALU_DEP_2) | instskip(NEXT) | instid1(VALU_DEP_2)
	v_cmp_eq_u32_e32 vcc_lo, 0, v72
	v_cndmask_b32_e32 v72, v82, v81, vcc_lo
; %bb.56:
	s_or_b32 exec_lo, exec_lo, s3
	v_and_b32_e32 v81, 0x7f800000, v83
	s_delay_alu instid0(VALU_DEP_1) | instskip(SKIP_1) | instid1(SALU_CYCLE_1)
	v_cmp_ne_u32_e32 vcc_lo, 0x7f800000, v81
                                        ; implicit-def: $vgpr81
	s_and_saveexec_b32 s3, vcc_lo
	s_xor_b32 s3, exec_lo, s3
; %bb.57:
	v_bfe_u32 v81, v83, 16, 1
	s_delay_alu instid0(VALU_DEP_1)
	v_add3_u32 v81, v83, v81, 0x7fff
                                        ; implicit-def: $vgpr83
; %bb.58:
	s_and_not1_saveexec_b32 s3, s3
; %bb.59:
	v_and_b32_e32 v81, 0xffff, v83
	v_or_b32_e32 v82, 0x10000, v83
	s_delay_alu instid0(VALU_DEP_2) | instskip(NEXT) | instid1(VALU_DEP_2)
	v_cmp_eq_u32_e32 vcc_lo, 0, v81
	v_cndmask_b32_e32 v81, v82, v83, vcc_lo
; %bb.60:
	s_or_b32 exec_lo, exec_lo, s3
	v_and_b32_e32 v82, 0x7f800000, v77
	s_delay_alu instid0(VALU_DEP_1) | instskip(SKIP_1) | instid1(SALU_CYCLE_1)
	v_cmp_ne_u32_e32 vcc_lo, 0x7f800000, v82
                                        ; implicit-def: $vgpr82
	s_and_saveexec_b32 s3, vcc_lo
	s_xor_b32 s3, exec_lo, s3
; %bb.61:
	v_bfe_u32 v82, v77, 16, 1
	s_delay_alu instid0(VALU_DEP_1)
	v_add3_u32 v82, v77, v82, 0x7fff
                                        ; implicit-def: $vgpr77
; %bb.62:
	s_and_not1_saveexec_b32 s3, s3
; %bb.63:
	v_and_b32_e32 v82, 0xffff, v77
	v_or_b32_e32 v83, 0x10000, v77
	s_delay_alu instid0(VALU_DEP_2) | instskip(NEXT) | instid1(VALU_DEP_2)
	v_cmp_eq_u32_e32 vcc_lo, 0, v82
	v_cndmask_b32_e32 v82, v83, v77, vcc_lo
; %bb.64:
	s_or_b32 exec_lo, exec_lo, s3
	v_and_b32_e32 v77, 0x7f800000, v78
	s_delay_alu instid0(VALU_DEP_1) | instskip(SKIP_1) | instid1(SALU_CYCLE_1)
	v_cmp_ne_u32_e32 vcc_lo, 0x7f800000, v77
                                        ; implicit-def: $vgpr77
	s_and_saveexec_b32 s3, vcc_lo
	s_xor_b32 s3, exec_lo, s3
; %bb.65:
	v_bfe_u32 v77, v78, 16, 1
	s_delay_alu instid0(VALU_DEP_1)
	v_add3_u32 v77, v78, v77, 0x7fff
                                        ; implicit-def: $vgpr78
; %bb.66:
	s_and_not1_saveexec_b32 s3, s3
; %bb.67:
	v_and_b32_e32 v77, 0xffff, v78
	v_or_b32_e32 v83, 0x10000, v78
	s_delay_alu instid0(VALU_DEP_2) | instskip(NEXT) | instid1(VALU_DEP_2)
	v_cmp_eq_u32_e32 vcc_lo, 0, v77
	v_cndmask_b32_e32 v77, v83, v78, vcc_lo
; %bb.68:
	s_or_b32 exec_lo, exec_lo, s3
	v_and_b32_e32 v78, 0x7f800000, v79
	s_delay_alu instid0(VALU_DEP_1) | instskip(SKIP_1) | instid1(SALU_CYCLE_1)
	v_cmp_ne_u32_e32 vcc_lo, 0x7f800000, v78
                                        ; implicit-def: $vgpr78
	s_and_saveexec_b32 s3, vcc_lo
	s_xor_b32 s3, exec_lo, s3
; %bb.69:
	v_bfe_u32 v78, v79, 16, 1
	s_delay_alu instid0(VALU_DEP_1)
	v_add3_u32 v78, v79, v78, 0x7fff
                                        ; implicit-def: $vgpr79
; %bb.70:
	s_and_not1_saveexec_b32 s3, s3
; %bb.71:
	v_and_b32_e32 v78, 0xffff, v79
	v_or_b32_e32 v83, 0x10000, v79
	s_delay_alu instid0(VALU_DEP_2) | instskip(NEXT) | instid1(VALU_DEP_2)
	v_cmp_eq_u32_e32 vcc_lo, 0, v78
	v_cndmask_b32_e32 v78, v83, v79, vcc_lo
; %bb.72:
	s_or_b32 exec_lo, exec_lo, s3
	v_and_b32_e32 v79, 0x7f800000, v70
	s_delay_alu instid0(VALU_DEP_1) | instskip(SKIP_1) | instid1(SALU_CYCLE_1)
	v_cmp_ne_u32_e32 vcc_lo, 0x7f800000, v79
                                        ; implicit-def: $vgpr79
	s_and_saveexec_b32 s3, vcc_lo
	s_xor_b32 s3, exec_lo, s3
; %bb.73:
	v_bfe_u32 v79, v70, 16, 1
	s_delay_alu instid0(VALU_DEP_1)
	v_add3_u32 v79, v70, v79, 0x7fff
                                        ; implicit-def: $vgpr70
; %bb.74:
	s_and_not1_saveexec_b32 s3, s3
; %bb.75:
	v_and_b32_e32 v79, 0xffff, v70
	v_or_b32_e32 v83, 0x10000, v70
	s_delay_alu instid0(VALU_DEP_2) | instskip(NEXT) | instid1(VALU_DEP_2)
	v_cmp_eq_u32_e32 vcc_lo, 0, v79
	v_cndmask_b32_e32 v79, v83, v70, vcc_lo
; %bb.76:
	s_or_b32 exec_lo, exec_lo, s3
	s_delay_alu instid0(VALU_DEP_1)
	v_perm_b32 v86, v79, v78, 0x7060302
	v_perm_b32 v85, v77, v82, 0x7060302
	;; [unrolled: 1-line block ×4, first 2 shown]
	v_lshl_or_b32 v82, v66, 11, v80
	ds_store_b128 v76, v[83:86] offset:1024
	s_waitcnt lgkmcnt(0)
	s_barrier
	buffer_gl0_inv
	ds_load_b128 v[69:72], v82
	ds_load_b128 v[83:86], v82 offset:16
	s_waitcnt lgkmcnt(1)
	v_lshrrev_b32_e32 v66, 16, v69
	s_waitcnt lgkmcnt(0)
	v_lshrrev_b32_e32 v91, 16, v83
	v_lshlrev_b32_e32 v78, 2, v74
	v_lshrrev_b32_e32 v95, 16, v70
	v_lshrrev_b32_e32 v98, 16, v84
	;; [unrolled: 1-line block ×4, first 2 shown]
	v_cmp_eq_u32_e32 vcc_lo, 1, v78
	v_lshrrev_b32_e32 v97, 16, v72
	v_lshrrev_b32_e32 v100, 16, v86
	v_cndmask_b32_e32 v87, v83, v91, vcc_lo
	v_or_b32_e32 v79, 1, v78
	v_cndmask_b32_e32 v81, v69, v66, vcc_lo
	v_cmp_eq_u32_e64 s4, 2, v78
	v_cmp_eq_u32_e64 s7, 3, v78
	;; [unrolled: 1-line block ×5, first 2 shown]
	v_cndmask_b32_e64 v81, v81, v70, s4
	v_cndmask_b32_e64 v87, v87, v84, s4
	v_cmp_eq_u32_e64 s8, 3, v79
	v_cndmask_b32_e64 v88, v69, v66, s3
	v_or_b32_e32 v77, 2, v78
	v_cndmask_b32_e64 v81, v81, v95, s7
	v_cndmask_b32_e64 v87, v87, v98, s7
	;; [unrolled: 1-line block ×4, first 2 shown]
	v_cmp_eq_u32_e64 s10, 5, v78
	v_cndmask_b32_e64 v81, v81, v71, s9
	v_cndmask_b32_e64 v87, v87, v85, s9
	v_cmp_eq_u32_e64 s11, 4, v79
	v_cndmask_b32_e64 v88, v88, v95, s8
	v_cmp_eq_u32_e64 s5, 1, v77
	v_cndmask_b32_e64 v89, v89, v84, s6
	v_cndmask_b32_e64 v81, v81, v96, s10
	v_cmp_eq_u32_e64 s12, 6, v78
	v_cndmask_b32_e64 v88, v88, v71, s11
	;; [unrolled: 3-line block ×3, first 2 shown]
	v_cndmask_b32_e64 v89, v89, v98, s8
	v_cndmask_b32_e64 v81, v81, v72, s12
	v_cmp_eq_u32_e64 s15, 7, v78
	v_cndmask_b32_e64 v88, v88, v96, s13
	v_cndmask_b32_e64 v87, v87, v86, s12
	v_cmp_eq_u32_e64 s16, 6, v79
	v_cmp_eq_u32_e64 s17, 2, v77
	v_cndmask_b32_e64 v89, v89, v85, s11
	v_cndmask_b32_e64 v101, v81, v97, s15
	;; [unrolled: 1-line block ×6, first 2 shown]
	v_cmp_eq_u32_e64 s18, 7, v79
	v_cmp_eq_u32_e64 s19, 3, v77
	;; [unrolled: 1-line block ×4, first 2 shown]
	v_cndmask_b32_e64 v87, v87, v84, s17
	v_cndmask_b32_e64 v103, v88, v97, s18
	v_cndmask_b32_e64 v88, v89, v99, s13
	v_cndmask_b32_e64 v89, v81, v95, s19
	v_or_b32_e32 v81, 3, v78
	v_cndmask_b32_e64 v93, v87, v98, s19
	v_cmp_eq_u32_e64 s24, 6, v77
	v_cndmask_b32_e64 v104, v88, v86, s16
	v_cndmask_b32_e64 v92, v89, v71, s20
	v_cmp_eq_u32_e64 s21, 1, v81
	ds_load_b128 v[87:90], v82 offset:1024
	v_cmp_eq_u32_e64 s23, 2, v81
	v_cmp_eq_u32_e64 s25, 3, v81
	v_cndmask_b32_e64 v105, v92, v96, s22
	v_cndmask_b32_e64 v66, v69, v66, s21
	;; [unrolled: 1-line block ×4, first 2 shown]
	ds_load_b128 v[91:94], v82 offset:1040
	v_cmp_eq_u32_e64 s26, 4, v81
	v_cndmask_b32_e64 v66, v66, v70, s23
	v_cmp_eq_u32_e64 s27, 7, v77
	v_cndmask_b32_e64 v70, v83, v84, s23
	v_cndmask_b32_e64 v84, v105, v72, s24
	v_cmp_eq_u32_e64 s28, 5, v81
	v_cndmask_b32_e64 v66, v66, v95, s25
	v_cmp_eq_u32_e64 s29, 6, v81
	v_cndmask_b32_e64 v70, v70, v98, s25
	v_cndmask_b32_e64 v69, v69, v99, s22
	v_cndmask_b32_e64 v83, v104, v100, s18
	v_cndmask_b32_e64 v66, v66, v71, s26
	s_waitcnt lgkmcnt(1)
	v_lshrrev_b32_e32 v95, 16, v87
	v_cndmask_b32_e64 v70, v70, v85, s26
	v_cndmask_b32_e64 v71, v84, v97, s27
	;; [unrolled: 1-line block ×4, first 2 shown]
	v_cndmask_b32_e32 v84, v87, v95, vcc_lo
	v_cndmask_b32_e64 v70, v70, v99, s28
	s_waitcnt lgkmcnt(0)
	v_lshrrev_b32_e32 v85, 16, v91
	v_lshrrev_b32_e32 v96, 16, v88
	v_cndmask_b32_e64 v98, v87, v95, s3
	v_cndmask_b32_e64 v84, v84, v88, s4
	;; [unrolled: 1-line block ×3, first 2 shown]
	v_cndmask_b32_e32 v99, v91, v85, vcc_lo
	v_cmp_eq_u32_e32 vcc_lo, 7, v81
	v_cndmask_b32_e64 v66, v66, v72, s29
	v_cndmask_b32_e64 v72, v84, v96, s7
	;; [unrolled: 1-line block ×3, first 2 shown]
	v_lshrrev_b32_e32 v98, 16, v92
	v_cndmask_b32_e32 v70, v70, v100, vcc_lo
	v_cndmask_b32_e64 v86, v99, v92, s4
	v_cndmask_b32_e64 v69, v69, v100, s27
	v_lshrrev_b32_e32 v100, 16, v93
	v_cndmask_b32_e64 v72, v72, v89, s9
	v_lshrrev_b32_e32 v99, 16, v89
	v_cndmask_b32_e64 v86, v86, v98, s7
	v_perm_b32 v71, v69, v71, 0x5040100
	v_cndmask_b32_e64 v84, v84, v96, s8
	s_delay_alu instid0(VALU_DEP_3) | instskip(NEXT) | instid1(VALU_DEP_2)
	v_cndmask_b32_e64 v86, v86, v93, s9
	v_cndmask_b32_e64 v84, v84, v89, s11
	s_delay_alu instid0(VALU_DEP_2) | instskip(NEXT) | instid1(VALU_DEP_1)
	v_cndmask_b32_e64 v86, v86, v100, s10
	v_cndmask_b32_e64 v69, v86, v94, s12
	;; [unrolled: 1-line block ×5, first 2 shown]
	s_delay_alu instid0(VALU_DEP_3) | instskip(NEXT) | instid1(VALU_DEP_3)
	v_cndmask_b32_e64 v86, v86, v88, s17
	v_cndmask_b32_e64 v87, v87, v88, s23
	s_delay_alu instid0(VALU_DEP_3) | instskip(NEXT) | instid1(VALU_DEP_3)
	v_cndmask_b32_e64 v88, v95, v92, s23
	v_cndmask_b32_e64 v86, v86, v96, s19
	;; [unrolled: 3-line block ×7, first 2 shown]
	s_delay_alu instid0(VALU_DEP_3) | instskip(SKIP_2) | instid1(VALU_DEP_2)
	v_cndmask_b32_e64 v88, v88, v94, s29
	v_cndmask_b32_e32 v66, v66, v97, vcc_lo
	v_cndmask_b32_e64 v97, v72, v99, s10
	v_perm_b32 v72, v70, v66, 0x5040100
	v_perm_b32 v70, v83, v103, 0x5040100
	v_cndmask_b32_e64 v103, v91, v85, s5
	v_cndmask_b32_e64 v85, v91, v85, s3
	;; [unrolled: 1-line block ×4, first 2 shown]
	v_lshrrev_b32_e32 v97, 16, v90
	v_cndmask_b32_e64 v91, v103, v92, s17
	v_cndmask_b32_e64 v85, v85, v92, s6
	;; [unrolled: 1-line block ×3, first 2 shown]
	s_mov_b32 s3, exec_lo
	v_cndmask_b32_e64 v83, v84, v97, s15
	v_cndmask_b32_e64 v91, v91, v98, s19
	;; [unrolled: 1-line block ×3, first 2 shown]
	v_lshrrev_b32_e32 v84, 16, v94
	v_cndmask_b32_e64 v66, v66, v97, s18
	v_cndmask_b32_e64 v90, v86, v97, s27
	;; [unrolled: 1-line block ×4, first 2 shown]
	v_dual_cndmask_b32 v86, v87, v97 :: v_dual_cndmask_b32 v87, v88, v84
	v_cndmask_b32_e64 v91, v69, v84, s15
	s_delay_alu instid0(VALU_DEP_4) | instskip(NEXT) | instid1(VALU_DEP_4)
	v_cndmask_b32_e64 v89, v89, v100, s22
	v_cndmask_b32_e64 v85, v85, v100, s13
	v_perm_b32 v69, v102, v101, 0x5040100
	v_perm_b32 v86, v87, v86, 0x5040100
	v_perm_b32 v83, v91, v83, 0x5040100
	v_cndmask_b32_e64 v89, v89, v94, s24
	v_cndmask_b32_e64 v85, v85, v94, s16
	s_mul_i32 s8, s35, 7
	s_delay_alu instid0(VALU_DEP_2) | instskip(NEXT) | instid1(VALU_DEP_2)
	v_cndmask_b32_e64 v88, v89, v84, s27
	v_cndmask_b32_e64 v89, v85, v84, s18
	s_delay_alu instid0(VALU_DEP_2) | instskip(NEXT) | instid1(VALU_DEP_2)
	v_perm_b32 v85, v88, v90, 0x5040100
	v_perm_b32 v84, v89, v66, 0x5040100
	ds_store_b128 v76, v[69:72]
	ds_store_b128 v76, v[83:86] offset:1024
	v_cmpx_gt_u32_e32 7, v0
	s_cbranch_execz .LBB1860_78
; %bb.77:
	s_mul_i32 s4, s8, s30
	s_delay_alu instid0(SALU_CYCLE_1) | instskip(SKIP_1) | instid1(VALU_DEP_1)
	v_add3_u32 v69, s4, s31, v65
	s_load_b128 s[4:7], s[0:1], 0x58
	v_mad_u64_u32 v[65:66], null, v69, s34, s[14:15]
	s_delay_alu instid0(VALU_DEP_1) | instskip(NEXT) | instid1(VALU_DEP_1)
	v_ashrrev_i32_e32 v66, 31, v65
	v_lshlrev_b64 v[65:66], 2, v[65:66]
	s_waitcnt lgkmcnt(0)
	s_delay_alu instid0(VALU_DEP_1) | instskip(NEXT) | instid1(VALU_DEP_2)
	v_add_co_u32 v69, vcc_lo, s6, v65
	v_add_co_ci_u32_e32 v70, vcc_lo, s7, v66, vcc_lo
	v_add_co_u32 v65, vcc_lo, s4, v65
	v_add_co_ci_u32_e32 v66, vcc_lo, s5, v66, vcc_lo
	global_store_b32 v[69:70], v67, off
	global_store_b32 v[65:66], v68, off
.LBB1860_78:
	s_or_b32 exec_lo, exec_lo, s3
	s_waitcnt lgkmcnt(0)
	s_waitcnt_vscnt null, 0x0
	s_barrier
	buffer_gl0_inv
	ds_load_b128 v[83:86], v80
	ds_load_b128 v[87:90], v80 offset:16
	ds_load_b128 v[95:98], v80 offset:2064
	;; [unrolled: 1-line block ×3, first 2 shown]
	v_mov_b32_e32 v65, 0
	ds_load_b128 v[103:106], v80 offset:4112
	ds_load_b128 v[99:102], v80 offset:4096
	;; [unrolled: 1-line block ×4, first 2 shown]
	v_mov_b32_e32 v66, v65
	v_mov_b32_e32 v67, v65
	;; [unrolled: 1-line block ×7, first 2 shown]
	s_waitcnt lgkmcnt(6)
	s_delay_alu instid0(VALU_DEP_1)
	v_wmma_f32_16x16x16_bf16 v[65:72], v[41:48], v[83:90], v[65:72]
	ds_load_b128 v[45:48], v80 offset:8208
	ds_load_b128 v[41:44], v80 offset:8192
	s_waitcnt lgkmcnt(6)
	v_wmma_f32_16x16x16_bf16 v[65:72], v[33:40], v[91:98], v[65:72]
	ds_load_b128 v[37:40], v80 offset:10256
	ds_load_b128 v[33:36], v80 offset:10240
	s_waitcnt lgkmcnt(6)
	;; [unrolled: 4-line block ×4, first 2 shown]
	v_wmma_f32_16x16x16_bf16 v[65:72], v[1:8], v[41:48], v[65:72]
	s_waitcnt lgkmcnt(4)
	s_delay_alu instid0(VALU_DEP_1) | instskip(SKIP_1) | instid1(VALU_DEP_1)
	v_wmma_f32_16x16x16_bf16 v[65:72], v[9:16], v[33:40], v[65:72]
	s_waitcnt lgkmcnt(2)
	v_wmma_f32_16x16x16_bf16 v[65:72], v[57:64], v[25:32], v[65:72]
	s_waitcnt lgkmcnt(0)
	s_delay_alu instid0(VALU_DEP_1) | instskip(NEXT) | instid1(VALU_DEP_1)
	v_wmma_f32_16x16x16_bf16 v[65:72], v[49:56], v[17:24], v[65:72]
	v_and_b32_e32 v1, 0x7f800000, v65
	s_delay_alu instid0(VALU_DEP_1) | instskip(SKIP_1) | instid1(SALU_CYCLE_1)
	v_cmp_ne_u32_e32 vcc_lo, 0x7f800000, v1
                                        ; implicit-def: $vgpr1
	s_and_saveexec_b32 s3, vcc_lo
	s_xor_b32 s3, exec_lo, s3
; %bb.79:
	v_bfe_u32 v1, v65, 16, 1
	s_delay_alu instid0(VALU_DEP_1)
	v_add3_u32 v1, v65, v1, 0x7fff
; %bb.80:
	s_and_not1_saveexec_b32 s3, s3
; %bb.81:
	v_and_b32_e32 v1, 0xffff, v65
	v_or_b32_e32 v2, 0x10000, v65
	s_delay_alu instid0(VALU_DEP_2) | instskip(NEXT) | instid1(VALU_DEP_2)
	v_cmp_eq_u32_e32 vcc_lo, 0, v1
	v_cndmask_b32_e32 v1, v2, v65, vcc_lo
; %bb.82:
	s_or_b32 exec_lo, exec_lo, s3
	v_and_b32_e32 v2, 0x7f800000, v66
	s_delay_alu instid0(VALU_DEP_1) | instskip(SKIP_1) | instid1(SALU_CYCLE_1)
	v_cmp_ne_u32_e32 vcc_lo, 0x7f800000, v2
                                        ; implicit-def: $vgpr2
	s_and_saveexec_b32 s3, vcc_lo
	s_xor_b32 s3, exec_lo, s3
; %bb.83:
	v_bfe_u32 v2, v66, 16, 1
	s_delay_alu instid0(VALU_DEP_1)
	v_add3_u32 v2, v66, v2, 0x7fff
; %bb.84:
	s_and_not1_saveexec_b32 s3, s3
; %bb.85:
	v_and_b32_e32 v2, 0xffff, v66
	v_or_b32_e32 v3, 0x10000, v66
	s_delay_alu instid0(VALU_DEP_2) | instskip(NEXT) | instid1(VALU_DEP_2)
	v_cmp_eq_u32_e32 vcc_lo, 0, v2
	v_cndmask_b32_e32 v2, v3, v66, vcc_lo
; %bb.86:
	s_or_b32 exec_lo, exec_lo, s3
	v_and_b32_e32 v3, 0x7f800000, v67
	s_delay_alu instid0(VALU_DEP_1) | instskip(SKIP_1) | instid1(SALU_CYCLE_1)
	v_cmp_ne_u32_e32 vcc_lo, 0x7f800000, v3
                                        ; implicit-def: $vgpr3
	s_and_saveexec_b32 s3, vcc_lo
	s_xor_b32 s3, exec_lo, s3
; %bb.87:
	v_bfe_u32 v3, v67, 16, 1
	s_delay_alu instid0(VALU_DEP_1)
	v_add3_u32 v3, v67, v3, 0x7fff
; %bb.88:
	s_and_not1_saveexec_b32 s3, s3
; %bb.89:
	v_and_b32_e32 v3, 0xffff, v67
	v_or_b32_e32 v4, 0x10000, v67
	s_delay_alu instid0(VALU_DEP_2) | instskip(NEXT) | instid1(VALU_DEP_2)
	v_cmp_eq_u32_e32 vcc_lo, 0, v3
	v_cndmask_b32_e32 v3, v4, v67, vcc_lo
; %bb.90:
	s_or_b32 exec_lo, exec_lo, s3
	v_and_b32_e32 v4, 0x7f800000, v68
	s_delay_alu instid0(VALU_DEP_1) | instskip(SKIP_1) | instid1(SALU_CYCLE_1)
	v_cmp_ne_u32_e32 vcc_lo, 0x7f800000, v4
                                        ; implicit-def: $vgpr4
	s_and_saveexec_b32 s3, vcc_lo
	s_xor_b32 s3, exec_lo, s3
; %bb.91:
	v_bfe_u32 v4, v68, 16, 1
	s_delay_alu instid0(VALU_DEP_1)
	v_add3_u32 v4, v68, v4, 0x7fff
; %bb.92:
	s_and_not1_saveexec_b32 s3, s3
; %bb.93:
	v_and_b32_e32 v4, 0xffff, v68
	v_or_b32_e32 v5, 0x10000, v68
	s_delay_alu instid0(VALU_DEP_2) | instskip(NEXT) | instid1(VALU_DEP_2)
	v_cmp_eq_u32_e32 vcc_lo, 0, v4
	v_cndmask_b32_e32 v4, v5, v68, vcc_lo
; %bb.94:
	s_or_b32 exec_lo, exec_lo, s3
	v_and_b32_e32 v5, 0x7f800000, v69
	s_delay_alu instid0(VALU_DEP_1) | instskip(SKIP_1) | instid1(SALU_CYCLE_1)
	v_cmp_ne_u32_e32 vcc_lo, 0x7f800000, v5
                                        ; implicit-def: $vgpr5
	s_and_saveexec_b32 s3, vcc_lo
	s_xor_b32 s3, exec_lo, s3
; %bb.95:
	v_bfe_u32 v5, v69, 16, 1
	s_delay_alu instid0(VALU_DEP_1)
	v_add3_u32 v5, v69, v5, 0x7fff
; %bb.96:
	s_and_not1_saveexec_b32 s3, s3
; %bb.97:
	v_and_b32_e32 v5, 0xffff, v69
	v_or_b32_e32 v6, 0x10000, v69
	s_delay_alu instid0(VALU_DEP_2) | instskip(NEXT) | instid1(VALU_DEP_2)
	v_cmp_eq_u32_e32 vcc_lo, 0, v5
	v_cndmask_b32_e32 v5, v6, v69, vcc_lo
; %bb.98:
	s_or_b32 exec_lo, exec_lo, s3
	v_and_b32_e32 v6, 0x7f800000, v70
	s_delay_alu instid0(VALU_DEP_1) | instskip(SKIP_1) | instid1(SALU_CYCLE_1)
	v_cmp_ne_u32_e32 vcc_lo, 0x7f800000, v6
                                        ; implicit-def: $vgpr6
	s_and_saveexec_b32 s3, vcc_lo
	s_xor_b32 s3, exec_lo, s3
; %bb.99:
	v_bfe_u32 v6, v70, 16, 1
	s_delay_alu instid0(VALU_DEP_1)
	v_add3_u32 v6, v70, v6, 0x7fff
; %bb.100:
	s_and_not1_saveexec_b32 s3, s3
; %bb.101:
	v_and_b32_e32 v6, 0xffff, v70
	v_or_b32_e32 v7, 0x10000, v70
	s_delay_alu instid0(VALU_DEP_2) | instskip(NEXT) | instid1(VALU_DEP_2)
	v_cmp_eq_u32_e32 vcc_lo, 0, v6
	v_cndmask_b32_e32 v6, v7, v70, vcc_lo
; %bb.102:
	s_or_b32 exec_lo, exec_lo, s3
	v_and_b32_e32 v7, 0x7f800000, v71
	s_delay_alu instid0(VALU_DEP_1) | instskip(SKIP_1) | instid1(SALU_CYCLE_1)
	v_cmp_ne_u32_e32 vcc_lo, 0x7f800000, v7
                                        ; implicit-def: $vgpr7
	s_and_saveexec_b32 s3, vcc_lo
	s_xor_b32 s3, exec_lo, s3
; %bb.103:
	v_bfe_u32 v7, v71, 16, 1
	s_delay_alu instid0(VALU_DEP_1)
	v_add3_u32 v7, v71, v7, 0x7fff
; %bb.104:
	s_and_not1_saveexec_b32 s3, s3
; %bb.105:
	v_and_b32_e32 v7, 0xffff, v71
	v_or_b32_e32 v8, 0x10000, v71
	s_delay_alu instid0(VALU_DEP_2) | instskip(NEXT) | instid1(VALU_DEP_2)
	v_cmp_eq_u32_e32 vcc_lo, 0, v7
	v_cndmask_b32_e32 v7, v8, v71, vcc_lo
; %bb.106:
	s_or_b32 exec_lo, exec_lo, s3
	v_and_b32_e32 v8, 0x7f800000, v72
	s_delay_alu instid0(VALU_DEP_1) | instskip(SKIP_1) | instid1(SALU_CYCLE_1)
	v_cmp_ne_u32_e32 vcc_lo, 0x7f800000, v8
                                        ; implicit-def: $vgpr8
	s_and_saveexec_b32 s3, vcc_lo
	s_xor_b32 s3, exec_lo, s3
; %bb.107:
	v_bfe_u32 v8, v72, 16, 1
	s_delay_alu instid0(VALU_DEP_1)
	v_add3_u32 v8, v72, v8, 0x7fff
                                        ; implicit-def: $vgpr65_vgpr66_vgpr67_vgpr68_vgpr69_vgpr70_vgpr71_vgpr72
; %bb.108:
	s_and_not1_saveexec_b32 s3, s3
; %bb.109:
	v_and_b32_e32 v8, 0xffff, v72
	v_or_b32_e32 v9, 0x10000, v72
	s_delay_alu instid0(VALU_DEP_2) | instskip(NEXT) | instid1(VALU_DEP_2)
	v_cmp_eq_u32_e32 vcc_lo, 0, v8
	v_cndmask_b32_e32 v8, v9, v72, vcc_lo
; %bb.110:
	s_or_b32 exec_lo, exec_lo, s3
	s_delay_alu instid0(VALU_DEP_1)
	v_perm_b32 v7, v8, v7, 0x7060302
	v_perm_b32 v6, v6, v5, 0x7060302
	;; [unrolled: 1-line block ×4, first 2 shown]
	s_barrier
	buffer_gl0_inv
	v_cmp_eq_u32_e32 vcc_lo, 1, v78
	ds_store_b128 v76, v[4:7]
	s_waitcnt lgkmcnt(0)
	s_barrier
	buffer_gl0_inv
	ds_load_b128 v[1:4], v82
	ds_load_b128 v[5:8], v82 offset:16
	v_cmp_eq_u32_e64 s3, 1, v79
	v_cmp_eq_u32_e64 s4, 2, v78
	v_cmp_eq_u32_e64 s5, 3, v78
	v_cmp_eq_u32_e64 s7, 2, v77
	v_cmp_eq_u32_e64 s6, 7, v79
	s_waitcnt lgkmcnt(1)
	v_lshrrev_b32_e32 v9, 16, v1
	s_waitcnt lgkmcnt(0)
	v_lshrrev_b32_e32 v13, 16, v5
	v_lshrrev_b32_e32 v10, 16, v2
	;; [unrolled: 1-line block ×4, first 2 shown]
	v_cndmask_b32_e64 v19, v1, v9, s3
	v_cndmask_b32_e32 v18, v5, v13, vcc_lo
	v_cndmask_b32_e64 v20, v5, v13, s3
	v_cndmask_b32_e32 v17, v1, v9, vcc_lo
	v_cmp_eq_u32_e32 vcc_lo, 2, v79
	v_lshrrev_b32_e32 v15, 16, v7
	v_cmp_eq_u32_e64 s3, 1, v77
	v_lshrrev_b32_e32 v12, 16, v4
	v_lshrrev_b32_e32 v16, 16, v8
	v_cndmask_b32_e32 v20, v20, v6, vcc_lo
	v_cndmask_b32_e64 v17, v17, v2, s4
	v_cndmask_b32_e32 v19, v19, v2, vcc_lo
	v_cndmask_b32_e64 v18, v18, v6, s4
	v_cmp_eq_u32_e32 vcc_lo, 4, v78
	v_cmp_eq_u32_e64 s4, 3, v79
	v_cndmask_b32_e64 v17, v17, v10, s5
	v_cndmask_b32_e64 v21, v1, v9, s3
	v_cndmask_b32_e64 v18, v18, v14, s5
	v_cndmask_b32_e64 v22, v5, v13, s3
	v_cndmask_b32_e64 v19, v19, v10, s4
	v_cndmask_b32_e32 v17, v17, v3, vcc_lo
	v_cndmask_b32_e64 v20, v20, v14, s4
	v_cndmask_b32_e32 v18, v18, v7, vcc_lo
	v_cmp_eq_u32_e32 vcc_lo, 4, v79
	v_cmp_eq_u32_e64 s4, 5, v79
	v_cmp_eq_u32_e64 s3, 2, v81
	v_cndmask_b32_e64 v21, v21, v2, s7
	v_cmp_eq_u32_e64 s5, 5, v78
	v_cndmask_b32_e32 v19, v19, v3, vcc_lo
	v_cndmask_b32_e32 v20, v20, v7, vcc_lo
	v_cmp_eq_u32_e32 vcc_lo, 6, v79
	s_delay_alu instid0(VALU_DEP_4) | instskip(NEXT) | instid1(VALU_DEP_4)
	v_cndmask_b32_e64 v17, v17, v11, s5
	v_cndmask_b32_e64 v19, v19, v11, s4
	s_delay_alu instid0(VALU_DEP_4) | instskip(SKIP_1) | instid1(VALU_DEP_3)
	v_cndmask_b32_e64 v20, v20, v15, s4
	v_cmp_eq_u32_e64 s4, 1, v81
	v_cndmask_b32_e32 v19, v19, v4, vcc_lo
	v_cndmask_b32_e64 v18, v18, v15, s5
	s_delay_alu instid0(VALU_DEP_3)
	v_cndmask_b32_e64 v1, v1, v9, s4
	v_cndmask_b32_e64 v5, v5, v13, s4
	v_cmp_eq_u32_e64 s4, 3, v77
	v_cndmask_b32_e64 v13, v22, v6, s7
	v_cmp_eq_u32_e64 s7, 3, v81
	v_cndmask_b32_e64 v1, v1, v2, s3
	v_cndmask_b32_e64 v2, v5, v6, s3
	;; [unrolled: 1-line block ×3, first 2 shown]
	v_cmp_eq_u32_e64 s3, 4, v77
	v_cndmask_b32_e64 v6, v13, v14, s4
	v_cndmask_b32_e64 v1, v1, v10, s7
	v_cmp_eq_u32_e64 s4, 4, v81
	v_cndmask_b32_e64 v2, v2, v14, s7
	v_cndmask_b32_e64 v5, v9, v3, s3
	;; [unrolled: 3-line block ×3, first 2 shown]
	v_cndmask_b32_e64 v2, v2, v7, s4
	v_cmp_eq_u32_e64 s3, 5, v81
	v_cmp_eq_u32_e64 s5, 6, v78
	v_cndmask_b32_e64 v5, v5, v11, s7
	v_cmp_eq_u32_e64 s4, 6, v77
	v_cndmask_b32_e64 v3, v6, v15, s7
	v_cndmask_b32_e64 v1, v1, v11, s3
	v_cmp_eq_u32_e64 s7, 6, v81
	v_cndmask_b32_e64 v2, v2, v15, s3
	v_cndmask_b32_e64 v17, v17, v4, s5
	v_cndmask_b32_e64 v18, v18, v8, s5
	v_cmp_eq_u32_e64 s5, 7, v78
	v_cndmask_b32_e64 v5, v5, v4, s4
	;; [unrolled: 4-line block ×3, first 2 shown]
	v_cmp_eq_u32_e64 s4, 7, v77
	v_cndmask_b32_e32 v4, v20, v8, vcc_lo
	v_cndmask_b32_e64 v17, v17, v12, s5
	v_cndmask_b32_e64 v19, v19, v12, s6
	;; [unrolled: 1-line block ×8, first 2 shown]
	s_mov_b32 s3, exec_lo
	v_perm_b32 v4, v2, v1, 0x5040100
	v_perm_b32 v3, v3, v5, 0x5040100
	;; [unrolled: 1-line block ×4, first 2 shown]
	ds_store_b128 v76, v[1:4]
	s_waitcnt lgkmcnt(0)
	s_barrier
	buffer_gl0_inv
	v_cmpx_gt_u32_e32 32, v0
	s_cbranch_execz .LBB1860_2
; %bb.111:
	s_load_b64 s[4:5], s[0:1], 0x68
	v_lshlrev_b32_e32 v0, 10, v0
	v_add_nc_u32_e32 v2, s31, v74
	v_lshlrev_b32_e32 v3, 4, v75
	s_lshl_b32 s0, s34, 7
	s_delay_alu instid0(SALU_CYCLE_1) | instskip(NEXT) | instid1(VALU_DEP_2)
	s_mul_i32 s1, s0, s30
	v_mul_lo_u32 v1, v2, s0
	s_delay_alu instid0(VALU_DEP_2)
	v_and_or_b32 v0, 0x3800, v0, v3
	v_add_nc_u32_e32 v3, 2, v2
	s_mul_i32 s6, s1, s8
	v_add_nc_u32_e32 v4, 4, v2
	s_ashr_i32 s7, s6, 31
	v_lshl_or_b32 v11, v74, 6, v0
	s_lshl_b64 s[6:7], s[6:7], 1
	v_mul_lo_u32 v15, v3, s0
	v_mul_lo_u32 v17, v4, s0
	v_ashrrev_i32_e32 v2, 31, v1
	ds_load_b128 v[3:6], v11
	ds_load_b128 v[7:10], v11 offset:128
	ds_load_b128 v[11:14], v11 offset:256
	s_waitcnt lgkmcnt(0)
	s_add_u32 s1, s4, s6
	s_addc_u32 s3, s5, s7
	s_lshl_b32 s4, s14, 7
	v_ashrrev_i32_e32 v16, 31, v15
	s_ashr_i32 s5, s4, 31
	v_lshlrev_b64 v[19:20], 1, v[1:2]
	s_lshl_b64 s[4:5], s[4:5], 1
	v_ashrrev_i32_e32 v18, 31, v17
	s_add_u32 s1, s1, s4
	s_addc_u32 s3, s3, s5
	v_add_co_u32 v1, s1, s1, v73
	s_delay_alu instid0(VALU_DEP_1) | instskip(SKIP_1) | instid1(VALU_DEP_3)
	v_add_co_ci_u32_e64 v2, null, s3, 0, s1
	v_lshlrev_b64 v[15:16], 1, v[15:16]
	v_add_co_u32 v19, vcc_lo, v1, v19
	v_lshlrev_b64 v[17:18], 1, v[17:18]
	s_delay_alu instid0(VALU_DEP_4) | instskip(NEXT) | instid1(VALU_DEP_4)
	v_add_co_ci_u32_e32 v20, vcc_lo, v2, v20, vcc_lo
	v_add_co_u32 v15, vcc_lo, v1, v15
	v_add_co_ci_u32_e32 v16, vcc_lo, v2, v16, vcc_lo
	s_delay_alu instid0(VALU_DEP_4)
	v_add_co_u32 v17, vcc_lo, v1, v17
	v_add_co_ci_u32_e32 v18, vcc_lo, v2, v18, vcc_lo
	s_clause 0x2
	global_store_b128 v[19:20], v[3:6], off
	global_store_b128 v[15:16], v[7:10], off
	;; [unrolled: 1-line block ×3, first 2 shown]
	s_and_b32 exec_lo, exec_lo, s2
	s_cbranch_execz .LBB1860_2
; %bb.112:
	ds_load_b128 v[3:6], v0 offset:384
	s_add_i32 s1, s31, 6
	s_delay_alu instid0(SALU_CYCLE_1) | instskip(NEXT) | instid1(SALU_CYCLE_1)
	s_mul_i32 s0, s1, s0
	s_ashr_i32 s1, s0, 31
	s_delay_alu instid0(SALU_CYCLE_1) | instskip(NEXT) | instid1(SALU_CYCLE_1)
	s_lshl_b64 s[0:1], s[0:1], 1
	v_add_co_u32 v0, vcc_lo, v1, s0
	v_add_co_ci_u32_e32 v1, vcc_lo, s1, v2, vcc_lo
	s_waitcnt lgkmcnt(0)
	global_store_b128 v[0:1], v[3:6], off
	s_nop 0
	s_sendmsg sendmsg(MSG_DEALLOC_VGPRS)
	s_endpgm
	.section	.rodata,"a",@progbits
	.p2align	6, 0x0
	.amdhsa_kernel _Z39paged_attention_ll4mi_QKV_mfma16_kernelI14__hip_bfloat16hLN4vllm18Fp8KVCacheDataTypeE1EhLi32ELi128ELi256ELb1ELi7EL8MFMAType0EEvPKT_PKT0_S9_ifPKiSB_SB_iPKfiiiPfSE_PS4_PT2_iSD_SD_
		.amdhsa_group_segment_fixed_size 17472
		.amdhsa_private_segment_fixed_size 0
		.amdhsa_kernarg_size 400
		.amdhsa_user_sgpr_count 13
		.amdhsa_user_sgpr_dispatch_ptr 0
		.amdhsa_user_sgpr_queue_ptr 0
		.amdhsa_user_sgpr_kernarg_segment_ptr 1
		.amdhsa_user_sgpr_dispatch_id 0
		.amdhsa_user_sgpr_private_segment_size 0
		.amdhsa_wavefront_size32 1
		.amdhsa_uses_dynamic_stack 0
		.amdhsa_enable_private_segment 0
		.amdhsa_system_sgpr_workgroup_id_x 1
		.amdhsa_system_sgpr_workgroup_id_y 1
		.amdhsa_system_sgpr_workgroup_id_z 1
		.amdhsa_system_sgpr_workgroup_info 0
		.amdhsa_system_vgpr_workitem_id 0
		.amdhsa_next_free_vgpr 140
		.amdhsa_next_free_sgpr 36
		.amdhsa_reserve_vcc 1
		.amdhsa_float_round_mode_32 0
		.amdhsa_float_round_mode_16_64 0
		.amdhsa_float_denorm_mode_32 3
		.amdhsa_float_denorm_mode_16_64 3
		.amdhsa_dx10_clamp 1
		.amdhsa_ieee_mode 1
		.amdhsa_fp16_overflow 0
		.amdhsa_workgroup_processor_mode 1
		.amdhsa_memory_ordered 1
		.amdhsa_forward_progress 0
		.amdhsa_shared_vgpr_count 0
		.amdhsa_exception_fp_ieee_invalid_op 0
		.amdhsa_exception_fp_denorm_src 0
		.amdhsa_exception_fp_ieee_div_zero 0
		.amdhsa_exception_fp_ieee_overflow 0
		.amdhsa_exception_fp_ieee_underflow 0
		.amdhsa_exception_fp_ieee_inexact 0
		.amdhsa_exception_int_div_zero 0
	.end_amdhsa_kernel
	.section	.text._Z39paged_attention_ll4mi_QKV_mfma16_kernelI14__hip_bfloat16hLN4vllm18Fp8KVCacheDataTypeE1EhLi32ELi128ELi256ELb1ELi7EL8MFMAType0EEvPKT_PKT0_S9_ifPKiSB_SB_iPKfiiiPfSE_PS4_PT2_iSD_SD_,"axG",@progbits,_Z39paged_attention_ll4mi_QKV_mfma16_kernelI14__hip_bfloat16hLN4vllm18Fp8KVCacheDataTypeE1EhLi32ELi128ELi256ELb1ELi7EL8MFMAType0EEvPKT_PKT0_S9_ifPKiSB_SB_iPKfiiiPfSE_PS4_PT2_iSD_SD_,comdat
.Lfunc_end1860:
	.size	_Z39paged_attention_ll4mi_QKV_mfma16_kernelI14__hip_bfloat16hLN4vllm18Fp8KVCacheDataTypeE1EhLi32ELi128ELi256ELb1ELi7EL8MFMAType0EEvPKT_PKT0_S9_ifPKiSB_SB_iPKfiiiPfSE_PS4_PT2_iSD_SD_, .Lfunc_end1860-_Z39paged_attention_ll4mi_QKV_mfma16_kernelI14__hip_bfloat16hLN4vllm18Fp8KVCacheDataTypeE1EhLi32ELi128ELi256ELb1ELi7EL8MFMAType0EEvPKT_PKT0_S9_ifPKiSB_SB_iPKfiiiPfSE_PS4_PT2_iSD_SD_
                                        ; -- End function
	.section	.AMDGPU.csdata,"",@progbits
; Kernel info:
; codeLenInByte = 8964
; NumSgprs: 38
; NumVgprs: 140
; ScratchSize: 0
; MemoryBound: 0
; FloatMode: 240
; IeeeMode: 1
; LDSByteSize: 17472 bytes/workgroup (compile time only)
; SGPRBlocks: 4
; VGPRBlocks: 17
; NumSGPRsForWavesPerEU: 38
; NumVGPRsForWavesPerEU: 140
; Occupancy: 10
; WaveLimiterHint : 1
; COMPUTE_PGM_RSRC2:SCRATCH_EN: 0
; COMPUTE_PGM_RSRC2:USER_SGPR: 13
; COMPUTE_PGM_RSRC2:TRAP_HANDLER: 0
; COMPUTE_PGM_RSRC2:TGID_X_EN: 1
; COMPUTE_PGM_RSRC2:TGID_Y_EN: 1
; COMPUTE_PGM_RSRC2:TGID_Z_EN: 1
; COMPUTE_PGM_RSRC2:TIDIG_COMP_CNT: 0
	.section	.text._Z39paged_attention_ll4mi_QKV_mfma16_kernelI14__hip_bfloat16hLN4vllm18Fp8KVCacheDataTypeE1EhLi32ELi128ELi256ELb1ELi8EL8MFMAType0EEvPKT_PKT0_S9_ifPKiSB_SB_iPKfiiiPfSE_PS4_PT2_iSD_SD_,"axG",@progbits,_Z39paged_attention_ll4mi_QKV_mfma16_kernelI14__hip_bfloat16hLN4vllm18Fp8KVCacheDataTypeE1EhLi32ELi128ELi256ELb1ELi8EL8MFMAType0EEvPKT_PKT0_S9_ifPKiSB_SB_iPKfiiiPfSE_PS4_PT2_iSD_SD_,comdat
	.protected	_Z39paged_attention_ll4mi_QKV_mfma16_kernelI14__hip_bfloat16hLN4vllm18Fp8KVCacheDataTypeE1EhLi32ELi128ELi256ELb1ELi8EL8MFMAType0EEvPKT_PKT0_S9_ifPKiSB_SB_iPKfiiiPfSE_PS4_PT2_iSD_SD_ ; -- Begin function _Z39paged_attention_ll4mi_QKV_mfma16_kernelI14__hip_bfloat16hLN4vllm18Fp8KVCacheDataTypeE1EhLi32ELi128ELi256ELb1ELi8EL8MFMAType0EEvPKT_PKT0_S9_ifPKiSB_SB_iPKfiiiPfSE_PS4_PT2_iSD_SD_
	.globl	_Z39paged_attention_ll4mi_QKV_mfma16_kernelI14__hip_bfloat16hLN4vllm18Fp8KVCacheDataTypeE1EhLi32ELi128ELi256ELb1ELi8EL8MFMAType0EEvPKT_PKT0_S9_ifPKiSB_SB_iPKfiiiPfSE_PS4_PT2_iSD_SD_
	.p2align	8
	.type	_Z39paged_attention_ll4mi_QKV_mfma16_kernelI14__hip_bfloat16hLN4vllm18Fp8KVCacheDataTypeE1EhLi32ELi128ELi256ELb1ELi8EL8MFMAType0EEvPKT_PKT0_S9_ifPKiSB_SB_iPKfiiiPfSE_PS4_PT2_iSD_SD_,@function
_Z39paged_attention_ll4mi_QKV_mfma16_kernelI14__hip_bfloat16hLN4vllm18Fp8KVCacheDataTypeE1EhLi32ELi128ELi256ELb1ELi8EL8MFMAType0EEvPKT_PKT0_S9_ifPKiSB_SB_iPKfiiiPfSE_PS4_PT2_iSD_SD_: ; @_Z39paged_attention_ll4mi_QKV_mfma16_kernelI14__hip_bfloat16hLN4vllm18Fp8KVCacheDataTypeE1EhLi32ELi128ELi256ELb1ELi8EL8MFMAType0EEvPKT_PKT0_S9_ifPKiSB_SB_iPKfiiiPfSE_PS4_PT2_iSD_SD_
; %bb.0:
	s_load_b64 s[4:5], s[0:1], 0x30
	s_mov_b32 s30, s13
	s_waitcnt lgkmcnt(0)
	s_cmp_lg_u64 s[4:5], 0
	s_cselect_b32 s13, -1, 0
	s_ashr_i32 s31, s30, 31
	s_cmp_eq_u64 s[4:5], 0
	s_cbranch_scc1 .LBB1861_3
; %bb.1:
	s_lshl_b64 s[2:3], s[30:31], 2
	s_delay_alu instid0(SALU_CYCLE_1) | instskip(SKIP_4) | instid1(SALU_CYCLE_1)
	s_add_u32 s2, s4, s2
	s_addc_u32 s3, s5, s3
	s_load_b64 s[2:3], s[2:3], 0x0
	s_waitcnt lgkmcnt(0)
	s_sub_i32 s2, s3, s2
	s_cmp_eq_u32 s2, 1
	s_cselect_b32 s2, -1, 0
	s_delay_alu instid0(SALU_CYCLE_1)
	s_and_not1_b32 vcc_lo, exec_lo, s2
	s_cbranch_vccz .LBB1861_4
.LBB1861_2:
	s_endpgm
.LBB1861_3:
.LBB1861_4:
	s_load_b64 s[2:3], s[0:1], 0x28
	s_lshl_b64 s[6:7], s[30:31], 2
	s_waitcnt lgkmcnt(0)
	s_add_u32 s2, s2, s6
	s_addc_u32 s3, s3, s7
	s_lshl_b32 s12, s14, 8
	s_load_b32 s17, s[2:3], 0x0
	s_waitcnt lgkmcnt(0)
	s_cmp_ge_i32 s12, s17
	s_cbranch_scc1 .LBB1861_2
; %bb.5:
	s_clause 0x1
	s_load_b128 s[8:11], s[0:1], 0x8
	s_load_b64 s[2:3], s[0:1], 0x20
	s_and_not1_b32 vcc_lo, exec_lo, s13
	s_cbranch_vccnz .LBB1861_7
; %bb.6:
	s_add_u32 s4, s4, s6
	s_addc_u32 s5, s5, s7
	s_load_b32 s13, s[4:5], 0x0
	s_branch .LBB1861_8
.LBB1861_7:
	s_mov_b32 s13, s30
.LBB1861_8:
	s_load_b128 s[4:7], s[0:1], 0x48
	v_and_b32_e32 v66, 15, v0
	v_lshrrev_b32_e32 v65, 5, v0
	v_and_b32_e32 v67, 31, v0
	v_and_b32_e32 v75, 1, v0
	v_bfe_u32 v74, v0, 4, 1
	v_lshlrev_b32_e32 v1, 3, v66
	s_lshl_b32 s29, s15, 3
	s_waitcnt lgkmcnt(0)
	s_mov_b32 s7, exec_lo
	s_delay_alu instid0(VALU_DEP_1)
	v_lshlrev_b32_e32 v73, 1, v1
	v_cmpx_gt_u32_e32 0x80, v0
	s_cbranch_execz .LBB1861_10
; %bb.9:
	v_lshl_or_b32 v5, v65, 1, v74
	s_load_b64 s[18:19], s[0:1], 0x0
	s_mul_hi_i32 s21, s13, s4
	s_mul_i32 s20, s13, s4
	v_lshlrev_b32_e32 v6, 10, v66
	v_or_b32_e32 v1, s29, v5
	s_lshl_b64 s[20:21], s[20:21], 1
	v_lshlrev_b32_e32 v5, 6, v5
	v_lshlrev_b32_e32 v7, 10, v75
	v_and_b32_e32 v6, 0x3800, v6
	v_lshlrev_b32_e32 v1, 7, v1
	s_delay_alu instid0(VALU_DEP_2) | instskip(NEXT) | instid1(VALU_DEP_2)
	v_or3_b32 v5, v6, v7, v5
	v_ashrrev_i32_e32 v2, 31, v1
	s_delay_alu instid0(VALU_DEP_1) | instskip(SKIP_3) | instid1(VALU_DEP_1)
	v_lshlrev_b64 v[1:2], 1, v[1:2]
	s_waitcnt lgkmcnt(0)
	s_add_u32 s4, s18, s20
	s_addc_u32 s13, s19, s21
	v_add_co_u32 v1, vcc_lo, s4, v1
	s_delay_alu instid0(VALU_DEP_2) | instskip(NEXT) | instid1(VALU_DEP_2)
	v_add_co_ci_u32_e32 v2, vcc_lo, s13, v2, vcc_lo
	v_add_co_u32 v1, vcc_lo, v1, v73
	s_delay_alu instid0(VALU_DEP_2)
	v_add_co_ci_u32_e32 v2, vcc_lo, 0, v2, vcc_lo
	global_load_b128 v[1:4], v[1:2], off
	s_waitcnt vmcnt(0)
	ds_store_b128 v5, v[1:4]
.LBB1861_10:
	s_or_b32 exec_lo, exec_lo, s7
	v_and_b32_e32 v1, 0xef, v0
	s_add_i32 s4, s17, 31
	s_clause 0x1
	s_load_b32 s7, s[0:1], 0x38
	s_load_b32 s18, s[0:1], 0x1c
	s_ashr_i32 s13, s4, 31
	v_add_nc_u32_e32 v1, s12, v1
	s_lshr_b32 s13, s13, 27
	s_waitcnt lgkmcnt(0)
	s_add_i32 s4, s4, s13
	s_barrier
	v_ashrrev_i32_e32 v2, 31, v1
	v_or_b32_e32 v3, 16, v1
	s_ashr_i32 s4, s4, 5
	v_cmp_gt_i32_e32 vcc_lo, s17, v1
	s_add_i32 s4, s4, -1
	v_lshrrev_b32_e32 v2, 27, v2
	buffer_gl0_inv
	s_mul_i32 s15, s15, s6
	v_add_nc_u32_e32 v4, v1, v2
	s_mul_i32 s20, s30, s7
	s_delay_alu instid0(SALU_CYCLE_1) | instskip(NEXT) | instid1(VALU_DEP_1)
	s_ashr_i32 s21, s20, 31
	v_ashrrev_i32_e32 v4, 5, v4
	v_add_nc_u32_e32 v2, v3, v2
	s_lshl_b64 s[20:21], s[20:21], 2
	s_delay_alu instid0(SALU_CYCLE_1) | instskip(NEXT) | instid1(VALU_DEP_2)
	s_add_u32 s13, s2, s20
	v_cndmask_b32_e32 v1, s4, v4, vcc_lo
	s_delay_alu instid0(VALU_DEP_2)
	v_ashrrev_i32_e32 v2, 5, v2
	v_cmp_gt_i32_e32 vcc_lo, s17, v3
	s_addc_u32 s16, s3, s21
	s_ashr_i32 s19, s15, 31
	s_add_u32 s2, s8, s15
	s_addc_u32 s3, s9, s19
	v_cndmask_b32_e32 v3, s4, v2, vcc_lo
	v_ashrrev_i32_e32 v2, 31, v1
	s_lshl_b32 s6, s14, 3
	s_delay_alu instid0(SALU_CYCLE_1) | instskip(NEXT) | instid1(VALU_DEP_2)
	s_ashr_i32 s7, s6, 31
	v_ashrrev_i32_e32 v4, 31, v3
	s_delay_alu instid0(VALU_DEP_2) | instskip(SKIP_1) | instid1(SALU_CYCLE_1)
	v_lshlrev_b64 v[1:2], 2, v[1:2]
	s_lshl_b64 s[6:7], s[6:7], 2
	s_add_u32 s6, s13, s6
	s_delay_alu instid0(VALU_DEP_2) | instskip(SKIP_1) | instid1(VALU_DEP_2)
	v_lshlrev_b64 v[3:4], 2, v[3:4]
	s_addc_u32 s7, s16, s7
	v_add_co_u32 v1, vcc_lo, s13, v1
	v_add_co_ci_u32_e32 v2, vcc_lo, s16, v2, vcc_lo
	s_delay_alu instid0(VALU_DEP_3) | instskip(NEXT) | instid1(VALU_DEP_4)
	v_add_co_u32 v3, vcc_lo, s13, v3
	v_add_co_ci_u32_e32 v4, vcc_lo, s16, v4, vcc_lo
	s_clause 0x1
	global_load_b32 v5, v[1:2], off
	global_load_b32 v6, v[3:4], off
	s_or_b32 s8, s12, 32
	s_delay_alu instid0(SALU_CYCLE_1) | instskip(SKIP_2) | instid1(SALU_CYCLE_1)
	s_ashr_i32 s9, s8, 5
	s_cmp_lt_i32 s8, s17
	s_cselect_b32 s8, s9, s4
	s_ashr_i32 s9, s8, 31
	s_delay_alu instid0(SALU_CYCLE_1) | instskip(NEXT) | instid1(SALU_CYCLE_1)
	s_lshl_b64 s[8:9], s[8:9], 2
	s_add_u32 s8, s13, s8
	s_addc_u32 s9, s16, s9
	s_or_b32 s20, s12, 64
	s_delay_alu instid0(SALU_CYCLE_1) | instskip(SKIP_2) | instid1(SALU_CYCLE_1)
	s_ashr_i32 s21, s20, 5
	s_cmp_lt_i32 s20, s17
	s_cselect_b32 s20, s21, s4
	s_ashr_i32 s21, s20, 31
	s_delay_alu instid0(SALU_CYCLE_1) | instskip(NEXT) | instid1(SALU_CYCLE_1)
	s_lshl_b64 s[20:21], s[20:21], 2
	s_add_u32 s20, s13, s20
	s_addc_u32 s21, s16, s21
	;; [unrolled: 10-line block ×5, first 2 shown]
	s_clause 0x5
	s_load_b32 s28, s[6:7], 0x0
	s_load_b32 s8, s[8:9], 0x0
	;; [unrolled: 1-line block ×6, first 2 shown]
	s_mov_b32 s20, 0
	s_delay_alu instid0(SALU_CYCLE_1)
	s_mov_b32 s21, s20
	s_mov_b32 s22, s20
	;; [unrolled: 1-line block ×7, first 2 shown]
	s_delay_alu instid0(SALU_CYCLE_1)
	v_dual_mov_b32 v107, s27 :: v_dual_mov_b32 v106, s26
	v_dual_mov_b32 v104, s24 :: v_dual_mov_b32 v103, s23
	v_dual_mov_b32 v101, s21 :: v_dual_mov_b32 v102, s22
	v_dual_mov_b32 v100, s20 :: v_dual_mov_b32 v105, s25
	s_waitcnt vmcnt(1)
	v_mad_i64_i32 v[1:2], null, v5, s5, s[2:3]
	v_lshlrev_b32_e32 v5, 4, v66
	s_waitcnt vmcnt(0)
	v_mad_i64_i32 v[3:4], null, v6, s5, s[2:3]
	s_or_b32 s2, s12, 0xc0
	s_delay_alu instid0(SALU_CYCLE_1) | instskip(NEXT) | instid1(VALU_DEP_3)
	s_ashr_i32 s3, s2, 5
	v_add_co_u32 v33, vcc_lo, v1, v5
	s_delay_alu instid0(VALU_DEP_4) | instskip(NEXT) | instid1(VALU_DEP_3)
	v_add_co_ci_u32_e32 v34, vcc_lo, 0, v2, vcc_lo
	v_add_co_u32 v35, vcc_lo, v3, v5
	s_delay_alu instid0(VALU_DEP_4)
	v_add_co_ci_u32_e32 v36, vcc_lo, 0, v4, vcc_lo
	s_clause 0xf
	global_load_b128 v[1:4], v[33:34], off
	global_load_b128 v[5:8], v[33:34], off offset:512
	global_load_b128 v[9:12], v[35:36], off offset:256
	;; [unrolled: 1-line block ×15, first 2 shown]
	s_cmp_lt_i32 s2, s17
	v_and_b32_e32 v33, 7, v0
	s_cselect_b32 s2, s3, s4
	v_lshlrev_b32_e32 v34, 5, v66
	s_ashr_i32 s3, s2, 31
	s_delay_alu instid0(SALU_CYCLE_1)
	s_lshl_b64 s[2:3], s[2:3], 2
	v_lshlrev_b32_e32 v72, 6, v33
	s_add_u32 s2, s13, s2
	s_addc_u32 s3, s16, s3
	s_or_b32 s6, s12, 0xe0
	v_lshl_or_b32 v41, v65, 9, v34
	s_ashr_i32 s7, s6, 5
	s_cmp_lt_i32 s6, s17
	ds_load_b128 v[33:36], v72
	ds_load_b128 v[37:40], v72 offset:1024
	s_cselect_b32 s6, s7, s4
	ds_load_b128 v[108:111], v72 offset:2048
	ds_load_b128 v[112:115], v72 offset:3072
	s_ashr_i32 s7, s6, 31
	s_load_b32 s4, s[2:3], 0x0
	s_lshl_b64 s[6:7], s[6:7], 2
	ds_load_b128 v[116:119], v72 offset:4096
	ds_load_b128 v[120:123], v72 offset:5120
	s_add_u32 s2, s13, s6
	s_addc_u32 s3, s16, s7
	s_add_u32 s6, s10, s15
	s_load_b32 s2, s[2:3], 0x0
	s_addc_u32 s7, s11, s19
	v_add_co_u32 v68, s6, s6, v41
	s_delay_alu instid0(VALU_DEP_1) | instskip(SKIP_1) | instid1(VALU_DEP_1)
	v_add_co_ci_u32_e64 v69, null, s7, 0, s6
	s_waitcnt lgkmcnt(0)
	v_mad_i64_i32 v[41:42], null, s28, s5, v[68:69]
	v_mad_i64_i32 v[70:71], null, s9, s5, v[68:69]
	;; [unrolled: 1-line block ×7, first 2 shown]
	s_clause 0x3
	global_load_b128 v[49:52], v[41:42], off
	global_load_b128 v[53:56], v[41:42], off offset:16
	global_load_b128 v[41:44], v[45:46], off
	global_load_b128 v[45:48], v[45:46], off offset:16
	s_waitcnt vmcnt(18)
	v_wmma_f32_16x16x16_bf16 v[124:131], v[1:8], v[33:40], v[100:107]
	s_waitcnt vmcnt(16)
	v_wmma_f32_16x16x16_bf16 v[100:107], v[9:16], v[33:40], v[100:107]
	s_clause 0x1
	global_load_b128 v[33:36], v[70:71], off
	global_load_b128 v[37:40], v[70:71], off offset:16
	v_mad_i64_i32 v[70:71], null, s2, s5, v[68:69]
	s_waitcnt vmcnt(16)
	v_wmma_f32_16x16x16_bf16 v[124:131], v[17:24], v[108:115], v[124:131]
	s_waitcnt vmcnt(14)
	v_wmma_f32_16x16x16_bf16 v[100:107], v[25:32], v[108:115], v[100:107]
	s_clause 0x7
	global_load_b128 v[25:28], v[132:133], off
	global_load_b128 v[29:32], v[132:133], off offset:16
	global_load_b128 v[1:4], v[134:135], off
	global_load_b128 v[5:8], v[134:135], off offset:16
	;; [unrolled: 2-line block ×4, first 2 shown]
	s_waitcnt vmcnt(20)
	v_wmma_f32_16x16x16_bf16 v[124:131], v[57:64], v[116:123], v[124:131]
	s_clause 0x1
	global_load_b128 v[57:60], v[70:71], off
	global_load_b128 v[61:64], v[70:71], off offset:16
	s_waitcnt vmcnt(20)
	v_wmma_f32_16x16x16_bf16 v[100:107], v[76:83], v[116:123], v[100:107]
	ds_load_b128 v[76:79], v72 offset:6144
	ds_load_b128 v[80:83], v72 offset:7168
	v_and_b32_e32 v68, 0xe0, v0
	v_mbcnt_lo_u32_b32 v69, -1, 0
	s_waitcnt vmcnt(0) lgkmcnt(0)
	s_barrier
	buffer_gl0_inv
	v_add_nc_u32_e32 v68, s12, v68
	v_xor_b32_e32 v70, 16, v69
	s_delay_alu instid0(VALU_DEP_2) | instskip(NEXT) | instid1(VALU_DEP_2)
	v_or_b32_e32 v68, v68, v74
	v_cmp_gt_i32_e32 vcc_lo, 32, v70
	s_delay_alu instid0(VALU_DEP_2)
	v_or_b32_e32 v71, 4, v68
	v_or_b32_e32 v72, 6, v68
	v_cmp_gt_i32_e64 s2, s17, v68
	v_or_b32_e32 v108, 8, v68
	v_wmma_f32_16x16x16_bf16 v[124:131], v[84:91], v[76:83], v[124:131]
	v_cndmask_b32_e32 v69, v69, v70, vcc_lo
	v_or_b32_e32 v70, 2, v68
	v_wmma_f32_16x16x16_bf16 v[100:107], v[92:99], v[76:83], v[100:107]
	v_or_b32_e32 v109, 10, v68
	v_dual_mul_f32 v78, s18, v131 :: v_dual_mul_f32 v83, s18, v126
	v_dual_mul_f32 v92, s18, v125 :: v_dual_mul_f32 v93, s18, v124
	s_delay_alu instid0(VALU_DEP_4) | instskip(SKIP_2) | instid1(VALU_DEP_4)
	v_mul_f32_e32 v94, s18, v107
	v_cmp_gt_i32_e32 vcc_lo, s17, v70
	v_dual_mul_f32 v81, s18, v128 :: v_dual_mul_f32 v82, s18, v127
	v_cndmask_b32_e64 v93, 0xff7fffff, v93, s2
	v_cmp_gt_i32_e64 s3, s17, v71
	v_cndmask_b32_e32 v92, 0xff7fffff, v92, vcc_lo
	v_cmp_gt_i32_e64 s4, s17, v72
	v_or_b32_e32 v84, 12, v68
	v_or_b32_e32 v85, 14, v68
	v_dual_mul_f32 v79, s18, v130 :: v_dual_mul_f32 v80, s18, v129
	v_cndmask_b32_e64 v71, 0xff7fffff, v83, s3
	v_cndmask_b32_e64 v72, 0xff7fffff, v82, s4
	v_max3_f32 v82, v93, 0xff7fffff, v92
	v_cmp_gt_i32_e64 s5, s17, v108
	v_cmp_gt_i32_e64 s6, s17, v109
	v_or_b32_e32 v86, 16, v68
	v_or_b32_e32 v87, 18, v68
	v_max3_f32 v71, v82, v71, v72
	v_cndmask_b32_e64 v81, 0xff7fffff, v81, s5
	v_cndmask_b32_e64 v80, 0xff7fffff, v80, s6
	v_cmp_gt_i32_e64 s7, s17, v84
	v_cmp_gt_i32_e64 s8, s17, v85
	v_or_b32_e32 v88, 20, v68
	v_or_b32_e32 v89, 22, v68
	;; [unrolled: 1-line block ×6, first 2 shown]
	v_dual_mul_f32 v99, s18, v102 :: v_dual_mul_f32 v70, s18, v101
	v_mul_f32_e32 v68, s18, v100
	v_cndmask_b32_e64 v72, 0xff7fffff, v79, s7
	v_cndmask_b32_e64 v78, 0xff7fffff, v78, s8
	v_max3_f32 v71, v71, v81, v80
	v_cmp_gt_i32_e64 s9, s17, v86
	v_cmp_gt_i32_e64 s10, s17, v87
	v_dual_mul_f32 v97, s18, v104 :: v_dual_mul_f32 v98, s18, v103
	s_delay_alu instid0(VALU_DEP_4) | instskip(SKIP_1) | instid1(VALU_DEP_4)
	v_max3_f32 v71, v71, v72, v78
	v_cmp_gt_i32_e64 s11, s17, v88
	v_cndmask_b32_e64 v70, 0xff7fffff, v70, s10
	v_cmp_gt_i32_e64 s12, s17, v89
	v_lshlrev_b32_e32 v89, 2, v69
	v_cndmask_b32_e64 v68, 0xff7fffff, v68, s9
	v_dual_mul_f32 v95, s18, v106 :: v_dual_mul_f32 v96, s18, v105
	v_cndmask_b32_e64 v72, 0xff7fffff, v99, s11
	v_cndmask_b32_e64 v78, 0xff7fffff, v98, s12
	s_delay_alu instid0(VALU_DEP_4)
	v_max3_f32 v68, v71, v68, v70
	v_cmp_gt_i32_e64 s13, s17, v90
	v_cmp_gt_i32_e64 s15, s17, v91
	;; [unrolled: 1-line block ×4, first 2 shown]
	v_max3_f32 v68, v68, v72, v78
	v_cndmask_b32_e64 v70, 0xff7fffff, v97, s13
	v_cndmask_b32_e64 v71, 0xff7fffff, v96, s15
	;; [unrolled: 1-line block ×4, first 2 shown]
	s_delay_alu instid0(VALU_DEP_3) | instskip(NEXT) | instid1(VALU_DEP_1)
	v_max3_f32 v68, v68, v70, v71
	v_max3_f32 v68, v68, v72, v76
	ds_bpermute_b32 v69, v89, v68
	s_waitcnt lgkmcnt(0)
	v_max_f32_e32 v69, v69, v69
	s_delay_alu instid0(VALU_DEP_1) | instskip(NEXT) | instid1(VALU_DEP_1)
	v_max_f32_e32 v68, v68, v69
	v_fma_f32 v71, s18, v126, -v68
	s_delay_alu instid0(VALU_DEP_1)
	v_mul_f32_e32 v71, 0x3fb8aa3b, v71
	v_fma_f32 v69, s18, v124, -v68
	v_fma_f32 v70, s18, v125, -v68
	;; [unrolled: 1-line block ×4, first 2 shown]
	v_exp_f32_e32 v71, v71
	s_delay_alu instid0(VALU_DEP_3) | instskip(SKIP_2) | instid1(VALU_DEP_3)
	v_dual_mul_f32 v69, 0x3fb8aa3b, v69 :: v_dual_mul_f32 v70, 0x3fb8aa3b, v70
	v_fma_f32 v78, s18, v130, -v68
	v_fma_f32 v81, s18, v105, -v68
	v_exp_f32_e32 v69, v69
	s_delay_alu instid0(VALU_DEP_3) | instskip(SKIP_1) | instid1(VALU_DEP_2)
	v_exp_f32_e32 v70, v70
	v_mul_f32_e32 v77, 0x3fb8aa3b, v76
	v_mul_f32_e32 v81, 0x3fb8aa3b, v81
	s_delay_alu instid0(TRANS32_DEP_3) | instskip(SKIP_1) | instid1(VALU_DEP_3)
	v_cndmask_b32_e64 v83, 0, v71, s3
	v_fma_f32 v71, s18, v131, -v68
	v_exp_f32_e32 v81, v81
	s_delay_alu instid0(TRANS32_DEP_3) | instskip(NEXT) | instid1(TRANS32_DEP_2)
	v_cndmask_b32_e64 v80, 0, v69, s2
	v_cndmask_b32_e32 v76, 0, v70, vcc_lo
	v_fma_f32 v69, s18, v129, -v68
	v_mul_f32_e32 v72, 0x3fb8aa3b, v72
	v_exp_f32_e32 v77, v77
	v_dual_add_f32 v70, 0, v80 :: v_dual_mul_f32 v71, 0x3fb8aa3b, v71
	s_delay_alu instid0(VALU_DEP_3) | instskip(NEXT) | instid1(VALU_DEP_3)
	v_mul_f32_e32 v69, 0x3fb8aa3b, v69
	v_exp_f32_e32 v72, v72
	s_mov_b32 s2, exec_lo
	s_delay_alu instid0(VALU_DEP_2) | instskip(NEXT) | instid1(VALU_DEP_1)
	v_exp_f32_e32 v71, v71
	v_exp_f32_e32 v69, v69
	v_cndmask_b32_e64 v86, 0, v77, s5
	v_fma_f32 v77, s18, v101, -v68
	v_add_f32_e32 v70, v70, v76
	s_delay_alu instid0(TRANS32_DEP_3) | instskip(SKIP_1) | instid1(VALU_DEP_3)
	v_cndmask_b32_e64 v85, 0, v72, s4
	v_fma_f32 v72, s18, v100, -v68
	v_dual_mul_f32 v77, 0x3fb8aa3b, v77 :: v_dual_add_f32 v70, v70, v83
	s_delay_alu instid0(TRANS32_DEP_2) | instskip(SKIP_1) | instid1(TRANS32_DEP_1)
	v_cndmask_b32_e64 v88, 0, v71, s8
	v_fma_f32 v71, s18, v104, -v68
	v_cndmask_b32_e64 v87, 0, v69, s6
	s_delay_alu instid0(VALU_DEP_4) | instskip(NEXT) | instid1(VALU_DEP_2)
	v_exp_f32_e32 v77, v77
	v_dual_add_f32 v70, v70, v85 :: v_dual_mul_f32 v71, 0x3fb8aa3b, v71
	s_delay_alu instid0(VALU_DEP_1) | instskip(SKIP_2) | instid1(VALU_DEP_3)
	v_dual_mul_f32 v72, 0x3fb8aa3b, v72 :: v_dual_add_f32 v69, v70, v86
	v_mul_f32_e32 v78, 0x3fb8aa3b, v78
	v_fma_f32 v70, s18, v102, -v68
	v_exp_f32_e32 v72, v72
	v_exp_f32_e32 v82, v71
	v_add_f32_e32 v69, v69, v87
	v_exp_f32_e32 v78, v78
	v_mul_f32_e32 v70, 0x3fb8aa3b, v70
	s_delay_alu instid0(VALU_DEP_1) | instskip(SKIP_4) | instid1(VALU_DEP_2)
	v_exp_f32_e32 v79, v70
	v_cndmask_b32_e64 v70, 0, v72, s9
	s_waitcnt_depctr 0xfff
	v_cndmask_b32_e64 v84, 0, v78, s7
	v_fma_f32 v78, s18, v103, -v68
	v_add_f32_e32 v69, v69, v84
	v_cndmask_b32_e64 v71, 0, v79, s11
	s_delay_alu instid0(VALU_DEP_2) | instskip(SKIP_2) | instid1(VALU_DEP_1)
	v_add_f32_e32 v72, v69, v88
	v_cndmask_b32_e64 v69, 0, v77, s10
	v_fma_f32 v77, s18, v106, -v68
	v_dual_mul_f32 v77, 0x3fb8aa3b, v77 :: v_dual_add_f32 v72, v72, v70
	v_mul_f32_e32 v78, 0x3fb8aa3b, v78
	s_delay_alu instid0(VALU_DEP_2) | instskip(NEXT) | instid1(VALU_DEP_2)
	v_exp_f32_e32 v90, v77
	v_add_f32_e32 v79, v72, v69
	s_delay_alu instid0(VALU_DEP_2)
	v_exp_f32_e32 v78, v78
	v_cndmask_b32_e64 v77, 0, v82, s13
	s_waitcnt_depctr 0xfff
	v_cndmask_b32_e64 v72, 0, v78, s12
	v_add_f32_e32 v78, v79, v71
	v_fma_f32 v79, s18, v107, -v68
	s_delay_alu instid0(VALU_DEP_1) | instskip(SKIP_1) | instid1(VALU_DEP_2)
	v_dual_add_f32 v82, v78, v72 :: v_dual_mul_f32 v79, 0x3fb8aa3b, v79
	v_cndmask_b32_e64 v78, 0, v81, s15
	v_add_f32_e32 v81, v82, v77
	s_delay_alu instid0(VALU_DEP_3) | instskip(SKIP_1) | instid1(VALU_DEP_2)
	v_exp_f32_e32 v82, v79
	v_cndmask_b32_e64 v79, 0, v90, s16
	v_add_f32_e32 v81, v81, v78
	s_delay_alu instid0(VALU_DEP_1) | instskip(SKIP_2) | instid1(VALU_DEP_1)
	v_add_f32_e32 v90, v81, v79
	s_waitcnt_depctr 0xfff
	v_cndmask_b32_e64 v81, 0, v82, s17
	v_add_f32_e32 v82, v90, v81
	ds_bpermute_b32 v89, v89, v82
	v_cmpx_gt_u32_e32 16, v67
	s_cbranch_execz .LBB1861_12
; %bb.11:
	v_mul_u32_u24_e32 v67, 0x44, v65
	s_delay_alu instid0(VALU_DEP_1) | instskip(SKIP_1) | instid1(VALU_DEP_1)
	v_lshl_add_u32 v67, v66, 2, v67
	s_waitcnt lgkmcnt(0)
	v_dual_add_f32 v82, v82, v89 :: v_dual_add_nc_u32 v67, 0x4000, v67
	ds_store_2addr_b32 v67, v68, v82 offset1:136
.LBB1861_12:
	s_or_b32 exec_lo, exec_lo, s2
	v_lshlrev_b32_e32 v67, 2, v66
	s_waitcnt lgkmcnt(0)
	s_barrier
	buffer_gl0_inv
	v_cmp_eq_u32_e32 vcc_lo, 1, v65
	v_add_nc_u32_e32 v82, 0x4000, v67
	v_cmp_eq_u32_e64 s2, 2, v65
	v_cmp_eq_u32_e64 s4, 7, v65
	ds_load_2addr_b32 v[89:90], v82 offset1:17
	ds_load_2addr_b32 v[91:92], v82 offset0:34 offset1:51
	ds_load_2addr_b32 v[93:94], v82 offset0:68 offset1:85
	;; [unrolled: 1-line block ×4, first 2 shown]
	s_waitcnt lgkmcnt(4)
	v_max3_f32 v67, v89, 0xff7fffff, v90
	s_waitcnt lgkmcnt(3)
	s_delay_alu instid0(VALU_DEP_1) | instskip(SKIP_1) | instid1(VALU_DEP_1)
	v_max3_f32 v67, v67, v91, v92
	s_waitcnt lgkmcnt(2)
	v_max3_f32 v67, v67, v93, v94
	s_waitcnt lgkmcnt(1)
	s_delay_alu instid0(VALU_DEP_1) | instskip(NEXT) | instid1(VALU_DEP_1)
	v_max3_f32 v67, v67, v95, v96
	v_sub_f32_e32 v93, v93, v67
	s_delay_alu instid0(VALU_DEP_1) | instskip(NEXT) | instid1(VALU_DEP_1)
	v_dual_sub_f32 v68, v89, v67 :: v_dual_mul_f32 v103, 0x3fb8aa3b, v93
	v_mul_f32_e32 v68, 0x3fb8aa3b, v68
	s_delay_alu instid0(VALU_DEP_1)
	v_exp_f32_e32 v100, v68
	v_sub_f32_e32 v68, v92, v67
	v_sub_f32_e32 v99, v90, v67
	ds_load_2addr_b32 v[89:90], v82 offset0:170 offset1:187
	v_dual_mul_f32 v102, 0x3fb8aa3b, v68 :: v_dual_mul_f32 v99, 0x3fb8aa3b, v99
	s_waitcnt lgkmcnt(1)
	v_fma_f32 v68, v100, v97, 0
	s_delay_alu instid0(VALU_DEP_2) | instskip(NEXT) | instid1(VALU_DEP_2)
	v_exp_f32_e32 v102, v102
	v_exp_f32_e32 v99, v99
	s_waitcnt_depctr 0xfff
	v_fmac_f32_e32 v68, v99, v98
	v_sub_f32_e32 v91, v91, v67
	s_delay_alu instid0(VALU_DEP_1)
	v_mul_f32_e32 v101, 0x3fb8aa3b, v91
	ds_load_2addr_b32 v[91:92], v82 offset0:204 offset1:221
	v_sub_f32_e32 v97, v94, v67
	ds_load_2addr_b32 v[93:94], v82 offset0:238 offset1:255
	s_waitcnt lgkmcnt(0)
	v_exp_f32_e32 v101, v101
	s_barrier
	buffer_gl0_inv
	v_dual_fmac_f32 v68, v101, v89 :: v_dual_sub_f32 v89, v96, v67
	v_dual_sub_f32 v82, v95, v67 :: v_dual_mul_f32 v95, 0x3fb8aa3b, v97
	v_exp_f32_e32 v97, v103
	s_delay_alu instid0(VALU_DEP_2) | instskip(NEXT) | instid1(VALU_DEP_2)
	v_dual_fmac_f32 v68, v102, v90 :: v_dual_mul_f32 v89, 0x3fb8aa3b, v89
	v_mul_f32_e32 v82, 0x3fb8aa3b, v82
	s_delay_alu instid0(VALU_DEP_3) | instskip(NEXT) | instid1(VALU_DEP_2)
	v_exp_f32_e32 v95, v95
	v_exp_f32_e32 v89, v89
	s_delay_alu instid0(VALU_DEP_1)
	v_exp_f32_e32 v82, v82
	v_fmac_f32_e32 v68, v97, v91
	s_delay_alu instid0(TRANS32_DEP_3) | instid1(VALU_DEP_1)
	v_fmac_f32_e32 v68, v95, v92
	s_waitcnt_depctr 0xfff
	v_fmac_f32_e32 v68, v82, v93
	s_delay_alu instid0(VALU_DEP_1) | instskip(NEXT) | instid1(VALU_DEP_1)
	v_fmac_f32_e32 v68, v89, v94
	v_add_f32_e32 v90, 0x358637bd, v68
	s_delay_alu instid0(VALU_DEP_1) | instskip(NEXT) | instid1(VALU_DEP_1)
	v_div_scale_f32 v91, null, v90, v90, 1.0
	v_rcp_f32_e32 v92, v91
	s_waitcnt_depctr 0xfff
	v_fma_f32 v93, -v91, v92, 1.0
	s_delay_alu instid0(VALU_DEP_1) | instskip(SKIP_1) | instid1(VALU_DEP_2)
	v_dual_fmac_f32 v92, v93, v92 :: v_dual_cndmask_b32 v93, v100, v99
	v_cmp_eq_u32_e32 vcc_lo, 3, v65
	v_cndmask_b32_e64 v93, v93, v101, s2
	v_cmp_eq_u32_e64 s2, 4, v65
	s_delay_alu instid0(VALU_DEP_2) | instskip(SKIP_1) | instid1(VALU_DEP_2)
	v_cndmask_b32_e32 v93, v93, v102, vcc_lo
	v_cmp_eq_u32_e32 vcc_lo, 5, v65
	v_cndmask_b32_e64 v93, v93, v97, s2
	v_cmp_eq_u32_e64 s2, 6, v65
	s_delay_alu instid0(VALU_DEP_2) | instskip(SKIP_1) | instid1(VALU_DEP_1)
	v_cndmask_b32_e32 v93, v93, v95, vcc_lo
	v_div_scale_f32 v94, s3, 1.0, v90, 1.0
	s_mov_b32 vcc_lo, s3
	s_delay_alu instid0(VALU_DEP_2) | instskip(NEXT) | instid1(VALU_DEP_2)
	v_cndmask_b32_e64 v82, v93, v82, s2
	v_mul_f32_e32 v96, v94, v92
	s_mov_b32 s2, exec_lo
	s_delay_alu instid0(VALU_DEP_2) | instskip(NEXT) | instid1(VALU_DEP_2)
	v_cndmask_b32_e64 v82, v82, v89, s4
	v_fma_f32 v98, -v91, v96, v94
	s_delay_alu instid0(VALU_DEP_1) | instskip(NEXT) | instid1(VALU_DEP_1)
	v_fmac_f32_e32 v96, v98, v92
	v_fma_f32 v91, -v91, v96, v94
	s_delay_alu instid0(VALU_DEP_1) | instskip(NEXT) | instid1(VALU_DEP_1)
	v_div_fmas_f32 v91, v91, v92, v96
	v_div_fixup_f32 v90, v91, v90, 1.0
	s_delay_alu instid0(VALU_DEP_1) | instskip(NEXT) | instid1(VALU_DEP_1)
	v_mul_f32_e32 v82, v82, v90
	v_mul_f32_e32 v87, v82, v87
	;; [unrolled: 1-line block ×7, first 2 shown]
	v_dual_mul_f32 v86, v82, v83 :: v_dual_and_b32 v91, 0x7f800000, v90
	v_mul_f32_e32 v85, v82, v76
                                        ; implicit-def: $vgpr76
	s_delay_alu instid0(VALU_DEP_2)
	v_cmpx_ne_u32_e32 0x7f800000, v91
	s_xor_b32 s2, exec_lo, s2
; %bb.13:
	v_bfe_u32 v76, v90, 16, 1
	s_delay_alu instid0(VALU_DEP_1)
	v_add3_u32 v76, v90, v76, 0x7fff
                                        ; implicit-def: $vgpr90
; %bb.14:
	s_and_not1_saveexec_b32 s2, s2
; %bb.15:
	v_and_b32_e32 v76, 0xffff, v90
	v_or_b32_e32 v83, 0x10000, v90
	s_delay_alu instid0(VALU_DEP_2) | instskip(NEXT) | instid1(VALU_DEP_2)
	v_cmp_eq_u32_e32 vcc_lo, 0, v76
	v_cndmask_b32_e32 v76, v83, v90, vcc_lo
; %bb.16:
	s_or_b32 exec_lo, exec_lo, s2
	v_and_b32_e32 v83, 0x7f800000, v85
	s_delay_alu instid0(VALU_DEP_1) | instskip(SKIP_1) | instid1(SALU_CYCLE_1)
	v_cmp_ne_u32_e32 vcc_lo, 0x7f800000, v83
                                        ; implicit-def: $vgpr83
	s_and_saveexec_b32 s2, vcc_lo
	s_xor_b32 s2, exec_lo, s2
; %bb.17:
	v_bfe_u32 v83, v85, 16, 1
	s_delay_alu instid0(VALU_DEP_1)
	v_add3_u32 v83, v85, v83, 0x7fff
                                        ; implicit-def: $vgpr85
; %bb.18:
	s_and_not1_saveexec_b32 s2, s2
; %bb.19:
	v_and_b32_e32 v83, 0xffff, v85
	v_or_b32_e32 v90, 0x10000, v85
	s_delay_alu instid0(VALU_DEP_2) | instskip(NEXT) | instid1(VALU_DEP_2)
	v_cmp_eq_u32_e32 vcc_lo, 0, v83
	v_cndmask_b32_e32 v83, v90, v85, vcc_lo
; %bb.20:
	s_or_b32 exec_lo, exec_lo, s2
	v_and_b32_e32 v85, 0x7f800000, v86
	s_delay_alu instid0(VALU_DEP_1) | instskip(SKIP_1) | instid1(SALU_CYCLE_1)
	v_cmp_ne_u32_e32 vcc_lo, 0x7f800000, v85
                                        ; implicit-def: $vgpr85
	s_and_saveexec_b32 s2, vcc_lo
	s_xor_b32 s2, exec_lo, s2
; %bb.21:
	v_bfe_u32 v85, v86, 16, 1
	s_delay_alu instid0(VALU_DEP_1)
	v_add3_u32 v85, v86, v85, 0x7fff
                                        ; implicit-def: $vgpr86
; %bb.22:
	s_and_not1_saveexec_b32 s2, s2
; %bb.23:
	v_and_b32_e32 v85, 0xffff, v86
	v_or_b32_e32 v90, 0x10000, v86
	s_delay_alu instid0(VALU_DEP_2) | instskip(NEXT) | instid1(VALU_DEP_2)
	v_cmp_eq_u32_e32 vcc_lo, 0, v85
	v_cndmask_b32_e32 v85, v90, v86, vcc_lo
; %bb.24:
	s_or_b32 exec_lo, exec_lo, s2
	v_and_b32_e32 v86, 0x7f800000, v89
	s_delay_alu instid0(VALU_DEP_1) | instskip(SKIP_1) | instid1(SALU_CYCLE_1)
	v_cmp_ne_u32_e32 vcc_lo, 0x7f800000, v86
                                        ; implicit-def: $vgpr86
	s_and_saveexec_b32 s2, vcc_lo
	s_xor_b32 s2, exec_lo, s2
; %bb.25:
	v_bfe_u32 v86, v89, 16, 1
	s_delay_alu instid0(VALU_DEP_1)
	v_add3_u32 v86, v89, v86, 0x7fff
                                        ; implicit-def: $vgpr89
; %bb.26:
	s_and_not1_saveexec_b32 s2, s2
; %bb.27:
	v_and_b32_e32 v86, 0xffff, v89
	v_or_b32_e32 v90, 0x10000, v89
	s_delay_alu instid0(VALU_DEP_2) | instskip(NEXT) | instid1(VALU_DEP_2)
	v_cmp_eq_u32_e32 vcc_lo, 0, v86
	v_cndmask_b32_e32 v86, v90, v89, vcc_lo
; %bb.28:
	s_or_b32 exec_lo, exec_lo, s2
	v_and_b32_e32 v89, 0x7f800000, v88
	s_delay_alu instid0(VALU_DEP_1) | instskip(SKIP_1) | instid1(SALU_CYCLE_1)
	v_cmp_ne_u32_e32 vcc_lo, 0x7f800000, v89
                                        ; implicit-def: $vgpr89
	s_and_saveexec_b32 s2, vcc_lo
	s_xor_b32 s2, exec_lo, s2
; %bb.29:
	v_bfe_u32 v89, v88, 16, 1
	s_delay_alu instid0(VALU_DEP_1)
	v_add3_u32 v89, v88, v89, 0x7fff
                                        ; implicit-def: $vgpr88
; %bb.30:
	s_and_not1_saveexec_b32 s2, s2
; %bb.31:
	v_and_b32_e32 v89, 0xffff, v88
	v_or_b32_e32 v90, 0x10000, v88
	s_delay_alu instid0(VALU_DEP_2) | instskip(NEXT) | instid1(VALU_DEP_2)
	v_cmp_eq_u32_e32 vcc_lo, 0, v89
	v_cndmask_b32_e32 v89, v90, v88, vcc_lo
; %bb.32:
	s_or_b32 exec_lo, exec_lo, s2
	v_and_b32_e32 v88, 0x7f800000, v87
	s_delay_alu instid0(VALU_DEP_1) | instskip(SKIP_1) | instid1(SALU_CYCLE_1)
	v_cmp_ne_u32_e32 vcc_lo, 0x7f800000, v88
                                        ; implicit-def: $vgpr88
	s_and_saveexec_b32 s2, vcc_lo
	s_xor_b32 s2, exec_lo, s2
; %bb.33:
	v_bfe_u32 v88, v87, 16, 1
	s_delay_alu instid0(VALU_DEP_1)
	v_add3_u32 v88, v87, v88, 0x7fff
                                        ; implicit-def: $vgpr87
; %bb.34:
	s_and_not1_saveexec_b32 s2, s2
; %bb.35:
	v_and_b32_e32 v88, 0xffff, v87
	v_or_b32_e32 v90, 0x10000, v87
	s_delay_alu instid0(VALU_DEP_2) | instskip(NEXT) | instid1(VALU_DEP_2)
	v_cmp_eq_u32_e32 vcc_lo, 0, v88
	v_cndmask_b32_e32 v88, v90, v87, vcc_lo
; %bb.36:
	s_or_b32 exec_lo, exec_lo, s2
	v_and_b32_e32 v87, 0x7f800000, v84
	s_delay_alu instid0(VALU_DEP_1) | instskip(SKIP_1) | instid1(SALU_CYCLE_1)
	v_cmp_ne_u32_e32 vcc_lo, 0x7f800000, v87
                                        ; implicit-def: $vgpr87
	s_and_saveexec_b32 s2, vcc_lo
	s_xor_b32 s2, exec_lo, s2
; %bb.37:
	v_bfe_u32 v87, v84, 16, 1
	s_delay_alu instid0(VALU_DEP_1)
	v_add3_u32 v87, v84, v87, 0x7fff
                                        ; implicit-def: $vgpr84
; %bb.38:
	s_and_not1_saveexec_b32 s2, s2
; %bb.39:
	v_and_b32_e32 v87, 0xffff, v84
	v_or_b32_e32 v90, 0x10000, v84
	s_delay_alu instid0(VALU_DEP_2) | instskip(NEXT) | instid1(VALU_DEP_2)
	v_cmp_eq_u32_e32 vcc_lo, 0, v87
	v_cndmask_b32_e32 v87, v90, v84, vcc_lo
; %bb.40:
	s_or_b32 exec_lo, exec_lo, s2
	v_and_b32_e32 v84, 0x7f800000, v80
	s_delay_alu instid0(VALU_DEP_1) | instskip(SKIP_1) | instid1(SALU_CYCLE_1)
	v_cmp_ne_u32_e32 vcc_lo, 0x7f800000, v84
                                        ; implicit-def: $vgpr84
	s_and_saveexec_b32 s2, vcc_lo
	s_xor_b32 s2, exec_lo, s2
; %bb.41:
	v_bfe_u32 v84, v80, 16, 1
	s_delay_alu instid0(VALU_DEP_1)
	v_add3_u32 v84, v80, v84, 0x7fff
                                        ; implicit-def: $vgpr80
; %bb.42:
	s_and_not1_saveexec_b32 s2, s2
; %bb.43:
	v_and_b32_e32 v84, 0xffff, v80
	v_or_b32_e32 v90, 0x10000, v80
	s_delay_alu instid0(VALU_DEP_2) | instskip(NEXT) | instid1(VALU_DEP_2)
	v_cmp_eq_u32_e32 vcc_lo, 0, v84
	v_cndmask_b32_e32 v84, v90, v80, vcc_lo
; %bb.44:
	s_or_b32 exec_lo, exec_lo, s2
	s_load_b64 s[34:35], s[0:1], 0x94
	v_lshlrev_b32_e32 v91, 4, v74
	s_delay_alu instid0(VALU_DEP_2)
	v_perm_b32 v90, v84, v87, 0x7060302
	v_dual_mul_f32 v77, v82, v77 :: v_dual_lshlrev_b32 v80, 6, v66
	v_lshlrev_b32_e32 v66, 11, v65
	v_perm_b32 v87, v83, v76, 0x7060302
	v_mul_f32_e32 v83, v82, v70
	v_perm_b32 v89, v88, v89, 0x7060302
	v_perm_b32 v88, v86, v85, 0x7060302
	v_or3_b32 v76, v91, v66, v80
	v_mul_f32_e32 v66, v82, v81
	v_mul_f32_e32 v70, v82, v79
	;; [unrolled: 1-line block ×3, first 2 shown]
	v_dual_mul_f32 v81, v82, v72 :: v_dual_and_b32 v84, 0x7f800000, v83
	v_mul_f32_e32 v79, v82, v71
	v_mul_f32_e32 v72, v82, v69
	s_mov_b32 s2, exec_lo
	ds_store_b128 v76, v[87:90]
                                        ; implicit-def: $vgpr69
	v_cmpx_ne_u32_e32 0x7f800000, v84
	s_xor_b32 s2, exec_lo, s2
; %bb.45:
	v_bfe_u32 v69, v83, 16, 1
	s_delay_alu instid0(VALU_DEP_1)
	v_add3_u32 v69, v83, v69, 0x7fff
                                        ; implicit-def: $vgpr83
; %bb.46:
	s_and_not1_saveexec_b32 s2, s2
; %bb.47:
	v_and_b32_e32 v69, 0xffff, v83
	v_or_b32_e32 v71, 0x10000, v83
	s_delay_alu instid0(VALU_DEP_2) | instskip(NEXT) | instid1(VALU_DEP_2)
	v_cmp_eq_u32_e32 vcc_lo, 0, v69
	v_cndmask_b32_e32 v69, v71, v83, vcc_lo
; %bb.48:
	s_or_b32 exec_lo, exec_lo, s2
	v_and_b32_e32 v71, 0x7f800000, v72
	s_delay_alu instid0(VALU_DEP_1) | instskip(SKIP_1) | instid1(SALU_CYCLE_1)
	v_cmp_ne_u32_e32 vcc_lo, 0x7f800000, v71
                                        ; implicit-def: $vgpr71
	s_and_saveexec_b32 s2, vcc_lo
	s_xor_b32 s2, exec_lo, s2
; %bb.49:
	v_bfe_u32 v71, v72, 16, 1
	s_delay_alu instid0(VALU_DEP_1)
	v_add3_u32 v71, v72, v71, 0x7fff
                                        ; implicit-def: $vgpr72
; %bb.50:
	s_and_not1_saveexec_b32 s2, s2
; %bb.51:
	v_and_b32_e32 v71, 0xffff, v72
	v_or_b32_e32 v82, 0x10000, v72
	s_delay_alu instid0(VALU_DEP_2) | instskip(NEXT) | instid1(VALU_DEP_2)
	v_cmp_eq_u32_e32 vcc_lo, 0, v71
	v_cndmask_b32_e32 v71, v82, v72, vcc_lo
; %bb.52:
	s_or_b32 exec_lo, exec_lo, s2
	v_and_b32_e32 v72, 0x7f800000, v79
	s_delay_alu instid0(VALU_DEP_1) | instskip(SKIP_1) | instid1(SALU_CYCLE_1)
	v_cmp_ne_u32_e32 vcc_lo, 0x7f800000, v72
                                        ; implicit-def: $vgpr72
	s_and_saveexec_b32 s2, vcc_lo
	s_xor_b32 s2, exec_lo, s2
; %bb.53:
	v_bfe_u32 v72, v79, 16, 1
	s_delay_alu instid0(VALU_DEP_1)
	v_add3_u32 v72, v79, v72, 0x7fff
                                        ; implicit-def: $vgpr79
; %bb.54:
	s_and_not1_saveexec_b32 s2, s2
; %bb.55:
	v_and_b32_e32 v72, 0xffff, v79
	v_or_b32_e32 v82, 0x10000, v79
	s_delay_alu instid0(VALU_DEP_2) | instskip(NEXT) | instid1(VALU_DEP_2)
	v_cmp_eq_u32_e32 vcc_lo, 0, v72
	v_cndmask_b32_e32 v72, v82, v79, vcc_lo
; %bb.56:
	s_or_b32 exec_lo, exec_lo, s2
	v_and_b32_e32 v79, 0x7f800000, v81
	s_delay_alu instid0(VALU_DEP_1) | instskip(SKIP_1) | instid1(SALU_CYCLE_1)
	v_cmp_ne_u32_e32 vcc_lo, 0x7f800000, v79
                                        ; implicit-def: $vgpr79
	s_and_saveexec_b32 s2, vcc_lo
	s_xor_b32 s2, exec_lo, s2
; %bb.57:
	v_bfe_u32 v79, v81, 16, 1
	s_delay_alu instid0(VALU_DEP_1)
	v_add3_u32 v79, v81, v79, 0x7fff
                                        ; implicit-def: $vgpr81
; %bb.58:
	s_and_not1_saveexec_b32 s2, s2
; %bb.59:
	v_and_b32_e32 v79, 0xffff, v81
	v_or_b32_e32 v82, 0x10000, v81
	s_delay_alu instid0(VALU_DEP_2) | instskip(NEXT) | instid1(VALU_DEP_2)
	v_cmp_eq_u32_e32 vcc_lo, 0, v79
	v_cndmask_b32_e32 v79, v82, v81, vcc_lo
; %bb.60:
	s_or_b32 exec_lo, exec_lo, s2
	v_and_b32_e32 v81, 0x7f800000, v77
	s_delay_alu instid0(VALU_DEP_1) | instskip(SKIP_1) | instid1(SALU_CYCLE_1)
	v_cmp_ne_u32_e32 vcc_lo, 0x7f800000, v81
                                        ; implicit-def: $vgpr81
	s_and_saveexec_b32 s2, vcc_lo
	s_xor_b32 s2, exec_lo, s2
; %bb.61:
	v_bfe_u32 v81, v77, 16, 1
	s_delay_alu instid0(VALU_DEP_1)
	v_add3_u32 v81, v77, v81, 0x7fff
                                        ; implicit-def: $vgpr77
; %bb.62:
	s_and_not1_saveexec_b32 s2, s2
; %bb.63:
	v_and_b32_e32 v81, 0xffff, v77
	v_or_b32_e32 v82, 0x10000, v77
	s_delay_alu instid0(VALU_DEP_2) | instskip(NEXT) | instid1(VALU_DEP_2)
	v_cmp_eq_u32_e32 vcc_lo, 0, v81
	v_cndmask_b32_e32 v81, v82, v77, vcc_lo
; %bb.64:
	s_or_b32 exec_lo, exec_lo, s2
	v_and_b32_e32 v77, 0x7f800000, v78
	s_delay_alu instid0(VALU_DEP_1) | instskip(SKIP_1) | instid1(SALU_CYCLE_1)
	v_cmp_ne_u32_e32 vcc_lo, 0x7f800000, v77
                                        ; implicit-def: $vgpr77
	s_and_saveexec_b32 s2, vcc_lo
	s_xor_b32 s2, exec_lo, s2
; %bb.65:
	v_bfe_u32 v77, v78, 16, 1
	s_delay_alu instid0(VALU_DEP_1)
	v_add3_u32 v77, v78, v77, 0x7fff
                                        ; implicit-def: $vgpr78
; %bb.66:
	s_and_not1_saveexec_b32 s2, s2
; %bb.67:
	v_and_b32_e32 v77, 0xffff, v78
	v_or_b32_e32 v82, 0x10000, v78
	s_delay_alu instid0(VALU_DEP_2) | instskip(NEXT) | instid1(VALU_DEP_2)
	v_cmp_eq_u32_e32 vcc_lo, 0, v77
	v_cndmask_b32_e32 v77, v82, v78, vcc_lo
; %bb.68:
	s_or_b32 exec_lo, exec_lo, s2
	v_and_b32_e32 v78, 0x7f800000, v70
	s_delay_alu instid0(VALU_DEP_1) | instskip(SKIP_1) | instid1(SALU_CYCLE_1)
	v_cmp_ne_u32_e32 vcc_lo, 0x7f800000, v78
                                        ; implicit-def: $vgpr78
	s_and_saveexec_b32 s2, vcc_lo
	s_xor_b32 s2, exec_lo, s2
; %bb.69:
	v_bfe_u32 v78, v70, 16, 1
	s_delay_alu instid0(VALU_DEP_1)
	v_add3_u32 v78, v70, v78, 0x7fff
                                        ; implicit-def: $vgpr70
; %bb.70:
	s_and_not1_saveexec_b32 s2, s2
; %bb.71:
	v_and_b32_e32 v78, 0xffff, v70
	v_or_b32_e32 v82, 0x10000, v70
	s_delay_alu instid0(VALU_DEP_2) | instskip(NEXT) | instid1(VALU_DEP_2)
	v_cmp_eq_u32_e32 vcc_lo, 0, v78
	v_cndmask_b32_e32 v78, v82, v70, vcc_lo
; %bb.72:
	s_or_b32 exec_lo, exec_lo, s2
	v_and_b32_e32 v70, 0x7f800000, v66
	s_delay_alu instid0(VALU_DEP_1) | instskip(SKIP_1) | instid1(SALU_CYCLE_1)
	v_cmp_ne_u32_e32 vcc_lo, 0x7f800000, v70
                                        ; implicit-def: $vgpr70
	s_and_saveexec_b32 s2, vcc_lo
	s_xor_b32 s2, exec_lo, s2
; %bb.73:
	v_bfe_u32 v70, v66, 16, 1
	s_delay_alu instid0(VALU_DEP_1)
	v_add3_u32 v70, v66, v70, 0x7fff
                                        ; implicit-def: $vgpr66
; %bb.74:
	s_and_not1_saveexec_b32 s2, s2
; %bb.75:
	v_and_b32_e32 v70, 0xffff, v66
	v_or_b32_e32 v82, 0x10000, v66
	s_delay_alu instid0(VALU_DEP_2) | instskip(NEXT) | instid1(VALU_DEP_2)
	v_cmp_eq_u32_e32 vcc_lo, 0, v70
	v_cndmask_b32_e32 v70, v82, v66, vcc_lo
; %bb.76:
	s_or_b32 exec_lo, exec_lo, s2
	s_delay_alu instid0(VALU_DEP_1)
	v_perm_b32 v86, v70, v78, 0x7060302
	v_perm_b32 v85, v77, v81, 0x7060302
	;; [unrolled: 1-line block ×4, first 2 shown]
	v_lshl_or_b32 v82, v65, 11, v80
	ds_store_b128 v76, v[83:86] offset:1024
	s_waitcnt lgkmcnt(0)
	s_barrier
	buffer_gl0_inv
	ds_load_b128 v[69:72], v82
	ds_load_b128 v[83:86], v82 offset:16
	s_waitcnt lgkmcnt(1)
	v_lshrrev_b32_e32 v65, 16, v69
	v_lshlrev_b32_e32 v78, 2, v74
	s_waitcnt lgkmcnt(0)
	v_lshrrev_b32_e32 v91, 16, v83
	v_lshrrev_b32_e32 v66, 16, v70
	;; [unrolled: 1-line block ×4, first 2 shown]
	v_cmp_eq_u32_e32 vcc_lo, 1, v78
	v_lshrrev_b32_e32 v98, 16, v85
	v_lshrrev_b32_e32 v96, 16, v72
	;; [unrolled: 1-line block ×3, first 2 shown]
	v_cndmask_b32_e32 v81, v69, v65, vcc_lo
	v_or_b32_e32 v79, 1, v78
	v_cmp_eq_u32_e64 s3, 2, v78
	v_cndmask_b32_e32 v87, v83, v91, vcc_lo
	v_cmp_eq_u32_e64 s6, 3, v78
	v_cmp_eq_u32_e64 s8, 4, v78
	;; [unrolled: 1-line block ×3, first 2 shown]
	v_cndmask_b32_e64 v81, v81, v70, s3
	v_cmp_eq_u32_e64 s5, 2, v79
	v_cndmask_b32_e64 v87, v87, v84, s3
	v_cmp_eq_u32_e64 s7, 3, v79
	v_cndmask_b32_e64 v88, v69, v65, s2
	v_cndmask_b32_e64 v81, v81, v66, s6
	v_or_b32_e32 v77, 2, v78
	v_cndmask_b32_e64 v87, v87, v97, s6
	v_cndmask_b32_e64 v89, v83, v91, s2
	;; [unrolled: 1-line block ×4, first 2 shown]
	v_cmp_eq_u32_e64 s9, 5, v78
	v_cndmask_b32_e64 v87, v87, v85, s8
	v_cmp_eq_u32_e64 s10, 4, v79
	v_cndmask_b32_e64 v88, v88, v66, s7
	;; [unrolled: 2-line block ×3, first 2 shown]
	v_cndmask_b32_e64 v81, v81, v95, s9
	v_cmp_eq_u32_e64 s11, 6, v78
	v_cndmask_b32_e64 v88, v88, v71, s10
	v_cndmask_b32_e64 v87, v87, v98, s9
	v_cmp_eq_u32_e64 s12, 5, v79
	v_cndmask_b32_e64 v90, v69, v65, s4
	v_cndmask_b32_e64 v89, v89, v97, s7
	;; [unrolled: 1-line block ×3, first 2 shown]
	v_cmp_eq_u32_e64 s13, 7, v78
	v_cndmask_b32_e64 v88, v88, v95, s12
	v_cndmask_b32_e64 v87, v87, v86, s11
	v_cmp_eq_u32_e64 s15, 6, v79
	v_cmp_eq_u32_e64 s16, 2, v77
	v_cndmask_b32_e64 v89, v89, v85, s10
	v_cndmask_b32_e64 v100, v81, v96, s13
	v_cndmask_b32_e64 v101, v87, v99, s13
	v_cndmask_b32_e64 v88, v88, v72, s15
	v_cndmask_b32_e64 v81, v90, v70, s16
	v_cndmask_b32_e64 v87, v83, v91, s4
	v_cmp_eq_u32_e64 s17, 7, v79
	v_cmp_eq_u32_e64 s18, 3, v77
	;; [unrolled: 1-line block ×4, first 2 shown]
	v_cndmask_b32_e64 v87, v87, v84, s16
	v_cndmask_b32_e64 v102, v88, v96, s17
	;; [unrolled: 1-line block ×4, first 2 shown]
	v_or_b32_e32 v81, 3, v78
	v_cndmask_b32_e64 v93, v87, v97, s18
	v_cmp_eq_u32_e64 s23, 6, v77
	v_cndmask_b32_e64 v103, v88, v86, s15
	v_cndmask_b32_e64 v92, v89, v71, s19
	v_cmp_eq_u32_e64 s20, 1, v81
	ds_load_b128 v[87:90], v82 offset:1024
	v_cmp_eq_u32_e64 s22, 2, v81
	v_cmp_eq_u32_e64 s24, 3, v81
	v_cndmask_b32_e64 v104, v92, v95, s21
	v_cndmask_b32_e64 v65, v69, v65, s20
	v_cndmask_b32_e64 v69, v93, v85, s19
	v_cndmask_b32_e64 v83, v83, v91, s20
	ds_load_b128 v[91:94], v82 offset:1040
	v_cmp_eq_u32_e64 s25, 4, v81
	v_cndmask_b32_e64 v65, v65, v70, s22
	v_cmp_eq_u32_e64 s27, 5, v81
	v_cndmask_b32_e64 v70, v83, v84, s22
	;; [unrolled: 2-line block ×3, first 2 shown]
	v_cndmask_b32_e64 v65, v65, v66, s24
	v_cndmask_b32_e64 v66, v104, v72, s23
	;; [unrolled: 1-line block ×3, first 2 shown]
	v_cmp_eq_u32_e64 s26, 7, v77
	v_cndmask_b32_e64 v69, v69, v86, s23
	v_cndmask_b32_e64 v65, v65, v71, s25
	s_waitcnt lgkmcnt(1)
	v_lshrrev_b32_e32 v84, 16, v87
	v_cndmask_b32_e64 v70, v70, v85, s25
	v_cndmask_b32_e64 v83, v103, v99, s17
	;; [unrolled: 1-line block ×4, first 2 shown]
	v_lshrrev_b32_e32 v95, 16, v88
	v_cndmask_b32_e64 v70, v70, v98, s27
	s_waitcnt lgkmcnt(0)
	v_lshrrev_b32_e32 v85, 16, v91
	v_cndmask_b32_e64 v97, v87, v84, s2
	v_cndmask_b32_e64 v65, v65, v72, s28
	v_cndmask_b32_e64 v69, v69, v99, s26
	v_cndmask_b32_e64 v70, v70, v86, s28
	v_cndmask_b32_e32 v71, v87, v84, vcc_lo
	v_cndmask_b32_e32 v98, v91, v85, vcc_lo
	v_cmp_eq_u32_e32 vcc_lo, 7, v81
	v_cndmask_b32_e64 v72, v97, v88, s5
	v_lshrrev_b32_e32 v97, 16, v92
	v_lshrrev_b32_e32 v103, 16, v90
	v_dual_cndmask_b32 v65, v65, v96 :: v_dual_cndmask_b32 v70, v70, v99
	v_cndmask_b32_e64 v71, v71, v88, s3
	v_cndmask_b32_e64 v86, v98, v92, s3
	;; [unrolled: 1-line block ×3, first 2 shown]
	v_lshrrev_b32_e32 v98, 16, v89
	v_lshrrev_b32_e32 v99, 16, v93
	v_cndmask_b32_e64 v71, v71, v95, s6
	v_cndmask_b32_e64 v86, v86, v97, s6
	;; [unrolled: 1-line block ×3, first 2 shown]
	v_perm_b32 v72, v70, v65, 0x5040100
	v_perm_b32 v70, v83, v102, 0x5040100
	v_cndmask_b32_e64 v71, v71, v89, s8
	v_cndmask_b32_e64 v86, v86, v93, s8
	;; [unrolled: 1-line block ×3, first 2 shown]
	v_lshrrev_b32_e32 v83, 16, v94
	s_delay_alu instid0(VALU_DEP_4) | instskip(NEXT) | instid1(VALU_DEP_4)
	v_cndmask_b32_e64 v71, v71, v98, s9
	v_cndmask_b32_e64 v86, v86, v99, s9
	s_delay_alu instid0(VALU_DEP_4) | instskip(NEXT) | instid1(VALU_DEP_3)
	v_cndmask_b32_e64 v65, v65, v90, s15
	v_cndmask_b32_e64 v96, v71, v90, s11
	v_perm_b32 v71, v69, v66, 0x5040100
	s_delay_alu instid0(VALU_DEP_4)
	v_cndmask_b32_e64 v69, v86, v94, s11
	v_cndmask_b32_e64 v86, v87, v84, s4
	;; [unrolled: 1-line block ×34, first 2 shown]
	v_cndmask_b32_e32 v84, v84, v103, vcc_lo
	v_cndmask_b32_e32 v86, v87, v83, vcc_lo
	v_cndmask_b32_e64 v87, v88, v83, s26
	v_cndmask_b32_e64 v88, v85, v83, s17
	;; [unrolled: 1-line block ×3, first 2 shown]
	v_perm_b32 v69, v101, v100, 0x5040100
	v_perm_b32 v86, v86, v84, 0x5040100
	;; [unrolled: 1-line block ×5, first 2 shown]
	s_lshl_b32 s7, s35, 3
	s_mov_b32 s2, exec_lo
	ds_store_b128 v76, v[69:72]
	ds_store_b128 v76, v[83:86] offset:1024
	v_cmpx_gt_u32_e32 8, v0
	s_cbranch_execz .LBB1861_78
; %bb.77:
	v_or_b32_e32 v65, s29, v0
	s_load_b128 s[8:11], s[0:1], 0x58
	s_delay_alu instid0(VALU_DEP_1) | instskip(NEXT) | instid1(VALU_DEP_1)
	v_mad_u64_u32 v[69:70], null, s7, s30, v[65:66]
	v_mad_u64_u32 v[65:66], null, v69, s34, s[14:15]
	s_delay_alu instid0(VALU_DEP_1) | instskip(NEXT) | instid1(VALU_DEP_1)
	v_ashrrev_i32_e32 v66, 31, v65
	v_lshlrev_b64 v[65:66], 2, v[65:66]
	s_waitcnt lgkmcnt(0)
	s_delay_alu instid0(VALU_DEP_1) | instskip(NEXT) | instid1(VALU_DEP_2)
	v_add_co_u32 v69, vcc_lo, s10, v65
	v_add_co_ci_u32_e32 v70, vcc_lo, s11, v66, vcc_lo
	v_add_co_u32 v65, vcc_lo, s8, v65
	v_add_co_ci_u32_e32 v66, vcc_lo, s9, v66, vcc_lo
	global_store_b32 v[69:70], v67, off
	global_store_b32 v[65:66], v68, off
.LBB1861_78:
	s_or_b32 exec_lo, exec_lo, s2
	s_waitcnt lgkmcnt(0)
	s_waitcnt_vscnt null, 0x0
	s_barrier
	buffer_gl0_inv
	ds_load_b128 v[83:86], v80
	ds_load_b128 v[87:90], v80 offset:16
	ds_load_b128 v[95:98], v80 offset:2064
	;; [unrolled: 1-line block ×3, first 2 shown]
	v_mov_b32_e32 v65, 0
	ds_load_b128 v[103:106], v80 offset:4112
	ds_load_b128 v[99:102], v80 offset:4096
	;; [unrolled: 1-line block ×4, first 2 shown]
	v_mov_b32_e32 v66, v65
	v_mov_b32_e32 v67, v65
	;; [unrolled: 1-line block ×7, first 2 shown]
	s_waitcnt lgkmcnt(6)
	s_delay_alu instid0(VALU_DEP_1)
	v_wmma_f32_16x16x16_bf16 v[65:72], v[49:56], v[83:90], v[65:72]
	ds_load_b128 v[53:56], v80 offset:8208
	ds_load_b128 v[49:52], v80 offset:8192
	s_waitcnt lgkmcnt(6)
	v_wmma_f32_16x16x16_bf16 v[65:72], v[41:48], v[91:98], v[65:72]
	ds_load_b128 v[45:48], v80 offset:10256
	ds_load_b128 v[41:44], v80 offset:10240
	s_waitcnt lgkmcnt(6)
	;; [unrolled: 4-line block ×4, first 2 shown]
	v_wmma_f32_16x16x16_bf16 v[65:72], v[1:8], v[49:56], v[65:72]
	s_waitcnt lgkmcnt(4)
	s_delay_alu instid0(VALU_DEP_1) | instskip(SKIP_1) | instid1(VALU_DEP_1)
	v_wmma_f32_16x16x16_bf16 v[65:72], v[9:16], v[41:48], v[65:72]
	s_waitcnt lgkmcnt(2)
	v_wmma_f32_16x16x16_bf16 v[65:72], v[17:24], v[33:40], v[65:72]
	s_waitcnt lgkmcnt(0)
	s_delay_alu instid0(VALU_DEP_1) | instskip(NEXT) | instid1(VALU_DEP_1)
	v_wmma_f32_16x16x16_bf16 v[65:72], v[57:64], v[25:32], v[65:72]
	v_and_b32_e32 v1, 0x7f800000, v65
	s_delay_alu instid0(VALU_DEP_1) | instskip(SKIP_1) | instid1(SALU_CYCLE_1)
	v_cmp_ne_u32_e32 vcc_lo, 0x7f800000, v1
                                        ; implicit-def: $vgpr1
	s_and_saveexec_b32 s2, vcc_lo
	s_xor_b32 s2, exec_lo, s2
; %bb.79:
	v_bfe_u32 v1, v65, 16, 1
	s_delay_alu instid0(VALU_DEP_1)
	v_add3_u32 v1, v65, v1, 0x7fff
; %bb.80:
	s_and_not1_saveexec_b32 s2, s2
; %bb.81:
	v_and_b32_e32 v1, 0xffff, v65
	v_or_b32_e32 v2, 0x10000, v65
	s_delay_alu instid0(VALU_DEP_2) | instskip(NEXT) | instid1(VALU_DEP_2)
	v_cmp_eq_u32_e32 vcc_lo, 0, v1
	v_cndmask_b32_e32 v1, v2, v65, vcc_lo
; %bb.82:
	s_or_b32 exec_lo, exec_lo, s2
	v_and_b32_e32 v2, 0x7f800000, v66
	s_delay_alu instid0(VALU_DEP_1) | instskip(SKIP_1) | instid1(SALU_CYCLE_1)
	v_cmp_ne_u32_e32 vcc_lo, 0x7f800000, v2
                                        ; implicit-def: $vgpr2
	s_and_saveexec_b32 s2, vcc_lo
	s_xor_b32 s2, exec_lo, s2
; %bb.83:
	v_bfe_u32 v2, v66, 16, 1
	s_delay_alu instid0(VALU_DEP_1)
	v_add3_u32 v2, v66, v2, 0x7fff
; %bb.84:
	s_and_not1_saveexec_b32 s2, s2
; %bb.85:
	v_and_b32_e32 v2, 0xffff, v66
	v_or_b32_e32 v3, 0x10000, v66
	s_delay_alu instid0(VALU_DEP_2) | instskip(NEXT) | instid1(VALU_DEP_2)
	v_cmp_eq_u32_e32 vcc_lo, 0, v2
	v_cndmask_b32_e32 v2, v3, v66, vcc_lo
; %bb.86:
	s_or_b32 exec_lo, exec_lo, s2
	v_and_b32_e32 v3, 0x7f800000, v67
	s_delay_alu instid0(VALU_DEP_1) | instskip(SKIP_1) | instid1(SALU_CYCLE_1)
	v_cmp_ne_u32_e32 vcc_lo, 0x7f800000, v3
                                        ; implicit-def: $vgpr3
	s_and_saveexec_b32 s2, vcc_lo
	s_xor_b32 s2, exec_lo, s2
; %bb.87:
	v_bfe_u32 v3, v67, 16, 1
	s_delay_alu instid0(VALU_DEP_1)
	v_add3_u32 v3, v67, v3, 0x7fff
; %bb.88:
	s_and_not1_saveexec_b32 s2, s2
; %bb.89:
	v_and_b32_e32 v3, 0xffff, v67
	v_or_b32_e32 v4, 0x10000, v67
	s_delay_alu instid0(VALU_DEP_2) | instskip(NEXT) | instid1(VALU_DEP_2)
	v_cmp_eq_u32_e32 vcc_lo, 0, v3
	v_cndmask_b32_e32 v3, v4, v67, vcc_lo
; %bb.90:
	s_or_b32 exec_lo, exec_lo, s2
	v_and_b32_e32 v4, 0x7f800000, v68
	s_delay_alu instid0(VALU_DEP_1) | instskip(SKIP_1) | instid1(SALU_CYCLE_1)
	v_cmp_ne_u32_e32 vcc_lo, 0x7f800000, v4
                                        ; implicit-def: $vgpr4
	s_and_saveexec_b32 s2, vcc_lo
	s_xor_b32 s2, exec_lo, s2
; %bb.91:
	v_bfe_u32 v4, v68, 16, 1
	s_delay_alu instid0(VALU_DEP_1)
	v_add3_u32 v4, v68, v4, 0x7fff
; %bb.92:
	s_and_not1_saveexec_b32 s2, s2
; %bb.93:
	v_and_b32_e32 v4, 0xffff, v68
	v_or_b32_e32 v5, 0x10000, v68
	s_delay_alu instid0(VALU_DEP_2) | instskip(NEXT) | instid1(VALU_DEP_2)
	v_cmp_eq_u32_e32 vcc_lo, 0, v4
	v_cndmask_b32_e32 v4, v5, v68, vcc_lo
; %bb.94:
	s_or_b32 exec_lo, exec_lo, s2
	v_and_b32_e32 v5, 0x7f800000, v69
	s_delay_alu instid0(VALU_DEP_1) | instskip(SKIP_1) | instid1(SALU_CYCLE_1)
	v_cmp_ne_u32_e32 vcc_lo, 0x7f800000, v5
                                        ; implicit-def: $vgpr5
	s_and_saveexec_b32 s2, vcc_lo
	s_xor_b32 s2, exec_lo, s2
; %bb.95:
	v_bfe_u32 v5, v69, 16, 1
	s_delay_alu instid0(VALU_DEP_1)
	v_add3_u32 v5, v69, v5, 0x7fff
; %bb.96:
	s_and_not1_saveexec_b32 s2, s2
; %bb.97:
	v_and_b32_e32 v5, 0xffff, v69
	v_or_b32_e32 v6, 0x10000, v69
	s_delay_alu instid0(VALU_DEP_2) | instskip(NEXT) | instid1(VALU_DEP_2)
	v_cmp_eq_u32_e32 vcc_lo, 0, v5
	v_cndmask_b32_e32 v5, v6, v69, vcc_lo
; %bb.98:
	s_or_b32 exec_lo, exec_lo, s2
	v_and_b32_e32 v6, 0x7f800000, v70
	s_delay_alu instid0(VALU_DEP_1) | instskip(SKIP_1) | instid1(SALU_CYCLE_1)
	v_cmp_ne_u32_e32 vcc_lo, 0x7f800000, v6
                                        ; implicit-def: $vgpr6
	s_and_saveexec_b32 s2, vcc_lo
	s_xor_b32 s2, exec_lo, s2
; %bb.99:
	v_bfe_u32 v6, v70, 16, 1
	s_delay_alu instid0(VALU_DEP_1)
	v_add3_u32 v6, v70, v6, 0x7fff
; %bb.100:
	s_and_not1_saveexec_b32 s2, s2
; %bb.101:
	v_and_b32_e32 v6, 0xffff, v70
	v_or_b32_e32 v7, 0x10000, v70
	s_delay_alu instid0(VALU_DEP_2) | instskip(NEXT) | instid1(VALU_DEP_2)
	v_cmp_eq_u32_e32 vcc_lo, 0, v6
	v_cndmask_b32_e32 v6, v7, v70, vcc_lo
; %bb.102:
	s_or_b32 exec_lo, exec_lo, s2
	v_and_b32_e32 v7, 0x7f800000, v71
	s_delay_alu instid0(VALU_DEP_1) | instskip(SKIP_1) | instid1(SALU_CYCLE_1)
	v_cmp_ne_u32_e32 vcc_lo, 0x7f800000, v7
                                        ; implicit-def: $vgpr7
	s_and_saveexec_b32 s2, vcc_lo
	s_xor_b32 s2, exec_lo, s2
; %bb.103:
	v_bfe_u32 v7, v71, 16, 1
	s_delay_alu instid0(VALU_DEP_1)
	v_add3_u32 v7, v71, v7, 0x7fff
; %bb.104:
	s_and_not1_saveexec_b32 s2, s2
; %bb.105:
	v_and_b32_e32 v7, 0xffff, v71
	v_or_b32_e32 v8, 0x10000, v71
	s_delay_alu instid0(VALU_DEP_2) | instskip(NEXT) | instid1(VALU_DEP_2)
	v_cmp_eq_u32_e32 vcc_lo, 0, v7
	v_cndmask_b32_e32 v7, v8, v71, vcc_lo
; %bb.106:
	s_or_b32 exec_lo, exec_lo, s2
	v_and_b32_e32 v8, 0x7f800000, v72
	s_delay_alu instid0(VALU_DEP_1) | instskip(SKIP_1) | instid1(SALU_CYCLE_1)
	v_cmp_ne_u32_e32 vcc_lo, 0x7f800000, v8
                                        ; implicit-def: $vgpr8
	s_and_saveexec_b32 s2, vcc_lo
	s_xor_b32 s2, exec_lo, s2
; %bb.107:
	v_bfe_u32 v8, v72, 16, 1
	s_delay_alu instid0(VALU_DEP_1)
	v_add3_u32 v8, v72, v8, 0x7fff
                                        ; implicit-def: $vgpr65_vgpr66_vgpr67_vgpr68_vgpr69_vgpr70_vgpr71_vgpr72
; %bb.108:
	s_and_not1_saveexec_b32 s2, s2
; %bb.109:
	v_and_b32_e32 v8, 0xffff, v72
	v_or_b32_e32 v9, 0x10000, v72
	s_delay_alu instid0(VALU_DEP_2) | instskip(NEXT) | instid1(VALU_DEP_2)
	v_cmp_eq_u32_e32 vcc_lo, 0, v8
	v_cndmask_b32_e32 v8, v9, v72, vcc_lo
; %bb.110:
	s_or_b32 exec_lo, exec_lo, s2
	s_delay_alu instid0(VALU_DEP_1)
	v_perm_b32 v7, v8, v7, 0x7060302
	v_perm_b32 v6, v6, v5, 0x7060302
	;; [unrolled: 1-line block ×4, first 2 shown]
	s_barrier
	buffer_gl0_inv
	v_cmp_eq_u32_e32 vcc_lo, 1, v78
	ds_store_b128 v76, v[4:7]
	s_waitcnt lgkmcnt(0)
	s_barrier
	buffer_gl0_inv
	ds_load_b128 v[1:4], v82
	ds_load_b128 v[5:8], v82 offset:16
	v_cmp_eq_u32_e64 s2, 1, v79
	v_cmp_eq_u32_e64 s3, 2, v78
	;; [unrolled: 1-line block ×5, first 2 shown]
	s_waitcnt lgkmcnt(1)
	v_lshrrev_b32_e32 v9, 16, v1
	s_waitcnt lgkmcnt(0)
	v_lshrrev_b32_e32 v13, 16, v5
	v_lshrrev_b32_e32 v10, 16, v2
	;; [unrolled: 1-line block ×4, first 2 shown]
	v_cndmask_b32_e64 v19, v1, v9, s2
	v_cndmask_b32_e32 v18, v5, v13, vcc_lo
	v_cndmask_b32_e64 v20, v5, v13, s2
	v_cndmask_b32_e32 v17, v1, v9, vcc_lo
	v_cmp_eq_u32_e32 vcc_lo, 2, v79
	v_lshrrev_b32_e32 v15, 16, v7
	v_cmp_eq_u32_e64 s2, 1, v77
	v_lshrrev_b32_e32 v12, 16, v4
	v_lshrrev_b32_e32 v16, 16, v8
	v_cndmask_b32_e32 v20, v20, v6, vcc_lo
	v_cndmask_b32_e64 v17, v17, v2, s3
	v_cndmask_b32_e32 v19, v19, v2, vcc_lo
	v_cndmask_b32_e64 v18, v18, v6, s3
	v_cmp_eq_u32_e32 vcc_lo, 4, v78
	v_cmp_eq_u32_e64 s3, 3, v79
	v_cndmask_b32_e64 v17, v17, v10, s4
	v_cndmask_b32_e64 v21, v1, v9, s2
	;; [unrolled: 1-line block ×5, first 2 shown]
	v_cndmask_b32_e32 v17, v17, v3, vcc_lo
	v_cndmask_b32_e64 v20, v20, v14, s3
	v_cndmask_b32_e32 v18, v18, v7, vcc_lo
	v_cmp_eq_u32_e32 vcc_lo, 4, v79
	v_cmp_eq_u32_e64 s3, 5, v79
	v_cmp_eq_u32_e64 s2, 2, v81
	v_cndmask_b32_e64 v21, v21, v2, s6
	v_cmp_eq_u32_e64 s4, 5, v78
	v_cndmask_b32_e32 v19, v19, v3, vcc_lo
	v_cndmask_b32_e32 v20, v20, v7, vcc_lo
	v_cmp_eq_u32_e32 vcc_lo, 6, v79
	s_delay_alu instid0(VALU_DEP_4) | instskip(NEXT) | instid1(VALU_DEP_4)
	v_cndmask_b32_e64 v17, v17, v11, s4
	v_cndmask_b32_e64 v19, v19, v11, s3
	s_delay_alu instid0(VALU_DEP_4) | instskip(SKIP_1) | instid1(VALU_DEP_3)
	v_cndmask_b32_e64 v20, v20, v15, s3
	v_cmp_eq_u32_e64 s3, 1, v81
	v_cndmask_b32_e32 v19, v19, v4, vcc_lo
	v_cndmask_b32_e64 v18, v18, v15, s4
	s_delay_alu instid0(VALU_DEP_3)
	v_cndmask_b32_e64 v1, v1, v9, s3
	v_cndmask_b32_e64 v5, v5, v13, s3
	v_cmp_eq_u32_e64 s3, 3, v77
	v_cndmask_b32_e64 v13, v22, v6, s6
	v_cmp_eq_u32_e64 s6, 3, v81
	v_cndmask_b32_e64 v1, v1, v2, s2
	v_cndmask_b32_e64 v2, v5, v6, s2
	;; [unrolled: 1-line block ×3, first 2 shown]
	v_cmp_eq_u32_e64 s2, 4, v77
	v_cndmask_b32_e64 v6, v13, v14, s3
	v_cndmask_b32_e64 v1, v1, v10, s6
	v_cmp_eq_u32_e64 s3, 4, v81
	v_cndmask_b32_e64 v2, v2, v14, s6
	v_cndmask_b32_e64 v5, v9, v3, s2
	;; [unrolled: 3-line block ×3, first 2 shown]
	v_cndmask_b32_e64 v2, v2, v7, s3
	v_cmp_eq_u32_e64 s2, 5, v81
	v_cmp_eq_u32_e64 s4, 6, v78
	v_cndmask_b32_e64 v5, v5, v11, s6
	v_cmp_eq_u32_e64 s3, 6, v77
	v_cndmask_b32_e64 v3, v6, v15, s6
	v_cndmask_b32_e64 v1, v1, v11, s2
	v_cmp_eq_u32_e64 s6, 6, v81
	v_cndmask_b32_e64 v2, v2, v15, s2
	v_cndmask_b32_e64 v17, v17, v4, s4
	v_cndmask_b32_e64 v18, v18, v8, s4
	v_cmp_eq_u32_e64 s4, 7, v78
	v_cndmask_b32_e64 v5, v5, v4, s3
	;; [unrolled: 4-line block ×3, first 2 shown]
	v_cmp_eq_u32_e64 s3, 7, v77
	v_cndmask_b32_e32 v4, v20, v8, vcc_lo
	v_cndmask_b32_e64 v17, v17, v12, s4
	v_cndmask_b32_e64 v19, v19, v12, s5
	;; [unrolled: 1-line block ×8, first 2 shown]
	s_mov_b32 s2, exec_lo
	v_perm_b32 v4, v2, v1, 0x5040100
	v_perm_b32 v3, v3, v5, 0x5040100
	;; [unrolled: 1-line block ×4, first 2 shown]
	ds_store_b128 v76, v[1:4]
	s_waitcnt lgkmcnt(0)
	s_barrier
	buffer_gl0_inv
	v_cmpx_gt_u32_e32 32, v0
	s_cbranch_execz .LBB1861_2
; %bb.111:
	s_load_b64 s[0:1], s[0:1], 0x68
	s_lshl_b32 s4, s34, 7
	v_or_b32_e32 v2, s29, v74
	s_mul_i32 s2, s4, s30
	v_lshlrev_b32_e32 v1, 10, v0
	s_mul_i32 s2, s2, s7
	v_lshlrev_b32_e32 v3, 4, v75
	v_mul_lo_u32 v0, v2, s4
	s_ashr_i32 s3, s2, 31
	v_lshlrev_b32_e32 v4, 6, v74
	v_and_b32_e32 v1, 0x3800, v1
	v_or_b32_e32 v5, 2, v2
	s_lshl_b64 s[2:3], s[2:3], 1
	v_or_b32_e32 v6, 4, v2
	v_or_b32_e32 v7, 6, v2
	v_or3_b32 v12, v1, v3, v4
	v_ashrrev_i32_e32 v1, 31, v0
	v_mul_lo_u32 v2, v5, s4
	v_mul_lo_u32 v16, v6, s4
	;; [unrolled: 1-line block ×3, first 2 shown]
	s_waitcnt lgkmcnt(0)
	s_add_u32 s2, s0, s2
	s_addc_u32 s3, s1, s3
	s_lshl_b32 s0, s14, 7
	v_lshlrev_b64 v[0:1], 1, v[0:1]
	s_ashr_i32 s1, s0, 31
	v_ashrrev_i32_e32 v3, 31, v2
	s_lshl_b64 s[0:1], s[0:1], 1
	v_ashrrev_i32_e32 v17, 31, v16
	s_add_u32 s0, s2, s0
	s_addc_u32 s1, s3, s1
	v_add_co_u32 v24, s0, s0, v73
	s_delay_alu instid0(VALU_DEP_1) | instskip(SKIP_1) | instid1(VALU_DEP_3)
	v_add_co_ci_u32_e64 v25, null, s1, 0, s0
	v_lshlrev_b64 v[22:23], 1, v[2:3]
	v_add_co_u32 v18, vcc_lo, v24, v0
	s_delay_alu instid0(VALU_DEP_3)
	v_add_co_ci_u32_e32 v19, vcc_lo, v25, v1, vcc_lo
	ds_load_b128 v[0:3], v12
	ds_load_b128 v[4:7], v12 offset:128
	ds_load_b128 v[8:11], v12 offset:256
	;; [unrolled: 1-line block ×3, first 2 shown]
	v_ashrrev_i32_e32 v21, 31, v20
	v_lshlrev_b64 v[16:17], 1, v[16:17]
	v_add_co_u32 v22, vcc_lo, v24, v22
	v_add_co_ci_u32_e32 v23, vcc_lo, v25, v23, vcc_lo
	s_delay_alu instid0(VALU_DEP_4) | instskip(NEXT) | instid1(VALU_DEP_4)
	v_lshlrev_b64 v[20:21], 1, v[20:21]
	v_add_co_u32 v16, vcc_lo, v24, v16
	v_add_co_ci_u32_e32 v17, vcc_lo, v25, v17, vcc_lo
	s_delay_alu instid0(VALU_DEP_3) | instskip(NEXT) | instid1(VALU_DEP_4)
	v_add_co_u32 v20, vcc_lo, v24, v20
	v_add_co_ci_u32_e32 v21, vcc_lo, v25, v21, vcc_lo
	s_waitcnt lgkmcnt(3)
	global_store_b128 v[18:19], v[0:3], off
	s_waitcnt lgkmcnt(2)
	global_store_b128 v[22:23], v[4:7], off
	;; [unrolled: 2-line block ×4, first 2 shown]
	s_nop 0
	s_sendmsg sendmsg(MSG_DEALLOC_VGPRS)
	s_endpgm
	.section	.rodata,"a",@progbits
	.p2align	6, 0x0
	.amdhsa_kernel _Z39paged_attention_ll4mi_QKV_mfma16_kernelI14__hip_bfloat16hLN4vllm18Fp8KVCacheDataTypeE1EhLi32ELi128ELi256ELb1ELi8EL8MFMAType0EEvPKT_PKT0_S9_ifPKiSB_SB_iPKfiiiPfSE_PS4_PT2_iSD_SD_
		.amdhsa_group_segment_fixed_size 17472
		.amdhsa_private_segment_fixed_size 0
		.amdhsa_kernarg_size 400
		.amdhsa_user_sgpr_count 13
		.amdhsa_user_sgpr_dispatch_ptr 0
		.amdhsa_user_sgpr_queue_ptr 0
		.amdhsa_user_sgpr_kernarg_segment_ptr 1
		.amdhsa_user_sgpr_dispatch_id 0
		.amdhsa_user_sgpr_private_segment_size 0
		.amdhsa_wavefront_size32 1
		.amdhsa_uses_dynamic_stack 0
		.amdhsa_enable_private_segment 0
		.amdhsa_system_sgpr_workgroup_id_x 1
		.amdhsa_system_sgpr_workgroup_id_y 1
		.amdhsa_system_sgpr_workgroup_id_z 1
		.amdhsa_system_sgpr_workgroup_info 0
		.amdhsa_system_vgpr_workitem_id 0
		.amdhsa_next_free_vgpr 140
		.amdhsa_next_free_sgpr 36
		.amdhsa_reserve_vcc 1
		.amdhsa_float_round_mode_32 0
		.amdhsa_float_round_mode_16_64 0
		.amdhsa_float_denorm_mode_32 3
		.amdhsa_float_denorm_mode_16_64 3
		.amdhsa_dx10_clamp 1
		.amdhsa_ieee_mode 1
		.amdhsa_fp16_overflow 0
		.amdhsa_workgroup_processor_mode 1
		.amdhsa_memory_ordered 1
		.amdhsa_forward_progress 0
		.amdhsa_shared_vgpr_count 0
		.amdhsa_exception_fp_ieee_invalid_op 0
		.amdhsa_exception_fp_denorm_src 0
		.amdhsa_exception_fp_ieee_div_zero 0
		.amdhsa_exception_fp_ieee_overflow 0
		.amdhsa_exception_fp_ieee_underflow 0
		.amdhsa_exception_fp_ieee_inexact 0
		.amdhsa_exception_int_div_zero 0
	.end_amdhsa_kernel
	.section	.text._Z39paged_attention_ll4mi_QKV_mfma16_kernelI14__hip_bfloat16hLN4vllm18Fp8KVCacheDataTypeE1EhLi32ELi128ELi256ELb1ELi8EL8MFMAType0EEvPKT_PKT0_S9_ifPKiSB_SB_iPKfiiiPfSE_PS4_PT2_iSD_SD_,"axG",@progbits,_Z39paged_attention_ll4mi_QKV_mfma16_kernelI14__hip_bfloat16hLN4vllm18Fp8KVCacheDataTypeE1EhLi32ELi128ELi256ELb1ELi8EL8MFMAType0EEvPKT_PKT0_S9_ifPKiSB_SB_iPKfiiiPfSE_PS4_PT2_iSD_SD_,comdat
.Lfunc_end1861:
	.size	_Z39paged_attention_ll4mi_QKV_mfma16_kernelI14__hip_bfloat16hLN4vllm18Fp8KVCacheDataTypeE1EhLi32ELi128ELi256ELb1ELi8EL8MFMAType0EEvPKT_PKT0_S9_ifPKiSB_SB_iPKfiiiPfSE_PS4_PT2_iSD_SD_, .Lfunc_end1861-_Z39paged_attention_ll4mi_QKV_mfma16_kernelI14__hip_bfloat16hLN4vllm18Fp8KVCacheDataTypeE1EhLi32ELi128ELi256ELb1ELi8EL8MFMAType0EEvPKT_PKT0_S9_ifPKiSB_SB_iPKfiiiPfSE_PS4_PT2_iSD_SD_
                                        ; -- End function
	.section	.AMDGPU.csdata,"",@progbits
; Kernel info:
; codeLenInByte = 8860
; NumSgprs: 38
; NumVgprs: 140
; ScratchSize: 0
; MemoryBound: 0
; FloatMode: 240
; IeeeMode: 1
; LDSByteSize: 17472 bytes/workgroup (compile time only)
; SGPRBlocks: 4
; VGPRBlocks: 17
; NumSGPRsForWavesPerEU: 38
; NumVGPRsForWavesPerEU: 140
; Occupancy: 10
; WaveLimiterHint : 1
; COMPUTE_PGM_RSRC2:SCRATCH_EN: 0
; COMPUTE_PGM_RSRC2:USER_SGPR: 13
; COMPUTE_PGM_RSRC2:TRAP_HANDLER: 0
; COMPUTE_PGM_RSRC2:TGID_X_EN: 1
; COMPUTE_PGM_RSRC2:TGID_Y_EN: 1
; COMPUTE_PGM_RSRC2:TGID_Z_EN: 1
; COMPUTE_PGM_RSRC2:TIDIG_COMP_CNT: 0
	.section	.text._Z39paged_attention_ll4mi_QKV_mfma16_kernelI14__hip_bfloat16hLN4vllm18Fp8KVCacheDataTypeE1EhLi32ELi128ELi256ELb1ELi9EL8MFMAType0EEvPKT_PKT0_S9_ifPKiSB_SB_iPKfiiiPfSE_PS4_PT2_iSD_SD_,"axG",@progbits,_Z39paged_attention_ll4mi_QKV_mfma16_kernelI14__hip_bfloat16hLN4vllm18Fp8KVCacheDataTypeE1EhLi32ELi128ELi256ELb1ELi9EL8MFMAType0EEvPKT_PKT0_S9_ifPKiSB_SB_iPKfiiiPfSE_PS4_PT2_iSD_SD_,comdat
	.protected	_Z39paged_attention_ll4mi_QKV_mfma16_kernelI14__hip_bfloat16hLN4vllm18Fp8KVCacheDataTypeE1EhLi32ELi128ELi256ELb1ELi9EL8MFMAType0EEvPKT_PKT0_S9_ifPKiSB_SB_iPKfiiiPfSE_PS4_PT2_iSD_SD_ ; -- Begin function _Z39paged_attention_ll4mi_QKV_mfma16_kernelI14__hip_bfloat16hLN4vllm18Fp8KVCacheDataTypeE1EhLi32ELi128ELi256ELb1ELi9EL8MFMAType0EEvPKT_PKT0_S9_ifPKiSB_SB_iPKfiiiPfSE_PS4_PT2_iSD_SD_
	.globl	_Z39paged_attention_ll4mi_QKV_mfma16_kernelI14__hip_bfloat16hLN4vllm18Fp8KVCacheDataTypeE1EhLi32ELi128ELi256ELb1ELi9EL8MFMAType0EEvPKT_PKT0_S9_ifPKiSB_SB_iPKfiiiPfSE_PS4_PT2_iSD_SD_
	.p2align	8
	.type	_Z39paged_attention_ll4mi_QKV_mfma16_kernelI14__hip_bfloat16hLN4vllm18Fp8KVCacheDataTypeE1EhLi32ELi128ELi256ELb1ELi9EL8MFMAType0EEvPKT_PKT0_S9_ifPKiSB_SB_iPKfiiiPfSE_PS4_PT2_iSD_SD_,@function
_Z39paged_attention_ll4mi_QKV_mfma16_kernelI14__hip_bfloat16hLN4vllm18Fp8KVCacheDataTypeE1EhLi32ELi128ELi256ELb1ELi9EL8MFMAType0EEvPKT_PKT0_S9_ifPKiSB_SB_iPKfiiiPfSE_PS4_PT2_iSD_SD_: ; @_Z39paged_attention_ll4mi_QKV_mfma16_kernelI14__hip_bfloat16hLN4vllm18Fp8KVCacheDataTypeE1EhLi32ELi128ELi256ELb1ELi9EL8MFMAType0EEvPKT_PKT0_S9_ifPKiSB_SB_iPKfiiiPfSE_PS4_PT2_iSD_SD_
; %bb.0:
	s_load_b64 s[4:5], s[0:1], 0x30
	s_mov_b32 s30, s13
	s_waitcnt lgkmcnt(0)
	s_cmp_lg_u64 s[4:5], 0
	s_cselect_b32 s13, -1, 0
	s_ashr_i32 s31, s30, 31
	s_cmp_eq_u64 s[4:5], 0
	s_cbranch_scc1 .LBB1862_3
; %bb.1:
	s_lshl_b64 s[2:3], s[30:31], 2
	s_delay_alu instid0(SALU_CYCLE_1) | instskip(SKIP_4) | instid1(SALU_CYCLE_1)
	s_add_u32 s2, s4, s2
	s_addc_u32 s3, s5, s3
	s_load_b64 s[2:3], s[2:3], 0x0
	s_waitcnt lgkmcnt(0)
	s_sub_i32 s2, s3, s2
	s_cmp_eq_u32 s2, 1
	s_cselect_b32 s2, -1, 0
	s_delay_alu instid0(SALU_CYCLE_1)
	s_and_not1_b32 vcc_lo, exec_lo, s2
	s_cbranch_vccz .LBB1862_4
.LBB1862_2:
	s_nop 0
	s_sendmsg sendmsg(MSG_DEALLOC_VGPRS)
	s_endpgm
.LBB1862_3:
.LBB1862_4:
	s_load_b64 s[2:3], s[0:1], 0x28
	s_lshl_b64 s[6:7], s[30:31], 2
	s_waitcnt lgkmcnt(0)
	s_add_u32 s2, s2, s6
	s_addc_u32 s3, s3, s7
	s_lshl_b32 s12, s14, 8
	s_load_b32 s17, s[2:3], 0x0
	s_waitcnt lgkmcnt(0)
	s_cmp_ge_i32 s12, s17
	s_cbranch_scc1 .LBB1862_2
; %bb.5:
	s_clause 0x1
	s_load_b128 s[8:11], s[0:1], 0x8
	s_load_b64 s[2:3], s[0:1], 0x20
	s_and_not1_b32 vcc_lo, exec_lo, s13
	s_cbranch_vccnz .LBB1862_7
; %bb.6:
	s_add_u32 s4, s4, s6
	s_addc_u32 s5, s5, s7
	s_load_b32 s13, s[4:5], 0x0
	s_branch .LBB1862_8
.LBB1862_7:
	s_mov_b32 s13, s30
.LBB1862_8:
	s_load_b128 s[4:7], s[0:1], 0x48
	v_and_b32_e32 v65, 15, v0
	v_lshrrev_b32_e32 v66, 5, v0
	v_bfe_u32 v74, v0, 4, 1
	v_and_b32_e32 v67, 31, v0
	v_and_b32_e32 v75, 1, v0
	v_lshlrev_b32_e32 v2, 3, v65
	s_mul_i32 s31, s15, 9
	v_lshl_or_b32 v1, v66, 1, v74
	s_waitcnt lgkmcnt(0)
	s_mov_b32 s7, exec_lo
	v_lshlrev_b32_e32 v73, 1, v2
	s_delay_alu instid0(VALU_DEP_2)
	v_cmpx_gt_u32_e32 9, v1
	s_cbranch_execz .LBB1862_10
; %bb.9:
	s_load_b64 s[18:19], s[0:1], 0x0
	v_add_lshl_u32 v2, v1, s31, 7
	s_mul_hi_i32 s21, s13, s4
	s_mul_i32 s20, s13, s4
	v_lshlrev_b32_e32 v6, 10, v65
	s_lshl_b64 s[20:21], s[20:21], 1
	v_ashrrev_i32_e32 v3, 31, v2
	v_lshlrev_b32_e32 v1, 6, v1
	v_lshlrev_b32_e32 v7, 10, v75
	v_and_b32_e32 v6, 0x3800, v6
	s_delay_alu instid0(VALU_DEP_4) | instskip(NEXT) | instid1(VALU_DEP_2)
	v_lshlrev_b64 v[2:3], 1, v[2:3]
	v_or3_b32 v1, v6, v7, v1
	s_waitcnt lgkmcnt(0)
	s_add_u32 s4, s18, s20
	s_addc_u32 s13, s19, s21
	s_delay_alu instid0(VALU_DEP_2) | instskip(SKIP_1) | instid1(VALU_DEP_2)
	v_add_co_u32 v2, vcc_lo, s4, v2
	v_add_co_ci_u32_e32 v3, vcc_lo, s13, v3, vcc_lo
	v_add_co_u32 v2, vcc_lo, v2, v73
	s_delay_alu instid0(VALU_DEP_2)
	v_add_co_ci_u32_e32 v3, vcc_lo, 0, v3, vcc_lo
	global_load_b128 v[2:5], v[2:3], off
	s_waitcnt vmcnt(0)
	ds_store_b128 v1, v[2:5]
.LBB1862_10:
	s_or_b32 exec_lo, exec_lo, s7
	v_and_b32_e32 v1, 0xef, v0
	s_add_i32 s4, s17, 31
	s_clause 0x1
	s_load_b32 s7, s[0:1], 0x38
	s_load_b32 s18, s[0:1], 0x1c
	s_ashr_i32 s13, s4, 31
	v_add_nc_u32_e32 v1, s12, v1
	s_lshr_b32 s13, s13, 27
	s_waitcnt lgkmcnt(0)
	s_add_i32 s4, s4, s13
	s_barrier
	v_ashrrev_i32_e32 v2, 31, v1
	v_or_b32_e32 v3, 16, v1
	s_ashr_i32 s4, s4, 5
	v_cmp_gt_i32_e32 vcc_lo, s17, v1
	s_add_i32 s4, s4, -1
	v_lshrrev_b32_e32 v2, 27, v2
	buffer_gl0_inv
	s_mul_i32 s15, s15, s6
	v_add_nc_u32_e32 v4, v1, v2
	s_mul_i32 s20, s30, s7
	s_delay_alu instid0(SALU_CYCLE_1) | instskip(NEXT) | instid1(VALU_DEP_1)
	s_ashr_i32 s21, s20, 31
	v_ashrrev_i32_e32 v4, 5, v4
	v_add_nc_u32_e32 v2, v3, v2
	s_lshl_b64 s[20:21], s[20:21], 2
	s_delay_alu instid0(SALU_CYCLE_1) | instskip(NEXT) | instid1(VALU_DEP_2)
	s_add_u32 s13, s2, s20
	v_cndmask_b32_e32 v1, s4, v4, vcc_lo
	s_delay_alu instid0(VALU_DEP_2)
	v_ashrrev_i32_e32 v2, 5, v2
	v_cmp_gt_i32_e32 vcc_lo, s17, v3
	s_addc_u32 s16, s3, s21
	s_ashr_i32 s19, s15, 31
	s_add_u32 s2, s8, s15
	s_addc_u32 s3, s9, s19
	v_cndmask_b32_e32 v3, s4, v2, vcc_lo
	v_ashrrev_i32_e32 v2, 31, v1
	s_lshl_b32 s6, s14, 3
	s_delay_alu instid0(SALU_CYCLE_1) | instskip(NEXT) | instid1(VALU_DEP_2)
	s_ashr_i32 s7, s6, 31
	v_ashrrev_i32_e32 v4, 31, v3
	s_delay_alu instid0(VALU_DEP_2) | instskip(SKIP_1) | instid1(SALU_CYCLE_1)
	v_lshlrev_b64 v[1:2], 2, v[1:2]
	s_lshl_b64 s[6:7], s[6:7], 2
	s_add_u32 s6, s13, s6
	s_delay_alu instid0(VALU_DEP_2) | instskip(SKIP_1) | instid1(VALU_DEP_2)
	v_lshlrev_b64 v[3:4], 2, v[3:4]
	s_addc_u32 s7, s16, s7
	v_add_co_u32 v1, vcc_lo, s13, v1
	v_add_co_ci_u32_e32 v2, vcc_lo, s16, v2, vcc_lo
	s_delay_alu instid0(VALU_DEP_3) | instskip(NEXT) | instid1(VALU_DEP_4)
	v_add_co_u32 v3, vcc_lo, s13, v3
	v_add_co_ci_u32_e32 v4, vcc_lo, s16, v4, vcc_lo
	s_clause 0x1
	global_load_b32 v5, v[1:2], off
	global_load_b32 v6, v[3:4], off
	s_or_b32 s8, s12, 32
	s_delay_alu instid0(SALU_CYCLE_1) | instskip(SKIP_2) | instid1(SALU_CYCLE_1)
	s_ashr_i32 s9, s8, 5
	s_cmp_lt_i32 s8, s17
	s_cselect_b32 s8, s9, s4
	s_ashr_i32 s9, s8, 31
	s_delay_alu instid0(SALU_CYCLE_1) | instskip(NEXT) | instid1(SALU_CYCLE_1)
	s_lshl_b64 s[8:9], s[8:9], 2
	s_add_u32 s8, s13, s8
	s_addc_u32 s9, s16, s9
	s_or_b32 s20, s12, 64
	s_delay_alu instid0(SALU_CYCLE_1) | instskip(SKIP_2) | instid1(SALU_CYCLE_1)
	s_ashr_i32 s21, s20, 5
	s_cmp_lt_i32 s20, s17
	s_cselect_b32 s20, s21, s4
	s_ashr_i32 s21, s20, 31
	s_delay_alu instid0(SALU_CYCLE_1) | instskip(NEXT) | instid1(SALU_CYCLE_1)
	s_lshl_b64 s[20:21], s[20:21], 2
	s_add_u32 s20, s13, s20
	s_addc_u32 s21, s16, s21
	;; [unrolled: 10-line block ×5, first 2 shown]
	s_clause 0x5
	s_load_b32 s28, s[6:7], 0x0
	s_load_b32 s8, s[8:9], 0x0
	;; [unrolled: 1-line block ×6, first 2 shown]
	s_mov_b32 s20, 0
	s_delay_alu instid0(SALU_CYCLE_1)
	s_mov_b32 s21, s20
	s_mov_b32 s22, s20
	;; [unrolled: 1-line block ×7, first 2 shown]
	s_delay_alu instid0(SALU_CYCLE_1)
	v_dual_mov_b32 v107, s27 :: v_dual_mov_b32 v106, s26
	v_dual_mov_b32 v104, s24 :: v_dual_mov_b32 v103, s23
	;; [unrolled: 1-line block ×3, first 2 shown]
	v_mov_b32_e32 v100, s20
	s_waitcnt vmcnt(1)
	v_mad_i64_i32 v[1:2], null, v5, s5, s[2:3]
	v_lshlrev_b32_e32 v5, 4, v65
	s_waitcnt vmcnt(0)
	v_mad_i64_i32 v[3:4], null, v6, s5, s[2:3]
	s_or_b32 s2, s12, 0xc0
	s_delay_alu instid0(SALU_CYCLE_1) | instskip(NEXT) | instid1(VALU_DEP_3)
	s_ashr_i32 s3, s2, 5
	v_add_co_u32 v33, vcc_lo, v1, v5
	s_delay_alu instid0(VALU_DEP_4) | instskip(NEXT) | instid1(VALU_DEP_3)
	v_add_co_ci_u32_e32 v34, vcc_lo, 0, v2, vcc_lo
	v_add_co_u32 v35, vcc_lo, v3, v5
	s_delay_alu instid0(VALU_DEP_4)
	v_add_co_ci_u32_e32 v36, vcc_lo, 0, v4, vcc_lo
	s_clause 0xf
	global_load_b128 v[1:4], v[33:34], off
	global_load_b128 v[5:8], v[33:34], off offset:512
	global_load_b128 v[9:12], v[35:36], off offset:256
	;; [unrolled: 1-line block ×15, first 2 shown]
	s_cmp_lt_i32 s2, s17
	v_add_nc_u32_e32 v33, -9, v65
	s_cselect_b32 s2, s3, s4
	v_cmp_gt_u32_e32 vcc_lo, 9, v65
	s_ashr_i32 s3, s2, 31
	v_lshlrev_b32_e32 v34, 5, v65
	s_lshl_b64 s[2:3], s[2:3], 2
	s_delay_alu instid0(SALU_CYCLE_1)
	s_add_u32 s2, s13, s2
	s_addc_u32 s3, s16, s3
	s_or_b32 s6, s12, 0xe0
	v_cndmask_b32_e32 v33, v33, v65, vcc_lo
	s_ashr_i32 s7, s6, 5
	s_cmp_lt_i32 s6, s17
	v_mov_b32_e32 v105, s25
	s_cselect_b32 s6, s7, s4
	v_lshlrev_b32_e32 v72, 6, v33
	s_ashr_i32 s7, s6, 31
	v_lshl_or_b32 v41, v66, 9, v34
	s_lshl_b64 s[6:7], s[6:7], 2
	ds_load_b128 v[33:36], v72
	ds_load_b128 v[37:40], v72 offset:1024
	ds_load_b128 v[108:111], v72 offset:2048
	;; [unrolled: 1-line block ×3, first 2 shown]
	s_load_b32 s4, s[2:3], 0x0
	s_add_u32 s2, s13, s6
	s_addc_u32 s3, s16, s7
	ds_load_b128 v[116:119], v72 offset:4096
	ds_load_b128 v[120:123], v72 offset:5120
	s_load_b32 s2, s[2:3], 0x0
	s_add_u32 s6, s10, s15
	s_addc_u32 s7, s11, s19
	v_add_co_u32 v68, s6, s6, v41
	s_delay_alu instid0(VALU_DEP_1) | instskip(SKIP_1) | instid1(VALU_DEP_1)
	v_add_co_ci_u32_e64 v69, null, s7, 0, s6
	s_waitcnt lgkmcnt(0)
	v_mad_i64_i32 v[41:42], null, s28, s5, v[68:69]
	v_mad_i64_i32 v[70:71], null, s9, s5, v[68:69]
	;; [unrolled: 1-line block ×7, first 2 shown]
	s_clause 0x3
	global_load_b128 v[49:52], v[41:42], off
	global_load_b128 v[53:56], v[41:42], off offset:16
	global_load_b128 v[41:44], v[45:46], off
	global_load_b128 v[45:48], v[45:46], off offset:16
	s_waitcnt vmcnt(18)
	v_wmma_f32_16x16x16_bf16 v[124:131], v[1:8], v[33:40], v[100:107]
	s_waitcnt vmcnt(16)
	v_wmma_f32_16x16x16_bf16 v[100:107], v[9:16], v[33:40], v[100:107]
	s_clause 0x1
	global_load_b128 v[33:36], v[70:71], off
	global_load_b128 v[37:40], v[70:71], off offset:16
	v_mad_i64_i32 v[70:71], null, s2, s5, v[68:69]
	s_waitcnt vmcnt(16)
	v_wmma_f32_16x16x16_bf16 v[124:131], v[17:24], v[108:115], v[124:131]
	s_waitcnt vmcnt(14)
	v_wmma_f32_16x16x16_bf16 v[100:107], v[25:32], v[108:115], v[100:107]
	s_clause 0x7
	global_load_b128 v[25:28], v[132:133], off
	global_load_b128 v[29:32], v[132:133], off offset:16
	global_load_b128 v[1:4], v[134:135], off
	global_load_b128 v[5:8], v[134:135], off offset:16
	;; [unrolled: 2-line block ×4, first 2 shown]
	s_waitcnt vmcnt(20)
	v_wmma_f32_16x16x16_bf16 v[124:131], v[57:64], v[116:123], v[124:131]
	s_clause 0x1
	global_load_b128 v[57:60], v[70:71], off
	global_load_b128 v[61:64], v[70:71], off offset:16
	s_waitcnt vmcnt(20)
	v_wmma_f32_16x16x16_bf16 v[100:107], v[76:83], v[116:123], v[100:107]
	ds_load_b128 v[76:79], v72 offset:6144
	ds_load_b128 v[80:83], v72 offset:7168
	v_and_b32_e32 v68, 0xe0, v0
	v_mbcnt_lo_u32_b32 v69, -1, 0
	s_waitcnt vmcnt(0) lgkmcnt(0)
	s_barrier
	buffer_gl0_inv
	v_add_nc_u32_e32 v68, s12, v68
	v_xor_b32_e32 v70, 16, v69
	s_delay_alu instid0(VALU_DEP_2) | instskip(NEXT) | instid1(VALU_DEP_2)
	v_or_b32_e32 v68, v68, v74
	v_cmp_gt_i32_e32 vcc_lo, 32, v70
	s_delay_alu instid0(VALU_DEP_2)
	v_or_b32_e32 v71, 4, v68
	v_or_b32_e32 v72, 6, v68
	v_cmp_gt_i32_e64 s2, s17, v68
	v_or_b32_e32 v108, 8, v68
	v_wmma_f32_16x16x16_bf16 v[124:131], v[84:91], v[76:83], v[124:131]
	v_cndmask_b32_e32 v69, v69, v70, vcc_lo
	v_or_b32_e32 v70, 2, v68
	v_wmma_f32_16x16x16_bf16 v[100:107], v[92:99], v[76:83], v[100:107]
	v_or_b32_e32 v109, 10, v68
	v_dual_mul_f32 v80, s18, v129 :: v_dual_mul_f32 v81, s18, v128
	v_dual_mul_f32 v92, s18, v125 :: v_dual_mul_f32 v93, s18, v124
	s_delay_alu instid0(VALU_DEP_4)
	v_mul_f32_e32 v96, s18, v105
	v_cmp_gt_i32_e32 vcc_lo, s17, v70
	v_or_b32_e32 v89, 22, v68
	v_dual_mul_f32 v79, s18, v130 :: v_dual_mul_f32 v82, s18, v127
	v_dual_mul_f32 v83, s18, v126 :: v_dual_mul_f32 v94, s18, v107
	v_cndmask_b32_e64 v93, 0xff7fffff, v93, s2
	v_cndmask_b32_e32 v92, 0xff7fffff, v92, vcc_lo
	v_cmp_gt_i32_e64 s3, s17, v71
	v_cmp_gt_i32_e64 s4, s17, v72
	v_or_b32_e32 v84, 12, v68
	v_or_b32_e32 v85, 14, v68
	v_cmp_gt_i32_e64 s5, s17, v108
	v_cndmask_b32_e64 v71, 0xff7fffff, v83, s3
	v_cndmask_b32_e64 v72, 0xff7fffff, v82, s4
	v_cmp_gt_i32_e64 s6, s17, v109
	v_cmp_gt_i32_e64 s12, s17, v89
	v_lshlrev_b32_e32 v89, 2, v69
	v_max3_f32 v82, v93, 0xff7fffff, v92
	v_or_b32_e32 v86, 16, v68
	v_or_b32_e32 v87, 18, v68
	v_mul_f32_e32 v78, s18, v131
	v_cndmask_b32_e64 v81, 0xff7fffff, v81, s5
	v_cndmask_b32_e64 v80, 0xff7fffff, v80, s6
	v_max3_f32 v71, v82, v71, v72
	v_cmp_gt_i32_e64 s7, s17, v84
	v_cmp_gt_i32_e64 s8, s17, v85
	v_or_b32_e32 v88, 20, v68
	v_or_b32_e32 v90, 24, v68
	;; [unrolled: 1-line block ×5, first 2 shown]
	v_dual_mul_f32 v97, s18, v104 :: v_dual_mul_f32 v70, s18, v101
	v_dual_mul_f32 v99, s18, v102 :: v_dual_mul_f32 v68, s18, v100
	v_cndmask_b32_e64 v72, 0xff7fffff, v79, s7
	v_cndmask_b32_e64 v78, 0xff7fffff, v78, s8
	v_max3_f32 v71, v71, v81, v80
	v_cmp_gt_i32_e64 s9, s17, v86
	v_cmp_gt_i32_e64 s10, s17, v87
	v_dual_mul_f32 v95, s18, v106 :: v_dual_mul_f32 v98, s18, v103
	s_delay_alu instid0(VALU_DEP_4) | instskip(NEXT) | instid1(VALU_DEP_4)
	v_max3_f32 v71, v71, v72, v78
	v_cndmask_b32_e64 v68, 0xff7fffff, v68, s9
	s_delay_alu instid0(VALU_DEP_4)
	v_cndmask_b32_e64 v70, 0xff7fffff, v70, s10
	v_cmp_gt_i32_e64 s11, s17, v88
	v_cndmask_b32_e64 v78, 0xff7fffff, v98, s12
	v_cmp_gt_i32_e64 s13, s17, v90
	v_cmp_gt_i32_e64 s15, s17, v91
	v_max3_f32 v68, v71, v68, v70
	v_cndmask_b32_e64 v72, 0xff7fffff, v99, s11
	v_cmp_gt_i32_e64 s16, s17, v76
	v_cndmask_b32_e64 v70, 0xff7fffff, v97, s13
	v_cndmask_b32_e64 v71, 0xff7fffff, v96, s15
	v_cmp_gt_i32_e64 s17, s17, v77
	v_max3_f32 v68, v68, v72, v78
	v_cndmask_b32_e64 v72, 0xff7fffff, v95, s16
	s_delay_alu instid0(VALU_DEP_3) | instskip(NEXT) | instid1(VALU_DEP_3)
	v_cndmask_b32_e64 v76, 0xff7fffff, v94, s17
	v_max3_f32 v68, v68, v70, v71
	s_delay_alu instid0(VALU_DEP_1) | instskip(SKIP_3) | instid1(VALU_DEP_1)
	v_max3_f32 v68, v68, v72, v76
	ds_bpermute_b32 v69, v89, v68
	s_waitcnt lgkmcnt(0)
	v_max_f32_e32 v69, v69, v69
	v_max_f32_e32 v68, v68, v69
	s_delay_alu instid0(VALU_DEP_1) | instskip(NEXT) | instid1(VALU_DEP_1)
	v_fma_f32 v71, s18, v126, -v68
	v_mul_f32_e32 v71, 0x3fb8aa3b, v71
	v_fma_f32 v70, s18, v125, -v68
	v_fma_f32 v69, s18, v124, -v68
	;; [unrolled: 1-line block ×5, first 2 shown]
	s_delay_alu instid0(VALU_DEP_4) | instskip(SKIP_1) | instid1(VALU_DEP_3)
	v_dual_mul_f32 v70, 0x3fb8aa3b, v70 :: v_dual_mul_f32 v69, 0x3fb8aa3b, v69
	v_exp_f32_e32 v71, v71
	v_mul_f32_e32 v72, 0x3fb8aa3b, v72
	v_fma_f32 v81, s18, v105, -v68
	s_delay_alu instid0(VALU_DEP_3)
	v_exp_f32_e32 v70, v70
	v_mul_f32_e32 v77, 0x3fb8aa3b, v76
	v_exp_f32_e32 v69, v69
	v_exp_f32_e32 v72, v72
	v_mul_f32_e32 v81, 0x3fb8aa3b, v81
	v_cndmask_b32_e64 v83, 0, v71, s3
	v_fma_f32 v71, s18, v131, -v68
	s_delay_alu instid0(VALU_DEP_3) | instskip(SKIP_4) | instid1(TRANS32_DEP_3)
	v_exp_f32_e32 v81, v81
	v_cndmask_b32_e32 v76, 0, v70, vcc_lo
	v_exp_f32_e32 v77, v77
	v_cndmask_b32_e64 v80, 0, v69, s2
	v_fma_f32 v69, s18, v129, -v68
	v_cndmask_b32_e64 v85, 0, v72, s4
	v_mul_f32_e32 v71, 0x3fb8aa3b, v71
	v_fma_f32 v72, s18, v100, -v68
	s_delay_alu instid0(VALU_DEP_4) | instskip(SKIP_1) | instid1(VALU_DEP_4)
	v_dual_add_f32 v70, 0, v80 :: v_dual_mul_f32 v69, 0x3fb8aa3b, v69
	v_cmp_gt_u32_e64 s2, 16, v67
	v_exp_f32_e32 v71, v71
	s_delay_alu instid0(TRANS32_DEP_2) | instskip(SKIP_4) | instid1(VALU_DEP_3)
	v_cndmask_b32_e64 v86, 0, v77, s5
	v_fma_f32 v77, s18, v101, -v68
	v_mul_f32_e32 v78, 0x3fb8aa3b, v78
	v_add_f32_e32 v70, v70, v76
	v_exp_f32_e32 v69, v69
	v_mul_f32_e32 v77, 0x3fb8aa3b, v77
	s_delay_alu instid0(VALU_DEP_3) | instskip(NEXT) | instid1(TRANS32_DEP_3)
	v_exp_f32_e32 v78, v78
	v_cndmask_b32_e64 v88, 0, v71, s8
	v_fma_f32 v71, s18, v104, -v68
	s_delay_alu instid0(VALU_DEP_3) | instskip(NEXT) | instid1(TRANS32_DEP_3)
	v_exp_f32_e32 v77, v77
	v_cndmask_b32_e64 v87, 0, v69, s6
	s_delay_alu instid0(VALU_DEP_2)
	v_mul_f32_e32 v71, 0x3fb8aa3b, v71
	s_waitcnt_depctr 0xfff
	v_cndmask_b32_e64 v84, 0, v78, s7
	v_add_f32_e32 v70, v70, v83
	v_fma_f32 v78, s18, v103, -v68
	v_exp_f32_e32 v82, v71
	s_delay_alu instid0(VALU_DEP_2) | instskip(SKIP_1) | instid1(VALU_DEP_3)
	v_add_f32_e32 v70, v70, v85
	v_mul_f32_e32 v72, 0x3fb8aa3b, v72
	v_mul_f32_e32 v78, 0x3fb8aa3b, v78
	s_delay_alu instid0(VALU_DEP_3) | instskip(SKIP_1) | instid1(VALU_DEP_4)
	v_add_f32_e32 v69, v70, v86
	v_fma_f32 v70, s18, v102, -v68
	v_exp_f32_e32 v72, v72
	s_delay_alu instid0(VALU_DEP_3) | instskip(NEXT) | instid1(VALU_DEP_1)
	v_exp_f32_e32 v78, v78
	v_dual_add_f32 v69, v69, v87 :: v_dual_mul_f32 v70, 0x3fb8aa3b, v70
	s_delay_alu instid0(VALU_DEP_1) | instskip(NEXT) | instid1(VALU_DEP_2)
	v_add_f32_e32 v69, v69, v84
	v_exp_f32_e32 v79, v70
	s_delay_alu instid0(TRANS32_DEP_3) | instskip(NEXT) | instid1(VALU_DEP_2)
	v_cndmask_b32_e64 v70, 0, v72, s9
	v_add_f32_e32 v72, v69, v88
	v_cndmask_b32_e64 v69, 0, v77, s10
	v_fma_f32 v77, s18, v106, -v68
	s_waitcnt_depctr 0xfff
	v_cndmask_b32_e64 v71, 0, v79, s11
	v_dual_mul_f32 v77, 0x3fb8aa3b, v77 :: v_dual_add_f32 v72, v72, v70
	s_delay_alu instid0(VALU_DEP_1) | instskip(NEXT) | instid1(VALU_DEP_1)
	v_exp_f32_e32 v90, v77
	v_add_f32_e32 v79, v72, v69
	v_cndmask_b32_e64 v72, 0, v78, s12
	v_cndmask_b32_e64 v77, 0, v82, s13
	s_delay_alu instid0(VALU_DEP_3) | instskip(SKIP_1) | instid1(VALU_DEP_1)
	v_add_f32_e32 v78, v79, v71
	v_fma_f32 v79, s18, v107, -v68
	v_dual_add_f32 v82, v78, v72 :: v_dual_mul_f32 v79, 0x3fb8aa3b, v79
	v_cndmask_b32_e64 v78, 0, v81, s15
	s_delay_alu instid0(VALU_DEP_2) | instskip(NEXT) | instid1(VALU_DEP_3)
	v_add_f32_e32 v81, v82, v77
	v_exp_f32_e32 v82, v79
	v_cndmask_b32_e64 v79, 0, v90, s16
	s_delay_alu instid0(VALU_DEP_2) | instskip(NEXT) | instid1(VALU_DEP_1)
	v_add_f32_e32 v81, v81, v78
	v_add_f32_e32 v90, v81, v79
	s_waitcnt_depctr 0xfff
	v_cndmask_b32_e64 v81, 0, v82, s17
	s_delay_alu instid0(VALU_DEP_1)
	v_add_f32_e32 v82, v90, v81
	ds_bpermute_b32 v89, v89, v82
	s_and_saveexec_b32 s3, s2
	s_cbranch_execz .LBB1862_12
; %bb.11:
	v_mul_u32_u24_e32 v67, 0x44, v66
	s_delay_alu instid0(VALU_DEP_1) | instskip(SKIP_1) | instid1(VALU_DEP_1)
	v_lshl_add_u32 v67, v65, 2, v67
	s_waitcnt lgkmcnt(0)
	v_dual_add_f32 v82, v82, v89 :: v_dual_add_nc_u32 v67, 0x4000, v67
	ds_store_2addr_b32 v67, v68, v82 offset1:136
.LBB1862_12:
	s_or_b32 exec_lo, exec_lo, s3
	v_lshlrev_b32_e32 v67, 2, v65
	s_waitcnt lgkmcnt(0)
	s_barrier
	buffer_gl0_inv
	v_cmp_eq_u32_e32 vcc_lo, 1, v66
	v_add_nc_u32_e32 v82, 0x4000, v67
	v_cmp_eq_u32_e64 s3, 2, v66
	v_cmp_eq_u32_e64 s5, 7, v66
	ds_load_2addr_b32 v[89:90], v82 offset1:17
	ds_load_2addr_b32 v[91:92], v82 offset0:34 offset1:51
	ds_load_2addr_b32 v[93:94], v82 offset0:68 offset1:85
	;; [unrolled: 1-line block ×4, first 2 shown]
	s_waitcnt lgkmcnt(4)
	v_max3_f32 v67, v89, 0xff7fffff, v90
	s_waitcnt lgkmcnt(3)
	s_delay_alu instid0(VALU_DEP_1) | instskip(SKIP_1) | instid1(VALU_DEP_1)
	v_max3_f32 v67, v67, v91, v92
	s_waitcnt lgkmcnt(2)
	v_max3_f32 v67, v67, v93, v94
	s_waitcnt lgkmcnt(1)
	s_delay_alu instid0(VALU_DEP_1) | instskip(NEXT) | instid1(VALU_DEP_1)
	v_max3_f32 v67, v67, v95, v96
	v_sub_f32_e32 v93, v93, v67
	s_delay_alu instid0(VALU_DEP_1) | instskip(NEXT) | instid1(VALU_DEP_1)
	v_dual_sub_f32 v68, v89, v67 :: v_dual_mul_f32 v103, 0x3fb8aa3b, v93
	v_mul_f32_e32 v68, 0x3fb8aa3b, v68
	s_delay_alu instid0(VALU_DEP_1)
	v_exp_f32_e32 v100, v68
	v_sub_f32_e32 v68, v92, v67
	v_sub_f32_e32 v99, v90, v67
	ds_load_2addr_b32 v[89:90], v82 offset0:170 offset1:187
	v_dual_mul_f32 v102, 0x3fb8aa3b, v68 :: v_dual_mul_f32 v99, 0x3fb8aa3b, v99
	s_waitcnt lgkmcnt(1)
	v_fma_f32 v68, v100, v97, 0
	s_delay_alu instid0(VALU_DEP_2) | instskip(NEXT) | instid1(VALU_DEP_2)
	v_exp_f32_e32 v102, v102
	v_exp_f32_e32 v99, v99
	s_waitcnt_depctr 0xfff
	v_fmac_f32_e32 v68, v99, v98
	v_sub_f32_e32 v91, v91, v67
	s_delay_alu instid0(VALU_DEP_1)
	v_mul_f32_e32 v101, 0x3fb8aa3b, v91
	ds_load_2addr_b32 v[91:92], v82 offset0:204 offset1:221
	v_sub_f32_e32 v97, v94, v67
	ds_load_2addr_b32 v[93:94], v82 offset0:238 offset1:255
	s_waitcnt lgkmcnt(0)
	v_exp_f32_e32 v101, v101
	s_barrier
	buffer_gl0_inv
	v_dual_fmac_f32 v68, v101, v89 :: v_dual_sub_f32 v89, v96, v67
	v_dual_sub_f32 v82, v95, v67 :: v_dual_mul_f32 v95, 0x3fb8aa3b, v97
	v_exp_f32_e32 v97, v103
	s_delay_alu instid0(VALU_DEP_2) | instskip(NEXT) | instid1(VALU_DEP_2)
	v_dual_fmac_f32 v68, v102, v90 :: v_dual_mul_f32 v89, 0x3fb8aa3b, v89
	v_mul_f32_e32 v82, 0x3fb8aa3b, v82
	s_delay_alu instid0(VALU_DEP_3) | instskip(NEXT) | instid1(VALU_DEP_2)
	v_exp_f32_e32 v95, v95
	v_exp_f32_e32 v89, v89
	s_delay_alu instid0(VALU_DEP_1)
	v_exp_f32_e32 v82, v82
	v_fmac_f32_e32 v68, v97, v91
	s_delay_alu instid0(TRANS32_DEP_3) | instid1(VALU_DEP_1)
	v_fmac_f32_e32 v68, v95, v92
	s_waitcnt_depctr 0xfff
	v_fmac_f32_e32 v68, v82, v93
	s_delay_alu instid0(VALU_DEP_1) | instskip(NEXT) | instid1(VALU_DEP_1)
	v_fmac_f32_e32 v68, v89, v94
	v_add_f32_e32 v90, 0x358637bd, v68
	s_delay_alu instid0(VALU_DEP_1) | instskip(NEXT) | instid1(VALU_DEP_1)
	v_div_scale_f32 v91, null, v90, v90, 1.0
	v_rcp_f32_e32 v92, v91
	s_waitcnt_depctr 0xfff
	v_fma_f32 v93, -v91, v92, 1.0
	s_delay_alu instid0(VALU_DEP_1) | instskip(SKIP_1) | instid1(VALU_DEP_2)
	v_dual_fmac_f32 v92, v93, v92 :: v_dual_cndmask_b32 v93, v100, v99
	v_cmp_eq_u32_e32 vcc_lo, 3, v66
	v_cndmask_b32_e64 v93, v93, v101, s3
	v_cmp_eq_u32_e64 s3, 4, v66
	s_delay_alu instid0(VALU_DEP_2) | instskip(SKIP_1) | instid1(VALU_DEP_2)
	v_cndmask_b32_e32 v93, v93, v102, vcc_lo
	v_cmp_eq_u32_e32 vcc_lo, 5, v66
	v_cndmask_b32_e64 v93, v93, v97, s3
	v_cmp_eq_u32_e64 s3, 6, v66
	s_delay_alu instid0(VALU_DEP_2) | instskip(SKIP_1) | instid1(VALU_DEP_1)
	v_cndmask_b32_e32 v93, v93, v95, vcc_lo
	v_div_scale_f32 v94, s4, 1.0, v90, 1.0
	s_mov_b32 vcc_lo, s4
	s_delay_alu instid0(VALU_DEP_2) | instskip(NEXT) | instid1(VALU_DEP_2)
	v_cndmask_b32_e64 v82, v93, v82, s3
	v_mul_f32_e32 v96, v94, v92
	s_mov_b32 s3, exec_lo
	s_delay_alu instid0(VALU_DEP_2) | instskip(NEXT) | instid1(VALU_DEP_2)
	v_cndmask_b32_e64 v82, v82, v89, s5
	v_fma_f32 v98, -v91, v96, v94
	s_delay_alu instid0(VALU_DEP_1) | instskip(NEXT) | instid1(VALU_DEP_1)
	v_fmac_f32_e32 v96, v98, v92
	v_fma_f32 v91, -v91, v96, v94
	s_delay_alu instid0(VALU_DEP_1) | instskip(NEXT) | instid1(VALU_DEP_1)
	v_div_fmas_f32 v91, v91, v92, v96
	v_div_fixup_f32 v90, v91, v90, 1.0
	s_delay_alu instid0(VALU_DEP_1) | instskip(NEXT) | instid1(VALU_DEP_1)
	v_mul_f32_e32 v82, v82, v90
	v_mul_f32_e32 v87, v82, v87
	;; [unrolled: 1-line block ×7, first 2 shown]
	v_dual_mul_f32 v86, v82, v83 :: v_dual_and_b32 v91, 0x7f800000, v90
	v_mul_f32_e32 v85, v82, v76
                                        ; implicit-def: $vgpr76
	s_delay_alu instid0(VALU_DEP_2)
	v_cmpx_ne_u32_e32 0x7f800000, v91
	s_xor_b32 s3, exec_lo, s3
; %bb.13:
	v_bfe_u32 v76, v90, 16, 1
	s_delay_alu instid0(VALU_DEP_1)
	v_add3_u32 v76, v90, v76, 0x7fff
                                        ; implicit-def: $vgpr90
; %bb.14:
	s_and_not1_saveexec_b32 s3, s3
; %bb.15:
	v_and_b32_e32 v76, 0xffff, v90
	v_or_b32_e32 v83, 0x10000, v90
	s_delay_alu instid0(VALU_DEP_2) | instskip(NEXT) | instid1(VALU_DEP_2)
	v_cmp_eq_u32_e32 vcc_lo, 0, v76
	v_cndmask_b32_e32 v76, v83, v90, vcc_lo
; %bb.16:
	s_or_b32 exec_lo, exec_lo, s3
	v_and_b32_e32 v83, 0x7f800000, v85
	s_delay_alu instid0(VALU_DEP_1) | instskip(SKIP_1) | instid1(SALU_CYCLE_1)
	v_cmp_ne_u32_e32 vcc_lo, 0x7f800000, v83
                                        ; implicit-def: $vgpr83
	s_and_saveexec_b32 s3, vcc_lo
	s_xor_b32 s3, exec_lo, s3
; %bb.17:
	v_bfe_u32 v83, v85, 16, 1
	s_delay_alu instid0(VALU_DEP_1)
	v_add3_u32 v83, v85, v83, 0x7fff
                                        ; implicit-def: $vgpr85
; %bb.18:
	s_and_not1_saveexec_b32 s3, s3
; %bb.19:
	v_and_b32_e32 v83, 0xffff, v85
	v_or_b32_e32 v90, 0x10000, v85
	s_delay_alu instid0(VALU_DEP_2) | instskip(NEXT) | instid1(VALU_DEP_2)
	v_cmp_eq_u32_e32 vcc_lo, 0, v83
	v_cndmask_b32_e32 v83, v90, v85, vcc_lo
; %bb.20:
	s_or_b32 exec_lo, exec_lo, s3
	v_and_b32_e32 v85, 0x7f800000, v86
	s_delay_alu instid0(VALU_DEP_1) | instskip(SKIP_1) | instid1(SALU_CYCLE_1)
	v_cmp_ne_u32_e32 vcc_lo, 0x7f800000, v85
                                        ; implicit-def: $vgpr85
	s_and_saveexec_b32 s3, vcc_lo
	s_xor_b32 s3, exec_lo, s3
; %bb.21:
	v_bfe_u32 v85, v86, 16, 1
	s_delay_alu instid0(VALU_DEP_1)
	v_add3_u32 v85, v86, v85, 0x7fff
                                        ; implicit-def: $vgpr86
; %bb.22:
	s_and_not1_saveexec_b32 s3, s3
; %bb.23:
	v_and_b32_e32 v85, 0xffff, v86
	v_or_b32_e32 v90, 0x10000, v86
	s_delay_alu instid0(VALU_DEP_2) | instskip(NEXT) | instid1(VALU_DEP_2)
	v_cmp_eq_u32_e32 vcc_lo, 0, v85
	v_cndmask_b32_e32 v85, v90, v86, vcc_lo
; %bb.24:
	s_or_b32 exec_lo, exec_lo, s3
	v_and_b32_e32 v86, 0x7f800000, v89
	s_delay_alu instid0(VALU_DEP_1) | instskip(SKIP_1) | instid1(SALU_CYCLE_1)
	v_cmp_ne_u32_e32 vcc_lo, 0x7f800000, v86
                                        ; implicit-def: $vgpr86
	s_and_saveexec_b32 s3, vcc_lo
	s_xor_b32 s3, exec_lo, s3
; %bb.25:
	v_bfe_u32 v86, v89, 16, 1
	s_delay_alu instid0(VALU_DEP_1)
	v_add3_u32 v86, v89, v86, 0x7fff
                                        ; implicit-def: $vgpr89
; %bb.26:
	s_and_not1_saveexec_b32 s3, s3
; %bb.27:
	v_and_b32_e32 v86, 0xffff, v89
	v_or_b32_e32 v90, 0x10000, v89
	s_delay_alu instid0(VALU_DEP_2) | instskip(NEXT) | instid1(VALU_DEP_2)
	v_cmp_eq_u32_e32 vcc_lo, 0, v86
	v_cndmask_b32_e32 v86, v90, v89, vcc_lo
; %bb.28:
	s_or_b32 exec_lo, exec_lo, s3
	v_and_b32_e32 v89, 0x7f800000, v88
	s_delay_alu instid0(VALU_DEP_1) | instskip(SKIP_1) | instid1(SALU_CYCLE_1)
	v_cmp_ne_u32_e32 vcc_lo, 0x7f800000, v89
                                        ; implicit-def: $vgpr89
	s_and_saveexec_b32 s3, vcc_lo
	s_xor_b32 s3, exec_lo, s3
; %bb.29:
	v_bfe_u32 v89, v88, 16, 1
	s_delay_alu instid0(VALU_DEP_1)
	v_add3_u32 v89, v88, v89, 0x7fff
                                        ; implicit-def: $vgpr88
; %bb.30:
	s_and_not1_saveexec_b32 s3, s3
; %bb.31:
	v_and_b32_e32 v89, 0xffff, v88
	v_or_b32_e32 v90, 0x10000, v88
	s_delay_alu instid0(VALU_DEP_2) | instskip(NEXT) | instid1(VALU_DEP_2)
	v_cmp_eq_u32_e32 vcc_lo, 0, v89
	v_cndmask_b32_e32 v89, v90, v88, vcc_lo
; %bb.32:
	s_or_b32 exec_lo, exec_lo, s3
	v_and_b32_e32 v88, 0x7f800000, v87
	s_delay_alu instid0(VALU_DEP_1) | instskip(SKIP_1) | instid1(SALU_CYCLE_1)
	v_cmp_ne_u32_e32 vcc_lo, 0x7f800000, v88
                                        ; implicit-def: $vgpr88
	s_and_saveexec_b32 s3, vcc_lo
	s_xor_b32 s3, exec_lo, s3
; %bb.33:
	v_bfe_u32 v88, v87, 16, 1
	s_delay_alu instid0(VALU_DEP_1)
	v_add3_u32 v88, v87, v88, 0x7fff
                                        ; implicit-def: $vgpr87
; %bb.34:
	s_and_not1_saveexec_b32 s3, s3
; %bb.35:
	v_and_b32_e32 v88, 0xffff, v87
	v_or_b32_e32 v90, 0x10000, v87
	s_delay_alu instid0(VALU_DEP_2) | instskip(NEXT) | instid1(VALU_DEP_2)
	v_cmp_eq_u32_e32 vcc_lo, 0, v88
	v_cndmask_b32_e32 v88, v90, v87, vcc_lo
; %bb.36:
	s_or_b32 exec_lo, exec_lo, s3
	v_and_b32_e32 v87, 0x7f800000, v84
	s_delay_alu instid0(VALU_DEP_1) | instskip(SKIP_1) | instid1(SALU_CYCLE_1)
	v_cmp_ne_u32_e32 vcc_lo, 0x7f800000, v87
                                        ; implicit-def: $vgpr87
	s_and_saveexec_b32 s3, vcc_lo
	s_xor_b32 s3, exec_lo, s3
; %bb.37:
	v_bfe_u32 v87, v84, 16, 1
	s_delay_alu instid0(VALU_DEP_1)
	v_add3_u32 v87, v84, v87, 0x7fff
                                        ; implicit-def: $vgpr84
; %bb.38:
	s_and_not1_saveexec_b32 s3, s3
; %bb.39:
	v_and_b32_e32 v87, 0xffff, v84
	v_or_b32_e32 v90, 0x10000, v84
	s_delay_alu instid0(VALU_DEP_2) | instskip(NEXT) | instid1(VALU_DEP_2)
	v_cmp_eq_u32_e32 vcc_lo, 0, v87
	v_cndmask_b32_e32 v87, v90, v84, vcc_lo
; %bb.40:
	s_or_b32 exec_lo, exec_lo, s3
	v_and_b32_e32 v84, 0x7f800000, v80
	s_delay_alu instid0(VALU_DEP_1) | instskip(SKIP_1) | instid1(SALU_CYCLE_1)
	v_cmp_ne_u32_e32 vcc_lo, 0x7f800000, v84
                                        ; implicit-def: $vgpr84
	s_and_saveexec_b32 s3, vcc_lo
	s_xor_b32 s3, exec_lo, s3
; %bb.41:
	v_bfe_u32 v84, v80, 16, 1
	s_delay_alu instid0(VALU_DEP_1)
	v_add3_u32 v84, v80, v84, 0x7fff
                                        ; implicit-def: $vgpr80
; %bb.42:
	s_and_not1_saveexec_b32 s3, s3
; %bb.43:
	v_and_b32_e32 v84, 0xffff, v80
	v_or_b32_e32 v90, 0x10000, v80
	s_delay_alu instid0(VALU_DEP_2) | instskip(NEXT) | instid1(VALU_DEP_2)
	v_cmp_eq_u32_e32 vcc_lo, 0, v84
	v_cndmask_b32_e32 v84, v90, v80, vcc_lo
; %bb.44:
	s_or_b32 exec_lo, exec_lo, s3
	s_load_b64 s[34:35], s[0:1], 0x94
	v_lshlrev_b32_e32 v91, 4, v74
	s_delay_alu instid0(VALU_DEP_2)
	v_perm_b32 v90, v84, v87, 0x7060302
	v_dual_mul_f32 v79, v82, v79 :: v_dual_lshlrev_b32 v80, 6, v65
	v_dual_mul_f32 v77, v82, v77 :: v_dual_lshlrev_b32 v92, 11, v66
	v_mul_f32_e32 v84, v82, v70
	v_perm_b32 v89, v88, v89, 0x7060302
	v_perm_b32 v88, v86, v85, 0x7060302
	;; [unrolled: 1-line block ×3, first 2 shown]
	v_mul_f32_e32 v70, v82, v81
	v_or3_b32 v76, v91, v92, v80
	v_dual_mul_f32 v78, v82, v78 :: v_dual_and_b32 v85, 0x7f800000, v84
	v_mul_f32_e32 v83, v82, v72
	v_mul_f32_e32 v81, v82, v71
	;; [unrolled: 1-line block ×3, first 2 shown]
	s_mov_b32 s3, exec_lo
	ds_store_b128 v76, v[87:90]
                                        ; implicit-def: $vgpr69
	v_cmpx_ne_u32_e32 0x7f800000, v85
	s_xor_b32 s3, exec_lo, s3
; %bb.45:
	v_bfe_u32 v69, v84, 16, 1
	s_delay_alu instid0(VALU_DEP_1)
	v_add3_u32 v69, v84, v69, 0x7fff
                                        ; implicit-def: $vgpr84
; %bb.46:
	s_and_not1_saveexec_b32 s3, s3
; %bb.47:
	v_and_b32_e32 v69, 0xffff, v84
	v_or_b32_e32 v71, 0x10000, v84
	s_delay_alu instid0(VALU_DEP_2) | instskip(NEXT) | instid1(VALU_DEP_2)
	v_cmp_eq_u32_e32 vcc_lo, 0, v69
	v_cndmask_b32_e32 v69, v71, v84, vcc_lo
; %bb.48:
	s_or_b32 exec_lo, exec_lo, s3
	v_and_b32_e32 v71, 0x7f800000, v72
	s_delay_alu instid0(VALU_DEP_1) | instskip(SKIP_1) | instid1(SALU_CYCLE_1)
	v_cmp_ne_u32_e32 vcc_lo, 0x7f800000, v71
                                        ; implicit-def: $vgpr71
	s_and_saveexec_b32 s3, vcc_lo
	s_xor_b32 s3, exec_lo, s3
; %bb.49:
	v_bfe_u32 v71, v72, 16, 1
	s_delay_alu instid0(VALU_DEP_1)
	v_add3_u32 v71, v72, v71, 0x7fff
                                        ; implicit-def: $vgpr72
; %bb.50:
	s_and_not1_saveexec_b32 s3, s3
; %bb.51:
	v_and_b32_e32 v71, 0xffff, v72
	v_or_b32_e32 v82, 0x10000, v72
	s_delay_alu instid0(VALU_DEP_2) | instskip(NEXT) | instid1(VALU_DEP_2)
	v_cmp_eq_u32_e32 vcc_lo, 0, v71
	v_cndmask_b32_e32 v71, v82, v72, vcc_lo
; %bb.52:
	s_or_b32 exec_lo, exec_lo, s3
	v_and_b32_e32 v72, 0x7f800000, v81
	s_delay_alu instid0(VALU_DEP_1) | instskip(SKIP_1) | instid1(SALU_CYCLE_1)
	v_cmp_ne_u32_e32 vcc_lo, 0x7f800000, v72
                                        ; implicit-def: $vgpr72
	s_and_saveexec_b32 s3, vcc_lo
	s_xor_b32 s3, exec_lo, s3
; %bb.53:
	v_bfe_u32 v72, v81, 16, 1
	s_delay_alu instid0(VALU_DEP_1)
	v_add3_u32 v72, v81, v72, 0x7fff
                                        ; implicit-def: $vgpr81
; %bb.54:
	s_and_not1_saveexec_b32 s3, s3
; %bb.55:
	v_and_b32_e32 v72, 0xffff, v81
	v_or_b32_e32 v82, 0x10000, v81
	s_delay_alu instid0(VALU_DEP_2) | instskip(NEXT) | instid1(VALU_DEP_2)
	v_cmp_eq_u32_e32 vcc_lo, 0, v72
	v_cndmask_b32_e32 v72, v82, v81, vcc_lo
; %bb.56:
	s_or_b32 exec_lo, exec_lo, s3
	v_and_b32_e32 v81, 0x7f800000, v83
	s_delay_alu instid0(VALU_DEP_1) | instskip(SKIP_1) | instid1(SALU_CYCLE_1)
	v_cmp_ne_u32_e32 vcc_lo, 0x7f800000, v81
                                        ; implicit-def: $vgpr81
	s_and_saveexec_b32 s3, vcc_lo
	s_xor_b32 s3, exec_lo, s3
; %bb.57:
	v_bfe_u32 v81, v83, 16, 1
	s_delay_alu instid0(VALU_DEP_1)
	v_add3_u32 v81, v83, v81, 0x7fff
                                        ; implicit-def: $vgpr83
; %bb.58:
	s_and_not1_saveexec_b32 s3, s3
; %bb.59:
	v_and_b32_e32 v81, 0xffff, v83
	v_or_b32_e32 v82, 0x10000, v83
	s_delay_alu instid0(VALU_DEP_2) | instskip(NEXT) | instid1(VALU_DEP_2)
	v_cmp_eq_u32_e32 vcc_lo, 0, v81
	v_cndmask_b32_e32 v81, v82, v83, vcc_lo
; %bb.60:
	s_or_b32 exec_lo, exec_lo, s3
	v_and_b32_e32 v82, 0x7f800000, v77
	s_delay_alu instid0(VALU_DEP_1) | instskip(SKIP_1) | instid1(SALU_CYCLE_1)
	v_cmp_ne_u32_e32 vcc_lo, 0x7f800000, v82
                                        ; implicit-def: $vgpr82
	s_and_saveexec_b32 s3, vcc_lo
	s_xor_b32 s3, exec_lo, s3
; %bb.61:
	v_bfe_u32 v82, v77, 16, 1
	s_delay_alu instid0(VALU_DEP_1)
	v_add3_u32 v82, v77, v82, 0x7fff
                                        ; implicit-def: $vgpr77
; %bb.62:
	s_and_not1_saveexec_b32 s3, s3
; %bb.63:
	v_and_b32_e32 v82, 0xffff, v77
	v_or_b32_e32 v83, 0x10000, v77
	s_delay_alu instid0(VALU_DEP_2) | instskip(NEXT) | instid1(VALU_DEP_2)
	v_cmp_eq_u32_e32 vcc_lo, 0, v82
	v_cndmask_b32_e32 v82, v83, v77, vcc_lo
; %bb.64:
	s_or_b32 exec_lo, exec_lo, s3
	v_and_b32_e32 v77, 0x7f800000, v78
	s_delay_alu instid0(VALU_DEP_1) | instskip(SKIP_1) | instid1(SALU_CYCLE_1)
	v_cmp_ne_u32_e32 vcc_lo, 0x7f800000, v77
                                        ; implicit-def: $vgpr77
	s_and_saveexec_b32 s3, vcc_lo
	s_xor_b32 s3, exec_lo, s3
; %bb.65:
	v_bfe_u32 v77, v78, 16, 1
	s_delay_alu instid0(VALU_DEP_1)
	v_add3_u32 v77, v78, v77, 0x7fff
                                        ; implicit-def: $vgpr78
; %bb.66:
	s_and_not1_saveexec_b32 s3, s3
; %bb.67:
	v_and_b32_e32 v77, 0xffff, v78
	v_or_b32_e32 v83, 0x10000, v78
	s_delay_alu instid0(VALU_DEP_2) | instskip(NEXT) | instid1(VALU_DEP_2)
	v_cmp_eq_u32_e32 vcc_lo, 0, v77
	v_cndmask_b32_e32 v77, v83, v78, vcc_lo
; %bb.68:
	s_or_b32 exec_lo, exec_lo, s3
	v_and_b32_e32 v78, 0x7f800000, v79
	s_delay_alu instid0(VALU_DEP_1) | instskip(SKIP_1) | instid1(SALU_CYCLE_1)
	v_cmp_ne_u32_e32 vcc_lo, 0x7f800000, v78
                                        ; implicit-def: $vgpr78
	s_and_saveexec_b32 s3, vcc_lo
	s_xor_b32 s3, exec_lo, s3
; %bb.69:
	v_bfe_u32 v78, v79, 16, 1
	s_delay_alu instid0(VALU_DEP_1)
	v_add3_u32 v78, v79, v78, 0x7fff
                                        ; implicit-def: $vgpr79
; %bb.70:
	s_and_not1_saveexec_b32 s3, s3
; %bb.71:
	v_and_b32_e32 v78, 0xffff, v79
	v_or_b32_e32 v83, 0x10000, v79
	s_delay_alu instid0(VALU_DEP_2) | instskip(NEXT) | instid1(VALU_DEP_2)
	v_cmp_eq_u32_e32 vcc_lo, 0, v78
	v_cndmask_b32_e32 v78, v83, v79, vcc_lo
; %bb.72:
	s_or_b32 exec_lo, exec_lo, s3
	v_and_b32_e32 v79, 0x7f800000, v70
	s_delay_alu instid0(VALU_DEP_1) | instskip(SKIP_1) | instid1(SALU_CYCLE_1)
	v_cmp_ne_u32_e32 vcc_lo, 0x7f800000, v79
                                        ; implicit-def: $vgpr79
	s_and_saveexec_b32 s3, vcc_lo
	s_xor_b32 s3, exec_lo, s3
; %bb.73:
	v_bfe_u32 v79, v70, 16, 1
	s_delay_alu instid0(VALU_DEP_1)
	v_add3_u32 v79, v70, v79, 0x7fff
                                        ; implicit-def: $vgpr70
; %bb.74:
	s_and_not1_saveexec_b32 s3, s3
; %bb.75:
	v_and_b32_e32 v79, 0xffff, v70
	v_or_b32_e32 v83, 0x10000, v70
	s_delay_alu instid0(VALU_DEP_2) | instskip(NEXT) | instid1(VALU_DEP_2)
	v_cmp_eq_u32_e32 vcc_lo, 0, v79
	v_cndmask_b32_e32 v79, v83, v70, vcc_lo
; %bb.76:
	s_or_b32 exec_lo, exec_lo, s3
	s_delay_alu instid0(VALU_DEP_1)
	v_perm_b32 v86, v79, v78, 0x7060302
	v_perm_b32 v85, v77, v82, 0x7060302
	;; [unrolled: 1-line block ×4, first 2 shown]
	v_lshl_or_b32 v82, v66, 11, v80
	ds_store_b128 v76, v[83:86] offset:1024
	s_waitcnt lgkmcnt(0)
	s_barrier
	buffer_gl0_inv
	ds_load_b128 v[69:72], v82
	ds_load_b128 v[83:86], v82 offset:16
	s_waitcnt lgkmcnt(1)
	v_lshrrev_b32_e32 v66, 16, v69
	s_waitcnt lgkmcnt(0)
	v_lshrrev_b32_e32 v91, 16, v83
	v_lshlrev_b32_e32 v78, 2, v74
	v_lshrrev_b32_e32 v95, 16, v70
	v_lshrrev_b32_e32 v98, 16, v84
	;; [unrolled: 1-line block ×4, first 2 shown]
	v_cmp_eq_u32_e32 vcc_lo, 1, v78
	v_lshrrev_b32_e32 v97, 16, v72
	v_lshrrev_b32_e32 v100, 16, v86
	v_cndmask_b32_e32 v87, v83, v91, vcc_lo
	v_or_b32_e32 v79, 1, v78
	v_cndmask_b32_e32 v81, v69, v66, vcc_lo
	v_cmp_eq_u32_e64 s4, 2, v78
	v_cmp_eq_u32_e64 s7, 3, v78
	;; [unrolled: 1-line block ×5, first 2 shown]
	v_cndmask_b32_e64 v81, v81, v70, s4
	v_cndmask_b32_e64 v87, v87, v84, s4
	v_cmp_eq_u32_e64 s8, 3, v79
	v_cndmask_b32_e64 v88, v69, v66, s3
	v_or_b32_e32 v77, 2, v78
	v_cndmask_b32_e64 v81, v81, v95, s7
	v_cndmask_b32_e64 v87, v87, v98, s7
	;; [unrolled: 1-line block ×4, first 2 shown]
	v_cmp_eq_u32_e64 s10, 5, v78
	v_cndmask_b32_e64 v81, v81, v71, s9
	v_cndmask_b32_e64 v87, v87, v85, s9
	v_cmp_eq_u32_e64 s11, 4, v79
	v_cndmask_b32_e64 v88, v88, v95, s8
	v_cmp_eq_u32_e64 s5, 1, v77
	v_cndmask_b32_e64 v89, v89, v84, s6
	v_cndmask_b32_e64 v81, v81, v96, s10
	v_cmp_eq_u32_e64 s12, 6, v78
	v_cndmask_b32_e64 v88, v88, v71, s11
	v_cndmask_b32_e64 v87, v87, v99, s10
	v_cmp_eq_u32_e64 s13, 5, v79
	v_cndmask_b32_e64 v90, v69, v66, s5
	v_cndmask_b32_e64 v89, v89, v98, s8
	v_cndmask_b32_e64 v81, v81, v72, s12
	v_cmp_eq_u32_e64 s15, 7, v78
	v_cndmask_b32_e64 v88, v88, v96, s13
	v_cndmask_b32_e64 v87, v87, v86, s12
	v_cmp_eq_u32_e64 s16, 6, v79
	v_cmp_eq_u32_e64 s17, 2, v77
	v_cndmask_b32_e64 v89, v89, v85, s11
	v_cndmask_b32_e64 v101, v81, v97, s15
	;; [unrolled: 1-line block ×6, first 2 shown]
	v_cmp_eq_u32_e64 s18, 7, v79
	v_cmp_eq_u32_e64 s19, 3, v77
	;; [unrolled: 1-line block ×4, first 2 shown]
	v_cndmask_b32_e64 v87, v87, v84, s17
	v_cndmask_b32_e64 v103, v88, v97, s18
	;; [unrolled: 1-line block ×4, first 2 shown]
	v_or_b32_e32 v81, 3, v78
	v_cndmask_b32_e64 v93, v87, v98, s19
	v_cmp_eq_u32_e64 s24, 6, v77
	v_cndmask_b32_e64 v104, v88, v86, s16
	v_cndmask_b32_e64 v92, v89, v71, s20
	v_cmp_eq_u32_e64 s21, 1, v81
	ds_load_b128 v[87:90], v82 offset:1024
	v_cmp_eq_u32_e64 s23, 2, v81
	v_cmp_eq_u32_e64 s25, 3, v81
	v_cndmask_b32_e64 v105, v92, v96, s22
	v_cndmask_b32_e64 v66, v69, v66, s21
	;; [unrolled: 1-line block ×4, first 2 shown]
	ds_load_b128 v[91:94], v82 offset:1040
	v_cmp_eq_u32_e64 s26, 4, v81
	v_cndmask_b32_e64 v66, v66, v70, s23
	v_cmp_eq_u32_e64 s27, 7, v77
	v_cndmask_b32_e64 v70, v83, v84, s23
	v_cndmask_b32_e64 v84, v105, v72, s24
	v_cmp_eq_u32_e64 s28, 5, v81
	v_cndmask_b32_e64 v66, v66, v95, s25
	v_cmp_eq_u32_e64 s29, 6, v81
	v_cndmask_b32_e64 v70, v70, v98, s25
	v_cndmask_b32_e64 v69, v69, v99, s22
	;; [unrolled: 1-line block ×4, first 2 shown]
	s_waitcnt lgkmcnt(1)
	v_lshrrev_b32_e32 v95, 16, v87
	v_cndmask_b32_e64 v70, v70, v85, s26
	v_cndmask_b32_e64 v71, v84, v97, s27
	v_cndmask_b32_e64 v69, v69, v86, s24
	v_cndmask_b32_e64 v66, v66, v96, s28
	v_cndmask_b32_e32 v84, v87, v95, vcc_lo
	v_cndmask_b32_e64 v70, v70, v99, s28
	s_waitcnt lgkmcnt(0)
	v_lshrrev_b32_e32 v85, 16, v91
	v_lshrrev_b32_e32 v96, 16, v88
	v_cndmask_b32_e64 v98, v87, v95, s3
	v_cndmask_b32_e64 v84, v84, v88, s4
	;; [unrolled: 1-line block ×3, first 2 shown]
	v_cndmask_b32_e32 v99, v91, v85, vcc_lo
	v_cmp_eq_u32_e32 vcc_lo, 7, v81
	v_cndmask_b32_e64 v66, v66, v72, s29
	v_cndmask_b32_e64 v72, v84, v96, s7
	;; [unrolled: 1-line block ×3, first 2 shown]
	v_lshrrev_b32_e32 v98, 16, v92
	v_cndmask_b32_e32 v70, v70, v100, vcc_lo
	v_cndmask_b32_e64 v86, v99, v92, s4
	v_cndmask_b32_e64 v69, v69, v100, s27
	v_lshrrev_b32_e32 v100, 16, v93
	v_cndmask_b32_e64 v72, v72, v89, s9
	v_lshrrev_b32_e32 v99, 16, v89
	v_cndmask_b32_e64 v86, v86, v98, s7
	v_perm_b32 v71, v69, v71, 0x5040100
	v_cndmask_b32_e64 v84, v84, v96, s8
	s_delay_alu instid0(VALU_DEP_3) | instskip(NEXT) | instid1(VALU_DEP_2)
	v_cndmask_b32_e64 v86, v86, v93, s9
	v_cndmask_b32_e64 v84, v84, v89, s11
	s_delay_alu instid0(VALU_DEP_2) | instskip(NEXT) | instid1(VALU_DEP_1)
	v_cndmask_b32_e64 v86, v86, v100, s10
	v_cndmask_b32_e64 v69, v86, v94, s12
	;; [unrolled: 1-line block ×5, first 2 shown]
	s_delay_alu instid0(VALU_DEP_3) | instskip(NEXT) | instid1(VALU_DEP_3)
	v_cndmask_b32_e64 v86, v86, v88, s17
	v_cndmask_b32_e64 v87, v87, v88, s23
	s_delay_alu instid0(VALU_DEP_3) | instskip(NEXT) | instid1(VALU_DEP_3)
	v_cndmask_b32_e64 v88, v95, v92, s23
	v_cndmask_b32_e64 v86, v86, v96, s19
	;; [unrolled: 3-line block ×7, first 2 shown]
	s_delay_alu instid0(VALU_DEP_3) | instskip(SKIP_2) | instid1(VALU_DEP_2)
	v_cndmask_b32_e64 v88, v88, v94, s29
	v_cndmask_b32_e32 v66, v66, v97, vcc_lo
	v_cndmask_b32_e64 v97, v72, v99, s10
	v_perm_b32 v72, v70, v66, 0x5040100
	v_perm_b32 v70, v83, v103, 0x5040100
	v_cndmask_b32_e64 v103, v91, v85, s5
	v_cndmask_b32_e64 v85, v91, v85, s3
	;; [unrolled: 1-line block ×4, first 2 shown]
	v_lshrrev_b32_e32 v97, 16, v90
	v_cndmask_b32_e64 v91, v103, v92, s17
	v_cndmask_b32_e64 v85, v85, v92, s6
	;; [unrolled: 1-line block ×3, first 2 shown]
	s_mov_b32 s3, exec_lo
	v_cndmask_b32_e64 v83, v84, v97, s15
	v_cndmask_b32_e64 v91, v91, v98, s19
	;; [unrolled: 1-line block ×3, first 2 shown]
	v_lshrrev_b32_e32 v84, 16, v94
	v_cndmask_b32_e64 v66, v66, v97, s18
	v_cndmask_b32_e64 v90, v86, v97, s27
	;; [unrolled: 1-line block ×4, first 2 shown]
	v_dual_cndmask_b32 v86, v87, v97 :: v_dual_cndmask_b32 v87, v88, v84
	v_cndmask_b32_e64 v91, v69, v84, s15
	s_delay_alu instid0(VALU_DEP_4) | instskip(NEXT) | instid1(VALU_DEP_4)
	v_cndmask_b32_e64 v89, v89, v100, s22
	v_cndmask_b32_e64 v85, v85, v100, s13
	v_perm_b32 v69, v102, v101, 0x5040100
	v_perm_b32 v86, v87, v86, 0x5040100
	;; [unrolled: 1-line block ×3, first 2 shown]
	v_cndmask_b32_e64 v89, v89, v94, s24
	v_cndmask_b32_e64 v85, v85, v94, s16
	s_mul_i32 s8, s35, 9
	s_delay_alu instid0(VALU_DEP_2) | instskip(NEXT) | instid1(VALU_DEP_2)
	v_cndmask_b32_e64 v88, v89, v84, s27
	v_cndmask_b32_e64 v89, v85, v84, s18
	s_delay_alu instid0(VALU_DEP_2) | instskip(NEXT) | instid1(VALU_DEP_2)
	v_perm_b32 v85, v88, v90, 0x5040100
	v_perm_b32 v84, v89, v66, 0x5040100
	ds_store_b128 v76, v[69:72]
	ds_store_b128 v76, v[83:86] offset:1024
	v_cmpx_gt_u32_e32 9, v0
	s_cbranch_execz .LBB1862_78
; %bb.77:
	s_mul_i32 s4, s8, s30
	s_delay_alu instid0(SALU_CYCLE_1) | instskip(SKIP_1) | instid1(VALU_DEP_1)
	v_add3_u32 v69, s4, s31, v65
	s_load_b128 s[4:7], s[0:1], 0x58
	v_mad_u64_u32 v[65:66], null, v69, s34, s[14:15]
	s_delay_alu instid0(VALU_DEP_1) | instskip(NEXT) | instid1(VALU_DEP_1)
	v_ashrrev_i32_e32 v66, 31, v65
	v_lshlrev_b64 v[65:66], 2, v[65:66]
	s_waitcnt lgkmcnt(0)
	s_delay_alu instid0(VALU_DEP_1) | instskip(NEXT) | instid1(VALU_DEP_2)
	v_add_co_u32 v69, vcc_lo, s6, v65
	v_add_co_ci_u32_e32 v70, vcc_lo, s7, v66, vcc_lo
	v_add_co_u32 v65, vcc_lo, s4, v65
	v_add_co_ci_u32_e32 v66, vcc_lo, s5, v66, vcc_lo
	global_store_b32 v[69:70], v67, off
	global_store_b32 v[65:66], v68, off
.LBB1862_78:
	s_or_b32 exec_lo, exec_lo, s3
	s_waitcnt lgkmcnt(0)
	s_waitcnt_vscnt null, 0x0
	s_barrier
	buffer_gl0_inv
	ds_load_b128 v[83:86], v80
	ds_load_b128 v[87:90], v80 offset:16
	ds_load_b128 v[95:98], v80 offset:2064
	ds_load_b128 v[91:94], v80 offset:2048
	v_mov_b32_e32 v65, 0
	ds_load_b128 v[103:106], v80 offset:4112
	ds_load_b128 v[99:102], v80 offset:4096
	ds_load_b128 v[111:114], v80 offset:6160
	ds_load_b128 v[107:110], v80 offset:6144
	v_mov_b32_e32 v66, v65
	v_mov_b32_e32 v67, v65
	v_mov_b32_e32 v68, v65
	v_mov_b32_e32 v69, v65
	v_mov_b32_e32 v70, v65
	v_mov_b32_e32 v71, v65
	v_mov_b32_e32 v72, v65
	s_waitcnt lgkmcnt(6)
	s_delay_alu instid0(VALU_DEP_1)
	v_wmma_f32_16x16x16_bf16 v[65:72], v[49:56], v[83:90], v[65:72]
	ds_load_b128 v[53:56], v80 offset:8208
	ds_load_b128 v[49:52], v80 offset:8192
	s_waitcnt lgkmcnt(6)
	v_wmma_f32_16x16x16_bf16 v[65:72], v[41:48], v[91:98], v[65:72]
	ds_load_b128 v[45:48], v80 offset:10256
	ds_load_b128 v[41:44], v80 offset:10240
	s_waitcnt lgkmcnt(6)
	;; [unrolled: 4-line block ×4, first 2 shown]
	v_wmma_f32_16x16x16_bf16 v[65:72], v[1:8], v[49:56], v[65:72]
	s_waitcnt lgkmcnt(4)
	s_delay_alu instid0(VALU_DEP_1) | instskip(SKIP_1) | instid1(VALU_DEP_1)
	v_wmma_f32_16x16x16_bf16 v[65:72], v[9:16], v[41:48], v[65:72]
	s_waitcnt lgkmcnt(2)
	v_wmma_f32_16x16x16_bf16 v[65:72], v[17:24], v[33:40], v[65:72]
	s_waitcnt lgkmcnt(0)
	s_delay_alu instid0(VALU_DEP_1) | instskip(NEXT) | instid1(VALU_DEP_1)
	v_wmma_f32_16x16x16_bf16 v[65:72], v[57:64], v[25:32], v[65:72]
	v_and_b32_e32 v1, 0x7f800000, v65
	s_delay_alu instid0(VALU_DEP_1) | instskip(SKIP_1) | instid1(SALU_CYCLE_1)
	v_cmp_ne_u32_e32 vcc_lo, 0x7f800000, v1
                                        ; implicit-def: $vgpr1
	s_and_saveexec_b32 s3, vcc_lo
	s_xor_b32 s3, exec_lo, s3
; %bb.79:
	v_bfe_u32 v1, v65, 16, 1
	s_delay_alu instid0(VALU_DEP_1)
	v_add3_u32 v1, v65, v1, 0x7fff
; %bb.80:
	s_and_not1_saveexec_b32 s3, s3
; %bb.81:
	v_and_b32_e32 v1, 0xffff, v65
	v_or_b32_e32 v2, 0x10000, v65
	s_delay_alu instid0(VALU_DEP_2) | instskip(NEXT) | instid1(VALU_DEP_2)
	v_cmp_eq_u32_e32 vcc_lo, 0, v1
	v_cndmask_b32_e32 v1, v2, v65, vcc_lo
; %bb.82:
	s_or_b32 exec_lo, exec_lo, s3
	v_and_b32_e32 v2, 0x7f800000, v66
	s_delay_alu instid0(VALU_DEP_1) | instskip(SKIP_1) | instid1(SALU_CYCLE_1)
	v_cmp_ne_u32_e32 vcc_lo, 0x7f800000, v2
                                        ; implicit-def: $vgpr2
	s_and_saveexec_b32 s3, vcc_lo
	s_xor_b32 s3, exec_lo, s3
; %bb.83:
	v_bfe_u32 v2, v66, 16, 1
	s_delay_alu instid0(VALU_DEP_1)
	v_add3_u32 v2, v66, v2, 0x7fff
; %bb.84:
	s_and_not1_saveexec_b32 s3, s3
; %bb.85:
	v_and_b32_e32 v2, 0xffff, v66
	v_or_b32_e32 v3, 0x10000, v66
	s_delay_alu instid0(VALU_DEP_2) | instskip(NEXT) | instid1(VALU_DEP_2)
	v_cmp_eq_u32_e32 vcc_lo, 0, v2
	v_cndmask_b32_e32 v2, v3, v66, vcc_lo
; %bb.86:
	s_or_b32 exec_lo, exec_lo, s3
	v_and_b32_e32 v3, 0x7f800000, v67
	s_delay_alu instid0(VALU_DEP_1) | instskip(SKIP_1) | instid1(SALU_CYCLE_1)
	v_cmp_ne_u32_e32 vcc_lo, 0x7f800000, v3
                                        ; implicit-def: $vgpr3
	s_and_saveexec_b32 s3, vcc_lo
	s_xor_b32 s3, exec_lo, s3
; %bb.87:
	v_bfe_u32 v3, v67, 16, 1
	s_delay_alu instid0(VALU_DEP_1)
	v_add3_u32 v3, v67, v3, 0x7fff
; %bb.88:
	s_and_not1_saveexec_b32 s3, s3
; %bb.89:
	v_and_b32_e32 v3, 0xffff, v67
	v_or_b32_e32 v4, 0x10000, v67
	s_delay_alu instid0(VALU_DEP_2) | instskip(NEXT) | instid1(VALU_DEP_2)
	v_cmp_eq_u32_e32 vcc_lo, 0, v3
	v_cndmask_b32_e32 v3, v4, v67, vcc_lo
; %bb.90:
	s_or_b32 exec_lo, exec_lo, s3
	v_and_b32_e32 v4, 0x7f800000, v68
	s_delay_alu instid0(VALU_DEP_1) | instskip(SKIP_1) | instid1(SALU_CYCLE_1)
	v_cmp_ne_u32_e32 vcc_lo, 0x7f800000, v4
                                        ; implicit-def: $vgpr4
	s_and_saveexec_b32 s3, vcc_lo
	s_xor_b32 s3, exec_lo, s3
; %bb.91:
	v_bfe_u32 v4, v68, 16, 1
	s_delay_alu instid0(VALU_DEP_1)
	v_add3_u32 v4, v68, v4, 0x7fff
; %bb.92:
	s_and_not1_saveexec_b32 s3, s3
; %bb.93:
	v_and_b32_e32 v4, 0xffff, v68
	v_or_b32_e32 v5, 0x10000, v68
	s_delay_alu instid0(VALU_DEP_2) | instskip(NEXT) | instid1(VALU_DEP_2)
	v_cmp_eq_u32_e32 vcc_lo, 0, v4
	v_cndmask_b32_e32 v4, v5, v68, vcc_lo
; %bb.94:
	s_or_b32 exec_lo, exec_lo, s3
	v_and_b32_e32 v5, 0x7f800000, v69
	s_delay_alu instid0(VALU_DEP_1) | instskip(SKIP_1) | instid1(SALU_CYCLE_1)
	v_cmp_ne_u32_e32 vcc_lo, 0x7f800000, v5
                                        ; implicit-def: $vgpr5
	s_and_saveexec_b32 s3, vcc_lo
	s_xor_b32 s3, exec_lo, s3
; %bb.95:
	v_bfe_u32 v5, v69, 16, 1
	s_delay_alu instid0(VALU_DEP_1)
	v_add3_u32 v5, v69, v5, 0x7fff
; %bb.96:
	s_and_not1_saveexec_b32 s3, s3
; %bb.97:
	v_and_b32_e32 v5, 0xffff, v69
	v_or_b32_e32 v6, 0x10000, v69
	s_delay_alu instid0(VALU_DEP_2) | instskip(NEXT) | instid1(VALU_DEP_2)
	v_cmp_eq_u32_e32 vcc_lo, 0, v5
	v_cndmask_b32_e32 v5, v6, v69, vcc_lo
; %bb.98:
	s_or_b32 exec_lo, exec_lo, s3
	v_and_b32_e32 v6, 0x7f800000, v70
	s_delay_alu instid0(VALU_DEP_1) | instskip(SKIP_1) | instid1(SALU_CYCLE_1)
	v_cmp_ne_u32_e32 vcc_lo, 0x7f800000, v6
                                        ; implicit-def: $vgpr6
	s_and_saveexec_b32 s3, vcc_lo
	s_xor_b32 s3, exec_lo, s3
; %bb.99:
	v_bfe_u32 v6, v70, 16, 1
	s_delay_alu instid0(VALU_DEP_1)
	v_add3_u32 v6, v70, v6, 0x7fff
; %bb.100:
	s_and_not1_saveexec_b32 s3, s3
; %bb.101:
	v_and_b32_e32 v6, 0xffff, v70
	v_or_b32_e32 v7, 0x10000, v70
	s_delay_alu instid0(VALU_DEP_2) | instskip(NEXT) | instid1(VALU_DEP_2)
	v_cmp_eq_u32_e32 vcc_lo, 0, v6
	v_cndmask_b32_e32 v6, v7, v70, vcc_lo
; %bb.102:
	s_or_b32 exec_lo, exec_lo, s3
	v_and_b32_e32 v7, 0x7f800000, v71
	s_delay_alu instid0(VALU_DEP_1) | instskip(SKIP_1) | instid1(SALU_CYCLE_1)
	v_cmp_ne_u32_e32 vcc_lo, 0x7f800000, v7
                                        ; implicit-def: $vgpr7
	s_and_saveexec_b32 s3, vcc_lo
	s_xor_b32 s3, exec_lo, s3
; %bb.103:
	v_bfe_u32 v7, v71, 16, 1
	s_delay_alu instid0(VALU_DEP_1)
	v_add3_u32 v7, v71, v7, 0x7fff
; %bb.104:
	s_and_not1_saveexec_b32 s3, s3
; %bb.105:
	v_and_b32_e32 v7, 0xffff, v71
	v_or_b32_e32 v8, 0x10000, v71
	s_delay_alu instid0(VALU_DEP_2) | instskip(NEXT) | instid1(VALU_DEP_2)
	v_cmp_eq_u32_e32 vcc_lo, 0, v7
	v_cndmask_b32_e32 v7, v8, v71, vcc_lo
; %bb.106:
	s_or_b32 exec_lo, exec_lo, s3
	v_and_b32_e32 v8, 0x7f800000, v72
	s_delay_alu instid0(VALU_DEP_1) | instskip(SKIP_1) | instid1(SALU_CYCLE_1)
	v_cmp_ne_u32_e32 vcc_lo, 0x7f800000, v8
                                        ; implicit-def: $vgpr8
	s_and_saveexec_b32 s3, vcc_lo
	s_xor_b32 s3, exec_lo, s3
; %bb.107:
	v_bfe_u32 v8, v72, 16, 1
	s_delay_alu instid0(VALU_DEP_1)
	v_add3_u32 v8, v72, v8, 0x7fff
                                        ; implicit-def: $vgpr65_vgpr66_vgpr67_vgpr68_vgpr69_vgpr70_vgpr71_vgpr72
; %bb.108:
	s_and_not1_saveexec_b32 s3, s3
; %bb.109:
	v_and_b32_e32 v8, 0xffff, v72
	v_or_b32_e32 v9, 0x10000, v72
	s_delay_alu instid0(VALU_DEP_2) | instskip(NEXT) | instid1(VALU_DEP_2)
	v_cmp_eq_u32_e32 vcc_lo, 0, v8
	v_cndmask_b32_e32 v8, v9, v72, vcc_lo
; %bb.110:
	s_or_b32 exec_lo, exec_lo, s3
	s_delay_alu instid0(VALU_DEP_1)
	v_perm_b32 v7, v8, v7, 0x7060302
	v_perm_b32 v6, v6, v5, 0x7060302
	;; [unrolled: 1-line block ×4, first 2 shown]
	s_barrier
	buffer_gl0_inv
	v_cmp_eq_u32_e32 vcc_lo, 1, v78
	ds_store_b128 v76, v[4:7]
	s_waitcnt lgkmcnt(0)
	s_barrier
	buffer_gl0_inv
	ds_load_b128 v[1:4], v82
	ds_load_b128 v[5:8], v82 offset:16
	v_cmp_eq_u32_e64 s3, 1, v79
	v_cmp_eq_u32_e64 s4, 2, v78
	;; [unrolled: 1-line block ×5, first 2 shown]
	s_waitcnt lgkmcnt(1)
	v_lshrrev_b32_e32 v9, 16, v1
	s_waitcnt lgkmcnt(0)
	v_lshrrev_b32_e32 v13, 16, v5
	v_lshrrev_b32_e32 v10, 16, v2
	;; [unrolled: 1-line block ×4, first 2 shown]
	v_cndmask_b32_e64 v19, v1, v9, s3
	v_cndmask_b32_e32 v18, v5, v13, vcc_lo
	v_cndmask_b32_e64 v20, v5, v13, s3
	v_cndmask_b32_e32 v17, v1, v9, vcc_lo
	v_cmp_eq_u32_e32 vcc_lo, 2, v79
	v_lshrrev_b32_e32 v15, 16, v7
	v_cmp_eq_u32_e64 s3, 1, v77
	v_lshrrev_b32_e32 v12, 16, v4
	v_lshrrev_b32_e32 v16, 16, v8
	v_cndmask_b32_e32 v20, v20, v6, vcc_lo
	v_cndmask_b32_e64 v17, v17, v2, s4
	v_cndmask_b32_e32 v19, v19, v2, vcc_lo
	v_cndmask_b32_e64 v18, v18, v6, s4
	v_cmp_eq_u32_e32 vcc_lo, 4, v78
	v_cmp_eq_u32_e64 s4, 3, v79
	v_cndmask_b32_e64 v17, v17, v10, s5
	v_cndmask_b32_e64 v21, v1, v9, s3
	;; [unrolled: 1-line block ×5, first 2 shown]
	v_cndmask_b32_e32 v17, v17, v3, vcc_lo
	v_cndmask_b32_e64 v20, v20, v14, s4
	v_cndmask_b32_e32 v18, v18, v7, vcc_lo
	v_cmp_eq_u32_e32 vcc_lo, 4, v79
	v_cmp_eq_u32_e64 s4, 5, v79
	v_cmp_eq_u32_e64 s3, 2, v81
	v_cndmask_b32_e64 v21, v21, v2, s7
	v_cmp_eq_u32_e64 s5, 5, v78
	v_cndmask_b32_e32 v19, v19, v3, vcc_lo
	v_cndmask_b32_e32 v20, v20, v7, vcc_lo
	v_cmp_eq_u32_e32 vcc_lo, 6, v79
	s_delay_alu instid0(VALU_DEP_4) | instskip(NEXT) | instid1(VALU_DEP_4)
	v_cndmask_b32_e64 v17, v17, v11, s5
	v_cndmask_b32_e64 v19, v19, v11, s4
	s_delay_alu instid0(VALU_DEP_4) | instskip(SKIP_1) | instid1(VALU_DEP_3)
	v_cndmask_b32_e64 v20, v20, v15, s4
	v_cmp_eq_u32_e64 s4, 1, v81
	v_cndmask_b32_e32 v19, v19, v4, vcc_lo
	v_cndmask_b32_e64 v18, v18, v15, s5
	s_delay_alu instid0(VALU_DEP_3)
	v_cndmask_b32_e64 v1, v1, v9, s4
	v_cndmask_b32_e64 v5, v5, v13, s4
	v_cmp_eq_u32_e64 s4, 3, v77
	v_cndmask_b32_e64 v13, v22, v6, s7
	v_cmp_eq_u32_e64 s7, 3, v81
	v_cndmask_b32_e64 v1, v1, v2, s3
	v_cndmask_b32_e64 v2, v5, v6, s3
	v_cndmask_b32_e64 v9, v21, v10, s4
	v_cmp_eq_u32_e64 s3, 4, v77
	v_cndmask_b32_e64 v6, v13, v14, s4
	v_cndmask_b32_e64 v1, v1, v10, s7
	v_cmp_eq_u32_e64 s4, 4, v81
	v_cndmask_b32_e64 v2, v2, v14, s7
	v_cndmask_b32_e64 v5, v9, v3, s3
	;; [unrolled: 3-line block ×3, first 2 shown]
	v_cndmask_b32_e64 v2, v2, v7, s4
	v_cmp_eq_u32_e64 s3, 5, v81
	v_cmp_eq_u32_e64 s5, 6, v78
	v_cndmask_b32_e64 v5, v5, v11, s7
	v_cmp_eq_u32_e64 s4, 6, v77
	v_cndmask_b32_e64 v3, v6, v15, s7
	v_cndmask_b32_e64 v1, v1, v11, s3
	v_cmp_eq_u32_e64 s7, 6, v81
	v_cndmask_b32_e64 v2, v2, v15, s3
	v_cndmask_b32_e64 v17, v17, v4, s5
	v_cndmask_b32_e64 v18, v18, v8, s5
	v_cmp_eq_u32_e64 s5, 7, v78
	v_cndmask_b32_e64 v5, v5, v4, s4
	;; [unrolled: 4-line block ×3, first 2 shown]
	v_cmp_eq_u32_e64 s4, 7, v77
	v_cndmask_b32_e32 v4, v20, v8, vcc_lo
	v_cndmask_b32_e64 v17, v17, v12, s5
	v_cndmask_b32_e64 v19, v19, v12, s6
	;; [unrolled: 1-line block ×8, first 2 shown]
	s_mov_b32 s3, exec_lo
	v_perm_b32 v4, v2, v1, 0x5040100
	v_perm_b32 v3, v3, v5, 0x5040100
	;; [unrolled: 1-line block ×4, first 2 shown]
	ds_store_b128 v76, v[1:4]
	s_waitcnt lgkmcnt(0)
	s_barrier
	buffer_gl0_inv
	v_cmpx_gt_u32_e32 32, v0
	s_cbranch_execz .LBB1862_2
; %bb.111:
	s_load_b64 s[4:5], s[0:1], 0x68
	v_lshlrev_b32_e32 v0, 10, v0
	v_lshlrev_b32_e32 v1, 4, v75
	s_lshl_b32 s0, s34, 7
	v_add_nc_u32_e32 v2, s31, v74
	s_mul_i32 s1, s0, s30
	s_delay_alu instid0(SALU_CYCLE_1) | instskip(SKIP_1) | instid1(VALU_DEP_2)
	s_mul_i32 s6, s1, s8
	v_and_or_b32 v0, 0x3800, v0, v1
	v_mul_lo_u32 v1, v2, s0
	s_ashr_i32 s7, s6, 31
	v_add_nc_u32_e32 v3, 2, v2
	s_lshl_b64 s[6:7], s[6:7], 1
	v_add_nc_u32_e32 v4, 4, v2
	v_add_nc_u32_e32 v5, 6, v2
	v_lshl_or_b32 v15, v74, 6, v0
	v_mul_lo_u32 v3, v3, s0
	v_ashrrev_i32_e32 v2, 31, v1
	v_mul_lo_u32 v19, v4, s0
	v_mul_lo_u32 v21, v5, s0
	s_waitcnt lgkmcnt(0)
	s_add_u32 s1, s4, s6
	s_addc_u32 s3, s5, s7
	s_lshl_b32 s4, s14, 7
	v_lshlrev_b64 v[5:6], 1, v[1:2]
	s_ashr_i32 s5, s4, 31
	v_ashrrev_i32_e32 v4, 31, v3
	s_lshl_b64 s[4:5], s[4:5], 1
	v_ashrrev_i32_e32 v20, 31, v19
	s_add_u32 s1, s1, s4
	s_addc_u32 s3, s3, s5
	v_add_co_u32 v1, s1, s1, v73
	s_delay_alu instid0(VALU_DEP_1) | instskip(SKIP_1) | instid1(VALU_DEP_3)
	v_add_co_ci_u32_e64 v2, null, s3, 0, s1
	v_lshlrev_b64 v[25:26], 1, v[3:4]
	v_add_co_u32 v23, vcc_lo, v1, v5
	s_delay_alu instid0(VALU_DEP_3)
	v_add_co_ci_u32_e32 v24, vcc_lo, v2, v6, vcc_lo
	ds_load_b128 v[3:6], v15
	ds_load_b128 v[7:10], v15 offset:128
	ds_load_b128 v[11:14], v15 offset:256
	;; [unrolled: 1-line block ×3, first 2 shown]
	v_ashrrev_i32_e32 v22, 31, v21
	v_lshlrev_b64 v[19:20], 1, v[19:20]
	v_add_co_u32 v25, vcc_lo, v1, v25
	v_add_co_ci_u32_e32 v26, vcc_lo, v2, v26, vcc_lo
	s_delay_alu instid0(VALU_DEP_4) | instskip(NEXT) | instid1(VALU_DEP_4)
	v_lshlrev_b64 v[21:22], 1, v[21:22]
	v_add_co_u32 v19, vcc_lo, v1, v19
	v_add_co_ci_u32_e32 v20, vcc_lo, v2, v20, vcc_lo
	s_delay_alu instid0(VALU_DEP_3) | instskip(NEXT) | instid1(VALU_DEP_4)
	v_add_co_u32 v21, vcc_lo, v1, v21
	v_add_co_ci_u32_e32 v22, vcc_lo, v2, v22, vcc_lo
	s_waitcnt lgkmcnt(3)
	global_store_b128 v[23:24], v[3:6], off
	s_waitcnt lgkmcnt(2)
	global_store_b128 v[25:26], v[7:10], off
	s_waitcnt lgkmcnt(1)
	global_store_b128 v[19:20], v[11:14], off
	s_waitcnt lgkmcnt(0)
	global_store_b128 v[21:22], v[15:18], off
	s_and_b32 exec_lo, exec_lo, s2
	s_cbranch_execz .LBB1862_2
; %bb.112:
	ds_load_b128 v[3:6], v0 offset:512
	s_add_i32 s1, s31, 8
	s_delay_alu instid0(SALU_CYCLE_1) | instskip(NEXT) | instid1(SALU_CYCLE_1)
	s_mul_i32 s0, s1, s0
	s_ashr_i32 s1, s0, 31
	s_delay_alu instid0(SALU_CYCLE_1) | instskip(NEXT) | instid1(SALU_CYCLE_1)
	s_lshl_b64 s[0:1], s[0:1], 1
	v_add_co_u32 v0, vcc_lo, v1, s0
	v_add_co_ci_u32_e32 v1, vcc_lo, s1, v2, vcc_lo
	s_waitcnt lgkmcnt(0)
	global_store_b128 v[0:1], v[3:6], off
	s_nop 0
	s_sendmsg sendmsg(MSG_DEALLOC_VGPRS)
	s_endpgm
	.section	.rodata,"a",@progbits
	.p2align	6, 0x0
	.amdhsa_kernel _Z39paged_attention_ll4mi_QKV_mfma16_kernelI14__hip_bfloat16hLN4vllm18Fp8KVCacheDataTypeE1EhLi32ELi128ELi256ELb1ELi9EL8MFMAType0EEvPKT_PKT0_S9_ifPKiSB_SB_iPKfiiiPfSE_PS4_PT2_iSD_SD_
		.amdhsa_group_segment_fixed_size 17472
		.amdhsa_private_segment_fixed_size 0
		.amdhsa_kernarg_size 400
		.amdhsa_user_sgpr_count 13
		.amdhsa_user_sgpr_dispatch_ptr 0
		.amdhsa_user_sgpr_queue_ptr 0
		.amdhsa_user_sgpr_kernarg_segment_ptr 1
		.amdhsa_user_sgpr_dispatch_id 0
		.amdhsa_user_sgpr_private_segment_size 0
		.amdhsa_wavefront_size32 1
		.amdhsa_uses_dynamic_stack 0
		.amdhsa_enable_private_segment 0
		.amdhsa_system_sgpr_workgroup_id_x 1
		.amdhsa_system_sgpr_workgroup_id_y 1
		.amdhsa_system_sgpr_workgroup_id_z 1
		.amdhsa_system_sgpr_workgroup_info 0
		.amdhsa_system_vgpr_workitem_id 0
		.amdhsa_next_free_vgpr 140
		.amdhsa_next_free_sgpr 36
		.amdhsa_reserve_vcc 1
		.amdhsa_float_round_mode_32 0
		.amdhsa_float_round_mode_16_64 0
		.amdhsa_float_denorm_mode_32 3
		.amdhsa_float_denorm_mode_16_64 3
		.amdhsa_dx10_clamp 1
		.amdhsa_ieee_mode 1
		.amdhsa_fp16_overflow 0
		.amdhsa_workgroup_processor_mode 1
		.amdhsa_memory_ordered 1
		.amdhsa_forward_progress 0
		.amdhsa_shared_vgpr_count 0
		.amdhsa_exception_fp_ieee_invalid_op 0
		.amdhsa_exception_fp_denorm_src 0
		.amdhsa_exception_fp_ieee_div_zero 0
		.amdhsa_exception_fp_ieee_overflow 0
		.amdhsa_exception_fp_ieee_underflow 0
		.amdhsa_exception_fp_ieee_inexact 0
		.amdhsa_exception_int_div_zero 0
	.end_amdhsa_kernel
	.section	.text._Z39paged_attention_ll4mi_QKV_mfma16_kernelI14__hip_bfloat16hLN4vllm18Fp8KVCacheDataTypeE1EhLi32ELi128ELi256ELb1ELi9EL8MFMAType0EEvPKT_PKT0_S9_ifPKiSB_SB_iPKfiiiPfSE_PS4_PT2_iSD_SD_,"axG",@progbits,_Z39paged_attention_ll4mi_QKV_mfma16_kernelI14__hip_bfloat16hLN4vllm18Fp8KVCacheDataTypeE1EhLi32ELi128ELi256ELb1ELi9EL8MFMAType0EEvPKT_PKT0_S9_ifPKiSB_SB_iPKfiiiPfSE_PS4_PT2_iSD_SD_,comdat
.Lfunc_end1862:
	.size	_Z39paged_attention_ll4mi_QKV_mfma16_kernelI14__hip_bfloat16hLN4vllm18Fp8KVCacheDataTypeE1EhLi32ELi128ELi256ELb1ELi9EL8MFMAType0EEvPKT_PKT0_S9_ifPKiSB_SB_iPKfiiiPfSE_PS4_PT2_iSD_SD_, .Lfunc_end1862-_Z39paged_attention_ll4mi_QKV_mfma16_kernelI14__hip_bfloat16hLN4vllm18Fp8KVCacheDataTypeE1EhLi32ELi128ELi256ELb1ELi9EL8MFMAType0EEvPKT_PKT0_S9_ifPKiSB_SB_iPKfiiiPfSE_PS4_PT2_iSD_SD_
                                        ; -- End function
	.section	.AMDGPU.csdata,"",@progbits
; Kernel info:
; codeLenInByte = 8984
; NumSgprs: 38
; NumVgprs: 140
; ScratchSize: 0
; MemoryBound: 0
; FloatMode: 240
; IeeeMode: 1
; LDSByteSize: 17472 bytes/workgroup (compile time only)
; SGPRBlocks: 4
; VGPRBlocks: 17
; NumSGPRsForWavesPerEU: 38
; NumVGPRsForWavesPerEU: 140
; Occupancy: 10
; WaveLimiterHint : 1
; COMPUTE_PGM_RSRC2:SCRATCH_EN: 0
; COMPUTE_PGM_RSRC2:USER_SGPR: 13
; COMPUTE_PGM_RSRC2:TRAP_HANDLER: 0
; COMPUTE_PGM_RSRC2:TGID_X_EN: 1
; COMPUTE_PGM_RSRC2:TGID_Y_EN: 1
; COMPUTE_PGM_RSRC2:TGID_Z_EN: 1
; COMPUTE_PGM_RSRC2:TIDIG_COMP_CNT: 0
	.section	.text._Z39paged_attention_ll4mi_QKV_mfma16_kernelI14__hip_bfloat16hLN4vllm18Fp8KVCacheDataTypeE1EhLi32ELi128ELi256ELb1ELi10EL8MFMAType0EEvPKT_PKT0_S9_ifPKiSB_SB_iPKfiiiPfSE_PS4_PT2_iSD_SD_,"axG",@progbits,_Z39paged_attention_ll4mi_QKV_mfma16_kernelI14__hip_bfloat16hLN4vllm18Fp8KVCacheDataTypeE1EhLi32ELi128ELi256ELb1ELi10EL8MFMAType0EEvPKT_PKT0_S9_ifPKiSB_SB_iPKfiiiPfSE_PS4_PT2_iSD_SD_,comdat
	.protected	_Z39paged_attention_ll4mi_QKV_mfma16_kernelI14__hip_bfloat16hLN4vllm18Fp8KVCacheDataTypeE1EhLi32ELi128ELi256ELb1ELi10EL8MFMAType0EEvPKT_PKT0_S9_ifPKiSB_SB_iPKfiiiPfSE_PS4_PT2_iSD_SD_ ; -- Begin function _Z39paged_attention_ll4mi_QKV_mfma16_kernelI14__hip_bfloat16hLN4vllm18Fp8KVCacheDataTypeE1EhLi32ELi128ELi256ELb1ELi10EL8MFMAType0EEvPKT_PKT0_S9_ifPKiSB_SB_iPKfiiiPfSE_PS4_PT2_iSD_SD_
	.globl	_Z39paged_attention_ll4mi_QKV_mfma16_kernelI14__hip_bfloat16hLN4vllm18Fp8KVCacheDataTypeE1EhLi32ELi128ELi256ELb1ELi10EL8MFMAType0EEvPKT_PKT0_S9_ifPKiSB_SB_iPKfiiiPfSE_PS4_PT2_iSD_SD_
	.p2align	8
	.type	_Z39paged_attention_ll4mi_QKV_mfma16_kernelI14__hip_bfloat16hLN4vllm18Fp8KVCacheDataTypeE1EhLi32ELi128ELi256ELb1ELi10EL8MFMAType0EEvPKT_PKT0_S9_ifPKiSB_SB_iPKfiiiPfSE_PS4_PT2_iSD_SD_,@function
_Z39paged_attention_ll4mi_QKV_mfma16_kernelI14__hip_bfloat16hLN4vllm18Fp8KVCacheDataTypeE1EhLi32ELi128ELi256ELb1ELi10EL8MFMAType0EEvPKT_PKT0_S9_ifPKiSB_SB_iPKfiiiPfSE_PS4_PT2_iSD_SD_: ; @_Z39paged_attention_ll4mi_QKV_mfma16_kernelI14__hip_bfloat16hLN4vllm18Fp8KVCacheDataTypeE1EhLi32ELi128ELi256ELb1ELi10EL8MFMAType0EEvPKT_PKT0_S9_ifPKiSB_SB_iPKfiiiPfSE_PS4_PT2_iSD_SD_
; %bb.0:
	s_load_b64 s[4:5], s[0:1], 0x30
	s_mov_b32 s30, s13
	s_waitcnt lgkmcnt(0)
	s_cmp_lg_u64 s[4:5], 0
	s_cselect_b32 s13, -1, 0
	s_ashr_i32 s31, s30, 31
	s_cmp_eq_u64 s[4:5], 0
	s_cbranch_scc1 .LBB1863_3
; %bb.1:
	s_lshl_b64 s[2:3], s[30:31], 2
	s_delay_alu instid0(SALU_CYCLE_1) | instskip(SKIP_4) | instid1(SALU_CYCLE_1)
	s_add_u32 s2, s4, s2
	s_addc_u32 s3, s5, s3
	s_load_b64 s[2:3], s[2:3], 0x0
	s_waitcnt lgkmcnt(0)
	s_sub_i32 s2, s3, s2
	s_cmp_eq_u32 s2, 1
	s_cselect_b32 s2, -1, 0
	s_delay_alu instid0(SALU_CYCLE_1)
	s_and_not1_b32 vcc_lo, exec_lo, s2
	s_cbranch_vccz .LBB1863_4
.LBB1863_2:
	s_endpgm
.LBB1863_3:
.LBB1863_4:
	s_load_b64 s[2:3], s[0:1], 0x28
	s_lshl_b64 s[6:7], s[30:31], 2
	s_waitcnt lgkmcnt(0)
	s_add_u32 s2, s2, s6
	s_addc_u32 s3, s3, s7
	s_lshl_b32 s12, s14, 8
	s_load_b32 s17, s[2:3], 0x0
	s_waitcnt lgkmcnt(0)
	s_cmp_ge_i32 s12, s17
	s_cbranch_scc1 .LBB1863_2
; %bb.5:
	s_clause 0x1
	s_load_b128 s[8:11], s[0:1], 0x8
	s_load_b64 s[2:3], s[0:1], 0x20
	s_and_not1_b32 vcc_lo, exec_lo, s13
	s_cbranch_vccnz .LBB1863_7
; %bb.6:
	s_add_u32 s4, s4, s6
	s_addc_u32 s5, s5, s7
	s_load_b32 s13, s[4:5], 0x0
	s_branch .LBB1863_8
.LBB1863_7:
	s_mov_b32 s13, s30
.LBB1863_8:
	s_load_b128 s[4:7], s[0:1], 0x48
	v_and_b32_e32 v65, 15, v0
	v_lshrrev_b32_e32 v66, 5, v0
	v_and_b32_e32 v67, 31, v0
	v_and_b32_e32 v75, 1, v0
	v_bfe_u32 v74, v0, 4, 1
	v_lshlrev_b32_e32 v1, 3, v65
	s_mul_i32 s29, s15, 10
	s_waitcnt lgkmcnt(0)
	s_mov_b32 s7, exec_lo
	s_delay_alu instid0(VALU_DEP_1)
	v_lshlrev_b32_e32 v73, 1, v1
	v_cmpx_gt_u32_e32 0xa0, v0
	s_cbranch_execz .LBB1863_10
; %bb.9:
	s_load_b64 s[18:19], s[0:1], 0x0
	v_lshl_or_b32 v5, v66, 1, v74
	s_mul_hi_i32 s21, s13, s4
	s_mul_i32 s20, s13, s4
	v_lshlrev_b32_e32 v6, 10, v65
	s_lshl_b64 s[20:21], s[20:21], 1
	v_add_lshl_u32 v1, v5, s29, 7
	v_lshlrev_b32_e32 v5, 6, v5
	v_lshlrev_b32_e32 v7, 10, v75
	v_and_b32_e32 v6, 0x3800, v6
	s_delay_alu instid0(VALU_DEP_4) | instskip(NEXT) | instid1(VALU_DEP_2)
	v_ashrrev_i32_e32 v2, 31, v1
	v_or3_b32 v5, v6, v7, v5
	s_delay_alu instid0(VALU_DEP_2) | instskip(SKIP_3) | instid1(VALU_DEP_1)
	v_lshlrev_b64 v[1:2], 1, v[1:2]
	s_waitcnt lgkmcnt(0)
	s_add_u32 s4, s18, s20
	s_addc_u32 s13, s19, s21
	v_add_co_u32 v1, vcc_lo, s4, v1
	s_delay_alu instid0(VALU_DEP_2) | instskip(NEXT) | instid1(VALU_DEP_2)
	v_add_co_ci_u32_e32 v2, vcc_lo, s13, v2, vcc_lo
	v_add_co_u32 v1, vcc_lo, v1, v73
	s_delay_alu instid0(VALU_DEP_2)
	v_add_co_ci_u32_e32 v2, vcc_lo, 0, v2, vcc_lo
	global_load_b128 v[1:4], v[1:2], off
	s_waitcnt vmcnt(0)
	ds_store_b128 v5, v[1:4]
.LBB1863_10:
	s_or_b32 exec_lo, exec_lo, s7
	v_and_b32_e32 v1, 0xef, v0
	s_add_i32 s4, s17, 31
	s_clause 0x1
	s_load_b32 s7, s[0:1], 0x38
	s_load_b32 s18, s[0:1], 0x1c
	s_ashr_i32 s13, s4, 31
	v_add_nc_u32_e32 v1, s12, v1
	s_lshr_b32 s13, s13, 27
	s_waitcnt lgkmcnt(0)
	s_add_i32 s4, s4, s13
	s_barrier
	v_ashrrev_i32_e32 v2, 31, v1
	v_or_b32_e32 v3, 16, v1
	s_ashr_i32 s4, s4, 5
	v_cmp_gt_i32_e32 vcc_lo, s17, v1
	s_add_i32 s4, s4, -1
	v_lshrrev_b32_e32 v2, 27, v2
	buffer_gl0_inv
	s_mul_i32 s15, s15, s6
	v_add_nc_u32_e32 v4, v1, v2
	s_mul_i32 s20, s30, s7
	s_delay_alu instid0(SALU_CYCLE_1) | instskip(NEXT) | instid1(VALU_DEP_1)
	s_ashr_i32 s21, s20, 31
	v_ashrrev_i32_e32 v4, 5, v4
	v_add_nc_u32_e32 v2, v3, v2
	s_lshl_b64 s[20:21], s[20:21], 2
	s_delay_alu instid0(SALU_CYCLE_1) | instskip(NEXT) | instid1(VALU_DEP_2)
	s_add_u32 s13, s2, s20
	v_cndmask_b32_e32 v1, s4, v4, vcc_lo
	s_delay_alu instid0(VALU_DEP_2)
	v_ashrrev_i32_e32 v2, 5, v2
	v_cmp_gt_i32_e32 vcc_lo, s17, v3
	s_addc_u32 s16, s3, s21
	s_ashr_i32 s19, s15, 31
	s_add_u32 s2, s8, s15
	s_addc_u32 s3, s9, s19
	v_cndmask_b32_e32 v3, s4, v2, vcc_lo
	v_ashrrev_i32_e32 v2, 31, v1
	s_lshl_b32 s6, s14, 3
	s_delay_alu instid0(SALU_CYCLE_1) | instskip(NEXT) | instid1(VALU_DEP_2)
	s_ashr_i32 s7, s6, 31
	v_ashrrev_i32_e32 v4, 31, v3
	s_delay_alu instid0(VALU_DEP_2) | instskip(SKIP_1) | instid1(SALU_CYCLE_1)
	v_lshlrev_b64 v[1:2], 2, v[1:2]
	s_lshl_b64 s[6:7], s[6:7], 2
	s_add_u32 s6, s13, s6
	s_delay_alu instid0(VALU_DEP_2) | instskip(SKIP_1) | instid1(VALU_DEP_2)
	v_lshlrev_b64 v[3:4], 2, v[3:4]
	s_addc_u32 s7, s16, s7
	v_add_co_u32 v1, vcc_lo, s13, v1
	v_add_co_ci_u32_e32 v2, vcc_lo, s16, v2, vcc_lo
	s_delay_alu instid0(VALU_DEP_3) | instskip(NEXT) | instid1(VALU_DEP_4)
	v_add_co_u32 v3, vcc_lo, s13, v3
	v_add_co_ci_u32_e32 v4, vcc_lo, s16, v4, vcc_lo
	s_clause 0x1
	global_load_b32 v5, v[1:2], off
	global_load_b32 v6, v[3:4], off
	s_or_b32 s8, s12, 32
	s_delay_alu instid0(SALU_CYCLE_1) | instskip(SKIP_2) | instid1(SALU_CYCLE_1)
	s_ashr_i32 s9, s8, 5
	s_cmp_lt_i32 s8, s17
	s_cselect_b32 s8, s9, s4
	s_ashr_i32 s9, s8, 31
	s_delay_alu instid0(SALU_CYCLE_1) | instskip(NEXT) | instid1(SALU_CYCLE_1)
	s_lshl_b64 s[8:9], s[8:9], 2
	s_add_u32 s8, s13, s8
	s_addc_u32 s9, s16, s9
	s_or_b32 s20, s12, 64
	s_delay_alu instid0(SALU_CYCLE_1) | instskip(SKIP_2) | instid1(SALU_CYCLE_1)
	s_ashr_i32 s21, s20, 5
	s_cmp_lt_i32 s20, s17
	s_cselect_b32 s20, s21, s4
	s_ashr_i32 s21, s20, 31
	s_delay_alu instid0(SALU_CYCLE_1) | instskip(NEXT) | instid1(SALU_CYCLE_1)
	s_lshl_b64 s[20:21], s[20:21], 2
	s_add_u32 s20, s13, s20
	s_addc_u32 s21, s16, s21
	;; [unrolled: 10-line block ×5, first 2 shown]
	s_clause 0x5
	s_load_b32 s28, s[6:7], 0x0
	s_load_b32 s8, s[8:9], 0x0
	;; [unrolled: 1-line block ×6, first 2 shown]
	s_mov_b32 s20, 0
	s_delay_alu instid0(SALU_CYCLE_1)
	s_mov_b32 s21, s20
	s_mov_b32 s22, s20
	;; [unrolled: 1-line block ×7, first 2 shown]
	s_delay_alu instid0(SALU_CYCLE_1)
	v_dual_mov_b32 v107, s27 :: v_dual_mov_b32 v106, s26
	v_dual_mov_b32 v104, s24 :: v_dual_mov_b32 v103, s23
	;; [unrolled: 1-line block ×3, first 2 shown]
	v_mov_b32_e32 v100, s20
	s_waitcnt vmcnt(1)
	v_mad_i64_i32 v[1:2], null, v5, s5, s[2:3]
	v_lshlrev_b32_e32 v5, 4, v65
	s_waitcnt vmcnt(0)
	v_mad_i64_i32 v[3:4], null, v6, s5, s[2:3]
	s_or_b32 s2, s12, 0xc0
	s_delay_alu instid0(SALU_CYCLE_1) | instskip(NEXT) | instid1(VALU_DEP_3)
	s_ashr_i32 s3, s2, 5
	v_add_co_u32 v33, vcc_lo, v1, v5
	s_delay_alu instid0(VALU_DEP_4) | instskip(NEXT) | instid1(VALU_DEP_3)
	v_add_co_ci_u32_e32 v34, vcc_lo, 0, v2, vcc_lo
	v_add_co_u32 v35, vcc_lo, v3, v5
	s_delay_alu instid0(VALU_DEP_4)
	v_add_co_ci_u32_e32 v36, vcc_lo, 0, v4, vcc_lo
	s_clause 0xf
	global_load_b128 v[1:4], v[33:34], off
	global_load_b128 v[5:8], v[33:34], off offset:512
	global_load_b128 v[9:12], v[35:36], off offset:256
	;; [unrolled: 1-line block ×15, first 2 shown]
	s_cmp_lt_i32 s2, s17
	v_add_nc_u32_e32 v33, -10, v65
	s_cselect_b32 s2, s3, s4
	v_cmp_gt_u32_e32 vcc_lo, 10, v65
	s_ashr_i32 s3, s2, 31
	v_lshlrev_b32_e32 v34, 5, v65
	s_lshl_b64 s[2:3], s[2:3], 2
	s_delay_alu instid0(SALU_CYCLE_1)
	s_add_u32 s2, s13, s2
	s_addc_u32 s3, s16, s3
	s_or_b32 s6, s12, 0xe0
	v_cndmask_b32_e32 v33, v33, v65, vcc_lo
	s_ashr_i32 s7, s6, 5
	s_cmp_lt_i32 s6, s17
	v_mov_b32_e32 v105, s25
	s_cselect_b32 s6, s7, s4
	v_lshlrev_b32_e32 v72, 6, v33
	s_ashr_i32 s7, s6, 31
	v_lshl_or_b32 v41, v66, 9, v34
	s_lshl_b64 s[6:7], s[6:7], 2
	ds_load_b128 v[33:36], v72
	ds_load_b128 v[37:40], v72 offset:1024
	ds_load_b128 v[108:111], v72 offset:2048
	;; [unrolled: 1-line block ×3, first 2 shown]
	s_load_b32 s4, s[2:3], 0x0
	s_add_u32 s2, s13, s6
	s_addc_u32 s3, s16, s7
	ds_load_b128 v[116:119], v72 offset:4096
	ds_load_b128 v[120:123], v72 offset:5120
	s_load_b32 s2, s[2:3], 0x0
	s_add_u32 s6, s10, s15
	s_addc_u32 s7, s11, s19
	v_add_co_u32 v68, s6, s6, v41
	s_delay_alu instid0(VALU_DEP_1) | instskip(SKIP_1) | instid1(VALU_DEP_1)
	v_add_co_ci_u32_e64 v69, null, s7, 0, s6
	s_waitcnt lgkmcnt(0)
	v_mad_i64_i32 v[41:42], null, s28, s5, v[68:69]
	v_mad_i64_i32 v[70:71], null, s9, s5, v[68:69]
	;; [unrolled: 1-line block ×7, first 2 shown]
	s_clause 0x3
	global_load_b128 v[49:52], v[41:42], off
	global_load_b128 v[53:56], v[41:42], off offset:16
	global_load_b128 v[41:44], v[45:46], off
	global_load_b128 v[45:48], v[45:46], off offset:16
	s_waitcnt vmcnt(18)
	v_wmma_f32_16x16x16_bf16 v[124:131], v[1:8], v[33:40], v[100:107]
	s_waitcnt vmcnt(16)
	v_wmma_f32_16x16x16_bf16 v[100:107], v[9:16], v[33:40], v[100:107]
	s_clause 0x1
	global_load_b128 v[33:36], v[70:71], off
	global_load_b128 v[37:40], v[70:71], off offset:16
	v_mad_i64_i32 v[70:71], null, s2, s5, v[68:69]
	s_waitcnt vmcnt(16)
	v_wmma_f32_16x16x16_bf16 v[124:131], v[17:24], v[108:115], v[124:131]
	s_waitcnt vmcnt(14)
	v_wmma_f32_16x16x16_bf16 v[100:107], v[25:32], v[108:115], v[100:107]
	s_clause 0x7
	global_load_b128 v[25:28], v[132:133], off
	global_load_b128 v[29:32], v[132:133], off offset:16
	global_load_b128 v[1:4], v[134:135], off
	global_load_b128 v[5:8], v[134:135], off offset:16
	;; [unrolled: 2-line block ×4, first 2 shown]
	s_waitcnt vmcnt(20)
	v_wmma_f32_16x16x16_bf16 v[124:131], v[57:64], v[116:123], v[124:131]
	s_clause 0x1
	global_load_b128 v[57:60], v[70:71], off
	global_load_b128 v[61:64], v[70:71], off offset:16
	s_waitcnt vmcnt(20)
	v_wmma_f32_16x16x16_bf16 v[100:107], v[76:83], v[116:123], v[100:107]
	ds_load_b128 v[76:79], v72 offset:6144
	ds_load_b128 v[80:83], v72 offset:7168
	v_and_b32_e32 v68, 0xe0, v0
	v_mbcnt_lo_u32_b32 v69, -1, 0
	s_waitcnt vmcnt(0) lgkmcnt(0)
	s_barrier
	buffer_gl0_inv
	v_add_nc_u32_e32 v68, s12, v68
	v_xor_b32_e32 v70, 16, v69
	s_delay_alu instid0(VALU_DEP_2) | instskip(NEXT) | instid1(VALU_DEP_2)
	v_or_b32_e32 v68, v68, v74
	v_cmp_gt_i32_e32 vcc_lo, 32, v70
	s_delay_alu instid0(VALU_DEP_2)
	v_or_b32_e32 v71, 4, v68
	v_or_b32_e32 v72, 6, v68
	v_cmp_gt_i32_e64 s2, s17, v68
	v_or_b32_e32 v108, 8, v68
	v_wmma_f32_16x16x16_bf16 v[124:131], v[84:91], v[76:83], v[124:131]
	v_cndmask_b32_e32 v69, v69, v70, vcc_lo
	v_or_b32_e32 v70, 2, v68
	v_wmma_f32_16x16x16_bf16 v[100:107], v[92:99], v[76:83], v[100:107]
	v_or_b32_e32 v109, 10, v68
	v_dual_mul_f32 v80, s18, v129 :: v_dual_mul_f32 v81, s18, v128
	v_dual_mul_f32 v92, s18, v125 :: v_dual_mul_f32 v93, s18, v124
	s_delay_alu instid0(VALU_DEP_4)
	v_mul_f32_e32 v96, s18, v105
	v_cmp_gt_i32_e32 vcc_lo, s17, v70
	v_or_b32_e32 v89, 22, v68
	v_dual_mul_f32 v79, s18, v130 :: v_dual_mul_f32 v82, s18, v127
	v_dual_mul_f32 v83, s18, v126 :: v_dual_mul_f32 v94, s18, v107
	v_cndmask_b32_e64 v93, 0xff7fffff, v93, s2
	v_cndmask_b32_e32 v92, 0xff7fffff, v92, vcc_lo
	v_cmp_gt_i32_e64 s3, s17, v71
	v_cmp_gt_i32_e64 s4, s17, v72
	v_or_b32_e32 v84, 12, v68
	v_or_b32_e32 v85, 14, v68
	v_cmp_gt_i32_e64 s5, s17, v108
	v_cndmask_b32_e64 v71, 0xff7fffff, v83, s3
	v_cndmask_b32_e64 v72, 0xff7fffff, v82, s4
	v_cmp_gt_i32_e64 s6, s17, v109
	v_cmp_gt_i32_e64 s12, s17, v89
	v_lshlrev_b32_e32 v89, 2, v69
	v_max3_f32 v82, v93, 0xff7fffff, v92
	v_or_b32_e32 v86, 16, v68
	v_or_b32_e32 v87, 18, v68
	v_mul_f32_e32 v78, s18, v131
	v_cndmask_b32_e64 v81, 0xff7fffff, v81, s5
	v_cndmask_b32_e64 v80, 0xff7fffff, v80, s6
	v_max3_f32 v71, v82, v71, v72
	v_cmp_gt_i32_e64 s7, s17, v84
	v_cmp_gt_i32_e64 s8, s17, v85
	v_or_b32_e32 v88, 20, v68
	v_or_b32_e32 v90, 24, v68
	;; [unrolled: 1-line block ×5, first 2 shown]
	v_dual_mul_f32 v97, s18, v104 :: v_dual_mul_f32 v70, s18, v101
	v_dual_mul_f32 v99, s18, v102 :: v_dual_mul_f32 v68, s18, v100
	v_cndmask_b32_e64 v72, 0xff7fffff, v79, s7
	v_cndmask_b32_e64 v78, 0xff7fffff, v78, s8
	v_max3_f32 v71, v71, v81, v80
	v_cmp_gt_i32_e64 s9, s17, v86
	v_cmp_gt_i32_e64 s10, s17, v87
	v_dual_mul_f32 v95, s18, v106 :: v_dual_mul_f32 v98, s18, v103
	s_delay_alu instid0(VALU_DEP_4) | instskip(NEXT) | instid1(VALU_DEP_4)
	v_max3_f32 v71, v71, v72, v78
	v_cndmask_b32_e64 v68, 0xff7fffff, v68, s9
	s_delay_alu instid0(VALU_DEP_4)
	v_cndmask_b32_e64 v70, 0xff7fffff, v70, s10
	v_cmp_gt_i32_e64 s11, s17, v88
	v_cndmask_b32_e64 v78, 0xff7fffff, v98, s12
	v_cmp_gt_i32_e64 s13, s17, v90
	v_cmp_gt_i32_e64 s15, s17, v91
	v_max3_f32 v68, v71, v68, v70
	v_cndmask_b32_e64 v72, 0xff7fffff, v99, s11
	v_cmp_gt_i32_e64 s16, s17, v76
	v_cndmask_b32_e64 v70, 0xff7fffff, v97, s13
	v_cndmask_b32_e64 v71, 0xff7fffff, v96, s15
	v_cmp_gt_i32_e64 s17, s17, v77
	v_max3_f32 v68, v68, v72, v78
	v_cndmask_b32_e64 v72, 0xff7fffff, v95, s16
	s_delay_alu instid0(VALU_DEP_3) | instskip(NEXT) | instid1(VALU_DEP_3)
	v_cndmask_b32_e64 v76, 0xff7fffff, v94, s17
	v_max3_f32 v68, v68, v70, v71
	s_delay_alu instid0(VALU_DEP_1) | instskip(SKIP_3) | instid1(VALU_DEP_1)
	v_max3_f32 v68, v68, v72, v76
	ds_bpermute_b32 v69, v89, v68
	s_waitcnt lgkmcnt(0)
	v_max_f32_e32 v69, v69, v69
	v_max_f32_e32 v68, v68, v69
	s_delay_alu instid0(VALU_DEP_1) | instskip(NEXT) | instid1(VALU_DEP_1)
	v_fma_f32 v71, s18, v126, -v68
	v_mul_f32_e32 v71, 0x3fb8aa3b, v71
	v_fma_f32 v70, s18, v125, -v68
	v_fma_f32 v69, s18, v124, -v68
	;; [unrolled: 1-line block ×5, first 2 shown]
	s_delay_alu instid0(VALU_DEP_4) | instskip(SKIP_1) | instid1(VALU_DEP_3)
	v_dual_mul_f32 v70, 0x3fb8aa3b, v70 :: v_dual_mul_f32 v69, 0x3fb8aa3b, v69
	v_exp_f32_e32 v71, v71
	v_mul_f32_e32 v72, 0x3fb8aa3b, v72
	v_fma_f32 v81, s18, v105, -v68
	s_delay_alu instid0(VALU_DEP_3)
	v_exp_f32_e32 v70, v70
	v_mul_f32_e32 v77, 0x3fb8aa3b, v76
	v_exp_f32_e32 v69, v69
	v_exp_f32_e32 v72, v72
	v_mul_f32_e32 v81, 0x3fb8aa3b, v81
	v_cndmask_b32_e64 v83, 0, v71, s3
	v_fma_f32 v71, s18, v131, -v68
	s_delay_alu instid0(VALU_DEP_3) | instskip(SKIP_4) | instid1(TRANS32_DEP_3)
	v_exp_f32_e32 v81, v81
	v_cndmask_b32_e32 v76, 0, v70, vcc_lo
	v_exp_f32_e32 v77, v77
	v_cndmask_b32_e64 v80, 0, v69, s2
	v_fma_f32 v69, s18, v129, -v68
	v_cndmask_b32_e64 v85, 0, v72, s4
	v_mul_f32_e32 v71, 0x3fb8aa3b, v71
	v_fma_f32 v72, s18, v100, -v68
	s_delay_alu instid0(VALU_DEP_4) | instskip(SKIP_1) | instid1(VALU_DEP_3)
	v_dual_add_f32 v70, 0, v80 :: v_dual_mul_f32 v69, 0x3fb8aa3b, v69
	s_mov_b32 s2, exec_lo
	v_exp_f32_e32 v71, v71
	s_delay_alu instid0(TRANS32_DEP_2) | instskip(SKIP_4) | instid1(VALU_DEP_3)
	v_cndmask_b32_e64 v86, 0, v77, s5
	v_fma_f32 v77, s18, v101, -v68
	v_mul_f32_e32 v78, 0x3fb8aa3b, v78
	v_add_f32_e32 v70, v70, v76
	v_exp_f32_e32 v69, v69
	v_mul_f32_e32 v77, 0x3fb8aa3b, v77
	s_delay_alu instid0(VALU_DEP_3) | instskip(NEXT) | instid1(TRANS32_DEP_3)
	v_exp_f32_e32 v78, v78
	v_cndmask_b32_e64 v88, 0, v71, s8
	v_fma_f32 v71, s18, v104, -v68
	s_delay_alu instid0(VALU_DEP_3) | instskip(NEXT) | instid1(TRANS32_DEP_3)
	v_exp_f32_e32 v77, v77
	v_cndmask_b32_e64 v87, 0, v69, s6
	s_delay_alu instid0(VALU_DEP_2)
	v_mul_f32_e32 v71, 0x3fb8aa3b, v71
	s_waitcnt_depctr 0xfff
	v_cndmask_b32_e64 v84, 0, v78, s7
	v_add_f32_e32 v70, v70, v83
	v_fma_f32 v78, s18, v103, -v68
	v_exp_f32_e32 v82, v71
	s_delay_alu instid0(VALU_DEP_2) | instskip(SKIP_1) | instid1(VALU_DEP_3)
	v_add_f32_e32 v70, v70, v85
	v_mul_f32_e32 v72, 0x3fb8aa3b, v72
	v_mul_f32_e32 v78, 0x3fb8aa3b, v78
	s_delay_alu instid0(VALU_DEP_3) | instskip(SKIP_1) | instid1(VALU_DEP_4)
	v_add_f32_e32 v69, v70, v86
	v_fma_f32 v70, s18, v102, -v68
	v_exp_f32_e32 v72, v72
	s_delay_alu instid0(VALU_DEP_3) | instskip(NEXT) | instid1(VALU_DEP_1)
	v_exp_f32_e32 v78, v78
	v_dual_add_f32 v69, v69, v87 :: v_dual_mul_f32 v70, 0x3fb8aa3b, v70
	s_delay_alu instid0(VALU_DEP_1) | instskip(NEXT) | instid1(VALU_DEP_2)
	v_add_f32_e32 v69, v69, v84
	v_exp_f32_e32 v79, v70
	s_delay_alu instid0(TRANS32_DEP_3) | instskip(NEXT) | instid1(VALU_DEP_2)
	v_cndmask_b32_e64 v70, 0, v72, s9
	v_add_f32_e32 v72, v69, v88
	v_cndmask_b32_e64 v69, 0, v77, s10
	v_fma_f32 v77, s18, v106, -v68
	s_waitcnt_depctr 0xfff
	v_cndmask_b32_e64 v71, 0, v79, s11
	v_dual_mul_f32 v77, 0x3fb8aa3b, v77 :: v_dual_add_f32 v72, v72, v70
	s_delay_alu instid0(VALU_DEP_1) | instskip(NEXT) | instid1(VALU_DEP_1)
	v_exp_f32_e32 v90, v77
	v_add_f32_e32 v79, v72, v69
	v_cndmask_b32_e64 v72, 0, v78, s12
	v_cndmask_b32_e64 v77, 0, v82, s13
	s_delay_alu instid0(VALU_DEP_3) | instskip(SKIP_1) | instid1(VALU_DEP_1)
	v_add_f32_e32 v78, v79, v71
	v_fma_f32 v79, s18, v107, -v68
	v_dual_add_f32 v82, v78, v72 :: v_dual_mul_f32 v79, 0x3fb8aa3b, v79
	v_cndmask_b32_e64 v78, 0, v81, s15
	s_delay_alu instid0(VALU_DEP_2) | instskip(NEXT) | instid1(VALU_DEP_3)
	v_add_f32_e32 v81, v82, v77
	v_exp_f32_e32 v82, v79
	v_cndmask_b32_e64 v79, 0, v90, s16
	s_delay_alu instid0(VALU_DEP_2) | instskip(NEXT) | instid1(VALU_DEP_1)
	v_add_f32_e32 v81, v81, v78
	v_add_f32_e32 v90, v81, v79
	s_waitcnt_depctr 0xfff
	v_cndmask_b32_e64 v81, 0, v82, s17
	s_delay_alu instid0(VALU_DEP_1)
	v_add_f32_e32 v82, v90, v81
	ds_bpermute_b32 v89, v89, v82
	v_cmpx_gt_u32_e32 16, v67
	s_cbranch_execz .LBB1863_12
; %bb.11:
	v_mul_u32_u24_e32 v67, 0x44, v66
	s_delay_alu instid0(VALU_DEP_1) | instskip(SKIP_1) | instid1(VALU_DEP_1)
	v_lshl_add_u32 v67, v65, 2, v67
	s_waitcnt lgkmcnt(0)
	v_dual_add_f32 v82, v82, v89 :: v_dual_add_nc_u32 v67, 0x4000, v67
	ds_store_2addr_b32 v67, v68, v82 offset1:136
.LBB1863_12:
	s_or_b32 exec_lo, exec_lo, s2
	v_lshlrev_b32_e32 v67, 2, v65
	s_waitcnt lgkmcnt(0)
	s_barrier
	buffer_gl0_inv
	v_cmp_eq_u32_e32 vcc_lo, 1, v66
	v_add_nc_u32_e32 v82, 0x4000, v67
	v_cmp_eq_u32_e64 s2, 2, v66
	v_cmp_eq_u32_e64 s4, 7, v66
	ds_load_2addr_b32 v[89:90], v82 offset1:17
	ds_load_2addr_b32 v[91:92], v82 offset0:34 offset1:51
	ds_load_2addr_b32 v[93:94], v82 offset0:68 offset1:85
	;; [unrolled: 1-line block ×4, first 2 shown]
	s_waitcnt lgkmcnt(4)
	v_max3_f32 v67, v89, 0xff7fffff, v90
	s_waitcnt lgkmcnt(3)
	s_delay_alu instid0(VALU_DEP_1) | instskip(SKIP_1) | instid1(VALU_DEP_1)
	v_max3_f32 v67, v67, v91, v92
	s_waitcnt lgkmcnt(2)
	v_max3_f32 v67, v67, v93, v94
	s_waitcnt lgkmcnt(1)
	s_delay_alu instid0(VALU_DEP_1) | instskip(NEXT) | instid1(VALU_DEP_1)
	v_max3_f32 v67, v67, v95, v96
	v_sub_f32_e32 v93, v93, v67
	s_delay_alu instid0(VALU_DEP_1) | instskip(NEXT) | instid1(VALU_DEP_1)
	v_dual_sub_f32 v68, v89, v67 :: v_dual_mul_f32 v103, 0x3fb8aa3b, v93
	v_mul_f32_e32 v68, 0x3fb8aa3b, v68
	s_delay_alu instid0(VALU_DEP_1)
	v_exp_f32_e32 v100, v68
	v_sub_f32_e32 v68, v92, v67
	v_sub_f32_e32 v99, v90, v67
	ds_load_2addr_b32 v[89:90], v82 offset0:170 offset1:187
	v_dual_mul_f32 v102, 0x3fb8aa3b, v68 :: v_dual_mul_f32 v99, 0x3fb8aa3b, v99
	s_waitcnt lgkmcnt(1)
	v_fma_f32 v68, v100, v97, 0
	s_delay_alu instid0(VALU_DEP_2) | instskip(NEXT) | instid1(VALU_DEP_2)
	v_exp_f32_e32 v102, v102
	v_exp_f32_e32 v99, v99
	s_waitcnt_depctr 0xfff
	v_fmac_f32_e32 v68, v99, v98
	v_sub_f32_e32 v91, v91, v67
	s_delay_alu instid0(VALU_DEP_1)
	v_mul_f32_e32 v101, 0x3fb8aa3b, v91
	ds_load_2addr_b32 v[91:92], v82 offset0:204 offset1:221
	v_sub_f32_e32 v97, v94, v67
	ds_load_2addr_b32 v[93:94], v82 offset0:238 offset1:255
	s_waitcnt lgkmcnt(0)
	v_exp_f32_e32 v101, v101
	s_barrier
	buffer_gl0_inv
	v_dual_fmac_f32 v68, v101, v89 :: v_dual_sub_f32 v89, v96, v67
	v_dual_sub_f32 v82, v95, v67 :: v_dual_mul_f32 v95, 0x3fb8aa3b, v97
	v_exp_f32_e32 v97, v103
	s_delay_alu instid0(VALU_DEP_2) | instskip(NEXT) | instid1(VALU_DEP_2)
	v_dual_fmac_f32 v68, v102, v90 :: v_dual_mul_f32 v89, 0x3fb8aa3b, v89
	v_mul_f32_e32 v82, 0x3fb8aa3b, v82
	s_delay_alu instid0(VALU_DEP_3) | instskip(NEXT) | instid1(VALU_DEP_2)
	v_exp_f32_e32 v95, v95
	v_exp_f32_e32 v89, v89
	s_delay_alu instid0(VALU_DEP_1)
	v_exp_f32_e32 v82, v82
	v_fmac_f32_e32 v68, v97, v91
	s_delay_alu instid0(TRANS32_DEP_3) | instid1(VALU_DEP_1)
	v_fmac_f32_e32 v68, v95, v92
	s_waitcnt_depctr 0xfff
	v_fmac_f32_e32 v68, v82, v93
	s_delay_alu instid0(VALU_DEP_1) | instskip(NEXT) | instid1(VALU_DEP_1)
	v_fmac_f32_e32 v68, v89, v94
	v_add_f32_e32 v90, 0x358637bd, v68
	s_delay_alu instid0(VALU_DEP_1) | instskip(NEXT) | instid1(VALU_DEP_1)
	v_div_scale_f32 v91, null, v90, v90, 1.0
	v_rcp_f32_e32 v92, v91
	s_waitcnt_depctr 0xfff
	v_fma_f32 v93, -v91, v92, 1.0
	s_delay_alu instid0(VALU_DEP_1) | instskip(SKIP_1) | instid1(VALU_DEP_2)
	v_dual_fmac_f32 v92, v93, v92 :: v_dual_cndmask_b32 v93, v100, v99
	v_cmp_eq_u32_e32 vcc_lo, 3, v66
	v_cndmask_b32_e64 v93, v93, v101, s2
	v_cmp_eq_u32_e64 s2, 4, v66
	s_delay_alu instid0(VALU_DEP_2) | instskip(SKIP_1) | instid1(VALU_DEP_2)
	v_cndmask_b32_e32 v93, v93, v102, vcc_lo
	v_cmp_eq_u32_e32 vcc_lo, 5, v66
	v_cndmask_b32_e64 v93, v93, v97, s2
	v_cmp_eq_u32_e64 s2, 6, v66
	s_delay_alu instid0(VALU_DEP_2) | instskip(SKIP_1) | instid1(VALU_DEP_1)
	v_cndmask_b32_e32 v93, v93, v95, vcc_lo
	v_div_scale_f32 v94, s3, 1.0, v90, 1.0
	s_mov_b32 vcc_lo, s3
	s_delay_alu instid0(VALU_DEP_2) | instskip(NEXT) | instid1(VALU_DEP_2)
	v_cndmask_b32_e64 v82, v93, v82, s2
	v_mul_f32_e32 v96, v94, v92
	s_mov_b32 s2, exec_lo
	s_delay_alu instid0(VALU_DEP_2) | instskip(NEXT) | instid1(VALU_DEP_2)
	v_cndmask_b32_e64 v82, v82, v89, s4
	v_fma_f32 v98, -v91, v96, v94
	s_delay_alu instid0(VALU_DEP_1) | instskip(NEXT) | instid1(VALU_DEP_1)
	v_fmac_f32_e32 v96, v98, v92
	v_fma_f32 v91, -v91, v96, v94
	s_delay_alu instid0(VALU_DEP_1) | instskip(NEXT) | instid1(VALU_DEP_1)
	v_div_fmas_f32 v91, v91, v92, v96
	v_div_fixup_f32 v90, v91, v90, 1.0
	s_delay_alu instid0(VALU_DEP_1) | instskip(NEXT) | instid1(VALU_DEP_1)
	v_mul_f32_e32 v82, v82, v90
	v_mul_f32_e32 v87, v82, v87
	;; [unrolled: 1-line block ×7, first 2 shown]
	v_dual_mul_f32 v86, v82, v83 :: v_dual_and_b32 v91, 0x7f800000, v90
	v_mul_f32_e32 v85, v82, v76
                                        ; implicit-def: $vgpr76
	s_delay_alu instid0(VALU_DEP_2)
	v_cmpx_ne_u32_e32 0x7f800000, v91
	s_xor_b32 s2, exec_lo, s2
; %bb.13:
	v_bfe_u32 v76, v90, 16, 1
	s_delay_alu instid0(VALU_DEP_1)
	v_add3_u32 v76, v90, v76, 0x7fff
                                        ; implicit-def: $vgpr90
; %bb.14:
	s_and_not1_saveexec_b32 s2, s2
; %bb.15:
	v_and_b32_e32 v76, 0xffff, v90
	v_or_b32_e32 v83, 0x10000, v90
	s_delay_alu instid0(VALU_DEP_2) | instskip(NEXT) | instid1(VALU_DEP_2)
	v_cmp_eq_u32_e32 vcc_lo, 0, v76
	v_cndmask_b32_e32 v76, v83, v90, vcc_lo
; %bb.16:
	s_or_b32 exec_lo, exec_lo, s2
	v_and_b32_e32 v83, 0x7f800000, v85
	s_delay_alu instid0(VALU_DEP_1) | instskip(SKIP_1) | instid1(SALU_CYCLE_1)
	v_cmp_ne_u32_e32 vcc_lo, 0x7f800000, v83
                                        ; implicit-def: $vgpr83
	s_and_saveexec_b32 s2, vcc_lo
	s_xor_b32 s2, exec_lo, s2
; %bb.17:
	v_bfe_u32 v83, v85, 16, 1
	s_delay_alu instid0(VALU_DEP_1)
	v_add3_u32 v83, v85, v83, 0x7fff
                                        ; implicit-def: $vgpr85
; %bb.18:
	s_and_not1_saveexec_b32 s2, s2
; %bb.19:
	v_and_b32_e32 v83, 0xffff, v85
	v_or_b32_e32 v90, 0x10000, v85
	s_delay_alu instid0(VALU_DEP_2) | instskip(NEXT) | instid1(VALU_DEP_2)
	v_cmp_eq_u32_e32 vcc_lo, 0, v83
	v_cndmask_b32_e32 v83, v90, v85, vcc_lo
; %bb.20:
	s_or_b32 exec_lo, exec_lo, s2
	v_and_b32_e32 v85, 0x7f800000, v86
	s_delay_alu instid0(VALU_DEP_1) | instskip(SKIP_1) | instid1(SALU_CYCLE_1)
	v_cmp_ne_u32_e32 vcc_lo, 0x7f800000, v85
                                        ; implicit-def: $vgpr85
	s_and_saveexec_b32 s2, vcc_lo
	s_xor_b32 s2, exec_lo, s2
; %bb.21:
	v_bfe_u32 v85, v86, 16, 1
	s_delay_alu instid0(VALU_DEP_1)
	v_add3_u32 v85, v86, v85, 0x7fff
                                        ; implicit-def: $vgpr86
; %bb.22:
	s_and_not1_saveexec_b32 s2, s2
; %bb.23:
	v_and_b32_e32 v85, 0xffff, v86
	v_or_b32_e32 v90, 0x10000, v86
	s_delay_alu instid0(VALU_DEP_2) | instskip(NEXT) | instid1(VALU_DEP_2)
	v_cmp_eq_u32_e32 vcc_lo, 0, v85
	v_cndmask_b32_e32 v85, v90, v86, vcc_lo
; %bb.24:
	s_or_b32 exec_lo, exec_lo, s2
	v_and_b32_e32 v86, 0x7f800000, v89
	s_delay_alu instid0(VALU_DEP_1) | instskip(SKIP_1) | instid1(SALU_CYCLE_1)
	v_cmp_ne_u32_e32 vcc_lo, 0x7f800000, v86
                                        ; implicit-def: $vgpr86
	s_and_saveexec_b32 s2, vcc_lo
	s_xor_b32 s2, exec_lo, s2
; %bb.25:
	v_bfe_u32 v86, v89, 16, 1
	s_delay_alu instid0(VALU_DEP_1)
	v_add3_u32 v86, v89, v86, 0x7fff
                                        ; implicit-def: $vgpr89
; %bb.26:
	s_and_not1_saveexec_b32 s2, s2
; %bb.27:
	v_and_b32_e32 v86, 0xffff, v89
	v_or_b32_e32 v90, 0x10000, v89
	s_delay_alu instid0(VALU_DEP_2) | instskip(NEXT) | instid1(VALU_DEP_2)
	v_cmp_eq_u32_e32 vcc_lo, 0, v86
	v_cndmask_b32_e32 v86, v90, v89, vcc_lo
; %bb.28:
	s_or_b32 exec_lo, exec_lo, s2
	v_and_b32_e32 v89, 0x7f800000, v88
	s_delay_alu instid0(VALU_DEP_1) | instskip(SKIP_1) | instid1(SALU_CYCLE_1)
	v_cmp_ne_u32_e32 vcc_lo, 0x7f800000, v89
                                        ; implicit-def: $vgpr89
	s_and_saveexec_b32 s2, vcc_lo
	s_xor_b32 s2, exec_lo, s2
; %bb.29:
	v_bfe_u32 v89, v88, 16, 1
	s_delay_alu instid0(VALU_DEP_1)
	v_add3_u32 v89, v88, v89, 0x7fff
                                        ; implicit-def: $vgpr88
; %bb.30:
	s_and_not1_saveexec_b32 s2, s2
; %bb.31:
	v_and_b32_e32 v89, 0xffff, v88
	v_or_b32_e32 v90, 0x10000, v88
	s_delay_alu instid0(VALU_DEP_2) | instskip(NEXT) | instid1(VALU_DEP_2)
	v_cmp_eq_u32_e32 vcc_lo, 0, v89
	v_cndmask_b32_e32 v89, v90, v88, vcc_lo
; %bb.32:
	s_or_b32 exec_lo, exec_lo, s2
	v_and_b32_e32 v88, 0x7f800000, v87
	s_delay_alu instid0(VALU_DEP_1) | instskip(SKIP_1) | instid1(SALU_CYCLE_1)
	v_cmp_ne_u32_e32 vcc_lo, 0x7f800000, v88
                                        ; implicit-def: $vgpr88
	s_and_saveexec_b32 s2, vcc_lo
	s_xor_b32 s2, exec_lo, s2
; %bb.33:
	v_bfe_u32 v88, v87, 16, 1
	s_delay_alu instid0(VALU_DEP_1)
	v_add3_u32 v88, v87, v88, 0x7fff
                                        ; implicit-def: $vgpr87
; %bb.34:
	s_and_not1_saveexec_b32 s2, s2
; %bb.35:
	v_and_b32_e32 v88, 0xffff, v87
	v_or_b32_e32 v90, 0x10000, v87
	s_delay_alu instid0(VALU_DEP_2) | instskip(NEXT) | instid1(VALU_DEP_2)
	v_cmp_eq_u32_e32 vcc_lo, 0, v88
	v_cndmask_b32_e32 v88, v90, v87, vcc_lo
; %bb.36:
	s_or_b32 exec_lo, exec_lo, s2
	v_and_b32_e32 v87, 0x7f800000, v84
	s_delay_alu instid0(VALU_DEP_1) | instskip(SKIP_1) | instid1(SALU_CYCLE_1)
	v_cmp_ne_u32_e32 vcc_lo, 0x7f800000, v87
                                        ; implicit-def: $vgpr87
	s_and_saveexec_b32 s2, vcc_lo
	s_xor_b32 s2, exec_lo, s2
; %bb.37:
	v_bfe_u32 v87, v84, 16, 1
	s_delay_alu instid0(VALU_DEP_1)
	v_add3_u32 v87, v84, v87, 0x7fff
                                        ; implicit-def: $vgpr84
; %bb.38:
	s_and_not1_saveexec_b32 s2, s2
; %bb.39:
	v_and_b32_e32 v87, 0xffff, v84
	v_or_b32_e32 v90, 0x10000, v84
	s_delay_alu instid0(VALU_DEP_2) | instskip(NEXT) | instid1(VALU_DEP_2)
	v_cmp_eq_u32_e32 vcc_lo, 0, v87
	v_cndmask_b32_e32 v87, v90, v84, vcc_lo
; %bb.40:
	s_or_b32 exec_lo, exec_lo, s2
	v_and_b32_e32 v84, 0x7f800000, v80
	s_delay_alu instid0(VALU_DEP_1) | instskip(SKIP_1) | instid1(SALU_CYCLE_1)
	v_cmp_ne_u32_e32 vcc_lo, 0x7f800000, v84
                                        ; implicit-def: $vgpr84
	s_and_saveexec_b32 s2, vcc_lo
	s_xor_b32 s2, exec_lo, s2
; %bb.41:
	v_bfe_u32 v84, v80, 16, 1
	s_delay_alu instid0(VALU_DEP_1)
	v_add3_u32 v84, v80, v84, 0x7fff
                                        ; implicit-def: $vgpr80
; %bb.42:
	s_and_not1_saveexec_b32 s2, s2
; %bb.43:
	v_and_b32_e32 v84, 0xffff, v80
	v_or_b32_e32 v90, 0x10000, v80
	s_delay_alu instid0(VALU_DEP_2) | instskip(NEXT) | instid1(VALU_DEP_2)
	v_cmp_eq_u32_e32 vcc_lo, 0, v84
	v_cndmask_b32_e32 v84, v90, v80, vcc_lo
; %bb.44:
	s_or_b32 exec_lo, exec_lo, s2
	s_load_b64 s[34:35], s[0:1], 0x94
	v_lshlrev_b32_e32 v91, 4, v74
	s_delay_alu instid0(VALU_DEP_2)
	v_perm_b32 v90, v84, v87, 0x7060302
	v_dual_mul_f32 v79, v82, v79 :: v_dual_lshlrev_b32 v80, 6, v65
	v_dual_mul_f32 v77, v82, v77 :: v_dual_lshlrev_b32 v92, 11, v66
	v_mul_f32_e32 v84, v82, v70
	v_perm_b32 v89, v88, v89, 0x7060302
	v_perm_b32 v88, v86, v85, 0x7060302
	;; [unrolled: 1-line block ×3, first 2 shown]
	v_mul_f32_e32 v70, v82, v81
	v_or3_b32 v76, v91, v92, v80
	v_dual_mul_f32 v78, v82, v78 :: v_dual_and_b32 v85, 0x7f800000, v84
	v_mul_f32_e32 v83, v82, v72
	v_mul_f32_e32 v81, v82, v71
	;; [unrolled: 1-line block ×3, first 2 shown]
	s_mov_b32 s2, exec_lo
	ds_store_b128 v76, v[87:90]
                                        ; implicit-def: $vgpr69
	v_cmpx_ne_u32_e32 0x7f800000, v85
	s_xor_b32 s2, exec_lo, s2
; %bb.45:
	v_bfe_u32 v69, v84, 16, 1
	s_delay_alu instid0(VALU_DEP_1)
	v_add3_u32 v69, v84, v69, 0x7fff
                                        ; implicit-def: $vgpr84
; %bb.46:
	s_and_not1_saveexec_b32 s2, s2
; %bb.47:
	v_and_b32_e32 v69, 0xffff, v84
	v_or_b32_e32 v71, 0x10000, v84
	s_delay_alu instid0(VALU_DEP_2) | instskip(NEXT) | instid1(VALU_DEP_2)
	v_cmp_eq_u32_e32 vcc_lo, 0, v69
	v_cndmask_b32_e32 v69, v71, v84, vcc_lo
; %bb.48:
	s_or_b32 exec_lo, exec_lo, s2
	v_and_b32_e32 v71, 0x7f800000, v72
	s_delay_alu instid0(VALU_DEP_1) | instskip(SKIP_1) | instid1(SALU_CYCLE_1)
	v_cmp_ne_u32_e32 vcc_lo, 0x7f800000, v71
                                        ; implicit-def: $vgpr71
	s_and_saveexec_b32 s2, vcc_lo
	s_xor_b32 s2, exec_lo, s2
; %bb.49:
	v_bfe_u32 v71, v72, 16, 1
	s_delay_alu instid0(VALU_DEP_1)
	v_add3_u32 v71, v72, v71, 0x7fff
                                        ; implicit-def: $vgpr72
; %bb.50:
	s_and_not1_saveexec_b32 s2, s2
; %bb.51:
	v_and_b32_e32 v71, 0xffff, v72
	v_or_b32_e32 v82, 0x10000, v72
	s_delay_alu instid0(VALU_DEP_2) | instskip(NEXT) | instid1(VALU_DEP_2)
	v_cmp_eq_u32_e32 vcc_lo, 0, v71
	v_cndmask_b32_e32 v71, v82, v72, vcc_lo
; %bb.52:
	s_or_b32 exec_lo, exec_lo, s2
	v_and_b32_e32 v72, 0x7f800000, v81
	s_delay_alu instid0(VALU_DEP_1) | instskip(SKIP_1) | instid1(SALU_CYCLE_1)
	v_cmp_ne_u32_e32 vcc_lo, 0x7f800000, v72
                                        ; implicit-def: $vgpr72
	s_and_saveexec_b32 s2, vcc_lo
	s_xor_b32 s2, exec_lo, s2
; %bb.53:
	v_bfe_u32 v72, v81, 16, 1
	s_delay_alu instid0(VALU_DEP_1)
	v_add3_u32 v72, v81, v72, 0x7fff
                                        ; implicit-def: $vgpr81
; %bb.54:
	s_and_not1_saveexec_b32 s2, s2
; %bb.55:
	v_and_b32_e32 v72, 0xffff, v81
	v_or_b32_e32 v82, 0x10000, v81
	s_delay_alu instid0(VALU_DEP_2) | instskip(NEXT) | instid1(VALU_DEP_2)
	v_cmp_eq_u32_e32 vcc_lo, 0, v72
	v_cndmask_b32_e32 v72, v82, v81, vcc_lo
; %bb.56:
	s_or_b32 exec_lo, exec_lo, s2
	v_and_b32_e32 v81, 0x7f800000, v83
	s_delay_alu instid0(VALU_DEP_1) | instskip(SKIP_1) | instid1(SALU_CYCLE_1)
	v_cmp_ne_u32_e32 vcc_lo, 0x7f800000, v81
                                        ; implicit-def: $vgpr81
	s_and_saveexec_b32 s2, vcc_lo
	s_xor_b32 s2, exec_lo, s2
; %bb.57:
	v_bfe_u32 v81, v83, 16, 1
	s_delay_alu instid0(VALU_DEP_1)
	v_add3_u32 v81, v83, v81, 0x7fff
                                        ; implicit-def: $vgpr83
; %bb.58:
	s_and_not1_saveexec_b32 s2, s2
; %bb.59:
	v_and_b32_e32 v81, 0xffff, v83
	v_or_b32_e32 v82, 0x10000, v83
	s_delay_alu instid0(VALU_DEP_2) | instskip(NEXT) | instid1(VALU_DEP_2)
	v_cmp_eq_u32_e32 vcc_lo, 0, v81
	v_cndmask_b32_e32 v81, v82, v83, vcc_lo
; %bb.60:
	s_or_b32 exec_lo, exec_lo, s2
	v_and_b32_e32 v82, 0x7f800000, v77
	s_delay_alu instid0(VALU_DEP_1) | instskip(SKIP_1) | instid1(SALU_CYCLE_1)
	v_cmp_ne_u32_e32 vcc_lo, 0x7f800000, v82
                                        ; implicit-def: $vgpr82
	s_and_saveexec_b32 s2, vcc_lo
	s_xor_b32 s2, exec_lo, s2
; %bb.61:
	v_bfe_u32 v82, v77, 16, 1
	s_delay_alu instid0(VALU_DEP_1)
	v_add3_u32 v82, v77, v82, 0x7fff
                                        ; implicit-def: $vgpr77
; %bb.62:
	s_and_not1_saveexec_b32 s2, s2
; %bb.63:
	v_and_b32_e32 v82, 0xffff, v77
	v_or_b32_e32 v83, 0x10000, v77
	s_delay_alu instid0(VALU_DEP_2) | instskip(NEXT) | instid1(VALU_DEP_2)
	v_cmp_eq_u32_e32 vcc_lo, 0, v82
	v_cndmask_b32_e32 v82, v83, v77, vcc_lo
; %bb.64:
	s_or_b32 exec_lo, exec_lo, s2
	v_and_b32_e32 v77, 0x7f800000, v78
	s_delay_alu instid0(VALU_DEP_1) | instskip(SKIP_1) | instid1(SALU_CYCLE_1)
	v_cmp_ne_u32_e32 vcc_lo, 0x7f800000, v77
                                        ; implicit-def: $vgpr77
	s_and_saveexec_b32 s2, vcc_lo
	s_xor_b32 s2, exec_lo, s2
; %bb.65:
	v_bfe_u32 v77, v78, 16, 1
	s_delay_alu instid0(VALU_DEP_1)
	v_add3_u32 v77, v78, v77, 0x7fff
                                        ; implicit-def: $vgpr78
; %bb.66:
	s_and_not1_saveexec_b32 s2, s2
; %bb.67:
	v_and_b32_e32 v77, 0xffff, v78
	v_or_b32_e32 v83, 0x10000, v78
	s_delay_alu instid0(VALU_DEP_2) | instskip(NEXT) | instid1(VALU_DEP_2)
	v_cmp_eq_u32_e32 vcc_lo, 0, v77
	v_cndmask_b32_e32 v77, v83, v78, vcc_lo
; %bb.68:
	s_or_b32 exec_lo, exec_lo, s2
	v_and_b32_e32 v78, 0x7f800000, v79
	s_delay_alu instid0(VALU_DEP_1) | instskip(SKIP_1) | instid1(SALU_CYCLE_1)
	v_cmp_ne_u32_e32 vcc_lo, 0x7f800000, v78
                                        ; implicit-def: $vgpr78
	s_and_saveexec_b32 s2, vcc_lo
	s_xor_b32 s2, exec_lo, s2
; %bb.69:
	v_bfe_u32 v78, v79, 16, 1
	s_delay_alu instid0(VALU_DEP_1)
	v_add3_u32 v78, v79, v78, 0x7fff
                                        ; implicit-def: $vgpr79
; %bb.70:
	s_and_not1_saveexec_b32 s2, s2
; %bb.71:
	v_and_b32_e32 v78, 0xffff, v79
	v_or_b32_e32 v83, 0x10000, v79
	s_delay_alu instid0(VALU_DEP_2) | instskip(NEXT) | instid1(VALU_DEP_2)
	v_cmp_eq_u32_e32 vcc_lo, 0, v78
	v_cndmask_b32_e32 v78, v83, v79, vcc_lo
; %bb.72:
	s_or_b32 exec_lo, exec_lo, s2
	v_and_b32_e32 v79, 0x7f800000, v70
	s_delay_alu instid0(VALU_DEP_1) | instskip(SKIP_1) | instid1(SALU_CYCLE_1)
	v_cmp_ne_u32_e32 vcc_lo, 0x7f800000, v79
                                        ; implicit-def: $vgpr79
	s_and_saveexec_b32 s2, vcc_lo
	s_xor_b32 s2, exec_lo, s2
; %bb.73:
	v_bfe_u32 v79, v70, 16, 1
	s_delay_alu instid0(VALU_DEP_1)
	v_add3_u32 v79, v70, v79, 0x7fff
                                        ; implicit-def: $vgpr70
; %bb.74:
	s_and_not1_saveexec_b32 s2, s2
; %bb.75:
	v_and_b32_e32 v79, 0xffff, v70
	v_or_b32_e32 v83, 0x10000, v70
	s_delay_alu instid0(VALU_DEP_2) | instskip(NEXT) | instid1(VALU_DEP_2)
	v_cmp_eq_u32_e32 vcc_lo, 0, v79
	v_cndmask_b32_e32 v79, v83, v70, vcc_lo
; %bb.76:
	s_or_b32 exec_lo, exec_lo, s2
	s_delay_alu instid0(VALU_DEP_1)
	v_perm_b32 v86, v79, v78, 0x7060302
	v_perm_b32 v85, v77, v82, 0x7060302
	;; [unrolled: 1-line block ×4, first 2 shown]
	v_lshl_or_b32 v82, v66, 11, v80
	ds_store_b128 v76, v[83:86] offset:1024
	s_waitcnt lgkmcnt(0)
	s_barrier
	buffer_gl0_inv
	ds_load_b128 v[69:72], v82
	ds_load_b128 v[83:86], v82 offset:16
	s_waitcnt lgkmcnt(1)
	v_lshrrev_b32_e32 v66, 16, v69
	s_waitcnt lgkmcnt(0)
	v_lshrrev_b32_e32 v91, 16, v83
	v_lshlrev_b32_e32 v78, 2, v74
	v_lshrrev_b32_e32 v95, 16, v70
	v_lshrrev_b32_e32 v98, 16, v84
	;; [unrolled: 1-line block ×4, first 2 shown]
	v_cmp_eq_u32_e32 vcc_lo, 1, v78
	v_lshrrev_b32_e32 v97, 16, v72
	v_lshrrev_b32_e32 v100, 16, v86
	v_cndmask_b32_e32 v87, v83, v91, vcc_lo
	v_or_b32_e32 v79, 1, v78
	v_cndmask_b32_e32 v81, v69, v66, vcc_lo
	v_cmp_eq_u32_e64 s3, 2, v78
	v_cmp_eq_u32_e64 s6, 3, v78
	;; [unrolled: 1-line block ×5, first 2 shown]
	v_cndmask_b32_e64 v81, v81, v70, s3
	v_cndmask_b32_e64 v87, v87, v84, s3
	v_cmp_eq_u32_e64 s7, 3, v79
	v_cndmask_b32_e64 v88, v69, v66, s2
	v_or_b32_e32 v77, 2, v78
	v_cndmask_b32_e64 v81, v81, v95, s6
	v_cndmask_b32_e64 v87, v87, v98, s6
	;; [unrolled: 1-line block ×4, first 2 shown]
	v_cmp_eq_u32_e64 s9, 5, v78
	v_cndmask_b32_e64 v81, v81, v71, s8
	v_cndmask_b32_e64 v87, v87, v85, s8
	v_cmp_eq_u32_e64 s10, 4, v79
	v_cndmask_b32_e64 v88, v88, v95, s7
	v_cmp_eq_u32_e64 s4, 1, v77
	v_cndmask_b32_e64 v89, v89, v84, s5
	v_cndmask_b32_e64 v81, v81, v96, s9
	v_cmp_eq_u32_e64 s11, 6, v78
	v_cndmask_b32_e64 v88, v88, v71, s10
	;; [unrolled: 3-line block ×3, first 2 shown]
	v_cndmask_b32_e64 v89, v89, v98, s7
	v_cndmask_b32_e64 v81, v81, v72, s11
	v_cmp_eq_u32_e64 s13, 7, v78
	v_cndmask_b32_e64 v88, v88, v96, s12
	v_cndmask_b32_e64 v87, v87, v86, s11
	v_cmp_eq_u32_e64 s15, 6, v79
	v_cmp_eq_u32_e64 s16, 2, v77
	v_cndmask_b32_e64 v89, v89, v85, s10
	v_cndmask_b32_e64 v101, v81, v97, s13
	v_cndmask_b32_e64 v102, v87, v100, s13
	v_cndmask_b32_e64 v88, v88, v72, s15
	v_cndmask_b32_e64 v81, v90, v70, s16
	v_cndmask_b32_e64 v87, v83, v91, s4
	v_cmp_eq_u32_e64 s17, 7, v79
	v_cmp_eq_u32_e64 s18, 3, v77
	;; [unrolled: 1-line block ×4, first 2 shown]
	v_cndmask_b32_e64 v87, v87, v84, s16
	v_cndmask_b32_e64 v103, v88, v97, s17
	;; [unrolled: 1-line block ×4, first 2 shown]
	v_or_b32_e32 v81, 3, v78
	v_cndmask_b32_e64 v93, v87, v98, s18
	v_cmp_eq_u32_e64 s23, 6, v77
	v_cndmask_b32_e64 v104, v88, v86, s15
	v_cndmask_b32_e64 v92, v89, v71, s19
	v_cmp_eq_u32_e64 s20, 1, v81
	ds_load_b128 v[87:90], v82 offset:1024
	v_cmp_eq_u32_e64 s22, 2, v81
	v_cmp_eq_u32_e64 s24, 3, v81
	v_cndmask_b32_e64 v105, v92, v96, s21
	v_cndmask_b32_e64 v66, v69, v66, s20
	;; [unrolled: 1-line block ×4, first 2 shown]
	ds_load_b128 v[91:94], v82 offset:1040
	v_cmp_eq_u32_e64 s25, 4, v81
	v_cndmask_b32_e64 v66, v66, v70, s22
	v_cmp_eq_u32_e64 s26, 7, v77
	v_cndmask_b32_e64 v70, v83, v84, s22
	v_cndmask_b32_e64 v84, v105, v72, s23
	v_cmp_eq_u32_e64 s27, 5, v81
	v_cndmask_b32_e64 v66, v66, v95, s24
	v_cmp_eq_u32_e64 s28, 6, v81
	v_cndmask_b32_e64 v70, v70, v98, s24
	v_cndmask_b32_e64 v69, v69, v99, s21
	;; [unrolled: 1-line block ×4, first 2 shown]
	s_waitcnt lgkmcnt(1)
	v_lshrrev_b32_e32 v95, 16, v87
	v_cndmask_b32_e64 v70, v70, v85, s25
	v_cndmask_b32_e64 v71, v84, v97, s26
	;; [unrolled: 1-line block ×4, first 2 shown]
	v_cndmask_b32_e32 v84, v87, v95, vcc_lo
	v_cndmask_b32_e64 v70, v70, v99, s27
	s_waitcnt lgkmcnt(0)
	v_lshrrev_b32_e32 v85, 16, v91
	v_lshrrev_b32_e32 v96, 16, v88
	v_cndmask_b32_e64 v98, v87, v95, s2
	v_cndmask_b32_e64 v84, v84, v88, s3
	;; [unrolled: 1-line block ×3, first 2 shown]
	v_cndmask_b32_e32 v99, v91, v85, vcc_lo
	v_cmp_eq_u32_e32 vcc_lo, 7, v81
	v_cndmask_b32_e64 v66, v66, v72, s28
	v_cndmask_b32_e64 v72, v84, v96, s6
	v_cndmask_b32_e64 v84, v98, v88, s5
	v_lshrrev_b32_e32 v98, 16, v92
	v_cndmask_b32_e32 v70, v70, v100, vcc_lo
	v_cndmask_b32_e64 v86, v99, v92, s3
	v_cndmask_b32_e64 v69, v69, v100, s26
	v_lshrrev_b32_e32 v100, 16, v93
	v_cndmask_b32_e64 v72, v72, v89, s8
	v_lshrrev_b32_e32 v99, 16, v89
	v_cndmask_b32_e64 v86, v86, v98, s6
	v_perm_b32 v71, v69, v71, 0x5040100
	v_cndmask_b32_e64 v84, v84, v96, s7
	s_delay_alu instid0(VALU_DEP_3) | instskip(NEXT) | instid1(VALU_DEP_2)
	v_cndmask_b32_e64 v86, v86, v93, s8
	v_cndmask_b32_e64 v84, v84, v89, s10
	s_delay_alu instid0(VALU_DEP_2) | instskip(NEXT) | instid1(VALU_DEP_1)
	v_cndmask_b32_e64 v86, v86, v100, s9
	v_cndmask_b32_e64 v69, v86, v94, s11
	;; [unrolled: 1-line block ×5, first 2 shown]
	s_delay_alu instid0(VALU_DEP_3) | instskip(NEXT) | instid1(VALU_DEP_3)
	v_cndmask_b32_e64 v86, v86, v88, s16
	v_cndmask_b32_e64 v87, v87, v88, s22
	s_delay_alu instid0(VALU_DEP_3) | instskip(NEXT) | instid1(VALU_DEP_3)
	v_cndmask_b32_e64 v88, v95, v92, s22
	v_cndmask_b32_e64 v86, v86, v96, s18
	;; [unrolled: 3-line block ×7, first 2 shown]
	s_delay_alu instid0(VALU_DEP_3) | instskip(SKIP_2) | instid1(VALU_DEP_2)
	v_cndmask_b32_e64 v88, v88, v94, s28
	v_cndmask_b32_e32 v66, v66, v97, vcc_lo
	v_cndmask_b32_e64 v97, v72, v99, s9
	v_perm_b32 v72, v70, v66, 0x5040100
	v_perm_b32 v70, v83, v103, 0x5040100
	v_cndmask_b32_e64 v103, v91, v85, s4
	v_cndmask_b32_e64 v85, v91, v85, s2
	;; [unrolled: 1-line block ×4, first 2 shown]
	v_lshrrev_b32_e32 v97, 16, v90
	v_cndmask_b32_e64 v91, v103, v92, s16
	v_cndmask_b32_e64 v85, v85, v92, s5
	;; [unrolled: 1-line block ×3, first 2 shown]
	s_mov_b32 s2, exec_lo
	v_cndmask_b32_e64 v83, v84, v97, s13
	v_cndmask_b32_e64 v91, v91, v98, s18
	;; [unrolled: 1-line block ×3, first 2 shown]
	v_lshrrev_b32_e32 v84, 16, v94
	v_cndmask_b32_e64 v66, v66, v97, s17
	v_cndmask_b32_e64 v90, v86, v97, s26
	;; [unrolled: 1-line block ×4, first 2 shown]
	v_dual_cndmask_b32 v86, v87, v97 :: v_dual_cndmask_b32 v87, v88, v84
	v_cndmask_b32_e64 v91, v69, v84, s13
	s_delay_alu instid0(VALU_DEP_4) | instskip(NEXT) | instid1(VALU_DEP_4)
	v_cndmask_b32_e64 v89, v89, v100, s21
	v_cndmask_b32_e64 v85, v85, v100, s12
	v_perm_b32 v69, v102, v101, 0x5040100
	v_perm_b32 v86, v87, v86, 0x5040100
	;; [unrolled: 1-line block ×3, first 2 shown]
	v_cndmask_b32_e64 v89, v89, v94, s23
	v_cndmask_b32_e64 v85, v85, v94, s15
	s_mul_i32 s7, s35, 10
	s_delay_alu instid0(VALU_DEP_2) | instskip(NEXT) | instid1(VALU_DEP_2)
	v_cndmask_b32_e64 v88, v89, v84, s26
	v_cndmask_b32_e64 v89, v85, v84, s17
	s_delay_alu instid0(VALU_DEP_2) | instskip(NEXT) | instid1(VALU_DEP_2)
	v_perm_b32 v85, v88, v90, 0x5040100
	v_perm_b32 v84, v89, v66, 0x5040100
	ds_store_b128 v76, v[69:72]
	ds_store_b128 v76, v[83:86] offset:1024
	v_cmpx_gt_u32_e32 10, v0
	s_cbranch_execz .LBB1863_78
; %bb.77:
	s_mul_i32 s3, s7, s30
	s_load_b128 s[8:11], s[0:1], 0x58
	v_add3_u32 v69, s3, s29, v65
	s_delay_alu instid0(VALU_DEP_1) | instskip(NEXT) | instid1(VALU_DEP_1)
	v_mad_u64_u32 v[65:66], null, v69, s34, s[14:15]
	v_ashrrev_i32_e32 v66, 31, v65
	s_delay_alu instid0(VALU_DEP_1) | instskip(SKIP_1) | instid1(VALU_DEP_1)
	v_lshlrev_b64 v[65:66], 2, v[65:66]
	s_waitcnt lgkmcnt(0)
	v_add_co_u32 v69, vcc_lo, s10, v65
	s_delay_alu instid0(VALU_DEP_2)
	v_add_co_ci_u32_e32 v70, vcc_lo, s11, v66, vcc_lo
	v_add_co_u32 v65, vcc_lo, s8, v65
	v_add_co_ci_u32_e32 v66, vcc_lo, s9, v66, vcc_lo
	global_store_b32 v[69:70], v67, off
	global_store_b32 v[65:66], v68, off
.LBB1863_78:
	s_or_b32 exec_lo, exec_lo, s2
	s_waitcnt lgkmcnt(0)
	s_waitcnt_vscnt null, 0x0
	s_barrier
	buffer_gl0_inv
	ds_load_b128 v[83:86], v80
	ds_load_b128 v[87:90], v80 offset:16
	ds_load_b128 v[95:98], v80 offset:2064
	;; [unrolled: 1-line block ×3, first 2 shown]
	v_mov_b32_e32 v65, 0
	ds_load_b128 v[103:106], v80 offset:4112
	ds_load_b128 v[99:102], v80 offset:4096
	;; [unrolled: 1-line block ×4, first 2 shown]
	v_mov_b32_e32 v66, v65
	v_mov_b32_e32 v67, v65
	;; [unrolled: 1-line block ×7, first 2 shown]
	s_waitcnt lgkmcnt(6)
	s_delay_alu instid0(VALU_DEP_1)
	v_wmma_f32_16x16x16_bf16 v[65:72], v[49:56], v[83:90], v[65:72]
	ds_load_b128 v[53:56], v80 offset:8208
	ds_load_b128 v[49:52], v80 offset:8192
	s_waitcnt lgkmcnt(6)
	v_wmma_f32_16x16x16_bf16 v[65:72], v[41:48], v[91:98], v[65:72]
	ds_load_b128 v[45:48], v80 offset:10256
	ds_load_b128 v[41:44], v80 offset:10240
	s_waitcnt lgkmcnt(6)
	;; [unrolled: 4-line block ×4, first 2 shown]
	v_wmma_f32_16x16x16_bf16 v[65:72], v[1:8], v[49:56], v[65:72]
	s_waitcnt lgkmcnt(4)
	s_delay_alu instid0(VALU_DEP_1) | instskip(SKIP_1) | instid1(VALU_DEP_1)
	v_wmma_f32_16x16x16_bf16 v[65:72], v[9:16], v[41:48], v[65:72]
	s_waitcnt lgkmcnt(2)
	v_wmma_f32_16x16x16_bf16 v[65:72], v[17:24], v[33:40], v[65:72]
	s_waitcnt lgkmcnt(0)
	s_delay_alu instid0(VALU_DEP_1) | instskip(NEXT) | instid1(VALU_DEP_1)
	v_wmma_f32_16x16x16_bf16 v[65:72], v[57:64], v[25:32], v[65:72]
	v_and_b32_e32 v1, 0x7f800000, v65
	s_delay_alu instid0(VALU_DEP_1) | instskip(SKIP_1) | instid1(SALU_CYCLE_1)
	v_cmp_ne_u32_e32 vcc_lo, 0x7f800000, v1
                                        ; implicit-def: $vgpr1
	s_and_saveexec_b32 s2, vcc_lo
	s_xor_b32 s2, exec_lo, s2
; %bb.79:
	v_bfe_u32 v1, v65, 16, 1
	s_delay_alu instid0(VALU_DEP_1)
	v_add3_u32 v1, v65, v1, 0x7fff
; %bb.80:
	s_and_not1_saveexec_b32 s2, s2
; %bb.81:
	v_and_b32_e32 v1, 0xffff, v65
	v_or_b32_e32 v2, 0x10000, v65
	s_delay_alu instid0(VALU_DEP_2) | instskip(NEXT) | instid1(VALU_DEP_2)
	v_cmp_eq_u32_e32 vcc_lo, 0, v1
	v_cndmask_b32_e32 v1, v2, v65, vcc_lo
; %bb.82:
	s_or_b32 exec_lo, exec_lo, s2
	v_and_b32_e32 v2, 0x7f800000, v66
	s_delay_alu instid0(VALU_DEP_1) | instskip(SKIP_1) | instid1(SALU_CYCLE_1)
	v_cmp_ne_u32_e32 vcc_lo, 0x7f800000, v2
                                        ; implicit-def: $vgpr2
	s_and_saveexec_b32 s2, vcc_lo
	s_xor_b32 s2, exec_lo, s2
; %bb.83:
	v_bfe_u32 v2, v66, 16, 1
	s_delay_alu instid0(VALU_DEP_1)
	v_add3_u32 v2, v66, v2, 0x7fff
; %bb.84:
	s_and_not1_saveexec_b32 s2, s2
; %bb.85:
	v_and_b32_e32 v2, 0xffff, v66
	v_or_b32_e32 v3, 0x10000, v66
	s_delay_alu instid0(VALU_DEP_2) | instskip(NEXT) | instid1(VALU_DEP_2)
	v_cmp_eq_u32_e32 vcc_lo, 0, v2
	v_cndmask_b32_e32 v2, v3, v66, vcc_lo
; %bb.86:
	s_or_b32 exec_lo, exec_lo, s2
	v_and_b32_e32 v3, 0x7f800000, v67
	s_delay_alu instid0(VALU_DEP_1) | instskip(SKIP_1) | instid1(SALU_CYCLE_1)
	v_cmp_ne_u32_e32 vcc_lo, 0x7f800000, v3
                                        ; implicit-def: $vgpr3
	s_and_saveexec_b32 s2, vcc_lo
	s_xor_b32 s2, exec_lo, s2
; %bb.87:
	v_bfe_u32 v3, v67, 16, 1
	s_delay_alu instid0(VALU_DEP_1)
	v_add3_u32 v3, v67, v3, 0x7fff
; %bb.88:
	s_and_not1_saveexec_b32 s2, s2
; %bb.89:
	v_and_b32_e32 v3, 0xffff, v67
	v_or_b32_e32 v4, 0x10000, v67
	s_delay_alu instid0(VALU_DEP_2) | instskip(NEXT) | instid1(VALU_DEP_2)
	v_cmp_eq_u32_e32 vcc_lo, 0, v3
	v_cndmask_b32_e32 v3, v4, v67, vcc_lo
; %bb.90:
	s_or_b32 exec_lo, exec_lo, s2
	v_and_b32_e32 v4, 0x7f800000, v68
	s_delay_alu instid0(VALU_DEP_1) | instskip(SKIP_1) | instid1(SALU_CYCLE_1)
	v_cmp_ne_u32_e32 vcc_lo, 0x7f800000, v4
                                        ; implicit-def: $vgpr4
	s_and_saveexec_b32 s2, vcc_lo
	s_xor_b32 s2, exec_lo, s2
; %bb.91:
	v_bfe_u32 v4, v68, 16, 1
	s_delay_alu instid0(VALU_DEP_1)
	v_add3_u32 v4, v68, v4, 0x7fff
; %bb.92:
	s_and_not1_saveexec_b32 s2, s2
; %bb.93:
	v_and_b32_e32 v4, 0xffff, v68
	v_or_b32_e32 v5, 0x10000, v68
	s_delay_alu instid0(VALU_DEP_2) | instskip(NEXT) | instid1(VALU_DEP_2)
	v_cmp_eq_u32_e32 vcc_lo, 0, v4
	v_cndmask_b32_e32 v4, v5, v68, vcc_lo
; %bb.94:
	s_or_b32 exec_lo, exec_lo, s2
	v_and_b32_e32 v5, 0x7f800000, v69
	s_delay_alu instid0(VALU_DEP_1) | instskip(SKIP_1) | instid1(SALU_CYCLE_1)
	v_cmp_ne_u32_e32 vcc_lo, 0x7f800000, v5
                                        ; implicit-def: $vgpr5
	s_and_saveexec_b32 s2, vcc_lo
	s_xor_b32 s2, exec_lo, s2
; %bb.95:
	v_bfe_u32 v5, v69, 16, 1
	s_delay_alu instid0(VALU_DEP_1)
	v_add3_u32 v5, v69, v5, 0x7fff
; %bb.96:
	s_and_not1_saveexec_b32 s2, s2
; %bb.97:
	v_and_b32_e32 v5, 0xffff, v69
	v_or_b32_e32 v6, 0x10000, v69
	s_delay_alu instid0(VALU_DEP_2) | instskip(NEXT) | instid1(VALU_DEP_2)
	v_cmp_eq_u32_e32 vcc_lo, 0, v5
	v_cndmask_b32_e32 v5, v6, v69, vcc_lo
; %bb.98:
	s_or_b32 exec_lo, exec_lo, s2
	v_and_b32_e32 v6, 0x7f800000, v70
	s_delay_alu instid0(VALU_DEP_1) | instskip(SKIP_1) | instid1(SALU_CYCLE_1)
	v_cmp_ne_u32_e32 vcc_lo, 0x7f800000, v6
                                        ; implicit-def: $vgpr6
	s_and_saveexec_b32 s2, vcc_lo
	s_xor_b32 s2, exec_lo, s2
; %bb.99:
	v_bfe_u32 v6, v70, 16, 1
	s_delay_alu instid0(VALU_DEP_1)
	v_add3_u32 v6, v70, v6, 0x7fff
; %bb.100:
	s_and_not1_saveexec_b32 s2, s2
; %bb.101:
	v_and_b32_e32 v6, 0xffff, v70
	v_or_b32_e32 v7, 0x10000, v70
	s_delay_alu instid0(VALU_DEP_2) | instskip(NEXT) | instid1(VALU_DEP_2)
	v_cmp_eq_u32_e32 vcc_lo, 0, v6
	v_cndmask_b32_e32 v6, v7, v70, vcc_lo
; %bb.102:
	s_or_b32 exec_lo, exec_lo, s2
	v_and_b32_e32 v7, 0x7f800000, v71
	s_delay_alu instid0(VALU_DEP_1) | instskip(SKIP_1) | instid1(SALU_CYCLE_1)
	v_cmp_ne_u32_e32 vcc_lo, 0x7f800000, v7
                                        ; implicit-def: $vgpr7
	s_and_saveexec_b32 s2, vcc_lo
	s_xor_b32 s2, exec_lo, s2
; %bb.103:
	v_bfe_u32 v7, v71, 16, 1
	s_delay_alu instid0(VALU_DEP_1)
	v_add3_u32 v7, v71, v7, 0x7fff
; %bb.104:
	s_and_not1_saveexec_b32 s2, s2
; %bb.105:
	v_and_b32_e32 v7, 0xffff, v71
	v_or_b32_e32 v8, 0x10000, v71
	s_delay_alu instid0(VALU_DEP_2) | instskip(NEXT) | instid1(VALU_DEP_2)
	v_cmp_eq_u32_e32 vcc_lo, 0, v7
	v_cndmask_b32_e32 v7, v8, v71, vcc_lo
; %bb.106:
	s_or_b32 exec_lo, exec_lo, s2
	v_and_b32_e32 v8, 0x7f800000, v72
	s_delay_alu instid0(VALU_DEP_1) | instskip(SKIP_1) | instid1(SALU_CYCLE_1)
	v_cmp_ne_u32_e32 vcc_lo, 0x7f800000, v8
                                        ; implicit-def: $vgpr8
	s_and_saveexec_b32 s2, vcc_lo
	s_xor_b32 s2, exec_lo, s2
; %bb.107:
	v_bfe_u32 v8, v72, 16, 1
	s_delay_alu instid0(VALU_DEP_1)
	v_add3_u32 v8, v72, v8, 0x7fff
                                        ; implicit-def: $vgpr65_vgpr66_vgpr67_vgpr68_vgpr69_vgpr70_vgpr71_vgpr72
; %bb.108:
	s_and_not1_saveexec_b32 s2, s2
; %bb.109:
	v_and_b32_e32 v8, 0xffff, v72
	v_or_b32_e32 v9, 0x10000, v72
	s_delay_alu instid0(VALU_DEP_2) | instskip(NEXT) | instid1(VALU_DEP_2)
	v_cmp_eq_u32_e32 vcc_lo, 0, v8
	v_cndmask_b32_e32 v8, v9, v72, vcc_lo
; %bb.110:
	s_or_b32 exec_lo, exec_lo, s2
	s_delay_alu instid0(VALU_DEP_1)
	v_perm_b32 v7, v8, v7, 0x7060302
	v_perm_b32 v6, v6, v5, 0x7060302
	;; [unrolled: 1-line block ×4, first 2 shown]
	s_barrier
	buffer_gl0_inv
	v_cmp_eq_u32_e32 vcc_lo, 1, v78
	ds_store_b128 v76, v[4:7]
	s_waitcnt lgkmcnt(0)
	s_barrier
	buffer_gl0_inv
	ds_load_b128 v[1:4], v82
	ds_load_b128 v[5:8], v82 offset:16
	v_cmp_eq_u32_e64 s2, 1, v79
	v_cmp_eq_u32_e64 s3, 2, v78
	v_cmp_eq_u32_e64 s4, 3, v78
	v_cmp_eq_u32_e64 s6, 2, v77
	v_cmp_eq_u32_e64 s5, 7, v79
	s_waitcnt lgkmcnt(1)
	v_lshrrev_b32_e32 v9, 16, v1
	s_waitcnt lgkmcnt(0)
	v_lshrrev_b32_e32 v13, 16, v5
	v_lshrrev_b32_e32 v10, 16, v2
	;; [unrolled: 1-line block ×4, first 2 shown]
	v_cndmask_b32_e64 v19, v1, v9, s2
	v_cndmask_b32_e32 v18, v5, v13, vcc_lo
	v_cndmask_b32_e64 v20, v5, v13, s2
	v_cndmask_b32_e32 v17, v1, v9, vcc_lo
	v_cmp_eq_u32_e32 vcc_lo, 2, v79
	v_lshrrev_b32_e32 v15, 16, v7
	v_cmp_eq_u32_e64 s2, 1, v77
	v_lshrrev_b32_e32 v12, 16, v4
	v_lshrrev_b32_e32 v16, 16, v8
	v_cndmask_b32_e32 v20, v20, v6, vcc_lo
	v_cndmask_b32_e64 v17, v17, v2, s3
	v_cndmask_b32_e32 v19, v19, v2, vcc_lo
	v_cndmask_b32_e64 v18, v18, v6, s3
	v_cmp_eq_u32_e32 vcc_lo, 4, v78
	v_cmp_eq_u32_e64 s3, 3, v79
	v_cndmask_b32_e64 v17, v17, v10, s4
	v_cndmask_b32_e64 v21, v1, v9, s2
	;; [unrolled: 1-line block ×5, first 2 shown]
	v_cndmask_b32_e32 v17, v17, v3, vcc_lo
	v_cndmask_b32_e64 v20, v20, v14, s3
	v_cndmask_b32_e32 v18, v18, v7, vcc_lo
	v_cmp_eq_u32_e32 vcc_lo, 4, v79
	v_cmp_eq_u32_e64 s3, 5, v79
	v_cmp_eq_u32_e64 s2, 2, v81
	v_cndmask_b32_e64 v21, v21, v2, s6
	v_cmp_eq_u32_e64 s4, 5, v78
	v_cndmask_b32_e32 v19, v19, v3, vcc_lo
	v_cndmask_b32_e32 v20, v20, v7, vcc_lo
	v_cmp_eq_u32_e32 vcc_lo, 6, v79
	s_delay_alu instid0(VALU_DEP_4) | instskip(NEXT) | instid1(VALU_DEP_4)
	v_cndmask_b32_e64 v17, v17, v11, s4
	v_cndmask_b32_e64 v19, v19, v11, s3
	s_delay_alu instid0(VALU_DEP_4) | instskip(SKIP_1) | instid1(VALU_DEP_3)
	v_cndmask_b32_e64 v20, v20, v15, s3
	v_cmp_eq_u32_e64 s3, 1, v81
	v_cndmask_b32_e32 v19, v19, v4, vcc_lo
	v_cndmask_b32_e64 v18, v18, v15, s4
	s_delay_alu instid0(VALU_DEP_3)
	v_cndmask_b32_e64 v1, v1, v9, s3
	v_cndmask_b32_e64 v5, v5, v13, s3
	v_cmp_eq_u32_e64 s3, 3, v77
	v_cndmask_b32_e64 v13, v22, v6, s6
	v_cmp_eq_u32_e64 s6, 3, v81
	v_cndmask_b32_e64 v1, v1, v2, s2
	v_cndmask_b32_e64 v2, v5, v6, s2
	;; [unrolled: 1-line block ×3, first 2 shown]
	v_cmp_eq_u32_e64 s2, 4, v77
	v_cndmask_b32_e64 v6, v13, v14, s3
	v_cndmask_b32_e64 v1, v1, v10, s6
	v_cmp_eq_u32_e64 s3, 4, v81
	v_cndmask_b32_e64 v2, v2, v14, s6
	v_cndmask_b32_e64 v5, v9, v3, s2
	;; [unrolled: 3-line block ×3, first 2 shown]
	v_cndmask_b32_e64 v2, v2, v7, s3
	v_cmp_eq_u32_e64 s2, 5, v81
	v_cmp_eq_u32_e64 s4, 6, v78
	v_cndmask_b32_e64 v5, v5, v11, s6
	v_cmp_eq_u32_e64 s3, 6, v77
	v_cndmask_b32_e64 v3, v6, v15, s6
	v_cndmask_b32_e64 v1, v1, v11, s2
	v_cmp_eq_u32_e64 s6, 6, v81
	v_cndmask_b32_e64 v2, v2, v15, s2
	v_cndmask_b32_e64 v17, v17, v4, s4
	v_cndmask_b32_e64 v18, v18, v8, s4
	v_cmp_eq_u32_e64 s4, 7, v78
	v_cndmask_b32_e64 v5, v5, v4, s3
	v_cndmask_b32_e64 v3, v3, v8, s3
	v_cndmask_b32_e64 v1, v1, v4, s6
	v_cmp_eq_u32_e64 s2, 7, v81
	v_cndmask_b32_e64 v2, v2, v8, s6
	v_cmp_eq_u32_e64 s3, 7, v77
	v_cndmask_b32_e32 v4, v20, v8, vcc_lo
	v_cndmask_b32_e64 v17, v17, v12, s4
	v_cndmask_b32_e64 v19, v19, v12, s5
	;; [unrolled: 1-line block ×8, first 2 shown]
	s_mov_b32 s2, exec_lo
	v_perm_b32 v4, v2, v1, 0x5040100
	v_perm_b32 v3, v3, v5, 0x5040100
	v_perm_b32 v2, v6, v19, 0x5040100
	v_perm_b32 v1, v7, v17, 0x5040100
	ds_store_b128 v76, v[1:4]
	s_waitcnt lgkmcnt(0)
	s_barrier
	buffer_gl0_inv
	v_cmpx_gt_u32_e32 32, v0
	s_cbranch_execz .LBB1863_2
; %bb.111:
	s_load_b64 s[0:1], s[0:1], 0x68
	s_lshl_b32 s4, s34, 7
	v_or_b32_e32 v2, s29, v74
	s_mul_i32 s2, s4, s30
	v_lshlrev_b32_e32 v0, 10, v0
	s_mul_i32 s2, s2, s7
	v_lshlrev_b32_e32 v1, 4, v75
	s_ashr_i32 s3, s2, 31
	v_mul_lo_u32 v20, v2, s4
	s_lshl_b64 s[2:3], s[2:3], 1
	v_lshlrev_b32_e32 v3, 6, v74
	v_and_b32_e32 v0, 0x3800, v0
	s_delay_alu instid0(VALU_DEP_1) | instskip(NEXT) | instid1(VALU_DEP_4)
	v_or3_b32 v16, v0, v1, v3
	v_ashrrev_i32_e32 v21, 31, v20
	ds_load_b128 v[0:3], v16
	ds_load_b128 v[4:7], v16 offset:128
	s_waitcnt lgkmcnt(0)
	s_add_u32 s2, s0, s2
	s_addc_u32 s3, s1, s3
	s_lshl_b32 s0, s14, 7
	ds_load_b128 v[8:11], v16 offset:256
	ds_load_b128 v[12:15], v16 offset:384
	;; [unrolled: 1-line block ×3, first 2 shown]
	s_ashr_i32 s1, s0, 31
	s_delay_alu instid0(SALU_CYCLE_1) | instskip(NEXT) | instid1(SALU_CYCLE_1)
	s_lshl_b64 s[0:1], s[0:1], 1
	s_add_u32 s0, s2, s0
	s_addc_u32 s1, s3, s1
	s_lshl_b32 s2, s34, 8
	v_add_co_u32 v30, s0, s0, v73
	v_add_nc_u32_e32 v22, s2, v20
	v_lshlrev_b64 v[20:21], 1, v[20:21]
	v_add_co_ci_u32_e64 v31, null, s1, 0, s0
	s_delay_alu instid0(VALU_DEP_3) | instskip(SKIP_1) | instid1(VALU_DEP_4)
	v_add_nc_u32_e32 v24, s2, v22
	v_ashrrev_i32_e32 v23, 31, v22
	v_add_co_u32 v20, vcc_lo, v30, v20
	s_delay_alu instid0(VALU_DEP_4) | instskip(NEXT) | instid1(VALU_DEP_4)
	v_add_co_ci_u32_e32 v21, vcc_lo, v31, v21, vcc_lo
	v_add_nc_u32_e32 v26, s2, v24
	v_ashrrev_i32_e32 v25, 31, v24
	v_lshlrev_b64 v[22:23], 1, v[22:23]
	s_delay_alu instid0(VALU_DEP_3) | instskip(SKIP_1) | instid1(VALU_DEP_4)
	v_add_nc_u32_e32 v28, s2, v26
	v_ashrrev_i32_e32 v27, 31, v26
	v_lshlrev_b64 v[24:25], 1, v[24:25]
	s_delay_alu instid0(VALU_DEP_4) | instskip(NEXT) | instid1(VALU_DEP_4)
	v_add_co_u32 v22, vcc_lo, v30, v22
	v_ashrrev_i32_e32 v29, 31, v28
	s_delay_alu instid0(VALU_DEP_4) | instskip(SKIP_2) | instid1(VALU_DEP_4)
	v_lshlrev_b64 v[26:27], 1, v[26:27]
	v_add_co_ci_u32_e32 v23, vcc_lo, v31, v23, vcc_lo
	v_add_co_u32 v24, vcc_lo, v30, v24
	v_lshlrev_b64 v[28:29], 1, v[28:29]
	v_add_co_ci_u32_e32 v25, vcc_lo, v31, v25, vcc_lo
	v_add_co_u32 v26, vcc_lo, v30, v26
	v_add_co_ci_u32_e32 v27, vcc_lo, v31, v27, vcc_lo
	s_delay_alu instid0(VALU_DEP_4)
	v_add_co_u32 v28, vcc_lo, v30, v28
	v_add_co_ci_u32_e32 v29, vcc_lo, v31, v29, vcc_lo
	s_clause 0x1
	global_store_b128 v[20:21], v[0:3], off
	global_store_b128 v[22:23], v[4:7], off
	s_waitcnt lgkmcnt(2)
	global_store_b128 v[24:25], v[8:11], off
	s_waitcnt lgkmcnt(1)
	;; [unrolled: 2-line block ×3, first 2 shown]
	global_store_b128 v[28:29], v[16:19], off
	s_nop 0
	s_sendmsg sendmsg(MSG_DEALLOC_VGPRS)
	s_endpgm
	.section	.rodata,"a",@progbits
	.p2align	6, 0x0
	.amdhsa_kernel _Z39paged_attention_ll4mi_QKV_mfma16_kernelI14__hip_bfloat16hLN4vllm18Fp8KVCacheDataTypeE1EhLi32ELi128ELi256ELb1ELi10EL8MFMAType0EEvPKT_PKT0_S9_ifPKiSB_SB_iPKfiiiPfSE_PS4_PT2_iSD_SD_
		.amdhsa_group_segment_fixed_size 17472
		.amdhsa_private_segment_fixed_size 0
		.amdhsa_kernarg_size 400
		.amdhsa_user_sgpr_count 13
		.amdhsa_user_sgpr_dispatch_ptr 0
		.amdhsa_user_sgpr_queue_ptr 0
		.amdhsa_user_sgpr_kernarg_segment_ptr 1
		.amdhsa_user_sgpr_dispatch_id 0
		.amdhsa_user_sgpr_private_segment_size 0
		.amdhsa_wavefront_size32 1
		.amdhsa_uses_dynamic_stack 0
		.amdhsa_enable_private_segment 0
		.amdhsa_system_sgpr_workgroup_id_x 1
		.amdhsa_system_sgpr_workgroup_id_y 1
		.amdhsa_system_sgpr_workgroup_id_z 1
		.amdhsa_system_sgpr_workgroup_info 0
		.amdhsa_system_vgpr_workitem_id 0
		.amdhsa_next_free_vgpr 140
		.amdhsa_next_free_sgpr 36
		.amdhsa_reserve_vcc 1
		.amdhsa_float_round_mode_32 0
		.amdhsa_float_round_mode_16_64 0
		.amdhsa_float_denorm_mode_32 3
		.amdhsa_float_denorm_mode_16_64 3
		.amdhsa_dx10_clamp 1
		.amdhsa_ieee_mode 1
		.amdhsa_fp16_overflow 0
		.amdhsa_workgroup_processor_mode 1
		.amdhsa_memory_ordered 1
		.amdhsa_forward_progress 0
		.amdhsa_shared_vgpr_count 0
		.amdhsa_exception_fp_ieee_invalid_op 0
		.amdhsa_exception_fp_denorm_src 0
		.amdhsa_exception_fp_ieee_div_zero 0
		.amdhsa_exception_fp_ieee_overflow 0
		.amdhsa_exception_fp_ieee_underflow 0
		.amdhsa_exception_fp_ieee_inexact 0
		.amdhsa_exception_int_div_zero 0
	.end_amdhsa_kernel
	.section	.text._Z39paged_attention_ll4mi_QKV_mfma16_kernelI14__hip_bfloat16hLN4vllm18Fp8KVCacheDataTypeE1EhLi32ELi128ELi256ELb1ELi10EL8MFMAType0EEvPKT_PKT0_S9_ifPKiSB_SB_iPKfiiiPfSE_PS4_PT2_iSD_SD_,"axG",@progbits,_Z39paged_attention_ll4mi_QKV_mfma16_kernelI14__hip_bfloat16hLN4vllm18Fp8KVCacheDataTypeE1EhLi32ELi128ELi256ELb1ELi10EL8MFMAType0EEvPKT_PKT0_S9_ifPKiSB_SB_iPKfiiiPfSE_PS4_PT2_iSD_SD_,comdat
.Lfunc_end1863:
	.size	_Z39paged_attention_ll4mi_QKV_mfma16_kernelI14__hip_bfloat16hLN4vllm18Fp8KVCacheDataTypeE1EhLi32ELi128ELi256ELb1ELi10EL8MFMAType0EEvPKT_PKT0_S9_ifPKiSB_SB_iPKfiiiPfSE_PS4_PT2_iSD_SD_, .Lfunc_end1863-_Z39paged_attention_ll4mi_QKV_mfma16_kernelI14__hip_bfloat16hLN4vllm18Fp8KVCacheDataTypeE1EhLi32ELi128ELi256ELb1ELi10EL8MFMAType0EEvPKT_PKT0_S9_ifPKiSB_SB_iPKfiiiPfSE_PS4_PT2_iSD_SD_
                                        ; -- End function
	.section	.AMDGPU.csdata,"",@progbits
; Kernel info:
; codeLenInByte = 8952
; NumSgprs: 38
; NumVgprs: 140
; ScratchSize: 0
; MemoryBound: 0
; FloatMode: 240
; IeeeMode: 1
; LDSByteSize: 17472 bytes/workgroup (compile time only)
; SGPRBlocks: 4
; VGPRBlocks: 17
; NumSGPRsForWavesPerEU: 38
; NumVGPRsForWavesPerEU: 140
; Occupancy: 10
; WaveLimiterHint : 1
; COMPUTE_PGM_RSRC2:SCRATCH_EN: 0
; COMPUTE_PGM_RSRC2:USER_SGPR: 13
; COMPUTE_PGM_RSRC2:TRAP_HANDLER: 0
; COMPUTE_PGM_RSRC2:TGID_X_EN: 1
; COMPUTE_PGM_RSRC2:TGID_Y_EN: 1
; COMPUTE_PGM_RSRC2:TGID_Z_EN: 1
; COMPUTE_PGM_RSRC2:TIDIG_COMP_CNT: 0
	.section	.text._Z39paged_attention_ll4mi_QKV_mfma16_kernelI14__hip_bfloat16hLN4vllm18Fp8KVCacheDataTypeE1EhLi32ELi128ELi256ELb1ELi11EL8MFMAType0EEvPKT_PKT0_S9_ifPKiSB_SB_iPKfiiiPfSE_PS4_PT2_iSD_SD_,"axG",@progbits,_Z39paged_attention_ll4mi_QKV_mfma16_kernelI14__hip_bfloat16hLN4vllm18Fp8KVCacheDataTypeE1EhLi32ELi128ELi256ELb1ELi11EL8MFMAType0EEvPKT_PKT0_S9_ifPKiSB_SB_iPKfiiiPfSE_PS4_PT2_iSD_SD_,comdat
	.protected	_Z39paged_attention_ll4mi_QKV_mfma16_kernelI14__hip_bfloat16hLN4vllm18Fp8KVCacheDataTypeE1EhLi32ELi128ELi256ELb1ELi11EL8MFMAType0EEvPKT_PKT0_S9_ifPKiSB_SB_iPKfiiiPfSE_PS4_PT2_iSD_SD_ ; -- Begin function _Z39paged_attention_ll4mi_QKV_mfma16_kernelI14__hip_bfloat16hLN4vllm18Fp8KVCacheDataTypeE1EhLi32ELi128ELi256ELb1ELi11EL8MFMAType0EEvPKT_PKT0_S9_ifPKiSB_SB_iPKfiiiPfSE_PS4_PT2_iSD_SD_
	.globl	_Z39paged_attention_ll4mi_QKV_mfma16_kernelI14__hip_bfloat16hLN4vllm18Fp8KVCacheDataTypeE1EhLi32ELi128ELi256ELb1ELi11EL8MFMAType0EEvPKT_PKT0_S9_ifPKiSB_SB_iPKfiiiPfSE_PS4_PT2_iSD_SD_
	.p2align	8
	.type	_Z39paged_attention_ll4mi_QKV_mfma16_kernelI14__hip_bfloat16hLN4vllm18Fp8KVCacheDataTypeE1EhLi32ELi128ELi256ELb1ELi11EL8MFMAType0EEvPKT_PKT0_S9_ifPKiSB_SB_iPKfiiiPfSE_PS4_PT2_iSD_SD_,@function
_Z39paged_attention_ll4mi_QKV_mfma16_kernelI14__hip_bfloat16hLN4vllm18Fp8KVCacheDataTypeE1EhLi32ELi128ELi256ELb1ELi11EL8MFMAType0EEvPKT_PKT0_S9_ifPKiSB_SB_iPKfiiiPfSE_PS4_PT2_iSD_SD_: ; @_Z39paged_attention_ll4mi_QKV_mfma16_kernelI14__hip_bfloat16hLN4vllm18Fp8KVCacheDataTypeE1EhLi32ELi128ELi256ELb1ELi11EL8MFMAType0EEvPKT_PKT0_S9_ifPKiSB_SB_iPKfiiiPfSE_PS4_PT2_iSD_SD_
; %bb.0:
	s_load_b64 s[4:5], s[0:1], 0x30
	s_mov_b32 s30, s13
	s_waitcnt lgkmcnt(0)
	s_cmp_lg_u64 s[4:5], 0
	s_cselect_b32 s13, -1, 0
	s_ashr_i32 s31, s30, 31
	s_cmp_eq_u64 s[4:5], 0
	s_cbranch_scc1 .LBB1864_3
; %bb.1:
	s_lshl_b64 s[2:3], s[30:31], 2
	s_delay_alu instid0(SALU_CYCLE_1) | instskip(SKIP_4) | instid1(SALU_CYCLE_1)
	s_add_u32 s2, s4, s2
	s_addc_u32 s3, s5, s3
	s_load_b64 s[2:3], s[2:3], 0x0
	s_waitcnt lgkmcnt(0)
	s_sub_i32 s2, s3, s2
	s_cmp_eq_u32 s2, 1
	s_cselect_b32 s2, -1, 0
	s_delay_alu instid0(SALU_CYCLE_1)
	s_and_not1_b32 vcc_lo, exec_lo, s2
	s_cbranch_vccz .LBB1864_4
.LBB1864_2:
	s_nop 0
	s_sendmsg sendmsg(MSG_DEALLOC_VGPRS)
	s_endpgm
.LBB1864_3:
.LBB1864_4:
	s_load_b64 s[2:3], s[0:1], 0x28
	s_lshl_b64 s[6:7], s[30:31], 2
	s_waitcnt lgkmcnt(0)
	s_add_u32 s2, s2, s6
	s_addc_u32 s3, s3, s7
	s_lshl_b32 s12, s14, 8
	s_load_b32 s17, s[2:3], 0x0
	s_waitcnt lgkmcnt(0)
	s_cmp_ge_i32 s12, s17
	s_cbranch_scc1 .LBB1864_2
; %bb.5:
	s_clause 0x1
	s_load_b128 s[8:11], s[0:1], 0x8
	s_load_b64 s[2:3], s[0:1], 0x20
	s_and_not1_b32 vcc_lo, exec_lo, s13
	s_cbranch_vccnz .LBB1864_7
; %bb.6:
	s_add_u32 s4, s4, s6
	s_addc_u32 s5, s5, s7
	s_load_b32 s13, s[4:5], 0x0
	s_branch .LBB1864_8
.LBB1864_7:
	s_mov_b32 s13, s30
.LBB1864_8:
	s_load_b128 s[4:7], s[0:1], 0x48
	v_and_b32_e32 v65, 15, v0
	v_lshrrev_b32_e32 v66, 5, v0
	v_bfe_u32 v74, v0, 4, 1
	v_and_b32_e32 v67, 31, v0
	v_and_b32_e32 v75, 1, v0
	v_lshlrev_b32_e32 v2, 3, v65
	s_mul_i32 s31, s15, 11
	v_lshl_or_b32 v1, v66, 1, v74
	s_waitcnt lgkmcnt(0)
	s_mov_b32 s7, exec_lo
	v_lshlrev_b32_e32 v73, 1, v2
	s_delay_alu instid0(VALU_DEP_2)
	v_cmpx_gt_u32_e32 11, v1
	s_cbranch_execz .LBB1864_10
; %bb.9:
	s_load_b64 s[18:19], s[0:1], 0x0
	v_add_lshl_u32 v2, v1, s31, 7
	s_mul_hi_i32 s21, s13, s4
	s_mul_i32 s20, s13, s4
	v_lshlrev_b32_e32 v6, 10, v65
	s_lshl_b64 s[20:21], s[20:21], 1
	v_ashrrev_i32_e32 v3, 31, v2
	v_lshlrev_b32_e32 v1, 6, v1
	v_lshlrev_b32_e32 v7, 10, v75
	v_and_b32_e32 v6, 0x3800, v6
	s_delay_alu instid0(VALU_DEP_4) | instskip(NEXT) | instid1(VALU_DEP_2)
	v_lshlrev_b64 v[2:3], 1, v[2:3]
	v_or3_b32 v1, v6, v7, v1
	s_waitcnt lgkmcnt(0)
	s_add_u32 s4, s18, s20
	s_addc_u32 s13, s19, s21
	s_delay_alu instid0(VALU_DEP_2) | instskip(SKIP_1) | instid1(VALU_DEP_2)
	v_add_co_u32 v2, vcc_lo, s4, v2
	v_add_co_ci_u32_e32 v3, vcc_lo, s13, v3, vcc_lo
	v_add_co_u32 v2, vcc_lo, v2, v73
	s_delay_alu instid0(VALU_DEP_2)
	v_add_co_ci_u32_e32 v3, vcc_lo, 0, v3, vcc_lo
	global_load_b128 v[2:5], v[2:3], off
	s_waitcnt vmcnt(0)
	ds_store_b128 v1, v[2:5]
.LBB1864_10:
	s_or_b32 exec_lo, exec_lo, s7
	v_and_b32_e32 v1, 0xef, v0
	s_add_i32 s4, s17, 31
	s_clause 0x1
	s_load_b32 s7, s[0:1], 0x38
	s_load_b32 s18, s[0:1], 0x1c
	s_ashr_i32 s13, s4, 31
	v_add_nc_u32_e32 v1, s12, v1
	s_lshr_b32 s13, s13, 27
	s_waitcnt lgkmcnt(0)
	s_add_i32 s4, s4, s13
	s_barrier
	v_ashrrev_i32_e32 v2, 31, v1
	v_or_b32_e32 v3, 16, v1
	s_ashr_i32 s4, s4, 5
	v_cmp_gt_i32_e32 vcc_lo, s17, v1
	s_add_i32 s4, s4, -1
	v_lshrrev_b32_e32 v2, 27, v2
	buffer_gl0_inv
	s_mul_i32 s15, s15, s6
	v_add_nc_u32_e32 v4, v1, v2
	s_mul_i32 s20, s30, s7
	s_delay_alu instid0(SALU_CYCLE_1) | instskip(NEXT) | instid1(VALU_DEP_1)
	s_ashr_i32 s21, s20, 31
	v_ashrrev_i32_e32 v4, 5, v4
	v_add_nc_u32_e32 v2, v3, v2
	s_lshl_b64 s[20:21], s[20:21], 2
	s_delay_alu instid0(SALU_CYCLE_1) | instskip(NEXT) | instid1(VALU_DEP_2)
	s_add_u32 s13, s2, s20
	v_cndmask_b32_e32 v1, s4, v4, vcc_lo
	s_delay_alu instid0(VALU_DEP_2)
	v_ashrrev_i32_e32 v2, 5, v2
	v_cmp_gt_i32_e32 vcc_lo, s17, v3
	s_addc_u32 s16, s3, s21
	s_ashr_i32 s19, s15, 31
	s_add_u32 s2, s8, s15
	s_addc_u32 s3, s9, s19
	v_cndmask_b32_e32 v3, s4, v2, vcc_lo
	v_ashrrev_i32_e32 v2, 31, v1
	s_lshl_b32 s6, s14, 3
	s_delay_alu instid0(SALU_CYCLE_1) | instskip(NEXT) | instid1(VALU_DEP_2)
	s_ashr_i32 s7, s6, 31
	v_ashrrev_i32_e32 v4, 31, v3
	s_delay_alu instid0(VALU_DEP_2) | instskip(SKIP_1) | instid1(SALU_CYCLE_1)
	v_lshlrev_b64 v[1:2], 2, v[1:2]
	s_lshl_b64 s[6:7], s[6:7], 2
	s_add_u32 s6, s13, s6
	s_delay_alu instid0(VALU_DEP_2) | instskip(SKIP_1) | instid1(VALU_DEP_2)
	v_lshlrev_b64 v[3:4], 2, v[3:4]
	s_addc_u32 s7, s16, s7
	v_add_co_u32 v1, vcc_lo, s13, v1
	v_add_co_ci_u32_e32 v2, vcc_lo, s16, v2, vcc_lo
	s_delay_alu instid0(VALU_DEP_3) | instskip(NEXT) | instid1(VALU_DEP_4)
	v_add_co_u32 v3, vcc_lo, s13, v3
	v_add_co_ci_u32_e32 v4, vcc_lo, s16, v4, vcc_lo
	s_clause 0x1
	global_load_b32 v5, v[1:2], off
	global_load_b32 v6, v[3:4], off
	s_or_b32 s8, s12, 32
	s_delay_alu instid0(SALU_CYCLE_1) | instskip(SKIP_2) | instid1(SALU_CYCLE_1)
	s_ashr_i32 s9, s8, 5
	s_cmp_lt_i32 s8, s17
	s_cselect_b32 s8, s9, s4
	s_ashr_i32 s9, s8, 31
	s_delay_alu instid0(SALU_CYCLE_1) | instskip(NEXT) | instid1(SALU_CYCLE_1)
	s_lshl_b64 s[8:9], s[8:9], 2
	s_add_u32 s8, s13, s8
	s_addc_u32 s9, s16, s9
	s_or_b32 s20, s12, 64
	s_delay_alu instid0(SALU_CYCLE_1) | instskip(SKIP_2) | instid1(SALU_CYCLE_1)
	s_ashr_i32 s21, s20, 5
	s_cmp_lt_i32 s20, s17
	s_cselect_b32 s20, s21, s4
	s_ashr_i32 s21, s20, 31
	s_delay_alu instid0(SALU_CYCLE_1) | instskip(NEXT) | instid1(SALU_CYCLE_1)
	s_lshl_b64 s[20:21], s[20:21], 2
	s_add_u32 s20, s13, s20
	s_addc_u32 s21, s16, s21
	;; [unrolled: 10-line block ×5, first 2 shown]
	s_clause 0x5
	s_load_b32 s28, s[6:7], 0x0
	s_load_b32 s8, s[8:9], 0x0
	;; [unrolled: 1-line block ×6, first 2 shown]
	s_mov_b32 s20, 0
	s_delay_alu instid0(SALU_CYCLE_1)
	s_mov_b32 s21, s20
	s_mov_b32 s22, s20
	;; [unrolled: 1-line block ×7, first 2 shown]
	s_delay_alu instid0(SALU_CYCLE_1)
	v_dual_mov_b32 v107, s27 :: v_dual_mov_b32 v106, s26
	v_dual_mov_b32 v104, s24 :: v_dual_mov_b32 v103, s23
	;; [unrolled: 1-line block ×3, first 2 shown]
	v_mov_b32_e32 v100, s20
	s_waitcnt vmcnt(1)
	v_mad_i64_i32 v[1:2], null, v5, s5, s[2:3]
	v_lshlrev_b32_e32 v5, 4, v65
	s_waitcnt vmcnt(0)
	v_mad_i64_i32 v[3:4], null, v6, s5, s[2:3]
	s_or_b32 s2, s12, 0xc0
	s_delay_alu instid0(SALU_CYCLE_1) | instskip(NEXT) | instid1(VALU_DEP_3)
	s_ashr_i32 s3, s2, 5
	v_add_co_u32 v33, vcc_lo, v1, v5
	s_delay_alu instid0(VALU_DEP_4) | instskip(NEXT) | instid1(VALU_DEP_3)
	v_add_co_ci_u32_e32 v34, vcc_lo, 0, v2, vcc_lo
	v_add_co_u32 v35, vcc_lo, v3, v5
	s_delay_alu instid0(VALU_DEP_4)
	v_add_co_ci_u32_e32 v36, vcc_lo, 0, v4, vcc_lo
	s_clause 0xf
	global_load_b128 v[1:4], v[33:34], off
	global_load_b128 v[5:8], v[33:34], off offset:512
	global_load_b128 v[9:12], v[35:36], off offset:256
	;; [unrolled: 1-line block ×15, first 2 shown]
	s_cmp_lt_i32 s2, s17
	v_add_nc_u32_e32 v33, -11, v65
	s_cselect_b32 s2, s3, s4
	v_cmp_gt_u32_e32 vcc_lo, 11, v65
	s_ashr_i32 s3, s2, 31
	v_lshlrev_b32_e32 v34, 5, v65
	s_lshl_b64 s[2:3], s[2:3], 2
	s_delay_alu instid0(SALU_CYCLE_1)
	s_add_u32 s2, s13, s2
	s_addc_u32 s3, s16, s3
	s_or_b32 s6, s12, 0xe0
	v_cndmask_b32_e32 v33, v33, v65, vcc_lo
	s_ashr_i32 s7, s6, 5
	s_cmp_lt_i32 s6, s17
	v_mov_b32_e32 v105, s25
	s_cselect_b32 s6, s7, s4
	v_lshlrev_b32_e32 v72, 6, v33
	s_ashr_i32 s7, s6, 31
	v_lshl_or_b32 v41, v66, 9, v34
	s_lshl_b64 s[6:7], s[6:7], 2
	ds_load_b128 v[33:36], v72
	ds_load_b128 v[37:40], v72 offset:1024
	ds_load_b128 v[108:111], v72 offset:2048
	;; [unrolled: 1-line block ×3, first 2 shown]
	s_load_b32 s4, s[2:3], 0x0
	s_add_u32 s2, s13, s6
	s_addc_u32 s3, s16, s7
	ds_load_b128 v[116:119], v72 offset:4096
	ds_load_b128 v[120:123], v72 offset:5120
	s_load_b32 s2, s[2:3], 0x0
	s_add_u32 s6, s10, s15
	s_addc_u32 s7, s11, s19
	v_add_co_u32 v68, s6, s6, v41
	s_delay_alu instid0(VALU_DEP_1) | instskip(SKIP_1) | instid1(VALU_DEP_1)
	v_add_co_ci_u32_e64 v69, null, s7, 0, s6
	s_waitcnt lgkmcnt(0)
	v_mad_i64_i32 v[41:42], null, s28, s5, v[68:69]
	v_mad_i64_i32 v[70:71], null, s9, s5, v[68:69]
	;; [unrolled: 1-line block ×7, first 2 shown]
	s_clause 0x3
	global_load_b128 v[49:52], v[41:42], off
	global_load_b128 v[53:56], v[41:42], off offset:16
	global_load_b128 v[41:44], v[45:46], off
	global_load_b128 v[45:48], v[45:46], off offset:16
	s_waitcnt vmcnt(18)
	v_wmma_f32_16x16x16_bf16 v[124:131], v[1:8], v[33:40], v[100:107]
	s_waitcnt vmcnt(16)
	v_wmma_f32_16x16x16_bf16 v[100:107], v[9:16], v[33:40], v[100:107]
	s_clause 0x1
	global_load_b128 v[33:36], v[70:71], off
	global_load_b128 v[37:40], v[70:71], off offset:16
	v_mad_i64_i32 v[70:71], null, s2, s5, v[68:69]
	s_waitcnt vmcnt(16)
	v_wmma_f32_16x16x16_bf16 v[124:131], v[17:24], v[108:115], v[124:131]
	s_waitcnt vmcnt(14)
	v_wmma_f32_16x16x16_bf16 v[100:107], v[25:32], v[108:115], v[100:107]
	s_clause 0x7
	global_load_b128 v[25:28], v[132:133], off
	global_load_b128 v[29:32], v[132:133], off offset:16
	global_load_b128 v[1:4], v[134:135], off
	global_load_b128 v[5:8], v[134:135], off offset:16
	global_load_b128 v[9:12], v[136:137], off
	global_load_b128 v[13:16], v[136:137], off offset:16
	global_load_b128 v[17:20], v[138:139], off
	global_load_b128 v[21:24], v[138:139], off offset:16
	s_waitcnt vmcnt(20)
	v_wmma_f32_16x16x16_bf16 v[124:131], v[57:64], v[116:123], v[124:131]
	s_clause 0x1
	global_load_b128 v[57:60], v[70:71], off
	global_load_b128 v[61:64], v[70:71], off offset:16
	s_waitcnt vmcnt(20)
	v_wmma_f32_16x16x16_bf16 v[100:107], v[76:83], v[116:123], v[100:107]
	ds_load_b128 v[76:79], v72 offset:6144
	ds_load_b128 v[80:83], v72 offset:7168
	v_and_b32_e32 v68, 0xe0, v0
	v_mbcnt_lo_u32_b32 v69, -1, 0
	s_waitcnt vmcnt(0) lgkmcnt(0)
	s_barrier
	buffer_gl0_inv
	v_add_nc_u32_e32 v68, s12, v68
	v_xor_b32_e32 v70, 16, v69
	s_delay_alu instid0(VALU_DEP_2) | instskip(NEXT) | instid1(VALU_DEP_2)
	v_or_b32_e32 v68, v68, v74
	v_cmp_gt_i32_e32 vcc_lo, 32, v70
	s_delay_alu instid0(VALU_DEP_2)
	v_or_b32_e32 v71, 4, v68
	v_or_b32_e32 v72, 6, v68
	v_cmp_gt_i32_e64 s2, s17, v68
	v_or_b32_e32 v108, 8, v68
	v_wmma_f32_16x16x16_bf16 v[124:131], v[84:91], v[76:83], v[124:131]
	v_cndmask_b32_e32 v69, v69, v70, vcc_lo
	v_or_b32_e32 v70, 2, v68
	v_wmma_f32_16x16x16_bf16 v[100:107], v[92:99], v[76:83], v[100:107]
	v_or_b32_e32 v109, 10, v68
	v_dual_mul_f32 v80, s18, v129 :: v_dual_mul_f32 v81, s18, v128
	v_dual_mul_f32 v92, s18, v125 :: v_dual_mul_f32 v93, s18, v124
	s_delay_alu instid0(VALU_DEP_4)
	v_mul_f32_e32 v96, s18, v105
	v_cmp_gt_i32_e32 vcc_lo, s17, v70
	v_or_b32_e32 v89, 22, v68
	v_dual_mul_f32 v79, s18, v130 :: v_dual_mul_f32 v82, s18, v127
	v_dual_mul_f32 v83, s18, v126 :: v_dual_mul_f32 v94, s18, v107
	v_cndmask_b32_e64 v93, 0xff7fffff, v93, s2
	v_cndmask_b32_e32 v92, 0xff7fffff, v92, vcc_lo
	v_cmp_gt_i32_e64 s3, s17, v71
	v_cmp_gt_i32_e64 s4, s17, v72
	v_or_b32_e32 v84, 12, v68
	v_or_b32_e32 v85, 14, v68
	v_cmp_gt_i32_e64 s5, s17, v108
	v_cndmask_b32_e64 v71, 0xff7fffff, v83, s3
	v_cndmask_b32_e64 v72, 0xff7fffff, v82, s4
	v_cmp_gt_i32_e64 s6, s17, v109
	v_cmp_gt_i32_e64 s12, s17, v89
	v_lshlrev_b32_e32 v89, 2, v69
	v_max3_f32 v82, v93, 0xff7fffff, v92
	v_or_b32_e32 v86, 16, v68
	v_or_b32_e32 v87, 18, v68
	v_mul_f32_e32 v78, s18, v131
	v_cndmask_b32_e64 v81, 0xff7fffff, v81, s5
	v_cndmask_b32_e64 v80, 0xff7fffff, v80, s6
	v_max3_f32 v71, v82, v71, v72
	v_cmp_gt_i32_e64 s7, s17, v84
	v_cmp_gt_i32_e64 s8, s17, v85
	v_or_b32_e32 v88, 20, v68
	v_or_b32_e32 v90, 24, v68
	;; [unrolled: 1-line block ×5, first 2 shown]
	v_dual_mul_f32 v97, s18, v104 :: v_dual_mul_f32 v70, s18, v101
	v_dual_mul_f32 v99, s18, v102 :: v_dual_mul_f32 v68, s18, v100
	v_cndmask_b32_e64 v72, 0xff7fffff, v79, s7
	v_cndmask_b32_e64 v78, 0xff7fffff, v78, s8
	v_max3_f32 v71, v71, v81, v80
	v_cmp_gt_i32_e64 s9, s17, v86
	v_cmp_gt_i32_e64 s10, s17, v87
	v_dual_mul_f32 v95, s18, v106 :: v_dual_mul_f32 v98, s18, v103
	s_delay_alu instid0(VALU_DEP_4) | instskip(NEXT) | instid1(VALU_DEP_4)
	v_max3_f32 v71, v71, v72, v78
	v_cndmask_b32_e64 v68, 0xff7fffff, v68, s9
	s_delay_alu instid0(VALU_DEP_4)
	v_cndmask_b32_e64 v70, 0xff7fffff, v70, s10
	v_cmp_gt_i32_e64 s11, s17, v88
	v_cndmask_b32_e64 v78, 0xff7fffff, v98, s12
	v_cmp_gt_i32_e64 s13, s17, v90
	v_cmp_gt_i32_e64 s15, s17, v91
	v_max3_f32 v68, v71, v68, v70
	v_cndmask_b32_e64 v72, 0xff7fffff, v99, s11
	v_cmp_gt_i32_e64 s16, s17, v76
	v_cndmask_b32_e64 v70, 0xff7fffff, v97, s13
	v_cndmask_b32_e64 v71, 0xff7fffff, v96, s15
	v_cmp_gt_i32_e64 s17, s17, v77
	v_max3_f32 v68, v68, v72, v78
	v_cndmask_b32_e64 v72, 0xff7fffff, v95, s16
	s_delay_alu instid0(VALU_DEP_3) | instskip(NEXT) | instid1(VALU_DEP_3)
	v_cndmask_b32_e64 v76, 0xff7fffff, v94, s17
	v_max3_f32 v68, v68, v70, v71
	s_delay_alu instid0(VALU_DEP_1) | instskip(SKIP_3) | instid1(VALU_DEP_1)
	v_max3_f32 v68, v68, v72, v76
	ds_bpermute_b32 v69, v89, v68
	s_waitcnt lgkmcnt(0)
	v_max_f32_e32 v69, v69, v69
	v_max_f32_e32 v68, v68, v69
	s_delay_alu instid0(VALU_DEP_1) | instskip(NEXT) | instid1(VALU_DEP_1)
	v_fma_f32 v71, s18, v126, -v68
	v_mul_f32_e32 v71, 0x3fb8aa3b, v71
	v_fma_f32 v70, s18, v125, -v68
	v_fma_f32 v69, s18, v124, -v68
	;; [unrolled: 1-line block ×5, first 2 shown]
	s_delay_alu instid0(VALU_DEP_4) | instskip(SKIP_1) | instid1(VALU_DEP_3)
	v_dual_mul_f32 v70, 0x3fb8aa3b, v70 :: v_dual_mul_f32 v69, 0x3fb8aa3b, v69
	v_exp_f32_e32 v71, v71
	v_mul_f32_e32 v72, 0x3fb8aa3b, v72
	v_fma_f32 v81, s18, v105, -v68
	s_delay_alu instid0(VALU_DEP_3)
	v_exp_f32_e32 v70, v70
	v_mul_f32_e32 v77, 0x3fb8aa3b, v76
	v_exp_f32_e32 v69, v69
	v_exp_f32_e32 v72, v72
	v_mul_f32_e32 v81, 0x3fb8aa3b, v81
	v_cndmask_b32_e64 v83, 0, v71, s3
	v_fma_f32 v71, s18, v131, -v68
	s_delay_alu instid0(VALU_DEP_3) | instskip(SKIP_4) | instid1(TRANS32_DEP_3)
	v_exp_f32_e32 v81, v81
	v_cndmask_b32_e32 v76, 0, v70, vcc_lo
	v_exp_f32_e32 v77, v77
	v_cndmask_b32_e64 v80, 0, v69, s2
	v_fma_f32 v69, s18, v129, -v68
	v_cndmask_b32_e64 v85, 0, v72, s4
	v_mul_f32_e32 v71, 0x3fb8aa3b, v71
	v_fma_f32 v72, s18, v100, -v68
	s_delay_alu instid0(VALU_DEP_4) | instskip(SKIP_1) | instid1(VALU_DEP_4)
	v_dual_add_f32 v70, 0, v80 :: v_dual_mul_f32 v69, 0x3fb8aa3b, v69
	v_cmp_gt_u32_e64 s2, 16, v67
	v_exp_f32_e32 v71, v71
	s_delay_alu instid0(TRANS32_DEP_2) | instskip(SKIP_4) | instid1(VALU_DEP_3)
	v_cndmask_b32_e64 v86, 0, v77, s5
	v_fma_f32 v77, s18, v101, -v68
	v_mul_f32_e32 v78, 0x3fb8aa3b, v78
	v_add_f32_e32 v70, v70, v76
	v_exp_f32_e32 v69, v69
	v_mul_f32_e32 v77, 0x3fb8aa3b, v77
	s_delay_alu instid0(VALU_DEP_3) | instskip(NEXT) | instid1(TRANS32_DEP_3)
	v_exp_f32_e32 v78, v78
	v_cndmask_b32_e64 v88, 0, v71, s8
	v_fma_f32 v71, s18, v104, -v68
	s_delay_alu instid0(VALU_DEP_3) | instskip(NEXT) | instid1(TRANS32_DEP_3)
	v_exp_f32_e32 v77, v77
	v_cndmask_b32_e64 v87, 0, v69, s6
	s_delay_alu instid0(VALU_DEP_2)
	v_mul_f32_e32 v71, 0x3fb8aa3b, v71
	s_waitcnt_depctr 0xfff
	v_cndmask_b32_e64 v84, 0, v78, s7
	v_add_f32_e32 v70, v70, v83
	v_fma_f32 v78, s18, v103, -v68
	v_exp_f32_e32 v82, v71
	s_delay_alu instid0(VALU_DEP_2) | instskip(SKIP_1) | instid1(VALU_DEP_3)
	v_add_f32_e32 v70, v70, v85
	v_mul_f32_e32 v72, 0x3fb8aa3b, v72
	v_mul_f32_e32 v78, 0x3fb8aa3b, v78
	s_delay_alu instid0(VALU_DEP_3) | instskip(SKIP_1) | instid1(VALU_DEP_4)
	v_add_f32_e32 v69, v70, v86
	v_fma_f32 v70, s18, v102, -v68
	v_exp_f32_e32 v72, v72
	s_delay_alu instid0(VALU_DEP_3) | instskip(NEXT) | instid1(VALU_DEP_1)
	v_exp_f32_e32 v78, v78
	v_dual_add_f32 v69, v69, v87 :: v_dual_mul_f32 v70, 0x3fb8aa3b, v70
	s_delay_alu instid0(VALU_DEP_1) | instskip(NEXT) | instid1(VALU_DEP_2)
	v_add_f32_e32 v69, v69, v84
	v_exp_f32_e32 v79, v70
	s_delay_alu instid0(TRANS32_DEP_3) | instskip(NEXT) | instid1(VALU_DEP_2)
	v_cndmask_b32_e64 v70, 0, v72, s9
	v_add_f32_e32 v72, v69, v88
	v_cndmask_b32_e64 v69, 0, v77, s10
	v_fma_f32 v77, s18, v106, -v68
	s_waitcnt_depctr 0xfff
	v_cndmask_b32_e64 v71, 0, v79, s11
	v_dual_mul_f32 v77, 0x3fb8aa3b, v77 :: v_dual_add_f32 v72, v72, v70
	s_delay_alu instid0(VALU_DEP_1) | instskip(NEXT) | instid1(VALU_DEP_1)
	v_exp_f32_e32 v90, v77
	v_add_f32_e32 v79, v72, v69
	v_cndmask_b32_e64 v72, 0, v78, s12
	v_cndmask_b32_e64 v77, 0, v82, s13
	s_delay_alu instid0(VALU_DEP_3) | instskip(SKIP_1) | instid1(VALU_DEP_1)
	v_add_f32_e32 v78, v79, v71
	v_fma_f32 v79, s18, v107, -v68
	v_dual_add_f32 v82, v78, v72 :: v_dual_mul_f32 v79, 0x3fb8aa3b, v79
	v_cndmask_b32_e64 v78, 0, v81, s15
	s_delay_alu instid0(VALU_DEP_2) | instskip(NEXT) | instid1(VALU_DEP_3)
	v_add_f32_e32 v81, v82, v77
	v_exp_f32_e32 v82, v79
	v_cndmask_b32_e64 v79, 0, v90, s16
	s_delay_alu instid0(VALU_DEP_2) | instskip(NEXT) | instid1(VALU_DEP_1)
	v_add_f32_e32 v81, v81, v78
	v_add_f32_e32 v90, v81, v79
	s_waitcnt_depctr 0xfff
	v_cndmask_b32_e64 v81, 0, v82, s17
	s_delay_alu instid0(VALU_DEP_1)
	v_add_f32_e32 v82, v90, v81
	ds_bpermute_b32 v89, v89, v82
	s_and_saveexec_b32 s3, s2
	s_cbranch_execz .LBB1864_12
; %bb.11:
	v_mul_u32_u24_e32 v67, 0x44, v66
	s_delay_alu instid0(VALU_DEP_1) | instskip(SKIP_1) | instid1(VALU_DEP_1)
	v_lshl_add_u32 v67, v65, 2, v67
	s_waitcnt lgkmcnt(0)
	v_dual_add_f32 v82, v82, v89 :: v_dual_add_nc_u32 v67, 0x4000, v67
	ds_store_2addr_b32 v67, v68, v82 offset1:136
.LBB1864_12:
	s_or_b32 exec_lo, exec_lo, s3
	v_lshlrev_b32_e32 v67, 2, v65
	s_waitcnt lgkmcnt(0)
	s_barrier
	buffer_gl0_inv
	v_cmp_eq_u32_e32 vcc_lo, 1, v66
	v_add_nc_u32_e32 v82, 0x4000, v67
	v_cmp_eq_u32_e64 s3, 2, v66
	v_cmp_eq_u32_e64 s5, 7, v66
	ds_load_2addr_b32 v[89:90], v82 offset1:17
	ds_load_2addr_b32 v[91:92], v82 offset0:34 offset1:51
	ds_load_2addr_b32 v[93:94], v82 offset0:68 offset1:85
	;; [unrolled: 1-line block ×4, first 2 shown]
	s_waitcnt lgkmcnt(4)
	v_max3_f32 v67, v89, 0xff7fffff, v90
	s_waitcnt lgkmcnt(3)
	s_delay_alu instid0(VALU_DEP_1) | instskip(SKIP_1) | instid1(VALU_DEP_1)
	v_max3_f32 v67, v67, v91, v92
	s_waitcnt lgkmcnt(2)
	v_max3_f32 v67, v67, v93, v94
	s_waitcnt lgkmcnt(1)
	s_delay_alu instid0(VALU_DEP_1) | instskip(NEXT) | instid1(VALU_DEP_1)
	v_max3_f32 v67, v67, v95, v96
	v_sub_f32_e32 v93, v93, v67
	s_delay_alu instid0(VALU_DEP_1) | instskip(NEXT) | instid1(VALU_DEP_1)
	v_dual_sub_f32 v68, v89, v67 :: v_dual_mul_f32 v103, 0x3fb8aa3b, v93
	v_mul_f32_e32 v68, 0x3fb8aa3b, v68
	s_delay_alu instid0(VALU_DEP_1)
	v_exp_f32_e32 v100, v68
	v_sub_f32_e32 v68, v92, v67
	v_sub_f32_e32 v99, v90, v67
	ds_load_2addr_b32 v[89:90], v82 offset0:170 offset1:187
	v_dual_mul_f32 v102, 0x3fb8aa3b, v68 :: v_dual_mul_f32 v99, 0x3fb8aa3b, v99
	s_waitcnt lgkmcnt(1)
	v_fma_f32 v68, v100, v97, 0
	s_delay_alu instid0(VALU_DEP_2) | instskip(NEXT) | instid1(VALU_DEP_2)
	v_exp_f32_e32 v102, v102
	v_exp_f32_e32 v99, v99
	s_waitcnt_depctr 0xfff
	v_fmac_f32_e32 v68, v99, v98
	v_sub_f32_e32 v91, v91, v67
	s_delay_alu instid0(VALU_DEP_1)
	v_mul_f32_e32 v101, 0x3fb8aa3b, v91
	ds_load_2addr_b32 v[91:92], v82 offset0:204 offset1:221
	v_sub_f32_e32 v97, v94, v67
	ds_load_2addr_b32 v[93:94], v82 offset0:238 offset1:255
	s_waitcnt lgkmcnt(0)
	v_exp_f32_e32 v101, v101
	s_barrier
	buffer_gl0_inv
	v_dual_fmac_f32 v68, v101, v89 :: v_dual_sub_f32 v89, v96, v67
	v_dual_sub_f32 v82, v95, v67 :: v_dual_mul_f32 v95, 0x3fb8aa3b, v97
	v_exp_f32_e32 v97, v103
	s_delay_alu instid0(VALU_DEP_2) | instskip(NEXT) | instid1(VALU_DEP_2)
	v_dual_fmac_f32 v68, v102, v90 :: v_dual_mul_f32 v89, 0x3fb8aa3b, v89
	v_mul_f32_e32 v82, 0x3fb8aa3b, v82
	s_delay_alu instid0(VALU_DEP_3) | instskip(NEXT) | instid1(VALU_DEP_2)
	v_exp_f32_e32 v95, v95
	v_exp_f32_e32 v89, v89
	s_delay_alu instid0(VALU_DEP_1)
	v_exp_f32_e32 v82, v82
	v_fmac_f32_e32 v68, v97, v91
	s_delay_alu instid0(TRANS32_DEP_3) | instid1(VALU_DEP_1)
	v_fmac_f32_e32 v68, v95, v92
	s_waitcnt_depctr 0xfff
	v_fmac_f32_e32 v68, v82, v93
	s_delay_alu instid0(VALU_DEP_1) | instskip(NEXT) | instid1(VALU_DEP_1)
	v_fmac_f32_e32 v68, v89, v94
	v_add_f32_e32 v90, 0x358637bd, v68
	s_delay_alu instid0(VALU_DEP_1) | instskip(NEXT) | instid1(VALU_DEP_1)
	v_div_scale_f32 v91, null, v90, v90, 1.0
	v_rcp_f32_e32 v92, v91
	s_waitcnt_depctr 0xfff
	v_fma_f32 v93, -v91, v92, 1.0
	s_delay_alu instid0(VALU_DEP_1) | instskip(SKIP_1) | instid1(VALU_DEP_2)
	v_dual_fmac_f32 v92, v93, v92 :: v_dual_cndmask_b32 v93, v100, v99
	v_cmp_eq_u32_e32 vcc_lo, 3, v66
	v_cndmask_b32_e64 v93, v93, v101, s3
	v_cmp_eq_u32_e64 s3, 4, v66
	s_delay_alu instid0(VALU_DEP_2) | instskip(SKIP_1) | instid1(VALU_DEP_2)
	v_cndmask_b32_e32 v93, v93, v102, vcc_lo
	v_cmp_eq_u32_e32 vcc_lo, 5, v66
	v_cndmask_b32_e64 v93, v93, v97, s3
	v_cmp_eq_u32_e64 s3, 6, v66
	s_delay_alu instid0(VALU_DEP_2) | instskip(SKIP_1) | instid1(VALU_DEP_1)
	v_cndmask_b32_e32 v93, v93, v95, vcc_lo
	v_div_scale_f32 v94, s4, 1.0, v90, 1.0
	s_mov_b32 vcc_lo, s4
	s_delay_alu instid0(VALU_DEP_2) | instskip(NEXT) | instid1(VALU_DEP_2)
	v_cndmask_b32_e64 v82, v93, v82, s3
	v_mul_f32_e32 v96, v94, v92
	s_mov_b32 s3, exec_lo
	s_delay_alu instid0(VALU_DEP_2) | instskip(NEXT) | instid1(VALU_DEP_2)
	v_cndmask_b32_e64 v82, v82, v89, s5
	v_fma_f32 v98, -v91, v96, v94
	s_delay_alu instid0(VALU_DEP_1) | instskip(NEXT) | instid1(VALU_DEP_1)
	v_fmac_f32_e32 v96, v98, v92
	v_fma_f32 v91, -v91, v96, v94
	s_delay_alu instid0(VALU_DEP_1) | instskip(NEXT) | instid1(VALU_DEP_1)
	v_div_fmas_f32 v91, v91, v92, v96
	v_div_fixup_f32 v90, v91, v90, 1.0
	s_delay_alu instid0(VALU_DEP_1) | instskip(NEXT) | instid1(VALU_DEP_1)
	v_mul_f32_e32 v82, v82, v90
	v_mul_f32_e32 v87, v82, v87
	;; [unrolled: 1-line block ×7, first 2 shown]
	v_dual_mul_f32 v86, v82, v83 :: v_dual_and_b32 v91, 0x7f800000, v90
	v_mul_f32_e32 v85, v82, v76
                                        ; implicit-def: $vgpr76
	s_delay_alu instid0(VALU_DEP_2)
	v_cmpx_ne_u32_e32 0x7f800000, v91
	s_xor_b32 s3, exec_lo, s3
; %bb.13:
	v_bfe_u32 v76, v90, 16, 1
	s_delay_alu instid0(VALU_DEP_1)
	v_add3_u32 v76, v90, v76, 0x7fff
                                        ; implicit-def: $vgpr90
; %bb.14:
	s_and_not1_saveexec_b32 s3, s3
; %bb.15:
	v_and_b32_e32 v76, 0xffff, v90
	v_or_b32_e32 v83, 0x10000, v90
	s_delay_alu instid0(VALU_DEP_2) | instskip(NEXT) | instid1(VALU_DEP_2)
	v_cmp_eq_u32_e32 vcc_lo, 0, v76
	v_cndmask_b32_e32 v76, v83, v90, vcc_lo
; %bb.16:
	s_or_b32 exec_lo, exec_lo, s3
	v_and_b32_e32 v83, 0x7f800000, v85
	s_delay_alu instid0(VALU_DEP_1) | instskip(SKIP_1) | instid1(SALU_CYCLE_1)
	v_cmp_ne_u32_e32 vcc_lo, 0x7f800000, v83
                                        ; implicit-def: $vgpr83
	s_and_saveexec_b32 s3, vcc_lo
	s_xor_b32 s3, exec_lo, s3
; %bb.17:
	v_bfe_u32 v83, v85, 16, 1
	s_delay_alu instid0(VALU_DEP_1)
	v_add3_u32 v83, v85, v83, 0x7fff
                                        ; implicit-def: $vgpr85
; %bb.18:
	s_and_not1_saveexec_b32 s3, s3
; %bb.19:
	v_and_b32_e32 v83, 0xffff, v85
	v_or_b32_e32 v90, 0x10000, v85
	s_delay_alu instid0(VALU_DEP_2) | instskip(NEXT) | instid1(VALU_DEP_2)
	v_cmp_eq_u32_e32 vcc_lo, 0, v83
	v_cndmask_b32_e32 v83, v90, v85, vcc_lo
; %bb.20:
	s_or_b32 exec_lo, exec_lo, s3
	v_and_b32_e32 v85, 0x7f800000, v86
	s_delay_alu instid0(VALU_DEP_1) | instskip(SKIP_1) | instid1(SALU_CYCLE_1)
	v_cmp_ne_u32_e32 vcc_lo, 0x7f800000, v85
                                        ; implicit-def: $vgpr85
	s_and_saveexec_b32 s3, vcc_lo
	s_xor_b32 s3, exec_lo, s3
; %bb.21:
	v_bfe_u32 v85, v86, 16, 1
	s_delay_alu instid0(VALU_DEP_1)
	v_add3_u32 v85, v86, v85, 0x7fff
                                        ; implicit-def: $vgpr86
; %bb.22:
	s_and_not1_saveexec_b32 s3, s3
; %bb.23:
	v_and_b32_e32 v85, 0xffff, v86
	v_or_b32_e32 v90, 0x10000, v86
	s_delay_alu instid0(VALU_DEP_2) | instskip(NEXT) | instid1(VALU_DEP_2)
	v_cmp_eq_u32_e32 vcc_lo, 0, v85
	v_cndmask_b32_e32 v85, v90, v86, vcc_lo
; %bb.24:
	s_or_b32 exec_lo, exec_lo, s3
	v_and_b32_e32 v86, 0x7f800000, v89
	s_delay_alu instid0(VALU_DEP_1) | instskip(SKIP_1) | instid1(SALU_CYCLE_1)
	v_cmp_ne_u32_e32 vcc_lo, 0x7f800000, v86
                                        ; implicit-def: $vgpr86
	s_and_saveexec_b32 s3, vcc_lo
	s_xor_b32 s3, exec_lo, s3
; %bb.25:
	v_bfe_u32 v86, v89, 16, 1
	s_delay_alu instid0(VALU_DEP_1)
	v_add3_u32 v86, v89, v86, 0x7fff
                                        ; implicit-def: $vgpr89
; %bb.26:
	s_and_not1_saveexec_b32 s3, s3
; %bb.27:
	v_and_b32_e32 v86, 0xffff, v89
	v_or_b32_e32 v90, 0x10000, v89
	s_delay_alu instid0(VALU_DEP_2) | instskip(NEXT) | instid1(VALU_DEP_2)
	v_cmp_eq_u32_e32 vcc_lo, 0, v86
	v_cndmask_b32_e32 v86, v90, v89, vcc_lo
; %bb.28:
	s_or_b32 exec_lo, exec_lo, s3
	v_and_b32_e32 v89, 0x7f800000, v88
	s_delay_alu instid0(VALU_DEP_1) | instskip(SKIP_1) | instid1(SALU_CYCLE_1)
	v_cmp_ne_u32_e32 vcc_lo, 0x7f800000, v89
                                        ; implicit-def: $vgpr89
	s_and_saveexec_b32 s3, vcc_lo
	s_xor_b32 s3, exec_lo, s3
; %bb.29:
	v_bfe_u32 v89, v88, 16, 1
	s_delay_alu instid0(VALU_DEP_1)
	v_add3_u32 v89, v88, v89, 0x7fff
                                        ; implicit-def: $vgpr88
; %bb.30:
	s_and_not1_saveexec_b32 s3, s3
; %bb.31:
	v_and_b32_e32 v89, 0xffff, v88
	v_or_b32_e32 v90, 0x10000, v88
	s_delay_alu instid0(VALU_DEP_2) | instskip(NEXT) | instid1(VALU_DEP_2)
	v_cmp_eq_u32_e32 vcc_lo, 0, v89
	v_cndmask_b32_e32 v89, v90, v88, vcc_lo
; %bb.32:
	s_or_b32 exec_lo, exec_lo, s3
	v_and_b32_e32 v88, 0x7f800000, v87
	s_delay_alu instid0(VALU_DEP_1) | instskip(SKIP_1) | instid1(SALU_CYCLE_1)
	v_cmp_ne_u32_e32 vcc_lo, 0x7f800000, v88
                                        ; implicit-def: $vgpr88
	s_and_saveexec_b32 s3, vcc_lo
	s_xor_b32 s3, exec_lo, s3
; %bb.33:
	v_bfe_u32 v88, v87, 16, 1
	s_delay_alu instid0(VALU_DEP_1)
	v_add3_u32 v88, v87, v88, 0x7fff
                                        ; implicit-def: $vgpr87
; %bb.34:
	s_and_not1_saveexec_b32 s3, s3
; %bb.35:
	v_and_b32_e32 v88, 0xffff, v87
	v_or_b32_e32 v90, 0x10000, v87
	s_delay_alu instid0(VALU_DEP_2) | instskip(NEXT) | instid1(VALU_DEP_2)
	v_cmp_eq_u32_e32 vcc_lo, 0, v88
	v_cndmask_b32_e32 v88, v90, v87, vcc_lo
; %bb.36:
	s_or_b32 exec_lo, exec_lo, s3
	v_and_b32_e32 v87, 0x7f800000, v84
	s_delay_alu instid0(VALU_DEP_1) | instskip(SKIP_1) | instid1(SALU_CYCLE_1)
	v_cmp_ne_u32_e32 vcc_lo, 0x7f800000, v87
                                        ; implicit-def: $vgpr87
	s_and_saveexec_b32 s3, vcc_lo
	s_xor_b32 s3, exec_lo, s3
; %bb.37:
	v_bfe_u32 v87, v84, 16, 1
	s_delay_alu instid0(VALU_DEP_1)
	v_add3_u32 v87, v84, v87, 0x7fff
                                        ; implicit-def: $vgpr84
; %bb.38:
	s_and_not1_saveexec_b32 s3, s3
; %bb.39:
	v_and_b32_e32 v87, 0xffff, v84
	v_or_b32_e32 v90, 0x10000, v84
	s_delay_alu instid0(VALU_DEP_2) | instskip(NEXT) | instid1(VALU_DEP_2)
	v_cmp_eq_u32_e32 vcc_lo, 0, v87
	v_cndmask_b32_e32 v87, v90, v84, vcc_lo
; %bb.40:
	s_or_b32 exec_lo, exec_lo, s3
	v_and_b32_e32 v84, 0x7f800000, v80
	s_delay_alu instid0(VALU_DEP_1) | instskip(SKIP_1) | instid1(SALU_CYCLE_1)
	v_cmp_ne_u32_e32 vcc_lo, 0x7f800000, v84
                                        ; implicit-def: $vgpr84
	s_and_saveexec_b32 s3, vcc_lo
	s_xor_b32 s3, exec_lo, s3
; %bb.41:
	v_bfe_u32 v84, v80, 16, 1
	s_delay_alu instid0(VALU_DEP_1)
	v_add3_u32 v84, v80, v84, 0x7fff
                                        ; implicit-def: $vgpr80
; %bb.42:
	s_and_not1_saveexec_b32 s3, s3
; %bb.43:
	v_and_b32_e32 v84, 0xffff, v80
	v_or_b32_e32 v90, 0x10000, v80
	s_delay_alu instid0(VALU_DEP_2) | instskip(NEXT) | instid1(VALU_DEP_2)
	v_cmp_eq_u32_e32 vcc_lo, 0, v84
	v_cndmask_b32_e32 v84, v90, v80, vcc_lo
; %bb.44:
	s_or_b32 exec_lo, exec_lo, s3
	s_load_b64 s[34:35], s[0:1], 0x94
	v_lshlrev_b32_e32 v91, 4, v74
	s_delay_alu instid0(VALU_DEP_2)
	v_perm_b32 v90, v84, v87, 0x7060302
	v_dual_mul_f32 v79, v82, v79 :: v_dual_lshlrev_b32 v80, 6, v65
	v_dual_mul_f32 v77, v82, v77 :: v_dual_lshlrev_b32 v92, 11, v66
	v_mul_f32_e32 v84, v82, v70
	v_perm_b32 v89, v88, v89, 0x7060302
	v_perm_b32 v88, v86, v85, 0x7060302
	;; [unrolled: 1-line block ×3, first 2 shown]
	v_mul_f32_e32 v70, v82, v81
	v_or3_b32 v76, v91, v92, v80
	v_dual_mul_f32 v78, v82, v78 :: v_dual_and_b32 v85, 0x7f800000, v84
	v_mul_f32_e32 v83, v82, v72
	v_mul_f32_e32 v81, v82, v71
	;; [unrolled: 1-line block ×3, first 2 shown]
	s_mov_b32 s3, exec_lo
	ds_store_b128 v76, v[87:90]
                                        ; implicit-def: $vgpr69
	v_cmpx_ne_u32_e32 0x7f800000, v85
	s_xor_b32 s3, exec_lo, s3
; %bb.45:
	v_bfe_u32 v69, v84, 16, 1
	s_delay_alu instid0(VALU_DEP_1)
	v_add3_u32 v69, v84, v69, 0x7fff
                                        ; implicit-def: $vgpr84
; %bb.46:
	s_and_not1_saveexec_b32 s3, s3
; %bb.47:
	v_and_b32_e32 v69, 0xffff, v84
	v_or_b32_e32 v71, 0x10000, v84
	s_delay_alu instid0(VALU_DEP_2) | instskip(NEXT) | instid1(VALU_DEP_2)
	v_cmp_eq_u32_e32 vcc_lo, 0, v69
	v_cndmask_b32_e32 v69, v71, v84, vcc_lo
; %bb.48:
	s_or_b32 exec_lo, exec_lo, s3
	v_and_b32_e32 v71, 0x7f800000, v72
	s_delay_alu instid0(VALU_DEP_1) | instskip(SKIP_1) | instid1(SALU_CYCLE_1)
	v_cmp_ne_u32_e32 vcc_lo, 0x7f800000, v71
                                        ; implicit-def: $vgpr71
	s_and_saveexec_b32 s3, vcc_lo
	s_xor_b32 s3, exec_lo, s3
; %bb.49:
	v_bfe_u32 v71, v72, 16, 1
	s_delay_alu instid0(VALU_DEP_1)
	v_add3_u32 v71, v72, v71, 0x7fff
                                        ; implicit-def: $vgpr72
; %bb.50:
	s_and_not1_saveexec_b32 s3, s3
; %bb.51:
	v_and_b32_e32 v71, 0xffff, v72
	v_or_b32_e32 v82, 0x10000, v72
	s_delay_alu instid0(VALU_DEP_2) | instskip(NEXT) | instid1(VALU_DEP_2)
	v_cmp_eq_u32_e32 vcc_lo, 0, v71
	v_cndmask_b32_e32 v71, v82, v72, vcc_lo
; %bb.52:
	s_or_b32 exec_lo, exec_lo, s3
	v_and_b32_e32 v72, 0x7f800000, v81
	s_delay_alu instid0(VALU_DEP_1) | instskip(SKIP_1) | instid1(SALU_CYCLE_1)
	v_cmp_ne_u32_e32 vcc_lo, 0x7f800000, v72
                                        ; implicit-def: $vgpr72
	s_and_saveexec_b32 s3, vcc_lo
	s_xor_b32 s3, exec_lo, s3
; %bb.53:
	v_bfe_u32 v72, v81, 16, 1
	s_delay_alu instid0(VALU_DEP_1)
	v_add3_u32 v72, v81, v72, 0x7fff
                                        ; implicit-def: $vgpr81
; %bb.54:
	s_and_not1_saveexec_b32 s3, s3
; %bb.55:
	v_and_b32_e32 v72, 0xffff, v81
	v_or_b32_e32 v82, 0x10000, v81
	s_delay_alu instid0(VALU_DEP_2) | instskip(NEXT) | instid1(VALU_DEP_2)
	v_cmp_eq_u32_e32 vcc_lo, 0, v72
	v_cndmask_b32_e32 v72, v82, v81, vcc_lo
; %bb.56:
	s_or_b32 exec_lo, exec_lo, s3
	v_and_b32_e32 v81, 0x7f800000, v83
	s_delay_alu instid0(VALU_DEP_1) | instskip(SKIP_1) | instid1(SALU_CYCLE_1)
	v_cmp_ne_u32_e32 vcc_lo, 0x7f800000, v81
                                        ; implicit-def: $vgpr81
	s_and_saveexec_b32 s3, vcc_lo
	s_xor_b32 s3, exec_lo, s3
; %bb.57:
	v_bfe_u32 v81, v83, 16, 1
	s_delay_alu instid0(VALU_DEP_1)
	v_add3_u32 v81, v83, v81, 0x7fff
                                        ; implicit-def: $vgpr83
; %bb.58:
	s_and_not1_saveexec_b32 s3, s3
; %bb.59:
	v_and_b32_e32 v81, 0xffff, v83
	v_or_b32_e32 v82, 0x10000, v83
	s_delay_alu instid0(VALU_DEP_2) | instskip(NEXT) | instid1(VALU_DEP_2)
	v_cmp_eq_u32_e32 vcc_lo, 0, v81
	v_cndmask_b32_e32 v81, v82, v83, vcc_lo
; %bb.60:
	s_or_b32 exec_lo, exec_lo, s3
	v_and_b32_e32 v82, 0x7f800000, v77
	s_delay_alu instid0(VALU_DEP_1) | instskip(SKIP_1) | instid1(SALU_CYCLE_1)
	v_cmp_ne_u32_e32 vcc_lo, 0x7f800000, v82
                                        ; implicit-def: $vgpr82
	s_and_saveexec_b32 s3, vcc_lo
	s_xor_b32 s3, exec_lo, s3
; %bb.61:
	v_bfe_u32 v82, v77, 16, 1
	s_delay_alu instid0(VALU_DEP_1)
	v_add3_u32 v82, v77, v82, 0x7fff
                                        ; implicit-def: $vgpr77
; %bb.62:
	s_and_not1_saveexec_b32 s3, s3
; %bb.63:
	v_and_b32_e32 v82, 0xffff, v77
	v_or_b32_e32 v83, 0x10000, v77
	s_delay_alu instid0(VALU_DEP_2) | instskip(NEXT) | instid1(VALU_DEP_2)
	v_cmp_eq_u32_e32 vcc_lo, 0, v82
	v_cndmask_b32_e32 v82, v83, v77, vcc_lo
; %bb.64:
	s_or_b32 exec_lo, exec_lo, s3
	v_and_b32_e32 v77, 0x7f800000, v78
	s_delay_alu instid0(VALU_DEP_1) | instskip(SKIP_1) | instid1(SALU_CYCLE_1)
	v_cmp_ne_u32_e32 vcc_lo, 0x7f800000, v77
                                        ; implicit-def: $vgpr77
	s_and_saveexec_b32 s3, vcc_lo
	s_xor_b32 s3, exec_lo, s3
; %bb.65:
	v_bfe_u32 v77, v78, 16, 1
	s_delay_alu instid0(VALU_DEP_1)
	v_add3_u32 v77, v78, v77, 0x7fff
                                        ; implicit-def: $vgpr78
; %bb.66:
	s_and_not1_saveexec_b32 s3, s3
; %bb.67:
	v_and_b32_e32 v77, 0xffff, v78
	v_or_b32_e32 v83, 0x10000, v78
	s_delay_alu instid0(VALU_DEP_2) | instskip(NEXT) | instid1(VALU_DEP_2)
	v_cmp_eq_u32_e32 vcc_lo, 0, v77
	v_cndmask_b32_e32 v77, v83, v78, vcc_lo
; %bb.68:
	s_or_b32 exec_lo, exec_lo, s3
	v_and_b32_e32 v78, 0x7f800000, v79
	s_delay_alu instid0(VALU_DEP_1) | instskip(SKIP_1) | instid1(SALU_CYCLE_1)
	v_cmp_ne_u32_e32 vcc_lo, 0x7f800000, v78
                                        ; implicit-def: $vgpr78
	s_and_saveexec_b32 s3, vcc_lo
	s_xor_b32 s3, exec_lo, s3
; %bb.69:
	v_bfe_u32 v78, v79, 16, 1
	s_delay_alu instid0(VALU_DEP_1)
	v_add3_u32 v78, v79, v78, 0x7fff
                                        ; implicit-def: $vgpr79
; %bb.70:
	s_and_not1_saveexec_b32 s3, s3
; %bb.71:
	v_and_b32_e32 v78, 0xffff, v79
	v_or_b32_e32 v83, 0x10000, v79
	s_delay_alu instid0(VALU_DEP_2) | instskip(NEXT) | instid1(VALU_DEP_2)
	v_cmp_eq_u32_e32 vcc_lo, 0, v78
	v_cndmask_b32_e32 v78, v83, v79, vcc_lo
; %bb.72:
	s_or_b32 exec_lo, exec_lo, s3
	v_and_b32_e32 v79, 0x7f800000, v70
	s_delay_alu instid0(VALU_DEP_1) | instskip(SKIP_1) | instid1(SALU_CYCLE_1)
	v_cmp_ne_u32_e32 vcc_lo, 0x7f800000, v79
                                        ; implicit-def: $vgpr79
	s_and_saveexec_b32 s3, vcc_lo
	s_xor_b32 s3, exec_lo, s3
; %bb.73:
	v_bfe_u32 v79, v70, 16, 1
	s_delay_alu instid0(VALU_DEP_1)
	v_add3_u32 v79, v70, v79, 0x7fff
                                        ; implicit-def: $vgpr70
; %bb.74:
	s_and_not1_saveexec_b32 s3, s3
; %bb.75:
	v_and_b32_e32 v79, 0xffff, v70
	v_or_b32_e32 v83, 0x10000, v70
	s_delay_alu instid0(VALU_DEP_2) | instskip(NEXT) | instid1(VALU_DEP_2)
	v_cmp_eq_u32_e32 vcc_lo, 0, v79
	v_cndmask_b32_e32 v79, v83, v70, vcc_lo
; %bb.76:
	s_or_b32 exec_lo, exec_lo, s3
	s_delay_alu instid0(VALU_DEP_1)
	v_perm_b32 v86, v79, v78, 0x7060302
	v_perm_b32 v85, v77, v82, 0x7060302
	;; [unrolled: 1-line block ×4, first 2 shown]
	v_lshl_or_b32 v82, v66, 11, v80
	ds_store_b128 v76, v[83:86] offset:1024
	s_waitcnt lgkmcnt(0)
	s_barrier
	buffer_gl0_inv
	ds_load_b128 v[69:72], v82
	ds_load_b128 v[83:86], v82 offset:16
	s_waitcnt lgkmcnt(1)
	v_lshrrev_b32_e32 v66, 16, v69
	s_waitcnt lgkmcnt(0)
	v_lshrrev_b32_e32 v91, 16, v83
	v_lshlrev_b32_e32 v78, 2, v74
	v_lshrrev_b32_e32 v95, 16, v70
	v_lshrrev_b32_e32 v98, 16, v84
	;; [unrolled: 1-line block ×4, first 2 shown]
	v_cmp_eq_u32_e32 vcc_lo, 1, v78
	v_lshrrev_b32_e32 v97, 16, v72
	v_lshrrev_b32_e32 v100, 16, v86
	v_cndmask_b32_e32 v87, v83, v91, vcc_lo
	v_or_b32_e32 v79, 1, v78
	v_cndmask_b32_e32 v81, v69, v66, vcc_lo
	v_cmp_eq_u32_e64 s4, 2, v78
	v_cmp_eq_u32_e64 s7, 3, v78
	;; [unrolled: 1-line block ×5, first 2 shown]
	v_cndmask_b32_e64 v81, v81, v70, s4
	v_cndmask_b32_e64 v87, v87, v84, s4
	v_cmp_eq_u32_e64 s8, 3, v79
	v_cndmask_b32_e64 v88, v69, v66, s3
	v_or_b32_e32 v77, 2, v78
	v_cndmask_b32_e64 v81, v81, v95, s7
	v_cndmask_b32_e64 v87, v87, v98, s7
	;; [unrolled: 1-line block ×4, first 2 shown]
	v_cmp_eq_u32_e64 s10, 5, v78
	v_cndmask_b32_e64 v81, v81, v71, s9
	v_cndmask_b32_e64 v87, v87, v85, s9
	v_cmp_eq_u32_e64 s11, 4, v79
	v_cndmask_b32_e64 v88, v88, v95, s8
	v_cmp_eq_u32_e64 s5, 1, v77
	v_cndmask_b32_e64 v89, v89, v84, s6
	v_cndmask_b32_e64 v81, v81, v96, s10
	v_cmp_eq_u32_e64 s12, 6, v78
	v_cndmask_b32_e64 v88, v88, v71, s11
	;; [unrolled: 3-line block ×3, first 2 shown]
	v_cndmask_b32_e64 v89, v89, v98, s8
	v_cndmask_b32_e64 v81, v81, v72, s12
	v_cmp_eq_u32_e64 s15, 7, v78
	v_cndmask_b32_e64 v88, v88, v96, s13
	v_cndmask_b32_e64 v87, v87, v86, s12
	v_cmp_eq_u32_e64 s16, 6, v79
	v_cmp_eq_u32_e64 s17, 2, v77
	v_cndmask_b32_e64 v89, v89, v85, s11
	v_cndmask_b32_e64 v101, v81, v97, s15
	;; [unrolled: 1-line block ×6, first 2 shown]
	v_cmp_eq_u32_e64 s18, 7, v79
	v_cmp_eq_u32_e64 s19, 3, v77
	;; [unrolled: 1-line block ×4, first 2 shown]
	v_cndmask_b32_e64 v87, v87, v84, s17
	v_cndmask_b32_e64 v103, v88, v97, s18
	;; [unrolled: 1-line block ×4, first 2 shown]
	v_or_b32_e32 v81, 3, v78
	v_cndmask_b32_e64 v93, v87, v98, s19
	v_cmp_eq_u32_e64 s24, 6, v77
	v_cndmask_b32_e64 v104, v88, v86, s16
	v_cndmask_b32_e64 v92, v89, v71, s20
	v_cmp_eq_u32_e64 s21, 1, v81
	ds_load_b128 v[87:90], v82 offset:1024
	v_cmp_eq_u32_e64 s23, 2, v81
	v_cmp_eq_u32_e64 s25, 3, v81
	v_cndmask_b32_e64 v105, v92, v96, s22
	v_cndmask_b32_e64 v66, v69, v66, s21
	;; [unrolled: 1-line block ×4, first 2 shown]
	ds_load_b128 v[91:94], v82 offset:1040
	v_cmp_eq_u32_e64 s26, 4, v81
	v_cndmask_b32_e64 v66, v66, v70, s23
	v_cmp_eq_u32_e64 s27, 7, v77
	v_cndmask_b32_e64 v70, v83, v84, s23
	v_cndmask_b32_e64 v84, v105, v72, s24
	v_cmp_eq_u32_e64 s28, 5, v81
	v_cndmask_b32_e64 v66, v66, v95, s25
	v_cmp_eq_u32_e64 s29, 6, v81
	v_cndmask_b32_e64 v70, v70, v98, s25
	v_cndmask_b32_e64 v69, v69, v99, s22
	;; [unrolled: 1-line block ×4, first 2 shown]
	s_waitcnt lgkmcnt(1)
	v_lshrrev_b32_e32 v95, 16, v87
	v_cndmask_b32_e64 v70, v70, v85, s26
	v_cndmask_b32_e64 v71, v84, v97, s27
	;; [unrolled: 1-line block ×4, first 2 shown]
	v_cndmask_b32_e32 v84, v87, v95, vcc_lo
	v_cndmask_b32_e64 v70, v70, v99, s28
	s_waitcnt lgkmcnt(0)
	v_lshrrev_b32_e32 v85, 16, v91
	v_lshrrev_b32_e32 v96, 16, v88
	v_cndmask_b32_e64 v98, v87, v95, s3
	v_cndmask_b32_e64 v84, v84, v88, s4
	;; [unrolled: 1-line block ×3, first 2 shown]
	v_cndmask_b32_e32 v99, v91, v85, vcc_lo
	v_cmp_eq_u32_e32 vcc_lo, 7, v81
	v_cndmask_b32_e64 v66, v66, v72, s29
	v_cndmask_b32_e64 v72, v84, v96, s7
	;; [unrolled: 1-line block ×3, first 2 shown]
	v_lshrrev_b32_e32 v98, 16, v92
	v_cndmask_b32_e32 v70, v70, v100, vcc_lo
	v_cndmask_b32_e64 v86, v99, v92, s4
	v_cndmask_b32_e64 v69, v69, v100, s27
	v_lshrrev_b32_e32 v100, 16, v93
	v_cndmask_b32_e64 v72, v72, v89, s9
	v_lshrrev_b32_e32 v99, 16, v89
	v_cndmask_b32_e64 v86, v86, v98, s7
	v_perm_b32 v71, v69, v71, 0x5040100
	v_cndmask_b32_e64 v84, v84, v96, s8
	s_delay_alu instid0(VALU_DEP_3) | instskip(NEXT) | instid1(VALU_DEP_2)
	v_cndmask_b32_e64 v86, v86, v93, s9
	v_cndmask_b32_e64 v84, v84, v89, s11
	s_delay_alu instid0(VALU_DEP_2) | instskip(NEXT) | instid1(VALU_DEP_1)
	v_cndmask_b32_e64 v86, v86, v100, s10
	v_cndmask_b32_e64 v69, v86, v94, s12
	;; [unrolled: 1-line block ×5, first 2 shown]
	s_delay_alu instid0(VALU_DEP_3) | instskip(NEXT) | instid1(VALU_DEP_3)
	v_cndmask_b32_e64 v86, v86, v88, s17
	v_cndmask_b32_e64 v87, v87, v88, s23
	s_delay_alu instid0(VALU_DEP_3) | instskip(NEXT) | instid1(VALU_DEP_3)
	v_cndmask_b32_e64 v88, v95, v92, s23
	v_cndmask_b32_e64 v86, v86, v96, s19
	;; [unrolled: 3-line block ×7, first 2 shown]
	s_delay_alu instid0(VALU_DEP_3) | instskip(SKIP_2) | instid1(VALU_DEP_2)
	v_cndmask_b32_e64 v88, v88, v94, s29
	v_cndmask_b32_e32 v66, v66, v97, vcc_lo
	v_cndmask_b32_e64 v97, v72, v99, s10
	v_perm_b32 v72, v70, v66, 0x5040100
	v_perm_b32 v70, v83, v103, 0x5040100
	v_cndmask_b32_e64 v103, v91, v85, s5
	v_cndmask_b32_e64 v85, v91, v85, s3
	;; [unrolled: 1-line block ×4, first 2 shown]
	v_lshrrev_b32_e32 v97, 16, v90
	v_cndmask_b32_e64 v91, v103, v92, s17
	v_cndmask_b32_e64 v85, v85, v92, s6
	;; [unrolled: 1-line block ×3, first 2 shown]
	s_mov_b32 s3, exec_lo
	v_cndmask_b32_e64 v83, v84, v97, s15
	v_cndmask_b32_e64 v91, v91, v98, s19
	;; [unrolled: 1-line block ×3, first 2 shown]
	v_lshrrev_b32_e32 v84, 16, v94
	v_cndmask_b32_e64 v66, v66, v97, s18
	v_cndmask_b32_e64 v90, v86, v97, s27
	;; [unrolled: 1-line block ×4, first 2 shown]
	v_dual_cndmask_b32 v86, v87, v97 :: v_dual_cndmask_b32 v87, v88, v84
	v_cndmask_b32_e64 v91, v69, v84, s15
	s_delay_alu instid0(VALU_DEP_4) | instskip(NEXT) | instid1(VALU_DEP_4)
	v_cndmask_b32_e64 v89, v89, v100, s22
	v_cndmask_b32_e64 v85, v85, v100, s13
	v_perm_b32 v69, v102, v101, 0x5040100
	v_perm_b32 v86, v87, v86, 0x5040100
	;; [unrolled: 1-line block ×3, first 2 shown]
	v_cndmask_b32_e64 v89, v89, v94, s24
	v_cndmask_b32_e64 v85, v85, v94, s16
	s_mul_i32 s8, s35, 11
	s_delay_alu instid0(VALU_DEP_2) | instskip(NEXT) | instid1(VALU_DEP_2)
	v_cndmask_b32_e64 v88, v89, v84, s27
	v_cndmask_b32_e64 v89, v85, v84, s18
	s_delay_alu instid0(VALU_DEP_2) | instskip(NEXT) | instid1(VALU_DEP_2)
	v_perm_b32 v85, v88, v90, 0x5040100
	v_perm_b32 v84, v89, v66, 0x5040100
	ds_store_b128 v76, v[69:72]
	ds_store_b128 v76, v[83:86] offset:1024
	v_cmpx_gt_u32_e32 11, v0
	s_cbranch_execz .LBB1864_78
; %bb.77:
	s_mul_i32 s4, s8, s30
	s_delay_alu instid0(SALU_CYCLE_1) | instskip(SKIP_1) | instid1(VALU_DEP_1)
	v_add3_u32 v69, s4, s31, v65
	s_load_b128 s[4:7], s[0:1], 0x58
	v_mad_u64_u32 v[65:66], null, v69, s34, s[14:15]
	s_delay_alu instid0(VALU_DEP_1) | instskip(NEXT) | instid1(VALU_DEP_1)
	v_ashrrev_i32_e32 v66, 31, v65
	v_lshlrev_b64 v[65:66], 2, v[65:66]
	s_waitcnt lgkmcnt(0)
	s_delay_alu instid0(VALU_DEP_1) | instskip(NEXT) | instid1(VALU_DEP_2)
	v_add_co_u32 v69, vcc_lo, s6, v65
	v_add_co_ci_u32_e32 v70, vcc_lo, s7, v66, vcc_lo
	v_add_co_u32 v65, vcc_lo, s4, v65
	v_add_co_ci_u32_e32 v66, vcc_lo, s5, v66, vcc_lo
	global_store_b32 v[69:70], v67, off
	global_store_b32 v[65:66], v68, off
.LBB1864_78:
	s_or_b32 exec_lo, exec_lo, s3
	s_waitcnt lgkmcnt(0)
	s_waitcnt_vscnt null, 0x0
	s_barrier
	buffer_gl0_inv
	ds_load_b128 v[83:86], v80
	ds_load_b128 v[87:90], v80 offset:16
	ds_load_b128 v[95:98], v80 offset:2064
	;; [unrolled: 1-line block ×3, first 2 shown]
	v_mov_b32_e32 v65, 0
	ds_load_b128 v[103:106], v80 offset:4112
	ds_load_b128 v[99:102], v80 offset:4096
	;; [unrolled: 1-line block ×4, first 2 shown]
	v_mov_b32_e32 v66, v65
	v_mov_b32_e32 v67, v65
	;; [unrolled: 1-line block ×7, first 2 shown]
	s_waitcnt lgkmcnt(6)
	s_delay_alu instid0(VALU_DEP_1)
	v_wmma_f32_16x16x16_bf16 v[65:72], v[49:56], v[83:90], v[65:72]
	ds_load_b128 v[53:56], v80 offset:8208
	ds_load_b128 v[49:52], v80 offset:8192
	s_waitcnt lgkmcnt(6)
	v_wmma_f32_16x16x16_bf16 v[65:72], v[41:48], v[91:98], v[65:72]
	ds_load_b128 v[45:48], v80 offset:10256
	ds_load_b128 v[41:44], v80 offset:10240
	s_waitcnt lgkmcnt(6)
	;; [unrolled: 4-line block ×4, first 2 shown]
	v_wmma_f32_16x16x16_bf16 v[65:72], v[1:8], v[49:56], v[65:72]
	s_waitcnt lgkmcnt(4)
	s_delay_alu instid0(VALU_DEP_1) | instskip(SKIP_1) | instid1(VALU_DEP_1)
	v_wmma_f32_16x16x16_bf16 v[65:72], v[9:16], v[41:48], v[65:72]
	s_waitcnt lgkmcnt(2)
	v_wmma_f32_16x16x16_bf16 v[65:72], v[17:24], v[33:40], v[65:72]
	s_waitcnt lgkmcnt(0)
	s_delay_alu instid0(VALU_DEP_1) | instskip(NEXT) | instid1(VALU_DEP_1)
	v_wmma_f32_16x16x16_bf16 v[65:72], v[57:64], v[25:32], v[65:72]
	v_and_b32_e32 v1, 0x7f800000, v65
	s_delay_alu instid0(VALU_DEP_1) | instskip(SKIP_1) | instid1(SALU_CYCLE_1)
	v_cmp_ne_u32_e32 vcc_lo, 0x7f800000, v1
                                        ; implicit-def: $vgpr1
	s_and_saveexec_b32 s3, vcc_lo
	s_xor_b32 s3, exec_lo, s3
; %bb.79:
	v_bfe_u32 v1, v65, 16, 1
	s_delay_alu instid0(VALU_DEP_1)
	v_add3_u32 v1, v65, v1, 0x7fff
; %bb.80:
	s_and_not1_saveexec_b32 s3, s3
; %bb.81:
	v_and_b32_e32 v1, 0xffff, v65
	v_or_b32_e32 v2, 0x10000, v65
	s_delay_alu instid0(VALU_DEP_2) | instskip(NEXT) | instid1(VALU_DEP_2)
	v_cmp_eq_u32_e32 vcc_lo, 0, v1
	v_cndmask_b32_e32 v1, v2, v65, vcc_lo
; %bb.82:
	s_or_b32 exec_lo, exec_lo, s3
	v_and_b32_e32 v2, 0x7f800000, v66
	s_delay_alu instid0(VALU_DEP_1) | instskip(SKIP_1) | instid1(SALU_CYCLE_1)
	v_cmp_ne_u32_e32 vcc_lo, 0x7f800000, v2
                                        ; implicit-def: $vgpr2
	s_and_saveexec_b32 s3, vcc_lo
	s_xor_b32 s3, exec_lo, s3
; %bb.83:
	v_bfe_u32 v2, v66, 16, 1
	s_delay_alu instid0(VALU_DEP_1)
	v_add3_u32 v2, v66, v2, 0x7fff
; %bb.84:
	s_and_not1_saveexec_b32 s3, s3
; %bb.85:
	v_and_b32_e32 v2, 0xffff, v66
	v_or_b32_e32 v3, 0x10000, v66
	s_delay_alu instid0(VALU_DEP_2) | instskip(NEXT) | instid1(VALU_DEP_2)
	v_cmp_eq_u32_e32 vcc_lo, 0, v2
	v_cndmask_b32_e32 v2, v3, v66, vcc_lo
; %bb.86:
	s_or_b32 exec_lo, exec_lo, s3
	v_and_b32_e32 v3, 0x7f800000, v67
	s_delay_alu instid0(VALU_DEP_1) | instskip(SKIP_1) | instid1(SALU_CYCLE_1)
	v_cmp_ne_u32_e32 vcc_lo, 0x7f800000, v3
                                        ; implicit-def: $vgpr3
	s_and_saveexec_b32 s3, vcc_lo
	s_xor_b32 s3, exec_lo, s3
; %bb.87:
	v_bfe_u32 v3, v67, 16, 1
	s_delay_alu instid0(VALU_DEP_1)
	v_add3_u32 v3, v67, v3, 0x7fff
; %bb.88:
	s_and_not1_saveexec_b32 s3, s3
; %bb.89:
	v_and_b32_e32 v3, 0xffff, v67
	v_or_b32_e32 v4, 0x10000, v67
	s_delay_alu instid0(VALU_DEP_2) | instskip(NEXT) | instid1(VALU_DEP_2)
	v_cmp_eq_u32_e32 vcc_lo, 0, v3
	v_cndmask_b32_e32 v3, v4, v67, vcc_lo
; %bb.90:
	s_or_b32 exec_lo, exec_lo, s3
	v_and_b32_e32 v4, 0x7f800000, v68
	s_delay_alu instid0(VALU_DEP_1) | instskip(SKIP_1) | instid1(SALU_CYCLE_1)
	v_cmp_ne_u32_e32 vcc_lo, 0x7f800000, v4
                                        ; implicit-def: $vgpr4
	s_and_saveexec_b32 s3, vcc_lo
	s_xor_b32 s3, exec_lo, s3
; %bb.91:
	v_bfe_u32 v4, v68, 16, 1
	s_delay_alu instid0(VALU_DEP_1)
	v_add3_u32 v4, v68, v4, 0x7fff
; %bb.92:
	s_and_not1_saveexec_b32 s3, s3
; %bb.93:
	v_and_b32_e32 v4, 0xffff, v68
	v_or_b32_e32 v5, 0x10000, v68
	s_delay_alu instid0(VALU_DEP_2) | instskip(NEXT) | instid1(VALU_DEP_2)
	v_cmp_eq_u32_e32 vcc_lo, 0, v4
	v_cndmask_b32_e32 v4, v5, v68, vcc_lo
; %bb.94:
	s_or_b32 exec_lo, exec_lo, s3
	v_and_b32_e32 v5, 0x7f800000, v69
	s_delay_alu instid0(VALU_DEP_1) | instskip(SKIP_1) | instid1(SALU_CYCLE_1)
	v_cmp_ne_u32_e32 vcc_lo, 0x7f800000, v5
                                        ; implicit-def: $vgpr5
	s_and_saveexec_b32 s3, vcc_lo
	s_xor_b32 s3, exec_lo, s3
; %bb.95:
	v_bfe_u32 v5, v69, 16, 1
	s_delay_alu instid0(VALU_DEP_1)
	v_add3_u32 v5, v69, v5, 0x7fff
; %bb.96:
	s_and_not1_saveexec_b32 s3, s3
; %bb.97:
	v_and_b32_e32 v5, 0xffff, v69
	v_or_b32_e32 v6, 0x10000, v69
	s_delay_alu instid0(VALU_DEP_2) | instskip(NEXT) | instid1(VALU_DEP_2)
	v_cmp_eq_u32_e32 vcc_lo, 0, v5
	v_cndmask_b32_e32 v5, v6, v69, vcc_lo
; %bb.98:
	s_or_b32 exec_lo, exec_lo, s3
	v_and_b32_e32 v6, 0x7f800000, v70
	s_delay_alu instid0(VALU_DEP_1) | instskip(SKIP_1) | instid1(SALU_CYCLE_1)
	v_cmp_ne_u32_e32 vcc_lo, 0x7f800000, v6
                                        ; implicit-def: $vgpr6
	s_and_saveexec_b32 s3, vcc_lo
	s_xor_b32 s3, exec_lo, s3
; %bb.99:
	v_bfe_u32 v6, v70, 16, 1
	s_delay_alu instid0(VALU_DEP_1)
	v_add3_u32 v6, v70, v6, 0x7fff
; %bb.100:
	s_and_not1_saveexec_b32 s3, s3
; %bb.101:
	v_and_b32_e32 v6, 0xffff, v70
	v_or_b32_e32 v7, 0x10000, v70
	s_delay_alu instid0(VALU_DEP_2) | instskip(NEXT) | instid1(VALU_DEP_2)
	v_cmp_eq_u32_e32 vcc_lo, 0, v6
	v_cndmask_b32_e32 v6, v7, v70, vcc_lo
; %bb.102:
	s_or_b32 exec_lo, exec_lo, s3
	v_and_b32_e32 v7, 0x7f800000, v71
	s_delay_alu instid0(VALU_DEP_1) | instskip(SKIP_1) | instid1(SALU_CYCLE_1)
	v_cmp_ne_u32_e32 vcc_lo, 0x7f800000, v7
                                        ; implicit-def: $vgpr7
	s_and_saveexec_b32 s3, vcc_lo
	s_xor_b32 s3, exec_lo, s3
; %bb.103:
	v_bfe_u32 v7, v71, 16, 1
	s_delay_alu instid0(VALU_DEP_1)
	v_add3_u32 v7, v71, v7, 0x7fff
; %bb.104:
	s_and_not1_saveexec_b32 s3, s3
; %bb.105:
	v_and_b32_e32 v7, 0xffff, v71
	v_or_b32_e32 v8, 0x10000, v71
	s_delay_alu instid0(VALU_DEP_2) | instskip(NEXT) | instid1(VALU_DEP_2)
	v_cmp_eq_u32_e32 vcc_lo, 0, v7
	v_cndmask_b32_e32 v7, v8, v71, vcc_lo
; %bb.106:
	s_or_b32 exec_lo, exec_lo, s3
	v_and_b32_e32 v8, 0x7f800000, v72
	s_delay_alu instid0(VALU_DEP_1) | instskip(SKIP_1) | instid1(SALU_CYCLE_1)
	v_cmp_ne_u32_e32 vcc_lo, 0x7f800000, v8
                                        ; implicit-def: $vgpr8
	s_and_saveexec_b32 s3, vcc_lo
	s_xor_b32 s3, exec_lo, s3
; %bb.107:
	v_bfe_u32 v8, v72, 16, 1
	s_delay_alu instid0(VALU_DEP_1)
	v_add3_u32 v8, v72, v8, 0x7fff
                                        ; implicit-def: $vgpr65_vgpr66_vgpr67_vgpr68_vgpr69_vgpr70_vgpr71_vgpr72
; %bb.108:
	s_and_not1_saveexec_b32 s3, s3
; %bb.109:
	v_and_b32_e32 v8, 0xffff, v72
	v_or_b32_e32 v9, 0x10000, v72
	s_delay_alu instid0(VALU_DEP_2) | instskip(NEXT) | instid1(VALU_DEP_2)
	v_cmp_eq_u32_e32 vcc_lo, 0, v8
	v_cndmask_b32_e32 v8, v9, v72, vcc_lo
; %bb.110:
	s_or_b32 exec_lo, exec_lo, s3
	s_delay_alu instid0(VALU_DEP_1)
	v_perm_b32 v7, v8, v7, 0x7060302
	v_perm_b32 v6, v6, v5, 0x7060302
	;; [unrolled: 1-line block ×4, first 2 shown]
	s_barrier
	buffer_gl0_inv
	v_cmp_eq_u32_e32 vcc_lo, 1, v78
	ds_store_b128 v76, v[4:7]
	s_waitcnt lgkmcnt(0)
	s_barrier
	buffer_gl0_inv
	ds_load_b128 v[1:4], v82
	ds_load_b128 v[5:8], v82 offset:16
	v_cmp_eq_u32_e64 s3, 1, v79
	v_cmp_eq_u32_e64 s4, 2, v78
	;; [unrolled: 1-line block ×5, first 2 shown]
	s_waitcnt lgkmcnt(1)
	v_lshrrev_b32_e32 v9, 16, v1
	s_waitcnt lgkmcnt(0)
	v_lshrrev_b32_e32 v13, 16, v5
	v_lshrrev_b32_e32 v10, 16, v2
	;; [unrolled: 1-line block ×4, first 2 shown]
	v_cndmask_b32_e64 v19, v1, v9, s3
	v_cndmask_b32_e32 v18, v5, v13, vcc_lo
	v_cndmask_b32_e64 v20, v5, v13, s3
	v_cndmask_b32_e32 v17, v1, v9, vcc_lo
	v_cmp_eq_u32_e32 vcc_lo, 2, v79
	v_lshrrev_b32_e32 v15, 16, v7
	v_cmp_eq_u32_e64 s3, 1, v77
	v_lshrrev_b32_e32 v12, 16, v4
	v_lshrrev_b32_e32 v16, 16, v8
	v_cndmask_b32_e32 v20, v20, v6, vcc_lo
	v_cndmask_b32_e64 v17, v17, v2, s4
	v_cndmask_b32_e32 v19, v19, v2, vcc_lo
	v_cndmask_b32_e64 v18, v18, v6, s4
	v_cmp_eq_u32_e32 vcc_lo, 4, v78
	v_cmp_eq_u32_e64 s4, 3, v79
	v_cndmask_b32_e64 v17, v17, v10, s5
	v_cndmask_b32_e64 v21, v1, v9, s3
	;; [unrolled: 1-line block ×5, first 2 shown]
	v_cndmask_b32_e32 v17, v17, v3, vcc_lo
	v_cndmask_b32_e64 v20, v20, v14, s4
	v_cndmask_b32_e32 v18, v18, v7, vcc_lo
	v_cmp_eq_u32_e32 vcc_lo, 4, v79
	v_cmp_eq_u32_e64 s4, 5, v79
	v_cmp_eq_u32_e64 s3, 2, v81
	v_cndmask_b32_e64 v21, v21, v2, s7
	v_cmp_eq_u32_e64 s5, 5, v78
	v_cndmask_b32_e32 v19, v19, v3, vcc_lo
	v_cndmask_b32_e32 v20, v20, v7, vcc_lo
	v_cmp_eq_u32_e32 vcc_lo, 6, v79
	s_delay_alu instid0(VALU_DEP_4) | instskip(NEXT) | instid1(VALU_DEP_4)
	v_cndmask_b32_e64 v17, v17, v11, s5
	v_cndmask_b32_e64 v19, v19, v11, s4
	s_delay_alu instid0(VALU_DEP_4) | instskip(SKIP_1) | instid1(VALU_DEP_3)
	v_cndmask_b32_e64 v20, v20, v15, s4
	v_cmp_eq_u32_e64 s4, 1, v81
	v_cndmask_b32_e32 v19, v19, v4, vcc_lo
	v_cndmask_b32_e64 v18, v18, v15, s5
	s_delay_alu instid0(VALU_DEP_3)
	v_cndmask_b32_e64 v1, v1, v9, s4
	v_cndmask_b32_e64 v5, v5, v13, s4
	v_cmp_eq_u32_e64 s4, 3, v77
	v_cndmask_b32_e64 v13, v22, v6, s7
	v_cmp_eq_u32_e64 s7, 3, v81
	v_cndmask_b32_e64 v1, v1, v2, s3
	v_cndmask_b32_e64 v2, v5, v6, s3
	;; [unrolled: 1-line block ×3, first 2 shown]
	v_cmp_eq_u32_e64 s3, 4, v77
	v_cndmask_b32_e64 v6, v13, v14, s4
	v_cndmask_b32_e64 v1, v1, v10, s7
	v_cmp_eq_u32_e64 s4, 4, v81
	v_cndmask_b32_e64 v2, v2, v14, s7
	v_cndmask_b32_e64 v5, v9, v3, s3
	;; [unrolled: 3-line block ×3, first 2 shown]
	v_cndmask_b32_e64 v2, v2, v7, s4
	v_cmp_eq_u32_e64 s3, 5, v81
	v_cmp_eq_u32_e64 s5, 6, v78
	v_cndmask_b32_e64 v5, v5, v11, s7
	v_cmp_eq_u32_e64 s4, 6, v77
	v_cndmask_b32_e64 v3, v6, v15, s7
	v_cndmask_b32_e64 v1, v1, v11, s3
	v_cmp_eq_u32_e64 s7, 6, v81
	v_cndmask_b32_e64 v2, v2, v15, s3
	v_cndmask_b32_e64 v17, v17, v4, s5
	v_cndmask_b32_e64 v18, v18, v8, s5
	v_cmp_eq_u32_e64 s5, 7, v78
	v_cndmask_b32_e64 v5, v5, v4, s4
	;; [unrolled: 4-line block ×3, first 2 shown]
	v_cmp_eq_u32_e64 s4, 7, v77
	v_cndmask_b32_e32 v4, v20, v8, vcc_lo
	v_cndmask_b32_e64 v17, v17, v12, s5
	v_cndmask_b32_e64 v19, v19, v12, s6
	;; [unrolled: 1-line block ×8, first 2 shown]
	s_mov_b32 s3, exec_lo
	v_perm_b32 v4, v2, v1, 0x5040100
	v_perm_b32 v3, v3, v5, 0x5040100
	;; [unrolled: 1-line block ×4, first 2 shown]
	ds_store_b128 v76, v[1:4]
	s_waitcnt lgkmcnt(0)
	s_barrier
	buffer_gl0_inv
	v_cmpx_gt_u32_e32 32, v0
	s_cbranch_execz .LBB1864_2
; %bb.111:
	s_load_b64 s[4:5], s[0:1], 0x68
	v_lshlrev_b32_e32 v0, 10, v0
	v_lshlrev_b32_e32 v1, 4, v75
	s_lshl_b32 s0, s34, 7
	v_add_nc_u32_e32 v7, s31, v74
	s_mul_i32 s1, s0, s30
	s_delay_alu instid0(SALU_CYCLE_1) | instskip(SKIP_1) | instid1(VALU_DEP_2)
	s_mul_i32 s6, s1, s8
	v_and_or_b32 v0, 0x3800, v0, v1
	v_mul_lo_u32 v1, v7, s0
	v_add_nc_u32_e32 v2, 2, v7
	s_ashr_i32 s7, s6, 31
	v_add_nc_u32_e32 v4, 4, v7
	s_lshl_b64 s[6:7], s[6:7], 1
	v_add_nc_u32_e32 v8, 6, v7
	v_mul_lo_u32 v3, v2, s0
	v_lshl_or_b32 v19, v74, 6, v0
	v_ashrrev_i32_e32 v2, 31, v1
	v_mul_lo_u32 v11, v4, s0
	v_mul_lo_u32 v25, v8, s0
	s_waitcnt lgkmcnt(0)
	s_add_u32 s1, s4, s6
	s_addc_u32 s3, s5, s7
	s_lshl_b32 s4, s14, 7
	v_lshlrev_b64 v[5:6], 1, v[1:2]
	s_ashr_i32 s5, s4, 31
	v_ashrrev_i32_e32 v4, 31, v3
	s_lshl_b64 s[4:5], s[4:5], 1
	v_ashrrev_i32_e32 v12, 31, v11
	s_add_u32 s1, s1, s4
	s_addc_u32 s3, s3, s5
	v_add_co_u32 v1, s1, s1, v73
	s_delay_alu instid0(VALU_DEP_1) | instskip(SKIP_1) | instid1(VALU_DEP_3)
	v_add_co_ci_u32_e64 v2, null, s3, 0, s1
	v_lshlrev_b64 v[3:4], 1, v[3:4]
	v_add_co_u32 v23, vcc_lo, v1, v5
	v_add_nc_u32_e32 v5, 8, v7
	s_delay_alu instid0(VALU_DEP_4) | instskip(NEXT) | instid1(VALU_DEP_4)
	v_add_co_ci_u32_e32 v24, vcc_lo, v2, v6, vcc_lo
	v_add_co_u32 v27, vcc_lo, v1, v3
	s_delay_alu instid0(VALU_DEP_3)
	v_mul_lo_u32 v29, v5, s0
	v_add_co_ci_u32_e32 v28, vcc_lo, v2, v4, vcc_lo
	ds_load_b128 v[3:6], v19
	ds_load_b128 v[7:10], v19 offset:128
	v_lshlrev_b64 v[31:32], 1, v[11:12]
	ds_load_b128 v[11:14], v19 offset:256
	ds_load_b128 v[15:18], v19 offset:384
	ds_load_b128 v[19:22], v19 offset:512
	v_ashrrev_i32_e32 v26, 31, v25
	v_ashrrev_i32_e32 v30, 31, v29
	v_add_co_u32 v31, vcc_lo, v1, v31
	s_delay_alu instid0(VALU_DEP_3) | instskip(NEXT) | instid1(VALU_DEP_3)
	v_lshlrev_b64 v[25:26], 1, v[25:26]
	v_lshlrev_b64 v[29:30], 1, v[29:30]
	v_add_co_ci_u32_e32 v32, vcc_lo, v2, v32, vcc_lo
	s_delay_alu instid0(VALU_DEP_3) | instskip(NEXT) | instid1(VALU_DEP_4)
	v_add_co_u32 v25, vcc_lo, v1, v25
	v_add_co_ci_u32_e32 v26, vcc_lo, v2, v26, vcc_lo
	s_delay_alu instid0(VALU_DEP_4)
	v_add_co_u32 v29, vcc_lo, v1, v29
	v_add_co_ci_u32_e32 v30, vcc_lo, v2, v30, vcc_lo
	s_waitcnt lgkmcnt(4)
	global_store_b128 v[23:24], v[3:6], off
	s_waitcnt lgkmcnt(3)
	global_store_b128 v[27:28], v[7:10], off
	;; [unrolled: 2-line block ×5, first 2 shown]
	s_and_b32 exec_lo, exec_lo, s2
	s_cbranch_execz .LBB1864_2
; %bb.112:
	ds_load_b128 v[3:6], v0 offset:640
	s_add_i32 s1, s31, 10
	s_delay_alu instid0(SALU_CYCLE_1) | instskip(NEXT) | instid1(SALU_CYCLE_1)
	s_mul_i32 s0, s1, s0
	s_ashr_i32 s1, s0, 31
	s_delay_alu instid0(SALU_CYCLE_1) | instskip(NEXT) | instid1(SALU_CYCLE_1)
	s_lshl_b64 s[0:1], s[0:1], 1
	v_add_co_u32 v0, vcc_lo, v1, s0
	v_add_co_ci_u32_e32 v1, vcc_lo, s1, v2, vcc_lo
	s_waitcnt lgkmcnt(0)
	global_store_b128 v[0:1], v[3:6], off
	s_nop 0
	s_sendmsg sendmsg(MSG_DEALLOC_VGPRS)
	s_endpgm
	.section	.rodata,"a",@progbits
	.p2align	6, 0x0
	.amdhsa_kernel _Z39paged_attention_ll4mi_QKV_mfma16_kernelI14__hip_bfloat16hLN4vllm18Fp8KVCacheDataTypeE1EhLi32ELi128ELi256ELb1ELi11EL8MFMAType0EEvPKT_PKT0_S9_ifPKiSB_SB_iPKfiiiPfSE_PS4_PT2_iSD_SD_
		.amdhsa_group_segment_fixed_size 17472
		.amdhsa_private_segment_fixed_size 0
		.amdhsa_kernarg_size 400
		.amdhsa_user_sgpr_count 13
		.amdhsa_user_sgpr_dispatch_ptr 0
		.amdhsa_user_sgpr_queue_ptr 0
		.amdhsa_user_sgpr_kernarg_segment_ptr 1
		.amdhsa_user_sgpr_dispatch_id 0
		.amdhsa_user_sgpr_private_segment_size 0
		.amdhsa_wavefront_size32 1
		.amdhsa_uses_dynamic_stack 0
		.amdhsa_enable_private_segment 0
		.amdhsa_system_sgpr_workgroup_id_x 1
		.amdhsa_system_sgpr_workgroup_id_y 1
		.amdhsa_system_sgpr_workgroup_id_z 1
		.amdhsa_system_sgpr_workgroup_info 0
		.amdhsa_system_vgpr_workitem_id 0
		.amdhsa_next_free_vgpr 140
		.amdhsa_next_free_sgpr 36
		.amdhsa_reserve_vcc 1
		.amdhsa_float_round_mode_32 0
		.amdhsa_float_round_mode_16_64 0
		.amdhsa_float_denorm_mode_32 3
		.amdhsa_float_denorm_mode_16_64 3
		.amdhsa_dx10_clamp 1
		.amdhsa_ieee_mode 1
		.amdhsa_fp16_overflow 0
		.amdhsa_workgroup_processor_mode 1
		.amdhsa_memory_ordered 1
		.amdhsa_forward_progress 0
		.amdhsa_shared_vgpr_count 0
		.amdhsa_exception_fp_ieee_invalid_op 0
		.amdhsa_exception_fp_denorm_src 0
		.amdhsa_exception_fp_ieee_div_zero 0
		.amdhsa_exception_fp_ieee_overflow 0
		.amdhsa_exception_fp_ieee_underflow 0
		.amdhsa_exception_fp_ieee_inexact 0
		.amdhsa_exception_int_div_zero 0
	.end_amdhsa_kernel
	.section	.text._Z39paged_attention_ll4mi_QKV_mfma16_kernelI14__hip_bfloat16hLN4vllm18Fp8KVCacheDataTypeE1EhLi32ELi128ELi256ELb1ELi11EL8MFMAType0EEvPKT_PKT0_S9_ifPKiSB_SB_iPKfiiiPfSE_PS4_PT2_iSD_SD_,"axG",@progbits,_Z39paged_attention_ll4mi_QKV_mfma16_kernelI14__hip_bfloat16hLN4vllm18Fp8KVCacheDataTypeE1EhLi32ELi128ELi256ELb1ELi11EL8MFMAType0EEvPKT_PKT0_S9_ifPKiSB_SB_iPKfiiiPfSE_PS4_PT2_iSD_SD_,comdat
.Lfunc_end1864:
	.size	_Z39paged_attention_ll4mi_QKV_mfma16_kernelI14__hip_bfloat16hLN4vllm18Fp8KVCacheDataTypeE1EhLi32ELi128ELi256ELb1ELi11EL8MFMAType0EEvPKT_PKT0_S9_ifPKiSB_SB_iPKfiiiPfSE_PS4_PT2_iSD_SD_, .Lfunc_end1864-_Z39paged_attention_ll4mi_QKV_mfma16_kernelI14__hip_bfloat16hLN4vllm18Fp8KVCacheDataTypeE1EhLi32ELi128ELi256ELb1ELi11EL8MFMAType0EEvPKT_PKT0_S9_ifPKiSB_SB_iPKfiiiPfSE_PS4_PT2_iSD_SD_
                                        ; -- End function
	.section	.AMDGPU.csdata,"",@progbits
; Kernel info:
; codeLenInByte = 9048
; NumSgprs: 38
; NumVgprs: 140
; ScratchSize: 0
; MemoryBound: 0
; FloatMode: 240
; IeeeMode: 1
; LDSByteSize: 17472 bytes/workgroup (compile time only)
; SGPRBlocks: 4
; VGPRBlocks: 17
; NumSGPRsForWavesPerEU: 38
; NumVGPRsForWavesPerEU: 140
; Occupancy: 10
; WaveLimiterHint : 1
; COMPUTE_PGM_RSRC2:SCRATCH_EN: 0
; COMPUTE_PGM_RSRC2:USER_SGPR: 13
; COMPUTE_PGM_RSRC2:TRAP_HANDLER: 0
; COMPUTE_PGM_RSRC2:TGID_X_EN: 1
; COMPUTE_PGM_RSRC2:TGID_Y_EN: 1
; COMPUTE_PGM_RSRC2:TGID_Z_EN: 1
; COMPUTE_PGM_RSRC2:TIDIG_COMP_CNT: 0
	.section	.text._Z39paged_attention_ll4mi_QKV_mfma16_kernelI14__hip_bfloat16hLN4vllm18Fp8KVCacheDataTypeE1EhLi32ELi128ELi256ELb1ELi12EL8MFMAType0EEvPKT_PKT0_S9_ifPKiSB_SB_iPKfiiiPfSE_PS4_PT2_iSD_SD_,"axG",@progbits,_Z39paged_attention_ll4mi_QKV_mfma16_kernelI14__hip_bfloat16hLN4vllm18Fp8KVCacheDataTypeE1EhLi32ELi128ELi256ELb1ELi12EL8MFMAType0EEvPKT_PKT0_S9_ifPKiSB_SB_iPKfiiiPfSE_PS4_PT2_iSD_SD_,comdat
	.protected	_Z39paged_attention_ll4mi_QKV_mfma16_kernelI14__hip_bfloat16hLN4vllm18Fp8KVCacheDataTypeE1EhLi32ELi128ELi256ELb1ELi12EL8MFMAType0EEvPKT_PKT0_S9_ifPKiSB_SB_iPKfiiiPfSE_PS4_PT2_iSD_SD_ ; -- Begin function _Z39paged_attention_ll4mi_QKV_mfma16_kernelI14__hip_bfloat16hLN4vllm18Fp8KVCacheDataTypeE1EhLi32ELi128ELi256ELb1ELi12EL8MFMAType0EEvPKT_PKT0_S9_ifPKiSB_SB_iPKfiiiPfSE_PS4_PT2_iSD_SD_
	.globl	_Z39paged_attention_ll4mi_QKV_mfma16_kernelI14__hip_bfloat16hLN4vllm18Fp8KVCacheDataTypeE1EhLi32ELi128ELi256ELb1ELi12EL8MFMAType0EEvPKT_PKT0_S9_ifPKiSB_SB_iPKfiiiPfSE_PS4_PT2_iSD_SD_
	.p2align	8
	.type	_Z39paged_attention_ll4mi_QKV_mfma16_kernelI14__hip_bfloat16hLN4vllm18Fp8KVCacheDataTypeE1EhLi32ELi128ELi256ELb1ELi12EL8MFMAType0EEvPKT_PKT0_S9_ifPKiSB_SB_iPKfiiiPfSE_PS4_PT2_iSD_SD_,@function
_Z39paged_attention_ll4mi_QKV_mfma16_kernelI14__hip_bfloat16hLN4vllm18Fp8KVCacheDataTypeE1EhLi32ELi128ELi256ELb1ELi12EL8MFMAType0EEvPKT_PKT0_S9_ifPKiSB_SB_iPKfiiiPfSE_PS4_PT2_iSD_SD_: ; @_Z39paged_attention_ll4mi_QKV_mfma16_kernelI14__hip_bfloat16hLN4vllm18Fp8KVCacheDataTypeE1EhLi32ELi128ELi256ELb1ELi12EL8MFMAType0EEvPKT_PKT0_S9_ifPKiSB_SB_iPKfiiiPfSE_PS4_PT2_iSD_SD_
; %bb.0:
	s_load_b64 s[4:5], s[0:1], 0x30
	s_mov_b32 s30, s13
	s_waitcnt lgkmcnt(0)
	s_cmp_lg_u64 s[4:5], 0
	s_cselect_b32 s13, -1, 0
	s_ashr_i32 s31, s30, 31
	s_cmp_eq_u64 s[4:5], 0
	s_cbranch_scc1 .LBB1865_3
; %bb.1:
	s_lshl_b64 s[2:3], s[30:31], 2
	s_delay_alu instid0(SALU_CYCLE_1) | instskip(SKIP_4) | instid1(SALU_CYCLE_1)
	s_add_u32 s2, s4, s2
	s_addc_u32 s3, s5, s3
	s_load_b64 s[2:3], s[2:3], 0x0
	s_waitcnt lgkmcnt(0)
	s_sub_i32 s2, s3, s2
	s_cmp_eq_u32 s2, 1
	s_cselect_b32 s2, -1, 0
	s_delay_alu instid0(SALU_CYCLE_1)
	s_and_not1_b32 vcc_lo, exec_lo, s2
	s_cbranch_vccz .LBB1865_4
.LBB1865_2:
	s_endpgm
.LBB1865_3:
.LBB1865_4:
	s_load_b64 s[2:3], s[0:1], 0x28
	s_lshl_b64 s[6:7], s[30:31], 2
	s_waitcnt lgkmcnt(0)
	s_add_u32 s2, s2, s6
	s_addc_u32 s3, s3, s7
	s_lshl_b32 s12, s14, 8
	s_load_b32 s17, s[2:3], 0x0
	s_waitcnt lgkmcnt(0)
	s_cmp_ge_i32 s12, s17
	s_cbranch_scc1 .LBB1865_2
; %bb.5:
	s_clause 0x1
	s_load_b128 s[8:11], s[0:1], 0x8
	s_load_b64 s[2:3], s[0:1], 0x20
	s_and_not1_b32 vcc_lo, exec_lo, s13
	s_cbranch_vccnz .LBB1865_7
; %bb.6:
	s_add_u32 s4, s4, s6
	s_addc_u32 s5, s5, s7
	s_load_b32 s13, s[4:5], 0x0
	s_branch .LBB1865_8
.LBB1865_7:
	s_mov_b32 s13, s30
.LBB1865_8:
	s_load_b128 s[4:7], s[0:1], 0x48
	v_and_b32_e32 v65, 15, v0
	v_lshrrev_b32_e32 v66, 5, v0
	v_and_b32_e32 v67, 31, v0
	v_and_b32_e32 v75, 1, v0
	v_bfe_u32 v74, v0, 4, 1
	v_lshlrev_b32_e32 v1, 3, v65
	s_mul_i32 s29, s15, 12
	s_waitcnt lgkmcnt(0)
	s_mov_b32 s7, exec_lo
	s_delay_alu instid0(VALU_DEP_1)
	v_lshlrev_b32_e32 v73, 1, v1
	v_cmpx_gt_u32_e32 0xc0, v0
	s_cbranch_execz .LBB1865_10
; %bb.9:
	s_load_b64 s[18:19], s[0:1], 0x0
	v_lshl_or_b32 v5, v66, 1, v74
	s_mul_hi_i32 s21, s13, s4
	s_mul_i32 s20, s13, s4
	v_lshlrev_b32_e32 v6, 10, v65
	s_lshl_b64 s[20:21], s[20:21], 1
	v_add_lshl_u32 v1, v5, s29, 7
	v_lshlrev_b32_e32 v5, 6, v5
	v_lshlrev_b32_e32 v7, 10, v75
	v_and_b32_e32 v6, 0x3800, v6
	s_delay_alu instid0(VALU_DEP_4) | instskip(NEXT) | instid1(VALU_DEP_2)
	v_ashrrev_i32_e32 v2, 31, v1
	v_or3_b32 v5, v6, v7, v5
	s_delay_alu instid0(VALU_DEP_2) | instskip(SKIP_3) | instid1(VALU_DEP_1)
	v_lshlrev_b64 v[1:2], 1, v[1:2]
	s_waitcnt lgkmcnt(0)
	s_add_u32 s4, s18, s20
	s_addc_u32 s13, s19, s21
	v_add_co_u32 v1, vcc_lo, s4, v1
	s_delay_alu instid0(VALU_DEP_2) | instskip(NEXT) | instid1(VALU_DEP_2)
	v_add_co_ci_u32_e32 v2, vcc_lo, s13, v2, vcc_lo
	v_add_co_u32 v1, vcc_lo, v1, v73
	s_delay_alu instid0(VALU_DEP_2)
	v_add_co_ci_u32_e32 v2, vcc_lo, 0, v2, vcc_lo
	global_load_b128 v[1:4], v[1:2], off
	s_waitcnt vmcnt(0)
	ds_store_b128 v5, v[1:4]
.LBB1865_10:
	s_or_b32 exec_lo, exec_lo, s7
	v_and_b32_e32 v1, 0xef, v0
	s_add_i32 s4, s17, 31
	s_clause 0x1
	s_load_b32 s7, s[0:1], 0x38
	s_load_b32 s18, s[0:1], 0x1c
	s_ashr_i32 s13, s4, 31
	v_add_nc_u32_e32 v1, s12, v1
	s_lshr_b32 s13, s13, 27
	s_waitcnt lgkmcnt(0)
	s_add_i32 s4, s4, s13
	s_barrier
	v_ashrrev_i32_e32 v2, 31, v1
	v_or_b32_e32 v3, 16, v1
	s_ashr_i32 s4, s4, 5
	v_cmp_gt_i32_e32 vcc_lo, s17, v1
	s_add_i32 s4, s4, -1
	v_lshrrev_b32_e32 v2, 27, v2
	buffer_gl0_inv
	s_mul_i32 s15, s15, s6
	v_add_nc_u32_e32 v4, v1, v2
	s_mul_i32 s20, s30, s7
	s_delay_alu instid0(SALU_CYCLE_1) | instskip(NEXT) | instid1(VALU_DEP_1)
	s_ashr_i32 s21, s20, 31
	v_ashrrev_i32_e32 v4, 5, v4
	v_add_nc_u32_e32 v2, v3, v2
	s_lshl_b64 s[20:21], s[20:21], 2
	s_delay_alu instid0(SALU_CYCLE_1) | instskip(NEXT) | instid1(VALU_DEP_2)
	s_add_u32 s13, s2, s20
	v_cndmask_b32_e32 v1, s4, v4, vcc_lo
	s_delay_alu instid0(VALU_DEP_2)
	v_ashrrev_i32_e32 v2, 5, v2
	v_cmp_gt_i32_e32 vcc_lo, s17, v3
	s_addc_u32 s16, s3, s21
	s_ashr_i32 s19, s15, 31
	s_add_u32 s2, s8, s15
	s_addc_u32 s3, s9, s19
	v_cndmask_b32_e32 v3, s4, v2, vcc_lo
	v_ashrrev_i32_e32 v2, 31, v1
	s_lshl_b32 s6, s14, 3
	s_delay_alu instid0(SALU_CYCLE_1) | instskip(NEXT) | instid1(VALU_DEP_2)
	s_ashr_i32 s7, s6, 31
	v_ashrrev_i32_e32 v4, 31, v3
	s_delay_alu instid0(VALU_DEP_2) | instskip(SKIP_1) | instid1(SALU_CYCLE_1)
	v_lshlrev_b64 v[1:2], 2, v[1:2]
	s_lshl_b64 s[6:7], s[6:7], 2
	s_add_u32 s6, s13, s6
	s_delay_alu instid0(VALU_DEP_2) | instskip(SKIP_1) | instid1(VALU_DEP_2)
	v_lshlrev_b64 v[3:4], 2, v[3:4]
	s_addc_u32 s7, s16, s7
	v_add_co_u32 v1, vcc_lo, s13, v1
	v_add_co_ci_u32_e32 v2, vcc_lo, s16, v2, vcc_lo
	s_delay_alu instid0(VALU_DEP_3) | instskip(NEXT) | instid1(VALU_DEP_4)
	v_add_co_u32 v3, vcc_lo, s13, v3
	v_add_co_ci_u32_e32 v4, vcc_lo, s16, v4, vcc_lo
	s_clause 0x1
	global_load_b32 v5, v[1:2], off
	global_load_b32 v6, v[3:4], off
	s_or_b32 s8, s12, 32
	s_delay_alu instid0(SALU_CYCLE_1) | instskip(SKIP_2) | instid1(SALU_CYCLE_1)
	s_ashr_i32 s9, s8, 5
	s_cmp_lt_i32 s8, s17
	s_cselect_b32 s8, s9, s4
	s_ashr_i32 s9, s8, 31
	s_delay_alu instid0(SALU_CYCLE_1) | instskip(NEXT) | instid1(SALU_CYCLE_1)
	s_lshl_b64 s[8:9], s[8:9], 2
	s_add_u32 s8, s13, s8
	s_addc_u32 s9, s16, s9
	s_or_b32 s20, s12, 64
	s_delay_alu instid0(SALU_CYCLE_1) | instskip(SKIP_2) | instid1(SALU_CYCLE_1)
	s_ashr_i32 s21, s20, 5
	s_cmp_lt_i32 s20, s17
	s_cselect_b32 s20, s21, s4
	s_ashr_i32 s21, s20, 31
	s_delay_alu instid0(SALU_CYCLE_1) | instskip(NEXT) | instid1(SALU_CYCLE_1)
	s_lshl_b64 s[20:21], s[20:21], 2
	s_add_u32 s20, s13, s20
	s_addc_u32 s21, s16, s21
	;; [unrolled: 10-line block ×5, first 2 shown]
	s_clause 0x5
	s_load_b32 s28, s[6:7], 0x0
	s_load_b32 s8, s[8:9], 0x0
	;; [unrolled: 1-line block ×6, first 2 shown]
	s_mov_b32 s20, 0
	s_delay_alu instid0(SALU_CYCLE_1)
	s_mov_b32 s21, s20
	s_mov_b32 s22, s20
	;; [unrolled: 1-line block ×7, first 2 shown]
	s_delay_alu instid0(SALU_CYCLE_1)
	v_dual_mov_b32 v107, s27 :: v_dual_mov_b32 v106, s26
	v_dual_mov_b32 v104, s24 :: v_dual_mov_b32 v103, s23
	;; [unrolled: 1-line block ×3, first 2 shown]
	v_mov_b32_e32 v100, s20
	s_waitcnt vmcnt(1)
	v_mad_i64_i32 v[1:2], null, v5, s5, s[2:3]
	v_lshlrev_b32_e32 v5, 4, v65
	s_waitcnt vmcnt(0)
	v_mad_i64_i32 v[3:4], null, v6, s5, s[2:3]
	s_or_b32 s2, s12, 0xc0
	s_delay_alu instid0(SALU_CYCLE_1) | instskip(NEXT) | instid1(VALU_DEP_3)
	s_ashr_i32 s3, s2, 5
	v_add_co_u32 v33, vcc_lo, v1, v5
	s_delay_alu instid0(VALU_DEP_4) | instskip(NEXT) | instid1(VALU_DEP_3)
	v_add_co_ci_u32_e32 v34, vcc_lo, 0, v2, vcc_lo
	v_add_co_u32 v35, vcc_lo, v3, v5
	s_delay_alu instid0(VALU_DEP_4)
	v_add_co_ci_u32_e32 v36, vcc_lo, 0, v4, vcc_lo
	s_clause 0xf
	global_load_b128 v[1:4], v[33:34], off
	global_load_b128 v[5:8], v[33:34], off offset:512
	global_load_b128 v[9:12], v[35:36], off offset:256
	;; [unrolled: 1-line block ×15, first 2 shown]
	s_cmp_lt_i32 s2, s17
	v_add_nc_u32_e32 v33, -12, v65
	s_cselect_b32 s2, s3, s4
	v_cmp_gt_u32_e32 vcc_lo, 12, v65
	s_ashr_i32 s3, s2, 31
	v_lshlrev_b32_e32 v34, 5, v65
	s_lshl_b64 s[2:3], s[2:3], 2
	s_delay_alu instid0(SALU_CYCLE_1)
	s_add_u32 s2, s13, s2
	s_addc_u32 s3, s16, s3
	s_or_b32 s6, s12, 0xe0
	v_cndmask_b32_e32 v33, v33, v65, vcc_lo
	s_ashr_i32 s7, s6, 5
	s_cmp_lt_i32 s6, s17
	v_mov_b32_e32 v105, s25
	s_cselect_b32 s6, s7, s4
	v_lshlrev_b32_e32 v72, 6, v33
	s_ashr_i32 s7, s6, 31
	v_lshl_or_b32 v41, v66, 9, v34
	s_lshl_b64 s[6:7], s[6:7], 2
	ds_load_b128 v[33:36], v72
	ds_load_b128 v[37:40], v72 offset:1024
	ds_load_b128 v[108:111], v72 offset:2048
	;; [unrolled: 1-line block ×3, first 2 shown]
	s_load_b32 s4, s[2:3], 0x0
	s_add_u32 s2, s13, s6
	s_addc_u32 s3, s16, s7
	ds_load_b128 v[116:119], v72 offset:4096
	ds_load_b128 v[120:123], v72 offset:5120
	s_load_b32 s2, s[2:3], 0x0
	s_add_u32 s6, s10, s15
	s_addc_u32 s7, s11, s19
	v_add_co_u32 v68, s6, s6, v41
	s_delay_alu instid0(VALU_DEP_1) | instskip(SKIP_1) | instid1(VALU_DEP_1)
	v_add_co_ci_u32_e64 v69, null, s7, 0, s6
	s_waitcnt lgkmcnt(0)
	v_mad_i64_i32 v[41:42], null, s28, s5, v[68:69]
	v_mad_i64_i32 v[70:71], null, s9, s5, v[68:69]
	;; [unrolled: 1-line block ×7, first 2 shown]
	s_clause 0x3
	global_load_b128 v[49:52], v[41:42], off
	global_load_b128 v[53:56], v[41:42], off offset:16
	global_load_b128 v[41:44], v[45:46], off
	global_load_b128 v[45:48], v[45:46], off offset:16
	s_waitcnt vmcnt(18)
	v_wmma_f32_16x16x16_bf16 v[124:131], v[1:8], v[33:40], v[100:107]
	s_waitcnt vmcnt(16)
	v_wmma_f32_16x16x16_bf16 v[100:107], v[9:16], v[33:40], v[100:107]
	s_clause 0x1
	global_load_b128 v[33:36], v[70:71], off
	global_load_b128 v[37:40], v[70:71], off offset:16
	v_mad_i64_i32 v[70:71], null, s2, s5, v[68:69]
	s_waitcnt vmcnt(16)
	v_wmma_f32_16x16x16_bf16 v[124:131], v[17:24], v[108:115], v[124:131]
	s_waitcnt vmcnt(14)
	v_wmma_f32_16x16x16_bf16 v[100:107], v[25:32], v[108:115], v[100:107]
	s_clause 0x7
	global_load_b128 v[25:28], v[132:133], off
	global_load_b128 v[29:32], v[132:133], off offset:16
	global_load_b128 v[1:4], v[134:135], off
	global_load_b128 v[5:8], v[134:135], off offset:16
	global_load_b128 v[9:12], v[136:137], off
	global_load_b128 v[13:16], v[136:137], off offset:16
	global_load_b128 v[17:20], v[138:139], off
	global_load_b128 v[21:24], v[138:139], off offset:16
	s_waitcnt vmcnt(20)
	v_wmma_f32_16x16x16_bf16 v[124:131], v[57:64], v[116:123], v[124:131]
	s_clause 0x1
	global_load_b128 v[57:60], v[70:71], off
	global_load_b128 v[61:64], v[70:71], off offset:16
	s_waitcnt vmcnt(20)
	v_wmma_f32_16x16x16_bf16 v[100:107], v[76:83], v[116:123], v[100:107]
	ds_load_b128 v[76:79], v72 offset:6144
	ds_load_b128 v[80:83], v72 offset:7168
	v_and_b32_e32 v68, 0xe0, v0
	v_mbcnt_lo_u32_b32 v69, -1, 0
	s_waitcnt vmcnt(0) lgkmcnt(0)
	s_barrier
	buffer_gl0_inv
	v_add_nc_u32_e32 v68, s12, v68
	v_xor_b32_e32 v70, 16, v69
	s_delay_alu instid0(VALU_DEP_2) | instskip(NEXT) | instid1(VALU_DEP_2)
	v_or_b32_e32 v68, v68, v74
	v_cmp_gt_i32_e32 vcc_lo, 32, v70
	s_delay_alu instid0(VALU_DEP_2)
	v_or_b32_e32 v71, 4, v68
	v_or_b32_e32 v72, 6, v68
	v_cmp_gt_i32_e64 s2, s17, v68
	v_or_b32_e32 v108, 8, v68
	v_wmma_f32_16x16x16_bf16 v[124:131], v[84:91], v[76:83], v[124:131]
	v_cndmask_b32_e32 v69, v69, v70, vcc_lo
	v_or_b32_e32 v70, 2, v68
	v_wmma_f32_16x16x16_bf16 v[100:107], v[92:99], v[76:83], v[100:107]
	v_or_b32_e32 v109, 10, v68
	v_dual_mul_f32 v80, s18, v129 :: v_dual_mul_f32 v81, s18, v128
	v_dual_mul_f32 v92, s18, v125 :: v_dual_mul_f32 v93, s18, v124
	s_delay_alu instid0(VALU_DEP_4)
	v_mul_f32_e32 v96, s18, v105
	v_cmp_gt_i32_e32 vcc_lo, s17, v70
	v_or_b32_e32 v89, 22, v68
	v_dual_mul_f32 v79, s18, v130 :: v_dual_mul_f32 v82, s18, v127
	v_dual_mul_f32 v83, s18, v126 :: v_dual_mul_f32 v94, s18, v107
	v_cndmask_b32_e64 v93, 0xff7fffff, v93, s2
	v_cndmask_b32_e32 v92, 0xff7fffff, v92, vcc_lo
	v_cmp_gt_i32_e64 s3, s17, v71
	v_cmp_gt_i32_e64 s4, s17, v72
	v_or_b32_e32 v84, 12, v68
	v_or_b32_e32 v85, 14, v68
	v_cmp_gt_i32_e64 s5, s17, v108
	v_cndmask_b32_e64 v71, 0xff7fffff, v83, s3
	v_cndmask_b32_e64 v72, 0xff7fffff, v82, s4
	v_cmp_gt_i32_e64 s6, s17, v109
	v_cmp_gt_i32_e64 s12, s17, v89
	v_lshlrev_b32_e32 v89, 2, v69
	v_max3_f32 v82, v93, 0xff7fffff, v92
	v_or_b32_e32 v86, 16, v68
	v_or_b32_e32 v87, 18, v68
	v_mul_f32_e32 v78, s18, v131
	v_cndmask_b32_e64 v81, 0xff7fffff, v81, s5
	v_cndmask_b32_e64 v80, 0xff7fffff, v80, s6
	v_max3_f32 v71, v82, v71, v72
	v_cmp_gt_i32_e64 s7, s17, v84
	v_cmp_gt_i32_e64 s8, s17, v85
	v_or_b32_e32 v88, 20, v68
	v_or_b32_e32 v90, 24, v68
	;; [unrolled: 1-line block ×5, first 2 shown]
	v_dual_mul_f32 v97, s18, v104 :: v_dual_mul_f32 v70, s18, v101
	v_dual_mul_f32 v99, s18, v102 :: v_dual_mul_f32 v68, s18, v100
	v_cndmask_b32_e64 v72, 0xff7fffff, v79, s7
	v_cndmask_b32_e64 v78, 0xff7fffff, v78, s8
	v_max3_f32 v71, v71, v81, v80
	v_cmp_gt_i32_e64 s9, s17, v86
	v_cmp_gt_i32_e64 s10, s17, v87
	v_dual_mul_f32 v95, s18, v106 :: v_dual_mul_f32 v98, s18, v103
	s_delay_alu instid0(VALU_DEP_4) | instskip(NEXT) | instid1(VALU_DEP_4)
	v_max3_f32 v71, v71, v72, v78
	v_cndmask_b32_e64 v68, 0xff7fffff, v68, s9
	s_delay_alu instid0(VALU_DEP_4)
	v_cndmask_b32_e64 v70, 0xff7fffff, v70, s10
	v_cmp_gt_i32_e64 s11, s17, v88
	v_cndmask_b32_e64 v78, 0xff7fffff, v98, s12
	v_cmp_gt_i32_e64 s13, s17, v90
	v_cmp_gt_i32_e64 s15, s17, v91
	v_max3_f32 v68, v71, v68, v70
	v_cndmask_b32_e64 v72, 0xff7fffff, v99, s11
	v_cmp_gt_i32_e64 s16, s17, v76
	v_cndmask_b32_e64 v70, 0xff7fffff, v97, s13
	v_cndmask_b32_e64 v71, 0xff7fffff, v96, s15
	v_cmp_gt_i32_e64 s17, s17, v77
	v_max3_f32 v68, v68, v72, v78
	v_cndmask_b32_e64 v72, 0xff7fffff, v95, s16
	s_delay_alu instid0(VALU_DEP_3) | instskip(NEXT) | instid1(VALU_DEP_3)
	v_cndmask_b32_e64 v76, 0xff7fffff, v94, s17
	v_max3_f32 v68, v68, v70, v71
	s_delay_alu instid0(VALU_DEP_1) | instskip(SKIP_3) | instid1(VALU_DEP_1)
	v_max3_f32 v68, v68, v72, v76
	ds_bpermute_b32 v69, v89, v68
	s_waitcnt lgkmcnt(0)
	v_max_f32_e32 v69, v69, v69
	v_max_f32_e32 v68, v68, v69
	s_delay_alu instid0(VALU_DEP_1) | instskip(NEXT) | instid1(VALU_DEP_1)
	v_fma_f32 v71, s18, v126, -v68
	v_mul_f32_e32 v71, 0x3fb8aa3b, v71
	v_fma_f32 v70, s18, v125, -v68
	v_fma_f32 v69, s18, v124, -v68
	;; [unrolled: 1-line block ×5, first 2 shown]
	s_delay_alu instid0(VALU_DEP_4) | instskip(SKIP_1) | instid1(VALU_DEP_3)
	v_dual_mul_f32 v70, 0x3fb8aa3b, v70 :: v_dual_mul_f32 v69, 0x3fb8aa3b, v69
	v_exp_f32_e32 v71, v71
	v_mul_f32_e32 v72, 0x3fb8aa3b, v72
	v_fma_f32 v81, s18, v105, -v68
	s_delay_alu instid0(VALU_DEP_3)
	v_exp_f32_e32 v70, v70
	v_mul_f32_e32 v77, 0x3fb8aa3b, v76
	v_exp_f32_e32 v69, v69
	v_exp_f32_e32 v72, v72
	v_mul_f32_e32 v81, 0x3fb8aa3b, v81
	v_cndmask_b32_e64 v83, 0, v71, s3
	v_fma_f32 v71, s18, v131, -v68
	s_delay_alu instid0(VALU_DEP_3) | instskip(SKIP_4) | instid1(TRANS32_DEP_3)
	v_exp_f32_e32 v81, v81
	v_cndmask_b32_e32 v76, 0, v70, vcc_lo
	v_exp_f32_e32 v77, v77
	v_cndmask_b32_e64 v80, 0, v69, s2
	v_fma_f32 v69, s18, v129, -v68
	v_cndmask_b32_e64 v85, 0, v72, s4
	v_mul_f32_e32 v71, 0x3fb8aa3b, v71
	v_fma_f32 v72, s18, v100, -v68
	s_delay_alu instid0(VALU_DEP_4) | instskip(SKIP_1) | instid1(VALU_DEP_3)
	v_dual_add_f32 v70, 0, v80 :: v_dual_mul_f32 v69, 0x3fb8aa3b, v69
	s_mov_b32 s2, exec_lo
	v_exp_f32_e32 v71, v71
	s_delay_alu instid0(TRANS32_DEP_2) | instskip(SKIP_4) | instid1(VALU_DEP_3)
	v_cndmask_b32_e64 v86, 0, v77, s5
	v_fma_f32 v77, s18, v101, -v68
	v_mul_f32_e32 v78, 0x3fb8aa3b, v78
	v_add_f32_e32 v70, v70, v76
	v_exp_f32_e32 v69, v69
	v_mul_f32_e32 v77, 0x3fb8aa3b, v77
	s_delay_alu instid0(VALU_DEP_3) | instskip(NEXT) | instid1(TRANS32_DEP_3)
	v_exp_f32_e32 v78, v78
	v_cndmask_b32_e64 v88, 0, v71, s8
	v_fma_f32 v71, s18, v104, -v68
	s_delay_alu instid0(VALU_DEP_3) | instskip(NEXT) | instid1(TRANS32_DEP_3)
	v_exp_f32_e32 v77, v77
	v_cndmask_b32_e64 v87, 0, v69, s6
	s_delay_alu instid0(VALU_DEP_2)
	v_mul_f32_e32 v71, 0x3fb8aa3b, v71
	s_waitcnt_depctr 0xfff
	v_cndmask_b32_e64 v84, 0, v78, s7
	v_add_f32_e32 v70, v70, v83
	v_fma_f32 v78, s18, v103, -v68
	v_exp_f32_e32 v82, v71
	s_delay_alu instid0(VALU_DEP_2) | instskip(SKIP_1) | instid1(VALU_DEP_3)
	v_add_f32_e32 v70, v70, v85
	v_mul_f32_e32 v72, 0x3fb8aa3b, v72
	v_mul_f32_e32 v78, 0x3fb8aa3b, v78
	s_delay_alu instid0(VALU_DEP_3) | instskip(SKIP_1) | instid1(VALU_DEP_4)
	v_add_f32_e32 v69, v70, v86
	v_fma_f32 v70, s18, v102, -v68
	v_exp_f32_e32 v72, v72
	s_delay_alu instid0(VALU_DEP_3) | instskip(NEXT) | instid1(VALU_DEP_1)
	v_exp_f32_e32 v78, v78
	v_dual_add_f32 v69, v69, v87 :: v_dual_mul_f32 v70, 0x3fb8aa3b, v70
	s_delay_alu instid0(VALU_DEP_1) | instskip(NEXT) | instid1(VALU_DEP_2)
	v_add_f32_e32 v69, v69, v84
	v_exp_f32_e32 v79, v70
	s_delay_alu instid0(TRANS32_DEP_3) | instskip(NEXT) | instid1(VALU_DEP_2)
	v_cndmask_b32_e64 v70, 0, v72, s9
	v_add_f32_e32 v72, v69, v88
	v_cndmask_b32_e64 v69, 0, v77, s10
	v_fma_f32 v77, s18, v106, -v68
	s_waitcnt_depctr 0xfff
	v_cndmask_b32_e64 v71, 0, v79, s11
	v_dual_mul_f32 v77, 0x3fb8aa3b, v77 :: v_dual_add_f32 v72, v72, v70
	s_delay_alu instid0(VALU_DEP_1) | instskip(NEXT) | instid1(VALU_DEP_1)
	v_exp_f32_e32 v90, v77
	v_add_f32_e32 v79, v72, v69
	v_cndmask_b32_e64 v72, 0, v78, s12
	v_cndmask_b32_e64 v77, 0, v82, s13
	s_delay_alu instid0(VALU_DEP_3) | instskip(SKIP_1) | instid1(VALU_DEP_1)
	v_add_f32_e32 v78, v79, v71
	v_fma_f32 v79, s18, v107, -v68
	v_dual_add_f32 v82, v78, v72 :: v_dual_mul_f32 v79, 0x3fb8aa3b, v79
	v_cndmask_b32_e64 v78, 0, v81, s15
	s_delay_alu instid0(VALU_DEP_2) | instskip(NEXT) | instid1(VALU_DEP_3)
	v_add_f32_e32 v81, v82, v77
	v_exp_f32_e32 v82, v79
	v_cndmask_b32_e64 v79, 0, v90, s16
	s_delay_alu instid0(VALU_DEP_2) | instskip(NEXT) | instid1(VALU_DEP_1)
	v_add_f32_e32 v81, v81, v78
	v_add_f32_e32 v90, v81, v79
	s_waitcnt_depctr 0xfff
	v_cndmask_b32_e64 v81, 0, v82, s17
	s_delay_alu instid0(VALU_DEP_1)
	v_add_f32_e32 v82, v90, v81
	ds_bpermute_b32 v89, v89, v82
	v_cmpx_gt_u32_e32 16, v67
	s_cbranch_execz .LBB1865_12
; %bb.11:
	v_mul_u32_u24_e32 v67, 0x44, v66
	s_delay_alu instid0(VALU_DEP_1) | instskip(SKIP_1) | instid1(VALU_DEP_1)
	v_lshl_add_u32 v67, v65, 2, v67
	s_waitcnt lgkmcnt(0)
	v_dual_add_f32 v82, v82, v89 :: v_dual_add_nc_u32 v67, 0x4000, v67
	ds_store_2addr_b32 v67, v68, v82 offset1:136
.LBB1865_12:
	s_or_b32 exec_lo, exec_lo, s2
	v_lshlrev_b32_e32 v67, 2, v65
	s_waitcnt lgkmcnt(0)
	s_barrier
	buffer_gl0_inv
	v_cmp_eq_u32_e32 vcc_lo, 1, v66
	v_add_nc_u32_e32 v82, 0x4000, v67
	v_cmp_eq_u32_e64 s2, 2, v66
	v_cmp_eq_u32_e64 s4, 7, v66
	ds_load_2addr_b32 v[89:90], v82 offset1:17
	ds_load_2addr_b32 v[91:92], v82 offset0:34 offset1:51
	ds_load_2addr_b32 v[93:94], v82 offset0:68 offset1:85
	ds_load_2addr_b32 v[95:96], v82 offset0:102 offset1:119
	ds_load_2addr_b32 v[97:98], v82 offset0:136 offset1:153
	s_waitcnt lgkmcnt(4)
	v_max3_f32 v67, v89, 0xff7fffff, v90
	s_waitcnt lgkmcnt(3)
	s_delay_alu instid0(VALU_DEP_1) | instskip(SKIP_1) | instid1(VALU_DEP_1)
	v_max3_f32 v67, v67, v91, v92
	s_waitcnt lgkmcnt(2)
	v_max3_f32 v67, v67, v93, v94
	s_waitcnt lgkmcnt(1)
	s_delay_alu instid0(VALU_DEP_1) | instskip(NEXT) | instid1(VALU_DEP_1)
	v_max3_f32 v67, v67, v95, v96
	v_sub_f32_e32 v93, v93, v67
	s_delay_alu instid0(VALU_DEP_1) | instskip(NEXT) | instid1(VALU_DEP_1)
	v_dual_sub_f32 v68, v89, v67 :: v_dual_mul_f32 v103, 0x3fb8aa3b, v93
	v_mul_f32_e32 v68, 0x3fb8aa3b, v68
	s_delay_alu instid0(VALU_DEP_1)
	v_exp_f32_e32 v100, v68
	v_sub_f32_e32 v68, v92, v67
	v_sub_f32_e32 v99, v90, v67
	ds_load_2addr_b32 v[89:90], v82 offset0:170 offset1:187
	v_dual_mul_f32 v102, 0x3fb8aa3b, v68 :: v_dual_mul_f32 v99, 0x3fb8aa3b, v99
	s_waitcnt lgkmcnt(1)
	v_fma_f32 v68, v100, v97, 0
	s_delay_alu instid0(VALU_DEP_2) | instskip(NEXT) | instid1(VALU_DEP_2)
	v_exp_f32_e32 v102, v102
	v_exp_f32_e32 v99, v99
	s_waitcnt_depctr 0xfff
	v_fmac_f32_e32 v68, v99, v98
	v_sub_f32_e32 v91, v91, v67
	s_delay_alu instid0(VALU_DEP_1)
	v_mul_f32_e32 v101, 0x3fb8aa3b, v91
	ds_load_2addr_b32 v[91:92], v82 offset0:204 offset1:221
	v_sub_f32_e32 v97, v94, v67
	ds_load_2addr_b32 v[93:94], v82 offset0:238 offset1:255
	s_waitcnt lgkmcnt(0)
	v_exp_f32_e32 v101, v101
	s_barrier
	buffer_gl0_inv
	v_dual_fmac_f32 v68, v101, v89 :: v_dual_sub_f32 v89, v96, v67
	v_dual_sub_f32 v82, v95, v67 :: v_dual_mul_f32 v95, 0x3fb8aa3b, v97
	v_exp_f32_e32 v97, v103
	s_delay_alu instid0(VALU_DEP_2) | instskip(NEXT) | instid1(VALU_DEP_2)
	v_dual_fmac_f32 v68, v102, v90 :: v_dual_mul_f32 v89, 0x3fb8aa3b, v89
	v_mul_f32_e32 v82, 0x3fb8aa3b, v82
	s_delay_alu instid0(VALU_DEP_3) | instskip(NEXT) | instid1(VALU_DEP_2)
	v_exp_f32_e32 v95, v95
	v_exp_f32_e32 v89, v89
	s_delay_alu instid0(VALU_DEP_1)
	v_exp_f32_e32 v82, v82
	v_fmac_f32_e32 v68, v97, v91
	s_delay_alu instid0(TRANS32_DEP_3) | instid1(VALU_DEP_1)
	v_fmac_f32_e32 v68, v95, v92
	s_waitcnt_depctr 0xfff
	v_fmac_f32_e32 v68, v82, v93
	s_delay_alu instid0(VALU_DEP_1) | instskip(NEXT) | instid1(VALU_DEP_1)
	v_fmac_f32_e32 v68, v89, v94
	v_add_f32_e32 v90, 0x358637bd, v68
	s_delay_alu instid0(VALU_DEP_1) | instskip(NEXT) | instid1(VALU_DEP_1)
	v_div_scale_f32 v91, null, v90, v90, 1.0
	v_rcp_f32_e32 v92, v91
	s_waitcnt_depctr 0xfff
	v_fma_f32 v93, -v91, v92, 1.0
	s_delay_alu instid0(VALU_DEP_1) | instskip(SKIP_1) | instid1(VALU_DEP_2)
	v_dual_fmac_f32 v92, v93, v92 :: v_dual_cndmask_b32 v93, v100, v99
	v_cmp_eq_u32_e32 vcc_lo, 3, v66
	v_cndmask_b32_e64 v93, v93, v101, s2
	v_cmp_eq_u32_e64 s2, 4, v66
	s_delay_alu instid0(VALU_DEP_2) | instskip(SKIP_1) | instid1(VALU_DEP_2)
	v_cndmask_b32_e32 v93, v93, v102, vcc_lo
	v_cmp_eq_u32_e32 vcc_lo, 5, v66
	v_cndmask_b32_e64 v93, v93, v97, s2
	v_cmp_eq_u32_e64 s2, 6, v66
	s_delay_alu instid0(VALU_DEP_2) | instskip(SKIP_1) | instid1(VALU_DEP_1)
	v_cndmask_b32_e32 v93, v93, v95, vcc_lo
	v_div_scale_f32 v94, s3, 1.0, v90, 1.0
	s_mov_b32 vcc_lo, s3
	s_delay_alu instid0(VALU_DEP_2) | instskip(NEXT) | instid1(VALU_DEP_2)
	v_cndmask_b32_e64 v82, v93, v82, s2
	v_mul_f32_e32 v96, v94, v92
	s_mov_b32 s2, exec_lo
	s_delay_alu instid0(VALU_DEP_2) | instskip(NEXT) | instid1(VALU_DEP_2)
	v_cndmask_b32_e64 v82, v82, v89, s4
	v_fma_f32 v98, -v91, v96, v94
	s_delay_alu instid0(VALU_DEP_1) | instskip(NEXT) | instid1(VALU_DEP_1)
	v_fmac_f32_e32 v96, v98, v92
	v_fma_f32 v91, -v91, v96, v94
	s_delay_alu instid0(VALU_DEP_1) | instskip(NEXT) | instid1(VALU_DEP_1)
	v_div_fmas_f32 v91, v91, v92, v96
	v_div_fixup_f32 v90, v91, v90, 1.0
	s_delay_alu instid0(VALU_DEP_1) | instskip(NEXT) | instid1(VALU_DEP_1)
	v_mul_f32_e32 v82, v82, v90
	v_mul_f32_e32 v87, v82, v87
	;; [unrolled: 1-line block ×7, first 2 shown]
	v_dual_mul_f32 v86, v82, v83 :: v_dual_and_b32 v91, 0x7f800000, v90
	v_mul_f32_e32 v85, v82, v76
                                        ; implicit-def: $vgpr76
	s_delay_alu instid0(VALU_DEP_2)
	v_cmpx_ne_u32_e32 0x7f800000, v91
	s_xor_b32 s2, exec_lo, s2
; %bb.13:
	v_bfe_u32 v76, v90, 16, 1
	s_delay_alu instid0(VALU_DEP_1)
	v_add3_u32 v76, v90, v76, 0x7fff
                                        ; implicit-def: $vgpr90
; %bb.14:
	s_and_not1_saveexec_b32 s2, s2
; %bb.15:
	v_and_b32_e32 v76, 0xffff, v90
	v_or_b32_e32 v83, 0x10000, v90
	s_delay_alu instid0(VALU_DEP_2) | instskip(NEXT) | instid1(VALU_DEP_2)
	v_cmp_eq_u32_e32 vcc_lo, 0, v76
	v_cndmask_b32_e32 v76, v83, v90, vcc_lo
; %bb.16:
	s_or_b32 exec_lo, exec_lo, s2
	v_and_b32_e32 v83, 0x7f800000, v85
	s_delay_alu instid0(VALU_DEP_1) | instskip(SKIP_1) | instid1(SALU_CYCLE_1)
	v_cmp_ne_u32_e32 vcc_lo, 0x7f800000, v83
                                        ; implicit-def: $vgpr83
	s_and_saveexec_b32 s2, vcc_lo
	s_xor_b32 s2, exec_lo, s2
; %bb.17:
	v_bfe_u32 v83, v85, 16, 1
	s_delay_alu instid0(VALU_DEP_1)
	v_add3_u32 v83, v85, v83, 0x7fff
                                        ; implicit-def: $vgpr85
; %bb.18:
	s_and_not1_saveexec_b32 s2, s2
; %bb.19:
	v_and_b32_e32 v83, 0xffff, v85
	v_or_b32_e32 v90, 0x10000, v85
	s_delay_alu instid0(VALU_DEP_2) | instskip(NEXT) | instid1(VALU_DEP_2)
	v_cmp_eq_u32_e32 vcc_lo, 0, v83
	v_cndmask_b32_e32 v83, v90, v85, vcc_lo
; %bb.20:
	s_or_b32 exec_lo, exec_lo, s2
	v_and_b32_e32 v85, 0x7f800000, v86
	s_delay_alu instid0(VALU_DEP_1) | instskip(SKIP_1) | instid1(SALU_CYCLE_1)
	v_cmp_ne_u32_e32 vcc_lo, 0x7f800000, v85
                                        ; implicit-def: $vgpr85
	s_and_saveexec_b32 s2, vcc_lo
	s_xor_b32 s2, exec_lo, s2
; %bb.21:
	v_bfe_u32 v85, v86, 16, 1
	s_delay_alu instid0(VALU_DEP_1)
	v_add3_u32 v85, v86, v85, 0x7fff
                                        ; implicit-def: $vgpr86
; %bb.22:
	s_and_not1_saveexec_b32 s2, s2
; %bb.23:
	v_and_b32_e32 v85, 0xffff, v86
	v_or_b32_e32 v90, 0x10000, v86
	s_delay_alu instid0(VALU_DEP_2) | instskip(NEXT) | instid1(VALU_DEP_2)
	v_cmp_eq_u32_e32 vcc_lo, 0, v85
	v_cndmask_b32_e32 v85, v90, v86, vcc_lo
; %bb.24:
	s_or_b32 exec_lo, exec_lo, s2
	v_and_b32_e32 v86, 0x7f800000, v89
	s_delay_alu instid0(VALU_DEP_1) | instskip(SKIP_1) | instid1(SALU_CYCLE_1)
	v_cmp_ne_u32_e32 vcc_lo, 0x7f800000, v86
                                        ; implicit-def: $vgpr86
	s_and_saveexec_b32 s2, vcc_lo
	s_xor_b32 s2, exec_lo, s2
; %bb.25:
	v_bfe_u32 v86, v89, 16, 1
	s_delay_alu instid0(VALU_DEP_1)
	v_add3_u32 v86, v89, v86, 0x7fff
                                        ; implicit-def: $vgpr89
; %bb.26:
	s_and_not1_saveexec_b32 s2, s2
; %bb.27:
	v_and_b32_e32 v86, 0xffff, v89
	v_or_b32_e32 v90, 0x10000, v89
	s_delay_alu instid0(VALU_DEP_2) | instskip(NEXT) | instid1(VALU_DEP_2)
	v_cmp_eq_u32_e32 vcc_lo, 0, v86
	v_cndmask_b32_e32 v86, v90, v89, vcc_lo
; %bb.28:
	s_or_b32 exec_lo, exec_lo, s2
	v_and_b32_e32 v89, 0x7f800000, v88
	s_delay_alu instid0(VALU_DEP_1) | instskip(SKIP_1) | instid1(SALU_CYCLE_1)
	v_cmp_ne_u32_e32 vcc_lo, 0x7f800000, v89
                                        ; implicit-def: $vgpr89
	s_and_saveexec_b32 s2, vcc_lo
	s_xor_b32 s2, exec_lo, s2
; %bb.29:
	v_bfe_u32 v89, v88, 16, 1
	s_delay_alu instid0(VALU_DEP_1)
	v_add3_u32 v89, v88, v89, 0x7fff
                                        ; implicit-def: $vgpr88
; %bb.30:
	s_and_not1_saveexec_b32 s2, s2
; %bb.31:
	v_and_b32_e32 v89, 0xffff, v88
	v_or_b32_e32 v90, 0x10000, v88
	s_delay_alu instid0(VALU_DEP_2) | instskip(NEXT) | instid1(VALU_DEP_2)
	v_cmp_eq_u32_e32 vcc_lo, 0, v89
	v_cndmask_b32_e32 v89, v90, v88, vcc_lo
; %bb.32:
	s_or_b32 exec_lo, exec_lo, s2
	v_and_b32_e32 v88, 0x7f800000, v87
	s_delay_alu instid0(VALU_DEP_1) | instskip(SKIP_1) | instid1(SALU_CYCLE_1)
	v_cmp_ne_u32_e32 vcc_lo, 0x7f800000, v88
                                        ; implicit-def: $vgpr88
	s_and_saveexec_b32 s2, vcc_lo
	s_xor_b32 s2, exec_lo, s2
; %bb.33:
	v_bfe_u32 v88, v87, 16, 1
	s_delay_alu instid0(VALU_DEP_1)
	v_add3_u32 v88, v87, v88, 0x7fff
                                        ; implicit-def: $vgpr87
; %bb.34:
	s_and_not1_saveexec_b32 s2, s2
; %bb.35:
	v_and_b32_e32 v88, 0xffff, v87
	v_or_b32_e32 v90, 0x10000, v87
	s_delay_alu instid0(VALU_DEP_2) | instskip(NEXT) | instid1(VALU_DEP_2)
	v_cmp_eq_u32_e32 vcc_lo, 0, v88
	v_cndmask_b32_e32 v88, v90, v87, vcc_lo
; %bb.36:
	s_or_b32 exec_lo, exec_lo, s2
	v_and_b32_e32 v87, 0x7f800000, v84
	s_delay_alu instid0(VALU_DEP_1) | instskip(SKIP_1) | instid1(SALU_CYCLE_1)
	v_cmp_ne_u32_e32 vcc_lo, 0x7f800000, v87
                                        ; implicit-def: $vgpr87
	s_and_saveexec_b32 s2, vcc_lo
	s_xor_b32 s2, exec_lo, s2
; %bb.37:
	v_bfe_u32 v87, v84, 16, 1
	s_delay_alu instid0(VALU_DEP_1)
	v_add3_u32 v87, v84, v87, 0x7fff
                                        ; implicit-def: $vgpr84
; %bb.38:
	s_and_not1_saveexec_b32 s2, s2
; %bb.39:
	v_and_b32_e32 v87, 0xffff, v84
	v_or_b32_e32 v90, 0x10000, v84
	s_delay_alu instid0(VALU_DEP_2) | instskip(NEXT) | instid1(VALU_DEP_2)
	v_cmp_eq_u32_e32 vcc_lo, 0, v87
	v_cndmask_b32_e32 v87, v90, v84, vcc_lo
; %bb.40:
	s_or_b32 exec_lo, exec_lo, s2
	v_and_b32_e32 v84, 0x7f800000, v80
	s_delay_alu instid0(VALU_DEP_1) | instskip(SKIP_1) | instid1(SALU_CYCLE_1)
	v_cmp_ne_u32_e32 vcc_lo, 0x7f800000, v84
                                        ; implicit-def: $vgpr84
	s_and_saveexec_b32 s2, vcc_lo
	s_xor_b32 s2, exec_lo, s2
; %bb.41:
	v_bfe_u32 v84, v80, 16, 1
	s_delay_alu instid0(VALU_DEP_1)
	v_add3_u32 v84, v80, v84, 0x7fff
                                        ; implicit-def: $vgpr80
; %bb.42:
	s_and_not1_saveexec_b32 s2, s2
; %bb.43:
	v_and_b32_e32 v84, 0xffff, v80
	v_or_b32_e32 v90, 0x10000, v80
	s_delay_alu instid0(VALU_DEP_2) | instskip(NEXT) | instid1(VALU_DEP_2)
	v_cmp_eq_u32_e32 vcc_lo, 0, v84
	v_cndmask_b32_e32 v84, v90, v80, vcc_lo
; %bb.44:
	s_or_b32 exec_lo, exec_lo, s2
	s_load_b64 s[34:35], s[0:1], 0x94
	v_lshlrev_b32_e32 v91, 4, v74
	s_delay_alu instid0(VALU_DEP_2)
	v_perm_b32 v90, v84, v87, 0x7060302
	v_dual_mul_f32 v79, v82, v79 :: v_dual_lshlrev_b32 v80, 6, v65
	v_dual_mul_f32 v77, v82, v77 :: v_dual_lshlrev_b32 v92, 11, v66
	v_mul_f32_e32 v84, v82, v70
	v_perm_b32 v89, v88, v89, 0x7060302
	v_perm_b32 v88, v86, v85, 0x7060302
	;; [unrolled: 1-line block ×3, first 2 shown]
	v_mul_f32_e32 v70, v82, v81
	v_or3_b32 v76, v91, v92, v80
	v_dual_mul_f32 v78, v82, v78 :: v_dual_and_b32 v85, 0x7f800000, v84
	v_mul_f32_e32 v83, v82, v72
	v_mul_f32_e32 v81, v82, v71
	v_mul_f32_e32 v72, v82, v69
	s_mov_b32 s2, exec_lo
	ds_store_b128 v76, v[87:90]
                                        ; implicit-def: $vgpr69
	v_cmpx_ne_u32_e32 0x7f800000, v85
	s_xor_b32 s2, exec_lo, s2
; %bb.45:
	v_bfe_u32 v69, v84, 16, 1
	s_delay_alu instid0(VALU_DEP_1)
	v_add3_u32 v69, v84, v69, 0x7fff
                                        ; implicit-def: $vgpr84
; %bb.46:
	s_and_not1_saveexec_b32 s2, s2
; %bb.47:
	v_and_b32_e32 v69, 0xffff, v84
	v_or_b32_e32 v71, 0x10000, v84
	s_delay_alu instid0(VALU_DEP_2) | instskip(NEXT) | instid1(VALU_DEP_2)
	v_cmp_eq_u32_e32 vcc_lo, 0, v69
	v_cndmask_b32_e32 v69, v71, v84, vcc_lo
; %bb.48:
	s_or_b32 exec_lo, exec_lo, s2
	v_and_b32_e32 v71, 0x7f800000, v72
	s_delay_alu instid0(VALU_DEP_1) | instskip(SKIP_1) | instid1(SALU_CYCLE_1)
	v_cmp_ne_u32_e32 vcc_lo, 0x7f800000, v71
                                        ; implicit-def: $vgpr71
	s_and_saveexec_b32 s2, vcc_lo
	s_xor_b32 s2, exec_lo, s2
; %bb.49:
	v_bfe_u32 v71, v72, 16, 1
	s_delay_alu instid0(VALU_DEP_1)
	v_add3_u32 v71, v72, v71, 0x7fff
                                        ; implicit-def: $vgpr72
; %bb.50:
	s_and_not1_saveexec_b32 s2, s2
; %bb.51:
	v_and_b32_e32 v71, 0xffff, v72
	v_or_b32_e32 v82, 0x10000, v72
	s_delay_alu instid0(VALU_DEP_2) | instskip(NEXT) | instid1(VALU_DEP_2)
	v_cmp_eq_u32_e32 vcc_lo, 0, v71
	v_cndmask_b32_e32 v71, v82, v72, vcc_lo
; %bb.52:
	s_or_b32 exec_lo, exec_lo, s2
	v_and_b32_e32 v72, 0x7f800000, v81
	s_delay_alu instid0(VALU_DEP_1) | instskip(SKIP_1) | instid1(SALU_CYCLE_1)
	v_cmp_ne_u32_e32 vcc_lo, 0x7f800000, v72
                                        ; implicit-def: $vgpr72
	s_and_saveexec_b32 s2, vcc_lo
	s_xor_b32 s2, exec_lo, s2
; %bb.53:
	v_bfe_u32 v72, v81, 16, 1
	s_delay_alu instid0(VALU_DEP_1)
	v_add3_u32 v72, v81, v72, 0x7fff
                                        ; implicit-def: $vgpr81
; %bb.54:
	s_and_not1_saveexec_b32 s2, s2
; %bb.55:
	v_and_b32_e32 v72, 0xffff, v81
	v_or_b32_e32 v82, 0x10000, v81
	s_delay_alu instid0(VALU_DEP_2) | instskip(NEXT) | instid1(VALU_DEP_2)
	v_cmp_eq_u32_e32 vcc_lo, 0, v72
	v_cndmask_b32_e32 v72, v82, v81, vcc_lo
; %bb.56:
	s_or_b32 exec_lo, exec_lo, s2
	v_and_b32_e32 v81, 0x7f800000, v83
	s_delay_alu instid0(VALU_DEP_1) | instskip(SKIP_1) | instid1(SALU_CYCLE_1)
	v_cmp_ne_u32_e32 vcc_lo, 0x7f800000, v81
                                        ; implicit-def: $vgpr81
	s_and_saveexec_b32 s2, vcc_lo
	s_xor_b32 s2, exec_lo, s2
; %bb.57:
	v_bfe_u32 v81, v83, 16, 1
	s_delay_alu instid0(VALU_DEP_1)
	v_add3_u32 v81, v83, v81, 0x7fff
                                        ; implicit-def: $vgpr83
; %bb.58:
	s_and_not1_saveexec_b32 s2, s2
; %bb.59:
	v_and_b32_e32 v81, 0xffff, v83
	v_or_b32_e32 v82, 0x10000, v83
	s_delay_alu instid0(VALU_DEP_2) | instskip(NEXT) | instid1(VALU_DEP_2)
	v_cmp_eq_u32_e32 vcc_lo, 0, v81
	v_cndmask_b32_e32 v81, v82, v83, vcc_lo
; %bb.60:
	s_or_b32 exec_lo, exec_lo, s2
	v_and_b32_e32 v82, 0x7f800000, v77
	s_delay_alu instid0(VALU_DEP_1) | instskip(SKIP_1) | instid1(SALU_CYCLE_1)
	v_cmp_ne_u32_e32 vcc_lo, 0x7f800000, v82
                                        ; implicit-def: $vgpr82
	s_and_saveexec_b32 s2, vcc_lo
	s_xor_b32 s2, exec_lo, s2
; %bb.61:
	v_bfe_u32 v82, v77, 16, 1
	s_delay_alu instid0(VALU_DEP_1)
	v_add3_u32 v82, v77, v82, 0x7fff
                                        ; implicit-def: $vgpr77
; %bb.62:
	s_and_not1_saveexec_b32 s2, s2
; %bb.63:
	v_and_b32_e32 v82, 0xffff, v77
	v_or_b32_e32 v83, 0x10000, v77
	s_delay_alu instid0(VALU_DEP_2) | instskip(NEXT) | instid1(VALU_DEP_2)
	v_cmp_eq_u32_e32 vcc_lo, 0, v82
	v_cndmask_b32_e32 v82, v83, v77, vcc_lo
; %bb.64:
	s_or_b32 exec_lo, exec_lo, s2
	v_and_b32_e32 v77, 0x7f800000, v78
	s_delay_alu instid0(VALU_DEP_1) | instskip(SKIP_1) | instid1(SALU_CYCLE_1)
	v_cmp_ne_u32_e32 vcc_lo, 0x7f800000, v77
                                        ; implicit-def: $vgpr77
	s_and_saveexec_b32 s2, vcc_lo
	s_xor_b32 s2, exec_lo, s2
; %bb.65:
	v_bfe_u32 v77, v78, 16, 1
	s_delay_alu instid0(VALU_DEP_1)
	v_add3_u32 v77, v78, v77, 0x7fff
                                        ; implicit-def: $vgpr78
; %bb.66:
	s_and_not1_saveexec_b32 s2, s2
; %bb.67:
	v_and_b32_e32 v77, 0xffff, v78
	v_or_b32_e32 v83, 0x10000, v78
	s_delay_alu instid0(VALU_DEP_2) | instskip(NEXT) | instid1(VALU_DEP_2)
	v_cmp_eq_u32_e32 vcc_lo, 0, v77
	v_cndmask_b32_e32 v77, v83, v78, vcc_lo
; %bb.68:
	s_or_b32 exec_lo, exec_lo, s2
	v_and_b32_e32 v78, 0x7f800000, v79
	s_delay_alu instid0(VALU_DEP_1) | instskip(SKIP_1) | instid1(SALU_CYCLE_1)
	v_cmp_ne_u32_e32 vcc_lo, 0x7f800000, v78
                                        ; implicit-def: $vgpr78
	s_and_saveexec_b32 s2, vcc_lo
	s_xor_b32 s2, exec_lo, s2
; %bb.69:
	v_bfe_u32 v78, v79, 16, 1
	s_delay_alu instid0(VALU_DEP_1)
	v_add3_u32 v78, v79, v78, 0x7fff
                                        ; implicit-def: $vgpr79
; %bb.70:
	s_and_not1_saveexec_b32 s2, s2
; %bb.71:
	v_and_b32_e32 v78, 0xffff, v79
	v_or_b32_e32 v83, 0x10000, v79
	s_delay_alu instid0(VALU_DEP_2) | instskip(NEXT) | instid1(VALU_DEP_2)
	v_cmp_eq_u32_e32 vcc_lo, 0, v78
	v_cndmask_b32_e32 v78, v83, v79, vcc_lo
; %bb.72:
	s_or_b32 exec_lo, exec_lo, s2
	v_and_b32_e32 v79, 0x7f800000, v70
	s_delay_alu instid0(VALU_DEP_1) | instskip(SKIP_1) | instid1(SALU_CYCLE_1)
	v_cmp_ne_u32_e32 vcc_lo, 0x7f800000, v79
                                        ; implicit-def: $vgpr79
	s_and_saveexec_b32 s2, vcc_lo
	s_xor_b32 s2, exec_lo, s2
; %bb.73:
	v_bfe_u32 v79, v70, 16, 1
	s_delay_alu instid0(VALU_DEP_1)
	v_add3_u32 v79, v70, v79, 0x7fff
                                        ; implicit-def: $vgpr70
; %bb.74:
	s_and_not1_saveexec_b32 s2, s2
; %bb.75:
	v_and_b32_e32 v79, 0xffff, v70
	v_or_b32_e32 v83, 0x10000, v70
	s_delay_alu instid0(VALU_DEP_2) | instskip(NEXT) | instid1(VALU_DEP_2)
	v_cmp_eq_u32_e32 vcc_lo, 0, v79
	v_cndmask_b32_e32 v79, v83, v70, vcc_lo
; %bb.76:
	s_or_b32 exec_lo, exec_lo, s2
	s_delay_alu instid0(VALU_DEP_1)
	v_perm_b32 v86, v79, v78, 0x7060302
	v_perm_b32 v85, v77, v82, 0x7060302
	;; [unrolled: 1-line block ×4, first 2 shown]
	v_lshl_or_b32 v82, v66, 11, v80
	ds_store_b128 v76, v[83:86] offset:1024
	s_waitcnt lgkmcnt(0)
	s_barrier
	buffer_gl0_inv
	ds_load_b128 v[69:72], v82
	ds_load_b128 v[83:86], v82 offset:16
	s_waitcnt lgkmcnt(1)
	v_lshrrev_b32_e32 v66, 16, v69
	s_waitcnt lgkmcnt(0)
	v_lshrrev_b32_e32 v91, 16, v83
	v_lshlrev_b32_e32 v78, 2, v74
	v_lshrrev_b32_e32 v95, 16, v70
	v_lshrrev_b32_e32 v98, 16, v84
	;; [unrolled: 1-line block ×4, first 2 shown]
	v_cmp_eq_u32_e32 vcc_lo, 1, v78
	v_lshrrev_b32_e32 v97, 16, v72
	v_lshrrev_b32_e32 v100, 16, v86
	v_cndmask_b32_e32 v87, v83, v91, vcc_lo
	v_or_b32_e32 v79, 1, v78
	v_cndmask_b32_e32 v81, v69, v66, vcc_lo
	v_cmp_eq_u32_e64 s3, 2, v78
	v_cmp_eq_u32_e64 s6, 3, v78
	;; [unrolled: 1-line block ×5, first 2 shown]
	v_cndmask_b32_e64 v81, v81, v70, s3
	v_cndmask_b32_e64 v87, v87, v84, s3
	v_cmp_eq_u32_e64 s7, 3, v79
	v_cndmask_b32_e64 v88, v69, v66, s2
	v_or_b32_e32 v77, 2, v78
	v_cndmask_b32_e64 v81, v81, v95, s6
	v_cndmask_b32_e64 v87, v87, v98, s6
	;; [unrolled: 1-line block ×4, first 2 shown]
	v_cmp_eq_u32_e64 s9, 5, v78
	v_cndmask_b32_e64 v81, v81, v71, s8
	v_cndmask_b32_e64 v87, v87, v85, s8
	v_cmp_eq_u32_e64 s10, 4, v79
	v_cndmask_b32_e64 v88, v88, v95, s7
	v_cmp_eq_u32_e64 s4, 1, v77
	v_cndmask_b32_e64 v89, v89, v84, s5
	v_cndmask_b32_e64 v81, v81, v96, s9
	v_cmp_eq_u32_e64 s11, 6, v78
	v_cndmask_b32_e64 v88, v88, v71, s10
	;; [unrolled: 3-line block ×3, first 2 shown]
	v_cndmask_b32_e64 v89, v89, v98, s7
	v_cndmask_b32_e64 v81, v81, v72, s11
	v_cmp_eq_u32_e64 s13, 7, v78
	v_cndmask_b32_e64 v88, v88, v96, s12
	v_cndmask_b32_e64 v87, v87, v86, s11
	v_cmp_eq_u32_e64 s15, 6, v79
	v_cmp_eq_u32_e64 s16, 2, v77
	v_cndmask_b32_e64 v89, v89, v85, s10
	v_cndmask_b32_e64 v101, v81, v97, s13
	;; [unrolled: 1-line block ×6, first 2 shown]
	v_cmp_eq_u32_e64 s17, 7, v79
	v_cmp_eq_u32_e64 s18, 3, v77
	;; [unrolled: 1-line block ×4, first 2 shown]
	v_cndmask_b32_e64 v87, v87, v84, s16
	v_cndmask_b32_e64 v103, v88, v97, s17
	;; [unrolled: 1-line block ×4, first 2 shown]
	v_or_b32_e32 v81, 3, v78
	v_cndmask_b32_e64 v93, v87, v98, s18
	v_cmp_eq_u32_e64 s23, 6, v77
	v_cndmask_b32_e64 v104, v88, v86, s15
	v_cndmask_b32_e64 v92, v89, v71, s19
	v_cmp_eq_u32_e64 s20, 1, v81
	ds_load_b128 v[87:90], v82 offset:1024
	v_cmp_eq_u32_e64 s22, 2, v81
	v_cmp_eq_u32_e64 s24, 3, v81
	v_cndmask_b32_e64 v105, v92, v96, s21
	v_cndmask_b32_e64 v66, v69, v66, s20
	;; [unrolled: 1-line block ×4, first 2 shown]
	ds_load_b128 v[91:94], v82 offset:1040
	v_cmp_eq_u32_e64 s25, 4, v81
	v_cndmask_b32_e64 v66, v66, v70, s22
	v_cmp_eq_u32_e64 s26, 7, v77
	v_cndmask_b32_e64 v70, v83, v84, s22
	v_cndmask_b32_e64 v84, v105, v72, s23
	v_cmp_eq_u32_e64 s27, 5, v81
	v_cndmask_b32_e64 v66, v66, v95, s24
	v_cmp_eq_u32_e64 s28, 6, v81
	v_cndmask_b32_e64 v70, v70, v98, s24
	v_cndmask_b32_e64 v69, v69, v99, s21
	;; [unrolled: 1-line block ×4, first 2 shown]
	s_waitcnt lgkmcnt(1)
	v_lshrrev_b32_e32 v95, 16, v87
	v_cndmask_b32_e64 v70, v70, v85, s25
	v_cndmask_b32_e64 v71, v84, v97, s26
	;; [unrolled: 1-line block ×4, first 2 shown]
	v_cndmask_b32_e32 v84, v87, v95, vcc_lo
	v_cndmask_b32_e64 v70, v70, v99, s27
	s_waitcnt lgkmcnt(0)
	v_lshrrev_b32_e32 v85, 16, v91
	v_lshrrev_b32_e32 v96, 16, v88
	v_cndmask_b32_e64 v98, v87, v95, s2
	v_cndmask_b32_e64 v84, v84, v88, s3
	v_cndmask_b32_e64 v70, v70, v86, s28
	v_cndmask_b32_e32 v99, v91, v85, vcc_lo
	v_cmp_eq_u32_e32 vcc_lo, 7, v81
	v_cndmask_b32_e64 v66, v66, v72, s28
	v_cndmask_b32_e64 v72, v84, v96, s6
	;; [unrolled: 1-line block ×3, first 2 shown]
	v_lshrrev_b32_e32 v98, 16, v92
	v_cndmask_b32_e32 v70, v70, v100, vcc_lo
	v_cndmask_b32_e64 v86, v99, v92, s3
	v_cndmask_b32_e64 v69, v69, v100, s26
	v_lshrrev_b32_e32 v100, 16, v93
	v_cndmask_b32_e64 v72, v72, v89, s8
	v_lshrrev_b32_e32 v99, 16, v89
	v_cndmask_b32_e64 v86, v86, v98, s6
	v_perm_b32 v71, v69, v71, 0x5040100
	v_cndmask_b32_e64 v84, v84, v96, s7
	s_delay_alu instid0(VALU_DEP_3) | instskip(NEXT) | instid1(VALU_DEP_2)
	v_cndmask_b32_e64 v86, v86, v93, s8
	v_cndmask_b32_e64 v84, v84, v89, s10
	s_delay_alu instid0(VALU_DEP_2) | instskip(NEXT) | instid1(VALU_DEP_1)
	v_cndmask_b32_e64 v86, v86, v100, s9
	v_cndmask_b32_e64 v69, v86, v94, s11
	;; [unrolled: 1-line block ×5, first 2 shown]
	s_delay_alu instid0(VALU_DEP_3) | instskip(NEXT) | instid1(VALU_DEP_3)
	v_cndmask_b32_e64 v86, v86, v88, s16
	v_cndmask_b32_e64 v87, v87, v88, s22
	s_delay_alu instid0(VALU_DEP_3) | instskip(NEXT) | instid1(VALU_DEP_3)
	v_cndmask_b32_e64 v88, v95, v92, s22
	v_cndmask_b32_e64 v86, v86, v96, s18
	;; [unrolled: 3-line block ×7, first 2 shown]
	s_delay_alu instid0(VALU_DEP_3) | instskip(SKIP_2) | instid1(VALU_DEP_2)
	v_cndmask_b32_e64 v88, v88, v94, s28
	v_cndmask_b32_e32 v66, v66, v97, vcc_lo
	v_cndmask_b32_e64 v97, v72, v99, s9
	v_perm_b32 v72, v70, v66, 0x5040100
	v_perm_b32 v70, v83, v103, 0x5040100
	v_cndmask_b32_e64 v103, v91, v85, s4
	v_cndmask_b32_e64 v85, v91, v85, s2
	;; [unrolled: 1-line block ×4, first 2 shown]
	v_lshrrev_b32_e32 v97, 16, v90
	v_cndmask_b32_e64 v91, v103, v92, s16
	v_cndmask_b32_e64 v85, v85, v92, s5
	;; [unrolled: 1-line block ×3, first 2 shown]
	s_mov_b32 s2, exec_lo
	v_cndmask_b32_e64 v83, v84, v97, s13
	v_cndmask_b32_e64 v91, v91, v98, s18
	;; [unrolled: 1-line block ×3, first 2 shown]
	v_lshrrev_b32_e32 v84, 16, v94
	v_cndmask_b32_e64 v66, v66, v97, s17
	v_cndmask_b32_e64 v90, v86, v97, s26
	;; [unrolled: 1-line block ×4, first 2 shown]
	v_dual_cndmask_b32 v86, v87, v97 :: v_dual_cndmask_b32 v87, v88, v84
	v_cndmask_b32_e64 v91, v69, v84, s13
	s_delay_alu instid0(VALU_DEP_4) | instskip(NEXT) | instid1(VALU_DEP_4)
	v_cndmask_b32_e64 v89, v89, v100, s21
	v_cndmask_b32_e64 v85, v85, v100, s12
	v_perm_b32 v69, v102, v101, 0x5040100
	v_perm_b32 v86, v87, v86, 0x5040100
	;; [unrolled: 1-line block ×3, first 2 shown]
	v_cndmask_b32_e64 v89, v89, v94, s23
	v_cndmask_b32_e64 v85, v85, v94, s15
	s_mul_i32 s7, s35, 12
	s_delay_alu instid0(VALU_DEP_2) | instskip(NEXT) | instid1(VALU_DEP_2)
	v_cndmask_b32_e64 v88, v89, v84, s26
	v_cndmask_b32_e64 v89, v85, v84, s17
	s_delay_alu instid0(VALU_DEP_2) | instskip(NEXT) | instid1(VALU_DEP_2)
	v_perm_b32 v85, v88, v90, 0x5040100
	v_perm_b32 v84, v89, v66, 0x5040100
	ds_store_b128 v76, v[69:72]
	ds_store_b128 v76, v[83:86] offset:1024
	v_cmpx_gt_u32_e32 12, v0
	s_cbranch_execz .LBB1865_78
; %bb.77:
	s_mul_i32 s3, s7, s30
	s_load_b128 s[8:11], s[0:1], 0x58
	v_add3_u32 v69, s3, s29, v65
	s_delay_alu instid0(VALU_DEP_1) | instskip(NEXT) | instid1(VALU_DEP_1)
	v_mad_u64_u32 v[65:66], null, v69, s34, s[14:15]
	v_ashrrev_i32_e32 v66, 31, v65
	s_delay_alu instid0(VALU_DEP_1) | instskip(SKIP_1) | instid1(VALU_DEP_1)
	v_lshlrev_b64 v[65:66], 2, v[65:66]
	s_waitcnt lgkmcnt(0)
	v_add_co_u32 v69, vcc_lo, s10, v65
	s_delay_alu instid0(VALU_DEP_2)
	v_add_co_ci_u32_e32 v70, vcc_lo, s11, v66, vcc_lo
	v_add_co_u32 v65, vcc_lo, s8, v65
	v_add_co_ci_u32_e32 v66, vcc_lo, s9, v66, vcc_lo
	global_store_b32 v[69:70], v67, off
	global_store_b32 v[65:66], v68, off
.LBB1865_78:
	s_or_b32 exec_lo, exec_lo, s2
	s_waitcnt lgkmcnt(0)
	s_waitcnt_vscnt null, 0x0
	s_barrier
	buffer_gl0_inv
	ds_load_b128 v[83:86], v80
	ds_load_b128 v[87:90], v80 offset:16
	ds_load_b128 v[95:98], v80 offset:2064
	;; [unrolled: 1-line block ×3, first 2 shown]
	v_mov_b32_e32 v65, 0
	ds_load_b128 v[103:106], v80 offset:4112
	ds_load_b128 v[99:102], v80 offset:4096
	;; [unrolled: 1-line block ×4, first 2 shown]
	v_mov_b32_e32 v66, v65
	v_mov_b32_e32 v67, v65
	;; [unrolled: 1-line block ×7, first 2 shown]
	s_waitcnt lgkmcnt(6)
	s_delay_alu instid0(VALU_DEP_1)
	v_wmma_f32_16x16x16_bf16 v[65:72], v[49:56], v[83:90], v[65:72]
	ds_load_b128 v[53:56], v80 offset:8208
	ds_load_b128 v[49:52], v80 offset:8192
	s_waitcnt lgkmcnt(6)
	v_wmma_f32_16x16x16_bf16 v[65:72], v[41:48], v[91:98], v[65:72]
	ds_load_b128 v[45:48], v80 offset:10256
	ds_load_b128 v[41:44], v80 offset:10240
	s_waitcnt lgkmcnt(6)
	;; [unrolled: 4-line block ×4, first 2 shown]
	v_wmma_f32_16x16x16_bf16 v[65:72], v[1:8], v[49:56], v[65:72]
	s_waitcnt lgkmcnt(4)
	s_delay_alu instid0(VALU_DEP_1) | instskip(SKIP_1) | instid1(VALU_DEP_1)
	v_wmma_f32_16x16x16_bf16 v[65:72], v[9:16], v[41:48], v[65:72]
	s_waitcnt lgkmcnt(2)
	v_wmma_f32_16x16x16_bf16 v[65:72], v[17:24], v[33:40], v[65:72]
	s_waitcnt lgkmcnt(0)
	s_delay_alu instid0(VALU_DEP_1) | instskip(NEXT) | instid1(VALU_DEP_1)
	v_wmma_f32_16x16x16_bf16 v[65:72], v[57:64], v[25:32], v[65:72]
	v_and_b32_e32 v1, 0x7f800000, v65
	s_delay_alu instid0(VALU_DEP_1) | instskip(SKIP_1) | instid1(SALU_CYCLE_1)
	v_cmp_ne_u32_e32 vcc_lo, 0x7f800000, v1
                                        ; implicit-def: $vgpr1
	s_and_saveexec_b32 s2, vcc_lo
	s_xor_b32 s2, exec_lo, s2
; %bb.79:
	v_bfe_u32 v1, v65, 16, 1
	s_delay_alu instid0(VALU_DEP_1)
	v_add3_u32 v1, v65, v1, 0x7fff
; %bb.80:
	s_and_not1_saveexec_b32 s2, s2
; %bb.81:
	v_and_b32_e32 v1, 0xffff, v65
	v_or_b32_e32 v2, 0x10000, v65
	s_delay_alu instid0(VALU_DEP_2) | instskip(NEXT) | instid1(VALU_DEP_2)
	v_cmp_eq_u32_e32 vcc_lo, 0, v1
	v_cndmask_b32_e32 v1, v2, v65, vcc_lo
; %bb.82:
	s_or_b32 exec_lo, exec_lo, s2
	v_and_b32_e32 v2, 0x7f800000, v66
	s_delay_alu instid0(VALU_DEP_1) | instskip(SKIP_1) | instid1(SALU_CYCLE_1)
	v_cmp_ne_u32_e32 vcc_lo, 0x7f800000, v2
                                        ; implicit-def: $vgpr2
	s_and_saveexec_b32 s2, vcc_lo
	s_xor_b32 s2, exec_lo, s2
; %bb.83:
	v_bfe_u32 v2, v66, 16, 1
	s_delay_alu instid0(VALU_DEP_1)
	v_add3_u32 v2, v66, v2, 0x7fff
; %bb.84:
	s_and_not1_saveexec_b32 s2, s2
; %bb.85:
	v_and_b32_e32 v2, 0xffff, v66
	v_or_b32_e32 v3, 0x10000, v66
	s_delay_alu instid0(VALU_DEP_2) | instskip(NEXT) | instid1(VALU_DEP_2)
	v_cmp_eq_u32_e32 vcc_lo, 0, v2
	v_cndmask_b32_e32 v2, v3, v66, vcc_lo
; %bb.86:
	s_or_b32 exec_lo, exec_lo, s2
	v_and_b32_e32 v3, 0x7f800000, v67
	s_delay_alu instid0(VALU_DEP_1) | instskip(SKIP_1) | instid1(SALU_CYCLE_1)
	v_cmp_ne_u32_e32 vcc_lo, 0x7f800000, v3
                                        ; implicit-def: $vgpr3
	s_and_saveexec_b32 s2, vcc_lo
	s_xor_b32 s2, exec_lo, s2
; %bb.87:
	v_bfe_u32 v3, v67, 16, 1
	s_delay_alu instid0(VALU_DEP_1)
	v_add3_u32 v3, v67, v3, 0x7fff
; %bb.88:
	s_and_not1_saveexec_b32 s2, s2
; %bb.89:
	v_and_b32_e32 v3, 0xffff, v67
	v_or_b32_e32 v4, 0x10000, v67
	s_delay_alu instid0(VALU_DEP_2) | instskip(NEXT) | instid1(VALU_DEP_2)
	v_cmp_eq_u32_e32 vcc_lo, 0, v3
	v_cndmask_b32_e32 v3, v4, v67, vcc_lo
; %bb.90:
	s_or_b32 exec_lo, exec_lo, s2
	v_and_b32_e32 v4, 0x7f800000, v68
	s_delay_alu instid0(VALU_DEP_1) | instskip(SKIP_1) | instid1(SALU_CYCLE_1)
	v_cmp_ne_u32_e32 vcc_lo, 0x7f800000, v4
                                        ; implicit-def: $vgpr4
	s_and_saveexec_b32 s2, vcc_lo
	s_xor_b32 s2, exec_lo, s2
; %bb.91:
	v_bfe_u32 v4, v68, 16, 1
	s_delay_alu instid0(VALU_DEP_1)
	v_add3_u32 v4, v68, v4, 0x7fff
; %bb.92:
	s_and_not1_saveexec_b32 s2, s2
; %bb.93:
	v_and_b32_e32 v4, 0xffff, v68
	v_or_b32_e32 v5, 0x10000, v68
	s_delay_alu instid0(VALU_DEP_2) | instskip(NEXT) | instid1(VALU_DEP_2)
	v_cmp_eq_u32_e32 vcc_lo, 0, v4
	v_cndmask_b32_e32 v4, v5, v68, vcc_lo
; %bb.94:
	s_or_b32 exec_lo, exec_lo, s2
	v_and_b32_e32 v5, 0x7f800000, v69
	s_delay_alu instid0(VALU_DEP_1) | instskip(SKIP_1) | instid1(SALU_CYCLE_1)
	v_cmp_ne_u32_e32 vcc_lo, 0x7f800000, v5
                                        ; implicit-def: $vgpr5
	s_and_saveexec_b32 s2, vcc_lo
	s_xor_b32 s2, exec_lo, s2
; %bb.95:
	v_bfe_u32 v5, v69, 16, 1
	s_delay_alu instid0(VALU_DEP_1)
	v_add3_u32 v5, v69, v5, 0x7fff
; %bb.96:
	s_and_not1_saveexec_b32 s2, s2
; %bb.97:
	v_and_b32_e32 v5, 0xffff, v69
	v_or_b32_e32 v6, 0x10000, v69
	s_delay_alu instid0(VALU_DEP_2) | instskip(NEXT) | instid1(VALU_DEP_2)
	v_cmp_eq_u32_e32 vcc_lo, 0, v5
	v_cndmask_b32_e32 v5, v6, v69, vcc_lo
; %bb.98:
	s_or_b32 exec_lo, exec_lo, s2
	v_and_b32_e32 v6, 0x7f800000, v70
	s_delay_alu instid0(VALU_DEP_1) | instskip(SKIP_1) | instid1(SALU_CYCLE_1)
	v_cmp_ne_u32_e32 vcc_lo, 0x7f800000, v6
                                        ; implicit-def: $vgpr6
	s_and_saveexec_b32 s2, vcc_lo
	s_xor_b32 s2, exec_lo, s2
; %bb.99:
	v_bfe_u32 v6, v70, 16, 1
	s_delay_alu instid0(VALU_DEP_1)
	v_add3_u32 v6, v70, v6, 0x7fff
; %bb.100:
	s_and_not1_saveexec_b32 s2, s2
; %bb.101:
	v_and_b32_e32 v6, 0xffff, v70
	v_or_b32_e32 v7, 0x10000, v70
	s_delay_alu instid0(VALU_DEP_2) | instskip(NEXT) | instid1(VALU_DEP_2)
	v_cmp_eq_u32_e32 vcc_lo, 0, v6
	v_cndmask_b32_e32 v6, v7, v70, vcc_lo
; %bb.102:
	s_or_b32 exec_lo, exec_lo, s2
	v_and_b32_e32 v7, 0x7f800000, v71
	s_delay_alu instid0(VALU_DEP_1) | instskip(SKIP_1) | instid1(SALU_CYCLE_1)
	v_cmp_ne_u32_e32 vcc_lo, 0x7f800000, v7
                                        ; implicit-def: $vgpr7
	s_and_saveexec_b32 s2, vcc_lo
	s_xor_b32 s2, exec_lo, s2
; %bb.103:
	v_bfe_u32 v7, v71, 16, 1
	s_delay_alu instid0(VALU_DEP_1)
	v_add3_u32 v7, v71, v7, 0x7fff
; %bb.104:
	s_and_not1_saveexec_b32 s2, s2
; %bb.105:
	v_and_b32_e32 v7, 0xffff, v71
	v_or_b32_e32 v8, 0x10000, v71
	s_delay_alu instid0(VALU_DEP_2) | instskip(NEXT) | instid1(VALU_DEP_2)
	v_cmp_eq_u32_e32 vcc_lo, 0, v7
	v_cndmask_b32_e32 v7, v8, v71, vcc_lo
; %bb.106:
	s_or_b32 exec_lo, exec_lo, s2
	v_and_b32_e32 v8, 0x7f800000, v72
	s_delay_alu instid0(VALU_DEP_1) | instskip(SKIP_1) | instid1(SALU_CYCLE_1)
	v_cmp_ne_u32_e32 vcc_lo, 0x7f800000, v8
                                        ; implicit-def: $vgpr8
	s_and_saveexec_b32 s2, vcc_lo
	s_xor_b32 s2, exec_lo, s2
; %bb.107:
	v_bfe_u32 v8, v72, 16, 1
	s_delay_alu instid0(VALU_DEP_1)
	v_add3_u32 v8, v72, v8, 0x7fff
                                        ; implicit-def: $vgpr65_vgpr66_vgpr67_vgpr68_vgpr69_vgpr70_vgpr71_vgpr72
; %bb.108:
	s_and_not1_saveexec_b32 s2, s2
; %bb.109:
	v_and_b32_e32 v8, 0xffff, v72
	v_or_b32_e32 v9, 0x10000, v72
	s_delay_alu instid0(VALU_DEP_2) | instskip(NEXT) | instid1(VALU_DEP_2)
	v_cmp_eq_u32_e32 vcc_lo, 0, v8
	v_cndmask_b32_e32 v8, v9, v72, vcc_lo
; %bb.110:
	s_or_b32 exec_lo, exec_lo, s2
	s_delay_alu instid0(VALU_DEP_1)
	v_perm_b32 v7, v8, v7, 0x7060302
	v_perm_b32 v6, v6, v5, 0x7060302
	;; [unrolled: 1-line block ×4, first 2 shown]
	s_barrier
	buffer_gl0_inv
	v_cmp_eq_u32_e32 vcc_lo, 1, v78
	ds_store_b128 v76, v[4:7]
	s_waitcnt lgkmcnt(0)
	s_barrier
	buffer_gl0_inv
	ds_load_b128 v[1:4], v82
	ds_load_b128 v[5:8], v82 offset:16
	v_cmp_eq_u32_e64 s2, 1, v79
	v_cmp_eq_u32_e64 s3, 2, v78
	;; [unrolled: 1-line block ×5, first 2 shown]
	s_waitcnt lgkmcnt(1)
	v_lshrrev_b32_e32 v9, 16, v1
	s_waitcnt lgkmcnt(0)
	v_lshrrev_b32_e32 v13, 16, v5
	v_lshrrev_b32_e32 v10, 16, v2
	;; [unrolled: 1-line block ×4, first 2 shown]
	v_cndmask_b32_e64 v19, v1, v9, s2
	v_cndmask_b32_e32 v18, v5, v13, vcc_lo
	v_cndmask_b32_e64 v20, v5, v13, s2
	v_cndmask_b32_e32 v17, v1, v9, vcc_lo
	v_cmp_eq_u32_e32 vcc_lo, 2, v79
	v_lshrrev_b32_e32 v15, 16, v7
	v_cmp_eq_u32_e64 s2, 1, v77
	v_lshrrev_b32_e32 v12, 16, v4
	v_lshrrev_b32_e32 v16, 16, v8
	v_cndmask_b32_e32 v20, v20, v6, vcc_lo
	v_cndmask_b32_e64 v17, v17, v2, s3
	v_cndmask_b32_e32 v19, v19, v2, vcc_lo
	v_cndmask_b32_e64 v18, v18, v6, s3
	v_cmp_eq_u32_e32 vcc_lo, 4, v78
	v_cmp_eq_u32_e64 s3, 3, v79
	v_cndmask_b32_e64 v17, v17, v10, s4
	v_cndmask_b32_e64 v21, v1, v9, s2
	;; [unrolled: 1-line block ×5, first 2 shown]
	v_cndmask_b32_e32 v17, v17, v3, vcc_lo
	v_cndmask_b32_e64 v20, v20, v14, s3
	v_cndmask_b32_e32 v18, v18, v7, vcc_lo
	v_cmp_eq_u32_e32 vcc_lo, 4, v79
	v_cmp_eq_u32_e64 s3, 5, v79
	v_cmp_eq_u32_e64 s2, 2, v81
	v_cndmask_b32_e64 v21, v21, v2, s6
	v_cmp_eq_u32_e64 s4, 5, v78
	v_cndmask_b32_e32 v19, v19, v3, vcc_lo
	v_cndmask_b32_e32 v20, v20, v7, vcc_lo
	v_cmp_eq_u32_e32 vcc_lo, 6, v79
	s_delay_alu instid0(VALU_DEP_4) | instskip(NEXT) | instid1(VALU_DEP_4)
	v_cndmask_b32_e64 v17, v17, v11, s4
	v_cndmask_b32_e64 v19, v19, v11, s3
	s_delay_alu instid0(VALU_DEP_4) | instskip(SKIP_1) | instid1(VALU_DEP_3)
	v_cndmask_b32_e64 v20, v20, v15, s3
	v_cmp_eq_u32_e64 s3, 1, v81
	v_cndmask_b32_e32 v19, v19, v4, vcc_lo
	v_cndmask_b32_e64 v18, v18, v15, s4
	s_delay_alu instid0(VALU_DEP_3)
	v_cndmask_b32_e64 v1, v1, v9, s3
	v_cndmask_b32_e64 v5, v5, v13, s3
	v_cmp_eq_u32_e64 s3, 3, v77
	v_cndmask_b32_e64 v13, v22, v6, s6
	v_cmp_eq_u32_e64 s6, 3, v81
	v_cndmask_b32_e64 v1, v1, v2, s2
	v_cndmask_b32_e64 v2, v5, v6, s2
	;; [unrolled: 1-line block ×3, first 2 shown]
	v_cmp_eq_u32_e64 s2, 4, v77
	v_cndmask_b32_e64 v6, v13, v14, s3
	v_cndmask_b32_e64 v1, v1, v10, s6
	v_cmp_eq_u32_e64 s3, 4, v81
	v_cndmask_b32_e64 v2, v2, v14, s6
	v_cndmask_b32_e64 v5, v9, v3, s2
	;; [unrolled: 3-line block ×3, first 2 shown]
	v_cndmask_b32_e64 v2, v2, v7, s3
	v_cmp_eq_u32_e64 s2, 5, v81
	v_cmp_eq_u32_e64 s4, 6, v78
	v_cndmask_b32_e64 v5, v5, v11, s6
	v_cmp_eq_u32_e64 s3, 6, v77
	v_cndmask_b32_e64 v3, v6, v15, s6
	v_cndmask_b32_e64 v1, v1, v11, s2
	v_cmp_eq_u32_e64 s6, 6, v81
	v_cndmask_b32_e64 v2, v2, v15, s2
	v_cndmask_b32_e64 v17, v17, v4, s4
	v_cndmask_b32_e64 v18, v18, v8, s4
	v_cmp_eq_u32_e64 s4, 7, v78
	v_cndmask_b32_e64 v5, v5, v4, s3
	;; [unrolled: 4-line block ×3, first 2 shown]
	v_cmp_eq_u32_e64 s3, 7, v77
	v_cndmask_b32_e32 v4, v20, v8, vcc_lo
	v_cndmask_b32_e64 v17, v17, v12, s4
	v_cndmask_b32_e64 v19, v19, v12, s5
	;; [unrolled: 1-line block ×8, first 2 shown]
	s_mov_b32 s2, exec_lo
	v_perm_b32 v4, v2, v1, 0x5040100
	v_perm_b32 v3, v3, v5, 0x5040100
	;; [unrolled: 1-line block ×4, first 2 shown]
	ds_store_b128 v76, v[1:4]
	s_waitcnt lgkmcnt(0)
	s_barrier
	buffer_gl0_inv
	v_cmpx_gt_u32_e32 32, v0
	s_cbranch_execz .LBB1865_2
; %bb.111:
	s_load_b64 s[0:1], s[0:1], 0x68
	v_lshlrev_b32_e32 v0, 10, v0
	s_lshl_b32 s4, s34, 7
	v_or_b32_e32 v3, s29, v74
	s_mul_i32 s2, s4, s30
	v_lshlrev_b32_e32 v1, 4, v75
	s_mul_i32 s2, s2, s7
	v_lshlrev_b32_e32 v2, 6, v74
	v_and_b32_e32 v0, 0x3800, v0
	s_ashr_i32 s3, s2, 31
	v_mul_lo_u32 v4, v3, s4
	s_lshl_b64 s[2:3], s[2:3], 1
	s_delay_alu instid0(VALU_DEP_2) | instskip(NEXT) | instid1(VALU_DEP_2)
	v_or3_b32 v16, v0, v1, v2
	v_ashrrev_i32_e32 v5, 31, v4
	ds_load_b128 v[0:3], v16
	s_waitcnt lgkmcnt(0)
	s_add_u32 s2, s0, s2
	s_addc_u32 s3, s1, s3
	s_lshl_b32 s0, s14, 7
	v_lshlrev_b64 v[5:6], 1, v[4:5]
	s_ashr_i32 s1, s0, 31
	s_delay_alu instid0(SALU_CYCLE_1) | instskip(NEXT) | instid1(SALU_CYCLE_1)
	s_lshl_b64 s[0:1], s[0:1], 1
	s_add_u32 s0, s2, s0
	s_addc_u32 s1, s3, s1
	s_lshl_b32 s2, s34, 8
	v_add_co_u32 v30, s0, s0, v73
	v_add_nc_u32_e32 v8, s2, v4
	v_add_co_ci_u32_e64 v31, null, s1, 0, s0
	s_delay_alu instid0(VALU_DEP_3) | instskip(NEXT) | instid1(VALU_DEP_3)
	v_add_co_u32 v12, vcc_lo, v30, v5
	v_add_nc_u32_e32 v10, s2, v8
	v_ashrrev_i32_e32 v9, 31, v8
	s_delay_alu instid0(VALU_DEP_4)
	v_add_co_ci_u32_e32 v13, vcc_lo, v31, v6, vcc_lo
	ds_load_b128 v[4:7], v16 offset:128
	v_ashrrev_i32_e32 v11, 31, v10
	v_lshlrev_b64 v[8:9], 1, v[8:9]
	v_add_nc_u32_e32 v14, s2, v10
	global_store_b128 v[12:13], v[0:3], off
	v_lshlrev_b64 v[0:1], 1, v[10:11]
	v_ashrrev_i32_e32 v15, 31, v14
	v_add_co_u32 v22, vcc_lo, v30, v8
	v_add_nc_u32_e32 v20, s2, v14
	v_add_co_ci_u32_e32 v23, vcc_lo, v31, v9, vcc_lo
	v_add_co_u32 v26, vcc_lo, v30, v0
	v_lshlrev_b64 v[24:25], 1, v[14:15]
	v_add_co_ci_u32_e32 v27, vcc_lo, v31, v1, vcc_lo
	ds_load_b128 v[0:3], v16 offset:256
	ds_load_b128 v[8:11], v16 offset:384
	;; [unrolled: 1-line block ×4, first 2 shown]
	v_add_nc_u32_e32 v28, s2, v20
	v_ashrrev_i32_e32 v21, 31, v20
	v_add_co_u32 v24, vcc_lo, v30, v24
	v_add_co_ci_u32_e32 v25, vcc_lo, v31, v25, vcc_lo
	s_delay_alu instid0(VALU_DEP_4) | instskip(NEXT) | instid1(VALU_DEP_4)
	v_ashrrev_i32_e32 v29, 31, v28
	v_lshlrev_b64 v[20:21], 1, v[20:21]
	s_delay_alu instid0(VALU_DEP_2) | instskip(NEXT) | instid1(VALU_DEP_2)
	v_lshlrev_b64 v[28:29], 1, v[28:29]
	v_add_co_u32 v20, vcc_lo, v30, v20
	s_delay_alu instid0(VALU_DEP_3) | instskip(NEXT) | instid1(VALU_DEP_3)
	v_add_co_ci_u32_e32 v21, vcc_lo, v31, v21, vcc_lo
	v_add_co_u32 v28, vcc_lo, v30, v28
	s_delay_alu instid0(VALU_DEP_4)
	v_add_co_ci_u32_e32 v29, vcc_lo, v31, v29, vcc_lo
	s_waitcnt lgkmcnt(4)
	global_store_b128 v[22:23], v[4:7], off
	s_waitcnt lgkmcnt(3)
	global_store_b128 v[26:27], v[0:3], off
	;; [unrolled: 2-line block ×5, first 2 shown]
	s_nop 0
	s_sendmsg sendmsg(MSG_DEALLOC_VGPRS)
	s_endpgm
	.section	.rodata,"a",@progbits
	.p2align	6, 0x0
	.amdhsa_kernel _Z39paged_attention_ll4mi_QKV_mfma16_kernelI14__hip_bfloat16hLN4vllm18Fp8KVCacheDataTypeE1EhLi32ELi128ELi256ELb1ELi12EL8MFMAType0EEvPKT_PKT0_S9_ifPKiSB_SB_iPKfiiiPfSE_PS4_PT2_iSD_SD_
		.amdhsa_group_segment_fixed_size 17472
		.amdhsa_private_segment_fixed_size 0
		.amdhsa_kernarg_size 400
		.amdhsa_user_sgpr_count 13
		.amdhsa_user_sgpr_dispatch_ptr 0
		.amdhsa_user_sgpr_queue_ptr 0
		.amdhsa_user_sgpr_kernarg_segment_ptr 1
		.amdhsa_user_sgpr_dispatch_id 0
		.amdhsa_user_sgpr_private_segment_size 0
		.amdhsa_wavefront_size32 1
		.amdhsa_uses_dynamic_stack 0
		.amdhsa_enable_private_segment 0
		.amdhsa_system_sgpr_workgroup_id_x 1
		.amdhsa_system_sgpr_workgroup_id_y 1
		.amdhsa_system_sgpr_workgroup_id_z 1
		.amdhsa_system_sgpr_workgroup_info 0
		.amdhsa_system_vgpr_workitem_id 0
		.amdhsa_next_free_vgpr 140
		.amdhsa_next_free_sgpr 36
		.amdhsa_reserve_vcc 1
		.amdhsa_float_round_mode_32 0
		.amdhsa_float_round_mode_16_64 0
		.amdhsa_float_denorm_mode_32 3
		.amdhsa_float_denorm_mode_16_64 3
		.amdhsa_dx10_clamp 1
		.amdhsa_ieee_mode 1
		.amdhsa_fp16_overflow 0
		.amdhsa_workgroup_processor_mode 1
		.amdhsa_memory_ordered 1
		.amdhsa_forward_progress 0
		.amdhsa_shared_vgpr_count 0
		.amdhsa_exception_fp_ieee_invalid_op 0
		.amdhsa_exception_fp_denorm_src 0
		.amdhsa_exception_fp_ieee_div_zero 0
		.amdhsa_exception_fp_ieee_overflow 0
		.amdhsa_exception_fp_ieee_underflow 0
		.amdhsa_exception_fp_ieee_inexact 0
		.amdhsa_exception_int_div_zero 0
	.end_amdhsa_kernel
	.section	.text._Z39paged_attention_ll4mi_QKV_mfma16_kernelI14__hip_bfloat16hLN4vllm18Fp8KVCacheDataTypeE1EhLi32ELi128ELi256ELb1ELi12EL8MFMAType0EEvPKT_PKT0_S9_ifPKiSB_SB_iPKfiiiPfSE_PS4_PT2_iSD_SD_,"axG",@progbits,_Z39paged_attention_ll4mi_QKV_mfma16_kernelI14__hip_bfloat16hLN4vllm18Fp8KVCacheDataTypeE1EhLi32ELi128ELi256ELb1ELi12EL8MFMAType0EEvPKT_PKT0_S9_ifPKiSB_SB_iPKfiiiPfSE_PS4_PT2_iSD_SD_,comdat
.Lfunc_end1865:
	.size	_Z39paged_attention_ll4mi_QKV_mfma16_kernelI14__hip_bfloat16hLN4vllm18Fp8KVCacheDataTypeE1EhLi32ELi128ELi256ELb1ELi12EL8MFMAType0EEvPKT_PKT0_S9_ifPKiSB_SB_iPKfiiiPfSE_PS4_PT2_iSD_SD_, .Lfunc_end1865-_Z39paged_attention_ll4mi_QKV_mfma16_kernelI14__hip_bfloat16hLN4vllm18Fp8KVCacheDataTypeE1EhLi32ELi128ELi256ELb1ELi12EL8MFMAType0EEvPKT_PKT0_S9_ifPKiSB_SB_iPKfiiiPfSE_PS4_PT2_iSD_SD_
                                        ; -- End function
	.section	.AMDGPU.csdata,"",@progbits
; Kernel info:
; codeLenInByte = 9000
; NumSgprs: 38
; NumVgprs: 140
; ScratchSize: 0
; MemoryBound: 0
; FloatMode: 240
; IeeeMode: 1
; LDSByteSize: 17472 bytes/workgroup (compile time only)
; SGPRBlocks: 4
; VGPRBlocks: 17
; NumSGPRsForWavesPerEU: 38
; NumVGPRsForWavesPerEU: 140
; Occupancy: 10
; WaveLimiterHint : 1
; COMPUTE_PGM_RSRC2:SCRATCH_EN: 0
; COMPUTE_PGM_RSRC2:USER_SGPR: 13
; COMPUTE_PGM_RSRC2:TRAP_HANDLER: 0
; COMPUTE_PGM_RSRC2:TGID_X_EN: 1
; COMPUTE_PGM_RSRC2:TGID_Y_EN: 1
; COMPUTE_PGM_RSRC2:TGID_Z_EN: 1
; COMPUTE_PGM_RSRC2:TIDIG_COMP_CNT: 0
	.section	.text._Z39paged_attention_ll4mi_QKV_mfma16_kernelI14__hip_bfloat16hLN4vllm18Fp8KVCacheDataTypeE1EhLi32ELi128ELi256ELb1ELi13EL8MFMAType0EEvPKT_PKT0_S9_ifPKiSB_SB_iPKfiiiPfSE_PS4_PT2_iSD_SD_,"axG",@progbits,_Z39paged_attention_ll4mi_QKV_mfma16_kernelI14__hip_bfloat16hLN4vllm18Fp8KVCacheDataTypeE1EhLi32ELi128ELi256ELb1ELi13EL8MFMAType0EEvPKT_PKT0_S9_ifPKiSB_SB_iPKfiiiPfSE_PS4_PT2_iSD_SD_,comdat
	.protected	_Z39paged_attention_ll4mi_QKV_mfma16_kernelI14__hip_bfloat16hLN4vllm18Fp8KVCacheDataTypeE1EhLi32ELi128ELi256ELb1ELi13EL8MFMAType0EEvPKT_PKT0_S9_ifPKiSB_SB_iPKfiiiPfSE_PS4_PT2_iSD_SD_ ; -- Begin function _Z39paged_attention_ll4mi_QKV_mfma16_kernelI14__hip_bfloat16hLN4vllm18Fp8KVCacheDataTypeE1EhLi32ELi128ELi256ELb1ELi13EL8MFMAType0EEvPKT_PKT0_S9_ifPKiSB_SB_iPKfiiiPfSE_PS4_PT2_iSD_SD_
	.globl	_Z39paged_attention_ll4mi_QKV_mfma16_kernelI14__hip_bfloat16hLN4vllm18Fp8KVCacheDataTypeE1EhLi32ELi128ELi256ELb1ELi13EL8MFMAType0EEvPKT_PKT0_S9_ifPKiSB_SB_iPKfiiiPfSE_PS4_PT2_iSD_SD_
	.p2align	8
	.type	_Z39paged_attention_ll4mi_QKV_mfma16_kernelI14__hip_bfloat16hLN4vllm18Fp8KVCacheDataTypeE1EhLi32ELi128ELi256ELb1ELi13EL8MFMAType0EEvPKT_PKT0_S9_ifPKiSB_SB_iPKfiiiPfSE_PS4_PT2_iSD_SD_,@function
_Z39paged_attention_ll4mi_QKV_mfma16_kernelI14__hip_bfloat16hLN4vllm18Fp8KVCacheDataTypeE1EhLi32ELi128ELi256ELb1ELi13EL8MFMAType0EEvPKT_PKT0_S9_ifPKiSB_SB_iPKfiiiPfSE_PS4_PT2_iSD_SD_: ; @_Z39paged_attention_ll4mi_QKV_mfma16_kernelI14__hip_bfloat16hLN4vllm18Fp8KVCacheDataTypeE1EhLi32ELi128ELi256ELb1ELi13EL8MFMAType0EEvPKT_PKT0_S9_ifPKiSB_SB_iPKfiiiPfSE_PS4_PT2_iSD_SD_
; %bb.0:
	s_load_b64 s[4:5], s[0:1], 0x30
	s_mov_b32 s30, s13
	s_waitcnt lgkmcnt(0)
	s_cmp_lg_u64 s[4:5], 0
	s_cselect_b32 s13, -1, 0
	s_ashr_i32 s31, s30, 31
	s_cmp_eq_u64 s[4:5], 0
	s_cbranch_scc1 .LBB1866_3
; %bb.1:
	s_lshl_b64 s[2:3], s[30:31], 2
	s_delay_alu instid0(SALU_CYCLE_1) | instskip(SKIP_4) | instid1(SALU_CYCLE_1)
	s_add_u32 s2, s4, s2
	s_addc_u32 s3, s5, s3
	s_load_b64 s[2:3], s[2:3], 0x0
	s_waitcnt lgkmcnt(0)
	s_sub_i32 s2, s3, s2
	s_cmp_eq_u32 s2, 1
	s_cselect_b32 s2, -1, 0
	s_delay_alu instid0(SALU_CYCLE_1)
	s_and_not1_b32 vcc_lo, exec_lo, s2
	s_cbranch_vccz .LBB1866_4
.LBB1866_2:
	s_nop 0
	s_sendmsg sendmsg(MSG_DEALLOC_VGPRS)
	s_endpgm
.LBB1866_3:
.LBB1866_4:
	s_load_b64 s[2:3], s[0:1], 0x28
	s_lshl_b64 s[6:7], s[30:31], 2
	s_waitcnt lgkmcnt(0)
	s_add_u32 s2, s2, s6
	s_addc_u32 s3, s3, s7
	s_lshl_b32 s12, s14, 8
	s_load_b32 s17, s[2:3], 0x0
	s_waitcnt lgkmcnt(0)
	s_cmp_ge_i32 s12, s17
	s_cbranch_scc1 .LBB1866_2
; %bb.5:
	s_clause 0x1
	s_load_b128 s[8:11], s[0:1], 0x8
	s_load_b64 s[2:3], s[0:1], 0x20
	s_and_not1_b32 vcc_lo, exec_lo, s13
	s_cbranch_vccnz .LBB1866_7
; %bb.6:
	s_add_u32 s4, s4, s6
	s_addc_u32 s5, s5, s7
	s_load_b32 s13, s[4:5], 0x0
	s_branch .LBB1866_8
.LBB1866_7:
	s_mov_b32 s13, s30
.LBB1866_8:
	s_load_b128 s[4:7], s[0:1], 0x48
	v_and_b32_e32 v65, 15, v0
	v_lshrrev_b32_e32 v66, 5, v0
	v_bfe_u32 v74, v0, 4, 1
	v_and_b32_e32 v67, 31, v0
	v_and_b32_e32 v75, 1, v0
	v_lshlrev_b32_e32 v2, 3, v65
	s_mul_i32 s31, s15, 13
	v_lshl_or_b32 v1, v66, 1, v74
	s_waitcnt lgkmcnt(0)
	s_mov_b32 s7, exec_lo
	v_lshlrev_b32_e32 v73, 1, v2
	s_delay_alu instid0(VALU_DEP_2)
	v_cmpx_gt_u32_e32 13, v1
	s_cbranch_execz .LBB1866_10
; %bb.9:
	s_load_b64 s[18:19], s[0:1], 0x0
	v_add_lshl_u32 v2, v1, s31, 7
	s_mul_hi_i32 s21, s13, s4
	s_mul_i32 s20, s13, s4
	v_lshlrev_b32_e32 v6, 10, v65
	s_lshl_b64 s[20:21], s[20:21], 1
	v_ashrrev_i32_e32 v3, 31, v2
	v_lshlrev_b32_e32 v1, 6, v1
	v_lshlrev_b32_e32 v7, 10, v75
	v_and_b32_e32 v6, 0x3800, v6
	s_delay_alu instid0(VALU_DEP_4) | instskip(NEXT) | instid1(VALU_DEP_2)
	v_lshlrev_b64 v[2:3], 1, v[2:3]
	v_or3_b32 v1, v6, v7, v1
	s_waitcnt lgkmcnt(0)
	s_add_u32 s4, s18, s20
	s_addc_u32 s13, s19, s21
	s_delay_alu instid0(VALU_DEP_2) | instskip(SKIP_1) | instid1(VALU_DEP_2)
	v_add_co_u32 v2, vcc_lo, s4, v2
	v_add_co_ci_u32_e32 v3, vcc_lo, s13, v3, vcc_lo
	v_add_co_u32 v2, vcc_lo, v2, v73
	s_delay_alu instid0(VALU_DEP_2)
	v_add_co_ci_u32_e32 v3, vcc_lo, 0, v3, vcc_lo
	global_load_b128 v[2:5], v[2:3], off
	s_waitcnt vmcnt(0)
	ds_store_b128 v1, v[2:5]
.LBB1866_10:
	s_or_b32 exec_lo, exec_lo, s7
	v_and_b32_e32 v1, 0xef, v0
	s_add_i32 s4, s17, 31
	s_clause 0x1
	s_load_b32 s7, s[0:1], 0x38
	s_load_b32 s18, s[0:1], 0x1c
	s_ashr_i32 s13, s4, 31
	v_add_nc_u32_e32 v1, s12, v1
	s_lshr_b32 s13, s13, 27
	s_waitcnt lgkmcnt(0)
	s_add_i32 s4, s4, s13
	s_barrier
	v_ashrrev_i32_e32 v2, 31, v1
	v_or_b32_e32 v3, 16, v1
	s_ashr_i32 s4, s4, 5
	v_cmp_gt_i32_e32 vcc_lo, s17, v1
	s_add_i32 s4, s4, -1
	v_lshrrev_b32_e32 v2, 27, v2
	buffer_gl0_inv
	s_mul_i32 s15, s15, s6
	v_add_nc_u32_e32 v4, v1, v2
	s_mul_i32 s20, s30, s7
	s_delay_alu instid0(SALU_CYCLE_1) | instskip(NEXT) | instid1(VALU_DEP_1)
	s_ashr_i32 s21, s20, 31
	v_ashrrev_i32_e32 v4, 5, v4
	v_add_nc_u32_e32 v2, v3, v2
	s_lshl_b64 s[20:21], s[20:21], 2
	s_delay_alu instid0(SALU_CYCLE_1) | instskip(NEXT) | instid1(VALU_DEP_2)
	s_add_u32 s13, s2, s20
	v_cndmask_b32_e32 v1, s4, v4, vcc_lo
	s_delay_alu instid0(VALU_DEP_2)
	v_ashrrev_i32_e32 v2, 5, v2
	v_cmp_gt_i32_e32 vcc_lo, s17, v3
	s_addc_u32 s16, s3, s21
	s_ashr_i32 s19, s15, 31
	s_add_u32 s2, s8, s15
	s_addc_u32 s3, s9, s19
	v_cndmask_b32_e32 v3, s4, v2, vcc_lo
	v_ashrrev_i32_e32 v2, 31, v1
	s_lshl_b32 s6, s14, 3
	s_delay_alu instid0(SALU_CYCLE_1) | instskip(NEXT) | instid1(VALU_DEP_2)
	s_ashr_i32 s7, s6, 31
	v_ashrrev_i32_e32 v4, 31, v3
	s_delay_alu instid0(VALU_DEP_2) | instskip(SKIP_1) | instid1(SALU_CYCLE_1)
	v_lshlrev_b64 v[1:2], 2, v[1:2]
	s_lshl_b64 s[6:7], s[6:7], 2
	s_add_u32 s6, s13, s6
	s_delay_alu instid0(VALU_DEP_2) | instskip(SKIP_1) | instid1(VALU_DEP_2)
	v_lshlrev_b64 v[3:4], 2, v[3:4]
	s_addc_u32 s7, s16, s7
	v_add_co_u32 v1, vcc_lo, s13, v1
	v_add_co_ci_u32_e32 v2, vcc_lo, s16, v2, vcc_lo
	s_delay_alu instid0(VALU_DEP_3) | instskip(NEXT) | instid1(VALU_DEP_4)
	v_add_co_u32 v3, vcc_lo, s13, v3
	v_add_co_ci_u32_e32 v4, vcc_lo, s16, v4, vcc_lo
	s_clause 0x1
	global_load_b32 v5, v[1:2], off
	global_load_b32 v6, v[3:4], off
	s_or_b32 s8, s12, 32
	s_delay_alu instid0(SALU_CYCLE_1) | instskip(SKIP_2) | instid1(SALU_CYCLE_1)
	s_ashr_i32 s9, s8, 5
	s_cmp_lt_i32 s8, s17
	s_cselect_b32 s8, s9, s4
	s_ashr_i32 s9, s8, 31
	s_delay_alu instid0(SALU_CYCLE_1) | instskip(NEXT) | instid1(SALU_CYCLE_1)
	s_lshl_b64 s[8:9], s[8:9], 2
	s_add_u32 s8, s13, s8
	s_addc_u32 s9, s16, s9
	s_or_b32 s20, s12, 64
	s_delay_alu instid0(SALU_CYCLE_1) | instskip(SKIP_2) | instid1(SALU_CYCLE_1)
	s_ashr_i32 s21, s20, 5
	s_cmp_lt_i32 s20, s17
	s_cselect_b32 s20, s21, s4
	s_ashr_i32 s21, s20, 31
	s_delay_alu instid0(SALU_CYCLE_1) | instskip(NEXT) | instid1(SALU_CYCLE_1)
	s_lshl_b64 s[20:21], s[20:21], 2
	s_add_u32 s20, s13, s20
	s_addc_u32 s21, s16, s21
	;; [unrolled: 10-line block ×5, first 2 shown]
	s_clause 0x5
	s_load_b32 s28, s[6:7], 0x0
	s_load_b32 s8, s[8:9], 0x0
	;; [unrolled: 1-line block ×6, first 2 shown]
	s_mov_b32 s20, 0
	s_delay_alu instid0(SALU_CYCLE_1)
	s_mov_b32 s21, s20
	s_mov_b32 s22, s20
	;; [unrolled: 1-line block ×7, first 2 shown]
	s_delay_alu instid0(SALU_CYCLE_1)
	v_dual_mov_b32 v107, s27 :: v_dual_mov_b32 v106, s26
	v_dual_mov_b32 v104, s24 :: v_dual_mov_b32 v103, s23
	;; [unrolled: 1-line block ×3, first 2 shown]
	v_mov_b32_e32 v100, s20
	s_waitcnt vmcnt(1)
	v_mad_i64_i32 v[1:2], null, v5, s5, s[2:3]
	v_lshlrev_b32_e32 v5, 4, v65
	s_waitcnt vmcnt(0)
	v_mad_i64_i32 v[3:4], null, v6, s5, s[2:3]
	s_or_b32 s2, s12, 0xc0
	s_delay_alu instid0(SALU_CYCLE_1) | instskip(NEXT) | instid1(VALU_DEP_3)
	s_ashr_i32 s3, s2, 5
	v_add_co_u32 v33, vcc_lo, v1, v5
	s_delay_alu instid0(VALU_DEP_4) | instskip(NEXT) | instid1(VALU_DEP_3)
	v_add_co_ci_u32_e32 v34, vcc_lo, 0, v2, vcc_lo
	v_add_co_u32 v35, vcc_lo, v3, v5
	s_delay_alu instid0(VALU_DEP_4)
	v_add_co_ci_u32_e32 v36, vcc_lo, 0, v4, vcc_lo
	s_clause 0xf
	global_load_b128 v[1:4], v[33:34], off
	global_load_b128 v[5:8], v[33:34], off offset:512
	global_load_b128 v[9:12], v[35:36], off offset:256
	;; [unrolled: 1-line block ×15, first 2 shown]
	s_cmp_lt_i32 s2, s17
	v_add_nc_u32_e32 v33, -13, v65
	s_cselect_b32 s2, s3, s4
	v_cmp_gt_u32_e32 vcc_lo, 13, v65
	s_ashr_i32 s3, s2, 31
	v_lshlrev_b32_e32 v34, 5, v65
	s_lshl_b64 s[2:3], s[2:3], 2
	s_delay_alu instid0(SALU_CYCLE_1)
	s_add_u32 s2, s13, s2
	s_addc_u32 s3, s16, s3
	s_or_b32 s6, s12, 0xe0
	v_cndmask_b32_e32 v33, v33, v65, vcc_lo
	s_ashr_i32 s7, s6, 5
	s_cmp_lt_i32 s6, s17
	v_mov_b32_e32 v105, s25
	s_cselect_b32 s6, s7, s4
	v_lshlrev_b32_e32 v72, 6, v33
	s_ashr_i32 s7, s6, 31
	v_lshl_or_b32 v41, v66, 9, v34
	s_lshl_b64 s[6:7], s[6:7], 2
	ds_load_b128 v[33:36], v72
	ds_load_b128 v[37:40], v72 offset:1024
	ds_load_b128 v[108:111], v72 offset:2048
	;; [unrolled: 1-line block ×3, first 2 shown]
	s_load_b32 s4, s[2:3], 0x0
	s_add_u32 s2, s13, s6
	s_addc_u32 s3, s16, s7
	ds_load_b128 v[116:119], v72 offset:4096
	ds_load_b128 v[120:123], v72 offset:5120
	s_load_b32 s2, s[2:3], 0x0
	s_add_u32 s6, s10, s15
	s_addc_u32 s7, s11, s19
	v_add_co_u32 v68, s6, s6, v41
	s_delay_alu instid0(VALU_DEP_1) | instskip(SKIP_1) | instid1(VALU_DEP_1)
	v_add_co_ci_u32_e64 v69, null, s7, 0, s6
	s_waitcnt lgkmcnt(0)
	v_mad_i64_i32 v[41:42], null, s28, s5, v[68:69]
	v_mad_i64_i32 v[70:71], null, s9, s5, v[68:69]
	;; [unrolled: 1-line block ×7, first 2 shown]
	s_clause 0x3
	global_load_b128 v[49:52], v[41:42], off
	global_load_b128 v[53:56], v[41:42], off offset:16
	global_load_b128 v[41:44], v[45:46], off
	global_load_b128 v[45:48], v[45:46], off offset:16
	s_waitcnt vmcnt(18)
	v_wmma_f32_16x16x16_bf16 v[124:131], v[1:8], v[33:40], v[100:107]
	s_waitcnt vmcnt(16)
	v_wmma_f32_16x16x16_bf16 v[100:107], v[9:16], v[33:40], v[100:107]
	s_clause 0x1
	global_load_b128 v[33:36], v[70:71], off
	global_load_b128 v[37:40], v[70:71], off offset:16
	v_mad_i64_i32 v[70:71], null, s2, s5, v[68:69]
	s_waitcnt vmcnt(16)
	v_wmma_f32_16x16x16_bf16 v[124:131], v[17:24], v[108:115], v[124:131]
	s_waitcnt vmcnt(14)
	v_wmma_f32_16x16x16_bf16 v[100:107], v[25:32], v[108:115], v[100:107]
	s_clause 0x7
	global_load_b128 v[25:28], v[132:133], off
	global_load_b128 v[29:32], v[132:133], off offset:16
	global_load_b128 v[1:4], v[134:135], off
	global_load_b128 v[5:8], v[134:135], off offset:16
	;; [unrolled: 2-line block ×4, first 2 shown]
	s_waitcnt vmcnt(20)
	v_wmma_f32_16x16x16_bf16 v[124:131], v[57:64], v[116:123], v[124:131]
	s_clause 0x1
	global_load_b128 v[57:60], v[70:71], off
	global_load_b128 v[61:64], v[70:71], off offset:16
	s_waitcnt vmcnt(20)
	v_wmma_f32_16x16x16_bf16 v[100:107], v[76:83], v[116:123], v[100:107]
	ds_load_b128 v[76:79], v72 offset:6144
	ds_load_b128 v[80:83], v72 offset:7168
	v_and_b32_e32 v68, 0xe0, v0
	v_mbcnt_lo_u32_b32 v69, -1, 0
	s_waitcnt vmcnt(0) lgkmcnt(0)
	s_barrier
	buffer_gl0_inv
	v_add_nc_u32_e32 v68, s12, v68
	v_xor_b32_e32 v70, 16, v69
	s_delay_alu instid0(VALU_DEP_2) | instskip(NEXT) | instid1(VALU_DEP_2)
	v_or_b32_e32 v68, v68, v74
	v_cmp_gt_i32_e32 vcc_lo, 32, v70
	s_delay_alu instid0(VALU_DEP_2)
	v_or_b32_e32 v71, 4, v68
	v_or_b32_e32 v72, 6, v68
	v_cmp_gt_i32_e64 s2, s17, v68
	v_or_b32_e32 v108, 8, v68
	v_wmma_f32_16x16x16_bf16 v[124:131], v[84:91], v[76:83], v[124:131]
	v_cndmask_b32_e32 v69, v69, v70, vcc_lo
	v_or_b32_e32 v70, 2, v68
	v_wmma_f32_16x16x16_bf16 v[100:107], v[92:99], v[76:83], v[100:107]
	v_or_b32_e32 v109, 10, v68
	v_dual_mul_f32 v80, s18, v129 :: v_dual_mul_f32 v81, s18, v128
	v_dual_mul_f32 v92, s18, v125 :: v_dual_mul_f32 v93, s18, v124
	s_delay_alu instid0(VALU_DEP_4)
	v_mul_f32_e32 v96, s18, v105
	v_cmp_gt_i32_e32 vcc_lo, s17, v70
	v_or_b32_e32 v89, 22, v68
	v_dual_mul_f32 v79, s18, v130 :: v_dual_mul_f32 v82, s18, v127
	v_dual_mul_f32 v83, s18, v126 :: v_dual_mul_f32 v94, s18, v107
	v_cndmask_b32_e64 v93, 0xff7fffff, v93, s2
	v_cndmask_b32_e32 v92, 0xff7fffff, v92, vcc_lo
	v_cmp_gt_i32_e64 s3, s17, v71
	v_cmp_gt_i32_e64 s4, s17, v72
	v_or_b32_e32 v84, 12, v68
	v_or_b32_e32 v85, 14, v68
	v_cmp_gt_i32_e64 s5, s17, v108
	v_cndmask_b32_e64 v71, 0xff7fffff, v83, s3
	v_cndmask_b32_e64 v72, 0xff7fffff, v82, s4
	v_cmp_gt_i32_e64 s6, s17, v109
	v_cmp_gt_i32_e64 s12, s17, v89
	v_lshlrev_b32_e32 v89, 2, v69
	v_max3_f32 v82, v93, 0xff7fffff, v92
	v_or_b32_e32 v86, 16, v68
	v_or_b32_e32 v87, 18, v68
	v_mul_f32_e32 v78, s18, v131
	v_cndmask_b32_e64 v81, 0xff7fffff, v81, s5
	v_cndmask_b32_e64 v80, 0xff7fffff, v80, s6
	v_max3_f32 v71, v82, v71, v72
	v_cmp_gt_i32_e64 s7, s17, v84
	v_cmp_gt_i32_e64 s8, s17, v85
	v_or_b32_e32 v88, 20, v68
	v_or_b32_e32 v90, 24, v68
	;; [unrolled: 1-line block ×5, first 2 shown]
	v_dual_mul_f32 v97, s18, v104 :: v_dual_mul_f32 v70, s18, v101
	v_dual_mul_f32 v99, s18, v102 :: v_dual_mul_f32 v68, s18, v100
	v_cndmask_b32_e64 v72, 0xff7fffff, v79, s7
	v_cndmask_b32_e64 v78, 0xff7fffff, v78, s8
	v_max3_f32 v71, v71, v81, v80
	v_cmp_gt_i32_e64 s9, s17, v86
	v_cmp_gt_i32_e64 s10, s17, v87
	v_dual_mul_f32 v95, s18, v106 :: v_dual_mul_f32 v98, s18, v103
	s_delay_alu instid0(VALU_DEP_4) | instskip(NEXT) | instid1(VALU_DEP_4)
	v_max3_f32 v71, v71, v72, v78
	v_cndmask_b32_e64 v68, 0xff7fffff, v68, s9
	s_delay_alu instid0(VALU_DEP_4)
	v_cndmask_b32_e64 v70, 0xff7fffff, v70, s10
	v_cmp_gt_i32_e64 s11, s17, v88
	v_cndmask_b32_e64 v78, 0xff7fffff, v98, s12
	v_cmp_gt_i32_e64 s13, s17, v90
	v_cmp_gt_i32_e64 s15, s17, v91
	v_max3_f32 v68, v71, v68, v70
	v_cndmask_b32_e64 v72, 0xff7fffff, v99, s11
	v_cmp_gt_i32_e64 s16, s17, v76
	v_cndmask_b32_e64 v70, 0xff7fffff, v97, s13
	v_cndmask_b32_e64 v71, 0xff7fffff, v96, s15
	v_cmp_gt_i32_e64 s17, s17, v77
	v_max3_f32 v68, v68, v72, v78
	v_cndmask_b32_e64 v72, 0xff7fffff, v95, s16
	s_delay_alu instid0(VALU_DEP_3) | instskip(NEXT) | instid1(VALU_DEP_3)
	v_cndmask_b32_e64 v76, 0xff7fffff, v94, s17
	v_max3_f32 v68, v68, v70, v71
	s_delay_alu instid0(VALU_DEP_1) | instskip(SKIP_3) | instid1(VALU_DEP_1)
	v_max3_f32 v68, v68, v72, v76
	ds_bpermute_b32 v69, v89, v68
	s_waitcnt lgkmcnt(0)
	v_max_f32_e32 v69, v69, v69
	v_max_f32_e32 v68, v68, v69
	s_delay_alu instid0(VALU_DEP_1) | instskip(NEXT) | instid1(VALU_DEP_1)
	v_fma_f32 v71, s18, v126, -v68
	v_mul_f32_e32 v71, 0x3fb8aa3b, v71
	v_fma_f32 v70, s18, v125, -v68
	v_fma_f32 v69, s18, v124, -v68
	v_fma_f32 v76, s18, v128, -v68
	v_fma_f32 v72, s18, v127, -v68
	v_fma_f32 v78, s18, v130, -v68
	s_delay_alu instid0(VALU_DEP_4) | instskip(SKIP_1) | instid1(VALU_DEP_3)
	v_dual_mul_f32 v70, 0x3fb8aa3b, v70 :: v_dual_mul_f32 v69, 0x3fb8aa3b, v69
	v_exp_f32_e32 v71, v71
	v_mul_f32_e32 v72, 0x3fb8aa3b, v72
	v_fma_f32 v81, s18, v105, -v68
	s_delay_alu instid0(VALU_DEP_3)
	v_exp_f32_e32 v70, v70
	v_mul_f32_e32 v77, 0x3fb8aa3b, v76
	v_exp_f32_e32 v69, v69
	v_exp_f32_e32 v72, v72
	v_mul_f32_e32 v81, 0x3fb8aa3b, v81
	v_cndmask_b32_e64 v83, 0, v71, s3
	v_fma_f32 v71, s18, v131, -v68
	s_delay_alu instid0(VALU_DEP_3) | instskip(SKIP_4) | instid1(TRANS32_DEP_3)
	v_exp_f32_e32 v81, v81
	v_cndmask_b32_e32 v76, 0, v70, vcc_lo
	v_exp_f32_e32 v77, v77
	v_cndmask_b32_e64 v80, 0, v69, s2
	v_fma_f32 v69, s18, v129, -v68
	v_cndmask_b32_e64 v85, 0, v72, s4
	v_mul_f32_e32 v71, 0x3fb8aa3b, v71
	v_fma_f32 v72, s18, v100, -v68
	s_delay_alu instid0(VALU_DEP_4) | instskip(SKIP_1) | instid1(VALU_DEP_4)
	v_dual_add_f32 v70, 0, v80 :: v_dual_mul_f32 v69, 0x3fb8aa3b, v69
	v_cmp_gt_u32_e64 s2, 16, v67
	v_exp_f32_e32 v71, v71
	s_delay_alu instid0(TRANS32_DEP_2) | instskip(SKIP_4) | instid1(VALU_DEP_3)
	v_cndmask_b32_e64 v86, 0, v77, s5
	v_fma_f32 v77, s18, v101, -v68
	v_mul_f32_e32 v78, 0x3fb8aa3b, v78
	v_add_f32_e32 v70, v70, v76
	v_exp_f32_e32 v69, v69
	v_mul_f32_e32 v77, 0x3fb8aa3b, v77
	s_delay_alu instid0(VALU_DEP_3) | instskip(NEXT) | instid1(TRANS32_DEP_3)
	v_exp_f32_e32 v78, v78
	v_cndmask_b32_e64 v88, 0, v71, s8
	v_fma_f32 v71, s18, v104, -v68
	s_delay_alu instid0(VALU_DEP_3) | instskip(NEXT) | instid1(TRANS32_DEP_3)
	v_exp_f32_e32 v77, v77
	v_cndmask_b32_e64 v87, 0, v69, s6
	s_delay_alu instid0(VALU_DEP_2)
	v_mul_f32_e32 v71, 0x3fb8aa3b, v71
	s_waitcnt_depctr 0xfff
	v_cndmask_b32_e64 v84, 0, v78, s7
	v_add_f32_e32 v70, v70, v83
	v_fma_f32 v78, s18, v103, -v68
	v_exp_f32_e32 v82, v71
	s_delay_alu instid0(VALU_DEP_2) | instskip(SKIP_1) | instid1(VALU_DEP_3)
	v_add_f32_e32 v70, v70, v85
	v_mul_f32_e32 v72, 0x3fb8aa3b, v72
	v_mul_f32_e32 v78, 0x3fb8aa3b, v78
	s_delay_alu instid0(VALU_DEP_3) | instskip(SKIP_1) | instid1(VALU_DEP_4)
	v_add_f32_e32 v69, v70, v86
	v_fma_f32 v70, s18, v102, -v68
	v_exp_f32_e32 v72, v72
	s_delay_alu instid0(VALU_DEP_3) | instskip(NEXT) | instid1(VALU_DEP_1)
	v_exp_f32_e32 v78, v78
	v_dual_add_f32 v69, v69, v87 :: v_dual_mul_f32 v70, 0x3fb8aa3b, v70
	s_delay_alu instid0(VALU_DEP_1) | instskip(NEXT) | instid1(VALU_DEP_2)
	v_add_f32_e32 v69, v69, v84
	v_exp_f32_e32 v79, v70
	s_delay_alu instid0(TRANS32_DEP_3) | instskip(NEXT) | instid1(VALU_DEP_2)
	v_cndmask_b32_e64 v70, 0, v72, s9
	v_add_f32_e32 v72, v69, v88
	v_cndmask_b32_e64 v69, 0, v77, s10
	v_fma_f32 v77, s18, v106, -v68
	s_waitcnt_depctr 0xfff
	v_cndmask_b32_e64 v71, 0, v79, s11
	v_dual_mul_f32 v77, 0x3fb8aa3b, v77 :: v_dual_add_f32 v72, v72, v70
	s_delay_alu instid0(VALU_DEP_1) | instskip(NEXT) | instid1(VALU_DEP_1)
	v_exp_f32_e32 v90, v77
	v_add_f32_e32 v79, v72, v69
	v_cndmask_b32_e64 v72, 0, v78, s12
	v_cndmask_b32_e64 v77, 0, v82, s13
	s_delay_alu instid0(VALU_DEP_3) | instskip(SKIP_1) | instid1(VALU_DEP_1)
	v_add_f32_e32 v78, v79, v71
	v_fma_f32 v79, s18, v107, -v68
	v_dual_add_f32 v82, v78, v72 :: v_dual_mul_f32 v79, 0x3fb8aa3b, v79
	v_cndmask_b32_e64 v78, 0, v81, s15
	s_delay_alu instid0(VALU_DEP_2) | instskip(NEXT) | instid1(VALU_DEP_3)
	v_add_f32_e32 v81, v82, v77
	v_exp_f32_e32 v82, v79
	v_cndmask_b32_e64 v79, 0, v90, s16
	s_delay_alu instid0(VALU_DEP_2) | instskip(NEXT) | instid1(VALU_DEP_1)
	v_add_f32_e32 v81, v81, v78
	v_add_f32_e32 v90, v81, v79
	s_waitcnt_depctr 0xfff
	v_cndmask_b32_e64 v81, 0, v82, s17
	s_delay_alu instid0(VALU_DEP_1)
	v_add_f32_e32 v82, v90, v81
	ds_bpermute_b32 v89, v89, v82
	s_and_saveexec_b32 s3, s2
	s_cbranch_execz .LBB1866_12
; %bb.11:
	v_mul_u32_u24_e32 v67, 0x44, v66
	s_delay_alu instid0(VALU_DEP_1) | instskip(SKIP_1) | instid1(VALU_DEP_1)
	v_lshl_add_u32 v67, v65, 2, v67
	s_waitcnt lgkmcnt(0)
	v_dual_add_f32 v82, v82, v89 :: v_dual_add_nc_u32 v67, 0x4000, v67
	ds_store_2addr_b32 v67, v68, v82 offset1:136
.LBB1866_12:
	s_or_b32 exec_lo, exec_lo, s3
	v_lshlrev_b32_e32 v67, 2, v65
	s_waitcnt lgkmcnt(0)
	s_barrier
	buffer_gl0_inv
	v_cmp_eq_u32_e32 vcc_lo, 1, v66
	v_add_nc_u32_e32 v82, 0x4000, v67
	v_cmp_eq_u32_e64 s3, 2, v66
	v_cmp_eq_u32_e64 s5, 7, v66
	ds_load_2addr_b32 v[89:90], v82 offset1:17
	ds_load_2addr_b32 v[91:92], v82 offset0:34 offset1:51
	ds_load_2addr_b32 v[93:94], v82 offset0:68 offset1:85
	;; [unrolled: 1-line block ×4, first 2 shown]
	s_waitcnt lgkmcnt(4)
	v_max3_f32 v67, v89, 0xff7fffff, v90
	s_waitcnt lgkmcnt(3)
	s_delay_alu instid0(VALU_DEP_1) | instskip(SKIP_1) | instid1(VALU_DEP_1)
	v_max3_f32 v67, v67, v91, v92
	s_waitcnt lgkmcnt(2)
	v_max3_f32 v67, v67, v93, v94
	s_waitcnt lgkmcnt(1)
	s_delay_alu instid0(VALU_DEP_1) | instskip(NEXT) | instid1(VALU_DEP_1)
	v_max3_f32 v67, v67, v95, v96
	v_sub_f32_e32 v93, v93, v67
	s_delay_alu instid0(VALU_DEP_1) | instskip(NEXT) | instid1(VALU_DEP_1)
	v_dual_sub_f32 v68, v89, v67 :: v_dual_mul_f32 v103, 0x3fb8aa3b, v93
	v_mul_f32_e32 v68, 0x3fb8aa3b, v68
	s_delay_alu instid0(VALU_DEP_1)
	v_exp_f32_e32 v100, v68
	v_sub_f32_e32 v68, v92, v67
	v_sub_f32_e32 v99, v90, v67
	ds_load_2addr_b32 v[89:90], v82 offset0:170 offset1:187
	v_dual_mul_f32 v102, 0x3fb8aa3b, v68 :: v_dual_mul_f32 v99, 0x3fb8aa3b, v99
	s_waitcnt lgkmcnt(1)
	v_fma_f32 v68, v100, v97, 0
	s_delay_alu instid0(VALU_DEP_2) | instskip(NEXT) | instid1(VALU_DEP_2)
	v_exp_f32_e32 v102, v102
	v_exp_f32_e32 v99, v99
	s_waitcnt_depctr 0xfff
	v_fmac_f32_e32 v68, v99, v98
	v_sub_f32_e32 v91, v91, v67
	s_delay_alu instid0(VALU_DEP_1)
	v_mul_f32_e32 v101, 0x3fb8aa3b, v91
	ds_load_2addr_b32 v[91:92], v82 offset0:204 offset1:221
	v_sub_f32_e32 v97, v94, v67
	ds_load_2addr_b32 v[93:94], v82 offset0:238 offset1:255
	s_waitcnt lgkmcnt(0)
	v_exp_f32_e32 v101, v101
	s_barrier
	buffer_gl0_inv
	v_dual_fmac_f32 v68, v101, v89 :: v_dual_sub_f32 v89, v96, v67
	v_dual_sub_f32 v82, v95, v67 :: v_dual_mul_f32 v95, 0x3fb8aa3b, v97
	v_exp_f32_e32 v97, v103
	s_delay_alu instid0(VALU_DEP_2) | instskip(NEXT) | instid1(VALU_DEP_2)
	v_dual_fmac_f32 v68, v102, v90 :: v_dual_mul_f32 v89, 0x3fb8aa3b, v89
	v_mul_f32_e32 v82, 0x3fb8aa3b, v82
	s_delay_alu instid0(VALU_DEP_3) | instskip(NEXT) | instid1(VALU_DEP_2)
	v_exp_f32_e32 v95, v95
	v_exp_f32_e32 v89, v89
	s_delay_alu instid0(VALU_DEP_1)
	v_exp_f32_e32 v82, v82
	v_fmac_f32_e32 v68, v97, v91
	s_delay_alu instid0(TRANS32_DEP_3) | instid1(VALU_DEP_1)
	v_fmac_f32_e32 v68, v95, v92
	s_waitcnt_depctr 0xfff
	v_fmac_f32_e32 v68, v82, v93
	s_delay_alu instid0(VALU_DEP_1) | instskip(NEXT) | instid1(VALU_DEP_1)
	v_fmac_f32_e32 v68, v89, v94
	v_add_f32_e32 v90, 0x358637bd, v68
	s_delay_alu instid0(VALU_DEP_1) | instskip(NEXT) | instid1(VALU_DEP_1)
	v_div_scale_f32 v91, null, v90, v90, 1.0
	v_rcp_f32_e32 v92, v91
	s_waitcnt_depctr 0xfff
	v_fma_f32 v93, -v91, v92, 1.0
	s_delay_alu instid0(VALU_DEP_1) | instskip(SKIP_1) | instid1(VALU_DEP_2)
	v_dual_fmac_f32 v92, v93, v92 :: v_dual_cndmask_b32 v93, v100, v99
	v_cmp_eq_u32_e32 vcc_lo, 3, v66
	v_cndmask_b32_e64 v93, v93, v101, s3
	v_cmp_eq_u32_e64 s3, 4, v66
	s_delay_alu instid0(VALU_DEP_2) | instskip(SKIP_1) | instid1(VALU_DEP_2)
	v_cndmask_b32_e32 v93, v93, v102, vcc_lo
	v_cmp_eq_u32_e32 vcc_lo, 5, v66
	v_cndmask_b32_e64 v93, v93, v97, s3
	v_cmp_eq_u32_e64 s3, 6, v66
	s_delay_alu instid0(VALU_DEP_2) | instskip(SKIP_1) | instid1(VALU_DEP_1)
	v_cndmask_b32_e32 v93, v93, v95, vcc_lo
	v_div_scale_f32 v94, s4, 1.0, v90, 1.0
	s_mov_b32 vcc_lo, s4
	s_delay_alu instid0(VALU_DEP_2) | instskip(NEXT) | instid1(VALU_DEP_2)
	v_cndmask_b32_e64 v82, v93, v82, s3
	v_mul_f32_e32 v96, v94, v92
	s_mov_b32 s3, exec_lo
	s_delay_alu instid0(VALU_DEP_2) | instskip(NEXT) | instid1(VALU_DEP_2)
	v_cndmask_b32_e64 v82, v82, v89, s5
	v_fma_f32 v98, -v91, v96, v94
	s_delay_alu instid0(VALU_DEP_1) | instskip(NEXT) | instid1(VALU_DEP_1)
	v_fmac_f32_e32 v96, v98, v92
	v_fma_f32 v91, -v91, v96, v94
	s_delay_alu instid0(VALU_DEP_1) | instskip(NEXT) | instid1(VALU_DEP_1)
	v_div_fmas_f32 v91, v91, v92, v96
	v_div_fixup_f32 v90, v91, v90, 1.0
	s_delay_alu instid0(VALU_DEP_1) | instskip(NEXT) | instid1(VALU_DEP_1)
	v_mul_f32_e32 v82, v82, v90
	v_mul_f32_e32 v87, v82, v87
	;; [unrolled: 1-line block ×7, first 2 shown]
	v_dual_mul_f32 v86, v82, v83 :: v_dual_and_b32 v91, 0x7f800000, v90
	v_mul_f32_e32 v85, v82, v76
                                        ; implicit-def: $vgpr76
	s_delay_alu instid0(VALU_DEP_2)
	v_cmpx_ne_u32_e32 0x7f800000, v91
	s_xor_b32 s3, exec_lo, s3
; %bb.13:
	v_bfe_u32 v76, v90, 16, 1
	s_delay_alu instid0(VALU_DEP_1)
	v_add3_u32 v76, v90, v76, 0x7fff
                                        ; implicit-def: $vgpr90
; %bb.14:
	s_and_not1_saveexec_b32 s3, s3
; %bb.15:
	v_and_b32_e32 v76, 0xffff, v90
	v_or_b32_e32 v83, 0x10000, v90
	s_delay_alu instid0(VALU_DEP_2) | instskip(NEXT) | instid1(VALU_DEP_2)
	v_cmp_eq_u32_e32 vcc_lo, 0, v76
	v_cndmask_b32_e32 v76, v83, v90, vcc_lo
; %bb.16:
	s_or_b32 exec_lo, exec_lo, s3
	v_and_b32_e32 v83, 0x7f800000, v85
	s_delay_alu instid0(VALU_DEP_1) | instskip(SKIP_1) | instid1(SALU_CYCLE_1)
	v_cmp_ne_u32_e32 vcc_lo, 0x7f800000, v83
                                        ; implicit-def: $vgpr83
	s_and_saveexec_b32 s3, vcc_lo
	s_xor_b32 s3, exec_lo, s3
; %bb.17:
	v_bfe_u32 v83, v85, 16, 1
	s_delay_alu instid0(VALU_DEP_1)
	v_add3_u32 v83, v85, v83, 0x7fff
                                        ; implicit-def: $vgpr85
; %bb.18:
	s_and_not1_saveexec_b32 s3, s3
; %bb.19:
	v_and_b32_e32 v83, 0xffff, v85
	v_or_b32_e32 v90, 0x10000, v85
	s_delay_alu instid0(VALU_DEP_2) | instskip(NEXT) | instid1(VALU_DEP_2)
	v_cmp_eq_u32_e32 vcc_lo, 0, v83
	v_cndmask_b32_e32 v83, v90, v85, vcc_lo
; %bb.20:
	s_or_b32 exec_lo, exec_lo, s3
	v_and_b32_e32 v85, 0x7f800000, v86
	s_delay_alu instid0(VALU_DEP_1) | instskip(SKIP_1) | instid1(SALU_CYCLE_1)
	v_cmp_ne_u32_e32 vcc_lo, 0x7f800000, v85
                                        ; implicit-def: $vgpr85
	s_and_saveexec_b32 s3, vcc_lo
	s_xor_b32 s3, exec_lo, s3
; %bb.21:
	v_bfe_u32 v85, v86, 16, 1
	s_delay_alu instid0(VALU_DEP_1)
	v_add3_u32 v85, v86, v85, 0x7fff
                                        ; implicit-def: $vgpr86
; %bb.22:
	s_and_not1_saveexec_b32 s3, s3
; %bb.23:
	v_and_b32_e32 v85, 0xffff, v86
	v_or_b32_e32 v90, 0x10000, v86
	s_delay_alu instid0(VALU_DEP_2) | instskip(NEXT) | instid1(VALU_DEP_2)
	v_cmp_eq_u32_e32 vcc_lo, 0, v85
	v_cndmask_b32_e32 v85, v90, v86, vcc_lo
; %bb.24:
	s_or_b32 exec_lo, exec_lo, s3
	v_and_b32_e32 v86, 0x7f800000, v89
	s_delay_alu instid0(VALU_DEP_1) | instskip(SKIP_1) | instid1(SALU_CYCLE_1)
	v_cmp_ne_u32_e32 vcc_lo, 0x7f800000, v86
                                        ; implicit-def: $vgpr86
	s_and_saveexec_b32 s3, vcc_lo
	s_xor_b32 s3, exec_lo, s3
; %bb.25:
	v_bfe_u32 v86, v89, 16, 1
	s_delay_alu instid0(VALU_DEP_1)
	v_add3_u32 v86, v89, v86, 0x7fff
                                        ; implicit-def: $vgpr89
; %bb.26:
	s_and_not1_saveexec_b32 s3, s3
; %bb.27:
	v_and_b32_e32 v86, 0xffff, v89
	v_or_b32_e32 v90, 0x10000, v89
	s_delay_alu instid0(VALU_DEP_2) | instskip(NEXT) | instid1(VALU_DEP_2)
	v_cmp_eq_u32_e32 vcc_lo, 0, v86
	v_cndmask_b32_e32 v86, v90, v89, vcc_lo
; %bb.28:
	s_or_b32 exec_lo, exec_lo, s3
	v_and_b32_e32 v89, 0x7f800000, v88
	s_delay_alu instid0(VALU_DEP_1) | instskip(SKIP_1) | instid1(SALU_CYCLE_1)
	v_cmp_ne_u32_e32 vcc_lo, 0x7f800000, v89
                                        ; implicit-def: $vgpr89
	s_and_saveexec_b32 s3, vcc_lo
	s_xor_b32 s3, exec_lo, s3
; %bb.29:
	v_bfe_u32 v89, v88, 16, 1
	s_delay_alu instid0(VALU_DEP_1)
	v_add3_u32 v89, v88, v89, 0x7fff
                                        ; implicit-def: $vgpr88
; %bb.30:
	s_and_not1_saveexec_b32 s3, s3
; %bb.31:
	v_and_b32_e32 v89, 0xffff, v88
	v_or_b32_e32 v90, 0x10000, v88
	s_delay_alu instid0(VALU_DEP_2) | instskip(NEXT) | instid1(VALU_DEP_2)
	v_cmp_eq_u32_e32 vcc_lo, 0, v89
	v_cndmask_b32_e32 v89, v90, v88, vcc_lo
; %bb.32:
	s_or_b32 exec_lo, exec_lo, s3
	v_and_b32_e32 v88, 0x7f800000, v87
	s_delay_alu instid0(VALU_DEP_1) | instskip(SKIP_1) | instid1(SALU_CYCLE_1)
	v_cmp_ne_u32_e32 vcc_lo, 0x7f800000, v88
                                        ; implicit-def: $vgpr88
	s_and_saveexec_b32 s3, vcc_lo
	s_xor_b32 s3, exec_lo, s3
; %bb.33:
	v_bfe_u32 v88, v87, 16, 1
	s_delay_alu instid0(VALU_DEP_1)
	v_add3_u32 v88, v87, v88, 0x7fff
                                        ; implicit-def: $vgpr87
; %bb.34:
	s_and_not1_saveexec_b32 s3, s3
; %bb.35:
	v_and_b32_e32 v88, 0xffff, v87
	v_or_b32_e32 v90, 0x10000, v87
	s_delay_alu instid0(VALU_DEP_2) | instskip(NEXT) | instid1(VALU_DEP_2)
	v_cmp_eq_u32_e32 vcc_lo, 0, v88
	v_cndmask_b32_e32 v88, v90, v87, vcc_lo
; %bb.36:
	s_or_b32 exec_lo, exec_lo, s3
	v_and_b32_e32 v87, 0x7f800000, v84
	s_delay_alu instid0(VALU_DEP_1) | instskip(SKIP_1) | instid1(SALU_CYCLE_1)
	v_cmp_ne_u32_e32 vcc_lo, 0x7f800000, v87
                                        ; implicit-def: $vgpr87
	s_and_saveexec_b32 s3, vcc_lo
	s_xor_b32 s3, exec_lo, s3
; %bb.37:
	v_bfe_u32 v87, v84, 16, 1
	s_delay_alu instid0(VALU_DEP_1)
	v_add3_u32 v87, v84, v87, 0x7fff
                                        ; implicit-def: $vgpr84
; %bb.38:
	s_and_not1_saveexec_b32 s3, s3
; %bb.39:
	v_and_b32_e32 v87, 0xffff, v84
	v_or_b32_e32 v90, 0x10000, v84
	s_delay_alu instid0(VALU_DEP_2) | instskip(NEXT) | instid1(VALU_DEP_2)
	v_cmp_eq_u32_e32 vcc_lo, 0, v87
	v_cndmask_b32_e32 v87, v90, v84, vcc_lo
; %bb.40:
	s_or_b32 exec_lo, exec_lo, s3
	v_and_b32_e32 v84, 0x7f800000, v80
	s_delay_alu instid0(VALU_DEP_1) | instskip(SKIP_1) | instid1(SALU_CYCLE_1)
	v_cmp_ne_u32_e32 vcc_lo, 0x7f800000, v84
                                        ; implicit-def: $vgpr84
	s_and_saveexec_b32 s3, vcc_lo
	s_xor_b32 s3, exec_lo, s3
; %bb.41:
	v_bfe_u32 v84, v80, 16, 1
	s_delay_alu instid0(VALU_DEP_1)
	v_add3_u32 v84, v80, v84, 0x7fff
                                        ; implicit-def: $vgpr80
; %bb.42:
	s_and_not1_saveexec_b32 s3, s3
; %bb.43:
	v_and_b32_e32 v84, 0xffff, v80
	v_or_b32_e32 v90, 0x10000, v80
	s_delay_alu instid0(VALU_DEP_2) | instskip(NEXT) | instid1(VALU_DEP_2)
	v_cmp_eq_u32_e32 vcc_lo, 0, v84
	v_cndmask_b32_e32 v84, v90, v80, vcc_lo
; %bb.44:
	s_or_b32 exec_lo, exec_lo, s3
	s_load_b64 s[34:35], s[0:1], 0x94
	v_lshlrev_b32_e32 v91, 4, v74
	s_delay_alu instid0(VALU_DEP_2)
	v_perm_b32 v90, v84, v87, 0x7060302
	v_dual_mul_f32 v79, v82, v79 :: v_dual_lshlrev_b32 v80, 6, v65
	v_dual_mul_f32 v77, v82, v77 :: v_dual_lshlrev_b32 v92, 11, v66
	v_mul_f32_e32 v84, v82, v70
	v_perm_b32 v89, v88, v89, 0x7060302
	v_perm_b32 v88, v86, v85, 0x7060302
	v_perm_b32 v87, v83, v76, 0x7060302
	v_mul_f32_e32 v70, v82, v81
	v_or3_b32 v76, v91, v92, v80
	v_dual_mul_f32 v78, v82, v78 :: v_dual_and_b32 v85, 0x7f800000, v84
	v_mul_f32_e32 v83, v82, v72
	v_mul_f32_e32 v81, v82, v71
	;; [unrolled: 1-line block ×3, first 2 shown]
	s_mov_b32 s3, exec_lo
	ds_store_b128 v76, v[87:90]
                                        ; implicit-def: $vgpr69
	v_cmpx_ne_u32_e32 0x7f800000, v85
	s_xor_b32 s3, exec_lo, s3
; %bb.45:
	v_bfe_u32 v69, v84, 16, 1
	s_delay_alu instid0(VALU_DEP_1)
	v_add3_u32 v69, v84, v69, 0x7fff
                                        ; implicit-def: $vgpr84
; %bb.46:
	s_and_not1_saveexec_b32 s3, s3
; %bb.47:
	v_and_b32_e32 v69, 0xffff, v84
	v_or_b32_e32 v71, 0x10000, v84
	s_delay_alu instid0(VALU_DEP_2) | instskip(NEXT) | instid1(VALU_DEP_2)
	v_cmp_eq_u32_e32 vcc_lo, 0, v69
	v_cndmask_b32_e32 v69, v71, v84, vcc_lo
; %bb.48:
	s_or_b32 exec_lo, exec_lo, s3
	v_and_b32_e32 v71, 0x7f800000, v72
	s_delay_alu instid0(VALU_DEP_1) | instskip(SKIP_1) | instid1(SALU_CYCLE_1)
	v_cmp_ne_u32_e32 vcc_lo, 0x7f800000, v71
                                        ; implicit-def: $vgpr71
	s_and_saveexec_b32 s3, vcc_lo
	s_xor_b32 s3, exec_lo, s3
; %bb.49:
	v_bfe_u32 v71, v72, 16, 1
	s_delay_alu instid0(VALU_DEP_1)
	v_add3_u32 v71, v72, v71, 0x7fff
                                        ; implicit-def: $vgpr72
; %bb.50:
	s_and_not1_saveexec_b32 s3, s3
; %bb.51:
	v_and_b32_e32 v71, 0xffff, v72
	v_or_b32_e32 v82, 0x10000, v72
	s_delay_alu instid0(VALU_DEP_2) | instskip(NEXT) | instid1(VALU_DEP_2)
	v_cmp_eq_u32_e32 vcc_lo, 0, v71
	v_cndmask_b32_e32 v71, v82, v72, vcc_lo
; %bb.52:
	s_or_b32 exec_lo, exec_lo, s3
	v_and_b32_e32 v72, 0x7f800000, v81
	s_delay_alu instid0(VALU_DEP_1) | instskip(SKIP_1) | instid1(SALU_CYCLE_1)
	v_cmp_ne_u32_e32 vcc_lo, 0x7f800000, v72
                                        ; implicit-def: $vgpr72
	s_and_saveexec_b32 s3, vcc_lo
	s_xor_b32 s3, exec_lo, s3
; %bb.53:
	v_bfe_u32 v72, v81, 16, 1
	s_delay_alu instid0(VALU_DEP_1)
	v_add3_u32 v72, v81, v72, 0x7fff
                                        ; implicit-def: $vgpr81
; %bb.54:
	s_and_not1_saveexec_b32 s3, s3
; %bb.55:
	v_and_b32_e32 v72, 0xffff, v81
	v_or_b32_e32 v82, 0x10000, v81
	s_delay_alu instid0(VALU_DEP_2) | instskip(NEXT) | instid1(VALU_DEP_2)
	v_cmp_eq_u32_e32 vcc_lo, 0, v72
	v_cndmask_b32_e32 v72, v82, v81, vcc_lo
; %bb.56:
	s_or_b32 exec_lo, exec_lo, s3
	v_and_b32_e32 v81, 0x7f800000, v83
	s_delay_alu instid0(VALU_DEP_1) | instskip(SKIP_1) | instid1(SALU_CYCLE_1)
	v_cmp_ne_u32_e32 vcc_lo, 0x7f800000, v81
                                        ; implicit-def: $vgpr81
	s_and_saveexec_b32 s3, vcc_lo
	s_xor_b32 s3, exec_lo, s3
; %bb.57:
	v_bfe_u32 v81, v83, 16, 1
	s_delay_alu instid0(VALU_DEP_1)
	v_add3_u32 v81, v83, v81, 0x7fff
                                        ; implicit-def: $vgpr83
; %bb.58:
	s_and_not1_saveexec_b32 s3, s3
; %bb.59:
	v_and_b32_e32 v81, 0xffff, v83
	v_or_b32_e32 v82, 0x10000, v83
	s_delay_alu instid0(VALU_DEP_2) | instskip(NEXT) | instid1(VALU_DEP_2)
	v_cmp_eq_u32_e32 vcc_lo, 0, v81
	v_cndmask_b32_e32 v81, v82, v83, vcc_lo
; %bb.60:
	s_or_b32 exec_lo, exec_lo, s3
	v_and_b32_e32 v82, 0x7f800000, v77
	s_delay_alu instid0(VALU_DEP_1) | instskip(SKIP_1) | instid1(SALU_CYCLE_1)
	v_cmp_ne_u32_e32 vcc_lo, 0x7f800000, v82
                                        ; implicit-def: $vgpr82
	s_and_saveexec_b32 s3, vcc_lo
	s_xor_b32 s3, exec_lo, s3
; %bb.61:
	v_bfe_u32 v82, v77, 16, 1
	s_delay_alu instid0(VALU_DEP_1)
	v_add3_u32 v82, v77, v82, 0x7fff
                                        ; implicit-def: $vgpr77
; %bb.62:
	s_and_not1_saveexec_b32 s3, s3
; %bb.63:
	v_and_b32_e32 v82, 0xffff, v77
	v_or_b32_e32 v83, 0x10000, v77
	s_delay_alu instid0(VALU_DEP_2) | instskip(NEXT) | instid1(VALU_DEP_2)
	v_cmp_eq_u32_e32 vcc_lo, 0, v82
	v_cndmask_b32_e32 v82, v83, v77, vcc_lo
; %bb.64:
	s_or_b32 exec_lo, exec_lo, s3
	v_and_b32_e32 v77, 0x7f800000, v78
	s_delay_alu instid0(VALU_DEP_1) | instskip(SKIP_1) | instid1(SALU_CYCLE_1)
	v_cmp_ne_u32_e32 vcc_lo, 0x7f800000, v77
                                        ; implicit-def: $vgpr77
	s_and_saveexec_b32 s3, vcc_lo
	s_xor_b32 s3, exec_lo, s3
; %bb.65:
	v_bfe_u32 v77, v78, 16, 1
	s_delay_alu instid0(VALU_DEP_1)
	v_add3_u32 v77, v78, v77, 0x7fff
                                        ; implicit-def: $vgpr78
; %bb.66:
	s_and_not1_saveexec_b32 s3, s3
; %bb.67:
	v_and_b32_e32 v77, 0xffff, v78
	v_or_b32_e32 v83, 0x10000, v78
	s_delay_alu instid0(VALU_DEP_2) | instskip(NEXT) | instid1(VALU_DEP_2)
	v_cmp_eq_u32_e32 vcc_lo, 0, v77
	v_cndmask_b32_e32 v77, v83, v78, vcc_lo
; %bb.68:
	s_or_b32 exec_lo, exec_lo, s3
	v_and_b32_e32 v78, 0x7f800000, v79
	s_delay_alu instid0(VALU_DEP_1) | instskip(SKIP_1) | instid1(SALU_CYCLE_1)
	v_cmp_ne_u32_e32 vcc_lo, 0x7f800000, v78
                                        ; implicit-def: $vgpr78
	s_and_saveexec_b32 s3, vcc_lo
	s_xor_b32 s3, exec_lo, s3
; %bb.69:
	v_bfe_u32 v78, v79, 16, 1
	s_delay_alu instid0(VALU_DEP_1)
	v_add3_u32 v78, v79, v78, 0x7fff
                                        ; implicit-def: $vgpr79
; %bb.70:
	s_and_not1_saveexec_b32 s3, s3
; %bb.71:
	v_and_b32_e32 v78, 0xffff, v79
	v_or_b32_e32 v83, 0x10000, v79
	s_delay_alu instid0(VALU_DEP_2) | instskip(NEXT) | instid1(VALU_DEP_2)
	v_cmp_eq_u32_e32 vcc_lo, 0, v78
	v_cndmask_b32_e32 v78, v83, v79, vcc_lo
; %bb.72:
	s_or_b32 exec_lo, exec_lo, s3
	v_and_b32_e32 v79, 0x7f800000, v70
	s_delay_alu instid0(VALU_DEP_1) | instskip(SKIP_1) | instid1(SALU_CYCLE_1)
	v_cmp_ne_u32_e32 vcc_lo, 0x7f800000, v79
                                        ; implicit-def: $vgpr79
	s_and_saveexec_b32 s3, vcc_lo
	s_xor_b32 s3, exec_lo, s3
; %bb.73:
	v_bfe_u32 v79, v70, 16, 1
	s_delay_alu instid0(VALU_DEP_1)
	v_add3_u32 v79, v70, v79, 0x7fff
                                        ; implicit-def: $vgpr70
; %bb.74:
	s_and_not1_saveexec_b32 s3, s3
; %bb.75:
	v_and_b32_e32 v79, 0xffff, v70
	v_or_b32_e32 v83, 0x10000, v70
	s_delay_alu instid0(VALU_DEP_2) | instskip(NEXT) | instid1(VALU_DEP_2)
	v_cmp_eq_u32_e32 vcc_lo, 0, v79
	v_cndmask_b32_e32 v79, v83, v70, vcc_lo
; %bb.76:
	s_or_b32 exec_lo, exec_lo, s3
	s_delay_alu instid0(VALU_DEP_1)
	v_perm_b32 v86, v79, v78, 0x7060302
	v_perm_b32 v85, v77, v82, 0x7060302
	;; [unrolled: 1-line block ×4, first 2 shown]
	v_lshl_or_b32 v82, v66, 11, v80
	ds_store_b128 v76, v[83:86] offset:1024
	s_waitcnt lgkmcnt(0)
	s_barrier
	buffer_gl0_inv
	ds_load_b128 v[69:72], v82
	ds_load_b128 v[83:86], v82 offset:16
	s_waitcnt lgkmcnt(1)
	v_lshrrev_b32_e32 v66, 16, v69
	s_waitcnt lgkmcnt(0)
	v_lshrrev_b32_e32 v91, 16, v83
	v_lshlrev_b32_e32 v78, 2, v74
	v_lshrrev_b32_e32 v95, 16, v70
	v_lshrrev_b32_e32 v98, 16, v84
	;; [unrolled: 1-line block ×4, first 2 shown]
	v_cmp_eq_u32_e32 vcc_lo, 1, v78
	v_lshrrev_b32_e32 v97, 16, v72
	v_lshrrev_b32_e32 v100, 16, v86
	v_cndmask_b32_e32 v87, v83, v91, vcc_lo
	v_or_b32_e32 v79, 1, v78
	v_cndmask_b32_e32 v81, v69, v66, vcc_lo
	v_cmp_eq_u32_e64 s4, 2, v78
	v_cmp_eq_u32_e64 s7, 3, v78
	;; [unrolled: 1-line block ×5, first 2 shown]
	v_cndmask_b32_e64 v81, v81, v70, s4
	v_cndmask_b32_e64 v87, v87, v84, s4
	v_cmp_eq_u32_e64 s8, 3, v79
	v_cndmask_b32_e64 v88, v69, v66, s3
	v_or_b32_e32 v77, 2, v78
	v_cndmask_b32_e64 v81, v81, v95, s7
	v_cndmask_b32_e64 v87, v87, v98, s7
	;; [unrolled: 1-line block ×4, first 2 shown]
	v_cmp_eq_u32_e64 s10, 5, v78
	v_cndmask_b32_e64 v81, v81, v71, s9
	v_cndmask_b32_e64 v87, v87, v85, s9
	v_cmp_eq_u32_e64 s11, 4, v79
	v_cndmask_b32_e64 v88, v88, v95, s8
	v_cmp_eq_u32_e64 s5, 1, v77
	v_cndmask_b32_e64 v89, v89, v84, s6
	v_cndmask_b32_e64 v81, v81, v96, s10
	v_cmp_eq_u32_e64 s12, 6, v78
	v_cndmask_b32_e64 v88, v88, v71, s11
	;; [unrolled: 3-line block ×3, first 2 shown]
	v_cndmask_b32_e64 v89, v89, v98, s8
	v_cndmask_b32_e64 v81, v81, v72, s12
	v_cmp_eq_u32_e64 s15, 7, v78
	v_cndmask_b32_e64 v88, v88, v96, s13
	v_cndmask_b32_e64 v87, v87, v86, s12
	v_cmp_eq_u32_e64 s16, 6, v79
	v_cmp_eq_u32_e64 s17, 2, v77
	v_cndmask_b32_e64 v89, v89, v85, s11
	v_cndmask_b32_e64 v101, v81, v97, s15
	;; [unrolled: 1-line block ×6, first 2 shown]
	v_cmp_eq_u32_e64 s18, 7, v79
	v_cmp_eq_u32_e64 s19, 3, v77
	;; [unrolled: 1-line block ×4, first 2 shown]
	v_cndmask_b32_e64 v87, v87, v84, s17
	v_cndmask_b32_e64 v103, v88, v97, s18
	;; [unrolled: 1-line block ×4, first 2 shown]
	v_or_b32_e32 v81, 3, v78
	v_cndmask_b32_e64 v93, v87, v98, s19
	v_cmp_eq_u32_e64 s24, 6, v77
	v_cndmask_b32_e64 v104, v88, v86, s16
	v_cndmask_b32_e64 v92, v89, v71, s20
	v_cmp_eq_u32_e64 s21, 1, v81
	ds_load_b128 v[87:90], v82 offset:1024
	v_cmp_eq_u32_e64 s23, 2, v81
	v_cmp_eq_u32_e64 s25, 3, v81
	v_cndmask_b32_e64 v105, v92, v96, s22
	v_cndmask_b32_e64 v66, v69, v66, s21
	;; [unrolled: 1-line block ×4, first 2 shown]
	ds_load_b128 v[91:94], v82 offset:1040
	v_cmp_eq_u32_e64 s26, 4, v81
	v_cndmask_b32_e64 v66, v66, v70, s23
	v_cmp_eq_u32_e64 s27, 7, v77
	v_cndmask_b32_e64 v70, v83, v84, s23
	v_cndmask_b32_e64 v84, v105, v72, s24
	v_cmp_eq_u32_e64 s28, 5, v81
	v_cndmask_b32_e64 v66, v66, v95, s25
	v_cmp_eq_u32_e64 s29, 6, v81
	v_cndmask_b32_e64 v70, v70, v98, s25
	v_cndmask_b32_e64 v69, v69, v99, s22
	;; [unrolled: 1-line block ×4, first 2 shown]
	s_waitcnt lgkmcnt(1)
	v_lshrrev_b32_e32 v95, 16, v87
	v_cndmask_b32_e64 v70, v70, v85, s26
	v_cndmask_b32_e64 v71, v84, v97, s27
	;; [unrolled: 1-line block ×4, first 2 shown]
	v_cndmask_b32_e32 v84, v87, v95, vcc_lo
	v_cndmask_b32_e64 v70, v70, v99, s28
	s_waitcnt lgkmcnt(0)
	v_lshrrev_b32_e32 v85, 16, v91
	v_lshrrev_b32_e32 v96, 16, v88
	v_cndmask_b32_e64 v98, v87, v95, s3
	v_cndmask_b32_e64 v84, v84, v88, s4
	;; [unrolled: 1-line block ×3, first 2 shown]
	v_cndmask_b32_e32 v99, v91, v85, vcc_lo
	v_cmp_eq_u32_e32 vcc_lo, 7, v81
	v_cndmask_b32_e64 v66, v66, v72, s29
	v_cndmask_b32_e64 v72, v84, v96, s7
	;; [unrolled: 1-line block ×3, first 2 shown]
	v_lshrrev_b32_e32 v98, 16, v92
	v_cndmask_b32_e32 v70, v70, v100, vcc_lo
	v_cndmask_b32_e64 v86, v99, v92, s4
	v_cndmask_b32_e64 v69, v69, v100, s27
	v_lshrrev_b32_e32 v100, 16, v93
	v_cndmask_b32_e64 v72, v72, v89, s9
	v_lshrrev_b32_e32 v99, 16, v89
	v_cndmask_b32_e64 v86, v86, v98, s7
	v_perm_b32 v71, v69, v71, 0x5040100
	v_cndmask_b32_e64 v84, v84, v96, s8
	s_delay_alu instid0(VALU_DEP_3) | instskip(NEXT) | instid1(VALU_DEP_2)
	v_cndmask_b32_e64 v86, v86, v93, s9
	v_cndmask_b32_e64 v84, v84, v89, s11
	s_delay_alu instid0(VALU_DEP_2) | instskip(NEXT) | instid1(VALU_DEP_1)
	v_cndmask_b32_e64 v86, v86, v100, s10
	v_cndmask_b32_e64 v69, v86, v94, s12
	;; [unrolled: 1-line block ×5, first 2 shown]
	s_delay_alu instid0(VALU_DEP_3) | instskip(NEXT) | instid1(VALU_DEP_3)
	v_cndmask_b32_e64 v86, v86, v88, s17
	v_cndmask_b32_e64 v87, v87, v88, s23
	s_delay_alu instid0(VALU_DEP_3) | instskip(NEXT) | instid1(VALU_DEP_3)
	v_cndmask_b32_e64 v88, v95, v92, s23
	v_cndmask_b32_e64 v86, v86, v96, s19
	;; [unrolled: 3-line block ×7, first 2 shown]
	s_delay_alu instid0(VALU_DEP_3) | instskip(SKIP_2) | instid1(VALU_DEP_2)
	v_cndmask_b32_e64 v88, v88, v94, s29
	v_cndmask_b32_e32 v66, v66, v97, vcc_lo
	v_cndmask_b32_e64 v97, v72, v99, s10
	v_perm_b32 v72, v70, v66, 0x5040100
	v_perm_b32 v70, v83, v103, 0x5040100
	v_cndmask_b32_e64 v103, v91, v85, s5
	v_cndmask_b32_e64 v85, v91, v85, s3
	;; [unrolled: 1-line block ×4, first 2 shown]
	v_lshrrev_b32_e32 v97, 16, v90
	v_cndmask_b32_e64 v91, v103, v92, s17
	v_cndmask_b32_e64 v85, v85, v92, s6
	;; [unrolled: 1-line block ×3, first 2 shown]
	s_mov_b32 s3, exec_lo
	v_cndmask_b32_e64 v83, v84, v97, s15
	v_cndmask_b32_e64 v91, v91, v98, s19
	;; [unrolled: 1-line block ×3, first 2 shown]
	v_lshrrev_b32_e32 v84, 16, v94
	v_cndmask_b32_e64 v66, v66, v97, s18
	v_cndmask_b32_e64 v90, v86, v97, s27
	;; [unrolled: 1-line block ×4, first 2 shown]
	v_dual_cndmask_b32 v86, v87, v97 :: v_dual_cndmask_b32 v87, v88, v84
	v_cndmask_b32_e64 v91, v69, v84, s15
	s_delay_alu instid0(VALU_DEP_4) | instskip(NEXT) | instid1(VALU_DEP_4)
	v_cndmask_b32_e64 v89, v89, v100, s22
	v_cndmask_b32_e64 v85, v85, v100, s13
	v_perm_b32 v69, v102, v101, 0x5040100
	v_perm_b32 v86, v87, v86, 0x5040100
	;; [unrolled: 1-line block ×3, first 2 shown]
	v_cndmask_b32_e64 v89, v89, v94, s24
	v_cndmask_b32_e64 v85, v85, v94, s16
	s_mul_i32 s8, s35, 13
	s_delay_alu instid0(VALU_DEP_2) | instskip(NEXT) | instid1(VALU_DEP_2)
	v_cndmask_b32_e64 v88, v89, v84, s27
	v_cndmask_b32_e64 v89, v85, v84, s18
	s_delay_alu instid0(VALU_DEP_2) | instskip(NEXT) | instid1(VALU_DEP_2)
	v_perm_b32 v85, v88, v90, 0x5040100
	v_perm_b32 v84, v89, v66, 0x5040100
	ds_store_b128 v76, v[69:72]
	ds_store_b128 v76, v[83:86] offset:1024
	v_cmpx_gt_u32_e32 13, v0
	s_cbranch_execz .LBB1866_78
; %bb.77:
	s_mul_i32 s4, s8, s30
	s_delay_alu instid0(SALU_CYCLE_1) | instskip(SKIP_1) | instid1(VALU_DEP_1)
	v_add3_u32 v69, s4, s31, v65
	s_load_b128 s[4:7], s[0:1], 0x58
	v_mad_u64_u32 v[65:66], null, v69, s34, s[14:15]
	s_delay_alu instid0(VALU_DEP_1) | instskip(NEXT) | instid1(VALU_DEP_1)
	v_ashrrev_i32_e32 v66, 31, v65
	v_lshlrev_b64 v[65:66], 2, v[65:66]
	s_waitcnt lgkmcnt(0)
	s_delay_alu instid0(VALU_DEP_1) | instskip(NEXT) | instid1(VALU_DEP_2)
	v_add_co_u32 v69, vcc_lo, s6, v65
	v_add_co_ci_u32_e32 v70, vcc_lo, s7, v66, vcc_lo
	v_add_co_u32 v65, vcc_lo, s4, v65
	v_add_co_ci_u32_e32 v66, vcc_lo, s5, v66, vcc_lo
	global_store_b32 v[69:70], v67, off
	global_store_b32 v[65:66], v68, off
.LBB1866_78:
	s_or_b32 exec_lo, exec_lo, s3
	s_waitcnt lgkmcnt(0)
	s_waitcnt_vscnt null, 0x0
	s_barrier
	buffer_gl0_inv
	ds_load_b128 v[83:86], v80
	ds_load_b128 v[87:90], v80 offset:16
	ds_load_b128 v[95:98], v80 offset:2064
	;; [unrolled: 1-line block ×3, first 2 shown]
	v_mov_b32_e32 v65, 0
	ds_load_b128 v[103:106], v80 offset:4112
	ds_load_b128 v[99:102], v80 offset:4096
	;; [unrolled: 1-line block ×4, first 2 shown]
	v_mov_b32_e32 v66, v65
	v_mov_b32_e32 v67, v65
	;; [unrolled: 1-line block ×7, first 2 shown]
	s_waitcnt lgkmcnt(6)
	s_delay_alu instid0(VALU_DEP_1)
	v_wmma_f32_16x16x16_bf16 v[65:72], v[49:56], v[83:90], v[65:72]
	ds_load_b128 v[53:56], v80 offset:8208
	ds_load_b128 v[49:52], v80 offset:8192
	s_waitcnt lgkmcnt(6)
	v_wmma_f32_16x16x16_bf16 v[65:72], v[41:48], v[91:98], v[65:72]
	ds_load_b128 v[45:48], v80 offset:10256
	ds_load_b128 v[41:44], v80 offset:10240
	s_waitcnt lgkmcnt(6)
	;; [unrolled: 4-line block ×4, first 2 shown]
	v_wmma_f32_16x16x16_bf16 v[65:72], v[1:8], v[49:56], v[65:72]
	s_waitcnt lgkmcnt(4)
	s_delay_alu instid0(VALU_DEP_1) | instskip(SKIP_1) | instid1(VALU_DEP_1)
	v_wmma_f32_16x16x16_bf16 v[65:72], v[9:16], v[41:48], v[65:72]
	s_waitcnt lgkmcnt(2)
	v_wmma_f32_16x16x16_bf16 v[65:72], v[17:24], v[33:40], v[65:72]
	s_waitcnt lgkmcnt(0)
	s_delay_alu instid0(VALU_DEP_1) | instskip(NEXT) | instid1(VALU_DEP_1)
	v_wmma_f32_16x16x16_bf16 v[65:72], v[57:64], v[25:32], v[65:72]
	v_and_b32_e32 v1, 0x7f800000, v65
	s_delay_alu instid0(VALU_DEP_1) | instskip(SKIP_1) | instid1(SALU_CYCLE_1)
	v_cmp_ne_u32_e32 vcc_lo, 0x7f800000, v1
                                        ; implicit-def: $vgpr1
	s_and_saveexec_b32 s3, vcc_lo
	s_xor_b32 s3, exec_lo, s3
; %bb.79:
	v_bfe_u32 v1, v65, 16, 1
	s_delay_alu instid0(VALU_DEP_1)
	v_add3_u32 v1, v65, v1, 0x7fff
; %bb.80:
	s_and_not1_saveexec_b32 s3, s3
; %bb.81:
	v_and_b32_e32 v1, 0xffff, v65
	v_or_b32_e32 v2, 0x10000, v65
	s_delay_alu instid0(VALU_DEP_2) | instskip(NEXT) | instid1(VALU_DEP_2)
	v_cmp_eq_u32_e32 vcc_lo, 0, v1
	v_cndmask_b32_e32 v1, v2, v65, vcc_lo
; %bb.82:
	s_or_b32 exec_lo, exec_lo, s3
	v_and_b32_e32 v2, 0x7f800000, v66
	s_delay_alu instid0(VALU_DEP_1) | instskip(SKIP_1) | instid1(SALU_CYCLE_1)
	v_cmp_ne_u32_e32 vcc_lo, 0x7f800000, v2
                                        ; implicit-def: $vgpr2
	s_and_saveexec_b32 s3, vcc_lo
	s_xor_b32 s3, exec_lo, s3
; %bb.83:
	v_bfe_u32 v2, v66, 16, 1
	s_delay_alu instid0(VALU_DEP_1)
	v_add3_u32 v2, v66, v2, 0x7fff
; %bb.84:
	s_and_not1_saveexec_b32 s3, s3
; %bb.85:
	v_and_b32_e32 v2, 0xffff, v66
	v_or_b32_e32 v3, 0x10000, v66
	s_delay_alu instid0(VALU_DEP_2) | instskip(NEXT) | instid1(VALU_DEP_2)
	v_cmp_eq_u32_e32 vcc_lo, 0, v2
	v_cndmask_b32_e32 v2, v3, v66, vcc_lo
; %bb.86:
	s_or_b32 exec_lo, exec_lo, s3
	v_and_b32_e32 v3, 0x7f800000, v67
	s_delay_alu instid0(VALU_DEP_1) | instskip(SKIP_1) | instid1(SALU_CYCLE_1)
	v_cmp_ne_u32_e32 vcc_lo, 0x7f800000, v3
                                        ; implicit-def: $vgpr3
	s_and_saveexec_b32 s3, vcc_lo
	s_xor_b32 s3, exec_lo, s3
; %bb.87:
	v_bfe_u32 v3, v67, 16, 1
	s_delay_alu instid0(VALU_DEP_1)
	v_add3_u32 v3, v67, v3, 0x7fff
; %bb.88:
	s_and_not1_saveexec_b32 s3, s3
; %bb.89:
	v_and_b32_e32 v3, 0xffff, v67
	v_or_b32_e32 v4, 0x10000, v67
	s_delay_alu instid0(VALU_DEP_2) | instskip(NEXT) | instid1(VALU_DEP_2)
	v_cmp_eq_u32_e32 vcc_lo, 0, v3
	v_cndmask_b32_e32 v3, v4, v67, vcc_lo
; %bb.90:
	s_or_b32 exec_lo, exec_lo, s3
	v_and_b32_e32 v4, 0x7f800000, v68
	s_delay_alu instid0(VALU_DEP_1) | instskip(SKIP_1) | instid1(SALU_CYCLE_1)
	v_cmp_ne_u32_e32 vcc_lo, 0x7f800000, v4
                                        ; implicit-def: $vgpr4
	s_and_saveexec_b32 s3, vcc_lo
	s_xor_b32 s3, exec_lo, s3
; %bb.91:
	v_bfe_u32 v4, v68, 16, 1
	s_delay_alu instid0(VALU_DEP_1)
	v_add3_u32 v4, v68, v4, 0x7fff
; %bb.92:
	s_and_not1_saveexec_b32 s3, s3
; %bb.93:
	v_and_b32_e32 v4, 0xffff, v68
	v_or_b32_e32 v5, 0x10000, v68
	s_delay_alu instid0(VALU_DEP_2) | instskip(NEXT) | instid1(VALU_DEP_2)
	v_cmp_eq_u32_e32 vcc_lo, 0, v4
	v_cndmask_b32_e32 v4, v5, v68, vcc_lo
; %bb.94:
	s_or_b32 exec_lo, exec_lo, s3
	v_and_b32_e32 v5, 0x7f800000, v69
	s_delay_alu instid0(VALU_DEP_1) | instskip(SKIP_1) | instid1(SALU_CYCLE_1)
	v_cmp_ne_u32_e32 vcc_lo, 0x7f800000, v5
                                        ; implicit-def: $vgpr5
	s_and_saveexec_b32 s3, vcc_lo
	s_xor_b32 s3, exec_lo, s3
; %bb.95:
	v_bfe_u32 v5, v69, 16, 1
	s_delay_alu instid0(VALU_DEP_1)
	v_add3_u32 v5, v69, v5, 0x7fff
; %bb.96:
	s_and_not1_saveexec_b32 s3, s3
; %bb.97:
	v_and_b32_e32 v5, 0xffff, v69
	v_or_b32_e32 v6, 0x10000, v69
	s_delay_alu instid0(VALU_DEP_2) | instskip(NEXT) | instid1(VALU_DEP_2)
	v_cmp_eq_u32_e32 vcc_lo, 0, v5
	v_cndmask_b32_e32 v5, v6, v69, vcc_lo
; %bb.98:
	s_or_b32 exec_lo, exec_lo, s3
	v_and_b32_e32 v6, 0x7f800000, v70
	s_delay_alu instid0(VALU_DEP_1) | instskip(SKIP_1) | instid1(SALU_CYCLE_1)
	v_cmp_ne_u32_e32 vcc_lo, 0x7f800000, v6
                                        ; implicit-def: $vgpr6
	s_and_saveexec_b32 s3, vcc_lo
	s_xor_b32 s3, exec_lo, s3
; %bb.99:
	v_bfe_u32 v6, v70, 16, 1
	s_delay_alu instid0(VALU_DEP_1)
	v_add3_u32 v6, v70, v6, 0x7fff
; %bb.100:
	s_and_not1_saveexec_b32 s3, s3
; %bb.101:
	v_and_b32_e32 v6, 0xffff, v70
	v_or_b32_e32 v7, 0x10000, v70
	s_delay_alu instid0(VALU_DEP_2) | instskip(NEXT) | instid1(VALU_DEP_2)
	v_cmp_eq_u32_e32 vcc_lo, 0, v6
	v_cndmask_b32_e32 v6, v7, v70, vcc_lo
; %bb.102:
	s_or_b32 exec_lo, exec_lo, s3
	v_and_b32_e32 v7, 0x7f800000, v71
	s_delay_alu instid0(VALU_DEP_1) | instskip(SKIP_1) | instid1(SALU_CYCLE_1)
	v_cmp_ne_u32_e32 vcc_lo, 0x7f800000, v7
                                        ; implicit-def: $vgpr7
	s_and_saveexec_b32 s3, vcc_lo
	s_xor_b32 s3, exec_lo, s3
; %bb.103:
	v_bfe_u32 v7, v71, 16, 1
	s_delay_alu instid0(VALU_DEP_1)
	v_add3_u32 v7, v71, v7, 0x7fff
; %bb.104:
	s_and_not1_saveexec_b32 s3, s3
; %bb.105:
	v_and_b32_e32 v7, 0xffff, v71
	v_or_b32_e32 v8, 0x10000, v71
	s_delay_alu instid0(VALU_DEP_2) | instskip(NEXT) | instid1(VALU_DEP_2)
	v_cmp_eq_u32_e32 vcc_lo, 0, v7
	v_cndmask_b32_e32 v7, v8, v71, vcc_lo
; %bb.106:
	s_or_b32 exec_lo, exec_lo, s3
	v_and_b32_e32 v8, 0x7f800000, v72
	s_delay_alu instid0(VALU_DEP_1) | instskip(SKIP_1) | instid1(SALU_CYCLE_1)
	v_cmp_ne_u32_e32 vcc_lo, 0x7f800000, v8
                                        ; implicit-def: $vgpr8
	s_and_saveexec_b32 s3, vcc_lo
	s_xor_b32 s3, exec_lo, s3
; %bb.107:
	v_bfe_u32 v8, v72, 16, 1
	s_delay_alu instid0(VALU_DEP_1)
	v_add3_u32 v8, v72, v8, 0x7fff
                                        ; implicit-def: $vgpr65_vgpr66_vgpr67_vgpr68_vgpr69_vgpr70_vgpr71_vgpr72
; %bb.108:
	s_and_not1_saveexec_b32 s3, s3
; %bb.109:
	v_and_b32_e32 v8, 0xffff, v72
	v_or_b32_e32 v9, 0x10000, v72
	s_delay_alu instid0(VALU_DEP_2) | instskip(NEXT) | instid1(VALU_DEP_2)
	v_cmp_eq_u32_e32 vcc_lo, 0, v8
	v_cndmask_b32_e32 v8, v9, v72, vcc_lo
; %bb.110:
	s_or_b32 exec_lo, exec_lo, s3
	s_delay_alu instid0(VALU_DEP_1)
	v_perm_b32 v7, v8, v7, 0x7060302
	v_perm_b32 v6, v6, v5, 0x7060302
	v_perm_b32 v5, v4, v3, 0x7060302
	v_perm_b32 v4, v2, v1, 0x7060302
	s_barrier
	buffer_gl0_inv
	v_cmp_eq_u32_e32 vcc_lo, 1, v78
	ds_store_b128 v76, v[4:7]
	s_waitcnt lgkmcnt(0)
	s_barrier
	buffer_gl0_inv
	ds_load_b128 v[1:4], v82
	ds_load_b128 v[5:8], v82 offset:16
	v_cmp_eq_u32_e64 s3, 1, v79
	v_cmp_eq_u32_e64 s4, 2, v78
	;; [unrolled: 1-line block ×5, first 2 shown]
	s_waitcnt lgkmcnt(1)
	v_lshrrev_b32_e32 v9, 16, v1
	s_waitcnt lgkmcnt(0)
	v_lshrrev_b32_e32 v13, 16, v5
	v_lshrrev_b32_e32 v10, 16, v2
	;; [unrolled: 1-line block ×4, first 2 shown]
	v_cndmask_b32_e64 v19, v1, v9, s3
	v_cndmask_b32_e32 v18, v5, v13, vcc_lo
	v_cndmask_b32_e64 v20, v5, v13, s3
	v_cndmask_b32_e32 v17, v1, v9, vcc_lo
	v_cmp_eq_u32_e32 vcc_lo, 2, v79
	v_lshrrev_b32_e32 v15, 16, v7
	v_cmp_eq_u32_e64 s3, 1, v77
	v_lshrrev_b32_e32 v12, 16, v4
	v_lshrrev_b32_e32 v16, 16, v8
	v_cndmask_b32_e32 v20, v20, v6, vcc_lo
	v_cndmask_b32_e64 v17, v17, v2, s4
	v_cndmask_b32_e32 v19, v19, v2, vcc_lo
	v_cndmask_b32_e64 v18, v18, v6, s4
	v_cmp_eq_u32_e32 vcc_lo, 4, v78
	v_cmp_eq_u32_e64 s4, 3, v79
	v_cndmask_b32_e64 v17, v17, v10, s5
	v_cndmask_b32_e64 v21, v1, v9, s3
	;; [unrolled: 1-line block ×5, first 2 shown]
	v_cndmask_b32_e32 v17, v17, v3, vcc_lo
	v_cndmask_b32_e64 v20, v20, v14, s4
	v_cndmask_b32_e32 v18, v18, v7, vcc_lo
	v_cmp_eq_u32_e32 vcc_lo, 4, v79
	v_cmp_eq_u32_e64 s4, 5, v79
	v_cmp_eq_u32_e64 s3, 2, v81
	v_cndmask_b32_e64 v21, v21, v2, s7
	v_cmp_eq_u32_e64 s5, 5, v78
	v_cndmask_b32_e32 v19, v19, v3, vcc_lo
	v_cndmask_b32_e32 v20, v20, v7, vcc_lo
	v_cmp_eq_u32_e32 vcc_lo, 6, v79
	s_delay_alu instid0(VALU_DEP_4) | instskip(NEXT) | instid1(VALU_DEP_4)
	v_cndmask_b32_e64 v17, v17, v11, s5
	v_cndmask_b32_e64 v19, v19, v11, s4
	s_delay_alu instid0(VALU_DEP_4) | instskip(SKIP_1) | instid1(VALU_DEP_3)
	v_cndmask_b32_e64 v20, v20, v15, s4
	v_cmp_eq_u32_e64 s4, 1, v81
	v_cndmask_b32_e32 v19, v19, v4, vcc_lo
	v_cndmask_b32_e64 v18, v18, v15, s5
	s_delay_alu instid0(VALU_DEP_3)
	v_cndmask_b32_e64 v1, v1, v9, s4
	v_cndmask_b32_e64 v5, v5, v13, s4
	v_cmp_eq_u32_e64 s4, 3, v77
	v_cndmask_b32_e64 v13, v22, v6, s7
	v_cmp_eq_u32_e64 s7, 3, v81
	v_cndmask_b32_e64 v1, v1, v2, s3
	v_cndmask_b32_e64 v2, v5, v6, s3
	;; [unrolled: 1-line block ×3, first 2 shown]
	v_cmp_eq_u32_e64 s3, 4, v77
	v_cndmask_b32_e64 v6, v13, v14, s4
	v_cndmask_b32_e64 v1, v1, v10, s7
	v_cmp_eq_u32_e64 s4, 4, v81
	v_cndmask_b32_e64 v2, v2, v14, s7
	v_cndmask_b32_e64 v5, v9, v3, s3
	;; [unrolled: 3-line block ×3, first 2 shown]
	v_cndmask_b32_e64 v2, v2, v7, s4
	v_cmp_eq_u32_e64 s3, 5, v81
	v_cmp_eq_u32_e64 s5, 6, v78
	v_cndmask_b32_e64 v5, v5, v11, s7
	v_cmp_eq_u32_e64 s4, 6, v77
	v_cndmask_b32_e64 v3, v6, v15, s7
	v_cndmask_b32_e64 v1, v1, v11, s3
	v_cmp_eq_u32_e64 s7, 6, v81
	v_cndmask_b32_e64 v2, v2, v15, s3
	v_cndmask_b32_e64 v17, v17, v4, s5
	v_cndmask_b32_e64 v18, v18, v8, s5
	v_cmp_eq_u32_e64 s5, 7, v78
	v_cndmask_b32_e64 v5, v5, v4, s4
	;; [unrolled: 4-line block ×3, first 2 shown]
	v_cmp_eq_u32_e64 s4, 7, v77
	v_cndmask_b32_e32 v4, v20, v8, vcc_lo
	v_cndmask_b32_e64 v17, v17, v12, s5
	v_cndmask_b32_e64 v19, v19, v12, s6
	v_cndmask_b32_e64 v1, v1, v12, s3
	v_cndmask_b32_e64 v5, v5, v12, s4
	v_cndmask_b32_e64 v2, v2, v16, s3
	v_cndmask_b32_e64 v3, v3, v16, s4
	v_cndmask_b32_e64 v6, v4, v16, s6
	v_cndmask_b32_e64 v7, v18, v16, s5
	s_mov_b32 s3, exec_lo
	v_perm_b32 v4, v2, v1, 0x5040100
	v_perm_b32 v3, v3, v5, 0x5040100
	;; [unrolled: 1-line block ×4, first 2 shown]
	ds_store_b128 v76, v[1:4]
	s_waitcnt lgkmcnt(0)
	s_barrier
	buffer_gl0_inv
	v_cmpx_gt_u32_e32 32, v0
	s_cbranch_execz .LBB1866_2
; %bb.111:
	s_load_b64 s[4:5], s[0:1], 0x68
	v_lshlrev_b32_e32 v0, 10, v0
	v_lshlrev_b32_e32 v1, 4, v75
	s_lshl_b32 s0, s34, 7
	v_add_nc_u32_e32 v18, s31, v74
	s_mul_i32 s1, s0, s30
	s_delay_alu instid0(VALU_DEP_2) | instskip(SKIP_1) | instid1(VALU_DEP_2)
	v_and_or_b32 v0, 0x3800, v0, v1
	s_mul_i32 s6, s1, s8
	v_mul_lo_u32 v1, v18, s0
	s_ashr_i32 s7, s6, 31
	v_add_nc_u32_e32 v2, 2, v18
	v_lshl_or_b32 v19, v74, 6, v0
	s_lshl_b64 s[6:7], s[6:7], 1
	v_add_nc_u32_e32 v8, 4, v18
	v_add_nc_u32_e32 v15, 6, v18
	v_mul_lo_u32 v7, v2, s0
	ds_load_b128 v[3:6], v19
	v_ashrrev_i32_e32 v2, 31, v1
	v_mul_lo_u32 v11, v8, s0
	s_waitcnt lgkmcnt(0)
	s_add_u32 s1, s4, s6
	s_addc_u32 s3, s5, s7
	s_lshl_b32 s4, s14, 7
	v_lshlrev_b64 v[9:10], 1, v[1:2]
	s_ashr_i32 s5, s4, 31
	v_ashrrev_i32_e32 v8, 31, v7
	s_lshl_b64 s[4:5], s[4:5], 1
	v_ashrrev_i32_e32 v12, 31, v11
	s_add_u32 s1, s1, s4
	s_addc_u32 s3, s3, s5
	v_add_co_u32 v1, s1, s1, v73
	s_delay_alu instid0(VALU_DEP_1) | instskip(SKIP_1) | instid1(VALU_DEP_3)
	v_add_co_ci_u32_e64 v2, null, s3, 0, s1
	v_mul_lo_u32 v15, v15, s0
	v_add_co_u32 v13, vcc_lo, v1, v9
	s_delay_alu instid0(VALU_DEP_3)
	v_add_co_ci_u32_e32 v14, vcc_lo, v2, v10, vcc_lo
	v_lshlrev_b64 v[16:17], 1, v[7:8]
	ds_load_b128 v[7:10], v19 offset:128
	global_store_b128 v[13:14], v[3:6], off
	v_add_nc_u32_e32 v5, 8, v18
	v_lshlrev_b64 v[3:4], 1, v[11:12]
	v_add_co_u32 v23, vcc_lo, v1, v16
	v_ashrrev_i32_e32 v16, 31, v15
	s_delay_alu instid0(VALU_DEP_4) | instskip(SKIP_3) | instid1(VALU_DEP_3)
	v_mul_lo_u32 v25, v5, s0
	v_add_nc_u32_e32 v5, 10, v18
	v_add_co_ci_u32_e32 v24, vcc_lo, v2, v17, vcc_lo
	v_add_co_u32 v27, vcc_lo, v1, v3
	v_mul_lo_u32 v29, v5, s0
	v_add_co_ci_u32_e32 v28, vcc_lo, v2, v4, vcc_lo
	v_lshlrev_b64 v[31:32], 1, v[15:16]
	ds_load_b128 v[3:6], v19 offset:256
	ds_load_b128 v[11:14], v19 offset:384
	;; [unrolled: 1-line block ×4, first 2 shown]
	v_ashrrev_i32_e32 v26, 31, v25
	v_ashrrev_i32_e32 v30, 31, v29
	v_add_co_u32 v31, vcc_lo, v1, v31
	s_delay_alu instid0(VALU_DEP_3) | instskip(SKIP_1) | instid1(VALU_DEP_4)
	v_lshlrev_b64 v[25:26], 1, v[25:26]
	v_add_co_ci_u32_e32 v32, vcc_lo, v2, v32, vcc_lo
	v_lshlrev_b64 v[29:30], 1, v[29:30]
	s_delay_alu instid0(VALU_DEP_3) | instskip(NEXT) | instid1(VALU_DEP_4)
	v_add_co_u32 v25, vcc_lo, v1, v25
	v_add_co_ci_u32_e32 v26, vcc_lo, v2, v26, vcc_lo
	s_delay_alu instid0(VALU_DEP_3) | instskip(NEXT) | instid1(VALU_DEP_4)
	v_add_co_u32 v29, vcc_lo, v1, v29
	v_add_co_ci_u32_e32 v30, vcc_lo, v2, v30, vcc_lo
	s_waitcnt lgkmcnt(4)
	global_store_b128 v[23:24], v[7:10], off
	s_waitcnt lgkmcnt(3)
	global_store_b128 v[27:28], v[3:6], off
	;; [unrolled: 2-line block ×5, first 2 shown]
	s_and_b32 exec_lo, exec_lo, s2
	s_cbranch_execz .LBB1866_2
; %bb.112:
	ds_load_b128 v[3:6], v0 offset:768
	s_add_i32 s1, s31, 12
	s_delay_alu instid0(SALU_CYCLE_1) | instskip(NEXT) | instid1(SALU_CYCLE_1)
	s_mul_i32 s0, s1, s0
	s_ashr_i32 s1, s0, 31
	s_delay_alu instid0(SALU_CYCLE_1) | instskip(NEXT) | instid1(SALU_CYCLE_1)
	s_lshl_b64 s[0:1], s[0:1], 1
	v_add_co_u32 v0, vcc_lo, v1, s0
	v_add_co_ci_u32_e32 v1, vcc_lo, s1, v2, vcc_lo
	s_waitcnt lgkmcnt(0)
	global_store_b128 v[0:1], v[3:6], off
	s_nop 0
	s_sendmsg sendmsg(MSG_DEALLOC_VGPRS)
	s_endpgm
	.section	.rodata,"a",@progbits
	.p2align	6, 0x0
	.amdhsa_kernel _Z39paged_attention_ll4mi_QKV_mfma16_kernelI14__hip_bfloat16hLN4vllm18Fp8KVCacheDataTypeE1EhLi32ELi128ELi256ELb1ELi13EL8MFMAType0EEvPKT_PKT0_S9_ifPKiSB_SB_iPKfiiiPfSE_PS4_PT2_iSD_SD_
		.amdhsa_group_segment_fixed_size 17472
		.amdhsa_private_segment_fixed_size 0
		.amdhsa_kernarg_size 400
		.amdhsa_user_sgpr_count 13
		.amdhsa_user_sgpr_dispatch_ptr 0
		.amdhsa_user_sgpr_queue_ptr 0
		.amdhsa_user_sgpr_kernarg_segment_ptr 1
		.amdhsa_user_sgpr_dispatch_id 0
		.amdhsa_user_sgpr_private_segment_size 0
		.amdhsa_wavefront_size32 1
		.amdhsa_uses_dynamic_stack 0
		.amdhsa_enable_private_segment 0
		.amdhsa_system_sgpr_workgroup_id_x 1
		.amdhsa_system_sgpr_workgroup_id_y 1
		.amdhsa_system_sgpr_workgroup_id_z 1
		.amdhsa_system_sgpr_workgroup_info 0
		.amdhsa_system_vgpr_workitem_id 0
		.amdhsa_next_free_vgpr 140
		.amdhsa_next_free_sgpr 36
		.amdhsa_reserve_vcc 1
		.amdhsa_float_round_mode_32 0
		.amdhsa_float_round_mode_16_64 0
		.amdhsa_float_denorm_mode_32 3
		.amdhsa_float_denorm_mode_16_64 3
		.amdhsa_dx10_clamp 1
		.amdhsa_ieee_mode 1
		.amdhsa_fp16_overflow 0
		.amdhsa_workgroup_processor_mode 1
		.amdhsa_memory_ordered 1
		.amdhsa_forward_progress 0
		.amdhsa_shared_vgpr_count 0
		.amdhsa_exception_fp_ieee_invalid_op 0
		.amdhsa_exception_fp_denorm_src 0
		.amdhsa_exception_fp_ieee_div_zero 0
		.amdhsa_exception_fp_ieee_overflow 0
		.amdhsa_exception_fp_ieee_underflow 0
		.amdhsa_exception_fp_ieee_inexact 0
		.amdhsa_exception_int_div_zero 0
	.end_amdhsa_kernel
	.section	.text._Z39paged_attention_ll4mi_QKV_mfma16_kernelI14__hip_bfloat16hLN4vllm18Fp8KVCacheDataTypeE1EhLi32ELi128ELi256ELb1ELi13EL8MFMAType0EEvPKT_PKT0_S9_ifPKiSB_SB_iPKfiiiPfSE_PS4_PT2_iSD_SD_,"axG",@progbits,_Z39paged_attention_ll4mi_QKV_mfma16_kernelI14__hip_bfloat16hLN4vllm18Fp8KVCacheDataTypeE1EhLi32ELi128ELi256ELb1ELi13EL8MFMAType0EEvPKT_PKT0_S9_ifPKiSB_SB_iPKfiiiPfSE_PS4_PT2_iSD_SD_,comdat
.Lfunc_end1866:
	.size	_Z39paged_attention_ll4mi_QKV_mfma16_kernelI14__hip_bfloat16hLN4vllm18Fp8KVCacheDataTypeE1EhLi32ELi128ELi256ELb1ELi13EL8MFMAType0EEvPKT_PKT0_S9_ifPKiSB_SB_iPKfiiiPfSE_PS4_PT2_iSD_SD_, .Lfunc_end1866-_Z39paged_attention_ll4mi_QKV_mfma16_kernelI14__hip_bfloat16hLN4vllm18Fp8KVCacheDataTypeE1EhLi32ELi128ELi256ELb1ELi13EL8MFMAType0EEvPKT_PKT0_S9_ifPKiSB_SB_iPKfiiiPfSE_PS4_PT2_iSD_SD_
                                        ; -- End function
	.section	.AMDGPU.csdata,"",@progbits
; Kernel info:
; codeLenInByte = 9100
; NumSgprs: 38
; NumVgprs: 140
; ScratchSize: 0
; MemoryBound: 0
; FloatMode: 240
; IeeeMode: 1
; LDSByteSize: 17472 bytes/workgroup (compile time only)
; SGPRBlocks: 4
; VGPRBlocks: 17
; NumSGPRsForWavesPerEU: 38
; NumVGPRsForWavesPerEU: 140
; Occupancy: 10
; WaveLimiterHint : 1
; COMPUTE_PGM_RSRC2:SCRATCH_EN: 0
; COMPUTE_PGM_RSRC2:USER_SGPR: 13
; COMPUTE_PGM_RSRC2:TRAP_HANDLER: 0
; COMPUTE_PGM_RSRC2:TGID_X_EN: 1
; COMPUTE_PGM_RSRC2:TGID_Y_EN: 1
; COMPUTE_PGM_RSRC2:TGID_Z_EN: 1
; COMPUTE_PGM_RSRC2:TIDIG_COMP_CNT: 0
	.section	.text._Z39paged_attention_ll4mi_QKV_mfma16_kernelI14__hip_bfloat16hLN4vllm18Fp8KVCacheDataTypeE1EhLi32ELi128ELi256ELb1ELi14EL8MFMAType0EEvPKT_PKT0_S9_ifPKiSB_SB_iPKfiiiPfSE_PS4_PT2_iSD_SD_,"axG",@progbits,_Z39paged_attention_ll4mi_QKV_mfma16_kernelI14__hip_bfloat16hLN4vllm18Fp8KVCacheDataTypeE1EhLi32ELi128ELi256ELb1ELi14EL8MFMAType0EEvPKT_PKT0_S9_ifPKiSB_SB_iPKfiiiPfSE_PS4_PT2_iSD_SD_,comdat
	.protected	_Z39paged_attention_ll4mi_QKV_mfma16_kernelI14__hip_bfloat16hLN4vllm18Fp8KVCacheDataTypeE1EhLi32ELi128ELi256ELb1ELi14EL8MFMAType0EEvPKT_PKT0_S9_ifPKiSB_SB_iPKfiiiPfSE_PS4_PT2_iSD_SD_ ; -- Begin function _Z39paged_attention_ll4mi_QKV_mfma16_kernelI14__hip_bfloat16hLN4vllm18Fp8KVCacheDataTypeE1EhLi32ELi128ELi256ELb1ELi14EL8MFMAType0EEvPKT_PKT0_S9_ifPKiSB_SB_iPKfiiiPfSE_PS4_PT2_iSD_SD_
	.globl	_Z39paged_attention_ll4mi_QKV_mfma16_kernelI14__hip_bfloat16hLN4vllm18Fp8KVCacheDataTypeE1EhLi32ELi128ELi256ELb1ELi14EL8MFMAType0EEvPKT_PKT0_S9_ifPKiSB_SB_iPKfiiiPfSE_PS4_PT2_iSD_SD_
	.p2align	8
	.type	_Z39paged_attention_ll4mi_QKV_mfma16_kernelI14__hip_bfloat16hLN4vllm18Fp8KVCacheDataTypeE1EhLi32ELi128ELi256ELb1ELi14EL8MFMAType0EEvPKT_PKT0_S9_ifPKiSB_SB_iPKfiiiPfSE_PS4_PT2_iSD_SD_,@function
_Z39paged_attention_ll4mi_QKV_mfma16_kernelI14__hip_bfloat16hLN4vllm18Fp8KVCacheDataTypeE1EhLi32ELi128ELi256ELb1ELi14EL8MFMAType0EEvPKT_PKT0_S9_ifPKiSB_SB_iPKfiiiPfSE_PS4_PT2_iSD_SD_: ; @_Z39paged_attention_ll4mi_QKV_mfma16_kernelI14__hip_bfloat16hLN4vllm18Fp8KVCacheDataTypeE1EhLi32ELi128ELi256ELb1ELi14EL8MFMAType0EEvPKT_PKT0_S9_ifPKiSB_SB_iPKfiiiPfSE_PS4_PT2_iSD_SD_
; %bb.0:
	s_load_b64 s[4:5], s[0:1], 0x30
	s_mov_b32 s30, s13
	s_waitcnt lgkmcnt(0)
	s_cmp_lg_u64 s[4:5], 0
	s_cselect_b32 s13, -1, 0
	s_ashr_i32 s31, s30, 31
	s_cmp_eq_u64 s[4:5], 0
	s_cbranch_scc1 .LBB1867_3
; %bb.1:
	s_lshl_b64 s[2:3], s[30:31], 2
	s_delay_alu instid0(SALU_CYCLE_1) | instskip(SKIP_4) | instid1(SALU_CYCLE_1)
	s_add_u32 s2, s4, s2
	s_addc_u32 s3, s5, s3
	s_load_b64 s[2:3], s[2:3], 0x0
	s_waitcnt lgkmcnt(0)
	s_sub_i32 s2, s3, s2
	s_cmp_eq_u32 s2, 1
	s_cselect_b32 s2, -1, 0
	s_delay_alu instid0(SALU_CYCLE_1)
	s_and_not1_b32 vcc_lo, exec_lo, s2
	s_cbranch_vccz .LBB1867_4
.LBB1867_2:
	s_endpgm
.LBB1867_3:
.LBB1867_4:
	s_load_b64 s[2:3], s[0:1], 0x28
	s_lshl_b64 s[6:7], s[30:31], 2
	s_waitcnt lgkmcnt(0)
	s_add_u32 s2, s2, s6
	s_addc_u32 s3, s3, s7
	s_lshl_b32 s12, s14, 8
	s_load_b32 s17, s[2:3], 0x0
	s_waitcnt lgkmcnt(0)
	s_cmp_ge_i32 s12, s17
	s_cbranch_scc1 .LBB1867_2
; %bb.5:
	s_clause 0x1
	s_load_b128 s[8:11], s[0:1], 0x8
	s_load_b64 s[2:3], s[0:1], 0x20
	s_and_not1_b32 vcc_lo, exec_lo, s13
	s_cbranch_vccnz .LBB1867_7
; %bb.6:
	s_add_u32 s4, s4, s6
	s_addc_u32 s5, s5, s7
	s_load_b32 s13, s[4:5], 0x0
	s_branch .LBB1867_8
.LBB1867_7:
	s_mov_b32 s13, s30
.LBB1867_8:
	s_load_b128 s[4:7], s[0:1], 0x48
	v_and_b32_e32 v65, 15, v0
	v_lshrrev_b32_e32 v66, 5, v0
	v_and_b32_e32 v67, 31, v0
	v_and_b32_e32 v75, 1, v0
	v_bfe_u32 v74, v0, 4, 1
	v_lshlrev_b32_e32 v1, 3, v65
	s_mul_i32 s29, s15, 14
	s_waitcnt lgkmcnt(0)
	s_mov_b32 s7, exec_lo
	s_delay_alu instid0(VALU_DEP_1)
	v_lshlrev_b32_e32 v73, 1, v1
	v_cmpx_gt_u32_e32 0xe0, v0
	s_cbranch_execz .LBB1867_10
; %bb.9:
	s_load_b64 s[18:19], s[0:1], 0x0
	v_lshl_or_b32 v5, v66, 1, v74
	s_mul_hi_i32 s21, s13, s4
	s_mul_i32 s20, s13, s4
	v_lshlrev_b32_e32 v6, 10, v65
	s_lshl_b64 s[20:21], s[20:21], 1
	v_add_lshl_u32 v1, v5, s29, 7
	v_lshlrev_b32_e32 v5, 6, v5
	v_lshlrev_b32_e32 v7, 10, v75
	v_and_b32_e32 v6, 0x3800, v6
	s_delay_alu instid0(VALU_DEP_4) | instskip(NEXT) | instid1(VALU_DEP_2)
	v_ashrrev_i32_e32 v2, 31, v1
	v_or3_b32 v5, v6, v7, v5
	s_delay_alu instid0(VALU_DEP_2) | instskip(SKIP_3) | instid1(VALU_DEP_1)
	v_lshlrev_b64 v[1:2], 1, v[1:2]
	s_waitcnt lgkmcnt(0)
	s_add_u32 s4, s18, s20
	s_addc_u32 s13, s19, s21
	v_add_co_u32 v1, vcc_lo, s4, v1
	s_delay_alu instid0(VALU_DEP_2) | instskip(NEXT) | instid1(VALU_DEP_2)
	v_add_co_ci_u32_e32 v2, vcc_lo, s13, v2, vcc_lo
	v_add_co_u32 v1, vcc_lo, v1, v73
	s_delay_alu instid0(VALU_DEP_2)
	v_add_co_ci_u32_e32 v2, vcc_lo, 0, v2, vcc_lo
	global_load_b128 v[1:4], v[1:2], off
	s_waitcnt vmcnt(0)
	ds_store_b128 v5, v[1:4]
.LBB1867_10:
	s_or_b32 exec_lo, exec_lo, s7
	v_and_b32_e32 v1, 0xef, v0
	s_add_i32 s4, s17, 31
	s_clause 0x1
	s_load_b32 s7, s[0:1], 0x38
	s_load_b32 s18, s[0:1], 0x1c
	s_ashr_i32 s13, s4, 31
	v_add_nc_u32_e32 v1, s12, v1
	s_lshr_b32 s13, s13, 27
	s_waitcnt lgkmcnt(0)
	s_add_i32 s4, s4, s13
	s_barrier
	v_ashrrev_i32_e32 v2, 31, v1
	v_or_b32_e32 v3, 16, v1
	s_ashr_i32 s4, s4, 5
	v_cmp_gt_i32_e32 vcc_lo, s17, v1
	s_add_i32 s4, s4, -1
	v_lshrrev_b32_e32 v2, 27, v2
	buffer_gl0_inv
	s_mul_i32 s15, s15, s6
	v_add_nc_u32_e32 v4, v1, v2
	s_mul_i32 s20, s30, s7
	s_delay_alu instid0(SALU_CYCLE_1) | instskip(NEXT) | instid1(VALU_DEP_1)
	s_ashr_i32 s21, s20, 31
	v_ashrrev_i32_e32 v4, 5, v4
	v_add_nc_u32_e32 v2, v3, v2
	s_lshl_b64 s[20:21], s[20:21], 2
	s_delay_alu instid0(SALU_CYCLE_1) | instskip(NEXT) | instid1(VALU_DEP_2)
	s_add_u32 s13, s2, s20
	v_cndmask_b32_e32 v1, s4, v4, vcc_lo
	s_delay_alu instid0(VALU_DEP_2)
	v_ashrrev_i32_e32 v2, 5, v2
	v_cmp_gt_i32_e32 vcc_lo, s17, v3
	s_addc_u32 s16, s3, s21
	s_ashr_i32 s19, s15, 31
	s_add_u32 s2, s8, s15
	s_addc_u32 s3, s9, s19
	v_cndmask_b32_e32 v3, s4, v2, vcc_lo
	v_ashrrev_i32_e32 v2, 31, v1
	s_lshl_b32 s6, s14, 3
	s_delay_alu instid0(SALU_CYCLE_1) | instskip(NEXT) | instid1(VALU_DEP_2)
	s_ashr_i32 s7, s6, 31
	v_ashrrev_i32_e32 v4, 31, v3
	s_delay_alu instid0(VALU_DEP_2) | instskip(SKIP_1) | instid1(SALU_CYCLE_1)
	v_lshlrev_b64 v[1:2], 2, v[1:2]
	s_lshl_b64 s[6:7], s[6:7], 2
	s_add_u32 s6, s13, s6
	s_delay_alu instid0(VALU_DEP_2) | instskip(SKIP_1) | instid1(VALU_DEP_2)
	v_lshlrev_b64 v[3:4], 2, v[3:4]
	s_addc_u32 s7, s16, s7
	v_add_co_u32 v1, vcc_lo, s13, v1
	v_add_co_ci_u32_e32 v2, vcc_lo, s16, v2, vcc_lo
	s_delay_alu instid0(VALU_DEP_3) | instskip(NEXT) | instid1(VALU_DEP_4)
	v_add_co_u32 v3, vcc_lo, s13, v3
	v_add_co_ci_u32_e32 v4, vcc_lo, s16, v4, vcc_lo
	s_clause 0x1
	global_load_b32 v5, v[1:2], off
	global_load_b32 v6, v[3:4], off
	s_or_b32 s8, s12, 32
	s_delay_alu instid0(SALU_CYCLE_1) | instskip(SKIP_2) | instid1(SALU_CYCLE_1)
	s_ashr_i32 s9, s8, 5
	s_cmp_lt_i32 s8, s17
	s_cselect_b32 s8, s9, s4
	s_ashr_i32 s9, s8, 31
	s_delay_alu instid0(SALU_CYCLE_1) | instskip(NEXT) | instid1(SALU_CYCLE_1)
	s_lshl_b64 s[8:9], s[8:9], 2
	s_add_u32 s8, s13, s8
	s_addc_u32 s9, s16, s9
	s_or_b32 s20, s12, 64
	s_delay_alu instid0(SALU_CYCLE_1) | instskip(SKIP_2) | instid1(SALU_CYCLE_1)
	s_ashr_i32 s21, s20, 5
	s_cmp_lt_i32 s20, s17
	s_cselect_b32 s20, s21, s4
	s_ashr_i32 s21, s20, 31
	s_delay_alu instid0(SALU_CYCLE_1) | instskip(NEXT) | instid1(SALU_CYCLE_1)
	s_lshl_b64 s[20:21], s[20:21], 2
	s_add_u32 s20, s13, s20
	s_addc_u32 s21, s16, s21
	;; [unrolled: 10-line block ×5, first 2 shown]
	s_clause 0x5
	s_load_b32 s28, s[6:7], 0x0
	s_load_b32 s8, s[8:9], 0x0
	;; [unrolled: 1-line block ×6, first 2 shown]
	s_mov_b32 s20, 0
	s_delay_alu instid0(SALU_CYCLE_1)
	s_mov_b32 s21, s20
	s_mov_b32 s22, s20
	;; [unrolled: 1-line block ×7, first 2 shown]
	s_delay_alu instid0(SALU_CYCLE_1)
	v_dual_mov_b32 v107, s27 :: v_dual_mov_b32 v106, s26
	v_dual_mov_b32 v104, s24 :: v_dual_mov_b32 v103, s23
	v_dual_mov_b32 v101, s21 :: v_dual_mov_b32 v102, s22
	v_mov_b32_e32 v100, s20
	s_waitcnt vmcnt(1)
	v_mad_i64_i32 v[1:2], null, v5, s5, s[2:3]
	v_lshlrev_b32_e32 v5, 4, v65
	s_waitcnt vmcnt(0)
	v_mad_i64_i32 v[3:4], null, v6, s5, s[2:3]
	s_or_b32 s2, s12, 0xc0
	s_delay_alu instid0(SALU_CYCLE_1) | instskip(NEXT) | instid1(VALU_DEP_3)
	s_ashr_i32 s3, s2, 5
	v_add_co_u32 v33, vcc_lo, v1, v5
	s_delay_alu instid0(VALU_DEP_4) | instskip(NEXT) | instid1(VALU_DEP_3)
	v_add_co_ci_u32_e32 v34, vcc_lo, 0, v2, vcc_lo
	v_add_co_u32 v35, vcc_lo, v3, v5
	s_delay_alu instid0(VALU_DEP_4)
	v_add_co_ci_u32_e32 v36, vcc_lo, 0, v4, vcc_lo
	s_clause 0xf
	global_load_b128 v[1:4], v[33:34], off
	global_load_b128 v[5:8], v[33:34], off offset:512
	global_load_b128 v[9:12], v[35:36], off offset:256
	;; [unrolled: 1-line block ×15, first 2 shown]
	s_cmp_lt_i32 s2, s17
	v_add_nc_u32_e32 v33, -14, v65
	s_cselect_b32 s2, s3, s4
	v_cmp_gt_u32_e32 vcc_lo, 14, v65
	s_ashr_i32 s3, s2, 31
	v_lshlrev_b32_e32 v34, 5, v65
	s_lshl_b64 s[2:3], s[2:3], 2
	s_delay_alu instid0(SALU_CYCLE_1)
	s_add_u32 s2, s13, s2
	s_addc_u32 s3, s16, s3
	s_or_b32 s6, s12, 0xe0
	v_cndmask_b32_e32 v33, v33, v65, vcc_lo
	s_ashr_i32 s7, s6, 5
	s_cmp_lt_i32 s6, s17
	v_mov_b32_e32 v105, s25
	s_cselect_b32 s6, s7, s4
	v_lshlrev_b32_e32 v72, 6, v33
	s_ashr_i32 s7, s6, 31
	v_lshl_or_b32 v41, v66, 9, v34
	s_lshl_b64 s[6:7], s[6:7], 2
	ds_load_b128 v[33:36], v72
	ds_load_b128 v[37:40], v72 offset:1024
	ds_load_b128 v[108:111], v72 offset:2048
	;; [unrolled: 1-line block ×3, first 2 shown]
	s_load_b32 s4, s[2:3], 0x0
	s_add_u32 s2, s13, s6
	s_addc_u32 s3, s16, s7
	ds_load_b128 v[116:119], v72 offset:4096
	ds_load_b128 v[120:123], v72 offset:5120
	s_load_b32 s2, s[2:3], 0x0
	s_add_u32 s6, s10, s15
	s_addc_u32 s7, s11, s19
	v_add_co_u32 v68, s6, s6, v41
	s_delay_alu instid0(VALU_DEP_1) | instskip(SKIP_1) | instid1(VALU_DEP_1)
	v_add_co_ci_u32_e64 v69, null, s7, 0, s6
	s_waitcnt lgkmcnt(0)
	v_mad_i64_i32 v[41:42], null, s28, s5, v[68:69]
	v_mad_i64_i32 v[70:71], null, s9, s5, v[68:69]
	;; [unrolled: 1-line block ×7, first 2 shown]
	s_clause 0x3
	global_load_b128 v[49:52], v[41:42], off
	global_load_b128 v[53:56], v[41:42], off offset:16
	global_load_b128 v[41:44], v[45:46], off
	global_load_b128 v[45:48], v[45:46], off offset:16
	s_waitcnt vmcnt(18)
	v_wmma_f32_16x16x16_bf16 v[124:131], v[1:8], v[33:40], v[100:107]
	s_waitcnt vmcnt(16)
	v_wmma_f32_16x16x16_bf16 v[100:107], v[9:16], v[33:40], v[100:107]
	s_clause 0x1
	global_load_b128 v[33:36], v[70:71], off
	global_load_b128 v[37:40], v[70:71], off offset:16
	v_mad_i64_i32 v[70:71], null, s2, s5, v[68:69]
	s_waitcnt vmcnt(16)
	v_wmma_f32_16x16x16_bf16 v[124:131], v[17:24], v[108:115], v[124:131]
	s_waitcnt vmcnt(14)
	v_wmma_f32_16x16x16_bf16 v[100:107], v[25:32], v[108:115], v[100:107]
	s_clause 0x7
	global_load_b128 v[25:28], v[132:133], off
	global_load_b128 v[29:32], v[132:133], off offset:16
	global_load_b128 v[1:4], v[134:135], off
	global_load_b128 v[5:8], v[134:135], off offset:16
	;; [unrolled: 2-line block ×4, first 2 shown]
	s_waitcnt vmcnt(20)
	v_wmma_f32_16x16x16_bf16 v[124:131], v[57:64], v[116:123], v[124:131]
	s_clause 0x1
	global_load_b128 v[57:60], v[70:71], off
	global_load_b128 v[61:64], v[70:71], off offset:16
	s_waitcnt vmcnt(20)
	v_wmma_f32_16x16x16_bf16 v[100:107], v[76:83], v[116:123], v[100:107]
	ds_load_b128 v[76:79], v72 offset:6144
	ds_load_b128 v[80:83], v72 offset:7168
	v_and_b32_e32 v68, 0xe0, v0
	v_mbcnt_lo_u32_b32 v69, -1, 0
	s_waitcnt vmcnt(0) lgkmcnt(0)
	s_barrier
	buffer_gl0_inv
	v_add_nc_u32_e32 v68, s12, v68
	v_xor_b32_e32 v70, 16, v69
	s_delay_alu instid0(VALU_DEP_2) | instskip(NEXT) | instid1(VALU_DEP_2)
	v_or_b32_e32 v68, v68, v74
	v_cmp_gt_i32_e32 vcc_lo, 32, v70
	s_delay_alu instid0(VALU_DEP_2)
	v_or_b32_e32 v71, 4, v68
	v_or_b32_e32 v72, 6, v68
	v_cmp_gt_i32_e64 s2, s17, v68
	v_or_b32_e32 v108, 8, v68
	v_wmma_f32_16x16x16_bf16 v[124:131], v[84:91], v[76:83], v[124:131]
	v_cndmask_b32_e32 v69, v69, v70, vcc_lo
	v_or_b32_e32 v70, 2, v68
	v_wmma_f32_16x16x16_bf16 v[100:107], v[92:99], v[76:83], v[100:107]
	v_or_b32_e32 v109, 10, v68
	v_dual_mul_f32 v80, s18, v129 :: v_dual_mul_f32 v81, s18, v128
	v_dual_mul_f32 v92, s18, v125 :: v_dual_mul_f32 v93, s18, v124
	s_delay_alu instid0(VALU_DEP_4)
	v_mul_f32_e32 v96, s18, v105
	v_cmp_gt_i32_e32 vcc_lo, s17, v70
	v_or_b32_e32 v89, 22, v68
	v_dual_mul_f32 v79, s18, v130 :: v_dual_mul_f32 v82, s18, v127
	v_dual_mul_f32 v83, s18, v126 :: v_dual_mul_f32 v94, s18, v107
	v_cndmask_b32_e64 v93, 0xff7fffff, v93, s2
	v_cndmask_b32_e32 v92, 0xff7fffff, v92, vcc_lo
	v_cmp_gt_i32_e64 s3, s17, v71
	v_cmp_gt_i32_e64 s4, s17, v72
	v_or_b32_e32 v84, 12, v68
	v_or_b32_e32 v85, 14, v68
	v_cmp_gt_i32_e64 s5, s17, v108
	v_cndmask_b32_e64 v71, 0xff7fffff, v83, s3
	v_cndmask_b32_e64 v72, 0xff7fffff, v82, s4
	v_cmp_gt_i32_e64 s6, s17, v109
	v_cmp_gt_i32_e64 s12, s17, v89
	v_lshlrev_b32_e32 v89, 2, v69
	v_max3_f32 v82, v93, 0xff7fffff, v92
	v_or_b32_e32 v86, 16, v68
	v_or_b32_e32 v87, 18, v68
	v_mul_f32_e32 v78, s18, v131
	v_cndmask_b32_e64 v81, 0xff7fffff, v81, s5
	v_cndmask_b32_e64 v80, 0xff7fffff, v80, s6
	v_max3_f32 v71, v82, v71, v72
	v_cmp_gt_i32_e64 s7, s17, v84
	v_cmp_gt_i32_e64 s8, s17, v85
	v_or_b32_e32 v88, 20, v68
	v_or_b32_e32 v90, 24, v68
	v_or_b32_e32 v91, 26, v68
	v_or_b32_e32 v76, 28, v68
	v_or_b32_e32 v77, 30, v68
	v_dual_mul_f32 v97, s18, v104 :: v_dual_mul_f32 v70, s18, v101
	v_dual_mul_f32 v99, s18, v102 :: v_dual_mul_f32 v68, s18, v100
	v_cndmask_b32_e64 v72, 0xff7fffff, v79, s7
	v_cndmask_b32_e64 v78, 0xff7fffff, v78, s8
	v_max3_f32 v71, v71, v81, v80
	v_cmp_gt_i32_e64 s9, s17, v86
	v_cmp_gt_i32_e64 s10, s17, v87
	v_dual_mul_f32 v95, s18, v106 :: v_dual_mul_f32 v98, s18, v103
	s_delay_alu instid0(VALU_DEP_4) | instskip(NEXT) | instid1(VALU_DEP_4)
	v_max3_f32 v71, v71, v72, v78
	v_cndmask_b32_e64 v68, 0xff7fffff, v68, s9
	s_delay_alu instid0(VALU_DEP_4)
	v_cndmask_b32_e64 v70, 0xff7fffff, v70, s10
	v_cmp_gt_i32_e64 s11, s17, v88
	v_cndmask_b32_e64 v78, 0xff7fffff, v98, s12
	v_cmp_gt_i32_e64 s13, s17, v90
	v_cmp_gt_i32_e64 s15, s17, v91
	v_max3_f32 v68, v71, v68, v70
	v_cndmask_b32_e64 v72, 0xff7fffff, v99, s11
	v_cmp_gt_i32_e64 s16, s17, v76
	v_cndmask_b32_e64 v70, 0xff7fffff, v97, s13
	v_cndmask_b32_e64 v71, 0xff7fffff, v96, s15
	v_cmp_gt_i32_e64 s17, s17, v77
	v_max3_f32 v68, v68, v72, v78
	v_cndmask_b32_e64 v72, 0xff7fffff, v95, s16
	s_delay_alu instid0(VALU_DEP_3) | instskip(NEXT) | instid1(VALU_DEP_3)
	v_cndmask_b32_e64 v76, 0xff7fffff, v94, s17
	v_max3_f32 v68, v68, v70, v71
	s_delay_alu instid0(VALU_DEP_1) | instskip(SKIP_3) | instid1(VALU_DEP_1)
	v_max3_f32 v68, v68, v72, v76
	ds_bpermute_b32 v69, v89, v68
	s_waitcnt lgkmcnt(0)
	v_max_f32_e32 v69, v69, v69
	v_max_f32_e32 v68, v68, v69
	s_delay_alu instid0(VALU_DEP_1) | instskip(NEXT) | instid1(VALU_DEP_1)
	v_fma_f32 v71, s18, v126, -v68
	v_mul_f32_e32 v71, 0x3fb8aa3b, v71
	v_fma_f32 v70, s18, v125, -v68
	v_fma_f32 v69, s18, v124, -v68
	;; [unrolled: 1-line block ×5, first 2 shown]
	s_delay_alu instid0(VALU_DEP_4) | instskip(SKIP_1) | instid1(VALU_DEP_3)
	v_dual_mul_f32 v70, 0x3fb8aa3b, v70 :: v_dual_mul_f32 v69, 0x3fb8aa3b, v69
	v_exp_f32_e32 v71, v71
	v_mul_f32_e32 v72, 0x3fb8aa3b, v72
	v_fma_f32 v81, s18, v105, -v68
	s_delay_alu instid0(VALU_DEP_3)
	v_exp_f32_e32 v70, v70
	v_mul_f32_e32 v77, 0x3fb8aa3b, v76
	v_exp_f32_e32 v69, v69
	v_exp_f32_e32 v72, v72
	v_mul_f32_e32 v81, 0x3fb8aa3b, v81
	v_cndmask_b32_e64 v83, 0, v71, s3
	v_fma_f32 v71, s18, v131, -v68
	s_delay_alu instid0(VALU_DEP_3) | instskip(SKIP_4) | instid1(TRANS32_DEP_3)
	v_exp_f32_e32 v81, v81
	v_cndmask_b32_e32 v76, 0, v70, vcc_lo
	v_exp_f32_e32 v77, v77
	v_cndmask_b32_e64 v80, 0, v69, s2
	v_fma_f32 v69, s18, v129, -v68
	v_cndmask_b32_e64 v85, 0, v72, s4
	v_mul_f32_e32 v71, 0x3fb8aa3b, v71
	v_fma_f32 v72, s18, v100, -v68
	s_delay_alu instid0(VALU_DEP_4) | instskip(SKIP_1) | instid1(VALU_DEP_3)
	v_dual_add_f32 v70, 0, v80 :: v_dual_mul_f32 v69, 0x3fb8aa3b, v69
	s_mov_b32 s2, exec_lo
	v_exp_f32_e32 v71, v71
	s_delay_alu instid0(TRANS32_DEP_2) | instskip(SKIP_4) | instid1(VALU_DEP_3)
	v_cndmask_b32_e64 v86, 0, v77, s5
	v_fma_f32 v77, s18, v101, -v68
	v_mul_f32_e32 v78, 0x3fb8aa3b, v78
	v_add_f32_e32 v70, v70, v76
	v_exp_f32_e32 v69, v69
	v_mul_f32_e32 v77, 0x3fb8aa3b, v77
	s_delay_alu instid0(VALU_DEP_3) | instskip(NEXT) | instid1(TRANS32_DEP_3)
	v_exp_f32_e32 v78, v78
	v_cndmask_b32_e64 v88, 0, v71, s8
	v_fma_f32 v71, s18, v104, -v68
	s_delay_alu instid0(VALU_DEP_3) | instskip(NEXT) | instid1(TRANS32_DEP_3)
	v_exp_f32_e32 v77, v77
	v_cndmask_b32_e64 v87, 0, v69, s6
	s_delay_alu instid0(VALU_DEP_2)
	v_mul_f32_e32 v71, 0x3fb8aa3b, v71
	s_waitcnt_depctr 0xfff
	v_cndmask_b32_e64 v84, 0, v78, s7
	v_add_f32_e32 v70, v70, v83
	v_fma_f32 v78, s18, v103, -v68
	v_exp_f32_e32 v82, v71
	s_delay_alu instid0(VALU_DEP_2) | instskip(SKIP_1) | instid1(VALU_DEP_3)
	v_add_f32_e32 v70, v70, v85
	v_mul_f32_e32 v72, 0x3fb8aa3b, v72
	v_mul_f32_e32 v78, 0x3fb8aa3b, v78
	s_delay_alu instid0(VALU_DEP_3) | instskip(SKIP_1) | instid1(VALU_DEP_4)
	v_add_f32_e32 v69, v70, v86
	v_fma_f32 v70, s18, v102, -v68
	v_exp_f32_e32 v72, v72
	s_delay_alu instid0(VALU_DEP_3) | instskip(NEXT) | instid1(VALU_DEP_1)
	v_exp_f32_e32 v78, v78
	v_dual_add_f32 v69, v69, v87 :: v_dual_mul_f32 v70, 0x3fb8aa3b, v70
	s_delay_alu instid0(VALU_DEP_1) | instskip(NEXT) | instid1(VALU_DEP_2)
	v_add_f32_e32 v69, v69, v84
	v_exp_f32_e32 v79, v70
	s_delay_alu instid0(TRANS32_DEP_3) | instskip(NEXT) | instid1(VALU_DEP_2)
	v_cndmask_b32_e64 v70, 0, v72, s9
	v_add_f32_e32 v72, v69, v88
	v_cndmask_b32_e64 v69, 0, v77, s10
	v_fma_f32 v77, s18, v106, -v68
	s_waitcnt_depctr 0xfff
	v_cndmask_b32_e64 v71, 0, v79, s11
	v_dual_mul_f32 v77, 0x3fb8aa3b, v77 :: v_dual_add_f32 v72, v72, v70
	s_delay_alu instid0(VALU_DEP_1) | instskip(NEXT) | instid1(VALU_DEP_1)
	v_exp_f32_e32 v90, v77
	v_add_f32_e32 v79, v72, v69
	v_cndmask_b32_e64 v72, 0, v78, s12
	v_cndmask_b32_e64 v77, 0, v82, s13
	s_delay_alu instid0(VALU_DEP_3) | instskip(SKIP_1) | instid1(VALU_DEP_1)
	v_add_f32_e32 v78, v79, v71
	v_fma_f32 v79, s18, v107, -v68
	v_dual_add_f32 v82, v78, v72 :: v_dual_mul_f32 v79, 0x3fb8aa3b, v79
	v_cndmask_b32_e64 v78, 0, v81, s15
	s_delay_alu instid0(VALU_DEP_2) | instskip(NEXT) | instid1(VALU_DEP_3)
	v_add_f32_e32 v81, v82, v77
	v_exp_f32_e32 v82, v79
	v_cndmask_b32_e64 v79, 0, v90, s16
	s_delay_alu instid0(VALU_DEP_2) | instskip(NEXT) | instid1(VALU_DEP_1)
	v_add_f32_e32 v81, v81, v78
	v_add_f32_e32 v90, v81, v79
	s_waitcnt_depctr 0xfff
	v_cndmask_b32_e64 v81, 0, v82, s17
	s_delay_alu instid0(VALU_DEP_1)
	v_add_f32_e32 v82, v90, v81
	ds_bpermute_b32 v89, v89, v82
	v_cmpx_gt_u32_e32 16, v67
	s_cbranch_execz .LBB1867_12
; %bb.11:
	v_mul_u32_u24_e32 v67, 0x44, v66
	s_delay_alu instid0(VALU_DEP_1) | instskip(SKIP_1) | instid1(VALU_DEP_1)
	v_lshl_add_u32 v67, v65, 2, v67
	s_waitcnt lgkmcnt(0)
	v_dual_add_f32 v82, v82, v89 :: v_dual_add_nc_u32 v67, 0x4000, v67
	ds_store_2addr_b32 v67, v68, v82 offset1:136
.LBB1867_12:
	s_or_b32 exec_lo, exec_lo, s2
	v_lshlrev_b32_e32 v67, 2, v65
	s_waitcnt lgkmcnt(0)
	s_barrier
	buffer_gl0_inv
	v_cmp_eq_u32_e32 vcc_lo, 1, v66
	v_add_nc_u32_e32 v82, 0x4000, v67
	v_cmp_eq_u32_e64 s2, 2, v66
	v_cmp_eq_u32_e64 s4, 7, v66
	ds_load_2addr_b32 v[89:90], v82 offset1:17
	ds_load_2addr_b32 v[91:92], v82 offset0:34 offset1:51
	ds_load_2addr_b32 v[93:94], v82 offset0:68 offset1:85
	;; [unrolled: 1-line block ×4, first 2 shown]
	s_waitcnt lgkmcnt(4)
	v_max3_f32 v67, v89, 0xff7fffff, v90
	s_waitcnt lgkmcnt(3)
	s_delay_alu instid0(VALU_DEP_1) | instskip(SKIP_1) | instid1(VALU_DEP_1)
	v_max3_f32 v67, v67, v91, v92
	s_waitcnt lgkmcnt(2)
	v_max3_f32 v67, v67, v93, v94
	s_waitcnt lgkmcnt(1)
	s_delay_alu instid0(VALU_DEP_1) | instskip(NEXT) | instid1(VALU_DEP_1)
	v_max3_f32 v67, v67, v95, v96
	v_sub_f32_e32 v93, v93, v67
	s_delay_alu instid0(VALU_DEP_1) | instskip(NEXT) | instid1(VALU_DEP_1)
	v_dual_sub_f32 v68, v89, v67 :: v_dual_mul_f32 v103, 0x3fb8aa3b, v93
	v_mul_f32_e32 v68, 0x3fb8aa3b, v68
	s_delay_alu instid0(VALU_DEP_1)
	v_exp_f32_e32 v100, v68
	v_sub_f32_e32 v68, v92, v67
	v_sub_f32_e32 v99, v90, v67
	ds_load_2addr_b32 v[89:90], v82 offset0:170 offset1:187
	v_dual_mul_f32 v102, 0x3fb8aa3b, v68 :: v_dual_mul_f32 v99, 0x3fb8aa3b, v99
	s_waitcnt lgkmcnt(1)
	v_fma_f32 v68, v100, v97, 0
	s_delay_alu instid0(VALU_DEP_2) | instskip(NEXT) | instid1(VALU_DEP_2)
	v_exp_f32_e32 v102, v102
	v_exp_f32_e32 v99, v99
	s_waitcnt_depctr 0xfff
	v_fmac_f32_e32 v68, v99, v98
	v_sub_f32_e32 v91, v91, v67
	s_delay_alu instid0(VALU_DEP_1)
	v_mul_f32_e32 v101, 0x3fb8aa3b, v91
	ds_load_2addr_b32 v[91:92], v82 offset0:204 offset1:221
	v_sub_f32_e32 v97, v94, v67
	ds_load_2addr_b32 v[93:94], v82 offset0:238 offset1:255
	s_waitcnt lgkmcnt(0)
	v_exp_f32_e32 v101, v101
	s_barrier
	buffer_gl0_inv
	v_dual_fmac_f32 v68, v101, v89 :: v_dual_sub_f32 v89, v96, v67
	v_dual_sub_f32 v82, v95, v67 :: v_dual_mul_f32 v95, 0x3fb8aa3b, v97
	v_exp_f32_e32 v97, v103
	s_delay_alu instid0(VALU_DEP_2) | instskip(NEXT) | instid1(VALU_DEP_2)
	v_dual_fmac_f32 v68, v102, v90 :: v_dual_mul_f32 v89, 0x3fb8aa3b, v89
	v_mul_f32_e32 v82, 0x3fb8aa3b, v82
	s_delay_alu instid0(VALU_DEP_3) | instskip(NEXT) | instid1(VALU_DEP_2)
	v_exp_f32_e32 v95, v95
	v_exp_f32_e32 v89, v89
	s_delay_alu instid0(VALU_DEP_1)
	v_exp_f32_e32 v82, v82
	v_fmac_f32_e32 v68, v97, v91
	s_delay_alu instid0(TRANS32_DEP_3) | instid1(VALU_DEP_1)
	v_fmac_f32_e32 v68, v95, v92
	s_waitcnt_depctr 0xfff
	v_fmac_f32_e32 v68, v82, v93
	s_delay_alu instid0(VALU_DEP_1) | instskip(NEXT) | instid1(VALU_DEP_1)
	v_fmac_f32_e32 v68, v89, v94
	v_add_f32_e32 v90, 0x358637bd, v68
	s_delay_alu instid0(VALU_DEP_1) | instskip(NEXT) | instid1(VALU_DEP_1)
	v_div_scale_f32 v91, null, v90, v90, 1.0
	v_rcp_f32_e32 v92, v91
	s_waitcnt_depctr 0xfff
	v_fma_f32 v93, -v91, v92, 1.0
	s_delay_alu instid0(VALU_DEP_1) | instskip(SKIP_1) | instid1(VALU_DEP_2)
	v_dual_fmac_f32 v92, v93, v92 :: v_dual_cndmask_b32 v93, v100, v99
	v_cmp_eq_u32_e32 vcc_lo, 3, v66
	v_cndmask_b32_e64 v93, v93, v101, s2
	v_cmp_eq_u32_e64 s2, 4, v66
	s_delay_alu instid0(VALU_DEP_2) | instskip(SKIP_1) | instid1(VALU_DEP_2)
	v_cndmask_b32_e32 v93, v93, v102, vcc_lo
	v_cmp_eq_u32_e32 vcc_lo, 5, v66
	v_cndmask_b32_e64 v93, v93, v97, s2
	v_cmp_eq_u32_e64 s2, 6, v66
	s_delay_alu instid0(VALU_DEP_2) | instskip(SKIP_1) | instid1(VALU_DEP_1)
	v_cndmask_b32_e32 v93, v93, v95, vcc_lo
	v_div_scale_f32 v94, s3, 1.0, v90, 1.0
	s_mov_b32 vcc_lo, s3
	s_delay_alu instid0(VALU_DEP_2) | instskip(NEXT) | instid1(VALU_DEP_2)
	v_cndmask_b32_e64 v82, v93, v82, s2
	v_mul_f32_e32 v96, v94, v92
	s_mov_b32 s2, exec_lo
	s_delay_alu instid0(VALU_DEP_2) | instskip(NEXT) | instid1(VALU_DEP_2)
	v_cndmask_b32_e64 v82, v82, v89, s4
	v_fma_f32 v98, -v91, v96, v94
	s_delay_alu instid0(VALU_DEP_1) | instskip(NEXT) | instid1(VALU_DEP_1)
	v_fmac_f32_e32 v96, v98, v92
	v_fma_f32 v91, -v91, v96, v94
	s_delay_alu instid0(VALU_DEP_1) | instskip(NEXT) | instid1(VALU_DEP_1)
	v_div_fmas_f32 v91, v91, v92, v96
	v_div_fixup_f32 v90, v91, v90, 1.0
	s_delay_alu instid0(VALU_DEP_1) | instskip(NEXT) | instid1(VALU_DEP_1)
	v_mul_f32_e32 v82, v82, v90
	v_mul_f32_e32 v87, v82, v87
	;; [unrolled: 1-line block ×7, first 2 shown]
	v_dual_mul_f32 v86, v82, v83 :: v_dual_and_b32 v91, 0x7f800000, v90
	v_mul_f32_e32 v85, v82, v76
                                        ; implicit-def: $vgpr76
	s_delay_alu instid0(VALU_DEP_2)
	v_cmpx_ne_u32_e32 0x7f800000, v91
	s_xor_b32 s2, exec_lo, s2
; %bb.13:
	v_bfe_u32 v76, v90, 16, 1
	s_delay_alu instid0(VALU_DEP_1)
	v_add3_u32 v76, v90, v76, 0x7fff
                                        ; implicit-def: $vgpr90
; %bb.14:
	s_and_not1_saveexec_b32 s2, s2
; %bb.15:
	v_and_b32_e32 v76, 0xffff, v90
	v_or_b32_e32 v83, 0x10000, v90
	s_delay_alu instid0(VALU_DEP_2) | instskip(NEXT) | instid1(VALU_DEP_2)
	v_cmp_eq_u32_e32 vcc_lo, 0, v76
	v_cndmask_b32_e32 v76, v83, v90, vcc_lo
; %bb.16:
	s_or_b32 exec_lo, exec_lo, s2
	v_and_b32_e32 v83, 0x7f800000, v85
	s_delay_alu instid0(VALU_DEP_1) | instskip(SKIP_1) | instid1(SALU_CYCLE_1)
	v_cmp_ne_u32_e32 vcc_lo, 0x7f800000, v83
                                        ; implicit-def: $vgpr83
	s_and_saveexec_b32 s2, vcc_lo
	s_xor_b32 s2, exec_lo, s2
; %bb.17:
	v_bfe_u32 v83, v85, 16, 1
	s_delay_alu instid0(VALU_DEP_1)
	v_add3_u32 v83, v85, v83, 0x7fff
                                        ; implicit-def: $vgpr85
; %bb.18:
	s_and_not1_saveexec_b32 s2, s2
; %bb.19:
	v_and_b32_e32 v83, 0xffff, v85
	v_or_b32_e32 v90, 0x10000, v85
	s_delay_alu instid0(VALU_DEP_2) | instskip(NEXT) | instid1(VALU_DEP_2)
	v_cmp_eq_u32_e32 vcc_lo, 0, v83
	v_cndmask_b32_e32 v83, v90, v85, vcc_lo
; %bb.20:
	s_or_b32 exec_lo, exec_lo, s2
	v_and_b32_e32 v85, 0x7f800000, v86
	s_delay_alu instid0(VALU_DEP_1) | instskip(SKIP_1) | instid1(SALU_CYCLE_1)
	v_cmp_ne_u32_e32 vcc_lo, 0x7f800000, v85
                                        ; implicit-def: $vgpr85
	s_and_saveexec_b32 s2, vcc_lo
	s_xor_b32 s2, exec_lo, s2
; %bb.21:
	v_bfe_u32 v85, v86, 16, 1
	s_delay_alu instid0(VALU_DEP_1)
	v_add3_u32 v85, v86, v85, 0x7fff
                                        ; implicit-def: $vgpr86
; %bb.22:
	s_and_not1_saveexec_b32 s2, s2
; %bb.23:
	v_and_b32_e32 v85, 0xffff, v86
	v_or_b32_e32 v90, 0x10000, v86
	s_delay_alu instid0(VALU_DEP_2) | instskip(NEXT) | instid1(VALU_DEP_2)
	v_cmp_eq_u32_e32 vcc_lo, 0, v85
	v_cndmask_b32_e32 v85, v90, v86, vcc_lo
; %bb.24:
	s_or_b32 exec_lo, exec_lo, s2
	v_and_b32_e32 v86, 0x7f800000, v89
	s_delay_alu instid0(VALU_DEP_1) | instskip(SKIP_1) | instid1(SALU_CYCLE_1)
	v_cmp_ne_u32_e32 vcc_lo, 0x7f800000, v86
                                        ; implicit-def: $vgpr86
	s_and_saveexec_b32 s2, vcc_lo
	s_xor_b32 s2, exec_lo, s2
; %bb.25:
	v_bfe_u32 v86, v89, 16, 1
	s_delay_alu instid0(VALU_DEP_1)
	v_add3_u32 v86, v89, v86, 0x7fff
                                        ; implicit-def: $vgpr89
; %bb.26:
	s_and_not1_saveexec_b32 s2, s2
; %bb.27:
	v_and_b32_e32 v86, 0xffff, v89
	v_or_b32_e32 v90, 0x10000, v89
	s_delay_alu instid0(VALU_DEP_2) | instskip(NEXT) | instid1(VALU_DEP_2)
	v_cmp_eq_u32_e32 vcc_lo, 0, v86
	v_cndmask_b32_e32 v86, v90, v89, vcc_lo
; %bb.28:
	s_or_b32 exec_lo, exec_lo, s2
	v_and_b32_e32 v89, 0x7f800000, v88
	s_delay_alu instid0(VALU_DEP_1) | instskip(SKIP_1) | instid1(SALU_CYCLE_1)
	v_cmp_ne_u32_e32 vcc_lo, 0x7f800000, v89
                                        ; implicit-def: $vgpr89
	s_and_saveexec_b32 s2, vcc_lo
	s_xor_b32 s2, exec_lo, s2
; %bb.29:
	v_bfe_u32 v89, v88, 16, 1
	s_delay_alu instid0(VALU_DEP_1)
	v_add3_u32 v89, v88, v89, 0x7fff
                                        ; implicit-def: $vgpr88
; %bb.30:
	s_and_not1_saveexec_b32 s2, s2
; %bb.31:
	v_and_b32_e32 v89, 0xffff, v88
	v_or_b32_e32 v90, 0x10000, v88
	s_delay_alu instid0(VALU_DEP_2) | instskip(NEXT) | instid1(VALU_DEP_2)
	v_cmp_eq_u32_e32 vcc_lo, 0, v89
	v_cndmask_b32_e32 v89, v90, v88, vcc_lo
; %bb.32:
	s_or_b32 exec_lo, exec_lo, s2
	v_and_b32_e32 v88, 0x7f800000, v87
	s_delay_alu instid0(VALU_DEP_1) | instskip(SKIP_1) | instid1(SALU_CYCLE_1)
	v_cmp_ne_u32_e32 vcc_lo, 0x7f800000, v88
                                        ; implicit-def: $vgpr88
	s_and_saveexec_b32 s2, vcc_lo
	s_xor_b32 s2, exec_lo, s2
; %bb.33:
	v_bfe_u32 v88, v87, 16, 1
	s_delay_alu instid0(VALU_DEP_1)
	v_add3_u32 v88, v87, v88, 0x7fff
                                        ; implicit-def: $vgpr87
; %bb.34:
	s_and_not1_saveexec_b32 s2, s2
; %bb.35:
	v_and_b32_e32 v88, 0xffff, v87
	v_or_b32_e32 v90, 0x10000, v87
	s_delay_alu instid0(VALU_DEP_2) | instskip(NEXT) | instid1(VALU_DEP_2)
	v_cmp_eq_u32_e32 vcc_lo, 0, v88
	v_cndmask_b32_e32 v88, v90, v87, vcc_lo
; %bb.36:
	s_or_b32 exec_lo, exec_lo, s2
	v_and_b32_e32 v87, 0x7f800000, v84
	s_delay_alu instid0(VALU_DEP_1) | instskip(SKIP_1) | instid1(SALU_CYCLE_1)
	v_cmp_ne_u32_e32 vcc_lo, 0x7f800000, v87
                                        ; implicit-def: $vgpr87
	s_and_saveexec_b32 s2, vcc_lo
	s_xor_b32 s2, exec_lo, s2
; %bb.37:
	v_bfe_u32 v87, v84, 16, 1
	s_delay_alu instid0(VALU_DEP_1)
	v_add3_u32 v87, v84, v87, 0x7fff
                                        ; implicit-def: $vgpr84
; %bb.38:
	s_and_not1_saveexec_b32 s2, s2
; %bb.39:
	v_and_b32_e32 v87, 0xffff, v84
	v_or_b32_e32 v90, 0x10000, v84
	s_delay_alu instid0(VALU_DEP_2) | instskip(NEXT) | instid1(VALU_DEP_2)
	v_cmp_eq_u32_e32 vcc_lo, 0, v87
	v_cndmask_b32_e32 v87, v90, v84, vcc_lo
; %bb.40:
	s_or_b32 exec_lo, exec_lo, s2
	v_and_b32_e32 v84, 0x7f800000, v80
	s_delay_alu instid0(VALU_DEP_1) | instskip(SKIP_1) | instid1(SALU_CYCLE_1)
	v_cmp_ne_u32_e32 vcc_lo, 0x7f800000, v84
                                        ; implicit-def: $vgpr84
	s_and_saveexec_b32 s2, vcc_lo
	s_xor_b32 s2, exec_lo, s2
; %bb.41:
	v_bfe_u32 v84, v80, 16, 1
	s_delay_alu instid0(VALU_DEP_1)
	v_add3_u32 v84, v80, v84, 0x7fff
                                        ; implicit-def: $vgpr80
; %bb.42:
	s_and_not1_saveexec_b32 s2, s2
; %bb.43:
	v_and_b32_e32 v84, 0xffff, v80
	v_or_b32_e32 v90, 0x10000, v80
	s_delay_alu instid0(VALU_DEP_2) | instskip(NEXT) | instid1(VALU_DEP_2)
	v_cmp_eq_u32_e32 vcc_lo, 0, v84
	v_cndmask_b32_e32 v84, v90, v80, vcc_lo
; %bb.44:
	s_or_b32 exec_lo, exec_lo, s2
	s_load_b64 s[34:35], s[0:1], 0x94
	v_lshlrev_b32_e32 v91, 4, v74
	s_delay_alu instid0(VALU_DEP_2)
	v_perm_b32 v90, v84, v87, 0x7060302
	v_dual_mul_f32 v79, v82, v79 :: v_dual_lshlrev_b32 v80, 6, v65
	v_dual_mul_f32 v77, v82, v77 :: v_dual_lshlrev_b32 v92, 11, v66
	v_mul_f32_e32 v84, v82, v70
	v_perm_b32 v89, v88, v89, 0x7060302
	v_perm_b32 v88, v86, v85, 0x7060302
	;; [unrolled: 1-line block ×3, first 2 shown]
	v_mul_f32_e32 v70, v82, v81
	v_or3_b32 v76, v91, v92, v80
	v_dual_mul_f32 v78, v82, v78 :: v_dual_and_b32 v85, 0x7f800000, v84
	v_mul_f32_e32 v83, v82, v72
	v_mul_f32_e32 v81, v82, v71
	;; [unrolled: 1-line block ×3, first 2 shown]
	s_mov_b32 s2, exec_lo
	ds_store_b128 v76, v[87:90]
                                        ; implicit-def: $vgpr69
	v_cmpx_ne_u32_e32 0x7f800000, v85
	s_xor_b32 s2, exec_lo, s2
; %bb.45:
	v_bfe_u32 v69, v84, 16, 1
	s_delay_alu instid0(VALU_DEP_1)
	v_add3_u32 v69, v84, v69, 0x7fff
                                        ; implicit-def: $vgpr84
; %bb.46:
	s_and_not1_saveexec_b32 s2, s2
; %bb.47:
	v_and_b32_e32 v69, 0xffff, v84
	v_or_b32_e32 v71, 0x10000, v84
	s_delay_alu instid0(VALU_DEP_2) | instskip(NEXT) | instid1(VALU_DEP_2)
	v_cmp_eq_u32_e32 vcc_lo, 0, v69
	v_cndmask_b32_e32 v69, v71, v84, vcc_lo
; %bb.48:
	s_or_b32 exec_lo, exec_lo, s2
	v_and_b32_e32 v71, 0x7f800000, v72
	s_delay_alu instid0(VALU_DEP_1) | instskip(SKIP_1) | instid1(SALU_CYCLE_1)
	v_cmp_ne_u32_e32 vcc_lo, 0x7f800000, v71
                                        ; implicit-def: $vgpr71
	s_and_saveexec_b32 s2, vcc_lo
	s_xor_b32 s2, exec_lo, s2
; %bb.49:
	v_bfe_u32 v71, v72, 16, 1
	s_delay_alu instid0(VALU_DEP_1)
	v_add3_u32 v71, v72, v71, 0x7fff
                                        ; implicit-def: $vgpr72
; %bb.50:
	s_and_not1_saveexec_b32 s2, s2
; %bb.51:
	v_and_b32_e32 v71, 0xffff, v72
	v_or_b32_e32 v82, 0x10000, v72
	s_delay_alu instid0(VALU_DEP_2) | instskip(NEXT) | instid1(VALU_DEP_2)
	v_cmp_eq_u32_e32 vcc_lo, 0, v71
	v_cndmask_b32_e32 v71, v82, v72, vcc_lo
; %bb.52:
	s_or_b32 exec_lo, exec_lo, s2
	v_and_b32_e32 v72, 0x7f800000, v81
	s_delay_alu instid0(VALU_DEP_1) | instskip(SKIP_1) | instid1(SALU_CYCLE_1)
	v_cmp_ne_u32_e32 vcc_lo, 0x7f800000, v72
                                        ; implicit-def: $vgpr72
	s_and_saveexec_b32 s2, vcc_lo
	s_xor_b32 s2, exec_lo, s2
; %bb.53:
	v_bfe_u32 v72, v81, 16, 1
	s_delay_alu instid0(VALU_DEP_1)
	v_add3_u32 v72, v81, v72, 0x7fff
                                        ; implicit-def: $vgpr81
; %bb.54:
	s_and_not1_saveexec_b32 s2, s2
; %bb.55:
	v_and_b32_e32 v72, 0xffff, v81
	v_or_b32_e32 v82, 0x10000, v81
	s_delay_alu instid0(VALU_DEP_2) | instskip(NEXT) | instid1(VALU_DEP_2)
	v_cmp_eq_u32_e32 vcc_lo, 0, v72
	v_cndmask_b32_e32 v72, v82, v81, vcc_lo
; %bb.56:
	s_or_b32 exec_lo, exec_lo, s2
	v_and_b32_e32 v81, 0x7f800000, v83
	s_delay_alu instid0(VALU_DEP_1) | instskip(SKIP_1) | instid1(SALU_CYCLE_1)
	v_cmp_ne_u32_e32 vcc_lo, 0x7f800000, v81
                                        ; implicit-def: $vgpr81
	s_and_saveexec_b32 s2, vcc_lo
	s_xor_b32 s2, exec_lo, s2
; %bb.57:
	v_bfe_u32 v81, v83, 16, 1
	s_delay_alu instid0(VALU_DEP_1)
	v_add3_u32 v81, v83, v81, 0x7fff
                                        ; implicit-def: $vgpr83
; %bb.58:
	s_and_not1_saveexec_b32 s2, s2
; %bb.59:
	v_and_b32_e32 v81, 0xffff, v83
	v_or_b32_e32 v82, 0x10000, v83
	s_delay_alu instid0(VALU_DEP_2) | instskip(NEXT) | instid1(VALU_DEP_2)
	v_cmp_eq_u32_e32 vcc_lo, 0, v81
	v_cndmask_b32_e32 v81, v82, v83, vcc_lo
; %bb.60:
	s_or_b32 exec_lo, exec_lo, s2
	v_and_b32_e32 v82, 0x7f800000, v77
	s_delay_alu instid0(VALU_DEP_1) | instskip(SKIP_1) | instid1(SALU_CYCLE_1)
	v_cmp_ne_u32_e32 vcc_lo, 0x7f800000, v82
                                        ; implicit-def: $vgpr82
	s_and_saveexec_b32 s2, vcc_lo
	s_xor_b32 s2, exec_lo, s2
; %bb.61:
	v_bfe_u32 v82, v77, 16, 1
	s_delay_alu instid0(VALU_DEP_1)
	v_add3_u32 v82, v77, v82, 0x7fff
                                        ; implicit-def: $vgpr77
; %bb.62:
	s_and_not1_saveexec_b32 s2, s2
; %bb.63:
	v_and_b32_e32 v82, 0xffff, v77
	v_or_b32_e32 v83, 0x10000, v77
	s_delay_alu instid0(VALU_DEP_2) | instskip(NEXT) | instid1(VALU_DEP_2)
	v_cmp_eq_u32_e32 vcc_lo, 0, v82
	v_cndmask_b32_e32 v82, v83, v77, vcc_lo
; %bb.64:
	s_or_b32 exec_lo, exec_lo, s2
	v_and_b32_e32 v77, 0x7f800000, v78
	s_delay_alu instid0(VALU_DEP_1) | instskip(SKIP_1) | instid1(SALU_CYCLE_1)
	v_cmp_ne_u32_e32 vcc_lo, 0x7f800000, v77
                                        ; implicit-def: $vgpr77
	s_and_saveexec_b32 s2, vcc_lo
	s_xor_b32 s2, exec_lo, s2
; %bb.65:
	v_bfe_u32 v77, v78, 16, 1
	s_delay_alu instid0(VALU_DEP_1)
	v_add3_u32 v77, v78, v77, 0x7fff
                                        ; implicit-def: $vgpr78
; %bb.66:
	s_and_not1_saveexec_b32 s2, s2
; %bb.67:
	v_and_b32_e32 v77, 0xffff, v78
	v_or_b32_e32 v83, 0x10000, v78
	s_delay_alu instid0(VALU_DEP_2) | instskip(NEXT) | instid1(VALU_DEP_2)
	v_cmp_eq_u32_e32 vcc_lo, 0, v77
	v_cndmask_b32_e32 v77, v83, v78, vcc_lo
; %bb.68:
	s_or_b32 exec_lo, exec_lo, s2
	v_and_b32_e32 v78, 0x7f800000, v79
	s_delay_alu instid0(VALU_DEP_1) | instskip(SKIP_1) | instid1(SALU_CYCLE_1)
	v_cmp_ne_u32_e32 vcc_lo, 0x7f800000, v78
                                        ; implicit-def: $vgpr78
	s_and_saveexec_b32 s2, vcc_lo
	s_xor_b32 s2, exec_lo, s2
; %bb.69:
	v_bfe_u32 v78, v79, 16, 1
	s_delay_alu instid0(VALU_DEP_1)
	v_add3_u32 v78, v79, v78, 0x7fff
                                        ; implicit-def: $vgpr79
; %bb.70:
	s_and_not1_saveexec_b32 s2, s2
; %bb.71:
	v_and_b32_e32 v78, 0xffff, v79
	v_or_b32_e32 v83, 0x10000, v79
	s_delay_alu instid0(VALU_DEP_2) | instskip(NEXT) | instid1(VALU_DEP_2)
	v_cmp_eq_u32_e32 vcc_lo, 0, v78
	v_cndmask_b32_e32 v78, v83, v79, vcc_lo
; %bb.72:
	s_or_b32 exec_lo, exec_lo, s2
	v_and_b32_e32 v79, 0x7f800000, v70
	s_delay_alu instid0(VALU_DEP_1) | instskip(SKIP_1) | instid1(SALU_CYCLE_1)
	v_cmp_ne_u32_e32 vcc_lo, 0x7f800000, v79
                                        ; implicit-def: $vgpr79
	s_and_saveexec_b32 s2, vcc_lo
	s_xor_b32 s2, exec_lo, s2
; %bb.73:
	v_bfe_u32 v79, v70, 16, 1
	s_delay_alu instid0(VALU_DEP_1)
	v_add3_u32 v79, v70, v79, 0x7fff
                                        ; implicit-def: $vgpr70
; %bb.74:
	s_and_not1_saveexec_b32 s2, s2
; %bb.75:
	v_and_b32_e32 v79, 0xffff, v70
	v_or_b32_e32 v83, 0x10000, v70
	s_delay_alu instid0(VALU_DEP_2) | instskip(NEXT) | instid1(VALU_DEP_2)
	v_cmp_eq_u32_e32 vcc_lo, 0, v79
	v_cndmask_b32_e32 v79, v83, v70, vcc_lo
; %bb.76:
	s_or_b32 exec_lo, exec_lo, s2
	s_delay_alu instid0(VALU_DEP_1)
	v_perm_b32 v86, v79, v78, 0x7060302
	v_perm_b32 v85, v77, v82, 0x7060302
	;; [unrolled: 1-line block ×4, first 2 shown]
	v_lshl_or_b32 v82, v66, 11, v80
	ds_store_b128 v76, v[83:86] offset:1024
	s_waitcnt lgkmcnt(0)
	s_barrier
	buffer_gl0_inv
	ds_load_b128 v[69:72], v82
	ds_load_b128 v[83:86], v82 offset:16
	s_waitcnt lgkmcnt(1)
	v_lshrrev_b32_e32 v66, 16, v69
	s_waitcnt lgkmcnt(0)
	v_lshrrev_b32_e32 v91, 16, v83
	v_lshlrev_b32_e32 v78, 2, v74
	v_lshrrev_b32_e32 v95, 16, v70
	v_lshrrev_b32_e32 v98, 16, v84
	v_lshrrev_b32_e32 v96, 16, v71
	v_lshrrev_b32_e32 v99, 16, v85
	v_cmp_eq_u32_e32 vcc_lo, 1, v78
	v_lshrrev_b32_e32 v97, 16, v72
	v_lshrrev_b32_e32 v100, 16, v86
	v_cndmask_b32_e32 v87, v83, v91, vcc_lo
	v_or_b32_e32 v79, 1, v78
	v_cndmask_b32_e32 v81, v69, v66, vcc_lo
	v_cmp_eq_u32_e64 s3, 2, v78
	v_cmp_eq_u32_e64 s6, 3, v78
	;; [unrolled: 1-line block ×5, first 2 shown]
	v_cndmask_b32_e64 v81, v81, v70, s3
	v_cndmask_b32_e64 v87, v87, v84, s3
	v_cmp_eq_u32_e64 s7, 3, v79
	v_cndmask_b32_e64 v88, v69, v66, s2
	v_or_b32_e32 v77, 2, v78
	v_cndmask_b32_e64 v81, v81, v95, s6
	v_cndmask_b32_e64 v87, v87, v98, s6
	;; [unrolled: 1-line block ×4, first 2 shown]
	v_cmp_eq_u32_e64 s9, 5, v78
	v_cndmask_b32_e64 v81, v81, v71, s8
	v_cndmask_b32_e64 v87, v87, v85, s8
	v_cmp_eq_u32_e64 s10, 4, v79
	v_cndmask_b32_e64 v88, v88, v95, s7
	v_cmp_eq_u32_e64 s4, 1, v77
	v_cndmask_b32_e64 v89, v89, v84, s5
	v_cndmask_b32_e64 v81, v81, v96, s9
	v_cmp_eq_u32_e64 s11, 6, v78
	v_cndmask_b32_e64 v88, v88, v71, s10
	;; [unrolled: 3-line block ×3, first 2 shown]
	v_cndmask_b32_e64 v89, v89, v98, s7
	v_cndmask_b32_e64 v81, v81, v72, s11
	v_cmp_eq_u32_e64 s13, 7, v78
	v_cndmask_b32_e64 v88, v88, v96, s12
	v_cndmask_b32_e64 v87, v87, v86, s11
	v_cmp_eq_u32_e64 s15, 6, v79
	v_cmp_eq_u32_e64 s16, 2, v77
	v_cndmask_b32_e64 v89, v89, v85, s10
	v_cndmask_b32_e64 v101, v81, v97, s13
	;; [unrolled: 1-line block ×6, first 2 shown]
	v_cmp_eq_u32_e64 s17, 7, v79
	v_cmp_eq_u32_e64 s18, 3, v77
	v_cmp_eq_u32_e64 s19, 4, v77
	v_cmp_eq_u32_e64 s21, 5, v77
	v_cndmask_b32_e64 v87, v87, v84, s16
	v_cndmask_b32_e64 v103, v88, v97, s17
	;; [unrolled: 1-line block ×4, first 2 shown]
	v_or_b32_e32 v81, 3, v78
	v_cndmask_b32_e64 v93, v87, v98, s18
	v_cmp_eq_u32_e64 s23, 6, v77
	v_cndmask_b32_e64 v104, v88, v86, s15
	v_cndmask_b32_e64 v92, v89, v71, s19
	v_cmp_eq_u32_e64 s20, 1, v81
	ds_load_b128 v[87:90], v82 offset:1024
	v_cmp_eq_u32_e64 s22, 2, v81
	v_cmp_eq_u32_e64 s24, 3, v81
	v_cndmask_b32_e64 v105, v92, v96, s21
	v_cndmask_b32_e64 v66, v69, v66, s20
	;; [unrolled: 1-line block ×4, first 2 shown]
	ds_load_b128 v[91:94], v82 offset:1040
	v_cmp_eq_u32_e64 s25, 4, v81
	v_cndmask_b32_e64 v66, v66, v70, s22
	v_cmp_eq_u32_e64 s26, 7, v77
	v_cndmask_b32_e64 v70, v83, v84, s22
	v_cndmask_b32_e64 v84, v105, v72, s23
	v_cmp_eq_u32_e64 s27, 5, v81
	v_cndmask_b32_e64 v66, v66, v95, s24
	v_cmp_eq_u32_e64 s28, 6, v81
	v_cndmask_b32_e64 v70, v70, v98, s24
	v_cndmask_b32_e64 v69, v69, v99, s21
	;; [unrolled: 1-line block ×4, first 2 shown]
	s_waitcnt lgkmcnt(1)
	v_lshrrev_b32_e32 v95, 16, v87
	v_cndmask_b32_e64 v70, v70, v85, s25
	v_cndmask_b32_e64 v71, v84, v97, s26
	;; [unrolled: 1-line block ×4, first 2 shown]
	v_cndmask_b32_e32 v84, v87, v95, vcc_lo
	v_cndmask_b32_e64 v70, v70, v99, s27
	s_waitcnt lgkmcnt(0)
	v_lshrrev_b32_e32 v85, 16, v91
	v_lshrrev_b32_e32 v96, 16, v88
	v_cndmask_b32_e64 v98, v87, v95, s2
	v_cndmask_b32_e64 v84, v84, v88, s3
	;; [unrolled: 1-line block ×3, first 2 shown]
	v_cndmask_b32_e32 v99, v91, v85, vcc_lo
	v_cmp_eq_u32_e32 vcc_lo, 7, v81
	v_cndmask_b32_e64 v66, v66, v72, s28
	v_cndmask_b32_e64 v72, v84, v96, s6
	;; [unrolled: 1-line block ×3, first 2 shown]
	v_lshrrev_b32_e32 v98, 16, v92
	v_cndmask_b32_e32 v70, v70, v100, vcc_lo
	v_cndmask_b32_e64 v86, v99, v92, s3
	v_cndmask_b32_e64 v69, v69, v100, s26
	v_lshrrev_b32_e32 v100, 16, v93
	v_cndmask_b32_e64 v72, v72, v89, s8
	v_lshrrev_b32_e32 v99, 16, v89
	v_cndmask_b32_e64 v86, v86, v98, s6
	v_perm_b32 v71, v69, v71, 0x5040100
	v_cndmask_b32_e64 v84, v84, v96, s7
	s_delay_alu instid0(VALU_DEP_3) | instskip(NEXT) | instid1(VALU_DEP_2)
	v_cndmask_b32_e64 v86, v86, v93, s8
	v_cndmask_b32_e64 v84, v84, v89, s10
	s_delay_alu instid0(VALU_DEP_2) | instskip(NEXT) | instid1(VALU_DEP_1)
	v_cndmask_b32_e64 v86, v86, v100, s9
	v_cndmask_b32_e64 v69, v86, v94, s11
	;; [unrolled: 1-line block ×5, first 2 shown]
	s_delay_alu instid0(VALU_DEP_3) | instskip(NEXT) | instid1(VALU_DEP_3)
	v_cndmask_b32_e64 v86, v86, v88, s16
	v_cndmask_b32_e64 v87, v87, v88, s22
	s_delay_alu instid0(VALU_DEP_3) | instskip(NEXT) | instid1(VALU_DEP_3)
	v_cndmask_b32_e64 v88, v95, v92, s22
	v_cndmask_b32_e64 v86, v86, v96, s18
	;; [unrolled: 3-line block ×7, first 2 shown]
	s_delay_alu instid0(VALU_DEP_3) | instskip(SKIP_2) | instid1(VALU_DEP_2)
	v_cndmask_b32_e64 v88, v88, v94, s28
	v_cndmask_b32_e32 v66, v66, v97, vcc_lo
	v_cndmask_b32_e64 v97, v72, v99, s9
	v_perm_b32 v72, v70, v66, 0x5040100
	v_perm_b32 v70, v83, v103, 0x5040100
	v_cndmask_b32_e64 v103, v91, v85, s4
	v_cndmask_b32_e64 v85, v91, v85, s2
	;; [unrolled: 1-line block ×4, first 2 shown]
	v_lshrrev_b32_e32 v97, 16, v90
	v_cndmask_b32_e64 v91, v103, v92, s16
	v_cndmask_b32_e64 v85, v85, v92, s5
	;; [unrolled: 1-line block ×3, first 2 shown]
	s_mov_b32 s2, exec_lo
	v_cndmask_b32_e64 v83, v84, v97, s13
	v_cndmask_b32_e64 v91, v91, v98, s18
	;; [unrolled: 1-line block ×3, first 2 shown]
	v_lshrrev_b32_e32 v84, 16, v94
	v_cndmask_b32_e64 v66, v66, v97, s17
	v_cndmask_b32_e64 v90, v86, v97, s26
	;; [unrolled: 1-line block ×4, first 2 shown]
	v_dual_cndmask_b32 v86, v87, v97 :: v_dual_cndmask_b32 v87, v88, v84
	v_cndmask_b32_e64 v91, v69, v84, s13
	s_delay_alu instid0(VALU_DEP_4) | instskip(NEXT) | instid1(VALU_DEP_4)
	v_cndmask_b32_e64 v89, v89, v100, s21
	v_cndmask_b32_e64 v85, v85, v100, s12
	v_perm_b32 v69, v102, v101, 0x5040100
	v_perm_b32 v86, v87, v86, 0x5040100
	;; [unrolled: 1-line block ×3, first 2 shown]
	v_cndmask_b32_e64 v89, v89, v94, s23
	v_cndmask_b32_e64 v85, v85, v94, s15
	s_mul_i32 s7, s35, 14
	s_delay_alu instid0(VALU_DEP_2) | instskip(NEXT) | instid1(VALU_DEP_2)
	v_cndmask_b32_e64 v88, v89, v84, s26
	v_cndmask_b32_e64 v89, v85, v84, s17
	s_delay_alu instid0(VALU_DEP_2) | instskip(NEXT) | instid1(VALU_DEP_2)
	v_perm_b32 v85, v88, v90, 0x5040100
	v_perm_b32 v84, v89, v66, 0x5040100
	ds_store_b128 v76, v[69:72]
	ds_store_b128 v76, v[83:86] offset:1024
	v_cmpx_gt_u32_e32 14, v0
	s_cbranch_execz .LBB1867_78
; %bb.77:
	s_mul_i32 s3, s7, s30
	s_load_b128 s[8:11], s[0:1], 0x58
	v_add3_u32 v69, s3, s29, v65
	s_delay_alu instid0(VALU_DEP_1) | instskip(NEXT) | instid1(VALU_DEP_1)
	v_mad_u64_u32 v[65:66], null, v69, s34, s[14:15]
	v_ashrrev_i32_e32 v66, 31, v65
	s_delay_alu instid0(VALU_DEP_1) | instskip(SKIP_1) | instid1(VALU_DEP_1)
	v_lshlrev_b64 v[65:66], 2, v[65:66]
	s_waitcnt lgkmcnt(0)
	v_add_co_u32 v69, vcc_lo, s10, v65
	s_delay_alu instid0(VALU_DEP_2)
	v_add_co_ci_u32_e32 v70, vcc_lo, s11, v66, vcc_lo
	v_add_co_u32 v65, vcc_lo, s8, v65
	v_add_co_ci_u32_e32 v66, vcc_lo, s9, v66, vcc_lo
	global_store_b32 v[69:70], v67, off
	global_store_b32 v[65:66], v68, off
.LBB1867_78:
	s_or_b32 exec_lo, exec_lo, s2
	s_waitcnt lgkmcnt(0)
	s_waitcnt_vscnt null, 0x0
	s_barrier
	buffer_gl0_inv
	ds_load_b128 v[83:86], v80
	ds_load_b128 v[87:90], v80 offset:16
	ds_load_b128 v[95:98], v80 offset:2064
	;; [unrolled: 1-line block ×3, first 2 shown]
	v_mov_b32_e32 v65, 0
	ds_load_b128 v[103:106], v80 offset:4112
	ds_load_b128 v[99:102], v80 offset:4096
	;; [unrolled: 1-line block ×4, first 2 shown]
	v_mov_b32_e32 v66, v65
	v_mov_b32_e32 v67, v65
	;; [unrolled: 1-line block ×7, first 2 shown]
	s_waitcnt lgkmcnt(6)
	s_delay_alu instid0(VALU_DEP_1)
	v_wmma_f32_16x16x16_bf16 v[65:72], v[49:56], v[83:90], v[65:72]
	ds_load_b128 v[53:56], v80 offset:8208
	ds_load_b128 v[49:52], v80 offset:8192
	s_waitcnt lgkmcnt(6)
	v_wmma_f32_16x16x16_bf16 v[65:72], v[41:48], v[91:98], v[65:72]
	ds_load_b128 v[45:48], v80 offset:10256
	ds_load_b128 v[41:44], v80 offset:10240
	s_waitcnt lgkmcnt(6)
	;; [unrolled: 4-line block ×4, first 2 shown]
	v_wmma_f32_16x16x16_bf16 v[65:72], v[1:8], v[49:56], v[65:72]
	s_waitcnt lgkmcnt(4)
	s_delay_alu instid0(VALU_DEP_1) | instskip(SKIP_1) | instid1(VALU_DEP_1)
	v_wmma_f32_16x16x16_bf16 v[65:72], v[9:16], v[41:48], v[65:72]
	s_waitcnt lgkmcnt(2)
	v_wmma_f32_16x16x16_bf16 v[65:72], v[17:24], v[33:40], v[65:72]
	s_waitcnt lgkmcnt(0)
	s_delay_alu instid0(VALU_DEP_1) | instskip(NEXT) | instid1(VALU_DEP_1)
	v_wmma_f32_16x16x16_bf16 v[65:72], v[57:64], v[25:32], v[65:72]
	v_and_b32_e32 v1, 0x7f800000, v65
	s_delay_alu instid0(VALU_DEP_1) | instskip(SKIP_1) | instid1(SALU_CYCLE_1)
	v_cmp_ne_u32_e32 vcc_lo, 0x7f800000, v1
                                        ; implicit-def: $vgpr1
	s_and_saveexec_b32 s2, vcc_lo
	s_xor_b32 s2, exec_lo, s2
; %bb.79:
	v_bfe_u32 v1, v65, 16, 1
	s_delay_alu instid0(VALU_DEP_1)
	v_add3_u32 v1, v65, v1, 0x7fff
; %bb.80:
	s_and_not1_saveexec_b32 s2, s2
; %bb.81:
	v_and_b32_e32 v1, 0xffff, v65
	v_or_b32_e32 v2, 0x10000, v65
	s_delay_alu instid0(VALU_DEP_2) | instskip(NEXT) | instid1(VALU_DEP_2)
	v_cmp_eq_u32_e32 vcc_lo, 0, v1
	v_cndmask_b32_e32 v1, v2, v65, vcc_lo
; %bb.82:
	s_or_b32 exec_lo, exec_lo, s2
	v_and_b32_e32 v2, 0x7f800000, v66
	s_delay_alu instid0(VALU_DEP_1) | instskip(SKIP_1) | instid1(SALU_CYCLE_1)
	v_cmp_ne_u32_e32 vcc_lo, 0x7f800000, v2
                                        ; implicit-def: $vgpr2
	s_and_saveexec_b32 s2, vcc_lo
	s_xor_b32 s2, exec_lo, s2
; %bb.83:
	v_bfe_u32 v2, v66, 16, 1
	s_delay_alu instid0(VALU_DEP_1)
	v_add3_u32 v2, v66, v2, 0x7fff
; %bb.84:
	s_and_not1_saveexec_b32 s2, s2
; %bb.85:
	v_and_b32_e32 v2, 0xffff, v66
	v_or_b32_e32 v3, 0x10000, v66
	s_delay_alu instid0(VALU_DEP_2) | instskip(NEXT) | instid1(VALU_DEP_2)
	v_cmp_eq_u32_e32 vcc_lo, 0, v2
	v_cndmask_b32_e32 v2, v3, v66, vcc_lo
; %bb.86:
	s_or_b32 exec_lo, exec_lo, s2
	v_and_b32_e32 v3, 0x7f800000, v67
	s_delay_alu instid0(VALU_DEP_1) | instskip(SKIP_1) | instid1(SALU_CYCLE_1)
	v_cmp_ne_u32_e32 vcc_lo, 0x7f800000, v3
                                        ; implicit-def: $vgpr3
	s_and_saveexec_b32 s2, vcc_lo
	s_xor_b32 s2, exec_lo, s2
; %bb.87:
	v_bfe_u32 v3, v67, 16, 1
	s_delay_alu instid0(VALU_DEP_1)
	v_add3_u32 v3, v67, v3, 0x7fff
; %bb.88:
	s_and_not1_saveexec_b32 s2, s2
; %bb.89:
	v_and_b32_e32 v3, 0xffff, v67
	v_or_b32_e32 v4, 0x10000, v67
	s_delay_alu instid0(VALU_DEP_2) | instskip(NEXT) | instid1(VALU_DEP_2)
	v_cmp_eq_u32_e32 vcc_lo, 0, v3
	v_cndmask_b32_e32 v3, v4, v67, vcc_lo
; %bb.90:
	s_or_b32 exec_lo, exec_lo, s2
	v_and_b32_e32 v4, 0x7f800000, v68
	s_delay_alu instid0(VALU_DEP_1) | instskip(SKIP_1) | instid1(SALU_CYCLE_1)
	v_cmp_ne_u32_e32 vcc_lo, 0x7f800000, v4
                                        ; implicit-def: $vgpr4
	s_and_saveexec_b32 s2, vcc_lo
	s_xor_b32 s2, exec_lo, s2
; %bb.91:
	v_bfe_u32 v4, v68, 16, 1
	s_delay_alu instid0(VALU_DEP_1)
	v_add3_u32 v4, v68, v4, 0x7fff
; %bb.92:
	s_and_not1_saveexec_b32 s2, s2
; %bb.93:
	v_and_b32_e32 v4, 0xffff, v68
	v_or_b32_e32 v5, 0x10000, v68
	s_delay_alu instid0(VALU_DEP_2) | instskip(NEXT) | instid1(VALU_DEP_2)
	v_cmp_eq_u32_e32 vcc_lo, 0, v4
	v_cndmask_b32_e32 v4, v5, v68, vcc_lo
; %bb.94:
	s_or_b32 exec_lo, exec_lo, s2
	v_and_b32_e32 v5, 0x7f800000, v69
	s_delay_alu instid0(VALU_DEP_1) | instskip(SKIP_1) | instid1(SALU_CYCLE_1)
	v_cmp_ne_u32_e32 vcc_lo, 0x7f800000, v5
                                        ; implicit-def: $vgpr5
	s_and_saveexec_b32 s2, vcc_lo
	s_xor_b32 s2, exec_lo, s2
; %bb.95:
	v_bfe_u32 v5, v69, 16, 1
	s_delay_alu instid0(VALU_DEP_1)
	v_add3_u32 v5, v69, v5, 0x7fff
; %bb.96:
	s_and_not1_saveexec_b32 s2, s2
; %bb.97:
	v_and_b32_e32 v5, 0xffff, v69
	v_or_b32_e32 v6, 0x10000, v69
	s_delay_alu instid0(VALU_DEP_2) | instskip(NEXT) | instid1(VALU_DEP_2)
	v_cmp_eq_u32_e32 vcc_lo, 0, v5
	v_cndmask_b32_e32 v5, v6, v69, vcc_lo
; %bb.98:
	s_or_b32 exec_lo, exec_lo, s2
	v_and_b32_e32 v6, 0x7f800000, v70
	s_delay_alu instid0(VALU_DEP_1) | instskip(SKIP_1) | instid1(SALU_CYCLE_1)
	v_cmp_ne_u32_e32 vcc_lo, 0x7f800000, v6
                                        ; implicit-def: $vgpr6
	s_and_saveexec_b32 s2, vcc_lo
	s_xor_b32 s2, exec_lo, s2
; %bb.99:
	v_bfe_u32 v6, v70, 16, 1
	s_delay_alu instid0(VALU_DEP_1)
	v_add3_u32 v6, v70, v6, 0x7fff
; %bb.100:
	s_and_not1_saveexec_b32 s2, s2
; %bb.101:
	v_and_b32_e32 v6, 0xffff, v70
	v_or_b32_e32 v7, 0x10000, v70
	s_delay_alu instid0(VALU_DEP_2) | instskip(NEXT) | instid1(VALU_DEP_2)
	v_cmp_eq_u32_e32 vcc_lo, 0, v6
	v_cndmask_b32_e32 v6, v7, v70, vcc_lo
; %bb.102:
	s_or_b32 exec_lo, exec_lo, s2
	v_and_b32_e32 v7, 0x7f800000, v71
	s_delay_alu instid0(VALU_DEP_1) | instskip(SKIP_1) | instid1(SALU_CYCLE_1)
	v_cmp_ne_u32_e32 vcc_lo, 0x7f800000, v7
                                        ; implicit-def: $vgpr7
	s_and_saveexec_b32 s2, vcc_lo
	s_xor_b32 s2, exec_lo, s2
; %bb.103:
	v_bfe_u32 v7, v71, 16, 1
	s_delay_alu instid0(VALU_DEP_1)
	v_add3_u32 v7, v71, v7, 0x7fff
; %bb.104:
	s_and_not1_saveexec_b32 s2, s2
; %bb.105:
	v_and_b32_e32 v7, 0xffff, v71
	v_or_b32_e32 v8, 0x10000, v71
	s_delay_alu instid0(VALU_DEP_2) | instskip(NEXT) | instid1(VALU_DEP_2)
	v_cmp_eq_u32_e32 vcc_lo, 0, v7
	v_cndmask_b32_e32 v7, v8, v71, vcc_lo
; %bb.106:
	s_or_b32 exec_lo, exec_lo, s2
	v_and_b32_e32 v8, 0x7f800000, v72
	s_delay_alu instid0(VALU_DEP_1) | instskip(SKIP_1) | instid1(SALU_CYCLE_1)
	v_cmp_ne_u32_e32 vcc_lo, 0x7f800000, v8
                                        ; implicit-def: $vgpr8
	s_and_saveexec_b32 s2, vcc_lo
	s_xor_b32 s2, exec_lo, s2
; %bb.107:
	v_bfe_u32 v8, v72, 16, 1
	s_delay_alu instid0(VALU_DEP_1)
	v_add3_u32 v8, v72, v8, 0x7fff
                                        ; implicit-def: $vgpr65_vgpr66_vgpr67_vgpr68_vgpr69_vgpr70_vgpr71_vgpr72
; %bb.108:
	s_and_not1_saveexec_b32 s2, s2
; %bb.109:
	v_and_b32_e32 v8, 0xffff, v72
	v_or_b32_e32 v9, 0x10000, v72
	s_delay_alu instid0(VALU_DEP_2) | instskip(NEXT) | instid1(VALU_DEP_2)
	v_cmp_eq_u32_e32 vcc_lo, 0, v8
	v_cndmask_b32_e32 v8, v9, v72, vcc_lo
; %bb.110:
	s_or_b32 exec_lo, exec_lo, s2
	s_delay_alu instid0(VALU_DEP_1)
	v_perm_b32 v7, v8, v7, 0x7060302
	v_perm_b32 v6, v6, v5, 0x7060302
	;; [unrolled: 1-line block ×4, first 2 shown]
	s_barrier
	buffer_gl0_inv
	v_cmp_eq_u32_e32 vcc_lo, 1, v78
	ds_store_b128 v76, v[4:7]
	s_waitcnt lgkmcnt(0)
	s_barrier
	buffer_gl0_inv
	ds_load_b128 v[1:4], v82
	ds_load_b128 v[5:8], v82 offset:16
	v_cmp_eq_u32_e64 s2, 1, v79
	v_cmp_eq_u32_e64 s3, 2, v78
	;; [unrolled: 1-line block ×5, first 2 shown]
	s_waitcnt lgkmcnt(1)
	v_lshrrev_b32_e32 v9, 16, v1
	s_waitcnt lgkmcnt(0)
	v_lshrrev_b32_e32 v13, 16, v5
	v_lshrrev_b32_e32 v10, 16, v2
	;; [unrolled: 1-line block ×4, first 2 shown]
	v_cndmask_b32_e64 v19, v1, v9, s2
	v_cndmask_b32_e32 v18, v5, v13, vcc_lo
	v_cndmask_b32_e64 v20, v5, v13, s2
	v_cndmask_b32_e32 v17, v1, v9, vcc_lo
	v_cmp_eq_u32_e32 vcc_lo, 2, v79
	v_lshrrev_b32_e32 v15, 16, v7
	v_cmp_eq_u32_e64 s2, 1, v77
	v_lshrrev_b32_e32 v12, 16, v4
	v_lshrrev_b32_e32 v16, 16, v8
	v_cndmask_b32_e32 v20, v20, v6, vcc_lo
	v_cndmask_b32_e64 v17, v17, v2, s3
	v_cndmask_b32_e32 v19, v19, v2, vcc_lo
	v_cndmask_b32_e64 v18, v18, v6, s3
	v_cmp_eq_u32_e32 vcc_lo, 4, v78
	v_cmp_eq_u32_e64 s3, 3, v79
	v_cndmask_b32_e64 v17, v17, v10, s4
	v_cndmask_b32_e64 v21, v1, v9, s2
	v_cndmask_b32_e64 v18, v18, v14, s4
	v_cndmask_b32_e64 v22, v5, v13, s2
	v_cndmask_b32_e64 v19, v19, v10, s3
	v_cndmask_b32_e32 v17, v17, v3, vcc_lo
	v_cndmask_b32_e64 v20, v20, v14, s3
	v_cndmask_b32_e32 v18, v18, v7, vcc_lo
	v_cmp_eq_u32_e32 vcc_lo, 4, v79
	v_cmp_eq_u32_e64 s3, 5, v79
	v_cmp_eq_u32_e64 s2, 2, v81
	v_cndmask_b32_e64 v21, v21, v2, s6
	v_cmp_eq_u32_e64 s4, 5, v78
	v_cndmask_b32_e32 v19, v19, v3, vcc_lo
	v_cndmask_b32_e32 v20, v20, v7, vcc_lo
	v_cmp_eq_u32_e32 vcc_lo, 6, v79
	s_delay_alu instid0(VALU_DEP_4) | instskip(NEXT) | instid1(VALU_DEP_4)
	v_cndmask_b32_e64 v17, v17, v11, s4
	v_cndmask_b32_e64 v19, v19, v11, s3
	s_delay_alu instid0(VALU_DEP_4) | instskip(SKIP_1) | instid1(VALU_DEP_3)
	v_cndmask_b32_e64 v20, v20, v15, s3
	v_cmp_eq_u32_e64 s3, 1, v81
	v_cndmask_b32_e32 v19, v19, v4, vcc_lo
	v_cndmask_b32_e64 v18, v18, v15, s4
	s_delay_alu instid0(VALU_DEP_3)
	v_cndmask_b32_e64 v1, v1, v9, s3
	v_cndmask_b32_e64 v5, v5, v13, s3
	v_cmp_eq_u32_e64 s3, 3, v77
	v_cndmask_b32_e64 v13, v22, v6, s6
	v_cmp_eq_u32_e64 s6, 3, v81
	v_cndmask_b32_e64 v1, v1, v2, s2
	v_cndmask_b32_e64 v2, v5, v6, s2
	;; [unrolled: 1-line block ×3, first 2 shown]
	v_cmp_eq_u32_e64 s2, 4, v77
	v_cndmask_b32_e64 v6, v13, v14, s3
	v_cndmask_b32_e64 v1, v1, v10, s6
	v_cmp_eq_u32_e64 s3, 4, v81
	v_cndmask_b32_e64 v2, v2, v14, s6
	v_cndmask_b32_e64 v5, v9, v3, s2
	;; [unrolled: 3-line block ×3, first 2 shown]
	v_cndmask_b32_e64 v2, v2, v7, s3
	v_cmp_eq_u32_e64 s2, 5, v81
	v_cmp_eq_u32_e64 s4, 6, v78
	v_cndmask_b32_e64 v5, v5, v11, s6
	v_cmp_eq_u32_e64 s3, 6, v77
	v_cndmask_b32_e64 v3, v6, v15, s6
	v_cndmask_b32_e64 v1, v1, v11, s2
	v_cmp_eq_u32_e64 s6, 6, v81
	v_cndmask_b32_e64 v2, v2, v15, s2
	v_cndmask_b32_e64 v17, v17, v4, s4
	v_cndmask_b32_e64 v18, v18, v8, s4
	v_cmp_eq_u32_e64 s4, 7, v78
	v_cndmask_b32_e64 v5, v5, v4, s3
	;; [unrolled: 4-line block ×3, first 2 shown]
	v_cmp_eq_u32_e64 s3, 7, v77
	v_cndmask_b32_e32 v4, v20, v8, vcc_lo
	v_cndmask_b32_e64 v17, v17, v12, s4
	v_cndmask_b32_e64 v19, v19, v12, s5
	;; [unrolled: 1-line block ×8, first 2 shown]
	s_mov_b32 s2, exec_lo
	v_perm_b32 v4, v2, v1, 0x5040100
	v_perm_b32 v3, v3, v5, 0x5040100
	;; [unrolled: 1-line block ×4, first 2 shown]
	ds_store_b128 v76, v[1:4]
	s_waitcnt lgkmcnt(0)
	s_barrier
	buffer_gl0_inv
	v_cmpx_gt_u32_e32 32, v0
	s_cbranch_execz .LBB1867_2
; %bb.111:
	s_load_b64 s[0:1], s[0:1], 0x68
	v_lshlrev_b32_e32 v0, 10, v0
	s_lshl_b32 s4, s34, 7
	v_or_b32_e32 v3, s29, v74
	s_mul_i32 s2, s4, s30
	v_lshlrev_b32_e32 v1, 4, v75
	v_lshlrev_b32_e32 v2, 6, v74
	v_and_b32_e32 v0, 0x3800, v0
	s_mul_i32 s2, s2, s7
	v_mul_lo_u32 v8, v3, s4
	s_ashr_i32 s3, s2, 31
	s_delay_alu instid0(SALU_CYCLE_1)
	s_lshl_b64 s[2:3], s[2:3], 1
	v_or3_b32 v16, v0, v1, v2
	ds_load_b128 v[0:3], v16
	ds_load_b128 v[4:7], v16 offset:128
	v_ashrrev_i32_e32 v9, 31, v8
	s_waitcnt lgkmcnt(0)
	s_add_u32 s2, s0, s2
	s_addc_u32 s3, s1, s3
	s_lshl_b32 s0, s14, 7
	s_delay_alu instid0(SALU_CYCLE_1) | instskip(SKIP_2) | instid1(SALU_CYCLE_1)
	s_ashr_i32 s1, s0, 31
	v_lshlrev_b64 v[9:10], 1, v[8:9]
	s_lshl_b64 s[0:1], s[0:1], 1
	s_add_u32 s0, s2, s0
	s_addc_u32 s1, s3, s1
	s_lshl_b32 s2, s34, 8
	v_add_co_u32 v30, s0, s0, v73
	v_add_nc_u32_e32 v11, s2, v8
	v_add_co_ci_u32_e64 v31, null, s1, 0, s0
	s_delay_alu instid0(VALU_DEP_3) | instskip(NEXT) | instid1(VALU_DEP_3)
	v_add_co_u32 v9, vcc_lo, v30, v9
	v_add_nc_u32_e32 v8, s2, v11
	s_delay_alu instid0(VALU_DEP_3) | instskip(SKIP_1) | instid1(VALU_DEP_3)
	v_add_co_ci_u32_e32 v10, vcc_lo, v31, v10, vcc_lo
	v_ashrrev_i32_e32 v12, 31, v11
	v_add_nc_u32_e32 v13, s2, v8
	global_store_b128 v[9:10], v[0:3], off
	v_ashrrev_i32_e32 v9, 31, v8
	v_lshlrev_b64 v[11:12], 1, v[11:12]
	v_ashrrev_i32_e32 v14, 31, v13
	v_add_nc_u32_e32 v10, s2, v13
	s_delay_alu instid0(VALU_DEP_4) | instskip(NEXT) | instid1(VALU_DEP_4)
	v_lshlrev_b64 v[2:3], 1, v[8:9]
	v_add_co_u32 v0, vcc_lo, v30, v11
	s_delay_alu instid0(VALU_DEP_4)
	v_lshlrev_b64 v[8:9], 1, v[13:14]
	v_add_co_ci_u32_e32 v1, vcc_lo, v31, v12, vcc_lo
	v_ashrrev_i32_e32 v11, 31, v10
	v_add_co_u32 v22, vcc_lo, v30, v2
	v_add_nc_u32_e32 v20, s2, v10
	v_add_co_ci_u32_e32 v23, vcc_lo, v31, v3, vcc_lo
	v_add_co_u32 v24, vcc_lo, v30, v8
	global_store_b128 v[0:1], v[4:7], off
	v_add_co_ci_u32_e32 v25, vcc_lo, v31, v9, vcc_lo
	ds_load_b128 v[0:3], v16 offset:256
	ds_load_b128 v[4:7], v16 offset:384
	v_lshlrev_b64 v[26:27], 1, v[10:11]
	ds_load_b128 v[8:11], v16 offset:512
	ds_load_b128 v[12:15], v16 offset:640
	ds_load_b128 v[16:19], v16 offset:768
	v_add_nc_u32_e32 v28, s2, v20
	v_ashrrev_i32_e32 v21, 31, v20
	v_add_co_u32 v26, vcc_lo, v30, v26
	s_delay_alu instid0(VALU_DEP_3) | instskip(NEXT) | instid1(VALU_DEP_3)
	v_ashrrev_i32_e32 v29, 31, v28
	v_lshlrev_b64 v[20:21], 1, v[20:21]
	v_add_co_ci_u32_e32 v27, vcc_lo, v31, v27, vcc_lo
	s_delay_alu instid0(VALU_DEP_3) | instskip(NEXT) | instid1(VALU_DEP_3)
	v_lshlrev_b64 v[28:29], 1, v[28:29]
	v_add_co_u32 v20, vcc_lo, v30, v20
	s_delay_alu instid0(VALU_DEP_4) | instskip(NEXT) | instid1(VALU_DEP_3)
	v_add_co_ci_u32_e32 v21, vcc_lo, v31, v21, vcc_lo
	v_add_co_u32 v28, vcc_lo, v30, v28
	s_delay_alu instid0(VALU_DEP_4)
	v_add_co_ci_u32_e32 v29, vcc_lo, v31, v29, vcc_lo
	s_waitcnt lgkmcnt(4)
	global_store_b128 v[22:23], v[0:3], off
	s_waitcnt lgkmcnt(3)
	global_store_b128 v[24:25], v[4:7], off
	;; [unrolled: 2-line block ×5, first 2 shown]
	s_nop 0
	s_sendmsg sendmsg(MSG_DEALLOC_VGPRS)
	s_endpgm
	.section	.rodata,"a",@progbits
	.p2align	6, 0x0
	.amdhsa_kernel _Z39paged_attention_ll4mi_QKV_mfma16_kernelI14__hip_bfloat16hLN4vllm18Fp8KVCacheDataTypeE1EhLi32ELi128ELi256ELb1ELi14EL8MFMAType0EEvPKT_PKT0_S9_ifPKiSB_SB_iPKfiiiPfSE_PS4_PT2_iSD_SD_
		.amdhsa_group_segment_fixed_size 17472
		.amdhsa_private_segment_fixed_size 0
		.amdhsa_kernarg_size 400
		.amdhsa_user_sgpr_count 13
		.amdhsa_user_sgpr_dispatch_ptr 0
		.amdhsa_user_sgpr_queue_ptr 0
		.amdhsa_user_sgpr_kernarg_segment_ptr 1
		.amdhsa_user_sgpr_dispatch_id 0
		.amdhsa_user_sgpr_private_segment_size 0
		.amdhsa_wavefront_size32 1
		.amdhsa_uses_dynamic_stack 0
		.amdhsa_enable_private_segment 0
		.amdhsa_system_sgpr_workgroup_id_x 1
		.amdhsa_system_sgpr_workgroup_id_y 1
		.amdhsa_system_sgpr_workgroup_id_z 1
		.amdhsa_system_sgpr_workgroup_info 0
		.amdhsa_system_vgpr_workitem_id 0
		.amdhsa_next_free_vgpr 140
		.amdhsa_next_free_sgpr 36
		.amdhsa_reserve_vcc 1
		.amdhsa_float_round_mode_32 0
		.amdhsa_float_round_mode_16_64 0
		.amdhsa_float_denorm_mode_32 3
		.amdhsa_float_denorm_mode_16_64 3
		.amdhsa_dx10_clamp 1
		.amdhsa_ieee_mode 1
		.amdhsa_fp16_overflow 0
		.amdhsa_workgroup_processor_mode 1
		.amdhsa_memory_ordered 1
		.amdhsa_forward_progress 0
		.amdhsa_shared_vgpr_count 0
		.amdhsa_exception_fp_ieee_invalid_op 0
		.amdhsa_exception_fp_denorm_src 0
		.amdhsa_exception_fp_ieee_div_zero 0
		.amdhsa_exception_fp_ieee_overflow 0
		.amdhsa_exception_fp_ieee_underflow 0
		.amdhsa_exception_fp_ieee_inexact 0
		.amdhsa_exception_int_div_zero 0
	.end_amdhsa_kernel
	.section	.text._Z39paged_attention_ll4mi_QKV_mfma16_kernelI14__hip_bfloat16hLN4vllm18Fp8KVCacheDataTypeE1EhLi32ELi128ELi256ELb1ELi14EL8MFMAType0EEvPKT_PKT0_S9_ifPKiSB_SB_iPKfiiiPfSE_PS4_PT2_iSD_SD_,"axG",@progbits,_Z39paged_attention_ll4mi_QKV_mfma16_kernelI14__hip_bfloat16hLN4vllm18Fp8KVCacheDataTypeE1EhLi32ELi128ELi256ELb1ELi14EL8MFMAType0EEvPKT_PKT0_S9_ifPKiSB_SB_iPKfiiiPfSE_PS4_PT2_iSD_SD_,comdat
.Lfunc_end1867:
	.size	_Z39paged_attention_ll4mi_QKV_mfma16_kernelI14__hip_bfloat16hLN4vllm18Fp8KVCacheDataTypeE1EhLi32ELi128ELi256ELb1ELi14EL8MFMAType0EEvPKT_PKT0_S9_ifPKiSB_SB_iPKfiiiPfSE_PS4_PT2_iSD_SD_, .Lfunc_end1867-_Z39paged_attention_ll4mi_QKV_mfma16_kernelI14__hip_bfloat16hLN4vllm18Fp8KVCacheDataTypeE1EhLi32ELi128ELi256ELb1ELi14EL8MFMAType0EEvPKT_PKT0_S9_ifPKiSB_SB_iPKfiiiPfSE_PS4_PT2_iSD_SD_
                                        ; -- End function
	.section	.AMDGPU.csdata,"",@progbits
; Kernel info:
; codeLenInByte = 9052
; NumSgprs: 38
; NumVgprs: 140
; ScratchSize: 0
; MemoryBound: 0
; FloatMode: 240
; IeeeMode: 1
; LDSByteSize: 17472 bytes/workgroup (compile time only)
; SGPRBlocks: 4
; VGPRBlocks: 17
; NumSGPRsForWavesPerEU: 38
; NumVGPRsForWavesPerEU: 140
; Occupancy: 10
; WaveLimiterHint : 1
; COMPUTE_PGM_RSRC2:SCRATCH_EN: 0
; COMPUTE_PGM_RSRC2:USER_SGPR: 13
; COMPUTE_PGM_RSRC2:TRAP_HANDLER: 0
; COMPUTE_PGM_RSRC2:TGID_X_EN: 1
; COMPUTE_PGM_RSRC2:TGID_Y_EN: 1
; COMPUTE_PGM_RSRC2:TGID_Z_EN: 1
; COMPUTE_PGM_RSRC2:TIDIG_COMP_CNT: 0
	.section	.text._Z39paged_attention_ll4mi_QKV_mfma16_kernelI14__hip_bfloat16hLN4vllm18Fp8KVCacheDataTypeE1EhLi32ELi128ELi256ELb1ELi15EL8MFMAType0EEvPKT_PKT0_S9_ifPKiSB_SB_iPKfiiiPfSE_PS4_PT2_iSD_SD_,"axG",@progbits,_Z39paged_attention_ll4mi_QKV_mfma16_kernelI14__hip_bfloat16hLN4vllm18Fp8KVCacheDataTypeE1EhLi32ELi128ELi256ELb1ELi15EL8MFMAType0EEvPKT_PKT0_S9_ifPKiSB_SB_iPKfiiiPfSE_PS4_PT2_iSD_SD_,comdat
	.protected	_Z39paged_attention_ll4mi_QKV_mfma16_kernelI14__hip_bfloat16hLN4vllm18Fp8KVCacheDataTypeE1EhLi32ELi128ELi256ELb1ELi15EL8MFMAType0EEvPKT_PKT0_S9_ifPKiSB_SB_iPKfiiiPfSE_PS4_PT2_iSD_SD_ ; -- Begin function _Z39paged_attention_ll4mi_QKV_mfma16_kernelI14__hip_bfloat16hLN4vllm18Fp8KVCacheDataTypeE1EhLi32ELi128ELi256ELb1ELi15EL8MFMAType0EEvPKT_PKT0_S9_ifPKiSB_SB_iPKfiiiPfSE_PS4_PT2_iSD_SD_
	.globl	_Z39paged_attention_ll4mi_QKV_mfma16_kernelI14__hip_bfloat16hLN4vllm18Fp8KVCacheDataTypeE1EhLi32ELi128ELi256ELb1ELi15EL8MFMAType0EEvPKT_PKT0_S9_ifPKiSB_SB_iPKfiiiPfSE_PS4_PT2_iSD_SD_
	.p2align	8
	.type	_Z39paged_attention_ll4mi_QKV_mfma16_kernelI14__hip_bfloat16hLN4vllm18Fp8KVCacheDataTypeE1EhLi32ELi128ELi256ELb1ELi15EL8MFMAType0EEvPKT_PKT0_S9_ifPKiSB_SB_iPKfiiiPfSE_PS4_PT2_iSD_SD_,@function
_Z39paged_attention_ll4mi_QKV_mfma16_kernelI14__hip_bfloat16hLN4vllm18Fp8KVCacheDataTypeE1EhLi32ELi128ELi256ELb1ELi15EL8MFMAType0EEvPKT_PKT0_S9_ifPKiSB_SB_iPKfiiiPfSE_PS4_PT2_iSD_SD_: ; @_Z39paged_attention_ll4mi_QKV_mfma16_kernelI14__hip_bfloat16hLN4vllm18Fp8KVCacheDataTypeE1EhLi32ELi128ELi256ELb1ELi15EL8MFMAType0EEvPKT_PKT0_S9_ifPKiSB_SB_iPKfiiiPfSE_PS4_PT2_iSD_SD_
; %bb.0:
	s_load_b64 s[4:5], s[0:1], 0x30
	s_mov_b32 s30, s13
	s_waitcnt lgkmcnt(0)
	s_cmp_lg_u64 s[4:5], 0
	s_cselect_b32 s13, -1, 0
	s_ashr_i32 s31, s30, 31
	s_cmp_eq_u64 s[4:5], 0
	s_cbranch_scc1 .LBB1868_3
; %bb.1:
	s_lshl_b64 s[2:3], s[30:31], 2
	s_delay_alu instid0(SALU_CYCLE_1) | instskip(SKIP_4) | instid1(SALU_CYCLE_1)
	s_add_u32 s2, s4, s2
	s_addc_u32 s3, s5, s3
	s_load_b64 s[2:3], s[2:3], 0x0
	s_waitcnt lgkmcnt(0)
	s_sub_i32 s2, s3, s2
	s_cmp_eq_u32 s2, 1
	s_cselect_b32 s2, -1, 0
	s_delay_alu instid0(SALU_CYCLE_1)
	s_and_not1_b32 vcc_lo, exec_lo, s2
	s_cbranch_vccz .LBB1868_4
.LBB1868_2:
	s_nop 0
	s_sendmsg sendmsg(MSG_DEALLOC_VGPRS)
	s_endpgm
.LBB1868_3:
.LBB1868_4:
	s_load_b64 s[2:3], s[0:1], 0x28
	s_lshl_b64 s[6:7], s[30:31], 2
	s_waitcnt lgkmcnt(0)
	s_add_u32 s2, s2, s6
	s_addc_u32 s3, s3, s7
	s_lshl_b32 s12, s14, 8
	s_load_b32 s17, s[2:3], 0x0
	s_waitcnt lgkmcnt(0)
	s_cmp_ge_i32 s12, s17
	s_cbranch_scc1 .LBB1868_2
; %bb.5:
	s_clause 0x1
	s_load_b128 s[8:11], s[0:1], 0x8
	s_load_b64 s[2:3], s[0:1], 0x20
	s_and_not1_b32 vcc_lo, exec_lo, s13
	s_cbranch_vccnz .LBB1868_7
; %bb.6:
	s_add_u32 s4, s4, s6
	s_addc_u32 s5, s5, s7
	s_load_b32 s13, s[4:5], 0x0
	s_branch .LBB1868_8
.LBB1868_7:
	s_mov_b32 s13, s30
.LBB1868_8:
	s_load_b128 s[4:7], s[0:1], 0x48
	v_and_b32_e32 v65, 15, v0
	v_lshrrev_b32_e32 v66, 5, v0
	v_bfe_u32 v74, v0, 4, 1
	v_and_b32_e32 v67, 31, v0
	v_and_b32_e32 v75, 1, v0
	v_lshlrev_b32_e32 v2, 3, v65
	s_mul_i32 s31, s15, 15
	v_lshl_or_b32 v1, v66, 1, v74
	s_waitcnt lgkmcnt(0)
	s_mov_b32 s7, exec_lo
	v_lshlrev_b32_e32 v73, 1, v2
	s_delay_alu instid0(VALU_DEP_2)
	v_cmpx_gt_u32_e32 15, v1
	s_cbranch_execz .LBB1868_10
; %bb.9:
	s_load_b64 s[18:19], s[0:1], 0x0
	v_add_lshl_u32 v2, v1, s31, 7
	s_mul_hi_i32 s21, s13, s4
	s_mul_i32 s20, s13, s4
	v_lshlrev_b32_e32 v6, 10, v65
	s_lshl_b64 s[20:21], s[20:21], 1
	v_ashrrev_i32_e32 v3, 31, v2
	v_lshlrev_b32_e32 v1, 6, v1
	v_lshlrev_b32_e32 v7, 10, v75
	v_and_b32_e32 v6, 0x3800, v6
	s_delay_alu instid0(VALU_DEP_4) | instskip(NEXT) | instid1(VALU_DEP_2)
	v_lshlrev_b64 v[2:3], 1, v[2:3]
	v_or3_b32 v1, v6, v7, v1
	s_waitcnt lgkmcnt(0)
	s_add_u32 s4, s18, s20
	s_addc_u32 s13, s19, s21
	s_delay_alu instid0(VALU_DEP_2) | instskip(SKIP_1) | instid1(VALU_DEP_2)
	v_add_co_u32 v2, vcc_lo, s4, v2
	v_add_co_ci_u32_e32 v3, vcc_lo, s13, v3, vcc_lo
	v_add_co_u32 v2, vcc_lo, v2, v73
	s_delay_alu instid0(VALU_DEP_2)
	v_add_co_ci_u32_e32 v3, vcc_lo, 0, v3, vcc_lo
	global_load_b128 v[2:5], v[2:3], off
	s_waitcnt vmcnt(0)
	ds_store_b128 v1, v[2:5]
.LBB1868_10:
	s_or_b32 exec_lo, exec_lo, s7
	v_and_b32_e32 v1, 0xef, v0
	s_add_i32 s4, s17, 31
	s_clause 0x1
	s_load_b32 s7, s[0:1], 0x38
	s_load_b32 s18, s[0:1], 0x1c
	s_ashr_i32 s13, s4, 31
	v_add_nc_u32_e32 v1, s12, v1
	s_lshr_b32 s13, s13, 27
	s_waitcnt lgkmcnt(0)
	s_add_i32 s4, s4, s13
	s_barrier
	v_ashrrev_i32_e32 v2, 31, v1
	v_or_b32_e32 v3, 16, v1
	s_ashr_i32 s4, s4, 5
	v_cmp_gt_i32_e32 vcc_lo, s17, v1
	s_add_i32 s4, s4, -1
	v_lshrrev_b32_e32 v2, 27, v2
	buffer_gl0_inv
	s_mul_i32 s15, s15, s6
	v_add_nc_u32_e32 v4, v1, v2
	s_mul_i32 s20, s30, s7
	s_delay_alu instid0(SALU_CYCLE_1) | instskip(NEXT) | instid1(VALU_DEP_1)
	s_ashr_i32 s21, s20, 31
	v_ashrrev_i32_e32 v4, 5, v4
	v_add_nc_u32_e32 v2, v3, v2
	s_lshl_b64 s[20:21], s[20:21], 2
	s_delay_alu instid0(SALU_CYCLE_1) | instskip(NEXT) | instid1(VALU_DEP_2)
	s_add_u32 s13, s2, s20
	v_cndmask_b32_e32 v1, s4, v4, vcc_lo
	s_delay_alu instid0(VALU_DEP_2)
	v_ashrrev_i32_e32 v2, 5, v2
	v_cmp_gt_i32_e32 vcc_lo, s17, v3
	s_addc_u32 s16, s3, s21
	s_ashr_i32 s19, s15, 31
	s_add_u32 s2, s8, s15
	s_addc_u32 s3, s9, s19
	v_cndmask_b32_e32 v3, s4, v2, vcc_lo
	v_ashrrev_i32_e32 v2, 31, v1
	s_lshl_b32 s6, s14, 3
	s_delay_alu instid0(SALU_CYCLE_1) | instskip(NEXT) | instid1(VALU_DEP_2)
	s_ashr_i32 s7, s6, 31
	v_ashrrev_i32_e32 v4, 31, v3
	s_delay_alu instid0(VALU_DEP_2) | instskip(SKIP_1) | instid1(SALU_CYCLE_1)
	v_lshlrev_b64 v[1:2], 2, v[1:2]
	s_lshl_b64 s[6:7], s[6:7], 2
	s_add_u32 s6, s13, s6
	s_delay_alu instid0(VALU_DEP_2) | instskip(SKIP_1) | instid1(VALU_DEP_2)
	v_lshlrev_b64 v[3:4], 2, v[3:4]
	s_addc_u32 s7, s16, s7
	v_add_co_u32 v1, vcc_lo, s13, v1
	v_add_co_ci_u32_e32 v2, vcc_lo, s16, v2, vcc_lo
	s_delay_alu instid0(VALU_DEP_3) | instskip(NEXT) | instid1(VALU_DEP_4)
	v_add_co_u32 v3, vcc_lo, s13, v3
	v_add_co_ci_u32_e32 v4, vcc_lo, s16, v4, vcc_lo
	s_clause 0x1
	global_load_b32 v5, v[1:2], off
	global_load_b32 v6, v[3:4], off
	s_or_b32 s8, s12, 32
	s_delay_alu instid0(SALU_CYCLE_1) | instskip(SKIP_2) | instid1(SALU_CYCLE_1)
	s_ashr_i32 s9, s8, 5
	s_cmp_lt_i32 s8, s17
	s_cselect_b32 s8, s9, s4
	s_ashr_i32 s9, s8, 31
	s_delay_alu instid0(SALU_CYCLE_1) | instskip(NEXT) | instid1(SALU_CYCLE_1)
	s_lshl_b64 s[8:9], s[8:9], 2
	s_add_u32 s8, s13, s8
	s_addc_u32 s9, s16, s9
	s_or_b32 s20, s12, 64
	s_delay_alu instid0(SALU_CYCLE_1) | instskip(SKIP_2) | instid1(SALU_CYCLE_1)
	s_ashr_i32 s21, s20, 5
	s_cmp_lt_i32 s20, s17
	s_cselect_b32 s20, s21, s4
	s_ashr_i32 s21, s20, 31
	s_delay_alu instid0(SALU_CYCLE_1) | instskip(NEXT) | instid1(SALU_CYCLE_1)
	s_lshl_b64 s[20:21], s[20:21], 2
	s_add_u32 s20, s13, s20
	s_addc_u32 s21, s16, s21
	;; [unrolled: 10-line block ×5, first 2 shown]
	s_clause 0x5
	s_load_b32 s28, s[6:7], 0x0
	s_load_b32 s8, s[8:9], 0x0
	;; [unrolled: 1-line block ×6, first 2 shown]
	s_mov_b32 s20, 0
	s_delay_alu instid0(SALU_CYCLE_1)
	s_mov_b32 s21, s20
	s_mov_b32 s22, s20
	;; [unrolled: 1-line block ×7, first 2 shown]
	s_delay_alu instid0(SALU_CYCLE_1)
	v_dual_mov_b32 v107, s27 :: v_dual_mov_b32 v100, s20
	v_mov_b32_e32 v106, s26
	v_dual_mov_b32 v104, s24 :: v_dual_mov_b32 v103, s23
	v_dual_mov_b32 v101, s21 :: v_dual_mov_b32 v102, s22
	s_waitcnt vmcnt(1)
	v_mad_i64_i32 v[1:2], null, v5, s5, s[2:3]
	v_lshlrev_b32_e32 v5, 4, v65
	s_waitcnt vmcnt(0)
	v_mad_i64_i32 v[3:4], null, v6, s5, s[2:3]
	s_or_b32 s2, s12, 0xc0
	s_delay_alu instid0(SALU_CYCLE_1) | instskip(NEXT) | instid1(VALU_DEP_3)
	s_ashr_i32 s3, s2, 5
	v_add_co_u32 v33, vcc_lo, v1, v5
	s_delay_alu instid0(VALU_DEP_4) | instskip(NEXT) | instid1(VALU_DEP_3)
	v_add_co_ci_u32_e32 v34, vcc_lo, 0, v2, vcc_lo
	v_add_co_u32 v35, vcc_lo, v3, v5
	s_delay_alu instid0(VALU_DEP_4)
	v_add_co_ci_u32_e32 v36, vcc_lo, 0, v4, vcc_lo
	s_clause 0xf
	global_load_b128 v[1:4], v[33:34], off
	global_load_b128 v[5:8], v[33:34], off offset:512
	global_load_b128 v[9:12], v[35:36], off offset:256
	;; [unrolled: 1-line block ×15, first 2 shown]
	s_cmp_lt_i32 s2, s17
	v_cmp_ne_u32_e32 vcc_lo, 15, v65
	s_cselect_b32 s2, s3, s4
	v_lshlrev_b32_e32 v34, 5, v65
	s_ashr_i32 s3, s2, 31
	s_delay_alu instid0(SALU_CYCLE_1) | instskip(SKIP_4) | instid1(VALU_DEP_1)
	s_lshl_b64 s[2:3], s[2:3], 2
	v_cndmask_b32_e32 v33, 0, v65, vcc_lo
	s_add_u32 s2, s13, s2
	s_addc_u32 s3, s16, s3
	s_or_b32 s6, s12, 0xe0
	v_dual_mov_b32 v105, s25 :: v_dual_lshlrev_b32 v72, 6, v33
	s_ashr_i32 s7, s6, 5
	s_cmp_lt_i32 s6, s17
	v_lshl_or_b32 v41, v66, 9, v34
	s_cselect_b32 s6, s7, s4
	ds_load_b128 v[33:36], v72
	ds_load_b128 v[37:40], v72 offset:1024
	s_ashr_i32 s7, s6, 31
	ds_load_b128 v[108:111], v72 offset:2048
	ds_load_b128 v[112:115], v72 offset:3072
	s_lshl_b64 s[6:7], s[6:7], 2
	s_load_b32 s4, s[2:3], 0x0
	s_add_u32 s2, s13, s6
	s_addc_u32 s3, s16, s7
	ds_load_b128 v[116:119], v72 offset:4096
	ds_load_b128 v[120:123], v72 offset:5120
	s_load_b32 s2, s[2:3], 0x0
	s_add_u32 s6, s10, s15
	s_addc_u32 s7, s11, s19
	v_add_co_u32 v68, s6, s6, v41
	s_delay_alu instid0(VALU_DEP_1) | instskip(SKIP_1) | instid1(VALU_DEP_1)
	v_add_co_ci_u32_e64 v69, null, s7, 0, s6
	s_waitcnt lgkmcnt(0)
	v_mad_i64_i32 v[41:42], null, s28, s5, v[68:69]
	v_mad_i64_i32 v[70:71], null, s9, s5, v[68:69]
	;; [unrolled: 1-line block ×7, first 2 shown]
	s_clause 0x3
	global_load_b128 v[49:52], v[41:42], off
	global_load_b128 v[53:56], v[41:42], off offset:16
	global_load_b128 v[41:44], v[45:46], off
	global_load_b128 v[45:48], v[45:46], off offset:16
	s_waitcnt vmcnt(18)
	v_wmma_f32_16x16x16_bf16 v[124:131], v[1:8], v[33:40], v[100:107]
	s_waitcnt vmcnt(16)
	v_wmma_f32_16x16x16_bf16 v[100:107], v[9:16], v[33:40], v[100:107]
	s_clause 0x1
	global_load_b128 v[33:36], v[70:71], off
	global_load_b128 v[37:40], v[70:71], off offset:16
	v_mad_i64_i32 v[70:71], null, s2, s5, v[68:69]
	s_waitcnt vmcnt(16)
	v_wmma_f32_16x16x16_bf16 v[124:131], v[17:24], v[108:115], v[124:131]
	s_waitcnt vmcnt(14)
	v_wmma_f32_16x16x16_bf16 v[100:107], v[25:32], v[108:115], v[100:107]
	s_clause 0x7
	global_load_b128 v[25:28], v[132:133], off
	global_load_b128 v[29:32], v[132:133], off offset:16
	global_load_b128 v[1:4], v[134:135], off
	global_load_b128 v[5:8], v[134:135], off offset:16
	;; [unrolled: 2-line block ×4, first 2 shown]
	s_waitcnt vmcnt(20)
	v_wmma_f32_16x16x16_bf16 v[124:131], v[57:64], v[116:123], v[124:131]
	s_clause 0x1
	global_load_b128 v[57:60], v[70:71], off
	global_load_b128 v[61:64], v[70:71], off offset:16
	s_waitcnt vmcnt(20)
	v_wmma_f32_16x16x16_bf16 v[100:107], v[76:83], v[116:123], v[100:107]
	ds_load_b128 v[76:79], v72 offset:6144
	ds_load_b128 v[80:83], v72 offset:7168
	v_and_b32_e32 v68, 0xe0, v0
	v_mbcnt_lo_u32_b32 v69, -1, 0
	s_waitcnt vmcnt(0) lgkmcnt(0)
	s_barrier
	buffer_gl0_inv
	v_add_nc_u32_e32 v68, s12, v68
	v_xor_b32_e32 v70, 16, v69
	s_delay_alu instid0(VALU_DEP_2) | instskip(NEXT) | instid1(VALU_DEP_2)
	v_or_b32_e32 v68, v68, v74
	v_cmp_gt_i32_e32 vcc_lo, 32, v70
	s_delay_alu instid0(VALU_DEP_2)
	v_or_b32_e32 v71, 4, v68
	v_or_b32_e32 v72, 6, v68
	v_cmp_gt_i32_e64 s2, s17, v68
	v_or_b32_e32 v108, 8, v68
	v_wmma_f32_16x16x16_bf16 v[124:131], v[84:91], v[76:83], v[124:131]
	v_cndmask_b32_e32 v69, v69, v70, vcc_lo
	v_or_b32_e32 v70, 2, v68
	v_wmma_f32_16x16x16_bf16 v[100:107], v[92:99], v[76:83], v[100:107]
	v_or_b32_e32 v109, 10, v68
	v_dual_mul_f32 v78, s18, v131 :: v_dual_mul_f32 v83, s18, v126
	v_dual_mul_f32 v92, s18, v125 :: v_dual_mul_f32 v93, s18, v124
	s_delay_alu instid0(VALU_DEP_4) | instskip(SKIP_2) | instid1(VALU_DEP_4)
	v_mul_f32_e32 v94, s18, v107
	v_cmp_gt_i32_e32 vcc_lo, s17, v70
	v_dual_mul_f32 v81, s18, v128 :: v_dual_mul_f32 v82, s18, v127
	v_cndmask_b32_e64 v93, 0xff7fffff, v93, s2
	v_cmp_gt_i32_e64 s3, s17, v71
	v_cndmask_b32_e32 v92, 0xff7fffff, v92, vcc_lo
	v_cmp_gt_i32_e64 s4, s17, v72
	v_or_b32_e32 v84, 12, v68
	v_or_b32_e32 v85, 14, v68
	v_dual_mul_f32 v79, s18, v130 :: v_dual_mul_f32 v80, s18, v129
	v_cndmask_b32_e64 v71, 0xff7fffff, v83, s3
	v_cndmask_b32_e64 v72, 0xff7fffff, v82, s4
	v_max3_f32 v82, v93, 0xff7fffff, v92
	v_cmp_gt_i32_e64 s5, s17, v108
	v_cmp_gt_i32_e64 s6, s17, v109
	v_or_b32_e32 v86, 16, v68
	v_or_b32_e32 v87, 18, v68
	v_max3_f32 v71, v82, v71, v72
	v_cndmask_b32_e64 v81, 0xff7fffff, v81, s5
	v_cndmask_b32_e64 v80, 0xff7fffff, v80, s6
	v_cmp_gt_i32_e64 s7, s17, v84
	v_cmp_gt_i32_e64 s8, s17, v85
	v_or_b32_e32 v88, 20, v68
	v_or_b32_e32 v89, 22, v68
	;; [unrolled: 1-line block ×6, first 2 shown]
	v_dual_mul_f32 v99, s18, v102 :: v_dual_mul_f32 v70, s18, v101
	v_mul_f32_e32 v68, s18, v100
	v_cndmask_b32_e64 v72, 0xff7fffff, v79, s7
	v_cndmask_b32_e64 v78, 0xff7fffff, v78, s8
	v_max3_f32 v71, v71, v81, v80
	v_cmp_gt_i32_e64 s9, s17, v86
	v_cmp_gt_i32_e64 s10, s17, v87
	v_dual_mul_f32 v97, s18, v104 :: v_dual_mul_f32 v98, s18, v103
	s_delay_alu instid0(VALU_DEP_4) | instskip(SKIP_1) | instid1(VALU_DEP_4)
	v_max3_f32 v71, v71, v72, v78
	v_cmp_gt_i32_e64 s11, s17, v88
	v_cndmask_b32_e64 v70, 0xff7fffff, v70, s10
	v_cmp_gt_i32_e64 s12, s17, v89
	v_lshlrev_b32_e32 v89, 2, v69
	v_cndmask_b32_e64 v68, 0xff7fffff, v68, s9
	v_dual_mul_f32 v95, s18, v106 :: v_dual_mul_f32 v96, s18, v105
	v_cndmask_b32_e64 v72, 0xff7fffff, v99, s11
	v_cndmask_b32_e64 v78, 0xff7fffff, v98, s12
	s_delay_alu instid0(VALU_DEP_4)
	v_max3_f32 v68, v71, v68, v70
	v_cmp_gt_i32_e64 s13, s17, v90
	v_cmp_gt_i32_e64 s15, s17, v91
	;; [unrolled: 1-line block ×4, first 2 shown]
	v_max3_f32 v68, v68, v72, v78
	v_cndmask_b32_e64 v70, 0xff7fffff, v97, s13
	v_cndmask_b32_e64 v71, 0xff7fffff, v96, s15
	;; [unrolled: 1-line block ×4, first 2 shown]
	s_delay_alu instid0(VALU_DEP_3) | instskip(NEXT) | instid1(VALU_DEP_1)
	v_max3_f32 v68, v68, v70, v71
	v_max3_f32 v68, v68, v72, v76
	ds_bpermute_b32 v69, v89, v68
	s_waitcnt lgkmcnt(0)
	v_max_f32_e32 v69, v69, v69
	s_delay_alu instid0(VALU_DEP_1) | instskip(NEXT) | instid1(VALU_DEP_1)
	v_max_f32_e32 v68, v68, v69
	v_fma_f32 v71, s18, v126, -v68
	s_delay_alu instid0(VALU_DEP_1)
	v_mul_f32_e32 v71, 0x3fb8aa3b, v71
	v_fma_f32 v69, s18, v124, -v68
	v_fma_f32 v70, s18, v125, -v68
	;; [unrolled: 1-line block ×4, first 2 shown]
	v_exp_f32_e32 v71, v71
	s_delay_alu instid0(VALU_DEP_3) | instskip(SKIP_2) | instid1(VALU_DEP_3)
	v_dual_mul_f32 v69, 0x3fb8aa3b, v69 :: v_dual_mul_f32 v70, 0x3fb8aa3b, v70
	v_fma_f32 v78, s18, v130, -v68
	v_fma_f32 v81, s18, v105, -v68
	v_exp_f32_e32 v69, v69
	s_delay_alu instid0(VALU_DEP_3) | instskip(SKIP_1) | instid1(VALU_DEP_2)
	v_exp_f32_e32 v70, v70
	v_mul_f32_e32 v77, 0x3fb8aa3b, v76
	v_mul_f32_e32 v81, 0x3fb8aa3b, v81
	s_delay_alu instid0(TRANS32_DEP_3) | instskip(SKIP_1) | instid1(VALU_DEP_3)
	v_cndmask_b32_e64 v83, 0, v71, s3
	v_fma_f32 v71, s18, v131, -v68
	v_exp_f32_e32 v81, v81
	s_delay_alu instid0(TRANS32_DEP_3) | instskip(NEXT) | instid1(TRANS32_DEP_2)
	v_cndmask_b32_e64 v80, 0, v69, s2
	v_cndmask_b32_e32 v76, 0, v70, vcc_lo
	v_fma_f32 v69, s18, v129, -v68
	v_mul_f32_e32 v72, 0x3fb8aa3b, v72
	v_exp_f32_e32 v77, v77
	v_dual_add_f32 v70, 0, v80 :: v_dual_mul_f32 v71, 0x3fb8aa3b, v71
	s_delay_alu instid0(VALU_DEP_3) | instskip(NEXT) | instid1(VALU_DEP_3)
	v_mul_f32_e32 v69, 0x3fb8aa3b, v69
	v_exp_f32_e32 v72, v72
	v_cmp_gt_u32_e64 s2, 16, v67
	s_delay_alu instid0(VALU_DEP_3) | instskip(NEXT) | instid1(VALU_DEP_2)
	v_exp_f32_e32 v71, v71
	v_exp_f32_e32 v69, v69
	v_cndmask_b32_e64 v86, 0, v77, s5
	v_fma_f32 v77, s18, v101, -v68
	v_add_f32_e32 v70, v70, v76
	s_delay_alu instid0(TRANS32_DEP_3) | instskip(SKIP_1) | instid1(VALU_DEP_3)
	v_cndmask_b32_e64 v85, 0, v72, s4
	v_fma_f32 v72, s18, v100, -v68
	v_dual_mul_f32 v77, 0x3fb8aa3b, v77 :: v_dual_add_f32 v70, v70, v83
	s_delay_alu instid0(TRANS32_DEP_2) | instskip(SKIP_1) | instid1(TRANS32_DEP_1)
	v_cndmask_b32_e64 v88, 0, v71, s8
	v_fma_f32 v71, s18, v104, -v68
	v_cndmask_b32_e64 v87, 0, v69, s6
	s_delay_alu instid0(VALU_DEP_4) | instskip(NEXT) | instid1(VALU_DEP_2)
	v_exp_f32_e32 v77, v77
	v_dual_add_f32 v70, v70, v85 :: v_dual_mul_f32 v71, 0x3fb8aa3b, v71
	s_delay_alu instid0(VALU_DEP_1) | instskip(SKIP_2) | instid1(VALU_DEP_3)
	v_dual_mul_f32 v72, 0x3fb8aa3b, v72 :: v_dual_add_f32 v69, v70, v86
	v_mul_f32_e32 v78, 0x3fb8aa3b, v78
	v_fma_f32 v70, s18, v102, -v68
	v_exp_f32_e32 v72, v72
	v_exp_f32_e32 v82, v71
	v_add_f32_e32 v69, v69, v87
	v_exp_f32_e32 v78, v78
	v_mul_f32_e32 v70, 0x3fb8aa3b, v70
	s_delay_alu instid0(VALU_DEP_1) | instskip(SKIP_4) | instid1(VALU_DEP_2)
	v_exp_f32_e32 v79, v70
	v_cndmask_b32_e64 v70, 0, v72, s9
	s_waitcnt_depctr 0xfff
	v_cndmask_b32_e64 v84, 0, v78, s7
	v_fma_f32 v78, s18, v103, -v68
	v_add_f32_e32 v69, v69, v84
	v_cndmask_b32_e64 v71, 0, v79, s11
	s_delay_alu instid0(VALU_DEP_2) | instskip(SKIP_2) | instid1(VALU_DEP_1)
	v_add_f32_e32 v72, v69, v88
	v_cndmask_b32_e64 v69, 0, v77, s10
	v_fma_f32 v77, s18, v106, -v68
	v_dual_mul_f32 v77, 0x3fb8aa3b, v77 :: v_dual_add_f32 v72, v72, v70
	v_mul_f32_e32 v78, 0x3fb8aa3b, v78
	s_delay_alu instid0(VALU_DEP_2) | instskip(NEXT) | instid1(VALU_DEP_2)
	v_exp_f32_e32 v90, v77
	v_add_f32_e32 v79, v72, v69
	s_delay_alu instid0(VALU_DEP_2)
	v_exp_f32_e32 v78, v78
	v_cndmask_b32_e64 v77, 0, v82, s13
	s_waitcnt_depctr 0xfff
	v_cndmask_b32_e64 v72, 0, v78, s12
	v_add_f32_e32 v78, v79, v71
	v_fma_f32 v79, s18, v107, -v68
	s_delay_alu instid0(VALU_DEP_1) | instskip(SKIP_1) | instid1(VALU_DEP_2)
	v_dual_add_f32 v82, v78, v72 :: v_dual_mul_f32 v79, 0x3fb8aa3b, v79
	v_cndmask_b32_e64 v78, 0, v81, s15
	v_add_f32_e32 v81, v82, v77
	s_delay_alu instid0(VALU_DEP_3) | instskip(SKIP_1) | instid1(VALU_DEP_2)
	v_exp_f32_e32 v82, v79
	v_cndmask_b32_e64 v79, 0, v90, s16
	v_add_f32_e32 v81, v81, v78
	s_delay_alu instid0(VALU_DEP_1) | instskip(SKIP_2) | instid1(VALU_DEP_1)
	v_add_f32_e32 v90, v81, v79
	s_waitcnt_depctr 0xfff
	v_cndmask_b32_e64 v81, 0, v82, s17
	v_add_f32_e32 v82, v90, v81
	ds_bpermute_b32 v89, v89, v82
	s_and_saveexec_b32 s3, s2
	s_cbranch_execz .LBB1868_12
; %bb.11:
	v_mul_u32_u24_e32 v67, 0x44, v66
	s_delay_alu instid0(VALU_DEP_1) | instskip(SKIP_1) | instid1(VALU_DEP_1)
	v_lshl_add_u32 v67, v65, 2, v67
	s_waitcnt lgkmcnt(0)
	v_dual_add_f32 v82, v82, v89 :: v_dual_add_nc_u32 v67, 0x4000, v67
	ds_store_2addr_b32 v67, v68, v82 offset1:136
.LBB1868_12:
	s_or_b32 exec_lo, exec_lo, s3
	v_lshlrev_b32_e32 v67, 2, v65
	s_waitcnt lgkmcnt(0)
	s_barrier
	buffer_gl0_inv
	v_cmp_eq_u32_e32 vcc_lo, 1, v66
	v_add_nc_u32_e32 v82, 0x4000, v67
	v_cmp_eq_u32_e64 s3, 2, v66
	v_cmp_eq_u32_e64 s5, 7, v66
	ds_load_2addr_b32 v[89:90], v82 offset1:17
	ds_load_2addr_b32 v[91:92], v82 offset0:34 offset1:51
	ds_load_2addr_b32 v[93:94], v82 offset0:68 offset1:85
	;; [unrolled: 1-line block ×4, first 2 shown]
	s_waitcnt lgkmcnt(4)
	v_max3_f32 v67, v89, 0xff7fffff, v90
	s_waitcnt lgkmcnt(3)
	s_delay_alu instid0(VALU_DEP_1) | instskip(SKIP_1) | instid1(VALU_DEP_1)
	v_max3_f32 v67, v67, v91, v92
	s_waitcnt lgkmcnt(2)
	v_max3_f32 v67, v67, v93, v94
	s_waitcnt lgkmcnt(1)
	s_delay_alu instid0(VALU_DEP_1) | instskip(NEXT) | instid1(VALU_DEP_1)
	v_max3_f32 v67, v67, v95, v96
	v_sub_f32_e32 v93, v93, v67
	s_delay_alu instid0(VALU_DEP_1) | instskip(NEXT) | instid1(VALU_DEP_1)
	v_dual_sub_f32 v68, v89, v67 :: v_dual_mul_f32 v103, 0x3fb8aa3b, v93
	v_mul_f32_e32 v68, 0x3fb8aa3b, v68
	s_delay_alu instid0(VALU_DEP_1)
	v_exp_f32_e32 v100, v68
	v_sub_f32_e32 v68, v92, v67
	v_sub_f32_e32 v99, v90, v67
	ds_load_2addr_b32 v[89:90], v82 offset0:170 offset1:187
	v_dual_mul_f32 v102, 0x3fb8aa3b, v68 :: v_dual_mul_f32 v99, 0x3fb8aa3b, v99
	s_waitcnt lgkmcnt(1)
	v_fma_f32 v68, v100, v97, 0
	s_delay_alu instid0(VALU_DEP_2) | instskip(NEXT) | instid1(VALU_DEP_2)
	v_exp_f32_e32 v102, v102
	v_exp_f32_e32 v99, v99
	s_waitcnt_depctr 0xfff
	v_fmac_f32_e32 v68, v99, v98
	v_sub_f32_e32 v91, v91, v67
	s_delay_alu instid0(VALU_DEP_1)
	v_mul_f32_e32 v101, 0x3fb8aa3b, v91
	ds_load_2addr_b32 v[91:92], v82 offset0:204 offset1:221
	v_sub_f32_e32 v97, v94, v67
	ds_load_2addr_b32 v[93:94], v82 offset0:238 offset1:255
	s_waitcnt lgkmcnt(0)
	v_exp_f32_e32 v101, v101
	s_barrier
	buffer_gl0_inv
	v_dual_fmac_f32 v68, v101, v89 :: v_dual_sub_f32 v89, v96, v67
	v_dual_sub_f32 v82, v95, v67 :: v_dual_mul_f32 v95, 0x3fb8aa3b, v97
	v_exp_f32_e32 v97, v103
	s_delay_alu instid0(VALU_DEP_2) | instskip(NEXT) | instid1(VALU_DEP_2)
	v_dual_fmac_f32 v68, v102, v90 :: v_dual_mul_f32 v89, 0x3fb8aa3b, v89
	v_mul_f32_e32 v82, 0x3fb8aa3b, v82
	s_delay_alu instid0(VALU_DEP_3) | instskip(NEXT) | instid1(VALU_DEP_2)
	v_exp_f32_e32 v95, v95
	v_exp_f32_e32 v89, v89
	s_delay_alu instid0(VALU_DEP_1)
	v_exp_f32_e32 v82, v82
	v_fmac_f32_e32 v68, v97, v91
	s_delay_alu instid0(TRANS32_DEP_3) | instid1(VALU_DEP_1)
	v_fmac_f32_e32 v68, v95, v92
	s_waitcnt_depctr 0xfff
	v_fmac_f32_e32 v68, v82, v93
	s_delay_alu instid0(VALU_DEP_1) | instskip(NEXT) | instid1(VALU_DEP_1)
	v_fmac_f32_e32 v68, v89, v94
	v_add_f32_e32 v90, 0x358637bd, v68
	s_delay_alu instid0(VALU_DEP_1) | instskip(NEXT) | instid1(VALU_DEP_1)
	v_div_scale_f32 v91, null, v90, v90, 1.0
	v_rcp_f32_e32 v92, v91
	s_waitcnt_depctr 0xfff
	v_fma_f32 v93, -v91, v92, 1.0
	s_delay_alu instid0(VALU_DEP_1) | instskip(SKIP_1) | instid1(VALU_DEP_2)
	v_dual_fmac_f32 v92, v93, v92 :: v_dual_cndmask_b32 v93, v100, v99
	v_cmp_eq_u32_e32 vcc_lo, 3, v66
	v_cndmask_b32_e64 v93, v93, v101, s3
	v_cmp_eq_u32_e64 s3, 4, v66
	s_delay_alu instid0(VALU_DEP_2) | instskip(SKIP_1) | instid1(VALU_DEP_2)
	v_cndmask_b32_e32 v93, v93, v102, vcc_lo
	v_cmp_eq_u32_e32 vcc_lo, 5, v66
	v_cndmask_b32_e64 v93, v93, v97, s3
	v_cmp_eq_u32_e64 s3, 6, v66
	s_delay_alu instid0(VALU_DEP_2) | instskip(SKIP_1) | instid1(VALU_DEP_1)
	v_cndmask_b32_e32 v93, v93, v95, vcc_lo
	v_div_scale_f32 v94, s4, 1.0, v90, 1.0
	s_mov_b32 vcc_lo, s4
	s_delay_alu instid0(VALU_DEP_2) | instskip(NEXT) | instid1(VALU_DEP_2)
	v_cndmask_b32_e64 v82, v93, v82, s3
	v_mul_f32_e32 v96, v94, v92
	s_mov_b32 s3, exec_lo
	s_delay_alu instid0(VALU_DEP_2) | instskip(NEXT) | instid1(VALU_DEP_2)
	v_cndmask_b32_e64 v82, v82, v89, s5
	v_fma_f32 v98, -v91, v96, v94
	s_delay_alu instid0(VALU_DEP_1) | instskip(NEXT) | instid1(VALU_DEP_1)
	v_fmac_f32_e32 v96, v98, v92
	v_fma_f32 v91, -v91, v96, v94
	s_delay_alu instid0(VALU_DEP_1) | instskip(NEXT) | instid1(VALU_DEP_1)
	v_div_fmas_f32 v91, v91, v92, v96
	v_div_fixup_f32 v90, v91, v90, 1.0
	s_delay_alu instid0(VALU_DEP_1) | instskip(NEXT) | instid1(VALU_DEP_1)
	v_mul_f32_e32 v82, v82, v90
	v_mul_f32_e32 v87, v82, v87
	;; [unrolled: 1-line block ×7, first 2 shown]
	v_dual_mul_f32 v86, v82, v83 :: v_dual_and_b32 v91, 0x7f800000, v90
	v_mul_f32_e32 v85, v82, v76
                                        ; implicit-def: $vgpr76
	s_delay_alu instid0(VALU_DEP_2)
	v_cmpx_ne_u32_e32 0x7f800000, v91
	s_xor_b32 s3, exec_lo, s3
; %bb.13:
	v_bfe_u32 v76, v90, 16, 1
	s_delay_alu instid0(VALU_DEP_1)
	v_add3_u32 v76, v90, v76, 0x7fff
                                        ; implicit-def: $vgpr90
; %bb.14:
	s_and_not1_saveexec_b32 s3, s3
; %bb.15:
	v_and_b32_e32 v76, 0xffff, v90
	v_or_b32_e32 v83, 0x10000, v90
	s_delay_alu instid0(VALU_DEP_2) | instskip(NEXT) | instid1(VALU_DEP_2)
	v_cmp_eq_u32_e32 vcc_lo, 0, v76
	v_cndmask_b32_e32 v76, v83, v90, vcc_lo
; %bb.16:
	s_or_b32 exec_lo, exec_lo, s3
	v_and_b32_e32 v83, 0x7f800000, v85
	s_delay_alu instid0(VALU_DEP_1) | instskip(SKIP_1) | instid1(SALU_CYCLE_1)
	v_cmp_ne_u32_e32 vcc_lo, 0x7f800000, v83
                                        ; implicit-def: $vgpr83
	s_and_saveexec_b32 s3, vcc_lo
	s_xor_b32 s3, exec_lo, s3
; %bb.17:
	v_bfe_u32 v83, v85, 16, 1
	s_delay_alu instid0(VALU_DEP_1)
	v_add3_u32 v83, v85, v83, 0x7fff
                                        ; implicit-def: $vgpr85
; %bb.18:
	s_and_not1_saveexec_b32 s3, s3
; %bb.19:
	v_and_b32_e32 v83, 0xffff, v85
	v_or_b32_e32 v90, 0x10000, v85
	s_delay_alu instid0(VALU_DEP_2) | instskip(NEXT) | instid1(VALU_DEP_2)
	v_cmp_eq_u32_e32 vcc_lo, 0, v83
	v_cndmask_b32_e32 v83, v90, v85, vcc_lo
; %bb.20:
	s_or_b32 exec_lo, exec_lo, s3
	v_and_b32_e32 v85, 0x7f800000, v86
	s_delay_alu instid0(VALU_DEP_1) | instskip(SKIP_1) | instid1(SALU_CYCLE_1)
	v_cmp_ne_u32_e32 vcc_lo, 0x7f800000, v85
                                        ; implicit-def: $vgpr85
	s_and_saveexec_b32 s3, vcc_lo
	s_xor_b32 s3, exec_lo, s3
; %bb.21:
	v_bfe_u32 v85, v86, 16, 1
	s_delay_alu instid0(VALU_DEP_1)
	v_add3_u32 v85, v86, v85, 0x7fff
                                        ; implicit-def: $vgpr86
; %bb.22:
	s_and_not1_saveexec_b32 s3, s3
; %bb.23:
	v_and_b32_e32 v85, 0xffff, v86
	v_or_b32_e32 v90, 0x10000, v86
	s_delay_alu instid0(VALU_DEP_2) | instskip(NEXT) | instid1(VALU_DEP_2)
	v_cmp_eq_u32_e32 vcc_lo, 0, v85
	v_cndmask_b32_e32 v85, v90, v86, vcc_lo
; %bb.24:
	s_or_b32 exec_lo, exec_lo, s3
	v_and_b32_e32 v86, 0x7f800000, v89
	s_delay_alu instid0(VALU_DEP_1) | instskip(SKIP_1) | instid1(SALU_CYCLE_1)
	v_cmp_ne_u32_e32 vcc_lo, 0x7f800000, v86
                                        ; implicit-def: $vgpr86
	s_and_saveexec_b32 s3, vcc_lo
	s_xor_b32 s3, exec_lo, s3
; %bb.25:
	v_bfe_u32 v86, v89, 16, 1
	s_delay_alu instid0(VALU_DEP_1)
	v_add3_u32 v86, v89, v86, 0x7fff
                                        ; implicit-def: $vgpr89
; %bb.26:
	s_and_not1_saveexec_b32 s3, s3
; %bb.27:
	v_and_b32_e32 v86, 0xffff, v89
	v_or_b32_e32 v90, 0x10000, v89
	s_delay_alu instid0(VALU_DEP_2) | instskip(NEXT) | instid1(VALU_DEP_2)
	v_cmp_eq_u32_e32 vcc_lo, 0, v86
	v_cndmask_b32_e32 v86, v90, v89, vcc_lo
; %bb.28:
	s_or_b32 exec_lo, exec_lo, s3
	v_and_b32_e32 v89, 0x7f800000, v88
	s_delay_alu instid0(VALU_DEP_1) | instskip(SKIP_1) | instid1(SALU_CYCLE_1)
	v_cmp_ne_u32_e32 vcc_lo, 0x7f800000, v89
                                        ; implicit-def: $vgpr89
	s_and_saveexec_b32 s3, vcc_lo
	s_xor_b32 s3, exec_lo, s3
; %bb.29:
	v_bfe_u32 v89, v88, 16, 1
	s_delay_alu instid0(VALU_DEP_1)
	v_add3_u32 v89, v88, v89, 0x7fff
                                        ; implicit-def: $vgpr88
; %bb.30:
	s_and_not1_saveexec_b32 s3, s3
; %bb.31:
	v_and_b32_e32 v89, 0xffff, v88
	v_or_b32_e32 v90, 0x10000, v88
	s_delay_alu instid0(VALU_DEP_2) | instskip(NEXT) | instid1(VALU_DEP_2)
	v_cmp_eq_u32_e32 vcc_lo, 0, v89
	v_cndmask_b32_e32 v89, v90, v88, vcc_lo
; %bb.32:
	s_or_b32 exec_lo, exec_lo, s3
	v_and_b32_e32 v88, 0x7f800000, v87
	s_delay_alu instid0(VALU_DEP_1) | instskip(SKIP_1) | instid1(SALU_CYCLE_1)
	v_cmp_ne_u32_e32 vcc_lo, 0x7f800000, v88
                                        ; implicit-def: $vgpr88
	s_and_saveexec_b32 s3, vcc_lo
	s_xor_b32 s3, exec_lo, s3
; %bb.33:
	v_bfe_u32 v88, v87, 16, 1
	s_delay_alu instid0(VALU_DEP_1)
	v_add3_u32 v88, v87, v88, 0x7fff
                                        ; implicit-def: $vgpr87
; %bb.34:
	s_and_not1_saveexec_b32 s3, s3
; %bb.35:
	v_and_b32_e32 v88, 0xffff, v87
	v_or_b32_e32 v90, 0x10000, v87
	s_delay_alu instid0(VALU_DEP_2) | instskip(NEXT) | instid1(VALU_DEP_2)
	v_cmp_eq_u32_e32 vcc_lo, 0, v88
	v_cndmask_b32_e32 v88, v90, v87, vcc_lo
; %bb.36:
	s_or_b32 exec_lo, exec_lo, s3
	v_and_b32_e32 v87, 0x7f800000, v84
	s_delay_alu instid0(VALU_DEP_1) | instskip(SKIP_1) | instid1(SALU_CYCLE_1)
	v_cmp_ne_u32_e32 vcc_lo, 0x7f800000, v87
                                        ; implicit-def: $vgpr87
	s_and_saveexec_b32 s3, vcc_lo
	s_xor_b32 s3, exec_lo, s3
; %bb.37:
	v_bfe_u32 v87, v84, 16, 1
	s_delay_alu instid0(VALU_DEP_1)
	v_add3_u32 v87, v84, v87, 0x7fff
                                        ; implicit-def: $vgpr84
; %bb.38:
	s_and_not1_saveexec_b32 s3, s3
; %bb.39:
	v_and_b32_e32 v87, 0xffff, v84
	v_or_b32_e32 v90, 0x10000, v84
	s_delay_alu instid0(VALU_DEP_2) | instskip(NEXT) | instid1(VALU_DEP_2)
	v_cmp_eq_u32_e32 vcc_lo, 0, v87
	v_cndmask_b32_e32 v87, v90, v84, vcc_lo
; %bb.40:
	s_or_b32 exec_lo, exec_lo, s3
	v_and_b32_e32 v84, 0x7f800000, v80
	s_delay_alu instid0(VALU_DEP_1) | instskip(SKIP_1) | instid1(SALU_CYCLE_1)
	v_cmp_ne_u32_e32 vcc_lo, 0x7f800000, v84
                                        ; implicit-def: $vgpr84
	s_and_saveexec_b32 s3, vcc_lo
	s_xor_b32 s3, exec_lo, s3
; %bb.41:
	v_bfe_u32 v84, v80, 16, 1
	s_delay_alu instid0(VALU_DEP_1)
	v_add3_u32 v84, v80, v84, 0x7fff
                                        ; implicit-def: $vgpr80
; %bb.42:
	s_and_not1_saveexec_b32 s3, s3
; %bb.43:
	v_and_b32_e32 v84, 0xffff, v80
	v_or_b32_e32 v90, 0x10000, v80
	s_delay_alu instid0(VALU_DEP_2) | instskip(NEXT) | instid1(VALU_DEP_2)
	v_cmp_eq_u32_e32 vcc_lo, 0, v84
	v_cndmask_b32_e32 v84, v90, v80, vcc_lo
; %bb.44:
	s_or_b32 exec_lo, exec_lo, s3
	s_load_b64 s[34:35], s[0:1], 0x94
	v_lshlrev_b32_e32 v91, 4, v74
	s_delay_alu instid0(VALU_DEP_2)
	v_perm_b32 v90, v84, v87, 0x7060302
	v_dual_mul_f32 v79, v82, v79 :: v_dual_lshlrev_b32 v80, 6, v65
	v_dual_mul_f32 v77, v82, v77 :: v_dual_lshlrev_b32 v92, 11, v66
	v_mul_f32_e32 v84, v82, v70
	v_perm_b32 v89, v88, v89, 0x7060302
	v_perm_b32 v88, v86, v85, 0x7060302
	;; [unrolled: 1-line block ×3, first 2 shown]
	v_mul_f32_e32 v70, v82, v81
	v_or3_b32 v76, v91, v92, v80
	v_dual_mul_f32 v78, v82, v78 :: v_dual_and_b32 v85, 0x7f800000, v84
	v_mul_f32_e32 v83, v82, v72
	v_mul_f32_e32 v81, v82, v71
	;; [unrolled: 1-line block ×3, first 2 shown]
	s_mov_b32 s3, exec_lo
	ds_store_b128 v76, v[87:90]
                                        ; implicit-def: $vgpr69
	v_cmpx_ne_u32_e32 0x7f800000, v85
	s_xor_b32 s3, exec_lo, s3
; %bb.45:
	v_bfe_u32 v69, v84, 16, 1
	s_delay_alu instid0(VALU_DEP_1)
	v_add3_u32 v69, v84, v69, 0x7fff
                                        ; implicit-def: $vgpr84
; %bb.46:
	s_and_not1_saveexec_b32 s3, s3
; %bb.47:
	v_and_b32_e32 v69, 0xffff, v84
	v_or_b32_e32 v71, 0x10000, v84
	s_delay_alu instid0(VALU_DEP_2) | instskip(NEXT) | instid1(VALU_DEP_2)
	v_cmp_eq_u32_e32 vcc_lo, 0, v69
	v_cndmask_b32_e32 v69, v71, v84, vcc_lo
; %bb.48:
	s_or_b32 exec_lo, exec_lo, s3
	v_and_b32_e32 v71, 0x7f800000, v72
	s_delay_alu instid0(VALU_DEP_1) | instskip(SKIP_1) | instid1(SALU_CYCLE_1)
	v_cmp_ne_u32_e32 vcc_lo, 0x7f800000, v71
                                        ; implicit-def: $vgpr71
	s_and_saveexec_b32 s3, vcc_lo
	s_xor_b32 s3, exec_lo, s3
; %bb.49:
	v_bfe_u32 v71, v72, 16, 1
	s_delay_alu instid0(VALU_DEP_1)
	v_add3_u32 v71, v72, v71, 0x7fff
                                        ; implicit-def: $vgpr72
; %bb.50:
	s_and_not1_saveexec_b32 s3, s3
; %bb.51:
	v_and_b32_e32 v71, 0xffff, v72
	v_or_b32_e32 v82, 0x10000, v72
	s_delay_alu instid0(VALU_DEP_2) | instskip(NEXT) | instid1(VALU_DEP_2)
	v_cmp_eq_u32_e32 vcc_lo, 0, v71
	v_cndmask_b32_e32 v71, v82, v72, vcc_lo
; %bb.52:
	s_or_b32 exec_lo, exec_lo, s3
	v_and_b32_e32 v72, 0x7f800000, v81
	s_delay_alu instid0(VALU_DEP_1) | instskip(SKIP_1) | instid1(SALU_CYCLE_1)
	v_cmp_ne_u32_e32 vcc_lo, 0x7f800000, v72
                                        ; implicit-def: $vgpr72
	s_and_saveexec_b32 s3, vcc_lo
	s_xor_b32 s3, exec_lo, s3
; %bb.53:
	v_bfe_u32 v72, v81, 16, 1
	s_delay_alu instid0(VALU_DEP_1)
	v_add3_u32 v72, v81, v72, 0x7fff
                                        ; implicit-def: $vgpr81
; %bb.54:
	s_and_not1_saveexec_b32 s3, s3
; %bb.55:
	v_and_b32_e32 v72, 0xffff, v81
	v_or_b32_e32 v82, 0x10000, v81
	s_delay_alu instid0(VALU_DEP_2) | instskip(NEXT) | instid1(VALU_DEP_2)
	v_cmp_eq_u32_e32 vcc_lo, 0, v72
	v_cndmask_b32_e32 v72, v82, v81, vcc_lo
; %bb.56:
	s_or_b32 exec_lo, exec_lo, s3
	v_and_b32_e32 v81, 0x7f800000, v83
	s_delay_alu instid0(VALU_DEP_1) | instskip(SKIP_1) | instid1(SALU_CYCLE_1)
	v_cmp_ne_u32_e32 vcc_lo, 0x7f800000, v81
                                        ; implicit-def: $vgpr81
	s_and_saveexec_b32 s3, vcc_lo
	s_xor_b32 s3, exec_lo, s3
; %bb.57:
	v_bfe_u32 v81, v83, 16, 1
	s_delay_alu instid0(VALU_DEP_1)
	v_add3_u32 v81, v83, v81, 0x7fff
                                        ; implicit-def: $vgpr83
; %bb.58:
	s_and_not1_saveexec_b32 s3, s3
; %bb.59:
	v_and_b32_e32 v81, 0xffff, v83
	v_or_b32_e32 v82, 0x10000, v83
	s_delay_alu instid0(VALU_DEP_2) | instskip(NEXT) | instid1(VALU_DEP_2)
	v_cmp_eq_u32_e32 vcc_lo, 0, v81
	v_cndmask_b32_e32 v81, v82, v83, vcc_lo
; %bb.60:
	s_or_b32 exec_lo, exec_lo, s3
	v_and_b32_e32 v82, 0x7f800000, v77
	s_delay_alu instid0(VALU_DEP_1) | instskip(SKIP_1) | instid1(SALU_CYCLE_1)
	v_cmp_ne_u32_e32 vcc_lo, 0x7f800000, v82
                                        ; implicit-def: $vgpr82
	s_and_saveexec_b32 s3, vcc_lo
	s_xor_b32 s3, exec_lo, s3
; %bb.61:
	v_bfe_u32 v82, v77, 16, 1
	s_delay_alu instid0(VALU_DEP_1)
	v_add3_u32 v82, v77, v82, 0x7fff
                                        ; implicit-def: $vgpr77
; %bb.62:
	s_and_not1_saveexec_b32 s3, s3
; %bb.63:
	v_and_b32_e32 v82, 0xffff, v77
	v_or_b32_e32 v83, 0x10000, v77
	s_delay_alu instid0(VALU_DEP_2) | instskip(NEXT) | instid1(VALU_DEP_2)
	v_cmp_eq_u32_e32 vcc_lo, 0, v82
	v_cndmask_b32_e32 v82, v83, v77, vcc_lo
; %bb.64:
	s_or_b32 exec_lo, exec_lo, s3
	v_and_b32_e32 v77, 0x7f800000, v78
	s_delay_alu instid0(VALU_DEP_1) | instskip(SKIP_1) | instid1(SALU_CYCLE_1)
	v_cmp_ne_u32_e32 vcc_lo, 0x7f800000, v77
                                        ; implicit-def: $vgpr77
	s_and_saveexec_b32 s3, vcc_lo
	s_xor_b32 s3, exec_lo, s3
; %bb.65:
	v_bfe_u32 v77, v78, 16, 1
	s_delay_alu instid0(VALU_DEP_1)
	v_add3_u32 v77, v78, v77, 0x7fff
                                        ; implicit-def: $vgpr78
; %bb.66:
	s_and_not1_saveexec_b32 s3, s3
; %bb.67:
	v_and_b32_e32 v77, 0xffff, v78
	v_or_b32_e32 v83, 0x10000, v78
	s_delay_alu instid0(VALU_DEP_2) | instskip(NEXT) | instid1(VALU_DEP_2)
	v_cmp_eq_u32_e32 vcc_lo, 0, v77
	v_cndmask_b32_e32 v77, v83, v78, vcc_lo
; %bb.68:
	s_or_b32 exec_lo, exec_lo, s3
	v_and_b32_e32 v78, 0x7f800000, v79
	s_delay_alu instid0(VALU_DEP_1) | instskip(SKIP_1) | instid1(SALU_CYCLE_1)
	v_cmp_ne_u32_e32 vcc_lo, 0x7f800000, v78
                                        ; implicit-def: $vgpr78
	s_and_saveexec_b32 s3, vcc_lo
	s_xor_b32 s3, exec_lo, s3
; %bb.69:
	v_bfe_u32 v78, v79, 16, 1
	s_delay_alu instid0(VALU_DEP_1)
	v_add3_u32 v78, v79, v78, 0x7fff
                                        ; implicit-def: $vgpr79
; %bb.70:
	s_and_not1_saveexec_b32 s3, s3
; %bb.71:
	v_and_b32_e32 v78, 0xffff, v79
	v_or_b32_e32 v83, 0x10000, v79
	s_delay_alu instid0(VALU_DEP_2) | instskip(NEXT) | instid1(VALU_DEP_2)
	v_cmp_eq_u32_e32 vcc_lo, 0, v78
	v_cndmask_b32_e32 v78, v83, v79, vcc_lo
; %bb.72:
	s_or_b32 exec_lo, exec_lo, s3
	v_and_b32_e32 v79, 0x7f800000, v70
	s_delay_alu instid0(VALU_DEP_1) | instskip(SKIP_1) | instid1(SALU_CYCLE_1)
	v_cmp_ne_u32_e32 vcc_lo, 0x7f800000, v79
                                        ; implicit-def: $vgpr79
	s_and_saveexec_b32 s3, vcc_lo
	s_xor_b32 s3, exec_lo, s3
; %bb.73:
	v_bfe_u32 v79, v70, 16, 1
	s_delay_alu instid0(VALU_DEP_1)
	v_add3_u32 v79, v70, v79, 0x7fff
                                        ; implicit-def: $vgpr70
; %bb.74:
	s_and_not1_saveexec_b32 s3, s3
; %bb.75:
	v_and_b32_e32 v79, 0xffff, v70
	v_or_b32_e32 v83, 0x10000, v70
	s_delay_alu instid0(VALU_DEP_2) | instskip(NEXT) | instid1(VALU_DEP_2)
	v_cmp_eq_u32_e32 vcc_lo, 0, v79
	v_cndmask_b32_e32 v79, v83, v70, vcc_lo
; %bb.76:
	s_or_b32 exec_lo, exec_lo, s3
	s_delay_alu instid0(VALU_DEP_1)
	v_perm_b32 v86, v79, v78, 0x7060302
	v_perm_b32 v85, v77, v82, 0x7060302
	;; [unrolled: 1-line block ×4, first 2 shown]
	v_lshl_or_b32 v82, v66, 11, v80
	ds_store_b128 v76, v[83:86] offset:1024
	s_waitcnt lgkmcnt(0)
	s_barrier
	buffer_gl0_inv
	ds_load_b128 v[69:72], v82
	ds_load_b128 v[83:86], v82 offset:16
	s_waitcnt lgkmcnt(1)
	v_lshrrev_b32_e32 v66, 16, v69
	s_waitcnt lgkmcnt(0)
	v_lshrrev_b32_e32 v91, 16, v83
	v_lshlrev_b32_e32 v78, 2, v74
	v_lshrrev_b32_e32 v95, 16, v70
	v_lshrrev_b32_e32 v98, 16, v84
	;; [unrolled: 1-line block ×4, first 2 shown]
	v_cmp_eq_u32_e32 vcc_lo, 1, v78
	v_lshrrev_b32_e32 v97, 16, v72
	v_lshrrev_b32_e32 v100, 16, v86
	v_cndmask_b32_e32 v87, v83, v91, vcc_lo
	v_or_b32_e32 v79, 1, v78
	v_cndmask_b32_e32 v81, v69, v66, vcc_lo
	v_cmp_eq_u32_e64 s4, 2, v78
	v_cmp_eq_u32_e64 s7, 3, v78
	;; [unrolled: 1-line block ×5, first 2 shown]
	v_cndmask_b32_e64 v81, v81, v70, s4
	v_cndmask_b32_e64 v87, v87, v84, s4
	v_cmp_eq_u32_e64 s8, 3, v79
	v_cndmask_b32_e64 v88, v69, v66, s3
	v_or_b32_e32 v77, 2, v78
	v_cndmask_b32_e64 v81, v81, v95, s7
	v_cndmask_b32_e64 v87, v87, v98, s7
	;; [unrolled: 1-line block ×4, first 2 shown]
	v_cmp_eq_u32_e64 s10, 5, v78
	v_cndmask_b32_e64 v81, v81, v71, s9
	v_cndmask_b32_e64 v87, v87, v85, s9
	v_cmp_eq_u32_e64 s11, 4, v79
	v_cndmask_b32_e64 v88, v88, v95, s8
	v_cmp_eq_u32_e64 s5, 1, v77
	v_cndmask_b32_e64 v89, v89, v84, s6
	v_cndmask_b32_e64 v81, v81, v96, s10
	v_cmp_eq_u32_e64 s12, 6, v78
	v_cndmask_b32_e64 v88, v88, v71, s11
	;; [unrolled: 3-line block ×3, first 2 shown]
	v_cndmask_b32_e64 v89, v89, v98, s8
	v_cndmask_b32_e64 v81, v81, v72, s12
	v_cmp_eq_u32_e64 s15, 7, v78
	v_cndmask_b32_e64 v88, v88, v96, s13
	v_cndmask_b32_e64 v87, v87, v86, s12
	v_cmp_eq_u32_e64 s16, 6, v79
	v_cmp_eq_u32_e64 s17, 2, v77
	v_cndmask_b32_e64 v89, v89, v85, s11
	v_cndmask_b32_e64 v101, v81, v97, s15
	;; [unrolled: 1-line block ×6, first 2 shown]
	v_cmp_eq_u32_e64 s18, 7, v79
	v_cmp_eq_u32_e64 s19, 3, v77
	;; [unrolled: 1-line block ×4, first 2 shown]
	v_cndmask_b32_e64 v87, v87, v84, s17
	v_cndmask_b32_e64 v103, v88, v97, s18
	;; [unrolled: 1-line block ×4, first 2 shown]
	v_or_b32_e32 v81, 3, v78
	v_cndmask_b32_e64 v93, v87, v98, s19
	v_cmp_eq_u32_e64 s24, 6, v77
	v_cndmask_b32_e64 v104, v88, v86, s16
	v_cndmask_b32_e64 v92, v89, v71, s20
	v_cmp_eq_u32_e64 s21, 1, v81
	ds_load_b128 v[87:90], v82 offset:1024
	v_cmp_eq_u32_e64 s23, 2, v81
	v_cmp_eq_u32_e64 s25, 3, v81
	v_cndmask_b32_e64 v105, v92, v96, s22
	v_cndmask_b32_e64 v66, v69, v66, s21
	;; [unrolled: 1-line block ×4, first 2 shown]
	ds_load_b128 v[91:94], v82 offset:1040
	v_cmp_eq_u32_e64 s26, 4, v81
	v_cndmask_b32_e64 v66, v66, v70, s23
	v_cmp_eq_u32_e64 s27, 7, v77
	v_cndmask_b32_e64 v70, v83, v84, s23
	v_cndmask_b32_e64 v84, v105, v72, s24
	v_cmp_eq_u32_e64 s28, 5, v81
	v_cndmask_b32_e64 v66, v66, v95, s25
	v_cmp_eq_u32_e64 s29, 6, v81
	v_cndmask_b32_e64 v70, v70, v98, s25
	v_cndmask_b32_e64 v69, v69, v99, s22
	;; [unrolled: 1-line block ×4, first 2 shown]
	s_waitcnt lgkmcnt(1)
	v_lshrrev_b32_e32 v95, 16, v87
	v_cndmask_b32_e64 v70, v70, v85, s26
	v_cndmask_b32_e64 v71, v84, v97, s27
	v_cndmask_b32_e64 v69, v69, v86, s24
	v_cndmask_b32_e64 v66, v66, v96, s28
	v_cndmask_b32_e32 v84, v87, v95, vcc_lo
	v_cndmask_b32_e64 v70, v70, v99, s28
	s_waitcnt lgkmcnt(0)
	v_lshrrev_b32_e32 v85, 16, v91
	v_lshrrev_b32_e32 v96, 16, v88
	v_cndmask_b32_e64 v98, v87, v95, s3
	v_cndmask_b32_e64 v84, v84, v88, s4
	;; [unrolled: 1-line block ×3, first 2 shown]
	v_cndmask_b32_e32 v99, v91, v85, vcc_lo
	v_cmp_eq_u32_e32 vcc_lo, 7, v81
	v_cndmask_b32_e64 v66, v66, v72, s29
	v_cndmask_b32_e64 v72, v84, v96, s7
	;; [unrolled: 1-line block ×3, first 2 shown]
	v_lshrrev_b32_e32 v98, 16, v92
	v_cndmask_b32_e32 v70, v70, v100, vcc_lo
	v_cndmask_b32_e64 v86, v99, v92, s4
	v_cndmask_b32_e64 v69, v69, v100, s27
	v_lshrrev_b32_e32 v100, 16, v93
	v_cndmask_b32_e64 v72, v72, v89, s9
	v_lshrrev_b32_e32 v99, 16, v89
	v_cndmask_b32_e64 v86, v86, v98, s7
	v_perm_b32 v71, v69, v71, 0x5040100
	v_cndmask_b32_e64 v84, v84, v96, s8
	s_delay_alu instid0(VALU_DEP_3) | instskip(NEXT) | instid1(VALU_DEP_2)
	v_cndmask_b32_e64 v86, v86, v93, s9
	v_cndmask_b32_e64 v84, v84, v89, s11
	s_delay_alu instid0(VALU_DEP_2) | instskip(NEXT) | instid1(VALU_DEP_1)
	v_cndmask_b32_e64 v86, v86, v100, s10
	v_cndmask_b32_e64 v69, v86, v94, s12
	;; [unrolled: 1-line block ×5, first 2 shown]
	s_delay_alu instid0(VALU_DEP_3) | instskip(NEXT) | instid1(VALU_DEP_3)
	v_cndmask_b32_e64 v86, v86, v88, s17
	v_cndmask_b32_e64 v87, v87, v88, s23
	s_delay_alu instid0(VALU_DEP_3) | instskip(NEXT) | instid1(VALU_DEP_3)
	v_cndmask_b32_e64 v88, v95, v92, s23
	v_cndmask_b32_e64 v86, v86, v96, s19
	;; [unrolled: 3-line block ×7, first 2 shown]
	s_delay_alu instid0(VALU_DEP_3) | instskip(SKIP_2) | instid1(VALU_DEP_2)
	v_cndmask_b32_e64 v88, v88, v94, s29
	v_cndmask_b32_e32 v66, v66, v97, vcc_lo
	v_cndmask_b32_e64 v97, v72, v99, s10
	v_perm_b32 v72, v70, v66, 0x5040100
	v_perm_b32 v70, v83, v103, 0x5040100
	v_cndmask_b32_e64 v103, v91, v85, s5
	v_cndmask_b32_e64 v85, v91, v85, s3
	;; [unrolled: 1-line block ×4, first 2 shown]
	v_lshrrev_b32_e32 v97, 16, v90
	v_cndmask_b32_e64 v91, v103, v92, s17
	v_cndmask_b32_e64 v85, v85, v92, s6
	;; [unrolled: 1-line block ×3, first 2 shown]
	s_mov_b32 s3, exec_lo
	v_cndmask_b32_e64 v83, v84, v97, s15
	v_cndmask_b32_e64 v91, v91, v98, s19
	;; [unrolled: 1-line block ×3, first 2 shown]
	v_lshrrev_b32_e32 v84, 16, v94
	v_cndmask_b32_e64 v66, v66, v97, s18
	v_cndmask_b32_e64 v90, v86, v97, s27
	v_cndmask_b32_e64 v89, v91, v93, s20
	v_cndmask_b32_e64 v85, v85, v93, s11
	v_dual_cndmask_b32 v86, v87, v97 :: v_dual_cndmask_b32 v87, v88, v84
	v_cndmask_b32_e64 v91, v69, v84, s15
	s_delay_alu instid0(VALU_DEP_4) | instskip(NEXT) | instid1(VALU_DEP_4)
	v_cndmask_b32_e64 v89, v89, v100, s22
	v_cndmask_b32_e64 v85, v85, v100, s13
	v_perm_b32 v69, v102, v101, 0x5040100
	v_perm_b32 v86, v87, v86, 0x5040100
	;; [unrolled: 1-line block ×3, first 2 shown]
	v_cndmask_b32_e64 v89, v89, v94, s24
	v_cndmask_b32_e64 v85, v85, v94, s16
	s_mul_i32 s8, s35, 15
	s_delay_alu instid0(VALU_DEP_2) | instskip(NEXT) | instid1(VALU_DEP_2)
	v_cndmask_b32_e64 v88, v89, v84, s27
	v_cndmask_b32_e64 v89, v85, v84, s18
	s_delay_alu instid0(VALU_DEP_2) | instskip(NEXT) | instid1(VALU_DEP_2)
	v_perm_b32 v85, v88, v90, 0x5040100
	v_perm_b32 v84, v89, v66, 0x5040100
	ds_store_b128 v76, v[69:72]
	ds_store_b128 v76, v[83:86] offset:1024
	v_cmpx_gt_u32_e32 15, v0
	s_cbranch_execz .LBB1868_78
; %bb.77:
	s_mul_i32 s4, s8, s30
	s_delay_alu instid0(SALU_CYCLE_1) | instskip(SKIP_1) | instid1(VALU_DEP_1)
	v_add3_u32 v69, s4, s31, v65
	s_load_b128 s[4:7], s[0:1], 0x58
	v_mad_u64_u32 v[65:66], null, v69, s34, s[14:15]
	s_delay_alu instid0(VALU_DEP_1) | instskip(NEXT) | instid1(VALU_DEP_1)
	v_ashrrev_i32_e32 v66, 31, v65
	v_lshlrev_b64 v[65:66], 2, v[65:66]
	s_waitcnt lgkmcnt(0)
	s_delay_alu instid0(VALU_DEP_1) | instskip(NEXT) | instid1(VALU_DEP_2)
	v_add_co_u32 v69, vcc_lo, s6, v65
	v_add_co_ci_u32_e32 v70, vcc_lo, s7, v66, vcc_lo
	v_add_co_u32 v65, vcc_lo, s4, v65
	v_add_co_ci_u32_e32 v66, vcc_lo, s5, v66, vcc_lo
	global_store_b32 v[69:70], v67, off
	global_store_b32 v[65:66], v68, off
.LBB1868_78:
	s_or_b32 exec_lo, exec_lo, s3
	s_waitcnt lgkmcnt(0)
	s_waitcnt_vscnt null, 0x0
	s_barrier
	buffer_gl0_inv
	ds_load_b128 v[83:86], v80
	ds_load_b128 v[87:90], v80 offset:16
	ds_load_b128 v[95:98], v80 offset:2064
	;; [unrolled: 1-line block ×3, first 2 shown]
	v_mov_b32_e32 v65, 0
	ds_load_b128 v[103:106], v80 offset:4112
	ds_load_b128 v[99:102], v80 offset:4096
	;; [unrolled: 1-line block ×4, first 2 shown]
	v_mov_b32_e32 v66, v65
	v_mov_b32_e32 v67, v65
	;; [unrolled: 1-line block ×7, first 2 shown]
	s_waitcnt lgkmcnt(6)
	s_delay_alu instid0(VALU_DEP_1)
	v_wmma_f32_16x16x16_bf16 v[65:72], v[49:56], v[83:90], v[65:72]
	ds_load_b128 v[53:56], v80 offset:8208
	ds_load_b128 v[49:52], v80 offset:8192
	s_waitcnt lgkmcnt(6)
	v_wmma_f32_16x16x16_bf16 v[65:72], v[41:48], v[91:98], v[65:72]
	ds_load_b128 v[45:48], v80 offset:10256
	ds_load_b128 v[41:44], v80 offset:10240
	s_waitcnt lgkmcnt(6)
	;; [unrolled: 4-line block ×4, first 2 shown]
	v_wmma_f32_16x16x16_bf16 v[65:72], v[1:8], v[49:56], v[65:72]
	s_waitcnt lgkmcnt(4)
	s_delay_alu instid0(VALU_DEP_1) | instskip(SKIP_1) | instid1(VALU_DEP_1)
	v_wmma_f32_16x16x16_bf16 v[65:72], v[9:16], v[41:48], v[65:72]
	s_waitcnt lgkmcnt(2)
	v_wmma_f32_16x16x16_bf16 v[65:72], v[17:24], v[33:40], v[65:72]
	s_waitcnt lgkmcnt(0)
	s_delay_alu instid0(VALU_DEP_1) | instskip(NEXT) | instid1(VALU_DEP_1)
	v_wmma_f32_16x16x16_bf16 v[65:72], v[57:64], v[25:32], v[65:72]
	v_and_b32_e32 v1, 0x7f800000, v65
	s_delay_alu instid0(VALU_DEP_1) | instskip(SKIP_1) | instid1(SALU_CYCLE_1)
	v_cmp_ne_u32_e32 vcc_lo, 0x7f800000, v1
                                        ; implicit-def: $vgpr1
	s_and_saveexec_b32 s3, vcc_lo
	s_xor_b32 s3, exec_lo, s3
; %bb.79:
	v_bfe_u32 v1, v65, 16, 1
	s_delay_alu instid0(VALU_DEP_1)
	v_add3_u32 v1, v65, v1, 0x7fff
; %bb.80:
	s_and_not1_saveexec_b32 s3, s3
; %bb.81:
	v_and_b32_e32 v1, 0xffff, v65
	v_or_b32_e32 v2, 0x10000, v65
	s_delay_alu instid0(VALU_DEP_2) | instskip(NEXT) | instid1(VALU_DEP_2)
	v_cmp_eq_u32_e32 vcc_lo, 0, v1
	v_cndmask_b32_e32 v1, v2, v65, vcc_lo
; %bb.82:
	s_or_b32 exec_lo, exec_lo, s3
	v_and_b32_e32 v2, 0x7f800000, v66
	s_delay_alu instid0(VALU_DEP_1) | instskip(SKIP_1) | instid1(SALU_CYCLE_1)
	v_cmp_ne_u32_e32 vcc_lo, 0x7f800000, v2
                                        ; implicit-def: $vgpr2
	s_and_saveexec_b32 s3, vcc_lo
	s_xor_b32 s3, exec_lo, s3
; %bb.83:
	v_bfe_u32 v2, v66, 16, 1
	s_delay_alu instid0(VALU_DEP_1)
	v_add3_u32 v2, v66, v2, 0x7fff
; %bb.84:
	s_and_not1_saveexec_b32 s3, s3
; %bb.85:
	v_and_b32_e32 v2, 0xffff, v66
	v_or_b32_e32 v3, 0x10000, v66
	s_delay_alu instid0(VALU_DEP_2) | instskip(NEXT) | instid1(VALU_DEP_2)
	v_cmp_eq_u32_e32 vcc_lo, 0, v2
	v_cndmask_b32_e32 v2, v3, v66, vcc_lo
; %bb.86:
	s_or_b32 exec_lo, exec_lo, s3
	v_and_b32_e32 v3, 0x7f800000, v67
	s_delay_alu instid0(VALU_DEP_1) | instskip(SKIP_1) | instid1(SALU_CYCLE_1)
	v_cmp_ne_u32_e32 vcc_lo, 0x7f800000, v3
                                        ; implicit-def: $vgpr3
	s_and_saveexec_b32 s3, vcc_lo
	s_xor_b32 s3, exec_lo, s3
; %bb.87:
	v_bfe_u32 v3, v67, 16, 1
	s_delay_alu instid0(VALU_DEP_1)
	v_add3_u32 v3, v67, v3, 0x7fff
; %bb.88:
	s_and_not1_saveexec_b32 s3, s3
; %bb.89:
	v_and_b32_e32 v3, 0xffff, v67
	v_or_b32_e32 v4, 0x10000, v67
	s_delay_alu instid0(VALU_DEP_2) | instskip(NEXT) | instid1(VALU_DEP_2)
	v_cmp_eq_u32_e32 vcc_lo, 0, v3
	v_cndmask_b32_e32 v3, v4, v67, vcc_lo
; %bb.90:
	s_or_b32 exec_lo, exec_lo, s3
	v_and_b32_e32 v4, 0x7f800000, v68
	s_delay_alu instid0(VALU_DEP_1) | instskip(SKIP_1) | instid1(SALU_CYCLE_1)
	v_cmp_ne_u32_e32 vcc_lo, 0x7f800000, v4
                                        ; implicit-def: $vgpr4
	s_and_saveexec_b32 s3, vcc_lo
	s_xor_b32 s3, exec_lo, s3
; %bb.91:
	v_bfe_u32 v4, v68, 16, 1
	s_delay_alu instid0(VALU_DEP_1)
	v_add3_u32 v4, v68, v4, 0x7fff
; %bb.92:
	s_and_not1_saveexec_b32 s3, s3
; %bb.93:
	v_and_b32_e32 v4, 0xffff, v68
	v_or_b32_e32 v5, 0x10000, v68
	s_delay_alu instid0(VALU_DEP_2) | instskip(NEXT) | instid1(VALU_DEP_2)
	v_cmp_eq_u32_e32 vcc_lo, 0, v4
	v_cndmask_b32_e32 v4, v5, v68, vcc_lo
; %bb.94:
	s_or_b32 exec_lo, exec_lo, s3
	v_and_b32_e32 v5, 0x7f800000, v69
	s_delay_alu instid0(VALU_DEP_1) | instskip(SKIP_1) | instid1(SALU_CYCLE_1)
	v_cmp_ne_u32_e32 vcc_lo, 0x7f800000, v5
                                        ; implicit-def: $vgpr5
	s_and_saveexec_b32 s3, vcc_lo
	s_xor_b32 s3, exec_lo, s3
; %bb.95:
	v_bfe_u32 v5, v69, 16, 1
	s_delay_alu instid0(VALU_DEP_1)
	v_add3_u32 v5, v69, v5, 0x7fff
; %bb.96:
	s_and_not1_saveexec_b32 s3, s3
; %bb.97:
	v_and_b32_e32 v5, 0xffff, v69
	v_or_b32_e32 v6, 0x10000, v69
	s_delay_alu instid0(VALU_DEP_2) | instskip(NEXT) | instid1(VALU_DEP_2)
	v_cmp_eq_u32_e32 vcc_lo, 0, v5
	v_cndmask_b32_e32 v5, v6, v69, vcc_lo
; %bb.98:
	s_or_b32 exec_lo, exec_lo, s3
	v_and_b32_e32 v6, 0x7f800000, v70
	s_delay_alu instid0(VALU_DEP_1) | instskip(SKIP_1) | instid1(SALU_CYCLE_1)
	v_cmp_ne_u32_e32 vcc_lo, 0x7f800000, v6
                                        ; implicit-def: $vgpr6
	s_and_saveexec_b32 s3, vcc_lo
	s_xor_b32 s3, exec_lo, s3
; %bb.99:
	v_bfe_u32 v6, v70, 16, 1
	s_delay_alu instid0(VALU_DEP_1)
	v_add3_u32 v6, v70, v6, 0x7fff
; %bb.100:
	s_and_not1_saveexec_b32 s3, s3
; %bb.101:
	v_and_b32_e32 v6, 0xffff, v70
	v_or_b32_e32 v7, 0x10000, v70
	s_delay_alu instid0(VALU_DEP_2) | instskip(NEXT) | instid1(VALU_DEP_2)
	v_cmp_eq_u32_e32 vcc_lo, 0, v6
	v_cndmask_b32_e32 v6, v7, v70, vcc_lo
; %bb.102:
	s_or_b32 exec_lo, exec_lo, s3
	v_and_b32_e32 v7, 0x7f800000, v71
	s_delay_alu instid0(VALU_DEP_1) | instskip(SKIP_1) | instid1(SALU_CYCLE_1)
	v_cmp_ne_u32_e32 vcc_lo, 0x7f800000, v7
                                        ; implicit-def: $vgpr7
	s_and_saveexec_b32 s3, vcc_lo
	s_xor_b32 s3, exec_lo, s3
; %bb.103:
	v_bfe_u32 v7, v71, 16, 1
	s_delay_alu instid0(VALU_DEP_1)
	v_add3_u32 v7, v71, v7, 0x7fff
; %bb.104:
	s_and_not1_saveexec_b32 s3, s3
; %bb.105:
	v_and_b32_e32 v7, 0xffff, v71
	v_or_b32_e32 v8, 0x10000, v71
	s_delay_alu instid0(VALU_DEP_2) | instskip(NEXT) | instid1(VALU_DEP_2)
	v_cmp_eq_u32_e32 vcc_lo, 0, v7
	v_cndmask_b32_e32 v7, v8, v71, vcc_lo
; %bb.106:
	s_or_b32 exec_lo, exec_lo, s3
	v_and_b32_e32 v8, 0x7f800000, v72
	s_delay_alu instid0(VALU_DEP_1) | instskip(SKIP_1) | instid1(SALU_CYCLE_1)
	v_cmp_ne_u32_e32 vcc_lo, 0x7f800000, v8
                                        ; implicit-def: $vgpr8
	s_and_saveexec_b32 s3, vcc_lo
	s_xor_b32 s3, exec_lo, s3
; %bb.107:
	v_bfe_u32 v8, v72, 16, 1
	s_delay_alu instid0(VALU_DEP_1)
	v_add3_u32 v8, v72, v8, 0x7fff
                                        ; implicit-def: $vgpr65_vgpr66_vgpr67_vgpr68_vgpr69_vgpr70_vgpr71_vgpr72
; %bb.108:
	s_and_not1_saveexec_b32 s3, s3
; %bb.109:
	v_and_b32_e32 v8, 0xffff, v72
	v_or_b32_e32 v9, 0x10000, v72
	s_delay_alu instid0(VALU_DEP_2) | instskip(NEXT) | instid1(VALU_DEP_2)
	v_cmp_eq_u32_e32 vcc_lo, 0, v8
	v_cndmask_b32_e32 v8, v9, v72, vcc_lo
; %bb.110:
	s_or_b32 exec_lo, exec_lo, s3
	s_delay_alu instid0(VALU_DEP_1)
	v_perm_b32 v7, v8, v7, 0x7060302
	v_perm_b32 v6, v6, v5, 0x7060302
	;; [unrolled: 1-line block ×4, first 2 shown]
	s_barrier
	buffer_gl0_inv
	v_cmp_eq_u32_e32 vcc_lo, 1, v78
	ds_store_b128 v76, v[4:7]
	s_waitcnt lgkmcnt(0)
	s_barrier
	buffer_gl0_inv
	ds_load_b128 v[1:4], v82
	ds_load_b128 v[5:8], v82 offset:16
	v_cmp_eq_u32_e64 s3, 1, v79
	v_cmp_eq_u32_e64 s4, 2, v78
	;; [unrolled: 1-line block ×5, first 2 shown]
	s_waitcnt lgkmcnt(1)
	v_lshrrev_b32_e32 v9, 16, v1
	s_waitcnt lgkmcnt(0)
	v_lshrrev_b32_e32 v13, 16, v5
	v_lshrrev_b32_e32 v10, 16, v2
	;; [unrolled: 1-line block ×4, first 2 shown]
	v_cndmask_b32_e64 v19, v1, v9, s3
	v_cndmask_b32_e32 v18, v5, v13, vcc_lo
	v_cndmask_b32_e64 v20, v5, v13, s3
	v_cndmask_b32_e32 v17, v1, v9, vcc_lo
	v_cmp_eq_u32_e32 vcc_lo, 2, v79
	v_lshrrev_b32_e32 v15, 16, v7
	v_cmp_eq_u32_e64 s3, 1, v77
	v_lshrrev_b32_e32 v12, 16, v4
	v_lshrrev_b32_e32 v16, 16, v8
	v_cndmask_b32_e32 v20, v20, v6, vcc_lo
	v_cndmask_b32_e64 v17, v17, v2, s4
	v_cndmask_b32_e32 v19, v19, v2, vcc_lo
	v_cndmask_b32_e64 v18, v18, v6, s4
	v_cmp_eq_u32_e32 vcc_lo, 4, v78
	v_cmp_eq_u32_e64 s4, 3, v79
	v_cndmask_b32_e64 v17, v17, v10, s5
	v_cndmask_b32_e64 v21, v1, v9, s3
	;; [unrolled: 1-line block ×5, first 2 shown]
	v_cndmask_b32_e32 v17, v17, v3, vcc_lo
	v_cndmask_b32_e64 v20, v20, v14, s4
	v_cndmask_b32_e32 v18, v18, v7, vcc_lo
	v_cmp_eq_u32_e32 vcc_lo, 4, v79
	v_cmp_eq_u32_e64 s4, 5, v79
	v_cmp_eq_u32_e64 s3, 2, v81
	v_cndmask_b32_e64 v21, v21, v2, s7
	v_cmp_eq_u32_e64 s5, 5, v78
	v_cndmask_b32_e32 v19, v19, v3, vcc_lo
	v_cndmask_b32_e32 v20, v20, v7, vcc_lo
	v_cmp_eq_u32_e32 vcc_lo, 6, v79
	s_delay_alu instid0(VALU_DEP_4) | instskip(NEXT) | instid1(VALU_DEP_4)
	v_cndmask_b32_e64 v17, v17, v11, s5
	v_cndmask_b32_e64 v19, v19, v11, s4
	s_delay_alu instid0(VALU_DEP_4) | instskip(SKIP_1) | instid1(VALU_DEP_3)
	v_cndmask_b32_e64 v20, v20, v15, s4
	v_cmp_eq_u32_e64 s4, 1, v81
	v_cndmask_b32_e32 v19, v19, v4, vcc_lo
	v_cndmask_b32_e64 v18, v18, v15, s5
	s_delay_alu instid0(VALU_DEP_3)
	v_cndmask_b32_e64 v1, v1, v9, s4
	v_cndmask_b32_e64 v5, v5, v13, s4
	v_cmp_eq_u32_e64 s4, 3, v77
	v_cndmask_b32_e64 v13, v22, v6, s7
	v_cmp_eq_u32_e64 s7, 3, v81
	v_cndmask_b32_e64 v1, v1, v2, s3
	v_cndmask_b32_e64 v2, v5, v6, s3
	;; [unrolled: 1-line block ×3, first 2 shown]
	v_cmp_eq_u32_e64 s3, 4, v77
	v_cndmask_b32_e64 v6, v13, v14, s4
	v_cndmask_b32_e64 v1, v1, v10, s7
	v_cmp_eq_u32_e64 s4, 4, v81
	v_cndmask_b32_e64 v2, v2, v14, s7
	v_cndmask_b32_e64 v5, v9, v3, s3
	;; [unrolled: 3-line block ×3, first 2 shown]
	v_cndmask_b32_e64 v2, v2, v7, s4
	v_cmp_eq_u32_e64 s3, 5, v81
	v_cmp_eq_u32_e64 s5, 6, v78
	v_cndmask_b32_e64 v5, v5, v11, s7
	v_cmp_eq_u32_e64 s4, 6, v77
	v_cndmask_b32_e64 v3, v6, v15, s7
	v_cndmask_b32_e64 v1, v1, v11, s3
	v_cmp_eq_u32_e64 s7, 6, v81
	v_cndmask_b32_e64 v2, v2, v15, s3
	v_cndmask_b32_e64 v17, v17, v4, s5
	v_cndmask_b32_e64 v18, v18, v8, s5
	v_cmp_eq_u32_e64 s5, 7, v78
	v_cndmask_b32_e64 v5, v5, v4, s4
	;; [unrolled: 4-line block ×3, first 2 shown]
	v_cmp_eq_u32_e64 s4, 7, v77
	v_cndmask_b32_e32 v4, v20, v8, vcc_lo
	v_cndmask_b32_e64 v17, v17, v12, s5
	v_cndmask_b32_e64 v19, v19, v12, s6
	;; [unrolled: 1-line block ×8, first 2 shown]
	s_mov_b32 s3, exec_lo
	v_perm_b32 v4, v2, v1, 0x5040100
	v_perm_b32 v3, v3, v5, 0x5040100
	;; [unrolled: 1-line block ×4, first 2 shown]
	ds_store_b128 v76, v[1:4]
	s_waitcnt lgkmcnt(0)
	s_barrier
	buffer_gl0_inv
	v_cmpx_gt_u32_e32 32, v0
	s_cbranch_execz .LBB1868_2
; %bb.111:
	s_load_b64 s[4:5], s[0:1], 0x68
	v_add_nc_u32_e32 v20, s31, v74
	v_lshlrev_b32_e32 v0, 10, v0
	v_lshlrev_b32_e32 v1, 4, v75
	s_lshl_b32 s0, s34, 7
	s_delay_alu instid0(SALU_CYCLE_1)
	s_mul_i32 s1, s0, s30
	v_add_nc_u32_e32 v2, 2, v20
	s_mul_i32 s6, s1, s8
	v_and_or_b32 v0, 0x3800, v0, v1
	v_mul_lo_u32 v1, v20, s0
	s_ashr_i32 s7, s6, 31
	v_mul_lo_u32 v11, v2, s0
	s_lshl_b64 s[6:7], s[6:7], 1
	v_add_nc_u32_e32 v3, 4, v20
	v_lshl_or_b32 v21, v74, 6, v0
	v_add_nc_u32_e32 v16, 6, v20
	v_ashrrev_i32_e32 v2, 31, v1
	s_delay_alu instid0(VALU_DEP_4)
	v_mul_lo_u32 v13, v3, s0
	s_waitcnt lgkmcnt(0)
	s_add_u32 s1, s4, s6
	s_addc_u32 s3, s5, s7
	s_lshl_b32 s4, s14, 7
	ds_load_b128 v[3:6], v21
	ds_load_b128 v[7:10], v21 offset:128
	s_ashr_i32 s5, s4, 31
	v_ashrrev_i32_e32 v12, 31, v11
	s_lshl_b64 s[4:5], s[4:5], 1
	v_lshlrev_b64 v[14:15], 1, v[1:2]
	s_add_u32 s1, s1, s4
	s_addc_u32 s3, s3, s5
	v_add_co_u32 v1, s1, s1, v73
	s_delay_alu instid0(VALU_DEP_1) | instskip(SKIP_1) | instid1(VALU_DEP_3)
	v_add_co_ci_u32_e64 v2, null, s3, 0, s1
	v_lshlrev_b64 v[11:12], 1, v[11:12]
	v_add_co_u32 v18, vcc_lo, v1, v14
	v_mul_lo_u32 v16, v16, s0
	s_delay_alu instid0(VALU_DEP_4) | instskip(NEXT) | instid1(VALU_DEP_4)
	v_add_co_ci_u32_e32 v19, vcc_lo, v2, v15, vcc_lo
	v_add_co_u32 v11, vcc_lo, v1, v11
	v_ashrrev_i32_e32 v14, 31, v13
	v_add_co_ci_u32_e32 v12, vcc_lo, v2, v12, vcc_lo
	v_add_nc_u32_e32 v15, 8, v20
	v_ashrrev_i32_e32 v17, 31, v16
	s_waitcnt lgkmcnt(1)
	global_store_b128 v[18:19], v[3:6], off
	v_lshlrev_b64 v[3:4], 1, v[13:14]
	s_waitcnt lgkmcnt(0)
	global_store_b128 v[11:12], v[7:10], off
	v_mul_lo_u32 v11, v15, s0
	v_add_nc_u32_e32 v7, 10, v20
	v_lshlrev_b64 v[5:6], 1, v[16:17]
	v_add_co_u32 v23, vcc_lo, v1, v3
	v_add_nc_u32_e32 v3, 12, v20
	s_delay_alu instid0(VALU_DEP_4)
	v_mul_lo_u32 v25, v7, s0
	v_ashrrev_i32_e32 v12, 31, v11
	v_add_co_ci_u32_e32 v24, vcc_lo, v2, v4, vcc_lo
	v_add_co_u32 v27, vcc_lo, v1, v5
	v_mul_lo_u32 v29, v3, s0
	v_add_co_ci_u32_e32 v28, vcc_lo, v2, v6, vcc_lo
	ds_load_b128 v[3:6], v21 offset:256
	ds_load_b128 v[7:10], v21 offset:384
	v_lshlrev_b64 v[31:32], 1, v[11:12]
	ds_load_b128 v[11:14], v21 offset:512
	ds_load_b128 v[15:18], v21 offset:640
	;; [unrolled: 1-line block ×3, first 2 shown]
	v_ashrrev_i32_e32 v26, 31, v25
	v_ashrrev_i32_e32 v30, 31, v29
	v_add_co_u32 v31, vcc_lo, v1, v31
	s_delay_alu instid0(VALU_DEP_3) | instskip(NEXT) | instid1(VALU_DEP_3)
	v_lshlrev_b64 v[25:26], 1, v[25:26]
	v_lshlrev_b64 v[29:30], 1, v[29:30]
	v_add_co_ci_u32_e32 v32, vcc_lo, v2, v32, vcc_lo
	s_delay_alu instid0(VALU_DEP_3) | instskip(NEXT) | instid1(VALU_DEP_4)
	v_add_co_u32 v25, vcc_lo, v1, v25
	v_add_co_ci_u32_e32 v26, vcc_lo, v2, v26, vcc_lo
	s_delay_alu instid0(VALU_DEP_4)
	v_add_co_u32 v29, vcc_lo, v1, v29
	v_add_co_ci_u32_e32 v30, vcc_lo, v2, v30, vcc_lo
	s_waitcnt lgkmcnt(4)
	global_store_b128 v[23:24], v[3:6], off
	s_waitcnt lgkmcnt(3)
	global_store_b128 v[27:28], v[7:10], off
	;; [unrolled: 2-line block ×5, first 2 shown]
	s_and_b32 exec_lo, exec_lo, s2
	s_cbranch_execz .LBB1868_2
; %bb.112:
	ds_load_b128 v[3:6], v0 offset:896
	s_add_i32 s1, s31, 14
	s_delay_alu instid0(SALU_CYCLE_1) | instskip(NEXT) | instid1(SALU_CYCLE_1)
	s_mul_i32 s0, s1, s0
	s_ashr_i32 s1, s0, 31
	s_delay_alu instid0(SALU_CYCLE_1) | instskip(NEXT) | instid1(SALU_CYCLE_1)
	s_lshl_b64 s[0:1], s[0:1], 1
	v_add_co_u32 v0, vcc_lo, v1, s0
	v_add_co_ci_u32_e32 v1, vcc_lo, s1, v2, vcc_lo
	s_waitcnt lgkmcnt(0)
	global_store_b128 v[0:1], v[3:6], off
	s_nop 0
	s_sendmsg sendmsg(MSG_DEALLOC_VGPRS)
	s_endpgm
	.section	.rodata,"a",@progbits
	.p2align	6, 0x0
	.amdhsa_kernel _Z39paged_attention_ll4mi_QKV_mfma16_kernelI14__hip_bfloat16hLN4vllm18Fp8KVCacheDataTypeE1EhLi32ELi128ELi256ELb1ELi15EL8MFMAType0EEvPKT_PKT0_S9_ifPKiSB_SB_iPKfiiiPfSE_PS4_PT2_iSD_SD_
		.amdhsa_group_segment_fixed_size 17472
		.amdhsa_private_segment_fixed_size 0
		.amdhsa_kernarg_size 400
		.amdhsa_user_sgpr_count 13
		.amdhsa_user_sgpr_dispatch_ptr 0
		.amdhsa_user_sgpr_queue_ptr 0
		.amdhsa_user_sgpr_kernarg_segment_ptr 1
		.amdhsa_user_sgpr_dispatch_id 0
		.amdhsa_user_sgpr_private_segment_size 0
		.amdhsa_wavefront_size32 1
		.amdhsa_uses_dynamic_stack 0
		.amdhsa_enable_private_segment 0
		.amdhsa_system_sgpr_workgroup_id_x 1
		.amdhsa_system_sgpr_workgroup_id_y 1
		.amdhsa_system_sgpr_workgroup_id_z 1
		.amdhsa_system_sgpr_workgroup_info 0
		.amdhsa_system_vgpr_workitem_id 0
		.amdhsa_next_free_vgpr 140
		.amdhsa_next_free_sgpr 36
		.amdhsa_reserve_vcc 1
		.amdhsa_float_round_mode_32 0
		.amdhsa_float_round_mode_16_64 0
		.amdhsa_float_denorm_mode_32 3
		.amdhsa_float_denorm_mode_16_64 3
		.amdhsa_dx10_clamp 1
		.amdhsa_ieee_mode 1
		.amdhsa_fp16_overflow 0
		.amdhsa_workgroup_processor_mode 1
		.amdhsa_memory_ordered 1
		.amdhsa_forward_progress 0
		.amdhsa_shared_vgpr_count 0
		.amdhsa_exception_fp_ieee_invalid_op 0
		.amdhsa_exception_fp_denorm_src 0
		.amdhsa_exception_fp_ieee_div_zero 0
		.amdhsa_exception_fp_ieee_overflow 0
		.amdhsa_exception_fp_ieee_underflow 0
		.amdhsa_exception_fp_ieee_inexact 0
		.amdhsa_exception_int_div_zero 0
	.end_amdhsa_kernel
	.section	.text._Z39paged_attention_ll4mi_QKV_mfma16_kernelI14__hip_bfloat16hLN4vllm18Fp8KVCacheDataTypeE1EhLi32ELi128ELi256ELb1ELi15EL8MFMAType0EEvPKT_PKT0_S9_ifPKiSB_SB_iPKfiiiPfSE_PS4_PT2_iSD_SD_,"axG",@progbits,_Z39paged_attention_ll4mi_QKV_mfma16_kernelI14__hip_bfloat16hLN4vllm18Fp8KVCacheDataTypeE1EhLi32ELi128ELi256ELb1ELi15EL8MFMAType0EEvPKT_PKT0_S9_ifPKiSB_SB_iPKfiiiPfSE_PS4_PT2_iSD_SD_,comdat
.Lfunc_end1868:
	.size	_Z39paged_attention_ll4mi_QKV_mfma16_kernelI14__hip_bfloat16hLN4vllm18Fp8KVCacheDataTypeE1EhLi32ELi128ELi256ELb1ELi15EL8MFMAType0EEvPKT_PKT0_S9_ifPKiSB_SB_iPKfiiiPfSE_PS4_PT2_iSD_SD_, .Lfunc_end1868-_Z39paged_attention_ll4mi_QKV_mfma16_kernelI14__hip_bfloat16hLN4vllm18Fp8KVCacheDataTypeE1EhLi32ELi128ELi256ELb1ELi15EL8MFMAType0EEvPKT_PKT0_S9_ifPKiSB_SB_iPKfiiiPfSE_PS4_PT2_iSD_SD_
                                        ; -- End function
	.section	.AMDGPU.csdata,"",@progbits
; Kernel info:
; codeLenInByte = 9156
; NumSgprs: 38
; NumVgprs: 140
; ScratchSize: 0
; MemoryBound: 0
; FloatMode: 240
; IeeeMode: 1
; LDSByteSize: 17472 bytes/workgroup (compile time only)
; SGPRBlocks: 4
; VGPRBlocks: 17
; NumSGPRsForWavesPerEU: 38
; NumVGPRsForWavesPerEU: 140
; Occupancy: 10
; WaveLimiterHint : 1
; COMPUTE_PGM_RSRC2:SCRATCH_EN: 0
; COMPUTE_PGM_RSRC2:USER_SGPR: 13
; COMPUTE_PGM_RSRC2:TRAP_HANDLER: 0
; COMPUTE_PGM_RSRC2:TGID_X_EN: 1
; COMPUTE_PGM_RSRC2:TGID_Y_EN: 1
; COMPUTE_PGM_RSRC2:TGID_Z_EN: 1
; COMPUTE_PGM_RSRC2:TIDIG_COMP_CNT: 0
	.section	.text._Z39paged_attention_ll4mi_QKV_mfma16_kernelI14__hip_bfloat16hLN4vllm18Fp8KVCacheDataTypeE1EhLi32ELi128ELi256ELb1ELi16EL8MFMAType0EEvPKT_PKT0_S9_ifPKiSB_SB_iPKfiiiPfSE_PS4_PT2_iSD_SD_,"axG",@progbits,_Z39paged_attention_ll4mi_QKV_mfma16_kernelI14__hip_bfloat16hLN4vllm18Fp8KVCacheDataTypeE1EhLi32ELi128ELi256ELb1ELi16EL8MFMAType0EEvPKT_PKT0_S9_ifPKiSB_SB_iPKfiiiPfSE_PS4_PT2_iSD_SD_,comdat
	.protected	_Z39paged_attention_ll4mi_QKV_mfma16_kernelI14__hip_bfloat16hLN4vllm18Fp8KVCacheDataTypeE1EhLi32ELi128ELi256ELb1ELi16EL8MFMAType0EEvPKT_PKT0_S9_ifPKiSB_SB_iPKfiiiPfSE_PS4_PT2_iSD_SD_ ; -- Begin function _Z39paged_attention_ll4mi_QKV_mfma16_kernelI14__hip_bfloat16hLN4vllm18Fp8KVCacheDataTypeE1EhLi32ELi128ELi256ELb1ELi16EL8MFMAType0EEvPKT_PKT0_S9_ifPKiSB_SB_iPKfiiiPfSE_PS4_PT2_iSD_SD_
	.globl	_Z39paged_attention_ll4mi_QKV_mfma16_kernelI14__hip_bfloat16hLN4vllm18Fp8KVCacheDataTypeE1EhLi32ELi128ELi256ELb1ELi16EL8MFMAType0EEvPKT_PKT0_S9_ifPKiSB_SB_iPKfiiiPfSE_PS4_PT2_iSD_SD_
	.p2align	8
	.type	_Z39paged_attention_ll4mi_QKV_mfma16_kernelI14__hip_bfloat16hLN4vllm18Fp8KVCacheDataTypeE1EhLi32ELi128ELi256ELb1ELi16EL8MFMAType0EEvPKT_PKT0_S9_ifPKiSB_SB_iPKfiiiPfSE_PS4_PT2_iSD_SD_,@function
_Z39paged_attention_ll4mi_QKV_mfma16_kernelI14__hip_bfloat16hLN4vllm18Fp8KVCacheDataTypeE1EhLi32ELi128ELi256ELb1ELi16EL8MFMAType0EEvPKT_PKT0_S9_ifPKiSB_SB_iPKfiiiPfSE_PS4_PT2_iSD_SD_: ; @_Z39paged_attention_ll4mi_QKV_mfma16_kernelI14__hip_bfloat16hLN4vllm18Fp8KVCacheDataTypeE1EhLi32ELi128ELi256ELb1ELi16EL8MFMAType0EEvPKT_PKT0_S9_ifPKiSB_SB_iPKfiiiPfSE_PS4_PT2_iSD_SD_
; %bb.0:
	s_load_b64 s[4:5], s[0:1], 0x30
	s_mov_b32 s30, s13
	s_waitcnt lgkmcnt(0)
	s_cmp_lg_u64 s[4:5], 0
	s_cselect_b32 s8, -1, 0
	s_ashr_i32 s31, s13, 31
	s_cmp_eq_u64 s[4:5], 0
	s_cbranch_scc1 .LBB1869_3
; %bb.1:
	s_lshl_b64 s[2:3], s[30:31], 2
	s_delay_alu instid0(SALU_CYCLE_1) | instskip(SKIP_4) | instid1(SALU_CYCLE_1)
	s_add_u32 s2, s4, s2
	s_addc_u32 s3, s5, s3
	s_load_b64 s[2:3], s[2:3], 0x0
	s_waitcnt lgkmcnt(0)
	s_sub_i32 s2, s3, s2
	s_cmp_eq_u32 s2, 1
	s_cselect_b32 s2, -1, 0
	s_delay_alu instid0(SALU_CYCLE_1)
	s_and_not1_b32 vcc_lo, exec_lo, s2
	s_cbranch_vccz .LBB1869_4
.LBB1869_2:
	s_endpgm
.LBB1869_3:
.LBB1869_4:
	s_load_b64 s[2:3], s[0:1], 0x28
	s_lshl_b64 s[6:7], s[30:31], 2
	s_waitcnt lgkmcnt(0)
	s_add_u32 s2, s2, s6
	s_addc_u32 s3, s3, s7
	s_lshl_b32 s12, s14, 8
	s_load_b32 s24, s[2:3], 0x0
	s_waitcnt lgkmcnt(0)
	s_cmp_ge_i32 s12, s24
	s_cbranch_scc1 .LBB1869_2
; %bb.5:
	s_clause 0x1
	s_load_b128 s[20:23], s[0:1], 0x8
	s_load_b64 s[2:3], s[0:1], 0x20
	s_and_not1_b32 vcc_lo, exec_lo, s8
	s_cbranch_vccnz .LBB1869_7
; %bb.6:
	s_add_u32 s4, s4, s6
	s_addc_u32 s5, s5, s7
	s_load_b32 s5, s[4:5], 0x0
	s_branch .LBB1869_8
.LBB1869_7:
	s_mov_b32 s5, s30
.LBB1869_8:
	s_load_b128 s[16:19], s[0:1], 0x48
	v_and_b32_e32 v66, 15, v0
	v_lshrrev_b32_e32 v65, 5, v0
	v_and_b32_e32 v67, 31, v0
	v_and_b32_e32 v75, 1, v0
	v_bfe_u32 v74, v0, 4, 1
	v_lshlrev_b32_e32 v1, 3, v66
	s_lshl_b32 s29, s15, 4
	s_mov_b32 s4, exec_lo
	s_delay_alu instid0(VALU_DEP_1)
	v_lshlrev_b32_e32 v73, 1, v1
	v_cmpx_gt_u32_e32 0x100, v0
	s_cbranch_execz .LBB1869_10
; %bb.9:
	v_lshl_or_b32 v5, v65, 1, v74
	s_load_b64 s[6:7], s[0:1], 0x0
	s_waitcnt lgkmcnt(0)
	s_mul_hi_i32 s9, s5, s16
	s_mul_i32 s8, s5, s16
	v_lshlrev_b32_e32 v6, 10, v66
	v_or_b32_e32 v1, s29, v5
	s_lshl_b64 s[8:9], s[8:9], 1
	v_lshlrev_b32_e32 v5, 6, v5
	v_lshlrev_b32_e32 v7, 10, v75
	v_and_b32_e32 v6, 0x3800, v6
	v_lshlrev_b32_e32 v1, 7, v1
	s_delay_alu instid0(VALU_DEP_2) | instskip(NEXT) | instid1(VALU_DEP_2)
	v_or3_b32 v5, v6, v7, v5
	v_ashrrev_i32_e32 v2, 31, v1
	s_delay_alu instid0(VALU_DEP_1) | instskip(SKIP_2) | instid1(VALU_DEP_1)
	v_lshlrev_b64 v[1:2], 1, v[1:2]
	s_add_u32 s5, s6, s8
	s_addc_u32 s6, s7, s9
	v_add_co_u32 v1, vcc_lo, s5, v1
	s_delay_alu instid0(VALU_DEP_2) | instskip(NEXT) | instid1(VALU_DEP_2)
	v_add_co_ci_u32_e32 v2, vcc_lo, s6, v2, vcc_lo
	v_add_co_u32 v1, vcc_lo, v1, v73
	s_delay_alu instid0(VALU_DEP_2)
	v_add_co_ci_u32_e32 v2, vcc_lo, 0, v2, vcc_lo
	global_load_b128 v[1:4], v[1:2], off
	s_waitcnt vmcnt(0)
	ds_store_b128 v5, v[1:4]
.LBB1869_10:
	s_or_b32 exec_lo, exec_lo, s4
	v_and_b32_e32 v1, 0xef, v0
	s_waitcnt lgkmcnt(0)
	s_add_i32 s5, s24, 31
	s_clause 0x1
	s_load_b32 s4, s[0:1], 0x38
	s_load_b32 s19, s[0:1], 0x1c
	s_ashr_i32 s6, s5, 31
	v_add_nc_u32_e32 v1, s12, v1
	s_lshr_b32 s6, s6, 27
	s_waitcnt lgkmcnt(0)
	s_add_i32 s5, s5, s6
	s_barrier
	v_ashrrev_i32_e32 v2, 31, v1
	v_or_b32_e32 v3, 16, v1
	s_ashr_i32 s13, s5, 5
	v_cmp_gt_i32_e32 vcc_lo, s24, v1
	s_add_i32 s13, s13, -1
	v_lshrrev_b32_e32 v2, 27, v2
	buffer_gl0_inv
	s_mul_i32 s31, s15, s18
	v_add_nc_u32_e32 v4, v1, v2
	s_mul_i32 s4, s30, s4
	s_delay_alu instid0(SALU_CYCLE_1) | instskip(NEXT) | instid1(VALU_DEP_1)
	s_ashr_i32 s5, s4, 31
	v_ashrrev_i32_e32 v4, 5, v4
	v_add_nc_u32_e32 v2, v3, v2
	s_lshl_b64 s[4:5], s[4:5], 2
	s_delay_alu instid0(SALU_CYCLE_1) | instskip(NEXT) | instid1(VALU_DEP_2)
	s_add_u32 s25, s2, s4
	v_cndmask_b32_e32 v1, s13, v4, vcc_lo
	s_delay_alu instid0(VALU_DEP_2)
	v_ashrrev_i32_e32 v2, 5, v2
	v_cmp_gt_i32_e32 vcc_lo, s24, v3
	s_addc_u32 s28, s3, s5
	s_ashr_i32 s33, s31, 31
	s_add_u32 s4, s20, s31
	s_addc_u32 s5, s21, s33
	v_cndmask_b32_e32 v3, s13, v2, vcc_lo
	v_ashrrev_i32_e32 v2, 31, v1
	s_lshl_b32 s2, s14, 3
	s_delay_alu instid0(SALU_CYCLE_1) | instskip(NEXT) | instid1(VALU_DEP_2)
	s_ashr_i32 s3, s2, 31
	v_ashrrev_i32_e32 v4, 31, v3
	s_delay_alu instid0(VALU_DEP_2) | instskip(SKIP_1) | instid1(SALU_CYCLE_1)
	v_lshlrev_b64 v[1:2], 2, v[1:2]
	s_lshl_b64 s[2:3], s[2:3], 2
	s_add_u32 s2, s25, s2
	s_delay_alu instid0(VALU_DEP_2) | instskip(SKIP_1) | instid1(VALU_DEP_2)
	v_lshlrev_b64 v[3:4], 2, v[3:4]
	s_addc_u32 s3, s28, s3
	v_add_co_u32 v1, vcc_lo, s25, v1
	v_add_co_ci_u32_e32 v2, vcc_lo, s28, v2, vcc_lo
	s_delay_alu instid0(VALU_DEP_3) | instskip(NEXT) | instid1(VALU_DEP_4)
	v_add_co_u32 v3, vcc_lo, s25, v3
	v_add_co_ci_u32_e32 v4, vcc_lo, s28, v4, vcc_lo
	s_clause 0x1
	global_load_b32 v5, v[1:2], off
	global_load_b32 v6, v[3:4], off
	s_or_b32 s6, s12, 32
	s_delay_alu instid0(SALU_CYCLE_1) | instskip(SKIP_2) | instid1(SALU_CYCLE_1)
	s_ashr_i32 s7, s6, 5
	s_cmp_lt_i32 s6, s24
	s_cselect_b32 s6, s7, s13
	s_ashr_i32 s7, s6, 31
	s_delay_alu instid0(SALU_CYCLE_1) | instskip(NEXT) | instid1(SALU_CYCLE_1)
	s_lshl_b64 s[6:7], s[6:7], 2
	s_add_u32 s6, s25, s6
	s_addc_u32 s7, s28, s7
	s_or_b32 s8, s12, 64
	s_delay_alu instid0(SALU_CYCLE_1) | instskip(SKIP_2) | instid1(SALU_CYCLE_1)
	s_ashr_i32 s9, s8, 5
	s_cmp_lt_i32 s8, s24
	s_cselect_b32 s8, s9, s13
	s_ashr_i32 s9, s8, 31
	s_delay_alu instid0(SALU_CYCLE_1) | instskip(NEXT) | instid1(SALU_CYCLE_1)
	s_lshl_b64 s[8:9], s[8:9], 2
	s_add_u32 s8, s25, s8
	s_addc_u32 s9, s28, s9
	;; [unrolled: 10-line block ×5, first 2 shown]
	s_clause 0x5
	s_load_b32 s20, s[2:3], 0x0
	s_load_b32 s2, s[6:7], 0x0
	;; [unrolled: 1-line block ×6, first 2 shown]
	s_or_b32 s8, s12, 0xc0
	s_delay_alu instid0(SALU_CYCLE_1) | instskip(SKIP_2) | instid1(SALU_CYCLE_1)
	s_ashr_i32 s9, s8, 5
	s_cmp_lt_i32 s8, s24
	s_cselect_b32 s26, s9, s13
	s_ashr_i32 s27, s26, 31
	s_delay_alu instid0(SALU_CYCLE_1) | instskip(NEXT) | instid1(SALU_CYCLE_1)
	s_lshl_b64 s[26:27], s[26:27], 2
	s_add_u32 s26, s25, s26
	s_addc_u32 s27, s28, s27
	s_or_b32 s21, s12, 0xe0
	s_waitcnt vmcnt(1)
	v_mad_i64_i32 v[1:2], null, v5, s17, s[4:5]
	s_waitcnt vmcnt(0)
	v_mad_i64_i32 v[3:4], null, v6, s17, s[4:5]
	s_mov_b32 s4, 0
	s_delay_alu instid0(SALU_CYCLE_1)
	s_mov_b32 s5, s4
	s_mov_b32 s6, s4
	;; [unrolled: 1-line block ×7, first 2 shown]
	s_delay_alu instid0(SALU_CYCLE_1) | instskip(SKIP_2) | instid1(VALU_DEP_3)
	v_dual_mov_b32 v108, s11 :: v_dual_lshlrev_b32 v5, 4, v66
	v_mov_b32_e32 v104, s7
	v_dual_mov_b32 v105, s8 :: v_dual_lshlrev_b32 v76, 6, v66
	v_add_co_u32 v33, vcc_lo, v1, v5
	v_add_co_ci_u32_e32 v34, vcc_lo, 0, v2, vcc_lo
	v_add_co_u32 v35, vcc_lo, v3, v5
	v_add_co_ci_u32_e32 v36, vcc_lo, 0, v4, vcc_lo
	s_clause 0xf
	global_load_b128 v[1:4], v[33:34], off
	global_load_b128 v[5:8], v[33:34], off offset:512
	global_load_b128 v[9:12], v[35:36], off offset:256
	;; [unrolled: 1-line block ×15, first 2 shown]
	v_dual_mov_b32 v102, s5 :: v_dual_lshlrev_b32 v41, 5, v66
	v_dual_mov_b32 v107, s10 :: v_dual_mov_b32 v106, s9
	v_mov_b32_e32 v103, s6
	v_mov_b32_e32 v101, s4
	s_ashr_i32 s4, s21, 5
	s_cmp_lt_i32 s21, s24
	ds_load_b128 v[33:36], v76
	ds_load_b128 v[37:40], v76 offset:1024
	s_cselect_b32 s4, s4, s13
	ds_load_b128 v[109:112], v76 offset:2048
	ds_load_b128 v[113:116], v76 offset:3072
	s_ashr_i32 s5, s4, 31
	v_lshl_or_b32 v41, v65, 9, v41
	s_lshl_b64 s[4:5], s[4:5], 2
	s_load_b32 s6, s[26:27], 0x0
	s_add_u32 s4, s25, s4
	s_addc_u32 s5, s28, s5
	ds_load_b128 v[117:120], v76 offset:4096
	ds_load_b128 v[121:124], v76 offset:5120
	s_load_b32 s4, s[4:5], 0x0
	s_add_u32 s7, s22, s31
	s_addc_u32 s8, s23, s33
	v_add_co_u32 v68, s7, s7, v41
	s_delay_alu instid0(VALU_DEP_1) | instskip(SKIP_1) | instid1(VALU_DEP_1)
	v_add_co_ci_u32_e64 v69, null, s8, 0, s7
	s_waitcnt lgkmcnt(0)
	v_mad_i64_i32 v[41:42], null, s20, s17, v[68:69]
	v_mad_i64_i32 v[70:71], null, s3, s17, v[68:69]
	;; [unrolled: 1-line block ×7, first 2 shown]
	s_clause 0x3
	global_load_b128 v[49:52], v[41:42], off
	global_load_b128 v[53:56], v[41:42], off offset:16
	global_load_b128 v[41:44], v[45:46], off
	global_load_b128 v[45:48], v[45:46], off offset:16
	s_waitcnt vmcnt(18)
	v_wmma_f32_16x16x16_bf16 v[125:132], v[1:8], v[33:40], v[101:108]
	s_waitcnt vmcnt(16)
	v_wmma_f32_16x16x16_bf16 v[101:108], v[9:16], v[33:40], v[101:108]
	s_clause 0x1
	global_load_b128 v[33:36], v[70:71], off
	global_load_b128 v[37:40], v[70:71], off offset:16
	v_mad_i64_i32 v[70:71], null, s4, s17, v[68:69]
	s_waitcnt vmcnt(16)
	v_wmma_f32_16x16x16_bf16 v[125:132], v[17:24], v[109:116], v[125:132]
	s_waitcnt vmcnt(14)
	v_wmma_f32_16x16x16_bf16 v[101:108], v[25:32], v[109:116], v[101:108]
	s_clause 0x7
	global_load_b128 v[25:28], v[133:134], off
	global_load_b128 v[29:32], v[133:134], off offset:16
	global_load_b128 v[1:4], v[135:136], off
	global_load_b128 v[5:8], v[135:136], off offset:16
	;; [unrolled: 2-line block ×4, first 2 shown]
	s_waitcnt vmcnt(20)
	v_wmma_f32_16x16x16_bf16 v[125:132], v[57:64], v[117:124], v[125:132]
	s_clause 0x1
	global_load_b128 v[57:60], v[70:71], off
	global_load_b128 v[61:64], v[70:71], off offset:16
	s_waitcnt vmcnt(20)
	v_wmma_f32_16x16x16_bf16 v[101:108], v[77:84], v[117:124], v[101:108]
	ds_load_b128 v[77:80], v76 offset:6144
	ds_load_b128 v[81:84], v76 offset:7168
	v_and_b32_e32 v68, 0xe0, v0
	v_mbcnt_lo_u32_b32 v69, -1, 0
	s_waitcnt vmcnt(0) lgkmcnt(0)
	s_barrier
	buffer_gl0_inv
	v_add_nc_u32_e32 v68, s12, v68
	v_xor_b32_e32 v70, 16, v69
	s_delay_alu instid0(VALU_DEP_2) | instskip(NEXT) | instid1(VALU_DEP_2)
	v_or_b32_e32 v68, v68, v74
	v_cmp_gt_i32_e32 vcc_lo, 32, v70
	s_delay_alu instid0(VALU_DEP_2)
	v_or_b32_e32 v71, 4, v68
	v_or_b32_e32 v72, 6, v68
	v_cmp_gt_i32_e64 s2, s24, v68
	v_or_b32_e32 v109, 8, v68
	v_wmma_f32_16x16x16_bf16 v[125:132], v[85:92], v[77:84], v[125:132]
	v_cndmask_b32_e32 v69, v69, v70, vcc_lo
	v_or_b32_e32 v70, 2, v68
	v_wmma_f32_16x16x16_bf16 v[101:108], v[93:100], v[77:84], v[101:108]
	v_or_b32_e32 v85, 10, v68
	v_dual_mul_f32 v80, s19, v132 :: v_dual_mul_f32 v93, s19, v127
	v_dual_mul_f32 v94, s19, v126 :: v_dual_mul_f32 v95, s19, v125
	s_delay_alu instid0(VALU_DEP_4) | instskip(SKIP_2) | instid1(VALU_DEP_4)
	v_mul_f32_e32 v96, s19, v108
	v_cmp_gt_i32_e32 vcc_lo, s24, v70
	v_dual_mul_f32 v83, s19, v129 :: v_dual_mul_f32 v84, s19, v128
	v_cndmask_b32_e64 v95, 0xff7fffff, v95, s2
	v_cmp_gt_i32_e64 s3, s24, v71
	v_cndmask_b32_e32 v94, 0xff7fffff, v94, vcc_lo
	v_cmp_gt_i32_e64 s4, s24, v72
	v_or_b32_e32 v86, 12, v68
	v_or_b32_e32 v87, 14, v68
	v_dual_mul_f32 v81, s19, v131 :: v_dual_mul_f32 v82, s19, v130
	v_cndmask_b32_e64 v93, 0xff7fffff, v93, s3
	v_cndmask_b32_e64 v72, 0xff7fffff, v84, s4
	v_max3_f32 v84, v95, 0xff7fffff, v94
	v_cmp_gt_i32_e64 s5, s24, v109
	v_cmp_gt_i32_e64 s6, s24, v85
	v_or_b32_e32 v88, 16, v68
	v_or_b32_e32 v89, 18, v68
	v_max3_f32 v72, v84, v93, v72
	v_cndmask_b32_e64 v83, 0xff7fffff, v83, s5
	v_cndmask_b32_e64 v82, 0xff7fffff, v82, s6
	v_cmp_gt_i32_e64 s7, s24, v86
	v_cmp_gt_i32_e64 s8, s24, v87
	v_or_b32_e32 v90, 20, v68
	v_or_b32_e32 v91, 22, v68
	;; [unrolled: 1-line block ×6, first 2 shown]
	v_dual_mul_f32 v70, s19, v103 :: v_dual_mul_f32 v71, s19, v101
	v_mul_f32_e32 v68, s19, v102
	v_cndmask_b32_e64 v81, 0xff7fffff, v81, s7
	v_cndmask_b32_e64 v80, 0xff7fffff, v80, s8
	v_max3_f32 v72, v72, v83, v82
	v_cmp_gt_i32_e64 s9, s24, v88
	v_cmp_gt_i32_e64 s10, s24, v89
	v_dual_mul_f32 v99, s19, v105 :: v_dual_mul_f32 v100, s19, v104
	s_delay_alu instid0(VALU_DEP_4) | instskip(NEXT) | instid1(VALU_DEP_4)
	v_max3_f32 v72, v72, v81, v80
	v_cndmask_b32_e64 v71, 0xff7fffff, v71, s9
	s_delay_alu instid0(VALU_DEP_4) | instskip(SKIP_3) | instid1(VALU_DEP_4)
	v_cndmask_b32_e64 v68, 0xff7fffff, v68, s10
	v_cmp_gt_i32_e64 s11, s24, v90
	v_cmp_gt_i32_e64 s12, s24, v91
	v_dual_mul_f32 v97, s19, v107 :: v_dual_mul_f32 v98, s19, v106
	v_max3_f32 v68, v72, v71, v68
	s_delay_alu instid0(VALU_DEP_4) | instskip(NEXT) | instid1(VALU_DEP_4)
	v_cndmask_b32_e64 v70, 0xff7fffff, v70, s11
	v_cndmask_b32_e64 v80, 0xff7fffff, v100, s12
	v_cmp_gt_i32_e64 s13, s24, v92
	v_cmp_gt_i32_e64 s15, s24, v77
	;; [unrolled: 1-line block ×4, first 2 shown]
	v_max3_f32 v68, v68, v70, v80
	v_cndmask_b32_e64 v71, 0xff7fffff, v99, s13
	v_cndmask_b32_e64 v72, 0xff7fffff, v98, s15
	;; [unrolled: 1-line block ×4, first 2 shown]
	v_lshlrev_b32_e32 v90, 2, v69
	s_delay_alu instid0(VALU_DEP_4) | instskip(NEXT) | instid1(VALU_DEP_1)
	v_max3_f32 v68, v68, v71, v72
	v_max3_f32 v68, v68, v70, v77
	ds_bpermute_b32 v69, v90, v68
	s_waitcnt lgkmcnt(0)
	v_max_f32_e32 v69, v69, v69
	s_delay_alu instid0(VALU_DEP_1) | instskip(NEXT) | instid1(VALU_DEP_1)
	v_max_f32_e32 v81, v68, v69
	v_fma_f32 v68, s19, v125, -v81
	v_fma_f32 v69, s19, v126, -v81
	;; [unrolled: 1-line block ×5, first 2 shown]
	s_delay_alu instid0(VALU_DEP_4) | instskip(NEXT) | instid1(VALU_DEP_3)
	v_dual_mul_f32 v68, 0x3fb8aa3b, v68 :: v_dual_mul_f32 v69, 0x3fb8aa3b, v69
	v_dual_mul_f32 v70, 0x3fb8aa3b, v70 :: v_dual_mul_f32 v71, 0x3fb8aa3b, v71
	v_fma_f32 v78, s19, v131, -v81
	s_delay_alu instid0(VALU_DEP_3) | instskip(NEXT) | instid1(VALU_DEP_3)
	v_exp_f32_e32 v68, v68
	v_exp_f32_e32 v69, v69
	s_delay_alu instid0(VALU_DEP_2)
	v_exp_f32_e32 v70, v70
	v_mul_f32_e32 v72, 0x3fb8aa3b, v72
	v_exp_f32_e32 v71, v71
	v_mul_f32_e32 v78, 0x3fb8aa3b, v78
	v_fma_f32 v80, s19, v106, -v81
	v_cndmask_b32_e64 v82, 0, v68, s2
	s_delay_alu instid0(TRANS32_DEP_3) | instskip(SKIP_2) | instid1(TRANS32_DEP_3)
	v_cndmask_b32_e32 v77, 0, v69, vcc_lo
	v_fma_f32 v68, s19, v130, -v81
	v_exp_f32_e32 v72, v72
	v_cndmask_b32_e64 v83, 0, v70, s3
	v_add_f32_e32 v69, 0, v82
	v_fma_f32 v70, s19, v132, -v81
	v_mul_f32_e32 v68, 0x3fb8aa3b, v68
	v_cndmask_b32_e64 v85, 0, v71, s4
	v_fma_f32 v71, s19, v101, -v81
	s_delay_alu instid0(VALU_DEP_4) | instskip(NEXT) | instid1(VALU_DEP_4)
	v_dual_add_f32 v69, v69, v77 :: v_dual_mul_f32 v70, 0x3fb8aa3b, v70
	v_exp_f32_e32 v68, v68
	s_delay_alu instid0(TRANS32_DEP_2) | instskip(SKIP_1) | instid1(VALU_DEP_3)
	v_cndmask_b32_e64 v86, 0, v72, s5
	v_fma_f32 v72, s19, v102, -v81
	v_add_f32_e32 v69, v69, v83
	v_exp_f32_e32 v78, v78
	v_exp_f32_e32 v70, v70
	s_mov_b32 s2, exec_lo
	s_delay_alu instid0(VALU_DEP_1) | instskip(SKIP_1) | instid1(TRANS32_DEP_3)
	v_dual_mul_f32 v72, 0x3fb8aa3b, v72 :: v_dual_add_f32 v69, v69, v85
	v_mul_f32_e32 v71, 0x3fb8aa3b, v71
	v_cndmask_b32_e64 v87, 0, v68, s6
	s_delay_alu instid0(VALU_DEP_3) | instskip(NEXT) | instid1(VALU_DEP_3)
	v_exp_f32_e32 v72, v72
	v_add_f32_e32 v68, v69, v86
	v_fma_f32 v69, s19, v103, -v81
	v_exp_f32_e32 v71, v71
	v_cndmask_b32_e64 v84, 0, v78, s7
	v_fma_f32 v78, s19, v104, -v81
	s_delay_alu instid0(VALU_DEP_3) | instskip(SKIP_2) | instid1(VALU_DEP_3)
	v_dual_add_f32 v68, v68, v87 :: v_dual_mul_f32 v69, 0x3fb8aa3b, v69
	v_cndmask_b32_e64 v88, 0, v70, s8
	v_fma_f32 v70, s19, v105, -v81
	v_exp_f32_e32 v79, v69
	s_delay_alu instid0(TRANS32_DEP_2) | instskip(SKIP_1) | instid1(VALU_DEP_1)
	v_cndmask_b32_e64 v69, 0, v71, s9
	v_add_f32_e32 v68, v68, v84
	v_dual_mul_f32 v78, 0x3fb8aa3b, v78 :: v_dual_add_f32 v71, v68, v88
	s_delay_alu instid0(VALU_DEP_1) | instskip(SKIP_2) | instid1(VALU_DEP_3)
	v_exp_f32_e32 v78, v78
	v_cndmask_b32_e64 v68, 0, v72, s10
	v_fma_f32 v72, s19, v107, -v81
	v_dual_add_f32 v71, v71, v69 :: v_dual_mul_f32 v70, 0x3fb8aa3b, v70
	s_delay_alu instid0(VALU_DEP_1) | instskip(NEXT) | instid1(TRANS32_DEP_3)
	v_exp_f32_e32 v89, v70
	v_cndmask_b32_e64 v70, 0, v79, s11
	s_delay_alu instid0(VALU_DEP_2) | instskip(NEXT) | instid1(TRANS32_DEP_2)
	v_add_f32_e32 v79, v71, v68
	v_cndmask_b32_e64 v71, 0, v78, s12
	s_delay_alu instid0(VALU_DEP_2) | instskip(SKIP_2) | instid1(VALU_DEP_1)
	v_add_f32_e32 v78, v79, v70
	v_mul_f32_e32 v80, 0x3fb8aa3b, v80
	v_fma_f32 v79, s19, v108, -v81
	v_dual_mul_f32 v72, 0x3fb8aa3b, v72 :: v_dual_mul_f32 v79, 0x3fb8aa3b, v79
	s_delay_alu instid0(VALU_DEP_1) | instskip(NEXT) | instid1(TRANS32_DEP_2)
	v_exp_f32_e32 v91, v72
	v_cndmask_b32_e64 v72, 0, v89, s13
	v_add_f32_e32 v89, v78, v71
	v_exp_f32_e32 v80, v80
	s_waitcnt_depctr 0xfff
	v_cndmask_b32_e64 v78, 0, v80, s15
	v_add_f32_e32 v80, v89, v72
	v_exp_f32_e32 v89, v79
	v_cndmask_b32_e64 v79, 0, v91, s16
	s_delay_alu instid0(VALU_DEP_2) | instskip(NEXT) | instid1(VALU_DEP_1)
	v_add_f32_e32 v80, v80, v78
	v_add_f32_e32 v91, v80, v79
	s_waitcnt_depctr 0xfff
	v_cndmask_b32_e64 v80, 0, v89, s17
	s_delay_alu instid0(VALU_DEP_1)
	v_add_f32_e32 v89, v91, v80
	ds_bpermute_b32 v90, v90, v89
	v_cmpx_gt_u32_e32 16, v67
	s_cbranch_execz .LBB1869_12
; %bb.11:
	v_mul_u32_u24_e32 v67, 0x44, v65
	s_waitcnt lgkmcnt(0)
	v_add_f32_e32 v89, v89, v90
	s_delay_alu instid0(VALU_DEP_2) | instskip(NEXT) | instid1(VALU_DEP_1)
	v_lshl_add_u32 v67, v66, 2, v67
	v_add_nc_u32_e32 v67, 0x4000, v67
	ds_store_2addr_b32 v67, v81, v89 offset1:136
.LBB1869_12:
	s_or_b32 exec_lo, exec_lo, s2
	v_lshlrev_b32_e32 v66, 2, v66
	s_waitcnt lgkmcnt(0)
	s_barrier
	buffer_gl0_inv
	v_cmp_eq_u32_e32 vcc_lo, 1, v65
	v_add_nc_u32_e32 v81, 0x4000, v66
	v_cmp_eq_u32_e64 s2, 2, v65
	v_cmp_eq_u32_e64 s4, 7, v65
	ds_load_2addr_b32 v[89:90], v81 offset1:17
	ds_load_2addr_b32 v[91:92], v81 offset0:34 offset1:51
	ds_load_2addr_b32 v[93:94], v81 offset0:68 offset1:85
	;; [unrolled: 1-line block ×4, first 2 shown]
	s_waitcnt lgkmcnt(4)
	v_max3_f32 v66, v89, 0xff7fffff, v90
	s_waitcnt lgkmcnt(3)
	s_delay_alu instid0(VALU_DEP_1) | instskip(SKIP_1) | instid1(VALU_DEP_1)
	v_max3_f32 v66, v66, v91, v92
	s_waitcnt lgkmcnt(2)
	v_max3_f32 v66, v66, v93, v94
	s_waitcnt lgkmcnt(1)
	s_delay_alu instid0(VALU_DEP_1) | instskip(NEXT) | instid1(VALU_DEP_1)
	v_max3_f32 v66, v66, v95, v96
	v_sub_f32_e32 v67, v89, v66
	v_sub_f32_e32 v91, v91, v66
	;; [unrolled: 1-line block ×3, first 2 shown]
	s_delay_alu instid0(VALU_DEP_3) | instskip(NEXT) | instid1(VALU_DEP_3)
	v_mul_f32_e32 v67, 0x3fb8aa3b, v67
	v_mul_f32_e32 v101, 0x3fb8aa3b, v91
	s_delay_alu instid0(VALU_DEP_3) | instskip(NEXT) | instid1(VALU_DEP_3)
	v_mul_f32_e32 v103, 0x3fb8aa3b, v93
	v_exp_f32_e32 v100, v67
	v_sub_f32_e32 v67, v92, v66
	v_sub_f32_e32 v99, v90, v66
	ds_load_2addr_b32 v[89:90], v81 offset0:170 offset1:187
	ds_load_2addr_b32 v[91:92], v81 offset0:204 offset1:221
	v_exp_f32_e32 v101, v101
	v_mul_f32_e32 v102, 0x3fb8aa3b, v67
	v_mul_f32_e32 v99, 0x3fb8aa3b, v99
	s_waitcnt lgkmcnt(2)
	v_fma_f32 v67, v100, v97, 0
	v_sub_f32_e32 v97, v94, v66
	s_delay_alu instid0(VALU_DEP_3)
	v_exp_f32_e32 v99, v99
	v_exp_f32_e32 v102, v102
	ds_load_2addr_b32 v[93:94], v81 offset0:238 offset1:255
	v_sub_f32_e32 v81, v95, v66
	v_mul_f32_e32 v95, 0x3fb8aa3b, v97
	v_exp_f32_e32 v97, v103
	s_waitcnt lgkmcnt(0)
	s_barrier
	v_mul_f32_e32 v81, 0x3fb8aa3b, v81
	v_exp_f32_e32 v95, v95
	v_fmac_f32_e32 v67, v99, v98
	buffer_gl0_inv
	v_exp_f32_e32 v81, v81
	v_fmac_f32_e32 v67, v101, v89
	v_sub_f32_e32 v89, v96, v66
	s_delay_alu instid0(VALU_DEP_2) | instskip(NEXT) | instid1(VALU_DEP_2)
	v_fmac_f32_e32 v67, v102, v90
	v_mul_f32_e32 v89, 0x3fb8aa3b, v89
	s_delay_alu instid0(VALU_DEP_2) | instskip(NEXT) | instid1(VALU_DEP_2)
	v_fmac_f32_e32 v67, v97, v91
	v_exp_f32_e32 v89, v89
	s_delay_alu instid0(VALU_DEP_1)
	v_fmac_f32_e32 v67, v95, v92
	s_delay_alu instid0(TRANS32_DEP_2) | instid1(VALU_DEP_1)
	v_fmac_f32_e32 v67, v81, v93
	s_waitcnt_depctr 0xfff
	v_fmac_f32_e32 v67, v89, v94
	s_delay_alu instid0(VALU_DEP_1) | instskip(NEXT) | instid1(VALU_DEP_1)
	v_add_f32_e32 v90, 0x358637bd, v67
	v_div_scale_f32 v91, null, v90, v90, 1.0
	v_div_scale_f32 v94, s3, 1.0, v90, 1.0
	s_delay_alu instid0(VALU_DEP_2) | instskip(SKIP_2) | instid1(VALU_DEP_1)
	v_rcp_f32_e32 v92, v91
	s_waitcnt_depctr 0xfff
	v_fma_f32 v93, -v91, v92, 1.0
	v_dual_fmac_f32 v92, v93, v92 :: v_dual_cndmask_b32 v93, v100, v99
	v_cmp_eq_u32_e32 vcc_lo, 3, v65
	s_delay_alu instid0(VALU_DEP_2) | instskip(NEXT) | instid1(VALU_DEP_3)
	v_mul_f32_e32 v96, v94, v92
	v_cndmask_b32_e64 v93, v93, v101, s2
	v_cmp_eq_u32_e64 s2, 4, v65
	s_delay_alu instid0(VALU_DEP_3) | instskip(NEXT) | instid1(VALU_DEP_3)
	v_fma_f32 v98, -v91, v96, v94
	v_cndmask_b32_e32 v93, v93, v102, vcc_lo
	v_cmp_eq_u32_e32 vcc_lo, 5, v65
	s_delay_alu instid0(VALU_DEP_3) | instskip(NEXT) | instid1(VALU_DEP_3)
	v_fmac_f32_e32 v96, v98, v92
	v_cndmask_b32_e64 v93, v93, v97, s2
	v_cmp_eq_u32_e64 s2, 6, v65
	s_delay_alu instid0(VALU_DEP_3) | instskip(NEXT) | instid1(VALU_DEP_3)
	v_fma_f32 v91, -v91, v96, v94
	v_cndmask_b32_e32 v93, v93, v95, vcc_lo
	s_mov_b32 vcc_lo, s3
	s_delay_alu instid0(VALU_DEP_2) | instskip(NEXT) | instid1(VALU_DEP_2)
	v_div_fmas_f32 v91, v91, v92, v96
	v_cndmask_b32_e64 v81, v93, v81, s2
	s_mov_b32 s2, exec_lo
	s_delay_alu instid0(VALU_DEP_2) | instskip(NEXT) | instid1(VALU_DEP_2)
	v_div_fixup_f32 v90, v91, v90, 1.0
	v_cndmask_b32_e64 v81, v81, v89, s4
	s_delay_alu instid0(VALU_DEP_1) | instskip(NEXT) | instid1(VALU_DEP_1)
	v_mul_f32_e32 v81, v81, v90
	v_mul_f32_e32 v90, v81, v82
	;; [unrolled: 1-line block ×6, first 2 shown]
	v_dual_mul_f32 v86, v81, v83 :: v_dual_and_b32 v91, 0x7f800000, v90
	v_mul_f32_e32 v89, v81, v85
	v_mul_f32_e32 v85, v81, v77
                                        ; implicit-def: $vgpr77
	s_delay_alu instid0(VALU_DEP_3)
	v_cmpx_ne_u32_e32 0x7f800000, v91
	s_xor_b32 s2, exec_lo, s2
; %bb.13:
	v_bfe_u32 v77, v90, 16, 1
	s_delay_alu instid0(VALU_DEP_1)
	v_add3_u32 v77, v90, v77, 0x7fff
                                        ; implicit-def: $vgpr90
; %bb.14:
	s_and_not1_saveexec_b32 s2, s2
; %bb.15:
	v_and_b32_e32 v77, 0xffff, v90
	v_or_b32_e32 v83, 0x10000, v90
	s_delay_alu instid0(VALU_DEP_2) | instskip(NEXT) | instid1(VALU_DEP_2)
	v_cmp_eq_u32_e32 vcc_lo, 0, v77
	v_cndmask_b32_e32 v77, v83, v90, vcc_lo
; %bb.16:
	s_or_b32 exec_lo, exec_lo, s2
	v_and_b32_e32 v83, 0x7f800000, v85
	s_delay_alu instid0(VALU_DEP_1) | instskip(SKIP_1) | instid1(SALU_CYCLE_1)
	v_cmp_ne_u32_e32 vcc_lo, 0x7f800000, v83
                                        ; implicit-def: $vgpr83
	s_and_saveexec_b32 s2, vcc_lo
	s_xor_b32 s2, exec_lo, s2
; %bb.17:
	v_bfe_u32 v83, v85, 16, 1
	s_delay_alu instid0(VALU_DEP_1)
	v_add3_u32 v83, v85, v83, 0x7fff
                                        ; implicit-def: $vgpr85
; %bb.18:
	s_and_not1_saveexec_b32 s2, s2
; %bb.19:
	v_and_b32_e32 v83, 0xffff, v85
	v_or_b32_e32 v90, 0x10000, v85
	s_delay_alu instid0(VALU_DEP_2) | instskip(NEXT) | instid1(VALU_DEP_2)
	v_cmp_eq_u32_e32 vcc_lo, 0, v83
	v_cndmask_b32_e32 v83, v90, v85, vcc_lo
; %bb.20:
	s_or_b32 exec_lo, exec_lo, s2
	v_and_b32_e32 v85, 0x7f800000, v86
	s_delay_alu instid0(VALU_DEP_1) | instskip(SKIP_1) | instid1(SALU_CYCLE_1)
	v_cmp_ne_u32_e32 vcc_lo, 0x7f800000, v85
                                        ; implicit-def: $vgpr85
	s_and_saveexec_b32 s2, vcc_lo
	s_xor_b32 s2, exec_lo, s2
; %bb.21:
	v_bfe_u32 v85, v86, 16, 1
	s_delay_alu instid0(VALU_DEP_1)
	v_add3_u32 v85, v86, v85, 0x7fff
                                        ; implicit-def: $vgpr86
; %bb.22:
	s_and_not1_saveexec_b32 s2, s2
; %bb.23:
	v_and_b32_e32 v85, 0xffff, v86
	v_or_b32_e32 v90, 0x10000, v86
	s_delay_alu instid0(VALU_DEP_2) | instskip(NEXT) | instid1(VALU_DEP_2)
	v_cmp_eq_u32_e32 vcc_lo, 0, v85
	v_cndmask_b32_e32 v85, v90, v86, vcc_lo
; %bb.24:
	s_or_b32 exec_lo, exec_lo, s2
	v_and_b32_e32 v86, 0x7f800000, v89
	s_delay_alu instid0(VALU_DEP_1) | instskip(SKIP_1) | instid1(SALU_CYCLE_1)
	v_cmp_ne_u32_e32 vcc_lo, 0x7f800000, v86
                                        ; implicit-def: $vgpr86
	s_and_saveexec_b32 s2, vcc_lo
	s_xor_b32 s2, exec_lo, s2
; %bb.25:
	v_bfe_u32 v86, v89, 16, 1
	s_delay_alu instid0(VALU_DEP_1)
	v_add3_u32 v86, v89, v86, 0x7fff
                                        ; implicit-def: $vgpr89
; %bb.26:
	s_and_not1_saveexec_b32 s2, s2
; %bb.27:
	v_and_b32_e32 v86, 0xffff, v89
	v_or_b32_e32 v90, 0x10000, v89
	s_delay_alu instid0(VALU_DEP_2) | instskip(NEXT) | instid1(VALU_DEP_2)
	v_cmp_eq_u32_e32 vcc_lo, 0, v86
	v_cndmask_b32_e32 v86, v90, v89, vcc_lo
; %bb.28:
	s_or_b32 exec_lo, exec_lo, s2
	v_and_b32_e32 v89, 0x7f800000, v88
	s_delay_alu instid0(VALU_DEP_1) | instskip(SKIP_1) | instid1(SALU_CYCLE_1)
	v_cmp_ne_u32_e32 vcc_lo, 0x7f800000, v89
                                        ; implicit-def: $vgpr89
	s_and_saveexec_b32 s2, vcc_lo
	s_xor_b32 s2, exec_lo, s2
; %bb.29:
	v_bfe_u32 v89, v88, 16, 1
	s_delay_alu instid0(VALU_DEP_1)
	v_add3_u32 v89, v88, v89, 0x7fff
                                        ; implicit-def: $vgpr88
; %bb.30:
	s_and_not1_saveexec_b32 s2, s2
; %bb.31:
	v_and_b32_e32 v89, 0xffff, v88
	v_or_b32_e32 v90, 0x10000, v88
	s_delay_alu instid0(VALU_DEP_2) | instskip(NEXT) | instid1(VALU_DEP_2)
	v_cmp_eq_u32_e32 vcc_lo, 0, v89
	v_cndmask_b32_e32 v89, v90, v88, vcc_lo
; %bb.32:
	s_or_b32 exec_lo, exec_lo, s2
	v_and_b32_e32 v88, 0x7f800000, v87
	s_delay_alu instid0(VALU_DEP_1) | instskip(SKIP_1) | instid1(SALU_CYCLE_1)
	v_cmp_ne_u32_e32 vcc_lo, 0x7f800000, v88
                                        ; implicit-def: $vgpr88
	s_and_saveexec_b32 s2, vcc_lo
	s_xor_b32 s2, exec_lo, s2
; %bb.33:
	v_bfe_u32 v88, v87, 16, 1
	s_delay_alu instid0(VALU_DEP_1)
	v_add3_u32 v88, v87, v88, 0x7fff
                                        ; implicit-def: $vgpr87
; %bb.34:
	s_and_not1_saveexec_b32 s2, s2
; %bb.35:
	v_and_b32_e32 v88, 0xffff, v87
	v_or_b32_e32 v90, 0x10000, v87
	s_delay_alu instid0(VALU_DEP_2) | instskip(NEXT) | instid1(VALU_DEP_2)
	v_cmp_eq_u32_e32 vcc_lo, 0, v88
	v_cndmask_b32_e32 v88, v90, v87, vcc_lo
; %bb.36:
	s_or_b32 exec_lo, exec_lo, s2
	v_and_b32_e32 v87, 0x7f800000, v84
	s_delay_alu instid0(VALU_DEP_1) | instskip(SKIP_1) | instid1(SALU_CYCLE_1)
	v_cmp_ne_u32_e32 vcc_lo, 0x7f800000, v87
                                        ; implicit-def: $vgpr87
	s_and_saveexec_b32 s2, vcc_lo
	s_xor_b32 s2, exec_lo, s2
; %bb.37:
	v_bfe_u32 v87, v84, 16, 1
	s_delay_alu instid0(VALU_DEP_1)
	v_add3_u32 v87, v84, v87, 0x7fff
                                        ; implicit-def: $vgpr84
; %bb.38:
	s_and_not1_saveexec_b32 s2, s2
; %bb.39:
	v_and_b32_e32 v87, 0xffff, v84
	v_or_b32_e32 v90, 0x10000, v84
	s_delay_alu instid0(VALU_DEP_2) | instskip(NEXT) | instid1(VALU_DEP_2)
	v_cmp_eq_u32_e32 vcc_lo, 0, v87
	v_cndmask_b32_e32 v87, v90, v84, vcc_lo
; %bb.40:
	s_or_b32 exec_lo, exec_lo, s2
	v_and_b32_e32 v84, 0x7f800000, v82
	s_delay_alu instid0(VALU_DEP_1) | instskip(SKIP_1) | instid1(SALU_CYCLE_1)
	v_cmp_ne_u32_e32 vcc_lo, 0x7f800000, v84
                                        ; implicit-def: $vgpr84
	s_and_saveexec_b32 s2, vcc_lo
	s_xor_b32 s2, exec_lo, s2
; %bb.41:
	v_bfe_u32 v84, v82, 16, 1
	s_delay_alu instid0(VALU_DEP_1)
	v_add3_u32 v84, v82, v84, 0x7fff
                                        ; implicit-def: $vgpr82
; %bb.42:
	s_and_not1_saveexec_b32 s2, s2
; %bb.43:
	v_and_b32_e32 v84, 0xffff, v82
	v_or_b32_e32 v90, 0x10000, v82
	s_delay_alu instid0(VALU_DEP_2) | instskip(NEXT) | instid1(VALU_DEP_2)
	v_cmp_eq_u32_e32 vcc_lo, 0, v84
	v_cndmask_b32_e32 v84, v90, v82, vcc_lo
; %bb.44:
	s_or_b32 exec_lo, exec_lo, s2
	s_load_b64 s[34:35], s[0:1], 0x94
	v_lshlrev_b32_e32 v82, 4, v74
	s_delay_alu instid0(VALU_DEP_2)
	v_perm_b32 v90, v84, v87, 0x7060302
	v_lshlrev_b32_e32 v84, 11, v65
	v_perm_b32 v87, v83, v77, 0x7060302
	v_mul_f32_e32 v83, v81, v69
	v_mul_f32_e32 v69, v81, v80
	v_perm_b32 v89, v88, v89, 0x7060302
	v_perm_b32 v88, v86, v85, 0x7060302
	v_or3_b32 v77, v82, v84, v76
	v_mul_f32_e32 v79, v81, v79
	v_mul_f32_e32 v78, v81, v78
	v_and_b32_e32 v84, 0x7f800000, v83
	v_mul_f32_e32 v72, v81, v72
	v_mul_f32_e32 v82, v81, v71
	;; [unrolled: 1-line block ×4, first 2 shown]
	s_mov_b32 s2, exec_lo
	ds_store_b128 v77, v[87:90]
                                        ; implicit-def: $vgpr68
	v_cmpx_ne_u32_e32 0x7f800000, v84
	s_xor_b32 s2, exec_lo, s2
; %bb.45:
	v_bfe_u32 v68, v83, 16, 1
	s_delay_alu instid0(VALU_DEP_1)
	v_add3_u32 v68, v83, v68, 0x7fff
                                        ; implicit-def: $vgpr83
; %bb.46:
	s_and_not1_saveexec_b32 s2, s2
; %bb.47:
	v_and_b32_e32 v68, 0xffff, v83
	v_or_b32_e32 v70, 0x10000, v83
	s_delay_alu instid0(VALU_DEP_2) | instskip(NEXT) | instid1(VALU_DEP_2)
	v_cmp_eq_u32_e32 vcc_lo, 0, v68
	v_cndmask_b32_e32 v68, v70, v83, vcc_lo
; %bb.48:
	s_or_b32 exec_lo, exec_lo, s2
	v_and_b32_e32 v70, 0x7f800000, v71
	s_delay_alu instid0(VALU_DEP_1) | instskip(SKIP_1) | instid1(SALU_CYCLE_1)
	v_cmp_ne_u32_e32 vcc_lo, 0x7f800000, v70
                                        ; implicit-def: $vgpr70
	s_and_saveexec_b32 s2, vcc_lo
	s_xor_b32 s2, exec_lo, s2
; %bb.49:
	v_bfe_u32 v70, v71, 16, 1
	s_delay_alu instid0(VALU_DEP_1)
	v_add3_u32 v70, v71, v70, 0x7fff
                                        ; implicit-def: $vgpr71
; %bb.50:
	s_and_not1_saveexec_b32 s2, s2
; %bb.51:
	v_and_b32_e32 v70, 0xffff, v71
	v_or_b32_e32 v81, 0x10000, v71
	s_delay_alu instid0(VALU_DEP_2) | instskip(NEXT) | instid1(VALU_DEP_2)
	v_cmp_eq_u32_e32 vcc_lo, 0, v70
	v_cndmask_b32_e32 v70, v81, v71, vcc_lo
; %bb.52:
	s_or_b32 exec_lo, exec_lo, s2
	v_and_b32_e32 v71, 0x7f800000, v80
	s_delay_alu instid0(VALU_DEP_1) | instskip(SKIP_1) | instid1(SALU_CYCLE_1)
	v_cmp_ne_u32_e32 vcc_lo, 0x7f800000, v71
                                        ; implicit-def: $vgpr71
	s_and_saveexec_b32 s2, vcc_lo
	s_xor_b32 s2, exec_lo, s2
; %bb.53:
	v_bfe_u32 v71, v80, 16, 1
	s_delay_alu instid0(VALU_DEP_1)
	v_add3_u32 v71, v80, v71, 0x7fff
                                        ; implicit-def: $vgpr80
; %bb.54:
	s_and_not1_saveexec_b32 s2, s2
; %bb.55:
	v_and_b32_e32 v71, 0xffff, v80
	v_or_b32_e32 v81, 0x10000, v80
	s_delay_alu instid0(VALU_DEP_2) | instskip(NEXT) | instid1(VALU_DEP_2)
	v_cmp_eq_u32_e32 vcc_lo, 0, v71
	v_cndmask_b32_e32 v71, v81, v80, vcc_lo
; %bb.56:
	s_or_b32 exec_lo, exec_lo, s2
	v_and_b32_e32 v80, 0x7f800000, v82
	s_delay_alu instid0(VALU_DEP_1) | instskip(SKIP_1) | instid1(SALU_CYCLE_1)
	v_cmp_ne_u32_e32 vcc_lo, 0x7f800000, v80
                                        ; implicit-def: $vgpr80
	s_and_saveexec_b32 s2, vcc_lo
	s_xor_b32 s2, exec_lo, s2
; %bb.57:
	v_bfe_u32 v80, v82, 16, 1
	s_delay_alu instid0(VALU_DEP_1)
	v_add3_u32 v80, v82, v80, 0x7fff
                                        ; implicit-def: $vgpr82
; %bb.58:
	s_and_not1_saveexec_b32 s2, s2
; %bb.59:
	v_and_b32_e32 v80, 0xffff, v82
	v_or_b32_e32 v81, 0x10000, v82
	s_delay_alu instid0(VALU_DEP_2) | instskip(NEXT) | instid1(VALU_DEP_2)
	v_cmp_eq_u32_e32 vcc_lo, 0, v80
	v_cndmask_b32_e32 v80, v81, v82, vcc_lo
; %bb.60:
	s_or_b32 exec_lo, exec_lo, s2
	v_and_b32_e32 v81, 0x7f800000, v72
	s_delay_alu instid0(VALU_DEP_1) | instskip(SKIP_1) | instid1(SALU_CYCLE_1)
	v_cmp_ne_u32_e32 vcc_lo, 0x7f800000, v81
                                        ; implicit-def: $vgpr81
	s_and_saveexec_b32 s2, vcc_lo
	s_xor_b32 s2, exec_lo, s2
; %bb.61:
	v_bfe_u32 v81, v72, 16, 1
	s_delay_alu instid0(VALU_DEP_1)
	v_add3_u32 v81, v72, v81, 0x7fff
                                        ; implicit-def: $vgpr72
; %bb.62:
	s_and_not1_saveexec_b32 s2, s2
; %bb.63:
	v_and_b32_e32 v81, 0xffff, v72
	v_or_b32_e32 v82, 0x10000, v72
	s_delay_alu instid0(VALU_DEP_2) | instskip(NEXT) | instid1(VALU_DEP_2)
	v_cmp_eq_u32_e32 vcc_lo, 0, v81
	v_cndmask_b32_e32 v81, v82, v72, vcc_lo
; %bb.64:
	s_or_b32 exec_lo, exec_lo, s2
	v_and_b32_e32 v72, 0x7f800000, v78
	s_delay_alu instid0(VALU_DEP_1) | instskip(SKIP_1) | instid1(SALU_CYCLE_1)
	v_cmp_ne_u32_e32 vcc_lo, 0x7f800000, v72
                                        ; implicit-def: $vgpr72
	s_and_saveexec_b32 s2, vcc_lo
	s_xor_b32 s2, exec_lo, s2
; %bb.65:
	v_bfe_u32 v72, v78, 16, 1
	s_delay_alu instid0(VALU_DEP_1)
	v_add3_u32 v72, v78, v72, 0x7fff
                                        ; implicit-def: $vgpr78
; %bb.66:
	s_and_not1_saveexec_b32 s2, s2
; %bb.67:
	v_and_b32_e32 v72, 0xffff, v78
	v_or_b32_e32 v82, 0x10000, v78
	s_delay_alu instid0(VALU_DEP_2) | instskip(NEXT) | instid1(VALU_DEP_2)
	v_cmp_eq_u32_e32 vcc_lo, 0, v72
	v_cndmask_b32_e32 v72, v82, v78, vcc_lo
; %bb.68:
	s_or_b32 exec_lo, exec_lo, s2
	v_and_b32_e32 v78, 0x7f800000, v79
	s_delay_alu instid0(VALU_DEP_1) | instskip(SKIP_1) | instid1(SALU_CYCLE_1)
	v_cmp_ne_u32_e32 vcc_lo, 0x7f800000, v78
                                        ; implicit-def: $vgpr78
	s_and_saveexec_b32 s2, vcc_lo
	s_xor_b32 s2, exec_lo, s2
; %bb.69:
	v_bfe_u32 v78, v79, 16, 1
	s_delay_alu instid0(VALU_DEP_1)
	v_add3_u32 v78, v79, v78, 0x7fff
                                        ; implicit-def: $vgpr79
; %bb.70:
	s_and_not1_saveexec_b32 s2, s2
; %bb.71:
	v_and_b32_e32 v78, 0xffff, v79
	v_or_b32_e32 v82, 0x10000, v79
	s_delay_alu instid0(VALU_DEP_2) | instskip(NEXT) | instid1(VALU_DEP_2)
	v_cmp_eq_u32_e32 vcc_lo, 0, v78
	v_cndmask_b32_e32 v78, v82, v79, vcc_lo
; %bb.72:
	s_or_b32 exec_lo, exec_lo, s2
	v_and_b32_e32 v79, 0x7f800000, v69
	s_delay_alu instid0(VALU_DEP_1) | instskip(SKIP_1) | instid1(SALU_CYCLE_1)
	v_cmp_ne_u32_e32 vcc_lo, 0x7f800000, v79
                                        ; implicit-def: $vgpr79
	s_and_saveexec_b32 s2, vcc_lo
	s_xor_b32 s2, exec_lo, s2
; %bb.73:
	v_bfe_u32 v79, v69, 16, 1
	s_delay_alu instid0(VALU_DEP_1)
	v_add3_u32 v79, v69, v79, 0x7fff
                                        ; implicit-def: $vgpr69
; %bb.74:
	s_and_not1_saveexec_b32 s2, s2
; %bb.75:
	v_and_b32_e32 v79, 0xffff, v69
	v_or_b32_e32 v82, 0x10000, v69
	s_delay_alu instid0(VALU_DEP_2) | instskip(NEXT) | instid1(VALU_DEP_2)
	v_cmp_eq_u32_e32 vcc_lo, 0, v79
	v_cndmask_b32_e32 v79, v82, v69, vcc_lo
; %bb.76:
	s_or_b32 exec_lo, exec_lo, s2
	s_delay_alu instid0(VALU_DEP_1)
	v_perm_b32 v86, v79, v78, 0x7060302
	v_perm_b32 v85, v72, v81, 0x7060302
	;; [unrolled: 1-line block ×4, first 2 shown]
	v_lshl_or_b32 v82, v65, 11, v76
	v_lshlrev_b32_e32 v79, 2, v74
	ds_store_b128 v77, v[83:86] offset:1024
	s_waitcnt lgkmcnt(0)
	s_barrier
	buffer_gl0_inv
	ds_load_b128 v[68:71], v82
	ds_load_b128 v[83:86], v82 offset:16
	v_or_b32_e32 v80, 1, v79
	v_cmp_eq_u32_e32 vcc_lo, 1, v79
	v_cmp_eq_u32_e64 s3, 2, v79
	v_cmp_eq_u32_e64 s6, 3, v79
	;; [unrolled: 1-line block ×6, first 2 shown]
	v_or_b32_e32 v78, 2, v79
	v_cmp_eq_u32_e64 s9, 5, v79
	v_cmp_eq_u32_e64 s10, 4, v80
	;; [unrolled: 1-line block ×9, first 2 shown]
	s_waitcnt lgkmcnt(1)
	v_lshrrev_b32_e32 v65, 16, v68
	s_waitcnt lgkmcnt(0)
	v_lshrrev_b32_e32 v91, 16, v83
	v_lshrrev_b32_e32 v72, 16, v69
	;; [unrolled: 1-line block ×4, first 2 shown]
	v_cndmask_b32_e32 v81, v68, v65, vcc_lo
	v_cndmask_b32_e32 v87, v83, v91, vcc_lo
	v_cndmask_b32_e64 v88, v68, v65, s2
	v_lshrrev_b32_e32 v98, 16, v85
	v_cndmask_b32_e64 v89, v83, v91, s2
	v_cndmask_b32_e64 v81, v81, v69, s3
	v_cndmask_b32_e64 v87, v87, v84, s3
	v_cndmask_b32_e64 v88, v88, v69, s5
	v_lshrrev_b32_e32 v96, 16, v71
	v_cndmask_b32_e64 v89, v89, v84, s5
	v_cndmask_b32_e64 v81, v81, v72, s6
	v_cndmask_b32_e64 v87, v87, v97, s6
	;; [unrolled: 5-line block ×3, first 2 shown]
	v_cndmask_b32_e64 v88, v88, v70, s10
	v_cndmask_b32_e64 v89, v89, v97, s7
	v_cmp_eq_u32_e64 s18, 3, v78
	v_cndmask_b32_e64 v81, v81, v95, s9
	v_cndmask_b32_e64 v87, v87, v98, s9
	;; [unrolled: 1-line block ×4, first 2 shown]
	v_cmp_eq_u32_e64 s19, 4, v78
	v_cndmask_b32_e64 v81, v81, v71, s11
	v_cndmask_b32_e64 v87, v87, v86, s11
	;; [unrolled: 1-line block ×3, first 2 shown]
	v_cmp_eq_u32_e64 s21, 5, v78
	v_cmp_eq_u32_e64 s23, 6, v78
	v_cndmask_b32_e64 v100, v81, v96, s13
	v_cndmask_b32_e64 v101, v87, v99, s13
	;; [unrolled: 1-line block ×6, first 2 shown]
	v_cmp_eq_u32_e64 s26, 7, v78
	v_cndmask_b32_e64 v89, v81, v72, s18
	v_cndmask_b32_e64 v87, v87, v84, s16
	v_or_b32_e32 v81, 3, v79
	v_cndmask_b32_e64 v103, v88, v86, s15
	s_delay_alu instid0(VALU_DEP_4) | instskip(NEXT) | instid1(VALU_DEP_4)
	v_cndmask_b32_e64 v92, v89, v70, s19
	v_cndmask_b32_e64 v93, v87, v97, s18
	s_delay_alu instid0(VALU_DEP_4)
	v_cmp_eq_u32_e64 s20, 1, v81
	ds_load_b128 v[87:90], v82 offset:1024
	v_cmp_eq_u32_e64 s22, 2, v81
	v_cndmask_b32_e64 v104, v92, v95, s21
	v_cmp_eq_u32_e64 s24, 3, v81
	v_cndmask_b32_e64 v65, v68, v65, s20
	v_cndmask_b32_e64 v68, v93, v85, s19
	;; [unrolled: 1-line block ×3, first 2 shown]
	ds_load_b128 v[91:94], v82 offset:1040
	v_cmp_eq_u32_e64 s25, 4, v81
	v_cndmask_b32_e64 v65, v65, v69, s22
	v_cmp_eq_u32_e64 s27, 5, v81
	v_cndmask_b32_e64 v69, v83, v84, s22
	;; [unrolled: 2-line block ×3, first 2 shown]
	v_cndmask_b32_e64 v65, v65, v72, s24
	v_cndmask_b32_e64 v72, v104, v71, s23
	;; [unrolled: 1-line block ×6, first 2 shown]
	s_waitcnt lgkmcnt(1)
	v_lshrrev_b32_e32 v84, 16, v87
	v_cndmask_b32_e64 v69, v69, v85, s25
	v_cndmask_b32_e64 v70, v72, v96, s26
	;; [unrolled: 1-line block ×4, first 2 shown]
	v_cndmask_b32_e32 v72, v87, v84, vcc_lo
	v_cndmask_b32_e64 v69, v69, v98, s27
	s_waitcnt lgkmcnt(0)
	v_lshrrev_b32_e32 v85, 16, v91
	v_lshrrev_b32_e32 v95, 16, v88
	v_cndmask_b32_e64 v97, v87, v84, s2
	v_cndmask_b32_e64 v72, v72, v88, s3
	;; [unrolled: 1-line block ×3, first 2 shown]
	v_cndmask_b32_e32 v98, v91, v85, vcc_lo
	v_cmp_eq_u32_e32 vcc_lo, 7, v81
	v_cndmask_b32_e64 v69, v69, v86, s28
	v_cndmask_b32_e64 v71, v72, v95, s6
	;; [unrolled: 1-line block ×3, first 2 shown]
	v_lshrrev_b32_e32 v97, 16, v92
	v_cndmask_b32_e32 v65, v65, v96, vcc_lo
	v_cndmask_b32_e64 v86, v98, v92, s3
	v_cndmask_b32_e32 v69, v69, v99, vcc_lo
	v_lshrrev_b32_e32 v99, 16, v93
	v_cndmask_b32_e64 v71, v71, v89, s8
	v_lshrrev_b32_e32 v98, 16, v89
	v_cndmask_b32_e64 v86, v86, v97, s6
	v_perm_b32 v70, v68, v70, 0x5040100
	v_cndmask_b32_e64 v72, v72, v95, s7
	s_delay_alu instid0(VALU_DEP_4) | instskip(NEXT) | instid1(VALU_DEP_4)
	v_cndmask_b32_e64 v96, v71, v98, s9
	v_cndmask_b32_e64 v86, v86, v93, s8
	v_perm_b32 v71, v69, v65, 0x5040100
	v_perm_b32 v69, v83, v102, 0x5040100
	v_cndmask_b32_e64 v102, v91, v85, s4
	v_cndmask_b32_e64 v72, v72, v89, s10
	;; [unrolled: 1-line block ×3, first 2 shown]
	v_lshrrev_b32_e32 v83, 16, v94
	s_delay_alu instid0(VALU_DEP_3) | instskip(NEXT) | instid1(VALU_DEP_3)
	v_cndmask_b32_e64 v65, v72, v98, s12
	v_cndmask_b32_e64 v68, v86, v94, s11
	;; [unrolled: 1-line block ×27, first 2 shown]
	v_lshrrev_b32_e32 v96, 16, v90
	v_cndmask_b32_e64 v65, v65, v90, s15
	v_cndmask_b32_e64 v86, v86, v90, s23
	;; [unrolled: 1-line block ×9, first 2 shown]
	v_cndmask_b32_e32 v84, v84, v96, vcc_lo
	v_cndmask_b32_e32 v86, v87, v83, vcc_lo
	v_cndmask_b32_e64 v87, v88, v83, s26
	v_cndmask_b32_e64 v88, v85, v83, s17
	;; [unrolled: 1-line block ×3, first 2 shown]
	v_perm_b32 v68, v101, v100, 0x5040100
	v_perm_b32 v86, v86, v84, 0x5040100
	;; [unrolled: 1-line block ×5, first 2 shown]
	s_lshl_b32 s7, s35, 4
	s_mov_b32 s2, exec_lo
	ds_store_b128 v77, v[68:71]
	ds_store_b128 v77, v[83:86] offset:1024
	v_cmpx_gt_u32_e32 16, v0
	s_cbranch_execz .LBB1869_78
; %bb.77:
	v_or_b32_e32 v65, s29, v0
	s_load_b128 s[8:11], s[0:1], 0x58
	s_delay_alu instid0(VALU_DEP_1) | instskip(NEXT) | instid1(VALU_DEP_1)
	v_mad_u64_u32 v[68:69], null, s7, s30, v[65:66]
	v_mad_u64_u32 v[69:70], null, v68, s34, s[14:15]
	s_delay_alu instid0(VALU_DEP_1) | instskip(NEXT) | instid1(VALU_DEP_1)
	v_ashrrev_i32_e32 v70, 31, v69
	v_lshlrev_b64 v[68:69], 2, v[69:70]
	s_waitcnt lgkmcnt(0)
	s_delay_alu instid0(VALU_DEP_1) | instskip(NEXT) | instid1(VALU_DEP_2)
	v_add_co_u32 v70, vcc_lo, s10, v68
	v_add_co_ci_u32_e32 v71, vcc_lo, s11, v69, vcc_lo
	v_add_co_u32 v68, vcc_lo, s8, v68
	v_add_co_ci_u32_e32 v69, vcc_lo, s9, v69, vcc_lo
	global_store_b32 v[70:71], v66, off
	global_store_b32 v[68:69], v67, off
.LBB1869_78:
	s_or_b32 exec_lo, exec_lo, s2
	s_waitcnt lgkmcnt(0)
	s_waitcnt_vscnt null, 0x0
	s_barrier
	buffer_gl0_inv
	ds_load_b128 v[83:86], v76
	ds_load_b128 v[87:90], v76 offset:16
	ds_load_b128 v[95:98], v76 offset:2064
	;; [unrolled: 1-line block ×3, first 2 shown]
	v_mov_b32_e32 v65, 0
	ds_load_b128 v[103:106], v76 offset:4112
	ds_load_b128 v[99:102], v76 offset:4096
	;; [unrolled: 1-line block ×4, first 2 shown]
	v_mov_b32_e32 v66, v65
	v_mov_b32_e32 v67, v65
	;; [unrolled: 1-line block ×7, first 2 shown]
	s_waitcnt lgkmcnt(6)
	s_delay_alu instid0(VALU_DEP_1)
	v_wmma_f32_16x16x16_bf16 v[65:72], v[49:56], v[83:90], v[65:72]
	ds_load_b128 v[53:56], v76 offset:8208
	ds_load_b128 v[49:52], v76 offset:8192
	s_waitcnt lgkmcnt(6)
	v_wmma_f32_16x16x16_bf16 v[65:72], v[41:48], v[91:98], v[65:72]
	ds_load_b128 v[45:48], v76 offset:10256
	ds_load_b128 v[41:44], v76 offset:10240
	s_waitcnt lgkmcnt(6)
	;; [unrolled: 4-line block ×4, first 2 shown]
	v_wmma_f32_16x16x16_bf16 v[65:72], v[1:8], v[49:56], v[65:72]
	s_waitcnt lgkmcnt(4)
	s_delay_alu instid0(VALU_DEP_1) | instskip(SKIP_1) | instid1(VALU_DEP_1)
	v_wmma_f32_16x16x16_bf16 v[65:72], v[9:16], v[41:48], v[65:72]
	s_waitcnt lgkmcnt(2)
	v_wmma_f32_16x16x16_bf16 v[65:72], v[17:24], v[33:40], v[65:72]
	s_waitcnt lgkmcnt(0)
	s_delay_alu instid0(VALU_DEP_1) | instskip(NEXT) | instid1(VALU_DEP_1)
	v_wmma_f32_16x16x16_bf16 v[65:72], v[57:64], v[25:32], v[65:72]
	v_and_b32_e32 v1, 0x7f800000, v65
	s_delay_alu instid0(VALU_DEP_1) | instskip(SKIP_1) | instid1(SALU_CYCLE_1)
	v_cmp_ne_u32_e32 vcc_lo, 0x7f800000, v1
                                        ; implicit-def: $vgpr1
	s_and_saveexec_b32 s2, vcc_lo
	s_xor_b32 s2, exec_lo, s2
; %bb.79:
	v_bfe_u32 v1, v65, 16, 1
	s_delay_alu instid0(VALU_DEP_1)
	v_add3_u32 v1, v65, v1, 0x7fff
; %bb.80:
	s_and_not1_saveexec_b32 s2, s2
; %bb.81:
	v_and_b32_e32 v1, 0xffff, v65
	v_or_b32_e32 v2, 0x10000, v65
	s_delay_alu instid0(VALU_DEP_2) | instskip(NEXT) | instid1(VALU_DEP_2)
	v_cmp_eq_u32_e32 vcc_lo, 0, v1
	v_cndmask_b32_e32 v1, v2, v65, vcc_lo
; %bb.82:
	s_or_b32 exec_lo, exec_lo, s2
	v_and_b32_e32 v2, 0x7f800000, v66
	s_delay_alu instid0(VALU_DEP_1) | instskip(SKIP_1) | instid1(SALU_CYCLE_1)
	v_cmp_ne_u32_e32 vcc_lo, 0x7f800000, v2
                                        ; implicit-def: $vgpr2
	s_and_saveexec_b32 s2, vcc_lo
	s_xor_b32 s2, exec_lo, s2
; %bb.83:
	v_bfe_u32 v2, v66, 16, 1
	s_delay_alu instid0(VALU_DEP_1)
	v_add3_u32 v2, v66, v2, 0x7fff
; %bb.84:
	s_and_not1_saveexec_b32 s2, s2
; %bb.85:
	v_and_b32_e32 v2, 0xffff, v66
	v_or_b32_e32 v3, 0x10000, v66
	s_delay_alu instid0(VALU_DEP_2) | instskip(NEXT) | instid1(VALU_DEP_2)
	v_cmp_eq_u32_e32 vcc_lo, 0, v2
	v_cndmask_b32_e32 v2, v3, v66, vcc_lo
; %bb.86:
	s_or_b32 exec_lo, exec_lo, s2
	v_and_b32_e32 v3, 0x7f800000, v67
	s_delay_alu instid0(VALU_DEP_1) | instskip(SKIP_1) | instid1(SALU_CYCLE_1)
	v_cmp_ne_u32_e32 vcc_lo, 0x7f800000, v3
                                        ; implicit-def: $vgpr3
	s_and_saveexec_b32 s2, vcc_lo
	s_xor_b32 s2, exec_lo, s2
; %bb.87:
	v_bfe_u32 v3, v67, 16, 1
	s_delay_alu instid0(VALU_DEP_1)
	v_add3_u32 v3, v67, v3, 0x7fff
; %bb.88:
	s_and_not1_saveexec_b32 s2, s2
; %bb.89:
	v_and_b32_e32 v3, 0xffff, v67
	v_or_b32_e32 v4, 0x10000, v67
	s_delay_alu instid0(VALU_DEP_2) | instskip(NEXT) | instid1(VALU_DEP_2)
	v_cmp_eq_u32_e32 vcc_lo, 0, v3
	v_cndmask_b32_e32 v3, v4, v67, vcc_lo
; %bb.90:
	s_or_b32 exec_lo, exec_lo, s2
	v_and_b32_e32 v4, 0x7f800000, v68
	s_delay_alu instid0(VALU_DEP_1) | instskip(SKIP_1) | instid1(SALU_CYCLE_1)
	v_cmp_ne_u32_e32 vcc_lo, 0x7f800000, v4
                                        ; implicit-def: $vgpr4
	s_and_saveexec_b32 s2, vcc_lo
	s_xor_b32 s2, exec_lo, s2
; %bb.91:
	v_bfe_u32 v4, v68, 16, 1
	s_delay_alu instid0(VALU_DEP_1)
	v_add3_u32 v4, v68, v4, 0x7fff
; %bb.92:
	s_and_not1_saveexec_b32 s2, s2
; %bb.93:
	v_and_b32_e32 v4, 0xffff, v68
	v_or_b32_e32 v5, 0x10000, v68
	s_delay_alu instid0(VALU_DEP_2) | instskip(NEXT) | instid1(VALU_DEP_2)
	v_cmp_eq_u32_e32 vcc_lo, 0, v4
	v_cndmask_b32_e32 v4, v5, v68, vcc_lo
; %bb.94:
	s_or_b32 exec_lo, exec_lo, s2
	v_and_b32_e32 v5, 0x7f800000, v69
	s_delay_alu instid0(VALU_DEP_1) | instskip(SKIP_1) | instid1(SALU_CYCLE_1)
	v_cmp_ne_u32_e32 vcc_lo, 0x7f800000, v5
                                        ; implicit-def: $vgpr5
	s_and_saveexec_b32 s2, vcc_lo
	s_xor_b32 s2, exec_lo, s2
; %bb.95:
	v_bfe_u32 v5, v69, 16, 1
	s_delay_alu instid0(VALU_DEP_1)
	v_add3_u32 v5, v69, v5, 0x7fff
; %bb.96:
	s_and_not1_saveexec_b32 s2, s2
; %bb.97:
	v_and_b32_e32 v5, 0xffff, v69
	v_or_b32_e32 v6, 0x10000, v69
	s_delay_alu instid0(VALU_DEP_2) | instskip(NEXT) | instid1(VALU_DEP_2)
	v_cmp_eq_u32_e32 vcc_lo, 0, v5
	v_cndmask_b32_e32 v5, v6, v69, vcc_lo
; %bb.98:
	s_or_b32 exec_lo, exec_lo, s2
	v_and_b32_e32 v6, 0x7f800000, v70
	s_delay_alu instid0(VALU_DEP_1) | instskip(SKIP_1) | instid1(SALU_CYCLE_1)
	v_cmp_ne_u32_e32 vcc_lo, 0x7f800000, v6
                                        ; implicit-def: $vgpr6
	s_and_saveexec_b32 s2, vcc_lo
	s_xor_b32 s2, exec_lo, s2
; %bb.99:
	v_bfe_u32 v6, v70, 16, 1
	s_delay_alu instid0(VALU_DEP_1)
	v_add3_u32 v6, v70, v6, 0x7fff
; %bb.100:
	s_and_not1_saveexec_b32 s2, s2
; %bb.101:
	v_and_b32_e32 v6, 0xffff, v70
	v_or_b32_e32 v7, 0x10000, v70
	s_delay_alu instid0(VALU_DEP_2) | instskip(NEXT) | instid1(VALU_DEP_2)
	v_cmp_eq_u32_e32 vcc_lo, 0, v6
	v_cndmask_b32_e32 v6, v7, v70, vcc_lo
; %bb.102:
	s_or_b32 exec_lo, exec_lo, s2
	v_and_b32_e32 v7, 0x7f800000, v71
	s_delay_alu instid0(VALU_DEP_1) | instskip(SKIP_1) | instid1(SALU_CYCLE_1)
	v_cmp_ne_u32_e32 vcc_lo, 0x7f800000, v7
                                        ; implicit-def: $vgpr7
	s_and_saveexec_b32 s2, vcc_lo
	s_xor_b32 s2, exec_lo, s2
; %bb.103:
	v_bfe_u32 v7, v71, 16, 1
	s_delay_alu instid0(VALU_DEP_1)
	v_add3_u32 v7, v71, v7, 0x7fff
; %bb.104:
	s_and_not1_saveexec_b32 s2, s2
; %bb.105:
	v_and_b32_e32 v7, 0xffff, v71
	v_or_b32_e32 v8, 0x10000, v71
	s_delay_alu instid0(VALU_DEP_2) | instskip(NEXT) | instid1(VALU_DEP_2)
	v_cmp_eq_u32_e32 vcc_lo, 0, v7
	v_cndmask_b32_e32 v7, v8, v71, vcc_lo
; %bb.106:
	s_or_b32 exec_lo, exec_lo, s2
	v_and_b32_e32 v8, 0x7f800000, v72
	s_delay_alu instid0(VALU_DEP_1) | instskip(SKIP_1) | instid1(SALU_CYCLE_1)
	v_cmp_ne_u32_e32 vcc_lo, 0x7f800000, v8
                                        ; implicit-def: $vgpr8
	s_and_saveexec_b32 s2, vcc_lo
	s_xor_b32 s2, exec_lo, s2
; %bb.107:
	v_bfe_u32 v8, v72, 16, 1
	s_delay_alu instid0(VALU_DEP_1)
	v_add3_u32 v8, v72, v8, 0x7fff
                                        ; implicit-def: $vgpr65_vgpr66_vgpr67_vgpr68_vgpr69_vgpr70_vgpr71_vgpr72
; %bb.108:
	s_and_not1_saveexec_b32 s2, s2
; %bb.109:
	v_and_b32_e32 v8, 0xffff, v72
	v_or_b32_e32 v9, 0x10000, v72
	s_delay_alu instid0(VALU_DEP_2) | instskip(NEXT) | instid1(VALU_DEP_2)
	v_cmp_eq_u32_e32 vcc_lo, 0, v8
	v_cndmask_b32_e32 v8, v9, v72, vcc_lo
; %bb.110:
	s_or_b32 exec_lo, exec_lo, s2
	s_delay_alu instid0(VALU_DEP_1)
	v_perm_b32 v7, v8, v7, 0x7060302
	v_perm_b32 v6, v6, v5, 0x7060302
	;; [unrolled: 1-line block ×4, first 2 shown]
	s_barrier
	buffer_gl0_inv
	v_cmp_eq_u32_e32 vcc_lo, 1, v79
	ds_store_b128 v77, v[4:7]
	s_waitcnt lgkmcnt(0)
	s_barrier
	buffer_gl0_inv
	ds_load_b128 v[1:4], v82
	ds_load_b128 v[5:8], v82 offset:16
	v_cmp_eq_u32_e64 s2, 1, v80
	v_cmp_eq_u32_e64 s3, 2, v79
	;; [unrolled: 1-line block ×5, first 2 shown]
	s_waitcnt lgkmcnt(1)
	v_lshrrev_b32_e32 v9, 16, v1
	s_waitcnt lgkmcnt(0)
	v_lshrrev_b32_e32 v13, 16, v5
	v_lshrrev_b32_e32 v10, 16, v2
	;; [unrolled: 1-line block ×4, first 2 shown]
	v_cndmask_b32_e64 v19, v1, v9, s2
	v_cndmask_b32_e32 v18, v5, v13, vcc_lo
	v_cndmask_b32_e64 v20, v5, v13, s2
	v_cndmask_b32_e32 v17, v1, v9, vcc_lo
	v_cmp_eq_u32_e32 vcc_lo, 2, v80
	v_lshrrev_b32_e32 v15, 16, v7
	v_cmp_eq_u32_e64 s2, 1, v78
	v_lshrrev_b32_e32 v12, 16, v4
	v_lshrrev_b32_e32 v16, 16, v8
	v_cndmask_b32_e32 v20, v20, v6, vcc_lo
	v_cndmask_b32_e64 v17, v17, v2, s3
	v_cndmask_b32_e32 v19, v19, v2, vcc_lo
	v_cndmask_b32_e64 v18, v18, v6, s3
	v_cmp_eq_u32_e32 vcc_lo, 4, v79
	v_cmp_eq_u32_e64 s3, 3, v80
	v_cndmask_b32_e64 v17, v17, v10, s4
	v_cndmask_b32_e64 v21, v1, v9, s2
	;; [unrolled: 1-line block ×5, first 2 shown]
	v_cndmask_b32_e32 v17, v17, v3, vcc_lo
	v_cndmask_b32_e64 v20, v20, v14, s3
	v_cndmask_b32_e32 v18, v18, v7, vcc_lo
	v_cmp_eq_u32_e32 vcc_lo, 4, v80
	v_cmp_eq_u32_e64 s3, 5, v80
	v_cmp_eq_u32_e64 s2, 2, v81
	v_cndmask_b32_e64 v21, v21, v2, s6
	v_cmp_eq_u32_e64 s4, 5, v79
	v_cndmask_b32_e32 v19, v19, v3, vcc_lo
	v_cndmask_b32_e32 v20, v20, v7, vcc_lo
	v_cmp_eq_u32_e32 vcc_lo, 6, v80
	s_delay_alu instid0(VALU_DEP_4) | instskip(NEXT) | instid1(VALU_DEP_4)
	v_cndmask_b32_e64 v17, v17, v11, s4
	v_cndmask_b32_e64 v19, v19, v11, s3
	s_delay_alu instid0(VALU_DEP_4) | instskip(SKIP_1) | instid1(VALU_DEP_3)
	v_cndmask_b32_e64 v20, v20, v15, s3
	v_cmp_eq_u32_e64 s3, 1, v81
	v_cndmask_b32_e32 v19, v19, v4, vcc_lo
	v_cndmask_b32_e64 v18, v18, v15, s4
	s_delay_alu instid0(VALU_DEP_3)
	v_cndmask_b32_e64 v1, v1, v9, s3
	v_cndmask_b32_e64 v5, v5, v13, s3
	v_cmp_eq_u32_e64 s3, 3, v78
	v_cndmask_b32_e64 v13, v22, v6, s6
	v_cmp_eq_u32_e64 s6, 3, v81
	v_cndmask_b32_e64 v1, v1, v2, s2
	v_cndmask_b32_e64 v2, v5, v6, s2
	;; [unrolled: 1-line block ×3, first 2 shown]
	v_cmp_eq_u32_e64 s2, 4, v78
	v_cndmask_b32_e64 v6, v13, v14, s3
	v_cndmask_b32_e64 v1, v1, v10, s6
	v_cmp_eq_u32_e64 s3, 4, v81
	v_cndmask_b32_e64 v2, v2, v14, s6
	v_cndmask_b32_e64 v5, v9, v3, s2
	;; [unrolled: 3-line block ×3, first 2 shown]
	v_cndmask_b32_e64 v2, v2, v7, s3
	v_cmp_eq_u32_e64 s2, 5, v81
	v_cmp_eq_u32_e64 s4, 6, v79
	v_cndmask_b32_e64 v5, v5, v11, s6
	v_cmp_eq_u32_e64 s3, 6, v78
	v_cndmask_b32_e64 v3, v6, v15, s6
	v_cndmask_b32_e64 v1, v1, v11, s2
	v_cmp_eq_u32_e64 s6, 6, v81
	v_cndmask_b32_e64 v2, v2, v15, s2
	v_cndmask_b32_e64 v17, v17, v4, s4
	v_cndmask_b32_e64 v18, v18, v8, s4
	v_cmp_eq_u32_e64 s4, 7, v79
	v_cndmask_b32_e64 v5, v5, v4, s3
	v_cndmask_b32_e64 v3, v3, v8, s3
	v_cndmask_b32_e64 v1, v1, v4, s6
	v_cmp_eq_u32_e64 s2, 7, v81
	v_cndmask_b32_e64 v2, v2, v8, s6
	v_cmp_eq_u32_e64 s3, 7, v78
	v_cndmask_b32_e32 v4, v20, v8, vcc_lo
	v_cndmask_b32_e64 v17, v17, v12, s4
	v_cndmask_b32_e64 v19, v19, v12, s5
	v_cndmask_b32_e64 v1, v1, v12, s2
	v_cndmask_b32_e64 v5, v5, v12, s3
	v_cndmask_b32_e64 v2, v2, v16, s2
	v_cndmask_b32_e64 v3, v3, v16, s3
	v_cndmask_b32_e64 v6, v4, v16, s5
	v_cndmask_b32_e64 v7, v18, v16, s4
	s_mov_b32 s2, exec_lo
	v_perm_b32 v4, v2, v1, 0x5040100
	v_perm_b32 v3, v3, v5, 0x5040100
	;; [unrolled: 1-line block ×4, first 2 shown]
	ds_store_b128 v77, v[1:4]
	s_waitcnt lgkmcnt(0)
	s_barrier
	buffer_gl0_inv
	v_cmpx_gt_u32_e32 32, v0
	s_cbranch_execz .LBB1869_2
; %bb.111:
	s_load_b64 s[0:1], s[0:1], 0x68
	v_lshlrev_b32_e32 v0, 10, v0
	s_lshl_b32 s4, s34, 7
	v_or_b32_e32 v23, s29, v74
	s_mul_i32 s2, s4, s30
	v_lshlrev_b32_e32 v1, 4, v75
	v_lshlrev_b32_e32 v2, 6, v74
	s_mul_i32 s2, s2, s7
	v_and_b32_e32 v0, 0x3800, v0
	v_mul_lo_u32 v8, v23, s4
	s_ashr_i32 s3, s2, 31
	v_or_b32_e32 v3, 2, v23
	s_lshl_b64 s[2:3], s[2:3], 1
	v_or3_b32 v27, v0, v1, v2
	v_or_b32_e32 v11, 4, v23
	v_or_b32_e32 v18, 6, v23
	v_mul_lo_u32 v10, v3, s4
	v_ashrrev_i32_e32 v9, 31, v8
	ds_load_b128 v[0:3], v27
	ds_load_b128 v[4:7], v27 offset:128
	v_mul_lo_u32 v12, v11, s4
	s_waitcnt lgkmcnt(0)
	s_add_u32 s2, s0, s2
	s_addc_u32 s3, s1, s3
	s_lshl_b32 s0, s14, 7
	v_lshlrev_b64 v[8:9], 1, v[8:9]
	s_ashr_i32 s1, s0, 31
	v_ashrrev_i32_e32 v11, 31, v10
	s_lshl_b64 s[0:1], s[0:1], 1
	v_ashrrev_i32_e32 v13, 31, v12
	s_add_u32 s0, s2, s0
	s_addc_u32 s1, s3, s1
	v_add_co_u32 v30, s0, s0, v73
	s_delay_alu instid0(VALU_DEP_1) | instskip(SKIP_1) | instid1(VALU_DEP_3)
	v_add_co_ci_u32_e64 v31, null, s1, 0, s0
	v_lshlrev_b64 v[16:17], 1, v[10:11]
	v_add_co_u32 v14, vcc_lo, v30, v8
	s_delay_alu instid0(VALU_DEP_3)
	v_add_co_ci_u32_e32 v15, vcc_lo, v31, v9, vcc_lo
	ds_load_b128 v[8:11], v27 offset:256
	v_mul_lo_u32 v18, v18, s4
	v_or_b32_e32 v19, 8, v23
	v_add_co_u32 v16, vcc_lo, v30, v16
	global_store_b128 v[14:15], v[0:3], off
	v_lshlrev_b64 v[0:1], 1, v[12:13]
	v_add_co_ci_u32_e32 v17, vcc_lo, v31, v17, vcc_lo
	v_mul_lo_u32 v12, v19, s4
	v_ashrrev_i32_e32 v19, 31, v18
	v_or_b32_e32 v14, 10, v23
	global_store_b128 v[16:17], v[4:7], off
	v_add_co_u32 v4, vcc_lo, v30, v0
	v_add_co_ci_u32_e32 v5, vcc_lo, v31, v1, vcc_lo
	ds_load_b128 v[0:3], v27 offset:384
	v_ashrrev_i32_e32 v13, 31, v12
	v_lshlrev_b64 v[6:7], 1, v[18:19]
	v_mul_lo_u32 v14, v14, s4
	s_waitcnt lgkmcnt(1)
	global_store_b128 v[4:5], v[8:11], off
	v_or_b32_e32 v8, 12, v23
	v_lshlrev_b64 v[4:5], 1, v[12:13]
	v_add_co_u32 v20, vcc_lo, v30, v6
	v_or_b32_e32 v6, 14, v23
	v_ashrrev_i32_e32 v15, 31, v14
	v_mul_lo_u32 v22, v8, s4
	v_add_co_ci_u32_e32 v21, vcc_lo, v31, v7, vcc_lo
	v_add_co_u32 v24, vcc_lo, v30, v4
	v_mul_lo_u32 v26, v6, s4
	v_add_co_ci_u32_e32 v25, vcc_lo, v31, v5, vcc_lo
	v_lshlrev_b64 v[28:29], 1, v[14:15]
	ds_load_b128 v[4:7], v27 offset:512
	ds_load_b128 v[8:11], v27 offset:640
	;; [unrolled: 1-line block ×4, first 2 shown]
	v_ashrrev_i32_e32 v23, 31, v22
	v_ashrrev_i32_e32 v27, 31, v26
	v_add_co_u32 v28, vcc_lo, v30, v28
	s_delay_alu instid0(VALU_DEP_3) | instskip(SKIP_1) | instid1(VALU_DEP_4)
	v_lshlrev_b64 v[22:23], 1, v[22:23]
	v_add_co_ci_u32_e32 v29, vcc_lo, v31, v29, vcc_lo
	v_lshlrev_b64 v[26:27], 1, v[26:27]
	s_delay_alu instid0(VALU_DEP_3) | instskip(NEXT) | instid1(VALU_DEP_4)
	v_add_co_u32 v22, vcc_lo, v30, v22
	v_add_co_ci_u32_e32 v23, vcc_lo, v31, v23, vcc_lo
	s_delay_alu instid0(VALU_DEP_3) | instskip(NEXT) | instid1(VALU_DEP_4)
	v_add_co_u32 v26, vcc_lo, v30, v26
	v_add_co_ci_u32_e32 v27, vcc_lo, v31, v27, vcc_lo
	s_waitcnt lgkmcnt(4)
	global_store_b128 v[20:21], v[0:3], off
	s_waitcnt lgkmcnt(3)
	global_store_b128 v[24:25], v[4:7], off
	;; [unrolled: 2-line block ×5, first 2 shown]
	s_nop 0
	s_sendmsg sendmsg(MSG_DEALLOC_VGPRS)
	s_endpgm
	.section	.rodata,"a",@progbits
	.p2align	6, 0x0
	.amdhsa_kernel _Z39paged_attention_ll4mi_QKV_mfma16_kernelI14__hip_bfloat16hLN4vllm18Fp8KVCacheDataTypeE1EhLi32ELi128ELi256ELb1ELi16EL8MFMAType0EEvPKT_PKT0_S9_ifPKiSB_SB_iPKfiiiPfSE_PS4_PT2_iSD_SD_
		.amdhsa_group_segment_fixed_size 17472
		.amdhsa_private_segment_fixed_size 0
		.amdhsa_kernarg_size 400
		.amdhsa_user_sgpr_count 13
		.amdhsa_user_sgpr_dispatch_ptr 0
		.amdhsa_user_sgpr_queue_ptr 0
		.amdhsa_user_sgpr_kernarg_segment_ptr 1
		.amdhsa_user_sgpr_dispatch_id 0
		.amdhsa_user_sgpr_private_segment_size 0
		.amdhsa_wavefront_size32 1
		.amdhsa_uses_dynamic_stack 0
		.amdhsa_enable_private_segment 0
		.amdhsa_system_sgpr_workgroup_id_x 1
		.amdhsa_system_sgpr_workgroup_id_y 1
		.amdhsa_system_sgpr_workgroup_id_z 1
		.amdhsa_system_sgpr_workgroup_info 0
		.amdhsa_system_vgpr_workitem_id 0
		.amdhsa_next_free_vgpr 141
		.amdhsa_next_free_sgpr 36
		.amdhsa_reserve_vcc 1
		.amdhsa_float_round_mode_32 0
		.amdhsa_float_round_mode_16_64 0
		.amdhsa_float_denorm_mode_32 3
		.amdhsa_float_denorm_mode_16_64 3
		.amdhsa_dx10_clamp 1
		.amdhsa_ieee_mode 1
		.amdhsa_fp16_overflow 0
		.amdhsa_workgroup_processor_mode 1
		.amdhsa_memory_ordered 1
		.amdhsa_forward_progress 0
		.amdhsa_shared_vgpr_count 0
		.amdhsa_exception_fp_ieee_invalid_op 0
		.amdhsa_exception_fp_denorm_src 0
		.amdhsa_exception_fp_ieee_div_zero 0
		.amdhsa_exception_fp_ieee_overflow 0
		.amdhsa_exception_fp_ieee_underflow 0
		.amdhsa_exception_fp_ieee_inexact 0
		.amdhsa_exception_int_div_zero 0
	.end_amdhsa_kernel
	.section	.text._Z39paged_attention_ll4mi_QKV_mfma16_kernelI14__hip_bfloat16hLN4vllm18Fp8KVCacheDataTypeE1EhLi32ELi128ELi256ELb1ELi16EL8MFMAType0EEvPKT_PKT0_S9_ifPKiSB_SB_iPKfiiiPfSE_PS4_PT2_iSD_SD_,"axG",@progbits,_Z39paged_attention_ll4mi_QKV_mfma16_kernelI14__hip_bfloat16hLN4vllm18Fp8KVCacheDataTypeE1EhLi32ELi128ELi256ELb1ELi16EL8MFMAType0EEvPKT_PKT0_S9_ifPKiSB_SB_iPKfiiiPfSE_PS4_PT2_iSD_SD_,comdat
.Lfunc_end1869:
	.size	_Z39paged_attention_ll4mi_QKV_mfma16_kernelI14__hip_bfloat16hLN4vllm18Fp8KVCacheDataTypeE1EhLi32ELi128ELi256ELb1ELi16EL8MFMAType0EEvPKT_PKT0_S9_ifPKiSB_SB_iPKfiiiPfSE_PS4_PT2_iSD_SD_, .Lfunc_end1869-_Z39paged_attention_ll4mi_QKV_mfma16_kernelI14__hip_bfloat16hLN4vllm18Fp8KVCacheDataTypeE1EhLi32ELi128ELi256ELb1ELi16EL8MFMAType0EEvPKT_PKT0_S9_ifPKiSB_SB_iPKfiiiPfSE_PS4_PT2_iSD_SD_
                                        ; -- End function
	.section	.AMDGPU.csdata,"",@progbits
; Kernel info:
; codeLenInByte = 9048
; NumSgprs: 38
; NumVgprs: 141
; ScratchSize: 0
; MemoryBound: 0
; FloatMode: 240
; IeeeMode: 1
; LDSByteSize: 17472 bytes/workgroup (compile time only)
; SGPRBlocks: 4
; VGPRBlocks: 17
; NumSGPRsForWavesPerEU: 38
; NumVGPRsForWavesPerEU: 141
; Occupancy: 10
; WaveLimiterHint : 1
; COMPUTE_PGM_RSRC2:SCRATCH_EN: 0
; COMPUTE_PGM_RSRC2:USER_SGPR: 13
; COMPUTE_PGM_RSRC2:TRAP_HANDLER: 0
; COMPUTE_PGM_RSRC2:TGID_X_EN: 1
; COMPUTE_PGM_RSRC2:TGID_Y_EN: 1
; COMPUTE_PGM_RSRC2:TGID_Z_EN: 1
; COMPUTE_PGM_RSRC2:TIDIG_COMP_CNT: 0
	.section	.text._Z39paged_attention_ll4mi_QKV_mfma16_kernelI14__hip_bfloat16hLN4vllm18Fp8KVCacheDataTypeE1EhLi32ELi128ELi256ELb1ELi1EL8MFMAType0EEvPKT_PKT0_S9_ifPKiSB_SB_iPKfiiiPfSE_PS4_PT2_iSD_SD_,"axG",@progbits,_Z39paged_attention_ll4mi_QKV_mfma16_kernelI14__hip_bfloat16hLN4vllm18Fp8KVCacheDataTypeE1EhLi32ELi128ELi256ELb1ELi1EL8MFMAType0EEvPKT_PKT0_S9_ifPKiSB_SB_iPKfiiiPfSE_PS4_PT2_iSD_SD_,comdat
	.protected	_Z39paged_attention_ll4mi_QKV_mfma16_kernelI14__hip_bfloat16hLN4vllm18Fp8KVCacheDataTypeE1EhLi32ELi128ELi256ELb1ELi1EL8MFMAType0EEvPKT_PKT0_S9_ifPKiSB_SB_iPKfiiiPfSE_PS4_PT2_iSD_SD_ ; -- Begin function _Z39paged_attention_ll4mi_QKV_mfma16_kernelI14__hip_bfloat16hLN4vllm18Fp8KVCacheDataTypeE1EhLi32ELi128ELi256ELb1ELi1EL8MFMAType0EEvPKT_PKT0_S9_ifPKiSB_SB_iPKfiiiPfSE_PS4_PT2_iSD_SD_
	.globl	_Z39paged_attention_ll4mi_QKV_mfma16_kernelI14__hip_bfloat16hLN4vllm18Fp8KVCacheDataTypeE1EhLi32ELi128ELi256ELb1ELi1EL8MFMAType0EEvPKT_PKT0_S9_ifPKiSB_SB_iPKfiiiPfSE_PS4_PT2_iSD_SD_
	.p2align	8
	.type	_Z39paged_attention_ll4mi_QKV_mfma16_kernelI14__hip_bfloat16hLN4vllm18Fp8KVCacheDataTypeE1EhLi32ELi128ELi256ELb1ELi1EL8MFMAType0EEvPKT_PKT0_S9_ifPKiSB_SB_iPKfiiiPfSE_PS4_PT2_iSD_SD_,@function
_Z39paged_attention_ll4mi_QKV_mfma16_kernelI14__hip_bfloat16hLN4vllm18Fp8KVCacheDataTypeE1EhLi32ELi128ELi256ELb1ELi1EL8MFMAType0EEvPKT_PKT0_S9_ifPKiSB_SB_iPKfiiiPfSE_PS4_PT2_iSD_SD_: ; @_Z39paged_attention_ll4mi_QKV_mfma16_kernelI14__hip_bfloat16hLN4vllm18Fp8KVCacheDataTypeE1EhLi32ELi128ELi256ELb1ELi1EL8MFMAType0EEvPKT_PKT0_S9_ifPKiSB_SB_iPKfiiiPfSE_PS4_PT2_iSD_SD_
; %bb.0:
	s_load_b64 s[4:5], s[0:1], 0x30
	s_mov_b32 s34, s13
	s_waitcnt lgkmcnt(0)
	s_cmp_lg_u64 s[4:5], 0
	s_cselect_b32 s6, -1, 0
	s_ashr_i32 s35, s13, 31
	s_cmp_eq_u64 s[4:5], 0
	s_cbranch_scc1 .LBB1870_3
; %bb.1:
	s_lshl_b64 s[2:3], s[34:35], 2
	s_delay_alu instid0(SALU_CYCLE_1) | instskip(SKIP_4) | instid1(SALU_CYCLE_1)
	s_add_u32 s2, s4, s2
	s_addc_u32 s3, s5, s3
	s_load_b64 s[2:3], s[2:3], 0x0
	s_waitcnt lgkmcnt(0)
	s_sub_i32 s2, s3, s2
	s_cmp_eq_u32 s2, 1
	s_cselect_b32 s2, -1, 0
	s_delay_alu instid0(SALU_CYCLE_1)
	s_and_not1_b32 vcc_lo, exec_lo, s2
	s_cbranch_vccz .LBB1870_4
.LBB1870_2:
	s_endpgm
.LBB1870_3:
.LBB1870_4:
	s_load_b64 s[2:3], s[0:1], 0x28
	s_lshl_b64 s[8:9], s[34:35], 2
	s_waitcnt lgkmcnt(0)
	s_add_u32 s2, s2, s8
	s_addc_u32 s3, s3, s9
	s_lshl_b32 s12, s14, 8
	s_load_b32 s33, s[2:3], 0x0
	s_waitcnt lgkmcnt(0)
	s_cmp_ge_i32 s12, s33
	s_cbranch_scc1 .LBB1870_2
; %bb.5:
	s_clause 0x1
	s_load_b128 s[56:59], s[0:1], 0x8
	s_load_b64 s[2:3], s[0:1], 0x20
	s_and_not1_b32 vcc_lo, exec_lo, s6
	s_mov_b64 s[6:7], s[34:35]
	s_cbranch_vccnz .LBB1870_7
; %bb.6:
	s_add_u32 s4, s4, s8
	s_addc_u32 s5, s5, s9
	s_load_b32 s6, s[4:5], 0x0
.LBB1870_7:
	s_load_b128 s[52:55], s[0:1], 0x48
	v_and_b32_e32 v65, 15, v0
	s_mov_b32 s13, exec_lo
                                        ; implicit-def: $sgpr36
                                        ; implicit-def: $sgpr24
                                        ; implicit-def: $sgpr16
                                        ; implicit-def: $sgpr4
	s_delay_alu instid0(VALU_DEP_1)
	v_cmpx_eq_u32_e32 0, v65
	s_cbranch_execz .LBB1870_9
; %bb.8:
	s_load_b64 s[4:5], s[0:1], 0x0
	s_waitcnt lgkmcnt(0)
	s_mul_hi_i32 s7, s6, s52
	s_mul_i32 s6, s6, s52
	s_delay_alu instid0(SALU_CYCLE_1) | instskip(NEXT) | instid1(SALU_CYCLE_1)
	s_lshl_b64 s[6:7], s[6:7], 1
	s_add_u32 s6, s4, s6
	s_addc_u32 s7, s5, s7
	s_lshl_b32 s4, s15, 7
	s_delay_alu instid0(SALU_CYCLE_1) | instskip(NEXT) | instid1(SALU_CYCLE_1)
	s_ashr_i32 s5, s4, 31
	s_lshl_b64 s[4:5], s[4:5], 1
	s_delay_alu instid0(SALU_CYCLE_1)
	s_add_u32 s4, s6, s4
	s_addc_u32 s5, s7, s5
	s_clause 0x3
	s_load_b256 s[36:43], s[4:5], 0x0
	s_load_b256 s[24:31], s[4:5], 0x40
	;; [unrolled: 1-line block ×4, first 2 shown]
.LBB1870_9:
	s_or_b32 exec_lo, exec_lo, s13
	v_and_b32_e32 v1, 0xef, v0
	s_add_i32 s13, s33, 31
	s_load_b32 s44, s[0:1], 0x38
	s_ashr_i32 s35, s13, 31
	s_waitcnt lgkmcnt(0)
	s_mul_i32 s62, s15, s54
	v_add_nc_u32_e32 v1, s12, v1
	s_lshr_b32 s35, s35, 27
	v_lshlrev_b32_e32 v73, 4, v65
	s_add_i32 s13, s13, s35
	s_load_b32 s35, s[0:1], 0x1c
	v_ashrrev_i32_e32 v2, 31, v1
	v_or_b32_e32 v3, 16, v1
	s_ashr_i32 s13, s13, 5
	v_cmp_gt_i32_e32 vcc_lo, s33, v1
	s_add_i32 s13, s13, -1
	v_lshrrev_b32_e32 v2, 27, v2
	v_dual_mov_b32 v113, s31 :: v_dual_mov_b32 v108, s26
	v_dual_mov_b32 v111, s29 :: v_dual_mov_b32 v106, s24
	s_delay_alu instid0(VALU_DEP_3) | instskip(SKIP_3) | instid1(VALU_DEP_2)
	v_dual_mov_b32 v109, s27 :: v_dual_add_nc_u32 v4, v1, v2
	s_mul_i32 s44, s34, s44
	v_mov_b32_e32 v107, s25
	s_ashr_i32 s45, s44, 31
	v_ashrrev_i32_e32 v4, 5, v4
	v_add_nc_u32_e32 v2, v3, v2
	s_lshl_b64 s[44:45], s[44:45], 2
	v_dual_mov_b32 v121, s23 :: v_dual_mov_b32 v114, s16
	s_delay_alu instid0(VALU_DEP_3) | instskip(NEXT) | instid1(VALU_DEP_3)
	v_cndmask_b32_e32 v1, s13, v4, vcc_lo
	v_ashrrev_i32_e32 v2, 5, v2
	v_cmp_gt_i32_e32 vcc_lo, s33, v3
	s_add_u32 s61, s2, s44
	s_addc_u32 s60, s3, s45
	s_ashr_i32 s63, s62, 31
	s_add_u32 s44, s56, s62
	v_cndmask_b32_e32 v3, s13, v2, vcc_lo
	v_ashrrev_i32_e32 v2, 31, v1
	s_addc_u32 s45, s57, s63
	s_lshl_b32 s2, s14, 3
	v_dual_mov_b32 v116, s18 :: v_dual_lshlrev_b32 v33, 5, v65
	v_ashrrev_i32_e32 v4, 31, v3
	v_lshlrev_b64 v[1:2], 2, v[1:2]
	s_ashr_i32 s3, s2, 31
	v_mov_b32_e32 v120, s22
	s_lshl_b64 s[2:3], s[2:3], 2
	v_lshlrev_b64 v[3:4], 2, v[3:4]
	s_add_u32 s2, s61, s2
	v_add_co_u32 v1, vcc_lo, s61, v1
	v_add_co_ci_u32_e32 v2, vcc_lo, s60, v2, vcc_lo
	s_delay_alu instid0(VALU_DEP_3) | instskip(NEXT) | instid1(VALU_DEP_4)
	v_add_co_u32 v3, vcc_lo, s61, v3
	v_add_co_ci_u32_e32 v4, vcc_lo, s60, v4, vcc_lo
	s_clause 0x1
	global_load_b32 v5, v[1:2], off
	global_load_b32 v6, v[3:4], off
	s_addc_u32 s3, s60, s3
	s_or_b32 s46, s12, 32
	v_mov_b32_e32 v118, s20
	s_ashr_i32 s47, s46, 5
	s_cmp_lt_i32 s46, s33
	v_lshrrev_b32_e32 v66, 5, v0
	s_cselect_b32 s46, s47, s13
	v_mov_b32_e32 v112, s30
	s_ashr_i32 s47, s46, 31
	v_mov_b32_e32 v110, s28
	s_lshl_b64 s[46:47], s[46:47], 2
	v_lshl_or_b32 v33, v66, 9, v33
	s_add_u32 s46, s61, s46
	s_addc_u32 s47, s60, s47
	s_or_b32 s48, s12, 64
	s_delay_alu instid0(SALU_CYCLE_1) | instskip(SKIP_2) | instid1(SALU_CYCLE_1)
	s_ashr_i32 s49, s48, 5
	s_cmp_lt_i32 s48, s33
	s_cselect_b32 s48, s49, s13
	s_ashr_i32 s49, s48, 31
	s_delay_alu instid0(SALU_CYCLE_1) | instskip(NEXT) | instid1(SALU_CYCLE_1)
	s_lshl_b64 s[48:49], s[48:49], 2
	s_add_u32 s48, s61, s48
	s_addc_u32 s49, s60, s49
	s_or_b32 s50, s12, 0x60
	s_delay_alu instid0(SALU_CYCLE_1) | instskip(SKIP_2) | instid1(SALU_CYCLE_1)
	s_ashr_i32 s51, s50, 5
	s_cmp_lt_i32 s50, s33
	s_cselect_b32 s50, s51, s13
	s_ashr_i32 s51, s50, 31
	s_delay_alu instid0(SALU_CYCLE_1) | instskip(NEXT) | instid1(SALU_CYCLE_1)
	s_lshl_b64 s[50:51], s[50:51], 2
	;; [unrolled: 10-line block ×4, first 2 shown]
	s_add_u32 s66, s61, s54
	s_addc_u32 s67, s60, s55
	s_clause 0x5
	s_load_b32 s56, s[2:3], 0x0
	s_load_b32 s3, s[46:47], 0x0
	;; [unrolled: 1-line block ×6, first 2 shown]
	s_or_b32 s24, s12, 0xc0
	s_delay_alu instid0(SALU_CYCLE_1)
	s_ashr_i32 s25, s24, 5
	s_cmp_lt_i32 s24, s33
	s_waitcnt vmcnt(1)
	v_mad_i64_i32 v[1:2], null, v5, s53, s[44:45]
	s_waitcnt vmcnt(0)
	v_mad_i64_i32 v[3:4], null, v6, s53, s[44:45]
	s_mov_b32 s44, 0
	s_delay_alu instid0(SALU_CYCLE_1) | instskip(SKIP_1) | instid1(VALU_DEP_2)
	s_mov_b32 s45, s44
	s_mov_b32 s46, s44
	v_add_co_u32 v25, vcc_lo, v1, v73
	s_delay_alu instid0(VALU_DEP_3) | instskip(NEXT) | instid1(VALU_DEP_3)
	v_add_co_ci_u32_e32 v26, vcc_lo, 0, v2, vcc_lo
	v_add_co_u32 v27, vcc_lo, v3, v73
	s_delay_alu instid0(VALU_DEP_4)
	v_add_co_ci_u32_e32 v28, vcc_lo, 0, v4, vcc_lo
	s_clause 0xf
	global_load_b128 v[1:4], v[25:26], off
	global_load_b128 v[5:8], v[25:26], off offset:512
	global_load_b128 v[9:12], v[27:28], off offset:256
	;; [unrolled: 1-line block ×15, first 2 shown]
	v_mov_b32_e32 v25, s36
	v_mov_b32_e32 v29, s40
	;; [unrolled: 1-line block ×3, first 2 shown]
	s_mov_b32 s47, s44
	s_mov_b32 s48, s44
	;; [unrolled: 1-line block ×5, first 2 shown]
	v_mov_b32_e32 v119, s21
	v_mov_b32_e32 v117, s19
	;; [unrolled: 1-line block ×3, first 2 shown]
	s_cselect_b32 s16, s25, s13
	v_dual_mov_b32 v129, s51 :: v_dual_mov_b32 v122, s44
	s_ashr_i32 s17, s16, 31
	v_mov_b32_e32 v26, s37
	s_lshl_b64 s[16:17], s[16:17], 2
	v_dual_mov_b32 v27, s38 :: v_dual_mov_b32 v32, s43
	s_add_u32 s16, s61, s16
	s_addc_u32 s17, s60, s17
	s_or_b32 s18, s12, 0xe0
	v_mov_b32_e32 v28, s39
	s_ashr_i32 s19, s18, 5
	s_cmp_lt_i32 s18, s33
	v_mov_b32_e32 v30, s41
	s_cselect_b32 s18, s19, s13
	v_mov_b32_e32 v128, s50
	s_ashr_i32 s19, s18, 31
	v_mov_b32_e32 v127, s49
	s_lshl_b64 s[18:19], s[18:19], 2
	v_mov_b32_e32 v126, s48
	s_add_u32 s18, s61, s18
	s_addc_u32 s19, s60, s19
	s_add_u32 s13, s58, s62
	s_addc_u32 s20, s59, s63
	v_add_co_u32 v67, s13, s13, v33
	s_delay_alu instid0(VALU_DEP_1)
	v_add_co_ci_u32_e64 v68, null, s20, 0, s13
	s_clause 0x1
	s_load_b32 s13, s[16:17], 0x0
	s_load_b32 s16, s[18:19], 0x0
	v_dual_mov_b32 v125, s47 :: v_dual_mov_b32 v124, s46
	v_mov_b32_e32 v123, s45
	s_waitcnt lgkmcnt(0)
	v_mad_i64_i32 v[33:34], null, s56, s53, v[67:68]
	v_mad_i64_i32 v[69:70], null, s54, s53, v[67:68]
	;; [unrolled: 1-line block ×5, first 2 shown]
	s_clause 0x5
	global_load_b128 v[49:52], v[33:34], off
	global_load_b128 v[53:56], v[33:34], off offset:16
	global_load_b128 v[41:44], v[35:36], off
	global_load_b128 v[45:48], v[35:36], off offset:16
	;; [unrolled: 2-line block ×3, first 2 shown]
	s_waitcnt vmcnt(20)
	v_wmma_f32_16x16x16_bf16 v[130:137], v[1:8], v[25:32], v[122:129]
	s_waitcnt vmcnt(18)
	v_wmma_f32_16x16x16_bf16 v[122:129], v[9:16], v[25:32], v[122:129]
	v_mad_i64_i32 v[13:14], null, s2, s53, v[67:68]
	s_waitcnt vmcnt(16)
	v_wmma_f32_16x16x16_bf16 v[130:137], v[17:24], v[106:113], v[130:137]
	v_mad_i64_i32 v[21:22], null, s13, s53, v[67:68]
	s_clause 0x1
	global_load_b128 v[25:28], v[69:70], off
	global_load_b128 v[29:32], v[69:70], off offset:16
	v_mad_i64_i32 v[69:70], null, s16, s53, v[67:68]
	s_waitcnt vmcnt(16)
	v_wmma_f32_16x16x16_bf16 v[122:129], v[57:64], v[106:113], v[122:129]
	s_clause 0x7
	global_load_b128 v[1:4], v[71:72], off
	global_load_b128 v[5:8], v[71:72], off offset:16
	global_load_b128 v[9:12], v[13:14], off
	global_load_b128 v[13:16], v[13:14], off offset:16
	;; [unrolled: 2-line block ×4, first 2 shown]
	v_mbcnt_lo_u32_b32 v68, -1, 0
	v_and_b32_e32 v67, 0xe0, v0
	s_waitcnt vmcnt(22)
	v_wmma_f32_16x16x16_bf16 v[130:137], v[74:81], v[114:121], v[130:137]
	s_waitcnt vmcnt(20)
	v_wmma_f32_16x16x16_bf16 v[122:129], v[82:89], v[114:121], v[122:129]
	v_mov_b32_e32 v82, s11
	v_mov_b32_e32 v76, s5
	v_xor_b32_e32 v69, 16, v68
	v_bfe_u32 v74, v0, 4, 1
	v_dual_mov_b32 v81, s10 :: v_dual_mov_b32 v80, s9
	v_mov_b32_e32 v79, s8
	s_delay_alu instid0(VALU_DEP_4) | instskip(SKIP_3) | instid1(VALU_DEP_3)
	v_cmp_gt_i32_e32 vcc_lo, 32, v69
	v_dual_mov_b32 v78, s7 :: v_dual_add_nc_u32 v67, s12, v67
	v_mov_b32_e32 v77, s6
	v_dual_mov_b32 v75, s4 :: v_dual_cndmask_b32 v68, v68, v69
	v_or_b32_e32 v67, v67, v74
	s_waitcnt vmcnt(0)
	s_barrier
	s_delay_alu instid0(VALU_DEP_2)
	v_wmma_f32_16x16x16_bf16 v[130:137], v[90:97], v[75:82], v[130:137]
	buffer_gl0_inv
	v_or_b32_e32 v69, 2, v67
	v_or_b32_e32 v70, 4, v67
	;; [unrolled: 1-line block ×3, first 2 shown]
	v_mul_f32_e32 v92, s35, v131
	v_wmma_f32_16x16x16_bf16 v[122:129], v[98:105], v[75:82], v[122:129]
	v_mul_f32_e32 v93, s35, v130
	v_cmp_gt_i32_e32 vcc_lo, s33, v69
	v_cmp_gt_i32_e64 s2, s33, v67
	v_or_b32_e32 v72, 8, v67
	v_mul_f32_e32 v98, s35, v125
	v_or_b32_e32 v83, 10, v67
	v_dual_mul_f32 v81, s35, v133 :: v_dual_mul_f32 v82, s35, v132
	v_cndmask_b32_e64 v93, 0xff7fffff, v93, s2
	v_cndmask_b32_e32 v92, 0xff7fffff, v92, vcc_lo
	v_cmp_gt_i32_e64 s3, s33, v70
	v_cmp_gt_i32_e64 s4, s33, v71
	v_or_b32_e32 v84, 12, v67
	v_or_b32_e32 v85, 14, v67
	v_dual_mul_f32 v79, s35, v135 :: v_dual_mul_f32 v94, s35, v129
	v_mul_f32_e32 v80, s35, v134
	v_cndmask_b32_e64 v70, 0xff7fffff, v82, s3
	v_cndmask_b32_e64 v71, 0xff7fffff, v81, s4
	v_max3_f32 v81, v93, 0xff7fffff, v92
	v_cmp_gt_i32_e64 s5, s33, v72
	v_cmp_gt_i32_e64 s6, s33, v83
	v_or_b32_e32 v86, 16, v67
	v_or_b32_e32 v87, 18, v67
	v_dual_mul_f32 v77, s35, v137 :: v_dual_mul_f32 v96, s35, v127
	v_mul_f32_e32 v78, s35, v136
	v_cndmask_b32_e64 v72, 0xff7fffff, v80, s5
	v_cndmask_b32_e64 v79, 0xff7fffff, v79, s6
	v_max3_f32 v70, v81, v70, v71
	v_cmp_gt_i32_e64 s7, s33, v84
	v_cmp_gt_i32_e64 s8, s33, v85
	v_or_b32_e32 v88, 20, v67
	v_or_b32_e32 v89, 22, v67
	;; [unrolled: 1-line block ×6, first 2 shown]
	v_mul_f32_e32 v69, s35, v123
	v_mul_f32_e32 v67, s35, v122
	v_cndmask_b32_e64 v71, 0xff7fffff, v78, s7
	v_cndmask_b32_e64 v77, 0xff7fffff, v77, s8
	v_max3_f32 v70, v70, v72, v79
	v_cmp_gt_i32_e64 s9, s33, v86
	v_cmp_gt_i32_e64 s10, s33, v87
	v_mul_f32_e32 v99, s35, v124
	v_cmp_gt_i32_e64 s11, s33, v88
	v_max3_f32 v70, v70, v71, v77
	v_cndmask_b32_e64 v67, 0xff7fffff, v67, s9
	v_cndmask_b32_e64 v69, 0xff7fffff, v69, s10
	v_cmp_gt_i32_e64 s12, s33, v89
	v_mul_f32_e32 v97, s35, v126
	v_cndmask_b32_e64 v71, 0xff7fffff, v99, s11
	v_cmp_gt_i32_e64 s13, s33, v90
	v_max3_f32 v67, v70, v67, v69
	v_cndmask_b32_e64 v72, 0xff7fffff, v98, s12
	v_cmp_gt_i32_e64 s16, s33, v91
	v_mul_f32_e32 v95, s35, v128
	v_cndmask_b32_e64 v69, 0xff7fffff, v97, s13
	v_cmp_gt_i32_e64 s17, s33, v75
	v_max3_f32 v67, v67, v71, v72
	v_cndmask_b32_e64 v70, 0xff7fffff, v96, s16
	v_cmp_gt_i32_e64 s18, s33, v76
	v_lshlrev_b32_e32 v81, 2, v68
	v_cndmask_b32_e64 v71, 0xff7fffff, v95, s17
	s_delay_alu instid0(VALU_DEP_4) | instskip(NEXT) | instid1(VALU_DEP_4)
	v_max3_f32 v67, v67, v69, v70
	v_cndmask_b32_e64 v72, 0xff7fffff, v94, s18
	s_delay_alu instid0(VALU_DEP_1) | instskip(SKIP_3) | instid1(VALU_DEP_1)
	v_max3_f32 v67, v67, v71, v72
	ds_bpermute_b32 v68, v81, v67
	s_waitcnt lgkmcnt(0)
	v_max_f32_e32 v68, v68, v68
	v_max_f32_e32 v67, v67, v68
	s_delay_alu instid0(VALU_DEP_1) | instskip(SKIP_4) | instid1(VALU_DEP_4)
	v_fma_f32 v68, s35, v130, -v67
	v_fma_f32 v69, s35, v131, -v67
	;; [unrolled: 1-line block ×5, first 2 shown]
	v_dual_mul_f32 v68, 0x3fb8aa3b, v68 :: v_dual_mul_f32 v69, 0x3fb8aa3b, v69
	s_delay_alu instid0(VALU_DEP_3) | instskip(NEXT) | instid1(VALU_DEP_3)
	v_dual_mul_f32 v70, 0x3fb8aa3b, v70 :: v_dual_mul_f32 v71, 0x3fb8aa3b, v71
	v_mul_f32_e32 v72, 0x3fb8aa3b, v72
	s_delay_alu instid0(VALU_DEP_3) | instskip(NEXT) | instid1(VALU_DEP_3)
	v_exp_f32_e32 v68, v68
	v_exp_f32_e32 v69, v69
	s_delay_alu instid0(VALU_DEP_2)
	v_exp_f32_e32 v70, v70
	v_exp_f32_e32 v71, v71
	;; [unrolled: 1-line block ×3, first 2 shown]
	v_cndmask_b32_e64 v79, 0, v68, s2
	v_fma_f32 v68, s35, v135, -v67
	v_cndmask_b32_e32 v75, 0, v69, vcc_lo
	s_delay_alu instid0(TRANS32_DEP_3)
	v_cndmask_b32_e64 v82, 0, v70, s3
	s_waitcnt_depctr 0xfff
	v_cndmask_b32_e64 v84, 0, v71, s4
	v_dual_add_f32 v69, 0, v79 :: v_dual_mul_f32 v68, 0x3fb8aa3b, v68
	v_cndmask_b32_e64 v85, 0, v72, s5
	s_mov_b32 s3, exec_lo
	s_delay_alu instid0(VALU_DEP_2) | instskip(NEXT) | instid1(VALU_DEP_3)
	v_add_f32_e32 v69, v69, v75
	v_exp_f32_e32 v68, v68
	s_delay_alu instid0(VALU_DEP_1) | instskip(NEXT) | instid1(VALU_DEP_1)
	v_add_f32_e32 v69, v69, v82
	v_add_f32_e32 v69, v69, v84
	s_waitcnt_depctr 0xfff
	v_cndmask_b32_e64 v86, 0, v68, s6
	v_add_f32_e32 v68, v69, v85
	s_delay_alu instid0(VALU_DEP_1)
	v_add_f32_e32 v68, v68, v86
	v_fma_f32 v72, s35, v123, -v67
	v_fma_f32 v76, s35, v136, -v67
	;; [unrolled: 1-line block ×5, first 2 shown]
	v_mul_f32_e32 v72, 0x3fb8aa3b, v72
	v_mul_f32_e32 v76, 0x3fb8aa3b, v76
	s_delay_alu instid0(VALU_DEP_4) | instskip(SKIP_1) | instid1(VALU_DEP_4)
	v_dual_mul_f32 v70, 0x3fb8aa3b, v70 :: v_dual_mul_f32 v69, 0x3fb8aa3b, v69
	v_fma_f32 v77, s35, v126, -v67
	v_exp_f32_e32 v72, v72
	s_delay_alu instid0(VALU_DEP_3) | instskip(NEXT) | instid1(VALU_DEP_2)
	v_exp_f32_e32 v76, v76
	v_exp_f32_e32 v70, v70
	;; [unrolled: 1-line block ×3, first 2 shown]
	v_fma_f32 v88, s35, v129, -v67
	s_delay_alu instid0(VALU_DEP_1) | instskip(SKIP_2) | instid1(TRANS32_DEP_3)
	v_mul_f32_e32 v88, 0x3fb8aa3b, v88
	v_cndmask_b32_e64 v69, 0, v72, s10
	v_mul_f32_e32 v71, 0x3fb8aa3b, v71
	v_cndmask_b32_e64 v83, 0, v76, s7
	s_delay_alu instid0(TRANS32_DEP_2) | instskip(SKIP_4) | instid1(VALU_DEP_3)
	v_cndmask_b32_e64 v87, 0, v70, s8
	v_fma_f32 v76, s35, v125, -v67
	v_fma_f32 v72, s35, v128, -v67
	v_exp_f32_e32 v71, v71
	v_add_f32_e32 v68, v68, v83
	v_mul_f32_e32 v76, 0x3fb8aa3b, v76
	s_delay_alu instid0(VALU_DEP_2) | instskip(NEXT) | instid1(VALU_DEP_2)
	v_add_f32_e32 v68, v68, v87
	v_exp_f32_e32 v76, v76
	s_waitcnt_depctr 0xfff
	v_cndmask_b32_e64 v70, 0, v71, s9
	v_fma_f32 v71, s35, v127, -v67
	s_delay_alu instid0(VALU_DEP_2) | instskip(NEXT) | instid1(VALU_DEP_2)
	v_add_f32_e32 v68, v68, v70
	v_mul_f32_e32 v80, 0x3fb8aa3b, v71
	v_cndmask_b32_e64 v71, 0, v78, s11
	v_mul_f32_e32 v78, 0x3fb8aa3b, v72
	v_cndmask_b32_e64 v72, 0, v76, s12
	v_add_f32_e32 v68, v68, v69
	v_mul_f32_e32 v77, 0x3fb8aa3b, v77
	v_exp_f32_e32 v80, v80
	v_exp_f32_e32 v78, v78
	s_delay_alu instid0(VALU_DEP_2) | instskip(NEXT) | instid1(VALU_DEP_2)
	v_add_f32_e32 v68, v68, v71
	v_exp_f32_e32 v77, v77
	s_delay_alu instid0(VALU_DEP_1)
	v_add_f32_e32 v68, v68, v72
	s_waitcnt_depctr 0xfff
	v_cndmask_b32_e64 v78, 0, v78, s17
	v_cndmask_b32_e64 v76, 0, v77, s13
	;; [unrolled: 1-line block ×3, first 2 shown]
	v_exp_f32_e32 v80, v88
	v_and_b32_e32 v88, 31, v0
	s_delay_alu instid0(VALU_DEP_3) | instskip(NEXT) | instid1(VALU_DEP_2)
	v_add_f32_e32 v68, v68, v76
	v_cmp_lt_u32_e64 s2, 15, v88
	s_delay_alu instid0(VALU_DEP_2) | instskip(SKIP_3) | instid1(VALU_DEP_1)
	v_add_f32_e32 v68, v68, v77
	s_waitcnt_depctr 0xfff
	v_cndmask_b32_e64 v80, 0, v80, s18
	v_add_f32_e32 v68, v68, v78
	v_add_f32_e32 v68, v68, v80
	ds_bpermute_b32 v81, v81, v68
	v_cmpx_gt_u32_e32 16, v88
	s_cbranch_execz .LBB1870_11
; %bb.10:
	v_mul_u32_u24_e32 v88, 0x44, v66
	s_delay_alu instid0(VALU_DEP_1) | instskip(SKIP_1) | instid1(VALU_DEP_1)
	v_lshl_add_u32 v88, v65, 2, v88
	s_waitcnt lgkmcnt(0)
	v_dual_add_f32 v68, v68, v81 :: v_dual_add_nc_u32 v81, 0x4000, v88
	ds_store_2addr_b32 v81, v67, v68 offset1:136
.LBB1870_11:
	s_or_b32 exec_lo, exec_lo, s3
	v_lshlrev_b32_e32 v67, 2, v65
	s_waitcnt lgkmcnt(0)
	s_barrier
	buffer_gl0_inv
	v_cmp_eq_u32_e32 vcc_lo, 1, v66
	v_add_nc_u32_e32 v81, 0x4000, v67
	v_cmp_eq_u32_e64 s3, 2, v66
	v_cmp_eq_u32_e64 s5, 7, v66
	ds_load_2addr_b32 v[88:89], v81 offset1:17
	ds_load_2addr_b32 v[90:91], v81 offset0:34 offset1:51
	ds_load_2addr_b32 v[92:93], v81 offset0:68 offset1:85
	;; [unrolled: 1-line block ×4, first 2 shown]
	s_waitcnt lgkmcnt(4)
	v_max3_f32 v67, v88, 0xff7fffff, v89
	s_waitcnt lgkmcnt(3)
	s_delay_alu instid0(VALU_DEP_1) | instskip(SKIP_1) | instid1(VALU_DEP_1)
	v_max3_f32 v67, v67, v90, v91
	s_waitcnt lgkmcnt(2)
	v_max3_f32 v67, v67, v92, v93
	s_waitcnt lgkmcnt(1)
	s_delay_alu instid0(VALU_DEP_1) | instskip(NEXT) | instid1(VALU_DEP_1)
	v_max3_f32 v67, v67, v94, v95
	v_sub_f32_e32 v68, v88, v67
	v_sub_f32_e32 v90, v90, v67
	;; [unrolled: 1-line block ×3, first 2 shown]
	s_delay_alu instid0(VALU_DEP_3) | instskip(NEXT) | instid1(VALU_DEP_3)
	v_mul_f32_e32 v68, 0x3fb8aa3b, v68
	v_mul_f32_e32 v100, 0x3fb8aa3b, v90
	s_delay_alu instid0(VALU_DEP_3) | instskip(NEXT) | instid1(VALU_DEP_3)
	v_mul_f32_e32 v102, 0x3fb8aa3b, v92
	v_exp_f32_e32 v99, v68
	v_sub_f32_e32 v68, v91, v67
	v_sub_f32_e32 v98, v89, v67
	v_exp_f32_e32 v100, v100
	s_delay_alu instid0(VALU_DEP_1)
	v_dual_mul_f32 v101, 0x3fb8aa3b, v68 :: v_dual_mul_f32 v98, 0x3fb8aa3b, v98
	s_waitcnt lgkmcnt(0)
	s_waitcnt_depctr 0xfff
	v_fma_f32 v68, v99, v96, 0
	v_sub_f32_e32 v96, v93, v67
	v_exp_f32_e32 v98, v98
	v_exp_f32_e32 v101, v101
	s_waitcnt_depctr 0xfff
	v_fmac_f32_e32 v68, v98, v97
	ds_load_2addr_b32 v[88:89], v81 offset0:170 offset1:187
	ds_load_2addr_b32 v[90:91], v81 offset0:204 offset1:221
	;; [unrolled: 1-line block ×3, first 2 shown]
	v_dual_sub_f32 v81, v94, v67 :: v_dual_mul_f32 v94, 0x3fb8aa3b, v96
	v_exp_f32_e32 v96, v102
	s_waitcnt lgkmcnt(0)
	s_barrier
	s_delay_alu instid0(VALU_DEP_1)
	v_mul_f32_e32 v81, 0x3fb8aa3b, v81
	v_exp_f32_e32 v94, v94
	buffer_gl0_inv
	v_exp_f32_e32 v81, v81
	v_fmac_f32_e32 v68, v100, v88
	v_sub_f32_e32 v88, v95, v67
	s_delay_alu instid0(VALU_DEP_2) | instskip(NEXT) | instid1(VALU_DEP_2)
	v_fmac_f32_e32 v68, v101, v89
	v_mul_f32_e32 v88, 0x3fb8aa3b, v88
	s_delay_alu instid0(VALU_DEP_2) | instskip(NEXT) | instid1(VALU_DEP_2)
	v_fmac_f32_e32 v68, v96, v90
	v_exp_f32_e32 v88, v88
	s_delay_alu instid0(VALU_DEP_1)
	v_fmac_f32_e32 v68, v94, v91
	s_delay_alu instid0(TRANS32_DEP_2) | instid1(VALU_DEP_1)
	v_fmac_f32_e32 v68, v81, v92
	s_waitcnt_depctr 0xfff
	v_fmac_f32_e32 v68, v88, v93
	s_delay_alu instid0(VALU_DEP_1) | instskip(NEXT) | instid1(VALU_DEP_1)
	v_add_f32_e32 v89, 0x358637bd, v68
	v_div_scale_f32 v90, null, v89, v89, 1.0
	v_div_scale_f32 v93, s4, 1.0, v89, 1.0
	s_delay_alu instid0(VALU_DEP_2) | instskip(SKIP_2) | instid1(VALU_DEP_1)
	v_rcp_f32_e32 v91, v90
	s_waitcnt_depctr 0xfff
	v_fma_f32 v92, -v90, v91, 1.0
	v_dual_fmac_f32 v91, v92, v91 :: v_dual_cndmask_b32 v92, v99, v98
	v_cmp_eq_u32_e32 vcc_lo, 3, v66
	s_delay_alu instid0(VALU_DEP_2) | instskip(NEXT) | instid1(VALU_DEP_3)
	v_mul_f32_e32 v95, v93, v91
	v_cndmask_b32_e64 v92, v92, v100, s3
	v_cmp_eq_u32_e64 s3, 4, v66
	s_delay_alu instid0(VALU_DEP_3) | instskip(NEXT) | instid1(VALU_DEP_3)
	v_fma_f32 v97, -v90, v95, v93
	v_cndmask_b32_e32 v92, v92, v101, vcc_lo
	v_cmp_eq_u32_e32 vcc_lo, 5, v66
	s_delay_alu instid0(VALU_DEP_3) | instskip(NEXT) | instid1(VALU_DEP_3)
	v_fmac_f32_e32 v95, v97, v91
	v_cndmask_b32_e64 v92, v92, v96, s3
	v_cmp_eq_u32_e64 s3, 6, v66
	s_delay_alu instid0(VALU_DEP_3) | instskip(NEXT) | instid1(VALU_DEP_3)
	v_fma_f32 v90, -v90, v95, v93
	v_cndmask_b32_e32 v92, v92, v94, vcc_lo
	s_mov_b32 vcc_lo, s4
	s_delay_alu instid0(VALU_DEP_2) | instskip(NEXT) | instid1(VALU_DEP_2)
	v_div_fmas_f32 v90, v90, v91, v95
	v_cndmask_b32_e64 v81, v92, v81, s3
	s_mov_b32 s3, exec_lo
	s_delay_alu instid0(VALU_DEP_2) | instskip(NEXT) | instid1(VALU_DEP_2)
	v_div_fixup_f32 v89, v90, v89, 1.0
	v_cndmask_b32_e64 v81, v81, v88, s5
	s_delay_alu instid0(VALU_DEP_1) | instskip(NEXT) | instid1(VALU_DEP_1)
	v_mul_f32_e32 v81, v81, v89
	v_mul_f32_e32 v83, v81, v83
	;; [unrolled: 1-line block ×7, first 2 shown]
	v_dual_mul_f32 v85, v81, v82 :: v_dual_and_b32 v90, 0x7f800000, v89
	v_mul_f32_e32 v84, v81, v75
                                        ; implicit-def: $vgpr75
	s_delay_alu instid0(VALU_DEP_2)
	v_cmpx_ne_u32_e32 0x7f800000, v90
	s_xor_b32 s3, exec_lo, s3
; %bb.12:
	v_bfe_u32 v75, v89, 16, 1
	s_delay_alu instid0(VALU_DEP_1)
	v_add3_u32 v75, v89, v75, 0x7fff
                                        ; implicit-def: $vgpr89
; %bb.13:
	s_and_not1_saveexec_b32 s3, s3
; %bb.14:
	v_and_b32_e32 v75, 0xffff, v89
	v_or_b32_e32 v82, 0x10000, v89
	s_delay_alu instid0(VALU_DEP_2) | instskip(NEXT) | instid1(VALU_DEP_2)
	v_cmp_eq_u32_e32 vcc_lo, 0, v75
	v_cndmask_b32_e32 v75, v82, v89, vcc_lo
; %bb.15:
	s_or_b32 exec_lo, exec_lo, s3
	v_and_b32_e32 v82, 0x7f800000, v84
	s_delay_alu instid0(VALU_DEP_1) | instskip(SKIP_1) | instid1(SALU_CYCLE_1)
	v_cmp_ne_u32_e32 vcc_lo, 0x7f800000, v82
                                        ; implicit-def: $vgpr82
	s_and_saveexec_b32 s3, vcc_lo
	s_xor_b32 s3, exec_lo, s3
; %bb.16:
	v_bfe_u32 v82, v84, 16, 1
	s_delay_alu instid0(VALU_DEP_1)
	v_add3_u32 v82, v84, v82, 0x7fff
                                        ; implicit-def: $vgpr84
; %bb.17:
	s_and_not1_saveexec_b32 s3, s3
; %bb.18:
	v_and_b32_e32 v82, 0xffff, v84
	v_or_b32_e32 v89, 0x10000, v84
	s_delay_alu instid0(VALU_DEP_2) | instskip(NEXT) | instid1(VALU_DEP_2)
	v_cmp_eq_u32_e32 vcc_lo, 0, v82
	v_cndmask_b32_e32 v82, v89, v84, vcc_lo
; %bb.19:
	s_or_b32 exec_lo, exec_lo, s3
	v_and_b32_e32 v84, 0x7f800000, v85
	s_delay_alu instid0(VALU_DEP_1) | instskip(SKIP_1) | instid1(SALU_CYCLE_1)
	v_cmp_ne_u32_e32 vcc_lo, 0x7f800000, v84
                                        ; implicit-def: $vgpr84
	s_and_saveexec_b32 s3, vcc_lo
	s_xor_b32 s3, exec_lo, s3
; %bb.20:
	v_bfe_u32 v84, v85, 16, 1
	s_delay_alu instid0(VALU_DEP_1)
	v_add3_u32 v84, v85, v84, 0x7fff
                                        ; implicit-def: $vgpr85
; %bb.21:
	s_and_not1_saveexec_b32 s3, s3
; %bb.22:
	v_and_b32_e32 v84, 0xffff, v85
	v_or_b32_e32 v89, 0x10000, v85
	s_delay_alu instid0(VALU_DEP_2) | instskip(NEXT) | instid1(VALU_DEP_2)
	v_cmp_eq_u32_e32 vcc_lo, 0, v84
	v_cndmask_b32_e32 v84, v89, v85, vcc_lo
; %bb.23:
	s_or_b32 exec_lo, exec_lo, s3
	v_and_b32_e32 v85, 0x7f800000, v88
	s_delay_alu instid0(VALU_DEP_1) | instskip(SKIP_1) | instid1(SALU_CYCLE_1)
	v_cmp_ne_u32_e32 vcc_lo, 0x7f800000, v85
                                        ; implicit-def: $vgpr85
	s_and_saveexec_b32 s3, vcc_lo
	s_xor_b32 s3, exec_lo, s3
; %bb.24:
	v_bfe_u32 v85, v88, 16, 1
	s_delay_alu instid0(VALU_DEP_1)
	v_add3_u32 v85, v88, v85, 0x7fff
                                        ; implicit-def: $vgpr88
; %bb.25:
	s_and_not1_saveexec_b32 s3, s3
; %bb.26:
	v_and_b32_e32 v85, 0xffff, v88
	v_or_b32_e32 v89, 0x10000, v88
	s_delay_alu instid0(VALU_DEP_2) | instskip(NEXT) | instid1(VALU_DEP_2)
	v_cmp_eq_u32_e32 vcc_lo, 0, v85
	v_cndmask_b32_e32 v85, v89, v88, vcc_lo
; %bb.27:
	s_or_b32 exec_lo, exec_lo, s3
	v_and_b32_e32 v88, 0x7f800000, v87
	s_delay_alu instid0(VALU_DEP_1) | instskip(SKIP_1) | instid1(SALU_CYCLE_1)
	v_cmp_ne_u32_e32 vcc_lo, 0x7f800000, v88
                                        ; implicit-def: $vgpr88
	s_and_saveexec_b32 s3, vcc_lo
	s_xor_b32 s3, exec_lo, s3
; %bb.28:
	v_bfe_u32 v88, v87, 16, 1
	s_delay_alu instid0(VALU_DEP_1)
	v_add3_u32 v88, v87, v88, 0x7fff
                                        ; implicit-def: $vgpr87
; %bb.29:
	s_and_not1_saveexec_b32 s3, s3
; %bb.30:
	v_and_b32_e32 v88, 0xffff, v87
	v_or_b32_e32 v89, 0x10000, v87
	s_delay_alu instid0(VALU_DEP_2) | instskip(NEXT) | instid1(VALU_DEP_2)
	v_cmp_eq_u32_e32 vcc_lo, 0, v88
	v_cndmask_b32_e32 v88, v89, v87, vcc_lo
; %bb.31:
	s_or_b32 exec_lo, exec_lo, s3
	v_and_b32_e32 v87, 0x7f800000, v86
	s_delay_alu instid0(VALU_DEP_1) | instskip(SKIP_1) | instid1(SALU_CYCLE_1)
	v_cmp_ne_u32_e32 vcc_lo, 0x7f800000, v87
                                        ; implicit-def: $vgpr87
	s_and_saveexec_b32 s3, vcc_lo
	s_xor_b32 s3, exec_lo, s3
; %bb.32:
	v_bfe_u32 v87, v86, 16, 1
	s_delay_alu instid0(VALU_DEP_1)
	v_add3_u32 v87, v86, v87, 0x7fff
                                        ; implicit-def: $vgpr86
; %bb.33:
	s_and_not1_saveexec_b32 s3, s3
; %bb.34:
	v_and_b32_e32 v87, 0xffff, v86
	v_or_b32_e32 v89, 0x10000, v86
	s_delay_alu instid0(VALU_DEP_2) | instskip(NEXT) | instid1(VALU_DEP_2)
	v_cmp_eq_u32_e32 vcc_lo, 0, v87
	v_cndmask_b32_e32 v87, v89, v86, vcc_lo
; %bb.35:
	s_or_b32 exec_lo, exec_lo, s3
	v_and_b32_e32 v86, 0x7f800000, v83
	s_delay_alu instid0(VALU_DEP_1) | instskip(SKIP_1) | instid1(SALU_CYCLE_1)
	v_cmp_ne_u32_e32 vcc_lo, 0x7f800000, v86
                                        ; implicit-def: $vgpr86
	s_and_saveexec_b32 s3, vcc_lo
	s_xor_b32 s3, exec_lo, s3
; %bb.36:
	v_bfe_u32 v86, v83, 16, 1
	s_delay_alu instid0(VALU_DEP_1)
	v_add3_u32 v86, v83, v86, 0x7fff
                                        ; implicit-def: $vgpr83
; %bb.37:
	s_and_not1_saveexec_b32 s3, s3
; %bb.38:
	v_and_b32_e32 v86, 0xffff, v83
	v_or_b32_e32 v89, 0x10000, v83
	s_delay_alu instid0(VALU_DEP_2) | instskip(NEXT) | instid1(VALU_DEP_2)
	v_cmp_eq_u32_e32 vcc_lo, 0, v86
	v_cndmask_b32_e32 v86, v89, v83, vcc_lo
; %bb.39:
	s_or_b32 exec_lo, exec_lo, s3
	v_and_b32_e32 v83, 0x7f800000, v79
	s_delay_alu instid0(VALU_DEP_1) | instskip(SKIP_1) | instid1(SALU_CYCLE_1)
	v_cmp_ne_u32_e32 vcc_lo, 0x7f800000, v83
                                        ; implicit-def: $vgpr83
	s_and_saveexec_b32 s3, vcc_lo
	s_xor_b32 s3, exec_lo, s3
; %bb.40:
	v_bfe_u32 v83, v79, 16, 1
	s_delay_alu instid0(VALU_DEP_1)
	v_add3_u32 v83, v79, v83, 0x7fff
                                        ; implicit-def: $vgpr79
; %bb.41:
	s_and_not1_saveexec_b32 s3, s3
; %bb.42:
	v_and_b32_e32 v83, 0xffff, v79
	v_or_b32_e32 v89, 0x10000, v79
	s_delay_alu instid0(VALU_DEP_2) | instskip(NEXT) | instid1(VALU_DEP_2)
	v_cmp_eq_u32_e32 vcc_lo, 0, v83
	v_cndmask_b32_e32 v83, v89, v79, vcc_lo
; %bb.43:
	s_or_b32 exec_lo, exec_lo, s3
	s_load_b64 s[36:37], s[0:1], 0x94
	v_lshlrev_b32_e32 v90, 4, v74
	s_delay_alu instid0(VALU_DEP_2)
	v_perm_b32 v89, v83, v86, 0x7060302
	v_lshlrev_b32_e32 v79, 6, v65
	v_dual_mul_f32 v76, v81, v76 :: v_dual_lshlrev_b32 v65, 11, v66
	v_perm_b32 v86, v82, v75, 0x7060302
	v_mul_f32_e32 v82, v81, v70
	v_perm_b32 v88, v87, v88, 0x7060302
	v_perm_b32 v87, v85, v84, 0x7060302
	v_or3_b32 v75, v90, v65, v79
	v_mul_f32_e32 v65, v81, v80
	v_mul_f32_e32 v70, v81, v78
	;; [unrolled: 1-line block ×3, first 2 shown]
	v_dual_mul_f32 v80, v81, v72 :: v_dual_and_b32 v83, 0x7f800000, v82
	v_mul_f32_e32 v78, v81, v71
	v_mul_f32_e32 v72, v81, v69
	s_mov_b32 s3, exec_lo
	ds_store_b128 v75, v[86:89]
                                        ; implicit-def: $vgpr69
	v_cmpx_ne_u32_e32 0x7f800000, v83
	s_xor_b32 s3, exec_lo, s3
; %bb.44:
	v_bfe_u32 v69, v82, 16, 1
	s_delay_alu instid0(VALU_DEP_1)
	v_add3_u32 v69, v82, v69, 0x7fff
                                        ; implicit-def: $vgpr82
; %bb.45:
	s_and_not1_saveexec_b32 s3, s3
; %bb.46:
	v_and_b32_e32 v69, 0xffff, v82
	v_or_b32_e32 v71, 0x10000, v82
	s_delay_alu instid0(VALU_DEP_2) | instskip(NEXT) | instid1(VALU_DEP_2)
	v_cmp_eq_u32_e32 vcc_lo, 0, v69
	v_cndmask_b32_e32 v69, v71, v82, vcc_lo
; %bb.47:
	s_or_b32 exec_lo, exec_lo, s3
	v_and_b32_e32 v71, 0x7f800000, v72
	s_delay_alu instid0(VALU_DEP_1) | instskip(SKIP_1) | instid1(SALU_CYCLE_1)
	v_cmp_ne_u32_e32 vcc_lo, 0x7f800000, v71
                                        ; implicit-def: $vgpr71
	s_and_saveexec_b32 s3, vcc_lo
	s_xor_b32 s3, exec_lo, s3
; %bb.48:
	v_bfe_u32 v71, v72, 16, 1
	s_delay_alu instid0(VALU_DEP_1)
	v_add3_u32 v71, v72, v71, 0x7fff
                                        ; implicit-def: $vgpr72
; %bb.49:
	s_and_not1_saveexec_b32 s3, s3
; %bb.50:
	v_and_b32_e32 v71, 0xffff, v72
	v_or_b32_e32 v81, 0x10000, v72
	s_delay_alu instid0(VALU_DEP_2) | instskip(NEXT) | instid1(VALU_DEP_2)
	v_cmp_eq_u32_e32 vcc_lo, 0, v71
	v_cndmask_b32_e32 v71, v81, v72, vcc_lo
; %bb.51:
	s_or_b32 exec_lo, exec_lo, s3
	v_and_b32_e32 v72, 0x7f800000, v78
	s_delay_alu instid0(VALU_DEP_1) | instskip(SKIP_1) | instid1(SALU_CYCLE_1)
	v_cmp_ne_u32_e32 vcc_lo, 0x7f800000, v72
                                        ; implicit-def: $vgpr72
	s_and_saveexec_b32 s3, vcc_lo
	s_xor_b32 s3, exec_lo, s3
; %bb.52:
	v_bfe_u32 v72, v78, 16, 1
	s_delay_alu instid0(VALU_DEP_1)
	v_add3_u32 v72, v78, v72, 0x7fff
                                        ; implicit-def: $vgpr78
; %bb.53:
	s_and_not1_saveexec_b32 s3, s3
; %bb.54:
	v_and_b32_e32 v72, 0xffff, v78
	v_or_b32_e32 v81, 0x10000, v78
	s_delay_alu instid0(VALU_DEP_2) | instskip(NEXT) | instid1(VALU_DEP_2)
	v_cmp_eq_u32_e32 vcc_lo, 0, v72
	v_cndmask_b32_e32 v72, v81, v78, vcc_lo
; %bb.55:
	s_or_b32 exec_lo, exec_lo, s3
	v_and_b32_e32 v78, 0x7f800000, v80
	s_delay_alu instid0(VALU_DEP_1) | instskip(SKIP_1) | instid1(SALU_CYCLE_1)
	v_cmp_ne_u32_e32 vcc_lo, 0x7f800000, v78
                                        ; implicit-def: $vgpr78
	s_and_saveexec_b32 s3, vcc_lo
	s_xor_b32 s3, exec_lo, s3
; %bb.56:
	v_bfe_u32 v78, v80, 16, 1
	s_delay_alu instid0(VALU_DEP_1)
	v_add3_u32 v78, v80, v78, 0x7fff
                                        ; implicit-def: $vgpr80
; %bb.57:
	s_and_not1_saveexec_b32 s3, s3
; %bb.58:
	v_and_b32_e32 v78, 0xffff, v80
	v_or_b32_e32 v81, 0x10000, v80
	s_delay_alu instid0(VALU_DEP_2) | instskip(NEXT) | instid1(VALU_DEP_2)
	v_cmp_eq_u32_e32 vcc_lo, 0, v78
	v_cndmask_b32_e32 v78, v81, v80, vcc_lo
; %bb.59:
	s_or_b32 exec_lo, exec_lo, s3
	v_and_b32_e32 v80, 0x7f800000, v76
	s_delay_alu instid0(VALU_DEP_1) | instskip(SKIP_1) | instid1(SALU_CYCLE_1)
	v_cmp_ne_u32_e32 vcc_lo, 0x7f800000, v80
                                        ; implicit-def: $vgpr80
	s_and_saveexec_b32 s3, vcc_lo
	s_xor_b32 s3, exec_lo, s3
; %bb.60:
	v_bfe_u32 v80, v76, 16, 1
	s_delay_alu instid0(VALU_DEP_1)
	v_add3_u32 v80, v76, v80, 0x7fff
                                        ; implicit-def: $vgpr76
; %bb.61:
	s_and_not1_saveexec_b32 s3, s3
; %bb.62:
	v_and_b32_e32 v80, 0xffff, v76
	v_or_b32_e32 v81, 0x10000, v76
	s_delay_alu instid0(VALU_DEP_2) | instskip(NEXT) | instid1(VALU_DEP_2)
	v_cmp_eq_u32_e32 vcc_lo, 0, v80
	v_cndmask_b32_e32 v80, v81, v76, vcc_lo
; %bb.63:
	s_or_b32 exec_lo, exec_lo, s3
	v_and_b32_e32 v76, 0x7f800000, v77
	s_delay_alu instid0(VALU_DEP_1) | instskip(SKIP_1) | instid1(SALU_CYCLE_1)
	v_cmp_ne_u32_e32 vcc_lo, 0x7f800000, v76
                                        ; implicit-def: $vgpr76
	s_and_saveexec_b32 s3, vcc_lo
	s_xor_b32 s3, exec_lo, s3
; %bb.64:
	v_bfe_u32 v76, v77, 16, 1
	s_delay_alu instid0(VALU_DEP_1)
	v_add3_u32 v76, v77, v76, 0x7fff
                                        ; implicit-def: $vgpr77
; %bb.65:
	s_and_not1_saveexec_b32 s3, s3
; %bb.66:
	v_and_b32_e32 v76, 0xffff, v77
	v_or_b32_e32 v81, 0x10000, v77
	s_delay_alu instid0(VALU_DEP_2) | instskip(NEXT) | instid1(VALU_DEP_2)
	v_cmp_eq_u32_e32 vcc_lo, 0, v76
	v_cndmask_b32_e32 v76, v81, v77, vcc_lo
; %bb.67:
	s_or_b32 exec_lo, exec_lo, s3
	v_and_b32_e32 v77, 0x7f800000, v70
	s_delay_alu instid0(VALU_DEP_1) | instskip(SKIP_1) | instid1(SALU_CYCLE_1)
	v_cmp_ne_u32_e32 vcc_lo, 0x7f800000, v77
                                        ; implicit-def: $vgpr77
	s_and_saveexec_b32 s3, vcc_lo
	s_xor_b32 s3, exec_lo, s3
; %bb.68:
	v_bfe_u32 v77, v70, 16, 1
	s_delay_alu instid0(VALU_DEP_1)
	v_add3_u32 v77, v70, v77, 0x7fff
                                        ; implicit-def: $vgpr70
; %bb.69:
	s_and_not1_saveexec_b32 s3, s3
; %bb.70:
	v_and_b32_e32 v77, 0xffff, v70
	v_or_b32_e32 v81, 0x10000, v70
	s_delay_alu instid0(VALU_DEP_2) | instskip(NEXT) | instid1(VALU_DEP_2)
	v_cmp_eq_u32_e32 vcc_lo, 0, v77
	v_cndmask_b32_e32 v77, v81, v70, vcc_lo
; %bb.71:
	s_or_b32 exec_lo, exec_lo, s3
	v_and_b32_e32 v70, 0x7f800000, v65
	s_delay_alu instid0(VALU_DEP_1) | instskip(SKIP_1) | instid1(SALU_CYCLE_1)
	v_cmp_ne_u32_e32 vcc_lo, 0x7f800000, v70
                                        ; implicit-def: $vgpr70
	s_and_saveexec_b32 s3, vcc_lo
	s_xor_b32 s3, exec_lo, s3
; %bb.72:
	v_bfe_u32 v70, v65, 16, 1
	s_delay_alu instid0(VALU_DEP_1)
	v_add3_u32 v70, v65, v70, 0x7fff
                                        ; implicit-def: $vgpr65
; %bb.73:
	s_and_not1_saveexec_b32 s3, s3
; %bb.74:
	v_and_b32_e32 v70, 0xffff, v65
	v_or_b32_e32 v81, 0x10000, v65
	s_delay_alu instid0(VALU_DEP_2) | instskip(NEXT) | instid1(VALU_DEP_2)
	v_cmp_eq_u32_e32 vcc_lo, 0, v70
	v_cndmask_b32_e32 v70, v81, v65, vcc_lo
; %bb.75:
	s_or_b32 exec_lo, exec_lo, s3
	s_delay_alu instid0(VALU_DEP_1)
	v_perm_b32 v85, v70, v77, 0x7060302
	v_perm_b32 v84, v76, v80, 0x7060302
	;; [unrolled: 1-line block ×4, first 2 shown]
	v_lshl_or_b32 v81, v66, 11, v79
	ds_store_b128 v75, v[82:85] offset:1024
	s_waitcnt lgkmcnt(0)
	s_barrier
	buffer_gl0_inv
	ds_load_b128 v[69:72], v81
	ds_load_b128 v[82:85], v81 offset:16
	s_waitcnt lgkmcnt(1)
	v_lshrrev_b32_e32 v65, 16, v69
	v_lshlrev_b32_e32 v77, 2, v74
	v_lshrrev_b32_e32 v66, 16, v70
	s_waitcnt lgkmcnt(0)
	v_lshrrev_b32_e32 v90, 16, v82
	v_lshrrev_b32_e32 v94, 16, v71
	;; [unrolled: 1-line block ×3, first 2 shown]
	v_cmp_eq_u32_e32 vcc_lo, 1, v77
	v_lshrrev_b32_e32 v95, 16, v72
	v_lshrrev_b32_e32 v97, 16, v84
	;; [unrolled: 1-line block ×3, first 2 shown]
	v_cndmask_b32_e32 v80, v69, v65, vcc_lo
	v_or_b32_e32 v78, 1, v77
	v_cmp_eq_u32_e64 s4, 2, v77
	v_cmp_eq_u32_e64 s7, 3, v77
	;; [unrolled: 1-line block ×3, first 2 shown]
	v_or_b32_e32 v76, 2, v77
	v_cmp_eq_u32_e64 s3, 1, v78
	v_cndmask_b32_e64 v80, v80, v70, s4
	v_cmp_eq_u32_e64 s6, 2, v78
	v_cmp_eq_u32_e64 s8, 3, v78
	;; [unrolled: 1-line block ×3, first 2 shown]
	v_cndmask_b32_e64 v87, v69, v65, s3
	v_cndmask_b32_e64 v80, v80, v66, s7
	;; [unrolled: 1-line block ×3, first 2 shown]
	v_cmp_eq_u32_e64 s11, 4, v78
	v_cmp_eq_u32_e64 s5, 1, v76
	v_cndmask_b32_e64 v87, v87, v70, s6
	v_cndmask_b32_e64 v80, v80, v71, s9
	;; [unrolled: 1-line block ×3, first 2 shown]
	v_cmp_eq_u32_e64 s12, 6, v77
	v_cmp_eq_u32_e64 s13, 5, v78
	v_cndmask_b32_e64 v87, v87, v66, s8
	v_cndmask_b32_e64 v80, v80, v94, s10
	;; [unrolled: 1-line block ×4, first 2 shown]
	v_cmp_eq_u32_e64 s16, 7, v77
	v_cndmask_b32_e64 v87, v87, v71, s11
	v_cndmask_b32_e64 v80, v80, v72, s12
	v_cmp_eq_u32_e64 s17, 6, v78
	v_cmp_eq_u32_e64 s18, 2, v76
	v_cndmask_b32_e64 v88, v88, v84, s11
	v_cndmask_b32_e64 v87, v87, v94, s13
	;; [unrolled: 1-line block ×3, first 2 shown]
	v_cmp_eq_u32_e64 s19, 7, v78
	v_cndmask_b32_e64 v80, v89, v70, s18
	v_cmp_eq_u32_e64 s20, 3, v76
	v_cndmask_b32_e64 v87, v87, v72, s17
	v_cmp_eq_u32_e64 s21, 4, v76
	v_cmp_eq_u32_e64 s23, 5, v76
	;; [unrolled: 1-line block ×4, first 2 shown]
	v_cndmask_b32_e64 v101, v87, v95, s19
	v_cndmask_b32_e64 v87, v88, v97, s13
	;; [unrolled: 1-line block ×3, first 2 shown]
	v_or_b32_e32 v80, 3, v77
	s_delay_alu instid0(VALU_DEP_3) | instskip(NEXT) | instid1(VALU_DEP_3)
	v_cndmask_b32_e64 v102, v87, v85, s17
	v_cndmask_b32_e64 v91, v88, v71, s21
	s_delay_alu instid0(VALU_DEP_3)
	v_cmp_eq_u32_e64 s22, 1, v80
	v_cmp_eq_u32_e64 s24, 2, v80
	;; [unrolled: 1-line block ×5, first 2 shown]
	v_cndmask_b32_e64 v65, v69, v65, s22
	v_cmp_eq_u32_e64 s30, 6, v80
	v_cndmask_b32_e64 v103, v91, v94, s23
	s_delay_alu instid0(VALU_DEP_3) | instskip(NEXT) | instid1(VALU_DEP_1)
	v_cndmask_b32_e64 v65, v65, v70, s24
	v_cndmask_b32_e64 v65, v65, v66, s26
	s_delay_alu instid0(VALU_DEP_3) | instskip(NEXT) | instid1(VALU_DEP_2)
	v_cndmask_b32_e64 v66, v103, v72, s25
	v_cndmask_b32_e64 v65, v65, v71, s27
	s_delay_alu instid0(VALU_DEP_2) | instskip(NEXT) | instid1(VALU_DEP_2)
	v_cndmask_b32_e64 v66, v66, v95, s28
	v_cndmask_b32_e64 v65, v65, v94, s29
	s_delay_alu instid0(VALU_DEP_1) | instskip(SKIP_1) | instid1(VALU_DEP_1)
	v_cndmask_b32_e64 v65, v65, v72, s30
	v_cndmask_b32_e32 v86, v82, v90, vcc_lo
	v_cndmask_b32_e64 v86, v86, v83, s4
	s_delay_alu instid0(VALU_DEP_1) | instskip(NEXT) | instid1(VALU_DEP_1)
	v_cndmask_b32_e64 v86, v86, v96, s7
	v_cndmask_b32_e64 v86, v86, v84, s9
	s_delay_alu instid0(VALU_DEP_1) | instskip(NEXT) | instid1(VALU_DEP_1)
	v_cndmask_b32_e64 v86, v86, v97, s10
	v_cndmask_b32_e64 v86, v86, v85, s12
	s_delay_alu instid0(VALU_DEP_1) | instskip(SKIP_2) | instid1(VALU_DEP_2)
	v_cndmask_b32_e64 v100, v86, v98, s16
	v_cndmask_b32_e64 v86, v82, v90, s5
	;; [unrolled: 1-line block ×4, first 2 shown]
	s_delay_alu instid0(VALU_DEP_2) | instskip(SKIP_1) | instid1(VALU_DEP_3)
	v_cndmask_b32_e64 v70, v82, v83, s24
	v_cndmask_b32_e64 v82, v102, v98, s19
	;; [unrolled: 1-line block ×3, first 2 shown]
	ds_load_b128 v[86:89], v81 offset:1024
	v_cndmask_b32_e64 v70, v70, v96, s26
	v_cndmask_b32_e64 v69, v92, v84, s21
	ds_load_b128 v[90:93], v81 offset:1040
	v_cndmask_b32_e64 v70, v70, v84, s27
	v_cndmask_b32_e64 v69, v69, v97, s23
	s_delay_alu instid0(VALU_DEP_2) | instskip(NEXT) | instid1(VALU_DEP_2)
	v_cndmask_b32_e64 v70, v70, v97, s29
	v_cndmask_b32_e64 v69, v69, v85, s25
	s_delay_alu instid0(VALU_DEP_2) | instskip(NEXT) | instid1(VALU_DEP_2)
	v_cndmask_b32_e64 v70, v70, v85, s30
	v_cndmask_b32_e64 v69, v69, v98, s28
	s_waitcnt lgkmcnt(1)
	v_lshrrev_b32_e32 v83, 16, v86
	v_lshrrev_b32_e32 v94, 16, v87
	;; [unrolled: 1-line block ×3, first 2 shown]
	s_delay_alu instid0(VALU_DEP_3) | instskip(SKIP_3) | instid1(VALU_DEP_3)
	v_cndmask_b32_e32 v71, v86, v83, vcc_lo
	s_waitcnt lgkmcnt(0)
	v_lshrrev_b32_e32 v84, 16, v90
	v_cndmask_b32_e64 v96, v86, v83, s3
	v_cndmask_b32_e64 v71, v71, v87, s4
	s_delay_alu instid0(VALU_DEP_3) | instskip(NEXT) | instid1(VALU_DEP_3)
	v_cndmask_b32_e32 v97, v90, v84, vcc_lo
	v_cndmask_b32_e64 v72, v96, v87, s6
	v_lshrrev_b32_e32 v96, 16, v91
	v_cmp_eq_u32_e32 vcc_lo, 7, v80
	v_cndmask_b32_e64 v71, v71, v94, s7
	v_cndmask_b32_e64 v85, v97, v91, s4
	;; [unrolled: 1-line block ×3, first 2 shown]
	v_lshrrev_b32_e32 v97, 16, v88
	v_cndmask_b32_e32 v65, v65, v95, vcc_lo
	v_cndmask_b32_e64 v71, v71, v88, s9
	v_cndmask_b32_e64 v85, v85, v96, s7
	v_cndmask_b32_e32 v70, v70, v98, vcc_lo
	v_cndmask_b32_e64 v95, v72, v88, s11
	v_lshrrev_b32_e32 v98, 16, v92
	v_cndmask_b32_e64 v71, v71, v97, s10
	v_cndmask_b32_e64 v85, v85, v92, s9
	v_perm_b32 v72, v70, v65, 0x5040100
	v_cndmask_b32_e64 v65, v95, v97, s13
	v_perm_b32 v70, v82, v101, 0x5040100
	v_cndmask_b32_e64 v95, v71, v89, s12
	v_cndmask_b32_e64 v85, v85, v98, s10
	v_perm_b32 v71, v69, v66, 0x5040100
	v_cndmask_b32_e64 v65, v65, v89, s17
	v_lshrrev_b32_e32 v82, 16, v93
	v_cndmask_b32_e64 v66, v95, v102, s16
	v_cndmask_b32_e64 v69, v85, v93, s12
	;; [unrolled: 1-line block ×34, first 2 shown]
	v_cndmask_b32_e32 v83, v83, v102, vcc_lo
	v_cndmask_b32_e32 v85, v86, v82, vcc_lo
	v_cndmask_b32_e64 v86, v87, v82, s28
	v_cndmask_b32_e64 v87, v84, v82, s19
	;; [unrolled: 1-line block ×3, first 2 shown]
	v_perm_b32 v69, v100, v99, 0x5040100
	v_perm_b32 v85, v85, v83, 0x5040100
	;; [unrolled: 1-line block ×5, first 2 shown]
	s_mov_b32 s3, exec_lo
	ds_store_b128 v75, v[69:72]
	ds_store_b128 v75, v[82:85] offset:1024
	v_cmpx_eq_u32_e32 0, v0
	s_cbranch_execz .LBB1870_77
; %bb.76:
	s_load_b128 s[4:7], s[0:1], 0x58
	s_mul_i32 s8, s37, s34
	v_mov_b32_e32 v65, 0
	s_add_i32 s8, s8, s15
	s_delay_alu instid0(SALU_CYCLE_1) | instskip(NEXT) | instid1(SALU_CYCLE_1)
	s_mul_i32 s8, s8, s36
	s_add_i32 s8, s8, s14
	s_delay_alu instid0(SALU_CYCLE_1) | instskip(NEXT) | instid1(SALU_CYCLE_1)
	s_ashr_i32 s9, s8, 31
	s_lshl_b64 s[8:9], s[8:9], 2
	s_waitcnt lgkmcnt(0)
	s_add_u32 s6, s6, s8
	s_addc_u32 s7, s7, s9
	s_add_u32 s4, s4, s8
	s_addc_u32 s5, s5, s9
	s_clause 0x1
	global_store_b32 v65, v67, s[6:7]
	global_store_b32 v65, v68, s[4:5]
.LBB1870_77:
	s_or_b32 exec_lo, exec_lo, s3
	s_waitcnt lgkmcnt(0)
	s_waitcnt_vscnt null, 0x0
	s_barrier
	buffer_gl0_inv
	ds_load_b128 v[82:85], v79
	ds_load_b128 v[86:89], v79 offset:16
	ds_load_b128 v[94:97], v79 offset:2064
	;; [unrolled: 1-line block ×3, first 2 shown]
	v_mov_b32_e32 v65, 0
	ds_load_b128 v[102:105], v79 offset:4112
	ds_load_b128 v[98:101], v79 offset:4096
	;; [unrolled: 1-line block ×4, first 2 shown]
	v_mov_b32_e32 v66, v65
	v_mov_b32_e32 v67, v65
	;; [unrolled: 1-line block ×7, first 2 shown]
	s_waitcnt lgkmcnt(6)
	s_delay_alu instid0(VALU_DEP_1)
	v_wmma_f32_16x16x16_bf16 v[65:72], v[49:56], v[82:89], v[65:72]
	ds_load_b128 v[53:56], v79 offset:8208
	ds_load_b128 v[49:52], v79 offset:8192
	s_waitcnt lgkmcnt(6)
	v_wmma_f32_16x16x16_bf16 v[65:72], v[41:48], v[90:97], v[65:72]
	ds_load_b128 v[45:48], v79 offset:10256
	ds_load_b128 v[41:44], v79 offset:10240
	s_waitcnt lgkmcnt(6)
	;; [unrolled: 4-line block ×4, first 2 shown]
	v_wmma_f32_16x16x16_bf16 v[65:72], v[1:8], v[49:56], v[65:72]
	s_waitcnt lgkmcnt(4)
	s_delay_alu instid0(VALU_DEP_1) | instskip(SKIP_1) | instid1(VALU_DEP_1)
	v_wmma_f32_16x16x16_bf16 v[65:72], v[9:16], v[41:48], v[65:72]
	s_waitcnt lgkmcnt(2)
	v_wmma_f32_16x16x16_bf16 v[65:72], v[17:24], v[33:40], v[65:72]
	s_waitcnt lgkmcnt(0)
	s_delay_alu instid0(VALU_DEP_1) | instskip(NEXT) | instid1(VALU_DEP_1)
	v_wmma_f32_16x16x16_bf16 v[65:72], v[57:64], v[25:32], v[65:72]
	v_and_b32_e32 v1, 0x7f800000, v65
	s_delay_alu instid0(VALU_DEP_1) | instskip(SKIP_1) | instid1(SALU_CYCLE_1)
	v_cmp_ne_u32_e32 vcc_lo, 0x7f800000, v1
                                        ; implicit-def: $vgpr1
	s_and_saveexec_b32 s3, vcc_lo
	s_xor_b32 s3, exec_lo, s3
; %bb.78:
	v_bfe_u32 v1, v65, 16, 1
	s_delay_alu instid0(VALU_DEP_1)
	v_add3_u32 v1, v65, v1, 0x7fff
; %bb.79:
	s_and_not1_saveexec_b32 s3, s3
; %bb.80:
	v_and_b32_e32 v1, 0xffff, v65
	v_or_b32_e32 v2, 0x10000, v65
	s_delay_alu instid0(VALU_DEP_2) | instskip(NEXT) | instid1(VALU_DEP_2)
	v_cmp_eq_u32_e32 vcc_lo, 0, v1
	v_cndmask_b32_e32 v1, v2, v65, vcc_lo
; %bb.81:
	s_or_b32 exec_lo, exec_lo, s3
	v_and_b32_e32 v2, 0x7f800000, v66
	s_delay_alu instid0(VALU_DEP_1) | instskip(SKIP_1) | instid1(SALU_CYCLE_1)
	v_cmp_ne_u32_e32 vcc_lo, 0x7f800000, v2
                                        ; implicit-def: $vgpr2
	s_and_saveexec_b32 s3, vcc_lo
	s_xor_b32 s3, exec_lo, s3
; %bb.82:
	v_bfe_u32 v2, v66, 16, 1
	s_delay_alu instid0(VALU_DEP_1)
	v_add3_u32 v2, v66, v2, 0x7fff
; %bb.83:
	s_and_not1_saveexec_b32 s3, s3
; %bb.84:
	v_and_b32_e32 v2, 0xffff, v66
	v_or_b32_e32 v3, 0x10000, v66
	s_delay_alu instid0(VALU_DEP_2) | instskip(NEXT) | instid1(VALU_DEP_2)
	v_cmp_eq_u32_e32 vcc_lo, 0, v2
	v_cndmask_b32_e32 v2, v3, v66, vcc_lo
; %bb.85:
	s_or_b32 exec_lo, exec_lo, s3
	v_and_b32_e32 v3, 0x7f800000, v67
	s_delay_alu instid0(VALU_DEP_1) | instskip(SKIP_1) | instid1(SALU_CYCLE_1)
	v_cmp_ne_u32_e32 vcc_lo, 0x7f800000, v3
                                        ; implicit-def: $vgpr3
	s_and_saveexec_b32 s3, vcc_lo
	s_xor_b32 s3, exec_lo, s3
; %bb.86:
	v_bfe_u32 v3, v67, 16, 1
	s_delay_alu instid0(VALU_DEP_1)
	v_add3_u32 v3, v67, v3, 0x7fff
; %bb.87:
	s_and_not1_saveexec_b32 s3, s3
; %bb.88:
	v_and_b32_e32 v3, 0xffff, v67
	v_or_b32_e32 v4, 0x10000, v67
	s_delay_alu instid0(VALU_DEP_2) | instskip(NEXT) | instid1(VALU_DEP_2)
	v_cmp_eq_u32_e32 vcc_lo, 0, v3
	v_cndmask_b32_e32 v3, v4, v67, vcc_lo
; %bb.89:
	s_or_b32 exec_lo, exec_lo, s3
	v_and_b32_e32 v4, 0x7f800000, v68
	s_delay_alu instid0(VALU_DEP_1) | instskip(SKIP_1) | instid1(SALU_CYCLE_1)
	v_cmp_ne_u32_e32 vcc_lo, 0x7f800000, v4
                                        ; implicit-def: $vgpr4
	s_and_saveexec_b32 s3, vcc_lo
	s_xor_b32 s3, exec_lo, s3
; %bb.90:
	v_bfe_u32 v4, v68, 16, 1
	s_delay_alu instid0(VALU_DEP_1)
	v_add3_u32 v4, v68, v4, 0x7fff
; %bb.91:
	s_and_not1_saveexec_b32 s3, s3
; %bb.92:
	v_and_b32_e32 v4, 0xffff, v68
	v_or_b32_e32 v5, 0x10000, v68
	s_delay_alu instid0(VALU_DEP_2) | instskip(NEXT) | instid1(VALU_DEP_2)
	v_cmp_eq_u32_e32 vcc_lo, 0, v4
	v_cndmask_b32_e32 v4, v5, v68, vcc_lo
; %bb.93:
	s_or_b32 exec_lo, exec_lo, s3
	v_and_b32_e32 v5, 0x7f800000, v69
	s_delay_alu instid0(VALU_DEP_1) | instskip(SKIP_1) | instid1(SALU_CYCLE_1)
	v_cmp_ne_u32_e32 vcc_lo, 0x7f800000, v5
                                        ; implicit-def: $vgpr5
	s_and_saveexec_b32 s3, vcc_lo
	s_xor_b32 s3, exec_lo, s3
; %bb.94:
	v_bfe_u32 v5, v69, 16, 1
	s_delay_alu instid0(VALU_DEP_1)
	v_add3_u32 v5, v69, v5, 0x7fff
; %bb.95:
	s_and_not1_saveexec_b32 s3, s3
; %bb.96:
	v_and_b32_e32 v5, 0xffff, v69
	v_or_b32_e32 v6, 0x10000, v69
	s_delay_alu instid0(VALU_DEP_2) | instskip(NEXT) | instid1(VALU_DEP_2)
	v_cmp_eq_u32_e32 vcc_lo, 0, v5
	v_cndmask_b32_e32 v5, v6, v69, vcc_lo
; %bb.97:
	s_or_b32 exec_lo, exec_lo, s3
	v_and_b32_e32 v6, 0x7f800000, v70
	s_delay_alu instid0(VALU_DEP_1) | instskip(SKIP_1) | instid1(SALU_CYCLE_1)
	v_cmp_ne_u32_e32 vcc_lo, 0x7f800000, v6
                                        ; implicit-def: $vgpr6
	s_and_saveexec_b32 s3, vcc_lo
	s_xor_b32 s3, exec_lo, s3
; %bb.98:
	v_bfe_u32 v6, v70, 16, 1
	s_delay_alu instid0(VALU_DEP_1)
	v_add3_u32 v6, v70, v6, 0x7fff
; %bb.99:
	s_and_not1_saveexec_b32 s3, s3
; %bb.100:
	v_and_b32_e32 v6, 0xffff, v70
	v_or_b32_e32 v7, 0x10000, v70
	s_delay_alu instid0(VALU_DEP_2) | instskip(NEXT) | instid1(VALU_DEP_2)
	v_cmp_eq_u32_e32 vcc_lo, 0, v6
	v_cndmask_b32_e32 v6, v7, v70, vcc_lo
; %bb.101:
	s_or_b32 exec_lo, exec_lo, s3
	v_and_b32_e32 v7, 0x7f800000, v71
	s_delay_alu instid0(VALU_DEP_1) | instskip(SKIP_1) | instid1(SALU_CYCLE_1)
	v_cmp_ne_u32_e32 vcc_lo, 0x7f800000, v7
                                        ; implicit-def: $vgpr7
	s_and_saveexec_b32 s3, vcc_lo
	s_xor_b32 s3, exec_lo, s3
; %bb.102:
	v_bfe_u32 v7, v71, 16, 1
	s_delay_alu instid0(VALU_DEP_1)
	v_add3_u32 v7, v71, v7, 0x7fff
; %bb.103:
	s_and_not1_saveexec_b32 s3, s3
; %bb.104:
	v_and_b32_e32 v7, 0xffff, v71
	v_or_b32_e32 v8, 0x10000, v71
	s_delay_alu instid0(VALU_DEP_2) | instskip(NEXT) | instid1(VALU_DEP_2)
	v_cmp_eq_u32_e32 vcc_lo, 0, v7
	v_cndmask_b32_e32 v7, v8, v71, vcc_lo
; %bb.105:
	s_or_b32 exec_lo, exec_lo, s3
	v_and_b32_e32 v8, 0x7f800000, v72
	s_delay_alu instid0(VALU_DEP_1) | instskip(SKIP_1) | instid1(SALU_CYCLE_1)
	v_cmp_ne_u32_e32 vcc_lo, 0x7f800000, v8
                                        ; implicit-def: $vgpr8
	s_and_saveexec_b32 s3, vcc_lo
	s_xor_b32 s3, exec_lo, s3
; %bb.106:
	v_bfe_u32 v8, v72, 16, 1
	s_delay_alu instid0(VALU_DEP_1)
	v_add3_u32 v8, v72, v8, 0x7fff
                                        ; implicit-def: $vgpr65_vgpr66_vgpr67_vgpr68_vgpr69_vgpr70_vgpr71_vgpr72
; %bb.107:
	s_and_not1_saveexec_b32 s3, s3
; %bb.108:
	v_and_b32_e32 v8, 0xffff, v72
	v_or_b32_e32 v9, 0x10000, v72
	s_delay_alu instid0(VALU_DEP_2) | instskip(NEXT) | instid1(VALU_DEP_2)
	v_cmp_eq_u32_e32 vcc_lo, 0, v8
	v_cndmask_b32_e32 v8, v9, v72, vcc_lo
; %bb.109:
	s_or_b32 exec_lo, exec_lo, s3
	s_delay_alu instid0(VALU_DEP_1)
	v_perm_b32 v7, v8, v7, 0x7060302
	v_perm_b32 v6, v6, v5, 0x7060302
	;; [unrolled: 1-line block ×4, first 2 shown]
	s_barrier
	buffer_gl0_inv
	v_cmp_eq_u32_e32 vcc_lo, 1, v77
	ds_store_b128 v75, v[4:7]
	s_waitcnt lgkmcnt(0)
	s_barrier
	buffer_gl0_inv
	ds_load_b128 v[1:4], v81
	ds_load_b128 v[5:8], v81 offset:16
	v_cmp_eq_u32_e64 s3, 1, v78
	v_cmp_eq_u32_e64 s4, 2, v77
	;; [unrolled: 1-line block ×5, first 2 shown]
	s_xor_b32 s2, s2, -1
	s_waitcnt lgkmcnt(1)
	v_lshrrev_b32_e32 v9, 16, v1
	s_waitcnt lgkmcnt(0)
	v_lshrrev_b32_e32 v13, 16, v5
	v_lshrrev_b32_e32 v10, 16, v2
	;; [unrolled: 1-line block ×4, first 2 shown]
	v_cndmask_b32_e64 v19, v1, v9, s3
	v_cndmask_b32_e32 v18, v5, v13, vcc_lo
	v_cndmask_b32_e64 v20, v5, v13, s3
	v_cndmask_b32_e32 v17, v1, v9, vcc_lo
	v_cmp_eq_u32_e32 vcc_lo, 2, v78
	v_lshrrev_b32_e32 v15, 16, v7
	v_cmp_eq_u32_e64 s3, 1, v76
	v_lshrrev_b32_e32 v12, 16, v4
	v_lshrrev_b32_e32 v16, 16, v8
	v_cndmask_b32_e32 v20, v20, v6, vcc_lo
	v_cndmask_b32_e64 v17, v17, v2, s4
	v_cndmask_b32_e32 v19, v19, v2, vcc_lo
	v_cndmask_b32_e64 v18, v18, v6, s4
	v_cmp_eq_u32_e32 vcc_lo, 4, v77
	v_cmp_eq_u32_e64 s4, 3, v78
	v_cndmask_b32_e64 v17, v17, v10, s5
	v_cndmask_b32_e64 v21, v1, v9, s3
	v_cndmask_b32_e64 v18, v18, v14, s5
	v_cndmask_b32_e64 v22, v5, v13, s3
	v_cndmask_b32_e64 v19, v19, v10, s4
	v_cndmask_b32_e32 v17, v17, v3, vcc_lo
	v_cndmask_b32_e64 v20, v20, v14, s4
	v_cndmask_b32_e32 v18, v18, v7, vcc_lo
	v_cmp_eq_u32_e32 vcc_lo, 4, v78
	v_cmp_eq_u32_e64 s4, 5, v78
	v_cmp_eq_u32_e64 s3, 2, v80
	v_cndmask_b32_e64 v21, v21, v2, s7
	v_cmp_eq_u32_e64 s5, 5, v77
	v_cndmask_b32_e32 v19, v19, v3, vcc_lo
	v_cndmask_b32_e32 v20, v20, v7, vcc_lo
	v_cmp_eq_u32_e32 vcc_lo, 6, v78
	s_delay_alu instid0(VALU_DEP_4) | instskip(NEXT) | instid1(VALU_DEP_4)
	v_cndmask_b32_e64 v17, v17, v11, s5
	v_cndmask_b32_e64 v19, v19, v11, s4
	s_delay_alu instid0(VALU_DEP_4) | instskip(SKIP_1) | instid1(VALU_DEP_3)
	v_cndmask_b32_e64 v20, v20, v15, s4
	v_cmp_eq_u32_e64 s4, 1, v80
	v_cndmask_b32_e32 v19, v19, v4, vcc_lo
	v_cndmask_b32_e64 v18, v18, v15, s5
	s_delay_alu instid0(VALU_DEP_3)
	v_cndmask_b32_e64 v1, v1, v9, s4
	v_cndmask_b32_e64 v5, v5, v13, s4
	v_cmp_eq_u32_e64 s4, 3, v76
	v_cndmask_b32_e64 v13, v22, v6, s7
	v_cmp_eq_u32_e64 s7, 3, v80
	v_cndmask_b32_e64 v1, v1, v2, s3
	v_cndmask_b32_e64 v2, v5, v6, s3
	;; [unrolled: 1-line block ×3, first 2 shown]
	v_cmp_eq_u32_e64 s3, 4, v76
	v_cndmask_b32_e64 v6, v13, v14, s4
	v_cndmask_b32_e64 v1, v1, v10, s7
	v_cmp_eq_u32_e64 s4, 4, v80
	v_cndmask_b32_e64 v2, v2, v14, s7
	v_cndmask_b32_e64 v5, v9, v3, s3
	;; [unrolled: 3-line block ×3, first 2 shown]
	v_cndmask_b32_e64 v2, v2, v7, s4
	v_cmp_eq_u32_e64 s3, 5, v80
	v_cmp_eq_u32_e64 s5, 6, v77
	v_cndmask_b32_e64 v5, v5, v11, s7
	v_cmp_eq_u32_e64 s4, 6, v76
	v_cndmask_b32_e64 v3, v6, v15, s7
	v_cndmask_b32_e64 v1, v1, v11, s3
	v_cmp_eq_u32_e64 s7, 6, v80
	v_cndmask_b32_e64 v2, v2, v15, s3
	v_cndmask_b32_e64 v17, v17, v4, s5
	v_cndmask_b32_e64 v18, v18, v8, s5
	v_cmp_eq_u32_e64 s5, 7, v77
	v_cndmask_b32_e64 v5, v5, v4, s4
	;; [unrolled: 4-line block ×3, first 2 shown]
	v_cmp_eq_u32_e64 s4, 7, v76
	v_cndmask_b32_e32 v4, v20, v8, vcc_lo
	v_cndmask_b32_e64 v17, v17, v12, s5
	v_cndmask_b32_e64 v19, v19, v12, s6
	;; [unrolled: 1-line block ×8, first 2 shown]
	v_cmp_gt_u32_e32 vcc_lo, 32, v0
	v_perm_b32 v4, v2, v1, 0x5040100
	v_perm_b32 v3, v3, v5, 0x5040100
	;; [unrolled: 1-line block ×4, first 2 shown]
	s_and_b32 s2, vcc_lo, s2
	ds_store_b128 v75, v[1:4]
	s_waitcnt lgkmcnt(0)
	s_barrier
	buffer_gl0_inv
	s_and_saveexec_b32 s3, s2
	s_cbranch_execz .LBB1870_2
; %bb.110:
	s_load_b64 s[0:1], s[0:1], 0x68
	v_lshlrev_b32_e32 v1, 10, v0
	v_and_b32_e32 v0, 1, v0
	v_lshlrev_b32_e32 v2, 6, v74
	s_lshl_b32 s4, s36, 7
	s_delay_alu instid0(VALU_DEP_3) | instskip(NEXT) | instid1(VALU_DEP_3)
	v_and_b32_e32 v1, 0x3800, v1
	v_lshlrev_b32_e32 v0, 4, v0
	s_mul_i32 s2, s4, s34
	s_delay_alu instid0(SALU_CYCLE_1) | instskip(NEXT) | instid1(VALU_DEP_1)
	s_mul_i32 s2, s2, s37
	v_or3_b32 v0, v1, v2, v0
	s_ashr_i32 s3, s2, 31
	s_delay_alu instid0(SALU_CYCLE_1)
	s_lshl_b64 s[2:3], s[2:3], 1
	ds_load_b128 v[0:3], v0
	s_waitcnt lgkmcnt(0)
	s_add_u32 s5, s0, s2
	s_addc_u32 s3, s1, s3
	s_lshl_b32 s0, s14, 7
	s_mul_i32 s2, s4, s15
	s_ashr_i32 s1, s0, 31
	s_delay_alu instid0(SALU_CYCLE_1) | instskip(NEXT) | instid1(SALU_CYCLE_1)
	s_lshl_b64 s[0:1], s[0:1], 1
	s_add_u32 s4, s5, s0
	s_addc_u32 s5, s3, s1
	s_ashr_i32 s3, s2, 31
	s_delay_alu instid0(SALU_CYCLE_1) | instskip(NEXT) | instid1(SALU_CYCLE_1)
	s_lshl_b64 s[0:1], s[2:3], 1
	s_add_u32 s0, s4, s0
	s_addc_u32 s1, s5, s1
	global_store_b128 v73, v[0:3], s[0:1]
	s_nop 0
	s_sendmsg sendmsg(MSG_DEALLOC_VGPRS)
	s_endpgm
	.section	.rodata,"a",@progbits
	.p2align	6, 0x0
	.amdhsa_kernel _Z39paged_attention_ll4mi_QKV_mfma16_kernelI14__hip_bfloat16hLN4vllm18Fp8KVCacheDataTypeE1EhLi32ELi128ELi256ELb1ELi1EL8MFMAType0EEvPKT_PKT0_S9_ifPKiSB_SB_iPKfiiiPfSE_PS4_PT2_iSD_SD_
		.amdhsa_group_segment_fixed_size 17472
		.amdhsa_private_segment_fixed_size 0
		.amdhsa_kernarg_size 400
		.amdhsa_user_sgpr_count 13
		.amdhsa_user_sgpr_dispatch_ptr 0
		.amdhsa_user_sgpr_queue_ptr 0
		.amdhsa_user_sgpr_kernarg_segment_ptr 1
		.amdhsa_user_sgpr_dispatch_id 0
		.amdhsa_user_sgpr_private_segment_size 0
		.amdhsa_wavefront_size32 1
		.amdhsa_uses_dynamic_stack 0
		.amdhsa_enable_private_segment 0
		.amdhsa_system_sgpr_workgroup_id_x 1
		.amdhsa_system_sgpr_workgroup_id_y 1
		.amdhsa_system_sgpr_workgroup_id_z 1
		.amdhsa_system_sgpr_workgroup_info 0
		.amdhsa_system_vgpr_workitem_id 0
		.amdhsa_next_free_vgpr 138
		.amdhsa_next_free_sgpr 68
		.amdhsa_reserve_vcc 1
		.amdhsa_float_round_mode_32 0
		.amdhsa_float_round_mode_16_64 0
		.amdhsa_float_denorm_mode_32 3
		.amdhsa_float_denorm_mode_16_64 3
		.amdhsa_dx10_clamp 1
		.amdhsa_ieee_mode 1
		.amdhsa_fp16_overflow 0
		.amdhsa_workgroup_processor_mode 1
		.amdhsa_memory_ordered 1
		.amdhsa_forward_progress 0
		.amdhsa_shared_vgpr_count 0
		.amdhsa_exception_fp_ieee_invalid_op 0
		.amdhsa_exception_fp_denorm_src 0
		.amdhsa_exception_fp_ieee_div_zero 0
		.amdhsa_exception_fp_ieee_overflow 0
		.amdhsa_exception_fp_ieee_underflow 0
		.amdhsa_exception_fp_ieee_inexact 0
		.amdhsa_exception_int_div_zero 0
	.end_amdhsa_kernel
	.section	.text._Z39paged_attention_ll4mi_QKV_mfma16_kernelI14__hip_bfloat16hLN4vllm18Fp8KVCacheDataTypeE1EhLi32ELi128ELi256ELb1ELi1EL8MFMAType0EEvPKT_PKT0_S9_ifPKiSB_SB_iPKfiiiPfSE_PS4_PT2_iSD_SD_,"axG",@progbits,_Z39paged_attention_ll4mi_QKV_mfma16_kernelI14__hip_bfloat16hLN4vllm18Fp8KVCacheDataTypeE1EhLi32ELi128ELi256ELb1ELi1EL8MFMAType0EEvPKT_PKT0_S9_ifPKiSB_SB_iPKfiiiPfSE_PS4_PT2_iSD_SD_,comdat
.Lfunc_end1870:
	.size	_Z39paged_attention_ll4mi_QKV_mfma16_kernelI14__hip_bfloat16hLN4vllm18Fp8KVCacheDataTypeE1EhLi32ELi128ELi256ELb1ELi1EL8MFMAType0EEvPKT_PKT0_S9_ifPKiSB_SB_iPKfiiiPfSE_PS4_PT2_iSD_SD_, .Lfunc_end1870-_Z39paged_attention_ll4mi_QKV_mfma16_kernelI14__hip_bfloat16hLN4vllm18Fp8KVCacheDataTypeE1EhLi32ELi128ELi256ELb1ELi1EL8MFMAType0EEvPKT_PKT0_S9_ifPKiSB_SB_iPKfiiiPfSE_PS4_PT2_iSD_SD_
                                        ; -- End function
	.section	.AMDGPU.csdata,"",@progbits
; Kernel info:
; codeLenInByte = 8628
; NumSgprs: 70
; NumVgprs: 138
; ScratchSize: 0
; MemoryBound: 1
; FloatMode: 240
; IeeeMode: 1
; LDSByteSize: 17472 bytes/workgroup (compile time only)
; SGPRBlocks: 8
; VGPRBlocks: 17
; NumSGPRsForWavesPerEU: 70
; NumVGPRsForWavesPerEU: 138
; Occupancy: 10
; WaveLimiterHint : 1
; COMPUTE_PGM_RSRC2:SCRATCH_EN: 0
; COMPUTE_PGM_RSRC2:USER_SGPR: 13
; COMPUTE_PGM_RSRC2:TRAP_HANDLER: 0
; COMPUTE_PGM_RSRC2:TGID_X_EN: 1
; COMPUTE_PGM_RSRC2:TGID_Y_EN: 1
; COMPUTE_PGM_RSRC2:TGID_Z_EN: 1
; COMPUTE_PGM_RSRC2:TIDIG_COMP_CNT: 0
	.section	.text._Z39paged_attention_ll4mi_QKV_mfma16_kernelI14__hip_bfloat16hLN4vllm18Fp8KVCacheDataTypeE1EhLi32ELi128ELi256ELb1ELi2EL8MFMAType0EEvPKT_PKT0_S9_ifPKiSB_SB_iPKfiiiPfSE_PS4_PT2_iSD_SD_,"axG",@progbits,_Z39paged_attention_ll4mi_QKV_mfma16_kernelI14__hip_bfloat16hLN4vllm18Fp8KVCacheDataTypeE1EhLi32ELi128ELi256ELb1ELi2EL8MFMAType0EEvPKT_PKT0_S9_ifPKiSB_SB_iPKfiiiPfSE_PS4_PT2_iSD_SD_,comdat
	.protected	_Z39paged_attention_ll4mi_QKV_mfma16_kernelI14__hip_bfloat16hLN4vllm18Fp8KVCacheDataTypeE1EhLi32ELi128ELi256ELb1ELi2EL8MFMAType0EEvPKT_PKT0_S9_ifPKiSB_SB_iPKfiiiPfSE_PS4_PT2_iSD_SD_ ; -- Begin function _Z39paged_attention_ll4mi_QKV_mfma16_kernelI14__hip_bfloat16hLN4vllm18Fp8KVCacheDataTypeE1EhLi32ELi128ELi256ELb1ELi2EL8MFMAType0EEvPKT_PKT0_S9_ifPKiSB_SB_iPKfiiiPfSE_PS4_PT2_iSD_SD_
	.globl	_Z39paged_attention_ll4mi_QKV_mfma16_kernelI14__hip_bfloat16hLN4vllm18Fp8KVCacheDataTypeE1EhLi32ELi128ELi256ELb1ELi2EL8MFMAType0EEvPKT_PKT0_S9_ifPKiSB_SB_iPKfiiiPfSE_PS4_PT2_iSD_SD_
	.p2align	8
	.type	_Z39paged_attention_ll4mi_QKV_mfma16_kernelI14__hip_bfloat16hLN4vllm18Fp8KVCacheDataTypeE1EhLi32ELi128ELi256ELb1ELi2EL8MFMAType0EEvPKT_PKT0_S9_ifPKiSB_SB_iPKfiiiPfSE_PS4_PT2_iSD_SD_,@function
_Z39paged_attention_ll4mi_QKV_mfma16_kernelI14__hip_bfloat16hLN4vllm18Fp8KVCacheDataTypeE1EhLi32ELi128ELi256ELb1ELi2EL8MFMAType0EEvPKT_PKT0_S9_ifPKiSB_SB_iPKfiiiPfSE_PS4_PT2_iSD_SD_: ; @_Z39paged_attention_ll4mi_QKV_mfma16_kernelI14__hip_bfloat16hLN4vllm18Fp8KVCacheDataTypeE1EhLi32ELi128ELi256ELb1ELi2EL8MFMAType0EEvPKT_PKT0_S9_ifPKiSB_SB_iPKfiiiPfSE_PS4_PT2_iSD_SD_
; %bb.0:
	s_load_b64 s[2:3], s[0:1], 0x30
	s_mov_b32 s30, s13
	s_waitcnt lgkmcnt(0)
	s_cmp_lg_u64 s[2:3], 0
	s_cselect_b32 s6, -1, 0
	s_ashr_i32 s31, s13, 31
	s_cmp_eq_u64 s[2:3], 0
	s_cbranch_scc1 .LBB1871_3
; %bb.1:
	s_lshl_b64 s[4:5], s[30:31], 2
	s_delay_alu instid0(SALU_CYCLE_1) | instskip(SKIP_4) | instid1(SALU_CYCLE_1)
	s_add_u32 s4, s2, s4
	s_addc_u32 s5, s3, s5
	s_load_b64 s[4:5], s[4:5], 0x0
	s_waitcnt lgkmcnt(0)
	s_sub_i32 s4, s5, s4
	s_cmp_eq_u32 s4, 1
	s_cselect_b32 s4, -1, 0
	s_delay_alu instid0(SALU_CYCLE_1)
	s_and_not1_b32 vcc_lo, exec_lo, s4
	s_cbranch_vccz .LBB1871_4
.LBB1871_2:
	s_endpgm
.LBB1871_3:
.LBB1871_4:
	s_load_b64 s[8:9], s[0:1], 0x28
	s_lshl_b64 s[4:5], s[30:31], 2
	s_waitcnt lgkmcnt(0)
	s_add_u32 s8, s8, s4
	s_addc_u32 s9, s9, s5
	s_lshl_b32 s16, s14, 8
	s_load_b32 s18, s[8:9], 0x0
	s_waitcnt lgkmcnt(0)
	s_cmp_ge_i32 s16, s18
	s_cbranch_scc1 .LBB1871_2
; %bb.5:
	s_clause 0x1
	s_load_b128 s[8:11], s[0:1], 0x8
	s_load_b64 s[12:13], s[0:1], 0x20
	s_and_not1_b32 vcc_lo, exec_lo, s6
	s_cbranch_vccnz .LBB1871_7
; %bb.6:
	s_add_u32 s2, s2, s4
	s_addc_u32 s3, s3, s5
	s_load_b32 s3, s[2:3], 0x0
	s_branch .LBB1871_8
.LBB1871_7:
	s_mov_b32 s3, s30
.LBB1871_8:
	s_load_b128 s[4:7], s[0:1], 0x48
	v_and_b32_e32 v66, 15, v0
	v_bfe_u32 v65, v0, 4, 1
	s_lshl_b32 s31, s15, 1
	v_and_b32_e32 v67, 31, v0
	v_and_b32_e32 v76, 1, v0
	v_lshlrev_b32_e32 v1, 3, v66
	v_cmp_gt_u32_e64 s2, 32, v0
	v_or_b32_e32 v75, s31, v65
	v_lshlrev_b32_e32 v74, 6, v65
	s_delay_alu instid0(VALU_DEP_4)
	v_lshlrev_b32_e32 v73, 1, v1
	s_waitcnt lgkmcnt(0)
	s_and_saveexec_b32 s7, s2
	s_cbranch_execz .LBB1871_10
; %bb.9:
	s_load_b64 s[20:21], s[0:1], 0x0
	v_lshlrev_b32_e32 v1, 7, v75
	s_mul_hi_i32 s23, s3, s4
	s_mul_i32 s22, s3, s4
	v_lshlrev_b32_e32 v5, 10, v66
	s_lshl_b64 s[22:23], s[22:23], 1
	v_ashrrev_i32_e32 v2, 31, v1
	v_lshlrev_b32_e32 v6, 10, v76
	s_delay_alu instid0(VALU_DEP_3) | instskip(NEXT) | instid1(VALU_DEP_3)
	v_and_b32_e32 v5, 0x3800, v5
	v_lshlrev_b64 v[1:2], 1, v[1:2]
	s_delay_alu instid0(VALU_DEP_2) | instskip(SKIP_3) | instid1(VALU_DEP_2)
	v_or3_b32 v5, v5, v6, v74
	s_waitcnt lgkmcnt(0)
	s_add_u32 s3, s20, s22
	s_addc_u32 s4, s21, s23
	v_add_co_u32 v1, vcc_lo, s3, v1
	v_add_co_ci_u32_e32 v2, vcc_lo, s4, v2, vcc_lo
	s_delay_alu instid0(VALU_DEP_2) | instskip(NEXT) | instid1(VALU_DEP_2)
	v_add_co_u32 v1, vcc_lo, v1, v73
	v_add_co_ci_u32_e32 v2, vcc_lo, 0, v2, vcc_lo
	global_load_b128 v[1:4], v[1:2], off
	s_waitcnt vmcnt(0)
	ds_store_b128 v5, v[1:4]
.LBB1871_10:
	s_or_b32 exec_lo, exec_lo, s7
	v_and_b32_e32 v1, 0xef, v0
	s_add_i32 s3, s18, 31
	s_clause 0x1
	s_load_b32 s4, s[0:1], 0x38
	s_load_b32 s19, s[0:1], 0x1c
	s_ashr_i32 s7, s3, 31
	v_add_nc_u32_e32 v1, s16, v1
	s_lshr_b32 s7, s7, 27
	s_waitcnt lgkmcnt(0)
	s_add_i32 s3, s3, s7
	s_barrier
	v_ashrrev_i32_e32 v2, 31, v1
	v_or_b32_e32 v3, 16, v1
	s_ashr_i32 s3, s3, 5
	v_cmp_gt_i32_e32 vcc_lo, s18, v1
	s_add_i32 s3, s3, -1
	v_lshrrev_b32_e32 v2, 27, v2
	buffer_gl0_inv
	s_mul_i32 s15, s15, s6
	v_lshrrev_b32_e32 v68, 5, v0
	v_lshlrev_b32_e32 v33, 5, v66
	v_add_nc_u32_e32 v4, v1, v2
	s_mul_i32 s20, s30, s4
	s_delay_alu instid0(SALU_CYCLE_1) | instskip(NEXT) | instid1(VALU_DEP_1)
	s_ashr_i32 s21, s20, 31
	v_ashrrev_i32_e32 v4, 5, v4
	v_add_nc_u32_e32 v2, v3, v2
	s_lshl_b64 s[20:21], s[20:21], 2
	v_lshl_or_b32 v33, v68, 9, v33
	s_add_u32 s4, s12, s20
	v_cndmask_b32_e32 v1, s3, v4, vcc_lo
	v_ashrrev_i32_e32 v2, 5, v2
	v_cmp_gt_i32_e32 vcc_lo, s18, v3
	s_addc_u32 s12, s13, s21
	s_ashr_i32 s13, s15, 31
	s_add_u32 s6, s8, s15
	s_addc_u32 s7, s9, s13
	v_cndmask_b32_e32 v3, s3, v2, vcc_lo
	v_ashrrev_i32_e32 v2, 31, v1
	s_lshl_b32 s8, s14, 3
	s_delay_alu instid0(SALU_CYCLE_1) | instskip(NEXT) | instid1(VALU_DEP_2)
	s_ashr_i32 s9, s8, 31
	v_ashrrev_i32_e32 v4, 31, v3
	s_delay_alu instid0(VALU_DEP_2) | instskip(SKIP_1) | instid1(SALU_CYCLE_1)
	v_lshlrev_b64 v[1:2], 2, v[1:2]
	s_lshl_b64 s[8:9], s[8:9], 2
	s_add_u32 s8, s4, s8
	s_delay_alu instid0(VALU_DEP_2) | instskip(SKIP_1) | instid1(VALU_DEP_2)
	v_lshlrev_b64 v[3:4], 2, v[3:4]
	s_addc_u32 s9, s12, s9
	v_add_co_u32 v1, vcc_lo, s4, v1
	v_add_co_ci_u32_e32 v2, vcc_lo, s12, v2, vcc_lo
	s_delay_alu instid0(VALU_DEP_3) | instskip(NEXT) | instid1(VALU_DEP_4)
	v_add_co_u32 v3, vcc_lo, s4, v3
	v_add_co_ci_u32_e32 v4, vcc_lo, s12, v4, vcc_lo
	s_clause 0x1
	global_load_b32 v5, v[1:2], off
	global_load_b32 v6, v[3:4], off
	s_or_b32 s17, s16, 32
	s_delay_alu instid0(SALU_CYCLE_1) | instskip(SKIP_2) | instid1(SALU_CYCLE_1)
	s_ashr_i32 s20, s17, 5
	s_cmp_lt_i32 s17, s18
	s_cselect_b32 s20, s20, s3
	s_ashr_i32 s21, s20, 31
	s_delay_alu instid0(SALU_CYCLE_1) | instskip(NEXT) | instid1(SALU_CYCLE_1)
	s_lshl_b64 s[20:21], s[20:21], 2
	s_add_u32 s20, s4, s20
	s_addc_u32 s21, s12, s21
	s_or_b32 s17, s16, 64
	s_delay_alu instid0(SALU_CYCLE_1) | instskip(SKIP_2) | instid1(SALU_CYCLE_1)
	s_ashr_i32 s22, s17, 5
	s_cmp_lt_i32 s17, s18
	s_cselect_b32 s22, s22, s3
	s_ashr_i32 s23, s22, 31
	s_delay_alu instid0(SALU_CYCLE_1) | instskip(NEXT) | instid1(SALU_CYCLE_1)
	s_lshl_b64 s[22:23], s[22:23], 2
	s_add_u32 s22, s4, s22
	s_addc_u32 s23, s12, s23
	s_or_b32 s17, s16, 0x60
	s_delay_alu instid0(SALU_CYCLE_1) | instskip(SKIP_2) | instid1(SALU_CYCLE_1)
	s_ashr_i32 s24, s17, 5
	s_cmp_lt_i32 s17, s18
	s_cselect_b32 s24, s24, s3
	s_ashr_i32 s25, s24, 31
	s_delay_alu instid0(SALU_CYCLE_1) | instskip(NEXT) | instid1(SALU_CYCLE_1)
	s_lshl_b64 s[24:25], s[24:25], 2
	s_add_u32 s24, s4, s24
	s_addc_u32 s25, s12, s25
	s_or_b32 s17, s16, 0x80
	s_delay_alu instid0(SALU_CYCLE_1) | instskip(SKIP_2) | instid1(SALU_CYCLE_1)
	s_ashr_i32 s26, s17, 5
	s_cmp_lt_i32 s17, s18
	s_cselect_b32 s26, s26, s3
	s_ashr_i32 s27, s26, 31
	s_delay_alu instid0(SALU_CYCLE_1) | instskip(NEXT) | instid1(SALU_CYCLE_1)
	s_lshl_b64 s[26:27], s[26:27], 2
	s_add_u32 s26, s4, s26
	s_addc_u32 s27, s12, s27
	s_or_b32 s17, s16, 0xa0
	s_delay_alu instid0(SALU_CYCLE_1) | instskip(SKIP_2) | instid1(SALU_CYCLE_1)
	s_ashr_i32 s28, s17, 5
	s_cmp_lt_i32 s17, s18
	s_cselect_b32 s28, s28, s3
	s_ashr_i32 s29, s28, 31
	s_delay_alu instid0(SALU_CYCLE_1) | instskip(NEXT) | instid1(SALU_CYCLE_1)
	s_lshl_b64 s[28:29], s[28:29], 2
	s_add_u32 s28, s4, s28
	s_addc_u32 s29, s12, s29
	s_clause 0x5
	s_load_b32 s17, s[8:9], 0x0
	s_load_b32 s33, s[20:21], 0x0
	;; [unrolled: 1-line block ×6, first 2 shown]
	s_mov_b32 s20, 0
	s_delay_alu instid0(SALU_CYCLE_1)
	s_mov_b32 s21, s20
	s_mov_b32 s22, s20
	;; [unrolled: 1-line block ×7, first 2 shown]
	s_delay_alu instid0(SALU_CYCLE_1)
	v_dual_mov_b32 v108, s27 :: v_dual_lshlrev_b32 v137, 6, v76
	v_dual_mov_b32 v102, s21 :: v_dual_mov_b32 v107, s26
	v_dual_mov_b32 v106, s25 :: v_dual_mov_b32 v105, s24
	v_mov_b32_e32 v103, s22
	v_dual_mov_b32 v101, s20 :: v_dual_mov_b32 v104, s23
	s_waitcnt vmcnt(1)
	v_mad_i64_i32 v[1:2], null, v5, s5, s[6:7]
	v_lshlrev_b32_e32 v5, 4, v66
	s_waitcnt vmcnt(0)
	v_mad_i64_i32 v[3:4], null, v6, s5, s[6:7]
	s_or_b32 s6, s16, 0xc0
	s_delay_alu instid0(SALU_CYCLE_1) | instskip(NEXT) | instid1(VALU_DEP_3)
	s_ashr_i32 s7, s6, 5
	v_add_co_u32 v25, vcc_lo, v1, v5
	s_delay_alu instid0(VALU_DEP_4) | instskip(NEXT) | instid1(VALU_DEP_3)
	v_add_co_ci_u32_e32 v26, vcc_lo, 0, v2, vcc_lo
	v_add_co_u32 v27, vcc_lo, v3, v5
	s_delay_alu instid0(VALU_DEP_4)
	v_add_co_ci_u32_e32 v28, vcc_lo, 0, v4, vcc_lo
	s_clause 0xf
	global_load_b128 v[1:4], v[25:26], off
	global_load_b128 v[5:8], v[25:26], off offset:512
	global_load_b128 v[9:12], v[27:28], off offset:256
	;; [unrolled: 1-line block ×15, first 2 shown]
	s_cmp_lt_i32 s6, s18
	ds_load_b128 v[25:28], v137
	ds_load_b128 v[29:32], v137 offset:1024
	s_cselect_b32 s6, s7, s3
	ds_load_b128 v[109:112], v137 offset:2048
	ds_load_b128 v[113:116], v137 offset:3072
	s_ashr_i32 s7, s6, 31
	ds_load_b128 v[117:120], v137 offset:4096
	ds_load_b128 v[121:124], v137 offset:5120
	s_lshl_b64 s[6:7], s[6:7], 2
	s_delay_alu instid0(SALU_CYCLE_1) | instskip(SKIP_2) | instid1(SALU_CYCLE_1)
	s_add_u32 s6, s4, s6
	s_addc_u32 s7, s12, s7
	s_or_b32 s8, s16, 0xe0
	s_ashr_i32 s9, s8, 5
	s_cmp_lt_i32 s8, s18
	s_cselect_b32 s8, s9, s3
	s_delay_alu instid0(SALU_CYCLE_1) | instskip(NEXT) | instid1(SALU_CYCLE_1)
	s_ashr_i32 s9, s8, 31
	s_lshl_b64 s[8:9], s[8:9], 2
	s_delay_alu instid0(SALU_CYCLE_1) | instskip(SKIP_4) | instid1(VALU_DEP_1)
	s_add_u32 s8, s4, s8
	s_addc_u32 s9, s12, s9
	s_add_u32 s3, s10, s15
	s_addc_u32 s4, s11, s13
	v_add_co_u32 v69, s3, s3, v33
	v_add_co_ci_u32_e64 v70, null, s4, 0, s3
	s_clause 0x1
	s_load_b32 s3, s[6:7], 0x0
	s_load_b32 s4, s[8:9], 0x0
	s_waitcnt lgkmcnt(0)
	v_mad_i64_i32 v[33:34], null, s17, s5, v[69:70]
	v_mad_i64_i32 v[71:72], null, s34, s5, v[69:70]
	v_mad_i64_i32 v[133:134], null, s35, s5, v[69:70]
	v_mad_i64_i32 v[37:38], null, s33, s5, v[69:70]
	v_mad_i64_i32 v[135:136], null, s36, s5, v[69:70]
	s_clause 0x3
	global_load_b128 v[41:44], v[33:34], off
	global_load_b128 v[45:48], v[33:34], off offset:16
	global_load_b128 v[33:36], v[37:38], off
	global_load_b128 v[37:40], v[37:38], off offset:16
	s_waitcnt vmcnt(18)
	v_wmma_f32_16x16x16_bf16 v[125:132], v[1:8], v[25:32], v[101:108]
	s_waitcnt vmcnt(16)
	v_wmma_f32_16x16x16_bf16 v[101:108], v[9:16], v[25:32], v[101:108]
	v_mad_i64_i32 v[13:14], null, s28, s5, v[69:70]
	s_waitcnt vmcnt(14)
	v_wmma_f32_16x16x16_bf16 v[125:132], v[17:24], v[109:116], v[125:132]
	s_clause 0x1
	global_load_b128 v[25:28], v[71:72], off
	global_load_b128 v[29:32], v[71:72], off offset:16
	s_waitcnt vmcnt(14)
	v_wmma_f32_16x16x16_bf16 v[101:108], v[49:56], v[109:116], v[101:108]
	v_mad_i64_i32 v[49:50], null, s3, s5, v[69:70]
	v_mad_i64_i32 v[53:54], null, s4, s5, v[69:70]
	s_clause 0x5
	global_load_b128 v[17:20], v[133:134], off
	global_load_b128 v[21:24], v[133:134], off offset:16
	global_load_b128 v[1:4], v[135:136], off
	global_load_b128 v[5:8], v[135:136], off offset:16
	;; [unrolled: 2-line block ×3, first 2 shown]
	s_waitcnt vmcnt(18)
	v_wmma_f32_16x16x16_bf16 v[125:132], v[57:64], v[117:124], v[125:132]
	s_clause 0x3
	global_load_b128 v[57:60], v[49:50], off
	global_load_b128 v[61:64], v[49:50], off offset:16
	global_load_b128 v[49:52], v[53:54], off
	global_load_b128 v[53:56], v[53:54], off offset:16
	s_waitcnt vmcnt(20)
	v_wmma_f32_16x16x16_bf16 v[101:108], v[77:84], v[117:124], v[101:108]
	ds_load_b128 v[77:80], v137 offset:6144
	ds_load_b128 v[81:84], v137 offset:7168
	v_mbcnt_lo_u32_b32 v70, -1, 0
	s_waitcnt vmcnt(0) lgkmcnt(0)
	s_barrier
	buffer_gl0_inv
	v_xor_b32_e32 v71, 16, v70
	s_delay_alu instid0(VALU_DEP_1) | instskip(SKIP_4) | instid1(VALU_DEP_2)
	v_cmp_gt_i32_e32 vcc_lo, 32, v71
	v_cndmask_b32_e32 v70, v70, v71, vcc_lo
	v_wmma_f32_16x16x16_bf16 v[125:132], v[85:92], v[77:84], v[125:132]
	v_and_b32_e32 v69, 0xe0, v0
	v_wmma_f32_16x16x16_bf16 v[101:108], v[93:100], v[77:84], v[101:108]
	v_dual_mul_f32 v94, s19, v131 :: v_dual_add_nc_u32 v69, s16, v69
	s_delay_alu instid0(VALU_DEP_2) | instskip(SKIP_1) | instid1(VALU_DEP_4)
	v_mul_f32_e32 v98, s19, v103
	v_dual_mul_f32 v80, s19, v126 :: v_dual_mul_f32 v81, s19, v128
	v_mul_f32_e32 v96, s19, v101
	s_delay_alu instid0(VALU_DEP_4) | instskip(SKIP_3) | instid1(VALU_DEP_4)
	v_or_b32_e32 v69, v69, v65
	v_dual_mul_f32 v82, s19, v127 :: v_dual_mul_f32 v83, s19, v130
	v_mul_f32_e32 v100, s19, v105
	v_mul_f32_e32 v84, s19, v129
	v_or_b32_e32 v71, 2, v69
	v_or_b32_e32 v72, 4, v69
	;; [unrolled: 1-line block ×3, first 2 shown]
	v_cmp_gt_i32_e64 s3, s18, v69
	v_or_b32_e32 v110, 8, v69
	v_cmp_gt_i32_e32 vcc_lo, s18, v71
	v_mul_f32_e32 v71, s19, v125
	v_or_b32_e32 v85, 10, v69
	v_or_b32_e32 v91, 22, v69
	v_cmp_gt_i32_e64 s4, s18, v72
	v_mul_f32_e32 v72, s19, v107
	v_cndmask_b32_e64 v71, 0xff7fffff, v71, s3
	v_cndmask_b32_e32 v80, 0xff7fffff, v80, vcc_lo
	v_cmp_gt_i32_e64 s5, s18, v109
	v_or_b32_e32 v86, 12, v69
	v_or_b32_e32 v87, 14, v69
	v_cndmask_b32_e64 v82, 0xff7fffff, v82, s4
	v_cmp_gt_i32_e64 s6, s18, v110
	v_cndmask_b32_e64 v81, 0xff7fffff, v81, s5
	v_cmp_gt_i32_e64 s7, s18, v85
	v_cmp_gt_i32_e64 s13, s18, v91
	v_lshlrev_b32_e32 v91, 2, v70
	v_max3_f32 v71, v71, 0xff7fffff, v80
	v_or_b32_e32 v88, 16, v69
	v_or_b32_e32 v89, 18, v69
	v_mul_f32_e32 v93, s19, v132
	v_cndmask_b32_e64 v80, 0xff7fffff, v84, s6
	v_cndmask_b32_e64 v83, 0xff7fffff, v83, s7
	v_max3_f32 v71, v71, v82, v81
	v_cmp_gt_i32_e64 s8, s18, v86
	v_cmp_gt_i32_e64 s9, s18, v87
	v_or_b32_e32 v90, 20, v69
	v_mul_f32_e32 v95, s19, v102
	v_max3_f32 v71, v71, v80, v83
	v_cndmask_b32_e64 v81, 0xff7fffff, v94, s8
	v_cndmask_b32_e64 v82, 0xff7fffff, v93, s9
	v_cmp_gt_i32_e64 s10, s18, v88
	v_cmp_gt_i32_e64 s11, s18, v89
	v_or_b32_e32 v92, 24, v69
	v_or_b32_e32 v77, 26, v69
	v_mul_f32_e32 v97, s19, v104
	v_cndmask_b32_e64 v80, 0xff7fffff, v96, s10
	v_cndmask_b32_e64 v83, 0xff7fffff, v95, s11
	v_max3_f32 v71, v71, v81, v82
	v_cmp_gt_i32_e64 s12, s18, v90
	v_or_b32_e32 v78, 28, v69
	v_or_b32_e32 v79, 30, v69
	v_mul_f32_e32 v99, s19, v106
	v_cndmask_b32_e64 v82, 0xff7fffff, v97, s13
	v_cndmask_b32_e64 v81, 0xff7fffff, v98, s12
	v_max3_f32 v71, v71, v80, v83
	v_cmp_gt_i32_e64 s15, s18, v92
	v_cmp_gt_i32_e64 s16, s18, v77
	v_mul_f32_e32 v69, s19, v108
	v_cmp_gt_i32_e64 s17, s18, v78
	v_max3_f32 v71, v71, v81, v82
	v_cndmask_b32_e64 v80, 0xff7fffff, v100, s15
	v_cndmask_b32_e64 v77, 0xff7fffff, v99, s16
	v_cmp_gt_i32_e64 s18, s18, v79
	v_cndmask_b32_e64 v72, 0xff7fffff, v72, s17
	s_delay_alu instid0(VALU_DEP_3) | instskip(NEXT) | instid1(VALU_DEP_3)
	v_max3_f32 v71, v71, v80, v77
	v_cndmask_b32_e64 v69, 0xff7fffff, v69, s18
	s_delay_alu instid0(VALU_DEP_1) | instskip(SKIP_3) | instid1(VALU_DEP_1)
	v_max3_f32 v69, v71, v72, v69
	ds_bpermute_b32 v70, v91, v69
	s_waitcnt lgkmcnt(0)
	v_max_f32_e32 v70, v70, v70
	v_max_f32_e32 v69, v69, v70
	s_delay_alu instid0(VALU_DEP_1) | instskip(NEXT) | instid1(VALU_DEP_1)
	v_fma_f32 v72, s19, v127, -v69
	v_mul_f32_e32 v72, 0x3fb8aa3b, v72
	s_delay_alu instid0(VALU_DEP_1) | instskip(SKIP_3) | instid1(VALU_DEP_1)
	v_exp_f32_e32 v72, v72
	s_waitcnt_depctr 0xfff
	v_cndmask_b32_e64 v85, 0, v72, s4
	v_fma_f32 v72, s19, v132, -v69
	v_mul_f32_e32 v72, 0x3fb8aa3b, v72
	v_fma_f32 v70, s19, v125, -v69
	v_fma_f32 v78, s19, v129, -v69
	;; [unrolled: 1-line block ×5, first 2 shown]
	v_mul_f32_e32 v70, 0x3fb8aa3b, v70
	v_mul_f32_e32 v78, 0x3fb8aa3b, v78
	v_exp_f32_e32 v72, v72
	v_mul_f32_e32 v80, 0x3fb8aa3b, v80
	v_fma_f32 v83, s19, v106, -v69
	v_exp_f32_e32 v70, v70
	v_exp_f32_e32 v78, v78
	s_delay_alu instid0(VALU_DEP_2) | instskip(SKIP_2) | instid1(TRANS32_DEP_3)
	v_exp_f32_e32 v80, v80
	v_cndmask_b32_e64 v90, 0, v72, s9
	v_fma_f32 v72, s19, v105, -v69
	v_cndmask_b32_e64 v81, 0, v70, s3
	v_fma_f32 v70, s19, v130, -v69
	v_mul_f32_e32 v71, 0x3fb8aa3b, v71
	s_delay_alu instid0(TRANS32_DEP_2) | instskip(SKIP_1) | instid1(VALU_DEP_4)
	v_cndmask_b32_e64 v88, 0, v78, s6
	v_fma_f32 v78, s19, v102, -v69
	v_dual_mul_f32 v77, 0x3fb8aa3b, v77 :: v_dual_mul_f32 v70, 0x3fb8aa3b, v70
	s_delay_alu instid0(VALU_DEP_4) | instskip(SKIP_1) | instid1(VALU_DEP_3)
	v_exp_f32_e32 v71, v71
	v_cndmask_b32_e64 v86, 0, v80, s8
	v_mul_f32_e32 v78, 0x3fb8aa3b, v78
	s_delay_alu instid0(VALU_DEP_3)
	v_exp_f32_e32 v79, v77
	v_exp_f32_e32 v70, v70
	v_fma_f32 v80, s19, v104, -v69
	v_mul_f32_e32 v72, 0x3fb8aa3b, v72
	v_exp_f32_e32 v78, v78
	s_mov_b32 s3, exec_lo
	s_delay_alu instid0(VALU_DEP_2) | instskip(NEXT) | instid1(VALU_DEP_2)
	v_mul_f32_e32 v80, 0x3fb8aa3b, v80
	v_exp_f32_e32 v84, v72
	v_cndmask_b32_e64 v87, 0, v79, s5
	s_delay_alu instid0(TRANS32_DEP_3) | instskip(SKIP_4) | instid1(VALU_DEP_2)
	v_cndmask_b32_e64 v89, 0, v70, s7
	v_cndmask_b32_e32 v77, 0, v71, vcc_lo
	v_add_f32_e32 v71, 0, v81
	v_fma_f32 v79, s19, v101, -v69
	v_exp_f32_e32 v80, v80
	v_add_f32_e32 v71, v71, v77
	s_delay_alu instid0(VALU_DEP_1) | instskip(NEXT) | instid1(VALU_DEP_1)
	v_add_f32_e32 v71, v71, v85
	v_add_f32_e32 v71, v71, v87
	s_delay_alu instid0(VALU_DEP_1) | instskip(SKIP_1) | instid1(VALU_DEP_1)
	v_add_f32_e32 v70, v71, v88
	v_fma_f32 v71, s19, v103, -v69
	v_dual_add_f32 v70, v70, v89 :: v_dual_mul_f32 v71, 0x3fb8aa3b, v71
	s_delay_alu instid0(VALU_DEP_1) | instskip(NEXT) | instid1(VALU_DEP_2)
	v_add_f32_e32 v70, v70, v86
	v_exp_f32_e32 v82, v71
	s_waitcnt_depctr 0xfff
	v_cndmask_b32_e64 v72, 0, v82, s12
	v_mul_f32_e32 v79, 0x3fb8aa3b, v79
	s_delay_alu instid0(VALU_DEP_1) | instskip(SKIP_4) | instid1(VALU_DEP_2)
	v_exp_f32_e32 v79, v79
	s_waitcnt_depctr 0xfff
	v_cndmask_b32_e64 v71, 0, v79, s10
	v_add_f32_e32 v79, v70, v90
	v_cndmask_b32_e64 v70, 0, v78, s11
	v_add_f32_e32 v78, v79, v71
	v_fma_f32 v79, s19, v107, -v69
	s_delay_alu instid0(VALU_DEP_2) | instskip(SKIP_1) | instid1(VALU_DEP_2)
	v_add_f32_e32 v82, v78, v70
	v_cndmask_b32_e64 v78, 0, v80, s13
	v_dual_mul_f32 v79, 0x3fb8aa3b, v79 :: v_dual_add_f32 v80, v82, v72
	v_fma_f32 v82, s19, v108, -v69
	v_mul_f32_e32 v83, 0x3fb8aa3b, v83
	s_delay_alu instid0(VALU_DEP_3)
	v_exp_f32_e32 v92, v79
	v_cndmask_b32_e64 v79, 0, v84, s15
	v_add_f32_e32 v84, v80, v78
	v_mul_f32_e32 v82, 0x3fb8aa3b, v82
	v_exp_f32_e32 v83, v83
	s_waitcnt_depctr 0xfff
	v_cndmask_b32_e64 v80, 0, v83, s16
	v_add_f32_e32 v83, v84, v79
	v_exp_f32_e32 v84, v82
	v_cndmask_b32_e64 v82, 0, v92, s17
	s_delay_alu instid0(VALU_DEP_2) | instskip(NEXT) | instid1(VALU_DEP_1)
	v_add_f32_e32 v83, v83, v80
	v_add_f32_e32 v92, v83, v82
	s_waitcnt_depctr 0xfff
	v_cndmask_b32_e64 v83, 0, v84, s18
	s_delay_alu instid0(VALU_DEP_1)
	v_add_f32_e32 v84, v92, v83
	ds_bpermute_b32 v91, v91, v84
	v_cmpx_gt_u32_e32 16, v67
	s_cbranch_execz .LBB1871_12
; %bb.11:
	v_mul_u32_u24_e32 v67, 0x44, v68
	s_waitcnt lgkmcnt(0)
	v_add_f32_e32 v84, v84, v91
	s_delay_alu instid0(VALU_DEP_2) | instskip(NEXT) | instid1(VALU_DEP_1)
	v_lshl_add_u32 v67, v66, 2, v67
	v_add_nc_u32_e32 v67, 0x4000, v67
	ds_store_2addr_b32 v67, v69, v84 offset1:136
.LBB1871_12:
	s_or_b32 exec_lo, exec_lo, s3
	v_lshlrev_b32_e32 v67, 2, v66
	s_waitcnt lgkmcnt(0)
	s_barrier
	buffer_gl0_inv
	v_cmp_eq_u32_e32 vcc_lo, 1, v68
	v_add_nc_u32_e32 v84, 0x4000, v67
	v_cmp_eq_u32_e64 s3, 2, v68
	v_cmp_eq_u32_e64 s5, 7, v68
	ds_load_2addr_b32 v[91:92], v84 offset1:17
	ds_load_2addr_b32 v[93:94], v84 offset0:34 offset1:51
	ds_load_2addr_b32 v[95:96], v84 offset0:68 offset1:85
	;; [unrolled: 1-line block ×4, first 2 shown]
	s_waitcnt lgkmcnt(4)
	v_max3_f32 v67, v91, 0xff7fffff, v92
	s_waitcnt lgkmcnt(3)
	s_delay_alu instid0(VALU_DEP_1) | instskip(SKIP_1) | instid1(VALU_DEP_1)
	v_max3_f32 v67, v67, v93, v94
	s_waitcnt lgkmcnt(2)
	v_max3_f32 v67, v67, v95, v96
	s_waitcnt lgkmcnt(1)
	s_delay_alu instid0(VALU_DEP_1) | instskip(NEXT) | instid1(VALU_DEP_1)
	v_max3_f32 v67, v67, v97, v98
	v_sub_f32_e32 v69, v91, v67
	v_sub_f32_e32 v101, v92, v67
	v_sub_f32_e32 v93, v93, v67
	v_sub_f32_e32 v95, v95, v67
	s_delay_alu instid0(VALU_DEP_4) | instskip(NEXT) | instid1(VALU_DEP_4)
	v_mul_f32_e32 v69, 0x3fb8aa3b, v69
	v_mul_f32_e32 v101, 0x3fb8aa3b, v101
	s_delay_alu instid0(VALU_DEP_4) | instskip(NEXT) | instid1(VALU_DEP_4)
	v_mul_f32_e32 v103, 0x3fb8aa3b, v93
	v_mul_f32_e32 v105, 0x3fb8aa3b, v95
	s_delay_alu instid0(VALU_DEP_4) | instskip(SKIP_3) | instid1(VALU_DEP_1)
	v_exp_f32_e32 v102, v69
	v_sub_f32_e32 v69, v94, v67
	v_exp_f32_e32 v101, v101
	v_exp_f32_e32 v103, v103
	v_mul_f32_e32 v104, 0x3fb8aa3b, v69
	s_waitcnt lgkmcnt(0)
	s_delay_alu instid0(TRANS32_DEP_3) | instskip(SKIP_1) | instid1(VALU_DEP_3)
	v_fma_f32 v69, v102, v99, 0
	v_sub_f32_e32 v99, v96, v67
	v_exp_f32_e32 v104, v104
	s_delay_alu instid0(TRANS32_DEP_3) | instid1(VALU_DEP_2)
	v_fmac_f32_e32 v69, v101, v100
	ds_load_2addr_b32 v[91:92], v84 offset0:170 offset1:187
	ds_load_2addr_b32 v[93:94], v84 offset0:204 offset1:221
	;; [unrolled: 1-line block ×3, first 2 shown]
	v_sub_f32_e32 v84, v97, v67
	v_mul_f32_e32 v97, 0x3fb8aa3b, v99
	v_exp_f32_e32 v99, v105
	s_waitcnt lgkmcnt(0)
	s_barrier
	v_mul_f32_e32 v84, 0x3fb8aa3b, v84
	v_exp_f32_e32 v97, v97
	buffer_gl0_inv
	v_exp_f32_e32 v84, v84
	v_fmac_f32_e32 v69, v103, v91
	v_sub_f32_e32 v91, v98, v67
	s_delay_alu instid0(VALU_DEP_2) | instskip(NEXT) | instid1(VALU_DEP_2)
	v_fmac_f32_e32 v69, v104, v92
	v_mul_f32_e32 v91, 0x3fb8aa3b, v91
	s_delay_alu instid0(VALU_DEP_2) | instskip(NEXT) | instid1(VALU_DEP_2)
	v_fmac_f32_e32 v69, v99, v93
	v_exp_f32_e32 v91, v91
	s_delay_alu instid0(VALU_DEP_1)
	v_fmac_f32_e32 v69, v97, v94
	s_delay_alu instid0(TRANS32_DEP_2) | instid1(VALU_DEP_1)
	v_fmac_f32_e32 v69, v84, v95
	s_waitcnt_depctr 0xfff
	v_fmac_f32_e32 v69, v91, v96
	s_delay_alu instid0(VALU_DEP_1) | instskip(NEXT) | instid1(VALU_DEP_1)
	v_add_f32_e32 v92, 0x358637bd, v69
	v_div_scale_f32 v93, null, v92, v92, 1.0
	v_div_scale_f32 v96, s4, 1.0, v92, 1.0
	s_delay_alu instid0(VALU_DEP_2) | instskip(SKIP_2) | instid1(VALU_DEP_1)
	v_rcp_f32_e32 v94, v93
	s_waitcnt_depctr 0xfff
	v_fma_f32 v95, -v93, v94, 1.0
	v_dual_fmac_f32 v94, v95, v94 :: v_dual_cndmask_b32 v95, v102, v101
	v_cmp_eq_u32_e32 vcc_lo, 3, v68
	s_delay_alu instid0(VALU_DEP_2) | instskip(NEXT) | instid1(VALU_DEP_3)
	v_mul_f32_e32 v98, v96, v94
	v_cndmask_b32_e64 v95, v95, v103, s3
	v_cmp_eq_u32_e64 s3, 4, v68
	s_delay_alu instid0(VALU_DEP_3) | instskip(NEXT) | instid1(VALU_DEP_3)
	v_fma_f32 v100, -v93, v98, v96
	v_cndmask_b32_e32 v95, v95, v104, vcc_lo
	v_cmp_eq_u32_e32 vcc_lo, 5, v68
	s_delay_alu instid0(VALU_DEP_3) | instskip(NEXT) | instid1(VALU_DEP_3)
	v_fmac_f32_e32 v98, v100, v94
	v_cndmask_b32_e64 v95, v95, v99, s3
	v_cmp_eq_u32_e64 s3, 6, v68
	s_delay_alu instid0(VALU_DEP_3) | instskip(NEXT) | instid1(VALU_DEP_3)
	v_fma_f32 v93, -v93, v98, v96
	v_cndmask_b32_e32 v95, v95, v97, vcc_lo
	s_mov_b32 vcc_lo, s4
	s_delay_alu instid0(VALU_DEP_2) | instskip(NEXT) | instid1(VALU_DEP_2)
	v_div_fmas_f32 v93, v93, v94, v98
	v_cndmask_b32_e64 v84, v95, v84, s3
	s_mov_b32 s3, exec_lo
	s_delay_alu instid0(VALU_DEP_2) | instskip(NEXT) | instid1(VALU_DEP_2)
	v_div_fixup_f32 v92, v93, v92, 1.0
	v_cndmask_b32_e64 v84, v84, v91, s5
	s_delay_alu instid0(VALU_DEP_1) | instskip(NEXT) | instid1(VALU_DEP_1)
	v_mul_f32_e32 v84, v84, v92
	v_mul_f32_e32 v92, v84, v81
	;; [unrolled: 1-line block ×6, first 2 shown]
	v_dual_mul_f32 v88, v84, v85 :: v_dual_and_b32 v93, 0x7f800000, v92
	v_mul_f32_e32 v91, v84, v87
	v_mul_f32_e32 v87, v84, v77
                                        ; implicit-def: $vgpr77
	s_delay_alu instid0(VALU_DEP_3)
	v_cmpx_ne_u32_e32 0x7f800000, v93
	s_xor_b32 s3, exec_lo, s3
; %bb.13:
	v_bfe_u32 v77, v92, 16, 1
	s_delay_alu instid0(VALU_DEP_1)
	v_add3_u32 v77, v92, v77, 0x7fff
                                        ; implicit-def: $vgpr92
; %bb.14:
	s_and_not1_saveexec_b32 s3, s3
; %bb.15:
	v_and_b32_e32 v77, 0xffff, v92
	v_or_b32_e32 v85, 0x10000, v92
	s_delay_alu instid0(VALU_DEP_2) | instskip(NEXT) | instid1(VALU_DEP_2)
	v_cmp_eq_u32_e32 vcc_lo, 0, v77
	v_cndmask_b32_e32 v77, v85, v92, vcc_lo
; %bb.16:
	s_or_b32 exec_lo, exec_lo, s3
	v_and_b32_e32 v85, 0x7f800000, v87
	s_delay_alu instid0(VALU_DEP_1) | instskip(SKIP_1) | instid1(SALU_CYCLE_1)
	v_cmp_ne_u32_e32 vcc_lo, 0x7f800000, v85
                                        ; implicit-def: $vgpr85
	s_and_saveexec_b32 s3, vcc_lo
	s_xor_b32 s3, exec_lo, s3
; %bb.17:
	v_bfe_u32 v85, v87, 16, 1
	s_delay_alu instid0(VALU_DEP_1)
	v_add3_u32 v85, v87, v85, 0x7fff
                                        ; implicit-def: $vgpr87
; %bb.18:
	s_and_not1_saveexec_b32 s3, s3
; %bb.19:
	v_and_b32_e32 v85, 0xffff, v87
	v_or_b32_e32 v92, 0x10000, v87
	s_delay_alu instid0(VALU_DEP_2) | instskip(NEXT) | instid1(VALU_DEP_2)
	v_cmp_eq_u32_e32 vcc_lo, 0, v85
	v_cndmask_b32_e32 v85, v92, v87, vcc_lo
; %bb.20:
	s_or_b32 exec_lo, exec_lo, s3
	v_and_b32_e32 v87, 0x7f800000, v88
	s_delay_alu instid0(VALU_DEP_1) | instskip(SKIP_1) | instid1(SALU_CYCLE_1)
	v_cmp_ne_u32_e32 vcc_lo, 0x7f800000, v87
                                        ; implicit-def: $vgpr87
	s_and_saveexec_b32 s3, vcc_lo
	s_xor_b32 s3, exec_lo, s3
; %bb.21:
	v_bfe_u32 v87, v88, 16, 1
	s_delay_alu instid0(VALU_DEP_1)
	v_add3_u32 v87, v88, v87, 0x7fff
                                        ; implicit-def: $vgpr88
; %bb.22:
	s_and_not1_saveexec_b32 s3, s3
; %bb.23:
	v_and_b32_e32 v87, 0xffff, v88
	v_or_b32_e32 v92, 0x10000, v88
	s_delay_alu instid0(VALU_DEP_2) | instskip(NEXT) | instid1(VALU_DEP_2)
	v_cmp_eq_u32_e32 vcc_lo, 0, v87
	v_cndmask_b32_e32 v87, v92, v88, vcc_lo
; %bb.24:
	s_or_b32 exec_lo, exec_lo, s3
	v_and_b32_e32 v88, 0x7f800000, v91
	s_delay_alu instid0(VALU_DEP_1) | instskip(SKIP_1) | instid1(SALU_CYCLE_1)
	v_cmp_ne_u32_e32 vcc_lo, 0x7f800000, v88
                                        ; implicit-def: $vgpr88
	s_and_saveexec_b32 s3, vcc_lo
	s_xor_b32 s3, exec_lo, s3
; %bb.25:
	v_bfe_u32 v88, v91, 16, 1
	s_delay_alu instid0(VALU_DEP_1)
	v_add3_u32 v88, v91, v88, 0x7fff
                                        ; implicit-def: $vgpr91
; %bb.26:
	s_and_not1_saveexec_b32 s3, s3
; %bb.27:
	v_and_b32_e32 v88, 0xffff, v91
	v_or_b32_e32 v92, 0x10000, v91
	s_delay_alu instid0(VALU_DEP_2) | instskip(NEXT) | instid1(VALU_DEP_2)
	v_cmp_eq_u32_e32 vcc_lo, 0, v88
	v_cndmask_b32_e32 v88, v92, v91, vcc_lo
; %bb.28:
	s_or_b32 exec_lo, exec_lo, s3
	v_and_b32_e32 v91, 0x7f800000, v90
	s_delay_alu instid0(VALU_DEP_1) | instskip(SKIP_1) | instid1(SALU_CYCLE_1)
	v_cmp_ne_u32_e32 vcc_lo, 0x7f800000, v91
                                        ; implicit-def: $vgpr91
	s_and_saveexec_b32 s3, vcc_lo
	s_xor_b32 s3, exec_lo, s3
; %bb.29:
	v_bfe_u32 v91, v90, 16, 1
	s_delay_alu instid0(VALU_DEP_1)
	v_add3_u32 v91, v90, v91, 0x7fff
                                        ; implicit-def: $vgpr90
; %bb.30:
	s_and_not1_saveexec_b32 s3, s3
; %bb.31:
	v_and_b32_e32 v91, 0xffff, v90
	v_or_b32_e32 v92, 0x10000, v90
	s_delay_alu instid0(VALU_DEP_2) | instskip(NEXT) | instid1(VALU_DEP_2)
	v_cmp_eq_u32_e32 vcc_lo, 0, v91
	v_cndmask_b32_e32 v91, v92, v90, vcc_lo
; %bb.32:
	s_or_b32 exec_lo, exec_lo, s3
	v_and_b32_e32 v90, 0x7f800000, v89
	s_delay_alu instid0(VALU_DEP_1) | instskip(SKIP_1) | instid1(SALU_CYCLE_1)
	v_cmp_ne_u32_e32 vcc_lo, 0x7f800000, v90
                                        ; implicit-def: $vgpr90
	s_and_saveexec_b32 s3, vcc_lo
	s_xor_b32 s3, exec_lo, s3
; %bb.33:
	v_bfe_u32 v90, v89, 16, 1
	s_delay_alu instid0(VALU_DEP_1)
	v_add3_u32 v90, v89, v90, 0x7fff
                                        ; implicit-def: $vgpr89
; %bb.34:
	s_and_not1_saveexec_b32 s3, s3
; %bb.35:
	v_and_b32_e32 v90, 0xffff, v89
	v_or_b32_e32 v92, 0x10000, v89
	s_delay_alu instid0(VALU_DEP_2) | instskip(NEXT) | instid1(VALU_DEP_2)
	v_cmp_eq_u32_e32 vcc_lo, 0, v90
	v_cndmask_b32_e32 v90, v92, v89, vcc_lo
; %bb.36:
	s_or_b32 exec_lo, exec_lo, s3
	v_and_b32_e32 v89, 0x7f800000, v86
	s_delay_alu instid0(VALU_DEP_1) | instskip(SKIP_1) | instid1(SALU_CYCLE_1)
	v_cmp_ne_u32_e32 vcc_lo, 0x7f800000, v89
                                        ; implicit-def: $vgpr89
	s_and_saveexec_b32 s3, vcc_lo
	s_xor_b32 s3, exec_lo, s3
; %bb.37:
	v_bfe_u32 v89, v86, 16, 1
	s_delay_alu instid0(VALU_DEP_1)
	v_add3_u32 v89, v86, v89, 0x7fff
                                        ; implicit-def: $vgpr86
; %bb.38:
	s_and_not1_saveexec_b32 s3, s3
; %bb.39:
	v_and_b32_e32 v89, 0xffff, v86
	v_or_b32_e32 v92, 0x10000, v86
	s_delay_alu instid0(VALU_DEP_2) | instskip(NEXT) | instid1(VALU_DEP_2)
	v_cmp_eq_u32_e32 vcc_lo, 0, v89
	v_cndmask_b32_e32 v89, v92, v86, vcc_lo
; %bb.40:
	s_or_b32 exec_lo, exec_lo, s3
	v_and_b32_e32 v86, 0x7f800000, v81
	s_delay_alu instid0(VALU_DEP_1) | instskip(SKIP_1) | instid1(SALU_CYCLE_1)
	v_cmp_ne_u32_e32 vcc_lo, 0x7f800000, v86
                                        ; implicit-def: $vgpr86
	s_and_saveexec_b32 s3, vcc_lo
	s_xor_b32 s3, exec_lo, s3
; %bb.41:
	v_bfe_u32 v86, v81, 16, 1
	s_delay_alu instid0(VALU_DEP_1)
	v_add3_u32 v86, v81, v86, 0x7fff
                                        ; implicit-def: $vgpr81
; %bb.42:
	s_and_not1_saveexec_b32 s3, s3
; %bb.43:
	v_and_b32_e32 v86, 0xffff, v81
	v_or_b32_e32 v92, 0x10000, v81
	s_delay_alu instid0(VALU_DEP_2) | instskip(NEXT) | instid1(VALU_DEP_2)
	v_cmp_eq_u32_e32 vcc_lo, 0, v86
	v_cndmask_b32_e32 v86, v92, v81, vcc_lo
; %bb.44:
	s_or_b32 exec_lo, exec_lo, s3
	s_load_b64 s[34:35], s[0:1], 0x94
	v_lshlrev_b32_e32 v93, 4, v65
	s_delay_alu instid0(VALU_DEP_2)
	v_perm_b32 v92, v86, v89, 0x7060302
	v_dual_mul_f32 v80, v84, v80 :: v_dual_lshlrev_b32 v81, 6, v66
	v_lshlrev_b32_e32 v66, 11, v68
	v_perm_b32 v89, v85, v77, 0x7060302
	v_mul_f32_e32 v85, v84, v71
	v_perm_b32 v91, v90, v91, 0x7060302
	v_perm_b32 v90, v88, v87, 0x7060302
	v_or3_b32 v77, v93, v66, v81
	v_mul_f32_e32 v66, v84, v83
	v_dual_mul_f32 v71, v84, v82 :: v_dual_and_b32 v86, 0x7f800000, v85
	v_mul_f32_e32 v79, v84, v79
	v_mul_f32_e32 v83, v84, v78
	v_mul_f32_e32 v82, v84, v72
	v_mul_f32_e32 v78, v84, v70
	s_mov_b32 s3, exec_lo
	ds_store_b128 v77, v[89:92]
                                        ; implicit-def: $vgpr70
	v_cmpx_ne_u32_e32 0x7f800000, v86
	s_xor_b32 s3, exec_lo, s3
; %bb.45:
	v_bfe_u32 v70, v85, 16, 1
	s_delay_alu instid0(VALU_DEP_1)
	v_add3_u32 v70, v85, v70, 0x7fff
                                        ; implicit-def: $vgpr85
; %bb.46:
	s_and_not1_saveexec_b32 s3, s3
; %bb.47:
	v_and_b32_e32 v70, 0xffff, v85
	v_or_b32_e32 v72, 0x10000, v85
	s_delay_alu instid0(VALU_DEP_2) | instskip(NEXT) | instid1(VALU_DEP_2)
	v_cmp_eq_u32_e32 vcc_lo, 0, v70
	v_cndmask_b32_e32 v70, v72, v85, vcc_lo
; %bb.48:
	s_or_b32 exec_lo, exec_lo, s3
	v_and_b32_e32 v72, 0x7f800000, v78
	s_delay_alu instid0(VALU_DEP_1) | instskip(SKIP_1) | instid1(SALU_CYCLE_1)
	v_cmp_ne_u32_e32 vcc_lo, 0x7f800000, v72
                                        ; implicit-def: $vgpr72
	s_and_saveexec_b32 s3, vcc_lo
	s_xor_b32 s3, exec_lo, s3
; %bb.49:
	v_bfe_u32 v72, v78, 16, 1
	s_delay_alu instid0(VALU_DEP_1)
	v_add3_u32 v72, v78, v72, 0x7fff
                                        ; implicit-def: $vgpr78
; %bb.50:
	s_and_not1_saveexec_b32 s3, s3
; %bb.51:
	v_and_b32_e32 v72, 0xffff, v78
	v_or_b32_e32 v84, 0x10000, v78
	s_delay_alu instid0(VALU_DEP_2) | instskip(NEXT) | instid1(VALU_DEP_2)
	v_cmp_eq_u32_e32 vcc_lo, 0, v72
	v_cndmask_b32_e32 v72, v84, v78, vcc_lo
; %bb.52:
	s_or_b32 exec_lo, exec_lo, s3
	v_and_b32_e32 v78, 0x7f800000, v82
	s_delay_alu instid0(VALU_DEP_1) | instskip(SKIP_1) | instid1(SALU_CYCLE_1)
	v_cmp_ne_u32_e32 vcc_lo, 0x7f800000, v78
                                        ; implicit-def: $vgpr78
	s_and_saveexec_b32 s3, vcc_lo
	s_xor_b32 s3, exec_lo, s3
; %bb.53:
	v_bfe_u32 v78, v82, 16, 1
	s_delay_alu instid0(VALU_DEP_1)
	v_add3_u32 v78, v82, v78, 0x7fff
                                        ; implicit-def: $vgpr82
; %bb.54:
	s_and_not1_saveexec_b32 s3, s3
; %bb.55:
	v_and_b32_e32 v78, 0xffff, v82
	v_or_b32_e32 v84, 0x10000, v82
	s_delay_alu instid0(VALU_DEP_2) | instskip(NEXT) | instid1(VALU_DEP_2)
	v_cmp_eq_u32_e32 vcc_lo, 0, v78
	v_cndmask_b32_e32 v78, v84, v82, vcc_lo
; %bb.56:
	s_or_b32 exec_lo, exec_lo, s3
	v_and_b32_e32 v82, 0x7f800000, v83
	s_delay_alu instid0(VALU_DEP_1) | instskip(SKIP_1) | instid1(SALU_CYCLE_1)
	v_cmp_ne_u32_e32 vcc_lo, 0x7f800000, v82
                                        ; implicit-def: $vgpr82
	s_and_saveexec_b32 s3, vcc_lo
	s_xor_b32 s3, exec_lo, s3
; %bb.57:
	v_bfe_u32 v82, v83, 16, 1
	s_delay_alu instid0(VALU_DEP_1)
	v_add3_u32 v82, v83, v82, 0x7fff
                                        ; implicit-def: $vgpr83
; %bb.58:
	s_and_not1_saveexec_b32 s3, s3
; %bb.59:
	v_and_b32_e32 v82, 0xffff, v83
	v_or_b32_e32 v84, 0x10000, v83
	s_delay_alu instid0(VALU_DEP_2) | instskip(NEXT) | instid1(VALU_DEP_2)
	v_cmp_eq_u32_e32 vcc_lo, 0, v82
	v_cndmask_b32_e32 v82, v84, v83, vcc_lo
; %bb.60:
	s_or_b32 exec_lo, exec_lo, s3
	v_and_b32_e32 v83, 0x7f800000, v79
	s_delay_alu instid0(VALU_DEP_1) | instskip(SKIP_1) | instid1(SALU_CYCLE_1)
	v_cmp_ne_u32_e32 vcc_lo, 0x7f800000, v83
                                        ; implicit-def: $vgpr83
	s_and_saveexec_b32 s3, vcc_lo
	s_xor_b32 s3, exec_lo, s3
; %bb.61:
	v_bfe_u32 v83, v79, 16, 1
	s_delay_alu instid0(VALU_DEP_1)
	v_add3_u32 v83, v79, v83, 0x7fff
                                        ; implicit-def: $vgpr79
; %bb.62:
	s_and_not1_saveexec_b32 s3, s3
; %bb.63:
	v_and_b32_e32 v83, 0xffff, v79
	v_or_b32_e32 v84, 0x10000, v79
	s_delay_alu instid0(VALU_DEP_2) | instskip(NEXT) | instid1(VALU_DEP_2)
	v_cmp_eq_u32_e32 vcc_lo, 0, v83
	v_cndmask_b32_e32 v83, v84, v79, vcc_lo
; %bb.64:
	s_or_b32 exec_lo, exec_lo, s3
	v_and_b32_e32 v79, 0x7f800000, v80
	s_delay_alu instid0(VALU_DEP_1) | instskip(SKIP_1) | instid1(SALU_CYCLE_1)
	v_cmp_ne_u32_e32 vcc_lo, 0x7f800000, v79
                                        ; implicit-def: $vgpr79
	s_and_saveexec_b32 s3, vcc_lo
	s_xor_b32 s3, exec_lo, s3
; %bb.65:
	v_bfe_u32 v79, v80, 16, 1
	s_delay_alu instid0(VALU_DEP_1)
	v_add3_u32 v79, v80, v79, 0x7fff
                                        ; implicit-def: $vgpr80
; %bb.66:
	s_and_not1_saveexec_b32 s3, s3
; %bb.67:
	v_and_b32_e32 v79, 0xffff, v80
	v_or_b32_e32 v84, 0x10000, v80
	s_delay_alu instid0(VALU_DEP_2) | instskip(NEXT) | instid1(VALU_DEP_2)
	v_cmp_eq_u32_e32 vcc_lo, 0, v79
	v_cndmask_b32_e32 v79, v84, v80, vcc_lo
; %bb.68:
	s_or_b32 exec_lo, exec_lo, s3
	v_and_b32_e32 v80, 0x7f800000, v71
	s_delay_alu instid0(VALU_DEP_1) | instskip(SKIP_1) | instid1(SALU_CYCLE_1)
	v_cmp_ne_u32_e32 vcc_lo, 0x7f800000, v80
                                        ; implicit-def: $vgpr80
	s_and_saveexec_b32 s3, vcc_lo
	s_xor_b32 s3, exec_lo, s3
; %bb.69:
	v_bfe_u32 v80, v71, 16, 1
	s_delay_alu instid0(VALU_DEP_1)
	v_add3_u32 v80, v71, v80, 0x7fff
                                        ; implicit-def: $vgpr71
; %bb.70:
	s_and_not1_saveexec_b32 s3, s3
; %bb.71:
	v_and_b32_e32 v80, 0xffff, v71
	v_or_b32_e32 v84, 0x10000, v71
	s_delay_alu instid0(VALU_DEP_2) | instskip(NEXT) | instid1(VALU_DEP_2)
	v_cmp_eq_u32_e32 vcc_lo, 0, v80
	v_cndmask_b32_e32 v80, v84, v71, vcc_lo
; %bb.72:
	s_or_b32 exec_lo, exec_lo, s3
	v_and_b32_e32 v71, 0x7f800000, v66
	s_delay_alu instid0(VALU_DEP_1) | instskip(SKIP_1) | instid1(SALU_CYCLE_1)
	v_cmp_ne_u32_e32 vcc_lo, 0x7f800000, v71
                                        ; implicit-def: $vgpr71
	s_and_saveexec_b32 s3, vcc_lo
	s_xor_b32 s3, exec_lo, s3
; %bb.73:
	v_bfe_u32 v71, v66, 16, 1
	s_delay_alu instid0(VALU_DEP_1)
	v_add3_u32 v71, v66, v71, 0x7fff
                                        ; implicit-def: $vgpr66
; %bb.74:
	s_and_not1_saveexec_b32 s3, s3
; %bb.75:
	v_and_b32_e32 v71, 0xffff, v66
	v_or_b32_e32 v84, 0x10000, v66
	s_delay_alu instid0(VALU_DEP_2) | instskip(NEXT) | instid1(VALU_DEP_2)
	v_cmp_eq_u32_e32 vcc_lo, 0, v71
	v_cndmask_b32_e32 v71, v84, v66, vcc_lo
; %bb.76:
	s_or_b32 exec_lo, exec_lo, s3
	s_delay_alu instid0(VALU_DEP_1)
	v_perm_b32 v87, v71, v80, 0x7060302
	v_perm_b32 v86, v79, v83, 0x7060302
	v_perm_b32 v85, v82, v78, 0x7060302
	v_perm_b32 v84, v72, v70, 0x7060302
	v_lshl_or_b32 v83, v68, 11, v81
	ds_store_b128 v77, v[84:87] offset:1024
	s_waitcnt lgkmcnt(0)
	s_barrier
	buffer_gl0_inv
	ds_load_b128 v[84:87], v83
	ds_load_b128 v[88:91], v83 offset:16
	s_waitcnt lgkmcnt(1)
	v_lshrrev_b32_e32 v70, 16, v87
	s_waitcnt lgkmcnt(0)
	v_lshrrev_b32_e32 v71, 16, v88
	v_lshlrev_b32_e32 v79, 2, v65
	v_lshrrev_b32_e32 v65, 16, v84
	v_lshrrev_b32_e32 v66, 16, v85
	;; [unrolled: 1-line block ×4, first 2 shown]
	v_cmp_eq_u32_e32 vcc_lo, 1, v79
	v_lshrrev_b32_e32 v100, 16, v90
	v_lshrrev_b32_e32 v101, 16, v91
	v_cndmask_b32_e32 v92, v88, v71, vcc_lo
	v_or_b32_e32 v80, 1, v79
	v_cndmask_b32_e32 v82, v84, v65, vcc_lo
	v_cmp_eq_u32_e64 s4, 2, v79
	v_cmp_eq_u32_e64 s7, 3, v79
	;; [unrolled: 1-line block ×5, first 2 shown]
	v_cndmask_b32_e64 v82, v82, v85, s4
	v_cndmask_b32_e64 v92, v92, v89, s4
	v_cmp_eq_u32_e64 s8, 3, v80
	v_cndmask_b32_e64 v93, v84, v65, s3
	v_or_b32_e32 v78, 2, v79
	v_cndmask_b32_e64 v82, v82, v66, s7
	v_cndmask_b32_e64 v92, v92, v72, s7
	;; [unrolled: 1-line block ×4, first 2 shown]
	v_cmp_eq_u32_e64 s10, 5, v79
	v_cndmask_b32_e64 v82, v82, v86, s9
	v_cndmask_b32_e64 v92, v92, v90, s9
	v_cmp_eq_u32_e64 s11, 4, v80
	v_cndmask_b32_e64 v93, v93, v66, s8
	v_cmp_eq_u32_e64 s5, 1, v78
	v_cndmask_b32_e64 v94, v94, v89, s6
	v_cndmask_b32_e64 v82, v82, v68, s10
	v_cmp_eq_u32_e64 s12, 6, v79
	v_cndmask_b32_e64 v93, v93, v86, s11
	;; [unrolled: 3-line block ×3, first 2 shown]
	v_cndmask_b32_e64 v94, v94, v72, s8
	v_cndmask_b32_e64 v82, v82, v87, s12
	v_cmp_eq_u32_e64 s15, 7, v79
	v_cndmask_b32_e64 v93, v93, v68, s13
	v_cndmask_b32_e64 v92, v92, v91, s12
	v_cmp_eq_u32_e64 s16, 6, v80
	v_cmp_eq_u32_e64 s17, 2, v78
	v_cndmask_b32_e64 v94, v94, v90, s11
	v_cndmask_b32_e64 v102, v82, v70, s15
	;; [unrolled: 1-line block ×6, first 2 shown]
	v_cmp_eq_u32_e64 s18, 7, v80
	v_cmp_eq_u32_e64 s19, 3, v78
	;; [unrolled: 1-line block ×4, first 2 shown]
	v_cndmask_b32_e64 v92, v92, v89, s17
	v_cndmask_b32_e64 v104, v93, v70, s18
	;; [unrolled: 1-line block ×4, first 2 shown]
	v_or_b32_e32 v82, 3, v79
	v_cndmask_b32_e64 v97, v92, v72, s19
	v_cmp_eq_u32_e64 s24, 6, v78
	v_cndmask_b32_e64 v105, v93, v91, s16
	v_cndmask_b32_e64 v96, v94, v86, s20
	v_cmp_eq_u32_e64 s21, 1, v82
	ds_load_b128 v[92:95], v83 offset:1024
	v_cmp_eq_u32_e64 s23, 2, v82
	v_cmp_eq_u32_e64 s25, 3, v82
	v_cndmask_b32_e64 v106, v96, v68, s22
	v_cndmask_b32_e64 v65, v84, v65, s21
	;; [unrolled: 1-line block ×3, first 2 shown]
	ds_load_b128 v[96:99], v83 offset:1040
	v_cndmask_b32_e64 v71, v88, v71, s21
	v_cmp_eq_u32_e64 s26, 4, v82
	v_cndmask_b32_e64 v65, v65, v85, s23
	v_cmp_eq_u32_e64 s28, 5, v82
	v_cmp_eq_u32_e64 s29, 6, v82
	v_cndmask_b32_e64 v71, v71, v89, s23
	v_cndmask_b32_e64 v84, v84, v100, s22
	;; [unrolled: 1-line block ×4, first 2 shown]
	v_cmp_eq_u32_e64 s27, 7, v78
	v_cndmask_b32_e64 v71, v71, v72, s25
	v_cndmask_b32_e64 v84, v84, v91, s24
	;; [unrolled: 1-line block ×3, first 2 shown]
	s_waitcnt lgkmcnt(1)
	v_lshrrev_b32_e32 v72, 16, v92
	v_lshrrev_b32_e32 v88, 16, v93
	v_cndmask_b32_e64 v71, v71, v90, s26
	v_cndmask_b32_e64 v66, v66, v70, s27
	;; [unrolled: 1-line block ×3, first 2 shown]
	v_cndmask_b32_e32 v86, v92, v72, vcc_lo
	v_cndmask_b32_e64 v89, v92, v72, s3
	v_cndmask_b32_e64 v68, v71, v100, s28
	s_waitcnt lgkmcnt(0)
	v_lshrrev_b32_e32 v71, 16, v96
	v_cndmask_b32_e64 v65, v65, v87, s29
	v_cndmask_b32_e64 v86, v86, v93, s4
	;; [unrolled: 1-line block ×4, first 2 shown]
	v_cndmask_b32_e32 v90, v96, v71, vcc_lo
	v_cmp_eq_u32_e32 vcc_lo, 7, v82
	v_cndmask_b32_e64 v86, v86, v88, s7
	v_cndmask_b32_e64 v87, v87, v88, s8
	v_lshrrev_b32_e32 v91, 16, v94
	v_cndmask_b32_e64 v89, v90, v97, s4
	v_lshrrev_b32_e32 v90, 16, v97
	v_cndmask_b32_e64 v86, v86, v94, s9
	v_dual_cndmask_b32 v65, v65, v70 :: v_dual_cndmask_b32 v68, v68, v101
	v_cndmask_b32_e64 v70, v87, v94, s11
	s_delay_alu instid0(VALU_DEP_4) | instskip(NEXT) | instid1(VALU_DEP_4)
	v_cndmask_b32_e64 v89, v89, v90, s7
	v_cndmask_b32_e64 v86, v86, v91, s10
	v_lshrrev_b32_e32 v100, 16, v98
	v_cndmask_b32_e64 v84, v84, v101, s27
	v_perm_b32 v87, v68, v65, 0x5040100
	v_cndmask_b32_e64 v89, v89, v98, s9
	v_cndmask_b32_e64 v65, v70, v91, s13
	;; [unrolled: 1-line block ×3, first 2 shown]
	v_lshrrev_b32_e32 v70, 16, v95
	v_cndmask_b32_e64 v85, v105, v101, s18
	v_cndmask_b32_e64 v89, v89, v100, s10
	v_perm_b32 v86, v84, v66, 0x5040100
	v_cndmask_b32_e64 v101, v96, v71, s5
	v_cndmask_b32_e64 v66, v68, v70, s15
	;; [unrolled: 1-line block ×8, first 2 shown]
	v_lshrrev_b32_e32 v84, 16, v99
	v_cndmask_b32_e64 v89, v89, v93, s17
	v_cndmask_b32_e64 v72, v72, v93, s23
	;; [unrolled: 1-line block ×27, first 2 shown]
	v_cndmask_b32_e32 v70, v72, v70, vcc_lo
	v_cndmask_b32_e32 v72, v88, v84, vcc_lo
	v_cndmask_b32_e64 v88, v90, v84, s27
	v_cndmask_b32_e64 v71, v71, v84, s18
	;; [unrolled: 1-line block ×3, first 2 shown]
	v_perm_b32 v85, v85, v104, 0x5040100
	v_perm_b32 v84, v103, v102, 0x5040100
	;; [unrolled: 1-line block ×6, first 2 shown]
	s_lshl_b32 s8, s35, 1
	s_mov_b32 s3, exec_lo
	ds_store_b128 v77, v[84:87]
	ds_store_b128 v77, v[88:91] offset:1024
	v_cmpx_gt_u32_e32 2, v0
	s_cbranch_execz .LBB1871_78
; %bb.77:
	v_or_b32_e32 v65, s31, v0
	s_load_b128 s[4:7], s[0:1], 0x58
	s_delay_alu instid0(VALU_DEP_1) | instskip(NEXT) | instid1(VALU_DEP_1)
	v_mad_u64_u32 v[70:71], null, s8, s30, v[65:66]
	v_mad_u64_u32 v[65:66], null, v70, s34, s[14:15]
	s_delay_alu instid0(VALU_DEP_1) | instskip(NEXT) | instid1(VALU_DEP_1)
	v_ashrrev_i32_e32 v66, 31, v65
	v_lshlrev_b64 v[65:66], 2, v[65:66]
	s_waitcnt lgkmcnt(0)
	s_delay_alu instid0(VALU_DEP_1) | instskip(NEXT) | instid1(VALU_DEP_2)
	v_add_co_u32 v70, vcc_lo, s6, v65
	v_add_co_ci_u32_e32 v71, vcc_lo, s7, v66, vcc_lo
	v_add_co_u32 v65, vcc_lo, s4, v65
	v_add_co_ci_u32_e32 v66, vcc_lo, s5, v66, vcc_lo
	global_store_b32 v[70:71], v67, off
	global_store_b32 v[65:66], v69, off
.LBB1871_78:
	s_or_b32 exec_lo, exec_lo, s3
	s_waitcnt lgkmcnt(0)
	s_waitcnt_vscnt null, 0x0
	s_barrier
	buffer_gl0_inv
	ds_load_b128 v[84:87], v81
	ds_load_b128 v[88:91], v81 offset:16
	ds_load_b128 v[96:99], v81 offset:2064
	;; [unrolled: 1-line block ×3, first 2 shown]
	v_mov_b32_e32 v65, 0
	ds_load_b128 v[104:107], v81 offset:4112
	ds_load_b128 v[100:103], v81 offset:4096
	;; [unrolled: 1-line block ×4, first 2 shown]
	v_mov_b32_e32 v66, v65
	v_mov_b32_e32 v67, v65
	;; [unrolled: 1-line block ×7, first 2 shown]
	s_waitcnt lgkmcnt(6)
	s_delay_alu instid0(VALU_DEP_1)
	v_wmma_f32_16x16x16_bf16 v[65:72], v[41:48], v[84:91], v[65:72]
	ds_load_b128 v[45:48], v81 offset:8208
	ds_load_b128 v[41:44], v81 offset:8192
	s_waitcnt lgkmcnt(6)
	v_wmma_f32_16x16x16_bf16 v[65:72], v[33:40], v[92:99], v[65:72]
	ds_load_b128 v[37:40], v81 offset:10256
	ds_load_b128 v[33:36], v81 offset:10240
	s_waitcnt lgkmcnt(6)
	;; [unrolled: 4-line block ×4, first 2 shown]
	v_wmma_f32_16x16x16_bf16 v[65:72], v[1:8], v[41:48], v[65:72]
	s_waitcnt lgkmcnt(4)
	s_delay_alu instid0(VALU_DEP_1) | instskip(SKIP_1) | instid1(VALU_DEP_1)
	v_wmma_f32_16x16x16_bf16 v[65:72], v[9:16], v[33:40], v[65:72]
	s_waitcnt lgkmcnt(2)
	v_wmma_f32_16x16x16_bf16 v[65:72], v[57:64], v[25:32], v[65:72]
	s_waitcnt lgkmcnt(0)
	s_delay_alu instid0(VALU_DEP_1) | instskip(NEXT) | instid1(VALU_DEP_1)
	v_wmma_f32_16x16x16_bf16 v[65:72], v[49:56], v[17:24], v[65:72]
	v_and_b32_e32 v1, 0x7f800000, v65
	s_delay_alu instid0(VALU_DEP_1) | instskip(SKIP_1) | instid1(SALU_CYCLE_1)
	v_cmp_ne_u32_e32 vcc_lo, 0x7f800000, v1
                                        ; implicit-def: $vgpr1
	s_and_saveexec_b32 s3, vcc_lo
	s_xor_b32 s3, exec_lo, s3
; %bb.79:
	v_bfe_u32 v1, v65, 16, 1
	s_delay_alu instid0(VALU_DEP_1)
	v_add3_u32 v1, v65, v1, 0x7fff
; %bb.80:
	s_and_not1_saveexec_b32 s3, s3
; %bb.81:
	v_and_b32_e32 v1, 0xffff, v65
	v_or_b32_e32 v2, 0x10000, v65
	s_delay_alu instid0(VALU_DEP_2) | instskip(NEXT) | instid1(VALU_DEP_2)
	v_cmp_eq_u32_e32 vcc_lo, 0, v1
	v_cndmask_b32_e32 v1, v2, v65, vcc_lo
; %bb.82:
	s_or_b32 exec_lo, exec_lo, s3
	v_and_b32_e32 v2, 0x7f800000, v66
	s_delay_alu instid0(VALU_DEP_1) | instskip(SKIP_1) | instid1(SALU_CYCLE_1)
	v_cmp_ne_u32_e32 vcc_lo, 0x7f800000, v2
                                        ; implicit-def: $vgpr2
	s_and_saveexec_b32 s3, vcc_lo
	s_xor_b32 s3, exec_lo, s3
; %bb.83:
	v_bfe_u32 v2, v66, 16, 1
	s_delay_alu instid0(VALU_DEP_1)
	v_add3_u32 v2, v66, v2, 0x7fff
; %bb.84:
	s_and_not1_saveexec_b32 s3, s3
; %bb.85:
	v_and_b32_e32 v2, 0xffff, v66
	v_or_b32_e32 v3, 0x10000, v66
	s_delay_alu instid0(VALU_DEP_2) | instskip(NEXT) | instid1(VALU_DEP_2)
	v_cmp_eq_u32_e32 vcc_lo, 0, v2
	v_cndmask_b32_e32 v2, v3, v66, vcc_lo
; %bb.86:
	s_or_b32 exec_lo, exec_lo, s3
	v_and_b32_e32 v3, 0x7f800000, v67
	s_delay_alu instid0(VALU_DEP_1) | instskip(SKIP_1) | instid1(SALU_CYCLE_1)
	v_cmp_ne_u32_e32 vcc_lo, 0x7f800000, v3
                                        ; implicit-def: $vgpr3
	s_and_saveexec_b32 s3, vcc_lo
	s_xor_b32 s3, exec_lo, s3
; %bb.87:
	v_bfe_u32 v3, v67, 16, 1
	s_delay_alu instid0(VALU_DEP_1)
	v_add3_u32 v3, v67, v3, 0x7fff
; %bb.88:
	s_and_not1_saveexec_b32 s3, s3
; %bb.89:
	v_and_b32_e32 v3, 0xffff, v67
	v_or_b32_e32 v4, 0x10000, v67
	s_delay_alu instid0(VALU_DEP_2) | instskip(NEXT) | instid1(VALU_DEP_2)
	v_cmp_eq_u32_e32 vcc_lo, 0, v3
	v_cndmask_b32_e32 v3, v4, v67, vcc_lo
; %bb.90:
	s_or_b32 exec_lo, exec_lo, s3
	v_and_b32_e32 v4, 0x7f800000, v68
	s_delay_alu instid0(VALU_DEP_1) | instskip(SKIP_1) | instid1(SALU_CYCLE_1)
	v_cmp_ne_u32_e32 vcc_lo, 0x7f800000, v4
                                        ; implicit-def: $vgpr4
	s_and_saveexec_b32 s3, vcc_lo
	s_xor_b32 s3, exec_lo, s3
; %bb.91:
	v_bfe_u32 v4, v68, 16, 1
	s_delay_alu instid0(VALU_DEP_1)
	v_add3_u32 v4, v68, v4, 0x7fff
; %bb.92:
	s_and_not1_saveexec_b32 s3, s3
; %bb.93:
	v_and_b32_e32 v4, 0xffff, v68
	v_or_b32_e32 v5, 0x10000, v68
	s_delay_alu instid0(VALU_DEP_2) | instskip(NEXT) | instid1(VALU_DEP_2)
	v_cmp_eq_u32_e32 vcc_lo, 0, v4
	v_cndmask_b32_e32 v4, v5, v68, vcc_lo
; %bb.94:
	s_or_b32 exec_lo, exec_lo, s3
	v_and_b32_e32 v5, 0x7f800000, v69
	s_delay_alu instid0(VALU_DEP_1) | instskip(SKIP_1) | instid1(SALU_CYCLE_1)
	v_cmp_ne_u32_e32 vcc_lo, 0x7f800000, v5
                                        ; implicit-def: $vgpr5
	s_and_saveexec_b32 s3, vcc_lo
	s_xor_b32 s3, exec_lo, s3
; %bb.95:
	v_bfe_u32 v5, v69, 16, 1
	s_delay_alu instid0(VALU_DEP_1)
	v_add3_u32 v5, v69, v5, 0x7fff
; %bb.96:
	s_and_not1_saveexec_b32 s3, s3
; %bb.97:
	v_and_b32_e32 v5, 0xffff, v69
	v_or_b32_e32 v6, 0x10000, v69
	s_delay_alu instid0(VALU_DEP_2) | instskip(NEXT) | instid1(VALU_DEP_2)
	v_cmp_eq_u32_e32 vcc_lo, 0, v5
	v_cndmask_b32_e32 v5, v6, v69, vcc_lo
; %bb.98:
	s_or_b32 exec_lo, exec_lo, s3
	v_and_b32_e32 v6, 0x7f800000, v70
	s_delay_alu instid0(VALU_DEP_1) | instskip(SKIP_1) | instid1(SALU_CYCLE_1)
	v_cmp_ne_u32_e32 vcc_lo, 0x7f800000, v6
                                        ; implicit-def: $vgpr6
	s_and_saveexec_b32 s3, vcc_lo
	s_xor_b32 s3, exec_lo, s3
; %bb.99:
	v_bfe_u32 v6, v70, 16, 1
	s_delay_alu instid0(VALU_DEP_1)
	v_add3_u32 v6, v70, v6, 0x7fff
; %bb.100:
	s_and_not1_saveexec_b32 s3, s3
; %bb.101:
	v_and_b32_e32 v6, 0xffff, v70
	v_or_b32_e32 v7, 0x10000, v70
	s_delay_alu instid0(VALU_DEP_2) | instskip(NEXT) | instid1(VALU_DEP_2)
	v_cmp_eq_u32_e32 vcc_lo, 0, v6
	v_cndmask_b32_e32 v6, v7, v70, vcc_lo
; %bb.102:
	s_or_b32 exec_lo, exec_lo, s3
	v_and_b32_e32 v7, 0x7f800000, v71
	s_delay_alu instid0(VALU_DEP_1) | instskip(SKIP_1) | instid1(SALU_CYCLE_1)
	v_cmp_ne_u32_e32 vcc_lo, 0x7f800000, v7
                                        ; implicit-def: $vgpr7
	s_and_saveexec_b32 s3, vcc_lo
	s_xor_b32 s3, exec_lo, s3
; %bb.103:
	v_bfe_u32 v7, v71, 16, 1
	s_delay_alu instid0(VALU_DEP_1)
	v_add3_u32 v7, v71, v7, 0x7fff
; %bb.104:
	s_and_not1_saveexec_b32 s3, s3
; %bb.105:
	v_and_b32_e32 v7, 0xffff, v71
	v_or_b32_e32 v8, 0x10000, v71
	s_delay_alu instid0(VALU_DEP_2) | instskip(NEXT) | instid1(VALU_DEP_2)
	v_cmp_eq_u32_e32 vcc_lo, 0, v7
	v_cndmask_b32_e32 v7, v8, v71, vcc_lo
; %bb.106:
	s_or_b32 exec_lo, exec_lo, s3
	v_and_b32_e32 v8, 0x7f800000, v72
	s_delay_alu instid0(VALU_DEP_1) | instskip(SKIP_1) | instid1(SALU_CYCLE_1)
	v_cmp_ne_u32_e32 vcc_lo, 0x7f800000, v8
                                        ; implicit-def: $vgpr8
	s_and_saveexec_b32 s3, vcc_lo
	s_xor_b32 s3, exec_lo, s3
; %bb.107:
	v_bfe_u32 v8, v72, 16, 1
	s_delay_alu instid0(VALU_DEP_1)
	v_add3_u32 v8, v72, v8, 0x7fff
                                        ; implicit-def: $vgpr65_vgpr66_vgpr67_vgpr68_vgpr69_vgpr70_vgpr71_vgpr72
; %bb.108:
	s_and_not1_saveexec_b32 s3, s3
; %bb.109:
	v_and_b32_e32 v8, 0xffff, v72
	v_or_b32_e32 v9, 0x10000, v72
	s_delay_alu instid0(VALU_DEP_2) | instskip(NEXT) | instid1(VALU_DEP_2)
	v_cmp_eq_u32_e32 vcc_lo, 0, v8
	v_cndmask_b32_e32 v8, v9, v72, vcc_lo
; %bb.110:
	s_or_b32 exec_lo, exec_lo, s3
	s_delay_alu instid0(VALU_DEP_1)
	v_perm_b32 v7, v8, v7, 0x7060302
	v_perm_b32 v6, v6, v5, 0x7060302
	;; [unrolled: 1-line block ×4, first 2 shown]
	s_barrier
	buffer_gl0_inv
	v_cmp_eq_u32_e32 vcc_lo, 1, v79
	ds_store_b128 v77, v[4:7]
	s_waitcnt lgkmcnt(0)
	s_barrier
	buffer_gl0_inv
	ds_load_b128 v[1:4], v83
	ds_load_b128 v[5:8], v83 offset:16
	v_cmp_eq_u32_e64 s3, 1, v80
	v_cmp_eq_u32_e64 s4, 2, v79
	;; [unrolled: 1-line block ×5, first 2 shown]
	s_waitcnt lgkmcnt(1)
	v_lshrrev_b32_e32 v9, 16, v1
	s_waitcnt lgkmcnt(0)
	v_lshrrev_b32_e32 v13, 16, v5
	v_lshrrev_b32_e32 v10, 16, v2
	;; [unrolled: 1-line block ×4, first 2 shown]
	v_cndmask_b32_e64 v19, v1, v9, s3
	v_cndmask_b32_e32 v18, v5, v13, vcc_lo
	v_cndmask_b32_e64 v20, v5, v13, s3
	v_cndmask_b32_e32 v17, v1, v9, vcc_lo
	v_cmp_eq_u32_e32 vcc_lo, 2, v80
	v_lshrrev_b32_e32 v15, 16, v7
	v_cmp_eq_u32_e64 s3, 1, v78
	v_lshrrev_b32_e32 v12, 16, v4
	v_lshrrev_b32_e32 v16, 16, v8
	v_cndmask_b32_e32 v20, v20, v6, vcc_lo
	v_cndmask_b32_e64 v17, v17, v2, s4
	v_cndmask_b32_e32 v19, v19, v2, vcc_lo
	v_cndmask_b32_e64 v18, v18, v6, s4
	v_cmp_eq_u32_e32 vcc_lo, 4, v79
	v_cmp_eq_u32_e64 s4, 3, v80
	v_cndmask_b32_e64 v17, v17, v10, s5
	v_cndmask_b32_e64 v21, v1, v9, s3
	;; [unrolled: 1-line block ×5, first 2 shown]
	v_cndmask_b32_e32 v17, v17, v3, vcc_lo
	v_cndmask_b32_e64 v20, v20, v14, s4
	v_cndmask_b32_e32 v18, v18, v7, vcc_lo
	v_cmp_eq_u32_e32 vcc_lo, 4, v80
	v_cmp_eq_u32_e64 s4, 5, v80
	v_cmp_eq_u32_e64 s3, 2, v82
	v_cndmask_b32_e64 v21, v21, v2, s7
	v_cmp_eq_u32_e64 s5, 5, v79
	v_cndmask_b32_e32 v19, v19, v3, vcc_lo
	v_cndmask_b32_e32 v20, v20, v7, vcc_lo
	v_cmp_eq_u32_e32 vcc_lo, 6, v80
	s_delay_alu instid0(VALU_DEP_4) | instskip(NEXT) | instid1(VALU_DEP_4)
	v_cndmask_b32_e64 v17, v17, v11, s5
	v_cndmask_b32_e64 v19, v19, v11, s4
	s_delay_alu instid0(VALU_DEP_4) | instskip(SKIP_1) | instid1(VALU_DEP_3)
	v_cndmask_b32_e64 v20, v20, v15, s4
	v_cmp_eq_u32_e64 s4, 1, v82
	v_cndmask_b32_e32 v19, v19, v4, vcc_lo
	v_cndmask_b32_e64 v18, v18, v15, s5
	s_delay_alu instid0(VALU_DEP_3)
	v_cndmask_b32_e64 v1, v1, v9, s4
	v_cndmask_b32_e64 v5, v5, v13, s4
	v_cmp_eq_u32_e64 s4, 3, v78
	v_cndmask_b32_e64 v13, v22, v6, s7
	v_cmp_eq_u32_e64 s7, 3, v82
	v_cndmask_b32_e64 v1, v1, v2, s3
	v_cndmask_b32_e64 v2, v5, v6, s3
	;; [unrolled: 1-line block ×3, first 2 shown]
	v_cmp_eq_u32_e64 s3, 4, v78
	v_cndmask_b32_e64 v6, v13, v14, s4
	v_cndmask_b32_e64 v1, v1, v10, s7
	v_cmp_eq_u32_e64 s4, 4, v82
	v_cndmask_b32_e64 v2, v2, v14, s7
	v_cndmask_b32_e64 v5, v9, v3, s3
	;; [unrolled: 3-line block ×3, first 2 shown]
	v_cndmask_b32_e64 v2, v2, v7, s4
	v_cmp_eq_u32_e64 s3, 5, v82
	v_cmp_eq_u32_e64 s5, 6, v79
	v_cndmask_b32_e64 v5, v5, v11, s7
	v_cmp_eq_u32_e64 s4, 6, v78
	v_cndmask_b32_e64 v3, v6, v15, s7
	v_cndmask_b32_e64 v1, v1, v11, s3
	v_cmp_eq_u32_e64 s7, 6, v82
	v_cndmask_b32_e64 v2, v2, v15, s3
	v_cndmask_b32_e64 v17, v17, v4, s5
	v_cndmask_b32_e64 v18, v18, v8, s5
	v_cmp_eq_u32_e64 s5, 7, v79
	v_cndmask_b32_e64 v5, v5, v4, s4
	;; [unrolled: 4-line block ×3, first 2 shown]
	v_cmp_eq_u32_e64 s4, 7, v78
	v_cndmask_b32_e32 v4, v20, v8, vcc_lo
	v_cndmask_b32_e64 v17, v17, v12, s5
	v_cndmask_b32_e64 v19, v19, v12, s6
	;; [unrolled: 1-line block ×8, first 2 shown]
	s_delay_alu instid0(VALU_DEP_4) | instskip(NEXT) | instid1(VALU_DEP_4)
	v_perm_b32 v4, v2, v1, 0x5040100
	v_perm_b32 v3, v3, v5, 0x5040100
	s_delay_alu instid0(VALU_DEP_4) | instskip(NEXT) | instid1(VALU_DEP_4)
	v_perm_b32 v2, v6, v19, 0x5040100
	v_perm_b32 v1, v7, v17, 0x5040100
	ds_store_b128 v77, v[1:4]
	s_waitcnt lgkmcnt(0)
	s_barrier
	buffer_gl0_inv
	s_and_saveexec_b32 s3, s2
	s_cbranch_execz .LBB1871_2
; %bb.111:
	s_load_b64 s[0:1], s[0:1], 0x68
	v_lshlrev_b32_e32 v0, 10, v0
	s_lshl_b32 s2, s34, 7
	v_lshlrev_b32_e32 v1, 4, v76
	v_mul_lo_u32 v4, s2, v75
	s_mul_i32 s3, s2, s30
	v_and_b32_e32 v0, 0x3800, v0
	s_mul_i32 s2, s3, s8
	s_delay_alu instid0(SALU_CYCLE_1) | instskip(NEXT) | instid1(VALU_DEP_1)
	s_ashr_i32 s3, s2, 31
	v_or3_b32 v0, v0, v74, v1
	s_lshl_b64 s[2:3], s[2:3], 1
	s_delay_alu instid0(VALU_DEP_3)
	v_ashrrev_i32_e32 v5, 31, v4
	ds_load_b128 v[0:3], v0
	v_lshlrev_b64 v[4:5], 1, v[4:5]
	s_waitcnt lgkmcnt(0)
	s_add_u32 s2, s0, s2
	s_addc_u32 s3, s1, s3
	s_lshl_b32 s0, s14, 7
	s_delay_alu instid0(SALU_CYCLE_1) | instskip(NEXT) | instid1(SALU_CYCLE_1)
	s_ashr_i32 s1, s0, 31
	s_lshl_b64 s[0:1], s[0:1], 1
	s_delay_alu instid0(SALU_CYCLE_1) | instskip(SKIP_3) | instid1(VALU_DEP_2)
	s_add_u32 s0, s2, s0
	s_addc_u32 s1, s3, s1
	v_add_co_u32 v4, vcc_lo, s0, v4
	v_add_co_ci_u32_e32 v5, vcc_lo, s1, v5, vcc_lo
	v_add_co_u32 v4, vcc_lo, v4, v73
	s_delay_alu instid0(VALU_DEP_2)
	v_add_co_ci_u32_e32 v5, vcc_lo, 0, v5, vcc_lo
	global_store_b128 v[4:5], v[0:3], off
	s_nop 0
	s_sendmsg sendmsg(MSG_DEALLOC_VGPRS)
	s_endpgm
	.section	.rodata,"a",@progbits
	.p2align	6, 0x0
	.amdhsa_kernel _Z39paged_attention_ll4mi_QKV_mfma16_kernelI14__hip_bfloat16hLN4vllm18Fp8KVCacheDataTypeE1EhLi32ELi128ELi256ELb1ELi2EL8MFMAType0EEvPKT_PKT0_S9_ifPKiSB_SB_iPKfiiiPfSE_PS4_PT2_iSD_SD_
		.amdhsa_group_segment_fixed_size 17472
		.amdhsa_private_segment_fixed_size 0
		.amdhsa_kernarg_size 400
		.amdhsa_user_sgpr_count 13
		.amdhsa_user_sgpr_dispatch_ptr 0
		.amdhsa_user_sgpr_queue_ptr 0
		.amdhsa_user_sgpr_kernarg_segment_ptr 1
		.amdhsa_user_sgpr_dispatch_id 0
		.amdhsa_user_sgpr_private_segment_size 0
		.amdhsa_wavefront_size32 1
		.amdhsa_uses_dynamic_stack 0
		.amdhsa_enable_private_segment 0
		.amdhsa_system_sgpr_workgroup_id_x 1
		.amdhsa_system_sgpr_workgroup_id_y 1
		.amdhsa_system_sgpr_workgroup_id_z 1
		.amdhsa_system_sgpr_workgroup_info 0
		.amdhsa_system_vgpr_workitem_id 0
		.amdhsa_next_free_vgpr 138
		.amdhsa_next_free_sgpr 37
		.amdhsa_reserve_vcc 1
		.amdhsa_float_round_mode_32 0
		.amdhsa_float_round_mode_16_64 0
		.amdhsa_float_denorm_mode_32 3
		.amdhsa_float_denorm_mode_16_64 3
		.amdhsa_dx10_clamp 1
		.amdhsa_ieee_mode 1
		.amdhsa_fp16_overflow 0
		.amdhsa_workgroup_processor_mode 1
		.amdhsa_memory_ordered 1
		.amdhsa_forward_progress 0
		.amdhsa_shared_vgpr_count 0
		.amdhsa_exception_fp_ieee_invalid_op 0
		.amdhsa_exception_fp_denorm_src 0
		.amdhsa_exception_fp_ieee_div_zero 0
		.amdhsa_exception_fp_ieee_overflow 0
		.amdhsa_exception_fp_ieee_underflow 0
		.amdhsa_exception_fp_ieee_inexact 0
		.amdhsa_exception_int_div_zero 0
	.end_amdhsa_kernel
	.section	.text._Z39paged_attention_ll4mi_QKV_mfma16_kernelI14__hip_bfloat16hLN4vllm18Fp8KVCacheDataTypeE1EhLi32ELi128ELi256ELb1ELi2EL8MFMAType0EEvPKT_PKT0_S9_ifPKiSB_SB_iPKfiiiPfSE_PS4_PT2_iSD_SD_,"axG",@progbits,_Z39paged_attention_ll4mi_QKV_mfma16_kernelI14__hip_bfloat16hLN4vllm18Fp8KVCacheDataTypeE1EhLi32ELi128ELi256ELb1ELi2EL8MFMAType0EEvPKT_PKT0_S9_ifPKiSB_SB_iPKfiiiPfSE_PS4_PT2_iSD_SD_,comdat
.Lfunc_end1871:
	.size	_Z39paged_attention_ll4mi_QKV_mfma16_kernelI14__hip_bfloat16hLN4vllm18Fp8KVCacheDataTypeE1EhLi32ELi128ELi256ELb1ELi2EL8MFMAType0EEvPKT_PKT0_S9_ifPKiSB_SB_iPKfiiiPfSE_PS4_PT2_iSD_SD_, .Lfunc_end1871-_Z39paged_attention_ll4mi_QKV_mfma16_kernelI14__hip_bfloat16hLN4vllm18Fp8KVCacheDataTypeE1EhLi32ELi128ELi256ELb1ELi2EL8MFMAType0EEvPKT_PKT0_S9_ifPKiSB_SB_iPKfiiiPfSE_PS4_PT2_iSD_SD_
                                        ; -- End function
	.section	.AMDGPU.csdata,"",@progbits
; Kernel info:
; codeLenInByte = 8652
; NumSgprs: 39
; NumVgprs: 138
; ScratchSize: 0
; MemoryBound: 0
; FloatMode: 240
; IeeeMode: 1
; LDSByteSize: 17472 bytes/workgroup (compile time only)
; SGPRBlocks: 4
; VGPRBlocks: 17
; NumSGPRsForWavesPerEU: 39
; NumVGPRsForWavesPerEU: 138
; Occupancy: 10
; WaveLimiterHint : 1
; COMPUTE_PGM_RSRC2:SCRATCH_EN: 0
; COMPUTE_PGM_RSRC2:USER_SGPR: 13
; COMPUTE_PGM_RSRC2:TRAP_HANDLER: 0
; COMPUTE_PGM_RSRC2:TGID_X_EN: 1
; COMPUTE_PGM_RSRC2:TGID_Y_EN: 1
; COMPUTE_PGM_RSRC2:TGID_Z_EN: 1
; COMPUTE_PGM_RSRC2:TIDIG_COMP_CNT: 0
	.section	.text._Z39paged_attention_ll4mi_QKV_mfma16_kernelI14__hip_bfloat16hLN4vllm18Fp8KVCacheDataTypeE1EhLi32ELi128ELi256ELb1ELi3EL8MFMAType0EEvPKT_PKT0_S9_ifPKiSB_SB_iPKfiiiPfSE_PS4_PT2_iSD_SD_,"axG",@progbits,_Z39paged_attention_ll4mi_QKV_mfma16_kernelI14__hip_bfloat16hLN4vllm18Fp8KVCacheDataTypeE1EhLi32ELi128ELi256ELb1ELi3EL8MFMAType0EEvPKT_PKT0_S9_ifPKiSB_SB_iPKfiiiPfSE_PS4_PT2_iSD_SD_,comdat
	.protected	_Z39paged_attention_ll4mi_QKV_mfma16_kernelI14__hip_bfloat16hLN4vllm18Fp8KVCacheDataTypeE1EhLi32ELi128ELi256ELb1ELi3EL8MFMAType0EEvPKT_PKT0_S9_ifPKiSB_SB_iPKfiiiPfSE_PS4_PT2_iSD_SD_ ; -- Begin function _Z39paged_attention_ll4mi_QKV_mfma16_kernelI14__hip_bfloat16hLN4vllm18Fp8KVCacheDataTypeE1EhLi32ELi128ELi256ELb1ELi3EL8MFMAType0EEvPKT_PKT0_S9_ifPKiSB_SB_iPKfiiiPfSE_PS4_PT2_iSD_SD_
	.globl	_Z39paged_attention_ll4mi_QKV_mfma16_kernelI14__hip_bfloat16hLN4vllm18Fp8KVCacheDataTypeE1EhLi32ELi128ELi256ELb1ELi3EL8MFMAType0EEvPKT_PKT0_S9_ifPKiSB_SB_iPKfiiiPfSE_PS4_PT2_iSD_SD_
	.p2align	8
	.type	_Z39paged_attention_ll4mi_QKV_mfma16_kernelI14__hip_bfloat16hLN4vllm18Fp8KVCacheDataTypeE1EhLi32ELi128ELi256ELb1ELi3EL8MFMAType0EEvPKT_PKT0_S9_ifPKiSB_SB_iPKfiiiPfSE_PS4_PT2_iSD_SD_,@function
_Z39paged_attention_ll4mi_QKV_mfma16_kernelI14__hip_bfloat16hLN4vllm18Fp8KVCacheDataTypeE1EhLi32ELi128ELi256ELb1ELi3EL8MFMAType0EEvPKT_PKT0_S9_ifPKiSB_SB_iPKfiiiPfSE_PS4_PT2_iSD_SD_: ; @_Z39paged_attention_ll4mi_QKV_mfma16_kernelI14__hip_bfloat16hLN4vllm18Fp8KVCacheDataTypeE1EhLi32ELi128ELi256ELb1ELi3EL8MFMAType0EEvPKT_PKT0_S9_ifPKiSB_SB_iPKfiiiPfSE_PS4_PT2_iSD_SD_
; %bb.0:
	s_load_b64 s[4:5], s[0:1], 0x30
	s_mov_b32 s30, s13
	s_waitcnt lgkmcnt(0)
	s_cmp_lg_u64 s[4:5], 0
	s_cselect_b32 s13, -1, 0
	s_ashr_i32 s31, s30, 31
	s_cmp_eq_u64 s[4:5], 0
	s_cbranch_scc1 .LBB1872_3
; %bb.1:
	s_lshl_b64 s[2:3], s[30:31], 2
	s_delay_alu instid0(SALU_CYCLE_1) | instskip(SKIP_4) | instid1(SALU_CYCLE_1)
	s_add_u32 s2, s4, s2
	s_addc_u32 s3, s5, s3
	s_load_b64 s[2:3], s[2:3], 0x0
	s_waitcnt lgkmcnt(0)
	s_sub_i32 s2, s3, s2
	s_cmp_eq_u32 s2, 1
	s_cselect_b32 s2, -1, 0
	s_delay_alu instid0(SALU_CYCLE_1)
	s_and_not1_b32 vcc_lo, exec_lo, s2
	s_cbranch_vccz .LBB1872_4
.LBB1872_2:
	s_nop 0
	s_sendmsg sendmsg(MSG_DEALLOC_VGPRS)
	s_endpgm
.LBB1872_3:
.LBB1872_4:
	s_load_b64 s[2:3], s[0:1], 0x28
	s_lshl_b64 s[6:7], s[30:31], 2
	s_waitcnt lgkmcnt(0)
	s_add_u32 s2, s2, s6
	s_addc_u32 s3, s3, s7
	s_lshl_b32 s12, s14, 8
	s_load_b32 s17, s[2:3], 0x0
	s_waitcnt lgkmcnt(0)
	s_cmp_ge_i32 s12, s17
	s_cbranch_scc1 .LBB1872_2
; %bb.5:
	s_clause 0x1
	s_load_b128 s[8:11], s[0:1], 0x8
	s_load_b64 s[2:3], s[0:1], 0x20
	s_and_not1_b32 vcc_lo, exec_lo, s13
	s_cbranch_vccnz .LBB1872_7
; %bb.6:
	s_add_u32 s4, s4, s6
	s_addc_u32 s5, s5, s7
	s_load_b32 s13, s[4:5], 0x0
	s_branch .LBB1872_8
.LBB1872_7:
	s_mov_b32 s13, s30
.LBB1872_8:
	s_load_b128 s[4:7], s[0:1], 0x48
	v_and_b32_e32 v65, 15, v0
	v_lshrrev_b32_e32 v66, 5, v0
	v_bfe_u32 v74, v0, 4, 1
	v_and_b32_e32 v67, 31, v0
	v_and_b32_e32 v75, 1, v0
	v_lshlrev_b32_e32 v2, 3, v65
	s_mul_i32 s31, s15, 3
	v_lshl_or_b32 v1, v66, 1, v74
	s_waitcnt lgkmcnt(0)
	s_mov_b32 s7, exec_lo
	v_lshlrev_b32_e32 v73, 1, v2
	s_delay_alu instid0(VALU_DEP_2)
	v_cmpx_gt_u32_e32 3, v1
	s_cbranch_execz .LBB1872_10
; %bb.9:
	s_load_b64 s[18:19], s[0:1], 0x0
	v_add_lshl_u32 v2, v1, s31, 7
	s_mul_hi_i32 s21, s13, s4
	s_mul_i32 s20, s13, s4
	v_lshlrev_b32_e32 v6, 10, v65
	s_lshl_b64 s[20:21], s[20:21], 1
	v_ashrrev_i32_e32 v3, 31, v2
	v_lshlrev_b32_e32 v1, 6, v1
	v_lshlrev_b32_e32 v7, 10, v75
	v_and_b32_e32 v6, 0x3800, v6
	s_delay_alu instid0(VALU_DEP_4) | instskip(NEXT) | instid1(VALU_DEP_2)
	v_lshlrev_b64 v[2:3], 1, v[2:3]
	v_or3_b32 v1, v6, v7, v1
	s_waitcnt lgkmcnt(0)
	s_add_u32 s4, s18, s20
	s_addc_u32 s13, s19, s21
	s_delay_alu instid0(VALU_DEP_2) | instskip(SKIP_1) | instid1(VALU_DEP_2)
	v_add_co_u32 v2, vcc_lo, s4, v2
	v_add_co_ci_u32_e32 v3, vcc_lo, s13, v3, vcc_lo
	v_add_co_u32 v2, vcc_lo, v2, v73
	s_delay_alu instid0(VALU_DEP_2)
	v_add_co_ci_u32_e32 v3, vcc_lo, 0, v3, vcc_lo
	global_load_b128 v[2:5], v[2:3], off
	s_waitcnt vmcnt(0)
	ds_store_b128 v1, v[2:5]
.LBB1872_10:
	s_or_b32 exec_lo, exec_lo, s7
	v_and_b32_e32 v1, 0xef, v0
	s_add_i32 s4, s17, 31
	s_clause 0x1
	s_load_b32 s7, s[0:1], 0x38
	s_load_b32 s18, s[0:1], 0x1c
	s_ashr_i32 s13, s4, 31
	v_add_nc_u32_e32 v2, s12, v1
	s_lshr_b32 s13, s13, 27
	s_waitcnt lgkmcnt(0)
	s_add_i32 s4, s4, s13
	s_barrier
	v_ashrrev_i32_e32 v1, 31, v2
	s_ashr_i32 s4, s4, 5
	v_cmp_gt_i32_e32 vcc_lo, s17, v2
	s_add_i32 s4, s4, -1
	buffer_gl0_inv
	v_lshrrev_b32_e32 v3, 27, v1
	v_or_b32_e32 v1, 16, v2
	s_mul_i32 s15, s15, s6
	s_delay_alu instid0(VALU_DEP_2) | instskip(SKIP_1) | instid1(SALU_CYCLE_1)
	v_add_nc_u32_e32 v4, v2, v3
	s_mul_i32 s20, s30, s7
	s_ashr_i32 s21, s20, 31
	s_delay_alu instid0(VALU_DEP_1) | instskip(SKIP_2) | instid1(SALU_CYCLE_1)
	v_ashrrev_i32_e32 v4, 5, v4
	v_add_nc_u32_e32 v3, v1, v3
	s_lshl_b64 s[20:21], s[20:21], 2
	s_add_u32 s7, s2, s20
	s_delay_alu instid0(VALU_DEP_2) | instskip(NEXT) | instid1(VALU_DEP_2)
	v_cndmask_b32_e32 v2, s4, v4, vcc_lo
	v_ashrrev_i32_e32 v3, 5, v3
	v_cmp_gt_i32_e32 vcc_lo, s17, v1
	s_addc_u32 s13, s3, s21
	s_ashr_i32 s6, s15, 31
	s_add_u32 s2, s8, s15
	s_addc_u32 s3, s9, s6
	v_cndmask_b32_e32 v4, s4, v3, vcc_lo
	v_ashrrev_i32_e32 v3, 31, v2
	s_lshl_b32 s8, s14, 3
	s_delay_alu instid0(SALU_CYCLE_1) | instskip(NEXT) | instid1(VALU_DEP_2)
	s_ashr_i32 s9, s8, 31
	v_ashrrev_i32_e32 v5, 31, v4
	s_delay_alu instid0(VALU_DEP_2) | instskip(SKIP_1) | instid1(SALU_CYCLE_1)
	v_lshlrev_b64 v[1:2], 2, v[2:3]
	s_lshl_b64 s[8:9], s[8:9], 2
	s_add_u32 s8, s7, s8
	s_delay_alu instid0(VALU_DEP_2) | instskip(SKIP_1) | instid1(VALU_DEP_2)
	v_lshlrev_b64 v[3:4], 2, v[4:5]
	s_addc_u32 s9, s13, s9
	v_add_co_u32 v1, vcc_lo, s7, v1
	v_add_co_ci_u32_e32 v2, vcc_lo, s13, v2, vcc_lo
	s_delay_alu instid0(VALU_DEP_3) | instskip(NEXT) | instid1(VALU_DEP_4)
	v_add_co_u32 v3, vcc_lo, s7, v3
	v_add_co_ci_u32_e32 v4, vcc_lo, s13, v4, vcc_lo
	s_clause 0x1
	global_load_b32 v5, v[1:2], off
	global_load_b32 v6, v[3:4], off
	s_or_b32 s16, s12, 32
	s_delay_alu instid0(SALU_CYCLE_1) | instskip(SKIP_2) | instid1(SALU_CYCLE_1)
	s_ashr_i32 s19, s16, 5
	s_cmp_lt_i32 s16, s17
	s_cselect_b32 s20, s19, s4
	s_ashr_i32 s21, s20, 31
	s_delay_alu instid0(SALU_CYCLE_1) | instskip(NEXT) | instid1(SALU_CYCLE_1)
	s_lshl_b64 s[20:21], s[20:21], 2
	s_add_u32 s20, s7, s20
	s_addc_u32 s21, s13, s21
	s_or_b32 s16, s12, 64
	s_delay_alu instid0(SALU_CYCLE_1) | instskip(SKIP_2) | instid1(SALU_CYCLE_1)
	s_ashr_i32 s19, s16, 5
	s_cmp_lt_i32 s16, s17
	s_cselect_b32 s22, s19, s4
	s_ashr_i32 s23, s22, 31
	s_delay_alu instid0(SALU_CYCLE_1) | instskip(NEXT) | instid1(SALU_CYCLE_1)
	s_lshl_b64 s[22:23], s[22:23], 2
	s_add_u32 s22, s7, s22
	s_addc_u32 s23, s13, s23
	;; [unrolled: 10-line block ×5, first 2 shown]
	s_clause 0x5
	s_load_b32 s16, s[8:9], 0x0
	s_load_b32 s19, s[20:21], 0x0
	;; [unrolled: 1-line block ×6, first 2 shown]
	s_mov_b32 s20, 0
	s_delay_alu instid0(SALU_CYCLE_1)
	s_mov_b32 s21, s20
	s_mov_b32 s22, s20
	s_mov_b32 s23, s20
	s_mov_b32 s24, s20
	s_mov_b32 s25, s20
	s_mov_b32 s26, s20
	s_mov_b32 s27, s20
	s_delay_alu instid0(SALU_CYCLE_1)
	v_dual_mov_b32 v107, s27 :: v_dual_mov_b32 v106, s26
	v_dual_mov_b32 v105, s25 :: v_dual_mov_b32 v102, s22
	;; [unrolled: 1-line block ×4, first 2 shown]
	s_waitcnt vmcnt(1)
	v_mad_i64_i32 v[1:2], null, v5, s5, s[2:3]
	v_lshlrev_b32_e32 v5, 4, v65
	s_waitcnt vmcnt(0)
	v_mad_i64_i32 v[3:4], null, v6, s5, s[2:3]
	s_or_b32 s2, s12, 0xc0
	s_delay_alu instid0(SALU_CYCLE_1) | instskip(NEXT) | instid1(VALU_DEP_3)
	s_ashr_i32 s3, s2, 5
	v_add_co_u32 v25, vcc_lo, v1, v5
	s_delay_alu instid0(VALU_DEP_4) | instskip(NEXT) | instid1(VALU_DEP_3)
	v_add_co_ci_u32_e32 v26, vcc_lo, 0, v2, vcc_lo
	v_add_co_u32 v27, vcc_lo, v3, v5
	s_delay_alu instid0(VALU_DEP_4)
	v_add_co_ci_u32_e32 v28, vcc_lo, 0, v4, vcc_lo
	s_clause 0xf
	global_load_b128 v[1:4], v[25:26], off
	global_load_b128 v[5:8], v[25:26], off offset:512
	global_load_b128 v[9:12], v[27:28], off offset:256
	global_load_b128 v[13:16], v[27:28], off offset:768
	global_load_b128 v[17:20], v[25:26], off offset:1024
	global_load_b128 v[21:24], v[25:26], off offset:1536
	global_load_b128 v[49:52], v[27:28], off offset:1280
	global_load_b128 v[53:56], v[27:28], off offset:1792
	global_load_b128 v[57:60], v[25:26], off offset:2048
	global_load_b128 v[61:64], v[25:26], off offset:2560
	global_load_b128 v[76:79], v[27:28], off offset:2304
	global_load_b128 v[80:83], v[27:28], off offset:2816
	global_load_b128 v[84:87], v[25:26], off offset:3072
	global_load_b128 v[88:91], v[25:26], off offset:3584
	global_load_b128 v[92:95], v[27:28], off offset:3328
	global_load_b128 v[96:99], v[27:28], off offset:3840
	v_mul_lo_u16 v25, 0x56, v65
	s_cmp_lt_i32 s2, s17
	v_lshlrev_b32_e32 v26, 5, v65
	s_cselect_b32 s2, s3, s4
	s_delay_alu instid0(VALU_DEP_2) | instskip(SKIP_1) | instid1(VALU_DEP_2)
	v_lshrrev_b16 v25, 8, v25
	s_ashr_i32 s3, s2, 31
	v_lshl_or_b32 v33, v66, 9, v26
	s_lshl_b64 s[2:3], s[2:3], 2
	s_delay_alu instid0(VALU_DEP_2) | instskip(SKIP_3) | instid1(VALU_DEP_1)
	v_mul_lo_u16 v25, v25, 3
	s_add_u32 s2, s7, s2
	s_addc_u32 s3, s13, s3
	s_or_b32 s8, s12, 0xe0
	v_sub_nc_u16 v25, v65, v25
	s_ashr_i32 s9, s8, 5
	s_cmp_lt_i32 s8, s17
	s_cselect_b32 s8, s9, s4
	s_delay_alu instid0(VALU_DEP_1) | instskip(SKIP_1) | instid1(SALU_CYCLE_1)
	v_and_b32_e32 v25, 0xff, v25
	s_ashr_i32 s9, s8, 31
	s_lshl_b64 s[8:9], s[8:9], 2
	s_delay_alu instid0(VALU_DEP_1)
	v_lshlrev_b32_e32 v72, 6, v25
	ds_load_b128 v[25:28], v72
	ds_load_b128 v[29:32], v72 offset:1024
	ds_load_b128 v[108:111], v72 offset:2048
	;; [unrolled: 1-line block ×3, first 2 shown]
	s_load_b32 s4, s[2:3], 0x0
	s_add_u32 s2, s7, s8
	s_addc_u32 s3, s13, s9
	ds_load_b128 v[116:119], v72 offset:4096
	ds_load_b128 v[120:123], v72 offset:5120
	s_load_b32 s2, s[2:3], 0x0
	s_add_u32 s7, s10, s15
	s_addc_u32 s6, s11, s6
	v_add_co_u32 v68, s7, s7, v33
	s_delay_alu instid0(VALU_DEP_1) | instskip(SKIP_1) | instid1(VALU_DEP_1)
	v_add_co_ci_u32_e64 v69, null, s6, 0, s7
	s_waitcnt lgkmcnt(0)
	v_mad_i64_i32 v[33:34], null, s16, s5, v[68:69]
	v_mad_i64_i32 v[70:71], null, s33, s5, v[68:69]
	;; [unrolled: 1-line block ×7, first 2 shown]
	s_clause 0x3
	global_load_b128 v[41:44], v[33:34], off
	global_load_b128 v[45:48], v[33:34], off offset:16
	global_load_b128 v[33:36], v[37:38], off
	global_load_b128 v[37:40], v[37:38], off offset:16
	s_waitcnt vmcnt(18)
	v_wmma_f32_16x16x16_bf16 v[124:131], v[1:8], v[25:32], v[100:107]
	s_waitcnt vmcnt(16)
	v_wmma_f32_16x16x16_bf16 v[100:107], v[9:16], v[25:32], v[100:107]
	s_clause 0x1
	global_load_b128 v[25:28], v[70:71], off
	global_load_b128 v[29:32], v[70:71], off offset:16
	s_waitcnt vmcnt(16)
	v_wmma_f32_16x16x16_bf16 v[124:131], v[17:24], v[108:115], v[124:131]
	s_clause 0x1
	global_load_b128 v[17:20], v[132:133], off
	global_load_b128 v[21:24], v[132:133], off offset:16
	s_waitcnt vmcnt(16)
	v_wmma_f32_16x16x16_bf16 v[100:107], v[49:56], v[108:115], v[100:107]
	v_mad_i64_i32 v[53:54], null, s2, s5, v[68:69]
	s_clause 0x3
	global_load_b128 v[1:4], v[134:135], off
	global_load_b128 v[5:8], v[134:135], off offset:16
	global_load_b128 v[9:12], v[136:137], off
	global_load_b128 v[13:16], v[136:137], off offset:16
	s_waitcnt vmcnt(18)
	v_wmma_f32_16x16x16_bf16 v[124:131], v[57:64], v[116:123], v[124:131]
	s_clause 0x3
	global_load_b128 v[57:60], v[138:139], off
	global_load_b128 v[61:64], v[138:139], off offset:16
	global_load_b128 v[49:52], v[53:54], off
	global_load_b128 v[53:56], v[53:54], off offset:16
	s_waitcnt vmcnt(20)
	v_wmma_f32_16x16x16_bf16 v[100:107], v[76:83], v[116:123], v[100:107]
	ds_load_b128 v[76:79], v72 offset:6144
	ds_load_b128 v[80:83], v72 offset:7168
	v_mbcnt_lo_u32_b32 v69, -1, 0
	s_waitcnt vmcnt(0) lgkmcnt(0)
	s_barrier
	buffer_gl0_inv
	v_xor_b32_e32 v70, 16, v69
	s_delay_alu instid0(VALU_DEP_1) | instskip(SKIP_4) | instid1(VALU_DEP_2)
	v_cmp_gt_i32_e32 vcc_lo, 32, v70
	v_cndmask_b32_e32 v69, v69, v70, vcc_lo
	v_wmma_f32_16x16x16_bf16 v[124:131], v[84:91], v[76:83], v[124:131]
	v_and_b32_e32 v68, 0xe0, v0
	v_wmma_f32_16x16x16_bf16 v[100:107], v[92:99], v[76:83], v[100:107]
	v_dual_mul_f32 v81, s18, v129 :: v_dual_add_nc_u32 v68, s12, v68
	s_delay_alu instid0(VALU_DEP_4) | instskip(NEXT) | instid1(VALU_DEP_3)
	v_dual_mul_f32 v83, s18, v131 :: v_dual_mul_f32 v78, s18, v125
	v_mul_f32_e32 v95, s18, v103
	v_mul_f32_e32 v79, s18, v127
	s_delay_alu instid0(VALU_DEP_4) | instskip(SKIP_3) | instid1(VALU_DEP_4)
	v_or_b32_e32 v68, v68, v74
	v_dual_mul_f32 v80, s18, v126 :: v_dual_mul_f32 v97, s18, v105
	v_dual_mul_f32 v93, s18, v101 :: v_dual_mul_f32 v82, s18, v128
	v_mul_f32_e32 v99, s18, v107
	v_or_b32_e32 v70, 2, v68
	v_or_b32_e32 v71, 4, v68
	;; [unrolled: 1-line block ×3, first 2 shown]
	v_cmp_gt_i32_e64 s2, s17, v68
	v_or_b32_e32 v108, 8, v68
	v_cmp_gt_i32_e32 vcc_lo, s17, v70
	v_mul_f32_e32 v70, s18, v124
	v_or_b32_e32 v109, 10, v68
	v_cmp_gt_i32_e64 s3, s17, v71
	v_cmp_gt_i32_e64 s4, s17, v72
	v_cndmask_b32_e32 v78, 0xff7fffff, v78, vcc_lo
	v_cndmask_b32_e64 v70, 0xff7fffff, v70, s2
	v_or_b32_e32 v84, 12, v68
	v_or_b32_e32 v85, 14, v68
	v_cndmask_b32_e64 v71, 0xff7fffff, v80, s3
	v_cndmask_b32_e64 v72, 0xff7fffff, v79, s4
	v_max3_f32 v70, v70, 0xff7fffff, v78
	v_cmp_gt_i32_e64 s5, s17, v108
	v_cmp_gt_i32_e64 s6, s17, v109
	v_or_b32_e32 v86, 16, v68
	v_or_b32_e32 v87, 18, v68
	;; [unrolled: 1-line block ×3, first 2 shown]
	v_mul_f32_e32 v92, s18, v130
	v_cndmask_b32_e64 v78, 0xff7fffff, v82, s5
	v_cndmask_b32_e64 v79, 0xff7fffff, v81, s6
	v_max3_f32 v70, v70, v71, v72
	v_cmp_gt_i32_e64 s7, s17, v84
	v_cmp_gt_i32_e64 s8, s17, v85
	v_or_b32_e32 v88, 20, v68
	v_mul_f32_e32 v94, s18, v100
	v_max3_f32 v70, v70, v78, v79
	v_cmp_gt_i32_e64 s9, s17, v86
	v_cndmask_b32_e64 v72, 0xff7fffff, v83, s8
	v_cmp_gt_i32_e64 s10, s17, v87
	v_cmp_gt_i32_e64 s12, s17, v89
	v_lshlrev_b32_e32 v89, 2, v69
	v_cndmask_b32_e64 v71, 0xff7fffff, v92, s7
	v_or_b32_e32 v90, 24, v68
	v_or_b32_e32 v91, 26, v68
	v_mul_f32_e32 v96, s18, v102
	v_cndmask_b32_e64 v78, 0xff7fffff, v94, s9
	v_cndmask_b32_e64 v79, 0xff7fffff, v93, s10
	v_max3_f32 v70, v70, v71, v72
	v_cmp_gt_i32_e64 s11, s17, v88
	v_or_b32_e32 v76, 28, v68
	v_or_b32_e32 v77, 30, v68
	v_mul_f32_e32 v98, s18, v104
	v_cndmask_b32_e64 v72, 0xff7fffff, v95, s12
	v_cndmask_b32_e64 v71, 0xff7fffff, v96, s11
	v_max3_f32 v70, v70, v78, v79
	v_cmp_gt_i32_e64 s13, s17, v90
	v_cmp_gt_i32_e64 s15, s17, v91
	v_mul_f32_e32 v68, s18, v106
	v_cmp_gt_i32_e64 s16, s17, v76
	v_max3_f32 v70, v70, v71, v72
	v_cndmask_b32_e64 v78, 0xff7fffff, v98, s13
	v_cndmask_b32_e64 v79, 0xff7fffff, v97, s15
	v_cmp_gt_i32_e64 s17, s17, v77
	v_cndmask_b32_e64 v68, 0xff7fffff, v68, s16
	s_delay_alu instid0(VALU_DEP_3) | instskip(NEXT) | instid1(VALU_DEP_3)
	v_max3_f32 v70, v70, v78, v79
	v_cndmask_b32_e64 v71, 0xff7fffff, v99, s17
	s_delay_alu instid0(VALU_DEP_1) | instskip(SKIP_3) | instid1(VALU_DEP_1)
	v_max3_f32 v68, v70, v68, v71
	ds_bpermute_b32 v69, v89, v68
	s_waitcnt lgkmcnt(0)
	v_max_f32_e32 v69, v69, v69
	v_max_f32_e32 v68, v68, v69
	s_delay_alu instid0(VALU_DEP_1) | instskip(NEXT) | instid1(VALU_DEP_1)
	v_fma_f32 v71, s18, v126, -v68
	v_mul_f32_e32 v71, 0x3fb8aa3b, v71
	s_delay_alu instid0(VALU_DEP_1) | instskip(SKIP_3) | instid1(VALU_DEP_1)
	v_exp_f32_e32 v71, v71
	s_waitcnt_depctr 0xfff
	v_cndmask_b32_e64 v83, 0, v71, s3
	v_fma_f32 v71, s18, v131, -v68
	v_mul_f32_e32 v71, 0x3fb8aa3b, v71
	v_fma_f32 v69, s18, v124, -v68
	v_fma_f32 v76, s18, v128, -v68
	;; [unrolled: 1-line block ×4, first 2 shown]
	v_exp_f32_e32 v71, v71
	v_mul_f32_e32 v69, 0x3fb8aa3b, v69
	v_mul_f32_e32 v77, 0x3fb8aa3b, v76
	v_fma_f32 v81, s18, v105, -v68
	v_fma_f32 v78, s18, v130, -v68
	s_delay_alu instid0(VALU_DEP_4) | instskip(NEXT) | instid1(VALU_DEP_3)
	v_exp_f32_e32 v69, v69
	v_exp_f32_e32 v77, v77
	s_delay_alu instid0(VALU_DEP_2) | instskip(NEXT) | instid1(TRANS32_DEP_3)
	v_mul_f32_e32 v81, 0x3fb8aa3b, v81
	v_cndmask_b32_e64 v88, 0, v71, s8
	v_fma_f32 v71, s18, v104, -v68
	s_delay_alu instid0(VALU_DEP_3) | instskip(NEXT) | instid1(TRANS32_DEP_3)
	v_exp_f32_e32 v81, v81
	v_cndmask_b32_e64 v80, 0, v69, s2
	v_fma_f32 v69, s18, v129, -v68
	v_mul_f32_e32 v70, 0x3fb8aa3b, v70
	s_delay_alu instid0(TRANS32_DEP_2)
	v_cndmask_b32_e64 v86, 0, v77, s5
	v_mul_f32_e32 v72, 0x3fb8aa3b, v72
	v_fma_f32 v77, s18, v101, -v68
	v_mul_f32_e32 v69, 0x3fb8aa3b, v69
	v_exp_f32_e32 v70, v70
	v_mul_f32_e32 v71, 0x3fb8aa3b, v71
	v_exp_f32_e32 v72, v72
	v_mul_f32_e32 v77, 0x3fb8aa3b, v77
	v_exp_f32_e32 v69, v69
	v_cmp_gt_u32_e64 s2, 16, v67
	v_exp_f32_e32 v82, v71
	s_delay_alu instid0(VALU_DEP_2) | instskip(SKIP_4) | instid1(TRANS32_DEP_3)
	v_exp_f32_e32 v77, v77
	v_cndmask_b32_e32 v76, 0, v70, vcc_lo
	v_add_f32_e32 v70, 0, v80
	v_cndmask_b32_e64 v85, 0, v72, s4
	v_fma_f32 v72, s18, v100, -v68
	v_cndmask_b32_e64 v87, 0, v69, s6
	s_delay_alu instid0(VALU_DEP_4) | instskip(NEXT) | instid1(VALU_DEP_3)
	v_add_f32_e32 v70, v70, v76
	v_mul_f32_e32 v72, 0x3fb8aa3b, v72
	s_delay_alu instid0(VALU_DEP_2) | instskip(NEXT) | instid1(VALU_DEP_2)
	v_add_f32_e32 v70, v70, v83
	v_exp_f32_e32 v72, v72
	s_delay_alu instid0(VALU_DEP_1) | instskip(NEXT) | instid1(VALU_DEP_1)
	v_add_f32_e32 v70, v70, v85
	v_add_f32_e32 v69, v70, v86
	v_fma_f32 v70, s18, v102, -v68
	s_delay_alu instid0(VALU_DEP_2) | instskip(NEXT) | instid1(VALU_DEP_2)
	v_dual_add_f32 v69, v69, v87 :: v_dual_mul_f32 v78, 0x3fb8aa3b, v78
	v_mul_f32_e32 v70, 0x3fb8aa3b, v70
	s_delay_alu instid0(VALU_DEP_2) | instskip(NEXT) | instid1(VALU_DEP_1)
	v_exp_f32_e32 v78, v78
	v_exp_f32_e32 v79, v70
	s_delay_alu instid0(TRANS32_DEP_3) | instskip(SKIP_4) | instid1(VALU_DEP_2)
	v_cndmask_b32_e64 v70, 0, v72, s9
	s_waitcnt_depctr 0xfff
	v_cndmask_b32_e64 v84, 0, v78, s7
	v_fma_f32 v78, s18, v103, -v68
	v_cndmask_b32_e64 v71, 0, v79, s11
	v_dual_add_f32 v69, v69, v84 :: v_dual_mul_f32 v78, 0x3fb8aa3b, v78
	s_delay_alu instid0(VALU_DEP_1) | instskip(NEXT) | instid1(VALU_DEP_2)
	v_add_f32_e32 v72, v69, v88
	v_exp_f32_e32 v78, v78
	v_cndmask_b32_e64 v69, 0, v77, s10
	v_fma_f32 v77, s18, v106, -v68
	s_delay_alu instid0(VALU_DEP_1) | instskip(NEXT) | instid1(VALU_DEP_1)
	v_dual_add_f32 v72, v72, v70 :: v_dual_mul_f32 v77, 0x3fb8aa3b, v77
	v_add_f32_e32 v79, v72, v69
	s_waitcnt_depctr 0xfff
	v_cndmask_b32_e64 v72, 0, v78, s12
	v_exp_f32_e32 v90, v77
	v_cndmask_b32_e64 v77, 0, v82, s13
	v_add_f32_e32 v78, v79, v71
	v_fma_f32 v79, s18, v107, -v68
	s_delay_alu instid0(VALU_DEP_1) | instskip(SKIP_1) | instid1(VALU_DEP_2)
	v_dual_add_f32 v82, v78, v72 :: v_dual_mul_f32 v79, 0x3fb8aa3b, v79
	v_cndmask_b32_e64 v78, 0, v81, s15
	v_add_f32_e32 v81, v82, v77
	s_delay_alu instid0(VALU_DEP_3) | instskip(NEXT) | instid1(TRANS32_DEP_2)
	v_exp_f32_e32 v82, v79
	v_cndmask_b32_e64 v79, 0, v90, s16
	s_delay_alu instid0(VALU_DEP_2) | instskip(NEXT) | instid1(VALU_DEP_1)
	v_add_f32_e32 v81, v81, v78
	v_add_f32_e32 v90, v81, v79
	s_waitcnt_depctr 0xfff
	v_cndmask_b32_e64 v81, 0, v82, s17
	s_delay_alu instid0(VALU_DEP_1)
	v_add_f32_e32 v82, v90, v81
	ds_bpermute_b32 v89, v89, v82
	s_and_saveexec_b32 s3, s2
	s_cbranch_execz .LBB1872_12
; %bb.11:
	v_mul_u32_u24_e32 v67, 0x44, v66
	s_delay_alu instid0(VALU_DEP_1) | instskip(SKIP_1) | instid1(VALU_DEP_1)
	v_lshl_add_u32 v67, v65, 2, v67
	s_waitcnt lgkmcnt(0)
	v_dual_add_f32 v82, v82, v89 :: v_dual_add_nc_u32 v67, 0x4000, v67
	ds_store_2addr_b32 v67, v68, v82 offset1:136
.LBB1872_12:
	s_or_b32 exec_lo, exec_lo, s3
	v_lshlrev_b32_e32 v67, 2, v65
	s_waitcnt lgkmcnt(0)
	s_barrier
	buffer_gl0_inv
	v_cmp_eq_u32_e32 vcc_lo, 1, v66
	v_add_nc_u32_e32 v82, 0x4000, v67
	v_cmp_eq_u32_e64 s3, 2, v66
	v_cmp_eq_u32_e64 s5, 7, v66
	ds_load_2addr_b32 v[89:90], v82 offset1:17
	ds_load_2addr_b32 v[91:92], v82 offset0:34 offset1:51
	ds_load_2addr_b32 v[93:94], v82 offset0:68 offset1:85
	ds_load_2addr_b32 v[95:96], v82 offset0:102 offset1:119
	ds_load_2addr_b32 v[97:98], v82 offset0:136 offset1:153
	s_waitcnt lgkmcnt(4)
	v_max3_f32 v67, v89, 0xff7fffff, v90
	s_waitcnt lgkmcnt(3)
	s_delay_alu instid0(VALU_DEP_1) | instskip(SKIP_1) | instid1(VALU_DEP_1)
	v_max3_f32 v67, v67, v91, v92
	s_waitcnt lgkmcnt(2)
	v_max3_f32 v67, v67, v93, v94
	s_waitcnt lgkmcnt(1)
	s_delay_alu instid0(VALU_DEP_1) | instskip(NEXT) | instid1(VALU_DEP_1)
	v_max3_f32 v67, v67, v95, v96
	v_sub_f32_e32 v93, v93, v67
	s_delay_alu instid0(VALU_DEP_1) | instskip(NEXT) | instid1(VALU_DEP_1)
	v_dual_sub_f32 v68, v89, v67 :: v_dual_mul_f32 v103, 0x3fb8aa3b, v93
	v_mul_f32_e32 v68, 0x3fb8aa3b, v68
	s_delay_alu instid0(VALU_DEP_1)
	v_exp_f32_e32 v100, v68
	v_sub_f32_e32 v68, v92, v67
	v_sub_f32_e32 v99, v90, v67
	ds_load_2addr_b32 v[89:90], v82 offset0:170 offset1:187
	v_dual_mul_f32 v102, 0x3fb8aa3b, v68 :: v_dual_mul_f32 v99, 0x3fb8aa3b, v99
	s_waitcnt lgkmcnt(1)
	v_fma_f32 v68, v100, v97, 0
	s_delay_alu instid0(VALU_DEP_2) | instskip(NEXT) | instid1(VALU_DEP_2)
	v_exp_f32_e32 v102, v102
	v_exp_f32_e32 v99, v99
	s_waitcnt_depctr 0xfff
	v_fmac_f32_e32 v68, v99, v98
	v_sub_f32_e32 v91, v91, v67
	s_delay_alu instid0(VALU_DEP_1)
	v_mul_f32_e32 v101, 0x3fb8aa3b, v91
	ds_load_2addr_b32 v[91:92], v82 offset0:204 offset1:221
	v_sub_f32_e32 v97, v94, v67
	ds_load_2addr_b32 v[93:94], v82 offset0:238 offset1:255
	s_waitcnt lgkmcnt(0)
	v_exp_f32_e32 v101, v101
	s_barrier
	buffer_gl0_inv
	v_dual_fmac_f32 v68, v101, v89 :: v_dual_sub_f32 v89, v96, v67
	v_dual_sub_f32 v82, v95, v67 :: v_dual_mul_f32 v95, 0x3fb8aa3b, v97
	v_exp_f32_e32 v97, v103
	s_delay_alu instid0(VALU_DEP_2) | instskip(NEXT) | instid1(VALU_DEP_2)
	v_dual_fmac_f32 v68, v102, v90 :: v_dual_mul_f32 v89, 0x3fb8aa3b, v89
	v_mul_f32_e32 v82, 0x3fb8aa3b, v82
	s_delay_alu instid0(VALU_DEP_3) | instskip(NEXT) | instid1(VALU_DEP_2)
	v_exp_f32_e32 v95, v95
	v_exp_f32_e32 v89, v89
	s_delay_alu instid0(VALU_DEP_1)
	v_exp_f32_e32 v82, v82
	v_fmac_f32_e32 v68, v97, v91
	s_delay_alu instid0(TRANS32_DEP_3) | instid1(VALU_DEP_1)
	v_fmac_f32_e32 v68, v95, v92
	s_waitcnt_depctr 0xfff
	v_fmac_f32_e32 v68, v82, v93
	s_delay_alu instid0(VALU_DEP_1) | instskip(NEXT) | instid1(VALU_DEP_1)
	v_fmac_f32_e32 v68, v89, v94
	v_add_f32_e32 v90, 0x358637bd, v68
	s_delay_alu instid0(VALU_DEP_1) | instskip(NEXT) | instid1(VALU_DEP_1)
	v_div_scale_f32 v91, null, v90, v90, 1.0
	v_rcp_f32_e32 v92, v91
	s_waitcnt_depctr 0xfff
	v_fma_f32 v93, -v91, v92, 1.0
	s_delay_alu instid0(VALU_DEP_1) | instskip(SKIP_1) | instid1(VALU_DEP_2)
	v_dual_fmac_f32 v92, v93, v92 :: v_dual_cndmask_b32 v93, v100, v99
	v_cmp_eq_u32_e32 vcc_lo, 3, v66
	v_cndmask_b32_e64 v93, v93, v101, s3
	v_cmp_eq_u32_e64 s3, 4, v66
	s_delay_alu instid0(VALU_DEP_2) | instskip(SKIP_1) | instid1(VALU_DEP_2)
	v_cndmask_b32_e32 v93, v93, v102, vcc_lo
	v_cmp_eq_u32_e32 vcc_lo, 5, v66
	v_cndmask_b32_e64 v93, v93, v97, s3
	v_cmp_eq_u32_e64 s3, 6, v66
	s_delay_alu instid0(VALU_DEP_2) | instskip(SKIP_1) | instid1(VALU_DEP_1)
	v_cndmask_b32_e32 v93, v93, v95, vcc_lo
	v_div_scale_f32 v94, s4, 1.0, v90, 1.0
	s_mov_b32 vcc_lo, s4
	s_delay_alu instid0(VALU_DEP_2) | instskip(NEXT) | instid1(VALU_DEP_2)
	v_cndmask_b32_e64 v82, v93, v82, s3
	v_mul_f32_e32 v96, v94, v92
	s_mov_b32 s3, exec_lo
	s_delay_alu instid0(VALU_DEP_2) | instskip(NEXT) | instid1(VALU_DEP_2)
	v_cndmask_b32_e64 v82, v82, v89, s5
	v_fma_f32 v98, -v91, v96, v94
	s_delay_alu instid0(VALU_DEP_1) | instskip(NEXT) | instid1(VALU_DEP_1)
	v_fmac_f32_e32 v96, v98, v92
	v_fma_f32 v91, -v91, v96, v94
	s_delay_alu instid0(VALU_DEP_1) | instskip(NEXT) | instid1(VALU_DEP_1)
	v_div_fmas_f32 v91, v91, v92, v96
	v_div_fixup_f32 v90, v91, v90, 1.0
	s_delay_alu instid0(VALU_DEP_1) | instskip(NEXT) | instid1(VALU_DEP_1)
	v_mul_f32_e32 v82, v82, v90
	v_mul_f32_e32 v87, v82, v87
	;; [unrolled: 1-line block ×7, first 2 shown]
	v_dual_mul_f32 v86, v82, v83 :: v_dual_and_b32 v91, 0x7f800000, v90
	v_mul_f32_e32 v85, v82, v76
                                        ; implicit-def: $vgpr76
	s_delay_alu instid0(VALU_DEP_2)
	v_cmpx_ne_u32_e32 0x7f800000, v91
	s_xor_b32 s3, exec_lo, s3
; %bb.13:
	v_bfe_u32 v76, v90, 16, 1
	s_delay_alu instid0(VALU_DEP_1)
	v_add3_u32 v76, v90, v76, 0x7fff
                                        ; implicit-def: $vgpr90
; %bb.14:
	s_and_not1_saveexec_b32 s3, s3
; %bb.15:
	v_and_b32_e32 v76, 0xffff, v90
	v_or_b32_e32 v83, 0x10000, v90
	s_delay_alu instid0(VALU_DEP_2) | instskip(NEXT) | instid1(VALU_DEP_2)
	v_cmp_eq_u32_e32 vcc_lo, 0, v76
	v_cndmask_b32_e32 v76, v83, v90, vcc_lo
; %bb.16:
	s_or_b32 exec_lo, exec_lo, s3
	v_and_b32_e32 v83, 0x7f800000, v85
	s_delay_alu instid0(VALU_DEP_1) | instskip(SKIP_1) | instid1(SALU_CYCLE_1)
	v_cmp_ne_u32_e32 vcc_lo, 0x7f800000, v83
                                        ; implicit-def: $vgpr83
	s_and_saveexec_b32 s3, vcc_lo
	s_xor_b32 s3, exec_lo, s3
; %bb.17:
	v_bfe_u32 v83, v85, 16, 1
	s_delay_alu instid0(VALU_DEP_1)
	v_add3_u32 v83, v85, v83, 0x7fff
                                        ; implicit-def: $vgpr85
; %bb.18:
	s_and_not1_saveexec_b32 s3, s3
; %bb.19:
	v_and_b32_e32 v83, 0xffff, v85
	v_or_b32_e32 v90, 0x10000, v85
	s_delay_alu instid0(VALU_DEP_2) | instskip(NEXT) | instid1(VALU_DEP_2)
	v_cmp_eq_u32_e32 vcc_lo, 0, v83
	v_cndmask_b32_e32 v83, v90, v85, vcc_lo
; %bb.20:
	s_or_b32 exec_lo, exec_lo, s3
	v_and_b32_e32 v85, 0x7f800000, v86
	s_delay_alu instid0(VALU_DEP_1) | instskip(SKIP_1) | instid1(SALU_CYCLE_1)
	v_cmp_ne_u32_e32 vcc_lo, 0x7f800000, v85
                                        ; implicit-def: $vgpr85
	s_and_saveexec_b32 s3, vcc_lo
	s_xor_b32 s3, exec_lo, s3
; %bb.21:
	v_bfe_u32 v85, v86, 16, 1
	s_delay_alu instid0(VALU_DEP_1)
	v_add3_u32 v85, v86, v85, 0x7fff
                                        ; implicit-def: $vgpr86
; %bb.22:
	s_and_not1_saveexec_b32 s3, s3
; %bb.23:
	v_and_b32_e32 v85, 0xffff, v86
	v_or_b32_e32 v90, 0x10000, v86
	s_delay_alu instid0(VALU_DEP_2) | instskip(NEXT) | instid1(VALU_DEP_2)
	v_cmp_eq_u32_e32 vcc_lo, 0, v85
	v_cndmask_b32_e32 v85, v90, v86, vcc_lo
; %bb.24:
	s_or_b32 exec_lo, exec_lo, s3
	v_and_b32_e32 v86, 0x7f800000, v89
	s_delay_alu instid0(VALU_DEP_1) | instskip(SKIP_1) | instid1(SALU_CYCLE_1)
	v_cmp_ne_u32_e32 vcc_lo, 0x7f800000, v86
                                        ; implicit-def: $vgpr86
	s_and_saveexec_b32 s3, vcc_lo
	s_xor_b32 s3, exec_lo, s3
; %bb.25:
	v_bfe_u32 v86, v89, 16, 1
	s_delay_alu instid0(VALU_DEP_1)
	v_add3_u32 v86, v89, v86, 0x7fff
                                        ; implicit-def: $vgpr89
; %bb.26:
	s_and_not1_saveexec_b32 s3, s3
; %bb.27:
	v_and_b32_e32 v86, 0xffff, v89
	v_or_b32_e32 v90, 0x10000, v89
	s_delay_alu instid0(VALU_DEP_2) | instskip(NEXT) | instid1(VALU_DEP_2)
	v_cmp_eq_u32_e32 vcc_lo, 0, v86
	v_cndmask_b32_e32 v86, v90, v89, vcc_lo
; %bb.28:
	s_or_b32 exec_lo, exec_lo, s3
	v_and_b32_e32 v89, 0x7f800000, v88
	s_delay_alu instid0(VALU_DEP_1) | instskip(SKIP_1) | instid1(SALU_CYCLE_1)
	v_cmp_ne_u32_e32 vcc_lo, 0x7f800000, v89
                                        ; implicit-def: $vgpr89
	s_and_saveexec_b32 s3, vcc_lo
	s_xor_b32 s3, exec_lo, s3
; %bb.29:
	v_bfe_u32 v89, v88, 16, 1
	s_delay_alu instid0(VALU_DEP_1)
	v_add3_u32 v89, v88, v89, 0x7fff
                                        ; implicit-def: $vgpr88
; %bb.30:
	s_and_not1_saveexec_b32 s3, s3
; %bb.31:
	v_and_b32_e32 v89, 0xffff, v88
	v_or_b32_e32 v90, 0x10000, v88
	s_delay_alu instid0(VALU_DEP_2) | instskip(NEXT) | instid1(VALU_DEP_2)
	v_cmp_eq_u32_e32 vcc_lo, 0, v89
	v_cndmask_b32_e32 v89, v90, v88, vcc_lo
; %bb.32:
	s_or_b32 exec_lo, exec_lo, s3
	v_and_b32_e32 v88, 0x7f800000, v87
	s_delay_alu instid0(VALU_DEP_1) | instskip(SKIP_1) | instid1(SALU_CYCLE_1)
	v_cmp_ne_u32_e32 vcc_lo, 0x7f800000, v88
                                        ; implicit-def: $vgpr88
	s_and_saveexec_b32 s3, vcc_lo
	s_xor_b32 s3, exec_lo, s3
; %bb.33:
	v_bfe_u32 v88, v87, 16, 1
	s_delay_alu instid0(VALU_DEP_1)
	v_add3_u32 v88, v87, v88, 0x7fff
                                        ; implicit-def: $vgpr87
; %bb.34:
	s_and_not1_saveexec_b32 s3, s3
; %bb.35:
	v_and_b32_e32 v88, 0xffff, v87
	v_or_b32_e32 v90, 0x10000, v87
	s_delay_alu instid0(VALU_DEP_2) | instskip(NEXT) | instid1(VALU_DEP_2)
	v_cmp_eq_u32_e32 vcc_lo, 0, v88
	v_cndmask_b32_e32 v88, v90, v87, vcc_lo
; %bb.36:
	s_or_b32 exec_lo, exec_lo, s3
	v_and_b32_e32 v87, 0x7f800000, v84
	s_delay_alu instid0(VALU_DEP_1) | instskip(SKIP_1) | instid1(SALU_CYCLE_1)
	v_cmp_ne_u32_e32 vcc_lo, 0x7f800000, v87
                                        ; implicit-def: $vgpr87
	s_and_saveexec_b32 s3, vcc_lo
	s_xor_b32 s3, exec_lo, s3
; %bb.37:
	v_bfe_u32 v87, v84, 16, 1
	s_delay_alu instid0(VALU_DEP_1)
	v_add3_u32 v87, v84, v87, 0x7fff
                                        ; implicit-def: $vgpr84
; %bb.38:
	s_and_not1_saveexec_b32 s3, s3
; %bb.39:
	v_and_b32_e32 v87, 0xffff, v84
	v_or_b32_e32 v90, 0x10000, v84
	s_delay_alu instid0(VALU_DEP_2) | instskip(NEXT) | instid1(VALU_DEP_2)
	v_cmp_eq_u32_e32 vcc_lo, 0, v87
	v_cndmask_b32_e32 v87, v90, v84, vcc_lo
; %bb.40:
	s_or_b32 exec_lo, exec_lo, s3
	v_and_b32_e32 v84, 0x7f800000, v80
	s_delay_alu instid0(VALU_DEP_1) | instskip(SKIP_1) | instid1(SALU_CYCLE_1)
	v_cmp_ne_u32_e32 vcc_lo, 0x7f800000, v84
                                        ; implicit-def: $vgpr84
	s_and_saveexec_b32 s3, vcc_lo
	s_xor_b32 s3, exec_lo, s3
; %bb.41:
	v_bfe_u32 v84, v80, 16, 1
	s_delay_alu instid0(VALU_DEP_1)
	v_add3_u32 v84, v80, v84, 0x7fff
                                        ; implicit-def: $vgpr80
; %bb.42:
	s_and_not1_saveexec_b32 s3, s3
; %bb.43:
	v_and_b32_e32 v84, 0xffff, v80
	v_or_b32_e32 v90, 0x10000, v80
	s_delay_alu instid0(VALU_DEP_2) | instskip(NEXT) | instid1(VALU_DEP_2)
	v_cmp_eq_u32_e32 vcc_lo, 0, v84
	v_cndmask_b32_e32 v84, v90, v80, vcc_lo
; %bb.44:
	s_or_b32 exec_lo, exec_lo, s3
	s_load_b64 s[34:35], s[0:1], 0x94
	v_lshlrev_b32_e32 v91, 4, v74
	s_delay_alu instid0(VALU_DEP_2)
	v_perm_b32 v90, v84, v87, 0x7060302
	v_dual_mul_f32 v79, v82, v79 :: v_dual_lshlrev_b32 v80, 6, v65
	v_dual_mul_f32 v77, v82, v77 :: v_dual_lshlrev_b32 v92, 11, v66
	v_mul_f32_e32 v84, v82, v70
	v_perm_b32 v89, v88, v89, 0x7060302
	v_perm_b32 v88, v86, v85, 0x7060302
	;; [unrolled: 1-line block ×3, first 2 shown]
	v_mul_f32_e32 v70, v82, v81
	v_or3_b32 v76, v91, v92, v80
	v_dual_mul_f32 v78, v82, v78 :: v_dual_and_b32 v85, 0x7f800000, v84
	v_mul_f32_e32 v83, v82, v72
	v_mul_f32_e32 v81, v82, v71
	;; [unrolled: 1-line block ×3, first 2 shown]
	s_mov_b32 s3, exec_lo
	ds_store_b128 v76, v[87:90]
                                        ; implicit-def: $vgpr69
	v_cmpx_ne_u32_e32 0x7f800000, v85
	s_xor_b32 s3, exec_lo, s3
; %bb.45:
	v_bfe_u32 v69, v84, 16, 1
	s_delay_alu instid0(VALU_DEP_1)
	v_add3_u32 v69, v84, v69, 0x7fff
                                        ; implicit-def: $vgpr84
; %bb.46:
	s_and_not1_saveexec_b32 s3, s3
; %bb.47:
	v_and_b32_e32 v69, 0xffff, v84
	v_or_b32_e32 v71, 0x10000, v84
	s_delay_alu instid0(VALU_DEP_2) | instskip(NEXT) | instid1(VALU_DEP_2)
	v_cmp_eq_u32_e32 vcc_lo, 0, v69
	v_cndmask_b32_e32 v69, v71, v84, vcc_lo
; %bb.48:
	s_or_b32 exec_lo, exec_lo, s3
	v_and_b32_e32 v71, 0x7f800000, v72
	s_delay_alu instid0(VALU_DEP_1) | instskip(SKIP_1) | instid1(SALU_CYCLE_1)
	v_cmp_ne_u32_e32 vcc_lo, 0x7f800000, v71
                                        ; implicit-def: $vgpr71
	s_and_saveexec_b32 s3, vcc_lo
	s_xor_b32 s3, exec_lo, s3
; %bb.49:
	v_bfe_u32 v71, v72, 16, 1
	s_delay_alu instid0(VALU_DEP_1)
	v_add3_u32 v71, v72, v71, 0x7fff
                                        ; implicit-def: $vgpr72
; %bb.50:
	s_and_not1_saveexec_b32 s3, s3
; %bb.51:
	v_and_b32_e32 v71, 0xffff, v72
	v_or_b32_e32 v82, 0x10000, v72
	s_delay_alu instid0(VALU_DEP_2) | instskip(NEXT) | instid1(VALU_DEP_2)
	v_cmp_eq_u32_e32 vcc_lo, 0, v71
	v_cndmask_b32_e32 v71, v82, v72, vcc_lo
; %bb.52:
	s_or_b32 exec_lo, exec_lo, s3
	v_and_b32_e32 v72, 0x7f800000, v81
	s_delay_alu instid0(VALU_DEP_1) | instskip(SKIP_1) | instid1(SALU_CYCLE_1)
	v_cmp_ne_u32_e32 vcc_lo, 0x7f800000, v72
                                        ; implicit-def: $vgpr72
	s_and_saveexec_b32 s3, vcc_lo
	s_xor_b32 s3, exec_lo, s3
; %bb.53:
	v_bfe_u32 v72, v81, 16, 1
	s_delay_alu instid0(VALU_DEP_1)
	v_add3_u32 v72, v81, v72, 0x7fff
                                        ; implicit-def: $vgpr81
; %bb.54:
	s_and_not1_saveexec_b32 s3, s3
; %bb.55:
	v_and_b32_e32 v72, 0xffff, v81
	v_or_b32_e32 v82, 0x10000, v81
	s_delay_alu instid0(VALU_DEP_2) | instskip(NEXT) | instid1(VALU_DEP_2)
	v_cmp_eq_u32_e32 vcc_lo, 0, v72
	v_cndmask_b32_e32 v72, v82, v81, vcc_lo
; %bb.56:
	s_or_b32 exec_lo, exec_lo, s3
	v_and_b32_e32 v81, 0x7f800000, v83
	s_delay_alu instid0(VALU_DEP_1) | instskip(SKIP_1) | instid1(SALU_CYCLE_1)
	v_cmp_ne_u32_e32 vcc_lo, 0x7f800000, v81
                                        ; implicit-def: $vgpr81
	s_and_saveexec_b32 s3, vcc_lo
	s_xor_b32 s3, exec_lo, s3
; %bb.57:
	v_bfe_u32 v81, v83, 16, 1
	s_delay_alu instid0(VALU_DEP_1)
	v_add3_u32 v81, v83, v81, 0x7fff
                                        ; implicit-def: $vgpr83
; %bb.58:
	s_and_not1_saveexec_b32 s3, s3
; %bb.59:
	v_and_b32_e32 v81, 0xffff, v83
	v_or_b32_e32 v82, 0x10000, v83
	s_delay_alu instid0(VALU_DEP_2) | instskip(NEXT) | instid1(VALU_DEP_2)
	v_cmp_eq_u32_e32 vcc_lo, 0, v81
	v_cndmask_b32_e32 v81, v82, v83, vcc_lo
; %bb.60:
	s_or_b32 exec_lo, exec_lo, s3
	v_and_b32_e32 v82, 0x7f800000, v77
	s_delay_alu instid0(VALU_DEP_1) | instskip(SKIP_1) | instid1(SALU_CYCLE_1)
	v_cmp_ne_u32_e32 vcc_lo, 0x7f800000, v82
                                        ; implicit-def: $vgpr82
	s_and_saveexec_b32 s3, vcc_lo
	s_xor_b32 s3, exec_lo, s3
; %bb.61:
	v_bfe_u32 v82, v77, 16, 1
	s_delay_alu instid0(VALU_DEP_1)
	v_add3_u32 v82, v77, v82, 0x7fff
                                        ; implicit-def: $vgpr77
; %bb.62:
	s_and_not1_saveexec_b32 s3, s3
; %bb.63:
	v_and_b32_e32 v82, 0xffff, v77
	v_or_b32_e32 v83, 0x10000, v77
	s_delay_alu instid0(VALU_DEP_2) | instskip(NEXT) | instid1(VALU_DEP_2)
	v_cmp_eq_u32_e32 vcc_lo, 0, v82
	v_cndmask_b32_e32 v82, v83, v77, vcc_lo
; %bb.64:
	s_or_b32 exec_lo, exec_lo, s3
	v_and_b32_e32 v77, 0x7f800000, v78
	s_delay_alu instid0(VALU_DEP_1) | instskip(SKIP_1) | instid1(SALU_CYCLE_1)
	v_cmp_ne_u32_e32 vcc_lo, 0x7f800000, v77
                                        ; implicit-def: $vgpr77
	s_and_saveexec_b32 s3, vcc_lo
	s_xor_b32 s3, exec_lo, s3
; %bb.65:
	v_bfe_u32 v77, v78, 16, 1
	s_delay_alu instid0(VALU_DEP_1)
	v_add3_u32 v77, v78, v77, 0x7fff
                                        ; implicit-def: $vgpr78
; %bb.66:
	s_and_not1_saveexec_b32 s3, s3
; %bb.67:
	v_and_b32_e32 v77, 0xffff, v78
	v_or_b32_e32 v83, 0x10000, v78
	s_delay_alu instid0(VALU_DEP_2) | instskip(NEXT) | instid1(VALU_DEP_2)
	v_cmp_eq_u32_e32 vcc_lo, 0, v77
	v_cndmask_b32_e32 v77, v83, v78, vcc_lo
; %bb.68:
	s_or_b32 exec_lo, exec_lo, s3
	v_and_b32_e32 v78, 0x7f800000, v79
	s_delay_alu instid0(VALU_DEP_1) | instskip(SKIP_1) | instid1(SALU_CYCLE_1)
	v_cmp_ne_u32_e32 vcc_lo, 0x7f800000, v78
                                        ; implicit-def: $vgpr78
	s_and_saveexec_b32 s3, vcc_lo
	s_xor_b32 s3, exec_lo, s3
; %bb.69:
	v_bfe_u32 v78, v79, 16, 1
	s_delay_alu instid0(VALU_DEP_1)
	v_add3_u32 v78, v79, v78, 0x7fff
                                        ; implicit-def: $vgpr79
; %bb.70:
	s_and_not1_saveexec_b32 s3, s3
; %bb.71:
	v_and_b32_e32 v78, 0xffff, v79
	v_or_b32_e32 v83, 0x10000, v79
	s_delay_alu instid0(VALU_DEP_2) | instskip(NEXT) | instid1(VALU_DEP_2)
	v_cmp_eq_u32_e32 vcc_lo, 0, v78
	v_cndmask_b32_e32 v78, v83, v79, vcc_lo
; %bb.72:
	s_or_b32 exec_lo, exec_lo, s3
	v_and_b32_e32 v79, 0x7f800000, v70
	s_delay_alu instid0(VALU_DEP_1) | instskip(SKIP_1) | instid1(SALU_CYCLE_1)
	v_cmp_ne_u32_e32 vcc_lo, 0x7f800000, v79
                                        ; implicit-def: $vgpr79
	s_and_saveexec_b32 s3, vcc_lo
	s_xor_b32 s3, exec_lo, s3
; %bb.73:
	v_bfe_u32 v79, v70, 16, 1
	s_delay_alu instid0(VALU_DEP_1)
	v_add3_u32 v79, v70, v79, 0x7fff
                                        ; implicit-def: $vgpr70
; %bb.74:
	s_and_not1_saveexec_b32 s3, s3
; %bb.75:
	v_and_b32_e32 v79, 0xffff, v70
	v_or_b32_e32 v83, 0x10000, v70
	s_delay_alu instid0(VALU_DEP_2) | instskip(NEXT) | instid1(VALU_DEP_2)
	v_cmp_eq_u32_e32 vcc_lo, 0, v79
	v_cndmask_b32_e32 v79, v83, v70, vcc_lo
; %bb.76:
	s_or_b32 exec_lo, exec_lo, s3
	s_delay_alu instid0(VALU_DEP_1)
	v_perm_b32 v86, v79, v78, 0x7060302
	v_perm_b32 v85, v77, v82, 0x7060302
	;; [unrolled: 1-line block ×4, first 2 shown]
	v_lshl_or_b32 v82, v66, 11, v80
	ds_store_b128 v76, v[83:86] offset:1024
	s_waitcnt lgkmcnt(0)
	s_barrier
	buffer_gl0_inv
	ds_load_b128 v[69:72], v82
	ds_load_b128 v[83:86], v82 offset:16
	s_waitcnt lgkmcnt(1)
	v_lshrrev_b32_e32 v66, 16, v69
	s_waitcnt lgkmcnt(0)
	v_lshrrev_b32_e32 v91, 16, v83
	v_lshlrev_b32_e32 v78, 2, v74
	v_lshrrev_b32_e32 v95, 16, v70
	v_lshrrev_b32_e32 v98, 16, v84
	;; [unrolled: 1-line block ×4, first 2 shown]
	v_cmp_eq_u32_e32 vcc_lo, 1, v78
	v_lshrrev_b32_e32 v97, 16, v72
	v_lshrrev_b32_e32 v100, 16, v86
	v_cndmask_b32_e32 v87, v83, v91, vcc_lo
	v_or_b32_e32 v79, 1, v78
	v_cndmask_b32_e32 v81, v69, v66, vcc_lo
	v_cmp_eq_u32_e64 s4, 2, v78
	v_cmp_eq_u32_e64 s7, 3, v78
	;; [unrolled: 1-line block ×5, first 2 shown]
	v_cndmask_b32_e64 v81, v81, v70, s4
	v_cndmask_b32_e64 v87, v87, v84, s4
	v_cmp_eq_u32_e64 s8, 3, v79
	v_cndmask_b32_e64 v88, v69, v66, s3
	v_or_b32_e32 v77, 2, v78
	v_cndmask_b32_e64 v81, v81, v95, s7
	v_cndmask_b32_e64 v87, v87, v98, s7
	v_cndmask_b32_e64 v89, v83, v91, s3
	v_cndmask_b32_e64 v88, v88, v70, s6
	v_cmp_eq_u32_e64 s10, 5, v78
	v_cndmask_b32_e64 v81, v81, v71, s9
	v_cndmask_b32_e64 v87, v87, v85, s9
	v_cmp_eq_u32_e64 s11, 4, v79
	v_cndmask_b32_e64 v88, v88, v95, s8
	v_cmp_eq_u32_e64 s5, 1, v77
	v_cndmask_b32_e64 v89, v89, v84, s6
	v_cndmask_b32_e64 v81, v81, v96, s10
	v_cmp_eq_u32_e64 s12, 6, v78
	v_cndmask_b32_e64 v88, v88, v71, s11
	;; [unrolled: 3-line block ×3, first 2 shown]
	v_cndmask_b32_e64 v89, v89, v98, s8
	v_cndmask_b32_e64 v81, v81, v72, s12
	v_cmp_eq_u32_e64 s15, 7, v78
	v_cndmask_b32_e64 v88, v88, v96, s13
	v_cndmask_b32_e64 v87, v87, v86, s12
	v_cmp_eq_u32_e64 s16, 6, v79
	v_cmp_eq_u32_e64 s17, 2, v77
	v_cndmask_b32_e64 v89, v89, v85, s11
	v_cndmask_b32_e64 v101, v81, v97, s15
	;; [unrolled: 1-line block ×6, first 2 shown]
	v_cmp_eq_u32_e64 s18, 7, v79
	v_cmp_eq_u32_e64 s19, 3, v77
	;; [unrolled: 1-line block ×4, first 2 shown]
	v_cndmask_b32_e64 v87, v87, v84, s17
	v_cndmask_b32_e64 v103, v88, v97, s18
	;; [unrolled: 1-line block ×4, first 2 shown]
	v_or_b32_e32 v81, 3, v78
	v_cndmask_b32_e64 v93, v87, v98, s19
	v_cmp_eq_u32_e64 s24, 6, v77
	v_cndmask_b32_e64 v104, v88, v86, s16
	v_cndmask_b32_e64 v92, v89, v71, s20
	v_cmp_eq_u32_e64 s21, 1, v81
	ds_load_b128 v[87:90], v82 offset:1024
	v_cmp_eq_u32_e64 s23, 2, v81
	v_cmp_eq_u32_e64 s25, 3, v81
	v_cndmask_b32_e64 v105, v92, v96, s22
	v_cndmask_b32_e64 v66, v69, v66, s21
	;; [unrolled: 1-line block ×4, first 2 shown]
	ds_load_b128 v[91:94], v82 offset:1040
	v_cmp_eq_u32_e64 s26, 4, v81
	v_cndmask_b32_e64 v66, v66, v70, s23
	v_cmp_eq_u32_e64 s27, 7, v77
	v_cndmask_b32_e64 v70, v83, v84, s23
	v_cndmask_b32_e64 v84, v105, v72, s24
	v_cmp_eq_u32_e64 s28, 5, v81
	v_cndmask_b32_e64 v66, v66, v95, s25
	v_cmp_eq_u32_e64 s29, 6, v81
	v_cndmask_b32_e64 v70, v70, v98, s25
	v_cndmask_b32_e64 v69, v69, v99, s22
	;; [unrolled: 1-line block ×4, first 2 shown]
	s_waitcnt lgkmcnt(1)
	v_lshrrev_b32_e32 v95, 16, v87
	v_cndmask_b32_e64 v70, v70, v85, s26
	v_cndmask_b32_e64 v71, v84, v97, s27
	;; [unrolled: 1-line block ×4, first 2 shown]
	v_cndmask_b32_e32 v84, v87, v95, vcc_lo
	v_cndmask_b32_e64 v70, v70, v99, s28
	s_waitcnt lgkmcnt(0)
	v_lshrrev_b32_e32 v85, 16, v91
	v_lshrrev_b32_e32 v96, 16, v88
	v_cndmask_b32_e64 v98, v87, v95, s3
	v_cndmask_b32_e64 v84, v84, v88, s4
	;; [unrolled: 1-line block ×3, first 2 shown]
	v_cndmask_b32_e32 v99, v91, v85, vcc_lo
	v_cmp_eq_u32_e32 vcc_lo, 7, v81
	v_cndmask_b32_e64 v66, v66, v72, s29
	v_cndmask_b32_e64 v72, v84, v96, s7
	;; [unrolled: 1-line block ×3, first 2 shown]
	v_lshrrev_b32_e32 v98, 16, v92
	v_cndmask_b32_e32 v70, v70, v100, vcc_lo
	v_cndmask_b32_e64 v86, v99, v92, s4
	v_cndmask_b32_e64 v69, v69, v100, s27
	v_lshrrev_b32_e32 v100, 16, v93
	v_cndmask_b32_e64 v72, v72, v89, s9
	v_lshrrev_b32_e32 v99, 16, v89
	v_cndmask_b32_e64 v86, v86, v98, s7
	v_perm_b32 v71, v69, v71, 0x5040100
	v_cndmask_b32_e64 v84, v84, v96, s8
	s_delay_alu instid0(VALU_DEP_3) | instskip(NEXT) | instid1(VALU_DEP_2)
	v_cndmask_b32_e64 v86, v86, v93, s9
	v_cndmask_b32_e64 v84, v84, v89, s11
	s_delay_alu instid0(VALU_DEP_2) | instskip(NEXT) | instid1(VALU_DEP_1)
	v_cndmask_b32_e64 v86, v86, v100, s10
	v_cndmask_b32_e64 v69, v86, v94, s12
	;; [unrolled: 1-line block ×5, first 2 shown]
	s_delay_alu instid0(VALU_DEP_3) | instskip(NEXT) | instid1(VALU_DEP_3)
	v_cndmask_b32_e64 v86, v86, v88, s17
	v_cndmask_b32_e64 v87, v87, v88, s23
	s_delay_alu instid0(VALU_DEP_3) | instskip(NEXT) | instid1(VALU_DEP_3)
	v_cndmask_b32_e64 v88, v95, v92, s23
	v_cndmask_b32_e64 v86, v86, v96, s19
	s_delay_alu instid0(VALU_DEP_3) | instskip(NEXT) | instid1(VALU_DEP_3)
	v_cndmask_b32_e64 v87, v87, v96, s25
	v_cndmask_b32_e64 v88, v88, v98, s25
	s_delay_alu instid0(VALU_DEP_3) | instskip(NEXT) | instid1(VALU_DEP_3)
	v_cndmask_b32_e64 v86, v86, v89, s20
	v_cndmask_b32_e64 v87, v87, v89, s26
	s_delay_alu instid0(VALU_DEP_3) | instskip(NEXT) | instid1(VALU_DEP_3)
	v_cndmask_b32_e64 v88, v88, v93, s26
	v_cndmask_b32_e64 v86, v86, v99, s22
	s_delay_alu instid0(VALU_DEP_3) | instskip(NEXT) | instid1(VALU_DEP_3)
	v_cndmask_b32_e64 v87, v87, v99, s28
	v_cndmask_b32_e64 v88, v88, v100, s28
	s_delay_alu instid0(VALU_DEP_3) | instskip(NEXT) | instid1(VALU_DEP_3)
	v_cndmask_b32_e64 v86, v86, v90, s24
	v_cndmask_b32_e64 v87, v87, v90, s29
	s_delay_alu instid0(VALU_DEP_3) | instskip(SKIP_2) | instid1(VALU_DEP_2)
	v_cndmask_b32_e64 v88, v88, v94, s29
	v_cndmask_b32_e32 v66, v66, v97, vcc_lo
	v_cndmask_b32_e64 v97, v72, v99, s10
	v_perm_b32 v72, v70, v66, 0x5040100
	v_perm_b32 v70, v83, v103, 0x5040100
	v_cndmask_b32_e64 v103, v91, v85, s5
	v_cndmask_b32_e64 v85, v91, v85, s3
	v_cndmask_b32_e64 v66, v84, v99, s13
	v_cndmask_b32_e64 v84, v97, v90, s12
	v_lshrrev_b32_e32 v97, 16, v90
	v_cndmask_b32_e64 v91, v103, v92, s17
	v_cndmask_b32_e64 v85, v85, v92, s6
	;; [unrolled: 1-line block ×3, first 2 shown]
	s_mov_b32 s3, exec_lo
	v_cndmask_b32_e64 v83, v84, v97, s15
	v_cndmask_b32_e64 v91, v91, v98, s19
	;; [unrolled: 1-line block ×3, first 2 shown]
	v_lshrrev_b32_e32 v84, 16, v94
	v_cndmask_b32_e64 v66, v66, v97, s18
	v_cndmask_b32_e64 v90, v86, v97, s27
	;; [unrolled: 1-line block ×4, first 2 shown]
	v_dual_cndmask_b32 v86, v87, v97 :: v_dual_cndmask_b32 v87, v88, v84
	v_cndmask_b32_e64 v91, v69, v84, s15
	s_delay_alu instid0(VALU_DEP_4) | instskip(NEXT) | instid1(VALU_DEP_4)
	v_cndmask_b32_e64 v89, v89, v100, s22
	v_cndmask_b32_e64 v85, v85, v100, s13
	v_perm_b32 v69, v102, v101, 0x5040100
	v_perm_b32 v86, v87, v86, 0x5040100
	;; [unrolled: 1-line block ×3, first 2 shown]
	v_cndmask_b32_e64 v89, v89, v94, s24
	v_cndmask_b32_e64 v85, v85, v94, s16
	s_mul_i32 s8, s35, 3
	s_delay_alu instid0(VALU_DEP_2) | instskip(NEXT) | instid1(VALU_DEP_2)
	v_cndmask_b32_e64 v88, v89, v84, s27
	v_cndmask_b32_e64 v89, v85, v84, s18
	s_delay_alu instid0(VALU_DEP_2) | instskip(NEXT) | instid1(VALU_DEP_2)
	v_perm_b32 v85, v88, v90, 0x5040100
	v_perm_b32 v84, v89, v66, 0x5040100
	ds_store_b128 v76, v[69:72]
	ds_store_b128 v76, v[83:86] offset:1024
	v_cmpx_gt_u32_e32 3, v0
	s_cbranch_execz .LBB1872_78
; %bb.77:
	s_mul_i32 s4, s8, s30
	s_delay_alu instid0(SALU_CYCLE_1) | instskip(SKIP_1) | instid1(VALU_DEP_1)
	v_add3_u32 v69, s4, s31, v65
	s_load_b128 s[4:7], s[0:1], 0x58
	v_mad_u64_u32 v[65:66], null, v69, s34, s[14:15]
	s_delay_alu instid0(VALU_DEP_1) | instskip(NEXT) | instid1(VALU_DEP_1)
	v_ashrrev_i32_e32 v66, 31, v65
	v_lshlrev_b64 v[65:66], 2, v[65:66]
	s_waitcnt lgkmcnt(0)
	s_delay_alu instid0(VALU_DEP_1) | instskip(NEXT) | instid1(VALU_DEP_2)
	v_add_co_u32 v69, vcc_lo, s6, v65
	v_add_co_ci_u32_e32 v70, vcc_lo, s7, v66, vcc_lo
	v_add_co_u32 v65, vcc_lo, s4, v65
	v_add_co_ci_u32_e32 v66, vcc_lo, s5, v66, vcc_lo
	global_store_b32 v[69:70], v67, off
	global_store_b32 v[65:66], v68, off
.LBB1872_78:
	s_or_b32 exec_lo, exec_lo, s3
	s_waitcnt lgkmcnt(0)
	s_waitcnt_vscnt null, 0x0
	s_barrier
	buffer_gl0_inv
	ds_load_b128 v[83:86], v80
	ds_load_b128 v[87:90], v80 offset:16
	ds_load_b128 v[95:98], v80 offset:2064
	;; [unrolled: 1-line block ×3, first 2 shown]
	v_mov_b32_e32 v65, 0
	ds_load_b128 v[103:106], v80 offset:4112
	ds_load_b128 v[99:102], v80 offset:4096
	;; [unrolled: 1-line block ×4, first 2 shown]
	v_mov_b32_e32 v66, v65
	v_mov_b32_e32 v67, v65
	;; [unrolled: 1-line block ×7, first 2 shown]
	s_waitcnt lgkmcnt(6)
	s_delay_alu instid0(VALU_DEP_1)
	v_wmma_f32_16x16x16_bf16 v[65:72], v[41:48], v[83:90], v[65:72]
	ds_load_b128 v[45:48], v80 offset:8208
	ds_load_b128 v[41:44], v80 offset:8192
	s_waitcnt lgkmcnt(6)
	v_wmma_f32_16x16x16_bf16 v[65:72], v[33:40], v[91:98], v[65:72]
	ds_load_b128 v[37:40], v80 offset:10256
	ds_load_b128 v[33:36], v80 offset:10240
	s_waitcnt lgkmcnt(6)
	;; [unrolled: 4-line block ×4, first 2 shown]
	v_wmma_f32_16x16x16_bf16 v[65:72], v[1:8], v[41:48], v[65:72]
	s_waitcnt lgkmcnt(4)
	s_delay_alu instid0(VALU_DEP_1) | instskip(SKIP_1) | instid1(VALU_DEP_1)
	v_wmma_f32_16x16x16_bf16 v[65:72], v[9:16], v[33:40], v[65:72]
	s_waitcnt lgkmcnt(2)
	v_wmma_f32_16x16x16_bf16 v[65:72], v[57:64], v[25:32], v[65:72]
	s_waitcnt lgkmcnt(0)
	s_delay_alu instid0(VALU_DEP_1) | instskip(NEXT) | instid1(VALU_DEP_1)
	v_wmma_f32_16x16x16_bf16 v[65:72], v[49:56], v[17:24], v[65:72]
	v_and_b32_e32 v1, 0x7f800000, v65
	s_delay_alu instid0(VALU_DEP_1) | instskip(SKIP_1) | instid1(SALU_CYCLE_1)
	v_cmp_ne_u32_e32 vcc_lo, 0x7f800000, v1
                                        ; implicit-def: $vgpr1
	s_and_saveexec_b32 s3, vcc_lo
	s_xor_b32 s3, exec_lo, s3
; %bb.79:
	v_bfe_u32 v1, v65, 16, 1
	s_delay_alu instid0(VALU_DEP_1)
	v_add3_u32 v1, v65, v1, 0x7fff
; %bb.80:
	s_and_not1_saveexec_b32 s3, s3
; %bb.81:
	v_and_b32_e32 v1, 0xffff, v65
	v_or_b32_e32 v2, 0x10000, v65
	s_delay_alu instid0(VALU_DEP_2) | instskip(NEXT) | instid1(VALU_DEP_2)
	v_cmp_eq_u32_e32 vcc_lo, 0, v1
	v_cndmask_b32_e32 v1, v2, v65, vcc_lo
; %bb.82:
	s_or_b32 exec_lo, exec_lo, s3
	v_and_b32_e32 v2, 0x7f800000, v66
	s_delay_alu instid0(VALU_DEP_1) | instskip(SKIP_1) | instid1(SALU_CYCLE_1)
	v_cmp_ne_u32_e32 vcc_lo, 0x7f800000, v2
                                        ; implicit-def: $vgpr2
	s_and_saveexec_b32 s3, vcc_lo
	s_xor_b32 s3, exec_lo, s3
; %bb.83:
	v_bfe_u32 v2, v66, 16, 1
	s_delay_alu instid0(VALU_DEP_1)
	v_add3_u32 v2, v66, v2, 0x7fff
; %bb.84:
	s_and_not1_saveexec_b32 s3, s3
; %bb.85:
	v_and_b32_e32 v2, 0xffff, v66
	v_or_b32_e32 v3, 0x10000, v66
	s_delay_alu instid0(VALU_DEP_2) | instskip(NEXT) | instid1(VALU_DEP_2)
	v_cmp_eq_u32_e32 vcc_lo, 0, v2
	v_cndmask_b32_e32 v2, v3, v66, vcc_lo
; %bb.86:
	s_or_b32 exec_lo, exec_lo, s3
	v_and_b32_e32 v3, 0x7f800000, v67
	s_delay_alu instid0(VALU_DEP_1) | instskip(SKIP_1) | instid1(SALU_CYCLE_1)
	v_cmp_ne_u32_e32 vcc_lo, 0x7f800000, v3
                                        ; implicit-def: $vgpr3
	s_and_saveexec_b32 s3, vcc_lo
	s_xor_b32 s3, exec_lo, s3
; %bb.87:
	v_bfe_u32 v3, v67, 16, 1
	s_delay_alu instid0(VALU_DEP_1)
	v_add3_u32 v3, v67, v3, 0x7fff
; %bb.88:
	s_and_not1_saveexec_b32 s3, s3
; %bb.89:
	v_and_b32_e32 v3, 0xffff, v67
	v_or_b32_e32 v4, 0x10000, v67
	s_delay_alu instid0(VALU_DEP_2) | instskip(NEXT) | instid1(VALU_DEP_2)
	v_cmp_eq_u32_e32 vcc_lo, 0, v3
	v_cndmask_b32_e32 v3, v4, v67, vcc_lo
; %bb.90:
	s_or_b32 exec_lo, exec_lo, s3
	v_and_b32_e32 v4, 0x7f800000, v68
	s_delay_alu instid0(VALU_DEP_1) | instskip(SKIP_1) | instid1(SALU_CYCLE_1)
	v_cmp_ne_u32_e32 vcc_lo, 0x7f800000, v4
                                        ; implicit-def: $vgpr4
	s_and_saveexec_b32 s3, vcc_lo
	s_xor_b32 s3, exec_lo, s3
; %bb.91:
	v_bfe_u32 v4, v68, 16, 1
	s_delay_alu instid0(VALU_DEP_1)
	v_add3_u32 v4, v68, v4, 0x7fff
; %bb.92:
	s_and_not1_saveexec_b32 s3, s3
; %bb.93:
	v_and_b32_e32 v4, 0xffff, v68
	v_or_b32_e32 v5, 0x10000, v68
	s_delay_alu instid0(VALU_DEP_2) | instskip(NEXT) | instid1(VALU_DEP_2)
	v_cmp_eq_u32_e32 vcc_lo, 0, v4
	v_cndmask_b32_e32 v4, v5, v68, vcc_lo
; %bb.94:
	s_or_b32 exec_lo, exec_lo, s3
	v_and_b32_e32 v5, 0x7f800000, v69
	s_delay_alu instid0(VALU_DEP_1) | instskip(SKIP_1) | instid1(SALU_CYCLE_1)
	v_cmp_ne_u32_e32 vcc_lo, 0x7f800000, v5
                                        ; implicit-def: $vgpr5
	s_and_saveexec_b32 s3, vcc_lo
	s_xor_b32 s3, exec_lo, s3
; %bb.95:
	v_bfe_u32 v5, v69, 16, 1
	s_delay_alu instid0(VALU_DEP_1)
	v_add3_u32 v5, v69, v5, 0x7fff
; %bb.96:
	s_and_not1_saveexec_b32 s3, s3
; %bb.97:
	v_and_b32_e32 v5, 0xffff, v69
	v_or_b32_e32 v6, 0x10000, v69
	s_delay_alu instid0(VALU_DEP_2) | instskip(NEXT) | instid1(VALU_DEP_2)
	v_cmp_eq_u32_e32 vcc_lo, 0, v5
	v_cndmask_b32_e32 v5, v6, v69, vcc_lo
; %bb.98:
	s_or_b32 exec_lo, exec_lo, s3
	v_and_b32_e32 v6, 0x7f800000, v70
	s_delay_alu instid0(VALU_DEP_1) | instskip(SKIP_1) | instid1(SALU_CYCLE_1)
	v_cmp_ne_u32_e32 vcc_lo, 0x7f800000, v6
                                        ; implicit-def: $vgpr6
	s_and_saveexec_b32 s3, vcc_lo
	s_xor_b32 s3, exec_lo, s3
; %bb.99:
	v_bfe_u32 v6, v70, 16, 1
	s_delay_alu instid0(VALU_DEP_1)
	v_add3_u32 v6, v70, v6, 0x7fff
; %bb.100:
	s_and_not1_saveexec_b32 s3, s3
; %bb.101:
	v_and_b32_e32 v6, 0xffff, v70
	v_or_b32_e32 v7, 0x10000, v70
	s_delay_alu instid0(VALU_DEP_2) | instskip(NEXT) | instid1(VALU_DEP_2)
	v_cmp_eq_u32_e32 vcc_lo, 0, v6
	v_cndmask_b32_e32 v6, v7, v70, vcc_lo
; %bb.102:
	s_or_b32 exec_lo, exec_lo, s3
	v_and_b32_e32 v7, 0x7f800000, v71
	s_delay_alu instid0(VALU_DEP_1) | instskip(SKIP_1) | instid1(SALU_CYCLE_1)
	v_cmp_ne_u32_e32 vcc_lo, 0x7f800000, v7
                                        ; implicit-def: $vgpr7
	s_and_saveexec_b32 s3, vcc_lo
	s_xor_b32 s3, exec_lo, s3
; %bb.103:
	v_bfe_u32 v7, v71, 16, 1
	s_delay_alu instid0(VALU_DEP_1)
	v_add3_u32 v7, v71, v7, 0x7fff
; %bb.104:
	s_and_not1_saveexec_b32 s3, s3
; %bb.105:
	v_and_b32_e32 v7, 0xffff, v71
	v_or_b32_e32 v8, 0x10000, v71
	s_delay_alu instid0(VALU_DEP_2) | instskip(NEXT) | instid1(VALU_DEP_2)
	v_cmp_eq_u32_e32 vcc_lo, 0, v7
	v_cndmask_b32_e32 v7, v8, v71, vcc_lo
; %bb.106:
	s_or_b32 exec_lo, exec_lo, s3
	v_and_b32_e32 v8, 0x7f800000, v72
	s_delay_alu instid0(VALU_DEP_1) | instskip(SKIP_1) | instid1(SALU_CYCLE_1)
	v_cmp_ne_u32_e32 vcc_lo, 0x7f800000, v8
                                        ; implicit-def: $vgpr8
	s_and_saveexec_b32 s3, vcc_lo
	s_xor_b32 s3, exec_lo, s3
; %bb.107:
	v_bfe_u32 v8, v72, 16, 1
	s_delay_alu instid0(VALU_DEP_1)
	v_add3_u32 v8, v72, v8, 0x7fff
                                        ; implicit-def: $vgpr65_vgpr66_vgpr67_vgpr68_vgpr69_vgpr70_vgpr71_vgpr72
; %bb.108:
	s_and_not1_saveexec_b32 s3, s3
; %bb.109:
	v_and_b32_e32 v8, 0xffff, v72
	v_or_b32_e32 v9, 0x10000, v72
	s_delay_alu instid0(VALU_DEP_2) | instskip(NEXT) | instid1(VALU_DEP_2)
	v_cmp_eq_u32_e32 vcc_lo, 0, v8
	v_cndmask_b32_e32 v8, v9, v72, vcc_lo
; %bb.110:
	s_or_b32 exec_lo, exec_lo, s3
	s_delay_alu instid0(VALU_DEP_1)
	v_perm_b32 v7, v8, v7, 0x7060302
	v_perm_b32 v6, v6, v5, 0x7060302
	;; [unrolled: 1-line block ×4, first 2 shown]
	s_barrier
	buffer_gl0_inv
	v_cmp_eq_u32_e32 vcc_lo, 1, v78
	ds_store_b128 v76, v[4:7]
	s_waitcnt lgkmcnt(0)
	s_barrier
	buffer_gl0_inv
	ds_load_b128 v[1:4], v82
	ds_load_b128 v[5:8], v82 offset:16
	v_cmp_eq_u32_e64 s3, 1, v79
	v_cmp_eq_u32_e64 s4, 2, v78
	;; [unrolled: 1-line block ×5, first 2 shown]
	s_waitcnt lgkmcnt(1)
	v_lshrrev_b32_e32 v9, 16, v1
	s_waitcnt lgkmcnt(0)
	v_lshrrev_b32_e32 v13, 16, v5
	v_lshrrev_b32_e32 v10, 16, v2
	;; [unrolled: 1-line block ×4, first 2 shown]
	v_cndmask_b32_e64 v19, v1, v9, s3
	v_cndmask_b32_e32 v18, v5, v13, vcc_lo
	v_cndmask_b32_e64 v20, v5, v13, s3
	v_cndmask_b32_e32 v17, v1, v9, vcc_lo
	v_cmp_eq_u32_e32 vcc_lo, 2, v79
	v_lshrrev_b32_e32 v15, 16, v7
	v_cmp_eq_u32_e64 s3, 1, v77
	v_lshrrev_b32_e32 v12, 16, v4
	v_lshrrev_b32_e32 v16, 16, v8
	v_cndmask_b32_e32 v20, v20, v6, vcc_lo
	v_cndmask_b32_e64 v17, v17, v2, s4
	v_cndmask_b32_e32 v19, v19, v2, vcc_lo
	v_cndmask_b32_e64 v18, v18, v6, s4
	v_cmp_eq_u32_e32 vcc_lo, 4, v78
	v_cmp_eq_u32_e64 s4, 3, v79
	v_cndmask_b32_e64 v17, v17, v10, s5
	v_cndmask_b32_e64 v21, v1, v9, s3
	;; [unrolled: 1-line block ×5, first 2 shown]
	v_cndmask_b32_e32 v17, v17, v3, vcc_lo
	v_cndmask_b32_e64 v20, v20, v14, s4
	v_cndmask_b32_e32 v18, v18, v7, vcc_lo
	v_cmp_eq_u32_e32 vcc_lo, 4, v79
	v_cmp_eq_u32_e64 s4, 5, v79
	v_cmp_eq_u32_e64 s3, 2, v81
	v_cndmask_b32_e64 v21, v21, v2, s7
	v_cmp_eq_u32_e64 s5, 5, v78
	v_cndmask_b32_e32 v19, v19, v3, vcc_lo
	v_cndmask_b32_e32 v20, v20, v7, vcc_lo
	v_cmp_eq_u32_e32 vcc_lo, 6, v79
	s_delay_alu instid0(VALU_DEP_4) | instskip(NEXT) | instid1(VALU_DEP_4)
	v_cndmask_b32_e64 v17, v17, v11, s5
	v_cndmask_b32_e64 v19, v19, v11, s4
	s_delay_alu instid0(VALU_DEP_4) | instskip(SKIP_1) | instid1(VALU_DEP_3)
	v_cndmask_b32_e64 v20, v20, v15, s4
	v_cmp_eq_u32_e64 s4, 1, v81
	v_cndmask_b32_e32 v19, v19, v4, vcc_lo
	v_cndmask_b32_e64 v18, v18, v15, s5
	s_delay_alu instid0(VALU_DEP_3)
	v_cndmask_b32_e64 v1, v1, v9, s4
	v_cndmask_b32_e64 v5, v5, v13, s4
	v_cmp_eq_u32_e64 s4, 3, v77
	v_cndmask_b32_e64 v13, v22, v6, s7
	v_cmp_eq_u32_e64 s7, 3, v81
	v_cndmask_b32_e64 v1, v1, v2, s3
	v_cndmask_b32_e64 v2, v5, v6, s3
	;; [unrolled: 1-line block ×3, first 2 shown]
	v_cmp_eq_u32_e64 s3, 4, v77
	v_cndmask_b32_e64 v6, v13, v14, s4
	v_cndmask_b32_e64 v1, v1, v10, s7
	v_cmp_eq_u32_e64 s4, 4, v81
	v_cndmask_b32_e64 v2, v2, v14, s7
	v_cndmask_b32_e64 v5, v9, v3, s3
	;; [unrolled: 3-line block ×3, first 2 shown]
	v_cndmask_b32_e64 v2, v2, v7, s4
	v_cmp_eq_u32_e64 s3, 5, v81
	v_cmp_eq_u32_e64 s5, 6, v78
	v_cndmask_b32_e64 v5, v5, v11, s7
	v_cmp_eq_u32_e64 s4, 6, v77
	v_cndmask_b32_e64 v3, v6, v15, s7
	v_cndmask_b32_e64 v1, v1, v11, s3
	v_cmp_eq_u32_e64 s7, 6, v81
	v_cndmask_b32_e64 v2, v2, v15, s3
	v_cndmask_b32_e64 v17, v17, v4, s5
	v_cndmask_b32_e64 v18, v18, v8, s5
	v_cmp_eq_u32_e64 s5, 7, v78
	v_cndmask_b32_e64 v5, v5, v4, s4
	;; [unrolled: 4-line block ×3, first 2 shown]
	v_cmp_eq_u32_e64 s4, 7, v77
	v_cndmask_b32_e32 v4, v20, v8, vcc_lo
	v_cndmask_b32_e64 v17, v17, v12, s5
	v_cndmask_b32_e64 v19, v19, v12, s6
	;; [unrolled: 1-line block ×8, first 2 shown]
	s_mov_b32 s3, exec_lo
	v_perm_b32 v4, v2, v1, 0x5040100
	v_perm_b32 v3, v3, v5, 0x5040100
	;; [unrolled: 1-line block ×4, first 2 shown]
	ds_store_b128 v76, v[1:4]
	s_waitcnt lgkmcnt(0)
	s_barrier
	buffer_gl0_inv
	v_cmpx_gt_u32_e32 32, v0
	s_cbranch_execz .LBB1872_2
; %bb.111:
	s_load_b64 s[4:5], s[0:1], 0x68
	v_lshlrev_b32_e32 v0, 10, v0
	v_lshlrev_b32_e32 v2, 4, v75
	v_add_nc_u32_e32 v1, s31, v74
	s_lshl_b32 s0, s34, 7
	s_delay_alu instid0(SALU_CYCLE_1) | instskip(NEXT) | instid1(VALU_DEP_2)
	s_mul_i32 s1, s0, s30
	v_and_or_b32 v0, 0x3800, v0, v2
	s_mul_i32 s6, s1, s8
	v_mul_lo_u32 v1, v1, s0
	s_ashr_i32 s7, s6, 31
	s_delay_alu instid0(VALU_DEP_2) | instskip(SKIP_1) | instid1(VALU_DEP_2)
	v_lshl_or_b32 v3, v74, 6, v0
	s_lshl_b64 s[6:7], s[6:7], 1
	v_ashrrev_i32_e32 v2, 31, v1
	ds_load_b128 v[3:6], v3
	s_waitcnt lgkmcnt(0)
	s_add_u32 s1, s4, s6
	s_addc_u32 s3, s5, s7
	s_lshl_b32 s4, s14, 7
	v_lshlrev_b64 v[7:8], 1, v[1:2]
	s_ashr_i32 s5, s4, 31
	s_delay_alu instid0(SALU_CYCLE_1) | instskip(NEXT) | instid1(SALU_CYCLE_1)
	s_lshl_b64 s[4:5], s[4:5], 1
	s_add_u32 s1, s1, s4
	s_addc_u32 s3, s3, s5
	v_add_co_u32 v1, s1, s1, v73
	s_delay_alu instid0(VALU_DEP_1) | instskip(NEXT) | instid1(VALU_DEP_2)
	v_add_co_ci_u32_e64 v2, null, s3, 0, s1
	v_add_co_u32 v7, vcc_lo, v1, v7
	s_delay_alu instid0(VALU_DEP_2)
	v_add_co_ci_u32_e32 v8, vcc_lo, v2, v8, vcc_lo
	global_store_b128 v[7:8], v[3:6], off
	s_and_b32 exec_lo, exec_lo, s2
	s_cbranch_execz .LBB1872_2
; %bb.112:
	ds_load_b128 v[3:6], v0 offset:128
	s_add_i32 s1, s31, 2
	s_delay_alu instid0(SALU_CYCLE_1) | instskip(NEXT) | instid1(SALU_CYCLE_1)
	s_mul_i32 s0, s1, s0
	s_ashr_i32 s1, s0, 31
	s_delay_alu instid0(SALU_CYCLE_1) | instskip(NEXT) | instid1(SALU_CYCLE_1)
	s_lshl_b64 s[0:1], s[0:1], 1
	v_add_co_u32 v0, vcc_lo, v1, s0
	v_add_co_ci_u32_e32 v1, vcc_lo, s1, v2, vcc_lo
	s_waitcnt lgkmcnt(0)
	global_store_b128 v[0:1], v[3:6], off
	s_nop 0
	s_sendmsg sendmsg(MSG_DEALLOC_VGPRS)
	s_endpgm
	.section	.rodata,"a",@progbits
	.p2align	6, 0x0
	.amdhsa_kernel _Z39paged_attention_ll4mi_QKV_mfma16_kernelI14__hip_bfloat16hLN4vllm18Fp8KVCacheDataTypeE1EhLi32ELi128ELi256ELb1ELi3EL8MFMAType0EEvPKT_PKT0_S9_ifPKiSB_SB_iPKfiiiPfSE_PS4_PT2_iSD_SD_
		.amdhsa_group_segment_fixed_size 17472
		.amdhsa_private_segment_fixed_size 0
		.amdhsa_kernarg_size 400
		.amdhsa_user_sgpr_count 13
		.amdhsa_user_sgpr_dispatch_ptr 0
		.amdhsa_user_sgpr_queue_ptr 0
		.amdhsa_user_sgpr_kernarg_segment_ptr 1
		.amdhsa_user_sgpr_dispatch_id 0
		.amdhsa_user_sgpr_private_segment_size 0
		.amdhsa_wavefront_size32 1
		.amdhsa_uses_dynamic_stack 0
		.amdhsa_enable_private_segment 0
		.amdhsa_system_sgpr_workgroup_id_x 1
		.amdhsa_system_sgpr_workgroup_id_y 1
		.amdhsa_system_sgpr_workgroup_id_z 1
		.amdhsa_system_sgpr_workgroup_info 0
		.amdhsa_system_vgpr_workitem_id 0
		.amdhsa_next_free_vgpr 140
		.amdhsa_next_free_sgpr 36
		.amdhsa_reserve_vcc 1
		.amdhsa_float_round_mode_32 0
		.amdhsa_float_round_mode_16_64 0
		.amdhsa_float_denorm_mode_32 3
		.amdhsa_float_denorm_mode_16_64 3
		.amdhsa_dx10_clamp 1
		.amdhsa_ieee_mode 1
		.amdhsa_fp16_overflow 0
		.amdhsa_workgroup_processor_mode 1
		.amdhsa_memory_ordered 1
		.amdhsa_forward_progress 0
		.amdhsa_shared_vgpr_count 0
		.amdhsa_exception_fp_ieee_invalid_op 0
		.amdhsa_exception_fp_denorm_src 0
		.amdhsa_exception_fp_ieee_div_zero 0
		.amdhsa_exception_fp_ieee_overflow 0
		.amdhsa_exception_fp_ieee_underflow 0
		.amdhsa_exception_fp_ieee_inexact 0
		.amdhsa_exception_int_div_zero 0
	.end_amdhsa_kernel
	.section	.text._Z39paged_attention_ll4mi_QKV_mfma16_kernelI14__hip_bfloat16hLN4vllm18Fp8KVCacheDataTypeE1EhLi32ELi128ELi256ELb1ELi3EL8MFMAType0EEvPKT_PKT0_S9_ifPKiSB_SB_iPKfiiiPfSE_PS4_PT2_iSD_SD_,"axG",@progbits,_Z39paged_attention_ll4mi_QKV_mfma16_kernelI14__hip_bfloat16hLN4vllm18Fp8KVCacheDataTypeE1EhLi32ELi128ELi256ELb1ELi3EL8MFMAType0EEvPKT_PKT0_S9_ifPKiSB_SB_iPKfiiiPfSE_PS4_PT2_iSD_SD_,comdat
.Lfunc_end1872:
	.size	_Z39paged_attention_ll4mi_QKV_mfma16_kernelI14__hip_bfloat16hLN4vllm18Fp8KVCacheDataTypeE1EhLi32ELi128ELi256ELb1ELi3EL8MFMAType0EEvPKT_PKT0_S9_ifPKiSB_SB_iPKfiiiPfSE_PS4_PT2_iSD_SD_, .Lfunc_end1872-_Z39paged_attention_ll4mi_QKV_mfma16_kernelI14__hip_bfloat16hLN4vllm18Fp8KVCacheDataTypeE1EhLi32ELi128ELi256ELb1ELi3EL8MFMAType0EEvPKT_PKT0_S9_ifPKiSB_SB_iPKfiiiPfSE_PS4_PT2_iSD_SD_
                                        ; -- End function
	.section	.AMDGPU.csdata,"",@progbits
; Kernel info:
; codeLenInByte = 8860
; NumSgprs: 38
; NumVgprs: 140
; ScratchSize: 0
; MemoryBound: 0
; FloatMode: 240
; IeeeMode: 1
; LDSByteSize: 17472 bytes/workgroup (compile time only)
; SGPRBlocks: 4
; VGPRBlocks: 17
; NumSGPRsForWavesPerEU: 38
; NumVGPRsForWavesPerEU: 140
; Occupancy: 10
; WaveLimiterHint : 1
; COMPUTE_PGM_RSRC2:SCRATCH_EN: 0
; COMPUTE_PGM_RSRC2:USER_SGPR: 13
; COMPUTE_PGM_RSRC2:TRAP_HANDLER: 0
; COMPUTE_PGM_RSRC2:TGID_X_EN: 1
; COMPUTE_PGM_RSRC2:TGID_Y_EN: 1
; COMPUTE_PGM_RSRC2:TGID_Z_EN: 1
; COMPUTE_PGM_RSRC2:TIDIG_COMP_CNT: 0
	.section	.text._Z39paged_attention_ll4mi_QKV_mfma16_kernelI14__hip_bfloat16hLN4vllm18Fp8KVCacheDataTypeE1EhLi32ELi128ELi256ELb1ELi4EL8MFMAType0EEvPKT_PKT0_S9_ifPKiSB_SB_iPKfiiiPfSE_PS4_PT2_iSD_SD_,"axG",@progbits,_Z39paged_attention_ll4mi_QKV_mfma16_kernelI14__hip_bfloat16hLN4vllm18Fp8KVCacheDataTypeE1EhLi32ELi128ELi256ELb1ELi4EL8MFMAType0EEvPKT_PKT0_S9_ifPKiSB_SB_iPKfiiiPfSE_PS4_PT2_iSD_SD_,comdat
	.protected	_Z39paged_attention_ll4mi_QKV_mfma16_kernelI14__hip_bfloat16hLN4vllm18Fp8KVCacheDataTypeE1EhLi32ELi128ELi256ELb1ELi4EL8MFMAType0EEvPKT_PKT0_S9_ifPKiSB_SB_iPKfiiiPfSE_PS4_PT2_iSD_SD_ ; -- Begin function _Z39paged_attention_ll4mi_QKV_mfma16_kernelI14__hip_bfloat16hLN4vllm18Fp8KVCacheDataTypeE1EhLi32ELi128ELi256ELb1ELi4EL8MFMAType0EEvPKT_PKT0_S9_ifPKiSB_SB_iPKfiiiPfSE_PS4_PT2_iSD_SD_
	.globl	_Z39paged_attention_ll4mi_QKV_mfma16_kernelI14__hip_bfloat16hLN4vllm18Fp8KVCacheDataTypeE1EhLi32ELi128ELi256ELb1ELi4EL8MFMAType0EEvPKT_PKT0_S9_ifPKiSB_SB_iPKfiiiPfSE_PS4_PT2_iSD_SD_
	.p2align	8
	.type	_Z39paged_attention_ll4mi_QKV_mfma16_kernelI14__hip_bfloat16hLN4vllm18Fp8KVCacheDataTypeE1EhLi32ELi128ELi256ELb1ELi4EL8MFMAType0EEvPKT_PKT0_S9_ifPKiSB_SB_iPKfiiiPfSE_PS4_PT2_iSD_SD_,@function
_Z39paged_attention_ll4mi_QKV_mfma16_kernelI14__hip_bfloat16hLN4vllm18Fp8KVCacheDataTypeE1EhLi32ELi128ELi256ELb1ELi4EL8MFMAType0EEvPKT_PKT0_S9_ifPKiSB_SB_iPKfiiiPfSE_PS4_PT2_iSD_SD_: ; @_Z39paged_attention_ll4mi_QKV_mfma16_kernelI14__hip_bfloat16hLN4vllm18Fp8KVCacheDataTypeE1EhLi32ELi128ELi256ELb1ELi4EL8MFMAType0EEvPKT_PKT0_S9_ifPKiSB_SB_iPKfiiiPfSE_PS4_PT2_iSD_SD_
; %bb.0:
	s_load_b64 s[4:5], s[0:1], 0x30
	s_mov_b32 s30, s13
	s_waitcnt lgkmcnt(0)
	s_cmp_lg_u64 s[4:5], 0
	s_cselect_b32 s13, -1, 0
	s_ashr_i32 s31, s30, 31
	s_cmp_eq_u64 s[4:5], 0
	s_cbranch_scc1 .LBB1873_3
; %bb.1:
	s_lshl_b64 s[2:3], s[30:31], 2
	s_delay_alu instid0(SALU_CYCLE_1) | instskip(SKIP_4) | instid1(SALU_CYCLE_1)
	s_add_u32 s2, s4, s2
	s_addc_u32 s3, s5, s3
	s_load_b64 s[2:3], s[2:3], 0x0
	s_waitcnt lgkmcnt(0)
	s_sub_i32 s2, s3, s2
	s_cmp_eq_u32 s2, 1
	s_cselect_b32 s2, -1, 0
	s_delay_alu instid0(SALU_CYCLE_1)
	s_and_not1_b32 vcc_lo, exec_lo, s2
	s_cbranch_vccz .LBB1873_4
.LBB1873_2:
	s_endpgm
.LBB1873_3:
.LBB1873_4:
	s_load_b64 s[2:3], s[0:1], 0x28
	s_lshl_b64 s[6:7], s[30:31], 2
	s_waitcnt lgkmcnt(0)
	s_add_u32 s2, s2, s6
	s_addc_u32 s3, s3, s7
	s_lshl_b32 s12, s14, 8
	s_load_b32 s17, s[2:3], 0x0
	s_waitcnt lgkmcnt(0)
	s_cmp_ge_i32 s12, s17
	s_cbranch_scc1 .LBB1873_2
; %bb.5:
	s_clause 0x1
	s_load_b128 s[8:11], s[0:1], 0x8
	s_load_b64 s[2:3], s[0:1], 0x20
	s_and_not1_b32 vcc_lo, exec_lo, s13
	s_cbranch_vccnz .LBB1873_7
; %bb.6:
	s_add_u32 s4, s4, s6
	s_addc_u32 s5, s5, s7
	s_load_b32 s13, s[4:5], 0x0
	s_branch .LBB1873_8
.LBB1873_7:
	s_mov_b32 s13, s30
.LBB1873_8:
	s_load_b128 s[4:7], s[0:1], 0x48
	v_and_b32_e32 v66, 15, v0
	v_lshrrev_b32_e32 v65, 5, v0
	v_and_b32_e32 v67, 31, v0
	v_and_b32_e32 v75, 1, v0
	v_bfe_u32 v74, v0, 4, 1
	v_lshlrev_b32_e32 v1, 3, v66
	s_lshl_b32 s29, s15, 2
	s_waitcnt lgkmcnt(0)
	s_mov_b32 s7, exec_lo
	s_delay_alu instid0(VALU_DEP_1)
	v_lshlrev_b32_e32 v73, 1, v1
	v_cmpx_gt_u32_e32 64, v0
	s_cbranch_execz .LBB1873_10
; %bb.9:
	v_lshl_or_b32 v5, v65, 1, v74
	s_load_b64 s[18:19], s[0:1], 0x0
	s_mul_hi_i32 s21, s13, s4
	s_mul_i32 s20, s13, s4
	v_lshlrev_b32_e32 v6, 10, v66
	v_or_b32_e32 v1, s29, v5
	s_lshl_b64 s[20:21], s[20:21], 1
	v_lshlrev_b32_e32 v5, 6, v5
	v_lshlrev_b32_e32 v7, 10, v75
	v_and_b32_e32 v6, 0x3800, v6
	v_lshlrev_b32_e32 v1, 7, v1
	s_delay_alu instid0(VALU_DEP_2) | instskip(NEXT) | instid1(VALU_DEP_2)
	v_or3_b32 v5, v6, v7, v5
	v_ashrrev_i32_e32 v2, 31, v1
	s_delay_alu instid0(VALU_DEP_1) | instskip(SKIP_3) | instid1(VALU_DEP_1)
	v_lshlrev_b64 v[1:2], 1, v[1:2]
	s_waitcnt lgkmcnt(0)
	s_add_u32 s4, s18, s20
	s_addc_u32 s13, s19, s21
	v_add_co_u32 v1, vcc_lo, s4, v1
	s_delay_alu instid0(VALU_DEP_2) | instskip(NEXT) | instid1(VALU_DEP_2)
	v_add_co_ci_u32_e32 v2, vcc_lo, s13, v2, vcc_lo
	v_add_co_u32 v1, vcc_lo, v1, v73
	s_delay_alu instid0(VALU_DEP_2)
	v_add_co_ci_u32_e32 v2, vcc_lo, 0, v2, vcc_lo
	global_load_b128 v[1:4], v[1:2], off
	s_waitcnt vmcnt(0)
	ds_store_b128 v5, v[1:4]
.LBB1873_10:
	s_or_b32 exec_lo, exec_lo, s7
	v_and_b32_e32 v1, 0xef, v0
	s_add_i32 s4, s17, 31
	s_clause 0x1
	s_load_b32 s7, s[0:1], 0x38
	s_load_b32 s18, s[0:1], 0x1c
	s_ashr_i32 s13, s4, 31
	v_add_nc_u32_e32 v1, s12, v1
	s_lshr_b32 s13, s13, 27
	s_waitcnt lgkmcnt(0)
	s_add_i32 s4, s4, s13
	s_barrier
	v_ashrrev_i32_e32 v2, 31, v1
	v_or_b32_e32 v3, 16, v1
	s_ashr_i32 s4, s4, 5
	v_cmp_gt_i32_e32 vcc_lo, s17, v1
	s_add_i32 s4, s4, -1
	v_lshrrev_b32_e32 v2, 27, v2
	buffer_gl0_inv
	s_mul_i32 s15, s15, s6
	v_add_nc_u32_e32 v4, v1, v2
	s_mul_i32 s20, s30, s7
	s_delay_alu instid0(SALU_CYCLE_1) | instskip(NEXT) | instid1(VALU_DEP_1)
	s_ashr_i32 s21, s20, 31
	v_ashrrev_i32_e32 v4, 5, v4
	v_add_nc_u32_e32 v2, v3, v2
	s_lshl_b64 s[20:21], s[20:21], 2
	s_delay_alu instid0(SALU_CYCLE_1) | instskip(NEXT) | instid1(VALU_DEP_2)
	s_add_u32 s13, s2, s20
	v_cndmask_b32_e32 v1, s4, v4, vcc_lo
	s_delay_alu instid0(VALU_DEP_2)
	v_ashrrev_i32_e32 v2, 5, v2
	v_cmp_gt_i32_e32 vcc_lo, s17, v3
	s_addc_u32 s16, s3, s21
	s_ashr_i32 s19, s15, 31
	s_add_u32 s2, s8, s15
	s_addc_u32 s3, s9, s19
	v_cndmask_b32_e32 v3, s4, v2, vcc_lo
	v_ashrrev_i32_e32 v2, 31, v1
	s_lshl_b32 s6, s14, 3
	s_delay_alu instid0(SALU_CYCLE_1) | instskip(NEXT) | instid1(VALU_DEP_2)
	s_ashr_i32 s7, s6, 31
	v_ashrrev_i32_e32 v4, 31, v3
	s_delay_alu instid0(VALU_DEP_2) | instskip(SKIP_1) | instid1(SALU_CYCLE_1)
	v_lshlrev_b64 v[1:2], 2, v[1:2]
	s_lshl_b64 s[6:7], s[6:7], 2
	s_add_u32 s6, s13, s6
	s_delay_alu instid0(VALU_DEP_2) | instskip(SKIP_1) | instid1(VALU_DEP_2)
	v_lshlrev_b64 v[3:4], 2, v[3:4]
	s_addc_u32 s7, s16, s7
	v_add_co_u32 v1, vcc_lo, s13, v1
	v_add_co_ci_u32_e32 v2, vcc_lo, s16, v2, vcc_lo
	s_delay_alu instid0(VALU_DEP_3) | instskip(NEXT) | instid1(VALU_DEP_4)
	v_add_co_u32 v3, vcc_lo, s13, v3
	v_add_co_ci_u32_e32 v4, vcc_lo, s16, v4, vcc_lo
	s_clause 0x1
	global_load_b32 v5, v[1:2], off
	global_load_b32 v6, v[3:4], off
	s_or_b32 s8, s12, 32
	s_delay_alu instid0(SALU_CYCLE_1) | instskip(SKIP_2) | instid1(SALU_CYCLE_1)
	s_ashr_i32 s9, s8, 5
	s_cmp_lt_i32 s8, s17
	s_cselect_b32 s8, s9, s4
	s_ashr_i32 s9, s8, 31
	s_delay_alu instid0(SALU_CYCLE_1) | instskip(NEXT) | instid1(SALU_CYCLE_1)
	s_lshl_b64 s[8:9], s[8:9], 2
	s_add_u32 s8, s13, s8
	s_addc_u32 s9, s16, s9
	s_or_b32 s20, s12, 64
	s_delay_alu instid0(SALU_CYCLE_1) | instskip(SKIP_2) | instid1(SALU_CYCLE_1)
	s_ashr_i32 s21, s20, 5
	s_cmp_lt_i32 s20, s17
	s_cselect_b32 s20, s21, s4
	s_ashr_i32 s21, s20, 31
	s_delay_alu instid0(SALU_CYCLE_1) | instskip(NEXT) | instid1(SALU_CYCLE_1)
	s_lshl_b64 s[20:21], s[20:21], 2
	s_add_u32 s20, s13, s20
	s_addc_u32 s21, s16, s21
	;; [unrolled: 10-line block ×5, first 2 shown]
	s_clause 0x5
	s_load_b32 s28, s[6:7], 0x0
	s_load_b32 s8, s[8:9], 0x0
	;; [unrolled: 1-line block ×6, first 2 shown]
	s_mov_b32 s20, 0
	s_delay_alu instid0(SALU_CYCLE_1)
	s_mov_b32 s21, s20
	s_mov_b32 s22, s20
	;; [unrolled: 1-line block ×7, first 2 shown]
	s_delay_alu instid0(SALU_CYCLE_1)
	v_dual_mov_b32 v107, s27 :: v_dual_mov_b32 v106, s26
	v_dual_mov_b32 v104, s24 :: v_dual_mov_b32 v103, s23
	;; [unrolled: 1-line block ×4, first 2 shown]
	s_waitcnt vmcnt(1)
	v_mad_i64_i32 v[1:2], null, v5, s5, s[2:3]
	v_lshlrev_b32_e32 v5, 4, v66
	s_waitcnt vmcnt(0)
	v_mad_i64_i32 v[3:4], null, v6, s5, s[2:3]
	s_or_b32 s2, s12, 0xc0
	s_delay_alu instid0(SALU_CYCLE_1) | instskip(NEXT) | instid1(VALU_DEP_3)
	s_ashr_i32 s3, s2, 5
	v_add_co_u32 v33, vcc_lo, v1, v5
	s_delay_alu instid0(VALU_DEP_4) | instskip(NEXT) | instid1(VALU_DEP_3)
	v_add_co_ci_u32_e32 v34, vcc_lo, 0, v2, vcc_lo
	v_add_co_u32 v35, vcc_lo, v3, v5
	s_delay_alu instid0(VALU_DEP_4)
	v_add_co_ci_u32_e32 v36, vcc_lo, 0, v4, vcc_lo
	s_clause 0xf
	global_load_b128 v[1:4], v[33:34], off
	global_load_b128 v[5:8], v[33:34], off offset:512
	global_load_b128 v[9:12], v[35:36], off offset:256
	;; [unrolled: 1-line block ×15, first 2 shown]
	s_cmp_lt_i32 s2, s17
	v_and_b32_e32 v33, 3, v0
	s_cselect_b32 s2, s3, s4
	v_lshlrev_b32_e32 v34, 5, v66
	s_ashr_i32 s3, s2, 31
	s_delay_alu instid0(SALU_CYCLE_1)
	s_lshl_b64 s[2:3], s[2:3], 2
	v_lshlrev_b32_e32 v72, 6, v33
	s_add_u32 s2, s13, s2
	s_addc_u32 s3, s16, s3
	s_or_b32 s6, s12, 0xe0
	v_lshl_or_b32 v41, v65, 9, v34
	s_ashr_i32 s7, s6, 5
	s_cmp_lt_i32 s6, s17
	ds_load_b128 v[33:36], v72
	ds_load_b128 v[37:40], v72 offset:1024
	s_cselect_b32 s6, s7, s4
	ds_load_b128 v[108:111], v72 offset:2048
	ds_load_b128 v[112:115], v72 offset:3072
	s_ashr_i32 s7, s6, 31
	s_load_b32 s4, s[2:3], 0x0
	s_lshl_b64 s[6:7], s[6:7], 2
	ds_load_b128 v[116:119], v72 offset:4096
	ds_load_b128 v[120:123], v72 offset:5120
	s_add_u32 s2, s13, s6
	s_addc_u32 s3, s16, s7
	s_add_u32 s6, s10, s15
	s_load_b32 s2, s[2:3], 0x0
	s_addc_u32 s7, s11, s19
	v_add_co_u32 v68, s6, s6, v41
	s_delay_alu instid0(VALU_DEP_1) | instskip(SKIP_1) | instid1(VALU_DEP_1)
	v_add_co_ci_u32_e64 v69, null, s7, 0, s6
	s_waitcnt lgkmcnt(0)
	v_mad_i64_i32 v[41:42], null, s28, s5, v[68:69]
	v_mad_i64_i32 v[70:71], null, s9, s5, v[68:69]
	;; [unrolled: 1-line block ×7, first 2 shown]
	s_clause 0x3
	global_load_b128 v[49:52], v[41:42], off
	global_load_b128 v[53:56], v[41:42], off offset:16
	global_load_b128 v[41:44], v[45:46], off
	global_load_b128 v[45:48], v[45:46], off offset:16
	s_waitcnt vmcnt(18)
	v_wmma_f32_16x16x16_bf16 v[124:131], v[1:8], v[33:40], v[100:107]
	s_waitcnt vmcnt(16)
	v_wmma_f32_16x16x16_bf16 v[100:107], v[9:16], v[33:40], v[100:107]
	s_clause 0x1
	global_load_b128 v[33:36], v[70:71], off
	global_load_b128 v[37:40], v[70:71], off offset:16
	v_mad_i64_i32 v[70:71], null, s2, s5, v[68:69]
	s_waitcnt vmcnt(16)
	v_wmma_f32_16x16x16_bf16 v[124:131], v[17:24], v[108:115], v[124:131]
	s_waitcnt vmcnt(14)
	v_wmma_f32_16x16x16_bf16 v[100:107], v[25:32], v[108:115], v[100:107]
	s_clause 0x7
	global_load_b128 v[25:28], v[132:133], off
	global_load_b128 v[29:32], v[132:133], off offset:16
	global_load_b128 v[1:4], v[134:135], off
	global_load_b128 v[5:8], v[134:135], off offset:16
	;; [unrolled: 2-line block ×4, first 2 shown]
	s_waitcnt vmcnt(20)
	v_wmma_f32_16x16x16_bf16 v[124:131], v[57:64], v[116:123], v[124:131]
	s_clause 0x1
	global_load_b128 v[57:60], v[70:71], off
	global_load_b128 v[61:64], v[70:71], off offset:16
	s_waitcnt vmcnt(20)
	v_wmma_f32_16x16x16_bf16 v[100:107], v[76:83], v[116:123], v[100:107]
	ds_load_b128 v[76:79], v72 offset:6144
	ds_load_b128 v[80:83], v72 offset:7168
	v_and_b32_e32 v68, 0xe0, v0
	v_mbcnt_lo_u32_b32 v69, -1, 0
	s_waitcnt vmcnt(0) lgkmcnt(0)
	s_barrier
	buffer_gl0_inv
	v_add_nc_u32_e32 v68, s12, v68
	v_xor_b32_e32 v70, 16, v69
	s_delay_alu instid0(VALU_DEP_2) | instskip(NEXT) | instid1(VALU_DEP_2)
	v_or_b32_e32 v68, v68, v74
	v_cmp_gt_i32_e32 vcc_lo, 32, v70
	s_delay_alu instid0(VALU_DEP_2)
	v_or_b32_e32 v71, 4, v68
	v_or_b32_e32 v72, 6, v68
	v_cmp_gt_i32_e64 s2, s17, v68
	v_or_b32_e32 v108, 8, v68
	v_wmma_f32_16x16x16_bf16 v[124:131], v[84:91], v[76:83], v[124:131]
	v_cndmask_b32_e32 v69, v69, v70, vcc_lo
	v_or_b32_e32 v70, 2, v68
	v_wmma_f32_16x16x16_bf16 v[100:107], v[92:99], v[76:83], v[100:107]
	v_or_b32_e32 v109, 10, v68
	v_dual_mul_f32 v78, s18, v131 :: v_dual_mul_f32 v83, s18, v126
	v_dual_mul_f32 v92, s18, v125 :: v_dual_mul_f32 v93, s18, v124
	s_delay_alu instid0(VALU_DEP_4) | instskip(SKIP_2) | instid1(VALU_DEP_4)
	v_mul_f32_e32 v94, s18, v107
	v_cmp_gt_i32_e32 vcc_lo, s17, v70
	v_dual_mul_f32 v81, s18, v128 :: v_dual_mul_f32 v82, s18, v127
	v_cndmask_b32_e64 v93, 0xff7fffff, v93, s2
	v_cmp_gt_i32_e64 s3, s17, v71
	v_cndmask_b32_e32 v92, 0xff7fffff, v92, vcc_lo
	v_cmp_gt_i32_e64 s4, s17, v72
	v_or_b32_e32 v84, 12, v68
	v_or_b32_e32 v85, 14, v68
	v_dual_mul_f32 v79, s18, v130 :: v_dual_mul_f32 v80, s18, v129
	v_cndmask_b32_e64 v71, 0xff7fffff, v83, s3
	v_cndmask_b32_e64 v72, 0xff7fffff, v82, s4
	v_max3_f32 v82, v93, 0xff7fffff, v92
	v_cmp_gt_i32_e64 s5, s17, v108
	v_cmp_gt_i32_e64 s6, s17, v109
	v_or_b32_e32 v86, 16, v68
	v_or_b32_e32 v87, 18, v68
	v_max3_f32 v71, v82, v71, v72
	v_cndmask_b32_e64 v81, 0xff7fffff, v81, s5
	v_cndmask_b32_e64 v80, 0xff7fffff, v80, s6
	v_cmp_gt_i32_e64 s7, s17, v84
	v_cmp_gt_i32_e64 s8, s17, v85
	v_or_b32_e32 v88, 20, v68
	v_or_b32_e32 v89, 22, v68
	;; [unrolled: 1-line block ×6, first 2 shown]
	v_dual_mul_f32 v99, s18, v102 :: v_dual_mul_f32 v70, s18, v101
	v_mul_f32_e32 v68, s18, v100
	v_cndmask_b32_e64 v72, 0xff7fffff, v79, s7
	v_cndmask_b32_e64 v78, 0xff7fffff, v78, s8
	v_max3_f32 v71, v71, v81, v80
	v_cmp_gt_i32_e64 s9, s17, v86
	v_cmp_gt_i32_e64 s10, s17, v87
	v_dual_mul_f32 v97, s18, v104 :: v_dual_mul_f32 v98, s18, v103
	s_delay_alu instid0(VALU_DEP_4) | instskip(SKIP_1) | instid1(VALU_DEP_4)
	v_max3_f32 v71, v71, v72, v78
	v_cmp_gt_i32_e64 s11, s17, v88
	v_cndmask_b32_e64 v70, 0xff7fffff, v70, s10
	v_cmp_gt_i32_e64 s12, s17, v89
	v_lshlrev_b32_e32 v89, 2, v69
	v_cndmask_b32_e64 v68, 0xff7fffff, v68, s9
	v_dual_mul_f32 v95, s18, v106 :: v_dual_mul_f32 v96, s18, v105
	v_cndmask_b32_e64 v72, 0xff7fffff, v99, s11
	v_cndmask_b32_e64 v78, 0xff7fffff, v98, s12
	s_delay_alu instid0(VALU_DEP_4)
	v_max3_f32 v68, v71, v68, v70
	v_cmp_gt_i32_e64 s13, s17, v90
	v_cmp_gt_i32_e64 s15, s17, v91
	;; [unrolled: 1-line block ×4, first 2 shown]
	v_max3_f32 v68, v68, v72, v78
	v_cndmask_b32_e64 v70, 0xff7fffff, v97, s13
	v_cndmask_b32_e64 v71, 0xff7fffff, v96, s15
	;; [unrolled: 1-line block ×4, first 2 shown]
	s_delay_alu instid0(VALU_DEP_3) | instskip(NEXT) | instid1(VALU_DEP_1)
	v_max3_f32 v68, v68, v70, v71
	v_max3_f32 v68, v68, v72, v76
	ds_bpermute_b32 v69, v89, v68
	s_waitcnt lgkmcnt(0)
	v_max_f32_e32 v69, v69, v69
	s_delay_alu instid0(VALU_DEP_1) | instskip(NEXT) | instid1(VALU_DEP_1)
	v_max_f32_e32 v68, v68, v69
	v_fma_f32 v71, s18, v126, -v68
	s_delay_alu instid0(VALU_DEP_1)
	v_mul_f32_e32 v71, 0x3fb8aa3b, v71
	v_fma_f32 v69, s18, v124, -v68
	v_fma_f32 v70, s18, v125, -v68
	;; [unrolled: 1-line block ×4, first 2 shown]
	v_exp_f32_e32 v71, v71
	s_delay_alu instid0(VALU_DEP_3) | instskip(SKIP_2) | instid1(VALU_DEP_3)
	v_dual_mul_f32 v69, 0x3fb8aa3b, v69 :: v_dual_mul_f32 v70, 0x3fb8aa3b, v70
	v_fma_f32 v78, s18, v130, -v68
	v_fma_f32 v81, s18, v105, -v68
	v_exp_f32_e32 v69, v69
	s_delay_alu instid0(VALU_DEP_3) | instskip(SKIP_1) | instid1(VALU_DEP_2)
	v_exp_f32_e32 v70, v70
	v_mul_f32_e32 v77, 0x3fb8aa3b, v76
	v_mul_f32_e32 v81, 0x3fb8aa3b, v81
	s_delay_alu instid0(TRANS32_DEP_3) | instskip(SKIP_1) | instid1(VALU_DEP_3)
	v_cndmask_b32_e64 v83, 0, v71, s3
	v_fma_f32 v71, s18, v131, -v68
	v_exp_f32_e32 v81, v81
	s_delay_alu instid0(TRANS32_DEP_3) | instskip(NEXT) | instid1(TRANS32_DEP_2)
	v_cndmask_b32_e64 v80, 0, v69, s2
	v_cndmask_b32_e32 v76, 0, v70, vcc_lo
	v_fma_f32 v69, s18, v129, -v68
	v_mul_f32_e32 v72, 0x3fb8aa3b, v72
	v_exp_f32_e32 v77, v77
	v_dual_add_f32 v70, 0, v80 :: v_dual_mul_f32 v71, 0x3fb8aa3b, v71
	s_delay_alu instid0(VALU_DEP_3) | instskip(NEXT) | instid1(VALU_DEP_3)
	v_mul_f32_e32 v69, 0x3fb8aa3b, v69
	v_exp_f32_e32 v72, v72
	s_mov_b32 s2, exec_lo
	s_delay_alu instid0(VALU_DEP_2) | instskip(NEXT) | instid1(VALU_DEP_1)
	v_exp_f32_e32 v71, v71
	v_exp_f32_e32 v69, v69
	v_cndmask_b32_e64 v86, 0, v77, s5
	v_fma_f32 v77, s18, v101, -v68
	v_add_f32_e32 v70, v70, v76
	s_delay_alu instid0(TRANS32_DEP_3) | instskip(SKIP_1) | instid1(VALU_DEP_3)
	v_cndmask_b32_e64 v85, 0, v72, s4
	v_fma_f32 v72, s18, v100, -v68
	v_dual_mul_f32 v77, 0x3fb8aa3b, v77 :: v_dual_add_f32 v70, v70, v83
	s_delay_alu instid0(TRANS32_DEP_2) | instskip(SKIP_1) | instid1(TRANS32_DEP_1)
	v_cndmask_b32_e64 v88, 0, v71, s8
	v_fma_f32 v71, s18, v104, -v68
	v_cndmask_b32_e64 v87, 0, v69, s6
	s_delay_alu instid0(VALU_DEP_4) | instskip(NEXT) | instid1(VALU_DEP_2)
	v_exp_f32_e32 v77, v77
	v_dual_add_f32 v70, v70, v85 :: v_dual_mul_f32 v71, 0x3fb8aa3b, v71
	s_delay_alu instid0(VALU_DEP_1) | instskip(SKIP_2) | instid1(VALU_DEP_3)
	v_dual_mul_f32 v72, 0x3fb8aa3b, v72 :: v_dual_add_f32 v69, v70, v86
	v_mul_f32_e32 v78, 0x3fb8aa3b, v78
	v_fma_f32 v70, s18, v102, -v68
	v_exp_f32_e32 v72, v72
	v_exp_f32_e32 v82, v71
	v_add_f32_e32 v69, v69, v87
	v_exp_f32_e32 v78, v78
	v_mul_f32_e32 v70, 0x3fb8aa3b, v70
	s_delay_alu instid0(VALU_DEP_1) | instskip(SKIP_4) | instid1(VALU_DEP_2)
	v_exp_f32_e32 v79, v70
	v_cndmask_b32_e64 v70, 0, v72, s9
	s_waitcnt_depctr 0xfff
	v_cndmask_b32_e64 v84, 0, v78, s7
	v_fma_f32 v78, s18, v103, -v68
	v_add_f32_e32 v69, v69, v84
	v_cndmask_b32_e64 v71, 0, v79, s11
	s_delay_alu instid0(VALU_DEP_2) | instskip(SKIP_2) | instid1(VALU_DEP_1)
	v_add_f32_e32 v72, v69, v88
	v_cndmask_b32_e64 v69, 0, v77, s10
	v_fma_f32 v77, s18, v106, -v68
	v_dual_mul_f32 v77, 0x3fb8aa3b, v77 :: v_dual_add_f32 v72, v72, v70
	v_mul_f32_e32 v78, 0x3fb8aa3b, v78
	s_delay_alu instid0(VALU_DEP_2) | instskip(NEXT) | instid1(VALU_DEP_2)
	v_exp_f32_e32 v90, v77
	v_add_f32_e32 v79, v72, v69
	s_delay_alu instid0(VALU_DEP_2)
	v_exp_f32_e32 v78, v78
	v_cndmask_b32_e64 v77, 0, v82, s13
	s_waitcnt_depctr 0xfff
	v_cndmask_b32_e64 v72, 0, v78, s12
	v_add_f32_e32 v78, v79, v71
	v_fma_f32 v79, s18, v107, -v68
	s_delay_alu instid0(VALU_DEP_1) | instskip(SKIP_1) | instid1(VALU_DEP_2)
	v_dual_add_f32 v82, v78, v72 :: v_dual_mul_f32 v79, 0x3fb8aa3b, v79
	v_cndmask_b32_e64 v78, 0, v81, s15
	v_add_f32_e32 v81, v82, v77
	s_delay_alu instid0(VALU_DEP_3) | instskip(SKIP_1) | instid1(VALU_DEP_2)
	v_exp_f32_e32 v82, v79
	v_cndmask_b32_e64 v79, 0, v90, s16
	v_add_f32_e32 v81, v81, v78
	s_delay_alu instid0(VALU_DEP_1) | instskip(SKIP_2) | instid1(VALU_DEP_1)
	v_add_f32_e32 v90, v81, v79
	s_waitcnt_depctr 0xfff
	v_cndmask_b32_e64 v81, 0, v82, s17
	v_add_f32_e32 v82, v90, v81
	ds_bpermute_b32 v89, v89, v82
	v_cmpx_gt_u32_e32 16, v67
	s_cbranch_execz .LBB1873_12
; %bb.11:
	v_mul_u32_u24_e32 v67, 0x44, v65
	s_delay_alu instid0(VALU_DEP_1) | instskip(SKIP_1) | instid1(VALU_DEP_1)
	v_lshl_add_u32 v67, v66, 2, v67
	s_waitcnt lgkmcnt(0)
	v_dual_add_f32 v82, v82, v89 :: v_dual_add_nc_u32 v67, 0x4000, v67
	ds_store_2addr_b32 v67, v68, v82 offset1:136
.LBB1873_12:
	s_or_b32 exec_lo, exec_lo, s2
	v_lshlrev_b32_e32 v67, 2, v66
	s_waitcnt lgkmcnt(0)
	s_barrier
	buffer_gl0_inv
	v_cmp_eq_u32_e32 vcc_lo, 1, v65
	v_add_nc_u32_e32 v82, 0x4000, v67
	v_cmp_eq_u32_e64 s2, 2, v65
	v_cmp_eq_u32_e64 s4, 7, v65
	ds_load_2addr_b32 v[89:90], v82 offset1:17
	ds_load_2addr_b32 v[91:92], v82 offset0:34 offset1:51
	ds_load_2addr_b32 v[93:94], v82 offset0:68 offset1:85
	;; [unrolled: 1-line block ×4, first 2 shown]
	s_waitcnt lgkmcnt(4)
	v_max3_f32 v67, v89, 0xff7fffff, v90
	s_waitcnt lgkmcnt(3)
	s_delay_alu instid0(VALU_DEP_1) | instskip(SKIP_1) | instid1(VALU_DEP_1)
	v_max3_f32 v67, v67, v91, v92
	s_waitcnt lgkmcnt(2)
	v_max3_f32 v67, v67, v93, v94
	s_waitcnt lgkmcnt(1)
	s_delay_alu instid0(VALU_DEP_1) | instskip(NEXT) | instid1(VALU_DEP_1)
	v_max3_f32 v67, v67, v95, v96
	v_sub_f32_e32 v93, v93, v67
	s_delay_alu instid0(VALU_DEP_1) | instskip(NEXT) | instid1(VALU_DEP_1)
	v_dual_sub_f32 v68, v89, v67 :: v_dual_mul_f32 v103, 0x3fb8aa3b, v93
	v_mul_f32_e32 v68, 0x3fb8aa3b, v68
	s_delay_alu instid0(VALU_DEP_1)
	v_exp_f32_e32 v100, v68
	v_sub_f32_e32 v68, v92, v67
	v_sub_f32_e32 v99, v90, v67
	ds_load_2addr_b32 v[89:90], v82 offset0:170 offset1:187
	v_dual_mul_f32 v102, 0x3fb8aa3b, v68 :: v_dual_mul_f32 v99, 0x3fb8aa3b, v99
	s_waitcnt lgkmcnt(1)
	v_fma_f32 v68, v100, v97, 0
	s_delay_alu instid0(VALU_DEP_2) | instskip(NEXT) | instid1(VALU_DEP_2)
	v_exp_f32_e32 v102, v102
	v_exp_f32_e32 v99, v99
	s_waitcnt_depctr 0xfff
	v_fmac_f32_e32 v68, v99, v98
	v_sub_f32_e32 v91, v91, v67
	s_delay_alu instid0(VALU_DEP_1)
	v_mul_f32_e32 v101, 0x3fb8aa3b, v91
	ds_load_2addr_b32 v[91:92], v82 offset0:204 offset1:221
	v_sub_f32_e32 v97, v94, v67
	ds_load_2addr_b32 v[93:94], v82 offset0:238 offset1:255
	s_waitcnt lgkmcnt(0)
	v_exp_f32_e32 v101, v101
	s_barrier
	buffer_gl0_inv
	v_dual_fmac_f32 v68, v101, v89 :: v_dual_sub_f32 v89, v96, v67
	v_dual_sub_f32 v82, v95, v67 :: v_dual_mul_f32 v95, 0x3fb8aa3b, v97
	v_exp_f32_e32 v97, v103
	s_delay_alu instid0(VALU_DEP_2) | instskip(NEXT) | instid1(VALU_DEP_2)
	v_dual_fmac_f32 v68, v102, v90 :: v_dual_mul_f32 v89, 0x3fb8aa3b, v89
	v_mul_f32_e32 v82, 0x3fb8aa3b, v82
	s_delay_alu instid0(VALU_DEP_3) | instskip(NEXT) | instid1(VALU_DEP_2)
	v_exp_f32_e32 v95, v95
	v_exp_f32_e32 v89, v89
	s_delay_alu instid0(VALU_DEP_1)
	v_exp_f32_e32 v82, v82
	v_fmac_f32_e32 v68, v97, v91
	s_delay_alu instid0(TRANS32_DEP_3) | instid1(VALU_DEP_1)
	v_fmac_f32_e32 v68, v95, v92
	s_waitcnt_depctr 0xfff
	v_fmac_f32_e32 v68, v82, v93
	s_delay_alu instid0(VALU_DEP_1) | instskip(NEXT) | instid1(VALU_DEP_1)
	v_fmac_f32_e32 v68, v89, v94
	v_add_f32_e32 v90, 0x358637bd, v68
	s_delay_alu instid0(VALU_DEP_1) | instskip(NEXT) | instid1(VALU_DEP_1)
	v_div_scale_f32 v91, null, v90, v90, 1.0
	v_rcp_f32_e32 v92, v91
	s_waitcnt_depctr 0xfff
	v_fma_f32 v93, -v91, v92, 1.0
	s_delay_alu instid0(VALU_DEP_1) | instskip(SKIP_1) | instid1(VALU_DEP_2)
	v_dual_fmac_f32 v92, v93, v92 :: v_dual_cndmask_b32 v93, v100, v99
	v_cmp_eq_u32_e32 vcc_lo, 3, v65
	v_cndmask_b32_e64 v93, v93, v101, s2
	v_cmp_eq_u32_e64 s2, 4, v65
	s_delay_alu instid0(VALU_DEP_2) | instskip(SKIP_1) | instid1(VALU_DEP_2)
	v_cndmask_b32_e32 v93, v93, v102, vcc_lo
	v_cmp_eq_u32_e32 vcc_lo, 5, v65
	v_cndmask_b32_e64 v93, v93, v97, s2
	v_cmp_eq_u32_e64 s2, 6, v65
	s_delay_alu instid0(VALU_DEP_2) | instskip(SKIP_1) | instid1(VALU_DEP_1)
	v_cndmask_b32_e32 v93, v93, v95, vcc_lo
	v_div_scale_f32 v94, s3, 1.0, v90, 1.0
	s_mov_b32 vcc_lo, s3
	s_delay_alu instid0(VALU_DEP_2) | instskip(NEXT) | instid1(VALU_DEP_2)
	v_cndmask_b32_e64 v82, v93, v82, s2
	v_mul_f32_e32 v96, v94, v92
	s_mov_b32 s2, exec_lo
	s_delay_alu instid0(VALU_DEP_2) | instskip(NEXT) | instid1(VALU_DEP_2)
	v_cndmask_b32_e64 v82, v82, v89, s4
	v_fma_f32 v98, -v91, v96, v94
	s_delay_alu instid0(VALU_DEP_1) | instskip(NEXT) | instid1(VALU_DEP_1)
	v_fmac_f32_e32 v96, v98, v92
	v_fma_f32 v91, -v91, v96, v94
	s_delay_alu instid0(VALU_DEP_1) | instskip(NEXT) | instid1(VALU_DEP_1)
	v_div_fmas_f32 v91, v91, v92, v96
	v_div_fixup_f32 v90, v91, v90, 1.0
	s_delay_alu instid0(VALU_DEP_1) | instskip(NEXT) | instid1(VALU_DEP_1)
	v_mul_f32_e32 v82, v82, v90
	v_mul_f32_e32 v87, v82, v87
	;; [unrolled: 1-line block ×7, first 2 shown]
	v_dual_mul_f32 v86, v82, v83 :: v_dual_and_b32 v91, 0x7f800000, v90
	v_mul_f32_e32 v85, v82, v76
                                        ; implicit-def: $vgpr76
	s_delay_alu instid0(VALU_DEP_2)
	v_cmpx_ne_u32_e32 0x7f800000, v91
	s_xor_b32 s2, exec_lo, s2
; %bb.13:
	v_bfe_u32 v76, v90, 16, 1
	s_delay_alu instid0(VALU_DEP_1)
	v_add3_u32 v76, v90, v76, 0x7fff
                                        ; implicit-def: $vgpr90
; %bb.14:
	s_and_not1_saveexec_b32 s2, s2
; %bb.15:
	v_and_b32_e32 v76, 0xffff, v90
	v_or_b32_e32 v83, 0x10000, v90
	s_delay_alu instid0(VALU_DEP_2) | instskip(NEXT) | instid1(VALU_DEP_2)
	v_cmp_eq_u32_e32 vcc_lo, 0, v76
	v_cndmask_b32_e32 v76, v83, v90, vcc_lo
; %bb.16:
	s_or_b32 exec_lo, exec_lo, s2
	v_and_b32_e32 v83, 0x7f800000, v85
	s_delay_alu instid0(VALU_DEP_1) | instskip(SKIP_1) | instid1(SALU_CYCLE_1)
	v_cmp_ne_u32_e32 vcc_lo, 0x7f800000, v83
                                        ; implicit-def: $vgpr83
	s_and_saveexec_b32 s2, vcc_lo
	s_xor_b32 s2, exec_lo, s2
; %bb.17:
	v_bfe_u32 v83, v85, 16, 1
	s_delay_alu instid0(VALU_DEP_1)
	v_add3_u32 v83, v85, v83, 0x7fff
                                        ; implicit-def: $vgpr85
; %bb.18:
	s_and_not1_saveexec_b32 s2, s2
; %bb.19:
	v_and_b32_e32 v83, 0xffff, v85
	v_or_b32_e32 v90, 0x10000, v85
	s_delay_alu instid0(VALU_DEP_2) | instskip(NEXT) | instid1(VALU_DEP_2)
	v_cmp_eq_u32_e32 vcc_lo, 0, v83
	v_cndmask_b32_e32 v83, v90, v85, vcc_lo
; %bb.20:
	s_or_b32 exec_lo, exec_lo, s2
	v_and_b32_e32 v85, 0x7f800000, v86
	s_delay_alu instid0(VALU_DEP_1) | instskip(SKIP_1) | instid1(SALU_CYCLE_1)
	v_cmp_ne_u32_e32 vcc_lo, 0x7f800000, v85
                                        ; implicit-def: $vgpr85
	s_and_saveexec_b32 s2, vcc_lo
	s_xor_b32 s2, exec_lo, s2
; %bb.21:
	v_bfe_u32 v85, v86, 16, 1
	s_delay_alu instid0(VALU_DEP_1)
	v_add3_u32 v85, v86, v85, 0x7fff
                                        ; implicit-def: $vgpr86
; %bb.22:
	s_and_not1_saveexec_b32 s2, s2
; %bb.23:
	v_and_b32_e32 v85, 0xffff, v86
	v_or_b32_e32 v90, 0x10000, v86
	s_delay_alu instid0(VALU_DEP_2) | instskip(NEXT) | instid1(VALU_DEP_2)
	v_cmp_eq_u32_e32 vcc_lo, 0, v85
	v_cndmask_b32_e32 v85, v90, v86, vcc_lo
; %bb.24:
	s_or_b32 exec_lo, exec_lo, s2
	v_and_b32_e32 v86, 0x7f800000, v89
	s_delay_alu instid0(VALU_DEP_1) | instskip(SKIP_1) | instid1(SALU_CYCLE_1)
	v_cmp_ne_u32_e32 vcc_lo, 0x7f800000, v86
                                        ; implicit-def: $vgpr86
	s_and_saveexec_b32 s2, vcc_lo
	s_xor_b32 s2, exec_lo, s2
; %bb.25:
	v_bfe_u32 v86, v89, 16, 1
	s_delay_alu instid0(VALU_DEP_1)
	v_add3_u32 v86, v89, v86, 0x7fff
                                        ; implicit-def: $vgpr89
; %bb.26:
	s_and_not1_saveexec_b32 s2, s2
; %bb.27:
	v_and_b32_e32 v86, 0xffff, v89
	v_or_b32_e32 v90, 0x10000, v89
	s_delay_alu instid0(VALU_DEP_2) | instskip(NEXT) | instid1(VALU_DEP_2)
	v_cmp_eq_u32_e32 vcc_lo, 0, v86
	v_cndmask_b32_e32 v86, v90, v89, vcc_lo
; %bb.28:
	s_or_b32 exec_lo, exec_lo, s2
	v_and_b32_e32 v89, 0x7f800000, v88
	s_delay_alu instid0(VALU_DEP_1) | instskip(SKIP_1) | instid1(SALU_CYCLE_1)
	v_cmp_ne_u32_e32 vcc_lo, 0x7f800000, v89
                                        ; implicit-def: $vgpr89
	s_and_saveexec_b32 s2, vcc_lo
	s_xor_b32 s2, exec_lo, s2
; %bb.29:
	v_bfe_u32 v89, v88, 16, 1
	s_delay_alu instid0(VALU_DEP_1)
	v_add3_u32 v89, v88, v89, 0x7fff
                                        ; implicit-def: $vgpr88
; %bb.30:
	s_and_not1_saveexec_b32 s2, s2
; %bb.31:
	v_and_b32_e32 v89, 0xffff, v88
	v_or_b32_e32 v90, 0x10000, v88
	s_delay_alu instid0(VALU_DEP_2) | instskip(NEXT) | instid1(VALU_DEP_2)
	v_cmp_eq_u32_e32 vcc_lo, 0, v89
	v_cndmask_b32_e32 v89, v90, v88, vcc_lo
; %bb.32:
	s_or_b32 exec_lo, exec_lo, s2
	v_and_b32_e32 v88, 0x7f800000, v87
	s_delay_alu instid0(VALU_DEP_1) | instskip(SKIP_1) | instid1(SALU_CYCLE_1)
	v_cmp_ne_u32_e32 vcc_lo, 0x7f800000, v88
                                        ; implicit-def: $vgpr88
	s_and_saveexec_b32 s2, vcc_lo
	s_xor_b32 s2, exec_lo, s2
; %bb.33:
	v_bfe_u32 v88, v87, 16, 1
	s_delay_alu instid0(VALU_DEP_1)
	v_add3_u32 v88, v87, v88, 0x7fff
                                        ; implicit-def: $vgpr87
; %bb.34:
	s_and_not1_saveexec_b32 s2, s2
; %bb.35:
	v_and_b32_e32 v88, 0xffff, v87
	v_or_b32_e32 v90, 0x10000, v87
	s_delay_alu instid0(VALU_DEP_2) | instskip(NEXT) | instid1(VALU_DEP_2)
	v_cmp_eq_u32_e32 vcc_lo, 0, v88
	v_cndmask_b32_e32 v88, v90, v87, vcc_lo
; %bb.36:
	s_or_b32 exec_lo, exec_lo, s2
	v_and_b32_e32 v87, 0x7f800000, v84
	s_delay_alu instid0(VALU_DEP_1) | instskip(SKIP_1) | instid1(SALU_CYCLE_1)
	v_cmp_ne_u32_e32 vcc_lo, 0x7f800000, v87
                                        ; implicit-def: $vgpr87
	s_and_saveexec_b32 s2, vcc_lo
	s_xor_b32 s2, exec_lo, s2
; %bb.37:
	v_bfe_u32 v87, v84, 16, 1
	s_delay_alu instid0(VALU_DEP_1)
	v_add3_u32 v87, v84, v87, 0x7fff
                                        ; implicit-def: $vgpr84
; %bb.38:
	s_and_not1_saveexec_b32 s2, s2
; %bb.39:
	v_and_b32_e32 v87, 0xffff, v84
	v_or_b32_e32 v90, 0x10000, v84
	s_delay_alu instid0(VALU_DEP_2) | instskip(NEXT) | instid1(VALU_DEP_2)
	v_cmp_eq_u32_e32 vcc_lo, 0, v87
	v_cndmask_b32_e32 v87, v90, v84, vcc_lo
; %bb.40:
	s_or_b32 exec_lo, exec_lo, s2
	v_and_b32_e32 v84, 0x7f800000, v80
	s_delay_alu instid0(VALU_DEP_1) | instskip(SKIP_1) | instid1(SALU_CYCLE_1)
	v_cmp_ne_u32_e32 vcc_lo, 0x7f800000, v84
                                        ; implicit-def: $vgpr84
	s_and_saveexec_b32 s2, vcc_lo
	s_xor_b32 s2, exec_lo, s2
; %bb.41:
	v_bfe_u32 v84, v80, 16, 1
	s_delay_alu instid0(VALU_DEP_1)
	v_add3_u32 v84, v80, v84, 0x7fff
                                        ; implicit-def: $vgpr80
; %bb.42:
	s_and_not1_saveexec_b32 s2, s2
; %bb.43:
	v_and_b32_e32 v84, 0xffff, v80
	v_or_b32_e32 v90, 0x10000, v80
	s_delay_alu instid0(VALU_DEP_2) | instskip(NEXT) | instid1(VALU_DEP_2)
	v_cmp_eq_u32_e32 vcc_lo, 0, v84
	v_cndmask_b32_e32 v84, v90, v80, vcc_lo
; %bb.44:
	s_or_b32 exec_lo, exec_lo, s2
	s_load_b64 s[34:35], s[0:1], 0x94
	v_lshlrev_b32_e32 v91, 4, v74
	s_delay_alu instid0(VALU_DEP_2)
	v_perm_b32 v90, v84, v87, 0x7060302
	v_dual_mul_f32 v77, v82, v77 :: v_dual_lshlrev_b32 v80, 6, v66
	v_lshlrev_b32_e32 v66, 11, v65
	v_perm_b32 v87, v83, v76, 0x7060302
	v_mul_f32_e32 v83, v82, v70
	v_perm_b32 v89, v88, v89, 0x7060302
	v_perm_b32 v88, v86, v85, 0x7060302
	v_or3_b32 v76, v91, v66, v80
	v_mul_f32_e32 v66, v82, v81
	v_mul_f32_e32 v70, v82, v79
	;; [unrolled: 1-line block ×3, first 2 shown]
	v_dual_mul_f32 v81, v82, v72 :: v_dual_and_b32 v84, 0x7f800000, v83
	v_mul_f32_e32 v79, v82, v71
	v_mul_f32_e32 v72, v82, v69
	s_mov_b32 s2, exec_lo
	ds_store_b128 v76, v[87:90]
                                        ; implicit-def: $vgpr69
	v_cmpx_ne_u32_e32 0x7f800000, v84
	s_xor_b32 s2, exec_lo, s2
; %bb.45:
	v_bfe_u32 v69, v83, 16, 1
	s_delay_alu instid0(VALU_DEP_1)
	v_add3_u32 v69, v83, v69, 0x7fff
                                        ; implicit-def: $vgpr83
; %bb.46:
	s_and_not1_saveexec_b32 s2, s2
; %bb.47:
	v_and_b32_e32 v69, 0xffff, v83
	v_or_b32_e32 v71, 0x10000, v83
	s_delay_alu instid0(VALU_DEP_2) | instskip(NEXT) | instid1(VALU_DEP_2)
	v_cmp_eq_u32_e32 vcc_lo, 0, v69
	v_cndmask_b32_e32 v69, v71, v83, vcc_lo
; %bb.48:
	s_or_b32 exec_lo, exec_lo, s2
	v_and_b32_e32 v71, 0x7f800000, v72
	s_delay_alu instid0(VALU_DEP_1) | instskip(SKIP_1) | instid1(SALU_CYCLE_1)
	v_cmp_ne_u32_e32 vcc_lo, 0x7f800000, v71
                                        ; implicit-def: $vgpr71
	s_and_saveexec_b32 s2, vcc_lo
	s_xor_b32 s2, exec_lo, s2
; %bb.49:
	v_bfe_u32 v71, v72, 16, 1
	s_delay_alu instid0(VALU_DEP_1)
	v_add3_u32 v71, v72, v71, 0x7fff
                                        ; implicit-def: $vgpr72
; %bb.50:
	s_and_not1_saveexec_b32 s2, s2
; %bb.51:
	v_and_b32_e32 v71, 0xffff, v72
	v_or_b32_e32 v82, 0x10000, v72
	s_delay_alu instid0(VALU_DEP_2) | instskip(NEXT) | instid1(VALU_DEP_2)
	v_cmp_eq_u32_e32 vcc_lo, 0, v71
	v_cndmask_b32_e32 v71, v82, v72, vcc_lo
; %bb.52:
	s_or_b32 exec_lo, exec_lo, s2
	v_and_b32_e32 v72, 0x7f800000, v79
	s_delay_alu instid0(VALU_DEP_1) | instskip(SKIP_1) | instid1(SALU_CYCLE_1)
	v_cmp_ne_u32_e32 vcc_lo, 0x7f800000, v72
                                        ; implicit-def: $vgpr72
	s_and_saveexec_b32 s2, vcc_lo
	s_xor_b32 s2, exec_lo, s2
; %bb.53:
	v_bfe_u32 v72, v79, 16, 1
	s_delay_alu instid0(VALU_DEP_1)
	v_add3_u32 v72, v79, v72, 0x7fff
                                        ; implicit-def: $vgpr79
; %bb.54:
	s_and_not1_saveexec_b32 s2, s2
; %bb.55:
	v_and_b32_e32 v72, 0xffff, v79
	v_or_b32_e32 v82, 0x10000, v79
	s_delay_alu instid0(VALU_DEP_2) | instskip(NEXT) | instid1(VALU_DEP_2)
	v_cmp_eq_u32_e32 vcc_lo, 0, v72
	v_cndmask_b32_e32 v72, v82, v79, vcc_lo
; %bb.56:
	s_or_b32 exec_lo, exec_lo, s2
	v_and_b32_e32 v79, 0x7f800000, v81
	s_delay_alu instid0(VALU_DEP_1) | instskip(SKIP_1) | instid1(SALU_CYCLE_1)
	v_cmp_ne_u32_e32 vcc_lo, 0x7f800000, v79
                                        ; implicit-def: $vgpr79
	s_and_saveexec_b32 s2, vcc_lo
	s_xor_b32 s2, exec_lo, s2
; %bb.57:
	v_bfe_u32 v79, v81, 16, 1
	s_delay_alu instid0(VALU_DEP_1)
	v_add3_u32 v79, v81, v79, 0x7fff
                                        ; implicit-def: $vgpr81
; %bb.58:
	s_and_not1_saveexec_b32 s2, s2
; %bb.59:
	v_and_b32_e32 v79, 0xffff, v81
	v_or_b32_e32 v82, 0x10000, v81
	s_delay_alu instid0(VALU_DEP_2) | instskip(NEXT) | instid1(VALU_DEP_2)
	v_cmp_eq_u32_e32 vcc_lo, 0, v79
	v_cndmask_b32_e32 v79, v82, v81, vcc_lo
; %bb.60:
	s_or_b32 exec_lo, exec_lo, s2
	v_and_b32_e32 v81, 0x7f800000, v77
	s_delay_alu instid0(VALU_DEP_1) | instskip(SKIP_1) | instid1(SALU_CYCLE_1)
	v_cmp_ne_u32_e32 vcc_lo, 0x7f800000, v81
                                        ; implicit-def: $vgpr81
	s_and_saveexec_b32 s2, vcc_lo
	s_xor_b32 s2, exec_lo, s2
; %bb.61:
	v_bfe_u32 v81, v77, 16, 1
	s_delay_alu instid0(VALU_DEP_1)
	v_add3_u32 v81, v77, v81, 0x7fff
                                        ; implicit-def: $vgpr77
; %bb.62:
	s_and_not1_saveexec_b32 s2, s2
; %bb.63:
	v_and_b32_e32 v81, 0xffff, v77
	v_or_b32_e32 v82, 0x10000, v77
	s_delay_alu instid0(VALU_DEP_2) | instskip(NEXT) | instid1(VALU_DEP_2)
	v_cmp_eq_u32_e32 vcc_lo, 0, v81
	v_cndmask_b32_e32 v81, v82, v77, vcc_lo
; %bb.64:
	s_or_b32 exec_lo, exec_lo, s2
	v_and_b32_e32 v77, 0x7f800000, v78
	s_delay_alu instid0(VALU_DEP_1) | instskip(SKIP_1) | instid1(SALU_CYCLE_1)
	v_cmp_ne_u32_e32 vcc_lo, 0x7f800000, v77
                                        ; implicit-def: $vgpr77
	s_and_saveexec_b32 s2, vcc_lo
	s_xor_b32 s2, exec_lo, s2
; %bb.65:
	v_bfe_u32 v77, v78, 16, 1
	s_delay_alu instid0(VALU_DEP_1)
	v_add3_u32 v77, v78, v77, 0x7fff
                                        ; implicit-def: $vgpr78
; %bb.66:
	s_and_not1_saveexec_b32 s2, s2
; %bb.67:
	v_and_b32_e32 v77, 0xffff, v78
	v_or_b32_e32 v82, 0x10000, v78
	s_delay_alu instid0(VALU_DEP_2) | instskip(NEXT) | instid1(VALU_DEP_2)
	v_cmp_eq_u32_e32 vcc_lo, 0, v77
	v_cndmask_b32_e32 v77, v82, v78, vcc_lo
; %bb.68:
	s_or_b32 exec_lo, exec_lo, s2
	v_and_b32_e32 v78, 0x7f800000, v70
	s_delay_alu instid0(VALU_DEP_1) | instskip(SKIP_1) | instid1(SALU_CYCLE_1)
	v_cmp_ne_u32_e32 vcc_lo, 0x7f800000, v78
                                        ; implicit-def: $vgpr78
	s_and_saveexec_b32 s2, vcc_lo
	s_xor_b32 s2, exec_lo, s2
; %bb.69:
	v_bfe_u32 v78, v70, 16, 1
	s_delay_alu instid0(VALU_DEP_1)
	v_add3_u32 v78, v70, v78, 0x7fff
                                        ; implicit-def: $vgpr70
; %bb.70:
	s_and_not1_saveexec_b32 s2, s2
; %bb.71:
	v_and_b32_e32 v78, 0xffff, v70
	v_or_b32_e32 v82, 0x10000, v70
	s_delay_alu instid0(VALU_DEP_2) | instskip(NEXT) | instid1(VALU_DEP_2)
	v_cmp_eq_u32_e32 vcc_lo, 0, v78
	v_cndmask_b32_e32 v78, v82, v70, vcc_lo
; %bb.72:
	s_or_b32 exec_lo, exec_lo, s2
	v_and_b32_e32 v70, 0x7f800000, v66
	s_delay_alu instid0(VALU_DEP_1) | instskip(SKIP_1) | instid1(SALU_CYCLE_1)
	v_cmp_ne_u32_e32 vcc_lo, 0x7f800000, v70
                                        ; implicit-def: $vgpr70
	s_and_saveexec_b32 s2, vcc_lo
	s_xor_b32 s2, exec_lo, s2
; %bb.73:
	v_bfe_u32 v70, v66, 16, 1
	s_delay_alu instid0(VALU_DEP_1)
	v_add3_u32 v70, v66, v70, 0x7fff
                                        ; implicit-def: $vgpr66
; %bb.74:
	s_and_not1_saveexec_b32 s2, s2
; %bb.75:
	v_and_b32_e32 v70, 0xffff, v66
	v_or_b32_e32 v82, 0x10000, v66
	s_delay_alu instid0(VALU_DEP_2) | instskip(NEXT) | instid1(VALU_DEP_2)
	v_cmp_eq_u32_e32 vcc_lo, 0, v70
	v_cndmask_b32_e32 v70, v82, v66, vcc_lo
; %bb.76:
	s_or_b32 exec_lo, exec_lo, s2
	s_delay_alu instid0(VALU_DEP_1)
	v_perm_b32 v86, v70, v78, 0x7060302
	v_perm_b32 v85, v77, v81, 0x7060302
	;; [unrolled: 1-line block ×4, first 2 shown]
	v_lshl_or_b32 v82, v65, 11, v80
	ds_store_b128 v76, v[83:86] offset:1024
	s_waitcnt lgkmcnt(0)
	s_barrier
	buffer_gl0_inv
	ds_load_b128 v[69:72], v82
	ds_load_b128 v[83:86], v82 offset:16
	s_waitcnt lgkmcnt(1)
	v_lshrrev_b32_e32 v65, 16, v69
	v_lshlrev_b32_e32 v78, 2, v74
	s_waitcnt lgkmcnt(0)
	v_lshrrev_b32_e32 v91, 16, v83
	v_lshrrev_b32_e32 v66, 16, v70
	;; [unrolled: 1-line block ×4, first 2 shown]
	v_cmp_eq_u32_e32 vcc_lo, 1, v78
	v_lshrrev_b32_e32 v98, 16, v85
	v_lshrrev_b32_e32 v96, 16, v72
	;; [unrolled: 1-line block ×3, first 2 shown]
	v_cndmask_b32_e32 v81, v69, v65, vcc_lo
	v_or_b32_e32 v79, 1, v78
	v_cmp_eq_u32_e64 s3, 2, v78
	v_cndmask_b32_e32 v87, v83, v91, vcc_lo
	v_cmp_eq_u32_e64 s6, 3, v78
	v_cmp_eq_u32_e64 s8, 4, v78
	;; [unrolled: 1-line block ×3, first 2 shown]
	v_cndmask_b32_e64 v81, v81, v70, s3
	v_cmp_eq_u32_e64 s5, 2, v79
	v_cndmask_b32_e64 v87, v87, v84, s3
	v_cmp_eq_u32_e64 s7, 3, v79
	v_cndmask_b32_e64 v88, v69, v65, s2
	v_cndmask_b32_e64 v81, v81, v66, s6
	v_or_b32_e32 v77, 2, v78
	v_cndmask_b32_e64 v87, v87, v97, s6
	v_cndmask_b32_e64 v89, v83, v91, s2
	;; [unrolled: 1-line block ×4, first 2 shown]
	v_cmp_eq_u32_e64 s9, 5, v78
	v_cndmask_b32_e64 v87, v87, v85, s8
	v_cmp_eq_u32_e64 s10, 4, v79
	v_cndmask_b32_e64 v88, v88, v66, s7
	;; [unrolled: 2-line block ×3, first 2 shown]
	v_cndmask_b32_e64 v81, v81, v95, s9
	v_cmp_eq_u32_e64 s11, 6, v78
	v_cndmask_b32_e64 v88, v88, v71, s10
	v_cndmask_b32_e64 v87, v87, v98, s9
	v_cmp_eq_u32_e64 s12, 5, v79
	v_cndmask_b32_e64 v90, v69, v65, s4
	v_cndmask_b32_e64 v89, v89, v97, s7
	;; [unrolled: 1-line block ×3, first 2 shown]
	v_cmp_eq_u32_e64 s13, 7, v78
	v_cndmask_b32_e64 v88, v88, v95, s12
	v_cndmask_b32_e64 v87, v87, v86, s11
	v_cmp_eq_u32_e64 s15, 6, v79
	v_cmp_eq_u32_e64 s16, 2, v77
	v_cndmask_b32_e64 v89, v89, v85, s10
	v_cndmask_b32_e64 v100, v81, v96, s13
	;; [unrolled: 1-line block ×6, first 2 shown]
	v_cmp_eq_u32_e64 s17, 7, v79
	v_cmp_eq_u32_e64 s18, 3, v77
	;; [unrolled: 1-line block ×4, first 2 shown]
	v_cndmask_b32_e64 v87, v87, v84, s16
	v_cndmask_b32_e64 v102, v88, v96, s17
	;; [unrolled: 1-line block ×4, first 2 shown]
	v_or_b32_e32 v81, 3, v78
	v_cndmask_b32_e64 v93, v87, v97, s18
	v_cmp_eq_u32_e64 s23, 6, v77
	v_cndmask_b32_e64 v103, v88, v86, s15
	v_cndmask_b32_e64 v92, v89, v71, s19
	v_cmp_eq_u32_e64 s20, 1, v81
	ds_load_b128 v[87:90], v82 offset:1024
	v_cmp_eq_u32_e64 s22, 2, v81
	v_cmp_eq_u32_e64 s24, 3, v81
	v_cndmask_b32_e64 v104, v92, v95, s21
	v_cndmask_b32_e64 v65, v69, v65, s20
	v_cndmask_b32_e64 v69, v93, v85, s19
	v_cndmask_b32_e64 v83, v83, v91, s20
	ds_load_b128 v[91:94], v82 offset:1040
	v_cmp_eq_u32_e64 s25, 4, v81
	v_cndmask_b32_e64 v65, v65, v70, s22
	v_cmp_eq_u32_e64 s27, 5, v81
	v_cndmask_b32_e64 v70, v83, v84, s22
	;; [unrolled: 2-line block ×3, first 2 shown]
	v_cndmask_b32_e64 v65, v65, v66, s24
	v_cndmask_b32_e64 v66, v104, v72, s23
	;; [unrolled: 1-line block ×3, first 2 shown]
	v_cmp_eq_u32_e64 s26, 7, v77
	v_cndmask_b32_e64 v69, v69, v86, s23
	v_cndmask_b32_e64 v65, v65, v71, s25
	s_waitcnt lgkmcnt(1)
	v_lshrrev_b32_e32 v84, 16, v87
	v_cndmask_b32_e64 v70, v70, v85, s25
	v_cndmask_b32_e64 v83, v103, v99, s17
	;; [unrolled: 1-line block ×4, first 2 shown]
	v_lshrrev_b32_e32 v95, 16, v88
	v_cndmask_b32_e64 v70, v70, v98, s27
	s_waitcnt lgkmcnt(0)
	v_lshrrev_b32_e32 v85, 16, v91
	v_cndmask_b32_e64 v97, v87, v84, s2
	v_cndmask_b32_e64 v65, v65, v72, s28
	;; [unrolled: 1-line block ×4, first 2 shown]
	v_cndmask_b32_e32 v71, v87, v84, vcc_lo
	v_cndmask_b32_e32 v98, v91, v85, vcc_lo
	v_cmp_eq_u32_e32 vcc_lo, 7, v81
	v_cndmask_b32_e64 v72, v97, v88, s5
	v_lshrrev_b32_e32 v97, 16, v92
	v_lshrrev_b32_e32 v103, 16, v90
	v_dual_cndmask_b32 v65, v65, v96 :: v_dual_cndmask_b32 v70, v70, v99
	v_cndmask_b32_e64 v71, v71, v88, s3
	v_cndmask_b32_e64 v86, v98, v92, s3
	;; [unrolled: 1-line block ×3, first 2 shown]
	v_lshrrev_b32_e32 v98, 16, v89
	v_lshrrev_b32_e32 v99, 16, v93
	v_cndmask_b32_e64 v71, v71, v95, s6
	v_cndmask_b32_e64 v86, v86, v97, s6
	;; [unrolled: 1-line block ×3, first 2 shown]
	v_perm_b32 v72, v70, v65, 0x5040100
	v_perm_b32 v70, v83, v102, 0x5040100
	v_cndmask_b32_e64 v71, v71, v89, s8
	v_cndmask_b32_e64 v86, v86, v93, s8
	;; [unrolled: 1-line block ×3, first 2 shown]
	v_lshrrev_b32_e32 v83, 16, v94
	s_delay_alu instid0(VALU_DEP_4) | instskip(NEXT) | instid1(VALU_DEP_4)
	v_cndmask_b32_e64 v71, v71, v98, s9
	v_cndmask_b32_e64 v86, v86, v99, s9
	s_delay_alu instid0(VALU_DEP_4) | instskip(NEXT) | instid1(VALU_DEP_3)
	v_cndmask_b32_e64 v65, v65, v90, s15
	v_cndmask_b32_e64 v96, v71, v90, s11
	v_perm_b32 v71, v69, v66, 0x5040100
	s_delay_alu instid0(VALU_DEP_4)
	v_cndmask_b32_e64 v69, v86, v94, s11
	v_cndmask_b32_e64 v86, v87, v84, s4
	;; [unrolled: 1-line block ×34, first 2 shown]
	v_cndmask_b32_e32 v84, v84, v103, vcc_lo
	v_cndmask_b32_e32 v86, v87, v83, vcc_lo
	v_cndmask_b32_e64 v87, v88, v83, s26
	v_cndmask_b32_e64 v88, v85, v83, s17
	;; [unrolled: 1-line block ×3, first 2 shown]
	v_perm_b32 v69, v101, v100, 0x5040100
	v_perm_b32 v86, v86, v84, 0x5040100
	;; [unrolled: 1-line block ×5, first 2 shown]
	s_lshl_b32 s7, s35, 2
	s_mov_b32 s2, exec_lo
	ds_store_b128 v76, v[69:72]
	ds_store_b128 v76, v[83:86] offset:1024
	v_cmpx_gt_u32_e32 4, v0
	s_cbranch_execz .LBB1873_78
; %bb.77:
	v_or_b32_e32 v65, s29, v0
	s_load_b128 s[8:11], s[0:1], 0x58
	s_delay_alu instid0(VALU_DEP_1) | instskip(NEXT) | instid1(VALU_DEP_1)
	v_mad_u64_u32 v[69:70], null, s7, s30, v[65:66]
	v_mad_u64_u32 v[65:66], null, v69, s34, s[14:15]
	s_delay_alu instid0(VALU_DEP_1) | instskip(NEXT) | instid1(VALU_DEP_1)
	v_ashrrev_i32_e32 v66, 31, v65
	v_lshlrev_b64 v[65:66], 2, v[65:66]
	s_waitcnt lgkmcnt(0)
	s_delay_alu instid0(VALU_DEP_1) | instskip(NEXT) | instid1(VALU_DEP_2)
	v_add_co_u32 v69, vcc_lo, s10, v65
	v_add_co_ci_u32_e32 v70, vcc_lo, s11, v66, vcc_lo
	v_add_co_u32 v65, vcc_lo, s8, v65
	v_add_co_ci_u32_e32 v66, vcc_lo, s9, v66, vcc_lo
	global_store_b32 v[69:70], v67, off
	global_store_b32 v[65:66], v68, off
.LBB1873_78:
	s_or_b32 exec_lo, exec_lo, s2
	s_waitcnt lgkmcnt(0)
	s_waitcnt_vscnt null, 0x0
	s_barrier
	buffer_gl0_inv
	ds_load_b128 v[83:86], v80
	ds_load_b128 v[87:90], v80 offset:16
	ds_load_b128 v[95:98], v80 offset:2064
	;; [unrolled: 1-line block ×3, first 2 shown]
	v_mov_b32_e32 v65, 0
	ds_load_b128 v[103:106], v80 offset:4112
	ds_load_b128 v[99:102], v80 offset:4096
	;; [unrolled: 1-line block ×4, first 2 shown]
	v_mov_b32_e32 v66, v65
	v_mov_b32_e32 v67, v65
	;; [unrolled: 1-line block ×7, first 2 shown]
	s_waitcnt lgkmcnt(6)
	s_delay_alu instid0(VALU_DEP_1)
	v_wmma_f32_16x16x16_bf16 v[65:72], v[49:56], v[83:90], v[65:72]
	ds_load_b128 v[53:56], v80 offset:8208
	ds_load_b128 v[49:52], v80 offset:8192
	s_waitcnt lgkmcnt(6)
	v_wmma_f32_16x16x16_bf16 v[65:72], v[41:48], v[91:98], v[65:72]
	ds_load_b128 v[45:48], v80 offset:10256
	ds_load_b128 v[41:44], v80 offset:10240
	s_waitcnt lgkmcnt(6)
	;; [unrolled: 4-line block ×4, first 2 shown]
	v_wmma_f32_16x16x16_bf16 v[65:72], v[1:8], v[49:56], v[65:72]
	s_waitcnt lgkmcnt(4)
	s_delay_alu instid0(VALU_DEP_1) | instskip(SKIP_1) | instid1(VALU_DEP_1)
	v_wmma_f32_16x16x16_bf16 v[65:72], v[9:16], v[41:48], v[65:72]
	s_waitcnt lgkmcnt(2)
	v_wmma_f32_16x16x16_bf16 v[65:72], v[17:24], v[33:40], v[65:72]
	s_waitcnt lgkmcnt(0)
	s_delay_alu instid0(VALU_DEP_1) | instskip(NEXT) | instid1(VALU_DEP_1)
	v_wmma_f32_16x16x16_bf16 v[65:72], v[57:64], v[25:32], v[65:72]
	v_and_b32_e32 v1, 0x7f800000, v65
	s_delay_alu instid0(VALU_DEP_1) | instskip(SKIP_1) | instid1(SALU_CYCLE_1)
	v_cmp_ne_u32_e32 vcc_lo, 0x7f800000, v1
                                        ; implicit-def: $vgpr1
	s_and_saveexec_b32 s2, vcc_lo
	s_xor_b32 s2, exec_lo, s2
; %bb.79:
	v_bfe_u32 v1, v65, 16, 1
	s_delay_alu instid0(VALU_DEP_1)
	v_add3_u32 v1, v65, v1, 0x7fff
; %bb.80:
	s_and_not1_saveexec_b32 s2, s2
; %bb.81:
	v_and_b32_e32 v1, 0xffff, v65
	v_or_b32_e32 v2, 0x10000, v65
	s_delay_alu instid0(VALU_DEP_2) | instskip(NEXT) | instid1(VALU_DEP_2)
	v_cmp_eq_u32_e32 vcc_lo, 0, v1
	v_cndmask_b32_e32 v1, v2, v65, vcc_lo
; %bb.82:
	s_or_b32 exec_lo, exec_lo, s2
	v_and_b32_e32 v2, 0x7f800000, v66
	s_delay_alu instid0(VALU_DEP_1) | instskip(SKIP_1) | instid1(SALU_CYCLE_1)
	v_cmp_ne_u32_e32 vcc_lo, 0x7f800000, v2
                                        ; implicit-def: $vgpr2
	s_and_saveexec_b32 s2, vcc_lo
	s_xor_b32 s2, exec_lo, s2
; %bb.83:
	v_bfe_u32 v2, v66, 16, 1
	s_delay_alu instid0(VALU_DEP_1)
	v_add3_u32 v2, v66, v2, 0x7fff
; %bb.84:
	s_and_not1_saveexec_b32 s2, s2
; %bb.85:
	v_and_b32_e32 v2, 0xffff, v66
	v_or_b32_e32 v3, 0x10000, v66
	s_delay_alu instid0(VALU_DEP_2) | instskip(NEXT) | instid1(VALU_DEP_2)
	v_cmp_eq_u32_e32 vcc_lo, 0, v2
	v_cndmask_b32_e32 v2, v3, v66, vcc_lo
; %bb.86:
	s_or_b32 exec_lo, exec_lo, s2
	v_and_b32_e32 v3, 0x7f800000, v67
	s_delay_alu instid0(VALU_DEP_1) | instskip(SKIP_1) | instid1(SALU_CYCLE_1)
	v_cmp_ne_u32_e32 vcc_lo, 0x7f800000, v3
                                        ; implicit-def: $vgpr3
	s_and_saveexec_b32 s2, vcc_lo
	s_xor_b32 s2, exec_lo, s2
; %bb.87:
	v_bfe_u32 v3, v67, 16, 1
	s_delay_alu instid0(VALU_DEP_1)
	v_add3_u32 v3, v67, v3, 0x7fff
; %bb.88:
	s_and_not1_saveexec_b32 s2, s2
; %bb.89:
	v_and_b32_e32 v3, 0xffff, v67
	v_or_b32_e32 v4, 0x10000, v67
	s_delay_alu instid0(VALU_DEP_2) | instskip(NEXT) | instid1(VALU_DEP_2)
	v_cmp_eq_u32_e32 vcc_lo, 0, v3
	v_cndmask_b32_e32 v3, v4, v67, vcc_lo
; %bb.90:
	s_or_b32 exec_lo, exec_lo, s2
	v_and_b32_e32 v4, 0x7f800000, v68
	s_delay_alu instid0(VALU_DEP_1) | instskip(SKIP_1) | instid1(SALU_CYCLE_1)
	v_cmp_ne_u32_e32 vcc_lo, 0x7f800000, v4
                                        ; implicit-def: $vgpr4
	s_and_saveexec_b32 s2, vcc_lo
	s_xor_b32 s2, exec_lo, s2
; %bb.91:
	v_bfe_u32 v4, v68, 16, 1
	s_delay_alu instid0(VALU_DEP_1)
	v_add3_u32 v4, v68, v4, 0x7fff
; %bb.92:
	s_and_not1_saveexec_b32 s2, s2
; %bb.93:
	v_and_b32_e32 v4, 0xffff, v68
	v_or_b32_e32 v5, 0x10000, v68
	s_delay_alu instid0(VALU_DEP_2) | instskip(NEXT) | instid1(VALU_DEP_2)
	v_cmp_eq_u32_e32 vcc_lo, 0, v4
	v_cndmask_b32_e32 v4, v5, v68, vcc_lo
; %bb.94:
	s_or_b32 exec_lo, exec_lo, s2
	v_and_b32_e32 v5, 0x7f800000, v69
	s_delay_alu instid0(VALU_DEP_1) | instskip(SKIP_1) | instid1(SALU_CYCLE_1)
	v_cmp_ne_u32_e32 vcc_lo, 0x7f800000, v5
                                        ; implicit-def: $vgpr5
	s_and_saveexec_b32 s2, vcc_lo
	s_xor_b32 s2, exec_lo, s2
; %bb.95:
	v_bfe_u32 v5, v69, 16, 1
	s_delay_alu instid0(VALU_DEP_1)
	v_add3_u32 v5, v69, v5, 0x7fff
; %bb.96:
	s_and_not1_saveexec_b32 s2, s2
; %bb.97:
	v_and_b32_e32 v5, 0xffff, v69
	v_or_b32_e32 v6, 0x10000, v69
	s_delay_alu instid0(VALU_DEP_2) | instskip(NEXT) | instid1(VALU_DEP_2)
	v_cmp_eq_u32_e32 vcc_lo, 0, v5
	v_cndmask_b32_e32 v5, v6, v69, vcc_lo
; %bb.98:
	s_or_b32 exec_lo, exec_lo, s2
	v_and_b32_e32 v6, 0x7f800000, v70
	s_delay_alu instid0(VALU_DEP_1) | instskip(SKIP_1) | instid1(SALU_CYCLE_1)
	v_cmp_ne_u32_e32 vcc_lo, 0x7f800000, v6
                                        ; implicit-def: $vgpr6
	s_and_saveexec_b32 s2, vcc_lo
	s_xor_b32 s2, exec_lo, s2
; %bb.99:
	v_bfe_u32 v6, v70, 16, 1
	s_delay_alu instid0(VALU_DEP_1)
	v_add3_u32 v6, v70, v6, 0x7fff
; %bb.100:
	s_and_not1_saveexec_b32 s2, s2
; %bb.101:
	v_and_b32_e32 v6, 0xffff, v70
	v_or_b32_e32 v7, 0x10000, v70
	s_delay_alu instid0(VALU_DEP_2) | instskip(NEXT) | instid1(VALU_DEP_2)
	v_cmp_eq_u32_e32 vcc_lo, 0, v6
	v_cndmask_b32_e32 v6, v7, v70, vcc_lo
; %bb.102:
	s_or_b32 exec_lo, exec_lo, s2
	v_and_b32_e32 v7, 0x7f800000, v71
	s_delay_alu instid0(VALU_DEP_1) | instskip(SKIP_1) | instid1(SALU_CYCLE_1)
	v_cmp_ne_u32_e32 vcc_lo, 0x7f800000, v7
                                        ; implicit-def: $vgpr7
	s_and_saveexec_b32 s2, vcc_lo
	s_xor_b32 s2, exec_lo, s2
; %bb.103:
	v_bfe_u32 v7, v71, 16, 1
	s_delay_alu instid0(VALU_DEP_1)
	v_add3_u32 v7, v71, v7, 0x7fff
; %bb.104:
	s_and_not1_saveexec_b32 s2, s2
; %bb.105:
	v_and_b32_e32 v7, 0xffff, v71
	v_or_b32_e32 v8, 0x10000, v71
	s_delay_alu instid0(VALU_DEP_2) | instskip(NEXT) | instid1(VALU_DEP_2)
	v_cmp_eq_u32_e32 vcc_lo, 0, v7
	v_cndmask_b32_e32 v7, v8, v71, vcc_lo
; %bb.106:
	s_or_b32 exec_lo, exec_lo, s2
	v_and_b32_e32 v8, 0x7f800000, v72
	s_delay_alu instid0(VALU_DEP_1) | instskip(SKIP_1) | instid1(SALU_CYCLE_1)
	v_cmp_ne_u32_e32 vcc_lo, 0x7f800000, v8
                                        ; implicit-def: $vgpr8
	s_and_saveexec_b32 s2, vcc_lo
	s_xor_b32 s2, exec_lo, s2
; %bb.107:
	v_bfe_u32 v8, v72, 16, 1
	s_delay_alu instid0(VALU_DEP_1)
	v_add3_u32 v8, v72, v8, 0x7fff
                                        ; implicit-def: $vgpr65_vgpr66_vgpr67_vgpr68_vgpr69_vgpr70_vgpr71_vgpr72
; %bb.108:
	s_and_not1_saveexec_b32 s2, s2
; %bb.109:
	v_and_b32_e32 v8, 0xffff, v72
	v_or_b32_e32 v9, 0x10000, v72
	s_delay_alu instid0(VALU_DEP_2) | instskip(NEXT) | instid1(VALU_DEP_2)
	v_cmp_eq_u32_e32 vcc_lo, 0, v8
	v_cndmask_b32_e32 v8, v9, v72, vcc_lo
; %bb.110:
	s_or_b32 exec_lo, exec_lo, s2
	s_delay_alu instid0(VALU_DEP_1)
	v_perm_b32 v7, v8, v7, 0x7060302
	v_perm_b32 v6, v6, v5, 0x7060302
	;; [unrolled: 1-line block ×4, first 2 shown]
	s_barrier
	buffer_gl0_inv
	v_cmp_eq_u32_e32 vcc_lo, 1, v78
	ds_store_b128 v76, v[4:7]
	s_waitcnt lgkmcnt(0)
	s_barrier
	buffer_gl0_inv
	ds_load_b128 v[1:4], v82
	ds_load_b128 v[5:8], v82 offset:16
	v_cmp_eq_u32_e64 s2, 1, v79
	v_cmp_eq_u32_e64 s3, 2, v78
	;; [unrolled: 1-line block ×5, first 2 shown]
	s_waitcnt lgkmcnt(1)
	v_lshrrev_b32_e32 v9, 16, v1
	s_waitcnt lgkmcnt(0)
	v_lshrrev_b32_e32 v13, 16, v5
	v_lshrrev_b32_e32 v10, 16, v2
	v_lshrrev_b32_e32 v14, 16, v6
	v_lshrrev_b32_e32 v11, 16, v3
	v_cndmask_b32_e64 v19, v1, v9, s2
	v_cndmask_b32_e32 v18, v5, v13, vcc_lo
	v_cndmask_b32_e64 v20, v5, v13, s2
	v_cndmask_b32_e32 v17, v1, v9, vcc_lo
	v_cmp_eq_u32_e32 vcc_lo, 2, v79
	v_lshrrev_b32_e32 v15, 16, v7
	v_cmp_eq_u32_e64 s2, 1, v77
	v_lshrrev_b32_e32 v12, 16, v4
	v_lshrrev_b32_e32 v16, 16, v8
	v_cndmask_b32_e32 v20, v20, v6, vcc_lo
	v_cndmask_b32_e64 v17, v17, v2, s3
	v_cndmask_b32_e32 v19, v19, v2, vcc_lo
	v_cndmask_b32_e64 v18, v18, v6, s3
	v_cmp_eq_u32_e32 vcc_lo, 4, v78
	v_cmp_eq_u32_e64 s3, 3, v79
	v_cndmask_b32_e64 v17, v17, v10, s4
	v_cndmask_b32_e64 v21, v1, v9, s2
	;; [unrolled: 1-line block ×5, first 2 shown]
	v_cndmask_b32_e32 v17, v17, v3, vcc_lo
	v_cndmask_b32_e64 v20, v20, v14, s3
	v_cndmask_b32_e32 v18, v18, v7, vcc_lo
	v_cmp_eq_u32_e32 vcc_lo, 4, v79
	v_cmp_eq_u32_e64 s3, 5, v79
	v_cmp_eq_u32_e64 s2, 2, v81
	v_cndmask_b32_e64 v21, v21, v2, s6
	v_cmp_eq_u32_e64 s4, 5, v78
	v_cndmask_b32_e32 v19, v19, v3, vcc_lo
	v_cndmask_b32_e32 v20, v20, v7, vcc_lo
	v_cmp_eq_u32_e32 vcc_lo, 6, v79
	s_delay_alu instid0(VALU_DEP_4) | instskip(NEXT) | instid1(VALU_DEP_4)
	v_cndmask_b32_e64 v17, v17, v11, s4
	v_cndmask_b32_e64 v19, v19, v11, s3
	s_delay_alu instid0(VALU_DEP_4) | instskip(SKIP_1) | instid1(VALU_DEP_3)
	v_cndmask_b32_e64 v20, v20, v15, s3
	v_cmp_eq_u32_e64 s3, 1, v81
	v_cndmask_b32_e32 v19, v19, v4, vcc_lo
	v_cndmask_b32_e64 v18, v18, v15, s4
	s_delay_alu instid0(VALU_DEP_3)
	v_cndmask_b32_e64 v1, v1, v9, s3
	v_cndmask_b32_e64 v5, v5, v13, s3
	v_cmp_eq_u32_e64 s3, 3, v77
	v_cndmask_b32_e64 v13, v22, v6, s6
	v_cmp_eq_u32_e64 s6, 3, v81
	v_cndmask_b32_e64 v1, v1, v2, s2
	v_cndmask_b32_e64 v2, v5, v6, s2
	;; [unrolled: 1-line block ×3, first 2 shown]
	v_cmp_eq_u32_e64 s2, 4, v77
	v_cndmask_b32_e64 v6, v13, v14, s3
	v_cndmask_b32_e64 v1, v1, v10, s6
	v_cmp_eq_u32_e64 s3, 4, v81
	v_cndmask_b32_e64 v2, v2, v14, s6
	v_cndmask_b32_e64 v5, v9, v3, s2
	v_cmp_eq_u32_e64 s6, 5, v77
	v_cndmask_b32_e64 v6, v6, v7, s2
	v_cndmask_b32_e64 v1, v1, v3, s3
	v_cndmask_b32_e64 v2, v2, v7, s3
	v_cmp_eq_u32_e64 s2, 5, v81
	v_cmp_eq_u32_e64 s4, 6, v78
	v_cndmask_b32_e64 v5, v5, v11, s6
	v_cmp_eq_u32_e64 s3, 6, v77
	v_cndmask_b32_e64 v3, v6, v15, s6
	v_cndmask_b32_e64 v1, v1, v11, s2
	v_cmp_eq_u32_e64 s6, 6, v81
	v_cndmask_b32_e64 v2, v2, v15, s2
	v_cndmask_b32_e64 v17, v17, v4, s4
	v_cndmask_b32_e64 v18, v18, v8, s4
	v_cmp_eq_u32_e64 s4, 7, v78
	v_cndmask_b32_e64 v5, v5, v4, s3
	;; [unrolled: 4-line block ×3, first 2 shown]
	v_cmp_eq_u32_e64 s3, 7, v77
	v_cndmask_b32_e32 v4, v20, v8, vcc_lo
	v_cndmask_b32_e64 v17, v17, v12, s4
	v_cndmask_b32_e64 v19, v19, v12, s5
	;; [unrolled: 1-line block ×8, first 2 shown]
	s_mov_b32 s2, exec_lo
	v_perm_b32 v4, v2, v1, 0x5040100
	v_perm_b32 v3, v3, v5, 0x5040100
	;; [unrolled: 1-line block ×4, first 2 shown]
	ds_store_b128 v76, v[1:4]
	s_waitcnt lgkmcnt(0)
	s_barrier
	buffer_gl0_inv
	v_cmpx_gt_u32_e32 32, v0
	s_cbranch_execz .LBB1873_2
; %bb.111:
	s_load_b64 s[0:1], s[0:1], 0x68
	v_lshlrev_b32_e32 v0, 10, v0
	v_or_b32_e32 v1, s29, v74
	s_lshl_b32 s4, s34, 7
	v_lshlrev_b32_e32 v2, 4, v75
	s_mul_i32 s2, s4, s30
	v_lshlrev_b32_e32 v3, 6, v74
	v_mul_lo_u32 v8, v1, s4
	v_and_b32_e32 v0, 0x3800, v0
	v_or_b32_e32 v1, 2, v1
	s_mul_i32 s2, s2, s7
	s_delay_alu instid0(SALU_CYCLE_1) | instskip(NEXT) | instid1(VALU_DEP_2)
	s_ashr_i32 s3, s2, 31
	v_or3_b32 v4, v0, v2, v3
	s_lshl_b64 s[2:3], s[2:3], 1
	v_mul_lo_u32 v10, v1, s4
	v_ashrrev_i32_e32 v9, 31, v8
	ds_load_b128 v[0:3], v4
	ds_load_b128 v[4:7], v4 offset:128
	s_waitcnt lgkmcnt(0)
	s_add_u32 s2, s0, s2
	s_addc_u32 s3, s1, s3
	s_lshl_b32 s0, s14, 7
	v_ashrrev_i32_e32 v11, 31, v10
	s_ashr_i32 s1, s0, 31
	v_lshlrev_b64 v[8:9], 1, v[8:9]
	s_lshl_b64 s[0:1], s[0:1], 1
	s_delay_alu instid0(SALU_CYCLE_1) | instskip(SKIP_2) | instid1(VALU_DEP_1)
	s_add_u32 s0, s2, s0
	s_addc_u32 s1, s3, s1
	v_add_co_u32 v12, s0, s0, v73
	v_add_co_ci_u32_e64 v13, null, s1, 0, s0
	v_lshlrev_b64 v[10:11], 1, v[10:11]
	s_delay_alu instid0(VALU_DEP_3) | instskip(NEXT) | instid1(VALU_DEP_3)
	v_add_co_u32 v8, vcc_lo, v12, v8
	v_add_co_ci_u32_e32 v9, vcc_lo, v13, v9, vcc_lo
	s_delay_alu instid0(VALU_DEP_3) | instskip(NEXT) | instid1(VALU_DEP_4)
	v_add_co_u32 v10, vcc_lo, v12, v10
	v_add_co_ci_u32_e32 v11, vcc_lo, v13, v11, vcc_lo
	s_clause 0x1
	global_store_b128 v[8:9], v[0:3], off
	global_store_b128 v[10:11], v[4:7], off
	s_nop 0
	s_sendmsg sendmsg(MSG_DEALLOC_VGPRS)
	s_endpgm
	.section	.rodata,"a",@progbits
	.p2align	6, 0x0
	.amdhsa_kernel _Z39paged_attention_ll4mi_QKV_mfma16_kernelI14__hip_bfloat16hLN4vllm18Fp8KVCacheDataTypeE1EhLi32ELi128ELi256ELb1ELi4EL8MFMAType0EEvPKT_PKT0_S9_ifPKiSB_SB_iPKfiiiPfSE_PS4_PT2_iSD_SD_
		.amdhsa_group_segment_fixed_size 17472
		.amdhsa_private_segment_fixed_size 0
		.amdhsa_kernarg_size 400
		.amdhsa_user_sgpr_count 13
		.amdhsa_user_sgpr_dispatch_ptr 0
		.amdhsa_user_sgpr_queue_ptr 0
		.amdhsa_user_sgpr_kernarg_segment_ptr 1
		.amdhsa_user_sgpr_dispatch_id 0
		.amdhsa_user_sgpr_private_segment_size 0
		.amdhsa_wavefront_size32 1
		.amdhsa_uses_dynamic_stack 0
		.amdhsa_enable_private_segment 0
		.amdhsa_system_sgpr_workgroup_id_x 1
		.amdhsa_system_sgpr_workgroup_id_y 1
		.amdhsa_system_sgpr_workgroup_id_z 1
		.amdhsa_system_sgpr_workgroup_info 0
		.amdhsa_system_vgpr_workitem_id 0
		.amdhsa_next_free_vgpr 140
		.amdhsa_next_free_sgpr 36
		.amdhsa_reserve_vcc 1
		.amdhsa_float_round_mode_32 0
		.amdhsa_float_round_mode_16_64 0
		.amdhsa_float_denorm_mode_32 3
		.amdhsa_float_denorm_mode_16_64 3
		.amdhsa_dx10_clamp 1
		.amdhsa_ieee_mode 1
		.amdhsa_fp16_overflow 0
		.amdhsa_workgroup_processor_mode 1
		.amdhsa_memory_ordered 1
		.amdhsa_forward_progress 0
		.amdhsa_shared_vgpr_count 0
		.amdhsa_exception_fp_ieee_invalid_op 0
		.amdhsa_exception_fp_denorm_src 0
		.amdhsa_exception_fp_ieee_div_zero 0
		.amdhsa_exception_fp_ieee_overflow 0
		.amdhsa_exception_fp_ieee_underflow 0
		.amdhsa_exception_fp_ieee_inexact 0
		.amdhsa_exception_int_div_zero 0
	.end_amdhsa_kernel
	.section	.text._Z39paged_attention_ll4mi_QKV_mfma16_kernelI14__hip_bfloat16hLN4vllm18Fp8KVCacheDataTypeE1EhLi32ELi128ELi256ELb1ELi4EL8MFMAType0EEvPKT_PKT0_S9_ifPKiSB_SB_iPKfiiiPfSE_PS4_PT2_iSD_SD_,"axG",@progbits,_Z39paged_attention_ll4mi_QKV_mfma16_kernelI14__hip_bfloat16hLN4vllm18Fp8KVCacheDataTypeE1EhLi32ELi128ELi256ELb1ELi4EL8MFMAType0EEvPKT_PKT0_S9_ifPKiSB_SB_iPKfiiiPfSE_PS4_PT2_iSD_SD_,comdat
.Lfunc_end1873:
	.size	_Z39paged_attention_ll4mi_QKV_mfma16_kernelI14__hip_bfloat16hLN4vllm18Fp8KVCacheDataTypeE1EhLi32ELi128ELi256ELb1ELi4EL8MFMAType0EEvPKT_PKT0_S9_ifPKiSB_SB_iPKfiiiPfSE_PS4_PT2_iSD_SD_, .Lfunc_end1873-_Z39paged_attention_ll4mi_QKV_mfma16_kernelI14__hip_bfloat16hLN4vllm18Fp8KVCacheDataTypeE1EhLi32ELi128ELi256ELb1ELi4EL8MFMAType0EEvPKT_PKT0_S9_ifPKiSB_SB_iPKfiiiPfSE_PS4_PT2_iSD_SD_
                                        ; -- End function
	.section	.AMDGPU.csdata,"",@progbits
; Kernel info:
; codeLenInByte = 8740
; NumSgprs: 38
; NumVgprs: 140
; ScratchSize: 0
; MemoryBound: 0
; FloatMode: 240
; IeeeMode: 1
; LDSByteSize: 17472 bytes/workgroup (compile time only)
; SGPRBlocks: 4
; VGPRBlocks: 17
; NumSGPRsForWavesPerEU: 38
; NumVGPRsForWavesPerEU: 140
; Occupancy: 10
; WaveLimiterHint : 1
; COMPUTE_PGM_RSRC2:SCRATCH_EN: 0
; COMPUTE_PGM_RSRC2:USER_SGPR: 13
; COMPUTE_PGM_RSRC2:TRAP_HANDLER: 0
; COMPUTE_PGM_RSRC2:TGID_X_EN: 1
; COMPUTE_PGM_RSRC2:TGID_Y_EN: 1
; COMPUTE_PGM_RSRC2:TGID_Z_EN: 1
; COMPUTE_PGM_RSRC2:TIDIG_COMP_CNT: 0
	.section	.text._Z39paged_attention_ll4mi_QKV_mfma16_kernelI14__hip_bfloat16hLN4vllm18Fp8KVCacheDataTypeE1EhLi32ELi128ELi256ELb0ELi5EL8MFMAType0EEvPKT_PKT0_S9_ifPKiSB_SB_iPKfiiiPfSE_PS4_PT2_iSD_SD_,"axG",@progbits,_Z39paged_attention_ll4mi_QKV_mfma16_kernelI14__hip_bfloat16hLN4vllm18Fp8KVCacheDataTypeE1EhLi32ELi128ELi256ELb0ELi5EL8MFMAType0EEvPKT_PKT0_S9_ifPKiSB_SB_iPKfiiiPfSE_PS4_PT2_iSD_SD_,comdat
	.protected	_Z39paged_attention_ll4mi_QKV_mfma16_kernelI14__hip_bfloat16hLN4vllm18Fp8KVCacheDataTypeE1EhLi32ELi128ELi256ELb0ELi5EL8MFMAType0EEvPKT_PKT0_S9_ifPKiSB_SB_iPKfiiiPfSE_PS4_PT2_iSD_SD_ ; -- Begin function _Z39paged_attention_ll4mi_QKV_mfma16_kernelI14__hip_bfloat16hLN4vllm18Fp8KVCacheDataTypeE1EhLi32ELi128ELi256ELb0ELi5EL8MFMAType0EEvPKT_PKT0_S9_ifPKiSB_SB_iPKfiiiPfSE_PS4_PT2_iSD_SD_
	.globl	_Z39paged_attention_ll4mi_QKV_mfma16_kernelI14__hip_bfloat16hLN4vllm18Fp8KVCacheDataTypeE1EhLi32ELi128ELi256ELb0ELi5EL8MFMAType0EEvPKT_PKT0_S9_ifPKiSB_SB_iPKfiiiPfSE_PS4_PT2_iSD_SD_
	.p2align	8
	.type	_Z39paged_attention_ll4mi_QKV_mfma16_kernelI14__hip_bfloat16hLN4vllm18Fp8KVCacheDataTypeE1EhLi32ELi128ELi256ELb0ELi5EL8MFMAType0EEvPKT_PKT0_S9_ifPKiSB_SB_iPKfiiiPfSE_PS4_PT2_iSD_SD_,@function
_Z39paged_attention_ll4mi_QKV_mfma16_kernelI14__hip_bfloat16hLN4vllm18Fp8KVCacheDataTypeE1EhLi32ELi128ELi256ELb0ELi5EL8MFMAType0EEvPKT_PKT0_S9_ifPKiSB_SB_iPKfiiiPfSE_PS4_PT2_iSD_SD_: ; @_Z39paged_attention_ll4mi_QKV_mfma16_kernelI14__hip_bfloat16hLN4vllm18Fp8KVCacheDataTypeE1EhLi32ELi128ELi256ELb0ELi5EL8MFMAType0EEvPKT_PKT0_S9_ifPKiSB_SB_iPKfiiiPfSE_PS4_PT2_iSD_SD_
; %bb.0:
	s_load_b64 s[4:5], s[0:1], 0x30
	s_mov_b32 s30, s13
	s_waitcnt lgkmcnt(0)
	s_cmp_lg_u64 s[4:5], 0
	s_cselect_b32 s13, -1, 0
	s_ashr_i32 s31, s30, 31
	s_cmp_eq_u64 s[4:5], 0
	s_cbranch_scc1 .LBB1874_3
; %bb.1:
	s_lshl_b64 s[2:3], s[30:31], 2
	s_delay_alu instid0(SALU_CYCLE_1) | instskip(SKIP_4) | instid1(SALU_CYCLE_1)
	s_add_u32 s2, s4, s2
	s_addc_u32 s3, s5, s3
	s_load_b64 s[2:3], s[2:3], 0x0
	s_waitcnt lgkmcnt(0)
	s_sub_i32 s2, s3, s2
	s_cmp_eq_u32 s2, 1
	s_cselect_b32 s2, -1, 0
	s_delay_alu instid0(SALU_CYCLE_1)
	s_and_not1_b32 vcc_lo, exec_lo, s2
	s_cbranch_vccz .LBB1874_4
.LBB1874_2:
	s_nop 0
	s_sendmsg sendmsg(MSG_DEALLOC_VGPRS)
	s_endpgm
.LBB1874_3:
.LBB1874_4:
	s_load_b64 s[2:3], s[0:1], 0x28
	s_lshl_b64 s[6:7], s[30:31], 2
	s_waitcnt lgkmcnt(0)
	s_add_u32 s2, s2, s6
	s_addc_u32 s3, s3, s7
	s_lshl_b32 s12, s14, 8
	s_load_b32 s17, s[2:3], 0x0
	s_waitcnt lgkmcnt(0)
	s_cmp_ge_i32 s12, s17
	s_cbranch_scc1 .LBB1874_2
; %bb.5:
	s_clause 0x1
	s_load_b128 s[8:11], s[0:1], 0x8
	s_load_b64 s[2:3], s[0:1], 0x20
	s_and_not1_b32 vcc_lo, exec_lo, s13
	s_cbranch_vccnz .LBB1874_7
; %bb.6:
	s_add_u32 s4, s4, s6
	s_addc_u32 s5, s5, s7
	s_load_b32 s13, s[4:5], 0x0
	s_branch .LBB1874_8
.LBB1874_7:
	s_mov_b32 s13, s30
.LBB1874_8:
	s_load_b128 s[4:7], s[0:1], 0x48
	v_and_b32_e32 v65, 15, v0
	v_lshrrev_b32_e32 v66, 5, v0
	v_bfe_u32 v74, v0, 4, 1
	v_and_b32_e32 v67, 31, v0
	v_and_b32_e32 v75, 1, v0
	v_lshlrev_b32_e32 v2, 3, v65
	s_mul_i32 s31, s15, 5
	v_lshl_or_b32 v1, v66, 1, v74
	s_waitcnt lgkmcnt(0)
	s_mov_b32 s7, exec_lo
	v_lshlrev_b32_e32 v73, 1, v2
	s_delay_alu instid0(VALU_DEP_2)
	v_cmpx_gt_u32_e32 5, v1
	s_cbranch_execz .LBB1874_10
; %bb.9:
	s_load_b64 s[18:19], s[0:1], 0x0
	v_add_lshl_u32 v2, v1, s31, 7
	s_mul_hi_i32 s21, s13, s4
	s_mul_i32 s20, s13, s4
	v_lshlrev_b32_e32 v6, 10, v65
	s_lshl_b64 s[20:21], s[20:21], 1
	v_ashrrev_i32_e32 v3, 31, v2
	v_lshlrev_b32_e32 v1, 6, v1
	v_lshlrev_b32_e32 v7, 10, v75
	v_and_b32_e32 v6, 0x3800, v6
	s_delay_alu instid0(VALU_DEP_4) | instskip(NEXT) | instid1(VALU_DEP_2)
	v_lshlrev_b64 v[2:3], 1, v[2:3]
	v_or3_b32 v1, v6, v7, v1
	s_waitcnt lgkmcnt(0)
	s_add_u32 s4, s18, s20
	s_addc_u32 s13, s19, s21
	s_delay_alu instid0(VALU_DEP_2) | instskip(SKIP_1) | instid1(VALU_DEP_2)
	v_add_co_u32 v2, vcc_lo, s4, v2
	v_add_co_ci_u32_e32 v3, vcc_lo, s13, v3, vcc_lo
	v_add_co_u32 v2, vcc_lo, v2, v73
	s_delay_alu instid0(VALU_DEP_2)
	v_add_co_ci_u32_e32 v3, vcc_lo, 0, v3, vcc_lo
	global_load_b128 v[2:5], v[2:3], off
	s_waitcnt vmcnt(0)
	ds_store_b128 v1, v[2:5]
.LBB1874_10:
	s_or_b32 exec_lo, exec_lo, s7
	v_and_b32_e32 v1, 0xef, v0
	s_add_i32 s4, s17, 31
	s_clause 0x1
	s_load_b32 s7, s[0:1], 0x38
	s_load_b32 s18, s[0:1], 0x1c
	s_ashr_i32 s13, s4, 31
	v_add_nc_u32_e32 v2, s12, v1
	s_lshr_b32 s13, s13, 27
	s_waitcnt lgkmcnt(0)
	s_add_i32 s4, s4, s13
	s_barrier
	v_ashrrev_i32_e32 v1, 31, v2
	s_ashr_i32 s4, s4, 5
	v_cmp_gt_i32_e32 vcc_lo, s17, v2
	s_add_i32 s4, s4, -1
	buffer_gl0_inv
	v_lshrrev_b32_e32 v3, 27, v1
	v_or_b32_e32 v1, 16, v2
	s_mul_i32 s15, s15, s6
	s_delay_alu instid0(VALU_DEP_2) | instskip(SKIP_1) | instid1(SALU_CYCLE_1)
	v_add_nc_u32_e32 v4, v2, v3
	s_mul_i32 s20, s30, s7
	s_ashr_i32 s21, s20, 31
	s_delay_alu instid0(VALU_DEP_1) | instskip(SKIP_2) | instid1(SALU_CYCLE_1)
	v_ashrrev_i32_e32 v4, 5, v4
	v_add_nc_u32_e32 v3, v1, v3
	s_lshl_b64 s[20:21], s[20:21], 2
	s_add_u32 s7, s2, s20
	s_delay_alu instid0(VALU_DEP_2) | instskip(NEXT) | instid1(VALU_DEP_2)
	v_cndmask_b32_e32 v2, s4, v4, vcc_lo
	v_ashrrev_i32_e32 v3, 5, v3
	v_cmp_gt_i32_e32 vcc_lo, s17, v1
	s_addc_u32 s13, s3, s21
	s_ashr_i32 s6, s15, 31
	s_add_u32 s2, s8, s15
	s_addc_u32 s3, s9, s6
	v_cndmask_b32_e32 v4, s4, v3, vcc_lo
	v_ashrrev_i32_e32 v3, 31, v2
	s_lshl_b32 s8, s14, 3
	s_delay_alu instid0(SALU_CYCLE_1) | instskip(NEXT) | instid1(VALU_DEP_2)
	s_ashr_i32 s9, s8, 31
	v_ashrrev_i32_e32 v5, 31, v4
	s_delay_alu instid0(VALU_DEP_2) | instskip(SKIP_1) | instid1(SALU_CYCLE_1)
	v_lshlrev_b64 v[1:2], 2, v[2:3]
	s_lshl_b64 s[8:9], s[8:9], 2
	s_add_u32 s8, s7, s8
	s_delay_alu instid0(VALU_DEP_2) | instskip(SKIP_1) | instid1(VALU_DEP_2)
	v_lshlrev_b64 v[3:4], 2, v[4:5]
	s_addc_u32 s9, s13, s9
	v_add_co_u32 v1, vcc_lo, s7, v1
	v_add_co_ci_u32_e32 v2, vcc_lo, s13, v2, vcc_lo
	s_delay_alu instid0(VALU_DEP_3) | instskip(NEXT) | instid1(VALU_DEP_4)
	v_add_co_u32 v3, vcc_lo, s7, v3
	v_add_co_ci_u32_e32 v4, vcc_lo, s13, v4, vcc_lo
	s_clause 0x1
	global_load_b32 v5, v[1:2], off
	global_load_b32 v6, v[3:4], off
	s_or_b32 s16, s12, 32
	s_delay_alu instid0(SALU_CYCLE_1) | instskip(SKIP_2) | instid1(SALU_CYCLE_1)
	s_ashr_i32 s19, s16, 5
	s_cmp_lt_i32 s16, s17
	s_cselect_b32 s20, s19, s4
	s_ashr_i32 s21, s20, 31
	s_delay_alu instid0(SALU_CYCLE_1) | instskip(NEXT) | instid1(SALU_CYCLE_1)
	s_lshl_b64 s[20:21], s[20:21], 2
	s_add_u32 s20, s7, s20
	s_addc_u32 s21, s13, s21
	s_or_b32 s16, s12, 64
	s_delay_alu instid0(SALU_CYCLE_1) | instskip(SKIP_2) | instid1(SALU_CYCLE_1)
	s_ashr_i32 s19, s16, 5
	s_cmp_lt_i32 s16, s17
	s_cselect_b32 s22, s19, s4
	s_ashr_i32 s23, s22, 31
	s_delay_alu instid0(SALU_CYCLE_1) | instskip(NEXT) | instid1(SALU_CYCLE_1)
	s_lshl_b64 s[22:23], s[22:23], 2
	s_add_u32 s22, s7, s22
	s_addc_u32 s23, s13, s23
	;; [unrolled: 10-line block ×5, first 2 shown]
	s_clause 0x5
	s_load_b32 s16, s[8:9], 0x0
	s_load_b32 s19, s[20:21], 0x0
	;; [unrolled: 1-line block ×6, first 2 shown]
	s_mov_b32 s20, 0
	s_delay_alu instid0(SALU_CYCLE_1)
	s_mov_b32 s21, s20
	s_mov_b32 s22, s20
	;; [unrolled: 1-line block ×7, first 2 shown]
	s_delay_alu instid0(SALU_CYCLE_1)
	v_dual_mov_b32 v107, s27 :: v_dual_mov_b32 v106, s26
	v_dual_mov_b32 v105, s25 :: v_dual_mov_b32 v102, s22
	;; [unrolled: 1-line block ×4, first 2 shown]
	s_waitcnt vmcnt(1)
	v_mad_i64_i32 v[1:2], null, v5, s5, s[2:3]
	v_lshlrev_b32_e32 v5, 4, v65
	s_waitcnt vmcnt(0)
	v_mad_i64_i32 v[3:4], null, v6, s5, s[2:3]
	s_or_b32 s2, s12, 0xc0
	s_delay_alu instid0(SALU_CYCLE_1) | instskip(NEXT) | instid1(VALU_DEP_3)
	s_ashr_i32 s3, s2, 5
	v_add_co_u32 v25, vcc_lo, v1, v5
	s_delay_alu instid0(VALU_DEP_4) | instskip(NEXT) | instid1(VALU_DEP_3)
	v_add_co_ci_u32_e32 v26, vcc_lo, 0, v2, vcc_lo
	v_add_co_u32 v27, vcc_lo, v3, v5
	s_delay_alu instid0(VALU_DEP_4)
	v_add_co_ci_u32_e32 v28, vcc_lo, 0, v4, vcc_lo
	s_clause 0xf
	global_load_b128 v[1:4], v[25:26], off
	global_load_b128 v[5:8], v[25:26], off offset:512
	global_load_b128 v[9:12], v[27:28], off offset:256
	;; [unrolled: 1-line block ×15, first 2 shown]
	v_mul_lo_u16 v25, v65, 52
	s_cmp_lt_i32 s2, s17
	v_lshlrev_b32_e32 v26, 5, v65
	s_cselect_b32 s2, s3, s4
	s_delay_alu instid0(VALU_DEP_2) | instskip(SKIP_1) | instid1(VALU_DEP_2)
	v_lshrrev_b16 v25, 8, v25
	s_ashr_i32 s3, s2, 31
	v_lshl_or_b32 v33, v66, 9, v26
	s_lshl_b64 s[2:3], s[2:3], 2
	s_delay_alu instid0(VALU_DEP_2) | instskip(SKIP_3) | instid1(VALU_DEP_1)
	v_mul_lo_u16 v25, v25, 5
	s_add_u32 s2, s7, s2
	s_addc_u32 s3, s13, s3
	s_or_b32 s8, s12, 0xe0
	v_sub_nc_u16 v25, v65, v25
	s_ashr_i32 s9, s8, 5
	s_cmp_lt_i32 s8, s17
	s_cselect_b32 s8, s9, s4
	s_delay_alu instid0(VALU_DEP_1) | instskip(SKIP_1) | instid1(SALU_CYCLE_1)
	v_and_b32_e32 v25, 0xff, v25
	s_ashr_i32 s9, s8, 31
	s_lshl_b64 s[8:9], s[8:9], 2
	s_delay_alu instid0(VALU_DEP_1)
	v_lshlrev_b32_e32 v72, 6, v25
	ds_load_b128 v[25:28], v72
	ds_load_b128 v[29:32], v72 offset:1024
	ds_load_b128 v[108:111], v72 offset:2048
	ds_load_b128 v[112:115], v72 offset:3072
	s_load_b32 s4, s[2:3], 0x0
	s_add_u32 s2, s7, s8
	s_addc_u32 s3, s13, s9
	ds_load_b128 v[116:119], v72 offset:4096
	ds_load_b128 v[120:123], v72 offset:5120
	s_load_b32 s2, s[2:3], 0x0
	s_add_u32 s7, s10, s15
	s_addc_u32 s6, s11, s6
	v_add_co_u32 v68, s7, s7, v33
	s_delay_alu instid0(VALU_DEP_1) | instskip(SKIP_1) | instid1(VALU_DEP_1)
	v_add_co_ci_u32_e64 v69, null, s6, 0, s7
	s_waitcnt lgkmcnt(0)
	v_mad_i64_i32 v[33:34], null, s16, s5, v[68:69]
	v_mad_i64_i32 v[70:71], null, s33, s5, v[68:69]
	;; [unrolled: 1-line block ×7, first 2 shown]
	s_clause 0x3
	global_load_b128 v[41:44], v[33:34], off
	global_load_b128 v[45:48], v[33:34], off offset:16
	global_load_b128 v[33:36], v[37:38], off
	global_load_b128 v[37:40], v[37:38], off offset:16
	s_waitcnt vmcnt(18)
	v_wmma_f32_16x16x16_bf16 v[124:131], v[1:8], v[25:32], v[100:107]
	s_waitcnt vmcnt(16)
	v_wmma_f32_16x16x16_bf16 v[100:107], v[9:16], v[25:32], v[100:107]
	s_clause 0x1
	global_load_b128 v[25:28], v[70:71], off
	global_load_b128 v[29:32], v[70:71], off offset:16
	s_waitcnt vmcnt(16)
	v_wmma_f32_16x16x16_bf16 v[124:131], v[17:24], v[108:115], v[124:131]
	s_clause 0x1
	global_load_b128 v[17:20], v[132:133], off
	global_load_b128 v[21:24], v[132:133], off offset:16
	s_waitcnt vmcnt(16)
	v_wmma_f32_16x16x16_bf16 v[100:107], v[49:56], v[108:115], v[100:107]
	v_mad_i64_i32 v[53:54], null, s2, s5, v[68:69]
	s_clause 0x3
	global_load_b128 v[1:4], v[134:135], off
	global_load_b128 v[5:8], v[134:135], off offset:16
	global_load_b128 v[9:12], v[136:137], off
	global_load_b128 v[13:16], v[136:137], off offset:16
	s_waitcnt vmcnt(18)
	v_wmma_f32_16x16x16_bf16 v[124:131], v[57:64], v[116:123], v[124:131]
	s_clause 0x3
	global_load_b128 v[57:60], v[138:139], off
	global_load_b128 v[61:64], v[138:139], off offset:16
	global_load_b128 v[49:52], v[53:54], off
	global_load_b128 v[53:56], v[53:54], off offset:16
	s_waitcnt vmcnt(20)
	v_wmma_f32_16x16x16_bf16 v[100:107], v[76:83], v[116:123], v[100:107]
	ds_load_b128 v[76:79], v72 offset:6144
	ds_load_b128 v[80:83], v72 offset:7168
	v_mbcnt_lo_u32_b32 v69, -1, 0
	s_waitcnt vmcnt(0) lgkmcnt(0)
	s_barrier
	buffer_gl0_inv
	v_xor_b32_e32 v70, 16, v69
	s_delay_alu instid0(VALU_DEP_1) | instskip(SKIP_4) | instid1(VALU_DEP_2)
	v_cmp_gt_i32_e32 vcc_lo, 32, v70
	v_cndmask_b32_e32 v69, v69, v70, vcc_lo
	v_wmma_f32_16x16x16_bf16 v[124:131], v[84:91], v[76:83], v[124:131]
	v_and_b32_e32 v68, 0xe0, v0
	v_wmma_f32_16x16x16_bf16 v[100:107], v[92:99], v[76:83], v[100:107]
	v_dual_mul_f32 v81, s18, v129 :: v_dual_add_nc_u32 v68, s12, v68
	s_delay_alu instid0(VALU_DEP_4) | instskip(NEXT) | instid1(VALU_DEP_3)
	v_dual_mul_f32 v83, s18, v131 :: v_dual_mul_f32 v78, s18, v125
	v_mul_f32_e32 v95, s18, v103
	v_mul_f32_e32 v79, s18, v127
	s_delay_alu instid0(VALU_DEP_4) | instskip(SKIP_3) | instid1(VALU_DEP_4)
	v_or_b32_e32 v68, v68, v74
	v_dual_mul_f32 v80, s18, v126 :: v_dual_mul_f32 v97, s18, v105
	v_dual_mul_f32 v93, s18, v101 :: v_dual_mul_f32 v82, s18, v128
	v_mul_f32_e32 v99, s18, v107
	v_or_b32_e32 v70, 2, v68
	v_or_b32_e32 v71, 4, v68
	;; [unrolled: 1-line block ×3, first 2 shown]
	v_cmp_gt_i32_e64 s2, s17, v68
	v_or_b32_e32 v108, 8, v68
	v_cmp_gt_i32_e32 vcc_lo, s17, v70
	v_mul_f32_e32 v70, s18, v124
	v_or_b32_e32 v109, 10, v68
	v_cmp_gt_i32_e64 s3, s17, v71
	v_cmp_gt_i32_e64 s4, s17, v72
	v_cndmask_b32_e32 v78, 0xff7fffff, v78, vcc_lo
	v_cndmask_b32_e64 v70, 0xff7fffff, v70, s2
	v_or_b32_e32 v84, 12, v68
	v_or_b32_e32 v85, 14, v68
	v_cndmask_b32_e64 v71, 0xff7fffff, v80, s3
	v_cndmask_b32_e64 v72, 0xff7fffff, v79, s4
	v_max3_f32 v70, v70, 0xff7fffff, v78
	v_cmp_gt_i32_e64 s5, s17, v108
	v_cmp_gt_i32_e64 s6, s17, v109
	v_or_b32_e32 v86, 16, v68
	v_or_b32_e32 v87, 18, v68
	;; [unrolled: 1-line block ×3, first 2 shown]
	v_mul_f32_e32 v92, s18, v130
	v_cndmask_b32_e64 v78, 0xff7fffff, v82, s5
	v_cndmask_b32_e64 v79, 0xff7fffff, v81, s6
	v_max3_f32 v70, v70, v71, v72
	v_cmp_gt_i32_e64 s7, s17, v84
	v_cmp_gt_i32_e64 s8, s17, v85
	v_or_b32_e32 v88, 20, v68
	v_mul_f32_e32 v94, s18, v100
	v_max3_f32 v70, v70, v78, v79
	v_cmp_gt_i32_e64 s9, s17, v86
	v_cndmask_b32_e64 v72, 0xff7fffff, v83, s8
	v_cmp_gt_i32_e64 s10, s17, v87
	v_cmp_gt_i32_e64 s12, s17, v89
	v_lshlrev_b32_e32 v89, 2, v69
	v_cndmask_b32_e64 v71, 0xff7fffff, v92, s7
	v_or_b32_e32 v90, 24, v68
	v_or_b32_e32 v91, 26, v68
	v_mul_f32_e32 v96, s18, v102
	v_cndmask_b32_e64 v78, 0xff7fffff, v94, s9
	v_cndmask_b32_e64 v79, 0xff7fffff, v93, s10
	v_max3_f32 v70, v70, v71, v72
	v_cmp_gt_i32_e64 s11, s17, v88
	v_or_b32_e32 v76, 28, v68
	v_or_b32_e32 v77, 30, v68
	v_mul_f32_e32 v98, s18, v104
	v_cndmask_b32_e64 v72, 0xff7fffff, v95, s12
	v_cndmask_b32_e64 v71, 0xff7fffff, v96, s11
	v_max3_f32 v70, v70, v78, v79
	v_cmp_gt_i32_e64 s13, s17, v90
	v_cmp_gt_i32_e64 s15, s17, v91
	v_mul_f32_e32 v68, s18, v106
	v_cmp_gt_i32_e64 s16, s17, v76
	v_max3_f32 v70, v70, v71, v72
	v_cndmask_b32_e64 v78, 0xff7fffff, v98, s13
	v_cndmask_b32_e64 v79, 0xff7fffff, v97, s15
	v_cmp_gt_i32_e64 s17, s17, v77
	v_cndmask_b32_e64 v68, 0xff7fffff, v68, s16
	s_delay_alu instid0(VALU_DEP_3) | instskip(NEXT) | instid1(VALU_DEP_3)
	v_max3_f32 v70, v70, v78, v79
	v_cndmask_b32_e64 v71, 0xff7fffff, v99, s17
	s_delay_alu instid0(VALU_DEP_1) | instskip(SKIP_3) | instid1(VALU_DEP_1)
	v_max3_f32 v68, v70, v68, v71
	ds_bpermute_b32 v69, v89, v68
	s_waitcnt lgkmcnt(0)
	v_max_f32_e32 v69, v69, v69
	v_max_f32_e32 v68, v68, v69
	s_delay_alu instid0(VALU_DEP_1) | instskip(NEXT) | instid1(VALU_DEP_1)
	v_fma_f32 v71, s18, v126, -v68
	v_mul_f32_e32 v71, 0x3fb8aa3b, v71
	s_delay_alu instid0(VALU_DEP_1) | instskip(SKIP_3) | instid1(VALU_DEP_1)
	v_exp_f32_e32 v71, v71
	s_waitcnt_depctr 0xfff
	v_cndmask_b32_e64 v83, 0, v71, s3
	v_fma_f32 v71, s18, v131, -v68
	v_mul_f32_e32 v71, 0x3fb8aa3b, v71
	v_fma_f32 v69, s18, v124, -v68
	v_fma_f32 v76, s18, v128, -v68
	;; [unrolled: 1-line block ×4, first 2 shown]
	v_exp_f32_e32 v71, v71
	v_mul_f32_e32 v69, 0x3fb8aa3b, v69
	v_mul_f32_e32 v77, 0x3fb8aa3b, v76
	v_fma_f32 v81, s18, v105, -v68
	v_fma_f32 v78, s18, v130, -v68
	s_delay_alu instid0(VALU_DEP_4) | instskip(NEXT) | instid1(VALU_DEP_3)
	v_exp_f32_e32 v69, v69
	v_exp_f32_e32 v77, v77
	s_delay_alu instid0(VALU_DEP_2) | instskip(NEXT) | instid1(TRANS32_DEP_3)
	v_mul_f32_e32 v81, 0x3fb8aa3b, v81
	v_cndmask_b32_e64 v88, 0, v71, s8
	v_fma_f32 v71, s18, v104, -v68
	s_delay_alu instid0(VALU_DEP_3) | instskip(NEXT) | instid1(TRANS32_DEP_3)
	v_exp_f32_e32 v81, v81
	v_cndmask_b32_e64 v80, 0, v69, s2
	v_fma_f32 v69, s18, v129, -v68
	v_mul_f32_e32 v70, 0x3fb8aa3b, v70
	s_delay_alu instid0(TRANS32_DEP_2)
	v_cndmask_b32_e64 v86, 0, v77, s5
	v_mul_f32_e32 v72, 0x3fb8aa3b, v72
	v_fma_f32 v77, s18, v101, -v68
	v_mul_f32_e32 v69, 0x3fb8aa3b, v69
	v_exp_f32_e32 v70, v70
	v_mul_f32_e32 v71, 0x3fb8aa3b, v71
	v_exp_f32_e32 v72, v72
	;; [unrolled: 2-line block ×3, first 2 shown]
	v_cmp_gt_u32_e64 s2, 16, v67
	v_exp_f32_e32 v82, v71
	s_delay_alu instid0(VALU_DEP_2) | instskip(SKIP_4) | instid1(TRANS32_DEP_3)
	v_exp_f32_e32 v77, v77
	v_cndmask_b32_e32 v76, 0, v70, vcc_lo
	v_add_f32_e32 v70, 0, v80
	v_cndmask_b32_e64 v85, 0, v72, s4
	v_fma_f32 v72, s18, v100, -v68
	v_cndmask_b32_e64 v87, 0, v69, s6
	s_delay_alu instid0(VALU_DEP_4) | instskip(NEXT) | instid1(VALU_DEP_3)
	v_add_f32_e32 v70, v70, v76
	v_mul_f32_e32 v72, 0x3fb8aa3b, v72
	s_delay_alu instid0(VALU_DEP_2) | instskip(NEXT) | instid1(VALU_DEP_2)
	v_add_f32_e32 v70, v70, v83
	v_exp_f32_e32 v72, v72
	s_delay_alu instid0(VALU_DEP_1) | instskip(NEXT) | instid1(VALU_DEP_1)
	v_add_f32_e32 v70, v70, v85
	v_add_f32_e32 v69, v70, v86
	v_fma_f32 v70, s18, v102, -v68
	s_delay_alu instid0(VALU_DEP_2) | instskip(NEXT) | instid1(VALU_DEP_2)
	v_dual_add_f32 v69, v69, v87 :: v_dual_mul_f32 v78, 0x3fb8aa3b, v78
	v_mul_f32_e32 v70, 0x3fb8aa3b, v70
	s_delay_alu instid0(VALU_DEP_2) | instskip(NEXT) | instid1(VALU_DEP_1)
	v_exp_f32_e32 v78, v78
	v_exp_f32_e32 v79, v70
	s_delay_alu instid0(TRANS32_DEP_3) | instskip(SKIP_4) | instid1(VALU_DEP_2)
	v_cndmask_b32_e64 v70, 0, v72, s9
	s_waitcnt_depctr 0xfff
	v_cndmask_b32_e64 v84, 0, v78, s7
	v_fma_f32 v78, s18, v103, -v68
	v_cndmask_b32_e64 v71, 0, v79, s11
	v_dual_add_f32 v69, v69, v84 :: v_dual_mul_f32 v78, 0x3fb8aa3b, v78
	s_delay_alu instid0(VALU_DEP_1) | instskip(NEXT) | instid1(VALU_DEP_2)
	v_add_f32_e32 v72, v69, v88
	v_exp_f32_e32 v78, v78
	v_cndmask_b32_e64 v69, 0, v77, s10
	v_fma_f32 v77, s18, v106, -v68
	s_delay_alu instid0(VALU_DEP_1) | instskip(NEXT) | instid1(VALU_DEP_1)
	v_dual_add_f32 v72, v72, v70 :: v_dual_mul_f32 v77, 0x3fb8aa3b, v77
	v_add_f32_e32 v79, v72, v69
	s_waitcnt_depctr 0xfff
	v_cndmask_b32_e64 v72, 0, v78, s12
	v_exp_f32_e32 v90, v77
	v_cndmask_b32_e64 v77, 0, v82, s13
	v_add_f32_e32 v78, v79, v71
	v_fma_f32 v79, s18, v107, -v68
	s_delay_alu instid0(VALU_DEP_1) | instskip(SKIP_1) | instid1(VALU_DEP_2)
	v_dual_add_f32 v82, v78, v72 :: v_dual_mul_f32 v79, 0x3fb8aa3b, v79
	v_cndmask_b32_e64 v78, 0, v81, s15
	v_add_f32_e32 v81, v82, v77
	s_delay_alu instid0(VALU_DEP_3) | instskip(NEXT) | instid1(TRANS32_DEP_2)
	v_exp_f32_e32 v82, v79
	v_cndmask_b32_e64 v79, 0, v90, s16
	s_delay_alu instid0(VALU_DEP_2) | instskip(NEXT) | instid1(VALU_DEP_1)
	v_add_f32_e32 v81, v81, v78
	v_add_f32_e32 v90, v81, v79
	s_waitcnt_depctr 0xfff
	v_cndmask_b32_e64 v81, 0, v82, s17
	s_delay_alu instid0(VALU_DEP_1)
	v_add_f32_e32 v82, v90, v81
	ds_bpermute_b32 v89, v89, v82
	s_and_saveexec_b32 s3, s2
	s_cbranch_execz .LBB1874_12
; %bb.11:
	v_mul_u32_u24_e32 v67, 0x44, v66
	s_delay_alu instid0(VALU_DEP_1) | instskip(SKIP_1) | instid1(VALU_DEP_1)
	v_lshl_add_u32 v67, v65, 2, v67
	s_waitcnt lgkmcnt(0)
	v_dual_add_f32 v82, v82, v89 :: v_dual_add_nc_u32 v67, 0x4000, v67
	ds_store_2addr_b32 v67, v68, v82 offset1:136
.LBB1874_12:
	s_or_b32 exec_lo, exec_lo, s3
	v_lshlrev_b32_e32 v67, 2, v65
	s_waitcnt lgkmcnt(0)
	s_barrier
	buffer_gl0_inv
	v_cmp_eq_u32_e32 vcc_lo, 1, v66
	v_add_nc_u32_e32 v82, 0x4000, v67
	v_cmp_eq_u32_e64 s3, 2, v66
	v_cmp_eq_u32_e64 s5, 7, v66
	ds_load_2addr_b32 v[89:90], v82 offset1:17
	ds_load_2addr_b32 v[91:92], v82 offset0:34 offset1:51
	ds_load_2addr_b32 v[93:94], v82 offset0:68 offset1:85
	;; [unrolled: 1-line block ×4, first 2 shown]
	s_waitcnt lgkmcnt(4)
	v_max3_f32 v67, v89, 0xff7fffff, v90
	s_waitcnt lgkmcnt(3)
	s_delay_alu instid0(VALU_DEP_1) | instskip(SKIP_1) | instid1(VALU_DEP_1)
	v_max3_f32 v67, v67, v91, v92
	s_waitcnt lgkmcnt(2)
	v_max3_f32 v67, v67, v93, v94
	s_waitcnt lgkmcnt(1)
	s_delay_alu instid0(VALU_DEP_1) | instskip(NEXT) | instid1(VALU_DEP_1)
	v_max3_f32 v67, v67, v95, v96
	v_sub_f32_e32 v93, v93, v67
	s_delay_alu instid0(VALU_DEP_1) | instskip(NEXT) | instid1(VALU_DEP_1)
	v_dual_sub_f32 v68, v89, v67 :: v_dual_mul_f32 v103, 0x3fb8aa3b, v93
	v_mul_f32_e32 v68, 0x3fb8aa3b, v68
	s_delay_alu instid0(VALU_DEP_1)
	v_exp_f32_e32 v100, v68
	v_sub_f32_e32 v68, v92, v67
	v_sub_f32_e32 v99, v90, v67
	ds_load_2addr_b32 v[89:90], v82 offset0:170 offset1:187
	v_dual_mul_f32 v102, 0x3fb8aa3b, v68 :: v_dual_mul_f32 v99, 0x3fb8aa3b, v99
	s_waitcnt lgkmcnt(1)
	v_fma_f32 v68, v100, v97, 0
	s_delay_alu instid0(VALU_DEP_2) | instskip(NEXT) | instid1(VALU_DEP_2)
	v_exp_f32_e32 v102, v102
	v_exp_f32_e32 v99, v99
	s_waitcnt_depctr 0xfff
	v_fmac_f32_e32 v68, v99, v98
	v_sub_f32_e32 v91, v91, v67
	s_delay_alu instid0(VALU_DEP_1)
	v_mul_f32_e32 v101, 0x3fb8aa3b, v91
	ds_load_2addr_b32 v[91:92], v82 offset0:204 offset1:221
	v_sub_f32_e32 v97, v94, v67
	ds_load_2addr_b32 v[93:94], v82 offset0:238 offset1:255
	s_waitcnt lgkmcnt(0)
	v_exp_f32_e32 v101, v101
	s_barrier
	buffer_gl0_inv
	v_dual_fmac_f32 v68, v101, v89 :: v_dual_sub_f32 v89, v96, v67
	v_dual_sub_f32 v82, v95, v67 :: v_dual_mul_f32 v95, 0x3fb8aa3b, v97
	v_exp_f32_e32 v97, v103
	s_delay_alu instid0(VALU_DEP_2) | instskip(NEXT) | instid1(VALU_DEP_2)
	v_dual_fmac_f32 v68, v102, v90 :: v_dual_mul_f32 v89, 0x3fb8aa3b, v89
	v_mul_f32_e32 v82, 0x3fb8aa3b, v82
	s_delay_alu instid0(VALU_DEP_3) | instskip(NEXT) | instid1(VALU_DEP_2)
	v_exp_f32_e32 v95, v95
	v_exp_f32_e32 v89, v89
	s_delay_alu instid0(VALU_DEP_1)
	v_exp_f32_e32 v82, v82
	v_fmac_f32_e32 v68, v97, v91
	s_delay_alu instid0(TRANS32_DEP_3) | instid1(VALU_DEP_1)
	v_fmac_f32_e32 v68, v95, v92
	s_waitcnt_depctr 0xfff
	v_fmac_f32_e32 v68, v82, v93
	s_delay_alu instid0(VALU_DEP_1) | instskip(NEXT) | instid1(VALU_DEP_1)
	v_fmac_f32_e32 v68, v89, v94
	v_add_f32_e32 v90, 0x358637bd, v68
	s_delay_alu instid0(VALU_DEP_1) | instskip(NEXT) | instid1(VALU_DEP_1)
	v_div_scale_f32 v91, null, v90, v90, 1.0
	v_rcp_f32_e32 v92, v91
	s_waitcnt_depctr 0xfff
	v_fma_f32 v93, -v91, v92, 1.0
	s_delay_alu instid0(VALU_DEP_1) | instskip(SKIP_1) | instid1(VALU_DEP_2)
	v_dual_fmac_f32 v92, v93, v92 :: v_dual_cndmask_b32 v93, v100, v99
	v_cmp_eq_u32_e32 vcc_lo, 3, v66
	v_cndmask_b32_e64 v93, v93, v101, s3
	v_cmp_eq_u32_e64 s3, 4, v66
	s_delay_alu instid0(VALU_DEP_2) | instskip(SKIP_1) | instid1(VALU_DEP_2)
	v_cndmask_b32_e32 v93, v93, v102, vcc_lo
	v_cmp_eq_u32_e32 vcc_lo, 5, v66
	v_cndmask_b32_e64 v93, v93, v97, s3
	v_cmp_eq_u32_e64 s3, 6, v66
	s_delay_alu instid0(VALU_DEP_2) | instskip(SKIP_1) | instid1(VALU_DEP_1)
	v_cndmask_b32_e32 v93, v93, v95, vcc_lo
	v_div_scale_f32 v94, s4, 1.0, v90, 1.0
	s_mov_b32 vcc_lo, s4
	s_delay_alu instid0(VALU_DEP_2) | instskip(NEXT) | instid1(VALU_DEP_2)
	v_cndmask_b32_e64 v82, v93, v82, s3
	v_mul_f32_e32 v96, v94, v92
	s_mov_b32 s3, exec_lo
	s_delay_alu instid0(VALU_DEP_2) | instskip(NEXT) | instid1(VALU_DEP_2)
	v_cndmask_b32_e64 v82, v82, v89, s5
	v_fma_f32 v98, -v91, v96, v94
	s_delay_alu instid0(VALU_DEP_1) | instskip(NEXT) | instid1(VALU_DEP_1)
	v_fmac_f32_e32 v96, v98, v92
	v_fma_f32 v91, -v91, v96, v94
	s_delay_alu instid0(VALU_DEP_1) | instskip(NEXT) | instid1(VALU_DEP_1)
	v_div_fmas_f32 v91, v91, v92, v96
	v_div_fixup_f32 v90, v91, v90, 1.0
	s_delay_alu instid0(VALU_DEP_1) | instskip(NEXT) | instid1(VALU_DEP_1)
	v_mul_f32_e32 v82, v82, v90
	v_mul_f32_e32 v87, v82, v87
	;; [unrolled: 1-line block ×7, first 2 shown]
	v_dual_mul_f32 v86, v82, v83 :: v_dual_and_b32 v91, 0x7f800000, v90
	v_mul_f32_e32 v85, v82, v76
                                        ; implicit-def: $vgpr76
	s_delay_alu instid0(VALU_DEP_2)
	v_cmpx_ne_u32_e32 0x7f800000, v91
	s_xor_b32 s3, exec_lo, s3
; %bb.13:
	v_bfe_u32 v76, v90, 16, 1
	s_delay_alu instid0(VALU_DEP_1)
	v_add3_u32 v76, v90, v76, 0x7fff
                                        ; implicit-def: $vgpr90
; %bb.14:
	s_and_not1_saveexec_b32 s3, s3
; %bb.15:
	v_and_b32_e32 v76, 0xffff, v90
	v_or_b32_e32 v83, 0x10000, v90
	s_delay_alu instid0(VALU_DEP_2) | instskip(NEXT) | instid1(VALU_DEP_2)
	v_cmp_eq_u32_e32 vcc_lo, 0, v76
	v_cndmask_b32_e32 v76, v83, v90, vcc_lo
; %bb.16:
	s_or_b32 exec_lo, exec_lo, s3
	v_and_b32_e32 v83, 0x7f800000, v85
	s_delay_alu instid0(VALU_DEP_1) | instskip(SKIP_1) | instid1(SALU_CYCLE_1)
	v_cmp_ne_u32_e32 vcc_lo, 0x7f800000, v83
                                        ; implicit-def: $vgpr83
	s_and_saveexec_b32 s3, vcc_lo
	s_xor_b32 s3, exec_lo, s3
; %bb.17:
	v_bfe_u32 v83, v85, 16, 1
	s_delay_alu instid0(VALU_DEP_1)
	v_add3_u32 v83, v85, v83, 0x7fff
                                        ; implicit-def: $vgpr85
; %bb.18:
	s_and_not1_saveexec_b32 s3, s3
; %bb.19:
	v_and_b32_e32 v83, 0xffff, v85
	v_or_b32_e32 v90, 0x10000, v85
	s_delay_alu instid0(VALU_DEP_2) | instskip(NEXT) | instid1(VALU_DEP_2)
	v_cmp_eq_u32_e32 vcc_lo, 0, v83
	v_cndmask_b32_e32 v83, v90, v85, vcc_lo
; %bb.20:
	s_or_b32 exec_lo, exec_lo, s3
	v_and_b32_e32 v85, 0x7f800000, v86
	s_delay_alu instid0(VALU_DEP_1) | instskip(SKIP_1) | instid1(SALU_CYCLE_1)
	v_cmp_ne_u32_e32 vcc_lo, 0x7f800000, v85
                                        ; implicit-def: $vgpr85
	s_and_saveexec_b32 s3, vcc_lo
	s_xor_b32 s3, exec_lo, s3
; %bb.21:
	v_bfe_u32 v85, v86, 16, 1
	s_delay_alu instid0(VALU_DEP_1)
	v_add3_u32 v85, v86, v85, 0x7fff
                                        ; implicit-def: $vgpr86
; %bb.22:
	s_and_not1_saveexec_b32 s3, s3
; %bb.23:
	v_and_b32_e32 v85, 0xffff, v86
	v_or_b32_e32 v90, 0x10000, v86
	s_delay_alu instid0(VALU_DEP_2) | instskip(NEXT) | instid1(VALU_DEP_2)
	v_cmp_eq_u32_e32 vcc_lo, 0, v85
	v_cndmask_b32_e32 v85, v90, v86, vcc_lo
; %bb.24:
	s_or_b32 exec_lo, exec_lo, s3
	v_and_b32_e32 v86, 0x7f800000, v89
	s_delay_alu instid0(VALU_DEP_1) | instskip(SKIP_1) | instid1(SALU_CYCLE_1)
	v_cmp_ne_u32_e32 vcc_lo, 0x7f800000, v86
                                        ; implicit-def: $vgpr86
	s_and_saveexec_b32 s3, vcc_lo
	s_xor_b32 s3, exec_lo, s3
; %bb.25:
	v_bfe_u32 v86, v89, 16, 1
	s_delay_alu instid0(VALU_DEP_1)
	v_add3_u32 v86, v89, v86, 0x7fff
                                        ; implicit-def: $vgpr89
; %bb.26:
	s_and_not1_saveexec_b32 s3, s3
; %bb.27:
	v_and_b32_e32 v86, 0xffff, v89
	v_or_b32_e32 v90, 0x10000, v89
	s_delay_alu instid0(VALU_DEP_2) | instskip(NEXT) | instid1(VALU_DEP_2)
	v_cmp_eq_u32_e32 vcc_lo, 0, v86
	v_cndmask_b32_e32 v86, v90, v89, vcc_lo
; %bb.28:
	s_or_b32 exec_lo, exec_lo, s3
	v_and_b32_e32 v89, 0x7f800000, v88
	s_delay_alu instid0(VALU_DEP_1) | instskip(SKIP_1) | instid1(SALU_CYCLE_1)
	v_cmp_ne_u32_e32 vcc_lo, 0x7f800000, v89
                                        ; implicit-def: $vgpr89
	s_and_saveexec_b32 s3, vcc_lo
	s_xor_b32 s3, exec_lo, s3
; %bb.29:
	v_bfe_u32 v89, v88, 16, 1
	s_delay_alu instid0(VALU_DEP_1)
	v_add3_u32 v89, v88, v89, 0x7fff
                                        ; implicit-def: $vgpr88
; %bb.30:
	s_and_not1_saveexec_b32 s3, s3
; %bb.31:
	v_and_b32_e32 v89, 0xffff, v88
	v_or_b32_e32 v90, 0x10000, v88
	s_delay_alu instid0(VALU_DEP_2) | instskip(NEXT) | instid1(VALU_DEP_2)
	v_cmp_eq_u32_e32 vcc_lo, 0, v89
	v_cndmask_b32_e32 v89, v90, v88, vcc_lo
; %bb.32:
	s_or_b32 exec_lo, exec_lo, s3
	v_and_b32_e32 v88, 0x7f800000, v87
	s_delay_alu instid0(VALU_DEP_1) | instskip(SKIP_1) | instid1(SALU_CYCLE_1)
	v_cmp_ne_u32_e32 vcc_lo, 0x7f800000, v88
                                        ; implicit-def: $vgpr88
	s_and_saveexec_b32 s3, vcc_lo
	s_xor_b32 s3, exec_lo, s3
; %bb.33:
	v_bfe_u32 v88, v87, 16, 1
	s_delay_alu instid0(VALU_DEP_1)
	v_add3_u32 v88, v87, v88, 0x7fff
                                        ; implicit-def: $vgpr87
; %bb.34:
	s_and_not1_saveexec_b32 s3, s3
; %bb.35:
	v_and_b32_e32 v88, 0xffff, v87
	v_or_b32_e32 v90, 0x10000, v87
	s_delay_alu instid0(VALU_DEP_2) | instskip(NEXT) | instid1(VALU_DEP_2)
	v_cmp_eq_u32_e32 vcc_lo, 0, v88
	v_cndmask_b32_e32 v88, v90, v87, vcc_lo
; %bb.36:
	s_or_b32 exec_lo, exec_lo, s3
	v_and_b32_e32 v87, 0x7f800000, v84
	s_delay_alu instid0(VALU_DEP_1) | instskip(SKIP_1) | instid1(SALU_CYCLE_1)
	v_cmp_ne_u32_e32 vcc_lo, 0x7f800000, v87
                                        ; implicit-def: $vgpr87
	s_and_saveexec_b32 s3, vcc_lo
	s_xor_b32 s3, exec_lo, s3
; %bb.37:
	v_bfe_u32 v87, v84, 16, 1
	s_delay_alu instid0(VALU_DEP_1)
	v_add3_u32 v87, v84, v87, 0x7fff
                                        ; implicit-def: $vgpr84
; %bb.38:
	s_and_not1_saveexec_b32 s3, s3
; %bb.39:
	v_and_b32_e32 v87, 0xffff, v84
	v_or_b32_e32 v90, 0x10000, v84
	s_delay_alu instid0(VALU_DEP_2) | instskip(NEXT) | instid1(VALU_DEP_2)
	v_cmp_eq_u32_e32 vcc_lo, 0, v87
	v_cndmask_b32_e32 v87, v90, v84, vcc_lo
; %bb.40:
	s_or_b32 exec_lo, exec_lo, s3
	v_and_b32_e32 v84, 0x7f800000, v80
	s_delay_alu instid0(VALU_DEP_1) | instskip(SKIP_1) | instid1(SALU_CYCLE_1)
	v_cmp_ne_u32_e32 vcc_lo, 0x7f800000, v84
                                        ; implicit-def: $vgpr84
	s_and_saveexec_b32 s3, vcc_lo
	s_xor_b32 s3, exec_lo, s3
; %bb.41:
	v_bfe_u32 v84, v80, 16, 1
	s_delay_alu instid0(VALU_DEP_1)
	v_add3_u32 v84, v80, v84, 0x7fff
                                        ; implicit-def: $vgpr80
; %bb.42:
	s_and_not1_saveexec_b32 s3, s3
; %bb.43:
	v_and_b32_e32 v84, 0xffff, v80
	v_or_b32_e32 v90, 0x10000, v80
	s_delay_alu instid0(VALU_DEP_2) | instskip(NEXT) | instid1(VALU_DEP_2)
	v_cmp_eq_u32_e32 vcc_lo, 0, v84
	v_cndmask_b32_e32 v84, v90, v80, vcc_lo
; %bb.44:
	s_or_b32 exec_lo, exec_lo, s3
	s_load_b64 s[34:35], s[0:1], 0x94
	v_lshlrev_b32_e32 v91, 4, v74
	s_delay_alu instid0(VALU_DEP_2)
	v_perm_b32 v90, v84, v87, 0x7060302
	v_dual_mul_f32 v79, v82, v79 :: v_dual_lshlrev_b32 v80, 6, v65
	v_dual_mul_f32 v77, v82, v77 :: v_dual_lshlrev_b32 v92, 11, v66
	v_mul_f32_e32 v84, v82, v70
	v_perm_b32 v89, v88, v89, 0x7060302
	v_perm_b32 v88, v86, v85, 0x7060302
	;; [unrolled: 1-line block ×3, first 2 shown]
	v_mul_f32_e32 v70, v82, v81
	v_or3_b32 v76, v91, v92, v80
	v_dual_mul_f32 v78, v82, v78 :: v_dual_and_b32 v85, 0x7f800000, v84
	v_mul_f32_e32 v83, v82, v72
	v_mul_f32_e32 v81, v82, v71
	;; [unrolled: 1-line block ×3, first 2 shown]
	s_mov_b32 s3, exec_lo
	ds_store_b128 v76, v[87:90]
                                        ; implicit-def: $vgpr69
	v_cmpx_ne_u32_e32 0x7f800000, v85
	s_xor_b32 s3, exec_lo, s3
; %bb.45:
	v_bfe_u32 v69, v84, 16, 1
	s_delay_alu instid0(VALU_DEP_1)
	v_add3_u32 v69, v84, v69, 0x7fff
                                        ; implicit-def: $vgpr84
; %bb.46:
	s_and_not1_saveexec_b32 s3, s3
; %bb.47:
	v_and_b32_e32 v69, 0xffff, v84
	v_or_b32_e32 v71, 0x10000, v84
	s_delay_alu instid0(VALU_DEP_2) | instskip(NEXT) | instid1(VALU_DEP_2)
	v_cmp_eq_u32_e32 vcc_lo, 0, v69
	v_cndmask_b32_e32 v69, v71, v84, vcc_lo
; %bb.48:
	s_or_b32 exec_lo, exec_lo, s3
	v_and_b32_e32 v71, 0x7f800000, v72
	s_delay_alu instid0(VALU_DEP_1) | instskip(SKIP_1) | instid1(SALU_CYCLE_1)
	v_cmp_ne_u32_e32 vcc_lo, 0x7f800000, v71
                                        ; implicit-def: $vgpr71
	s_and_saveexec_b32 s3, vcc_lo
	s_xor_b32 s3, exec_lo, s3
; %bb.49:
	v_bfe_u32 v71, v72, 16, 1
	s_delay_alu instid0(VALU_DEP_1)
	v_add3_u32 v71, v72, v71, 0x7fff
                                        ; implicit-def: $vgpr72
; %bb.50:
	s_and_not1_saveexec_b32 s3, s3
; %bb.51:
	v_and_b32_e32 v71, 0xffff, v72
	v_or_b32_e32 v82, 0x10000, v72
	s_delay_alu instid0(VALU_DEP_2) | instskip(NEXT) | instid1(VALU_DEP_2)
	v_cmp_eq_u32_e32 vcc_lo, 0, v71
	v_cndmask_b32_e32 v71, v82, v72, vcc_lo
; %bb.52:
	s_or_b32 exec_lo, exec_lo, s3
	v_and_b32_e32 v72, 0x7f800000, v81
	s_delay_alu instid0(VALU_DEP_1) | instskip(SKIP_1) | instid1(SALU_CYCLE_1)
	v_cmp_ne_u32_e32 vcc_lo, 0x7f800000, v72
                                        ; implicit-def: $vgpr72
	s_and_saveexec_b32 s3, vcc_lo
	s_xor_b32 s3, exec_lo, s3
; %bb.53:
	v_bfe_u32 v72, v81, 16, 1
	s_delay_alu instid0(VALU_DEP_1)
	v_add3_u32 v72, v81, v72, 0x7fff
                                        ; implicit-def: $vgpr81
; %bb.54:
	s_and_not1_saveexec_b32 s3, s3
; %bb.55:
	v_and_b32_e32 v72, 0xffff, v81
	v_or_b32_e32 v82, 0x10000, v81
	s_delay_alu instid0(VALU_DEP_2) | instskip(NEXT) | instid1(VALU_DEP_2)
	v_cmp_eq_u32_e32 vcc_lo, 0, v72
	v_cndmask_b32_e32 v72, v82, v81, vcc_lo
; %bb.56:
	s_or_b32 exec_lo, exec_lo, s3
	v_and_b32_e32 v81, 0x7f800000, v83
	s_delay_alu instid0(VALU_DEP_1) | instskip(SKIP_1) | instid1(SALU_CYCLE_1)
	v_cmp_ne_u32_e32 vcc_lo, 0x7f800000, v81
                                        ; implicit-def: $vgpr81
	s_and_saveexec_b32 s3, vcc_lo
	s_xor_b32 s3, exec_lo, s3
; %bb.57:
	v_bfe_u32 v81, v83, 16, 1
	s_delay_alu instid0(VALU_DEP_1)
	v_add3_u32 v81, v83, v81, 0x7fff
                                        ; implicit-def: $vgpr83
; %bb.58:
	s_and_not1_saveexec_b32 s3, s3
; %bb.59:
	v_and_b32_e32 v81, 0xffff, v83
	v_or_b32_e32 v82, 0x10000, v83
	s_delay_alu instid0(VALU_DEP_2) | instskip(NEXT) | instid1(VALU_DEP_2)
	v_cmp_eq_u32_e32 vcc_lo, 0, v81
	v_cndmask_b32_e32 v81, v82, v83, vcc_lo
; %bb.60:
	s_or_b32 exec_lo, exec_lo, s3
	v_and_b32_e32 v82, 0x7f800000, v77
	s_delay_alu instid0(VALU_DEP_1) | instskip(SKIP_1) | instid1(SALU_CYCLE_1)
	v_cmp_ne_u32_e32 vcc_lo, 0x7f800000, v82
                                        ; implicit-def: $vgpr82
	s_and_saveexec_b32 s3, vcc_lo
	s_xor_b32 s3, exec_lo, s3
; %bb.61:
	v_bfe_u32 v82, v77, 16, 1
	s_delay_alu instid0(VALU_DEP_1)
	v_add3_u32 v82, v77, v82, 0x7fff
                                        ; implicit-def: $vgpr77
; %bb.62:
	s_and_not1_saveexec_b32 s3, s3
; %bb.63:
	v_and_b32_e32 v82, 0xffff, v77
	v_or_b32_e32 v83, 0x10000, v77
	s_delay_alu instid0(VALU_DEP_2) | instskip(NEXT) | instid1(VALU_DEP_2)
	v_cmp_eq_u32_e32 vcc_lo, 0, v82
	v_cndmask_b32_e32 v82, v83, v77, vcc_lo
; %bb.64:
	s_or_b32 exec_lo, exec_lo, s3
	v_and_b32_e32 v77, 0x7f800000, v78
	s_delay_alu instid0(VALU_DEP_1) | instskip(SKIP_1) | instid1(SALU_CYCLE_1)
	v_cmp_ne_u32_e32 vcc_lo, 0x7f800000, v77
                                        ; implicit-def: $vgpr77
	s_and_saveexec_b32 s3, vcc_lo
	s_xor_b32 s3, exec_lo, s3
; %bb.65:
	v_bfe_u32 v77, v78, 16, 1
	s_delay_alu instid0(VALU_DEP_1)
	v_add3_u32 v77, v78, v77, 0x7fff
                                        ; implicit-def: $vgpr78
; %bb.66:
	s_and_not1_saveexec_b32 s3, s3
; %bb.67:
	v_and_b32_e32 v77, 0xffff, v78
	v_or_b32_e32 v83, 0x10000, v78
	s_delay_alu instid0(VALU_DEP_2) | instskip(NEXT) | instid1(VALU_DEP_2)
	v_cmp_eq_u32_e32 vcc_lo, 0, v77
	v_cndmask_b32_e32 v77, v83, v78, vcc_lo
; %bb.68:
	s_or_b32 exec_lo, exec_lo, s3
	v_and_b32_e32 v78, 0x7f800000, v79
	s_delay_alu instid0(VALU_DEP_1) | instskip(SKIP_1) | instid1(SALU_CYCLE_1)
	v_cmp_ne_u32_e32 vcc_lo, 0x7f800000, v78
                                        ; implicit-def: $vgpr78
	s_and_saveexec_b32 s3, vcc_lo
	s_xor_b32 s3, exec_lo, s3
; %bb.69:
	v_bfe_u32 v78, v79, 16, 1
	s_delay_alu instid0(VALU_DEP_1)
	v_add3_u32 v78, v79, v78, 0x7fff
                                        ; implicit-def: $vgpr79
; %bb.70:
	s_and_not1_saveexec_b32 s3, s3
; %bb.71:
	v_and_b32_e32 v78, 0xffff, v79
	v_or_b32_e32 v83, 0x10000, v79
	s_delay_alu instid0(VALU_DEP_2) | instskip(NEXT) | instid1(VALU_DEP_2)
	v_cmp_eq_u32_e32 vcc_lo, 0, v78
	v_cndmask_b32_e32 v78, v83, v79, vcc_lo
; %bb.72:
	s_or_b32 exec_lo, exec_lo, s3
	v_and_b32_e32 v79, 0x7f800000, v70
	s_delay_alu instid0(VALU_DEP_1) | instskip(SKIP_1) | instid1(SALU_CYCLE_1)
	v_cmp_ne_u32_e32 vcc_lo, 0x7f800000, v79
                                        ; implicit-def: $vgpr79
	s_and_saveexec_b32 s3, vcc_lo
	s_xor_b32 s3, exec_lo, s3
; %bb.73:
	v_bfe_u32 v79, v70, 16, 1
	s_delay_alu instid0(VALU_DEP_1)
	v_add3_u32 v79, v70, v79, 0x7fff
                                        ; implicit-def: $vgpr70
; %bb.74:
	s_and_not1_saveexec_b32 s3, s3
; %bb.75:
	v_and_b32_e32 v79, 0xffff, v70
	v_or_b32_e32 v83, 0x10000, v70
	s_delay_alu instid0(VALU_DEP_2) | instskip(NEXT) | instid1(VALU_DEP_2)
	v_cmp_eq_u32_e32 vcc_lo, 0, v79
	v_cndmask_b32_e32 v79, v83, v70, vcc_lo
; %bb.76:
	s_or_b32 exec_lo, exec_lo, s3
	s_delay_alu instid0(VALU_DEP_1)
	v_perm_b32 v86, v79, v78, 0x7060302
	v_perm_b32 v85, v77, v82, 0x7060302
	;; [unrolled: 1-line block ×4, first 2 shown]
	v_lshl_or_b32 v82, v66, 11, v80
	ds_store_b128 v76, v[83:86] offset:1024
	s_waitcnt lgkmcnt(0)
	s_barrier
	buffer_gl0_inv
	ds_load_b128 v[69:72], v82
	ds_load_b128 v[83:86], v82 offset:16
	s_waitcnt lgkmcnt(1)
	v_lshrrev_b32_e32 v66, 16, v69
	s_waitcnt lgkmcnt(0)
	v_lshrrev_b32_e32 v91, 16, v83
	v_lshlrev_b32_e32 v78, 2, v74
	v_lshrrev_b32_e32 v95, 16, v70
	v_lshrrev_b32_e32 v98, 16, v84
	;; [unrolled: 1-line block ×4, first 2 shown]
	v_cmp_eq_u32_e32 vcc_lo, 1, v78
	v_lshrrev_b32_e32 v97, 16, v72
	v_lshrrev_b32_e32 v100, 16, v86
	v_cndmask_b32_e32 v87, v83, v91, vcc_lo
	v_or_b32_e32 v79, 1, v78
	v_cndmask_b32_e32 v81, v69, v66, vcc_lo
	v_cmp_eq_u32_e64 s4, 2, v78
	v_cmp_eq_u32_e64 s7, 3, v78
	;; [unrolled: 1-line block ×5, first 2 shown]
	v_cndmask_b32_e64 v81, v81, v70, s4
	v_cndmask_b32_e64 v87, v87, v84, s4
	v_cmp_eq_u32_e64 s8, 3, v79
	v_cndmask_b32_e64 v88, v69, v66, s3
	v_or_b32_e32 v77, 2, v78
	v_cndmask_b32_e64 v81, v81, v95, s7
	v_cndmask_b32_e64 v87, v87, v98, s7
	v_cndmask_b32_e64 v89, v83, v91, s3
	v_cndmask_b32_e64 v88, v88, v70, s6
	v_cmp_eq_u32_e64 s10, 5, v78
	v_cndmask_b32_e64 v81, v81, v71, s9
	v_cndmask_b32_e64 v87, v87, v85, s9
	v_cmp_eq_u32_e64 s11, 4, v79
	v_cndmask_b32_e64 v88, v88, v95, s8
	v_cmp_eq_u32_e64 s5, 1, v77
	v_cndmask_b32_e64 v89, v89, v84, s6
	v_cndmask_b32_e64 v81, v81, v96, s10
	v_cmp_eq_u32_e64 s12, 6, v78
	v_cndmask_b32_e64 v88, v88, v71, s11
	;; [unrolled: 3-line block ×3, first 2 shown]
	v_cndmask_b32_e64 v89, v89, v98, s8
	v_cndmask_b32_e64 v81, v81, v72, s12
	v_cmp_eq_u32_e64 s15, 7, v78
	v_cndmask_b32_e64 v88, v88, v96, s13
	v_cndmask_b32_e64 v87, v87, v86, s12
	v_cmp_eq_u32_e64 s16, 6, v79
	v_cmp_eq_u32_e64 s17, 2, v77
	v_cndmask_b32_e64 v89, v89, v85, s11
	v_cndmask_b32_e64 v101, v81, v97, s15
	;; [unrolled: 1-line block ×6, first 2 shown]
	v_cmp_eq_u32_e64 s18, 7, v79
	v_cmp_eq_u32_e64 s19, 3, v77
	;; [unrolled: 1-line block ×4, first 2 shown]
	v_cndmask_b32_e64 v87, v87, v84, s17
	v_cndmask_b32_e64 v103, v88, v97, s18
	;; [unrolled: 1-line block ×4, first 2 shown]
	v_or_b32_e32 v81, 3, v78
	v_cndmask_b32_e64 v93, v87, v98, s19
	v_cmp_eq_u32_e64 s24, 6, v77
	v_cndmask_b32_e64 v104, v88, v86, s16
	v_cndmask_b32_e64 v92, v89, v71, s20
	v_cmp_eq_u32_e64 s21, 1, v81
	ds_load_b128 v[87:90], v82 offset:1024
	v_cmp_eq_u32_e64 s23, 2, v81
	v_cmp_eq_u32_e64 s25, 3, v81
	v_cndmask_b32_e64 v105, v92, v96, s22
	v_cndmask_b32_e64 v66, v69, v66, s21
	;; [unrolled: 1-line block ×4, first 2 shown]
	ds_load_b128 v[91:94], v82 offset:1040
	v_cmp_eq_u32_e64 s26, 4, v81
	v_cndmask_b32_e64 v66, v66, v70, s23
	v_cmp_eq_u32_e64 s27, 7, v77
	v_cndmask_b32_e64 v70, v83, v84, s23
	v_cndmask_b32_e64 v84, v105, v72, s24
	v_cmp_eq_u32_e64 s28, 5, v81
	v_cndmask_b32_e64 v66, v66, v95, s25
	v_cmp_eq_u32_e64 s29, 6, v81
	v_cndmask_b32_e64 v70, v70, v98, s25
	v_cndmask_b32_e64 v69, v69, v99, s22
	;; [unrolled: 1-line block ×4, first 2 shown]
	s_waitcnt lgkmcnt(1)
	v_lshrrev_b32_e32 v95, 16, v87
	v_cndmask_b32_e64 v70, v70, v85, s26
	v_cndmask_b32_e64 v71, v84, v97, s27
	;; [unrolled: 1-line block ×4, first 2 shown]
	v_cndmask_b32_e32 v84, v87, v95, vcc_lo
	v_cndmask_b32_e64 v70, v70, v99, s28
	s_waitcnt lgkmcnt(0)
	v_lshrrev_b32_e32 v85, 16, v91
	v_lshrrev_b32_e32 v96, 16, v88
	v_cndmask_b32_e64 v98, v87, v95, s3
	v_cndmask_b32_e64 v84, v84, v88, s4
	;; [unrolled: 1-line block ×3, first 2 shown]
	v_cndmask_b32_e32 v99, v91, v85, vcc_lo
	v_cmp_eq_u32_e32 vcc_lo, 7, v81
	v_cndmask_b32_e64 v66, v66, v72, s29
	v_cndmask_b32_e64 v72, v84, v96, s7
	;; [unrolled: 1-line block ×3, first 2 shown]
	v_lshrrev_b32_e32 v98, 16, v92
	v_cndmask_b32_e32 v70, v70, v100, vcc_lo
	v_cndmask_b32_e64 v86, v99, v92, s4
	v_cndmask_b32_e64 v69, v69, v100, s27
	v_lshrrev_b32_e32 v100, 16, v93
	v_cndmask_b32_e64 v72, v72, v89, s9
	v_lshrrev_b32_e32 v99, 16, v89
	v_cndmask_b32_e64 v86, v86, v98, s7
	v_perm_b32 v71, v69, v71, 0x5040100
	v_cndmask_b32_e64 v84, v84, v96, s8
	s_delay_alu instid0(VALU_DEP_3) | instskip(NEXT) | instid1(VALU_DEP_2)
	v_cndmask_b32_e64 v86, v86, v93, s9
	v_cndmask_b32_e64 v84, v84, v89, s11
	s_delay_alu instid0(VALU_DEP_2) | instskip(NEXT) | instid1(VALU_DEP_1)
	v_cndmask_b32_e64 v86, v86, v100, s10
	v_cndmask_b32_e64 v69, v86, v94, s12
	;; [unrolled: 1-line block ×5, first 2 shown]
	s_delay_alu instid0(VALU_DEP_3) | instskip(NEXT) | instid1(VALU_DEP_3)
	v_cndmask_b32_e64 v86, v86, v88, s17
	v_cndmask_b32_e64 v87, v87, v88, s23
	s_delay_alu instid0(VALU_DEP_3) | instskip(NEXT) | instid1(VALU_DEP_3)
	v_cndmask_b32_e64 v88, v95, v92, s23
	v_cndmask_b32_e64 v86, v86, v96, s19
	;; [unrolled: 3-line block ×7, first 2 shown]
	s_delay_alu instid0(VALU_DEP_3) | instskip(SKIP_2) | instid1(VALU_DEP_2)
	v_cndmask_b32_e64 v88, v88, v94, s29
	v_cndmask_b32_e32 v66, v66, v97, vcc_lo
	v_cndmask_b32_e64 v97, v72, v99, s10
	v_perm_b32 v72, v70, v66, 0x5040100
	v_perm_b32 v70, v83, v103, 0x5040100
	v_cndmask_b32_e64 v103, v91, v85, s5
	v_cndmask_b32_e64 v85, v91, v85, s3
	;; [unrolled: 1-line block ×4, first 2 shown]
	v_lshrrev_b32_e32 v97, 16, v90
	v_cndmask_b32_e64 v91, v103, v92, s17
	v_cndmask_b32_e64 v85, v85, v92, s6
	;; [unrolled: 1-line block ×3, first 2 shown]
	s_mov_b32 s3, exec_lo
	v_cndmask_b32_e64 v83, v84, v97, s15
	v_cndmask_b32_e64 v91, v91, v98, s19
	;; [unrolled: 1-line block ×3, first 2 shown]
	v_lshrrev_b32_e32 v84, 16, v94
	v_cndmask_b32_e64 v66, v66, v97, s18
	v_cndmask_b32_e64 v90, v86, v97, s27
	;; [unrolled: 1-line block ×4, first 2 shown]
	v_dual_cndmask_b32 v86, v87, v97 :: v_dual_cndmask_b32 v87, v88, v84
	v_cndmask_b32_e64 v91, v69, v84, s15
	s_delay_alu instid0(VALU_DEP_4) | instskip(NEXT) | instid1(VALU_DEP_4)
	v_cndmask_b32_e64 v89, v89, v100, s22
	v_cndmask_b32_e64 v85, v85, v100, s13
	v_perm_b32 v69, v102, v101, 0x5040100
	v_perm_b32 v86, v87, v86, 0x5040100
	;; [unrolled: 1-line block ×3, first 2 shown]
	v_cndmask_b32_e64 v89, v89, v94, s24
	v_cndmask_b32_e64 v85, v85, v94, s16
	s_mul_i32 s8, s35, 5
	s_delay_alu instid0(VALU_DEP_2) | instskip(NEXT) | instid1(VALU_DEP_2)
	v_cndmask_b32_e64 v88, v89, v84, s27
	v_cndmask_b32_e64 v89, v85, v84, s18
	s_delay_alu instid0(VALU_DEP_2) | instskip(NEXT) | instid1(VALU_DEP_2)
	v_perm_b32 v85, v88, v90, 0x5040100
	v_perm_b32 v84, v89, v66, 0x5040100
	ds_store_b128 v76, v[69:72]
	ds_store_b128 v76, v[83:86] offset:1024
	v_cmpx_gt_u32_e32 5, v0
	s_cbranch_execz .LBB1874_78
; %bb.77:
	s_mul_i32 s4, s8, s30
	s_delay_alu instid0(SALU_CYCLE_1) | instskip(SKIP_1) | instid1(VALU_DEP_1)
	v_add3_u32 v69, s4, s31, v65
	s_load_b128 s[4:7], s[0:1], 0x58
	v_mad_u64_u32 v[65:66], null, v69, s34, s[14:15]
	s_delay_alu instid0(VALU_DEP_1) | instskip(NEXT) | instid1(VALU_DEP_1)
	v_ashrrev_i32_e32 v66, 31, v65
	v_lshlrev_b64 v[65:66], 2, v[65:66]
	s_waitcnt lgkmcnt(0)
	s_delay_alu instid0(VALU_DEP_1) | instskip(NEXT) | instid1(VALU_DEP_2)
	v_add_co_u32 v69, vcc_lo, s6, v65
	v_add_co_ci_u32_e32 v70, vcc_lo, s7, v66, vcc_lo
	v_add_co_u32 v65, vcc_lo, s4, v65
	v_add_co_ci_u32_e32 v66, vcc_lo, s5, v66, vcc_lo
	global_store_b32 v[69:70], v67, off
	global_store_b32 v[65:66], v68, off
.LBB1874_78:
	s_or_b32 exec_lo, exec_lo, s3
	s_waitcnt lgkmcnt(0)
	s_waitcnt_vscnt null, 0x0
	s_barrier
	buffer_gl0_inv
	ds_load_b128 v[83:86], v80
	ds_load_b128 v[87:90], v80 offset:16
	ds_load_b128 v[95:98], v80 offset:2064
	;; [unrolled: 1-line block ×3, first 2 shown]
	v_mov_b32_e32 v65, 0
	ds_load_b128 v[103:106], v80 offset:4112
	ds_load_b128 v[99:102], v80 offset:4096
	;; [unrolled: 1-line block ×4, first 2 shown]
	v_mov_b32_e32 v66, v65
	v_mov_b32_e32 v67, v65
	v_mov_b32_e32 v68, v65
	v_mov_b32_e32 v69, v65
	v_mov_b32_e32 v70, v65
	v_mov_b32_e32 v71, v65
	v_mov_b32_e32 v72, v65
	s_waitcnt lgkmcnt(6)
	s_delay_alu instid0(VALU_DEP_1)
	v_wmma_f32_16x16x16_bf16 v[65:72], v[41:48], v[83:90], v[65:72]
	ds_load_b128 v[45:48], v80 offset:8208
	ds_load_b128 v[41:44], v80 offset:8192
	s_waitcnt lgkmcnt(6)
	v_wmma_f32_16x16x16_bf16 v[65:72], v[33:40], v[91:98], v[65:72]
	ds_load_b128 v[37:40], v80 offset:10256
	ds_load_b128 v[33:36], v80 offset:10240
	s_waitcnt lgkmcnt(6)
	v_wmma_f32_16x16x16_bf16 v[65:72], v[25:32], v[99:106], v[65:72]
	ds_load_b128 v[29:32], v80 offset:12304
	ds_load_b128 v[25:28], v80 offset:12288
	s_waitcnt lgkmcnt(6)
	v_wmma_f32_16x16x16_bf16 v[65:72], v[17:24], v[107:114], v[65:72]
	ds_load_b128 v[21:24], v80 offset:14352
	ds_load_b128 v[17:20], v80 offset:14336
	s_waitcnt lgkmcnt(6)
	v_wmma_f32_16x16x16_bf16 v[65:72], v[1:8], v[41:48], v[65:72]
	s_waitcnt lgkmcnt(4)
	s_delay_alu instid0(VALU_DEP_1) | instskip(SKIP_1) | instid1(VALU_DEP_1)
	v_wmma_f32_16x16x16_bf16 v[65:72], v[9:16], v[33:40], v[65:72]
	s_waitcnt lgkmcnt(2)
	v_wmma_f32_16x16x16_bf16 v[65:72], v[57:64], v[25:32], v[65:72]
	s_waitcnt lgkmcnt(0)
	s_delay_alu instid0(VALU_DEP_1) | instskip(NEXT) | instid1(VALU_DEP_1)
	v_wmma_f32_16x16x16_bf16 v[65:72], v[49:56], v[17:24], v[65:72]
	v_and_b32_e32 v1, 0x7f800000, v65
	s_delay_alu instid0(VALU_DEP_1) | instskip(SKIP_1) | instid1(SALU_CYCLE_1)
	v_cmp_ne_u32_e32 vcc_lo, 0x7f800000, v1
                                        ; implicit-def: $vgpr1
	s_and_saveexec_b32 s3, vcc_lo
	s_xor_b32 s3, exec_lo, s3
; %bb.79:
	v_bfe_u32 v1, v65, 16, 1
	s_delay_alu instid0(VALU_DEP_1)
	v_add3_u32 v1, v65, v1, 0x7fff
; %bb.80:
	s_and_not1_saveexec_b32 s3, s3
; %bb.81:
	v_and_b32_e32 v1, 0xffff, v65
	v_or_b32_e32 v2, 0x10000, v65
	s_delay_alu instid0(VALU_DEP_2) | instskip(NEXT) | instid1(VALU_DEP_2)
	v_cmp_eq_u32_e32 vcc_lo, 0, v1
	v_cndmask_b32_e32 v1, v2, v65, vcc_lo
; %bb.82:
	s_or_b32 exec_lo, exec_lo, s3
	v_and_b32_e32 v2, 0x7f800000, v66
	s_delay_alu instid0(VALU_DEP_1) | instskip(SKIP_1) | instid1(SALU_CYCLE_1)
	v_cmp_ne_u32_e32 vcc_lo, 0x7f800000, v2
                                        ; implicit-def: $vgpr2
	s_and_saveexec_b32 s3, vcc_lo
	s_xor_b32 s3, exec_lo, s3
; %bb.83:
	v_bfe_u32 v2, v66, 16, 1
	s_delay_alu instid0(VALU_DEP_1)
	v_add3_u32 v2, v66, v2, 0x7fff
; %bb.84:
	s_and_not1_saveexec_b32 s3, s3
; %bb.85:
	v_and_b32_e32 v2, 0xffff, v66
	v_or_b32_e32 v3, 0x10000, v66
	s_delay_alu instid0(VALU_DEP_2) | instskip(NEXT) | instid1(VALU_DEP_2)
	v_cmp_eq_u32_e32 vcc_lo, 0, v2
	v_cndmask_b32_e32 v2, v3, v66, vcc_lo
; %bb.86:
	s_or_b32 exec_lo, exec_lo, s3
	v_and_b32_e32 v3, 0x7f800000, v67
	s_delay_alu instid0(VALU_DEP_1) | instskip(SKIP_1) | instid1(SALU_CYCLE_1)
	v_cmp_ne_u32_e32 vcc_lo, 0x7f800000, v3
                                        ; implicit-def: $vgpr3
	s_and_saveexec_b32 s3, vcc_lo
	s_xor_b32 s3, exec_lo, s3
; %bb.87:
	v_bfe_u32 v3, v67, 16, 1
	s_delay_alu instid0(VALU_DEP_1)
	v_add3_u32 v3, v67, v3, 0x7fff
; %bb.88:
	s_and_not1_saveexec_b32 s3, s3
; %bb.89:
	v_and_b32_e32 v3, 0xffff, v67
	v_or_b32_e32 v4, 0x10000, v67
	s_delay_alu instid0(VALU_DEP_2) | instskip(NEXT) | instid1(VALU_DEP_2)
	v_cmp_eq_u32_e32 vcc_lo, 0, v3
	v_cndmask_b32_e32 v3, v4, v67, vcc_lo
; %bb.90:
	s_or_b32 exec_lo, exec_lo, s3
	v_and_b32_e32 v4, 0x7f800000, v68
	s_delay_alu instid0(VALU_DEP_1) | instskip(SKIP_1) | instid1(SALU_CYCLE_1)
	v_cmp_ne_u32_e32 vcc_lo, 0x7f800000, v4
                                        ; implicit-def: $vgpr4
	s_and_saveexec_b32 s3, vcc_lo
	s_xor_b32 s3, exec_lo, s3
; %bb.91:
	v_bfe_u32 v4, v68, 16, 1
	s_delay_alu instid0(VALU_DEP_1)
	v_add3_u32 v4, v68, v4, 0x7fff
; %bb.92:
	s_and_not1_saveexec_b32 s3, s3
; %bb.93:
	v_and_b32_e32 v4, 0xffff, v68
	v_or_b32_e32 v5, 0x10000, v68
	s_delay_alu instid0(VALU_DEP_2) | instskip(NEXT) | instid1(VALU_DEP_2)
	v_cmp_eq_u32_e32 vcc_lo, 0, v4
	v_cndmask_b32_e32 v4, v5, v68, vcc_lo
; %bb.94:
	s_or_b32 exec_lo, exec_lo, s3
	v_and_b32_e32 v5, 0x7f800000, v69
	s_delay_alu instid0(VALU_DEP_1) | instskip(SKIP_1) | instid1(SALU_CYCLE_1)
	v_cmp_ne_u32_e32 vcc_lo, 0x7f800000, v5
                                        ; implicit-def: $vgpr5
	s_and_saveexec_b32 s3, vcc_lo
	s_xor_b32 s3, exec_lo, s3
; %bb.95:
	v_bfe_u32 v5, v69, 16, 1
	s_delay_alu instid0(VALU_DEP_1)
	v_add3_u32 v5, v69, v5, 0x7fff
; %bb.96:
	s_and_not1_saveexec_b32 s3, s3
; %bb.97:
	v_and_b32_e32 v5, 0xffff, v69
	v_or_b32_e32 v6, 0x10000, v69
	s_delay_alu instid0(VALU_DEP_2) | instskip(NEXT) | instid1(VALU_DEP_2)
	v_cmp_eq_u32_e32 vcc_lo, 0, v5
	v_cndmask_b32_e32 v5, v6, v69, vcc_lo
; %bb.98:
	s_or_b32 exec_lo, exec_lo, s3
	v_and_b32_e32 v6, 0x7f800000, v70
	s_delay_alu instid0(VALU_DEP_1) | instskip(SKIP_1) | instid1(SALU_CYCLE_1)
	v_cmp_ne_u32_e32 vcc_lo, 0x7f800000, v6
                                        ; implicit-def: $vgpr6
	s_and_saveexec_b32 s3, vcc_lo
	s_xor_b32 s3, exec_lo, s3
; %bb.99:
	v_bfe_u32 v6, v70, 16, 1
	s_delay_alu instid0(VALU_DEP_1)
	v_add3_u32 v6, v70, v6, 0x7fff
; %bb.100:
	s_and_not1_saveexec_b32 s3, s3
; %bb.101:
	v_and_b32_e32 v6, 0xffff, v70
	v_or_b32_e32 v7, 0x10000, v70
	s_delay_alu instid0(VALU_DEP_2) | instskip(NEXT) | instid1(VALU_DEP_2)
	v_cmp_eq_u32_e32 vcc_lo, 0, v6
	v_cndmask_b32_e32 v6, v7, v70, vcc_lo
; %bb.102:
	s_or_b32 exec_lo, exec_lo, s3
	v_and_b32_e32 v7, 0x7f800000, v71
	s_delay_alu instid0(VALU_DEP_1) | instskip(SKIP_1) | instid1(SALU_CYCLE_1)
	v_cmp_ne_u32_e32 vcc_lo, 0x7f800000, v7
                                        ; implicit-def: $vgpr7
	s_and_saveexec_b32 s3, vcc_lo
	s_xor_b32 s3, exec_lo, s3
; %bb.103:
	v_bfe_u32 v7, v71, 16, 1
	s_delay_alu instid0(VALU_DEP_1)
	v_add3_u32 v7, v71, v7, 0x7fff
; %bb.104:
	s_and_not1_saveexec_b32 s3, s3
; %bb.105:
	v_and_b32_e32 v7, 0xffff, v71
	v_or_b32_e32 v8, 0x10000, v71
	s_delay_alu instid0(VALU_DEP_2) | instskip(NEXT) | instid1(VALU_DEP_2)
	v_cmp_eq_u32_e32 vcc_lo, 0, v7
	v_cndmask_b32_e32 v7, v8, v71, vcc_lo
; %bb.106:
	s_or_b32 exec_lo, exec_lo, s3
	v_and_b32_e32 v8, 0x7f800000, v72
	s_delay_alu instid0(VALU_DEP_1) | instskip(SKIP_1) | instid1(SALU_CYCLE_1)
	v_cmp_ne_u32_e32 vcc_lo, 0x7f800000, v8
                                        ; implicit-def: $vgpr8
	s_and_saveexec_b32 s3, vcc_lo
	s_xor_b32 s3, exec_lo, s3
; %bb.107:
	v_bfe_u32 v8, v72, 16, 1
	s_delay_alu instid0(VALU_DEP_1)
	v_add3_u32 v8, v72, v8, 0x7fff
                                        ; implicit-def: $vgpr65_vgpr66_vgpr67_vgpr68_vgpr69_vgpr70_vgpr71_vgpr72
; %bb.108:
	s_and_not1_saveexec_b32 s3, s3
; %bb.109:
	v_and_b32_e32 v8, 0xffff, v72
	v_or_b32_e32 v9, 0x10000, v72
	s_delay_alu instid0(VALU_DEP_2) | instskip(NEXT) | instid1(VALU_DEP_2)
	v_cmp_eq_u32_e32 vcc_lo, 0, v8
	v_cndmask_b32_e32 v8, v9, v72, vcc_lo
; %bb.110:
	s_or_b32 exec_lo, exec_lo, s3
	s_delay_alu instid0(VALU_DEP_1)
	v_perm_b32 v7, v8, v7, 0x7060302
	v_perm_b32 v6, v6, v5, 0x7060302
	;; [unrolled: 1-line block ×4, first 2 shown]
	s_barrier
	buffer_gl0_inv
	v_cmp_eq_u32_e32 vcc_lo, 1, v78
	ds_store_b128 v76, v[4:7]
	s_waitcnt lgkmcnt(0)
	s_barrier
	buffer_gl0_inv
	ds_load_b128 v[1:4], v82
	ds_load_b128 v[5:8], v82 offset:16
	v_cmp_eq_u32_e64 s3, 1, v79
	v_cmp_eq_u32_e64 s4, 2, v78
	;; [unrolled: 1-line block ×5, first 2 shown]
	s_waitcnt lgkmcnt(1)
	v_lshrrev_b32_e32 v9, 16, v1
	s_waitcnt lgkmcnt(0)
	v_lshrrev_b32_e32 v13, 16, v5
	v_lshrrev_b32_e32 v10, 16, v2
	;; [unrolled: 1-line block ×4, first 2 shown]
	v_cndmask_b32_e64 v19, v1, v9, s3
	v_cndmask_b32_e32 v18, v5, v13, vcc_lo
	v_cndmask_b32_e64 v20, v5, v13, s3
	v_cndmask_b32_e32 v17, v1, v9, vcc_lo
	v_cmp_eq_u32_e32 vcc_lo, 2, v79
	v_lshrrev_b32_e32 v15, 16, v7
	v_cmp_eq_u32_e64 s3, 1, v77
	v_lshrrev_b32_e32 v12, 16, v4
	v_lshrrev_b32_e32 v16, 16, v8
	v_cndmask_b32_e32 v20, v20, v6, vcc_lo
	v_cndmask_b32_e64 v17, v17, v2, s4
	v_cndmask_b32_e32 v19, v19, v2, vcc_lo
	v_cndmask_b32_e64 v18, v18, v6, s4
	v_cmp_eq_u32_e32 vcc_lo, 4, v78
	v_cmp_eq_u32_e64 s4, 3, v79
	v_cndmask_b32_e64 v17, v17, v10, s5
	v_cndmask_b32_e64 v21, v1, v9, s3
	;; [unrolled: 1-line block ×5, first 2 shown]
	v_cndmask_b32_e32 v17, v17, v3, vcc_lo
	v_cndmask_b32_e64 v20, v20, v14, s4
	v_cndmask_b32_e32 v18, v18, v7, vcc_lo
	v_cmp_eq_u32_e32 vcc_lo, 4, v79
	v_cmp_eq_u32_e64 s4, 5, v79
	v_cmp_eq_u32_e64 s3, 2, v81
	v_cndmask_b32_e64 v21, v21, v2, s7
	v_cmp_eq_u32_e64 s5, 5, v78
	v_cndmask_b32_e32 v19, v19, v3, vcc_lo
	v_cndmask_b32_e32 v20, v20, v7, vcc_lo
	v_cmp_eq_u32_e32 vcc_lo, 6, v79
	s_delay_alu instid0(VALU_DEP_4) | instskip(NEXT) | instid1(VALU_DEP_4)
	v_cndmask_b32_e64 v17, v17, v11, s5
	v_cndmask_b32_e64 v19, v19, v11, s4
	s_delay_alu instid0(VALU_DEP_4) | instskip(SKIP_1) | instid1(VALU_DEP_3)
	v_cndmask_b32_e64 v20, v20, v15, s4
	v_cmp_eq_u32_e64 s4, 1, v81
	v_cndmask_b32_e32 v19, v19, v4, vcc_lo
	v_cndmask_b32_e64 v18, v18, v15, s5
	s_delay_alu instid0(VALU_DEP_3)
	v_cndmask_b32_e64 v1, v1, v9, s4
	v_cndmask_b32_e64 v5, v5, v13, s4
	v_cmp_eq_u32_e64 s4, 3, v77
	v_cndmask_b32_e64 v13, v22, v6, s7
	v_cmp_eq_u32_e64 s7, 3, v81
	v_cndmask_b32_e64 v1, v1, v2, s3
	v_cndmask_b32_e64 v2, v5, v6, s3
	;; [unrolled: 1-line block ×3, first 2 shown]
	v_cmp_eq_u32_e64 s3, 4, v77
	v_cndmask_b32_e64 v6, v13, v14, s4
	v_cndmask_b32_e64 v1, v1, v10, s7
	v_cmp_eq_u32_e64 s4, 4, v81
	v_cndmask_b32_e64 v2, v2, v14, s7
	v_cndmask_b32_e64 v5, v9, v3, s3
	;; [unrolled: 3-line block ×3, first 2 shown]
	v_cndmask_b32_e64 v2, v2, v7, s4
	v_cmp_eq_u32_e64 s3, 5, v81
	v_cmp_eq_u32_e64 s5, 6, v78
	v_cndmask_b32_e64 v5, v5, v11, s7
	v_cmp_eq_u32_e64 s4, 6, v77
	v_cndmask_b32_e64 v3, v6, v15, s7
	v_cndmask_b32_e64 v1, v1, v11, s3
	v_cmp_eq_u32_e64 s7, 6, v81
	v_cndmask_b32_e64 v2, v2, v15, s3
	v_cndmask_b32_e64 v17, v17, v4, s5
	v_cndmask_b32_e64 v18, v18, v8, s5
	v_cmp_eq_u32_e64 s5, 7, v78
	v_cndmask_b32_e64 v5, v5, v4, s4
	;; [unrolled: 4-line block ×3, first 2 shown]
	v_cmp_eq_u32_e64 s4, 7, v77
	v_cndmask_b32_e32 v4, v20, v8, vcc_lo
	v_cndmask_b32_e64 v17, v17, v12, s5
	v_cndmask_b32_e64 v19, v19, v12, s6
	;; [unrolled: 1-line block ×8, first 2 shown]
	s_mov_b32 s3, exec_lo
	v_perm_b32 v4, v2, v1, 0x5040100
	v_perm_b32 v3, v3, v5, 0x5040100
	;; [unrolled: 1-line block ×4, first 2 shown]
	ds_store_b128 v76, v[1:4]
	s_waitcnt lgkmcnt(0)
	s_barrier
	buffer_gl0_inv
	v_cmpx_gt_u32_e32 32, v0
	s_cbranch_execz .LBB1874_2
; %bb.111:
	s_load_b64 s[4:5], s[0:1], 0x68
	v_lshlrev_b32_e32 v0, 10, v0
	v_add_nc_u32_e32 v2, s31, v74
	v_lshlrev_b32_e32 v3, 4, v75
	s_lshl_b32 s0, s34, 7
	s_delay_alu instid0(SALU_CYCLE_1) | instskip(NEXT) | instid1(VALU_DEP_2)
	s_mul_i32 s1, s0, s30
	v_mul_lo_u32 v1, v2, s0
	s_delay_alu instid0(VALU_DEP_2) | instskip(SKIP_2) | instid1(SALU_CYCLE_1)
	v_and_or_b32 v0, 0x3800, v0, v3
	v_add_nc_u32_e32 v2, 2, v2
	s_mul_i32 s6, s1, s8
	s_ashr_i32 s7, s6, 31
	s_delay_alu instid0(VALU_DEP_2)
	v_lshl_or_b32 v7, v74, 6, v0
	s_lshl_b64 s[6:7], s[6:7], 1
	v_mul_lo_u32 v11, v2, s0
	v_ashrrev_i32_e32 v2, 31, v1
	ds_load_b128 v[3:6], v7
	ds_load_b128 v[7:10], v7 offset:128
	s_waitcnt lgkmcnt(0)
	s_add_u32 s1, s4, s6
	s_addc_u32 s3, s5, s7
	s_lshl_b32 s4, s14, 7
	v_ashrrev_i32_e32 v12, 31, v11
	s_ashr_i32 s5, s4, 31
	v_lshlrev_b64 v[13:14], 1, v[1:2]
	s_lshl_b64 s[4:5], s[4:5], 1
	s_delay_alu instid0(SALU_CYCLE_1) | instskip(SKIP_2) | instid1(VALU_DEP_1)
	s_add_u32 s1, s1, s4
	s_addc_u32 s3, s3, s5
	v_add_co_u32 v1, s1, s1, v73
	v_add_co_ci_u32_e64 v2, null, s3, 0, s1
	v_lshlrev_b64 v[11:12], 1, v[11:12]
	s_delay_alu instid0(VALU_DEP_3) | instskip(NEXT) | instid1(VALU_DEP_3)
	v_add_co_u32 v13, vcc_lo, v1, v13
	v_add_co_ci_u32_e32 v14, vcc_lo, v2, v14, vcc_lo
	s_delay_alu instid0(VALU_DEP_3) | instskip(NEXT) | instid1(VALU_DEP_4)
	v_add_co_u32 v11, vcc_lo, v1, v11
	v_add_co_ci_u32_e32 v12, vcc_lo, v2, v12, vcc_lo
	s_clause 0x1
	global_store_b128 v[13:14], v[3:6], off
	global_store_b128 v[11:12], v[7:10], off
	s_and_b32 exec_lo, exec_lo, s2
	s_cbranch_execz .LBB1874_2
; %bb.112:
	ds_load_b128 v[3:6], v0 offset:256
	s_add_i32 s1, s31, 4
	s_delay_alu instid0(SALU_CYCLE_1) | instskip(NEXT) | instid1(SALU_CYCLE_1)
	s_mul_i32 s0, s1, s0
	s_ashr_i32 s1, s0, 31
	s_delay_alu instid0(SALU_CYCLE_1) | instskip(NEXT) | instid1(SALU_CYCLE_1)
	s_lshl_b64 s[0:1], s[0:1], 1
	v_add_co_u32 v0, vcc_lo, v1, s0
	v_add_co_ci_u32_e32 v1, vcc_lo, s1, v2, vcc_lo
	s_waitcnt lgkmcnt(0)
	global_store_b128 v[0:1], v[3:6], off
	s_nop 0
	s_sendmsg sendmsg(MSG_DEALLOC_VGPRS)
	s_endpgm
	.section	.rodata,"a",@progbits
	.p2align	6, 0x0
	.amdhsa_kernel _Z39paged_attention_ll4mi_QKV_mfma16_kernelI14__hip_bfloat16hLN4vllm18Fp8KVCacheDataTypeE1EhLi32ELi128ELi256ELb0ELi5EL8MFMAType0EEvPKT_PKT0_S9_ifPKiSB_SB_iPKfiiiPfSE_PS4_PT2_iSD_SD_
		.amdhsa_group_segment_fixed_size 17472
		.amdhsa_private_segment_fixed_size 0
		.amdhsa_kernarg_size 400
		.amdhsa_user_sgpr_count 13
		.amdhsa_user_sgpr_dispatch_ptr 0
		.amdhsa_user_sgpr_queue_ptr 0
		.amdhsa_user_sgpr_kernarg_segment_ptr 1
		.amdhsa_user_sgpr_dispatch_id 0
		.amdhsa_user_sgpr_private_segment_size 0
		.amdhsa_wavefront_size32 1
		.amdhsa_uses_dynamic_stack 0
		.amdhsa_enable_private_segment 0
		.amdhsa_system_sgpr_workgroup_id_x 1
		.amdhsa_system_sgpr_workgroup_id_y 1
		.amdhsa_system_sgpr_workgroup_id_z 1
		.amdhsa_system_sgpr_workgroup_info 0
		.amdhsa_system_vgpr_workitem_id 0
		.amdhsa_next_free_vgpr 140
		.amdhsa_next_free_sgpr 36
		.amdhsa_reserve_vcc 1
		.amdhsa_float_round_mode_32 0
		.amdhsa_float_round_mode_16_64 0
		.amdhsa_float_denorm_mode_32 3
		.amdhsa_float_denorm_mode_16_64 3
		.amdhsa_dx10_clamp 1
		.amdhsa_ieee_mode 1
		.amdhsa_fp16_overflow 0
		.amdhsa_workgroup_processor_mode 1
		.amdhsa_memory_ordered 1
		.amdhsa_forward_progress 0
		.amdhsa_shared_vgpr_count 0
		.amdhsa_exception_fp_ieee_invalid_op 0
		.amdhsa_exception_fp_denorm_src 0
		.amdhsa_exception_fp_ieee_div_zero 0
		.amdhsa_exception_fp_ieee_overflow 0
		.amdhsa_exception_fp_ieee_underflow 0
		.amdhsa_exception_fp_ieee_inexact 0
		.amdhsa_exception_int_div_zero 0
	.end_amdhsa_kernel
	.section	.text._Z39paged_attention_ll4mi_QKV_mfma16_kernelI14__hip_bfloat16hLN4vllm18Fp8KVCacheDataTypeE1EhLi32ELi128ELi256ELb0ELi5EL8MFMAType0EEvPKT_PKT0_S9_ifPKiSB_SB_iPKfiiiPfSE_PS4_PT2_iSD_SD_,"axG",@progbits,_Z39paged_attention_ll4mi_QKV_mfma16_kernelI14__hip_bfloat16hLN4vllm18Fp8KVCacheDataTypeE1EhLi32ELi128ELi256ELb0ELi5EL8MFMAType0EEvPKT_PKT0_S9_ifPKiSB_SB_iPKfiiiPfSE_PS4_PT2_iSD_SD_,comdat
.Lfunc_end1874:
	.size	_Z39paged_attention_ll4mi_QKV_mfma16_kernelI14__hip_bfloat16hLN4vllm18Fp8KVCacheDataTypeE1EhLi32ELi128ELi256ELb0ELi5EL8MFMAType0EEvPKT_PKT0_S9_ifPKiSB_SB_iPKfiiiPfSE_PS4_PT2_iSD_SD_, .Lfunc_end1874-_Z39paged_attention_ll4mi_QKV_mfma16_kernelI14__hip_bfloat16hLN4vllm18Fp8KVCacheDataTypeE1EhLi32ELi128ELi256ELb0ELi5EL8MFMAType0EEvPKT_PKT0_S9_ifPKiSB_SB_iPKfiiiPfSE_PS4_PT2_iSD_SD_
                                        ; -- End function
	.section	.AMDGPU.csdata,"",@progbits
; Kernel info:
; codeLenInByte = 8916
; NumSgprs: 38
; NumVgprs: 140
; ScratchSize: 0
; MemoryBound: 0
; FloatMode: 240
; IeeeMode: 1
; LDSByteSize: 17472 bytes/workgroup (compile time only)
; SGPRBlocks: 4
; VGPRBlocks: 17
; NumSGPRsForWavesPerEU: 38
; NumVGPRsForWavesPerEU: 140
; Occupancy: 10
; WaveLimiterHint : 1
; COMPUTE_PGM_RSRC2:SCRATCH_EN: 0
; COMPUTE_PGM_RSRC2:USER_SGPR: 13
; COMPUTE_PGM_RSRC2:TRAP_HANDLER: 0
; COMPUTE_PGM_RSRC2:TGID_X_EN: 1
; COMPUTE_PGM_RSRC2:TGID_Y_EN: 1
; COMPUTE_PGM_RSRC2:TGID_Z_EN: 1
; COMPUTE_PGM_RSRC2:TIDIG_COMP_CNT: 0
	.section	.text._Z39paged_attention_ll4mi_QKV_mfma16_kernelI14__hip_bfloat16hLN4vllm18Fp8KVCacheDataTypeE1EhLi32ELi128ELi256ELb0ELi6EL8MFMAType0EEvPKT_PKT0_S9_ifPKiSB_SB_iPKfiiiPfSE_PS4_PT2_iSD_SD_,"axG",@progbits,_Z39paged_attention_ll4mi_QKV_mfma16_kernelI14__hip_bfloat16hLN4vllm18Fp8KVCacheDataTypeE1EhLi32ELi128ELi256ELb0ELi6EL8MFMAType0EEvPKT_PKT0_S9_ifPKiSB_SB_iPKfiiiPfSE_PS4_PT2_iSD_SD_,comdat
	.protected	_Z39paged_attention_ll4mi_QKV_mfma16_kernelI14__hip_bfloat16hLN4vllm18Fp8KVCacheDataTypeE1EhLi32ELi128ELi256ELb0ELi6EL8MFMAType0EEvPKT_PKT0_S9_ifPKiSB_SB_iPKfiiiPfSE_PS4_PT2_iSD_SD_ ; -- Begin function _Z39paged_attention_ll4mi_QKV_mfma16_kernelI14__hip_bfloat16hLN4vllm18Fp8KVCacheDataTypeE1EhLi32ELi128ELi256ELb0ELi6EL8MFMAType0EEvPKT_PKT0_S9_ifPKiSB_SB_iPKfiiiPfSE_PS4_PT2_iSD_SD_
	.globl	_Z39paged_attention_ll4mi_QKV_mfma16_kernelI14__hip_bfloat16hLN4vllm18Fp8KVCacheDataTypeE1EhLi32ELi128ELi256ELb0ELi6EL8MFMAType0EEvPKT_PKT0_S9_ifPKiSB_SB_iPKfiiiPfSE_PS4_PT2_iSD_SD_
	.p2align	8
	.type	_Z39paged_attention_ll4mi_QKV_mfma16_kernelI14__hip_bfloat16hLN4vllm18Fp8KVCacheDataTypeE1EhLi32ELi128ELi256ELb0ELi6EL8MFMAType0EEvPKT_PKT0_S9_ifPKiSB_SB_iPKfiiiPfSE_PS4_PT2_iSD_SD_,@function
_Z39paged_attention_ll4mi_QKV_mfma16_kernelI14__hip_bfloat16hLN4vllm18Fp8KVCacheDataTypeE1EhLi32ELi128ELi256ELb0ELi6EL8MFMAType0EEvPKT_PKT0_S9_ifPKiSB_SB_iPKfiiiPfSE_PS4_PT2_iSD_SD_: ; @_Z39paged_attention_ll4mi_QKV_mfma16_kernelI14__hip_bfloat16hLN4vllm18Fp8KVCacheDataTypeE1EhLi32ELi128ELi256ELb0ELi6EL8MFMAType0EEvPKT_PKT0_S9_ifPKiSB_SB_iPKfiiiPfSE_PS4_PT2_iSD_SD_
; %bb.0:
	s_load_b64 s[4:5], s[0:1], 0x30
	s_mov_b32 s30, s13
	s_waitcnt lgkmcnt(0)
	s_cmp_lg_u64 s[4:5], 0
	s_cselect_b32 s13, -1, 0
	s_ashr_i32 s31, s30, 31
	s_cmp_eq_u64 s[4:5], 0
	s_cbranch_scc1 .LBB1875_3
; %bb.1:
	s_lshl_b64 s[2:3], s[30:31], 2
	s_delay_alu instid0(SALU_CYCLE_1) | instskip(SKIP_4) | instid1(SALU_CYCLE_1)
	s_add_u32 s2, s4, s2
	s_addc_u32 s3, s5, s3
	s_load_b64 s[2:3], s[2:3], 0x0
	s_waitcnt lgkmcnt(0)
	s_sub_i32 s2, s3, s2
	s_cmp_eq_u32 s2, 1
	s_cselect_b32 s2, -1, 0
	s_delay_alu instid0(SALU_CYCLE_1)
	s_and_not1_b32 vcc_lo, exec_lo, s2
	s_cbranch_vccz .LBB1875_4
.LBB1875_2:
	s_endpgm
.LBB1875_3:
.LBB1875_4:
	s_load_b64 s[2:3], s[0:1], 0x28
	s_lshl_b64 s[6:7], s[30:31], 2
	s_waitcnt lgkmcnt(0)
	s_add_u32 s2, s2, s6
	s_addc_u32 s3, s3, s7
	s_lshl_b32 s12, s14, 8
	s_load_b32 s17, s[2:3], 0x0
	s_waitcnt lgkmcnt(0)
	s_cmp_ge_i32 s12, s17
	s_cbranch_scc1 .LBB1875_2
; %bb.5:
	s_clause 0x1
	s_load_b128 s[8:11], s[0:1], 0x8
	s_load_b64 s[2:3], s[0:1], 0x20
	s_and_not1_b32 vcc_lo, exec_lo, s13
	s_cbranch_vccnz .LBB1875_7
; %bb.6:
	s_add_u32 s4, s4, s6
	s_addc_u32 s5, s5, s7
	s_load_b32 s13, s[4:5], 0x0
	s_branch .LBB1875_8
.LBB1875_7:
	s_mov_b32 s13, s30
.LBB1875_8:
	s_load_b128 s[4:7], s[0:1], 0x48
	v_and_b32_e32 v65, 15, v0
	v_lshrrev_b32_e32 v66, 5, v0
	v_and_b32_e32 v67, 31, v0
	v_and_b32_e32 v75, 1, v0
	v_bfe_u32 v74, v0, 4, 1
	v_lshlrev_b32_e32 v1, 3, v65
	s_mul_i32 s29, s15, 6
	s_waitcnt lgkmcnt(0)
	s_mov_b32 s7, exec_lo
	s_delay_alu instid0(VALU_DEP_1)
	v_lshlrev_b32_e32 v73, 1, v1
	v_cmpx_gt_u32_e32 0x60, v0
	s_cbranch_execz .LBB1875_10
; %bb.9:
	s_load_b64 s[18:19], s[0:1], 0x0
	v_lshl_or_b32 v5, v66, 1, v74
	s_mul_hi_i32 s21, s13, s4
	s_mul_i32 s20, s13, s4
	v_lshlrev_b32_e32 v6, 10, v65
	s_lshl_b64 s[20:21], s[20:21], 1
	v_add_lshl_u32 v1, v5, s29, 7
	v_lshlrev_b32_e32 v5, 6, v5
	v_lshlrev_b32_e32 v7, 10, v75
	v_and_b32_e32 v6, 0x3800, v6
	s_delay_alu instid0(VALU_DEP_4) | instskip(NEXT) | instid1(VALU_DEP_2)
	v_ashrrev_i32_e32 v2, 31, v1
	v_or3_b32 v5, v6, v7, v5
	s_delay_alu instid0(VALU_DEP_2) | instskip(SKIP_3) | instid1(VALU_DEP_1)
	v_lshlrev_b64 v[1:2], 1, v[1:2]
	s_waitcnt lgkmcnt(0)
	s_add_u32 s4, s18, s20
	s_addc_u32 s13, s19, s21
	v_add_co_u32 v1, vcc_lo, s4, v1
	s_delay_alu instid0(VALU_DEP_2) | instskip(NEXT) | instid1(VALU_DEP_2)
	v_add_co_ci_u32_e32 v2, vcc_lo, s13, v2, vcc_lo
	v_add_co_u32 v1, vcc_lo, v1, v73
	s_delay_alu instid0(VALU_DEP_2)
	v_add_co_ci_u32_e32 v2, vcc_lo, 0, v2, vcc_lo
	global_load_b128 v[1:4], v[1:2], off
	s_waitcnt vmcnt(0)
	ds_store_b128 v5, v[1:4]
.LBB1875_10:
	s_or_b32 exec_lo, exec_lo, s7
	v_and_b32_e32 v1, 0xef, v0
	s_add_i32 s4, s17, 31
	s_clause 0x1
	s_load_b32 s7, s[0:1], 0x38
	s_load_b32 s18, s[0:1], 0x1c
	s_ashr_i32 s13, s4, 31
	v_add_nc_u32_e32 v2, s12, v1
	s_lshr_b32 s13, s13, 27
	s_waitcnt lgkmcnt(0)
	s_add_i32 s4, s4, s13
	s_barrier
	v_ashrrev_i32_e32 v1, 31, v2
	s_ashr_i32 s4, s4, 5
	v_cmp_gt_i32_e32 vcc_lo, s17, v2
	s_add_i32 s4, s4, -1
	buffer_gl0_inv
	v_lshrrev_b32_e32 v3, 27, v1
	v_or_b32_e32 v1, 16, v2
	s_mul_i32 s15, s15, s6
	s_delay_alu instid0(VALU_DEP_2) | instskip(SKIP_1) | instid1(SALU_CYCLE_1)
	v_add_nc_u32_e32 v4, v2, v3
	s_mul_i32 s20, s30, s7
	s_ashr_i32 s21, s20, 31
	s_delay_alu instid0(VALU_DEP_1) | instskip(SKIP_2) | instid1(SALU_CYCLE_1)
	v_ashrrev_i32_e32 v4, 5, v4
	v_add_nc_u32_e32 v3, v1, v3
	s_lshl_b64 s[20:21], s[20:21], 2
	s_add_u32 s7, s2, s20
	s_delay_alu instid0(VALU_DEP_2) | instskip(NEXT) | instid1(VALU_DEP_2)
	v_cndmask_b32_e32 v2, s4, v4, vcc_lo
	v_ashrrev_i32_e32 v3, 5, v3
	v_cmp_gt_i32_e32 vcc_lo, s17, v1
	s_addc_u32 s13, s3, s21
	s_ashr_i32 s6, s15, 31
	s_add_u32 s2, s8, s15
	s_addc_u32 s3, s9, s6
	v_cndmask_b32_e32 v4, s4, v3, vcc_lo
	v_ashrrev_i32_e32 v3, 31, v2
	s_lshl_b32 s8, s14, 3
	s_delay_alu instid0(SALU_CYCLE_1) | instskip(NEXT) | instid1(VALU_DEP_2)
	s_ashr_i32 s9, s8, 31
	v_ashrrev_i32_e32 v5, 31, v4
	s_delay_alu instid0(VALU_DEP_2) | instskip(SKIP_1) | instid1(SALU_CYCLE_1)
	v_lshlrev_b64 v[1:2], 2, v[2:3]
	s_lshl_b64 s[8:9], s[8:9], 2
	s_add_u32 s8, s7, s8
	s_delay_alu instid0(VALU_DEP_2) | instskip(SKIP_1) | instid1(VALU_DEP_2)
	v_lshlrev_b64 v[3:4], 2, v[4:5]
	s_addc_u32 s9, s13, s9
	v_add_co_u32 v1, vcc_lo, s7, v1
	v_add_co_ci_u32_e32 v2, vcc_lo, s13, v2, vcc_lo
	s_delay_alu instid0(VALU_DEP_3) | instskip(NEXT) | instid1(VALU_DEP_4)
	v_add_co_u32 v3, vcc_lo, s7, v3
	v_add_co_ci_u32_e32 v4, vcc_lo, s13, v4, vcc_lo
	s_clause 0x1
	global_load_b32 v5, v[1:2], off
	global_load_b32 v6, v[3:4], off
	s_or_b32 s16, s12, 32
	s_delay_alu instid0(SALU_CYCLE_1) | instskip(SKIP_2) | instid1(SALU_CYCLE_1)
	s_ashr_i32 s19, s16, 5
	s_cmp_lt_i32 s16, s17
	s_cselect_b32 s20, s19, s4
	s_ashr_i32 s21, s20, 31
	s_delay_alu instid0(SALU_CYCLE_1) | instskip(NEXT) | instid1(SALU_CYCLE_1)
	s_lshl_b64 s[20:21], s[20:21], 2
	s_add_u32 s20, s7, s20
	s_addc_u32 s21, s13, s21
	s_or_b32 s16, s12, 64
	s_delay_alu instid0(SALU_CYCLE_1) | instskip(SKIP_2) | instid1(SALU_CYCLE_1)
	s_ashr_i32 s19, s16, 5
	s_cmp_lt_i32 s16, s17
	s_cselect_b32 s22, s19, s4
	s_ashr_i32 s23, s22, 31
	s_delay_alu instid0(SALU_CYCLE_1) | instskip(NEXT) | instid1(SALU_CYCLE_1)
	s_lshl_b64 s[22:23], s[22:23], 2
	s_add_u32 s22, s7, s22
	s_addc_u32 s23, s13, s23
	;; [unrolled: 10-line block ×5, first 2 shown]
	s_clause 0x5
	s_load_b32 s16, s[8:9], 0x0
	s_load_b32 s19, s[20:21], 0x0
	;; [unrolled: 1-line block ×6, first 2 shown]
	s_mov_b32 s20, 0
	s_delay_alu instid0(SALU_CYCLE_1)
	s_mov_b32 s21, s20
	s_mov_b32 s22, s20
	;; [unrolled: 1-line block ×7, first 2 shown]
	s_delay_alu instid0(SALU_CYCLE_1)
	v_dual_mov_b32 v107, s27 :: v_dual_mov_b32 v106, s26
	v_dual_mov_b32 v105, s25 :: v_dual_mov_b32 v102, s22
	;; [unrolled: 1-line block ×4, first 2 shown]
	s_waitcnt vmcnt(1)
	v_mad_i64_i32 v[1:2], null, v5, s5, s[2:3]
	v_lshlrev_b32_e32 v5, 4, v65
	s_waitcnt vmcnt(0)
	v_mad_i64_i32 v[3:4], null, v6, s5, s[2:3]
	s_or_b32 s2, s12, 0xc0
	s_delay_alu instid0(SALU_CYCLE_1) | instskip(NEXT) | instid1(VALU_DEP_3)
	s_ashr_i32 s3, s2, 5
	v_add_co_u32 v25, vcc_lo, v1, v5
	s_delay_alu instid0(VALU_DEP_4) | instskip(NEXT) | instid1(VALU_DEP_3)
	v_add_co_ci_u32_e32 v26, vcc_lo, 0, v2, vcc_lo
	v_add_co_u32 v27, vcc_lo, v3, v5
	s_delay_alu instid0(VALU_DEP_4)
	v_add_co_ci_u32_e32 v28, vcc_lo, 0, v4, vcc_lo
	s_clause 0xf
	global_load_b128 v[1:4], v[25:26], off
	global_load_b128 v[5:8], v[25:26], off offset:512
	global_load_b128 v[9:12], v[27:28], off offset:256
	;; [unrolled: 1-line block ×15, first 2 shown]
	v_mul_lo_u16 v25, v65, 43
	s_cmp_lt_i32 s2, s17
	v_lshlrev_b32_e32 v26, 5, v65
	s_cselect_b32 s2, s3, s4
	s_delay_alu instid0(VALU_DEP_2) | instskip(SKIP_1) | instid1(VALU_DEP_2)
	v_lshrrev_b16 v25, 8, v25
	s_ashr_i32 s3, s2, 31
	v_lshl_or_b32 v33, v66, 9, v26
	s_lshl_b64 s[2:3], s[2:3], 2
	s_delay_alu instid0(VALU_DEP_2) | instskip(SKIP_3) | instid1(VALU_DEP_1)
	v_mul_lo_u16 v25, v25, 6
	s_add_u32 s2, s7, s2
	s_addc_u32 s3, s13, s3
	s_or_b32 s8, s12, 0xe0
	v_sub_nc_u16 v25, v65, v25
	s_ashr_i32 s9, s8, 5
	s_cmp_lt_i32 s8, s17
	s_cselect_b32 s8, s9, s4
	s_delay_alu instid0(VALU_DEP_1) | instskip(SKIP_1) | instid1(SALU_CYCLE_1)
	v_and_b32_e32 v25, 0xff, v25
	s_ashr_i32 s9, s8, 31
	s_lshl_b64 s[8:9], s[8:9], 2
	s_delay_alu instid0(VALU_DEP_1)
	v_lshlrev_b32_e32 v72, 6, v25
	ds_load_b128 v[25:28], v72
	ds_load_b128 v[29:32], v72 offset:1024
	ds_load_b128 v[108:111], v72 offset:2048
	ds_load_b128 v[112:115], v72 offset:3072
	s_load_b32 s4, s[2:3], 0x0
	s_add_u32 s2, s7, s8
	s_addc_u32 s3, s13, s9
	ds_load_b128 v[116:119], v72 offset:4096
	ds_load_b128 v[120:123], v72 offset:5120
	s_load_b32 s2, s[2:3], 0x0
	s_add_u32 s7, s10, s15
	s_addc_u32 s6, s11, s6
	v_add_co_u32 v68, s7, s7, v33
	s_delay_alu instid0(VALU_DEP_1) | instskip(SKIP_1) | instid1(VALU_DEP_1)
	v_add_co_ci_u32_e64 v69, null, s6, 0, s7
	s_waitcnt lgkmcnt(0)
	v_mad_i64_i32 v[33:34], null, s16, s5, v[68:69]
	v_mad_i64_i32 v[70:71], null, s28, s5, v[68:69]
	;; [unrolled: 1-line block ×7, first 2 shown]
	s_clause 0x3
	global_load_b128 v[41:44], v[33:34], off
	global_load_b128 v[45:48], v[33:34], off offset:16
	global_load_b128 v[33:36], v[37:38], off
	global_load_b128 v[37:40], v[37:38], off offset:16
	s_waitcnt vmcnt(18)
	v_wmma_f32_16x16x16_bf16 v[124:131], v[1:8], v[25:32], v[100:107]
	s_waitcnt vmcnt(16)
	v_wmma_f32_16x16x16_bf16 v[100:107], v[9:16], v[25:32], v[100:107]
	s_clause 0x1
	global_load_b128 v[25:28], v[70:71], off
	global_load_b128 v[29:32], v[70:71], off offset:16
	s_waitcnt vmcnt(16)
	v_wmma_f32_16x16x16_bf16 v[124:131], v[17:24], v[108:115], v[124:131]
	s_clause 0x1
	global_load_b128 v[17:20], v[132:133], off
	global_load_b128 v[21:24], v[132:133], off offset:16
	s_waitcnt vmcnt(16)
	v_wmma_f32_16x16x16_bf16 v[100:107], v[49:56], v[108:115], v[100:107]
	v_mad_i64_i32 v[53:54], null, s2, s5, v[68:69]
	s_clause 0x3
	global_load_b128 v[1:4], v[134:135], off
	global_load_b128 v[5:8], v[134:135], off offset:16
	global_load_b128 v[9:12], v[136:137], off
	global_load_b128 v[13:16], v[136:137], off offset:16
	s_waitcnt vmcnt(18)
	v_wmma_f32_16x16x16_bf16 v[124:131], v[57:64], v[116:123], v[124:131]
	s_clause 0x3
	global_load_b128 v[57:60], v[138:139], off
	global_load_b128 v[61:64], v[138:139], off offset:16
	global_load_b128 v[49:52], v[53:54], off
	global_load_b128 v[53:56], v[53:54], off offset:16
	s_waitcnt vmcnt(20)
	v_wmma_f32_16x16x16_bf16 v[100:107], v[76:83], v[116:123], v[100:107]
	ds_load_b128 v[76:79], v72 offset:6144
	ds_load_b128 v[80:83], v72 offset:7168
	v_mbcnt_lo_u32_b32 v69, -1, 0
	s_waitcnt vmcnt(0) lgkmcnt(0)
	s_barrier
	buffer_gl0_inv
	v_xor_b32_e32 v70, 16, v69
	s_delay_alu instid0(VALU_DEP_1) | instskip(SKIP_4) | instid1(VALU_DEP_2)
	v_cmp_gt_i32_e32 vcc_lo, 32, v70
	v_cndmask_b32_e32 v69, v69, v70, vcc_lo
	v_wmma_f32_16x16x16_bf16 v[124:131], v[84:91], v[76:83], v[124:131]
	v_and_b32_e32 v68, 0xe0, v0
	v_wmma_f32_16x16x16_bf16 v[100:107], v[92:99], v[76:83], v[100:107]
	v_dual_mul_f32 v81, s18, v129 :: v_dual_add_nc_u32 v68, s12, v68
	s_delay_alu instid0(VALU_DEP_4) | instskip(NEXT) | instid1(VALU_DEP_3)
	v_dual_mul_f32 v83, s18, v131 :: v_dual_mul_f32 v78, s18, v125
	v_mul_f32_e32 v95, s18, v103
	v_mul_f32_e32 v79, s18, v127
	s_delay_alu instid0(VALU_DEP_4) | instskip(SKIP_3) | instid1(VALU_DEP_4)
	v_or_b32_e32 v68, v68, v74
	v_dual_mul_f32 v80, s18, v126 :: v_dual_mul_f32 v97, s18, v105
	v_dual_mul_f32 v93, s18, v101 :: v_dual_mul_f32 v82, s18, v128
	v_mul_f32_e32 v99, s18, v107
	v_or_b32_e32 v70, 2, v68
	v_or_b32_e32 v71, 4, v68
	;; [unrolled: 1-line block ×3, first 2 shown]
	v_cmp_gt_i32_e64 s2, s17, v68
	v_or_b32_e32 v108, 8, v68
	v_cmp_gt_i32_e32 vcc_lo, s17, v70
	v_mul_f32_e32 v70, s18, v124
	v_or_b32_e32 v109, 10, v68
	v_cmp_gt_i32_e64 s3, s17, v71
	v_cmp_gt_i32_e64 s4, s17, v72
	v_cndmask_b32_e32 v78, 0xff7fffff, v78, vcc_lo
	v_cndmask_b32_e64 v70, 0xff7fffff, v70, s2
	v_or_b32_e32 v84, 12, v68
	v_or_b32_e32 v85, 14, v68
	v_cndmask_b32_e64 v71, 0xff7fffff, v80, s3
	v_cndmask_b32_e64 v72, 0xff7fffff, v79, s4
	v_max3_f32 v70, v70, 0xff7fffff, v78
	v_cmp_gt_i32_e64 s5, s17, v108
	v_cmp_gt_i32_e64 s6, s17, v109
	v_or_b32_e32 v86, 16, v68
	v_or_b32_e32 v87, 18, v68
	;; [unrolled: 1-line block ×3, first 2 shown]
	v_mul_f32_e32 v92, s18, v130
	v_cndmask_b32_e64 v78, 0xff7fffff, v82, s5
	v_cndmask_b32_e64 v79, 0xff7fffff, v81, s6
	v_max3_f32 v70, v70, v71, v72
	v_cmp_gt_i32_e64 s7, s17, v84
	v_cmp_gt_i32_e64 s8, s17, v85
	v_or_b32_e32 v88, 20, v68
	v_mul_f32_e32 v94, s18, v100
	v_max3_f32 v70, v70, v78, v79
	v_cmp_gt_i32_e64 s9, s17, v86
	v_cndmask_b32_e64 v72, 0xff7fffff, v83, s8
	v_cmp_gt_i32_e64 s10, s17, v87
	v_cmp_gt_i32_e64 s12, s17, v89
	v_lshlrev_b32_e32 v89, 2, v69
	v_cndmask_b32_e64 v71, 0xff7fffff, v92, s7
	v_or_b32_e32 v90, 24, v68
	v_or_b32_e32 v91, 26, v68
	v_mul_f32_e32 v96, s18, v102
	v_cndmask_b32_e64 v78, 0xff7fffff, v94, s9
	v_cndmask_b32_e64 v79, 0xff7fffff, v93, s10
	v_max3_f32 v70, v70, v71, v72
	v_cmp_gt_i32_e64 s11, s17, v88
	v_or_b32_e32 v76, 28, v68
	v_or_b32_e32 v77, 30, v68
	v_mul_f32_e32 v98, s18, v104
	v_cndmask_b32_e64 v72, 0xff7fffff, v95, s12
	v_cndmask_b32_e64 v71, 0xff7fffff, v96, s11
	v_max3_f32 v70, v70, v78, v79
	v_cmp_gt_i32_e64 s13, s17, v90
	v_cmp_gt_i32_e64 s15, s17, v91
	v_mul_f32_e32 v68, s18, v106
	v_cmp_gt_i32_e64 s16, s17, v76
	v_max3_f32 v70, v70, v71, v72
	v_cndmask_b32_e64 v78, 0xff7fffff, v98, s13
	v_cndmask_b32_e64 v79, 0xff7fffff, v97, s15
	v_cmp_gt_i32_e64 s17, s17, v77
	v_cndmask_b32_e64 v68, 0xff7fffff, v68, s16
	s_delay_alu instid0(VALU_DEP_3) | instskip(NEXT) | instid1(VALU_DEP_3)
	v_max3_f32 v70, v70, v78, v79
	v_cndmask_b32_e64 v71, 0xff7fffff, v99, s17
	s_delay_alu instid0(VALU_DEP_1) | instskip(SKIP_3) | instid1(VALU_DEP_1)
	v_max3_f32 v68, v70, v68, v71
	ds_bpermute_b32 v69, v89, v68
	s_waitcnt lgkmcnt(0)
	v_max_f32_e32 v69, v69, v69
	v_max_f32_e32 v68, v68, v69
	s_delay_alu instid0(VALU_DEP_1) | instskip(NEXT) | instid1(VALU_DEP_1)
	v_fma_f32 v71, s18, v126, -v68
	v_mul_f32_e32 v71, 0x3fb8aa3b, v71
	s_delay_alu instid0(VALU_DEP_1) | instskip(SKIP_3) | instid1(VALU_DEP_1)
	v_exp_f32_e32 v71, v71
	s_waitcnt_depctr 0xfff
	v_cndmask_b32_e64 v83, 0, v71, s3
	v_fma_f32 v71, s18, v131, -v68
	v_mul_f32_e32 v71, 0x3fb8aa3b, v71
	v_fma_f32 v69, s18, v124, -v68
	v_fma_f32 v76, s18, v128, -v68
	;; [unrolled: 1-line block ×4, first 2 shown]
	v_exp_f32_e32 v71, v71
	v_mul_f32_e32 v69, 0x3fb8aa3b, v69
	v_mul_f32_e32 v77, 0x3fb8aa3b, v76
	v_fma_f32 v81, s18, v105, -v68
	v_fma_f32 v78, s18, v130, -v68
	s_delay_alu instid0(VALU_DEP_4) | instskip(NEXT) | instid1(VALU_DEP_3)
	v_exp_f32_e32 v69, v69
	v_exp_f32_e32 v77, v77
	s_delay_alu instid0(VALU_DEP_2) | instskip(NEXT) | instid1(TRANS32_DEP_3)
	v_mul_f32_e32 v81, 0x3fb8aa3b, v81
	v_cndmask_b32_e64 v88, 0, v71, s8
	v_fma_f32 v71, s18, v104, -v68
	s_delay_alu instid0(VALU_DEP_3) | instskip(NEXT) | instid1(TRANS32_DEP_3)
	v_exp_f32_e32 v81, v81
	v_cndmask_b32_e64 v80, 0, v69, s2
	v_fma_f32 v69, s18, v129, -v68
	v_mul_f32_e32 v70, 0x3fb8aa3b, v70
	s_delay_alu instid0(TRANS32_DEP_2)
	v_cndmask_b32_e64 v86, 0, v77, s5
	v_mul_f32_e32 v72, 0x3fb8aa3b, v72
	v_fma_f32 v77, s18, v101, -v68
	v_mul_f32_e32 v69, 0x3fb8aa3b, v69
	v_exp_f32_e32 v70, v70
	v_mul_f32_e32 v71, 0x3fb8aa3b, v71
	v_exp_f32_e32 v72, v72
	;; [unrolled: 2-line block ×3, first 2 shown]
	s_mov_b32 s2, exec_lo
	v_exp_f32_e32 v82, v71
	s_delay_alu instid0(VALU_DEP_1) | instskip(SKIP_4) | instid1(TRANS32_DEP_3)
	v_exp_f32_e32 v77, v77
	v_cndmask_b32_e32 v76, 0, v70, vcc_lo
	v_add_f32_e32 v70, 0, v80
	v_cndmask_b32_e64 v85, 0, v72, s4
	v_fma_f32 v72, s18, v100, -v68
	v_cndmask_b32_e64 v87, 0, v69, s6
	s_delay_alu instid0(VALU_DEP_4) | instskip(NEXT) | instid1(VALU_DEP_3)
	v_add_f32_e32 v70, v70, v76
	v_mul_f32_e32 v72, 0x3fb8aa3b, v72
	s_delay_alu instid0(VALU_DEP_2) | instskip(NEXT) | instid1(VALU_DEP_2)
	v_add_f32_e32 v70, v70, v83
	v_exp_f32_e32 v72, v72
	s_delay_alu instid0(VALU_DEP_1) | instskip(NEXT) | instid1(VALU_DEP_1)
	v_add_f32_e32 v70, v70, v85
	v_add_f32_e32 v69, v70, v86
	v_fma_f32 v70, s18, v102, -v68
	s_delay_alu instid0(VALU_DEP_2) | instskip(NEXT) | instid1(VALU_DEP_2)
	v_dual_add_f32 v69, v69, v87 :: v_dual_mul_f32 v78, 0x3fb8aa3b, v78
	v_mul_f32_e32 v70, 0x3fb8aa3b, v70
	s_delay_alu instid0(VALU_DEP_2) | instskip(NEXT) | instid1(VALU_DEP_1)
	v_exp_f32_e32 v78, v78
	v_exp_f32_e32 v79, v70
	s_delay_alu instid0(TRANS32_DEP_3) | instskip(SKIP_4) | instid1(VALU_DEP_2)
	v_cndmask_b32_e64 v70, 0, v72, s9
	s_waitcnt_depctr 0xfff
	v_cndmask_b32_e64 v84, 0, v78, s7
	v_fma_f32 v78, s18, v103, -v68
	v_cndmask_b32_e64 v71, 0, v79, s11
	v_dual_add_f32 v69, v69, v84 :: v_dual_mul_f32 v78, 0x3fb8aa3b, v78
	s_delay_alu instid0(VALU_DEP_1) | instskip(NEXT) | instid1(VALU_DEP_2)
	v_add_f32_e32 v72, v69, v88
	v_exp_f32_e32 v78, v78
	v_cndmask_b32_e64 v69, 0, v77, s10
	v_fma_f32 v77, s18, v106, -v68
	s_delay_alu instid0(VALU_DEP_1) | instskip(NEXT) | instid1(VALU_DEP_1)
	v_dual_add_f32 v72, v72, v70 :: v_dual_mul_f32 v77, 0x3fb8aa3b, v77
	v_add_f32_e32 v79, v72, v69
	s_waitcnt_depctr 0xfff
	v_cndmask_b32_e64 v72, 0, v78, s12
	v_exp_f32_e32 v90, v77
	v_cndmask_b32_e64 v77, 0, v82, s13
	v_add_f32_e32 v78, v79, v71
	v_fma_f32 v79, s18, v107, -v68
	s_delay_alu instid0(VALU_DEP_1) | instskip(SKIP_1) | instid1(VALU_DEP_2)
	v_dual_add_f32 v82, v78, v72 :: v_dual_mul_f32 v79, 0x3fb8aa3b, v79
	v_cndmask_b32_e64 v78, 0, v81, s15
	v_add_f32_e32 v81, v82, v77
	s_delay_alu instid0(VALU_DEP_3) | instskip(NEXT) | instid1(TRANS32_DEP_2)
	v_exp_f32_e32 v82, v79
	v_cndmask_b32_e64 v79, 0, v90, s16
	s_delay_alu instid0(VALU_DEP_2) | instskip(NEXT) | instid1(VALU_DEP_1)
	v_add_f32_e32 v81, v81, v78
	v_add_f32_e32 v90, v81, v79
	s_waitcnt_depctr 0xfff
	v_cndmask_b32_e64 v81, 0, v82, s17
	s_delay_alu instid0(VALU_DEP_1)
	v_add_f32_e32 v82, v90, v81
	ds_bpermute_b32 v89, v89, v82
	v_cmpx_gt_u32_e32 16, v67
	s_cbranch_execz .LBB1875_12
; %bb.11:
	v_mul_u32_u24_e32 v67, 0x44, v66
	s_delay_alu instid0(VALU_DEP_1) | instskip(SKIP_1) | instid1(VALU_DEP_1)
	v_lshl_add_u32 v67, v65, 2, v67
	s_waitcnt lgkmcnt(0)
	v_dual_add_f32 v82, v82, v89 :: v_dual_add_nc_u32 v67, 0x4000, v67
	ds_store_2addr_b32 v67, v68, v82 offset1:136
.LBB1875_12:
	s_or_b32 exec_lo, exec_lo, s2
	v_lshlrev_b32_e32 v67, 2, v65
	s_waitcnt lgkmcnt(0)
	s_barrier
	buffer_gl0_inv
	v_cmp_eq_u32_e32 vcc_lo, 1, v66
	v_add_nc_u32_e32 v82, 0x4000, v67
	v_cmp_eq_u32_e64 s2, 2, v66
	v_cmp_eq_u32_e64 s4, 7, v66
	ds_load_2addr_b32 v[89:90], v82 offset1:17
	ds_load_2addr_b32 v[91:92], v82 offset0:34 offset1:51
	ds_load_2addr_b32 v[93:94], v82 offset0:68 offset1:85
	;; [unrolled: 1-line block ×4, first 2 shown]
	s_waitcnt lgkmcnt(4)
	v_max3_f32 v67, v89, 0xff7fffff, v90
	s_waitcnt lgkmcnt(3)
	s_delay_alu instid0(VALU_DEP_1) | instskip(SKIP_1) | instid1(VALU_DEP_1)
	v_max3_f32 v67, v67, v91, v92
	s_waitcnt lgkmcnt(2)
	v_max3_f32 v67, v67, v93, v94
	s_waitcnt lgkmcnt(1)
	s_delay_alu instid0(VALU_DEP_1) | instskip(NEXT) | instid1(VALU_DEP_1)
	v_max3_f32 v67, v67, v95, v96
	v_sub_f32_e32 v93, v93, v67
	s_delay_alu instid0(VALU_DEP_1) | instskip(NEXT) | instid1(VALU_DEP_1)
	v_dual_sub_f32 v68, v89, v67 :: v_dual_mul_f32 v103, 0x3fb8aa3b, v93
	v_mul_f32_e32 v68, 0x3fb8aa3b, v68
	s_delay_alu instid0(VALU_DEP_1)
	v_exp_f32_e32 v100, v68
	v_sub_f32_e32 v68, v92, v67
	v_sub_f32_e32 v99, v90, v67
	ds_load_2addr_b32 v[89:90], v82 offset0:170 offset1:187
	v_dual_mul_f32 v102, 0x3fb8aa3b, v68 :: v_dual_mul_f32 v99, 0x3fb8aa3b, v99
	s_waitcnt lgkmcnt(1)
	v_fma_f32 v68, v100, v97, 0
	s_delay_alu instid0(VALU_DEP_2) | instskip(NEXT) | instid1(VALU_DEP_2)
	v_exp_f32_e32 v102, v102
	v_exp_f32_e32 v99, v99
	s_waitcnt_depctr 0xfff
	v_fmac_f32_e32 v68, v99, v98
	v_sub_f32_e32 v91, v91, v67
	s_delay_alu instid0(VALU_DEP_1)
	v_mul_f32_e32 v101, 0x3fb8aa3b, v91
	ds_load_2addr_b32 v[91:92], v82 offset0:204 offset1:221
	v_sub_f32_e32 v97, v94, v67
	ds_load_2addr_b32 v[93:94], v82 offset0:238 offset1:255
	s_waitcnt lgkmcnt(0)
	v_exp_f32_e32 v101, v101
	s_barrier
	buffer_gl0_inv
	v_dual_fmac_f32 v68, v101, v89 :: v_dual_sub_f32 v89, v96, v67
	v_dual_sub_f32 v82, v95, v67 :: v_dual_mul_f32 v95, 0x3fb8aa3b, v97
	v_exp_f32_e32 v97, v103
	s_delay_alu instid0(VALU_DEP_2) | instskip(NEXT) | instid1(VALU_DEP_2)
	v_dual_fmac_f32 v68, v102, v90 :: v_dual_mul_f32 v89, 0x3fb8aa3b, v89
	v_mul_f32_e32 v82, 0x3fb8aa3b, v82
	s_delay_alu instid0(VALU_DEP_3) | instskip(NEXT) | instid1(VALU_DEP_2)
	v_exp_f32_e32 v95, v95
	v_exp_f32_e32 v89, v89
	s_delay_alu instid0(VALU_DEP_1)
	v_exp_f32_e32 v82, v82
	v_fmac_f32_e32 v68, v97, v91
	s_delay_alu instid0(TRANS32_DEP_3) | instid1(VALU_DEP_1)
	v_fmac_f32_e32 v68, v95, v92
	s_waitcnt_depctr 0xfff
	v_fmac_f32_e32 v68, v82, v93
	s_delay_alu instid0(VALU_DEP_1) | instskip(NEXT) | instid1(VALU_DEP_1)
	v_fmac_f32_e32 v68, v89, v94
	v_add_f32_e32 v90, 0x358637bd, v68
	s_delay_alu instid0(VALU_DEP_1) | instskip(NEXT) | instid1(VALU_DEP_1)
	v_div_scale_f32 v91, null, v90, v90, 1.0
	v_rcp_f32_e32 v92, v91
	s_waitcnt_depctr 0xfff
	v_fma_f32 v93, -v91, v92, 1.0
	s_delay_alu instid0(VALU_DEP_1) | instskip(SKIP_1) | instid1(VALU_DEP_2)
	v_dual_fmac_f32 v92, v93, v92 :: v_dual_cndmask_b32 v93, v100, v99
	v_cmp_eq_u32_e32 vcc_lo, 3, v66
	v_cndmask_b32_e64 v93, v93, v101, s2
	v_cmp_eq_u32_e64 s2, 4, v66
	s_delay_alu instid0(VALU_DEP_2) | instskip(SKIP_1) | instid1(VALU_DEP_2)
	v_cndmask_b32_e32 v93, v93, v102, vcc_lo
	v_cmp_eq_u32_e32 vcc_lo, 5, v66
	v_cndmask_b32_e64 v93, v93, v97, s2
	v_cmp_eq_u32_e64 s2, 6, v66
	s_delay_alu instid0(VALU_DEP_2) | instskip(SKIP_1) | instid1(VALU_DEP_1)
	v_cndmask_b32_e32 v93, v93, v95, vcc_lo
	v_div_scale_f32 v94, s3, 1.0, v90, 1.0
	s_mov_b32 vcc_lo, s3
	s_delay_alu instid0(VALU_DEP_2) | instskip(NEXT) | instid1(VALU_DEP_2)
	v_cndmask_b32_e64 v82, v93, v82, s2
	v_mul_f32_e32 v96, v94, v92
	s_mov_b32 s2, exec_lo
	s_delay_alu instid0(VALU_DEP_2) | instskip(NEXT) | instid1(VALU_DEP_2)
	v_cndmask_b32_e64 v82, v82, v89, s4
	v_fma_f32 v98, -v91, v96, v94
	s_delay_alu instid0(VALU_DEP_1) | instskip(NEXT) | instid1(VALU_DEP_1)
	v_fmac_f32_e32 v96, v98, v92
	v_fma_f32 v91, -v91, v96, v94
	s_delay_alu instid0(VALU_DEP_1) | instskip(NEXT) | instid1(VALU_DEP_1)
	v_div_fmas_f32 v91, v91, v92, v96
	v_div_fixup_f32 v90, v91, v90, 1.0
	s_delay_alu instid0(VALU_DEP_1) | instskip(NEXT) | instid1(VALU_DEP_1)
	v_mul_f32_e32 v82, v82, v90
	v_mul_f32_e32 v87, v82, v87
	;; [unrolled: 1-line block ×7, first 2 shown]
	v_dual_mul_f32 v86, v82, v83 :: v_dual_and_b32 v91, 0x7f800000, v90
	v_mul_f32_e32 v85, v82, v76
                                        ; implicit-def: $vgpr76
	s_delay_alu instid0(VALU_DEP_2)
	v_cmpx_ne_u32_e32 0x7f800000, v91
	s_xor_b32 s2, exec_lo, s2
; %bb.13:
	v_bfe_u32 v76, v90, 16, 1
	s_delay_alu instid0(VALU_DEP_1)
	v_add3_u32 v76, v90, v76, 0x7fff
                                        ; implicit-def: $vgpr90
; %bb.14:
	s_and_not1_saveexec_b32 s2, s2
; %bb.15:
	v_and_b32_e32 v76, 0xffff, v90
	v_or_b32_e32 v83, 0x10000, v90
	s_delay_alu instid0(VALU_DEP_2) | instskip(NEXT) | instid1(VALU_DEP_2)
	v_cmp_eq_u32_e32 vcc_lo, 0, v76
	v_cndmask_b32_e32 v76, v83, v90, vcc_lo
; %bb.16:
	s_or_b32 exec_lo, exec_lo, s2
	v_and_b32_e32 v83, 0x7f800000, v85
	s_delay_alu instid0(VALU_DEP_1) | instskip(SKIP_1) | instid1(SALU_CYCLE_1)
	v_cmp_ne_u32_e32 vcc_lo, 0x7f800000, v83
                                        ; implicit-def: $vgpr83
	s_and_saveexec_b32 s2, vcc_lo
	s_xor_b32 s2, exec_lo, s2
; %bb.17:
	v_bfe_u32 v83, v85, 16, 1
	s_delay_alu instid0(VALU_DEP_1)
	v_add3_u32 v83, v85, v83, 0x7fff
                                        ; implicit-def: $vgpr85
; %bb.18:
	s_and_not1_saveexec_b32 s2, s2
; %bb.19:
	v_and_b32_e32 v83, 0xffff, v85
	v_or_b32_e32 v90, 0x10000, v85
	s_delay_alu instid0(VALU_DEP_2) | instskip(NEXT) | instid1(VALU_DEP_2)
	v_cmp_eq_u32_e32 vcc_lo, 0, v83
	v_cndmask_b32_e32 v83, v90, v85, vcc_lo
; %bb.20:
	s_or_b32 exec_lo, exec_lo, s2
	v_and_b32_e32 v85, 0x7f800000, v86
	s_delay_alu instid0(VALU_DEP_1) | instskip(SKIP_1) | instid1(SALU_CYCLE_1)
	v_cmp_ne_u32_e32 vcc_lo, 0x7f800000, v85
                                        ; implicit-def: $vgpr85
	s_and_saveexec_b32 s2, vcc_lo
	s_xor_b32 s2, exec_lo, s2
; %bb.21:
	v_bfe_u32 v85, v86, 16, 1
	s_delay_alu instid0(VALU_DEP_1)
	v_add3_u32 v85, v86, v85, 0x7fff
                                        ; implicit-def: $vgpr86
; %bb.22:
	s_and_not1_saveexec_b32 s2, s2
; %bb.23:
	v_and_b32_e32 v85, 0xffff, v86
	v_or_b32_e32 v90, 0x10000, v86
	s_delay_alu instid0(VALU_DEP_2) | instskip(NEXT) | instid1(VALU_DEP_2)
	v_cmp_eq_u32_e32 vcc_lo, 0, v85
	v_cndmask_b32_e32 v85, v90, v86, vcc_lo
; %bb.24:
	s_or_b32 exec_lo, exec_lo, s2
	v_and_b32_e32 v86, 0x7f800000, v89
	s_delay_alu instid0(VALU_DEP_1) | instskip(SKIP_1) | instid1(SALU_CYCLE_1)
	v_cmp_ne_u32_e32 vcc_lo, 0x7f800000, v86
                                        ; implicit-def: $vgpr86
	s_and_saveexec_b32 s2, vcc_lo
	s_xor_b32 s2, exec_lo, s2
; %bb.25:
	v_bfe_u32 v86, v89, 16, 1
	s_delay_alu instid0(VALU_DEP_1)
	v_add3_u32 v86, v89, v86, 0x7fff
                                        ; implicit-def: $vgpr89
; %bb.26:
	s_and_not1_saveexec_b32 s2, s2
; %bb.27:
	v_and_b32_e32 v86, 0xffff, v89
	v_or_b32_e32 v90, 0x10000, v89
	s_delay_alu instid0(VALU_DEP_2) | instskip(NEXT) | instid1(VALU_DEP_2)
	v_cmp_eq_u32_e32 vcc_lo, 0, v86
	v_cndmask_b32_e32 v86, v90, v89, vcc_lo
; %bb.28:
	s_or_b32 exec_lo, exec_lo, s2
	v_and_b32_e32 v89, 0x7f800000, v88
	s_delay_alu instid0(VALU_DEP_1) | instskip(SKIP_1) | instid1(SALU_CYCLE_1)
	v_cmp_ne_u32_e32 vcc_lo, 0x7f800000, v89
                                        ; implicit-def: $vgpr89
	s_and_saveexec_b32 s2, vcc_lo
	s_xor_b32 s2, exec_lo, s2
; %bb.29:
	v_bfe_u32 v89, v88, 16, 1
	s_delay_alu instid0(VALU_DEP_1)
	v_add3_u32 v89, v88, v89, 0x7fff
                                        ; implicit-def: $vgpr88
; %bb.30:
	s_and_not1_saveexec_b32 s2, s2
; %bb.31:
	v_and_b32_e32 v89, 0xffff, v88
	v_or_b32_e32 v90, 0x10000, v88
	s_delay_alu instid0(VALU_DEP_2) | instskip(NEXT) | instid1(VALU_DEP_2)
	v_cmp_eq_u32_e32 vcc_lo, 0, v89
	v_cndmask_b32_e32 v89, v90, v88, vcc_lo
; %bb.32:
	s_or_b32 exec_lo, exec_lo, s2
	v_and_b32_e32 v88, 0x7f800000, v87
	s_delay_alu instid0(VALU_DEP_1) | instskip(SKIP_1) | instid1(SALU_CYCLE_1)
	v_cmp_ne_u32_e32 vcc_lo, 0x7f800000, v88
                                        ; implicit-def: $vgpr88
	s_and_saveexec_b32 s2, vcc_lo
	s_xor_b32 s2, exec_lo, s2
; %bb.33:
	v_bfe_u32 v88, v87, 16, 1
	s_delay_alu instid0(VALU_DEP_1)
	v_add3_u32 v88, v87, v88, 0x7fff
                                        ; implicit-def: $vgpr87
; %bb.34:
	s_and_not1_saveexec_b32 s2, s2
; %bb.35:
	v_and_b32_e32 v88, 0xffff, v87
	v_or_b32_e32 v90, 0x10000, v87
	s_delay_alu instid0(VALU_DEP_2) | instskip(NEXT) | instid1(VALU_DEP_2)
	v_cmp_eq_u32_e32 vcc_lo, 0, v88
	v_cndmask_b32_e32 v88, v90, v87, vcc_lo
; %bb.36:
	s_or_b32 exec_lo, exec_lo, s2
	v_and_b32_e32 v87, 0x7f800000, v84
	s_delay_alu instid0(VALU_DEP_1) | instskip(SKIP_1) | instid1(SALU_CYCLE_1)
	v_cmp_ne_u32_e32 vcc_lo, 0x7f800000, v87
                                        ; implicit-def: $vgpr87
	s_and_saveexec_b32 s2, vcc_lo
	s_xor_b32 s2, exec_lo, s2
; %bb.37:
	v_bfe_u32 v87, v84, 16, 1
	s_delay_alu instid0(VALU_DEP_1)
	v_add3_u32 v87, v84, v87, 0x7fff
                                        ; implicit-def: $vgpr84
; %bb.38:
	s_and_not1_saveexec_b32 s2, s2
; %bb.39:
	v_and_b32_e32 v87, 0xffff, v84
	v_or_b32_e32 v90, 0x10000, v84
	s_delay_alu instid0(VALU_DEP_2) | instskip(NEXT) | instid1(VALU_DEP_2)
	v_cmp_eq_u32_e32 vcc_lo, 0, v87
	v_cndmask_b32_e32 v87, v90, v84, vcc_lo
; %bb.40:
	s_or_b32 exec_lo, exec_lo, s2
	v_and_b32_e32 v84, 0x7f800000, v80
	s_delay_alu instid0(VALU_DEP_1) | instskip(SKIP_1) | instid1(SALU_CYCLE_1)
	v_cmp_ne_u32_e32 vcc_lo, 0x7f800000, v84
                                        ; implicit-def: $vgpr84
	s_and_saveexec_b32 s2, vcc_lo
	s_xor_b32 s2, exec_lo, s2
; %bb.41:
	v_bfe_u32 v84, v80, 16, 1
	s_delay_alu instid0(VALU_DEP_1)
	v_add3_u32 v84, v80, v84, 0x7fff
                                        ; implicit-def: $vgpr80
; %bb.42:
	s_and_not1_saveexec_b32 s2, s2
; %bb.43:
	v_and_b32_e32 v84, 0xffff, v80
	v_or_b32_e32 v90, 0x10000, v80
	s_delay_alu instid0(VALU_DEP_2) | instskip(NEXT) | instid1(VALU_DEP_2)
	v_cmp_eq_u32_e32 vcc_lo, 0, v84
	v_cndmask_b32_e32 v84, v90, v80, vcc_lo
; %bb.44:
	s_or_b32 exec_lo, exec_lo, s2
	s_load_b64 s[34:35], s[0:1], 0x94
	v_lshlrev_b32_e32 v91, 4, v74
	s_delay_alu instid0(VALU_DEP_2)
	v_perm_b32 v90, v84, v87, 0x7060302
	v_dual_mul_f32 v79, v82, v79 :: v_dual_lshlrev_b32 v80, 6, v65
	v_dual_mul_f32 v77, v82, v77 :: v_dual_lshlrev_b32 v92, 11, v66
	v_mul_f32_e32 v84, v82, v70
	v_perm_b32 v89, v88, v89, 0x7060302
	v_perm_b32 v88, v86, v85, 0x7060302
	;; [unrolled: 1-line block ×3, first 2 shown]
	v_mul_f32_e32 v70, v82, v81
	v_or3_b32 v76, v91, v92, v80
	v_dual_mul_f32 v78, v82, v78 :: v_dual_and_b32 v85, 0x7f800000, v84
	v_mul_f32_e32 v83, v82, v72
	v_mul_f32_e32 v81, v82, v71
	;; [unrolled: 1-line block ×3, first 2 shown]
	s_mov_b32 s2, exec_lo
	ds_store_b128 v76, v[87:90]
                                        ; implicit-def: $vgpr69
	v_cmpx_ne_u32_e32 0x7f800000, v85
	s_xor_b32 s2, exec_lo, s2
; %bb.45:
	v_bfe_u32 v69, v84, 16, 1
	s_delay_alu instid0(VALU_DEP_1)
	v_add3_u32 v69, v84, v69, 0x7fff
                                        ; implicit-def: $vgpr84
; %bb.46:
	s_and_not1_saveexec_b32 s2, s2
; %bb.47:
	v_and_b32_e32 v69, 0xffff, v84
	v_or_b32_e32 v71, 0x10000, v84
	s_delay_alu instid0(VALU_DEP_2) | instskip(NEXT) | instid1(VALU_DEP_2)
	v_cmp_eq_u32_e32 vcc_lo, 0, v69
	v_cndmask_b32_e32 v69, v71, v84, vcc_lo
; %bb.48:
	s_or_b32 exec_lo, exec_lo, s2
	v_and_b32_e32 v71, 0x7f800000, v72
	s_delay_alu instid0(VALU_DEP_1) | instskip(SKIP_1) | instid1(SALU_CYCLE_1)
	v_cmp_ne_u32_e32 vcc_lo, 0x7f800000, v71
                                        ; implicit-def: $vgpr71
	s_and_saveexec_b32 s2, vcc_lo
	s_xor_b32 s2, exec_lo, s2
; %bb.49:
	v_bfe_u32 v71, v72, 16, 1
	s_delay_alu instid0(VALU_DEP_1)
	v_add3_u32 v71, v72, v71, 0x7fff
                                        ; implicit-def: $vgpr72
; %bb.50:
	s_and_not1_saveexec_b32 s2, s2
; %bb.51:
	v_and_b32_e32 v71, 0xffff, v72
	v_or_b32_e32 v82, 0x10000, v72
	s_delay_alu instid0(VALU_DEP_2) | instskip(NEXT) | instid1(VALU_DEP_2)
	v_cmp_eq_u32_e32 vcc_lo, 0, v71
	v_cndmask_b32_e32 v71, v82, v72, vcc_lo
; %bb.52:
	s_or_b32 exec_lo, exec_lo, s2
	v_and_b32_e32 v72, 0x7f800000, v81
	s_delay_alu instid0(VALU_DEP_1) | instskip(SKIP_1) | instid1(SALU_CYCLE_1)
	v_cmp_ne_u32_e32 vcc_lo, 0x7f800000, v72
                                        ; implicit-def: $vgpr72
	s_and_saveexec_b32 s2, vcc_lo
	s_xor_b32 s2, exec_lo, s2
; %bb.53:
	v_bfe_u32 v72, v81, 16, 1
	s_delay_alu instid0(VALU_DEP_1)
	v_add3_u32 v72, v81, v72, 0x7fff
                                        ; implicit-def: $vgpr81
; %bb.54:
	s_and_not1_saveexec_b32 s2, s2
; %bb.55:
	v_and_b32_e32 v72, 0xffff, v81
	v_or_b32_e32 v82, 0x10000, v81
	s_delay_alu instid0(VALU_DEP_2) | instskip(NEXT) | instid1(VALU_DEP_2)
	v_cmp_eq_u32_e32 vcc_lo, 0, v72
	v_cndmask_b32_e32 v72, v82, v81, vcc_lo
; %bb.56:
	s_or_b32 exec_lo, exec_lo, s2
	v_and_b32_e32 v81, 0x7f800000, v83
	s_delay_alu instid0(VALU_DEP_1) | instskip(SKIP_1) | instid1(SALU_CYCLE_1)
	v_cmp_ne_u32_e32 vcc_lo, 0x7f800000, v81
                                        ; implicit-def: $vgpr81
	s_and_saveexec_b32 s2, vcc_lo
	s_xor_b32 s2, exec_lo, s2
; %bb.57:
	v_bfe_u32 v81, v83, 16, 1
	s_delay_alu instid0(VALU_DEP_1)
	v_add3_u32 v81, v83, v81, 0x7fff
                                        ; implicit-def: $vgpr83
; %bb.58:
	s_and_not1_saveexec_b32 s2, s2
; %bb.59:
	v_and_b32_e32 v81, 0xffff, v83
	v_or_b32_e32 v82, 0x10000, v83
	s_delay_alu instid0(VALU_DEP_2) | instskip(NEXT) | instid1(VALU_DEP_2)
	v_cmp_eq_u32_e32 vcc_lo, 0, v81
	v_cndmask_b32_e32 v81, v82, v83, vcc_lo
; %bb.60:
	s_or_b32 exec_lo, exec_lo, s2
	v_and_b32_e32 v82, 0x7f800000, v77
	s_delay_alu instid0(VALU_DEP_1) | instskip(SKIP_1) | instid1(SALU_CYCLE_1)
	v_cmp_ne_u32_e32 vcc_lo, 0x7f800000, v82
                                        ; implicit-def: $vgpr82
	s_and_saveexec_b32 s2, vcc_lo
	s_xor_b32 s2, exec_lo, s2
; %bb.61:
	v_bfe_u32 v82, v77, 16, 1
	s_delay_alu instid0(VALU_DEP_1)
	v_add3_u32 v82, v77, v82, 0x7fff
                                        ; implicit-def: $vgpr77
; %bb.62:
	s_and_not1_saveexec_b32 s2, s2
; %bb.63:
	v_and_b32_e32 v82, 0xffff, v77
	v_or_b32_e32 v83, 0x10000, v77
	s_delay_alu instid0(VALU_DEP_2) | instskip(NEXT) | instid1(VALU_DEP_2)
	v_cmp_eq_u32_e32 vcc_lo, 0, v82
	v_cndmask_b32_e32 v82, v83, v77, vcc_lo
; %bb.64:
	s_or_b32 exec_lo, exec_lo, s2
	v_and_b32_e32 v77, 0x7f800000, v78
	s_delay_alu instid0(VALU_DEP_1) | instskip(SKIP_1) | instid1(SALU_CYCLE_1)
	v_cmp_ne_u32_e32 vcc_lo, 0x7f800000, v77
                                        ; implicit-def: $vgpr77
	s_and_saveexec_b32 s2, vcc_lo
	s_xor_b32 s2, exec_lo, s2
; %bb.65:
	v_bfe_u32 v77, v78, 16, 1
	s_delay_alu instid0(VALU_DEP_1)
	v_add3_u32 v77, v78, v77, 0x7fff
                                        ; implicit-def: $vgpr78
; %bb.66:
	s_and_not1_saveexec_b32 s2, s2
; %bb.67:
	v_and_b32_e32 v77, 0xffff, v78
	v_or_b32_e32 v83, 0x10000, v78
	s_delay_alu instid0(VALU_DEP_2) | instskip(NEXT) | instid1(VALU_DEP_2)
	v_cmp_eq_u32_e32 vcc_lo, 0, v77
	v_cndmask_b32_e32 v77, v83, v78, vcc_lo
; %bb.68:
	s_or_b32 exec_lo, exec_lo, s2
	v_and_b32_e32 v78, 0x7f800000, v79
	s_delay_alu instid0(VALU_DEP_1) | instskip(SKIP_1) | instid1(SALU_CYCLE_1)
	v_cmp_ne_u32_e32 vcc_lo, 0x7f800000, v78
                                        ; implicit-def: $vgpr78
	s_and_saveexec_b32 s2, vcc_lo
	s_xor_b32 s2, exec_lo, s2
; %bb.69:
	v_bfe_u32 v78, v79, 16, 1
	s_delay_alu instid0(VALU_DEP_1)
	v_add3_u32 v78, v79, v78, 0x7fff
                                        ; implicit-def: $vgpr79
; %bb.70:
	s_and_not1_saveexec_b32 s2, s2
; %bb.71:
	v_and_b32_e32 v78, 0xffff, v79
	v_or_b32_e32 v83, 0x10000, v79
	s_delay_alu instid0(VALU_DEP_2) | instskip(NEXT) | instid1(VALU_DEP_2)
	v_cmp_eq_u32_e32 vcc_lo, 0, v78
	v_cndmask_b32_e32 v78, v83, v79, vcc_lo
; %bb.72:
	s_or_b32 exec_lo, exec_lo, s2
	v_and_b32_e32 v79, 0x7f800000, v70
	s_delay_alu instid0(VALU_DEP_1) | instskip(SKIP_1) | instid1(SALU_CYCLE_1)
	v_cmp_ne_u32_e32 vcc_lo, 0x7f800000, v79
                                        ; implicit-def: $vgpr79
	s_and_saveexec_b32 s2, vcc_lo
	s_xor_b32 s2, exec_lo, s2
; %bb.73:
	v_bfe_u32 v79, v70, 16, 1
	s_delay_alu instid0(VALU_DEP_1)
	v_add3_u32 v79, v70, v79, 0x7fff
                                        ; implicit-def: $vgpr70
; %bb.74:
	s_and_not1_saveexec_b32 s2, s2
; %bb.75:
	v_and_b32_e32 v79, 0xffff, v70
	v_or_b32_e32 v83, 0x10000, v70
	s_delay_alu instid0(VALU_DEP_2) | instskip(NEXT) | instid1(VALU_DEP_2)
	v_cmp_eq_u32_e32 vcc_lo, 0, v79
	v_cndmask_b32_e32 v79, v83, v70, vcc_lo
; %bb.76:
	s_or_b32 exec_lo, exec_lo, s2
	s_delay_alu instid0(VALU_DEP_1)
	v_perm_b32 v86, v79, v78, 0x7060302
	v_perm_b32 v85, v77, v82, 0x7060302
	;; [unrolled: 1-line block ×4, first 2 shown]
	v_lshl_or_b32 v82, v66, 11, v80
	ds_store_b128 v76, v[83:86] offset:1024
	s_waitcnt lgkmcnt(0)
	s_barrier
	buffer_gl0_inv
	ds_load_b128 v[69:72], v82
	ds_load_b128 v[83:86], v82 offset:16
	s_waitcnt lgkmcnt(1)
	v_lshrrev_b32_e32 v66, 16, v69
	s_waitcnt lgkmcnt(0)
	v_lshrrev_b32_e32 v91, 16, v83
	v_lshlrev_b32_e32 v78, 2, v74
	v_lshrrev_b32_e32 v95, 16, v70
	v_lshrrev_b32_e32 v98, 16, v84
	;; [unrolled: 1-line block ×4, first 2 shown]
	v_cmp_eq_u32_e32 vcc_lo, 1, v78
	v_lshrrev_b32_e32 v97, 16, v72
	v_lshrrev_b32_e32 v100, 16, v86
	v_cndmask_b32_e32 v87, v83, v91, vcc_lo
	v_or_b32_e32 v79, 1, v78
	v_cndmask_b32_e32 v81, v69, v66, vcc_lo
	v_cmp_eq_u32_e64 s3, 2, v78
	v_cmp_eq_u32_e64 s6, 3, v78
	;; [unrolled: 1-line block ×5, first 2 shown]
	v_cndmask_b32_e64 v81, v81, v70, s3
	v_cndmask_b32_e64 v87, v87, v84, s3
	v_cmp_eq_u32_e64 s7, 3, v79
	v_cndmask_b32_e64 v88, v69, v66, s2
	v_or_b32_e32 v77, 2, v78
	v_cndmask_b32_e64 v81, v81, v95, s6
	v_cndmask_b32_e64 v87, v87, v98, s6
	;; [unrolled: 1-line block ×4, first 2 shown]
	v_cmp_eq_u32_e64 s9, 5, v78
	v_cndmask_b32_e64 v81, v81, v71, s8
	v_cndmask_b32_e64 v87, v87, v85, s8
	v_cmp_eq_u32_e64 s10, 4, v79
	v_cndmask_b32_e64 v88, v88, v95, s7
	v_cmp_eq_u32_e64 s4, 1, v77
	v_cndmask_b32_e64 v89, v89, v84, s5
	v_cndmask_b32_e64 v81, v81, v96, s9
	v_cmp_eq_u32_e64 s11, 6, v78
	v_cndmask_b32_e64 v88, v88, v71, s10
	;; [unrolled: 3-line block ×3, first 2 shown]
	v_cndmask_b32_e64 v89, v89, v98, s7
	v_cndmask_b32_e64 v81, v81, v72, s11
	v_cmp_eq_u32_e64 s13, 7, v78
	v_cndmask_b32_e64 v88, v88, v96, s12
	v_cndmask_b32_e64 v87, v87, v86, s11
	v_cmp_eq_u32_e64 s15, 6, v79
	v_cmp_eq_u32_e64 s16, 2, v77
	v_cndmask_b32_e64 v89, v89, v85, s10
	v_cndmask_b32_e64 v101, v81, v97, s13
	;; [unrolled: 1-line block ×6, first 2 shown]
	v_cmp_eq_u32_e64 s17, 7, v79
	v_cmp_eq_u32_e64 s18, 3, v77
	;; [unrolled: 1-line block ×4, first 2 shown]
	v_cndmask_b32_e64 v87, v87, v84, s16
	v_cndmask_b32_e64 v103, v88, v97, s17
	;; [unrolled: 1-line block ×4, first 2 shown]
	v_or_b32_e32 v81, 3, v78
	v_cndmask_b32_e64 v93, v87, v98, s18
	v_cmp_eq_u32_e64 s23, 6, v77
	v_cndmask_b32_e64 v104, v88, v86, s15
	v_cndmask_b32_e64 v92, v89, v71, s19
	v_cmp_eq_u32_e64 s20, 1, v81
	ds_load_b128 v[87:90], v82 offset:1024
	v_cmp_eq_u32_e64 s22, 2, v81
	v_cmp_eq_u32_e64 s24, 3, v81
	v_cndmask_b32_e64 v105, v92, v96, s21
	v_cndmask_b32_e64 v66, v69, v66, s20
	v_cndmask_b32_e64 v69, v93, v85, s19
	v_cndmask_b32_e64 v83, v83, v91, s20
	ds_load_b128 v[91:94], v82 offset:1040
	v_cmp_eq_u32_e64 s25, 4, v81
	v_cndmask_b32_e64 v66, v66, v70, s22
	v_cmp_eq_u32_e64 s26, 7, v77
	v_cndmask_b32_e64 v70, v83, v84, s22
	v_cndmask_b32_e64 v84, v105, v72, s23
	v_cmp_eq_u32_e64 s27, 5, v81
	v_cndmask_b32_e64 v66, v66, v95, s24
	v_cmp_eq_u32_e64 s28, 6, v81
	v_cndmask_b32_e64 v70, v70, v98, s24
	v_cndmask_b32_e64 v69, v69, v99, s21
	;; [unrolled: 1-line block ×4, first 2 shown]
	s_waitcnt lgkmcnt(1)
	v_lshrrev_b32_e32 v95, 16, v87
	v_cndmask_b32_e64 v70, v70, v85, s25
	v_cndmask_b32_e64 v71, v84, v97, s26
	;; [unrolled: 1-line block ×4, first 2 shown]
	v_cndmask_b32_e32 v84, v87, v95, vcc_lo
	v_cndmask_b32_e64 v70, v70, v99, s27
	s_waitcnt lgkmcnt(0)
	v_lshrrev_b32_e32 v85, 16, v91
	v_lshrrev_b32_e32 v96, 16, v88
	v_cndmask_b32_e64 v98, v87, v95, s2
	v_cndmask_b32_e64 v84, v84, v88, s3
	;; [unrolled: 1-line block ×3, first 2 shown]
	v_cndmask_b32_e32 v99, v91, v85, vcc_lo
	v_cmp_eq_u32_e32 vcc_lo, 7, v81
	v_cndmask_b32_e64 v66, v66, v72, s28
	v_cndmask_b32_e64 v72, v84, v96, s6
	;; [unrolled: 1-line block ×3, first 2 shown]
	v_lshrrev_b32_e32 v98, 16, v92
	v_cndmask_b32_e32 v70, v70, v100, vcc_lo
	v_cndmask_b32_e64 v86, v99, v92, s3
	v_cndmask_b32_e64 v69, v69, v100, s26
	v_lshrrev_b32_e32 v100, 16, v93
	v_cndmask_b32_e64 v72, v72, v89, s8
	v_lshrrev_b32_e32 v99, 16, v89
	v_cndmask_b32_e64 v86, v86, v98, s6
	v_perm_b32 v71, v69, v71, 0x5040100
	v_cndmask_b32_e64 v84, v84, v96, s7
	s_delay_alu instid0(VALU_DEP_3) | instskip(NEXT) | instid1(VALU_DEP_2)
	v_cndmask_b32_e64 v86, v86, v93, s8
	v_cndmask_b32_e64 v84, v84, v89, s10
	s_delay_alu instid0(VALU_DEP_2) | instskip(NEXT) | instid1(VALU_DEP_1)
	v_cndmask_b32_e64 v86, v86, v100, s9
	v_cndmask_b32_e64 v69, v86, v94, s11
	;; [unrolled: 1-line block ×5, first 2 shown]
	s_delay_alu instid0(VALU_DEP_3) | instskip(NEXT) | instid1(VALU_DEP_3)
	v_cndmask_b32_e64 v86, v86, v88, s16
	v_cndmask_b32_e64 v87, v87, v88, s22
	s_delay_alu instid0(VALU_DEP_3) | instskip(NEXT) | instid1(VALU_DEP_3)
	v_cndmask_b32_e64 v88, v95, v92, s22
	v_cndmask_b32_e64 v86, v86, v96, s18
	s_delay_alu instid0(VALU_DEP_3) | instskip(NEXT) | instid1(VALU_DEP_3)
	v_cndmask_b32_e64 v87, v87, v96, s24
	v_cndmask_b32_e64 v88, v88, v98, s24
	s_delay_alu instid0(VALU_DEP_3) | instskip(NEXT) | instid1(VALU_DEP_3)
	v_cndmask_b32_e64 v86, v86, v89, s19
	v_cndmask_b32_e64 v87, v87, v89, s25
	s_delay_alu instid0(VALU_DEP_3) | instskip(NEXT) | instid1(VALU_DEP_3)
	v_cndmask_b32_e64 v88, v88, v93, s25
	v_cndmask_b32_e64 v86, v86, v99, s21
	s_delay_alu instid0(VALU_DEP_3) | instskip(NEXT) | instid1(VALU_DEP_3)
	v_cndmask_b32_e64 v87, v87, v99, s27
	v_cndmask_b32_e64 v88, v88, v100, s27
	s_delay_alu instid0(VALU_DEP_3) | instskip(NEXT) | instid1(VALU_DEP_3)
	v_cndmask_b32_e64 v86, v86, v90, s23
	v_cndmask_b32_e64 v87, v87, v90, s28
	s_delay_alu instid0(VALU_DEP_3) | instskip(SKIP_2) | instid1(VALU_DEP_2)
	v_cndmask_b32_e64 v88, v88, v94, s28
	v_cndmask_b32_e32 v66, v66, v97, vcc_lo
	v_cndmask_b32_e64 v97, v72, v99, s9
	v_perm_b32 v72, v70, v66, 0x5040100
	v_perm_b32 v70, v83, v103, 0x5040100
	v_cndmask_b32_e64 v103, v91, v85, s4
	v_cndmask_b32_e64 v85, v91, v85, s2
	;; [unrolled: 1-line block ×4, first 2 shown]
	v_lshrrev_b32_e32 v97, 16, v90
	v_cndmask_b32_e64 v91, v103, v92, s16
	v_cndmask_b32_e64 v85, v85, v92, s5
	;; [unrolled: 1-line block ×3, first 2 shown]
	s_mov_b32 s2, exec_lo
	v_cndmask_b32_e64 v83, v84, v97, s13
	v_cndmask_b32_e64 v91, v91, v98, s18
	;; [unrolled: 1-line block ×3, first 2 shown]
	v_lshrrev_b32_e32 v84, 16, v94
	v_cndmask_b32_e64 v66, v66, v97, s17
	v_cndmask_b32_e64 v90, v86, v97, s26
	;; [unrolled: 1-line block ×4, first 2 shown]
	v_dual_cndmask_b32 v86, v87, v97 :: v_dual_cndmask_b32 v87, v88, v84
	v_cndmask_b32_e64 v91, v69, v84, s13
	s_delay_alu instid0(VALU_DEP_4) | instskip(NEXT) | instid1(VALU_DEP_4)
	v_cndmask_b32_e64 v89, v89, v100, s21
	v_cndmask_b32_e64 v85, v85, v100, s12
	v_perm_b32 v69, v102, v101, 0x5040100
	v_perm_b32 v86, v87, v86, 0x5040100
	;; [unrolled: 1-line block ×3, first 2 shown]
	v_cndmask_b32_e64 v89, v89, v94, s23
	v_cndmask_b32_e64 v85, v85, v94, s15
	s_mul_i32 s7, s35, 6
	s_delay_alu instid0(VALU_DEP_2) | instskip(NEXT) | instid1(VALU_DEP_2)
	v_cndmask_b32_e64 v88, v89, v84, s26
	v_cndmask_b32_e64 v89, v85, v84, s17
	s_delay_alu instid0(VALU_DEP_2) | instskip(NEXT) | instid1(VALU_DEP_2)
	v_perm_b32 v85, v88, v90, 0x5040100
	v_perm_b32 v84, v89, v66, 0x5040100
	ds_store_b128 v76, v[69:72]
	ds_store_b128 v76, v[83:86] offset:1024
	v_cmpx_gt_u32_e32 6, v0
	s_cbranch_execz .LBB1875_78
; %bb.77:
	s_mul_i32 s3, s7, s30
	s_load_b128 s[8:11], s[0:1], 0x58
	v_add3_u32 v69, s3, s29, v65
	s_delay_alu instid0(VALU_DEP_1) | instskip(NEXT) | instid1(VALU_DEP_1)
	v_mad_u64_u32 v[65:66], null, v69, s34, s[14:15]
	v_ashrrev_i32_e32 v66, 31, v65
	s_delay_alu instid0(VALU_DEP_1) | instskip(SKIP_1) | instid1(VALU_DEP_1)
	v_lshlrev_b64 v[65:66], 2, v[65:66]
	s_waitcnt lgkmcnt(0)
	v_add_co_u32 v69, vcc_lo, s10, v65
	s_delay_alu instid0(VALU_DEP_2)
	v_add_co_ci_u32_e32 v70, vcc_lo, s11, v66, vcc_lo
	v_add_co_u32 v65, vcc_lo, s8, v65
	v_add_co_ci_u32_e32 v66, vcc_lo, s9, v66, vcc_lo
	global_store_b32 v[69:70], v67, off
	global_store_b32 v[65:66], v68, off
.LBB1875_78:
	s_or_b32 exec_lo, exec_lo, s2
	s_waitcnt lgkmcnt(0)
	s_waitcnt_vscnt null, 0x0
	s_barrier
	buffer_gl0_inv
	ds_load_b128 v[83:86], v80
	ds_load_b128 v[87:90], v80 offset:16
	ds_load_b128 v[95:98], v80 offset:2064
	ds_load_b128 v[91:94], v80 offset:2048
	v_mov_b32_e32 v65, 0
	ds_load_b128 v[103:106], v80 offset:4112
	ds_load_b128 v[99:102], v80 offset:4096
	;; [unrolled: 1-line block ×4, first 2 shown]
	v_mov_b32_e32 v66, v65
	v_mov_b32_e32 v67, v65
	;; [unrolled: 1-line block ×7, first 2 shown]
	s_waitcnt lgkmcnt(6)
	s_delay_alu instid0(VALU_DEP_1)
	v_wmma_f32_16x16x16_bf16 v[65:72], v[41:48], v[83:90], v[65:72]
	ds_load_b128 v[45:48], v80 offset:8208
	ds_load_b128 v[41:44], v80 offset:8192
	s_waitcnt lgkmcnt(6)
	v_wmma_f32_16x16x16_bf16 v[65:72], v[33:40], v[91:98], v[65:72]
	ds_load_b128 v[37:40], v80 offset:10256
	ds_load_b128 v[33:36], v80 offset:10240
	s_waitcnt lgkmcnt(6)
	;; [unrolled: 4-line block ×4, first 2 shown]
	v_wmma_f32_16x16x16_bf16 v[65:72], v[1:8], v[41:48], v[65:72]
	s_waitcnt lgkmcnt(4)
	s_delay_alu instid0(VALU_DEP_1) | instskip(SKIP_1) | instid1(VALU_DEP_1)
	v_wmma_f32_16x16x16_bf16 v[65:72], v[9:16], v[33:40], v[65:72]
	s_waitcnt lgkmcnt(2)
	v_wmma_f32_16x16x16_bf16 v[65:72], v[57:64], v[25:32], v[65:72]
	s_waitcnt lgkmcnt(0)
	s_delay_alu instid0(VALU_DEP_1) | instskip(NEXT) | instid1(VALU_DEP_1)
	v_wmma_f32_16x16x16_bf16 v[65:72], v[49:56], v[17:24], v[65:72]
	v_and_b32_e32 v1, 0x7f800000, v65
	s_delay_alu instid0(VALU_DEP_1) | instskip(SKIP_1) | instid1(SALU_CYCLE_1)
	v_cmp_ne_u32_e32 vcc_lo, 0x7f800000, v1
                                        ; implicit-def: $vgpr1
	s_and_saveexec_b32 s2, vcc_lo
	s_xor_b32 s2, exec_lo, s2
; %bb.79:
	v_bfe_u32 v1, v65, 16, 1
	s_delay_alu instid0(VALU_DEP_1)
	v_add3_u32 v1, v65, v1, 0x7fff
; %bb.80:
	s_and_not1_saveexec_b32 s2, s2
; %bb.81:
	v_and_b32_e32 v1, 0xffff, v65
	v_or_b32_e32 v2, 0x10000, v65
	s_delay_alu instid0(VALU_DEP_2) | instskip(NEXT) | instid1(VALU_DEP_2)
	v_cmp_eq_u32_e32 vcc_lo, 0, v1
	v_cndmask_b32_e32 v1, v2, v65, vcc_lo
; %bb.82:
	s_or_b32 exec_lo, exec_lo, s2
	v_and_b32_e32 v2, 0x7f800000, v66
	s_delay_alu instid0(VALU_DEP_1) | instskip(SKIP_1) | instid1(SALU_CYCLE_1)
	v_cmp_ne_u32_e32 vcc_lo, 0x7f800000, v2
                                        ; implicit-def: $vgpr2
	s_and_saveexec_b32 s2, vcc_lo
	s_xor_b32 s2, exec_lo, s2
; %bb.83:
	v_bfe_u32 v2, v66, 16, 1
	s_delay_alu instid0(VALU_DEP_1)
	v_add3_u32 v2, v66, v2, 0x7fff
; %bb.84:
	s_and_not1_saveexec_b32 s2, s2
; %bb.85:
	v_and_b32_e32 v2, 0xffff, v66
	v_or_b32_e32 v3, 0x10000, v66
	s_delay_alu instid0(VALU_DEP_2) | instskip(NEXT) | instid1(VALU_DEP_2)
	v_cmp_eq_u32_e32 vcc_lo, 0, v2
	v_cndmask_b32_e32 v2, v3, v66, vcc_lo
; %bb.86:
	s_or_b32 exec_lo, exec_lo, s2
	v_and_b32_e32 v3, 0x7f800000, v67
	s_delay_alu instid0(VALU_DEP_1) | instskip(SKIP_1) | instid1(SALU_CYCLE_1)
	v_cmp_ne_u32_e32 vcc_lo, 0x7f800000, v3
                                        ; implicit-def: $vgpr3
	s_and_saveexec_b32 s2, vcc_lo
	s_xor_b32 s2, exec_lo, s2
; %bb.87:
	v_bfe_u32 v3, v67, 16, 1
	s_delay_alu instid0(VALU_DEP_1)
	v_add3_u32 v3, v67, v3, 0x7fff
; %bb.88:
	s_and_not1_saveexec_b32 s2, s2
; %bb.89:
	v_and_b32_e32 v3, 0xffff, v67
	v_or_b32_e32 v4, 0x10000, v67
	s_delay_alu instid0(VALU_DEP_2) | instskip(NEXT) | instid1(VALU_DEP_2)
	v_cmp_eq_u32_e32 vcc_lo, 0, v3
	v_cndmask_b32_e32 v3, v4, v67, vcc_lo
; %bb.90:
	s_or_b32 exec_lo, exec_lo, s2
	v_and_b32_e32 v4, 0x7f800000, v68
	s_delay_alu instid0(VALU_DEP_1) | instskip(SKIP_1) | instid1(SALU_CYCLE_1)
	v_cmp_ne_u32_e32 vcc_lo, 0x7f800000, v4
                                        ; implicit-def: $vgpr4
	s_and_saveexec_b32 s2, vcc_lo
	s_xor_b32 s2, exec_lo, s2
; %bb.91:
	v_bfe_u32 v4, v68, 16, 1
	s_delay_alu instid0(VALU_DEP_1)
	v_add3_u32 v4, v68, v4, 0x7fff
; %bb.92:
	s_and_not1_saveexec_b32 s2, s2
; %bb.93:
	v_and_b32_e32 v4, 0xffff, v68
	v_or_b32_e32 v5, 0x10000, v68
	s_delay_alu instid0(VALU_DEP_2) | instskip(NEXT) | instid1(VALU_DEP_2)
	v_cmp_eq_u32_e32 vcc_lo, 0, v4
	v_cndmask_b32_e32 v4, v5, v68, vcc_lo
; %bb.94:
	s_or_b32 exec_lo, exec_lo, s2
	v_and_b32_e32 v5, 0x7f800000, v69
	s_delay_alu instid0(VALU_DEP_1) | instskip(SKIP_1) | instid1(SALU_CYCLE_1)
	v_cmp_ne_u32_e32 vcc_lo, 0x7f800000, v5
                                        ; implicit-def: $vgpr5
	s_and_saveexec_b32 s2, vcc_lo
	s_xor_b32 s2, exec_lo, s2
; %bb.95:
	v_bfe_u32 v5, v69, 16, 1
	s_delay_alu instid0(VALU_DEP_1)
	v_add3_u32 v5, v69, v5, 0x7fff
; %bb.96:
	s_and_not1_saveexec_b32 s2, s2
; %bb.97:
	v_and_b32_e32 v5, 0xffff, v69
	v_or_b32_e32 v6, 0x10000, v69
	s_delay_alu instid0(VALU_DEP_2) | instskip(NEXT) | instid1(VALU_DEP_2)
	v_cmp_eq_u32_e32 vcc_lo, 0, v5
	v_cndmask_b32_e32 v5, v6, v69, vcc_lo
; %bb.98:
	s_or_b32 exec_lo, exec_lo, s2
	v_and_b32_e32 v6, 0x7f800000, v70
	s_delay_alu instid0(VALU_DEP_1) | instskip(SKIP_1) | instid1(SALU_CYCLE_1)
	v_cmp_ne_u32_e32 vcc_lo, 0x7f800000, v6
                                        ; implicit-def: $vgpr6
	s_and_saveexec_b32 s2, vcc_lo
	s_xor_b32 s2, exec_lo, s2
; %bb.99:
	v_bfe_u32 v6, v70, 16, 1
	s_delay_alu instid0(VALU_DEP_1)
	v_add3_u32 v6, v70, v6, 0x7fff
; %bb.100:
	s_and_not1_saveexec_b32 s2, s2
; %bb.101:
	v_and_b32_e32 v6, 0xffff, v70
	v_or_b32_e32 v7, 0x10000, v70
	s_delay_alu instid0(VALU_DEP_2) | instskip(NEXT) | instid1(VALU_DEP_2)
	v_cmp_eq_u32_e32 vcc_lo, 0, v6
	v_cndmask_b32_e32 v6, v7, v70, vcc_lo
; %bb.102:
	s_or_b32 exec_lo, exec_lo, s2
	v_and_b32_e32 v7, 0x7f800000, v71
	s_delay_alu instid0(VALU_DEP_1) | instskip(SKIP_1) | instid1(SALU_CYCLE_1)
	v_cmp_ne_u32_e32 vcc_lo, 0x7f800000, v7
                                        ; implicit-def: $vgpr7
	s_and_saveexec_b32 s2, vcc_lo
	s_xor_b32 s2, exec_lo, s2
; %bb.103:
	v_bfe_u32 v7, v71, 16, 1
	s_delay_alu instid0(VALU_DEP_1)
	v_add3_u32 v7, v71, v7, 0x7fff
; %bb.104:
	s_and_not1_saveexec_b32 s2, s2
; %bb.105:
	v_and_b32_e32 v7, 0xffff, v71
	v_or_b32_e32 v8, 0x10000, v71
	s_delay_alu instid0(VALU_DEP_2) | instskip(NEXT) | instid1(VALU_DEP_2)
	v_cmp_eq_u32_e32 vcc_lo, 0, v7
	v_cndmask_b32_e32 v7, v8, v71, vcc_lo
; %bb.106:
	s_or_b32 exec_lo, exec_lo, s2
	v_and_b32_e32 v8, 0x7f800000, v72
	s_delay_alu instid0(VALU_DEP_1) | instskip(SKIP_1) | instid1(SALU_CYCLE_1)
	v_cmp_ne_u32_e32 vcc_lo, 0x7f800000, v8
                                        ; implicit-def: $vgpr8
	s_and_saveexec_b32 s2, vcc_lo
	s_xor_b32 s2, exec_lo, s2
; %bb.107:
	v_bfe_u32 v8, v72, 16, 1
	s_delay_alu instid0(VALU_DEP_1)
	v_add3_u32 v8, v72, v8, 0x7fff
                                        ; implicit-def: $vgpr65_vgpr66_vgpr67_vgpr68_vgpr69_vgpr70_vgpr71_vgpr72
; %bb.108:
	s_and_not1_saveexec_b32 s2, s2
; %bb.109:
	v_and_b32_e32 v8, 0xffff, v72
	v_or_b32_e32 v9, 0x10000, v72
	s_delay_alu instid0(VALU_DEP_2) | instskip(NEXT) | instid1(VALU_DEP_2)
	v_cmp_eq_u32_e32 vcc_lo, 0, v8
	v_cndmask_b32_e32 v8, v9, v72, vcc_lo
; %bb.110:
	s_or_b32 exec_lo, exec_lo, s2
	s_delay_alu instid0(VALU_DEP_1)
	v_perm_b32 v7, v8, v7, 0x7060302
	v_perm_b32 v6, v6, v5, 0x7060302
	;; [unrolled: 1-line block ×4, first 2 shown]
	s_barrier
	buffer_gl0_inv
	v_cmp_eq_u32_e32 vcc_lo, 1, v78
	ds_store_b128 v76, v[4:7]
	s_waitcnt lgkmcnt(0)
	s_barrier
	buffer_gl0_inv
	ds_load_b128 v[1:4], v82
	ds_load_b128 v[5:8], v82 offset:16
	v_cmp_eq_u32_e64 s2, 1, v79
	v_cmp_eq_u32_e64 s3, 2, v78
	;; [unrolled: 1-line block ×5, first 2 shown]
	s_waitcnt lgkmcnt(1)
	v_lshrrev_b32_e32 v9, 16, v1
	s_waitcnt lgkmcnt(0)
	v_lshrrev_b32_e32 v13, 16, v5
	v_lshrrev_b32_e32 v10, 16, v2
	;; [unrolled: 1-line block ×4, first 2 shown]
	v_cndmask_b32_e64 v19, v1, v9, s2
	v_cndmask_b32_e32 v18, v5, v13, vcc_lo
	v_cndmask_b32_e64 v20, v5, v13, s2
	v_cndmask_b32_e32 v17, v1, v9, vcc_lo
	v_cmp_eq_u32_e32 vcc_lo, 2, v79
	v_lshrrev_b32_e32 v15, 16, v7
	v_cmp_eq_u32_e64 s2, 1, v77
	v_lshrrev_b32_e32 v12, 16, v4
	v_lshrrev_b32_e32 v16, 16, v8
	v_cndmask_b32_e32 v20, v20, v6, vcc_lo
	v_cndmask_b32_e64 v17, v17, v2, s3
	v_cndmask_b32_e32 v19, v19, v2, vcc_lo
	v_cndmask_b32_e64 v18, v18, v6, s3
	v_cmp_eq_u32_e32 vcc_lo, 4, v78
	v_cmp_eq_u32_e64 s3, 3, v79
	v_cndmask_b32_e64 v17, v17, v10, s4
	v_cndmask_b32_e64 v21, v1, v9, s2
	;; [unrolled: 1-line block ×5, first 2 shown]
	v_cndmask_b32_e32 v17, v17, v3, vcc_lo
	v_cndmask_b32_e64 v20, v20, v14, s3
	v_cndmask_b32_e32 v18, v18, v7, vcc_lo
	v_cmp_eq_u32_e32 vcc_lo, 4, v79
	v_cmp_eq_u32_e64 s3, 5, v79
	v_cmp_eq_u32_e64 s2, 2, v81
	v_cndmask_b32_e64 v21, v21, v2, s6
	v_cmp_eq_u32_e64 s4, 5, v78
	v_cndmask_b32_e32 v19, v19, v3, vcc_lo
	v_cndmask_b32_e32 v20, v20, v7, vcc_lo
	v_cmp_eq_u32_e32 vcc_lo, 6, v79
	s_delay_alu instid0(VALU_DEP_4) | instskip(NEXT) | instid1(VALU_DEP_4)
	v_cndmask_b32_e64 v17, v17, v11, s4
	v_cndmask_b32_e64 v19, v19, v11, s3
	s_delay_alu instid0(VALU_DEP_4) | instskip(SKIP_1) | instid1(VALU_DEP_3)
	v_cndmask_b32_e64 v20, v20, v15, s3
	v_cmp_eq_u32_e64 s3, 1, v81
	v_cndmask_b32_e32 v19, v19, v4, vcc_lo
	v_cndmask_b32_e64 v18, v18, v15, s4
	s_delay_alu instid0(VALU_DEP_3)
	v_cndmask_b32_e64 v1, v1, v9, s3
	v_cndmask_b32_e64 v5, v5, v13, s3
	v_cmp_eq_u32_e64 s3, 3, v77
	v_cndmask_b32_e64 v13, v22, v6, s6
	v_cmp_eq_u32_e64 s6, 3, v81
	v_cndmask_b32_e64 v1, v1, v2, s2
	v_cndmask_b32_e64 v2, v5, v6, s2
	;; [unrolled: 1-line block ×3, first 2 shown]
	v_cmp_eq_u32_e64 s2, 4, v77
	v_cndmask_b32_e64 v6, v13, v14, s3
	v_cndmask_b32_e64 v1, v1, v10, s6
	v_cmp_eq_u32_e64 s3, 4, v81
	v_cndmask_b32_e64 v2, v2, v14, s6
	v_cndmask_b32_e64 v5, v9, v3, s2
	;; [unrolled: 3-line block ×3, first 2 shown]
	v_cndmask_b32_e64 v2, v2, v7, s3
	v_cmp_eq_u32_e64 s2, 5, v81
	v_cmp_eq_u32_e64 s4, 6, v78
	v_cndmask_b32_e64 v5, v5, v11, s6
	v_cmp_eq_u32_e64 s3, 6, v77
	v_cndmask_b32_e64 v3, v6, v15, s6
	v_cndmask_b32_e64 v1, v1, v11, s2
	v_cmp_eq_u32_e64 s6, 6, v81
	v_cndmask_b32_e64 v2, v2, v15, s2
	v_cndmask_b32_e64 v17, v17, v4, s4
	v_cndmask_b32_e64 v18, v18, v8, s4
	v_cmp_eq_u32_e64 s4, 7, v78
	v_cndmask_b32_e64 v5, v5, v4, s3
	;; [unrolled: 4-line block ×3, first 2 shown]
	v_cmp_eq_u32_e64 s3, 7, v77
	v_cndmask_b32_e32 v4, v20, v8, vcc_lo
	v_cndmask_b32_e64 v17, v17, v12, s4
	v_cndmask_b32_e64 v19, v19, v12, s5
	;; [unrolled: 1-line block ×8, first 2 shown]
	s_mov_b32 s2, exec_lo
	v_perm_b32 v4, v2, v1, 0x5040100
	v_perm_b32 v3, v3, v5, 0x5040100
	;; [unrolled: 1-line block ×4, first 2 shown]
	ds_store_b128 v76, v[1:4]
	s_waitcnt lgkmcnt(0)
	s_barrier
	buffer_gl0_inv
	v_cmpx_gt_u32_e32 32, v0
	s_cbranch_execz .LBB1875_2
; %bb.111:
	s_load_b64 s[0:1], s[0:1], 0x68
	s_lshl_b32 s4, s34, 7
	v_or_b32_e32 v3, s29, v74
	s_mul_i32 s2, s4, s30
	v_lshlrev_b32_e32 v0, 10, v0
	s_mul_i32 s2, s2, s7
	v_lshlrev_b32_e32 v1, 4, v75
	s_ashr_i32 s3, s2, 31
	v_mul_lo_u32 v12, v3, s4
	s_lshl_b64 s[2:3], s[2:3], 1
	v_lshlrev_b32_e32 v2, 6, v74
	v_and_b32_e32 v0, 0x3800, v0
	s_delay_alu instid0(VALU_DEP_1) | instskip(NEXT) | instid1(VALU_DEP_4)
	v_or3_b32 v8, v0, v1, v2
	v_ashrrev_i32_e32 v13, 31, v12
	ds_load_b128 v[0:3], v8
	ds_load_b128 v[4:7], v8 offset:128
	ds_load_b128 v[8:11], v8 offset:256
	s_waitcnt lgkmcnt(0)
	s_add_u32 s2, s0, s2
	s_addc_u32 s3, s1, s3
	s_lshl_b32 s0, s14, 7
	s_delay_alu instid0(SALU_CYCLE_1) | instskip(NEXT) | instid1(SALU_CYCLE_1)
	s_ashr_i32 s1, s0, 31
	s_lshl_b64 s[0:1], s[0:1], 1
	s_delay_alu instid0(SALU_CYCLE_1)
	s_add_u32 s0, s2, s0
	s_addc_u32 s1, s3, s1
	s_lshl_b32 s2, s34, 8
	v_add_co_u32 v18, s0, s0, v73
	v_add_nc_u32_e32 v14, s2, v12
	v_lshlrev_b64 v[12:13], 1, v[12:13]
	v_add_co_ci_u32_e64 v19, null, s1, 0, s0
	s_delay_alu instid0(VALU_DEP_3) | instskip(SKIP_1) | instid1(VALU_DEP_4)
	v_add_nc_u32_e32 v16, s2, v14
	v_ashrrev_i32_e32 v15, 31, v14
	v_add_co_u32 v12, vcc_lo, v18, v12
	s_delay_alu instid0(VALU_DEP_4) | instskip(NEXT) | instid1(VALU_DEP_4)
	v_add_co_ci_u32_e32 v13, vcc_lo, v19, v13, vcc_lo
	v_ashrrev_i32_e32 v17, 31, v16
	s_delay_alu instid0(VALU_DEP_4) | instskip(NEXT) | instid1(VALU_DEP_2)
	v_lshlrev_b64 v[14:15], 1, v[14:15]
	v_lshlrev_b64 v[16:17], 1, v[16:17]
	s_delay_alu instid0(VALU_DEP_2) | instskip(NEXT) | instid1(VALU_DEP_3)
	v_add_co_u32 v14, vcc_lo, v18, v14
	v_add_co_ci_u32_e32 v15, vcc_lo, v19, v15, vcc_lo
	s_delay_alu instid0(VALU_DEP_3) | instskip(NEXT) | instid1(VALU_DEP_4)
	v_add_co_u32 v16, vcc_lo, v18, v16
	v_add_co_ci_u32_e32 v17, vcc_lo, v19, v17, vcc_lo
	s_clause 0x2
	global_store_b128 v[12:13], v[0:3], off
	global_store_b128 v[14:15], v[4:7], off
	;; [unrolled: 1-line block ×3, first 2 shown]
	s_nop 0
	s_sendmsg sendmsg(MSG_DEALLOC_VGPRS)
	s_endpgm
	.section	.rodata,"a",@progbits
	.p2align	6, 0x0
	.amdhsa_kernel _Z39paged_attention_ll4mi_QKV_mfma16_kernelI14__hip_bfloat16hLN4vllm18Fp8KVCacheDataTypeE1EhLi32ELi128ELi256ELb0ELi6EL8MFMAType0EEvPKT_PKT0_S9_ifPKiSB_SB_iPKfiiiPfSE_PS4_PT2_iSD_SD_
		.amdhsa_group_segment_fixed_size 17472
		.amdhsa_private_segment_fixed_size 0
		.amdhsa_kernarg_size 400
		.amdhsa_user_sgpr_count 13
		.amdhsa_user_sgpr_dispatch_ptr 0
		.amdhsa_user_sgpr_queue_ptr 0
		.amdhsa_user_sgpr_kernarg_segment_ptr 1
		.amdhsa_user_sgpr_dispatch_id 0
		.amdhsa_user_sgpr_private_segment_size 0
		.amdhsa_wavefront_size32 1
		.amdhsa_uses_dynamic_stack 0
		.amdhsa_enable_private_segment 0
		.amdhsa_system_sgpr_workgroup_id_x 1
		.amdhsa_system_sgpr_workgroup_id_y 1
		.amdhsa_system_sgpr_workgroup_id_z 1
		.amdhsa_system_sgpr_workgroup_info 0
		.amdhsa_system_vgpr_workitem_id 0
		.amdhsa_next_free_vgpr 140
		.amdhsa_next_free_sgpr 36
		.amdhsa_reserve_vcc 1
		.amdhsa_float_round_mode_32 0
		.amdhsa_float_round_mode_16_64 0
		.amdhsa_float_denorm_mode_32 3
		.amdhsa_float_denorm_mode_16_64 3
		.amdhsa_dx10_clamp 1
		.amdhsa_ieee_mode 1
		.amdhsa_fp16_overflow 0
		.amdhsa_workgroup_processor_mode 1
		.amdhsa_memory_ordered 1
		.amdhsa_forward_progress 0
		.amdhsa_shared_vgpr_count 0
		.amdhsa_exception_fp_ieee_invalid_op 0
		.amdhsa_exception_fp_denorm_src 0
		.amdhsa_exception_fp_ieee_div_zero 0
		.amdhsa_exception_fp_ieee_overflow 0
		.amdhsa_exception_fp_ieee_underflow 0
		.amdhsa_exception_fp_ieee_inexact 0
		.amdhsa_exception_int_div_zero 0
	.end_amdhsa_kernel
	.section	.text._Z39paged_attention_ll4mi_QKV_mfma16_kernelI14__hip_bfloat16hLN4vllm18Fp8KVCacheDataTypeE1EhLi32ELi128ELi256ELb0ELi6EL8MFMAType0EEvPKT_PKT0_S9_ifPKiSB_SB_iPKfiiiPfSE_PS4_PT2_iSD_SD_,"axG",@progbits,_Z39paged_attention_ll4mi_QKV_mfma16_kernelI14__hip_bfloat16hLN4vllm18Fp8KVCacheDataTypeE1EhLi32ELi128ELi256ELb0ELi6EL8MFMAType0EEvPKT_PKT0_S9_ifPKiSB_SB_iPKfiiiPfSE_PS4_PT2_iSD_SD_,comdat
.Lfunc_end1875:
	.size	_Z39paged_attention_ll4mi_QKV_mfma16_kernelI14__hip_bfloat16hLN4vllm18Fp8KVCacheDataTypeE1EhLi32ELi128ELi256ELb0ELi6EL8MFMAType0EEvPKT_PKT0_S9_ifPKiSB_SB_iPKfiiiPfSE_PS4_PT2_iSD_SD_, .Lfunc_end1875-_Z39paged_attention_ll4mi_QKV_mfma16_kernelI14__hip_bfloat16hLN4vllm18Fp8KVCacheDataTypeE1EhLi32ELi128ELi256ELb0ELi6EL8MFMAType0EEvPKT_PKT0_S9_ifPKiSB_SB_iPKfiiiPfSE_PS4_PT2_iSD_SD_
                                        ; -- End function
	.section	.AMDGPU.csdata,"",@progbits
; Kernel info:
; codeLenInByte = 8896
; NumSgprs: 38
; NumVgprs: 140
; ScratchSize: 0
; MemoryBound: 0
; FloatMode: 240
; IeeeMode: 1
; LDSByteSize: 17472 bytes/workgroup (compile time only)
; SGPRBlocks: 4
; VGPRBlocks: 17
; NumSGPRsForWavesPerEU: 38
; NumVGPRsForWavesPerEU: 140
; Occupancy: 10
; WaveLimiterHint : 1
; COMPUTE_PGM_RSRC2:SCRATCH_EN: 0
; COMPUTE_PGM_RSRC2:USER_SGPR: 13
; COMPUTE_PGM_RSRC2:TRAP_HANDLER: 0
; COMPUTE_PGM_RSRC2:TGID_X_EN: 1
; COMPUTE_PGM_RSRC2:TGID_Y_EN: 1
; COMPUTE_PGM_RSRC2:TGID_Z_EN: 1
; COMPUTE_PGM_RSRC2:TIDIG_COMP_CNT: 0
	.section	.text._Z39paged_attention_ll4mi_QKV_mfma16_kernelI14__hip_bfloat16hLN4vllm18Fp8KVCacheDataTypeE1EhLi32ELi128ELi256ELb0ELi7EL8MFMAType0EEvPKT_PKT0_S9_ifPKiSB_SB_iPKfiiiPfSE_PS4_PT2_iSD_SD_,"axG",@progbits,_Z39paged_attention_ll4mi_QKV_mfma16_kernelI14__hip_bfloat16hLN4vllm18Fp8KVCacheDataTypeE1EhLi32ELi128ELi256ELb0ELi7EL8MFMAType0EEvPKT_PKT0_S9_ifPKiSB_SB_iPKfiiiPfSE_PS4_PT2_iSD_SD_,comdat
	.protected	_Z39paged_attention_ll4mi_QKV_mfma16_kernelI14__hip_bfloat16hLN4vllm18Fp8KVCacheDataTypeE1EhLi32ELi128ELi256ELb0ELi7EL8MFMAType0EEvPKT_PKT0_S9_ifPKiSB_SB_iPKfiiiPfSE_PS4_PT2_iSD_SD_ ; -- Begin function _Z39paged_attention_ll4mi_QKV_mfma16_kernelI14__hip_bfloat16hLN4vllm18Fp8KVCacheDataTypeE1EhLi32ELi128ELi256ELb0ELi7EL8MFMAType0EEvPKT_PKT0_S9_ifPKiSB_SB_iPKfiiiPfSE_PS4_PT2_iSD_SD_
	.globl	_Z39paged_attention_ll4mi_QKV_mfma16_kernelI14__hip_bfloat16hLN4vllm18Fp8KVCacheDataTypeE1EhLi32ELi128ELi256ELb0ELi7EL8MFMAType0EEvPKT_PKT0_S9_ifPKiSB_SB_iPKfiiiPfSE_PS4_PT2_iSD_SD_
	.p2align	8
	.type	_Z39paged_attention_ll4mi_QKV_mfma16_kernelI14__hip_bfloat16hLN4vllm18Fp8KVCacheDataTypeE1EhLi32ELi128ELi256ELb0ELi7EL8MFMAType0EEvPKT_PKT0_S9_ifPKiSB_SB_iPKfiiiPfSE_PS4_PT2_iSD_SD_,@function
_Z39paged_attention_ll4mi_QKV_mfma16_kernelI14__hip_bfloat16hLN4vllm18Fp8KVCacheDataTypeE1EhLi32ELi128ELi256ELb0ELi7EL8MFMAType0EEvPKT_PKT0_S9_ifPKiSB_SB_iPKfiiiPfSE_PS4_PT2_iSD_SD_: ; @_Z39paged_attention_ll4mi_QKV_mfma16_kernelI14__hip_bfloat16hLN4vllm18Fp8KVCacheDataTypeE1EhLi32ELi128ELi256ELb0ELi7EL8MFMAType0EEvPKT_PKT0_S9_ifPKiSB_SB_iPKfiiiPfSE_PS4_PT2_iSD_SD_
; %bb.0:
	s_load_b64 s[4:5], s[0:1], 0x30
	s_mov_b32 s30, s13
	s_waitcnt lgkmcnt(0)
	s_cmp_lg_u64 s[4:5], 0
	s_cselect_b32 s13, -1, 0
	s_ashr_i32 s31, s30, 31
	s_cmp_eq_u64 s[4:5], 0
	s_cbranch_scc1 .LBB1876_3
; %bb.1:
	s_lshl_b64 s[2:3], s[30:31], 2
	s_delay_alu instid0(SALU_CYCLE_1) | instskip(SKIP_4) | instid1(SALU_CYCLE_1)
	s_add_u32 s2, s4, s2
	s_addc_u32 s3, s5, s3
	s_load_b64 s[2:3], s[2:3], 0x0
	s_waitcnt lgkmcnt(0)
	s_sub_i32 s2, s3, s2
	s_cmp_eq_u32 s2, 1
	s_cselect_b32 s2, -1, 0
	s_delay_alu instid0(SALU_CYCLE_1)
	s_and_not1_b32 vcc_lo, exec_lo, s2
	s_cbranch_vccz .LBB1876_4
.LBB1876_2:
	s_nop 0
	s_sendmsg sendmsg(MSG_DEALLOC_VGPRS)
	s_endpgm
.LBB1876_3:
.LBB1876_4:
	s_load_b64 s[2:3], s[0:1], 0x28
	s_lshl_b64 s[6:7], s[30:31], 2
	s_waitcnt lgkmcnt(0)
	s_add_u32 s2, s2, s6
	s_addc_u32 s3, s3, s7
	s_lshl_b32 s12, s14, 8
	s_load_b32 s17, s[2:3], 0x0
	s_waitcnt lgkmcnt(0)
	s_cmp_ge_i32 s12, s17
	s_cbranch_scc1 .LBB1876_2
; %bb.5:
	s_clause 0x1
	s_load_b128 s[8:11], s[0:1], 0x8
	s_load_b64 s[2:3], s[0:1], 0x20
	s_and_not1_b32 vcc_lo, exec_lo, s13
	s_cbranch_vccnz .LBB1876_7
; %bb.6:
	s_add_u32 s4, s4, s6
	s_addc_u32 s5, s5, s7
	s_load_b32 s13, s[4:5], 0x0
	s_branch .LBB1876_8
.LBB1876_7:
	s_mov_b32 s13, s30
.LBB1876_8:
	s_load_b128 s[4:7], s[0:1], 0x48
	v_and_b32_e32 v65, 15, v0
	v_lshrrev_b32_e32 v66, 5, v0
	v_bfe_u32 v74, v0, 4, 1
	v_and_b32_e32 v67, 31, v0
	v_and_b32_e32 v75, 1, v0
	v_lshlrev_b32_e32 v2, 3, v65
	s_mul_i32 s31, s15, 7
	v_lshl_or_b32 v1, v66, 1, v74
	s_waitcnt lgkmcnt(0)
	s_mov_b32 s7, exec_lo
	v_lshlrev_b32_e32 v73, 1, v2
	s_delay_alu instid0(VALU_DEP_2)
	v_cmpx_gt_u32_e32 7, v1
	s_cbranch_execz .LBB1876_10
; %bb.9:
	s_load_b64 s[18:19], s[0:1], 0x0
	v_add_lshl_u32 v2, v1, s31, 7
	s_mul_hi_i32 s21, s13, s4
	s_mul_i32 s20, s13, s4
	v_lshlrev_b32_e32 v6, 10, v65
	s_lshl_b64 s[20:21], s[20:21], 1
	v_ashrrev_i32_e32 v3, 31, v2
	v_lshlrev_b32_e32 v1, 6, v1
	v_lshlrev_b32_e32 v7, 10, v75
	v_and_b32_e32 v6, 0x3800, v6
	s_delay_alu instid0(VALU_DEP_4) | instskip(NEXT) | instid1(VALU_DEP_2)
	v_lshlrev_b64 v[2:3], 1, v[2:3]
	v_or3_b32 v1, v6, v7, v1
	s_waitcnt lgkmcnt(0)
	s_add_u32 s4, s18, s20
	s_addc_u32 s13, s19, s21
	s_delay_alu instid0(VALU_DEP_2) | instskip(SKIP_1) | instid1(VALU_DEP_2)
	v_add_co_u32 v2, vcc_lo, s4, v2
	v_add_co_ci_u32_e32 v3, vcc_lo, s13, v3, vcc_lo
	v_add_co_u32 v2, vcc_lo, v2, v73
	s_delay_alu instid0(VALU_DEP_2)
	v_add_co_ci_u32_e32 v3, vcc_lo, 0, v3, vcc_lo
	global_load_b128 v[2:5], v[2:3], off
	s_waitcnt vmcnt(0)
	ds_store_b128 v1, v[2:5]
.LBB1876_10:
	s_or_b32 exec_lo, exec_lo, s7
	v_and_b32_e32 v1, 0xef, v0
	s_add_i32 s4, s17, 31
	s_clause 0x1
	s_load_b32 s7, s[0:1], 0x38
	s_load_b32 s18, s[0:1], 0x1c
	s_ashr_i32 s13, s4, 31
	v_add_nc_u32_e32 v2, s12, v1
	s_lshr_b32 s13, s13, 27
	s_waitcnt lgkmcnt(0)
	s_add_i32 s4, s4, s13
	s_barrier
	v_ashrrev_i32_e32 v1, 31, v2
	s_ashr_i32 s4, s4, 5
	v_cmp_gt_i32_e32 vcc_lo, s17, v2
	s_add_i32 s4, s4, -1
	buffer_gl0_inv
	v_lshrrev_b32_e32 v3, 27, v1
	v_or_b32_e32 v1, 16, v2
	s_mul_i32 s15, s15, s6
	s_delay_alu instid0(VALU_DEP_2) | instskip(SKIP_1) | instid1(SALU_CYCLE_1)
	v_add_nc_u32_e32 v4, v2, v3
	s_mul_i32 s20, s30, s7
	s_ashr_i32 s21, s20, 31
	s_delay_alu instid0(VALU_DEP_1) | instskip(SKIP_2) | instid1(SALU_CYCLE_1)
	v_ashrrev_i32_e32 v4, 5, v4
	v_add_nc_u32_e32 v3, v1, v3
	s_lshl_b64 s[20:21], s[20:21], 2
	s_add_u32 s7, s2, s20
	s_delay_alu instid0(VALU_DEP_2) | instskip(NEXT) | instid1(VALU_DEP_2)
	v_cndmask_b32_e32 v2, s4, v4, vcc_lo
	v_ashrrev_i32_e32 v3, 5, v3
	v_cmp_gt_i32_e32 vcc_lo, s17, v1
	s_addc_u32 s13, s3, s21
	s_ashr_i32 s6, s15, 31
	s_add_u32 s2, s8, s15
	s_addc_u32 s3, s9, s6
	v_cndmask_b32_e32 v4, s4, v3, vcc_lo
	v_ashrrev_i32_e32 v3, 31, v2
	s_lshl_b32 s8, s14, 3
	s_delay_alu instid0(SALU_CYCLE_1) | instskip(NEXT) | instid1(VALU_DEP_2)
	s_ashr_i32 s9, s8, 31
	v_ashrrev_i32_e32 v5, 31, v4
	s_delay_alu instid0(VALU_DEP_2) | instskip(SKIP_1) | instid1(SALU_CYCLE_1)
	v_lshlrev_b64 v[1:2], 2, v[2:3]
	s_lshl_b64 s[8:9], s[8:9], 2
	s_add_u32 s8, s7, s8
	s_delay_alu instid0(VALU_DEP_2) | instskip(SKIP_1) | instid1(VALU_DEP_2)
	v_lshlrev_b64 v[3:4], 2, v[4:5]
	s_addc_u32 s9, s13, s9
	v_add_co_u32 v1, vcc_lo, s7, v1
	v_add_co_ci_u32_e32 v2, vcc_lo, s13, v2, vcc_lo
	s_delay_alu instid0(VALU_DEP_3) | instskip(NEXT) | instid1(VALU_DEP_4)
	v_add_co_u32 v3, vcc_lo, s7, v3
	v_add_co_ci_u32_e32 v4, vcc_lo, s13, v4, vcc_lo
	s_clause 0x1
	global_load_b32 v5, v[1:2], off
	global_load_b32 v6, v[3:4], off
	s_or_b32 s16, s12, 32
	s_delay_alu instid0(SALU_CYCLE_1) | instskip(SKIP_2) | instid1(SALU_CYCLE_1)
	s_ashr_i32 s19, s16, 5
	s_cmp_lt_i32 s16, s17
	s_cselect_b32 s20, s19, s4
	s_ashr_i32 s21, s20, 31
	s_delay_alu instid0(SALU_CYCLE_1) | instskip(NEXT) | instid1(SALU_CYCLE_1)
	s_lshl_b64 s[20:21], s[20:21], 2
	s_add_u32 s20, s7, s20
	s_addc_u32 s21, s13, s21
	s_or_b32 s16, s12, 64
	s_delay_alu instid0(SALU_CYCLE_1) | instskip(SKIP_2) | instid1(SALU_CYCLE_1)
	s_ashr_i32 s19, s16, 5
	s_cmp_lt_i32 s16, s17
	s_cselect_b32 s22, s19, s4
	s_ashr_i32 s23, s22, 31
	s_delay_alu instid0(SALU_CYCLE_1) | instskip(NEXT) | instid1(SALU_CYCLE_1)
	s_lshl_b64 s[22:23], s[22:23], 2
	s_add_u32 s22, s7, s22
	s_addc_u32 s23, s13, s23
	;; [unrolled: 10-line block ×5, first 2 shown]
	s_clause 0x5
	s_load_b32 s16, s[8:9], 0x0
	s_load_b32 s19, s[20:21], 0x0
	;; [unrolled: 1-line block ×6, first 2 shown]
	s_mov_b32 s20, 0
	s_delay_alu instid0(SALU_CYCLE_1)
	s_mov_b32 s21, s20
	s_mov_b32 s22, s20
	;; [unrolled: 1-line block ×7, first 2 shown]
	s_delay_alu instid0(SALU_CYCLE_1)
	v_dual_mov_b32 v107, s27 :: v_dual_mov_b32 v106, s26
	v_dual_mov_b32 v105, s25 :: v_dual_mov_b32 v102, s22
	;; [unrolled: 1-line block ×4, first 2 shown]
	s_waitcnt vmcnt(1)
	v_mad_i64_i32 v[1:2], null, v5, s5, s[2:3]
	v_lshlrev_b32_e32 v5, 4, v65
	s_waitcnt vmcnt(0)
	v_mad_i64_i32 v[3:4], null, v6, s5, s[2:3]
	s_or_b32 s2, s12, 0xc0
	s_delay_alu instid0(SALU_CYCLE_1) | instskip(NEXT) | instid1(VALU_DEP_3)
	s_ashr_i32 s3, s2, 5
	v_add_co_u32 v25, vcc_lo, v1, v5
	s_delay_alu instid0(VALU_DEP_4) | instskip(NEXT) | instid1(VALU_DEP_3)
	v_add_co_ci_u32_e32 v26, vcc_lo, 0, v2, vcc_lo
	v_add_co_u32 v27, vcc_lo, v3, v5
	s_delay_alu instid0(VALU_DEP_4)
	v_add_co_ci_u32_e32 v28, vcc_lo, 0, v4, vcc_lo
	s_clause 0xf
	global_load_b128 v[1:4], v[25:26], off
	global_load_b128 v[5:8], v[25:26], off offset:512
	global_load_b128 v[9:12], v[27:28], off offset:256
	;; [unrolled: 1-line block ×15, first 2 shown]
	v_mul_lo_u16 v25, v65, 37
	s_cmp_lt_i32 s2, s17
	v_lshlrev_b32_e32 v26, 5, v65
	s_cselect_b32 s2, s3, s4
	s_delay_alu instid0(VALU_DEP_2) | instskip(SKIP_1) | instid1(VALU_DEP_2)
	v_lshrrev_b16 v25, 8, v25
	s_ashr_i32 s3, s2, 31
	v_lshl_or_b32 v33, v66, 9, v26
	s_lshl_b64 s[2:3], s[2:3], 2
	s_delay_alu instid0(VALU_DEP_2) | instskip(SKIP_3) | instid1(VALU_DEP_1)
	v_mul_lo_u16 v25, v25, 7
	s_add_u32 s2, s7, s2
	s_addc_u32 s3, s13, s3
	s_or_b32 s8, s12, 0xe0
	v_sub_nc_u16 v25, v65, v25
	s_ashr_i32 s9, s8, 5
	s_cmp_lt_i32 s8, s17
	s_cselect_b32 s8, s9, s4
	s_delay_alu instid0(VALU_DEP_1) | instskip(SKIP_1) | instid1(SALU_CYCLE_1)
	v_and_b32_e32 v25, 0xff, v25
	s_ashr_i32 s9, s8, 31
	s_lshl_b64 s[8:9], s[8:9], 2
	s_delay_alu instid0(VALU_DEP_1)
	v_lshlrev_b32_e32 v72, 6, v25
	ds_load_b128 v[25:28], v72
	ds_load_b128 v[29:32], v72 offset:1024
	ds_load_b128 v[108:111], v72 offset:2048
	;; [unrolled: 1-line block ×3, first 2 shown]
	s_load_b32 s4, s[2:3], 0x0
	s_add_u32 s2, s7, s8
	s_addc_u32 s3, s13, s9
	ds_load_b128 v[116:119], v72 offset:4096
	ds_load_b128 v[120:123], v72 offset:5120
	s_load_b32 s2, s[2:3], 0x0
	s_add_u32 s7, s10, s15
	s_addc_u32 s6, s11, s6
	v_add_co_u32 v68, s7, s7, v33
	s_delay_alu instid0(VALU_DEP_1) | instskip(SKIP_1) | instid1(VALU_DEP_1)
	v_add_co_ci_u32_e64 v69, null, s6, 0, s7
	s_waitcnt lgkmcnt(0)
	v_mad_i64_i32 v[33:34], null, s16, s5, v[68:69]
	v_mad_i64_i32 v[70:71], null, s33, s5, v[68:69]
	;; [unrolled: 1-line block ×7, first 2 shown]
	s_clause 0x3
	global_load_b128 v[41:44], v[33:34], off
	global_load_b128 v[45:48], v[33:34], off offset:16
	global_load_b128 v[33:36], v[37:38], off
	global_load_b128 v[37:40], v[37:38], off offset:16
	s_waitcnt vmcnt(18)
	v_wmma_f32_16x16x16_bf16 v[124:131], v[1:8], v[25:32], v[100:107]
	s_waitcnt vmcnt(16)
	v_wmma_f32_16x16x16_bf16 v[100:107], v[9:16], v[25:32], v[100:107]
	s_clause 0x1
	global_load_b128 v[25:28], v[70:71], off
	global_load_b128 v[29:32], v[70:71], off offset:16
	s_waitcnt vmcnt(16)
	v_wmma_f32_16x16x16_bf16 v[124:131], v[17:24], v[108:115], v[124:131]
	s_clause 0x1
	global_load_b128 v[17:20], v[132:133], off
	global_load_b128 v[21:24], v[132:133], off offset:16
	s_waitcnt vmcnt(16)
	v_wmma_f32_16x16x16_bf16 v[100:107], v[49:56], v[108:115], v[100:107]
	v_mad_i64_i32 v[53:54], null, s2, s5, v[68:69]
	s_clause 0x3
	global_load_b128 v[1:4], v[134:135], off
	global_load_b128 v[5:8], v[134:135], off offset:16
	global_load_b128 v[9:12], v[136:137], off
	global_load_b128 v[13:16], v[136:137], off offset:16
	s_waitcnt vmcnt(18)
	v_wmma_f32_16x16x16_bf16 v[124:131], v[57:64], v[116:123], v[124:131]
	s_clause 0x3
	global_load_b128 v[57:60], v[138:139], off
	global_load_b128 v[61:64], v[138:139], off offset:16
	global_load_b128 v[49:52], v[53:54], off
	global_load_b128 v[53:56], v[53:54], off offset:16
	s_waitcnt vmcnt(20)
	v_wmma_f32_16x16x16_bf16 v[100:107], v[76:83], v[116:123], v[100:107]
	ds_load_b128 v[76:79], v72 offset:6144
	ds_load_b128 v[80:83], v72 offset:7168
	v_mbcnt_lo_u32_b32 v69, -1, 0
	s_waitcnt vmcnt(0) lgkmcnt(0)
	s_barrier
	buffer_gl0_inv
	v_xor_b32_e32 v70, 16, v69
	s_delay_alu instid0(VALU_DEP_1) | instskip(SKIP_4) | instid1(VALU_DEP_2)
	v_cmp_gt_i32_e32 vcc_lo, 32, v70
	v_cndmask_b32_e32 v69, v69, v70, vcc_lo
	v_wmma_f32_16x16x16_bf16 v[124:131], v[84:91], v[76:83], v[124:131]
	v_and_b32_e32 v68, 0xe0, v0
	v_wmma_f32_16x16x16_bf16 v[100:107], v[92:99], v[76:83], v[100:107]
	v_dual_mul_f32 v81, s18, v129 :: v_dual_add_nc_u32 v68, s12, v68
	s_delay_alu instid0(VALU_DEP_4) | instskip(NEXT) | instid1(VALU_DEP_3)
	v_dual_mul_f32 v83, s18, v131 :: v_dual_mul_f32 v78, s18, v125
	v_mul_f32_e32 v95, s18, v103
	v_mul_f32_e32 v79, s18, v127
	s_delay_alu instid0(VALU_DEP_4) | instskip(SKIP_3) | instid1(VALU_DEP_4)
	v_or_b32_e32 v68, v68, v74
	v_dual_mul_f32 v80, s18, v126 :: v_dual_mul_f32 v97, s18, v105
	v_dual_mul_f32 v93, s18, v101 :: v_dual_mul_f32 v82, s18, v128
	v_mul_f32_e32 v99, s18, v107
	v_or_b32_e32 v70, 2, v68
	v_or_b32_e32 v71, 4, v68
	;; [unrolled: 1-line block ×3, first 2 shown]
	v_cmp_gt_i32_e64 s2, s17, v68
	v_or_b32_e32 v108, 8, v68
	v_cmp_gt_i32_e32 vcc_lo, s17, v70
	v_mul_f32_e32 v70, s18, v124
	v_or_b32_e32 v109, 10, v68
	v_cmp_gt_i32_e64 s3, s17, v71
	v_cmp_gt_i32_e64 s4, s17, v72
	v_cndmask_b32_e32 v78, 0xff7fffff, v78, vcc_lo
	v_cndmask_b32_e64 v70, 0xff7fffff, v70, s2
	v_or_b32_e32 v84, 12, v68
	v_or_b32_e32 v85, 14, v68
	v_cndmask_b32_e64 v71, 0xff7fffff, v80, s3
	v_cndmask_b32_e64 v72, 0xff7fffff, v79, s4
	v_max3_f32 v70, v70, 0xff7fffff, v78
	v_cmp_gt_i32_e64 s5, s17, v108
	v_cmp_gt_i32_e64 s6, s17, v109
	v_or_b32_e32 v86, 16, v68
	v_or_b32_e32 v87, 18, v68
	v_or_b32_e32 v89, 22, v68
	v_mul_f32_e32 v92, s18, v130
	v_cndmask_b32_e64 v78, 0xff7fffff, v82, s5
	v_cndmask_b32_e64 v79, 0xff7fffff, v81, s6
	v_max3_f32 v70, v70, v71, v72
	v_cmp_gt_i32_e64 s7, s17, v84
	v_cmp_gt_i32_e64 s8, s17, v85
	v_or_b32_e32 v88, 20, v68
	v_mul_f32_e32 v94, s18, v100
	v_max3_f32 v70, v70, v78, v79
	v_cmp_gt_i32_e64 s9, s17, v86
	v_cndmask_b32_e64 v72, 0xff7fffff, v83, s8
	v_cmp_gt_i32_e64 s10, s17, v87
	v_cmp_gt_i32_e64 s12, s17, v89
	v_lshlrev_b32_e32 v89, 2, v69
	v_cndmask_b32_e64 v71, 0xff7fffff, v92, s7
	v_or_b32_e32 v90, 24, v68
	v_or_b32_e32 v91, 26, v68
	v_mul_f32_e32 v96, s18, v102
	v_cndmask_b32_e64 v78, 0xff7fffff, v94, s9
	v_cndmask_b32_e64 v79, 0xff7fffff, v93, s10
	v_max3_f32 v70, v70, v71, v72
	v_cmp_gt_i32_e64 s11, s17, v88
	v_or_b32_e32 v76, 28, v68
	v_or_b32_e32 v77, 30, v68
	v_mul_f32_e32 v98, s18, v104
	v_cndmask_b32_e64 v72, 0xff7fffff, v95, s12
	v_cndmask_b32_e64 v71, 0xff7fffff, v96, s11
	v_max3_f32 v70, v70, v78, v79
	v_cmp_gt_i32_e64 s13, s17, v90
	v_cmp_gt_i32_e64 s15, s17, v91
	v_mul_f32_e32 v68, s18, v106
	v_cmp_gt_i32_e64 s16, s17, v76
	v_max3_f32 v70, v70, v71, v72
	v_cndmask_b32_e64 v78, 0xff7fffff, v98, s13
	v_cndmask_b32_e64 v79, 0xff7fffff, v97, s15
	v_cmp_gt_i32_e64 s17, s17, v77
	v_cndmask_b32_e64 v68, 0xff7fffff, v68, s16
	s_delay_alu instid0(VALU_DEP_3) | instskip(NEXT) | instid1(VALU_DEP_3)
	v_max3_f32 v70, v70, v78, v79
	v_cndmask_b32_e64 v71, 0xff7fffff, v99, s17
	s_delay_alu instid0(VALU_DEP_1) | instskip(SKIP_3) | instid1(VALU_DEP_1)
	v_max3_f32 v68, v70, v68, v71
	ds_bpermute_b32 v69, v89, v68
	s_waitcnt lgkmcnt(0)
	v_max_f32_e32 v69, v69, v69
	v_max_f32_e32 v68, v68, v69
	s_delay_alu instid0(VALU_DEP_1) | instskip(NEXT) | instid1(VALU_DEP_1)
	v_fma_f32 v71, s18, v126, -v68
	v_mul_f32_e32 v71, 0x3fb8aa3b, v71
	s_delay_alu instid0(VALU_DEP_1) | instskip(SKIP_3) | instid1(VALU_DEP_1)
	v_exp_f32_e32 v71, v71
	s_waitcnt_depctr 0xfff
	v_cndmask_b32_e64 v83, 0, v71, s3
	v_fma_f32 v71, s18, v131, -v68
	v_mul_f32_e32 v71, 0x3fb8aa3b, v71
	v_fma_f32 v69, s18, v124, -v68
	v_fma_f32 v76, s18, v128, -v68
	;; [unrolled: 1-line block ×4, first 2 shown]
	v_exp_f32_e32 v71, v71
	v_mul_f32_e32 v69, 0x3fb8aa3b, v69
	v_mul_f32_e32 v77, 0x3fb8aa3b, v76
	v_fma_f32 v81, s18, v105, -v68
	v_fma_f32 v78, s18, v130, -v68
	s_delay_alu instid0(VALU_DEP_4) | instskip(NEXT) | instid1(VALU_DEP_3)
	v_exp_f32_e32 v69, v69
	v_exp_f32_e32 v77, v77
	s_delay_alu instid0(VALU_DEP_2) | instskip(NEXT) | instid1(TRANS32_DEP_3)
	v_mul_f32_e32 v81, 0x3fb8aa3b, v81
	v_cndmask_b32_e64 v88, 0, v71, s8
	v_fma_f32 v71, s18, v104, -v68
	s_delay_alu instid0(VALU_DEP_3) | instskip(NEXT) | instid1(TRANS32_DEP_3)
	v_exp_f32_e32 v81, v81
	v_cndmask_b32_e64 v80, 0, v69, s2
	v_fma_f32 v69, s18, v129, -v68
	v_mul_f32_e32 v70, 0x3fb8aa3b, v70
	s_delay_alu instid0(TRANS32_DEP_2)
	v_cndmask_b32_e64 v86, 0, v77, s5
	v_mul_f32_e32 v72, 0x3fb8aa3b, v72
	v_fma_f32 v77, s18, v101, -v68
	v_mul_f32_e32 v69, 0x3fb8aa3b, v69
	v_exp_f32_e32 v70, v70
	v_mul_f32_e32 v71, 0x3fb8aa3b, v71
	v_exp_f32_e32 v72, v72
	;; [unrolled: 2-line block ×3, first 2 shown]
	v_cmp_gt_u32_e64 s2, 16, v67
	v_exp_f32_e32 v82, v71
	s_delay_alu instid0(VALU_DEP_2) | instskip(SKIP_4) | instid1(TRANS32_DEP_3)
	v_exp_f32_e32 v77, v77
	v_cndmask_b32_e32 v76, 0, v70, vcc_lo
	v_add_f32_e32 v70, 0, v80
	v_cndmask_b32_e64 v85, 0, v72, s4
	v_fma_f32 v72, s18, v100, -v68
	v_cndmask_b32_e64 v87, 0, v69, s6
	s_delay_alu instid0(VALU_DEP_4) | instskip(NEXT) | instid1(VALU_DEP_3)
	v_add_f32_e32 v70, v70, v76
	v_mul_f32_e32 v72, 0x3fb8aa3b, v72
	s_delay_alu instid0(VALU_DEP_2) | instskip(NEXT) | instid1(VALU_DEP_2)
	v_add_f32_e32 v70, v70, v83
	v_exp_f32_e32 v72, v72
	s_delay_alu instid0(VALU_DEP_1) | instskip(NEXT) | instid1(VALU_DEP_1)
	v_add_f32_e32 v70, v70, v85
	v_add_f32_e32 v69, v70, v86
	v_fma_f32 v70, s18, v102, -v68
	s_delay_alu instid0(VALU_DEP_2) | instskip(NEXT) | instid1(VALU_DEP_2)
	v_dual_add_f32 v69, v69, v87 :: v_dual_mul_f32 v78, 0x3fb8aa3b, v78
	v_mul_f32_e32 v70, 0x3fb8aa3b, v70
	s_delay_alu instid0(VALU_DEP_2) | instskip(NEXT) | instid1(VALU_DEP_1)
	v_exp_f32_e32 v78, v78
	v_exp_f32_e32 v79, v70
	s_delay_alu instid0(TRANS32_DEP_3) | instskip(SKIP_4) | instid1(VALU_DEP_2)
	v_cndmask_b32_e64 v70, 0, v72, s9
	s_waitcnt_depctr 0xfff
	v_cndmask_b32_e64 v84, 0, v78, s7
	v_fma_f32 v78, s18, v103, -v68
	v_cndmask_b32_e64 v71, 0, v79, s11
	v_dual_add_f32 v69, v69, v84 :: v_dual_mul_f32 v78, 0x3fb8aa3b, v78
	s_delay_alu instid0(VALU_DEP_1) | instskip(NEXT) | instid1(VALU_DEP_2)
	v_add_f32_e32 v72, v69, v88
	v_exp_f32_e32 v78, v78
	v_cndmask_b32_e64 v69, 0, v77, s10
	v_fma_f32 v77, s18, v106, -v68
	s_delay_alu instid0(VALU_DEP_1) | instskip(NEXT) | instid1(VALU_DEP_1)
	v_dual_add_f32 v72, v72, v70 :: v_dual_mul_f32 v77, 0x3fb8aa3b, v77
	v_add_f32_e32 v79, v72, v69
	s_waitcnt_depctr 0xfff
	v_cndmask_b32_e64 v72, 0, v78, s12
	v_exp_f32_e32 v90, v77
	v_cndmask_b32_e64 v77, 0, v82, s13
	v_add_f32_e32 v78, v79, v71
	v_fma_f32 v79, s18, v107, -v68
	s_delay_alu instid0(VALU_DEP_1) | instskip(SKIP_1) | instid1(VALU_DEP_2)
	v_dual_add_f32 v82, v78, v72 :: v_dual_mul_f32 v79, 0x3fb8aa3b, v79
	v_cndmask_b32_e64 v78, 0, v81, s15
	v_add_f32_e32 v81, v82, v77
	s_delay_alu instid0(VALU_DEP_3) | instskip(NEXT) | instid1(TRANS32_DEP_2)
	v_exp_f32_e32 v82, v79
	v_cndmask_b32_e64 v79, 0, v90, s16
	s_delay_alu instid0(VALU_DEP_2) | instskip(NEXT) | instid1(VALU_DEP_1)
	v_add_f32_e32 v81, v81, v78
	v_add_f32_e32 v90, v81, v79
	s_waitcnt_depctr 0xfff
	v_cndmask_b32_e64 v81, 0, v82, s17
	s_delay_alu instid0(VALU_DEP_1)
	v_add_f32_e32 v82, v90, v81
	ds_bpermute_b32 v89, v89, v82
	s_and_saveexec_b32 s3, s2
	s_cbranch_execz .LBB1876_12
; %bb.11:
	v_mul_u32_u24_e32 v67, 0x44, v66
	s_delay_alu instid0(VALU_DEP_1) | instskip(SKIP_1) | instid1(VALU_DEP_1)
	v_lshl_add_u32 v67, v65, 2, v67
	s_waitcnt lgkmcnt(0)
	v_dual_add_f32 v82, v82, v89 :: v_dual_add_nc_u32 v67, 0x4000, v67
	ds_store_2addr_b32 v67, v68, v82 offset1:136
.LBB1876_12:
	s_or_b32 exec_lo, exec_lo, s3
	v_lshlrev_b32_e32 v67, 2, v65
	s_waitcnt lgkmcnt(0)
	s_barrier
	buffer_gl0_inv
	v_cmp_eq_u32_e32 vcc_lo, 1, v66
	v_add_nc_u32_e32 v82, 0x4000, v67
	v_cmp_eq_u32_e64 s3, 2, v66
	v_cmp_eq_u32_e64 s5, 7, v66
	ds_load_2addr_b32 v[89:90], v82 offset1:17
	ds_load_2addr_b32 v[91:92], v82 offset0:34 offset1:51
	ds_load_2addr_b32 v[93:94], v82 offset0:68 offset1:85
	;; [unrolled: 1-line block ×4, first 2 shown]
	s_waitcnt lgkmcnt(4)
	v_max3_f32 v67, v89, 0xff7fffff, v90
	s_waitcnt lgkmcnt(3)
	s_delay_alu instid0(VALU_DEP_1) | instskip(SKIP_1) | instid1(VALU_DEP_1)
	v_max3_f32 v67, v67, v91, v92
	s_waitcnt lgkmcnt(2)
	v_max3_f32 v67, v67, v93, v94
	s_waitcnt lgkmcnt(1)
	s_delay_alu instid0(VALU_DEP_1) | instskip(NEXT) | instid1(VALU_DEP_1)
	v_max3_f32 v67, v67, v95, v96
	v_sub_f32_e32 v93, v93, v67
	s_delay_alu instid0(VALU_DEP_1) | instskip(NEXT) | instid1(VALU_DEP_1)
	v_dual_sub_f32 v68, v89, v67 :: v_dual_mul_f32 v103, 0x3fb8aa3b, v93
	v_mul_f32_e32 v68, 0x3fb8aa3b, v68
	s_delay_alu instid0(VALU_DEP_1)
	v_exp_f32_e32 v100, v68
	v_sub_f32_e32 v68, v92, v67
	v_sub_f32_e32 v99, v90, v67
	ds_load_2addr_b32 v[89:90], v82 offset0:170 offset1:187
	v_dual_mul_f32 v102, 0x3fb8aa3b, v68 :: v_dual_mul_f32 v99, 0x3fb8aa3b, v99
	s_waitcnt lgkmcnt(1)
	v_fma_f32 v68, v100, v97, 0
	s_delay_alu instid0(VALU_DEP_2) | instskip(NEXT) | instid1(VALU_DEP_2)
	v_exp_f32_e32 v102, v102
	v_exp_f32_e32 v99, v99
	s_waitcnt_depctr 0xfff
	v_fmac_f32_e32 v68, v99, v98
	v_sub_f32_e32 v91, v91, v67
	s_delay_alu instid0(VALU_DEP_1)
	v_mul_f32_e32 v101, 0x3fb8aa3b, v91
	ds_load_2addr_b32 v[91:92], v82 offset0:204 offset1:221
	v_sub_f32_e32 v97, v94, v67
	ds_load_2addr_b32 v[93:94], v82 offset0:238 offset1:255
	s_waitcnt lgkmcnt(0)
	v_exp_f32_e32 v101, v101
	s_barrier
	buffer_gl0_inv
	v_dual_fmac_f32 v68, v101, v89 :: v_dual_sub_f32 v89, v96, v67
	v_dual_sub_f32 v82, v95, v67 :: v_dual_mul_f32 v95, 0x3fb8aa3b, v97
	v_exp_f32_e32 v97, v103
	s_delay_alu instid0(VALU_DEP_2) | instskip(NEXT) | instid1(VALU_DEP_2)
	v_dual_fmac_f32 v68, v102, v90 :: v_dual_mul_f32 v89, 0x3fb8aa3b, v89
	v_mul_f32_e32 v82, 0x3fb8aa3b, v82
	s_delay_alu instid0(VALU_DEP_3) | instskip(NEXT) | instid1(VALU_DEP_2)
	v_exp_f32_e32 v95, v95
	v_exp_f32_e32 v89, v89
	s_delay_alu instid0(VALU_DEP_1)
	v_exp_f32_e32 v82, v82
	v_fmac_f32_e32 v68, v97, v91
	s_delay_alu instid0(TRANS32_DEP_3) | instid1(VALU_DEP_1)
	v_fmac_f32_e32 v68, v95, v92
	s_waitcnt_depctr 0xfff
	v_fmac_f32_e32 v68, v82, v93
	s_delay_alu instid0(VALU_DEP_1) | instskip(NEXT) | instid1(VALU_DEP_1)
	v_fmac_f32_e32 v68, v89, v94
	v_add_f32_e32 v90, 0x358637bd, v68
	s_delay_alu instid0(VALU_DEP_1) | instskip(NEXT) | instid1(VALU_DEP_1)
	v_div_scale_f32 v91, null, v90, v90, 1.0
	v_rcp_f32_e32 v92, v91
	s_waitcnt_depctr 0xfff
	v_fma_f32 v93, -v91, v92, 1.0
	s_delay_alu instid0(VALU_DEP_1) | instskip(SKIP_1) | instid1(VALU_DEP_2)
	v_dual_fmac_f32 v92, v93, v92 :: v_dual_cndmask_b32 v93, v100, v99
	v_cmp_eq_u32_e32 vcc_lo, 3, v66
	v_cndmask_b32_e64 v93, v93, v101, s3
	v_cmp_eq_u32_e64 s3, 4, v66
	s_delay_alu instid0(VALU_DEP_2) | instskip(SKIP_1) | instid1(VALU_DEP_2)
	v_cndmask_b32_e32 v93, v93, v102, vcc_lo
	v_cmp_eq_u32_e32 vcc_lo, 5, v66
	v_cndmask_b32_e64 v93, v93, v97, s3
	v_cmp_eq_u32_e64 s3, 6, v66
	s_delay_alu instid0(VALU_DEP_2) | instskip(SKIP_1) | instid1(VALU_DEP_1)
	v_cndmask_b32_e32 v93, v93, v95, vcc_lo
	v_div_scale_f32 v94, s4, 1.0, v90, 1.0
	s_mov_b32 vcc_lo, s4
	s_delay_alu instid0(VALU_DEP_2) | instskip(NEXT) | instid1(VALU_DEP_2)
	v_cndmask_b32_e64 v82, v93, v82, s3
	v_mul_f32_e32 v96, v94, v92
	s_mov_b32 s3, exec_lo
	s_delay_alu instid0(VALU_DEP_2) | instskip(NEXT) | instid1(VALU_DEP_2)
	v_cndmask_b32_e64 v82, v82, v89, s5
	v_fma_f32 v98, -v91, v96, v94
	s_delay_alu instid0(VALU_DEP_1) | instskip(NEXT) | instid1(VALU_DEP_1)
	v_fmac_f32_e32 v96, v98, v92
	v_fma_f32 v91, -v91, v96, v94
	s_delay_alu instid0(VALU_DEP_1) | instskip(NEXT) | instid1(VALU_DEP_1)
	v_div_fmas_f32 v91, v91, v92, v96
	v_div_fixup_f32 v90, v91, v90, 1.0
	s_delay_alu instid0(VALU_DEP_1) | instskip(NEXT) | instid1(VALU_DEP_1)
	v_mul_f32_e32 v82, v82, v90
	v_mul_f32_e32 v87, v82, v87
	;; [unrolled: 1-line block ×7, first 2 shown]
	v_dual_mul_f32 v86, v82, v83 :: v_dual_and_b32 v91, 0x7f800000, v90
	v_mul_f32_e32 v85, v82, v76
                                        ; implicit-def: $vgpr76
	s_delay_alu instid0(VALU_DEP_2)
	v_cmpx_ne_u32_e32 0x7f800000, v91
	s_xor_b32 s3, exec_lo, s3
; %bb.13:
	v_bfe_u32 v76, v90, 16, 1
	s_delay_alu instid0(VALU_DEP_1)
	v_add3_u32 v76, v90, v76, 0x7fff
                                        ; implicit-def: $vgpr90
; %bb.14:
	s_and_not1_saveexec_b32 s3, s3
; %bb.15:
	v_and_b32_e32 v76, 0xffff, v90
	v_or_b32_e32 v83, 0x10000, v90
	s_delay_alu instid0(VALU_DEP_2) | instskip(NEXT) | instid1(VALU_DEP_2)
	v_cmp_eq_u32_e32 vcc_lo, 0, v76
	v_cndmask_b32_e32 v76, v83, v90, vcc_lo
; %bb.16:
	s_or_b32 exec_lo, exec_lo, s3
	v_and_b32_e32 v83, 0x7f800000, v85
	s_delay_alu instid0(VALU_DEP_1) | instskip(SKIP_1) | instid1(SALU_CYCLE_1)
	v_cmp_ne_u32_e32 vcc_lo, 0x7f800000, v83
                                        ; implicit-def: $vgpr83
	s_and_saveexec_b32 s3, vcc_lo
	s_xor_b32 s3, exec_lo, s3
; %bb.17:
	v_bfe_u32 v83, v85, 16, 1
	s_delay_alu instid0(VALU_DEP_1)
	v_add3_u32 v83, v85, v83, 0x7fff
                                        ; implicit-def: $vgpr85
; %bb.18:
	s_and_not1_saveexec_b32 s3, s3
; %bb.19:
	v_and_b32_e32 v83, 0xffff, v85
	v_or_b32_e32 v90, 0x10000, v85
	s_delay_alu instid0(VALU_DEP_2) | instskip(NEXT) | instid1(VALU_DEP_2)
	v_cmp_eq_u32_e32 vcc_lo, 0, v83
	v_cndmask_b32_e32 v83, v90, v85, vcc_lo
; %bb.20:
	s_or_b32 exec_lo, exec_lo, s3
	v_and_b32_e32 v85, 0x7f800000, v86
	s_delay_alu instid0(VALU_DEP_1) | instskip(SKIP_1) | instid1(SALU_CYCLE_1)
	v_cmp_ne_u32_e32 vcc_lo, 0x7f800000, v85
                                        ; implicit-def: $vgpr85
	s_and_saveexec_b32 s3, vcc_lo
	s_xor_b32 s3, exec_lo, s3
; %bb.21:
	v_bfe_u32 v85, v86, 16, 1
	s_delay_alu instid0(VALU_DEP_1)
	v_add3_u32 v85, v86, v85, 0x7fff
                                        ; implicit-def: $vgpr86
; %bb.22:
	s_and_not1_saveexec_b32 s3, s3
; %bb.23:
	v_and_b32_e32 v85, 0xffff, v86
	v_or_b32_e32 v90, 0x10000, v86
	s_delay_alu instid0(VALU_DEP_2) | instskip(NEXT) | instid1(VALU_DEP_2)
	v_cmp_eq_u32_e32 vcc_lo, 0, v85
	v_cndmask_b32_e32 v85, v90, v86, vcc_lo
; %bb.24:
	s_or_b32 exec_lo, exec_lo, s3
	v_and_b32_e32 v86, 0x7f800000, v89
	s_delay_alu instid0(VALU_DEP_1) | instskip(SKIP_1) | instid1(SALU_CYCLE_1)
	v_cmp_ne_u32_e32 vcc_lo, 0x7f800000, v86
                                        ; implicit-def: $vgpr86
	s_and_saveexec_b32 s3, vcc_lo
	s_xor_b32 s3, exec_lo, s3
; %bb.25:
	v_bfe_u32 v86, v89, 16, 1
	s_delay_alu instid0(VALU_DEP_1)
	v_add3_u32 v86, v89, v86, 0x7fff
                                        ; implicit-def: $vgpr89
; %bb.26:
	s_and_not1_saveexec_b32 s3, s3
; %bb.27:
	v_and_b32_e32 v86, 0xffff, v89
	v_or_b32_e32 v90, 0x10000, v89
	s_delay_alu instid0(VALU_DEP_2) | instskip(NEXT) | instid1(VALU_DEP_2)
	v_cmp_eq_u32_e32 vcc_lo, 0, v86
	v_cndmask_b32_e32 v86, v90, v89, vcc_lo
; %bb.28:
	s_or_b32 exec_lo, exec_lo, s3
	v_and_b32_e32 v89, 0x7f800000, v88
	s_delay_alu instid0(VALU_DEP_1) | instskip(SKIP_1) | instid1(SALU_CYCLE_1)
	v_cmp_ne_u32_e32 vcc_lo, 0x7f800000, v89
                                        ; implicit-def: $vgpr89
	s_and_saveexec_b32 s3, vcc_lo
	s_xor_b32 s3, exec_lo, s3
; %bb.29:
	v_bfe_u32 v89, v88, 16, 1
	s_delay_alu instid0(VALU_DEP_1)
	v_add3_u32 v89, v88, v89, 0x7fff
                                        ; implicit-def: $vgpr88
; %bb.30:
	s_and_not1_saveexec_b32 s3, s3
; %bb.31:
	v_and_b32_e32 v89, 0xffff, v88
	v_or_b32_e32 v90, 0x10000, v88
	s_delay_alu instid0(VALU_DEP_2) | instskip(NEXT) | instid1(VALU_DEP_2)
	v_cmp_eq_u32_e32 vcc_lo, 0, v89
	v_cndmask_b32_e32 v89, v90, v88, vcc_lo
; %bb.32:
	s_or_b32 exec_lo, exec_lo, s3
	v_and_b32_e32 v88, 0x7f800000, v87
	s_delay_alu instid0(VALU_DEP_1) | instskip(SKIP_1) | instid1(SALU_CYCLE_1)
	v_cmp_ne_u32_e32 vcc_lo, 0x7f800000, v88
                                        ; implicit-def: $vgpr88
	s_and_saveexec_b32 s3, vcc_lo
	s_xor_b32 s3, exec_lo, s3
; %bb.33:
	v_bfe_u32 v88, v87, 16, 1
	s_delay_alu instid0(VALU_DEP_1)
	v_add3_u32 v88, v87, v88, 0x7fff
                                        ; implicit-def: $vgpr87
; %bb.34:
	s_and_not1_saveexec_b32 s3, s3
; %bb.35:
	v_and_b32_e32 v88, 0xffff, v87
	v_or_b32_e32 v90, 0x10000, v87
	s_delay_alu instid0(VALU_DEP_2) | instskip(NEXT) | instid1(VALU_DEP_2)
	v_cmp_eq_u32_e32 vcc_lo, 0, v88
	v_cndmask_b32_e32 v88, v90, v87, vcc_lo
; %bb.36:
	s_or_b32 exec_lo, exec_lo, s3
	v_and_b32_e32 v87, 0x7f800000, v84
	s_delay_alu instid0(VALU_DEP_1) | instskip(SKIP_1) | instid1(SALU_CYCLE_1)
	v_cmp_ne_u32_e32 vcc_lo, 0x7f800000, v87
                                        ; implicit-def: $vgpr87
	s_and_saveexec_b32 s3, vcc_lo
	s_xor_b32 s3, exec_lo, s3
; %bb.37:
	v_bfe_u32 v87, v84, 16, 1
	s_delay_alu instid0(VALU_DEP_1)
	v_add3_u32 v87, v84, v87, 0x7fff
                                        ; implicit-def: $vgpr84
; %bb.38:
	s_and_not1_saveexec_b32 s3, s3
; %bb.39:
	v_and_b32_e32 v87, 0xffff, v84
	v_or_b32_e32 v90, 0x10000, v84
	s_delay_alu instid0(VALU_DEP_2) | instskip(NEXT) | instid1(VALU_DEP_2)
	v_cmp_eq_u32_e32 vcc_lo, 0, v87
	v_cndmask_b32_e32 v87, v90, v84, vcc_lo
; %bb.40:
	s_or_b32 exec_lo, exec_lo, s3
	v_and_b32_e32 v84, 0x7f800000, v80
	s_delay_alu instid0(VALU_DEP_1) | instskip(SKIP_1) | instid1(SALU_CYCLE_1)
	v_cmp_ne_u32_e32 vcc_lo, 0x7f800000, v84
                                        ; implicit-def: $vgpr84
	s_and_saveexec_b32 s3, vcc_lo
	s_xor_b32 s3, exec_lo, s3
; %bb.41:
	v_bfe_u32 v84, v80, 16, 1
	s_delay_alu instid0(VALU_DEP_1)
	v_add3_u32 v84, v80, v84, 0x7fff
                                        ; implicit-def: $vgpr80
; %bb.42:
	s_and_not1_saveexec_b32 s3, s3
; %bb.43:
	v_and_b32_e32 v84, 0xffff, v80
	v_or_b32_e32 v90, 0x10000, v80
	s_delay_alu instid0(VALU_DEP_2) | instskip(NEXT) | instid1(VALU_DEP_2)
	v_cmp_eq_u32_e32 vcc_lo, 0, v84
	v_cndmask_b32_e32 v84, v90, v80, vcc_lo
; %bb.44:
	s_or_b32 exec_lo, exec_lo, s3
	s_load_b64 s[34:35], s[0:1], 0x94
	v_lshlrev_b32_e32 v91, 4, v74
	s_delay_alu instid0(VALU_DEP_2)
	v_perm_b32 v90, v84, v87, 0x7060302
	v_dual_mul_f32 v79, v82, v79 :: v_dual_lshlrev_b32 v80, 6, v65
	v_dual_mul_f32 v77, v82, v77 :: v_dual_lshlrev_b32 v92, 11, v66
	v_mul_f32_e32 v84, v82, v70
	v_perm_b32 v89, v88, v89, 0x7060302
	v_perm_b32 v88, v86, v85, 0x7060302
	;; [unrolled: 1-line block ×3, first 2 shown]
	v_mul_f32_e32 v70, v82, v81
	v_or3_b32 v76, v91, v92, v80
	v_dual_mul_f32 v78, v82, v78 :: v_dual_and_b32 v85, 0x7f800000, v84
	v_mul_f32_e32 v83, v82, v72
	v_mul_f32_e32 v81, v82, v71
	;; [unrolled: 1-line block ×3, first 2 shown]
	s_mov_b32 s3, exec_lo
	ds_store_b128 v76, v[87:90]
                                        ; implicit-def: $vgpr69
	v_cmpx_ne_u32_e32 0x7f800000, v85
	s_xor_b32 s3, exec_lo, s3
; %bb.45:
	v_bfe_u32 v69, v84, 16, 1
	s_delay_alu instid0(VALU_DEP_1)
	v_add3_u32 v69, v84, v69, 0x7fff
                                        ; implicit-def: $vgpr84
; %bb.46:
	s_and_not1_saveexec_b32 s3, s3
; %bb.47:
	v_and_b32_e32 v69, 0xffff, v84
	v_or_b32_e32 v71, 0x10000, v84
	s_delay_alu instid0(VALU_DEP_2) | instskip(NEXT) | instid1(VALU_DEP_2)
	v_cmp_eq_u32_e32 vcc_lo, 0, v69
	v_cndmask_b32_e32 v69, v71, v84, vcc_lo
; %bb.48:
	s_or_b32 exec_lo, exec_lo, s3
	v_and_b32_e32 v71, 0x7f800000, v72
	s_delay_alu instid0(VALU_DEP_1) | instskip(SKIP_1) | instid1(SALU_CYCLE_1)
	v_cmp_ne_u32_e32 vcc_lo, 0x7f800000, v71
                                        ; implicit-def: $vgpr71
	s_and_saveexec_b32 s3, vcc_lo
	s_xor_b32 s3, exec_lo, s3
; %bb.49:
	v_bfe_u32 v71, v72, 16, 1
	s_delay_alu instid0(VALU_DEP_1)
	v_add3_u32 v71, v72, v71, 0x7fff
                                        ; implicit-def: $vgpr72
; %bb.50:
	s_and_not1_saveexec_b32 s3, s3
; %bb.51:
	v_and_b32_e32 v71, 0xffff, v72
	v_or_b32_e32 v82, 0x10000, v72
	s_delay_alu instid0(VALU_DEP_2) | instskip(NEXT) | instid1(VALU_DEP_2)
	v_cmp_eq_u32_e32 vcc_lo, 0, v71
	v_cndmask_b32_e32 v71, v82, v72, vcc_lo
; %bb.52:
	s_or_b32 exec_lo, exec_lo, s3
	v_and_b32_e32 v72, 0x7f800000, v81
	s_delay_alu instid0(VALU_DEP_1) | instskip(SKIP_1) | instid1(SALU_CYCLE_1)
	v_cmp_ne_u32_e32 vcc_lo, 0x7f800000, v72
                                        ; implicit-def: $vgpr72
	s_and_saveexec_b32 s3, vcc_lo
	s_xor_b32 s3, exec_lo, s3
; %bb.53:
	v_bfe_u32 v72, v81, 16, 1
	s_delay_alu instid0(VALU_DEP_1)
	v_add3_u32 v72, v81, v72, 0x7fff
                                        ; implicit-def: $vgpr81
; %bb.54:
	s_and_not1_saveexec_b32 s3, s3
; %bb.55:
	v_and_b32_e32 v72, 0xffff, v81
	v_or_b32_e32 v82, 0x10000, v81
	s_delay_alu instid0(VALU_DEP_2) | instskip(NEXT) | instid1(VALU_DEP_2)
	v_cmp_eq_u32_e32 vcc_lo, 0, v72
	v_cndmask_b32_e32 v72, v82, v81, vcc_lo
; %bb.56:
	s_or_b32 exec_lo, exec_lo, s3
	v_and_b32_e32 v81, 0x7f800000, v83
	s_delay_alu instid0(VALU_DEP_1) | instskip(SKIP_1) | instid1(SALU_CYCLE_1)
	v_cmp_ne_u32_e32 vcc_lo, 0x7f800000, v81
                                        ; implicit-def: $vgpr81
	s_and_saveexec_b32 s3, vcc_lo
	s_xor_b32 s3, exec_lo, s3
; %bb.57:
	v_bfe_u32 v81, v83, 16, 1
	s_delay_alu instid0(VALU_DEP_1)
	v_add3_u32 v81, v83, v81, 0x7fff
                                        ; implicit-def: $vgpr83
; %bb.58:
	s_and_not1_saveexec_b32 s3, s3
; %bb.59:
	v_and_b32_e32 v81, 0xffff, v83
	v_or_b32_e32 v82, 0x10000, v83
	s_delay_alu instid0(VALU_DEP_2) | instskip(NEXT) | instid1(VALU_DEP_2)
	v_cmp_eq_u32_e32 vcc_lo, 0, v81
	v_cndmask_b32_e32 v81, v82, v83, vcc_lo
; %bb.60:
	s_or_b32 exec_lo, exec_lo, s3
	v_and_b32_e32 v82, 0x7f800000, v77
	s_delay_alu instid0(VALU_DEP_1) | instskip(SKIP_1) | instid1(SALU_CYCLE_1)
	v_cmp_ne_u32_e32 vcc_lo, 0x7f800000, v82
                                        ; implicit-def: $vgpr82
	s_and_saveexec_b32 s3, vcc_lo
	s_xor_b32 s3, exec_lo, s3
; %bb.61:
	v_bfe_u32 v82, v77, 16, 1
	s_delay_alu instid0(VALU_DEP_1)
	v_add3_u32 v82, v77, v82, 0x7fff
                                        ; implicit-def: $vgpr77
; %bb.62:
	s_and_not1_saveexec_b32 s3, s3
; %bb.63:
	v_and_b32_e32 v82, 0xffff, v77
	v_or_b32_e32 v83, 0x10000, v77
	s_delay_alu instid0(VALU_DEP_2) | instskip(NEXT) | instid1(VALU_DEP_2)
	v_cmp_eq_u32_e32 vcc_lo, 0, v82
	v_cndmask_b32_e32 v82, v83, v77, vcc_lo
; %bb.64:
	s_or_b32 exec_lo, exec_lo, s3
	v_and_b32_e32 v77, 0x7f800000, v78
	s_delay_alu instid0(VALU_DEP_1) | instskip(SKIP_1) | instid1(SALU_CYCLE_1)
	v_cmp_ne_u32_e32 vcc_lo, 0x7f800000, v77
                                        ; implicit-def: $vgpr77
	s_and_saveexec_b32 s3, vcc_lo
	s_xor_b32 s3, exec_lo, s3
; %bb.65:
	v_bfe_u32 v77, v78, 16, 1
	s_delay_alu instid0(VALU_DEP_1)
	v_add3_u32 v77, v78, v77, 0x7fff
                                        ; implicit-def: $vgpr78
; %bb.66:
	s_and_not1_saveexec_b32 s3, s3
; %bb.67:
	v_and_b32_e32 v77, 0xffff, v78
	v_or_b32_e32 v83, 0x10000, v78
	s_delay_alu instid0(VALU_DEP_2) | instskip(NEXT) | instid1(VALU_DEP_2)
	v_cmp_eq_u32_e32 vcc_lo, 0, v77
	v_cndmask_b32_e32 v77, v83, v78, vcc_lo
; %bb.68:
	s_or_b32 exec_lo, exec_lo, s3
	v_and_b32_e32 v78, 0x7f800000, v79
	s_delay_alu instid0(VALU_DEP_1) | instskip(SKIP_1) | instid1(SALU_CYCLE_1)
	v_cmp_ne_u32_e32 vcc_lo, 0x7f800000, v78
                                        ; implicit-def: $vgpr78
	s_and_saveexec_b32 s3, vcc_lo
	s_xor_b32 s3, exec_lo, s3
; %bb.69:
	v_bfe_u32 v78, v79, 16, 1
	s_delay_alu instid0(VALU_DEP_1)
	v_add3_u32 v78, v79, v78, 0x7fff
                                        ; implicit-def: $vgpr79
; %bb.70:
	s_and_not1_saveexec_b32 s3, s3
; %bb.71:
	v_and_b32_e32 v78, 0xffff, v79
	v_or_b32_e32 v83, 0x10000, v79
	s_delay_alu instid0(VALU_DEP_2) | instskip(NEXT) | instid1(VALU_DEP_2)
	v_cmp_eq_u32_e32 vcc_lo, 0, v78
	v_cndmask_b32_e32 v78, v83, v79, vcc_lo
; %bb.72:
	s_or_b32 exec_lo, exec_lo, s3
	v_and_b32_e32 v79, 0x7f800000, v70
	s_delay_alu instid0(VALU_DEP_1) | instskip(SKIP_1) | instid1(SALU_CYCLE_1)
	v_cmp_ne_u32_e32 vcc_lo, 0x7f800000, v79
                                        ; implicit-def: $vgpr79
	s_and_saveexec_b32 s3, vcc_lo
	s_xor_b32 s3, exec_lo, s3
; %bb.73:
	v_bfe_u32 v79, v70, 16, 1
	s_delay_alu instid0(VALU_DEP_1)
	v_add3_u32 v79, v70, v79, 0x7fff
                                        ; implicit-def: $vgpr70
; %bb.74:
	s_and_not1_saveexec_b32 s3, s3
; %bb.75:
	v_and_b32_e32 v79, 0xffff, v70
	v_or_b32_e32 v83, 0x10000, v70
	s_delay_alu instid0(VALU_DEP_2) | instskip(NEXT) | instid1(VALU_DEP_2)
	v_cmp_eq_u32_e32 vcc_lo, 0, v79
	v_cndmask_b32_e32 v79, v83, v70, vcc_lo
; %bb.76:
	s_or_b32 exec_lo, exec_lo, s3
	s_delay_alu instid0(VALU_DEP_1)
	v_perm_b32 v86, v79, v78, 0x7060302
	v_perm_b32 v85, v77, v82, 0x7060302
	;; [unrolled: 1-line block ×4, first 2 shown]
	v_lshl_or_b32 v82, v66, 11, v80
	ds_store_b128 v76, v[83:86] offset:1024
	s_waitcnt lgkmcnt(0)
	s_barrier
	buffer_gl0_inv
	ds_load_b128 v[69:72], v82
	ds_load_b128 v[83:86], v82 offset:16
	s_waitcnt lgkmcnt(1)
	v_lshrrev_b32_e32 v66, 16, v69
	s_waitcnt lgkmcnt(0)
	v_lshrrev_b32_e32 v91, 16, v83
	v_lshlrev_b32_e32 v78, 2, v74
	v_lshrrev_b32_e32 v95, 16, v70
	v_lshrrev_b32_e32 v98, 16, v84
	;; [unrolled: 1-line block ×4, first 2 shown]
	v_cmp_eq_u32_e32 vcc_lo, 1, v78
	v_lshrrev_b32_e32 v97, 16, v72
	v_lshrrev_b32_e32 v100, 16, v86
	v_cndmask_b32_e32 v87, v83, v91, vcc_lo
	v_or_b32_e32 v79, 1, v78
	v_cndmask_b32_e32 v81, v69, v66, vcc_lo
	v_cmp_eq_u32_e64 s4, 2, v78
	v_cmp_eq_u32_e64 s7, 3, v78
	;; [unrolled: 1-line block ×5, first 2 shown]
	v_cndmask_b32_e64 v81, v81, v70, s4
	v_cndmask_b32_e64 v87, v87, v84, s4
	v_cmp_eq_u32_e64 s8, 3, v79
	v_cndmask_b32_e64 v88, v69, v66, s3
	v_or_b32_e32 v77, 2, v78
	v_cndmask_b32_e64 v81, v81, v95, s7
	v_cndmask_b32_e64 v87, v87, v98, s7
	;; [unrolled: 1-line block ×4, first 2 shown]
	v_cmp_eq_u32_e64 s10, 5, v78
	v_cndmask_b32_e64 v81, v81, v71, s9
	v_cndmask_b32_e64 v87, v87, v85, s9
	v_cmp_eq_u32_e64 s11, 4, v79
	v_cndmask_b32_e64 v88, v88, v95, s8
	v_cmp_eq_u32_e64 s5, 1, v77
	v_cndmask_b32_e64 v89, v89, v84, s6
	v_cndmask_b32_e64 v81, v81, v96, s10
	v_cmp_eq_u32_e64 s12, 6, v78
	v_cndmask_b32_e64 v88, v88, v71, s11
	;; [unrolled: 3-line block ×3, first 2 shown]
	v_cndmask_b32_e64 v89, v89, v98, s8
	v_cndmask_b32_e64 v81, v81, v72, s12
	v_cmp_eq_u32_e64 s15, 7, v78
	v_cndmask_b32_e64 v88, v88, v96, s13
	v_cndmask_b32_e64 v87, v87, v86, s12
	v_cmp_eq_u32_e64 s16, 6, v79
	v_cmp_eq_u32_e64 s17, 2, v77
	v_cndmask_b32_e64 v89, v89, v85, s11
	v_cndmask_b32_e64 v101, v81, v97, s15
	;; [unrolled: 1-line block ×6, first 2 shown]
	v_cmp_eq_u32_e64 s18, 7, v79
	v_cmp_eq_u32_e64 s19, 3, v77
	;; [unrolled: 1-line block ×4, first 2 shown]
	v_cndmask_b32_e64 v87, v87, v84, s17
	v_cndmask_b32_e64 v103, v88, v97, s18
	;; [unrolled: 1-line block ×4, first 2 shown]
	v_or_b32_e32 v81, 3, v78
	v_cndmask_b32_e64 v93, v87, v98, s19
	v_cmp_eq_u32_e64 s24, 6, v77
	v_cndmask_b32_e64 v104, v88, v86, s16
	v_cndmask_b32_e64 v92, v89, v71, s20
	v_cmp_eq_u32_e64 s21, 1, v81
	ds_load_b128 v[87:90], v82 offset:1024
	v_cmp_eq_u32_e64 s23, 2, v81
	v_cmp_eq_u32_e64 s25, 3, v81
	v_cndmask_b32_e64 v105, v92, v96, s22
	v_cndmask_b32_e64 v66, v69, v66, s21
	v_cndmask_b32_e64 v69, v93, v85, s20
	v_cndmask_b32_e64 v83, v83, v91, s21
	ds_load_b128 v[91:94], v82 offset:1040
	v_cmp_eq_u32_e64 s26, 4, v81
	v_cndmask_b32_e64 v66, v66, v70, s23
	v_cmp_eq_u32_e64 s27, 7, v77
	v_cndmask_b32_e64 v70, v83, v84, s23
	v_cndmask_b32_e64 v84, v105, v72, s24
	v_cmp_eq_u32_e64 s28, 5, v81
	v_cndmask_b32_e64 v66, v66, v95, s25
	v_cmp_eq_u32_e64 s29, 6, v81
	v_cndmask_b32_e64 v70, v70, v98, s25
	v_cndmask_b32_e64 v69, v69, v99, s22
	;; [unrolled: 1-line block ×4, first 2 shown]
	s_waitcnt lgkmcnt(1)
	v_lshrrev_b32_e32 v95, 16, v87
	v_cndmask_b32_e64 v70, v70, v85, s26
	v_cndmask_b32_e64 v71, v84, v97, s27
	;; [unrolled: 1-line block ×4, first 2 shown]
	v_cndmask_b32_e32 v84, v87, v95, vcc_lo
	v_cndmask_b32_e64 v70, v70, v99, s28
	s_waitcnt lgkmcnt(0)
	v_lshrrev_b32_e32 v85, 16, v91
	v_lshrrev_b32_e32 v96, 16, v88
	v_cndmask_b32_e64 v98, v87, v95, s3
	v_cndmask_b32_e64 v84, v84, v88, s4
	;; [unrolled: 1-line block ×3, first 2 shown]
	v_cndmask_b32_e32 v99, v91, v85, vcc_lo
	v_cmp_eq_u32_e32 vcc_lo, 7, v81
	v_cndmask_b32_e64 v66, v66, v72, s29
	v_cndmask_b32_e64 v72, v84, v96, s7
	;; [unrolled: 1-line block ×3, first 2 shown]
	v_lshrrev_b32_e32 v98, 16, v92
	v_cndmask_b32_e32 v70, v70, v100, vcc_lo
	v_cndmask_b32_e64 v86, v99, v92, s4
	v_cndmask_b32_e64 v69, v69, v100, s27
	v_lshrrev_b32_e32 v100, 16, v93
	v_cndmask_b32_e64 v72, v72, v89, s9
	v_lshrrev_b32_e32 v99, 16, v89
	v_cndmask_b32_e64 v86, v86, v98, s7
	v_perm_b32 v71, v69, v71, 0x5040100
	v_cndmask_b32_e64 v84, v84, v96, s8
	s_delay_alu instid0(VALU_DEP_3) | instskip(NEXT) | instid1(VALU_DEP_2)
	v_cndmask_b32_e64 v86, v86, v93, s9
	v_cndmask_b32_e64 v84, v84, v89, s11
	s_delay_alu instid0(VALU_DEP_2) | instskip(NEXT) | instid1(VALU_DEP_1)
	v_cndmask_b32_e64 v86, v86, v100, s10
	v_cndmask_b32_e64 v69, v86, v94, s12
	;; [unrolled: 1-line block ×5, first 2 shown]
	s_delay_alu instid0(VALU_DEP_3) | instskip(NEXT) | instid1(VALU_DEP_3)
	v_cndmask_b32_e64 v86, v86, v88, s17
	v_cndmask_b32_e64 v87, v87, v88, s23
	s_delay_alu instid0(VALU_DEP_3) | instskip(NEXT) | instid1(VALU_DEP_3)
	v_cndmask_b32_e64 v88, v95, v92, s23
	v_cndmask_b32_e64 v86, v86, v96, s19
	;; [unrolled: 3-line block ×7, first 2 shown]
	s_delay_alu instid0(VALU_DEP_3) | instskip(SKIP_2) | instid1(VALU_DEP_2)
	v_cndmask_b32_e64 v88, v88, v94, s29
	v_cndmask_b32_e32 v66, v66, v97, vcc_lo
	v_cndmask_b32_e64 v97, v72, v99, s10
	v_perm_b32 v72, v70, v66, 0x5040100
	v_perm_b32 v70, v83, v103, 0x5040100
	v_cndmask_b32_e64 v103, v91, v85, s5
	v_cndmask_b32_e64 v85, v91, v85, s3
	;; [unrolled: 1-line block ×4, first 2 shown]
	v_lshrrev_b32_e32 v97, 16, v90
	v_cndmask_b32_e64 v91, v103, v92, s17
	v_cndmask_b32_e64 v85, v85, v92, s6
	;; [unrolled: 1-line block ×3, first 2 shown]
	s_mov_b32 s3, exec_lo
	v_cndmask_b32_e64 v83, v84, v97, s15
	v_cndmask_b32_e64 v91, v91, v98, s19
	;; [unrolled: 1-line block ×3, first 2 shown]
	v_lshrrev_b32_e32 v84, 16, v94
	v_cndmask_b32_e64 v66, v66, v97, s18
	v_cndmask_b32_e64 v90, v86, v97, s27
	;; [unrolled: 1-line block ×4, first 2 shown]
	v_dual_cndmask_b32 v86, v87, v97 :: v_dual_cndmask_b32 v87, v88, v84
	v_cndmask_b32_e64 v91, v69, v84, s15
	s_delay_alu instid0(VALU_DEP_4) | instskip(NEXT) | instid1(VALU_DEP_4)
	v_cndmask_b32_e64 v89, v89, v100, s22
	v_cndmask_b32_e64 v85, v85, v100, s13
	v_perm_b32 v69, v102, v101, 0x5040100
	v_perm_b32 v86, v87, v86, 0x5040100
	;; [unrolled: 1-line block ×3, first 2 shown]
	v_cndmask_b32_e64 v89, v89, v94, s24
	v_cndmask_b32_e64 v85, v85, v94, s16
	s_mul_i32 s8, s35, 7
	s_delay_alu instid0(VALU_DEP_2) | instskip(NEXT) | instid1(VALU_DEP_2)
	v_cndmask_b32_e64 v88, v89, v84, s27
	v_cndmask_b32_e64 v89, v85, v84, s18
	s_delay_alu instid0(VALU_DEP_2) | instskip(NEXT) | instid1(VALU_DEP_2)
	v_perm_b32 v85, v88, v90, 0x5040100
	v_perm_b32 v84, v89, v66, 0x5040100
	ds_store_b128 v76, v[69:72]
	ds_store_b128 v76, v[83:86] offset:1024
	v_cmpx_gt_u32_e32 7, v0
	s_cbranch_execz .LBB1876_78
; %bb.77:
	s_mul_i32 s4, s8, s30
	s_delay_alu instid0(SALU_CYCLE_1) | instskip(SKIP_1) | instid1(VALU_DEP_1)
	v_add3_u32 v69, s4, s31, v65
	s_load_b128 s[4:7], s[0:1], 0x58
	v_mad_u64_u32 v[65:66], null, v69, s34, s[14:15]
	s_delay_alu instid0(VALU_DEP_1) | instskip(NEXT) | instid1(VALU_DEP_1)
	v_ashrrev_i32_e32 v66, 31, v65
	v_lshlrev_b64 v[65:66], 2, v[65:66]
	s_waitcnt lgkmcnt(0)
	s_delay_alu instid0(VALU_DEP_1) | instskip(NEXT) | instid1(VALU_DEP_2)
	v_add_co_u32 v69, vcc_lo, s6, v65
	v_add_co_ci_u32_e32 v70, vcc_lo, s7, v66, vcc_lo
	v_add_co_u32 v65, vcc_lo, s4, v65
	v_add_co_ci_u32_e32 v66, vcc_lo, s5, v66, vcc_lo
	global_store_b32 v[69:70], v67, off
	global_store_b32 v[65:66], v68, off
.LBB1876_78:
	s_or_b32 exec_lo, exec_lo, s3
	s_waitcnt lgkmcnt(0)
	s_waitcnt_vscnt null, 0x0
	s_barrier
	buffer_gl0_inv
	ds_load_b128 v[83:86], v80
	ds_load_b128 v[87:90], v80 offset:16
	ds_load_b128 v[95:98], v80 offset:2064
	;; [unrolled: 1-line block ×3, first 2 shown]
	v_mov_b32_e32 v65, 0
	ds_load_b128 v[103:106], v80 offset:4112
	ds_load_b128 v[99:102], v80 offset:4096
	ds_load_b128 v[111:114], v80 offset:6160
	ds_load_b128 v[107:110], v80 offset:6144
	v_mov_b32_e32 v66, v65
	v_mov_b32_e32 v67, v65
	;; [unrolled: 1-line block ×7, first 2 shown]
	s_waitcnt lgkmcnt(6)
	s_delay_alu instid0(VALU_DEP_1)
	v_wmma_f32_16x16x16_bf16 v[65:72], v[41:48], v[83:90], v[65:72]
	ds_load_b128 v[45:48], v80 offset:8208
	ds_load_b128 v[41:44], v80 offset:8192
	s_waitcnt lgkmcnt(6)
	v_wmma_f32_16x16x16_bf16 v[65:72], v[33:40], v[91:98], v[65:72]
	ds_load_b128 v[37:40], v80 offset:10256
	ds_load_b128 v[33:36], v80 offset:10240
	s_waitcnt lgkmcnt(6)
	;; [unrolled: 4-line block ×4, first 2 shown]
	v_wmma_f32_16x16x16_bf16 v[65:72], v[1:8], v[41:48], v[65:72]
	s_waitcnt lgkmcnt(4)
	s_delay_alu instid0(VALU_DEP_1) | instskip(SKIP_1) | instid1(VALU_DEP_1)
	v_wmma_f32_16x16x16_bf16 v[65:72], v[9:16], v[33:40], v[65:72]
	s_waitcnt lgkmcnt(2)
	v_wmma_f32_16x16x16_bf16 v[65:72], v[57:64], v[25:32], v[65:72]
	s_waitcnt lgkmcnt(0)
	s_delay_alu instid0(VALU_DEP_1) | instskip(NEXT) | instid1(VALU_DEP_1)
	v_wmma_f32_16x16x16_bf16 v[65:72], v[49:56], v[17:24], v[65:72]
	v_and_b32_e32 v1, 0x7f800000, v65
	s_delay_alu instid0(VALU_DEP_1) | instskip(SKIP_1) | instid1(SALU_CYCLE_1)
	v_cmp_ne_u32_e32 vcc_lo, 0x7f800000, v1
                                        ; implicit-def: $vgpr1
	s_and_saveexec_b32 s3, vcc_lo
	s_xor_b32 s3, exec_lo, s3
; %bb.79:
	v_bfe_u32 v1, v65, 16, 1
	s_delay_alu instid0(VALU_DEP_1)
	v_add3_u32 v1, v65, v1, 0x7fff
; %bb.80:
	s_and_not1_saveexec_b32 s3, s3
; %bb.81:
	v_and_b32_e32 v1, 0xffff, v65
	v_or_b32_e32 v2, 0x10000, v65
	s_delay_alu instid0(VALU_DEP_2) | instskip(NEXT) | instid1(VALU_DEP_2)
	v_cmp_eq_u32_e32 vcc_lo, 0, v1
	v_cndmask_b32_e32 v1, v2, v65, vcc_lo
; %bb.82:
	s_or_b32 exec_lo, exec_lo, s3
	v_and_b32_e32 v2, 0x7f800000, v66
	s_delay_alu instid0(VALU_DEP_1) | instskip(SKIP_1) | instid1(SALU_CYCLE_1)
	v_cmp_ne_u32_e32 vcc_lo, 0x7f800000, v2
                                        ; implicit-def: $vgpr2
	s_and_saveexec_b32 s3, vcc_lo
	s_xor_b32 s3, exec_lo, s3
; %bb.83:
	v_bfe_u32 v2, v66, 16, 1
	s_delay_alu instid0(VALU_DEP_1)
	v_add3_u32 v2, v66, v2, 0x7fff
; %bb.84:
	s_and_not1_saveexec_b32 s3, s3
; %bb.85:
	v_and_b32_e32 v2, 0xffff, v66
	v_or_b32_e32 v3, 0x10000, v66
	s_delay_alu instid0(VALU_DEP_2) | instskip(NEXT) | instid1(VALU_DEP_2)
	v_cmp_eq_u32_e32 vcc_lo, 0, v2
	v_cndmask_b32_e32 v2, v3, v66, vcc_lo
; %bb.86:
	s_or_b32 exec_lo, exec_lo, s3
	v_and_b32_e32 v3, 0x7f800000, v67
	s_delay_alu instid0(VALU_DEP_1) | instskip(SKIP_1) | instid1(SALU_CYCLE_1)
	v_cmp_ne_u32_e32 vcc_lo, 0x7f800000, v3
                                        ; implicit-def: $vgpr3
	s_and_saveexec_b32 s3, vcc_lo
	s_xor_b32 s3, exec_lo, s3
; %bb.87:
	v_bfe_u32 v3, v67, 16, 1
	s_delay_alu instid0(VALU_DEP_1)
	v_add3_u32 v3, v67, v3, 0x7fff
; %bb.88:
	s_and_not1_saveexec_b32 s3, s3
; %bb.89:
	v_and_b32_e32 v3, 0xffff, v67
	v_or_b32_e32 v4, 0x10000, v67
	s_delay_alu instid0(VALU_DEP_2) | instskip(NEXT) | instid1(VALU_DEP_2)
	v_cmp_eq_u32_e32 vcc_lo, 0, v3
	v_cndmask_b32_e32 v3, v4, v67, vcc_lo
; %bb.90:
	s_or_b32 exec_lo, exec_lo, s3
	v_and_b32_e32 v4, 0x7f800000, v68
	s_delay_alu instid0(VALU_DEP_1) | instskip(SKIP_1) | instid1(SALU_CYCLE_1)
	v_cmp_ne_u32_e32 vcc_lo, 0x7f800000, v4
                                        ; implicit-def: $vgpr4
	s_and_saveexec_b32 s3, vcc_lo
	s_xor_b32 s3, exec_lo, s3
; %bb.91:
	v_bfe_u32 v4, v68, 16, 1
	s_delay_alu instid0(VALU_DEP_1)
	v_add3_u32 v4, v68, v4, 0x7fff
; %bb.92:
	s_and_not1_saveexec_b32 s3, s3
; %bb.93:
	v_and_b32_e32 v4, 0xffff, v68
	v_or_b32_e32 v5, 0x10000, v68
	s_delay_alu instid0(VALU_DEP_2) | instskip(NEXT) | instid1(VALU_DEP_2)
	v_cmp_eq_u32_e32 vcc_lo, 0, v4
	v_cndmask_b32_e32 v4, v5, v68, vcc_lo
; %bb.94:
	s_or_b32 exec_lo, exec_lo, s3
	v_and_b32_e32 v5, 0x7f800000, v69
	s_delay_alu instid0(VALU_DEP_1) | instskip(SKIP_1) | instid1(SALU_CYCLE_1)
	v_cmp_ne_u32_e32 vcc_lo, 0x7f800000, v5
                                        ; implicit-def: $vgpr5
	s_and_saveexec_b32 s3, vcc_lo
	s_xor_b32 s3, exec_lo, s3
; %bb.95:
	v_bfe_u32 v5, v69, 16, 1
	s_delay_alu instid0(VALU_DEP_1)
	v_add3_u32 v5, v69, v5, 0x7fff
; %bb.96:
	s_and_not1_saveexec_b32 s3, s3
; %bb.97:
	v_and_b32_e32 v5, 0xffff, v69
	v_or_b32_e32 v6, 0x10000, v69
	s_delay_alu instid0(VALU_DEP_2) | instskip(NEXT) | instid1(VALU_DEP_2)
	v_cmp_eq_u32_e32 vcc_lo, 0, v5
	v_cndmask_b32_e32 v5, v6, v69, vcc_lo
; %bb.98:
	s_or_b32 exec_lo, exec_lo, s3
	v_and_b32_e32 v6, 0x7f800000, v70
	s_delay_alu instid0(VALU_DEP_1) | instskip(SKIP_1) | instid1(SALU_CYCLE_1)
	v_cmp_ne_u32_e32 vcc_lo, 0x7f800000, v6
                                        ; implicit-def: $vgpr6
	s_and_saveexec_b32 s3, vcc_lo
	s_xor_b32 s3, exec_lo, s3
; %bb.99:
	v_bfe_u32 v6, v70, 16, 1
	s_delay_alu instid0(VALU_DEP_1)
	v_add3_u32 v6, v70, v6, 0x7fff
; %bb.100:
	s_and_not1_saveexec_b32 s3, s3
; %bb.101:
	v_and_b32_e32 v6, 0xffff, v70
	v_or_b32_e32 v7, 0x10000, v70
	s_delay_alu instid0(VALU_DEP_2) | instskip(NEXT) | instid1(VALU_DEP_2)
	v_cmp_eq_u32_e32 vcc_lo, 0, v6
	v_cndmask_b32_e32 v6, v7, v70, vcc_lo
; %bb.102:
	s_or_b32 exec_lo, exec_lo, s3
	v_and_b32_e32 v7, 0x7f800000, v71
	s_delay_alu instid0(VALU_DEP_1) | instskip(SKIP_1) | instid1(SALU_CYCLE_1)
	v_cmp_ne_u32_e32 vcc_lo, 0x7f800000, v7
                                        ; implicit-def: $vgpr7
	s_and_saveexec_b32 s3, vcc_lo
	s_xor_b32 s3, exec_lo, s3
; %bb.103:
	v_bfe_u32 v7, v71, 16, 1
	s_delay_alu instid0(VALU_DEP_1)
	v_add3_u32 v7, v71, v7, 0x7fff
; %bb.104:
	s_and_not1_saveexec_b32 s3, s3
; %bb.105:
	v_and_b32_e32 v7, 0xffff, v71
	v_or_b32_e32 v8, 0x10000, v71
	s_delay_alu instid0(VALU_DEP_2) | instskip(NEXT) | instid1(VALU_DEP_2)
	v_cmp_eq_u32_e32 vcc_lo, 0, v7
	v_cndmask_b32_e32 v7, v8, v71, vcc_lo
; %bb.106:
	s_or_b32 exec_lo, exec_lo, s3
	v_and_b32_e32 v8, 0x7f800000, v72
	s_delay_alu instid0(VALU_DEP_1) | instskip(SKIP_1) | instid1(SALU_CYCLE_1)
	v_cmp_ne_u32_e32 vcc_lo, 0x7f800000, v8
                                        ; implicit-def: $vgpr8
	s_and_saveexec_b32 s3, vcc_lo
	s_xor_b32 s3, exec_lo, s3
; %bb.107:
	v_bfe_u32 v8, v72, 16, 1
	s_delay_alu instid0(VALU_DEP_1)
	v_add3_u32 v8, v72, v8, 0x7fff
                                        ; implicit-def: $vgpr65_vgpr66_vgpr67_vgpr68_vgpr69_vgpr70_vgpr71_vgpr72
; %bb.108:
	s_and_not1_saveexec_b32 s3, s3
; %bb.109:
	v_and_b32_e32 v8, 0xffff, v72
	v_or_b32_e32 v9, 0x10000, v72
	s_delay_alu instid0(VALU_DEP_2) | instskip(NEXT) | instid1(VALU_DEP_2)
	v_cmp_eq_u32_e32 vcc_lo, 0, v8
	v_cndmask_b32_e32 v8, v9, v72, vcc_lo
; %bb.110:
	s_or_b32 exec_lo, exec_lo, s3
	s_delay_alu instid0(VALU_DEP_1)
	v_perm_b32 v7, v8, v7, 0x7060302
	v_perm_b32 v6, v6, v5, 0x7060302
	v_perm_b32 v5, v4, v3, 0x7060302
	v_perm_b32 v4, v2, v1, 0x7060302
	s_barrier
	buffer_gl0_inv
	v_cmp_eq_u32_e32 vcc_lo, 1, v78
	ds_store_b128 v76, v[4:7]
	s_waitcnt lgkmcnt(0)
	s_barrier
	buffer_gl0_inv
	ds_load_b128 v[1:4], v82
	ds_load_b128 v[5:8], v82 offset:16
	v_cmp_eq_u32_e64 s3, 1, v79
	v_cmp_eq_u32_e64 s4, 2, v78
	;; [unrolled: 1-line block ×5, first 2 shown]
	s_waitcnt lgkmcnt(1)
	v_lshrrev_b32_e32 v9, 16, v1
	s_waitcnt lgkmcnt(0)
	v_lshrrev_b32_e32 v13, 16, v5
	v_lshrrev_b32_e32 v10, 16, v2
	;; [unrolled: 1-line block ×4, first 2 shown]
	v_cndmask_b32_e64 v19, v1, v9, s3
	v_cndmask_b32_e32 v18, v5, v13, vcc_lo
	v_cndmask_b32_e64 v20, v5, v13, s3
	v_cndmask_b32_e32 v17, v1, v9, vcc_lo
	v_cmp_eq_u32_e32 vcc_lo, 2, v79
	v_lshrrev_b32_e32 v15, 16, v7
	v_cmp_eq_u32_e64 s3, 1, v77
	v_lshrrev_b32_e32 v12, 16, v4
	v_lshrrev_b32_e32 v16, 16, v8
	v_cndmask_b32_e32 v20, v20, v6, vcc_lo
	v_cndmask_b32_e64 v17, v17, v2, s4
	v_cndmask_b32_e32 v19, v19, v2, vcc_lo
	v_cndmask_b32_e64 v18, v18, v6, s4
	v_cmp_eq_u32_e32 vcc_lo, 4, v78
	v_cmp_eq_u32_e64 s4, 3, v79
	v_cndmask_b32_e64 v17, v17, v10, s5
	v_cndmask_b32_e64 v21, v1, v9, s3
	;; [unrolled: 1-line block ×5, first 2 shown]
	v_cndmask_b32_e32 v17, v17, v3, vcc_lo
	v_cndmask_b32_e64 v20, v20, v14, s4
	v_cndmask_b32_e32 v18, v18, v7, vcc_lo
	v_cmp_eq_u32_e32 vcc_lo, 4, v79
	v_cmp_eq_u32_e64 s4, 5, v79
	v_cmp_eq_u32_e64 s3, 2, v81
	v_cndmask_b32_e64 v21, v21, v2, s7
	v_cmp_eq_u32_e64 s5, 5, v78
	v_cndmask_b32_e32 v19, v19, v3, vcc_lo
	v_cndmask_b32_e32 v20, v20, v7, vcc_lo
	v_cmp_eq_u32_e32 vcc_lo, 6, v79
	s_delay_alu instid0(VALU_DEP_4) | instskip(NEXT) | instid1(VALU_DEP_4)
	v_cndmask_b32_e64 v17, v17, v11, s5
	v_cndmask_b32_e64 v19, v19, v11, s4
	s_delay_alu instid0(VALU_DEP_4) | instskip(SKIP_1) | instid1(VALU_DEP_3)
	v_cndmask_b32_e64 v20, v20, v15, s4
	v_cmp_eq_u32_e64 s4, 1, v81
	v_cndmask_b32_e32 v19, v19, v4, vcc_lo
	v_cndmask_b32_e64 v18, v18, v15, s5
	s_delay_alu instid0(VALU_DEP_3)
	v_cndmask_b32_e64 v1, v1, v9, s4
	v_cndmask_b32_e64 v5, v5, v13, s4
	v_cmp_eq_u32_e64 s4, 3, v77
	v_cndmask_b32_e64 v13, v22, v6, s7
	v_cmp_eq_u32_e64 s7, 3, v81
	v_cndmask_b32_e64 v1, v1, v2, s3
	v_cndmask_b32_e64 v2, v5, v6, s3
	;; [unrolled: 1-line block ×3, first 2 shown]
	v_cmp_eq_u32_e64 s3, 4, v77
	v_cndmask_b32_e64 v6, v13, v14, s4
	v_cndmask_b32_e64 v1, v1, v10, s7
	v_cmp_eq_u32_e64 s4, 4, v81
	v_cndmask_b32_e64 v2, v2, v14, s7
	v_cndmask_b32_e64 v5, v9, v3, s3
	;; [unrolled: 3-line block ×3, first 2 shown]
	v_cndmask_b32_e64 v2, v2, v7, s4
	v_cmp_eq_u32_e64 s3, 5, v81
	v_cmp_eq_u32_e64 s5, 6, v78
	v_cndmask_b32_e64 v5, v5, v11, s7
	v_cmp_eq_u32_e64 s4, 6, v77
	v_cndmask_b32_e64 v3, v6, v15, s7
	v_cndmask_b32_e64 v1, v1, v11, s3
	v_cmp_eq_u32_e64 s7, 6, v81
	v_cndmask_b32_e64 v2, v2, v15, s3
	v_cndmask_b32_e64 v17, v17, v4, s5
	v_cndmask_b32_e64 v18, v18, v8, s5
	v_cmp_eq_u32_e64 s5, 7, v78
	v_cndmask_b32_e64 v5, v5, v4, s4
	;; [unrolled: 4-line block ×3, first 2 shown]
	v_cmp_eq_u32_e64 s4, 7, v77
	v_cndmask_b32_e32 v4, v20, v8, vcc_lo
	v_cndmask_b32_e64 v17, v17, v12, s5
	v_cndmask_b32_e64 v19, v19, v12, s6
	;; [unrolled: 1-line block ×8, first 2 shown]
	s_mov_b32 s3, exec_lo
	v_perm_b32 v4, v2, v1, 0x5040100
	v_perm_b32 v3, v3, v5, 0x5040100
	;; [unrolled: 1-line block ×4, first 2 shown]
	ds_store_b128 v76, v[1:4]
	s_waitcnt lgkmcnt(0)
	s_barrier
	buffer_gl0_inv
	v_cmpx_gt_u32_e32 32, v0
	s_cbranch_execz .LBB1876_2
; %bb.111:
	s_load_b64 s[4:5], s[0:1], 0x68
	v_lshlrev_b32_e32 v0, 10, v0
	v_add_nc_u32_e32 v2, s31, v74
	v_lshlrev_b32_e32 v3, 4, v75
	s_lshl_b32 s0, s34, 7
	s_delay_alu instid0(SALU_CYCLE_1) | instskip(NEXT) | instid1(VALU_DEP_2)
	s_mul_i32 s1, s0, s30
	v_mul_lo_u32 v1, v2, s0
	s_delay_alu instid0(VALU_DEP_2)
	v_and_or_b32 v0, 0x3800, v0, v3
	v_add_nc_u32_e32 v3, 2, v2
	s_mul_i32 s6, s1, s8
	v_add_nc_u32_e32 v4, 4, v2
	s_ashr_i32 s7, s6, 31
	v_lshl_or_b32 v11, v74, 6, v0
	s_lshl_b64 s[6:7], s[6:7], 1
	v_mul_lo_u32 v15, v3, s0
	v_mul_lo_u32 v17, v4, s0
	v_ashrrev_i32_e32 v2, 31, v1
	ds_load_b128 v[3:6], v11
	ds_load_b128 v[7:10], v11 offset:128
	ds_load_b128 v[11:14], v11 offset:256
	s_waitcnt lgkmcnt(0)
	s_add_u32 s1, s4, s6
	s_addc_u32 s3, s5, s7
	s_lshl_b32 s4, s14, 7
	v_ashrrev_i32_e32 v16, 31, v15
	s_ashr_i32 s5, s4, 31
	v_lshlrev_b64 v[19:20], 1, v[1:2]
	s_lshl_b64 s[4:5], s[4:5], 1
	v_ashrrev_i32_e32 v18, 31, v17
	s_add_u32 s1, s1, s4
	s_addc_u32 s3, s3, s5
	v_add_co_u32 v1, s1, s1, v73
	s_delay_alu instid0(VALU_DEP_1) | instskip(SKIP_1) | instid1(VALU_DEP_3)
	v_add_co_ci_u32_e64 v2, null, s3, 0, s1
	v_lshlrev_b64 v[15:16], 1, v[15:16]
	v_add_co_u32 v19, vcc_lo, v1, v19
	v_lshlrev_b64 v[17:18], 1, v[17:18]
	s_delay_alu instid0(VALU_DEP_4) | instskip(NEXT) | instid1(VALU_DEP_4)
	v_add_co_ci_u32_e32 v20, vcc_lo, v2, v20, vcc_lo
	v_add_co_u32 v15, vcc_lo, v1, v15
	v_add_co_ci_u32_e32 v16, vcc_lo, v2, v16, vcc_lo
	s_delay_alu instid0(VALU_DEP_4)
	v_add_co_u32 v17, vcc_lo, v1, v17
	v_add_co_ci_u32_e32 v18, vcc_lo, v2, v18, vcc_lo
	s_clause 0x2
	global_store_b128 v[19:20], v[3:6], off
	global_store_b128 v[15:16], v[7:10], off
	;; [unrolled: 1-line block ×3, first 2 shown]
	s_and_b32 exec_lo, exec_lo, s2
	s_cbranch_execz .LBB1876_2
; %bb.112:
	ds_load_b128 v[3:6], v0 offset:384
	s_add_i32 s1, s31, 6
	s_delay_alu instid0(SALU_CYCLE_1) | instskip(NEXT) | instid1(SALU_CYCLE_1)
	s_mul_i32 s0, s1, s0
	s_ashr_i32 s1, s0, 31
	s_delay_alu instid0(SALU_CYCLE_1) | instskip(NEXT) | instid1(SALU_CYCLE_1)
	s_lshl_b64 s[0:1], s[0:1], 1
	v_add_co_u32 v0, vcc_lo, v1, s0
	v_add_co_ci_u32_e32 v1, vcc_lo, s1, v2, vcc_lo
	s_waitcnt lgkmcnt(0)
	global_store_b128 v[0:1], v[3:6], off
	s_nop 0
	s_sendmsg sendmsg(MSG_DEALLOC_VGPRS)
	s_endpgm
	.section	.rodata,"a",@progbits
	.p2align	6, 0x0
	.amdhsa_kernel _Z39paged_attention_ll4mi_QKV_mfma16_kernelI14__hip_bfloat16hLN4vllm18Fp8KVCacheDataTypeE1EhLi32ELi128ELi256ELb0ELi7EL8MFMAType0EEvPKT_PKT0_S9_ifPKiSB_SB_iPKfiiiPfSE_PS4_PT2_iSD_SD_
		.amdhsa_group_segment_fixed_size 17472
		.amdhsa_private_segment_fixed_size 0
		.amdhsa_kernarg_size 400
		.amdhsa_user_sgpr_count 13
		.amdhsa_user_sgpr_dispatch_ptr 0
		.amdhsa_user_sgpr_queue_ptr 0
		.amdhsa_user_sgpr_kernarg_segment_ptr 1
		.amdhsa_user_sgpr_dispatch_id 0
		.amdhsa_user_sgpr_private_segment_size 0
		.amdhsa_wavefront_size32 1
		.amdhsa_uses_dynamic_stack 0
		.amdhsa_enable_private_segment 0
		.amdhsa_system_sgpr_workgroup_id_x 1
		.amdhsa_system_sgpr_workgroup_id_y 1
		.amdhsa_system_sgpr_workgroup_id_z 1
		.amdhsa_system_sgpr_workgroup_info 0
		.amdhsa_system_vgpr_workitem_id 0
		.amdhsa_next_free_vgpr 140
		.amdhsa_next_free_sgpr 36
		.amdhsa_reserve_vcc 1
		.amdhsa_float_round_mode_32 0
		.amdhsa_float_round_mode_16_64 0
		.amdhsa_float_denorm_mode_32 3
		.amdhsa_float_denorm_mode_16_64 3
		.amdhsa_dx10_clamp 1
		.amdhsa_ieee_mode 1
		.amdhsa_fp16_overflow 0
		.amdhsa_workgroup_processor_mode 1
		.amdhsa_memory_ordered 1
		.amdhsa_forward_progress 0
		.amdhsa_shared_vgpr_count 0
		.amdhsa_exception_fp_ieee_invalid_op 0
		.amdhsa_exception_fp_denorm_src 0
		.amdhsa_exception_fp_ieee_div_zero 0
		.amdhsa_exception_fp_ieee_overflow 0
		.amdhsa_exception_fp_ieee_underflow 0
		.amdhsa_exception_fp_ieee_inexact 0
		.amdhsa_exception_int_div_zero 0
	.end_amdhsa_kernel
	.section	.text._Z39paged_attention_ll4mi_QKV_mfma16_kernelI14__hip_bfloat16hLN4vllm18Fp8KVCacheDataTypeE1EhLi32ELi128ELi256ELb0ELi7EL8MFMAType0EEvPKT_PKT0_S9_ifPKiSB_SB_iPKfiiiPfSE_PS4_PT2_iSD_SD_,"axG",@progbits,_Z39paged_attention_ll4mi_QKV_mfma16_kernelI14__hip_bfloat16hLN4vllm18Fp8KVCacheDataTypeE1EhLi32ELi128ELi256ELb0ELi7EL8MFMAType0EEvPKT_PKT0_S9_ifPKiSB_SB_iPKfiiiPfSE_PS4_PT2_iSD_SD_,comdat
.Lfunc_end1876:
	.size	_Z39paged_attention_ll4mi_QKV_mfma16_kernelI14__hip_bfloat16hLN4vllm18Fp8KVCacheDataTypeE1EhLi32ELi128ELi256ELb0ELi7EL8MFMAType0EEvPKT_PKT0_S9_ifPKiSB_SB_iPKfiiiPfSE_PS4_PT2_iSD_SD_, .Lfunc_end1876-_Z39paged_attention_ll4mi_QKV_mfma16_kernelI14__hip_bfloat16hLN4vllm18Fp8KVCacheDataTypeE1EhLi32ELi128ELi256ELb0ELi7EL8MFMAType0EEvPKT_PKT0_S9_ifPKiSB_SB_iPKfiiiPfSE_PS4_PT2_iSD_SD_
                                        ; -- End function
	.section	.AMDGPU.csdata,"",@progbits
; Kernel info:
; codeLenInByte = 8964
; NumSgprs: 38
; NumVgprs: 140
; ScratchSize: 0
; MemoryBound: 0
; FloatMode: 240
; IeeeMode: 1
; LDSByteSize: 17472 bytes/workgroup (compile time only)
; SGPRBlocks: 4
; VGPRBlocks: 17
; NumSGPRsForWavesPerEU: 38
; NumVGPRsForWavesPerEU: 140
; Occupancy: 10
; WaveLimiterHint : 1
; COMPUTE_PGM_RSRC2:SCRATCH_EN: 0
; COMPUTE_PGM_RSRC2:USER_SGPR: 13
; COMPUTE_PGM_RSRC2:TRAP_HANDLER: 0
; COMPUTE_PGM_RSRC2:TGID_X_EN: 1
; COMPUTE_PGM_RSRC2:TGID_Y_EN: 1
; COMPUTE_PGM_RSRC2:TGID_Z_EN: 1
; COMPUTE_PGM_RSRC2:TIDIG_COMP_CNT: 0
	.section	.text._Z39paged_attention_ll4mi_QKV_mfma16_kernelI14__hip_bfloat16hLN4vllm18Fp8KVCacheDataTypeE1EhLi32ELi128ELi256ELb0ELi8EL8MFMAType0EEvPKT_PKT0_S9_ifPKiSB_SB_iPKfiiiPfSE_PS4_PT2_iSD_SD_,"axG",@progbits,_Z39paged_attention_ll4mi_QKV_mfma16_kernelI14__hip_bfloat16hLN4vllm18Fp8KVCacheDataTypeE1EhLi32ELi128ELi256ELb0ELi8EL8MFMAType0EEvPKT_PKT0_S9_ifPKiSB_SB_iPKfiiiPfSE_PS4_PT2_iSD_SD_,comdat
	.protected	_Z39paged_attention_ll4mi_QKV_mfma16_kernelI14__hip_bfloat16hLN4vllm18Fp8KVCacheDataTypeE1EhLi32ELi128ELi256ELb0ELi8EL8MFMAType0EEvPKT_PKT0_S9_ifPKiSB_SB_iPKfiiiPfSE_PS4_PT2_iSD_SD_ ; -- Begin function _Z39paged_attention_ll4mi_QKV_mfma16_kernelI14__hip_bfloat16hLN4vllm18Fp8KVCacheDataTypeE1EhLi32ELi128ELi256ELb0ELi8EL8MFMAType0EEvPKT_PKT0_S9_ifPKiSB_SB_iPKfiiiPfSE_PS4_PT2_iSD_SD_
	.globl	_Z39paged_attention_ll4mi_QKV_mfma16_kernelI14__hip_bfloat16hLN4vllm18Fp8KVCacheDataTypeE1EhLi32ELi128ELi256ELb0ELi8EL8MFMAType0EEvPKT_PKT0_S9_ifPKiSB_SB_iPKfiiiPfSE_PS4_PT2_iSD_SD_
	.p2align	8
	.type	_Z39paged_attention_ll4mi_QKV_mfma16_kernelI14__hip_bfloat16hLN4vllm18Fp8KVCacheDataTypeE1EhLi32ELi128ELi256ELb0ELi8EL8MFMAType0EEvPKT_PKT0_S9_ifPKiSB_SB_iPKfiiiPfSE_PS4_PT2_iSD_SD_,@function
_Z39paged_attention_ll4mi_QKV_mfma16_kernelI14__hip_bfloat16hLN4vllm18Fp8KVCacheDataTypeE1EhLi32ELi128ELi256ELb0ELi8EL8MFMAType0EEvPKT_PKT0_S9_ifPKiSB_SB_iPKfiiiPfSE_PS4_PT2_iSD_SD_: ; @_Z39paged_attention_ll4mi_QKV_mfma16_kernelI14__hip_bfloat16hLN4vllm18Fp8KVCacheDataTypeE1EhLi32ELi128ELi256ELb0ELi8EL8MFMAType0EEvPKT_PKT0_S9_ifPKiSB_SB_iPKfiiiPfSE_PS4_PT2_iSD_SD_
; %bb.0:
	s_load_b64 s[4:5], s[0:1], 0x30
	s_mov_b32 s30, s13
	s_waitcnt lgkmcnt(0)
	s_cmp_lg_u64 s[4:5], 0
	s_cselect_b32 s13, -1, 0
	s_ashr_i32 s31, s30, 31
	s_cmp_eq_u64 s[4:5], 0
	s_cbranch_scc1 .LBB1877_3
; %bb.1:
	s_lshl_b64 s[2:3], s[30:31], 2
	s_delay_alu instid0(SALU_CYCLE_1) | instskip(SKIP_4) | instid1(SALU_CYCLE_1)
	s_add_u32 s2, s4, s2
	s_addc_u32 s3, s5, s3
	s_load_b64 s[2:3], s[2:3], 0x0
	s_waitcnt lgkmcnt(0)
	s_sub_i32 s2, s3, s2
	s_cmp_eq_u32 s2, 1
	s_cselect_b32 s2, -1, 0
	s_delay_alu instid0(SALU_CYCLE_1)
	s_and_not1_b32 vcc_lo, exec_lo, s2
	s_cbranch_vccz .LBB1877_4
.LBB1877_2:
	s_endpgm
.LBB1877_3:
.LBB1877_4:
	s_load_b64 s[2:3], s[0:1], 0x28
	s_lshl_b64 s[6:7], s[30:31], 2
	s_waitcnt lgkmcnt(0)
	s_add_u32 s2, s2, s6
	s_addc_u32 s3, s3, s7
	s_lshl_b32 s12, s14, 8
	s_load_b32 s17, s[2:3], 0x0
	s_waitcnt lgkmcnt(0)
	s_cmp_ge_i32 s12, s17
	s_cbranch_scc1 .LBB1877_2
; %bb.5:
	s_clause 0x1
	s_load_b128 s[8:11], s[0:1], 0x8
	s_load_b64 s[2:3], s[0:1], 0x20
	s_and_not1_b32 vcc_lo, exec_lo, s13
	s_cbranch_vccnz .LBB1877_7
; %bb.6:
	s_add_u32 s4, s4, s6
	s_addc_u32 s5, s5, s7
	s_load_b32 s13, s[4:5], 0x0
	s_branch .LBB1877_8
.LBB1877_7:
	s_mov_b32 s13, s30
.LBB1877_8:
	s_load_b128 s[4:7], s[0:1], 0x48
	v_and_b32_e32 v66, 15, v0
	v_lshrrev_b32_e32 v65, 5, v0
	v_and_b32_e32 v67, 31, v0
	v_and_b32_e32 v75, 1, v0
	v_bfe_u32 v74, v0, 4, 1
	v_lshlrev_b32_e32 v1, 3, v66
	s_lshl_b32 s29, s15, 3
	s_waitcnt lgkmcnt(0)
	s_mov_b32 s7, exec_lo
	s_delay_alu instid0(VALU_DEP_1)
	v_lshlrev_b32_e32 v73, 1, v1
	v_cmpx_gt_u32_e32 0x80, v0
	s_cbranch_execz .LBB1877_10
; %bb.9:
	v_lshl_or_b32 v5, v65, 1, v74
	s_load_b64 s[18:19], s[0:1], 0x0
	s_mul_hi_i32 s21, s13, s4
	s_mul_i32 s20, s13, s4
	v_lshlrev_b32_e32 v6, 10, v66
	v_or_b32_e32 v1, s29, v5
	s_lshl_b64 s[20:21], s[20:21], 1
	v_lshlrev_b32_e32 v5, 6, v5
	v_lshlrev_b32_e32 v7, 10, v75
	v_and_b32_e32 v6, 0x3800, v6
	v_lshlrev_b32_e32 v1, 7, v1
	s_delay_alu instid0(VALU_DEP_2) | instskip(NEXT) | instid1(VALU_DEP_2)
	v_or3_b32 v5, v6, v7, v5
	v_ashrrev_i32_e32 v2, 31, v1
	s_delay_alu instid0(VALU_DEP_1) | instskip(SKIP_3) | instid1(VALU_DEP_1)
	v_lshlrev_b64 v[1:2], 1, v[1:2]
	s_waitcnt lgkmcnt(0)
	s_add_u32 s4, s18, s20
	s_addc_u32 s13, s19, s21
	v_add_co_u32 v1, vcc_lo, s4, v1
	s_delay_alu instid0(VALU_DEP_2) | instskip(NEXT) | instid1(VALU_DEP_2)
	v_add_co_ci_u32_e32 v2, vcc_lo, s13, v2, vcc_lo
	v_add_co_u32 v1, vcc_lo, v1, v73
	s_delay_alu instid0(VALU_DEP_2)
	v_add_co_ci_u32_e32 v2, vcc_lo, 0, v2, vcc_lo
	global_load_b128 v[1:4], v[1:2], off
	s_waitcnt vmcnt(0)
	ds_store_b128 v5, v[1:4]
.LBB1877_10:
	s_or_b32 exec_lo, exec_lo, s7
	v_and_b32_e32 v1, 0xef, v0
	s_add_i32 s4, s17, 31
	s_clause 0x1
	s_load_b32 s7, s[0:1], 0x38
	s_load_b32 s18, s[0:1], 0x1c
	s_ashr_i32 s13, s4, 31
	v_add_nc_u32_e32 v1, s12, v1
	s_lshr_b32 s13, s13, 27
	s_waitcnt lgkmcnt(0)
	s_add_i32 s4, s4, s13
	s_barrier
	v_ashrrev_i32_e32 v2, 31, v1
	v_or_b32_e32 v3, 16, v1
	s_ashr_i32 s4, s4, 5
	v_cmp_gt_i32_e32 vcc_lo, s17, v1
	s_add_i32 s4, s4, -1
	v_lshrrev_b32_e32 v2, 27, v2
	buffer_gl0_inv
	s_mul_i32 s15, s15, s6
	v_add_nc_u32_e32 v4, v1, v2
	s_mul_i32 s20, s30, s7
	s_delay_alu instid0(SALU_CYCLE_1) | instskip(NEXT) | instid1(VALU_DEP_1)
	s_ashr_i32 s21, s20, 31
	v_ashrrev_i32_e32 v4, 5, v4
	v_add_nc_u32_e32 v2, v3, v2
	s_lshl_b64 s[20:21], s[20:21], 2
	s_delay_alu instid0(SALU_CYCLE_1) | instskip(NEXT) | instid1(VALU_DEP_2)
	s_add_u32 s13, s2, s20
	v_cndmask_b32_e32 v1, s4, v4, vcc_lo
	s_delay_alu instid0(VALU_DEP_2)
	v_ashrrev_i32_e32 v2, 5, v2
	v_cmp_gt_i32_e32 vcc_lo, s17, v3
	s_addc_u32 s16, s3, s21
	s_ashr_i32 s19, s15, 31
	s_add_u32 s2, s8, s15
	s_addc_u32 s3, s9, s19
	v_cndmask_b32_e32 v3, s4, v2, vcc_lo
	v_ashrrev_i32_e32 v2, 31, v1
	s_lshl_b32 s6, s14, 3
	s_delay_alu instid0(SALU_CYCLE_1) | instskip(NEXT) | instid1(VALU_DEP_2)
	s_ashr_i32 s7, s6, 31
	v_ashrrev_i32_e32 v4, 31, v3
	s_delay_alu instid0(VALU_DEP_2) | instskip(SKIP_1) | instid1(SALU_CYCLE_1)
	v_lshlrev_b64 v[1:2], 2, v[1:2]
	s_lshl_b64 s[6:7], s[6:7], 2
	s_add_u32 s6, s13, s6
	s_delay_alu instid0(VALU_DEP_2) | instskip(SKIP_1) | instid1(VALU_DEP_2)
	v_lshlrev_b64 v[3:4], 2, v[3:4]
	s_addc_u32 s7, s16, s7
	v_add_co_u32 v1, vcc_lo, s13, v1
	v_add_co_ci_u32_e32 v2, vcc_lo, s16, v2, vcc_lo
	s_delay_alu instid0(VALU_DEP_3) | instskip(NEXT) | instid1(VALU_DEP_4)
	v_add_co_u32 v3, vcc_lo, s13, v3
	v_add_co_ci_u32_e32 v4, vcc_lo, s16, v4, vcc_lo
	s_clause 0x1
	global_load_b32 v5, v[1:2], off
	global_load_b32 v6, v[3:4], off
	s_or_b32 s8, s12, 32
	s_delay_alu instid0(SALU_CYCLE_1) | instskip(SKIP_2) | instid1(SALU_CYCLE_1)
	s_ashr_i32 s9, s8, 5
	s_cmp_lt_i32 s8, s17
	s_cselect_b32 s8, s9, s4
	s_ashr_i32 s9, s8, 31
	s_delay_alu instid0(SALU_CYCLE_1) | instskip(NEXT) | instid1(SALU_CYCLE_1)
	s_lshl_b64 s[8:9], s[8:9], 2
	s_add_u32 s8, s13, s8
	s_addc_u32 s9, s16, s9
	s_or_b32 s20, s12, 64
	s_delay_alu instid0(SALU_CYCLE_1) | instskip(SKIP_2) | instid1(SALU_CYCLE_1)
	s_ashr_i32 s21, s20, 5
	s_cmp_lt_i32 s20, s17
	s_cselect_b32 s20, s21, s4
	s_ashr_i32 s21, s20, 31
	s_delay_alu instid0(SALU_CYCLE_1) | instskip(NEXT) | instid1(SALU_CYCLE_1)
	s_lshl_b64 s[20:21], s[20:21], 2
	s_add_u32 s20, s13, s20
	s_addc_u32 s21, s16, s21
	s_or_b32 s22, s12, 0x60
	s_delay_alu instid0(SALU_CYCLE_1) | instskip(SKIP_2) | instid1(SALU_CYCLE_1)
	s_ashr_i32 s23, s22, 5
	s_cmp_lt_i32 s22, s17
	s_cselect_b32 s22, s23, s4
	s_ashr_i32 s23, s22, 31
	s_delay_alu instid0(SALU_CYCLE_1) | instskip(NEXT) | instid1(SALU_CYCLE_1)
	s_lshl_b64 s[22:23], s[22:23], 2
	s_add_u32 s22, s13, s22
	s_addc_u32 s23, s16, s23
	s_or_b32 s24, s12, 0x80
	s_delay_alu instid0(SALU_CYCLE_1) | instskip(SKIP_2) | instid1(SALU_CYCLE_1)
	s_ashr_i32 s25, s24, 5
	s_cmp_lt_i32 s24, s17
	s_cselect_b32 s24, s25, s4
	s_ashr_i32 s25, s24, 31
	s_delay_alu instid0(SALU_CYCLE_1) | instskip(NEXT) | instid1(SALU_CYCLE_1)
	s_lshl_b64 s[24:25], s[24:25], 2
	s_add_u32 s24, s13, s24
	s_addc_u32 s25, s16, s25
	s_or_b32 s26, s12, 0xa0
	s_delay_alu instid0(SALU_CYCLE_1) | instskip(SKIP_2) | instid1(SALU_CYCLE_1)
	s_ashr_i32 s27, s26, 5
	s_cmp_lt_i32 s26, s17
	s_cselect_b32 s26, s27, s4
	s_ashr_i32 s27, s26, 31
	s_delay_alu instid0(SALU_CYCLE_1) | instskip(NEXT) | instid1(SALU_CYCLE_1)
	s_lshl_b64 s[26:27], s[26:27], 2
	s_add_u32 s26, s13, s26
	s_addc_u32 s27, s16, s27
	s_clause 0x5
	s_load_b32 s28, s[6:7], 0x0
	s_load_b32 s8, s[8:9], 0x0
	;; [unrolled: 1-line block ×6, first 2 shown]
	s_mov_b32 s20, 0
	s_delay_alu instid0(SALU_CYCLE_1)
	s_mov_b32 s21, s20
	s_mov_b32 s22, s20
	;; [unrolled: 1-line block ×7, first 2 shown]
	s_delay_alu instid0(SALU_CYCLE_1)
	v_dual_mov_b32 v107, s27 :: v_dual_mov_b32 v106, s26
	v_dual_mov_b32 v104, s24 :: v_dual_mov_b32 v103, s23
	;; [unrolled: 1-line block ×4, first 2 shown]
	s_waitcnt vmcnt(1)
	v_mad_i64_i32 v[1:2], null, v5, s5, s[2:3]
	v_lshlrev_b32_e32 v5, 4, v66
	s_waitcnt vmcnt(0)
	v_mad_i64_i32 v[3:4], null, v6, s5, s[2:3]
	s_or_b32 s2, s12, 0xc0
	s_delay_alu instid0(SALU_CYCLE_1) | instskip(NEXT) | instid1(VALU_DEP_3)
	s_ashr_i32 s3, s2, 5
	v_add_co_u32 v33, vcc_lo, v1, v5
	s_delay_alu instid0(VALU_DEP_4) | instskip(NEXT) | instid1(VALU_DEP_3)
	v_add_co_ci_u32_e32 v34, vcc_lo, 0, v2, vcc_lo
	v_add_co_u32 v35, vcc_lo, v3, v5
	s_delay_alu instid0(VALU_DEP_4)
	v_add_co_ci_u32_e32 v36, vcc_lo, 0, v4, vcc_lo
	s_clause 0xf
	global_load_b128 v[1:4], v[33:34], off
	global_load_b128 v[5:8], v[33:34], off offset:512
	global_load_b128 v[9:12], v[35:36], off offset:256
	;; [unrolled: 1-line block ×15, first 2 shown]
	s_cmp_lt_i32 s2, s17
	v_and_b32_e32 v33, 7, v0
	s_cselect_b32 s2, s3, s4
	v_lshlrev_b32_e32 v34, 5, v66
	s_ashr_i32 s3, s2, 31
	s_delay_alu instid0(SALU_CYCLE_1)
	s_lshl_b64 s[2:3], s[2:3], 2
	v_lshlrev_b32_e32 v72, 6, v33
	s_add_u32 s2, s13, s2
	s_addc_u32 s3, s16, s3
	s_or_b32 s6, s12, 0xe0
	v_lshl_or_b32 v41, v65, 9, v34
	s_ashr_i32 s7, s6, 5
	s_cmp_lt_i32 s6, s17
	ds_load_b128 v[33:36], v72
	ds_load_b128 v[37:40], v72 offset:1024
	s_cselect_b32 s6, s7, s4
	ds_load_b128 v[108:111], v72 offset:2048
	ds_load_b128 v[112:115], v72 offset:3072
	s_ashr_i32 s7, s6, 31
	s_load_b32 s4, s[2:3], 0x0
	s_lshl_b64 s[6:7], s[6:7], 2
	ds_load_b128 v[116:119], v72 offset:4096
	ds_load_b128 v[120:123], v72 offset:5120
	s_add_u32 s2, s13, s6
	s_addc_u32 s3, s16, s7
	s_add_u32 s6, s10, s15
	s_load_b32 s2, s[2:3], 0x0
	s_addc_u32 s7, s11, s19
	v_add_co_u32 v68, s6, s6, v41
	s_delay_alu instid0(VALU_DEP_1) | instskip(SKIP_1) | instid1(VALU_DEP_1)
	v_add_co_ci_u32_e64 v69, null, s7, 0, s6
	s_waitcnt lgkmcnt(0)
	v_mad_i64_i32 v[41:42], null, s28, s5, v[68:69]
	v_mad_i64_i32 v[70:71], null, s9, s5, v[68:69]
	v_mad_i64_i32 v[45:46], null, s8, s5, v[68:69]
	v_mad_i64_i32 v[132:133], null, s31, s5, v[68:69]
	v_mad_i64_i32 v[134:135], null, s33, s5, v[68:69]
	v_mad_i64_i32 v[136:137], null, s34, s5, v[68:69]
	v_mad_i64_i32 v[138:139], null, s4, s5, v[68:69]
	s_clause 0x3
	global_load_b128 v[49:52], v[41:42], off
	global_load_b128 v[53:56], v[41:42], off offset:16
	global_load_b128 v[41:44], v[45:46], off
	global_load_b128 v[45:48], v[45:46], off offset:16
	s_waitcnt vmcnt(18)
	v_wmma_f32_16x16x16_bf16 v[124:131], v[1:8], v[33:40], v[100:107]
	s_waitcnt vmcnt(16)
	v_wmma_f32_16x16x16_bf16 v[100:107], v[9:16], v[33:40], v[100:107]
	s_clause 0x1
	global_load_b128 v[33:36], v[70:71], off
	global_load_b128 v[37:40], v[70:71], off offset:16
	v_mad_i64_i32 v[70:71], null, s2, s5, v[68:69]
	s_waitcnt vmcnt(16)
	v_wmma_f32_16x16x16_bf16 v[124:131], v[17:24], v[108:115], v[124:131]
	s_waitcnt vmcnt(14)
	v_wmma_f32_16x16x16_bf16 v[100:107], v[25:32], v[108:115], v[100:107]
	s_clause 0x7
	global_load_b128 v[25:28], v[132:133], off
	global_load_b128 v[29:32], v[132:133], off offset:16
	global_load_b128 v[1:4], v[134:135], off
	global_load_b128 v[5:8], v[134:135], off offset:16
	;; [unrolled: 2-line block ×4, first 2 shown]
	s_waitcnt vmcnt(20)
	v_wmma_f32_16x16x16_bf16 v[124:131], v[57:64], v[116:123], v[124:131]
	s_clause 0x1
	global_load_b128 v[57:60], v[70:71], off
	global_load_b128 v[61:64], v[70:71], off offset:16
	s_waitcnt vmcnt(20)
	v_wmma_f32_16x16x16_bf16 v[100:107], v[76:83], v[116:123], v[100:107]
	ds_load_b128 v[76:79], v72 offset:6144
	ds_load_b128 v[80:83], v72 offset:7168
	v_and_b32_e32 v68, 0xe0, v0
	v_mbcnt_lo_u32_b32 v69, -1, 0
	s_waitcnt vmcnt(0) lgkmcnt(0)
	s_barrier
	buffer_gl0_inv
	v_add_nc_u32_e32 v68, s12, v68
	v_xor_b32_e32 v70, 16, v69
	s_delay_alu instid0(VALU_DEP_2) | instskip(NEXT) | instid1(VALU_DEP_2)
	v_or_b32_e32 v68, v68, v74
	v_cmp_gt_i32_e32 vcc_lo, 32, v70
	s_delay_alu instid0(VALU_DEP_2)
	v_or_b32_e32 v71, 4, v68
	v_or_b32_e32 v72, 6, v68
	v_cmp_gt_i32_e64 s2, s17, v68
	v_or_b32_e32 v108, 8, v68
	v_wmma_f32_16x16x16_bf16 v[124:131], v[84:91], v[76:83], v[124:131]
	v_cndmask_b32_e32 v69, v69, v70, vcc_lo
	v_or_b32_e32 v70, 2, v68
	v_wmma_f32_16x16x16_bf16 v[100:107], v[92:99], v[76:83], v[100:107]
	v_or_b32_e32 v109, 10, v68
	v_dual_mul_f32 v78, s18, v131 :: v_dual_mul_f32 v83, s18, v126
	v_dual_mul_f32 v92, s18, v125 :: v_dual_mul_f32 v93, s18, v124
	s_delay_alu instid0(VALU_DEP_4) | instskip(SKIP_2) | instid1(VALU_DEP_4)
	v_mul_f32_e32 v94, s18, v107
	v_cmp_gt_i32_e32 vcc_lo, s17, v70
	v_dual_mul_f32 v81, s18, v128 :: v_dual_mul_f32 v82, s18, v127
	v_cndmask_b32_e64 v93, 0xff7fffff, v93, s2
	v_cmp_gt_i32_e64 s3, s17, v71
	v_cndmask_b32_e32 v92, 0xff7fffff, v92, vcc_lo
	v_cmp_gt_i32_e64 s4, s17, v72
	v_or_b32_e32 v84, 12, v68
	v_or_b32_e32 v85, 14, v68
	v_dual_mul_f32 v79, s18, v130 :: v_dual_mul_f32 v80, s18, v129
	v_cndmask_b32_e64 v71, 0xff7fffff, v83, s3
	v_cndmask_b32_e64 v72, 0xff7fffff, v82, s4
	v_max3_f32 v82, v93, 0xff7fffff, v92
	v_cmp_gt_i32_e64 s5, s17, v108
	v_cmp_gt_i32_e64 s6, s17, v109
	v_or_b32_e32 v86, 16, v68
	v_or_b32_e32 v87, 18, v68
	v_max3_f32 v71, v82, v71, v72
	v_cndmask_b32_e64 v81, 0xff7fffff, v81, s5
	v_cndmask_b32_e64 v80, 0xff7fffff, v80, s6
	v_cmp_gt_i32_e64 s7, s17, v84
	v_cmp_gt_i32_e64 s8, s17, v85
	v_or_b32_e32 v88, 20, v68
	v_or_b32_e32 v89, 22, v68
	;; [unrolled: 1-line block ×6, first 2 shown]
	v_dual_mul_f32 v99, s18, v102 :: v_dual_mul_f32 v70, s18, v101
	v_mul_f32_e32 v68, s18, v100
	v_cndmask_b32_e64 v72, 0xff7fffff, v79, s7
	v_cndmask_b32_e64 v78, 0xff7fffff, v78, s8
	v_max3_f32 v71, v71, v81, v80
	v_cmp_gt_i32_e64 s9, s17, v86
	v_cmp_gt_i32_e64 s10, s17, v87
	v_dual_mul_f32 v97, s18, v104 :: v_dual_mul_f32 v98, s18, v103
	s_delay_alu instid0(VALU_DEP_4) | instskip(SKIP_1) | instid1(VALU_DEP_4)
	v_max3_f32 v71, v71, v72, v78
	v_cmp_gt_i32_e64 s11, s17, v88
	v_cndmask_b32_e64 v70, 0xff7fffff, v70, s10
	v_cmp_gt_i32_e64 s12, s17, v89
	v_lshlrev_b32_e32 v89, 2, v69
	v_cndmask_b32_e64 v68, 0xff7fffff, v68, s9
	v_dual_mul_f32 v95, s18, v106 :: v_dual_mul_f32 v96, s18, v105
	v_cndmask_b32_e64 v72, 0xff7fffff, v99, s11
	v_cndmask_b32_e64 v78, 0xff7fffff, v98, s12
	s_delay_alu instid0(VALU_DEP_4)
	v_max3_f32 v68, v71, v68, v70
	v_cmp_gt_i32_e64 s13, s17, v90
	v_cmp_gt_i32_e64 s15, s17, v91
	;; [unrolled: 1-line block ×4, first 2 shown]
	v_max3_f32 v68, v68, v72, v78
	v_cndmask_b32_e64 v70, 0xff7fffff, v97, s13
	v_cndmask_b32_e64 v71, 0xff7fffff, v96, s15
	;; [unrolled: 1-line block ×4, first 2 shown]
	s_delay_alu instid0(VALU_DEP_3) | instskip(NEXT) | instid1(VALU_DEP_1)
	v_max3_f32 v68, v68, v70, v71
	v_max3_f32 v68, v68, v72, v76
	ds_bpermute_b32 v69, v89, v68
	s_waitcnt lgkmcnt(0)
	v_max_f32_e32 v69, v69, v69
	s_delay_alu instid0(VALU_DEP_1) | instskip(NEXT) | instid1(VALU_DEP_1)
	v_max_f32_e32 v68, v68, v69
	v_fma_f32 v71, s18, v126, -v68
	s_delay_alu instid0(VALU_DEP_1)
	v_mul_f32_e32 v71, 0x3fb8aa3b, v71
	v_fma_f32 v69, s18, v124, -v68
	v_fma_f32 v70, s18, v125, -v68
	;; [unrolled: 1-line block ×4, first 2 shown]
	v_exp_f32_e32 v71, v71
	s_delay_alu instid0(VALU_DEP_3) | instskip(SKIP_2) | instid1(VALU_DEP_3)
	v_dual_mul_f32 v69, 0x3fb8aa3b, v69 :: v_dual_mul_f32 v70, 0x3fb8aa3b, v70
	v_fma_f32 v78, s18, v130, -v68
	v_fma_f32 v81, s18, v105, -v68
	v_exp_f32_e32 v69, v69
	s_delay_alu instid0(VALU_DEP_3) | instskip(SKIP_1) | instid1(VALU_DEP_2)
	v_exp_f32_e32 v70, v70
	v_mul_f32_e32 v77, 0x3fb8aa3b, v76
	v_mul_f32_e32 v81, 0x3fb8aa3b, v81
	s_delay_alu instid0(TRANS32_DEP_3) | instskip(SKIP_1) | instid1(VALU_DEP_3)
	v_cndmask_b32_e64 v83, 0, v71, s3
	v_fma_f32 v71, s18, v131, -v68
	v_exp_f32_e32 v81, v81
	s_delay_alu instid0(TRANS32_DEP_3) | instskip(NEXT) | instid1(TRANS32_DEP_2)
	v_cndmask_b32_e64 v80, 0, v69, s2
	v_cndmask_b32_e32 v76, 0, v70, vcc_lo
	v_fma_f32 v69, s18, v129, -v68
	v_mul_f32_e32 v72, 0x3fb8aa3b, v72
	v_exp_f32_e32 v77, v77
	v_dual_add_f32 v70, 0, v80 :: v_dual_mul_f32 v71, 0x3fb8aa3b, v71
	s_delay_alu instid0(VALU_DEP_3) | instskip(NEXT) | instid1(VALU_DEP_3)
	v_mul_f32_e32 v69, 0x3fb8aa3b, v69
	v_exp_f32_e32 v72, v72
	s_mov_b32 s2, exec_lo
	s_delay_alu instid0(VALU_DEP_2) | instskip(NEXT) | instid1(VALU_DEP_1)
	v_exp_f32_e32 v71, v71
	v_exp_f32_e32 v69, v69
	v_cndmask_b32_e64 v86, 0, v77, s5
	v_fma_f32 v77, s18, v101, -v68
	v_add_f32_e32 v70, v70, v76
	s_delay_alu instid0(TRANS32_DEP_3) | instskip(SKIP_1) | instid1(VALU_DEP_3)
	v_cndmask_b32_e64 v85, 0, v72, s4
	v_fma_f32 v72, s18, v100, -v68
	v_dual_mul_f32 v77, 0x3fb8aa3b, v77 :: v_dual_add_f32 v70, v70, v83
	s_delay_alu instid0(TRANS32_DEP_2) | instskip(SKIP_1) | instid1(TRANS32_DEP_1)
	v_cndmask_b32_e64 v88, 0, v71, s8
	v_fma_f32 v71, s18, v104, -v68
	v_cndmask_b32_e64 v87, 0, v69, s6
	s_delay_alu instid0(VALU_DEP_4) | instskip(NEXT) | instid1(VALU_DEP_2)
	v_exp_f32_e32 v77, v77
	v_dual_add_f32 v70, v70, v85 :: v_dual_mul_f32 v71, 0x3fb8aa3b, v71
	s_delay_alu instid0(VALU_DEP_1) | instskip(SKIP_2) | instid1(VALU_DEP_3)
	v_dual_mul_f32 v72, 0x3fb8aa3b, v72 :: v_dual_add_f32 v69, v70, v86
	v_mul_f32_e32 v78, 0x3fb8aa3b, v78
	v_fma_f32 v70, s18, v102, -v68
	v_exp_f32_e32 v72, v72
	v_exp_f32_e32 v82, v71
	v_add_f32_e32 v69, v69, v87
	v_exp_f32_e32 v78, v78
	v_mul_f32_e32 v70, 0x3fb8aa3b, v70
	s_delay_alu instid0(VALU_DEP_1) | instskip(SKIP_4) | instid1(VALU_DEP_2)
	v_exp_f32_e32 v79, v70
	v_cndmask_b32_e64 v70, 0, v72, s9
	s_waitcnt_depctr 0xfff
	v_cndmask_b32_e64 v84, 0, v78, s7
	v_fma_f32 v78, s18, v103, -v68
	v_add_f32_e32 v69, v69, v84
	v_cndmask_b32_e64 v71, 0, v79, s11
	s_delay_alu instid0(VALU_DEP_2) | instskip(SKIP_2) | instid1(VALU_DEP_1)
	v_add_f32_e32 v72, v69, v88
	v_cndmask_b32_e64 v69, 0, v77, s10
	v_fma_f32 v77, s18, v106, -v68
	v_dual_mul_f32 v77, 0x3fb8aa3b, v77 :: v_dual_add_f32 v72, v72, v70
	v_mul_f32_e32 v78, 0x3fb8aa3b, v78
	s_delay_alu instid0(VALU_DEP_2) | instskip(NEXT) | instid1(VALU_DEP_2)
	v_exp_f32_e32 v90, v77
	v_add_f32_e32 v79, v72, v69
	s_delay_alu instid0(VALU_DEP_2)
	v_exp_f32_e32 v78, v78
	v_cndmask_b32_e64 v77, 0, v82, s13
	s_waitcnt_depctr 0xfff
	v_cndmask_b32_e64 v72, 0, v78, s12
	v_add_f32_e32 v78, v79, v71
	v_fma_f32 v79, s18, v107, -v68
	s_delay_alu instid0(VALU_DEP_1) | instskip(SKIP_1) | instid1(VALU_DEP_2)
	v_dual_add_f32 v82, v78, v72 :: v_dual_mul_f32 v79, 0x3fb8aa3b, v79
	v_cndmask_b32_e64 v78, 0, v81, s15
	v_add_f32_e32 v81, v82, v77
	s_delay_alu instid0(VALU_DEP_3) | instskip(SKIP_1) | instid1(VALU_DEP_2)
	v_exp_f32_e32 v82, v79
	v_cndmask_b32_e64 v79, 0, v90, s16
	v_add_f32_e32 v81, v81, v78
	s_delay_alu instid0(VALU_DEP_1) | instskip(SKIP_2) | instid1(VALU_DEP_1)
	v_add_f32_e32 v90, v81, v79
	s_waitcnt_depctr 0xfff
	v_cndmask_b32_e64 v81, 0, v82, s17
	v_add_f32_e32 v82, v90, v81
	ds_bpermute_b32 v89, v89, v82
	v_cmpx_gt_u32_e32 16, v67
	s_cbranch_execz .LBB1877_12
; %bb.11:
	v_mul_u32_u24_e32 v67, 0x44, v65
	s_delay_alu instid0(VALU_DEP_1) | instskip(SKIP_1) | instid1(VALU_DEP_1)
	v_lshl_add_u32 v67, v66, 2, v67
	s_waitcnt lgkmcnt(0)
	v_dual_add_f32 v82, v82, v89 :: v_dual_add_nc_u32 v67, 0x4000, v67
	ds_store_2addr_b32 v67, v68, v82 offset1:136
.LBB1877_12:
	s_or_b32 exec_lo, exec_lo, s2
	v_lshlrev_b32_e32 v67, 2, v66
	s_waitcnt lgkmcnt(0)
	s_barrier
	buffer_gl0_inv
	v_cmp_eq_u32_e32 vcc_lo, 1, v65
	v_add_nc_u32_e32 v82, 0x4000, v67
	v_cmp_eq_u32_e64 s2, 2, v65
	v_cmp_eq_u32_e64 s4, 7, v65
	ds_load_2addr_b32 v[89:90], v82 offset1:17
	ds_load_2addr_b32 v[91:92], v82 offset0:34 offset1:51
	ds_load_2addr_b32 v[93:94], v82 offset0:68 offset1:85
	;; [unrolled: 1-line block ×4, first 2 shown]
	s_waitcnt lgkmcnt(4)
	v_max3_f32 v67, v89, 0xff7fffff, v90
	s_waitcnt lgkmcnt(3)
	s_delay_alu instid0(VALU_DEP_1) | instskip(SKIP_1) | instid1(VALU_DEP_1)
	v_max3_f32 v67, v67, v91, v92
	s_waitcnt lgkmcnt(2)
	v_max3_f32 v67, v67, v93, v94
	s_waitcnt lgkmcnt(1)
	s_delay_alu instid0(VALU_DEP_1) | instskip(NEXT) | instid1(VALU_DEP_1)
	v_max3_f32 v67, v67, v95, v96
	v_sub_f32_e32 v93, v93, v67
	s_delay_alu instid0(VALU_DEP_1) | instskip(NEXT) | instid1(VALU_DEP_1)
	v_dual_sub_f32 v68, v89, v67 :: v_dual_mul_f32 v103, 0x3fb8aa3b, v93
	v_mul_f32_e32 v68, 0x3fb8aa3b, v68
	s_delay_alu instid0(VALU_DEP_1)
	v_exp_f32_e32 v100, v68
	v_sub_f32_e32 v68, v92, v67
	v_sub_f32_e32 v99, v90, v67
	ds_load_2addr_b32 v[89:90], v82 offset0:170 offset1:187
	v_dual_mul_f32 v102, 0x3fb8aa3b, v68 :: v_dual_mul_f32 v99, 0x3fb8aa3b, v99
	s_waitcnt lgkmcnt(1)
	v_fma_f32 v68, v100, v97, 0
	s_delay_alu instid0(VALU_DEP_2) | instskip(NEXT) | instid1(VALU_DEP_2)
	v_exp_f32_e32 v102, v102
	v_exp_f32_e32 v99, v99
	s_waitcnt_depctr 0xfff
	v_fmac_f32_e32 v68, v99, v98
	v_sub_f32_e32 v91, v91, v67
	s_delay_alu instid0(VALU_DEP_1)
	v_mul_f32_e32 v101, 0x3fb8aa3b, v91
	ds_load_2addr_b32 v[91:92], v82 offset0:204 offset1:221
	v_sub_f32_e32 v97, v94, v67
	ds_load_2addr_b32 v[93:94], v82 offset0:238 offset1:255
	s_waitcnt lgkmcnt(0)
	v_exp_f32_e32 v101, v101
	s_barrier
	buffer_gl0_inv
	v_dual_fmac_f32 v68, v101, v89 :: v_dual_sub_f32 v89, v96, v67
	v_dual_sub_f32 v82, v95, v67 :: v_dual_mul_f32 v95, 0x3fb8aa3b, v97
	v_exp_f32_e32 v97, v103
	s_delay_alu instid0(VALU_DEP_2) | instskip(NEXT) | instid1(VALU_DEP_2)
	v_dual_fmac_f32 v68, v102, v90 :: v_dual_mul_f32 v89, 0x3fb8aa3b, v89
	v_mul_f32_e32 v82, 0x3fb8aa3b, v82
	s_delay_alu instid0(VALU_DEP_3) | instskip(NEXT) | instid1(VALU_DEP_2)
	v_exp_f32_e32 v95, v95
	v_exp_f32_e32 v89, v89
	s_delay_alu instid0(VALU_DEP_1)
	v_exp_f32_e32 v82, v82
	v_fmac_f32_e32 v68, v97, v91
	s_delay_alu instid0(TRANS32_DEP_3) | instid1(VALU_DEP_1)
	v_fmac_f32_e32 v68, v95, v92
	s_waitcnt_depctr 0xfff
	v_fmac_f32_e32 v68, v82, v93
	s_delay_alu instid0(VALU_DEP_1) | instskip(NEXT) | instid1(VALU_DEP_1)
	v_fmac_f32_e32 v68, v89, v94
	v_add_f32_e32 v90, 0x358637bd, v68
	s_delay_alu instid0(VALU_DEP_1) | instskip(NEXT) | instid1(VALU_DEP_1)
	v_div_scale_f32 v91, null, v90, v90, 1.0
	v_rcp_f32_e32 v92, v91
	s_waitcnt_depctr 0xfff
	v_fma_f32 v93, -v91, v92, 1.0
	s_delay_alu instid0(VALU_DEP_1) | instskip(SKIP_1) | instid1(VALU_DEP_2)
	v_dual_fmac_f32 v92, v93, v92 :: v_dual_cndmask_b32 v93, v100, v99
	v_cmp_eq_u32_e32 vcc_lo, 3, v65
	v_cndmask_b32_e64 v93, v93, v101, s2
	v_cmp_eq_u32_e64 s2, 4, v65
	s_delay_alu instid0(VALU_DEP_2) | instskip(SKIP_1) | instid1(VALU_DEP_2)
	v_cndmask_b32_e32 v93, v93, v102, vcc_lo
	v_cmp_eq_u32_e32 vcc_lo, 5, v65
	v_cndmask_b32_e64 v93, v93, v97, s2
	v_cmp_eq_u32_e64 s2, 6, v65
	s_delay_alu instid0(VALU_DEP_2) | instskip(SKIP_1) | instid1(VALU_DEP_1)
	v_cndmask_b32_e32 v93, v93, v95, vcc_lo
	v_div_scale_f32 v94, s3, 1.0, v90, 1.0
	s_mov_b32 vcc_lo, s3
	s_delay_alu instid0(VALU_DEP_2) | instskip(NEXT) | instid1(VALU_DEP_2)
	v_cndmask_b32_e64 v82, v93, v82, s2
	v_mul_f32_e32 v96, v94, v92
	s_mov_b32 s2, exec_lo
	s_delay_alu instid0(VALU_DEP_2) | instskip(NEXT) | instid1(VALU_DEP_2)
	v_cndmask_b32_e64 v82, v82, v89, s4
	v_fma_f32 v98, -v91, v96, v94
	s_delay_alu instid0(VALU_DEP_1) | instskip(NEXT) | instid1(VALU_DEP_1)
	v_fmac_f32_e32 v96, v98, v92
	v_fma_f32 v91, -v91, v96, v94
	s_delay_alu instid0(VALU_DEP_1) | instskip(NEXT) | instid1(VALU_DEP_1)
	v_div_fmas_f32 v91, v91, v92, v96
	v_div_fixup_f32 v90, v91, v90, 1.0
	s_delay_alu instid0(VALU_DEP_1) | instskip(NEXT) | instid1(VALU_DEP_1)
	v_mul_f32_e32 v82, v82, v90
	v_mul_f32_e32 v87, v82, v87
	v_mul_f32_e32 v90, v82, v80
	v_mul_f32_e32 v80, v82, v88
	v_mul_f32_e32 v84, v82, v84
	v_mul_f32_e32 v88, v82, v86
	v_mul_f32_e32 v89, v82, v85
	v_dual_mul_f32 v86, v82, v83 :: v_dual_and_b32 v91, 0x7f800000, v90
	v_mul_f32_e32 v85, v82, v76
                                        ; implicit-def: $vgpr76
	s_delay_alu instid0(VALU_DEP_2)
	v_cmpx_ne_u32_e32 0x7f800000, v91
	s_xor_b32 s2, exec_lo, s2
; %bb.13:
	v_bfe_u32 v76, v90, 16, 1
	s_delay_alu instid0(VALU_DEP_1)
	v_add3_u32 v76, v90, v76, 0x7fff
                                        ; implicit-def: $vgpr90
; %bb.14:
	s_and_not1_saveexec_b32 s2, s2
; %bb.15:
	v_and_b32_e32 v76, 0xffff, v90
	v_or_b32_e32 v83, 0x10000, v90
	s_delay_alu instid0(VALU_DEP_2) | instskip(NEXT) | instid1(VALU_DEP_2)
	v_cmp_eq_u32_e32 vcc_lo, 0, v76
	v_cndmask_b32_e32 v76, v83, v90, vcc_lo
; %bb.16:
	s_or_b32 exec_lo, exec_lo, s2
	v_and_b32_e32 v83, 0x7f800000, v85
	s_delay_alu instid0(VALU_DEP_1) | instskip(SKIP_1) | instid1(SALU_CYCLE_1)
	v_cmp_ne_u32_e32 vcc_lo, 0x7f800000, v83
                                        ; implicit-def: $vgpr83
	s_and_saveexec_b32 s2, vcc_lo
	s_xor_b32 s2, exec_lo, s2
; %bb.17:
	v_bfe_u32 v83, v85, 16, 1
	s_delay_alu instid0(VALU_DEP_1)
	v_add3_u32 v83, v85, v83, 0x7fff
                                        ; implicit-def: $vgpr85
; %bb.18:
	s_and_not1_saveexec_b32 s2, s2
; %bb.19:
	v_and_b32_e32 v83, 0xffff, v85
	v_or_b32_e32 v90, 0x10000, v85
	s_delay_alu instid0(VALU_DEP_2) | instskip(NEXT) | instid1(VALU_DEP_2)
	v_cmp_eq_u32_e32 vcc_lo, 0, v83
	v_cndmask_b32_e32 v83, v90, v85, vcc_lo
; %bb.20:
	s_or_b32 exec_lo, exec_lo, s2
	v_and_b32_e32 v85, 0x7f800000, v86
	s_delay_alu instid0(VALU_DEP_1) | instskip(SKIP_1) | instid1(SALU_CYCLE_1)
	v_cmp_ne_u32_e32 vcc_lo, 0x7f800000, v85
                                        ; implicit-def: $vgpr85
	s_and_saveexec_b32 s2, vcc_lo
	s_xor_b32 s2, exec_lo, s2
; %bb.21:
	v_bfe_u32 v85, v86, 16, 1
	s_delay_alu instid0(VALU_DEP_1)
	v_add3_u32 v85, v86, v85, 0x7fff
                                        ; implicit-def: $vgpr86
; %bb.22:
	s_and_not1_saveexec_b32 s2, s2
; %bb.23:
	v_and_b32_e32 v85, 0xffff, v86
	v_or_b32_e32 v90, 0x10000, v86
	s_delay_alu instid0(VALU_DEP_2) | instskip(NEXT) | instid1(VALU_DEP_2)
	v_cmp_eq_u32_e32 vcc_lo, 0, v85
	v_cndmask_b32_e32 v85, v90, v86, vcc_lo
; %bb.24:
	s_or_b32 exec_lo, exec_lo, s2
	v_and_b32_e32 v86, 0x7f800000, v89
	s_delay_alu instid0(VALU_DEP_1) | instskip(SKIP_1) | instid1(SALU_CYCLE_1)
	v_cmp_ne_u32_e32 vcc_lo, 0x7f800000, v86
                                        ; implicit-def: $vgpr86
	s_and_saveexec_b32 s2, vcc_lo
	s_xor_b32 s2, exec_lo, s2
; %bb.25:
	v_bfe_u32 v86, v89, 16, 1
	s_delay_alu instid0(VALU_DEP_1)
	v_add3_u32 v86, v89, v86, 0x7fff
                                        ; implicit-def: $vgpr89
; %bb.26:
	s_and_not1_saveexec_b32 s2, s2
; %bb.27:
	v_and_b32_e32 v86, 0xffff, v89
	v_or_b32_e32 v90, 0x10000, v89
	s_delay_alu instid0(VALU_DEP_2) | instskip(NEXT) | instid1(VALU_DEP_2)
	v_cmp_eq_u32_e32 vcc_lo, 0, v86
	v_cndmask_b32_e32 v86, v90, v89, vcc_lo
; %bb.28:
	s_or_b32 exec_lo, exec_lo, s2
	v_and_b32_e32 v89, 0x7f800000, v88
	s_delay_alu instid0(VALU_DEP_1) | instskip(SKIP_1) | instid1(SALU_CYCLE_1)
	v_cmp_ne_u32_e32 vcc_lo, 0x7f800000, v89
                                        ; implicit-def: $vgpr89
	s_and_saveexec_b32 s2, vcc_lo
	s_xor_b32 s2, exec_lo, s2
; %bb.29:
	v_bfe_u32 v89, v88, 16, 1
	s_delay_alu instid0(VALU_DEP_1)
	v_add3_u32 v89, v88, v89, 0x7fff
                                        ; implicit-def: $vgpr88
; %bb.30:
	s_and_not1_saveexec_b32 s2, s2
; %bb.31:
	v_and_b32_e32 v89, 0xffff, v88
	v_or_b32_e32 v90, 0x10000, v88
	s_delay_alu instid0(VALU_DEP_2) | instskip(NEXT) | instid1(VALU_DEP_2)
	v_cmp_eq_u32_e32 vcc_lo, 0, v89
	v_cndmask_b32_e32 v89, v90, v88, vcc_lo
; %bb.32:
	s_or_b32 exec_lo, exec_lo, s2
	v_and_b32_e32 v88, 0x7f800000, v87
	s_delay_alu instid0(VALU_DEP_1) | instskip(SKIP_1) | instid1(SALU_CYCLE_1)
	v_cmp_ne_u32_e32 vcc_lo, 0x7f800000, v88
                                        ; implicit-def: $vgpr88
	s_and_saveexec_b32 s2, vcc_lo
	s_xor_b32 s2, exec_lo, s2
; %bb.33:
	v_bfe_u32 v88, v87, 16, 1
	s_delay_alu instid0(VALU_DEP_1)
	v_add3_u32 v88, v87, v88, 0x7fff
                                        ; implicit-def: $vgpr87
; %bb.34:
	s_and_not1_saveexec_b32 s2, s2
; %bb.35:
	v_and_b32_e32 v88, 0xffff, v87
	v_or_b32_e32 v90, 0x10000, v87
	s_delay_alu instid0(VALU_DEP_2) | instskip(NEXT) | instid1(VALU_DEP_2)
	v_cmp_eq_u32_e32 vcc_lo, 0, v88
	v_cndmask_b32_e32 v88, v90, v87, vcc_lo
; %bb.36:
	s_or_b32 exec_lo, exec_lo, s2
	v_and_b32_e32 v87, 0x7f800000, v84
	s_delay_alu instid0(VALU_DEP_1) | instskip(SKIP_1) | instid1(SALU_CYCLE_1)
	v_cmp_ne_u32_e32 vcc_lo, 0x7f800000, v87
                                        ; implicit-def: $vgpr87
	s_and_saveexec_b32 s2, vcc_lo
	s_xor_b32 s2, exec_lo, s2
; %bb.37:
	v_bfe_u32 v87, v84, 16, 1
	s_delay_alu instid0(VALU_DEP_1)
	v_add3_u32 v87, v84, v87, 0x7fff
                                        ; implicit-def: $vgpr84
; %bb.38:
	s_and_not1_saveexec_b32 s2, s2
; %bb.39:
	v_and_b32_e32 v87, 0xffff, v84
	v_or_b32_e32 v90, 0x10000, v84
	s_delay_alu instid0(VALU_DEP_2) | instskip(NEXT) | instid1(VALU_DEP_2)
	v_cmp_eq_u32_e32 vcc_lo, 0, v87
	v_cndmask_b32_e32 v87, v90, v84, vcc_lo
; %bb.40:
	s_or_b32 exec_lo, exec_lo, s2
	v_and_b32_e32 v84, 0x7f800000, v80
	s_delay_alu instid0(VALU_DEP_1) | instskip(SKIP_1) | instid1(SALU_CYCLE_1)
	v_cmp_ne_u32_e32 vcc_lo, 0x7f800000, v84
                                        ; implicit-def: $vgpr84
	s_and_saveexec_b32 s2, vcc_lo
	s_xor_b32 s2, exec_lo, s2
; %bb.41:
	v_bfe_u32 v84, v80, 16, 1
	s_delay_alu instid0(VALU_DEP_1)
	v_add3_u32 v84, v80, v84, 0x7fff
                                        ; implicit-def: $vgpr80
; %bb.42:
	s_and_not1_saveexec_b32 s2, s2
; %bb.43:
	v_and_b32_e32 v84, 0xffff, v80
	v_or_b32_e32 v90, 0x10000, v80
	s_delay_alu instid0(VALU_DEP_2) | instskip(NEXT) | instid1(VALU_DEP_2)
	v_cmp_eq_u32_e32 vcc_lo, 0, v84
	v_cndmask_b32_e32 v84, v90, v80, vcc_lo
; %bb.44:
	s_or_b32 exec_lo, exec_lo, s2
	s_load_b64 s[34:35], s[0:1], 0x94
	v_lshlrev_b32_e32 v91, 4, v74
	s_delay_alu instid0(VALU_DEP_2)
	v_perm_b32 v90, v84, v87, 0x7060302
	v_dual_mul_f32 v77, v82, v77 :: v_dual_lshlrev_b32 v80, 6, v66
	v_lshlrev_b32_e32 v66, 11, v65
	v_perm_b32 v87, v83, v76, 0x7060302
	v_mul_f32_e32 v83, v82, v70
	v_perm_b32 v89, v88, v89, 0x7060302
	v_perm_b32 v88, v86, v85, 0x7060302
	v_or3_b32 v76, v91, v66, v80
	v_mul_f32_e32 v66, v82, v81
	v_mul_f32_e32 v70, v82, v79
	;; [unrolled: 1-line block ×3, first 2 shown]
	v_dual_mul_f32 v81, v82, v72 :: v_dual_and_b32 v84, 0x7f800000, v83
	v_mul_f32_e32 v79, v82, v71
	v_mul_f32_e32 v72, v82, v69
	s_mov_b32 s2, exec_lo
	ds_store_b128 v76, v[87:90]
                                        ; implicit-def: $vgpr69
	v_cmpx_ne_u32_e32 0x7f800000, v84
	s_xor_b32 s2, exec_lo, s2
; %bb.45:
	v_bfe_u32 v69, v83, 16, 1
	s_delay_alu instid0(VALU_DEP_1)
	v_add3_u32 v69, v83, v69, 0x7fff
                                        ; implicit-def: $vgpr83
; %bb.46:
	s_and_not1_saveexec_b32 s2, s2
; %bb.47:
	v_and_b32_e32 v69, 0xffff, v83
	v_or_b32_e32 v71, 0x10000, v83
	s_delay_alu instid0(VALU_DEP_2) | instskip(NEXT) | instid1(VALU_DEP_2)
	v_cmp_eq_u32_e32 vcc_lo, 0, v69
	v_cndmask_b32_e32 v69, v71, v83, vcc_lo
; %bb.48:
	s_or_b32 exec_lo, exec_lo, s2
	v_and_b32_e32 v71, 0x7f800000, v72
	s_delay_alu instid0(VALU_DEP_1) | instskip(SKIP_1) | instid1(SALU_CYCLE_1)
	v_cmp_ne_u32_e32 vcc_lo, 0x7f800000, v71
                                        ; implicit-def: $vgpr71
	s_and_saveexec_b32 s2, vcc_lo
	s_xor_b32 s2, exec_lo, s2
; %bb.49:
	v_bfe_u32 v71, v72, 16, 1
	s_delay_alu instid0(VALU_DEP_1)
	v_add3_u32 v71, v72, v71, 0x7fff
                                        ; implicit-def: $vgpr72
; %bb.50:
	s_and_not1_saveexec_b32 s2, s2
; %bb.51:
	v_and_b32_e32 v71, 0xffff, v72
	v_or_b32_e32 v82, 0x10000, v72
	s_delay_alu instid0(VALU_DEP_2) | instskip(NEXT) | instid1(VALU_DEP_2)
	v_cmp_eq_u32_e32 vcc_lo, 0, v71
	v_cndmask_b32_e32 v71, v82, v72, vcc_lo
; %bb.52:
	s_or_b32 exec_lo, exec_lo, s2
	v_and_b32_e32 v72, 0x7f800000, v79
	s_delay_alu instid0(VALU_DEP_1) | instskip(SKIP_1) | instid1(SALU_CYCLE_1)
	v_cmp_ne_u32_e32 vcc_lo, 0x7f800000, v72
                                        ; implicit-def: $vgpr72
	s_and_saveexec_b32 s2, vcc_lo
	s_xor_b32 s2, exec_lo, s2
; %bb.53:
	v_bfe_u32 v72, v79, 16, 1
	s_delay_alu instid0(VALU_DEP_1)
	v_add3_u32 v72, v79, v72, 0x7fff
                                        ; implicit-def: $vgpr79
; %bb.54:
	s_and_not1_saveexec_b32 s2, s2
; %bb.55:
	v_and_b32_e32 v72, 0xffff, v79
	v_or_b32_e32 v82, 0x10000, v79
	s_delay_alu instid0(VALU_DEP_2) | instskip(NEXT) | instid1(VALU_DEP_2)
	v_cmp_eq_u32_e32 vcc_lo, 0, v72
	v_cndmask_b32_e32 v72, v82, v79, vcc_lo
; %bb.56:
	s_or_b32 exec_lo, exec_lo, s2
	v_and_b32_e32 v79, 0x7f800000, v81
	s_delay_alu instid0(VALU_DEP_1) | instskip(SKIP_1) | instid1(SALU_CYCLE_1)
	v_cmp_ne_u32_e32 vcc_lo, 0x7f800000, v79
                                        ; implicit-def: $vgpr79
	s_and_saveexec_b32 s2, vcc_lo
	s_xor_b32 s2, exec_lo, s2
; %bb.57:
	v_bfe_u32 v79, v81, 16, 1
	s_delay_alu instid0(VALU_DEP_1)
	v_add3_u32 v79, v81, v79, 0x7fff
                                        ; implicit-def: $vgpr81
; %bb.58:
	s_and_not1_saveexec_b32 s2, s2
; %bb.59:
	v_and_b32_e32 v79, 0xffff, v81
	v_or_b32_e32 v82, 0x10000, v81
	s_delay_alu instid0(VALU_DEP_2) | instskip(NEXT) | instid1(VALU_DEP_2)
	v_cmp_eq_u32_e32 vcc_lo, 0, v79
	v_cndmask_b32_e32 v79, v82, v81, vcc_lo
; %bb.60:
	s_or_b32 exec_lo, exec_lo, s2
	v_and_b32_e32 v81, 0x7f800000, v77
	s_delay_alu instid0(VALU_DEP_1) | instskip(SKIP_1) | instid1(SALU_CYCLE_1)
	v_cmp_ne_u32_e32 vcc_lo, 0x7f800000, v81
                                        ; implicit-def: $vgpr81
	s_and_saveexec_b32 s2, vcc_lo
	s_xor_b32 s2, exec_lo, s2
; %bb.61:
	v_bfe_u32 v81, v77, 16, 1
	s_delay_alu instid0(VALU_DEP_1)
	v_add3_u32 v81, v77, v81, 0x7fff
                                        ; implicit-def: $vgpr77
; %bb.62:
	s_and_not1_saveexec_b32 s2, s2
; %bb.63:
	v_and_b32_e32 v81, 0xffff, v77
	v_or_b32_e32 v82, 0x10000, v77
	s_delay_alu instid0(VALU_DEP_2) | instskip(NEXT) | instid1(VALU_DEP_2)
	v_cmp_eq_u32_e32 vcc_lo, 0, v81
	v_cndmask_b32_e32 v81, v82, v77, vcc_lo
; %bb.64:
	s_or_b32 exec_lo, exec_lo, s2
	v_and_b32_e32 v77, 0x7f800000, v78
	s_delay_alu instid0(VALU_DEP_1) | instskip(SKIP_1) | instid1(SALU_CYCLE_1)
	v_cmp_ne_u32_e32 vcc_lo, 0x7f800000, v77
                                        ; implicit-def: $vgpr77
	s_and_saveexec_b32 s2, vcc_lo
	s_xor_b32 s2, exec_lo, s2
; %bb.65:
	v_bfe_u32 v77, v78, 16, 1
	s_delay_alu instid0(VALU_DEP_1)
	v_add3_u32 v77, v78, v77, 0x7fff
                                        ; implicit-def: $vgpr78
; %bb.66:
	s_and_not1_saveexec_b32 s2, s2
; %bb.67:
	v_and_b32_e32 v77, 0xffff, v78
	v_or_b32_e32 v82, 0x10000, v78
	s_delay_alu instid0(VALU_DEP_2) | instskip(NEXT) | instid1(VALU_DEP_2)
	v_cmp_eq_u32_e32 vcc_lo, 0, v77
	v_cndmask_b32_e32 v77, v82, v78, vcc_lo
; %bb.68:
	s_or_b32 exec_lo, exec_lo, s2
	v_and_b32_e32 v78, 0x7f800000, v70
	s_delay_alu instid0(VALU_DEP_1) | instskip(SKIP_1) | instid1(SALU_CYCLE_1)
	v_cmp_ne_u32_e32 vcc_lo, 0x7f800000, v78
                                        ; implicit-def: $vgpr78
	s_and_saveexec_b32 s2, vcc_lo
	s_xor_b32 s2, exec_lo, s2
; %bb.69:
	v_bfe_u32 v78, v70, 16, 1
	s_delay_alu instid0(VALU_DEP_1)
	v_add3_u32 v78, v70, v78, 0x7fff
                                        ; implicit-def: $vgpr70
; %bb.70:
	s_and_not1_saveexec_b32 s2, s2
; %bb.71:
	v_and_b32_e32 v78, 0xffff, v70
	v_or_b32_e32 v82, 0x10000, v70
	s_delay_alu instid0(VALU_DEP_2) | instskip(NEXT) | instid1(VALU_DEP_2)
	v_cmp_eq_u32_e32 vcc_lo, 0, v78
	v_cndmask_b32_e32 v78, v82, v70, vcc_lo
; %bb.72:
	s_or_b32 exec_lo, exec_lo, s2
	v_and_b32_e32 v70, 0x7f800000, v66
	s_delay_alu instid0(VALU_DEP_1) | instskip(SKIP_1) | instid1(SALU_CYCLE_1)
	v_cmp_ne_u32_e32 vcc_lo, 0x7f800000, v70
                                        ; implicit-def: $vgpr70
	s_and_saveexec_b32 s2, vcc_lo
	s_xor_b32 s2, exec_lo, s2
; %bb.73:
	v_bfe_u32 v70, v66, 16, 1
	s_delay_alu instid0(VALU_DEP_1)
	v_add3_u32 v70, v66, v70, 0x7fff
                                        ; implicit-def: $vgpr66
; %bb.74:
	s_and_not1_saveexec_b32 s2, s2
; %bb.75:
	v_and_b32_e32 v70, 0xffff, v66
	v_or_b32_e32 v82, 0x10000, v66
	s_delay_alu instid0(VALU_DEP_2) | instskip(NEXT) | instid1(VALU_DEP_2)
	v_cmp_eq_u32_e32 vcc_lo, 0, v70
	v_cndmask_b32_e32 v70, v82, v66, vcc_lo
; %bb.76:
	s_or_b32 exec_lo, exec_lo, s2
	s_delay_alu instid0(VALU_DEP_1)
	v_perm_b32 v86, v70, v78, 0x7060302
	v_perm_b32 v85, v77, v81, 0x7060302
	;; [unrolled: 1-line block ×4, first 2 shown]
	v_lshl_or_b32 v82, v65, 11, v80
	ds_store_b128 v76, v[83:86] offset:1024
	s_waitcnt lgkmcnt(0)
	s_barrier
	buffer_gl0_inv
	ds_load_b128 v[69:72], v82
	ds_load_b128 v[83:86], v82 offset:16
	s_waitcnt lgkmcnt(1)
	v_lshrrev_b32_e32 v65, 16, v69
	v_lshlrev_b32_e32 v78, 2, v74
	s_waitcnt lgkmcnt(0)
	v_lshrrev_b32_e32 v91, 16, v83
	v_lshrrev_b32_e32 v66, 16, v70
	;; [unrolled: 1-line block ×4, first 2 shown]
	v_cmp_eq_u32_e32 vcc_lo, 1, v78
	v_lshrrev_b32_e32 v98, 16, v85
	v_lshrrev_b32_e32 v96, 16, v72
	;; [unrolled: 1-line block ×3, first 2 shown]
	v_cndmask_b32_e32 v81, v69, v65, vcc_lo
	v_or_b32_e32 v79, 1, v78
	v_cmp_eq_u32_e64 s3, 2, v78
	v_cndmask_b32_e32 v87, v83, v91, vcc_lo
	v_cmp_eq_u32_e64 s6, 3, v78
	v_cmp_eq_u32_e64 s8, 4, v78
	;; [unrolled: 1-line block ×3, first 2 shown]
	v_cndmask_b32_e64 v81, v81, v70, s3
	v_cmp_eq_u32_e64 s5, 2, v79
	v_cndmask_b32_e64 v87, v87, v84, s3
	v_cmp_eq_u32_e64 s7, 3, v79
	v_cndmask_b32_e64 v88, v69, v65, s2
	v_cndmask_b32_e64 v81, v81, v66, s6
	v_or_b32_e32 v77, 2, v78
	v_cndmask_b32_e64 v87, v87, v97, s6
	v_cndmask_b32_e64 v89, v83, v91, s2
	;; [unrolled: 1-line block ×4, first 2 shown]
	v_cmp_eq_u32_e64 s9, 5, v78
	v_cndmask_b32_e64 v87, v87, v85, s8
	v_cmp_eq_u32_e64 s10, 4, v79
	v_cndmask_b32_e64 v88, v88, v66, s7
	;; [unrolled: 2-line block ×3, first 2 shown]
	v_cndmask_b32_e64 v81, v81, v95, s9
	v_cmp_eq_u32_e64 s11, 6, v78
	v_cndmask_b32_e64 v88, v88, v71, s10
	v_cndmask_b32_e64 v87, v87, v98, s9
	v_cmp_eq_u32_e64 s12, 5, v79
	v_cndmask_b32_e64 v90, v69, v65, s4
	v_cndmask_b32_e64 v89, v89, v97, s7
	;; [unrolled: 1-line block ×3, first 2 shown]
	v_cmp_eq_u32_e64 s13, 7, v78
	v_cndmask_b32_e64 v88, v88, v95, s12
	v_cndmask_b32_e64 v87, v87, v86, s11
	v_cmp_eq_u32_e64 s15, 6, v79
	v_cmp_eq_u32_e64 s16, 2, v77
	v_cndmask_b32_e64 v89, v89, v85, s10
	v_cndmask_b32_e64 v100, v81, v96, s13
	;; [unrolled: 1-line block ×6, first 2 shown]
	v_cmp_eq_u32_e64 s17, 7, v79
	v_cmp_eq_u32_e64 s18, 3, v77
	;; [unrolled: 1-line block ×4, first 2 shown]
	v_cndmask_b32_e64 v87, v87, v84, s16
	v_cndmask_b32_e64 v102, v88, v96, s17
	;; [unrolled: 1-line block ×4, first 2 shown]
	v_or_b32_e32 v81, 3, v78
	v_cndmask_b32_e64 v93, v87, v97, s18
	v_cmp_eq_u32_e64 s23, 6, v77
	v_cndmask_b32_e64 v103, v88, v86, s15
	v_cndmask_b32_e64 v92, v89, v71, s19
	v_cmp_eq_u32_e64 s20, 1, v81
	ds_load_b128 v[87:90], v82 offset:1024
	v_cmp_eq_u32_e64 s22, 2, v81
	v_cmp_eq_u32_e64 s24, 3, v81
	v_cndmask_b32_e64 v104, v92, v95, s21
	v_cndmask_b32_e64 v65, v69, v65, s20
	;; [unrolled: 1-line block ×4, first 2 shown]
	ds_load_b128 v[91:94], v82 offset:1040
	v_cmp_eq_u32_e64 s25, 4, v81
	v_cndmask_b32_e64 v65, v65, v70, s22
	v_cmp_eq_u32_e64 s27, 5, v81
	v_cndmask_b32_e64 v70, v83, v84, s22
	;; [unrolled: 2-line block ×3, first 2 shown]
	v_cndmask_b32_e64 v65, v65, v66, s24
	v_cndmask_b32_e64 v66, v104, v72, s23
	;; [unrolled: 1-line block ×3, first 2 shown]
	v_cmp_eq_u32_e64 s26, 7, v77
	v_cndmask_b32_e64 v69, v69, v86, s23
	v_cndmask_b32_e64 v65, v65, v71, s25
	s_waitcnt lgkmcnt(1)
	v_lshrrev_b32_e32 v84, 16, v87
	v_cndmask_b32_e64 v70, v70, v85, s25
	v_cndmask_b32_e64 v83, v103, v99, s17
	;; [unrolled: 1-line block ×4, first 2 shown]
	v_lshrrev_b32_e32 v95, 16, v88
	v_cndmask_b32_e64 v70, v70, v98, s27
	s_waitcnt lgkmcnt(0)
	v_lshrrev_b32_e32 v85, 16, v91
	v_cndmask_b32_e64 v97, v87, v84, s2
	v_cndmask_b32_e64 v65, v65, v72, s28
	;; [unrolled: 1-line block ×4, first 2 shown]
	v_cndmask_b32_e32 v71, v87, v84, vcc_lo
	v_cndmask_b32_e32 v98, v91, v85, vcc_lo
	v_cmp_eq_u32_e32 vcc_lo, 7, v81
	v_cndmask_b32_e64 v72, v97, v88, s5
	v_lshrrev_b32_e32 v97, 16, v92
	v_lshrrev_b32_e32 v103, 16, v90
	v_dual_cndmask_b32 v65, v65, v96 :: v_dual_cndmask_b32 v70, v70, v99
	v_cndmask_b32_e64 v71, v71, v88, s3
	v_cndmask_b32_e64 v86, v98, v92, s3
	;; [unrolled: 1-line block ×3, first 2 shown]
	v_lshrrev_b32_e32 v98, 16, v89
	v_lshrrev_b32_e32 v99, 16, v93
	v_cndmask_b32_e64 v71, v71, v95, s6
	v_cndmask_b32_e64 v86, v86, v97, s6
	;; [unrolled: 1-line block ×3, first 2 shown]
	v_perm_b32 v72, v70, v65, 0x5040100
	v_perm_b32 v70, v83, v102, 0x5040100
	v_cndmask_b32_e64 v71, v71, v89, s8
	v_cndmask_b32_e64 v86, v86, v93, s8
	;; [unrolled: 1-line block ×3, first 2 shown]
	v_lshrrev_b32_e32 v83, 16, v94
	s_delay_alu instid0(VALU_DEP_4) | instskip(NEXT) | instid1(VALU_DEP_4)
	v_cndmask_b32_e64 v71, v71, v98, s9
	v_cndmask_b32_e64 v86, v86, v99, s9
	s_delay_alu instid0(VALU_DEP_4) | instskip(NEXT) | instid1(VALU_DEP_3)
	v_cndmask_b32_e64 v65, v65, v90, s15
	v_cndmask_b32_e64 v96, v71, v90, s11
	v_perm_b32 v71, v69, v66, 0x5040100
	s_delay_alu instid0(VALU_DEP_4)
	v_cndmask_b32_e64 v69, v86, v94, s11
	v_cndmask_b32_e64 v86, v87, v84, s4
	v_cndmask_b32_e64 v84, v87, v84, s20
	v_cndmask_b32_e64 v66, v96, v103, s13
	v_cndmask_b32_e64 v87, v91, v85, s20
	v_cndmask_b32_e64 v96, v91, v85, s4
	v_cndmask_b32_e64 v85, v91, v85, s2
	v_cndmask_b32_e64 v86, v86, v88, s16
	v_cndmask_b32_e64 v84, v84, v88, s22
	v_cndmask_b32_e64 v87, v87, v92, s22
	v_cndmask_b32_e64 v88, v96, v92, s16
	v_cndmask_b32_e64 v85, v85, v92, s5
	v_cndmask_b32_e64 v86, v86, v95, s18
	v_cndmask_b32_e64 v84, v84, v95, s24
	v_cndmask_b32_e64 v87, v87, v97, s24
	v_cndmask_b32_e64 v88, v88, v97, s18
	v_cndmask_b32_e64 v85, v85, v97, s7
	v_cndmask_b32_e64 v86, v86, v89, s19
	v_cndmask_b32_e64 v84, v84, v89, s25
	v_cndmask_b32_e64 v87, v87, v93, s25
	v_cndmask_b32_e64 v88, v88, v93, s19
	v_cndmask_b32_e64 v85, v85, v93, s10
	v_cndmask_b32_e64 v86, v86, v98, s21
	v_cndmask_b32_e64 v84, v84, v98, s27
	v_cndmask_b32_e64 v87, v87, v99, s27
	v_cndmask_b32_e64 v88, v88, v99, s21
	v_cndmask_b32_e64 v85, v85, v99, s12
	v_cndmask_b32_e64 v86, v86, v90, s23
	v_cndmask_b32_e64 v84, v84, v90, s28
	v_cndmask_b32_e64 v87, v87, v94, s28
	v_cndmask_b32_e64 v88, v88, v94, s23
	v_cndmask_b32_e64 v85, v85, v94, s15
	v_cndmask_b32_e64 v65, v65, v103, s17
	v_cndmask_b32_e64 v89, v86, v103, s26
	v_cndmask_b32_e32 v84, v84, v103, vcc_lo
	v_cndmask_b32_e32 v86, v87, v83, vcc_lo
	v_cndmask_b32_e64 v87, v88, v83, s26
	v_cndmask_b32_e64 v88, v85, v83, s17
	;; [unrolled: 1-line block ×3, first 2 shown]
	v_perm_b32 v69, v101, v100, 0x5040100
	v_perm_b32 v86, v86, v84, 0x5040100
	;; [unrolled: 1-line block ×5, first 2 shown]
	s_lshl_b32 s7, s35, 3
	s_mov_b32 s2, exec_lo
	ds_store_b128 v76, v[69:72]
	ds_store_b128 v76, v[83:86] offset:1024
	v_cmpx_gt_u32_e32 8, v0
	s_cbranch_execz .LBB1877_78
; %bb.77:
	v_or_b32_e32 v65, s29, v0
	s_load_b128 s[8:11], s[0:1], 0x58
	s_delay_alu instid0(VALU_DEP_1) | instskip(NEXT) | instid1(VALU_DEP_1)
	v_mad_u64_u32 v[69:70], null, s7, s30, v[65:66]
	v_mad_u64_u32 v[65:66], null, v69, s34, s[14:15]
	s_delay_alu instid0(VALU_DEP_1) | instskip(NEXT) | instid1(VALU_DEP_1)
	v_ashrrev_i32_e32 v66, 31, v65
	v_lshlrev_b64 v[65:66], 2, v[65:66]
	s_waitcnt lgkmcnt(0)
	s_delay_alu instid0(VALU_DEP_1) | instskip(NEXT) | instid1(VALU_DEP_2)
	v_add_co_u32 v69, vcc_lo, s10, v65
	v_add_co_ci_u32_e32 v70, vcc_lo, s11, v66, vcc_lo
	v_add_co_u32 v65, vcc_lo, s8, v65
	v_add_co_ci_u32_e32 v66, vcc_lo, s9, v66, vcc_lo
	global_store_b32 v[69:70], v67, off
	global_store_b32 v[65:66], v68, off
.LBB1877_78:
	s_or_b32 exec_lo, exec_lo, s2
	s_waitcnt lgkmcnt(0)
	s_waitcnt_vscnt null, 0x0
	s_barrier
	buffer_gl0_inv
	ds_load_b128 v[83:86], v80
	ds_load_b128 v[87:90], v80 offset:16
	ds_load_b128 v[95:98], v80 offset:2064
	ds_load_b128 v[91:94], v80 offset:2048
	v_mov_b32_e32 v65, 0
	ds_load_b128 v[103:106], v80 offset:4112
	ds_load_b128 v[99:102], v80 offset:4096
	;; [unrolled: 1-line block ×4, first 2 shown]
	v_mov_b32_e32 v66, v65
	v_mov_b32_e32 v67, v65
	;; [unrolled: 1-line block ×7, first 2 shown]
	s_waitcnt lgkmcnt(6)
	s_delay_alu instid0(VALU_DEP_1)
	v_wmma_f32_16x16x16_bf16 v[65:72], v[49:56], v[83:90], v[65:72]
	ds_load_b128 v[53:56], v80 offset:8208
	ds_load_b128 v[49:52], v80 offset:8192
	s_waitcnt lgkmcnt(6)
	v_wmma_f32_16x16x16_bf16 v[65:72], v[41:48], v[91:98], v[65:72]
	ds_load_b128 v[45:48], v80 offset:10256
	ds_load_b128 v[41:44], v80 offset:10240
	s_waitcnt lgkmcnt(6)
	;; [unrolled: 4-line block ×4, first 2 shown]
	v_wmma_f32_16x16x16_bf16 v[65:72], v[1:8], v[49:56], v[65:72]
	s_waitcnt lgkmcnt(4)
	s_delay_alu instid0(VALU_DEP_1) | instskip(SKIP_1) | instid1(VALU_DEP_1)
	v_wmma_f32_16x16x16_bf16 v[65:72], v[9:16], v[41:48], v[65:72]
	s_waitcnt lgkmcnt(2)
	v_wmma_f32_16x16x16_bf16 v[65:72], v[17:24], v[33:40], v[65:72]
	s_waitcnt lgkmcnt(0)
	s_delay_alu instid0(VALU_DEP_1) | instskip(NEXT) | instid1(VALU_DEP_1)
	v_wmma_f32_16x16x16_bf16 v[65:72], v[57:64], v[25:32], v[65:72]
	v_and_b32_e32 v1, 0x7f800000, v65
	s_delay_alu instid0(VALU_DEP_1) | instskip(SKIP_1) | instid1(SALU_CYCLE_1)
	v_cmp_ne_u32_e32 vcc_lo, 0x7f800000, v1
                                        ; implicit-def: $vgpr1
	s_and_saveexec_b32 s2, vcc_lo
	s_xor_b32 s2, exec_lo, s2
; %bb.79:
	v_bfe_u32 v1, v65, 16, 1
	s_delay_alu instid0(VALU_DEP_1)
	v_add3_u32 v1, v65, v1, 0x7fff
; %bb.80:
	s_and_not1_saveexec_b32 s2, s2
; %bb.81:
	v_and_b32_e32 v1, 0xffff, v65
	v_or_b32_e32 v2, 0x10000, v65
	s_delay_alu instid0(VALU_DEP_2) | instskip(NEXT) | instid1(VALU_DEP_2)
	v_cmp_eq_u32_e32 vcc_lo, 0, v1
	v_cndmask_b32_e32 v1, v2, v65, vcc_lo
; %bb.82:
	s_or_b32 exec_lo, exec_lo, s2
	v_and_b32_e32 v2, 0x7f800000, v66
	s_delay_alu instid0(VALU_DEP_1) | instskip(SKIP_1) | instid1(SALU_CYCLE_1)
	v_cmp_ne_u32_e32 vcc_lo, 0x7f800000, v2
                                        ; implicit-def: $vgpr2
	s_and_saveexec_b32 s2, vcc_lo
	s_xor_b32 s2, exec_lo, s2
; %bb.83:
	v_bfe_u32 v2, v66, 16, 1
	s_delay_alu instid0(VALU_DEP_1)
	v_add3_u32 v2, v66, v2, 0x7fff
; %bb.84:
	s_and_not1_saveexec_b32 s2, s2
; %bb.85:
	v_and_b32_e32 v2, 0xffff, v66
	v_or_b32_e32 v3, 0x10000, v66
	s_delay_alu instid0(VALU_DEP_2) | instskip(NEXT) | instid1(VALU_DEP_2)
	v_cmp_eq_u32_e32 vcc_lo, 0, v2
	v_cndmask_b32_e32 v2, v3, v66, vcc_lo
; %bb.86:
	s_or_b32 exec_lo, exec_lo, s2
	v_and_b32_e32 v3, 0x7f800000, v67
	s_delay_alu instid0(VALU_DEP_1) | instskip(SKIP_1) | instid1(SALU_CYCLE_1)
	v_cmp_ne_u32_e32 vcc_lo, 0x7f800000, v3
                                        ; implicit-def: $vgpr3
	s_and_saveexec_b32 s2, vcc_lo
	s_xor_b32 s2, exec_lo, s2
; %bb.87:
	v_bfe_u32 v3, v67, 16, 1
	s_delay_alu instid0(VALU_DEP_1)
	v_add3_u32 v3, v67, v3, 0x7fff
; %bb.88:
	s_and_not1_saveexec_b32 s2, s2
; %bb.89:
	v_and_b32_e32 v3, 0xffff, v67
	v_or_b32_e32 v4, 0x10000, v67
	s_delay_alu instid0(VALU_DEP_2) | instskip(NEXT) | instid1(VALU_DEP_2)
	v_cmp_eq_u32_e32 vcc_lo, 0, v3
	v_cndmask_b32_e32 v3, v4, v67, vcc_lo
; %bb.90:
	s_or_b32 exec_lo, exec_lo, s2
	v_and_b32_e32 v4, 0x7f800000, v68
	s_delay_alu instid0(VALU_DEP_1) | instskip(SKIP_1) | instid1(SALU_CYCLE_1)
	v_cmp_ne_u32_e32 vcc_lo, 0x7f800000, v4
                                        ; implicit-def: $vgpr4
	s_and_saveexec_b32 s2, vcc_lo
	s_xor_b32 s2, exec_lo, s2
; %bb.91:
	v_bfe_u32 v4, v68, 16, 1
	s_delay_alu instid0(VALU_DEP_1)
	v_add3_u32 v4, v68, v4, 0x7fff
; %bb.92:
	s_and_not1_saveexec_b32 s2, s2
; %bb.93:
	v_and_b32_e32 v4, 0xffff, v68
	v_or_b32_e32 v5, 0x10000, v68
	s_delay_alu instid0(VALU_DEP_2) | instskip(NEXT) | instid1(VALU_DEP_2)
	v_cmp_eq_u32_e32 vcc_lo, 0, v4
	v_cndmask_b32_e32 v4, v5, v68, vcc_lo
; %bb.94:
	s_or_b32 exec_lo, exec_lo, s2
	v_and_b32_e32 v5, 0x7f800000, v69
	s_delay_alu instid0(VALU_DEP_1) | instskip(SKIP_1) | instid1(SALU_CYCLE_1)
	v_cmp_ne_u32_e32 vcc_lo, 0x7f800000, v5
                                        ; implicit-def: $vgpr5
	s_and_saveexec_b32 s2, vcc_lo
	s_xor_b32 s2, exec_lo, s2
; %bb.95:
	v_bfe_u32 v5, v69, 16, 1
	s_delay_alu instid0(VALU_DEP_1)
	v_add3_u32 v5, v69, v5, 0x7fff
; %bb.96:
	s_and_not1_saveexec_b32 s2, s2
; %bb.97:
	v_and_b32_e32 v5, 0xffff, v69
	v_or_b32_e32 v6, 0x10000, v69
	s_delay_alu instid0(VALU_DEP_2) | instskip(NEXT) | instid1(VALU_DEP_2)
	v_cmp_eq_u32_e32 vcc_lo, 0, v5
	v_cndmask_b32_e32 v5, v6, v69, vcc_lo
; %bb.98:
	s_or_b32 exec_lo, exec_lo, s2
	v_and_b32_e32 v6, 0x7f800000, v70
	s_delay_alu instid0(VALU_DEP_1) | instskip(SKIP_1) | instid1(SALU_CYCLE_1)
	v_cmp_ne_u32_e32 vcc_lo, 0x7f800000, v6
                                        ; implicit-def: $vgpr6
	s_and_saveexec_b32 s2, vcc_lo
	s_xor_b32 s2, exec_lo, s2
; %bb.99:
	v_bfe_u32 v6, v70, 16, 1
	s_delay_alu instid0(VALU_DEP_1)
	v_add3_u32 v6, v70, v6, 0x7fff
; %bb.100:
	s_and_not1_saveexec_b32 s2, s2
; %bb.101:
	v_and_b32_e32 v6, 0xffff, v70
	v_or_b32_e32 v7, 0x10000, v70
	s_delay_alu instid0(VALU_DEP_2) | instskip(NEXT) | instid1(VALU_DEP_2)
	v_cmp_eq_u32_e32 vcc_lo, 0, v6
	v_cndmask_b32_e32 v6, v7, v70, vcc_lo
; %bb.102:
	s_or_b32 exec_lo, exec_lo, s2
	v_and_b32_e32 v7, 0x7f800000, v71
	s_delay_alu instid0(VALU_DEP_1) | instskip(SKIP_1) | instid1(SALU_CYCLE_1)
	v_cmp_ne_u32_e32 vcc_lo, 0x7f800000, v7
                                        ; implicit-def: $vgpr7
	s_and_saveexec_b32 s2, vcc_lo
	s_xor_b32 s2, exec_lo, s2
; %bb.103:
	v_bfe_u32 v7, v71, 16, 1
	s_delay_alu instid0(VALU_DEP_1)
	v_add3_u32 v7, v71, v7, 0x7fff
; %bb.104:
	s_and_not1_saveexec_b32 s2, s2
; %bb.105:
	v_and_b32_e32 v7, 0xffff, v71
	v_or_b32_e32 v8, 0x10000, v71
	s_delay_alu instid0(VALU_DEP_2) | instskip(NEXT) | instid1(VALU_DEP_2)
	v_cmp_eq_u32_e32 vcc_lo, 0, v7
	v_cndmask_b32_e32 v7, v8, v71, vcc_lo
; %bb.106:
	s_or_b32 exec_lo, exec_lo, s2
	v_and_b32_e32 v8, 0x7f800000, v72
	s_delay_alu instid0(VALU_DEP_1) | instskip(SKIP_1) | instid1(SALU_CYCLE_1)
	v_cmp_ne_u32_e32 vcc_lo, 0x7f800000, v8
                                        ; implicit-def: $vgpr8
	s_and_saveexec_b32 s2, vcc_lo
	s_xor_b32 s2, exec_lo, s2
; %bb.107:
	v_bfe_u32 v8, v72, 16, 1
	s_delay_alu instid0(VALU_DEP_1)
	v_add3_u32 v8, v72, v8, 0x7fff
                                        ; implicit-def: $vgpr65_vgpr66_vgpr67_vgpr68_vgpr69_vgpr70_vgpr71_vgpr72
; %bb.108:
	s_and_not1_saveexec_b32 s2, s2
; %bb.109:
	v_and_b32_e32 v8, 0xffff, v72
	v_or_b32_e32 v9, 0x10000, v72
	s_delay_alu instid0(VALU_DEP_2) | instskip(NEXT) | instid1(VALU_DEP_2)
	v_cmp_eq_u32_e32 vcc_lo, 0, v8
	v_cndmask_b32_e32 v8, v9, v72, vcc_lo
; %bb.110:
	s_or_b32 exec_lo, exec_lo, s2
	s_delay_alu instid0(VALU_DEP_1)
	v_perm_b32 v7, v8, v7, 0x7060302
	v_perm_b32 v6, v6, v5, 0x7060302
	;; [unrolled: 1-line block ×4, first 2 shown]
	s_barrier
	buffer_gl0_inv
	v_cmp_eq_u32_e32 vcc_lo, 1, v78
	ds_store_b128 v76, v[4:7]
	s_waitcnt lgkmcnt(0)
	s_barrier
	buffer_gl0_inv
	ds_load_b128 v[1:4], v82
	ds_load_b128 v[5:8], v82 offset:16
	v_cmp_eq_u32_e64 s2, 1, v79
	v_cmp_eq_u32_e64 s3, 2, v78
	;; [unrolled: 1-line block ×5, first 2 shown]
	s_waitcnt lgkmcnt(1)
	v_lshrrev_b32_e32 v9, 16, v1
	s_waitcnt lgkmcnt(0)
	v_lshrrev_b32_e32 v13, 16, v5
	v_lshrrev_b32_e32 v10, 16, v2
	;; [unrolled: 1-line block ×4, first 2 shown]
	v_cndmask_b32_e64 v19, v1, v9, s2
	v_cndmask_b32_e32 v18, v5, v13, vcc_lo
	v_cndmask_b32_e64 v20, v5, v13, s2
	v_cndmask_b32_e32 v17, v1, v9, vcc_lo
	v_cmp_eq_u32_e32 vcc_lo, 2, v79
	v_lshrrev_b32_e32 v15, 16, v7
	v_cmp_eq_u32_e64 s2, 1, v77
	v_lshrrev_b32_e32 v12, 16, v4
	v_lshrrev_b32_e32 v16, 16, v8
	v_cndmask_b32_e32 v20, v20, v6, vcc_lo
	v_cndmask_b32_e64 v17, v17, v2, s3
	v_cndmask_b32_e32 v19, v19, v2, vcc_lo
	v_cndmask_b32_e64 v18, v18, v6, s3
	v_cmp_eq_u32_e32 vcc_lo, 4, v78
	v_cmp_eq_u32_e64 s3, 3, v79
	v_cndmask_b32_e64 v17, v17, v10, s4
	v_cndmask_b32_e64 v21, v1, v9, s2
	;; [unrolled: 1-line block ×5, first 2 shown]
	v_cndmask_b32_e32 v17, v17, v3, vcc_lo
	v_cndmask_b32_e64 v20, v20, v14, s3
	v_cndmask_b32_e32 v18, v18, v7, vcc_lo
	v_cmp_eq_u32_e32 vcc_lo, 4, v79
	v_cmp_eq_u32_e64 s3, 5, v79
	v_cmp_eq_u32_e64 s2, 2, v81
	v_cndmask_b32_e64 v21, v21, v2, s6
	v_cmp_eq_u32_e64 s4, 5, v78
	v_cndmask_b32_e32 v19, v19, v3, vcc_lo
	v_cndmask_b32_e32 v20, v20, v7, vcc_lo
	v_cmp_eq_u32_e32 vcc_lo, 6, v79
	s_delay_alu instid0(VALU_DEP_4) | instskip(NEXT) | instid1(VALU_DEP_4)
	v_cndmask_b32_e64 v17, v17, v11, s4
	v_cndmask_b32_e64 v19, v19, v11, s3
	s_delay_alu instid0(VALU_DEP_4) | instskip(SKIP_1) | instid1(VALU_DEP_3)
	v_cndmask_b32_e64 v20, v20, v15, s3
	v_cmp_eq_u32_e64 s3, 1, v81
	v_cndmask_b32_e32 v19, v19, v4, vcc_lo
	v_cndmask_b32_e64 v18, v18, v15, s4
	s_delay_alu instid0(VALU_DEP_3)
	v_cndmask_b32_e64 v1, v1, v9, s3
	v_cndmask_b32_e64 v5, v5, v13, s3
	v_cmp_eq_u32_e64 s3, 3, v77
	v_cndmask_b32_e64 v13, v22, v6, s6
	v_cmp_eq_u32_e64 s6, 3, v81
	v_cndmask_b32_e64 v1, v1, v2, s2
	v_cndmask_b32_e64 v2, v5, v6, s2
	;; [unrolled: 1-line block ×3, first 2 shown]
	v_cmp_eq_u32_e64 s2, 4, v77
	v_cndmask_b32_e64 v6, v13, v14, s3
	v_cndmask_b32_e64 v1, v1, v10, s6
	v_cmp_eq_u32_e64 s3, 4, v81
	v_cndmask_b32_e64 v2, v2, v14, s6
	v_cndmask_b32_e64 v5, v9, v3, s2
	;; [unrolled: 3-line block ×3, first 2 shown]
	v_cndmask_b32_e64 v2, v2, v7, s3
	v_cmp_eq_u32_e64 s2, 5, v81
	v_cmp_eq_u32_e64 s4, 6, v78
	v_cndmask_b32_e64 v5, v5, v11, s6
	v_cmp_eq_u32_e64 s3, 6, v77
	v_cndmask_b32_e64 v3, v6, v15, s6
	v_cndmask_b32_e64 v1, v1, v11, s2
	v_cmp_eq_u32_e64 s6, 6, v81
	v_cndmask_b32_e64 v2, v2, v15, s2
	v_cndmask_b32_e64 v17, v17, v4, s4
	v_cndmask_b32_e64 v18, v18, v8, s4
	v_cmp_eq_u32_e64 s4, 7, v78
	v_cndmask_b32_e64 v5, v5, v4, s3
	;; [unrolled: 4-line block ×3, first 2 shown]
	v_cmp_eq_u32_e64 s3, 7, v77
	v_cndmask_b32_e32 v4, v20, v8, vcc_lo
	v_cndmask_b32_e64 v17, v17, v12, s4
	v_cndmask_b32_e64 v19, v19, v12, s5
	;; [unrolled: 1-line block ×8, first 2 shown]
	s_mov_b32 s2, exec_lo
	v_perm_b32 v4, v2, v1, 0x5040100
	v_perm_b32 v3, v3, v5, 0x5040100
	;; [unrolled: 1-line block ×4, first 2 shown]
	ds_store_b128 v76, v[1:4]
	s_waitcnt lgkmcnt(0)
	s_barrier
	buffer_gl0_inv
	v_cmpx_gt_u32_e32 32, v0
	s_cbranch_execz .LBB1877_2
; %bb.111:
	s_load_b64 s[0:1], s[0:1], 0x68
	s_lshl_b32 s4, s34, 7
	v_or_b32_e32 v2, s29, v74
	s_mul_i32 s2, s4, s30
	v_lshlrev_b32_e32 v1, 10, v0
	s_mul_i32 s2, s2, s7
	v_lshlrev_b32_e32 v3, 4, v75
	v_mul_lo_u32 v0, v2, s4
	s_ashr_i32 s3, s2, 31
	v_lshlrev_b32_e32 v4, 6, v74
	v_and_b32_e32 v1, 0x3800, v1
	v_or_b32_e32 v5, 2, v2
	s_lshl_b64 s[2:3], s[2:3], 1
	v_or_b32_e32 v6, 4, v2
	v_or_b32_e32 v7, 6, v2
	v_or3_b32 v12, v1, v3, v4
	v_ashrrev_i32_e32 v1, 31, v0
	v_mul_lo_u32 v2, v5, s4
	v_mul_lo_u32 v16, v6, s4
	;; [unrolled: 1-line block ×3, first 2 shown]
	s_waitcnt lgkmcnt(0)
	s_add_u32 s2, s0, s2
	s_addc_u32 s3, s1, s3
	s_lshl_b32 s0, s14, 7
	v_lshlrev_b64 v[0:1], 1, v[0:1]
	s_ashr_i32 s1, s0, 31
	v_ashrrev_i32_e32 v3, 31, v2
	s_lshl_b64 s[0:1], s[0:1], 1
	v_ashrrev_i32_e32 v17, 31, v16
	s_add_u32 s0, s2, s0
	s_addc_u32 s1, s3, s1
	v_add_co_u32 v24, s0, s0, v73
	s_delay_alu instid0(VALU_DEP_1) | instskip(SKIP_1) | instid1(VALU_DEP_3)
	v_add_co_ci_u32_e64 v25, null, s1, 0, s0
	v_lshlrev_b64 v[22:23], 1, v[2:3]
	v_add_co_u32 v18, vcc_lo, v24, v0
	s_delay_alu instid0(VALU_DEP_3)
	v_add_co_ci_u32_e32 v19, vcc_lo, v25, v1, vcc_lo
	ds_load_b128 v[0:3], v12
	ds_load_b128 v[4:7], v12 offset:128
	ds_load_b128 v[8:11], v12 offset:256
	;; [unrolled: 1-line block ×3, first 2 shown]
	v_ashrrev_i32_e32 v21, 31, v20
	v_lshlrev_b64 v[16:17], 1, v[16:17]
	v_add_co_u32 v22, vcc_lo, v24, v22
	v_add_co_ci_u32_e32 v23, vcc_lo, v25, v23, vcc_lo
	s_delay_alu instid0(VALU_DEP_4) | instskip(NEXT) | instid1(VALU_DEP_4)
	v_lshlrev_b64 v[20:21], 1, v[20:21]
	v_add_co_u32 v16, vcc_lo, v24, v16
	v_add_co_ci_u32_e32 v17, vcc_lo, v25, v17, vcc_lo
	s_delay_alu instid0(VALU_DEP_3) | instskip(NEXT) | instid1(VALU_DEP_4)
	v_add_co_u32 v20, vcc_lo, v24, v20
	v_add_co_ci_u32_e32 v21, vcc_lo, v25, v21, vcc_lo
	s_waitcnt lgkmcnt(3)
	global_store_b128 v[18:19], v[0:3], off
	s_waitcnt lgkmcnt(2)
	global_store_b128 v[22:23], v[4:7], off
	;; [unrolled: 2-line block ×4, first 2 shown]
	s_nop 0
	s_sendmsg sendmsg(MSG_DEALLOC_VGPRS)
	s_endpgm
	.section	.rodata,"a",@progbits
	.p2align	6, 0x0
	.amdhsa_kernel _Z39paged_attention_ll4mi_QKV_mfma16_kernelI14__hip_bfloat16hLN4vllm18Fp8KVCacheDataTypeE1EhLi32ELi128ELi256ELb0ELi8EL8MFMAType0EEvPKT_PKT0_S9_ifPKiSB_SB_iPKfiiiPfSE_PS4_PT2_iSD_SD_
		.amdhsa_group_segment_fixed_size 17472
		.amdhsa_private_segment_fixed_size 0
		.amdhsa_kernarg_size 400
		.amdhsa_user_sgpr_count 13
		.amdhsa_user_sgpr_dispatch_ptr 0
		.amdhsa_user_sgpr_queue_ptr 0
		.amdhsa_user_sgpr_kernarg_segment_ptr 1
		.amdhsa_user_sgpr_dispatch_id 0
		.amdhsa_user_sgpr_private_segment_size 0
		.amdhsa_wavefront_size32 1
		.amdhsa_uses_dynamic_stack 0
		.amdhsa_enable_private_segment 0
		.amdhsa_system_sgpr_workgroup_id_x 1
		.amdhsa_system_sgpr_workgroup_id_y 1
		.amdhsa_system_sgpr_workgroup_id_z 1
		.amdhsa_system_sgpr_workgroup_info 0
		.amdhsa_system_vgpr_workitem_id 0
		.amdhsa_next_free_vgpr 140
		.amdhsa_next_free_sgpr 36
		.amdhsa_reserve_vcc 1
		.amdhsa_float_round_mode_32 0
		.amdhsa_float_round_mode_16_64 0
		.amdhsa_float_denorm_mode_32 3
		.amdhsa_float_denorm_mode_16_64 3
		.amdhsa_dx10_clamp 1
		.amdhsa_ieee_mode 1
		.amdhsa_fp16_overflow 0
		.amdhsa_workgroup_processor_mode 1
		.amdhsa_memory_ordered 1
		.amdhsa_forward_progress 0
		.amdhsa_shared_vgpr_count 0
		.amdhsa_exception_fp_ieee_invalid_op 0
		.amdhsa_exception_fp_denorm_src 0
		.amdhsa_exception_fp_ieee_div_zero 0
		.amdhsa_exception_fp_ieee_overflow 0
		.amdhsa_exception_fp_ieee_underflow 0
		.amdhsa_exception_fp_ieee_inexact 0
		.amdhsa_exception_int_div_zero 0
	.end_amdhsa_kernel
	.section	.text._Z39paged_attention_ll4mi_QKV_mfma16_kernelI14__hip_bfloat16hLN4vllm18Fp8KVCacheDataTypeE1EhLi32ELi128ELi256ELb0ELi8EL8MFMAType0EEvPKT_PKT0_S9_ifPKiSB_SB_iPKfiiiPfSE_PS4_PT2_iSD_SD_,"axG",@progbits,_Z39paged_attention_ll4mi_QKV_mfma16_kernelI14__hip_bfloat16hLN4vllm18Fp8KVCacheDataTypeE1EhLi32ELi128ELi256ELb0ELi8EL8MFMAType0EEvPKT_PKT0_S9_ifPKiSB_SB_iPKfiiiPfSE_PS4_PT2_iSD_SD_,comdat
.Lfunc_end1877:
	.size	_Z39paged_attention_ll4mi_QKV_mfma16_kernelI14__hip_bfloat16hLN4vllm18Fp8KVCacheDataTypeE1EhLi32ELi128ELi256ELb0ELi8EL8MFMAType0EEvPKT_PKT0_S9_ifPKiSB_SB_iPKfiiiPfSE_PS4_PT2_iSD_SD_, .Lfunc_end1877-_Z39paged_attention_ll4mi_QKV_mfma16_kernelI14__hip_bfloat16hLN4vllm18Fp8KVCacheDataTypeE1EhLi32ELi128ELi256ELb0ELi8EL8MFMAType0EEvPKT_PKT0_S9_ifPKiSB_SB_iPKfiiiPfSE_PS4_PT2_iSD_SD_
                                        ; -- End function
	.section	.AMDGPU.csdata,"",@progbits
; Kernel info:
; codeLenInByte = 8860
; NumSgprs: 38
; NumVgprs: 140
; ScratchSize: 0
; MemoryBound: 0
; FloatMode: 240
; IeeeMode: 1
; LDSByteSize: 17472 bytes/workgroup (compile time only)
; SGPRBlocks: 4
; VGPRBlocks: 17
; NumSGPRsForWavesPerEU: 38
; NumVGPRsForWavesPerEU: 140
; Occupancy: 10
; WaveLimiterHint : 1
; COMPUTE_PGM_RSRC2:SCRATCH_EN: 0
; COMPUTE_PGM_RSRC2:USER_SGPR: 13
; COMPUTE_PGM_RSRC2:TRAP_HANDLER: 0
; COMPUTE_PGM_RSRC2:TGID_X_EN: 1
; COMPUTE_PGM_RSRC2:TGID_Y_EN: 1
; COMPUTE_PGM_RSRC2:TGID_Z_EN: 1
; COMPUTE_PGM_RSRC2:TIDIG_COMP_CNT: 0
	.section	.text._Z39paged_attention_ll4mi_QKV_mfma16_kernelI14__hip_bfloat16hLN4vllm18Fp8KVCacheDataTypeE1EhLi32ELi128ELi256ELb0ELi9EL8MFMAType0EEvPKT_PKT0_S9_ifPKiSB_SB_iPKfiiiPfSE_PS4_PT2_iSD_SD_,"axG",@progbits,_Z39paged_attention_ll4mi_QKV_mfma16_kernelI14__hip_bfloat16hLN4vllm18Fp8KVCacheDataTypeE1EhLi32ELi128ELi256ELb0ELi9EL8MFMAType0EEvPKT_PKT0_S9_ifPKiSB_SB_iPKfiiiPfSE_PS4_PT2_iSD_SD_,comdat
	.protected	_Z39paged_attention_ll4mi_QKV_mfma16_kernelI14__hip_bfloat16hLN4vllm18Fp8KVCacheDataTypeE1EhLi32ELi128ELi256ELb0ELi9EL8MFMAType0EEvPKT_PKT0_S9_ifPKiSB_SB_iPKfiiiPfSE_PS4_PT2_iSD_SD_ ; -- Begin function _Z39paged_attention_ll4mi_QKV_mfma16_kernelI14__hip_bfloat16hLN4vllm18Fp8KVCacheDataTypeE1EhLi32ELi128ELi256ELb0ELi9EL8MFMAType0EEvPKT_PKT0_S9_ifPKiSB_SB_iPKfiiiPfSE_PS4_PT2_iSD_SD_
	.globl	_Z39paged_attention_ll4mi_QKV_mfma16_kernelI14__hip_bfloat16hLN4vllm18Fp8KVCacheDataTypeE1EhLi32ELi128ELi256ELb0ELi9EL8MFMAType0EEvPKT_PKT0_S9_ifPKiSB_SB_iPKfiiiPfSE_PS4_PT2_iSD_SD_
	.p2align	8
	.type	_Z39paged_attention_ll4mi_QKV_mfma16_kernelI14__hip_bfloat16hLN4vllm18Fp8KVCacheDataTypeE1EhLi32ELi128ELi256ELb0ELi9EL8MFMAType0EEvPKT_PKT0_S9_ifPKiSB_SB_iPKfiiiPfSE_PS4_PT2_iSD_SD_,@function
_Z39paged_attention_ll4mi_QKV_mfma16_kernelI14__hip_bfloat16hLN4vllm18Fp8KVCacheDataTypeE1EhLi32ELi128ELi256ELb0ELi9EL8MFMAType0EEvPKT_PKT0_S9_ifPKiSB_SB_iPKfiiiPfSE_PS4_PT2_iSD_SD_: ; @_Z39paged_attention_ll4mi_QKV_mfma16_kernelI14__hip_bfloat16hLN4vllm18Fp8KVCacheDataTypeE1EhLi32ELi128ELi256ELb0ELi9EL8MFMAType0EEvPKT_PKT0_S9_ifPKiSB_SB_iPKfiiiPfSE_PS4_PT2_iSD_SD_
; %bb.0:
	s_load_b64 s[4:5], s[0:1], 0x30
	s_mov_b32 s30, s13
	s_waitcnt lgkmcnt(0)
	s_cmp_lg_u64 s[4:5], 0
	s_cselect_b32 s13, -1, 0
	s_ashr_i32 s31, s30, 31
	s_cmp_eq_u64 s[4:5], 0
	s_cbranch_scc1 .LBB1878_3
; %bb.1:
	s_lshl_b64 s[2:3], s[30:31], 2
	s_delay_alu instid0(SALU_CYCLE_1) | instskip(SKIP_4) | instid1(SALU_CYCLE_1)
	s_add_u32 s2, s4, s2
	s_addc_u32 s3, s5, s3
	s_load_b64 s[2:3], s[2:3], 0x0
	s_waitcnt lgkmcnt(0)
	s_sub_i32 s2, s3, s2
	s_cmp_eq_u32 s2, 1
	s_cselect_b32 s2, -1, 0
	s_delay_alu instid0(SALU_CYCLE_1)
	s_and_not1_b32 vcc_lo, exec_lo, s2
	s_cbranch_vccz .LBB1878_4
.LBB1878_2:
	s_nop 0
	s_sendmsg sendmsg(MSG_DEALLOC_VGPRS)
	s_endpgm
.LBB1878_3:
.LBB1878_4:
	s_load_b64 s[2:3], s[0:1], 0x28
	s_lshl_b64 s[6:7], s[30:31], 2
	s_waitcnt lgkmcnt(0)
	s_add_u32 s2, s2, s6
	s_addc_u32 s3, s3, s7
	s_lshl_b32 s12, s14, 8
	s_load_b32 s17, s[2:3], 0x0
	s_waitcnt lgkmcnt(0)
	s_cmp_ge_i32 s12, s17
	s_cbranch_scc1 .LBB1878_2
; %bb.5:
	s_clause 0x1
	s_load_b128 s[8:11], s[0:1], 0x8
	s_load_b64 s[2:3], s[0:1], 0x20
	s_and_not1_b32 vcc_lo, exec_lo, s13
	s_cbranch_vccnz .LBB1878_7
; %bb.6:
	s_add_u32 s4, s4, s6
	s_addc_u32 s5, s5, s7
	s_load_b32 s13, s[4:5], 0x0
	s_branch .LBB1878_8
.LBB1878_7:
	s_mov_b32 s13, s30
.LBB1878_8:
	s_load_b128 s[4:7], s[0:1], 0x48
	v_and_b32_e32 v65, 15, v0
	v_lshrrev_b32_e32 v66, 5, v0
	v_bfe_u32 v74, v0, 4, 1
	v_and_b32_e32 v67, 31, v0
	v_and_b32_e32 v75, 1, v0
	v_lshlrev_b32_e32 v2, 3, v65
	s_mul_i32 s31, s15, 9
	v_lshl_or_b32 v1, v66, 1, v74
	s_waitcnt lgkmcnt(0)
	s_mov_b32 s7, exec_lo
	v_lshlrev_b32_e32 v73, 1, v2
	s_delay_alu instid0(VALU_DEP_2)
	v_cmpx_gt_u32_e32 9, v1
	s_cbranch_execz .LBB1878_10
; %bb.9:
	s_load_b64 s[18:19], s[0:1], 0x0
	v_add_lshl_u32 v2, v1, s31, 7
	s_mul_hi_i32 s21, s13, s4
	s_mul_i32 s20, s13, s4
	v_lshlrev_b32_e32 v6, 10, v65
	s_lshl_b64 s[20:21], s[20:21], 1
	v_ashrrev_i32_e32 v3, 31, v2
	v_lshlrev_b32_e32 v1, 6, v1
	v_lshlrev_b32_e32 v7, 10, v75
	v_and_b32_e32 v6, 0x3800, v6
	s_delay_alu instid0(VALU_DEP_4) | instskip(NEXT) | instid1(VALU_DEP_2)
	v_lshlrev_b64 v[2:3], 1, v[2:3]
	v_or3_b32 v1, v6, v7, v1
	s_waitcnt lgkmcnt(0)
	s_add_u32 s4, s18, s20
	s_addc_u32 s13, s19, s21
	s_delay_alu instid0(VALU_DEP_2) | instskip(SKIP_1) | instid1(VALU_DEP_2)
	v_add_co_u32 v2, vcc_lo, s4, v2
	v_add_co_ci_u32_e32 v3, vcc_lo, s13, v3, vcc_lo
	v_add_co_u32 v2, vcc_lo, v2, v73
	s_delay_alu instid0(VALU_DEP_2)
	v_add_co_ci_u32_e32 v3, vcc_lo, 0, v3, vcc_lo
	global_load_b128 v[2:5], v[2:3], off
	s_waitcnt vmcnt(0)
	ds_store_b128 v1, v[2:5]
.LBB1878_10:
	s_or_b32 exec_lo, exec_lo, s7
	v_and_b32_e32 v1, 0xef, v0
	s_add_i32 s4, s17, 31
	s_clause 0x1
	s_load_b32 s7, s[0:1], 0x38
	s_load_b32 s18, s[0:1], 0x1c
	s_ashr_i32 s13, s4, 31
	v_add_nc_u32_e32 v1, s12, v1
	s_lshr_b32 s13, s13, 27
	s_waitcnt lgkmcnt(0)
	s_add_i32 s4, s4, s13
	s_barrier
	v_ashrrev_i32_e32 v2, 31, v1
	v_or_b32_e32 v3, 16, v1
	s_ashr_i32 s4, s4, 5
	v_cmp_gt_i32_e32 vcc_lo, s17, v1
	s_add_i32 s4, s4, -1
	v_lshrrev_b32_e32 v2, 27, v2
	buffer_gl0_inv
	s_mul_i32 s15, s15, s6
	v_add_nc_u32_e32 v4, v1, v2
	s_mul_i32 s20, s30, s7
	s_delay_alu instid0(SALU_CYCLE_1) | instskip(NEXT) | instid1(VALU_DEP_1)
	s_ashr_i32 s21, s20, 31
	v_ashrrev_i32_e32 v4, 5, v4
	v_add_nc_u32_e32 v2, v3, v2
	s_lshl_b64 s[20:21], s[20:21], 2
	s_delay_alu instid0(SALU_CYCLE_1) | instskip(NEXT) | instid1(VALU_DEP_2)
	s_add_u32 s13, s2, s20
	v_cndmask_b32_e32 v1, s4, v4, vcc_lo
	s_delay_alu instid0(VALU_DEP_2)
	v_ashrrev_i32_e32 v2, 5, v2
	v_cmp_gt_i32_e32 vcc_lo, s17, v3
	s_addc_u32 s16, s3, s21
	s_ashr_i32 s19, s15, 31
	s_add_u32 s2, s8, s15
	s_addc_u32 s3, s9, s19
	v_cndmask_b32_e32 v3, s4, v2, vcc_lo
	v_ashrrev_i32_e32 v2, 31, v1
	s_lshl_b32 s6, s14, 3
	s_delay_alu instid0(SALU_CYCLE_1) | instskip(NEXT) | instid1(VALU_DEP_2)
	s_ashr_i32 s7, s6, 31
	v_ashrrev_i32_e32 v4, 31, v3
	s_delay_alu instid0(VALU_DEP_2) | instskip(SKIP_1) | instid1(SALU_CYCLE_1)
	v_lshlrev_b64 v[1:2], 2, v[1:2]
	s_lshl_b64 s[6:7], s[6:7], 2
	s_add_u32 s6, s13, s6
	s_delay_alu instid0(VALU_DEP_2) | instskip(SKIP_1) | instid1(VALU_DEP_2)
	v_lshlrev_b64 v[3:4], 2, v[3:4]
	s_addc_u32 s7, s16, s7
	v_add_co_u32 v1, vcc_lo, s13, v1
	v_add_co_ci_u32_e32 v2, vcc_lo, s16, v2, vcc_lo
	s_delay_alu instid0(VALU_DEP_3) | instskip(NEXT) | instid1(VALU_DEP_4)
	v_add_co_u32 v3, vcc_lo, s13, v3
	v_add_co_ci_u32_e32 v4, vcc_lo, s16, v4, vcc_lo
	s_clause 0x1
	global_load_b32 v5, v[1:2], off
	global_load_b32 v6, v[3:4], off
	s_or_b32 s8, s12, 32
	s_delay_alu instid0(SALU_CYCLE_1) | instskip(SKIP_2) | instid1(SALU_CYCLE_1)
	s_ashr_i32 s9, s8, 5
	s_cmp_lt_i32 s8, s17
	s_cselect_b32 s8, s9, s4
	s_ashr_i32 s9, s8, 31
	s_delay_alu instid0(SALU_CYCLE_1) | instskip(NEXT) | instid1(SALU_CYCLE_1)
	s_lshl_b64 s[8:9], s[8:9], 2
	s_add_u32 s8, s13, s8
	s_addc_u32 s9, s16, s9
	s_or_b32 s20, s12, 64
	s_delay_alu instid0(SALU_CYCLE_1) | instskip(SKIP_2) | instid1(SALU_CYCLE_1)
	s_ashr_i32 s21, s20, 5
	s_cmp_lt_i32 s20, s17
	s_cselect_b32 s20, s21, s4
	s_ashr_i32 s21, s20, 31
	s_delay_alu instid0(SALU_CYCLE_1) | instskip(NEXT) | instid1(SALU_CYCLE_1)
	s_lshl_b64 s[20:21], s[20:21], 2
	s_add_u32 s20, s13, s20
	s_addc_u32 s21, s16, s21
	;; [unrolled: 10-line block ×5, first 2 shown]
	s_clause 0x5
	s_load_b32 s28, s[6:7], 0x0
	s_load_b32 s8, s[8:9], 0x0
	;; [unrolled: 1-line block ×6, first 2 shown]
	s_mov_b32 s20, 0
	s_delay_alu instid0(SALU_CYCLE_1)
	s_mov_b32 s21, s20
	s_mov_b32 s22, s20
	;; [unrolled: 1-line block ×7, first 2 shown]
	s_delay_alu instid0(SALU_CYCLE_1)
	v_dual_mov_b32 v107, s27 :: v_dual_mov_b32 v106, s26
	v_dual_mov_b32 v104, s24 :: v_dual_mov_b32 v103, s23
	;; [unrolled: 1-line block ×3, first 2 shown]
	v_mov_b32_e32 v100, s20
	s_waitcnt vmcnt(1)
	v_mad_i64_i32 v[1:2], null, v5, s5, s[2:3]
	v_lshlrev_b32_e32 v5, 4, v65
	s_waitcnt vmcnt(0)
	v_mad_i64_i32 v[3:4], null, v6, s5, s[2:3]
	s_or_b32 s2, s12, 0xc0
	s_delay_alu instid0(SALU_CYCLE_1) | instskip(NEXT) | instid1(VALU_DEP_3)
	s_ashr_i32 s3, s2, 5
	v_add_co_u32 v33, vcc_lo, v1, v5
	s_delay_alu instid0(VALU_DEP_4) | instskip(NEXT) | instid1(VALU_DEP_3)
	v_add_co_ci_u32_e32 v34, vcc_lo, 0, v2, vcc_lo
	v_add_co_u32 v35, vcc_lo, v3, v5
	s_delay_alu instid0(VALU_DEP_4)
	v_add_co_ci_u32_e32 v36, vcc_lo, 0, v4, vcc_lo
	s_clause 0xf
	global_load_b128 v[1:4], v[33:34], off
	global_load_b128 v[5:8], v[33:34], off offset:512
	global_load_b128 v[9:12], v[35:36], off offset:256
	;; [unrolled: 1-line block ×15, first 2 shown]
	s_cmp_lt_i32 s2, s17
	v_add_nc_u32_e32 v33, -9, v65
	s_cselect_b32 s2, s3, s4
	v_cmp_gt_u32_e32 vcc_lo, 9, v65
	s_ashr_i32 s3, s2, 31
	v_lshlrev_b32_e32 v34, 5, v65
	s_lshl_b64 s[2:3], s[2:3], 2
	s_delay_alu instid0(SALU_CYCLE_1)
	s_add_u32 s2, s13, s2
	s_addc_u32 s3, s16, s3
	s_or_b32 s6, s12, 0xe0
	v_cndmask_b32_e32 v33, v33, v65, vcc_lo
	s_ashr_i32 s7, s6, 5
	s_cmp_lt_i32 s6, s17
	v_mov_b32_e32 v105, s25
	s_cselect_b32 s6, s7, s4
	v_lshlrev_b32_e32 v72, 6, v33
	s_ashr_i32 s7, s6, 31
	v_lshl_or_b32 v41, v66, 9, v34
	s_lshl_b64 s[6:7], s[6:7], 2
	ds_load_b128 v[33:36], v72
	ds_load_b128 v[37:40], v72 offset:1024
	ds_load_b128 v[108:111], v72 offset:2048
	;; [unrolled: 1-line block ×3, first 2 shown]
	s_load_b32 s4, s[2:3], 0x0
	s_add_u32 s2, s13, s6
	s_addc_u32 s3, s16, s7
	ds_load_b128 v[116:119], v72 offset:4096
	ds_load_b128 v[120:123], v72 offset:5120
	s_load_b32 s2, s[2:3], 0x0
	s_add_u32 s6, s10, s15
	s_addc_u32 s7, s11, s19
	v_add_co_u32 v68, s6, s6, v41
	s_delay_alu instid0(VALU_DEP_1) | instskip(SKIP_1) | instid1(VALU_DEP_1)
	v_add_co_ci_u32_e64 v69, null, s7, 0, s6
	s_waitcnt lgkmcnt(0)
	v_mad_i64_i32 v[41:42], null, s28, s5, v[68:69]
	v_mad_i64_i32 v[70:71], null, s9, s5, v[68:69]
	;; [unrolled: 1-line block ×7, first 2 shown]
	s_clause 0x3
	global_load_b128 v[49:52], v[41:42], off
	global_load_b128 v[53:56], v[41:42], off offset:16
	global_load_b128 v[41:44], v[45:46], off
	global_load_b128 v[45:48], v[45:46], off offset:16
	s_waitcnt vmcnt(18)
	v_wmma_f32_16x16x16_bf16 v[124:131], v[1:8], v[33:40], v[100:107]
	s_waitcnt vmcnt(16)
	v_wmma_f32_16x16x16_bf16 v[100:107], v[9:16], v[33:40], v[100:107]
	s_clause 0x1
	global_load_b128 v[33:36], v[70:71], off
	global_load_b128 v[37:40], v[70:71], off offset:16
	v_mad_i64_i32 v[70:71], null, s2, s5, v[68:69]
	s_waitcnt vmcnt(16)
	v_wmma_f32_16x16x16_bf16 v[124:131], v[17:24], v[108:115], v[124:131]
	s_waitcnt vmcnt(14)
	v_wmma_f32_16x16x16_bf16 v[100:107], v[25:32], v[108:115], v[100:107]
	s_clause 0x7
	global_load_b128 v[25:28], v[132:133], off
	global_load_b128 v[29:32], v[132:133], off offset:16
	global_load_b128 v[1:4], v[134:135], off
	global_load_b128 v[5:8], v[134:135], off offset:16
	global_load_b128 v[9:12], v[136:137], off
	global_load_b128 v[13:16], v[136:137], off offset:16
	global_load_b128 v[17:20], v[138:139], off
	global_load_b128 v[21:24], v[138:139], off offset:16
	s_waitcnt vmcnt(20)
	v_wmma_f32_16x16x16_bf16 v[124:131], v[57:64], v[116:123], v[124:131]
	s_clause 0x1
	global_load_b128 v[57:60], v[70:71], off
	global_load_b128 v[61:64], v[70:71], off offset:16
	s_waitcnt vmcnt(20)
	v_wmma_f32_16x16x16_bf16 v[100:107], v[76:83], v[116:123], v[100:107]
	ds_load_b128 v[76:79], v72 offset:6144
	ds_load_b128 v[80:83], v72 offset:7168
	v_and_b32_e32 v68, 0xe0, v0
	v_mbcnt_lo_u32_b32 v69, -1, 0
	s_waitcnt vmcnt(0) lgkmcnt(0)
	s_barrier
	buffer_gl0_inv
	v_add_nc_u32_e32 v68, s12, v68
	v_xor_b32_e32 v70, 16, v69
	s_delay_alu instid0(VALU_DEP_2) | instskip(NEXT) | instid1(VALU_DEP_2)
	v_or_b32_e32 v68, v68, v74
	v_cmp_gt_i32_e32 vcc_lo, 32, v70
	s_delay_alu instid0(VALU_DEP_2)
	v_or_b32_e32 v71, 4, v68
	v_or_b32_e32 v72, 6, v68
	v_cmp_gt_i32_e64 s2, s17, v68
	v_or_b32_e32 v108, 8, v68
	v_wmma_f32_16x16x16_bf16 v[124:131], v[84:91], v[76:83], v[124:131]
	v_cndmask_b32_e32 v69, v69, v70, vcc_lo
	v_or_b32_e32 v70, 2, v68
	v_wmma_f32_16x16x16_bf16 v[100:107], v[92:99], v[76:83], v[100:107]
	v_or_b32_e32 v109, 10, v68
	v_dual_mul_f32 v80, s18, v129 :: v_dual_mul_f32 v81, s18, v128
	v_dual_mul_f32 v92, s18, v125 :: v_dual_mul_f32 v93, s18, v124
	s_delay_alu instid0(VALU_DEP_4)
	v_mul_f32_e32 v96, s18, v105
	v_cmp_gt_i32_e32 vcc_lo, s17, v70
	v_or_b32_e32 v89, 22, v68
	v_dual_mul_f32 v79, s18, v130 :: v_dual_mul_f32 v82, s18, v127
	v_dual_mul_f32 v83, s18, v126 :: v_dual_mul_f32 v94, s18, v107
	v_cndmask_b32_e64 v93, 0xff7fffff, v93, s2
	v_cndmask_b32_e32 v92, 0xff7fffff, v92, vcc_lo
	v_cmp_gt_i32_e64 s3, s17, v71
	v_cmp_gt_i32_e64 s4, s17, v72
	v_or_b32_e32 v84, 12, v68
	v_or_b32_e32 v85, 14, v68
	v_cmp_gt_i32_e64 s5, s17, v108
	v_cndmask_b32_e64 v71, 0xff7fffff, v83, s3
	v_cndmask_b32_e64 v72, 0xff7fffff, v82, s4
	v_cmp_gt_i32_e64 s6, s17, v109
	v_cmp_gt_i32_e64 s12, s17, v89
	v_lshlrev_b32_e32 v89, 2, v69
	v_max3_f32 v82, v93, 0xff7fffff, v92
	v_or_b32_e32 v86, 16, v68
	v_or_b32_e32 v87, 18, v68
	v_mul_f32_e32 v78, s18, v131
	v_cndmask_b32_e64 v81, 0xff7fffff, v81, s5
	v_cndmask_b32_e64 v80, 0xff7fffff, v80, s6
	v_max3_f32 v71, v82, v71, v72
	v_cmp_gt_i32_e64 s7, s17, v84
	v_cmp_gt_i32_e64 s8, s17, v85
	v_or_b32_e32 v88, 20, v68
	v_or_b32_e32 v90, 24, v68
	v_or_b32_e32 v91, 26, v68
	v_or_b32_e32 v76, 28, v68
	v_or_b32_e32 v77, 30, v68
	v_dual_mul_f32 v97, s18, v104 :: v_dual_mul_f32 v70, s18, v101
	v_dual_mul_f32 v99, s18, v102 :: v_dual_mul_f32 v68, s18, v100
	v_cndmask_b32_e64 v72, 0xff7fffff, v79, s7
	v_cndmask_b32_e64 v78, 0xff7fffff, v78, s8
	v_max3_f32 v71, v71, v81, v80
	v_cmp_gt_i32_e64 s9, s17, v86
	v_cmp_gt_i32_e64 s10, s17, v87
	v_dual_mul_f32 v95, s18, v106 :: v_dual_mul_f32 v98, s18, v103
	s_delay_alu instid0(VALU_DEP_4) | instskip(NEXT) | instid1(VALU_DEP_4)
	v_max3_f32 v71, v71, v72, v78
	v_cndmask_b32_e64 v68, 0xff7fffff, v68, s9
	s_delay_alu instid0(VALU_DEP_4)
	v_cndmask_b32_e64 v70, 0xff7fffff, v70, s10
	v_cmp_gt_i32_e64 s11, s17, v88
	v_cndmask_b32_e64 v78, 0xff7fffff, v98, s12
	v_cmp_gt_i32_e64 s13, s17, v90
	v_cmp_gt_i32_e64 s15, s17, v91
	v_max3_f32 v68, v71, v68, v70
	v_cndmask_b32_e64 v72, 0xff7fffff, v99, s11
	v_cmp_gt_i32_e64 s16, s17, v76
	v_cndmask_b32_e64 v70, 0xff7fffff, v97, s13
	v_cndmask_b32_e64 v71, 0xff7fffff, v96, s15
	v_cmp_gt_i32_e64 s17, s17, v77
	v_max3_f32 v68, v68, v72, v78
	v_cndmask_b32_e64 v72, 0xff7fffff, v95, s16
	s_delay_alu instid0(VALU_DEP_3) | instskip(NEXT) | instid1(VALU_DEP_3)
	v_cndmask_b32_e64 v76, 0xff7fffff, v94, s17
	v_max3_f32 v68, v68, v70, v71
	s_delay_alu instid0(VALU_DEP_1) | instskip(SKIP_3) | instid1(VALU_DEP_1)
	v_max3_f32 v68, v68, v72, v76
	ds_bpermute_b32 v69, v89, v68
	s_waitcnt lgkmcnt(0)
	v_max_f32_e32 v69, v69, v69
	v_max_f32_e32 v68, v68, v69
	s_delay_alu instid0(VALU_DEP_1) | instskip(NEXT) | instid1(VALU_DEP_1)
	v_fma_f32 v71, s18, v126, -v68
	v_mul_f32_e32 v71, 0x3fb8aa3b, v71
	v_fma_f32 v70, s18, v125, -v68
	v_fma_f32 v69, s18, v124, -v68
	;; [unrolled: 1-line block ×5, first 2 shown]
	s_delay_alu instid0(VALU_DEP_4) | instskip(SKIP_1) | instid1(VALU_DEP_3)
	v_dual_mul_f32 v70, 0x3fb8aa3b, v70 :: v_dual_mul_f32 v69, 0x3fb8aa3b, v69
	v_exp_f32_e32 v71, v71
	v_mul_f32_e32 v72, 0x3fb8aa3b, v72
	v_fma_f32 v81, s18, v105, -v68
	s_delay_alu instid0(VALU_DEP_3)
	v_exp_f32_e32 v70, v70
	v_mul_f32_e32 v77, 0x3fb8aa3b, v76
	v_exp_f32_e32 v69, v69
	v_exp_f32_e32 v72, v72
	v_mul_f32_e32 v81, 0x3fb8aa3b, v81
	v_cndmask_b32_e64 v83, 0, v71, s3
	v_fma_f32 v71, s18, v131, -v68
	s_delay_alu instid0(VALU_DEP_3) | instskip(SKIP_4) | instid1(TRANS32_DEP_3)
	v_exp_f32_e32 v81, v81
	v_cndmask_b32_e32 v76, 0, v70, vcc_lo
	v_exp_f32_e32 v77, v77
	v_cndmask_b32_e64 v80, 0, v69, s2
	v_fma_f32 v69, s18, v129, -v68
	v_cndmask_b32_e64 v85, 0, v72, s4
	v_mul_f32_e32 v71, 0x3fb8aa3b, v71
	v_fma_f32 v72, s18, v100, -v68
	s_delay_alu instid0(VALU_DEP_4) | instskip(SKIP_1) | instid1(VALU_DEP_4)
	v_dual_add_f32 v70, 0, v80 :: v_dual_mul_f32 v69, 0x3fb8aa3b, v69
	v_cmp_gt_u32_e64 s2, 16, v67
	v_exp_f32_e32 v71, v71
	s_delay_alu instid0(TRANS32_DEP_2) | instskip(SKIP_4) | instid1(VALU_DEP_3)
	v_cndmask_b32_e64 v86, 0, v77, s5
	v_fma_f32 v77, s18, v101, -v68
	v_mul_f32_e32 v78, 0x3fb8aa3b, v78
	v_add_f32_e32 v70, v70, v76
	v_exp_f32_e32 v69, v69
	v_mul_f32_e32 v77, 0x3fb8aa3b, v77
	s_delay_alu instid0(VALU_DEP_3) | instskip(NEXT) | instid1(TRANS32_DEP_3)
	v_exp_f32_e32 v78, v78
	v_cndmask_b32_e64 v88, 0, v71, s8
	v_fma_f32 v71, s18, v104, -v68
	s_delay_alu instid0(VALU_DEP_3) | instskip(NEXT) | instid1(TRANS32_DEP_3)
	v_exp_f32_e32 v77, v77
	v_cndmask_b32_e64 v87, 0, v69, s6
	s_delay_alu instid0(VALU_DEP_2)
	v_mul_f32_e32 v71, 0x3fb8aa3b, v71
	s_waitcnt_depctr 0xfff
	v_cndmask_b32_e64 v84, 0, v78, s7
	v_add_f32_e32 v70, v70, v83
	v_fma_f32 v78, s18, v103, -v68
	v_exp_f32_e32 v82, v71
	s_delay_alu instid0(VALU_DEP_2) | instskip(SKIP_1) | instid1(VALU_DEP_3)
	v_add_f32_e32 v70, v70, v85
	v_mul_f32_e32 v72, 0x3fb8aa3b, v72
	v_mul_f32_e32 v78, 0x3fb8aa3b, v78
	s_delay_alu instid0(VALU_DEP_3) | instskip(SKIP_1) | instid1(VALU_DEP_4)
	v_add_f32_e32 v69, v70, v86
	v_fma_f32 v70, s18, v102, -v68
	v_exp_f32_e32 v72, v72
	s_delay_alu instid0(VALU_DEP_3) | instskip(NEXT) | instid1(VALU_DEP_1)
	v_exp_f32_e32 v78, v78
	v_dual_add_f32 v69, v69, v87 :: v_dual_mul_f32 v70, 0x3fb8aa3b, v70
	s_delay_alu instid0(VALU_DEP_1) | instskip(NEXT) | instid1(VALU_DEP_2)
	v_add_f32_e32 v69, v69, v84
	v_exp_f32_e32 v79, v70
	s_delay_alu instid0(TRANS32_DEP_3) | instskip(NEXT) | instid1(VALU_DEP_2)
	v_cndmask_b32_e64 v70, 0, v72, s9
	v_add_f32_e32 v72, v69, v88
	v_cndmask_b32_e64 v69, 0, v77, s10
	v_fma_f32 v77, s18, v106, -v68
	s_waitcnt_depctr 0xfff
	v_cndmask_b32_e64 v71, 0, v79, s11
	v_dual_mul_f32 v77, 0x3fb8aa3b, v77 :: v_dual_add_f32 v72, v72, v70
	s_delay_alu instid0(VALU_DEP_1) | instskip(NEXT) | instid1(VALU_DEP_1)
	v_exp_f32_e32 v90, v77
	v_add_f32_e32 v79, v72, v69
	v_cndmask_b32_e64 v72, 0, v78, s12
	v_cndmask_b32_e64 v77, 0, v82, s13
	s_delay_alu instid0(VALU_DEP_3) | instskip(SKIP_1) | instid1(VALU_DEP_1)
	v_add_f32_e32 v78, v79, v71
	v_fma_f32 v79, s18, v107, -v68
	v_dual_add_f32 v82, v78, v72 :: v_dual_mul_f32 v79, 0x3fb8aa3b, v79
	v_cndmask_b32_e64 v78, 0, v81, s15
	s_delay_alu instid0(VALU_DEP_2) | instskip(NEXT) | instid1(VALU_DEP_3)
	v_add_f32_e32 v81, v82, v77
	v_exp_f32_e32 v82, v79
	v_cndmask_b32_e64 v79, 0, v90, s16
	s_delay_alu instid0(VALU_DEP_2) | instskip(NEXT) | instid1(VALU_DEP_1)
	v_add_f32_e32 v81, v81, v78
	v_add_f32_e32 v90, v81, v79
	s_waitcnt_depctr 0xfff
	v_cndmask_b32_e64 v81, 0, v82, s17
	s_delay_alu instid0(VALU_DEP_1)
	v_add_f32_e32 v82, v90, v81
	ds_bpermute_b32 v89, v89, v82
	s_and_saveexec_b32 s3, s2
	s_cbranch_execz .LBB1878_12
; %bb.11:
	v_mul_u32_u24_e32 v67, 0x44, v66
	s_delay_alu instid0(VALU_DEP_1) | instskip(SKIP_1) | instid1(VALU_DEP_1)
	v_lshl_add_u32 v67, v65, 2, v67
	s_waitcnt lgkmcnt(0)
	v_dual_add_f32 v82, v82, v89 :: v_dual_add_nc_u32 v67, 0x4000, v67
	ds_store_2addr_b32 v67, v68, v82 offset1:136
.LBB1878_12:
	s_or_b32 exec_lo, exec_lo, s3
	v_lshlrev_b32_e32 v67, 2, v65
	s_waitcnt lgkmcnt(0)
	s_barrier
	buffer_gl0_inv
	v_cmp_eq_u32_e32 vcc_lo, 1, v66
	v_add_nc_u32_e32 v82, 0x4000, v67
	v_cmp_eq_u32_e64 s3, 2, v66
	v_cmp_eq_u32_e64 s5, 7, v66
	ds_load_2addr_b32 v[89:90], v82 offset1:17
	ds_load_2addr_b32 v[91:92], v82 offset0:34 offset1:51
	ds_load_2addr_b32 v[93:94], v82 offset0:68 offset1:85
	;; [unrolled: 1-line block ×4, first 2 shown]
	s_waitcnt lgkmcnt(4)
	v_max3_f32 v67, v89, 0xff7fffff, v90
	s_waitcnt lgkmcnt(3)
	s_delay_alu instid0(VALU_DEP_1) | instskip(SKIP_1) | instid1(VALU_DEP_1)
	v_max3_f32 v67, v67, v91, v92
	s_waitcnt lgkmcnt(2)
	v_max3_f32 v67, v67, v93, v94
	s_waitcnt lgkmcnt(1)
	s_delay_alu instid0(VALU_DEP_1) | instskip(NEXT) | instid1(VALU_DEP_1)
	v_max3_f32 v67, v67, v95, v96
	v_sub_f32_e32 v93, v93, v67
	s_delay_alu instid0(VALU_DEP_1) | instskip(NEXT) | instid1(VALU_DEP_1)
	v_dual_sub_f32 v68, v89, v67 :: v_dual_mul_f32 v103, 0x3fb8aa3b, v93
	v_mul_f32_e32 v68, 0x3fb8aa3b, v68
	s_delay_alu instid0(VALU_DEP_1)
	v_exp_f32_e32 v100, v68
	v_sub_f32_e32 v68, v92, v67
	v_sub_f32_e32 v99, v90, v67
	ds_load_2addr_b32 v[89:90], v82 offset0:170 offset1:187
	v_dual_mul_f32 v102, 0x3fb8aa3b, v68 :: v_dual_mul_f32 v99, 0x3fb8aa3b, v99
	s_waitcnt lgkmcnt(1)
	v_fma_f32 v68, v100, v97, 0
	s_delay_alu instid0(VALU_DEP_2) | instskip(NEXT) | instid1(VALU_DEP_2)
	v_exp_f32_e32 v102, v102
	v_exp_f32_e32 v99, v99
	s_waitcnt_depctr 0xfff
	v_fmac_f32_e32 v68, v99, v98
	v_sub_f32_e32 v91, v91, v67
	s_delay_alu instid0(VALU_DEP_1)
	v_mul_f32_e32 v101, 0x3fb8aa3b, v91
	ds_load_2addr_b32 v[91:92], v82 offset0:204 offset1:221
	v_sub_f32_e32 v97, v94, v67
	ds_load_2addr_b32 v[93:94], v82 offset0:238 offset1:255
	s_waitcnt lgkmcnt(0)
	v_exp_f32_e32 v101, v101
	s_barrier
	buffer_gl0_inv
	v_dual_fmac_f32 v68, v101, v89 :: v_dual_sub_f32 v89, v96, v67
	v_dual_sub_f32 v82, v95, v67 :: v_dual_mul_f32 v95, 0x3fb8aa3b, v97
	v_exp_f32_e32 v97, v103
	s_delay_alu instid0(VALU_DEP_2) | instskip(NEXT) | instid1(VALU_DEP_2)
	v_dual_fmac_f32 v68, v102, v90 :: v_dual_mul_f32 v89, 0x3fb8aa3b, v89
	v_mul_f32_e32 v82, 0x3fb8aa3b, v82
	s_delay_alu instid0(VALU_DEP_3) | instskip(NEXT) | instid1(VALU_DEP_2)
	v_exp_f32_e32 v95, v95
	v_exp_f32_e32 v89, v89
	s_delay_alu instid0(VALU_DEP_1)
	v_exp_f32_e32 v82, v82
	v_fmac_f32_e32 v68, v97, v91
	s_delay_alu instid0(TRANS32_DEP_3) | instid1(VALU_DEP_1)
	v_fmac_f32_e32 v68, v95, v92
	s_waitcnt_depctr 0xfff
	v_fmac_f32_e32 v68, v82, v93
	s_delay_alu instid0(VALU_DEP_1) | instskip(NEXT) | instid1(VALU_DEP_1)
	v_fmac_f32_e32 v68, v89, v94
	v_add_f32_e32 v90, 0x358637bd, v68
	s_delay_alu instid0(VALU_DEP_1) | instskip(NEXT) | instid1(VALU_DEP_1)
	v_div_scale_f32 v91, null, v90, v90, 1.0
	v_rcp_f32_e32 v92, v91
	s_waitcnt_depctr 0xfff
	v_fma_f32 v93, -v91, v92, 1.0
	s_delay_alu instid0(VALU_DEP_1) | instskip(SKIP_1) | instid1(VALU_DEP_2)
	v_dual_fmac_f32 v92, v93, v92 :: v_dual_cndmask_b32 v93, v100, v99
	v_cmp_eq_u32_e32 vcc_lo, 3, v66
	v_cndmask_b32_e64 v93, v93, v101, s3
	v_cmp_eq_u32_e64 s3, 4, v66
	s_delay_alu instid0(VALU_DEP_2) | instskip(SKIP_1) | instid1(VALU_DEP_2)
	v_cndmask_b32_e32 v93, v93, v102, vcc_lo
	v_cmp_eq_u32_e32 vcc_lo, 5, v66
	v_cndmask_b32_e64 v93, v93, v97, s3
	v_cmp_eq_u32_e64 s3, 6, v66
	s_delay_alu instid0(VALU_DEP_2) | instskip(SKIP_1) | instid1(VALU_DEP_1)
	v_cndmask_b32_e32 v93, v93, v95, vcc_lo
	v_div_scale_f32 v94, s4, 1.0, v90, 1.0
	s_mov_b32 vcc_lo, s4
	s_delay_alu instid0(VALU_DEP_2) | instskip(NEXT) | instid1(VALU_DEP_2)
	v_cndmask_b32_e64 v82, v93, v82, s3
	v_mul_f32_e32 v96, v94, v92
	s_mov_b32 s3, exec_lo
	s_delay_alu instid0(VALU_DEP_2) | instskip(NEXT) | instid1(VALU_DEP_2)
	v_cndmask_b32_e64 v82, v82, v89, s5
	v_fma_f32 v98, -v91, v96, v94
	s_delay_alu instid0(VALU_DEP_1) | instskip(NEXT) | instid1(VALU_DEP_1)
	v_fmac_f32_e32 v96, v98, v92
	v_fma_f32 v91, -v91, v96, v94
	s_delay_alu instid0(VALU_DEP_1) | instskip(NEXT) | instid1(VALU_DEP_1)
	v_div_fmas_f32 v91, v91, v92, v96
	v_div_fixup_f32 v90, v91, v90, 1.0
	s_delay_alu instid0(VALU_DEP_1) | instskip(NEXT) | instid1(VALU_DEP_1)
	v_mul_f32_e32 v82, v82, v90
	v_mul_f32_e32 v87, v82, v87
	;; [unrolled: 1-line block ×7, first 2 shown]
	v_dual_mul_f32 v86, v82, v83 :: v_dual_and_b32 v91, 0x7f800000, v90
	v_mul_f32_e32 v85, v82, v76
                                        ; implicit-def: $vgpr76
	s_delay_alu instid0(VALU_DEP_2)
	v_cmpx_ne_u32_e32 0x7f800000, v91
	s_xor_b32 s3, exec_lo, s3
; %bb.13:
	v_bfe_u32 v76, v90, 16, 1
	s_delay_alu instid0(VALU_DEP_1)
	v_add3_u32 v76, v90, v76, 0x7fff
                                        ; implicit-def: $vgpr90
; %bb.14:
	s_and_not1_saveexec_b32 s3, s3
; %bb.15:
	v_and_b32_e32 v76, 0xffff, v90
	v_or_b32_e32 v83, 0x10000, v90
	s_delay_alu instid0(VALU_DEP_2) | instskip(NEXT) | instid1(VALU_DEP_2)
	v_cmp_eq_u32_e32 vcc_lo, 0, v76
	v_cndmask_b32_e32 v76, v83, v90, vcc_lo
; %bb.16:
	s_or_b32 exec_lo, exec_lo, s3
	v_and_b32_e32 v83, 0x7f800000, v85
	s_delay_alu instid0(VALU_DEP_1) | instskip(SKIP_1) | instid1(SALU_CYCLE_1)
	v_cmp_ne_u32_e32 vcc_lo, 0x7f800000, v83
                                        ; implicit-def: $vgpr83
	s_and_saveexec_b32 s3, vcc_lo
	s_xor_b32 s3, exec_lo, s3
; %bb.17:
	v_bfe_u32 v83, v85, 16, 1
	s_delay_alu instid0(VALU_DEP_1)
	v_add3_u32 v83, v85, v83, 0x7fff
                                        ; implicit-def: $vgpr85
; %bb.18:
	s_and_not1_saveexec_b32 s3, s3
; %bb.19:
	v_and_b32_e32 v83, 0xffff, v85
	v_or_b32_e32 v90, 0x10000, v85
	s_delay_alu instid0(VALU_DEP_2) | instskip(NEXT) | instid1(VALU_DEP_2)
	v_cmp_eq_u32_e32 vcc_lo, 0, v83
	v_cndmask_b32_e32 v83, v90, v85, vcc_lo
; %bb.20:
	s_or_b32 exec_lo, exec_lo, s3
	v_and_b32_e32 v85, 0x7f800000, v86
	s_delay_alu instid0(VALU_DEP_1) | instskip(SKIP_1) | instid1(SALU_CYCLE_1)
	v_cmp_ne_u32_e32 vcc_lo, 0x7f800000, v85
                                        ; implicit-def: $vgpr85
	s_and_saveexec_b32 s3, vcc_lo
	s_xor_b32 s3, exec_lo, s3
; %bb.21:
	v_bfe_u32 v85, v86, 16, 1
	s_delay_alu instid0(VALU_DEP_1)
	v_add3_u32 v85, v86, v85, 0x7fff
                                        ; implicit-def: $vgpr86
; %bb.22:
	s_and_not1_saveexec_b32 s3, s3
; %bb.23:
	v_and_b32_e32 v85, 0xffff, v86
	v_or_b32_e32 v90, 0x10000, v86
	s_delay_alu instid0(VALU_DEP_2) | instskip(NEXT) | instid1(VALU_DEP_2)
	v_cmp_eq_u32_e32 vcc_lo, 0, v85
	v_cndmask_b32_e32 v85, v90, v86, vcc_lo
; %bb.24:
	s_or_b32 exec_lo, exec_lo, s3
	v_and_b32_e32 v86, 0x7f800000, v89
	s_delay_alu instid0(VALU_DEP_1) | instskip(SKIP_1) | instid1(SALU_CYCLE_1)
	v_cmp_ne_u32_e32 vcc_lo, 0x7f800000, v86
                                        ; implicit-def: $vgpr86
	s_and_saveexec_b32 s3, vcc_lo
	s_xor_b32 s3, exec_lo, s3
; %bb.25:
	v_bfe_u32 v86, v89, 16, 1
	s_delay_alu instid0(VALU_DEP_1)
	v_add3_u32 v86, v89, v86, 0x7fff
                                        ; implicit-def: $vgpr89
; %bb.26:
	s_and_not1_saveexec_b32 s3, s3
; %bb.27:
	v_and_b32_e32 v86, 0xffff, v89
	v_or_b32_e32 v90, 0x10000, v89
	s_delay_alu instid0(VALU_DEP_2) | instskip(NEXT) | instid1(VALU_DEP_2)
	v_cmp_eq_u32_e32 vcc_lo, 0, v86
	v_cndmask_b32_e32 v86, v90, v89, vcc_lo
; %bb.28:
	s_or_b32 exec_lo, exec_lo, s3
	v_and_b32_e32 v89, 0x7f800000, v88
	s_delay_alu instid0(VALU_DEP_1) | instskip(SKIP_1) | instid1(SALU_CYCLE_1)
	v_cmp_ne_u32_e32 vcc_lo, 0x7f800000, v89
                                        ; implicit-def: $vgpr89
	s_and_saveexec_b32 s3, vcc_lo
	s_xor_b32 s3, exec_lo, s3
; %bb.29:
	v_bfe_u32 v89, v88, 16, 1
	s_delay_alu instid0(VALU_DEP_1)
	v_add3_u32 v89, v88, v89, 0x7fff
                                        ; implicit-def: $vgpr88
; %bb.30:
	s_and_not1_saveexec_b32 s3, s3
; %bb.31:
	v_and_b32_e32 v89, 0xffff, v88
	v_or_b32_e32 v90, 0x10000, v88
	s_delay_alu instid0(VALU_DEP_2) | instskip(NEXT) | instid1(VALU_DEP_2)
	v_cmp_eq_u32_e32 vcc_lo, 0, v89
	v_cndmask_b32_e32 v89, v90, v88, vcc_lo
; %bb.32:
	s_or_b32 exec_lo, exec_lo, s3
	v_and_b32_e32 v88, 0x7f800000, v87
	s_delay_alu instid0(VALU_DEP_1) | instskip(SKIP_1) | instid1(SALU_CYCLE_1)
	v_cmp_ne_u32_e32 vcc_lo, 0x7f800000, v88
                                        ; implicit-def: $vgpr88
	s_and_saveexec_b32 s3, vcc_lo
	s_xor_b32 s3, exec_lo, s3
; %bb.33:
	v_bfe_u32 v88, v87, 16, 1
	s_delay_alu instid0(VALU_DEP_1)
	v_add3_u32 v88, v87, v88, 0x7fff
                                        ; implicit-def: $vgpr87
; %bb.34:
	s_and_not1_saveexec_b32 s3, s3
; %bb.35:
	v_and_b32_e32 v88, 0xffff, v87
	v_or_b32_e32 v90, 0x10000, v87
	s_delay_alu instid0(VALU_DEP_2) | instskip(NEXT) | instid1(VALU_DEP_2)
	v_cmp_eq_u32_e32 vcc_lo, 0, v88
	v_cndmask_b32_e32 v88, v90, v87, vcc_lo
; %bb.36:
	s_or_b32 exec_lo, exec_lo, s3
	v_and_b32_e32 v87, 0x7f800000, v84
	s_delay_alu instid0(VALU_DEP_1) | instskip(SKIP_1) | instid1(SALU_CYCLE_1)
	v_cmp_ne_u32_e32 vcc_lo, 0x7f800000, v87
                                        ; implicit-def: $vgpr87
	s_and_saveexec_b32 s3, vcc_lo
	s_xor_b32 s3, exec_lo, s3
; %bb.37:
	v_bfe_u32 v87, v84, 16, 1
	s_delay_alu instid0(VALU_DEP_1)
	v_add3_u32 v87, v84, v87, 0x7fff
                                        ; implicit-def: $vgpr84
; %bb.38:
	s_and_not1_saveexec_b32 s3, s3
; %bb.39:
	v_and_b32_e32 v87, 0xffff, v84
	v_or_b32_e32 v90, 0x10000, v84
	s_delay_alu instid0(VALU_DEP_2) | instskip(NEXT) | instid1(VALU_DEP_2)
	v_cmp_eq_u32_e32 vcc_lo, 0, v87
	v_cndmask_b32_e32 v87, v90, v84, vcc_lo
; %bb.40:
	s_or_b32 exec_lo, exec_lo, s3
	v_and_b32_e32 v84, 0x7f800000, v80
	s_delay_alu instid0(VALU_DEP_1) | instskip(SKIP_1) | instid1(SALU_CYCLE_1)
	v_cmp_ne_u32_e32 vcc_lo, 0x7f800000, v84
                                        ; implicit-def: $vgpr84
	s_and_saveexec_b32 s3, vcc_lo
	s_xor_b32 s3, exec_lo, s3
; %bb.41:
	v_bfe_u32 v84, v80, 16, 1
	s_delay_alu instid0(VALU_DEP_1)
	v_add3_u32 v84, v80, v84, 0x7fff
                                        ; implicit-def: $vgpr80
; %bb.42:
	s_and_not1_saveexec_b32 s3, s3
; %bb.43:
	v_and_b32_e32 v84, 0xffff, v80
	v_or_b32_e32 v90, 0x10000, v80
	s_delay_alu instid0(VALU_DEP_2) | instskip(NEXT) | instid1(VALU_DEP_2)
	v_cmp_eq_u32_e32 vcc_lo, 0, v84
	v_cndmask_b32_e32 v84, v90, v80, vcc_lo
; %bb.44:
	s_or_b32 exec_lo, exec_lo, s3
	s_load_b64 s[34:35], s[0:1], 0x94
	v_lshlrev_b32_e32 v91, 4, v74
	s_delay_alu instid0(VALU_DEP_2)
	v_perm_b32 v90, v84, v87, 0x7060302
	v_dual_mul_f32 v79, v82, v79 :: v_dual_lshlrev_b32 v80, 6, v65
	v_dual_mul_f32 v77, v82, v77 :: v_dual_lshlrev_b32 v92, 11, v66
	v_mul_f32_e32 v84, v82, v70
	v_perm_b32 v89, v88, v89, 0x7060302
	v_perm_b32 v88, v86, v85, 0x7060302
	;; [unrolled: 1-line block ×3, first 2 shown]
	v_mul_f32_e32 v70, v82, v81
	v_or3_b32 v76, v91, v92, v80
	v_dual_mul_f32 v78, v82, v78 :: v_dual_and_b32 v85, 0x7f800000, v84
	v_mul_f32_e32 v83, v82, v72
	v_mul_f32_e32 v81, v82, v71
	;; [unrolled: 1-line block ×3, first 2 shown]
	s_mov_b32 s3, exec_lo
	ds_store_b128 v76, v[87:90]
                                        ; implicit-def: $vgpr69
	v_cmpx_ne_u32_e32 0x7f800000, v85
	s_xor_b32 s3, exec_lo, s3
; %bb.45:
	v_bfe_u32 v69, v84, 16, 1
	s_delay_alu instid0(VALU_DEP_1)
	v_add3_u32 v69, v84, v69, 0x7fff
                                        ; implicit-def: $vgpr84
; %bb.46:
	s_and_not1_saveexec_b32 s3, s3
; %bb.47:
	v_and_b32_e32 v69, 0xffff, v84
	v_or_b32_e32 v71, 0x10000, v84
	s_delay_alu instid0(VALU_DEP_2) | instskip(NEXT) | instid1(VALU_DEP_2)
	v_cmp_eq_u32_e32 vcc_lo, 0, v69
	v_cndmask_b32_e32 v69, v71, v84, vcc_lo
; %bb.48:
	s_or_b32 exec_lo, exec_lo, s3
	v_and_b32_e32 v71, 0x7f800000, v72
	s_delay_alu instid0(VALU_DEP_1) | instskip(SKIP_1) | instid1(SALU_CYCLE_1)
	v_cmp_ne_u32_e32 vcc_lo, 0x7f800000, v71
                                        ; implicit-def: $vgpr71
	s_and_saveexec_b32 s3, vcc_lo
	s_xor_b32 s3, exec_lo, s3
; %bb.49:
	v_bfe_u32 v71, v72, 16, 1
	s_delay_alu instid0(VALU_DEP_1)
	v_add3_u32 v71, v72, v71, 0x7fff
                                        ; implicit-def: $vgpr72
; %bb.50:
	s_and_not1_saveexec_b32 s3, s3
; %bb.51:
	v_and_b32_e32 v71, 0xffff, v72
	v_or_b32_e32 v82, 0x10000, v72
	s_delay_alu instid0(VALU_DEP_2) | instskip(NEXT) | instid1(VALU_DEP_2)
	v_cmp_eq_u32_e32 vcc_lo, 0, v71
	v_cndmask_b32_e32 v71, v82, v72, vcc_lo
; %bb.52:
	s_or_b32 exec_lo, exec_lo, s3
	v_and_b32_e32 v72, 0x7f800000, v81
	s_delay_alu instid0(VALU_DEP_1) | instskip(SKIP_1) | instid1(SALU_CYCLE_1)
	v_cmp_ne_u32_e32 vcc_lo, 0x7f800000, v72
                                        ; implicit-def: $vgpr72
	s_and_saveexec_b32 s3, vcc_lo
	s_xor_b32 s3, exec_lo, s3
; %bb.53:
	v_bfe_u32 v72, v81, 16, 1
	s_delay_alu instid0(VALU_DEP_1)
	v_add3_u32 v72, v81, v72, 0x7fff
                                        ; implicit-def: $vgpr81
; %bb.54:
	s_and_not1_saveexec_b32 s3, s3
; %bb.55:
	v_and_b32_e32 v72, 0xffff, v81
	v_or_b32_e32 v82, 0x10000, v81
	s_delay_alu instid0(VALU_DEP_2) | instskip(NEXT) | instid1(VALU_DEP_2)
	v_cmp_eq_u32_e32 vcc_lo, 0, v72
	v_cndmask_b32_e32 v72, v82, v81, vcc_lo
; %bb.56:
	s_or_b32 exec_lo, exec_lo, s3
	v_and_b32_e32 v81, 0x7f800000, v83
	s_delay_alu instid0(VALU_DEP_1) | instskip(SKIP_1) | instid1(SALU_CYCLE_1)
	v_cmp_ne_u32_e32 vcc_lo, 0x7f800000, v81
                                        ; implicit-def: $vgpr81
	s_and_saveexec_b32 s3, vcc_lo
	s_xor_b32 s3, exec_lo, s3
; %bb.57:
	v_bfe_u32 v81, v83, 16, 1
	s_delay_alu instid0(VALU_DEP_1)
	v_add3_u32 v81, v83, v81, 0x7fff
                                        ; implicit-def: $vgpr83
; %bb.58:
	s_and_not1_saveexec_b32 s3, s3
; %bb.59:
	v_and_b32_e32 v81, 0xffff, v83
	v_or_b32_e32 v82, 0x10000, v83
	s_delay_alu instid0(VALU_DEP_2) | instskip(NEXT) | instid1(VALU_DEP_2)
	v_cmp_eq_u32_e32 vcc_lo, 0, v81
	v_cndmask_b32_e32 v81, v82, v83, vcc_lo
; %bb.60:
	s_or_b32 exec_lo, exec_lo, s3
	v_and_b32_e32 v82, 0x7f800000, v77
	s_delay_alu instid0(VALU_DEP_1) | instskip(SKIP_1) | instid1(SALU_CYCLE_1)
	v_cmp_ne_u32_e32 vcc_lo, 0x7f800000, v82
                                        ; implicit-def: $vgpr82
	s_and_saveexec_b32 s3, vcc_lo
	s_xor_b32 s3, exec_lo, s3
; %bb.61:
	v_bfe_u32 v82, v77, 16, 1
	s_delay_alu instid0(VALU_DEP_1)
	v_add3_u32 v82, v77, v82, 0x7fff
                                        ; implicit-def: $vgpr77
; %bb.62:
	s_and_not1_saveexec_b32 s3, s3
; %bb.63:
	v_and_b32_e32 v82, 0xffff, v77
	v_or_b32_e32 v83, 0x10000, v77
	s_delay_alu instid0(VALU_DEP_2) | instskip(NEXT) | instid1(VALU_DEP_2)
	v_cmp_eq_u32_e32 vcc_lo, 0, v82
	v_cndmask_b32_e32 v82, v83, v77, vcc_lo
; %bb.64:
	s_or_b32 exec_lo, exec_lo, s3
	v_and_b32_e32 v77, 0x7f800000, v78
	s_delay_alu instid0(VALU_DEP_1) | instskip(SKIP_1) | instid1(SALU_CYCLE_1)
	v_cmp_ne_u32_e32 vcc_lo, 0x7f800000, v77
                                        ; implicit-def: $vgpr77
	s_and_saveexec_b32 s3, vcc_lo
	s_xor_b32 s3, exec_lo, s3
; %bb.65:
	v_bfe_u32 v77, v78, 16, 1
	s_delay_alu instid0(VALU_DEP_1)
	v_add3_u32 v77, v78, v77, 0x7fff
                                        ; implicit-def: $vgpr78
; %bb.66:
	s_and_not1_saveexec_b32 s3, s3
; %bb.67:
	v_and_b32_e32 v77, 0xffff, v78
	v_or_b32_e32 v83, 0x10000, v78
	s_delay_alu instid0(VALU_DEP_2) | instskip(NEXT) | instid1(VALU_DEP_2)
	v_cmp_eq_u32_e32 vcc_lo, 0, v77
	v_cndmask_b32_e32 v77, v83, v78, vcc_lo
; %bb.68:
	s_or_b32 exec_lo, exec_lo, s3
	v_and_b32_e32 v78, 0x7f800000, v79
	s_delay_alu instid0(VALU_DEP_1) | instskip(SKIP_1) | instid1(SALU_CYCLE_1)
	v_cmp_ne_u32_e32 vcc_lo, 0x7f800000, v78
                                        ; implicit-def: $vgpr78
	s_and_saveexec_b32 s3, vcc_lo
	s_xor_b32 s3, exec_lo, s3
; %bb.69:
	v_bfe_u32 v78, v79, 16, 1
	s_delay_alu instid0(VALU_DEP_1)
	v_add3_u32 v78, v79, v78, 0x7fff
                                        ; implicit-def: $vgpr79
; %bb.70:
	s_and_not1_saveexec_b32 s3, s3
; %bb.71:
	v_and_b32_e32 v78, 0xffff, v79
	v_or_b32_e32 v83, 0x10000, v79
	s_delay_alu instid0(VALU_DEP_2) | instskip(NEXT) | instid1(VALU_DEP_2)
	v_cmp_eq_u32_e32 vcc_lo, 0, v78
	v_cndmask_b32_e32 v78, v83, v79, vcc_lo
; %bb.72:
	s_or_b32 exec_lo, exec_lo, s3
	v_and_b32_e32 v79, 0x7f800000, v70
	s_delay_alu instid0(VALU_DEP_1) | instskip(SKIP_1) | instid1(SALU_CYCLE_1)
	v_cmp_ne_u32_e32 vcc_lo, 0x7f800000, v79
                                        ; implicit-def: $vgpr79
	s_and_saveexec_b32 s3, vcc_lo
	s_xor_b32 s3, exec_lo, s3
; %bb.73:
	v_bfe_u32 v79, v70, 16, 1
	s_delay_alu instid0(VALU_DEP_1)
	v_add3_u32 v79, v70, v79, 0x7fff
                                        ; implicit-def: $vgpr70
; %bb.74:
	s_and_not1_saveexec_b32 s3, s3
; %bb.75:
	v_and_b32_e32 v79, 0xffff, v70
	v_or_b32_e32 v83, 0x10000, v70
	s_delay_alu instid0(VALU_DEP_2) | instskip(NEXT) | instid1(VALU_DEP_2)
	v_cmp_eq_u32_e32 vcc_lo, 0, v79
	v_cndmask_b32_e32 v79, v83, v70, vcc_lo
; %bb.76:
	s_or_b32 exec_lo, exec_lo, s3
	s_delay_alu instid0(VALU_DEP_1)
	v_perm_b32 v86, v79, v78, 0x7060302
	v_perm_b32 v85, v77, v82, 0x7060302
	;; [unrolled: 1-line block ×4, first 2 shown]
	v_lshl_or_b32 v82, v66, 11, v80
	ds_store_b128 v76, v[83:86] offset:1024
	s_waitcnt lgkmcnt(0)
	s_barrier
	buffer_gl0_inv
	ds_load_b128 v[69:72], v82
	ds_load_b128 v[83:86], v82 offset:16
	s_waitcnt lgkmcnt(1)
	v_lshrrev_b32_e32 v66, 16, v69
	s_waitcnt lgkmcnt(0)
	v_lshrrev_b32_e32 v91, 16, v83
	v_lshlrev_b32_e32 v78, 2, v74
	v_lshrrev_b32_e32 v95, 16, v70
	v_lshrrev_b32_e32 v98, 16, v84
	;; [unrolled: 1-line block ×4, first 2 shown]
	v_cmp_eq_u32_e32 vcc_lo, 1, v78
	v_lshrrev_b32_e32 v97, 16, v72
	v_lshrrev_b32_e32 v100, 16, v86
	v_cndmask_b32_e32 v87, v83, v91, vcc_lo
	v_or_b32_e32 v79, 1, v78
	v_cndmask_b32_e32 v81, v69, v66, vcc_lo
	v_cmp_eq_u32_e64 s4, 2, v78
	v_cmp_eq_u32_e64 s7, 3, v78
	;; [unrolled: 1-line block ×5, first 2 shown]
	v_cndmask_b32_e64 v81, v81, v70, s4
	v_cndmask_b32_e64 v87, v87, v84, s4
	v_cmp_eq_u32_e64 s8, 3, v79
	v_cndmask_b32_e64 v88, v69, v66, s3
	v_or_b32_e32 v77, 2, v78
	v_cndmask_b32_e64 v81, v81, v95, s7
	v_cndmask_b32_e64 v87, v87, v98, s7
	;; [unrolled: 1-line block ×4, first 2 shown]
	v_cmp_eq_u32_e64 s10, 5, v78
	v_cndmask_b32_e64 v81, v81, v71, s9
	v_cndmask_b32_e64 v87, v87, v85, s9
	v_cmp_eq_u32_e64 s11, 4, v79
	v_cndmask_b32_e64 v88, v88, v95, s8
	v_cmp_eq_u32_e64 s5, 1, v77
	v_cndmask_b32_e64 v89, v89, v84, s6
	v_cndmask_b32_e64 v81, v81, v96, s10
	v_cmp_eq_u32_e64 s12, 6, v78
	v_cndmask_b32_e64 v88, v88, v71, s11
	;; [unrolled: 3-line block ×3, first 2 shown]
	v_cndmask_b32_e64 v89, v89, v98, s8
	v_cndmask_b32_e64 v81, v81, v72, s12
	v_cmp_eq_u32_e64 s15, 7, v78
	v_cndmask_b32_e64 v88, v88, v96, s13
	v_cndmask_b32_e64 v87, v87, v86, s12
	v_cmp_eq_u32_e64 s16, 6, v79
	v_cmp_eq_u32_e64 s17, 2, v77
	v_cndmask_b32_e64 v89, v89, v85, s11
	v_cndmask_b32_e64 v101, v81, v97, s15
	;; [unrolled: 1-line block ×6, first 2 shown]
	v_cmp_eq_u32_e64 s18, 7, v79
	v_cmp_eq_u32_e64 s19, 3, v77
	;; [unrolled: 1-line block ×4, first 2 shown]
	v_cndmask_b32_e64 v87, v87, v84, s17
	v_cndmask_b32_e64 v103, v88, v97, s18
	;; [unrolled: 1-line block ×4, first 2 shown]
	v_or_b32_e32 v81, 3, v78
	v_cndmask_b32_e64 v93, v87, v98, s19
	v_cmp_eq_u32_e64 s24, 6, v77
	v_cndmask_b32_e64 v104, v88, v86, s16
	v_cndmask_b32_e64 v92, v89, v71, s20
	v_cmp_eq_u32_e64 s21, 1, v81
	ds_load_b128 v[87:90], v82 offset:1024
	v_cmp_eq_u32_e64 s23, 2, v81
	v_cmp_eq_u32_e64 s25, 3, v81
	v_cndmask_b32_e64 v105, v92, v96, s22
	v_cndmask_b32_e64 v66, v69, v66, s21
	;; [unrolled: 1-line block ×4, first 2 shown]
	ds_load_b128 v[91:94], v82 offset:1040
	v_cmp_eq_u32_e64 s26, 4, v81
	v_cndmask_b32_e64 v66, v66, v70, s23
	v_cmp_eq_u32_e64 s27, 7, v77
	v_cndmask_b32_e64 v70, v83, v84, s23
	v_cndmask_b32_e64 v84, v105, v72, s24
	v_cmp_eq_u32_e64 s28, 5, v81
	v_cndmask_b32_e64 v66, v66, v95, s25
	v_cmp_eq_u32_e64 s29, 6, v81
	v_cndmask_b32_e64 v70, v70, v98, s25
	v_cndmask_b32_e64 v69, v69, v99, s22
	;; [unrolled: 1-line block ×4, first 2 shown]
	s_waitcnt lgkmcnt(1)
	v_lshrrev_b32_e32 v95, 16, v87
	v_cndmask_b32_e64 v70, v70, v85, s26
	v_cndmask_b32_e64 v71, v84, v97, s27
	;; [unrolled: 1-line block ×4, first 2 shown]
	v_cndmask_b32_e32 v84, v87, v95, vcc_lo
	v_cndmask_b32_e64 v70, v70, v99, s28
	s_waitcnt lgkmcnt(0)
	v_lshrrev_b32_e32 v85, 16, v91
	v_lshrrev_b32_e32 v96, 16, v88
	v_cndmask_b32_e64 v98, v87, v95, s3
	v_cndmask_b32_e64 v84, v84, v88, s4
	;; [unrolled: 1-line block ×3, first 2 shown]
	v_cndmask_b32_e32 v99, v91, v85, vcc_lo
	v_cmp_eq_u32_e32 vcc_lo, 7, v81
	v_cndmask_b32_e64 v66, v66, v72, s29
	v_cndmask_b32_e64 v72, v84, v96, s7
	;; [unrolled: 1-line block ×3, first 2 shown]
	v_lshrrev_b32_e32 v98, 16, v92
	v_cndmask_b32_e32 v70, v70, v100, vcc_lo
	v_cndmask_b32_e64 v86, v99, v92, s4
	v_cndmask_b32_e64 v69, v69, v100, s27
	v_lshrrev_b32_e32 v100, 16, v93
	v_cndmask_b32_e64 v72, v72, v89, s9
	v_lshrrev_b32_e32 v99, 16, v89
	v_cndmask_b32_e64 v86, v86, v98, s7
	v_perm_b32 v71, v69, v71, 0x5040100
	v_cndmask_b32_e64 v84, v84, v96, s8
	s_delay_alu instid0(VALU_DEP_3) | instskip(NEXT) | instid1(VALU_DEP_2)
	v_cndmask_b32_e64 v86, v86, v93, s9
	v_cndmask_b32_e64 v84, v84, v89, s11
	s_delay_alu instid0(VALU_DEP_2) | instskip(NEXT) | instid1(VALU_DEP_1)
	v_cndmask_b32_e64 v86, v86, v100, s10
	v_cndmask_b32_e64 v69, v86, v94, s12
	;; [unrolled: 1-line block ×5, first 2 shown]
	s_delay_alu instid0(VALU_DEP_3) | instskip(NEXT) | instid1(VALU_DEP_3)
	v_cndmask_b32_e64 v86, v86, v88, s17
	v_cndmask_b32_e64 v87, v87, v88, s23
	s_delay_alu instid0(VALU_DEP_3) | instskip(NEXT) | instid1(VALU_DEP_3)
	v_cndmask_b32_e64 v88, v95, v92, s23
	v_cndmask_b32_e64 v86, v86, v96, s19
	;; [unrolled: 3-line block ×7, first 2 shown]
	s_delay_alu instid0(VALU_DEP_3) | instskip(SKIP_2) | instid1(VALU_DEP_2)
	v_cndmask_b32_e64 v88, v88, v94, s29
	v_cndmask_b32_e32 v66, v66, v97, vcc_lo
	v_cndmask_b32_e64 v97, v72, v99, s10
	v_perm_b32 v72, v70, v66, 0x5040100
	v_perm_b32 v70, v83, v103, 0x5040100
	v_cndmask_b32_e64 v103, v91, v85, s5
	v_cndmask_b32_e64 v85, v91, v85, s3
	;; [unrolled: 1-line block ×4, first 2 shown]
	v_lshrrev_b32_e32 v97, 16, v90
	v_cndmask_b32_e64 v91, v103, v92, s17
	v_cndmask_b32_e64 v85, v85, v92, s6
	;; [unrolled: 1-line block ×3, first 2 shown]
	s_mov_b32 s3, exec_lo
	v_cndmask_b32_e64 v83, v84, v97, s15
	v_cndmask_b32_e64 v91, v91, v98, s19
	;; [unrolled: 1-line block ×3, first 2 shown]
	v_lshrrev_b32_e32 v84, 16, v94
	v_cndmask_b32_e64 v66, v66, v97, s18
	v_cndmask_b32_e64 v90, v86, v97, s27
	v_cndmask_b32_e64 v89, v91, v93, s20
	v_cndmask_b32_e64 v85, v85, v93, s11
	v_dual_cndmask_b32 v86, v87, v97 :: v_dual_cndmask_b32 v87, v88, v84
	v_cndmask_b32_e64 v91, v69, v84, s15
	s_delay_alu instid0(VALU_DEP_4) | instskip(NEXT) | instid1(VALU_DEP_4)
	v_cndmask_b32_e64 v89, v89, v100, s22
	v_cndmask_b32_e64 v85, v85, v100, s13
	v_perm_b32 v69, v102, v101, 0x5040100
	v_perm_b32 v86, v87, v86, 0x5040100
	;; [unrolled: 1-line block ×3, first 2 shown]
	v_cndmask_b32_e64 v89, v89, v94, s24
	v_cndmask_b32_e64 v85, v85, v94, s16
	s_mul_i32 s8, s35, 9
	s_delay_alu instid0(VALU_DEP_2) | instskip(NEXT) | instid1(VALU_DEP_2)
	v_cndmask_b32_e64 v88, v89, v84, s27
	v_cndmask_b32_e64 v89, v85, v84, s18
	s_delay_alu instid0(VALU_DEP_2) | instskip(NEXT) | instid1(VALU_DEP_2)
	v_perm_b32 v85, v88, v90, 0x5040100
	v_perm_b32 v84, v89, v66, 0x5040100
	ds_store_b128 v76, v[69:72]
	ds_store_b128 v76, v[83:86] offset:1024
	v_cmpx_gt_u32_e32 9, v0
	s_cbranch_execz .LBB1878_78
; %bb.77:
	s_mul_i32 s4, s8, s30
	s_delay_alu instid0(SALU_CYCLE_1) | instskip(SKIP_1) | instid1(VALU_DEP_1)
	v_add3_u32 v69, s4, s31, v65
	s_load_b128 s[4:7], s[0:1], 0x58
	v_mad_u64_u32 v[65:66], null, v69, s34, s[14:15]
	s_delay_alu instid0(VALU_DEP_1) | instskip(NEXT) | instid1(VALU_DEP_1)
	v_ashrrev_i32_e32 v66, 31, v65
	v_lshlrev_b64 v[65:66], 2, v[65:66]
	s_waitcnt lgkmcnt(0)
	s_delay_alu instid0(VALU_DEP_1) | instskip(NEXT) | instid1(VALU_DEP_2)
	v_add_co_u32 v69, vcc_lo, s6, v65
	v_add_co_ci_u32_e32 v70, vcc_lo, s7, v66, vcc_lo
	v_add_co_u32 v65, vcc_lo, s4, v65
	v_add_co_ci_u32_e32 v66, vcc_lo, s5, v66, vcc_lo
	global_store_b32 v[69:70], v67, off
	global_store_b32 v[65:66], v68, off
.LBB1878_78:
	s_or_b32 exec_lo, exec_lo, s3
	s_waitcnt lgkmcnt(0)
	s_waitcnt_vscnt null, 0x0
	s_barrier
	buffer_gl0_inv
	ds_load_b128 v[83:86], v80
	ds_load_b128 v[87:90], v80 offset:16
	ds_load_b128 v[95:98], v80 offset:2064
	;; [unrolled: 1-line block ×3, first 2 shown]
	v_mov_b32_e32 v65, 0
	ds_load_b128 v[103:106], v80 offset:4112
	ds_load_b128 v[99:102], v80 offset:4096
	;; [unrolled: 1-line block ×4, first 2 shown]
	v_mov_b32_e32 v66, v65
	v_mov_b32_e32 v67, v65
	;; [unrolled: 1-line block ×7, first 2 shown]
	s_waitcnt lgkmcnt(6)
	s_delay_alu instid0(VALU_DEP_1)
	v_wmma_f32_16x16x16_bf16 v[65:72], v[49:56], v[83:90], v[65:72]
	ds_load_b128 v[53:56], v80 offset:8208
	ds_load_b128 v[49:52], v80 offset:8192
	s_waitcnt lgkmcnt(6)
	v_wmma_f32_16x16x16_bf16 v[65:72], v[41:48], v[91:98], v[65:72]
	ds_load_b128 v[45:48], v80 offset:10256
	ds_load_b128 v[41:44], v80 offset:10240
	s_waitcnt lgkmcnt(6)
	;; [unrolled: 4-line block ×4, first 2 shown]
	v_wmma_f32_16x16x16_bf16 v[65:72], v[1:8], v[49:56], v[65:72]
	s_waitcnt lgkmcnt(4)
	s_delay_alu instid0(VALU_DEP_1) | instskip(SKIP_1) | instid1(VALU_DEP_1)
	v_wmma_f32_16x16x16_bf16 v[65:72], v[9:16], v[41:48], v[65:72]
	s_waitcnt lgkmcnt(2)
	v_wmma_f32_16x16x16_bf16 v[65:72], v[17:24], v[33:40], v[65:72]
	s_waitcnt lgkmcnt(0)
	s_delay_alu instid0(VALU_DEP_1) | instskip(NEXT) | instid1(VALU_DEP_1)
	v_wmma_f32_16x16x16_bf16 v[65:72], v[57:64], v[25:32], v[65:72]
	v_and_b32_e32 v1, 0x7f800000, v65
	s_delay_alu instid0(VALU_DEP_1) | instskip(SKIP_1) | instid1(SALU_CYCLE_1)
	v_cmp_ne_u32_e32 vcc_lo, 0x7f800000, v1
                                        ; implicit-def: $vgpr1
	s_and_saveexec_b32 s3, vcc_lo
	s_xor_b32 s3, exec_lo, s3
; %bb.79:
	v_bfe_u32 v1, v65, 16, 1
	s_delay_alu instid0(VALU_DEP_1)
	v_add3_u32 v1, v65, v1, 0x7fff
; %bb.80:
	s_and_not1_saveexec_b32 s3, s3
; %bb.81:
	v_and_b32_e32 v1, 0xffff, v65
	v_or_b32_e32 v2, 0x10000, v65
	s_delay_alu instid0(VALU_DEP_2) | instskip(NEXT) | instid1(VALU_DEP_2)
	v_cmp_eq_u32_e32 vcc_lo, 0, v1
	v_cndmask_b32_e32 v1, v2, v65, vcc_lo
; %bb.82:
	s_or_b32 exec_lo, exec_lo, s3
	v_and_b32_e32 v2, 0x7f800000, v66
	s_delay_alu instid0(VALU_DEP_1) | instskip(SKIP_1) | instid1(SALU_CYCLE_1)
	v_cmp_ne_u32_e32 vcc_lo, 0x7f800000, v2
                                        ; implicit-def: $vgpr2
	s_and_saveexec_b32 s3, vcc_lo
	s_xor_b32 s3, exec_lo, s3
; %bb.83:
	v_bfe_u32 v2, v66, 16, 1
	s_delay_alu instid0(VALU_DEP_1)
	v_add3_u32 v2, v66, v2, 0x7fff
; %bb.84:
	s_and_not1_saveexec_b32 s3, s3
; %bb.85:
	v_and_b32_e32 v2, 0xffff, v66
	v_or_b32_e32 v3, 0x10000, v66
	s_delay_alu instid0(VALU_DEP_2) | instskip(NEXT) | instid1(VALU_DEP_2)
	v_cmp_eq_u32_e32 vcc_lo, 0, v2
	v_cndmask_b32_e32 v2, v3, v66, vcc_lo
; %bb.86:
	s_or_b32 exec_lo, exec_lo, s3
	v_and_b32_e32 v3, 0x7f800000, v67
	s_delay_alu instid0(VALU_DEP_1) | instskip(SKIP_1) | instid1(SALU_CYCLE_1)
	v_cmp_ne_u32_e32 vcc_lo, 0x7f800000, v3
                                        ; implicit-def: $vgpr3
	s_and_saveexec_b32 s3, vcc_lo
	s_xor_b32 s3, exec_lo, s3
; %bb.87:
	v_bfe_u32 v3, v67, 16, 1
	s_delay_alu instid0(VALU_DEP_1)
	v_add3_u32 v3, v67, v3, 0x7fff
; %bb.88:
	s_and_not1_saveexec_b32 s3, s3
; %bb.89:
	v_and_b32_e32 v3, 0xffff, v67
	v_or_b32_e32 v4, 0x10000, v67
	s_delay_alu instid0(VALU_DEP_2) | instskip(NEXT) | instid1(VALU_DEP_2)
	v_cmp_eq_u32_e32 vcc_lo, 0, v3
	v_cndmask_b32_e32 v3, v4, v67, vcc_lo
; %bb.90:
	s_or_b32 exec_lo, exec_lo, s3
	v_and_b32_e32 v4, 0x7f800000, v68
	s_delay_alu instid0(VALU_DEP_1) | instskip(SKIP_1) | instid1(SALU_CYCLE_1)
	v_cmp_ne_u32_e32 vcc_lo, 0x7f800000, v4
                                        ; implicit-def: $vgpr4
	s_and_saveexec_b32 s3, vcc_lo
	s_xor_b32 s3, exec_lo, s3
; %bb.91:
	v_bfe_u32 v4, v68, 16, 1
	s_delay_alu instid0(VALU_DEP_1)
	v_add3_u32 v4, v68, v4, 0x7fff
; %bb.92:
	s_and_not1_saveexec_b32 s3, s3
; %bb.93:
	v_and_b32_e32 v4, 0xffff, v68
	v_or_b32_e32 v5, 0x10000, v68
	s_delay_alu instid0(VALU_DEP_2) | instskip(NEXT) | instid1(VALU_DEP_2)
	v_cmp_eq_u32_e32 vcc_lo, 0, v4
	v_cndmask_b32_e32 v4, v5, v68, vcc_lo
; %bb.94:
	s_or_b32 exec_lo, exec_lo, s3
	v_and_b32_e32 v5, 0x7f800000, v69
	s_delay_alu instid0(VALU_DEP_1) | instskip(SKIP_1) | instid1(SALU_CYCLE_1)
	v_cmp_ne_u32_e32 vcc_lo, 0x7f800000, v5
                                        ; implicit-def: $vgpr5
	s_and_saveexec_b32 s3, vcc_lo
	s_xor_b32 s3, exec_lo, s3
; %bb.95:
	v_bfe_u32 v5, v69, 16, 1
	s_delay_alu instid0(VALU_DEP_1)
	v_add3_u32 v5, v69, v5, 0x7fff
; %bb.96:
	s_and_not1_saveexec_b32 s3, s3
; %bb.97:
	v_and_b32_e32 v5, 0xffff, v69
	v_or_b32_e32 v6, 0x10000, v69
	s_delay_alu instid0(VALU_DEP_2) | instskip(NEXT) | instid1(VALU_DEP_2)
	v_cmp_eq_u32_e32 vcc_lo, 0, v5
	v_cndmask_b32_e32 v5, v6, v69, vcc_lo
; %bb.98:
	s_or_b32 exec_lo, exec_lo, s3
	v_and_b32_e32 v6, 0x7f800000, v70
	s_delay_alu instid0(VALU_DEP_1) | instskip(SKIP_1) | instid1(SALU_CYCLE_1)
	v_cmp_ne_u32_e32 vcc_lo, 0x7f800000, v6
                                        ; implicit-def: $vgpr6
	s_and_saveexec_b32 s3, vcc_lo
	s_xor_b32 s3, exec_lo, s3
; %bb.99:
	v_bfe_u32 v6, v70, 16, 1
	s_delay_alu instid0(VALU_DEP_1)
	v_add3_u32 v6, v70, v6, 0x7fff
; %bb.100:
	s_and_not1_saveexec_b32 s3, s3
; %bb.101:
	v_and_b32_e32 v6, 0xffff, v70
	v_or_b32_e32 v7, 0x10000, v70
	s_delay_alu instid0(VALU_DEP_2) | instskip(NEXT) | instid1(VALU_DEP_2)
	v_cmp_eq_u32_e32 vcc_lo, 0, v6
	v_cndmask_b32_e32 v6, v7, v70, vcc_lo
; %bb.102:
	s_or_b32 exec_lo, exec_lo, s3
	v_and_b32_e32 v7, 0x7f800000, v71
	s_delay_alu instid0(VALU_DEP_1) | instskip(SKIP_1) | instid1(SALU_CYCLE_1)
	v_cmp_ne_u32_e32 vcc_lo, 0x7f800000, v7
                                        ; implicit-def: $vgpr7
	s_and_saveexec_b32 s3, vcc_lo
	s_xor_b32 s3, exec_lo, s3
; %bb.103:
	v_bfe_u32 v7, v71, 16, 1
	s_delay_alu instid0(VALU_DEP_1)
	v_add3_u32 v7, v71, v7, 0x7fff
; %bb.104:
	s_and_not1_saveexec_b32 s3, s3
; %bb.105:
	v_and_b32_e32 v7, 0xffff, v71
	v_or_b32_e32 v8, 0x10000, v71
	s_delay_alu instid0(VALU_DEP_2) | instskip(NEXT) | instid1(VALU_DEP_2)
	v_cmp_eq_u32_e32 vcc_lo, 0, v7
	v_cndmask_b32_e32 v7, v8, v71, vcc_lo
; %bb.106:
	s_or_b32 exec_lo, exec_lo, s3
	v_and_b32_e32 v8, 0x7f800000, v72
	s_delay_alu instid0(VALU_DEP_1) | instskip(SKIP_1) | instid1(SALU_CYCLE_1)
	v_cmp_ne_u32_e32 vcc_lo, 0x7f800000, v8
                                        ; implicit-def: $vgpr8
	s_and_saveexec_b32 s3, vcc_lo
	s_xor_b32 s3, exec_lo, s3
; %bb.107:
	v_bfe_u32 v8, v72, 16, 1
	s_delay_alu instid0(VALU_DEP_1)
	v_add3_u32 v8, v72, v8, 0x7fff
                                        ; implicit-def: $vgpr65_vgpr66_vgpr67_vgpr68_vgpr69_vgpr70_vgpr71_vgpr72
; %bb.108:
	s_and_not1_saveexec_b32 s3, s3
; %bb.109:
	v_and_b32_e32 v8, 0xffff, v72
	v_or_b32_e32 v9, 0x10000, v72
	s_delay_alu instid0(VALU_DEP_2) | instskip(NEXT) | instid1(VALU_DEP_2)
	v_cmp_eq_u32_e32 vcc_lo, 0, v8
	v_cndmask_b32_e32 v8, v9, v72, vcc_lo
; %bb.110:
	s_or_b32 exec_lo, exec_lo, s3
	s_delay_alu instid0(VALU_DEP_1)
	v_perm_b32 v7, v8, v7, 0x7060302
	v_perm_b32 v6, v6, v5, 0x7060302
	;; [unrolled: 1-line block ×4, first 2 shown]
	s_barrier
	buffer_gl0_inv
	v_cmp_eq_u32_e32 vcc_lo, 1, v78
	ds_store_b128 v76, v[4:7]
	s_waitcnt lgkmcnt(0)
	s_barrier
	buffer_gl0_inv
	ds_load_b128 v[1:4], v82
	ds_load_b128 v[5:8], v82 offset:16
	v_cmp_eq_u32_e64 s3, 1, v79
	v_cmp_eq_u32_e64 s4, 2, v78
	;; [unrolled: 1-line block ×5, first 2 shown]
	s_waitcnt lgkmcnt(1)
	v_lshrrev_b32_e32 v9, 16, v1
	s_waitcnt lgkmcnt(0)
	v_lshrrev_b32_e32 v13, 16, v5
	v_lshrrev_b32_e32 v10, 16, v2
	;; [unrolled: 1-line block ×4, first 2 shown]
	v_cndmask_b32_e64 v19, v1, v9, s3
	v_cndmask_b32_e32 v18, v5, v13, vcc_lo
	v_cndmask_b32_e64 v20, v5, v13, s3
	v_cndmask_b32_e32 v17, v1, v9, vcc_lo
	v_cmp_eq_u32_e32 vcc_lo, 2, v79
	v_lshrrev_b32_e32 v15, 16, v7
	v_cmp_eq_u32_e64 s3, 1, v77
	v_lshrrev_b32_e32 v12, 16, v4
	v_lshrrev_b32_e32 v16, 16, v8
	v_cndmask_b32_e32 v20, v20, v6, vcc_lo
	v_cndmask_b32_e64 v17, v17, v2, s4
	v_cndmask_b32_e32 v19, v19, v2, vcc_lo
	v_cndmask_b32_e64 v18, v18, v6, s4
	v_cmp_eq_u32_e32 vcc_lo, 4, v78
	v_cmp_eq_u32_e64 s4, 3, v79
	v_cndmask_b32_e64 v17, v17, v10, s5
	v_cndmask_b32_e64 v21, v1, v9, s3
	;; [unrolled: 1-line block ×5, first 2 shown]
	v_cndmask_b32_e32 v17, v17, v3, vcc_lo
	v_cndmask_b32_e64 v20, v20, v14, s4
	v_cndmask_b32_e32 v18, v18, v7, vcc_lo
	v_cmp_eq_u32_e32 vcc_lo, 4, v79
	v_cmp_eq_u32_e64 s4, 5, v79
	v_cmp_eq_u32_e64 s3, 2, v81
	v_cndmask_b32_e64 v21, v21, v2, s7
	v_cmp_eq_u32_e64 s5, 5, v78
	v_cndmask_b32_e32 v19, v19, v3, vcc_lo
	v_cndmask_b32_e32 v20, v20, v7, vcc_lo
	v_cmp_eq_u32_e32 vcc_lo, 6, v79
	s_delay_alu instid0(VALU_DEP_4) | instskip(NEXT) | instid1(VALU_DEP_4)
	v_cndmask_b32_e64 v17, v17, v11, s5
	v_cndmask_b32_e64 v19, v19, v11, s4
	s_delay_alu instid0(VALU_DEP_4) | instskip(SKIP_1) | instid1(VALU_DEP_3)
	v_cndmask_b32_e64 v20, v20, v15, s4
	v_cmp_eq_u32_e64 s4, 1, v81
	v_cndmask_b32_e32 v19, v19, v4, vcc_lo
	v_cndmask_b32_e64 v18, v18, v15, s5
	s_delay_alu instid0(VALU_DEP_3)
	v_cndmask_b32_e64 v1, v1, v9, s4
	v_cndmask_b32_e64 v5, v5, v13, s4
	v_cmp_eq_u32_e64 s4, 3, v77
	v_cndmask_b32_e64 v13, v22, v6, s7
	v_cmp_eq_u32_e64 s7, 3, v81
	v_cndmask_b32_e64 v1, v1, v2, s3
	v_cndmask_b32_e64 v2, v5, v6, s3
	v_cndmask_b32_e64 v9, v21, v10, s4
	v_cmp_eq_u32_e64 s3, 4, v77
	v_cndmask_b32_e64 v6, v13, v14, s4
	v_cndmask_b32_e64 v1, v1, v10, s7
	v_cmp_eq_u32_e64 s4, 4, v81
	v_cndmask_b32_e64 v2, v2, v14, s7
	v_cndmask_b32_e64 v5, v9, v3, s3
	;; [unrolled: 3-line block ×3, first 2 shown]
	v_cndmask_b32_e64 v2, v2, v7, s4
	v_cmp_eq_u32_e64 s3, 5, v81
	v_cmp_eq_u32_e64 s5, 6, v78
	v_cndmask_b32_e64 v5, v5, v11, s7
	v_cmp_eq_u32_e64 s4, 6, v77
	v_cndmask_b32_e64 v3, v6, v15, s7
	v_cndmask_b32_e64 v1, v1, v11, s3
	v_cmp_eq_u32_e64 s7, 6, v81
	v_cndmask_b32_e64 v2, v2, v15, s3
	v_cndmask_b32_e64 v17, v17, v4, s5
	v_cndmask_b32_e64 v18, v18, v8, s5
	v_cmp_eq_u32_e64 s5, 7, v78
	v_cndmask_b32_e64 v5, v5, v4, s4
	;; [unrolled: 4-line block ×3, first 2 shown]
	v_cmp_eq_u32_e64 s4, 7, v77
	v_cndmask_b32_e32 v4, v20, v8, vcc_lo
	v_cndmask_b32_e64 v17, v17, v12, s5
	v_cndmask_b32_e64 v19, v19, v12, s6
	;; [unrolled: 1-line block ×8, first 2 shown]
	s_mov_b32 s3, exec_lo
	v_perm_b32 v4, v2, v1, 0x5040100
	v_perm_b32 v3, v3, v5, 0x5040100
	;; [unrolled: 1-line block ×4, first 2 shown]
	ds_store_b128 v76, v[1:4]
	s_waitcnt lgkmcnt(0)
	s_barrier
	buffer_gl0_inv
	v_cmpx_gt_u32_e32 32, v0
	s_cbranch_execz .LBB1878_2
; %bb.111:
	s_load_b64 s[4:5], s[0:1], 0x68
	v_lshlrev_b32_e32 v0, 10, v0
	v_lshlrev_b32_e32 v1, 4, v75
	s_lshl_b32 s0, s34, 7
	v_add_nc_u32_e32 v2, s31, v74
	s_mul_i32 s1, s0, s30
	s_delay_alu instid0(SALU_CYCLE_1) | instskip(SKIP_1) | instid1(VALU_DEP_2)
	s_mul_i32 s6, s1, s8
	v_and_or_b32 v0, 0x3800, v0, v1
	v_mul_lo_u32 v1, v2, s0
	s_ashr_i32 s7, s6, 31
	v_add_nc_u32_e32 v3, 2, v2
	s_lshl_b64 s[6:7], s[6:7], 1
	v_add_nc_u32_e32 v4, 4, v2
	v_add_nc_u32_e32 v5, 6, v2
	v_lshl_or_b32 v15, v74, 6, v0
	v_mul_lo_u32 v3, v3, s0
	v_ashrrev_i32_e32 v2, 31, v1
	v_mul_lo_u32 v19, v4, s0
	v_mul_lo_u32 v21, v5, s0
	s_waitcnt lgkmcnt(0)
	s_add_u32 s1, s4, s6
	s_addc_u32 s3, s5, s7
	s_lshl_b32 s4, s14, 7
	v_lshlrev_b64 v[5:6], 1, v[1:2]
	s_ashr_i32 s5, s4, 31
	v_ashrrev_i32_e32 v4, 31, v3
	s_lshl_b64 s[4:5], s[4:5], 1
	v_ashrrev_i32_e32 v20, 31, v19
	s_add_u32 s1, s1, s4
	s_addc_u32 s3, s3, s5
	v_add_co_u32 v1, s1, s1, v73
	s_delay_alu instid0(VALU_DEP_1) | instskip(SKIP_1) | instid1(VALU_DEP_3)
	v_add_co_ci_u32_e64 v2, null, s3, 0, s1
	v_lshlrev_b64 v[25:26], 1, v[3:4]
	v_add_co_u32 v23, vcc_lo, v1, v5
	s_delay_alu instid0(VALU_DEP_3)
	v_add_co_ci_u32_e32 v24, vcc_lo, v2, v6, vcc_lo
	ds_load_b128 v[3:6], v15
	ds_load_b128 v[7:10], v15 offset:128
	ds_load_b128 v[11:14], v15 offset:256
	;; [unrolled: 1-line block ×3, first 2 shown]
	v_ashrrev_i32_e32 v22, 31, v21
	v_lshlrev_b64 v[19:20], 1, v[19:20]
	v_add_co_u32 v25, vcc_lo, v1, v25
	v_add_co_ci_u32_e32 v26, vcc_lo, v2, v26, vcc_lo
	s_delay_alu instid0(VALU_DEP_4) | instskip(NEXT) | instid1(VALU_DEP_4)
	v_lshlrev_b64 v[21:22], 1, v[21:22]
	v_add_co_u32 v19, vcc_lo, v1, v19
	v_add_co_ci_u32_e32 v20, vcc_lo, v2, v20, vcc_lo
	s_delay_alu instid0(VALU_DEP_3) | instskip(NEXT) | instid1(VALU_DEP_4)
	v_add_co_u32 v21, vcc_lo, v1, v21
	v_add_co_ci_u32_e32 v22, vcc_lo, v2, v22, vcc_lo
	s_waitcnt lgkmcnt(3)
	global_store_b128 v[23:24], v[3:6], off
	s_waitcnt lgkmcnt(2)
	global_store_b128 v[25:26], v[7:10], off
	;; [unrolled: 2-line block ×4, first 2 shown]
	s_and_b32 exec_lo, exec_lo, s2
	s_cbranch_execz .LBB1878_2
; %bb.112:
	ds_load_b128 v[3:6], v0 offset:512
	s_add_i32 s1, s31, 8
	s_delay_alu instid0(SALU_CYCLE_1) | instskip(NEXT) | instid1(SALU_CYCLE_1)
	s_mul_i32 s0, s1, s0
	s_ashr_i32 s1, s0, 31
	s_delay_alu instid0(SALU_CYCLE_1) | instskip(NEXT) | instid1(SALU_CYCLE_1)
	s_lshl_b64 s[0:1], s[0:1], 1
	v_add_co_u32 v0, vcc_lo, v1, s0
	v_add_co_ci_u32_e32 v1, vcc_lo, s1, v2, vcc_lo
	s_waitcnt lgkmcnt(0)
	global_store_b128 v[0:1], v[3:6], off
	s_nop 0
	s_sendmsg sendmsg(MSG_DEALLOC_VGPRS)
	s_endpgm
	.section	.rodata,"a",@progbits
	.p2align	6, 0x0
	.amdhsa_kernel _Z39paged_attention_ll4mi_QKV_mfma16_kernelI14__hip_bfloat16hLN4vllm18Fp8KVCacheDataTypeE1EhLi32ELi128ELi256ELb0ELi9EL8MFMAType0EEvPKT_PKT0_S9_ifPKiSB_SB_iPKfiiiPfSE_PS4_PT2_iSD_SD_
		.amdhsa_group_segment_fixed_size 17472
		.amdhsa_private_segment_fixed_size 0
		.amdhsa_kernarg_size 400
		.amdhsa_user_sgpr_count 13
		.amdhsa_user_sgpr_dispatch_ptr 0
		.amdhsa_user_sgpr_queue_ptr 0
		.amdhsa_user_sgpr_kernarg_segment_ptr 1
		.amdhsa_user_sgpr_dispatch_id 0
		.amdhsa_user_sgpr_private_segment_size 0
		.amdhsa_wavefront_size32 1
		.amdhsa_uses_dynamic_stack 0
		.amdhsa_enable_private_segment 0
		.amdhsa_system_sgpr_workgroup_id_x 1
		.amdhsa_system_sgpr_workgroup_id_y 1
		.amdhsa_system_sgpr_workgroup_id_z 1
		.amdhsa_system_sgpr_workgroup_info 0
		.amdhsa_system_vgpr_workitem_id 0
		.amdhsa_next_free_vgpr 140
		.amdhsa_next_free_sgpr 36
		.amdhsa_reserve_vcc 1
		.amdhsa_float_round_mode_32 0
		.amdhsa_float_round_mode_16_64 0
		.amdhsa_float_denorm_mode_32 3
		.amdhsa_float_denorm_mode_16_64 3
		.amdhsa_dx10_clamp 1
		.amdhsa_ieee_mode 1
		.amdhsa_fp16_overflow 0
		.amdhsa_workgroup_processor_mode 1
		.amdhsa_memory_ordered 1
		.amdhsa_forward_progress 0
		.amdhsa_shared_vgpr_count 0
		.amdhsa_exception_fp_ieee_invalid_op 0
		.amdhsa_exception_fp_denorm_src 0
		.amdhsa_exception_fp_ieee_div_zero 0
		.amdhsa_exception_fp_ieee_overflow 0
		.amdhsa_exception_fp_ieee_underflow 0
		.amdhsa_exception_fp_ieee_inexact 0
		.amdhsa_exception_int_div_zero 0
	.end_amdhsa_kernel
	.section	.text._Z39paged_attention_ll4mi_QKV_mfma16_kernelI14__hip_bfloat16hLN4vllm18Fp8KVCacheDataTypeE1EhLi32ELi128ELi256ELb0ELi9EL8MFMAType0EEvPKT_PKT0_S9_ifPKiSB_SB_iPKfiiiPfSE_PS4_PT2_iSD_SD_,"axG",@progbits,_Z39paged_attention_ll4mi_QKV_mfma16_kernelI14__hip_bfloat16hLN4vllm18Fp8KVCacheDataTypeE1EhLi32ELi128ELi256ELb0ELi9EL8MFMAType0EEvPKT_PKT0_S9_ifPKiSB_SB_iPKfiiiPfSE_PS4_PT2_iSD_SD_,comdat
.Lfunc_end1878:
	.size	_Z39paged_attention_ll4mi_QKV_mfma16_kernelI14__hip_bfloat16hLN4vllm18Fp8KVCacheDataTypeE1EhLi32ELi128ELi256ELb0ELi9EL8MFMAType0EEvPKT_PKT0_S9_ifPKiSB_SB_iPKfiiiPfSE_PS4_PT2_iSD_SD_, .Lfunc_end1878-_Z39paged_attention_ll4mi_QKV_mfma16_kernelI14__hip_bfloat16hLN4vllm18Fp8KVCacheDataTypeE1EhLi32ELi128ELi256ELb0ELi9EL8MFMAType0EEvPKT_PKT0_S9_ifPKiSB_SB_iPKfiiiPfSE_PS4_PT2_iSD_SD_
                                        ; -- End function
	.section	.AMDGPU.csdata,"",@progbits
; Kernel info:
; codeLenInByte = 8984
; NumSgprs: 38
; NumVgprs: 140
; ScratchSize: 0
; MemoryBound: 0
; FloatMode: 240
; IeeeMode: 1
; LDSByteSize: 17472 bytes/workgroup (compile time only)
; SGPRBlocks: 4
; VGPRBlocks: 17
; NumSGPRsForWavesPerEU: 38
; NumVGPRsForWavesPerEU: 140
; Occupancy: 10
; WaveLimiterHint : 1
; COMPUTE_PGM_RSRC2:SCRATCH_EN: 0
; COMPUTE_PGM_RSRC2:USER_SGPR: 13
; COMPUTE_PGM_RSRC2:TRAP_HANDLER: 0
; COMPUTE_PGM_RSRC2:TGID_X_EN: 1
; COMPUTE_PGM_RSRC2:TGID_Y_EN: 1
; COMPUTE_PGM_RSRC2:TGID_Z_EN: 1
; COMPUTE_PGM_RSRC2:TIDIG_COMP_CNT: 0
	.section	.text._Z39paged_attention_ll4mi_QKV_mfma16_kernelI14__hip_bfloat16hLN4vllm18Fp8KVCacheDataTypeE1EhLi32ELi128ELi256ELb0ELi10EL8MFMAType0EEvPKT_PKT0_S9_ifPKiSB_SB_iPKfiiiPfSE_PS4_PT2_iSD_SD_,"axG",@progbits,_Z39paged_attention_ll4mi_QKV_mfma16_kernelI14__hip_bfloat16hLN4vllm18Fp8KVCacheDataTypeE1EhLi32ELi128ELi256ELb0ELi10EL8MFMAType0EEvPKT_PKT0_S9_ifPKiSB_SB_iPKfiiiPfSE_PS4_PT2_iSD_SD_,comdat
	.protected	_Z39paged_attention_ll4mi_QKV_mfma16_kernelI14__hip_bfloat16hLN4vllm18Fp8KVCacheDataTypeE1EhLi32ELi128ELi256ELb0ELi10EL8MFMAType0EEvPKT_PKT0_S9_ifPKiSB_SB_iPKfiiiPfSE_PS4_PT2_iSD_SD_ ; -- Begin function _Z39paged_attention_ll4mi_QKV_mfma16_kernelI14__hip_bfloat16hLN4vllm18Fp8KVCacheDataTypeE1EhLi32ELi128ELi256ELb0ELi10EL8MFMAType0EEvPKT_PKT0_S9_ifPKiSB_SB_iPKfiiiPfSE_PS4_PT2_iSD_SD_
	.globl	_Z39paged_attention_ll4mi_QKV_mfma16_kernelI14__hip_bfloat16hLN4vllm18Fp8KVCacheDataTypeE1EhLi32ELi128ELi256ELb0ELi10EL8MFMAType0EEvPKT_PKT0_S9_ifPKiSB_SB_iPKfiiiPfSE_PS4_PT2_iSD_SD_
	.p2align	8
	.type	_Z39paged_attention_ll4mi_QKV_mfma16_kernelI14__hip_bfloat16hLN4vllm18Fp8KVCacheDataTypeE1EhLi32ELi128ELi256ELb0ELi10EL8MFMAType0EEvPKT_PKT0_S9_ifPKiSB_SB_iPKfiiiPfSE_PS4_PT2_iSD_SD_,@function
_Z39paged_attention_ll4mi_QKV_mfma16_kernelI14__hip_bfloat16hLN4vllm18Fp8KVCacheDataTypeE1EhLi32ELi128ELi256ELb0ELi10EL8MFMAType0EEvPKT_PKT0_S9_ifPKiSB_SB_iPKfiiiPfSE_PS4_PT2_iSD_SD_: ; @_Z39paged_attention_ll4mi_QKV_mfma16_kernelI14__hip_bfloat16hLN4vllm18Fp8KVCacheDataTypeE1EhLi32ELi128ELi256ELb0ELi10EL8MFMAType0EEvPKT_PKT0_S9_ifPKiSB_SB_iPKfiiiPfSE_PS4_PT2_iSD_SD_
; %bb.0:
	s_load_b64 s[4:5], s[0:1], 0x30
	s_mov_b32 s30, s13
	s_waitcnt lgkmcnt(0)
	s_cmp_lg_u64 s[4:5], 0
	s_cselect_b32 s13, -1, 0
	s_ashr_i32 s31, s30, 31
	s_cmp_eq_u64 s[4:5], 0
	s_cbranch_scc1 .LBB1879_3
; %bb.1:
	s_lshl_b64 s[2:3], s[30:31], 2
	s_delay_alu instid0(SALU_CYCLE_1) | instskip(SKIP_4) | instid1(SALU_CYCLE_1)
	s_add_u32 s2, s4, s2
	s_addc_u32 s3, s5, s3
	s_load_b64 s[2:3], s[2:3], 0x0
	s_waitcnt lgkmcnt(0)
	s_sub_i32 s2, s3, s2
	s_cmp_eq_u32 s2, 1
	s_cselect_b32 s2, -1, 0
	s_delay_alu instid0(SALU_CYCLE_1)
	s_and_not1_b32 vcc_lo, exec_lo, s2
	s_cbranch_vccz .LBB1879_4
.LBB1879_2:
	s_endpgm
.LBB1879_3:
.LBB1879_4:
	s_load_b64 s[2:3], s[0:1], 0x28
	s_lshl_b64 s[6:7], s[30:31], 2
	s_waitcnt lgkmcnt(0)
	s_add_u32 s2, s2, s6
	s_addc_u32 s3, s3, s7
	s_lshl_b32 s12, s14, 8
	s_load_b32 s17, s[2:3], 0x0
	s_waitcnt lgkmcnt(0)
	s_cmp_ge_i32 s12, s17
	s_cbranch_scc1 .LBB1879_2
; %bb.5:
	s_clause 0x1
	s_load_b128 s[8:11], s[0:1], 0x8
	s_load_b64 s[2:3], s[0:1], 0x20
	s_and_not1_b32 vcc_lo, exec_lo, s13
	s_cbranch_vccnz .LBB1879_7
; %bb.6:
	s_add_u32 s4, s4, s6
	s_addc_u32 s5, s5, s7
	s_load_b32 s13, s[4:5], 0x0
	s_branch .LBB1879_8
.LBB1879_7:
	s_mov_b32 s13, s30
.LBB1879_8:
	s_load_b128 s[4:7], s[0:1], 0x48
	v_and_b32_e32 v65, 15, v0
	v_lshrrev_b32_e32 v66, 5, v0
	v_and_b32_e32 v67, 31, v0
	v_and_b32_e32 v75, 1, v0
	v_bfe_u32 v74, v0, 4, 1
	v_lshlrev_b32_e32 v1, 3, v65
	s_mul_i32 s29, s15, 10
	s_waitcnt lgkmcnt(0)
	s_mov_b32 s7, exec_lo
	s_delay_alu instid0(VALU_DEP_1)
	v_lshlrev_b32_e32 v73, 1, v1
	v_cmpx_gt_u32_e32 0xa0, v0
	s_cbranch_execz .LBB1879_10
; %bb.9:
	s_load_b64 s[18:19], s[0:1], 0x0
	v_lshl_or_b32 v5, v66, 1, v74
	s_mul_hi_i32 s21, s13, s4
	s_mul_i32 s20, s13, s4
	v_lshlrev_b32_e32 v6, 10, v65
	s_lshl_b64 s[20:21], s[20:21], 1
	v_add_lshl_u32 v1, v5, s29, 7
	v_lshlrev_b32_e32 v5, 6, v5
	v_lshlrev_b32_e32 v7, 10, v75
	v_and_b32_e32 v6, 0x3800, v6
	s_delay_alu instid0(VALU_DEP_4) | instskip(NEXT) | instid1(VALU_DEP_2)
	v_ashrrev_i32_e32 v2, 31, v1
	v_or3_b32 v5, v6, v7, v5
	s_delay_alu instid0(VALU_DEP_2) | instskip(SKIP_3) | instid1(VALU_DEP_1)
	v_lshlrev_b64 v[1:2], 1, v[1:2]
	s_waitcnt lgkmcnt(0)
	s_add_u32 s4, s18, s20
	s_addc_u32 s13, s19, s21
	v_add_co_u32 v1, vcc_lo, s4, v1
	s_delay_alu instid0(VALU_DEP_2) | instskip(NEXT) | instid1(VALU_DEP_2)
	v_add_co_ci_u32_e32 v2, vcc_lo, s13, v2, vcc_lo
	v_add_co_u32 v1, vcc_lo, v1, v73
	s_delay_alu instid0(VALU_DEP_2)
	v_add_co_ci_u32_e32 v2, vcc_lo, 0, v2, vcc_lo
	global_load_b128 v[1:4], v[1:2], off
	s_waitcnt vmcnt(0)
	ds_store_b128 v5, v[1:4]
.LBB1879_10:
	s_or_b32 exec_lo, exec_lo, s7
	v_and_b32_e32 v1, 0xef, v0
	s_add_i32 s4, s17, 31
	s_clause 0x1
	s_load_b32 s7, s[0:1], 0x38
	s_load_b32 s18, s[0:1], 0x1c
	s_ashr_i32 s13, s4, 31
	v_add_nc_u32_e32 v1, s12, v1
	s_lshr_b32 s13, s13, 27
	s_waitcnt lgkmcnt(0)
	s_add_i32 s4, s4, s13
	s_barrier
	v_ashrrev_i32_e32 v2, 31, v1
	v_or_b32_e32 v3, 16, v1
	s_ashr_i32 s4, s4, 5
	v_cmp_gt_i32_e32 vcc_lo, s17, v1
	s_add_i32 s4, s4, -1
	v_lshrrev_b32_e32 v2, 27, v2
	buffer_gl0_inv
	s_mul_i32 s15, s15, s6
	v_add_nc_u32_e32 v4, v1, v2
	s_mul_i32 s20, s30, s7
	s_delay_alu instid0(SALU_CYCLE_1) | instskip(NEXT) | instid1(VALU_DEP_1)
	s_ashr_i32 s21, s20, 31
	v_ashrrev_i32_e32 v4, 5, v4
	v_add_nc_u32_e32 v2, v3, v2
	s_lshl_b64 s[20:21], s[20:21], 2
	s_delay_alu instid0(SALU_CYCLE_1) | instskip(NEXT) | instid1(VALU_DEP_2)
	s_add_u32 s13, s2, s20
	v_cndmask_b32_e32 v1, s4, v4, vcc_lo
	s_delay_alu instid0(VALU_DEP_2)
	v_ashrrev_i32_e32 v2, 5, v2
	v_cmp_gt_i32_e32 vcc_lo, s17, v3
	s_addc_u32 s16, s3, s21
	s_ashr_i32 s19, s15, 31
	s_add_u32 s2, s8, s15
	s_addc_u32 s3, s9, s19
	v_cndmask_b32_e32 v3, s4, v2, vcc_lo
	v_ashrrev_i32_e32 v2, 31, v1
	s_lshl_b32 s6, s14, 3
	s_delay_alu instid0(SALU_CYCLE_1) | instskip(NEXT) | instid1(VALU_DEP_2)
	s_ashr_i32 s7, s6, 31
	v_ashrrev_i32_e32 v4, 31, v3
	s_delay_alu instid0(VALU_DEP_2) | instskip(SKIP_1) | instid1(SALU_CYCLE_1)
	v_lshlrev_b64 v[1:2], 2, v[1:2]
	s_lshl_b64 s[6:7], s[6:7], 2
	s_add_u32 s6, s13, s6
	s_delay_alu instid0(VALU_DEP_2) | instskip(SKIP_1) | instid1(VALU_DEP_2)
	v_lshlrev_b64 v[3:4], 2, v[3:4]
	s_addc_u32 s7, s16, s7
	v_add_co_u32 v1, vcc_lo, s13, v1
	v_add_co_ci_u32_e32 v2, vcc_lo, s16, v2, vcc_lo
	s_delay_alu instid0(VALU_DEP_3) | instskip(NEXT) | instid1(VALU_DEP_4)
	v_add_co_u32 v3, vcc_lo, s13, v3
	v_add_co_ci_u32_e32 v4, vcc_lo, s16, v4, vcc_lo
	s_clause 0x1
	global_load_b32 v5, v[1:2], off
	global_load_b32 v6, v[3:4], off
	s_or_b32 s8, s12, 32
	s_delay_alu instid0(SALU_CYCLE_1) | instskip(SKIP_2) | instid1(SALU_CYCLE_1)
	s_ashr_i32 s9, s8, 5
	s_cmp_lt_i32 s8, s17
	s_cselect_b32 s8, s9, s4
	s_ashr_i32 s9, s8, 31
	s_delay_alu instid0(SALU_CYCLE_1) | instskip(NEXT) | instid1(SALU_CYCLE_1)
	s_lshl_b64 s[8:9], s[8:9], 2
	s_add_u32 s8, s13, s8
	s_addc_u32 s9, s16, s9
	s_or_b32 s20, s12, 64
	s_delay_alu instid0(SALU_CYCLE_1) | instskip(SKIP_2) | instid1(SALU_CYCLE_1)
	s_ashr_i32 s21, s20, 5
	s_cmp_lt_i32 s20, s17
	s_cselect_b32 s20, s21, s4
	s_ashr_i32 s21, s20, 31
	s_delay_alu instid0(SALU_CYCLE_1) | instskip(NEXT) | instid1(SALU_CYCLE_1)
	s_lshl_b64 s[20:21], s[20:21], 2
	s_add_u32 s20, s13, s20
	s_addc_u32 s21, s16, s21
	;; [unrolled: 10-line block ×5, first 2 shown]
	s_clause 0x5
	s_load_b32 s28, s[6:7], 0x0
	s_load_b32 s8, s[8:9], 0x0
	;; [unrolled: 1-line block ×6, first 2 shown]
	s_mov_b32 s20, 0
	s_delay_alu instid0(SALU_CYCLE_1)
	s_mov_b32 s21, s20
	s_mov_b32 s22, s20
	;; [unrolled: 1-line block ×7, first 2 shown]
	s_delay_alu instid0(SALU_CYCLE_1)
	v_dual_mov_b32 v107, s27 :: v_dual_mov_b32 v106, s26
	v_dual_mov_b32 v104, s24 :: v_dual_mov_b32 v103, s23
	;; [unrolled: 1-line block ×3, first 2 shown]
	v_mov_b32_e32 v100, s20
	s_waitcnt vmcnt(1)
	v_mad_i64_i32 v[1:2], null, v5, s5, s[2:3]
	v_lshlrev_b32_e32 v5, 4, v65
	s_waitcnt vmcnt(0)
	v_mad_i64_i32 v[3:4], null, v6, s5, s[2:3]
	s_or_b32 s2, s12, 0xc0
	s_delay_alu instid0(SALU_CYCLE_1) | instskip(NEXT) | instid1(VALU_DEP_3)
	s_ashr_i32 s3, s2, 5
	v_add_co_u32 v33, vcc_lo, v1, v5
	s_delay_alu instid0(VALU_DEP_4) | instskip(NEXT) | instid1(VALU_DEP_3)
	v_add_co_ci_u32_e32 v34, vcc_lo, 0, v2, vcc_lo
	v_add_co_u32 v35, vcc_lo, v3, v5
	s_delay_alu instid0(VALU_DEP_4)
	v_add_co_ci_u32_e32 v36, vcc_lo, 0, v4, vcc_lo
	s_clause 0xf
	global_load_b128 v[1:4], v[33:34], off
	global_load_b128 v[5:8], v[33:34], off offset:512
	global_load_b128 v[9:12], v[35:36], off offset:256
	;; [unrolled: 1-line block ×15, first 2 shown]
	s_cmp_lt_i32 s2, s17
	v_add_nc_u32_e32 v33, -10, v65
	s_cselect_b32 s2, s3, s4
	v_cmp_gt_u32_e32 vcc_lo, 10, v65
	s_ashr_i32 s3, s2, 31
	v_lshlrev_b32_e32 v34, 5, v65
	s_lshl_b64 s[2:3], s[2:3], 2
	s_delay_alu instid0(SALU_CYCLE_1)
	s_add_u32 s2, s13, s2
	s_addc_u32 s3, s16, s3
	s_or_b32 s6, s12, 0xe0
	v_cndmask_b32_e32 v33, v33, v65, vcc_lo
	s_ashr_i32 s7, s6, 5
	s_cmp_lt_i32 s6, s17
	v_mov_b32_e32 v105, s25
	s_cselect_b32 s6, s7, s4
	v_lshlrev_b32_e32 v72, 6, v33
	s_ashr_i32 s7, s6, 31
	v_lshl_or_b32 v41, v66, 9, v34
	s_lshl_b64 s[6:7], s[6:7], 2
	ds_load_b128 v[33:36], v72
	ds_load_b128 v[37:40], v72 offset:1024
	ds_load_b128 v[108:111], v72 offset:2048
	;; [unrolled: 1-line block ×3, first 2 shown]
	s_load_b32 s4, s[2:3], 0x0
	s_add_u32 s2, s13, s6
	s_addc_u32 s3, s16, s7
	ds_load_b128 v[116:119], v72 offset:4096
	ds_load_b128 v[120:123], v72 offset:5120
	s_load_b32 s2, s[2:3], 0x0
	s_add_u32 s6, s10, s15
	s_addc_u32 s7, s11, s19
	v_add_co_u32 v68, s6, s6, v41
	s_delay_alu instid0(VALU_DEP_1) | instskip(SKIP_1) | instid1(VALU_DEP_1)
	v_add_co_ci_u32_e64 v69, null, s7, 0, s6
	s_waitcnt lgkmcnt(0)
	v_mad_i64_i32 v[41:42], null, s28, s5, v[68:69]
	v_mad_i64_i32 v[70:71], null, s9, s5, v[68:69]
	;; [unrolled: 1-line block ×7, first 2 shown]
	s_clause 0x3
	global_load_b128 v[49:52], v[41:42], off
	global_load_b128 v[53:56], v[41:42], off offset:16
	global_load_b128 v[41:44], v[45:46], off
	global_load_b128 v[45:48], v[45:46], off offset:16
	s_waitcnt vmcnt(18)
	v_wmma_f32_16x16x16_bf16 v[124:131], v[1:8], v[33:40], v[100:107]
	s_waitcnt vmcnt(16)
	v_wmma_f32_16x16x16_bf16 v[100:107], v[9:16], v[33:40], v[100:107]
	s_clause 0x1
	global_load_b128 v[33:36], v[70:71], off
	global_load_b128 v[37:40], v[70:71], off offset:16
	v_mad_i64_i32 v[70:71], null, s2, s5, v[68:69]
	s_waitcnt vmcnt(16)
	v_wmma_f32_16x16x16_bf16 v[124:131], v[17:24], v[108:115], v[124:131]
	s_waitcnt vmcnt(14)
	v_wmma_f32_16x16x16_bf16 v[100:107], v[25:32], v[108:115], v[100:107]
	s_clause 0x7
	global_load_b128 v[25:28], v[132:133], off
	global_load_b128 v[29:32], v[132:133], off offset:16
	global_load_b128 v[1:4], v[134:135], off
	global_load_b128 v[5:8], v[134:135], off offset:16
	;; [unrolled: 2-line block ×4, first 2 shown]
	s_waitcnt vmcnt(20)
	v_wmma_f32_16x16x16_bf16 v[124:131], v[57:64], v[116:123], v[124:131]
	s_clause 0x1
	global_load_b128 v[57:60], v[70:71], off
	global_load_b128 v[61:64], v[70:71], off offset:16
	s_waitcnt vmcnt(20)
	v_wmma_f32_16x16x16_bf16 v[100:107], v[76:83], v[116:123], v[100:107]
	ds_load_b128 v[76:79], v72 offset:6144
	ds_load_b128 v[80:83], v72 offset:7168
	v_and_b32_e32 v68, 0xe0, v0
	v_mbcnt_lo_u32_b32 v69, -1, 0
	s_waitcnt vmcnt(0) lgkmcnt(0)
	s_barrier
	buffer_gl0_inv
	v_add_nc_u32_e32 v68, s12, v68
	v_xor_b32_e32 v70, 16, v69
	s_delay_alu instid0(VALU_DEP_2) | instskip(NEXT) | instid1(VALU_DEP_2)
	v_or_b32_e32 v68, v68, v74
	v_cmp_gt_i32_e32 vcc_lo, 32, v70
	s_delay_alu instid0(VALU_DEP_2)
	v_or_b32_e32 v71, 4, v68
	v_or_b32_e32 v72, 6, v68
	v_cmp_gt_i32_e64 s2, s17, v68
	v_or_b32_e32 v108, 8, v68
	v_wmma_f32_16x16x16_bf16 v[124:131], v[84:91], v[76:83], v[124:131]
	v_cndmask_b32_e32 v69, v69, v70, vcc_lo
	v_or_b32_e32 v70, 2, v68
	v_wmma_f32_16x16x16_bf16 v[100:107], v[92:99], v[76:83], v[100:107]
	v_or_b32_e32 v109, 10, v68
	v_dual_mul_f32 v80, s18, v129 :: v_dual_mul_f32 v81, s18, v128
	v_dual_mul_f32 v92, s18, v125 :: v_dual_mul_f32 v93, s18, v124
	s_delay_alu instid0(VALU_DEP_4)
	v_mul_f32_e32 v96, s18, v105
	v_cmp_gt_i32_e32 vcc_lo, s17, v70
	v_or_b32_e32 v89, 22, v68
	v_dual_mul_f32 v79, s18, v130 :: v_dual_mul_f32 v82, s18, v127
	v_dual_mul_f32 v83, s18, v126 :: v_dual_mul_f32 v94, s18, v107
	v_cndmask_b32_e64 v93, 0xff7fffff, v93, s2
	v_cndmask_b32_e32 v92, 0xff7fffff, v92, vcc_lo
	v_cmp_gt_i32_e64 s3, s17, v71
	v_cmp_gt_i32_e64 s4, s17, v72
	v_or_b32_e32 v84, 12, v68
	v_or_b32_e32 v85, 14, v68
	v_cmp_gt_i32_e64 s5, s17, v108
	v_cndmask_b32_e64 v71, 0xff7fffff, v83, s3
	v_cndmask_b32_e64 v72, 0xff7fffff, v82, s4
	v_cmp_gt_i32_e64 s6, s17, v109
	v_cmp_gt_i32_e64 s12, s17, v89
	v_lshlrev_b32_e32 v89, 2, v69
	v_max3_f32 v82, v93, 0xff7fffff, v92
	v_or_b32_e32 v86, 16, v68
	v_or_b32_e32 v87, 18, v68
	v_mul_f32_e32 v78, s18, v131
	v_cndmask_b32_e64 v81, 0xff7fffff, v81, s5
	v_cndmask_b32_e64 v80, 0xff7fffff, v80, s6
	v_max3_f32 v71, v82, v71, v72
	v_cmp_gt_i32_e64 s7, s17, v84
	v_cmp_gt_i32_e64 s8, s17, v85
	v_or_b32_e32 v88, 20, v68
	v_or_b32_e32 v90, 24, v68
	;; [unrolled: 1-line block ×5, first 2 shown]
	v_dual_mul_f32 v97, s18, v104 :: v_dual_mul_f32 v70, s18, v101
	v_dual_mul_f32 v99, s18, v102 :: v_dual_mul_f32 v68, s18, v100
	v_cndmask_b32_e64 v72, 0xff7fffff, v79, s7
	v_cndmask_b32_e64 v78, 0xff7fffff, v78, s8
	v_max3_f32 v71, v71, v81, v80
	v_cmp_gt_i32_e64 s9, s17, v86
	v_cmp_gt_i32_e64 s10, s17, v87
	v_dual_mul_f32 v95, s18, v106 :: v_dual_mul_f32 v98, s18, v103
	s_delay_alu instid0(VALU_DEP_4) | instskip(NEXT) | instid1(VALU_DEP_4)
	v_max3_f32 v71, v71, v72, v78
	v_cndmask_b32_e64 v68, 0xff7fffff, v68, s9
	s_delay_alu instid0(VALU_DEP_4)
	v_cndmask_b32_e64 v70, 0xff7fffff, v70, s10
	v_cmp_gt_i32_e64 s11, s17, v88
	v_cndmask_b32_e64 v78, 0xff7fffff, v98, s12
	v_cmp_gt_i32_e64 s13, s17, v90
	v_cmp_gt_i32_e64 s15, s17, v91
	v_max3_f32 v68, v71, v68, v70
	v_cndmask_b32_e64 v72, 0xff7fffff, v99, s11
	v_cmp_gt_i32_e64 s16, s17, v76
	v_cndmask_b32_e64 v70, 0xff7fffff, v97, s13
	v_cndmask_b32_e64 v71, 0xff7fffff, v96, s15
	v_cmp_gt_i32_e64 s17, s17, v77
	v_max3_f32 v68, v68, v72, v78
	v_cndmask_b32_e64 v72, 0xff7fffff, v95, s16
	s_delay_alu instid0(VALU_DEP_3) | instskip(NEXT) | instid1(VALU_DEP_3)
	v_cndmask_b32_e64 v76, 0xff7fffff, v94, s17
	v_max3_f32 v68, v68, v70, v71
	s_delay_alu instid0(VALU_DEP_1) | instskip(SKIP_3) | instid1(VALU_DEP_1)
	v_max3_f32 v68, v68, v72, v76
	ds_bpermute_b32 v69, v89, v68
	s_waitcnt lgkmcnt(0)
	v_max_f32_e32 v69, v69, v69
	v_max_f32_e32 v68, v68, v69
	s_delay_alu instid0(VALU_DEP_1) | instskip(NEXT) | instid1(VALU_DEP_1)
	v_fma_f32 v71, s18, v126, -v68
	v_mul_f32_e32 v71, 0x3fb8aa3b, v71
	v_fma_f32 v70, s18, v125, -v68
	v_fma_f32 v69, s18, v124, -v68
	;; [unrolled: 1-line block ×5, first 2 shown]
	s_delay_alu instid0(VALU_DEP_4) | instskip(SKIP_1) | instid1(VALU_DEP_3)
	v_dual_mul_f32 v70, 0x3fb8aa3b, v70 :: v_dual_mul_f32 v69, 0x3fb8aa3b, v69
	v_exp_f32_e32 v71, v71
	v_mul_f32_e32 v72, 0x3fb8aa3b, v72
	v_fma_f32 v81, s18, v105, -v68
	s_delay_alu instid0(VALU_DEP_3)
	v_exp_f32_e32 v70, v70
	v_mul_f32_e32 v77, 0x3fb8aa3b, v76
	v_exp_f32_e32 v69, v69
	v_exp_f32_e32 v72, v72
	v_mul_f32_e32 v81, 0x3fb8aa3b, v81
	v_cndmask_b32_e64 v83, 0, v71, s3
	v_fma_f32 v71, s18, v131, -v68
	s_delay_alu instid0(VALU_DEP_3) | instskip(SKIP_4) | instid1(TRANS32_DEP_3)
	v_exp_f32_e32 v81, v81
	v_cndmask_b32_e32 v76, 0, v70, vcc_lo
	v_exp_f32_e32 v77, v77
	v_cndmask_b32_e64 v80, 0, v69, s2
	v_fma_f32 v69, s18, v129, -v68
	v_cndmask_b32_e64 v85, 0, v72, s4
	v_mul_f32_e32 v71, 0x3fb8aa3b, v71
	v_fma_f32 v72, s18, v100, -v68
	s_delay_alu instid0(VALU_DEP_4) | instskip(SKIP_1) | instid1(VALU_DEP_3)
	v_dual_add_f32 v70, 0, v80 :: v_dual_mul_f32 v69, 0x3fb8aa3b, v69
	s_mov_b32 s2, exec_lo
	v_exp_f32_e32 v71, v71
	s_delay_alu instid0(TRANS32_DEP_2) | instskip(SKIP_4) | instid1(VALU_DEP_3)
	v_cndmask_b32_e64 v86, 0, v77, s5
	v_fma_f32 v77, s18, v101, -v68
	v_mul_f32_e32 v78, 0x3fb8aa3b, v78
	v_add_f32_e32 v70, v70, v76
	v_exp_f32_e32 v69, v69
	v_mul_f32_e32 v77, 0x3fb8aa3b, v77
	s_delay_alu instid0(VALU_DEP_3) | instskip(NEXT) | instid1(TRANS32_DEP_3)
	v_exp_f32_e32 v78, v78
	v_cndmask_b32_e64 v88, 0, v71, s8
	v_fma_f32 v71, s18, v104, -v68
	s_delay_alu instid0(VALU_DEP_3) | instskip(NEXT) | instid1(TRANS32_DEP_3)
	v_exp_f32_e32 v77, v77
	v_cndmask_b32_e64 v87, 0, v69, s6
	s_delay_alu instid0(VALU_DEP_2)
	v_mul_f32_e32 v71, 0x3fb8aa3b, v71
	s_waitcnt_depctr 0xfff
	v_cndmask_b32_e64 v84, 0, v78, s7
	v_add_f32_e32 v70, v70, v83
	v_fma_f32 v78, s18, v103, -v68
	v_exp_f32_e32 v82, v71
	s_delay_alu instid0(VALU_DEP_2) | instskip(SKIP_1) | instid1(VALU_DEP_3)
	v_add_f32_e32 v70, v70, v85
	v_mul_f32_e32 v72, 0x3fb8aa3b, v72
	v_mul_f32_e32 v78, 0x3fb8aa3b, v78
	s_delay_alu instid0(VALU_DEP_3) | instskip(SKIP_1) | instid1(VALU_DEP_4)
	v_add_f32_e32 v69, v70, v86
	v_fma_f32 v70, s18, v102, -v68
	v_exp_f32_e32 v72, v72
	s_delay_alu instid0(VALU_DEP_3) | instskip(NEXT) | instid1(VALU_DEP_1)
	v_exp_f32_e32 v78, v78
	v_dual_add_f32 v69, v69, v87 :: v_dual_mul_f32 v70, 0x3fb8aa3b, v70
	s_delay_alu instid0(VALU_DEP_1) | instskip(NEXT) | instid1(VALU_DEP_2)
	v_add_f32_e32 v69, v69, v84
	v_exp_f32_e32 v79, v70
	s_delay_alu instid0(TRANS32_DEP_3) | instskip(NEXT) | instid1(VALU_DEP_2)
	v_cndmask_b32_e64 v70, 0, v72, s9
	v_add_f32_e32 v72, v69, v88
	v_cndmask_b32_e64 v69, 0, v77, s10
	v_fma_f32 v77, s18, v106, -v68
	s_waitcnt_depctr 0xfff
	v_cndmask_b32_e64 v71, 0, v79, s11
	v_dual_mul_f32 v77, 0x3fb8aa3b, v77 :: v_dual_add_f32 v72, v72, v70
	s_delay_alu instid0(VALU_DEP_1) | instskip(NEXT) | instid1(VALU_DEP_1)
	v_exp_f32_e32 v90, v77
	v_add_f32_e32 v79, v72, v69
	v_cndmask_b32_e64 v72, 0, v78, s12
	v_cndmask_b32_e64 v77, 0, v82, s13
	s_delay_alu instid0(VALU_DEP_3) | instskip(SKIP_1) | instid1(VALU_DEP_1)
	v_add_f32_e32 v78, v79, v71
	v_fma_f32 v79, s18, v107, -v68
	v_dual_add_f32 v82, v78, v72 :: v_dual_mul_f32 v79, 0x3fb8aa3b, v79
	v_cndmask_b32_e64 v78, 0, v81, s15
	s_delay_alu instid0(VALU_DEP_2) | instskip(NEXT) | instid1(VALU_DEP_3)
	v_add_f32_e32 v81, v82, v77
	v_exp_f32_e32 v82, v79
	v_cndmask_b32_e64 v79, 0, v90, s16
	s_delay_alu instid0(VALU_DEP_2) | instskip(NEXT) | instid1(VALU_DEP_1)
	v_add_f32_e32 v81, v81, v78
	v_add_f32_e32 v90, v81, v79
	s_waitcnt_depctr 0xfff
	v_cndmask_b32_e64 v81, 0, v82, s17
	s_delay_alu instid0(VALU_DEP_1)
	v_add_f32_e32 v82, v90, v81
	ds_bpermute_b32 v89, v89, v82
	v_cmpx_gt_u32_e32 16, v67
	s_cbranch_execz .LBB1879_12
; %bb.11:
	v_mul_u32_u24_e32 v67, 0x44, v66
	s_delay_alu instid0(VALU_DEP_1) | instskip(SKIP_1) | instid1(VALU_DEP_1)
	v_lshl_add_u32 v67, v65, 2, v67
	s_waitcnt lgkmcnt(0)
	v_dual_add_f32 v82, v82, v89 :: v_dual_add_nc_u32 v67, 0x4000, v67
	ds_store_2addr_b32 v67, v68, v82 offset1:136
.LBB1879_12:
	s_or_b32 exec_lo, exec_lo, s2
	v_lshlrev_b32_e32 v67, 2, v65
	s_waitcnt lgkmcnt(0)
	s_barrier
	buffer_gl0_inv
	v_cmp_eq_u32_e32 vcc_lo, 1, v66
	v_add_nc_u32_e32 v82, 0x4000, v67
	v_cmp_eq_u32_e64 s2, 2, v66
	v_cmp_eq_u32_e64 s4, 7, v66
	ds_load_2addr_b32 v[89:90], v82 offset1:17
	ds_load_2addr_b32 v[91:92], v82 offset0:34 offset1:51
	ds_load_2addr_b32 v[93:94], v82 offset0:68 offset1:85
	;; [unrolled: 1-line block ×4, first 2 shown]
	s_waitcnt lgkmcnt(4)
	v_max3_f32 v67, v89, 0xff7fffff, v90
	s_waitcnt lgkmcnt(3)
	s_delay_alu instid0(VALU_DEP_1) | instskip(SKIP_1) | instid1(VALU_DEP_1)
	v_max3_f32 v67, v67, v91, v92
	s_waitcnt lgkmcnt(2)
	v_max3_f32 v67, v67, v93, v94
	s_waitcnt lgkmcnt(1)
	s_delay_alu instid0(VALU_DEP_1) | instskip(NEXT) | instid1(VALU_DEP_1)
	v_max3_f32 v67, v67, v95, v96
	v_sub_f32_e32 v93, v93, v67
	s_delay_alu instid0(VALU_DEP_1) | instskip(NEXT) | instid1(VALU_DEP_1)
	v_dual_sub_f32 v68, v89, v67 :: v_dual_mul_f32 v103, 0x3fb8aa3b, v93
	v_mul_f32_e32 v68, 0x3fb8aa3b, v68
	s_delay_alu instid0(VALU_DEP_1)
	v_exp_f32_e32 v100, v68
	v_sub_f32_e32 v68, v92, v67
	v_sub_f32_e32 v99, v90, v67
	ds_load_2addr_b32 v[89:90], v82 offset0:170 offset1:187
	v_dual_mul_f32 v102, 0x3fb8aa3b, v68 :: v_dual_mul_f32 v99, 0x3fb8aa3b, v99
	s_waitcnt lgkmcnt(1)
	v_fma_f32 v68, v100, v97, 0
	s_delay_alu instid0(VALU_DEP_2) | instskip(NEXT) | instid1(VALU_DEP_2)
	v_exp_f32_e32 v102, v102
	v_exp_f32_e32 v99, v99
	s_waitcnt_depctr 0xfff
	v_fmac_f32_e32 v68, v99, v98
	v_sub_f32_e32 v91, v91, v67
	s_delay_alu instid0(VALU_DEP_1)
	v_mul_f32_e32 v101, 0x3fb8aa3b, v91
	ds_load_2addr_b32 v[91:92], v82 offset0:204 offset1:221
	v_sub_f32_e32 v97, v94, v67
	ds_load_2addr_b32 v[93:94], v82 offset0:238 offset1:255
	s_waitcnt lgkmcnt(0)
	v_exp_f32_e32 v101, v101
	s_barrier
	buffer_gl0_inv
	v_dual_fmac_f32 v68, v101, v89 :: v_dual_sub_f32 v89, v96, v67
	v_dual_sub_f32 v82, v95, v67 :: v_dual_mul_f32 v95, 0x3fb8aa3b, v97
	v_exp_f32_e32 v97, v103
	s_delay_alu instid0(VALU_DEP_2) | instskip(NEXT) | instid1(VALU_DEP_2)
	v_dual_fmac_f32 v68, v102, v90 :: v_dual_mul_f32 v89, 0x3fb8aa3b, v89
	v_mul_f32_e32 v82, 0x3fb8aa3b, v82
	s_delay_alu instid0(VALU_DEP_3) | instskip(NEXT) | instid1(VALU_DEP_2)
	v_exp_f32_e32 v95, v95
	v_exp_f32_e32 v89, v89
	s_delay_alu instid0(VALU_DEP_1)
	v_exp_f32_e32 v82, v82
	v_fmac_f32_e32 v68, v97, v91
	s_delay_alu instid0(TRANS32_DEP_3) | instid1(VALU_DEP_1)
	v_fmac_f32_e32 v68, v95, v92
	s_waitcnt_depctr 0xfff
	v_fmac_f32_e32 v68, v82, v93
	s_delay_alu instid0(VALU_DEP_1) | instskip(NEXT) | instid1(VALU_DEP_1)
	v_fmac_f32_e32 v68, v89, v94
	v_add_f32_e32 v90, 0x358637bd, v68
	s_delay_alu instid0(VALU_DEP_1) | instskip(NEXT) | instid1(VALU_DEP_1)
	v_div_scale_f32 v91, null, v90, v90, 1.0
	v_rcp_f32_e32 v92, v91
	s_waitcnt_depctr 0xfff
	v_fma_f32 v93, -v91, v92, 1.0
	s_delay_alu instid0(VALU_DEP_1) | instskip(SKIP_1) | instid1(VALU_DEP_2)
	v_dual_fmac_f32 v92, v93, v92 :: v_dual_cndmask_b32 v93, v100, v99
	v_cmp_eq_u32_e32 vcc_lo, 3, v66
	v_cndmask_b32_e64 v93, v93, v101, s2
	v_cmp_eq_u32_e64 s2, 4, v66
	s_delay_alu instid0(VALU_DEP_2) | instskip(SKIP_1) | instid1(VALU_DEP_2)
	v_cndmask_b32_e32 v93, v93, v102, vcc_lo
	v_cmp_eq_u32_e32 vcc_lo, 5, v66
	v_cndmask_b32_e64 v93, v93, v97, s2
	v_cmp_eq_u32_e64 s2, 6, v66
	s_delay_alu instid0(VALU_DEP_2) | instskip(SKIP_1) | instid1(VALU_DEP_1)
	v_cndmask_b32_e32 v93, v93, v95, vcc_lo
	v_div_scale_f32 v94, s3, 1.0, v90, 1.0
	s_mov_b32 vcc_lo, s3
	s_delay_alu instid0(VALU_DEP_2) | instskip(NEXT) | instid1(VALU_DEP_2)
	v_cndmask_b32_e64 v82, v93, v82, s2
	v_mul_f32_e32 v96, v94, v92
	s_mov_b32 s2, exec_lo
	s_delay_alu instid0(VALU_DEP_2) | instskip(NEXT) | instid1(VALU_DEP_2)
	v_cndmask_b32_e64 v82, v82, v89, s4
	v_fma_f32 v98, -v91, v96, v94
	s_delay_alu instid0(VALU_DEP_1) | instskip(NEXT) | instid1(VALU_DEP_1)
	v_fmac_f32_e32 v96, v98, v92
	v_fma_f32 v91, -v91, v96, v94
	s_delay_alu instid0(VALU_DEP_1) | instskip(NEXT) | instid1(VALU_DEP_1)
	v_div_fmas_f32 v91, v91, v92, v96
	v_div_fixup_f32 v90, v91, v90, 1.0
	s_delay_alu instid0(VALU_DEP_1) | instskip(NEXT) | instid1(VALU_DEP_1)
	v_mul_f32_e32 v82, v82, v90
	v_mul_f32_e32 v87, v82, v87
	;; [unrolled: 1-line block ×7, first 2 shown]
	v_dual_mul_f32 v86, v82, v83 :: v_dual_and_b32 v91, 0x7f800000, v90
	v_mul_f32_e32 v85, v82, v76
                                        ; implicit-def: $vgpr76
	s_delay_alu instid0(VALU_DEP_2)
	v_cmpx_ne_u32_e32 0x7f800000, v91
	s_xor_b32 s2, exec_lo, s2
; %bb.13:
	v_bfe_u32 v76, v90, 16, 1
	s_delay_alu instid0(VALU_DEP_1)
	v_add3_u32 v76, v90, v76, 0x7fff
                                        ; implicit-def: $vgpr90
; %bb.14:
	s_and_not1_saveexec_b32 s2, s2
; %bb.15:
	v_and_b32_e32 v76, 0xffff, v90
	v_or_b32_e32 v83, 0x10000, v90
	s_delay_alu instid0(VALU_DEP_2) | instskip(NEXT) | instid1(VALU_DEP_2)
	v_cmp_eq_u32_e32 vcc_lo, 0, v76
	v_cndmask_b32_e32 v76, v83, v90, vcc_lo
; %bb.16:
	s_or_b32 exec_lo, exec_lo, s2
	v_and_b32_e32 v83, 0x7f800000, v85
	s_delay_alu instid0(VALU_DEP_1) | instskip(SKIP_1) | instid1(SALU_CYCLE_1)
	v_cmp_ne_u32_e32 vcc_lo, 0x7f800000, v83
                                        ; implicit-def: $vgpr83
	s_and_saveexec_b32 s2, vcc_lo
	s_xor_b32 s2, exec_lo, s2
; %bb.17:
	v_bfe_u32 v83, v85, 16, 1
	s_delay_alu instid0(VALU_DEP_1)
	v_add3_u32 v83, v85, v83, 0x7fff
                                        ; implicit-def: $vgpr85
; %bb.18:
	s_and_not1_saveexec_b32 s2, s2
; %bb.19:
	v_and_b32_e32 v83, 0xffff, v85
	v_or_b32_e32 v90, 0x10000, v85
	s_delay_alu instid0(VALU_DEP_2) | instskip(NEXT) | instid1(VALU_DEP_2)
	v_cmp_eq_u32_e32 vcc_lo, 0, v83
	v_cndmask_b32_e32 v83, v90, v85, vcc_lo
; %bb.20:
	s_or_b32 exec_lo, exec_lo, s2
	v_and_b32_e32 v85, 0x7f800000, v86
	s_delay_alu instid0(VALU_DEP_1) | instskip(SKIP_1) | instid1(SALU_CYCLE_1)
	v_cmp_ne_u32_e32 vcc_lo, 0x7f800000, v85
                                        ; implicit-def: $vgpr85
	s_and_saveexec_b32 s2, vcc_lo
	s_xor_b32 s2, exec_lo, s2
; %bb.21:
	v_bfe_u32 v85, v86, 16, 1
	s_delay_alu instid0(VALU_DEP_1)
	v_add3_u32 v85, v86, v85, 0x7fff
                                        ; implicit-def: $vgpr86
; %bb.22:
	s_and_not1_saveexec_b32 s2, s2
; %bb.23:
	v_and_b32_e32 v85, 0xffff, v86
	v_or_b32_e32 v90, 0x10000, v86
	s_delay_alu instid0(VALU_DEP_2) | instskip(NEXT) | instid1(VALU_DEP_2)
	v_cmp_eq_u32_e32 vcc_lo, 0, v85
	v_cndmask_b32_e32 v85, v90, v86, vcc_lo
; %bb.24:
	s_or_b32 exec_lo, exec_lo, s2
	v_and_b32_e32 v86, 0x7f800000, v89
	s_delay_alu instid0(VALU_DEP_1) | instskip(SKIP_1) | instid1(SALU_CYCLE_1)
	v_cmp_ne_u32_e32 vcc_lo, 0x7f800000, v86
                                        ; implicit-def: $vgpr86
	s_and_saveexec_b32 s2, vcc_lo
	s_xor_b32 s2, exec_lo, s2
; %bb.25:
	v_bfe_u32 v86, v89, 16, 1
	s_delay_alu instid0(VALU_DEP_1)
	v_add3_u32 v86, v89, v86, 0x7fff
                                        ; implicit-def: $vgpr89
; %bb.26:
	s_and_not1_saveexec_b32 s2, s2
; %bb.27:
	v_and_b32_e32 v86, 0xffff, v89
	v_or_b32_e32 v90, 0x10000, v89
	s_delay_alu instid0(VALU_DEP_2) | instskip(NEXT) | instid1(VALU_DEP_2)
	v_cmp_eq_u32_e32 vcc_lo, 0, v86
	v_cndmask_b32_e32 v86, v90, v89, vcc_lo
; %bb.28:
	s_or_b32 exec_lo, exec_lo, s2
	v_and_b32_e32 v89, 0x7f800000, v88
	s_delay_alu instid0(VALU_DEP_1) | instskip(SKIP_1) | instid1(SALU_CYCLE_1)
	v_cmp_ne_u32_e32 vcc_lo, 0x7f800000, v89
                                        ; implicit-def: $vgpr89
	s_and_saveexec_b32 s2, vcc_lo
	s_xor_b32 s2, exec_lo, s2
; %bb.29:
	v_bfe_u32 v89, v88, 16, 1
	s_delay_alu instid0(VALU_DEP_1)
	v_add3_u32 v89, v88, v89, 0x7fff
                                        ; implicit-def: $vgpr88
; %bb.30:
	s_and_not1_saveexec_b32 s2, s2
; %bb.31:
	v_and_b32_e32 v89, 0xffff, v88
	v_or_b32_e32 v90, 0x10000, v88
	s_delay_alu instid0(VALU_DEP_2) | instskip(NEXT) | instid1(VALU_DEP_2)
	v_cmp_eq_u32_e32 vcc_lo, 0, v89
	v_cndmask_b32_e32 v89, v90, v88, vcc_lo
; %bb.32:
	s_or_b32 exec_lo, exec_lo, s2
	v_and_b32_e32 v88, 0x7f800000, v87
	s_delay_alu instid0(VALU_DEP_1) | instskip(SKIP_1) | instid1(SALU_CYCLE_1)
	v_cmp_ne_u32_e32 vcc_lo, 0x7f800000, v88
                                        ; implicit-def: $vgpr88
	s_and_saveexec_b32 s2, vcc_lo
	s_xor_b32 s2, exec_lo, s2
; %bb.33:
	v_bfe_u32 v88, v87, 16, 1
	s_delay_alu instid0(VALU_DEP_1)
	v_add3_u32 v88, v87, v88, 0x7fff
                                        ; implicit-def: $vgpr87
; %bb.34:
	s_and_not1_saveexec_b32 s2, s2
; %bb.35:
	v_and_b32_e32 v88, 0xffff, v87
	v_or_b32_e32 v90, 0x10000, v87
	s_delay_alu instid0(VALU_DEP_2) | instskip(NEXT) | instid1(VALU_DEP_2)
	v_cmp_eq_u32_e32 vcc_lo, 0, v88
	v_cndmask_b32_e32 v88, v90, v87, vcc_lo
; %bb.36:
	s_or_b32 exec_lo, exec_lo, s2
	v_and_b32_e32 v87, 0x7f800000, v84
	s_delay_alu instid0(VALU_DEP_1) | instskip(SKIP_1) | instid1(SALU_CYCLE_1)
	v_cmp_ne_u32_e32 vcc_lo, 0x7f800000, v87
                                        ; implicit-def: $vgpr87
	s_and_saveexec_b32 s2, vcc_lo
	s_xor_b32 s2, exec_lo, s2
; %bb.37:
	v_bfe_u32 v87, v84, 16, 1
	s_delay_alu instid0(VALU_DEP_1)
	v_add3_u32 v87, v84, v87, 0x7fff
                                        ; implicit-def: $vgpr84
; %bb.38:
	s_and_not1_saveexec_b32 s2, s2
; %bb.39:
	v_and_b32_e32 v87, 0xffff, v84
	v_or_b32_e32 v90, 0x10000, v84
	s_delay_alu instid0(VALU_DEP_2) | instskip(NEXT) | instid1(VALU_DEP_2)
	v_cmp_eq_u32_e32 vcc_lo, 0, v87
	v_cndmask_b32_e32 v87, v90, v84, vcc_lo
; %bb.40:
	s_or_b32 exec_lo, exec_lo, s2
	v_and_b32_e32 v84, 0x7f800000, v80
	s_delay_alu instid0(VALU_DEP_1) | instskip(SKIP_1) | instid1(SALU_CYCLE_1)
	v_cmp_ne_u32_e32 vcc_lo, 0x7f800000, v84
                                        ; implicit-def: $vgpr84
	s_and_saveexec_b32 s2, vcc_lo
	s_xor_b32 s2, exec_lo, s2
; %bb.41:
	v_bfe_u32 v84, v80, 16, 1
	s_delay_alu instid0(VALU_DEP_1)
	v_add3_u32 v84, v80, v84, 0x7fff
                                        ; implicit-def: $vgpr80
; %bb.42:
	s_and_not1_saveexec_b32 s2, s2
; %bb.43:
	v_and_b32_e32 v84, 0xffff, v80
	v_or_b32_e32 v90, 0x10000, v80
	s_delay_alu instid0(VALU_DEP_2) | instskip(NEXT) | instid1(VALU_DEP_2)
	v_cmp_eq_u32_e32 vcc_lo, 0, v84
	v_cndmask_b32_e32 v84, v90, v80, vcc_lo
; %bb.44:
	s_or_b32 exec_lo, exec_lo, s2
	s_load_b64 s[34:35], s[0:1], 0x94
	v_lshlrev_b32_e32 v91, 4, v74
	s_delay_alu instid0(VALU_DEP_2)
	v_perm_b32 v90, v84, v87, 0x7060302
	v_dual_mul_f32 v79, v82, v79 :: v_dual_lshlrev_b32 v80, 6, v65
	v_dual_mul_f32 v77, v82, v77 :: v_dual_lshlrev_b32 v92, 11, v66
	v_mul_f32_e32 v84, v82, v70
	v_perm_b32 v89, v88, v89, 0x7060302
	v_perm_b32 v88, v86, v85, 0x7060302
	;; [unrolled: 1-line block ×3, first 2 shown]
	v_mul_f32_e32 v70, v82, v81
	v_or3_b32 v76, v91, v92, v80
	v_dual_mul_f32 v78, v82, v78 :: v_dual_and_b32 v85, 0x7f800000, v84
	v_mul_f32_e32 v83, v82, v72
	v_mul_f32_e32 v81, v82, v71
	;; [unrolled: 1-line block ×3, first 2 shown]
	s_mov_b32 s2, exec_lo
	ds_store_b128 v76, v[87:90]
                                        ; implicit-def: $vgpr69
	v_cmpx_ne_u32_e32 0x7f800000, v85
	s_xor_b32 s2, exec_lo, s2
; %bb.45:
	v_bfe_u32 v69, v84, 16, 1
	s_delay_alu instid0(VALU_DEP_1)
	v_add3_u32 v69, v84, v69, 0x7fff
                                        ; implicit-def: $vgpr84
; %bb.46:
	s_and_not1_saveexec_b32 s2, s2
; %bb.47:
	v_and_b32_e32 v69, 0xffff, v84
	v_or_b32_e32 v71, 0x10000, v84
	s_delay_alu instid0(VALU_DEP_2) | instskip(NEXT) | instid1(VALU_DEP_2)
	v_cmp_eq_u32_e32 vcc_lo, 0, v69
	v_cndmask_b32_e32 v69, v71, v84, vcc_lo
; %bb.48:
	s_or_b32 exec_lo, exec_lo, s2
	v_and_b32_e32 v71, 0x7f800000, v72
	s_delay_alu instid0(VALU_DEP_1) | instskip(SKIP_1) | instid1(SALU_CYCLE_1)
	v_cmp_ne_u32_e32 vcc_lo, 0x7f800000, v71
                                        ; implicit-def: $vgpr71
	s_and_saveexec_b32 s2, vcc_lo
	s_xor_b32 s2, exec_lo, s2
; %bb.49:
	v_bfe_u32 v71, v72, 16, 1
	s_delay_alu instid0(VALU_DEP_1)
	v_add3_u32 v71, v72, v71, 0x7fff
                                        ; implicit-def: $vgpr72
; %bb.50:
	s_and_not1_saveexec_b32 s2, s2
; %bb.51:
	v_and_b32_e32 v71, 0xffff, v72
	v_or_b32_e32 v82, 0x10000, v72
	s_delay_alu instid0(VALU_DEP_2) | instskip(NEXT) | instid1(VALU_DEP_2)
	v_cmp_eq_u32_e32 vcc_lo, 0, v71
	v_cndmask_b32_e32 v71, v82, v72, vcc_lo
; %bb.52:
	s_or_b32 exec_lo, exec_lo, s2
	v_and_b32_e32 v72, 0x7f800000, v81
	s_delay_alu instid0(VALU_DEP_1) | instskip(SKIP_1) | instid1(SALU_CYCLE_1)
	v_cmp_ne_u32_e32 vcc_lo, 0x7f800000, v72
                                        ; implicit-def: $vgpr72
	s_and_saveexec_b32 s2, vcc_lo
	s_xor_b32 s2, exec_lo, s2
; %bb.53:
	v_bfe_u32 v72, v81, 16, 1
	s_delay_alu instid0(VALU_DEP_1)
	v_add3_u32 v72, v81, v72, 0x7fff
                                        ; implicit-def: $vgpr81
; %bb.54:
	s_and_not1_saveexec_b32 s2, s2
; %bb.55:
	v_and_b32_e32 v72, 0xffff, v81
	v_or_b32_e32 v82, 0x10000, v81
	s_delay_alu instid0(VALU_DEP_2) | instskip(NEXT) | instid1(VALU_DEP_2)
	v_cmp_eq_u32_e32 vcc_lo, 0, v72
	v_cndmask_b32_e32 v72, v82, v81, vcc_lo
; %bb.56:
	s_or_b32 exec_lo, exec_lo, s2
	v_and_b32_e32 v81, 0x7f800000, v83
	s_delay_alu instid0(VALU_DEP_1) | instskip(SKIP_1) | instid1(SALU_CYCLE_1)
	v_cmp_ne_u32_e32 vcc_lo, 0x7f800000, v81
                                        ; implicit-def: $vgpr81
	s_and_saveexec_b32 s2, vcc_lo
	s_xor_b32 s2, exec_lo, s2
; %bb.57:
	v_bfe_u32 v81, v83, 16, 1
	s_delay_alu instid0(VALU_DEP_1)
	v_add3_u32 v81, v83, v81, 0x7fff
                                        ; implicit-def: $vgpr83
; %bb.58:
	s_and_not1_saveexec_b32 s2, s2
; %bb.59:
	v_and_b32_e32 v81, 0xffff, v83
	v_or_b32_e32 v82, 0x10000, v83
	s_delay_alu instid0(VALU_DEP_2) | instskip(NEXT) | instid1(VALU_DEP_2)
	v_cmp_eq_u32_e32 vcc_lo, 0, v81
	v_cndmask_b32_e32 v81, v82, v83, vcc_lo
; %bb.60:
	s_or_b32 exec_lo, exec_lo, s2
	v_and_b32_e32 v82, 0x7f800000, v77
	s_delay_alu instid0(VALU_DEP_1) | instskip(SKIP_1) | instid1(SALU_CYCLE_1)
	v_cmp_ne_u32_e32 vcc_lo, 0x7f800000, v82
                                        ; implicit-def: $vgpr82
	s_and_saveexec_b32 s2, vcc_lo
	s_xor_b32 s2, exec_lo, s2
; %bb.61:
	v_bfe_u32 v82, v77, 16, 1
	s_delay_alu instid0(VALU_DEP_1)
	v_add3_u32 v82, v77, v82, 0x7fff
                                        ; implicit-def: $vgpr77
; %bb.62:
	s_and_not1_saveexec_b32 s2, s2
; %bb.63:
	v_and_b32_e32 v82, 0xffff, v77
	v_or_b32_e32 v83, 0x10000, v77
	s_delay_alu instid0(VALU_DEP_2) | instskip(NEXT) | instid1(VALU_DEP_2)
	v_cmp_eq_u32_e32 vcc_lo, 0, v82
	v_cndmask_b32_e32 v82, v83, v77, vcc_lo
; %bb.64:
	s_or_b32 exec_lo, exec_lo, s2
	v_and_b32_e32 v77, 0x7f800000, v78
	s_delay_alu instid0(VALU_DEP_1) | instskip(SKIP_1) | instid1(SALU_CYCLE_1)
	v_cmp_ne_u32_e32 vcc_lo, 0x7f800000, v77
                                        ; implicit-def: $vgpr77
	s_and_saveexec_b32 s2, vcc_lo
	s_xor_b32 s2, exec_lo, s2
; %bb.65:
	v_bfe_u32 v77, v78, 16, 1
	s_delay_alu instid0(VALU_DEP_1)
	v_add3_u32 v77, v78, v77, 0x7fff
                                        ; implicit-def: $vgpr78
; %bb.66:
	s_and_not1_saveexec_b32 s2, s2
; %bb.67:
	v_and_b32_e32 v77, 0xffff, v78
	v_or_b32_e32 v83, 0x10000, v78
	s_delay_alu instid0(VALU_DEP_2) | instskip(NEXT) | instid1(VALU_DEP_2)
	v_cmp_eq_u32_e32 vcc_lo, 0, v77
	v_cndmask_b32_e32 v77, v83, v78, vcc_lo
; %bb.68:
	s_or_b32 exec_lo, exec_lo, s2
	v_and_b32_e32 v78, 0x7f800000, v79
	s_delay_alu instid0(VALU_DEP_1) | instskip(SKIP_1) | instid1(SALU_CYCLE_1)
	v_cmp_ne_u32_e32 vcc_lo, 0x7f800000, v78
                                        ; implicit-def: $vgpr78
	s_and_saveexec_b32 s2, vcc_lo
	s_xor_b32 s2, exec_lo, s2
; %bb.69:
	v_bfe_u32 v78, v79, 16, 1
	s_delay_alu instid0(VALU_DEP_1)
	v_add3_u32 v78, v79, v78, 0x7fff
                                        ; implicit-def: $vgpr79
; %bb.70:
	s_and_not1_saveexec_b32 s2, s2
; %bb.71:
	v_and_b32_e32 v78, 0xffff, v79
	v_or_b32_e32 v83, 0x10000, v79
	s_delay_alu instid0(VALU_DEP_2) | instskip(NEXT) | instid1(VALU_DEP_2)
	v_cmp_eq_u32_e32 vcc_lo, 0, v78
	v_cndmask_b32_e32 v78, v83, v79, vcc_lo
; %bb.72:
	s_or_b32 exec_lo, exec_lo, s2
	v_and_b32_e32 v79, 0x7f800000, v70
	s_delay_alu instid0(VALU_DEP_1) | instskip(SKIP_1) | instid1(SALU_CYCLE_1)
	v_cmp_ne_u32_e32 vcc_lo, 0x7f800000, v79
                                        ; implicit-def: $vgpr79
	s_and_saveexec_b32 s2, vcc_lo
	s_xor_b32 s2, exec_lo, s2
; %bb.73:
	v_bfe_u32 v79, v70, 16, 1
	s_delay_alu instid0(VALU_DEP_1)
	v_add3_u32 v79, v70, v79, 0x7fff
                                        ; implicit-def: $vgpr70
; %bb.74:
	s_and_not1_saveexec_b32 s2, s2
; %bb.75:
	v_and_b32_e32 v79, 0xffff, v70
	v_or_b32_e32 v83, 0x10000, v70
	s_delay_alu instid0(VALU_DEP_2) | instskip(NEXT) | instid1(VALU_DEP_2)
	v_cmp_eq_u32_e32 vcc_lo, 0, v79
	v_cndmask_b32_e32 v79, v83, v70, vcc_lo
; %bb.76:
	s_or_b32 exec_lo, exec_lo, s2
	s_delay_alu instid0(VALU_DEP_1)
	v_perm_b32 v86, v79, v78, 0x7060302
	v_perm_b32 v85, v77, v82, 0x7060302
	;; [unrolled: 1-line block ×4, first 2 shown]
	v_lshl_or_b32 v82, v66, 11, v80
	ds_store_b128 v76, v[83:86] offset:1024
	s_waitcnt lgkmcnt(0)
	s_barrier
	buffer_gl0_inv
	ds_load_b128 v[69:72], v82
	ds_load_b128 v[83:86], v82 offset:16
	s_waitcnt lgkmcnt(1)
	v_lshrrev_b32_e32 v66, 16, v69
	s_waitcnt lgkmcnt(0)
	v_lshrrev_b32_e32 v91, 16, v83
	v_lshlrev_b32_e32 v78, 2, v74
	v_lshrrev_b32_e32 v95, 16, v70
	v_lshrrev_b32_e32 v98, 16, v84
	;; [unrolled: 1-line block ×4, first 2 shown]
	v_cmp_eq_u32_e32 vcc_lo, 1, v78
	v_lshrrev_b32_e32 v97, 16, v72
	v_lshrrev_b32_e32 v100, 16, v86
	v_cndmask_b32_e32 v87, v83, v91, vcc_lo
	v_or_b32_e32 v79, 1, v78
	v_cndmask_b32_e32 v81, v69, v66, vcc_lo
	v_cmp_eq_u32_e64 s3, 2, v78
	v_cmp_eq_u32_e64 s6, 3, v78
	;; [unrolled: 1-line block ×5, first 2 shown]
	v_cndmask_b32_e64 v81, v81, v70, s3
	v_cndmask_b32_e64 v87, v87, v84, s3
	v_cmp_eq_u32_e64 s7, 3, v79
	v_cndmask_b32_e64 v88, v69, v66, s2
	v_or_b32_e32 v77, 2, v78
	v_cndmask_b32_e64 v81, v81, v95, s6
	v_cndmask_b32_e64 v87, v87, v98, s6
	;; [unrolled: 1-line block ×4, first 2 shown]
	v_cmp_eq_u32_e64 s9, 5, v78
	v_cndmask_b32_e64 v81, v81, v71, s8
	v_cndmask_b32_e64 v87, v87, v85, s8
	v_cmp_eq_u32_e64 s10, 4, v79
	v_cndmask_b32_e64 v88, v88, v95, s7
	v_cmp_eq_u32_e64 s4, 1, v77
	v_cndmask_b32_e64 v89, v89, v84, s5
	v_cndmask_b32_e64 v81, v81, v96, s9
	v_cmp_eq_u32_e64 s11, 6, v78
	v_cndmask_b32_e64 v88, v88, v71, s10
	;; [unrolled: 3-line block ×3, first 2 shown]
	v_cndmask_b32_e64 v89, v89, v98, s7
	v_cndmask_b32_e64 v81, v81, v72, s11
	v_cmp_eq_u32_e64 s13, 7, v78
	v_cndmask_b32_e64 v88, v88, v96, s12
	v_cndmask_b32_e64 v87, v87, v86, s11
	v_cmp_eq_u32_e64 s15, 6, v79
	v_cmp_eq_u32_e64 s16, 2, v77
	v_cndmask_b32_e64 v89, v89, v85, s10
	v_cndmask_b32_e64 v101, v81, v97, s13
	;; [unrolled: 1-line block ×6, first 2 shown]
	v_cmp_eq_u32_e64 s17, 7, v79
	v_cmp_eq_u32_e64 s18, 3, v77
	;; [unrolled: 1-line block ×4, first 2 shown]
	v_cndmask_b32_e64 v87, v87, v84, s16
	v_cndmask_b32_e64 v103, v88, v97, s17
	;; [unrolled: 1-line block ×4, first 2 shown]
	v_or_b32_e32 v81, 3, v78
	v_cndmask_b32_e64 v93, v87, v98, s18
	v_cmp_eq_u32_e64 s23, 6, v77
	v_cndmask_b32_e64 v104, v88, v86, s15
	v_cndmask_b32_e64 v92, v89, v71, s19
	v_cmp_eq_u32_e64 s20, 1, v81
	ds_load_b128 v[87:90], v82 offset:1024
	v_cmp_eq_u32_e64 s22, 2, v81
	v_cmp_eq_u32_e64 s24, 3, v81
	v_cndmask_b32_e64 v105, v92, v96, s21
	v_cndmask_b32_e64 v66, v69, v66, s20
	;; [unrolled: 1-line block ×4, first 2 shown]
	ds_load_b128 v[91:94], v82 offset:1040
	v_cmp_eq_u32_e64 s25, 4, v81
	v_cndmask_b32_e64 v66, v66, v70, s22
	v_cmp_eq_u32_e64 s26, 7, v77
	v_cndmask_b32_e64 v70, v83, v84, s22
	v_cndmask_b32_e64 v84, v105, v72, s23
	v_cmp_eq_u32_e64 s27, 5, v81
	v_cndmask_b32_e64 v66, v66, v95, s24
	v_cmp_eq_u32_e64 s28, 6, v81
	v_cndmask_b32_e64 v70, v70, v98, s24
	v_cndmask_b32_e64 v69, v69, v99, s21
	;; [unrolled: 1-line block ×4, first 2 shown]
	s_waitcnt lgkmcnt(1)
	v_lshrrev_b32_e32 v95, 16, v87
	v_cndmask_b32_e64 v70, v70, v85, s25
	v_cndmask_b32_e64 v71, v84, v97, s26
	;; [unrolled: 1-line block ×4, first 2 shown]
	v_cndmask_b32_e32 v84, v87, v95, vcc_lo
	v_cndmask_b32_e64 v70, v70, v99, s27
	s_waitcnt lgkmcnt(0)
	v_lshrrev_b32_e32 v85, 16, v91
	v_lshrrev_b32_e32 v96, 16, v88
	v_cndmask_b32_e64 v98, v87, v95, s2
	v_cndmask_b32_e64 v84, v84, v88, s3
	;; [unrolled: 1-line block ×3, first 2 shown]
	v_cndmask_b32_e32 v99, v91, v85, vcc_lo
	v_cmp_eq_u32_e32 vcc_lo, 7, v81
	v_cndmask_b32_e64 v66, v66, v72, s28
	v_cndmask_b32_e64 v72, v84, v96, s6
	v_cndmask_b32_e64 v84, v98, v88, s5
	v_lshrrev_b32_e32 v98, 16, v92
	v_cndmask_b32_e32 v70, v70, v100, vcc_lo
	v_cndmask_b32_e64 v86, v99, v92, s3
	v_cndmask_b32_e64 v69, v69, v100, s26
	v_lshrrev_b32_e32 v100, 16, v93
	v_cndmask_b32_e64 v72, v72, v89, s8
	v_lshrrev_b32_e32 v99, 16, v89
	v_cndmask_b32_e64 v86, v86, v98, s6
	v_perm_b32 v71, v69, v71, 0x5040100
	v_cndmask_b32_e64 v84, v84, v96, s7
	s_delay_alu instid0(VALU_DEP_3) | instskip(NEXT) | instid1(VALU_DEP_2)
	v_cndmask_b32_e64 v86, v86, v93, s8
	v_cndmask_b32_e64 v84, v84, v89, s10
	s_delay_alu instid0(VALU_DEP_2) | instskip(NEXT) | instid1(VALU_DEP_1)
	v_cndmask_b32_e64 v86, v86, v100, s9
	v_cndmask_b32_e64 v69, v86, v94, s11
	;; [unrolled: 1-line block ×5, first 2 shown]
	s_delay_alu instid0(VALU_DEP_3) | instskip(NEXT) | instid1(VALU_DEP_3)
	v_cndmask_b32_e64 v86, v86, v88, s16
	v_cndmask_b32_e64 v87, v87, v88, s22
	s_delay_alu instid0(VALU_DEP_3) | instskip(NEXT) | instid1(VALU_DEP_3)
	v_cndmask_b32_e64 v88, v95, v92, s22
	v_cndmask_b32_e64 v86, v86, v96, s18
	;; [unrolled: 3-line block ×7, first 2 shown]
	s_delay_alu instid0(VALU_DEP_3) | instskip(SKIP_2) | instid1(VALU_DEP_2)
	v_cndmask_b32_e64 v88, v88, v94, s28
	v_cndmask_b32_e32 v66, v66, v97, vcc_lo
	v_cndmask_b32_e64 v97, v72, v99, s9
	v_perm_b32 v72, v70, v66, 0x5040100
	v_perm_b32 v70, v83, v103, 0x5040100
	v_cndmask_b32_e64 v103, v91, v85, s4
	v_cndmask_b32_e64 v85, v91, v85, s2
	;; [unrolled: 1-line block ×4, first 2 shown]
	v_lshrrev_b32_e32 v97, 16, v90
	v_cndmask_b32_e64 v91, v103, v92, s16
	v_cndmask_b32_e64 v85, v85, v92, s5
	;; [unrolled: 1-line block ×3, first 2 shown]
	s_mov_b32 s2, exec_lo
	v_cndmask_b32_e64 v83, v84, v97, s13
	v_cndmask_b32_e64 v91, v91, v98, s18
	;; [unrolled: 1-line block ×3, first 2 shown]
	v_lshrrev_b32_e32 v84, 16, v94
	v_cndmask_b32_e64 v66, v66, v97, s17
	v_cndmask_b32_e64 v90, v86, v97, s26
	;; [unrolled: 1-line block ×4, first 2 shown]
	v_dual_cndmask_b32 v86, v87, v97 :: v_dual_cndmask_b32 v87, v88, v84
	v_cndmask_b32_e64 v91, v69, v84, s13
	s_delay_alu instid0(VALU_DEP_4) | instskip(NEXT) | instid1(VALU_DEP_4)
	v_cndmask_b32_e64 v89, v89, v100, s21
	v_cndmask_b32_e64 v85, v85, v100, s12
	v_perm_b32 v69, v102, v101, 0x5040100
	v_perm_b32 v86, v87, v86, 0x5040100
	v_perm_b32 v83, v91, v83, 0x5040100
	v_cndmask_b32_e64 v89, v89, v94, s23
	v_cndmask_b32_e64 v85, v85, v94, s15
	s_mul_i32 s7, s35, 10
	s_delay_alu instid0(VALU_DEP_2) | instskip(NEXT) | instid1(VALU_DEP_2)
	v_cndmask_b32_e64 v88, v89, v84, s26
	v_cndmask_b32_e64 v89, v85, v84, s17
	s_delay_alu instid0(VALU_DEP_2) | instskip(NEXT) | instid1(VALU_DEP_2)
	v_perm_b32 v85, v88, v90, 0x5040100
	v_perm_b32 v84, v89, v66, 0x5040100
	ds_store_b128 v76, v[69:72]
	ds_store_b128 v76, v[83:86] offset:1024
	v_cmpx_gt_u32_e32 10, v0
	s_cbranch_execz .LBB1879_78
; %bb.77:
	s_mul_i32 s3, s7, s30
	s_load_b128 s[8:11], s[0:1], 0x58
	v_add3_u32 v69, s3, s29, v65
	s_delay_alu instid0(VALU_DEP_1) | instskip(NEXT) | instid1(VALU_DEP_1)
	v_mad_u64_u32 v[65:66], null, v69, s34, s[14:15]
	v_ashrrev_i32_e32 v66, 31, v65
	s_delay_alu instid0(VALU_DEP_1) | instskip(SKIP_1) | instid1(VALU_DEP_1)
	v_lshlrev_b64 v[65:66], 2, v[65:66]
	s_waitcnt lgkmcnt(0)
	v_add_co_u32 v69, vcc_lo, s10, v65
	s_delay_alu instid0(VALU_DEP_2)
	v_add_co_ci_u32_e32 v70, vcc_lo, s11, v66, vcc_lo
	v_add_co_u32 v65, vcc_lo, s8, v65
	v_add_co_ci_u32_e32 v66, vcc_lo, s9, v66, vcc_lo
	global_store_b32 v[69:70], v67, off
	global_store_b32 v[65:66], v68, off
.LBB1879_78:
	s_or_b32 exec_lo, exec_lo, s2
	s_waitcnt lgkmcnt(0)
	s_waitcnt_vscnt null, 0x0
	s_barrier
	buffer_gl0_inv
	ds_load_b128 v[83:86], v80
	ds_load_b128 v[87:90], v80 offset:16
	ds_load_b128 v[95:98], v80 offset:2064
	;; [unrolled: 1-line block ×3, first 2 shown]
	v_mov_b32_e32 v65, 0
	ds_load_b128 v[103:106], v80 offset:4112
	ds_load_b128 v[99:102], v80 offset:4096
	;; [unrolled: 1-line block ×4, first 2 shown]
	v_mov_b32_e32 v66, v65
	v_mov_b32_e32 v67, v65
	;; [unrolled: 1-line block ×7, first 2 shown]
	s_waitcnt lgkmcnt(6)
	s_delay_alu instid0(VALU_DEP_1)
	v_wmma_f32_16x16x16_bf16 v[65:72], v[49:56], v[83:90], v[65:72]
	ds_load_b128 v[53:56], v80 offset:8208
	ds_load_b128 v[49:52], v80 offset:8192
	s_waitcnt lgkmcnt(6)
	v_wmma_f32_16x16x16_bf16 v[65:72], v[41:48], v[91:98], v[65:72]
	ds_load_b128 v[45:48], v80 offset:10256
	ds_load_b128 v[41:44], v80 offset:10240
	s_waitcnt lgkmcnt(6)
	;; [unrolled: 4-line block ×4, first 2 shown]
	v_wmma_f32_16x16x16_bf16 v[65:72], v[1:8], v[49:56], v[65:72]
	s_waitcnt lgkmcnt(4)
	s_delay_alu instid0(VALU_DEP_1) | instskip(SKIP_1) | instid1(VALU_DEP_1)
	v_wmma_f32_16x16x16_bf16 v[65:72], v[9:16], v[41:48], v[65:72]
	s_waitcnt lgkmcnt(2)
	v_wmma_f32_16x16x16_bf16 v[65:72], v[17:24], v[33:40], v[65:72]
	s_waitcnt lgkmcnt(0)
	s_delay_alu instid0(VALU_DEP_1) | instskip(NEXT) | instid1(VALU_DEP_1)
	v_wmma_f32_16x16x16_bf16 v[65:72], v[57:64], v[25:32], v[65:72]
	v_and_b32_e32 v1, 0x7f800000, v65
	s_delay_alu instid0(VALU_DEP_1) | instskip(SKIP_1) | instid1(SALU_CYCLE_1)
	v_cmp_ne_u32_e32 vcc_lo, 0x7f800000, v1
                                        ; implicit-def: $vgpr1
	s_and_saveexec_b32 s2, vcc_lo
	s_xor_b32 s2, exec_lo, s2
; %bb.79:
	v_bfe_u32 v1, v65, 16, 1
	s_delay_alu instid0(VALU_DEP_1)
	v_add3_u32 v1, v65, v1, 0x7fff
; %bb.80:
	s_and_not1_saveexec_b32 s2, s2
; %bb.81:
	v_and_b32_e32 v1, 0xffff, v65
	v_or_b32_e32 v2, 0x10000, v65
	s_delay_alu instid0(VALU_DEP_2) | instskip(NEXT) | instid1(VALU_DEP_2)
	v_cmp_eq_u32_e32 vcc_lo, 0, v1
	v_cndmask_b32_e32 v1, v2, v65, vcc_lo
; %bb.82:
	s_or_b32 exec_lo, exec_lo, s2
	v_and_b32_e32 v2, 0x7f800000, v66
	s_delay_alu instid0(VALU_DEP_1) | instskip(SKIP_1) | instid1(SALU_CYCLE_1)
	v_cmp_ne_u32_e32 vcc_lo, 0x7f800000, v2
                                        ; implicit-def: $vgpr2
	s_and_saveexec_b32 s2, vcc_lo
	s_xor_b32 s2, exec_lo, s2
; %bb.83:
	v_bfe_u32 v2, v66, 16, 1
	s_delay_alu instid0(VALU_DEP_1)
	v_add3_u32 v2, v66, v2, 0x7fff
; %bb.84:
	s_and_not1_saveexec_b32 s2, s2
; %bb.85:
	v_and_b32_e32 v2, 0xffff, v66
	v_or_b32_e32 v3, 0x10000, v66
	s_delay_alu instid0(VALU_DEP_2) | instskip(NEXT) | instid1(VALU_DEP_2)
	v_cmp_eq_u32_e32 vcc_lo, 0, v2
	v_cndmask_b32_e32 v2, v3, v66, vcc_lo
; %bb.86:
	s_or_b32 exec_lo, exec_lo, s2
	v_and_b32_e32 v3, 0x7f800000, v67
	s_delay_alu instid0(VALU_DEP_1) | instskip(SKIP_1) | instid1(SALU_CYCLE_1)
	v_cmp_ne_u32_e32 vcc_lo, 0x7f800000, v3
                                        ; implicit-def: $vgpr3
	s_and_saveexec_b32 s2, vcc_lo
	s_xor_b32 s2, exec_lo, s2
; %bb.87:
	v_bfe_u32 v3, v67, 16, 1
	s_delay_alu instid0(VALU_DEP_1)
	v_add3_u32 v3, v67, v3, 0x7fff
; %bb.88:
	s_and_not1_saveexec_b32 s2, s2
; %bb.89:
	v_and_b32_e32 v3, 0xffff, v67
	v_or_b32_e32 v4, 0x10000, v67
	s_delay_alu instid0(VALU_DEP_2) | instskip(NEXT) | instid1(VALU_DEP_2)
	v_cmp_eq_u32_e32 vcc_lo, 0, v3
	v_cndmask_b32_e32 v3, v4, v67, vcc_lo
; %bb.90:
	s_or_b32 exec_lo, exec_lo, s2
	v_and_b32_e32 v4, 0x7f800000, v68
	s_delay_alu instid0(VALU_DEP_1) | instskip(SKIP_1) | instid1(SALU_CYCLE_1)
	v_cmp_ne_u32_e32 vcc_lo, 0x7f800000, v4
                                        ; implicit-def: $vgpr4
	s_and_saveexec_b32 s2, vcc_lo
	s_xor_b32 s2, exec_lo, s2
; %bb.91:
	v_bfe_u32 v4, v68, 16, 1
	s_delay_alu instid0(VALU_DEP_1)
	v_add3_u32 v4, v68, v4, 0x7fff
; %bb.92:
	s_and_not1_saveexec_b32 s2, s2
; %bb.93:
	v_and_b32_e32 v4, 0xffff, v68
	v_or_b32_e32 v5, 0x10000, v68
	s_delay_alu instid0(VALU_DEP_2) | instskip(NEXT) | instid1(VALU_DEP_2)
	v_cmp_eq_u32_e32 vcc_lo, 0, v4
	v_cndmask_b32_e32 v4, v5, v68, vcc_lo
; %bb.94:
	s_or_b32 exec_lo, exec_lo, s2
	v_and_b32_e32 v5, 0x7f800000, v69
	s_delay_alu instid0(VALU_DEP_1) | instskip(SKIP_1) | instid1(SALU_CYCLE_1)
	v_cmp_ne_u32_e32 vcc_lo, 0x7f800000, v5
                                        ; implicit-def: $vgpr5
	s_and_saveexec_b32 s2, vcc_lo
	s_xor_b32 s2, exec_lo, s2
; %bb.95:
	v_bfe_u32 v5, v69, 16, 1
	s_delay_alu instid0(VALU_DEP_1)
	v_add3_u32 v5, v69, v5, 0x7fff
; %bb.96:
	s_and_not1_saveexec_b32 s2, s2
; %bb.97:
	v_and_b32_e32 v5, 0xffff, v69
	v_or_b32_e32 v6, 0x10000, v69
	s_delay_alu instid0(VALU_DEP_2) | instskip(NEXT) | instid1(VALU_DEP_2)
	v_cmp_eq_u32_e32 vcc_lo, 0, v5
	v_cndmask_b32_e32 v5, v6, v69, vcc_lo
; %bb.98:
	s_or_b32 exec_lo, exec_lo, s2
	v_and_b32_e32 v6, 0x7f800000, v70
	s_delay_alu instid0(VALU_DEP_1) | instskip(SKIP_1) | instid1(SALU_CYCLE_1)
	v_cmp_ne_u32_e32 vcc_lo, 0x7f800000, v6
                                        ; implicit-def: $vgpr6
	s_and_saveexec_b32 s2, vcc_lo
	s_xor_b32 s2, exec_lo, s2
; %bb.99:
	v_bfe_u32 v6, v70, 16, 1
	s_delay_alu instid0(VALU_DEP_1)
	v_add3_u32 v6, v70, v6, 0x7fff
; %bb.100:
	s_and_not1_saveexec_b32 s2, s2
; %bb.101:
	v_and_b32_e32 v6, 0xffff, v70
	v_or_b32_e32 v7, 0x10000, v70
	s_delay_alu instid0(VALU_DEP_2) | instskip(NEXT) | instid1(VALU_DEP_2)
	v_cmp_eq_u32_e32 vcc_lo, 0, v6
	v_cndmask_b32_e32 v6, v7, v70, vcc_lo
; %bb.102:
	s_or_b32 exec_lo, exec_lo, s2
	v_and_b32_e32 v7, 0x7f800000, v71
	s_delay_alu instid0(VALU_DEP_1) | instskip(SKIP_1) | instid1(SALU_CYCLE_1)
	v_cmp_ne_u32_e32 vcc_lo, 0x7f800000, v7
                                        ; implicit-def: $vgpr7
	s_and_saveexec_b32 s2, vcc_lo
	s_xor_b32 s2, exec_lo, s2
; %bb.103:
	v_bfe_u32 v7, v71, 16, 1
	s_delay_alu instid0(VALU_DEP_1)
	v_add3_u32 v7, v71, v7, 0x7fff
; %bb.104:
	s_and_not1_saveexec_b32 s2, s2
; %bb.105:
	v_and_b32_e32 v7, 0xffff, v71
	v_or_b32_e32 v8, 0x10000, v71
	s_delay_alu instid0(VALU_DEP_2) | instskip(NEXT) | instid1(VALU_DEP_2)
	v_cmp_eq_u32_e32 vcc_lo, 0, v7
	v_cndmask_b32_e32 v7, v8, v71, vcc_lo
; %bb.106:
	s_or_b32 exec_lo, exec_lo, s2
	v_and_b32_e32 v8, 0x7f800000, v72
	s_delay_alu instid0(VALU_DEP_1) | instskip(SKIP_1) | instid1(SALU_CYCLE_1)
	v_cmp_ne_u32_e32 vcc_lo, 0x7f800000, v8
                                        ; implicit-def: $vgpr8
	s_and_saveexec_b32 s2, vcc_lo
	s_xor_b32 s2, exec_lo, s2
; %bb.107:
	v_bfe_u32 v8, v72, 16, 1
	s_delay_alu instid0(VALU_DEP_1)
	v_add3_u32 v8, v72, v8, 0x7fff
                                        ; implicit-def: $vgpr65_vgpr66_vgpr67_vgpr68_vgpr69_vgpr70_vgpr71_vgpr72
; %bb.108:
	s_and_not1_saveexec_b32 s2, s2
; %bb.109:
	v_and_b32_e32 v8, 0xffff, v72
	v_or_b32_e32 v9, 0x10000, v72
	s_delay_alu instid0(VALU_DEP_2) | instskip(NEXT) | instid1(VALU_DEP_2)
	v_cmp_eq_u32_e32 vcc_lo, 0, v8
	v_cndmask_b32_e32 v8, v9, v72, vcc_lo
; %bb.110:
	s_or_b32 exec_lo, exec_lo, s2
	s_delay_alu instid0(VALU_DEP_1)
	v_perm_b32 v7, v8, v7, 0x7060302
	v_perm_b32 v6, v6, v5, 0x7060302
	;; [unrolled: 1-line block ×4, first 2 shown]
	s_barrier
	buffer_gl0_inv
	v_cmp_eq_u32_e32 vcc_lo, 1, v78
	ds_store_b128 v76, v[4:7]
	s_waitcnt lgkmcnt(0)
	s_barrier
	buffer_gl0_inv
	ds_load_b128 v[1:4], v82
	ds_load_b128 v[5:8], v82 offset:16
	v_cmp_eq_u32_e64 s2, 1, v79
	v_cmp_eq_u32_e64 s3, 2, v78
	;; [unrolled: 1-line block ×5, first 2 shown]
	s_waitcnt lgkmcnt(1)
	v_lshrrev_b32_e32 v9, 16, v1
	s_waitcnt lgkmcnt(0)
	v_lshrrev_b32_e32 v13, 16, v5
	v_lshrrev_b32_e32 v10, 16, v2
	;; [unrolled: 1-line block ×4, first 2 shown]
	v_cndmask_b32_e64 v19, v1, v9, s2
	v_cndmask_b32_e32 v18, v5, v13, vcc_lo
	v_cndmask_b32_e64 v20, v5, v13, s2
	v_cndmask_b32_e32 v17, v1, v9, vcc_lo
	v_cmp_eq_u32_e32 vcc_lo, 2, v79
	v_lshrrev_b32_e32 v15, 16, v7
	v_cmp_eq_u32_e64 s2, 1, v77
	v_lshrrev_b32_e32 v12, 16, v4
	v_lshrrev_b32_e32 v16, 16, v8
	v_cndmask_b32_e32 v20, v20, v6, vcc_lo
	v_cndmask_b32_e64 v17, v17, v2, s3
	v_cndmask_b32_e32 v19, v19, v2, vcc_lo
	v_cndmask_b32_e64 v18, v18, v6, s3
	v_cmp_eq_u32_e32 vcc_lo, 4, v78
	v_cmp_eq_u32_e64 s3, 3, v79
	v_cndmask_b32_e64 v17, v17, v10, s4
	v_cndmask_b32_e64 v21, v1, v9, s2
	;; [unrolled: 1-line block ×5, first 2 shown]
	v_cndmask_b32_e32 v17, v17, v3, vcc_lo
	v_cndmask_b32_e64 v20, v20, v14, s3
	v_cndmask_b32_e32 v18, v18, v7, vcc_lo
	v_cmp_eq_u32_e32 vcc_lo, 4, v79
	v_cmp_eq_u32_e64 s3, 5, v79
	v_cmp_eq_u32_e64 s2, 2, v81
	v_cndmask_b32_e64 v21, v21, v2, s6
	v_cmp_eq_u32_e64 s4, 5, v78
	v_cndmask_b32_e32 v19, v19, v3, vcc_lo
	v_cndmask_b32_e32 v20, v20, v7, vcc_lo
	v_cmp_eq_u32_e32 vcc_lo, 6, v79
	s_delay_alu instid0(VALU_DEP_4) | instskip(NEXT) | instid1(VALU_DEP_4)
	v_cndmask_b32_e64 v17, v17, v11, s4
	v_cndmask_b32_e64 v19, v19, v11, s3
	s_delay_alu instid0(VALU_DEP_4) | instskip(SKIP_1) | instid1(VALU_DEP_3)
	v_cndmask_b32_e64 v20, v20, v15, s3
	v_cmp_eq_u32_e64 s3, 1, v81
	v_cndmask_b32_e32 v19, v19, v4, vcc_lo
	v_cndmask_b32_e64 v18, v18, v15, s4
	s_delay_alu instid0(VALU_DEP_3)
	v_cndmask_b32_e64 v1, v1, v9, s3
	v_cndmask_b32_e64 v5, v5, v13, s3
	v_cmp_eq_u32_e64 s3, 3, v77
	v_cndmask_b32_e64 v13, v22, v6, s6
	v_cmp_eq_u32_e64 s6, 3, v81
	v_cndmask_b32_e64 v1, v1, v2, s2
	v_cndmask_b32_e64 v2, v5, v6, s2
	;; [unrolled: 1-line block ×3, first 2 shown]
	v_cmp_eq_u32_e64 s2, 4, v77
	v_cndmask_b32_e64 v6, v13, v14, s3
	v_cndmask_b32_e64 v1, v1, v10, s6
	v_cmp_eq_u32_e64 s3, 4, v81
	v_cndmask_b32_e64 v2, v2, v14, s6
	v_cndmask_b32_e64 v5, v9, v3, s2
	;; [unrolled: 3-line block ×3, first 2 shown]
	v_cndmask_b32_e64 v2, v2, v7, s3
	v_cmp_eq_u32_e64 s2, 5, v81
	v_cmp_eq_u32_e64 s4, 6, v78
	v_cndmask_b32_e64 v5, v5, v11, s6
	v_cmp_eq_u32_e64 s3, 6, v77
	v_cndmask_b32_e64 v3, v6, v15, s6
	v_cndmask_b32_e64 v1, v1, v11, s2
	v_cmp_eq_u32_e64 s6, 6, v81
	v_cndmask_b32_e64 v2, v2, v15, s2
	v_cndmask_b32_e64 v17, v17, v4, s4
	v_cndmask_b32_e64 v18, v18, v8, s4
	v_cmp_eq_u32_e64 s4, 7, v78
	v_cndmask_b32_e64 v5, v5, v4, s3
	v_cndmask_b32_e64 v3, v3, v8, s3
	v_cndmask_b32_e64 v1, v1, v4, s6
	v_cmp_eq_u32_e64 s2, 7, v81
	v_cndmask_b32_e64 v2, v2, v8, s6
	v_cmp_eq_u32_e64 s3, 7, v77
	v_cndmask_b32_e32 v4, v20, v8, vcc_lo
	v_cndmask_b32_e64 v17, v17, v12, s4
	v_cndmask_b32_e64 v19, v19, v12, s5
	;; [unrolled: 1-line block ×8, first 2 shown]
	s_mov_b32 s2, exec_lo
	v_perm_b32 v4, v2, v1, 0x5040100
	v_perm_b32 v3, v3, v5, 0x5040100
	;; [unrolled: 1-line block ×4, first 2 shown]
	ds_store_b128 v76, v[1:4]
	s_waitcnt lgkmcnt(0)
	s_barrier
	buffer_gl0_inv
	v_cmpx_gt_u32_e32 32, v0
	s_cbranch_execz .LBB1879_2
; %bb.111:
	s_load_b64 s[0:1], s[0:1], 0x68
	s_lshl_b32 s4, s34, 7
	v_or_b32_e32 v2, s29, v74
	s_mul_i32 s2, s4, s30
	v_lshlrev_b32_e32 v0, 10, v0
	s_mul_i32 s2, s2, s7
	v_lshlrev_b32_e32 v1, 4, v75
	s_ashr_i32 s3, s2, 31
	v_mul_lo_u32 v20, v2, s4
	s_lshl_b64 s[2:3], s[2:3], 1
	v_lshlrev_b32_e32 v3, 6, v74
	v_and_b32_e32 v0, 0x3800, v0
	s_delay_alu instid0(VALU_DEP_1) | instskip(NEXT) | instid1(VALU_DEP_4)
	v_or3_b32 v16, v0, v1, v3
	v_ashrrev_i32_e32 v21, 31, v20
	ds_load_b128 v[0:3], v16
	ds_load_b128 v[4:7], v16 offset:128
	s_waitcnt lgkmcnt(0)
	s_add_u32 s2, s0, s2
	s_addc_u32 s3, s1, s3
	s_lshl_b32 s0, s14, 7
	ds_load_b128 v[8:11], v16 offset:256
	ds_load_b128 v[12:15], v16 offset:384
	;; [unrolled: 1-line block ×3, first 2 shown]
	s_ashr_i32 s1, s0, 31
	s_delay_alu instid0(SALU_CYCLE_1) | instskip(NEXT) | instid1(SALU_CYCLE_1)
	s_lshl_b64 s[0:1], s[0:1], 1
	s_add_u32 s0, s2, s0
	s_addc_u32 s1, s3, s1
	s_lshl_b32 s2, s34, 8
	v_add_co_u32 v30, s0, s0, v73
	v_add_nc_u32_e32 v22, s2, v20
	v_lshlrev_b64 v[20:21], 1, v[20:21]
	v_add_co_ci_u32_e64 v31, null, s1, 0, s0
	s_delay_alu instid0(VALU_DEP_3) | instskip(SKIP_1) | instid1(VALU_DEP_4)
	v_add_nc_u32_e32 v24, s2, v22
	v_ashrrev_i32_e32 v23, 31, v22
	v_add_co_u32 v20, vcc_lo, v30, v20
	s_delay_alu instid0(VALU_DEP_4) | instskip(NEXT) | instid1(VALU_DEP_4)
	v_add_co_ci_u32_e32 v21, vcc_lo, v31, v21, vcc_lo
	v_add_nc_u32_e32 v26, s2, v24
	v_ashrrev_i32_e32 v25, 31, v24
	v_lshlrev_b64 v[22:23], 1, v[22:23]
	s_delay_alu instid0(VALU_DEP_3) | instskip(SKIP_1) | instid1(VALU_DEP_4)
	v_add_nc_u32_e32 v28, s2, v26
	v_ashrrev_i32_e32 v27, 31, v26
	v_lshlrev_b64 v[24:25], 1, v[24:25]
	s_delay_alu instid0(VALU_DEP_4) | instskip(NEXT) | instid1(VALU_DEP_4)
	v_add_co_u32 v22, vcc_lo, v30, v22
	v_ashrrev_i32_e32 v29, 31, v28
	s_delay_alu instid0(VALU_DEP_4) | instskip(SKIP_2) | instid1(VALU_DEP_4)
	v_lshlrev_b64 v[26:27], 1, v[26:27]
	v_add_co_ci_u32_e32 v23, vcc_lo, v31, v23, vcc_lo
	v_add_co_u32 v24, vcc_lo, v30, v24
	v_lshlrev_b64 v[28:29], 1, v[28:29]
	v_add_co_ci_u32_e32 v25, vcc_lo, v31, v25, vcc_lo
	v_add_co_u32 v26, vcc_lo, v30, v26
	v_add_co_ci_u32_e32 v27, vcc_lo, v31, v27, vcc_lo
	s_delay_alu instid0(VALU_DEP_4)
	v_add_co_u32 v28, vcc_lo, v30, v28
	v_add_co_ci_u32_e32 v29, vcc_lo, v31, v29, vcc_lo
	s_clause 0x1
	global_store_b128 v[20:21], v[0:3], off
	global_store_b128 v[22:23], v[4:7], off
	s_waitcnt lgkmcnt(2)
	global_store_b128 v[24:25], v[8:11], off
	s_waitcnt lgkmcnt(1)
	;; [unrolled: 2-line block ×3, first 2 shown]
	global_store_b128 v[28:29], v[16:19], off
	s_nop 0
	s_sendmsg sendmsg(MSG_DEALLOC_VGPRS)
	s_endpgm
	.section	.rodata,"a",@progbits
	.p2align	6, 0x0
	.amdhsa_kernel _Z39paged_attention_ll4mi_QKV_mfma16_kernelI14__hip_bfloat16hLN4vllm18Fp8KVCacheDataTypeE1EhLi32ELi128ELi256ELb0ELi10EL8MFMAType0EEvPKT_PKT0_S9_ifPKiSB_SB_iPKfiiiPfSE_PS4_PT2_iSD_SD_
		.amdhsa_group_segment_fixed_size 17472
		.amdhsa_private_segment_fixed_size 0
		.amdhsa_kernarg_size 400
		.amdhsa_user_sgpr_count 13
		.amdhsa_user_sgpr_dispatch_ptr 0
		.amdhsa_user_sgpr_queue_ptr 0
		.amdhsa_user_sgpr_kernarg_segment_ptr 1
		.amdhsa_user_sgpr_dispatch_id 0
		.amdhsa_user_sgpr_private_segment_size 0
		.amdhsa_wavefront_size32 1
		.amdhsa_uses_dynamic_stack 0
		.amdhsa_enable_private_segment 0
		.amdhsa_system_sgpr_workgroup_id_x 1
		.amdhsa_system_sgpr_workgroup_id_y 1
		.amdhsa_system_sgpr_workgroup_id_z 1
		.amdhsa_system_sgpr_workgroup_info 0
		.amdhsa_system_vgpr_workitem_id 0
		.amdhsa_next_free_vgpr 140
		.amdhsa_next_free_sgpr 36
		.amdhsa_reserve_vcc 1
		.amdhsa_float_round_mode_32 0
		.amdhsa_float_round_mode_16_64 0
		.amdhsa_float_denorm_mode_32 3
		.amdhsa_float_denorm_mode_16_64 3
		.amdhsa_dx10_clamp 1
		.amdhsa_ieee_mode 1
		.amdhsa_fp16_overflow 0
		.amdhsa_workgroup_processor_mode 1
		.amdhsa_memory_ordered 1
		.amdhsa_forward_progress 0
		.amdhsa_shared_vgpr_count 0
		.amdhsa_exception_fp_ieee_invalid_op 0
		.amdhsa_exception_fp_denorm_src 0
		.amdhsa_exception_fp_ieee_div_zero 0
		.amdhsa_exception_fp_ieee_overflow 0
		.amdhsa_exception_fp_ieee_underflow 0
		.amdhsa_exception_fp_ieee_inexact 0
		.amdhsa_exception_int_div_zero 0
	.end_amdhsa_kernel
	.section	.text._Z39paged_attention_ll4mi_QKV_mfma16_kernelI14__hip_bfloat16hLN4vllm18Fp8KVCacheDataTypeE1EhLi32ELi128ELi256ELb0ELi10EL8MFMAType0EEvPKT_PKT0_S9_ifPKiSB_SB_iPKfiiiPfSE_PS4_PT2_iSD_SD_,"axG",@progbits,_Z39paged_attention_ll4mi_QKV_mfma16_kernelI14__hip_bfloat16hLN4vllm18Fp8KVCacheDataTypeE1EhLi32ELi128ELi256ELb0ELi10EL8MFMAType0EEvPKT_PKT0_S9_ifPKiSB_SB_iPKfiiiPfSE_PS4_PT2_iSD_SD_,comdat
.Lfunc_end1879:
	.size	_Z39paged_attention_ll4mi_QKV_mfma16_kernelI14__hip_bfloat16hLN4vllm18Fp8KVCacheDataTypeE1EhLi32ELi128ELi256ELb0ELi10EL8MFMAType0EEvPKT_PKT0_S9_ifPKiSB_SB_iPKfiiiPfSE_PS4_PT2_iSD_SD_, .Lfunc_end1879-_Z39paged_attention_ll4mi_QKV_mfma16_kernelI14__hip_bfloat16hLN4vllm18Fp8KVCacheDataTypeE1EhLi32ELi128ELi256ELb0ELi10EL8MFMAType0EEvPKT_PKT0_S9_ifPKiSB_SB_iPKfiiiPfSE_PS4_PT2_iSD_SD_
                                        ; -- End function
	.section	.AMDGPU.csdata,"",@progbits
; Kernel info:
; codeLenInByte = 8952
; NumSgprs: 38
; NumVgprs: 140
; ScratchSize: 0
; MemoryBound: 0
; FloatMode: 240
; IeeeMode: 1
; LDSByteSize: 17472 bytes/workgroup (compile time only)
; SGPRBlocks: 4
; VGPRBlocks: 17
; NumSGPRsForWavesPerEU: 38
; NumVGPRsForWavesPerEU: 140
; Occupancy: 10
; WaveLimiterHint : 1
; COMPUTE_PGM_RSRC2:SCRATCH_EN: 0
; COMPUTE_PGM_RSRC2:USER_SGPR: 13
; COMPUTE_PGM_RSRC2:TRAP_HANDLER: 0
; COMPUTE_PGM_RSRC2:TGID_X_EN: 1
; COMPUTE_PGM_RSRC2:TGID_Y_EN: 1
; COMPUTE_PGM_RSRC2:TGID_Z_EN: 1
; COMPUTE_PGM_RSRC2:TIDIG_COMP_CNT: 0
	.section	.text._Z39paged_attention_ll4mi_QKV_mfma16_kernelI14__hip_bfloat16hLN4vllm18Fp8KVCacheDataTypeE1EhLi32ELi128ELi256ELb0ELi11EL8MFMAType0EEvPKT_PKT0_S9_ifPKiSB_SB_iPKfiiiPfSE_PS4_PT2_iSD_SD_,"axG",@progbits,_Z39paged_attention_ll4mi_QKV_mfma16_kernelI14__hip_bfloat16hLN4vllm18Fp8KVCacheDataTypeE1EhLi32ELi128ELi256ELb0ELi11EL8MFMAType0EEvPKT_PKT0_S9_ifPKiSB_SB_iPKfiiiPfSE_PS4_PT2_iSD_SD_,comdat
	.protected	_Z39paged_attention_ll4mi_QKV_mfma16_kernelI14__hip_bfloat16hLN4vllm18Fp8KVCacheDataTypeE1EhLi32ELi128ELi256ELb0ELi11EL8MFMAType0EEvPKT_PKT0_S9_ifPKiSB_SB_iPKfiiiPfSE_PS4_PT2_iSD_SD_ ; -- Begin function _Z39paged_attention_ll4mi_QKV_mfma16_kernelI14__hip_bfloat16hLN4vllm18Fp8KVCacheDataTypeE1EhLi32ELi128ELi256ELb0ELi11EL8MFMAType0EEvPKT_PKT0_S9_ifPKiSB_SB_iPKfiiiPfSE_PS4_PT2_iSD_SD_
	.globl	_Z39paged_attention_ll4mi_QKV_mfma16_kernelI14__hip_bfloat16hLN4vllm18Fp8KVCacheDataTypeE1EhLi32ELi128ELi256ELb0ELi11EL8MFMAType0EEvPKT_PKT0_S9_ifPKiSB_SB_iPKfiiiPfSE_PS4_PT2_iSD_SD_
	.p2align	8
	.type	_Z39paged_attention_ll4mi_QKV_mfma16_kernelI14__hip_bfloat16hLN4vllm18Fp8KVCacheDataTypeE1EhLi32ELi128ELi256ELb0ELi11EL8MFMAType0EEvPKT_PKT0_S9_ifPKiSB_SB_iPKfiiiPfSE_PS4_PT2_iSD_SD_,@function
_Z39paged_attention_ll4mi_QKV_mfma16_kernelI14__hip_bfloat16hLN4vllm18Fp8KVCacheDataTypeE1EhLi32ELi128ELi256ELb0ELi11EL8MFMAType0EEvPKT_PKT0_S9_ifPKiSB_SB_iPKfiiiPfSE_PS4_PT2_iSD_SD_: ; @_Z39paged_attention_ll4mi_QKV_mfma16_kernelI14__hip_bfloat16hLN4vllm18Fp8KVCacheDataTypeE1EhLi32ELi128ELi256ELb0ELi11EL8MFMAType0EEvPKT_PKT0_S9_ifPKiSB_SB_iPKfiiiPfSE_PS4_PT2_iSD_SD_
; %bb.0:
	s_load_b64 s[4:5], s[0:1], 0x30
	s_mov_b32 s30, s13
	s_waitcnt lgkmcnt(0)
	s_cmp_lg_u64 s[4:5], 0
	s_cselect_b32 s13, -1, 0
	s_ashr_i32 s31, s30, 31
	s_cmp_eq_u64 s[4:5], 0
	s_cbranch_scc1 .LBB1880_3
; %bb.1:
	s_lshl_b64 s[2:3], s[30:31], 2
	s_delay_alu instid0(SALU_CYCLE_1) | instskip(SKIP_4) | instid1(SALU_CYCLE_1)
	s_add_u32 s2, s4, s2
	s_addc_u32 s3, s5, s3
	s_load_b64 s[2:3], s[2:3], 0x0
	s_waitcnt lgkmcnt(0)
	s_sub_i32 s2, s3, s2
	s_cmp_eq_u32 s2, 1
	s_cselect_b32 s2, -1, 0
	s_delay_alu instid0(SALU_CYCLE_1)
	s_and_not1_b32 vcc_lo, exec_lo, s2
	s_cbranch_vccz .LBB1880_4
.LBB1880_2:
	s_nop 0
	s_sendmsg sendmsg(MSG_DEALLOC_VGPRS)
	s_endpgm
.LBB1880_3:
.LBB1880_4:
	s_load_b64 s[2:3], s[0:1], 0x28
	s_lshl_b64 s[6:7], s[30:31], 2
	s_waitcnt lgkmcnt(0)
	s_add_u32 s2, s2, s6
	s_addc_u32 s3, s3, s7
	s_lshl_b32 s12, s14, 8
	s_load_b32 s17, s[2:3], 0x0
	s_waitcnt lgkmcnt(0)
	s_cmp_ge_i32 s12, s17
	s_cbranch_scc1 .LBB1880_2
; %bb.5:
	s_clause 0x1
	s_load_b128 s[8:11], s[0:1], 0x8
	s_load_b64 s[2:3], s[0:1], 0x20
	s_and_not1_b32 vcc_lo, exec_lo, s13
	s_cbranch_vccnz .LBB1880_7
; %bb.6:
	s_add_u32 s4, s4, s6
	s_addc_u32 s5, s5, s7
	s_load_b32 s13, s[4:5], 0x0
	s_branch .LBB1880_8
.LBB1880_7:
	s_mov_b32 s13, s30
.LBB1880_8:
	s_load_b128 s[4:7], s[0:1], 0x48
	v_and_b32_e32 v65, 15, v0
	v_lshrrev_b32_e32 v66, 5, v0
	v_bfe_u32 v74, v0, 4, 1
	v_and_b32_e32 v67, 31, v0
	v_and_b32_e32 v75, 1, v0
	v_lshlrev_b32_e32 v2, 3, v65
	s_mul_i32 s31, s15, 11
	v_lshl_or_b32 v1, v66, 1, v74
	s_waitcnt lgkmcnt(0)
	s_mov_b32 s7, exec_lo
	v_lshlrev_b32_e32 v73, 1, v2
	s_delay_alu instid0(VALU_DEP_2)
	v_cmpx_gt_u32_e32 11, v1
	s_cbranch_execz .LBB1880_10
; %bb.9:
	s_load_b64 s[18:19], s[0:1], 0x0
	v_add_lshl_u32 v2, v1, s31, 7
	s_mul_hi_i32 s21, s13, s4
	s_mul_i32 s20, s13, s4
	v_lshlrev_b32_e32 v6, 10, v65
	s_lshl_b64 s[20:21], s[20:21], 1
	v_ashrrev_i32_e32 v3, 31, v2
	v_lshlrev_b32_e32 v1, 6, v1
	v_lshlrev_b32_e32 v7, 10, v75
	v_and_b32_e32 v6, 0x3800, v6
	s_delay_alu instid0(VALU_DEP_4) | instskip(NEXT) | instid1(VALU_DEP_2)
	v_lshlrev_b64 v[2:3], 1, v[2:3]
	v_or3_b32 v1, v6, v7, v1
	s_waitcnt lgkmcnt(0)
	s_add_u32 s4, s18, s20
	s_addc_u32 s13, s19, s21
	s_delay_alu instid0(VALU_DEP_2) | instskip(SKIP_1) | instid1(VALU_DEP_2)
	v_add_co_u32 v2, vcc_lo, s4, v2
	v_add_co_ci_u32_e32 v3, vcc_lo, s13, v3, vcc_lo
	v_add_co_u32 v2, vcc_lo, v2, v73
	s_delay_alu instid0(VALU_DEP_2)
	v_add_co_ci_u32_e32 v3, vcc_lo, 0, v3, vcc_lo
	global_load_b128 v[2:5], v[2:3], off
	s_waitcnt vmcnt(0)
	ds_store_b128 v1, v[2:5]
.LBB1880_10:
	s_or_b32 exec_lo, exec_lo, s7
	v_and_b32_e32 v1, 0xef, v0
	s_add_i32 s4, s17, 31
	s_clause 0x1
	s_load_b32 s7, s[0:1], 0x38
	s_load_b32 s18, s[0:1], 0x1c
	s_ashr_i32 s13, s4, 31
	v_add_nc_u32_e32 v1, s12, v1
	s_lshr_b32 s13, s13, 27
	s_waitcnt lgkmcnt(0)
	s_add_i32 s4, s4, s13
	s_barrier
	v_ashrrev_i32_e32 v2, 31, v1
	v_or_b32_e32 v3, 16, v1
	s_ashr_i32 s4, s4, 5
	v_cmp_gt_i32_e32 vcc_lo, s17, v1
	s_add_i32 s4, s4, -1
	v_lshrrev_b32_e32 v2, 27, v2
	buffer_gl0_inv
	s_mul_i32 s15, s15, s6
	v_add_nc_u32_e32 v4, v1, v2
	s_mul_i32 s20, s30, s7
	s_delay_alu instid0(SALU_CYCLE_1) | instskip(NEXT) | instid1(VALU_DEP_1)
	s_ashr_i32 s21, s20, 31
	v_ashrrev_i32_e32 v4, 5, v4
	v_add_nc_u32_e32 v2, v3, v2
	s_lshl_b64 s[20:21], s[20:21], 2
	s_delay_alu instid0(SALU_CYCLE_1) | instskip(NEXT) | instid1(VALU_DEP_2)
	s_add_u32 s13, s2, s20
	v_cndmask_b32_e32 v1, s4, v4, vcc_lo
	s_delay_alu instid0(VALU_DEP_2)
	v_ashrrev_i32_e32 v2, 5, v2
	v_cmp_gt_i32_e32 vcc_lo, s17, v3
	s_addc_u32 s16, s3, s21
	s_ashr_i32 s19, s15, 31
	s_add_u32 s2, s8, s15
	s_addc_u32 s3, s9, s19
	v_cndmask_b32_e32 v3, s4, v2, vcc_lo
	v_ashrrev_i32_e32 v2, 31, v1
	s_lshl_b32 s6, s14, 3
	s_delay_alu instid0(SALU_CYCLE_1) | instskip(NEXT) | instid1(VALU_DEP_2)
	s_ashr_i32 s7, s6, 31
	v_ashrrev_i32_e32 v4, 31, v3
	s_delay_alu instid0(VALU_DEP_2) | instskip(SKIP_1) | instid1(SALU_CYCLE_1)
	v_lshlrev_b64 v[1:2], 2, v[1:2]
	s_lshl_b64 s[6:7], s[6:7], 2
	s_add_u32 s6, s13, s6
	s_delay_alu instid0(VALU_DEP_2) | instskip(SKIP_1) | instid1(VALU_DEP_2)
	v_lshlrev_b64 v[3:4], 2, v[3:4]
	s_addc_u32 s7, s16, s7
	v_add_co_u32 v1, vcc_lo, s13, v1
	v_add_co_ci_u32_e32 v2, vcc_lo, s16, v2, vcc_lo
	s_delay_alu instid0(VALU_DEP_3) | instskip(NEXT) | instid1(VALU_DEP_4)
	v_add_co_u32 v3, vcc_lo, s13, v3
	v_add_co_ci_u32_e32 v4, vcc_lo, s16, v4, vcc_lo
	s_clause 0x1
	global_load_b32 v5, v[1:2], off
	global_load_b32 v6, v[3:4], off
	s_or_b32 s8, s12, 32
	s_delay_alu instid0(SALU_CYCLE_1) | instskip(SKIP_2) | instid1(SALU_CYCLE_1)
	s_ashr_i32 s9, s8, 5
	s_cmp_lt_i32 s8, s17
	s_cselect_b32 s8, s9, s4
	s_ashr_i32 s9, s8, 31
	s_delay_alu instid0(SALU_CYCLE_1) | instskip(NEXT) | instid1(SALU_CYCLE_1)
	s_lshl_b64 s[8:9], s[8:9], 2
	s_add_u32 s8, s13, s8
	s_addc_u32 s9, s16, s9
	s_or_b32 s20, s12, 64
	s_delay_alu instid0(SALU_CYCLE_1) | instskip(SKIP_2) | instid1(SALU_CYCLE_1)
	s_ashr_i32 s21, s20, 5
	s_cmp_lt_i32 s20, s17
	s_cselect_b32 s20, s21, s4
	s_ashr_i32 s21, s20, 31
	s_delay_alu instid0(SALU_CYCLE_1) | instskip(NEXT) | instid1(SALU_CYCLE_1)
	s_lshl_b64 s[20:21], s[20:21], 2
	s_add_u32 s20, s13, s20
	s_addc_u32 s21, s16, s21
	;; [unrolled: 10-line block ×5, first 2 shown]
	s_clause 0x5
	s_load_b32 s28, s[6:7], 0x0
	s_load_b32 s8, s[8:9], 0x0
	;; [unrolled: 1-line block ×6, first 2 shown]
	s_mov_b32 s20, 0
	s_delay_alu instid0(SALU_CYCLE_1)
	s_mov_b32 s21, s20
	s_mov_b32 s22, s20
	;; [unrolled: 1-line block ×7, first 2 shown]
	s_delay_alu instid0(SALU_CYCLE_1)
	v_dual_mov_b32 v107, s27 :: v_dual_mov_b32 v106, s26
	v_dual_mov_b32 v104, s24 :: v_dual_mov_b32 v103, s23
	;; [unrolled: 1-line block ×3, first 2 shown]
	v_mov_b32_e32 v100, s20
	s_waitcnt vmcnt(1)
	v_mad_i64_i32 v[1:2], null, v5, s5, s[2:3]
	v_lshlrev_b32_e32 v5, 4, v65
	s_waitcnt vmcnt(0)
	v_mad_i64_i32 v[3:4], null, v6, s5, s[2:3]
	s_or_b32 s2, s12, 0xc0
	s_delay_alu instid0(SALU_CYCLE_1) | instskip(NEXT) | instid1(VALU_DEP_3)
	s_ashr_i32 s3, s2, 5
	v_add_co_u32 v33, vcc_lo, v1, v5
	s_delay_alu instid0(VALU_DEP_4) | instskip(NEXT) | instid1(VALU_DEP_3)
	v_add_co_ci_u32_e32 v34, vcc_lo, 0, v2, vcc_lo
	v_add_co_u32 v35, vcc_lo, v3, v5
	s_delay_alu instid0(VALU_DEP_4)
	v_add_co_ci_u32_e32 v36, vcc_lo, 0, v4, vcc_lo
	s_clause 0xf
	global_load_b128 v[1:4], v[33:34], off
	global_load_b128 v[5:8], v[33:34], off offset:512
	global_load_b128 v[9:12], v[35:36], off offset:256
	;; [unrolled: 1-line block ×15, first 2 shown]
	s_cmp_lt_i32 s2, s17
	v_add_nc_u32_e32 v33, -11, v65
	s_cselect_b32 s2, s3, s4
	v_cmp_gt_u32_e32 vcc_lo, 11, v65
	s_ashr_i32 s3, s2, 31
	v_lshlrev_b32_e32 v34, 5, v65
	s_lshl_b64 s[2:3], s[2:3], 2
	s_delay_alu instid0(SALU_CYCLE_1)
	s_add_u32 s2, s13, s2
	s_addc_u32 s3, s16, s3
	s_or_b32 s6, s12, 0xe0
	v_cndmask_b32_e32 v33, v33, v65, vcc_lo
	s_ashr_i32 s7, s6, 5
	s_cmp_lt_i32 s6, s17
	v_mov_b32_e32 v105, s25
	s_cselect_b32 s6, s7, s4
	v_lshlrev_b32_e32 v72, 6, v33
	s_ashr_i32 s7, s6, 31
	v_lshl_or_b32 v41, v66, 9, v34
	s_lshl_b64 s[6:7], s[6:7], 2
	ds_load_b128 v[33:36], v72
	ds_load_b128 v[37:40], v72 offset:1024
	ds_load_b128 v[108:111], v72 offset:2048
	;; [unrolled: 1-line block ×3, first 2 shown]
	s_load_b32 s4, s[2:3], 0x0
	s_add_u32 s2, s13, s6
	s_addc_u32 s3, s16, s7
	ds_load_b128 v[116:119], v72 offset:4096
	ds_load_b128 v[120:123], v72 offset:5120
	s_load_b32 s2, s[2:3], 0x0
	s_add_u32 s6, s10, s15
	s_addc_u32 s7, s11, s19
	v_add_co_u32 v68, s6, s6, v41
	s_delay_alu instid0(VALU_DEP_1) | instskip(SKIP_1) | instid1(VALU_DEP_1)
	v_add_co_ci_u32_e64 v69, null, s7, 0, s6
	s_waitcnt lgkmcnt(0)
	v_mad_i64_i32 v[41:42], null, s28, s5, v[68:69]
	v_mad_i64_i32 v[70:71], null, s9, s5, v[68:69]
	;; [unrolled: 1-line block ×7, first 2 shown]
	s_clause 0x3
	global_load_b128 v[49:52], v[41:42], off
	global_load_b128 v[53:56], v[41:42], off offset:16
	global_load_b128 v[41:44], v[45:46], off
	global_load_b128 v[45:48], v[45:46], off offset:16
	s_waitcnt vmcnt(18)
	v_wmma_f32_16x16x16_bf16 v[124:131], v[1:8], v[33:40], v[100:107]
	s_waitcnt vmcnt(16)
	v_wmma_f32_16x16x16_bf16 v[100:107], v[9:16], v[33:40], v[100:107]
	s_clause 0x1
	global_load_b128 v[33:36], v[70:71], off
	global_load_b128 v[37:40], v[70:71], off offset:16
	v_mad_i64_i32 v[70:71], null, s2, s5, v[68:69]
	s_waitcnt vmcnt(16)
	v_wmma_f32_16x16x16_bf16 v[124:131], v[17:24], v[108:115], v[124:131]
	s_waitcnt vmcnt(14)
	v_wmma_f32_16x16x16_bf16 v[100:107], v[25:32], v[108:115], v[100:107]
	s_clause 0x7
	global_load_b128 v[25:28], v[132:133], off
	global_load_b128 v[29:32], v[132:133], off offset:16
	global_load_b128 v[1:4], v[134:135], off
	global_load_b128 v[5:8], v[134:135], off offset:16
	global_load_b128 v[9:12], v[136:137], off
	global_load_b128 v[13:16], v[136:137], off offset:16
	global_load_b128 v[17:20], v[138:139], off
	global_load_b128 v[21:24], v[138:139], off offset:16
	s_waitcnt vmcnt(20)
	v_wmma_f32_16x16x16_bf16 v[124:131], v[57:64], v[116:123], v[124:131]
	s_clause 0x1
	global_load_b128 v[57:60], v[70:71], off
	global_load_b128 v[61:64], v[70:71], off offset:16
	s_waitcnt vmcnt(20)
	v_wmma_f32_16x16x16_bf16 v[100:107], v[76:83], v[116:123], v[100:107]
	ds_load_b128 v[76:79], v72 offset:6144
	ds_load_b128 v[80:83], v72 offset:7168
	v_and_b32_e32 v68, 0xe0, v0
	v_mbcnt_lo_u32_b32 v69, -1, 0
	s_waitcnt vmcnt(0) lgkmcnt(0)
	s_barrier
	buffer_gl0_inv
	v_add_nc_u32_e32 v68, s12, v68
	v_xor_b32_e32 v70, 16, v69
	s_delay_alu instid0(VALU_DEP_2) | instskip(NEXT) | instid1(VALU_DEP_2)
	v_or_b32_e32 v68, v68, v74
	v_cmp_gt_i32_e32 vcc_lo, 32, v70
	s_delay_alu instid0(VALU_DEP_2)
	v_or_b32_e32 v71, 4, v68
	v_or_b32_e32 v72, 6, v68
	v_cmp_gt_i32_e64 s2, s17, v68
	v_or_b32_e32 v108, 8, v68
	v_wmma_f32_16x16x16_bf16 v[124:131], v[84:91], v[76:83], v[124:131]
	v_cndmask_b32_e32 v69, v69, v70, vcc_lo
	v_or_b32_e32 v70, 2, v68
	v_wmma_f32_16x16x16_bf16 v[100:107], v[92:99], v[76:83], v[100:107]
	v_or_b32_e32 v109, 10, v68
	v_dual_mul_f32 v80, s18, v129 :: v_dual_mul_f32 v81, s18, v128
	v_dual_mul_f32 v92, s18, v125 :: v_dual_mul_f32 v93, s18, v124
	s_delay_alu instid0(VALU_DEP_4)
	v_mul_f32_e32 v96, s18, v105
	v_cmp_gt_i32_e32 vcc_lo, s17, v70
	v_or_b32_e32 v89, 22, v68
	v_dual_mul_f32 v79, s18, v130 :: v_dual_mul_f32 v82, s18, v127
	v_dual_mul_f32 v83, s18, v126 :: v_dual_mul_f32 v94, s18, v107
	v_cndmask_b32_e64 v93, 0xff7fffff, v93, s2
	v_cndmask_b32_e32 v92, 0xff7fffff, v92, vcc_lo
	v_cmp_gt_i32_e64 s3, s17, v71
	v_cmp_gt_i32_e64 s4, s17, v72
	v_or_b32_e32 v84, 12, v68
	v_or_b32_e32 v85, 14, v68
	v_cmp_gt_i32_e64 s5, s17, v108
	v_cndmask_b32_e64 v71, 0xff7fffff, v83, s3
	v_cndmask_b32_e64 v72, 0xff7fffff, v82, s4
	v_cmp_gt_i32_e64 s6, s17, v109
	v_cmp_gt_i32_e64 s12, s17, v89
	v_lshlrev_b32_e32 v89, 2, v69
	v_max3_f32 v82, v93, 0xff7fffff, v92
	v_or_b32_e32 v86, 16, v68
	v_or_b32_e32 v87, 18, v68
	v_mul_f32_e32 v78, s18, v131
	v_cndmask_b32_e64 v81, 0xff7fffff, v81, s5
	v_cndmask_b32_e64 v80, 0xff7fffff, v80, s6
	v_max3_f32 v71, v82, v71, v72
	v_cmp_gt_i32_e64 s7, s17, v84
	v_cmp_gt_i32_e64 s8, s17, v85
	v_or_b32_e32 v88, 20, v68
	v_or_b32_e32 v90, 24, v68
	;; [unrolled: 1-line block ×5, first 2 shown]
	v_dual_mul_f32 v97, s18, v104 :: v_dual_mul_f32 v70, s18, v101
	v_dual_mul_f32 v99, s18, v102 :: v_dual_mul_f32 v68, s18, v100
	v_cndmask_b32_e64 v72, 0xff7fffff, v79, s7
	v_cndmask_b32_e64 v78, 0xff7fffff, v78, s8
	v_max3_f32 v71, v71, v81, v80
	v_cmp_gt_i32_e64 s9, s17, v86
	v_cmp_gt_i32_e64 s10, s17, v87
	v_dual_mul_f32 v95, s18, v106 :: v_dual_mul_f32 v98, s18, v103
	s_delay_alu instid0(VALU_DEP_4) | instskip(NEXT) | instid1(VALU_DEP_4)
	v_max3_f32 v71, v71, v72, v78
	v_cndmask_b32_e64 v68, 0xff7fffff, v68, s9
	s_delay_alu instid0(VALU_DEP_4)
	v_cndmask_b32_e64 v70, 0xff7fffff, v70, s10
	v_cmp_gt_i32_e64 s11, s17, v88
	v_cndmask_b32_e64 v78, 0xff7fffff, v98, s12
	v_cmp_gt_i32_e64 s13, s17, v90
	v_cmp_gt_i32_e64 s15, s17, v91
	v_max3_f32 v68, v71, v68, v70
	v_cndmask_b32_e64 v72, 0xff7fffff, v99, s11
	v_cmp_gt_i32_e64 s16, s17, v76
	v_cndmask_b32_e64 v70, 0xff7fffff, v97, s13
	v_cndmask_b32_e64 v71, 0xff7fffff, v96, s15
	v_cmp_gt_i32_e64 s17, s17, v77
	v_max3_f32 v68, v68, v72, v78
	v_cndmask_b32_e64 v72, 0xff7fffff, v95, s16
	s_delay_alu instid0(VALU_DEP_3) | instskip(NEXT) | instid1(VALU_DEP_3)
	v_cndmask_b32_e64 v76, 0xff7fffff, v94, s17
	v_max3_f32 v68, v68, v70, v71
	s_delay_alu instid0(VALU_DEP_1) | instskip(SKIP_3) | instid1(VALU_DEP_1)
	v_max3_f32 v68, v68, v72, v76
	ds_bpermute_b32 v69, v89, v68
	s_waitcnt lgkmcnt(0)
	v_max_f32_e32 v69, v69, v69
	v_max_f32_e32 v68, v68, v69
	s_delay_alu instid0(VALU_DEP_1) | instskip(NEXT) | instid1(VALU_DEP_1)
	v_fma_f32 v71, s18, v126, -v68
	v_mul_f32_e32 v71, 0x3fb8aa3b, v71
	v_fma_f32 v70, s18, v125, -v68
	v_fma_f32 v69, s18, v124, -v68
	;; [unrolled: 1-line block ×5, first 2 shown]
	s_delay_alu instid0(VALU_DEP_4) | instskip(SKIP_1) | instid1(VALU_DEP_3)
	v_dual_mul_f32 v70, 0x3fb8aa3b, v70 :: v_dual_mul_f32 v69, 0x3fb8aa3b, v69
	v_exp_f32_e32 v71, v71
	v_mul_f32_e32 v72, 0x3fb8aa3b, v72
	v_fma_f32 v81, s18, v105, -v68
	s_delay_alu instid0(VALU_DEP_3)
	v_exp_f32_e32 v70, v70
	v_mul_f32_e32 v77, 0x3fb8aa3b, v76
	v_exp_f32_e32 v69, v69
	v_exp_f32_e32 v72, v72
	v_mul_f32_e32 v81, 0x3fb8aa3b, v81
	v_cndmask_b32_e64 v83, 0, v71, s3
	v_fma_f32 v71, s18, v131, -v68
	s_delay_alu instid0(VALU_DEP_3) | instskip(SKIP_4) | instid1(TRANS32_DEP_3)
	v_exp_f32_e32 v81, v81
	v_cndmask_b32_e32 v76, 0, v70, vcc_lo
	v_exp_f32_e32 v77, v77
	v_cndmask_b32_e64 v80, 0, v69, s2
	v_fma_f32 v69, s18, v129, -v68
	v_cndmask_b32_e64 v85, 0, v72, s4
	v_mul_f32_e32 v71, 0x3fb8aa3b, v71
	v_fma_f32 v72, s18, v100, -v68
	s_delay_alu instid0(VALU_DEP_4) | instskip(SKIP_1) | instid1(VALU_DEP_4)
	v_dual_add_f32 v70, 0, v80 :: v_dual_mul_f32 v69, 0x3fb8aa3b, v69
	v_cmp_gt_u32_e64 s2, 16, v67
	v_exp_f32_e32 v71, v71
	s_delay_alu instid0(TRANS32_DEP_2) | instskip(SKIP_4) | instid1(VALU_DEP_3)
	v_cndmask_b32_e64 v86, 0, v77, s5
	v_fma_f32 v77, s18, v101, -v68
	v_mul_f32_e32 v78, 0x3fb8aa3b, v78
	v_add_f32_e32 v70, v70, v76
	v_exp_f32_e32 v69, v69
	v_mul_f32_e32 v77, 0x3fb8aa3b, v77
	s_delay_alu instid0(VALU_DEP_3) | instskip(NEXT) | instid1(TRANS32_DEP_3)
	v_exp_f32_e32 v78, v78
	v_cndmask_b32_e64 v88, 0, v71, s8
	v_fma_f32 v71, s18, v104, -v68
	s_delay_alu instid0(VALU_DEP_3) | instskip(NEXT) | instid1(TRANS32_DEP_3)
	v_exp_f32_e32 v77, v77
	v_cndmask_b32_e64 v87, 0, v69, s6
	s_delay_alu instid0(VALU_DEP_2)
	v_mul_f32_e32 v71, 0x3fb8aa3b, v71
	s_waitcnt_depctr 0xfff
	v_cndmask_b32_e64 v84, 0, v78, s7
	v_add_f32_e32 v70, v70, v83
	v_fma_f32 v78, s18, v103, -v68
	v_exp_f32_e32 v82, v71
	s_delay_alu instid0(VALU_DEP_2) | instskip(SKIP_1) | instid1(VALU_DEP_3)
	v_add_f32_e32 v70, v70, v85
	v_mul_f32_e32 v72, 0x3fb8aa3b, v72
	v_mul_f32_e32 v78, 0x3fb8aa3b, v78
	s_delay_alu instid0(VALU_DEP_3) | instskip(SKIP_1) | instid1(VALU_DEP_4)
	v_add_f32_e32 v69, v70, v86
	v_fma_f32 v70, s18, v102, -v68
	v_exp_f32_e32 v72, v72
	s_delay_alu instid0(VALU_DEP_3) | instskip(NEXT) | instid1(VALU_DEP_1)
	v_exp_f32_e32 v78, v78
	v_dual_add_f32 v69, v69, v87 :: v_dual_mul_f32 v70, 0x3fb8aa3b, v70
	s_delay_alu instid0(VALU_DEP_1) | instskip(NEXT) | instid1(VALU_DEP_2)
	v_add_f32_e32 v69, v69, v84
	v_exp_f32_e32 v79, v70
	s_delay_alu instid0(TRANS32_DEP_3) | instskip(NEXT) | instid1(VALU_DEP_2)
	v_cndmask_b32_e64 v70, 0, v72, s9
	v_add_f32_e32 v72, v69, v88
	v_cndmask_b32_e64 v69, 0, v77, s10
	v_fma_f32 v77, s18, v106, -v68
	s_waitcnt_depctr 0xfff
	v_cndmask_b32_e64 v71, 0, v79, s11
	v_dual_mul_f32 v77, 0x3fb8aa3b, v77 :: v_dual_add_f32 v72, v72, v70
	s_delay_alu instid0(VALU_DEP_1) | instskip(NEXT) | instid1(VALU_DEP_1)
	v_exp_f32_e32 v90, v77
	v_add_f32_e32 v79, v72, v69
	v_cndmask_b32_e64 v72, 0, v78, s12
	v_cndmask_b32_e64 v77, 0, v82, s13
	s_delay_alu instid0(VALU_DEP_3) | instskip(SKIP_1) | instid1(VALU_DEP_1)
	v_add_f32_e32 v78, v79, v71
	v_fma_f32 v79, s18, v107, -v68
	v_dual_add_f32 v82, v78, v72 :: v_dual_mul_f32 v79, 0x3fb8aa3b, v79
	v_cndmask_b32_e64 v78, 0, v81, s15
	s_delay_alu instid0(VALU_DEP_2) | instskip(NEXT) | instid1(VALU_DEP_3)
	v_add_f32_e32 v81, v82, v77
	v_exp_f32_e32 v82, v79
	v_cndmask_b32_e64 v79, 0, v90, s16
	s_delay_alu instid0(VALU_DEP_2) | instskip(NEXT) | instid1(VALU_DEP_1)
	v_add_f32_e32 v81, v81, v78
	v_add_f32_e32 v90, v81, v79
	s_waitcnt_depctr 0xfff
	v_cndmask_b32_e64 v81, 0, v82, s17
	s_delay_alu instid0(VALU_DEP_1)
	v_add_f32_e32 v82, v90, v81
	ds_bpermute_b32 v89, v89, v82
	s_and_saveexec_b32 s3, s2
	s_cbranch_execz .LBB1880_12
; %bb.11:
	v_mul_u32_u24_e32 v67, 0x44, v66
	s_delay_alu instid0(VALU_DEP_1) | instskip(SKIP_1) | instid1(VALU_DEP_1)
	v_lshl_add_u32 v67, v65, 2, v67
	s_waitcnt lgkmcnt(0)
	v_dual_add_f32 v82, v82, v89 :: v_dual_add_nc_u32 v67, 0x4000, v67
	ds_store_2addr_b32 v67, v68, v82 offset1:136
.LBB1880_12:
	s_or_b32 exec_lo, exec_lo, s3
	v_lshlrev_b32_e32 v67, 2, v65
	s_waitcnt lgkmcnt(0)
	s_barrier
	buffer_gl0_inv
	v_cmp_eq_u32_e32 vcc_lo, 1, v66
	v_add_nc_u32_e32 v82, 0x4000, v67
	v_cmp_eq_u32_e64 s3, 2, v66
	v_cmp_eq_u32_e64 s5, 7, v66
	ds_load_2addr_b32 v[89:90], v82 offset1:17
	ds_load_2addr_b32 v[91:92], v82 offset0:34 offset1:51
	ds_load_2addr_b32 v[93:94], v82 offset0:68 offset1:85
	;; [unrolled: 1-line block ×4, first 2 shown]
	s_waitcnt lgkmcnt(4)
	v_max3_f32 v67, v89, 0xff7fffff, v90
	s_waitcnt lgkmcnt(3)
	s_delay_alu instid0(VALU_DEP_1) | instskip(SKIP_1) | instid1(VALU_DEP_1)
	v_max3_f32 v67, v67, v91, v92
	s_waitcnt lgkmcnt(2)
	v_max3_f32 v67, v67, v93, v94
	s_waitcnt lgkmcnt(1)
	s_delay_alu instid0(VALU_DEP_1) | instskip(NEXT) | instid1(VALU_DEP_1)
	v_max3_f32 v67, v67, v95, v96
	v_sub_f32_e32 v93, v93, v67
	s_delay_alu instid0(VALU_DEP_1) | instskip(NEXT) | instid1(VALU_DEP_1)
	v_dual_sub_f32 v68, v89, v67 :: v_dual_mul_f32 v103, 0x3fb8aa3b, v93
	v_mul_f32_e32 v68, 0x3fb8aa3b, v68
	s_delay_alu instid0(VALU_DEP_1)
	v_exp_f32_e32 v100, v68
	v_sub_f32_e32 v68, v92, v67
	v_sub_f32_e32 v99, v90, v67
	ds_load_2addr_b32 v[89:90], v82 offset0:170 offset1:187
	v_dual_mul_f32 v102, 0x3fb8aa3b, v68 :: v_dual_mul_f32 v99, 0x3fb8aa3b, v99
	s_waitcnt lgkmcnt(1)
	v_fma_f32 v68, v100, v97, 0
	s_delay_alu instid0(VALU_DEP_2) | instskip(NEXT) | instid1(VALU_DEP_2)
	v_exp_f32_e32 v102, v102
	v_exp_f32_e32 v99, v99
	s_waitcnt_depctr 0xfff
	v_fmac_f32_e32 v68, v99, v98
	v_sub_f32_e32 v91, v91, v67
	s_delay_alu instid0(VALU_DEP_1)
	v_mul_f32_e32 v101, 0x3fb8aa3b, v91
	ds_load_2addr_b32 v[91:92], v82 offset0:204 offset1:221
	v_sub_f32_e32 v97, v94, v67
	ds_load_2addr_b32 v[93:94], v82 offset0:238 offset1:255
	s_waitcnt lgkmcnt(0)
	v_exp_f32_e32 v101, v101
	s_barrier
	buffer_gl0_inv
	v_dual_fmac_f32 v68, v101, v89 :: v_dual_sub_f32 v89, v96, v67
	v_dual_sub_f32 v82, v95, v67 :: v_dual_mul_f32 v95, 0x3fb8aa3b, v97
	v_exp_f32_e32 v97, v103
	s_delay_alu instid0(VALU_DEP_2) | instskip(NEXT) | instid1(VALU_DEP_2)
	v_dual_fmac_f32 v68, v102, v90 :: v_dual_mul_f32 v89, 0x3fb8aa3b, v89
	v_mul_f32_e32 v82, 0x3fb8aa3b, v82
	s_delay_alu instid0(VALU_DEP_3) | instskip(NEXT) | instid1(VALU_DEP_2)
	v_exp_f32_e32 v95, v95
	v_exp_f32_e32 v89, v89
	s_delay_alu instid0(VALU_DEP_1)
	v_exp_f32_e32 v82, v82
	v_fmac_f32_e32 v68, v97, v91
	s_delay_alu instid0(TRANS32_DEP_3) | instid1(VALU_DEP_1)
	v_fmac_f32_e32 v68, v95, v92
	s_waitcnt_depctr 0xfff
	v_fmac_f32_e32 v68, v82, v93
	s_delay_alu instid0(VALU_DEP_1) | instskip(NEXT) | instid1(VALU_DEP_1)
	v_fmac_f32_e32 v68, v89, v94
	v_add_f32_e32 v90, 0x358637bd, v68
	s_delay_alu instid0(VALU_DEP_1) | instskip(NEXT) | instid1(VALU_DEP_1)
	v_div_scale_f32 v91, null, v90, v90, 1.0
	v_rcp_f32_e32 v92, v91
	s_waitcnt_depctr 0xfff
	v_fma_f32 v93, -v91, v92, 1.0
	s_delay_alu instid0(VALU_DEP_1) | instskip(SKIP_1) | instid1(VALU_DEP_2)
	v_dual_fmac_f32 v92, v93, v92 :: v_dual_cndmask_b32 v93, v100, v99
	v_cmp_eq_u32_e32 vcc_lo, 3, v66
	v_cndmask_b32_e64 v93, v93, v101, s3
	v_cmp_eq_u32_e64 s3, 4, v66
	s_delay_alu instid0(VALU_DEP_2) | instskip(SKIP_1) | instid1(VALU_DEP_2)
	v_cndmask_b32_e32 v93, v93, v102, vcc_lo
	v_cmp_eq_u32_e32 vcc_lo, 5, v66
	v_cndmask_b32_e64 v93, v93, v97, s3
	v_cmp_eq_u32_e64 s3, 6, v66
	s_delay_alu instid0(VALU_DEP_2) | instskip(SKIP_1) | instid1(VALU_DEP_1)
	v_cndmask_b32_e32 v93, v93, v95, vcc_lo
	v_div_scale_f32 v94, s4, 1.0, v90, 1.0
	s_mov_b32 vcc_lo, s4
	s_delay_alu instid0(VALU_DEP_2) | instskip(NEXT) | instid1(VALU_DEP_2)
	v_cndmask_b32_e64 v82, v93, v82, s3
	v_mul_f32_e32 v96, v94, v92
	s_mov_b32 s3, exec_lo
	s_delay_alu instid0(VALU_DEP_2) | instskip(NEXT) | instid1(VALU_DEP_2)
	v_cndmask_b32_e64 v82, v82, v89, s5
	v_fma_f32 v98, -v91, v96, v94
	s_delay_alu instid0(VALU_DEP_1) | instskip(NEXT) | instid1(VALU_DEP_1)
	v_fmac_f32_e32 v96, v98, v92
	v_fma_f32 v91, -v91, v96, v94
	s_delay_alu instid0(VALU_DEP_1) | instskip(NEXT) | instid1(VALU_DEP_1)
	v_div_fmas_f32 v91, v91, v92, v96
	v_div_fixup_f32 v90, v91, v90, 1.0
	s_delay_alu instid0(VALU_DEP_1) | instskip(NEXT) | instid1(VALU_DEP_1)
	v_mul_f32_e32 v82, v82, v90
	v_mul_f32_e32 v87, v82, v87
	;; [unrolled: 1-line block ×7, first 2 shown]
	v_dual_mul_f32 v86, v82, v83 :: v_dual_and_b32 v91, 0x7f800000, v90
	v_mul_f32_e32 v85, v82, v76
                                        ; implicit-def: $vgpr76
	s_delay_alu instid0(VALU_DEP_2)
	v_cmpx_ne_u32_e32 0x7f800000, v91
	s_xor_b32 s3, exec_lo, s3
; %bb.13:
	v_bfe_u32 v76, v90, 16, 1
	s_delay_alu instid0(VALU_DEP_1)
	v_add3_u32 v76, v90, v76, 0x7fff
                                        ; implicit-def: $vgpr90
; %bb.14:
	s_and_not1_saveexec_b32 s3, s3
; %bb.15:
	v_and_b32_e32 v76, 0xffff, v90
	v_or_b32_e32 v83, 0x10000, v90
	s_delay_alu instid0(VALU_DEP_2) | instskip(NEXT) | instid1(VALU_DEP_2)
	v_cmp_eq_u32_e32 vcc_lo, 0, v76
	v_cndmask_b32_e32 v76, v83, v90, vcc_lo
; %bb.16:
	s_or_b32 exec_lo, exec_lo, s3
	v_and_b32_e32 v83, 0x7f800000, v85
	s_delay_alu instid0(VALU_DEP_1) | instskip(SKIP_1) | instid1(SALU_CYCLE_1)
	v_cmp_ne_u32_e32 vcc_lo, 0x7f800000, v83
                                        ; implicit-def: $vgpr83
	s_and_saveexec_b32 s3, vcc_lo
	s_xor_b32 s3, exec_lo, s3
; %bb.17:
	v_bfe_u32 v83, v85, 16, 1
	s_delay_alu instid0(VALU_DEP_1)
	v_add3_u32 v83, v85, v83, 0x7fff
                                        ; implicit-def: $vgpr85
; %bb.18:
	s_and_not1_saveexec_b32 s3, s3
; %bb.19:
	v_and_b32_e32 v83, 0xffff, v85
	v_or_b32_e32 v90, 0x10000, v85
	s_delay_alu instid0(VALU_DEP_2) | instskip(NEXT) | instid1(VALU_DEP_2)
	v_cmp_eq_u32_e32 vcc_lo, 0, v83
	v_cndmask_b32_e32 v83, v90, v85, vcc_lo
; %bb.20:
	s_or_b32 exec_lo, exec_lo, s3
	v_and_b32_e32 v85, 0x7f800000, v86
	s_delay_alu instid0(VALU_DEP_1) | instskip(SKIP_1) | instid1(SALU_CYCLE_1)
	v_cmp_ne_u32_e32 vcc_lo, 0x7f800000, v85
                                        ; implicit-def: $vgpr85
	s_and_saveexec_b32 s3, vcc_lo
	s_xor_b32 s3, exec_lo, s3
; %bb.21:
	v_bfe_u32 v85, v86, 16, 1
	s_delay_alu instid0(VALU_DEP_1)
	v_add3_u32 v85, v86, v85, 0x7fff
                                        ; implicit-def: $vgpr86
; %bb.22:
	s_and_not1_saveexec_b32 s3, s3
; %bb.23:
	v_and_b32_e32 v85, 0xffff, v86
	v_or_b32_e32 v90, 0x10000, v86
	s_delay_alu instid0(VALU_DEP_2) | instskip(NEXT) | instid1(VALU_DEP_2)
	v_cmp_eq_u32_e32 vcc_lo, 0, v85
	v_cndmask_b32_e32 v85, v90, v86, vcc_lo
; %bb.24:
	s_or_b32 exec_lo, exec_lo, s3
	v_and_b32_e32 v86, 0x7f800000, v89
	s_delay_alu instid0(VALU_DEP_1) | instskip(SKIP_1) | instid1(SALU_CYCLE_1)
	v_cmp_ne_u32_e32 vcc_lo, 0x7f800000, v86
                                        ; implicit-def: $vgpr86
	s_and_saveexec_b32 s3, vcc_lo
	s_xor_b32 s3, exec_lo, s3
; %bb.25:
	v_bfe_u32 v86, v89, 16, 1
	s_delay_alu instid0(VALU_DEP_1)
	v_add3_u32 v86, v89, v86, 0x7fff
                                        ; implicit-def: $vgpr89
; %bb.26:
	s_and_not1_saveexec_b32 s3, s3
; %bb.27:
	v_and_b32_e32 v86, 0xffff, v89
	v_or_b32_e32 v90, 0x10000, v89
	s_delay_alu instid0(VALU_DEP_2) | instskip(NEXT) | instid1(VALU_DEP_2)
	v_cmp_eq_u32_e32 vcc_lo, 0, v86
	v_cndmask_b32_e32 v86, v90, v89, vcc_lo
; %bb.28:
	s_or_b32 exec_lo, exec_lo, s3
	v_and_b32_e32 v89, 0x7f800000, v88
	s_delay_alu instid0(VALU_DEP_1) | instskip(SKIP_1) | instid1(SALU_CYCLE_1)
	v_cmp_ne_u32_e32 vcc_lo, 0x7f800000, v89
                                        ; implicit-def: $vgpr89
	s_and_saveexec_b32 s3, vcc_lo
	s_xor_b32 s3, exec_lo, s3
; %bb.29:
	v_bfe_u32 v89, v88, 16, 1
	s_delay_alu instid0(VALU_DEP_1)
	v_add3_u32 v89, v88, v89, 0x7fff
                                        ; implicit-def: $vgpr88
; %bb.30:
	s_and_not1_saveexec_b32 s3, s3
; %bb.31:
	v_and_b32_e32 v89, 0xffff, v88
	v_or_b32_e32 v90, 0x10000, v88
	s_delay_alu instid0(VALU_DEP_2) | instskip(NEXT) | instid1(VALU_DEP_2)
	v_cmp_eq_u32_e32 vcc_lo, 0, v89
	v_cndmask_b32_e32 v89, v90, v88, vcc_lo
; %bb.32:
	s_or_b32 exec_lo, exec_lo, s3
	v_and_b32_e32 v88, 0x7f800000, v87
	s_delay_alu instid0(VALU_DEP_1) | instskip(SKIP_1) | instid1(SALU_CYCLE_1)
	v_cmp_ne_u32_e32 vcc_lo, 0x7f800000, v88
                                        ; implicit-def: $vgpr88
	s_and_saveexec_b32 s3, vcc_lo
	s_xor_b32 s3, exec_lo, s3
; %bb.33:
	v_bfe_u32 v88, v87, 16, 1
	s_delay_alu instid0(VALU_DEP_1)
	v_add3_u32 v88, v87, v88, 0x7fff
                                        ; implicit-def: $vgpr87
; %bb.34:
	s_and_not1_saveexec_b32 s3, s3
; %bb.35:
	v_and_b32_e32 v88, 0xffff, v87
	v_or_b32_e32 v90, 0x10000, v87
	s_delay_alu instid0(VALU_DEP_2) | instskip(NEXT) | instid1(VALU_DEP_2)
	v_cmp_eq_u32_e32 vcc_lo, 0, v88
	v_cndmask_b32_e32 v88, v90, v87, vcc_lo
; %bb.36:
	s_or_b32 exec_lo, exec_lo, s3
	v_and_b32_e32 v87, 0x7f800000, v84
	s_delay_alu instid0(VALU_DEP_1) | instskip(SKIP_1) | instid1(SALU_CYCLE_1)
	v_cmp_ne_u32_e32 vcc_lo, 0x7f800000, v87
                                        ; implicit-def: $vgpr87
	s_and_saveexec_b32 s3, vcc_lo
	s_xor_b32 s3, exec_lo, s3
; %bb.37:
	v_bfe_u32 v87, v84, 16, 1
	s_delay_alu instid0(VALU_DEP_1)
	v_add3_u32 v87, v84, v87, 0x7fff
                                        ; implicit-def: $vgpr84
; %bb.38:
	s_and_not1_saveexec_b32 s3, s3
; %bb.39:
	v_and_b32_e32 v87, 0xffff, v84
	v_or_b32_e32 v90, 0x10000, v84
	s_delay_alu instid0(VALU_DEP_2) | instskip(NEXT) | instid1(VALU_DEP_2)
	v_cmp_eq_u32_e32 vcc_lo, 0, v87
	v_cndmask_b32_e32 v87, v90, v84, vcc_lo
; %bb.40:
	s_or_b32 exec_lo, exec_lo, s3
	v_and_b32_e32 v84, 0x7f800000, v80
	s_delay_alu instid0(VALU_DEP_1) | instskip(SKIP_1) | instid1(SALU_CYCLE_1)
	v_cmp_ne_u32_e32 vcc_lo, 0x7f800000, v84
                                        ; implicit-def: $vgpr84
	s_and_saveexec_b32 s3, vcc_lo
	s_xor_b32 s3, exec_lo, s3
; %bb.41:
	v_bfe_u32 v84, v80, 16, 1
	s_delay_alu instid0(VALU_DEP_1)
	v_add3_u32 v84, v80, v84, 0x7fff
                                        ; implicit-def: $vgpr80
; %bb.42:
	s_and_not1_saveexec_b32 s3, s3
; %bb.43:
	v_and_b32_e32 v84, 0xffff, v80
	v_or_b32_e32 v90, 0x10000, v80
	s_delay_alu instid0(VALU_DEP_2) | instskip(NEXT) | instid1(VALU_DEP_2)
	v_cmp_eq_u32_e32 vcc_lo, 0, v84
	v_cndmask_b32_e32 v84, v90, v80, vcc_lo
; %bb.44:
	s_or_b32 exec_lo, exec_lo, s3
	s_load_b64 s[34:35], s[0:1], 0x94
	v_lshlrev_b32_e32 v91, 4, v74
	s_delay_alu instid0(VALU_DEP_2)
	v_perm_b32 v90, v84, v87, 0x7060302
	v_dual_mul_f32 v79, v82, v79 :: v_dual_lshlrev_b32 v80, 6, v65
	v_dual_mul_f32 v77, v82, v77 :: v_dual_lshlrev_b32 v92, 11, v66
	v_mul_f32_e32 v84, v82, v70
	v_perm_b32 v89, v88, v89, 0x7060302
	v_perm_b32 v88, v86, v85, 0x7060302
	;; [unrolled: 1-line block ×3, first 2 shown]
	v_mul_f32_e32 v70, v82, v81
	v_or3_b32 v76, v91, v92, v80
	v_dual_mul_f32 v78, v82, v78 :: v_dual_and_b32 v85, 0x7f800000, v84
	v_mul_f32_e32 v83, v82, v72
	v_mul_f32_e32 v81, v82, v71
	;; [unrolled: 1-line block ×3, first 2 shown]
	s_mov_b32 s3, exec_lo
	ds_store_b128 v76, v[87:90]
                                        ; implicit-def: $vgpr69
	v_cmpx_ne_u32_e32 0x7f800000, v85
	s_xor_b32 s3, exec_lo, s3
; %bb.45:
	v_bfe_u32 v69, v84, 16, 1
	s_delay_alu instid0(VALU_DEP_1)
	v_add3_u32 v69, v84, v69, 0x7fff
                                        ; implicit-def: $vgpr84
; %bb.46:
	s_and_not1_saveexec_b32 s3, s3
; %bb.47:
	v_and_b32_e32 v69, 0xffff, v84
	v_or_b32_e32 v71, 0x10000, v84
	s_delay_alu instid0(VALU_DEP_2) | instskip(NEXT) | instid1(VALU_DEP_2)
	v_cmp_eq_u32_e32 vcc_lo, 0, v69
	v_cndmask_b32_e32 v69, v71, v84, vcc_lo
; %bb.48:
	s_or_b32 exec_lo, exec_lo, s3
	v_and_b32_e32 v71, 0x7f800000, v72
	s_delay_alu instid0(VALU_DEP_1) | instskip(SKIP_1) | instid1(SALU_CYCLE_1)
	v_cmp_ne_u32_e32 vcc_lo, 0x7f800000, v71
                                        ; implicit-def: $vgpr71
	s_and_saveexec_b32 s3, vcc_lo
	s_xor_b32 s3, exec_lo, s3
; %bb.49:
	v_bfe_u32 v71, v72, 16, 1
	s_delay_alu instid0(VALU_DEP_1)
	v_add3_u32 v71, v72, v71, 0x7fff
                                        ; implicit-def: $vgpr72
; %bb.50:
	s_and_not1_saveexec_b32 s3, s3
; %bb.51:
	v_and_b32_e32 v71, 0xffff, v72
	v_or_b32_e32 v82, 0x10000, v72
	s_delay_alu instid0(VALU_DEP_2) | instskip(NEXT) | instid1(VALU_DEP_2)
	v_cmp_eq_u32_e32 vcc_lo, 0, v71
	v_cndmask_b32_e32 v71, v82, v72, vcc_lo
; %bb.52:
	s_or_b32 exec_lo, exec_lo, s3
	v_and_b32_e32 v72, 0x7f800000, v81
	s_delay_alu instid0(VALU_DEP_1) | instskip(SKIP_1) | instid1(SALU_CYCLE_1)
	v_cmp_ne_u32_e32 vcc_lo, 0x7f800000, v72
                                        ; implicit-def: $vgpr72
	s_and_saveexec_b32 s3, vcc_lo
	s_xor_b32 s3, exec_lo, s3
; %bb.53:
	v_bfe_u32 v72, v81, 16, 1
	s_delay_alu instid0(VALU_DEP_1)
	v_add3_u32 v72, v81, v72, 0x7fff
                                        ; implicit-def: $vgpr81
; %bb.54:
	s_and_not1_saveexec_b32 s3, s3
; %bb.55:
	v_and_b32_e32 v72, 0xffff, v81
	v_or_b32_e32 v82, 0x10000, v81
	s_delay_alu instid0(VALU_DEP_2) | instskip(NEXT) | instid1(VALU_DEP_2)
	v_cmp_eq_u32_e32 vcc_lo, 0, v72
	v_cndmask_b32_e32 v72, v82, v81, vcc_lo
; %bb.56:
	s_or_b32 exec_lo, exec_lo, s3
	v_and_b32_e32 v81, 0x7f800000, v83
	s_delay_alu instid0(VALU_DEP_1) | instskip(SKIP_1) | instid1(SALU_CYCLE_1)
	v_cmp_ne_u32_e32 vcc_lo, 0x7f800000, v81
                                        ; implicit-def: $vgpr81
	s_and_saveexec_b32 s3, vcc_lo
	s_xor_b32 s3, exec_lo, s3
; %bb.57:
	v_bfe_u32 v81, v83, 16, 1
	s_delay_alu instid0(VALU_DEP_1)
	v_add3_u32 v81, v83, v81, 0x7fff
                                        ; implicit-def: $vgpr83
; %bb.58:
	s_and_not1_saveexec_b32 s3, s3
; %bb.59:
	v_and_b32_e32 v81, 0xffff, v83
	v_or_b32_e32 v82, 0x10000, v83
	s_delay_alu instid0(VALU_DEP_2) | instskip(NEXT) | instid1(VALU_DEP_2)
	v_cmp_eq_u32_e32 vcc_lo, 0, v81
	v_cndmask_b32_e32 v81, v82, v83, vcc_lo
; %bb.60:
	s_or_b32 exec_lo, exec_lo, s3
	v_and_b32_e32 v82, 0x7f800000, v77
	s_delay_alu instid0(VALU_DEP_1) | instskip(SKIP_1) | instid1(SALU_CYCLE_1)
	v_cmp_ne_u32_e32 vcc_lo, 0x7f800000, v82
                                        ; implicit-def: $vgpr82
	s_and_saveexec_b32 s3, vcc_lo
	s_xor_b32 s3, exec_lo, s3
; %bb.61:
	v_bfe_u32 v82, v77, 16, 1
	s_delay_alu instid0(VALU_DEP_1)
	v_add3_u32 v82, v77, v82, 0x7fff
                                        ; implicit-def: $vgpr77
; %bb.62:
	s_and_not1_saveexec_b32 s3, s3
; %bb.63:
	v_and_b32_e32 v82, 0xffff, v77
	v_or_b32_e32 v83, 0x10000, v77
	s_delay_alu instid0(VALU_DEP_2) | instskip(NEXT) | instid1(VALU_DEP_2)
	v_cmp_eq_u32_e32 vcc_lo, 0, v82
	v_cndmask_b32_e32 v82, v83, v77, vcc_lo
; %bb.64:
	s_or_b32 exec_lo, exec_lo, s3
	v_and_b32_e32 v77, 0x7f800000, v78
	s_delay_alu instid0(VALU_DEP_1) | instskip(SKIP_1) | instid1(SALU_CYCLE_1)
	v_cmp_ne_u32_e32 vcc_lo, 0x7f800000, v77
                                        ; implicit-def: $vgpr77
	s_and_saveexec_b32 s3, vcc_lo
	s_xor_b32 s3, exec_lo, s3
; %bb.65:
	v_bfe_u32 v77, v78, 16, 1
	s_delay_alu instid0(VALU_DEP_1)
	v_add3_u32 v77, v78, v77, 0x7fff
                                        ; implicit-def: $vgpr78
; %bb.66:
	s_and_not1_saveexec_b32 s3, s3
; %bb.67:
	v_and_b32_e32 v77, 0xffff, v78
	v_or_b32_e32 v83, 0x10000, v78
	s_delay_alu instid0(VALU_DEP_2) | instskip(NEXT) | instid1(VALU_DEP_2)
	v_cmp_eq_u32_e32 vcc_lo, 0, v77
	v_cndmask_b32_e32 v77, v83, v78, vcc_lo
; %bb.68:
	s_or_b32 exec_lo, exec_lo, s3
	v_and_b32_e32 v78, 0x7f800000, v79
	s_delay_alu instid0(VALU_DEP_1) | instskip(SKIP_1) | instid1(SALU_CYCLE_1)
	v_cmp_ne_u32_e32 vcc_lo, 0x7f800000, v78
                                        ; implicit-def: $vgpr78
	s_and_saveexec_b32 s3, vcc_lo
	s_xor_b32 s3, exec_lo, s3
; %bb.69:
	v_bfe_u32 v78, v79, 16, 1
	s_delay_alu instid0(VALU_DEP_1)
	v_add3_u32 v78, v79, v78, 0x7fff
                                        ; implicit-def: $vgpr79
; %bb.70:
	s_and_not1_saveexec_b32 s3, s3
; %bb.71:
	v_and_b32_e32 v78, 0xffff, v79
	v_or_b32_e32 v83, 0x10000, v79
	s_delay_alu instid0(VALU_DEP_2) | instskip(NEXT) | instid1(VALU_DEP_2)
	v_cmp_eq_u32_e32 vcc_lo, 0, v78
	v_cndmask_b32_e32 v78, v83, v79, vcc_lo
; %bb.72:
	s_or_b32 exec_lo, exec_lo, s3
	v_and_b32_e32 v79, 0x7f800000, v70
	s_delay_alu instid0(VALU_DEP_1) | instskip(SKIP_1) | instid1(SALU_CYCLE_1)
	v_cmp_ne_u32_e32 vcc_lo, 0x7f800000, v79
                                        ; implicit-def: $vgpr79
	s_and_saveexec_b32 s3, vcc_lo
	s_xor_b32 s3, exec_lo, s3
; %bb.73:
	v_bfe_u32 v79, v70, 16, 1
	s_delay_alu instid0(VALU_DEP_1)
	v_add3_u32 v79, v70, v79, 0x7fff
                                        ; implicit-def: $vgpr70
; %bb.74:
	s_and_not1_saveexec_b32 s3, s3
; %bb.75:
	v_and_b32_e32 v79, 0xffff, v70
	v_or_b32_e32 v83, 0x10000, v70
	s_delay_alu instid0(VALU_DEP_2) | instskip(NEXT) | instid1(VALU_DEP_2)
	v_cmp_eq_u32_e32 vcc_lo, 0, v79
	v_cndmask_b32_e32 v79, v83, v70, vcc_lo
; %bb.76:
	s_or_b32 exec_lo, exec_lo, s3
	s_delay_alu instid0(VALU_DEP_1)
	v_perm_b32 v86, v79, v78, 0x7060302
	v_perm_b32 v85, v77, v82, 0x7060302
	;; [unrolled: 1-line block ×4, first 2 shown]
	v_lshl_or_b32 v82, v66, 11, v80
	ds_store_b128 v76, v[83:86] offset:1024
	s_waitcnt lgkmcnt(0)
	s_barrier
	buffer_gl0_inv
	ds_load_b128 v[69:72], v82
	ds_load_b128 v[83:86], v82 offset:16
	s_waitcnt lgkmcnt(1)
	v_lshrrev_b32_e32 v66, 16, v69
	s_waitcnt lgkmcnt(0)
	v_lshrrev_b32_e32 v91, 16, v83
	v_lshlrev_b32_e32 v78, 2, v74
	v_lshrrev_b32_e32 v95, 16, v70
	v_lshrrev_b32_e32 v98, 16, v84
	;; [unrolled: 1-line block ×4, first 2 shown]
	v_cmp_eq_u32_e32 vcc_lo, 1, v78
	v_lshrrev_b32_e32 v97, 16, v72
	v_lshrrev_b32_e32 v100, 16, v86
	v_cndmask_b32_e32 v87, v83, v91, vcc_lo
	v_or_b32_e32 v79, 1, v78
	v_cndmask_b32_e32 v81, v69, v66, vcc_lo
	v_cmp_eq_u32_e64 s4, 2, v78
	v_cmp_eq_u32_e64 s7, 3, v78
	;; [unrolled: 1-line block ×5, first 2 shown]
	v_cndmask_b32_e64 v81, v81, v70, s4
	v_cndmask_b32_e64 v87, v87, v84, s4
	v_cmp_eq_u32_e64 s8, 3, v79
	v_cndmask_b32_e64 v88, v69, v66, s3
	v_or_b32_e32 v77, 2, v78
	v_cndmask_b32_e64 v81, v81, v95, s7
	v_cndmask_b32_e64 v87, v87, v98, s7
	;; [unrolled: 1-line block ×4, first 2 shown]
	v_cmp_eq_u32_e64 s10, 5, v78
	v_cndmask_b32_e64 v81, v81, v71, s9
	v_cndmask_b32_e64 v87, v87, v85, s9
	v_cmp_eq_u32_e64 s11, 4, v79
	v_cndmask_b32_e64 v88, v88, v95, s8
	v_cmp_eq_u32_e64 s5, 1, v77
	v_cndmask_b32_e64 v89, v89, v84, s6
	v_cndmask_b32_e64 v81, v81, v96, s10
	v_cmp_eq_u32_e64 s12, 6, v78
	v_cndmask_b32_e64 v88, v88, v71, s11
	;; [unrolled: 3-line block ×3, first 2 shown]
	v_cndmask_b32_e64 v89, v89, v98, s8
	v_cndmask_b32_e64 v81, v81, v72, s12
	v_cmp_eq_u32_e64 s15, 7, v78
	v_cndmask_b32_e64 v88, v88, v96, s13
	v_cndmask_b32_e64 v87, v87, v86, s12
	v_cmp_eq_u32_e64 s16, 6, v79
	v_cmp_eq_u32_e64 s17, 2, v77
	v_cndmask_b32_e64 v89, v89, v85, s11
	v_cndmask_b32_e64 v101, v81, v97, s15
	;; [unrolled: 1-line block ×6, first 2 shown]
	v_cmp_eq_u32_e64 s18, 7, v79
	v_cmp_eq_u32_e64 s19, 3, v77
	;; [unrolled: 1-line block ×4, first 2 shown]
	v_cndmask_b32_e64 v87, v87, v84, s17
	v_cndmask_b32_e64 v103, v88, v97, s18
	;; [unrolled: 1-line block ×4, first 2 shown]
	v_or_b32_e32 v81, 3, v78
	v_cndmask_b32_e64 v93, v87, v98, s19
	v_cmp_eq_u32_e64 s24, 6, v77
	v_cndmask_b32_e64 v104, v88, v86, s16
	v_cndmask_b32_e64 v92, v89, v71, s20
	v_cmp_eq_u32_e64 s21, 1, v81
	ds_load_b128 v[87:90], v82 offset:1024
	v_cmp_eq_u32_e64 s23, 2, v81
	v_cmp_eq_u32_e64 s25, 3, v81
	v_cndmask_b32_e64 v105, v92, v96, s22
	v_cndmask_b32_e64 v66, v69, v66, s21
	;; [unrolled: 1-line block ×4, first 2 shown]
	ds_load_b128 v[91:94], v82 offset:1040
	v_cmp_eq_u32_e64 s26, 4, v81
	v_cndmask_b32_e64 v66, v66, v70, s23
	v_cmp_eq_u32_e64 s27, 7, v77
	v_cndmask_b32_e64 v70, v83, v84, s23
	v_cndmask_b32_e64 v84, v105, v72, s24
	v_cmp_eq_u32_e64 s28, 5, v81
	v_cndmask_b32_e64 v66, v66, v95, s25
	v_cmp_eq_u32_e64 s29, 6, v81
	v_cndmask_b32_e64 v70, v70, v98, s25
	v_cndmask_b32_e64 v69, v69, v99, s22
	;; [unrolled: 1-line block ×4, first 2 shown]
	s_waitcnt lgkmcnt(1)
	v_lshrrev_b32_e32 v95, 16, v87
	v_cndmask_b32_e64 v70, v70, v85, s26
	v_cndmask_b32_e64 v71, v84, v97, s27
	v_cndmask_b32_e64 v69, v69, v86, s24
	v_cndmask_b32_e64 v66, v66, v96, s28
	v_cndmask_b32_e32 v84, v87, v95, vcc_lo
	v_cndmask_b32_e64 v70, v70, v99, s28
	s_waitcnt lgkmcnt(0)
	v_lshrrev_b32_e32 v85, 16, v91
	v_lshrrev_b32_e32 v96, 16, v88
	v_cndmask_b32_e64 v98, v87, v95, s3
	v_cndmask_b32_e64 v84, v84, v88, s4
	;; [unrolled: 1-line block ×3, first 2 shown]
	v_cndmask_b32_e32 v99, v91, v85, vcc_lo
	v_cmp_eq_u32_e32 vcc_lo, 7, v81
	v_cndmask_b32_e64 v66, v66, v72, s29
	v_cndmask_b32_e64 v72, v84, v96, s7
	;; [unrolled: 1-line block ×3, first 2 shown]
	v_lshrrev_b32_e32 v98, 16, v92
	v_cndmask_b32_e32 v70, v70, v100, vcc_lo
	v_cndmask_b32_e64 v86, v99, v92, s4
	v_cndmask_b32_e64 v69, v69, v100, s27
	v_lshrrev_b32_e32 v100, 16, v93
	v_cndmask_b32_e64 v72, v72, v89, s9
	v_lshrrev_b32_e32 v99, 16, v89
	v_cndmask_b32_e64 v86, v86, v98, s7
	v_perm_b32 v71, v69, v71, 0x5040100
	v_cndmask_b32_e64 v84, v84, v96, s8
	s_delay_alu instid0(VALU_DEP_3) | instskip(NEXT) | instid1(VALU_DEP_2)
	v_cndmask_b32_e64 v86, v86, v93, s9
	v_cndmask_b32_e64 v84, v84, v89, s11
	s_delay_alu instid0(VALU_DEP_2) | instskip(NEXT) | instid1(VALU_DEP_1)
	v_cndmask_b32_e64 v86, v86, v100, s10
	v_cndmask_b32_e64 v69, v86, v94, s12
	v_cndmask_b32_e64 v86, v87, v95, s5
	v_cndmask_b32_e64 v87, v87, v95, s21
	v_cndmask_b32_e64 v95, v91, v85, s21
	s_delay_alu instid0(VALU_DEP_3) | instskip(NEXT) | instid1(VALU_DEP_3)
	v_cndmask_b32_e64 v86, v86, v88, s17
	v_cndmask_b32_e64 v87, v87, v88, s23
	s_delay_alu instid0(VALU_DEP_3) | instskip(NEXT) | instid1(VALU_DEP_3)
	v_cndmask_b32_e64 v88, v95, v92, s23
	v_cndmask_b32_e64 v86, v86, v96, s19
	;; [unrolled: 3-line block ×7, first 2 shown]
	s_delay_alu instid0(VALU_DEP_3) | instskip(SKIP_2) | instid1(VALU_DEP_2)
	v_cndmask_b32_e64 v88, v88, v94, s29
	v_cndmask_b32_e32 v66, v66, v97, vcc_lo
	v_cndmask_b32_e64 v97, v72, v99, s10
	v_perm_b32 v72, v70, v66, 0x5040100
	v_perm_b32 v70, v83, v103, 0x5040100
	v_cndmask_b32_e64 v103, v91, v85, s5
	v_cndmask_b32_e64 v85, v91, v85, s3
	;; [unrolled: 1-line block ×4, first 2 shown]
	v_lshrrev_b32_e32 v97, 16, v90
	v_cndmask_b32_e64 v91, v103, v92, s17
	v_cndmask_b32_e64 v85, v85, v92, s6
	;; [unrolled: 1-line block ×3, first 2 shown]
	s_mov_b32 s3, exec_lo
	v_cndmask_b32_e64 v83, v84, v97, s15
	v_cndmask_b32_e64 v91, v91, v98, s19
	;; [unrolled: 1-line block ×3, first 2 shown]
	v_lshrrev_b32_e32 v84, 16, v94
	v_cndmask_b32_e64 v66, v66, v97, s18
	v_cndmask_b32_e64 v90, v86, v97, s27
	;; [unrolled: 1-line block ×4, first 2 shown]
	v_dual_cndmask_b32 v86, v87, v97 :: v_dual_cndmask_b32 v87, v88, v84
	v_cndmask_b32_e64 v91, v69, v84, s15
	s_delay_alu instid0(VALU_DEP_4) | instskip(NEXT) | instid1(VALU_DEP_4)
	v_cndmask_b32_e64 v89, v89, v100, s22
	v_cndmask_b32_e64 v85, v85, v100, s13
	v_perm_b32 v69, v102, v101, 0x5040100
	v_perm_b32 v86, v87, v86, 0x5040100
	;; [unrolled: 1-line block ×3, first 2 shown]
	v_cndmask_b32_e64 v89, v89, v94, s24
	v_cndmask_b32_e64 v85, v85, v94, s16
	s_mul_i32 s8, s35, 11
	s_delay_alu instid0(VALU_DEP_2) | instskip(NEXT) | instid1(VALU_DEP_2)
	v_cndmask_b32_e64 v88, v89, v84, s27
	v_cndmask_b32_e64 v89, v85, v84, s18
	s_delay_alu instid0(VALU_DEP_2) | instskip(NEXT) | instid1(VALU_DEP_2)
	v_perm_b32 v85, v88, v90, 0x5040100
	v_perm_b32 v84, v89, v66, 0x5040100
	ds_store_b128 v76, v[69:72]
	ds_store_b128 v76, v[83:86] offset:1024
	v_cmpx_gt_u32_e32 11, v0
	s_cbranch_execz .LBB1880_78
; %bb.77:
	s_mul_i32 s4, s8, s30
	s_delay_alu instid0(SALU_CYCLE_1) | instskip(SKIP_1) | instid1(VALU_DEP_1)
	v_add3_u32 v69, s4, s31, v65
	s_load_b128 s[4:7], s[0:1], 0x58
	v_mad_u64_u32 v[65:66], null, v69, s34, s[14:15]
	s_delay_alu instid0(VALU_DEP_1) | instskip(NEXT) | instid1(VALU_DEP_1)
	v_ashrrev_i32_e32 v66, 31, v65
	v_lshlrev_b64 v[65:66], 2, v[65:66]
	s_waitcnt lgkmcnt(0)
	s_delay_alu instid0(VALU_DEP_1) | instskip(NEXT) | instid1(VALU_DEP_2)
	v_add_co_u32 v69, vcc_lo, s6, v65
	v_add_co_ci_u32_e32 v70, vcc_lo, s7, v66, vcc_lo
	v_add_co_u32 v65, vcc_lo, s4, v65
	v_add_co_ci_u32_e32 v66, vcc_lo, s5, v66, vcc_lo
	global_store_b32 v[69:70], v67, off
	global_store_b32 v[65:66], v68, off
.LBB1880_78:
	s_or_b32 exec_lo, exec_lo, s3
	s_waitcnt lgkmcnt(0)
	s_waitcnt_vscnt null, 0x0
	s_barrier
	buffer_gl0_inv
	ds_load_b128 v[83:86], v80
	ds_load_b128 v[87:90], v80 offset:16
	ds_load_b128 v[95:98], v80 offset:2064
	;; [unrolled: 1-line block ×3, first 2 shown]
	v_mov_b32_e32 v65, 0
	ds_load_b128 v[103:106], v80 offset:4112
	ds_load_b128 v[99:102], v80 offset:4096
	;; [unrolled: 1-line block ×4, first 2 shown]
	v_mov_b32_e32 v66, v65
	v_mov_b32_e32 v67, v65
	;; [unrolled: 1-line block ×7, first 2 shown]
	s_waitcnt lgkmcnt(6)
	s_delay_alu instid0(VALU_DEP_1)
	v_wmma_f32_16x16x16_bf16 v[65:72], v[49:56], v[83:90], v[65:72]
	ds_load_b128 v[53:56], v80 offset:8208
	ds_load_b128 v[49:52], v80 offset:8192
	s_waitcnt lgkmcnt(6)
	v_wmma_f32_16x16x16_bf16 v[65:72], v[41:48], v[91:98], v[65:72]
	ds_load_b128 v[45:48], v80 offset:10256
	ds_load_b128 v[41:44], v80 offset:10240
	s_waitcnt lgkmcnt(6)
	;; [unrolled: 4-line block ×4, first 2 shown]
	v_wmma_f32_16x16x16_bf16 v[65:72], v[1:8], v[49:56], v[65:72]
	s_waitcnt lgkmcnt(4)
	s_delay_alu instid0(VALU_DEP_1) | instskip(SKIP_1) | instid1(VALU_DEP_1)
	v_wmma_f32_16x16x16_bf16 v[65:72], v[9:16], v[41:48], v[65:72]
	s_waitcnt lgkmcnt(2)
	v_wmma_f32_16x16x16_bf16 v[65:72], v[17:24], v[33:40], v[65:72]
	s_waitcnt lgkmcnt(0)
	s_delay_alu instid0(VALU_DEP_1) | instskip(NEXT) | instid1(VALU_DEP_1)
	v_wmma_f32_16x16x16_bf16 v[65:72], v[57:64], v[25:32], v[65:72]
	v_and_b32_e32 v1, 0x7f800000, v65
	s_delay_alu instid0(VALU_DEP_1) | instskip(SKIP_1) | instid1(SALU_CYCLE_1)
	v_cmp_ne_u32_e32 vcc_lo, 0x7f800000, v1
                                        ; implicit-def: $vgpr1
	s_and_saveexec_b32 s3, vcc_lo
	s_xor_b32 s3, exec_lo, s3
; %bb.79:
	v_bfe_u32 v1, v65, 16, 1
	s_delay_alu instid0(VALU_DEP_1)
	v_add3_u32 v1, v65, v1, 0x7fff
; %bb.80:
	s_and_not1_saveexec_b32 s3, s3
; %bb.81:
	v_and_b32_e32 v1, 0xffff, v65
	v_or_b32_e32 v2, 0x10000, v65
	s_delay_alu instid0(VALU_DEP_2) | instskip(NEXT) | instid1(VALU_DEP_2)
	v_cmp_eq_u32_e32 vcc_lo, 0, v1
	v_cndmask_b32_e32 v1, v2, v65, vcc_lo
; %bb.82:
	s_or_b32 exec_lo, exec_lo, s3
	v_and_b32_e32 v2, 0x7f800000, v66
	s_delay_alu instid0(VALU_DEP_1) | instskip(SKIP_1) | instid1(SALU_CYCLE_1)
	v_cmp_ne_u32_e32 vcc_lo, 0x7f800000, v2
                                        ; implicit-def: $vgpr2
	s_and_saveexec_b32 s3, vcc_lo
	s_xor_b32 s3, exec_lo, s3
; %bb.83:
	v_bfe_u32 v2, v66, 16, 1
	s_delay_alu instid0(VALU_DEP_1)
	v_add3_u32 v2, v66, v2, 0x7fff
; %bb.84:
	s_and_not1_saveexec_b32 s3, s3
; %bb.85:
	v_and_b32_e32 v2, 0xffff, v66
	v_or_b32_e32 v3, 0x10000, v66
	s_delay_alu instid0(VALU_DEP_2) | instskip(NEXT) | instid1(VALU_DEP_2)
	v_cmp_eq_u32_e32 vcc_lo, 0, v2
	v_cndmask_b32_e32 v2, v3, v66, vcc_lo
; %bb.86:
	s_or_b32 exec_lo, exec_lo, s3
	v_and_b32_e32 v3, 0x7f800000, v67
	s_delay_alu instid0(VALU_DEP_1) | instskip(SKIP_1) | instid1(SALU_CYCLE_1)
	v_cmp_ne_u32_e32 vcc_lo, 0x7f800000, v3
                                        ; implicit-def: $vgpr3
	s_and_saveexec_b32 s3, vcc_lo
	s_xor_b32 s3, exec_lo, s3
; %bb.87:
	v_bfe_u32 v3, v67, 16, 1
	s_delay_alu instid0(VALU_DEP_1)
	v_add3_u32 v3, v67, v3, 0x7fff
; %bb.88:
	s_and_not1_saveexec_b32 s3, s3
; %bb.89:
	v_and_b32_e32 v3, 0xffff, v67
	v_or_b32_e32 v4, 0x10000, v67
	s_delay_alu instid0(VALU_DEP_2) | instskip(NEXT) | instid1(VALU_DEP_2)
	v_cmp_eq_u32_e32 vcc_lo, 0, v3
	v_cndmask_b32_e32 v3, v4, v67, vcc_lo
; %bb.90:
	s_or_b32 exec_lo, exec_lo, s3
	v_and_b32_e32 v4, 0x7f800000, v68
	s_delay_alu instid0(VALU_DEP_1) | instskip(SKIP_1) | instid1(SALU_CYCLE_1)
	v_cmp_ne_u32_e32 vcc_lo, 0x7f800000, v4
                                        ; implicit-def: $vgpr4
	s_and_saveexec_b32 s3, vcc_lo
	s_xor_b32 s3, exec_lo, s3
; %bb.91:
	v_bfe_u32 v4, v68, 16, 1
	s_delay_alu instid0(VALU_DEP_1)
	v_add3_u32 v4, v68, v4, 0x7fff
; %bb.92:
	s_and_not1_saveexec_b32 s3, s3
; %bb.93:
	v_and_b32_e32 v4, 0xffff, v68
	v_or_b32_e32 v5, 0x10000, v68
	s_delay_alu instid0(VALU_DEP_2) | instskip(NEXT) | instid1(VALU_DEP_2)
	v_cmp_eq_u32_e32 vcc_lo, 0, v4
	v_cndmask_b32_e32 v4, v5, v68, vcc_lo
; %bb.94:
	s_or_b32 exec_lo, exec_lo, s3
	v_and_b32_e32 v5, 0x7f800000, v69
	s_delay_alu instid0(VALU_DEP_1) | instskip(SKIP_1) | instid1(SALU_CYCLE_1)
	v_cmp_ne_u32_e32 vcc_lo, 0x7f800000, v5
                                        ; implicit-def: $vgpr5
	s_and_saveexec_b32 s3, vcc_lo
	s_xor_b32 s3, exec_lo, s3
; %bb.95:
	v_bfe_u32 v5, v69, 16, 1
	s_delay_alu instid0(VALU_DEP_1)
	v_add3_u32 v5, v69, v5, 0x7fff
; %bb.96:
	s_and_not1_saveexec_b32 s3, s3
; %bb.97:
	v_and_b32_e32 v5, 0xffff, v69
	v_or_b32_e32 v6, 0x10000, v69
	s_delay_alu instid0(VALU_DEP_2) | instskip(NEXT) | instid1(VALU_DEP_2)
	v_cmp_eq_u32_e32 vcc_lo, 0, v5
	v_cndmask_b32_e32 v5, v6, v69, vcc_lo
; %bb.98:
	s_or_b32 exec_lo, exec_lo, s3
	v_and_b32_e32 v6, 0x7f800000, v70
	s_delay_alu instid0(VALU_DEP_1) | instskip(SKIP_1) | instid1(SALU_CYCLE_1)
	v_cmp_ne_u32_e32 vcc_lo, 0x7f800000, v6
                                        ; implicit-def: $vgpr6
	s_and_saveexec_b32 s3, vcc_lo
	s_xor_b32 s3, exec_lo, s3
; %bb.99:
	v_bfe_u32 v6, v70, 16, 1
	s_delay_alu instid0(VALU_DEP_1)
	v_add3_u32 v6, v70, v6, 0x7fff
; %bb.100:
	s_and_not1_saveexec_b32 s3, s3
; %bb.101:
	v_and_b32_e32 v6, 0xffff, v70
	v_or_b32_e32 v7, 0x10000, v70
	s_delay_alu instid0(VALU_DEP_2) | instskip(NEXT) | instid1(VALU_DEP_2)
	v_cmp_eq_u32_e32 vcc_lo, 0, v6
	v_cndmask_b32_e32 v6, v7, v70, vcc_lo
; %bb.102:
	s_or_b32 exec_lo, exec_lo, s3
	v_and_b32_e32 v7, 0x7f800000, v71
	s_delay_alu instid0(VALU_DEP_1) | instskip(SKIP_1) | instid1(SALU_CYCLE_1)
	v_cmp_ne_u32_e32 vcc_lo, 0x7f800000, v7
                                        ; implicit-def: $vgpr7
	s_and_saveexec_b32 s3, vcc_lo
	s_xor_b32 s3, exec_lo, s3
; %bb.103:
	v_bfe_u32 v7, v71, 16, 1
	s_delay_alu instid0(VALU_DEP_1)
	v_add3_u32 v7, v71, v7, 0x7fff
; %bb.104:
	s_and_not1_saveexec_b32 s3, s3
; %bb.105:
	v_and_b32_e32 v7, 0xffff, v71
	v_or_b32_e32 v8, 0x10000, v71
	s_delay_alu instid0(VALU_DEP_2) | instskip(NEXT) | instid1(VALU_DEP_2)
	v_cmp_eq_u32_e32 vcc_lo, 0, v7
	v_cndmask_b32_e32 v7, v8, v71, vcc_lo
; %bb.106:
	s_or_b32 exec_lo, exec_lo, s3
	v_and_b32_e32 v8, 0x7f800000, v72
	s_delay_alu instid0(VALU_DEP_1) | instskip(SKIP_1) | instid1(SALU_CYCLE_1)
	v_cmp_ne_u32_e32 vcc_lo, 0x7f800000, v8
                                        ; implicit-def: $vgpr8
	s_and_saveexec_b32 s3, vcc_lo
	s_xor_b32 s3, exec_lo, s3
; %bb.107:
	v_bfe_u32 v8, v72, 16, 1
	s_delay_alu instid0(VALU_DEP_1)
	v_add3_u32 v8, v72, v8, 0x7fff
                                        ; implicit-def: $vgpr65_vgpr66_vgpr67_vgpr68_vgpr69_vgpr70_vgpr71_vgpr72
; %bb.108:
	s_and_not1_saveexec_b32 s3, s3
; %bb.109:
	v_and_b32_e32 v8, 0xffff, v72
	v_or_b32_e32 v9, 0x10000, v72
	s_delay_alu instid0(VALU_DEP_2) | instskip(NEXT) | instid1(VALU_DEP_2)
	v_cmp_eq_u32_e32 vcc_lo, 0, v8
	v_cndmask_b32_e32 v8, v9, v72, vcc_lo
; %bb.110:
	s_or_b32 exec_lo, exec_lo, s3
	s_delay_alu instid0(VALU_DEP_1)
	v_perm_b32 v7, v8, v7, 0x7060302
	v_perm_b32 v6, v6, v5, 0x7060302
	;; [unrolled: 1-line block ×4, first 2 shown]
	s_barrier
	buffer_gl0_inv
	v_cmp_eq_u32_e32 vcc_lo, 1, v78
	ds_store_b128 v76, v[4:7]
	s_waitcnt lgkmcnt(0)
	s_barrier
	buffer_gl0_inv
	ds_load_b128 v[1:4], v82
	ds_load_b128 v[5:8], v82 offset:16
	v_cmp_eq_u32_e64 s3, 1, v79
	v_cmp_eq_u32_e64 s4, 2, v78
	;; [unrolled: 1-line block ×5, first 2 shown]
	s_waitcnt lgkmcnt(1)
	v_lshrrev_b32_e32 v9, 16, v1
	s_waitcnt lgkmcnt(0)
	v_lshrrev_b32_e32 v13, 16, v5
	v_lshrrev_b32_e32 v10, 16, v2
	;; [unrolled: 1-line block ×4, first 2 shown]
	v_cndmask_b32_e64 v19, v1, v9, s3
	v_cndmask_b32_e32 v18, v5, v13, vcc_lo
	v_cndmask_b32_e64 v20, v5, v13, s3
	v_cndmask_b32_e32 v17, v1, v9, vcc_lo
	v_cmp_eq_u32_e32 vcc_lo, 2, v79
	v_lshrrev_b32_e32 v15, 16, v7
	v_cmp_eq_u32_e64 s3, 1, v77
	v_lshrrev_b32_e32 v12, 16, v4
	v_lshrrev_b32_e32 v16, 16, v8
	v_cndmask_b32_e32 v20, v20, v6, vcc_lo
	v_cndmask_b32_e64 v17, v17, v2, s4
	v_cndmask_b32_e32 v19, v19, v2, vcc_lo
	v_cndmask_b32_e64 v18, v18, v6, s4
	v_cmp_eq_u32_e32 vcc_lo, 4, v78
	v_cmp_eq_u32_e64 s4, 3, v79
	v_cndmask_b32_e64 v17, v17, v10, s5
	v_cndmask_b32_e64 v21, v1, v9, s3
	;; [unrolled: 1-line block ×5, first 2 shown]
	v_cndmask_b32_e32 v17, v17, v3, vcc_lo
	v_cndmask_b32_e64 v20, v20, v14, s4
	v_cndmask_b32_e32 v18, v18, v7, vcc_lo
	v_cmp_eq_u32_e32 vcc_lo, 4, v79
	v_cmp_eq_u32_e64 s4, 5, v79
	v_cmp_eq_u32_e64 s3, 2, v81
	v_cndmask_b32_e64 v21, v21, v2, s7
	v_cmp_eq_u32_e64 s5, 5, v78
	v_cndmask_b32_e32 v19, v19, v3, vcc_lo
	v_cndmask_b32_e32 v20, v20, v7, vcc_lo
	v_cmp_eq_u32_e32 vcc_lo, 6, v79
	s_delay_alu instid0(VALU_DEP_4) | instskip(NEXT) | instid1(VALU_DEP_4)
	v_cndmask_b32_e64 v17, v17, v11, s5
	v_cndmask_b32_e64 v19, v19, v11, s4
	s_delay_alu instid0(VALU_DEP_4) | instskip(SKIP_1) | instid1(VALU_DEP_3)
	v_cndmask_b32_e64 v20, v20, v15, s4
	v_cmp_eq_u32_e64 s4, 1, v81
	v_cndmask_b32_e32 v19, v19, v4, vcc_lo
	v_cndmask_b32_e64 v18, v18, v15, s5
	s_delay_alu instid0(VALU_DEP_3)
	v_cndmask_b32_e64 v1, v1, v9, s4
	v_cndmask_b32_e64 v5, v5, v13, s4
	v_cmp_eq_u32_e64 s4, 3, v77
	v_cndmask_b32_e64 v13, v22, v6, s7
	v_cmp_eq_u32_e64 s7, 3, v81
	v_cndmask_b32_e64 v1, v1, v2, s3
	v_cndmask_b32_e64 v2, v5, v6, s3
	;; [unrolled: 1-line block ×3, first 2 shown]
	v_cmp_eq_u32_e64 s3, 4, v77
	v_cndmask_b32_e64 v6, v13, v14, s4
	v_cndmask_b32_e64 v1, v1, v10, s7
	v_cmp_eq_u32_e64 s4, 4, v81
	v_cndmask_b32_e64 v2, v2, v14, s7
	v_cndmask_b32_e64 v5, v9, v3, s3
	;; [unrolled: 3-line block ×3, first 2 shown]
	v_cndmask_b32_e64 v2, v2, v7, s4
	v_cmp_eq_u32_e64 s3, 5, v81
	v_cmp_eq_u32_e64 s5, 6, v78
	v_cndmask_b32_e64 v5, v5, v11, s7
	v_cmp_eq_u32_e64 s4, 6, v77
	v_cndmask_b32_e64 v3, v6, v15, s7
	v_cndmask_b32_e64 v1, v1, v11, s3
	v_cmp_eq_u32_e64 s7, 6, v81
	v_cndmask_b32_e64 v2, v2, v15, s3
	v_cndmask_b32_e64 v17, v17, v4, s5
	v_cndmask_b32_e64 v18, v18, v8, s5
	v_cmp_eq_u32_e64 s5, 7, v78
	v_cndmask_b32_e64 v5, v5, v4, s4
	;; [unrolled: 4-line block ×3, first 2 shown]
	v_cmp_eq_u32_e64 s4, 7, v77
	v_cndmask_b32_e32 v4, v20, v8, vcc_lo
	v_cndmask_b32_e64 v17, v17, v12, s5
	v_cndmask_b32_e64 v19, v19, v12, s6
	;; [unrolled: 1-line block ×8, first 2 shown]
	s_mov_b32 s3, exec_lo
	v_perm_b32 v4, v2, v1, 0x5040100
	v_perm_b32 v3, v3, v5, 0x5040100
	;; [unrolled: 1-line block ×4, first 2 shown]
	ds_store_b128 v76, v[1:4]
	s_waitcnt lgkmcnt(0)
	s_barrier
	buffer_gl0_inv
	v_cmpx_gt_u32_e32 32, v0
	s_cbranch_execz .LBB1880_2
; %bb.111:
	s_load_b64 s[4:5], s[0:1], 0x68
	v_lshlrev_b32_e32 v0, 10, v0
	v_lshlrev_b32_e32 v1, 4, v75
	s_lshl_b32 s0, s34, 7
	v_add_nc_u32_e32 v7, s31, v74
	s_mul_i32 s1, s0, s30
	s_delay_alu instid0(SALU_CYCLE_1) | instskip(SKIP_1) | instid1(VALU_DEP_2)
	s_mul_i32 s6, s1, s8
	v_and_or_b32 v0, 0x3800, v0, v1
	v_mul_lo_u32 v1, v7, s0
	v_add_nc_u32_e32 v2, 2, v7
	s_ashr_i32 s7, s6, 31
	v_add_nc_u32_e32 v4, 4, v7
	s_lshl_b64 s[6:7], s[6:7], 1
	v_add_nc_u32_e32 v8, 6, v7
	v_mul_lo_u32 v3, v2, s0
	v_lshl_or_b32 v19, v74, 6, v0
	v_ashrrev_i32_e32 v2, 31, v1
	v_mul_lo_u32 v11, v4, s0
	v_mul_lo_u32 v25, v8, s0
	s_waitcnt lgkmcnt(0)
	s_add_u32 s1, s4, s6
	s_addc_u32 s3, s5, s7
	s_lshl_b32 s4, s14, 7
	v_lshlrev_b64 v[5:6], 1, v[1:2]
	s_ashr_i32 s5, s4, 31
	v_ashrrev_i32_e32 v4, 31, v3
	s_lshl_b64 s[4:5], s[4:5], 1
	v_ashrrev_i32_e32 v12, 31, v11
	s_add_u32 s1, s1, s4
	s_addc_u32 s3, s3, s5
	v_add_co_u32 v1, s1, s1, v73
	s_delay_alu instid0(VALU_DEP_1) | instskip(SKIP_1) | instid1(VALU_DEP_3)
	v_add_co_ci_u32_e64 v2, null, s3, 0, s1
	v_lshlrev_b64 v[3:4], 1, v[3:4]
	v_add_co_u32 v23, vcc_lo, v1, v5
	v_add_nc_u32_e32 v5, 8, v7
	s_delay_alu instid0(VALU_DEP_4) | instskip(NEXT) | instid1(VALU_DEP_4)
	v_add_co_ci_u32_e32 v24, vcc_lo, v2, v6, vcc_lo
	v_add_co_u32 v27, vcc_lo, v1, v3
	s_delay_alu instid0(VALU_DEP_3)
	v_mul_lo_u32 v29, v5, s0
	v_add_co_ci_u32_e32 v28, vcc_lo, v2, v4, vcc_lo
	ds_load_b128 v[3:6], v19
	ds_load_b128 v[7:10], v19 offset:128
	v_lshlrev_b64 v[31:32], 1, v[11:12]
	ds_load_b128 v[11:14], v19 offset:256
	ds_load_b128 v[15:18], v19 offset:384
	;; [unrolled: 1-line block ×3, first 2 shown]
	v_ashrrev_i32_e32 v26, 31, v25
	v_ashrrev_i32_e32 v30, 31, v29
	v_add_co_u32 v31, vcc_lo, v1, v31
	s_delay_alu instid0(VALU_DEP_3) | instskip(NEXT) | instid1(VALU_DEP_3)
	v_lshlrev_b64 v[25:26], 1, v[25:26]
	v_lshlrev_b64 v[29:30], 1, v[29:30]
	v_add_co_ci_u32_e32 v32, vcc_lo, v2, v32, vcc_lo
	s_delay_alu instid0(VALU_DEP_3) | instskip(NEXT) | instid1(VALU_DEP_4)
	v_add_co_u32 v25, vcc_lo, v1, v25
	v_add_co_ci_u32_e32 v26, vcc_lo, v2, v26, vcc_lo
	s_delay_alu instid0(VALU_DEP_4)
	v_add_co_u32 v29, vcc_lo, v1, v29
	v_add_co_ci_u32_e32 v30, vcc_lo, v2, v30, vcc_lo
	s_waitcnt lgkmcnt(4)
	global_store_b128 v[23:24], v[3:6], off
	s_waitcnt lgkmcnt(3)
	global_store_b128 v[27:28], v[7:10], off
	;; [unrolled: 2-line block ×5, first 2 shown]
	s_and_b32 exec_lo, exec_lo, s2
	s_cbranch_execz .LBB1880_2
; %bb.112:
	ds_load_b128 v[3:6], v0 offset:640
	s_add_i32 s1, s31, 10
	s_delay_alu instid0(SALU_CYCLE_1) | instskip(NEXT) | instid1(SALU_CYCLE_1)
	s_mul_i32 s0, s1, s0
	s_ashr_i32 s1, s0, 31
	s_delay_alu instid0(SALU_CYCLE_1) | instskip(NEXT) | instid1(SALU_CYCLE_1)
	s_lshl_b64 s[0:1], s[0:1], 1
	v_add_co_u32 v0, vcc_lo, v1, s0
	v_add_co_ci_u32_e32 v1, vcc_lo, s1, v2, vcc_lo
	s_waitcnt lgkmcnt(0)
	global_store_b128 v[0:1], v[3:6], off
	s_nop 0
	s_sendmsg sendmsg(MSG_DEALLOC_VGPRS)
	s_endpgm
	.section	.rodata,"a",@progbits
	.p2align	6, 0x0
	.amdhsa_kernel _Z39paged_attention_ll4mi_QKV_mfma16_kernelI14__hip_bfloat16hLN4vllm18Fp8KVCacheDataTypeE1EhLi32ELi128ELi256ELb0ELi11EL8MFMAType0EEvPKT_PKT0_S9_ifPKiSB_SB_iPKfiiiPfSE_PS4_PT2_iSD_SD_
		.amdhsa_group_segment_fixed_size 17472
		.amdhsa_private_segment_fixed_size 0
		.amdhsa_kernarg_size 400
		.amdhsa_user_sgpr_count 13
		.amdhsa_user_sgpr_dispatch_ptr 0
		.amdhsa_user_sgpr_queue_ptr 0
		.amdhsa_user_sgpr_kernarg_segment_ptr 1
		.amdhsa_user_sgpr_dispatch_id 0
		.amdhsa_user_sgpr_private_segment_size 0
		.amdhsa_wavefront_size32 1
		.amdhsa_uses_dynamic_stack 0
		.amdhsa_enable_private_segment 0
		.amdhsa_system_sgpr_workgroup_id_x 1
		.amdhsa_system_sgpr_workgroup_id_y 1
		.amdhsa_system_sgpr_workgroup_id_z 1
		.amdhsa_system_sgpr_workgroup_info 0
		.amdhsa_system_vgpr_workitem_id 0
		.amdhsa_next_free_vgpr 140
		.amdhsa_next_free_sgpr 36
		.amdhsa_reserve_vcc 1
		.amdhsa_float_round_mode_32 0
		.amdhsa_float_round_mode_16_64 0
		.amdhsa_float_denorm_mode_32 3
		.amdhsa_float_denorm_mode_16_64 3
		.amdhsa_dx10_clamp 1
		.amdhsa_ieee_mode 1
		.amdhsa_fp16_overflow 0
		.amdhsa_workgroup_processor_mode 1
		.amdhsa_memory_ordered 1
		.amdhsa_forward_progress 0
		.amdhsa_shared_vgpr_count 0
		.amdhsa_exception_fp_ieee_invalid_op 0
		.amdhsa_exception_fp_denorm_src 0
		.amdhsa_exception_fp_ieee_div_zero 0
		.amdhsa_exception_fp_ieee_overflow 0
		.amdhsa_exception_fp_ieee_underflow 0
		.amdhsa_exception_fp_ieee_inexact 0
		.amdhsa_exception_int_div_zero 0
	.end_amdhsa_kernel
	.section	.text._Z39paged_attention_ll4mi_QKV_mfma16_kernelI14__hip_bfloat16hLN4vllm18Fp8KVCacheDataTypeE1EhLi32ELi128ELi256ELb0ELi11EL8MFMAType0EEvPKT_PKT0_S9_ifPKiSB_SB_iPKfiiiPfSE_PS4_PT2_iSD_SD_,"axG",@progbits,_Z39paged_attention_ll4mi_QKV_mfma16_kernelI14__hip_bfloat16hLN4vllm18Fp8KVCacheDataTypeE1EhLi32ELi128ELi256ELb0ELi11EL8MFMAType0EEvPKT_PKT0_S9_ifPKiSB_SB_iPKfiiiPfSE_PS4_PT2_iSD_SD_,comdat
.Lfunc_end1880:
	.size	_Z39paged_attention_ll4mi_QKV_mfma16_kernelI14__hip_bfloat16hLN4vllm18Fp8KVCacheDataTypeE1EhLi32ELi128ELi256ELb0ELi11EL8MFMAType0EEvPKT_PKT0_S9_ifPKiSB_SB_iPKfiiiPfSE_PS4_PT2_iSD_SD_, .Lfunc_end1880-_Z39paged_attention_ll4mi_QKV_mfma16_kernelI14__hip_bfloat16hLN4vllm18Fp8KVCacheDataTypeE1EhLi32ELi128ELi256ELb0ELi11EL8MFMAType0EEvPKT_PKT0_S9_ifPKiSB_SB_iPKfiiiPfSE_PS4_PT2_iSD_SD_
                                        ; -- End function
	.section	.AMDGPU.csdata,"",@progbits
; Kernel info:
; codeLenInByte = 9048
; NumSgprs: 38
; NumVgprs: 140
; ScratchSize: 0
; MemoryBound: 0
; FloatMode: 240
; IeeeMode: 1
; LDSByteSize: 17472 bytes/workgroup (compile time only)
; SGPRBlocks: 4
; VGPRBlocks: 17
; NumSGPRsForWavesPerEU: 38
; NumVGPRsForWavesPerEU: 140
; Occupancy: 10
; WaveLimiterHint : 1
; COMPUTE_PGM_RSRC2:SCRATCH_EN: 0
; COMPUTE_PGM_RSRC2:USER_SGPR: 13
; COMPUTE_PGM_RSRC2:TRAP_HANDLER: 0
; COMPUTE_PGM_RSRC2:TGID_X_EN: 1
; COMPUTE_PGM_RSRC2:TGID_Y_EN: 1
; COMPUTE_PGM_RSRC2:TGID_Z_EN: 1
; COMPUTE_PGM_RSRC2:TIDIG_COMP_CNT: 0
	.section	.text._Z39paged_attention_ll4mi_QKV_mfma16_kernelI14__hip_bfloat16hLN4vllm18Fp8KVCacheDataTypeE1EhLi32ELi128ELi256ELb0ELi12EL8MFMAType0EEvPKT_PKT0_S9_ifPKiSB_SB_iPKfiiiPfSE_PS4_PT2_iSD_SD_,"axG",@progbits,_Z39paged_attention_ll4mi_QKV_mfma16_kernelI14__hip_bfloat16hLN4vllm18Fp8KVCacheDataTypeE1EhLi32ELi128ELi256ELb0ELi12EL8MFMAType0EEvPKT_PKT0_S9_ifPKiSB_SB_iPKfiiiPfSE_PS4_PT2_iSD_SD_,comdat
	.protected	_Z39paged_attention_ll4mi_QKV_mfma16_kernelI14__hip_bfloat16hLN4vllm18Fp8KVCacheDataTypeE1EhLi32ELi128ELi256ELb0ELi12EL8MFMAType0EEvPKT_PKT0_S9_ifPKiSB_SB_iPKfiiiPfSE_PS4_PT2_iSD_SD_ ; -- Begin function _Z39paged_attention_ll4mi_QKV_mfma16_kernelI14__hip_bfloat16hLN4vllm18Fp8KVCacheDataTypeE1EhLi32ELi128ELi256ELb0ELi12EL8MFMAType0EEvPKT_PKT0_S9_ifPKiSB_SB_iPKfiiiPfSE_PS4_PT2_iSD_SD_
	.globl	_Z39paged_attention_ll4mi_QKV_mfma16_kernelI14__hip_bfloat16hLN4vllm18Fp8KVCacheDataTypeE1EhLi32ELi128ELi256ELb0ELi12EL8MFMAType0EEvPKT_PKT0_S9_ifPKiSB_SB_iPKfiiiPfSE_PS4_PT2_iSD_SD_
	.p2align	8
	.type	_Z39paged_attention_ll4mi_QKV_mfma16_kernelI14__hip_bfloat16hLN4vllm18Fp8KVCacheDataTypeE1EhLi32ELi128ELi256ELb0ELi12EL8MFMAType0EEvPKT_PKT0_S9_ifPKiSB_SB_iPKfiiiPfSE_PS4_PT2_iSD_SD_,@function
_Z39paged_attention_ll4mi_QKV_mfma16_kernelI14__hip_bfloat16hLN4vllm18Fp8KVCacheDataTypeE1EhLi32ELi128ELi256ELb0ELi12EL8MFMAType0EEvPKT_PKT0_S9_ifPKiSB_SB_iPKfiiiPfSE_PS4_PT2_iSD_SD_: ; @_Z39paged_attention_ll4mi_QKV_mfma16_kernelI14__hip_bfloat16hLN4vllm18Fp8KVCacheDataTypeE1EhLi32ELi128ELi256ELb0ELi12EL8MFMAType0EEvPKT_PKT0_S9_ifPKiSB_SB_iPKfiiiPfSE_PS4_PT2_iSD_SD_
; %bb.0:
	s_load_b64 s[4:5], s[0:1], 0x30
	s_mov_b32 s30, s13
	s_waitcnt lgkmcnt(0)
	s_cmp_lg_u64 s[4:5], 0
	s_cselect_b32 s13, -1, 0
	s_ashr_i32 s31, s30, 31
	s_cmp_eq_u64 s[4:5], 0
	s_cbranch_scc1 .LBB1881_3
; %bb.1:
	s_lshl_b64 s[2:3], s[30:31], 2
	s_delay_alu instid0(SALU_CYCLE_1) | instskip(SKIP_4) | instid1(SALU_CYCLE_1)
	s_add_u32 s2, s4, s2
	s_addc_u32 s3, s5, s3
	s_load_b64 s[2:3], s[2:3], 0x0
	s_waitcnt lgkmcnt(0)
	s_sub_i32 s2, s3, s2
	s_cmp_eq_u32 s2, 1
	s_cselect_b32 s2, -1, 0
	s_delay_alu instid0(SALU_CYCLE_1)
	s_and_not1_b32 vcc_lo, exec_lo, s2
	s_cbranch_vccz .LBB1881_4
.LBB1881_2:
	s_endpgm
.LBB1881_3:
.LBB1881_4:
	s_load_b64 s[2:3], s[0:1], 0x28
	s_lshl_b64 s[6:7], s[30:31], 2
	s_waitcnt lgkmcnt(0)
	s_add_u32 s2, s2, s6
	s_addc_u32 s3, s3, s7
	s_lshl_b32 s12, s14, 8
	s_load_b32 s17, s[2:3], 0x0
	s_waitcnt lgkmcnt(0)
	s_cmp_ge_i32 s12, s17
	s_cbranch_scc1 .LBB1881_2
; %bb.5:
	s_clause 0x1
	s_load_b128 s[8:11], s[0:1], 0x8
	s_load_b64 s[2:3], s[0:1], 0x20
	s_and_not1_b32 vcc_lo, exec_lo, s13
	s_cbranch_vccnz .LBB1881_7
; %bb.6:
	s_add_u32 s4, s4, s6
	s_addc_u32 s5, s5, s7
	s_load_b32 s13, s[4:5], 0x0
	s_branch .LBB1881_8
.LBB1881_7:
	s_mov_b32 s13, s30
.LBB1881_8:
	s_load_b128 s[4:7], s[0:1], 0x48
	v_and_b32_e32 v65, 15, v0
	v_lshrrev_b32_e32 v66, 5, v0
	v_and_b32_e32 v67, 31, v0
	v_and_b32_e32 v75, 1, v0
	v_bfe_u32 v74, v0, 4, 1
	v_lshlrev_b32_e32 v1, 3, v65
	s_mul_i32 s29, s15, 12
	s_waitcnt lgkmcnt(0)
	s_mov_b32 s7, exec_lo
	s_delay_alu instid0(VALU_DEP_1)
	v_lshlrev_b32_e32 v73, 1, v1
	v_cmpx_gt_u32_e32 0xc0, v0
	s_cbranch_execz .LBB1881_10
; %bb.9:
	s_load_b64 s[18:19], s[0:1], 0x0
	v_lshl_or_b32 v5, v66, 1, v74
	s_mul_hi_i32 s21, s13, s4
	s_mul_i32 s20, s13, s4
	v_lshlrev_b32_e32 v6, 10, v65
	s_lshl_b64 s[20:21], s[20:21], 1
	v_add_lshl_u32 v1, v5, s29, 7
	v_lshlrev_b32_e32 v5, 6, v5
	v_lshlrev_b32_e32 v7, 10, v75
	v_and_b32_e32 v6, 0x3800, v6
	s_delay_alu instid0(VALU_DEP_4) | instskip(NEXT) | instid1(VALU_DEP_2)
	v_ashrrev_i32_e32 v2, 31, v1
	v_or3_b32 v5, v6, v7, v5
	s_delay_alu instid0(VALU_DEP_2) | instskip(SKIP_3) | instid1(VALU_DEP_1)
	v_lshlrev_b64 v[1:2], 1, v[1:2]
	s_waitcnt lgkmcnt(0)
	s_add_u32 s4, s18, s20
	s_addc_u32 s13, s19, s21
	v_add_co_u32 v1, vcc_lo, s4, v1
	s_delay_alu instid0(VALU_DEP_2) | instskip(NEXT) | instid1(VALU_DEP_2)
	v_add_co_ci_u32_e32 v2, vcc_lo, s13, v2, vcc_lo
	v_add_co_u32 v1, vcc_lo, v1, v73
	s_delay_alu instid0(VALU_DEP_2)
	v_add_co_ci_u32_e32 v2, vcc_lo, 0, v2, vcc_lo
	global_load_b128 v[1:4], v[1:2], off
	s_waitcnt vmcnt(0)
	ds_store_b128 v5, v[1:4]
.LBB1881_10:
	s_or_b32 exec_lo, exec_lo, s7
	v_and_b32_e32 v1, 0xef, v0
	s_add_i32 s4, s17, 31
	s_clause 0x1
	s_load_b32 s7, s[0:1], 0x38
	s_load_b32 s18, s[0:1], 0x1c
	s_ashr_i32 s13, s4, 31
	v_add_nc_u32_e32 v1, s12, v1
	s_lshr_b32 s13, s13, 27
	s_waitcnt lgkmcnt(0)
	s_add_i32 s4, s4, s13
	s_barrier
	v_ashrrev_i32_e32 v2, 31, v1
	v_or_b32_e32 v3, 16, v1
	s_ashr_i32 s4, s4, 5
	v_cmp_gt_i32_e32 vcc_lo, s17, v1
	s_add_i32 s4, s4, -1
	v_lshrrev_b32_e32 v2, 27, v2
	buffer_gl0_inv
	s_mul_i32 s15, s15, s6
	v_add_nc_u32_e32 v4, v1, v2
	s_mul_i32 s20, s30, s7
	s_delay_alu instid0(SALU_CYCLE_1) | instskip(NEXT) | instid1(VALU_DEP_1)
	s_ashr_i32 s21, s20, 31
	v_ashrrev_i32_e32 v4, 5, v4
	v_add_nc_u32_e32 v2, v3, v2
	s_lshl_b64 s[20:21], s[20:21], 2
	s_delay_alu instid0(SALU_CYCLE_1) | instskip(NEXT) | instid1(VALU_DEP_2)
	s_add_u32 s13, s2, s20
	v_cndmask_b32_e32 v1, s4, v4, vcc_lo
	s_delay_alu instid0(VALU_DEP_2)
	v_ashrrev_i32_e32 v2, 5, v2
	v_cmp_gt_i32_e32 vcc_lo, s17, v3
	s_addc_u32 s16, s3, s21
	s_ashr_i32 s19, s15, 31
	s_add_u32 s2, s8, s15
	s_addc_u32 s3, s9, s19
	v_cndmask_b32_e32 v3, s4, v2, vcc_lo
	v_ashrrev_i32_e32 v2, 31, v1
	s_lshl_b32 s6, s14, 3
	s_delay_alu instid0(SALU_CYCLE_1) | instskip(NEXT) | instid1(VALU_DEP_2)
	s_ashr_i32 s7, s6, 31
	v_ashrrev_i32_e32 v4, 31, v3
	s_delay_alu instid0(VALU_DEP_2) | instskip(SKIP_1) | instid1(SALU_CYCLE_1)
	v_lshlrev_b64 v[1:2], 2, v[1:2]
	s_lshl_b64 s[6:7], s[6:7], 2
	s_add_u32 s6, s13, s6
	s_delay_alu instid0(VALU_DEP_2) | instskip(SKIP_1) | instid1(VALU_DEP_2)
	v_lshlrev_b64 v[3:4], 2, v[3:4]
	s_addc_u32 s7, s16, s7
	v_add_co_u32 v1, vcc_lo, s13, v1
	v_add_co_ci_u32_e32 v2, vcc_lo, s16, v2, vcc_lo
	s_delay_alu instid0(VALU_DEP_3) | instskip(NEXT) | instid1(VALU_DEP_4)
	v_add_co_u32 v3, vcc_lo, s13, v3
	v_add_co_ci_u32_e32 v4, vcc_lo, s16, v4, vcc_lo
	s_clause 0x1
	global_load_b32 v5, v[1:2], off
	global_load_b32 v6, v[3:4], off
	s_or_b32 s8, s12, 32
	s_delay_alu instid0(SALU_CYCLE_1) | instskip(SKIP_2) | instid1(SALU_CYCLE_1)
	s_ashr_i32 s9, s8, 5
	s_cmp_lt_i32 s8, s17
	s_cselect_b32 s8, s9, s4
	s_ashr_i32 s9, s8, 31
	s_delay_alu instid0(SALU_CYCLE_1) | instskip(NEXT) | instid1(SALU_CYCLE_1)
	s_lshl_b64 s[8:9], s[8:9], 2
	s_add_u32 s8, s13, s8
	s_addc_u32 s9, s16, s9
	s_or_b32 s20, s12, 64
	s_delay_alu instid0(SALU_CYCLE_1) | instskip(SKIP_2) | instid1(SALU_CYCLE_1)
	s_ashr_i32 s21, s20, 5
	s_cmp_lt_i32 s20, s17
	s_cselect_b32 s20, s21, s4
	s_ashr_i32 s21, s20, 31
	s_delay_alu instid0(SALU_CYCLE_1) | instskip(NEXT) | instid1(SALU_CYCLE_1)
	s_lshl_b64 s[20:21], s[20:21], 2
	s_add_u32 s20, s13, s20
	s_addc_u32 s21, s16, s21
	;; [unrolled: 10-line block ×5, first 2 shown]
	s_clause 0x5
	s_load_b32 s28, s[6:7], 0x0
	s_load_b32 s8, s[8:9], 0x0
	;; [unrolled: 1-line block ×6, first 2 shown]
	s_mov_b32 s20, 0
	s_delay_alu instid0(SALU_CYCLE_1)
	s_mov_b32 s21, s20
	s_mov_b32 s22, s20
	;; [unrolled: 1-line block ×7, first 2 shown]
	s_delay_alu instid0(SALU_CYCLE_1)
	v_dual_mov_b32 v107, s27 :: v_dual_mov_b32 v106, s26
	v_dual_mov_b32 v104, s24 :: v_dual_mov_b32 v103, s23
	;; [unrolled: 1-line block ×3, first 2 shown]
	v_mov_b32_e32 v100, s20
	s_waitcnt vmcnt(1)
	v_mad_i64_i32 v[1:2], null, v5, s5, s[2:3]
	v_lshlrev_b32_e32 v5, 4, v65
	s_waitcnt vmcnt(0)
	v_mad_i64_i32 v[3:4], null, v6, s5, s[2:3]
	s_or_b32 s2, s12, 0xc0
	s_delay_alu instid0(SALU_CYCLE_1) | instskip(NEXT) | instid1(VALU_DEP_3)
	s_ashr_i32 s3, s2, 5
	v_add_co_u32 v33, vcc_lo, v1, v5
	s_delay_alu instid0(VALU_DEP_4) | instskip(NEXT) | instid1(VALU_DEP_3)
	v_add_co_ci_u32_e32 v34, vcc_lo, 0, v2, vcc_lo
	v_add_co_u32 v35, vcc_lo, v3, v5
	s_delay_alu instid0(VALU_DEP_4)
	v_add_co_ci_u32_e32 v36, vcc_lo, 0, v4, vcc_lo
	s_clause 0xf
	global_load_b128 v[1:4], v[33:34], off
	global_load_b128 v[5:8], v[33:34], off offset:512
	global_load_b128 v[9:12], v[35:36], off offset:256
	;; [unrolled: 1-line block ×15, first 2 shown]
	s_cmp_lt_i32 s2, s17
	v_add_nc_u32_e32 v33, -12, v65
	s_cselect_b32 s2, s3, s4
	v_cmp_gt_u32_e32 vcc_lo, 12, v65
	s_ashr_i32 s3, s2, 31
	v_lshlrev_b32_e32 v34, 5, v65
	s_lshl_b64 s[2:3], s[2:3], 2
	s_delay_alu instid0(SALU_CYCLE_1)
	s_add_u32 s2, s13, s2
	s_addc_u32 s3, s16, s3
	s_or_b32 s6, s12, 0xe0
	v_cndmask_b32_e32 v33, v33, v65, vcc_lo
	s_ashr_i32 s7, s6, 5
	s_cmp_lt_i32 s6, s17
	v_mov_b32_e32 v105, s25
	s_cselect_b32 s6, s7, s4
	v_lshlrev_b32_e32 v72, 6, v33
	s_ashr_i32 s7, s6, 31
	v_lshl_or_b32 v41, v66, 9, v34
	s_lshl_b64 s[6:7], s[6:7], 2
	ds_load_b128 v[33:36], v72
	ds_load_b128 v[37:40], v72 offset:1024
	ds_load_b128 v[108:111], v72 offset:2048
	;; [unrolled: 1-line block ×3, first 2 shown]
	s_load_b32 s4, s[2:3], 0x0
	s_add_u32 s2, s13, s6
	s_addc_u32 s3, s16, s7
	ds_load_b128 v[116:119], v72 offset:4096
	ds_load_b128 v[120:123], v72 offset:5120
	s_load_b32 s2, s[2:3], 0x0
	s_add_u32 s6, s10, s15
	s_addc_u32 s7, s11, s19
	v_add_co_u32 v68, s6, s6, v41
	s_delay_alu instid0(VALU_DEP_1) | instskip(SKIP_1) | instid1(VALU_DEP_1)
	v_add_co_ci_u32_e64 v69, null, s7, 0, s6
	s_waitcnt lgkmcnt(0)
	v_mad_i64_i32 v[41:42], null, s28, s5, v[68:69]
	v_mad_i64_i32 v[70:71], null, s9, s5, v[68:69]
	;; [unrolled: 1-line block ×7, first 2 shown]
	s_clause 0x3
	global_load_b128 v[49:52], v[41:42], off
	global_load_b128 v[53:56], v[41:42], off offset:16
	global_load_b128 v[41:44], v[45:46], off
	global_load_b128 v[45:48], v[45:46], off offset:16
	s_waitcnt vmcnt(18)
	v_wmma_f32_16x16x16_bf16 v[124:131], v[1:8], v[33:40], v[100:107]
	s_waitcnt vmcnt(16)
	v_wmma_f32_16x16x16_bf16 v[100:107], v[9:16], v[33:40], v[100:107]
	s_clause 0x1
	global_load_b128 v[33:36], v[70:71], off
	global_load_b128 v[37:40], v[70:71], off offset:16
	v_mad_i64_i32 v[70:71], null, s2, s5, v[68:69]
	s_waitcnt vmcnt(16)
	v_wmma_f32_16x16x16_bf16 v[124:131], v[17:24], v[108:115], v[124:131]
	s_waitcnt vmcnt(14)
	v_wmma_f32_16x16x16_bf16 v[100:107], v[25:32], v[108:115], v[100:107]
	s_clause 0x7
	global_load_b128 v[25:28], v[132:133], off
	global_load_b128 v[29:32], v[132:133], off offset:16
	global_load_b128 v[1:4], v[134:135], off
	global_load_b128 v[5:8], v[134:135], off offset:16
	;; [unrolled: 2-line block ×4, first 2 shown]
	s_waitcnt vmcnt(20)
	v_wmma_f32_16x16x16_bf16 v[124:131], v[57:64], v[116:123], v[124:131]
	s_clause 0x1
	global_load_b128 v[57:60], v[70:71], off
	global_load_b128 v[61:64], v[70:71], off offset:16
	s_waitcnt vmcnt(20)
	v_wmma_f32_16x16x16_bf16 v[100:107], v[76:83], v[116:123], v[100:107]
	ds_load_b128 v[76:79], v72 offset:6144
	ds_load_b128 v[80:83], v72 offset:7168
	v_and_b32_e32 v68, 0xe0, v0
	v_mbcnt_lo_u32_b32 v69, -1, 0
	s_waitcnt vmcnt(0) lgkmcnt(0)
	s_barrier
	buffer_gl0_inv
	v_add_nc_u32_e32 v68, s12, v68
	v_xor_b32_e32 v70, 16, v69
	s_delay_alu instid0(VALU_DEP_2) | instskip(NEXT) | instid1(VALU_DEP_2)
	v_or_b32_e32 v68, v68, v74
	v_cmp_gt_i32_e32 vcc_lo, 32, v70
	s_delay_alu instid0(VALU_DEP_2)
	v_or_b32_e32 v71, 4, v68
	v_or_b32_e32 v72, 6, v68
	v_cmp_gt_i32_e64 s2, s17, v68
	v_or_b32_e32 v108, 8, v68
	v_wmma_f32_16x16x16_bf16 v[124:131], v[84:91], v[76:83], v[124:131]
	v_cndmask_b32_e32 v69, v69, v70, vcc_lo
	v_or_b32_e32 v70, 2, v68
	v_wmma_f32_16x16x16_bf16 v[100:107], v[92:99], v[76:83], v[100:107]
	v_or_b32_e32 v109, 10, v68
	v_dual_mul_f32 v80, s18, v129 :: v_dual_mul_f32 v81, s18, v128
	v_dual_mul_f32 v92, s18, v125 :: v_dual_mul_f32 v93, s18, v124
	s_delay_alu instid0(VALU_DEP_4)
	v_mul_f32_e32 v96, s18, v105
	v_cmp_gt_i32_e32 vcc_lo, s17, v70
	v_or_b32_e32 v89, 22, v68
	v_dual_mul_f32 v79, s18, v130 :: v_dual_mul_f32 v82, s18, v127
	v_dual_mul_f32 v83, s18, v126 :: v_dual_mul_f32 v94, s18, v107
	v_cndmask_b32_e64 v93, 0xff7fffff, v93, s2
	v_cndmask_b32_e32 v92, 0xff7fffff, v92, vcc_lo
	v_cmp_gt_i32_e64 s3, s17, v71
	v_cmp_gt_i32_e64 s4, s17, v72
	v_or_b32_e32 v84, 12, v68
	v_or_b32_e32 v85, 14, v68
	v_cmp_gt_i32_e64 s5, s17, v108
	v_cndmask_b32_e64 v71, 0xff7fffff, v83, s3
	v_cndmask_b32_e64 v72, 0xff7fffff, v82, s4
	v_cmp_gt_i32_e64 s6, s17, v109
	v_cmp_gt_i32_e64 s12, s17, v89
	v_lshlrev_b32_e32 v89, 2, v69
	v_max3_f32 v82, v93, 0xff7fffff, v92
	v_or_b32_e32 v86, 16, v68
	v_or_b32_e32 v87, 18, v68
	v_mul_f32_e32 v78, s18, v131
	v_cndmask_b32_e64 v81, 0xff7fffff, v81, s5
	v_cndmask_b32_e64 v80, 0xff7fffff, v80, s6
	v_max3_f32 v71, v82, v71, v72
	v_cmp_gt_i32_e64 s7, s17, v84
	v_cmp_gt_i32_e64 s8, s17, v85
	v_or_b32_e32 v88, 20, v68
	v_or_b32_e32 v90, 24, v68
	;; [unrolled: 1-line block ×5, first 2 shown]
	v_dual_mul_f32 v97, s18, v104 :: v_dual_mul_f32 v70, s18, v101
	v_dual_mul_f32 v99, s18, v102 :: v_dual_mul_f32 v68, s18, v100
	v_cndmask_b32_e64 v72, 0xff7fffff, v79, s7
	v_cndmask_b32_e64 v78, 0xff7fffff, v78, s8
	v_max3_f32 v71, v71, v81, v80
	v_cmp_gt_i32_e64 s9, s17, v86
	v_cmp_gt_i32_e64 s10, s17, v87
	v_dual_mul_f32 v95, s18, v106 :: v_dual_mul_f32 v98, s18, v103
	s_delay_alu instid0(VALU_DEP_4) | instskip(NEXT) | instid1(VALU_DEP_4)
	v_max3_f32 v71, v71, v72, v78
	v_cndmask_b32_e64 v68, 0xff7fffff, v68, s9
	s_delay_alu instid0(VALU_DEP_4)
	v_cndmask_b32_e64 v70, 0xff7fffff, v70, s10
	v_cmp_gt_i32_e64 s11, s17, v88
	v_cndmask_b32_e64 v78, 0xff7fffff, v98, s12
	v_cmp_gt_i32_e64 s13, s17, v90
	v_cmp_gt_i32_e64 s15, s17, v91
	v_max3_f32 v68, v71, v68, v70
	v_cndmask_b32_e64 v72, 0xff7fffff, v99, s11
	v_cmp_gt_i32_e64 s16, s17, v76
	v_cndmask_b32_e64 v70, 0xff7fffff, v97, s13
	v_cndmask_b32_e64 v71, 0xff7fffff, v96, s15
	v_cmp_gt_i32_e64 s17, s17, v77
	v_max3_f32 v68, v68, v72, v78
	v_cndmask_b32_e64 v72, 0xff7fffff, v95, s16
	s_delay_alu instid0(VALU_DEP_3) | instskip(NEXT) | instid1(VALU_DEP_3)
	v_cndmask_b32_e64 v76, 0xff7fffff, v94, s17
	v_max3_f32 v68, v68, v70, v71
	s_delay_alu instid0(VALU_DEP_1) | instskip(SKIP_3) | instid1(VALU_DEP_1)
	v_max3_f32 v68, v68, v72, v76
	ds_bpermute_b32 v69, v89, v68
	s_waitcnt lgkmcnt(0)
	v_max_f32_e32 v69, v69, v69
	v_max_f32_e32 v68, v68, v69
	s_delay_alu instid0(VALU_DEP_1) | instskip(NEXT) | instid1(VALU_DEP_1)
	v_fma_f32 v71, s18, v126, -v68
	v_mul_f32_e32 v71, 0x3fb8aa3b, v71
	v_fma_f32 v70, s18, v125, -v68
	v_fma_f32 v69, s18, v124, -v68
	;; [unrolled: 1-line block ×5, first 2 shown]
	s_delay_alu instid0(VALU_DEP_4) | instskip(SKIP_1) | instid1(VALU_DEP_3)
	v_dual_mul_f32 v70, 0x3fb8aa3b, v70 :: v_dual_mul_f32 v69, 0x3fb8aa3b, v69
	v_exp_f32_e32 v71, v71
	v_mul_f32_e32 v72, 0x3fb8aa3b, v72
	v_fma_f32 v81, s18, v105, -v68
	s_delay_alu instid0(VALU_DEP_3)
	v_exp_f32_e32 v70, v70
	v_mul_f32_e32 v77, 0x3fb8aa3b, v76
	v_exp_f32_e32 v69, v69
	v_exp_f32_e32 v72, v72
	v_mul_f32_e32 v81, 0x3fb8aa3b, v81
	v_cndmask_b32_e64 v83, 0, v71, s3
	v_fma_f32 v71, s18, v131, -v68
	s_delay_alu instid0(VALU_DEP_3) | instskip(SKIP_4) | instid1(TRANS32_DEP_3)
	v_exp_f32_e32 v81, v81
	v_cndmask_b32_e32 v76, 0, v70, vcc_lo
	v_exp_f32_e32 v77, v77
	v_cndmask_b32_e64 v80, 0, v69, s2
	v_fma_f32 v69, s18, v129, -v68
	v_cndmask_b32_e64 v85, 0, v72, s4
	v_mul_f32_e32 v71, 0x3fb8aa3b, v71
	v_fma_f32 v72, s18, v100, -v68
	s_delay_alu instid0(VALU_DEP_4) | instskip(SKIP_1) | instid1(VALU_DEP_3)
	v_dual_add_f32 v70, 0, v80 :: v_dual_mul_f32 v69, 0x3fb8aa3b, v69
	s_mov_b32 s2, exec_lo
	v_exp_f32_e32 v71, v71
	s_delay_alu instid0(TRANS32_DEP_2) | instskip(SKIP_4) | instid1(VALU_DEP_3)
	v_cndmask_b32_e64 v86, 0, v77, s5
	v_fma_f32 v77, s18, v101, -v68
	v_mul_f32_e32 v78, 0x3fb8aa3b, v78
	v_add_f32_e32 v70, v70, v76
	v_exp_f32_e32 v69, v69
	v_mul_f32_e32 v77, 0x3fb8aa3b, v77
	s_delay_alu instid0(VALU_DEP_3) | instskip(NEXT) | instid1(TRANS32_DEP_3)
	v_exp_f32_e32 v78, v78
	v_cndmask_b32_e64 v88, 0, v71, s8
	v_fma_f32 v71, s18, v104, -v68
	s_delay_alu instid0(VALU_DEP_3) | instskip(NEXT) | instid1(TRANS32_DEP_3)
	v_exp_f32_e32 v77, v77
	v_cndmask_b32_e64 v87, 0, v69, s6
	s_delay_alu instid0(VALU_DEP_2)
	v_mul_f32_e32 v71, 0x3fb8aa3b, v71
	s_waitcnt_depctr 0xfff
	v_cndmask_b32_e64 v84, 0, v78, s7
	v_add_f32_e32 v70, v70, v83
	v_fma_f32 v78, s18, v103, -v68
	v_exp_f32_e32 v82, v71
	s_delay_alu instid0(VALU_DEP_2) | instskip(SKIP_1) | instid1(VALU_DEP_3)
	v_add_f32_e32 v70, v70, v85
	v_mul_f32_e32 v72, 0x3fb8aa3b, v72
	v_mul_f32_e32 v78, 0x3fb8aa3b, v78
	s_delay_alu instid0(VALU_DEP_3) | instskip(SKIP_1) | instid1(VALU_DEP_4)
	v_add_f32_e32 v69, v70, v86
	v_fma_f32 v70, s18, v102, -v68
	v_exp_f32_e32 v72, v72
	s_delay_alu instid0(VALU_DEP_3) | instskip(NEXT) | instid1(VALU_DEP_1)
	v_exp_f32_e32 v78, v78
	v_dual_add_f32 v69, v69, v87 :: v_dual_mul_f32 v70, 0x3fb8aa3b, v70
	s_delay_alu instid0(VALU_DEP_1) | instskip(NEXT) | instid1(VALU_DEP_2)
	v_add_f32_e32 v69, v69, v84
	v_exp_f32_e32 v79, v70
	s_delay_alu instid0(TRANS32_DEP_3) | instskip(NEXT) | instid1(VALU_DEP_2)
	v_cndmask_b32_e64 v70, 0, v72, s9
	v_add_f32_e32 v72, v69, v88
	v_cndmask_b32_e64 v69, 0, v77, s10
	v_fma_f32 v77, s18, v106, -v68
	s_waitcnt_depctr 0xfff
	v_cndmask_b32_e64 v71, 0, v79, s11
	v_dual_mul_f32 v77, 0x3fb8aa3b, v77 :: v_dual_add_f32 v72, v72, v70
	s_delay_alu instid0(VALU_DEP_1) | instskip(NEXT) | instid1(VALU_DEP_1)
	v_exp_f32_e32 v90, v77
	v_add_f32_e32 v79, v72, v69
	v_cndmask_b32_e64 v72, 0, v78, s12
	v_cndmask_b32_e64 v77, 0, v82, s13
	s_delay_alu instid0(VALU_DEP_3) | instskip(SKIP_1) | instid1(VALU_DEP_1)
	v_add_f32_e32 v78, v79, v71
	v_fma_f32 v79, s18, v107, -v68
	v_dual_add_f32 v82, v78, v72 :: v_dual_mul_f32 v79, 0x3fb8aa3b, v79
	v_cndmask_b32_e64 v78, 0, v81, s15
	s_delay_alu instid0(VALU_DEP_2) | instskip(NEXT) | instid1(VALU_DEP_3)
	v_add_f32_e32 v81, v82, v77
	v_exp_f32_e32 v82, v79
	v_cndmask_b32_e64 v79, 0, v90, s16
	s_delay_alu instid0(VALU_DEP_2) | instskip(NEXT) | instid1(VALU_DEP_1)
	v_add_f32_e32 v81, v81, v78
	v_add_f32_e32 v90, v81, v79
	s_waitcnt_depctr 0xfff
	v_cndmask_b32_e64 v81, 0, v82, s17
	s_delay_alu instid0(VALU_DEP_1)
	v_add_f32_e32 v82, v90, v81
	ds_bpermute_b32 v89, v89, v82
	v_cmpx_gt_u32_e32 16, v67
	s_cbranch_execz .LBB1881_12
; %bb.11:
	v_mul_u32_u24_e32 v67, 0x44, v66
	s_delay_alu instid0(VALU_DEP_1) | instskip(SKIP_1) | instid1(VALU_DEP_1)
	v_lshl_add_u32 v67, v65, 2, v67
	s_waitcnt lgkmcnt(0)
	v_dual_add_f32 v82, v82, v89 :: v_dual_add_nc_u32 v67, 0x4000, v67
	ds_store_2addr_b32 v67, v68, v82 offset1:136
.LBB1881_12:
	s_or_b32 exec_lo, exec_lo, s2
	v_lshlrev_b32_e32 v67, 2, v65
	s_waitcnt lgkmcnt(0)
	s_barrier
	buffer_gl0_inv
	v_cmp_eq_u32_e32 vcc_lo, 1, v66
	v_add_nc_u32_e32 v82, 0x4000, v67
	v_cmp_eq_u32_e64 s2, 2, v66
	v_cmp_eq_u32_e64 s4, 7, v66
	ds_load_2addr_b32 v[89:90], v82 offset1:17
	ds_load_2addr_b32 v[91:92], v82 offset0:34 offset1:51
	ds_load_2addr_b32 v[93:94], v82 offset0:68 offset1:85
	;; [unrolled: 1-line block ×4, first 2 shown]
	s_waitcnt lgkmcnt(4)
	v_max3_f32 v67, v89, 0xff7fffff, v90
	s_waitcnt lgkmcnt(3)
	s_delay_alu instid0(VALU_DEP_1) | instskip(SKIP_1) | instid1(VALU_DEP_1)
	v_max3_f32 v67, v67, v91, v92
	s_waitcnt lgkmcnt(2)
	v_max3_f32 v67, v67, v93, v94
	s_waitcnt lgkmcnt(1)
	s_delay_alu instid0(VALU_DEP_1) | instskip(NEXT) | instid1(VALU_DEP_1)
	v_max3_f32 v67, v67, v95, v96
	v_sub_f32_e32 v93, v93, v67
	s_delay_alu instid0(VALU_DEP_1) | instskip(NEXT) | instid1(VALU_DEP_1)
	v_dual_sub_f32 v68, v89, v67 :: v_dual_mul_f32 v103, 0x3fb8aa3b, v93
	v_mul_f32_e32 v68, 0x3fb8aa3b, v68
	s_delay_alu instid0(VALU_DEP_1)
	v_exp_f32_e32 v100, v68
	v_sub_f32_e32 v68, v92, v67
	v_sub_f32_e32 v99, v90, v67
	ds_load_2addr_b32 v[89:90], v82 offset0:170 offset1:187
	v_dual_mul_f32 v102, 0x3fb8aa3b, v68 :: v_dual_mul_f32 v99, 0x3fb8aa3b, v99
	s_waitcnt lgkmcnt(1)
	v_fma_f32 v68, v100, v97, 0
	s_delay_alu instid0(VALU_DEP_2) | instskip(NEXT) | instid1(VALU_DEP_2)
	v_exp_f32_e32 v102, v102
	v_exp_f32_e32 v99, v99
	s_waitcnt_depctr 0xfff
	v_fmac_f32_e32 v68, v99, v98
	v_sub_f32_e32 v91, v91, v67
	s_delay_alu instid0(VALU_DEP_1)
	v_mul_f32_e32 v101, 0x3fb8aa3b, v91
	ds_load_2addr_b32 v[91:92], v82 offset0:204 offset1:221
	v_sub_f32_e32 v97, v94, v67
	ds_load_2addr_b32 v[93:94], v82 offset0:238 offset1:255
	s_waitcnt lgkmcnt(0)
	v_exp_f32_e32 v101, v101
	s_barrier
	buffer_gl0_inv
	v_dual_fmac_f32 v68, v101, v89 :: v_dual_sub_f32 v89, v96, v67
	v_dual_sub_f32 v82, v95, v67 :: v_dual_mul_f32 v95, 0x3fb8aa3b, v97
	v_exp_f32_e32 v97, v103
	s_delay_alu instid0(VALU_DEP_2) | instskip(NEXT) | instid1(VALU_DEP_2)
	v_dual_fmac_f32 v68, v102, v90 :: v_dual_mul_f32 v89, 0x3fb8aa3b, v89
	v_mul_f32_e32 v82, 0x3fb8aa3b, v82
	s_delay_alu instid0(VALU_DEP_3) | instskip(NEXT) | instid1(VALU_DEP_2)
	v_exp_f32_e32 v95, v95
	v_exp_f32_e32 v89, v89
	s_delay_alu instid0(VALU_DEP_1)
	v_exp_f32_e32 v82, v82
	v_fmac_f32_e32 v68, v97, v91
	s_delay_alu instid0(TRANS32_DEP_3) | instid1(VALU_DEP_1)
	v_fmac_f32_e32 v68, v95, v92
	s_waitcnt_depctr 0xfff
	v_fmac_f32_e32 v68, v82, v93
	s_delay_alu instid0(VALU_DEP_1) | instskip(NEXT) | instid1(VALU_DEP_1)
	v_fmac_f32_e32 v68, v89, v94
	v_add_f32_e32 v90, 0x358637bd, v68
	s_delay_alu instid0(VALU_DEP_1) | instskip(NEXT) | instid1(VALU_DEP_1)
	v_div_scale_f32 v91, null, v90, v90, 1.0
	v_rcp_f32_e32 v92, v91
	s_waitcnt_depctr 0xfff
	v_fma_f32 v93, -v91, v92, 1.0
	s_delay_alu instid0(VALU_DEP_1) | instskip(SKIP_1) | instid1(VALU_DEP_2)
	v_dual_fmac_f32 v92, v93, v92 :: v_dual_cndmask_b32 v93, v100, v99
	v_cmp_eq_u32_e32 vcc_lo, 3, v66
	v_cndmask_b32_e64 v93, v93, v101, s2
	v_cmp_eq_u32_e64 s2, 4, v66
	s_delay_alu instid0(VALU_DEP_2) | instskip(SKIP_1) | instid1(VALU_DEP_2)
	v_cndmask_b32_e32 v93, v93, v102, vcc_lo
	v_cmp_eq_u32_e32 vcc_lo, 5, v66
	v_cndmask_b32_e64 v93, v93, v97, s2
	v_cmp_eq_u32_e64 s2, 6, v66
	s_delay_alu instid0(VALU_DEP_2) | instskip(SKIP_1) | instid1(VALU_DEP_1)
	v_cndmask_b32_e32 v93, v93, v95, vcc_lo
	v_div_scale_f32 v94, s3, 1.0, v90, 1.0
	s_mov_b32 vcc_lo, s3
	s_delay_alu instid0(VALU_DEP_2) | instskip(NEXT) | instid1(VALU_DEP_2)
	v_cndmask_b32_e64 v82, v93, v82, s2
	v_mul_f32_e32 v96, v94, v92
	s_mov_b32 s2, exec_lo
	s_delay_alu instid0(VALU_DEP_2) | instskip(NEXT) | instid1(VALU_DEP_2)
	v_cndmask_b32_e64 v82, v82, v89, s4
	v_fma_f32 v98, -v91, v96, v94
	s_delay_alu instid0(VALU_DEP_1) | instskip(NEXT) | instid1(VALU_DEP_1)
	v_fmac_f32_e32 v96, v98, v92
	v_fma_f32 v91, -v91, v96, v94
	s_delay_alu instid0(VALU_DEP_1) | instskip(NEXT) | instid1(VALU_DEP_1)
	v_div_fmas_f32 v91, v91, v92, v96
	v_div_fixup_f32 v90, v91, v90, 1.0
	s_delay_alu instid0(VALU_DEP_1) | instskip(NEXT) | instid1(VALU_DEP_1)
	v_mul_f32_e32 v82, v82, v90
	v_mul_f32_e32 v87, v82, v87
	;; [unrolled: 1-line block ×7, first 2 shown]
	v_dual_mul_f32 v86, v82, v83 :: v_dual_and_b32 v91, 0x7f800000, v90
	v_mul_f32_e32 v85, v82, v76
                                        ; implicit-def: $vgpr76
	s_delay_alu instid0(VALU_DEP_2)
	v_cmpx_ne_u32_e32 0x7f800000, v91
	s_xor_b32 s2, exec_lo, s2
; %bb.13:
	v_bfe_u32 v76, v90, 16, 1
	s_delay_alu instid0(VALU_DEP_1)
	v_add3_u32 v76, v90, v76, 0x7fff
                                        ; implicit-def: $vgpr90
; %bb.14:
	s_and_not1_saveexec_b32 s2, s2
; %bb.15:
	v_and_b32_e32 v76, 0xffff, v90
	v_or_b32_e32 v83, 0x10000, v90
	s_delay_alu instid0(VALU_DEP_2) | instskip(NEXT) | instid1(VALU_DEP_2)
	v_cmp_eq_u32_e32 vcc_lo, 0, v76
	v_cndmask_b32_e32 v76, v83, v90, vcc_lo
; %bb.16:
	s_or_b32 exec_lo, exec_lo, s2
	v_and_b32_e32 v83, 0x7f800000, v85
	s_delay_alu instid0(VALU_DEP_1) | instskip(SKIP_1) | instid1(SALU_CYCLE_1)
	v_cmp_ne_u32_e32 vcc_lo, 0x7f800000, v83
                                        ; implicit-def: $vgpr83
	s_and_saveexec_b32 s2, vcc_lo
	s_xor_b32 s2, exec_lo, s2
; %bb.17:
	v_bfe_u32 v83, v85, 16, 1
	s_delay_alu instid0(VALU_DEP_1)
	v_add3_u32 v83, v85, v83, 0x7fff
                                        ; implicit-def: $vgpr85
; %bb.18:
	s_and_not1_saveexec_b32 s2, s2
; %bb.19:
	v_and_b32_e32 v83, 0xffff, v85
	v_or_b32_e32 v90, 0x10000, v85
	s_delay_alu instid0(VALU_DEP_2) | instskip(NEXT) | instid1(VALU_DEP_2)
	v_cmp_eq_u32_e32 vcc_lo, 0, v83
	v_cndmask_b32_e32 v83, v90, v85, vcc_lo
; %bb.20:
	s_or_b32 exec_lo, exec_lo, s2
	v_and_b32_e32 v85, 0x7f800000, v86
	s_delay_alu instid0(VALU_DEP_1) | instskip(SKIP_1) | instid1(SALU_CYCLE_1)
	v_cmp_ne_u32_e32 vcc_lo, 0x7f800000, v85
                                        ; implicit-def: $vgpr85
	s_and_saveexec_b32 s2, vcc_lo
	s_xor_b32 s2, exec_lo, s2
; %bb.21:
	v_bfe_u32 v85, v86, 16, 1
	s_delay_alu instid0(VALU_DEP_1)
	v_add3_u32 v85, v86, v85, 0x7fff
                                        ; implicit-def: $vgpr86
; %bb.22:
	s_and_not1_saveexec_b32 s2, s2
; %bb.23:
	v_and_b32_e32 v85, 0xffff, v86
	v_or_b32_e32 v90, 0x10000, v86
	s_delay_alu instid0(VALU_DEP_2) | instskip(NEXT) | instid1(VALU_DEP_2)
	v_cmp_eq_u32_e32 vcc_lo, 0, v85
	v_cndmask_b32_e32 v85, v90, v86, vcc_lo
; %bb.24:
	s_or_b32 exec_lo, exec_lo, s2
	v_and_b32_e32 v86, 0x7f800000, v89
	s_delay_alu instid0(VALU_DEP_1) | instskip(SKIP_1) | instid1(SALU_CYCLE_1)
	v_cmp_ne_u32_e32 vcc_lo, 0x7f800000, v86
                                        ; implicit-def: $vgpr86
	s_and_saveexec_b32 s2, vcc_lo
	s_xor_b32 s2, exec_lo, s2
; %bb.25:
	v_bfe_u32 v86, v89, 16, 1
	s_delay_alu instid0(VALU_DEP_1)
	v_add3_u32 v86, v89, v86, 0x7fff
                                        ; implicit-def: $vgpr89
; %bb.26:
	s_and_not1_saveexec_b32 s2, s2
; %bb.27:
	v_and_b32_e32 v86, 0xffff, v89
	v_or_b32_e32 v90, 0x10000, v89
	s_delay_alu instid0(VALU_DEP_2) | instskip(NEXT) | instid1(VALU_DEP_2)
	v_cmp_eq_u32_e32 vcc_lo, 0, v86
	v_cndmask_b32_e32 v86, v90, v89, vcc_lo
; %bb.28:
	s_or_b32 exec_lo, exec_lo, s2
	v_and_b32_e32 v89, 0x7f800000, v88
	s_delay_alu instid0(VALU_DEP_1) | instskip(SKIP_1) | instid1(SALU_CYCLE_1)
	v_cmp_ne_u32_e32 vcc_lo, 0x7f800000, v89
                                        ; implicit-def: $vgpr89
	s_and_saveexec_b32 s2, vcc_lo
	s_xor_b32 s2, exec_lo, s2
; %bb.29:
	v_bfe_u32 v89, v88, 16, 1
	s_delay_alu instid0(VALU_DEP_1)
	v_add3_u32 v89, v88, v89, 0x7fff
                                        ; implicit-def: $vgpr88
; %bb.30:
	s_and_not1_saveexec_b32 s2, s2
; %bb.31:
	v_and_b32_e32 v89, 0xffff, v88
	v_or_b32_e32 v90, 0x10000, v88
	s_delay_alu instid0(VALU_DEP_2) | instskip(NEXT) | instid1(VALU_DEP_2)
	v_cmp_eq_u32_e32 vcc_lo, 0, v89
	v_cndmask_b32_e32 v89, v90, v88, vcc_lo
; %bb.32:
	s_or_b32 exec_lo, exec_lo, s2
	v_and_b32_e32 v88, 0x7f800000, v87
	s_delay_alu instid0(VALU_DEP_1) | instskip(SKIP_1) | instid1(SALU_CYCLE_1)
	v_cmp_ne_u32_e32 vcc_lo, 0x7f800000, v88
                                        ; implicit-def: $vgpr88
	s_and_saveexec_b32 s2, vcc_lo
	s_xor_b32 s2, exec_lo, s2
; %bb.33:
	v_bfe_u32 v88, v87, 16, 1
	s_delay_alu instid0(VALU_DEP_1)
	v_add3_u32 v88, v87, v88, 0x7fff
                                        ; implicit-def: $vgpr87
; %bb.34:
	s_and_not1_saveexec_b32 s2, s2
; %bb.35:
	v_and_b32_e32 v88, 0xffff, v87
	v_or_b32_e32 v90, 0x10000, v87
	s_delay_alu instid0(VALU_DEP_2) | instskip(NEXT) | instid1(VALU_DEP_2)
	v_cmp_eq_u32_e32 vcc_lo, 0, v88
	v_cndmask_b32_e32 v88, v90, v87, vcc_lo
; %bb.36:
	s_or_b32 exec_lo, exec_lo, s2
	v_and_b32_e32 v87, 0x7f800000, v84
	s_delay_alu instid0(VALU_DEP_1) | instskip(SKIP_1) | instid1(SALU_CYCLE_1)
	v_cmp_ne_u32_e32 vcc_lo, 0x7f800000, v87
                                        ; implicit-def: $vgpr87
	s_and_saveexec_b32 s2, vcc_lo
	s_xor_b32 s2, exec_lo, s2
; %bb.37:
	v_bfe_u32 v87, v84, 16, 1
	s_delay_alu instid0(VALU_DEP_1)
	v_add3_u32 v87, v84, v87, 0x7fff
                                        ; implicit-def: $vgpr84
; %bb.38:
	s_and_not1_saveexec_b32 s2, s2
; %bb.39:
	v_and_b32_e32 v87, 0xffff, v84
	v_or_b32_e32 v90, 0x10000, v84
	s_delay_alu instid0(VALU_DEP_2) | instskip(NEXT) | instid1(VALU_DEP_2)
	v_cmp_eq_u32_e32 vcc_lo, 0, v87
	v_cndmask_b32_e32 v87, v90, v84, vcc_lo
; %bb.40:
	s_or_b32 exec_lo, exec_lo, s2
	v_and_b32_e32 v84, 0x7f800000, v80
	s_delay_alu instid0(VALU_DEP_1) | instskip(SKIP_1) | instid1(SALU_CYCLE_1)
	v_cmp_ne_u32_e32 vcc_lo, 0x7f800000, v84
                                        ; implicit-def: $vgpr84
	s_and_saveexec_b32 s2, vcc_lo
	s_xor_b32 s2, exec_lo, s2
; %bb.41:
	v_bfe_u32 v84, v80, 16, 1
	s_delay_alu instid0(VALU_DEP_1)
	v_add3_u32 v84, v80, v84, 0x7fff
                                        ; implicit-def: $vgpr80
; %bb.42:
	s_and_not1_saveexec_b32 s2, s2
; %bb.43:
	v_and_b32_e32 v84, 0xffff, v80
	v_or_b32_e32 v90, 0x10000, v80
	s_delay_alu instid0(VALU_DEP_2) | instskip(NEXT) | instid1(VALU_DEP_2)
	v_cmp_eq_u32_e32 vcc_lo, 0, v84
	v_cndmask_b32_e32 v84, v90, v80, vcc_lo
; %bb.44:
	s_or_b32 exec_lo, exec_lo, s2
	s_load_b64 s[34:35], s[0:1], 0x94
	v_lshlrev_b32_e32 v91, 4, v74
	s_delay_alu instid0(VALU_DEP_2)
	v_perm_b32 v90, v84, v87, 0x7060302
	v_dual_mul_f32 v79, v82, v79 :: v_dual_lshlrev_b32 v80, 6, v65
	v_dual_mul_f32 v77, v82, v77 :: v_dual_lshlrev_b32 v92, 11, v66
	v_mul_f32_e32 v84, v82, v70
	v_perm_b32 v89, v88, v89, 0x7060302
	v_perm_b32 v88, v86, v85, 0x7060302
	;; [unrolled: 1-line block ×3, first 2 shown]
	v_mul_f32_e32 v70, v82, v81
	v_or3_b32 v76, v91, v92, v80
	v_dual_mul_f32 v78, v82, v78 :: v_dual_and_b32 v85, 0x7f800000, v84
	v_mul_f32_e32 v83, v82, v72
	v_mul_f32_e32 v81, v82, v71
	;; [unrolled: 1-line block ×3, first 2 shown]
	s_mov_b32 s2, exec_lo
	ds_store_b128 v76, v[87:90]
                                        ; implicit-def: $vgpr69
	v_cmpx_ne_u32_e32 0x7f800000, v85
	s_xor_b32 s2, exec_lo, s2
; %bb.45:
	v_bfe_u32 v69, v84, 16, 1
	s_delay_alu instid0(VALU_DEP_1)
	v_add3_u32 v69, v84, v69, 0x7fff
                                        ; implicit-def: $vgpr84
; %bb.46:
	s_and_not1_saveexec_b32 s2, s2
; %bb.47:
	v_and_b32_e32 v69, 0xffff, v84
	v_or_b32_e32 v71, 0x10000, v84
	s_delay_alu instid0(VALU_DEP_2) | instskip(NEXT) | instid1(VALU_DEP_2)
	v_cmp_eq_u32_e32 vcc_lo, 0, v69
	v_cndmask_b32_e32 v69, v71, v84, vcc_lo
; %bb.48:
	s_or_b32 exec_lo, exec_lo, s2
	v_and_b32_e32 v71, 0x7f800000, v72
	s_delay_alu instid0(VALU_DEP_1) | instskip(SKIP_1) | instid1(SALU_CYCLE_1)
	v_cmp_ne_u32_e32 vcc_lo, 0x7f800000, v71
                                        ; implicit-def: $vgpr71
	s_and_saveexec_b32 s2, vcc_lo
	s_xor_b32 s2, exec_lo, s2
; %bb.49:
	v_bfe_u32 v71, v72, 16, 1
	s_delay_alu instid0(VALU_DEP_1)
	v_add3_u32 v71, v72, v71, 0x7fff
                                        ; implicit-def: $vgpr72
; %bb.50:
	s_and_not1_saveexec_b32 s2, s2
; %bb.51:
	v_and_b32_e32 v71, 0xffff, v72
	v_or_b32_e32 v82, 0x10000, v72
	s_delay_alu instid0(VALU_DEP_2) | instskip(NEXT) | instid1(VALU_DEP_2)
	v_cmp_eq_u32_e32 vcc_lo, 0, v71
	v_cndmask_b32_e32 v71, v82, v72, vcc_lo
; %bb.52:
	s_or_b32 exec_lo, exec_lo, s2
	v_and_b32_e32 v72, 0x7f800000, v81
	s_delay_alu instid0(VALU_DEP_1) | instskip(SKIP_1) | instid1(SALU_CYCLE_1)
	v_cmp_ne_u32_e32 vcc_lo, 0x7f800000, v72
                                        ; implicit-def: $vgpr72
	s_and_saveexec_b32 s2, vcc_lo
	s_xor_b32 s2, exec_lo, s2
; %bb.53:
	v_bfe_u32 v72, v81, 16, 1
	s_delay_alu instid0(VALU_DEP_1)
	v_add3_u32 v72, v81, v72, 0x7fff
                                        ; implicit-def: $vgpr81
; %bb.54:
	s_and_not1_saveexec_b32 s2, s2
; %bb.55:
	v_and_b32_e32 v72, 0xffff, v81
	v_or_b32_e32 v82, 0x10000, v81
	s_delay_alu instid0(VALU_DEP_2) | instskip(NEXT) | instid1(VALU_DEP_2)
	v_cmp_eq_u32_e32 vcc_lo, 0, v72
	v_cndmask_b32_e32 v72, v82, v81, vcc_lo
; %bb.56:
	s_or_b32 exec_lo, exec_lo, s2
	v_and_b32_e32 v81, 0x7f800000, v83
	s_delay_alu instid0(VALU_DEP_1) | instskip(SKIP_1) | instid1(SALU_CYCLE_1)
	v_cmp_ne_u32_e32 vcc_lo, 0x7f800000, v81
                                        ; implicit-def: $vgpr81
	s_and_saveexec_b32 s2, vcc_lo
	s_xor_b32 s2, exec_lo, s2
; %bb.57:
	v_bfe_u32 v81, v83, 16, 1
	s_delay_alu instid0(VALU_DEP_1)
	v_add3_u32 v81, v83, v81, 0x7fff
                                        ; implicit-def: $vgpr83
; %bb.58:
	s_and_not1_saveexec_b32 s2, s2
; %bb.59:
	v_and_b32_e32 v81, 0xffff, v83
	v_or_b32_e32 v82, 0x10000, v83
	s_delay_alu instid0(VALU_DEP_2) | instskip(NEXT) | instid1(VALU_DEP_2)
	v_cmp_eq_u32_e32 vcc_lo, 0, v81
	v_cndmask_b32_e32 v81, v82, v83, vcc_lo
; %bb.60:
	s_or_b32 exec_lo, exec_lo, s2
	v_and_b32_e32 v82, 0x7f800000, v77
	s_delay_alu instid0(VALU_DEP_1) | instskip(SKIP_1) | instid1(SALU_CYCLE_1)
	v_cmp_ne_u32_e32 vcc_lo, 0x7f800000, v82
                                        ; implicit-def: $vgpr82
	s_and_saveexec_b32 s2, vcc_lo
	s_xor_b32 s2, exec_lo, s2
; %bb.61:
	v_bfe_u32 v82, v77, 16, 1
	s_delay_alu instid0(VALU_DEP_1)
	v_add3_u32 v82, v77, v82, 0x7fff
                                        ; implicit-def: $vgpr77
; %bb.62:
	s_and_not1_saveexec_b32 s2, s2
; %bb.63:
	v_and_b32_e32 v82, 0xffff, v77
	v_or_b32_e32 v83, 0x10000, v77
	s_delay_alu instid0(VALU_DEP_2) | instskip(NEXT) | instid1(VALU_DEP_2)
	v_cmp_eq_u32_e32 vcc_lo, 0, v82
	v_cndmask_b32_e32 v82, v83, v77, vcc_lo
; %bb.64:
	s_or_b32 exec_lo, exec_lo, s2
	v_and_b32_e32 v77, 0x7f800000, v78
	s_delay_alu instid0(VALU_DEP_1) | instskip(SKIP_1) | instid1(SALU_CYCLE_1)
	v_cmp_ne_u32_e32 vcc_lo, 0x7f800000, v77
                                        ; implicit-def: $vgpr77
	s_and_saveexec_b32 s2, vcc_lo
	s_xor_b32 s2, exec_lo, s2
; %bb.65:
	v_bfe_u32 v77, v78, 16, 1
	s_delay_alu instid0(VALU_DEP_1)
	v_add3_u32 v77, v78, v77, 0x7fff
                                        ; implicit-def: $vgpr78
; %bb.66:
	s_and_not1_saveexec_b32 s2, s2
; %bb.67:
	v_and_b32_e32 v77, 0xffff, v78
	v_or_b32_e32 v83, 0x10000, v78
	s_delay_alu instid0(VALU_DEP_2) | instskip(NEXT) | instid1(VALU_DEP_2)
	v_cmp_eq_u32_e32 vcc_lo, 0, v77
	v_cndmask_b32_e32 v77, v83, v78, vcc_lo
; %bb.68:
	s_or_b32 exec_lo, exec_lo, s2
	v_and_b32_e32 v78, 0x7f800000, v79
	s_delay_alu instid0(VALU_DEP_1) | instskip(SKIP_1) | instid1(SALU_CYCLE_1)
	v_cmp_ne_u32_e32 vcc_lo, 0x7f800000, v78
                                        ; implicit-def: $vgpr78
	s_and_saveexec_b32 s2, vcc_lo
	s_xor_b32 s2, exec_lo, s2
; %bb.69:
	v_bfe_u32 v78, v79, 16, 1
	s_delay_alu instid0(VALU_DEP_1)
	v_add3_u32 v78, v79, v78, 0x7fff
                                        ; implicit-def: $vgpr79
; %bb.70:
	s_and_not1_saveexec_b32 s2, s2
; %bb.71:
	v_and_b32_e32 v78, 0xffff, v79
	v_or_b32_e32 v83, 0x10000, v79
	s_delay_alu instid0(VALU_DEP_2) | instskip(NEXT) | instid1(VALU_DEP_2)
	v_cmp_eq_u32_e32 vcc_lo, 0, v78
	v_cndmask_b32_e32 v78, v83, v79, vcc_lo
; %bb.72:
	s_or_b32 exec_lo, exec_lo, s2
	v_and_b32_e32 v79, 0x7f800000, v70
	s_delay_alu instid0(VALU_DEP_1) | instskip(SKIP_1) | instid1(SALU_CYCLE_1)
	v_cmp_ne_u32_e32 vcc_lo, 0x7f800000, v79
                                        ; implicit-def: $vgpr79
	s_and_saveexec_b32 s2, vcc_lo
	s_xor_b32 s2, exec_lo, s2
; %bb.73:
	v_bfe_u32 v79, v70, 16, 1
	s_delay_alu instid0(VALU_DEP_1)
	v_add3_u32 v79, v70, v79, 0x7fff
                                        ; implicit-def: $vgpr70
; %bb.74:
	s_and_not1_saveexec_b32 s2, s2
; %bb.75:
	v_and_b32_e32 v79, 0xffff, v70
	v_or_b32_e32 v83, 0x10000, v70
	s_delay_alu instid0(VALU_DEP_2) | instskip(NEXT) | instid1(VALU_DEP_2)
	v_cmp_eq_u32_e32 vcc_lo, 0, v79
	v_cndmask_b32_e32 v79, v83, v70, vcc_lo
; %bb.76:
	s_or_b32 exec_lo, exec_lo, s2
	s_delay_alu instid0(VALU_DEP_1)
	v_perm_b32 v86, v79, v78, 0x7060302
	v_perm_b32 v85, v77, v82, 0x7060302
	;; [unrolled: 1-line block ×4, first 2 shown]
	v_lshl_or_b32 v82, v66, 11, v80
	ds_store_b128 v76, v[83:86] offset:1024
	s_waitcnt lgkmcnt(0)
	s_barrier
	buffer_gl0_inv
	ds_load_b128 v[69:72], v82
	ds_load_b128 v[83:86], v82 offset:16
	s_waitcnt lgkmcnt(1)
	v_lshrrev_b32_e32 v66, 16, v69
	s_waitcnt lgkmcnt(0)
	v_lshrrev_b32_e32 v91, 16, v83
	v_lshlrev_b32_e32 v78, 2, v74
	v_lshrrev_b32_e32 v95, 16, v70
	v_lshrrev_b32_e32 v98, 16, v84
	;; [unrolled: 1-line block ×4, first 2 shown]
	v_cmp_eq_u32_e32 vcc_lo, 1, v78
	v_lshrrev_b32_e32 v97, 16, v72
	v_lshrrev_b32_e32 v100, 16, v86
	v_cndmask_b32_e32 v87, v83, v91, vcc_lo
	v_or_b32_e32 v79, 1, v78
	v_cndmask_b32_e32 v81, v69, v66, vcc_lo
	v_cmp_eq_u32_e64 s3, 2, v78
	v_cmp_eq_u32_e64 s6, 3, v78
	v_cmp_eq_u32_e64 s8, 4, v78
	v_cmp_eq_u32_e64 s2, 1, v79
	v_cmp_eq_u32_e64 s5, 2, v79
	v_cndmask_b32_e64 v81, v81, v70, s3
	v_cndmask_b32_e64 v87, v87, v84, s3
	v_cmp_eq_u32_e64 s7, 3, v79
	v_cndmask_b32_e64 v88, v69, v66, s2
	v_or_b32_e32 v77, 2, v78
	v_cndmask_b32_e64 v81, v81, v95, s6
	v_cndmask_b32_e64 v87, v87, v98, s6
	;; [unrolled: 1-line block ×4, first 2 shown]
	v_cmp_eq_u32_e64 s9, 5, v78
	v_cndmask_b32_e64 v81, v81, v71, s8
	v_cndmask_b32_e64 v87, v87, v85, s8
	v_cmp_eq_u32_e64 s10, 4, v79
	v_cndmask_b32_e64 v88, v88, v95, s7
	v_cmp_eq_u32_e64 s4, 1, v77
	v_cndmask_b32_e64 v89, v89, v84, s5
	v_cndmask_b32_e64 v81, v81, v96, s9
	v_cmp_eq_u32_e64 s11, 6, v78
	v_cndmask_b32_e64 v88, v88, v71, s10
	;; [unrolled: 3-line block ×3, first 2 shown]
	v_cndmask_b32_e64 v89, v89, v98, s7
	v_cndmask_b32_e64 v81, v81, v72, s11
	v_cmp_eq_u32_e64 s13, 7, v78
	v_cndmask_b32_e64 v88, v88, v96, s12
	v_cndmask_b32_e64 v87, v87, v86, s11
	v_cmp_eq_u32_e64 s15, 6, v79
	v_cmp_eq_u32_e64 s16, 2, v77
	v_cndmask_b32_e64 v89, v89, v85, s10
	v_cndmask_b32_e64 v101, v81, v97, s13
	;; [unrolled: 1-line block ×6, first 2 shown]
	v_cmp_eq_u32_e64 s17, 7, v79
	v_cmp_eq_u32_e64 s18, 3, v77
	;; [unrolled: 1-line block ×4, first 2 shown]
	v_cndmask_b32_e64 v87, v87, v84, s16
	v_cndmask_b32_e64 v103, v88, v97, s17
	;; [unrolled: 1-line block ×4, first 2 shown]
	v_or_b32_e32 v81, 3, v78
	v_cndmask_b32_e64 v93, v87, v98, s18
	v_cmp_eq_u32_e64 s23, 6, v77
	v_cndmask_b32_e64 v104, v88, v86, s15
	v_cndmask_b32_e64 v92, v89, v71, s19
	v_cmp_eq_u32_e64 s20, 1, v81
	ds_load_b128 v[87:90], v82 offset:1024
	v_cmp_eq_u32_e64 s22, 2, v81
	v_cmp_eq_u32_e64 s24, 3, v81
	v_cndmask_b32_e64 v105, v92, v96, s21
	v_cndmask_b32_e64 v66, v69, v66, s20
	;; [unrolled: 1-line block ×4, first 2 shown]
	ds_load_b128 v[91:94], v82 offset:1040
	v_cmp_eq_u32_e64 s25, 4, v81
	v_cndmask_b32_e64 v66, v66, v70, s22
	v_cmp_eq_u32_e64 s26, 7, v77
	v_cndmask_b32_e64 v70, v83, v84, s22
	v_cndmask_b32_e64 v84, v105, v72, s23
	v_cmp_eq_u32_e64 s27, 5, v81
	v_cndmask_b32_e64 v66, v66, v95, s24
	v_cmp_eq_u32_e64 s28, 6, v81
	v_cndmask_b32_e64 v70, v70, v98, s24
	v_cndmask_b32_e64 v69, v69, v99, s21
	;; [unrolled: 1-line block ×4, first 2 shown]
	s_waitcnt lgkmcnt(1)
	v_lshrrev_b32_e32 v95, 16, v87
	v_cndmask_b32_e64 v70, v70, v85, s25
	v_cndmask_b32_e64 v71, v84, v97, s26
	;; [unrolled: 1-line block ×4, first 2 shown]
	v_cndmask_b32_e32 v84, v87, v95, vcc_lo
	v_cndmask_b32_e64 v70, v70, v99, s27
	s_waitcnt lgkmcnt(0)
	v_lshrrev_b32_e32 v85, 16, v91
	v_lshrrev_b32_e32 v96, 16, v88
	v_cndmask_b32_e64 v98, v87, v95, s2
	v_cndmask_b32_e64 v84, v84, v88, s3
	;; [unrolled: 1-line block ×3, first 2 shown]
	v_cndmask_b32_e32 v99, v91, v85, vcc_lo
	v_cmp_eq_u32_e32 vcc_lo, 7, v81
	v_cndmask_b32_e64 v66, v66, v72, s28
	v_cndmask_b32_e64 v72, v84, v96, s6
	v_cndmask_b32_e64 v84, v98, v88, s5
	v_lshrrev_b32_e32 v98, 16, v92
	v_cndmask_b32_e32 v70, v70, v100, vcc_lo
	v_cndmask_b32_e64 v86, v99, v92, s3
	v_cndmask_b32_e64 v69, v69, v100, s26
	v_lshrrev_b32_e32 v100, 16, v93
	v_cndmask_b32_e64 v72, v72, v89, s8
	v_lshrrev_b32_e32 v99, 16, v89
	v_cndmask_b32_e64 v86, v86, v98, s6
	v_perm_b32 v71, v69, v71, 0x5040100
	v_cndmask_b32_e64 v84, v84, v96, s7
	s_delay_alu instid0(VALU_DEP_3) | instskip(NEXT) | instid1(VALU_DEP_2)
	v_cndmask_b32_e64 v86, v86, v93, s8
	v_cndmask_b32_e64 v84, v84, v89, s10
	s_delay_alu instid0(VALU_DEP_2) | instskip(NEXT) | instid1(VALU_DEP_1)
	v_cndmask_b32_e64 v86, v86, v100, s9
	v_cndmask_b32_e64 v69, v86, v94, s11
	;; [unrolled: 1-line block ×5, first 2 shown]
	s_delay_alu instid0(VALU_DEP_3) | instskip(NEXT) | instid1(VALU_DEP_3)
	v_cndmask_b32_e64 v86, v86, v88, s16
	v_cndmask_b32_e64 v87, v87, v88, s22
	s_delay_alu instid0(VALU_DEP_3) | instskip(NEXT) | instid1(VALU_DEP_3)
	v_cndmask_b32_e64 v88, v95, v92, s22
	v_cndmask_b32_e64 v86, v86, v96, s18
	;; [unrolled: 3-line block ×7, first 2 shown]
	s_delay_alu instid0(VALU_DEP_3) | instskip(SKIP_2) | instid1(VALU_DEP_2)
	v_cndmask_b32_e64 v88, v88, v94, s28
	v_cndmask_b32_e32 v66, v66, v97, vcc_lo
	v_cndmask_b32_e64 v97, v72, v99, s9
	v_perm_b32 v72, v70, v66, 0x5040100
	v_perm_b32 v70, v83, v103, 0x5040100
	v_cndmask_b32_e64 v103, v91, v85, s4
	v_cndmask_b32_e64 v85, v91, v85, s2
	;; [unrolled: 1-line block ×4, first 2 shown]
	v_lshrrev_b32_e32 v97, 16, v90
	v_cndmask_b32_e64 v91, v103, v92, s16
	v_cndmask_b32_e64 v85, v85, v92, s5
	;; [unrolled: 1-line block ×3, first 2 shown]
	s_mov_b32 s2, exec_lo
	v_cndmask_b32_e64 v83, v84, v97, s13
	v_cndmask_b32_e64 v91, v91, v98, s18
	;; [unrolled: 1-line block ×3, first 2 shown]
	v_lshrrev_b32_e32 v84, 16, v94
	v_cndmask_b32_e64 v66, v66, v97, s17
	v_cndmask_b32_e64 v90, v86, v97, s26
	;; [unrolled: 1-line block ×4, first 2 shown]
	v_dual_cndmask_b32 v86, v87, v97 :: v_dual_cndmask_b32 v87, v88, v84
	v_cndmask_b32_e64 v91, v69, v84, s13
	s_delay_alu instid0(VALU_DEP_4) | instskip(NEXT) | instid1(VALU_DEP_4)
	v_cndmask_b32_e64 v89, v89, v100, s21
	v_cndmask_b32_e64 v85, v85, v100, s12
	v_perm_b32 v69, v102, v101, 0x5040100
	v_perm_b32 v86, v87, v86, 0x5040100
	;; [unrolled: 1-line block ×3, first 2 shown]
	v_cndmask_b32_e64 v89, v89, v94, s23
	v_cndmask_b32_e64 v85, v85, v94, s15
	s_mul_i32 s7, s35, 12
	s_delay_alu instid0(VALU_DEP_2) | instskip(NEXT) | instid1(VALU_DEP_2)
	v_cndmask_b32_e64 v88, v89, v84, s26
	v_cndmask_b32_e64 v89, v85, v84, s17
	s_delay_alu instid0(VALU_DEP_2) | instskip(NEXT) | instid1(VALU_DEP_2)
	v_perm_b32 v85, v88, v90, 0x5040100
	v_perm_b32 v84, v89, v66, 0x5040100
	ds_store_b128 v76, v[69:72]
	ds_store_b128 v76, v[83:86] offset:1024
	v_cmpx_gt_u32_e32 12, v0
	s_cbranch_execz .LBB1881_78
; %bb.77:
	s_mul_i32 s3, s7, s30
	s_load_b128 s[8:11], s[0:1], 0x58
	v_add3_u32 v69, s3, s29, v65
	s_delay_alu instid0(VALU_DEP_1) | instskip(NEXT) | instid1(VALU_DEP_1)
	v_mad_u64_u32 v[65:66], null, v69, s34, s[14:15]
	v_ashrrev_i32_e32 v66, 31, v65
	s_delay_alu instid0(VALU_DEP_1) | instskip(SKIP_1) | instid1(VALU_DEP_1)
	v_lshlrev_b64 v[65:66], 2, v[65:66]
	s_waitcnt lgkmcnt(0)
	v_add_co_u32 v69, vcc_lo, s10, v65
	s_delay_alu instid0(VALU_DEP_2)
	v_add_co_ci_u32_e32 v70, vcc_lo, s11, v66, vcc_lo
	v_add_co_u32 v65, vcc_lo, s8, v65
	v_add_co_ci_u32_e32 v66, vcc_lo, s9, v66, vcc_lo
	global_store_b32 v[69:70], v67, off
	global_store_b32 v[65:66], v68, off
.LBB1881_78:
	s_or_b32 exec_lo, exec_lo, s2
	s_waitcnt lgkmcnt(0)
	s_waitcnt_vscnt null, 0x0
	s_barrier
	buffer_gl0_inv
	ds_load_b128 v[83:86], v80
	ds_load_b128 v[87:90], v80 offset:16
	ds_load_b128 v[95:98], v80 offset:2064
	;; [unrolled: 1-line block ×3, first 2 shown]
	v_mov_b32_e32 v65, 0
	ds_load_b128 v[103:106], v80 offset:4112
	ds_load_b128 v[99:102], v80 offset:4096
	;; [unrolled: 1-line block ×4, first 2 shown]
	v_mov_b32_e32 v66, v65
	v_mov_b32_e32 v67, v65
	;; [unrolled: 1-line block ×7, first 2 shown]
	s_waitcnt lgkmcnt(6)
	s_delay_alu instid0(VALU_DEP_1)
	v_wmma_f32_16x16x16_bf16 v[65:72], v[49:56], v[83:90], v[65:72]
	ds_load_b128 v[53:56], v80 offset:8208
	ds_load_b128 v[49:52], v80 offset:8192
	s_waitcnt lgkmcnt(6)
	v_wmma_f32_16x16x16_bf16 v[65:72], v[41:48], v[91:98], v[65:72]
	ds_load_b128 v[45:48], v80 offset:10256
	ds_load_b128 v[41:44], v80 offset:10240
	s_waitcnt lgkmcnt(6)
	;; [unrolled: 4-line block ×4, first 2 shown]
	v_wmma_f32_16x16x16_bf16 v[65:72], v[1:8], v[49:56], v[65:72]
	s_waitcnt lgkmcnt(4)
	s_delay_alu instid0(VALU_DEP_1) | instskip(SKIP_1) | instid1(VALU_DEP_1)
	v_wmma_f32_16x16x16_bf16 v[65:72], v[9:16], v[41:48], v[65:72]
	s_waitcnt lgkmcnt(2)
	v_wmma_f32_16x16x16_bf16 v[65:72], v[17:24], v[33:40], v[65:72]
	s_waitcnt lgkmcnt(0)
	s_delay_alu instid0(VALU_DEP_1) | instskip(NEXT) | instid1(VALU_DEP_1)
	v_wmma_f32_16x16x16_bf16 v[65:72], v[57:64], v[25:32], v[65:72]
	v_and_b32_e32 v1, 0x7f800000, v65
	s_delay_alu instid0(VALU_DEP_1) | instskip(SKIP_1) | instid1(SALU_CYCLE_1)
	v_cmp_ne_u32_e32 vcc_lo, 0x7f800000, v1
                                        ; implicit-def: $vgpr1
	s_and_saveexec_b32 s2, vcc_lo
	s_xor_b32 s2, exec_lo, s2
; %bb.79:
	v_bfe_u32 v1, v65, 16, 1
	s_delay_alu instid0(VALU_DEP_1)
	v_add3_u32 v1, v65, v1, 0x7fff
; %bb.80:
	s_and_not1_saveexec_b32 s2, s2
; %bb.81:
	v_and_b32_e32 v1, 0xffff, v65
	v_or_b32_e32 v2, 0x10000, v65
	s_delay_alu instid0(VALU_DEP_2) | instskip(NEXT) | instid1(VALU_DEP_2)
	v_cmp_eq_u32_e32 vcc_lo, 0, v1
	v_cndmask_b32_e32 v1, v2, v65, vcc_lo
; %bb.82:
	s_or_b32 exec_lo, exec_lo, s2
	v_and_b32_e32 v2, 0x7f800000, v66
	s_delay_alu instid0(VALU_DEP_1) | instskip(SKIP_1) | instid1(SALU_CYCLE_1)
	v_cmp_ne_u32_e32 vcc_lo, 0x7f800000, v2
                                        ; implicit-def: $vgpr2
	s_and_saveexec_b32 s2, vcc_lo
	s_xor_b32 s2, exec_lo, s2
; %bb.83:
	v_bfe_u32 v2, v66, 16, 1
	s_delay_alu instid0(VALU_DEP_1)
	v_add3_u32 v2, v66, v2, 0x7fff
; %bb.84:
	s_and_not1_saveexec_b32 s2, s2
; %bb.85:
	v_and_b32_e32 v2, 0xffff, v66
	v_or_b32_e32 v3, 0x10000, v66
	s_delay_alu instid0(VALU_DEP_2) | instskip(NEXT) | instid1(VALU_DEP_2)
	v_cmp_eq_u32_e32 vcc_lo, 0, v2
	v_cndmask_b32_e32 v2, v3, v66, vcc_lo
; %bb.86:
	s_or_b32 exec_lo, exec_lo, s2
	v_and_b32_e32 v3, 0x7f800000, v67
	s_delay_alu instid0(VALU_DEP_1) | instskip(SKIP_1) | instid1(SALU_CYCLE_1)
	v_cmp_ne_u32_e32 vcc_lo, 0x7f800000, v3
                                        ; implicit-def: $vgpr3
	s_and_saveexec_b32 s2, vcc_lo
	s_xor_b32 s2, exec_lo, s2
; %bb.87:
	v_bfe_u32 v3, v67, 16, 1
	s_delay_alu instid0(VALU_DEP_1)
	v_add3_u32 v3, v67, v3, 0x7fff
; %bb.88:
	s_and_not1_saveexec_b32 s2, s2
; %bb.89:
	v_and_b32_e32 v3, 0xffff, v67
	v_or_b32_e32 v4, 0x10000, v67
	s_delay_alu instid0(VALU_DEP_2) | instskip(NEXT) | instid1(VALU_DEP_2)
	v_cmp_eq_u32_e32 vcc_lo, 0, v3
	v_cndmask_b32_e32 v3, v4, v67, vcc_lo
; %bb.90:
	s_or_b32 exec_lo, exec_lo, s2
	v_and_b32_e32 v4, 0x7f800000, v68
	s_delay_alu instid0(VALU_DEP_1) | instskip(SKIP_1) | instid1(SALU_CYCLE_1)
	v_cmp_ne_u32_e32 vcc_lo, 0x7f800000, v4
                                        ; implicit-def: $vgpr4
	s_and_saveexec_b32 s2, vcc_lo
	s_xor_b32 s2, exec_lo, s2
; %bb.91:
	v_bfe_u32 v4, v68, 16, 1
	s_delay_alu instid0(VALU_DEP_1)
	v_add3_u32 v4, v68, v4, 0x7fff
; %bb.92:
	s_and_not1_saveexec_b32 s2, s2
; %bb.93:
	v_and_b32_e32 v4, 0xffff, v68
	v_or_b32_e32 v5, 0x10000, v68
	s_delay_alu instid0(VALU_DEP_2) | instskip(NEXT) | instid1(VALU_DEP_2)
	v_cmp_eq_u32_e32 vcc_lo, 0, v4
	v_cndmask_b32_e32 v4, v5, v68, vcc_lo
; %bb.94:
	s_or_b32 exec_lo, exec_lo, s2
	v_and_b32_e32 v5, 0x7f800000, v69
	s_delay_alu instid0(VALU_DEP_1) | instskip(SKIP_1) | instid1(SALU_CYCLE_1)
	v_cmp_ne_u32_e32 vcc_lo, 0x7f800000, v5
                                        ; implicit-def: $vgpr5
	s_and_saveexec_b32 s2, vcc_lo
	s_xor_b32 s2, exec_lo, s2
; %bb.95:
	v_bfe_u32 v5, v69, 16, 1
	s_delay_alu instid0(VALU_DEP_1)
	v_add3_u32 v5, v69, v5, 0x7fff
; %bb.96:
	s_and_not1_saveexec_b32 s2, s2
; %bb.97:
	v_and_b32_e32 v5, 0xffff, v69
	v_or_b32_e32 v6, 0x10000, v69
	s_delay_alu instid0(VALU_DEP_2) | instskip(NEXT) | instid1(VALU_DEP_2)
	v_cmp_eq_u32_e32 vcc_lo, 0, v5
	v_cndmask_b32_e32 v5, v6, v69, vcc_lo
; %bb.98:
	s_or_b32 exec_lo, exec_lo, s2
	v_and_b32_e32 v6, 0x7f800000, v70
	s_delay_alu instid0(VALU_DEP_1) | instskip(SKIP_1) | instid1(SALU_CYCLE_1)
	v_cmp_ne_u32_e32 vcc_lo, 0x7f800000, v6
                                        ; implicit-def: $vgpr6
	s_and_saveexec_b32 s2, vcc_lo
	s_xor_b32 s2, exec_lo, s2
; %bb.99:
	v_bfe_u32 v6, v70, 16, 1
	s_delay_alu instid0(VALU_DEP_1)
	v_add3_u32 v6, v70, v6, 0x7fff
; %bb.100:
	s_and_not1_saveexec_b32 s2, s2
; %bb.101:
	v_and_b32_e32 v6, 0xffff, v70
	v_or_b32_e32 v7, 0x10000, v70
	s_delay_alu instid0(VALU_DEP_2) | instskip(NEXT) | instid1(VALU_DEP_2)
	v_cmp_eq_u32_e32 vcc_lo, 0, v6
	v_cndmask_b32_e32 v6, v7, v70, vcc_lo
; %bb.102:
	s_or_b32 exec_lo, exec_lo, s2
	v_and_b32_e32 v7, 0x7f800000, v71
	s_delay_alu instid0(VALU_DEP_1) | instskip(SKIP_1) | instid1(SALU_CYCLE_1)
	v_cmp_ne_u32_e32 vcc_lo, 0x7f800000, v7
                                        ; implicit-def: $vgpr7
	s_and_saveexec_b32 s2, vcc_lo
	s_xor_b32 s2, exec_lo, s2
; %bb.103:
	v_bfe_u32 v7, v71, 16, 1
	s_delay_alu instid0(VALU_DEP_1)
	v_add3_u32 v7, v71, v7, 0x7fff
; %bb.104:
	s_and_not1_saveexec_b32 s2, s2
; %bb.105:
	v_and_b32_e32 v7, 0xffff, v71
	v_or_b32_e32 v8, 0x10000, v71
	s_delay_alu instid0(VALU_DEP_2) | instskip(NEXT) | instid1(VALU_DEP_2)
	v_cmp_eq_u32_e32 vcc_lo, 0, v7
	v_cndmask_b32_e32 v7, v8, v71, vcc_lo
; %bb.106:
	s_or_b32 exec_lo, exec_lo, s2
	v_and_b32_e32 v8, 0x7f800000, v72
	s_delay_alu instid0(VALU_DEP_1) | instskip(SKIP_1) | instid1(SALU_CYCLE_1)
	v_cmp_ne_u32_e32 vcc_lo, 0x7f800000, v8
                                        ; implicit-def: $vgpr8
	s_and_saveexec_b32 s2, vcc_lo
	s_xor_b32 s2, exec_lo, s2
; %bb.107:
	v_bfe_u32 v8, v72, 16, 1
	s_delay_alu instid0(VALU_DEP_1)
	v_add3_u32 v8, v72, v8, 0x7fff
                                        ; implicit-def: $vgpr65_vgpr66_vgpr67_vgpr68_vgpr69_vgpr70_vgpr71_vgpr72
; %bb.108:
	s_and_not1_saveexec_b32 s2, s2
; %bb.109:
	v_and_b32_e32 v8, 0xffff, v72
	v_or_b32_e32 v9, 0x10000, v72
	s_delay_alu instid0(VALU_DEP_2) | instskip(NEXT) | instid1(VALU_DEP_2)
	v_cmp_eq_u32_e32 vcc_lo, 0, v8
	v_cndmask_b32_e32 v8, v9, v72, vcc_lo
; %bb.110:
	s_or_b32 exec_lo, exec_lo, s2
	s_delay_alu instid0(VALU_DEP_1)
	v_perm_b32 v7, v8, v7, 0x7060302
	v_perm_b32 v6, v6, v5, 0x7060302
	;; [unrolled: 1-line block ×4, first 2 shown]
	s_barrier
	buffer_gl0_inv
	v_cmp_eq_u32_e32 vcc_lo, 1, v78
	ds_store_b128 v76, v[4:7]
	s_waitcnt lgkmcnt(0)
	s_barrier
	buffer_gl0_inv
	ds_load_b128 v[1:4], v82
	ds_load_b128 v[5:8], v82 offset:16
	v_cmp_eq_u32_e64 s2, 1, v79
	v_cmp_eq_u32_e64 s3, 2, v78
	;; [unrolled: 1-line block ×5, first 2 shown]
	s_waitcnt lgkmcnt(1)
	v_lshrrev_b32_e32 v9, 16, v1
	s_waitcnt lgkmcnt(0)
	v_lshrrev_b32_e32 v13, 16, v5
	v_lshrrev_b32_e32 v10, 16, v2
	;; [unrolled: 1-line block ×4, first 2 shown]
	v_cndmask_b32_e64 v19, v1, v9, s2
	v_cndmask_b32_e32 v18, v5, v13, vcc_lo
	v_cndmask_b32_e64 v20, v5, v13, s2
	v_cndmask_b32_e32 v17, v1, v9, vcc_lo
	v_cmp_eq_u32_e32 vcc_lo, 2, v79
	v_lshrrev_b32_e32 v15, 16, v7
	v_cmp_eq_u32_e64 s2, 1, v77
	v_lshrrev_b32_e32 v12, 16, v4
	v_lshrrev_b32_e32 v16, 16, v8
	v_cndmask_b32_e32 v20, v20, v6, vcc_lo
	v_cndmask_b32_e64 v17, v17, v2, s3
	v_cndmask_b32_e32 v19, v19, v2, vcc_lo
	v_cndmask_b32_e64 v18, v18, v6, s3
	v_cmp_eq_u32_e32 vcc_lo, 4, v78
	v_cmp_eq_u32_e64 s3, 3, v79
	v_cndmask_b32_e64 v17, v17, v10, s4
	v_cndmask_b32_e64 v21, v1, v9, s2
	;; [unrolled: 1-line block ×5, first 2 shown]
	v_cndmask_b32_e32 v17, v17, v3, vcc_lo
	v_cndmask_b32_e64 v20, v20, v14, s3
	v_cndmask_b32_e32 v18, v18, v7, vcc_lo
	v_cmp_eq_u32_e32 vcc_lo, 4, v79
	v_cmp_eq_u32_e64 s3, 5, v79
	v_cmp_eq_u32_e64 s2, 2, v81
	v_cndmask_b32_e64 v21, v21, v2, s6
	v_cmp_eq_u32_e64 s4, 5, v78
	v_cndmask_b32_e32 v19, v19, v3, vcc_lo
	v_cndmask_b32_e32 v20, v20, v7, vcc_lo
	v_cmp_eq_u32_e32 vcc_lo, 6, v79
	s_delay_alu instid0(VALU_DEP_4) | instskip(NEXT) | instid1(VALU_DEP_4)
	v_cndmask_b32_e64 v17, v17, v11, s4
	v_cndmask_b32_e64 v19, v19, v11, s3
	s_delay_alu instid0(VALU_DEP_4) | instskip(SKIP_1) | instid1(VALU_DEP_3)
	v_cndmask_b32_e64 v20, v20, v15, s3
	v_cmp_eq_u32_e64 s3, 1, v81
	v_cndmask_b32_e32 v19, v19, v4, vcc_lo
	v_cndmask_b32_e64 v18, v18, v15, s4
	s_delay_alu instid0(VALU_DEP_3)
	v_cndmask_b32_e64 v1, v1, v9, s3
	v_cndmask_b32_e64 v5, v5, v13, s3
	v_cmp_eq_u32_e64 s3, 3, v77
	v_cndmask_b32_e64 v13, v22, v6, s6
	v_cmp_eq_u32_e64 s6, 3, v81
	v_cndmask_b32_e64 v1, v1, v2, s2
	v_cndmask_b32_e64 v2, v5, v6, s2
	;; [unrolled: 1-line block ×3, first 2 shown]
	v_cmp_eq_u32_e64 s2, 4, v77
	v_cndmask_b32_e64 v6, v13, v14, s3
	v_cndmask_b32_e64 v1, v1, v10, s6
	v_cmp_eq_u32_e64 s3, 4, v81
	v_cndmask_b32_e64 v2, v2, v14, s6
	v_cndmask_b32_e64 v5, v9, v3, s2
	;; [unrolled: 3-line block ×3, first 2 shown]
	v_cndmask_b32_e64 v2, v2, v7, s3
	v_cmp_eq_u32_e64 s2, 5, v81
	v_cmp_eq_u32_e64 s4, 6, v78
	v_cndmask_b32_e64 v5, v5, v11, s6
	v_cmp_eq_u32_e64 s3, 6, v77
	v_cndmask_b32_e64 v3, v6, v15, s6
	v_cndmask_b32_e64 v1, v1, v11, s2
	v_cmp_eq_u32_e64 s6, 6, v81
	v_cndmask_b32_e64 v2, v2, v15, s2
	v_cndmask_b32_e64 v17, v17, v4, s4
	v_cndmask_b32_e64 v18, v18, v8, s4
	v_cmp_eq_u32_e64 s4, 7, v78
	v_cndmask_b32_e64 v5, v5, v4, s3
	;; [unrolled: 4-line block ×3, first 2 shown]
	v_cmp_eq_u32_e64 s3, 7, v77
	v_cndmask_b32_e32 v4, v20, v8, vcc_lo
	v_cndmask_b32_e64 v17, v17, v12, s4
	v_cndmask_b32_e64 v19, v19, v12, s5
	;; [unrolled: 1-line block ×8, first 2 shown]
	s_mov_b32 s2, exec_lo
	v_perm_b32 v4, v2, v1, 0x5040100
	v_perm_b32 v3, v3, v5, 0x5040100
	;; [unrolled: 1-line block ×4, first 2 shown]
	ds_store_b128 v76, v[1:4]
	s_waitcnt lgkmcnt(0)
	s_barrier
	buffer_gl0_inv
	v_cmpx_gt_u32_e32 32, v0
	s_cbranch_execz .LBB1881_2
; %bb.111:
	s_load_b64 s[0:1], s[0:1], 0x68
	v_lshlrev_b32_e32 v0, 10, v0
	s_lshl_b32 s4, s34, 7
	v_or_b32_e32 v3, s29, v74
	s_mul_i32 s2, s4, s30
	v_lshlrev_b32_e32 v1, 4, v75
	s_mul_i32 s2, s2, s7
	v_lshlrev_b32_e32 v2, 6, v74
	v_and_b32_e32 v0, 0x3800, v0
	s_ashr_i32 s3, s2, 31
	v_mul_lo_u32 v4, v3, s4
	s_lshl_b64 s[2:3], s[2:3], 1
	s_delay_alu instid0(VALU_DEP_2) | instskip(NEXT) | instid1(VALU_DEP_2)
	v_or3_b32 v16, v0, v1, v2
	v_ashrrev_i32_e32 v5, 31, v4
	ds_load_b128 v[0:3], v16
	s_waitcnt lgkmcnt(0)
	s_add_u32 s2, s0, s2
	s_addc_u32 s3, s1, s3
	s_lshl_b32 s0, s14, 7
	v_lshlrev_b64 v[5:6], 1, v[4:5]
	s_ashr_i32 s1, s0, 31
	s_delay_alu instid0(SALU_CYCLE_1) | instskip(NEXT) | instid1(SALU_CYCLE_1)
	s_lshl_b64 s[0:1], s[0:1], 1
	s_add_u32 s0, s2, s0
	s_addc_u32 s1, s3, s1
	s_lshl_b32 s2, s34, 8
	v_add_co_u32 v30, s0, s0, v73
	v_add_nc_u32_e32 v8, s2, v4
	v_add_co_ci_u32_e64 v31, null, s1, 0, s0
	s_delay_alu instid0(VALU_DEP_3) | instskip(NEXT) | instid1(VALU_DEP_3)
	v_add_co_u32 v12, vcc_lo, v30, v5
	v_add_nc_u32_e32 v10, s2, v8
	v_ashrrev_i32_e32 v9, 31, v8
	s_delay_alu instid0(VALU_DEP_4)
	v_add_co_ci_u32_e32 v13, vcc_lo, v31, v6, vcc_lo
	ds_load_b128 v[4:7], v16 offset:128
	v_ashrrev_i32_e32 v11, 31, v10
	v_lshlrev_b64 v[8:9], 1, v[8:9]
	v_add_nc_u32_e32 v14, s2, v10
	global_store_b128 v[12:13], v[0:3], off
	v_lshlrev_b64 v[0:1], 1, v[10:11]
	v_ashrrev_i32_e32 v15, 31, v14
	v_add_co_u32 v22, vcc_lo, v30, v8
	v_add_nc_u32_e32 v20, s2, v14
	v_add_co_ci_u32_e32 v23, vcc_lo, v31, v9, vcc_lo
	v_add_co_u32 v26, vcc_lo, v30, v0
	v_lshlrev_b64 v[24:25], 1, v[14:15]
	v_add_co_ci_u32_e32 v27, vcc_lo, v31, v1, vcc_lo
	ds_load_b128 v[0:3], v16 offset:256
	ds_load_b128 v[8:11], v16 offset:384
	;; [unrolled: 1-line block ×4, first 2 shown]
	v_add_nc_u32_e32 v28, s2, v20
	v_ashrrev_i32_e32 v21, 31, v20
	v_add_co_u32 v24, vcc_lo, v30, v24
	v_add_co_ci_u32_e32 v25, vcc_lo, v31, v25, vcc_lo
	s_delay_alu instid0(VALU_DEP_4) | instskip(NEXT) | instid1(VALU_DEP_4)
	v_ashrrev_i32_e32 v29, 31, v28
	v_lshlrev_b64 v[20:21], 1, v[20:21]
	s_delay_alu instid0(VALU_DEP_2) | instskip(NEXT) | instid1(VALU_DEP_2)
	v_lshlrev_b64 v[28:29], 1, v[28:29]
	v_add_co_u32 v20, vcc_lo, v30, v20
	s_delay_alu instid0(VALU_DEP_3) | instskip(NEXT) | instid1(VALU_DEP_3)
	v_add_co_ci_u32_e32 v21, vcc_lo, v31, v21, vcc_lo
	v_add_co_u32 v28, vcc_lo, v30, v28
	s_delay_alu instid0(VALU_DEP_4)
	v_add_co_ci_u32_e32 v29, vcc_lo, v31, v29, vcc_lo
	s_waitcnt lgkmcnt(4)
	global_store_b128 v[22:23], v[4:7], off
	s_waitcnt lgkmcnt(3)
	global_store_b128 v[26:27], v[0:3], off
	s_waitcnt lgkmcnt(2)
	global_store_b128 v[24:25], v[8:11], off
	s_waitcnt lgkmcnt(1)
	global_store_b128 v[20:21], v[12:15], off
	s_waitcnt lgkmcnt(0)
	global_store_b128 v[28:29], v[16:19], off
	s_nop 0
	s_sendmsg sendmsg(MSG_DEALLOC_VGPRS)
	s_endpgm
	.section	.rodata,"a",@progbits
	.p2align	6, 0x0
	.amdhsa_kernel _Z39paged_attention_ll4mi_QKV_mfma16_kernelI14__hip_bfloat16hLN4vllm18Fp8KVCacheDataTypeE1EhLi32ELi128ELi256ELb0ELi12EL8MFMAType0EEvPKT_PKT0_S9_ifPKiSB_SB_iPKfiiiPfSE_PS4_PT2_iSD_SD_
		.amdhsa_group_segment_fixed_size 17472
		.amdhsa_private_segment_fixed_size 0
		.amdhsa_kernarg_size 400
		.amdhsa_user_sgpr_count 13
		.amdhsa_user_sgpr_dispatch_ptr 0
		.amdhsa_user_sgpr_queue_ptr 0
		.amdhsa_user_sgpr_kernarg_segment_ptr 1
		.amdhsa_user_sgpr_dispatch_id 0
		.amdhsa_user_sgpr_private_segment_size 0
		.amdhsa_wavefront_size32 1
		.amdhsa_uses_dynamic_stack 0
		.amdhsa_enable_private_segment 0
		.amdhsa_system_sgpr_workgroup_id_x 1
		.amdhsa_system_sgpr_workgroup_id_y 1
		.amdhsa_system_sgpr_workgroup_id_z 1
		.amdhsa_system_sgpr_workgroup_info 0
		.amdhsa_system_vgpr_workitem_id 0
		.amdhsa_next_free_vgpr 140
		.amdhsa_next_free_sgpr 36
		.amdhsa_reserve_vcc 1
		.amdhsa_float_round_mode_32 0
		.amdhsa_float_round_mode_16_64 0
		.amdhsa_float_denorm_mode_32 3
		.amdhsa_float_denorm_mode_16_64 3
		.amdhsa_dx10_clamp 1
		.amdhsa_ieee_mode 1
		.amdhsa_fp16_overflow 0
		.amdhsa_workgroup_processor_mode 1
		.amdhsa_memory_ordered 1
		.amdhsa_forward_progress 0
		.amdhsa_shared_vgpr_count 0
		.amdhsa_exception_fp_ieee_invalid_op 0
		.amdhsa_exception_fp_denorm_src 0
		.amdhsa_exception_fp_ieee_div_zero 0
		.amdhsa_exception_fp_ieee_overflow 0
		.amdhsa_exception_fp_ieee_underflow 0
		.amdhsa_exception_fp_ieee_inexact 0
		.amdhsa_exception_int_div_zero 0
	.end_amdhsa_kernel
	.section	.text._Z39paged_attention_ll4mi_QKV_mfma16_kernelI14__hip_bfloat16hLN4vllm18Fp8KVCacheDataTypeE1EhLi32ELi128ELi256ELb0ELi12EL8MFMAType0EEvPKT_PKT0_S9_ifPKiSB_SB_iPKfiiiPfSE_PS4_PT2_iSD_SD_,"axG",@progbits,_Z39paged_attention_ll4mi_QKV_mfma16_kernelI14__hip_bfloat16hLN4vllm18Fp8KVCacheDataTypeE1EhLi32ELi128ELi256ELb0ELi12EL8MFMAType0EEvPKT_PKT0_S9_ifPKiSB_SB_iPKfiiiPfSE_PS4_PT2_iSD_SD_,comdat
.Lfunc_end1881:
	.size	_Z39paged_attention_ll4mi_QKV_mfma16_kernelI14__hip_bfloat16hLN4vllm18Fp8KVCacheDataTypeE1EhLi32ELi128ELi256ELb0ELi12EL8MFMAType0EEvPKT_PKT0_S9_ifPKiSB_SB_iPKfiiiPfSE_PS4_PT2_iSD_SD_, .Lfunc_end1881-_Z39paged_attention_ll4mi_QKV_mfma16_kernelI14__hip_bfloat16hLN4vllm18Fp8KVCacheDataTypeE1EhLi32ELi128ELi256ELb0ELi12EL8MFMAType0EEvPKT_PKT0_S9_ifPKiSB_SB_iPKfiiiPfSE_PS4_PT2_iSD_SD_
                                        ; -- End function
	.section	.AMDGPU.csdata,"",@progbits
; Kernel info:
; codeLenInByte = 9000
; NumSgprs: 38
; NumVgprs: 140
; ScratchSize: 0
; MemoryBound: 0
; FloatMode: 240
; IeeeMode: 1
; LDSByteSize: 17472 bytes/workgroup (compile time only)
; SGPRBlocks: 4
; VGPRBlocks: 17
; NumSGPRsForWavesPerEU: 38
; NumVGPRsForWavesPerEU: 140
; Occupancy: 10
; WaveLimiterHint : 1
; COMPUTE_PGM_RSRC2:SCRATCH_EN: 0
; COMPUTE_PGM_RSRC2:USER_SGPR: 13
; COMPUTE_PGM_RSRC2:TRAP_HANDLER: 0
; COMPUTE_PGM_RSRC2:TGID_X_EN: 1
; COMPUTE_PGM_RSRC2:TGID_Y_EN: 1
; COMPUTE_PGM_RSRC2:TGID_Z_EN: 1
; COMPUTE_PGM_RSRC2:TIDIG_COMP_CNT: 0
	.section	.text._Z39paged_attention_ll4mi_QKV_mfma16_kernelI14__hip_bfloat16hLN4vllm18Fp8KVCacheDataTypeE1EhLi32ELi128ELi256ELb0ELi13EL8MFMAType0EEvPKT_PKT0_S9_ifPKiSB_SB_iPKfiiiPfSE_PS4_PT2_iSD_SD_,"axG",@progbits,_Z39paged_attention_ll4mi_QKV_mfma16_kernelI14__hip_bfloat16hLN4vllm18Fp8KVCacheDataTypeE1EhLi32ELi128ELi256ELb0ELi13EL8MFMAType0EEvPKT_PKT0_S9_ifPKiSB_SB_iPKfiiiPfSE_PS4_PT2_iSD_SD_,comdat
	.protected	_Z39paged_attention_ll4mi_QKV_mfma16_kernelI14__hip_bfloat16hLN4vllm18Fp8KVCacheDataTypeE1EhLi32ELi128ELi256ELb0ELi13EL8MFMAType0EEvPKT_PKT0_S9_ifPKiSB_SB_iPKfiiiPfSE_PS4_PT2_iSD_SD_ ; -- Begin function _Z39paged_attention_ll4mi_QKV_mfma16_kernelI14__hip_bfloat16hLN4vllm18Fp8KVCacheDataTypeE1EhLi32ELi128ELi256ELb0ELi13EL8MFMAType0EEvPKT_PKT0_S9_ifPKiSB_SB_iPKfiiiPfSE_PS4_PT2_iSD_SD_
	.globl	_Z39paged_attention_ll4mi_QKV_mfma16_kernelI14__hip_bfloat16hLN4vllm18Fp8KVCacheDataTypeE1EhLi32ELi128ELi256ELb0ELi13EL8MFMAType0EEvPKT_PKT0_S9_ifPKiSB_SB_iPKfiiiPfSE_PS4_PT2_iSD_SD_
	.p2align	8
	.type	_Z39paged_attention_ll4mi_QKV_mfma16_kernelI14__hip_bfloat16hLN4vllm18Fp8KVCacheDataTypeE1EhLi32ELi128ELi256ELb0ELi13EL8MFMAType0EEvPKT_PKT0_S9_ifPKiSB_SB_iPKfiiiPfSE_PS4_PT2_iSD_SD_,@function
_Z39paged_attention_ll4mi_QKV_mfma16_kernelI14__hip_bfloat16hLN4vllm18Fp8KVCacheDataTypeE1EhLi32ELi128ELi256ELb0ELi13EL8MFMAType0EEvPKT_PKT0_S9_ifPKiSB_SB_iPKfiiiPfSE_PS4_PT2_iSD_SD_: ; @_Z39paged_attention_ll4mi_QKV_mfma16_kernelI14__hip_bfloat16hLN4vllm18Fp8KVCacheDataTypeE1EhLi32ELi128ELi256ELb0ELi13EL8MFMAType0EEvPKT_PKT0_S9_ifPKiSB_SB_iPKfiiiPfSE_PS4_PT2_iSD_SD_
; %bb.0:
	s_load_b64 s[4:5], s[0:1], 0x30
	s_mov_b32 s30, s13
	s_waitcnt lgkmcnt(0)
	s_cmp_lg_u64 s[4:5], 0
	s_cselect_b32 s13, -1, 0
	s_ashr_i32 s31, s30, 31
	s_cmp_eq_u64 s[4:5], 0
	s_cbranch_scc1 .LBB1882_3
; %bb.1:
	s_lshl_b64 s[2:3], s[30:31], 2
	s_delay_alu instid0(SALU_CYCLE_1) | instskip(SKIP_4) | instid1(SALU_CYCLE_1)
	s_add_u32 s2, s4, s2
	s_addc_u32 s3, s5, s3
	s_load_b64 s[2:3], s[2:3], 0x0
	s_waitcnt lgkmcnt(0)
	s_sub_i32 s2, s3, s2
	s_cmp_eq_u32 s2, 1
	s_cselect_b32 s2, -1, 0
	s_delay_alu instid0(SALU_CYCLE_1)
	s_and_not1_b32 vcc_lo, exec_lo, s2
	s_cbranch_vccz .LBB1882_4
.LBB1882_2:
	s_nop 0
	s_sendmsg sendmsg(MSG_DEALLOC_VGPRS)
	s_endpgm
.LBB1882_3:
.LBB1882_4:
	s_load_b64 s[2:3], s[0:1], 0x28
	s_lshl_b64 s[6:7], s[30:31], 2
	s_waitcnt lgkmcnt(0)
	s_add_u32 s2, s2, s6
	s_addc_u32 s3, s3, s7
	s_lshl_b32 s12, s14, 8
	s_load_b32 s17, s[2:3], 0x0
	s_waitcnt lgkmcnt(0)
	s_cmp_ge_i32 s12, s17
	s_cbranch_scc1 .LBB1882_2
; %bb.5:
	s_clause 0x1
	s_load_b128 s[8:11], s[0:1], 0x8
	s_load_b64 s[2:3], s[0:1], 0x20
	s_and_not1_b32 vcc_lo, exec_lo, s13
	s_cbranch_vccnz .LBB1882_7
; %bb.6:
	s_add_u32 s4, s4, s6
	s_addc_u32 s5, s5, s7
	s_load_b32 s13, s[4:5], 0x0
	s_branch .LBB1882_8
.LBB1882_7:
	s_mov_b32 s13, s30
.LBB1882_8:
	s_load_b128 s[4:7], s[0:1], 0x48
	v_and_b32_e32 v65, 15, v0
	v_lshrrev_b32_e32 v66, 5, v0
	v_bfe_u32 v74, v0, 4, 1
	v_and_b32_e32 v67, 31, v0
	v_and_b32_e32 v75, 1, v0
	v_lshlrev_b32_e32 v2, 3, v65
	s_mul_i32 s31, s15, 13
	v_lshl_or_b32 v1, v66, 1, v74
	s_waitcnt lgkmcnt(0)
	s_mov_b32 s7, exec_lo
	v_lshlrev_b32_e32 v73, 1, v2
	s_delay_alu instid0(VALU_DEP_2)
	v_cmpx_gt_u32_e32 13, v1
	s_cbranch_execz .LBB1882_10
; %bb.9:
	s_load_b64 s[18:19], s[0:1], 0x0
	v_add_lshl_u32 v2, v1, s31, 7
	s_mul_hi_i32 s21, s13, s4
	s_mul_i32 s20, s13, s4
	v_lshlrev_b32_e32 v6, 10, v65
	s_lshl_b64 s[20:21], s[20:21], 1
	v_ashrrev_i32_e32 v3, 31, v2
	v_lshlrev_b32_e32 v1, 6, v1
	v_lshlrev_b32_e32 v7, 10, v75
	v_and_b32_e32 v6, 0x3800, v6
	s_delay_alu instid0(VALU_DEP_4) | instskip(NEXT) | instid1(VALU_DEP_2)
	v_lshlrev_b64 v[2:3], 1, v[2:3]
	v_or3_b32 v1, v6, v7, v1
	s_waitcnt lgkmcnt(0)
	s_add_u32 s4, s18, s20
	s_addc_u32 s13, s19, s21
	s_delay_alu instid0(VALU_DEP_2) | instskip(SKIP_1) | instid1(VALU_DEP_2)
	v_add_co_u32 v2, vcc_lo, s4, v2
	v_add_co_ci_u32_e32 v3, vcc_lo, s13, v3, vcc_lo
	v_add_co_u32 v2, vcc_lo, v2, v73
	s_delay_alu instid0(VALU_DEP_2)
	v_add_co_ci_u32_e32 v3, vcc_lo, 0, v3, vcc_lo
	global_load_b128 v[2:5], v[2:3], off
	s_waitcnt vmcnt(0)
	ds_store_b128 v1, v[2:5]
.LBB1882_10:
	s_or_b32 exec_lo, exec_lo, s7
	v_and_b32_e32 v1, 0xef, v0
	s_add_i32 s4, s17, 31
	s_clause 0x1
	s_load_b32 s7, s[0:1], 0x38
	s_load_b32 s18, s[0:1], 0x1c
	s_ashr_i32 s13, s4, 31
	v_add_nc_u32_e32 v1, s12, v1
	s_lshr_b32 s13, s13, 27
	s_waitcnt lgkmcnt(0)
	s_add_i32 s4, s4, s13
	s_barrier
	v_ashrrev_i32_e32 v2, 31, v1
	v_or_b32_e32 v3, 16, v1
	s_ashr_i32 s4, s4, 5
	v_cmp_gt_i32_e32 vcc_lo, s17, v1
	s_add_i32 s4, s4, -1
	v_lshrrev_b32_e32 v2, 27, v2
	buffer_gl0_inv
	s_mul_i32 s15, s15, s6
	v_add_nc_u32_e32 v4, v1, v2
	s_mul_i32 s20, s30, s7
	s_delay_alu instid0(SALU_CYCLE_1) | instskip(NEXT) | instid1(VALU_DEP_1)
	s_ashr_i32 s21, s20, 31
	v_ashrrev_i32_e32 v4, 5, v4
	v_add_nc_u32_e32 v2, v3, v2
	s_lshl_b64 s[20:21], s[20:21], 2
	s_delay_alu instid0(SALU_CYCLE_1) | instskip(NEXT) | instid1(VALU_DEP_2)
	s_add_u32 s13, s2, s20
	v_cndmask_b32_e32 v1, s4, v4, vcc_lo
	s_delay_alu instid0(VALU_DEP_2)
	v_ashrrev_i32_e32 v2, 5, v2
	v_cmp_gt_i32_e32 vcc_lo, s17, v3
	s_addc_u32 s16, s3, s21
	s_ashr_i32 s19, s15, 31
	s_add_u32 s2, s8, s15
	s_addc_u32 s3, s9, s19
	v_cndmask_b32_e32 v3, s4, v2, vcc_lo
	v_ashrrev_i32_e32 v2, 31, v1
	s_lshl_b32 s6, s14, 3
	s_delay_alu instid0(SALU_CYCLE_1) | instskip(NEXT) | instid1(VALU_DEP_2)
	s_ashr_i32 s7, s6, 31
	v_ashrrev_i32_e32 v4, 31, v3
	s_delay_alu instid0(VALU_DEP_2) | instskip(SKIP_1) | instid1(SALU_CYCLE_1)
	v_lshlrev_b64 v[1:2], 2, v[1:2]
	s_lshl_b64 s[6:7], s[6:7], 2
	s_add_u32 s6, s13, s6
	s_delay_alu instid0(VALU_DEP_2) | instskip(SKIP_1) | instid1(VALU_DEP_2)
	v_lshlrev_b64 v[3:4], 2, v[3:4]
	s_addc_u32 s7, s16, s7
	v_add_co_u32 v1, vcc_lo, s13, v1
	v_add_co_ci_u32_e32 v2, vcc_lo, s16, v2, vcc_lo
	s_delay_alu instid0(VALU_DEP_3) | instskip(NEXT) | instid1(VALU_DEP_4)
	v_add_co_u32 v3, vcc_lo, s13, v3
	v_add_co_ci_u32_e32 v4, vcc_lo, s16, v4, vcc_lo
	s_clause 0x1
	global_load_b32 v5, v[1:2], off
	global_load_b32 v6, v[3:4], off
	s_or_b32 s8, s12, 32
	s_delay_alu instid0(SALU_CYCLE_1) | instskip(SKIP_2) | instid1(SALU_CYCLE_1)
	s_ashr_i32 s9, s8, 5
	s_cmp_lt_i32 s8, s17
	s_cselect_b32 s8, s9, s4
	s_ashr_i32 s9, s8, 31
	s_delay_alu instid0(SALU_CYCLE_1) | instskip(NEXT) | instid1(SALU_CYCLE_1)
	s_lshl_b64 s[8:9], s[8:9], 2
	s_add_u32 s8, s13, s8
	s_addc_u32 s9, s16, s9
	s_or_b32 s20, s12, 64
	s_delay_alu instid0(SALU_CYCLE_1) | instskip(SKIP_2) | instid1(SALU_CYCLE_1)
	s_ashr_i32 s21, s20, 5
	s_cmp_lt_i32 s20, s17
	s_cselect_b32 s20, s21, s4
	s_ashr_i32 s21, s20, 31
	s_delay_alu instid0(SALU_CYCLE_1) | instskip(NEXT) | instid1(SALU_CYCLE_1)
	s_lshl_b64 s[20:21], s[20:21], 2
	s_add_u32 s20, s13, s20
	s_addc_u32 s21, s16, s21
	;; [unrolled: 10-line block ×5, first 2 shown]
	s_clause 0x5
	s_load_b32 s28, s[6:7], 0x0
	s_load_b32 s8, s[8:9], 0x0
	;; [unrolled: 1-line block ×6, first 2 shown]
	s_mov_b32 s20, 0
	s_delay_alu instid0(SALU_CYCLE_1)
	s_mov_b32 s21, s20
	s_mov_b32 s22, s20
	;; [unrolled: 1-line block ×7, first 2 shown]
	s_delay_alu instid0(SALU_CYCLE_1)
	v_dual_mov_b32 v107, s27 :: v_dual_mov_b32 v106, s26
	v_dual_mov_b32 v104, s24 :: v_dual_mov_b32 v103, s23
	v_dual_mov_b32 v101, s21 :: v_dual_mov_b32 v102, s22
	v_mov_b32_e32 v100, s20
	s_waitcnt vmcnt(1)
	v_mad_i64_i32 v[1:2], null, v5, s5, s[2:3]
	v_lshlrev_b32_e32 v5, 4, v65
	s_waitcnt vmcnt(0)
	v_mad_i64_i32 v[3:4], null, v6, s5, s[2:3]
	s_or_b32 s2, s12, 0xc0
	s_delay_alu instid0(SALU_CYCLE_1) | instskip(NEXT) | instid1(VALU_DEP_3)
	s_ashr_i32 s3, s2, 5
	v_add_co_u32 v33, vcc_lo, v1, v5
	s_delay_alu instid0(VALU_DEP_4) | instskip(NEXT) | instid1(VALU_DEP_3)
	v_add_co_ci_u32_e32 v34, vcc_lo, 0, v2, vcc_lo
	v_add_co_u32 v35, vcc_lo, v3, v5
	s_delay_alu instid0(VALU_DEP_4)
	v_add_co_ci_u32_e32 v36, vcc_lo, 0, v4, vcc_lo
	s_clause 0xf
	global_load_b128 v[1:4], v[33:34], off
	global_load_b128 v[5:8], v[33:34], off offset:512
	global_load_b128 v[9:12], v[35:36], off offset:256
	;; [unrolled: 1-line block ×15, first 2 shown]
	s_cmp_lt_i32 s2, s17
	v_add_nc_u32_e32 v33, -13, v65
	s_cselect_b32 s2, s3, s4
	v_cmp_gt_u32_e32 vcc_lo, 13, v65
	s_ashr_i32 s3, s2, 31
	v_lshlrev_b32_e32 v34, 5, v65
	s_lshl_b64 s[2:3], s[2:3], 2
	s_delay_alu instid0(SALU_CYCLE_1)
	s_add_u32 s2, s13, s2
	s_addc_u32 s3, s16, s3
	s_or_b32 s6, s12, 0xe0
	v_cndmask_b32_e32 v33, v33, v65, vcc_lo
	s_ashr_i32 s7, s6, 5
	s_cmp_lt_i32 s6, s17
	v_mov_b32_e32 v105, s25
	s_cselect_b32 s6, s7, s4
	v_lshlrev_b32_e32 v72, 6, v33
	s_ashr_i32 s7, s6, 31
	v_lshl_or_b32 v41, v66, 9, v34
	s_lshl_b64 s[6:7], s[6:7], 2
	ds_load_b128 v[33:36], v72
	ds_load_b128 v[37:40], v72 offset:1024
	ds_load_b128 v[108:111], v72 offset:2048
	;; [unrolled: 1-line block ×3, first 2 shown]
	s_load_b32 s4, s[2:3], 0x0
	s_add_u32 s2, s13, s6
	s_addc_u32 s3, s16, s7
	ds_load_b128 v[116:119], v72 offset:4096
	ds_load_b128 v[120:123], v72 offset:5120
	s_load_b32 s2, s[2:3], 0x0
	s_add_u32 s6, s10, s15
	s_addc_u32 s7, s11, s19
	v_add_co_u32 v68, s6, s6, v41
	s_delay_alu instid0(VALU_DEP_1) | instskip(SKIP_1) | instid1(VALU_DEP_1)
	v_add_co_ci_u32_e64 v69, null, s7, 0, s6
	s_waitcnt lgkmcnt(0)
	v_mad_i64_i32 v[41:42], null, s28, s5, v[68:69]
	v_mad_i64_i32 v[70:71], null, s9, s5, v[68:69]
	;; [unrolled: 1-line block ×7, first 2 shown]
	s_clause 0x3
	global_load_b128 v[49:52], v[41:42], off
	global_load_b128 v[53:56], v[41:42], off offset:16
	global_load_b128 v[41:44], v[45:46], off
	global_load_b128 v[45:48], v[45:46], off offset:16
	s_waitcnt vmcnt(18)
	v_wmma_f32_16x16x16_bf16 v[124:131], v[1:8], v[33:40], v[100:107]
	s_waitcnt vmcnt(16)
	v_wmma_f32_16x16x16_bf16 v[100:107], v[9:16], v[33:40], v[100:107]
	s_clause 0x1
	global_load_b128 v[33:36], v[70:71], off
	global_load_b128 v[37:40], v[70:71], off offset:16
	v_mad_i64_i32 v[70:71], null, s2, s5, v[68:69]
	s_waitcnt vmcnt(16)
	v_wmma_f32_16x16x16_bf16 v[124:131], v[17:24], v[108:115], v[124:131]
	s_waitcnt vmcnt(14)
	v_wmma_f32_16x16x16_bf16 v[100:107], v[25:32], v[108:115], v[100:107]
	s_clause 0x7
	global_load_b128 v[25:28], v[132:133], off
	global_load_b128 v[29:32], v[132:133], off offset:16
	global_load_b128 v[1:4], v[134:135], off
	global_load_b128 v[5:8], v[134:135], off offset:16
	;; [unrolled: 2-line block ×4, first 2 shown]
	s_waitcnt vmcnt(20)
	v_wmma_f32_16x16x16_bf16 v[124:131], v[57:64], v[116:123], v[124:131]
	s_clause 0x1
	global_load_b128 v[57:60], v[70:71], off
	global_load_b128 v[61:64], v[70:71], off offset:16
	s_waitcnt vmcnt(20)
	v_wmma_f32_16x16x16_bf16 v[100:107], v[76:83], v[116:123], v[100:107]
	ds_load_b128 v[76:79], v72 offset:6144
	ds_load_b128 v[80:83], v72 offset:7168
	v_and_b32_e32 v68, 0xe0, v0
	v_mbcnt_lo_u32_b32 v69, -1, 0
	s_waitcnt vmcnt(0) lgkmcnt(0)
	s_barrier
	buffer_gl0_inv
	v_add_nc_u32_e32 v68, s12, v68
	v_xor_b32_e32 v70, 16, v69
	s_delay_alu instid0(VALU_DEP_2) | instskip(NEXT) | instid1(VALU_DEP_2)
	v_or_b32_e32 v68, v68, v74
	v_cmp_gt_i32_e32 vcc_lo, 32, v70
	s_delay_alu instid0(VALU_DEP_2)
	v_or_b32_e32 v71, 4, v68
	v_or_b32_e32 v72, 6, v68
	v_cmp_gt_i32_e64 s2, s17, v68
	v_or_b32_e32 v108, 8, v68
	v_wmma_f32_16x16x16_bf16 v[124:131], v[84:91], v[76:83], v[124:131]
	v_cndmask_b32_e32 v69, v69, v70, vcc_lo
	v_or_b32_e32 v70, 2, v68
	v_wmma_f32_16x16x16_bf16 v[100:107], v[92:99], v[76:83], v[100:107]
	v_or_b32_e32 v109, 10, v68
	v_dual_mul_f32 v80, s18, v129 :: v_dual_mul_f32 v81, s18, v128
	v_dual_mul_f32 v92, s18, v125 :: v_dual_mul_f32 v93, s18, v124
	s_delay_alu instid0(VALU_DEP_4)
	v_mul_f32_e32 v96, s18, v105
	v_cmp_gt_i32_e32 vcc_lo, s17, v70
	v_or_b32_e32 v89, 22, v68
	v_dual_mul_f32 v79, s18, v130 :: v_dual_mul_f32 v82, s18, v127
	v_dual_mul_f32 v83, s18, v126 :: v_dual_mul_f32 v94, s18, v107
	v_cndmask_b32_e64 v93, 0xff7fffff, v93, s2
	v_cndmask_b32_e32 v92, 0xff7fffff, v92, vcc_lo
	v_cmp_gt_i32_e64 s3, s17, v71
	v_cmp_gt_i32_e64 s4, s17, v72
	v_or_b32_e32 v84, 12, v68
	v_or_b32_e32 v85, 14, v68
	v_cmp_gt_i32_e64 s5, s17, v108
	v_cndmask_b32_e64 v71, 0xff7fffff, v83, s3
	v_cndmask_b32_e64 v72, 0xff7fffff, v82, s4
	v_cmp_gt_i32_e64 s6, s17, v109
	v_cmp_gt_i32_e64 s12, s17, v89
	v_lshlrev_b32_e32 v89, 2, v69
	v_max3_f32 v82, v93, 0xff7fffff, v92
	v_or_b32_e32 v86, 16, v68
	v_or_b32_e32 v87, 18, v68
	v_mul_f32_e32 v78, s18, v131
	v_cndmask_b32_e64 v81, 0xff7fffff, v81, s5
	v_cndmask_b32_e64 v80, 0xff7fffff, v80, s6
	v_max3_f32 v71, v82, v71, v72
	v_cmp_gt_i32_e64 s7, s17, v84
	v_cmp_gt_i32_e64 s8, s17, v85
	v_or_b32_e32 v88, 20, v68
	v_or_b32_e32 v90, 24, v68
	;; [unrolled: 1-line block ×5, first 2 shown]
	v_dual_mul_f32 v97, s18, v104 :: v_dual_mul_f32 v70, s18, v101
	v_dual_mul_f32 v99, s18, v102 :: v_dual_mul_f32 v68, s18, v100
	v_cndmask_b32_e64 v72, 0xff7fffff, v79, s7
	v_cndmask_b32_e64 v78, 0xff7fffff, v78, s8
	v_max3_f32 v71, v71, v81, v80
	v_cmp_gt_i32_e64 s9, s17, v86
	v_cmp_gt_i32_e64 s10, s17, v87
	v_dual_mul_f32 v95, s18, v106 :: v_dual_mul_f32 v98, s18, v103
	s_delay_alu instid0(VALU_DEP_4) | instskip(NEXT) | instid1(VALU_DEP_4)
	v_max3_f32 v71, v71, v72, v78
	v_cndmask_b32_e64 v68, 0xff7fffff, v68, s9
	s_delay_alu instid0(VALU_DEP_4)
	v_cndmask_b32_e64 v70, 0xff7fffff, v70, s10
	v_cmp_gt_i32_e64 s11, s17, v88
	v_cndmask_b32_e64 v78, 0xff7fffff, v98, s12
	v_cmp_gt_i32_e64 s13, s17, v90
	v_cmp_gt_i32_e64 s15, s17, v91
	v_max3_f32 v68, v71, v68, v70
	v_cndmask_b32_e64 v72, 0xff7fffff, v99, s11
	v_cmp_gt_i32_e64 s16, s17, v76
	v_cndmask_b32_e64 v70, 0xff7fffff, v97, s13
	v_cndmask_b32_e64 v71, 0xff7fffff, v96, s15
	v_cmp_gt_i32_e64 s17, s17, v77
	v_max3_f32 v68, v68, v72, v78
	v_cndmask_b32_e64 v72, 0xff7fffff, v95, s16
	s_delay_alu instid0(VALU_DEP_3) | instskip(NEXT) | instid1(VALU_DEP_3)
	v_cndmask_b32_e64 v76, 0xff7fffff, v94, s17
	v_max3_f32 v68, v68, v70, v71
	s_delay_alu instid0(VALU_DEP_1) | instskip(SKIP_3) | instid1(VALU_DEP_1)
	v_max3_f32 v68, v68, v72, v76
	ds_bpermute_b32 v69, v89, v68
	s_waitcnt lgkmcnt(0)
	v_max_f32_e32 v69, v69, v69
	v_max_f32_e32 v68, v68, v69
	s_delay_alu instid0(VALU_DEP_1) | instskip(NEXT) | instid1(VALU_DEP_1)
	v_fma_f32 v71, s18, v126, -v68
	v_mul_f32_e32 v71, 0x3fb8aa3b, v71
	v_fma_f32 v70, s18, v125, -v68
	v_fma_f32 v69, s18, v124, -v68
	;; [unrolled: 1-line block ×5, first 2 shown]
	s_delay_alu instid0(VALU_DEP_4) | instskip(SKIP_1) | instid1(VALU_DEP_3)
	v_dual_mul_f32 v70, 0x3fb8aa3b, v70 :: v_dual_mul_f32 v69, 0x3fb8aa3b, v69
	v_exp_f32_e32 v71, v71
	v_mul_f32_e32 v72, 0x3fb8aa3b, v72
	v_fma_f32 v81, s18, v105, -v68
	s_delay_alu instid0(VALU_DEP_3)
	v_exp_f32_e32 v70, v70
	v_mul_f32_e32 v77, 0x3fb8aa3b, v76
	v_exp_f32_e32 v69, v69
	v_exp_f32_e32 v72, v72
	v_mul_f32_e32 v81, 0x3fb8aa3b, v81
	v_cndmask_b32_e64 v83, 0, v71, s3
	v_fma_f32 v71, s18, v131, -v68
	s_delay_alu instid0(VALU_DEP_3) | instskip(SKIP_4) | instid1(TRANS32_DEP_3)
	v_exp_f32_e32 v81, v81
	v_cndmask_b32_e32 v76, 0, v70, vcc_lo
	v_exp_f32_e32 v77, v77
	v_cndmask_b32_e64 v80, 0, v69, s2
	v_fma_f32 v69, s18, v129, -v68
	v_cndmask_b32_e64 v85, 0, v72, s4
	v_mul_f32_e32 v71, 0x3fb8aa3b, v71
	v_fma_f32 v72, s18, v100, -v68
	s_delay_alu instid0(VALU_DEP_4) | instskip(SKIP_1) | instid1(VALU_DEP_4)
	v_dual_add_f32 v70, 0, v80 :: v_dual_mul_f32 v69, 0x3fb8aa3b, v69
	v_cmp_gt_u32_e64 s2, 16, v67
	v_exp_f32_e32 v71, v71
	s_delay_alu instid0(TRANS32_DEP_2) | instskip(SKIP_4) | instid1(VALU_DEP_3)
	v_cndmask_b32_e64 v86, 0, v77, s5
	v_fma_f32 v77, s18, v101, -v68
	v_mul_f32_e32 v78, 0x3fb8aa3b, v78
	v_add_f32_e32 v70, v70, v76
	v_exp_f32_e32 v69, v69
	v_mul_f32_e32 v77, 0x3fb8aa3b, v77
	s_delay_alu instid0(VALU_DEP_3) | instskip(NEXT) | instid1(TRANS32_DEP_3)
	v_exp_f32_e32 v78, v78
	v_cndmask_b32_e64 v88, 0, v71, s8
	v_fma_f32 v71, s18, v104, -v68
	s_delay_alu instid0(VALU_DEP_3) | instskip(NEXT) | instid1(TRANS32_DEP_3)
	v_exp_f32_e32 v77, v77
	v_cndmask_b32_e64 v87, 0, v69, s6
	s_delay_alu instid0(VALU_DEP_2)
	v_mul_f32_e32 v71, 0x3fb8aa3b, v71
	s_waitcnt_depctr 0xfff
	v_cndmask_b32_e64 v84, 0, v78, s7
	v_add_f32_e32 v70, v70, v83
	v_fma_f32 v78, s18, v103, -v68
	v_exp_f32_e32 v82, v71
	s_delay_alu instid0(VALU_DEP_2) | instskip(SKIP_1) | instid1(VALU_DEP_3)
	v_add_f32_e32 v70, v70, v85
	v_mul_f32_e32 v72, 0x3fb8aa3b, v72
	v_mul_f32_e32 v78, 0x3fb8aa3b, v78
	s_delay_alu instid0(VALU_DEP_3) | instskip(SKIP_1) | instid1(VALU_DEP_4)
	v_add_f32_e32 v69, v70, v86
	v_fma_f32 v70, s18, v102, -v68
	v_exp_f32_e32 v72, v72
	s_delay_alu instid0(VALU_DEP_3) | instskip(NEXT) | instid1(VALU_DEP_1)
	v_exp_f32_e32 v78, v78
	v_dual_add_f32 v69, v69, v87 :: v_dual_mul_f32 v70, 0x3fb8aa3b, v70
	s_delay_alu instid0(VALU_DEP_1) | instskip(NEXT) | instid1(VALU_DEP_2)
	v_add_f32_e32 v69, v69, v84
	v_exp_f32_e32 v79, v70
	s_delay_alu instid0(TRANS32_DEP_3) | instskip(NEXT) | instid1(VALU_DEP_2)
	v_cndmask_b32_e64 v70, 0, v72, s9
	v_add_f32_e32 v72, v69, v88
	v_cndmask_b32_e64 v69, 0, v77, s10
	v_fma_f32 v77, s18, v106, -v68
	s_waitcnt_depctr 0xfff
	v_cndmask_b32_e64 v71, 0, v79, s11
	v_dual_mul_f32 v77, 0x3fb8aa3b, v77 :: v_dual_add_f32 v72, v72, v70
	s_delay_alu instid0(VALU_DEP_1) | instskip(NEXT) | instid1(VALU_DEP_1)
	v_exp_f32_e32 v90, v77
	v_add_f32_e32 v79, v72, v69
	v_cndmask_b32_e64 v72, 0, v78, s12
	v_cndmask_b32_e64 v77, 0, v82, s13
	s_delay_alu instid0(VALU_DEP_3) | instskip(SKIP_1) | instid1(VALU_DEP_1)
	v_add_f32_e32 v78, v79, v71
	v_fma_f32 v79, s18, v107, -v68
	v_dual_add_f32 v82, v78, v72 :: v_dual_mul_f32 v79, 0x3fb8aa3b, v79
	v_cndmask_b32_e64 v78, 0, v81, s15
	s_delay_alu instid0(VALU_DEP_2) | instskip(NEXT) | instid1(VALU_DEP_3)
	v_add_f32_e32 v81, v82, v77
	v_exp_f32_e32 v82, v79
	v_cndmask_b32_e64 v79, 0, v90, s16
	s_delay_alu instid0(VALU_DEP_2) | instskip(NEXT) | instid1(VALU_DEP_1)
	v_add_f32_e32 v81, v81, v78
	v_add_f32_e32 v90, v81, v79
	s_waitcnt_depctr 0xfff
	v_cndmask_b32_e64 v81, 0, v82, s17
	s_delay_alu instid0(VALU_DEP_1)
	v_add_f32_e32 v82, v90, v81
	ds_bpermute_b32 v89, v89, v82
	s_and_saveexec_b32 s3, s2
	s_cbranch_execz .LBB1882_12
; %bb.11:
	v_mul_u32_u24_e32 v67, 0x44, v66
	s_delay_alu instid0(VALU_DEP_1) | instskip(SKIP_1) | instid1(VALU_DEP_1)
	v_lshl_add_u32 v67, v65, 2, v67
	s_waitcnt lgkmcnt(0)
	v_dual_add_f32 v82, v82, v89 :: v_dual_add_nc_u32 v67, 0x4000, v67
	ds_store_2addr_b32 v67, v68, v82 offset1:136
.LBB1882_12:
	s_or_b32 exec_lo, exec_lo, s3
	v_lshlrev_b32_e32 v67, 2, v65
	s_waitcnt lgkmcnt(0)
	s_barrier
	buffer_gl0_inv
	v_cmp_eq_u32_e32 vcc_lo, 1, v66
	v_add_nc_u32_e32 v82, 0x4000, v67
	v_cmp_eq_u32_e64 s3, 2, v66
	v_cmp_eq_u32_e64 s5, 7, v66
	ds_load_2addr_b32 v[89:90], v82 offset1:17
	ds_load_2addr_b32 v[91:92], v82 offset0:34 offset1:51
	ds_load_2addr_b32 v[93:94], v82 offset0:68 offset1:85
	;; [unrolled: 1-line block ×4, first 2 shown]
	s_waitcnt lgkmcnt(4)
	v_max3_f32 v67, v89, 0xff7fffff, v90
	s_waitcnt lgkmcnt(3)
	s_delay_alu instid0(VALU_DEP_1) | instskip(SKIP_1) | instid1(VALU_DEP_1)
	v_max3_f32 v67, v67, v91, v92
	s_waitcnt lgkmcnt(2)
	v_max3_f32 v67, v67, v93, v94
	s_waitcnt lgkmcnt(1)
	s_delay_alu instid0(VALU_DEP_1) | instskip(NEXT) | instid1(VALU_DEP_1)
	v_max3_f32 v67, v67, v95, v96
	v_sub_f32_e32 v93, v93, v67
	s_delay_alu instid0(VALU_DEP_1) | instskip(NEXT) | instid1(VALU_DEP_1)
	v_dual_sub_f32 v68, v89, v67 :: v_dual_mul_f32 v103, 0x3fb8aa3b, v93
	v_mul_f32_e32 v68, 0x3fb8aa3b, v68
	s_delay_alu instid0(VALU_DEP_1)
	v_exp_f32_e32 v100, v68
	v_sub_f32_e32 v68, v92, v67
	v_sub_f32_e32 v99, v90, v67
	ds_load_2addr_b32 v[89:90], v82 offset0:170 offset1:187
	v_dual_mul_f32 v102, 0x3fb8aa3b, v68 :: v_dual_mul_f32 v99, 0x3fb8aa3b, v99
	s_waitcnt lgkmcnt(1)
	v_fma_f32 v68, v100, v97, 0
	s_delay_alu instid0(VALU_DEP_2) | instskip(NEXT) | instid1(VALU_DEP_2)
	v_exp_f32_e32 v102, v102
	v_exp_f32_e32 v99, v99
	s_waitcnt_depctr 0xfff
	v_fmac_f32_e32 v68, v99, v98
	v_sub_f32_e32 v91, v91, v67
	s_delay_alu instid0(VALU_DEP_1)
	v_mul_f32_e32 v101, 0x3fb8aa3b, v91
	ds_load_2addr_b32 v[91:92], v82 offset0:204 offset1:221
	v_sub_f32_e32 v97, v94, v67
	ds_load_2addr_b32 v[93:94], v82 offset0:238 offset1:255
	s_waitcnt lgkmcnt(0)
	v_exp_f32_e32 v101, v101
	s_barrier
	buffer_gl0_inv
	v_dual_fmac_f32 v68, v101, v89 :: v_dual_sub_f32 v89, v96, v67
	v_dual_sub_f32 v82, v95, v67 :: v_dual_mul_f32 v95, 0x3fb8aa3b, v97
	v_exp_f32_e32 v97, v103
	s_delay_alu instid0(VALU_DEP_2) | instskip(NEXT) | instid1(VALU_DEP_2)
	v_dual_fmac_f32 v68, v102, v90 :: v_dual_mul_f32 v89, 0x3fb8aa3b, v89
	v_mul_f32_e32 v82, 0x3fb8aa3b, v82
	s_delay_alu instid0(VALU_DEP_3) | instskip(NEXT) | instid1(VALU_DEP_2)
	v_exp_f32_e32 v95, v95
	v_exp_f32_e32 v89, v89
	s_delay_alu instid0(VALU_DEP_1)
	v_exp_f32_e32 v82, v82
	v_fmac_f32_e32 v68, v97, v91
	s_delay_alu instid0(TRANS32_DEP_3) | instid1(VALU_DEP_1)
	v_fmac_f32_e32 v68, v95, v92
	s_waitcnt_depctr 0xfff
	v_fmac_f32_e32 v68, v82, v93
	s_delay_alu instid0(VALU_DEP_1) | instskip(NEXT) | instid1(VALU_DEP_1)
	v_fmac_f32_e32 v68, v89, v94
	v_add_f32_e32 v90, 0x358637bd, v68
	s_delay_alu instid0(VALU_DEP_1) | instskip(NEXT) | instid1(VALU_DEP_1)
	v_div_scale_f32 v91, null, v90, v90, 1.0
	v_rcp_f32_e32 v92, v91
	s_waitcnt_depctr 0xfff
	v_fma_f32 v93, -v91, v92, 1.0
	s_delay_alu instid0(VALU_DEP_1) | instskip(SKIP_1) | instid1(VALU_DEP_2)
	v_dual_fmac_f32 v92, v93, v92 :: v_dual_cndmask_b32 v93, v100, v99
	v_cmp_eq_u32_e32 vcc_lo, 3, v66
	v_cndmask_b32_e64 v93, v93, v101, s3
	v_cmp_eq_u32_e64 s3, 4, v66
	s_delay_alu instid0(VALU_DEP_2) | instskip(SKIP_1) | instid1(VALU_DEP_2)
	v_cndmask_b32_e32 v93, v93, v102, vcc_lo
	v_cmp_eq_u32_e32 vcc_lo, 5, v66
	v_cndmask_b32_e64 v93, v93, v97, s3
	v_cmp_eq_u32_e64 s3, 6, v66
	s_delay_alu instid0(VALU_DEP_2) | instskip(SKIP_1) | instid1(VALU_DEP_1)
	v_cndmask_b32_e32 v93, v93, v95, vcc_lo
	v_div_scale_f32 v94, s4, 1.0, v90, 1.0
	s_mov_b32 vcc_lo, s4
	s_delay_alu instid0(VALU_DEP_2) | instskip(NEXT) | instid1(VALU_DEP_2)
	v_cndmask_b32_e64 v82, v93, v82, s3
	v_mul_f32_e32 v96, v94, v92
	s_mov_b32 s3, exec_lo
	s_delay_alu instid0(VALU_DEP_2) | instskip(NEXT) | instid1(VALU_DEP_2)
	v_cndmask_b32_e64 v82, v82, v89, s5
	v_fma_f32 v98, -v91, v96, v94
	s_delay_alu instid0(VALU_DEP_1) | instskip(NEXT) | instid1(VALU_DEP_1)
	v_fmac_f32_e32 v96, v98, v92
	v_fma_f32 v91, -v91, v96, v94
	s_delay_alu instid0(VALU_DEP_1) | instskip(NEXT) | instid1(VALU_DEP_1)
	v_div_fmas_f32 v91, v91, v92, v96
	v_div_fixup_f32 v90, v91, v90, 1.0
	s_delay_alu instid0(VALU_DEP_1) | instskip(NEXT) | instid1(VALU_DEP_1)
	v_mul_f32_e32 v82, v82, v90
	v_mul_f32_e32 v87, v82, v87
	;; [unrolled: 1-line block ×7, first 2 shown]
	v_dual_mul_f32 v86, v82, v83 :: v_dual_and_b32 v91, 0x7f800000, v90
	v_mul_f32_e32 v85, v82, v76
                                        ; implicit-def: $vgpr76
	s_delay_alu instid0(VALU_DEP_2)
	v_cmpx_ne_u32_e32 0x7f800000, v91
	s_xor_b32 s3, exec_lo, s3
; %bb.13:
	v_bfe_u32 v76, v90, 16, 1
	s_delay_alu instid0(VALU_DEP_1)
	v_add3_u32 v76, v90, v76, 0x7fff
                                        ; implicit-def: $vgpr90
; %bb.14:
	s_and_not1_saveexec_b32 s3, s3
; %bb.15:
	v_and_b32_e32 v76, 0xffff, v90
	v_or_b32_e32 v83, 0x10000, v90
	s_delay_alu instid0(VALU_DEP_2) | instskip(NEXT) | instid1(VALU_DEP_2)
	v_cmp_eq_u32_e32 vcc_lo, 0, v76
	v_cndmask_b32_e32 v76, v83, v90, vcc_lo
; %bb.16:
	s_or_b32 exec_lo, exec_lo, s3
	v_and_b32_e32 v83, 0x7f800000, v85
	s_delay_alu instid0(VALU_DEP_1) | instskip(SKIP_1) | instid1(SALU_CYCLE_1)
	v_cmp_ne_u32_e32 vcc_lo, 0x7f800000, v83
                                        ; implicit-def: $vgpr83
	s_and_saveexec_b32 s3, vcc_lo
	s_xor_b32 s3, exec_lo, s3
; %bb.17:
	v_bfe_u32 v83, v85, 16, 1
	s_delay_alu instid0(VALU_DEP_1)
	v_add3_u32 v83, v85, v83, 0x7fff
                                        ; implicit-def: $vgpr85
; %bb.18:
	s_and_not1_saveexec_b32 s3, s3
; %bb.19:
	v_and_b32_e32 v83, 0xffff, v85
	v_or_b32_e32 v90, 0x10000, v85
	s_delay_alu instid0(VALU_DEP_2) | instskip(NEXT) | instid1(VALU_DEP_2)
	v_cmp_eq_u32_e32 vcc_lo, 0, v83
	v_cndmask_b32_e32 v83, v90, v85, vcc_lo
; %bb.20:
	s_or_b32 exec_lo, exec_lo, s3
	v_and_b32_e32 v85, 0x7f800000, v86
	s_delay_alu instid0(VALU_DEP_1) | instskip(SKIP_1) | instid1(SALU_CYCLE_1)
	v_cmp_ne_u32_e32 vcc_lo, 0x7f800000, v85
                                        ; implicit-def: $vgpr85
	s_and_saveexec_b32 s3, vcc_lo
	s_xor_b32 s3, exec_lo, s3
; %bb.21:
	v_bfe_u32 v85, v86, 16, 1
	s_delay_alu instid0(VALU_DEP_1)
	v_add3_u32 v85, v86, v85, 0x7fff
                                        ; implicit-def: $vgpr86
; %bb.22:
	s_and_not1_saveexec_b32 s3, s3
; %bb.23:
	v_and_b32_e32 v85, 0xffff, v86
	v_or_b32_e32 v90, 0x10000, v86
	s_delay_alu instid0(VALU_DEP_2) | instskip(NEXT) | instid1(VALU_DEP_2)
	v_cmp_eq_u32_e32 vcc_lo, 0, v85
	v_cndmask_b32_e32 v85, v90, v86, vcc_lo
; %bb.24:
	s_or_b32 exec_lo, exec_lo, s3
	v_and_b32_e32 v86, 0x7f800000, v89
	s_delay_alu instid0(VALU_DEP_1) | instskip(SKIP_1) | instid1(SALU_CYCLE_1)
	v_cmp_ne_u32_e32 vcc_lo, 0x7f800000, v86
                                        ; implicit-def: $vgpr86
	s_and_saveexec_b32 s3, vcc_lo
	s_xor_b32 s3, exec_lo, s3
; %bb.25:
	v_bfe_u32 v86, v89, 16, 1
	s_delay_alu instid0(VALU_DEP_1)
	v_add3_u32 v86, v89, v86, 0x7fff
                                        ; implicit-def: $vgpr89
; %bb.26:
	s_and_not1_saveexec_b32 s3, s3
; %bb.27:
	v_and_b32_e32 v86, 0xffff, v89
	v_or_b32_e32 v90, 0x10000, v89
	s_delay_alu instid0(VALU_DEP_2) | instskip(NEXT) | instid1(VALU_DEP_2)
	v_cmp_eq_u32_e32 vcc_lo, 0, v86
	v_cndmask_b32_e32 v86, v90, v89, vcc_lo
; %bb.28:
	s_or_b32 exec_lo, exec_lo, s3
	v_and_b32_e32 v89, 0x7f800000, v88
	s_delay_alu instid0(VALU_DEP_1) | instskip(SKIP_1) | instid1(SALU_CYCLE_1)
	v_cmp_ne_u32_e32 vcc_lo, 0x7f800000, v89
                                        ; implicit-def: $vgpr89
	s_and_saveexec_b32 s3, vcc_lo
	s_xor_b32 s3, exec_lo, s3
; %bb.29:
	v_bfe_u32 v89, v88, 16, 1
	s_delay_alu instid0(VALU_DEP_1)
	v_add3_u32 v89, v88, v89, 0x7fff
                                        ; implicit-def: $vgpr88
; %bb.30:
	s_and_not1_saveexec_b32 s3, s3
; %bb.31:
	v_and_b32_e32 v89, 0xffff, v88
	v_or_b32_e32 v90, 0x10000, v88
	s_delay_alu instid0(VALU_DEP_2) | instskip(NEXT) | instid1(VALU_DEP_2)
	v_cmp_eq_u32_e32 vcc_lo, 0, v89
	v_cndmask_b32_e32 v89, v90, v88, vcc_lo
; %bb.32:
	s_or_b32 exec_lo, exec_lo, s3
	v_and_b32_e32 v88, 0x7f800000, v87
	s_delay_alu instid0(VALU_DEP_1) | instskip(SKIP_1) | instid1(SALU_CYCLE_1)
	v_cmp_ne_u32_e32 vcc_lo, 0x7f800000, v88
                                        ; implicit-def: $vgpr88
	s_and_saveexec_b32 s3, vcc_lo
	s_xor_b32 s3, exec_lo, s3
; %bb.33:
	v_bfe_u32 v88, v87, 16, 1
	s_delay_alu instid0(VALU_DEP_1)
	v_add3_u32 v88, v87, v88, 0x7fff
                                        ; implicit-def: $vgpr87
; %bb.34:
	s_and_not1_saveexec_b32 s3, s3
; %bb.35:
	v_and_b32_e32 v88, 0xffff, v87
	v_or_b32_e32 v90, 0x10000, v87
	s_delay_alu instid0(VALU_DEP_2) | instskip(NEXT) | instid1(VALU_DEP_2)
	v_cmp_eq_u32_e32 vcc_lo, 0, v88
	v_cndmask_b32_e32 v88, v90, v87, vcc_lo
; %bb.36:
	s_or_b32 exec_lo, exec_lo, s3
	v_and_b32_e32 v87, 0x7f800000, v84
	s_delay_alu instid0(VALU_DEP_1) | instskip(SKIP_1) | instid1(SALU_CYCLE_1)
	v_cmp_ne_u32_e32 vcc_lo, 0x7f800000, v87
                                        ; implicit-def: $vgpr87
	s_and_saveexec_b32 s3, vcc_lo
	s_xor_b32 s3, exec_lo, s3
; %bb.37:
	v_bfe_u32 v87, v84, 16, 1
	s_delay_alu instid0(VALU_DEP_1)
	v_add3_u32 v87, v84, v87, 0x7fff
                                        ; implicit-def: $vgpr84
; %bb.38:
	s_and_not1_saveexec_b32 s3, s3
; %bb.39:
	v_and_b32_e32 v87, 0xffff, v84
	v_or_b32_e32 v90, 0x10000, v84
	s_delay_alu instid0(VALU_DEP_2) | instskip(NEXT) | instid1(VALU_DEP_2)
	v_cmp_eq_u32_e32 vcc_lo, 0, v87
	v_cndmask_b32_e32 v87, v90, v84, vcc_lo
; %bb.40:
	s_or_b32 exec_lo, exec_lo, s3
	v_and_b32_e32 v84, 0x7f800000, v80
	s_delay_alu instid0(VALU_DEP_1) | instskip(SKIP_1) | instid1(SALU_CYCLE_1)
	v_cmp_ne_u32_e32 vcc_lo, 0x7f800000, v84
                                        ; implicit-def: $vgpr84
	s_and_saveexec_b32 s3, vcc_lo
	s_xor_b32 s3, exec_lo, s3
; %bb.41:
	v_bfe_u32 v84, v80, 16, 1
	s_delay_alu instid0(VALU_DEP_1)
	v_add3_u32 v84, v80, v84, 0x7fff
                                        ; implicit-def: $vgpr80
; %bb.42:
	s_and_not1_saveexec_b32 s3, s3
; %bb.43:
	v_and_b32_e32 v84, 0xffff, v80
	v_or_b32_e32 v90, 0x10000, v80
	s_delay_alu instid0(VALU_DEP_2) | instskip(NEXT) | instid1(VALU_DEP_2)
	v_cmp_eq_u32_e32 vcc_lo, 0, v84
	v_cndmask_b32_e32 v84, v90, v80, vcc_lo
; %bb.44:
	s_or_b32 exec_lo, exec_lo, s3
	s_load_b64 s[34:35], s[0:1], 0x94
	v_lshlrev_b32_e32 v91, 4, v74
	s_delay_alu instid0(VALU_DEP_2)
	v_perm_b32 v90, v84, v87, 0x7060302
	v_dual_mul_f32 v79, v82, v79 :: v_dual_lshlrev_b32 v80, 6, v65
	v_dual_mul_f32 v77, v82, v77 :: v_dual_lshlrev_b32 v92, 11, v66
	v_mul_f32_e32 v84, v82, v70
	v_perm_b32 v89, v88, v89, 0x7060302
	v_perm_b32 v88, v86, v85, 0x7060302
	v_perm_b32 v87, v83, v76, 0x7060302
	v_mul_f32_e32 v70, v82, v81
	v_or3_b32 v76, v91, v92, v80
	v_dual_mul_f32 v78, v82, v78 :: v_dual_and_b32 v85, 0x7f800000, v84
	v_mul_f32_e32 v83, v82, v72
	v_mul_f32_e32 v81, v82, v71
	;; [unrolled: 1-line block ×3, first 2 shown]
	s_mov_b32 s3, exec_lo
	ds_store_b128 v76, v[87:90]
                                        ; implicit-def: $vgpr69
	v_cmpx_ne_u32_e32 0x7f800000, v85
	s_xor_b32 s3, exec_lo, s3
; %bb.45:
	v_bfe_u32 v69, v84, 16, 1
	s_delay_alu instid0(VALU_DEP_1)
	v_add3_u32 v69, v84, v69, 0x7fff
                                        ; implicit-def: $vgpr84
; %bb.46:
	s_and_not1_saveexec_b32 s3, s3
; %bb.47:
	v_and_b32_e32 v69, 0xffff, v84
	v_or_b32_e32 v71, 0x10000, v84
	s_delay_alu instid0(VALU_DEP_2) | instskip(NEXT) | instid1(VALU_DEP_2)
	v_cmp_eq_u32_e32 vcc_lo, 0, v69
	v_cndmask_b32_e32 v69, v71, v84, vcc_lo
; %bb.48:
	s_or_b32 exec_lo, exec_lo, s3
	v_and_b32_e32 v71, 0x7f800000, v72
	s_delay_alu instid0(VALU_DEP_1) | instskip(SKIP_1) | instid1(SALU_CYCLE_1)
	v_cmp_ne_u32_e32 vcc_lo, 0x7f800000, v71
                                        ; implicit-def: $vgpr71
	s_and_saveexec_b32 s3, vcc_lo
	s_xor_b32 s3, exec_lo, s3
; %bb.49:
	v_bfe_u32 v71, v72, 16, 1
	s_delay_alu instid0(VALU_DEP_1)
	v_add3_u32 v71, v72, v71, 0x7fff
                                        ; implicit-def: $vgpr72
; %bb.50:
	s_and_not1_saveexec_b32 s3, s3
; %bb.51:
	v_and_b32_e32 v71, 0xffff, v72
	v_or_b32_e32 v82, 0x10000, v72
	s_delay_alu instid0(VALU_DEP_2) | instskip(NEXT) | instid1(VALU_DEP_2)
	v_cmp_eq_u32_e32 vcc_lo, 0, v71
	v_cndmask_b32_e32 v71, v82, v72, vcc_lo
; %bb.52:
	s_or_b32 exec_lo, exec_lo, s3
	v_and_b32_e32 v72, 0x7f800000, v81
	s_delay_alu instid0(VALU_DEP_1) | instskip(SKIP_1) | instid1(SALU_CYCLE_1)
	v_cmp_ne_u32_e32 vcc_lo, 0x7f800000, v72
                                        ; implicit-def: $vgpr72
	s_and_saveexec_b32 s3, vcc_lo
	s_xor_b32 s3, exec_lo, s3
; %bb.53:
	v_bfe_u32 v72, v81, 16, 1
	s_delay_alu instid0(VALU_DEP_1)
	v_add3_u32 v72, v81, v72, 0x7fff
                                        ; implicit-def: $vgpr81
; %bb.54:
	s_and_not1_saveexec_b32 s3, s3
; %bb.55:
	v_and_b32_e32 v72, 0xffff, v81
	v_or_b32_e32 v82, 0x10000, v81
	s_delay_alu instid0(VALU_DEP_2) | instskip(NEXT) | instid1(VALU_DEP_2)
	v_cmp_eq_u32_e32 vcc_lo, 0, v72
	v_cndmask_b32_e32 v72, v82, v81, vcc_lo
; %bb.56:
	s_or_b32 exec_lo, exec_lo, s3
	v_and_b32_e32 v81, 0x7f800000, v83
	s_delay_alu instid0(VALU_DEP_1) | instskip(SKIP_1) | instid1(SALU_CYCLE_1)
	v_cmp_ne_u32_e32 vcc_lo, 0x7f800000, v81
                                        ; implicit-def: $vgpr81
	s_and_saveexec_b32 s3, vcc_lo
	s_xor_b32 s3, exec_lo, s3
; %bb.57:
	v_bfe_u32 v81, v83, 16, 1
	s_delay_alu instid0(VALU_DEP_1)
	v_add3_u32 v81, v83, v81, 0x7fff
                                        ; implicit-def: $vgpr83
; %bb.58:
	s_and_not1_saveexec_b32 s3, s3
; %bb.59:
	v_and_b32_e32 v81, 0xffff, v83
	v_or_b32_e32 v82, 0x10000, v83
	s_delay_alu instid0(VALU_DEP_2) | instskip(NEXT) | instid1(VALU_DEP_2)
	v_cmp_eq_u32_e32 vcc_lo, 0, v81
	v_cndmask_b32_e32 v81, v82, v83, vcc_lo
; %bb.60:
	s_or_b32 exec_lo, exec_lo, s3
	v_and_b32_e32 v82, 0x7f800000, v77
	s_delay_alu instid0(VALU_DEP_1) | instskip(SKIP_1) | instid1(SALU_CYCLE_1)
	v_cmp_ne_u32_e32 vcc_lo, 0x7f800000, v82
                                        ; implicit-def: $vgpr82
	s_and_saveexec_b32 s3, vcc_lo
	s_xor_b32 s3, exec_lo, s3
; %bb.61:
	v_bfe_u32 v82, v77, 16, 1
	s_delay_alu instid0(VALU_DEP_1)
	v_add3_u32 v82, v77, v82, 0x7fff
                                        ; implicit-def: $vgpr77
; %bb.62:
	s_and_not1_saveexec_b32 s3, s3
; %bb.63:
	v_and_b32_e32 v82, 0xffff, v77
	v_or_b32_e32 v83, 0x10000, v77
	s_delay_alu instid0(VALU_DEP_2) | instskip(NEXT) | instid1(VALU_DEP_2)
	v_cmp_eq_u32_e32 vcc_lo, 0, v82
	v_cndmask_b32_e32 v82, v83, v77, vcc_lo
; %bb.64:
	s_or_b32 exec_lo, exec_lo, s3
	v_and_b32_e32 v77, 0x7f800000, v78
	s_delay_alu instid0(VALU_DEP_1) | instskip(SKIP_1) | instid1(SALU_CYCLE_1)
	v_cmp_ne_u32_e32 vcc_lo, 0x7f800000, v77
                                        ; implicit-def: $vgpr77
	s_and_saveexec_b32 s3, vcc_lo
	s_xor_b32 s3, exec_lo, s3
; %bb.65:
	v_bfe_u32 v77, v78, 16, 1
	s_delay_alu instid0(VALU_DEP_1)
	v_add3_u32 v77, v78, v77, 0x7fff
                                        ; implicit-def: $vgpr78
; %bb.66:
	s_and_not1_saveexec_b32 s3, s3
; %bb.67:
	v_and_b32_e32 v77, 0xffff, v78
	v_or_b32_e32 v83, 0x10000, v78
	s_delay_alu instid0(VALU_DEP_2) | instskip(NEXT) | instid1(VALU_DEP_2)
	v_cmp_eq_u32_e32 vcc_lo, 0, v77
	v_cndmask_b32_e32 v77, v83, v78, vcc_lo
; %bb.68:
	s_or_b32 exec_lo, exec_lo, s3
	v_and_b32_e32 v78, 0x7f800000, v79
	s_delay_alu instid0(VALU_DEP_1) | instskip(SKIP_1) | instid1(SALU_CYCLE_1)
	v_cmp_ne_u32_e32 vcc_lo, 0x7f800000, v78
                                        ; implicit-def: $vgpr78
	s_and_saveexec_b32 s3, vcc_lo
	s_xor_b32 s3, exec_lo, s3
; %bb.69:
	v_bfe_u32 v78, v79, 16, 1
	s_delay_alu instid0(VALU_DEP_1)
	v_add3_u32 v78, v79, v78, 0x7fff
                                        ; implicit-def: $vgpr79
; %bb.70:
	s_and_not1_saveexec_b32 s3, s3
; %bb.71:
	v_and_b32_e32 v78, 0xffff, v79
	v_or_b32_e32 v83, 0x10000, v79
	s_delay_alu instid0(VALU_DEP_2) | instskip(NEXT) | instid1(VALU_DEP_2)
	v_cmp_eq_u32_e32 vcc_lo, 0, v78
	v_cndmask_b32_e32 v78, v83, v79, vcc_lo
; %bb.72:
	s_or_b32 exec_lo, exec_lo, s3
	v_and_b32_e32 v79, 0x7f800000, v70
	s_delay_alu instid0(VALU_DEP_1) | instskip(SKIP_1) | instid1(SALU_CYCLE_1)
	v_cmp_ne_u32_e32 vcc_lo, 0x7f800000, v79
                                        ; implicit-def: $vgpr79
	s_and_saveexec_b32 s3, vcc_lo
	s_xor_b32 s3, exec_lo, s3
; %bb.73:
	v_bfe_u32 v79, v70, 16, 1
	s_delay_alu instid0(VALU_DEP_1)
	v_add3_u32 v79, v70, v79, 0x7fff
                                        ; implicit-def: $vgpr70
; %bb.74:
	s_and_not1_saveexec_b32 s3, s3
; %bb.75:
	v_and_b32_e32 v79, 0xffff, v70
	v_or_b32_e32 v83, 0x10000, v70
	s_delay_alu instid0(VALU_DEP_2) | instskip(NEXT) | instid1(VALU_DEP_2)
	v_cmp_eq_u32_e32 vcc_lo, 0, v79
	v_cndmask_b32_e32 v79, v83, v70, vcc_lo
; %bb.76:
	s_or_b32 exec_lo, exec_lo, s3
	s_delay_alu instid0(VALU_DEP_1)
	v_perm_b32 v86, v79, v78, 0x7060302
	v_perm_b32 v85, v77, v82, 0x7060302
	;; [unrolled: 1-line block ×4, first 2 shown]
	v_lshl_or_b32 v82, v66, 11, v80
	ds_store_b128 v76, v[83:86] offset:1024
	s_waitcnt lgkmcnt(0)
	s_barrier
	buffer_gl0_inv
	ds_load_b128 v[69:72], v82
	ds_load_b128 v[83:86], v82 offset:16
	s_waitcnt lgkmcnt(1)
	v_lshrrev_b32_e32 v66, 16, v69
	s_waitcnt lgkmcnt(0)
	v_lshrrev_b32_e32 v91, 16, v83
	v_lshlrev_b32_e32 v78, 2, v74
	v_lshrrev_b32_e32 v95, 16, v70
	v_lshrrev_b32_e32 v98, 16, v84
	;; [unrolled: 1-line block ×4, first 2 shown]
	v_cmp_eq_u32_e32 vcc_lo, 1, v78
	v_lshrrev_b32_e32 v97, 16, v72
	v_lshrrev_b32_e32 v100, 16, v86
	v_cndmask_b32_e32 v87, v83, v91, vcc_lo
	v_or_b32_e32 v79, 1, v78
	v_cndmask_b32_e32 v81, v69, v66, vcc_lo
	v_cmp_eq_u32_e64 s4, 2, v78
	v_cmp_eq_u32_e64 s7, 3, v78
	;; [unrolled: 1-line block ×5, first 2 shown]
	v_cndmask_b32_e64 v81, v81, v70, s4
	v_cndmask_b32_e64 v87, v87, v84, s4
	v_cmp_eq_u32_e64 s8, 3, v79
	v_cndmask_b32_e64 v88, v69, v66, s3
	v_or_b32_e32 v77, 2, v78
	v_cndmask_b32_e64 v81, v81, v95, s7
	v_cndmask_b32_e64 v87, v87, v98, s7
	;; [unrolled: 1-line block ×4, first 2 shown]
	v_cmp_eq_u32_e64 s10, 5, v78
	v_cndmask_b32_e64 v81, v81, v71, s9
	v_cndmask_b32_e64 v87, v87, v85, s9
	v_cmp_eq_u32_e64 s11, 4, v79
	v_cndmask_b32_e64 v88, v88, v95, s8
	v_cmp_eq_u32_e64 s5, 1, v77
	v_cndmask_b32_e64 v89, v89, v84, s6
	v_cndmask_b32_e64 v81, v81, v96, s10
	v_cmp_eq_u32_e64 s12, 6, v78
	v_cndmask_b32_e64 v88, v88, v71, s11
	;; [unrolled: 3-line block ×3, first 2 shown]
	v_cndmask_b32_e64 v89, v89, v98, s8
	v_cndmask_b32_e64 v81, v81, v72, s12
	v_cmp_eq_u32_e64 s15, 7, v78
	v_cndmask_b32_e64 v88, v88, v96, s13
	v_cndmask_b32_e64 v87, v87, v86, s12
	v_cmp_eq_u32_e64 s16, 6, v79
	v_cmp_eq_u32_e64 s17, 2, v77
	v_cndmask_b32_e64 v89, v89, v85, s11
	v_cndmask_b32_e64 v101, v81, v97, s15
	;; [unrolled: 1-line block ×6, first 2 shown]
	v_cmp_eq_u32_e64 s18, 7, v79
	v_cmp_eq_u32_e64 s19, 3, v77
	v_cmp_eq_u32_e64 s20, 4, v77
	v_cmp_eq_u32_e64 s22, 5, v77
	v_cndmask_b32_e64 v87, v87, v84, s17
	v_cndmask_b32_e64 v103, v88, v97, s18
	v_cndmask_b32_e64 v88, v89, v99, s13
	v_cndmask_b32_e64 v89, v81, v95, s19
	v_or_b32_e32 v81, 3, v78
	v_cndmask_b32_e64 v93, v87, v98, s19
	v_cmp_eq_u32_e64 s24, 6, v77
	v_cndmask_b32_e64 v104, v88, v86, s16
	v_cndmask_b32_e64 v92, v89, v71, s20
	v_cmp_eq_u32_e64 s21, 1, v81
	ds_load_b128 v[87:90], v82 offset:1024
	v_cmp_eq_u32_e64 s23, 2, v81
	v_cmp_eq_u32_e64 s25, 3, v81
	v_cndmask_b32_e64 v105, v92, v96, s22
	v_cndmask_b32_e64 v66, v69, v66, s21
	;; [unrolled: 1-line block ×4, first 2 shown]
	ds_load_b128 v[91:94], v82 offset:1040
	v_cmp_eq_u32_e64 s26, 4, v81
	v_cndmask_b32_e64 v66, v66, v70, s23
	v_cmp_eq_u32_e64 s27, 7, v77
	v_cndmask_b32_e64 v70, v83, v84, s23
	v_cndmask_b32_e64 v84, v105, v72, s24
	v_cmp_eq_u32_e64 s28, 5, v81
	v_cndmask_b32_e64 v66, v66, v95, s25
	v_cmp_eq_u32_e64 s29, 6, v81
	v_cndmask_b32_e64 v70, v70, v98, s25
	v_cndmask_b32_e64 v69, v69, v99, s22
	;; [unrolled: 1-line block ×4, first 2 shown]
	s_waitcnt lgkmcnt(1)
	v_lshrrev_b32_e32 v95, 16, v87
	v_cndmask_b32_e64 v70, v70, v85, s26
	v_cndmask_b32_e64 v71, v84, v97, s27
	;; [unrolled: 1-line block ×4, first 2 shown]
	v_cndmask_b32_e32 v84, v87, v95, vcc_lo
	v_cndmask_b32_e64 v70, v70, v99, s28
	s_waitcnt lgkmcnt(0)
	v_lshrrev_b32_e32 v85, 16, v91
	v_lshrrev_b32_e32 v96, 16, v88
	v_cndmask_b32_e64 v98, v87, v95, s3
	v_cndmask_b32_e64 v84, v84, v88, s4
	;; [unrolled: 1-line block ×3, first 2 shown]
	v_cndmask_b32_e32 v99, v91, v85, vcc_lo
	v_cmp_eq_u32_e32 vcc_lo, 7, v81
	v_cndmask_b32_e64 v66, v66, v72, s29
	v_cndmask_b32_e64 v72, v84, v96, s7
	;; [unrolled: 1-line block ×3, first 2 shown]
	v_lshrrev_b32_e32 v98, 16, v92
	v_cndmask_b32_e32 v70, v70, v100, vcc_lo
	v_cndmask_b32_e64 v86, v99, v92, s4
	v_cndmask_b32_e64 v69, v69, v100, s27
	v_lshrrev_b32_e32 v100, 16, v93
	v_cndmask_b32_e64 v72, v72, v89, s9
	v_lshrrev_b32_e32 v99, 16, v89
	v_cndmask_b32_e64 v86, v86, v98, s7
	v_perm_b32 v71, v69, v71, 0x5040100
	v_cndmask_b32_e64 v84, v84, v96, s8
	s_delay_alu instid0(VALU_DEP_3) | instskip(NEXT) | instid1(VALU_DEP_2)
	v_cndmask_b32_e64 v86, v86, v93, s9
	v_cndmask_b32_e64 v84, v84, v89, s11
	s_delay_alu instid0(VALU_DEP_2) | instskip(NEXT) | instid1(VALU_DEP_1)
	v_cndmask_b32_e64 v86, v86, v100, s10
	v_cndmask_b32_e64 v69, v86, v94, s12
	;; [unrolled: 1-line block ×5, first 2 shown]
	s_delay_alu instid0(VALU_DEP_3) | instskip(NEXT) | instid1(VALU_DEP_3)
	v_cndmask_b32_e64 v86, v86, v88, s17
	v_cndmask_b32_e64 v87, v87, v88, s23
	s_delay_alu instid0(VALU_DEP_3) | instskip(NEXT) | instid1(VALU_DEP_3)
	v_cndmask_b32_e64 v88, v95, v92, s23
	v_cndmask_b32_e64 v86, v86, v96, s19
	;; [unrolled: 3-line block ×7, first 2 shown]
	s_delay_alu instid0(VALU_DEP_3) | instskip(SKIP_2) | instid1(VALU_DEP_2)
	v_cndmask_b32_e64 v88, v88, v94, s29
	v_cndmask_b32_e32 v66, v66, v97, vcc_lo
	v_cndmask_b32_e64 v97, v72, v99, s10
	v_perm_b32 v72, v70, v66, 0x5040100
	v_perm_b32 v70, v83, v103, 0x5040100
	v_cndmask_b32_e64 v103, v91, v85, s5
	v_cndmask_b32_e64 v85, v91, v85, s3
	;; [unrolled: 1-line block ×4, first 2 shown]
	v_lshrrev_b32_e32 v97, 16, v90
	v_cndmask_b32_e64 v91, v103, v92, s17
	v_cndmask_b32_e64 v85, v85, v92, s6
	;; [unrolled: 1-line block ×3, first 2 shown]
	s_mov_b32 s3, exec_lo
	v_cndmask_b32_e64 v83, v84, v97, s15
	v_cndmask_b32_e64 v91, v91, v98, s19
	;; [unrolled: 1-line block ×3, first 2 shown]
	v_lshrrev_b32_e32 v84, 16, v94
	v_cndmask_b32_e64 v66, v66, v97, s18
	v_cndmask_b32_e64 v90, v86, v97, s27
	;; [unrolled: 1-line block ×4, first 2 shown]
	v_dual_cndmask_b32 v86, v87, v97 :: v_dual_cndmask_b32 v87, v88, v84
	v_cndmask_b32_e64 v91, v69, v84, s15
	s_delay_alu instid0(VALU_DEP_4) | instskip(NEXT) | instid1(VALU_DEP_4)
	v_cndmask_b32_e64 v89, v89, v100, s22
	v_cndmask_b32_e64 v85, v85, v100, s13
	v_perm_b32 v69, v102, v101, 0x5040100
	v_perm_b32 v86, v87, v86, 0x5040100
	;; [unrolled: 1-line block ×3, first 2 shown]
	v_cndmask_b32_e64 v89, v89, v94, s24
	v_cndmask_b32_e64 v85, v85, v94, s16
	s_mul_i32 s8, s35, 13
	s_delay_alu instid0(VALU_DEP_2) | instskip(NEXT) | instid1(VALU_DEP_2)
	v_cndmask_b32_e64 v88, v89, v84, s27
	v_cndmask_b32_e64 v89, v85, v84, s18
	s_delay_alu instid0(VALU_DEP_2) | instskip(NEXT) | instid1(VALU_DEP_2)
	v_perm_b32 v85, v88, v90, 0x5040100
	v_perm_b32 v84, v89, v66, 0x5040100
	ds_store_b128 v76, v[69:72]
	ds_store_b128 v76, v[83:86] offset:1024
	v_cmpx_gt_u32_e32 13, v0
	s_cbranch_execz .LBB1882_78
; %bb.77:
	s_mul_i32 s4, s8, s30
	s_delay_alu instid0(SALU_CYCLE_1) | instskip(SKIP_1) | instid1(VALU_DEP_1)
	v_add3_u32 v69, s4, s31, v65
	s_load_b128 s[4:7], s[0:1], 0x58
	v_mad_u64_u32 v[65:66], null, v69, s34, s[14:15]
	s_delay_alu instid0(VALU_DEP_1) | instskip(NEXT) | instid1(VALU_DEP_1)
	v_ashrrev_i32_e32 v66, 31, v65
	v_lshlrev_b64 v[65:66], 2, v[65:66]
	s_waitcnt lgkmcnt(0)
	s_delay_alu instid0(VALU_DEP_1) | instskip(NEXT) | instid1(VALU_DEP_2)
	v_add_co_u32 v69, vcc_lo, s6, v65
	v_add_co_ci_u32_e32 v70, vcc_lo, s7, v66, vcc_lo
	v_add_co_u32 v65, vcc_lo, s4, v65
	v_add_co_ci_u32_e32 v66, vcc_lo, s5, v66, vcc_lo
	global_store_b32 v[69:70], v67, off
	global_store_b32 v[65:66], v68, off
.LBB1882_78:
	s_or_b32 exec_lo, exec_lo, s3
	s_waitcnt lgkmcnt(0)
	s_waitcnt_vscnt null, 0x0
	s_barrier
	buffer_gl0_inv
	ds_load_b128 v[83:86], v80
	ds_load_b128 v[87:90], v80 offset:16
	ds_load_b128 v[95:98], v80 offset:2064
	;; [unrolled: 1-line block ×3, first 2 shown]
	v_mov_b32_e32 v65, 0
	ds_load_b128 v[103:106], v80 offset:4112
	ds_load_b128 v[99:102], v80 offset:4096
	;; [unrolled: 1-line block ×4, first 2 shown]
	v_mov_b32_e32 v66, v65
	v_mov_b32_e32 v67, v65
	;; [unrolled: 1-line block ×7, first 2 shown]
	s_waitcnt lgkmcnt(6)
	s_delay_alu instid0(VALU_DEP_1)
	v_wmma_f32_16x16x16_bf16 v[65:72], v[49:56], v[83:90], v[65:72]
	ds_load_b128 v[53:56], v80 offset:8208
	ds_load_b128 v[49:52], v80 offset:8192
	s_waitcnt lgkmcnt(6)
	v_wmma_f32_16x16x16_bf16 v[65:72], v[41:48], v[91:98], v[65:72]
	ds_load_b128 v[45:48], v80 offset:10256
	ds_load_b128 v[41:44], v80 offset:10240
	s_waitcnt lgkmcnt(6)
	;; [unrolled: 4-line block ×4, first 2 shown]
	v_wmma_f32_16x16x16_bf16 v[65:72], v[1:8], v[49:56], v[65:72]
	s_waitcnt lgkmcnt(4)
	s_delay_alu instid0(VALU_DEP_1) | instskip(SKIP_1) | instid1(VALU_DEP_1)
	v_wmma_f32_16x16x16_bf16 v[65:72], v[9:16], v[41:48], v[65:72]
	s_waitcnt lgkmcnt(2)
	v_wmma_f32_16x16x16_bf16 v[65:72], v[17:24], v[33:40], v[65:72]
	s_waitcnt lgkmcnt(0)
	s_delay_alu instid0(VALU_DEP_1) | instskip(NEXT) | instid1(VALU_DEP_1)
	v_wmma_f32_16x16x16_bf16 v[65:72], v[57:64], v[25:32], v[65:72]
	v_and_b32_e32 v1, 0x7f800000, v65
	s_delay_alu instid0(VALU_DEP_1) | instskip(SKIP_1) | instid1(SALU_CYCLE_1)
	v_cmp_ne_u32_e32 vcc_lo, 0x7f800000, v1
                                        ; implicit-def: $vgpr1
	s_and_saveexec_b32 s3, vcc_lo
	s_xor_b32 s3, exec_lo, s3
; %bb.79:
	v_bfe_u32 v1, v65, 16, 1
	s_delay_alu instid0(VALU_DEP_1)
	v_add3_u32 v1, v65, v1, 0x7fff
; %bb.80:
	s_and_not1_saveexec_b32 s3, s3
; %bb.81:
	v_and_b32_e32 v1, 0xffff, v65
	v_or_b32_e32 v2, 0x10000, v65
	s_delay_alu instid0(VALU_DEP_2) | instskip(NEXT) | instid1(VALU_DEP_2)
	v_cmp_eq_u32_e32 vcc_lo, 0, v1
	v_cndmask_b32_e32 v1, v2, v65, vcc_lo
; %bb.82:
	s_or_b32 exec_lo, exec_lo, s3
	v_and_b32_e32 v2, 0x7f800000, v66
	s_delay_alu instid0(VALU_DEP_1) | instskip(SKIP_1) | instid1(SALU_CYCLE_1)
	v_cmp_ne_u32_e32 vcc_lo, 0x7f800000, v2
                                        ; implicit-def: $vgpr2
	s_and_saveexec_b32 s3, vcc_lo
	s_xor_b32 s3, exec_lo, s3
; %bb.83:
	v_bfe_u32 v2, v66, 16, 1
	s_delay_alu instid0(VALU_DEP_1)
	v_add3_u32 v2, v66, v2, 0x7fff
; %bb.84:
	s_and_not1_saveexec_b32 s3, s3
; %bb.85:
	v_and_b32_e32 v2, 0xffff, v66
	v_or_b32_e32 v3, 0x10000, v66
	s_delay_alu instid0(VALU_DEP_2) | instskip(NEXT) | instid1(VALU_DEP_2)
	v_cmp_eq_u32_e32 vcc_lo, 0, v2
	v_cndmask_b32_e32 v2, v3, v66, vcc_lo
; %bb.86:
	s_or_b32 exec_lo, exec_lo, s3
	v_and_b32_e32 v3, 0x7f800000, v67
	s_delay_alu instid0(VALU_DEP_1) | instskip(SKIP_1) | instid1(SALU_CYCLE_1)
	v_cmp_ne_u32_e32 vcc_lo, 0x7f800000, v3
                                        ; implicit-def: $vgpr3
	s_and_saveexec_b32 s3, vcc_lo
	s_xor_b32 s3, exec_lo, s3
; %bb.87:
	v_bfe_u32 v3, v67, 16, 1
	s_delay_alu instid0(VALU_DEP_1)
	v_add3_u32 v3, v67, v3, 0x7fff
; %bb.88:
	s_and_not1_saveexec_b32 s3, s3
; %bb.89:
	v_and_b32_e32 v3, 0xffff, v67
	v_or_b32_e32 v4, 0x10000, v67
	s_delay_alu instid0(VALU_DEP_2) | instskip(NEXT) | instid1(VALU_DEP_2)
	v_cmp_eq_u32_e32 vcc_lo, 0, v3
	v_cndmask_b32_e32 v3, v4, v67, vcc_lo
; %bb.90:
	s_or_b32 exec_lo, exec_lo, s3
	v_and_b32_e32 v4, 0x7f800000, v68
	s_delay_alu instid0(VALU_DEP_1) | instskip(SKIP_1) | instid1(SALU_CYCLE_1)
	v_cmp_ne_u32_e32 vcc_lo, 0x7f800000, v4
                                        ; implicit-def: $vgpr4
	s_and_saveexec_b32 s3, vcc_lo
	s_xor_b32 s3, exec_lo, s3
; %bb.91:
	v_bfe_u32 v4, v68, 16, 1
	s_delay_alu instid0(VALU_DEP_1)
	v_add3_u32 v4, v68, v4, 0x7fff
; %bb.92:
	s_and_not1_saveexec_b32 s3, s3
; %bb.93:
	v_and_b32_e32 v4, 0xffff, v68
	v_or_b32_e32 v5, 0x10000, v68
	s_delay_alu instid0(VALU_DEP_2) | instskip(NEXT) | instid1(VALU_DEP_2)
	v_cmp_eq_u32_e32 vcc_lo, 0, v4
	v_cndmask_b32_e32 v4, v5, v68, vcc_lo
; %bb.94:
	s_or_b32 exec_lo, exec_lo, s3
	v_and_b32_e32 v5, 0x7f800000, v69
	s_delay_alu instid0(VALU_DEP_1) | instskip(SKIP_1) | instid1(SALU_CYCLE_1)
	v_cmp_ne_u32_e32 vcc_lo, 0x7f800000, v5
                                        ; implicit-def: $vgpr5
	s_and_saveexec_b32 s3, vcc_lo
	s_xor_b32 s3, exec_lo, s3
; %bb.95:
	v_bfe_u32 v5, v69, 16, 1
	s_delay_alu instid0(VALU_DEP_1)
	v_add3_u32 v5, v69, v5, 0x7fff
; %bb.96:
	s_and_not1_saveexec_b32 s3, s3
; %bb.97:
	v_and_b32_e32 v5, 0xffff, v69
	v_or_b32_e32 v6, 0x10000, v69
	s_delay_alu instid0(VALU_DEP_2) | instskip(NEXT) | instid1(VALU_DEP_2)
	v_cmp_eq_u32_e32 vcc_lo, 0, v5
	v_cndmask_b32_e32 v5, v6, v69, vcc_lo
; %bb.98:
	s_or_b32 exec_lo, exec_lo, s3
	v_and_b32_e32 v6, 0x7f800000, v70
	s_delay_alu instid0(VALU_DEP_1) | instskip(SKIP_1) | instid1(SALU_CYCLE_1)
	v_cmp_ne_u32_e32 vcc_lo, 0x7f800000, v6
                                        ; implicit-def: $vgpr6
	s_and_saveexec_b32 s3, vcc_lo
	s_xor_b32 s3, exec_lo, s3
; %bb.99:
	v_bfe_u32 v6, v70, 16, 1
	s_delay_alu instid0(VALU_DEP_1)
	v_add3_u32 v6, v70, v6, 0x7fff
; %bb.100:
	s_and_not1_saveexec_b32 s3, s3
; %bb.101:
	v_and_b32_e32 v6, 0xffff, v70
	v_or_b32_e32 v7, 0x10000, v70
	s_delay_alu instid0(VALU_DEP_2) | instskip(NEXT) | instid1(VALU_DEP_2)
	v_cmp_eq_u32_e32 vcc_lo, 0, v6
	v_cndmask_b32_e32 v6, v7, v70, vcc_lo
; %bb.102:
	s_or_b32 exec_lo, exec_lo, s3
	v_and_b32_e32 v7, 0x7f800000, v71
	s_delay_alu instid0(VALU_DEP_1) | instskip(SKIP_1) | instid1(SALU_CYCLE_1)
	v_cmp_ne_u32_e32 vcc_lo, 0x7f800000, v7
                                        ; implicit-def: $vgpr7
	s_and_saveexec_b32 s3, vcc_lo
	s_xor_b32 s3, exec_lo, s3
; %bb.103:
	v_bfe_u32 v7, v71, 16, 1
	s_delay_alu instid0(VALU_DEP_1)
	v_add3_u32 v7, v71, v7, 0x7fff
; %bb.104:
	s_and_not1_saveexec_b32 s3, s3
; %bb.105:
	v_and_b32_e32 v7, 0xffff, v71
	v_or_b32_e32 v8, 0x10000, v71
	s_delay_alu instid0(VALU_DEP_2) | instskip(NEXT) | instid1(VALU_DEP_2)
	v_cmp_eq_u32_e32 vcc_lo, 0, v7
	v_cndmask_b32_e32 v7, v8, v71, vcc_lo
; %bb.106:
	s_or_b32 exec_lo, exec_lo, s3
	v_and_b32_e32 v8, 0x7f800000, v72
	s_delay_alu instid0(VALU_DEP_1) | instskip(SKIP_1) | instid1(SALU_CYCLE_1)
	v_cmp_ne_u32_e32 vcc_lo, 0x7f800000, v8
                                        ; implicit-def: $vgpr8
	s_and_saveexec_b32 s3, vcc_lo
	s_xor_b32 s3, exec_lo, s3
; %bb.107:
	v_bfe_u32 v8, v72, 16, 1
	s_delay_alu instid0(VALU_DEP_1)
	v_add3_u32 v8, v72, v8, 0x7fff
                                        ; implicit-def: $vgpr65_vgpr66_vgpr67_vgpr68_vgpr69_vgpr70_vgpr71_vgpr72
; %bb.108:
	s_and_not1_saveexec_b32 s3, s3
; %bb.109:
	v_and_b32_e32 v8, 0xffff, v72
	v_or_b32_e32 v9, 0x10000, v72
	s_delay_alu instid0(VALU_DEP_2) | instskip(NEXT) | instid1(VALU_DEP_2)
	v_cmp_eq_u32_e32 vcc_lo, 0, v8
	v_cndmask_b32_e32 v8, v9, v72, vcc_lo
; %bb.110:
	s_or_b32 exec_lo, exec_lo, s3
	s_delay_alu instid0(VALU_DEP_1)
	v_perm_b32 v7, v8, v7, 0x7060302
	v_perm_b32 v6, v6, v5, 0x7060302
	v_perm_b32 v5, v4, v3, 0x7060302
	v_perm_b32 v4, v2, v1, 0x7060302
	s_barrier
	buffer_gl0_inv
	v_cmp_eq_u32_e32 vcc_lo, 1, v78
	ds_store_b128 v76, v[4:7]
	s_waitcnt lgkmcnt(0)
	s_barrier
	buffer_gl0_inv
	ds_load_b128 v[1:4], v82
	ds_load_b128 v[5:8], v82 offset:16
	v_cmp_eq_u32_e64 s3, 1, v79
	v_cmp_eq_u32_e64 s4, 2, v78
	;; [unrolled: 1-line block ×5, first 2 shown]
	s_waitcnt lgkmcnt(1)
	v_lshrrev_b32_e32 v9, 16, v1
	s_waitcnt lgkmcnt(0)
	v_lshrrev_b32_e32 v13, 16, v5
	v_lshrrev_b32_e32 v10, 16, v2
	;; [unrolled: 1-line block ×4, first 2 shown]
	v_cndmask_b32_e64 v19, v1, v9, s3
	v_cndmask_b32_e32 v18, v5, v13, vcc_lo
	v_cndmask_b32_e64 v20, v5, v13, s3
	v_cndmask_b32_e32 v17, v1, v9, vcc_lo
	v_cmp_eq_u32_e32 vcc_lo, 2, v79
	v_lshrrev_b32_e32 v15, 16, v7
	v_cmp_eq_u32_e64 s3, 1, v77
	v_lshrrev_b32_e32 v12, 16, v4
	v_lshrrev_b32_e32 v16, 16, v8
	v_cndmask_b32_e32 v20, v20, v6, vcc_lo
	v_cndmask_b32_e64 v17, v17, v2, s4
	v_cndmask_b32_e32 v19, v19, v2, vcc_lo
	v_cndmask_b32_e64 v18, v18, v6, s4
	v_cmp_eq_u32_e32 vcc_lo, 4, v78
	v_cmp_eq_u32_e64 s4, 3, v79
	v_cndmask_b32_e64 v17, v17, v10, s5
	v_cndmask_b32_e64 v21, v1, v9, s3
	;; [unrolled: 1-line block ×5, first 2 shown]
	v_cndmask_b32_e32 v17, v17, v3, vcc_lo
	v_cndmask_b32_e64 v20, v20, v14, s4
	v_cndmask_b32_e32 v18, v18, v7, vcc_lo
	v_cmp_eq_u32_e32 vcc_lo, 4, v79
	v_cmp_eq_u32_e64 s4, 5, v79
	v_cmp_eq_u32_e64 s3, 2, v81
	v_cndmask_b32_e64 v21, v21, v2, s7
	v_cmp_eq_u32_e64 s5, 5, v78
	v_cndmask_b32_e32 v19, v19, v3, vcc_lo
	v_cndmask_b32_e32 v20, v20, v7, vcc_lo
	v_cmp_eq_u32_e32 vcc_lo, 6, v79
	s_delay_alu instid0(VALU_DEP_4) | instskip(NEXT) | instid1(VALU_DEP_4)
	v_cndmask_b32_e64 v17, v17, v11, s5
	v_cndmask_b32_e64 v19, v19, v11, s4
	s_delay_alu instid0(VALU_DEP_4) | instskip(SKIP_1) | instid1(VALU_DEP_3)
	v_cndmask_b32_e64 v20, v20, v15, s4
	v_cmp_eq_u32_e64 s4, 1, v81
	v_cndmask_b32_e32 v19, v19, v4, vcc_lo
	v_cndmask_b32_e64 v18, v18, v15, s5
	s_delay_alu instid0(VALU_DEP_3)
	v_cndmask_b32_e64 v1, v1, v9, s4
	v_cndmask_b32_e64 v5, v5, v13, s4
	v_cmp_eq_u32_e64 s4, 3, v77
	v_cndmask_b32_e64 v13, v22, v6, s7
	v_cmp_eq_u32_e64 s7, 3, v81
	v_cndmask_b32_e64 v1, v1, v2, s3
	v_cndmask_b32_e64 v2, v5, v6, s3
	;; [unrolled: 1-line block ×3, first 2 shown]
	v_cmp_eq_u32_e64 s3, 4, v77
	v_cndmask_b32_e64 v6, v13, v14, s4
	v_cndmask_b32_e64 v1, v1, v10, s7
	v_cmp_eq_u32_e64 s4, 4, v81
	v_cndmask_b32_e64 v2, v2, v14, s7
	v_cndmask_b32_e64 v5, v9, v3, s3
	;; [unrolled: 3-line block ×3, first 2 shown]
	v_cndmask_b32_e64 v2, v2, v7, s4
	v_cmp_eq_u32_e64 s3, 5, v81
	v_cmp_eq_u32_e64 s5, 6, v78
	v_cndmask_b32_e64 v5, v5, v11, s7
	v_cmp_eq_u32_e64 s4, 6, v77
	v_cndmask_b32_e64 v3, v6, v15, s7
	v_cndmask_b32_e64 v1, v1, v11, s3
	v_cmp_eq_u32_e64 s7, 6, v81
	v_cndmask_b32_e64 v2, v2, v15, s3
	v_cndmask_b32_e64 v17, v17, v4, s5
	v_cndmask_b32_e64 v18, v18, v8, s5
	v_cmp_eq_u32_e64 s5, 7, v78
	v_cndmask_b32_e64 v5, v5, v4, s4
	;; [unrolled: 4-line block ×3, first 2 shown]
	v_cmp_eq_u32_e64 s4, 7, v77
	v_cndmask_b32_e32 v4, v20, v8, vcc_lo
	v_cndmask_b32_e64 v17, v17, v12, s5
	v_cndmask_b32_e64 v19, v19, v12, s6
	;; [unrolled: 1-line block ×8, first 2 shown]
	s_mov_b32 s3, exec_lo
	v_perm_b32 v4, v2, v1, 0x5040100
	v_perm_b32 v3, v3, v5, 0x5040100
	;; [unrolled: 1-line block ×4, first 2 shown]
	ds_store_b128 v76, v[1:4]
	s_waitcnt lgkmcnt(0)
	s_barrier
	buffer_gl0_inv
	v_cmpx_gt_u32_e32 32, v0
	s_cbranch_execz .LBB1882_2
; %bb.111:
	s_load_b64 s[4:5], s[0:1], 0x68
	v_lshlrev_b32_e32 v0, 10, v0
	v_lshlrev_b32_e32 v1, 4, v75
	s_lshl_b32 s0, s34, 7
	v_add_nc_u32_e32 v18, s31, v74
	s_mul_i32 s1, s0, s30
	s_delay_alu instid0(VALU_DEP_2) | instskip(SKIP_1) | instid1(VALU_DEP_2)
	v_and_or_b32 v0, 0x3800, v0, v1
	s_mul_i32 s6, s1, s8
	v_mul_lo_u32 v1, v18, s0
	s_ashr_i32 s7, s6, 31
	v_add_nc_u32_e32 v2, 2, v18
	v_lshl_or_b32 v19, v74, 6, v0
	s_lshl_b64 s[6:7], s[6:7], 1
	v_add_nc_u32_e32 v8, 4, v18
	v_add_nc_u32_e32 v15, 6, v18
	v_mul_lo_u32 v7, v2, s0
	ds_load_b128 v[3:6], v19
	v_ashrrev_i32_e32 v2, 31, v1
	v_mul_lo_u32 v11, v8, s0
	s_waitcnt lgkmcnt(0)
	s_add_u32 s1, s4, s6
	s_addc_u32 s3, s5, s7
	s_lshl_b32 s4, s14, 7
	v_lshlrev_b64 v[9:10], 1, v[1:2]
	s_ashr_i32 s5, s4, 31
	v_ashrrev_i32_e32 v8, 31, v7
	s_lshl_b64 s[4:5], s[4:5], 1
	v_ashrrev_i32_e32 v12, 31, v11
	s_add_u32 s1, s1, s4
	s_addc_u32 s3, s3, s5
	v_add_co_u32 v1, s1, s1, v73
	s_delay_alu instid0(VALU_DEP_1) | instskip(SKIP_1) | instid1(VALU_DEP_3)
	v_add_co_ci_u32_e64 v2, null, s3, 0, s1
	v_mul_lo_u32 v15, v15, s0
	v_add_co_u32 v13, vcc_lo, v1, v9
	s_delay_alu instid0(VALU_DEP_3)
	v_add_co_ci_u32_e32 v14, vcc_lo, v2, v10, vcc_lo
	v_lshlrev_b64 v[16:17], 1, v[7:8]
	ds_load_b128 v[7:10], v19 offset:128
	global_store_b128 v[13:14], v[3:6], off
	v_add_nc_u32_e32 v5, 8, v18
	v_lshlrev_b64 v[3:4], 1, v[11:12]
	v_add_co_u32 v23, vcc_lo, v1, v16
	v_ashrrev_i32_e32 v16, 31, v15
	s_delay_alu instid0(VALU_DEP_4) | instskip(SKIP_3) | instid1(VALU_DEP_3)
	v_mul_lo_u32 v25, v5, s0
	v_add_nc_u32_e32 v5, 10, v18
	v_add_co_ci_u32_e32 v24, vcc_lo, v2, v17, vcc_lo
	v_add_co_u32 v27, vcc_lo, v1, v3
	v_mul_lo_u32 v29, v5, s0
	v_add_co_ci_u32_e32 v28, vcc_lo, v2, v4, vcc_lo
	v_lshlrev_b64 v[31:32], 1, v[15:16]
	ds_load_b128 v[3:6], v19 offset:256
	ds_load_b128 v[11:14], v19 offset:384
	;; [unrolled: 1-line block ×4, first 2 shown]
	v_ashrrev_i32_e32 v26, 31, v25
	v_ashrrev_i32_e32 v30, 31, v29
	v_add_co_u32 v31, vcc_lo, v1, v31
	s_delay_alu instid0(VALU_DEP_3) | instskip(SKIP_1) | instid1(VALU_DEP_4)
	v_lshlrev_b64 v[25:26], 1, v[25:26]
	v_add_co_ci_u32_e32 v32, vcc_lo, v2, v32, vcc_lo
	v_lshlrev_b64 v[29:30], 1, v[29:30]
	s_delay_alu instid0(VALU_DEP_3) | instskip(NEXT) | instid1(VALU_DEP_4)
	v_add_co_u32 v25, vcc_lo, v1, v25
	v_add_co_ci_u32_e32 v26, vcc_lo, v2, v26, vcc_lo
	s_delay_alu instid0(VALU_DEP_3) | instskip(NEXT) | instid1(VALU_DEP_4)
	v_add_co_u32 v29, vcc_lo, v1, v29
	v_add_co_ci_u32_e32 v30, vcc_lo, v2, v30, vcc_lo
	s_waitcnt lgkmcnt(4)
	global_store_b128 v[23:24], v[7:10], off
	s_waitcnt lgkmcnt(3)
	global_store_b128 v[27:28], v[3:6], off
	;; [unrolled: 2-line block ×5, first 2 shown]
	s_and_b32 exec_lo, exec_lo, s2
	s_cbranch_execz .LBB1882_2
; %bb.112:
	ds_load_b128 v[3:6], v0 offset:768
	s_add_i32 s1, s31, 12
	s_delay_alu instid0(SALU_CYCLE_1) | instskip(NEXT) | instid1(SALU_CYCLE_1)
	s_mul_i32 s0, s1, s0
	s_ashr_i32 s1, s0, 31
	s_delay_alu instid0(SALU_CYCLE_1) | instskip(NEXT) | instid1(SALU_CYCLE_1)
	s_lshl_b64 s[0:1], s[0:1], 1
	v_add_co_u32 v0, vcc_lo, v1, s0
	v_add_co_ci_u32_e32 v1, vcc_lo, s1, v2, vcc_lo
	s_waitcnt lgkmcnt(0)
	global_store_b128 v[0:1], v[3:6], off
	s_nop 0
	s_sendmsg sendmsg(MSG_DEALLOC_VGPRS)
	s_endpgm
	.section	.rodata,"a",@progbits
	.p2align	6, 0x0
	.amdhsa_kernel _Z39paged_attention_ll4mi_QKV_mfma16_kernelI14__hip_bfloat16hLN4vllm18Fp8KVCacheDataTypeE1EhLi32ELi128ELi256ELb0ELi13EL8MFMAType0EEvPKT_PKT0_S9_ifPKiSB_SB_iPKfiiiPfSE_PS4_PT2_iSD_SD_
		.amdhsa_group_segment_fixed_size 17472
		.amdhsa_private_segment_fixed_size 0
		.amdhsa_kernarg_size 400
		.amdhsa_user_sgpr_count 13
		.amdhsa_user_sgpr_dispatch_ptr 0
		.amdhsa_user_sgpr_queue_ptr 0
		.amdhsa_user_sgpr_kernarg_segment_ptr 1
		.amdhsa_user_sgpr_dispatch_id 0
		.amdhsa_user_sgpr_private_segment_size 0
		.amdhsa_wavefront_size32 1
		.amdhsa_uses_dynamic_stack 0
		.amdhsa_enable_private_segment 0
		.amdhsa_system_sgpr_workgroup_id_x 1
		.amdhsa_system_sgpr_workgroup_id_y 1
		.amdhsa_system_sgpr_workgroup_id_z 1
		.amdhsa_system_sgpr_workgroup_info 0
		.amdhsa_system_vgpr_workitem_id 0
		.amdhsa_next_free_vgpr 140
		.amdhsa_next_free_sgpr 36
		.amdhsa_reserve_vcc 1
		.amdhsa_float_round_mode_32 0
		.amdhsa_float_round_mode_16_64 0
		.amdhsa_float_denorm_mode_32 3
		.amdhsa_float_denorm_mode_16_64 3
		.amdhsa_dx10_clamp 1
		.amdhsa_ieee_mode 1
		.amdhsa_fp16_overflow 0
		.amdhsa_workgroup_processor_mode 1
		.amdhsa_memory_ordered 1
		.amdhsa_forward_progress 0
		.amdhsa_shared_vgpr_count 0
		.amdhsa_exception_fp_ieee_invalid_op 0
		.amdhsa_exception_fp_denorm_src 0
		.amdhsa_exception_fp_ieee_div_zero 0
		.amdhsa_exception_fp_ieee_overflow 0
		.amdhsa_exception_fp_ieee_underflow 0
		.amdhsa_exception_fp_ieee_inexact 0
		.amdhsa_exception_int_div_zero 0
	.end_amdhsa_kernel
	.section	.text._Z39paged_attention_ll4mi_QKV_mfma16_kernelI14__hip_bfloat16hLN4vllm18Fp8KVCacheDataTypeE1EhLi32ELi128ELi256ELb0ELi13EL8MFMAType0EEvPKT_PKT0_S9_ifPKiSB_SB_iPKfiiiPfSE_PS4_PT2_iSD_SD_,"axG",@progbits,_Z39paged_attention_ll4mi_QKV_mfma16_kernelI14__hip_bfloat16hLN4vllm18Fp8KVCacheDataTypeE1EhLi32ELi128ELi256ELb0ELi13EL8MFMAType0EEvPKT_PKT0_S9_ifPKiSB_SB_iPKfiiiPfSE_PS4_PT2_iSD_SD_,comdat
.Lfunc_end1882:
	.size	_Z39paged_attention_ll4mi_QKV_mfma16_kernelI14__hip_bfloat16hLN4vllm18Fp8KVCacheDataTypeE1EhLi32ELi128ELi256ELb0ELi13EL8MFMAType0EEvPKT_PKT0_S9_ifPKiSB_SB_iPKfiiiPfSE_PS4_PT2_iSD_SD_, .Lfunc_end1882-_Z39paged_attention_ll4mi_QKV_mfma16_kernelI14__hip_bfloat16hLN4vllm18Fp8KVCacheDataTypeE1EhLi32ELi128ELi256ELb0ELi13EL8MFMAType0EEvPKT_PKT0_S9_ifPKiSB_SB_iPKfiiiPfSE_PS4_PT2_iSD_SD_
                                        ; -- End function
	.section	.AMDGPU.csdata,"",@progbits
; Kernel info:
; codeLenInByte = 9100
; NumSgprs: 38
; NumVgprs: 140
; ScratchSize: 0
; MemoryBound: 0
; FloatMode: 240
; IeeeMode: 1
; LDSByteSize: 17472 bytes/workgroup (compile time only)
; SGPRBlocks: 4
; VGPRBlocks: 17
; NumSGPRsForWavesPerEU: 38
; NumVGPRsForWavesPerEU: 140
; Occupancy: 10
; WaveLimiterHint : 1
; COMPUTE_PGM_RSRC2:SCRATCH_EN: 0
; COMPUTE_PGM_RSRC2:USER_SGPR: 13
; COMPUTE_PGM_RSRC2:TRAP_HANDLER: 0
; COMPUTE_PGM_RSRC2:TGID_X_EN: 1
; COMPUTE_PGM_RSRC2:TGID_Y_EN: 1
; COMPUTE_PGM_RSRC2:TGID_Z_EN: 1
; COMPUTE_PGM_RSRC2:TIDIG_COMP_CNT: 0
	.section	.text._Z39paged_attention_ll4mi_QKV_mfma16_kernelI14__hip_bfloat16hLN4vllm18Fp8KVCacheDataTypeE1EhLi32ELi128ELi256ELb0ELi14EL8MFMAType0EEvPKT_PKT0_S9_ifPKiSB_SB_iPKfiiiPfSE_PS4_PT2_iSD_SD_,"axG",@progbits,_Z39paged_attention_ll4mi_QKV_mfma16_kernelI14__hip_bfloat16hLN4vllm18Fp8KVCacheDataTypeE1EhLi32ELi128ELi256ELb0ELi14EL8MFMAType0EEvPKT_PKT0_S9_ifPKiSB_SB_iPKfiiiPfSE_PS4_PT2_iSD_SD_,comdat
	.protected	_Z39paged_attention_ll4mi_QKV_mfma16_kernelI14__hip_bfloat16hLN4vllm18Fp8KVCacheDataTypeE1EhLi32ELi128ELi256ELb0ELi14EL8MFMAType0EEvPKT_PKT0_S9_ifPKiSB_SB_iPKfiiiPfSE_PS4_PT2_iSD_SD_ ; -- Begin function _Z39paged_attention_ll4mi_QKV_mfma16_kernelI14__hip_bfloat16hLN4vllm18Fp8KVCacheDataTypeE1EhLi32ELi128ELi256ELb0ELi14EL8MFMAType0EEvPKT_PKT0_S9_ifPKiSB_SB_iPKfiiiPfSE_PS4_PT2_iSD_SD_
	.globl	_Z39paged_attention_ll4mi_QKV_mfma16_kernelI14__hip_bfloat16hLN4vllm18Fp8KVCacheDataTypeE1EhLi32ELi128ELi256ELb0ELi14EL8MFMAType0EEvPKT_PKT0_S9_ifPKiSB_SB_iPKfiiiPfSE_PS4_PT2_iSD_SD_
	.p2align	8
	.type	_Z39paged_attention_ll4mi_QKV_mfma16_kernelI14__hip_bfloat16hLN4vllm18Fp8KVCacheDataTypeE1EhLi32ELi128ELi256ELb0ELi14EL8MFMAType0EEvPKT_PKT0_S9_ifPKiSB_SB_iPKfiiiPfSE_PS4_PT2_iSD_SD_,@function
_Z39paged_attention_ll4mi_QKV_mfma16_kernelI14__hip_bfloat16hLN4vllm18Fp8KVCacheDataTypeE1EhLi32ELi128ELi256ELb0ELi14EL8MFMAType0EEvPKT_PKT0_S9_ifPKiSB_SB_iPKfiiiPfSE_PS4_PT2_iSD_SD_: ; @_Z39paged_attention_ll4mi_QKV_mfma16_kernelI14__hip_bfloat16hLN4vllm18Fp8KVCacheDataTypeE1EhLi32ELi128ELi256ELb0ELi14EL8MFMAType0EEvPKT_PKT0_S9_ifPKiSB_SB_iPKfiiiPfSE_PS4_PT2_iSD_SD_
; %bb.0:
	s_load_b64 s[4:5], s[0:1], 0x30
	s_mov_b32 s30, s13
	s_waitcnt lgkmcnt(0)
	s_cmp_lg_u64 s[4:5], 0
	s_cselect_b32 s13, -1, 0
	s_ashr_i32 s31, s30, 31
	s_cmp_eq_u64 s[4:5], 0
	s_cbranch_scc1 .LBB1883_3
; %bb.1:
	s_lshl_b64 s[2:3], s[30:31], 2
	s_delay_alu instid0(SALU_CYCLE_1) | instskip(SKIP_4) | instid1(SALU_CYCLE_1)
	s_add_u32 s2, s4, s2
	s_addc_u32 s3, s5, s3
	s_load_b64 s[2:3], s[2:3], 0x0
	s_waitcnt lgkmcnt(0)
	s_sub_i32 s2, s3, s2
	s_cmp_eq_u32 s2, 1
	s_cselect_b32 s2, -1, 0
	s_delay_alu instid0(SALU_CYCLE_1)
	s_and_not1_b32 vcc_lo, exec_lo, s2
	s_cbranch_vccz .LBB1883_4
.LBB1883_2:
	s_endpgm
.LBB1883_3:
.LBB1883_4:
	s_load_b64 s[2:3], s[0:1], 0x28
	s_lshl_b64 s[6:7], s[30:31], 2
	s_waitcnt lgkmcnt(0)
	s_add_u32 s2, s2, s6
	s_addc_u32 s3, s3, s7
	s_lshl_b32 s12, s14, 8
	s_load_b32 s17, s[2:3], 0x0
	s_waitcnt lgkmcnt(0)
	s_cmp_ge_i32 s12, s17
	s_cbranch_scc1 .LBB1883_2
; %bb.5:
	s_clause 0x1
	s_load_b128 s[8:11], s[0:1], 0x8
	s_load_b64 s[2:3], s[0:1], 0x20
	s_and_not1_b32 vcc_lo, exec_lo, s13
	s_cbranch_vccnz .LBB1883_7
; %bb.6:
	s_add_u32 s4, s4, s6
	s_addc_u32 s5, s5, s7
	s_load_b32 s13, s[4:5], 0x0
	s_branch .LBB1883_8
.LBB1883_7:
	s_mov_b32 s13, s30
.LBB1883_8:
	s_load_b128 s[4:7], s[0:1], 0x48
	v_and_b32_e32 v65, 15, v0
	v_lshrrev_b32_e32 v66, 5, v0
	v_and_b32_e32 v67, 31, v0
	v_and_b32_e32 v75, 1, v0
	v_bfe_u32 v74, v0, 4, 1
	v_lshlrev_b32_e32 v1, 3, v65
	s_mul_i32 s29, s15, 14
	s_waitcnt lgkmcnt(0)
	s_mov_b32 s7, exec_lo
	s_delay_alu instid0(VALU_DEP_1)
	v_lshlrev_b32_e32 v73, 1, v1
	v_cmpx_gt_u32_e32 0xe0, v0
	s_cbranch_execz .LBB1883_10
; %bb.9:
	s_load_b64 s[18:19], s[0:1], 0x0
	v_lshl_or_b32 v5, v66, 1, v74
	s_mul_hi_i32 s21, s13, s4
	s_mul_i32 s20, s13, s4
	v_lshlrev_b32_e32 v6, 10, v65
	s_lshl_b64 s[20:21], s[20:21], 1
	v_add_lshl_u32 v1, v5, s29, 7
	v_lshlrev_b32_e32 v5, 6, v5
	v_lshlrev_b32_e32 v7, 10, v75
	v_and_b32_e32 v6, 0x3800, v6
	s_delay_alu instid0(VALU_DEP_4) | instskip(NEXT) | instid1(VALU_DEP_2)
	v_ashrrev_i32_e32 v2, 31, v1
	v_or3_b32 v5, v6, v7, v5
	s_delay_alu instid0(VALU_DEP_2) | instskip(SKIP_3) | instid1(VALU_DEP_1)
	v_lshlrev_b64 v[1:2], 1, v[1:2]
	s_waitcnt lgkmcnt(0)
	s_add_u32 s4, s18, s20
	s_addc_u32 s13, s19, s21
	v_add_co_u32 v1, vcc_lo, s4, v1
	s_delay_alu instid0(VALU_DEP_2) | instskip(NEXT) | instid1(VALU_DEP_2)
	v_add_co_ci_u32_e32 v2, vcc_lo, s13, v2, vcc_lo
	v_add_co_u32 v1, vcc_lo, v1, v73
	s_delay_alu instid0(VALU_DEP_2)
	v_add_co_ci_u32_e32 v2, vcc_lo, 0, v2, vcc_lo
	global_load_b128 v[1:4], v[1:2], off
	s_waitcnt vmcnt(0)
	ds_store_b128 v5, v[1:4]
.LBB1883_10:
	s_or_b32 exec_lo, exec_lo, s7
	v_and_b32_e32 v1, 0xef, v0
	s_add_i32 s4, s17, 31
	s_clause 0x1
	s_load_b32 s7, s[0:1], 0x38
	s_load_b32 s18, s[0:1], 0x1c
	s_ashr_i32 s13, s4, 31
	v_add_nc_u32_e32 v1, s12, v1
	s_lshr_b32 s13, s13, 27
	s_waitcnt lgkmcnt(0)
	s_add_i32 s4, s4, s13
	s_barrier
	v_ashrrev_i32_e32 v2, 31, v1
	v_or_b32_e32 v3, 16, v1
	s_ashr_i32 s4, s4, 5
	v_cmp_gt_i32_e32 vcc_lo, s17, v1
	s_add_i32 s4, s4, -1
	v_lshrrev_b32_e32 v2, 27, v2
	buffer_gl0_inv
	s_mul_i32 s15, s15, s6
	v_add_nc_u32_e32 v4, v1, v2
	s_mul_i32 s20, s30, s7
	s_delay_alu instid0(SALU_CYCLE_1) | instskip(NEXT) | instid1(VALU_DEP_1)
	s_ashr_i32 s21, s20, 31
	v_ashrrev_i32_e32 v4, 5, v4
	v_add_nc_u32_e32 v2, v3, v2
	s_lshl_b64 s[20:21], s[20:21], 2
	s_delay_alu instid0(SALU_CYCLE_1) | instskip(NEXT) | instid1(VALU_DEP_2)
	s_add_u32 s13, s2, s20
	v_cndmask_b32_e32 v1, s4, v4, vcc_lo
	s_delay_alu instid0(VALU_DEP_2)
	v_ashrrev_i32_e32 v2, 5, v2
	v_cmp_gt_i32_e32 vcc_lo, s17, v3
	s_addc_u32 s16, s3, s21
	s_ashr_i32 s19, s15, 31
	s_add_u32 s2, s8, s15
	s_addc_u32 s3, s9, s19
	v_cndmask_b32_e32 v3, s4, v2, vcc_lo
	v_ashrrev_i32_e32 v2, 31, v1
	s_lshl_b32 s6, s14, 3
	s_delay_alu instid0(SALU_CYCLE_1) | instskip(NEXT) | instid1(VALU_DEP_2)
	s_ashr_i32 s7, s6, 31
	v_ashrrev_i32_e32 v4, 31, v3
	s_delay_alu instid0(VALU_DEP_2) | instskip(SKIP_1) | instid1(SALU_CYCLE_1)
	v_lshlrev_b64 v[1:2], 2, v[1:2]
	s_lshl_b64 s[6:7], s[6:7], 2
	s_add_u32 s6, s13, s6
	s_delay_alu instid0(VALU_DEP_2) | instskip(SKIP_1) | instid1(VALU_DEP_2)
	v_lshlrev_b64 v[3:4], 2, v[3:4]
	s_addc_u32 s7, s16, s7
	v_add_co_u32 v1, vcc_lo, s13, v1
	v_add_co_ci_u32_e32 v2, vcc_lo, s16, v2, vcc_lo
	s_delay_alu instid0(VALU_DEP_3) | instskip(NEXT) | instid1(VALU_DEP_4)
	v_add_co_u32 v3, vcc_lo, s13, v3
	v_add_co_ci_u32_e32 v4, vcc_lo, s16, v4, vcc_lo
	s_clause 0x1
	global_load_b32 v5, v[1:2], off
	global_load_b32 v6, v[3:4], off
	s_or_b32 s8, s12, 32
	s_delay_alu instid0(SALU_CYCLE_1) | instskip(SKIP_2) | instid1(SALU_CYCLE_1)
	s_ashr_i32 s9, s8, 5
	s_cmp_lt_i32 s8, s17
	s_cselect_b32 s8, s9, s4
	s_ashr_i32 s9, s8, 31
	s_delay_alu instid0(SALU_CYCLE_1) | instskip(NEXT) | instid1(SALU_CYCLE_1)
	s_lshl_b64 s[8:9], s[8:9], 2
	s_add_u32 s8, s13, s8
	s_addc_u32 s9, s16, s9
	s_or_b32 s20, s12, 64
	s_delay_alu instid0(SALU_CYCLE_1) | instskip(SKIP_2) | instid1(SALU_CYCLE_1)
	s_ashr_i32 s21, s20, 5
	s_cmp_lt_i32 s20, s17
	s_cselect_b32 s20, s21, s4
	s_ashr_i32 s21, s20, 31
	s_delay_alu instid0(SALU_CYCLE_1) | instskip(NEXT) | instid1(SALU_CYCLE_1)
	s_lshl_b64 s[20:21], s[20:21], 2
	s_add_u32 s20, s13, s20
	s_addc_u32 s21, s16, s21
	;; [unrolled: 10-line block ×5, first 2 shown]
	s_clause 0x5
	s_load_b32 s28, s[6:7], 0x0
	s_load_b32 s8, s[8:9], 0x0
	;; [unrolled: 1-line block ×6, first 2 shown]
	s_mov_b32 s20, 0
	s_delay_alu instid0(SALU_CYCLE_1)
	s_mov_b32 s21, s20
	s_mov_b32 s22, s20
	;; [unrolled: 1-line block ×7, first 2 shown]
	s_delay_alu instid0(SALU_CYCLE_1)
	v_dual_mov_b32 v107, s27 :: v_dual_mov_b32 v106, s26
	v_dual_mov_b32 v104, s24 :: v_dual_mov_b32 v103, s23
	;; [unrolled: 1-line block ×3, first 2 shown]
	v_mov_b32_e32 v100, s20
	s_waitcnt vmcnt(1)
	v_mad_i64_i32 v[1:2], null, v5, s5, s[2:3]
	v_lshlrev_b32_e32 v5, 4, v65
	s_waitcnt vmcnt(0)
	v_mad_i64_i32 v[3:4], null, v6, s5, s[2:3]
	s_or_b32 s2, s12, 0xc0
	s_delay_alu instid0(SALU_CYCLE_1) | instskip(NEXT) | instid1(VALU_DEP_3)
	s_ashr_i32 s3, s2, 5
	v_add_co_u32 v33, vcc_lo, v1, v5
	s_delay_alu instid0(VALU_DEP_4) | instskip(NEXT) | instid1(VALU_DEP_3)
	v_add_co_ci_u32_e32 v34, vcc_lo, 0, v2, vcc_lo
	v_add_co_u32 v35, vcc_lo, v3, v5
	s_delay_alu instid0(VALU_DEP_4)
	v_add_co_ci_u32_e32 v36, vcc_lo, 0, v4, vcc_lo
	s_clause 0xf
	global_load_b128 v[1:4], v[33:34], off
	global_load_b128 v[5:8], v[33:34], off offset:512
	global_load_b128 v[9:12], v[35:36], off offset:256
	;; [unrolled: 1-line block ×15, first 2 shown]
	s_cmp_lt_i32 s2, s17
	v_add_nc_u32_e32 v33, -14, v65
	s_cselect_b32 s2, s3, s4
	v_cmp_gt_u32_e32 vcc_lo, 14, v65
	s_ashr_i32 s3, s2, 31
	v_lshlrev_b32_e32 v34, 5, v65
	s_lshl_b64 s[2:3], s[2:3], 2
	s_delay_alu instid0(SALU_CYCLE_1)
	s_add_u32 s2, s13, s2
	s_addc_u32 s3, s16, s3
	s_or_b32 s6, s12, 0xe0
	v_cndmask_b32_e32 v33, v33, v65, vcc_lo
	s_ashr_i32 s7, s6, 5
	s_cmp_lt_i32 s6, s17
	v_mov_b32_e32 v105, s25
	s_cselect_b32 s6, s7, s4
	v_lshlrev_b32_e32 v72, 6, v33
	s_ashr_i32 s7, s6, 31
	v_lshl_or_b32 v41, v66, 9, v34
	s_lshl_b64 s[6:7], s[6:7], 2
	ds_load_b128 v[33:36], v72
	ds_load_b128 v[37:40], v72 offset:1024
	ds_load_b128 v[108:111], v72 offset:2048
	ds_load_b128 v[112:115], v72 offset:3072
	s_load_b32 s4, s[2:3], 0x0
	s_add_u32 s2, s13, s6
	s_addc_u32 s3, s16, s7
	ds_load_b128 v[116:119], v72 offset:4096
	ds_load_b128 v[120:123], v72 offset:5120
	s_load_b32 s2, s[2:3], 0x0
	s_add_u32 s6, s10, s15
	s_addc_u32 s7, s11, s19
	v_add_co_u32 v68, s6, s6, v41
	s_delay_alu instid0(VALU_DEP_1) | instskip(SKIP_1) | instid1(VALU_DEP_1)
	v_add_co_ci_u32_e64 v69, null, s7, 0, s6
	s_waitcnt lgkmcnt(0)
	v_mad_i64_i32 v[41:42], null, s28, s5, v[68:69]
	v_mad_i64_i32 v[70:71], null, s9, s5, v[68:69]
	;; [unrolled: 1-line block ×7, first 2 shown]
	s_clause 0x3
	global_load_b128 v[49:52], v[41:42], off
	global_load_b128 v[53:56], v[41:42], off offset:16
	global_load_b128 v[41:44], v[45:46], off
	global_load_b128 v[45:48], v[45:46], off offset:16
	s_waitcnt vmcnt(18)
	v_wmma_f32_16x16x16_bf16 v[124:131], v[1:8], v[33:40], v[100:107]
	s_waitcnt vmcnt(16)
	v_wmma_f32_16x16x16_bf16 v[100:107], v[9:16], v[33:40], v[100:107]
	s_clause 0x1
	global_load_b128 v[33:36], v[70:71], off
	global_load_b128 v[37:40], v[70:71], off offset:16
	v_mad_i64_i32 v[70:71], null, s2, s5, v[68:69]
	s_waitcnt vmcnt(16)
	v_wmma_f32_16x16x16_bf16 v[124:131], v[17:24], v[108:115], v[124:131]
	s_waitcnt vmcnt(14)
	v_wmma_f32_16x16x16_bf16 v[100:107], v[25:32], v[108:115], v[100:107]
	s_clause 0x7
	global_load_b128 v[25:28], v[132:133], off
	global_load_b128 v[29:32], v[132:133], off offset:16
	global_load_b128 v[1:4], v[134:135], off
	global_load_b128 v[5:8], v[134:135], off offset:16
	;; [unrolled: 2-line block ×4, first 2 shown]
	s_waitcnt vmcnt(20)
	v_wmma_f32_16x16x16_bf16 v[124:131], v[57:64], v[116:123], v[124:131]
	s_clause 0x1
	global_load_b128 v[57:60], v[70:71], off
	global_load_b128 v[61:64], v[70:71], off offset:16
	s_waitcnt vmcnt(20)
	v_wmma_f32_16x16x16_bf16 v[100:107], v[76:83], v[116:123], v[100:107]
	ds_load_b128 v[76:79], v72 offset:6144
	ds_load_b128 v[80:83], v72 offset:7168
	v_and_b32_e32 v68, 0xe0, v0
	v_mbcnt_lo_u32_b32 v69, -1, 0
	s_waitcnt vmcnt(0) lgkmcnt(0)
	s_barrier
	buffer_gl0_inv
	v_add_nc_u32_e32 v68, s12, v68
	v_xor_b32_e32 v70, 16, v69
	s_delay_alu instid0(VALU_DEP_2) | instskip(NEXT) | instid1(VALU_DEP_2)
	v_or_b32_e32 v68, v68, v74
	v_cmp_gt_i32_e32 vcc_lo, 32, v70
	s_delay_alu instid0(VALU_DEP_2)
	v_or_b32_e32 v71, 4, v68
	v_or_b32_e32 v72, 6, v68
	v_cmp_gt_i32_e64 s2, s17, v68
	v_or_b32_e32 v108, 8, v68
	v_wmma_f32_16x16x16_bf16 v[124:131], v[84:91], v[76:83], v[124:131]
	v_cndmask_b32_e32 v69, v69, v70, vcc_lo
	v_or_b32_e32 v70, 2, v68
	v_wmma_f32_16x16x16_bf16 v[100:107], v[92:99], v[76:83], v[100:107]
	v_or_b32_e32 v109, 10, v68
	v_dual_mul_f32 v80, s18, v129 :: v_dual_mul_f32 v81, s18, v128
	v_dual_mul_f32 v92, s18, v125 :: v_dual_mul_f32 v93, s18, v124
	s_delay_alu instid0(VALU_DEP_4)
	v_mul_f32_e32 v96, s18, v105
	v_cmp_gt_i32_e32 vcc_lo, s17, v70
	v_or_b32_e32 v89, 22, v68
	v_dual_mul_f32 v79, s18, v130 :: v_dual_mul_f32 v82, s18, v127
	v_dual_mul_f32 v83, s18, v126 :: v_dual_mul_f32 v94, s18, v107
	v_cndmask_b32_e64 v93, 0xff7fffff, v93, s2
	v_cndmask_b32_e32 v92, 0xff7fffff, v92, vcc_lo
	v_cmp_gt_i32_e64 s3, s17, v71
	v_cmp_gt_i32_e64 s4, s17, v72
	v_or_b32_e32 v84, 12, v68
	v_or_b32_e32 v85, 14, v68
	v_cmp_gt_i32_e64 s5, s17, v108
	v_cndmask_b32_e64 v71, 0xff7fffff, v83, s3
	v_cndmask_b32_e64 v72, 0xff7fffff, v82, s4
	v_cmp_gt_i32_e64 s6, s17, v109
	v_cmp_gt_i32_e64 s12, s17, v89
	v_lshlrev_b32_e32 v89, 2, v69
	v_max3_f32 v82, v93, 0xff7fffff, v92
	v_or_b32_e32 v86, 16, v68
	v_or_b32_e32 v87, 18, v68
	v_mul_f32_e32 v78, s18, v131
	v_cndmask_b32_e64 v81, 0xff7fffff, v81, s5
	v_cndmask_b32_e64 v80, 0xff7fffff, v80, s6
	v_max3_f32 v71, v82, v71, v72
	v_cmp_gt_i32_e64 s7, s17, v84
	v_cmp_gt_i32_e64 s8, s17, v85
	v_or_b32_e32 v88, 20, v68
	v_or_b32_e32 v90, 24, v68
	;; [unrolled: 1-line block ×5, first 2 shown]
	v_dual_mul_f32 v97, s18, v104 :: v_dual_mul_f32 v70, s18, v101
	v_dual_mul_f32 v99, s18, v102 :: v_dual_mul_f32 v68, s18, v100
	v_cndmask_b32_e64 v72, 0xff7fffff, v79, s7
	v_cndmask_b32_e64 v78, 0xff7fffff, v78, s8
	v_max3_f32 v71, v71, v81, v80
	v_cmp_gt_i32_e64 s9, s17, v86
	v_cmp_gt_i32_e64 s10, s17, v87
	v_dual_mul_f32 v95, s18, v106 :: v_dual_mul_f32 v98, s18, v103
	s_delay_alu instid0(VALU_DEP_4) | instskip(NEXT) | instid1(VALU_DEP_4)
	v_max3_f32 v71, v71, v72, v78
	v_cndmask_b32_e64 v68, 0xff7fffff, v68, s9
	s_delay_alu instid0(VALU_DEP_4)
	v_cndmask_b32_e64 v70, 0xff7fffff, v70, s10
	v_cmp_gt_i32_e64 s11, s17, v88
	v_cndmask_b32_e64 v78, 0xff7fffff, v98, s12
	v_cmp_gt_i32_e64 s13, s17, v90
	v_cmp_gt_i32_e64 s15, s17, v91
	v_max3_f32 v68, v71, v68, v70
	v_cndmask_b32_e64 v72, 0xff7fffff, v99, s11
	v_cmp_gt_i32_e64 s16, s17, v76
	v_cndmask_b32_e64 v70, 0xff7fffff, v97, s13
	v_cndmask_b32_e64 v71, 0xff7fffff, v96, s15
	v_cmp_gt_i32_e64 s17, s17, v77
	v_max3_f32 v68, v68, v72, v78
	v_cndmask_b32_e64 v72, 0xff7fffff, v95, s16
	s_delay_alu instid0(VALU_DEP_3) | instskip(NEXT) | instid1(VALU_DEP_3)
	v_cndmask_b32_e64 v76, 0xff7fffff, v94, s17
	v_max3_f32 v68, v68, v70, v71
	s_delay_alu instid0(VALU_DEP_1) | instskip(SKIP_3) | instid1(VALU_DEP_1)
	v_max3_f32 v68, v68, v72, v76
	ds_bpermute_b32 v69, v89, v68
	s_waitcnt lgkmcnt(0)
	v_max_f32_e32 v69, v69, v69
	v_max_f32_e32 v68, v68, v69
	s_delay_alu instid0(VALU_DEP_1) | instskip(NEXT) | instid1(VALU_DEP_1)
	v_fma_f32 v71, s18, v126, -v68
	v_mul_f32_e32 v71, 0x3fb8aa3b, v71
	v_fma_f32 v70, s18, v125, -v68
	v_fma_f32 v69, s18, v124, -v68
	;; [unrolled: 1-line block ×5, first 2 shown]
	s_delay_alu instid0(VALU_DEP_4) | instskip(SKIP_1) | instid1(VALU_DEP_3)
	v_dual_mul_f32 v70, 0x3fb8aa3b, v70 :: v_dual_mul_f32 v69, 0x3fb8aa3b, v69
	v_exp_f32_e32 v71, v71
	v_mul_f32_e32 v72, 0x3fb8aa3b, v72
	v_fma_f32 v81, s18, v105, -v68
	s_delay_alu instid0(VALU_DEP_3)
	v_exp_f32_e32 v70, v70
	v_mul_f32_e32 v77, 0x3fb8aa3b, v76
	v_exp_f32_e32 v69, v69
	v_exp_f32_e32 v72, v72
	v_mul_f32_e32 v81, 0x3fb8aa3b, v81
	v_cndmask_b32_e64 v83, 0, v71, s3
	v_fma_f32 v71, s18, v131, -v68
	s_delay_alu instid0(VALU_DEP_3) | instskip(SKIP_4) | instid1(TRANS32_DEP_3)
	v_exp_f32_e32 v81, v81
	v_cndmask_b32_e32 v76, 0, v70, vcc_lo
	v_exp_f32_e32 v77, v77
	v_cndmask_b32_e64 v80, 0, v69, s2
	v_fma_f32 v69, s18, v129, -v68
	v_cndmask_b32_e64 v85, 0, v72, s4
	v_mul_f32_e32 v71, 0x3fb8aa3b, v71
	v_fma_f32 v72, s18, v100, -v68
	s_delay_alu instid0(VALU_DEP_4) | instskip(SKIP_1) | instid1(VALU_DEP_3)
	v_dual_add_f32 v70, 0, v80 :: v_dual_mul_f32 v69, 0x3fb8aa3b, v69
	s_mov_b32 s2, exec_lo
	v_exp_f32_e32 v71, v71
	s_delay_alu instid0(TRANS32_DEP_2) | instskip(SKIP_4) | instid1(VALU_DEP_3)
	v_cndmask_b32_e64 v86, 0, v77, s5
	v_fma_f32 v77, s18, v101, -v68
	v_mul_f32_e32 v78, 0x3fb8aa3b, v78
	v_add_f32_e32 v70, v70, v76
	v_exp_f32_e32 v69, v69
	v_mul_f32_e32 v77, 0x3fb8aa3b, v77
	s_delay_alu instid0(VALU_DEP_3) | instskip(NEXT) | instid1(TRANS32_DEP_3)
	v_exp_f32_e32 v78, v78
	v_cndmask_b32_e64 v88, 0, v71, s8
	v_fma_f32 v71, s18, v104, -v68
	s_delay_alu instid0(VALU_DEP_3) | instskip(NEXT) | instid1(TRANS32_DEP_3)
	v_exp_f32_e32 v77, v77
	v_cndmask_b32_e64 v87, 0, v69, s6
	s_delay_alu instid0(VALU_DEP_2)
	v_mul_f32_e32 v71, 0x3fb8aa3b, v71
	s_waitcnt_depctr 0xfff
	v_cndmask_b32_e64 v84, 0, v78, s7
	v_add_f32_e32 v70, v70, v83
	v_fma_f32 v78, s18, v103, -v68
	v_exp_f32_e32 v82, v71
	s_delay_alu instid0(VALU_DEP_2) | instskip(SKIP_1) | instid1(VALU_DEP_3)
	v_add_f32_e32 v70, v70, v85
	v_mul_f32_e32 v72, 0x3fb8aa3b, v72
	v_mul_f32_e32 v78, 0x3fb8aa3b, v78
	s_delay_alu instid0(VALU_DEP_3) | instskip(SKIP_1) | instid1(VALU_DEP_4)
	v_add_f32_e32 v69, v70, v86
	v_fma_f32 v70, s18, v102, -v68
	v_exp_f32_e32 v72, v72
	s_delay_alu instid0(VALU_DEP_3) | instskip(NEXT) | instid1(VALU_DEP_1)
	v_exp_f32_e32 v78, v78
	v_dual_add_f32 v69, v69, v87 :: v_dual_mul_f32 v70, 0x3fb8aa3b, v70
	s_delay_alu instid0(VALU_DEP_1) | instskip(NEXT) | instid1(VALU_DEP_2)
	v_add_f32_e32 v69, v69, v84
	v_exp_f32_e32 v79, v70
	s_delay_alu instid0(TRANS32_DEP_3) | instskip(NEXT) | instid1(VALU_DEP_2)
	v_cndmask_b32_e64 v70, 0, v72, s9
	v_add_f32_e32 v72, v69, v88
	v_cndmask_b32_e64 v69, 0, v77, s10
	v_fma_f32 v77, s18, v106, -v68
	s_waitcnt_depctr 0xfff
	v_cndmask_b32_e64 v71, 0, v79, s11
	v_dual_mul_f32 v77, 0x3fb8aa3b, v77 :: v_dual_add_f32 v72, v72, v70
	s_delay_alu instid0(VALU_DEP_1) | instskip(NEXT) | instid1(VALU_DEP_1)
	v_exp_f32_e32 v90, v77
	v_add_f32_e32 v79, v72, v69
	v_cndmask_b32_e64 v72, 0, v78, s12
	v_cndmask_b32_e64 v77, 0, v82, s13
	s_delay_alu instid0(VALU_DEP_3) | instskip(SKIP_1) | instid1(VALU_DEP_1)
	v_add_f32_e32 v78, v79, v71
	v_fma_f32 v79, s18, v107, -v68
	v_dual_add_f32 v82, v78, v72 :: v_dual_mul_f32 v79, 0x3fb8aa3b, v79
	v_cndmask_b32_e64 v78, 0, v81, s15
	s_delay_alu instid0(VALU_DEP_2) | instskip(NEXT) | instid1(VALU_DEP_3)
	v_add_f32_e32 v81, v82, v77
	v_exp_f32_e32 v82, v79
	v_cndmask_b32_e64 v79, 0, v90, s16
	s_delay_alu instid0(VALU_DEP_2) | instskip(NEXT) | instid1(VALU_DEP_1)
	v_add_f32_e32 v81, v81, v78
	v_add_f32_e32 v90, v81, v79
	s_waitcnt_depctr 0xfff
	v_cndmask_b32_e64 v81, 0, v82, s17
	s_delay_alu instid0(VALU_DEP_1)
	v_add_f32_e32 v82, v90, v81
	ds_bpermute_b32 v89, v89, v82
	v_cmpx_gt_u32_e32 16, v67
	s_cbranch_execz .LBB1883_12
; %bb.11:
	v_mul_u32_u24_e32 v67, 0x44, v66
	s_delay_alu instid0(VALU_DEP_1) | instskip(SKIP_1) | instid1(VALU_DEP_1)
	v_lshl_add_u32 v67, v65, 2, v67
	s_waitcnt lgkmcnt(0)
	v_dual_add_f32 v82, v82, v89 :: v_dual_add_nc_u32 v67, 0x4000, v67
	ds_store_2addr_b32 v67, v68, v82 offset1:136
.LBB1883_12:
	s_or_b32 exec_lo, exec_lo, s2
	v_lshlrev_b32_e32 v67, 2, v65
	s_waitcnt lgkmcnt(0)
	s_barrier
	buffer_gl0_inv
	v_cmp_eq_u32_e32 vcc_lo, 1, v66
	v_add_nc_u32_e32 v82, 0x4000, v67
	v_cmp_eq_u32_e64 s2, 2, v66
	v_cmp_eq_u32_e64 s4, 7, v66
	ds_load_2addr_b32 v[89:90], v82 offset1:17
	ds_load_2addr_b32 v[91:92], v82 offset0:34 offset1:51
	ds_load_2addr_b32 v[93:94], v82 offset0:68 offset1:85
	ds_load_2addr_b32 v[95:96], v82 offset0:102 offset1:119
	ds_load_2addr_b32 v[97:98], v82 offset0:136 offset1:153
	s_waitcnt lgkmcnt(4)
	v_max3_f32 v67, v89, 0xff7fffff, v90
	s_waitcnt lgkmcnt(3)
	s_delay_alu instid0(VALU_DEP_1) | instskip(SKIP_1) | instid1(VALU_DEP_1)
	v_max3_f32 v67, v67, v91, v92
	s_waitcnt lgkmcnt(2)
	v_max3_f32 v67, v67, v93, v94
	s_waitcnt lgkmcnt(1)
	s_delay_alu instid0(VALU_DEP_1) | instskip(NEXT) | instid1(VALU_DEP_1)
	v_max3_f32 v67, v67, v95, v96
	v_sub_f32_e32 v93, v93, v67
	s_delay_alu instid0(VALU_DEP_1) | instskip(NEXT) | instid1(VALU_DEP_1)
	v_dual_sub_f32 v68, v89, v67 :: v_dual_mul_f32 v103, 0x3fb8aa3b, v93
	v_mul_f32_e32 v68, 0x3fb8aa3b, v68
	s_delay_alu instid0(VALU_DEP_1)
	v_exp_f32_e32 v100, v68
	v_sub_f32_e32 v68, v92, v67
	v_sub_f32_e32 v99, v90, v67
	ds_load_2addr_b32 v[89:90], v82 offset0:170 offset1:187
	v_dual_mul_f32 v102, 0x3fb8aa3b, v68 :: v_dual_mul_f32 v99, 0x3fb8aa3b, v99
	s_waitcnt lgkmcnt(1)
	v_fma_f32 v68, v100, v97, 0
	s_delay_alu instid0(VALU_DEP_2) | instskip(NEXT) | instid1(VALU_DEP_2)
	v_exp_f32_e32 v102, v102
	v_exp_f32_e32 v99, v99
	s_waitcnt_depctr 0xfff
	v_fmac_f32_e32 v68, v99, v98
	v_sub_f32_e32 v91, v91, v67
	s_delay_alu instid0(VALU_DEP_1)
	v_mul_f32_e32 v101, 0x3fb8aa3b, v91
	ds_load_2addr_b32 v[91:92], v82 offset0:204 offset1:221
	v_sub_f32_e32 v97, v94, v67
	ds_load_2addr_b32 v[93:94], v82 offset0:238 offset1:255
	s_waitcnt lgkmcnt(0)
	v_exp_f32_e32 v101, v101
	s_barrier
	buffer_gl0_inv
	v_dual_fmac_f32 v68, v101, v89 :: v_dual_sub_f32 v89, v96, v67
	v_dual_sub_f32 v82, v95, v67 :: v_dual_mul_f32 v95, 0x3fb8aa3b, v97
	v_exp_f32_e32 v97, v103
	s_delay_alu instid0(VALU_DEP_2) | instskip(NEXT) | instid1(VALU_DEP_2)
	v_dual_fmac_f32 v68, v102, v90 :: v_dual_mul_f32 v89, 0x3fb8aa3b, v89
	v_mul_f32_e32 v82, 0x3fb8aa3b, v82
	s_delay_alu instid0(VALU_DEP_3) | instskip(NEXT) | instid1(VALU_DEP_2)
	v_exp_f32_e32 v95, v95
	v_exp_f32_e32 v89, v89
	s_delay_alu instid0(VALU_DEP_1)
	v_exp_f32_e32 v82, v82
	v_fmac_f32_e32 v68, v97, v91
	s_delay_alu instid0(TRANS32_DEP_3) | instid1(VALU_DEP_1)
	v_fmac_f32_e32 v68, v95, v92
	s_waitcnt_depctr 0xfff
	v_fmac_f32_e32 v68, v82, v93
	s_delay_alu instid0(VALU_DEP_1) | instskip(NEXT) | instid1(VALU_DEP_1)
	v_fmac_f32_e32 v68, v89, v94
	v_add_f32_e32 v90, 0x358637bd, v68
	s_delay_alu instid0(VALU_DEP_1) | instskip(NEXT) | instid1(VALU_DEP_1)
	v_div_scale_f32 v91, null, v90, v90, 1.0
	v_rcp_f32_e32 v92, v91
	s_waitcnt_depctr 0xfff
	v_fma_f32 v93, -v91, v92, 1.0
	s_delay_alu instid0(VALU_DEP_1) | instskip(SKIP_1) | instid1(VALU_DEP_2)
	v_dual_fmac_f32 v92, v93, v92 :: v_dual_cndmask_b32 v93, v100, v99
	v_cmp_eq_u32_e32 vcc_lo, 3, v66
	v_cndmask_b32_e64 v93, v93, v101, s2
	v_cmp_eq_u32_e64 s2, 4, v66
	s_delay_alu instid0(VALU_DEP_2) | instskip(SKIP_1) | instid1(VALU_DEP_2)
	v_cndmask_b32_e32 v93, v93, v102, vcc_lo
	v_cmp_eq_u32_e32 vcc_lo, 5, v66
	v_cndmask_b32_e64 v93, v93, v97, s2
	v_cmp_eq_u32_e64 s2, 6, v66
	s_delay_alu instid0(VALU_DEP_2) | instskip(SKIP_1) | instid1(VALU_DEP_1)
	v_cndmask_b32_e32 v93, v93, v95, vcc_lo
	v_div_scale_f32 v94, s3, 1.0, v90, 1.0
	s_mov_b32 vcc_lo, s3
	s_delay_alu instid0(VALU_DEP_2) | instskip(NEXT) | instid1(VALU_DEP_2)
	v_cndmask_b32_e64 v82, v93, v82, s2
	v_mul_f32_e32 v96, v94, v92
	s_mov_b32 s2, exec_lo
	s_delay_alu instid0(VALU_DEP_2) | instskip(NEXT) | instid1(VALU_DEP_2)
	v_cndmask_b32_e64 v82, v82, v89, s4
	v_fma_f32 v98, -v91, v96, v94
	s_delay_alu instid0(VALU_DEP_1) | instskip(NEXT) | instid1(VALU_DEP_1)
	v_fmac_f32_e32 v96, v98, v92
	v_fma_f32 v91, -v91, v96, v94
	s_delay_alu instid0(VALU_DEP_1) | instskip(NEXT) | instid1(VALU_DEP_1)
	v_div_fmas_f32 v91, v91, v92, v96
	v_div_fixup_f32 v90, v91, v90, 1.0
	s_delay_alu instid0(VALU_DEP_1) | instskip(NEXT) | instid1(VALU_DEP_1)
	v_mul_f32_e32 v82, v82, v90
	v_mul_f32_e32 v87, v82, v87
	;; [unrolled: 1-line block ×7, first 2 shown]
	v_dual_mul_f32 v86, v82, v83 :: v_dual_and_b32 v91, 0x7f800000, v90
	v_mul_f32_e32 v85, v82, v76
                                        ; implicit-def: $vgpr76
	s_delay_alu instid0(VALU_DEP_2)
	v_cmpx_ne_u32_e32 0x7f800000, v91
	s_xor_b32 s2, exec_lo, s2
; %bb.13:
	v_bfe_u32 v76, v90, 16, 1
	s_delay_alu instid0(VALU_DEP_1)
	v_add3_u32 v76, v90, v76, 0x7fff
                                        ; implicit-def: $vgpr90
; %bb.14:
	s_and_not1_saveexec_b32 s2, s2
; %bb.15:
	v_and_b32_e32 v76, 0xffff, v90
	v_or_b32_e32 v83, 0x10000, v90
	s_delay_alu instid0(VALU_DEP_2) | instskip(NEXT) | instid1(VALU_DEP_2)
	v_cmp_eq_u32_e32 vcc_lo, 0, v76
	v_cndmask_b32_e32 v76, v83, v90, vcc_lo
; %bb.16:
	s_or_b32 exec_lo, exec_lo, s2
	v_and_b32_e32 v83, 0x7f800000, v85
	s_delay_alu instid0(VALU_DEP_1) | instskip(SKIP_1) | instid1(SALU_CYCLE_1)
	v_cmp_ne_u32_e32 vcc_lo, 0x7f800000, v83
                                        ; implicit-def: $vgpr83
	s_and_saveexec_b32 s2, vcc_lo
	s_xor_b32 s2, exec_lo, s2
; %bb.17:
	v_bfe_u32 v83, v85, 16, 1
	s_delay_alu instid0(VALU_DEP_1)
	v_add3_u32 v83, v85, v83, 0x7fff
                                        ; implicit-def: $vgpr85
; %bb.18:
	s_and_not1_saveexec_b32 s2, s2
; %bb.19:
	v_and_b32_e32 v83, 0xffff, v85
	v_or_b32_e32 v90, 0x10000, v85
	s_delay_alu instid0(VALU_DEP_2) | instskip(NEXT) | instid1(VALU_DEP_2)
	v_cmp_eq_u32_e32 vcc_lo, 0, v83
	v_cndmask_b32_e32 v83, v90, v85, vcc_lo
; %bb.20:
	s_or_b32 exec_lo, exec_lo, s2
	v_and_b32_e32 v85, 0x7f800000, v86
	s_delay_alu instid0(VALU_DEP_1) | instskip(SKIP_1) | instid1(SALU_CYCLE_1)
	v_cmp_ne_u32_e32 vcc_lo, 0x7f800000, v85
                                        ; implicit-def: $vgpr85
	s_and_saveexec_b32 s2, vcc_lo
	s_xor_b32 s2, exec_lo, s2
; %bb.21:
	v_bfe_u32 v85, v86, 16, 1
	s_delay_alu instid0(VALU_DEP_1)
	v_add3_u32 v85, v86, v85, 0x7fff
                                        ; implicit-def: $vgpr86
; %bb.22:
	s_and_not1_saveexec_b32 s2, s2
; %bb.23:
	v_and_b32_e32 v85, 0xffff, v86
	v_or_b32_e32 v90, 0x10000, v86
	s_delay_alu instid0(VALU_DEP_2) | instskip(NEXT) | instid1(VALU_DEP_2)
	v_cmp_eq_u32_e32 vcc_lo, 0, v85
	v_cndmask_b32_e32 v85, v90, v86, vcc_lo
; %bb.24:
	s_or_b32 exec_lo, exec_lo, s2
	v_and_b32_e32 v86, 0x7f800000, v89
	s_delay_alu instid0(VALU_DEP_1) | instskip(SKIP_1) | instid1(SALU_CYCLE_1)
	v_cmp_ne_u32_e32 vcc_lo, 0x7f800000, v86
                                        ; implicit-def: $vgpr86
	s_and_saveexec_b32 s2, vcc_lo
	s_xor_b32 s2, exec_lo, s2
; %bb.25:
	v_bfe_u32 v86, v89, 16, 1
	s_delay_alu instid0(VALU_DEP_1)
	v_add3_u32 v86, v89, v86, 0x7fff
                                        ; implicit-def: $vgpr89
; %bb.26:
	s_and_not1_saveexec_b32 s2, s2
; %bb.27:
	v_and_b32_e32 v86, 0xffff, v89
	v_or_b32_e32 v90, 0x10000, v89
	s_delay_alu instid0(VALU_DEP_2) | instskip(NEXT) | instid1(VALU_DEP_2)
	v_cmp_eq_u32_e32 vcc_lo, 0, v86
	v_cndmask_b32_e32 v86, v90, v89, vcc_lo
; %bb.28:
	s_or_b32 exec_lo, exec_lo, s2
	v_and_b32_e32 v89, 0x7f800000, v88
	s_delay_alu instid0(VALU_DEP_1) | instskip(SKIP_1) | instid1(SALU_CYCLE_1)
	v_cmp_ne_u32_e32 vcc_lo, 0x7f800000, v89
                                        ; implicit-def: $vgpr89
	s_and_saveexec_b32 s2, vcc_lo
	s_xor_b32 s2, exec_lo, s2
; %bb.29:
	v_bfe_u32 v89, v88, 16, 1
	s_delay_alu instid0(VALU_DEP_1)
	v_add3_u32 v89, v88, v89, 0x7fff
                                        ; implicit-def: $vgpr88
; %bb.30:
	s_and_not1_saveexec_b32 s2, s2
; %bb.31:
	v_and_b32_e32 v89, 0xffff, v88
	v_or_b32_e32 v90, 0x10000, v88
	s_delay_alu instid0(VALU_DEP_2) | instskip(NEXT) | instid1(VALU_DEP_2)
	v_cmp_eq_u32_e32 vcc_lo, 0, v89
	v_cndmask_b32_e32 v89, v90, v88, vcc_lo
; %bb.32:
	s_or_b32 exec_lo, exec_lo, s2
	v_and_b32_e32 v88, 0x7f800000, v87
	s_delay_alu instid0(VALU_DEP_1) | instskip(SKIP_1) | instid1(SALU_CYCLE_1)
	v_cmp_ne_u32_e32 vcc_lo, 0x7f800000, v88
                                        ; implicit-def: $vgpr88
	s_and_saveexec_b32 s2, vcc_lo
	s_xor_b32 s2, exec_lo, s2
; %bb.33:
	v_bfe_u32 v88, v87, 16, 1
	s_delay_alu instid0(VALU_DEP_1)
	v_add3_u32 v88, v87, v88, 0x7fff
                                        ; implicit-def: $vgpr87
; %bb.34:
	s_and_not1_saveexec_b32 s2, s2
; %bb.35:
	v_and_b32_e32 v88, 0xffff, v87
	v_or_b32_e32 v90, 0x10000, v87
	s_delay_alu instid0(VALU_DEP_2) | instskip(NEXT) | instid1(VALU_DEP_2)
	v_cmp_eq_u32_e32 vcc_lo, 0, v88
	v_cndmask_b32_e32 v88, v90, v87, vcc_lo
; %bb.36:
	s_or_b32 exec_lo, exec_lo, s2
	v_and_b32_e32 v87, 0x7f800000, v84
	s_delay_alu instid0(VALU_DEP_1) | instskip(SKIP_1) | instid1(SALU_CYCLE_1)
	v_cmp_ne_u32_e32 vcc_lo, 0x7f800000, v87
                                        ; implicit-def: $vgpr87
	s_and_saveexec_b32 s2, vcc_lo
	s_xor_b32 s2, exec_lo, s2
; %bb.37:
	v_bfe_u32 v87, v84, 16, 1
	s_delay_alu instid0(VALU_DEP_1)
	v_add3_u32 v87, v84, v87, 0x7fff
                                        ; implicit-def: $vgpr84
; %bb.38:
	s_and_not1_saveexec_b32 s2, s2
; %bb.39:
	v_and_b32_e32 v87, 0xffff, v84
	v_or_b32_e32 v90, 0x10000, v84
	s_delay_alu instid0(VALU_DEP_2) | instskip(NEXT) | instid1(VALU_DEP_2)
	v_cmp_eq_u32_e32 vcc_lo, 0, v87
	v_cndmask_b32_e32 v87, v90, v84, vcc_lo
; %bb.40:
	s_or_b32 exec_lo, exec_lo, s2
	v_and_b32_e32 v84, 0x7f800000, v80
	s_delay_alu instid0(VALU_DEP_1) | instskip(SKIP_1) | instid1(SALU_CYCLE_1)
	v_cmp_ne_u32_e32 vcc_lo, 0x7f800000, v84
                                        ; implicit-def: $vgpr84
	s_and_saveexec_b32 s2, vcc_lo
	s_xor_b32 s2, exec_lo, s2
; %bb.41:
	v_bfe_u32 v84, v80, 16, 1
	s_delay_alu instid0(VALU_DEP_1)
	v_add3_u32 v84, v80, v84, 0x7fff
                                        ; implicit-def: $vgpr80
; %bb.42:
	s_and_not1_saveexec_b32 s2, s2
; %bb.43:
	v_and_b32_e32 v84, 0xffff, v80
	v_or_b32_e32 v90, 0x10000, v80
	s_delay_alu instid0(VALU_DEP_2) | instskip(NEXT) | instid1(VALU_DEP_2)
	v_cmp_eq_u32_e32 vcc_lo, 0, v84
	v_cndmask_b32_e32 v84, v90, v80, vcc_lo
; %bb.44:
	s_or_b32 exec_lo, exec_lo, s2
	s_load_b64 s[34:35], s[0:1], 0x94
	v_lshlrev_b32_e32 v91, 4, v74
	s_delay_alu instid0(VALU_DEP_2)
	v_perm_b32 v90, v84, v87, 0x7060302
	v_dual_mul_f32 v79, v82, v79 :: v_dual_lshlrev_b32 v80, 6, v65
	v_dual_mul_f32 v77, v82, v77 :: v_dual_lshlrev_b32 v92, 11, v66
	v_mul_f32_e32 v84, v82, v70
	v_perm_b32 v89, v88, v89, 0x7060302
	v_perm_b32 v88, v86, v85, 0x7060302
	;; [unrolled: 1-line block ×3, first 2 shown]
	v_mul_f32_e32 v70, v82, v81
	v_or3_b32 v76, v91, v92, v80
	v_dual_mul_f32 v78, v82, v78 :: v_dual_and_b32 v85, 0x7f800000, v84
	v_mul_f32_e32 v83, v82, v72
	v_mul_f32_e32 v81, v82, v71
	;; [unrolled: 1-line block ×3, first 2 shown]
	s_mov_b32 s2, exec_lo
	ds_store_b128 v76, v[87:90]
                                        ; implicit-def: $vgpr69
	v_cmpx_ne_u32_e32 0x7f800000, v85
	s_xor_b32 s2, exec_lo, s2
; %bb.45:
	v_bfe_u32 v69, v84, 16, 1
	s_delay_alu instid0(VALU_DEP_1)
	v_add3_u32 v69, v84, v69, 0x7fff
                                        ; implicit-def: $vgpr84
; %bb.46:
	s_and_not1_saveexec_b32 s2, s2
; %bb.47:
	v_and_b32_e32 v69, 0xffff, v84
	v_or_b32_e32 v71, 0x10000, v84
	s_delay_alu instid0(VALU_DEP_2) | instskip(NEXT) | instid1(VALU_DEP_2)
	v_cmp_eq_u32_e32 vcc_lo, 0, v69
	v_cndmask_b32_e32 v69, v71, v84, vcc_lo
; %bb.48:
	s_or_b32 exec_lo, exec_lo, s2
	v_and_b32_e32 v71, 0x7f800000, v72
	s_delay_alu instid0(VALU_DEP_1) | instskip(SKIP_1) | instid1(SALU_CYCLE_1)
	v_cmp_ne_u32_e32 vcc_lo, 0x7f800000, v71
                                        ; implicit-def: $vgpr71
	s_and_saveexec_b32 s2, vcc_lo
	s_xor_b32 s2, exec_lo, s2
; %bb.49:
	v_bfe_u32 v71, v72, 16, 1
	s_delay_alu instid0(VALU_DEP_1)
	v_add3_u32 v71, v72, v71, 0x7fff
                                        ; implicit-def: $vgpr72
; %bb.50:
	s_and_not1_saveexec_b32 s2, s2
; %bb.51:
	v_and_b32_e32 v71, 0xffff, v72
	v_or_b32_e32 v82, 0x10000, v72
	s_delay_alu instid0(VALU_DEP_2) | instskip(NEXT) | instid1(VALU_DEP_2)
	v_cmp_eq_u32_e32 vcc_lo, 0, v71
	v_cndmask_b32_e32 v71, v82, v72, vcc_lo
; %bb.52:
	s_or_b32 exec_lo, exec_lo, s2
	v_and_b32_e32 v72, 0x7f800000, v81
	s_delay_alu instid0(VALU_DEP_1) | instskip(SKIP_1) | instid1(SALU_CYCLE_1)
	v_cmp_ne_u32_e32 vcc_lo, 0x7f800000, v72
                                        ; implicit-def: $vgpr72
	s_and_saveexec_b32 s2, vcc_lo
	s_xor_b32 s2, exec_lo, s2
; %bb.53:
	v_bfe_u32 v72, v81, 16, 1
	s_delay_alu instid0(VALU_DEP_1)
	v_add3_u32 v72, v81, v72, 0x7fff
                                        ; implicit-def: $vgpr81
; %bb.54:
	s_and_not1_saveexec_b32 s2, s2
; %bb.55:
	v_and_b32_e32 v72, 0xffff, v81
	v_or_b32_e32 v82, 0x10000, v81
	s_delay_alu instid0(VALU_DEP_2) | instskip(NEXT) | instid1(VALU_DEP_2)
	v_cmp_eq_u32_e32 vcc_lo, 0, v72
	v_cndmask_b32_e32 v72, v82, v81, vcc_lo
; %bb.56:
	s_or_b32 exec_lo, exec_lo, s2
	v_and_b32_e32 v81, 0x7f800000, v83
	s_delay_alu instid0(VALU_DEP_1) | instskip(SKIP_1) | instid1(SALU_CYCLE_1)
	v_cmp_ne_u32_e32 vcc_lo, 0x7f800000, v81
                                        ; implicit-def: $vgpr81
	s_and_saveexec_b32 s2, vcc_lo
	s_xor_b32 s2, exec_lo, s2
; %bb.57:
	v_bfe_u32 v81, v83, 16, 1
	s_delay_alu instid0(VALU_DEP_1)
	v_add3_u32 v81, v83, v81, 0x7fff
                                        ; implicit-def: $vgpr83
; %bb.58:
	s_and_not1_saveexec_b32 s2, s2
; %bb.59:
	v_and_b32_e32 v81, 0xffff, v83
	v_or_b32_e32 v82, 0x10000, v83
	s_delay_alu instid0(VALU_DEP_2) | instskip(NEXT) | instid1(VALU_DEP_2)
	v_cmp_eq_u32_e32 vcc_lo, 0, v81
	v_cndmask_b32_e32 v81, v82, v83, vcc_lo
; %bb.60:
	s_or_b32 exec_lo, exec_lo, s2
	v_and_b32_e32 v82, 0x7f800000, v77
	s_delay_alu instid0(VALU_DEP_1) | instskip(SKIP_1) | instid1(SALU_CYCLE_1)
	v_cmp_ne_u32_e32 vcc_lo, 0x7f800000, v82
                                        ; implicit-def: $vgpr82
	s_and_saveexec_b32 s2, vcc_lo
	s_xor_b32 s2, exec_lo, s2
; %bb.61:
	v_bfe_u32 v82, v77, 16, 1
	s_delay_alu instid0(VALU_DEP_1)
	v_add3_u32 v82, v77, v82, 0x7fff
                                        ; implicit-def: $vgpr77
; %bb.62:
	s_and_not1_saveexec_b32 s2, s2
; %bb.63:
	v_and_b32_e32 v82, 0xffff, v77
	v_or_b32_e32 v83, 0x10000, v77
	s_delay_alu instid0(VALU_DEP_2) | instskip(NEXT) | instid1(VALU_DEP_2)
	v_cmp_eq_u32_e32 vcc_lo, 0, v82
	v_cndmask_b32_e32 v82, v83, v77, vcc_lo
; %bb.64:
	s_or_b32 exec_lo, exec_lo, s2
	v_and_b32_e32 v77, 0x7f800000, v78
	s_delay_alu instid0(VALU_DEP_1) | instskip(SKIP_1) | instid1(SALU_CYCLE_1)
	v_cmp_ne_u32_e32 vcc_lo, 0x7f800000, v77
                                        ; implicit-def: $vgpr77
	s_and_saveexec_b32 s2, vcc_lo
	s_xor_b32 s2, exec_lo, s2
; %bb.65:
	v_bfe_u32 v77, v78, 16, 1
	s_delay_alu instid0(VALU_DEP_1)
	v_add3_u32 v77, v78, v77, 0x7fff
                                        ; implicit-def: $vgpr78
; %bb.66:
	s_and_not1_saveexec_b32 s2, s2
; %bb.67:
	v_and_b32_e32 v77, 0xffff, v78
	v_or_b32_e32 v83, 0x10000, v78
	s_delay_alu instid0(VALU_DEP_2) | instskip(NEXT) | instid1(VALU_DEP_2)
	v_cmp_eq_u32_e32 vcc_lo, 0, v77
	v_cndmask_b32_e32 v77, v83, v78, vcc_lo
; %bb.68:
	s_or_b32 exec_lo, exec_lo, s2
	v_and_b32_e32 v78, 0x7f800000, v79
	s_delay_alu instid0(VALU_DEP_1) | instskip(SKIP_1) | instid1(SALU_CYCLE_1)
	v_cmp_ne_u32_e32 vcc_lo, 0x7f800000, v78
                                        ; implicit-def: $vgpr78
	s_and_saveexec_b32 s2, vcc_lo
	s_xor_b32 s2, exec_lo, s2
; %bb.69:
	v_bfe_u32 v78, v79, 16, 1
	s_delay_alu instid0(VALU_DEP_1)
	v_add3_u32 v78, v79, v78, 0x7fff
                                        ; implicit-def: $vgpr79
; %bb.70:
	s_and_not1_saveexec_b32 s2, s2
; %bb.71:
	v_and_b32_e32 v78, 0xffff, v79
	v_or_b32_e32 v83, 0x10000, v79
	s_delay_alu instid0(VALU_DEP_2) | instskip(NEXT) | instid1(VALU_DEP_2)
	v_cmp_eq_u32_e32 vcc_lo, 0, v78
	v_cndmask_b32_e32 v78, v83, v79, vcc_lo
; %bb.72:
	s_or_b32 exec_lo, exec_lo, s2
	v_and_b32_e32 v79, 0x7f800000, v70
	s_delay_alu instid0(VALU_DEP_1) | instskip(SKIP_1) | instid1(SALU_CYCLE_1)
	v_cmp_ne_u32_e32 vcc_lo, 0x7f800000, v79
                                        ; implicit-def: $vgpr79
	s_and_saveexec_b32 s2, vcc_lo
	s_xor_b32 s2, exec_lo, s2
; %bb.73:
	v_bfe_u32 v79, v70, 16, 1
	s_delay_alu instid0(VALU_DEP_1)
	v_add3_u32 v79, v70, v79, 0x7fff
                                        ; implicit-def: $vgpr70
; %bb.74:
	s_and_not1_saveexec_b32 s2, s2
; %bb.75:
	v_and_b32_e32 v79, 0xffff, v70
	v_or_b32_e32 v83, 0x10000, v70
	s_delay_alu instid0(VALU_DEP_2) | instskip(NEXT) | instid1(VALU_DEP_2)
	v_cmp_eq_u32_e32 vcc_lo, 0, v79
	v_cndmask_b32_e32 v79, v83, v70, vcc_lo
; %bb.76:
	s_or_b32 exec_lo, exec_lo, s2
	s_delay_alu instid0(VALU_DEP_1)
	v_perm_b32 v86, v79, v78, 0x7060302
	v_perm_b32 v85, v77, v82, 0x7060302
	;; [unrolled: 1-line block ×4, first 2 shown]
	v_lshl_or_b32 v82, v66, 11, v80
	ds_store_b128 v76, v[83:86] offset:1024
	s_waitcnt lgkmcnt(0)
	s_barrier
	buffer_gl0_inv
	ds_load_b128 v[69:72], v82
	ds_load_b128 v[83:86], v82 offset:16
	s_waitcnt lgkmcnt(1)
	v_lshrrev_b32_e32 v66, 16, v69
	s_waitcnt lgkmcnt(0)
	v_lshrrev_b32_e32 v91, 16, v83
	v_lshlrev_b32_e32 v78, 2, v74
	v_lshrrev_b32_e32 v95, 16, v70
	v_lshrrev_b32_e32 v98, 16, v84
	;; [unrolled: 1-line block ×4, first 2 shown]
	v_cmp_eq_u32_e32 vcc_lo, 1, v78
	v_lshrrev_b32_e32 v97, 16, v72
	v_lshrrev_b32_e32 v100, 16, v86
	v_cndmask_b32_e32 v87, v83, v91, vcc_lo
	v_or_b32_e32 v79, 1, v78
	v_cndmask_b32_e32 v81, v69, v66, vcc_lo
	v_cmp_eq_u32_e64 s3, 2, v78
	v_cmp_eq_u32_e64 s6, 3, v78
	;; [unrolled: 1-line block ×5, first 2 shown]
	v_cndmask_b32_e64 v81, v81, v70, s3
	v_cndmask_b32_e64 v87, v87, v84, s3
	v_cmp_eq_u32_e64 s7, 3, v79
	v_cndmask_b32_e64 v88, v69, v66, s2
	v_or_b32_e32 v77, 2, v78
	v_cndmask_b32_e64 v81, v81, v95, s6
	v_cndmask_b32_e64 v87, v87, v98, s6
	;; [unrolled: 1-line block ×4, first 2 shown]
	v_cmp_eq_u32_e64 s9, 5, v78
	v_cndmask_b32_e64 v81, v81, v71, s8
	v_cndmask_b32_e64 v87, v87, v85, s8
	v_cmp_eq_u32_e64 s10, 4, v79
	v_cndmask_b32_e64 v88, v88, v95, s7
	v_cmp_eq_u32_e64 s4, 1, v77
	v_cndmask_b32_e64 v89, v89, v84, s5
	v_cndmask_b32_e64 v81, v81, v96, s9
	v_cmp_eq_u32_e64 s11, 6, v78
	v_cndmask_b32_e64 v88, v88, v71, s10
	;; [unrolled: 3-line block ×3, first 2 shown]
	v_cndmask_b32_e64 v89, v89, v98, s7
	v_cndmask_b32_e64 v81, v81, v72, s11
	v_cmp_eq_u32_e64 s13, 7, v78
	v_cndmask_b32_e64 v88, v88, v96, s12
	v_cndmask_b32_e64 v87, v87, v86, s11
	v_cmp_eq_u32_e64 s15, 6, v79
	v_cmp_eq_u32_e64 s16, 2, v77
	v_cndmask_b32_e64 v89, v89, v85, s10
	v_cndmask_b32_e64 v101, v81, v97, s13
	;; [unrolled: 1-line block ×6, first 2 shown]
	v_cmp_eq_u32_e64 s17, 7, v79
	v_cmp_eq_u32_e64 s18, 3, v77
	;; [unrolled: 1-line block ×4, first 2 shown]
	v_cndmask_b32_e64 v87, v87, v84, s16
	v_cndmask_b32_e64 v103, v88, v97, s17
	;; [unrolled: 1-line block ×4, first 2 shown]
	v_or_b32_e32 v81, 3, v78
	v_cndmask_b32_e64 v93, v87, v98, s18
	v_cmp_eq_u32_e64 s23, 6, v77
	v_cndmask_b32_e64 v104, v88, v86, s15
	v_cndmask_b32_e64 v92, v89, v71, s19
	v_cmp_eq_u32_e64 s20, 1, v81
	ds_load_b128 v[87:90], v82 offset:1024
	v_cmp_eq_u32_e64 s22, 2, v81
	v_cmp_eq_u32_e64 s24, 3, v81
	v_cndmask_b32_e64 v105, v92, v96, s21
	v_cndmask_b32_e64 v66, v69, v66, s20
	;; [unrolled: 1-line block ×4, first 2 shown]
	ds_load_b128 v[91:94], v82 offset:1040
	v_cmp_eq_u32_e64 s25, 4, v81
	v_cndmask_b32_e64 v66, v66, v70, s22
	v_cmp_eq_u32_e64 s26, 7, v77
	v_cndmask_b32_e64 v70, v83, v84, s22
	v_cndmask_b32_e64 v84, v105, v72, s23
	v_cmp_eq_u32_e64 s27, 5, v81
	v_cndmask_b32_e64 v66, v66, v95, s24
	v_cmp_eq_u32_e64 s28, 6, v81
	v_cndmask_b32_e64 v70, v70, v98, s24
	v_cndmask_b32_e64 v69, v69, v99, s21
	;; [unrolled: 1-line block ×4, first 2 shown]
	s_waitcnt lgkmcnt(1)
	v_lshrrev_b32_e32 v95, 16, v87
	v_cndmask_b32_e64 v70, v70, v85, s25
	v_cndmask_b32_e64 v71, v84, v97, s26
	;; [unrolled: 1-line block ×4, first 2 shown]
	v_cndmask_b32_e32 v84, v87, v95, vcc_lo
	v_cndmask_b32_e64 v70, v70, v99, s27
	s_waitcnt lgkmcnt(0)
	v_lshrrev_b32_e32 v85, 16, v91
	v_lshrrev_b32_e32 v96, 16, v88
	v_cndmask_b32_e64 v98, v87, v95, s2
	v_cndmask_b32_e64 v84, v84, v88, s3
	;; [unrolled: 1-line block ×3, first 2 shown]
	v_cndmask_b32_e32 v99, v91, v85, vcc_lo
	v_cmp_eq_u32_e32 vcc_lo, 7, v81
	v_cndmask_b32_e64 v66, v66, v72, s28
	v_cndmask_b32_e64 v72, v84, v96, s6
	;; [unrolled: 1-line block ×3, first 2 shown]
	v_lshrrev_b32_e32 v98, 16, v92
	v_cndmask_b32_e32 v70, v70, v100, vcc_lo
	v_cndmask_b32_e64 v86, v99, v92, s3
	v_cndmask_b32_e64 v69, v69, v100, s26
	v_lshrrev_b32_e32 v100, 16, v93
	v_cndmask_b32_e64 v72, v72, v89, s8
	v_lshrrev_b32_e32 v99, 16, v89
	v_cndmask_b32_e64 v86, v86, v98, s6
	v_perm_b32 v71, v69, v71, 0x5040100
	v_cndmask_b32_e64 v84, v84, v96, s7
	s_delay_alu instid0(VALU_DEP_3) | instskip(NEXT) | instid1(VALU_DEP_2)
	v_cndmask_b32_e64 v86, v86, v93, s8
	v_cndmask_b32_e64 v84, v84, v89, s10
	s_delay_alu instid0(VALU_DEP_2) | instskip(NEXT) | instid1(VALU_DEP_1)
	v_cndmask_b32_e64 v86, v86, v100, s9
	v_cndmask_b32_e64 v69, v86, v94, s11
	;; [unrolled: 1-line block ×5, first 2 shown]
	s_delay_alu instid0(VALU_DEP_3) | instskip(NEXT) | instid1(VALU_DEP_3)
	v_cndmask_b32_e64 v86, v86, v88, s16
	v_cndmask_b32_e64 v87, v87, v88, s22
	s_delay_alu instid0(VALU_DEP_3) | instskip(NEXT) | instid1(VALU_DEP_3)
	v_cndmask_b32_e64 v88, v95, v92, s22
	v_cndmask_b32_e64 v86, v86, v96, s18
	;; [unrolled: 3-line block ×7, first 2 shown]
	s_delay_alu instid0(VALU_DEP_3) | instskip(SKIP_2) | instid1(VALU_DEP_2)
	v_cndmask_b32_e64 v88, v88, v94, s28
	v_cndmask_b32_e32 v66, v66, v97, vcc_lo
	v_cndmask_b32_e64 v97, v72, v99, s9
	v_perm_b32 v72, v70, v66, 0x5040100
	v_perm_b32 v70, v83, v103, 0x5040100
	v_cndmask_b32_e64 v103, v91, v85, s4
	v_cndmask_b32_e64 v85, v91, v85, s2
	;; [unrolled: 1-line block ×4, first 2 shown]
	v_lshrrev_b32_e32 v97, 16, v90
	v_cndmask_b32_e64 v91, v103, v92, s16
	v_cndmask_b32_e64 v85, v85, v92, s5
	;; [unrolled: 1-line block ×3, first 2 shown]
	s_mov_b32 s2, exec_lo
	v_cndmask_b32_e64 v83, v84, v97, s13
	v_cndmask_b32_e64 v91, v91, v98, s18
	v_cndmask_b32_e64 v85, v85, v98, s7
	v_lshrrev_b32_e32 v84, 16, v94
	v_cndmask_b32_e64 v66, v66, v97, s17
	v_cndmask_b32_e64 v90, v86, v97, s26
	;; [unrolled: 1-line block ×4, first 2 shown]
	v_dual_cndmask_b32 v86, v87, v97 :: v_dual_cndmask_b32 v87, v88, v84
	v_cndmask_b32_e64 v91, v69, v84, s13
	s_delay_alu instid0(VALU_DEP_4) | instskip(NEXT) | instid1(VALU_DEP_4)
	v_cndmask_b32_e64 v89, v89, v100, s21
	v_cndmask_b32_e64 v85, v85, v100, s12
	v_perm_b32 v69, v102, v101, 0x5040100
	v_perm_b32 v86, v87, v86, 0x5040100
	;; [unrolled: 1-line block ×3, first 2 shown]
	v_cndmask_b32_e64 v89, v89, v94, s23
	v_cndmask_b32_e64 v85, v85, v94, s15
	s_mul_i32 s7, s35, 14
	s_delay_alu instid0(VALU_DEP_2) | instskip(NEXT) | instid1(VALU_DEP_2)
	v_cndmask_b32_e64 v88, v89, v84, s26
	v_cndmask_b32_e64 v89, v85, v84, s17
	s_delay_alu instid0(VALU_DEP_2) | instskip(NEXT) | instid1(VALU_DEP_2)
	v_perm_b32 v85, v88, v90, 0x5040100
	v_perm_b32 v84, v89, v66, 0x5040100
	ds_store_b128 v76, v[69:72]
	ds_store_b128 v76, v[83:86] offset:1024
	v_cmpx_gt_u32_e32 14, v0
	s_cbranch_execz .LBB1883_78
; %bb.77:
	s_mul_i32 s3, s7, s30
	s_load_b128 s[8:11], s[0:1], 0x58
	v_add3_u32 v69, s3, s29, v65
	s_delay_alu instid0(VALU_DEP_1) | instskip(NEXT) | instid1(VALU_DEP_1)
	v_mad_u64_u32 v[65:66], null, v69, s34, s[14:15]
	v_ashrrev_i32_e32 v66, 31, v65
	s_delay_alu instid0(VALU_DEP_1) | instskip(SKIP_1) | instid1(VALU_DEP_1)
	v_lshlrev_b64 v[65:66], 2, v[65:66]
	s_waitcnt lgkmcnt(0)
	v_add_co_u32 v69, vcc_lo, s10, v65
	s_delay_alu instid0(VALU_DEP_2)
	v_add_co_ci_u32_e32 v70, vcc_lo, s11, v66, vcc_lo
	v_add_co_u32 v65, vcc_lo, s8, v65
	v_add_co_ci_u32_e32 v66, vcc_lo, s9, v66, vcc_lo
	global_store_b32 v[69:70], v67, off
	global_store_b32 v[65:66], v68, off
.LBB1883_78:
	s_or_b32 exec_lo, exec_lo, s2
	s_waitcnt lgkmcnt(0)
	s_waitcnt_vscnt null, 0x0
	s_barrier
	buffer_gl0_inv
	ds_load_b128 v[83:86], v80
	ds_load_b128 v[87:90], v80 offset:16
	ds_load_b128 v[95:98], v80 offset:2064
	;; [unrolled: 1-line block ×3, first 2 shown]
	v_mov_b32_e32 v65, 0
	ds_load_b128 v[103:106], v80 offset:4112
	ds_load_b128 v[99:102], v80 offset:4096
	;; [unrolled: 1-line block ×4, first 2 shown]
	v_mov_b32_e32 v66, v65
	v_mov_b32_e32 v67, v65
	;; [unrolled: 1-line block ×7, first 2 shown]
	s_waitcnt lgkmcnt(6)
	s_delay_alu instid0(VALU_DEP_1)
	v_wmma_f32_16x16x16_bf16 v[65:72], v[49:56], v[83:90], v[65:72]
	ds_load_b128 v[53:56], v80 offset:8208
	ds_load_b128 v[49:52], v80 offset:8192
	s_waitcnt lgkmcnt(6)
	v_wmma_f32_16x16x16_bf16 v[65:72], v[41:48], v[91:98], v[65:72]
	ds_load_b128 v[45:48], v80 offset:10256
	ds_load_b128 v[41:44], v80 offset:10240
	s_waitcnt lgkmcnt(6)
	;; [unrolled: 4-line block ×4, first 2 shown]
	v_wmma_f32_16x16x16_bf16 v[65:72], v[1:8], v[49:56], v[65:72]
	s_waitcnt lgkmcnt(4)
	s_delay_alu instid0(VALU_DEP_1) | instskip(SKIP_1) | instid1(VALU_DEP_1)
	v_wmma_f32_16x16x16_bf16 v[65:72], v[9:16], v[41:48], v[65:72]
	s_waitcnt lgkmcnt(2)
	v_wmma_f32_16x16x16_bf16 v[65:72], v[17:24], v[33:40], v[65:72]
	s_waitcnt lgkmcnt(0)
	s_delay_alu instid0(VALU_DEP_1) | instskip(NEXT) | instid1(VALU_DEP_1)
	v_wmma_f32_16x16x16_bf16 v[65:72], v[57:64], v[25:32], v[65:72]
	v_and_b32_e32 v1, 0x7f800000, v65
	s_delay_alu instid0(VALU_DEP_1) | instskip(SKIP_1) | instid1(SALU_CYCLE_1)
	v_cmp_ne_u32_e32 vcc_lo, 0x7f800000, v1
                                        ; implicit-def: $vgpr1
	s_and_saveexec_b32 s2, vcc_lo
	s_xor_b32 s2, exec_lo, s2
; %bb.79:
	v_bfe_u32 v1, v65, 16, 1
	s_delay_alu instid0(VALU_DEP_1)
	v_add3_u32 v1, v65, v1, 0x7fff
; %bb.80:
	s_and_not1_saveexec_b32 s2, s2
; %bb.81:
	v_and_b32_e32 v1, 0xffff, v65
	v_or_b32_e32 v2, 0x10000, v65
	s_delay_alu instid0(VALU_DEP_2) | instskip(NEXT) | instid1(VALU_DEP_2)
	v_cmp_eq_u32_e32 vcc_lo, 0, v1
	v_cndmask_b32_e32 v1, v2, v65, vcc_lo
; %bb.82:
	s_or_b32 exec_lo, exec_lo, s2
	v_and_b32_e32 v2, 0x7f800000, v66
	s_delay_alu instid0(VALU_DEP_1) | instskip(SKIP_1) | instid1(SALU_CYCLE_1)
	v_cmp_ne_u32_e32 vcc_lo, 0x7f800000, v2
                                        ; implicit-def: $vgpr2
	s_and_saveexec_b32 s2, vcc_lo
	s_xor_b32 s2, exec_lo, s2
; %bb.83:
	v_bfe_u32 v2, v66, 16, 1
	s_delay_alu instid0(VALU_DEP_1)
	v_add3_u32 v2, v66, v2, 0x7fff
; %bb.84:
	s_and_not1_saveexec_b32 s2, s2
; %bb.85:
	v_and_b32_e32 v2, 0xffff, v66
	v_or_b32_e32 v3, 0x10000, v66
	s_delay_alu instid0(VALU_DEP_2) | instskip(NEXT) | instid1(VALU_DEP_2)
	v_cmp_eq_u32_e32 vcc_lo, 0, v2
	v_cndmask_b32_e32 v2, v3, v66, vcc_lo
; %bb.86:
	s_or_b32 exec_lo, exec_lo, s2
	v_and_b32_e32 v3, 0x7f800000, v67
	s_delay_alu instid0(VALU_DEP_1) | instskip(SKIP_1) | instid1(SALU_CYCLE_1)
	v_cmp_ne_u32_e32 vcc_lo, 0x7f800000, v3
                                        ; implicit-def: $vgpr3
	s_and_saveexec_b32 s2, vcc_lo
	s_xor_b32 s2, exec_lo, s2
; %bb.87:
	v_bfe_u32 v3, v67, 16, 1
	s_delay_alu instid0(VALU_DEP_1)
	v_add3_u32 v3, v67, v3, 0x7fff
; %bb.88:
	s_and_not1_saveexec_b32 s2, s2
; %bb.89:
	v_and_b32_e32 v3, 0xffff, v67
	v_or_b32_e32 v4, 0x10000, v67
	s_delay_alu instid0(VALU_DEP_2) | instskip(NEXT) | instid1(VALU_DEP_2)
	v_cmp_eq_u32_e32 vcc_lo, 0, v3
	v_cndmask_b32_e32 v3, v4, v67, vcc_lo
; %bb.90:
	s_or_b32 exec_lo, exec_lo, s2
	v_and_b32_e32 v4, 0x7f800000, v68
	s_delay_alu instid0(VALU_DEP_1) | instskip(SKIP_1) | instid1(SALU_CYCLE_1)
	v_cmp_ne_u32_e32 vcc_lo, 0x7f800000, v4
                                        ; implicit-def: $vgpr4
	s_and_saveexec_b32 s2, vcc_lo
	s_xor_b32 s2, exec_lo, s2
; %bb.91:
	v_bfe_u32 v4, v68, 16, 1
	s_delay_alu instid0(VALU_DEP_1)
	v_add3_u32 v4, v68, v4, 0x7fff
; %bb.92:
	s_and_not1_saveexec_b32 s2, s2
; %bb.93:
	v_and_b32_e32 v4, 0xffff, v68
	v_or_b32_e32 v5, 0x10000, v68
	s_delay_alu instid0(VALU_DEP_2) | instskip(NEXT) | instid1(VALU_DEP_2)
	v_cmp_eq_u32_e32 vcc_lo, 0, v4
	v_cndmask_b32_e32 v4, v5, v68, vcc_lo
; %bb.94:
	s_or_b32 exec_lo, exec_lo, s2
	v_and_b32_e32 v5, 0x7f800000, v69
	s_delay_alu instid0(VALU_DEP_1) | instskip(SKIP_1) | instid1(SALU_CYCLE_1)
	v_cmp_ne_u32_e32 vcc_lo, 0x7f800000, v5
                                        ; implicit-def: $vgpr5
	s_and_saveexec_b32 s2, vcc_lo
	s_xor_b32 s2, exec_lo, s2
; %bb.95:
	v_bfe_u32 v5, v69, 16, 1
	s_delay_alu instid0(VALU_DEP_1)
	v_add3_u32 v5, v69, v5, 0x7fff
; %bb.96:
	s_and_not1_saveexec_b32 s2, s2
; %bb.97:
	v_and_b32_e32 v5, 0xffff, v69
	v_or_b32_e32 v6, 0x10000, v69
	s_delay_alu instid0(VALU_DEP_2) | instskip(NEXT) | instid1(VALU_DEP_2)
	v_cmp_eq_u32_e32 vcc_lo, 0, v5
	v_cndmask_b32_e32 v5, v6, v69, vcc_lo
; %bb.98:
	s_or_b32 exec_lo, exec_lo, s2
	v_and_b32_e32 v6, 0x7f800000, v70
	s_delay_alu instid0(VALU_DEP_1) | instskip(SKIP_1) | instid1(SALU_CYCLE_1)
	v_cmp_ne_u32_e32 vcc_lo, 0x7f800000, v6
                                        ; implicit-def: $vgpr6
	s_and_saveexec_b32 s2, vcc_lo
	s_xor_b32 s2, exec_lo, s2
; %bb.99:
	v_bfe_u32 v6, v70, 16, 1
	s_delay_alu instid0(VALU_DEP_1)
	v_add3_u32 v6, v70, v6, 0x7fff
; %bb.100:
	s_and_not1_saveexec_b32 s2, s2
; %bb.101:
	v_and_b32_e32 v6, 0xffff, v70
	v_or_b32_e32 v7, 0x10000, v70
	s_delay_alu instid0(VALU_DEP_2) | instskip(NEXT) | instid1(VALU_DEP_2)
	v_cmp_eq_u32_e32 vcc_lo, 0, v6
	v_cndmask_b32_e32 v6, v7, v70, vcc_lo
; %bb.102:
	s_or_b32 exec_lo, exec_lo, s2
	v_and_b32_e32 v7, 0x7f800000, v71
	s_delay_alu instid0(VALU_DEP_1) | instskip(SKIP_1) | instid1(SALU_CYCLE_1)
	v_cmp_ne_u32_e32 vcc_lo, 0x7f800000, v7
                                        ; implicit-def: $vgpr7
	s_and_saveexec_b32 s2, vcc_lo
	s_xor_b32 s2, exec_lo, s2
; %bb.103:
	v_bfe_u32 v7, v71, 16, 1
	s_delay_alu instid0(VALU_DEP_1)
	v_add3_u32 v7, v71, v7, 0x7fff
; %bb.104:
	s_and_not1_saveexec_b32 s2, s2
; %bb.105:
	v_and_b32_e32 v7, 0xffff, v71
	v_or_b32_e32 v8, 0x10000, v71
	s_delay_alu instid0(VALU_DEP_2) | instskip(NEXT) | instid1(VALU_DEP_2)
	v_cmp_eq_u32_e32 vcc_lo, 0, v7
	v_cndmask_b32_e32 v7, v8, v71, vcc_lo
; %bb.106:
	s_or_b32 exec_lo, exec_lo, s2
	v_and_b32_e32 v8, 0x7f800000, v72
	s_delay_alu instid0(VALU_DEP_1) | instskip(SKIP_1) | instid1(SALU_CYCLE_1)
	v_cmp_ne_u32_e32 vcc_lo, 0x7f800000, v8
                                        ; implicit-def: $vgpr8
	s_and_saveexec_b32 s2, vcc_lo
	s_xor_b32 s2, exec_lo, s2
; %bb.107:
	v_bfe_u32 v8, v72, 16, 1
	s_delay_alu instid0(VALU_DEP_1)
	v_add3_u32 v8, v72, v8, 0x7fff
                                        ; implicit-def: $vgpr65_vgpr66_vgpr67_vgpr68_vgpr69_vgpr70_vgpr71_vgpr72
; %bb.108:
	s_and_not1_saveexec_b32 s2, s2
; %bb.109:
	v_and_b32_e32 v8, 0xffff, v72
	v_or_b32_e32 v9, 0x10000, v72
	s_delay_alu instid0(VALU_DEP_2) | instskip(NEXT) | instid1(VALU_DEP_2)
	v_cmp_eq_u32_e32 vcc_lo, 0, v8
	v_cndmask_b32_e32 v8, v9, v72, vcc_lo
; %bb.110:
	s_or_b32 exec_lo, exec_lo, s2
	s_delay_alu instid0(VALU_DEP_1)
	v_perm_b32 v7, v8, v7, 0x7060302
	v_perm_b32 v6, v6, v5, 0x7060302
	;; [unrolled: 1-line block ×4, first 2 shown]
	s_barrier
	buffer_gl0_inv
	v_cmp_eq_u32_e32 vcc_lo, 1, v78
	ds_store_b128 v76, v[4:7]
	s_waitcnt lgkmcnt(0)
	s_barrier
	buffer_gl0_inv
	ds_load_b128 v[1:4], v82
	ds_load_b128 v[5:8], v82 offset:16
	v_cmp_eq_u32_e64 s2, 1, v79
	v_cmp_eq_u32_e64 s3, 2, v78
	;; [unrolled: 1-line block ×5, first 2 shown]
	s_waitcnt lgkmcnt(1)
	v_lshrrev_b32_e32 v9, 16, v1
	s_waitcnt lgkmcnt(0)
	v_lshrrev_b32_e32 v13, 16, v5
	v_lshrrev_b32_e32 v10, 16, v2
	;; [unrolled: 1-line block ×4, first 2 shown]
	v_cndmask_b32_e64 v19, v1, v9, s2
	v_cndmask_b32_e32 v18, v5, v13, vcc_lo
	v_cndmask_b32_e64 v20, v5, v13, s2
	v_cndmask_b32_e32 v17, v1, v9, vcc_lo
	v_cmp_eq_u32_e32 vcc_lo, 2, v79
	v_lshrrev_b32_e32 v15, 16, v7
	v_cmp_eq_u32_e64 s2, 1, v77
	v_lshrrev_b32_e32 v12, 16, v4
	v_lshrrev_b32_e32 v16, 16, v8
	v_cndmask_b32_e32 v20, v20, v6, vcc_lo
	v_cndmask_b32_e64 v17, v17, v2, s3
	v_cndmask_b32_e32 v19, v19, v2, vcc_lo
	v_cndmask_b32_e64 v18, v18, v6, s3
	v_cmp_eq_u32_e32 vcc_lo, 4, v78
	v_cmp_eq_u32_e64 s3, 3, v79
	v_cndmask_b32_e64 v17, v17, v10, s4
	v_cndmask_b32_e64 v21, v1, v9, s2
	;; [unrolled: 1-line block ×5, first 2 shown]
	v_cndmask_b32_e32 v17, v17, v3, vcc_lo
	v_cndmask_b32_e64 v20, v20, v14, s3
	v_cndmask_b32_e32 v18, v18, v7, vcc_lo
	v_cmp_eq_u32_e32 vcc_lo, 4, v79
	v_cmp_eq_u32_e64 s3, 5, v79
	v_cmp_eq_u32_e64 s2, 2, v81
	v_cndmask_b32_e64 v21, v21, v2, s6
	v_cmp_eq_u32_e64 s4, 5, v78
	v_cndmask_b32_e32 v19, v19, v3, vcc_lo
	v_cndmask_b32_e32 v20, v20, v7, vcc_lo
	v_cmp_eq_u32_e32 vcc_lo, 6, v79
	s_delay_alu instid0(VALU_DEP_4) | instskip(NEXT) | instid1(VALU_DEP_4)
	v_cndmask_b32_e64 v17, v17, v11, s4
	v_cndmask_b32_e64 v19, v19, v11, s3
	s_delay_alu instid0(VALU_DEP_4) | instskip(SKIP_1) | instid1(VALU_DEP_3)
	v_cndmask_b32_e64 v20, v20, v15, s3
	v_cmp_eq_u32_e64 s3, 1, v81
	v_cndmask_b32_e32 v19, v19, v4, vcc_lo
	v_cndmask_b32_e64 v18, v18, v15, s4
	s_delay_alu instid0(VALU_DEP_3)
	v_cndmask_b32_e64 v1, v1, v9, s3
	v_cndmask_b32_e64 v5, v5, v13, s3
	v_cmp_eq_u32_e64 s3, 3, v77
	v_cndmask_b32_e64 v13, v22, v6, s6
	v_cmp_eq_u32_e64 s6, 3, v81
	v_cndmask_b32_e64 v1, v1, v2, s2
	v_cndmask_b32_e64 v2, v5, v6, s2
	;; [unrolled: 1-line block ×3, first 2 shown]
	v_cmp_eq_u32_e64 s2, 4, v77
	v_cndmask_b32_e64 v6, v13, v14, s3
	v_cndmask_b32_e64 v1, v1, v10, s6
	v_cmp_eq_u32_e64 s3, 4, v81
	v_cndmask_b32_e64 v2, v2, v14, s6
	v_cndmask_b32_e64 v5, v9, v3, s2
	;; [unrolled: 3-line block ×3, first 2 shown]
	v_cndmask_b32_e64 v2, v2, v7, s3
	v_cmp_eq_u32_e64 s2, 5, v81
	v_cmp_eq_u32_e64 s4, 6, v78
	v_cndmask_b32_e64 v5, v5, v11, s6
	v_cmp_eq_u32_e64 s3, 6, v77
	v_cndmask_b32_e64 v3, v6, v15, s6
	v_cndmask_b32_e64 v1, v1, v11, s2
	v_cmp_eq_u32_e64 s6, 6, v81
	v_cndmask_b32_e64 v2, v2, v15, s2
	v_cndmask_b32_e64 v17, v17, v4, s4
	v_cndmask_b32_e64 v18, v18, v8, s4
	v_cmp_eq_u32_e64 s4, 7, v78
	v_cndmask_b32_e64 v5, v5, v4, s3
	;; [unrolled: 4-line block ×3, first 2 shown]
	v_cmp_eq_u32_e64 s3, 7, v77
	v_cndmask_b32_e32 v4, v20, v8, vcc_lo
	v_cndmask_b32_e64 v17, v17, v12, s4
	v_cndmask_b32_e64 v19, v19, v12, s5
	;; [unrolled: 1-line block ×8, first 2 shown]
	s_mov_b32 s2, exec_lo
	v_perm_b32 v4, v2, v1, 0x5040100
	v_perm_b32 v3, v3, v5, 0x5040100
	;; [unrolled: 1-line block ×4, first 2 shown]
	ds_store_b128 v76, v[1:4]
	s_waitcnt lgkmcnt(0)
	s_barrier
	buffer_gl0_inv
	v_cmpx_gt_u32_e32 32, v0
	s_cbranch_execz .LBB1883_2
; %bb.111:
	s_load_b64 s[0:1], s[0:1], 0x68
	v_lshlrev_b32_e32 v0, 10, v0
	s_lshl_b32 s4, s34, 7
	v_or_b32_e32 v3, s29, v74
	s_mul_i32 s2, s4, s30
	v_lshlrev_b32_e32 v1, 4, v75
	v_lshlrev_b32_e32 v2, 6, v74
	v_and_b32_e32 v0, 0x3800, v0
	s_mul_i32 s2, s2, s7
	v_mul_lo_u32 v8, v3, s4
	s_ashr_i32 s3, s2, 31
	s_delay_alu instid0(SALU_CYCLE_1)
	s_lshl_b64 s[2:3], s[2:3], 1
	v_or3_b32 v16, v0, v1, v2
	ds_load_b128 v[0:3], v16
	ds_load_b128 v[4:7], v16 offset:128
	v_ashrrev_i32_e32 v9, 31, v8
	s_waitcnt lgkmcnt(0)
	s_add_u32 s2, s0, s2
	s_addc_u32 s3, s1, s3
	s_lshl_b32 s0, s14, 7
	s_delay_alu instid0(SALU_CYCLE_1) | instskip(SKIP_2) | instid1(SALU_CYCLE_1)
	s_ashr_i32 s1, s0, 31
	v_lshlrev_b64 v[9:10], 1, v[8:9]
	s_lshl_b64 s[0:1], s[0:1], 1
	s_add_u32 s0, s2, s0
	s_addc_u32 s1, s3, s1
	s_lshl_b32 s2, s34, 8
	v_add_co_u32 v30, s0, s0, v73
	v_add_nc_u32_e32 v11, s2, v8
	v_add_co_ci_u32_e64 v31, null, s1, 0, s0
	s_delay_alu instid0(VALU_DEP_3) | instskip(NEXT) | instid1(VALU_DEP_3)
	v_add_co_u32 v9, vcc_lo, v30, v9
	v_add_nc_u32_e32 v8, s2, v11
	s_delay_alu instid0(VALU_DEP_3) | instskip(SKIP_1) | instid1(VALU_DEP_3)
	v_add_co_ci_u32_e32 v10, vcc_lo, v31, v10, vcc_lo
	v_ashrrev_i32_e32 v12, 31, v11
	v_add_nc_u32_e32 v13, s2, v8
	global_store_b128 v[9:10], v[0:3], off
	v_ashrrev_i32_e32 v9, 31, v8
	v_lshlrev_b64 v[11:12], 1, v[11:12]
	v_ashrrev_i32_e32 v14, 31, v13
	v_add_nc_u32_e32 v10, s2, v13
	s_delay_alu instid0(VALU_DEP_4) | instskip(NEXT) | instid1(VALU_DEP_4)
	v_lshlrev_b64 v[2:3], 1, v[8:9]
	v_add_co_u32 v0, vcc_lo, v30, v11
	s_delay_alu instid0(VALU_DEP_4)
	v_lshlrev_b64 v[8:9], 1, v[13:14]
	v_add_co_ci_u32_e32 v1, vcc_lo, v31, v12, vcc_lo
	v_ashrrev_i32_e32 v11, 31, v10
	v_add_co_u32 v22, vcc_lo, v30, v2
	v_add_nc_u32_e32 v20, s2, v10
	v_add_co_ci_u32_e32 v23, vcc_lo, v31, v3, vcc_lo
	v_add_co_u32 v24, vcc_lo, v30, v8
	global_store_b128 v[0:1], v[4:7], off
	v_add_co_ci_u32_e32 v25, vcc_lo, v31, v9, vcc_lo
	ds_load_b128 v[0:3], v16 offset:256
	ds_load_b128 v[4:7], v16 offset:384
	v_lshlrev_b64 v[26:27], 1, v[10:11]
	ds_load_b128 v[8:11], v16 offset:512
	ds_load_b128 v[12:15], v16 offset:640
	;; [unrolled: 1-line block ×3, first 2 shown]
	v_add_nc_u32_e32 v28, s2, v20
	v_ashrrev_i32_e32 v21, 31, v20
	v_add_co_u32 v26, vcc_lo, v30, v26
	s_delay_alu instid0(VALU_DEP_3) | instskip(NEXT) | instid1(VALU_DEP_3)
	v_ashrrev_i32_e32 v29, 31, v28
	v_lshlrev_b64 v[20:21], 1, v[20:21]
	v_add_co_ci_u32_e32 v27, vcc_lo, v31, v27, vcc_lo
	s_delay_alu instid0(VALU_DEP_3) | instskip(NEXT) | instid1(VALU_DEP_3)
	v_lshlrev_b64 v[28:29], 1, v[28:29]
	v_add_co_u32 v20, vcc_lo, v30, v20
	s_delay_alu instid0(VALU_DEP_4) | instskip(NEXT) | instid1(VALU_DEP_3)
	v_add_co_ci_u32_e32 v21, vcc_lo, v31, v21, vcc_lo
	v_add_co_u32 v28, vcc_lo, v30, v28
	s_delay_alu instid0(VALU_DEP_4)
	v_add_co_ci_u32_e32 v29, vcc_lo, v31, v29, vcc_lo
	s_waitcnt lgkmcnt(4)
	global_store_b128 v[22:23], v[0:3], off
	s_waitcnt lgkmcnt(3)
	global_store_b128 v[24:25], v[4:7], off
	;; [unrolled: 2-line block ×5, first 2 shown]
	s_nop 0
	s_sendmsg sendmsg(MSG_DEALLOC_VGPRS)
	s_endpgm
	.section	.rodata,"a",@progbits
	.p2align	6, 0x0
	.amdhsa_kernel _Z39paged_attention_ll4mi_QKV_mfma16_kernelI14__hip_bfloat16hLN4vllm18Fp8KVCacheDataTypeE1EhLi32ELi128ELi256ELb0ELi14EL8MFMAType0EEvPKT_PKT0_S9_ifPKiSB_SB_iPKfiiiPfSE_PS4_PT2_iSD_SD_
		.amdhsa_group_segment_fixed_size 17472
		.amdhsa_private_segment_fixed_size 0
		.amdhsa_kernarg_size 400
		.amdhsa_user_sgpr_count 13
		.amdhsa_user_sgpr_dispatch_ptr 0
		.amdhsa_user_sgpr_queue_ptr 0
		.amdhsa_user_sgpr_kernarg_segment_ptr 1
		.amdhsa_user_sgpr_dispatch_id 0
		.amdhsa_user_sgpr_private_segment_size 0
		.amdhsa_wavefront_size32 1
		.amdhsa_uses_dynamic_stack 0
		.amdhsa_enable_private_segment 0
		.amdhsa_system_sgpr_workgroup_id_x 1
		.amdhsa_system_sgpr_workgroup_id_y 1
		.amdhsa_system_sgpr_workgroup_id_z 1
		.amdhsa_system_sgpr_workgroup_info 0
		.amdhsa_system_vgpr_workitem_id 0
		.amdhsa_next_free_vgpr 140
		.amdhsa_next_free_sgpr 36
		.amdhsa_reserve_vcc 1
		.amdhsa_float_round_mode_32 0
		.amdhsa_float_round_mode_16_64 0
		.amdhsa_float_denorm_mode_32 3
		.amdhsa_float_denorm_mode_16_64 3
		.amdhsa_dx10_clamp 1
		.amdhsa_ieee_mode 1
		.amdhsa_fp16_overflow 0
		.amdhsa_workgroup_processor_mode 1
		.amdhsa_memory_ordered 1
		.amdhsa_forward_progress 0
		.amdhsa_shared_vgpr_count 0
		.amdhsa_exception_fp_ieee_invalid_op 0
		.amdhsa_exception_fp_denorm_src 0
		.amdhsa_exception_fp_ieee_div_zero 0
		.amdhsa_exception_fp_ieee_overflow 0
		.amdhsa_exception_fp_ieee_underflow 0
		.amdhsa_exception_fp_ieee_inexact 0
		.amdhsa_exception_int_div_zero 0
	.end_amdhsa_kernel
	.section	.text._Z39paged_attention_ll4mi_QKV_mfma16_kernelI14__hip_bfloat16hLN4vllm18Fp8KVCacheDataTypeE1EhLi32ELi128ELi256ELb0ELi14EL8MFMAType0EEvPKT_PKT0_S9_ifPKiSB_SB_iPKfiiiPfSE_PS4_PT2_iSD_SD_,"axG",@progbits,_Z39paged_attention_ll4mi_QKV_mfma16_kernelI14__hip_bfloat16hLN4vllm18Fp8KVCacheDataTypeE1EhLi32ELi128ELi256ELb0ELi14EL8MFMAType0EEvPKT_PKT0_S9_ifPKiSB_SB_iPKfiiiPfSE_PS4_PT2_iSD_SD_,comdat
.Lfunc_end1883:
	.size	_Z39paged_attention_ll4mi_QKV_mfma16_kernelI14__hip_bfloat16hLN4vllm18Fp8KVCacheDataTypeE1EhLi32ELi128ELi256ELb0ELi14EL8MFMAType0EEvPKT_PKT0_S9_ifPKiSB_SB_iPKfiiiPfSE_PS4_PT2_iSD_SD_, .Lfunc_end1883-_Z39paged_attention_ll4mi_QKV_mfma16_kernelI14__hip_bfloat16hLN4vllm18Fp8KVCacheDataTypeE1EhLi32ELi128ELi256ELb0ELi14EL8MFMAType0EEvPKT_PKT0_S9_ifPKiSB_SB_iPKfiiiPfSE_PS4_PT2_iSD_SD_
                                        ; -- End function
	.section	.AMDGPU.csdata,"",@progbits
; Kernel info:
; codeLenInByte = 9052
; NumSgprs: 38
; NumVgprs: 140
; ScratchSize: 0
; MemoryBound: 0
; FloatMode: 240
; IeeeMode: 1
; LDSByteSize: 17472 bytes/workgroup (compile time only)
; SGPRBlocks: 4
; VGPRBlocks: 17
; NumSGPRsForWavesPerEU: 38
; NumVGPRsForWavesPerEU: 140
; Occupancy: 10
; WaveLimiterHint : 1
; COMPUTE_PGM_RSRC2:SCRATCH_EN: 0
; COMPUTE_PGM_RSRC2:USER_SGPR: 13
; COMPUTE_PGM_RSRC2:TRAP_HANDLER: 0
; COMPUTE_PGM_RSRC2:TGID_X_EN: 1
; COMPUTE_PGM_RSRC2:TGID_Y_EN: 1
; COMPUTE_PGM_RSRC2:TGID_Z_EN: 1
; COMPUTE_PGM_RSRC2:TIDIG_COMP_CNT: 0
	.section	.text._Z39paged_attention_ll4mi_QKV_mfma16_kernelI14__hip_bfloat16hLN4vllm18Fp8KVCacheDataTypeE1EhLi32ELi128ELi256ELb0ELi15EL8MFMAType0EEvPKT_PKT0_S9_ifPKiSB_SB_iPKfiiiPfSE_PS4_PT2_iSD_SD_,"axG",@progbits,_Z39paged_attention_ll4mi_QKV_mfma16_kernelI14__hip_bfloat16hLN4vllm18Fp8KVCacheDataTypeE1EhLi32ELi128ELi256ELb0ELi15EL8MFMAType0EEvPKT_PKT0_S9_ifPKiSB_SB_iPKfiiiPfSE_PS4_PT2_iSD_SD_,comdat
	.protected	_Z39paged_attention_ll4mi_QKV_mfma16_kernelI14__hip_bfloat16hLN4vllm18Fp8KVCacheDataTypeE1EhLi32ELi128ELi256ELb0ELi15EL8MFMAType0EEvPKT_PKT0_S9_ifPKiSB_SB_iPKfiiiPfSE_PS4_PT2_iSD_SD_ ; -- Begin function _Z39paged_attention_ll4mi_QKV_mfma16_kernelI14__hip_bfloat16hLN4vllm18Fp8KVCacheDataTypeE1EhLi32ELi128ELi256ELb0ELi15EL8MFMAType0EEvPKT_PKT0_S9_ifPKiSB_SB_iPKfiiiPfSE_PS4_PT2_iSD_SD_
	.globl	_Z39paged_attention_ll4mi_QKV_mfma16_kernelI14__hip_bfloat16hLN4vllm18Fp8KVCacheDataTypeE1EhLi32ELi128ELi256ELb0ELi15EL8MFMAType0EEvPKT_PKT0_S9_ifPKiSB_SB_iPKfiiiPfSE_PS4_PT2_iSD_SD_
	.p2align	8
	.type	_Z39paged_attention_ll4mi_QKV_mfma16_kernelI14__hip_bfloat16hLN4vllm18Fp8KVCacheDataTypeE1EhLi32ELi128ELi256ELb0ELi15EL8MFMAType0EEvPKT_PKT0_S9_ifPKiSB_SB_iPKfiiiPfSE_PS4_PT2_iSD_SD_,@function
_Z39paged_attention_ll4mi_QKV_mfma16_kernelI14__hip_bfloat16hLN4vllm18Fp8KVCacheDataTypeE1EhLi32ELi128ELi256ELb0ELi15EL8MFMAType0EEvPKT_PKT0_S9_ifPKiSB_SB_iPKfiiiPfSE_PS4_PT2_iSD_SD_: ; @_Z39paged_attention_ll4mi_QKV_mfma16_kernelI14__hip_bfloat16hLN4vllm18Fp8KVCacheDataTypeE1EhLi32ELi128ELi256ELb0ELi15EL8MFMAType0EEvPKT_PKT0_S9_ifPKiSB_SB_iPKfiiiPfSE_PS4_PT2_iSD_SD_
; %bb.0:
	s_load_b64 s[4:5], s[0:1], 0x30
	s_mov_b32 s30, s13
	s_waitcnt lgkmcnt(0)
	s_cmp_lg_u64 s[4:5], 0
	s_cselect_b32 s13, -1, 0
	s_ashr_i32 s31, s30, 31
	s_cmp_eq_u64 s[4:5], 0
	s_cbranch_scc1 .LBB1884_3
; %bb.1:
	s_lshl_b64 s[2:3], s[30:31], 2
	s_delay_alu instid0(SALU_CYCLE_1) | instskip(SKIP_4) | instid1(SALU_CYCLE_1)
	s_add_u32 s2, s4, s2
	s_addc_u32 s3, s5, s3
	s_load_b64 s[2:3], s[2:3], 0x0
	s_waitcnt lgkmcnt(0)
	s_sub_i32 s2, s3, s2
	s_cmp_eq_u32 s2, 1
	s_cselect_b32 s2, -1, 0
	s_delay_alu instid0(SALU_CYCLE_1)
	s_and_not1_b32 vcc_lo, exec_lo, s2
	s_cbranch_vccz .LBB1884_4
.LBB1884_2:
	s_nop 0
	s_sendmsg sendmsg(MSG_DEALLOC_VGPRS)
	s_endpgm
.LBB1884_3:
.LBB1884_4:
	s_load_b64 s[2:3], s[0:1], 0x28
	s_lshl_b64 s[6:7], s[30:31], 2
	s_waitcnt lgkmcnt(0)
	s_add_u32 s2, s2, s6
	s_addc_u32 s3, s3, s7
	s_lshl_b32 s12, s14, 8
	s_load_b32 s17, s[2:3], 0x0
	s_waitcnt lgkmcnt(0)
	s_cmp_ge_i32 s12, s17
	s_cbranch_scc1 .LBB1884_2
; %bb.5:
	s_clause 0x1
	s_load_b128 s[8:11], s[0:1], 0x8
	s_load_b64 s[2:3], s[0:1], 0x20
	s_and_not1_b32 vcc_lo, exec_lo, s13
	s_cbranch_vccnz .LBB1884_7
; %bb.6:
	s_add_u32 s4, s4, s6
	s_addc_u32 s5, s5, s7
	s_load_b32 s13, s[4:5], 0x0
	s_branch .LBB1884_8
.LBB1884_7:
	s_mov_b32 s13, s30
.LBB1884_8:
	s_load_b128 s[4:7], s[0:1], 0x48
	v_and_b32_e32 v65, 15, v0
	v_lshrrev_b32_e32 v66, 5, v0
	v_bfe_u32 v74, v0, 4, 1
	v_and_b32_e32 v67, 31, v0
	v_and_b32_e32 v75, 1, v0
	v_lshlrev_b32_e32 v2, 3, v65
	s_mul_i32 s31, s15, 15
	v_lshl_or_b32 v1, v66, 1, v74
	s_waitcnt lgkmcnt(0)
	s_mov_b32 s7, exec_lo
	v_lshlrev_b32_e32 v73, 1, v2
	s_delay_alu instid0(VALU_DEP_2)
	v_cmpx_gt_u32_e32 15, v1
	s_cbranch_execz .LBB1884_10
; %bb.9:
	s_load_b64 s[18:19], s[0:1], 0x0
	v_add_lshl_u32 v2, v1, s31, 7
	s_mul_hi_i32 s21, s13, s4
	s_mul_i32 s20, s13, s4
	v_lshlrev_b32_e32 v6, 10, v65
	s_lshl_b64 s[20:21], s[20:21], 1
	v_ashrrev_i32_e32 v3, 31, v2
	v_lshlrev_b32_e32 v1, 6, v1
	v_lshlrev_b32_e32 v7, 10, v75
	v_and_b32_e32 v6, 0x3800, v6
	s_delay_alu instid0(VALU_DEP_4) | instskip(NEXT) | instid1(VALU_DEP_2)
	v_lshlrev_b64 v[2:3], 1, v[2:3]
	v_or3_b32 v1, v6, v7, v1
	s_waitcnt lgkmcnt(0)
	s_add_u32 s4, s18, s20
	s_addc_u32 s13, s19, s21
	s_delay_alu instid0(VALU_DEP_2) | instskip(SKIP_1) | instid1(VALU_DEP_2)
	v_add_co_u32 v2, vcc_lo, s4, v2
	v_add_co_ci_u32_e32 v3, vcc_lo, s13, v3, vcc_lo
	v_add_co_u32 v2, vcc_lo, v2, v73
	s_delay_alu instid0(VALU_DEP_2)
	v_add_co_ci_u32_e32 v3, vcc_lo, 0, v3, vcc_lo
	global_load_b128 v[2:5], v[2:3], off
	s_waitcnt vmcnt(0)
	ds_store_b128 v1, v[2:5]
.LBB1884_10:
	s_or_b32 exec_lo, exec_lo, s7
	v_and_b32_e32 v1, 0xef, v0
	s_add_i32 s4, s17, 31
	s_clause 0x1
	s_load_b32 s7, s[0:1], 0x38
	s_load_b32 s18, s[0:1], 0x1c
	s_ashr_i32 s13, s4, 31
	v_add_nc_u32_e32 v1, s12, v1
	s_lshr_b32 s13, s13, 27
	s_waitcnt lgkmcnt(0)
	s_add_i32 s4, s4, s13
	s_barrier
	v_ashrrev_i32_e32 v2, 31, v1
	v_or_b32_e32 v3, 16, v1
	s_ashr_i32 s4, s4, 5
	v_cmp_gt_i32_e32 vcc_lo, s17, v1
	s_add_i32 s4, s4, -1
	v_lshrrev_b32_e32 v2, 27, v2
	buffer_gl0_inv
	s_mul_i32 s15, s15, s6
	v_add_nc_u32_e32 v4, v1, v2
	s_mul_i32 s20, s30, s7
	s_delay_alu instid0(SALU_CYCLE_1) | instskip(NEXT) | instid1(VALU_DEP_1)
	s_ashr_i32 s21, s20, 31
	v_ashrrev_i32_e32 v4, 5, v4
	v_add_nc_u32_e32 v2, v3, v2
	s_lshl_b64 s[20:21], s[20:21], 2
	s_delay_alu instid0(SALU_CYCLE_1) | instskip(NEXT) | instid1(VALU_DEP_2)
	s_add_u32 s13, s2, s20
	v_cndmask_b32_e32 v1, s4, v4, vcc_lo
	s_delay_alu instid0(VALU_DEP_2)
	v_ashrrev_i32_e32 v2, 5, v2
	v_cmp_gt_i32_e32 vcc_lo, s17, v3
	s_addc_u32 s16, s3, s21
	s_ashr_i32 s19, s15, 31
	s_add_u32 s2, s8, s15
	s_addc_u32 s3, s9, s19
	v_cndmask_b32_e32 v3, s4, v2, vcc_lo
	v_ashrrev_i32_e32 v2, 31, v1
	s_lshl_b32 s6, s14, 3
	s_delay_alu instid0(SALU_CYCLE_1) | instskip(NEXT) | instid1(VALU_DEP_2)
	s_ashr_i32 s7, s6, 31
	v_ashrrev_i32_e32 v4, 31, v3
	s_delay_alu instid0(VALU_DEP_2) | instskip(SKIP_1) | instid1(SALU_CYCLE_1)
	v_lshlrev_b64 v[1:2], 2, v[1:2]
	s_lshl_b64 s[6:7], s[6:7], 2
	s_add_u32 s6, s13, s6
	s_delay_alu instid0(VALU_DEP_2) | instskip(SKIP_1) | instid1(VALU_DEP_2)
	v_lshlrev_b64 v[3:4], 2, v[3:4]
	s_addc_u32 s7, s16, s7
	v_add_co_u32 v1, vcc_lo, s13, v1
	v_add_co_ci_u32_e32 v2, vcc_lo, s16, v2, vcc_lo
	s_delay_alu instid0(VALU_DEP_3) | instskip(NEXT) | instid1(VALU_DEP_4)
	v_add_co_u32 v3, vcc_lo, s13, v3
	v_add_co_ci_u32_e32 v4, vcc_lo, s16, v4, vcc_lo
	s_clause 0x1
	global_load_b32 v5, v[1:2], off
	global_load_b32 v6, v[3:4], off
	s_or_b32 s8, s12, 32
	s_delay_alu instid0(SALU_CYCLE_1) | instskip(SKIP_2) | instid1(SALU_CYCLE_1)
	s_ashr_i32 s9, s8, 5
	s_cmp_lt_i32 s8, s17
	s_cselect_b32 s8, s9, s4
	s_ashr_i32 s9, s8, 31
	s_delay_alu instid0(SALU_CYCLE_1) | instskip(NEXT) | instid1(SALU_CYCLE_1)
	s_lshl_b64 s[8:9], s[8:9], 2
	s_add_u32 s8, s13, s8
	s_addc_u32 s9, s16, s9
	s_or_b32 s20, s12, 64
	s_delay_alu instid0(SALU_CYCLE_1) | instskip(SKIP_2) | instid1(SALU_CYCLE_1)
	s_ashr_i32 s21, s20, 5
	s_cmp_lt_i32 s20, s17
	s_cselect_b32 s20, s21, s4
	s_ashr_i32 s21, s20, 31
	s_delay_alu instid0(SALU_CYCLE_1) | instskip(NEXT) | instid1(SALU_CYCLE_1)
	s_lshl_b64 s[20:21], s[20:21], 2
	s_add_u32 s20, s13, s20
	s_addc_u32 s21, s16, s21
	;; [unrolled: 10-line block ×5, first 2 shown]
	s_clause 0x5
	s_load_b32 s28, s[6:7], 0x0
	s_load_b32 s8, s[8:9], 0x0
	;; [unrolled: 1-line block ×6, first 2 shown]
	s_mov_b32 s20, 0
	s_delay_alu instid0(SALU_CYCLE_1)
	s_mov_b32 s21, s20
	s_mov_b32 s22, s20
	;; [unrolled: 1-line block ×7, first 2 shown]
	s_delay_alu instid0(SALU_CYCLE_1)
	v_dual_mov_b32 v107, s27 :: v_dual_mov_b32 v100, s20
	v_mov_b32_e32 v106, s26
	v_dual_mov_b32 v104, s24 :: v_dual_mov_b32 v103, s23
	v_dual_mov_b32 v101, s21 :: v_dual_mov_b32 v102, s22
	s_waitcnt vmcnt(1)
	v_mad_i64_i32 v[1:2], null, v5, s5, s[2:3]
	v_lshlrev_b32_e32 v5, 4, v65
	s_waitcnt vmcnt(0)
	v_mad_i64_i32 v[3:4], null, v6, s5, s[2:3]
	s_or_b32 s2, s12, 0xc0
	s_delay_alu instid0(SALU_CYCLE_1) | instskip(NEXT) | instid1(VALU_DEP_3)
	s_ashr_i32 s3, s2, 5
	v_add_co_u32 v33, vcc_lo, v1, v5
	s_delay_alu instid0(VALU_DEP_4) | instskip(NEXT) | instid1(VALU_DEP_3)
	v_add_co_ci_u32_e32 v34, vcc_lo, 0, v2, vcc_lo
	v_add_co_u32 v35, vcc_lo, v3, v5
	s_delay_alu instid0(VALU_DEP_4)
	v_add_co_ci_u32_e32 v36, vcc_lo, 0, v4, vcc_lo
	s_clause 0xf
	global_load_b128 v[1:4], v[33:34], off
	global_load_b128 v[5:8], v[33:34], off offset:512
	global_load_b128 v[9:12], v[35:36], off offset:256
	;; [unrolled: 1-line block ×15, first 2 shown]
	s_cmp_lt_i32 s2, s17
	v_cmp_ne_u32_e32 vcc_lo, 15, v65
	s_cselect_b32 s2, s3, s4
	v_lshlrev_b32_e32 v34, 5, v65
	s_ashr_i32 s3, s2, 31
	s_delay_alu instid0(SALU_CYCLE_1) | instskip(SKIP_4) | instid1(VALU_DEP_1)
	s_lshl_b64 s[2:3], s[2:3], 2
	v_cndmask_b32_e32 v33, 0, v65, vcc_lo
	s_add_u32 s2, s13, s2
	s_addc_u32 s3, s16, s3
	s_or_b32 s6, s12, 0xe0
	v_dual_mov_b32 v105, s25 :: v_dual_lshlrev_b32 v72, 6, v33
	s_ashr_i32 s7, s6, 5
	s_cmp_lt_i32 s6, s17
	v_lshl_or_b32 v41, v66, 9, v34
	s_cselect_b32 s6, s7, s4
	ds_load_b128 v[33:36], v72
	ds_load_b128 v[37:40], v72 offset:1024
	s_ashr_i32 s7, s6, 31
	ds_load_b128 v[108:111], v72 offset:2048
	ds_load_b128 v[112:115], v72 offset:3072
	s_lshl_b64 s[6:7], s[6:7], 2
	s_load_b32 s4, s[2:3], 0x0
	s_add_u32 s2, s13, s6
	s_addc_u32 s3, s16, s7
	ds_load_b128 v[116:119], v72 offset:4096
	ds_load_b128 v[120:123], v72 offset:5120
	s_load_b32 s2, s[2:3], 0x0
	s_add_u32 s6, s10, s15
	s_addc_u32 s7, s11, s19
	v_add_co_u32 v68, s6, s6, v41
	s_delay_alu instid0(VALU_DEP_1) | instskip(SKIP_1) | instid1(VALU_DEP_1)
	v_add_co_ci_u32_e64 v69, null, s7, 0, s6
	s_waitcnt lgkmcnt(0)
	v_mad_i64_i32 v[41:42], null, s28, s5, v[68:69]
	v_mad_i64_i32 v[70:71], null, s9, s5, v[68:69]
	;; [unrolled: 1-line block ×7, first 2 shown]
	s_clause 0x3
	global_load_b128 v[49:52], v[41:42], off
	global_load_b128 v[53:56], v[41:42], off offset:16
	global_load_b128 v[41:44], v[45:46], off
	global_load_b128 v[45:48], v[45:46], off offset:16
	s_waitcnt vmcnt(18)
	v_wmma_f32_16x16x16_bf16 v[124:131], v[1:8], v[33:40], v[100:107]
	s_waitcnt vmcnt(16)
	v_wmma_f32_16x16x16_bf16 v[100:107], v[9:16], v[33:40], v[100:107]
	s_clause 0x1
	global_load_b128 v[33:36], v[70:71], off
	global_load_b128 v[37:40], v[70:71], off offset:16
	v_mad_i64_i32 v[70:71], null, s2, s5, v[68:69]
	s_waitcnt vmcnt(16)
	v_wmma_f32_16x16x16_bf16 v[124:131], v[17:24], v[108:115], v[124:131]
	s_waitcnt vmcnt(14)
	v_wmma_f32_16x16x16_bf16 v[100:107], v[25:32], v[108:115], v[100:107]
	s_clause 0x7
	global_load_b128 v[25:28], v[132:133], off
	global_load_b128 v[29:32], v[132:133], off offset:16
	global_load_b128 v[1:4], v[134:135], off
	global_load_b128 v[5:8], v[134:135], off offset:16
	;; [unrolled: 2-line block ×4, first 2 shown]
	s_waitcnt vmcnt(20)
	v_wmma_f32_16x16x16_bf16 v[124:131], v[57:64], v[116:123], v[124:131]
	s_clause 0x1
	global_load_b128 v[57:60], v[70:71], off
	global_load_b128 v[61:64], v[70:71], off offset:16
	s_waitcnt vmcnt(20)
	v_wmma_f32_16x16x16_bf16 v[100:107], v[76:83], v[116:123], v[100:107]
	ds_load_b128 v[76:79], v72 offset:6144
	ds_load_b128 v[80:83], v72 offset:7168
	v_and_b32_e32 v68, 0xe0, v0
	v_mbcnt_lo_u32_b32 v69, -1, 0
	s_waitcnt vmcnt(0) lgkmcnt(0)
	s_barrier
	buffer_gl0_inv
	v_add_nc_u32_e32 v68, s12, v68
	v_xor_b32_e32 v70, 16, v69
	s_delay_alu instid0(VALU_DEP_2) | instskip(NEXT) | instid1(VALU_DEP_2)
	v_or_b32_e32 v68, v68, v74
	v_cmp_gt_i32_e32 vcc_lo, 32, v70
	s_delay_alu instid0(VALU_DEP_2)
	v_or_b32_e32 v71, 4, v68
	v_or_b32_e32 v72, 6, v68
	v_cmp_gt_i32_e64 s2, s17, v68
	v_or_b32_e32 v108, 8, v68
	v_wmma_f32_16x16x16_bf16 v[124:131], v[84:91], v[76:83], v[124:131]
	v_cndmask_b32_e32 v69, v69, v70, vcc_lo
	v_or_b32_e32 v70, 2, v68
	v_wmma_f32_16x16x16_bf16 v[100:107], v[92:99], v[76:83], v[100:107]
	v_or_b32_e32 v109, 10, v68
	v_dual_mul_f32 v78, s18, v131 :: v_dual_mul_f32 v83, s18, v126
	v_dual_mul_f32 v92, s18, v125 :: v_dual_mul_f32 v93, s18, v124
	s_delay_alu instid0(VALU_DEP_4) | instskip(SKIP_2) | instid1(VALU_DEP_4)
	v_mul_f32_e32 v94, s18, v107
	v_cmp_gt_i32_e32 vcc_lo, s17, v70
	v_dual_mul_f32 v81, s18, v128 :: v_dual_mul_f32 v82, s18, v127
	v_cndmask_b32_e64 v93, 0xff7fffff, v93, s2
	v_cmp_gt_i32_e64 s3, s17, v71
	v_cndmask_b32_e32 v92, 0xff7fffff, v92, vcc_lo
	v_cmp_gt_i32_e64 s4, s17, v72
	v_or_b32_e32 v84, 12, v68
	v_or_b32_e32 v85, 14, v68
	v_dual_mul_f32 v79, s18, v130 :: v_dual_mul_f32 v80, s18, v129
	v_cndmask_b32_e64 v71, 0xff7fffff, v83, s3
	v_cndmask_b32_e64 v72, 0xff7fffff, v82, s4
	v_max3_f32 v82, v93, 0xff7fffff, v92
	v_cmp_gt_i32_e64 s5, s17, v108
	v_cmp_gt_i32_e64 s6, s17, v109
	v_or_b32_e32 v86, 16, v68
	v_or_b32_e32 v87, 18, v68
	v_max3_f32 v71, v82, v71, v72
	v_cndmask_b32_e64 v81, 0xff7fffff, v81, s5
	v_cndmask_b32_e64 v80, 0xff7fffff, v80, s6
	v_cmp_gt_i32_e64 s7, s17, v84
	v_cmp_gt_i32_e64 s8, s17, v85
	v_or_b32_e32 v88, 20, v68
	v_or_b32_e32 v89, 22, v68
	;; [unrolled: 1-line block ×6, first 2 shown]
	v_dual_mul_f32 v99, s18, v102 :: v_dual_mul_f32 v70, s18, v101
	v_mul_f32_e32 v68, s18, v100
	v_cndmask_b32_e64 v72, 0xff7fffff, v79, s7
	v_cndmask_b32_e64 v78, 0xff7fffff, v78, s8
	v_max3_f32 v71, v71, v81, v80
	v_cmp_gt_i32_e64 s9, s17, v86
	v_cmp_gt_i32_e64 s10, s17, v87
	v_dual_mul_f32 v97, s18, v104 :: v_dual_mul_f32 v98, s18, v103
	s_delay_alu instid0(VALU_DEP_4) | instskip(SKIP_1) | instid1(VALU_DEP_4)
	v_max3_f32 v71, v71, v72, v78
	v_cmp_gt_i32_e64 s11, s17, v88
	v_cndmask_b32_e64 v70, 0xff7fffff, v70, s10
	v_cmp_gt_i32_e64 s12, s17, v89
	v_lshlrev_b32_e32 v89, 2, v69
	v_cndmask_b32_e64 v68, 0xff7fffff, v68, s9
	v_dual_mul_f32 v95, s18, v106 :: v_dual_mul_f32 v96, s18, v105
	v_cndmask_b32_e64 v72, 0xff7fffff, v99, s11
	v_cndmask_b32_e64 v78, 0xff7fffff, v98, s12
	s_delay_alu instid0(VALU_DEP_4)
	v_max3_f32 v68, v71, v68, v70
	v_cmp_gt_i32_e64 s13, s17, v90
	v_cmp_gt_i32_e64 s15, s17, v91
	;; [unrolled: 1-line block ×4, first 2 shown]
	v_max3_f32 v68, v68, v72, v78
	v_cndmask_b32_e64 v70, 0xff7fffff, v97, s13
	v_cndmask_b32_e64 v71, 0xff7fffff, v96, s15
	;; [unrolled: 1-line block ×4, first 2 shown]
	s_delay_alu instid0(VALU_DEP_3) | instskip(NEXT) | instid1(VALU_DEP_1)
	v_max3_f32 v68, v68, v70, v71
	v_max3_f32 v68, v68, v72, v76
	ds_bpermute_b32 v69, v89, v68
	s_waitcnt lgkmcnt(0)
	v_max_f32_e32 v69, v69, v69
	s_delay_alu instid0(VALU_DEP_1) | instskip(NEXT) | instid1(VALU_DEP_1)
	v_max_f32_e32 v68, v68, v69
	v_fma_f32 v71, s18, v126, -v68
	s_delay_alu instid0(VALU_DEP_1)
	v_mul_f32_e32 v71, 0x3fb8aa3b, v71
	v_fma_f32 v69, s18, v124, -v68
	v_fma_f32 v70, s18, v125, -v68
	;; [unrolled: 1-line block ×4, first 2 shown]
	v_exp_f32_e32 v71, v71
	s_delay_alu instid0(VALU_DEP_3) | instskip(SKIP_2) | instid1(VALU_DEP_3)
	v_dual_mul_f32 v69, 0x3fb8aa3b, v69 :: v_dual_mul_f32 v70, 0x3fb8aa3b, v70
	v_fma_f32 v78, s18, v130, -v68
	v_fma_f32 v81, s18, v105, -v68
	v_exp_f32_e32 v69, v69
	s_delay_alu instid0(VALU_DEP_3) | instskip(SKIP_1) | instid1(VALU_DEP_2)
	v_exp_f32_e32 v70, v70
	v_mul_f32_e32 v77, 0x3fb8aa3b, v76
	v_mul_f32_e32 v81, 0x3fb8aa3b, v81
	s_delay_alu instid0(TRANS32_DEP_3) | instskip(SKIP_1) | instid1(VALU_DEP_3)
	v_cndmask_b32_e64 v83, 0, v71, s3
	v_fma_f32 v71, s18, v131, -v68
	v_exp_f32_e32 v81, v81
	s_delay_alu instid0(TRANS32_DEP_3) | instskip(NEXT) | instid1(TRANS32_DEP_2)
	v_cndmask_b32_e64 v80, 0, v69, s2
	v_cndmask_b32_e32 v76, 0, v70, vcc_lo
	v_fma_f32 v69, s18, v129, -v68
	v_mul_f32_e32 v72, 0x3fb8aa3b, v72
	v_exp_f32_e32 v77, v77
	v_dual_add_f32 v70, 0, v80 :: v_dual_mul_f32 v71, 0x3fb8aa3b, v71
	s_delay_alu instid0(VALU_DEP_3) | instskip(NEXT) | instid1(VALU_DEP_3)
	v_mul_f32_e32 v69, 0x3fb8aa3b, v69
	v_exp_f32_e32 v72, v72
	v_cmp_gt_u32_e64 s2, 16, v67
	s_delay_alu instid0(VALU_DEP_3) | instskip(NEXT) | instid1(VALU_DEP_2)
	v_exp_f32_e32 v71, v71
	v_exp_f32_e32 v69, v69
	v_cndmask_b32_e64 v86, 0, v77, s5
	v_fma_f32 v77, s18, v101, -v68
	v_add_f32_e32 v70, v70, v76
	s_delay_alu instid0(TRANS32_DEP_3) | instskip(SKIP_1) | instid1(VALU_DEP_3)
	v_cndmask_b32_e64 v85, 0, v72, s4
	v_fma_f32 v72, s18, v100, -v68
	v_dual_mul_f32 v77, 0x3fb8aa3b, v77 :: v_dual_add_f32 v70, v70, v83
	s_delay_alu instid0(TRANS32_DEP_2) | instskip(SKIP_1) | instid1(TRANS32_DEP_1)
	v_cndmask_b32_e64 v88, 0, v71, s8
	v_fma_f32 v71, s18, v104, -v68
	v_cndmask_b32_e64 v87, 0, v69, s6
	s_delay_alu instid0(VALU_DEP_4) | instskip(NEXT) | instid1(VALU_DEP_2)
	v_exp_f32_e32 v77, v77
	v_dual_add_f32 v70, v70, v85 :: v_dual_mul_f32 v71, 0x3fb8aa3b, v71
	s_delay_alu instid0(VALU_DEP_1) | instskip(SKIP_2) | instid1(VALU_DEP_3)
	v_dual_mul_f32 v72, 0x3fb8aa3b, v72 :: v_dual_add_f32 v69, v70, v86
	v_mul_f32_e32 v78, 0x3fb8aa3b, v78
	v_fma_f32 v70, s18, v102, -v68
	v_exp_f32_e32 v72, v72
	v_exp_f32_e32 v82, v71
	v_add_f32_e32 v69, v69, v87
	v_exp_f32_e32 v78, v78
	v_mul_f32_e32 v70, 0x3fb8aa3b, v70
	s_delay_alu instid0(VALU_DEP_1) | instskip(SKIP_4) | instid1(VALU_DEP_2)
	v_exp_f32_e32 v79, v70
	v_cndmask_b32_e64 v70, 0, v72, s9
	s_waitcnt_depctr 0xfff
	v_cndmask_b32_e64 v84, 0, v78, s7
	v_fma_f32 v78, s18, v103, -v68
	v_add_f32_e32 v69, v69, v84
	v_cndmask_b32_e64 v71, 0, v79, s11
	s_delay_alu instid0(VALU_DEP_2) | instskip(SKIP_2) | instid1(VALU_DEP_1)
	v_add_f32_e32 v72, v69, v88
	v_cndmask_b32_e64 v69, 0, v77, s10
	v_fma_f32 v77, s18, v106, -v68
	v_dual_mul_f32 v77, 0x3fb8aa3b, v77 :: v_dual_add_f32 v72, v72, v70
	v_mul_f32_e32 v78, 0x3fb8aa3b, v78
	s_delay_alu instid0(VALU_DEP_2) | instskip(NEXT) | instid1(VALU_DEP_2)
	v_exp_f32_e32 v90, v77
	v_add_f32_e32 v79, v72, v69
	s_delay_alu instid0(VALU_DEP_2)
	v_exp_f32_e32 v78, v78
	v_cndmask_b32_e64 v77, 0, v82, s13
	s_waitcnt_depctr 0xfff
	v_cndmask_b32_e64 v72, 0, v78, s12
	v_add_f32_e32 v78, v79, v71
	v_fma_f32 v79, s18, v107, -v68
	s_delay_alu instid0(VALU_DEP_1) | instskip(SKIP_1) | instid1(VALU_DEP_2)
	v_dual_add_f32 v82, v78, v72 :: v_dual_mul_f32 v79, 0x3fb8aa3b, v79
	v_cndmask_b32_e64 v78, 0, v81, s15
	v_add_f32_e32 v81, v82, v77
	s_delay_alu instid0(VALU_DEP_3) | instskip(SKIP_1) | instid1(VALU_DEP_2)
	v_exp_f32_e32 v82, v79
	v_cndmask_b32_e64 v79, 0, v90, s16
	v_add_f32_e32 v81, v81, v78
	s_delay_alu instid0(VALU_DEP_1) | instskip(SKIP_2) | instid1(VALU_DEP_1)
	v_add_f32_e32 v90, v81, v79
	s_waitcnt_depctr 0xfff
	v_cndmask_b32_e64 v81, 0, v82, s17
	v_add_f32_e32 v82, v90, v81
	ds_bpermute_b32 v89, v89, v82
	s_and_saveexec_b32 s3, s2
	s_cbranch_execz .LBB1884_12
; %bb.11:
	v_mul_u32_u24_e32 v67, 0x44, v66
	s_delay_alu instid0(VALU_DEP_1) | instskip(SKIP_1) | instid1(VALU_DEP_1)
	v_lshl_add_u32 v67, v65, 2, v67
	s_waitcnt lgkmcnt(0)
	v_dual_add_f32 v82, v82, v89 :: v_dual_add_nc_u32 v67, 0x4000, v67
	ds_store_2addr_b32 v67, v68, v82 offset1:136
.LBB1884_12:
	s_or_b32 exec_lo, exec_lo, s3
	v_lshlrev_b32_e32 v67, 2, v65
	s_waitcnt lgkmcnt(0)
	s_barrier
	buffer_gl0_inv
	v_cmp_eq_u32_e32 vcc_lo, 1, v66
	v_add_nc_u32_e32 v82, 0x4000, v67
	v_cmp_eq_u32_e64 s3, 2, v66
	v_cmp_eq_u32_e64 s5, 7, v66
	ds_load_2addr_b32 v[89:90], v82 offset1:17
	ds_load_2addr_b32 v[91:92], v82 offset0:34 offset1:51
	ds_load_2addr_b32 v[93:94], v82 offset0:68 offset1:85
	;; [unrolled: 1-line block ×4, first 2 shown]
	s_waitcnt lgkmcnt(4)
	v_max3_f32 v67, v89, 0xff7fffff, v90
	s_waitcnt lgkmcnt(3)
	s_delay_alu instid0(VALU_DEP_1) | instskip(SKIP_1) | instid1(VALU_DEP_1)
	v_max3_f32 v67, v67, v91, v92
	s_waitcnt lgkmcnt(2)
	v_max3_f32 v67, v67, v93, v94
	s_waitcnt lgkmcnt(1)
	s_delay_alu instid0(VALU_DEP_1) | instskip(NEXT) | instid1(VALU_DEP_1)
	v_max3_f32 v67, v67, v95, v96
	v_sub_f32_e32 v93, v93, v67
	s_delay_alu instid0(VALU_DEP_1) | instskip(NEXT) | instid1(VALU_DEP_1)
	v_dual_sub_f32 v68, v89, v67 :: v_dual_mul_f32 v103, 0x3fb8aa3b, v93
	v_mul_f32_e32 v68, 0x3fb8aa3b, v68
	s_delay_alu instid0(VALU_DEP_1)
	v_exp_f32_e32 v100, v68
	v_sub_f32_e32 v68, v92, v67
	v_sub_f32_e32 v99, v90, v67
	ds_load_2addr_b32 v[89:90], v82 offset0:170 offset1:187
	v_dual_mul_f32 v102, 0x3fb8aa3b, v68 :: v_dual_mul_f32 v99, 0x3fb8aa3b, v99
	s_waitcnt lgkmcnt(1)
	v_fma_f32 v68, v100, v97, 0
	s_delay_alu instid0(VALU_DEP_2) | instskip(NEXT) | instid1(VALU_DEP_2)
	v_exp_f32_e32 v102, v102
	v_exp_f32_e32 v99, v99
	s_waitcnt_depctr 0xfff
	v_fmac_f32_e32 v68, v99, v98
	v_sub_f32_e32 v91, v91, v67
	s_delay_alu instid0(VALU_DEP_1)
	v_mul_f32_e32 v101, 0x3fb8aa3b, v91
	ds_load_2addr_b32 v[91:92], v82 offset0:204 offset1:221
	v_sub_f32_e32 v97, v94, v67
	ds_load_2addr_b32 v[93:94], v82 offset0:238 offset1:255
	s_waitcnt lgkmcnt(0)
	v_exp_f32_e32 v101, v101
	s_barrier
	buffer_gl0_inv
	v_dual_fmac_f32 v68, v101, v89 :: v_dual_sub_f32 v89, v96, v67
	v_dual_sub_f32 v82, v95, v67 :: v_dual_mul_f32 v95, 0x3fb8aa3b, v97
	v_exp_f32_e32 v97, v103
	s_delay_alu instid0(VALU_DEP_2) | instskip(NEXT) | instid1(VALU_DEP_2)
	v_dual_fmac_f32 v68, v102, v90 :: v_dual_mul_f32 v89, 0x3fb8aa3b, v89
	v_mul_f32_e32 v82, 0x3fb8aa3b, v82
	s_delay_alu instid0(VALU_DEP_3) | instskip(NEXT) | instid1(VALU_DEP_2)
	v_exp_f32_e32 v95, v95
	v_exp_f32_e32 v89, v89
	s_delay_alu instid0(VALU_DEP_1)
	v_exp_f32_e32 v82, v82
	v_fmac_f32_e32 v68, v97, v91
	s_delay_alu instid0(TRANS32_DEP_3) | instid1(VALU_DEP_1)
	v_fmac_f32_e32 v68, v95, v92
	s_waitcnt_depctr 0xfff
	v_fmac_f32_e32 v68, v82, v93
	s_delay_alu instid0(VALU_DEP_1) | instskip(NEXT) | instid1(VALU_DEP_1)
	v_fmac_f32_e32 v68, v89, v94
	v_add_f32_e32 v90, 0x358637bd, v68
	s_delay_alu instid0(VALU_DEP_1) | instskip(NEXT) | instid1(VALU_DEP_1)
	v_div_scale_f32 v91, null, v90, v90, 1.0
	v_rcp_f32_e32 v92, v91
	s_waitcnt_depctr 0xfff
	v_fma_f32 v93, -v91, v92, 1.0
	s_delay_alu instid0(VALU_DEP_1) | instskip(SKIP_1) | instid1(VALU_DEP_2)
	v_dual_fmac_f32 v92, v93, v92 :: v_dual_cndmask_b32 v93, v100, v99
	v_cmp_eq_u32_e32 vcc_lo, 3, v66
	v_cndmask_b32_e64 v93, v93, v101, s3
	v_cmp_eq_u32_e64 s3, 4, v66
	s_delay_alu instid0(VALU_DEP_2) | instskip(SKIP_1) | instid1(VALU_DEP_2)
	v_cndmask_b32_e32 v93, v93, v102, vcc_lo
	v_cmp_eq_u32_e32 vcc_lo, 5, v66
	v_cndmask_b32_e64 v93, v93, v97, s3
	v_cmp_eq_u32_e64 s3, 6, v66
	s_delay_alu instid0(VALU_DEP_2) | instskip(SKIP_1) | instid1(VALU_DEP_1)
	v_cndmask_b32_e32 v93, v93, v95, vcc_lo
	v_div_scale_f32 v94, s4, 1.0, v90, 1.0
	s_mov_b32 vcc_lo, s4
	s_delay_alu instid0(VALU_DEP_2) | instskip(NEXT) | instid1(VALU_DEP_2)
	v_cndmask_b32_e64 v82, v93, v82, s3
	v_mul_f32_e32 v96, v94, v92
	s_mov_b32 s3, exec_lo
	s_delay_alu instid0(VALU_DEP_2) | instskip(NEXT) | instid1(VALU_DEP_2)
	v_cndmask_b32_e64 v82, v82, v89, s5
	v_fma_f32 v98, -v91, v96, v94
	s_delay_alu instid0(VALU_DEP_1) | instskip(NEXT) | instid1(VALU_DEP_1)
	v_fmac_f32_e32 v96, v98, v92
	v_fma_f32 v91, -v91, v96, v94
	s_delay_alu instid0(VALU_DEP_1) | instskip(NEXT) | instid1(VALU_DEP_1)
	v_div_fmas_f32 v91, v91, v92, v96
	v_div_fixup_f32 v90, v91, v90, 1.0
	s_delay_alu instid0(VALU_DEP_1) | instskip(NEXT) | instid1(VALU_DEP_1)
	v_mul_f32_e32 v82, v82, v90
	v_mul_f32_e32 v87, v82, v87
	;; [unrolled: 1-line block ×7, first 2 shown]
	v_dual_mul_f32 v86, v82, v83 :: v_dual_and_b32 v91, 0x7f800000, v90
	v_mul_f32_e32 v85, v82, v76
                                        ; implicit-def: $vgpr76
	s_delay_alu instid0(VALU_DEP_2)
	v_cmpx_ne_u32_e32 0x7f800000, v91
	s_xor_b32 s3, exec_lo, s3
; %bb.13:
	v_bfe_u32 v76, v90, 16, 1
	s_delay_alu instid0(VALU_DEP_1)
	v_add3_u32 v76, v90, v76, 0x7fff
                                        ; implicit-def: $vgpr90
; %bb.14:
	s_and_not1_saveexec_b32 s3, s3
; %bb.15:
	v_and_b32_e32 v76, 0xffff, v90
	v_or_b32_e32 v83, 0x10000, v90
	s_delay_alu instid0(VALU_DEP_2) | instskip(NEXT) | instid1(VALU_DEP_2)
	v_cmp_eq_u32_e32 vcc_lo, 0, v76
	v_cndmask_b32_e32 v76, v83, v90, vcc_lo
; %bb.16:
	s_or_b32 exec_lo, exec_lo, s3
	v_and_b32_e32 v83, 0x7f800000, v85
	s_delay_alu instid0(VALU_DEP_1) | instskip(SKIP_1) | instid1(SALU_CYCLE_1)
	v_cmp_ne_u32_e32 vcc_lo, 0x7f800000, v83
                                        ; implicit-def: $vgpr83
	s_and_saveexec_b32 s3, vcc_lo
	s_xor_b32 s3, exec_lo, s3
; %bb.17:
	v_bfe_u32 v83, v85, 16, 1
	s_delay_alu instid0(VALU_DEP_1)
	v_add3_u32 v83, v85, v83, 0x7fff
                                        ; implicit-def: $vgpr85
; %bb.18:
	s_and_not1_saveexec_b32 s3, s3
; %bb.19:
	v_and_b32_e32 v83, 0xffff, v85
	v_or_b32_e32 v90, 0x10000, v85
	s_delay_alu instid0(VALU_DEP_2) | instskip(NEXT) | instid1(VALU_DEP_2)
	v_cmp_eq_u32_e32 vcc_lo, 0, v83
	v_cndmask_b32_e32 v83, v90, v85, vcc_lo
; %bb.20:
	s_or_b32 exec_lo, exec_lo, s3
	v_and_b32_e32 v85, 0x7f800000, v86
	s_delay_alu instid0(VALU_DEP_1) | instskip(SKIP_1) | instid1(SALU_CYCLE_1)
	v_cmp_ne_u32_e32 vcc_lo, 0x7f800000, v85
                                        ; implicit-def: $vgpr85
	s_and_saveexec_b32 s3, vcc_lo
	s_xor_b32 s3, exec_lo, s3
; %bb.21:
	v_bfe_u32 v85, v86, 16, 1
	s_delay_alu instid0(VALU_DEP_1)
	v_add3_u32 v85, v86, v85, 0x7fff
                                        ; implicit-def: $vgpr86
; %bb.22:
	s_and_not1_saveexec_b32 s3, s3
; %bb.23:
	v_and_b32_e32 v85, 0xffff, v86
	v_or_b32_e32 v90, 0x10000, v86
	s_delay_alu instid0(VALU_DEP_2) | instskip(NEXT) | instid1(VALU_DEP_2)
	v_cmp_eq_u32_e32 vcc_lo, 0, v85
	v_cndmask_b32_e32 v85, v90, v86, vcc_lo
; %bb.24:
	s_or_b32 exec_lo, exec_lo, s3
	v_and_b32_e32 v86, 0x7f800000, v89
	s_delay_alu instid0(VALU_DEP_1) | instskip(SKIP_1) | instid1(SALU_CYCLE_1)
	v_cmp_ne_u32_e32 vcc_lo, 0x7f800000, v86
                                        ; implicit-def: $vgpr86
	s_and_saveexec_b32 s3, vcc_lo
	s_xor_b32 s3, exec_lo, s3
; %bb.25:
	v_bfe_u32 v86, v89, 16, 1
	s_delay_alu instid0(VALU_DEP_1)
	v_add3_u32 v86, v89, v86, 0x7fff
                                        ; implicit-def: $vgpr89
; %bb.26:
	s_and_not1_saveexec_b32 s3, s3
; %bb.27:
	v_and_b32_e32 v86, 0xffff, v89
	v_or_b32_e32 v90, 0x10000, v89
	s_delay_alu instid0(VALU_DEP_2) | instskip(NEXT) | instid1(VALU_DEP_2)
	v_cmp_eq_u32_e32 vcc_lo, 0, v86
	v_cndmask_b32_e32 v86, v90, v89, vcc_lo
; %bb.28:
	s_or_b32 exec_lo, exec_lo, s3
	v_and_b32_e32 v89, 0x7f800000, v88
	s_delay_alu instid0(VALU_DEP_1) | instskip(SKIP_1) | instid1(SALU_CYCLE_1)
	v_cmp_ne_u32_e32 vcc_lo, 0x7f800000, v89
                                        ; implicit-def: $vgpr89
	s_and_saveexec_b32 s3, vcc_lo
	s_xor_b32 s3, exec_lo, s3
; %bb.29:
	v_bfe_u32 v89, v88, 16, 1
	s_delay_alu instid0(VALU_DEP_1)
	v_add3_u32 v89, v88, v89, 0x7fff
                                        ; implicit-def: $vgpr88
; %bb.30:
	s_and_not1_saveexec_b32 s3, s3
; %bb.31:
	v_and_b32_e32 v89, 0xffff, v88
	v_or_b32_e32 v90, 0x10000, v88
	s_delay_alu instid0(VALU_DEP_2) | instskip(NEXT) | instid1(VALU_DEP_2)
	v_cmp_eq_u32_e32 vcc_lo, 0, v89
	v_cndmask_b32_e32 v89, v90, v88, vcc_lo
; %bb.32:
	s_or_b32 exec_lo, exec_lo, s3
	v_and_b32_e32 v88, 0x7f800000, v87
	s_delay_alu instid0(VALU_DEP_1) | instskip(SKIP_1) | instid1(SALU_CYCLE_1)
	v_cmp_ne_u32_e32 vcc_lo, 0x7f800000, v88
                                        ; implicit-def: $vgpr88
	s_and_saveexec_b32 s3, vcc_lo
	s_xor_b32 s3, exec_lo, s3
; %bb.33:
	v_bfe_u32 v88, v87, 16, 1
	s_delay_alu instid0(VALU_DEP_1)
	v_add3_u32 v88, v87, v88, 0x7fff
                                        ; implicit-def: $vgpr87
; %bb.34:
	s_and_not1_saveexec_b32 s3, s3
; %bb.35:
	v_and_b32_e32 v88, 0xffff, v87
	v_or_b32_e32 v90, 0x10000, v87
	s_delay_alu instid0(VALU_DEP_2) | instskip(NEXT) | instid1(VALU_DEP_2)
	v_cmp_eq_u32_e32 vcc_lo, 0, v88
	v_cndmask_b32_e32 v88, v90, v87, vcc_lo
; %bb.36:
	s_or_b32 exec_lo, exec_lo, s3
	v_and_b32_e32 v87, 0x7f800000, v84
	s_delay_alu instid0(VALU_DEP_1) | instskip(SKIP_1) | instid1(SALU_CYCLE_1)
	v_cmp_ne_u32_e32 vcc_lo, 0x7f800000, v87
                                        ; implicit-def: $vgpr87
	s_and_saveexec_b32 s3, vcc_lo
	s_xor_b32 s3, exec_lo, s3
; %bb.37:
	v_bfe_u32 v87, v84, 16, 1
	s_delay_alu instid0(VALU_DEP_1)
	v_add3_u32 v87, v84, v87, 0x7fff
                                        ; implicit-def: $vgpr84
; %bb.38:
	s_and_not1_saveexec_b32 s3, s3
; %bb.39:
	v_and_b32_e32 v87, 0xffff, v84
	v_or_b32_e32 v90, 0x10000, v84
	s_delay_alu instid0(VALU_DEP_2) | instskip(NEXT) | instid1(VALU_DEP_2)
	v_cmp_eq_u32_e32 vcc_lo, 0, v87
	v_cndmask_b32_e32 v87, v90, v84, vcc_lo
; %bb.40:
	s_or_b32 exec_lo, exec_lo, s3
	v_and_b32_e32 v84, 0x7f800000, v80
	s_delay_alu instid0(VALU_DEP_1) | instskip(SKIP_1) | instid1(SALU_CYCLE_1)
	v_cmp_ne_u32_e32 vcc_lo, 0x7f800000, v84
                                        ; implicit-def: $vgpr84
	s_and_saveexec_b32 s3, vcc_lo
	s_xor_b32 s3, exec_lo, s3
; %bb.41:
	v_bfe_u32 v84, v80, 16, 1
	s_delay_alu instid0(VALU_DEP_1)
	v_add3_u32 v84, v80, v84, 0x7fff
                                        ; implicit-def: $vgpr80
; %bb.42:
	s_and_not1_saveexec_b32 s3, s3
; %bb.43:
	v_and_b32_e32 v84, 0xffff, v80
	v_or_b32_e32 v90, 0x10000, v80
	s_delay_alu instid0(VALU_DEP_2) | instskip(NEXT) | instid1(VALU_DEP_2)
	v_cmp_eq_u32_e32 vcc_lo, 0, v84
	v_cndmask_b32_e32 v84, v90, v80, vcc_lo
; %bb.44:
	s_or_b32 exec_lo, exec_lo, s3
	s_load_b64 s[34:35], s[0:1], 0x94
	v_lshlrev_b32_e32 v91, 4, v74
	s_delay_alu instid0(VALU_DEP_2)
	v_perm_b32 v90, v84, v87, 0x7060302
	v_dual_mul_f32 v79, v82, v79 :: v_dual_lshlrev_b32 v80, 6, v65
	v_dual_mul_f32 v77, v82, v77 :: v_dual_lshlrev_b32 v92, 11, v66
	v_mul_f32_e32 v84, v82, v70
	v_perm_b32 v89, v88, v89, 0x7060302
	v_perm_b32 v88, v86, v85, 0x7060302
	;; [unrolled: 1-line block ×3, first 2 shown]
	v_mul_f32_e32 v70, v82, v81
	v_or3_b32 v76, v91, v92, v80
	v_dual_mul_f32 v78, v82, v78 :: v_dual_and_b32 v85, 0x7f800000, v84
	v_mul_f32_e32 v83, v82, v72
	v_mul_f32_e32 v81, v82, v71
	;; [unrolled: 1-line block ×3, first 2 shown]
	s_mov_b32 s3, exec_lo
	ds_store_b128 v76, v[87:90]
                                        ; implicit-def: $vgpr69
	v_cmpx_ne_u32_e32 0x7f800000, v85
	s_xor_b32 s3, exec_lo, s3
; %bb.45:
	v_bfe_u32 v69, v84, 16, 1
	s_delay_alu instid0(VALU_DEP_1)
	v_add3_u32 v69, v84, v69, 0x7fff
                                        ; implicit-def: $vgpr84
; %bb.46:
	s_and_not1_saveexec_b32 s3, s3
; %bb.47:
	v_and_b32_e32 v69, 0xffff, v84
	v_or_b32_e32 v71, 0x10000, v84
	s_delay_alu instid0(VALU_DEP_2) | instskip(NEXT) | instid1(VALU_DEP_2)
	v_cmp_eq_u32_e32 vcc_lo, 0, v69
	v_cndmask_b32_e32 v69, v71, v84, vcc_lo
; %bb.48:
	s_or_b32 exec_lo, exec_lo, s3
	v_and_b32_e32 v71, 0x7f800000, v72
	s_delay_alu instid0(VALU_DEP_1) | instskip(SKIP_1) | instid1(SALU_CYCLE_1)
	v_cmp_ne_u32_e32 vcc_lo, 0x7f800000, v71
                                        ; implicit-def: $vgpr71
	s_and_saveexec_b32 s3, vcc_lo
	s_xor_b32 s3, exec_lo, s3
; %bb.49:
	v_bfe_u32 v71, v72, 16, 1
	s_delay_alu instid0(VALU_DEP_1)
	v_add3_u32 v71, v72, v71, 0x7fff
                                        ; implicit-def: $vgpr72
; %bb.50:
	s_and_not1_saveexec_b32 s3, s3
; %bb.51:
	v_and_b32_e32 v71, 0xffff, v72
	v_or_b32_e32 v82, 0x10000, v72
	s_delay_alu instid0(VALU_DEP_2) | instskip(NEXT) | instid1(VALU_DEP_2)
	v_cmp_eq_u32_e32 vcc_lo, 0, v71
	v_cndmask_b32_e32 v71, v82, v72, vcc_lo
; %bb.52:
	s_or_b32 exec_lo, exec_lo, s3
	v_and_b32_e32 v72, 0x7f800000, v81
	s_delay_alu instid0(VALU_DEP_1) | instskip(SKIP_1) | instid1(SALU_CYCLE_1)
	v_cmp_ne_u32_e32 vcc_lo, 0x7f800000, v72
                                        ; implicit-def: $vgpr72
	s_and_saveexec_b32 s3, vcc_lo
	s_xor_b32 s3, exec_lo, s3
; %bb.53:
	v_bfe_u32 v72, v81, 16, 1
	s_delay_alu instid0(VALU_DEP_1)
	v_add3_u32 v72, v81, v72, 0x7fff
                                        ; implicit-def: $vgpr81
; %bb.54:
	s_and_not1_saveexec_b32 s3, s3
; %bb.55:
	v_and_b32_e32 v72, 0xffff, v81
	v_or_b32_e32 v82, 0x10000, v81
	s_delay_alu instid0(VALU_DEP_2) | instskip(NEXT) | instid1(VALU_DEP_2)
	v_cmp_eq_u32_e32 vcc_lo, 0, v72
	v_cndmask_b32_e32 v72, v82, v81, vcc_lo
; %bb.56:
	s_or_b32 exec_lo, exec_lo, s3
	v_and_b32_e32 v81, 0x7f800000, v83
	s_delay_alu instid0(VALU_DEP_1) | instskip(SKIP_1) | instid1(SALU_CYCLE_1)
	v_cmp_ne_u32_e32 vcc_lo, 0x7f800000, v81
                                        ; implicit-def: $vgpr81
	s_and_saveexec_b32 s3, vcc_lo
	s_xor_b32 s3, exec_lo, s3
; %bb.57:
	v_bfe_u32 v81, v83, 16, 1
	s_delay_alu instid0(VALU_DEP_1)
	v_add3_u32 v81, v83, v81, 0x7fff
                                        ; implicit-def: $vgpr83
; %bb.58:
	s_and_not1_saveexec_b32 s3, s3
; %bb.59:
	v_and_b32_e32 v81, 0xffff, v83
	v_or_b32_e32 v82, 0x10000, v83
	s_delay_alu instid0(VALU_DEP_2) | instskip(NEXT) | instid1(VALU_DEP_2)
	v_cmp_eq_u32_e32 vcc_lo, 0, v81
	v_cndmask_b32_e32 v81, v82, v83, vcc_lo
; %bb.60:
	s_or_b32 exec_lo, exec_lo, s3
	v_and_b32_e32 v82, 0x7f800000, v77
	s_delay_alu instid0(VALU_DEP_1) | instskip(SKIP_1) | instid1(SALU_CYCLE_1)
	v_cmp_ne_u32_e32 vcc_lo, 0x7f800000, v82
                                        ; implicit-def: $vgpr82
	s_and_saveexec_b32 s3, vcc_lo
	s_xor_b32 s3, exec_lo, s3
; %bb.61:
	v_bfe_u32 v82, v77, 16, 1
	s_delay_alu instid0(VALU_DEP_1)
	v_add3_u32 v82, v77, v82, 0x7fff
                                        ; implicit-def: $vgpr77
; %bb.62:
	s_and_not1_saveexec_b32 s3, s3
; %bb.63:
	v_and_b32_e32 v82, 0xffff, v77
	v_or_b32_e32 v83, 0x10000, v77
	s_delay_alu instid0(VALU_DEP_2) | instskip(NEXT) | instid1(VALU_DEP_2)
	v_cmp_eq_u32_e32 vcc_lo, 0, v82
	v_cndmask_b32_e32 v82, v83, v77, vcc_lo
; %bb.64:
	s_or_b32 exec_lo, exec_lo, s3
	v_and_b32_e32 v77, 0x7f800000, v78
	s_delay_alu instid0(VALU_DEP_1) | instskip(SKIP_1) | instid1(SALU_CYCLE_1)
	v_cmp_ne_u32_e32 vcc_lo, 0x7f800000, v77
                                        ; implicit-def: $vgpr77
	s_and_saveexec_b32 s3, vcc_lo
	s_xor_b32 s3, exec_lo, s3
; %bb.65:
	v_bfe_u32 v77, v78, 16, 1
	s_delay_alu instid0(VALU_DEP_1)
	v_add3_u32 v77, v78, v77, 0x7fff
                                        ; implicit-def: $vgpr78
; %bb.66:
	s_and_not1_saveexec_b32 s3, s3
; %bb.67:
	v_and_b32_e32 v77, 0xffff, v78
	v_or_b32_e32 v83, 0x10000, v78
	s_delay_alu instid0(VALU_DEP_2) | instskip(NEXT) | instid1(VALU_DEP_2)
	v_cmp_eq_u32_e32 vcc_lo, 0, v77
	v_cndmask_b32_e32 v77, v83, v78, vcc_lo
; %bb.68:
	s_or_b32 exec_lo, exec_lo, s3
	v_and_b32_e32 v78, 0x7f800000, v79
	s_delay_alu instid0(VALU_DEP_1) | instskip(SKIP_1) | instid1(SALU_CYCLE_1)
	v_cmp_ne_u32_e32 vcc_lo, 0x7f800000, v78
                                        ; implicit-def: $vgpr78
	s_and_saveexec_b32 s3, vcc_lo
	s_xor_b32 s3, exec_lo, s3
; %bb.69:
	v_bfe_u32 v78, v79, 16, 1
	s_delay_alu instid0(VALU_DEP_1)
	v_add3_u32 v78, v79, v78, 0x7fff
                                        ; implicit-def: $vgpr79
; %bb.70:
	s_and_not1_saveexec_b32 s3, s3
; %bb.71:
	v_and_b32_e32 v78, 0xffff, v79
	v_or_b32_e32 v83, 0x10000, v79
	s_delay_alu instid0(VALU_DEP_2) | instskip(NEXT) | instid1(VALU_DEP_2)
	v_cmp_eq_u32_e32 vcc_lo, 0, v78
	v_cndmask_b32_e32 v78, v83, v79, vcc_lo
; %bb.72:
	s_or_b32 exec_lo, exec_lo, s3
	v_and_b32_e32 v79, 0x7f800000, v70
	s_delay_alu instid0(VALU_DEP_1) | instskip(SKIP_1) | instid1(SALU_CYCLE_1)
	v_cmp_ne_u32_e32 vcc_lo, 0x7f800000, v79
                                        ; implicit-def: $vgpr79
	s_and_saveexec_b32 s3, vcc_lo
	s_xor_b32 s3, exec_lo, s3
; %bb.73:
	v_bfe_u32 v79, v70, 16, 1
	s_delay_alu instid0(VALU_DEP_1)
	v_add3_u32 v79, v70, v79, 0x7fff
                                        ; implicit-def: $vgpr70
; %bb.74:
	s_and_not1_saveexec_b32 s3, s3
; %bb.75:
	v_and_b32_e32 v79, 0xffff, v70
	v_or_b32_e32 v83, 0x10000, v70
	s_delay_alu instid0(VALU_DEP_2) | instskip(NEXT) | instid1(VALU_DEP_2)
	v_cmp_eq_u32_e32 vcc_lo, 0, v79
	v_cndmask_b32_e32 v79, v83, v70, vcc_lo
; %bb.76:
	s_or_b32 exec_lo, exec_lo, s3
	s_delay_alu instid0(VALU_DEP_1)
	v_perm_b32 v86, v79, v78, 0x7060302
	v_perm_b32 v85, v77, v82, 0x7060302
	v_perm_b32 v84, v81, v72, 0x7060302
	v_perm_b32 v83, v71, v69, 0x7060302
	v_lshl_or_b32 v82, v66, 11, v80
	ds_store_b128 v76, v[83:86] offset:1024
	s_waitcnt lgkmcnt(0)
	s_barrier
	buffer_gl0_inv
	ds_load_b128 v[69:72], v82
	ds_load_b128 v[83:86], v82 offset:16
	s_waitcnt lgkmcnt(1)
	v_lshrrev_b32_e32 v66, 16, v69
	s_waitcnt lgkmcnt(0)
	v_lshrrev_b32_e32 v91, 16, v83
	v_lshlrev_b32_e32 v78, 2, v74
	v_lshrrev_b32_e32 v95, 16, v70
	v_lshrrev_b32_e32 v98, 16, v84
	;; [unrolled: 1-line block ×4, first 2 shown]
	v_cmp_eq_u32_e32 vcc_lo, 1, v78
	v_lshrrev_b32_e32 v97, 16, v72
	v_lshrrev_b32_e32 v100, 16, v86
	v_cndmask_b32_e32 v87, v83, v91, vcc_lo
	v_or_b32_e32 v79, 1, v78
	v_cndmask_b32_e32 v81, v69, v66, vcc_lo
	v_cmp_eq_u32_e64 s4, 2, v78
	v_cmp_eq_u32_e64 s7, 3, v78
	;; [unrolled: 1-line block ×5, first 2 shown]
	v_cndmask_b32_e64 v81, v81, v70, s4
	v_cndmask_b32_e64 v87, v87, v84, s4
	v_cmp_eq_u32_e64 s8, 3, v79
	v_cndmask_b32_e64 v88, v69, v66, s3
	v_or_b32_e32 v77, 2, v78
	v_cndmask_b32_e64 v81, v81, v95, s7
	v_cndmask_b32_e64 v87, v87, v98, s7
	;; [unrolled: 1-line block ×4, first 2 shown]
	v_cmp_eq_u32_e64 s10, 5, v78
	v_cndmask_b32_e64 v81, v81, v71, s9
	v_cndmask_b32_e64 v87, v87, v85, s9
	v_cmp_eq_u32_e64 s11, 4, v79
	v_cndmask_b32_e64 v88, v88, v95, s8
	v_cmp_eq_u32_e64 s5, 1, v77
	v_cndmask_b32_e64 v89, v89, v84, s6
	v_cndmask_b32_e64 v81, v81, v96, s10
	v_cmp_eq_u32_e64 s12, 6, v78
	v_cndmask_b32_e64 v88, v88, v71, s11
	;; [unrolled: 3-line block ×3, first 2 shown]
	v_cndmask_b32_e64 v89, v89, v98, s8
	v_cndmask_b32_e64 v81, v81, v72, s12
	v_cmp_eq_u32_e64 s15, 7, v78
	v_cndmask_b32_e64 v88, v88, v96, s13
	v_cndmask_b32_e64 v87, v87, v86, s12
	v_cmp_eq_u32_e64 s16, 6, v79
	v_cmp_eq_u32_e64 s17, 2, v77
	v_cndmask_b32_e64 v89, v89, v85, s11
	v_cndmask_b32_e64 v101, v81, v97, s15
	;; [unrolled: 1-line block ×6, first 2 shown]
	v_cmp_eq_u32_e64 s18, 7, v79
	v_cmp_eq_u32_e64 s19, 3, v77
	;; [unrolled: 1-line block ×4, first 2 shown]
	v_cndmask_b32_e64 v87, v87, v84, s17
	v_cndmask_b32_e64 v103, v88, v97, s18
	;; [unrolled: 1-line block ×4, first 2 shown]
	v_or_b32_e32 v81, 3, v78
	v_cndmask_b32_e64 v93, v87, v98, s19
	v_cmp_eq_u32_e64 s24, 6, v77
	v_cndmask_b32_e64 v104, v88, v86, s16
	v_cndmask_b32_e64 v92, v89, v71, s20
	v_cmp_eq_u32_e64 s21, 1, v81
	ds_load_b128 v[87:90], v82 offset:1024
	v_cmp_eq_u32_e64 s23, 2, v81
	v_cmp_eq_u32_e64 s25, 3, v81
	v_cndmask_b32_e64 v105, v92, v96, s22
	v_cndmask_b32_e64 v66, v69, v66, s21
	;; [unrolled: 1-line block ×4, first 2 shown]
	ds_load_b128 v[91:94], v82 offset:1040
	v_cmp_eq_u32_e64 s26, 4, v81
	v_cndmask_b32_e64 v66, v66, v70, s23
	v_cmp_eq_u32_e64 s27, 7, v77
	v_cndmask_b32_e64 v70, v83, v84, s23
	v_cndmask_b32_e64 v84, v105, v72, s24
	v_cmp_eq_u32_e64 s28, 5, v81
	v_cndmask_b32_e64 v66, v66, v95, s25
	v_cmp_eq_u32_e64 s29, 6, v81
	v_cndmask_b32_e64 v70, v70, v98, s25
	v_cndmask_b32_e64 v69, v69, v99, s22
	;; [unrolled: 1-line block ×4, first 2 shown]
	s_waitcnt lgkmcnt(1)
	v_lshrrev_b32_e32 v95, 16, v87
	v_cndmask_b32_e64 v70, v70, v85, s26
	v_cndmask_b32_e64 v71, v84, v97, s27
	v_cndmask_b32_e64 v69, v69, v86, s24
	v_cndmask_b32_e64 v66, v66, v96, s28
	v_cndmask_b32_e32 v84, v87, v95, vcc_lo
	v_cndmask_b32_e64 v70, v70, v99, s28
	s_waitcnt lgkmcnt(0)
	v_lshrrev_b32_e32 v85, 16, v91
	v_lshrrev_b32_e32 v96, 16, v88
	v_cndmask_b32_e64 v98, v87, v95, s3
	v_cndmask_b32_e64 v84, v84, v88, s4
	;; [unrolled: 1-line block ×3, first 2 shown]
	v_cndmask_b32_e32 v99, v91, v85, vcc_lo
	v_cmp_eq_u32_e32 vcc_lo, 7, v81
	v_cndmask_b32_e64 v66, v66, v72, s29
	v_cndmask_b32_e64 v72, v84, v96, s7
	;; [unrolled: 1-line block ×3, first 2 shown]
	v_lshrrev_b32_e32 v98, 16, v92
	v_cndmask_b32_e32 v70, v70, v100, vcc_lo
	v_cndmask_b32_e64 v86, v99, v92, s4
	v_cndmask_b32_e64 v69, v69, v100, s27
	v_lshrrev_b32_e32 v100, 16, v93
	v_cndmask_b32_e64 v72, v72, v89, s9
	v_lshrrev_b32_e32 v99, 16, v89
	v_cndmask_b32_e64 v86, v86, v98, s7
	v_perm_b32 v71, v69, v71, 0x5040100
	v_cndmask_b32_e64 v84, v84, v96, s8
	s_delay_alu instid0(VALU_DEP_3) | instskip(NEXT) | instid1(VALU_DEP_2)
	v_cndmask_b32_e64 v86, v86, v93, s9
	v_cndmask_b32_e64 v84, v84, v89, s11
	s_delay_alu instid0(VALU_DEP_2) | instskip(NEXT) | instid1(VALU_DEP_1)
	v_cndmask_b32_e64 v86, v86, v100, s10
	v_cndmask_b32_e64 v69, v86, v94, s12
	;; [unrolled: 1-line block ×5, first 2 shown]
	s_delay_alu instid0(VALU_DEP_3) | instskip(NEXT) | instid1(VALU_DEP_3)
	v_cndmask_b32_e64 v86, v86, v88, s17
	v_cndmask_b32_e64 v87, v87, v88, s23
	s_delay_alu instid0(VALU_DEP_3) | instskip(NEXT) | instid1(VALU_DEP_3)
	v_cndmask_b32_e64 v88, v95, v92, s23
	v_cndmask_b32_e64 v86, v86, v96, s19
	;; [unrolled: 3-line block ×7, first 2 shown]
	s_delay_alu instid0(VALU_DEP_3) | instskip(SKIP_2) | instid1(VALU_DEP_2)
	v_cndmask_b32_e64 v88, v88, v94, s29
	v_cndmask_b32_e32 v66, v66, v97, vcc_lo
	v_cndmask_b32_e64 v97, v72, v99, s10
	v_perm_b32 v72, v70, v66, 0x5040100
	v_perm_b32 v70, v83, v103, 0x5040100
	v_cndmask_b32_e64 v103, v91, v85, s5
	v_cndmask_b32_e64 v85, v91, v85, s3
	;; [unrolled: 1-line block ×4, first 2 shown]
	v_lshrrev_b32_e32 v97, 16, v90
	v_cndmask_b32_e64 v91, v103, v92, s17
	v_cndmask_b32_e64 v85, v85, v92, s6
	;; [unrolled: 1-line block ×3, first 2 shown]
	s_mov_b32 s3, exec_lo
	v_cndmask_b32_e64 v83, v84, v97, s15
	v_cndmask_b32_e64 v91, v91, v98, s19
	;; [unrolled: 1-line block ×3, first 2 shown]
	v_lshrrev_b32_e32 v84, 16, v94
	v_cndmask_b32_e64 v66, v66, v97, s18
	v_cndmask_b32_e64 v90, v86, v97, s27
	;; [unrolled: 1-line block ×4, first 2 shown]
	v_dual_cndmask_b32 v86, v87, v97 :: v_dual_cndmask_b32 v87, v88, v84
	v_cndmask_b32_e64 v91, v69, v84, s15
	s_delay_alu instid0(VALU_DEP_4) | instskip(NEXT) | instid1(VALU_DEP_4)
	v_cndmask_b32_e64 v89, v89, v100, s22
	v_cndmask_b32_e64 v85, v85, v100, s13
	v_perm_b32 v69, v102, v101, 0x5040100
	v_perm_b32 v86, v87, v86, 0x5040100
	;; [unrolled: 1-line block ×3, first 2 shown]
	v_cndmask_b32_e64 v89, v89, v94, s24
	v_cndmask_b32_e64 v85, v85, v94, s16
	s_mul_i32 s8, s35, 15
	s_delay_alu instid0(VALU_DEP_2) | instskip(NEXT) | instid1(VALU_DEP_2)
	v_cndmask_b32_e64 v88, v89, v84, s27
	v_cndmask_b32_e64 v89, v85, v84, s18
	s_delay_alu instid0(VALU_DEP_2) | instskip(NEXT) | instid1(VALU_DEP_2)
	v_perm_b32 v85, v88, v90, 0x5040100
	v_perm_b32 v84, v89, v66, 0x5040100
	ds_store_b128 v76, v[69:72]
	ds_store_b128 v76, v[83:86] offset:1024
	v_cmpx_gt_u32_e32 15, v0
	s_cbranch_execz .LBB1884_78
; %bb.77:
	s_mul_i32 s4, s8, s30
	s_delay_alu instid0(SALU_CYCLE_1) | instskip(SKIP_1) | instid1(VALU_DEP_1)
	v_add3_u32 v69, s4, s31, v65
	s_load_b128 s[4:7], s[0:1], 0x58
	v_mad_u64_u32 v[65:66], null, v69, s34, s[14:15]
	s_delay_alu instid0(VALU_DEP_1) | instskip(NEXT) | instid1(VALU_DEP_1)
	v_ashrrev_i32_e32 v66, 31, v65
	v_lshlrev_b64 v[65:66], 2, v[65:66]
	s_waitcnt lgkmcnt(0)
	s_delay_alu instid0(VALU_DEP_1) | instskip(NEXT) | instid1(VALU_DEP_2)
	v_add_co_u32 v69, vcc_lo, s6, v65
	v_add_co_ci_u32_e32 v70, vcc_lo, s7, v66, vcc_lo
	v_add_co_u32 v65, vcc_lo, s4, v65
	v_add_co_ci_u32_e32 v66, vcc_lo, s5, v66, vcc_lo
	global_store_b32 v[69:70], v67, off
	global_store_b32 v[65:66], v68, off
.LBB1884_78:
	s_or_b32 exec_lo, exec_lo, s3
	s_waitcnt lgkmcnt(0)
	s_waitcnt_vscnt null, 0x0
	s_barrier
	buffer_gl0_inv
	ds_load_b128 v[83:86], v80
	ds_load_b128 v[87:90], v80 offset:16
	ds_load_b128 v[95:98], v80 offset:2064
	;; [unrolled: 1-line block ×3, first 2 shown]
	v_mov_b32_e32 v65, 0
	ds_load_b128 v[103:106], v80 offset:4112
	ds_load_b128 v[99:102], v80 offset:4096
	;; [unrolled: 1-line block ×4, first 2 shown]
	v_mov_b32_e32 v66, v65
	v_mov_b32_e32 v67, v65
	;; [unrolled: 1-line block ×7, first 2 shown]
	s_waitcnt lgkmcnt(6)
	s_delay_alu instid0(VALU_DEP_1)
	v_wmma_f32_16x16x16_bf16 v[65:72], v[49:56], v[83:90], v[65:72]
	ds_load_b128 v[53:56], v80 offset:8208
	ds_load_b128 v[49:52], v80 offset:8192
	s_waitcnt lgkmcnt(6)
	v_wmma_f32_16x16x16_bf16 v[65:72], v[41:48], v[91:98], v[65:72]
	ds_load_b128 v[45:48], v80 offset:10256
	ds_load_b128 v[41:44], v80 offset:10240
	s_waitcnt lgkmcnt(6)
	;; [unrolled: 4-line block ×4, first 2 shown]
	v_wmma_f32_16x16x16_bf16 v[65:72], v[1:8], v[49:56], v[65:72]
	s_waitcnt lgkmcnt(4)
	s_delay_alu instid0(VALU_DEP_1) | instskip(SKIP_1) | instid1(VALU_DEP_1)
	v_wmma_f32_16x16x16_bf16 v[65:72], v[9:16], v[41:48], v[65:72]
	s_waitcnt lgkmcnt(2)
	v_wmma_f32_16x16x16_bf16 v[65:72], v[17:24], v[33:40], v[65:72]
	s_waitcnt lgkmcnt(0)
	s_delay_alu instid0(VALU_DEP_1) | instskip(NEXT) | instid1(VALU_DEP_1)
	v_wmma_f32_16x16x16_bf16 v[65:72], v[57:64], v[25:32], v[65:72]
	v_and_b32_e32 v1, 0x7f800000, v65
	s_delay_alu instid0(VALU_DEP_1) | instskip(SKIP_1) | instid1(SALU_CYCLE_1)
	v_cmp_ne_u32_e32 vcc_lo, 0x7f800000, v1
                                        ; implicit-def: $vgpr1
	s_and_saveexec_b32 s3, vcc_lo
	s_xor_b32 s3, exec_lo, s3
; %bb.79:
	v_bfe_u32 v1, v65, 16, 1
	s_delay_alu instid0(VALU_DEP_1)
	v_add3_u32 v1, v65, v1, 0x7fff
; %bb.80:
	s_and_not1_saveexec_b32 s3, s3
; %bb.81:
	v_and_b32_e32 v1, 0xffff, v65
	v_or_b32_e32 v2, 0x10000, v65
	s_delay_alu instid0(VALU_DEP_2) | instskip(NEXT) | instid1(VALU_DEP_2)
	v_cmp_eq_u32_e32 vcc_lo, 0, v1
	v_cndmask_b32_e32 v1, v2, v65, vcc_lo
; %bb.82:
	s_or_b32 exec_lo, exec_lo, s3
	v_and_b32_e32 v2, 0x7f800000, v66
	s_delay_alu instid0(VALU_DEP_1) | instskip(SKIP_1) | instid1(SALU_CYCLE_1)
	v_cmp_ne_u32_e32 vcc_lo, 0x7f800000, v2
                                        ; implicit-def: $vgpr2
	s_and_saveexec_b32 s3, vcc_lo
	s_xor_b32 s3, exec_lo, s3
; %bb.83:
	v_bfe_u32 v2, v66, 16, 1
	s_delay_alu instid0(VALU_DEP_1)
	v_add3_u32 v2, v66, v2, 0x7fff
; %bb.84:
	s_and_not1_saveexec_b32 s3, s3
; %bb.85:
	v_and_b32_e32 v2, 0xffff, v66
	v_or_b32_e32 v3, 0x10000, v66
	s_delay_alu instid0(VALU_DEP_2) | instskip(NEXT) | instid1(VALU_DEP_2)
	v_cmp_eq_u32_e32 vcc_lo, 0, v2
	v_cndmask_b32_e32 v2, v3, v66, vcc_lo
; %bb.86:
	s_or_b32 exec_lo, exec_lo, s3
	v_and_b32_e32 v3, 0x7f800000, v67
	s_delay_alu instid0(VALU_DEP_1) | instskip(SKIP_1) | instid1(SALU_CYCLE_1)
	v_cmp_ne_u32_e32 vcc_lo, 0x7f800000, v3
                                        ; implicit-def: $vgpr3
	s_and_saveexec_b32 s3, vcc_lo
	s_xor_b32 s3, exec_lo, s3
; %bb.87:
	v_bfe_u32 v3, v67, 16, 1
	s_delay_alu instid0(VALU_DEP_1)
	v_add3_u32 v3, v67, v3, 0x7fff
; %bb.88:
	s_and_not1_saveexec_b32 s3, s3
; %bb.89:
	v_and_b32_e32 v3, 0xffff, v67
	v_or_b32_e32 v4, 0x10000, v67
	s_delay_alu instid0(VALU_DEP_2) | instskip(NEXT) | instid1(VALU_DEP_2)
	v_cmp_eq_u32_e32 vcc_lo, 0, v3
	v_cndmask_b32_e32 v3, v4, v67, vcc_lo
; %bb.90:
	s_or_b32 exec_lo, exec_lo, s3
	v_and_b32_e32 v4, 0x7f800000, v68
	s_delay_alu instid0(VALU_DEP_1) | instskip(SKIP_1) | instid1(SALU_CYCLE_1)
	v_cmp_ne_u32_e32 vcc_lo, 0x7f800000, v4
                                        ; implicit-def: $vgpr4
	s_and_saveexec_b32 s3, vcc_lo
	s_xor_b32 s3, exec_lo, s3
; %bb.91:
	v_bfe_u32 v4, v68, 16, 1
	s_delay_alu instid0(VALU_DEP_1)
	v_add3_u32 v4, v68, v4, 0x7fff
; %bb.92:
	s_and_not1_saveexec_b32 s3, s3
; %bb.93:
	v_and_b32_e32 v4, 0xffff, v68
	v_or_b32_e32 v5, 0x10000, v68
	s_delay_alu instid0(VALU_DEP_2) | instskip(NEXT) | instid1(VALU_DEP_2)
	v_cmp_eq_u32_e32 vcc_lo, 0, v4
	v_cndmask_b32_e32 v4, v5, v68, vcc_lo
; %bb.94:
	s_or_b32 exec_lo, exec_lo, s3
	v_and_b32_e32 v5, 0x7f800000, v69
	s_delay_alu instid0(VALU_DEP_1) | instskip(SKIP_1) | instid1(SALU_CYCLE_1)
	v_cmp_ne_u32_e32 vcc_lo, 0x7f800000, v5
                                        ; implicit-def: $vgpr5
	s_and_saveexec_b32 s3, vcc_lo
	s_xor_b32 s3, exec_lo, s3
; %bb.95:
	v_bfe_u32 v5, v69, 16, 1
	s_delay_alu instid0(VALU_DEP_1)
	v_add3_u32 v5, v69, v5, 0x7fff
; %bb.96:
	s_and_not1_saveexec_b32 s3, s3
; %bb.97:
	v_and_b32_e32 v5, 0xffff, v69
	v_or_b32_e32 v6, 0x10000, v69
	s_delay_alu instid0(VALU_DEP_2) | instskip(NEXT) | instid1(VALU_DEP_2)
	v_cmp_eq_u32_e32 vcc_lo, 0, v5
	v_cndmask_b32_e32 v5, v6, v69, vcc_lo
; %bb.98:
	s_or_b32 exec_lo, exec_lo, s3
	v_and_b32_e32 v6, 0x7f800000, v70
	s_delay_alu instid0(VALU_DEP_1) | instskip(SKIP_1) | instid1(SALU_CYCLE_1)
	v_cmp_ne_u32_e32 vcc_lo, 0x7f800000, v6
                                        ; implicit-def: $vgpr6
	s_and_saveexec_b32 s3, vcc_lo
	s_xor_b32 s3, exec_lo, s3
; %bb.99:
	v_bfe_u32 v6, v70, 16, 1
	s_delay_alu instid0(VALU_DEP_1)
	v_add3_u32 v6, v70, v6, 0x7fff
; %bb.100:
	s_and_not1_saveexec_b32 s3, s3
; %bb.101:
	v_and_b32_e32 v6, 0xffff, v70
	v_or_b32_e32 v7, 0x10000, v70
	s_delay_alu instid0(VALU_DEP_2) | instskip(NEXT) | instid1(VALU_DEP_2)
	v_cmp_eq_u32_e32 vcc_lo, 0, v6
	v_cndmask_b32_e32 v6, v7, v70, vcc_lo
; %bb.102:
	s_or_b32 exec_lo, exec_lo, s3
	v_and_b32_e32 v7, 0x7f800000, v71
	s_delay_alu instid0(VALU_DEP_1) | instskip(SKIP_1) | instid1(SALU_CYCLE_1)
	v_cmp_ne_u32_e32 vcc_lo, 0x7f800000, v7
                                        ; implicit-def: $vgpr7
	s_and_saveexec_b32 s3, vcc_lo
	s_xor_b32 s3, exec_lo, s3
; %bb.103:
	v_bfe_u32 v7, v71, 16, 1
	s_delay_alu instid0(VALU_DEP_1)
	v_add3_u32 v7, v71, v7, 0x7fff
; %bb.104:
	s_and_not1_saveexec_b32 s3, s3
; %bb.105:
	v_and_b32_e32 v7, 0xffff, v71
	v_or_b32_e32 v8, 0x10000, v71
	s_delay_alu instid0(VALU_DEP_2) | instskip(NEXT) | instid1(VALU_DEP_2)
	v_cmp_eq_u32_e32 vcc_lo, 0, v7
	v_cndmask_b32_e32 v7, v8, v71, vcc_lo
; %bb.106:
	s_or_b32 exec_lo, exec_lo, s3
	v_and_b32_e32 v8, 0x7f800000, v72
	s_delay_alu instid0(VALU_DEP_1) | instskip(SKIP_1) | instid1(SALU_CYCLE_1)
	v_cmp_ne_u32_e32 vcc_lo, 0x7f800000, v8
                                        ; implicit-def: $vgpr8
	s_and_saveexec_b32 s3, vcc_lo
	s_xor_b32 s3, exec_lo, s3
; %bb.107:
	v_bfe_u32 v8, v72, 16, 1
	s_delay_alu instid0(VALU_DEP_1)
	v_add3_u32 v8, v72, v8, 0x7fff
                                        ; implicit-def: $vgpr65_vgpr66_vgpr67_vgpr68_vgpr69_vgpr70_vgpr71_vgpr72
; %bb.108:
	s_and_not1_saveexec_b32 s3, s3
; %bb.109:
	v_and_b32_e32 v8, 0xffff, v72
	v_or_b32_e32 v9, 0x10000, v72
	s_delay_alu instid0(VALU_DEP_2) | instskip(NEXT) | instid1(VALU_DEP_2)
	v_cmp_eq_u32_e32 vcc_lo, 0, v8
	v_cndmask_b32_e32 v8, v9, v72, vcc_lo
; %bb.110:
	s_or_b32 exec_lo, exec_lo, s3
	s_delay_alu instid0(VALU_DEP_1)
	v_perm_b32 v7, v8, v7, 0x7060302
	v_perm_b32 v6, v6, v5, 0x7060302
	;; [unrolled: 1-line block ×4, first 2 shown]
	s_barrier
	buffer_gl0_inv
	v_cmp_eq_u32_e32 vcc_lo, 1, v78
	ds_store_b128 v76, v[4:7]
	s_waitcnt lgkmcnt(0)
	s_barrier
	buffer_gl0_inv
	ds_load_b128 v[1:4], v82
	ds_load_b128 v[5:8], v82 offset:16
	v_cmp_eq_u32_e64 s3, 1, v79
	v_cmp_eq_u32_e64 s4, 2, v78
	;; [unrolled: 1-line block ×5, first 2 shown]
	s_waitcnt lgkmcnt(1)
	v_lshrrev_b32_e32 v9, 16, v1
	s_waitcnt lgkmcnt(0)
	v_lshrrev_b32_e32 v13, 16, v5
	v_lshrrev_b32_e32 v10, 16, v2
	;; [unrolled: 1-line block ×4, first 2 shown]
	v_cndmask_b32_e64 v19, v1, v9, s3
	v_cndmask_b32_e32 v18, v5, v13, vcc_lo
	v_cndmask_b32_e64 v20, v5, v13, s3
	v_cndmask_b32_e32 v17, v1, v9, vcc_lo
	v_cmp_eq_u32_e32 vcc_lo, 2, v79
	v_lshrrev_b32_e32 v15, 16, v7
	v_cmp_eq_u32_e64 s3, 1, v77
	v_lshrrev_b32_e32 v12, 16, v4
	v_lshrrev_b32_e32 v16, 16, v8
	v_cndmask_b32_e32 v20, v20, v6, vcc_lo
	v_cndmask_b32_e64 v17, v17, v2, s4
	v_cndmask_b32_e32 v19, v19, v2, vcc_lo
	v_cndmask_b32_e64 v18, v18, v6, s4
	v_cmp_eq_u32_e32 vcc_lo, 4, v78
	v_cmp_eq_u32_e64 s4, 3, v79
	v_cndmask_b32_e64 v17, v17, v10, s5
	v_cndmask_b32_e64 v21, v1, v9, s3
	;; [unrolled: 1-line block ×5, first 2 shown]
	v_cndmask_b32_e32 v17, v17, v3, vcc_lo
	v_cndmask_b32_e64 v20, v20, v14, s4
	v_cndmask_b32_e32 v18, v18, v7, vcc_lo
	v_cmp_eq_u32_e32 vcc_lo, 4, v79
	v_cmp_eq_u32_e64 s4, 5, v79
	v_cmp_eq_u32_e64 s3, 2, v81
	v_cndmask_b32_e64 v21, v21, v2, s7
	v_cmp_eq_u32_e64 s5, 5, v78
	v_cndmask_b32_e32 v19, v19, v3, vcc_lo
	v_cndmask_b32_e32 v20, v20, v7, vcc_lo
	v_cmp_eq_u32_e32 vcc_lo, 6, v79
	s_delay_alu instid0(VALU_DEP_4) | instskip(NEXT) | instid1(VALU_DEP_4)
	v_cndmask_b32_e64 v17, v17, v11, s5
	v_cndmask_b32_e64 v19, v19, v11, s4
	s_delay_alu instid0(VALU_DEP_4) | instskip(SKIP_1) | instid1(VALU_DEP_3)
	v_cndmask_b32_e64 v20, v20, v15, s4
	v_cmp_eq_u32_e64 s4, 1, v81
	v_cndmask_b32_e32 v19, v19, v4, vcc_lo
	v_cndmask_b32_e64 v18, v18, v15, s5
	s_delay_alu instid0(VALU_DEP_3)
	v_cndmask_b32_e64 v1, v1, v9, s4
	v_cndmask_b32_e64 v5, v5, v13, s4
	v_cmp_eq_u32_e64 s4, 3, v77
	v_cndmask_b32_e64 v13, v22, v6, s7
	v_cmp_eq_u32_e64 s7, 3, v81
	v_cndmask_b32_e64 v1, v1, v2, s3
	v_cndmask_b32_e64 v2, v5, v6, s3
	;; [unrolled: 1-line block ×3, first 2 shown]
	v_cmp_eq_u32_e64 s3, 4, v77
	v_cndmask_b32_e64 v6, v13, v14, s4
	v_cndmask_b32_e64 v1, v1, v10, s7
	v_cmp_eq_u32_e64 s4, 4, v81
	v_cndmask_b32_e64 v2, v2, v14, s7
	v_cndmask_b32_e64 v5, v9, v3, s3
	;; [unrolled: 3-line block ×3, first 2 shown]
	v_cndmask_b32_e64 v2, v2, v7, s4
	v_cmp_eq_u32_e64 s3, 5, v81
	v_cmp_eq_u32_e64 s5, 6, v78
	v_cndmask_b32_e64 v5, v5, v11, s7
	v_cmp_eq_u32_e64 s4, 6, v77
	v_cndmask_b32_e64 v3, v6, v15, s7
	v_cndmask_b32_e64 v1, v1, v11, s3
	v_cmp_eq_u32_e64 s7, 6, v81
	v_cndmask_b32_e64 v2, v2, v15, s3
	v_cndmask_b32_e64 v17, v17, v4, s5
	v_cndmask_b32_e64 v18, v18, v8, s5
	v_cmp_eq_u32_e64 s5, 7, v78
	v_cndmask_b32_e64 v5, v5, v4, s4
	;; [unrolled: 4-line block ×3, first 2 shown]
	v_cmp_eq_u32_e64 s4, 7, v77
	v_cndmask_b32_e32 v4, v20, v8, vcc_lo
	v_cndmask_b32_e64 v17, v17, v12, s5
	v_cndmask_b32_e64 v19, v19, v12, s6
	;; [unrolled: 1-line block ×8, first 2 shown]
	s_mov_b32 s3, exec_lo
	v_perm_b32 v4, v2, v1, 0x5040100
	v_perm_b32 v3, v3, v5, 0x5040100
	;; [unrolled: 1-line block ×4, first 2 shown]
	ds_store_b128 v76, v[1:4]
	s_waitcnt lgkmcnt(0)
	s_barrier
	buffer_gl0_inv
	v_cmpx_gt_u32_e32 32, v0
	s_cbranch_execz .LBB1884_2
; %bb.111:
	s_load_b64 s[4:5], s[0:1], 0x68
	v_add_nc_u32_e32 v20, s31, v74
	v_lshlrev_b32_e32 v0, 10, v0
	v_lshlrev_b32_e32 v1, 4, v75
	s_lshl_b32 s0, s34, 7
	s_delay_alu instid0(SALU_CYCLE_1)
	s_mul_i32 s1, s0, s30
	v_add_nc_u32_e32 v2, 2, v20
	s_mul_i32 s6, s1, s8
	v_and_or_b32 v0, 0x3800, v0, v1
	v_mul_lo_u32 v1, v20, s0
	s_ashr_i32 s7, s6, 31
	v_mul_lo_u32 v11, v2, s0
	s_lshl_b64 s[6:7], s[6:7], 1
	v_add_nc_u32_e32 v3, 4, v20
	v_lshl_or_b32 v21, v74, 6, v0
	v_add_nc_u32_e32 v16, 6, v20
	v_ashrrev_i32_e32 v2, 31, v1
	s_delay_alu instid0(VALU_DEP_4)
	v_mul_lo_u32 v13, v3, s0
	s_waitcnt lgkmcnt(0)
	s_add_u32 s1, s4, s6
	s_addc_u32 s3, s5, s7
	s_lshl_b32 s4, s14, 7
	ds_load_b128 v[3:6], v21
	ds_load_b128 v[7:10], v21 offset:128
	s_ashr_i32 s5, s4, 31
	v_ashrrev_i32_e32 v12, 31, v11
	s_lshl_b64 s[4:5], s[4:5], 1
	v_lshlrev_b64 v[14:15], 1, v[1:2]
	s_add_u32 s1, s1, s4
	s_addc_u32 s3, s3, s5
	v_add_co_u32 v1, s1, s1, v73
	s_delay_alu instid0(VALU_DEP_1) | instskip(SKIP_1) | instid1(VALU_DEP_3)
	v_add_co_ci_u32_e64 v2, null, s3, 0, s1
	v_lshlrev_b64 v[11:12], 1, v[11:12]
	v_add_co_u32 v18, vcc_lo, v1, v14
	v_mul_lo_u32 v16, v16, s0
	s_delay_alu instid0(VALU_DEP_4) | instskip(NEXT) | instid1(VALU_DEP_4)
	v_add_co_ci_u32_e32 v19, vcc_lo, v2, v15, vcc_lo
	v_add_co_u32 v11, vcc_lo, v1, v11
	v_ashrrev_i32_e32 v14, 31, v13
	v_add_co_ci_u32_e32 v12, vcc_lo, v2, v12, vcc_lo
	v_add_nc_u32_e32 v15, 8, v20
	v_ashrrev_i32_e32 v17, 31, v16
	s_waitcnt lgkmcnt(1)
	global_store_b128 v[18:19], v[3:6], off
	v_lshlrev_b64 v[3:4], 1, v[13:14]
	s_waitcnt lgkmcnt(0)
	global_store_b128 v[11:12], v[7:10], off
	v_mul_lo_u32 v11, v15, s0
	v_add_nc_u32_e32 v7, 10, v20
	v_lshlrev_b64 v[5:6], 1, v[16:17]
	v_add_co_u32 v23, vcc_lo, v1, v3
	v_add_nc_u32_e32 v3, 12, v20
	s_delay_alu instid0(VALU_DEP_4)
	v_mul_lo_u32 v25, v7, s0
	v_ashrrev_i32_e32 v12, 31, v11
	v_add_co_ci_u32_e32 v24, vcc_lo, v2, v4, vcc_lo
	v_add_co_u32 v27, vcc_lo, v1, v5
	v_mul_lo_u32 v29, v3, s0
	v_add_co_ci_u32_e32 v28, vcc_lo, v2, v6, vcc_lo
	ds_load_b128 v[3:6], v21 offset:256
	ds_load_b128 v[7:10], v21 offset:384
	v_lshlrev_b64 v[31:32], 1, v[11:12]
	ds_load_b128 v[11:14], v21 offset:512
	ds_load_b128 v[15:18], v21 offset:640
	;; [unrolled: 1-line block ×3, first 2 shown]
	v_ashrrev_i32_e32 v26, 31, v25
	v_ashrrev_i32_e32 v30, 31, v29
	v_add_co_u32 v31, vcc_lo, v1, v31
	s_delay_alu instid0(VALU_DEP_3) | instskip(NEXT) | instid1(VALU_DEP_3)
	v_lshlrev_b64 v[25:26], 1, v[25:26]
	v_lshlrev_b64 v[29:30], 1, v[29:30]
	v_add_co_ci_u32_e32 v32, vcc_lo, v2, v32, vcc_lo
	s_delay_alu instid0(VALU_DEP_3) | instskip(NEXT) | instid1(VALU_DEP_4)
	v_add_co_u32 v25, vcc_lo, v1, v25
	v_add_co_ci_u32_e32 v26, vcc_lo, v2, v26, vcc_lo
	s_delay_alu instid0(VALU_DEP_4)
	v_add_co_u32 v29, vcc_lo, v1, v29
	v_add_co_ci_u32_e32 v30, vcc_lo, v2, v30, vcc_lo
	s_waitcnt lgkmcnt(4)
	global_store_b128 v[23:24], v[3:6], off
	s_waitcnt lgkmcnt(3)
	global_store_b128 v[27:28], v[7:10], off
	;; [unrolled: 2-line block ×5, first 2 shown]
	s_and_b32 exec_lo, exec_lo, s2
	s_cbranch_execz .LBB1884_2
; %bb.112:
	ds_load_b128 v[3:6], v0 offset:896
	s_add_i32 s1, s31, 14
	s_delay_alu instid0(SALU_CYCLE_1) | instskip(NEXT) | instid1(SALU_CYCLE_1)
	s_mul_i32 s0, s1, s0
	s_ashr_i32 s1, s0, 31
	s_delay_alu instid0(SALU_CYCLE_1) | instskip(NEXT) | instid1(SALU_CYCLE_1)
	s_lshl_b64 s[0:1], s[0:1], 1
	v_add_co_u32 v0, vcc_lo, v1, s0
	v_add_co_ci_u32_e32 v1, vcc_lo, s1, v2, vcc_lo
	s_waitcnt lgkmcnt(0)
	global_store_b128 v[0:1], v[3:6], off
	s_nop 0
	s_sendmsg sendmsg(MSG_DEALLOC_VGPRS)
	s_endpgm
	.section	.rodata,"a",@progbits
	.p2align	6, 0x0
	.amdhsa_kernel _Z39paged_attention_ll4mi_QKV_mfma16_kernelI14__hip_bfloat16hLN4vllm18Fp8KVCacheDataTypeE1EhLi32ELi128ELi256ELb0ELi15EL8MFMAType0EEvPKT_PKT0_S9_ifPKiSB_SB_iPKfiiiPfSE_PS4_PT2_iSD_SD_
		.amdhsa_group_segment_fixed_size 17472
		.amdhsa_private_segment_fixed_size 0
		.amdhsa_kernarg_size 400
		.amdhsa_user_sgpr_count 13
		.amdhsa_user_sgpr_dispatch_ptr 0
		.amdhsa_user_sgpr_queue_ptr 0
		.amdhsa_user_sgpr_kernarg_segment_ptr 1
		.amdhsa_user_sgpr_dispatch_id 0
		.amdhsa_user_sgpr_private_segment_size 0
		.amdhsa_wavefront_size32 1
		.amdhsa_uses_dynamic_stack 0
		.amdhsa_enable_private_segment 0
		.amdhsa_system_sgpr_workgroup_id_x 1
		.amdhsa_system_sgpr_workgroup_id_y 1
		.amdhsa_system_sgpr_workgroup_id_z 1
		.amdhsa_system_sgpr_workgroup_info 0
		.amdhsa_system_vgpr_workitem_id 0
		.amdhsa_next_free_vgpr 140
		.amdhsa_next_free_sgpr 36
		.amdhsa_reserve_vcc 1
		.amdhsa_float_round_mode_32 0
		.amdhsa_float_round_mode_16_64 0
		.amdhsa_float_denorm_mode_32 3
		.amdhsa_float_denorm_mode_16_64 3
		.amdhsa_dx10_clamp 1
		.amdhsa_ieee_mode 1
		.amdhsa_fp16_overflow 0
		.amdhsa_workgroup_processor_mode 1
		.amdhsa_memory_ordered 1
		.amdhsa_forward_progress 0
		.amdhsa_shared_vgpr_count 0
		.amdhsa_exception_fp_ieee_invalid_op 0
		.amdhsa_exception_fp_denorm_src 0
		.amdhsa_exception_fp_ieee_div_zero 0
		.amdhsa_exception_fp_ieee_overflow 0
		.amdhsa_exception_fp_ieee_underflow 0
		.amdhsa_exception_fp_ieee_inexact 0
		.amdhsa_exception_int_div_zero 0
	.end_amdhsa_kernel
	.section	.text._Z39paged_attention_ll4mi_QKV_mfma16_kernelI14__hip_bfloat16hLN4vllm18Fp8KVCacheDataTypeE1EhLi32ELi128ELi256ELb0ELi15EL8MFMAType0EEvPKT_PKT0_S9_ifPKiSB_SB_iPKfiiiPfSE_PS4_PT2_iSD_SD_,"axG",@progbits,_Z39paged_attention_ll4mi_QKV_mfma16_kernelI14__hip_bfloat16hLN4vllm18Fp8KVCacheDataTypeE1EhLi32ELi128ELi256ELb0ELi15EL8MFMAType0EEvPKT_PKT0_S9_ifPKiSB_SB_iPKfiiiPfSE_PS4_PT2_iSD_SD_,comdat
.Lfunc_end1884:
	.size	_Z39paged_attention_ll4mi_QKV_mfma16_kernelI14__hip_bfloat16hLN4vllm18Fp8KVCacheDataTypeE1EhLi32ELi128ELi256ELb0ELi15EL8MFMAType0EEvPKT_PKT0_S9_ifPKiSB_SB_iPKfiiiPfSE_PS4_PT2_iSD_SD_, .Lfunc_end1884-_Z39paged_attention_ll4mi_QKV_mfma16_kernelI14__hip_bfloat16hLN4vllm18Fp8KVCacheDataTypeE1EhLi32ELi128ELi256ELb0ELi15EL8MFMAType0EEvPKT_PKT0_S9_ifPKiSB_SB_iPKfiiiPfSE_PS4_PT2_iSD_SD_
                                        ; -- End function
	.section	.AMDGPU.csdata,"",@progbits
; Kernel info:
; codeLenInByte = 9156
; NumSgprs: 38
; NumVgprs: 140
; ScratchSize: 0
; MemoryBound: 0
; FloatMode: 240
; IeeeMode: 1
; LDSByteSize: 17472 bytes/workgroup (compile time only)
; SGPRBlocks: 4
; VGPRBlocks: 17
; NumSGPRsForWavesPerEU: 38
; NumVGPRsForWavesPerEU: 140
; Occupancy: 10
; WaveLimiterHint : 1
; COMPUTE_PGM_RSRC2:SCRATCH_EN: 0
; COMPUTE_PGM_RSRC2:USER_SGPR: 13
; COMPUTE_PGM_RSRC2:TRAP_HANDLER: 0
; COMPUTE_PGM_RSRC2:TGID_X_EN: 1
; COMPUTE_PGM_RSRC2:TGID_Y_EN: 1
; COMPUTE_PGM_RSRC2:TGID_Z_EN: 1
; COMPUTE_PGM_RSRC2:TIDIG_COMP_CNT: 0
	.section	.text._Z39paged_attention_ll4mi_QKV_mfma16_kernelI14__hip_bfloat16hLN4vllm18Fp8KVCacheDataTypeE1EhLi32ELi128ELi256ELb0ELi16EL8MFMAType0EEvPKT_PKT0_S9_ifPKiSB_SB_iPKfiiiPfSE_PS4_PT2_iSD_SD_,"axG",@progbits,_Z39paged_attention_ll4mi_QKV_mfma16_kernelI14__hip_bfloat16hLN4vllm18Fp8KVCacheDataTypeE1EhLi32ELi128ELi256ELb0ELi16EL8MFMAType0EEvPKT_PKT0_S9_ifPKiSB_SB_iPKfiiiPfSE_PS4_PT2_iSD_SD_,comdat
	.protected	_Z39paged_attention_ll4mi_QKV_mfma16_kernelI14__hip_bfloat16hLN4vllm18Fp8KVCacheDataTypeE1EhLi32ELi128ELi256ELb0ELi16EL8MFMAType0EEvPKT_PKT0_S9_ifPKiSB_SB_iPKfiiiPfSE_PS4_PT2_iSD_SD_ ; -- Begin function _Z39paged_attention_ll4mi_QKV_mfma16_kernelI14__hip_bfloat16hLN4vllm18Fp8KVCacheDataTypeE1EhLi32ELi128ELi256ELb0ELi16EL8MFMAType0EEvPKT_PKT0_S9_ifPKiSB_SB_iPKfiiiPfSE_PS4_PT2_iSD_SD_
	.globl	_Z39paged_attention_ll4mi_QKV_mfma16_kernelI14__hip_bfloat16hLN4vllm18Fp8KVCacheDataTypeE1EhLi32ELi128ELi256ELb0ELi16EL8MFMAType0EEvPKT_PKT0_S9_ifPKiSB_SB_iPKfiiiPfSE_PS4_PT2_iSD_SD_
	.p2align	8
	.type	_Z39paged_attention_ll4mi_QKV_mfma16_kernelI14__hip_bfloat16hLN4vllm18Fp8KVCacheDataTypeE1EhLi32ELi128ELi256ELb0ELi16EL8MFMAType0EEvPKT_PKT0_S9_ifPKiSB_SB_iPKfiiiPfSE_PS4_PT2_iSD_SD_,@function
_Z39paged_attention_ll4mi_QKV_mfma16_kernelI14__hip_bfloat16hLN4vllm18Fp8KVCacheDataTypeE1EhLi32ELi128ELi256ELb0ELi16EL8MFMAType0EEvPKT_PKT0_S9_ifPKiSB_SB_iPKfiiiPfSE_PS4_PT2_iSD_SD_: ; @_Z39paged_attention_ll4mi_QKV_mfma16_kernelI14__hip_bfloat16hLN4vllm18Fp8KVCacheDataTypeE1EhLi32ELi128ELi256ELb0ELi16EL8MFMAType0EEvPKT_PKT0_S9_ifPKiSB_SB_iPKfiiiPfSE_PS4_PT2_iSD_SD_
; %bb.0:
	s_load_b64 s[4:5], s[0:1], 0x30
	s_mov_b32 s30, s13
	s_waitcnt lgkmcnt(0)
	s_cmp_lg_u64 s[4:5], 0
	s_cselect_b32 s8, -1, 0
	s_ashr_i32 s31, s13, 31
	s_cmp_eq_u64 s[4:5], 0
	s_cbranch_scc1 .LBB1885_3
; %bb.1:
	s_lshl_b64 s[2:3], s[30:31], 2
	s_delay_alu instid0(SALU_CYCLE_1) | instskip(SKIP_4) | instid1(SALU_CYCLE_1)
	s_add_u32 s2, s4, s2
	s_addc_u32 s3, s5, s3
	s_load_b64 s[2:3], s[2:3], 0x0
	s_waitcnt lgkmcnt(0)
	s_sub_i32 s2, s3, s2
	s_cmp_eq_u32 s2, 1
	s_cselect_b32 s2, -1, 0
	s_delay_alu instid0(SALU_CYCLE_1)
	s_and_not1_b32 vcc_lo, exec_lo, s2
	s_cbranch_vccz .LBB1885_4
.LBB1885_2:
	s_endpgm
.LBB1885_3:
.LBB1885_4:
	s_load_b64 s[2:3], s[0:1], 0x28
	s_lshl_b64 s[6:7], s[30:31], 2
	s_waitcnt lgkmcnt(0)
	s_add_u32 s2, s2, s6
	s_addc_u32 s3, s3, s7
	s_lshl_b32 s12, s14, 8
	s_load_b32 s24, s[2:3], 0x0
	s_waitcnt lgkmcnt(0)
	s_cmp_ge_i32 s12, s24
	s_cbranch_scc1 .LBB1885_2
; %bb.5:
	s_clause 0x1
	s_load_b128 s[20:23], s[0:1], 0x8
	s_load_b64 s[2:3], s[0:1], 0x20
	s_and_not1_b32 vcc_lo, exec_lo, s8
	s_cbranch_vccnz .LBB1885_7
; %bb.6:
	s_add_u32 s4, s4, s6
	s_addc_u32 s5, s5, s7
	s_load_b32 s5, s[4:5], 0x0
	s_branch .LBB1885_8
.LBB1885_7:
	s_mov_b32 s5, s30
.LBB1885_8:
	s_load_b128 s[16:19], s[0:1], 0x48
	v_and_b32_e32 v66, 15, v0
	v_lshrrev_b32_e32 v65, 5, v0
	v_and_b32_e32 v67, 31, v0
	v_and_b32_e32 v75, 1, v0
	v_bfe_u32 v74, v0, 4, 1
	v_lshlrev_b32_e32 v1, 3, v66
	s_lshl_b32 s29, s15, 4
	s_mov_b32 s4, exec_lo
	s_delay_alu instid0(VALU_DEP_1)
	v_lshlrev_b32_e32 v73, 1, v1
	v_cmpx_gt_u32_e32 0x100, v0
	s_cbranch_execz .LBB1885_10
; %bb.9:
	v_lshl_or_b32 v5, v65, 1, v74
	s_load_b64 s[6:7], s[0:1], 0x0
	s_waitcnt lgkmcnt(0)
	s_mul_hi_i32 s9, s5, s16
	s_mul_i32 s8, s5, s16
	v_lshlrev_b32_e32 v6, 10, v66
	v_or_b32_e32 v1, s29, v5
	s_lshl_b64 s[8:9], s[8:9], 1
	v_lshlrev_b32_e32 v5, 6, v5
	v_lshlrev_b32_e32 v7, 10, v75
	v_and_b32_e32 v6, 0x3800, v6
	v_lshlrev_b32_e32 v1, 7, v1
	s_delay_alu instid0(VALU_DEP_2) | instskip(NEXT) | instid1(VALU_DEP_2)
	v_or3_b32 v5, v6, v7, v5
	v_ashrrev_i32_e32 v2, 31, v1
	s_delay_alu instid0(VALU_DEP_1) | instskip(SKIP_2) | instid1(VALU_DEP_1)
	v_lshlrev_b64 v[1:2], 1, v[1:2]
	s_add_u32 s5, s6, s8
	s_addc_u32 s6, s7, s9
	v_add_co_u32 v1, vcc_lo, s5, v1
	s_delay_alu instid0(VALU_DEP_2) | instskip(NEXT) | instid1(VALU_DEP_2)
	v_add_co_ci_u32_e32 v2, vcc_lo, s6, v2, vcc_lo
	v_add_co_u32 v1, vcc_lo, v1, v73
	s_delay_alu instid0(VALU_DEP_2)
	v_add_co_ci_u32_e32 v2, vcc_lo, 0, v2, vcc_lo
	global_load_b128 v[1:4], v[1:2], off
	s_waitcnt vmcnt(0)
	ds_store_b128 v5, v[1:4]
.LBB1885_10:
	s_or_b32 exec_lo, exec_lo, s4
	v_and_b32_e32 v1, 0xef, v0
	s_waitcnt lgkmcnt(0)
	s_add_i32 s5, s24, 31
	s_clause 0x1
	s_load_b32 s4, s[0:1], 0x38
	s_load_b32 s19, s[0:1], 0x1c
	s_ashr_i32 s6, s5, 31
	v_add_nc_u32_e32 v1, s12, v1
	s_lshr_b32 s6, s6, 27
	s_waitcnt lgkmcnt(0)
	s_add_i32 s5, s5, s6
	s_barrier
	v_ashrrev_i32_e32 v2, 31, v1
	v_or_b32_e32 v3, 16, v1
	s_ashr_i32 s13, s5, 5
	v_cmp_gt_i32_e32 vcc_lo, s24, v1
	s_add_i32 s13, s13, -1
	v_lshrrev_b32_e32 v2, 27, v2
	buffer_gl0_inv
	s_mul_i32 s31, s15, s18
	v_add_nc_u32_e32 v4, v1, v2
	s_mul_i32 s4, s30, s4
	s_delay_alu instid0(SALU_CYCLE_1) | instskip(NEXT) | instid1(VALU_DEP_1)
	s_ashr_i32 s5, s4, 31
	v_ashrrev_i32_e32 v4, 5, v4
	v_add_nc_u32_e32 v2, v3, v2
	s_lshl_b64 s[4:5], s[4:5], 2
	s_delay_alu instid0(SALU_CYCLE_1) | instskip(NEXT) | instid1(VALU_DEP_2)
	s_add_u32 s25, s2, s4
	v_cndmask_b32_e32 v1, s13, v4, vcc_lo
	s_delay_alu instid0(VALU_DEP_2)
	v_ashrrev_i32_e32 v2, 5, v2
	v_cmp_gt_i32_e32 vcc_lo, s24, v3
	s_addc_u32 s28, s3, s5
	s_ashr_i32 s33, s31, 31
	s_add_u32 s4, s20, s31
	s_addc_u32 s5, s21, s33
	v_cndmask_b32_e32 v3, s13, v2, vcc_lo
	v_ashrrev_i32_e32 v2, 31, v1
	s_lshl_b32 s2, s14, 3
	s_delay_alu instid0(SALU_CYCLE_1) | instskip(NEXT) | instid1(VALU_DEP_2)
	s_ashr_i32 s3, s2, 31
	v_ashrrev_i32_e32 v4, 31, v3
	s_delay_alu instid0(VALU_DEP_2) | instskip(SKIP_1) | instid1(SALU_CYCLE_1)
	v_lshlrev_b64 v[1:2], 2, v[1:2]
	s_lshl_b64 s[2:3], s[2:3], 2
	s_add_u32 s2, s25, s2
	s_delay_alu instid0(VALU_DEP_2) | instskip(SKIP_1) | instid1(VALU_DEP_2)
	v_lshlrev_b64 v[3:4], 2, v[3:4]
	s_addc_u32 s3, s28, s3
	v_add_co_u32 v1, vcc_lo, s25, v1
	v_add_co_ci_u32_e32 v2, vcc_lo, s28, v2, vcc_lo
	s_delay_alu instid0(VALU_DEP_3) | instskip(NEXT) | instid1(VALU_DEP_4)
	v_add_co_u32 v3, vcc_lo, s25, v3
	v_add_co_ci_u32_e32 v4, vcc_lo, s28, v4, vcc_lo
	s_clause 0x1
	global_load_b32 v5, v[1:2], off
	global_load_b32 v6, v[3:4], off
	s_or_b32 s6, s12, 32
	s_delay_alu instid0(SALU_CYCLE_1) | instskip(SKIP_2) | instid1(SALU_CYCLE_1)
	s_ashr_i32 s7, s6, 5
	s_cmp_lt_i32 s6, s24
	s_cselect_b32 s6, s7, s13
	s_ashr_i32 s7, s6, 31
	s_delay_alu instid0(SALU_CYCLE_1) | instskip(NEXT) | instid1(SALU_CYCLE_1)
	s_lshl_b64 s[6:7], s[6:7], 2
	s_add_u32 s6, s25, s6
	s_addc_u32 s7, s28, s7
	s_or_b32 s8, s12, 64
	s_delay_alu instid0(SALU_CYCLE_1) | instskip(SKIP_2) | instid1(SALU_CYCLE_1)
	s_ashr_i32 s9, s8, 5
	s_cmp_lt_i32 s8, s24
	s_cselect_b32 s8, s9, s13
	s_ashr_i32 s9, s8, 31
	s_delay_alu instid0(SALU_CYCLE_1) | instskip(NEXT) | instid1(SALU_CYCLE_1)
	s_lshl_b64 s[8:9], s[8:9], 2
	s_add_u32 s8, s25, s8
	s_addc_u32 s9, s28, s9
	;; [unrolled: 10-line block ×5, first 2 shown]
	s_clause 0x5
	s_load_b32 s20, s[2:3], 0x0
	s_load_b32 s2, s[6:7], 0x0
	;; [unrolled: 1-line block ×6, first 2 shown]
	s_or_b32 s8, s12, 0xc0
	s_delay_alu instid0(SALU_CYCLE_1) | instskip(SKIP_2) | instid1(SALU_CYCLE_1)
	s_ashr_i32 s9, s8, 5
	s_cmp_lt_i32 s8, s24
	s_cselect_b32 s26, s9, s13
	s_ashr_i32 s27, s26, 31
	s_delay_alu instid0(SALU_CYCLE_1) | instskip(NEXT) | instid1(SALU_CYCLE_1)
	s_lshl_b64 s[26:27], s[26:27], 2
	s_add_u32 s26, s25, s26
	s_addc_u32 s27, s28, s27
	s_or_b32 s21, s12, 0xe0
	s_waitcnt vmcnt(1)
	v_mad_i64_i32 v[1:2], null, v5, s17, s[4:5]
	s_waitcnt vmcnt(0)
	v_mad_i64_i32 v[3:4], null, v6, s17, s[4:5]
	s_mov_b32 s4, 0
	s_delay_alu instid0(SALU_CYCLE_1)
	s_mov_b32 s5, s4
	s_mov_b32 s6, s4
	;; [unrolled: 1-line block ×7, first 2 shown]
	s_delay_alu instid0(SALU_CYCLE_1) | instskip(SKIP_2) | instid1(VALU_DEP_3)
	v_dual_mov_b32 v108, s11 :: v_dual_lshlrev_b32 v5, 4, v66
	v_mov_b32_e32 v104, s7
	v_dual_mov_b32 v105, s8 :: v_dual_lshlrev_b32 v76, 6, v66
	v_add_co_u32 v33, vcc_lo, v1, v5
	v_add_co_ci_u32_e32 v34, vcc_lo, 0, v2, vcc_lo
	v_add_co_u32 v35, vcc_lo, v3, v5
	v_add_co_ci_u32_e32 v36, vcc_lo, 0, v4, vcc_lo
	s_clause 0xf
	global_load_b128 v[1:4], v[33:34], off
	global_load_b128 v[5:8], v[33:34], off offset:512
	global_load_b128 v[9:12], v[35:36], off offset:256
	;; [unrolled: 1-line block ×15, first 2 shown]
	v_dual_mov_b32 v102, s5 :: v_dual_lshlrev_b32 v41, 5, v66
	v_dual_mov_b32 v107, s10 :: v_dual_mov_b32 v106, s9
	v_mov_b32_e32 v103, s6
	v_mov_b32_e32 v101, s4
	s_ashr_i32 s4, s21, 5
	s_cmp_lt_i32 s21, s24
	ds_load_b128 v[33:36], v76
	ds_load_b128 v[37:40], v76 offset:1024
	s_cselect_b32 s4, s4, s13
	ds_load_b128 v[109:112], v76 offset:2048
	ds_load_b128 v[113:116], v76 offset:3072
	s_ashr_i32 s5, s4, 31
	v_lshl_or_b32 v41, v65, 9, v41
	s_lshl_b64 s[4:5], s[4:5], 2
	s_load_b32 s6, s[26:27], 0x0
	s_add_u32 s4, s25, s4
	s_addc_u32 s5, s28, s5
	ds_load_b128 v[117:120], v76 offset:4096
	ds_load_b128 v[121:124], v76 offset:5120
	s_load_b32 s4, s[4:5], 0x0
	s_add_u32 s7, s22, s31
	s_addc_u32 s8, s23, s33
	v_add_co_u32 v68, s7, s7, v41
	s_delay_alu instid0(VALU_DEP_1) | instskip(SKIP_1) | instid1(VALU_DEP_1)
	v_add_co_ci_u32_e64 v69, null, s8, 0, s7
	s_waitcnt lgkmcnt(0)
	v_mad_i64_i32 v[41:42], null, s20, s17, v[68:69]
	v_mad_i64_i32 v[70:71], null, s3, s17, v[68:69]
	v_mad_i64_i32 v[45:46], null, s2, s17, v[68:69]
	v_mad_i64_i32 v[133:134], null, s15, s17, v[68:69]
	v_mad_i64_i32 v[135:136], null, s16, s17, v[68:69]
	v_mad_i64_i32 v[137:138], null, s18, s17, v[68:69]
	v_mad_i64_i32 v[139:140], null, s6, s17, v[68:69]
	s_clause 0x3
	global_load_b128 v[49:52], v[41:42], off
	global_load_b128 v[53:56], v[41:42], off offset:16
	global_load_b128 v[41:44], v[45:46], off
	global_load_b128 v[45:48], v[45:46], off offset:16
	s_waitcnt vmcnt(18)
	v_wmma_f32_16x16x16_bf16 v[125:132], v[1:8], v[33:40], v[101:108]
	s_waitcnt vmcnt(16)
	v_wmma_f32_16x16x16_bf16 v[101:108], v[9:16], v[33:40], v[101:108]
	s_clause 0x1
	global_load_b128 v[33:36], v[70:71], off
	global_load_b128 v[37:40], v[70:71], off offset:16
	v_mad_i64_i32 v[70:71], null, s4, s17, v[68:69]
	s_waitcnt vmcnt(16)
	v_wmma_f32_16x16x16_bf16 v[125:132], v[17:24], v[109:116], v[125:132]
	s_waitcnt vmcnt(14)
	v_wmma_f32_16x16x16_bf16 v[101:108], v[25:32], v[109:116], v[101:108]
	s_clause 0x7
	global_load_b128 v[25:28], v[133:134], off
	global_load_b128 v[29:32], v[133:134], off offset:16
	global_load_b128 v[1:4], v[135:136], off
	global_load_b128 v[5:8], v[135:136], off offset:16
	;; [unrolled: 2-line block ×4, first 2 shown]
	s_waitcnt vmcnt(20)
	v_wmma_f32_16x16x16_bf16 v[125:132], v[57:64], v[117:124], v[125:132]
	s_clause 0x1
	global_load_b128 v[57:60], v[70:71], off
	global_load_b128 v[61:64], v[70:71], off offset:16
	s_waitcnt vmcnt(20)
	v_wmma_f32_16x16x16_bf16 v[101:108], v[77:84], v[117:124], v[101:108]
	ds_load_b128 v[77:80], v76 offset:6144
	ds_load_b128 v[81:84], v76 offset:7168
	v_and_b32_e32 v68, 0xe0, v0
	v_mbcnt_lo_u32_b32 v69, -1, 0
	s_waitcnt vmcnt(0) lgkmcnt(0)
	s_barrier
	buffer_gl0_inv
	v_add_nc_u32_e32 v68, s12, v68
	v_xor_b32_e32 v70, 16, v69
	s_delay_alu instid0(VALU_DEP_2) | instskip(NEXT) | instid1(VALU_DEP_2)
	v_or_b32_e32 v68, v68, v74
	v_cmp_gt_i32_e32 vcc_lo, 32, v70
	s_delay_alu instid0(VALU_DEP_2)
	v_or_b32_e32 v71, 4, v68
	v_or_b32_e32 v72, 6, v68
	v_cmp_gt_i32_e64 s2, s24, v68
	v_or_b32_e32 v109, 8, v68
	v_wmma_f32_16x16x16_bf16 v[125:132], v[85:92], v[77:84], v[125:132]
	v_cndmask_b32_e32 v69, v69, v70, vcc_lo
	v_or_b32_e32 v70, 2, v68
	v_wmma_f32_16x16x16_bf16 v[101:108], v[93:100], v[77:84], v[101:108]
	v_or_b32_e32 v85, 10, v68
	v_dual_mul_f32 v80, s19, v132 :: v_dual_mul_f32 v93, s19, v127
	v_dual_mul_f32 v94, s19, v126 :: v_dual_mul_f32 v95, s19, v125
	s_delay_alu instid0(VALU_DEP_4) | instskip(SKIP_2) | instid1(VALU_DEP_4)
	v_mul_f32_e32 v96, s19, v108
	v_cmp_gt_i32_e32 vcc_lo, s24, v70
	v_dual_mul_f32 v83, s19, v129 :: v_dual_mul_f32 v84, s19, v128
	v_cndmask_b32_e64 v95, 0xff7fffff, v95, s2
	v_cmp_gt_i32_e64 s3, s24, v71
	v_cndmask_b32_e32 v94, 0xff7fffff, v94, vcc_lo
	v_cmp_gt_i32_e64 s4, s24, v72
	v_or_b32_e32 v86, 12, v68
	v_or_b32_e32 v87, 14, v68
	v_dual_mul_f32 v81, s19, v131 :: v_dual_mul_f32 v82, s19, v130
	v_cndmask_b32_e64 v93, 0xff7fffff, v93, s3
	v_cndmask_b32_e64 v72, 0xff7fffff, v84, s4
	v_max3_f32 v84, v95, 0xff7fffff, v94
	v_cmp_gt_i32_e64 s5, s24, v109
	v_cmp_gt_i32_e64 s6, s24, v85
	v_or_b32_e32 v88, 16, v68
	v_or_b32_e32 v89, 18, v68
	v_max3_f32 v72, v84, v93, v72
	v_cndmask_b32_e64 v83, 0xff7fffff, v83, s5
	v_cndmask_b32_e64 v82, 0xff7fffff, v82, s6
	v_cmp_gt_i32_e64 s7, s24, v86
	v_cmp_gt_i32_e64 s8, s24, v87
	v_or_b32_e32 v90, 20, v68
	v_or_b32_e32 v91, 22, v68
	;; [unrolled: 1-line block ×6, first 2 shown]
	v_dual_mul_f32 v70, s19, v103 :: v_dual_mul_f32 v71, s19, v101
	v_mul_f32_e32 v68, s19, v102
	v_cndmask_b32_e64 v81, 0xff7fffff, v81, s7
	v_cndmask_b32_e64 v80, 0xff7fffff, v80, s8
	v_max3_f32 v72, v72, v83, v82
	v_cmp_gt_i32_e64 s9, s24, v88
	v_cmp_gt_i32_e64 s10, s24, v89
	v_dual_mul_f32 v99, s19, v105 :: v_dual_mul_f32 v100, s19, v104
	s_delay_alu instid0(VALU_DEP_4) | instskip(NEXT) | instid1(VALU_DEP_4)
	v_max3_f32 v72, v72, v81, v80
	v_cndmask_b32_e64 v71, 0xff7fffff, v71, s9
	s_delay_alu instid0(VALU_DEP_4) | instskip(SKIP_3) | instid1(VALU_DEP_4)
	v_cndmask_b32_e64 v68, 0xff7fffff, v68, s10
	v_cmp_gt_i32_e64 s11, s24, v90
	v_cmp_gt_i32_e64 s12, s24, v91
	v_dual_mul_f32 v97, s19, v107 :: v_dual_mul_f32 v98, s19, v106
	v_max3_f32 v68, v72, v71, v68
	s_delay_alu instid0(VALU_DEP_4) | instskip(NEXT) | instid1(VALU_DEP_4)
	v_cndmask_b32_e64 v70, 0xff7fffff, v70, s11
	v_cndmask_b32_e64 v80, 0xff7fffff, v100, s12
	v_cmp_gt_i32_e64 s13, s24, v92
	v_cmp_gt_i32_e64 s15, s24, v77
	;; [unrolled: 1-line block ×4, first 2 shown]
	v_max3_f32 v68, v68, v70, v80
	v_cndmask_b32_e64 v71, 0xff7fffff, v99, s13
	v_cndmask_b32_e64 v72, 0xff7fffff, v98, s15
	;; [unrolled: 1-line block ×4, first 2 shown]
	v_lshlrev_b32_e32 v90, 2, v69
	s_delay_alu instid0(VALU_DEP_4) | instskip(NEXT) | instid1(VALU_DEP_1)
	v_max3_f32 v68, v68, v71, v72
	v_max3_f32 v68, v68, v70, v77
	ds_bpermute_b32 v69, v90, v68
	s_waitcnt lgkmcnt(0)
	v_max_f32_e32 v69, v69, v69
	s_delay_alu instid0(VALU_DEP_1) | instskip(NEXT) | instid1(VALU_DEP_1)
	v_max_f32_e32 v81, v68, v69
	v_fma_f32 v68, s19, v125, -v81
	v_fma_f32 v69, s19, v126, -v81
	;; [unrolled: 1-line block ×5, first 2 shown]
	s_delay_alu instid0(VALU_DEP_4) | instskip(NEXT) | instid1(VALU_DEP_3)
	v_dual_mul_f32 v68, 0x3fb8aa3b, v68 :: v_dual_mul_f32 v69, 0x3fb8aa3b, v69
	v_dual_mul_f32 v70, 0x3fb8aa3b, v70 :: v_dual_mul_f32 v71, 0x3fb8aa3b, v71
	v_fma_f32 v78, s19, v131, -v81
	s_delay_alu instid0(VALU_DEP_3) | instskip(NEXT) | instid1(VALU_DEP_3)
	v_exp_f32_e32 v68, v68
	v_exp_f32_e32 v69, v69
	s_delay_alu instid0(VALU_DEP_2)
	v_exp_f32_e32 v70, v70
	v_mul_f32_e32 v72, 0x3fb8aa3b, v72
	v_exp_f32_e32 v71, v71
	v_mul_f32_e32 v78, 0x3fb8aa3b, v78
	v_fma_f32 v80, s19, v106, -v81
	v_cndmask_b32_e64 v82, 0, v68, s2
	s_delay_alu instid0(TRANS32_DEP_3) | instskip(SKIP_2) | instid1(TRANS32_DEP_3)
	v_cndmask_b32_e32 v77, 0, v69, vcc_lo
	v_fma_f32 v68, s19, v130, -v81
	v_exp_f32_e32 v72, v72
	v_cndmask_b32_e64 v83, 0, v70, s3
	v_add_f32_e32 v69, 0, v82
	v_fma_f32 v70, s19, v132, -v81
	v_mul_f32_e32 v68, 0x3fb8aa3b, v68
	v_cndmask_b32_e64 v85, 0, v71, s4
	v_fma_f32 v71, s19, v101, -v81
	s_delay_alu instid0(VALU_DEP_4) | instskip(NEXT) | instid1(VALU_DEP_4)
	v_dual_add_f32 v69, v69, v77 :: v_dual_mul_f32 v70, 0x3fb8aa3b, v70
	v_exp_f32_e32 v68, v68
	s_delay_alu instid0(TRANS32_DEP_2) | instskip(SKIP_1) | instid1(VALU_DEP_3)
	v_cndmask_b32_e64 v86, 0, v72, s5
	v_fma_f32 v72, s19, v102, -v81
	v_add_f32_e32 v69, v69, v83
	v_exp_f32_e32 v78, v78
	v_exp_f32_e32 v70, v70
	s_mov_b32 s2, exec_lo
	s_delay_alu instid0(VALU_DEP_1) | instskip(SKIP_1) | instid1(TRANS32_DEP_3)
	v_dual_mul_f32 v72, 0x3fb8aa3b, v72 :: v_dual_add_f32 v69, v69, v85
	v_mul_f32_e32 v71, 0x3fb8aa3b, v71
	v_cndmask_b32_e64 v87, 0, v68, s6
	s_delay_alu instid0(VALU_DEP_3) | instskip(NEXT) | instid1(VALU_DEP_3)
	v_exp_f32_e32 v72, v72
	v_add_f32_e32 v68, v69, v86
	v_fma_f32 v69, s19, v103, -v81
	v_exp_f32_e32 v71, v71
	v_cndmask_b32_e64 v84, 0, v78, s7
	v_fma_f32 v78, s19, v104, -v81
	s_delay_alu instid0(VALU_DEP_3) | instskip(SKIP_2) | instid1(VALU_DEP_3)
	v_dual_add_f32 v68, v68, v87 :: v_dual_mul_f32 v69, 0x3fb8aa3b, v69
	v_cndmask_b32_e64 v88, 0, v70, s8
	v_fma_f32 v70, s19, v105, -v81
	v_exp_f32_e32 v79, v69
	s_delay_alu instid0(TRANS32_DEP_2) | instskip(SKIP_1) | instid1(VALU_DEP_1)
	v_cndmask_b32_e64 v69, 0, v71, s9
	v_add_f32_e32 v68, v68, v84
	v_dual_mul_f32 v78, 0x3fb8aa3b, v78 :: v_dual_add_f32 v71, v68, v88
	s_delay_alu instid0(VALU_DEP_1) | instskip(SKIP_2) | instid1(VALU_DEP_3)
	v_exp_f32_e32 v78, v78
	v_cndmask_b32_e64 v68, 0, v72, s10
	v_fma_f32 v72, s19, v107, -v81
	v_dual_add_f32 v71, v71, v69 :: v_dual_mul_f32 v70, 0x3fb8aa3b, v70
	s_delay_alu instid0(VALU_DEP_1) | instskip(NEXT) | instid1(TRANS32_DEP_3)
	v_exp_f32_e32 v89, v70
	v_cndmask_b32_e64 v70, 0, v79, s11
	s_delay_alu instid0(VALU_DEP_2) | instskip(NEXT) | instid1(TRANS32_DEP_2)
	v_add_f32_e32 v79, v71, v68
	v_cndmask_b32_e64 v71, 0, v78, s12
	s_delay_alu instid0(VALU_DEP_2) | instskip(SKIP_2) | instid1(VALU_DEP_1)
	v_add_f32_e32 v78, v79, v70
	v_mul_f32_e32 v80, 0x3fb8aa3b, v80
	v_fma_f32 v79, s19, v108, -v81
	v_dual_mul_f32 v72, 0x3fb8aa3b, v72 :: v_dual_mul_f32 v79, 0x3fb8aa3b, v79
	s_delay_alu instid0(VALU_DEP_1) | instskip(NEXT) | instid1(TRANS32_DEP_2)
	v_exp_f32_e32 v91, v72
	v_cndmask_b32_e64 v72, 0, v89, s13
	v_add_f32_e32 v89, v78, v71
	v_exp_f32_e32 v80, v80
	s_waitcnt_depctr 0xfff
	v_cndmask_b32_e64 v78, 0, v80, s15
	v_add_f32_e32 v80, v89, v72
	v_exp_f32_e32 v89, v79
	v_cndmask_b32_e64 v79, 0, v91, s16
	s_delay_alu instid0(VALU_DEP_2) | instskip(NEXT) | instid1(VALU_DEP_1)
	v_add_f32_e32 v80, v80, v78
	v_add_f32_e32 v91, v80, v79
	s_waitcnt_depctr 0xfff
	v_cndmask_b32_e64 v80, 0, v89, s17
	s_delay_alu instid0(VALU_DEP_1)
	v_add_f32_e32 v89, v91, v80
	ds_bpermute_b32 v90, v90, v89
	v_cmpx_gt_u32_e32 16, v67
	s_cbranch_execz .LBB1885_12
; %bb.11:
	v_mul_u32_u24_e32 v67, 0x44, v65
	s_waitcnt lgkmcnt(0)
	v_add_f32_e32 v89, v89, v90
	s_delay_alu instid0(VALU_DEP_2) | instskip(NEXT) | instid1(VALU_DEP_1)
	v_lshl_add_u32 v67, v66, 2, v67
	v_add_nc_u32_e32 v67, 0x4000, v67
	ds_store_2addr_b32 v67, v81, v89 offset1:136
.LBB1885_12:
	s_or_b32 exec_lo, exec_lo, s2
	v_lshlrev_b32_e32 v66, 2, v66
	s_waitcnt lgkmcnt(0)
	s_barrier
	buffer_gl0_inv
	v_cmp_eq_u32_e32 vcc_lo, 1, v65
	v_add_nc_u32_e32 v81, 0x4000, v66
	v_cmp_eq_u32_e64 s2, 2, v65
	v_cmp_eq_u32_e64 s4, 7, v65
	ds_load_2addr_b32 v[89:90], v81 offset1:17
	ds_load_2addr_b32 v[91:92], v81 offset0:34 offset1:51
	ds_load_2addr_b32 v[93:94], v81 offset0:68 offset1:85
	;; [unrolled: 1-line block ×4, first 2 shown]
	s_waitcnt lgkmcnt(4)
	v_max3_f32 v66, v89, 0xff7fffff, v90
	s_waitcnt lgkmcnt(3)
	s_delay_alu instid0(VALU_DEP_1) | instskip(SKIP_1) | instid1(VALU_DEP_1)
	v_max3_f32 v66, v66, v91, v92
	s_waitcnt lgkmcnt(2)
	v_max3_f32 v66, v66, v93, v94
	s_waitcnt lgkmcnt(1)
	s_delay_alu instid0(VALU_DEP_1) | instskip(NEXT) | instid1(VALU_DEP_1)
	v_max3_f32 v66, v66, v95, v96
	v_sub_f32_e32 v67, v89, v66
	v_sub_f32_e32 v91, v91, v66
	;; [unrolled: 1-line block ×3, first 2 shown]
	s_delay_alu instid0(VALU_DEP_3) | instskip(NEXT) | instid1(VALU_DEP_3)
	v_mul_f32_e32 v67, 0x3fb8aa3b, v67
	v_mul_f32_e32 v101, 0x3fb8aa3b, v91
	s_delay_alu instid0(VALU_DEP_3) | instskip(NEXT) | instid1(VALU_DEP_3)
	v_mul_f32_e32 v103, 0x3fb8aa3b, v93
	v_exp_f32_e32 v100, v67
	v_sub_f32_e32 v67, v92, v66
	v_sub_f32_e32 v99, v90, v66
	ds_load_2addr_b32 v[89:90], v81 offset0:170 offset1:187
	ds_load_2addr_b32 v[91:92], v81 offset0:204 offset1:221
	v_exp_f32_e32 v101, v101
	v_mul_f32_e32 v102, 0x3fb8aa3b, v67
	v_mul_f32_e32 v99, 0x3fb8aa3b, v99
	s_waitcnt lgkmcnt(2)
	v_fma_f32 v67, v100, v97, 0
	v_sub_f32_e32 v97, v94, v66
	s_delay_alu instid0(VALU_DEP_3)
	v_exp_f32_e32 v99, v99
	v_exp_f32_e32 v102, v102
	ds_load_2addr_b32 v[93:94], v81 offset0:238 offset1:255
	v_sub_f32_e32 v81, v95, v66
	v_mul_f32_e32 v95, 0x3fb8aa3b, v97
	v_exp_f32_e32 v97, v103
	s_waitcnt lgkmcnt(0)
	s_barrier
	v_mul_f32_e32 v81, 0x3fb8aa3b, v81
	v_exp_f32_e32 v95, v95
	v_fmac_f32_e32 v67, v99, v98
	buffer_gl0_inv
	v_exp_f32_e32 v81, v81
	v_fmac_f32_e32 v67, v101, v89
	v_sub_f32_e32 v89, v96, v66
	s_delay_alu instid0(VALU_DEP_2) | instskip(NEXT) | instid1(VALU_DEP_2)
	v_fmac_f32_e32 v67, v102, v90
	v_mul_f32_e32 v89, 0x3fb8aa3b, v89
	s_delay_alu instid0(VALU_DEP_2) | instskip(NEXT) | instid1(VALU_DEP_2)
	v_fmac_f32_e32 v67, v97, v91
	v_exp_f32_e32 v89, v89
	s_delay_alu instid0(VALU_DEP_1)
	v_fmac_f32_e32 v67, v95, v92
	s_delay_alu instid0(TRANS32_DEP_2) | instid1(VALU_DEP_1)
	v_fmac_f32_e32 v67, v81, v93
	s_waitcnt_depctr 0xfff
	v_fmac_f32_e32 v67, v89, v94
	s_delay_alu instid0(VALU_DEP_1) | instskip(NEXT) | instid1(VALU_DEP_1)
	v_add_f32_e32 v90, 0x358637bd, v67
	v_div_scale_f32 v91, null, v90, v90, 1.0
	v_div_scale_f32 v94, s3, 1.0, v90, 1.0
	s_delay_alu instid0(VALU_DEP_2) | instskip(SKIP_2) | instid1(VALU_DEP_1)
	v_rcp_f32_e32 v92, v91
	s_waitcnt_depctr 0xfff
	v_fma_f32 v93, -v91, v92, 1.0
	v_dual_fmac_f32 v92, v93, v92 :: v_dual_cndmask_b32 v93, v100, v99
	v_cmp_eq_u32_e32 vcc_lo, 3, v65
	s_delay_alu instid0(VALU_DEP_2) | instskip(NEXT) | instid1(VALU_DEP_3)
	v_mul_f32_e32 v96, v94, v92
	v_cndmask_b32_e64 v93, v93, v101, s2
	v_cmp_eq_u32_e64 s2, 4, v65
	s_delay_alu instid0(VALU_DEP_3) | instskip(NEXT) | instid1(VALU_DEP_3)
	v_fma_f32 v98, -v91, v96, v94
	v_cndmask_b32_e32 v93, v93, v102, vcc_lo
	v_cmp_eq_u32_e32 vcc_lo, 5, v65
	s_delay_alu instid0(VALU_DEP_3) | instskip(NEXT) | instid1(VALU_DEP_3)
	v_fmac_f32_e32 v96, v98, v92
	v_cndmask_b32_e64 v93, v93, v97, s2
	v_cmp_eq_u32_e64 s2, 6, v65
	s_delay_alu instid0(VALU_DEP_3) | instskip(NEXT) | instid1(VALU_DEP_3)
	v_fma_f32 v91, -v91, v96, v94
	v_cndmask_b32_e32 v93, v93, v95, vcc_lo
	s_mov_b32 vcc_lo, s3
	s_delay_alu instid0(VALU_DEP_2) | instskip(NEXT) | instid1(VALU_DEP_2)
	v_div_fmas_f32 v91, v91, v92, v96
	v_cndmask_b32_e64 v81, v93, v81, s2
	s_mov_b32 s2, exec_lo
	s_delay_alu instid0(VALU_DEP_2) | instskip(NEXT) | instid1(VALU_DEP_2)
	v_div_fixup_f32 v90, v91, v90, 1.0
	v_cndmask_b32_e64 v81, v81, v89, s4
	s_delay_alu instid0(VALU_DEP_1) | instskip(NEXT) | instid1(VALU_DEP_1)
	v_mul_f32_e32 v81, v81, v90
	v_mul_f32_e32 v90, v81, v82
	;; [unrolled: 1-line block ×6, first 2 shown]
	v_dual_mul_f32 v86, v81, v83 :: v_dual_and_b32 v91, 0x7f800000, v90
	v_mul_f32_e32 v89, v81, v85
	v_mul_f32_e32 v85, v81, v77
                                        ; implicit-def: $vgpr77
	s_delay_alu instid0(VALU_DEP_3)
	v_cmpx_ne_u32_e32 0x7f800000, v91
	s_xor_b32 s2, exec_lo, s2
; %bb.13:
	v_bfe_u32 v77, v90, 16, 1
	s_delay_alu instid0(VALU_DEP_1)
	v_add3_u32 v77, v90, v77, 0x7fff
                                        ; implicit-def: $vgpr90
; %bb.14:
	s_and_not1_saveexec_b32 s2, s2
; %bb.15:
	v_and_b32_e32 v77, 0xffff, v90
	v_or_b32_e32 v83, 0x10000, v90
	s_delay_alu instid0(VALU_DEP_2) | instskip(NEXT) | instid1(VALU_DEP_2)
	v_cmp_eq_u32_e32 vcc_lo, 0, v77
	v_cndmask_b32_e32 v77, v83, v90, vcc_lo
; %bb.16:
	s_or_b32 exec_lo, exec_lo, s2
	v_and_b32_e32 v83, 0x7f800000, v85
	s_delay_alu instid0(VALU_DEP_1) | instskip(SKIP_1) | instid1(SALU_CYCLE_1)
	v_cmp_ne_u32_e32 vcc_lo, 0x7f800000, v83
                                        ; implicit-def: $vgpr83
	s_and_saveexec_b32 s2, vcc_lo
	s_xor_b32 s2, exec_lo, s2
; %bb.17:
	v_bfe_u32 v83, v85, 16, 1
	s_delay_alu instid0(VALU_DEP_1)
	v_add3_u32 v83, v85, v83, 0x7fff
                                        ; implicit-def: $vgpr85
; %bb.18:
	s_and_not1_saveexec_b32 s2, s2
; %bb.19:
	v_and_b32_e32 v83, 0xffff, v85
	v_or_b32_e32 v90, 0x10000, v85
	s_delay_alu instid0(VALU_DEP_2) | instskip(NEXT) | instid1(VALU_DEP_2)
	v_cmp_eq_u32_e32 vcc_lo, 0, v83
	v_cndmask_b32_e32 v83, v90, v85, vcc_lo
; %bb.20:
	s_or_b32 exec_lo, exec_lo, s2
	v_and_b32_e32 v85, 0x7f800000, v86
	s_delay_alu instid0(VALU_DEP_1) | instskip(SKIP_1) | instid1(SALU_CYCLE_1)
	v_cmp_ne_u32_e32 vcc_lo, 0x7f800000, v85
                                        ; implicit-def: $vgpr85
	s_and_saveexec_b32 s2, vcc_lo
	s_xor_b32 s2, exec_lo, s2
; %bb.21:
	v_bfe_u32 v85, v86, 16, 1
	s_delay_alu instid0(VALU_DEP_1)
	v_add3_u32 v85, v86, v85, 0x7fff
                                        ; implicit-def: $vgpr86
; %bb.22:
	s_and_not1_saveexec_b32 s2, s2
; %bb.23:
	v_and_b32_e32 v85, 0xffff, v86
	v_or_b32_e32 v90, 0x10000, v86
	s_delay_alu instid0(VALU_DEP_2) | instskip(NEXT) | instid1(VALU_DEP_2)
	v_cmp_eq_u32_e32 vcc_lo, 0, v85
	v_cndmask_b32_e32 v85, v90, v86, vcc_lo
; %bb.24:
	s_or_b32 exec_lo, exec_lo, s2
	v_and_b32_e32 v86, 0x7f800000, v89
	s_delay_alu instid0(VALU_DEP_1) | instskip(SKIP_1) | instid1(SALU_CYCLE_1)
	v_cmp_ne_u32_e32 vcc_lo, 0x7f800000, v86
                                        ; implicit-def: $vgpr86
	s_and_saveexec_b32 s2, vcc_lo
	s_xor_b32 s2, exec_lo, s2
; %bb.25:
	v_bfe_u32 v86, v89, 16, 1
	s_delay_alu instid0(VALU_DEP_1)
	v_add3_u32 v86, v89, v86, 0x7fff
                                        ; implicit-def: $vgpr89
; %bb.26:
	s_and_not1_saveexec_b32 s2, s2
; %bb.27:
	v_and_b32_e32 v86, 0xffff, v89
	v_or_b32_e32 v90, 0x10000, v89
	s_delay_alu instid0(VALU_DEP_2) | instskip(NEXT) | instid1(VALU_DEP_2)
	v_cmp_eq_u32_e32 vcc_lo, 0, v86
	v_cndmask_b32_e32 v86, v90, v89, vcc_lo
; %bb.28:
	s_or_b32 exec_lo, exec_lo, s2
	v_and_b32_e32 v89, 0x7f800000, v88
	s_delay_alu instid0(VALU_DEP_1) | instskip(SKIP_1) | instid1(SALU_CYCLE_1)
	v_cmp_ne_u32_e32 vcc_lo, 0x7f800000, v89
                                        ; implicit-def: $vgpr89
	s_and_saveexec_b32 s2, vcc_lo
	s_xor_b32 s2, exec_lo, s2
; %bb.29:
	v_bfe_u32 v89, v88, 16, 1
	s_delay_alu instid0(VALU_DEP_1)
	v_add3_u32 v89, v88, v89, 0x7fff
                                        ; implicit-def: $vgpr88
; %bb.30:
	s_and_not1_saveexec_b32 s2, s2
; %bb.31:
	v_and_b32_e32 v89, 0xffff, v88
	v_or_b32_e32 v90, 0x10000, v88
	s_delay_alu instid0(VALU_DEP_2) | instskip(NEXT) | instid1(VALU_DEP_2)
	v_cmp_eq_u32_e32 vcc_lo, 0, v89
	v_cndmask_b32_e32 v89, v90, v88, vcc_lo
; %bb.32:
	s_or_b32 exec_lo, exec_lo, s2
	v_and_b32_e32 v88, 0x7f800000, v87
	s_delay_alu instid0(VALU_DEP_1) | instskip(SKIP_1) | instid1(SALU_CYCLE_1)
	v_cmp_ne_u32_e32 vcc_lo, 0x7f800000, v88
                                        ; implicit-def: $vgpr88
	s_and_saveexec_b32 s2, vcc_lo
	s_xor_b32 s2, exec_lo, s2
; %bb.33:
	v_bfe_u32 v88, v87, 16, 1
	s_delay_alu instid0(VALU_DEP_1)
	v_add3_u32 v88, v87, v88, 0x7fff
                                        ; implicit-def: $vgpr87
; %bb.34:
	s_and_not1_saveexec_b32 s2, s2
; %bb.35:
	v_and_b32_e32 v88, 0xffff, v87
	v_or_b32_e32 v90, 0x10000, v87
	s_delay_alu instid0(VALU_DEP_2) | instskip(NEXT) | instid1(VALU_DEP_2)
	v_cmp_eq_u32_e32 vcc_lo, 0, v88
	v_cndmask_b32_e32 v88, v90, v87, vcc_lo
; %bb.36:
	s_or_b32 exec_lo, exec_lo, s2
	v_and_b32_e32 v87, 0x7f800000, v84
	s_delay_alu instid0(VALU_DEP_1) | instskip(SKIP_1) | instid1(SALU_CYCLE_1)
	v_cmp_ne_u32_e32 vcc_lo, 0x7f800000, v87
                                        ; implicit-def: $vgpr87
	s_and_saveexec_b32 s2, vcc_lo
	s_xor_b32 s2, exec_lo, s2
; %bb.37:
	v_bfe_u32 v87, v84, 16, 1
	s_delay_alu instid0(VALU_DEP_1)
	v_add3_u32 v87, v84, v87, 0x7fff
                                        ; implicit-def: $vgpr84
; %bb.38:
	s_and_not1_saveexec_b32 s2, s2
; %bb.39:
	v_and_b32_e32 v87, 0xffff, v84
	v_or_b32_e32 v90, 0x10000, v84
	s_delay_alu instid0(VALU_DEP_2) | instskip(NEXT) | instid1(VALU_DEP_2)
	v_cmp_eq_u32_e32 vcc_lo, 0, v87
	v_cndmask_b32_e32 v87, v90, v84, vcc_lo
; %bb.40:
	s_or_b32 exec_lo, exec_lo, s2
	v_and_b32_e32 v84, 0x7f800000, v82
	s_delay_alu instid0(VALU_DEP_1) | instskip(SKIP_1) | instid1(SALU_CYCLE_1)
	v_cmp_ne_u32_e32 vcc_lo, 0x7f800000, v84
                                        ; implicit-def: $vgpr84
	s_and_saveexec_b32 s2, vcc_lo
	s_xor_b32 s2, exec_lo, s2
; %bb.41:
	v_bfe_u32 v84, v82, 16, 1
	s_delay_alu instid0(VALU_DEP_1)
	v_add3_u32 v84, v82, v84, 0x7fff
                                        ; implicit-def: $vgpr82
; %bb.42:
	s_and_not1_saveexec_b32 s2, s2
; %bb.43:
	v_and_b32_e32 v84, 0xffff, v82
	v_or_b32_e32 v90, 0x10000, v82
	s_delay_alu instid0(VALU_DEP_2) | instskip(NEXT) | instid1(VALU_DEP_2)
	v_cmp_eq_u32_e32 vcc_lo, 0, v84
	v_cndmask_b32_e32 v84, v90, v82, vcc_lo
; %bb.44:
	s_or_b32 exec_lo, exec_lo, s2
	s_load_b64 s[34:35], s[0:1], 0x94
	v_lshlrev_b32_e32 v82, 4, v74
	s_delay_alu instid0(VALU_DEP_2)
	v_perm_b32 v90, v84, v87, 0x7060302
	v_lshlrev_b32_e32 v84, 11, v65
	v_perm_b32 v87, v83, v77, 0x7060302
	v_mul_f32_e32 v83, v81, v69
	v_mul_f32_e32 v69, v81, v80
	v_perm_b32 v89, v88, v89, 0x7060302
	v_perm_b32 v88, v86, v85, 0x7060302
	v_or3_b32 v77, v82, v84, v76
	v_mul_f32_e32 v79, v81, v79
	v_mul_f32_e32 v78, v81, v78
	v_and_b32_e32 v84, 0x7f800000, v83
	v_mul_f32_e32 v72, v81, v72
	v_mul_f32_e32 v82, v81, v71
	;; [unrolled: 1-line block ×4, first 2 shown]
	s_mov_b32 s2, exec_lo
	ds_store_b128 v77, v[87:90]
                                        ; implicit-def: $vgpr68
	v_cmpx_ne_u32_e32 0x7f800000, v84
	s_xor_b32 s2, exec_lo, s2
; %bb.45:
	v_bfe_u32 v68, v83, 16, 1
	s_delay_alu instid0(VALU_DEP_1)
	v_add3_u32 v68, v83, v68, 0x7fff
                                        ; implicit-def: $vgpr83
; %bb.46:
	s_and_not1_saveexec_b32 s2, s2
; %bb.47:
	v_and_b32_e32 v68, 0xffff, v83
	v_or_b32_e32 v70, 0x10000, v83
	s_delay_alu instid0(VALU_DEP_2) | instskip(NEXT) | instid1(VALU_DEP_2)
	v_cmp_eq_u32_e32 vcc_lo, 0, v68
	v_cndmask_b32_e32 v68, v70, v83, vcc_lo
; %bb.48:
	s_or_b32 exec_lo, exec_lo, s2
	v_and_b32_e32 v70, 0x7f800000, v71
	s_delay_alu instid0(VALU_DEP_1) | instskip(SKIP_1) | instid1(SALU_CYCLE_1)
	v_cmp_ne_u32_e32 vcc_lo, 0x7f800000, v70
                                        ; implicit-def: $vgpr70
	s_and_saveexec_b32 s2, vcc_lo
	s_xor_b32 s2, exec_lo, s2
; %bb.49:
	v_bfe_u32 v70, v71, 16, 1
	s_delay_alu instid0(VALU_DEP_1)
	v_add3_u32 v70, v71, v70, 0x7fff
                                        ; implicit-def: $vgpr71
; %bb.50:
	s_and_not1_saveexec_b32 s2, s2
; %bb.51:
	v_and_b32_e32 v70, 0xffff, v71
	v_or_b32_e32 v81, 0x10000, v71
	s_delay_alu instid0(VALU_DEP_2) | instskip(NEXT) | instid1(VALU_DEP_2)
	v_cmp_eq_u32_e32 vcc_lo, 0, v70
	v_cndmask_b32_e32 v70, v81, v71, vcc_lo
; %bb.52:
	s_or_b32 exec_lo, exec_lo, s2
	v_and_b32_e32 v71, 0x7f800000, v80
	s_delay_alu instid0(VALU_DEP_1) | instskip(SKIP_1) | instid1(SALU_CYCLE_1)
	v_cmp_ne_u32_e32 vcc_lo, 0x7f800000, v71
                                        ; implicit-def: $vgpr71
	s_and_saveexec_b32 s2, vcc_lo
	s_xor_b32 s2, exec_lo, s2
; %bb.53:
	v_bfe_u32 v71, v80, 16, 1
	s_delay_alu instid0(VALU_DEP_1)
	v_add3_u32 v71, v80, v71, 0x7fff
                                        ; implicit-def: $vgpr80
; %bb.54:
	s_and_not1_saveexec_b32 s2, s2
; %bb.55:
	v_and_b32_e32 v71, 0xffff, v80
	v_or_b32_e32 v81, 0x10000, v80
	s_delay_alu instid0(VALU_DEP_2) | instskip(NEXT) | instid1(VALU_DEP_2)
	v_cmp_eq_u32_e32 vcc_lo, 0, v71
	v_cndmask_b32_e32 v71, v81, v80, vcc_lo
; %bb.56:
	s_or_b32 exec_lo, exec_lo, s2
	v_and_b32_e32 v80, 0x7f800000, v82
	s_delay_alu instid0(VALU_DEP_1) | instskip(SKIP_1) | instid1(SALU_CYCLE_1)
	v_cmp_ne_u32_e32 vcc_lo, 0x7f800000, v80
                                        ; implicit-def: $vgpr80
	s_and_saveexec_b32 s2, vcc_lo
	s_xor_b32 s2, exec_lo, s2
; %bb.57:
	v_bfe_u32 v80, v82, 16, 1
	s_delay_alu instid0(VALU_DEP_1)
	v_add3_u32 v80, v82, v80, 0x7fff
                                        ; implicit-def: $vgpr82
; %bb.58:
	s_and_not1_saveexec_b32 s2, s2
; %bb.59:
	v_and_b32_e32 v80, 0xffff, v82
	v_or_b32_e32 v81, 0x10000, v82
	s_delay_alu instid0(VALU_DEP_2) | instskip(NEXT) | instid1(VALU_DEP_2)
	v_cmp_eq_u32_e32 vcc_lo, 0, v80
	v_cndmask_b32_e32 v80, v81, v82, vcc_lo
; %bb.60:
	s_or_b32 exec_lo, exec_lo, s2
	v_and_b32_e32 v81, 0x7f800000, v72
	s_delay_alu instid0(VALU_DEP_1) | instskip(SKIP_1) | instid1(SALU_CYCLE_1)
	v_cmp_ne_u32_e32 vcc_lo, 0x7f800000, v81
                                        ; implicit-def: $vgpr81
	s_and_saveexec_b32 s2, vcc_lo
	s_xor_b32 s2, exec_lo, s2
; %bb.61:
	v_bfe_u32 v81, v72, 16, 1
	s_delay_alu instid0(VALU_DEP_1)
	v_add3_u32 v81, v72, v81, 0x7fff
                                        ; implicit-def: $vgpr72
; %bb.62:
	s_and_not1_saveexec_b32 s2, s2
; %bb.63:
	v_and_b32_e32 v81, 0xffff, v72
	v_or_b32_e32 v82, 0x10000, v72
	s_delay_alu instid0(VALU_DEP_2) | instskip(NEXT) | instid1(VALU_DEP_2)
	v_cmp_eq_u32_e32 vcc_lo, 0, v81
	v_cndmask_b32_e32 v81, v82, v72, vcc_lo
; %bb.64:
	s_or_b32 exec_lo, exec_lo, s2
	v_and_b32_e32 v72, 0x7f800000, v78
	s_delay_alu instid0(VALU_DEP_1) | instskip(SKIP_1) | instid1(SALU_CYCLE_1)
	v_cmp_ne_u32_e32 vcc_lo, 0x7f800000, v72
                                        ; implicit-def: $vgpr72
	s_and_saveexec_b32 s2, vcc_lo
	s_xor_b32 s2, exec_lo, s2
; %bb.65:
	v_bfe_u32 v72, v78, 16, 1
	s_delay_alu instid0(VALU_DEP_1)
	v_add3_u32 v72, v78, v72, 0x7fff
                                        ; implicit-def: $vgpr78
; %bb.66:
	s_and_not1_saveexec_b32 s2, s2
; %bb.67:
	v_and_b32_e32 v72, 0xffff, v78
	v_or_b32_e32 v82, 0x10000, v78
	s_delay_alu instid0(VALU_DEP_2) | instskip(NEXT) | instid1(VALU_DEP_2)
	v_cmp_eq_u32_e32 vcc_lo, 0, v72
	v_cndmask_b32_e32 v72, v82, v78, vcc_lo
; %bb.68:
	s_or_b32 exec_lo, exec_lo, s2
	v_and_b32_e32 v78, 0x7f800000, v79
	s_delay_alu instid0(VALU_DEP_1) | instskip(SKIP_1) | instid1(SALU_CYCLE_1)
	v_cmp_ne_u32_e32 vcc_lo, 0x7f800000, v78
                                        ; implicit-def: $vgpr78
	s_and_saveexec_b32 s2, vcc_lo
	s_xor_b32 s2, exec_lo, s2
; %bb.69:
	v_bfe_u32 v78, v79, 16, 1
	s_delay_alu instid0(VALU_DEP_1)
	v_add3_u32 v78, v79, v78, 0x7fff
                                        ; implicit-def: $vgpr79
; %bb.70:
	s_and_not1_saveexec_b32 s2, s2
; %bb.71:
	v_and_b32_e32 v78, 0xffff, v79
	v_or_b32_e32 v82, 0x10000, v79
	s_delay_alu instid0(VALU_DEP_2) | instskip(NEXT) | instid1(VALU_DEP_2)
	v_cmp_eq_u32_e32 vcc_lo, 0, v78
	v_cndmask_b32_e32 v78, v82, v79, vcc_lo
; %bb.72:
	s_or_b32 exec_lo, exec_lo, s2
	v_and_b32_e32 v79, 0x7f800000, v69
	s_delay_alu instid0(VALU_DEP_1) | instskip(SKIP_1) | instid1(SALU_CYCLE_1)
	v_cmp_ne_u32_e32 vcc_lo, 0x7f800000, v79
                                        ; implicit-def: $vgpr79
	s_and_saveexec_b32 s2, vcc_lo
	s_xor_b32 s2, exec_lo, s2
; %bb.73:
	v_bfe_u32 v79, v69, 16, 1
	s_delay_alu instid0(VALU_DEP_1)
	v_add3_u32 v79, v69, v79, 0x7fff
                                        ; implicit-def: $vgpr69
; %bb.74:
	s_and_not1_saveexec_b32 s2, s2
; %bb.75:
	v_and_b32_e32 v79, 0xffff, v69
	v_or_b32_e32 v82, 0x10000, v69
	s_delay_alu instid0(VALU_DEP_2) | instskip(NEXT) | instid1(VALU_DEP_2)
	v_cmp_eq_u32_e32 vcc_lo, 0, v79
	v_cndmask_b32_e32 v79, v82, v69, vcc_lo
; %bb.76:
	s_or_b32 exec_lo, exec_lo, s2
	s_delay_alu instid0(VALU_DEP_1)
	v_perm_b32 v86, v79, v78, 0x7060302
	v_perm_b32 v85, v72, v81, 0x7060302
	;; [unrolled: 1-line block ×4, first 2 shown]
	v_lshl_or_b32 v82, v65, 11, v76
	v_lshlrev_b32_e32 v79, 2, v74
	ds_store_b128 v77, v[83:86] offset:1024
	s_waitcnt lgkmcnt(0)
	s_barrier
	buffer_gl0_inv
	ds_load_b128 v[68:71], v82
	ds_load_b128 v[83:86], v82 offset:16
	v_or_b32_e32 v80, 1, v79
	v_cmp_eq_u32_e32 vcc_lo, 1, v79
	v_cmp_eq_u32_e64 s3, 2, v79
	v_cmp_eq_u32_e64 s6, 3, v79
	;; [unrolled: 1-line block ×6, first 2 shown]
	v_or_b32_e32 v78, 2, v79
	v_cmp_eq_u32_e64 s9, 5, v79
	v_cmp_eq_u32_e64 s10, 4, v80
	;; [unrolled: 1-line block ×9, first 2 shown]
	s_waitcnt lgkmcnt(1)
	v_lshrrev_b32_e32 v65, 16, v68
	s_waitcnt lgkmcnt(0)
	v_lshrrev_b32_e32 v91, 16, v83
	v_lshrrev_b32_e32 v72, 16, v69
	;; [unrolled: 1-line block ×4, first 2 shown]
	v_cndmask_b32_e32 v81, v68, v65, vcc_lo
	v_cndmask_b32_e32 v87, v83, v91, vcc_lo
	v_cndmask_b32_e64 v88, v68, v65, s2
	v_lshrrev_b32_e32 v98, 16, v85
	v_cndmask_b32_e64 v89, v83, v91, s2
	v_cndmask_b32_e64 v81, v81, v69, s3
	v_cndmask_b32_e64 v87, v87, v84, s3
	v_cndmask_b32_e64 v88, v88, v69, s5
	v_lshrrev_b32_e32 v96, 16, v71
	v_cndmask_b32_e64 v89, v89, v84, s5
	v_cndmask_b32_e64 v81, v81, v72, s6
	v_cndmask_b32_e64 v87, v87, v97, s6
	;; [unrolled: 5-line block ×3, first 2 shown]
	v_cndmask_b32_e64 v88, v88, v70, s10
	v_cndmask_b32_e64 v89, v89, v97, s7
	v_cmp_eq_u32_e64 s18, 3, v78
	v_cndmask_b32_e64 v81, v81, v95, s9
	v_cndmask_b32_e64 v87, v87, v98, s9
	;; [unrolled: 1-line block ×4, first 2 shown]
	v_cmp_eq_u32_e64 s19, 4, v78
	v_cndmask_b32_e64 v81, v81, v71, s11
	v_cndmask_b32_e64 v87, v87, v86, s11
	;; [unrolled: 1-line block ×3, first 2 shown]
	v_cmp_eq_u32_e64 s21, 5, v78
	v_cmp_eq_u32_e64 s23, 6, v78
	v_cndmask_b32_e64 v100, v81, v96, s13
	v_cndmask_b32_e64 v101, v87, v99, s13
	;; [unrolled: 1-line block ×6, first 2 shown]
	v_cmp_eq_u32_e64 s26, 7, v78
	v_cndmask_b32_e64 v89, v81, v72, s18
	v_cndmask_b32_e64 v87, v87, v84, s16
	v_or_b32_e32 v81, 3, v79
	v_cndmask_b32_e64 v103, v88, v86, s15
	s_delay_alu instid0(VALU_DEP_4) | instskip(NEXT) | instid1(VALU_DEP_4)
	v_cndmask_b32_e64 v92, v89, v70, s19
	v_cndmask_b32_e64 v93, v87, v97, s18
	s_delay_alu instid0(VALU_DEP_4)
	v_cmp_eq_u32_e64 s20, 1, v81
	ds_load_b128 v[87:90], v82 offset:1024
	v_cmp_eq_u32_e64 s22, 2, v81
	v_cndmask_b32_e64 v104, v92, v95, s21
	v_cmp_eq_u32_e64 s24, 3, v81
	v_cndmask_b32_e64 v65, v68, v65, s20
	v_cndmask_b32_e64 v68, v93, v85, s19
	v_cndmask_b32_e64 v83, v83, v91, s20
	ds_load_b128 v[91:94], v82 offset:1040
	v_cmp_eq_u32_e64 s25, 4, v81
	v_cndmask_b32_e64 v65, v65, v69, s22
	v_cmp_eq_u32_e64 s27, 5, v81
	v_cndmask_b32_e64 v69, v83, v84, s22
	;; [unrolled: 2-line block ×3, first 2 shown]
	v_cndmask_b32_e64 v65, v65, v72, s24
	v_cndmask_b32_e64 v72, v104, v71, s23
	;; [unrolled: 1-line block ×6, first 2 shown]
	s_waitcnt lgkmcnt(1)
	v_lshrrev_b32_e32 v84, 16, v87
	v_cndmask_b32_e64 v69, v69, v85, s25
	v_cndmask_b32_e64 v70, v72, v96, s26
	;; [unrolled: 1-line block ×4, first 2 shown]
	v_cndmask_b32_e32 v72, v87, v84, vcc_lo
	v_cndmask_b32_e64 v69, v69, v98, s27
	s_waitcnt lgkmcnt(0)
	v_lshrrev_b32_e32 v85, 16, v91
	v_lshrrev_b32_e32 v95, 16, v88
	v_cndmask_b32_e64 v97, v87, v84, s2
	v_cndmask_b32_e64 v72, v72, v88, s3
	;; [unrolled: 1-line block ×3, first 2 shown]
	v_cndmask_b32_e32 v98, v91, v85, vcc_lo
	v_cmp_eq_u32_e32 vcc_lo, 7, v81
	v_cndmask_b32_e64 v69, v69, v86, s28
	v_cndmask_b32_e64 v71, v72, v95, s6
	;; [unrolled: 1-line block ×3, first 2 shown]
	v_lshrrev_b32_e32 v97, 16, v92
	v_cndmask_b32_e32 v65, v65, v96, vcc_lo
	v_cndmask_b32_e64 v86, v98, v92, s3
	v_cndmask_b32_e32 v69, v69, v99, vcc_lo
	v_lshrrev_b32_e32 v99, 16, v93
	v_cndmask_b32_e64 v71, v71, v89, s8
	v_lshrrev_b32_e32 v98, 16, v89
	v_cndmask_b32_e64 v86, v86, v97, s6
	v_perm_b32 v70, v68, v70, 0x5040100
	v_cndmask_b32_e64 v72, v72, v95, s7
	s_delay_alu instid0(VALU_DEP_4) | instskip(NEXT) | instid1(VALU_DEP_4)
	v_cndmask_b32_e64 v96, v71, v98, s9
	v_cndmask_b32_e64 v86, v86, v93, s8
	v_perm_b32 v71, v69, v65, 0x5040100
	v_perm_b32 v69, v83, v102, 0x5040100
	v_cndmask_b32_e64 v102, v91, v85, s4
	v_cndmask_b32_e64 v72, v72, v89, s10
	v_cndmask_b32_e64 v86, v86, v99, s9
	v_lshrrev_b32_e32 v83, 16, v94
	s_delay_alu instid0(VALU_DEP_3) | instskip(NEXT) | instid1(VALU_DEP_3)
	v_cndmask_b32_e64 v65, v72, v98, s12
	v_cndmask_b32_e64 v68, v86, v94, s11
	;; [unrolled: 1-line block ×27, first 2 shown]
	v_lshrrev_b32_e32 v96, 16, v90
	v_cndmask_b32_e64 v65, v65, v90, s15
	v_cndmask_b32_e64 v86, v86, v90, s23
	;; [unrolled: 1-line block ×9, first 2 shown]
	v_cndmask_b32_e32 v84, v84, v96, vcc_lo
	v_cndmask_b32_e32 v86, v87, v83, vcc_lo
	v_cndmask_b32_e64 v87, v88, v83, s26
	v_cndmask_b32_e64 v88, v85, v83, s17
	;; [unrolled: 1-line block ×3, first 2 shown]
	v_perm_b32 v68, v101, v100, 0x5040100
	v_perm_b32 v86, v86, v84, 0x5040100
	;; [unrolled: 1-line block ×5, first 2 shown]
	s_lshl_b32 s7, s35, 4
	s_mov_b32 s2, exec_lo
	ds_store_b128 v77, v[68:71]
	ds_store_b128 v77, v[83:86] offset:1024
	v_cmpx_gt_u32_e32 16, v0
	s_cbranch_execz .LBB1885_78
; %bb.77:
	v_or_b32_e32 v65, s29, v0
	s_load_b128 s[8:11], s[0:1], 0x58
	s_delay_alu instid0(VALU_DEP_1) | instskip(NEXT) | instid1(VALU_DEP_1)
	v_mad_u64_u32 v[68:69], null, s7, s30, v[65:66]
	v_mad_u64_u32 v[69:70], null, v68, s34, s[14:15]
	s_delay_alu instid0(VALU_DEP_1) | instskip(NEXT) | instid1(VALU_DEP_1)
	v_ashrrev_i32_e32 v70, 31, v69
	v_lshlrev_b64 v[68:69], 2, v[69:70]
	s_waitcnt lgkmcnt(0)
	s_delay_alu instid0(VALU_DEP_1) | instskip(NEXT) | instid1(VALU_DEP_2)
	v_add_co_u32 v70, vcc_lo, s10, v68
	v_add_co_ci_u32_e32 v71, vcc_lo, s11, v69, vcc_lo
	v_add_co_u32 v68, vcc_lo, s8, v68
	v_add_co_ci_u32_e32 v69, vcc_lo, s9, v69, vcc_lo
	global_store_b32 v[70:71], v66, off
	global_store_b32 v[68:69], v67, off
.LBB1885_78:
	s_or_b32 exec_lo, exec_lo, s2
	s_waitcnt lgkmcnt(0)
	s_waitcnt_vscnt null, 0x0
	s_barrier
	buffer_gl0_inv
	ds_load_b128 v[83:86], v76
	ds_load_b128 v[87:90], v76 offset:16
	ds_load_b128 v[95:98], v76 offset:2064
	;; [unrolled: 1-line block ×3, first 2 shown]
	v_mov_b32_e32 v65, 0
	ds_load_b128 v[103:106], v76 offset:4112
	ds_load_b128 v[99:102], v76 offset:4096
	;; [unrolled: 1-line block ×4, first 2 shown]
	v_mov_b32_e32 v66, v65
	v_mov_b32_e32 v67, v65
	;; [unrolled: 1-line block ×7, first 2 shown]
	s_waitcnt lgkmcnt(6)
	s_delay_alu instid0(VALU_DEP_1)
	v_wmma_f32_16x16x16_bf16 v[65:72], v[49:56], v[83:90], v[65:72]
	ds_load_b128 v[53:56], v76 offset:8208
	ds_load_b128 v[49:52], v76 offset:8192
	s_waitcnt lgkmcnt(6)
	v_wmma_f32_16x16x16_bf16 v[65:72], v[41:48], v[91:98], v[65:72]
	ds_load_b128 v[45:48], v76 offset:10256
	ds_load_b128 v[41:44], v76 offset:10240
	s_waitcnt lgkmcnt(6)
	;; [unrolled: 4-line block ×4, first 2 shown]
	v_wmma_f32_16x16x16_bf16 v[65:72], v[1:8], v[49:56], v[65:72]
	s_waitcnt lgkmcnt(4)
	s_delay_alu instid0(VALU_DEP_1) | instskip(SKIP_1) | instid1(VALU_DEP_1)
	v_wmma_f32_16x16x16_bf16 v[65:72], v[9:16], v[41:48], v[65:72]
	s_waitcnt lgkmcnt(2)
	v_wmma_f32_16x16x16_bf16 v[65:72], v[17:24], v[33:40], v[65:72]
	s_waitcnt lgkmcnt(0)
	s_delay_alu instid0(VALU_DEP_1) | instskip(NEXT) | instid1(VALU_DEP_1)
	v_wmma_f32_16x16x16_bf16 v[65:72], v[57:64], v[25:32], v[65:72]
	v_and_b32_e32 v1, 0x7f800000, v65
	s_delay_alu instid0(VALU_DEP_1) | instskip(SKIP_1) | instid1(SALU_CYCLE_1)
	v_cmp_ne_u32_e32 vcc_lo, 0x7f800000, v1
                                        ; implicit-def: $vgpr1
	s_and_saveexec_b32 s2, vcc_lo
	s_xor_b32 s2, exec_lo, s2
; %bb.79:
	v_bfe_u32 v1, v65, 16, 1
	s_delay_alu instid0(VALU_DEP_1)
	v_add3_u32 v1, v65, v1, 0x7fff
; %bb.80:
	s_and_not1_saveexec_b32 s2, s2
; %bb.81:
	v_and_b32_e32 v1, 0xffff, v65
	v_or_b32_e32 v2, 0x10000, v65
	s_delay_alu instid0(VALU_DEP_2) | instskip(NEXT) | instid1(VALU_DEP_2)
	v_cmp_eq_u32_e32 vcc_lo, 0, v1
	v_cndmask_b32_e32 v1, v2, v65, vcc_lo
; %bb.82:
	s_or_b32 exec_lo, exec_lo, s2
	v_and_b32_e32 v2, 0x7f800000, v66
	s_delay_alu instid0(VALU_DEP_1) | instskip(SKIP_1) | instid1(SALU_CYCLE_1)
	v_cmp_ne_u32_e32 vcc_lo, 0x7f800000, v2
                                        ; implicit-def: $vgpr2
	s_and_saveexec_b32 s2, vcc_lo
	s_xor_b32 s2, exec_lo, s2
; %bb.83:
	v_bfe_u32 v2, v66, 16, 1
	s_delay_alu instid0(VALU_DEP_1)
	v_add3_u32 v2, v66, v2, 0x7fff
; %bb.84:
	s_and_not1_saveexec_b32 s2, s2
; %bb.85:
	v_and_b32_e32 v2, 0xffff, v66
	v_or_b32_e32 v3, 0x10000, v66
	s_delay_alu instid0(VALU_DEP_2) | instskip(NEXT) | instid1(VALU_DEP_2)
	v_cmp_eq_u32_e32 vcc_lo, 0, v2
	v_cndmask_b32_e32 v2, v3, v66, vcc_lo
; %bb.86:
	s_or_b32 exec_lo, exec_lo, s2
	v_and_b32_e32 v3, 0x7f800000, v67
	s_delay_alu instid0(VALU_DEP_1) | instskip(SKIP_1) | instid1(SALU_CYCLE_1)
	v_cmp_ne_u32_e32 vcc_lo, 0x7f800000, v3
                                        ; implicit-def: $vgpr3
	s_and_saveexec_b32 s2, vcc_lo
	s_xor_b32 s2, exec_lo, s2
; %bb.87:
	v_bfe_u32 v3, v67, 16, 1
	s_delay_alu instid0(VALU_DEP_1)
	v_add3_u32 v3, v67, v3, 0x7fff
; %bb.88:
	s_and_not1_saveexec_b32 s2, s2
; %bb.89:
	v_and_b32_e32 v3, 0xffff, v67
	v_or_b32_e32 v4, 0x10000, v67
	s_delay_alu instid0(VALU_DEP_2) | instskip(NEXT) | instid1(VALU_DEP_2)
	v_cmp_eq_u32_e32 vcc_lo, 0, v3
	v_cndmask_b32_e32 v3, v4, v67, vcc_lo
; %bb.90:
	s_or_b32 exec_lo, exec_lo, s2
	v_and_b32_e32 v4, 0x7f800000, v68
	s_delay_alu instid0(VALU_DEP_1) | instskip(SKIP_1) | instid1(SALU_CYCLE_1)
	v_cmp_ne_u32_e32 vcc_lo, 0x7f800000, v4
                                        ; implicit-def: $vgpr4
	s_and_saveexec_b32 s2, vcc_lo
	s_xor_b32 s2, exec_lo, s2
; %bb.91:
	v_bfe_u32 v4, v68, 16, 1
	s_delay_alu instid0(VALU_DEP_1)
	v_add3_u32 v4, v68, v4, 0x7fff
; %bb.92:
	s_and_not1_saveexec_b32 s2, s2
; %bb.93:
	v_and_b32_e32 v4, 0xffff, v68
	v_or_b32_e32 v5, 0x10000, v68
	s_delay_alu instid0(VALU_DEP_2) | instskip(NEXT) | instid1(VALU_DEP_2)
	v_cmp_eq_u32_e32 vcc_lo, 0, v4
	v_cndmask_b32_e32 v4, v5, v68, vcc_lo
; %bb.94:
	s_or_b32 exec_lo, exec_lo, s2
	v_and_b32_e32 v5, 0x7f800000, v69
	s_delay_alu instid0(VALU_DEP_1) | instskip(SKIP_1) | instid1(SALU_CYCLE_1)
	v_cmp_ne_u32_e32 vcc_lo, 0x7f800000, v5
                                        ; implicit-def: $vgpr5
	s_and_saveexec_b32 s2, vcc_lo
	s_xor_b32 s2, exec_lo, s2
; %bb.95:
	v_bfe_u32 v5, v69, 16, 1
	s_delay_alu instid0(VALU_DEP_1)
	v_add3_u32 v5, v69, v5, 0x7fff
; %bb.96:
	s_and_not1_saveexec_b32 s2, s2
; %bb.97:
	v_and_b32_e32 v5, 0xffff, v69
	v_or_b32_e32 v6, 0x10000, v69
	s_delay_alu instid0(VALU_DEP_2) | instskip(NEXT) | instid1(VALU_DEP_2)
	v_cmp_eq_u32_e32 vcc_lo, 0, v5
	v_cndmask_b32_e32 v5, v6, v69, vcc_lo
; %bb.98:
	s_or_b32 exec_lo, exec_lo, s2
	v_and_b32_e32 v6, 0x7f800000, v70
	s_delay_alu instid0(VALU_DEP_1) | instskip(SKIP_1) | instid1(SALU_CYCLE_1)
	v_cmp_ne_u32_e32 vcc_lo, 0x7f800000, v6
                                        ; implicit-def: $vgpr6
	s_and_saveexec_b32 s2, vcc_lo
	s_xor_b32 s2, exec_lo, s2
; %bb.99:
	v_bfe_u32 v6, v70, 16, 1
	s_delay_alu instid0(VALU_DEP_1)
	v_add3_u32 v6, v70, v6, 0x7fff
; %bb.100:
	s_and_not1_saveexec_b32 s2, s2
; %bb.101:
	v_and_b32_e32 v6, 0xffff, v70
	v_or_b32_e32 v7, 0x10000, v70
	s_delay_alu instid0(VALU_DEP_2) | instskip(NEXT) | instid1(VALU_DEP_2)
	v_cmp_eq_u32_e32 vcc_lo, 0, v6
	v_cndmask_b32_e32 v6, v7, v70, vcc_lo
; %bb.102:
	s_or_b32 exec_lo, exec_lo, s2
	v_and_b32_e32 v7, 0x7f800000, v71
	s_delay_alu instid0(VALU_DEP_1) | instskip(SKIP_1) | instid1(SALU_CYCLE_1)
	v_cmp_ne_u32_e32 vcc_lo, 0x7f800000, v7
                                        ; implicit-def: $vgpr7
	s_and_saveexec_b32 s2, vcc_lo
	s_xor_b32 s2, exec_lo, s2
; %bb.103:
	v_bfe_u32 v7, v71, 16, 1
	s_delay_alu instid0(VALU_DEP_1)
	v_add3_u32 v7, v71, v7, 0x7fff
; %bb.104:
	s_and_not1_saveexec_b32 s2, s2
; %bb.105:
	v_and_b32_e32 v7, 0xffff, v71
	v_or_b32_e32 v8, 0x10000, v71
	s_delay_alu instid0(VALU_DEP_2) | instskip(NEXT) | instid1(VALU_DEP_2)
	v_cmp_eq_u32_e32 vcc_lo, 0, v7
	v_cndmask_b32_e32 v7, v8, v71, vcc_lo
; %bb.106:
	s_or_b32 exec_lo, exec_lo, s2
	v_and_b32_e32 v8, 0x7f800000, v72
	s_delay_alu instid0(VALU_DEP_1) | instskip(SKIP_1) | instid1(SALU_CYCLE_1)
	v_cmp_ne_u32_e32 vcc_lo, 0x7f800000, v8
                                        ; implicit-def: $vgpr8
	s_and_saveexec_b32 s2, vcc_lo
	s_xor_b32 s2, exec_lo, s2
; %bb.107:
	v_bfe_u32 v8, v72, 16, 1
	s_delay_alu instid0(VALU_DEP_1)
	v_add3_u32 v8, v72, v8, 0x7fff
                                        ; implicit-def: $vgpr65_vgpr66_vgpr67_vgpr68_vgpr69_vgpr70_vgpr71_vgpr72
; %bb.108:
	s_and_not1_saveexec_b32 s2, s2
; %bb.109:
	v_and_b32_e32 v8, 0xffff, v72
	v_or_b32_e32 v9, 0x10000, v72
	s_delay_alu instid0(VALU_DEP_2) | instskip(NEXT) | instid1(VALU_DEP_2)
	v_cmp_eq_u32_e32 vcc_lo, 0, v8
	v_cndmask_b32_e32 v8, v9, v72, vcc_lo
; %bb.110:
	s_or_b32 exec_lo, exec_lo, s2
	s_delay_alu instid0(VALU_DEP_1)
	v_perm_b32 v7, v8, v7, 0x7060302
	v_perm_b32 v6, v6, v5, 0x7060302
	;; [unrolled: 1-line block ×4, first 2 shown]
	s_barrier
	buffer_gl0_inv
	v_cmp_eq_u32_e32 vcc_lo, 1, v79
	ds_store_b128 v77, v[4:7]
	s_waitcnt lgkmcnt(0)
	s_barrier
	buffer_gl0_inv
	ds_load_b128 v[1:4], v82
	ds_load_b128 v[5:8], v82 offset:16
	v_cmp_eq_u32_e64 s2, 1, v80
	v_cmp_eq_u32_e64 s3, 2, v79
	;; [unrolled: 1-line block ×5, first 2 shown]
	s_waitcnt lgkmcnt(1)
	v_lshrrev_b32_e32 v9, 16, v1
	s_waitcnt lgkmcnt(0)
	v_lshrrev_b32_e32 v13, 16, v5
	v_lshrrev_b32_e32 v10, 16, v2
	v_lshrrev_b32_e32 v14, 16, v6
	v_lshrrev_b32_e32 v11, 16, v3
	v_cndmask_b32_e64 v19, v1, v9, s2
	v_cndmask_b32_e32 v18, v5, v13, vcc_lo
	v_cndmask_b32_e64 v20, v5, v13, s2
	v_cndmask_b32_e32 v17, v1, v9, vcc_lo
	v_cmp_eq_u32_e32 vcc_lo, 2, v80
	v_lshrrev_b32_e32 v15, 16, v7
	v_cmp_eq_u32_e64 s2, 1, v78
	v_lshrrev_b32_e32 v12, 16, v4
	v_lshrrev_b32_e32 v16, 16, v8
	v_cndmask_b32_e32 v20, v20, v6, vcc_lo
	v_cndmask_b32_e64 v17, v17, v2, s3
	v_cndmask_b32_e32 v19, v19, v2, vcc_lo
	v_cndmask_b32_e64 v18, v18, v6, s3
	v_cmp_eq_u32_e32 vcc_lo, 4, v79
	v_cmp_eq_u32_e64 s3, 3, v80
	v_cndmask_b32_e64 v17, v17, v10, s4
	v_cndmask_b32_e64 v21, v1, v9, s2
	;; [unrolled: 1-line block ×5, first 2 shown]
	v_cndmask_b32_e32 v17, v17, v3, vcc_lo
	v_cndmask_b32_e64 v20, v20, v14, s3
	v_cndmask_b32_e32 v18, v18, v7, vcc_lo
	v_cmp_eq_u32_e32 vcc_lo, 4, v80
	v_cmp_eq_u32_e64 s3, 5, v80
	v_cmp_eq_u32_e64 s2, 2, v81
	v_cndmask_b32_e64 v21, v21, v2, s6
	v_cmp_eq_u32_e64 s4, 5, v79
	v_cndmask_b32_e32 v19, v19, v3, vcc_lo
	v_cndmask_b32_e32 v20, v20, v7, vcc_lo
	v_cmp_eq_u32_e32 vcc_lo, 6, v80
	s_delay_alu instid0(VALU_DEP_4) | instskip(NEXT) | instid1(VALU_DEP_4)
	v_cndmask_b32_e64 v17, v17, v11, s4
	v_cndmask_b32_e64 v19, v19, v11, s3
	s_delay_alu instid0(VALU_DEP_4) | instskip(SKIP_1) | instid1(VALU_DEP_3)
	v_cndmask_b32_e64 v20, v20, v15, s3
	v_cmp_eq_u32_e64 s3, 1, v81
	v_cndmask_b32_e32 v19, v19, v4, vcc_lo
	v_cndmask_b32_e64 v18, v18, v15, s4
	s_delay_alu instid0(VALU_DEP_3)
	v_cndmask_b32_e64 v1, v1, v9, s3
	v_cndmask_b32_e64 v5, v5, v13, s3
	v_cmp_eq_u32_e64 s3, 3, v78
	v_cndmask_b32_e64 v13, v22, v6, s6
	v_cmp_eq_u32_e64 s6, 3, v81
	v_cndmask_b32_e64 v1, v1, v2, s2
	v_cndmask_b32_e64 v2, v5, v6, s2
	v_cndmask_b32_e64 v9, v21, v10, s3
	v_cmp_eq_u32_e64 s2, 4, v78
	v_cndmask_b32_e64 v6, v13, v14, s3
	v_cndmask_b32_e64 v1, v1, v10, s6
	v_cmp_eq_u32_e64 s3, 4, v81
	v_cndmask_b32_e64 v2, v2, v14, s6
	v_cndmask_b32_e64 v5, v9, v3, s2
	;; [unrolled: 3-line block ×3, first 2 shown]
	v_cndmask_b32_e64 v2, v2, v7, s3
	v_cmp_eq_u32_e64 s2, 5, v81
	v_cmp_eq_u32_e64 s4, 6, v79
	v_cndmask_b32_e64 v5, v5, v11, s6
	v_cmp_eq_u32_e64 s3, 6, v78
	v_cndmask_b32_e64 v3, v6, v15, s6
	v_cndmask_b32_e64 v1, v1, v11, s2
	v_cmp_eq_u32_e64 s6, 6, v81
	v_cndmask_b32_e64 v2, v2, v15, s2
	v_cndmask_b32_e64 v17, v17, v4, s4
	v_cndmask_b32_e64 v18, v18, v8, s4
	v_cmp_eq_u32_e64 s4, 7, v79
	v_cndmask_b32_e64 v5, v5, v4, s3
	;; [unrolled: 4-line block ×3, first 2 shown]
	v_cmp_eq_u32_e64 s3, 7, v78
	v_cndmask_b32_e32 v4, v20, v8, vcc_lo
	v_cndmask_b32_e64 v17, v17, v12, s4
	v_cndmask_b32_e64 v19, v19, v12, s5
	;; [unrolled: 1-line block ×8, first 2 shown]
	s_mov_b32 s2, exec_lo
	v_perm_b32 v4, v2, v1, 0x5040100
	v_perm_b32 v3, v3, v5, 0x5040100
	v_perm_b32 v2, v6, v19, 0x5040100
	v_perm_b32 v1, v7, v17, 0x5040100
	ds_store_b128 v77, v[1:4]
	s_waitcnt lgkmcnt(0)
	s_barrier
	buffer_gl0_inv
	v_cmpx_gt_u32_e32 32, v0
	s_cbranch_execz .LBB1885_2
; %bb.111:
	s_load_b64 s[0:1], s[0:1], 0x68
	v_lshlrev_b32_e32 v0, 10, v0
	s_lshl_b32 s4, s34, 7
	v_or_b32_e32 v23, s29, v74
	s_mul_i32 s2, s4, s30
	v_lshlrev_b32_e32 v1, 4, v75
	v_lshlrev_b32_e32 v2, 6, v74
	s_mul_i32 s2, s2, s7
	v_and_b32_e32 v0, 0x3800, v0
	v_mul_lo_u32 v8, v23, s4
	s_ashr_i32 s3, s2, 31
	v_or_b32_e32 v3, 2, v23
	s_lshl_b64 s[2:3], s[2:3], 1
	v_or3_b32 v27, v0, v1, v2
	v_or_b32_e32 v11, 4, v23
	v_or_b32_e32 v18, 6, v23
	v_mul_lo_u32 v10, v3, s4
	v_ashrrev_i32_e32 v9, 31, v8
	ds_load_b128 v[0:3], v27
	ds_load_b128 v[4:7], v27 offset:128
	v_mul_lo_u32 v12, v11, s4
	s_waitcnt lgkmcnt(0)
	s_add_u32 s2, s0, s2
	s_addc_u32 s3, s1, s3
	s_lshl_b32 s0, s14, 7
	v_lshlrev_b64 v[8:9], 1, v[8:9]
	s_ashr_i32 s1, s0, 31
	v_ashrrev_i32_e32 v11, 31, v10
	s_lshl_b64 s[0:1], s[0:1], 1
	v_ashrrev_i32_e32 v13, 31, v12
	s_add_u32 s0, s2, s0
	s_addc_u32 s1, s3, s1
	v_add_co_u32 v30, s0, s0, v73
	s_delay_alu instid0(VALU_DEP_1) | instskip(SKIP_1) | instid1(VALU_DEP_3)
	v_add_co_ci_u32_e64 v31, null, s1, 0, s0
	v_lshlrev_b64 v[16:17], 1, v[10:11]
	v_add_co_u32 v14, vcc_lo, v30, v8
	s_delay_alu instid0(VALU_DEP_3)
	v_add_co_ci_u32_e32 v15, vcc_lo, v31, v9, vcc_lo
	ds_load_b128 v[8:11], v27 offset:256
	v_mul_lo_u32 v18, v18, s4
	v_or_b32_e32 v19, 8, v23
	v_add_co_u32 v16, vcc_lo, v30, v16
	global_store_b128 v[14:15], v[0:3], off
	v_lshlrev_b64 v[0:1], 1, v[12:13]
	v_add_co_ci_u32_e32 v17, vcc_lo, v31, v17, vcc_lo
	v_mul_lo_u32 v12, v19, s4
	v_ashrrev_i32_e32 v19, 31, v18
	v_or_b32_e32 v14, 10, v23
	global_store_b128 v[16:17], v[4:7], off
	v_add_co_u32 v4, vcc_lo, v30, v0
	v_add_co_ci_u32_e32 v5, vcc_lo, v31, v1, vcc_lo
	ds_load_b128 v[0:3], v27 offset:384
	v_ashrrev_i32_e32 v13, 31, v12
	v_lshlrev_b64 v[6:7], 1, v[18:19]
	v_mul_lo_u32 v14, v14, s4
	s_waitcnt lgkmcnt(1)
	global_store_b128 v[4:5], v[8:11], off
	v_or_b32_e32 v8, 12, v23
	v_lshlrev_b64 v[4:5], 1, v[12:13]
	v_add_co_u32 v20, vcc_lo, v30, v6
	v_or_b32_e32 v6, 14, v23
	v_ashrrev_i32_e32 v15, 31, v14
	v_mul_lo_u32 v22, v8, s4
	v_add_co_ci_u32_e32 v21, vcc_lo, v31, v7, vcc_lo
	v_add_co_u32 v24, vcc_lo, v30, v4
	v_mul_lo_u32 v26, v6, s4
	v_add_co_ci_u32_e32 v25, vcc_lo, v31, v5, vcc_lo
	v_lshlrev_b64 v[28:29], 1, v[14:15]
	ds_load_b128 v[4:7], v27 offset:512
	ds_load_b128 v[8:11], v27 offset:640
	;; [unrolled: 1-line block ×4, first 2 shown]
	v_ashrrev_i32_e32 v23, 31, v22
	v_ashrrev_i32_e32 v27, 31, v26
	v_add_co_u32 v28, vcc_lo, v30, v28
	s_delay_alu instid0(VALU_DEP_3) | instskip(SKIP_1) | instid1(VALU_DEP_4)
	v_lshlrev_b64 v[22:23], 1, v[22:23]
	v_add_co_ci_u32_e32 v29, vcc_lo, v31, v29, vcc_lo
	v_lshlrev_b64 v[26:27], 1, v[26:27]
	s_delay_alu instid0(VALU_DEP_3) | instskip(NEXT) | instid1(VALU_DEP_4)
	v_add_co_u32 v22, vcc_lo, v30, v22
	v_add_co_ci_u32_e32 v23, vcc_lo, v31, v23, vcc_lo
	s_delay_alu instid0(VALU_DEP_3) | instskip(NEXT) | instid1(VALU_DEP_4)
	v_add_co_u32 v26, vcc_lo, v30, v26
	v_add_co_ci_u32_e32 v27, vcc_lo, v31, v27, vcc_lo
	s_waitcnt lgkmcnt(4)
	global_store_b128 v[20:21], v[0:3], off
	s_waitcnt lgkmcnt(3)
	global_store_b128 v[24:25], v[4:7], off
	;; [unrolled: 2-line block ×5, first 2 shown]
	s_nop 0
	s_sendmsg sendmsg(MSG_DEALLOC_VGPRS)
	s_endpgm
	.section	.rodata,"a",@progbits
	.p2align	6, 0x0
	.amdhsa_kernel _Z39paged_attention_ll4mi_QKV_mfma16_kernelI14__hip_bfloat16hLN4vllm18Fp8KVCacheDataTypeE1EhLi32ELi128ELi256ELb0ELi16EL8MFMAType0EEvPKT_PKT0_S9_ifPKiSB_SB_iPKfiiiPfSE_PS4_PT2_iSD_SD_
		.amdhsa_group_segment_fixed_size 17472
		.amdhsa_private_segment_fixed_size 0
		.amdhsa_kernarg_size 400
		.amdhsa_user_sgpr_count 13
		.amdhsa_user_sgpr_dispatch_ptr 0
		.amdhsa_user_sgpr_queue_ptr 0
		.amdhsa_user_sgpr_kernarg_segment_ptr 1
		.amdhsa_user_sgpr_dispatch_id 0
		.amdhsa_user_sgpr_private_segment_size 0
		.amdhsa_wavefront_size32 1
		.amdhsa_uses_dynamic_stack 0
		.amdhsa_enable_private_segment 0
		.amdhsa_system_sgpr_workgroup_id_x 1
		.amdhsa_system_sgpr_workgroup_id_y 1
		.amdhsa_system_sgpr_workgroup_id_z 1
		.amdhsa_system_sgpr_workgroup_info 0
		.amdhsa_system_vgpr_workitem_id 0
		.amdhsa_next_free_vgpr 141
		.amdhsa_next_free_sgpr 36
		.amdhsa_reserve_vcc 1
		.amdhsa_float_round_mode_32 0
		.amdhsa_float_round_mode_16_64 0
		.amdhsa_float_denorm_mode_32 3
		.amdhsa_float_denorm_mode_16_64 3
		.amdhsa_dx10_clamp 1
		.amdhsa_ieee_mode 1
		.amdhsa_fp16_overflow 0
		.amdhsa_workgroup_processor_mode 1
		.amdhsa_memory_ordered 1
		.amdhsa_forward_progress 0
		.amdhsa_shared_vgpr_count 0
		.amdhsa_exception_fp_ieee_invalid_op 0
		.amdhsa_exception_fp_denorm_src 0
		.amdhsa_exception_fp_ieee_div_zero 0
		.amdhsa_exception_fp_ieee_overflow 0
		.amdhsa_exception_fp_ieee_underflow 0
		.amdhsa_exception_fp_ieee_inexact 0
		.amdhsa_exception_int_div_zero 0
	.end_amdhsa_kernel
	.section	.text._Z39paged_attention_ll4mi_QKV_mfma16_kernelI14__hip_bfloat16hLN4vllm18Fp8KVCacheDataTypeE1EhLi32ELi128ELi256ELb0ELi16EL8MFMAType0EEvPKT_PKT0_S9_ifPKiSB_SB_iPKfiiiPfSE_PS4_PT2_iSD_SD_,"axG",@progbits,_Z39paged_attention_ll4mi_QKV_mfma16_kernelI14__hip_bfloat16hLN4vllm18Fp8KVCacheDataTypeE1EhLi32ELi128ELi256ELb0ELi16EL8MFMAType0EEvPKT_PKT0_S9_ifPKiSB_SB_iPKfiiiPfSE_PS4_PT2_iSD_SD_,comdat
.Lfunc_end1885:
	.size	_Z39paged_attention_ll4mi_QKV_mfma16_kernelI14__hip_bfloat16hLN4vllm18Fp8KVCacheDataTypeE1EhLi32ELi128ELi256ELb0ELi16EL8MFMAType0EEvPKT_PKT0_S9_ifPKiSB_SB_iPKfiiiPfSE_PS4_PT2_iSD_SD_, .Lfunc_end1885-_Z39paged_attention_ll4mi_QKV_mfma16_kernelI14__hip_bfloat16hLN4vllm18Fp8KVCacheDataTypeE1EhLi32ELi128ELi256ELb0ELi16EL8MFMAType0EEvPKT_PKT0_S9_ifPKiSB_SB_iPKfiiiPfSE_PS4_PT2_iSD_SD_
                                        ; -- End function
	.section	.AMDGPU.csdata,"",@progbits
; Kernel info:
; codeLenInByte = 9048
; NumSgprs: 38
; NumVgprs: 141
; ScratchSize: 0
; MemoryBound: 0
; FloatMode: 240
; IeeeMode: 1
; LDSByteSize: 17472 bytes/workgroup (compile time only)
; SGPRBlocks: 4
; VGPRBlocks: 17
; NumSGPRsForWavesPerEU: 38
; NumVGPRsForWavesPerEU: 141
; Occupancy: 10
; WaveLimiterHint : 1
; COMPUTE_PGM_RSRC2:SCRATCH_EN: 0
; COMPUTE_PGM_RSRC2:USER_SGPR: 13
; COMPUTE_PGM_RSRC2:TRAP_HANDLER: 0
; COMPUTE_PGM_RSRC2:TGID_X_EN: 1
; COMPUTE_PGM_RSRC2:TGID_Y_EN: 1
; COMPUTE_PGM_RSRC2:TGID_Z_EN: 1
; COMPUTE_PGM_RSRC2:TIDIG_COMP_CNT: 0
	.section	.text._Z39paged_attention_ll4mi_QKV_mfma16_kernelI14__hip_bfloat16hLN4vllm18Fp8KVCacheDataTypeE1EhLi32ELi128ELi256ELb0ELi1EL8MFMAType0EEvPKT_PKT0_S9_ifPKiSB_SB_iPKfiiiPfSE_PS4_PT2_iSD_SD_,"axG",@progbits,_Z39paged_attention_ll4mi_QKV_mfma16_kernelI14__hip_bfloat16hLN4vllm18Fp8KVCacheDataTypeE1EhLi32ELi128ELi256ELb0ELi1EL8MFMAType0EEvPKT_PKT0_S9_ifPKiSB_SB_iPKfiiiPfSE_PS4_PT2_iSD_SD_,comdat
	.protected	_Z39paged_attention_ll4mi_QKV_mfma16_kernelI14__hip_bfloat16hLN4vllm18Fp8KVCacheDataTypeE1EhLi32ELi128ELi256ELb0ELi1EL8MFMAType0EEvPKT_PKT0_S9_ifPKiSB_SB_iPKfiiiPfSE_PS4_PT2_iSD_SD_ ; -- Begin function _Z39paged_attention_ll4mi_QKV_mfma16_kernelI14__hip_bfloat16hLN4vllm18Fp8KVCacheDataTypeE1EhLi32ELi128ELi256ELb0ELi1EL8MFMAType0EEvPKT_PKT0_S9_ifPKiSB_SB_iPKfiiiPfSE_PS4_PT2_iSD_SD_
	.globl	_Z39paged_attention_ll4mi_QKV_mfma16_kernelI14__hip_bfloat16hLN4vllm18Fp8KVCacheDataTypeE1EhLi32ELi128ELi256ELb0ELi1EL8MFMAType0EEvPKT_PKT0_S9_ifPKiSB_SB_iPKfiiiPfSE_PS4_PT2_iSD_SD_
	.p2align	8
	.type	_Z39paged_attention_ll4mi_QKV_mfma16_kernelI14__hip_bfloat16hLN4vllm18Fp8KVCacheDataTypeE1EhLi32ELi128ELi256ELb0ELi1EL8MFMAType0EEvPKT_PKT0_S9_ifPKiSB_SB_iPKfiiiPfSE_PS4_PT2_iSD_SD_,@function
_Z39paged_attention_ll4mi_QKV_mfma16_kernelI14__hip_bfloat16hLN4vllm18Fp8KVCacheDataTypeE1EhLi32ELi128ELi256ELb0ELi1EL8MFMAType0EEvPKT_PKT0_S9_ifPKiSB_SB_iPKfiiiPfSE_PS4_PT2_iSD_SD_: ; @_Z39paged_attention_ll4mi_QKV_mfma16_kernelI14__hip_bfloat16hLN4vllm18Fp8KVCacheDataTypeE1EhLi32ELi128ELi256ELb0ELi1EL8MFMAType0EEvPKT_PKT0_S9_ifPKiSB_SB_iPKfiiiPfSE_PS4_PT2_iSD_SD_
; %bb.0:
	s_load_b64 s[4:5], s[0:1], 0x30
	s_mov_b32 s34, s13
	s_waitcnt lgkmcnt(0)
	s_cmp_lg_u64 s[4:5], 0
	s_cselect_b32 s6, -1, 0
	s_ashr_i32 s35, s13, 31
	s_cmp_eq_u64 s[4:5], 0
	s_cbranch_scc1 .LBB1886_3
; %bb.1:
	s_lshl_b64 s[2:3], s[34:35], 2
	s_delay_alu instid0(SALU_CYCLE_1) | instskip(SKIP_4) | instid1(SALU_CYCLE_1)
	s_add_u32 s2, s4, s2
	s_addc_u32 s3, s5, s3
	s_load_b64 s[2:3], s[2:3], 0x0
	s_waitcnt lgkmcnt(0)
	s_sub_i32 s2, s3, s2
	s_cmp_eq_u32 s2, 1
	s_cselect_b32 s2, -1, 0
	s_delay_alu instid0(SALU_CYCLE_1)
	s_and_not1_b32 vcc_lo, exec_lo, s2
	s_cbranch_vccz .LBB1886_4
.LBB1886_2:
	s_endpgm
.LBB1886_3:
.LBB1886_4:
	s_load_b64 s[2:3], s[0:1], 0x28
	s_lshl_b64 s[8:9], s[34:35], 2
	s_waitcnt lgkmcnt(0)
	s_add_u32 s2, s2, s8
	s_addc_u32 s3, s3, s9
	s_lshl_b32 s12, s14, 8
	s_load_b32 s33, s[2:3], 0x0
	s_waitcnt lgkmcnt(0)
	s_cmp_ge_i32 s12, s33
	s_cbranch_scc1 .LBB1886_2
; %bb.5:
	s_clause 0x1
	s_load_b128 s[56:59], s[0:1], 0x8
	s_load_b64 s[2:3], s[0:1], 0x20
	s_and_not1_b32 vcc_lo, exec_lo, s6
	s_mov_b64 s[6:7], s[34:35]
	s_cbranch_vccnz .LBB1886_7
; %bb.6:
	s_add_u32 s4, s4, s8
	s_addc_u32 s5, s5, s9
	s_load_b32 s6, s[4:5], 0x0
.LBB1886_7:
	s_load_b128 s[52:55], s[0:1], 0x48
	v_and_b32_e32 v65, 15, v0
	s_mov_b32 s13, exec_lo
                                        ; implicit-def: $sgpr36
                                        ; implicit-def: $sgpr24
                                        ; implicit-def: $sgpr16
                                        ; implicit-def: $sgpr4
	s_delay_alu instid0(VALU_DEP_1)
	v_cmpx_eq_u32_e32 0, v65
	s_cbranch_execz .LBB1886_9
; %bb.8:
	s_load_b64 s[4:5], s[0:1], 0x0
	s_waitcnt lgkmcnt(0)
	s_mul_hi_i32 s7, s6, s52
	s_mul_i32 s6, s6, s52
	s_delay_alu instid0(SALU_CYCLE_1) | instskip(NEXT) | instid1(SALU_CYCLE_1)
	s_lshl_b64 s[6:7], s[6:7], 1
	s_add_u32 s6, s4, s6
	s_addc_u32 s7, s5, s7
	s_lshl_b32 s4, s15, 7
	s_delay_alu instid0(SALU_CYCLE_1) | instskip(NEXT) | instid1(SALU_CYCLE_1)
	s_ashr_i32 s5, s4, 31
	s_lshl_b64 s[4:5], s[4:5], 1
	s_delay_alu instid0(SALU_CYCLE_1)
	s_add_u32 s4, s6, s4
	s_addc_u32 s5, s7, s5
	s_clause 0x3
	s_load_b256 s[36:43], s[4:5], 0x0
	s_load_b256 s[24:31], s[4:5], 0x40
	;; [unrolled: 1-line block ×4, first 2 shown]
.LBB1886_9:
	s_or_b32 exec_lo, exec_lo, s13
	v_and_b32_e32 v1, 0xef, v0
	s_add_i32 s13, s33, 31
	s_load_b32 s44, s[0:1], 0x38
	s_ashr_i32 s35, s13, 31
	s_waitcnt lgkmcnt(0)
	s_mul_i32 s62, s15, s54
	v_add_nc_u32_e32 v1, s12, v1
	s_lshr_b32 s35, s35, 27
	v_lshlrev_b32_e32 v73, 4, v65
	s_add_i32 s13, s13, s35
	s_load_b32 s35, s[0:1], 0x1c
	v_ashrrev_i32_e32 v2, 31, v1
	v_or_b32_e32 v3, 16, v1
	s_ashr_i32 s13, s13, 5
	v_cmp_gt_i32_e32 vcc_lo, s33, v1
	s_add_i32 s13, s13, -1
	v_lshrrev_b32_e32 v2, 27, v2
	v_dual_mov_b32 v113, s31 :: v_dual_mov_b32 v108, s26
	v_dual_mov_b32 v111, s29 :: v_dual_mov_b32 v106, s24
	s_delay_alu instid0(VALU_DEP_3) | instskip(SKIP_3) | instid1(VALU_DEP_2)
	v_dual_mov_b32 v109, s27 :: v_dual_add_nc_u32 v4, v1, v2
	s_mul_i32 s44, s34, s44
	v_mov_b32_e32 v107, s25
	s_ashr_i32 s45, s44, 31
	v_ashrrev_i32_e32 v4, 5, v4
	v_add_nc_u32_e32 v2, v3, v2
	s_lshl_b64 s[44:45], s[44:45], 2
	v_dual_mov_b32 v121, s23 :: v_dual_mov_b32 v114, s16
	s_delay_alu instid0(VALU_DEP_3) | instskip(NEXT) | instid1(VALU_DEP_3)
	v_cndmask_b32_e32 v1, s13, v4, vcc_lo
	v_ashrrev_i32_e32 v2, 5, v2
	v_cmp_gt_i32_e32 vcc_lo, s33, v3
	s_add_u32 s61, s2, s44
	s_addc_u32 s60, s3, s45
	s_ashr_i32 s63, s62, 31
	s_add_u32 s44, s56, s62
	v_cndmask_b32_e32 v3, s13, v2, vcc_lo
	v_ashrrev_i32_e32 v2, 31, v1
	s_addc_u32 s45, s57, s63
	s_lshl_b32 s2, s14, 3
	v_dual_mov_b32 v116, s18 :: v_dual_lshlrev_b32 v33, 5, v65
	v_ashrrev_i32_e32 v4, 31, v3
	v_lshlrev_b64 v[1:2], 2, v[1:2]
	s_ashr_i32 s3, s2, 31
	v_mov_b32_e32 v120, s22
	s_lshl_b64 s[2:3], s[2:3], 2
	v_lshlrev_b64 v[3:4], 2, v[3:4]
	s_add_u32 s2, s61, s2
	v_add_co_u32 v1, vcc_lo, s61, v1
	v_add_co_ci_u32_e32 v2, vcc_lo, s60, v2, vcc_lo
	s_delay_alu instid0(VALU_DEP_3) | instskip(NEXT) | instid1(VALU_DEP_4)
	v_add_co_u32 v3, vcc_lo, s61, v3
	v_add_co_ci_u32_e32 v4, vcc_lo, s60, v4, vcc_lo
	s_clause 0x1
	global_load_b32 v5, v[1:2], off
	global_load_b32 v6, v[3:4], off
	s_addc_u32 s3, s60, s3
	s_or_b32 s46, s12, 32
	v_mov_b32_e32 v118, s20
	s_ashr_i32 s47, s46, 5
	s_cmp_lt_i32 s46, s33
	v_lshrrev_b32_e32 v66, 5, v0
	s_cselect_b32 s46, s47, s13
	v_mov_b32_e32 v112, s30
	s_ashr_i32 s47, s46, 31
	v_mov_b32_e32 v110, s28
	s_lshl_b64 s[46:47], s[46:47], 2
	v_lshl_or_b32 v33, v66, 9, v33
	s_add_u32 s46, s61, s46
	s_addc_u32 s47, s60, s47
	s_or_b32 s48, s12, 64
	s_delay_alu instid0(SALU_CYCLE_1) | instskip(SKIP_2) | instid1(SALU_CYCLE_1)
	s_ashr_i32 s49, s48, 5
	s_cmp_lt_i32 s48, s33
	s_cselect_b32 s48, s49, s13
	s_ashr_i32 s49, s48, 31
	s_delay_alu instid0(SALU_CYCLE_1) | instskip(NEXT) | instid1(SALU_CYCLE_1)
	s_lshl_b64 s[48:49], s[48:49], 2
	s_add_u32 s48, s61, s48
	s_addc_u32 s49, s60, s49
	s_or_b32 s50, s12, 0x60
	s_delay_alu instid0(SALU_CYCLE_1) | instskip(SKIP_2) | instid1(SALU_CYCLE_1)
	s_ashr_i32 s51, s50, 5
	s_cmp_lt_i32 s50, s33
	s_cselect_b32 s50, s51, s13
	s_ashr_i32 s51, s50, 31
	s_delay_alu instid0(SALU_CYCLE_1) | instskip(NEXT) | instid1(SALU_CYCLE_1)
	s_lshl_b64 s[50:51], s[50:51], 2
	;; [unrolled: 10-line block ×4, first 2 shown]
	s_add_u32 s66, s61, s54
	s_addc_u32 s67, s60, s55
	s_clause 0x5
	s_load_b32 s56, s[2:3], 0x0
	s_load_b32 s3, s[46:47], 0x0
	;; [unrolled: 1-line block ×6, first 2 shown]
	s_or_b32 s24, s12, 0xc0
	s_delay_alu instid0(SALU_CYCLE_1)
	s_ashr_i32 s25, s24, 5
	s_cmp_lt_i32 s24, s33
	s_waitcnt vmcnt(1)
	v_mad_i64_i32 v[1:2], null, v5, s53, s[44:45]
	s_waitcnt vmcnt(0)
	v_mad_i64_i32 v[3:4], null, v6, s53, s[44:45]
	s_mov_b32 s44, 0
	s_delay_alu instid0(SALU_CYCLE_1) | instskip(SKIP_1) | instid1(VALU_DEP_2)
	s_mov_b32 s45, s44
	s_mov_b32 s46, s44
	v_add_co_u32 v25, vcc_lo, v1, v73
	s_delay_alu instid0(VALU_DEP_3) | instskip(NEXT) | instid1(VALU_DEP_3)
	v_add_co_ci_u32_e32 v26, vcc_lo, 0, v2, vcc_lo
	v_add_co_u32 v27, vcc_lo, v3, v73
	s_delay_alu instid0(VALU_DEP_4)
	v_add_co_ci_u32_e32 v28, vcc_lo, 0, v4, vcc_lo
	s_clause 0xf
	global_load_b128 v[1:4], v[25:26], off
	global_load_b128 v[5:8], v[25:26], off offset:512
	global_load_b128 v[9:12], v[27:28], off offset:256
	;; [unrolled: 1-line block ×15, first 2 shown]
	v_mov_b32_e32 v25, s36
	v_mov_b32_e32 v29, s40
	;; [unrolled: 1-line block ×3, first 2 shown]
	s_mov_b32 s47, s44
	s_mov_b32 s48, s44
	s_mov_b32 s49, s44
	s_mov_b32 s50, s44
	s_mov_b32 s51, s44
	v_mov_b32_e32 v119, s21
	v_mov_b32_e32 v117, s19
	;; [unrolled: 1-line block ×3, first 2 shown]
	s_cselect_b32 s16, s25, s13
	v_dual_mov_b32 v129, s51 :: v_dual_mov_b32 v122, s44
	s_ashr_i32 s17, s16, 31
	v_mov_b32_e32 v26, s37
	s_lshl_b64 s[16:17], s[16:17], 2
	v_dual_mov_b32 v27, s38 :: v_dual_mov_b32 v32, s43
	s_add_u32 s16, s61, s16
	s_addc_u32 s17, s60, s17
	s_or_b32 s18, s12, 0xe0
	v_mov_b32_e32 v28, s39
	s_ashr_i32 s19, s18, 5
	s_cmp_lt_i32 s18, s33
	v_mov_b32_e32 v30, s41
	s_cselect_b32 s18, s19, s13
	v_mov_b32_e32 v128, s50
	s_ashr_i32 s19, s18, 31
	v_mov_b32_e32 v127, s49
	s_lshl_b64 s[18:19], s[18:19], 2
	v_mov_b32_e32 v126, s48
	s_add_u32 s18, s61, s18
	s_addc_u32 s19, s60, s19
	s_add_u32 s13, s58, s62
	s_addc_u32 s20, s59, s63
	v_add_co_u32 v67, s13, s13, v33
	s_delay_alu instid0(VALU_DEP_1)
	v_add_co_ci_u32_e64 v68, null, s20, 0, s13
	s_clause 0x1
	s_load_b32 s13, s[16:17], 0x0
	s_load_b32 s16, s[18:19], 0x0
	v_dual_mov_b32 v125, s47 :: v_dual_mov_b32 v124, s46
	v_mov_b32_e32 v123, s45
	s_waitcnt lgkmcnt(0)
	v_mad_i64_i32 v[33:34], null, s56, s53, v[67:68]
	v_mad_i64_i32 v[69:70], null, s54, s53, v[67:68]
	;; [unrolled: 1-line block ×5, first 2 shown]
	s_clause 0x5
	global_load_b128 v[49:52], v[33:34], off
	global_load_b128 v[53:56], v[33:34], off offset:16
	global_load_b128 v[41:44], v[35:36], off
	global_load_b128 v[45:48], v[35:36], off offset:16
	;; [unrolled: 2-line block ×3, first 2 shown]
	s_waitcnt vmcnt(20)
	v_wmma_f32_16x16x16_bf16 v[130:137], v[1:8], v[25:32], v[122:129]
	s_waitcnt vmcnt(18)
	v_wmma_f32_16x16x16_bf16 v[122:129], v[9:16], v[25:32], v[122:129]
	v_mad_i64_i32 v[13:14], null, s2, s53, v[67:68]
	s_waitcnt vmcnt(16)
	v_wmma_f32_16x16x16_bf16 v[130:137], v[17:24], v[106:113], v[130:137]
	v_mad_i64_i32 v[21:22], null, s13, s53, v[67:68]
	s_clause 0x1
	global_load_b128 v[25:28], v[69:70], off
	global_load_b128 v[29:32], v[69:70], off offset:16
	v_mad_i64_i32 v[69:70], null, s16, s53, v[67:68]
	s_waitcnt vmcnt(16)
	v_wmma_f32_16x16x16_bf16 v[122:129], v[57:64], v[106:113], v[122:129]
	s_clause 0x7
	global_load_b128 v[1:4], v[71:72], off
	global_load_b128 v[5:8], v[71:72], off offset:16
	global_load_b128 v[9:12], v[13:14], off
	global_load_b128 v[13:16], v[13:14], off offset:16
	;; [unrolled: 2-line block ×4, first 2 shown]
	v_mbcnt_lo_u32_b32 v68, -1, 0
	v_and_b32_e32 v67, 0xe0, v0
	s_waitcnt vmcnt(22)
	v_wmma_f32_16x16x16_bf16 v[130:137], v[74:81], v[114:121], v[130:137]
	s_waitcnt vmcnt(20)
	v_wmma_f32_16x16x16_bf16 v[122:129], v[82:89], v[114:121], v[122:129]
	v_mov_b32_e32 v82, s11
	v_mov_b32_e32 v76, s5
	v_xor_b32_e32 v69, 16, v68
	v_bfe_u32 v74, v0, 4, 1
	v_dual_mov_b32 v81, s10 :: v_dual_mov_b32 v80, s9
	v_mov_b32_e32 v79, s8
	s_delay_alu instid0(VALU_DEP_4) | instskip(SKIP_3) | instid1(VALU_DEP_3)
	v_cmp_gt_i32_e32 vcc_lo, 32, v69
	v_dual_mov_b32 v78, s7 :: v_dual_add_nc_u32 v67, s12, v67
	v_mov_b32_e32 v77, s6
	v_dual_mov_b32 v75, s4 :: v_dual_cndmask_b32 v68, v68, v69
	v_or_b32_e32 v67, v67, v74
	s_waitcnt vmcnt(0)
	s_barrier
	s_delay_alu instid0(VALU_DEP_2)
	v_wmma_f32_16x16x16_bf16 v[130:137], v[90:97], v[75:82], v[130:137]
	buffer_gl0_inv
	v_or_b32_e32 v69, 2, v67
	v_or_b32_e32 v70, 4, v67
	;; [unrolled: 1-line block ×3, first 2 shown]
	v_mul_f32_e32 v92, s35, v131
	v_wmma_f32_16x16x16_bf16 v[122:129], v[98:105], v[75:82], v[122:129]
	v_mul_f32_e32 v93, s35, v130
	v_cmp_gt_i32_e32 vcc_lo, s33, v69
	v_cmp_gt_i32_e64 s2, s33, v67
	v_or_b32_e32 v72, 8, v67
	v_mul_f32_e32 v98, s35, v125
	v_or_b32_e32 v83, 10, v67
	v_dual_mul_f32 v81, s35, v133 :: v_dual_mul_f32 v82, s35, v132
	v_cndmask_b32_e64 v93, 0xff7fffff, v93, s2
	v_cndmask_b32_e32 v92, 0xff7fffff, v92, vcc_lo
	v_cmp_gt_i32_e64 s3, s33, v70
	v_cmp_gt_i32_e64 s4, s33, v71
	v_or_b32_e32 v84, 12, v67
	v_or_b32_e32 v85, 14, v67
	v_dual_mul_f32 v79, s35, v135 :: v_dual_mul_f32 v94, s35, v129
	v_mul_f32_e32 v80, s35, v134
	v_cndmask_b32_e64 v70, 0xff7fffff, v82, s3
	v_cndmask_b32_e64 v71, 0xff7fffff, v81, s4
	v_max3_f32 v81, v93, 0xff7fffff, v92
	v_cmp_gt_i32_e64 s5, s33, v72
	v_cmp_gt_i32_e64 s6, s33, v83
	v_or_b32_e32 v86, 16, v67
	v_or_b32_e32 v87, 18, v67
	v_dual_mul_f32 v77, s35, v137 :: v_dual_mul_f32 v96, s35, v127
	v_mul_f32_e32 v78, s35, v136
	v_cndmask_b32_e64 v72, 0xff7fffff, v80, s5
	v_cndmask_b32_e64 v79, 0xff7fffff, v79, s6
	v_max3_f32 v70, v81, v70, v71
	v_cmp_gt_i32_e64 s7, s33, v84
	v_cmp_gt_i32_e64 s8, s33, v85
	v_or_b32_e32 v88, 20, v67
	v_or_b32_e32 v89, 22, v67
	v_or_b32_e32 v90, 24, v67
	v_or_b32_e32 v91, 26, v67
	v_or_b32_e32 v75, 28, v67
	v_or_b32_e32 v76, 30, v67
	v_mul_f32_e32 v69, s35, v123
	v_mul_f32_e32 v67, s35, v122
	v_cndmask_b32_e64 v71, 0xff7fffff, v78, s7
	v_cndmask_b32_e64 v77, 0xff7fffff, v77, s8
	v_max3_f32 v70, v70, v72, v79
	v_cmp_gt_i32_e64 s9, s33, v86
	v_cmp_gt_i32_e64 s10, s33, v87
	v_mul_f32_e32 v99, s35, v124
	v_cmp_gt_i32_e64 s11, s33, v88
	v_max3_f32 v70, v70, v71, v77
	v_cndmask_b32_e64 v67, 0xff7fffff, v67, s9
	v_cndmask_b32_e64 v69, 0xff7fffff, v69, s10
	v_cmp_gt_i32_e64 s12, s33, v89
	v_mul_f32_e32 v97, s35, v126
	v_cndmask_b32_e64 v71, 0xff7fffff, v99, s11
	v_cmp_gt_i32_e64 s13, s33, v90
	v_max3_f32 v67, v70, v67, v69
	v_cndmask_b32_e64 v72, 0xff7fffff, v98, s12
	v_cmp_gt_i32_e64 s16, s33, v91
	v_mul_f32_e32 v95, s35, v128
	v_cndmask_b32_e64 v69, 0xff7fffff, v97, s13
	v_cmp_gt_i32_e64 s17, s33, v75
	v_max3_f32 v67, v67, v71, v72
	v_cndmask_b32_e64 v70, 0xff7fffff, v96, s16
	v_cmp_gt_i32_e64 s18, s33, v76
	v_lshlrev_b32_e32 v81, 2, v68
	v_cndmask_b32_e64 v71, 0xff7fffff, v95, s17
	s_delay_alu instid0(VALU_DEP_4) | instskip(NEXT) | instid1(VALU_DEP_4)
	v_max3_f32 v67, v67, v69, v70
	v_cndmask_b32_e64 v72, 0xff7fffff, v94, s18
	s_delay_alu instid0(VALU_DEP_1) | instskip(SKIP_3) | instid1(VALU_DEP_1)
	v_max3_f32 v67, v67, v71, v72
	ds_bpermute_b32 v68, v81, v67
	s_waitcnt lgkmcnt(0)
	v_max_f32_e32 v68, v68, v68
	v_max_f32_e32 v67, v67, v68
	s_delay_alu instid0(VALU_DEP_1) | instskip(SKIP_4) | instid1(VALU_DEP_4)
	v_fma_f32 v68, s35, v130, -v67
	v_fma_f32 v69, s35, v131, -v67
	;; [unrolled: 1-line block ×5, first 2 shown]
	v_dual_mul_f32 v68, 0x3fb8aa3b, v68 :: v_dual_mul_f32 v69, 0x3fb8aa3b, v69
	s_delay_alu instid0(VALU_DEP_3) | instskip(NEXT) | instid1(VALU_DEP_3)
	v_dual_mul_f32 v70, 0x3fb8aa3b, v70 :: v_dual_mul_f32 v71, 0x3fb8aa3b, v71
	v_mul_f32_e32 v72, 0x3fb8aa3b, v72
	s_delay_alu instid0(VALU_DEP_3) | instskip(NEXT) | instid1(VALU_DEP_3)
	v_exp_f32_e32 v68, v68
	v_exp_f32_e32 v69, v69
	s_delay_alu instid0(VALU_DEP_2)
	v_exp_f32_e32 v70, v70
	v_exp_f32_e32 v71, v71
	;; [unrolled: 1-line block ×3, first 2 shown]
	v_cndmask_b32_e64 v79, 0, v68, s2
	v_fma_f32 v68, s35, v135, -v67
	v_cndmask_b32_e32 v75, 0, v69, vcc_lo
	s_delay_alu instid0(TRANS32_DEP_3)
	v_cndmask_b32_e64 v82, 0, v70, s3
	s_waitcnt_depctr 0xfff
	v_cndmask_b32_e64 v84, 0, v71, s4
	v_dual_add_f32 v69, 0, v79 :: v_dual_mul_f32 v68, 0x3fb8aa3b, v68
	v_cndmask_b32_e64 v85, 0, v72, s5
	s_mov_b32 s3, exec_lo
	s_delay_alu instid0(VALU_DEP_2) | instskip(NEXT) | instid1(VALU_DEP_3)
	v_add_f32_e32 v69, v69, v75
	v_exp_f32_e32 v68, v68
	s_delay_alu instid0(VALU_DEP_1) | instskip(NEXT) | instid1(VALU_DEP_1)
	v_add_f32_e32 v69, v69, v82
	v_add_f32_e32 v69, v69, v84
	s_waitcnt_depctr 0xfff
	v_cndmask_b32_e64 v86, 0, v68, s6
	v_add_f32_e32 v68, v69, v85
	s_delay_alu instid0(VALU_DEP_1)
	v_add_f32_e32 v68, v68, v86
	v_fma_f32 v72, s35, v123, -v67
	v_fma_f32 v76, s35, v136, -v67
	;; [unrolled: 1-line block ×5, first 2 shown]
	v_mul_f32_e32 v72, 0x3fb8aa3b, v72
	v_mul_f32_e32 v76, 0x3fb8aa3b, v76
	s_delay_alu instid0(VALU_DEP_4) | instskip(SKIP_1) | instid1(VALU_DEP_4)
	v_dual_mul_f32 v70, 0x3fb8aa3b, v70 :: v_dual_mul_f32 v69, 0x3fb8aa3b, v69
	v_fma_f32 v77, s35, v126, -v67
	v_exp_f32_e32 v72, v72
	s_delay_alu instid0(VALU_DEP_3) | instskip(NEXT) | instid1(VALU_DEP_2)
	v_exp_f32_e32 v76, v76
	v_exp_f32_e32 v70, v70
	;; [unrolled: 1-line block ×3, first 2 shown]
	v_fma_f32 v88, s35, v129, -v67
	s_delay_alu instid0(VALU_DEP_1) | instskip(SKIP_2) | instid1(TRANS32_DEP_3)
	v_mul_f32_e32 v88, 0x3fb8aa3b, v88
	v_cndmask_b32_e64 v69, 0, v72, s10
	v_mul_f32_e32 v71, 0x3fb8aa3b, v71
	v_cndmask_b32_e64 v83, 0, v76, s7
	s_delay_alu instid0(TRANS32_DEP_2) | instskip(SKIP_4) | instid1(VALU_DEP_3)
	v_cndmask_b32_e64 v87, 0, v70, s8
	v_fma_f32 v76, s35, v125, -v67
	v_fma_f32 v72, s35, v128, -v67
	v_exp_f32_e32 v71, v71
	v_add_f32_e32 v68, v68, v83
	v_mul_f32_e32 v76, 0x3fb8aa3b, v76
	s_delay_alu instid0(VALU_DEP_2) | instskip(NEXT) | instid1(VALU_DEP_2)
	v_add_f32_e32 v68, v68, v87
	v_exp_f32_e32 v76, v76
	s_waitcnt_depctr 0xfff
	v_cndmask_b32_e64 v70, 0, v71, s9
	v_fma_f32 v71, s35, v127, -v67
	s_delay_alu instid0(VALU_DEP_2) | instskip(NEXT) | instid1(VALU_DEP_2)
	v_add_f32_e32 v68, v68, v70
	v_mul_f32_e32 v80, 0x3fb8aa3b, v71
	v_cndmask_b32_e64 v71, 0, v78, s11
	v_mul_f32_e32 v78, 0x3fb8aa3b, v72
	v_cndmask_b32_e64 v72, 0, v76, s12
	v_add_f32_e32 v68, v68, v69
	v_mul_f32_e32 v77, 0x3fb8aa3b, v77
	v_exp_f32_e32 v80, v80
	v_exp_f32_e32 v78, v78
	s_delay_alu instid0(VALU_DEP_2) | instskip(NEXT) | instid1(VALU_DEP_2)
	v_add_f32_e32 v68, v68, v71
	v_exp_f32_e32 v77, v77
	s_delay_alu instid0(VALU_DEP_1)
	v_add_f32_e32 v68, v68, v72
	s_waitcnt_depctr 0xfff
	v_cndmask_b32_e64 v78, 0, v78, s17
	v_cndmask_b32_e64 v76, 0, v77, s13
	;; [unrolled: 1-line block ×3, first 2 shown]
	v_exp_f32_e32 v80, v88
	v_and_b32_e32 v88, 31, v0
	s_delay_alu instid0(VALU_DEP_3) | instskip(NEXT) | instid1(VALU_DEP_2)
	v_add_f32_e32 v68, v68, v76
	v_cmp_lt_u32_e64 s2, 15, v88
	s_delay_alu instid0(VALU_DEP_2) | instskip(SKIP_3) | instid1(VALU_DEP_1)
	v_add_f32_e32 v68, v68, v77
	s_waitcnt_depctr 0xfff
	v_cndmask_b32_e64 v80, 0, v80, s18
	v_add_f32_e32 v68, v68, v78
	v_add_f32_e32 v68, v68, v80
	ds_bpermute_b32 v81, v81, v68
	v_cmpx_gt_u32_e32 16, v88
	s_cbranch_execz .LBB1886_11
; %bb.10:
	v_mul_u32_u24_e32 v88, 0x44, v66
	s_delay_alu instid0(VALU_DEP_1) | instskip(SKIP_1) | instid1(VALU_DEP_1)
	v_lshl_add_u32 v88, v65, 2, v88
	s_waitcnt lgkmcnt(0)
	v_dual_add_f32 v68, v68, v81 :: v_dual_add_nc_u32 v81, 0x4000, v88
	ds_store_2addr_b32 v81, v67, v68 offset1:136
.LBB1886_11:
	s_or_b32 exec_lo, exec_lo, s3
	v_lshlrev_b32_e32 v67, 2, v65
	s_waitcnt lgkmcnt(0)
	s_barrier
	buffer_gl0_inv
	v_cmp_eq_u32_e32 vcc_lo, 1, v66
	v_add_nc_u32_e32 v81, 0x4000, v67
	v_cmp_eq_u32_e64 s3, 2, v66
	v_cmp_eq_u32_e64 s5, 7, v66
	ds_load_2addr_b32 v[88:89], v81 offset1:17
	ds_load_2addr_b32 v[90:91], v81 offset0:34 offset1:51
	ds_load_2addr_b32 v[92:93], v81 offset0:68 offset1:85
	;; [unrolled: 1-line block ×4, first 2 shown]
	s_waitcnt lgkmcnt(4)
	v_max3_f32 v67, v88, 0xff7fffff, v89
	s_waitcnt lgkmcnt(3)
	s_delay_alu instid0(VALU_DEP_1) | instskip(SKIP_1) | instid1(VALU_DEP_1)
	v_max3_f32 v67, v67, v90, v91
	s_waitcnt lgkmcnt(2)
	v_max3_f32 v67, v67, v92, v93
	s_waitcnt lgkmcnt(1)
	s_delay_alu instid0(VALU_DEP_1) | instskip(NEXT) | instid1(VALU_DEP_1)
	v_max3_f32 v67, v67, v94, v95
	v_sub_f32_e32 v68, v88, v67
	v_sub_f32_e32 v90, v90, v67
	;; [unrolled: 1-line block ×3, first 2 shown]
	s_delay_alu instid0(VALU_DEP_3) | instskip(NEXT) | instid1(VALU_DEP_3)
	v_mul_f32_e32 v68, 0x3fb8aa3b, v68
	v_mul_f32_e32 v100, 0x3fb8aa3b, v90
	s_delay_alu instid0(VALU_DEP_3) | instskip(NEXT) | instid1(VALU_DEP_3)
	v_mul_f32_e32 v102, 0x3fb8aa3b, v92
	v_exp_f32_e32 v99, v68
	v_sub_f32_e32 v68, v91, v67
	v_sub_f32_e32 v98, v89, v67
	v_exp_f32_e32 v100, v100
	s_delay_alu instid0(VALU_DEP_1)
	v_dual_mul_f32 v101, 0x3fb8aa3b, v68 :: v_dual_mul_f32 v98, 0x3fb8aa3b, v98
	s_waitcnt lgkmcnt(0)
	s_waitcnt_depctr 0xfff
	v_fma_f32 v68, v99, v96, 0
	v_sub_f32_e32 v96, v93, v67
	v_exp_f32_e32 v98, v98
	v_exp_f32_e32 v101, v101
	s_waitcnt_depctr 0xfff
	v_fmac_f32_e32 v68, v98, v97
	ds_load_2addr_b32 v[88:89], v81 offset0:170 offset1:187
	ds_load_2addr_b32 v[90:91], v81 offset0:204 offset1:221
	ds_load_2addr_b32 v[92:93], v81 offset0:238 offset1:255
	v_dual_sub_f32 v81, v94, v67 :: v_dual_mul_f32 v94, 0x3fb8aa3b, v96
	v_exp_f32_e32 v96, v102
	s_waitcnt lgkmcnt(0)
	s_barrier
	s_delay_alu instid0(VALU_DEP_1)
	v_mul_f32_e32 v81, 0x3fb8aa3b, v81
	v_exp_f32_e32 v94, v94
	buffer_gl0_inv
	v_exp_f32_e32 v81, v81
	v_fmac_f32_e32 v68, v100, v88
	v_sub_f32_e32 v88, v95, v67
	s_delay_alu instid0(VALU_DEP_2) | instskip(NEXT) | instid1(VALU_DEP_2)
	v_fmac_f32_e32 v68, v101, v89
	v_mul_f32_e32 v88, 0x3fb8aa3b, v88
	s_delay_alu instid0(VALU_DEP_2) | instskip(NEXT) | instid1(VALU_DEP_2)
	v_fmac_f32_e32 v68, v96, v90
	v_exp_f32_e32 v88, v88
	s_delay_alu instid0(VALU_DEP_1)
	v_fmac_f32_e32 v68, v94, v91
	s_delay_alu instid0(TRANS32_DEP_2) | instid1(VALU_DEP_1)
	v_fmac_f32_e32 v68, v81, v92
	s_waitcnt_depctr 0xfff
	v_fmac_f32_e32 v68, v88, v93
	s_delay_alu instid0(VALU_DEP_1) | instskip(NEXT) | instid1(VALU_DEP_1)
	v_add_f32_e32 v89, 0x358637bd, v68
	v_div_scale_f32 v90, null, v89, v89, 1.0
	v_div_scale_f32 v93, s4, 1.0, v89, 1.0
	s_delay_alu instid0(VALU_DEP_2) | instskip(SKIP_2) | instid1(VALU_DEP_1)
	v_rcp_f32_e32 v91, v90
	s_waitcnt_depctr 0xfff
	v_fma_f32 v92, -v90, v91, 1.0
	v_dual_fmac_f32 v91, v92, v91 :: v_dual_cndmask_b32 v92, v99, v98
	v_cmp_eq_u32_e32 vcc_lo, 3, v66
	s_delay_alu instid0(VALU_DEP_2) | instskip(NEXT) | instid1(VALU_DEP_3)
	v_mul_f32_e32 v95, v93, v91
	v_cndmask_b32_e64 v92, v92, v100, s3
	v_cmp_eq_u32_e64 s3, 4, v66
	s_delay_alu instid0(VALU_DEP_3) | instskip(NEXT) | instid1(VALU_DEP_3)
	v_fma_f32 v97, -v90, v95, v93
	v_cndmask_b32_e32 v92, v92, v101, vcc_lo
	v_cmp_eq_u32_e32 vcc_lo, 5, v66
	s_delay_alu instid0(VALU_DEP_3) | instskip(NEXT) | instid1(VALU_DEP_3)
	v_fmac_f32_e32 v95, v97, v91
	v_cndmask_b32_e64 v92, v92, v96, s3
	v_cmp_eq_u32_e64 s3, 6, v66
	s_delay_alu instid0(VALU_DEP_3) | instskip(NEXT) | instid1(VALU_DEP_3)
	v_fma_f32 v90, -v90, v95, v93
	v_cndmask_b32_e32 v92, v92, v94, vcc_lo
	s_mov_b32 vcc_lo, s4
	s_delay_alu instid0(VALU_DEP_2) | instskip(NEXT) | instid1(VALU_DEP_2)
	v_div_fmas_f32 v90, v90, v91, v95
	v_cndmask_b32_e64 v81, v92, v81, s3
	s_mov_b32 s3, exec_lo
	s_delay_alu instid0(VALU_DEP_2) | instskip(NEXT) | instid1(VALU_DEP_2)
	v_div_fixup_f32 v89, v90, v89, 1.0
	v_cndmask_b32_e64 v81, v81, v88, s5
	s_delay_alu instid0(VALU_DEP_1) | instskip(NEXT) | instid1(VALU_DEP_1)
	v_mul_f32_e32 v81, v81, v89
	v_mul_f32_e32 v83, v81, v83
	;; [unrolled: 1-line block ×7, first 2 shown]
	v_dual_mul_f32 v85, v81, v82 :: v_dual_and_b32 v90, 0x7f800000, v89
	v_mul_f32_e32 v84, v81, v75
                                        ; implicit-def: $vgpr75
	s_delay_alu instid0(VALU_DEP_2)
	v_cmpx_ne_u32_e32 0x7f800000, v90
	s_xor_b32 s3, exec_lo, s3
; %bb.12:
	v_bfe_u32 v75, v89, 16, 1
	s_delay_alu instid0(VALU_DEP_1)
	v_add3_u32 v75, v89, v75, 0x7fff
                                        ; implicit-def: $vgpr89
; %bb.13:
	s_and_not1_saveexec_b32 s3, s3
; %bb.14:
	v_and_b32_e32 v75, 0xffff, v89
	v_or_b32_e32 v82, 0x10000, v89
	s_delay_alu instid0(VALU_DEP_2) | instskip(NEXT) | instid1(VALU_DEP_2)
	v_cmp_eq_u32_e32 vcc_lo, 0, v75
	v_cndmask_b32_e32 v75, v82, v89, vcc_lo
; %bb.15:
	s_or_b32 exec_lo, exec_lo, s3
	v_and_b32_e32 v82, 0x7f800000, v84
	s_delay_alu instid0(VALU_DEP_1) | instskip(SKIP_1) | instid1(SALU_CYCLE_1)
	v_cmp_ne_u32_e32 vcc_lo, 0x7f800000, v82
                                        ; implicit-def: $vgpr82
	s_and_saveexec_b32 s3, vcc_lo
	s_xor_b32 s3, exec_lo, s3
; %bb.16:
	v_bfe_u32 v82, v84, 16, 1
	s_delay_alu instid0(VALU_DEP_1)
	v_add3_u32 v82, v84, v82, 0x7fff
                                        ; implicit-def: $vgpr84
; %bb.17:
	s_and_not1_saveexec_b32 s3, s3
; %bb.18:
	v_and_b32_e32 v82, 0xffff, v84
	v_or_b32_e32 v89, 0x10000, v84
	s_delay_alu instid0(VALU_DEP_2) | instskip(NEXT) | instid1(VALU_DEP_2)
	v_cmp_eq_u32_e32 vcc_lo, 0, v82
	v_cndmask_b32_e32 v82, v89, v84, vcc_lo
; %bb.19:
	s_or_b32 exec_lo, exec_lo, s3
	v_and_b32_e32 v84, 0x7f800000, v85
	s_delay_alu instid0(VALU_DEP_1) | instskip(SKIP_1) | instid1(SALU_CYCLE_1)
	v_cmp_ne_u32_e32 vcc_lo, 0x7f800000, v84
                                        ; implicit-def: $vgpr84
	s_and_saveexec_b32 s3, vcc_lo
	s_xor_b32 s3, exec_lo, s3
; %bb.20:
	v_bfe_u32 v84, v85, 16, 1
	s_delay_alu instid0(VALU_DEP_1)
	v_add3_u32 v84, v85, v84, 0x7fff
                                        ; implicit-def: $vgpr85
; %bb.21:
	s_and_not1_saveexec_b32 s3, s3
; %bb.22:
	v_and_b32_e32 v84, 0xffff, v85
	v_or_b32_e32 v89, 0x10000, v85
	s_delay_alu instid0(VALU_DEP_2) | instskip(NEXT) | instid1(VALU_DEP_2)
	v_cmp_eq_u32_e32 vcc_lo, 0, v84
	v_cndmask_b32_e32 v84, v89, v85, vcc_lo
; %bb.23:
	s_or_b32 exec_lo, exec_lo, s3
	v_and_b32_e32 v85, 0x7f800000, v88
	s_delay_alu instid0(VALU_DEP_1) | instskip(SKIP_1) | instid1(SALU_CYCLE_1)
	v_cmp_ne_u32_e32 vcc_lo, 0x7f800000, v85
                                        ; implicit-def: $vgpr85
	s_and_saveexec_b32 s3, vcc_lo
	s_xor_b32 s3, exec_lo, s3
; %bb.24:
	v_bfe_u32 v85, v88, 16, 1
	s_delay_alu instid0(VALU_DEP_1)
	v_add3_u32 v85, v88, v85, 0x7fff
                                        ; implicit-def: $vgpr88
; %bb.25:
	s_and_not1_saveexec_b32 s3, s3
; %bb.26:
	v_and_b32_e32 v85, 0xffff, v88
	v_or_b32_e32 v89, 0x10000, v88
	s_delay_alu instid0(VALU_DEP_2) | instskip(NEXT) | instid1(VALU_DEP_2)
	v_cmp_eq_u32_e32 vcc_lo, 0, v85
	v_cndmask_b32_e32 v85, v89, v88, vcc_lo
; %bb.27:
	s_or_b32 exec_lo, exec_lo, s3
	v_and_b32_e32 v88, 0x7f800000, v87
	s_delay_alu instid0(VALU_DEP_1) | instskip(SKIP_1) | instid1(SALU_CYCLE_1)
	v_cmp_ne_u32_e32 vcc_lo, 0x7f800000, v88
                                        ; implicit-def: $vgpr88
	s_and_saveexec_b32 s3, vcc_lo
	s_xor_b32 s3, exec_lo, s3
; %bb.28:
	v_bfe_u32 v88, v87, 16, 1
	s_delay_alu instid0(VALU_DEP_1)
	v_add3_u32 v88, v87, v88, 0x7fff
                                        ; implicit-def: $vgpr87
; %bb.29:
	s_and_not1_saveexec_b32 s3, s3
; %bb.30:
	v_and_b32_e32 v88, 0xffff, v87
	v_or_b32_e32 v89, 0x10000, v87
	s_delay_alu instid0(VALU_DEP_2) | instskip(NEXT) | instid1(VALU_DEP_2)
	v_cmp_eq_u32_e32 vcc_lo, 0, v88
	v_cndmask_b32_e32 v88, v89, v87, vcc_lo
; %bb.31:
	s_or_b32 exec_lo, exec_lo, s3
	v_and_b32_e32 v87, 0x7f800000, v86
	s_delay_alu instid0(VALU_DEP_1) | instskip(SKIP_1) | instid1(SALU_CYCLE_1)
	v_cmp_ne_u32_e32 vcc_lo, 0x7f800000, v87
                                        ; implicit-def: $vgpr87
	s_and_saveexec_b32 s3, vcc_lo
	s_xor_b32 s3, exec_lo, s3
; %bb.32:
	v_bfe_u32 v87, v86, 16, 1
	s_delay_alu instid0(VALU_DEP_1)
	v_add3_u32 v87, v86, v87, 0x7fff
                                        ; implicit-def: $vgpr86
; %bb.33:
	s_and_not1_saveexec_b32 s3, s3
; %bb.34:
	v_and_b32_e32 v87, 0xffff, v86
	v_or_b32_e32 v89, 0x10000, v86
	s_delay_alu instid0(VALU_DEP_2) | instskip(NEXT) | instid1(VALU_DEP_2)
	v_cmp_eq_u32_e32 vcc_lo, 0, v87
	v_cndmask_b32_e32 v87, v89, v86, vcc_lo
; %bb.35:
	s_or_b32 exec_lo, exec_lo, s3
	v_and_b32_e32 v86, 0x7f800000, v83
	s_delay_alu instid0(VALU_DEP_1) | instskip(SKIP_1) | instid1(SALU_CYCLE_1)
	v_cmp_ne_u32_e32 vcc_lo, 0x7f800000, v86
                                        ; implicit-def: $vgpr86
	s_and_saveexec_b32 s3, vcc_lo
	s_xor_b32 s3, exec_lo, s3
; %bb.36:
	v_bfe_u32 v86, v83, 16, 1
	s_delay_alu instid0(VALU_DEP_1)
	v_add3_u32 v86, v83, v86, 0x7fff
                                        ; implicit-def: $vgpr83
; %bb.37:
	s_and_not1_saveexec_b32 s3, s3
; %bb.38:
	v_and_b32_e32 v86, 0xffff, v83
	v_or_b32_e32 v89, 0x10000, v83
	s_delay_alu instid0(VALU_DEP_2) | instskip(NEXT) | instid1(VALU_DEP_2)
	v_cmp_eq_u32_e32 vcc_lo, 0, v86
	v_cndmask_b32_e32 v86, v89, v83, vcc_lo
; %bb.39:
	s_or_b32 exec_lo, exec_lo, s3
	v_and_b32_e32 v83, 0x7f800000, v79
	s_delay_alu instid0(VALU_DEP_1) | instskip(SKIP_1) | instid1(SALU_CYCLE_1)
	v_cmp_ne_u32_e32 vcc_lo, 0x7f800000, v83
                                        ; implicit-def: $vgpr83
	s_and_saveexec_b32 s3, vcc_lo
	s_xor_b32 s3, exec_lo, s3
; %bb.40:
	v_bfe_u32 v83, v79, 16, 1
	s_delay_alu instid0(VALU_DEP_1)
	v_add3_u32 v83, v79, v83, 0x7fff
                                        ; implicit-def: $vgpr79
; %bb.41:
	s_and_not1_saveexec_b32 s3, s3
; %bb.42:
	v_and_b32_e32 v83, 0xffff, v79
	v_or_b32_e32 v89, 0x10000, v79
	s_delay_alu instid0(VALU_DEP_2) | instskip(NEXT) | instid1(VALU_DEP_2)
	v_cmp_eq_u32_e32 vcc_lo, 0, v83
	v_cndmask_b32_e32 v83, v89, v79, vcc_lo
; %bb.43:
	s_or_b32 exec_lo, exec_lo, s3
	s_load_b64 s[36:37], s[0:1], 0x94
	v_lshlrev_b32_e32 v90, 4, v74
	s_delay_alu instid0(VALU_DEP_2)
	v_perm_b32 v89, v83, v86, 0x7060302
	v_lshlrev_b32_e32 v79, 6, v65
	v_dual_mul_f32 v76, v81, v76 :: v_dual_lshlrev_b32 v65, 11, v66
	v_perm_b32 v86, v82, v75, 0x7060302
	v_mul_f32_e32 v82, v81, v70
	v_perm_b32 v88, v87, v88, 0x7060302
	v_perm_b32 v87, v85, v84, 0x7060302
	v_or3_b32 v75, v90, v65, v79
	v_mul_f32_e32 v65, v81, v80
	v_mul_f32_e32 v70, v81, v78
	;; [unrolled: 1-line block ×3, first 2 shown]
	v_dual_mul_f32 v80, v81, v72 :: v_dual_and_b32 v83, 0x7f800000, v82
	v_mul_f32_e32 v78, v81, v71
	v_mul_f32_e32 v72, v81, v69
	s_mov_b32 s3, exec_lo
	ds_store_b128 v75, v[86:89]
                                        ; implicit-def: $vgpr69
	v_cmpx_ne_u32_e32 0x7f800000, v83
	s_xor_b32 s3, exec_lo, s3
; %bb.44:
	v_bfe_u32 v69, v82, 16, 1
	s_delay_alu instid0(VALU_DEP_1)
	v_add3_u32 v69, v82, v69, 0x7fff
                                        ; implicit-def: $vgpr82
; %bb.45:
	s_and_not1_saveexec_b32 s3, s3
; %bb.46:
	v_and_b32_e32 v69, 0xffff, v82
	v_or_b32_e32 v71, 0x10000, v82
	s_delay_alu instid0(VALU_DEP_2) | instskip(NEXT) | instid1(VALU_DEP_2)
	v_cmp_eq_u32_e32 vcc_lo, 0, v69
	v_cndmask_b32_e32 v69, v71, v82, vcc_lo
; %bb.47:
	s_or_b32 exec_lo, exec_lo, s3
	v_and_b32_e32 v71, 0x7f800000, v72
	s_delay_alu instid0(VALU_DEP_1) | instskip(SKIP_1) | instid1(SALU_CYCLE_1)
	v_cmp_ne_u32_e32 vcc_lo, 0x7f800000, v71
                                        ; implicit-def: $vgpr71
	s_and_saveexec_b32 s3, vcc_lo
	s_xor_b32 s3, exec_lo, s3
; %bb.48:
	v_bfe_u32 v71, v72, 16, 1
	s_delay_alu instid0(VALU_DEP_1)
	v_add3_u32 v71, v72, v71, 0x7fff
                                        ; implicit-def: $vgpr72
; %bb.49:
	s_and_not1_saveexec_b32 s3, s3
; %bb.50:
	v_and_b32_e32 v71, 0xffff, v72
	v_or_b32_e32 v81, 0x10000, v72
	s_delay_alu instid0(VALU_DEP_2) | instskip(NEXT) | instid1(VALU_DEP_2)
	v_cmp_eq_u32_e32 vcc_lo, 0, v71
	v_cndmask_b32_e32 v71, v81, v72, vcc_lo
; %bb.51:
	s_or_b32 exec_lo, exec_lo, s3
	v_and_b32_e32 v72, 0x7f800000, v78
	s_delay_alu instid0(VALU_DEP_1) | instskip(SKIP_1) | instid1(SALU_CYCLE_1)
	v_cmp_ne_u32_e32 vcc_lo, 0x7f800000, v72
                                        ; implicit-def: $vgpr72
	s_and_saveexec_b32 s3, vcc_lo
	s_xor_b32 s3, exec_lo, s3
; %bb.52:
	v_bfe_u32 v72, v78, 16, 1
	s_delay_alu instid0(VALU_DEP_1)
	v_add3_u32 v72, v78, v72, 0x7fff
                                        ; implicit-def: $vgpr78
; %bb.53:
	s_and_not1_saveexec_b32 s3, s3
; %bb.54:
	v_and_b32_e32 v72, 0xffff, v78
	v_or_b32_e32 v81, 0x10000, v78
	s_delay_alu instid0(VALU_DEP_2) | instskip(NEXT) | instid1(VALU_DEP_2)
	v_cmp_eq_u32_e32 vcc_lo, 0, v72
	v_cndmask_b32_e32 v72, v81, v78, vcc_lo
; %bb.55:
	s_or_b32 exec_lo, exec_lo, s3
	v_and_b32_e32 v78, 0x7f800000, v80
	s_delay_alu instid0(VALU_DEP_1) | instskip(SKIP_1) | instid1(SALU_CYCLE_1)
	v_cmp_ne_u32_e32 vcc_lo, 0x7f800000, v78
                                        ; implicit-def: $vgpr78
	s_and_saveexec_b32 s3, vcc_lo
	s_xor_b32 s3, exec_lo, s3
; %bb.56:
	v_bfe_u32 v78, v80, 16, 1
	s_delay_alu instid0(VALU_DEP_1)
	v_add3_u32 v78, v80, v78, 0x7fff
                                        ; implicit-def: $vgpr80
; %bb.57:
	s_and_not1_saveexec_b32 s3, s3
; %bb.58:
	v_and_b32_e32 v78, 0xffff, v80
	v_or_b32_e32 v81, 0x10000, v80
	s_delay_alu instid0(VALU_DEP_2) | instskip(NEXT) | instid1(VALU_DEP_2)
	v_cmp_eq_u32_e32 vcc_lo, 0, v78
	v_cndmask_b32_e32 v78, v81, v80, vcc_lo
; %bb.59:
	s_or_b32 exec_lo, exec_lo, s3
	v_and_b32_e32 v80, 0x7f800000, v76
	s_delay_alu instid0(VALU_DEP_1) | instskip(SKIP_1) | instid1(SALU_CYCLE_1)
	v_cmp_ne_u32_e32 vcc_lo, 0x7f800000, v80
                                        ; implicit-def: $vgpr80
	s_and_saveexec_b32 s3, vcc_lo
	s_xor_b32 s3, exec_lo, s3
; %bb.60:
	v_bfe_u32 v80, v76, 16, 1
	s_delay_alu instid0(VALU_DEP_1)
	v_add3_u32 v80, v76, v80, 0x7fff
                                        ; implicit-def: $vgpr76
; %bb.61:
	s_and_not1_saveexec_b32 s3, s3
; %bb.62:
	v_and_b32_e32 v80, 0xffff, v76
	v_or_b32_e32 v81, 0x10000, v76
	s_delay_alu instid0(VALU_DEP_2) | instskip(NEXT) | instid1(VALU_DEP_2)
	v_cmp_eq_u32_e32 vcc_lo, 0, v80
	v_cndmask_b32_e32 v80, v81, v76, vcc_lo
; %bb.63:
	s_or_b32 exec_lo, exec_lo, s3
	v_and_b32_e32 v76, 0x7f800000, v77
	s_delay_alu instid0(VALU_DEP_1) | instskip(SKIP_1) | instid1(SALU_CYCLE_1)
	v_cmp_ne_u32_e32 vcc_lo, 0x7f800000, v76
                                        ; implicit-def: $vgpr76
	s_and_saveexec_b32 s3, vcc_lo
	s_xor_b32 s3, exec_lo, s3
; %bb.64:
	v_bfe_u32 v76, v77, 16, 1
	s_delay_alu instid0(VALU_DEP_1)
	v_add3_u32 v76, v77, v76, 0x7fff
                                        ; implicit-def: $vgpr77
; %bb.65:
	s_and_not1_saveexec_b32 s3, s3
; %bb.66:
	v_and_b32_e32 v76, 0xffff, v77
	v_or_b32_e32 v81, 0x10000, v77
	s_delay_alu instid0(VALU_DEP_2) | instskip(NEXT) | instid1(VALU_DEP_2)
	v_cmp_eq_u32_e32 vcc_lo, 0, v76
	v_cndmask_b32_e32 v76, v81, v77, vcc_lo
; %bb.67:
	s_or_b32 exec_lo, exec_lo, s3
	v_and_b32_e32 v77, 0x7f800000, v70
	s_delay_alu instid0(VALU_DEP_1) | instskip(SKIP_1) | instid1(SALU_CYCLE_1)
	v_cmp_ne_u32_e32 vcc_lo, 0x7f800000, v77
                                        ; implicit-def: $vgpr77
	s_and_saveexec_b32 s3, vcc_lo
	s_xor_b32 s3, exec_lo, s3
; %bb.68:
	v_bfe_u32 v77, v70, 16, 1
	s_delay_alu instid0(VALU_DEP_1)
	v_add3_u32 v77, v70, v77, 0x7fff
                                        ; implicit-def: $vgpr70
; %bb.69:
	s_and_not1_saveexec_b32 s3, s3
; %bb.70:
	v_and_b32_e32 v77, 0xffff, v70
	v_or_b32_e32 v81, 0x10000, v70
	s_delay_alu instid0(VALU_DEP_2) | instskip(NEXT) | instid1(VALU_DEP_2)
	v_cmp_eq_u32_e32 vcc_lo, 0, v77
	v_cndmask_b32_e32 v77, v81, v70, vcc_lo
; %bb.71:
	s_or_b32 exec_lo, exec_lo, s3
	v_and_b32_e32 v70, 0x7f800000, v65
	s_delay_alu instid0(VALU_DEP_1) | instskip(SKIP_1) | instid1(SALU_CYCLE_1)
	v_cmp_ne_u32_e32 vcc_lo, 0x7f800000, v70
                                        ; implicit-def: $vgpr70
	s_and_saveexec_b32 s3, vcc_lo
	s_xor_b32 s3, exec_lo, s3
; %bb.72:
	v_bfe_u32 v70, v65, 16, 1
	s_delay_alu instid0(VALU_DEP_1)
	v_add3_u32 v70, v65, v70, 0x7fff
                                        ; implicit-def: $vgpr65
; %bb.73:
	s_and_not1_saveexec_b32 s3, s3
; %bb.74:
	v_and_b32_e32 v70, 0xffff, v65
	v_or_b32_e32 v81, 0x10000, v65
	s_delay_alu instid0(VALU_DEP_2) | instskip(NEXT) | instid1(VALU_DEP_2)
	v_cmp_eq_u32_e32 vcc_lo, 0, v70
	v_cndmask_b32_e32 v70, v81, v65, vcc_lo
; %bb.75:
	s_or_b32 exec_lo, exec_lo, s3
	s_delay_alu instid0(VALU_DEP_1)
	v_perm_b32 v85, v70, v77, 0x7060302
	v_perm_b32 v84, v76, v80, 0x7060302
	;; [unrolled: 1-line block ×4, first 2 shown]
	v_lshl_or_b32 v81, v66, 11, v79
	ds_store_b128 v75, v[82:85] offset:1024
	s_waitcnt lgkmcnt(0)
	s_barrier
	buffer_gl0_inv
	ds_load_b128 v[69:72], v81
	ds_load_b128 v[82:85], v81 offset:16
	s_waitcnt lgkmcnt(1)
	v_lshrrev_b32_e32 v65, 16, v69
	v_lshlrev_b32_e32 v77, 2, v74
	v_lshrrev_b32_e32 v66, 16, v70
	s_waitcnt lgkmcnt(0)
	v_lshrrev_b32_e32 v90, 16, v82
	v_lshrrev_b32_e32 v94, 16, v71
	;; [unrolled: 1-line block ×3, first 2 shown]
	v_cmp_eq_u32_e32 vcc_lo, 1, v77
	v_lshrrev_b32_e32 v95, 16, v72
	v_lshrrev_b32_e32 v97, 16, v84
	v_lshrrev_b32_e32 v98, 16, v85
	v_cndmask_b32_e32 v80, v69, v65, vcc_lo
	v_or_b32_e32 v78, 1, v77
	v_cmp_eq_u32_e64 s4, 2, v77
	v_cmp_eq_u32_e64 s7, 3, v77
	;; [unrolled: 1-line block ×3, first 2 shown]
	v_or_b32_e32 v76, 2, v77
	v_cmp_eq_u32_e64 s3, 1, v78
	v_cndmask_b32_e64 v80, v80, v70, s4
	v_cmp_eq_u32_e64 s6, 2, v78
	v_cmp_eq_u32_e64 s8, 3, v78
	v_cmp_eq_u32_e64 s10, 5, v77
	v_cndmask_b32_e64 v87, v69, v65, s3
	v_cndmask_b32_e64 v80, v80, v66, s7
	v_cndmask_b32_e64 v88, v82, v90, s3
	v_cmp_eq_u32_e64 s11, 4, v78
	v_cmp_eq_u32_e64 s5, 1, v76
	v_cndmask_b32_e64 v87, v87, v70, s6
	v_cndmask_b32_e64 v80, v80, v71, s9
	;; [unrolled: 1-line block ×3, first 2 shown]
	v_cmp_eq_u32_e64 s12, 6, v77
	v_cmp_eq_u32_e64 s13, 5, v78
	v_cndmask_b32_e64 v87, v87, v66, s8
	v_cndmask_b32_e64 v80, v80, v94, s10
	;; [unrolled: 1-line block ×4, first 2 shown]
	v_cmp_eq_u32_e64 s16, 7, v77
	v_cndmask_b32_e64 v87, v87, v71, s11
	v_cndmask_b32_e64 v80, v80, v72, s12
	v_cmp_eq_u32_e64 s17, 6, v78
	v_cmp_eq_u32_e64 s18, 2, v76
	v_cndmask_b32_e64 v88, v88, v84, s11
	v_cndmask_b32_e64 v87, v87, v94, s13
	;; [unrolled: 1-line block ×3, first 2 shown]
	v_cmp_eq_u32_e64 s19, 7, v78
	v_cndmask_b32_e64 v80, v89, v70, s18
	v_cmp_eq_u32_e64 s20, 3, v76
	v_cndmask_b32_e64 v87, v87, v72, s17
	v_cmp_eq_u32_e64 s21, 4, v76
	v_cmp_eq_u32_e64 s23, 5, v76
	;; [unrolled: 1-line block ×4, first 2 shown]
	v_cndmask_b32_e64 v101, v87, v95, s19
	v_cndmask_b32_e64 v87, v88, v97, s13
	;; [unrolled: 1-line block ×3, first 2 shown]
	v_or_b32_e32 v80, 3, v77
	s_delay_alu instid0(VALU_DEP_3) | instskip(NEXT) | instid1(VALU_DEP_3)
	v_cndmask_b32_e64 v102, v87, v85, s17
	v_cndmask_b32_e64 v91, v88, v71, s21
	s_delay_alu instid0(VALU_DEP_3)
	v_cmp_eq_u32_e64 s22, 1, v80
	v_cmp_eq_u32_e64 s24, 2, v80
	;; [unrolled: 1-line block ×5, first 2 shown]
	v_cndmask_b32_e64 v65, v69, v65, s22
	v_cmp_eq_u32_e64 s30, 6, v80
	v_cndmask_b32_e64 v103, v91, v94, s23
	s_delay_alu instid0(VALU_DEP_3) | instskip(NEXT) | instid1(VALU_DEP_1)
	v_cndmask_b32_e64 v65, v65, v70, s24
	v_cndmask_b32_e64 v65, v65, v66, s26
	s_delay_alu instid0(VALU_DEP_3) | instskip(NEXT) | instid1(VALU_DEP_2)
	v_cndmask_b32_e64 v66, v103, v72, s25
	v_cndmask_b32_e64 v65, v65, v71, s27
	s_delay_alu instid0(VALU_DEP_2) | instskip(NEXT) | instid1(VALU_DEP_2)
	v_cndmask_b32_e64 v66, v66, v95, s28
	v_cndmask_b32_e64 v65, v65, v94, s29
	s_delay_alu instid0(VALU_DEP_1) | instskip(SKIP_1) | instid1(VALU_DEP_1)
	v_cndmask_b32_e64 v65, v65, v72, s30
	v_cndmask_b32_e32 v86, v82, v90, vcc_lo
	v_cndmask_b32_e64 v86, v86, v83, s4
	s_delay_alu instid0(VALU_DEP_1) | instskip(NEXT) | instid1(VALU_DEP_1)
	v_cndmask_b32_e64 v86, v86, v96, s7
	v_cndmask_b32_e64 v86, v86, v84, s9
	s_delay_alu instid0(VALU_DEP_1) | instskip(NEXT) | instid1(VALU_DEP_1)
	v_cndmask_b32_e64 v86, v86, v97, s10
	v_cndmask_b32_e64 v86, v86, v85, s12
	s_delay_alu instid0(VALU_DEP_1) | instskip(SKIP_2) | instid1(VALU_DEP_2)
	v_cndmask_b32_e64 v100, v86, v98, s16
	v_cndmask_b32_e64 v86, v82, v90, s5
	v_cndmask_b32_e64 v82, v82, v90, s22
	v_cndmask_b32_e64 v86, v86, v83, s18
	s_delay_alu instid0(VALU_DEP_2) | instskip(SKIP_1) | instid1(VALU_DEP_3)
	v_cndmask_b32_e64 v70, v82, v83, s24
	v_cndmask_b32_e64 v82, v102, v98, s19
	;; [unrolled: 1-line block ×3, first 2 shown]
	ds_load_b128 v[86:89], v81 offset:1024
	v_cndmask_b32_e64 v70, v70, v96, s26
	v_cndmask_b32_e64 v69, v92, v84, s21
	ds_load_b128 v[90:93], v81 offset:1040
	v_cndmask_b32_e64 v70, v70, v84, s27
	v_cndmask_b32_e64 v69, v69, v97, s23
	s_delay_alu instid0(VALU_DEP_2) | instskip(NEXT) | instid1(VALU_DEP_2)
	v_cndmask_b32_e64 v70, v70, v97, s29
	v_cndmask_b32_e64 v69, v69, v85, s25
	s_delay_alu instid0(VALU_DEP_2) | instskip(NEXT) | instid1(VALU_DEP_2)
	v_cndmask_b32_e64 v70, v70, v85, s30
	v_cndmask_b32_e64 v69, v69, v98, s28
	s_waitcnt lgkmcnt(1)
	v_lshrrev_b32_e32 v83, 16, v86
	v_lshrrev_b32_e32 v94, 16, v87
	;; [unrolled: 1-line block ×3, first 2 shown]
	s_delay_alu instid0(VALU_DEP_3) | instskip(SKIP_3) | instid1(VALU_DEP_3)
	v_cndmask_b32_e32 v71, v86, v83, vcc_lo
	s_waitcnt lgkmcnt(0)
	v_lshrrev_b32_e32 v84, 16, v90
	v_cndmask_b32_e64 v96, v86, v83, s3
	v_cndmask_b32_e64 v71, v71, v87, s4
	s_delay_alu instid0(VALU_DEP_3) | instskip(NEXT) | instid1(VALU_DEP_3)
	v_cndmask_b32_e32 v97, v90, v84, vcc_lo
	v_cndmask_b32_e64 v72, v96, v87, s6
	v_lshrrev_b32_e32 v96, 16, v91
	v_cmp_eq_u32_e32 vcc_lo, 7, v80
	v_cndmask_b32_e64 v71, v71, v94, s7
	v_cndmask_b32_e64 v85, v97, v91, s4
	;; [unrolled: 1-line block ×3, first 2 shown]
	v_lshrrev_b32_e32 v97, 16, v88
	v_cndmask_b32_e32 v65, v65, v95, vcc_lo
	v_cndmask_b32_e64 v71, v71, v88, s9
	v_cndmask_b32_e64 v85, v85, v96, s7
	v_cndmask_b32_e32 v70, v70, v98, vcc_lo
	v_cndmask_b32_e64 v95, v72, v88, s11
	v_lshrrev_b32_e32 v98, 16, v92
	v_cndmask_b32_e64 v71, v71, v97, s10
	v_cndmask_b32_e64 v85, v85, v92, s9
	v_perm_b32 v72, v70, v65, 0x5040100
	v_cndmask_b32_e64 v65, v95, v97, s13
	v_perm_b32 v70, v82, v101, 0x5040100
	v_cndmask_b32_e64 v95, v71, v89, s12
	v_cndmask_b32_e64 v85, v85, v98, s10
	v_perm_b32 v71, v69, v66, 0x5040100
	v_cndmask_b32_e64 v65, v65, v89, s17
	v_lshrrev_b32_e32 v82, 16, v93
	v_cndmask_b32_e64 v66, v95, v102, s16
	v_cndmask_b32_e64 v69, v85, v93, s12
	;; [unrolled: 1-line block ×34, first 2 shown]
	v_cndmask_b32_e32 v83, v83, v102, vcc_lo
	v_cndmask_b32_e32 v85, v86, v82, vcc_lo
	v_cndmask_b32_e64 v86, v87, v82, s28
	v_cndmask_b32_e64 v87, v84, v82, s19
	;; [unrolled: 1-line block ×3, first 2 shown]
	v_perm_b32 v69, v100, v99, 0x5040100
	v_perm_b32 v85, v85, v83, 0x5040100
	;; [unrolled: 1-line block ×5, first 2 shown]
	s_mov_b32 s3, exec_lo
	ds_store_b128 v75, v[69:72]
	ds_store_b128 v75, v[82:85] offset:1024
	v_cmpx_eq_u32_e32 0, v0
	s_cbranch_execz .LBB1886_77
; %bb.76:
	s_load_b128 s[4:7], s[0:1], 0x58
	s_mul_i32 s8, s37, s34
	v_mov_b32_e32 v65, 0
	s_add_i32 s8, s8, s15
	s_delay_alu instid0(SALU_CYCLE_1) | instskip(NEXT) | instid1(SALU_CYCLE_1)
	s_mul_i32 s8, s8, s36
	s_add_i32 s8, s8, s14
	s_delay_alu instid0(SALU_CYCLE_1) | instskip(NEXT) | instid1(SALU_CYCLE_1)
	s_ashr_i32 s9, s8, 31
	s_lshl_b64 s[8:9], s[8:9], 2
	s_waitcnt lgkmcnt(0)
	s_add_u32 s6, s6, s8
	s_addc_u32 s7, s7, s9
	s_add_u32 s4, s4, s8
	s_addc_u32 s5, s5, s9
	s_clause 0x1
	global_store_b32 v65, v67, s[6:7]
	global_store_b32 v65, v68, s[4:5]
.LBB1886_77:
	s_or_b32 exec_lo, exec_lo, s3
	s_waitcnt lgkmcnt(0)
	s_waitcnt_vscnt null, 0x0
	s_barrier
	buffer_gl0_inv
	ds_load_b128 v[82:85], v79
	ds_load_b128 v[86:89], v79 offset:16
	ds_load_b128 v[94:97], v79 offset:2064
	;; [unrolled: 1-line block ×3, first 2 shown]
	v_mov_b32_e32 v65, 0
	ds_load_b128 v[102:105], v79 offset:4112
	ds_load_b128 v[98:101], v79 offset:4096
	;; [unrolled: 1-line block ×4, first 2 shown]
	v_mov_b32_e32 v66, v65
	v_mov_b32_e32 v67, v65
	;; [unrolled: 1-line block ×7, first 2 shown]
	s_waitcnt lgkmcnt(6)
	s_delay_alu instid0(VALU_DEP_1)
	v_wmma_f32_16x16x16_bf16 v[65:72], v[49:56], v[82:89], v[65:72]
	ds_load_b128 v[53:56], v79 offset:8208
	ds_load_b128 v[49:52], v79 offset:8192
	s_waitcnt lgkmcnt(6)
	v_wmma_f32_16x16x16_bf16 v[65:72], v[41:48], v[90:97], v[65:72]
	ds_load_b128 v[45:48], v79 offset:10256
	ds_load_b128 v[41:44], v79 offset:10240
	s_waitcnt lgkmcnt(6)
	v_wmma_f32_16x16x16_bf16 v[65:72], v[33:40], v[98:105], v[65:72]
	ds_load_b128 v[37:40], v79 offset:12304
	ds_load_b128 v[33:36], v79 offset:12288
	s_waitcnt lgkmcnt(6)
	v_wmma_f32_16x16x16_bf16 v[65:72], v[25:32], v[106:113], v[65:72]
	ds_load_b128 v[29:32], v79 offset:14352
	ds_load_b128 v[25:28], v79 offset:14336
	s_waitcnt lgkmcnt(6)
	v_wmma_f32_16x16x16_bf16 v[65:72], v[1:8], v[49:56], v[65:72]
	s_waitcnt lgkmcnt(4)
	s_delay_alu instid0(VALU_DEP_1) | instskip(SKIP_1) | instid1(VALU_DEP_1)
	v_wmma_f32_16x16x16_bf16 v[65:72], v[9:16], v[41:48], v[65:72]
	s_waitcnt lgkmcnt(2)
	v_wmma_f32_16x16x16_bf16 v[65:72], v[17:24], v[33:40], v[65:72]
	s_waitcnt lgkmcnt(0)
	s_delay_alu instid0(VALU_DEP_1) | instskip(NEXT) | instid1(VALU_DEP_1)
	v_wmma_f32_16x16x16_bf16 v[65:72], v[57:64], v[25:32], v[65:72]
	v_and_b32_e32 v1, 0x7f800000, v65
	s_delay_alu instid0(VALU_DEP_1) | instskip(SKIP_1) | instid1(SALU_CYCLE_1)
	v_cmp_ne_u32_e32 vcc_lo, 0x7f800000, v1
                                        ; implicit-def: $vgpr1
	s_and_saveexec_b32 s3, vcc_lo
	s_xor_b32 s3, exec_lo, s3
; %bb.78:
	v_bfe_u32 v1, v65, 16, 1
	s_delay_alu instid0(VALU_DEP_1)
	v_add3_u32 v1, v65, v1, 0x7fff
; %bb.79:
	s_and_not1_saveexec_b32 s3, s3
; %bb.80:
	v_and_b32_e32 v1, 0xffff, v65
	v_or_b32_e32 v2, 0x10000, v65
	s_delay_alu instid0(VALU_DEP_2) | instskip(NEXT) | instid1(VALU_DEP_2)
	v_cmp_eq_u32_e32 vcc_lo, 0, v1
	v_cndmask_b32_e32 v1, v2, v65, vcc_lo
; %bb.81:
	s_or_b32 exec_lo, exec_lo, s3
	v_and_b32_e32 v2, 0x7f800000, v66
	s_delay_alu instid0(VALU_DEP_1) | instskip(SKIP_1) | instid1(SALU_CYCLE_1)
	v_cmp_ne_u32_e32 vcc_lo, 0x7f800000, v2
                                        ; implicit-def: $vgpr2
	s_and_saveexec_b32 s3, vcc_lo
	s_xor_b32 s3, exec_lo, s3
; %bb.82:
	v_bfe_u32 v2, v66, 16, 1
	s_delay_alu instid0(VALU_DEP_1)
	v_add3_u32 v2, v66, v2, 0x7fff
; %bb.83:
	s_and_not1_saveexec_b32 s3, s3
; %bb.84:
	v_and_b32_e32 v2, 0xffff, v66
	v_or_b32_e32 v3, 0x10000, v66
	s_delay_alu instid0(VALU_DEP_2) | instskip(NEXT) | instid1(VALU_DEP_2)
	v_cmp_eq_u32_e32 vcc_lo, 0, v2
	v_cndmask_b32_e32 v2, v3, v66, vcc_lo
; %bb.85:
	s_or_b32 exec_lo, exec_lo, s3
	v_and_b32_e32 v3, 0x7f800000, v67
	s_delay_alu instid0(VALU_DEP_1) | instskip(SKIP_1) | instid1(SALU_CYCLE_1)
	v_cmp_ne_u32_e32 vcc_lo, 0x7f800000, v3
                                        ; implicit-def: $vgpr3
	s_and_saveexec_b32 s3, vcc_lo
	s_xor_b32 s3, exec_lo, s3
; %bb.86:
	v_bfe_u32 v3, v67, 16, 1
	s_delay_alu instid0(VALU_DEP_1)
	v_add3_u32 v3, v67, v3, 0x7fff
; %bb.87:
	s_and_not1_saveexec_b32 s3, s3
; %bb.88:
	v_and_b32_e32 v3, 0xffff, v67
	v_or_b32_e32 v4, 0x10000, v67
	s_delay_alu instid0(VALU_DEP_2) | instskip(NEXT) | instid1(VALU_DEP_2)
	v_cmp_eq_u32_e32 vcc_lo, 0, v3
	v_cndmask_b32_e32 v3, v4, v67, vcc_lo
; %bb.89:
	s_or_b32 exec_lo, exec_lo, s3
	v_and_b32_e32 v4, 0x7f800000, v68
	s_delay_alu instid0(VALU_DEP_1) | instskip(SKIP_1) | instid1(SALU_CYCLE_1)
	v_cmp_ne_u32_e32 vcc_lo, 0x7f800000, v4
                                        ; implicit-def: $vgpr4
	s_and_saveexec_b32 s3, vcc_lo
	s_xor_b32 s3, exec_lo, s3
; %bb.90:
	v_bfe_u32 v4, v68, 16, 1
	s_delay_alu instid0(VALU_DEP_1)
	v_add3_u32 v4, v68, v4, 0x7fff
; %bb.91:
	s_and_not1_saveexec_b32 s3, s3
; %bb.92:
	v_and_b32_e32 v4, 0xffff, v68
	v_or_b32_e32 v5, 0x10000, v68
	s_delay_alu instid0(VALU_DEP_2) | instskip(NEXT) | instid1(VALU_DEP_2)
	v_cmp_eq_u32_e32 vcc_lo, 0, v4
	v_cndmask_b32_e32 v4, v5, v68, vcc_lo
; %bb.93:
	s_or_b32 exec_lo, exec_lo, s3
	v_and_b32_e32 v5, 0x7f800000, v69
	s_delay_alu instid0(VALU_DEP_1) | instskip(SKIP_1) | instid1(SALU_CYCLE_1)
	v_cmp_ne_u32_e32 vcc_lo, 0x7f800000, v5
                                        ; implicit-def: $vgpr5
	s_and_saveexec_b32 s3, vcc_lo
	s_xor_b32 s3, exec_lo, s3
; %bb.94:
	v_bfe_u32 v5, v69, 16, 1
	s_delay_alu instid0(VALU_DEP_1)
	v_add3_u32 v5, v69, v5, 0x7fff
; %bb.95:
	s_and_not1_saveexec_b32 s3, s3
; %bb.96:
	v_and_b32_e32 v5, 0xffff, v69
	v_or_b32_e32 v6, 0x10000, v69
	s_delay_alu instid0(VALU_DEP_2) | instskip(NEXT) | instid1(VALU_DEP_2)
	v_cmp_eq_u32_e32 vcc_lo, 0, v5
	v_cndmask_b32_e32 v5, v6, v69, vcc_lo
; %bb.97:
	s_or_b32 exec_lo, exec_lo, s3
	v_and_b32_e32 v6, 0x7f800000, v70
	s_delay_alu instid0(VALU_DEP_1) | instskip(SKIP_1) | instid1(SALU_CYCLE_1)
	v_cmp_ne_u32_e32 vcc_lo, 0x7f800000, v6
                                        ; implicit-def: $vgpr6
	s_and_saveexec_b32 s3, vcc_lo
	s_xor_b32 s3, exec_lo, s3
; %bb.98:
	v_bfe_u32 v6, v70, 16, 1
	s_delay_alu instid0(VALU_DEP_1)
	v_add3_u32 v6, v70, v6, 0x7fff
; %bb.99:
	s_and_not1_saveexec_b32 s3, s3
; %bb.100:
	v_and_b32_e32 v6, 0xffff, v70
	v_or_b32_e32 v7, 0x10000, v70
	s_delay_alu instid0(VALU_DEP_2) | instskip(NEXT) | instid1(VALU_DEP_2)
	v_cmp_eq_u32_e32 vcc_lo, 0, v6
	v_cndmask_b32_e32 v6, v7, v70, vcc_lo
; %bb.101:
	s_or_b32 exec_lo, exec_lo, s3
	v_and_b32_e32 v7, 0x7f800000, v71
	s_delay_alu instid0(VALU_DEP_1) | instskip(SKIP_1) | instid1(SALU_CYCLE_1)
	v_cmp_ne_u32_e32 vcc_lo, 0x7f800000, v7
                                        ; implicit-def: $vgpr7
	s_and_saveexec_b32 s3, vcc_lo
	s_xor_b32 s3, exec_lo, s3
; %bb.102:
	v_bfe_u32 v7, v71, 16, 1
	s_delay_alu instid0(VALU_DEP_1)
	v_add3_u32 v7, v71, v7, 0x7fff
; %bb.103:
	s_and_not1_saveexec_b32 s3, s3
; %bb.104:
	v_and_b32_e32 v7, 0xffff, v71
	v_or_b32_e32 v8, 0x10000, v71
	s_delay_alu instid0(VALU_DEP_2) | instskip(NEXT) | instid1(VALU_DEP_2)
	v_cmp_eq_u32_e32 vcc_lo, 0, v7
	v_cndmask_b32_e32 v7, v8, v71, vcc_lo
; %bb.105:
	s_or_b32 exec_lo, exec_lo, s3
	v_and_b32_e32 v8, 0x7f800000, v72
	s_delay_alu instid0(VALU_DEP_1) | instskip(SKIP_1) | instid1(SALU_CYCLE_1)
	v_cmp_ne_u32_e32 vcc_lo, 0x7f800000, v8
                                        ; implicit-def: $vgpr8
	s_and_saveexec_b32 s3, vcc_lo
	s_xor_b32 s3, exec_lo, s3
; %bb.106:
	v_bfe_u32 v8, v72, 16, 1
	s_delay_alu instid0(VALU_DEP_1)
	v_add3_u32 v8, v72, v8, 0x7fff
                                        ; implicit-def: $vgpr65_vgpr66_vgpr67_vgpr68_vgpr69_vgpr70_vgpr71_vgpr72
; %bb.107:
	s_and_not1_saveexec_b32 s3, s3
; %bb.108:
	v_and_b32_e32 v8, 0xffff, v72
	v_or_b32_e32 v9, 0x10000, v72
	s_delay_alu instid0(VALU_DEP_2) | instskip(NEXT) | instid1(VALU_DEP_2)
	v_cmp_eq_u32_e32 vcc_lo, 0, v8
	v_cndmask_b32_e32 v8, v9, v72, vcc_lo
; %bb.109:
	s_or_b32 exec_lo, exec_lo, s3
	s_delay_alu instid0(VALU_DEP_1)
	v_perm_b32 v7, v8, v7, 0x7060302
	v_perm_b32 v6, v6, v5, 0x7060302
	;; [unrolled: 1-line block ×4, first 2 shown]
	s_barrier
	buffer_gl0_inv
	v_cmp_eq_u32_e32 vcc_lo, 1, v77
	ds_store_b128 v75, v[4:7]
	s_waitcnt lgkmcnt(0)
	s_barrier
	buffer_gl0_inv
	ds_load_b128 v[1:4], v81
	ds_load_b128 v[5:8], v81 offset:16
	v_cmp_eq_u32_e64 s3, 1, v78
	v_cmp_eq_u32_e64 s4, 2, v77
	;; [unrolled: 1-line block ×5, first 2 shown]
	s_xor_b32 s2, s2, -1
	s_waitcnt lgkmcnt(1)
	v_lshrrev_b32_e32 v9, 16, v1
	s_waitcnt lgkmcnt(0)
	v_lshrrev_b32_e32 v13, 16, v5
	v_lshrrev_b32_e32 v10, 16, v2
	;; [unrolled: 1-line block ×4, first 2 shown]
	v_cndmask_b32_e64 v19, v1, v9, s3
	v_cndmask_b32_e32 v18, v5, v13, vcc_lo
	v_cndmask_b32_e64 v20, v5, v13, s3
	v_cndmask_b32_e32 v17, v1, v9, vcc_lo
	v_cmp_eq_u32_e32 vcc_lo, 2, v78
	v_lshrrev_b32_e32 v15, 16, v7
	v_cmp_eq_u32_e64 s3, 1, v76
	v_lshrrev_b32_e32 v12, 16, v4
	v_lshrrev_b32_e32 v16, 16, v8
	v_cndmask_b32_e32 v20, v20, v6, vcc_lo
	v_cndmask_b32_e64 v17, v17, v2, s4
	v_cndmask_b32_e32 v19, v19, v2, vcc_lo
	v_cndmask_b32_e64 v18, v18, v6, s4
	v_cmp_eq_u32_e32 vcc_lo, 4, v77
	v_cmp_eq_u32_e64 s4, 3, v78
	v_cndmask_b32_e64 v17, v17, v10, s5
	v_cndmask_b32_e64 v21, v1, v9, s3
	;; [unrolled: 1-line block ×5, first 2 shown]
	v_cndmask_b32_e32 v17, v17, v3, vcc_lo
	v_cndmask_b32_e64 v20, v20, v14, s4
	v_cndmask_b32_e32 v18, v18, v7, vcc_lo
	v_cmp_eq_u32_e32 vcc_lo, 4, v78
	v_cmp_eq_u32_e64 s4, 5, v78
	v_cmp_eq_u32_e64 s3, 2, v80
	v_cndmask_b32_e64 v21, v21, v2, s7
	v_cmp_eq_u32_e64 s5, 5, v77
	v_cndmask_b32_e32 v19, v19, v3, vcc_lo
	v_cndmask_b32_e32 v20, v20, v7, vcc_lo
	v_cmp_eq_u32_e32 vcc_lo, 6, v78
	s_delay_alu instid0(VALU_DEP_4) | instskip(NEXT) | instid1(VALU_DEP_4)
	v_cndmask_b32_e64 v17, v17, v11, s5
	v_cndmask_b32_e64 v19, v19, v11, s4
	s_delay_alu instid0(VALU_DEP_4) | instskip(SKIP_1) | instid1(VALU_DEP_3)
	v_cndmask_b32_e64 v20, v20, v15, s4
	v_cmp_eq_u32_e64 s4, 1, v80
	v_cndmask_b32_e32 v19, v19, v4, vcc_lo
	v_cndmask_b32_e64 v18, v18, v15, s5
	s_delay_alu instid0(VALU_DEP_3)
	v_cndmask_b32_e64 v1, v1, v9, s4
	v_cndmask_b32_e64 v5, v5, v13, s4
	v_cmp_eq_u32_e64 s4, 3, v76
	v_cndmask_b32_e64 v13, v22, v6, s7
	v_cmp_eq_u32_e64 s7, 3, v80
	v_cndmask_b32_e64 v1, v1, v2, s3
	v_cndmask_b32_e64 v2, v5, v6, s3
	;; [unrolled: 1-line block ×3, first 2 shown]
	v_cmp_eq_u32_e64 s3, 4, v76
	v_cndmask_b32_e64 v6, v13, v14, s4
	v_cndmask_b32_e64 v1, v1, v10, s7
	v_cmp_eq_u32_e64 s4, 4, v80
	v_cndmask_b32_e64 v2, v2, v14, s7
	v_cndmask_b32_e64 v5, v9, v3, s3
	;; [unrolled: 3-line block ×3, first 2 shown]
	v_cndmask_b32_e64 v2, v2, v7, s4
	v_cmp_eq_u32_e64 s3, 5, v80
	v_cmp_eq_u32_e64 s5, 6, v77
	v_cndmask_b32_e64 v5, v5, v11, s7
	v_cmp_eq_u32_e64 s4, 6, v76
	v_cndmask_b32_e64 v3, v6, v15, s7
	v_cndmask_b32_e64 v1, v1, v11, s3
	v_cmp_eq_u32_e64 s7, 6, v80
	v_cndmask_b32_e64 v2, v2, v15, s3
	v_cndmask_b32_e64 v17, v17, v4, s5
	v_cndmask_b32_e64 v18, v18, v8, s5
	v_cmp_eq_u32_e64 s5, 7, v77
	v_cndmask_b32_e64 v5, v5, v4, s4
	;; [unrolled: 4-line block ×3, first 2 shown]
	v_cmp_eq_u32_e64 s4, 7, v76
	v_cndmask_b32_e32 v4, v20, v8, vcc_lo
	v_cndmask_b32_e64 v17, v17, v12, s5
	v_cndmask_b32_e64 v19, v19, v12, s6
	;; [unrolled: 1-line block ×8, first 2 shown]
	v_cmp_gt_u32_e32 vcc_lo, 32, v0
	v_perm_b32 v4, v2, v1, 0x5040100
	v_perm_b32 v3, v3, v5, 0x5040100
	;; [unrolled: 1-line block ×4, first 2 shown]
	s_and_b32 s2, vcc_lo, s2
	ds_store_b128 v75, v[1:4]
	s_waitcnt lgkmcnt(0)
	s_barrier
	buffer_gl0_inv
	s_and_saveexec_b32 s3, s2
	s_cbranch_execz .LBB1886_2
; %bb.110:
	s_load_b64 s[0:1], s[0:1], 0x68
	v_lshlrev_b32_e32 v1, 10, v0
	v_and_b32_e32 v0, 1, v0
	v_lshlrev_b32_e32 v2, 6, v74
	s_lshl_b32 s4, s36, 7
	s_delay_alu instid0(VALU_DEP_3) | instskip(NEXT) | instid1(VALU_DEP_3)
	v_and_b32_e32 v1, 0x3800, v1
	v_lshlrev_b32_e32 v0, 4, v0
	s_mul_i32 s2, s4, s34
	s_delay_alu instid0(SALU_CYCLE_1) | instskip(NEXT) | instid1(VALU_DEP_1)
	s_mul_i32 s2, s2, s37
	v_or3_b32 v0, v1, v2, v0
	s_ashr_i32 s3, s2, 31
	s_delay_alu instid0(SALU_CYCLE_1)
	s_lshl_b64 s[2:3], s[2:3], 1
	ds_load_b128 v[0:3], v0
	s_waitcnt lgkmcnt(0)
	s_add_u32 s5, s0, s2
	s_addc_u32 s3, s1, s3
	s_lshl_b32 s0, s14, 7
	s_mul_i32 s2, s4, s15
	s_ashr_i32 s1, s0, 31
	s_delay_alu instid0(SALU_CYCLE_1) | instskip(NEXT) | instid1(SALU_CYCLE_1)
	s_lshl_b64 s[0:1], s[0:1], 1
	s_add_u32 s4, s5, s0
	s_addc_u32 s5, s3, s1
	s_ashr_i32 s3, s2, 31
	s_delay_alu instid0(SALU_CYCLE_1) | instskip(NEXT) | instid1(SALU_CYCLE_1)
	s_lshl_b64 s[0:1], s[2:3], 1
	s_add_u32 s0, s4, s0
	s_addc_u32 s1, s5, s1
	global_store_b128 v73, v[0:3], s[0:1]
	s_nop 0
	s_sendmsg sendmsg(MSG_DEALLOC_VGPRS)
	s_endpgm
	.section	.rodata,"a",@progbits
	.p2align	6, 0x0
	.amdhsa_kernel _Z39paged_attention_ll4mi_QKV_mfma16_kernelI14__hip_bfloat16hLN4vllm18Fp8KVCacheDataTypeE1EhLi32ELi128ELi256ELb0ELi1EL8MFMAType0EEvPKT_PKT0_S9_ifPKiSB_SB_iPKfiiiPfSE_PS4_PT2_iSD_SD_
		.amdhsa_group_segment_fixed_size 17472
		.amdhsa_private_segment_fixed_size 0
		.amdhsa_kernarg_size 400
		.amdhsa_user_sgpr_count 13
		.amdhsa_user_sgpr_dispatch_ptr 0
		.amdhsa_user_sgpr_queue_ptr 0
		.amdhsa_user_sgpr_kernarg_segment_ptr 1
		.amdhsa_user_sgpr_dispatch_id 0
		.amdhsa_user_sgpr_private_segment_size 0
		.amdhsa_wavefront_size32 1
		.amdhsa_uses_dynamic_stack 0
		.amdhsa_enable_private_segment 0
		.amdhsa_system_sgpr_workgroup_id_x 1
		.amdhsa_system_sgpr_workgroup_id_y 1
		.amdhsa_system_sgpr_workgroup_id_z 1
		.amdhsa_system_sgpr_workgroup_info 0
		.amdhsa_system_vgpr_workitem_id 0
		.amdhsa_next_free_vgpr 138
		.amdhsa_next_free_sgpr 68
		.amdhsa_reserve_vcc 1
		.amdhsa_float_round_mode_32 0
		.amdhsa_float_round_mode_16_64 0
		.amdhsa_float_denorm_mode_32 3
		.amdhsa_float_denorm_mode_16_64 3
		.amdhsa_dx10_clamp 1
		.amdhsa_ieee_mode 1
		.amdhsa_fp16_overflow 0
		.amdhsa_workgroup_processor_mode 1
		.amdhsa_memory_ordered 1
		.amdhsa_forward_progress 0
		.amdhsa_shared_vgpr_count 0
		.amdhsa_exception_fp_ieee_invalid_op 0
		.amdhsa_exception_fp_denorm_src 0
		.amdhsa_exception_fp_ieee_div_zero 0
		.amdhsa_exception_fp_ieee_overflow 0
		.amdhsa_exception_fp_ieee_underflow 0
		.amdhsa_exception_fp_ieee_inexact 0
		.amdhsa_exception_int_div_zero 0
	.end_amdhsa_kernel
	.section	.text._Z39paged_attention_ll4mi_QKV_mfma16_kernelI14__hip_bfloat16hLN4vllm18Fp8KVCacheDataTypeE1EhLi32ELi128ELi256ELb0ELi1EL8MFMAType0EEvPKT_PKT0_S9_ifPKiSB_SB_iPKfiiiPfSE_PS4_PT2_iSD_SD_,"axG",@progbits,_Z39paged_attention_ll4mi_QKV_mfma16_kernelI14__hip_bfloat16hLN4vllm18Fp8KVCacheDataTypeE1EhLi32ELi128ELi256ELb0ELi1EL8MFMAType0EEvPKT_PKT0_S9_ifPKiSB_SB_iPKfiiiPfSE_PS4_PT2_iSD_SD_,comdat
.Lfunc_end1886:
	.size	_Z39paged_attention_ll4mi_QKV_mfma16_kernelI14__hip_bfloat16hLN4vllm18Fp8KVCacheDataTypeE1EhLi32ELi128ELi256ELb0ELi1EL8MFMAType0EEvPKT_PKT0_S9_ifPKiSB_SB_iPKfiiiPfSE_PS4_PT2_iSD_SD_, .Lfunc_end1886-_Z39paged_attention_ll4mi_QKV_mfma16_kernelI14__hip_bfloat16hLN4vllm18Fp8KVCacheDataTypeE1EhLi32ELi128ELi256ELb0ELi1EL8MFMAType0EEvPKT_PKT0_S9_ifPKiSB_SB_iPKfiiiPfSE_PS4_PT2_iSD_SD_
                                        ; -- End function
	.section	.AMDGPU.csdata,"",@progbits
; Kernel info:
; codeLenInByte = 8628
; NumSgprs: 70
; NumVgprs: 138
; ScratchSize: 0
; MemoryBound: 1
; FloatMode: 240
; IeeeMode: 1
; LDSByteSize: 17472 bytes/workgroup (compile time only)
; SGPRBlocks: 8
; VGPRBlocks: 17
; NumSGPRsForWavesPerEU: 70
; NumVGPRsForWavesPerEU: 138
; Occupancy: 10
; WaveLimiterHint : 1
; COMPUTE_PGM_RSRC2:SCRATCH_EN: 0
; COMPUTE_PGM_RSRC2:USER_SGPR: 13
; COMPUTE_PGM_RSRC2:TRAP_HANDLER: 0
; COMPUTE_PGM_RSRC2:TGID_X_EN: 1
; COMPUTE_PGM_RSRC2:TGID_Y_EN: 1
; COMPUTE_PGM_RSRC2:TGID_Z_EN: 1
; COMPUTE_PGM_RSRC2:TIDIG_COMP_CNT: 0
	.section	.text._Z39paged_attention_ll4mi_QKV_mfma16_kernelI14__hip_bfloat16hLN4vllm18Fp8KVCacheDataTypeE1EhLi32ELi128ELi256ELb0ELi2EL8MFMAType0EEvPKT_PKT0_S9_ifPKiSB_SB_iPKfiiiPfSE_PS4_PT2_iSD_SD_,"axG",@progbits,_Z39paged_attention_ll4mi_QKV_mfma16_kernelI14__hip_bfloat16hLN4vllm18Fp8KVCacheDataTypeE1EhLi32ELi128ELi256ELb0ELi2EL8MFMAType0EEvPKT_PKT0_S9_ifPKiSB_SB_iPKfiiiPfSE_PS4_PT2_iSD_SD_,comdat
	.protected	_Z39paged_attention_ll4mi_QKV_mfma16_kernelI14__hip_bfloat16hLN4vllm18Fp8KVCacheDataTypeE1EhLi32ELi128ELi256ELb0ELi2EL8MFMAType0EEvPKT_PKT0_S9_ifPKiSB_SB_iPKfiiiPfSE_PS4_PT2_iSD_SD_ ; -- Begin function _Z39paged_attention_ll4mi_QKV_mfma16_kernelI14__hip_bfloat16hLN4vllm18Fp8KVCacheDataTypeE1EhLi32ELi128ELi256ELb0ELi2EL8MFMAType0EEvPKT_PKT0_S9_ifPKiSB_SB_iPKfiiiPfSE_PS4_PT2_iSD_SD_
	.globl	_Z39paged_attention_ll4mi_QKV_mfma16_kernelI14__hip_bfloat16hLN4vllm18Fp8KVCacheDataTypeE1EhLi32ELi128ELi256ELb0ELi2EL8MFMAType0EEvPKT_PKT0_S9_ifPKiSB_SB_iPKfiiiPfSE_PS4_PT2_iSD_SD_
	.p2align	8
	.type	_Z39paged_attention_ll4mi_QKV_mfma16_kernelI14__hip_bfloat16hLN4vllm18Fp8KVCacheDataTypeE1EhLi32ELi128ELi256ELb0ELi2EL8MFMAType0EEvPKT_PKT0_S9_ifPKiSB_SB_iPKfiiiPfSE_PS4_PT2_iSD_SD_,@function
_Z39paged_attention_ll4mi_QKV_mfma16_kernelI14__hip_bfloat16hLN4vllm18Fp8KVCacheDataTypeE1EhLi32ELi128ELi256ELb0ELi2EL8MFMAType0EEvPKT_PKT0_S9_ifPKiSB_SB_iPKfiiiPfSE_PS4_PT2_iSD_SD_: ; @_Z39paged_attention_ll4mi_QKV_mfma16_kernelI14__hip_bfloat16hLN4vllm18Fp8KVCacheDataTypeE1EhLi32ELi128ELi256ELb0ELi2EL8MFMAType0EEvPKT_PKT0_S9_ifPKiSB_SB_iPKfiiiPfSE_PS4_PT2_iSD_SD_
; %bb.0:
	s_load_b64 s[2:3], s[0:1], 0x30
	s_mov_b32 s30, s13
	s_waitcnt lgkmcnt(0)
	s_cmp_lg_u64 s[2:3], 0
	s_cselect_b32 s6, -1, 0
	s_ashr_i32 s31, s13, 31
	s_cmp_eq_u64 s[2:3], 0
	s_cbranch_scc1 .LBB1887_3
; %bb.1:
	s_lshl_b64 s[4:5], s[30:31], 2
	s_delay_alu instid0(SALU_CYCLE_1) | instskip(SKIP_4) | instid1(SALU_CYCLE_1)
	s_add_u32 s4, s2, s4
	s_addc_u32 s5, s3, s5
	s_load_b64 s[4:5], s[4:5], 0x0
	s_waitcnt lgkmcnt(0)
	s_sub_i32 s4, s5, s4
	s_cmp_eq_u32 s4, 1
	s_cselect_b32 s4, -1, 0
	s_delay_alu instid0(SALU_CYCLE_1)
	s_and_not1_b32 vcc_lo, exec_lo, s4
	s_cbranch_vccz .LBB1887_4
.LBB1887_2:
	s_endpgm
.LBB1887_3:
.LBB1887_4:
	s_load_b64 s[8:9], s[0:1], 0x28
	s_lshl_b64 s[4:5], s[30:31], 2
	s_waitcnt lgkmcnt(0)
	s_add_u32 s8, s8, s4
	s_addc_u32 s9, s9, s5
	s_lshl_b32 s16, s14, 8
	s_load_b32 s18, s[8:9], 0x0
	s_waitcnt lgkmcnt(0)
	s_cmp_ge_i32 s16, s18
	s_cbranch_scc1 .LBB1887_2
; %bb.5:
	s_clause 0x1
	s_load_b128 s[8:11], s[0:1], 0x8
	s_load_b64 s[12:13], s[0:1], 0x20
	s_and_not1_b32 vcc_lo, exec_lo, s6
	s_cbranch_vccnz .LBB1887_7
; %bb.6:
	s_add_u32 s2, s2, s4
	s_addc_u32 s3, s3, s5
	s_load_b32 s3, s[2:3], 0x0
	s_branch .LBB1887_8
.LBB1887_7:
	s_mov_b32 s3, s30
.LBB1887_8:
	s_load_b128 s[4:7], s[0:1], 0x48
	v_and_b32_e32 v66, 15, v0
	v_bfe_u32 v65, v0, 4, 1
	s_lshl_b32 s31, s15, 1
	v_and_b32_e32 v67, 31, v0
	v_and_b32_e32 v76, 1, v0
	v_lshlrev_b32_e32 v1, 3, v66
	v_cmp_gt_u32_e64 s2, 32, v0
	v_or_b32_e32 v75, s31, v65
	v_lshlrev_b32_e32 v74, 6, v65
	s_delay_alu instid0(VALU_DEP_4)
	v_lshlrev_b32_e32 v73, 1, v1
	s_waitcnt lgkmcnt(0)
	s_and_saveexec_b32 s7, s2
	s_cbranch_execz .LBB1887_10
; %bb.9:
	s_load_b64 s[20:21], s[0:1], 0x0
	v_lshlrev_b32_e32 v1, 7, v75
	s_mul_hi_i32 s23, s3, s4
	s_mul_i32 s22, s3, s4
	v_lshlrev_b32_e32 v5, 10, v66
	s_lshl_b64 s[22:23], s[22:23], 1
	v_ashrrev_i32_e32 v2, 31, v1
	v_lshlrev_b32_e32 v6, 10, v76
	s_delay_alu instid0(VALU_DEP_3) | instskip(NEXT) | instid1(VALU_DEP_3)
	v_and_b32_e32 v5, 0x3800, v5
	v_lshlrev_b64 v[1:2], 1, v[1:2]
	s_delay_alu instid0(VALU_DEP_2) | instskip(SKIP_3) | instid1(VALU_DEP_2)
	v_or3_b32 v5, v5, v6, v74
	s_waitcnt lgkmcnt(0)
	s_add_u32 s3, s20, s22
	s_addc_u32 s4, s21, s23
	v_add_co_u32 v1, vcc_lo, s3, v1
	v_add_co_ci_u32_e32 v2, vcc_lo, s4, v2, vcc_lo
	s_delay_alu instid0(VALU_DEP_2) | instskip(NEXT) | instid1(VALU_DEP_2)
	v_add_co_u32 v1, vcc_lo, v1, v73
	v_add_co_ci_u32_e32 v2, vcc_lo, 0, v2, vcc_lo
	global_load_b128 v[1:4], v[1:2], off
	s_waitcnt vmcnt(0)
	ds_store_b128 v5, v[1:4]
.LBB1887_10:
	s_or_b32 exec_lo, exec_lo, s7
	v_and_b32_e32 v1, 0xef, v0
	s_add_i32 s3, s18, 31
	s_clause 0x1
	s_load_b32 s4, s[0:1], 0x38
	s_load_b32 s19, s[0:1], 0x1c
	s_ashr_i32 s7, s3, 31
	v_add_nc_u32_e32 v1, s16, v1
	s_lshr_b32 s7, s7, 27
	s_waitcnt lgkmcnt(0)
	s_add_i32 s3, s3, s7
	s_barrier
	v_ashrrev_i32_e32 v2, 31, v1
	v_or_b32_e32 v3, 16, v1
	s_ashr_i32 s3, s3, 5
	v_cmp_gt_i32_e32 vcc_lo, s18, v1
	s_add_i32 s3, s3, -1
	v_lshrrev_b32_e32 v2, 27, v2
	buffer_gl0_inv
	s_mul_i32 s15, s15, s6
	v_lshrrev_b32_e32 v68, 5, v0
	v_lshlrev_b32_e32 v33, 5, v66
	v_add_nc_u32_e32 v4, v1, v2
	s_mul_i32 s20, s30, s4
	s_delay_alu instid0(SALU_CYCLE_1) | instskip(NEXT) | instid1(VALU_DEP_1)
	s_ashr_i32 s21, s20, 31
	v_ashrrev_i32_e32 v4, 5, v4
	v_add_nc_u32_e32 v2, v3, v2
	s_lshl_b64 s[20:21], s[20:21], 2
	v_lshl_or_b32 v33, v68, 9, v33
	s_add_u32 s4, s12, s20
	v_cndmask_b32_e32 v1, s3, v4, vcc_lo
	v_ashrrev_i32_e32 v2, 5, v2
	v_cmp_gt_i32_e32 vcc_lo, s18, v3
	s_addc_u32 s12, s13, s21
	s_ashr_i32 s13, s15, 31
	s_add_u32 s6, s8, s15
	s_addc_u32 s7, s9, s13
	v_cndmask_b32_e32 v3, s3, v2, vcc_lo
	v_ashrrev_i32_e32 v2, 31, v1
	s_lshl_b32 s8, s14, 3
	s_delay_alu instid0(SALU_CYCLE_1) | instskip(NEXT) | instid1(VALU_DEP_2)
	s_ashr_i32 s9, s8, 31
	v_ashrrev_i32_e32 v4, 31, v3
	s_delay_alu instid0(VALU_DEP_2) | instskip(SKIP_1) | instid1(SALU_CYCLE_1)
	v_lshlrev_b64 v[1:2], 2, v[1:2]
	s_lshl_b64 s[8:9], s[8:9], 2
	s_add_u32 s8, s4, s8
	s_delay_alu instid0(VALU_DEP_2) | instskip(SKIP_1) | instid1(VALU_DEP_2)
	v_lshlrev_b64 v[3:4], 2, v[3:4]
	s_addc_u32 s9, s12, s9
	v_add_co_u32 v1, vcc_lo, s4, v1
	v_add_co_ci_u32_e32 v2, vcc_lo, s12, v2, vcc_lo
	s_delay_alu instid0(VALU_DEP_3) | instskip(NEXT) | instid1(VALU_DEP_4)
	v_add_co_u32 v3, vcc_lo, s4, v3
	v_add_co_ci_u32_e32 v4, vcc_lo, s12, v4, vcc_lo
	s_clause 0x1
	global_load_b32 v5, v[1:2], off
	global_load_b32 v6, v[3:4], off
	s_or_b32 s17, s16, 32
	s_delay_alu instid0(SALU_CYCLE_1) | instskip(SKIP_2) | instid1(SALU_CYCLE_1)
	s_ashr_i32 s20, s17, 5
	s_cmp_lt_i32 s17, s18
	s_cselect_b32 s20, s20, s3
	s_ashr_i32 s21, s20, 31
	s_delay_alu instid0(SALU_CYCLE_1) | instskip(NEXT) | instid1(SALU_CYCLE_1)
	s_lshl_b64 s[20:21], s[20:21], 2
	s_add_u32 s20, s4, s20
	s_addc_u32 s21, s12, s21
	s_or_b32 s17, s16, 64
	s_delay_alu instid0(SALU_CYCLE_1) | instskip(SKIP_2) | instid1(SALU_CYCLE_1)
	s_ashr_i32 s22, s17, 5
	s_cmp_lt_i32 s17, s18
	s_cselect_b32 s22, s22, s3
	s_ashr_i32 s23, s22, 31
	s_delay_alu instid0(SALU_CYCLE_1) | instskip(NEXT) | instid1(SALU_CYCLE_1)
	s_lshl_b64 s[22:23], s[22:23], 2
	s_add_u32 s22, s4, s22
	s_addc_u32 s23, s12, s23
	;; [unrolled: 10-line block ×5, first 2 shown]
	s_clause 0x5
	s_load_b32 s17, s[8:9], 0x0
	s_load_b32 s33, s[20:21], 0x0
	;; [unrolled: 1-line block ×6, first 2 shown]
	s_mov_b32 s20, 0
	s_delay_alu instid0(SALU_CYCLE_1)
	s_mov_b32 s21, s20
	s_mov_b32 s22, s20
	;; [unrolled: 1-line block ×7, first 2 shown]
	s_delay_alu instid0(SALU_CYCLE_1)
	v_dual_mov_b32 v108, s27 :: v_dual_lshlrev_b32 v137, 6, v76
	v_dual_mov_b32 v102, s21 :: v_dual_mov_b32 v107, s26
	v_dual_mov_b32 v106, s25 :: v_dual_mov_b32 v105, s24
	v_mov_b32_e32 v103, s22
	v_dual_mov_b32 v101, s20 :: v_dual_mov_b32 v104, s23
	s_waitcnt vmcnt(1)
	v_mad_i64_i32 v[1:2], null, v5, s5, s[6:7]
	v_lshlrev_b32_e32 v5, 4, v66
	s_waitcnt vmcnt(0)
	v_mad_i64_i32 v[3:4], null, v6, s5, s[6:7]
	s_or_b32 s6, s16, 0xc0
	s_delay_alu instid0(SALU_CYCLE_1) | instskip(NEXT) | instid1(VALU_DEP_3)
	s_ashr_i32 s7, s6, 5
	v_add_co_u32 v25, vcc_lo, v1, v5
	s_delay_alu instid0(VALU_DEP_4) | instskip(NEXT) | instid1(VALU_DEP_3)
	v_add_co_ci_u32_e32 v26, vcc_lo, 0, v2, vcc_lo
	v_add_co_u32 v27, vcc_lo, v3, v5
	s_delay_alu instid0(VALU_DEP_4)
	v_add_co_ci_u32_e32 v28, vcc_lo, 0, v4, vcc_lo
	s_clause 0xf
	global_load_b128 v[1:4], v[25:26], off
	global_load_b128 v[5:8], v[25:26], off offset:512
	global_load_b128 v[9:12], v[27:28], off offset:256
	;; [unrolled: 1-line block ×15, first 2 shown]
	s_cmp_lt_i32 s6, s18
	ds_load_b128 v[25:28], v137
	ds_load_b128 v[29:32], v137 offset:1024
	s_cselect_b32 s6, s7, s3
	ds_load_b128 v[109:112], v137 offset:2048
	ds_load_b128 v[113:116], v137 offset:3072
	s_ashr_i32 s7, s6, 31
	ds_load_b128 v[117:120], v137 offset:4096
	ds_load_b128 v[121:124], v137 offset:5120
	s_lshl_b64 s[6:7], s[6:7], 2
	s_delay_alu instid0(SALU_CYCLE_1) | instskip(SKIP_2) | instid1(SALU_CYCLE_1)
	s_add_u32 s6, s4, s6
	s_addc_u32 s7, s12, s7
	s_or_b32 s8, s16, 0xe0
	s_ashr_i32 s9, s8, 5
	s_cmp_lt_i32 s8, s18
	s_cselect_b32 s8, s9, s3
	s_delay_alu instid0(SALU_CYCLE_1) | instskip(NEXT) | instid1(SALU_CYCLE_1)
	s_ashr_i32 s9, s8, 31
	s_lshl_b64 s[8:9], s[8:9], 2
	s_delay_alu instid0(SALU_CYCLE_1) | instskip(SKIP_4) | instid1(VALU_DEP_1)
	s_add_u32 s8, s4, s8
	s_addc_u32 s9, s12, s9
	s_add_u32 s3, s10, s15
	s_addc_u32 s4, s11, s13
	v_add_co_u32 v69, s3, s3, v33
	v_add_co_ci_u32_e64 v70, null, s4, 0, s3
	s_clause 0x1
	s_load_b32 s3, s[6:7], 0x0
	s_load_b32 s4, s[8:9], 0x0
	s_waitcnt lgkmcnt(0)
	v_mad_i64_i32 v[33:34], null, s17, s5, v[69:70]
	v_mad_i64_i32 v[71:72], null, s34, s5, v[69:70]
	;; [unrolled: 1-line block ×5, first 2 shown]
	s_clause 0x3
	global_load_b128 v[41:44], v[33:34], off
	global_load_b128 v[45:48], v[33:34], off offset:16
	global_load_b128 v[33:36], v[37:38], off
	global_load_b128 v[37:40], v[37:38], off offset:16
	s_waitcnt vmcnt(18)
	v_wmma_f32_16x16x16_bf16 v[125:132], v[1:8], v[25:32], v[101:108]
	s_waitcnt vmcnt(16)
	v_wmma_f32_16x16x16_bf16 v[101:108], v[9:16], v[25:32], v[101:108]
	v_mad_i64_i32 v[13:14], null, s28, s5, v[69:70]
	s_waitcnt vmcnt(14)
	v_wmma_f32_16x16x16_bf16 v[125:132], v[17:24], v[109:116], v[125:132]
	s_clause 0x1
	global_load_b128 v[25:28], v[71:72], off
	global_load_b128 v[29:32], v[71:72], off offset:16
	s_waitcnt vmcnt(14)
	v_wmma_f32_16x16x16_bf16 v[101:108], v[49:56], v[109:116], v[101:108]
	v_mad_i64_i32 v[49:50], null, s3, s5, v[69:70]
	v_mad_i64_i32 v[53:54], null, s4, s5, v[69:70]
	s_clause 0x5
	global_load_b128 v[17:20], v[133:134], off
	global_load_b128 v[21:24], v[133:134], off offset:16
	global_load_b128 v[1:4], v[135:136], off
	global_load_b128 v[5:8], v[135:136], off offset:16
	global_load_b128 v[9:12], v[13:14], off
	global_load_b128 v[13:16], v[13:14], off offset:16
	s_waitcnt vmcnt(18)
	v_wmma_f32_16x16x16_bf16 v[125:132], v[57:64], v[117:124], v[125:132]
	s_clause 0x3
	global_load_b128 v[57:60], v[49:50], off
	global_load_b128 v[61:64], v[49:50], off offset:16
	global_load_b128 v[49:52], v[53:54], off
	global_load_b128 v[53:56], v[53:54], off offset:16
	s_waitcnt vmcnt(20)
	v_wmma_f32_16x16x16_bf16 v[101:108], v[77:84], v[117:124], v[101:108]
	ds_load_b128 v[77:80], v137 offset:6144
	ds_load_b128 v[81:84], v137 offset:7168
	v_mbcnt_lo_u32_b32 v70, -1, 0
	s_waitcnt vmcnt(0) lgkmcnt(0)
	s_barrier
	buffer_gl0_inv
	v_xor_b32_e32 v71, 16, v70
	s_delay_alu instid0(VALU_DEP_1) | instskip(SKIP_4) | instid1(VALU_DEP_2)
	v_cmp_gt_i32_e32 vcc_lo, 32, v71
	v_cndmask_b32_e32 v70, v70, v71, vcc_lo
	v_wmma_f32_16x16x16_bf16 v[125:132], v[85:92], v[77:84], v[125:132]
	v_and_b32_e32 v69, 0xe0, v0
	v_wmma_f32_16x16x16_bf16 v[101:108], v[93:100], v[77:84], v[101:108]
	v_dual_mul_f32 v94, s19, v131 :: v_dual_add_nc_u32 v69, s16, v69
	s_delay_alu instid0(VALU_DEP_2) | instskip(SKIP_1) | instid1(VALU_DEP_4)
	v_mul_f32_e32 v98, s19, v103
	v_dual_mul_f32 v80, s19, v126 :: v_dual_mul_f32 v81, s19, v128
	v_mul_f32_e32 v96, s19, v101
	s_delay_alu instid0(VALU_DEP_4) | instskip(SKIP_3) | instid1(VALU_DEP_4)
	v_or_b32_e32 v69, v69, v65
	v_dual_mul_f32 v82, s19, v127 :: v_dual_mul_f32 v83, s19, v130
	v_mul_f32_e32 v100, s19, v105
	v_mul_f32_e32 v84, s19, v129
	v_or_b32_e32 v71, 2, v69
	v_or_b32_e32 v72, 4, v69
	;; [unrolled: 1-line block ×3, first 2 shown]
	v_cmp_gt_i32_e64 s3, s18, v69
	v_or_b32_e32 v110, 8, v69
	v_cmp_gt_i32_e32 vcc_lo, s18, v71
	v_mul_f32_e32 v71, s19, v125
	v_or_b32_e32 v85, 10, v69
	v_or_b32_e32 v91, 22, v69
	v_cmp_gt_i32_e64 s4, s18, v72
	v_mul_f32_e32 v72, s19, v107
	v_cndmask_b32_e64 v71, 0xff7fffff, v71, s3
	v_cndmask_b32_e32 v80, 0xff7fffff, v80, vcc_lo
	v_cmp_gt_i32_e64 s5, s18, v109
	v_or_b32_e32 v86, 12, v69
	v_or_b32_e32 v87, 14, v69
	v_cndmask_b32_e64 v82, 0xff7fffff, v82, s4
	v_cmp_gt_i32_e64 s6, s18, v110
	v_cndmask_b32_e64 v81, 0xff7fffff, v81, s5
	v_cmp_gt_i32_e64 s7, s18, v85
	v_cmp_gt_i32_e64 s13, s18, v91
	v_lshlrev_b32_e32 v91, 2, v70
	v_max3_f32 v71, v71, 0xff7fffff, v80
	v_or_b32_e32 v88, 16, v69
	v_or_b32_e32 v89, 18, v69
	v_mul_f32_e32 v93, s19, v132
	v_cndmask_b32_e64 v80, 0xff7fffff, v84, s6
	v_cndmask_b32_e64 v83, 0xff7fffff, v83, s7
	v_max3_f32 v71, v71, v82, v81
	v_cmp_gt_i32_e64 s8, s18, v86
	v_cmp_gt_i32_e64 s9, s18, v87
	v_or_b32_e32 v90, 20, v69
	v_mul_f32_e32 v95, s19, v102
	v_max3_f32 v71, v71, v80, v83
	v_cndmask_b32_e64 v81, 0xff7fffff, v94, s8
	v_cndmask_b32_e64 v82, 0xff7fffff, v93, s9
	v_cmp_gt_i32_e64 s10, s18, v88
	v_cmp_gt_i32_e64 s11, s18, v89
	v_or_b32_e32 v92, 24, v69
	v_or_b32_e32 v77, 26, v69
	v_mul_f32_e32 v97, s19, v104
	v_cndmask_b32_e64 v80, 0xff7fffff, v96, s10
	v_cndmask_b32_e64 v83, 0xff7fffff, v95, s11
	v_max3_f32 v71, v71, v81, v82
	v_cmp_gt_i32_e64 s12, s18, v90
	v_or_b32_e32 v78, 28, v69
	v_or_b32_e32 v79, 30, v69
	v_mul_f32_e32 v99, s19, v106
	v_cndmask_b32_e64 v82, 0xff7fffff, v97, s13
	v_cndmask_b32_e64 v81, 0xff7fffff, v98, s12
	v_max3_f32 v71, v71, v80, v83
	v_cmp_gt_i32_e64 s15, s18, v92
	v_cmp_gt_i32_e64 s16, s18, v77
	v_mul_f32_e32 v69, s19, v108
	v_cmp_gt_i32_e64 s17, s18, v78
	v_max3_f32 v71, v71, v81, v82
	v_cndmask_b32_e64 v80, 0xff7fffff, v100, s15
	v_cndmask_b32_e64 v77, 0xff7fffff, v99, s16
	v_cmp_gt_i32_e64 s18, s18, v79
	v_cndmask_b32_e64 v72, 0xff7fffff, v72, s17
	s_delay_alu instid0(VALU_DEP_3) | instskip(NEXT) | instid1(VALU_DEP_3)
	v_max3_f32 v71, v71, v80, v77
	v_cndmask_b32_e64 v69, 0xff7fffff, v69, s18
	s_delay_alu instid0(VALU_DEP_1) | instskip(SKIP_3) | instid1(VALU_DEP_1)
	v_max3_f32 v69, v71, v72, v69
	ds_bpermute_b32 v70, v91, v69
	s_waitcnt lgkmcnt(0)
	v_max_f32_e32 v70, v70, v70
	v_max_f32_e32 v69, v69, v70
	s_delay_alu instid0(VALU_DEP_1) | instskip(NEXT) | instid1(VALU_DEP_1)
	v_fma_f32 v72, s19, v127, -v69
	v_mul_f32_e32 v72, 0x3fb8aa3b, v72
	s_delay_alu instid0(VALU_DEP_1) | instskip(SKIP_3) | instid1(VALU_DEP_1)
	v_exp_f32_e32 v72, v72
	s_waitcnt_depctr 0xfff
	v_cndmask_b32_e64 v85, 0, v72, s4
	v_fma_f32 v72, s19, v132, -v69
	v_mul_f32_e32 v72, 0x3fb8aa3b, v72
	v_fma_f32 v70, s19, v125, -v69
	v_fma_f32 v78, s19, v129, -v69
	v_fma_f32 v71, s19, v126, -v69
	v_fma_f32 v80, s19, v131, -v69
	v_fma_f32 v77, s19, v128, -v69
	v_mul_f32_e32 v70, 0x3fb8aa3b, v70
	v_mul_f32_e32 v78, 0x3fb8aa3b, v78
	v_exp_f32_e32 v72, v72
	v_mul_f32_e32 v80, 0x3fb8aa3b, v80
	v_fma_f32 v83, s19, v106, -v69
	v_exp_f32_e32 v70, v70
	v_exp_f32_e32 v78, v78
	s_delay_alu instid0(VALU_DEP_2) | instskip(SKIP_2) | instid1(TRANS32_DEP_3)
	v_exp_f32_e32 v80, v80
	v_cndmask_b32_e64 v90, 0, v72, s9
	v_fma_f32 v72, s19, v105, -v69
	v_cndmask_b32_e64 v81, 0, v70, s3
	v_fma_f32 v70, s19, v130, -v69
	v_mul_f32_e32 v71, 0x3fb8aa3b, v71
	s_delay_alu instid0(TRANS32_DEP_2) | instskip(SKIP_1) | instid1(VALU_DEP_4)
	v_cndmask_b32_e64 v88, 0, v78, s6
	v_fma_f32 v78, s19, v102, -v69
	v_dual_mul_f32 v77, 0x3fb8aa3b, v77 :: v_dual_mul_f32 v70, 0x3fb8aa3b, v70
	s_delay_alu instid0(VALU_DEP_4) | instskip(SKIP_1) | instid1(VALU_DEP_3)
	v_exp_f32_e32 v71, v71
	v_cndmask_b32_e64 v86, 0, v80, s8
	v_mul_f32_e32 v78, 0x3fb8aa3b, v78
	s_delay_alu instid0(VALU_DEP_3)
	v_exp_f32_e32 v79, v77
	v_exp_f32_e32 v70, v70
	v_fma_f32 v80, s19, v104, -v69
	v_mul_f32_e32 v72, 0x3fb8aa3b, v72
	v_exp_f32_e32 v78, v78
	s_mov_b32 s3, exec_lo
	s_delay_alu instid0(VALU_DEP_2) | instskip(NEXT) | instid1(VALU_DEP_2)
	v_mul_f32_e32 v80, 0x3fb8aa3b, v80
	v_exp_f32_e32 v84, v72
	v_cndmask_b32_e64 v87, 0, v79, s5
	s_delay_alu instid0(TRANS32_DEP_3) | instskip(SKIP_4) | instid1(VALU_DEP_2)
	v_cndmask_b32_e64 v89, 0, v70, s7
	v_cndmask_b32_e32 v77, 0, v71, vcc_lo
	v_add_f32_e32 v71, 0, v81
	v_fma_f32 v79, s19, v101, -v69
	v_exp_f32_e32 v80, v80
	v_add_f32_e32 v71, v71, v77
	s_delay_alu instid0(VALU_DEP_1) | instskip(NEXT) | instid1(VALU_DEP_1)
	v_add_f32_e32 v71, v71, v85
	v_add_f32_e32 v71, v71, v87
	s_delay_alu instid0(VALU_DEP_1) | instskip(SKIP_1) | instid1(VALU_DEP_1)
	v_add_f32_e32 v70, v71, v88
	v_fma_f32 v71, s19, v103, -v69
	v_dual_add_f32 v70, v70, v89 :: v_dual_mul_f32 v71, 0x3fb8aa3b, v71
	s_delay_alu instid0(VALU_DEP_1) | instskip(NEXT) | instid1(VALU_DEP_2)
	v_add_f32_e32 v70, v70, v86
	v_exp_f32_e32 v82, v71
	s_waitcnt_depctr 0xfff
	v_cndmask_b32_e64 v72, 0, v82, s12
	v_mul_f32_e32 v79, 0x3fb8aa3b, v79
	s_delay_alu instid0(VALU_DEP_1) | instskip(SKIP_4) | instid1(VALU_DEP_2)
	v_exp_f32_e32 v79, v79
	s_waitcnt_depctr 0xfff
	v_cndmask_b32_e64 v71, 0, v79, s10
	v_add_f32_e32 v79, v70, v90
	v_cndmask_b32_e64 v70, 0, v78, s11
	v_add_f32_e32 v78, v79, v71
	v_fma_f32 v79, s19, v107, -v69
	s_delay_alu instid0(VALU_DEP_2) | instskip(SKIP_1) | instid1(VALU_DEP_2)
	v_add_f32_e32 v82, v78, v70
	v_cndmask_b32_e64 v78, 0, v80, s13
	v_dual_mul_f32 v79, 0x3fb8aa3b, v79 :: v_dual_add_f32 v80, v82, v72
	v_fma_f32 v82, s19, v108, -v69
	v_mul_f32_e32 v83, 0x3fb8aa3b, v83
	s_delay_alu instid0(VALU_DEP_3)
	v_exp_f32_e32 v92, v79
	v_cndmask_b32_e64 v79, 0, v84, s15
	v_add_f32_e32 v84, v80, v78
	v_mul_f32_e32 v82, 0x3fb8aa3b, v82
	v_exp_f32_e32 v83, v83
	s_waitcnt_depctr 0xfff
	v_cndmask_b32_e64 v80, 0, v83, s16
	v_add_f32_e32 v83, v84, v79
	v_exp_f32_e32 v84, v82
	v_cndmask_b32_e64 v82, 0, v92, s17
	s_delay_alu instid0(VALU_DEP_2) | instskip(NEXT) | instid1(VALU_DEP_1)
	v_add_f32_e32 v83, v83, v80
	v_add_f32_e32 v92, v83, v82
	s_waitcnt_depctr 0xfff
	v_cndmask_b32_e64 v83, 0, v84, s18
	s_delay_alu instid0(VALU_DEP_1)
	v_add_f32_e32 v84, v92, v83
	ds_bpermute_b32 v91, v91, v84
	v_cmpx_gt_u32_e32 16, v67
	s_cbranch_execz .LBB1887_12
; %bb.11:
	v_mul_u32_u24_e32 v67, 0x44, v68
	s_waitcnt lgkmcnt(0)
	v_add_f32_e32 v84, v84, v91
	s_delay_alu instid0(VALU_DEP_2) | instskip(NEXT) | instid1(VALU_DEP_1)
	v_lshl_add_u32 v67, v66, 2, v67
	v_add_nc_u32_e32 v67, 0x4000, v67
	ds_store_2addr_b32 v67, v69, v84 offset1:136
.LBB1887_12:
	s_or_b32 exec_lo, exec_lo, s3
	v_lshlrev_b32_e32 v67, 2, v66
	s_waitcnt lgkmcnt(0)
	s_barrier
	buffer_gl0_inv
	v_cmp_eq_u32_e32 vcc_lo, 1, v68
	v_add_nc_u32_e32 v84, 0x4000, v67
	v_cmp_eq_u32_e64 s3, 2, v68
	v_cmp_eq_u32_e64 s5, 7, v68
	ds_load_2addr_b32 v[91:92], v84 offset1:17
	ds_load_2addr_b32 v[93:94], v84 offset0:34 offset1:51
	ds_load_2addr_b32 v[95:96], v84 offset0:68 offset1:85
	;; [unrolled: 1-line block ×4, first 2 shown]
	s_waitcnt lgkmcnt(4)
	v_max3_f32 v67, v91, 0xff7fffff, v92
	s_waitcnt lgkmcnt(3)
	s_delay_alu instid0(VALU_DEP_1) | instskip(SKIP_1) | instid1(VALU_DEP_1)
	v_max3_f32 v67, v67, v93, v94
	s_waitcnt lgkmcnt(2)
	v_max3_f32 v67, v67, v95, v96
	s_waitcnt lgkmcnt(1)
	s_delay_alu instid0(VALU_DEP_1) | instskip(NEXT) | instid1(VALU_DEP_1)
	v_max3_f32 v67, v67, v97, v98
	v_sub_f32_e32 v69, v91, v67
	v_sub_f32_e32 v101, v92, v67
	v_sub_f32_e32 v93, v93, v67
	v_sub_f32_e32 v95, v95, v67
	s_delay_alu instid0(VALU_DEP_4) | instskip(NEXT) | instid1(VALU_DEP_4)
	v_mul_f32_e32 v69, 0x3fb8aa3b, v69
	v_mul_f32_e32 v101, 0x3fb8aa3b, v101
	s_delay_alu instid0(VALU_DEP_4) | instskip(NEXT) | instid1(VALU_DEP_4)
	v_mul_f32_e32 v103, 0x3fb8aa3b, v93
	v_mul_f32_e32 v105, 0x3fb8aa3b, v95
	s_delay_alu instid0(VALU_DEP_4) | instskip(SKIP_3) | instid1(VALU_DEP_1)
	v_exp_f32_e32 v102, v69
	v_sub_f32_e32 v69, v94, v67
	v_exp_f32_e32 v101, v101
	v_exp_f32_e32 v103, v103
	v_mul_f32_e32 v104, 0x3fb8aa3b, v69
	s_waitcnt lgkmcnt(0)
	s_delay_alu instid0(TRANS32_DEP_3) | instskip(SKIP_1) | instid1(VALU_DEP_3)
	v_fma_f32 v69, v102, v99, 0
	v_sub_f32_e32 v99, v96, v67
	v_exp_f32_e32 v104, v104
	s_delay_alu instid0(TRANS32_DEP_3) | instid1(VALU_DEP_2)
	v_fmac_f32_e32 v69, v101, v100
	ds_load_2addr_b32 v[91:92], v84 offset0:170 offset1:187
	ds_load_2addr_b32 v[93:94], v84 offset0:204 offset1:221
	;; [unrolled: 1-line block ×3, first 2 shown]
	v_sub_f32_e32 v84, v97, v67
	v_mul_f32_e32 v97, 0x3fb8aa3b, v99
	v_exp_f32_e32 v99, v105
	s_waitcnt lgkmcnt(0)
	s_barrier
	v_mul_f32_e32 v84, 0x3fb8aa3b, v84
	v_exp_f32_e32 v97, v97
	buffer_gl0_inv
	v_exp_f32_e32 v84, v84
	v_fmac_f32_e32 v69, v103, v91
	v_sub_f32_e32 v91, v98, v67
	s_delay_alu instid0(VALU_DEP_2) | instskip(NEXT) | instid1(VALU_DEP_2)
	v_fmac_f32_e32 v69, v104, v92
	v_mul_f32_e32 v91, 0x3fb8aa3b, v91
	s_delay_alu instid0(VALU_DEP_2) | instskip(NEXT) | instid1(VALU_DEP_2)
	v_fmac_f32_e32 v69, v99, v93
	v_exp_f32_e32 v91, v91
	s_delay_alu instid0(VALU_DEP_1)
	v_fmac_f32_e32 v69, v97, v94
	s_delay_alu instid0(TRANS32_DEP_2) | instid1(VALU_DEP_1)
	v_fmac_f32_e32 v69, v84, v95
	s_waitcnt_depctr 0xfff
	v_fmac_f32_e32 v69, v91, v96
	s_delay_alu instid0(VALU_DEP_1) | instskip(NEXT) | instid1(VALU_DEP_1)
	v_add_f32_e32 v92, 0x358637bd, v69
	v_div_scale_f32 v93, null, v92, v92, 1.0
	v_div_scale_f32 v96, s4, 1.0, v92, 1.0
	s_delay_alu instid0(VALU_DEP_2) | instskip(SKIP_2) | instid1(VALU_DEP_1)
	v_rcp_f32_e32 v94, v93
	s_waitcnt_depctr 0xfff
	v_fma_f32 v95, -v93, v94, 1.0
	v_dual_fmac_f32 v94, v95, v94 :: v_dual_cndmask_b32 v95, v102, v101
	v_cmp_eq_u32_e32 vcc_lo, 3, v68
	s_delay_alu instid0(VALU_DEP_2) | instskip(NEXT) | instid1(VALU_DEP_3)
	v_mul_f32_e32 v98, v96, v94
	v_cndmask_b32_e64 v95, v95, v103, s3
	v_cmp_eq_u32_e64 s3, 4, v68
	s_delay_alu instid0(VALU_DEP_3) | instskip(NEXT) | instid1(VALU_DEP_3)
	v_fma_f32 v100, -v93, v98, v96
	v_cndmask_b32_e32 v95, v95, v104, vcc_lo
	v_cmp_eq_u32_e32 vcc_lo, 5, v68
	s_delay_alu instid0(VALU_DEP_3) | instskip(NEXT) | instid1(VALU_DEP_3)
	v_fmac_f32_e32 v98, v100, v94
	v_cndmask_b32_e64 v95, v95, v99, s3
	v_cmp_eq_u32_e64 s3, 6, v68
	s_delay_alu instid0(VALU_DEP_3) | instskip(NEXT) | instid1(VALU_DEP_3)
	v_fma_f32 v93, -v93, v98, v96
	v_cndmask_b32_e32 v95, v95, v97, vcc_lo
	s_mov_b32 vcc_lo, s4
	s_delay_alu instid0(VALU_DEP_2) | instskip(NEXT) | instid1(VALU_DEP_2)
	v_div_fmas_f32 v93, v93, v94, v98
	v_cndmask_b32_e64 v84, v95, v84, s3
	s_mov_b32 s3, exec_lo
	s_delay_alu instid0(VALU_DEP_2) | instskip(NEXT) | instid1(VALU_DEP_2)
	v_div_fixup_f32 v92, v93, v92, 1.0
	v_cndmask_b32_e64 v84, v84, v91, s5
	s_delay_alu instid0(VALU_DEP_1) | instskip(NEXT) | instid1(VALU_DEP_1)
	v_mul_f32_e32 v84, v84, v92
	v_mul_f32_e32 v92, v84, v81
	;; [unrolled: 1-line block ×6, first 2 shown]
	v_dual_mul_f32 v88, v84, v85 :: v_dual_and_b32 v93, 0x7f800000, v92
	v_mul_f32_e32 v91, v84, v87
	v_mul_f32_e32 v87, v84, v77
                                        ; implicit-def: $vgpr77
	s_delay_alu instid0(VALU_DEP_3)
	v_cmpx_ne_u32_e32 0x7f800000, v93
	s_xor_b32 s3, exec_lo, s3
; %bb.13:
	v_bfe_u32 v77, v92, 16, 1
	s_delay_alu instid0(VALU_DEP_1)
	v_add3_u32 v77, v92, v77, 0x7fff
                                        ; implicit-def: $vgpr92
; %bb.14:
	s_and_not1_saveexec_b32 s3, s3
; %bb.15:
	v_and_b32_e32 v77, 0xffff, v92
	v_or_b32_e32 v85, 0x10000, v92
	s_delay_alu instid0(VALU_DEP_2) | instskip(NEXT) | instid1(VALU_DEP_2)
	v_cmp_eq_u32_e32 vcc_lo, 0, v77
	v_cndmask_b32_e32 v77, v85, v92, vcc_lo
; %bb.16:
	s_or_b32 exec_lo, exec_lo, s3
	v_and_b32_e32 v85, 0x7f800000, v87
	s_delay_alu instid0(VALU_DEP_1) | instskip(SKIP_1) | instid1(SALU_CYCLE_1)
	v_cmp_ne_u32_e32 vcc_lo, 0x7f800000, v85
                                        ; implicit-def: $vgpr85
	s_and_saveexec_b32 s3, vcc_lo
	s_xor_b32 s3, exec_lo, s3
; %bb.17:
	v_bfe_u32 v85, v87, 16, 1
	s_delay_alu instid0(VALU_DEP_1)
	v_add3_u32 v85, v87, v85, 0x7fff
                                        ; implicit-def: $vgpr87
; %bb.18:
	s_and_not1_saveexec_b32 s3, s3
; %bb.19:
	v_and_b32_e32 v85, 0xffff, v87
	v_or_b32_e32 v92, 0x10000, v87
	s_delay_alu instid0(VALU_DEP_2) | instskip(NEXT) | instid1(VALU_DEP_2)
	v_cmp_eq_u32_e32 vcc_lo, 0, v85
	v_cndmask_b32_e32 v85, v92, v87, vcc_lo
; %bb.20:
	s_or_b32 exec_lo, exec_lo, s3
	v_and_b32_e32 v87, 0x7f800000, v88
	s_delay_alu instid0(VALU_DEP_1) | instskip(SKIP_1) | instid1(SALU_CYCLE_1)
	v_cmp_ne_u32_e32 vcc_lo, 0x7f800000, v87
                                        ; implicit-def: $vgpr87
	s_and_saveexec_b32 s3, vcc_lo
	s_xor_b32 s3, exec_lo, s3
; %bb.21:
	v_bfe_u32 v87, v88, 16, 1
	s_delay_alu instid0(VALU_DEP_1)
	v_add3_u32 v87, v88, v87, 0x7fff
                                        ; implicit-def: $vgpr88
; %bb.22:
	s_and_not1_saveexec_b32 s3, s3
; %bb.23:
	v_and_b32_e32 v87, 0xffff, v88
	v_or_b32_e32 v92, 0x10000, v88
	s_delay_alu instid0(VALU_DEP_2) | instskip(NEXT) | instid1(VALU_DEP_2)
	v_cmp_eq_u32_e32 vcc_lo, 0, v87
	v_cndmask_b32_e32 v87, v92, v88, vcc_lo
; %bb.24:
	s_or_b32 exec_lo, exec_lo, s3
	v_and_b32_e32 v88, 0x7f800000, v91
	s_delay_alu instid0(VALU_DEP_1) | instskip(SKIP_1) | instid1(SALU_CYCLE_1)
	v_cmp_ne_u32_e32 vcc_lo, 0x7f800000, v88
                                        ; implicit-def: $vgpr88
	s_and_saveexec_b32 s3, vcc_lo
	s_xor_b32 s3, exec_lo, s3
; %bb.25:
	v_bfe_u32 v88, v91, 16, 1
	s_delay_alu instid0(VALU_DEP_1)
	v_add3_u32 v88, v91, v88, 0x7fff
                                        ; implicit-def: $vgpr91
; %bb.26:
	s_and_not1_saveexec_b32 s3, s3
; %bb.27:
	v_and_b32_e32 v88, 0xffff, v91
	v_or_b32_e32 v92, 0x10000, v91
	s_delay_alu instid0(VALU_DEP_2) | instskip(NEXT) | instid1(VALU_DEP_2)
	v_cmp_eq_u32_e32 vcc_lo, 0, v88
	v_cndmask_b32_e32 v88, v92, v91, vcc_lo
; %bb.28:
	s_or_b32 exec_lo, exec_lo, s3
	v_and_b32_e32 v91, 0x7f800000, v90
	s_delay_alu instid0(VALU_DEP_1) | instskip(SKIP_1) | instid1(SALU_CYCLE_1)
	v_cmp_ne_u32_e32 vcc_lo, 0x7f800000, v91
                                        ; implicit-def: $vgpr91
	s_and_saveexec_b32 s3, vcc_lo
	s_xor_b32 s3, exec_lo, s3
; %bb.29:
	v_bfe_u32 v91, v90, 16, 1
	s_delay_alu instid0(VALU_DEP_1)
	v_add3_u32 v91, v90, v91, 0x7fff
                                        ; implicit-def: $vgpr90
; %bb.30:
	s_and_not1_saveexec_b32 s3, s3
; %bb.31:
	v_and_b32_e32 v91, 0xffff, v90
	v_or_b32_e32 v92, 0x10000, v90
	s_delay_alu instid0(VALU_DEP_2) | instskip(NEXT) | instid1(VALU_DEP_2)
	v_cmp_eq_u32_e32 vcc_lo, 0, v91
	v_cndmask_b32_e32 v91, v92, v90, vcc_lo
; %bb.32:
	s_or_b32 exec_lo, exec_lo, s3
	v_and_b32_e32 v90, 0x7f800000, v89
	s_delay_alu instid0(VALU_DEP_1) | instskip(SKIP_1) | instid1(SALU_CYCLE_1)
	v_cmp_ne_u32_e32 vcc_lo, 0x7f800000, v90
                                        ; implicit-def: $vgpr90
	s_and_saveexec_b32 s3, vcc_lo
	s_xor_b32 s3, exec_lo, s3
; %bb.33:
	v_bfe_u32 v90, v89, 16, 1
	s_delay_alu instid0(VALU_DEP_1)
	v_add3_u32 v90, v89, v90, 0x7fff
                                        ; implicit-def: $vgpr89
; %bb.34:
	s_and_not1_saveexec_b32 s3, s3
; %bb.35:
	v_and_b32_e32 v90, 0xffff, v89
	v_or_b32_e32 v92, 0x10000, v89
	s_delay_alu instid0(VALU_DEP_2) | instskip(NEXT) | instid1(VALU_DEP_2)
	v_cmp_eq_u32_e32 vcc_lo, 0, v90
	v_cndmask_b32_e32 v90, v92, v89, vcc_lo
; %bb.36:
	s_or_b32 exec_lo, exec_lo, s3
	v_and_b32_e32 v89, 0x7f800000, v86
	s_delay_alu instid0(VALU_DEP_1) | instskip(SKIP_1) | instid1(SALU_CYCLE_1)
	v_cmp_ne_u32_e32 vcc_lo, 0x7f800000, v89
                                        ; implicit-def: $vgpr89
	s_and_saveexec_b32 s3, vcc_lo
	s_xor_b32 s3, exec_lo, s3
; %bb.37:
	v_bfe_u32 v89, v86, 16, 1
	s_delay_alu instid0(VALU_DEP_1)
	v_add3_u32 v89, v86, v89, 0x7fff
                                        ; implicit-def: $vgpr86
; %bb.38:
	s_and_not1_saveexec_b32 s3, s3
; %bb.39:
	v_and_b32_e32 v89, 0xffff, v86
	v_or_b32_e32 v92, 0x10000, v86
	s_delay_alu instid0(VALU_DEP_2) | instskip(NEXT) | instid1(VALU_DEP_2)
	v_cmp_eq_u32_e32 vcc_lo, 0, v89
	v_cndmask_b32_e32 v89, v92, v86, vcc_lo
; %bb.40:
	s_or_b32 exec_lo, exec_lo, s3
	v_and_b32_e32 v86, 0x7f800000, v81
	s_delay_alu instid0(VALU_DEP_1) | instskip(SKIP_1) | instid1(SALU_CYCLE_1)
	v_cmp_ne_u32_e32 vcc_lo, 0x7f800000, v86
                                        ; implicit-def: $vgpr86
	s_and_saveexec_b32 s3, vcc_lo
	s_xor_b32 s3, exec_lo, s3
; %bb.41:
	v_bfe_u32 v86, v81, 16, 1
	s_delay_alu instid0(VALU_DEP_1)
	v_add3_u32 v86, v81, v86, 0x7fff
                                        ; implicit-def: $vgpr81
; %bb.42:
	s_and_not1_saveexec_b32 s3, s3
; %bb.43:
	v_and_b32_e32 v86, 0xffff, v81
	v_or_b32_e32 v92, 0x10000, v81
	s_delay_alu instid0(VALU_DEP_2) | instskip(NEXT) | instid1(VALU_DEP_2)
	v_cmp_eq_u32_e32 vcc_lo, 0, v86
	v_cndmask_b32_e32 v86, v92, v81, vcc_lo
; %bb.44:
	s_or_b32 exec_lo, exec_lo, s3
	s_load_b64 s[34:35], s[0:1], 0x94
	v_lshlrev_b32_e32 v93, 4, v65
	s_delay_alu instid0(VALU_DEP_2)
	v_perm_b32 v92, v86, v89, 0x7060302
	v_dual_mul_f32 v80, v84, v80 :: v_dual_lshlrev_b32 v81, 6, v66
	v_lshlrev_b32_e32 v66, 11, v68
	v_perm_b32 v89, v85, v77, 0x7060302
	v_mul_f32_e32 v85, v84, v71
	v_perm_b32 v91, v90, v91, 0x7060302
	v_perm_b32 v90, v88, v87, 0x7060302
	v_or3_b32 v77, v93, v66, v81
	v_mul_f32_e32 v66, v84, v83
	v_dual_mul_f32 v71, v84, v82 :: v_dual_and_b32 v86, 0x7f800000, v85
	v_mul_f32_e32 v79, v84, v79
	v_mul_f32_e32 v83, v84, v78
	v_mul_f32_e32 v82, v84, v72
	v_mul_f32_e32 v78, v84, v70
	s_mov_b32 s3, exec_lo
	ds_store_b128 v77, v[89:92]
                                        ; implicit-def: $vgpr70
	v_cmpx_ne_u32_e32 0x7f800000, v86
	s_xor_b32 s3, exec_lo, s3
; %bb.45:
	v_bfe_u32 v70, v85, 16, 1
	s_delay_alu instid0(VALU_DEP_1)
	v_add3_u32 v70, v85, v70, 0x7fff
                                        ; implicit-def: $vgpr85
; %bb.46:
	s_and_not1_saveexec_b32 s3, s3
; %bb.47:
	v_and_b32_e32 v70, 0xffff, v85
	v_or_b32_e32 v72, 0x10000, v85
	s_delay_alu instid0(VALU_DEP_2) | instskip(NEXT) | instid1(VALU_DEP_2)
	v_cmp_eq_u32_e32 vcc_lo, 0, v70
	v_cndmask_b32_e32 v70, v72, v85, vcc_lo
; %bb.48:
	s_or_b32 exec_lo, exec_lo, s3
	v_and_b32_e32 v72, 0x7f800000, v78
	s_delay_alu instid0(VALU_DEP_1) | instskip(SKIP_1) | instid1(SALU_CYCLE_1)
	v_cmp_ne_u32_e32 vcc_lo, 0x7f800000, v72
                                        ; implicit-def: $vgpr72
	s_and_saveexec_b32 s3, vcc_lo
	s_xor_b32 s3, exec_lo, s3
; %bb.49:
	v_bfe_u32 v72, v78, 16, 1
	s_delay_alu instid0(VALU_DEP_1)
	v_add3_u32 v72, v78, v72, 0x7fff
                                        ; implicit-def: $vgpr78
; %bb.50:
	s_and_not1_saveexec_b32 s3, s3
; %bb.51:
	v_and_b32_e32 v72, 0xffff, v78
	v_or_b32_e32 v84, 0x10000, v78
	s_delay_alu instid0(VALU_DEP_2) | instskip(NEXT) | instid1(VALU_DEP_2)
	v_cmp_eq_u32_e32 vcc_lo, 0, v72
	v_cndmask_b32_e32 v72, v84, v78, vcc_lo
; %bb.52:
	s_or_b32 exec_lo, exec_lo, s3
	v_and_b32_e32 v78, 0x7f800000, v82
	s_delay_alu instid0(VALU_DEP_1) | instskip(SKIP_1) | instid1(SALU_CYCLE_1)
	v_cmp_ne_u32_e32 vcc_lo, 0x7f800000, v78
                                        ; implicit-def: $vgpr78
	s_and_saveexec_b32 s3, vcc_lo
	s_xor_b32 s3, exec_lo, s3
; %bb.53:
	v_bfe_u32 v78, v82, 16, 1
	s_delay_alu instid0(VALU_DEP_1)
	v_add3_u32 v78, v82, v78, 0x7fff
                                        ; implicit-def: $vgpr82
; %bb.54:
	s_and_not1_saveexec_b32 s3, s3
; %bb.55:
	v_and_b32_e32 v78, 0xffff, v82
	v_or_b32_e32 v84, 0x10000, v82
	s_delay_alu instid0(VALU_DEP_2) | instskip(NEXT) | instid1(VALU_DEP_2)
	v_cmp_eq_u32_e32 vcc_lo, 0, v78
	v_cndmask_b32_e32 v78, v84, v82, vcc_lo
; %bb.56:
	s_or_b32 exec_lo, exec_lo, s3
	v_and_b32_e32 v82, 0x7f800000, v83
	s_delay_alu instid0(VALU_DEP_1) | instskip(SKIP_1) | instid1(SALU_CYCLE_1)
	v_cmp_ne_u32_e32 vcc_lo, 0x7f800000, v82
                                        ; implicit-def: $vgpr82
	s_and_saveexec_b32 s3, vcc_lo
	s_xor_b32 s3, exec_lo, s3
; %bb.57:
	v_bfe_u32 v82, v83, 16, 1
	s_delay_alu instid0(VALU_DEP_1)
	v_add3_u32 v82, v83, v82, 0x7fff
                                        ; implicit-def: $vgpr83
; %bb.58:
	s_and_not1_saveexec_b32 s3, s3
; %bb.59:
	v_and_b32_e32 v82, 0xffff, v83
	v_or_b32_e32 v84, 0x10000, v83
	s_delay_alu instid0(VALU_DEP_2) | instskip(NEXT) | instid1(VALU_DEP_2)
	v_cmp_eq_u32_e32 vcc_lo, 0, v82
	v_cndmask_b32_e32 v82, v84, v83, vcc_lo
; %bb.60:
	s_or_b32 exec_lo, exec_lo, s3
	v_and_b32_e32 v83, 0x7f800000, v79
	s_delay_alu instid0(VALU_DEP_1) | instskip(SKIP_1) | instid1(SALU_CYCLE_1)
	v_cmp_ne_u32_e32 vcc_lo, 0x7f800000, v83
                                        ; implicit-def: $vgpr83
	s_and_saveexec_b32 s3, vcc_lo
	s_xor_b32 s3, exec_lo, s3
; %bb.61:
	v_bfe_u32 v83, v79, 16, 1
	s_delay_alu instid0(VALU_DEP_1)
	v_add3_u32 v83, v79, v83, 0x7fff
                                        ; implicit-def: $vgpr79
; %bb.62:
	s_and_not1_saveexec_b32 s3, s3
; %bb.63:
	v_and_b32_e32 v83, 0xffff, v79
	v_or_b32_e32 v84, 0x10000, v79
	s_delay_alu instid0(VALU_DEP_2) | instskip(NEXT) | instid1(VALU_DEP_2)
	v_cmp_eq_u32_e32 vcc_lo, 0, v83
	v_cndmask_b32_e32 v83, v84, v79, vcc_lo
; %bb.64:
	s_or_b32 exec_lo, exec_lo, s3
	v_and_b32_e32 v79, 0x7f800000, v80
	s_delay_alu instid0(VALU_DEP_1) | instskip(SKIP_1) | instid1(SALU_CYCLE_1)
	v_cmp_ne_u32_e32 vcc_lo, 0x7f800000, v79
                                        ; implicit-def: $vgpr79
	s_and_saveexec_b32 s3, vcc_lo
	s_xor_b32 s3, exec_lo, s3
; %bb.65:
	v_bfe_u32 v79, v80, 16, 1
	s_delay_alu instid0(VALU_DEP_1)
	v_add3_u32 v79, v80, v79, 0x7fff
                                        ; implicit-def: $vgpr80
; %bb.66:
	s_and_not1_saveexec_b32 s3, s3
; %bb.67:
	v_and_b32_e32 v79, 0xffff, v80
	v_or_b32_e32 v84, 0x10000, v80
	s_delay_alu instid0(VALU_DEP_2) | instskip(NEXT) | instid1(VALU_DEP_2)
	v_cmp_eq_u32_e32 vcc_lo, 0, v79
	v_cndmask_b32_e32 v79, v84, v80, vcc_lo
; %bb.68:
	s_or_b32 exec_lo, exec_lo, s3
	v_and_b32_e32 v80, 0x7f800000, v71
	s_delay_alu instid0(VALU_DEP_1) | instskip(SKIP_1) | instid1(SALU_CYCLE_1)
	v_cmp_ne_u32_e32 vcc_lo, 0x7f800000, v80
                                        ; implicit-def: $vgpr80
	s_and_saveexec_b32 s3, vcc_lo
	s_xor_b32 s3, exec_lo, s3
; %bb.69:
	v_bfe_u32 v80, v71, 16, 1
	s_delay_alu instid0(VALU_DEP_1)
	v_add3_u32 v80, v71, v80, 0x7fff
                                        ; implicit-def: $vgpr71
; %bb.70:
	s_and_not1_saveexec_b32 s3, s3
; %bb.71:
	v_and_b32_e32 v80, 0xffff, v71
	v_or_b32_e32 v84, 0x10000, v71
	s_delay_alu instid0(VALU_DEP_2) | instskip(NEXT) | instid1(VALU_DEP_2)
	v_cmp_eq_u32_e32 vcc_lo, 0, v80
	v_cndmask_b32_e32 v80, v84, v71, vcc_lo
; %bb.72:
	s_or_b32 exec_lo, exec_lo, s3
	v_and_b32_e32 v71, 0x7f800000, v66
	s_delay_alu instid0(VALU_DEP_1) | instskip(SKIP_1) | instid1(SALU_CYCLE_1)
	v_cmp_ne_u32_e32 vcc_lo, 0x7f800000, v71
                                        ; implicit-def: $vgpr71
	s_and_saveexec_b32 s3, vcc_lo
	s_xor_b32 s3, exec_lo, s3
; %bb.73:
	v_bfe_u32 v71, v66, 16, 1
	s_delay_alu instid0(VALU_DEP_1)
	v_add3_u32 v71, v66, v71, 0x7fff
                                        ; implicit-def: $vgpr66
; %bb.74:
	s_and_not1_saveexec_b32 s3, s3
; %bb.75:
	v_and_b32_e32 v71, 0xffff, v66
	v_or_b32_e32 v84, 0x10000, v66
	s_delay_alu instid0(VALU_DEP_2) | instskip(NEXT) | instid1(VALU_DEP_2)
	v_cmp_eq_u32_e32 vcc_lo, 0, v71
	v_cndmask_b32_e32 v71, v84, v66, vcc_lo
; %bb.76:
	s_or_b32 exec_lo, exec_lo, s3
	s_delay_alu instid0(VALU_DEP_1)
	v_perm_b32 v87, v71, v80, 0x7060302
	v_perm_b32 v86, v79, v83, 0x7060302
	;; [unrolled: 1-line block ×4, first 2 shown]
	v_lshl_or_b32 v83, v68, 11, v81
	ds_store_b128 v77, v[84:87] offset:1024
	s_waitcnt lgkmcnt(0)
	s_barrier
	buffer_gl0_inv
	ds_load_b128 v[84:87], v83
	ds_load_b128 v[88:91], v83 offset:16
	s_waitcnt lgkmcnt(1)
	v_lshrrev_b32_e32 v70, 16, v87
	s_waitcnt lgkmcnt(0)
	v_lshrrev_b32_e32 v71, 16, v88
	v_lshlrev_b32_e32 v79, 2, v65
	v_lshrrev_b32_e32 v65, 16, v84
	v_lshrrev_b32_e32 v66, 16, v85
	;; [unrolled: 1-line block ×4, first 2 shown]
	v_cmp_eq_u32_e32 vcc_lo, 1, v79
	v_lshrrev_b32_e32 v100, 16, v90
	v_lshrrev_b32_e32 v101, 16, v91
	v_cndmask_b32_e32 v92, v88, v71, vcc_lo
	v_or_b32_e32 v80, 1, v79
	v_cndmask_b32_e32 v82, v84, v65, vcc_lo
	v_cmp_eq_u32_e64 s4, 2, v79
	v_cmp_eq_u32_e64 s7, 3, v79
	;; [unrolled: 1-line block ×5, first 2 shown]
	v_cndmask_b32_e64 v82, v82, v85, s4
	v_cndmask_b32_e64 v92, v92, v89, s4
	v_cmp_eq_u32_e64 s8, 3, v80
	v_cndmask_b32_e64 v93, v84, v65, s3
	v_or_b32_e32 v78, 2, v79
	v_cndmask_b32_e64 v82, v82, v66, s7
	v_cndmask_b32_e64 v92, v92, v72, s7
	;; [unrolled: 1-line block ×4, first 2 shown]
	v_cmp_eq_u32_e64 s10, 5, v79
	v_cndmask_b32_e64 v82, v82, v86, s9
	v_cndmask_b32_e64 v92, v92, v90, s9
	v_cmp_eq_u32_e64 s11, 4, v80
	v_cndmask_b32_e64 v93, v93, v66, s8
	v_cmp_eq_u32_e64 s5, 1, v78
	v_cndmask_b32_e64 v94, v94, v89, s6
	v_cndmask_b32_e64 v82, v82, v68, s10
	v_cmp_eq_u32_e64 s12, 6, v79
	v_cndmask_b32_e64 v93, v93, v86, s11
	;; [unrolled: 3-line block ×3, first 2 shown]
	v_cndmask_b32_e64 v94, v94, v72, s8
	v_cndmask_b32_e64 v82, v82, v87, s12
	v_cmp_eq_u32_e64 s15, 7, v79
	v_cndmask_b32_e64 v93, v93, v68, s13
	v_cndmask_b32_e64 v92, v92, v91, s12
	v_cmp_eq_u32_e64 s16, 6, v80
	v_cmp_eq_u32_e64 s17, 2, v78
	v_cndmask_b32_e64 v94, v94, v90, s11
	v_cndmask_b32_e64 v102, v82, v70, s15
	;; [unrolled: 1-line block ×6, first 2 shown]
	v_cmp_eq_u32_e64 s18, 7, v80
	v_cmp_eq_u32_e64 s19, 3, v78
	;; [unrolled: 1-line block ×4, first 2 shown]
	v_cndmask_b32_e64 v92, v92, v89, s17
	v_cndmask_b32_e64 v104, v93, v70, s18
	;; [unrolled: 1-line block ×4, first 2 shown]
	v_or_b32_e32 v82, 3, v79
	v_cndmask_b32_e64 v97, v92, v72, s19
	v_cmp_eq_u32_e64 s24, 6, v78
	v_cndmask_b32_e64 v105, v93, v91, s16
	v_cndmask_b32_e64 v96, v94, v86, s20
	v_cmp_eq_u32_e64 s21, 1, v82
	ds_load_b128 v[92:95], v83 offset:1024
	v_cmp_eq_u32_e64 s23, 2, v82
	v_cmp_eq_u32_e64 s25, 3, v82
	v_cndmask_b32_e64 v106, v96, v68, s22
	v_cndmask_b32_e64 v65, v84, v65, s21
	;; [unrolled: 1-line block ×3, first 2 shown]
	ds_load_b128 v[96:99], v83 offset:1040
	v_cndmask_b32_e64 v71, v88, v71, s21
	v_cmp_eq_u32_e64 s26, 4, v82
	v_cndmask_b32_e64 v65, v65, v85, s23
	v_cmp_eq_u32_e64 s28, 5, v82
	v_cmp_eq_u32_e64 s29, 6, v82
	v_cndmask_b32_e64 v71, v71, v89, s23
	v_cndmask_b32_e64 v84, v84, v100, s22
	;; [unrolled: 1-line block ×4, first 2 shown]
	v_cmp_eq_u32_e64 s27, 7, v78
	v_cndmask_b32_e64 v71, v71, v72, s25
	v_cndmask_b32_e64 v84, v84, v91, s24
	;; [unrolled: 1-line block ×3, first 2 shown]
	s_waitcnt lgkmcnt(1)
	v_lshrrev_b32_e32 v72, 16, v92
	v_lshrrev_b32_e32 v88, 16, v93
	v_cndmask_b32_e64 v71, v71, v90, s26
	v_cndmask_b32_e64 v66, v66, v70, s27
	;; [unrolled: 1-line block ×3, first 2 shown]
	v_cndmask_b32_e32 v86, v92, v72, vcc_lo
	v_cndmask_b32_e64 v89, v92, v72, s3
	v_cndmask_b32_e64 v68, v71, v100, s28
	s_waitcnt lgkmcnt(0)
	v_lshrrev_b32_e32 v71, 16, v96
	v_cndmask_b32_e64 v65, v65, v87, s29
	v_cndmask_b32_e64 v86, v86, v93, s4
	;; [unrolled: 1-line block ×4, first 2 shown]
	v_cndmask_b32_e32 v90, v96, v71, vcc_lo
	v_cmp_eq_u32_e32 vcc_lo, 7, v82
	v_cndmask_b32_e64 v86, v86, v88, s7
	v_cndmask_b32_e64 v87, v87, v88, s8
	v_lshrrev_b32_e32 v91, 16, v94
	v_cndmask_b32_e64 v89, v90, v97, s4
	v_lshrrev_b32_e32 v90, 16, v97
	v_cndmask_b32_e64 v86, v86, v94, s9
	v_dual_cndmask_b32 v65, v65, v70 :: v_dual_cndmask_b32 v68, v68, v101
	v_cndmask_b32_e64 v70, v87, v94, s11
	s_delay_alu instid0(VALU_DEP_4) | instskip(NEXT) | instid1(VALU_DEP_4)
	v_cndmask_b32_e64 v89, v89, v90, s7
	v_cndmask_b32_e64 v86, v86, v91, s10
	v_lshrrev_b32_e32 v100, 16, v98
	v_cndmask_b32_e64 v84, v84, v101, s27
	v_perm_b32 v87, v68, v65, 0x5040100
	v_cndmask_b32_e64 v89, v89, v98, s9
	v_cndmask_b32_e64 v65, v70, v91, s13
	;; [unrolled: 1-line block ×3, first 2 shown]
	v_lshrrev_b32_e32 v70, 16, v95
	v_cndmask_b32_e64 v85, v105, v101, s18
	v_cndmask_b32_e64 v89, v89, v100, s10
	v_perm_b32 v86, v84, v66, 0x5040100
	v_cndmask_b32_e64 v101, v96, v71, s5
	v_cndmask_b32_e64 v66, v68, v70, s15
	;; [unrolled: 1-line block ×8, first 2 shown]
	v_lshrrev_b32_e32 v84, 16, v99
	v_cndmask_b32_e64 v89, v89, v93, s17
	v_cndmask_b32_e64 v72, v72, v93, s23
	;; [unrolled: 1-line block ×27, first 2 shown]
	v_cndmask_b32_e32 v70, v72, v70, vcc_lo
	v_cndmask_b32_e32 v72, v88, v84, vcc_lo
	v_cndmask_b32_e64 v88, v90, v84, s27
	v_cndmask_b32_e64 v71, v71, v84, s18
	v_cndmask_b32_e64 v68, v68, v84, s15
	v_perm_b32 v85, v85, v104, 0x5040100
	v_perm_b32 v84, v103, v102, 0x5040100
	v_perm_b32 v91, v72, v70, 0x5040100
	v_perm_b32 v90, v88, v89, 0x5040100
	v_perm_b32 v89, v71, v65, 0x5040100
	v_perm_b32 v88, v68, v66, 0x5040100
	s_lshl_b32 s8, s35, 1
	s_mov_b32 s3, exec_lo
	ds_store_b128 v77, v[84:87]
	ds_store_b128 v77, v[88:91] offset:1024
	v_cmpx_gt_u32_e32 2, v0
	s_cbranch_execz .LBB1887_78
; %bb.77:
	v_or_b32_e32 v65, s31, v0
	s_load_b128 s[4:7], s[0:1], 0x58
	s_delay_alu instid0(VALU_DEP_1) | instskip(NEXT) | instid1(VALU_DEP_1)
	v_mad_u64_u32 v[70:71], null, s8, s30, v[65:66]
	v_mad_u64_u32 v[65:66], null, v70, s34, s[14:15]
	s_delay_alu instid0(VALU_DEP_1) | instskip(NEXT) | instid1(VALU_DEP_1)
	v_ashrrev_i32_e32 v66, 31, v65
	v_lshlrev_b64 v[65:66], 2, v[65:66]
	s_waitcnt lgkmcnt(0)
	s_delay_alu instid0(VALU_DEP_1) | instskip(NEXT) | instid1(VALU_DEP_2)
	v_add_co_u32 v70, vcc_lo, s6, v65
	v_add_co_ci_u32_e32 v71, vcc_lo, s7, v66, vcc_lo
	v_add_co_u32 v65, vcc_lo, s4, v65
	v_add_co_ci_u32_e32 v66, vcc_lo, s5, v66, vcc_lo
	global_store_b32 v[70:71], v67, off
	global_store_b32 v[65:66], v69, off
.LBB1887_78:
	s_or_b32 exec_lo, exec_lo, s3
	s_waitcnt lgkmcnt(0)
	s_waitcnt_vscnt null, 0x0
	s_barrier
	buffer_gl0_inv
	ds_load_b128 v[84:87], v81
	ds_load_b128 v[88:91], v81 offset:16
	ds_load_b128 v[96:99], v81 offset:2064
	;; [unrolled: 1-line block ×3, first 2 shown]
	v_mov_b32_e32 v65, 0
	ds_load_b128 v[104:107], v81 offset:4112
	ds_load_b128 v[100:103], v81 offset:4096
	;; [unrolled: 1-line block ×4, first 2 shown]
	v_mov_b32_e32 v66, v65
	v_mov_b32_e32 v67, v65
	;; [unrolled: 1-line block ×7, first 2 shown]
	s_waitcnt lgkmcnt(6)
	s_delay_alu instid0(VALU_DEP_1)
	v_wmma_f32_16x16x16_bf16 v[65:72], v[41:48], v[84:91], v[65:72]
	ds_load_b128 v[45:48], v81 offset:8208
	ds_load_b128 v[41:44], v81 offset:8192
	s_waitcnt lgkmcnt(6)
	v_wmma_f32_16x16x16_bf16 v[65:72], v[33:40], v[92:99], v[65:72]
	ds_load_b128 v[37:40], v81 offset:10256
	ds_load_b128 v[33:36], v81 offset:10240
	s_waitcnt lgkmcnt(6)
	;; [unrolled: 4-line block ×4, first 2 shown]
	v_wmma_f32_16x16x16_bf16 v[65:72], v[1:8], v[41:48], v[65:72]
	s_waitcnt lgkmcnt(4)
	s_delay_alu instid0(VALU_DEP_1) | instskip(SKIP_1) | instid1(VALU_DEP_1)
	v_wmma_f32_16x16x16_bf16 v[65:72], v[9:16], v[33:40], v[65:72]
	s_waitcnt lgkmcnt(2)
	v_wmma_f32_16x16x16_bf16 v[65:72], v[57:64], v[25:32], v[65:72]
	s_waitcnt lgkmcnt(0)
	s_delay_alu instid0(VALU_DEP_1) | instskip(NEXT) | instid1(VALU_DEP_1)
	v_wmma_f32_16x16x16_bf16 v[65:72], v[49:56], v[17:24], v[65:72]
	v_and_b32_e32 v1, 0x7f800000, v65
	s_delay_alu instid0(VALU_DEP_1) | instskip(SKIP_1) | instid1(SALU_CYCLE_1)
	v_cmp_ne_u32_e32 vcc_lo, 0x7f800000, v1
                                        ; implicit-def: $vgpr1
	s_and_saveexec_b32 s3, vcc_lo
	s_xor_b32 s3, exec_lo, s3
; %bb.79:
	v_bfe_u32 v1, v65, 16, 1
	s_delay_alu instid0(VALU_DEP_1)
	v_add3_u32 v1, v65, v1, 0x7fff
; %bb.80:
	s_and_not1_saveexec_b32 s3, s3
; %bb.81:
	v_and_b32_e32 v1, 0xffff, v65
	v_or_b32_e32 v2, 0x10000, v65
	s_delay_alu instid0(VALU_DEP_2) | instskip(NEXT) | instid1(VALU_DEP_2)
	v_cmp_eq_u32_e32 vcc_lo, 0, v1
	v_cndmask_b32_e32 v1, v2, v65, vcc_lo
; %bb.82:
	s_or_b32 exec_lo, exec_lo, s3
	v_and_b32_e32 v2, 0x7f800000, v66
	s_delay_alu instid0(VALU_DEP_1) | instskip(SKIP_1) | instid1(SALU_CYCLE_1)
	v_cmp_ne_u32_e32 vcc_lo, 0x7f800000, v2
                                        ; implicit-def: $vgpr2
	s_and_saveexec_b32 s3, vcc_lo
	s_xor_b32 s3, exec_lo, s3
; %bb.83:
	v_bfe_u32 v2, v66, 16, 1
	s_delay_alu instid0(VALU_DEP_1)
	v_add3_u32 v2, v66, v2, 0x7fff
; %bb.84:
	s_and_not1_saveexec_b32 s3, s3
; %bb.85:
	v_and_b32_e32 v2, 0xffff, v66
	v_or_b32_e32 v3, 0x10000, v66
	s_delay_alu instid0(VALU_DEP_2) | instskip(NEXT) | instid1(VALU_DEP_2)
	v_cmp_eq_u32_e32 vcc_lo, 0, v2
	v_cndmask_b32_e32 v2, v3, v66, vcc_lo
; %bb.86:
	s_or_b32 exec_lo, exec_lo, s3
	v_and_b32_e32 v3, 0x7f800000, v67
	s_delay_alu instid0(VALU_DEP_1) | instskip(SKIP_1) | instid1(SALU_CYCLE_1)
	v_cmp_ne_u32_e32 vcc_lo, 0x7f800000, v3
                                        ; implicit-def: $vgpr3
	s_and_saveexec_b32 s3, vcc_lo
	s_xor_b32 s3, exec_lo, s3
; %bb.87:
	v_bfe_u32 v3, v67, 16, 1
	s_delay_alu instid0(VALU_DEP_1)
	v_add3_u32 v3, v67, v3, 0x7fff
; %bb.88:
	s_and_not1_saveexec_b32 s3, s3
; %bb.89:
	v_and_b32_e32 v3, 0xffff, v67
	v_or_b32_e32 v4, 0x10000, v67
	s_delay_alu instid0(VALU_DEP_2) | instskip(NEXT) | instid1(VALU_DEP_2)
	v_cmp_eq_u32_e32 vcc_lo, 0, v3
	v_cndmask_b32_e32 v3, v4, v67, vcc_lo
; %bb.90:
	s_or_b32 exec_lo, exec_lo, s3
	v_and_b32_e32 v4, 0x7f800000, v68
	s_delay_alu instid0(VALU_DEP_1) | instskip(SKIP_1) | instid1(SALU_CYCLE_1)
	v_cmp_ne_u32_e32 vcc_lo, 0x7f800000, v4
                                        ; implicit-def: $vgpr4
	s_and_saveexec_b32 s3, vcc_lo
	s_xor_b32 s3, exec_lo, s3
; %bb.91:
	v_bfe_u32 v4, v68, 16, 1
	s_delay_alu instid0(VALU_DEP_1)
	v_add3_u32 v4, v68, v4, 0x7fff
; %bb.92:
	s_and_not1_saveexec_b32 s3, s3
; %bb.93:
	v_and_b32_e32 v4, 0xffff, v68
	v_or_b32_e32 v5, 0x10000, v68
	s_delay_alu instid0(VALU_DEP_2) | instskip(NEXT) | instid1(VALU_DEP_2)
	v_cmp_eq_u32_e32 vcc_lo, 0, v4
	v_cndmask_b32_e32 v4, v5, v68, vcc_lo
; %bb.94:
	s_or_b32 exec_lo, exec_lo, s3
	v_and_b32_e32 v5, 0x7f800000, v69
	s_delay_alu instid0(VALU_DEP_1) | instskip(SKIP_1) | instid1(SALU_CYCLE_1)
	v_cmp_ne_u32_e32 vcc_lo, 0x7f800000, v5
                                        ; implicit-def: $vgpr5
	s_and_saveexec_b32 s3, vcc_lo
	s_xor_b32 s3, exec_lo, s3
; %bb.95:
	v_bfe_u32 v5, v69, 16, 1
	s_delay_alu instid0(VALU_DEP_1)
	v_add3_u32 v5, v69, v5, 0x7fff
; %bb.96:
	s_and_not1_saveexec_b32 s3, s3
; %bb.97:
	v_and_b32_e32 v5, 0xffff, v69
	v_or_b32_e32 v6, 0x10000, v69
	s_delay_alu instid0(VALU_DEP_2) | instskip(NEXT) | instid1(VALU_DEP_2)
	v_cmp_eq_u32_e32 vcc_lo, 0, v5
	v_cndmask_b32_e32 v5, v6, v69, vcc_lo
; %bb.98:
	s_or_b32 exec_lo, exec_lo, s3
	v_and_b32_e32 v6, 0x7f800000, v70
	s_delay_alu instid0(VALU_DEP_1) | instskip(SKIP_1) | instid1(SALU_CYCLE_1)
	v_cmp_ne_u32_e32 vcc_lo, 0x7f800000, v6
                                        ; implicit-def: $vgpr6
	s_and_saveexec_b32 s3, vcc_lo
	s_xor_b32 s3, exec_lo, s3
; %bb.99:
	v_bfe_u32 v6, v70, 16, 1
	s_delay_alu instid0(VALU_DEP_1)
	v_add3_u32 v6, v70, v6, 0x7fff
; %bb.100:
	s_and_not1_saveexec_b32 s3, s3
; %bb.101:
	v_and_b32_e32 v6, 0xffff, v70
	v_or_b32_e32 v7, 0x10000, v70
	s_delay_alu instid0(VALU_DEP_2) | instskip(NEXT) | instid1(VALU_DEP_2)
	v_cmp_eq_u32_e32 vcc_lo, 0, v6
	v_cndmask_b32_e32 v6, v7, v70, vcc_lo
; %bb.102:
	s_or_b32 exec_lo, exec_lo, s3
	v_and_b32_e32 v7, 0x7f800000, v71
	s_delay_alu instid0(VALU_DEP_1) | instskip(SKIP_1) | instid1(SALU_CYCLE_1)
	v_cmp_ne_u32_e32 vcc_lo, 0x7f800000, v7
                                        ; implicit-def: $vgpr7
	s_and_saveexec_b32 s3, vcc_lo
	s_xor_b32 s3, exec_lo, s3
; %bb.103:
	v_bfe_u32 v7, v71, 16, 1
	s_delay_alu instid0(VALU_DEP_1)
	v_add3_u32 v7, v71, v7, 0x7fff
; %bb.104:
	s_and_not1_saveexec_b32 s3, s3
; %bb.105:
	v_and_b32_e32 v7, 0xffff, v71
	v_or_b32_e32 v8, 0x10000, v71
	s_delay_alu instid0(VALU_DEP_2) | instskip(NEXT) | instid1(VALU_DEP_2)
	v_cmp_eq_u32_e32 vcc_lo, 0, v7
	v_cndmask_b32_e32 v7, v8, v71, vcc_lo
; %bb.106:
	s_or_b32 exec_lo, exec_lo, s3
	v_and_b32_e32 v8, 0x7f800000, v72
	s_delay_alu instid0(VALU_DEP_1) | instskip(SKIP_1) | instid1(SALU_CYCLE_1)
	v_cmp_ne_u32_e32 vcc_lo, 0x7f800000, v8
                                        ; implicit-def: $vgpr8
	s_and_saveexec_b32 s3, vcc_lo
	s_xor_b32 s3, exec_lo, s3
; %bb.107:
	v_bfe_u32 v8, v72, 16, 1
	s_delay_alu instid0(VALU_DEP_1)
	v_add3_u32 v8, v72, v8, 0x7fff
                                        ; implicit-def: $vgpr65_vgpr66_vgpr67_vgpr68_vgpr69_vgpr70_vgpr71_vgpr72
; %bb.108:
	s_and_not1_saveexec_b32 s3, s3
; %bb.109:
	v_and_b32_e32 v8, 0xffff, v72
	v_or_b32_e32 v9, 0x10000, v72
	s_delay_alu instid0(VALU_DEP_2) | instskip(NEXT) | instid1(VALU_DEP_2)
	v_cmp_eq_u32_e32 vcc_lo, 0, v8
	v_cndmask_b32_e32 v8, v9, v72, vcc_lo
; %bb.110:
	s_or_b32 exec_lo, exec_lo, s3
	s_delay_alu instid0(VALU_DEP_1)
	v_perm_b32 v7, v8, v7, 0x7060302
	v_perm_b32 v6, v6, v5, 0x7060302
	;; [unrolled: 1-line block ×4, first 2 shown]
	s_barrier
	buffer_gl0_inv
	v_cmp_eq_u32_e32 vcc_lo, 1, v79
	ds_store_b128 v77, v[4:7]
	s_waitcnt lgkmcnt(0)
	s_barrier
	buffer_gl0_inv
	ds_load_b128 v[1:4], v83
	ds_load_b128 v[5:8], v83 offset:16
	v_cmp_eq_u32_e64 s3, 1, v80
	v_cmp_eq_u32_e64 s4, 2, v79
	;; [unrolled: 1-line block ×5, first 2 shown]
	s_waitcnt lgkmcnt(1)
	v_lshrrev_b32_e32 v9, 16, v1
	s_waitcnt lgkmcnt(0)
	v_lshrrev_b32_e32 v13, 16, v5
	v_lshrrev_b32_e32 v10, 16, v2
	;; [unrolled: 1-line block ×4, first 2 shown]
	v_cndmask_b32_e64 v19, v1, v9, s3
	v_cndmask_b32_e32 v18, v5, v13, vcc_lo
	v_cndmask_b32_e64 v20, v5, v13, s3
	v_cndmask_b32_e32 v17, v1, v9, vcc_lo
	v_cmp_eq_u32_e32 vcc_lo, 2, v80
	v_lshrrev_b32_e32 v15, 16, v7
	v_cmp_eq_u32_e64 s3, 1, v78
	v_lshrrev_b32_e32 v12, 16, v4
	v_lshrrev_b32_e32 v16, 16, v8
	v_cndmask_b32_e32 v20, v20, v6, vcc_lo
	v_cndmask_b32_e64 v17, v17, v2, s4
	v_cndmask_b32_e32 v19, v19, v2, vcc_lo
	v_cndmask_b32_e64 v18, v18, v6, s4
	v_cmp_eq_u32_e32 vcc_lo, 4, v79
	v_cmp_eq_u32_e64 s4, 3, v80
	v_cndmask_b32_e64 v17, v17, v10, s5
	v_cndmask_b32_e64 v21, v1, v9, s3
	;; [unrolled: 1-line block ×5, first 2 shown]
	v_cndmask_b32_e32 v17, v17, v3, vcc_lo
	v_cndmask_b32_e64 v20, v20, v14, s4
	v_cndmask_b32_e32 v18, v18, v7, vcc_lo
	v_cmp_eq_u32_e32 vcc_lo, 4, v80
	v_cmp_eq_u32_e64 s4, 5, v80
	v_cmp_eq_u32_e64 s3, 2, v82
	v_cndmask_b32_e64 v21, v21, v2, s7
	v_cmp_eq_u32_e64 s5, 5, v79
	v_cndmask_b32_e32 v19, v19, v3, vcc_lo
	v_cndmask_b32_e32 v20, v20, v7, vcc_lo
	v_cmp_eq_u32_e32 vcc_lo, 6, v80
	s_delay_alu instid0(VALU_DEP_4) | instskip(NEXT) | instid1(VALU_DEP_4)
	v_cndmask_b32_e64 v17, v17, v11, s5
	v_cndmask_b32_e64 v19, v19, v11, s4
	s_delay_alu instid0(VALU_DEP_4) | instskip(SKIP_1) | instid1(VALU_DEP_3)
	v_cndmask_b32_e64 v20, v20, v15, s4
	v_cmp_eq_u32_e64 s4, 1, v82
	v_cndmask_b32_e32 v19, v19, v4, vcc_lo
	v_cndmask_b32_e64 v18, v18, v15, s5
	s_delay_alu instid0(VALU_DEP_3)
	v_cndmask_b32_e64 v1, v1, v9, s4
	v_cndmask_b32_e64 v5, v5, v13, s4
	v_cmp_eq_u32_e64 s4, 3, v78
	v_cndmask_b32_e64 v13, v22, v6, s7
	v_cmp_eq_u32_e64 s7, 3, v82
	v_cndmask_b32_e64 v1, v1, v2, s3
	v_cndmask_b32_e64 v2, v5, v6, s3
	;; [unrolled: 1-line block ×3, first 2 shown]
	v_cmp_eq_u32_e64 s3, 4, v78
	v_cndmask_b32_e64 v6, v13, v14, s4
	v_cndmask_b32_e64 v1, v1, v10, s7
	v_cmp_eq_u32_e64 s4, 4, v82
	v_cndmask_b32_e64 v2, v2, v14, s7
	v_cndmask_b32_e64 v5, v9, v3, s3
	v_cmp_eq_u32_e64 s7, 5, v78
	v_cndmask_b32_e64 v6, v6, v7, s3
	v_cndmask_b32_e64 v1, v1, v3, s4
	v_cndmask_b32_e64 v2, v2, v7, s4
	v_cmp_eq_u32_e64 s3, 5, v82
	v_cmp_eq_u32_e64 s5, 6, v79
	v_cndmask_b32_e64 v5, v5, v11, s7
	v_cmp_eq_u32_e64 s4, 6, v78
	v_cndmask_b32_e64 v3, v6, v15, s7
	v_cndmask_b32_e64 v1, v1, v11, s3
	v_cmp_eq_u32_e64 s7, 6, v82
	v_cndmask_b32_e64 v2, v2, v15, s3
	v_cndmask_b32_e64 v17, v17, v4, s5
	v_cndmask_b32_e64 v18, v18, v8, s5
	v_cmp_eq_u32_e64 s5, 7, v79
	v_cndmask_b32_e64 v5, v5, v4, s4
	;; [unrolled: 4-line block ×3, first 2 shown]
	v_cmp_eq_u32_e64 s4, 7, v78
	v_cndmask_b32_e32 v4, v20, v8, vcc_lo
	v_cndmask_b32_e64 v17, v17, v12, s5
	v_cndmask_b32_e64 v19, v19, v12, s6
	;; [unrolled: 1-line block ×8, first 2 shown]
	s_delay_alu instid0(VALU_DEP_4) | instskip(NEXT) | instid1(VALU_DEP_4)
	v_perm_b32 v4, v2, v1, 0x5040100
	v_perm_b32 v3, v3, v5, 0x5040100
	s_delay_alu instid0(VALU_DEP_4) | instskip(NEXT) | instid1(VALU_DEP_4)
	v_perm_b32 v2, v6, v19, 0x5040100
	v_perm_b32 v1, v7, v17, 0x5040100
	ds_store_b128 v77, v[1:4]
	s_waitcnt lgkmcnt(0)
	s_barrier
	buffer_gl0_inv
	s_and_saveexec_b32 s3, s2
	s_cbranch_execz .LBB1887_2
; %bb.111:
	s_load_b64 s[0:1], s[0:1], 0x68
	v_lshlrev_b32_e32 v0, 10, v0
	s_lshl_b32 s2, s34, 7
	v_lshlrev_b32_e32 v1, 4, v76
	v_mul_lo_u32 v4, s2, v75
	s_mul_i32 s3, s2, s30
	v_and_b32_e32 v0, 0x3800, v0
	s_mul_i32 s2, s3, s8
	s_delay_alu instid0(SALU_CYCLE_1) | instskip(NEXT) | instid1(VALU_DEP_1)
	s_ashr_i32 s3, s2, 31
	v_or3_b32 v0, v0, v74, v1
	s_lshl_b64 s[2:3], s[2:3], 1
	s_delay_alu instid0(VALU_DEP_3)
	v_ashrrev_i32_e32 v5, 31, v4
	ds_load_b128 v[0:3], v0
	v_lshlrev_b64 v[4:5], 1, v[4:5]
	s_waitcnt lgkmcnt(0)
	s_add_u32 s2, s0, s2
	s_addc_u32 s3, s1, s3
	s_lshl_b32 s0, s14, 7
	s_delay_alu instid0(SALU_CYCLE_1) | instskip(NEXT) | instid1(SALU_CYCLE_1)
	s_ashr_i32 s1, s0, 31
	s_lshl_b64 s[0:1], s[0:1], 1
	s_delay_alu instid0(SALU_CYCLE_1) | instskip(SKIP_3) | instid1(VALU_DEP_2)
	s_add_u32 s0, s2, s0
	s_addc_u32 s1, s3, s1
	v_add_co_u32 v4, vcc_lo, s0, v4
	v_add_co_ci_u32_e32 v5, vcc_lo, s1, v5, vcc_lo
	v_add_co_u32 v4, vcc_lo, v4, v73
	s_delay_alu instid0(VALU_DEP_2)
	v_add_co_ci_u32_e32 v5, vcc_lo, 0, v5, vcc_lo
	global_store_b128 v[4:5], v[0:3], off
	s_nop 0
	s_sendmsg sendmsg(MSG_DEALLOC_VGPRS)
	s_endpgm
	.section	.rodata,"a",@progbits
	.p2align	6, 0x0
	.amdhsa_kernel _Z39paged_attention_ll4mi_QKV_mfma16_kernelI14__hip_bfloat16hLN4vllm18Fp8KVCacheDataTypeE1EhLi32ELi128ELi256ELb0ELi2EL8MFMAType0EEvPKT_PKT0_S9_ifPKiSB_SB_iPKfiiiPfSE_PS4_PT2_iSD_SD_
		.amdhsa_group_segment_fixed_size 17472
		.amdhsa_private_segment_fixed_size 0
		.amdhsa_kernarg_size 400
		.amdhsa_user_sgpr_count 13
		.amdhsa_user_sgpr_dispatch_ptr 0
		.amdhsa_user_sgpr_queue_ptr 0
		.amdhsa_user_sgpr_kernarg_segment_ptr 1
		.amdhsa_user_sgpr_dispatch_id 0
		.amdhsa_user_sgpr_private_segment_size 0
		.amdhsa_wavefront_size32 1
		.amdhsa_uses_dynamic_stack 0
		.amdhsa_enable_private_segment 0
		.amdhsa_system_sgpr_workgroup_id_x 1
		.amdhsa_system_sgpr_workgroup_id_y 1
		.amdhsa_system_sgpr_workgroup_id_z 1
		.amdhsa_system_sgpr_workgroup_info 0
		.amdhsa_system_vgpr_workitem_id 0
		.amdhsa_next_free_vgpr 138
		.amdhsa_next_free_sgpr 37
		.amdhsa_reserve_vcc 1
		.amdhsa_float_round_mode_32 0
		.amdhsa_float_round_mode_16_64 0
		.amdhsa_float_denorm_mode_32 3
		.amdhsa_float_denorm_mode_16_64 3
		.amdhsa_dx10_clamp 1
		.amdhsa_ieee_mode 1
		.amdhsa_fp16_overflow 0
		.amdhsa_workgroup_processor_mode 1
		.amdhsa_memory_ordered 1
		.amdhsa_forward_progress 0
		.amdhsa_shared_vgpr_count 0
		.amdhsa_exception_fp_ieee_invalid_op 0
		.amdhsa_exception_fp_denorm_src 0
		.amdhsa_exception_fp_ieee_div_zero 0
		.amdhsa_exception_fp_ieee_overflow 0
		.amdhsa_exception_fp_ieee_underflow 0
		.amdhsa_exception_fp_ieee_inexact 0
		.amdhsa_exception_int_div_zero 0
	.end_amdhsa_kernel
	.section	.text._Z39paged_attention_ll4mi_QKV_mfma16_kernelI14__hip_bfloat16hLN4vllm18Fp8KVCacheDataTypeE1EhLi32ELi128ELi256ELb0ELi2EL8MFMAType0EEvPKT_PKT0_S9_ifPKiSB_SB_iPKfiiiPfSE_PS4_PT2_iSD_SD_,"axG",@progbits,_Z39paged_attention_ll4mi_QKV_mfma16_kernelI14__hip_bfloat16hLN4vllm18Fp8KVCacheDataTypeE1EhLi32ELi128ELi256ELb0ELi2EL8MFMAType0EEvPKT_PKT0_S9_ifPKiSB_SB_iPKfiiiPfSE_PS4_PT2_iSD_SD_,comdat
.Lfunc_end1887:
	.size	_Z39paged_attention_ll4mi_QKV_mfma16_kernelI14__hip_bfloat16hLN4vllm18Fp8KVCacheDataTypeE1EhLi32ELi128ELi256ELb0ELi2EL8MFMAType0EEvPKT_PKT0_S9_ifPKiSB_SB_iPKfiiiPfSE_PS4_PT2_iSD_SD_, .Lfunc_end1887-_Z39paged_attention_ll4mi_QKV_mfma16_kernelI14__hip_bfloat16hLN4vllm18Fp8KVCacheDataTypeE1EhLi32ELi128ELi256ELb0ELi2EL8MFMAType0EEvPKT_PKT0_S9_ifPKiSB_SB_iPKfiiiPfSE_PS4_PT2_iSD_SD_
                                        ; -- End function
	.section	.AMDGPU.csdata,"",@progbits
; Kernel info:
; codeLenInByte = 8652
; NumSgprs: 39
; NumVgprs: 138
; ScratchSize: 0
; MemoryBound: 0
; FloatMode: 240
; IeeeMode: 1
; LDSByteSize: 17472 bytes/workgroup (compile time only)
; SGPRBlocks: 4
; VGPRBlocks: 17
; NumSGPRsForWavesPerEU: 39
; NumVGPRsForWavesPerEU: 138
; Occupancy: 10
; WaveLimiterHint : 1
; COMPUTE_PGM_RSRC2:SCRATCH_EN: 0
; COMPUTE_PGM_RSRC2:USER_SGPR: 13
; COMPUTE_PGM_RSRC2:TRAP_HANDLER: 0
; COMPUTE_PGM_RSRC2:TGID_X_EN: 1
; COMPUTE_PGM_RSRC2:TGID_Y_EN: 1
; COMPUTE_PGM_RSRC2:TGID_Z_EN: 1
; COMPUTE_PGM_RSRC2:TIDIG_COMP_CNT: 0
	.section	.text._Z39paged_attention_ll4mi_QKV_mfma16_kernelI14__hip_bfloat16hLN4vllm18Fp8KVCacheDataTypeE1EhLi32ELi128ELi256ELb0ELi3EL8MFMAType0EEvPKT_PKT0_S9_ifPKiSB_SB_iPKfiiiPfSE_PS4_PT2_iSD_SD_,"axG",@progbits,_Z39paged_attention_ll4mi_QKV_mfma16_kernelI14__hip_bfloat16hLN4vllm18Fp8KVCacheDataTypeE1EhLi32ELi128ELi256ELb0ELi3EL8MFMAType0EEvPKT_PKT0_S9_ifPKiSB_SB_iPKfiiiPfSE_PS4_PT2_iSD_SD_,comdat
	.protected	_Z39paged_attention_ll4mi_QKV_mfma16_kernelI14__hip_bfloat16hLN4vllm18Fp8KVCacheDataTypeE1EhLi32ELi128ELi256ELb0ELi3EL8MFMAType0EEvPKT_PKT0_S9_ifPKiSB_SB_iPKfiiiPfSE_PS4_PT2_iSD_SD_ ; -- Begin function _Z39paged_attention_ll4mi_QKV_mfma16_kernelI14__hip_bfloat16hLN4vllm18Fp8KVCacheDataTypeE1EhLi32ELi128ELi256ELb0ELi3EL8MFMAType0EEvPKT_PKT0_S9_ifPKiSB_SB_iPKfiiiPfSE_PS4_PT2_iSD_SD_
	.globl	_Z39paged_attention_ll4mi_QKV_mfma16_kernelI14__hip_bfloat16hLN4vllm18Fp8KVCacheDataTypeE1EhLi32ELi128ELi256ELb0ELi3EL8MFMAType0EEvPKT_PKT0_S9_ifPKiSB_SB_iPKfiiiPfSE_PS4_PT2_iSD_SD_
	.p2align	8
	.type	_Z39paged_attention_ll4mi_QKV_mfma16_kernelI14__hip_bfloat16hLN4vllm18Fp8KVCacheDataTypeE1EhLi32ELi128ELi256ELb0ELi3EL8MFMAType0EEvPKT_PKT0_S9_ifPKiSB_SB_iPKfiiiPfSE_PS4_PT2_iSD_SD_,@function
_Z39paged_attention_ll4mi_QKV_mfma16_kernelI14__hip_bfloat16hLN4vllm18Fp8KVCacheDataTypeE1EhLi32ELi128ELi256ELb0ELi3EL8MFMAType0EEvPKT_PKT0_S9_ifPKiSB_SB_iPKfiiiPfSE_PS4_PT2_iSD_SD_: ; @_Z39paged_attention_ll4mi_QKV_mfma16_kernelI14__hip_bfloat16hLN4vllm18Fp8KVCacheDataTypeE1EhLi32ELi128ELi256ELb0ELi3EL8MFMAType0EEvPKT_PKT0_S9_ifPKiSB_SB_iPKfiiiPfSE_PS4_PT2_iSD_SD_
; %bb.0:
	s_load_b64 s[4:5], s[0:1], 0x30
	s_mov_b32 s30, s13
	s_waitcnt lgkmcnt(0)
	s_cmp_lg_u64 s[4:5], 0
	s_cselect_b32 s13, -1, 0
	s_ashr_i32 s31, s30, 31
	s_cmp_eq_u64 s[4:5], 0
	s_cbranch_scc1 .LBB1888_3
; %bb.1:
	s_lshl_b64 s[2:3], s[30:31], 2
	s_delay_alu instid0(SALU_CYCLE_1) | instskip(SKIP_4) | instid1(SALU_CYCLE_1)
	s_add_u32 s2, s4, s2
	s_addc_u32 s3, s5, s3
	s_load_b64 s[2:3], s[2:3], 0x0
	s_waitcnt lgkmcnt(0)
	s_sub_i32 s2, s3, s2
	s_cmp_eq_u32 s2, 1
	s_cselect_b32 s2, -1, 0
	s_delay_alu instid0(SALU_CYCLE_1)
	s_and_not1_b32 vcc_lo, exec_lo, s2
	s_cbranch_vccz .LBB1888_4
.LBB1888_2:
	s_nop 0
	s_sendmsg sendmsg(MSG_DEALLOC_VGPRS)
	s_endpgm
.LBB1888_3:
.LBB1888_4:
	s_load_b64 s[2:3], s[0:1], 0x28
	s_lshl_b64 s[6:7], s[30:31], 2
	s_waitcnt lgkmcnt(0)
	s_add_u32 s2, s2, s6
	s_addc_u32 s3, s3, s7
	s_lshl_b32 s12, s14, 8
	s_load_b32 s17, s[2:3], 0x0
	s_waitcnt lgkmcnt(0)
	s_cmp_ge_i32 s12, s17
	s_cbranch_scc1 .LBB1888_2
; %bb.5:
	s_clause 0x1
	s_load_b128 s[8:11], s[0:1], 0x8
	s_load_b64 s[2:3], s[0:1], 0x20
	s_and_not1_b32 vcc_lo, exec_lo, s13
	s_cbranch_vccnz .LBB1888_7
; %bb.6:
	s_add_u32 s4, s4, s6
	s_addc_u32 s5, s5, s7
	s_load_b32 s13, s[4:5], 0x0
	s_branch .LBB1888_8
.LBB1888_7:
	s_mov_b32 s13, s30
.LBB1888_8:
	s_load_b128 s[4:7], s[0:1], 0x48
	v_and_b32_e32 v65, 15, v0
	v_lshrrev_b32_e32 v66, 5, v0
	v_bfe_u32 v74, v0, 4, 1
	v_and_b32_e32 v67, 31, v0
	v_and_b32_e32 v75, 1, v0
	v_lshlrev_b32_e32 v2, 3, v65
	s_mul_i32 s31, s15, 3
	v_lshl_or_b32 v1, v66, 1, v74
	s_waitcnt lgkmcnt(0)
	s_mov_b32 s7, exec_lo
	v_lshlrev_b32_e32 v73, 1, v2
	s_delay_alu instid0(VALU_DEP_2)
	v_cmpx_gt_u32_e32 3, v1
	s_cbranch_execz .LBB1888_10
; %bb.9:
	s_load_b64 s[18:19], s[0:1], 0x0
	v_add_lshl_u32 v2, v1, s31, 7
	s_mul_hi_i32 s21, s13, s4
	s_mul_i32 s20, s13, s4
	v_lshlrev_b32_e32 v6, 10, v65
	s_lshl_b64 s[20:21], s[20:21], 1
	v_ashrrev_i32_e32 v3, 31, v2
	v_lshlrev_b32_e32 v1, 6, v1
	v_lshlrev_b32_e32 v7, 10, v75
	v_and_b32_e32 v6, 0x3800, v6
	s_delay_alu instid0(VALU_DEP_4) | instskip(NEXT) | instid1(VALU_DEP_2)
	v_lshlrev_b64 v[2:3], 1, v[2:3]
	v_or3_b32 v1, v6, v7, v1
	s_waitcnt lgkmcnt(0)
	s_add_u32 s4, s18, s20
	s_addc_u32 s13, s19, s21
	s_delay_alu instid0(VALU_DEP_2) | instskip(SKIP_1) | instid1(VALU_DEP_2)
	v_add_co_u32 v2, vcc_lo, s4, v2
	v_add_co_ci_u32_e32 v3, vcc_lo, s13, v3, vcc_lo
	v_add_co_u32 v2, vcc_lo, v2, v73
	s_delay_alu instid0(VALU_DEP_2)
	v_add_co_ci_u32_e32 v3, vcc_lo, 0, v3, vcc_lo
	global_load_b128 v[2:5], v[2:3], off
	s_waitcnt vmcnt(0)
	ds_store_b128 v1, v[2:5]
.LBB1888_10:
	s_or_b32 exec_lo, exec_lo, s7
	v_and_b32_e32 v1, 0xef, v0
	s_add_i32 s4, s17, 31
	s_clause 0x1
	s_load_b32 s7, s[0:1], 0x38
	s_load_b32 s18, s[0:1], 0x1c
	s_ashr_i32 s13, s4, 31
	v_add_nc_u32_e32 v2, s12, v1
	s_lshr_b32 s13, s13, 27
	s_waitcnt lgkmcnt(0)
	s_add_i32 s4, s4, s13
	s_barrier
	v_ashrrev_i32_e32 v1, 31, v2
	s_ashr_i32 s4, s4, 5
	v_cmp_gt_i32_e32 vcc_lo, s17, v2
	s_add_i32 s4, s4, -1
	buffer_gl0_inv
	v_lshrrev_b32_e32 v3, 27, v1
	v_or_b32_e32 v1, 16, v2
	s_mul_i32 s15, s15, s6
	s_delay_alu instid0(VALU_DEP_2) | instskip(SKIP_1) | instid1(SALU_CYCLE_1)
	v_add_nc_u32_e32 v4, v2, v3
	s_mul_i32 s20, s30, s7
	s_ashr_i32 s21, s20, 31
	s_delay_alu instid0(VALU_DEP_1) | instskip(SKIP_2) | instid1(SALU_CYCLE_1)
	v_ashrrev_i32_e32 v4, 5, v4
	v_add_nc_u32_e32 v3, v1, v3
	s_lshl_b64 s[20:21], s[20:21], 2
	s_add_u32 s7, s2, s20
	s_delay_alu instid0(VALU_DEP_2) | instskip(NEXT) | instid1(VALU_DEP_2)
	v_cndmask_b32_e32 v2, s4, v4, vcc_lo
	v_ashrrev_i32_e32 v3, 5, v3
	v_cmp_gt_i32_e32 vcc_lo, s17, v1
	s_addc_u32 s13, s3, s21
	s_ashr_i32 s6, s15, 31
	s_add_u32 s2, s8, s15
	s_addc_u32 s3, s9, s6
	v_cndmask_b32_e32 v4, s4, v3, vcc_lo
	v_ashrrev_i32_e32 v3, 31, v2
	s_lshl_b32 s8, s14, 3
	s_delay_alu instid0(SALU_CYCLE_1) | instskip(NEXT) | instid1(VALU_DEP_2)
	s_ashr_i32 s9, s8, 31
	v_ashrrev_i32_e32 v5, 31, v4
	s_delay_alu instid0(VALU_DEP_2) | instskip(SKIP_1) | instid1(SALU_CYCLE_1)
	v_lshlrev_b64 v[1:2], 2, v[2:3]
	s_lshl_b64 s[8:9], s[8:9], 2
	s_add_u32 s8, s7, s8
	s_delay_alu instid0(VALU_DEP_2) | instskip(SKIP_1) | instid1(VALU_DEP_2)
	v_lshlrev_b64 v[3:4], 2, v[4:5]
	s_addc_u32 s9, s13, s9
	v_add_co_u32 v1, vcc_lo, s7, v1
	v_add_co_ci_u32_e32 v2, vcc_lo, s13, v2, vcc_lo
	s_delay_alu instid0(VALU_DEP_3) | instskip(NEXT) | instid1(VALU_DEP_4)
	v_add_co_u32 v3, vcc_lo, s7, v3
	v_add_co_ci_u32_e32 v4, vcc_lo, s13, v4, vcc_lo
	s_clause 0x1
	global_load_b32 v5, v[1:2], off
	global_load_b32 v6, v[3:4], off
	s_or_b32 s16, s12, 32
	s_delay_alu instid0(SALU_CYCLE_1) | instskip(SKIP_2) | instid1(SALU_CYCLE_1)
	s_ashr_i32 s19, s16, 5
	s_cmp_lt_i32 s16, s17
	s_cselect_b32 s20, s19, s4
	s_ashr_i32 s21, s20, 31
	s_delay_alu instid0(SALU_CYCLE_1) | instskip(NEXT) | instid1(SALU_CYCLE_1)
	s_lshl_b64 s[20:21], s[20:21], 2
	s_add_u32 s20, s7, s20
	s_addc_u32 s21, s13, s21
	s_or_b32 s16, s12, 64
	s_delay_alu instid0(SALU_CYCLE_1) | instskip(SKIP_2) | instid1(SALU_CYCLE_1)
	s_ashr_i32 s19, s16, 5
	s_cmp_lt_i32 s16, s17
	s_cselect_b32 s22, s19, s4
	s_ashr_i32 s23, s22, 31
	s_delay_alu instid0(SALU_CYCLE_1) | instskip(NEXT) | instid1(SALU_CYCLE_1)
	s_lshl_b64 s[22:23], s[22:23], 2
	s_add_u32 s22, s7, s22
	s_addc_u32 s23, s13, s23
	;; [unrolled: 10-line block ×5, first 2 shown]
	s_clause 0x5
	s_load_b32 s16, s[8:9], 0x0
	s_load_b32 s19, s[20:21], 0x0
	;; [unrolled: 1-line block ×6, first 2 shown]
	s_mov_b32 s20, 0
	s_delay_alu instid0(SALU_CYCLE_1)
	s_mov_b32 s21, s20
	s_mov_b32 s22, s20
	;; [unrolled: 1-line block ×7, first 2 shown]
	s_delay_alu instid0(SALU_CYCLE_1)
	v_dual_mov_b32 v107, s27 :: v_dual_mov_b32 v106, s26
	v_dual_mov_b32 v105, s25 :: v_dual_mov_b32 v102, s22
	;; [unrolled: 1-line block ×4, first 2 shown]
	s_waitcnt vmcnt(1)
	v_mad_i64_i32 v[1:2], null, v5, s5, s[2:3]
	v_lshlrev_b32_e32 v5, 4, v65
	s_waitcnt vmcnt(0)
	v_mad_i64_i32 v[3:4], null, v6, s5, s[2:3]
	s_or_b32 s2, s12, 0xc0
	s_delay_alu instid0(SALU_CYCLE_1) | instskip(NEXT) | instid1(VALU_DEP_3)
	s_ashr_i32 s3, s2, 5
	v_add_co_u32 v25, vcc_lo, v1, v5
	s_delay_alu instid0(VALU_DEP_4) | instskip(NEXT) | instid1(VALU_DEP_3)
	v_add_co_ci_u32_e32 v26, vcc_lo, 0, v2, vcc_lo
	v_add_co_u32 v27, vcc_lo, v3, v5
	s_delay_alu instid0(VALU_DEP_4)
	v_add_co_ci_u32_e32 v28, vcc_lo, 0, v4, vcc_lo
	s_clause 0xf
	global_load_b128 v[1:4], v[25:26], off
	global_load_b128 v[5:8], v[25:26], off offset:512
	global_load_b128 v[9:12], v[27:28], off offset:256
	;; [unrolled: 1-line block ×15, first 2 shown]
	v_mul_lo_u16 v25, 0x56, v65
	s_cmp_lt_i32 s2, s17
	v_lshlrev_b32_e32 v26, 5, v65
	s_cselect_b32 s2, s3, s4
	s_delay_alu instid0(VALU_DEP_2) | instskip(SKIP_1) | instid1(VALU_DEP_2)
	v_lshrrev_b16 v25, 8, v25
	s_ashr_i32 s3, s2, 31
	v_lshl_or_b32 v33, v66, 9, v26
	s_lshl_b64 s[2:3], s[2:3], 2
	s_delay_alu instid0(VALU_DEP_2) | instskip(SKIP_3) | instid1(VALU_DEP_1)
	v_mul_lo_u16 v25, v25, 3
	s_add_u32 s2, s7, s2
	s_addc_u32 s3, s13, s3
	s_or_b32 s8, s12, 0xe0
	v_sub_nc_u16 v25, v65, v25
	s_ashr_i32 s9, s8, 5
	s_cmp_lt_i32 s8, s17
	s_cselect_b32 s8, s9, s4
	s_delay_alu instid0(VALU_DEP_1) | instskip(SKIP_1) | instid1(SALU_CYCLE_1)
	v_and_b32_e32 v25, 0xff, v25
	s_ashr_i32 s9, s8, 31
	s_lshl_b64 s[8:9], s[8:9], 2
	s_delay_alu instid0(VALU_DEP_1)
	v_lshlrev_b32_e32 v72, 6, v25
	ds_load_b128 v[25:28], v72
	ds_load_b128 v[29:32], v72 offset:1024
	ds_load_b128 v[108:111], v72 offset:2048
	;; [unrolled: 1-line block ×3, first 2 shown]
	s_load_b32 s4, s[2:3], 0x0
	s_add_u32 s2, s7, s8
	s_addc_u32 s3, s13, s9
	ds_load_b128 v[116:119], v72 offset:4096
	ds_load_b128 v[120:123], v72 offset:5120
	s_load_b32 s2, s[2:3], 0x0
	s_add_u32 s7, s10, s15
	s_addc_u32 s6, s11, s6
	v_add_co_u32 v68, s7, s7, v33
	s_delay_alu instid0(VALU_DEP_1) | instskip(SKIP_1) | instid1(VALU_DEP_1)
	v_add_co_ci_u32_e64 v69, null, s6, 0, s7
	s_waitcnt lgkmcnt(0)
	v_mad_i64_i32 v[33:34], null, s16, s5, v[68:69]
	v_mad_i64_i32 v[70:71], null, s33, s5, v[68:69]
	;; [unrolled: 1-line block ×7, first 2 shown]
	s_clause 0x3
	global_load_b128 v[41:44], v[33:34], off
	global_load_b128 v[45:48], v[33:34], off offset:16
	global_load_b128 v[33:36], v[37:38], off
	global_load_b128 v[37:40], v[37:38], off offset:16
	s_waitcnt vmcnt(18)
	v_wmma_f32_16x16x16_bf16 v[124:131], v[1:8], v[25:32], v[100:107]
	s_waitcnt vmcnt(16)
	v_wmma_f32_16x16x16_bf16 v[100:107], v[9:16], v[25:32], v[100:107]
	s_clause 0x1
	global_load_b128 v[25:28], v[70:71], off
	global_load_b128 v[29:32], v[70:71], off offset:16
	s_waitcnt vmcnt(16)
	v_wmma_f32_16x16x16_bf16 v[124:131], v[17:24], v[108:115], v[124:131]
	s_clause 0x1
	global_load_b128 v[17:20], v[132:133], off
	global_load_b128 v[21:24], v[132:133], off offset:16
	s_waitcnt vmcnt(16)
	v_wmma_f32_16x16x16_bf16 v[100:107], v[49:56], v[108:115], v[100:107]
	v_mad_i64_i32 v[53:54], null, s2, s5, v[68:69]
	s_clause 0x3
	global_load_b128 v[1:4], v[134:135], off
	global_load_b128 v[5:8], v[134:135], off offset:16
	global_load_b128 v[9:12], v[136:137], off
	global_load_b128 v[13:16], v[136:137], off offset:16
	s_waitcnt vmcnt(18)
	v_wmma_f32_16x16x16_bf16 v[124:131], v[57:64], v[116:123], v[124:131]
	s_clause 0x3
	global_load_b128 v[57:60], v[138:139], off
	global_load_b128 v[61:64], v[138:139], off offset:16
	global_load_b128 v[49:52], v[53:54], off
	global_load_b128 v[53:56], v[53:54], off offset:16
	s_waitcnt vmcnt(20)
	v_wmma_f32_16x16x16_bf16 v[100:107], v[76:83], v[116:123], v[100:107]
	ds_load_b128 v[76:79], v72 offset:6144
	ds_load_b128 v[80:83], v72 offset:7168
	v_mbcnt_lo_u32_b32 v69, -1, 0
	s_waitcnt vmcnt(0) lgkmcnt(0)
	s_barrier
	buffer_gl0_inv
	v_xor_b32_e32 v70, 16, v69
	s_delay_alu instid0(VALU_DEP_1) | instskip(SKIP_4) | instid1(VALU_DEP_2)
	v_cmp_gt_i32_e32 vcc_lo, 32, v70
	v_cndmask_b32_e32 v69, v69, v70, vcc_lo
	v_wmma_f32_16x16x16_bf16 v[124:131], v[84:91], v[76:83], v[124:131]
	v_and_b32_e32 v68, 0xe0, v0
	v_wmma_f32_16x16x16_bf16 v[100:107], v[92:99], v[76:83], v[100:107]
	v_dual_mul_f32 v81, s18, v129 :: v_dual_add_nc_u32 v68, s12, v68
	s_delay_alu instid0(VALU_DEP_4) | instskip(NEXT) | instid1(VALU_DEP_3)
	v_dual_mul_f32 v83, s18, v131 :: v_dual_mul_f32 v78, s18, v125
	v_mul_f32_e32 v95, s18, v103
	v_mul_f32_e32 v79, s18, v127
	s_delay_alu instid0(VALU_DEP_4) | instskip(SKIP_3) | instid1(VALU_DEP_4)
	v_or_b32_e32 v68, v68, v74
	v_dual_mul_f32 v80, s18, v126 :: v_dual_mul_f32 v97, s18, v105
	v_dual_mul_f32 v93, s18, v101 :: v_dual_mul_f32 v82, s18, v128
	v_mul_f32_e32 v99, s18, v107
	v_or_b32_e32 v70, 2, v68
	v_or_b32_e32 v71, 4, v68
	;; [unrolled: 1-line block ×3, first 2 shown]
	v_cmp_gt_i32_e64 s2, s17, v68
	v_or_b32_e32 v108, 8, v68
	v_cmp_gt_i32_e32 vcc_lo, s17, v70
	v_mul_f32_e32 v70, s18, v124
	v_or_b32_e32 v109, 10, v68
	v_cmp_gt_i32_e64 s3, s17, v71
	v_cmp_gt_i32_e64 s4, s17, v72
	v_cndmask_b32_e32 v78, 0xff7fffff, v78, vcc_lo
	v_cndmask_b32_e64 v70, 0xff7fffff, v70, s2
	v_or_b32_e32 v84, 12, v68
	v_or_b32_e32 v85, 14, v68
	v_cndmask_b32_e64 v71, 0xff7fffff, v80, s3
	v_cndmask_b32_e64 v72, 0xff7fffff, v79, s4
	v_max3_f32 v70, v70, 0xff7fffff, v78
	v_cmp_gt_i32_e64 s5, s17, v108
	v_cmp_gt_i32_e64 s6, s17, v109
	v_or_b32_e32 v86, 16, v68
	v_or_b32_e32 v87, 18, v68
	;; [unrolled: 1-line block ×3, first 2 shown]
	v_mul_f32_e32 v92, s18, v130
	v_cndmask_b32_e64 v78, 0xff7fffff, v82, s5
	v_cndmask_b32_e64 v79, 0xff7fffff, v81, s6
	v_max3_f32 v70, v70, v71, v72
	v_cmp_gt_i32_e64 s7, s17, v84
	v_cmp_gt_i32_e64 s8, s17, v85
	v_or_b32_e32 v88, 20, v68
	v_mul_f32_e32 v94, s18, v100
	v_max3_f32 v70, v70, v78, v79
	v_cmp_gt_i32_e64 s9, s17, v86
	v_cndmask_b32_e64 v72, 0xff7fffff, v83, s8
	v_cmp_gt_i32_e64 s10, s17, v87
	v_cmp_gt_i32_e64 s12, s17, v89
	v_lshlrev_b32_e32 v89, 2, v69
	v_cndmask_b32_e64 v71, 0xff7fffff, v92, s7
	v_or_b32_e32 v90, 24, v68
	v_or_b32_e32 v91, 26, v68
	v_mul_f32_e32 v96, s18, v102
	v_cndmask_b32_e64 v78, 0xff7fffff, v94, s9
	v_cndmask_b32_e64 v79, 0xff7fffff, v93, s10
	v_max3_f32 v70, v70, v71, v72
	v_cmp_gt_i32_e64 s11, s17, v88
	v_or_b32_e32 v76, 28, v68
	v_or_b32_e32 v77, 30, v68
	v_mul_f32_e32 v98, s18, v104
	v_cndmask_b32_e64 v72, 0xff7fffff, v95, s12
	v_cndmask_b32_e64 v71, 0xff7fffff, v96, s11
	v_max3_f32 v70, v70, v78, v79
	v_cmp_gt_i32_e64 s13, s17, v90
	v_cmp_gt_i32_e64 s15, s17, v91
	v_mul_f32_e32 v68, s18, v106
	v_cmp_gt_i32_e64 s16, s17, v76
	v_max3_f32 v70, v70, v71, v72
	v_cndmask_b32_e64 v78, 0xff7fffff, v98, s13
	v_cndmask_b32_e64 v79, 0xff7fffff, v97, s15
	v_cmp_gt_i32_e64 s17, s17, v77
	v_cndmask_b32_e64 v68, 0xff7fffff, v68, s16
	s_delay_alu instid0(VALU_DEP_3) | instskip(NEXT) | instid1(VALU_DEP_3)
	v_max3_f32 v70, v70, v78, v79
	v_cndmask_b32_e64 v71, 0xff7fffff, v99, s17
	s_delay_alu instid0(VALU_DEP_1) | instskip(SKIP_3) | instid1(VALU_DEP_1)
	v_max3_f32 v68, v70, v68, v71
	ds_bpermute_b32 v69, v89, v68
	s_waitcnt lgkmcnt(0)
	v_max_f32_e32 v69, v69, v69
	v_max_f32_e32 v68, v68, v69
	s_delay_alu instid0(VALU_DEP_1) | instskip(NEXT) | instid1(VALU_DEP_1)
	v_fma_f32 v71, s18, v126, -v68
	v_mul_f32_e32 v71, 0x3fb8aa3b, v71
	s_delay_alu instid0(VALU_DEP_1) | instskip(SKIP_3) | instid1(VALU_DEP_1)
	v_exp_f32_e32 v71, v71
	s_waitcnt_depctr 0xfff
	v_cndmask_b32_e64 v83, 0, v71, s3
	v_fma_f32 v71, s18, v131, -v68
	v_mul_f32_e32 v71, 0x3fb8aa3b, v71
	v_fma_f32 v69, s18, v124, -v68
	v_fma_f32 v76, s18, v128, -v68
	;; [unrolled: 1-line block ×4, first 2 shown]
	v_exp_f32_e32 v71, v71
	v_mul_f32_e32 v69, 0x3fb8aa3b, v69
	v_mul_f32_e32 v77, 0x3fb8aa3b, v76
	v_fma_f32 v81, s18, v105, -v68
	v_fma_f32 v78, s18, v130, -v68
	s_delay_alu instid0(VALU_DEP_4) | instskip(NEXT) | instid1(VALU_DEP_3)
	v_exp_f32_e32 v69, v69
	v_exp_f32_e32 v77, v77
	s_delay_alu instid0(VALU_DEP_2) | instskip(NEXT) | instid1(TRANS32_DEP_3)
	v_mul_f32_e32 v81, 0x3fb8aa3b, v81
	v_cndmask_b32_e64 v88, 0, v71, s8
	v_fma_f32 v71, s18, v104, -v68
	s_delay_alu instid0(VALU_DEP_3) | instskip(NEXT) | instid1(TRANS32_DEP_3)
	v_exp_f32_e32 v81, v81
	v_cndmask_b32_e64 v80, 0, v69, s2
	v_fma_f32 v69, s18, v129, -v68
	v_mul_f32_e32 v70, 0x3fb8aa3b, v70
	s_delay_alu instid0(TRANS32_DEP_2)
	v_cndmask_b32_e64 v86, 0, v77, s5
	v_mul_f32_e32 v72, 0x3fb8aa3b, v72
	v_fma_f32 v77, s18, v101, -v68
	v_mul_f32_e32 v69, 0x3fb8aa3b, v69
	v_exp_f32_e32 v70, v70
	v_mul_f32_e32 v71, 0x3fb8aa3b, v71
	v_exp_f32_e32 v72, v72
	v_mul_f32_e32 v77, 0x3fb8aa3b, v77
	v_exp_f32_e32 v69, v69
	v_cmp_gt_u32_e64 s2, 16, v67
	v_exp_f32_e32 v82, v71
	s_delay_alu instid0(VALU_DEP_2) | instskip(SKIP_4) | instid1(TRANS32_DEP_3)
	v_exp_f32_e32 v77, v77
	v_cndmask_b32_e32 v76, 0, v70, vcc_lo
	v_add_f32_e32 v70, 0, v80
	v_cndmask_b32_e64 v85, 0, v72, s4
	v_fma_f32 v72, s18, v100, -v68
	v_cndmask_b32_e64 v87, 0, v69, s6
	s_delay_alu instid0(VALU_DEP_4) | instskip(NEXT) | instid1(VALU_DEP_3)
	v_add_f32_e32 v70, v70, v76
	v_mul_f32_e32 v72, 0x3fb8aa3b, v72
	s_delay_alu instid0(VALU_DEP_2) | instskip(NEXT) | instid1(VALU_DEP_2)
	v_add_f32_e32 v70, v70, v83
	v_exp_f32_e32 v72, v72
	s_delay_alu instid0(VALU_DEP_1) | instskip(NEXT) | instid1(VALU_DEP_1)
	v_add_f32_e32 v70, v70, v85
	v_add_f32_e32 v69, v70, v86
	v_fma_f32 v70, s18, v102, -v68
	s_delay_alu instid0(VALU_DEP_2) | instskip(NEXT) | instid1(VALU_DEP_2)
	v_dual_add_f32 v69, v69, v87 :: v_dual_mul_f32 v78, 0x3fb8aa3b, v78
	v_mul_f32_e32 v70, 0x3fb8aa3b, v70
	s_delay_alu instid0(VALU_DEP_2) | instskip(NEXT) | instid1(VALU_DEP_1)
	v_exp_f32_e32 v78, v78
	v_exp_f32_e32 v79, v70
	s_delay_alu instid0(TRANS32_DEP_3) | instskip(SKIP_4) | instid1(VALU_DEP_2)
	v_cndmask_b32_e64 v70, 0, v72, s9
	s_waitcnt_depctr 0xfff
	v_cndmask_b32_e64 v84, 0, v78, s7
	v_fma_f32 v78, s18, v103, -v68
	v_cndmask_b32_e64 v71, 0, v79, s11
	v_dual_add_f32 v69, v69, v84 :: v_dual_mul_f32 v78, 0x3fb8aa3b, v78
	s_delay_alu instid0(VALU_DEP_1) | instskip(NEXT) | instid1(VALU_DEP_2)
	v_add_f32_e32 v72, v69, v88
	v_exp_f32_e32 v78, v78
	v_cndmask_b32_e64 v69, 0, v77, s10
	v_fma_f32 v77, s18, v106, -v68
	s_delay_alu instid0(VALU_DEP_1) | instskip(NEXT) | instid1(VALU_DEP_1)
	v_dual_add_f32 v72, v72, v70 :: v_dual_mul_f32 v77, 0x3fb8aa3b, v77
	v_add_f32_e32 v79, v72, v69
	s_waitcnt_depctr 0xfff
	v_cndmask_b32_e64 v72, 0, v78, s12
	v_exp_f32_e32 v90, v77
	v_cndmask_b32_e64 v77, 0, v82, s13
	v_add_f32_e32 v78, v79, v71
	v_fma_f32 v79, s18, v107, -v68
	s_delay_alu instid0(VALU_DEP_1) | instskip(SKIP_1) | instid1(VALU_DEP_2)
	v_dual_add_f32 v82, v78, v72 :: v_dual_mul_f32 v79, 0x3fb8aa3b, v79
	v_cndmask_b32_e64 v78, 0, v81, s15
	v_add_f32_e32 v81, v82, v77
	s_delay_alu instid0(VALU_DEP_3) | instskip(NEXT) | instid1(TRANS32_DEP_2)
	v_exp_f32_e32 v82, v79
	v_cndmask_b32_e64 v79, 0, v90, s16
	s_delay_alu instid0(VALU_DEP_2) | instskip(NEXT) | instid1(VALU_DEP_1)
	v_add_f32_e32 v81, v81, v78
	v_add_f32_e32 v90, v81, v79
	s_waitcnt_depctr 0xfff
	v_cndmask_b32_e64 v81, 0, v82, s17
	s_delay_alu instid0(VALU_DEP_1)
	v_add_f32_e32 v82, v90, v81
	ds_bpermute_b32 v89, v89, v82
	s_and_saveexec_b32 s3, s2
	s_cbranch_execz .LBB1888_12
; %bb.11:
	v_mul_u32_u24_e32 v67, 0x44, v66
	s_delay_alu instid0(VALU_DEP_1) | instskip(SKIP_1) | instid1(VALU_DEP_1)
	v_lshl_add_u32 v67, v65, 2, v67
	s_waitcnt lgkmcnt(0)
	v_dual_add_f32 v82, v82, v89 :: v_dual_add_nc_u32 v67, 0x4000, v67
	ds_store_2addr_b32 v67, v68, v82 offset1:136
.LBB1888_12:
	s_or_b32 exec_lo, exec_lo, s3
	v_lshlrev_b32_e32 v67, 2, v65
	s_waitcnt lgkmcnt(0)
	s_barrier
	buffer_gl0_inv
	v_cmp_eq_u32_e32 vcc_lo, 1, v66
	v_add_nc_u32_e32 v82, 0x4000, v67
	v_cmp_eq_u32_e64 s3, 2, v66
	v_cmp_eq_u32_e64 s5, 7, v66
	ds_load_2addr_b32 v[89:90], v82 offset1:17
	ds_load_2addr_b32 v[91:92], v82 offset0:34 offset1:51
	ds_load_2addr_b32 v[93:94], v82 offset0:68 offset1:85
	;; [unrolled: 1-line block ×4, first 2 shown]
	s_waitcnt lgkmcnt(4)
	v_max3_f32 v67, v89, 0xff7fffff, v90
	s_waitcnt lgkmcnt(3)
	s_delay_alu instid0(VALU_DEP_1) | instskip(SKIP_1) | instid1(VALU_DEP_1)
	v_max3_f32 v67, v67, v91, v92
	s_waitcnt lgkmcnt(2)
	v_max3_f32 v67, v67, v93, v94
	s_waitcnt lgkmcnt(1)
	s_delay_alu instid0(VALU_DEP_1) | instskip(NEXT) | instid1(VALU_DEP_1)
	v_max3_f32 v67, v67, v95, v96
	v_sub_f32_e32 v93, v93, v67
	s_delay_alu instid0(VALU_DEP_1) | instskip(NEXT) | instid1(VALU_DEP_1)
	v_dual_sub_f32 v68, v89, v67 :: v_dual_mul_f32 v103, 0x3fb8aa3b, v93
	v_mul_f32_e32 v68, 0x3fb8aa3b, v68
	s_delay_alu instid0(VALU_DEP_1)
	v_exp_f32_e32 v100, v68
	v_sub_f32_e32 v68, v92, v67
	v_sub_f32_e32 v99, v90, v67
	ds_load_2addr_b32 v[89:90], v82 offset0:170 offset1:187
	v_dual_mul_f32 v102, 0x3fb8aa3b, v68 :: v_dual_mul_f32 v99, 0x3fb8aa3b, v99
	s_waitcnt lgkmcnt(1)
	v_fma_f32 v68, v100, v97, 0
	s_delay_alu instid0(VALU_DEP_2) | instskip(NEXT) | instid1(VALU_DEP_2)
	v_exp_f32_e32 v102, v102
	v_exp_f32_e32 v99, v99
	s_waitcnt_depctr 0xfff
	v_fmac_f32_e32 v68, v99, v98
	v_sub_f32_e32 v91, v91, v67
	s_delay_alu instid0(VALU_DEP_1)
	v_mul_f32_e32 v101, 0x3fb8aa3b, v91
	ds_load_2addr_b32 v[91:92], v82 offset0:204 offset1:221
	v_sub_f32_e32 v97, v94, v67
	ds_load_2addr_b32 v[93:94], v82 offset0:238 offset1:255
	s_waitcnt lgkmcnt(0)
	v_exp_f32_e32 v101, v101
	s_barrier
	buffer_gl0_inv
	v_dual_fmac_f32 v68, v101, v89 :: v_dual_sub_f32 v89, v96, v67
	v_dual_sub_f32 v82, v95, v67 :: v_dual_mul_f32 v95, 0x3fb8aa3b, v97
	v_exp_f32_e32 v97, v103
	s_delay_alu instid0(VALU_DEP_2) | instskip(NEXT) | instid1(VALU_DEP_2)
	v_dual_fmac_f32 v68, v102, v90 :: v_dual_mul_f32 v89, 0x3fb8aa3b, v89
	v_mul_f32_e32 v82, 0x3fb8aa3b, v82
	s_delay_alu instid0(VALU_DEP_3) | instskip(NEXT) | instid1(VALU_DEP_2)
	v_exp_f32_e32 v95, v95
	v_exp_f32_e32 v89, v89
	s_delay_alu instid0(VALU_DEP_1)
	v_exp_f32_e32 v82, v82
	v_fmac_f32_e32 v68, v97, v91
	s_delay_alu instid0(TRANS32_DEP_3) | instid1(VALU_DEP_1)
	v_fmac_f32_e32 v68, v95, v92
	s_waitcnt_depctr 0xfff
	v_fmac_f32_e32 v68, v82, v93
	s_delay_alu instid0(VALU_DEP_1) | instskip(NEXT) | instid1(VALU_DEP_1)
	v_fmac_f32_e32 v68, v89, v94
	v_add_f32_e32 v90, 0x358637bd, v68
	s_delay_alu instid0(VALU_DEP_1) | instskip(NEXT) | instid1(VALU_DEP_1)
	v_div_scale_f32 v91, null, v90, v90, 1.0
	v_rcp_f32_e32 v92, v91
	s_waitcnt_depctr 0xfff
	v_fma_f32 v93, -v91, v92, 1.0
	s_delay_alu instid0(VALU_DEP_1) | instskip(SKIP_1) | instid1(VALU_DEP_2)
	v_dual_fmac_f32 v92, v93, v92 :: v_dual_cndmask_b32 v93, v100, v99
	v_cmp_eq_u32_e32 vcc_lo, 3, v66
	v_cndmask_b32_e64 v93, v93, v101, s3
	v_cmp_eq_u32_e64 s3, 4, v66
	s_delay_alu instid0(VALU_DEP_2) | instskip(SKIP_1) | instid1(VALU_DEP_2)
	v_cndmask_b32_e32 v93, v93, v102, vcc_lo
	v_cmp_eq_u32_e32 vcc_lo, 5, v66
	v_cndmask_b32_e64 v93, v93, v97, s3
	v_cmp_eq_u32_e64 s3, 6, v66
	s_delay_alu instid0(VALU_DEP_2) | instskip(SKIP_1) | instid1(VALU_DEP_1)
	v_cndmask_b32_e32 v93, v93, v95, vcc_lo
	v_div_scale_f32 v94, s4, 1.0, v90, 1.0
	s_mov_b32 vcc_lo, s4
	s_delay_alu instid0(VALU_DEP_2) | instskip(NEXT) | instid1(VALU_DEP_2)
	v_cndmask_b32_e64 v82, v93, v82, s3
	v_mul_f32_e32 v96, v94, v92
	s_mov_b32 s3, exec_lo
	s_delay_alu instid0(VALU_DEP_2) | instskip(NEXT) | instid1(VALU_DEP_2)
	v_cndmask_b32_e64 v82, v82, v89, s5
	v_fma_f32 v98, -v91, v96, v94
	s_delay_alu instid0(VALU_DEP_1) | instskip(NEXT) | instid1(VALU_DEP_1)
	v_fmac_f32_e32 v96, v98, v92
	v_fma_f32 v91, -v91, v96, v94
	s_delay_alu instid0(VALU_DEP_1) | instskip(NEXT) | instid1(VALU_DEP_1)
	v_div_fmas_f32 v91, v91, v92, v96
	v_div_fixup_f32 v90, v91, v90, 1.0
	s_delay_alu instid0(VALU_DEP_1) | instskip(NEXT) | instid1(VALU_DEP_1)
	v_mul_f32_e32 v82, v82, v90
	v_mul_f32_e32 v87, v82, v87
	v_mul_f32_e32 v90, v82, v80
	v_mul_f32_e32 v80, v82, v88
	v_mul_f32_e32 v84, v82, v84
	v_mul_f32_e32 v88, v82, v86
	v_mul_f32_e32 v89, v82, v85
	v_dual_mul_f32 v86, v82, v83 :: v_dual_and_b32 v91, 0x7f800000, v90
	v_mul_f32_e32 v85, v82, v76
                                        ; implicit-def: $vgpr76
	s_delay_alu instid0(VALU_DEP_2)
	v_cmpx_ne_u32_e32 0x7f800000, v91
	s_xor_b32 s3, exec_lo, s3
; %bb.13:
	v_bfe_u32 v76, v90, 16, 1
	s_delay_alu instid0(VALU_DEP_1)
	v_add3_u32 v76, v90, v76, 0x7fff
                                        ; implicit-def: $vgpr90
; %bb.14:
	s_and_not1_saveexec_b32 s3, s3
; %bb.15:
	v_and_b32_e32 v76, 0xffff, v90
	v_or_b32_e32 v83, 0x10000, v90
	s_delay_alu instid0(VALU_DEP_2) | instskip(NEXT) | instid1(VALU_DEP_2)
	v_cmp_eq_u32_e32 vcc_lo, 0, v76
	v_cndmask_b32_e32 v76, v83, v90, vcc_lo
; %bb.16:
	s_or_b32 exec_lo, exec_lo, s3
	v_and_b32_e32 v83, 0x7f800000, v85
	s_delay_alu instid0(VALU_DEP_1) | instskip(SKIP_1) | instid1(SALU_CYCLE_1)
	v_cmp_ne_u32_e32 vcc_lo, 0x7f800000, v83
                                        ; implicit-def: $vgpr83
	s_and_saveexec_b32 s3, vcc_lo
	s_xor_b32 s3, exec_lo, s3
; %bb.17:
	v_bfe_u32 v83, v85, 16, 1
	s_delay_alu instid0(VALU_DEP_1)
	v_add3_u32 v83, v85, v83, 0x7fff
                                        ; implicit-def: $vgpr85
; %bb.18:
	s_and_not1_saveexec_b32 s3, s3
; %bb.19:
	v_and_b32_e32 v83, 0xffff, v85
	v_or_b32_e32 v90, 0x10000, v85
	s_delay_alu instid0(VALU_DEP_2) | instskip(NEXT) | instid1(VALU_DEP_2)
	v_cmp_eq_u32_e32 vcc_lo, 0, v83
	v_cndmask_b32_e32 v83, v90, v85, vcc_lo
; %bb.20:
	s_or_b32 exec_lo, exec_lo, s3
	v_and_b32_e32 v85, 0x7f800000, v86
	s_delay_alu instid0(VALU_DEP_1) | instskip(SKIP_1) | instid1(SALU_CYCLE_1)
	v_cmp_ne_u32_e32 vcc_lo, 0x7f800000, v85
                                        ; implicit-def: $vgpr85
	s_and_saveexec_b32 s3, vcc_lo
	s_xor_b32 s3, exec_lo, s3
; %bb.21:
	v_bfe_u32 v85, v86, 16, 1
	s_delay_alu instid0(VALU_DEP_1)
	v_add3_u32 v85, v86, v85, 0x7fff
                                        ; implicit-def: $vgpr86
; %bb.22:
	s_and_not1_saveexec_b32 s3, s3
; %bb.23:
	v_and_b32_e32 v85, 0xffff, v86
	v_or_b32_e32 v90, 0x10000, v86
	s_delay_alu instid0(VALU_DEP_2) | instskip(NEXT) | instid1(VALU_DEP_2)
	v_cmp_eq_u32_e32 vcc_lo, 0, v85
	v_cndmask_b32_e32 v85, v90, v86, vcc_lo
; %bb.24:
	s_or_b32 exec_lo, exec_lo, s3
	v_and_b32_e32 v86, 0x7f800000, v89
	s_delay_alu instid0(VALU_DEP_1) | instskip(SKIP_1) | instid1(SALU_CYCLE_1)
	v_cmp_ne_u32_e32 vcc_lo, 0x7f800000, v86
                                        ; implicit-def: $vgpr86
	s_and_saveexec_b32 s3, vcc_lo
	s_xor_b32 s3, exec_lo, s3
; %bb.25:
	v_bfe_u32 v86, v89, 16, 1
	s_delay_alu instid0(VALU_DEP_1)
	v_add3_u32 v86, v89, v86, 0x7fff
                                        ; implicit-def: $vgpr89
; %bb.26:
	s_and_not1_saveexec_b32 s3, s3
; %bb.27:
	v_and_b32_e32 v86, 0xffff, v89
	v_or_b32_e32 v90, 0x10000, v89
	s_delay_alu instid0(VALU_DEP_2) | instskip(NEXT) | instid1(VALU_DEP_2)
	v_cmp_eq_u32_e32 vcc_lo, 0, v86
	v_cndmask_b32_e32 v86, v90, v89, vcc_lo
; %bb.28:
	s_or_b32 exec_lo, exec_lo, s3
	v_and_b32_e32 v89, 0x7f800000, v88
	s_delay_alu instid0(VALU_DEP_1) | instskip(SKIP_1) | instid1(SALU_CYCLE_1)
	v_cmp_ne_u32_e32 vcc_lo, 0x7f800000, v89
                                        ; implicit-def: $vgpr89
	s_and_saveexec_b32 s3, vcc_lo
	s_xor_b32 s3, exec_lo, s3
; %bb.29:
	v_bfe_u32 v89, v88, 16, 1
	s_delay_alu instid0(VALU_DEP_1)
	v_add3_u32 v89, v88, v89, 0x7fff
                                        ; implicit-def: $vgpr88
; %bb.30:
	s_and_not1_saveexec_b32 s3, s3
; %bb.31:
	v_and_b32_e32 v89, 0xffff, v88
	v_or_b32_e32 v90, 0x10000, v88
	s_delay_alu instid0(VALU_DEP_2) | instskip(NEXT) | instid1(VALU_DEP_2)
	v_cmp_eq_u32_e32 vcc_lo, 0, v89
	v_cndmask_b32_e32 v89, v90, v88, vcc_lo
; %bb.32:
	s_or_b32 exec_lo, exec_lo, s3
	v_and_b32_e32 v88, 0x7f800000, v87
	s_delay_alu instid0(VALU_DEP_1) | instskip(SKIP_1) | instid1(SALU_CYCLE_1)
	v_cmp_ne_u32_e32 vcc_lo, 0x7f800000, v88
                                        ; implicit-def: $vgpr88
	s_and_saveexec_b32 s3, vcc_lo
	s_xor_b32 s3, exec_lo, s3
; %bb.33:
	v_bfe_u32 v88, v87, 16, 1
	s_delay_alu instid0(VALU_DEP_1)
	v_add3_u32 v88, v87, v88, 0x7fff
                                        ; implicit-def: $vgpr87
; %bb.34:
	s_and_not1_saveexec_b32 s3, s3
; %bb.35:
	v_and_b32_e32 v88, 0xffff, v87
	v_or_b32_e32 v90, 0x10000, v87
	s_delay_alu instid0(VALU_DEP_2) | instskip(NEXT) | instid1(VALU_DEP_2)
	v_cmp_eq_u32_e32 vcc_lo, 0, v88
	v_cndmask_b32_e32 v88, v90, v87, vcc_lo
; %bb.36:
	s_or_b32 exec_lo, exec_lo, s3
	v_and_b32_e32 v87, 0x7f800000, v84
	s_delay_alu instid0(VALU_DEP_1) | instskip(SKIP_1) | instid1(SALU_CYCLE_1)
	v_cmp_ne_u32_e32 vcc_lo, 0x7f800000, v87
                                        ; implicit-def: $vgpr87
	s_and_saveexec_b32 s3, vcc_lo
	s_xor_b32 s3, exec_lo, s3
; %bb.37:
	v_bfe_u32 v87, v84, 16, 1
	s_delay_alu instid0(VALU_DEP_1)
	v_add3_u32 v87, v84, v87, 0x7fff
                                        ; implicit-def: $vgpr84
; %bb.38:
	s_and_not1_saveexec_b32 s3, s3
; %bb.39:
	v_and_b32_e32 v87, 0xffff, v84
	v_or_b32_e32 v90, 0x10000, v84
	s_delay_alu instid0(VALU_DEP_2) | instskip(NEXT) | instid1(VALU_DEP_2)
	v_cmp_eq_u32_e32 vcc_lo, 0, v87
	v_cndmask_b32_e32 v87, v90, v84, vcc_lo
; %bb.40:
	s_or_b32 exec_lo, exec_lo, s3
	v_and_b32_e32 v84, 0x7f800000, v80
	s_delay_alu instid0(VALU_DEP_1) | instskip(SKIP_1) | instid1(SALU_CYCLE_1)
	v_cmp_ne_u32_e32 vcc_lo, 0x7f800000, v84
                                        ; implicit-def: $vgpr84
	s_and_saveexec_b32 s3, vcc_lo
	s_xor_b32 s3, exec_lo, s3
; %bb.41:
	v_bfe_u32 v84, v80, 16, 1
	s_delay_alu instid0(VALU_DEP_1)
	v_add3_u32 v84, v80, v84, 0x7fff
                                        ; implicit-def: $vgpr80
; %bb.42:
	s_and_not1_saveexec_b32 s3, s3
; %bb.43:
	v_and_b32_e32 v84, 0xffff, v80
	v_or_b32_e32 v90, 0x10000, v80
	s_delay_alu instid0(VALU_DEP_2) | instskip(NEXT) | instid1(VALU_DEP_2)
	v_cmp_eq_u32_e32 vcc_lo, 0, v84
	v_cndmask_b32_e32 v84, v90, v80, vcc_lo
; %bb.44:
	s_or_b32 exec_lo, exec_lo, s3
	s_load_b64 s[34:35], s[0:1], 0x94
	v_lshlrev_b32_e32 v91, 4, v74
	s_delay_alu instid0(VALU_DEP_2)
	v_perm_b32 v90, v84, v87, 0x7060302
	v_dual_mul_f32 v79, v82, v79 :: v_dual_lshlrev_b32 v80, 6, v65
	v_dual_mul_f32 v77, v82, v77 :: v_dual_lshlrev_b32 v92, 11, v66
	v_mul_f32_e32 v84, v82, v70
	v_perm_b32 v89, v88, v89, 0x7060302
	v_perm_b32 v88, v86, v85, 0x7060302
	;; [unrolled: 1-line block ×3, first 2 shown]
	v_mul_f32_e32 v70, v82, v81
	v_or3_b32 v76, v91, v92, v80
	v_dual_mul_f32 v78, v82, v78 :: v_dual_and_b32 v85, 0x7f800000, v84
	v_mul_f32_e32 v83, v82, v72
	v_mul_f32_e32 v81, v82, v71
	;; [unrolled: 1-line block ×3, first 2 shown]
	s_mov_b32 s3, exec_lo
	ds_store_b128 v76, v[87:90]
                                        ; implicit-def: $vgpr69
	v_cmpx_ne_u32_e32 0x7f800000, v85
	s_xor_b32 s3, exec_lo, s3
; %bb.45:
	v_bfe_u32 v69, v84, 16, 1
	s_delay_alu instid0(VALU_DEP_1)
	v_add3_u32 v69, v84, v69, 0x7fff
                                        ; implicit-def: $vgpr84
; %bb.46:
	s_and_not1_saveexec_b32 s3, s3
; %bb.47:
	v_and_b32_e32 v69, 0xffff, v84
	v_or_b32_e32 v71, 0x10000, v84
	s_delay_alu instid0(VALU_DEP_2) | instskip(NEXT) | instid1(VALU_DEP_2)
	v_cmp_eq_u32_e32 vcc_lo, 0, v69
	v_cndmask_b32_e32 v69, v71, v84, vcc_lo
; %bb.48:
	s_or_b32 exec_lo, exec_lo, s3
	v_and_b32_e32 v71, 0x7f800000, v72
	s_delay_alu instid0(VALU_DEP_1) | instskip(SKIP_1) | instid1(SALU_CYCLE_1)
	v_cmp_ne_u32_e32 vcc_lo, 0x7f800000, v71
                                        ; implicit-def: $vgpr71
	s_and_saveexec_b32 s3, vcc_lo
	s_xor_b32 s3, exec_lo, s3
; %bb.49:
	v_bfe_u32 v71, v72, 16, 1
	s_delay_alu instid0(VALU_DEP_1)
	v_add3_u32 v71, v72, v71, 0x7fff
                                        ; implicit-def: $vgpr72
; %bb.50:
	s_and_not1_saveexec_b32 s3, s3
; %bb.51:
	v_and_b32_e32 v71, 0xffff, v72
	v_or_b32_e32 v82, 0x10000, v72
	s_delay_alu instid0(VALU_DEP_2) | instskip(NEXT) | instid1(VALU_DEP_2)
	v_cmp_eq_u32_e32 vcc_lo, 0, v71
	v_cndmask_b32_e32 v71, v82, v72, vcc_lo
; %bb.52:
	s_or_b32 exec_lo, exec_lo, s3
	v_and_b32_e32 v72, 0x7f800000, v81
	s_delay_alu instid0(VALU_DEP_1) | instskip(SKIP_1) | instid1(SALU_CYCLE_1)
	v_cmp_ne_u32_e32 vcc_lo, 0x7f800000, v72
                                        ; implicit-def: $vgpr72
	s_and_saveexec_b32 s3, vcc_lo
	s_xor_b32 s3, exec_lo, s3
; %bb.53:
	v_bfe_u32 v72, v81, 16, 1
	s_delay_alu instid0(VALU_DEP_1)
	v_add3_u32 v72, v81, v72, 0x7fff
                                        ; implicit-def: $vgpr81
; %bb.54:
	s_and_not1_saveexec_b32 s3, s3
; %bb.55:
	v_and_b32_e32 v72, 0xffff, v81
	v_or_b32_e32 v82, 0x10000, v81
	s_delay_alu instid0(VALU_DEP_2) | instskip(NEXT) | instid1(VALU_DEP_2)
	v_cmp_eq_u32_e32 vcc_lo, 0, v72
	v_cndmask_b32_e32 v72, v82, v81, vcc_lo
; %bb.56:
	s_or_b32 exec_lo, exec_lo, s3
	v_and_b32_e32 v81, 0x7f800000, v83
	s_delay_alu instid0(VALU_DEP_1) | instskip(SKIP_1) | instid1(SALU_CYCLE_1)
	v_cmp_ne_u32_e32 vcc_lo, 0x7f800000, v81
                                        ; implicit-def: $vgpr81
	s_and_saveexec_b32 s3, vcc_lo
	s_xor_b32 s3, exec_lo, s3
; %bb.57:
	v_bfe_u32 v81, v83, 16, 1
	s_delay_alu instid0(VALU_DEP_1)
	v_add3_u32 v81, v83, v81, 0x7fff
                                        ; implicit-def: $vgpr83
; %bb.58:
	s_and_not1_saveexec_b32 s3, s3
; %bb.59:
	v_and_b32_e32 v81, 0xffff, v83
	v_or_b32_e32 v82, 0x10000, v83
	s_delay_alu instid0(VALU_DEP_2) | instskip(NEXT) | instid1(VALU_DEP_2)
	v_cmp_eq_u32_e32 vcc_lo, 0, v81
	v_cndmask_b32_e32 v81, v82, v83, vcc_lo
; %bb.60:
	s_or_b32 exec_lo, exec_lo, s3
	v_and_b32_e32 v82, 0x7f800000, v77
	s_delay_alu instid0(VALU_DEP_1) | instskip(SKIP_1) | instid1(SALU_CYCLE_1)
	v_cmp_ne_u32_e32 vcc_lo, 0x7f800000, v82
                                        ; implicit-def: $vgpr82
	s_and_saveexec_b32 s3, vcc_lo
	s_xor_b32 s3, exec_lo, s3
; %bb.61:
	v_bfe_u32 v82, v77, 16, 1
	s_delay_alu instid0(VALU_DEP_1)
	v_add3_u32 v82, v77, v82, 0x7fff
                                        ; implicit-def: $vgpr77
; %bb.62:
	s_and_not1_saveexec_b32 s3, s3
; %bb.63:
	v_and_b32_e32 v82, 0xffff, v77
	v_or_b32_e32 v83, 0x10000, v77
	s_delay_alu instid0(VALU_DEP_2) | instskip(NEXT) | instid1(VALU_DEP_2)
	v_cmp_eq_u32_e32 vcc_lo, 0, v82
	v_cndmask_b32_e32 v82, v83, v77, vcc_lo
; %bb.64:
	s_or_b32 exec_lo, exec_lo, s3
	v_and_b32_e32 v77, 0x7f800000, v78
	s_delay_alu instid0(VALU_DEP_1) | instskip(SKIP_1) | instid1(SALU_CYCLE_1)
	v_cmp_ne_u32_e32 vcc_lo, 0x7f800000, v77
                                        ; implicit-def: $vgpr77
	s_and_saveexec_b32 s3, vcc_lo
	s_xor_b32 s3, exec_lo, s3
; %bb.65:
	v_bfe_u32 v77, v78, 16, 1
	s_delay_alu instid0(VALU_DEP_1)
	v_add3_u32 v77, v78, v77, 0x7fff
                                        ; implicit-def: $vgpr78
; %bb.66:
	s_and_not1_saveexec_b32 s3, s3
; %bb.67:
	v_and_b32_e32 v77, 0xffff, v78
	v_or_b32_e32 v83, 0x10000, v78
	s_delay_alu instid0(VALU_DEP_2) | instskip(NEXT) | instid1(VALU_DEP_2)
	v_cmp_eq_u32_e32 vcc_lo, 0, v77
	v_cndmask_b32_e32 v77, v83, v78, vcc_lo
; %bb.68:
	s_or_b32 exec_lo, exec_lo, s3
	v_and_b32_e32 v78, 0x7f800000, v79
	s_delay_alu instid0(VALU_DEP_1) | instskip(SKIP_1) | instid1(SALU_CYCLE_1)
	v_cmp_ne_u32_e32 vcc_lo, 0x7f800000, v78
                                        ; implicit-def: $vgpr78
	s_and_saveexec_b32 s3, vcc_lo
	s_xor_b32 s3, exec_lo, s3
; %bb.69:
	v_bfe_u32 v78, v79, 16, 1
	s_delay_alu instid0(VALU_DEP_1)
	v_add3_u32 v78, v79, v78, 0x7fff
                                        ; implicit-def: $vgpr79
; %bb.70:
	s_and_not1_saveexec_b32 s3, s3
; %bb.71:
	v_and_b32_e32 v78, 0xffff, v79
	v_or_b32_e32 v83, 0x10000, v79
	s_delay_alu instid0(VALU_DEP_2) | instskip(NEXT) | instid1(VALU_DEP_2)
	v_cmp_eq_u32_e32 vcc_lo, 0, v78
	v_cndmask_b32_e32 v78, v83, v79, vcc_lo
; %bb.72:
	s_or_b32 exec_lo, exec_lo, s3
	v_and_b32_e32 v79, 0x7f800000, v70
	s_delay_alu instid0(VALU_DEP_1) | instskip(SKIP_1) | instid1(SALU_CYCLE_1)
	v_cmp_ne_u32_e32 vcc_lo, 0x7f800000, v79
                                        ; implicit-def: $vgpr79
	s_and_saveexec_b32 s3, vcc_lo
	s_xor_b32 s3, exec_lo, s3
; %bb.73:
	v_bfe_u32 v79, v70, 16, 1
	s_delay_alu instid0(VALU_DEP_1)
	v_add3_u32 v79, v70, v79, 0x7fff
                                        ; implicit-def: $vgpr70
; %bb.74:
	s_and_not1_saveexec_b32 s3, s3
; %bb.75:
	v_and_b32_e32 v79, 0xffff, v70
	v_or_b32_e32 v83, 0x10000, v70
	s_delay_alu instid0(VALU_DEP_2) | instskip(NEXT) | instid1(VALU_DEP_2)
	v_cmp_eq_u32_e32 vcc_lo, 0, v79
	v_cndmask_b32_e32 v79, v83, v70, vcc_lo
; %bb.76:
	s_or_b32 exec_lo, exec_lo, s3
	s_delay_alu instid0(VALU_DEP_1)
	v_perm_b32 v86, v79, v78, 0x7060302
	v_perm_b32 v85, v77, v82, 0x7060302
	v_perm_b32 v84, v81, v72, 0x7060302
	v_perm_b32 v83, v71, v69, 0x7060302
	v_lshl_or_b32 v82, v66, 11, v80
	ds_store_b128 v76, v[83:86] offset:1024
	s_waitcnt lgkmcnt(0)
	s_barrier
	buffer_gl0_inv
	ds_load_b128 v[69:72], v82
	ds_load_b128 v[83:86], v82 offset:16
	s_waitcnt lgkmcnt(1)
	v_lshrrev_b32_e32 v66, 16, v69
	s_waitcnt lgkmcnt(0)
	v_lshrrev_b32_e32 v91, 16, v83
	v_lshlrev_b32_e32 v78, 2, v74
	v_lshrrev_b32_e32 v95, 16, v70
	v_lshrrev_b32_e32 v98, 16, v84
	;; [unrolled: 1-line block ×4, first 2 shown]
	v_cmp_eq_u32_e32 vcc_lo, 1, v78
	v_lshrrev_b32_e32 v97, 16, v72
	v_lshrrev_b32_e32 v100, 16, v86
	v_cndmask_b32_e32 v87, v83, v91, vcc_lo
	v_or_b32_e32 v79, 1, v78
	v_cndmask_b32_e32 v81, v69, v66, vcc_lo
	v_cmp_eq_u32_e64 s4, 2, v78
	v_cmp_eq_u32_e64 s7, 3, v78
	;; [unrolled: 1-line block ×5, first 2 shown]
	v_cndmask_b32_e64 v81, v81, v70, s4
	v_cndmask_b32_e64 v87, v87, v84, s4
	v_cmp_eq_u32_e64 s8, 3, v79
	v_cndmask_b32_e64 v88, v69, v66, s3
	v_or_b32_e32 v77, 2, v78
	v_cndmask_b32_e64 v81, v81, v95, s7
	v_cndmask_b32_e64 v87, v87, v98, s7
	;; [unrolled: 1-line block ×4, first 2 shown]
	v_cmp_eq_u32_e64 s10, 5, v78
	v_cndmask_b32_e64 v81, v81, v71, s9
	v_cndmask_b32_e64 v87, v87, v85, s9
	v_cmp_eq_u32_e64 s11, 4, v79
	v_cndmask_b32_e64 v88, v88, v95, s8
	v_cmp_eq_u32_e64 s5, 1, v77
	v_cndmask_b32_e64 v89, v89, v84, s6
	v_cndmask_b32_e64 v81, v81, v96, s10
	v_cmp_eq_u32_e64 s12, 6, v78
	v_cndmask_b32_e64 v88, v88, v71, s11
	;; [unrolled: 3-line block ×3, first 2 shown]
	v_cndmask_b32_e64 v89, v89, v98, s8
	v_cndmask_b32_e64 v81, v81, v72, s12
	v_cmp_eq_u32_e64 s15, 7, v78
	v_cndmask_b32_e64 v88, v88, v96, s13
	v_cndmask_b32_e64 v87, v87, v86, s12
	v_cmp_eq_u32_e64 s16, 6, v79
	v_cmp_eq_u32_e64 s17, 2, v77
	v_cndmask_b32_e64 v89, v89, v85, s11
	v_cndmask_b32_e64 v101, v81, v97, s15
	;; [unrolled: 1-line block ×6, first 2 shown]
	v_cmp_eq_u32_e64 s18, 7, v79
	v_cmp_eq_u32_e64 s19, 3, v77
	;; [unrolled: 1-line block ×4, first 2 shown]
	v_cndmask_b32_e64 v87, v87, v84, s17
	v_cndmask_b32_e64 v103, v88, v97, s18
	;; [unrolled: 1-line block ×4, first 2 shown]
	v_or_b32_e32 v81, 3, v78
	v_cndmask_b32_e64 v93, v87, v98, s19
	v_cmp_eq_u32_e64 s24, 6, v77
	v_cndmask_b32_e64 v104, v88, v86, s16
	v_cndmask_b32_e64 v92, v89, v71, s20
	v_cmp_eq_u32_e64 s21, 1, v81
	ds_load_b128 v[87:90], v82 offset:1024
	v_cmp_eq_u32_e64 s23, 2, v81
	v_cmp_eq_u32_e64 s25, 3, v81
	v_cndmask_b32_e64 v105, v92, v96, s22
	v_cndmask_b32_e64 v66, v69, v66, s21
	;; [unrolled: 1-line block ×4, first 2 shown]
	ds_load_b128 v[91:94], v82 offset:1040
	v_cmp_eq_u32_e64 s26, 4, v81
	v_cndmask_b32_e64 v66, v66, v70, s23
	v_cmp_eq_u32_e64 s27, 7, v77
	v_cndmask_b32_e64 v70, v83, v84, s23
	v_cndmask_b32_e64 v84, v105, v72, s24
	v_cmp_eq_u32_e64 s28, 5, v81
	v_cndmask_b32_e64 v66, v66, v95, s25
	v_cmp_eq_u32_e64 s29, 6, v81
	v_cndmask_b32_e64 v70, v70, v98, s25
	v_cndmask_b32_e64 v69, v69, v99, s22
	;; [unrolled: 1-line block ×4, first 2 shown]
	s_waitcnt lgkmcnt(1)
	v_lshrrev_b32_e32 v95, 16, v87
	v_cndmask_b32_e64 v70, v70, v85, s26
	v_cndmask_b32_e64 v71, v84, v97, s27
	;; [unrolled: 1-line block ×4, first 2 shown]
	v_cndmask_b32_e32 v84, v87, v95, vcc_lo
	v_cndmask_b32_e64 v70, v70, v99, s28
	s_waitcnt lgkmcnt(0)
	v_lshrrev_b32_e32 v85, 16, v91
	v_lshrrev_b32_e32 v96, 16, v88
	v_cndmask_b32_e64 v98, v87, v95, s3
	v_cndmask_b32_e64 v84, v84, v88, s4
	;; [unrolled: 1-line block ×3, first 2 shown]
	v_cndmask_b32_e32 v99, v91, v85, vcc_lo
	v_cmp_eq_u32_e32 vcc_lo, 7, v81
	v_cndmask_b32_e64 v66, v66, v72, s29
	v_cndmask_b32_e64 v72, v84, v96, s7
	;; [unrolled: 1-line block ×3, first 2 shown]
	v_lshrrev_b32_e32 v98, 16, v92
	v_cndmask_b32_e32 v70, v70, v100, vcc_lo
	v_cndmask_b32_e64 v86, v99, v92, s4
	v_cndmask_b32_e64 v69, v69, v100, s27
	v_lshrrev_b32_e32 v100, 16, v93
	v_cndmask_b32_e64 v72, v72, v89, s9
	v_lshrrev_b32_e32 v99, 16, v89
	v_cndmask_b32_e64 v86, v86, v98, s7
	v_perm_b32 v71, v69, v71, 0x5040100
	v_cndmask_b32_e64 v84, v84, v96, s8
	s_delay_alu instid0(VALU_DEP_3) | instskip(NEXT) | instid1(VALU_DEP_2)
	v_cndmask_b32_e64 v86, v86, v93, s9
	v_cndmask_b32_e64 v84, v84, v89, s11
	s_delay_alu instid0(VALU_DEP_2) | instskip(NEXT) | instid1(VALU_DEP_1)
	v_cndmask_b32_e64 v86, v86, v100, s10
	v_cndmask_b32_e64 v69, v86, v94, s12
	;; [unrolled: 1-line block ×5, first 2 shown]
	s_delay_alu instid0(VALU_DEP_3) | instskip(NEXT) | instid1(VALU_DEP_3)
	v_cndmask_b32_e64 v86, v86, v88, s17
	v_cndmask_b32_e64 v87, v87, v88, s23
	s_delay_alu instid0(VALU_DEP_3) | instskip(NEXT) | instid1(VALU_DEP_3)
	v_cndmask_b32_e64 v88, v95, v92, s23
	v_cndmask_b32_e64 v86, v86, v96, s19
	;; [unrolled: 3-line block ×7, first 2 shown]
	s_delay_alu instid0(VALU_DEP_3) | instskip(SKIP_2) | instid1(VALU_DEP_2)
	v_cndmask_b32_e64 v88, v88, v94, s29
	v_cndmask_b32_e32 v66, v66, v97, vcc_lo
	v_cndmask_b32_e64 v97, v72, v99, s10
	v_perm_b32 v72, v70, v66, 0x5040100
	v_perm_b32 v70, v83, v103, 0x5040100
	v_cndmask_b32_e64 v103, v91, v85, s5
	v_cndmask_b32_e64 v85, v91, v85, s3
	;; [unrolled: 1-line block ×4, first 2 shown]
	v_lshrrev_b32_e32 v97, 16, v90
	v_cndmask_b32_e64 v91, v103, v92, s17
	v_cndmask_b32_e64 v85, v85, v92, s6
	v_cndmask_b32_e64 v66, v66, v90, s16
	s_mov_b32 s3, exec_lo
	v_cndmask_b32_e64 v83, v84, v97, s15
	v_cndmask_b32_e64 v91, v91, v98, s19
	v_cndmask_b32_e64 v85, v85, v98, s8
	v_lshrrev_b32_e32 v84, 16, v94
	v_cndmask_b32_e64 v66, v66, v97, s18
	v_cndmask_b32_e64 v90, v86, v97, s27
	;; [unrolled: 1-line block ×4, first 2 shown]
	v_dual_cndmask_b32 v86, v87, v97 :: v_dual_cndmask_b32 v87, v88, v84
	v_cndmask_b32_e64 v91, v69, v84, s15
	s_delay_alu instid0(VALU_DEP_4) | instskip(NEXT) | instid1(VALU_DEP_4)
	v_cndmask_b32_e64 v89, v89, v100, s22
	v_cndmask_b32_e64 v85, v85, v100, s13
	v_perm_b32 v69, v102, v101, 0x5040100
	v_perm_b32 v86, v87, v86, 0x5040100
	v_perm_b32 v83, v91, v83, 0x5040100
	v_cndmask_b32_e64 v89, v89, v94, s24
	v_cndmask_b32_e64 v85, v85, v94, s16
	s_mul_i32 s8, s35, 3
	s_delay_alu instid0(VALU_DEP_2) | instskip(NEXT) | instid1(VALU_DEP_2)
	v_cndmask_b32_e64 v88, v89, v84, s27
	v_cndmask_b32_e64 v89, v85, v84, s18
	s_delay_alu instid0(VALU_DEP_2) | instskip(NEXT) | instid1(VALU_DEP_2)
	v_perm_b32 v85, v88, v90, 0x5040100
	v_perm_b32 v84, v89, v66, 0x5040100
	ds_store_b128 v76, v[69:72]
	ds_store_b128 v76, v[83:86] offset:1024
	v_cmpx_gt_u32_e32 3, v0
	s_cbranch_execz .LBB1888_78
; %bb.77:
	s_mul_i32 s4, s8, s30
	s_delay_alu instid0(SALU_CYCLE_1) | instskip(SKIP_1) | instid1(VALU_DEP_1)
	v_add3_u32 v69, s4, s31, v65
	s_load_b128 s[4:7], s[0:1], 0x58
	v_mad_u64_u32 v[65:66], null, v69, s34, s[14:15]
	s_delay_alu instid0(VALU_DEP_1) | instskip(NEXT) | instid1(VALU_DEP_1)
	v_ashrrev_i32_e32 v66, 31, v65
	v_lshlrev_b64 v[65:66], 2, v[65:66]
	s_waitcnt lgkmcnt(0)
	s_delay_alu instid0(VALU_DEP_1) | instskip(NEXT) | instid1(VALU_DEP_2)
	v_add_co_u32 v69, vcc_lo, s6, v65
	v_add_co_ci_u32_e32 v70, vcc_lo, s7, v66, vcc_lo
	v_add_co_u32 v65, vcc_lo, s4, v65
	v_add_co_ci_u32_e32 v66, vcc_lo, s5, v66, vcc_lo
	global_store_b32 v[69:70], v67, off
	global_store_b32 v[65:66], v68, off
.LBB1888_78:
	s_or_b32 exec_lo, exec_lo, s3
	s_waitcnt lgkmcnt(0)
	s_waitcnt_vscnt null, 0x0
	s_barrier
	buffer_gl0_inv
	ds_load_b128 v[83:86], v80
	ds_load_b128 v[87:90], v80 offset:16
	ds_load_b128 v[95:98], v80 offset:2064
	;; [unrolled: 1-line block ×3, first 2 shown]
	v_mov_b32_e32 v65, 0
	ds_load_b128 v[103:106], v80 offset:4112
	ds_load_b128 v[99:102], v80 offset:4096
	ds_load_b128 v[111:114], v80 offset:6160
	ds_load_b128 v[107:110], v80 offset:6144
	v_mov_b32_e32 v66, v65
	v_mov_b32_e32 v67, v65
	;; [unrolled: 1-line block ×7, first 2 shown]
	s_waitcnt lgkmcnt(6)
	s_delay_alu instid0(VALU_DEP_1)
	v_wmma_f32_16x16x16_bf16 v[65:72], v[41:48], v[83:90], v[65:72]
	ds_load_b128 v[45:48], v80 offset:8208
	ds_load_b128 v[41:44], v80 offset:8192
	s_waitcnt lgkmcnt(6)
	v_wmma_f32_16x16x16_bf16 v[65:72], v[33:40], v[91:98], v[65:72]
	ds_load_b128 v[37:40], v80 offset:10256
	ds_load_b128 v[33:36], v80 offset:10240
	s_waitcnt lgkmcnt(6)
	v_wmma_f32_16x16x16_bf16 v[65:72], v[25:32], v[99:106], v[65:72]
	ds_load_b128 v[29:32], v80 offset:12304
	ds_load_b128 v[25:28], v80 offset:12288
	s_waitcnt lgkmcnt(6)
	v_wmma_f32_16x16x16_bf16 v[65:72], v[17:24], v[107:114], v[65:72]
	ds_load_b128 v[21:24], v80 offset:14352
	ds_load_b128 v[17:20], v80 offset:14336
	s_waitcnt lgkmcnt(6)
	v_wmma_f32_16x16x16_bf16 v[65:72], v[1:8], v[41:48], v[65:72]
	s_waitcnt lgkmcnt(4)
	s_delay_alu instid0(VALU_DEP_1) | instskip(SKIP_1) | instid1(VALU_DEP_1)
	v_wmma_f32_16x16x16_bf16 v[65:72], v[9:16], v[33:40], v[65:72]
	s_waitcnt lgkmcnt(2)
	v_wmma_f32_16x16x16_bf16 v[65:72], v[57:64], v[25:32], v[65:72]
	s_waitcnt lgkmcnt(0)
	s_delay_alu instid0(VALU_DEP_1) | instskip(NEXT) | instid1(VALU_DEP_1)
	v_wmma_f32_16x16x16_bf16 v[65:72], v[49:56], v[17:24], v[65:72]
	v_and_b32_e32 v1, 0x7f800000, v65
	s_delay_alu instid0(VALU_DEP_1) | instskip(SKIP_1) | instid1(SALU_CYCLE_1)
	v_cmp_ne_u32_e32 vcc_lo, 0x7f800000, v1
                                        ; implicit-def: $vgpr1
	s_and_saveexec_b32 s3, vcc_lo
	s_xor_b32 s3, exec_lo, s3
; %bb.79:
	v_bfe_u32 v1, v65, 16, 1
	s_delay_alu instid0(VALU_DEP_1)
	v_add3_u32 v1, v65, v1, 0x7fff
; %bb.80:
	s_and_not1_saveexec_b32 s3, s3
; %bb.81:
	v_and_b32_e32 v1, 0xffff, v65
	v_or_b32_e32 v2, 0x10000, v65
	s_delay_alu instid0(VALU_DEP_2) | instskip(NEXT) | instid1(VALU_DEP_2)
	v_cmp_eq_u32_e32 vcc_lo, 0, v1
	v_cndmask_b32_e32 v1, v2, v65, vcc_lo
; %bb.82:
	s_or_b32 exec_lo, exec_lo, s3
	v_and_b32_e32 v2, 0x7f800000, v66
	s_delay_alu instid0(VALU_DEP_1) | instskip(SKIP_1) | instid1(SALU_CYCLE_1)
	v_cmp_ne_u32_e32 vcc_lo, 0x7f800000, v2
                                        ; implicit-def: $vgpr2
	s_and_saveexec_b32 s3, vcc_lo
	s_xor_b32 s3, exec_lo, s3
; %bb.83:
	v_bfe_u32 v2, v66, 16, 1
	s_delay_alu instid0(VALU_DEP_1)
	v_add3_u32 v2, v66, v2, 0x7fff
; %bb.84:
	s_and_not1_saveexec_b32 s3, s3
; %bb.85:
	v_and_b32_e32 v2, 0xffff, v66
	v_or_b32_e32 v3, 0x10000, v66
	s_delay_alu instid0(VALU_DEP_2) | instskip(NEXT) | instid1(VALU_DEP_2)
	v_cmp_eq_u32_e32 vcc_lo, 0, v2
	v_cndmask_b32_e32 v2, v3, v66, vcc_lo
; %bb.86:
	s_or_b32 exec_lo, exec_lo, s3
	v_and_b32_e32 v3, 0x7f800000, v67
	s_delay_alu instid0(VALU_DEP_1) | instskip(SKIP_1) | instid1(SALU_CYCLE_1)
	v_cmp_ne_u32_e32 vcc_lo, 0x7f800000, v3
                                        ; implicit-def: $vgpr3
	s_and_saveexec_b32 s3, vcc_lo
	s_xor_b32 s3, exec_lo, s3
; %bb.87:
	v_bfe_u32 v3, v67, 16, 1
	s_delay_alu instid0(VALU_DEP_1)
	v_add3_u32 v3, v67, v3, 0x7fff
; %bb.88:
	s_and_not1_saveexec_b32 s3, s3
; %bb.89:
	v_and_b32_e32 v3, 0xffff, v67
	v_or_b32_e32 v4, 0x10000, v67
	s_delay_alu instid0(VALU_DEP_2) | instskip(NEXT) | instid1(VALU_DEP_2)
	v_cmp_eq_u32_e32 vcc_lo, 0, v3
	v_cndmask_b32_e32 v3, v4, v67, vcc_lo
; %bb.90:
	s_or_b32 exec_lo, exec_lo, s3
	v_and_b32_e32 v4, 0x7f800000, v68
	s_delay_alu instid0(VALU_DEP_1) | instskip(SKIP_1) | instid1(SALU_CYCLE_1)
	v_cmp_ne_u32_e32 vcc_lo, 0x7f800000, v4
                                        ; implicit-def: $vgpr4
	s_and_saveexec_b32 s3, vcc_lo
	s_xor_b32 s3, exec_lo, s3
; %bb.91:
	v_bfe_u32 v4, v68, 16, 1
	s_delay_alu instid0(VALU_DEP_1)
	v_add3_u32 v4, v68, v4, 0x7fff
; %bb.92:
	s_and_not1_saveexec_b32 s3, s3
; %bb.93:
	v_and_b32_e32 v4, 0xffff, v68
	v_or_b32_e32 v5, 0x10000, v68
	s_delay_alu instid0(VALU_DEP_2) | instskip(NEXT) | instid1(VALU_DEP_2)
	v_cmp_eq_u32_e32 vcc_lo, 0, v4
	v_cndmask_b32_e32 v4, v5, v68, vcc_lo
; %bb.94:
	s_or_b32 exec_lo, exec_lo, s3
	v_and_b32_e32 v5, 0x7f800000, v69
	s_delay_alu instid0(VALU_DEP_1) | instskip(SKIP_1) | instid1(SALU_CYCLE_1)
	v_cmp_ne_u32_e32 vcc_lo, 0x7f800000, v5
                                        ; implicit-def: $vgpr5
	s_and_saveexec_b32 s3, vcc_lo
	s_xor_b32 s3, exec_lo, s3
; %bb.95:
	v_bfe_u32 v5, v69, 16, 1
	s_delay_alu instid0(VALU_DEP_1)
	v_add3_u32 v5, v69, v5, 0x7fff
; %bb.96:
	s_and_not1_saveexec_b32 s3, s3
; %bb.97:
	v_and_b32_e32 v5, 0xffff, v69
	v_or_b32_e32 v6, 0x10000, v69
	s_delay_alu instid0(VALU_DEP_2) | instskip(NEXT) | instid1(VALU_DEP_2)
	v_cmp_eq_u32_e32 vcc_lo, 0, v5
	v_cndmask_b32_e32 v5, v6, v69, vcc_lo
; %bb.98:
	s_or_b32 exec_lo, exec_lo, s3
	v_and_b32_e32 v6, 0x7f800000, v70
	s_delay_alu instid0(VALU_DEP_1) | instskip(SKIP_1) | instid1(SALU_CYCLE_1)
	v_cmp_ne_u32_e32 vcc_lo, 0x7f800000, v6
                                        ; implicit-def: $vgpr6
	s_and_saveexec_b32 s3, vcc_lo
	s_xor_b32 s3, exec_lo, s3
; %bb.99:
	v_bfe_u32 v6, v70, 16, 1
	s_delay_alu instid0(VALU_DEP_1)
	v_add3_u32 v6, v70, v6, 0x7fff
; %bb.100:
	s_and_not1_saveexec_b32 s3, s3
; %bb.101:
	v_and_b32_e32 v6, 0xffff, v70
	v_or_b32_e32 v7, 0x10000, v70
	s_delay_alu instid0(VALU_DEP_2) | instskip(NEXT) | instid1(VALU_DEP_2)
	v_cmp_eq_u32_e32 vcc_lo, 0, v6
	v_cndmask_b32_e32 v6, v7, v70, vcc_lo
; %bb.102:
	s_or_b32 exec_lo, exec_lo, s3
	v_and_b32_e32 v7, 0x7f800000, v71
	s_delay_alu instid0(VALU_DEP_1) | instskip(SKIP_1) | instid1(SALU_CYCLE_1)
	v_cmp_ne_u32_e32 vcc_lo, 0x7f800000, v7
                                        ; implicit-def: $vgpr7
	s_and_saveexec_b32 s3, vcc_lo
	s_xor_b32 s3, exec_lo, s3
; %bb.103:
	v_bfe_u32 v7, v71, 16, 1
	s_delay_alu instid0(VALU_DEP_1)
	v_add3_u32 v7, v71, v7, 0x7fff
; %bb.104:
	s_and_not1_saveexec_b32 s3, s3
; %bb.105:
	v_and_b32_e32 v7, 0xffff, v71
	v_or_b32_e32 v8, 0x10000, v71
	s_delay_alu instid0(VALU_DEP_2) | instskip(NEXT) | instid1(VALU_DEP_2)
	v_cmp_eq_u32_e32 vcc_lo, 0, v7
	v_cndmask_b32_e32 v7, v8, v71, vcc_lo
; %bb.106:
	s_or_b32 exec_lo, exec_lo, s3
	v_and_b32_e32 v8, 0x7f800000, v72
	s_delay_alu instid0(VALU_DEP_1) | instskip(SKIP_1) | instid1(SALU_CYCLE_1)
	v_cmp_ne_u32_e32 vcc_lo, 0x7f800000, v8
                                        ; implicit-def: $vgpr8
	s_and_saveexec_b32 s3, vcc_lo
	s_xor_b32 s3, exec_lo, s3
; %bb.107:
	v_bfe_u32 v8, v72, 16, 1
	s_delay_alu instid0(VALU_DEP_1)
	v_add3_u32 v8, v72, v8, 0x7fff
                                        ; implicit-def: $vgpr65_vgpr66_vgpr67_vgpr68_vgpr69_vgpr70_vgpr71_vgpr72
; %bb.108:
	s_and_not1_saveexec_b32 s3, s3
; %bb.109:
	v_and_b32_e32 v8, 0xffff, v72
	v_or_b32_e32 v9, 0x10000, v72
	s_delay_alu instid0(VALU_DEP_2) | instskip(NEXT) | instid1(VALU_DEP_2)
	v_cmp_eq_u32_e32 vcc_lo, 0, v8
	v_cndmask_b32_e32 v8, v9, v72, vcc_lo
; %bb.110:
	s_or_b32 exec_lo, exec_lo, s3
	s_delay_alu instid0(VALU_DEP_1)
	v_perm_b32 v7, v8, v7, 0x7060302
	v_perm_b32 v6, v6, v5, 0x7060302
	;; [unrolled: 1-line block ×4, first 2 shown]
	s_barrier
	buffer_gl0_inv
	v_cmp_eq_u32_e32 vcc_lo, 1, v78
	ds_store_b128 v76, v[4:7]
	s_waitcnt lgkmcnt(0)
	s_barrier
	buffer_gl0_inv
	ds_load_b128 v[1:4], v82
	ds_load_b128 v[5:8], v82 offset:16
	v_cmp_eq_u32_e64 s3, 1, v79
	v_cmp_eq_u32_e64 s4, 2, v78
	;; [unrolled: 1-line block ×5, first 2 shown]
	s_waitcnt lgkmcnt(1)
	v_lshrrev_b32_e32 v9, 16, v1
	s_waitcnt lgkmcnt(0)
	v_lshrrev_b32_e32 v13, 16, v5
	v_lshrrev_b32_e32 v10, 16, v2
	;; [unrolled: 1-line block ×4, first 2 shown]
	v_cndmask_b32_e64 v19, v1, v9, s3
	v_cndmask_b32_e32 v18, v5, v13, vcc_lo
	v_cndmask_b32_e64 v20, v5, v13, s3
	v_cndmask_b32_e32 v17, v1, v9, vcc_lo
	v_cmp_eq_u32_e32 vcc_lo, 2, v79
	v_lshrrev_b32_e32 v15, 16, v7
	v_cmp_eq_u32_e64 s3, 1, v77
	v_lshrrev_b32_e32 v12, 16, v4
	v_lshrrev_b32_e32 v16, 16, v8
	v_cndmask_b32_e32 v20, v20, v6, vcc_lo
	v_cndmask_b32_e64 v17, v17, v2, s4
	v_cndmask_b32_e32 v19, v19, v2, vcc_lo
	v_cndmask_b32_e64 v18, v18, v6, s4
	v_cmp_eq_u32_e32 vcc_lo, 4, v78
	v_cmp_eq_u32_e64 s4, 3, v79
	v_cndmask_b32_e64 v17, v17, v10, s5
	v_cndmask_b32_e64 v21, v1, v9, s3
	;; [unrolled: 1-line block ×5, first 2 shown]
	v_cndmask_b32_e32 v17, v17, v3, vcc_lo
	v_cndmask_b32_e64 v20, v20, v14, s4
	v_cndmask_b32_e32 v18, v18, v7, vcc_lo
	v_cmp_eq_u32_e32 vcc_lo, 4, v79
	v_cmp_eq_u32_e64 s4, 5, v79
	v_cmp_eq_u32_e64 s3, 2, v81
	v_cndmask_b32_e64 v21, v21, v2, s7
	v_cmp_eq_u32_e64 s5, 5, v78
	v_cndmask_b32_e32 v19, v19, v3, vcc_lo
	v_cndmask_b32_e32 v20, v20, v7, vcc_lo
	v_cmp_eq_u32_e32 vcc_lo, 6, v79
	s_delay_alu instid0(VALU_DEP_4) | instskip(NEXT) | instid1(VALU_DEP_4)
	v_cndmask_b32_e64 v17, v17, v11, s5
	v_cndmask_b32_e64 v19, v19, v11, s4
	s_delay_alu instid0(VALU_DEP_4) | instskip(SKIP_1) | instid1(VALU_DEP_3)
	v_cndmask_b32_e64 v20, v20, v15, s4
	v_cmp_eq_u32_e64 s4, 1, v81
	v_cndmask_b32_e32 v19, v19, v4, vcc_lo
	v_cndmask_b32_e64 v18, v18, v15, s5
	s_delay_alu instid0(VALU_DEP_3)
	v_cndmask_b32_e64 v1, v1, v9, s4
	v_cndmask_b32_e64 v5, v5, v13, s4
	v_cmp_eq_u32_e64 s4, 3, v77
	v_cndmask_b32_e64 v13, v22, v6, s7
	v_cmp_eq_u32_e64 s7, 3, v81
	v_cndmask_b32_e64 v1, v1, v2, s3
	v_cndmask_b32_e64 v2, v5, v6, s3
	;; [unrolled: 1-line block ×3, first 2 shown]
	v_cmp_eq_u32_e64 s3, 4, v77
	v_cndmask_b32_e64 v6, v13, v14, s4
	v_cndmask_b32_e64 v1, v1, v10, s7
	v_cmp_eq_u32_e64 s4, 4, v81
	v_cndmask_b32_e64 v2, v2, v14, s7
	v_cndmask_b32_e64 v5, v9, v3, s3
	;; [unrolled: 3-line block ×3, first 2 shown]
	v_cndmask_b32_e64 v2, v2, v7, s4
	v_cmp_eq_u32_e64 s3, 5, v81
	v_cmp_eq_u32_e64 s5, 6, v78
	v_cndmask_b32_e64 v5, v5, v11, s7
	v_cmp_eq_u32_e64 s4, 6, v77
	v_cndmask_b32_e64 v3, v6, v15, s7
	v_cndmask_b32_e64 v1, v1, v11, s3
	v_cmp_eq_u32_e64 s7, 6, v81
	v_cndmask_b32_e64 v2, v2, v15, s3
	v_cndmask_b32_e64 v17, v17, v4, s5
	v_cndmask_b32_e64 v18, v18, v8, s5
	v_cmp_eq_u32_e64 s5, 7, v78
	v_cndmask_b32_e64 v5, v5, v4, s4
	;; [unrolled: 4-line block ×3, first 2 shown]
	v_cmp_eq_u32_e64 s4, 7, v77
	v_cndmask_b32_e32 v4, v20, v8, vcc_lo
	v_cndmask_b32_e64 v17, v17, v12, s5
	v_cndmask_b32_e64 v19, v19, v12, s6
	;; [unrolled: 1-line block ×8, first 2 shown]
	s_mov_b32 s3, exec_lo
	v_perm_b32 v4, v2, v1, 0x5040100
	v_perm_b32 v3, v3, v5, 0x5040100
	;; [unrolled: 1-line block ×4, first 2 shown]
	ds_store_b128 v76, v[1:4]
	s_waitcnt lgkmcnt(0)
	s_barrier
	buffer_gl0_inv
	v_cmpx_gt_u32_e32 32, v0
	s_cbranch_execz .LBB1888_2
; %bb.111:
	s_load_b64 s[4:5], s[0:1], 0x68
	v_lshlrev_b32_e32 v0, 10, v0
	v_lshlrev_b32_e32 v2, 4, v75
	v_add_nc_u32_e32 v1, s31, v74
	s_lshl_b32 s0, s34, 7
	s_delay_alu instid0(SALU_CYCLE_1) | instskip(NEXT) | instid1(VALU_DEP_2)
	s_mul_i32 s1, s0, s30
	v_and_or_b32 v0, 0x3800, v0, v2
	s_mul_i32 s6, s1, s8
	v_mul_lo_u32 v1, v1, s0
	s_ashr_i32 s7, s6, 31
	s_delay_alu instid0(VALU_DEP_2) | instskip(SKIP_1) | instid1(VALU_DEP_2)
	v_lshl_or_b32 v3, v74, 6, v0
	s_lshl_b64 s[6:7], s[6:7], 1
	v_ashrrev_i32_e32 v2, 31, v1
	ds_load_b128 v[3:6], v3
	s_waitcnt lgkmcnt(0)
	s_add_u32 s1, s4, s6
	s_addc_u32 s3, s5, s7
	s_lshl_b32 s4, s14, 7
	v_lshlrev_b64 v[7:8], 1, v[1:2]
	s_ashr_i32 s5, s4, 31
	s_delay_alu instid0(SALU_CYCLE_1) | instskip(NEXT) | instid1(SALU_CYCLE_1)
	s_lshl_b64 s[4:5], s[4:5], 1
	s_add_u32 s1, s1, s4
	s_addc_u32 s3, s3, s5
	v_add_co_u32 v1, s1, s1, v73
	s_delay_alu instid0(VALU_DEP_1) | instskip(NEXT) | instid1(VALU_DEP_2)
	v_add_co_ci_u32_e64 v2, null, s3, 0, s1
	v_add_co_u32 v7, vcc_lo, v1, v7
	s_delay_alu instid0(VALU_DEP_2)
	v_add_co_ci_u32_e32 v8, vcc_lo, v2, v8, vcc_lo
	global_store_b128 v[7:8], v[3:6], off
	s_and_b32 exec_lo, exec_lo, s2
	s_cbranch_execz .LBB1888_2
; %bb.112:
	ds_load_b128 v[3:6], v0 offset:128
	s_add_i32 s1, s31, 2
	s_delay_alu instid0(SALU_CYCLE_1) | instskip(NEXT) | instid1(SALU_CYCLE_1)
	s_mul_i32 s0, s1, s0
	s_ashr_i32 s1, s0, 31
	s_delay_alu instid0(SALU_CYCLE_1) | instskip(NEXT) | instid1(SALU_CYCLE_1)
	s_lshl_b64 s[0:1], s[0:1], 1
	v_add_co_u32 v0, vcc_lo, v1, s0
	v_add_co_ci_u32_e32 v1, vcc_lo, s1, v2, vcc_lo
	s_waitcnt lgkmcnt(0)
	global_store_b128 v[0:1], v[3:6], off
	s_nop 0
	s_sendmsg sendmsg(MSG_DEALLOC_VGPRS)
	s_endpgm
	.section	.rodata,"a",@progbits
	.p2align	6, 0x0
	.amdhsa_kernel _Z39paged_attention_ll4mi_QKV_mfma16_kernelI14__hip_bfloat16hLN4vllm18Fp8KVCacheDataTypeE1EhLi32ELi128ELi256ELb0ELi3EL8MFMAType0EEvPKT_PKT0_S9_ifPKiSB_SB_iPKfiiiPfSE_PS4_PT2_iSD_SD_
		.amdhsa_group_segment_fixed_size 17472
		.amdhsa_private_segment_fixed_size 0
		.amdhsa_kernarg_size 400
		.amdhsa_user_sgpr_count 13
		.amdhsa_user_sgpr_dispatch_ptr 0
		.amdhsa_user_sgpr_queue_ptr 0
		.amdhsa_user_sgpr_kernarg_segment_ptr 1
		.amdhsa_user_sgpr_dispatch_id 0
		.amdhsa_user_sgpr_private_segment_size 0
		.amdhsa_wavefront_size32 1
		.amdhsa_uses_dynamic_stack 0
		.amdhsa_enable_private_segment 0
		.amdhsa_system_sgpr_workgroup_id_x 1
		.amdhsa_system_sgpr_workgroup_id_y 1
		.amdhsa_system_sgpr_workgroup_id_z 1
		.amdhsa_system_sgpr_workgroup_info 0
		.amdhsa_system_vgpr_workitem_id 0
		.amdhsa_next_free_vgpr 140
		.amdhsa_next_free_sgpr 36
		.amdhsa_reserve_vcc 1
		.amdhsa_float_round_mode_32 0
		.amdhsa_float_round_mode_16_64 0
		.amdhsa_float_denorm_mode_32 3
		.amdhsa_float_denorm_mode_16_64 3
		.amdhsa_dx10_clamp 1
		.amdhsa_ieee_mode 1
		.amdhsa_fp16_overflow 0
		.amdhsa_workgroup_processor_mode 1
		.amdhsa_memory_ordered 1
		.amdhsa_forward_progress 0
		.amdhsa_shared_vgpr_count 0
		.amdhsa_exception_fp_ieee_invalid_op 0
		.amdhsa_exception_fp_denorm_src 0
		.amdhsa_exception_fp_ieee_div_zero 0
		.amdhsa_exception_fp_ieee_overflow 0
		.amdhsa_exception_fp_ieee_underflow 0
		.amdhsa_exception_fp_ieee_inexact 0
		.amdhsa_exception_int_div_zero 0
	.end_amdhsa_kernel
	.section	.text._Z39paged_attention_ll4mi_QKV_mfma16_kernelI14__hip_bfloat16hLN4vllm18Fp8KVCacheDataTypeE1EhLi32ELi128ELi256ELb0ELi3EL8MFMAType0EEvPKT_PKT0_S9_ifPKiSB_SB_iPKfiiiPfSE_PS4_PT2_iSD_SD_,"axG",@progbits,_Z39paged_attention_ll4mi_QKV_mfma16_kernelI14__hip_bfloat16hLN4vllm18Fp8KVCacheDataTypeE1EhLi32ELi128ELi256ELb0ELi3EL8MFMAType0EEvPKT_PKT0_S9_ifPKiSB_SB_iPKfiiiPfSE_PS4_PT2_iSD_SD_,comdat
.Lfunc_end1888:
	.size	_Z39paged_attention_ll4mi_QKV_mfma16_kernelI14__hip_bfloat16hLN4vllm18Fp8KVCacheDataTypeE1EhLi32ELi128ELi256ELb0ELi3EL8MFMAType0EEvPKT_PKT0_S9_ifPKiSB_SB_iPKfiiiPfSE_PS4_PT2_iSD_SD_, .Lfunc_end1888-_Z39paged_attention_ll4mi_QKV_mfma16_kernelI14__hip_bfloat16hLN4vllm18Fp8KVCacheDataTypeE1EhLi32ELi128ELi256ELb0ELi3EL8MFMAType0EEvPKT_PKT0_S9_ifPKiSB_SB_iPKfiiiPfSE_PS4_PT2_iSD_SD_
                                        ; -- End function
	.section	.AMDGPU.csdata,"",@progbits
; Kernel info:
; codeLenInByte = 8860
; NumSgprs: 38
; NumVgprs: 140
; ScratchSize: 0
; MemoryBound: 0
; FloatMode: 240
; IeeeMode: 1
; LDSByteSize: 17472 bytes/workgroup (compile time only)
; SGPRBlocks: 4
; VGPRBlocks: 17
; NumSGPRsForWavesPerEU: 38
; NumVGPRsForWavesPerEU: 140
; Occupancy: 10
; WaveLimiterHint : 1
; COMPUTE_PGM_RSRC2:SCRATCH_EN: 0
; COMPUTE_PGM_RSRC2:USER_SGPR: 13
; COMPUTE_PGM_RSRC2:TRAP_HANDLER: 0
; COMPUTE_PGM_RSRC2:TGID_X_EN: 1
; COMPUTE_PGM_RSRC2:TGID_Y_EN: 1
; COMPUTE_PGM_RSRC2:TGID_Z_EN: 1
; COMPUTE_PGM_RSRC2:TIDIG_COMP_CNT: 0
	.section	.text._Z39paged_attention_ll4mi_QKV_mfma16_kernelI14__hip_bfloat16hLN4vllm18Fp8KVCacheDataTypeE1EhLi32ELi128ELi256ELb0ELi4EL8MFMAType0EEvPKT_PKT0_S9_ifPKiSB_SB_iPKfiiiPfSE_PS4_PT2_iSD_SD_,"axG",@progbits,_Z39paged_attention_ll4mi_QKV_mfma16_kernelI14__hip_bfloat16hLN4vllm18Fp8KVCacheDataTypeE1EhLi32ELi128ELi256ELb0ELi4EL8MFMAType0EEvPKT_PKT0_S9_ifPKiSB_SB_iPKfiiiPfSE_PS4_PT2_iSD_SD_,comdat
	.protected	_Z39paged_attention_ll4mi_QKV_mfma16_kernelI14__hip_bfloat16hLN4vllm18Fp8KVCacheDataTypeE1EhLi32ELi128ELi256ELb0ELi4EL8MFMAType0EEvPKT_PKT0_S9_ifPKiSB_SB_iPKfiiiPfSE_PS4_PT2_iSD_SD_ ; -- Begin function _Z39paged_attention_ll4mi_QKV_mfma16_kernelI14__hip_bfloat16hLN4vllm18Fp8KVCacheDataTypeE1EhLi32ELi128ELi256ELb0ELi4EL8MFMAType0EEvPKT_PKT0_S9_ifPKiSB_SB_iPKfiiiPfSE_PS4_PT2_iSD_SD_
	.globl	_Z39paged_attention_ll4mi_QKV_mfma16_kernelI14__hip_bfloat16hLN4vllm18Fp8KVCacheDataTypeE1EhLi32ELi128ELi256ELb0ELi4EL8MFMAType0EEvPKT_PKT0_S9_ifPKiSB_SB_iPKfiiiPfSE_PS4_PT2_iSD_SD_
	.p2align	8
	.type	_Z39paged_attention_ll4mi_QKV_mfma16_kernelI14__hip_bfloat16hLN4vllm18Fp8KVCacheDataTypeE1EhLi32ELi128ELi256ELb0ELi4EL8MFMAType0EEvPKT_PKT0_S9_ifPKiSB_SB_iPKfiiiPfSE_PS4_PT2_iSD_SD_,@function
_Z39paged_attention_ll4mi_QKV_mfma16_kernelI14__hip_bfloat16hLN4vllm18Fp8KVCacheDataTypeE1EhLi32ELi128ELi256ELb0ELi4EL8MFMAType0EEvPKT_PKT0_S9_ifPKiSB_SB_iPKfiiiPfSE_PS4_PT2_iSD_SD_: ; @_Z39paged_attention_ll4mi_QKV_mfma16_kernelI14__hip_bfloat16hLN4vllm18Fp8KVCacheDataTypeE1EhLi32ELi128ELi256ELb0ELi4EL8MFMAType0EEvPKT_PKT0_S9_ifPKiSB_SB_iPKfiiiPfSE_PS4_PT2_iSD_SD_
; %bb.0:
	s_load_b64 s[4:5], s[0:1], 0x30
	s_mov_b32 s30, s13
	s_waitcnt lgkmcnt(0)
	s_cmp_lg_u64 s[4:5], 0
	s_cselect_b32 s13, -1, 0
	s_ashr_i32 s31, s30, 31
	s_cmp_eq_u64 s[4:5], 0
	s_cbranch_scc1 .LBB1889_3
; %bb.1:
	s_lshl_b64 s[2:3], s[30:31], 2
	s_delay_alu instid0(SALU_CYCLE_1) | instskip(SKIP_4) | instid1(SALU_CYCLE_1)
	s_add_u32 s2, s4, s2
	s_addc_u32 s3, s5, s3
	s_load_b64 s[2:3], s[2:3], 0x0
	s_waitcnt lgkmcnt(0)
	s_sub_i32 s2, s3, s2
	s_cmp_eq_u32 s2, 1
	s_cselect_b32 s2, -1, 0
	s_delay_alu instid0(SALU_CYCLE_1)
	s_and_not1_b32 vcc_lo, exec_lo, s2
	s_cbranch_vccz .LBB1889_4
.LBB1889_2:
	s_endpgm
.LBB1889_3:
.LBB1889_4:
	s_load_b64 s[2:3], s[0:1], 0x28
	s_lshl_b64 s[6:7], s[30:31], 2
	s_waitcnt lgkmcnt(0)
	s_add_u32 s2, s2, s6
	s_addc_u32 s3, s3, s7
	s_lshl_b32 s12, s14, 8
	s_load_b32 s17, s[2:3], 0x0
	s_waitcnt lgkmcnt(0)
	s_cmp_ge_i32 s12, s17
	s_cbranch_scc1 .LBB1889_2
; %bb.5:
	s_clause 0x1
	s_load_b128 s[8:11], s[0:1], 0x8
	s_load_b64 s[2:3], s[0:1], 0x20
	s_and_not1_b32 vcc_lo, exec_lo, s13
	s_cbranch_vccnz .LBB1889_7
; %bb.6:
	s_add_u32 s4, s4, s6
	s_addc_u32 s5, s5, s7
	s_load_b32 s13, s[4:5], 0x0
	s_branch .LBB1889_8
.LBB1889_7:
	s_mov_b32 s13, s30
.LBB1889_8:
	s_load_b128 s[4:7], s[0:1], 0x48
	v_and_b32_e32 v66, 15, v0
	v_lshrrev_b32_e32 v65, 5, v0
	v_and_b32_e32 v67, 31, v0
	v_and_b32_e32 v75, 1, v0
	v_bfe_u32 v74, v0, 4, 1
	v_lshlrev_b32_e32 v1, 3, v66
	s_lshl_b32 s29, s15, 2
	s_waitcnt lgkmcnt(0)
	s_mov_b32 s7, exec_lo
	s_delay_alu instid0(VALU_DEP_1)
	v_lshlrev_b32_e32 v73, 1, v1
	v_cmpx_gt_u32_e32 64, v0
	s_cbranch_execz .LBB1889_10
; %bb.9:
	v_lshl_or_b32 v5, v65, 1, v74
	s_load_b64 s[18:19], s[0:1], 0x0
	s_mul_hi_i32 s21, s13, s4
	s_mul_i32 s20, s13, s4
	v_lshlrev_b32_e32 v6, 10, v66
	v_or_b32_e32 v1, s29, v5
	s_lshl_b64 s[20:21], s[20:21], 1
	v_lshlrev_b32_e32 v5, 6, v5
	v_lshlrev_b32_e32 v7, 10, v75
	v_and_b32_e32 v6, 0x3800, v6
	v_lshlrev_b32_e32 v1, 7, v1
	s_delay_alu instid0(VALU_DEP_2) | instskip(NEXT) | instid1(VALU_DEP_2)
	v_or3_b32 v5, v6, v7, v5
	v_ashrrev_i32_e32 v2, 31, v1
	s_delay_alu instid0(VALU_DEP_1) | instskip(SKIP_3) | instid1(VALU_DEP_1)
	v_lshlrev_b64 v[1:2], 1, v[1:2]
	s_waitcnt lgkmcnt(0)
	s_add_u32 s4, s18, s20
	s_addc_u32 s13, s19, s21
	v_add_co_u32 v1, vcc_lo, s4, v1
	s_delay_alu instid0(VALU_DEP_2) | instskip(NEXT) | instid1(VALU_DEP_2)
	v_add_co_ci_u32_e32 v2, vcc_lo, s13, v2, vcc_lo
	v_add_co_u32 v1, vcc_lo, v1, v73
	s_delay_alu instid0(VALU_DEP_2)
	v_add_co_ci_u32_e32 v2, vcc_lo, 0, v2, vcc_lo
	global_load_b128 v[1:4], v[1:2], off
	s_waitcnt vmcnt(0)
	ds_store_b128 v5, v[1:4]
.LBB1889_10:
	s_or_b32 exec_lo, exec_lo, s7
	v_and_b32_e32 v1, 0xef, v0
	s_add_i32 s4, s17, 31
	s_clause 0x1
	s_load_b32 s7, s[0:1], 0x38
	s_load_b32 s18, s[0:1], 0x1c
	s_ashr_i32 s13, s4, 31
	v_add_nc_u32_e32 v1, s12, v1
	s_lshr_b32 s13, s13, 27
	s_waitcnt lgkmcnt(0)
	s_add_i32 s4, s4, s13
	s_barrier
	v_ashrrev_i32_e32 v2, 31, v1
	v_or_b32_e32 v3, 16, v1
	s_ashr_i32 s4, s4, 5
	v_cmp_gt_i32_e32 vcc_lo, s17, v1
	s_add_i32 s4, s4, -1
	v_lshrrev_b32_e32 v2, 27, v2
	buffer_gl0_inv
	s_mul_i32 s15, s15, s6
	v_add_nc_u32_e32 v4, v1, v2
	s_mul_i32 s20, s30, s7
	s_delay_alu instid0(SALU_CYCLE_1) | instskip(NEXT) | instid1(VALU_DEP_1)
	s_ashr_i32 s21, s20, 31
	v_ashrrev_i32_e32 v4, 5, v4
	v_add_nc_u32_e32 v2, v3, v2
	s_lshl_b64 s[20:21], s[20:21], 2
	s_delay_alu instid0(SALU_CYCLE_1) | instskip(NEXT) | instid1(VALU_DEP_2)
	s_add_u32 s13, s2, s20
	v_cndmask_b32_e32 v1, s4, v4, vcc_lo
	s_delay_alu instid0(VALU_DEP_2)
	v_ashrrev_i32_e32 v2, 5, v2
	v_cmp_gt_i32_e32 vcc_lo, s17, v3
	s_addc_u32 s16, s3, s21
	s_ashr_i32 s19, s15, 31
	s_add_u32 s2, s8, s15
	s_addc_u32 s3, s9, s19
	v_cndmask_b32_e32 v3, s4, v2, vcc_lo
	v_ashrrev_i32_e32 v2, 31, v1
	s_lshl_b32 s6, s14, 3
	s_delay_alu instid0(SALU_CYCLE_1) | instskip(NEXT) | instid1(VALU_DEP_2)
	s_ashr_i32 s7, s6, 31
	v_ashrrev_i32_e32 v4, 31, v3
	s_delay_alu instid0(VALU_DEP_2) | instskip(SKIP_1) | instid1(SALU_CYCLE_1)
	v_lshlrev_b64 v[1:2], 2, v[1:2]
	s_lshl_b64 s[6:7], s[6:7], 2
	s_add_u32 s6, s13, s6
	s_delay_alu instid0(VALU_DEP_2) | instskip(SKIP_1) | instid1(VALU_DEP_2)
	v_lshlrev_b64 v[3:4], 2, v[3:4]
	s_addc_u32 s7, s16, s7
	v_add_co_u32 v1, vcc_lo, s13, v1
	v_add_co_ci_u32_e32 v2, vcc_lo, s16, v2, vcc_lo
	s_delay_alu instid0(VALU_DEP_3) | instskip(NEXT) | instid1(VALU_DEP_4)
	v_add_co_u32 v3, vcc_lo, s13, v3
	v_add_co_ci_u32_e32 v4, vcc_lo, s16, v4, vcc_lo
	s_clause 0x1
	global_load_b32 v5, v[1:2], off
	global_load_b32 v6, v[3:4], off
	s_or_b32 s8, s12, 32
	s_delay_alu instid0(SALU_CYCLE_1) | instskip(SKIP_2) | instid1(SALU_CYCLE_1)
	s_ashr_i32 s9, s8, 5
	s_cmp_lt_i32 s8, s17
	s_cselect_b32 s8, s9, s4
	s_ashr_i32 s9, s8, 31
	s_delay_alu instid0(SALU_CYCLE_1) | instskip(NEXT) | instid1(SALU_CYCLE_1)
	s_lshl_b64 s[8:9], s[8:9], 2
	s_add_u32 s8, s13, s8
	s_addc_u32 s9, s16, s9
	s_or_b32 s20, s12, 64
	s_delay_alu instid0(SALU_CYCLE_1) | instskip(SKIP_2) | instid1(SALU_CYCLE_1)
	s_ashr_i32 s21, s20, 5
	s_cmp_lt_i32 s20, s17
	s_cselect_b32 s20, s21, s4
	s_ashr_i32 s21, s20, 31
	s_delay_alu instid0(SALU_CYCLE_1) | instskip(NEXT) | instid1(SALU_CYCLE_1)
	s_lshl_b64 s[20:21], s[20:21], 2
	s_add_u32 s20, s13, s20
	s_addc_u32 s21, s16, s21
	;; [unrolled: 10-line block ×5, first 2 shown]
	s_clause 0x5
	s_load_b32 s28, s[6:7], 0x0
	s_load_b32 s8, s[8:9], 0x0
	;; [unrolled: 1-line block ×6, first 2 shown]
	s_mov_b32 s20, 0
	s_delay_alu instid0(SALU_CYCLE_1)
	s_mov_b32 s21, s20
	s_mov_b32 s22, s20
	;; [unrolled: 1-line block ×7, first 2 shown]
	s_delay_alu instid0(SALU_CYCLE_1)
	v_dual_mov_b32 v107, s27 :: v_dual_mov_b32 v106, s26
	v_dual_mov_b32 v104, s24 :: v_dual_mov_b32 v103, s23
	;; [unrolled: 1-line block ×4, first 2 shown]
	s_waitcnt vmcnt(1)
	v_mad_i64_i32 v[1:2], null, v5, s5, s[2:3]
	v_lshlrev_b32_e32 v5, 4, v66
	s_waitcnt vmcnt(0)
	v_mad_i64_i32 v[3:4], null, v6, s5, s[2:3]
	s_or_b32 s2, s12, 0xc0
	s_delay_alu instid0(SALU_CYCLE_1) | instskip(NEXT) | instid1(VALU_DEP_3)
	s_ashr_i32 s3, s2, 5
	v_add_co_u32 v33, vcc_lo, v1, v5
	s_delay_alu instid0(VALU_DEP_4) | instskip(NEXT) | instid1(VALU_DEP_3)
	v_add_co_ci_u32_e32 v34, vcc_lo, 0, v2, vcc_lo
	v_add_co_u32 v35, vcc_lo, v3, v5
	s_delay_alu instid0(VALU_DEP_4)
	v_add_co_ci_u32_e32 v36, vcc_lo, 0, v4, vcc_lo
	s_clause 0xf
	global_load_b128 v[1:4], v[33:34], off
	global_load_b128 v[5:8], v[33:34], off offset:512
	global_load_b128 v[9:12], v[35:36], off offset:256
	;; [unrolled: 1-line block ×15, first 2 shown]
	s_cmp_lt_i32 s2, s17
	v_and_b32_e32 v33, 3, v0
	s_cselect_b32 s2, s3, s4
	v_lshlrev_b32_e32 v34, 5, v66
	s_ashr_i32 s3, s2, 31
	s_delay_alu instid0(SALU_CYCLE_1)
	s_lshl_b64 s[2:3], s[2:3], 2
	v_lshlrev_b32_e32 v72, 6, v33
	s_add_u32 s2, s13, s2
	s_addc_u32 s3, s16, s3
	s_or_b32 s6, s12, 0xe0
	v_lshl_or_b32 v41, v65, 9, v34
	s_ashr_i32 s7, s6, 5
	s_cmp_lt_i32 s6, s17
	ds_load_b128 v[33:36], v72
	ds_load_b128 v[37:40], v72 offset:1024
	s_cselect_b32 s6, s7, s4
	ds_load_b128 v[108:111], v72 offset:2048
	ds_load_b128 v[112:115], v72 offset:3072
	s_ashr_i32 s7, s6, 31
	s_load_b32 s4, s[2:3], 0x0
	s_lshl_b64 s[6:7], s[6:7], 2
	ds_load_b128 v[116:119], v72 offset:4096
	ds_load_b128 v[120:123], v72 offset:5120
	s_add_u32 s2, s13, s6
	s_addc_u32 s3, s16, s7
	s_add_u32 s6, s10, s15
	s_load_b32 s2, s[2:3], 0x0
	s_addc_u32 s7, s11, s19
	v_add_co_u32 v68, s6, s6, v41
	s_delay_alu instid0(VALU_DEP_1) | instskip(SKIP_1) | instid1(VALU_DEP_1)
	v_add_co_ci_u32_e64 v69, null, s7, 0, s6
	s_waitcnt lgkmcnt(0)
	v_mad_i64_i32 v[41:42], null, s28, s5, v[68:69]
	v_mad_i64_i32 v[70:71], null, s9, s5, v[68:69]
	;; [unrolled: 1-line block ×7, first 2 shown]
	s_clause 0x3
	global_load_b128 v[49:52], v[41:42], off
	global_load_b128 v[53:56], v[41:42], off offset:16
	global_load_b128 v[41:44], v[45:46], off
	global_load_b128 v[45:48], v[45:46], off offset:16
	s_waitcnt vmcnt(18)
	v_wmma_f32_16x16x16_bf16 v[124:131], v[1:8], v[33:40], v[100:107]
	s_waitcnt vmcnt(16)
	v_wmma_f32_16x16x16_bf16 v[100:107], v[9:16], v[33:40], v[100:107]
	s_clause 0x1
	global_load_b128 v[33:36], v[70:71], off
	global_load_b128 v[37:40], v[70:71], off offset:16
	v_mad_i64_i32 v[70:71], null, s2, s5, v[68:69]
	s_waitcnt vmcnt(16)
	v_wmma_f32_16x16x16_bf16 v[124:131], v[17:24], v[108:115], v[124:131]
	s_waitcnt vmcnt(14)
	v_wmma_f32_16x16x16_bf16 v[100:107], v[25:32], v[108:115], v[100:107]
	s_clause 0x7
	global_load_b128 v[25:28], v[132:133], off
	global_load_b128 v[29:32], v[132:133], off offset:16
	global_load_b128 v[1:4], v[134:135], off
	global_load_b128 v[5:8], v[134:135], off offset:16
	;; [unrolled: 2-line block ×4, first 2 shown]
	s_waitcnt vmcnt(20)
	v_wmma_f32_16x16x16_bf16 v[124:131], v[57:64], v[116:123], v[124:131]
	s_clause 0x1
	global_load_b128 v[57:60], v[70:71], off
	global_load_b128 v[61:64], v[70:71], off offset:16
	s_waitcnt vmcnt(20)
	v_wmma_f32_16x16x16_bf16 v[100:107], v[76:83], v[116:123], v[100:107]
	ds_load_b128 v[76:79], v72 offset:6144
	ds_load_b128 v[80:83], v72 offset:7168
	v_and_b32_e32 v68, 0xe0, v0
	v_mbcnt_lo_u32_b32 v69, -1, 0
	s_waitcnt vmcnt(0) lgkmcnt(0)
	s_barrier
	buffer_gl0_inv
	v_add_nc_u32_e32 v68, s12, v68
	v_xor_b32_e32 v70, 16, v69
	s_delay_alu instid0(VALU_DEP_2) | instskip(NEXT) | instid1(VALU_DEP_2)
	v_or_b32_e32 v68, v68, v74
	v_cmp_gt_i32_e32 vcc_lo, 32, v70
	s_delay_alu instid0(VALU_DEP_2)
	v_or_b32_e32 v71, 4, v68
	v_or_b32_e32 v72, 6, v68
	v_cmp_gt_i32_e64 s2, s17, v68
	v_or_b32_e32 v108, 8, v68
	v_wmma_f32_16x16x16_bf16 v[124:131], v[84:91], v[76:83], v[124:131]
	v_cndmask_b32_e32 v69, v69, v70, vcc_lo
	v_or_b32_e32 v70, 2, v68
	v_wmma_f32_16x16x16_bf16 v[100:107], v[92:99], v[76:83], v[100:107]
	v_or_b32_e32 v109, 10, v68
	v_dual_mul_f32 v78, s18, v131 :: v_dual_mul_f32 v83, s18, v126
	v_dual_mul_f32 v92, s18, v125 :: v_dual_mul_f32 v93, s18, v124
	s_delay_alu instid0(VALU_DEP_4) | instskip(SKIP_2) | instid1(VALU_DEP_4)
	v_mul_f32_e32 v94, s18, v107
	v_cmp_gt_i32_e32 vcc_lo, s17, v70
	v_dual_mul_f32 v81, s18, v128 :: v_dual_mul_f32 v82, s18, v127
	v_cndmask_b32_e64 v93, 0xff7fffff, v93, s2
	v_cmp_gt_i32_e64 s3, s17, v71
	v_cndmask_b32_e32 v92, 0xff7fffff, v92, vcc_lo
	v_cmp_gt_i32_e64 s4, s17, v72
	v_or_b32_e32 v84, 12, v68
	v_or_b32_e32 v85, 14, v68
	v_dual_mul_f32 v79, s18, v130 :: v_dual_mul_f32 v80, s18, v129
	v_cndmask_b32_e64 v71, 0xff7fffff, v83, s3
	v_cndmask_b32_e64 v72, 0xff7fffff, v82, s4
	v_max3_f32 v82, v93, 0xff7fffff, v92
	v_cmp_gt_i32_e64 s5, s17, v108
	v_cmp_gt_i32_e64 s6, s17, v109
	v_or_b32_e32 v86, 16, v68
	v_or_b32_e32 v87, 18, v68
	v_max3_f32 v71, v82, v71, v72
	v_cndmask_b32_e64 v81, 0xff7fffff, v81, s5
	v_cndmask_b32_e64 v80, 0xff7fffff, v80, s6
	v_cmp_gt_i32_e64 s7, s17, v84
	v_cmp_gt_i32_e64 s8, s17, v85
	v_or_b32_e32 v88, 20, v68
	v_or_b32_e32 v89, 22, v68
	;; [unrolled: 1-line block ×6, first 2 shown]
	v_dual_mul_f32 v99, s18, v102 :: v_dual_mul_f32 v70, s18, v101
	v_mul_f32_e32 v68, s18, v100
	v_cndmask_b32_e64 v72, 0xff7fffff, v79, s7
	v_cndmask_b32_e64 v78, 0xff7fffff, v78, s8
	v_max3_f32 v71, v71, v81, v80
	v_cmp_gt_i32_e64 s9, s17, v86
	v_cmp_gt_i32_e64 s10, s17, v87
	v_dual_mul_f32 v97, s18, v104 :: v_dual_mul_f32 v98, s18, v103
	s_delay_alu instid0(VALU_DEP_4) | instskip(SKIP_1) | instid1(VALU_DEP_4)
	v_max3_f32 v71, v71, v72, v78
	v_cmp_gt_i32_e64 s11, s17, v88
	v_cndmask_b32_e64 v70, 0xff7fffff, v70, s10
	v_cmp_gt_i32_e64 s12, s17, v89
	v_lshlrev_b32_e32 v89, 2, v69
	v_cndmask_b32_e64 v68, 0xff7fffff, v68, s9
	v_dual_mul_f32 v95, s18, v106 :: v_dual_mul_f32 v96, s18, v105
	v_cndmask_b32_e64 v72, 0xff7fffff, v99, s11
	v_cndmask_b32_e64 v78, 0xff7fffff, v98, s12
	s_delay_alu instid0(VALU_DEP_4)
	v_max3_f32 v68, v71, v68, v70
	v_cmp_gt_i32_e64 s13, s17, v90
	v_cmp_gt_i32_e64 s15, s17, v91
	v_cmp_gt_i32_e64 s16, s17, v76
	v_cmp_gt_i32_e64 s17, s17, v77
	v_max3_f32 v68, v68, v72, v78
	v_cndmask_b32_e64 v70, 0xff7fffff, v97, s13
	v_cndmask_b32_e64 v71, 0xff7fffff, v96, s15
	;; [unrolled: 1-line block ×4, first 2 shown]
	s_delay_alu instid0(VALU_DEP_3) | instskip(NEXT) | instid1(VALU_DEP_1)
	v_max3_f32 v68, v68, v70, v71
	v_max3_f32 v68, v68, v72, v76
	ds_bpermute_b32 v69, v89, v68
	s_waitcnt lgkmcnt(0)
	v_max_f32_e32 v69, v69, v69
	s_delay_alu instid0(VALU_DEP_1) | instskip(NEXT) | instid1(VALU_DEP_1)
	v_max_f32_e32 v68, v68, v69
	v_fma_f32 v71, s18, v126, -v68
	s_delay_alu instid0(VALU_DEP_1)
	v_mul_f32_e32 v71, 0x3fb8aa3b, v71
	v_fma_f32 v69, s18, v124, -v68
	v_fma_f32 v70, s18, v125, -v68
	;; [unrolled: 1-line block ×4, first 2 shown]
	v_exp_f32_e32 v71, v71
	s_delay_alu instid0(VALU_DEP_3) | instskip(SKIP_2) | instid1(VALU_DEP_3)
	v_dual_mul_f32 v69, 0x3fb8aa3b, v69 :: v_dual_mul_f32 v70, 0x3fb8aa3b, v70
	v_fma_f32 v78, s18, v130, -v68
	v_fma_f32 v81, s18, v105, -v68
	v_exp_f32_e32 v69, v69
	s_delay_alu instid0(VALU_DEP_3) | instskip(SKIP_1) | instid1(VALU_DEP_2)
	v_exp_f32_e32 v70, v70
	v_mul_f32_e32 v77, 0x3fb8aa3b, v76
	v_mul_f32_e32 v81, 0x3fb8aa3b, v81
	s_delay_alu instid0(TRANS32_DEP_3) | instskip(SKIP_1) | instid1(VALU_DEP_3)
	v_cndmask_b32_e64 v83, 0, v71, s3
	v_fma_f32 v71, s18, v131, -v68
	v_exp_f32_e32 v81, v81
	s_delay_alu instid0(TRANS32_DEP_3) | instskip(NEXT) | instid1(TRANS32_DEP_2)
	v_cndmask_b32_e64 v80, 0, v69, s2
	v_cndmask_b32_e32 v76, 0, v70, vcc_lo
	v_fma_f32 v69, s18, v129, -v68
	v_mul_f32_e32 v72, 0x3fb8aa3b, v72
	v_exp_f32_e32 v77, v77
	v_dual_add_f32 v70, 0, v80 :: v_dual_mul_f32 v71, 0x3fb8aa3b, v71
	s_delay_alu instid0(VALU_DEP_3) | instskip(NEXT) | instid1(VALU_DEP_3)
	v_mul_f32_e32 v69, 0x3fb8aa3b, v69
	v_exp_f32_e32 v72, v72
	s_mov_b32 s2, exec_lo
	s_delay_alu instid0(VALU_DEP_2) | instskip(NEXT) | instid1(VALU_DEP_1)
	v_exp_f32_e32 v71, v71
	v_exp_f32_e32 v69, v69
	v_cndmask_b32_e64 v86, 0, v77, s5
	v_fma_f32 v77, s18, v101, -v68
	v_add_f32_e32 v70, v70, v76
	s_delay_alu instid0(TRANS32_DEP_3) | instskip(SKIP_1) | instid1(VALU_DEP_3)
	v_cndmask_b32_e64 v85, 0, v72, s4
	v_fma_f32 v72, s18, v100, -v68
	v_dual_mul_f32 v77, 0x3fb8aa3b, v77 :: v_dual_add_f32 v70, v70, v83
	s_delay_alu instid0(TRANS32_DEP_2) | instskip(SKIP_1) | instid1(TRANS32_DEP_1)
	v_cndmask_b32_e64 v88, 0, v71, s8
	v_fma_f32 v71, s18, v104, -v68
	v_cndmask_b32_e64 v87, 0, v69, s6
	s_delay_alu instid0(VALU_DEP_4) | instskip(NEXT) | instid1(VALU_DEP_2)
	v_exp_f32_e32 v77, v77
	v_dual_add_f32 v70, v70, v85 :: v_dual_mul_f32 v71, 0x3fb8aa3b, v71
	s_delay_alu instid0(VALU_DEP_1) | instskip(SKIP_2) | instid1(VALU_DEP_3)
	v_dual_mul_f32 v72, 0x3fb8aa3b, v72 :: v_dual_add_f32 v69, v70, v86
	v_mul_f32_e32 v78, 0x3fb8aa3b, v78
	v_fma_f32 v70, s18, v102, -v68
	v_exp_f32_e32 v72, v72
	v_exp_f32_e32 v82, v71
	v_add_f32_e32 v69, v69, v87
	v_exp_f32_e32 v78, v78
	v_mul_f32_e32 v70, 0x3fb8aa3b, v70
	s_delay_alu instid0(VALU_DEP_1) | instskip(SKIP_4) | instid1(VALU_DEP_2)
	v_exp_f32_e32 v79, v70
	v_cndmask_b32_e64 v70, 0, v72, s9
	s_waitcnt_depctr 0xfff
	v_cndmask_b32_e64 v84, 0, v78, s7
	v_fma_f32 v78, s18, v103, -v68
	v_add_f32_e32 v69, v69, v84
	v_cndmask_b32_e64 v71, 0, v79, s11
	s_delay_alu instid0(VALU_DEP_2) | instskip(SKIP_2) | instid1(VALU_DEP_1)
	v_add_f32_e32 v72, v69, v88
	v_cndmask_b32_e64 v69, 0, v77, s10
	v_fma_f32 v77, s18, v106, -v68
	v_dual_mul_f32 v77, 0x3fb8aa3b, v77 :: v_dual_add_f32 v72, v72, v70
	v_mul_f32_e32 v78, 0x3fb8aa3b, v78
	s_delay_alu instid0(VALU_DEP_2) | instskip(NEXT) | instid1(VALU_DEP_2)
	v_exp_f32_e32 v90, v77
	v_add_f32_e32 v79, v72, v69
	s_delay_alu instid0(VALU_DEP_2)
	v_exp_f32_e32 v78, v78
	v_cndmask_b32_e64 v77, 0, v82, s13
	s_waitcnt_depctr 0xfff
	v_cndmask_b32_e64 v72, 0, v78, s12
	v_add_f32_e32 v78, v79, v71
	v_fma_f32 v79, s18, v107, -v68
	s_delay_alu instid0(VALU_DEP_1) | instskip(SKIP_1) | instid1(VALU_DEP_2)
	v_dual_add_f32 v82, v78, v72 :: v_dual_mul_f32 v79, 0x3fb8aa3b, v79
	v_cndmask_b32_e64 v78, 0, v81, s15
	v_add_f32_e32 v81, v82, v77
	s_delay_alu instid0(VALU_DEP_3) | instskip(SKIP_1) | instid1(VALU_DEP_2)
	v_exp_f32_e32 v82, v79
	v_cndmask_b32_e64 v79, 0, v90, s16
	v_add_f32_e32 v81, v81, v78
	s_delay_alu instid0(VALU_DEP_1) | instskip(SKIP_2) | instid1(VALU_DEP_1)
	v_add_f32_e32 v90, v81, v79
	s_waitcnt_depctr 0xfff
	v_cndmask_b32_e64 v81, 0, v82, s17
	v_add_f32_e32 v82, v90, v81
	ds_bpermute_b32 v89, v89, v82
	v_cmpx_gt_u32_e32 16, v67
	s_cbranch_execz .LBB1889_12
; %bb.11:
	v_mul_u32_u24_e32 v67, 0x44, v65
	s_delay_alu instid0(VALU_DEP_1) | instskip(SKIP_1) | instid1(VALU_DEP_1)
	v_lshl_add_u32 v67, v66, 2, v67
	s_waitcnt lgkmcnt(0)
	v_dual_add_f32 v82, v82, v89 :: v_dual_add_nc_u32 v67, 0x4000, v67
	ds_store_2addr_b32 v67, v68, v82 offset1:136
.LBB1889_12:
	s_or_b32 exec_lo, exec_lo, s2
	v_lshlrev_b32_e32 v67, 2, v66
	s_waitcnt lgkmcnt(0)
	s_barrier
	buffer_gl0_inv
	v_cmp_eq_u32_e32 vcc_lo, 1, v65
	v_add_nc_u32_e32 v82, 0x4000, v67
	v_cmp_eq_u32_e64 s2, 2, v65
	v_cmp_eq_u32_e64 s4, 7, v65
	ds_load_2addr_b32 v[89:90], v82 offset1:17
	ds_load_2addr_b32 v[91:92], v82 offset0:34 offset1:51
	ds_load_2addr_b32 v[93:94], v82 offset0:68 offset1:85
	;; [unrolled: 1-line block ×4, first 2 shown]
	s_waitcnt lgkmcnt(4)
	v_max3_f32 v67, v89, 0xff7fffff, v90
	s_waitcnt lgkmcnt(3)
	s_delay_alu instid0(VALU_DEP_1) | instskip(SKIP_1) | instid1(VALU_DEP_1)
	v_max3_f32 v67, v67, v91, v92
	s_waitcnt lgkmcnt(2)
	v_max3_f32 v67, v67, v93, v94
	s_waitcnt lgkmcnt(1)
	s_delay_alu instid0(VALU_DEP_1) | instskip(NEXT) | instid1(VALU_DEP_1)
	v_max3_f32 v67, v67, v95, v96
	v_sub_f32_e32 v93, v93, v67
	s_delay_alu instid0(VALU_DEP_1) | instskip(NEXT) | instid1(VALU_DEP_1)
	v_dual_sub_f32 v68, v89, v67 :: v_dual_mul_f32 v103, 0x3fb8aa3b, v93
	v_mul_f32_e32 v68, 0x3fb8aa3b, v68
	s_delay_alu instid0(VALU_DEP_1)
	v_exp_f32_e32 v100, v68
	v_sub_f32_e32 v68, v92, v67
	v_sub_f32_e32 v99, v90, v67
	ds_load_2addr_b32 v[89:90], v82 offset0:170 offset1:187
	v_dual_mul_f32 v102, 0x3fb8aa3b, v68 :: v_dual_mul_f32 v99, 0x3fb8aa3b, v99
	s_waitcnt lgkmcnt(1)
	v_fma_f32 v68, v100, v97, 0
	s_delay_alu instid0(VALU_DEP_2) | instskip(NEXT) | instid1(VALU_DEP_2)
	v_exp_f32_e32 v102, v102
	v_exp_f32_e32 v99, v99
	s_waitcnt_depctr 0xfff
	v_fmac_f32_e32 v68, v99, v98
	v_sub_f32_e32 v91, v91, v67
	s_delay_alu instid0(VALU_DEP_1)
	v_mul_f32_e32 v101, 0x3fb8aa3b, v91
	ds_load_2addr_b32 v[91:92], v82 offset0:204 offset1:221
	v_sub_f32_e32 v97, v94, v67
	ds_load_2addr_b32 v[93:94], v82 offset0:238 offset1:255
	s_waitcnt lgkmcnt(0)
	v_exp_f32_e32 v101, v101
	s_barrier
	buffer_gl0_inv
	v_dual_fmac_f32 v68, v101, v89 :: v_dual_sub_f32 v89, v96, v67
	v_dual_sub_f32 v82, v95, v67 :: v_dual_mul_f32 v95, 0x3fb8aa3b, v97
	v_exp_f32_e32 v97, v103
	s_delay_alu instid0(VALU_DEP_2) | instskip(NEXT) | instid1(VALU_DEP_2)
	v_dual_fmac_f32 v68, v102, v90 :: v_dual_mul_f32 v89, 0x3fb8aa3b, v89
	v_mul_f32_e32 v82, 0x3fb8aa3b, v82
	s_delay_alu instid0(VALU_DEP_3) | instskip(NEXT) | instid1(VALU_DEP_2)
	v_exp_f32_e32 v95, v95
	v_exp_f32_e32 v89, v89
	s_delay_alu instid0(VALU_DEP_1)
	v_exp_f32_e32 v82, v82
	v_fmac_f32_e32 v68, v97, v91
	s_delay_alu instid0(TRANS32_DEP_3) | instid1(VALU_DEP_1)
	v_fmac_f32_e32 v68, v95, v92
	s_waitcnt_depctr 0xfff
	v_fmac_f32_e32 v68, v82, v93
	s_delay_alu instid0(VALU_DEP_1) | instskip(NEXT) | instid1(VALU_DEP_1)
	v_fmac_f32_e32 v68, v89, v94
	v_add_f32_e32 v90, 0x358637bd, v68
	s_delay_alu instid0(VALU_DEP_1) | instskip(NEXT) | instid1(VALU_DEP_1)
	v_div_scale_f32 v91, null, v90, v90, 1.0
	v_rcp_f32_e32 v92, v91
	s_waitcnt_depctr 0xfff
	v_fma_f32 v93, -v91, v92, 1.0
	s_delay_alu instid0(VALU_DEP_1) | instskip(SKIP_1) | instid1(VALU_DEP_2)
	v_dual_fmac_f32 v92, v93, v92 :: v_dual_cndmask_b32 v93, v100, v99
	v_cmp_eq_u32_e32 vcc_lo, 3, v65
	v_cndmask_b32_e64 v93, v93, v101, s2
	v_cmp_eq_u32_e64 s2, 4, v65
	s_delay_alu instid0(VALU_DEP_2) | instskip(SKIP_1) | instid1(VALU_DEP_2)
	v_cndmask_b32_e32 v93, v93, v102, vcc_lo
	v_cmp_eq_u32_e32 vcc_lo, 5, v65
	v_cndmask_b32_e64 v93, v93, v97, s2
	v_cmp_eq_u32_e64 s2, 6, v65
	s_delay_alu instid0(VALU_DEP_2) | instskip(SKIP_1) | instid1(VALU_DEP_1)
	v_cndmask_b32_e32 v93, v93, v95, vcc_lo
	v_div_scale_f32 v94, s3, 1.0, v90, 1.0
	s_mov_b32 vcc_lo, s3
	s_delay_alu instid0(VALU_DEP_2) | instskip(NEXT) | instid1(VALU_DEP_2)
	v_cndmask_b32_e64 v82, v93, v82, s2
	v_mul_f32_e32 v96, v94, v92
	s_mov_b32 s2, exec_lo
	s_delay_alu instid0(VALU_DEP_2) | instskip(NEXT) | instid1(VALU_DEP_2)
	v_cndmask_b32_e64 v82, v82, v89, s4
	v_fma_f32 v98, -v91, v96, v94
	s_delay_alu instid0(VALU_DEP_1) | instskip(NEXT) | instid1(VALU_DEP_1)
	v_fmac_f32_e32 v96, v98, v92
	v_fma_f32 v91, -v91, v96, v94
	s_delay_alu instid0(VALU_DEP_1) | instskip(NEXT) | instid1(VALU_DEP_1)
	v_div_fmas_f32 v91, v91, v92, v96
	v_div_fixup_f32 v90, v91, v90, 1.0
	s_delay_alu instid0(VALU_DEP_1) | instskip(NEXT) | instid1(VALU_DEP_1)
	v_mul_f32_e32 v82, v82, v90
	v_mul_f32_e32 v87, v82, v87
	v_mul_f32_e32 v90, v82, v80
	v_mul_f32_e32 v80, v82, v88
	v_mul_f32_e32 v84, v82, v84
	v_mul_f32_e32 v88, v82, v86
	v_mul_f32_e32 v89, v82, v85
	v_dual_mul_f32 v86, v82, v83 :: v_dual_and_b32 v91, 0x7f800000, v90
	v_mul_f32_e32 v85, v82, v76
                                        ; implicit-def: $vgpr76
	s_delay_alu instid0(VALU_DEP_2)
	v_cmpx_ne_u32_e32 0x7f800000, v91
	s_xor_b32 s2, exec_lo, s2
; %bb.13:
	v_bfe_u32 v76, v90, 16, 1
	s_delay_alu instid0(VALU_DEP_1)
	v_add3_u32 v76, v90, v76, 0x7fff
                                        ; implicit-def: $vgpr90
; %bb.14:
	s_and_not1_saveexec_b32 s2, s2
; %bb.15:
	v_and_b32_e32 v76, 0xffff, v90
	v_or_b32_e32 v83, 0x10000, v90
	s_delay_alu instid0(VALU_DEP_2) | instskip(NEXT) | instid1(VALU_DEP_2)
	v_cmp_eq_u32_e32 vcc_lo, 0, v76
	v_cndmask_b32_e32 v76, v83, v90, vcc_lo
; %bb.16:
	s_or_b32 exec_lo, exec_lo, s2
	v_and_b32_e32 v83, 0x7f800000, v85
	s_delay_alu instid0(VALU_DEP_1) | instskip(SKIP_1) | instid1(SALU_CYCLE_1)
	v_cmp_ne_u32_e32 vcc_lo, 0x7f800000, v83
                                        ; implicit-def: $vgpr83
	s_and_saveexec_b32 s2, vcc_lo
	s_xor_b32 s2, exec_lo, s2
; %bb.17:
	v_bfe_u32 v83, v85, 16, 1
	s_delay_alu instid0(VALU_DEP_1)
	v_add3_u32 v83, v85, v83, 0x7fff
                                        ; implicit-def: $vgpr85
; %bb.18:
	s_and_not1_saveexec_b32 s2, s2
; %bb.19:
	v_and_b32_e32 v83, 0xffff, v85
	v_or_b32_e32 v90, 0x10000, v85
	s_delay_alu instid0(VALU_DEP_2) | instskip(NEXT) | instid1(VALU_DEP_2)
	v_cmp_eq_u32_e32 vcc_lo, 0, v83
	v_cndmask_b32_e32 v83, v90, v85, vcc_lo
; %bb.20:
	s_or_b32 exec_lo, exec_lo, s2
	v_and_b32_e32 v85, 0x7f800000, v86
	s_delay_alu instid0(VALU_DEP_1) | instskip(SKIP_1) | instid1(SALU_CYCLE_1)
	v_cmp_ne_u32_e32 vcc_lo, 0x7f800000, v85
                                        ; implicit-def: $vgpr85
	s_and_saveexec_b32 s2, vcc_lo
	s_xor_b32 s2, exec_lo, s2
; %bb.21:
	v_bfe_u32 v85, v86, 16, 1
	s_delay_alu instid0(VALU_DEP_1)
	v_add3_u32 v85, v86, v85, 0x7fff
                                        ; implicit-def: $vgpr86
; %bb.22:
	s_and_not1_saveexec_b32 s2, s2
; %bb.23:
	v_and_b32_e32 v85, 0xffff, v86
	v_or_b32_e32 v90, 0x10000, v86
	s_delay_alu instid0(VALU_DEP_2) | instskip(NEXT) | instid1(VALU_DEP_2)
	v_cmp_eq_u32_e32 vcc_lo, 0, v85
	v_cndmask_b32_e32 v85, v90, v86, vcc_lo
; %bb.24:
	s_or_b32 exec_lo, exec_lo, s2
	v_and_b32_e32 v86, 0x7f800000, v89
	s_delay_alu instid0(VALU_DEP_1) | instskip(SKIP_1) | instid1(SALU_CYCLE_1)
	v_cmp_ne_u32_e32 vcc_lo, 0x7f800000, v86
                                        ; implicit-def: $vgpr86
	s_and_saveexec_b32 s2, vcc_lo
	s_xor_b32 s2, exec_lo, s2
; %bb.25:
	v_bfe_u32 v86, v89, 16, 1
	s_delay_alu instid0(VALU_DEP_1)
	v_add3_u32 v86, v89, v86, 0x7fff
                                        ; implicit-def: $vgpr89
; %bb.26:
	s_and_not1_saveexec_b32 s2, s2
; %bb.27:
	v_and_b32_e32 v86, 0xffff, v89
	v_or_b32_e32 v90, 0x10000, v89
	s_delay_alu instid0(VALU_DEP_2) | instskip(NEXT) | instid1(VALU_DEP_2)
	v_cmp_eq_u32_e32 vcc_lo, 0, v86
	v_cndmask_b32_e32 v86, v90, v89, vcc_lo
; %bb.28:
	s_or_b32 exec_lo, exec_lo, s2
	v_and_b32_e32 v89, 0x7f800000, v88
	s_delay_alu instid0(VALU_DEP_1) | instskip(SKIP_1) | instid1(SALU_CYCLE_1)
	v_cmp_ne_u32_e32 vcc_lo, 0x7f800000, v89
                                        ; implicit-def: $vgpr89
	s_and_saveexec_b32 s2, vcc_lo
	s_xor_b32 s2, exec_lo, s2
; %bb.29:
	v_bfe_u32 v89, v88, 16, 1
	s_delay_alu instid0(VALU_DEP_1)
	v_add3_u32 v89, v88, v89, 0x7fff
                                        ; implicit-def: $vgpr88
; %bb.30:
	s_and_not1_saveexec_b32 s2, s2
; %bb.31:
	v_and_b32_e32 v89, 0xffff, v88
	v_or_b32_e32 v90, 0x10000, v88
	s_delay_alu instid0(VALU_DEP_2) | instskip(NEXT) | instid1(VALU_DEP_2)
	v_cmp_eq_u32_e32 vcc_lo, 0, v89
	v_cndmask_b32_e32 v89, v90, v88, vcc_lo
; %bb.32:
	s_or_b32 exec_lo, exec_lo, s2
	v_and_b32_e32 v88, 0x7f800000, v87
	s_delay_alu instid0(VALU_DEP_1) | instskip(SKIP_1) | instid1(SALU_CYCLE_1)
	v_cmp_ne_u32_e32 vcc_lo, 0x7f800000, v88
                                        ; implicit-def: $vgpr88
	s_and_saveexec_b32 s2, vcc_lo
	s_xor_b32 s2, exec_lo, s2
; %bb.33:
	v_bfe_u32 v88, v87, 16, 1
	s_delay_alu instid0(VALU_DEP_1)
	v_add3_u32 v88, v87, v88, 0x7fff
                                        ; implicit-def: $vgpr87
; %bb.34:
	s_and_not1_saveexec_b32 s2, s2
; %bb.35:
	v_and_b32_e32 v88, 0xffff, v87
	v_or_b32_e32 v90, 0x10000, v87
	s_delay_alu instid0(VALU_DEP_2) | instskip(NEXT) | instid1(VALU_DEP_2)
	v_cmp_eq_u32_e32 vcc_lo, 0, v88
	v_cndmask_b32_e32 v88, v90, v87, vcc_lo
; %bb.36:
	s_or_b32 exec_lo, exec_lo, s2
	v_and_b32_e32 v87, 0x7f800000, v84
	s_delay_alu instid0(VALU_DEP_1) | instskip(SKIP_1) | instid1(SALU_CYCLE_1)
	v_cmp_ne_u32_e32 vcc_lo, 0x7f800000, v87
                                        ; implicit-def: $vgpr87
	s_and_saveexec_b32 s2, vcc_lo
	s_xor_b32 s2, exec_lo, s2
; %bb.37:
	v_bfe_u32 v87, v84, 16, 1
	s_delay_alu instid0(VALU_DEP_1)
	v_add3_u32 v87, v84, v87, 0x7fff
                                        ; implicit-def: $vgpr84
; %bb.38:
	s_and_not1_saveexec_b32 s2, s2
; %bb.39:
	v_and_b32_e32 v87, 0xffff, v84
	v_or_b32_e32 v90, 0x10000, v84
	s_delay_alu instid0(VALU_DEP_2) | instskip(NEXT) | instid1(VALU_DEP_2)
	v_cmp_eq_u32_e32 vcc_lo, 0, v87
	v_cndmask_b32_e32 v87, v90, v84, vcc_lo
; %bb.40:
	s_or_b32 exec_lo, exec_lo, s2
	v_and_b32_e32 v84, 0x7f800000, v80
	s_delay_alu instid0(VALU_DEP_1) | instskip(SKIP_1) | instid1(SALU_CYCLE_1)
	v_cmp_ne_u32_e32 vcc_lo, 0x7f800000, v84
                                        ; implicit-def: $vgpr84
	s_and_saveexec_b32 s2, vcc_lo
	s_xor_b32 s2, exec_lo, s2
; %bb.41:
	v_bfe_u32 v84, v80, 16, 1
	s_delay_alu instid0(VALU_DEP_1)
	v_add3_u32 v84, v80, v84, 0x7fff
                                        ; implicit-def: $vgpr80
; %bb.42:
	s_and_not1_saveexec_b32 s2, s2
; %bb.43:
	v_and_b32_e32 v84, 0xffff, v80
	v_or_b32_e32 v90, 0x10000, v80
	s_delay_alu instid0(VALU_DEP_2) | instskip(NEXT) | instid1(VALU_DEP_2)
	v_cmp_eq_u32_e32 vcc_lo, 0, v84
	v_cndmask_b32_e32 v84, v90, v80, vcc_lo
; %bb.44:
	s_or_b32 exec_lo, exec_lo, s2
	s_load_b64 s[34:35], s[0:1], 0x94
	v_lshlrev_b32_e32 v91, 4, v74
	s_delay_alu instid0(VALU_DEP_2)
	v_perm_b32 v90, v84, v87, 0x7060302
	v_dual_mul_f32 v77, v82, v77 :: v_dual_lshlrev_b32 v80, 6, v66
	v_lshlrev_b32_e32 v66, 11, v65
	v_perm_b32 v87, v83, v76, 0x7060302
	v_mul_f32_e32 v83, v82, v70
	v_perm_b32 v89, v88, v89, 0x7060302
	v_perm_b32 v88, v86, v85, 0x7060302
	v_or3_b32 v76, v91, v66, v80
	v_mul_f32_e32 v66, v82, v81
	v_mul_f32_e32 v70, v82, v79
	v_mul_f32_e32 v78, v82, v78
	v_dual_mul_f32 v81, v82, v72 :: v_dual_and_b32 v84, 0x7f800000, v83
	v_mul_f32_e32 v79, v82, v71
	v_mul_f32_e32 v72, v82, v69
	s_mov_b32 s2, exec_lo
	ds_store_b128 v76, v[87:90]
                                        ; implicit-def: $vgpr69
	v_cmpx_ne_u32_e32 0x7f800000, v84
	s_xor_b32 s2, exec_lo, s2
; %bb.45:
	v_bfe_u32 v69, v83, 16, 1
	s_delay_alu instid0(VALU_DEP_1)
	v_add3_u32 v69, v83, v69, 0x7fff
                                        ; implicit-def: $vgpr83
; %bb.46:
	s_and_not1_saveexec_b32 s2, s2
; %bb.47:
	v_and_b32_e32 v69, 0xffff, v83
	v_or_b32_e32 v71, 0x10000, v83
	s_delay_alu instid0(VALU_DEP_2) | instskip(NEXT) | instid1(VALU_DEP_2)
	v_cmp_eq_u32_e32 vcc_lo, 0, v69
	v_cndmask_b32_e32 v69, v71, v83, vcc_lo
; %bb.48:
	s_or_b32 exec_lo, exec_lo, s2
	v_and_b32_e32 v71, 0x7f800000, v72
	s_delay_alu instid0(VALU_DEP_1) | instskip(SKIP_1) | instid1(SALU_CYCLE_1)
	v_cmp_ne_u32_e32 vcc_lo, 0x7f800000, v71
                                        ; implicit-def: $vgpr71
	s_and_saveexec_b32 s2, vcc_lo
	s_xor_b32 s2, exec_lo, s2
; %bb.49:
	v_bfe_u32 v71, v72, 16, 1
	s_delay_alu instid0(VALU_DEP_1)
	v_add3_u32 v71, v72, v71, 0x7fff
                                        ; implicit-def: $vgpr72
; %bb.50:
	s_and_not1_saveexec_b32 s2, s2
; %bb.51:
	v_and_b32_e32 v71, 0xffff, v72
	v_or_b32_e32 v82, 0x10000, v72
	s_delay_alu instid0(VALU_DEP_2) | instskip(NEXT) | instid1(VALU_DEP_2)
	v_cmp_eq_u32_e32 vcc_lo, 0, v71
	v_cndmask_b32_e32 v71, v82, v72, vcc_lo
; %bb.52:
	s_or_b32 exec_lo, exec_lo, s2
	v_and_b32_e32 v72, 0x7f800000, v79
	s_delay_alu instid0(VALU_DEP_1) | instskip(SKIP_1) | instid1(SALU_CYCLE_1)
	v_cmp_ne_u32_e32 vcc_lo, 0x7f800000, v72
                                        ; implicit-def: $vgpr72
	s_and_saveexec_b32 s2, vcc_lo
	s_xor_b32 s2, exec_lo, s2
; %bb.53:
	v_bfe_u32 v72, v79, 16, 1
	s_delay_alu instid0(VALU_DEP_1)
	v_add3_u32 v72, v79, v72, 0x7fff
                                        ; implicit-def: $vgpr79
; %bb.54:
	s_and_not1_saveexec_b32 s2, s2
; %bb.55:
	v_and_b32_e32 v72, 0xffff, v79
	v_or_b32_e32 v82, 0x10000, v79
	s_delay_alu instid0(VALU_DEP_2) | instskip(NEXT) | instid1(VALU_DEP_2)
	v_cmp_eq_u32_e32 vcc_lo, 0, v72
	v_cndmask_b32_e32 v72, v82, v79, vcc_lo
; %bb.56:
	s_or_b32 exec_lo, exec_lo, s2
	v_and_b32_e32 v79, 0x7f800000, v81
	s_delay_alu instid0(VALU_DEP_1) | instskip(SKIP_1) | instid1(SALU_CYCLE_1)
	v_cmp_ne_u32_e32 vcc_lo, 0x7f800000, v79
                                        ; implicit-def: $vgpr79
	s_and_saveexec_b32 s2, vcc_lo
	s_xor_b32 s2, exec_lo, s2
; %bb.57:
	v_bfe_u32 v79, v81, 16, 1
	s_delay_alu instid0(VALU_DEP_1)
	v_add3_u32 v79, v81, v79, 0x7fff
                                        ; implicit-def: $vgpr81
; %bb.58:
	s_and_not1_saveexec_b32 s2, s2
; %bb.59:
	v_and_b32_e32 v79, 0xffff, v81
	v_or_b32_e32 v82, 0x10000, v81
	s_delay_alu instid0(VALU_DEP_2) | instskip(NEXT) | instid1(VALU_DEP_2)
	v_cmp_eq_u32_e32 vcc_lo, 0, v79
	v_cndmask_b32_e32 v79, v82, v81, vcc_lo
; %bb.60:
	s_or_b32 exec_lo, exec_lo, s2
	v_and_b32_e32 v81, 0x7f800000, v77
	s_delay_alu instid0(VALU_DEP_1) | instskip(SKIP_1) | instid1(SALU_CYCLE_1)
	v_cmp_ne_u32_e32 vcc_lo, 0x7f800000, v81
                                        ; implicit-def: $vgpr81
	s_and_saveexec_b32 s2, vcc_lo
	s_xor_b32 s2, exec_lo, s2
; %bb.61:
	v_bfe_u32 v81, v77, 16, 1
	s_delay_alu instid0(VALU_DEP_1)
	v_add3_u32 v81, v77, v81, 0x7fff
                                        ; implicit-def: $vgpr77
; %bb.62:
	s_and_not1_saveexec_b32 s2, s2
; %bb.63:
	v_and_b32_e32 v81, 0xffff, v77
	v_or_b32_e32 v82, 0x10000, v77
	s_delay_alu instid0(VALU_DEP_2) | instskip(NEXT) | instid1(VALU_DEP_2)
	v_cmp_eq_u32_e32 vcc_lo, 0, v81
	v_cndmask_b32_e32 v81, v82, v77, vcc_lo
; %bb.64:
	s_or_b32 exec_lo, exec_lo, s2
	v_and_b32_e32 v77, 0x7f800000, v78
	s_delay_alu instid0(VALU_DEP_1) | instskip(SKIP_1) | instid1(SALU_CYCLE_1)
	v_cmp_ne_u32_e32 vcc_lo, 0x7f800000, v77
                                        ; implicit-def: $vgpr77
	s_and_saveexec_b32 s2, vcc_lo
	s_xor_b32 s2, exec_lo, s2
; %bb.65:
	v_bfe_u32 v77, v78, 16, 1
	s_delay_alu instid0(VALU_DEP_1)
	v_add3_u32 v77, v78, v77, 0x7fff
                                        ; implicit-def: $vgpr78
; %bb.66:
	s_and_not1_saveexec_b32 s2, s2
; %bb.67:
	v_and_b32_e32 v77, 0xffff, v78
	v_or_b32_e32 v82, 0x10000, v78
	s_delay_alu instid0(VALU_DEP_2) | instskip(NEXT) | instid1(VALU_DEP_2)
	v_cmp_eq_u32_e32 vcc_lo, 0, v77
	v_cndmask_b32_e32 v77, v82, v78, vcc_lo
; %bb.68:
	s_or_b32 exec_lo, exec_lo, s2
	v_and_b32_e32 v78, 0x7f800000, v70
	s_delay_alu instid0(VALU_DEP_1) | instskip(SKIP_1) | instid1(SALU_CYCLE_1)
	v_cmp_ne_u32_e32 vcc_lo, 0x7f800000, v78
                                        ; implicit-def: $vgpr78
	s_and_saveexec_b32 s2, vcc_lo
	s_xor_b32 s2, exec_lo, s2
; %bb.69:
	v_bfe_u32 v78, v70, 16, 1
	s_delay_alu instid0(VALU_DEP_1)
	v_add3_u32 v78, v70, v78, 0x7fff
                                        ; implicit-def: $vgpr70
; %bb.70:
	s_and_not1_saveexec_b32 s2, s2
; %bb.71:
	v_and_b32_e32 v78, 0xffff, v70
	v_or_b32_e32 v82, 0x10000, v70
	s_delay_alu instid0(VALU_DEP_2) | instskip(NEXT) | instid1(VALU_DEP_2)
	v_cmp_eq_u32_e32 vcc_lo, 0, v78
	v_cndmask_b32_e32 v78, v82, v70, vcc_lo
; %bb.72:
	s_or_b32 exec_lo, exec_lo, s2
	v_and_b32_e32 v70, 0x7f800000, v66
	s_delay_alu instid0(VALU_DEP_1) | instskip(SKIP_1) | instid1(SALU_CYCLE_1)
	v_cmp_ne_u32_e32 vcc_lo, 0x7f800000, v70
                                        ; implicit-def: $vgpr70
	s_and_saveexec_b32 s2, vcc_lo
	s_xor_b32 s2, exec_lo, s2
; %bb.73:
	v_bfe_u32 v70, v66, 16, 1
	s_delay_alu instid0(VALU_DEP_1)
	v_add3_u32 v70, v66, v70, 0x7fff
                                        ; implicit-def: $vgpr66
; %bb.74:
	s_and_not1_saveexec_b32 s2, s2
; %bb.75:
	v_and_b32_e32 v70, 0xffff, v66
	v_or_b32_e32 v82, 0x10000, v66
	s_delay_alu instid0(VALU_DEP_2) | instskip(NEXT) | instid1(VALU_DEP_2)
	v_cmp_eq_u32_e32 vcc_lo, 0, v70
	v_cndmask_b32_e32 v70, v82, v66, vcc_lo
; %bb.76:
	s_or_b32 exec_lo, exec_lo, s2
	s_delay_alu instid0(VALU_DEP_1)
	v_perm_b32 v86, v70, v78, 0x7060302
	v_perm_b32 v85, v77, v81, 0x7060302
	;; [unrolled: 1-line block ×4, first 2 shown]
	v_lshl_or_b32 v82, v65, 11, v80
	ds_store_b128 v76, v[83:86] offset:1024
	s_waitcnt lgkmcnt(0)
	s_barrier
	buffer_gl0_inv
	ds_load_b128 v[69:72], v82
	ds_load_b128 v[83:86], v82 offset:16
	s_waitcnt lgkmcnt(1)
	v_lshrrev_b32_e32 v65, 16, v69
	v_lshlrev_b32_e32 v78, 2, v74
	s_waitcnt lgkmcnt(0)
	v_lshrrev_b32_e32 v91, 16, v83
	v_lshrrev_b32_e32 v66, 16, v70
	;; [unrolled: 1-line block ×4, first 2 shown]
	v_cmp_eq_u32_e32 vcc_lo, 1, v78
	v_lshrrev_b32_e32 v98, 16, v85
	v_lshrrev_b32_e32 v96, 16, v72
	;; [unrolled: 1-line block ×3, first 2 shown]
	v_cndmask_b32_e32 v81, v69, v65, vcc_lo
	v_or_b32_e32 v79, 1, v78
	v_cmp_eq_u32_e64 s3, 2, v78
	v_cndmask_b32_e32 v87, v83, v91, vcc_lo
	v_cmp_eq_u32_e64 s6, 3, v78
	v_cmp_eq_u32_e64 s8, 4, v78
	;; [unrolled: 1-line block ×3, first 2 shown]
	v_cndmask_b32_e64 v81, v81, v70, s3
	v_cmp_eq_u32_e64 s5, 2, v79
	v_cndmask_b32_e64 v87, v87, v84, s3
	v_cmp_eq_u32_e64 s7, 3, v79
	v_cndmask_b32_e64 v88, v69, v65, s2
	v_cndmask_b32_e64 v81, v81, v66, s6
	v_or_b32_e32 v77, 2, v78
	v_cndmask_b32_e64 v87, v87, v97, s6
	v_cndmask_b32_e64 v89, v83, v91, s2
	;; [unrolled: 1-line block ×4, first 2 shown]
	v_cmp_eq_u32_e64 s9, 5, v78
	v_cndmask_b32_e64 v87, v87, v85, s8
	v_cmp_eq_u32_e64 s10, 4, v79
	v_cndmask_b32_e64 v88, v88, v66, s7
	;; [unrolled: 2-line block ×3, first 2 shown]
	v_cndmask_b32_e64 v81, v81, v95, s9
	v_cmp_eq_u32_e64 s11, 6, v78
	v_cndmask_b32_e64 v88, v88, v71, s10
	v_cndmask_b32_e64 v87, v87, v98, s9
	v_cmp_eq_u32_e64 s12, 5, v79
	v_cndmask_b32_e64 v90, v69, v65, s4
	v_cndmask_b32_e64 v89, v89, v97, s7
	v_cndmask_b32_e64 v81, v81, v72, s11
	v_cmp_eq_u32_e64 s13, 7, v78
	v_cndmask_b32_e64 v88, v88, v95, s12
	v_cndmask_b32_e64 v87, v87, v86, s11
	v_cmp_eq_u32_e64 s15, 6, v79
	v_cmp_eq_u32_e64 s16, 2, v77
	v_cndmask_b32_e64 v89, v89, v85, s10
	v_cndmask_b32_e64 v100, v81, v96, s13
	;; [unrolled: 1-line block ×6, first 2 shown]
	v_cmp_eq_u32_e64 s17, 7, v79
	v_cmp_eq_u32_e64 s18, 3, v77
	;; [unrolled: 1-line block ×4, first 2 shown]
	v_cndmask_b32_e64 v87, v87, v84, s16
	v_cndmask_b32_e64 v102, v88, v96, s17
	;; [unrolled: 1-line block ×4, first 2 shown]
	v_or_b32_e32 v81, 3, v78
	v_cndmask_b32_e64 v93, v87, v97, s18
	v_cmp_eq_u32_e64 s23, 6, v77
	v_cndmask_b32_e64 v103, v88, v86, s15
	v_cndmask_b32_e64 v92, v89, v71, s19
	v_cmp_eq_u32_e64 s20, 1, v81
	ds_load_b128 v[87:90], v82 offset:1024
	v_cmp_eq_u32_e64 s22, 2, v81
	v_cmp_eq_u32_e64 s24, 3, v81
	v_cndmask_b32_e64 v104, v92, v95, s21
	v_cndmask_b32_e64 v65, v69, v65, s20
	v_cndmask_b32_e64 v69, v93, v85, s19
	v_cndmask_b32_e64 v83, v83, v91, s20
	ds_load_b128 v[91:94], v82 offset:1040
	v_cmp_eq_u32_e64 s25, 4, v81
	v_cndmask_b32_e64 v65, v65, v70, s22
	v_cmp_eq_u32_e64 s27, 5, v81
	v_cndmask_b32_e64 v70, v83, v84, s22
	;; [unrolled: 2-line block ×3, first 2 shown]
	v_cndmask_b32_e64 v65, v65, v66, s24
	v_cndmask_b32_e64 v66, v104, v72, s23
	;; [unrolled: 1-line block ×3, first 2 shown]
	v_cmp_eq_u32_e64 s26, 7, v77
	v_cndmask_b32_e64 v69, v69, v86, s23
	v_cndmask_b32_e64 v65, v65, v71, s25
	s_waitcnt lgkmcnt(1)
	v_lshrrev_b32_e32 v84, 16, v87
	v_cndmask_b32_e64 v70, v70, v85, s25
	v_cndmask_b32_e64 v83, v103, v99, s17
	;; [unrolled: 1-line block ×4, first 2 shown]
	v_lshrrev_b32_e32 v95, 16, v88
	v_cndmask_b32_e64 v70, v70, v98, s27
	s_waitcnt lgkmcnt(0)
	v_lshrrev_b32_e32 v85, 16, v91
	v_cndmask_b32_e64 v97, v87, v84, s2
	v_cndmask_b32_e64 v65, v65, v72, s28
	;; [unrolled: 1-line block ×4, first 2 shown]
	v_cndmask_b32_e32 v71, v87, v84, vcc_lo
	v_cndmask_b32_e32 v98, v91, v85, vcc_lo
	v_cmp_eq_u32_e32 vcc_lo, 7, v81
	v_cndmask_b32_e64 v72, v97, v88, s5
	v_lshrrev_b32_e32 v97, 16, v92
	v_lshrrev_b32_e32 v103, 16, v90
	v_dual_cndmask_b32 v65, v65, v96 :: v_dual_cndmask_b32 v70, v70, v99
	v_cndmask_b32_e64 v71, v71, v88, s3
	v_cndmask_b32_e64 v86, v98, v92, s3
	;; [unrolled: 1-line block ×3, first 2 shown]
	v_lshrrev_b32_e32 v98, 16, v89
	v_lshrrev_b32_e32 v99, 16, v93
	v_cndmask_b32_e64 v71, v71, v95, s6
	v_cndmask_b32_e64 v86, v86, v97, s6
	;; [unrolled: 1-line block ×3, first 2 shown]
	v_perm_b32 v72, v70, v65, 0x5040100
	v_perm_b32 v70, v83, v102, 0x5040100
	v_cndmask_b32_e64 v71, v71, v89, s8
	v_cndmask_b32_e64 v86, v86, v93, s8
	;; [unrolled: 1-line block ×3, first 2 shown]
	v_lshrrev_b32_e32 v83, 16, v94
	s_delay_alu instid0(VALU_DEP_4) | instskip(NEXT) | instid1(VALU_DEP_4)
	v_cndmask_b32_e64 v71, v71, v98, s9
	v_cndmask_b32_e64 v86, v86, v99, s9
	s_delay_alu instid0(VALU_DEP_4) | instskip(NEXT) | instid1(VALU_DEP_3)
	v_cndmask_b32_e64 v65, v65, v90, s15
	v_cndmask_b32_e64 v96, v71, v90, s11
	v_perm_b32 v71, v69, v66, 0x5040100
	s_delay_alu instid0(VALU_DEP_4)
	v_cndmask_b32_e64 v69, v86, v94, s11
	v_cndmask_b32_e64 v86, v87, v84, s4
	;; [unrolled: 1-line block ×34, first 2 shown]
	v_cndmask_b32_e32 v84, v84, v103, vcc_lo
	v_cndmask_b32_e32 v86, v87, v83, vcc_lo
	v_cndmask_b32_e64 v87, v88, v83, s26
	v_cndmask_b32_e64 v88, v85, v83, s17
	;; [unrolled: 1-line block ×3, first 2 shown]
	v_perm_b32 v69, v101, v100, 0x5040100
	v_perm_b32 v86, v86, v84, 0x5040100
	;; [unrolled: 1-line block ×5, first 2 shown]
	s_lshl_b32 s7, s35, 2
	s_mov_b32 s2, exec_lo
	ds_store_b128 v76, v[69:72]
	ds_store_b128 v76, v[83:86] offset:1024
	v_cmpx_gt_u32_e32 4, v0
	s_cbranch_execz .LBB1889_78
; %bb.77:
	v_or_b32_e32 v65, s29, v0
	s_load_b128 s[8:11], s[0:1], 0x58
	s_delay_alu instid0(VALU_DEP_1) | instskip(NEXT) | instid1(VALU_DEP_1)
	v_mad_u64_u32 v[69:70], null, s7, s30, v[65:66]
	v_mad_u64_u32 v[65:66], null, v69, s34, s[14:15]
	s_delay_alu instid0(VALU_DEP_1) | instskip(NEXT) | instid1(VALU_DEP_1)
	v_ashrrev_i32_e32 v66, 31, v65
	v_lshlrev_b64 v[65:66], 2, v[65:66]
	s_waitcnt lgkmcnt(0)
	s_delay_alu instid0(VALU_DEP_1) | instskip(NEXT) | instid1(VALU_DEP_2)
	v_add_co_u32 v69, vcc_lo, s10, v65
	v_add_co_ci_u32_e32 v70, vcc_lo, s11, v66, vcc_lo
	v_add_co_u32 v65, vcc_lo, s8, v65
	v_add_co_ci_u32_e32 v66, vcc_lo, s9, v66, vcc_lo
	global_store_b32 v[69:70], v67, off
	global_store_b32 v[65:66], v68, off
.LBB1889_78:
	s_or_b32 exec_lo, exec_lo, s2
	s_waitcnt lgkmcnt(0)
	s_waitcnt_vscnt null, 0x0
	s_barrier
	buffer_gl0_inv
	ds_load_b128 v[83:86], v80
	ds_load_b128 v[87:90], v80 offset:16
	ds_load_b128 v[95:98], v80 offset:2064
	ds_load_b128 v[91:94], v80 offset:2048
	v_mov_b32_e32 v65, 0
	ds_load_b128 v[103:106], v80 offset:4112
	ds_load_b128 v[99:102], v80 offset:4096
	;; [unrolled: 1-line block ×4, first 2 shown]
	v_mov_b32_e32 v66, v65
	v_mov_b32_e32 v67, v65
	;; [unrolled: 1-line block ×7, first 2 shown]
	s_waitcnt lgkmcnt(6)
	s_delay_alu instid0(VALU_DEP_1)
	v_wmma_f32_16x16x16_bf16 v[65:72], v[49:56], v[83:90], v[65:72]
	ds_load_b128 v[53:56], v80 offset:8208
	ds_load_b128 v[49:52], v80 offset:8192
	s_waitcnt lgkmcnt(6)
	v_wmma_f32_16x16x16_bf16 v[65:72], v[41:48], v[91:98], v[65:72]
	ds_load_b128 v[45:48], v80 offset:10256
	ds_load_b128 v[41:44], v80 offset:10240
	s_waitcnt lgkmcnt(6)
	;; [unrolled: 4-line block ×4, first 2 shown]
	v_wmma_f32_16x16x16_bf16 v[65:72], v[1:8], v[49:56], v[65:72]
	s_waitcnt lgkmcnt(4)
	s_delay_alu instid0(VALU_DEP_1) | instskip(SKIP_1) | instid1(VALU_DEP_1)
	v_wmma_f32_16x16x16_bf16 v[65:72], v[9:16], v[41:48], v[65:72]
	s_waitcnt lgkmcnt(2)
	v_wmma_f32_16x16x16_bf16 v[65:72], v[17:24], v[33:40], v[65:72]
	s_waitcnt lgkmcnt(0)
	s_delay_alu instid0(VALU_DEP_1) | instskip(NEXT) | instid1(VALU_DEP_1)
	v_wmma_f32_16x16x16_bf16 v[65:72], v[57:64], v[25:32], v[65:72]
	v_and_b32_e32 v1, 0x7f800000, v65
	s_delay_alu instid0(VALU_DEP_1) | instskip(SKIP_1) | instid1(SALU_CYCLE_1)
	v_cmp_ne_u32_e32 vcc_lo, 0x7f800000, v1
                                        ; implicit-def: $vgpr1
	s_and_saveexec_b32 s2, vcc_lo
	s_xor_b32 s2, exec_lo, s2
; %bb.79:
	v_bfe_u32 v1, v65, 16, 1
	s_delay_alu instid0(VALU_DEP_1)
	v_add3_u32 v1, v65, v1, 0x7fff
; %bb.80:
	s_and_not1_saveexec_b32 s2, s2
; %bb.81:
	v_and_b32_e32 v1, 0xffff, v65
	v_or_b32_e32 v2, 0x10000, v65
	s_delay_alu instid0(VALU_DEP_2) | instskip(NEXT) | instid1(VALU_DEP_2)
	v_cmp_eq_u32_e32 vcc_lo, 0, v1
	v_cndmask_b32_e32 v1, v2, v65, vcc_lo
; %bb.82:
	s_or_b32 exec_lo, exec_lo, s2
	v_and_b32_e32 v2, 0x7f800000, v66
	s_delay_alu instid0(VALU_DEP_1) | instskip(SKIP_1) | instid1(SALU_CYCLE_1)
	v_cmp_ne_u32_e32 vcc_lo, 0x7f800000, v2
                                        ; implicit-def: $vgpr2
	s_and_saveexec_b32 s2, vcc_lo
	s_xor_b32 s2, exec_lo, s2
; %bb.83:
	v_bfe_u32 v2, v66, 16, 1
	s_delay_alu instid0(VALU_DEP_1)
	v_add3_u32 v2, v66, v2, 0x7fff
; %bb.84:
	s_and_not1_saveexec_b32 s2, s2
; %bb.85:
	v_and_b32_e32 v2, 0xffff, v66
	v_or_b32_e32 v3, 0x10000, v66
	s_delay_alu instid0(VALU_DEP_2) | instskip(NEXT) | instid1(VALU_DEP_2)
	v_cmp_eq_u32_e32 vcc_lo, 0, v2
	v_cndmask_b32_e32 v2, v3, v66, vcc_lo
; %bb.86:
	s_or_b32 exec_lo, exec_lo, s2
	v_and_b32_e32 v3, 0x7f800000, v67
	s_delay_alu instid0(VALU_DEP_1) | instskip(SKIP_1) | instid1(SALU_CYCLE_1)
	v_cmp_ne_u32_e32 vcc_lo, 0x7f800000, v3
                                        ; implicit-def: $vgpr3
	s_and_saveexec_b32 s2, vcc_lo
	s_xor_b32 s2, exec_lo, s2
; %bb.87:
	v_bfe_u32 v3, v67, 16, 1
	s_delay_alu instid0(VALU_DEP_1)
	v_add3_u32 v3, v67, v3, 0x7fff
; %bb.88:
	s_and_not1_saveexec_b32 s2, s2
; %bb.89:
	v_and_b32_e32 v3, 0xffff, v67
	v_or_b32_e32 v4, 0x10000, v67
	s_delay_alu instid0(VALU_DEP_2) | instskip(NEXT) | instid1(VALU_DEP_2)
	v_cmp_eq_u32_e32 vcc_lo, 0, v3
	v_cndmask_b32_e32 v3, v4, v67, vcc_lo
; %bb.90:
	s_or_b32 exec_lo, exec_lo, s2
	v_and_b32_e32 v4, 0x7f800000, v68
	s_delay_alu instid0(VALU_DEP_1) | instskip(SKIP_1) | instid1(SALU_CYCLE_1)
	v_cmp_ne_u32_e32 vcc_lo, 0x7f800000, v4
                                        ; implicit-def: $vgpr4
	s_and_saveexec_b32 s2, vcc_lo
	s_xor_b32 s2, exec_lo, s2
; %bb.91:
	v_bfe_u32 v4, v68, 16, 1
	s_delay_alu instid0(VALU_DEP_1)
	v_add3_u32 v4, v68, v4, 0x7fff
; %bb.92:
	s_and_not1_saveexec_b32 s2, s2
; %bb.93:
	v_and_b32_e32 v4, 0xffff, v68
	v_or_b32_e32 v5, 0x10000, v68
	s_delay_alu instid0(VALU_DEP_2) | instskip(NEXT) | instid1(VALU_DEP_2)
	v_cmp_eq_u32_e32 vcc_lo, 0, v4
	v_cndmask_b32_e32 v4, v5, v68, vcc_lo
; %bb.94:
	s_or_b32 exec_lo, exec_lo, s2
	v_and_b32_e32 v5, 0x7f800000, v69
	s_delay_alu instid0(VALU_DEP_1) | instskip(SKIP_1) | instid1(SALU_CYCLE_1)
	v_cmp_ne_u32_e32 vcc_lo, 0x7f800000, v5
                                        ; implicit-def: $vgpr5
	s_and_saveexec_b32 s2, vcc_lo
	s_xor_b32 s2, exec_lo, s2
; %bb.95:
	v_bfe_u32 v5, v69, 16, 1
	s_delay_alu instid0(VALU_DEP_1)
	v_add3_u32 v5, v69, v5, 0x7fff
; %bb.96:
	s_and_not1_saveexec_b32 s2, s2
; %bb.97:
	v_and_b32_e32 v5, 0xffff, v69
	v_or_b32_e32 v6, 0x10000, v69
	s_delay_alu instid0(VALU_DEP_2) | instskip(NEXT) | instid1(VALU_DEP_2)
	v_cmp_eq_u32_e32 vcc_lo, 0, v5
	v_cndmask_b32_e32 v5, v6, v69, vcc_lo
; %bb.98:
	s_or_b32 exec_lo, exec_lo, s2
	v_and_b32_e32 v6, 0x7f800000, v70
	s_delay_alu instid0(VALU_DEP_1) | instskip(SKIP_1) | instid1(SALU_CYCLE_1)
	v_cmp_ne_u32_e32 vcc_lo, 0x7f800000, v6
                                        ; implicit-def: $vgpr6
	s_and_saveexec_b32 s2, vcc_lo
	s_xor_b32 s2, exec_lo, s2
; %bb.99:
	v_bfe_u32 v6, v70, 16, 1
	s_delay_alu instid0(VALU_DEP_1)
	v_add3_u32 v6, v70, v6, 0x7fff
; %bb.100:
	s_and_not1_saveexec_b32 s2, s2
; %bb.101:
	v_and_b32_e32 v6, 0xffff, v70
	v_or_b32_e32 v7, 0x10000, v70
	s_delay_alu instid0(VALU_DEP_2) | instskip(NEXT) | instid1(VALU_DEP_2)
	v_cmp_eq_u32_e32 vcc_lo, 0, v6
	v_cndmask_b32_e32 v6, v7, v70, vcc_lo
; %bb.102:
	s_or_b32 exec_lo, exec_lo, s2
	v_and_b32_e32 v7, 0x7f800000, v71
	s_delay_alu instid0(VALU_DEP_1) | instskip(SKIP_1) | instid1(SALU_CYCLE_1)
	v_cmp_ne_u32_e32 vcc_lo, 0x7f800000, v7
                                        ; implicit-def: $vgpr7
	s_and_saveexec_b32 s2, vcc_lo
	s_xor_b32 s2, exec_lo, s2
; %bb.103:
	v_bfe_u32 v7, v71, 16, 1
	s_delay_alu instid0(VALU_DEP_1)
	v_add3_u32 v7, v71, v7, 0x7fff
; %bb.104:
	s_and_not1_saveexec_b32 s2, s2
; %bb.105:
	v_and_b32_e32 v7, 0xffff, v71
	v_or_b32_e32 v8, 0x10000, v71
	s_delay_alu instid0(VALU_DEP_2) | instskip(NEXT) | instid1(VALU_DEP_2)
	v_cmp_eq_u32_e32 vcc_lo, 0, v7
	v_cndmask_b32_e32 v7, v8, v71, vcc_lo
; %bb.106:
	s_or_b32 exec_lo, exec_lo, s2
	v_and_b32_e32 v8, 0x7f800000, v72
	s_delay_alu instid0(VALU_DEP_1) | instskip(SKIP_1) | instid1(SALU_CYCLE_1)
	v_cmp_ne_u32_e32 vcc_lo, 0x7f800000, v8
                                        ; implicit-def: $vgpr8
	s_and_saveexec_b32 s2, vcc_lo
	s_xor_b32 s2, exec_lo, s2
; %bb.107:
	v_bfe_u32 v8, v72, 16, 1
	s_delay_alu instid0(VALU_DEP_1)
	v_add3_u32 v8, v72, v8, 0x7fff
                                        ; implicit-def: $vgpr65_vgpr66_vgpr67_vgpr68_vgpr69_vgpr70_vgpr71_vgpr72
; %bb.108:
	s_and_not1_saveexec_b32 s2, s2
; %bb.109:
	v_and_b32_e32 v8, 0xffff, v72
	v_or_b32_e32 v9, 0x10000, v72
	s_delay_alu instid0(VALU_DEP_2) | instskip(NEXT) | instid1(VALU_DEP_2)
	v_cmp_eq_u32_e32 vcc_lo, 0, v8
	v_cndmask_b32_e32 v8, v9, v72, vcc_lo
; %bb.110:
	s_or_b32 exec_lo, exec_lo, s2
	s_delay_alu instid0(VALU_DEP_1)
	v_perm_b32 v7, v8, v7, 0x7060302
	v_perm_b32 v6, v6, v5, 0x7060302
	;; [unrolled: 1-line block ×4, first 2 shown]
	s_barrier
	buffer_gl0_inv
	v_cmp_eq_u32_e32 vcc_lo, 1, v78
	ds_store_b128 v76, v[4:7]
	s_waitcnt lgkmcnt(0)
	s_barrier
	buffer_gl0_inv
	ds_load_b128 v[1:4], v82
	ds_load_b128 v[5:8], v82 offset:16
	v_cmp_eq_u32_e64 s2, 1, v79
	v_cmp_eq_u32_e64 s3, 2, v78
	;; [unrolled: 1-line block ×5, first 2 shown]
	s_waitcnt lgkmcnt(1)
	v_lshrrev_b32_e32 v9, 16, v1
	s_waitcnt lgkmcnt(0)
	v_lshrrev_b32_e32 v13, 16, v5
	v_lshrrev_b32_e32 v10, 16, v2
	;; [unrolled: 1-line block ×4, first 2 shown]
	v_cndmask_b32_e64 v19, v1, v9, s2
	v_cndmask_b32_e32 v18, v5, v13, vcc_lo
	v_cndmask_b32_e64 v20, v5, v13, s2
	v_cndmask_b32_e32 v17, v1, v9, vcc_lo
	v_cmp_eq_u32_e32 vcc_lo, 2, v79
	v_lshrrev_b32_e32 v15, 16, v7
	v_cmp_eq_u32_e64 s2, 1, v77
	v_lshrrev_b32_e32 v12, 16, v4
	v_lshrrev_b32_e32 v16, 16, v8
	v_cndmask_b32_e32 v20, v20, v6, vcc_lo
	v_cndmask_b32_e64 v17, v17, v2, s3
	v_cndmask_b32_e32 v19, v19, v2, vcc_lo
	v_cndmask_b32_e64 v18, v18, v6, s3
	v_cmp_eq_u32_e32 vcc_lo, 4, v78
	v_cmp_eq_u32_e64 s3, 3, v79
	v_cndmask_b32_e64 v17, v17, v10, s4
	v_cndmask_b32_e64 v21, v1, v9, s2
	;; [unrolled: 1-line block ×5, first 2 shown]
	v_cndmask_b32_e32 v17, v17, v3, vcc_lo
	v_cndmask_b32_e64 v20, v20, v14, s3
	v_cndmask_b32_e32 v18, v18, v7, vcc_lo
	v_cmp_eq_u32_e32 vcc_lo, 4, v79
	v_cmp_eq_u32_e64 s3, 5, v79
	v_cmp_eq_u32_e64 s2, 2, v81
	v_cndmask_b32_e64 v21, v21, v2, s6
	v_cmp_eq_u32_e64 s4, 5, v78
	v_cndmask_b32_e32 v19, v19, v3, vcc_lo
	v_cndmask_b32_e32 v20, v20, v7, vcc_lo
	v_cmp_eq_u32_e32 vcc_lo, 6, v79
	s_delay_alu instid0(VALU_DEP_4) | instskip(NEXT) | instid1(VALU_DEP_4)
	v_cndmask_b32_e64 v17, v17, v11, s4
	v_cndmask_b32_e64 v19, v19, v11, s3
	s_delay_alu instid0(VALU_DEP_4) | instskip(SKIP_1) | instid1(VALU_DEP_3)
	v_cndmask_b32_e64 v20, v20, v15, s3
	v_cmp_eq_u32_e64 s3, 1, v81
	v_cndmask_b32_e32 v19, v19, v4, vcc_lo
	v_cndmask_b32_e64 v18, v18, v15, s4
	s_delay_alu instid0(VALU_DEP_3)
	v_cndmask_b32_e64 v1, v1, v9, s3
	v_cndmask_b32_e64 v5, v5, v13, s3
	v_cmp_eq_u32_e64 s3, 3, v77
	v_cndmask_b32_e64 v13, v22, v6, s6
	v_cmp_eq_u32_e64 s6, 3, v81
	v_cndmask_b32_e64 v1, v1, v2, s2
	v_cndmask_b32_e64 v2, v5, v6, s2
	v_cndmask_b32_e64 v9, v21, v10, s3
	v_cmp_eq_u32_e64 s2, 4, v77
	v_cndmask_b32_e64 v6, v13, v14, s3
	v_cndmask_b32_e64 v1, v1, v10, s6
	v_cmp_eq_u32_e64 s3, 4, v81
	v_cndmask_b32_e64 v2, v2, v14, s6
	v_cndmask_b32_e64 v5, v9, v3, s2
	;; [unrolled: 3-line block ×3, first 2 shown]
	v_cndmask_b32_e64 v2, v2, v7, s3
	v_cmp_eq_u32_e64 s2, 5, v81
	v_cmp_eq_u32_e64 s4, 6, v78
	v_cndmask_b32_e64 v5, v5, v11, s6
	v_cmp_eq_u32_e64 s3, 6, v77
	v_cndmask_b32_e64 v3, v6, v15, s6
	v_cndmask_b32_e64 v1, v1, v11, s2
	v_cmp_eq_u32_e64 s6, 6, v81
	v_cndmask_b32_e64 v2, v2, v15, s2
	v_cndmask_b32_e64 v17, v17, v4, s4
	v_cndmask_b32_e64 v18, v18, v8, s4
	v_cmp_eq_u32_e64 s4, 7, v78
	v_cndmask_b32_e64 v5, v5, v4, s3
	v_cndmask_b32_e64 v3, v3, v8, s3
	v_cndmask_b32_e64 v1, v1, v4, s6
	v_cmp_eq_u32_e64 s2, 7, v81
	v_cndmask_b32_e64 v2, v2, v8, s6
	v_cmp_eq_u32_e64 s3, 7, v77
	v_cndmask_b32_e32 v4, v20, v8, vcc_lo
	v_cndmask_b32_e64 v17, v17, v12, s4
	v_cndmask_b32_e64 v19, v19, v12, s5
	;; [unrolled: 1-line block ×8, first 2 shown]
	s_mov_b32 s2, exec_lo
	v_perm_b32 v4, v2, v1, 0x5040100
	v_perm_b32 v3, v3, v5, 0x5040100
	;; [unrolled: 1-line block ×4, first 2 shown]
	ds_store_b128 v76, v[1:4]
	s_waitcnt lgkmcnt(0)
	s_barrier
	buffer_gl0_inv
	v_cmpx_gt_u32_e32 32, v0
	s_cbranch_execz .LBB1889_2
; %bb.111:
	s_load_b64 s[0:1], s[0:1], 0x68
	v_lshlrev_b32_e32 v0, 10, v0
	v_or_b32_e32 v1, s29, v74
	s_lshl_b32 s4, s34, 7
	v_lshlrev_b32_e32 v2, 4, v75
	s_mul_i32 s2, s4, s30
	v_lshlrev_b32_e32 v3, 6, v74
	v_mul_lo_u32 v8, v1, s4
	v_and_b32_e32 v0, 0x3800, v0
	v_or_b32_e32 v1, 2, v1
	s_mul_i32 s2, s2, s7
	s_delay_alu instid0(SALU_CYCLE_1) | instskip(NEXT) | instid1(VALU_DEP_2)
	s_ashr_i32 s3, s2, 31
	v_or3_b32 v4, v0, v2, v3
	s_lshl_b64 s[2:3], s[2:3], 1
	v_mul_lo_u32 v10, v1, s4
	v_ashrrev_i32_e32 v9, 31, v8
	ds_load_b128 v[0:3], v4
	ds_load_b128 v[4:7], v4 offset:128
	s_waitcnt lgkmcnt(0)
	s_add_u32 s2, s0, s2
	s_addc_u32 s3, s1, s3
	s_lshl_b32 s0, s14, 7
	v_ashrrev_i32_e32 v11, 31, v10
	s_ashr_i32 s1, s0, 31
	v_lshlrev_b64 v[8:9], 1, v[8:9]
	s_lshl_b64 s[0:1], s[0:1], 1
	s_delay_alu instid0(SALU_CYCLE_1) | instskip(SKIP_2) | instid1(VALU_DEP_1)
	s_add_u32 s0, s2, s0
	s_addc_u32 s1, s3, s1
	v_add_co_u32 v12, s0, s0, v73
	v_add_co_ci_u32_e64 v13, null, s1, 0, s0
	v_lshlrev_b64 v[10:11], 1, v[10:11]
	s_delay_alu instid0(VALU_DEP_3) | instskip(NEXT) | instid1(VALU_DEP_3)
	v_add_co_u32 v8, vcc_lo, v12, v8
	v_add_co_ci_u32_e32 v9, vcc_lo, v13, v9, vcc_lo
	s_delay_alu instid0(VALU_DEP_3) | instskip(NEXT) | instid1(VALU_DEP_4)
	v_add_co_u32 v10, vcc_lo, v12, v10
	v_add_co_ci_u32_e32 v11, vcc_lo, v13, v11, vcc_lo
	s_clause 0x1
	global_store_b128 v[8:9], v[0:3], off
	global_store_b128 v[10:11], v[4:7], off
	s_nop 0
	s_sendmsg sendmsg(MSG_DEALLOC_VGPRS)
	s_endpgm
	.section	.rodata,"a",@progbits
	.p2align	6, 0x0
	.amdhsa_kernel _Z39paged_attention_ll4mi_QKV_mfma16_kernelI14__hip_bfloat16hLN4vllm18Fp8KVCacheDataTypeE1EhLi32ELi128ELi256ELb0ELi4EL8MFMAType0EEvPKT_PKT0_S9_ifPKiSB_SB_iPKfiiiPfSE_PS4_PT2_iSD_SD_
		.amdhsa_group_segment_fixed_size 17472
		.amdhsa_private_segment_fixed_size 0
		.amdhsa_kernarg_size 400
		.amdhsa_user_sgpr_count 13
		.amdhsa_user_sgpr_dispatch_ptr 0
		.amdhsa_user_sgpr_queue_ptr 0
		.amdhsa_user_sgpr_kernarg_segment_ptr 1
		.amdhsa_user_sgpr_dispatch_id 0
		.amdhsa_user_sgpr_private_segment_size 0
		.amdhsa_wavefront_size32 1
		.amdhsa_uses_dynamic_stack 0
		.amdhsa_enable_private_segment 0
		.amdhsa_system_sgpr_workgroup_id_x 1
		.amdhsa_system_sgpr_workgroup_id_y 1
		.amdhsa_system_sgpr_workgroup_id_z 1
		.amdhsa_system_sgpr_workgroup_info 0
		.amdhsa_system_vgpr_workitem_id 0
		.amdhsa_next_free_vgpr 140
		.amdhsa_next_free_sgpr 36
		.amdhsa_reserve_vcc 1
		.amdhsa_float_round_mode_32 0
		.amdhsa_float_round_mode_16_64 0
		.amdhsa_float_denorm_mode_32 3
		.amdhsa_float_denorm_mode_16_64 3
		.amdhsa_dx10_clamp 1
		.amdhsa_ieee_mode 1
		.amdhsa_fp16_overflow 0
		.amdhsa_workgroup_processor_mode 1
		.amdhsa_memory_ordered 1
		.amdhsa_forward_progress 0
		.amdhsa_shared_vgpr_count 0
		.amdhsa_exception_fp_ieee_invalid_op 0
		.amdhsa_exception_fp_denorm_src 0
		.amdhsa_exception_fp_ieee_div_zero 0
		.amdhsa_exception_fp_ieee_overflow 0
		.amdhsa_exception_fp_ieee_underflow 0
		.amdhsa_exception_fp_ieee_inexact 0
		.amdhsa_exception_int_div_zero 0
	.end_amdhsa_kernel
	.section	.text._Z39paged_attention_ll4mi_QKV_mfma16_kernelI14__hip_bfloat16hLN4vllm18Fp8KVCacheDataTypeE1EhLi32ELi128ELi256ELb0ELi4EL8MFMAType0EEvPKT_PKT0_S9_ifPKiSB_SB_iPKfiiiPfSE_PS4_PT2_iSD_SD_,"axG",@progbits,_Z39paged_attention_ll4mi_QKV_mfma16_kernelI14__hip_bfloat16hLN4vllm18Fp8KVCacheDataTypeE1EhLi32ELi128ELi256ELb0ELi4EL8MFMAType0EEvPKT_PKT0_S9_ifPKiSB_SB_iPKfiiiPfSE_PS4_PT2_iSD_SD_,comdat
.Lfunc_end1889:
	.size	_Z39paged_attention_ll4mi_QKV_mfma16_kernelI14__hip_bfloat16hLN4vllm18Fp8KVCacheDataTypeE1EhLi32ELi128ELi256ELb0ELi4EL8MFMAType0EEvPKT_PKT0_S9_ifPKiSB_SB_iPKfiiiPfSE_PS4_PT2_iSD_SD_, .Lfunc_end1889-_Z39paged_attention_ll4mi_QKV_mfma16_kernelI14__hip_bfloat16hLN4vllm18Fp8KVCacheDataTypeE1EhLi32ELi128ELi256ELb0ELi4EL8MFMAType0EEvPKT_PKT0_S9_ifPKiSB_SB_iPKfiiiPfSE_PS4_PT2_iSD_SD_
                                        ; -- End function
	.section	.AMDGPU.csdata,"",@progbits
; Kernel info:
; codeLenInByte = 8740
; NumSgprs: 38
; NumVgprs: 140
; ScratchSize: 0
; MemoryBound: 0
; FloatMode: 240
; IeeeMode: 1
; LDSByteSize: 17472 bytes/workgroup (compile time only)
; SGPRBlocks: 4
; VGPRBlocks: 17
; NumSGPRsForWavesPerEU: 38
; NumVGPRsForWavesPerEU: 140
; Occupancy: 10
; WaveLimiterHint : 1
; COMPUTE_PGM_RSRC2:SCRATCH_EN: 0
; COMPUTE_PGM_RSRC2:USER_SGPR: 13
; COMPUTE_PGM_RSRC2:TRAP_HANDLER: 0
; COMPUTE_PGM_RSRC2:TGID_X_EN: 1
; COMPUTE_PGM_RSRC2:TGID_Y_EN: 1
; COMPUTE_PGM_RSRC2:TGID_Z_EN: 1
; COMPUTE_PGM_RSRC2:TIDIG_COMP_CNT: 0
	.section	.text._Z39paged_attention_ll4mi_QKV_mfma16_kernelI14__hip_bfloat16hLN4vllm18Fp8KVCacheDataTypeE1ES0_Li32ELi128ELi256ELb1ELi5EL8MFMAType0EEvPKT_PKT0_S9_ifPKiSB_SB_iPKfiiiPfSE_PS4_PT2_iSD_SD_,"axG",@progbits,_Z39paged_attention_ll4mi_QKV_mfma16_kernelI14__hip_bfloat16hLN4vllm18Fp8KVCacheDataTypeE1ES0_Li32ELi128ELi256ELb1ELi5EL8MFMAType0EEvPKT_PKT0_S9_ifPKiSB_SB_iPKfiiiPfSE_PS4_PT2_iSD_SD_,comdat
	.protected	_Z39paged_attention_ll4mi_QKV_mfma16_kernelI14__hip_bfloat16hLN4vllm18Fp8KVCacheDataTypeE1ES0_Li32ELi128ELi256ELb1ELi5EL8MFMAType0EEvPKT_PKT0_S9_ifPKiSB_SB_iPKfiiiPfSE_PS4_PT2_iSD_SD_ ; -- Begin function _Z39paged_attention_ll4mi_QKV_mfma16_kernelI14__hip_bfloat16hLN4vllm18Fp8KVCacheDataTypeE1ES0_Li32ELi128ELi256ELb1ELi5EL8MFMAType0EEvPKT_PKT0_S9_ifPKiSB_SB_iPKfiiiPfSE_PS4_PT2_iSD_SD_
	.globl	_Z39paged_attention_ll4mi_QKV_mfma16_kernelI14__hip_bfloat16hLN4vllm18Fp8KVCacheDataTypeE1ES0_Li32ELi128ELi256ELb1ELi5EL8MFMAType0EEvPKT_PKT0_S9_ifPKiSB_SB_iPKfiiiPfSE_PS4_PT2_iSD_SD_
	.p2align	8
	.type	_Z39paged_attention_ll4mi_QKV_mfma16_kernelI14__hip_bfloat16hLN4vllm18Fp8KVCacheDataTypeE1ES0_Li32ELi128ELi256ELb1ELi5EL8MFMAType0EEvPKT_PKT0_S9_ifPKiSB_SB_iPKfiiiPfSE_PS4_PT2_iSD_SD_,@function
_Z39paged_attention_ll4mi_QKV_mfma16_kernelI14__hip_bfloat16hLN4vllm18Fp8KVCacheDataTypeE1ES0_Li32ELi128ELi256ELb1ELi5EL8MFMAType0EEvPKT_PKT0_S9_ifPKiSB_SB_iPKfiiiPfSE_PS4_PT2_iSD_SD_: ; @_Z39paged_attention_ll4mi_QKV_mfma16_kernelI14__hip_bfloat16hLN4vllm18Fp8KVCacheDataTypeE1ES0_Li32ELi128ELi256ELb1ELi5EL8MFMAType0EEvPKT_PKT0_S9_ifPKiSB_SB_iPKfiiiPfSE_PS4_PT2_iSD_SD_
; %bb.0:
	s_load_b64 s[4:5], s[0:1], 0x30
	s_mov_b32 s30, s13
	s_waitcnt lgkmcnt(0)
	s_cmp_lg_u64 s[4:5], 0
	s_cselect_b32 s13, -1, 0
	s_ashr_i32 s31, s30, 31
	s_cmp_eq_u64 s[4:5], 0
	s_cbranch_scc1 .LBB1890_3
; %bb.1:
	s_lshl_b64 s[2:3], s[30:31], 2
	s_delay_alu instid0(SALU_CYCLE_1) | instskip(SKIP_4) | instid1(SALU_CYCLE_1)
	s_add_u32 s2, s4, s2
	s_addc_u32 s3, s5, s3
	s_load_b64 s[2:3], s[2:3], 0x0
	s_waitcnt lgkmcnt(0)
	s_sub_i32 s2, s3, s2
	s_cmp_eq_u32 s2, 1
	s_cselect_b32 s2, -1, 0
	s_delay_alu instid0(SALU_CYCLE_1)
	s_and_not1_b32 vcc_lo, exec_lo, s2
	s_cbranch_vccz .LBB1890_4
.LBB1890_2:
	s_nop 0
	s_sendmsg sendmsg(MSG_DEALLOC_VGPRS)
	s_endpgm
.LBB1890_3:
.LBB1890_4:
	s_load_b64 s[2:3], s[0:1], 0x28
	s_lshl_b64 s[6:7], s[30:31], 2
	s_waitcnt lgkmcnt(0)
	s_add_u32 s2, s2, s6
	s_addc_u32 s3, s3, s7
	s_lshl_b32 s12, s14, 8
	s_load_b32 s17, s[2:3], 0x0
	s_waitcnt lgkmcnt(0)
	s_cmp_ge_i32 s12, s17
	s_cbranch_scc1 .LBB1890_2
; %bb.5:
	s_clause 0x1
	s_load_b128 s[8:11], s[0:1], 0x8
	s_load_b64 s[2:3], s[0:1], 0x20
	s_and_not1_b32 vcc_lo, exec_lo, s13
	s_cbranch_vccnz .LBB1890_7
; %bb.6:
	s_add_u32 s4, s4, s6
	s_addc_u32 s5, s5, s7
	s_load_b32 s13, s[4:5], 0x0
	s_branch .LBB1890_8
.LBB1890_7:
	s_mov_b32 s13, s30
.LBB1890_8:
	s_load_b128 s[4:7], s[0:1], 0x48
	v_and_b32_e32 v65, 15, v0
	v_lshrrev_b32_e32 v66, 5, v0
	v_bfe_u32 v74, v0, 4, 1
	v_and_b32_e32 v67, 31, v0
	v_and_b32_e32 v75, 1, v0
	v_lshlrev_b32_e32 v2, 3, v65
	s_mul_i32 s31, s15, 5
	v_lshl_or_b32 v1, v66, 1, v74
	s_waitcnt lgkmcnt(0)
	s_mov_b32 s7, exec_lo
	v_lshlrev_b32_e32 v73, 1, v2
	s_delay_alu instid0(VALU_DEP_2)
	v_cmpx_gt_u32_e32 5, v1
	s_cbranch_execz .LBB1890_10
; %bb.9:
	s_load_b64 s[18:19], s[0:1], 0x0
	v_add_lshl_u32 v2, v1, s31, 7
	s_mul_hi_i32 s21, s13, s4
	s_mul_i32 s20, s13, s4
	v_lshlrev_b32_e32 v6, 10, v65
	s_lshl_b64 s[20:21], s[20:21], 1
	v_ashrrev_i32_e32 v3, 31, v2
	v_lshlrev_b32_e32 v1, 6, v1
	v_lshlrev_b32_e32 v7, 10, v75
	v_and_b32_e32 v6, 0x3800, v6
	s_delay_alu instid0(VALU_DEP_4) | instskip(NEXT) | instid1(VALU_DEP_2)
	v_lshlrev_b64 v[2:3], 1, v[2:3]
	v_or3_b32 v1, v6, v7, v1
	s_waitcnt lgkmcnt(0)
	s_add_u32 s4, s18, s20
	s_addc_u32 s13, s19, s21
	s_delay_alu instid0(VALU_DEP_2) | instskip(SKIP_1) | instid1(VALU_DEP_2)
	v_add_co_u32 v2, vcc_lo, s4, v2
	v_add_co_ci_u32_e32 v3, vcc_lo, s13, v3, vcc_lo
	v_add_co_u32 v2, vcc_lo, v2, v73
	s_delay_alu instid0(VALU_DEP_2)
	v_add_co_ci_u32_e32 v3, vcc_lo, 0, v3, vcc_lo
	global_load_b128 v[2:5], v[2:3], off
	s_waitcnt vmcnt(0)
	ds_store_b128 v1, v[2:5]
.LBB1890_10:
	s_or_b32 exec_lo, exec_lo, s7
	v_and_b32_e32 v1, 0xef, v0
	s_add_i32 s4, s17, 31
	s_clause 0x1
	s_load_b32 s7, s[0:1], 0x38
	s_load_b32 s18, s[0:1], 0x1c
	s_ashr_i32 s13, s4, 31
	v_add_nc_u32_e32 v2, s12, v1
	s_lshr_b32 s13, s13, 27
	s_waitcnt lgkmcnt(0)
	s_add_i32 s4, s4, s13
	s_barrier
	v_ashrrev_i32_e32 v1, 31, v2
	s_ashr_i32 s4, s4, 5
	v_cmp_gt_i32_e32 vcc_lo, s17, v2
	s_add_i32 s4, s4, -1
	buffer_gl0_inv
	v_lshrrev_b32_e32 v3, 27, v1
	v_or_b32_e32 v1, 16, v2
	s_mul_i32 s15, s15, s6
	s_delay_alu instid0(VALU_DEP_2) | instskip(SKIP_1) | instid1(SALU_CYCLE_1)
	v_add_nc_u32_e32 v4, v2, v3
	s_mul_i32 s20, s30, s7
	s_ashr_i32 s21, s20, 31
	s_delay_alu instid0(VALU_DEP_1) | instskip(SKIP_2) | instid1(SALU_CYCLE_1)
	v_ashrrev_i32_e32 v4, 5, v4
	v_add_nc_u32_e32 v3, v1, v3
	s_lshl_b64 s[20:21], s[20:21], 2
	s_add_u32 s7, s2, s20
	s_delay_alu instid0(VALU_DEP_2) | instskip(NEXT) | instid1(VALU_DEP_2)
	v_cndmask_b32_e32 v2, s4, v4, vcc_lo
	v_ashrrev_i32_e32 v3, 5, v3
	v_cmp_gt_i32_e32 vcc_lo, s17, v1
	s_addc_u32 s13, s3, s21
	s_ashr_i32 s6, s15, 31
	s_add_u32 s2, s8, s15
	s_addc_u32 s3, s9, s6
	v_cndmask_b32_e32 v4, s4, v3, vcc_lo
	v_ashrrev_i32_e32 v3, 31, v2
	s_lshl_b32 s8, s14, 3
	s_delay_alu instid0(SALU_CYCLE_1) | instskip(NEXT) | instid1(VALU_DEP_2)
	s_ashr_i32 s9, s8, 31
	v_ashrrev_i32_e32 v5, 31, v4
	s_delay_alu instid0(VALU_DEP_2) | instskip(SKIP_1) | instid1(SALU_CYCLE_1)
	v_lshlrev_b64 v[1:2], 2, v[2:3]
	s_lshl_b64 s[8:9], s[8:9], 2
	s_add_u32 s8, s7, s8
	s_delay_alu instid0(VALU_DEP_2) | instskip(SKIP_1) | instid1(VALU_DEP_2)
	v_lshlrev_b64 v[3:4], 2, v[4:5]
	s_addc_u32 s9, s13, s9
	v_add_co_u32 v1, vcc_lo, s7, v1
	v_add_co_ci_u32_e32 v2, vcc_lo, s13, v2, vcc_lo
	s_delay_alu instid0(VALU_DEP_3) | instskip(NEXT) | instid1(VALU_DEP_4)
	v_add_co_u32 v3, vcc_lo, s7, v3
	v_add_co_ci_u32_e32 v4, vcc_lo, s13, v4, vcc_lo
	s_clause 0x1
	global_load_b32 v5, v[1:2], off
	global_load_b32 v6, v[3:4], off
	s_or_b32 s16, s12, 32
	s_delay_alu instid0(SALU_CYCLE_1) | instskip(SKIP_2) | instid1(SALU_CYCLE_1)
	s_ashr_i32 s19, s16, 5
	s_cmp_lt_i32 s16, s17
	s_cselect_b32 s20, s19, s4
	s_ashr_i32 s21, s20, 31
	s_delay_alu instid0(SALU_CYCLE_1) | instskip(NEXT) | instid1(SALU_CYCLE_1)
	s_lshl_b64 s[20:21], s[20:21], 2
	s_add_u32 s20, s7, s20
	s_addc_u32 s21, s13, s21
	s_or_b32 s16, s12, 64
	s_delay_alu instid0(SALU_CYCLE_1) | instskip(SKIP_2) | instid1(SALU_CYCLE_1)
	s_ashr_i32 s19, s16, 5
	s_cmp_lt_i32 s16, s17
	s_cselect_b32 s22, s19, s4
	s_ashr_i32 s23, s22, 31
	s_delay_alu instid0(SALU_CYCLE_1) | instskip(NEXT) | instid1(SALU_CYCLE_1)
	s_lshl_b64 s[22:23], s[22:23], 2
	s_add_u32 s22, s7, s22
	s_addc_u32 s23, s13, s23
	;; [unrolled: 10-line block ×5, first 2 shown]
	s_clause 0x5
	s_load_b32 s16, s[8:9], 0x0
	s_load_b32 s19, s[20:21], 0x0
	;; [unrolled: 1-line block ×6, first 2 shown]
	s_mov_b32 s20, 0
	s_delay_alu instid0(SALU_CYCLE_1)
	s_mov_b32 s21, s20
	s_mov_b32 s22, s20
	;; [unrolled: 1-line block ×7, first 2 shown]
	s_delay_alu instid0(SALU_CYCLE_1)
	v_dual_mov_b32 v107, s27 :: v_dual_mov_b32 v106, s26
	v_dual_mov_b32 v105, s25 :: v_dual_mov_b32 v102, s22
	;; [unrolled: 1-line block ×4, first 2 shown]
	s_waitcnt vmcnt(1)
	v_mad_i64_i32 v[1:2], null, v5, s5, s[2:3]
	v_lshlrev_b32_e32 v5, 4, v65
	s_waitcnt vmcnt(0)
	v_mad_i64_i32 v[3:4], null, v6, s5, s[2:3]
	s_or_b32 s2, s12, 0xc0
	s_delay_alu instid0(SALU_CYCLE_1) | instskip(NEXT) | instid1(VALU_DEP_3)
	s_ashr_i32 s3, s2, 5
	v_add_co_u32 v25, vcc_lo, v1, v5
	s_delay_alu instid0(VALU_DEP_4) | instskip(NEXT) | instid1(VALU_DEP_3)
	v_add_co_ci_u32_e32 v26, vcc_lo, 0, v2, vcc_lo
	v_add_co_u32 v27, vcc_lo, v3, v5
	s_delay_alu instid0(VALU_DEP_4)
	v_add_co_ci_u32_e32 v28, vcc_lo, 0, v4, vcc_lo
	s_clause 0xf
	global_load_b128 v[1:4], v[25:26], off
	global_load_b128 v[5:8], v[25:26], off offset:512
	global_load_b128 v[9:12], v[27:28], off offset:256
	;; [unrolled: 1-line block ×15, first 2 shown]
	v_mul_lo_u16 v25, v65, 52
	s_cmp_lt_i32 s2, s17
	v_lshlrev_b32_e32 v26, 5, v65
	s_cselect_b32 s2, s3, s4
	s_delay_alu instid0(VALU_DEP_2) | instskip(SKIP_1) | instid1(VALU_DEP_2)
	v_lshrrev_b16 v25, 8, v25
	s_ashr_i32 s3, s2, 31
	v_lshl_or_b32 v33, v66, 9, v26
	s_lshl_b64 s[2:3], s[2:3], 2
	s_delay_alu instid0(VALU_DEP_2) | instskip(SKIP_3) | instid1(VALU_DEP_1)
	v_mul_lo_u16 v25, v25, 5
	s_add_u32 s2, s7, s2
	s_addc_u32 s3, s13, s3
	s_or_b32 s8, s12, 0xe0
	v_sub_nc_u16 v25, v65, v25
	s_ashr_i32 s9, s8, 5
	s_cmp_lt_i32 s8, s17
	s_cselect_b32 s8, s9, s4
	s_delay_alu instid0(VALU_DEP_1) | instskip(SKIP_1) | instid1(SALU_CYCLE_1)
	v_and_b32_e32 v25, 0xff, v25
	s_ashr_i32 s9, s8, 31
	s_lshl_b64 s[8:9], s[8:9], 2
	s_delay_alu instid0(VALU_DEP_1)
	v_lshlrev_b32_e32 v72, 6, v25
	ds_load_b128 v[25:28], v72
	ds_load_b128 v[29:32], v72 offset:1024
	ds_load_b128 v[108:111], v72 offset:2048
	;; [unrolled: 1-line block ×3, first 2 shown]
	s_load_b32 s4, s[2:3], 0x0
	s_add_u32 s2, s7, s8
	s_addc_u32 s3, s13, s9
	ds_load_b128 v[116:119], v72 offset:4096
	ds_load_b128 v[120:123], v72 offset:5120
	s_load_b32 s2, s[2:3], 0x0
	s_add_u32 s7, s10, s15
	s_addc_u32 s6, s11, s6
	v_add_co_u32 v68, s7, s7, v33
	s_delay_alu instid0(VALU_DEP_1) | instskip(SKIP_1) | instid1(VALU_DEP_1)
	v_add_co_ci_u32_e64 v69, null, s6, 0, s7
	s_waitcnt lgkmcnt(0)
	v_mad_i64_i32 v[33:34], null, s16, s5, v[68:69]
	v_mad_i64_i32 v[70:71], null, s33, s5, v[68:69]
	;; [unrolled: 1-line block ×7, first 2 shown]
	s_clause 0x3
	global_load_b128 v[41:44], v[33:34], off
	global_load_b128 v[45:48], v[33:34], off offset:16
	global_load_b128 v[33:36], v[37:38], off
	global_load_b128 v[37:40], v[37:38], off offset:16
	s_waitcnt vmcnt(18)
	v_wmma_f32_16x16x16_bf16 v[124:131], v[1:8], v[25:32], v[100:107]
	s_waitcnt vmcnt(16)
	v_wmma_f32_16x16x16_bf16 v[100:107], v[9:16], v[25:32], v[100:107]
	s_clause 0x1
	global_load_b128 v[25:28], v[70:71], off
	global_load_b128 v[29:32], v[70:71], off offset:16
	s_waitcnt vmcnt(16)
	v_wmma_f32_16x16x16_bf16 v[124:131], v[17:24], v[108:115], v[124:131]
	s_clause 0x1
	global_load_b128 v[17:20], v[132:133], off
	global_load_b128 v[21:24], v[132:133], off offset:16
	s_waitcnt vmcnt(16)
	v_wmma_f32_16x16x16_bf16 v[100:107], v[49:56], v[108:115], v[100:107]
	v_mad_i64_i32 v[53:54], null, s2, s5, v[68:69]
	s_clause 0x3
	global_load_b128 v[1:4], v[134:135], off
	global_load_b128 v[5:8], v[134:135], off offset:16
	global_load_b128 v[9:12], v[136:137], off
	global_load_b128 v[13:16], v[136:137], off offset:16
	s_waitcnt vmcnt(18)
	v_wmma_f32_16x16x16_bf16 v[124:131], v[57:64], v[116:123], v[124:131]
	s_clause 0x3
	global_load_b128 v[57:60], v[138:139], off
	global_load_b128 v[61:64], v[138:139], off offset:16
	global_load_b128 v[49:52], v[53:54], off
	global_load_b128 v[53:56], v[53:54], off offset:16
	s_waitcnt vmcnt(20)
	v_wmma_f32_16x16x16_bf16 v[100:107], v[76:83], v[116:123], v[100:107]
	ds_load_b128 v[76:79], v72 offset:6144
	ds_load_b128 v[80:83], v72 offset:7168
	v_mbcnt_lo_u32_b32 v69, -1, 0
	s_waitcnt vmcnt(0) lgkmcnt(0)
	s_barrier
	buffer_gl0_inv
	v_xor_b32_e32 v70, 16, v69
	s_delay_alu instid0(VALU_DEP_1) | instskip(SKIP_4) | instid1(VALU_DEP_2)
	v_cmp_gt_i32_e32 vcc_lo, 32, v70
	v_cndmask_b32_e32 v69, v69, v70, vcc_lo
	v_wmma_f32_16x16x16_bf16 v[124:131], v[84:91], v[76:83], v[124:131]
	v_and_b32_e32 v68, 0xe0, v0
	v_wmma_f32_16x16x16_bf16 v[100:107], v[92:99], v[76:83], v[100:107]
	v_dual_mul_f32 v81, s18, v129 :: v_dual_add_nc_u32 v68, s12, v68
	s_delay_alu instid0(VALU_DEP_4) | instskip(NEXT) | instid1(VALU_DEP_3)
	v_dual_mul_f32 v83, s18, v131 :: v_dual_mul_f32 v78, s18, v125
	v_mul_f32_e32 v95, s18, v103
	v_mul_f32_e32 v79, s18, v127
	s_delay_alu instid0(VALU_DEP_4) | instskip(SKIP_3) | instid1(VALU_DEP_4)
	v_or_b32_e32 v68, v68, v74
	v_dual_mul_f32 v80, s18, v126 :: v_dual_mul_f32 v97, s18, v105
	v_dual_mul_f32 v93, s18, v101 :: v_dual_mul_f32 v82, s18, v128
	v_mul_f32_e32 v99, s18, v107
	v_or_b32_e32 v70, 2, v68
	v_or_b32_e32 v71, 4, v68
	;; [unrolled: 1-line block ×3, first 2 shown]
	v_cmp_gt_i32_e64 s2, s17, v68
	v_or_b32_e32 v108, 8, v68
	v_cmp_gt_i32_e32 vcc_lo, s17, v70
	v_mul_f32_e32 v70, s18, v124
	v_or_b32_e32 v109, 10, v68
	v_cmp_gt_i32_e64 s3, s17, v71
	v_cmp_gt_i32_e64 s4, s17, v72
	v_cndmask_b32_e32 v78, 0xff7fffff, v78, vcc_lo
	v_cndmask_b32_e64 v70, 0xff7fffff, v70, s2
	v_or_b32_e32 v84, 12, v68
	v_or_b32_e32 v85, 14, v68
	v_cndmask_b32_e64 v71, 0xff7fffff, v80, s3
	v_cndmask_b32_e64 v72, 0xff7fffff, v79, s4
	v_max3_f32 v70, v70, 0xff7fffff, v78
	v_cmp_gt_i32_e64 s5, s17, v108
	v_cmp_gt_i32_e64 s6, s17, v109
	v_or_b32_e32 v86, 16, v68
	v_or_b32_e32 v87, 18, v68
	;; [unrolled: 1-line block ×3, first 2 shown]
	v_mul_f32_e32 v92, s18, v130
	v_cndmask_b32_e64 v78, 0xff7fffff, v82, s5
	v_cndmask_b32_e64 v79, 0xff7fffff, v81, s6
	v_max3_f32 v70, v70, v71, v72
	v_cmp_gt_i32_e64 s7, s17, v84
	v_cmp_gt_i32_e64 s8, s17, v85
	v_or_b32_e32 v88, 20, v68
	v_mul_f32_e32 v94, s18, v100
	v_max3_f32 v70, v70, v78, v79
	v_cmp_gt_i32_e64 s9, s17, v86
	v_cndmask_b32_e64 v72, 0xff7fffff, v83, s8
	v_cmp_gt_i32_e64 s10, s17, v87
	v_cmp_gt_i32_e64 s12, s17, v89
	v_lshlrev_b32_e32 v89, 2, v69
	v_cndmask_b32_e64 v71, 0xff7fffff, v92, s7
	v_or_b32_e32 v90, 24, v68
	v_or_b32_e32 v91, 26, v68
	v_mul_f32_e32 v96, s18, v102
	v_cndmask_b32_e64 v78, 0xff7fffff, v94, s9
	v_cndmask_b32_e64 v79, 0xff7fffff, v93, s10
	v_max3_f32 v70, v70, v71, v72
	v_cmp_gt_i32_e64 s11, s17, v88
	v_or_b32_e32 v76, 28, v68
	v_or_b32_e32 v77, 30, v68
	v_mul_f32_e32 v98, s18, v104
	v_cndmask_b32_e64 v72, 0xff7fffff, v95, s12
	v_cndmask_b32_e64 v71, 0xff7fffff, v96, s11
	v_max3_f32 v70, v70, v78, v79
	v_cmp_gt_i32_e64 s13, s17, v90
	v_cmp_gt_i32_e64 s15, s17, v91
	v_mul_f32_e32 v68, s18, v106
	v_cmp_gt_i32_e64 s16, s17, v76
	v_max3_f32 v70, v70, v71, v72
	v_cndmask_b32_e64 v78, 0xff7fffff, v98, s13
	v_cndmask_b32_e64 v79, 0xff7fffff, v97, s15
	v_cmp_gt_i32_e64 s17, s17, v77
	v_cndmask_b32_e64 v68, 0xff7fffff, v68, s16
	s_delay_alu instid0(VALU_DEP_3) | instskip(NEXT) | instid1(VALU_DEP_3)
	v_max3_f32 v70, v70, v78, v79
	v_cndmask_b32_e64 v71, 0xff7fffff, v99, s17
	s_delay_alu instid0(VALU_DEP_1) | instskip(SKIP_3) | instid1(VALU_DEP_1)
	v_max3_f32 v68, v70, v68, v71
	ds_bpermute_b32 v69, v89, v68
	s_waitcnt lgkmcnt(0)
	v_max_f32_e32 v69, v69, v69
	v_max_f32_e32 v68, v68, v69
	s_delay_alu instid0(VALU_DEP_1) | instskip(NEXT) | instid1(VALU_DEP_1)
	v_fma_f32 v71, s18, v126, -v68
	v_mul_f32_e32 v71, 0x3fb8aa3b, v71
	s_delay_alu instid0(VALU_DEP_1) | instskip(SKIP_3) | instid1(VALU_DEP_1)
	v_exp_f32_e32 v71, v71
	s_waitcnt_depctr 0xfff
	v_cndmask_b32_e64 v83, 0, v71, s3
	v_fma_f32 v71, s18, v131, -v68
	v_mul_f32_e32 v71, 0x3fb8aa3b, v71
	v_fma_f32 v69, s18, v124, -v68
	v_fma_f32 v76, s18, v128, -v68
	;; [unrolled: 1-line block ×4, first 2 shown]
	v_exp_f32_e32 v71, v71
	v_mul_f32_e32 v69, 0x3fb8aa3b, v69
	v_mul_f32_e32 v77, 0x3fb8aa3b, v76
	v_fma_f32 v81, s18, v105, -v68
	v_fma_f32 v78, s18, v130, -v68
	s_delay_alu instid0(VALU_DEP_4) | instskip(NEXT) | instid1(VALU_DEP_3)
	v_exp_f32_e32 v69, v69
	v_exp_f32_e32 v77, v77
	s_delay_alu instid0(VALU_DEP_2) | instskip(NEXT) | instid1(TRANS32_DEP_3)
	v_mul_f32_e32 v81, 0x3fb8aa3b, v81
	v_cndmask_b32_e64 v88, 0, v71, s8
	v_fma_f32 v71, s18, v104, -v68
	s_delay_alu instid0(VALU_DEP_3) | instskip(NEXT) | instid1(TRANS32_DEP_3)
	v_exp_f32_e32 v81, v81
	v_cndmask_b32_e64 v80, 0, v69, s2
	v_fma_f32 v69, s18, v129, -v68
	v_mul_f32_e32 v70, 0x3fb8aa3b, v70
	s_delay_alu instid0(TRANS32_DEP_2)
	v_cndmask_b32_e64 v86, 0, v77, s5
	v_mul_f32_e32 v72, 0x3fb8aa3b, v72
	v_fma_f32 v77, s18, v101, -v68
	v_mul_f32_e32 v69, 0x3fb8aa3b, v69
	v_exp_f32_e32 v70, v70
	v_mul_f32_e32 v71, 0x3fb8aa3b, v71
	v_exp_f32_e32 v72, v72
	;; [unrolled: 2-line block ×3, first 2 shown]
	v_cmp_gt_u32_e64 s2, 16, v67
	v_exp_f32_e32 v82, v71
	s_delay_alu instid0(VALU_DEP_2) | instskip(SKIP_4) | instid1(TRANS32_DEP_3)
	v_exp_f32_e32 v77, v77
	v_cndmask_b32_e32 v76, 0, v70, vcc_lo
	v_add_f32_e32 v70, 0, v80
	v_cndmask_b32_e64 v85, 0, v72, s4
	v_fma_f32 v72, s18, v100, -v68
	v_cndmask_b32_e64 v87, 0, v69, s6
	s_delay_alu instid0(VALU_DEP_4) | instskip(NEXT) | instid1(VALU_DEP_3)
	v_add_f32_e32 v70, v70, v76
	v_mul_f32_e32 v72, 0x3fb8aa3b, v72
	s_delay_alu instid0(VALU_DEP_2) | instskip(NEXT) | instid1(VALU_DEP_2)
	v_add_f32_e32 v70, v70, v83
	v_exp_f32_e32 v72, v72
	s_delay_alu instid0(VALU_DEP_1) | instskip(NEXT) | instid1(VALU_DEP_1)
	v_add_f32_e32 v70, v70, v85
	v_add_f32_e32 v69, v70, v86
	v_fma_f32 v70, s18, v102, -v68
	s_delay_alu instid0(VALU_DEP_2) | instskip(NEXT) | instid1(VALU_DEP_2)
	v_dual_add_f32 v69, v69, v87 :: v_dual_mul_f32 v78, 0x3fb8aa3b, v78
	v_mul_f32_e32 v70, 0x3fb8aa3b, v70
	s_delay_alu instid0(VALU_DEP_2) | instskip(NEXT) | instid1(VALU_DEP_1)
	v_exp_f32_e32 v78, v78
	v_exp_f32_e32 v79, v70
	s_delay_alu instid0(TRANS32_DEP_3) | instskip(SKIP_4) | instid1(VALU_DEP_2)
	v_cndmask_b32_e64 v70, 0, v72, s9
	s_waitcnt_depctr 0xfff
	v_cndmask_b32_e64 v84, 0, v78, s7
	v_fma_f32 v78, s18, v103, -v68
	v_cndmask_b32_e64 v71, 0, v79, s11
	v_dual_add_f32 v69, v69, v84 :: v_dual_mul_f32 v78, 0x3fb8aa3b, v78
	s_delay_alu instid0(VALU_DEP_1) | instskip(NEXT) | instid1(VALU_DEP_2)
	v_add_f32_e32 v72, v69, v88
	v_exp_f32_e32 v78, v78
	v_cndmask_b32_e64 v69, 0, v77, s10
	v_fma_f32 v77, s18, v106, -v68
	s_delay_alu instid0(VALU_DEP_1) | instskip(NEXT) | instid1(VALU_DEP_1)
	v_dual_add_f32 v72, v72, v70 :: v_dual_mul_f32 v77, 0x3fb8aa3b, v77
	v_add_f32_e32 v79, v72, v69
	s_waitcnt_depctr 0xfff
	v_cndmask_b32_e64 v72, 0, v78, s12
	v_exp_f32_e32 v90, v77
	v_cndmask_b32_e64 v77, 0, v82, s13
	v_add_f32_e32 v78, v79, v71
	v_fma_f32 v79, s18, v107, -v68
	s_delay_alu instid0(VALU_DEP_1) | instskip(SKIP_1) | instid1(VALU_DEP_2)
	v_dual_add_f32 v82, v78, v72 :: v_dual_mul_f32 v79, 0x3fb8aa3b, v79
	v_cndmask_b32_e64 v78, 0, v81, s15
	v_add_f32_e32 v81, v82, v77
	s_delay_alu instid0(VALU_DEP_3) | instskip(NEXT) | instid1(TRANS32_DEP_2)
	v_exp_f32_e32 v82, v79
	v_cndmask_b32_e64 v79, 0, v90, s16
	s_delay_alu instid0(VALU_DEP_2) | instskip(NEXT) | instid1(VALU_DEP_1)
	v_add_f32_e32 v81, v81, v78
	v_add_f32_e32 v90, v81, v79
	s_waitcnt_depctr 0xfff
	v_cndmask_b32_e64 v81, 0, v82, s17
	s_delay_alu instid0(VALU_DEP_1)
	v_add_f32_e32 v82, v90, v81
	ds_bpermute_b32 v89, v89, v82
	s_and_saveexec_b32 s3, s2
	s_cbranch_execz .LBB1890_12
; %bb.11:
	v_mul_u32_u24_e32 v67, 0x44, v66
	s_delay_alu instid0(VALU_DEP_1) | instskip(SKIP_1) | instid1(VALU_DEP_1)
	v_lshl_add_u32 v67, v65, 2, v67
	s_waitcnt lgkmcnt(0)
	v_dual_add_f32 v82, v82, v89 :: v_dual_add_nc_u32 v67, 0x4000, v67
	ds_store_2addr_b32 v67, v68, v82 offset1:136
.LBB1890_12:
	s_or_b32 exec_lo, exec_lo, s3
	v_lshlrev_b32_e32 v67, 2, v65
	s_waitcnt lgkmcnt(0)
	s_barrier
	buffer_gl0_inv
	v_cmp_eq_u32_e32 vcc_lo, 1, v66
	v_add_nc_u32_e32 v82, 0x4000, v67
	v_cmp_eq_u32_e64 s3, 2, v66
	v_cmp_eq_u32_e64 s5, 7, v66
	ds_load_2addr_b32 v[89:90], v82 offset1:17
	ds_load_2addr_b32 v[91:92], v82 offset0:34 offset1:51
	ds_load_2addr_b32 v[93:94], v82 offset0:68 offset1:85
	;; [unrolled: 1-line block ×4, first 2 shown]
	s_waitcnt lgkmcnt(4)
	v_max3_f32 v67, v89, 0xff7fffff, v90
	s_waitcnt lgkmcnt(3)
	s_delay_alu instid0(VALU_DEP_1) | instskip(SKIP_1) | instid1(VALU_DEP_1)
	v_max3_f32 v67, v67, v91, v92
	s_waitcnt lgkmcnt(2)
	v_max3_f32 v67, v67, v93, v94
	s_waitcnt lgkmcnt(1)
	s_delay_alu instid0(VALU_DEP_1) | instskip(NEXT) | instid1(VALU_DEP_1)
	v_max3_f32 v67, v67, v95, v96
	v_sub_f32_e32 v93, v93, v67
	s_delay_alu instid0(VALU_DEP_1) | instskip(NEXT) | instid1(VALU_DEP_1)
	v_dual_sub_f32 v68, v89, v67 :: v_dual_mul_f32 v103, 0x3fb8aa3b, v93
	v_mul_f32_e32 v68, 0x3fb8aa3b, v68
	s_delay_alu instid0(VALU_DEP_1)
	v_exp_f32_e32 v100, v68
	v_sub_f32_e32 v68, v92, v67
	v_sub_f32_e32 v99, v90, v67
	ds_load_2addr_b32 v[89:90], v82 offset0:170 offset1:187
	v_dual_mul_f32 v102, 0x3fb8aa3b, v68 :: v_dual_mul_f32 v99, 0x3fb8aa3b, v99
	s_waitcnt lgkmcnt(1)
	v_fma_f32 v68, v100, v97, 0
	s_delay_alu instid0(VALU_DEP_2) | instskip(NEXT) | instid1(VALU_DEP_2)
	v_exp_f32_e32 v102, v102
	v_exp_f32_e32 v99, v99
	s_waitcnt_depctr 0xfff
	v_fmac_f32_e32 v68, v99, v98
	v_sub_f32_e32 v91, v91, v67
	s_delay_alu instid0(VALU_DEP_1)
	v_mul_f32_e32 v101, 0x3fb8aa3b, v91
	ds_load_2addr_b32 v[91:92], v82 offset0:204 offset1:221
	v_sub_f32_e32 v97, v94, v67
	ds_load_2addr_b32 v[93:94], v82 offset0:238 offset1:255
	s_waitcnt lgkmcnt(0)
	v_exp_f32_e32 v101, v101
	s_barrier
	buffer_gl0_inv
	v_dual_fmac_f32 v68, v101, v89 :: v_dual_sub_f32 v89, v96, v67
	v_dual_sub_f32 v82, v95, v67 :: v_dual_mul_f32 v95, 0x3fb8aa3b, v97
	v_exp_f32_e32 v97, v103
	s_delay_alu instid0(VALU_DEP_2) | instskip(NEXT) | instid1(VALU_DEP_2)
	v_dual_fmac_f32 v68, v102, v90 :: v_dual_mul_f32 v89, 0x3fb8aa3b, v89
	v_mul_f32_e32 v82, 0x3fb8aa3b, v82
	s_delay_alu instid0(VALU_DEP_3) | instskip(NEXT) | instid1(VALU_DEP_2)
	v_exp_f32_e32 v95, v95
	v_exp_f32_e32 v89, v89
	s_delay_alu instid0(VALU_DEP_1)
	v_exp_f32_e32 v82, v82
	v_fmac_f32_e32 v68, v97, v91
	s_delay_alu instid0(TRANS32_DEP_3) | instid1(VALU_DEP_1)
	v_fmac_f32_e32 v68, v95, v92
	s_waitcnt_depctr 0xfff
	v_fmac_f32_e32 v68, v82, v93
	s_delay_alu instid0(VALU_DEP_1) | instskip(NEXT) | instid1(VALU_DEP_1)
	v_fmac_f32_e32 v68, v89, v94
	v_add_f32_e32 v90, 0x358637bd, v68
	s_delay_alu instid0(VALU_DEP_1) | instskip(NEXT) | instid1(VALU_DEP_1)
	v_div_scale_f32 v91, null, v90, v90, 1.0
	v_rcp_f32_e32 v92, v91
	s_waitcnt_depctr 0xfff
	v_fma_f32 v93, -v91, v92, 1.0
	s_delay_alu instid0(VALU_DEP_1) | instskip(SKIP_1) | instid1(VALU_DEP_2)
	v_dual_fmac_f32 v92, v93, v92 :: v_dual_cndmask_b32 v93, v100, v99
	v_cmp_eq_u32_e32 vcc_lo, 3, v66
	v_cndmask_b32_e64 v93, v93, v101, s3
	v_cmp_eq_u32_e64 s3, 4, v66
	s_delay_alu instid0(VALU_DEP_2) | instskip(SKIP_1) | instid1(VALU_DEP_2)
	v_cndmask_b32_e32 v93, v93, v102, vcc_lo
	v_cmp_eq_u32_e32 vcc_lo, 5, v66
	v_cndmask_b32_e64 v93, v93, v97, s3
	v_cmp_eq_u32_e64 s3, 6, v66
	s_delay_alu instid0(VALU_DEP_2) | instskip(SKIP_1) | instid1(VALU_DEP_1)
	v_cndmask_b32_e32 v93, v93, v95, vcc_lo
	v_div_scale_f32 v94, s4, 1.0, v90, 1.0
	s_mov_b32 vcc_lo, s4
	s_delay_alu instid0(VALU_DEP_2) | instskip(NEXT) | instid1(VALU_DEP_2)
	v_cndmask_b32_e64 v82, v93, v82, s3
	v_mul_f32_e32 v96, v94, v92
	s_mov_b32 s3, exec_lo
	s_delay_alu instid0(VALU_DEP_2) | instskip(NEXT) | instid1(VALU_DEP_2)
	v_cndmask_b32_e64 v82, v82, v89, s5
	v_fma_f32 v98, -v91, v96, v94
	s_delay_alu instid0(VALU_DEP_1) | instskip(NEXT) | instid1(VALU_DEP_1)
	v_fmac_f32_e32 v96, v98, v92
	v_fma_f32 v91, -v91, v96, v94
	s_delay_alu instid0(VALU_DEP_1) | instskip(NEXT) | instid1(VALU_DEP_1)
	v_div_fmas_f32 v91, v91, v92, v96
	v_div_fixup_f32 v90, v91, v90, 1.0
	s_delay_alu instid0(VALU_DEP_1) | instskip(NEXT) | instid1(VALU_DEP_1)
	v_mul_f32_e32 v82, v82, v90
	v_mul_f32_e32 v87, v82, v87
	;; [unrolled: 1-line block ×7, first 2 shown]
	v_dual_mul_f32 v86, v82, v83 :: v_dual_and_b32 v91, 0x7f800000, v90
	v_mul_f32_e32 v85, v82, v76
                                        ; implicit-def: $vgpr76
	s_delay_alu instid0(VALU_DEP_2)
	v_cmpx_ne_u32_e32 0x7f800000, v91
	s_xor_b32 s3, exec_lo, s3
; %bb.13:
	v_bfe_u32 v76, v90, 16, 1
	s_delay_alu instid0(VALU_DEP_1)
	v_add3_u32 v76, v90, v76, 0x7fff
                                        ; implicit-def: $vgpr90
; %bb.14:
	s_and_not1_saveexec_b32 s3, s3
; %bb.15:
	v_and_b32_e32 v76, 0xffff, v90
	v_or_b32_e32 v83, 0x10000, v90
	s_delay_alu instid0(VALU_DEP_2) | instskip(NEXT) | instid1(VALU_DEP_2)
	v_cmp_eq_u32_e32 vcc_lo, 0, v76
	v_cndmask_b32_e32 v76, v83, v90, vcc_lo
; %bb.16:
	s_or_b32 exec_lo, exec_lo, s3
	v_and_b32_e32 v83, 0x7f800000, v85
	s_delay_alu instid0(VALU_DEP_1) | instskip(SKIP_1) | instid1(SALU_CYCLE_1)
	v_cmp_ne_u32_e32 vcc_lo, 0x7f800000, v83
                                        ; implicit-def: $vgpr83
	s_and_saveexec_b32 s3, vcc_lo
	s_xor_b32 s3, exec_lo, s3
; %bb.17:
	v_bfe_u32 v83, v85, 16, 1
	s_delay_alu instid0(VALU_DEP_1)
	v_add3_u32 v83, v85, v83, 0x7fff
                                        ; implicit-def: $vgpr85
; %bb.18:
	s_and_not1_saveexec_b32 s3, s3
; %bb.19:
	v_and_b32_e32 v83, 0xffff, v85
	v_or_b32_e32 v90, 0x10000, v85
	s_delay_alu instid0(VALU_DEP_2) | instskip(NEXT) | instid1(VALU_DEP_2)
	v_cmp_eq_u32_e32 vcc_lo, 0, v83
	v_cndmask_b32_e32 v83, v90, v85, vcc_lo
; %bb.20:
	s_or_b32 exec_lo, exec_lo, s3
	v_and_b32_e32 v85, 0x7f800000, v86
	s_delay_alu instid0(VALU_DEP_1) | instskip(SKIP_1) | instid1(SALU_CYCLE_1)
	v_cmp_ne_u32_e32 vcc_lo, 0x7f800000, v85
                                        ; implicit-def: $vgpr85
	s_and_saveexec_b32 s3, vcc_lo
	s_xor_b32 s3, exec_lo, s3
; %bb.21:
	v_bfe_u32 v85, v86, 16, 1
	s_delay_alu instid0(VALU_DEP_1)
	v_add3_u32 v85, v86, v85, 0x7fff
                                        ; implicit-def: $vgpr86
; %bb.22:
	s_and_not1_saveexec_b32 s3, s3
; %bb.23:
	v_and_b32_e32 v85, 0xffff, v86
	v_or_b32_e32 v90, 0x10000, v86
	s_delay_alu instid0(VALU_DEP_2) | instskip(NEXT) | instid1(VALU_DEP_2)
	v_cmp_eq_u32_e32 vcc_lo, 0, v85
	v_cndmask_b32_e32 v85, v90, v86, vcc_lo
; %bb.24:
	s_or_b32 exec_lo, exec_lo, s3
	v_and_b32_e32 v86, 0x7f800000, v89
	s_delay_alu instid0(VALU_DEP_1) | instskip(SKIP_1) | instid1(SALU_CYCLE_1)
	v_cmp_ne_u32_e32 vcc_lo, 0x7f800000, v86
                                        ; implicit-def: $vgpr86
	s_and_saveexec_b32 s3, vcc_lo
	s_xor_b32 s3, exec_lo, s3
; %bb.25:
	v_bfe_u32 v86, v89, 16, 1
	s_delay_alu instid0(VALU_DEP_1)
	v_add3_u32 v86, v89, v86, 0x7fff
                                        ; implicit-def: $vgpr89
; %bb.26:
	s_and_not1_saveexec_b32 s3, s3
; %bb.27:
	v_and_b32_e32 v86, 0xffff, v89
	v_or_b32_e32 v90, 0x10000, v89
	s_delay_alu instid0(VALU_DEP_2) | instskip(NEXT) | instid1(VALU_DEP_2)
	v_cmp_eq_u32_e32 vcc_lo, 0, v86
	v_cndmask_b32_e32 v86, v90, v89, vcc_lo
; %bb.28:
	s_or_b32 exec_lo, exec_lo, s3
	v_and_b32_e32 v89, 0x7f800000, v88
	s_delay_alu instid0(VALU_DEP_1) | instskip(SKIP_1) | instid1(SALU_CYCLE_1)
	v_cmp_ne_u32_e32 vcc_lo, 0x7f800000, v89
                                        ; implicit-def: $vgpr89
	s_and_saveexec_b32 s3, vcc_lo
	s_xor_b32 s3, exec_lo, s3
; %bb.29:
	v_bfe_u32 v89, v88, 16, 1
	s_delay_alu instid0(VALU_DEP_1)
	v_add3_u32 v89, v88, v89, 0x7fff
                                        ; implicit-def: $vgpr88
; %bb.30:
	s_and_not1_saveexec_b32 s3, s3
; %bb.31:
	v_and_b32_e32 v89, 0xffff, v88
	v_or_b32_e32 v90, 0x10000, v88
	s_delay_alu instid0(VALU_DEP_2) | instskip(NEXT) | instid1(VALU_DEP_2)
	v_cmp_eq_u32_e32 vcc_lo, 0, v89
	v_cndmask_b32_e32 v89, v90, v88, vcc_lo
; %bb.32:
	s_or_b32 exec_lo, exec_lo, s3
	v_and_b32_e32 v88, 0x7f800000, v87
	s_delay_alu instid0(VALU_DEP_1) | instskip(SKIP_1) | instid1(SALU_CYCLE_1)
	v_cmp_ne_u32_e32 vcc_lo, 0x7f800000, v88
                                        ; implicit-def: $vgpr88
	s_and_saveexec_b32 s3, vcc_lo
	s_xor_b32 s3, exec_lo, s3
; %bb.33:
	v_bfe_u32 v88, v87, 16, 1
	s_delay_alu instid0(VALU_DEP_1)
	v_add3_u32 v88, v87, v88, 0x7fff
                                        ; implicit-def: $vgpr87
; %bb.34:
	s_and_not1_saveexec_b32 s3, s3
; %bb.35:
	v_and_b32_e32 v88, 0xffff, v87
	v_or_b32_e32 v90, 0x10000, v87
	s_delay_alu instid0(VALU_DEP_2) | instskip(NEXT) | instid1(VALU_DEP_2)
	v_cmp_eq_u32_e32 vcc_lo, 0, v88
	v_cndmask_b32_e32 v88, v90, v87, vcc_lo
; %bb.36:
	s_or_b32 exec_lo, exec_lo, s3
	v_and_b32_e32 v87, 0x7f800000, v84
	s_delay_alu instid0(VALU_DEP_1) | instskip(SKIP_1) | instid1(SALU_CYCLE_1)
	v_cmp_ne_u32_e32 vcc_lo, 0x7f800000, v87
                                        ; implicit-def: $vgpr87
	s_and_saveexec_b32 s3, vcc_lo
	s_xor_b32 s3, exec_lo, s3
; %bb.37:
	v_bfe_u32 v87, v84, 16, 1
	s_delay_alu instid0(VALU_DEP_1)
	v_add3_u32 v87, v84, v87, 0x7fff
                                        ; implicit-def: $vgpr84
; %bb.38:
	s_and_not1_saveexec_b32 s3, s3
; %bb.39:
	v_and_b32_e32 v87, 0xffff, v84
	v_or_b32_e32 v90, 0x10000, v84
	s_delay_alu instid0(VALU_DEP_2) | instskip(NEXT) | instid1(VALU_DEP_2)
	v_cmp_eq_u32_e32 vcc_lo, 0, v87
	v_cndmask_b32_e32 v87, v90, v84, vcc_lo
; %bb.40:
	s_or_b32 exec_lo, exec_lo, s3
	v_and_b32_e32 v84, 0x7f800000, v80
	s_delay_alu instid0(VALU_DEP_1) | instskip(SKIP_1) | instid1(SALU_CYCLE_1)
	v_cmp_ne_u32_e32 vcc_lo, 0x7f800000, v84
                                        ; implicit-def: $vgpr84
	s_and_saveexec_b32 s3, vcc_lo
	s_xor_b32 s3, exec_lo, s3
; %bb.41:
	v_bfe_u32 v84, v80, 16, 1
	s_delay_alu instid0(VALU_DEP_1)
	v_add3_u32 v84, v80, v84, 0x7fff
                                        ; implicit-def: $vgpr80
; %bb.42:
	s_and_not1_saveexec_b32 s3, s3
; %bb.43:
	v_and_b32_e32 v84, 0xffff, v80
	v_or_b32_e32 v90, 0x10000, v80
	s_delay_alu instid0(VALU_DEP_2) | instskip(NEXT) | instid1(VALU_DEP_2)
	v_cmp_eq_u32_e32 vcc_lo, 0, v84
	v_cndmask_b32_e32 v84, v90, v80, vcc_lo
; %bb.44:
	s_or_b32 exec_lo, exec_lo, s3
	s_load_b64 s[34:35], s[0:1], 0x94
	v_lshlrev_b32_e32 v91, 4, v74
	s_delay_alu instid0(VALU_DEP_2)
	v_perm_b32 v90, v84, v87, 0x7060302
	v_dual_mul_f32 v79, v82, v79 :: v_dual_lshlrev_b32 v80, 6, v65
	v_dual_mul_f32 v77, v82, v77 :: v_dual_lshlrev_b32 v92, 11, v66
	v_mul_f32_e32 v84, v82, v70
	v_perm_b32 v89, v88, v89, 0x7060302
	v_perm_b32 v88, v86, v85, 0x7060302
	;; [unrolled: 1-line block ×3, first 2 shown]
	v_mul_f32_e32 v70, v82, v81
	v_or3_b32 v76, v91, v92, v80
	v_dual_mul_f32 v78, v82, v78 :: v_dual_and_b32 v85, 0x7f800000, v84
	v_mul_f32_e32 v83, v82, v72
	v_mul_f32_e32 v81, v82, v71
	;; [unrolled: 1-line block ×3, first 2 shown]
	s_mov_b32 s3, exec_lo
	ds_store_b128 v76, v[87:90]
                                        ; implicit-def: $vgpr69
	v_cmpx_ne_u32_e32 0x7f800000, v85
	s_xor_b32 s3, exec_lo, s3
; %bb.45:
	v_bfe_u32 v69, v84, 16, 1
	s_delay_alu instid0(VALU_DEP_1)
	v_add3_u32 v69, v84, v69, 0x7fff
                                        ; implicit-def: $vgpr84
; %bb.46:
	s_and_not1_saveexec_b32 s3, s3
; %bb.47:
	v_and_b32_e32 v69, 0xffff, v84
	v_or_b32_e32 v71, 0x10000, v84
	s_delay_alu instid0(VALU_DEP_2) | instskip(NEXT) | instid1(VALU_DEP_2)
	v_cmp_eq_u32_e32 vcc_lo, 0, v69
	v_cndmask_b32_e32 v69, v71, v84, vcc_lo
; %bb.48:
	s_or_b32 exec_lo, exec_lo, s3
	v_and_b32_e32 v71, 0x7f800000, v72
	s_delay_alu instid0(VALU_DEP_1) | instskip(SKIP_1) | instid1(SALU_CYCLE_1)
	v_cmp_ne_u32_e32 vcc_lo, 0x7f800000, v71
                                        ; implicit-def: $vgpr71
	s_and_saveexec_b32 s3, vcc_lo
	s_xor_b32 s3, exec_lo, s3
; %bb.49:
	v_bfe_u32 v71, v72, 16, 1
	s_delay_alu instid0(VALU_DEP_1)
	v_add3_u32 v71, v72, v71, 0x7fff
                                        ; implicit-def: $vgpr72
; %bb.50:
	s_and_not1_saveexec_b32 s3, s3
; %bb.51:
	v_and_b32_e32 v71, 0xffff, v72
	v_or_b32_e32 v82, 0x10000, v72
	s_delay_alu instid0(VALU_DEP_2) | instskip(NEXT) | instid1(VALU_DEP_2)
	v_cmp_eq_u32_e32 vcc_lo, 0, v71
	v_cndmask_b32_e32 v71, v82, v72, vcc_lo
; %bb.52:
	s_or_b32 exec_lo, exec_lo, s3
	v_and_b32_e32 v72, 0x7f800000, v81
	s_delay_alu instid0(VALU_DEP_1) | instskip(SKIP_1) | instid1(SALU_CYCLE_1)
	v_cmp_ne_u32_e32 vcc_lo, 0x7f800000, v72
                                        ; implicit-def: $vgpr72
	s_and_saveexec_b32 s3, vcc_lo
	s_xor_b32 s3, exec_lo, s3
; %bb.53:
	v_bfe_u32 v72, v81, 16, 1
	s_delay_alu instid0(VALU_DEP_1)
	v_add3_u32 v72, v81, v72, 0x7fff
                                        ; implicit-def: $vgpr81
; %bb.54:
	s_and_not1_saveexec_b32 s3, s3
; %bb.55:
	v_and_b32_e32 v72, 0xffff, v81
	v_or_b32_e32 v82, 0x10000, v81
	s_delay_alu instid0(VALU_DEP_2) | instskip(NEXT) | instid1(VALU_DEP_2)
	v_cmp_eq_u32_e32 vcc_lo, 0, v72
	v_cndmask_b32_e32 v72, v82, v81, vcc_lo
; %bb.56:
	s_or_b32 exec_lo, exec_lo, s3
	v_and_b32_e32 v81, 0x7f800000, v83
	s_delay_alu instid0(VALU_DEP_1) | instskip(SKIP_1) | instid1(SALU_CYCLE_1)
	v_cmp_ne_u32_e32 vcc_lo, 0x7f800000, v81
                                        ; implicit-def: $vgpr81
	s_and_saveexec_b32 s3, vcc_lo
	s_xor_b32 s3, exec_lo, s3
; %bb.57:
	v_bfe_u32 v81, v83, 16, 1
	s_delay_alu instid0(VALU_DEP_1)
	v_add3_u32 v81, v83, v81, 0x7fff
                                        ; implicit-def: $vgpr83
; %bb.58:
	s_and_not1_saveexec_b32 s3, s3
; %bb.59:
	v_and_b32_e32 v81, 0xffff, v83
	v_or_b32_e32 v82, 0x10000, v83
	s_delay_alu instid0(VALU_DEP_2) | instskip(NEXT) | instid1(VALU_DEP_2)
	v_cmp_eq_u32_e32 vcc_lo, 0, v81
	v_cndmask_b32_e32 v81, v82, v83, vcc_lo
; %bb.60:
	s_or_b32 exec_lo, exec_lo, s3
	v_and_b32_e32 v82, 0x7f800000, v77
	s_delay_alu instid0(VALU_DEP_1) | instskip(SKIP_1) | instid1(SALU_CYCLE_1)
	v_cmp_ne_u32_e32 vcc_lo, 0x7f800000, v82
                                        ; implicit-def: $vgpr82
	s_and_saveexec_b32 s3, vcc_lo
	s_xor_b32 s3, exec_lo, s3
; %bb.61:
	v_bfe_u32 v82, v77, 16, 1
	s_delay_alu instid0(VALU_DEP_1)
	v_add3_u32 v82, v77, v82, 0x7fff
                                        ; implicit-def: $vgpr77
; %bb.62:
	s_and_not1_saveexec_b32 s3, s3
; %bb.63:
	v_and_b32_e32 v82, 0xffff, v77
	v_or_b32_e32 v83, 0x10000, v77
	s_delay_alu instid0(VALU_DEP_2) | instskip(NEXT) | instid1(VALU_DEP_2)
	v_cmp_eq_u32_e32 vcc_lo, 0, v82
	v_cndmask_b32_e32 v82, v83, v77, vcc_lo
; %bb.64:
	s_or_b32 exec_lo, exec_lo, s3
	v_and_b32_e32 v77, 0x7f800000, v78
	s_delay_alu instid0(VALU_DEP_1) | instskip(SKIP_1) | instid1(SALU_CYCLE_1)
	v_cmp_ne_u32_e32 vcc_lo, 0x7f800000, v77
                                        ; implicit-def: $vgpr77
	s_and_saveexec_b32 s3, vcc_lo
	s_xor_b32 s3, exec_lo, s3
; %bb.65:
	v_bfe_u32 v77, v78, 16, 1
	s_delay_alu instid0(VALU_DEP_1)
	v_add3_u32 v77, v78, v77, 0x7fff
                                        ; implicit-def: $vgpr78
; %bb.66:
	s_and_not1_saveexec_b32 s3, s3
; %bb.67:
	v_and_b32_e32 v77, 0xffff, v78
	v_or_b32_e32 v83, 0x10000, v78
	s_delay_alu instid0(VALU_DEP_2) | instskip(NEXT) | instid1(VALU_DEP_2)
	v_cmp_eq_u32_e32 vcc_lo, 0, v77
	v_cndmask_b32_e32 v77, v83, v78, vcc_lo
; %bb.68:
	s_or_b32 exec_lo, exec_lo, s3
	v_and_b32_e32 v78, 0x7f800000, v79
	s_delay_alu instid0(VALU_DEP_1) | instskip(SKIP_1) | instid1(SALU_CYCLE_1)
	v_cmp_ne_u32_e32 vcc_lo, 0x7f800000, v78
                                        ; implicit-def: $vgpr78
	s_and_saveexec_b32 s3, vcc_lo
	s_xor_b32 s3, exec_lo, s3
; %bb.69:
	v_bfe_u32 v78, v79, 16, 1
	s_delay_alu instid0(VALU_DEP_1)
	v_add3_u32 v78, v79, v78, 0x7fff
                                        ; implicit-def: $vgpr79
; %bb.70:
	s_and_not1_saveexec_b32 s3, s3
; %bb.71:
	v_and_b32_e32 v78, 0xffff, v79
	v_or_b32_e32 v83, 0x10000, v79
	s_delay_alu instid0(VALU_DEP_2) | instskip(NEXT) | instid1(VALU_DEP_2)
	v_cmp_eq_u32_e32 vcc_lo, 0, v78
	v_cndmask_b32_e32 v78, v83, v79, vcc_lo
; %bb.72:
	s_or_b32 exec_lo, exec_lo, s3
	v_and_b32_e32 v79, 0x7f800000, v70
	s_delay_alu instid0(VALU_DEP_1) | instskip(SKIP_1) | instid1(SALU_CYCLE_1)
	v_cmp_ne_u32_e32 vcc_lo, 0x7f800000, v79
                                        ; implicit-def: $vgpr79
	s_and_saveexec_b32 s3, vcc_lo
	s_xor_b32 s3, exec_lo, s3
; %bb.73:
	v_bfe_u32 v79, v70, 16, 1
	s_delay_alu instid0(VALU_DEP_1)
	v_add3_u32 v79, v70, v79, 0x7fff
                                        ; implicit-def: $vgpr70
; %bb.74:
	s_and_not1_saveexec_b32 s3, s3
; %bb.75:
	v_and_b32_e32 v79, 0xffff, v70
	v_or_b32_e32 v83, 0x10000, v70
	s_delay_alu instid0(VALU_DEP_2) | instskip(NEXT) | instid1(VALU_DEP_2)
	v_cmp_eq_u32_e32 vcc_lo, 0, v79
	v_cndmask_b32_e32 v79, v83, v70, vcc_lo
; %bb.76:
	s_or_b32 exec_lo, exec_lo, s3
	s_delay_alu instid0(VALU_DEP_1)
	v_perm_b32 v86, v79, v78, 0x7060302
	v_perm_b32 v85, v77, v82, 0x7060302
	;; [unrolled: 1-line block ×4, first 2 shown]
	v_lshl_or_b32 v82, v66, 11, v80
	ds_store_b128 v76, v[83:86] offset:1024
	s_waitcnt lgkmcnt(0)
	s_barrier
	buffer_gl0_inv
	ds_load_b128 v[69:72], v82
	ds_load_b128 v[83:86], v82 offset:16
	s_waitcnt lgkmcnt(1)
	v_lshrrev_b32_e32 v66, 16, v69
	s_waitcnt lgkmcnt(0)
	v_lshrrev_b32_e32 v91, 16, v83
	v_lshlrev_b32_e32 v78, 2, v74
	v_lshrrev_b32_e32 v95, 16, v70
	v_lshrrev_b32_e32 v98, 16, v84
	;; [unrolled: 1-line block ×4, first 2 shown]
	v_cmp_eq_u32_e32 vcc_lo, 1, v78
	v_lshrrev_b32_e32 v97, 16, v72
	v_lshrrev_b32_e32 v100, 16, v86
	v_cndmask_b32_e32 v87, v83, v91, vcc_lo
	v_or_b32_e32 v79, 1, v78
	v_cndmask_b32_e32 v81, v69, v66, vcc_lo
	v_cmp_eq_u32_e64 s4, 2, v78
	v_cmp_eq_u32_e64 s7, 3, v78
	;; [unrolled: 1-line block ×5, first 2 shown]
	v_cndmask_b32_e64 v81, v81, v70, s4
	v_cndmask_b32_e64 v87, v87, v84, s4
	v_cmp_eq_u32_e64 s8, 3, v79
	v_cndmask_b32_e64 v88, v69, v66, s3
	v_or_b32_e32 v77, 2, v78
	v_cndmask_b32_e64 v81, v81, v95, s7
	v_cndmask_b32_e64 v87, v87, v98, s7
	v_cndmask_b32_e64 v89, v83, v91, s3
	v_cndmask_b32_e64 v88, v88, v70, s6
	v_cmp_eq_u32_e64 s10, 5, v78
	v_cndmask_b32_e64 v81, v81, v71, s9
	v_cndmask_b32_e64 v87, v87, v85, s9
	v_cmp_eq_u32_e64 s11, 4, v79
	v_cndmask_b32_e64 v88, v88, v95, s8
	v_cmp_eq_u32_e64 s5, 1, v77
	v_cndmask_b32_e64 v89, v89, v84, s6
	v_cndmask_b32_e64 v81, v81, v96, s10
	v_cmp_eq_u32_e64 s12, 6, v78
	v_cndmask_b32_e64 v88, v88, v71, s11
	;; [unrolled: 3-line block ×3, first 2 shown]
	v_cndmask_b32_e64 v89, v89, v98, s8
	v_cndmask_b32_e64 v81, v81, v72, s12
	v_cmp_eq_u32_e64 s15, 7, v78
	v_cndmask_b32_e64 v88, v88, v96, s13
	v_cndmask_b32_e64 v87, v87, v86, s12
	v_cmp_eq_u32_e64 s16, 6, v79
	v_cmp_eq_u32_e64 s17, 2, v77
	v_cndmask_b32_e64 v89, v89, v85, s11
	v_cndmask_b32_e64 v101, v81, v97, s15
	;; [unrolled: 1-line block ×6, first 2 shown]
	v_cmp_eq_u32_e64 s18, 7, v79
	v_cmp_eq_u32_e64 s19, 3, v77
	;; [unrolled: 1-line block ×4, first 2 shown]
	v_cndmask_b32_e64 v87, v87, v84, s17
	v_cndmask_b32_e64 v103, v88, v97, s18
	;; [unrolled: 1-line block ×4, first 2 shown]
	v_or_b32_e32 v81, 3, v78
	v_cndmask_b32_e64 v93, v87, v98, s19
	v_cmp_eq_u32_e64 s24, 6, v77
	v_cndmask_b32_e64 v104, v88, v86, s16
	v_cndmask_b32_e64 v92, v89, v71, s20
	v_cmp_eq_u32_e64 s21, 1, v81
	ds_load_b128 v[87:90], v82 offset:1024
	v_cmp_eq_u32_e64 s23, 2, v81
	v_cmp_eq_u32_e64 s25, 3, v81
	v_cndmask_b32_e64 v105, v92, v96, s22
	v_cndmask_b32_e64 v66, v69, v66, s21
	;; [unrolled: 1-line block ×4, first 2 shown]
	ds_load_b128 v[91:94], v82 offset:1040
	v_cmp_eq_u32_e64 s26, 4, v81
	v_cndmask_b32_e64 v66, v66, v70, s23
	v_cmp_eq_u32_e64 s27, 7, v77
	v_cndmask_b32_e64 v70, v83, v84, s23
	v_cndmask_b32_e64 v84, v105, v72, s24
	v_cmp_eq_u32_e64 s28, 5, v81
	v_cndmask_b32_e64 v66, v66, v95, s25
	v_cmp_eq_u32_e64 s29, 6, v81
	v_cndmask_b32_e64 v70, v70, v98, s25
	v_cndmask_b32_e64 v69, v69, v99, s22
	;; [unrolled: 1-line block ×4, first 2 shown]
	s_waitcnt lgkmcnt(1)
	v_lshrrev_b32_e32 v95, 16, v87
	v_cndmask_b32_e64 v70, v70, v85, s26
	v_cndmask_b32_e64 v71, v84, v97, s27
	;; [unrolled: 1-line block ×4, first 2 shown]
	v_cndmask_b32_e32 v84, v87, v95, vcc_lo
	v_cndmask_b32_e64 v70, v70, v99, s28
	s_waitcnt lgkmcnt(0)
	v_lshrrev_b32_e32 v85, 16, v91
	v_lshrrev_b32_e32 v96, 16, v88
	v_cndmask_b32_e64 v98, v87, v95, s3
	v_cndmask_b32_e64 v84, v84, v88, s4
	;; [unrolled: 1-line block ×3, first 2 shown]
	v_cndmask_b32_e32 v99, v91, v85, vcc_lo
	v_cmp_eq_u32_e32 vcc_lo, 7, v81
	v_cndmask_b32_e64 v66, v66, v72, s29
	v_cndmask_b32_e64 v72, v84, v96, s7
	;; [unrolled: 1-line block ×3, first 2 shown]
	v_lshrrev_b32_e32 v98, 16, v92
	v_cndmask_b32_e32 v70, v70, v100, vcc_lo
	v_cndmask_b32_e64 v86, v99, v92, s4
	v_cndmask_b32_e64 v69, v69, v100, s27
	v_lshrrev_b32_e32 v100, 16, v93
	v_cndmask_b32_e64 v72, v72, v89, s9
	v_lshrrev_b32_e32 v99, 16, v89
	v_cndmask_b32_e64 v86, v86, v98, s7
	v_perm_b32 v71, v69, v71, 0x5040100
	v_cndmask_b32_e64 v84, v84, v96, s8
	s_delay_alu instid0(VALU_DEP_3) | instskip(NEXT) | instid1(VALU_DEP_2)
	v_cndmask_b32_e64 v86, v86, v93, s9
	v_cndmask_b32_e64 v84, v84, v89, s11
	s_delay_alu instid0(VALU_DEP_2) | instskip(NEXT) | instid1(VALU_DEP_1)
	v_cndmask_b32_e64 v86, v86, v100, s10
	v_cndmask_b32_e64 v69, v86, v94, s12
	;; [unrolled: 1-line block ×5, first 2 shown]
	s_delay_alu instid0(VALU_DEP_3) | instskip(NEXT) | instid1(VALU_DEP_3)
	v_cndmask_b32_e64 v86, v86, v88, s17
	v_cndmask_b32_e64 v87, v87, v88, s23
	s_delay_alu instid0(VALU_DEP_3) | instskip(NEXT) | instid1(VALU_DEP_3)
	v_cndmask_b32_e64 v88, v95, v92, s23
	v_cndmask_b32_e64 v86, v86, v96, s19
	s_delay_alu instid0(VALU_DEP_3) | instskip(NEXT) | instid1(VALU_DEP_3)
	v_cndmask_b32_e64 v87, v87, v96, s25
	v_cndmask_b32_e64 v88, v88, v98, s25
	s_delay_alu instid0(VALU_DEP_3) | instskip(NEXT) | instid1(VALU_DEP_3)
	v_cndmask_b32_e64 v86, v86, v89, s20
	v_cndmask_b32_e64 v87, v87, v89, s26
	s_delay_alu instid0(VALU_DEP_3) | instskip(NEXT) | instid1(VALU_DEP_3)
	v_cndmask_b32_e64 v88, v88, v93, s26
	v_cndmask_b32_e64 v86, v86, v99, s22
	s_delay_alu instid0(VALU_DEP_3) | instskip(NEXT) | instid1(VALU_DEP_3)
	v_cndmask_b32_e64 v87, v87, v99, s28
	v_cndmask_b32_e64 v88, v88, v100, s28
	s_delay_alu instid0(VALU_DEP_3) | instskip(NEXT) | instid1(VALU_DEP_3)
	v_cndmask_b32_e64 v86, v86, v90, s24
	v_cndmask_b32_e64 v87, v87, v90, s29
	s_delay_alu instid0(VALU_DEP_3) | instskip(SKIP_2) | instid1(VALU_DEP_2)
	v_cndmask_b32_e64 v88, v88, v94, s29
	v_cndmask_b32_e32 v66, v66, v97, vcc_lo
	v_cndmask_b32_e64 v97, v72, v99, s10
	v_perm_b32 v72, v70, v66, 0x5040100
	v_perm_b32 v70, v83, v103, 0x5040100
	v_cndmask_b32_e64 v103, v91, v85, s5
	v_cndmask_b32_e64 v85, v91, v85, s3
	;; [unrolled: 1-line block ×4, first 2 shown]
	v_lshrrev_b32_e32 v97, 16, v90
	v_cndmask_b32_e64 v91, v103, v92, s17
	v_cndmask_b32_e64 v85, v85, v92, s6
	;; [unrolled: 1-line block ×3, first 2 shown]
	s_mov_b32 s3, exec_lo
	v_cndmask_b32_e64 v83, v84, v97, s15
	v_cndmask_b32_e64 v91, v91, v98, s19
	;; [unrolled: 1-line block ×3, first 2 shown]
	v_lshrrev_b32_e32 v84, 16, v94
	v_cndmask_b32_e64 v66, v66, v97, s18
	v_cndmask_b32_e64 v90, v86, v97, s27
	;; [unrolled: 1-line block ×4, first 2 shown]
	v_dual_cndmask_b32 v86, v87, v97 :: v_dual_cndmask_b32 v87, v88, v84
	v_cndmask_b32_e64 v91, v69, v84, s15
	s_delay_alu instid0(VALU_DEP_4) | instskip(NEXT) | instid1(VALU_DEP_4)
	v_cndmask_b32_e64 v89, v89, v100, s22
	v_cndmask_b32_e64 v85, v85, v100, s13
	v_perm_b32 v69, v102, v101, 0x5040100
	v_perm_b32 v86, v87, v86, 0x5040100
	;; [unrolled: 1-line block ×3, first 2 shown]
	v_cndmask_b32_e64 v89, v89, v94, s24
	v_cndmask_b32_e64 v85, v85, v94, s16
	s_mul_i32 s8, s35, 5
	s_delay_alu instid0(VALU_DEP_2) | instskip(NEXT) | instid1(VALU_DEP_2)
	v_cndmask_b32_e64 v88, v89, v84, s27
	v_cndmask_b32_e64 v89, v85, v84, s18
	s_delay_alu instid0(VALU_DEP_2) | instskip(NEXT) | instid1(VALU_DEP_2)
	v_perm_b32 v85, v88, v90, 0x5040100
	v_perm_b32 v84, v89, v66, 0x5040100
	ds_store_b128 v76, v[69:72]
	ds_store_b128 v76, v[83:86] offset:1024
	v_cmpx_gt_u32_e32 5, v0
	s_cbranch_execz .LBB1890_78
; %bb.77:
	s_mul_i32 s4, s8, s30
	s_delay_alu instid0(SALU_CYCLE_1) | instskip(SKIP_1) | instid1(VALU_DEP_1)
	v_add3_u32 v69, s4, s31, v65
	s_load_b128 s[4:7], s[0:1], 0x58
	v_mad_u64_u32 v[65:66], null, v69, s34, s[14:15]
	s_delay_alu instid0(VALU_DEP_1) | instskip(NEXT) | instid1(VALU_DEP_1)
	v_ashrrev_i32_e32 v66, 31, v65
	v_lshlrev_b64 v[65:66], 2, v[65:66]
	s_waitcnt lgkmcnt(0)
	s_delay_alu instid0(VALU_DEP_1) | instskip(NEXT) | instid1(VALU_DEP_2)
	v_add_co_u32 v69, vcc_lo, s6, v65
	v_add_co_ci_u32_e32 v70, vcc_lo, s7, v66, vcc_lo
	v_add_co_u32 v65, vcc_lo, s4, v65
	v_add_co_ci_u32_e32 v66, vcc_lo, s5, v66, vcc_lo
	global_store_b32 v[69:70], v67, off
	global_store_b32 v[65:66], v68, off
.LBB1890_78:
	s_or_b32 exec_lo, exec_lo, s3
	s_waitcnt lgkmcnt(0)
	s_waitcnt_vscnt null, 0x0
	s_barrier
	buffer_gl0_inv
	ds_load_b128 v[83:86], v80
	ds_load_b128 v[87:90], v80 offset:16
	ds_load_b128 v[95:98], v80 offset:2064
	;; [unrolled: 1-line block ×3, first 2 shown]
	v_mov_b32_e32 v65, 0
	ds_load_b128 v[103:106], v80 offset:4112
	ds_load_b128 v[99:102], v80 offset:4096
	;; [unrolled: 1-line block ×4, first 2 shown]
	v_mov_b32_e32 v66, v65
	v_mov_b32_e32 v67, v65
	;; [unrolled: 1-line block ×7, first 2 shown]
	s_waitcnt lgkmcnt(6)
	s_delay_alu instid0(VALU_DEP_1)
	v_wmma_f32_16x16x16_bf16 v[65:72], v[41:48], v[83:90], v[65:72]
	ds_load_b128 v[45:48], v80 offset:8208
	ds_load_b128 v[41:44], v80 offset:8192
	s_waitcnt lgkmcnt(6)
	v_wmma_f32_16x16x16_bf16 v[65:72], v[33:40], v[91:98], v[65:72]
	ds_load_b128 v[37:40], v80 offset:10256
	ds_load_b128 v[33:36], v80 offset:10240
	s_waitcnt lgkmcnt(6)
	v_wmma_f32_16x16x16_bf16 v[65:72], v[25:32], v[99:106], v[65:72]
	ds_load_b128 v[29:32], v80 offset:12304
	ds_load_b128 v[25:28], v80 offset:12288
	s_waitcnt lgkmcnt(6)
	v_wmma_f32_16x16x16_bf16 v[65:72], v[17:24], v[107:114], v[65:72]
	ds_load_b128 v[21:24], v80 offset:14352
	ds_load_b128 v[17:20], v80 offset:14336
	s_waitcnt lgkmcnt(6)
	v_wmma_f32_16x16x16_bf16 v[65:72], v[1:8], v[41:48], v[65:72]
	s_waitcnt lgkmcnt(4)
	s_delay_alu instid0(VALU_DEP_1) | instskip(SKIP_1) | instid1(VALU_DEP_1)
	v_wmma_f32_16x16x16_bf16 v[65:72], v[9:16], v[33:40], v[65:72]
	s_waitcnt lgkmcnt(2)
	v_wmma_f32_16x16x16_bf16 v[65:72], v[57:64], v[25:32], v[65:72]
	s_waitcnt lgkmcnt(0)
	s_delay_alu instid0(VALU_DEP_1) | instskip(NEXT) | instid1(VALU_DEP_1)
	v_wmma_f32_16x16x16_bf16 v[65:72], v[49:56], v[17:24], v[65:72]
	v_and_b32_e32 v1, 0x7f800000, v65
	s_delay_alu instid0(VALU_DEP_1) | instskip(SKIP_1) | instid1(SALU_CYCLE_1)
	v_cmp_ne_u32_e32 vcc_lo, 0x7f800000, v1
                                        ; implicit-def: $vgpr1
	s_and_saveexec_b32 s3, vcc_lo
	s_xor_b32 s3, exec_lo, s3
; %bb.79:
	v_bfe_u32 v1, v65, 16, 1
	s_delay_alu instid0(VALU_DEP_1)
	v_add3_u32 v1, v65, v1, 0x7fff
; %bb.80:
	s_and_not1_saveexec_b32 s3, s3
; %bb.81:
	v_and_b32_e32 v1, 0xffff, v65
	v_or_b32_e32 v2, 0x10000, v65
	s_delay_alu instid0(VALU_DEP_2) | instskip(NEXT) | instid1(VALU_DEP_2)
	v_cmp_eq_u32_e32 vcc_lo, 0, v1
	v_cndmask_b32_e32 v1, v2, v65, vcc_lo
; %bb.82:
	s_or_b32 exec_lo, exec_lo, s3
	v_and_b32_e32 v2, 0x7f800000, v66
	s_delay_alu instid0(VALU_DEP_1) | instskip(SKIP_1) | instid1(SALU_CYCLE_1)
	v_cmp_ne_u32_e32 vcc_lo, 0x7f800000, v2
                                        ; implicit-def: $vgpr2
	s_and_saveexec_b32 s3, vcc_lo
	s_xor_b32 s3, exec_lo, s3
; %bb.83:
	v_bfe_u32 v2, v66, 16, 1
	s_delay_alu instid0(VALU_DEP_1)
	v_add3_u32 v2, v66, v2, 0x7fff
; %bb.84:
	s_and_not1_saveexec_b32 s3, s3
; %bb.85:
	v_and_b32_e32 v2, 0xffff, v66
	v_or_b32_e32 v3, 0x10000, v66
	s_delay_alu instid0(VALU_DEP_2) | instskip(NEXT) | instid1(VALU_DEP_2)
	v_cmp_eq_u32_e32 vcc_lo, 0, v2
	v_cndmask_b32_e32 v2, v3, v66, vcc_lo
; %bb.86:
	s_or_b32 exec_lo, exec_lo, s3
	v_and_b32_e32 v3, 0x7f800000, v67
	s_delay_alu instid0(VALU_DEP_1) | instskip(SKIP_1) | instid1(SALU_CYCLE_1)
	v_cmp_ne_u32_e32 vcc_lo, 0x7f800000, v3
                                        ; implicit-def: $vgpr3
	s_and_saveexec_b32 s3, vcc_lo
	s_xor_b32 s3, exec_lo, s3
; %bb.87:
	v_bfe_u32 v3, v67, 16, 1
	s_delay_alu instid0(VALU_DEP_1)
	v_add3_u32 v3, v67, v3, 0x7fff
; %bb.88:
	s_and_not1_saveexec_b32 s3, s3
; %bb.89:
	v_and_b32_e32 v3, 0xffff, v67
	v_or_b32_e32 v4, 0x10000, v67
	s_delay_alu instid0(VALU_DEP_2) | instskip(NEXT) | instid1(VALU_DEP_2)
	v_cmp_eq_u32_e32 vcc_lo, 0, v3
	v_cndmask_b32_e32 v3, v4, v67, vcc_lo
; %bb.90:
	s_or_b32 exec_lo, exec_lo, s3
	v_and_b32_e32 v4, 0x7f800000, v68
	s_delay_alu instid0(VALU_DEP_1) | instskip(SKIP_1) | instid1(SALU_CYCLE_1)
	v_cmp_ne_u32_e32 vcc_lo, 0x7f800000, v4
                                        ; implicit-def: $vgpr4
	s_and_saveexec_b32 s3, vcc_lo
	s_xor_b32 s3, exec_lo, s3
; %bb.91:
	v_bfe_u32 v4, v68, 16, 1
	s_delay_alu instid0(VALU_DEP_1)
	v_add3_u32 v4, v68, v4, 0x7fff
; %bb.92:
	s_and_not1_saveexec_b32 s3, s3
; %bb.93:
	v_and_b32_e32 v4, 0xffff, v68
	v_or_b32_e32 v5, 0x10000, v68
	s_delay_alu instid0(VALU_DEP_2) | instskip(NEXT) | instid1(VALU_DEP_2)
	v_cmp_eq_u32_e32 vcc_lo, 0, v4
	v_cndmask_b32_e32 v4, v5, v68, vcc_lo
; %bb.94:
	s_or_b32 exec_lo, exec_lo, s3
	v_and_b32_e32 v5, 0x7f800000, v69
	s_delay_alu instid0(VALU_DEP_1) | instskip(SKIP_1) | instid1(SALU_CYCLE_1)
	v_cmp_ne_u32_e32 vcc_lo, 0x7f800000, v5
                                        ; implicit-def: $vgpr5
	s_and_saveexec_b32 s3, vcc_lo
	s_xor_b32 s3, exec_lo, s3
; %bb.95:
	v_bfe_u32 v5, v69, 16, 1
	s_delay_alu instid0(VALU_DEP_1)
	v_add3_u32 v5, v69, v5, 0x7fff
; %bb.96:
	s_and_not1_saveexec_b32 s3, s3
; %bb.97:
	v_and_b32_e32 v5, 0xffff, v69
	v_or_b32_e32 v6, 0x10000, v69
	s_delay_alu instid0(VALU_DEP_2) | instskip(NEXT) | instid1(VALU_DEP_2)
	v_cmp_eq_u32_e32 vcc_lo, 0, v5
	v_cndmask_b32_e32 v5, v6, v69, vcc_lo
; %bb.98:
	s_or_b32 exec_lo, exec_lo, s3
	v_and_b32_e32 v6, 0x7f800000, v70
	s_delay_alu instid0(VALU_DEP_1) | instskip(SKIP_1) | instid1(SALU_CYCLE_1)
	v_cmp_ne_u32_e32 vcc_lo, 0x7f800000, v6
                                        ; implicit-def: $vgpr6
	s_and_saveexec_b32 s3, vcc_lo
	s_xor_b32 s3, exec_lo, s3
; %bb.99:
	v_bfe_u32 v6, v70, 16, 1
	s_delay_alu instid0(VALU_DEP_1)
	v_add3_u32 v6, v70, v6, 0x7fff
; %bb.100:
	s_and_not1_saveexec_b32 s3, s3
; %bb.101:
	v_and_b32_e32 v6, 0xffff, v70
	v_or_b32_e32 v7, 0x10000, v70
	s_delay_alu instid0(VALU_DEP_2) | instskip(NEXT) | instid1(VALU_DEP_2)
	v_cmp_eq_u32_e32 vcc_lo, 0, v6
	v_cndmask_b32_e32 v6, v7, v70, vcc_lo
; %bb.102:
	s_or_b32 exec_lo, exec_lo, s3
	v_and_b32_e32 v7, 0x7f800000, v71
	s_delay_alu instid0(VALU_DEP_1) | instskip(SKIP_1) | instid1(SALU_CYCLE_1)
	v_cmp_ne_u32_e32 vcc_lo, 0x7f800000, v7
                                        ; implicit-def: $vgpr7
	s_and_saveexec_b32 s3, vcc_lo
	s_xor_b32 s3, exec_lo, s3
; %bb.103:
	v_bfe_u32 v7, v71, 16, 1
	s_delay_alu instid0(VALU_DEP_1)
	v_add3_u32 v7, v71, v7, 0x7fff
; %bb.104:
	s_and_not1_saveexec_b32 s3, s3
; %bb.105:
	v_and_b32_e32 v7, 0xffff, v71
	v_or_b32_e32 v8, 0x10000, v71
	s_delay_alu instid0(VALU_DEP_2) | instskip(NEXT) | instid1(VALU_DEP_2)
	v_cmp_eq_u32_e32 vcc_lo, 0, v7
	v_cndmask_b32_e32 v7, v8, v71, vcc_lo
; %bb.106:
	s_or_b32 exec_lo, exec_lo, s3
	v_and_b32_e32 v8, 0x7f800000, v72
	s_delay_alu instid0(VALU_DEP_1) | instskip(SKIP_1) | instid1(SALU_CYCLE_1)
	v_cmp_ne_u32_e32 vcc_lo, 0x7f800000, v8
                                        ; implicit-def: $vgpr8
	s_and_saveexec_b32 s3, vcc_lo
	s_xor_b32 s3, exec_lo, s3
; %bb.107:
	v_bfe_u32 v8, v72, 16, 1
	s_delay_alu instid0(VALU_DEP_1)
	v_add3_u32 v8, v72, v8, 0x7fff
                                        ; implicit-def: $vgpr65_vgpr66_vgpr67_vgpr68_vgpr69_vgpr70_vgpr71_vgpr72
; %bb.108:
	s_and_not1_saveexec_b32 s3, s3
; %bb.109:
	v_and_b32_e32 v8, 0xffff, v72
	v_or_b32_e32 v9, 0x10000, v72
	s_delay_alu instid0(VALU_DEP_2) | instskip(NEXT) | instid1(VALU_DEP_2)
	v_cmp_eq_u32_e32 vcc_lo, 0, v8
	v_cndmask_b32_e32 v8, v9, v72, vcc_lo
; %bb.110:
	s_or_b32 exec_lo, exec_lo, s3
	s_delay_alu instid0(VALU_DEP_1)
	v_perm_b32 v7, v8, v7, 0x7060302
	v_perm_b32 v6, v6, v5, 0x7060302
	;; [unrolled: 1-line block ×4, first 2 shown]
	s_barrier
	buffer_gl0_inv
	v_cmp_eq_u32_e32 vcc_lo, 1, v78
	ds_store_b128 v76, v[4:7]
	s_waitcnt lgkmcnt(0)
	s_barrier
	buffer_gl0_inv
	ds_load_b128 v[1:4], v82
	ds_load_b128 v[5:8], v82 offset:16
	v_cmp_eq_u32_e64 s3, 1, v79
	v_cmp_eq_u32_e64 s4, 2, v78
	;; [unrolled: 1-line block ×5, first 2 shown]
	s_waitcnt lgkmcnt(1)
	v_lshrrev_b32_e32 v9, 16, v1
	s_waitcnt lgkmcnt(0)
	v_lshrrev_b32_e32 v13, 16, v5
	v_lshrrev_b32_e32 v10, 16, v2
	;; [unrolled: 1-line block ×4, first 2 shown]
	v_cndmask_b32_e64 v19, v1, v9, s3
	v_cndmask_b32_e32 v18, v5, v13, vcc_lo
	v_cndmask_b32_e64 v20, v5, v13, s3
	v_cndmask_b32_e32 v17, v1, v9, vcc_lo
	v_cmp_eq_u32_e32 vcc_lo, 2, v79
	v_lshrrev_b32_e32 v15, 16, v7
	v_cmp_eq_u32_e64 s3, 1, v77
	v_lshrrev_b32_e32 v12, 16, v4
	v_lshrrev_b32_e32 v16, 16, v8
	v_cndmask_b32_e32 v20, v20, v6, vcc_lo
	v_cndmask_b32_e64 v17, v17, v2, s4
	v_cndmask_b32_e32 v19, v19, v2, vcc_lo
	v_cndmask_b32_e64 v18, v18, v6, s4
	v_cmp_eq_u32_e32 vcc_lo, 4, v78
	v_cmp_eq_u32_e64 s4, 3, v79
	v_cndmask_b32_e64 v17, v17, v10, s5
	v_cndmask_b32_e64 v21, v1, v9, s3
	;; [unrolled: 1-line block ×5, first 2 shown]
	v_cndmask_b32_e32 v17, v17, v3, vcc_lo
	v_cndmask_b32_e64 v20, v20, v14, s4
	v_cndmask_b32_e32 v18, v18, v7, vcc_lo
	v_cmp_eq_u32_e32 vcc_lo, 4, v79
	v_cmp_eq_u32_e64 s4, 5, v79
	v_cmp_eq_u32_e64 s3, 2, v81
	v_cndmask_b32_e64 v21, v21, v2, s7
	v_cmp_eq_u32_e64 s5, 5, v78
	v_cndmask_b32_e32 v19, v19, v3, vcc_lo
	v_cndmask_b32_e32 v20, v20, v7, vcc_lo
	v_cmp_eq_u32_e32 vcc_lo, 6, v79
	s_delay_alu instid0(VALU_DEP_4) | instskip(NEXT) | instid1(VALU_DEP_4)
	v_cndmask_b32_e64 v17, v17, v11, s5
	v_cndmask_b32_e64 v19, v19, v11, s4
	s_delay_alu instid0(VALU_DEP_4) | instskip(SKIP_1) | instid1(VALU_DEP_3)
	v_cndmask_b32_e64 v20, v20, v15, s4
	v_cmp_eq_u32_e64 s4, 1, v81
	v_cndmask_b32_e32 v19, v19, v4, vcc_lo
	v_cndmask_b32_e64 v18, v18, v15, s5
	s_delay_alu instid0(VALU_DEP_3)
	v_cndmask_b32_e64 v1, v1, v9, s4
	v_cndmask_b32_e64 v5, v5, v13, s4
	v_cmp_eq_u32_e64 s4, 3, v77
	v_cndmask_b32_e64 v13, v22, v6, s7
	v_cmp_eq_u32_e64 s7, 3, v81
	v_cndmask_b32_e64 v1, v1, v2, s3
	v_cndmask_b32_e64 v2, v5, v6, s3
	;; [unrolled: 1-line block ×3, first 2 shown]
	v_cmp_eq_u32_e64 s3, 4, v77
	v_cndmask_b32_e64 v6, v13, v14, s4
	v_cndmask_b32_e64 v1, v1, v10, s7
	v_cmp_eq_u32_e64 s4, 4, v81
	v_cndmask_b32_e64 v2, v2, v14, s7
	v_cndmask_b32_e64 v5, v9, v3, s3
	;; [unrolled: 3-line block ×3, first 2 shown]
	v_cndmask_b32_e64 v2, v2, v7, s4
	v_cmp_eq_u32_e64 s3, 5, v81
	v_cmp_eq_u32_e64 s5, 6, v78
	v_cndmask_b32_e64 v5, v5, v11, s7
	v_cmp_eq_u32_e64 s4, 6, v77
	v_cndmask_b32_e64 v3, v6, v15, s7
	v_cndmask_b32_e64 v1, v1, v11, s3
	v_cmp_eq_u32_e64 s7, 6, v81
	v_cndmask_b32_e64 v2, v2, v15, s3
	v_cndmask_b32_e64 v17, v17, v4, s5
	v_cndmask_b32_e64 v18, v18, v8, s5
	v_cmp_eq_u32_e64 s5, 7, v78
	v_cndmask_b32_e64 v5, v5, v4, s4
	;; [unrolled: 4-line block ×3, first 2 shown]
	v_cmp_eq_u32_e64 s4, 7, v77
	v_cndmask_b32_e32 v4, v20, v8, vcc_lo
	v_cndmask_b32_e64 v17, v17, v12, s5
	v_cndmask_b32_e64 v19, v19, v12, s6
	;; [unrolled: 1-line block ×8, first 2 shown]
	s_mov_b32 s3, exec_lo
	v_perm_b32 v4, v2, v1, 0x5040100
	v_perm_b32 v3, v3, v5, 0x5040100
	;; [unrolled: 1-line block ×4, first 2 shown]
	ds_store_b128 v76, v[1:4]
	s_waitcnt lgkmcnt(0)
	s_barrier
	buffer_gl0_inv
	v_cmpx_gt_u32_e32 32, v0
	s_cbranch_execz .LBB1890_2
; %bb.111:
	s_load_b64 s[4:5], s[0:1], 0x68
	v_lshlrev_b32_e32 v0, 10, v0
	v_add_nc_u32_e32 v2, s31, v74
	v_lshlrev_b32_e32 v3, 4, v75
	s_lshl_b32 s0, s34, 7
	s_delay_alu instid0(SALU_CYCLE_1) | instskip(NEXT) | instid1(VALU_DEP_2)
	s_mul_i32 s1, s0, s30
	v_mul_lo_u32 v1, v2, s0
	s_delay_alu instid0(VALU_DEP_2) | instskip(SKIP_2) | instid1(SALU_CYCLE_1)
	v_and_or_b32 v0, 0x3800, v0, v3
	v_add_nc_u32_e32 v2, 2, v2
	s_mul_i32 s6, s1, s8
	s_ashr_i32 s7, s6, 31
	s_delay_alu instid0(VALU_DEP_2)
	v_lshl_or_b32 v7, v74, 6, v0
	s_lshl_b64 s[6:7], s[6:7], 1
	v_mul_lo_u32 v11, v2, s0
	v_ashrrev_i32_e32 v2, 31, v1
	ds_load_b128 v[3:6], v7
	ds_load_b128 v[7:10], v7 offset:128
	s_waitcnt lgkmcnt(0)
	s_add_u32 s1, s4, s6
	s_addc_u32 s3, s5, s7
	s_lshl_b32 s4, s14, 7
	v_ashrrev_i32_e32 v12, 31, v11
	s_ashr_i32 s5, s4, 31
	v_lshlrev_b64 v[13:14], 1, v[1:2]
	s_lshl_b64 s[4:5], s[4:5], 1
	s_delay_alu instid0(SALU_CYCLE_1) | instskip(SKIP_2) | instid1(VALU_DEP_1)
	s_add_u32 s1, s1, s4
	s_addc_u32 s3, s3, s5
	v_add_co_u32 v1, s1, s1, v73
	v_add_co_ci_u32_e64 v2, null, s3, 0, s1
	v_lshlrev_b64 v[11:12], 1, v[11:12]
	s_delay_alu instid0(VALU_DEP_3) | instskip(NEXT) | instid1(VALU_DEP_3)
	v_add_co_u32 v13, vcc_lo, v1, v13
	v_add_co_ci_u32_e32 v14, vcc_lo, v2, v14, vcc_lo
	s_delay_alu instid0(VALU_DEP_3) | instskip(NEXT) | instid1(VALU_DEP_4)
	v_add_co_u32 v11, vcc_lo, v1, v11
	v_add_co_ci_u32_e32 v12, vcc_lo, v2, v12, vcc_lo
	s_clause 0x1
	global_store_b128 v[13:14], v[3:6], off
	global_store_b128 v[11:12], v[7:10], off
	s_and_b32 exec_lo, exec_lo, s2
	s_cbranch_execz .LBB1890_2
; %bb.112:
	ds_load_b128 v[3:6], v0 offset:256
	s_add_i32 s1, s31, 4
	s_delay_alu instid0(SALU_CYCLE_1) | instskip(NEXT) | instid1(SALU_CYCLE_1)
	s_mul_i32 s0, s1, s0
	s_ashr_i32 s1, s0, 31
	s_delay_alu instid0(SALU_CYCLE_1) | instskip(NEXT) | instid1(SALU_CYCLE_1)
	s_lshl_b64 s[0:1], s[0:1], 1
	v_add_co_u32 v0, vcc_lo, v1, s0
	v_add_co_ci_u32_e32 v1, vcc_lo, s1, v2, vcc_lo
	s_waitcnt lgkmcnt(0)
	global_store_b128 v[0:1], v[3:6], off
	s_nop 0
	s_sendmsg sendmsg(MSG_DEALLOC_VGPRS)
	s_endpgm
	.section	.rodata,"a",@progbits
	.p2align	6, 0x0
	.amdhsa_kernel _Z39paged_attention_ll4mi_QKV_mfma16_kernelI14__hip_bfloat16hLN4vllm18Fp8KVCacheDataTypeE1ES0_Li32ELi128ELi256ELb1ELi5EL8MFMAType0EEvPKT_PKT0_S9_ifPKiSB_SB_iPKfiiiPfSE_PS4_PT2_iSD_SD_
		.amdhsa_group_segment_fixed_size 17472
		.amdhsa_private_segment_fixed_size 0
		.amdhsa_kernarg_size 400
		.amdhsa_user_sgpr_count 13
		.amdhsa_user_sgpr_dispatch_ptr 0
		.amdhsa_user_sgpr_queue_ptr 0
		.amdhsa_user_sgpr_kernarg_segment_ptr 1
		.amdhsa_user_sgpr_dispatch_id 0
		.amdhsa_user_sgpr_private_segment_size 0
		.amdhsa_wavefront_size32 1
		.amdhsa_uses_dynamic_stack 0
		.amdhsa_enable_private_segment 0
		.amdhsa_system_sgpr_workgroup_id_x 1
		.amdhsa_system_sgpr_workgroup_id_y 1
		.amdhsa_system_sgpr_workgroup_id_z 1
		.amdhsa_system_sgpr_workgroup_info 0
		.amdhsa_system_vgpr_workitem_id 0
		.amdhsa_next_free_vgpr 140
		.amdhsa_next_free_sgpr 36
		.amdhsa_reserve_vcc 1
		.amdhsa_float_round_mode_32 0
		.amdhsa_float_round_mode_16_64 0
		.amdhsa_float_denorm_mode_32 3
		.amdhsa_float_denorm_mode_16_64 3
		.amdhsa_dx10_clamp 1
		.amdhsa_ieee_mode 1
		.amdhsa_fp16_overflow 0
		.amdhsa_workgroup_processor_mode 1
		.amdhsa_memory_ordered 1
		.amdhsa_forward_progress 0
		.amdhsa_shared_vgpr_count 0
		.amdhsa_exception_fp_ieee_invalid_op 0
		.amdhsa_exception_fp_denorm_src 0
		.amdhsa_exception_fp_ieee_div_zero 0
		.amdhsa_exception_fp_ieee_overflow 0
		.amdhsa_exception_fp_ieee_underflow 0
		.amdhsa_exception_fp_ieee_inexact 0
		.amdhsa_exception_int_div_zero 0
	.end_amdhsa_kernel
	.section	.text._Z39paged_attention_ll4mi_QKV_mfma16_kernelI14__hip_bfloat16hLN4vllm18Fp8KVCacheDataTypeE1ES0_Li32ELi128ELi256ELb1ELi5EL8MFMAType0EEvPKT_PKT0_S9_ifPKiSB_SB_iPKfiiiPfSE_PS4_PT2_iSD_SD_,"axG",@progbits,_Z39paged_attention_ll4mi_QKV_mfma16_kernelI14__hip_bfloat16hLN4vllm18Fp8KVCacheDataTypeE1ES0_Li32ELi128ELi256ELb1ELi5EL8MFMAType0EEvPKT_PKT0_S9_ifPKiSB_SB_iPKfiiiPfSE_PS4_PT2_iSD_SD_,comdat
.Lfunc_end1890:
	.size	_Z39paged_attention_ll4mi_QKV_mfma16_kernelI14__hip_bfloat16hLN4vllm18Fp8KVCacheDataTypeE1ES0_Li32ELi128ELi256ELb1ELi5EL8MFMAType0EEvPKT_PKT0_S9_ifPKiSB_SB_iPKfiiiPfSE_PS4_PT2_iSD_SD_, .Lfunc_end1890-_Z39paged_attention_ll4mi_QKV_mfma16_kernelI14__hip_bfloat16hLN4vllm18Fp8KVCacheDataTypeE1ES0_Li32ELi128ELi256ELb1ELi5EL8MFMAType0EEvPKT_PKT0_S9_ifPKiSB_SB_iPKfiiiPfSE_PS4_PT2_iSD_SD_
                                        ; -- End function
	.section	.AMDGPU.csdata,"",@progbits
; Kernel info:
; codeLenInByte = 8916
; NumSgprs: 38
; NumVgprs: 140
; ScratchSize: 0
; MemoryBound: 0
; FloatMode: 240
; IeeeMode: 1
; LDSByteSize: 17472 bytes/workgroup (compile time only)
; SGPRBlocks: 4
; VGPRBlocks: 17
; NumSGPRsForWavesPerEU: 38
; NumVGPRsForWavesPerEU: 140
; Occupancy: 10
; WaveLimiterHint : 1
; COMPUTE_PGM_RSRC2:SCRATCH_EN: 0
; COMPUTE_PGM_RSRC2:USER_SGPR: 13
; COMPUTE_PGM_RSRC2:TRAP_HANDLER: 0
; COMPUTE_PGM_RSRC2:TGID_X_EN: 1
; COMPUTE_PGM_RSRC2:TGID_Y_EN: 1
; COMPUTE_PGM_RSRC2:TGID_Z_EN: 1
; COMPUTE_PGM_RSRC2:TIDIG_COMP_CNT: 0
	.section	.text._Z39paged_attention_ll4mi_QKV_mfma16_kernelI14__hip_bfloat16hLN4vllm18Fp8KVCacheDataTypeE1ES0_Li32ELi128ELi256ELb1ELi6EL8MFMAType0EEvPKT_PKT0_S9_ifPKiSB_SB_iPKfiiiPfSE_PS4_PT2_iSD_SD_,"axG",@progbits,_Z39paged_attention_ll4mi_QKV_mfma16_kernelI14__hip_bfloat16hLN4vllm18Fp8KVCacheDataTypeE1ES0_Li32ELi128ELi256ELb1ELi6EL8MFMAType0EEvPKT_PKT0_S9_ifPKiSB_SB_iPKfiiiPfSE_PS4_PT2_iSD_SD_,comdat
	.protected	_Z39paged_attention_ll4mi_QKV_mfma16_kernelI14__hip_bfloat16hLN4vllm18Fp8KVCacheDataTypeE1ES0_Li32ELi128ELi256ELb1ELi6EL8MFMAType0EEvPKT_PKT0_S9_ifPKiSB_SB_iPKfiiiPfSE_PS4_PT2_iSD_SD_ ; -- Begin function _Z39paged_attention_ll4mi_QKV_mfma16_kernelI14__hip_bfloat16hLN4vllm18Fp8KVCacheDataTypeE1ES0_Li32ELi128ELi256ELb1ELi6EL8MFMAType0EEvPKT_PKT0_S9_ifPKiSB_SB_iPKfiiiPfSE_PS4_PT2_iSD_SD_
	.globl	_Z39paged_attention_ll4mi_QKV_mfma16_kernelI14__hip_bfloat16hLN4vllm18Fp8KVCacheDataTypeE1ES0_Li32ELi128ELi256ELb1ELi6EL8MFMAType0EEvPKT_PKT0_S9_ifPKiSB_SB_iPKfiiiPfSE_PS4_PT2_iSD_SD_
	.p2align	8
	.type	_Z39paged_attention_ll4mi_QKV_mfma16_kernelI14__hip_bfloat16hLN4vllm18Fp8KVCacheDataTypeE1ES0_Li32ELi128ELi256ELb1ELi6EL8MFMAType0EEvPKT_PKT0_S9_ifPKiSB_SB_iPKfiiiPfSE_PS4_PT2_iSD_SD_,@function
_Z39paged_attention_ll4mi_QKV_mfma16_kernelI14__hip_bfloat16hLN4vllm18Fp8KVCacheDataTypeE1ES0_Li32ELi128ELi256ELb1ELi6EL8MFMAType0EEvPKT_PKT0_S9_ifPKiSB_SB_iPKfiiiPfSE_PS4_PT2_iSD_SD_: ; @_Z39paged_attention_ll4mi_QKV_mfma16_kernelI14__hip_bfloat16hLN4vllm18Fp8KVCacheDataTypeE1ES0_Li32ELi128ELi256ELb1ELi6EL8MFMAType0EEvPKT_PKT0_S9_ifPKiSB_SB_iPKfiiiPfSE_PS4_PT2_iSD_SD_
; %bb.0:
	s_load_b64 s[4:5], s[0:1], 0x30
	s_mov_b32 s30, s13
	s_waitcnt lgkmcnt(0)
	s_cmp_lg_u64 s[4:5], 0
	s_cselect_b32 s13, -1, 0
	s_ashr_i32 s31, s30, 31
	s_cmp_eq_u64 s[4:5], 0
	s_cbranch_scc1 .LBB1891_3
; %bb.1:
	s_lshl_b64 s[2:3], s[30:31], 2
	s_delay_alu instid0(SALU_CYCLE_1) | instskip(SKIP_4) | instid1(SALU_CYCLE_1)
	s_add_u32 s2, s4, s2
	s_addc_u32 s3, s5, s3
	s_load_b64 s[2:3], s[2:3], 0x0
	s_waitcnt lgkmcnt(0)
	s_sub_i32 s2, s3, s2
	s_cmp_eq_u32 s2, 1
	s_cselect_b32 s2, -1, 0
	s_delay_alu instid0(SALU_CYCLE_1)
	s_and_not1_b32 vcc_lo, exec_lo, s2
	s_cbranch_vccz .LBB1891_4
.LBB1891_2:
	s_endpgm
.LBB1891_3:
.LBB1891_4:
	s_load_b64 s[2:3], s[0:1], 0x28
	s_lshl_b64 s[6:7], s[30:31], 2
	s_waitcnt lgkmcnt(0)
	s_add_u32 s2, s2, s6
	s_addc_u32 s3, s3, s7
	s_lshl_b32 s12, s14, 8
	s_load_b32 s17, s[2:3], 0x0
	s_waitcnt lgkmcnt(0)
	s_cmp_ge_i32 s12, s17
	s_cbranch_scc1 .LBB1891_2
; %bb.5:
	s_clause 0x1
	s_load_b128 s[8:11], s[0:1], 0x8
	s_load_b64 s[2:3], s[0:1], 0x20
	s_and_not1_b32 vcc_lo, exec_lo, s13
	s_cbranch_vccnz .LBB1891_7
; %bb.6:
	s_add_u32 s4, s4, s6
	s_addc_u32 s5, s5, s7
	s_load_b32 s13, s[4:5], 0x0
	s_branch .LBB1891_8
.LBB1891_7:
	s_mov_b32 s13, s30
.LBB1891_8:
	s_load_b128 s[4:7], s[0:1], 0x48
	v_and_b32_e32 v65, 15, v0
	v_lshrrev_b32_e32 v66, 5, v0
	v_and_b32_e32 v67, 31, v0
	v_and_b32_e32 v75, 1, v0
	v_bfe_u32 v74, v0, 4, 1
	v_lshlrev_b32_e32 v1, 3, v65
	s_mul_i32 s29, s15, 6
	s_waitcnt lgkmcnt(0)
	s_mov_b32 s7, exec_lo
	s_delay_alu instid0(VALU_DEP_1)
	v_lshlrev_b32_e32 v73, 1, v1
	v_cmpx_gt_u32_e32 0x60, v0
	s_cbranch_execz .LBB1891_10
; %bb.9:
	s_load_b64 s[18:19], s[0:1], 0x0
	v_lshl_or_b32 v5, v66, 1, v74
	s_mul_hi_i32 s21, s13, s4
	s_mul_i32 s20, s13, s4
	v_lshlrev_b32_e32 v6, 10, v65
	s_lshl_b64 s[20:21], s[20:21], 1
	v_add_lshl_u32 v1, v5, s29, 7
	v_lshlrev_b32_e32 v5, 6, v5
	v_lshlrev_b32_e32 v7, 10, v75
	v_and_b32_e32 v6, 0x3800, v6
	s_delay_alu instid0(VALU_DEP_4) | instskip(NEXT) | instid1(VALU_DEP_2)
	v_ashrrev_i32_e32 v2, 31, v1
	v_or3_b32 v5, v6, v7, v5
	s_delay_alu instid0(VALU_DEP_2) | instskip(SKIP_3) | instid1(VALU_DEP_1)
	v_lshlrev_b64 v[1:2], 1, v[1:2]
	s_waitcnt lgkmcnt(0)
	s_add_u32 s4, s18, s20
	s_addc_u32 s13, s19, s21
	v_add_co_u32 v1, vcc_lo, s4, v1
	s_delay_alu instid0(VALU_DEP_2) | instskip(NEXT) | instid1(VALU_DEP_2)
	v_add_co_ci_u32_e32 v2, vcc_lo, s13, v2, vcc_lo
	v_add_co_u32 v1, vcc_lo, v1, v73
	s_delay_alu instid0(VALU_DEP_2)
	v_add_co_ci_u32_e32 v2, vcc_lo, 0, v2, vcc_lo
	global_load_b128 v[1:4], v[1:2], off
	s_waitcnt vmcnt(0)
	ds_store_b128 v5, v[1:4]
.LBB1891_10:
	s_or_b32 exec_lo, exec_lo, s7
	v_and_b32_e32 v1, 0xef, v0
	s_add_i32 s4, s17, 31
	s_clause 0x1
	s_load_b32 s7, s[0:1], 0x38
	s_load_b32 s18, s[0:1], 0x1c
	s_ashr_i32 s13, s4, 31
	v_add_nc_u32_e32 v2, s12, v1
	s_lshr_b32 s13, s13, 27
	s_waitcnt lgkmcnt(0)
	s_add_i32 s4, s4, s13
	s_barrier
	v_ashrrev_i32_e32 v1, 31, v2
	s_ashr_i32 s4, s4, 5
	v_cmp_gt_i32_e32 vcc_lo, s17, v2
	s_add_i32 s4, s4, -1
	buffer_gl0_inv
	v_lshrrev_b32_e32 v3, 27, v1
	v_or_b32_e32 v1, 16, v2
	s_mul_i32 s15, s15, s6
	s_delay_alu instid0(VALU_DEP_2) | instskip(SKIP_1) | instid1(SALU_CYCLE_1)
	v_add_nc_u32_e32 v4, v2, v3
	s_mul_i32 s20, s30, s7
	s_ashr_i32 s21, s20, 31
	s_delay_alu instid0(VALU_DEP_1) | instskip(SKIP_2) | instid1(SALU_CYCLE_1)
	v_ashrrev_i32_e32 v4, 5, v4
	v_add_nc_u32_e32 v3, v1, v3
	s_lshl_b64 s[20:21], s[20:21], 2
	s_add_u32 s7, s2, s20
	s_delay_alu instid0(VALU_DEP_2) | instskip(NEXT) | instid1(VALU_DEP_2)
	v_cndmask_b32_e32 v2, s4, v4, vcc_lo
	v_ashrrev_i32_e32 v3, 5, v3
	v_cmp_gt_i32_e32 vcc_lo, s17, v1
	s_addc_u32 s13, s3, s21
	s_ashr_i32 s6, s15, 31
	s_add_u32 s2, s8, s15
	s_addc_u32 s3, s9, s6
	v_cndmask_b32_e32 v4, s4, v3, vcc_lo
	v_ashrrev_i32_e32 v3, 31, v2
	s_lshl_b32 s8, s14, 3
	s_delay_alu instid0(SALU_CYCLE_1) | instskip(NEXT) | instid1(VALU_DEP_2)
	s_ashr_i32 s9, s8, 31
	v_ashrrev_i32_e32 v5, 31, v4
	s_delay_alu instid0(VALU_DEP_2) | instskip(SKIP_1) | instid1(SALU_CYCLE_1)
	v_lshlrev_b64 v[1:2], 2, v[2:3]
	s_lshl_b64 s[8:9], s[8:9], 2
	s_add_u32 s8, s7, s8
	s_delay_alu instid0(VALU_DEP_2) | instskip(SKIP_1) | instid1(VALU_DEP_2)
	v_lshlrev_b64 v[3:4], 2, v[4:5]
	s_addc_u32 s9, s13, s9
	v_add_co_u32 v1, vcc_lo, s7, v1
	v_add_co_ci_u32_e32 v2, vcc_lo, s13, v2, vcc_lo
	s_delay_alu instid0(VALU_DEP_3) | instskip(NEXT) | instid1(VALU_DEP_4)
	v_add_co_u32 v3, vcc_lo, s7, v3
	v_add_co_ci_u32_e32 v4, vcc_lo, s13, v4, vcc_lo
	s_clause 0x1
	global_load_b32 v5, v[1:2], off
	global_load_b32 v6, v[3:4], off
	s_or_b32 s16, s12, 32
	s_delay_alu instid0(SALU_CYCLE_1) | instskip(SKIP_2) | instid1(SALU_CYCLE_1)
	s_ashr_i32 s19, s16, 5
	s_cmp_lt_i32 s16, s17
	s_cselect_b32 s20, s19, s4
	s_ashr_i32 s21, s20, 31
	s_delay_alu instid0(SALU_CYCLE_1) | instskip(NEXT) | instid1(SALU_CYCLE_1)
	s_lshl_b64 s[20:21], s[20:21], 2
	s_add_u32 s20, s7, s20
	s_addc_u32 s21, s13, s21
	s_or_b32 s16, s12, 64
	s_delay_alu instid0(SALU_CYCLE_1) | instskip(SKIP_2) | instid1(SALU_CYCLE_1)
	s_ashr_i32 s19, s16, 5
	s_cmp_lt_i32 s16, s17
	s_cselect_b32 s22, s19, s4
	s_ashr_i32 s23, s22, 31
	s_delay_alu instid0(SALU_CYCLE_1) | instskip(NEXT) | instid1(SALU_CYCLE_1)
	s_lshl_b64 s[22:23], s[22:23], 2
	s_add_u32 s22, s7, s22
	s_addc_u32 s23, s13, s23
	;; [unrolled: 10-line block ×5, first 2 shown]
	s_clause 0x5
	s_load_b32 s16, s[8:9], 0x0
	s_load_b32 s19, s[20:21], 0x0
	;; [unrolled: 1-line block ×6, first 2 shown]
	s_mov_b32 s20, 0
	s_delay_alu instid0(SALU_CYCLE_1)
	s_mov_b32 s21, s20
	s_mov_b32 s22, s20
	;; [unrolled: 1-line block ×7, first 2 shown]
	s_delay_alu instid0(SALU_CYCLE_1)
	v_dual_mov_b32 v107, s27 :: v_dual_mov_b32 v106, s26
	v_dual_mov_b32 v105, s25 :: v_dual_mov_b32 v102, s22
	;; [unrolled: 1-line block ×4, first 2 shown]
	s_waitcnt vmcnt(1)
	v_mad_i64_i32 v[1:2], null, v5, s5, s[2:3]
	v_lshlrev_b32_e32 v5, 4, v65
	s_waitcnt vmcnt(0)
	v_mad_i64_i32 v[3:4], null, v6, s5, s[2:3]
	s_or_b32 s2, s12, 0xc0
	s_delay_alu instid0(SALU_CYCLE_1) | instskip(NEXT) | instid1(VALU_DEP_3)
	s_ashr_i32 s3, s2, 5
	v_add_co_u32 v25, vcc_lo, v1, v5
	s_delay_alu instid0(VALU_DEP_4) | instskip(NEXT) | instid1(VALU_DEP_3)
	v_add_co_ci_u32_e32 v26, vcc_lo, 0, v2, vcc_lo
	v_add_co_u32 v27, vcc_lo, v3, v5
	s_delay_alu instid0(VALU_DEP_4)
	v_add_co_ci_u32_e32 v28, vcc_lo, 0, v4, vcc_lo
	s_clause 0xf
	global_load_b128 v[1:4], v[25:26], off
	global_load_b128 v[5:8], v[25:26], off offset:512
	global_load_b128 v[9:12], v[27:28], off offset:256
	global_load_b128 v[13:16], v[27:28], off offset:768
	global_load_b128 v[17:20], v[25:26], off offset:1024
	global_load_b128 v[21:24], v[25:26], off offset:1536
	global_load_b128 v[49:52], v[27:28], off offset:1280
	global_load_b128 v[53:56], v[27:28], off offset:1792
	global_load_b128 v[57:60], v[25:26], off offset:2048
	global_load_b128 v[61:64], v[25:26], off offset:2560
	global_load_b128 v[76:79], v[27:28], off offset:2304
	global_load_b128 v[80:83], v[27:28], off offset:2816
	global_load_b128 v[84:87], v[25:26], off offset:3072
	global_load_b128 v[88:91], v[25:26], off offset:3584
	global_load_b128 v[92:95], v[27:28], off offset:3328
	global_load_b128 v[96:99], v[27:28], off offset:3840
	v_mul_lo_u16 v25, v65, 43
	s_cmp_lt_i32 s2, s17
	v_lshlrev_b32_e32 v26, 5, v65
	s_cselect_b32 s2, s3, s4
	s_delay_alu instid0(VALU_DEP_2) | instskip(SKIP_1) | instid1(VALU_DEP_2)
	v_lshrrev_b16 v25, 8, v25
	s_ashr_i32 s3, s2, 31
	v_lshl_or_b32 v33, v66, 9, v26
	s_lshl_b64 s[2:3], s[2:3], 2
	s_delay_alu instid0(VALU_DEP_2) | instskip(SKIP_3) | instid1(VALU_DEP_1)
	v_mul_lo_u16 v25, v25, 6
	s_add_u32 s2, s7, s2
	s_addc_u32 s3, s13, s3
	s_or_b32 s8, s12, 0xe0
	v_sub_nc_u16 v25, v65, v25
	s_ashr_i32 s9, s8, 5
	s_cmp_lt_i32 s8, s17
	s_cselect_b32 s8, s9, s4
	s_delay_alu instid0(VALU_DEP_1) | instskip(SKIP_1) | instid1(SALU_CYCLE_1)
	v_and_b32_e32 v25, 0xff, v25
	s_ashr_i32 s9, s8, 31
	s_lshl_b64 s[8:9], s[8:9], 2
	s_delay_alu instid0(VALU_DEP_1)
	v_lshlrev_b32_e32 v72, 6, v25
	ds_load_b128 v[25:28], v72
	ds_load_b128 v[29:32], v72 offset:1024
	ds_load_b128 v[108:111], v72 offset:2048
	;; [unrolled: 1-line block ×3, first 2 shown]
	s_load_b32 s4, s[2:3], 0x0
	s_add_u32 s2, s7, s8
	s_addc_u32 s3, s13, s9
	ds_load_b128 v[116:119], v72 offset:4096
	ds_load_b128 v[120:123], v72 offset:5120
	s_load_b32 s2, s[2:3], 0x0
	s_add_u32 s7, s10, s15
	s_addc_u32 s6, s11, s6
	v_add_co_u32 v68, s7, s7, v33
	s_delay_alu instid0(VALU_DEP_1) | instskip(SKIP_1) | instid1(VALU_DEP_1)
	v_add_co_ci_u32_e64 v69, null, s6, 0, s7
	s_waitcnt lgkmcnt(0)
	v_mad_i64_i32 v[33:34], null, s16, s5, v[68:69]
	v_mad_i64_i32 v[70:71], null, s28, s5, v[68:69]
	;; [unrolled: 1-line block ×7, first 2 shown]
	s_clause 0x3
	global_load_b128 v[41:44], v[33:34], off
	global_load_b128 v[45:48], v[33:34], off offset:16
	global_load_b128 v[33:36], v[37:38], off
	global_load_b128 v[37:40], v[37:38], off offset:16
	s_waitcnt vmcnt(18)
	v_wmma_f32_16x16x16_bf16 v[124:131], v[1:8], v[25:32], v[100:107]
	s_waitcnt vmcnt(16)
	v_wmma_f32_16x16x16_bf16 v[100:107], v[9:16], v[25:32], v[100:107]
	s_clause 0x1
	global_load_b128 v[25:28], v[70:71], off
	global_load_b128 v[29:32], v[70:71], off offset:16
	s_waitcnt vmcnt(16)
	v_wmma_f32_16x16x16_bf16 v[124:131], v[17:24], v[108:115], v[124:131]
	s_clause 0x1
	global_load_b128 v[17:20], v[132:133], off
	global_load_b128 v[21:24], v[132:133], off offset:16
	s_waitcnt vmcnt(16)
	v_wmma_f32_16x16x16_bf16 v[100:107], v[49:56], v[108:115], v[100:107]
	v_mad_i64_i32 v[53:54], null, s2, s5, v[68:69]
	s_clause 0x3
	global_load_b128 v[1:4], v[134:135], off
	global_load_b128 v[5:8], v[134:135], off offset:16
	global_load_b128 v[9:12], v[136:137], off
	global_load_b128 v[13:16], v[136:137], off offset:16
	s_waitcnt vmcnt(18)
	v_wmma_f32_16x16x16_bf16 v[124:131], v[57:64], v[116:123], v[124:131]
	s_clause 0x3
	global_load_b128 v[57:60], v[138:139], off
	global_load_b128 v[61:64], v[138:139], off offset:16
	global_load_b128 v[49:52], v[53:54], off
	global_load_b128 v[53:56], v[53:54], off offset:16
	s_waitcnt vmcnt(20)
	v_wmma_f32_16x16x16_bf16 v[100:107], v[76:83], v[116:123], v[100:107]
	ds_load_b128 v[76:79], v72 offset:6144
	ds_load_b128 v[80:83], v72 offset:7168
	v_mbcnt_lo_u32_b32 v69, -1, 0
	s_waitcnt vmcnt(0) lgkmcnt(0)
	s_barrier
	buffer_gl0_inv
	v_xor_b32_e32 v70, 16, v69
	s_delay_alu instid0(VALU_DEP_1) | instskip(SKIP_4) | instid1(VALU_DEP_2)
	v_cmp_gt_i32_e32 vcc_lo, 32, v70
	v_cndmask_b32_e32 v69, v69, v70, vcc_lo
	v_wmma_f32_16x16x16_bf16 v[124:131], v[84:91], v[76:83], v[124:131]
	v_and_b32_e32 v68, 0xe0, v0
	v_wmma_f32_16x16x16_bf16 v[100:107], v[92:99], v[76:83], v[100:107]
	v_dual_mul_f32 v81, s18, v129 :: v_dual_add_nc_u32 v68, s12, v68
	s_delay_alu instid0(VALU_DEP_4) | instskip(NEXT) | instid1(VALU_DEP_3)
	v_dual_mul_f32 v83, s18, v131 :: v_dual_mul_f32 v78, s18, v125
	v_mul_f32_e32 v95, s18, v103
	v_mul_f32_e32 v79, s18, v127
	s_delay_alu instid0(VALU_DEP_4) | instskip(SKIP_3) | instid1(VALU_DEP_4)
	v_or_b32_e32 v68, v68, v74
	v_dual_mul_f32 v80, s18, v126 :: v_dual_mul_f32 v97, s18, v105
	v_dual_mul_f32 v93, s18, v101 :: v_dual_mul_f32 v82, s18, v128
	v_mul_f32_e32 v99, s18, v107
	v_or_b32_e32 v70, 2, v68
	v_or_b32_e32 v71, 4, v68
	;; [unrolled: 1-line block ×3, first 2 shown]
	v_cmp_gt_i32_e64 s2, s17, v68
	v_or_b32_e32 v108, 8, v68
	v_cmp_gt_i32_e32 vcc_lo, s17, v70
	v_mul_f32_e32 v70, s18, v124
	v_or_b32_e32 v109, 10, v68
	v_cmp_gt_i32_e64 s3, s17, v71
	v_cmp_gt_i32_e64 s4, s17, v72
	v_cndmask_b32_e32 v78, 0xff7fffff, v78, vcc_lo
	v_cndmask_b32_e64 v70, 0xff7fffff, v70, s2
	v_or_b32_e32 v84, 12, v68
	v_or_b32_e32 v85, 14, v68
	v_cndmask_b32_e64 v71, 0xff7fffff, v80, s3
	v_cndmask_b32_e64 v72, 0xff7fffff, v79, s4
	v_max3_f32 v70, v70, 0xff7fffff, v78
	v_cmp_gt_i32_e64 s5, s17, v108
	v_cmp_gt_i32_e64 s6, s17, v109
	v_or_b32_e32 v86, 16, v68
	v_or_b32_e32 v87, 18, v68
	;; [unrolled: 1-line block ×3, first 2 shown]
	v_mul_f32_e32 v92, s18, v130
	v_cndmask_b32_e64 v78, 0xff7fffff, v82, s5
	v_cndmask_b32_e64 v79, 0xff7fffff, v81, s6
	v_max3_f32 v70, v70, v71, v72
	v_cmp_gt_i32_e64 s7, s17, v84
	v_cmp_gt_i32_e64 s8, s17, v85
	v_or_b32_e32 v88, 20, v68
	v_mul_f32_e32 v94, s18, v100
	v_max3_f32 v70, v70, v78, v79
	v_cmp_gt_i32_e64 s9, s17, v86
	v_cndmask_b32_e64 v72, 0xff7fffff, v83, s8
	v_cmp_gt_i32_e64 s10, s17, v87
	v_cmp_gt_i32_e64 s12, s17, v89
	v_lshlrev_b32_e32 v89, 2, v69
	v_cndmask_b32_e64 v71, 0xff7fffff, v92, s7
	v_or_b32_e32 v90, 24, v68
	v_or_b32_e32 v91, 26, v68
	v_mul_f32_e32 v96, s18, v102
	v_cndmask_b32_e64 v78, 0xff7fffff, v94, s9
	v_cndmask_b32_e64 v79, 0xff7fffff, v93, s10
	v_max3_f32 v70, v70, v71, v72
	v_cmp_gt_i32_e64 s11, s17, v88
	v_or_b32_e32 v76, 28, v68
	v_or_b32_e32 v77, 30, v68
	v_mul_f32_e32 v98, s18, v104
	v_cndmask_b32_e64 v72, 0xff7fffff, v95, s12
	v_cndmask_b32_e64 v71, 0xff7fffff, v96, s11
	v_max3_f32 v70, v70, v78, v79
	v_cmp_gt_i32_e64 s13, s17, v90
	v_cmp_gt_i32_e64 s15, s17, v91
	v_mul_f32_e32 v68, s18, v106
	v_cmp_gt_i32_e64 s16, s17, v76
	v_max3_f32 v70, v70, v71, v72
	v_cndmask_b32_e64 v78, 0xff7fffff, v98, s13
	v_cndmask_b32_e64 v79, 0xff7fffff, v97, s15
	v_cmp_gt_i32_e64 s17, s17, v77
	v_cndmask_b32_e64 v68, 0xff7fffff, v68, s16
	s_delay_alu instid0(VALU_DEP_3) | instskip(NEXT) | instid1(VALU_DEP_3)
	v_max3_f32 v70, v70, v78, v79
	v_cndmask_b32_e64 v71, 0xff7fffff, v99, s17
	s_delay_alu instid0(VALU_DEP_1) | instskip(SKIP_3) | instid1(VALU_DEP_1)
	v_max3_f32 v68, v70, v68, v71
	ds_bpermute_b32 v69, v89, v68
	s_waitcnt lgkmcnt(0)
	v_max_f32_e32 v69, v69, v69
	v_max_f32_e32 v68, v68, v69
	s_delay_alu instid0(VALU_DEP_1) | instskip(NEXT) | instid1(VALU_DEP_1)
	v_fma_f32 v71, s18, v126, -v68
	v_mul_f32_e32 v71, 0x3fb8aa3b, v71
	s_delay_alu instid0(VALU_DEP_1) | instskip(SKIP_3) | instid1(VALU_DEP_1)
	v_exp_f32_e32 v71, v71
	s_waitcnt_depctr 0xfff
	v_cndmask_b32_e64 v83, 0, v71, s3
	v_fma_f32 v71, s18, v131, -v68
	v_mul_f32_e32 v71, 0x3fb8aa3b, v71
	v_fma_f32 v69, s18, v124, -v68
	v_fma_f32 v76, s18, v128, -v68
	;; [unrolled: 1-line block ×4, first 2 shown]
	v_exp_f32_e32 v71, v71
	v_mul_f32_e32 v69, 0x3fb8aa3b, v69
	v_mul_f32_e32 v77, 0x3fb8aa3b, v76
	v_fma_f32 v81, s18, v105, -v68
	v_fma_f32 v78, s18, v130, -v68
	s_delay_alu instid0(VALU_DEP_4) | instskip(NEXT) | instid1(VALU_DEP_3)
	v_exp_f32_e32 v69, v69
	v_exp_f32_e32 v77, v77
	s_delay_alu instid0(VALU_DEP_2) | instskip(NEXT) | instid1(TRANS32_DEP_3)
	v_mul_f32_e32 v81, 0x3fb8aa3b, v81
	v_cndmask_b32_e64 v88, 0, v71, s8
	v_fma_f32 v71, s18, v104, -v68
	s_delay_alu instid0(VALU_DEP_3) | instskip(NEXT) | instid1(TRANS32_DEP_3)
	v_exp_f32_e32 v81, v81
	v_cndmask_b32_e64 v80, 0, v69, s2
	v_fma_f32 v69, s18, v129, -v68
	v_mul_f32_e32 v70, 0x3fb8aa3b, v70
	s_delay_alu instid0(TRANS32_DEP_2)
	v_cndmask_b32_e64 v86, 0, v77, s5
	v_mul_f32_e32 v72, 0x3fb8aa3b, v72
	v_fma_f32 v77, s18, v101, -v68
	v_mul_f32_e32 v69, 0x3fb8aa3b, v69
	v_exp_f32_e32 v70, v70
	v_mul_f32_e32 v71, 0x3fb8aa3b, v71
	v_exp_f32_e32 v72, v72
	;; [unrolled: 2-line block ×3, first 2 shown]
	s_mov_b32 s2, exec_lo
	v_exp_f32_e32 v82, v71
	s_delay_alu instid0(VALU_DEP_1) | instskip(SKIP_4) | instid1(TRANS32_DEP_3)
	v_exp_f32_e32 v77, v77
	v_cndmask_b32_e32 v76, 0, v70, vcc_lo
	v_add_f32_e32 v70, 0, v80
	v_cndmask_b32_e64 v85, 0, v72, s4
	v_fma_f32 v72, s18, v100, -v68
	v_cndmask_b32_e64 v87, 0, v69, s6
	s_delay_alu instid0(VALU_DEP_4) | instskip(NEXT) | instid1(VALU_DEP_3)
	v_add_f32_e32 v70, v70, v76
	v_mul_f32_e32 v72, 0x3fb8aa3b, v72
	s_delay_alu instid0(VALU_DEP_2) | instskip(NEXT) | instid1(VALU_DEP_2)
	v_add_f32_e32 v70, v70, v83
	v_exp_f32_e32 v72, v72
	s_delay_alu instid0(VALU_DEP_1) | instskip(NEXT) | instid1(VALU_DEP_1)
	v_add_f32_e32 v70, v70, v85
	v_add_f32_e32 v69, v70, v86
	v_fma_f32 v70, s18, v102, -v68
	s_delay_alu instid0(VALU_DEP_2) | instskip(NEXT) | instid1(VALU_DEP_2)
	v_dual_add_f32 v69, v69, v87 :: v_dual_mul_f32 v78, 0x3fb8aa3b, v78
	v_mul_f32_e32 v70, 0x3fb8aa3b, v70
	s_delay_alu instid0(VALU_DEP_2) | instskip(NEXT) | instid1(VALU_DEP_1)
	v_exp_f32_e32 v78, v78
	v_exp_f32_e32 v79, v70
	s_delay_alu instid0(TRANS32_DEP_3) | instskip(SKIP_4) | instid1(VALU_DEP_2)
	v_cndmask_b32_e64 v70, 0, v72, s9
	s_waitcnt_depctr 0xfff
	v_cndmask_b32_e64 v84, 0, v78, s7
	v_fma_f32 v78, s18, v103, -v68
	v_cndmask_b32_e64 v71, 0, v79, s11
	v_dual_add_f32 v69, v69, v84 :: v_dual_mul_f32 v78, 0x3fb8aa3b, v78
	s_delay_alu instid0(VALU_DEP_1) | instskip(NEXT) | instid1(VALU_DEP_2)
	v_add_f32_e32 v72, v69, v88
	v_exp_f32_e32 v78, v78
	v_cndmask_b32_e64 v69, 0, v77, s10
	v_fma_f32 v77, s18, v106, -v68
	s_delay_alu instid0(VALU_DEP_1) | instskip(NEXT) | instid1(VALU_DEP_1)
	v_dual_add_f32 v72, v72, v70 :: v_dual_mul_f32 v77, 0x3fb8aa3b, v77
	v_add_f32_e32 v79, v72, v69
	s_waitcnt_depctr 0xfff
	v_cndmask_b32_e64 v72, 0, v78, s12
	v_exp_f32_e32 v90, v77
	v_cndmask_b32_e64 v77, 0, v82, s13
	v_add_f32_e32 v78, v79, v71
	v_fma_f32 v79, s18, v107, -v68
	s_delay_alu instid0(VALU_DEP_1) | instskip(SKIP_1) | instid1(VALU_DEP_2)
	v_dual_add_f32 v82, v78, v72 :: v_dual_mul_f32 v79, 0x3fb8aa3b, v79
	v_cndmask_b32_e64 v78, 0, v81, s15
	v_add_f32_e32 v81, v82, v77
	s_delay_alu instid0(VALU_DEP_3) | instskip(NEXT) | instid1(TRANS32_DEP_2)
	v_exp_f32_e32 v82, v79
	v_cndmask_b32_e64 v79, 0, v90, s16
	s_delay_alu instid0(VALU_DEP_2) | instskip(NEXT) | instid1(VALU_DEP_1)
	v_add_f32_e32 v81, v81, v78
	v_add_f32_e32 v90, v81, v79
	s_waitcnt_depctr 0xfff
	v_cndmask_b32_e64 v81, 0, v82, s17
	s_delay_alu instid0(VALU_DEP_1)
	v_add_f32_e32 v82, v90, v81
	ds_bpermute_b32 v89, v89, v82
	v_cmpx_gt_u32_e32 16, v67
	s_cbranch_execz .LBB1891_12
; %bb.11:
	v_mul_u32_u24_e32 v67, 0x44, v66
	s_delay_alu instid0(VALU_DEP_1) | instskip(SKIP_1) | instid1(VALU_DEP_1)
	v_lshl_add_u32 v67, v65, 2, v67
	s_waitcnt lgkmcnt(0)
	v_dual_add_f32 v82, v82, v89 :: v_dual_add_nc_u32 v67, 0x4000, v67
	ds_store_2addr_b32 v67, v68, v82 offset1:136
.LBB1891_12:
	s_or_b32 exec_lo, exec_lo, s2
	v_lshlrev_b32_e32 v67, 2, v65
	s_waitcnt lgkmcnt(0)
	s_barrier
	buffer_gl0_inv
	v_cmp_eq_u32_e32 vcc_lo, 1, v66
	v_add_nc_u32_e32 v82, 0x4000, v67
	v_cmp_eq_u32_e64 s2, 2, v66
	v_cmp_eq_u32_e64 s4, 7, v66
	ds_load_2addr_b32 v[89:90], v82 offset1:17
	ds_load_2addr_b32 v[91:92], v82 offset0:34 offset1:51
	ds_load_2addr_b32 v[93:94], v82 offset0:68 offset1:85
	;; [unrolled: 1-line block ×4, first 2 shown]
	s_waitcnt lgkmcnt(4)
	v_max3_f32 v67, v89, 0xff7fffff, v90
	s_waitcnt lgkmcnt(3)
	s_delay_alu instid0(VALU_DEP_1) | instskip(SKIP_1) | instid1(VALU_DEP_1)
	v_max3_f32 v67, v67, v91, v92
	s_waitcnt lgkmcnt(2)
	v_max3_f32 v67, v67, v93, v94
	s_waitcnt lgkmcnt(1)
	s_delay_alu instid0(VALU_DEP_1) | instskip(NEXT) | instid1(VALU_DEP_1)
	v_max3_f32 v67, v67, v95, v96
	v_sub_f32_e32 v93, v93, v67
	s_delay_alu instid0(VALU_DEP_1) | instskip(NEXT) | instid1(VALU_DEP_1)
	v_dual_sub_f32 v68, v89, v67 :: v_dual_mul_f32 v103, 0x3fb8aa3b, v93
	v_mul_f32_e32 v68, 0x3fb8aa3b, v68
	s_delay_alu instid0(VALU_DEP_1)
	v_exp_f32_e32 v100, v68
	v_sub_f32_e32 v68, v92, v67
	v_sub_f32_e32 v99, v90, v67
	ds_load_2addr_b32 v[89:90], v82 offset0:170 offset1:187
	v_dual_mul_f32 v102, 0x3fb8aa3b, v68 :: v_dual_mul_f32 v99, 0x3fb8aa3b, v99
	s_waitcnt lgkmcnt(1)
	v_fma_f32 v68, v100, v97, 0
	s_delay_alu instid0(VALU_DEP_2) | instskip(NEXT) | instid1(VALU_DEP_2)
	v_exp_f32_e32 v102, v102
	v_exp_f32_e32 v99, v99
	s_waitcnt_depctr 0xfff
	v_fmac_f32_e32 v68, v99, v98
	v_sub_f32_e32 v91, v91, v67
	s_delay_alu instid0(VALU_DEP_1)
	v_mul_f32_e32 v101, 0x3fb8aa3b, v91
	ds_load_2addr_b32 v[91:92], v82 offset0:204 offset1:221
	v_sub_f32_e32 v97, v94, v67
	ds_load_2addr_b32 v[93:94], v82 offset0:238 offset1:255
	s_waitcnt lgkmcnt(0)
	v_exp_f32_e32 v101, v101
	s_barrier
	buffer_gl0_inv
	v_dual_fmac_f32 v68, v101, v89 :: v_dual_sub_f32 v89, v96, v67
	v_dual_sub_f32 v82, v95, v67 :: v_dual_mul_f32 v95, 0x3fb8aa3b, v97
	v_exp_f32_e32 v97, v103
	s_delay_alu instid0(VALU_DEP_2) | instskip(NEXT) | instid1(VALU_DEP_2)
	v_dual_fmac_f32 v68, v102, v90 :: v_dual_mul_f32 v89, 0x3fb8aa3b, v89
	v_mul_f32_e32 v82, 0x3fb8aa3b, v82
	s_delay_alu instid0(VALU_DEP_3) | instskip(NEXT) | instid1(VALU_DEP_2)
	v_exp_f32_e32 v95, v95
	v_exp_f32_e32 v89, v89
	s_delay_alu instid0(VALU_DEP_1)
	v_exp_f32_e32 v82, v82
	v_fmac_f32_e32 v68, v97, v91
	s_delay_alu instid0(TRANS32_DEP_3) | instid1(VALU_DEP_1)
	v_fmac_f32_e32 v68, v95, v92
	s_waitcnt_depctr 0xfff
	v_fmac_f32_e32 v68, v82, v93
	s_delay_alu instid0(VALU_DEP_1) | instskip(NEXT) | instid1(VALU_DEP_1)
	v_fmac_f32_e32 v68, v89, v94
	v_add_f32_e32 v90, 0x358637bd, v68
	s_delay_alu instid0(VALU_DEP_1) | instskip(NEXT) | instid1(VALU_DEP_1)
	v_div_scale_f32 v91, null, v90, v90, 1.0
	v_rcp_f32_e32 v92, v91
	s_waitcnt_depctr 0xfff
	v_fma_f32 v93, -v91, v92, 1.0
	s_delay_alu instid0(VALU_DEP_1) | instskip(SKIP_1) | instid1(VALU_DEP_2)
	v_dual_fmac_f32 v92, v93, v92 :: v_dual_cndmask_b32 v93, v100, v99
	v_cmp_eq_u32_e32 vcc_lo, 3, v66
	v_cndmask_b32_e64 v93, v93, v101, s2
	v_cmp_eq_u32_e64 s2, 4, v66
	s_delay_alu instid0(VALU_DEP_2) | instskip(SKIP_1) | instid1(VALU_DEP_2)
	v_cndmask_b32_e32 v93, v93, v102, vcc_lo
	v_cmp_eq_u32_e32 vcc_lo, 5, v66
	v_cndmask_b32_e64 v93, v93, v97, s2
	v_cmp_eq_u32_e64 s2, 6, v66
	s_delay_alu instid0(VALU_DEP_2) | instskip(SKIP_1) | instid1(VALU_DEP_1)
	v_cndmask_b32_e32 v93, v93, v95, vcc_lo
	v_div_scale_f32 v94, s3, 1.0, v90, 1.0
	s_mov_b32 vcc_lo, s3
	s_delay_alu instid0(VALU_DEP_2) | instskip(NEXT) | instid1(VALU_DEP_2)
	v_cndmask_b32_e64 v82, v93, v82, s2
	v_mul_f32_e32 v96, v94, v92
	s_mov_b32 s2, exec_lo
	s_delay_alu instid0(VALU_DEP_2) | instskip(NEXT) | instid1(VALU_DEP_2)
	v_cndmask_b32_e64 v82, v82, v89, s4
	v_fma_f32 v98, -v91, v96, v94
	s_delay_alu instid0(VALU_DEP_1) | instskip(NEXT) | instid1(VALU_DEP_1)
	v_fmac_f32_e32 v96, v98, v92
	v_fma_f32 v91, -v91, v96, v94
	s_delay_alu instid0(VALU_DEP_1) | instskip(NEXT) | instid1(VALU_DEP_1)
	v_div_fmas_f32 v91, v91, v92, v96
	v_div_fixup_f32 v90, v91, v90, 1.0
	s_delay_alu instid0(VALU_DEP_1) | instskip(NEXT) | instid1(VALU_DEP_1)
	v_mul_f32_e32 v82, v82, v90
	v_mul_f32_e32 v87, v82, v87
	;; [unrolled: 1-line block ×7, first 2 shown]
	v_dual_mul_f32 v86, v82, v83 :: v_dual_and_b32 v91, 0x7f800000, v90
	v_mul_f32_e32 v85, v82, v76
                                        ; implicit-def: $vgpr76
	s_delay_alu instid0(VALU_DEP_2)
	v_cmpx_ne_u32_e32 0x7f800000, v91
	s_xor_b32 s2, exec_lo, s2
; %bb.13:
	v_bfe_u32 v76, v90, 16, 1
	s_delay_alu instid0(VALU_DEP_1)
	v_add3_u32 v76, v90, v76, 0x7fff
                                        ; implicit-def: $vgpr90
; %bb.14:
	s_and_not1_saveexec_b32 s2, s2
; %bb.15:
	v_and_b32_e32 v76, 0xffff, v90
	v_or_b32_e32 v83, 0x10000, v90
	s_delay_alu instid0(VALU_DEP_2) | instskip(NEXT) | instid1(VALU_DEP_2)
	v_cmp_eq_u32_e32 vcc_lo, 0, v76
	v_cndmask_b32_e32 v76, v83, v90, vcc_lo
; %bb.16:
	s_or_b32 exec_lo, exec_lo, s2
	v_and_b32_e32 v83, 0x7f800000, v85
	s_delay_alu instid0(VALU_DEP_1) | instskip(SKIP_1) | instid1(SALU_CYCLE_1)
	v_cmp_ne_u32_e32 vcc_lo, 0x7f800000, v83
                                        ; implicit-def: $vgpr83
	s_and_saveexec_b32 s2, vcc_lo
	s_xor_b32 s2, exec_lo, s2
; %bb.17:
	v_bfe_u32 v83, v85, 16, 1
	s_delay_alu instid0(VALU_DEP_1)
	v_add3_u32 v83, v85, v83, 0x7fff
                                        ; implicit-def: $vgpr85
; %bb.18:
	s_and_not1_saveexec_b32 s2, s2
; %bb.19:
	v_and_b32_e32 v83, 0xffff, v85
	v_or_b32_e32 v90, 0x10000, v85
	s_delay_alu instid0(VALU_DEP_2) | instskip(NEXT) | instid1(VALU_DEP_2)
	v_cmp_eq_u32_e32 vcc_lo, 0, v83
	v_cndmask_b32_e32 v83, v90, v85, vcc_lo
; %bb.20:
	s_or_b32 exec_lo, exec_lo, s2
	v_and_b32_e32 v85, 0x7f800000, v86
	s_delay_alu instid0(VALU_DEP_1) | instskip(SKIP_1) | instid1(SALU_CYCLE_1)
	v_cmp_ne_u32_e32 vcc_lo, 0x7f800000, v85
                                        ; implicit-def: $vgpr85
	s_and_saveexec_b32 s2, vcc_lo
	s_xor_b32 s2, exec_lo, s2
; %bb.21:
	v_bfe_u32 v85, v86, 16, 1
	s_delay_alu instid0(VALU_DEP_1)
	v_add3_u32 v85, v86, v85, 0x7fff
                                        ; implicit-def: $vgpr86
; %bb.22:
	s_and_not1_saveexec_b32 s2, s2
; %bb.23:
	v_and_b32_e32 v85, 0xffff, v86
	v_or_b32_e32 v90, 0x10000, v86
	s_delay_alu instid0(VALU_DEP_2) | instskip(NEXT) | instid1(VALU_DEP_2)
	v_cmp_eq_u32_e32 vcc_lo, 0, v85
	v_cndmask_b32_e32 v85, v90, v86, vcc_lo
; %bb.24:
	s_or_b32 exec_lo, exec_lo, s2
	v_and_b32_e32 v86, 0x7f800000, v89
	s_delay_alu instid0(VALU_DEP_1) | instskip(SKIP_1) | instid1(SALU_CYCLE_1)
	v_cmp_ne_u32_e32 vcc_lo, 0x7f800000, v86
                                        ; implicit-def: $vgpr86
	s_and_saveexec_b32 s2, vcc_lo
	s_xor_b32 s2, exec_lo, s2
; %bb.25:
	v_bfe_u32 v86, v89, 16, 1
	s_delay_alu instid0(VALU_DEP_1)
	v_add3_u32 v86, v89, v86, 0x7fff
                                        ; implicit-def: $vgpr89
; %bb.26:
	s_and_not1_saveexec_b32 s2, s2
; %bb.27:
	v_and_b32_e32 v86, 0xffff, v89
	v_or_b32_e32 v90, 0x10000, v89
	s_delay_alu instid0(VALU_DEP_2) | instskip(NEXT) | instid1(VALU_DEP_2)
	v_cmp_eq_u32_e32 vcc_lo, 0, v86
	v_cndmask_b32_e32 v86, v90, v89, vcc_lo
; %bb.28:
	s_or_b32 exec_lo, exec_lo, s2
	v_and_b32_e32 v89, 0x7f800000, v88
	s_delay_alu instid0(VALU_DEP_1) | instskip(SKIP_1) | instid1(SALU_CYCLE_1)
	v_cmp_ne_u32_e32 vcc_lo, 0x7f800000, v89
                                        ; implicit-def: $vgpr89
	s_and_saveexec_b32 s2, vcc_lo
	s_xor_b32 s2, exec_lo, s2
; %bb.29:
	v_bfe_u32 v89, v88, 16, 1
	s_delay_alu instid0(VALU_DEP_1)
	v_add3_u32 v89, v88, v89, 0x7fff
                                        ; implicit-def: $vgpr88
; %bb.30:
	s_and_not1_saveexec_b32 s2, s2
; %bb.31:
	v_and_b32_e32 v89, 0xffff, v88
	v_or_b32_e32 v90, 0x10000, v88
	s_delay_alu instid0(VALU_DEP_2) | instskip(NEXT) | instid1(VALU_DEP_2)
	v_cmp_eq_u32_e32 vcc_lo, 0, v89
	v_cndmask_b32_e32 v89, v90, v88, vcc_lo
; %bb.32:
	s_or_b32 exec_lo, exec_lo, s2
	v_and_b32_e32 v88, 0x7f800000, v87
	s_delay_alu instid0(VALU_DEP_1) | instskip(SKIP_1) | instid1(SALU_CYCLE_1)
	v_cmp_ne_u32_e32 vcc_lo, 0x7f800000, v88
                                        ; implicit-def: $vgpr88
	s_and_saveexec_b32 s2, vcc_lo
	s_xor_b32 s2, exec_lo, s2
; %bb.33:
	v_bfe_u32 v88, v87, 16, 1
	s_delay_alu instid0(VALU_DEP_1)
	v_add3_u32 v88, v87, v88, 0x7fff
                                        ; implicit-def: $vgpr87
; %bb.34:
	s_and_not1_saveexec_b32 s2, s2
; %bb.35:
	v_and_b32_e32 v88, 0xffff, v87
	v_or_b32_e32 v90, 0x10000, v87
	s_delay_alu instid0(VALU_DEP_2) | instskip(NEXT) | instid1(VALU_DEP_2)
	v_cmp_eq_u32_e32 vcc_lo, 0, v88
	v_cndmask_b32_e32 v88, v90, v87, vcc_lo
; %bb.36:
	s_or_b32 exec_lo, exec_lo, s2
	v_and_b32_e32 v87, 0x7f800000, v84
	s_delay_alu instid0(VALU_DEP_1) | instskip(SKIP_1) | instid1(SALU_CYCLE_1)
	v_cmp_ne_u32_e32 vcc_lo, 0x7f800000, v87
                                        ; implicit-def: $vgpr87
	s_and_saveexec_b32 s2, vcc_lo
	s_xor_b32 s2, exec_lo, s2
; %bb.37:
	v_bfe_u32 v87, v84, 16, 1
	s_delay_alu instid0(VALU_DEP_1)
	v_add3_u32 v87, v84, v87, 0x7fff
                                        ; implicit-def: $vgpr84
; %bb.38:
	s_and_not1_saveexec_b32 s2, s2
; %bb.39:
	v_and_b32_e32 v87, 0xffff, v84
	v_or_b32_e32 v90, 0x10000, v84
	s_delay_alu instid0(VALU_DEP_2) | instskip(NEXT) | instid1(VALU_DEP_2)
	v_cmp_eq_u32_e32 vcc_lo, 0, v87
	v_cndmask_b32_e32 v87, v90, v84, vcc_lo
; %bb.40:
	s_or_b32 exec_lo, exec_lo, s2
	v_and_b32_e32 v84, 0x7f800000, v80
	s_delay_alu instid0(VALU_DEP_1) | instskip(SKIP_1) | instid1(SALU_CYCLE_1)
	v_cmp_ne_u32_e32 vcc_lo, 0x7f800000, v84
                                        ; implicit-def: $vgpr84
	s_and_saveexec_b32 s2, vcc_lo
	s_xor_b32 s2, exec_lo, s2
; %bb.41:
	v_bfe_u32 v84, v80, 16, 1
	s_delay_alu instid0(VALU_DEP_1)
	v_add3_u32 v84, v80, v84, 0x7fff
                                        ; implicit-def: $vgpr80
; %bb.42:
	s_and_not1_saveexec_b32 s2, s2
; %bb.43:
	v_and_b32_e32 v84, 0xffff, v80
	v_or_b32_e32 v90, 0x10000, v80
	s_delay_alu instid0(VALU_DEP_2) | instskip(NEXT) | instid1(VALU_DEP_2)
	v_cmp_eq_u32_e32 vcc_lo, 0, v84
	v_cndmask_b32_e32 v84, v90, v80, vcc_lo
; %bb.44:
	s_or_b32 exec_lo, exec_lo, s2
	s_load_b64 s[34:35], s[0:1], 0x94
	v_lshlrev_b32_e32 v91, 4, v74
	s_delay_alu instid0(VALU_DEP_2)
	v_perm_b32 v90, v84, v87, 0x7060302
	v_dual_mul_f32 v79, v82, v79 :: v_dual_lshlrev_b32 v80, 6, v65
	v_dual_mul_f32 v77, v82, v77 :: v_dual_lshlrev_b32 v92, 11, v66
	v_mul_f32_e32 v84, v82, v70
	v_perm_b32 v89, v88, v89, 0x7060302
	v_perm_b32 v88, v86, v85, 0x7060302
	v_perm_b32 v87, v83, v76, 0x7060302
	v_mul_f32_e32 v70, v82, v81
	v_or3_b32 v76, v91, v92, v80
	v_dual_mul_f32 v78, v82, v78 :: v_dual_and_b32 v85, 0x7f800000, v84
	v_mul_f32_e32 v83, v82, v72
	v_mul_f32_e32 v81, v82, v71
	;; [unrolled: 1-line block ×3, first 2 shown]
	s_mov_b32 s2, exec_lo
	ds_store_b128 v76, v[87:90]
                                        ; implicit-def: $vgpr69
	v_cmpx_ne_u32_e32 0x7f800000, v85
	s_xor_b32 s2, exec_lo, s2
; %bb.45:
	v_bfe_u32 v69, v84, 16, 1
	s_delay_alu instid0(VALU_DEP_1)
	v_add3_u32 v69, v84, v69, 0x7fff
                                        ; implicit-def: $vgpr84
; %bb.46:
	s_and_not1_saveexec_b32 s2, s2
; %bb.47:
	v_and_b32_e32 v69, 0xffff, v84
	v_or_b32_e32 v71, 0x10000, v84
	s_delay_alu instid0(VALU_DEP_2) | instskip(NEXT) | instid1(VALU_DEP_2)
	v_cmp_eq_u32_e32 vcc_lo, 0, v69
	v_cndmask_b32_e32 v69, v71, v84, vcc_lo
; %bb.48:
	s_or_b32 exec_lo, exec_lo, s2
	v_and_b32_e32 v71, 0x7f800000, v72
	s_delay_alu instid0(VALU_DEP_1) | instskip(SKIP_1) | instid1(SALU_CYCLE_1)
	v_cmp_ne_u32_e32 vcc_lo, 0x7f800000, v71
                                        ; implicit-def: $vgpr71
	s_and_saveexec_b32 s2, vcc_lo
	s_xor_b32 s2, exec_lo, s2
; %bb.49:
	v_bfe_u32 v71, v72, 16, 1
	s_delay_alu instid0(VALU_DEP_1)
	v_add3_u32 v71, v72, v71, 0x7fff
                                        ; implicit-def: $vgpr72
; %bb.50:
	s_and_not1_saveexec_b32 s2, s2
; %bb.51:
	v_and_b32_e32 v71, 0xffff, v72
	v_or_b32_e32 v82, 0x10000, v72
	s_delay_alu instid0(VALU_DEP_2) | instskip(NEXT) | instid1(VALU_DEP_2)
	v_cmp_eq_u32_e32 vcc_lo, 0, v71
	v_cndmask_b32_e32 v71, v82, v72, vcc_lo
; %bb.52:
	s_or_b32 exec_lo, exec_lo, s2
	v_and_b32_e32 v72, 0x7f800000, v81
	s_delay_alu instid0(VALU_DEP_1) | instskip(SKIP_1) | instid1(SALU_CYCLE_1)
	v_cmp_ne_u32_e32 vcc_lo, 0x7f800000, v72
                                        ; implicit-def: $vgpr72
	s_and_saveexec_b32 s2, vcc_lo
	s_xor_b32 s2, exec_lo, s2
; %bb.53:
	v_bfe_u32 v72, v81, 16, 1
	s_delay_alu instid0(VALU_DEP_1)
	v_add3_u32 v72, v81, v72, 0x7fff
                                        ; implicit-def: $vgpr81
; %bb.54:
	s_and_not1_saveexec_b32 s2, s2
; %bb.55:
	v_and_b32_e32 v72, 0xffff, v81
	v_or_b32_e32 v82, 0x10000, v81
	s_delay_alu instid0(VALU_DEP_2) | instskip(NEXT) | instid1(VALU_DEP_2)
	v_cmp_eq_u32_e32 vcc_lo, 0, v72
	v_cndmask_b32_e32 v72, v82, v81, vcc_lo
; %bb.56:
	s_or_b32 exec_lo, exec_lo, s2
	v_and_b32_e32 v81, 0x7f800000, v83
	s_delay_alu instid0(VALU_DEP_1) | instskip(SKIP_1) | instid1(SALU_CYCLE_1)
	v_cmp_ne_u32_e32 vcc_lo, 0x7f800000, v81
                                        ; implicit-def: $vgpr81
	s_and_saveexec_b32 s2, vcc_lo
	s_xor_b32 s2, exec_lo, s2
; %bb.57:
	v_bfe_u32 v81, v83, 16, 1
	s_delay_alu instid0(VALU_DEP_1)
	v_add3_u32 v81, v83, v81, 0x7fff
                                        ; implicit-def: $vgpr83
; %bb.58:
	s_and_not1_saveexec_b32 s2, s2
; %bb.59:
	v_and_b32_e32 v81, 0xffff, v83
	v_or_b32_e32 v82, 0x10000, v83
	s_delay_alu instid0(VALU_DEP_2) | instskip(NEXT) | instid1(VALU_DEP_2)
	v_cmp_eq_u32_e32 vcc_lo, 0, v81
	v_cndmask_b32_e32 v81, v82, v83, vcc_lo
; %bb.60:
	s_or_b32 exec_lo, exec_lo, s2
	v_and_b32_e32 v82, 0x7f800000, v77
	s_delay_alu instid0(VALU_DEP_1) | instskip(SKIP_1) | instid1(SALU_CYCLE_1)
	v_cmp_ne_u32_e32 vcc_lo, 0x7f800000, v82
                                        ; implicit-def: $vgpr82
	s_and_saveexec_b32 s2, vcc_lo
	s_xor_b32 s2, exec_lo, s2
; %bb.61:
	v_bfe_u32 v82, v77, 16, 1
	s_delay_alu instid0(VALU_DEP_1)
	v_add3_u32 v82, v77, v82, 0x7fff
                                        ; implicit-def: $vgpr77
; %bb.62:
	s_and_not1_saveexec_b32 s2, s2
; %bb.63:
	v_and_b32_e32 v82, 0xffff, v77
	v_or_b32_e32 v83, 0x10000, v77
	s_delay_alu instid0(VALU_DEP_2) | instskip(NEXT) | instid1(VALU_DEP_2)
	v_cmp_eq_u32_e32 vcc_lo, 0, v82
	v_cndmask_b32_e32 v82, v83, v77, vcc_lo
; %bb.64:
	s_or_b32 exec_lo, exec_lo, s2
	v_and_b32_e32 v77, 0x7f800000, v78
	s_delay_alu instid0(VALU_DEP_1) | instskip(SKIP_1) | instid1(SALU_CYCLE_1)
	v_cmp_ne_u32_e32 vcc_lo, 0x7f800000, v77
                                        ; implicit-def: $vgpr77
	s_and_saveexec_b32 s2, vcc_lo
	s_xor_b32 s2, exec_lo, s2
; %bb.65:
	v_bfe_u32 v77, v78, 16, 1
	s_delay_alu instid0(VALU_DEP_1)
	v_add3_u32 v77, v78, v77, 0x7fff
                                        ; implicit-def: $vgpr78
; %bb.66:
	s_and_not1_saveexec_b32 s2, s2
; %bb.67:
	v_and_b32_e32 v77, 0xffff, v78
	v_or_b32_e32 v83, 0x10000, v78
	s_delay_alu instid0(VALU_DEP_2) | instskip(NEXT) | instid1(VALU_DEP_2)
	v_cmp_eq_u32_e32 vcc_lo, 0, v77
	v_cndmask_b32_e32 v77, v83, v78, vcc_lo
; %bb.68:
	s_or_b32 exec_lo, exec_lo, s2
	v_and_b32_e32 v78, 0x7f800000, v79
	s_delay_alu instid0(VALU_DEP_1) | instskip(SKIP_1) | instid1(SALU_CYCLE_1)
	v_cmp_ne_u32_e32 vcc_lo, 0x7f800000, v78
                                        ; implicit-def: $vgpr78
	s_and_saveexec_b32 s2, vcc_lo
	s_xor_b32 s2, exec_lo, s2
; %bb.69:
	v_bfe_u32 v78, v79, 16, 1
	s_delay_alu instid0(VALU_DEP_1)
	v_add3_u32 v78, v79, v78, 0x7fff
                                        ; implicit-def: $vgpr79
; %bb.70:
	s_and_not1_saveexec_b32 s2, s2
; %bb.71:
	v_and_b32_e32 v78, 0xffff, v79
	v_or_b32_e32 v83, 0x10000, v79
	s_delay_alu instid0(VALU_DEP_2) | instskip(NEXT) | instid1(VALU_DEP_2)
	v_cmp_eq_u32_e32 vcc_lo, 0, v78
	v_cndmask_b32_e32 v78, v83, v79, vcc_lo
; %bb.72:
	s_or_b32 exec_lo, exec_lo, s2
	v_and_b32_e32 v79, 0x7f800000, v70
	s_delay_alu instid0(VALU_DEP_1) | instskip(SKIP_1) | instid1(SALU_CYCLE_1)
	v_cmp_ne_u32_e32 vcc_lo, 0x7f800000, v79
                                        ; implicit-def: $vgpr79
	s_and_saveexec_b32 s2, vcc_lo
	s_xor_b32 s2, exec_lo, s2
; %bb.73:
	v_bfe_u32 v79, v70, 16, 1
	s_delay_alu instid0(VALU_DEP_1)
	v_add3_u32 v79, v70, v79, 0x7fff
                                        ; implicit-def: $vgpr70
; %bb.74:
	s_and_not1_saveexec_b32 s2, s2
; %bb.75:
	v_and_b32_e32 v79, 0xffff, v70
	v_or_b32_e32 v83, 0x10000, v70
	s_delay_alu instid0(VALU_DEP_2) | instskip(NEXT) | instid1(VALU_DEP_2)
	v_cmp_eq_u32_e32 vcc_lo, 0, v79
	v_cndmask_b32_e32 v79, v83, v70, vcc_lo
; %bb.76:
	s_or_b32 exec_lo, exec_lo, s2
	s_delay_alu instid0(VALU_DEP_1)
	v_perm_b32 v86, v79, v78, 0x7060302
	v_perm_b32 v85, v77, v82, 0x7060302
	;; [unrolled: 1-line block ×4, first 2 shown]
	v_lshl_or_b32 v82, v66, 11, v80
	ds_store_b128 v76, v[83:86] offset:1024
	s_waitcnt lgkmcnt(0)
	s_barrier
	buffer_gl0_inv
	ds_load_b128 v[69:72], v82
	ds_load_b128 v[83:86], v82 offset:16
	s_waitcnt lgkmcnt(1)
	v_lshrrev_b32_e32 v66, 16, v69
	s_waitcnt lgkmcnt(0)
	v_lshrrev_b32_e32 v91, 16, v83
	v_lshlrev_b32_e32 v78, 2, v74
	v_lshrrev_b32_e32 v95, 16, v70
	v_lshrrev_b32_e32 v98, 16, v84
	;; [unrolled: 1-line block ×4, first 2 shown]
	v_cmp_eq_u32_e32 vcc_lo, 1, v78
	v_lshrrev_b32_e32 v97, 16, v72
	v_lshrrev_b32_e32 v100, 16, v86
	v_cndmask_b32_e32 v87, v83, v91, vcc_lo
	v_or_b32_e32 v79, 1, v78
	v_cndmask_b32_e32 v81, v69, v66, vcc_lo
	v_cmp_eq_u32_e64 s3, 2, v78
	v_cmp_eq_u32_e64 s6, 3, v78
	;; [unrolled: 1-line block ×5, first 2 shown]
	v_cndmask_b32_e64 v81, v81, v70, s3
	v_cndmask_b32_e64 v87, v87, v84, s3
	v_cmp_eq_u32_e64 s7, 3, v79
	v_cndmask_b32_e64 v88, v69, v66, s2
	v_or_b32_e32 v77, 2, v78
	v_cndmask_b32_e64 v81, v81, v95, s6
	v_cndmask_b32_e64 v87, v87, v98, s6
	;; [unrolled: 1-line block ×4, first 2 shown]
	v_cmp_eq_u32_e64 s9, 5, v78
	v_cndmask_b32_e64 v81, v81, v71, s8
	v_cndmask_b32_e64 v87, v87, v85, s8
	v_cmp_eq_u32_e64 s10, 4, v79
	v_cndmask_b32_e64 v88, v88, v95, s7
	v_cmp_eq_u32_e64 s4, 1, v77
	v_cndmask_b32_e64 v89, v89, v84, s5
	v_cndmask_b32_e64 v81, v81, v96, s9
	v_cmp_eq_u32_e64 s11, 6, v78
	v_cndmask_b32_e64 v88, v88, v71, s10
	;; [unrolled: 3-line block ×3, first 2 shown]
	v_cndmask_b32_e64 v89, v89, v98, s7
	v_cndmask_b32_e64 v81, v81, v72, s11
	v_cmp_eq_u32_e64 s13, 7, v78
	v_cndmask_b32_e64 v88, v88, v96, s12
	v_cndmask_b32_e64 v87, v87, v86, s11
	v_cmp_eq_u32_e64 s15, 6, v79
	v_cmp_eq_u32_e64 s16, 2, v77
	v_cndmask_b32_e64 v89, v89, v85, s10
	v_cndmask_b32_e64 v101, v81, v97, s13
	;; [unrolled: 1-line block ×6, first 2 shown]
	v_cmp_eq_u32_e64 s17, 7, v79
	v_cmp_eq_u32_e64 s18, 3, v77
	;; [unrolled: 1-line block ×4, first 2 shown]
	v_cndmask_b32_e64 v87, v87, v84, s16
	v_cndmask_b32_e64 v103, v88, v97, s17
	;; [unrolled: 1-line block ×4, first 2 shown]
	v_or_b32_e32 v81, 3, v78
	v_cndmask_b32_e64 v93, v87, v98, s18
	v_cmp_eq_u32_e64 s23, 6, v77
	v_cndmask_b32_e64 v104, v88, v86, s15
	v_cndmask_b32_e64 v92, v89, v71, s19
	v_cmp_eq_u32_e64 s20, 1, v81
	ds_load_b128 v[87:90], v82 offset:1024
	v_cmp_eq_u32_e64 s22, 2, v81
	v_cmp_eq_u32_e64 s24, 3, v81
	v_cndmask_b32_e64 v105, v92, v96, s21
	v_cndmask_b32_e64 v66, v69, v66, s20
	;; [unrolled: 1-line block ×4, first 2 shown]
	ds_load_b128 v[91:94], v82 offset:1040
	v_cmp_eq_u32_e64 s25, 4, v81
	v_cndmask_b32_e64 v66, v66, v70, s22
	v_cmp_eq_u32_e64 s26, 7, v77
	v_cndmask_b32_e64 v70, v83, v84, s22
	v_cndmask_b32_e64 v84, v105, v72, s23
	v_cmp_eq_u32_e64 s27, 5, v81
	v_cndmask_b32_e64 v66, v66, v95, s24
	v_cmp_eq_u32_e64 s28, 6, v81
	v_cndmask_b32_e64 v70, v70, v98, s24
	v_cndmask_b32_e64 v69, v69, v99, s21
	;; [unrolled: 1-line block ×4, first 2 shown]
	s_waitcnt lgkmcnt(1)
	v_lshrrev_b32_e32 v95, 16, v87
	v_cndmask_b32_e64 v70, v70, v85, s25
	v_cndmask_b32_e64 v71, v84, v97, s26
	;; [unrolled: 1-line block ×4, first 2 shown]
	v_cndmask_b32_e32 v84, v87, v95, vcc_lo
	v_cndmask_b32_e64 v70, v70, v99, s27
	s_waitcnt lgkmcnt(0)
	v_lshrrev_b32_e32 v85, 16, v91
	v_lshrrev_b32_e32 v96, 16, v88
	v_cndmask_b32_e64 v98, v87, v95, s2
	v_cndmask_b32_e64 v84, v84, v88, s3
	;; [unrolled: 1-line block ×3, first 2 shown]
	v_cndmask_b32_e32 v99, v91, v85, vcc_lo
	v_cmp_eq_u32_e32 vcc_lo, 7, v81
	v_cndmask_b32_e64 v66, v66, v72, s28
	v_cndmask_b32_e64 v72, v84, v96, s6
	;; [unrolled: 1-line block ×3, first 2 shown]
	v_lshrrev_b32_e32 v98, 16, v92
	v_cndmask_b32_e32 v70, v70, v100, vcc_lo
	v_cndmask_b32_e64 v86, v99, v92, s3
	v_cndmask_b32_e64 v69, v69, v100, s26
	v_lshrrev_b32_e32 v100, 16, v93
	v_cndmask_b32_e64 v72, v72, v89, s8
	v_lshrrev_b32_e32 v99, 16, v89
	v_cndmask_b32_e64 v86, v86, v98, s6
	v_perm_b32 v71, v69, v71, 0x5040100
	v_cndmask_b32_e64 v84, v84, v96, s7
	s_delay_alu instid0(VALU_DEP_3) | instskip(NEXT) | instid1(VALU_DEP_2)
	v_cndmask_b32_e64 v86, v86, v93, s8
	v_cndmask_b32_e64 v84, v84, v89, s10
	s_delay_alu instid0(VALU_DEP_2) | instskip(NEXT) | instid1(VALU_DEP_1)
	v_cndmask_b32_e64 v86, v86, v100, s9
	v_cndmask_b32_e64 v69, v86, v94, s11
	;; [unrolled: 1-line block ×5, first 2 shown]
	s_delay_alu instid0(VALU_DEP_3) | instskip(NEXT) | instid1(VALU_DEP_3)
	v_cndmask_b32_e64 v86, v86, v88, s16
	v_cndmask_b32_e64 v87, v87, v88, s22
	s_delay_alu instid0(VALU_DEP_3) | instskip(NEXT) | instid1(VALU_DEP_3)
	v_cndmask_b32_e64 v88, v95, v92, s22
	v_cndmask_b32_e64 v86, v86, v96, s18
	;; [unrolled: 3-line block ×7, first 2 shown]
	s_delay_alu instid0(VALU_DEP_3) | instskip(SKIP_2) | instid1(VALU_DEP_2)
	v_cndmask_b32_e64 v88, v88, v94, s28
	v_cndmask_b32_e32 v66, v66, v97, vcc_lo
	v_cndmask_b32_e64 v97, v72, v99, s9
	v_perm_b32 v72, v70, v66, 0x5040100
	v_perm_b32 v70, v83, v103, 0x5040100
	v_cndmask_b32_e64 v103, v91, v85, s4
	v_cndmask_b32_e64 v85, v91, v85, s2
	;; [unrolled: 1-line block ×4, first 2 shown]
	v_lshrrev_b32_e32 v97, 16, v90
	v_cndmask_b32_e64 v91, v103, v92, s16
	v_cndmask_b32_e64 v85, v85, v92, s5
	;; [unrolled: 1-line block ×3, first 2 shown]
	s_mov_b32 s2, exec_lo
	v_cndmask_b32_e64 v83, v84, v97, s13
	v_cndmask_b32_e64 v91, v91, v98, s18
	;; [unrolled: 1-line block ×3, first 2 shown]
	v_lshrrev_b32_e32 v84, 16, v94
	v_cndmask_b32_e64 v66, v66, v97, s17
	v_cndmask_b32_e64 v90, v86, v97, s26
	;; [unrolled: 1-line block ×4, first 2 shown]
	v_dual_cndmask_b32 v86, v87, v97 :: v_dual_cndmask_b32 v87, v88, v84
	v_cndmask_b32_e64 v91, v69, v84, s13
	s_delay_alu instid0(VALU_DEP_4) | instskip(NEXT) | instid1(VALU_DEP_4)
	v_cndmask_b32_e64 v89, v89, v100, s21
	v_cndmask_b32_e64 v85, v85, v100, s12
	v_perm_b32 v69, v102, v101, 0x5040100
	v_perm_b32 v86, v87, v86, 0x5040100
	;; [unrolled: 1-line block ×3, first 2 shown]
	v_cndmask_b32_e64 v89, v89, v94, s23
	v_cndmask_b32_e64 v85, v85, v94, s15
	s_mul_i32 s7, s35, 6
	s_delay_alu instid0(VALU_DEP_2) | instskip(NEXT) | instid1(VALU_DEP_2)
	v_cndmask_b32_e64 v88, v89, v84, s26
	v_cndmask_b32_e64 v89, v85, v84, s17
	s_delay_alu instid0(VALU_DEP_2) | instskip(NEXT) | instid1(VALU_DEP_2)
	v_perm_b32 v85, v88, v90, 0x5040100
	v_perm_b32 v84, v89, v66, 0x5040100
	ds_store_b128 v76, v[69:72]
	ds_store_b128 v76, v[83:86] offset:1024
	v_cmpx_gt_u32_e32 6, v0
	s_cbranch_execz .LBB1891_78
; %bb.77:
	s_mul_i32 s3, s7, s30
	s_load_b128 s[8:11], s[0:1], 0x58
	v_add3_u32 v69, s3, s29, v65
	s_delay_alu instid0(VALU_DEP_1) | instskip(NEXT) | instid1(VALU_DEP_1)
	v_mad_u64_u32 v[65:66], null, v69, s34, s[14:15]
	v_ashrrev_i32_e32 v66, 31, v65
	s_delay_alu instid0(VALU_DEP_1) | instskip(SKIP_1) | instid1(VALU_DEP_1)
	v_lshlrev_b64 v[65:66], 2, v[65:66]
	s_waitcnt lgkmcnt(0)
	v_add_co_u32 v69, vcc_lo, s10, v65
	s_delay_alu instid0(VALU_DEP_2)
	v_add_co_ci_u32_e32 v70, vcc_lo, s11, v66, vcc_lo
	v_add_co_u32 v65, vcc_lo, s8, v65
	v_add_co_ci_u32_e32 v66, vcc_lo, s9, v66, vcc_lo
	global_store_b32 v[69:70], v67, off
	global_store_b32 v[65:66], v68, off
.LBB1891_78:
	s_or_b32 exec_lo, exec_lo, s2
	s_waitcnt lgkmcnt(0)
	s_waitcnt_vscnt null, 0x0
	s_barrier
	buffer_gl0_inv
	ds_load_b128 v[83:86], v80
	ds_load_b128 v[87:90], v80 offset:16
	ds_load_b128 v[95:98], v80 offset:2064
	;; [unrolled: 1-line block ×3, first 2 shown]
	v_mov_b32_e32 v65, 0
	ds_load_b128 v[103:106], v80 offset:4112
	ds_load_b128 v[99:102], v80 offset:4096
	;; [unrolled: 1-line block ×4, first 2 shown]
	v_mov_b32_e32 v66, v65
	v_mov_b32_e32 v67, v65
	;; [unrolled: 1-line block ×7, first 2 shown]
	s_waitcnt lgkmcnt(6)
	s_delay_alu instid0(VALU_DEP_1)
	v_wmma_f32_16x16x16_bf16 v[65:72], v[41:48], v[83:90], v[65:72]
	ds_load_b128 v[45:48], v80 offset:8208
	ds_load_b128 v[41:44], v80 offset:8192
	s_waitcnt lgkmcnt(6)
	v_wmma_f32_16x16x16_bf16 v[65:72], v[33:40], v[91:98], v[65:72]
	ds_load_b128 v[37:40], v80 offset:10256
	ds_load_b128 v[33:36], v80 offset:10240
	s_waitcnt lgkmcnt(6)
	v_wmma_f32_16x16x16_bf16 v[65:72], v[25:32], v[99:106], v[65:72]
	ds_load_b128 v[29:32], v80 offset:12304
	ds_load_b128 v[25:28], v80 offset:12288
	s_waitcnt lgkmcnt(6)
	v_wmma_f32_16x16x16_bf16 v[65:72], v[17:24], v[107:114], v[65:72]
	ds_load_b128 v[21:24], v80 offset:14352
	ds_load_b128 v[17:20], v80 offset:14336
	s_waitcnt lgkmcnt(6)
	v_wmma_f32_16x16x16_bf16 v[65:72], v[1:8], v[41:48], v[65:72]
	s_waitcnt lgkmcnt(4)
	s_delay_alu instid0(VALU_DEP_1) | instskip(SKIP_1) | instid1(VALU_DEP_1)
	v_wmma_f32_16x16x16_bf16 v[65:72], v[9:16], v[33:40], v[65:72]
	s_waitcnt lgkmcnt(2)
	v_wmma_f32_16x16x16_bf16 v[65:72], v[57:64], v[25:32], v[65:72]
	s_waitcnt lgkmcnt(0)
	s_delay_alu instid0(VALU_DEP_1) | instskip(NEXT) | instid1(VALU_DEP_1)
	v_wmma_f32_16x16x16_bf16 v[65:72], v[49:56], v[17:24], v[65:72]
	v_and_b32_e32 v1, 0x7f800000, v65
	s_delay_alu instid0(VALU_DEP_1) | instskip(SKIP_1) | instid1(SALU_CYCLE_1)
	v_cmp_ne_u32_e32 vcc_lo, 0x7f800000, v1
                                        ; implicit-def: $vgpr1
	s_and_saveexec_b32 s2, vcc_lo
	s_xor_b32 s2, exec_lo, s2
; %bb.79:
	v_bfe_u32 v1, v65, 16, 1
	s_delay_alu instid0(VALU_DEP_1)
	v_add3_u32 v1, v65, v1, 0x7fff
; %bb.80:
	s_and_not1_saveexec_b32 s2, s2
; %bb.81:
	v_and_b32_e32 v1, 0xffff, v65
	v_or_b32_e32 v2, 0x10000, v65
	s_delay_alu instid0(VALU_DEP_2) | instskip(NEXT) | instid1(VALU_DEP_2)
	v_cmp_eq_u32_e32 vcc_lo, 0, v1
	v_cndmask_b32_e32 v1, v2, v65, vcc_lo
; %bb.82:
	s_or_b32 exec_lo, exec_lo, s2
	v_and_b32_e32 v2, 0x7f800000, v66
	s_delay_alu instid0(VALU_DEP_1) | instskip(SKIP_1) | instid1(SALU_CYCLE_1)
	v_cmp_ne_u32_e32 vcc_lo, 0x7f800000, v2
                                        ; implicit-def: $vgpr2
	s_and_saveexec_b32 s2, vcc_lo
	s_xor_b32 s2, exec_lo, s2
; %bb.83:
	v_bfe_u32 v2, v66, 16, 1
	s_delay_alu instid0(VALU_DEP_1)
	v_add3_u32 v2, v66, v2, 0x7fff
; %bb.84:
	s_and_not1_saveexec_b32 s2, s2
; %bb.85:
	v_and_b32_e32 v2, 0xffff, v66
	v_or_b32_e32 v3, 0x10000, v66
	s_delay_alu instid0(VALU_DEP_2) | instskip(NEXT) | instid1(VALU_DEP_2)
	v_cmp_eq_u32_e32 vcc_lo, 0, v2
	v_cndmask_b32_e32 v2, v3, v66, vcc_lo
; %bb.86:
	s_or_b32 exec_lo, exec_lo, s2
	v_and_b32_e32 v3, 0x7f800000, v67
	s_delay_alu instid0(VALU_DEP_1) | instskip(SKIP_1) | instid1(SALU_CYCLE_1)
	v_cmp_ne_u32_e32 vcc_lo, 0x7f800000, v3
                                        ; implicit-def: $vgpr3
	s_and_saveexec_b32 s2, vcc_lo
	s_xor_b32 s2, exec_lo, s2
; %bb.87:
	v_bfe_u32 v3, v67, 16, 1
	s_delay_alu instid0(VALU_DEP_1)
	v_add3_u32 v3, v67, v3, 0x7fff
; %bb.88:
	s_and_not1_saveexec_b32 s2, s2
; %bb.89:
	v_and_b32_e32 v3, 0xffff, v67
	v_or_b32_e32 v4, 0x10000, v67
	s_delay_alu instid0(VALU_DEP_2) | instskip(NEXT) | instid1(VALU_DEP_2)
	v_cmp_eq_u32_e32 vcc_lo, 0, v3
	v_cndmask_b32_e32 v3, v4, v67, vcc_lo
; %bb.90:
	s_or_b32 exec_lo, exec_lo, s2
	v_and_b32_e32 v4, 0x7f800000, v68
	s_delay_alu instid0(VALU_DEP_1) | instskip(SKIP_1) | instid1(SALU_CYCLE_1)
	v_cmp_ne_u32_e32 vcc_lo, 0x7f800000, v4
                                        ; implicit-def: $vgpr4
	s_and_saveexec_b32 s2, vcc_lo
	s_xor_b32 s2, exec_lo, s2
; %bb.91:
	v_bfe_u32 v4, v68, 16, 1
	s_delay_alu instid0(VALU_DEP_1)
	v_add3_u32 v4, v68, v4, 0x7fff
; %bb.92:
	s_and_not1_saveexec_b32 s2, s2
; %bb.93:
	v_and_b32_e32 v4, 0xffff, v68
	v_or_b32_e32 v5, 0x10000, v68
	s_delay_alu instid0(VALU_DEP_2) | instskip(NEXT) | instid1(VALU_DEP_2)
	v_cmp_eq_u32_e32 vcc_lo, 0, v4
	v_cndmask_b32_e32 v4, v5, v68, vcc_lo
; %bb.94:
	s_or_b32 exec_lo, exec_lo, s2
	v_and_b32_e32 v5, 0x7f800000, v69
	s_delay_alu instid0(VALU_DEP_1) | instskip(SKIP_1) | instid1(SALU_CYCLE_1)
	v_cmp_ne_u32_e32 vcc_lo, 0x7f800000, v5
                                        ; implicit-def: $vgpr5
	s_and_saveexec_b32 s2, vcc_lo
	s_xor_b32 s2, exec_lo, s2
; %bb.95:
	v_bfe_u32 v5, v69, 16, 1
	s_delay_alu instid0(VALU_DEP_1)
	v_add3_u32 v5, v69, v5, 0x7fff
; %bb.96:
	s_and_not1_saveexec_b32 s2, s2
; %bb.97:
	v_and_b32_e32 v5, 0xffff, v69
	v_or_b32_e32 v6, 0x10000, v69
	s_delay_alu instid0(VALU_DEP_2) | instskip(NEXT) | instid1(VALU_DEP_2)
	v_cmp_eq_u32_e32 vcc_lo, 0, v5
	v_cndmask_b32_e32 v5, v6, v69, vcc_lo
; %bb.98:
	s_or_b32 exec_lo, exec_lo, s2
	v_and_b32_e32 v6, 0x7f800000, v70
	s_delay_alu instid0(VALU_DEP_1) | instskip(SKIP_1) | instid1(SALU_CYCLE_1)
	v_cmp_ne_u32_e32 vcc_lo, 0x7f800000, v6
                                        ; implicit-def: $vgpr6
	s_and_saveexec_b32 s2, vcc_lo
	s_xor_b32 s2, exec_lo, s2
; %bb.99:
	v_bfe_u32 v6, v70, 16, 1
	s_delay_alu instid0(VALU_DEP_1)
	v_add3_u32 v6, v70, v6, 0x7fff
; %bb.100:
	s_and_not1_saveexec_b32 s2, s2
; %bb.101:
	v_and_b32_e32 v6, 0xffff, v70
	v_or_b32_e32 v7, 0x10000, v70
	s_delay_alu instid0(VALU_DEP_2) | instskip(NEXT) | instid1(VALU_DEP_2)
	v_cmp_eq_u32_e32 vcc_lo, 0, v6
	v_cndmask_b32_e32 v6, v7, v70, vcc_lo
; %bb.102:
	s_or_b32 exec_lo, exec_lo, s2
	v_and_b32_e32 v7, 0x7f800000, v71
	s_delay_alu instid0(VALU_DEP_1) | instskip(SKIP_1) | instid1(SALU_CYCLE_1)
	v_cmp_ne_u32_e32 vcc_lo, 0x7f800000, v7
                                        ; implicit-def: $vgpr7
	s_and_saveexec_b32 s2, vcc_lo
	s_xor_b32 s2, exec_lo, s2
; %bb.103:
	v_bfe_u32 v7, v71, 16, 1
	s_delay_alu instid0(VALU_DEP_1)
	v_add3_u32 v7, v71, v7, 0x7fff
; %bb.104:
	s_and_not1_saveexec_b32 s2, s2
; %bb.105:
	v_and_b32_e32 v7, 0xffff, v71
	v_or_b32_e32 v8, 0x10000, v71
	s_delay_alu instid0(VALU_DEP_2) | instskip(NEXT) | instid1(VALU_DEP_2)
	v_cmp_eq_u32_e32 vcc_lo, 0, v7
	v_cndmask_b32_e32 v7, v8, v71, vcc_lo
; %bb.106:
	s_or_b32 exec_lo, exec_lo, s2
	v_and_b32_e32 v8, 0x7f800000, v72
	s_delay_alu instid0(VALU_DEP_1) | instskip(SKIP_1) | instid1(SALU_CYCLE_1)
	v_cmp_ne_u32_e32 vcc_lo, 0x7f800000, v8
                                        ; implicit-def: $vgpr8
	s_and_saveexec_b32 s2, vcc_lo
	s_xor_b32 s2, exec_lo, s2
; %bb.107:
	v_bfe_u32 v8, v72, 16, 1
	s_delay_alu instid0(VALU_DEP_1)
	v_add3_u32 v8, v72, v8, 0x7fff
                                        ; implicit-def: $vgpr65_vgpr66_vgpr67_vgpr68_vgpr69_vgpr70_vgpr71_vgpr72
; %bb.108:
	s_and_not1_saveexec_b32 s2, s2
; %bb.109:
	v_and_b32_e32 v8, 0xffff, v72
	v_or_b32_e32 v9, 0x10000, v72
	s_delay_alu instid0(VALU_DEP_2) | instskip(NEXT) | instid1(VALU_DEP_2)
	v_cmp_eq_u32_e32 vcc_lo, 0, v8
	v_cndmask_b32_e32 v8, v9, v72, vcc_lo
; %bb.110:
	s_or_b32 exec_lo, exec_lo, s2
	s_delay_alu instid0(VALU_DEP_1)
	v_perm_b32 v7, v8, v7, 0x7060302
	v_perm_b32 v6, v6, v5, 0x7060302
	v_perm_b32 v5, v4, v3, 0x7060302
	v_perm_b32 v4, v2, v1, 0x7060302
	s_barrier
	buffer_gl0_inv
	v_cmp_eq_u32_e32 vcc_lo, 1, v78
	ds_store_b128 v76, v[4:7]
	s_waitcnt lgkmcnt(0)
	s_barrier
	buffer_gl0_inv
	ds_load_b128 v[1:4], v82
	ds_load_b128 v[5:8], v82 offset:16
	v_cmp_eq_u32_e64 s2, 1, v79
	v_cmp_eq_u32_e64 s3, 2, v78
	;; [unrolled: 1-line block ×5, first 2 shown]
	s_waitcnt lgkmcnt(1)
	v_lshrrev_b32_e32 v9, 16, v1
	s_waitcnt lgkmcnt(0)
	v_lshrrev_b32_e32 v13, 16, v5
	v_lshrrev_b32_e32 v10, 16, v2
	;; [unrolled: 1-line block ×4, first 2 shown]
	v_cndmask_b32_e64 v19, v1, v9, s2
	v_cndmask_b32_e32 v18, v5, v13, vcc_lo
	v_cndmask_b32_e64 v20, v5, v13, s2
	v_cndmask_b32_e32 v17, v1, v9, vcc_lo
	v_cmp_eq_u32_e32 vcc_lo, 2, v79
	v_lshrrev_b32_e32 v15, 16, v7
	v_cmp_eq_u32_e64 s2, 1, v77
	v_lshrrev_b32_e32 v12, 16, v4
	v_lshrrev_b32_e32 v16, 16, v8
	v_cndmask_b32_e32 v20, v20, v6, vcc_lo
	v_cndmask_b32_e64 v17, v17, v2, s3
	v_cndmask_b32_e32 v19, v19, v2, vcc_lo
	v_cndmask_b32_e64 v18, v18, v6, s3
	v_cmp_eq_u32_e32 vcc_lo, 4, v78
	v_cmp_eq_u32_e64 s3, 3, v79
	v_cndmask_b32_e64 v17, v17, v10, s4
	v_cndmask_b32_e64 v21, v1, v9, s2
	;; [unrolled: 1-line block ×5, first 2 shown]
	v_cndmask_b32_e32 v17, v17, v3, vcc_lo
	v_cndmask_b32_e64 v20, v20, v14, s3
	v_cndmask_b32_e32 v18, v18, v7, vcc_lo
	v_cmp_eq_u32_e32 vcc_lo, 4, v79
	v_cmp_eq_u32_e64 s3, 5, v79
	v_cmp_eq_u32_e64 s2, 2, v81
	v_cndmask_b32_e64 v21, v21, v2, s6
	v_cmp_eq_u32_e64 s4, 5, v78
	v_cndmask_b32_e32 v19, v19, v3, vcc_lo
	v_cndmask_b32_e32 v20, v20, v7, vcc_lo
	v_cmp_eq_u32_e32 vcc_lo, 6, v79
	s_delay_alu instid0(VALU_DEP_4) | instskip(NEXT) | instid1(VALU_DEP_4)
	v_cndmask_b32_e64 v17, v17, v11, s4
	v_cndmask_b32_e64 v19, v19, v11, s3
	s_delay_alu instid0(VALU_DEP_4) | instskip(SKIP_1) | instid1(VALU_DEP_3)
	v_cndmask_b32_e64 v20, v20, v15, s3
	v_cmp_eq_u32_e64 s3, 1, v81
	v_cndmask_b32_e32 v19, v19, v4, vcc_lo
	v_cndmask_b32_e64 v18, v18, v15, s4
	s_delay_alu instid0(VALU_DEP_3)
	v_cndmask_b32_e64 v1, v1, v9, s3
	v_cndmask_b32_e64 v5, v5, v13, s3
	v_cmp_eq_u32_e64 s3, 3, v77
	v_cndmask_b32_e64 v13, v22, v6, s6
	v_cmp_eq_u32_e64 s6, 3, v81
	v_cndmask_b32_e64 v1, v1, v2, s2
	v_cndmask_b32_e64 v2, v5, v6, s2
	;; [unrolled: 1-line block ×3, first 2 shown]
	v_cmp_eq_u32_e64 s2, 4, v77
	v_cndmask_b32_e64 v6, v13, v14, s3
	v_cndmask_b32_e64 v1, v1, v10, s6
	v_cmp_eq_u32_e64 s3, 4, v81
	v_cndmask_b32_e64 v2, v2, v14, s6
	v_cndmask_b32_e64 v5, v9, v3, s2
	;; [unrolled: 3-line block ×3, first 2 shown]
	v_cndmask_b32_e64 v2, v2, v7, s3
	v_cmp_eq_u32_e64 s2, 5, v81
	v_cmp_eq_u32_e64 s4, 6, v78
	v_cndmask_b32_e64 v5, v5, v11, s6
	v_cmp_eq_u32_e64 s3, 6, v77
	v_cndmask_b32_e64 v3, v6, v15, s6
	v_cndmask_b32_e64 v1, v1, v11, s2
	v_cmp_eq_u32_e64 s6, 6, v81
	v_cndmask_b32_e64 v2, v2, v15, s2
	v_cndmask_b32_e64 v17, v17, v4, s4
	v_cndmask_b32_e64 v18, v18, v8, s4
	v_cmp_eq_u32_e64 s4, 7, v78
	v_cndmask_b32_e64 v5, v5, v4, s3
	;; [unrolled: 4-line block ×3, first 2 shown]
	v_cmp_eq_u32_e64 s3, 7, v77
	v_cndmask_b32_e32 v4, v20, v8, vcc_lo
	v_cndmask_b32_e64 v17, v17, v12, s4
	v_cndmask_b32_e64 v19, v19, v12, s5
	;; [unrolled: 1-line block ×8, first 2 shown]
	s_mov_b32 s2, exec_lo
	v_perm_b32 v4, v2, v1, 0x5040100
	v_perm_b32 v3, v3, v5, 0x5040100
	;; [unrolled: 1-line block ×4, first 2 shown]
	ds_store_b128 v76, v[1:4]
	s_waitcnt lgkmcnt(0)
	s_barrier
	buffer_gl0_inv
	v_cmpx_gt_u32_e32 32, v0
	s_cbranch_execz .LBB1891_2
; %bb.111:
	s_load_b64 s[0:1], s[0:1], 0x68
	s_lshl_b32 s4, s34, 7
	v_or_b32_e32 v3, s29, v74
	s_mul_i32 s2, s4, s30
	v_lshlrev_b32_e32 v0, 10, v0
	s_mul_i32 s2, s2, s7
	v_lshlrev_b32_e32 v1, 4, v75
	s_ashr_i32 s3, s2, 31
	v_mul_lo_u32 v12, v3, s4
	s_lshl_b64 s[2:3], s[2:3], 1
	v_lshlrev_b32_e32 v2, 6, v74
	v_and_b32_e32 v0, 0x3800, v0
	s_delay_alu instid0(VALU_DEP_1) | instskip(NEXT) | instid1(VALU_DEP_4)
	v_or3_b32 v8, v0, v1, v2
	v_ashrrev_i32_e32 v13, 31, v12
	ds_load_b128 v[0:3], v8
	ds_load_b128 v[4:7], v8 offset:128
	ds_load_b128 v[8:11], v8 offset:256
	s_waitcnt lgkmcnt(0)
	s_add_u32 s2, s0, s2
	s_addc_u32 s3, s1, s3
	s_lshl_b32 s0, s14, 7
	s_delay_alu instid0(SALU_CYCLE_1) | instskip(NEXT) | instid1(SALU_CYCLE_1)
	s_ashr_i32 s1, s0, 31
	s_lshl_b64 s[0:1], s[0:1], 1
	s_delay_alu instid0(SALU_CYCLE_1)
	s_add_u32 s0, s2, s0
	s_addc_u32 s1, s3, s1
	s_lshl_b32 s2, s34, 8
	v_add_co_u32 v18, s0, s0, v73
	v_add_nc_u32_e32 v14, s2, v12
	v_lshlrev_b64 v[12:13], 1, v[12:13]
	v_add_co_ci_u32_e64 v19, null, s1, 0, s0
	s_delay_alu instid0(VALU_DEP_3) | instskip(SKIP_1) | instid1(VALU_DEP_4)
	v_add_nc_u32_e32 v16, s2, v14
	v_ashrrev_i32_e32 v15, 31, v14
	v_add_co_u32 v12, vcc_lo, v18, v12
	s_delay_alu instid0(VALU_DEP_4) | instskip(NEXT) | instid1(VALU_DEP_4)
	v_add_co_ci_u32_e32 v13, vcc_lo, v19, v13, vcc_lo
	v_ashrrev_i32_e32 v17, 31, v16
	s_delay_alu instid0(VALU_DEP_4) | instskip(NEXT) | instid1(VALU_DEP_2)
	v_lshlrev_b64 v[14:15], 1, v[14:15]
	v_lshlrev_b64 v[16:17], 1, v[16:17]
	s_delay_alu instid0(VALU_DEP_2) | instskip(NEXT) | instid1(VALU_DEP_3)
	v_add_co_u32 v14, vcc_lo, v18, v14
	v_add_co_ci_u32_e32 v15, vcc_lo, v19, v15, vcc_lo
	s_delay_alu instid0(VALU_DEP_3) | instskip(NEXT) | instid1(VALU_DEP_4)
	v_add_co_u32 v16, vcc_lo, v18, v16
	v_add_co_ci_u32_e32 v17, vcc_lo, v19, v17, vcc_lo
	s_clause 0x2
	global_store_b128 v[12:13], v[0:3], off
	global_store_b128 v[14:15], v[4:7], off
	;; [unrolled: 1-line block ×3, first 2 shown]
	s_nop 0
	s_sendmsg sendmsg(MSG_DEALLOC_VGPRS)
	s_endpgm
	.section	.rodata,"a",@progbits
	.p2align	6, 0x0
	.amdhsa_kernel _Z39paged_attention_ll4mi_QKV_mfma16_kernelI14__hip_bfloat16hLN4vllm18Fp8KVCacheDataTypeE1ES0_Li32ELi128ELi256ELb1ELi6EL8MFMAType0EEvPKT_PKT0_S9_ifPKiSB_SB_iPKfiiiPfSE_PS4_PT2_iSD_SD_
		.amdhsa_group_segment_fixed_size 17472
		.amdhsa_private_segment_fixed_size 0
		.amdhsa_kernarg_size 400
		.amdhsa_user_sgpr_count 13
		.amdhsa_user_sgpr_dispatch_ptr 0
		.amdhsa_user_sgpr_queue_ptr 0
		.amdhsa_user_sgpr_kernarg_segment_ptr 1
		.amdhsa_user_sgpr_dispatch_id 0
		.amdhsa_user_sgpr_private_segment_size 0
		.amdhsa_wavefront_size32 1
		.amdhsa_uses_dynamic_stack 0
		.amdhsa_enable_private_segment 0
		.amdhsa_system_sgpr_workgroup_id_x 1
		.amdhsa_system_sgpr_workgroup_id_y 1
		.amdhsa_system_sgpr_workgroup_id_z 1
		.amdhsa_system_sgpr_workgroup_info 0
		.amdhsa_system_vgpr_workitem_id 0
		.amdhsa_next_free_vgpr 140
		.amdhsa_next_free_sgpr 36
		.amdhsa_reserve_vcc 1
		.amdhsa_float_round_mode_32 0
		.amdhsa_float_round_mode_16_64 0
		.amdhsa_float_denorm_mode_32 3
		.amdhsa_float_denorm_mode_16_64 3
		.amdhsa_dx10_clamp 1
		.amdhsa_ieee_mode 1
		.amdhsa_fp16_overflow 0
		.amdhsa_workgroup_processor_mode 1
		.amdhsa_memory_ordered 1
		.amdhsa_forward_progress 0
		.amdhsa_shared_vgpr_count 0
		.amdhsa_exception_fp_ieee_invalid_op 0
		.amdhsa_exception_fp_denorm_src 0
		.amdhsa_exception_fp_ieee_div_zero 0
		.amdhsa_exception_fp_ieee_overflow 0
		.amdhsa_exception_fp_ieee_underflow 0
		.amdhsa_exception_fp_ieee_inexact 0
		.amdhsa_exception_int_div_zero 0
	.end_amdhsa_kernel
	.section	.text._Z39paged_attention_ll4mi_QKV_mfma16_kernelI14__hip_bfloat16hLN4vllm18Fp8KVCacheDataTypeE1ES0_Li32ELi128ELi256ELb1ELi6EL8MFMAType0EEvPKT_PKT0_S9_ifPKiSB_SB_iPKfiiiPfSE_PS4_PT2_iSD_SD_,"axG",@progbits,_Z39paged_attention_ll4mi_QKV_mfma16_kernelI14__hip_bfloat16hLN4vllm18Fp8KVCacheDataTypeE1ES0_Li32ELi128ELi256ELb1ELi6EL8MFMAType0EEvPKT_PKT0_S9_ifPKiSB_SB_iPKfiiiPfSE_PS4_PT2_iSD_SD_,comdat
.Lfunc_end1891:
	.size	_Z39paged_attention_ll4mi_QKV_mfma16_kernelI14__hip_bfloat16hLN4vllm18Fp8KVCacheDataTypeE1ES0_Li32ELi128ELi256ELb1ELi6EL8MFMAType0EEvPKT_PKT0_S9_ifPKiSB_SB_iPKfiiiPfSE_PS4_PT2_iSD_SD_, .Lfunc_end1891-_Z39paged_attention_ll4mi_QKV_mfma16_kernelI14__hip_bfloat16hLN4vllm18Fp8KVCacheDataTypeE1ES0_Li32ELi128ELi256ELb1ELi6EL8MFMAType0EEvPKT_PKT0_S9_ifPKiSB_SB_iPKfiiiPfSE_PS4_PT2_iSD_SD_
                                        ; -- End function
	.section	.AMDGPU.csdata,"",@progbits
; Kernel info:
; codeLenInByte = 8896
; NumSgprs: 38
; NumVgprs: 140
; ScratchSize: 0
; MemoryBound: 0
; FloatMode: 240
; IeeeMode: 1
; LDSByteSize: 17472 bytes/workgroup (compile time only)
; SGPRBlocks: 4
; VGPRBlocks: 17
; NumSGPRsForWavesPerEU: 38
; NumVGPRsForWavesPerEU: 140
; Occupancy: 10
; WaveLimiterHint : 1
; COMPUTE_PGM_RSRC2:SCRATCH_EN: 0
; COMPUTE_PGM_RSRC2:USER_SGPR: 13
; COMPUTE_PGM_RSRC2:TRAP_HANDLER: 0
; COMPUTE_PGM_RSRC2:TGID_X_EN: 1
; COMPUTE_PGM_RSRC2:TGID_Y_EN: 1
; COMPUTE_PGM_RSRC2:TGID_Z_EN: 1
; COMPUTE_PGM_RSRC2:TIDIG_COMP_CNT: 0
	.section	.text._Z39paged_attention_ll4mi_QKV_mfma16_kernelI14__hip_bfloat16hLN4vllm18Fp8KVCacheDataTypeE1ES0_Li32ELi128ELi256ELb1ELi7EL8MFMAType0EEvPKT_PKT0_S9_ifPKiSB_SB_iPKfiiiPfSE_PS4_PT2_iSD_SD_,"axG",@progbits,_Z39paged_attention_ll4mi_QKV_mfma16_kernelI14__hip_bfloat16hLN4vllm18Fp8KVCacheDataTypeE1ES0_Li32ELi128ELi256ELb1ELi7EL8MFMAType0EEvPKT_PKT0_S9_ifPKiSB_SB_iPKfiiiPfSE_PS4_PT2_iSD_SD_,comdat
	.protected	_Z39paged_attention_ll4mi_QKV_mfma16_kernelI14__hip_bfloat16hLN4vllm18Fp8KVCacheDataTypeE1ES0_Li32ELi128ELi256ELb1ELi7EL8MFMAType0EEvPKT_PKT0_S9_ifPKiSB_SB_iPKfiiiPfSE_PS4_PT2_iSD_SD_ ; -- Begin function _Z39paged_attention_ll4mi_QKV_mfma16_kernelI14__hip_bfloat16hLN4vllm18Fp8KVCacheDataTypeE1ES0_Li32ELi128ELi256ELb1ELi7EL8MFMAType0EEvPKT_PKT0_S9_ifPKiSB_SB_iPKfiiiPfSE_PS4_PT2_iSD_SD_
	.globl	_Z39paged_attention_ll4mi_QKV_mfma16_kernelI14__hip_bfloat16hLN4vllm18Fp8KVCacheDataTypeE1ES0_Li32ELi128ELi256ELb1ELi7EL8MFMAType0EEvPKT_PKT0_S9_ifPKiSB_SB_iPKfiiiPfSE_PS4_PT2_iSD_SD_
	.p2align	8
	.type	_Z39paged_attention_ll4mi_QKV_mfma16_kernelI14__hip_bfloat16hLN4vllm18Fp8KVCacheDataTypeE1ES0_Li32ELi128ELi256ELb1ELi7EL8MFMAType0EEvPKT_PKT0_S9_ifPKiSB_SB_iPKfiiiPfSE_PS4_PT2_iSD_SD_,@function
_Z39paged_attention_ll4mi_QKV_mfma16_kernelI14__hip_bfloat16hLN4vllm18Fp8KVCacheDataTypeE1ES0_Li32ELi128ELi256ELb1ELi7EL8MFMAType0EEvPKT_PKT0_S9_ifPKiSB_SB_iPKfiiiPfSE_PS4_PT2_iSD_SD_: ; @_Z39paged_attention_ll4mi_QKV_mfma16_kernelI14__hip_bfloat16hLN4vllm18Fp8KVCacheDataTypeE1ES0_Li32ELi128ELi256ELb1ELi7EL8MFMAType0EEvPKT_PKT0_S9_ifPKiSB_SB_iPKfiiiPfSE_PS4_PT2_iSD_SD_
; %bb.0:
	s_load_b64 s[4:5], s[0:1], 0x30
	s_mov_b32 s30, s13
	s_waitcnt lgkmcnt(0)
	s_cmp_lg_u64 s[4:5], 0
	s_cselect_b32 s13, -1, 0
	s_ashr_i32 s31, s30, 31
	s_cmp_eq_u64 s[4:5], 0
	s_cbranch_scc1 .LBB1892_3
; %bb.1:
	s_lshl_b64 s[2:3], s[30:31], 2
	s_delay_alu instid0(SALU_CYCLE_1) | instskip(SKIP_4) | instid1(SALU_CYCLE_1)
	s_add_u32 s2, s4, s2
	s_addc_u32 s3, s5, s3
	s_load_b64 s[2:3], s[2:3], 0x0
	s_waitcnt lgkmcnt(0)
	s_sub_i32 s2, s3, s2
	s_cmp_eq_u32 s2, 1
	s_cselect_b32 s2, -1, 0
	s_delay_alu instid0(SALU_CYCLE_1)
	s_and_not1_b32 vcc_lo, exec_lo, s2
	s_cbranch_vccz .LBB1892_4
.LBB1892_2:
	s_nop 0
	s_sendmsg sendmsg(MSG_DEALLOC_VGPRS)
	s_endpgm
.LBB1892_3:
.LBB1892_4:
	s_load_b64 s[2:3], s[0:1], 0x28
	s_lshl_b64 s[6:7], s[30:31], 2
	s_waitcnt lgkmcnt(0)
	s_add_u32 s2, s2, s6
	s_addc_u32 s3, s3, s7
	s_lshl_b32 s12, s14, 8
	s_load_b32 s17, s[2:3], 0x0
	s_waitcnt lgkmcnt(0)
	s_cmp_ge_i32 s12, s17
	s_cbranch_scc1 .LBB1892_2
; %bb.5:
	s_clause 0x1
	s_load_b128 s[8:11], s[0:1], 0x8
	s_load_b64 s[2:3], s[0:1], 0x20
	s_and_not1_b32 vcc_lo, exec_lo, s13
	s_cbranch_vccnz .LBB1892_7
; %bb.6:
	s_add_u32 s4, s4, s6
	s_addc_u32 s5, s5, s7
	s_load_b32 s13, s[4:5], 0x0
	s_branch .LBB1892_8
.LBB1892_7:
	s_mov_b32 s13, s30
.LBB1892_8:
	s_load_b128 s[4:7], s[0:1], 0x48
	v_and_b32_e32 v65, 15, v0
	v_lshrrev_b32_e32 v66, 5, v0
	v_bfe_u32 v74, v0, 4, 1
	v_and_b32_e32 v67, 31, v0
	v_and_b32_e32 v75, 1, v0
	v_lshlrev_b32_e32 v2, 3, v65
	s_mul_i32 s31, s15, 7
	v_lshl_or_b32 v1, v66, 1, v74
	s_waitcnt lgkmcnt(0)
	s_mov_b32 s7, exec_lo
	v_lshlrev_b32_e32 v73, 1, v2
	s_delay_alu instid0(VALU_DEP_2)
	v_cmpx_gt_u32_e32 7, v1
	s_cbranch_execz .LBB1892_10
; %bb.9:
	s_load_b64 s[18:19], s[0:1], 0x0
	v_add_lshl_u32 v2, v1, s31, 7
	s_mul_hi_i32 s21, s13, s4
	s_mul_i32 s20, s13, s4
	v_lshlrev_b32_e32 v6, 10, v65
	s_lshl_b64 s[20:21], s[20:21], 1
	v_ashrrev_i32_e32 v3, 31, v2
	v_lshlrev_b32_e32 v1, 6, v1
	v_lshlrev_b32_e32 v7, 10, v75
	v_and_b32_e32 v6, 0x3800, v6
	s_delay_alu instid0(VALU_DEP_4) | instskip(NEXT) | instid1(VALU_DEP_2)
	v_lshlrev_b64 v[2:3], 1, v[2:3]
	v_or3_b32 v1, v6, v7, v1
	s_waitcnt lgkmcnt(0)
	s_add_u32 s4, s18, s20
	s_addc_u32 s13, s19, s21
	s_delay_alu instid0(VALU_DEP_2) | instskip(SKIP_1) | instid1(VALU_DEP_2)
	v_add_co_u32 v2, vcc_lo, s4, v2
	v_add_co_ci_u32_e32 v3, vcc_lo, s13, v3, vcc_lo
	v_add_co_u32 v2, vcc_lo, v2, v73
	s_delay_alu instid0(VALU_DEP_2)
	v_add_co_ci_u32_e32 v3, vcc_lo, 0, v3, vcc_lo
	global_load_b128 v[2:5], v[2:3], off
	s_waitcnt vmcnt(0)
	ds_store_b128 v1, v[2:5]
.LBB1892_10:
	s_or_b32 exec_lo, exec_lo, s7
	v_and_b32_e32 v1, 0xef, v0
	s_add_i32 s4, s17, 31
	s_clause 0x1
	s_load_b32 s7, s[0:1], 0x38
	s_load_b32 s18, s[0:1], 0x1c
	s_ashr_i32 s13, s4, 31
	v_add_nc_u32_e32 v2, s12, v1
	s_lshr_b32 s13, s13, 27
	s_waitcnt lgkmcnt(0)
	s_add_i32 s4, s4, s13
	s_barrier
	v_ashrrev_i32_e32 v1, 31, v2
	s_ashr_i32 s4, s4, 5
	v_cmp_gt_i32_e32 vcc_lo, s17, v2
	s_add_i32 s4, s4, -1
	buffer_gl0_inv
	v_lshrrev_b32_e32 v3, 27, v1
	v_or_b32_e32 v1, 16, v2
	s_mul_i32 s15, s15, s6
	s_delay_alu instid0(VALU_DEP_2) | instskip(SKIP_1) | instid1(SALU_CYCLE_1)
	v_add_nc_u32_e32 v4, v2, v3
	s_mul_i32 s20, s30, s7
	s_ashr_i32 s21, s20, 31
	s_delay_alu instid0(VALU_DEP_1) | instskip(SKIP_2) | instid1(SALU_CYCLE_1)
	v_ashrrev_i32_e32 v4, 5, v4
	v_add_nc_u32_e32 v3, v1, v3
	s_lshl_b64 s[20:21], s[20:21], 2
	s_add_u32 s7, s2, s20
	s_delay_alu instid0(VALU_DEP_2) | instskip(NEXT) | instid1(VALU_DEP_2)
	v_cndmask_b32_e32 v2, s4, v4, vcc_lo
	v_ashrrev_i32_e32 v3, 5, v3
	v_cmp_gt_i32_e32 vcc_lo, s17, v1
	s_addc_u32 s13, s3, s21
	s_ashr_i32 s6, s15, 31
	s_add_u32 s2, s8, s15
	s_addc_u32 s3, s9, s6
	v_cndmask_b32_e32 v4, s4, v3, vcc_lo
	v_ashrrev_i32_e32 v3, 31, v2
	s_lshl_b32 s8, s14, 3
	s_delay_alu instid0(SALU_CYCLE_1) | instskip(NEXT) | instid1(VALU_DEP_2)
	s_ashr_i32 s9, s8, 31
	v_ashrrev_i32_e32 v5, 31, v4
	s_delay_alu instid0(VALU_DEP_2) | instskip(SKIP_1) | instid1(SALU_CYCLE_1)
	v_lshlrev_b64 v[1:2], 2, v[2:3]
	s_lshl_b64 s[8:9], s[8:9], 2
	s_add_u32 s8, s7, s8
	s_delay_alu instid0(VALU_DEP_2) | instskip(SKIP_1) | instid1(VALU_DEP_2)
	v_lshlrev_b64 v[3:4], 2, v[4:5]
	s_addc_u32 s9, s13, s9
	v_add_co_u32 v1, vcc_lo, s7, v1
	v_add_co_ci_u32_e32 v2, vcc_lo, s13, v2, vcc_lo
	s_delay_alu instid0(VALU_DEP_3) | instskip(NEXT) | instid1(VALU_DEP_4)
	v_add_co_u32 v3, vcc_lo, s7, v3
	v_add_co_ci_u32_e32 v4, vcc_lo, s13, v4, vcc_lo
	s_clause 0x1
	global_load_b32 v5, v[1:2], off
	global_load_b32 v6, v[3:4], off
	s_or_b32 s16, s12, 32
	s_delay_alu instid0(SALU_CYCLE_1) | instskip(SKIP_2) | instid1(SALU_CYCLE_1)
	s_ashr_i32 s19, s16, 5
	s_cmp_lt_i32 s16, s17
	s_cselect_b32 s20, s19, s4
	s_ashr_i32 s21, s20, 31
	s_delay_alu instid0(SALU_CYCLE_1) | instskip(NEXT) | instid1(SALU_CYCLE_1)
	s_lshl_b64 s[20:21], s[20:21], 2
	s_add_u32 s20, s7, s20
	s_addc_u32 s21, s13, s21
	s_or_b32 s16, s12, 64
	s_delay_alu instid0(SALU_CYCLE_1) | instskip(SKIP_2) | instid1(SALU_CYCLE_1)
	s_ashr_i32 s19, s16, 5
	s_cmp_lt_i32 s16, s17
	s_cselect_b32 s22, s19, s4
	s_ashr_i32 s23, s22, 31
	s_delay_alu instid0(SALU_CYCLE_1) | instskip(NEXT) | instid1(SALU_CYCLE_1)
	s_lshl_b64 s[22:23], s[22:23], 2
	s_add_u32 s22, s7, s22
	s_addc_u32 s23, s13, s23
	;; [unrolled: 10-line block ×5, first 2 shown]
	s_clause 0x5
	s_load_b32 s16, s[8:9], 0x0
	s_load_b32 s19, s[20:21], 0x0
	;; [unrolled: 1-line block ×6, first 2 shown]
	s_mov_b32 s20, 0
	s_delay_alu instid0(SALU_CYCLE_1)
	s_mov_b32 s21, s20
	s_mov_b32 s22, s20
	;; [unrolled: 1-line block ×7, first 2 shown]
	s_delay_alu instid0(SALU_CYCLE_1)
	v_dual_mov_b32 v107, s27 :: v_dual_mov_b32 v106, s26
	v_dual_mov_b32 v105, s25 :: v_dual_mov_b32 v102, s22
	;; [unrolled: 1-line block ×4, first 2 shown]
	s_waitcnt vmcnt(1)
	v_mad_i64_i32 v[1:2], null, v5, s5, s[2:3]
	v_lshlrev_b32_e32 v5, 4, v65
	s_waitcnt vmcnt(0)
	v_mad_i64_i32 v[3:4], null, v6, s5, s[2:3]
	s_or_b32 s2, s12, 0xc0
	s_delay_alu instid0(SALU_CYCLE_1) | instskip(NEXT) | instid1(VALU_DEP_3)
	s_ashr_i32 s3, s2, 5
	v_add_co_u32 v25, vcc_lo, v1, v5
	s_delay_alu instid0(VALU_DEP_4) | instskip(NEXT) | instid1(VALU_DEP_3)
	v_add_co_ci_u32_e32 v26, vcc_lo, 0, v2, vcc_lo
	v_add_co_u32 v27, vcc_lo, v3, v5
	s_delay_alu instid0(VALU_DEP_4)
	v_add_co_ci_u32_e32 v28, vcc_lo, 0, v4, vcc_lo
	s_clause 0xf
	global_load_b128 v[1:4], v[25:26], off
	global_load_b128 v[5:8], v[25:26], off offset:512
	global_load_b128 v[9:12], v[27:28], off offset:256
	;; [unrolled: 1-line block ×15, first 2 shown]
	v_mul_lo_u16 v25, v65, 37
	s_cmp_lt_i32 s2, s17
	v_lshlrev_b32_e32 v26, 5, v65
	s_cselect_b32 s2, s3, s4
	s_delay_alu instid0(VALU_DEP_2) | instskip(SKIP_1) | instid1(VALU_DEP_2)
	v_lshrrev_b16 v25, 8, v25
	s_ashr_i32 s3, s2, 31
	v_lshl_or_b32 v33, v66, 9, v26
	s_lshl_b64 s[2:3], s[2:3], 2
	s_delay_alu instid0(VALU_DEP_2) | instskip(SKIP_3) | instid1(VALU_DEP_1)
	v_mul_lo_u16 v25, v25, 7
	s_add_u32 s2, s7, s2
	s_addc_u32 s3, s13, s3
	s_or_b32 s8, s12, 0xe0
	v_sub_nc_u16 v25, v65, v25
	s_ashr_i32 s9, s8, 5
	s_cmp_lt_i32 s8, s17
	s_cselect_b32 s8, s9, s4
	s_delay_alu instid0(VALU_DEP_1) | instskip(SKIP_1) | instid1(SALU_CYCLE_1)
	v_and_b32_e32 v25, 0xff, v25
	s_ashr_i32 s9, s8, 31
	s_lshl_b64 s[8:9], s[8:9], 2
	s_delay_alu instid0(VALU_DEP_1)
	v_lshlrev_b32_e32 v72, 6, v25
	ds_load_b128 v[25:28], v72
	ds_load_b128 v[29:32], v72 offset:1024
	ds_load_b128 v[108:111], v72 offset:2048
	;; [unrolled: 1-line block ×3, first 2 shown]
	s_load_b32 s4, s[2:3], 0x0
	s_add_u32 s2, s7, s8
	s_addc_u32 s3, s13, s9
	ds_load_b128 v[116:119], v72 offset:4096
	ds_load_b128 v[120:123], v72 offset:5120
	s_load_b32 s2, s[2:3], 0x0
	s_add_u32 s7, s10, s15
	s_addc_u32 s6, s11, s6
	v_add_co_u32 v68, s7, s7, v33
	s_delay_alu instid0(VALU_DEP_1) | instskip(SKIP_1) | instid1(VALU_DEP_1)
	v_add_co_ci_u32_e64 v69, null, s6, 0, s7
	s_waitcnt lgkmcnt(0)
	v_mad_i64_i32 v[33:34], null, s16, s5, v[68:69]
	v_mad_i64_i32 v[70:71], null, s33, s5, v[68:69]
	;; [unrolled: 1-line block ×7, first 2 shown]
	s_clause 0x3
	global_load_b128 v[41:44], v[33:34], off
	global_load_b128 v[45:48], v[33:34], off offset:16
	global_load_b128 v[33:36], v[37:38], off
	global_load_b128 v[37:40], v[37:38], off offset:16
	s_waitcnt vmcnt(18)
	v_wmma_f32_16x16x16_bf16 v[124:131], v[1:8], v[25:32], v[100:107]
	s_waitcnt vmcnt(16)
	v_wmma_f32_16x16x16_bf16 v[100:107], v[9:16], v[25:32], v[100:107]
	s_clause 0x1
	global_load_b128 v[25:28], v[70:71], off
	global_load_b128 v[29:32], v[70:71], off offset:16
	s_waitcnt vmcnt(16)
	v_wmma_f32_16x16x16_bf16 v[124:131], v[17:24], v[108:115], v[124:131]
	s_clause 0x1
	global_load_b128 v[17:20], v[132:133], off
	global_load_b128 v[21:24], v[132:133], off offset:16
	s_waitcnt vmcnt(16)
	v_wmma_f32_16x16x16_bf16 v[100:107], v[49:56], v[108:115], v[100:107]
	v_mad_i64_i32 v[53:54], null, s2, s5, v[68:69]
	s_clause 0x3
	global_load_b128 v[1:4], v[134:135], off
	global_load_b128 v[5:8], v[134:135], off offset:16
	global_load_b128 v[9:12], v[136:137], off
	global_load_b128 v[13:16], v[136:137], off offset:16
	s_waitcnt vmcnt(18)
	v_wmma_f32_16x16x16_bf16 v[124:131], v[57:64], v[116:123], v[124:131]
	s_clause 0x3
	global_load_b128 v[57:60], v[138:139], off
	global_load_b128 v[61:64], v[138:139], off offset:16
	global_load_b128 v[49:52], v[53:54], off
	global_load_b128 v[53:56], v[53:54], off offset:16
	s_waitcnt vmcnt(20)
	v_wmma_f32_16x16x16_bf16 v[100:107], v[76:83], v[116:123], v[100:107]
	ds_load_b128 v[76:79], v72 offset:6144
	ds_load_b128 v[80:83], v72 offset:7168
	v_mbcnt_lo_u32_b32 v69, -1, 0
	s_waitcnt vmcnt(0) lgkmcnt(0)
	s_barrier
	buffer_gl0_inv
	v_xor_b32_e32 v70, 16, v69
	s_delay_alu instid0(VALU_DEP_1) | instskip(SKIP_4) | instid1(VALU_DEP_2)
	v_cmp_gt_i32_e32 vcc_lo, 32, v70
	v_cndmask_b32_e32 v69, v69, v70, vcc_lo
	v_wmma_f32_16x16x16_bf16 v[124:131], v[84:91], v[76:83], v[124:131]
	v_and_b32_e32 v68, 0xe0, v0
	v_wmma_f32_16x16x16_bf16 v[100:107], v[92:99], v[76:83], v[100:107]
	v_dual_mul_f32 v81, s18, v129 :: v_dual_add_nc_u32 v68, s12, v68
	s_delay_alu instid0(VALU_DEP_4) | instskip(NEXT) | instid1(VALU_DEP_3)
	v_dual_mul_f32 v83, s18, v131 :: v_dual_mul_f32 v78, s18, v125
	v_mul_f32_e32 v95, s18, v103
	v_mul_f32_e32 v79, s18, v127
	s_delay_alu instid0(VALU_DEP_4) | instskip(SKIP_3) | instid1(VALU_DEP_4)
	v_or_b32_e32 v68, v68, v74
	v_dual_mul_f32 v80, s18, v126 :: v_dual_mul_f32 v97, s18, v105
	v_dual_mul_f32 v93, s18, v101 :: v_dual_mul_f32 v82, s18, v128
	v_mul_f32_e32 v99, s18, v107
	v_or_b32_e32 v70, 2, v68
	v_or_b32_e32 v71, 4, v68
	;; [unrolled: 1-line block ×3, first 2 shown]
	v_cmp_gt_i32_e64 s2, s17, v68
	v_or_b32_e32 v108, 8, v68
	v_cmp_gt_i32_e32 vcc_lo, s17, v70
	v_mul_f32_e32 v70, s18, v124
	v_or_b32_e32 v109, 10, v68
	v_cmp_gt_i32_e64 s3, s17, v71
	v_cmp_gt_i32_e64 s4, s17, v72
	v_cndmask_b32_e32 v78, 0xff7fffff, v78, vcc_lo
	v_cndmask_b32_e64 v70, 0xff7fffff, v70, s2
	v_or_b32_e32 v84, 12, v68
	v_or_b32_e32 v85, 14, v68
	v_cndmask_b32_e64 v71, 0xff7fffff, v80, s3
	v_cndmask_b32_e64 v72, 0xff7fffff, v79, s4
	v_max3_f32 v70, v70, 0xff7fffff, v78
	v_cmp_gt_i32_e64 s5, s17, v108
	v_cmp_gt_i32_e64 s6, s17, v109
	v_or_b32_e32 v86, 16, v68
	v_or_b32_e32 v87, 18, v68
	;; [unrolled: 1-line block ×3, first 2 shown]
	v_mul_f32_e32 v92, s18, v130
	v_cndmask_b32_e64 v78, 0xff7fffff, v82, s5
	v_cndmask_b32_e64 v79, 0xff7fffff, v81, s6
	v_max3_f32 v70, v70, v71, v72
	v_cmp_gt_i32_e64 s7, s17, v84
	v_cmp_gt_i32_e64 s8, s17, v85
	v_or_b32_e32 v88, 20, v68
	v_mul_f32_e32 v94, s18, v100
	v_max3_f32 v70, v70, v78, v79
	v_cmp_gt_i32_e64 s9, s17, v86
	v_cndmask_b32_e64 v72, 0xff7fffff, v83, s8
	v_cmp_gt_i32_e64 s10, s17, v87
	v_cmp_gt_i32_e64 s12, s17, v89
	v_lshlrev_b32_e32 v89, 2, v69
	v_cndmask_b32_e64 v71, 0xff7fffff, v92, s7
	v_or_b32_e32 v90, 24, v68
	v_or_b32_e32 v91, 26, v68
	v_mul_f32_e32 v96, s18, v102
	v_cndmask_b32_e64 v78, 0xff7fffff, v94, s9
	v_cndmask_b32_e64 v79, 0xff7fffff, v93, s10
	v_max3_f32 v70, v70, v71, v72
	v_cmp_gt_i32_e64 s11, s17, v88
	v_or_b32_e32 v76, 28, v68
	v_or_b32_e32 v77, 30, v68
	v_mul_f32_e32 v98, s18, v104
	v_cndmask_b32_e64 v72, 0xff7fffff, v95, s12
	v_cndmask_b32_e64 v71, 0xff7fffff, v96, s11
	v_max3_f32 v70, v70, v78, v79
	v_cmp_gt_i32_e64 s13, s17, v90
	v_cmp_gt_i32_e64 s15, s17, v91
	v_mul_f32_e32 v68, s18, v106
	v_cmp_gt_i32_e64 s16, s17, v76
	v_max3_f32 v70, v70, v71, v72
	v_cndmask_b32_e64 v78, 0xff7fffff, v98, s13
	v_cndmask_b32_e64 v79, 0xff7fffff, v97, s15
	v_cmp_gt_i32_e64 s17, s17, v77
	v_cndmask_b32_e64 v68, 0xff7fffff, v68, s16
	s_delay_alu instid0(VALU_DEP_3) | instskip(NEXT) | instid1(VALU_DEP_3)
	v_max3_f32 v70, v70, v78, v79
	v_cndmask_b32_e64 v71, 0xff7fffff, v99, s17
	s_delay_alu instid0(VALU_DEP_1) | instskip(SKIP_3) | instid1(VALU_DEP_1)
	v_max3_f32 v68, v70, v68, v71
	ds_bpermute_b32 v69, v89, v68
	s_waitcnt lgkmcnt(0)
	v_max_f32_e32 v69, v69, v69
	v_max_f32_e32 v68, v68, v69
	s_delay_alu instid0(VALU_DEP_1) | instskip(NEXT) | instid1(VALU_DEP_1)
	v_fma_f32 v71, s18, v126, -v68
	v_mul_f32_e32 v71, 0x3fb8aa3b, v71
	s_delay_alu instid0(VALU_DEP_1) | instskip(SKIP_3) | instid1(VALU_DEP_1)
	v_exp_f32_e32 v71, v71
	s_waitcnt_depctr 0xfff
	v_cndmask_b32_e64 v83, 0, v71, s3
	v_fma_f32 v71, s18, v131, -v68
	v_mul_f32_e32 v71, 0x3fb8aa3b, v71
	v_fma_f32 v69, s18, v124, -v68
	v_fma_f32 v76, s18, v128, -v68
	;; [unrolled: 1-line block ×4, first 2 shown]
	v_exp_f32_e32 v71, v71
	v_mul_f32_e32 v69, 0x3fb8aa3b, v69
	v_mul_f32_e32 v77, 0x3fb8aa3b, v76
	v_fma_f32 v81, s18, v105, -v68
	v_fma_f32 v78, s18, v130, -v68
	s_delay_alu instid0(VALU_DEP_4) | instskip(NEXT) | instid1(VALU_DEP_3)
	v_exp_f32_e32 v69, v69
	v_exp_f32_e32 v77, v77
	s_delay_alu instid0(VALU_DEP_2) | instskip(NEXT) | instid1(TRANS32_DEP_3)
	v_mul_f32_e32 v81, 0x3fb8aa3b, v81
	v_cndmask_b32_e64 v88, 0, v71, s8
	v_fma_f32 v71, s18, v104, -v68
	s_delay_alu instid0(VALU_DEP_3) | instskip(NEXT) | instid1(TRANS32_DEP_3)
	v_exp_f32_e32 v81, v81
	v_cndmask_b32_e64 v80, 0, v69, s2
	v_fma_f32 v69, s18, v129, -v68
	v_mul_f32_e32 v70, 0x3fb8aa3b, v70
	s_delay_alu instid0(TRANS32_DEP_2)
	v_cndmask_b32_e64 v86, 0, v77, s5
	v_mul_f32_e32 v72, 0x3fb8aa3b, v72
	v_fma_f32 v77, s18, v101, -v68
	v_mul_f32_e32 v69, 0x3fb8aa3b, v69
	v_exp_f32_e32 v70, v70
	v_mul_f32_e32 v71, 0x3fb8aa3b, v71
	v_exp_f32_e32 v72, v72
	;; [unrolled: 2-line block ×3, first 2 shown]
	v_cmp_gt_u32_e64 s2, 16, v67
	v_exp_f32_e32 v82, v71
	s_delay_alu instid0(VALU_DEP_2) | instskip(SKIP_4) | instid1(TRANS32_DEP_3)
	v_exp_f32_e32 v77, v77
	v_cndmask_b32_e32 v76, 0, v70, vcc_lo
	v_add_f32_e32 v70, 0, v80
	v_cndmask_b32_e64 v85, 0, v72, s4
	v_fma_f32 v72, s18, v100, -v68
	v_cndmask_b32_e64 v87, 0, v69, s6
	s_delay_alu instid0(VALU_DEP_4) | instskip(NEXT) | instid1(VALU_DEP_3)
	v_add_f32_e32 v70, v70, v76
	v_mul_f32_e32 v72, 0x3fb8aa3b, v72
	s_delay_alu instid0(VALU_DEP_2) | instskip(NEXT) | instid1(VALU_DEP_2)
	v_add_f32_e32 v70, v70, v83
	v_exp_f32_e32 v72, v72
	s_delay_alu instid0(VALU_DEP_1) | instskip(NEXT) | instid1(VALU_DEP_1)
	v_add_f32_e32 v70, v70, v85
	v_add_f32_e32 v69, v70, v86
	v_fma_f32 v70, s18, v102, -v68
	s_delay_alu instid0(VALU_DEP_2) | instskip(NEXT) | instid1(VALU_DEP_2)
	v_dual_add_f32 v69, v69, v87 :: v_dual_mul_f32 v78, 0x3fb8aa3b, v78
	v_mul_f32_e32 v70, 0x3fb8aa3b, v70
	s_delay_alu instid0(VALU_DEP_2) | instskip(NEXT) | instid1(VALU_DEP_1)
	v_exp_f32_e32 v78, v78
	v_exp_f32_e32 v79, v70
	s_delay_alu instid0(TRANS32_DEP_3) | instskip(SKIP_4) | instid1(VALU_DEP_2)
	v_cndmask_b32_e64 v70, 0, v72, s9
	s_waitcnt_depctr 0xfff
	v_cndmask_b32_e64 v84, 0, v78, s7
	v_fma_f32 v78, s18, v103, -v68
	v_cndmask_b32_e64 v71, 0, v79, s11
	v_dual_add_f32 v69, v69, v84 :: v_dual_mul_f32 v78, 0x3fb8aa3b, v78
	s_delay_alu instid0(VALU_DEP_1) | instskip(NEXT) | instid1(VALU_DEP_2)
	v_add_f32_e32 v72, v69, v88
	v_exp_f32_e32 v78, v78
	v_cndmask_b32_e64 v69, 0, v77, s10
	v_fma_f32 v77, s18, v106, -v68
	s_delay_alu instid0(VALU_DEP_1) | instskip(NEXT) | instid1(VALU_DEP_1)
	v_dual_add_f32 v72, v72, v70 :: v_dual_mul_f32 v77, 0x3fb8aa3b, v77
	v_add_f32_e32 v79, v72, v69
	s_waitcnt_depctr 0xfff
	v_cndmask_b32_e64 v72, 0, v78, s12
	v_exp_f32_e32 v90, v77
	v_cndmask_b32_e64 v77, 0, v82, s13
	v_add_f32_e32 v78, v79, v71
	v_fma_f32 v79, s18, v107, -v68
	s_delay_alu instid0(VALU_DEP_1) | instskip(SKIP_1) | instid1(VALU_DEP_2)
	v_dual_add_f32 v82, v78, v72 :: v_dual_mul_f32 v79, 0x3fb8aa3b, v79
	v_cndmask_b32_e64 v78, 0, v81, s15
	v_add_f32_e32 v81, v82, v77
	s_delay_alu instid0(VALU_DEP_3) | instskip(NEXT) | instid1(TRANS32_DEP_2)
	v_exp_f32_e32 v82, v79
	v_cndmask_b32_e64 v79, 0, v90, s16
	s_delay_alu instid0(VALU_DEP_2) | instskip(NEXT) | instid1(VALU_DEP_1)
	v_add_f32_e32 v81, v81, v78
	v_add_f32_e32 v90, v81, v79
	s_waitcnt_depctr 0xfff
	v_cndmask_b32_e64 v81, 0, v82, s17
	s_delay_alu instid0(VALU_DEP_1)
	v_add_f32_e32 v82, v90, v81
	ds_bpermute_b32 v89, v89, v82
	s_and_saveexec_b32 s3, s2
	s_cbranch_execz .LBB1892_12
; %bb.11:
	v_mul_u32_u24_e32 v67, 0x44, v66
	s_delay_alu instid0(VALU_DEP_1) | instskip(SKIP_1) | instid1(VALU_DEP_1)
	v_lshl_add_u32 v67, v65, 2, v67
	s_waitcnt lgkmcnt(0)
	v_dual_add_f32 v82, v82, v89 :: v_dual_add_nc_u32 v67, 0x4000, v67
	ds_store_2addr_b32 v67, v68, v82 offset1:136
.LBB1892_12:
	s_or_b32 exec_lo, exec_lo, s3
	v_lshlrev_b32_e32 v67, 2, v65
	s_waitcnt lgkmcnt(0)
	s_barrier
	buffer_gl0_inv
	v_cmp_eq_u32_e32 vcc_lo, 1, v66
	v_add_nc_u32_e32 v82, 0x4000, v67
	v_cmp_eq_u32_e64 s3, 2, v66
	v_cmp_eq_u32_e64 s5, 7, v66
	ds_load_2addr_b32 v[89:90], v82 offset1:17
	ds_load_2addr_b32 v[91:92], v82 offset0:34 offset1:51
	ds_load_2addr_b32 v[93:94], v82 offset0:68 offset1:85
	;; [unrolled: 1-line block ×4, first 2 shown]
	s_waitcnt lgkmcnt(4)
	v_max3_f32 v67, v89, 0xff7fffff, v90
	s_waitcnt lgkmcnt(3)
	s_delay_alu instid0(VALU_DEP_1) | instskip(SKIP_1) | instid1(VALU_DEP_1)
	v_max3_f32 v67, v67, v91, v92
	s_waitcnt lgkmcnt(2)
	v_max3_f32 v67, v67, v93, v94
	s_waitcnt lgkmcnt(1)
	s_delay_alu instid0(VALU_DEP_1) | instskip(NEXT) | instid1(VALU_DEP_1)
	v_max3_f32 v67, v67, v95, v96
	v_sub_f32_e32 v93, v93, v67
	s_delay_alu instid0(VALU_DEP_1) | instskip(NEXT) | instid1(VALU_DEP_1)
	v_dual_sub_f32 v68, v89, v67 :: v_dual_mul_f32 v103, 0x3fb8aa3b, v93
	v_mul_f32_e32 v68, 0x3fb8aa3b, v68
	s_delay_alu instid0(VALU_DEP_1)
	v_exp_f32_e32 v100, v68
	v_sub_f32_e32 v68, v92, v67
	v_sub_f32_e32 v99, v90, v67
	ds_load_2addr_b32 v[89:90], v82 offset0:170 offset1:187
	v_dual_mul_f32 v102, 0x3fb8aa3b, v68 :: v_dual_mul_f32 v99, 0x3fb8aa3b, v99
	s_waitcnt lgkmcnt(1)
	v_fma_f32 v68, v100, v97, 0
	s_delay_alu instid0(VALU_DEP_2) | instskip(NEXT) | instid1(VALU_DEP_2)
	v_exp_f32_e32 v102, v102
	v_exp_f32_e32 v99, v99
	s_waitcnt_depctr 0xfff
	v_fmac_f32_e32 v68, v99, v98
	v_sub_f32_e32 v91, v91, v67
	s_delay_alu instid0(VALU_DEP_1)
	v_mul_f32_e32 v101, 0x3fb8aa3b, v91
	ds_load_2addr_b32 v[91:92], v82 offset0:204 offset1:221
	v_sub_f32_e32 v97, v94, v67
	ds_load_2addr_b32 v[93:94], v82 offset0:238 offset1:255
	s_waitcnt lgkmcnt(0)
	v_exp_f32_e32 v101, v101
	s_barrier
	buffer_gl0_inv
	v_dual_fmac_f32 v68, v101, v89 :: v_dual_sub_f32 v89, v96, v67
	v_dual_sub_f32 v82, v95, v67 :: v_dual_mul_f32 v95, 0x3fb8aa3b, v97
	v_exp_f32_e32 v97, v103
	s_delay_alu instid0(VALU_DEP_2) | instskip(NEXT) | instid1(VALU_DEP_2)
	v_dual_fmac_f32 v68, v102, v90 :: v_dual_mul_f32 v89, 0x3fb8aa3b, v89
	v_mul_f32_e32 v82, 0x3fb8aa3b, v82
	s_delay_alu instid0(VALU_DEP_3) | instskip(NEXT) | instid1(VALU_DEP_2)
	v_exp_f32_e32 v95, v95
	v_exp_f32_e32 v89, v89
	s_delay_alu instid0(VALU_DEP_1)
	v_exp_f32_e32 v82, v82
	v_fmac_f32_e32 v68, v97, v91
	s_delay_alu instid0(TRANS32_DEP_3) | instid1(VALU_DEP_1)
	v_fmac_f32_e32 v68, v95, v92
	s_waitcnt_depctr 0xfff
	v_fmac_f32_e32 v68, v82, v93
	s_delay_alu instid0(VALU_DEP_1) | instskip(NEXT) | instid1(VALU_DEP_1)
	v_fmac_f32_e32 v68, v89, v94
	v_add_f32_e32 v90, 0x358637bd, v68
	s_delay_alu instid0(VALU_DEP_1) | instskip(NEXT) | instid1(VALU_DEP_1)
	v_div_scale_f32 v91, null, v90, v90, 1.0
	v_rcp_f32_e32 v92, v91
	s_waitcnt_depctr 0xfff
	v_fma_f32 v93, -v91, v92, 1.0
	s_delay_alu instid0(VALU_DEP_1) | instskip(SKIP_1) | instid1(VALU_DEP_2)
	v_dual_fmac_f32 v92, v93, v92 :: v_dual_cndmask_b32 v93, v100, v99
	v_cmp_eq_u32_e32 vcc_lo, 3, v66
	v_cndmask_b32_e64 v93, v93, v101, s3
	v_cmp_eq_u32_e64 s3, 4, v66
	s_delay_alu instid0(VALU_DEP_2) | instskip(SKIP_1) | instid1(VALU_DEP_2)
	v_cndmask_b32_e32 v93, v93, v102, vcc_lo
	v_cmp_eq_u32_e32 vcc_lo, 5, v66
	v_cndmask_b32_e64 v93, v93, v97, s3
	v_cmp_eq_u32_e64 s3, 6, v66
	s_delay_alu instid0(VALU_DEP_2) | instskip(SKIP_1) | instid1(VALU_DEP_1)
	v_cndmask_b32_e32 v93, v93, v95, vcc_lo
	v_div_scale_f32 v94, s4, 1.0, v90, 1.0
	s_mov_b32 vcc_lo, s4
	s_delay_alu instid0(VALU_DEP_2) | instskip(NEXT) | instid1(VALU_DEP_2)
	v_cndmask_b32_e64 v82, v93, v82, s3
	v_mul_f32_e32 v96, v94, v92
	s_mov_b32 s3, exec_lo
	s_delay_alu instid0(VALU_DEP_2) | instskip(NEXT) | instid1(VALU_DEP_2)
	v_cndmask_b32_e64 v82, v82, v89, s5
	v_fma_f32 v98, -v91, v96, v94
	s_delay_alu instid0(VALU_DEP_1) | instskip(NEXT) | instid1(VALU_DEP_1)
	v_fmac_f32_e32 v96, v98, v92
	v_fma_f32 v91, -v91, v96, v94
	s_delay_alu instid0(VALU_DEP_1) | instskip(NEXT) | instid1(VALU_DEP_1)
	v_div_fmas_f32 v91, v91, v92, v96
	v_div_fixup_f32 v90, v91, v90, 1.0
	s_delay_alu instid0(VALU_DEP_1) | instskip(NEXT) | instid1(VALU_DEP_1)
	v_mul_f32_e32 v82, v82, v90
	v_mul_f32_e32 v87, v82, v87
	;; [unrolled: 1-line block ×7, first 2 shown]
	v_dual_mul_f32 v86, v82, v83 :: v_dual_and_b32 v91, 0x7f800000, v90
	v_mul_f32_e32 v85, v82, v76
                                        ; implicit-def: $vgpr76
	s_delay_alu instid0(VALU_DEP_2)
	v_cmpx_ne_u32_e32 0x7f800000, v91
	s_xor_b32 s3, exec_lo, s3
; %bb.13:
	v_bfe_u32 v76, v90, 16, 1
	s_delay_alu instid0(VALU_DEP_1)
	v_add3_u32 v76, v90, v76, 0x7fff
                                        ; implicit-def: $vgpr90
; %bb.14:
	s_and_not1_saveexec_b32 s3, s3
; %bb.15:
	v_and_b32_e32 v76, 0xffff, v90
	v_or_b32_e32 v83, 0x10000, v90
	s_delay_alu instid0(VALU_DEP_2) | instskip(NEXT) | instid1(VALU_DEP_2)
	v_cmp_eq_u32_e32 vcc_lo, 0, v76
	v_cndmask_b32_e32 v76, v83, v90, vcc_lo
; %bb.16:
	s_or_b32 exec_lo, exec_lo, s3
	v_and_b32_e32 v83, 0x7f800000, v85
	s_delay_alu instid0(VALU_DEP_1) | instskip(SKIP_1) | instid1(SALU_CYCLE_1)
	v_cmp_ne_u32_e32 vcc_lo, 0x7f800000, v83
                                        ; implicit-def: $vgpr83
	s_and_saveexec_b32 s3, vcc_lo
	s_xor_b32 s3, exec_lo, s3
; %bb.17:
	v_bfe_u32 v83, v85, 16, 1
	s_delay_alu instid0(VALU_DEP_1)
	v_add3_u32 v83, v85, v83, 0x7fff
                                        ; implicit-def: $vgpr85
; %bb.18:
	s_and_not1_saveexec_b32 s3, s3
; %bb.19:
	v_and_b32_e32 v83, 0xffff, v85
	v_or_b32_e32 v90, 0x10000, v85
	s_delay_alu instid0(VALU_DEP_2) | instskip(NEXT) | instid1(VALU_DEP_2)
	v_cmp_eq_u32_e32 vcc_lo, 0, v83
	v_cndmask_b32_e32 v83, v90, v85, vcc_lo
; %bb.20:
	s_or_b32 exec_lo, exec_lo, s3
	v_and_b32_e32 v85, 0x7f800000, v86
	s_delay_alu instid0(VALU_DEP_1) | instskip(SKIP_1) | instid1(SALU_CYCLE_1)
	v_cmp_ne_u32_e32 vcc_lo, 0x7f800000, v85
                                        ; implicit-def: $vgpr85
	s_and_saveexec_b32 s3, vcc_lo
	s_xor_b32 s3, exec_lo, s3
; %bb.21:
	v_bfe_u32 v85, v86, 16, 1
	s_delay_alu instid0(VALU_DEP_1)
	v_add3_u32 v85, v86, v85, 0x7fff
                                        ; implicit-def: $vgpr86
; %bb.22:
	s_and_not1_saveexec_b32 s3, s3
; %bb.23:
	v_and_b32_e32 v85, 0xffff, v86
	v_or_b32_e32 v90, 0x10000, v86
	s_delay_alu instid0(VALU_DEP_2) | instskip(NEXT) | instid1(VALU_DEP_2)
	v_cmp_eq_u32_e32 vcc_lo, 0, v85
	v_cndmask_b32_e32 v85, v90, v86, vcc_lo
; %bb.24:
	s_or_b32 exec_lo, exec_lo, s3
	v_and_b32_e32 v86, 0x7f800000, v89
	s_delay_alu instid0(VALU_DEP_1) | instskip(SKIP_1) | instid1(SALU_CYCLE_1)
	v_cmp_ne_u32_e32 vcc_lo, 0x7f800000, v86
                                        ; implicit-def: $vgpr86
	s_and_saveexec_b32 s3, vcc_lo
	s_xor_b32 s3, exec_lo, s3
; %bb.25:
	v_bfe_u32 v86, v89, 16, 1
	s_delay_alu instid0(VALU_DEP_1)
	v_add3_u32 v86, v89, v86, 0x7fff
                                        ; implicit-def: $vgpr89
; %bb.26:
	s_and_not1_saveexec_b32 s3, s3
; %bb.27:
	v_and_b32_e32 v86, 0xffff, v89
	v_or_b32_e32 v90, 0x10000, v89
	s_delay_alu instid0(VALU_DEP_2) | instskip(NEXT) | instid1(VALU_DEP_2)
	v_cmp_eq_u32_e32 vcc_lo, 0, v86
	v_cndmask_b32_e32 v86, v90, v89, vcc_lo
; %bb.28:
	s_or_b32 exec_lo, exec_lo, s3
	v_and_b32_e32 v89, 0x7f800000, v88
	s_delay_alu instid0(VALU_DEP_1) | instskip(SKIP_1) | instid1(SALU_CYCLE_1)
	v_cmp_ne_u32_e32 vcc_lo, 0x7f800000, v89
                                        ; implicit-def: $vgpr89
	s_and_saveexec_b32 s3, vcc_lo
	s_xor_b32 s3, exec_lo, s3
; %bb.29:
	v_bfe_u32 v89, v88, 16, 1
	s_delay_alu instid0(VALU_DEP_1)
	v_add3_u32 v89, v88, v89, 0x7fff
                                        ; implicit-def: $vgpr88
; %bb.30:
	s_and_not1_saveexec_b32 s3, s3
; %bb.31:
	v_and_b32_e32 v89, 0xffff, v88
	v_or_b32_e32 v90, 0x10000, v88
	s_delay_alu instid0(VALU_DEP_2) | instskip(NEXT) | instid1(VALU_DEP_2)
	v_cmp_eq_u32_e32 vcc_lo, 0, v89
	v_cndmask_b32_e32 v89, v90, v88, vcc_lo
; %bb.32:
	s_or_b32 exec_lo, exec_lo, s3
	v_and_b32_e32 v88, 0x7f800000, v87
	s_delay_alu instid0(VALU_DEP_1) | instskip(SKIP_1) | instid1(SALU_CYCLE_1)
	v_cmp_ne_u32_e32 vcc_lo, 0x7f800000, v88
                                        ; implicit-def: $vgpr88
	s_and_saveexec_b32 s3, vcc_lo
	s_xor_b32 s3, exec_lo, s3
; %bb.33:
	v_bfe_u32 v88, v87, 16, 1
	s_delay_alu instid0(VALU_DEP_1)
	v_add3_u32 v88, v87, v88, 0x7fff
                                        ; implicit-def: $vgpr87
; %bb.34:
	s_and_not1_saveexec_b32 s3, s3
; %bb.35:
	v_and_b32_e32 v88, 0xffff, v87
	v_or_b32_e32 v90, 0x10000, v87
	s_delay_alu instid0(VALU_DEP_2) | instskip(NEXT) | instid1(VALU_DEP_2)
	v_cmp_eq_u32_e32 vcc_lo, 0, v88
	v_cndmask_b32_e32 v88, v90, v87, vcc_lo
; %bb.36:
	s_or_b32 exec_lo, exec_lo, s3
	v_and_b32_e32 v87, 0x7f800000, v84
	s_delay_alu instid0(VALU_DEP_1) | instskip(SKIP_1) | instid1(SALU_CYCLE_1)
	v_cmp_ne_u32_e32 vcc_lo, 0x7f800000, v87
                                        ; implicit-def: $vgpr87
	s_and_saveexec_b32 s3, vcc_lo
	s_xor_b32 s3, exec_lo, s3
; %bb.37:
	v_bfe_u32 v87, v84, 16, 1
	s_delay_alu instid0(VALU_DEP_1)
	v_add3_u32 v87, v84, v87, 0x7fff
                                        ; implicit-def: $vgpr84
; %bb.38:
	s_and_not1_saveexec_b32 s3, s3
; %bb.39:
	v_and_b32_e32 v87, 0xffff, v84
	v_or_b32_e32 v90, 0x10000, v84
	s_delay_alu instid0(VALU_DEP_2) | instskip(NEXT) | instid1(VALU_DEP_2)
	v_cmp_eq_u32_e32 vcc_lo, 0, v87
	v_cndmask_b32_e32 v87, v90, v84, vcc_lo
; %bb.40:
	s_or_b32 exec_lo, exec_lo, s3
	v_and_b32_e32 v84, 0x7f800000, v80
	s_delay_alu instid0(VALU_DEP_1) | instskip(SKIP_1) | instid1(SALU_CYCLE_1)
	v_cmp_ne_u32_e32 vcc_lo, 0x7f800000, v84
                                        ; implicit-def: $vgpr84
	s_and_saveexec_b32 s3, vcc_lo
	s_xor_b32 s3, exec_lo, s3
; %bb.41:
	v_bfe_u32 v84, v80, 16, 1
	s_delay_alu instid0(VALU_DEP_1)
	v_add3_u32 v84, v80, v84, 0x7fff
                                        ; implicit-def: $vgpr80
; %bb.42:
	s_and_not1_saveexec_b32 s3, s3
; %bb.43:
	v_and_b32_e32 v84, 0xffff, v80
	v_or_b32_e32 v90, 0x10000, v80
	s_delay_alu instid0(VALU_DEP_2) | instskip(NEXT) | instid1(VALU_DEP_2)
	v_cmp_eq_u32_e32 vcc_lo, 0, v84
	v_cndmask_b32_e32 v84, v90, v80, vcc_lo
; %bb.44:
	s_or_b32 exec_lo, exec_lo, s3
	s_load_b64 s[34:35], s[0:1], 0x94
	v_lshlrev_b32_e32 v91, 4, v74
	s_delay_alu instid0(VALU_DEP_2)
	v_perm_b32 v90, v84, v87, 0x7060302
	v_dual_mul_f32 v79, v82, v79 :: v_dual_lshlrev_b32 v80, 6, v65
	v_dual_mul_f32 v77, v82, v77 :: v_dual_lshlrev_b32 v92, 11, v66
	v_mul_f32_e32 v84, v82, v70
	v_perm_b32 v89, v88, v89, 0x7060302
	v_perm_b32 v88, v86, v85, 0x7060302
	;; [unrolled: 1-line block ×3, first 2 shown]
	v_mul_f32_e32 v70, v82, v81
	v_or3_b32 v76, v91, v92, v80
	v_dual_mul_f32 v78, v82, v78 :: v_dual_and_b32 v85, 0x7f800000, v84
	v_mul_f32_e32 v83, v82, v72
	v_mul_f32_e32 v81, v82, v71
	;; [unrolled: 1-line block ×3, first 2 shown]
	s_mov_b32 s3, exec_lo
	ds_store_b128 v76, v[87:90]
                                        ; implicit-def: $vgpr69
	v_cmpx_ne_u32_e32 0x7f800000, v85
	s_xor_b32 s3, exec_lo, s3
; %bb.45:
	v_bfe_u32 v69, v84, 16, 1
	s_delay_alu instid0(VALU_DEP_1)
	v_add3_u32 v69, v84, v69, 0x7fff
                                        ; implicit-def: $vgpr84
; %bb.46:
	s_and_not1_saveexec_b32 s3, s3
; %bb.47:
	v_and_b32_e32 v69, 0xffff, v84
	v_or_b32_e32 v71, 0x10000, v84
	s_delay_alu instid0(VALU_DEP_2) | instskip(NEXT) | instid1(VALU_DEP_2)
	v_cmp_eq_u32_e32 vcc_lo, 0, v69
	v_cndmask_b32_e32 v69, v71, v84, vcc_lo
; %bb.48:
	s_or_b32 exec_lo, exec_lo, s3
	v_and_b32_e32 v71, 0x7f800000, v72
	s_delay_alu instid0(VALU_DEP_1) | instskip(SKIP_1) | instid1(SALU_CYCLE_1)
	v_cmp_ne_u32_e32 vcc_lo, 0x7f800000, v71
                                        ; implicit-def: $vgpr71
	s_and_saveexec_b32 s3, vcc_lo
	s_xor_b32 s3, exec_lo, s3
; %bb.49:
	v_bfe_u32 v71, v72, 16, 1
	s_delay_alu instid0(VALU_DEP_1)
	v_add3_u32 v71, v72, v71, 0x7fff
                                        ; implicit-def: $vgpr72
; %bb.50:
	s_and_not1_saveexec_b32 s3, s3
; %bb.51:
	v_and_b32_e32 v71, 0xffff, v72
	v_or_b32_e32 v82, 0x10000, v72
	s_delay_alu instid0(VALU_DEP_2) | instskip(NEXT) | instid1(VALU_DEP_2)
	v_cmp_eq_u32_e32 vcc_lo, 0, v71
	v_cndmask_b32_e32 v71, v82, v72, vcc_lo
; %bb.52:
	s_or_b32 exec_lo, exec_lo, s3
	v_and_b32_e32 v72, 0x7f800000, v81
	s_delay_alu instid0(VALU_DEP_1) | instskip(SKIP_1) | instid1(SALU_CYCLE_1)
	v_cmp_ne_u32_e32 vcc_lo, 0x7f800000, v72
                                        ; implicit-def: $vgpr72
	s_and_saveexec_b32 s3, vcc_lo
	s_xor_b32 s3, exec_lo, s3
; %bb.53:
	v_bfe_u32 v72, v81, 16, 1
	s_delay_alu instid0(VALU_DEP_1)
	v_add3_u32 v72, v81, v72, 0x7fff
                                        ; implicit-def: $vgpr81
; %bb.54:
	s_and_not1_saveexec_b32 s3, s3
; %bb.55:
	v_and_b32_e32 v72, 0xffff, v81
	v_or_b32_e32 v82, 0x10000, v81
	s_delay_alu instid0(VALU_DEP_2) | instskip(NEXT) | instid1(VALU_DEP_2)
	v_cmp_eq_u32_e32 vcc_lo, 0, v72
	v_cndmask_b32_e32 v72, v82, v81, vcc_lo
; %bb.56:
	s_or_b32 exec_lo, exec_lo, s3
	v_and_b32_e32 v81, 0x7f800000, v83
	s_delay_alu instid0(VALU_DEP_1) | instskip(SKIP_1) | instid1(SALU_CYCLE_1)
	v_cmp_ne_u32_e32 vcc_lo, 0x7f800000, v81
                                        ; implicit-def: $vgpr81
	s_and_saveexec_b32 s3, vcc_lo
	s_xor_b32 s3, exec_lo, s3
; %bb.57:
	v_bfe_u32 v81, v83, 16, 1
	s_delay_alu instid0(VALU_DEP_1)
	v_add3_u32 v81, v83, v81, 0x7fff
                                        ; implicit-def: $vgpr83
; %bb.58:
	s_and_not1_saveexec_b32 s3, s3
; %bb.59:
	v_and_b32_e32 v81, 0xffff, v83
	v_or_b32_e32 v82, 0x10000, v83
	s_delay_alu instid0(VALU_DEP_2) | instskip(NEXT) | instid1(VALU_DEP_2)
	v_cmp_eq_u32_e32 vcc_lo, 0, v81
	v_cndmask_b32_e32 v81, v82, v83, vcc_lo
; %bb.60:
	s_or_b32 exec_lo, exec_lo, s3
	v_and_b32_e32 v82, 0x7f800000, v77
	s_delay_alu instid0(VALU_DEP_1) | instskip(SKIP_1) | instid1(SALU_CYCLE_1)
	v_cmp_ne_u32_e32 vcc_lo, 0x7f800000, v82
                                        ; implicit-def: $vgpr82
	s_and_saveexec_b32 s3, vcc_lo
	s_xor_b32 s3, exec_lo, s3
; %bb.61:
	v_bfe_u32 v82, v77, 16, 1
	s_delay_alu instid0(VALU_DEP_1)
	v_add3_u32 v82, v77, v82, 0x7fff
                                        ; implicit-def: $vgpr77
; %bb.62:
	s_and_not1_saveexec_b32 s3, s3
; %bb.63:
	v_and_b32_e32 v82, 0xffff, v77
	v_or_b32_e32 v83, 0x10000, v77
	s_delay_alu instid0(VALU_DEP_2) | instskip(NEXT) | instid1(VALU_DEP_2)
	v_cmp_eq_u32_e32 vcc_lo, 0, v82
	v_cndmask_b32_e32 v82, v83, v77, vcc_lo
; %bb.64:
	s_or_b32 exec_lo, exec_lo, s3
	v_and_b32_e32 v77, 0x7f800000, v78
	s_delay_alu instid0(VALU_DEP_1) | instskip(SKIP_1) | instid1(SALU_CYCLE_1)
	v_cmp_ne_u32_e32 vcc_lo, 0x7f800000, v77
                                        ; implicit-def: $vgpr77
	s_and_saveexec_b32 s3, vcc_lo
	s_xor_b32 s3, exec_lo, s3
; %bb.65:
	v_bfe_u32 v77, v78, 16, 1
	s_delay_alu instid0(VALU_DEP_1)
	v_add3_u32 v77, v78, v77, 0x7fff
                                        ; implicit-def: $vgpr78
; %bb.66:
	s_and_not1_saveexec_b32 s3, s3
; %bb.67:
	v_and_b32_e32 v77, 0xffff, v78
	v_or_b32_e32 v83, 0x10000, v78
	s_delay_alu instid0(VALU_DEP_2) | instskip(NEXT) | instid1(VALU_DEP_2)
	v_cmp_eq_u32_e32 vcc_lo, 0, v77
	v_cndmask_b32_e32 v77, v83, v78, vcc_lo
; %bb.68:
	s_or_b32 exec_lo, exec_lo, s3
	v_and_b32_e32 v78, 0x7f800000, v79
	s_delay_alu instid0(VALU_DEP_1) | instskip(SKIP_1) | instid1(SALU_CYCLE_1)
	v_cmp_ne_u32_e32 vcc_lo, 0x7f800000, v78
                                        ; implicit-def: $vgpr78
	s_and_saveexec_b32 s3, vcc_lo
	s_xor_b32 s3, exec_lo, s3
; %bb.69:
	v_bfe_u32 v78, v79, 16, 1
	s_delay_alu instid0(VALU_DEP_1)
	v_add3_u32 v78, v79, v78, 0x7fff
                                        ; implicit-def: $vgpr79
; %bb.70:
	s_and_not1_saveexec_b32 s3, s3
; %bb.71:
	v_and_b32_e32 v78, 0xffff, v79
	v_or_b32_e32 v83, 0x10000, v79
	s_delay_alu instid0(VALU_DEP_2) | instskip(NEXT) | instid1(VALU_DEP_2)
	v_cmp_eq_u32_e32 vcc_lo, 0, v78
	v_cndmask_b32_e32 v78, v83, v79, vcc_lo
; %bb.72:
	s_or_b32 exec_lo, exec_lo, s3
	v_and_b32_e32 v79, 0x7f800000, v70
	s_delay_alu instid0(VALU_DEP_1) | instskip(SKIP_1) | instid1(SALU_CYCLE_1)
	v_cmp_ne_u32_e32 vcc_lo, 0x7f800000, v79
                                        ; implicit-def: $vgpr79
	s_and_saveexec_b32 s3, vcc_lo
	s_xor_b32 s3, exec_lo, s3
; %bb.73:
	v_bfe_u32 v79, v70, 16, 1
	s_delay_alu instid0(VALU_DEP_1)
	v_add3_u32 v79, v70, v79, 0x7fff
                                        ; implicit-def: $vgpr70
; %bb.74:
	s_and_not1_saveexec_b32 s3, s3
; %bb.75:
	v_and_b32_e32 v79, 0xffff, v70
	v_or_b32_e32 v83, 0x10000, v70
	s_delay_alu instid0(VALU_DEP_2) | instskip(NEXT) | instid1(VALU_DEP_2)
	v_cmp_eq_u32_e32 vcc_lo, 0, v79
	v_cndmask_b32_e32 v79, v83, v70, vcc_lo
; %bb.76:
	s_or_b32 exec_lo, exec_lo, s3
	s_delay_alu instid0(VALU_DEP_1)
	v_perm_b32 v86, v79, v78, 0x7060302
	v_perm_b32 v85, v77, v82, 0x7060302
	;; [unrolled: 1-line block ×4, first 2 shown]
	v_lshl_or_b32 v82, v66, 11, v80
	ds_store_b128 v76, v[83:86] offset:1024
	s_waitcnt lgkmcnt(0)
	s_barrier
	buffer_gl0_inv
	ds_load_b128 v[69:72], v82
	ds_load_b128 v[83:86], v82 offset:16
	s_waitcnt lgkmcnt(1)
	v_lshrrev_b32_e32 v66, 16, v69
	s_waitcnt lgkmcnt(0)
	v_lshrrev_b32_e32 v91, 16, v83
	v_lshlrev_b32_e32 v78, 2, v74
	v_lshrrev_b32_e32 v95, 16, v70
	v_lshrrev_b32_e32 v98, 16, v84
	;; [unrolled: 1-line block ×4, first 2 shown]
	v_cmp_eq_u32_e32 vcc_lo, 1, v78
	v_lshrrev_b32_e32 v97, 16, v72
	v_lshrrev_b32_e32 v100, 16, v86
	v_cndmask_b32_e32 v87, v83, v91, vcc_lo
	v_or_b32_e32 v79, 1, v78
	v_cndmask_b32_e32 v81, v69, v66, vcc_lo
	v_cmp_eq_u32_e64 s4, 2, v78
	v_cmp_eq_u32_e64 s7, 3, v78
	;; [unrolled: 1-line block ×5, first 2 shown]
	v_cndmask_b32_e64 v81, v81, v70, s4
	v_cndmask_b32_e64 v87, v87, v84, s4
	v_cmp_eq_u32_e64 s8, 3, v79
	v_cndmask_b32_e64 v88, v69, v66, s3
	v_or_b32_e32 v77, 2, v78
	v_cndmask_b32_e64 v81, v81, v95, s7
	v_cndmask_b32_e64 v87, v87, v98, s7
	;; [unrolled: 1-line block ×4, first 2 shown]
	v_cmp_eq_u32_e64 s10, 5, v78
	v_cndmask_b32_e64 v81, v81, v71, s9
	v_cndmask_b32_e64 v87, v87, v85, s9
	v_cmp_eq_u32_e64 s11, 4, v79
	v_cndmask_b32_e64 v88, v88, v95, s8
	v_cmp_eq_u32_e64 s5, 1, v77
	v_cndmask_b32_e64 v89, v89, v84, s6
	v_cndmask_b32_e64 v81, v81, v96, s10
	v_cmp_eq_u32_e64 s12, 6, v78
	v_cndmask_b32_e64 v88, v88, v71, s11
	;; [unrolled: 3-line block ×3, first 2 shown]
	v_cndmask_b32_e64 v89, v89, v98, s8
	v_cndmask_b32_e64 v81, v81, v72, s12
	v_cmp_eq_u32_e64 s15, 7, v78
	v_cndmask_b32_e64 v88, v88, v96, s13
	v_cndmask_b32_e64 v87, v87, v86, s12
	v_cmp_eq_u32_e64 s16, 6, v79
	v_cmp_eq_u32_e64 s17, 2, v77
	v_cndmask_b32_e64 v89, v89, v85, s11
	v_cndmask_b32_e64 v101, v81, v97, s15
	;; [unrolled: 1-line block ×6, first 2 shown]
	v_cmp_eq_u32_e64 s18, 7, v79
	v_cmp_eq_u32_e64 s19, 3, v77
	;; [unrolled: 1-line block ×4, first 2 shown]
	v_cndmask_b32_e64 v87, v87, v84, s17
	v_cndmask_b32_e64 v103, v88, v97, s18
	;; [unrolled: 1-line block ×4, first 2 shown]
	v_or_b32_e32 v81, 3, v78
	v_cndmask_b32_e64 v93, v87, v98, s19
	v_cmp_eq_u32_e64 s24, 6, v77
	v_cndmask_b32_e64 v104, v88, v86, s16
	v_cndmask_b32_e64 v92, v89, v71, s20
	v_cmp_eq_u32_e64 s21, 1, v81
	ds_load_b128 v[87:90], v82 offset:1024
	v_cmp_eq_u32_e64 s23, 2, v81
	v_cmp_eq_u32_e64 s25, 3, v81
	v_cndmask_b32_e64 v105, v92, v96, s22
	v_cndmask_b32_e64 v66, v69, v66, s21
	;; [unrolled: 1-line block ×4, first 2 shown]
	ds_load_b128 v[91:94], v82 offset:1040
	v_cmp_eq_u32_e64 s26, 4, v81
	v_cndmask_b32_e64 v66, v66, v70, s23
	v_cmp_eq_u32_e64 s27, 7, v77
	v_cndmask_b32_e64 v70, v83, v84, s23
	v_cndmask_b32_e64 v84, v105, v72, s24
	v_cmp_eq_u32_e64 s28, 5, v81
	v_cndmask_b32_e64 v66, v66, v95, s25
	v_cmp_eq_u32_e64 s29, 6, v81
	v_cndmask_b32_e64 v70, v70, v98, s25
	v_cndmask_b32_e64 v69, v69, v99, s22
	;; [unrolled: 1-line block ×4, first 2 shown]
	s_waitcnt lgkmcnt(1)
	v_lshrrev_b32_e32 v95, 16, v87
	v_cndmask_b32_e64 v70, v70, v85, s26
	v_cndmask_b32_e64 v71, v84, v97, s27
	;; [unrolled: 1-line block ×4, first 2 shown]
	v_cndmask_b32_e32 v84, v87, v95, vcc_lo
	v_cndmask_b32_e64 v70, v70, v99, s28
	s_waitcnt lgkmcnt(0)
	v_lshrrev_b32_e32 v85, 16, v91
	v_lshrrev_b32_e32 v96, 16, v88
	v_cndmask_b32_e64 v98, v87, v95, s3
	v_cndmask_b32_e64 v84, v84, v88, s4
	;; [unrolled: 1-line block ×3, first 2 shown]
	v_cndmask_b32_e32 v99, v91, v85, vcc_lo
	v_cmp_eq_u32_e32 vcc_lo, 7, v81
	v_cndmask_b32_e64 v66, v66, v72, s29
	v_cndmask_b32_e64 v72, v84, v96, s7
	;; [unrolled: 1-line block ×3, first 2 shown]
	v_lshrrev_b32_e32 v98, 16, v92
	v_cndmask_b32_e32 v70, v70, v100, vcc_lo
	v_cndmask_b32_e64 v86, v99, v92, s4
	v_cndmask_b32_e64 v69, v69, v100, s27
	v_lshrrev_b32_e32 v100, 16, v93
	v_cndmask_b32_e64 v72, v72, v89, s9
	v_lshrrev_b32_e32 v99, 16, v89
	v_cndmask_b32_e64 v86, v86, v98, s7
	v_perm_b32 v71, v69, v71, 0x5040100
	v_cndmask_b32_e64 v84, v84, v96, s8
	s_delay_alu instid0(VALU_DEP_3) | instskip(NEXT) | instid1(VALU_DEP_2)
	v_cndmask_b32_e64 v86, v86, v93, s9
	v_cndmask_b32_e64 v84, v84, v89, s11
	s_delay_alu instid0(VALU_DEP_2) | instskip(NEXT) | instid1(VALU_DEP_1)
	v_cndmask_b32_e64 v86, v86, v100, s10
	v_cndmask_b32_e64 v69, v86, v94, s12
	;; [unrolled: 1-line block ×5, first 2 shown]
	s_delay_alu instid0(VALU_DEP_3) | instskip(NEXT) | instid1(VALU_DEP_3)
	v_cndmask_b32_e64 v86, v86, v88, s17
	v_cndmask_b32_e64 v87, v87, v88, s23
	s_delay_alu instid0(VALU_DEP_3) | instskip(NEXT) | instid1(VALU_DEP_3)
	v_cndmask_b32_e64 v88, v95, v92, s23
	v_cndmask_b32_e64 v86, v86, v96, s19
	;; [unrolled: 3-line block ×7, first 2 shown]
	s_delay_alu instid0(VALU_DEP_3) | instskip(SKIP_2) | instid1(VALU_DEP_2)
	v_cndmask_b32_e64 v88, v88, v94, s29
	v_cndmask_b32_e32 v66, v66, v97, vcc_lo
	v_cndmask_b32_e64 v97, v72, v99, s10
	v_perm_b32 v72, v70, v66, 0x5040100
	v_perm_b32 v70, v83, v103, 0x5040100
	v_cndmask_b32_e64 v103, v91, v85, s5
	v_cndmask_b32_e64 v85, v91, v85, s3
	;; [unrolled: 1-line block ×4, first 2 shown]
	v_lshrrev_b32_e32 v97, 16, v90
	v_cndmask_b32_e64 v91, v103, v92, s17
	v_cndmask_b32_e64 v85, v85, v92, s6
	;; [unrolled: 1-line block ×3, first 2 shown]
	s_mov_b32 s3, exec_lo
	v_cndmask_b32_e64 v83, v84, v97, s15
	v_cndmask_b32_e64 v91, v91, v98, s19
	v_cndmask_b32_e64 v85, v85, v98, s8
	v_lshrrev_b32_e32 v84, 16, v94
	v_cndmask_b32_e64 v66, v66, v97, s18
	v_cndmask_b32_e64 v90, v86, v97, s27
	;; [unrolled: 1-line block ×4, first 2 shown]
	v_dual_cndmask_b32 v86, v87, v97 :: v_dual_cndmask_b32 v87, v88, v84
	v_cndmask_b32_e64 v91, v69, v84, s15
	s_delay_alu instid0(VALU_DEP_4) | instskip(NEXT) | instid1(VALU_DEP_4)
	v_cndmask_b32_e64 v89, v89, v100, s22
	v_cndmask_b32_e64 v85, v85, v100, s13
	v_perm_b32 v69, v102, v101, 0x5040100
	v_perm_b32 v86, v87, v86, 0x5040100
	;; [unrolled: 1-line block ×3, first 2 shown]
	v_cndmask_b32_e64 v89, v89, v94, s24
	v_cndmask_b32_e64 v85, v85, v94, s16
	s_mul_i32 s8, s35, 7
	s_delay_alu instid0(VALU_DEP_2) | instskip(NEXT) | instid1(VALU_DEP_2)
	v_cndmask_b32_e64 v88, v89, v84, s27
	v_cndmask_b32_e64 v89, v85, v84, s18
	s_delay_alu instid0(VALU_DEP_2) | instskip(NEXT) | instid1(VALU_DEP_2)
	v_perm_b32 v85, v88, v90, 0x5040100
	v_perm_b32 v84, v89, v66, 0x5040100
	ds_store_b128 v76, v[69:72]
	ds_store_b128 v76, v[83:86] offset:1024
	v_cmpx_gt_u32_e32 7, v0
	s_cbranch_execz .LBB1892_78
; %bb.77:
	s_mul_i32 s4, s8, s30
	s_delay_alu instid0(SALU_CYCLE_1) | instskip(SKIP_1) | instid1(VALU_DEP_1)
	v_add3_u32 v69, s4, s31, v65
	s_load_b128 s[4:7], s[0:1], 0x58
	v_mad_u64_u32 v[65:66], null, v69, s34, s[14:15]
	s_delay_alu instid0(VALU_DEP_1) | instskip(NEXT) | instid1(VALU_DEP_1)
	v_ashrrev_i32_e32 v66, 31, v65
	v_lshlrev_b64 v[65:66], 2, v[65:66]
	s_waitcnt lgkmcnt(0)
	s_delay_alu instid0(VALU_DEP_1) | instskip(NEXT) | instid1(VALU_DEP_2)
	v_add_co_u32 v69, vcc_lo, s6, v65
	v_add_co_ci_u32_e32 v70, vcc_lo, s7, v66, vcc_lo
	v_add_co_u32 v65, vcc_lo, s4, v65
	v_add_co_ci_u32_e32 v66, vcc_lo, s5, v66, vcc_lo
	global_store_b32 v[69:70], v67, off
	global_store_b32 v[65:66], v68, off
.LBB1892_78:
	s_or_b32 exec_lo, exec_lo, s3
	s_waitcnt lgkmcnt(0)
	s_waitcnt_vscnt null, 0x0
	s_barrier
	buffer_gl0_inv
	ds_load_b128 v[83:86], v80
	ds_load_b128 v[87:90], v80 offset:16
	ds_load_b128 v[95:98], v80 offset:2064
	ds_load_b128 v[91:94], v80 offset:2048
	v_mov_b32_e32 v65, 0
	ds_load_b128 v[103:106], v80 offset:4112
	ds_load_b128 v[99:102], v80 offset:4096
	;; [unrolled: 1-line block ×4, first 2 shown]
	v_mov_b32_e32 v66, v65
	v_mov_b32_e32 v67, v65
	;; [unrolled: 1-line block ×7, first 2 shown]
	s_waitcnt lgkmcnt(6)
	s_delay_alu instid0(VALU_DEP_1)
	v_wmma_f32_16x16x16_bf16 v[65:72], v[41:48], v[83:90], v[65:72]
	ds_load_b128 v[45:48], v80 offset:8208
	ds_load_b128 v[41:44], v80 offset:8192
	s_waitcnt lgkmcnt(6)
	v_wmma_f32_16x16x16_bf16 v[65:72], v[33:40], v[91:98], v[65:72]
	ds_load_b128 v[37:40], v80 offset:10256
	ds_load_b128 v[33:36], v80 offset:10240
	s_waitcnt lgkmcnt(6)
	v_wmma_f32_16x16x16_bf16 v[65:72], v[25:32], v[99:106], v[65:72]
	ds_load_b128 v[29:32], v80 offset:12304
	ds_load_b128 v[25:28], v80 offset:12288
	s_waitcnt lgkmcnt(6)
	v_wmma_f32_16x16x16_bf16 v[65:72], v[17:24], v[107:114], v[65:72]
	ds_load_b128 v[21:24], v80 offset:14352
	ds_load_b128 v[17:20], v80 offset:14336
	s_waitcnt lgkmcnt(6)
	v_wmma_f32_16x16x16_bf16 v[65:72], v[1:8], v[41:48], v[65:72]
	s_waitcnt lgkmcnt(4)
	s_delay_alu instid0(VALU_DEP_1) | instskip(SKIP_1) | instid1(VALU_DEP_1)
	v_wmma_f32_16x16x16_bf16 v[65:72], v[9:16], v[33:40], v[65:72]
	s_waitcnt lgkmcnt(2)
	v_wmma_f32_16x16x16_bf16 v[65:72], v[57:64], v[25:32], v[65:72]
	s_waitcnt lgkmcnt(0)
	s_delay_alu instid0(VALU_DEP_1) | instskip(NEXT) | instid1(VALU_DEP_1)
	v_wmma_f32_16x16x16_bf16 v[65:72], v[49:56], v[17:24], v[65:72]
	v_and_b32_e32 v1, 0x7f800000, v65
	s_delay_alu instid0(VALU_DEP_1) | instskip(SKIP_1) | instid1(SALU_CYCLE_1)
	v_cmp_ne_u32_e32 vcc_lo, 0x7f800000, v1
                                        ; implicit-def: $vgpr1
	s_and_saveexec_b32 s3, vcc_lo
	s_xor_b32 s3, exec_lo, s3
; %bb.79:
	v_bfe_u32 v1, v65, 16, 1
	s_delay_alu instid0(VALU_DEP_1)
	v_add3_u32 v1, v65, v1, 0x7fff
; %bb.80:
	s_and_not1_saveexec_b32 s3, s3
; %bb.81:
	v_and_b32_e32 v1, 0xffff, v65
	v_or_b32_e32 v2, 0x10000, v65
	s_delay_alu instid0(VALU_DEP_2) | instskip(NEXT) | instid1(VALU_DEP_2)
	v_cmp_eq_u32_e32 vcc_lo, 0, v1
	v_cndmask_b32_e32 v1, v2, v65, vcc_lo
; %bb.82:
	s_or_b32 exec_lo, exec_lo, s3
	v_and_b32_e32 v2, 0x7f800000, v66
	s_delay_alu instid0(VALU_DEP_1) | instskip(SKIP_1) | instid1(SALU_CYCLE_1)
	v_cmp_ne_u32_e32 vcc_lo, 0x7f800000, v2
                                        ; implicit-def: $vgpr2
	s_and_saveexec_b32 s3, vcc_lo
	s_xor_b32 s3, exec_lo, s3
; %bb.83:
	v_bfe_u32 v2, v66, 16, 1
	s_delay_alu instid0(VALU_DEP_1)
	v_add3_u32 v2, v66, v2, 0x7fff
; %bb.84:
	s_and_not1_saveexec_b32 s3, s3
; %bb.85:
	v_and_b32_e32 v2, 0xffff, v66
	v_or_b32_e32 v3, 0x10000, v66
	s_delay_alu instid0(VALU_DEP_2) | instskip(NEXT) | instid1(VALU_DEP_2)
	v_cmp_eq_u32_e32 vcc_lo, 0, v2
	v_cndmask_b32_e32 v2, v3, v66, vcc_lo
; %bb.86:
	s_or_b32 exec_lo, exec_lo, s3
	v_and_b32_e32 v3, 0x7f800000, v67
	s_delay_alu instid0(VALU_DEP_1) | instskip(SKIP_1) | instid1(SALU_CYCLE_1)
	v_cmp_ne_u32_e32 vcc_lo, 0x7f800000, v3
                                        ; implicit-def: $vgpr3
	s_and_saveexec_b32 s3, vcc_lo
	s_xor_b32 s3, exec_lo, s3
; %bb.87:
	v_bfe_u32 v3, v67, 16, 1
	s_delay_alu instid0(VALU_DEP_1)
	v_add3_u32 v3, v67, v3, 0x7fff
; %bb.88:
	s_and_not1_saveexec_b32 s3, s3
; %bb.89:
	v_and_b32_e32 v3, 0xffff, v67
	v_or_b32_e32 v4, 0x10000, v67
	s_delay_alu instid0(VALU_DEP_2) | instskip(NEXT) | instid1(VALU_DEP_2)
	v_cmp_eq_u32_e32 vcc_lo, 0, v3
	v_cndmask_b32_e32 v3, v4, v67, vcc_lo
; %bb.90:
	s_or_b32 exec_lo, exec_lo, s3
	v_and_b32_e32 v4, 0x7f800000, v68
	s_delay_alu instid0(VALU_DEP_1) | instskip(SKIP_1) | instid1(SALU_CYCLE_1)
	v_cmp_ne_u32_e32 vcc_lo, 0x7f800000, v4
                                        ; implicit-def: $vgpr4
	s_and_saveexec_b32 s3, vcc_lo
	s_xor_b32 s3, exec_lo, s3
; %bb.91:
	v_bfe_u32 v4, v68, 16, 1
	s_delay_alu instid0(VALU_DEP_1)
	v_add3_u32 v4, v68, v4, 0x7fff
; %bb.92:
	s_and_not1_saveexec_b32 s3, s3
; %bb.93:
	v_and_b32_e32 v4, 0xffff, v68
	v_or_b32_e32 v5, 0x10000, v68
	s_delay_alu instid0(VALU_DEP_2) | instskip(NEXT) | instid1(VALU_DEP_2)
	v_cmp_eq_u32_e32 vcc_lo, 0, v4
	v_cndmask_b32_e32 v4, v5, v68, vcc_lo
; %bb.94:
	s_or_b32 exec_lo, exec_lo, s3
	v_and_b32_e32 v5, 0x7f800000, v69
	s_delay_alu instid0(VALU_DEP_1) | instskip(SKIP_1) | instid1(SALU_CYCLE_1)
	v_cmp_ne_u32_e32 vcc_lo, 0x7f800000, v5
                                        ; implicit-def: $vgpr5
	s_and_saveexec_b32 s3, vcc_lo
	s_xor_b32 s3, exec_lo, s3
; %bb.95:
	v_bfe_u32 v5, v69, 16, 1
	s_delay_alu instid0(VALU_DEP_1)
	v_add3_u32 v5, v69, v5, 0x7fff
; %bb.96:
	s_and_not1_saveexec_b32 s3, s3
; %bb.97:
	v_and_b32_e32 v5, 0xffff, v69
	v_or_b32_e32 v6, 0x10000, v69
	s_delay_alu instid0(VALU_DEP_2) | instskip(NEXT) | instid1(VALU_DEP_2)
	v_cmp_eq_u32_e32 vcc_lo, 0, v5
	v_cndmask_b32_e32 v5, v6, v69, vcc_lo
; %bb.98:
	s_or_b32 exec_lo, exec_lo, s3
	v_and_b32_e32 v6, 0x7f800000, v70
	s_delay_alu instid0(VALU_DEP_1) | instskip(SKIP_1) | instid1(SALU_CYCLE_1)
	v_cmp_ne_u32_e32 vcc_lo, 0x7f800000, v6
                                        ; implicit-def: $vgpr6
	s_and_saveexec_b32 s3, vcc_lo
	s_xor_b32 s3, exec_lo, s3
; %bb.99:
	v_bfe_u32 v6, v70, 16, 1
	s_delay_alu instid0(VALU_DEP_1)
	v_add3_u32 v6, v70, v6, 0x7fff
; %bb.100:
	s_and_not1_saveexec_b32 s3, s3
; %bb.101:
	v_and_b32_e32 v6, 0xffff, v70
	v_or_b32_e32 v7, 0x10000, v70
	s_delay_alu instid0(VALU_DEP_2) | instskip(NEXT) | instid1(VALU_DEP_2)
	v_cmp_eq_u32_e32 vcc_lo, 0, v6
	v_cndmask_b32_e32 v6, v7, v70, vcc_lo
; %bb.102:
	s_or_b32 exec_lo, exec_lo, s3
	v_and_b32_e32 v7, 0x7f800000, v71
	s_delay_alu instid0(VALU_DEP_1) | instskip(SKIP_1) | instid1(SALU_CYCLE_1)
	v_cmp_ne_u32_e32 vcc_lo, 0x7f800000, v7
                                        ; implicit-def: $vgpr7
	s_and_saveexec_b32 s3, vcc_lo
	s_xor_b32 s3, exec_lo, s3
; %bb.103:
	v_bfe_u32 v7, v71, 16, 1
	s_delay_alu instid0(VALU_DEP_1)
	v_add3_u32 v7, v71, v7, 0x7fff
; %bb.104:
	s_and_not1_saveexec_b32 s3, s3
; %bb.105:
	v_and_b32_e32 v7, 0xffff, v71
	v_or_b32_e32 v8, 0x10000, v71
	s_delay_alu instid0(VALU_DEP_2) | instskip(NEXT) | instid1(VALU_DEP_2)
	v_cmp_eq_u32_e32 vcc_lo, 0, v7
	v_cndmask_b32_e32 v7, v8, v71, vcc_lo
; %bb.106:
	s_or_b32 exec_lo, exec_lo, s3
	v_and_b32_e32 v8, 0x7f800000, v72
	s_delay_alu instid0(VALU_DEP_1) | instskip(SKIP_1) | instid1(SALU_CYCLE_1)
	v_cmp_ne_u32_e32 vcc_lo, 0x7f800000, v8
                                        ; implicit-def: $vgpr8
	s_and_saveexec_b32 s3, vcc_lo
	s_xor_b32 s3, exec_lo, s3
; %bb.107:
	v_bfe_u32 v8, v72, 16, 1
	s_delay_alu instid0(VALU_DEP_1)
	v_add3_u32 v8, v72, v8, 0x7fff
                                        ; implicit-def: $vgpr65_vgpr66_vgpr67_vgpr68_vgpr69_vgpr70_vgpr71_vgpr72
; %bb.108:
	s_and_not1_saveexec_b32 s3, s3
; %bb.109:
	v_and_b32_e32 v8, 0xffff, v72
	v_or_b32_e32 v9, 0x10000, v72
	s_delay_alu instid0(VALU_DEP_2) | instskip(NEXT) | instid1(VALU_DEP_2)
	v_cmp_eq_u32_e32 vcc_lo, 0, v8
	v_cndmask_b32_e32 v8, v9, v72, vcc_lo
; %bb.110:
	s_or_b32 exec_lo, exec_lo, s3
	s_delay_alu instid0(VALU_DEP_1)
	v_perm_b32 v7, v8, v7, 0x7060302
	v_perm_b32 v6, v6, v5, 0x7060302
	;; [unrolled: 1-line block ×4, first 2 shown]
	s_barrier
	buffer_gl0_inv
	v_cmp_eq_u32_e32 vcc_lo, 1, v78
	ds_store_b128 v76, v[4:7]
	s_waitcnt lgkmcnt(0)
	s_barrier
	buffer_gl0_inv
	ds_load_b128 v[1:4], v82
	ds_load_b128 v[5:8], v82 offset:16
	v_cmp_eq_u32_e64 s3, 1, v79
	v_cmp_eq_u32_e64 s4, 2, v78
	;; [unrolled: 1-line block ×5, first 2 shown]
	s_waitcnt lgkmcnt(1)
	v_lshrrev_b32_e32 v9, 16, v1
	s_waitcnt lgkmcnt(0)
	v_lshrrev_b32_e32 v13, 16, v5
	v_lshrrev_b32_e32 v10, 16, v2
	;; [unrolled: 1-line block ×4, first 2 shown]
	v_cndmask_b32_e64 v19, v1, v9, s3
	v_cndmask_b32_e32 v18, v5, v13, vcc_lo
	v_cndmask_b32_e64 v20, v5, v13, s3
	v_cndmask_b32_e32 v17, v1, v9, vcc_lo
	v_cmp_eq_u32_e32 vcc_lo, 2, v79
	v_lshrrev_b32_e32 v15, 16, v7
	v_cmp_eq_u32_e64 s3, 1, v77
	v_lshrrev_b32_e32 v12, 16, v4
	v_lshrrev_b32_e32 v16, 16, v8
	v_cndmask_b32_e32 v20, v20, v6, vcc_lo
	v_cndmask_b32_e64 v17, v17, v2, s4
	v_cndmask_b32_e32 v19, v19, v2, vcc_lo
	v_cndmask_b32_e64 v18, v18, v6, s4
	v_cmp_eq_u32_e32 vcc_lo, 4, v78
	v_cmp_eq_u32_e64 s4, 3, v79
	v_cndmask_b32_e64 v17, v17, v10, s5
	v_cndmask_b32_e64 v21, v1, v9, s3
	;; [unrolled: 1-line block ×5, first 2 shown]
	v_cndmask_b32_e32 v17, v17, v3, vcc_lo
	v_cndmask_b32_e64 v20, v20, v14, s4
	v_cndmask_b32_e32 v18, v18, v7, vcc_lo
	v_cmp_eq_u32_e32 vcc_lo, 4, v79
	v_cmp_eq_u32_e64 s4, 5, v79
	v_cmp_eq_u32_e64 s3, 2, v81
	v_cndmask_b32_e64 v21, v21, v2, s7
	v_cmp_eq_u32_e64 s5, 5, v78
	v_cndmask_b32_e32 v19, v19, v3, vcc_lo
	v_cndmask_b32_e32 v20, v20, v7, vcc_lo
	v_cmp_eq_u32_e32 vcc_lo, 6, v79
	s_delay_alu instid0(VALU_DEP_4) | instskip(NEXT) | instid1(VALU_DEP_4)
	v_cndmask_b32_e64 v17, v17, v11, s5
	v_cndmask_b32_e64 v19, v19, v11, s4
	s_delay_alu instid0(VALU_DEP_4) | instskip(SKIP_1) | instid1(VALU_DEP_3)
	v_cndmask_b32_e64 v20, v20, v15, s4
	v_cmp_eq_u32_e64 s4, 1, v81
	v_cndmask_b32_e32 v19, v19, v4, vcc_lo
	v_cndmask_b32_e64 v18, v18, v15, s5
	s_delay_alu instid0(VALU_DEP_3)
	v_cndmask_b32_e64 v1, v1, v9, s4
	v_cndmask_b32_e64 v5, v5, v13, s4
	v_cmp_eq_u32_e64 s4, 3, v77
	v_cndmask_b32_e64 v13, v22, v6, s7
	v_cmp_eq_u32_e64 s7, 3, v81
	v_cndmask_b32_e64 v1, v1, v2, s3
	v_cndmask_b32_e64 v2, v5, v6, s3
	;; [unrolled: 1-line block ×3, first 2 shown]
	v_cmp_eq_u32_e64 s3, 4, v77
	v_cndmask_b32_e64 v6, v13, v14, s4
	v_cndmask_b32_e64 v1, v1, v10, s7
	v_cmp_eq_u32_e64 s4, 4, v81
	v_cndmask_b32_e64 v2, v2, v14, s7
	v_cndmask_b32_e64 v5, v9, v3, s3
	;; [unrolled: 3-line block ×3, first 2 shown]
	v_cndmask_b32_e64 v2, v2, v7, s4
	v_cmp_eq_u32_e64 s3, 5, v81
	v_cmp_eq_u32_e64 s5, 6, v78
	v_cndmask_b32_e64 v5, v5, v11, s7
	v_cmp_eq_u32_e64 s4, 6, v77
	v_cndmask_b32_e64 v3, v6, v15, s7
	v_cndmask_b32_e64 v1, v1, v11, s3
	v_cmp_eq_u32_e64 s7, 6, v81
	v_cndmask_b32_e64 v2, v2, v15, s3
	v_cndmask_b32_e64 v17, v17, v4, s5
	v_cndmask_b32_e64 v18, v18, v8, s5
	v_cmp_eq_u32_e64 s5, 7, v78
	v_cndmask_b32_e64 v5, v5, v4, s4
	;; [unrolled: 4-line block ×3, first 2 shown]
	v_cmp_eq_u32_e64 s4, 7, v77
	v_cndmask_b32_e32 v4, v20, v8, vcc_lo
	v_cndmask_b32_e64 v17, v17, v12, s5
	v_cndmask_b32_e64 v19, v19, v12, s6
	v_cndmask_b32_e64 v1, v1, v12, s3
	v_cndmask_b32_e64 v5, v5, v12, s4
	v_cndmask_b32_e64 v2, v2, v16, s3
	v_cndmask_b32_e64 v3, v3, v16, s4
	v_cndmask_b32_e64 v6, v4, v16, s6
	v_cndmask_b32_e64 v7, v18, v16, s5
	s_mov_b32 s3, exec_lo
	v_perm_b32 v4, v2, v1, 0x5040100
	v_perm_b32 v3, v3, v5, 0x5040100
	v_perm_b32 v2, v6, v19, 0x5040100
	v_perm_b32 v1, v7, v17, 0x5040100
	ds_store_b128 v76, v[1:4]
	s_waitcnt lgkmcnt(0)
	s_barrier
	buffer_gl0_inv
	v_cmpx_gt_u32_e32 32, v0
	s_cbranch_execz .LBB1892_2
; %bb.111:
	s_load_b64 s[4:5], s[0:1], 0x68
	v_lshlrev_b32_e32 v0, 10, v0
	v_add_nc_u32_e32 v2, s31, v74
	v_lshlrev_b32_e32 v3, 4, v75
	s_lshl_b32 s0, s34, 7
	s_delay_alu instid0(SALU_CYCLE_1) | instskip(NEXT) | instid1(VALU_DEP_2)
	s_mul_i32 s1, s0, s30
	v_mul_lo_u32 v1, v2, s0
	s_delay_alu instid0(VALU_DEP_2)
	v_and_or_b32 v0, 0x3800, v0, v3
	v_add_nc_u32_e32 v3, 2, v2
	s_mul_i32 s6, s1, s8
	v_add_nc_u32_e32 v4, 4, v2
	s_ashr_i32 s7, s6, 31
	v_lshl_or_b32 v11, v74, 6, v0
	s_lshl_b64 s[6:7], s[6:7], 1
	v_mul_lo_u32 v15, v3, s0
	v_mul_lo_u32 v17, v4, s0
	v_ashrrev_i32_e32 v2, 31, v1
	ds_load_b128 v[3:6], v11
	ds_load_b128 v[7:10], v11 offset:128
	ds_load_b128 v[11:14], v11 offset:256
	s_waitcnt lgkmcnt(0)
	s_add_u32 s1, s4, s6
	s_addc_u32 s3, s5, s7
	s_lshl_b32 s4, s14, 7
	v_ashrrev_i32_e32 v16, 31, v15
	s_ashr_i32 s5, s4, 31
	v_lshlrev_b64 v[19:20], 1, v[1:2]
	s_lshl_b64 s[4:5], s[4:5], 1
	v_ashrrev_i32_e32 v18, 31, v17
	s_add_u32 s1, s1, s4
	s_addc_u32 s3, s3, s5
	v_add_co_u32 v1, s1, s1, v73
	s_delay_alu instid0(VALU_DEP_1) | instskip(SKIP_1) | instid1(VALU_DEP_3)
	v_add_co_ci_u32_e64 v2, null, s3, 0, s1
	v_lshlrev_b64 v[15:16], 1, v[15:16]
	v_add_co_u32 v19, vcc_lo, v1, v19
	v_lshlrev_b64 v[17:18], 1, v[17:18]
	s_delay_alu instid0(VALU_DEP_4) | instskip(NEXT) | instid1(VALU_DEP_4)
	v_add_co_ci_u32_e32 v20, vcc_lo, v2, v20, vcc_lo
	v_add_co_u32 v15, vcc_lo, v1, v15
	v_add_co_ci_u32_e32 v16, vcc_lo, v2, v16, vcc_lo
	s_delay_alu instid0(VALU_DEP_4)
	v_add_co_u32 v17, vcc_lo, v1, v17
	v_add_co_ci_u32_e32 v18, vcc_lo, v2, v18, vcc_lo
	s_clause 0x2
	global_store_b128 v[19:20], v[3:6], off
	global_store_b128 v[15:16], v[7:10], off
	;; [unrolled: 1-line block ×3, first 2 shown]
	s_and_b32 exec_lo, exec_lo, s2
	s_cbranch_execz .LBB1892_2
; %bb.112:
	ds_load_b128 v[3:6], v0 offset:384
	s_add_i32 s1, s31, 6
	s_delay_alu instid0(SALU_CYCLE_1) | instskip(NEXT) | instid1(SALU_CYCLE_1)
	s_mul_i32 s0, s1, s0
	s_ashr_i32 s1, s0, 31
	s_delay_alu instid0(SALU_CYCLE_1) | instskip(NEXT) | instid1(SALU_CYCLE_1)
	s_lshl_b64 s[0:1], s[0:1], 1
	v_add_co_u32 v0, vcc_lo, v1, s0
	v_add_co_ci_u32_e32 v1, vcc_lo, s1, v2, vcc_lo
	s_waitcnt lgkmcnt(0)
	global_store_b128 v[0:1], v[3:6], off
	s_nop 0
	s_sendmsg sendmsg(MSG_DEALLOC_VGPRS)
	s_endpgm
	.section	.rodata,"a",@progbits
	.p2align	6, 0x0
	.amdhsa_kernel _Z39paged_attention_ll4mi_QKV_mfma16_kernelI14__hip_bfloat16hLN4vllm18Fp8KVCacheDataTypeE1ES0_Li32ELi128ELi256ELb1ELi7EL8MFMAType0EEvPKT_PKT0_S9_ifPKiSB_SB_iPKfiiiPfSE_PS4_PT2_iSD_SD_
		.amdhsa_group_segment_fixed_size 17472
		.amdhsa_private_segment_fixed_size 0
		.amdhsa_kernarg_size 400
		.amdhsa_user_sgpr_count 13
		.amdhsa_user_sgpr_dispatch_ptr 0
		.amdhsa_user_sgpr_queue_ptr 0
		.amdhsa_user_sgpr_kernarg_segment_ptr 1
		.amdhsa_user_sgpr_dispatch_id 0
		.amdhsa_user_sgpr_private_segment_size 0
		.amdhsa_wavefront_size32 1
		.amdhsa_uses_dynamic_stack 0
		.amdhsa_enable_private_segment 0
		.amdhsa_system_sgpr_workgroup_id_x 1
		.amdhsa_system_sgpr_workgroup_id_y 1
		.amdhsa_system_sgpr_workgroup_id_z 1
		.amdhsa_system_sgpr_workgroup_info 0
		.amdhsa_system_vgpr_workitem_id 0
		.amdhsa_next_free_vgpr 140
		.amdhsa_next_free_sgpr 36
		.amdhsa_reserve_vcc 1
		.amdhsa_float_round_mode_32 0
		.amdhsa_float_round_mode_16_64 0
		.amdhsa_float_denorm_mode_32 3
		.amdhsa_float_denorm_mode_16_64 3
		.amdhsa_dx10_clamp 1
		.amdhsa_ieee_mode 1
		.amdhsa_fp16_overflow 0
		.amdhsa_workgroup_processor_mode 1
		.amdhsa_memory_ordered 1
		.amdhsa_forward_progress 0
		.amdhsa_shared_vgpr_count 0
		.amdhsa_exception_fp_ieee_invalid_op 0
		.amdhsa_exception_fp_denorm_src 0
		.amdhsa_exception_fp_ieee_div_zero 0
		.amdhsa_exception_fp_ieee_overflow 0
		.amdhsa_exception_fp_ieee_underflow 0
		.amdhsa_exception_fp_ieee_inexact 0
		.amdhsa_exception_int_div_zero 0
	.end_amdhsa_kernel
	.section	.text._Z39paged_attention_ll4mi_QKV_mfma16_kernelI14__hip_bfloat16hLN4vllm18Fp8KVCacheDataTypeE1ES0_Li32ELi128ELi256ELb1ELi7EL8MFMAType0EEvPKT_PKT0_S9_ifPKiSB_SB_iPKfiiiPfSE_PS4_PT2_iSD_SD_,"axG",@progbits,_Z39paged_attention_ll4mi_QKV_mfma16_kernelI14__hip_bfloat16hLN4vllm18Fp8KVCacheDataTypeE1ES0_Li32ELi128ELi256ELb1ELi7EL8MFMAType0EEvPKT_PKT0_S9_ifPKiSB_SB_iPKfiiiPfSE_PS4_PT2_iSD_SD_,comdat
.Lfunc_end1892:
	.size	_Z39paged_attention_ll4mi_QKV_mfma16_kernelI14__hip_bfloat16hLN4vllm18Fp8KVCacheDataTypeE1ES0_Li32ELi128ELi256ELb1ELi7EL8MFMAType0EEvPKT_PKT0_S9_ifPKiSB_SB_iPKfiiiPfSE_PS4_PT2_iSD_SD_, .Lfunc_end1892-_Z39paged_attention_ll4mi_QKV_mfma16_kernelI14__hip_bfloat16hLN4vllm18Fp8KVCacheDataTypeE1ES0_Li32ELi128ELi256ELb1ELi7EL8MFMAType0EEvPKT_PKT0_S9_ifPKiSB_SB_iPKfiiiPfSE_PS4_PT2_iSD_SD_
                                        ; -- End function
	.section	.AMDGPU.csdata,"",@progbits
; Kernel info:
; codeLenInByte = 8964
; NumSgprs: 38
; NumVgprs: 140
; ScratchSize: 0
; MemoryBound: 0
; FloatMode: 240
; IeeeMode: 1
; LDSByteSize: 17472 bytes/workgroup (compile time only)
; SGPRBlocks: 4
; VGPRBlocks: 17
; NumSGPRsForWavesPerEU: 38
; NumVGPRsForWavesPerEU: 140
; Occupancy: 10
; WaveLimiterHint : 1
; COMPUTE_PGM_RSRC2:SCRATCH_EN: 0
; COMPUTE_PGM_RSRC2:USER_SGPR: 13
; COMPUTE_PGM_RSRC2:TRAP_HANDLER: 0
; COMPUTE_PGM_RSRC2:TGID_X_EN: 1
; COMPUTE_PGM_RSRC2:TGID_Y_EN: 1
; COMPUTE_PGM_RSRC2:TGID_Z_EN: 1
; COMPUTE_PGM_RSRC2:TIDIG_COMP_CNT: 0
	.section	.text._Z39paged_attention_ll4mi_QKV_mfma16_kernelI14__hip_bfloat16hLN4vllm18Fp8KVCacheDataTypeE1ES0_Li32ELi128ELi256ELb1ELi8EL8MFMAType0EEvPKT_PKT0_S9_ifPKiSB_SB_iPKfiiiPfSE_PS4_PT2_iSD_SD_,"axG",@progbits,_Z39paged_attention_ll4mi_QKV_mfma16_kernelI14__hip_bfloat16hLN4vllm18Fp8KVCacheDataTypeE1ES0_Li32ELi128ELi256ELb1ELi8EL8MFMAType0EEvPKT_PKT0_S9_ifPKiSB_SB_iPKfiiiPfSE_PS4_PT2_iSD_SD_,comdat
	.protected	_Z39paged_attention_ll4mi_QKV_mfma16_kernelI14__hip_bfloat16hLN4vllm18Fp8KVCacheDataTypeE1ES0_Li32ELi128ELi256ELb1ELi8EL8MFMAType0EEvPKT_PKT0_S9_ifPKiSB_SB_iPKfiiiPfSE_PS4_PT2_iSD_SD_ ; -- Begin function _Z39paged_attention_ll4mi_QKV_mfma16_kernelI14__hip_bfloat16hLN4vllm18Fp8KVCacheDataTypeE1ES0_Li32ELi128ELi256ELb1ELi8EL8MFMAType0EEvPKT_PKT0_S9_ifPKiSB_SB_iPKfiiiPfSE_PS4_PT2_iSD_SD_
	.globl	_Z39paged_attention_ll4mi_QKV_mfma16_kernelI14__hip_bfloat16hLN4vllm18Fp8KVCacheDataTypeE1ES0_Li32ELi128ELi256ELb1ELi8EL8MFMAType0EEvPKT_PKT0_S9_ifPKiSB_SB_iPKfiiiPfSE_PS4_PT2_iSD_SD_
	.p2align	8
	.type	_Z39paged_attention_ll4mi_QKV_mfma16_kernelI14__hip_bfloat16hLN4vllm18Fp8KVCacheDataTypeE1ES0_Li32ELi128ELi256ELb1ELi8EL8MFMAType0EEvPKT_PKT0_S9_ifPKiSB_SB_iPKfiiiPfSE_PS4_PT2_iSD_SD_,@function
_Z39paged_attention_ll4mi_QKV_mfma16_kernelI14__hip_bfloat16hLN4vllm18Fp8KVCacheDataTypeE1ES0_Li32ELi128ELi256ELb1ELi8EL8MFMAType0EEvPKT_PKT0_S9_ifPKiSB_SB_iPKfiiiPfSE_PS4_PT2_iSD_SD_: ; @_Z39paged_attention_ll4mi_QKV_mfma16_kernelI14__hip_bfloat16hLN4vllm18Fp8KVCacheDataTypeE1ES0_Li32ELi128ELi256ELb1ELi8EL8MFMAType0EEvPKT_PKT0_S9_ifPKiSB_SB_iPKfiiiPfSE_PS4_PT2_iSD_SD_
; %bb.0:
	s_load_b64 s[4:5], s[0:1], 0x30
	s_mov_b32 s30, s13
	s_waitcnt lgkmcnt(0)
	s_cmp_lg_u64 s[4:5], 0
	s_cselect_b32 s13, -1, 0
	s_ashr_i32 s31, s30, 31
	s_cmp_eq_u64 s[4:5], 0
	s_cbranch_scc1 .LBB1893_3
; %bb.1:
	s_lshl_b64 s[2:3], s[30:31], 2
	s_delay_alu instid0(SALU_CYCLE_1) | instskip(SKIP_4) | instid1(SALU_CYCLE_1)
	s_add_u32 s2, s4, s2
	s_addc_u32 s3, s5, s3
	s_load_b64 s[2:3], s[2:3], 0x0
	s_waitcnt lgkmcnt(0)
	s_sub_i32 s2, s3, s2
	s_cmp_eq_u32 s2, 1
	s_cselect_b32 s2, -1, 0
	s_delay_alu instid0(SALU_CYCLE_1)
	s_and_not1_b32 vcc_lo, exec_lo, s2
	s_cbranch_vccz .LBB1893_4
.LBB1893_2:
	s_endpgm
.LBB1893_3:
.LBB1893_4:
	s_load_b64 s[2:3], s[0:1], 0x28
	s_lshl_b64 s[6:7], s[30:31], 2
	s_waitcnt lgkmcnt(0)
	s_add_u32 s2, s2, s6
	s_addc_u32 s3, s3, s7
	s_lshl_b32 s12, s14, 8
	s_load_b32 s17, s[2:3], 0x0
	s_waitcnt lgkmcnt(0)
	s_cmp_ge_i32 s12, s17
	s_cbranch_scc1 .LBB1893_2
; %bb.5:
	s_clause 0x1
	s_load_b128 s[8:11], s[0:1], 0x8
	s_load_b64 s[2:3], s[0:1], 0x20
	s_and_not1_b32 vcc_lo, exec_lo, s13
	s_cbranch_vccnz .LBB1893_7
; %bb.6:
	s_add_u32 s4, s4, s6
	s_addc_u32 s5, s5, s7
	s_load_b32 s13, s[4:5], 0x0
	s_branch .LBB1893_8
.LBB1893_7:
	s_mov_b32 s13, s30
.LBB1893_8:
	s_load_b128 s[4:7], s[0:1], 0x48
	v_and_b32_e32 v66, 15, v0
	v_lshrrev_b32_e32 v65, 5, v0
	v_and_b32_e32 v67, 31, v0
	v_and_b32_e32 v75, 1, v0
	v_bfe_u32 v74, v0, 4, 1
	v_lshlrev_b32_e32 v1, 3, v66
	s_lshl_b32 s29, s15, 3
	s_waitcnt lgkmcnt(0)
	s_mov_b32 s7, exec_lo
	s_delay_alu instid0(VALU_DEP_1)
	v_lshlrev_b32_e32 v73, 1, v1
	v_cmpx_gt_u32_e32 0x80, v0
	s_cbranch_execz .LBB1893_10
; %bb.9:
	v_lshl_or_b32 v5, v65, 1, v74
	s_load_b64 s[18:19], s[0:1], 0x0
	s_mul_hi_i32 s21, s13, s4
	s_mul_i32 s20, s13, s4
	v_lshlrev_b32_e32 v6, 10, v66
	v_or_b32_e32 v1, s29, v5
	s_lshl_b64 s[20:21], s[20:21], 1
	v_lshlrev_b32_e32 v5, 6, v5
	v_lshlrev_b32_e32 v7, 10, v75
	v_and_b32_e32 v6, 0x3800, v6
	v_lshlrev_b32_e32 v1, 7, v1
	s_delay_alu instid0(VALU_DEP_2) | instskip(NEXT) | instid1(VALU_DEP_2)
	v_or3_b32 v5, v6, v7, v5
	v_ashrrev_i32_e32 v2, 31, v1
	s_delay_alu instid0(VALU_DEP_1) | instskip(SKIP_3) | instid1(VALU_DEP_1)
	v_lshlrev_b64 v[1:2], 1, v[1:2]
	s_waitcnt lgkmcnt(0)
	s_add_u32 s4, s18, s20
	s_addc_u32 s13, s19, s21
	v_add_co_u32 v1, vcc_lo, s4, v1
	s_delay_alu instid0(VALU_DEP_2) | instskip(NEXT) | instid1(VALU_DEP_2)
	v_add_co_ci_u32_e32 v2, vcc_lo, s13, v2, vcc_lo
	v_add_co_u32 v1, vcc_lo, v1, v73
	s_delay_alu instid0(VALU_DEP_2)
	v_add_co_ci_u32_e32 v2, vcc_lo, 0, v2, vcc_lo
	global_load_b128 v[1:4], v[1:2], off
	s_waitcnt vmcnt(0)
	ds_store_b128 v5, v[1:4]
.LBB1893_10:
	s_or_b32 exec_lo, exec_lo, s7
	v_and_b32_e32 v1, 0xef, v0
	s_add_i32 s4, s17, 31
	s_clause 0x1
	s_load_b32 s7, s[0:1], 0x38
	s_load_b32 s18, s[0:1], 0x1c
	s_ashr_i32 s13, s4, 31
	v_add_nc_u32_e32 v1, s12, v1
	s_lshr_b32 s13, s13, 27
	s_waitcnt lgkmcnt(0)
	s_add_i32 s4, s4, s13
	s_barrier
	v_ashrrev_i32_e32 v2, 31, v1
	v_or_b32_e32 v3, 16, v1
	s_ashr_i32 s4, s4, 5
	v_cmp_gt_i32_e32 vcc_lo, s17, v1
	s_add_i32 s4, s4, -1
	v_lshrrev_b32_e32 v2, 27, v2
	buffer_gl0_inv
	s_mul_i32 s15, s15, s6
	v_add_nc_u32_e32 v4, v1, v2
	s_mul_i32 s20, s30, s7
	s_delay_alu instid0(SALU_CYCLE_1) | instskip(NEXT) | instid1(VALU_DEP_1)
	s_ashr_i32 s21, s20, 31
	v_ashrrev_i32_e32 v4, 5, v4
	v_add_nc_u32_e32 v2, v3, v2
	s_lshl_b64 s[20:21], s[20:21], 2
	s_delay_alu instid0(SALU_CYCLE_1) | instskip(NEXT) | instid1(VALU_DEP_2)
	s_add_u32 s13, s2, s20
	v_cndmask_b32_e32 v1, s4, v4, vcc_lo
	s_delay_alu instid0(VALU_DEP_2)
	v_ashrrev_i32_e32 v2, 5, v2
	v_cmp_gt_i32_e32 vcc_lo, s17, v3
	s_addc_u32 s16, s3, s21
	s_ashr_i32 s19, s15, 31
	s_add_u32 s2, s8, s15
	s_addc_u32 s3, s9, s19
	v_cndmask_b32_e32 v3, s4, v2, vcc_lo
	v_ashrrev_i32_e32 v2, 31, v1
	s_lshl_b32 s6, s14, 3
	s_delay_alu instid0(SALU_CYCLE_1) | instskip(NEXT) | instid1(VALU_DEP_2)
	s_ashr_i32 s7, s6, 31
	v_ashrrev_i32_e32 v4, 31, v3
	s_delay_alu instid0(VALU_DEP_2) | instskip(SKIP_1) | instid1(SALU_CYCLE_1)
	v_lshlrev_b64 v[1:2], 2, v[1:2]
	s_lshl_b64 s[6:7], s[6:7], 2
	s_add_u32 s6, s13, s6
	s_delay_alu instid0(VALU_DEP_2) | instskip(SKIP_1) | instid1(VALU_DEP_2)
	v_lshlrev_b64 v[3:4], 2, v[3:4]
	s_addc_u32 s7, s16, s7
	v_add_co_u32 v1, vcc_lo, s13, v1
	v_add_co_ci_u32_e32 v2, vcc_lo, s16, v2, vcc_lo
	s_delay_alu instid0(VALU_DEP_3) | instskip(NEXT) | instid1(VALU_DEP_4)
	v_add_co_u32 v3, vcc_lo, s13, v3
	v_add_co_ci_u32_e32 v4, vcc_lo, s16, v4, vcc_lo
	s_clause 0x1
	global_load_b32 v5, v[1:2], off
	global_load_b32 v6, v[3:4], off
	s_or_b32 s8, s12, 32
	s_delay_alu instid0(SALU_CYCLE_1) | instskip(SKIP_2) | instid1(SALU_CYCLE_1)
	s_ashr_i32 s9, s8, 5
	s_cmp_lt_i32 s8, s17
	s_cselect_b32 s8, s9, s4
	s_ashr_i32 s9, s8, 31
	s_delay_alu instid0(SALU_CYCLE_1) | instskip(NEXT) | instid1(SALU_CYCLE_1)
	s_lshl_b64 s[8:9], s[8:9], 2
	s_add_u32 s8, s13, s8
	s_addc_u32 s9, s16, s9
	s_or_b32 s20, s12, 64
	s_delay_alu instid0(SALU_CYCLE_1) | instskip(SKIP_2) | instid1(SALU_CYCLE_1)
	s_ashr_i32 s21, s20, 5
	s_cmp_lt_i32 s20, s17
	s_cselect_b32 s20, s21, s4
	s_ashr_i32 s21, s20, 31
	s_delay_alu instid0(SALU_CYCLE_1) | instskip(NEXT) | instid1(SALU_CYCLE_1)
	s_lshl_b64 s[20:21], s[20:21], 2
	s_add_u32 s20, s13, s20
	s_addc_u32 s21, s16, s21
	;; [unrolled: 10-line block ×5, first 2 shown]
	s_clause 0x5
	s_load_b32 s28, s[6:7], 0x0
	s_load_b32 s8, s[8:9], 0x0
	;; [unrolled: 1-line block ×6, first 2 shown]
	s_mov_b32 s20, 0
	s_delay_alu instid0(SALU_CYCLE_1)
	s_mov_b32 s21, s20
	s_mov_b32 s22, s20
	;; [unrolled: 1-line block ×7, first 2 shown]
	s_delay_alu instid0(SALU_CYCLE_1)
	v_dual_mov_b32 v107, s27 :: v_dual_mov_b32 v106, s26
	v_dual_mov_b32 v104, s24 :: v_dual_mov_b32 v103, s23
	;; [unrolled: 1-line block ×4, first 2 shown]
	s_waitcnt vmcnt(1)
	v_mad_i64_i32 v[1:2], null, v5, s5, s[2:3]
	v_lshlrev_b32_e32 v5, 4, v66
	s_waitcnt vmcnt(0)
	v_mad_i64_i32 v[3:4], null, v6, s5, s[2:3]
	s_or_b32 s2, s12, 0xc0
	s_delay_alu instid0(SALU_CYCLE_1) | instskip(NEXT) | instid1(VALU_DEP_3)
	s_ashr_i32 s3, s2, 5
	v_add_co_u32 v33, vcc_lo, v1, v5
	s_delay_alu instid0(VALU_DEP_4) | instskip(NEXT) | instid1(VALU_DEP_3)
	v_add_co_ci_u32_e32 v34, vcc_lo, 0, v2, vcc_lo
	v_add_co_u32 v35, vcc_lo, v3, v5
	s_delay_alu instid0(VALU_DEP_4)
	v_add_co_ci_u32_e32 v36, vcc_lo, 0, v4, vcc_lo
	s_clause 0xf
	global_load_b128 v[1:4], v[33:34], off
	global_load_b128 v[5:8], v[33:34], off offset:512
	global_load_b128 v[9:12], v[35:36], off offset:256
	;; [unrolled: 1-line block ×15, first 2 shown]
	s_cmp_lt_i32 s2, s17
	v_and_b32_e32 v33, 7, v0
	s_cselect_b32 s2, s3, s4
	v_lshlrev_b32_e32 v34, 5, v66
	s_ashr_i32 s3, s2, 31
	s_delay_alu instid0(SALU_CYCLE_1)
	s_lshl_b64 s[2:3], s[2:3], 2
	v_lshlrev_b32_e32 v72, 6, v33
	s_add_u32 s2, s13, s2
	s_addc_u32 s3, s16, s3
	s_or_b32 s6, s12, 0xe0
	v_lshl_or_b32 v41, v65, 9, v34
	s_ashr_i32 s7, s6, 5
	s_cmp_lt_i32 s6, s17
	ds_load_b128 v[33:36], v72
	ds_load_b128 v[37:40], v72 offset:1024
	s_cselect_b32 s6, s7, s4
	ds_load_b128 v[108:111], v72 offset:2048
	ds_load_b128 v[112:115], v72 offset:3072
	s_ashr_i32 s7, s6, 31
	s_load_b32 s4, s[2:3], 0x0
	s_lshl_b64 s[6:7], s[6:7], 2
	ds_load_b128 v[116:119], v72 offset:4096
	ds_load_b128 v[120:123], v72 offset:5120
	s_add_u32 s2, s13, s6
	s_addc_u32 s3, s16, s7
	s_add_u32 s6, s10, s15
	s_load_b32 s2, s[2:3], 0x0
	s_addc_u32 s7, s11, s19
	v_add_co_u32 v68, s6, s6, v41
	s_delay_alu instid0(VALU_DEP_1) | instskip(SKIP_1) | instid1(VALU_DEP_1)
	v_add_co_ci_u32_e64 v69, null, s7, 0, s6
	s_waitcnt lgkmcnt(0)
	v_mad_i64_i32 v[41:42], null, s28, s5, v[68:69]
	v_mad_i64_i32 v[70:71], null, s9, s5, v[68:69]
	;; [unrolled: 1-line block ×7, first 2 shown]
	s_clause 0x3
	global_load_b128 v[49:52], v[41:42], off
	global_load_b128 v[53:56], v[41:42], off offset:16
	global_load_b128 v[41:44], v[45:46], off
	global_load_b128 v[45:48], v[45:46], off offset:16
	s_waitcnt vmcnt(18)
	v_wmma_f32_16x16x16_bf16 v[124:131], v[1:8], v[33:40], v[100:107]
	s_waitcnt vmcnt(16)
	v_wmma_f32_16x16x16_bf16 v[100:107], v[9:16], v[33:40], v[100:107]
	s_clause 0x1
	global_load_b128 v[33:36], v[70:71], off
	global_load_b128 v[37:40], v[70:71], off offset:16
	v_mad_i64_i32 v[70:71], null, s2, s5, v[68:69]
	s_waitcnt vmcnt(16)
	v_wmma_f32_16x16x16_bf16 v[124:131], v[17:24], v[108:115], v[124:131]
	s_waitcnt vmcnt(14)
	v_wmma_f32_16x16x16_bf16 v[100:107], v[25:32], v[108:115], v[100:107]
	s_clause 0x7
	global_load_b128 v[25:28], v[132:133], off
	global_load_b128 v[29:32], v[132:133], off offset:16
	global_load_b128 v[1:4], v[134:135], off
	global_load_b128 v[5:8], v[134:135], off offset:16
	;; [unrolled: 2-line block ×4, first 2 shown]
	s_waitcnt vmcnt(20)
	v_wmma_f32_16x16x16_bf16 v[124:131], v[57:64], v[116:123], v[124:131]
	s_clause 0x1
	global_load_b128 v[57:60], v[70:71], off
	global_load_b128 v[61:64], v[70:71], off offset:16
	s_waitcnt vmcnt(20)
	v_wmma_f32_16x16x16_bf16 v[100:107], v[76:83], v[116:123], v[100:107]
	ds_load_b128 v[76:79], v72 offset:6144
	ds_load_b128 v[80:83], v72 offset:7168
	v_and_b32_e32 v68, 0xe0, v0
	v_mbcnt_lo_u32_b32 v69, -1, 0
	s_waitcnt vmcnt(0) lgkmcnt(0)
	s_barrier
	buffer_gl0_inv
	v_add_nc_u32_e32 v68, s12, v68
	v_xor_b32_e32 v70, 16, v69
	s_delay_alu instid0(VALU_DEP_2) | instskip(NEXT) | instid1(VALU_DEP_2)
	v_or_b32_e32 v68, v68, v74
	v_cmp_gt_i32_e32 vcc_lo, 32, v70
	s_delay_alu instid0(VALU_DEP_2)
	v_or_b32_e32 v71, 4, v68
	v_or_b32_e32 v72, 6, v68
	v_cmp_gt_i32_e64 s2, s17, v68
	v_or_b32_e32 v108, 8, v68
	v_wmma_f32_16x16x16_bf16 v[124:131], v[84:91], v[76:83], v[124:131]
	v_cndmask_b32_e32 v69, v69, v70, vcc_lo
	v_or_b32_e32 v70, 2, v68
	v_wmma_f32_16x16x16_bf16 v[100:107], v[92:99], v[76:83], v[100:107]
	v_or_b32_e32 v109, 10, v68
	v_dual_mul_f32 v78, s18, v131 :: v_dual_mul_f32 v83, s18, v126
	v_dual_mul_f32 v92, s18, v125 :: v_dual_mul_f32 v93, s18, v124
	s_delay_alu instid0(VALU_DEP_4) | instskip(SKIP_2) | instid1(VALU_DEP_4)
	v_mul_f32_e32 v94, s18, v107
	v_cmp_gt_i32_e32 vcc_lo, s17, v70
	v_dual_mul_f32 v81, s18, v128 :: v_dual_mul_f32 v82, s18, v127
	v_cndmask_b32_e64 v93, 0xff7fffff, v93, s2
	v_cmp_gt_i32_e64 s3, s17, v71
	v_cndmask_b32_e32 v92, 0xff7fffff, v92, vcc_lo
	v_cmp_gt_i32_e64 s4, s17, v72
	v_or_b32_e32 v84, 12, v68
	v_or_b32_e32 v85, 14, v68
	v_dual_mul_f32 v79, s18, v130 :: v_dual_mul_f32 v80, s18, v129
	v_cndmask_b32_e64 v71, 0xff7fffff, v83, s3
	v_cndmask_b32_e64 v72, 0xff7fffff, v82, s4
	v_max3_f32 v82, v93, 0xff7fffff, v92
	v_cmp_gt_i32_e64 s5, s17, v108
	v_cmp_gt_i32_e64 s6, s17, v109
	v_or_b32_e32 v86, 16, v68
	v_or_b32_e32 v87, 18, v68
	v_max3_f32 v71, v82, v71, v72
	v_cndmask_b32_e64 v81, 0xff7fffff, v81, s5
	v_cndmask_b32_e64 v80, 0xff7fffff, v80, s6
	v_cmp_gt_i32_e64 s7, s17, v84
	v_cmp_gt_i32_e64 s8, s17, v85
	v_or_b32_e32 v88, 20, v68
	v_or_b32_e32 v89, 22, v68
	;; [unrolled: 1-line block ×6, first 2 shown]
	v_dual_mul_f32 v99, s18, v102 :: v_dual_mul_f32 v70, s18, v101
	v_mul_f32_e32 v68, s18, v100
	v_cndmask_b32_e64 v72, 0xff7fffff, v79, s7
	v_cndmask_b32_e64 v78, 0xff7fffff, v78, s8
	v_max3_f32 v71, v71, v81, v80
	v_cmp_gt_i32_e64 s9, s17, v86
	v_cmp_gt_i32_e64 s10, s17, v87
	v_dual_mul_f32 v97, s18, v104 :: v_dual_mul_f32 v98, s18, v103
	s_delay_alu instid0(VALU_DEP_4) | instskip(SKIP_1) | instid1(VALU_DEP_4)
	v_max3_f32 v71, v71, v72, v78
	v_cmp_gt_i32_e64 s11, s17, v88
	v_cndmask_b32_e64 v70, 0xff7fffff, v70, s10
	v_cmp_gt_i32_e64 s12, s17, v89
	v_lshlrev_b32_e32 v89, 2, v69
	v_cndmask_b32_e64 v68, 0xff7fffff, v68, s9
	v_dual_mul_f32 v95, s18, v106 :: v_dual_mul_f32 v96, s18, v105
	v_cndmask_b32_e64 v72, 0xff7fffff, v99, s11
	v_cndmask_b32_e64 v78, 0xff7fffff, v98, s12
	s_delay_alu instid0(VALU_DEP_4)
	v_max3_f32 v68, v71, v68, v70
	v_cmp_gt_i32_e64 s13, s17, v90
	v_cmp_gt_i32_e64 s15, s17, v91
	;; [unrolled: 1-line block ×4, first 2 shown]
	v_max3_f32 v68, v68, v72, v78
	v_cndmask_b32_e64 v70, 0xff7fffff, v97, s13
	v_cndmask_b32_e64 v71, 0xff7fffff, v96, s15
	;; [unrolled: 1-line block ×4, first 2 shown]
	s_delay_alu instid0(VALU_DEP_3) | instskip(NEXT) | instid1(VALU_DEP_1)
	v_max3_f32 v68, v68, v70, v71
	v_max3_f32 v68, v68, v72, v76
	ds_bpermute_b32 v69, v89, v68
	s_waitcnt lgkmcnt(0)
	v_max_f32_e32 v69, v69, v69
	s_delay_alu instid0(VALU_DEP_1) | instskip(NEXT) | instid1(VALU_DEP_1)
	v_max_f32_e32 v68, v68, v69
	v_fma_f32 v71, s18, v126, -v68
	s_delay_alu instid0(VALU_DEP_1)
	v_mul_f32_e32 v71, 0x3fb8aa3b, v71
	v_fma_f32 v69, s18, v124, -v68
	v_fma_f32 v70, s18, v125, -v68
	;; [unrolled: 1-line block ×4, first 2 shown]
	v_exp_f32_e32 v71, v71
	s_delay_alu instid0(VALU_DEP_3) | instskip(SKIP_2) | instid1(VALU_DEP_3)
	v_dual_mul_f32 v69, 0x3fb8aa3b, v69 :: v_dual_mul_f32 v70, 0x3fb8aa3b, v70
	v_fma_f32 v78, s18, v130, -v68
	v_fma_f32 v81, s18, v105, -v68
	v_exp_f32_e32 v69, v69
	s_delay_alu instid0(VALU_DEP_3) | instskip(SKIP_1) | instid1(VALU_DEP_2)
	v_exp_f32_e32 v70, v70
	v_mul_f32_e32 v77, 0x3fb8aa3b, v76
	v_mul_f32_e32 v81, 0x3fb8aa3b, v81
	s_delay_alu instid0(TRANS32_DEP_3) | instskip(SKIP_1) | instid1(VALU_DEP_3)
	v_cndmask_b32_e64 v83, 0, v71, s3
	v_fma_f32 v71, s18, v131, -v68
	v_exp_f32_e32 v81, v81
	s_delay_alu instid0(TRANS32_DEP_3) | instskip(NEXT) | instid1(TRANS32_DEP_2)
	v_cndmask_b32_e64 v80, 0, v69, s2
	v_cndmask_b32_e32 v76, 0, v70, vcc_lo
	v_fma_f32 v69, s18, v129, -v68
	v_mul_f32_e32 v72, 0x3fb8aa3b, v72
	v_exp_f32_e32 v77, v77
	v_dual_add_f32 v70, 0, v80 :: v_dual_mul_f32 v71, 0x3fb8aa3b, v71
	s_delay_alu instid0(VALU_DEP_3) | instskip(NEXT) | instid1(VALU_DEP_3)
	v_mul_f32_e32 v69, 0x3fb8aa3b, v69
	v_exp_f32_e32 v72, v72
	s_mov_b32 s2, exec_lo
	s_delay_alu instid0(VALU_DEP_2) | instskip(NEXT) | instid1(VALU_DEP_1)
	v_exp_f32_e32 v71, v71
	v_exp_f32_e32 v69, v69
	v_cndmask_b32_e64 v86, 0, v77, s5
	v_fma_f32 v77, s18, v101, -v68
	v_add_f32_e32 v70, v70, v76
	s_delay_alu instid0(TRANS32_DEP_3) | instskip(SKIP_1) | instid1(VALU_DEP_3)
	v_cndmask_b32_e64 v85, 0, v72, s4
	v_fma_f32 v72, s18, v100, -v68
	v_dual_mul_f32 v77, 0x3fb8aa3b, v77 :: v_dual_add_f32 v70, v70, v83
	s_delay_alu instid0(TRANS32_DEP_2) | instskip(SKIP_1) | instid1(TRANS32_DEP_1)
	v_cndmask_b32_e64 v88, 0, v71, s8
	v_fma_f32 v71, s18, v104, -v68
	v_cndmask_b32_e64 v87, 0, v69, s6
	s_delay_alu instid0(VALU_DEP_4) | instskip(NEXT) | instid1(VALU_DEP_2)
	v_exp_f32_e32 v77, v77
	v_dual_add_f32 v70, v70, v85 :: v_dual_mul_f32 v71, 0x3fb8aa3b, v71
	s_delay_alu instid0(VALU_DEP_1) | instskip(SKIP_2) | instid1(VALU_DEP_3)
	v_dual_mul_f32 v72, 0x3fb8aa3b, v72 :: v_dual_add_f32 v69, v70, v86
	v_mul_f32_e32 v78, 0x3fb8aa3b, v78
	v_fma_f32 v70, s18, v102, -v68
	v_exp_f32_e32 v72, v72
	v_exp_f32_e32 v82, v71
	v_add_f32_e32 v69, v69, v87
	v_exp_f32_e32 v78, v78
	v_mul_f32_e32 v70, 0x3fb8aa3b, v70
	s_delay_alu instid0(VALU_DEP_1) | instskip(SKIP_4) | instid1(VALU_DEP_2)
	v_exp_f32_e32 v79, v70
	v_cndmask_b32_e64 v70, 0, v72, s9
	s_waitcnt_depctr 0xfff
	v_cndmask_b32_e64 v84, 0, v78, s7
	v_fma_f32 v78, s18, v103, -v68
	v_add_f32_e32 v69, v69, v84
	v_cndmask_b32_e64 v71, 0, v79, s11
	s_delay_alu instid0(VALU_DEP_2) | instskip(SKIP_2) | instid1(VALU_DEP_1)
	v_add_f32_e32 v72, v69, v88
	v_cndmask_b32_e64 v69, 0, v77, s10
	v_fma_f32 v77, s18, v106, -v68
	v_dual_mul_f32 v77, 0x3fb8aa3b, v77 :: v_dual_add_f32 v72, v72, v70
	v_mul_f32_e32 v78, 0x3fb8aa3b, v78
	s_delay_alu instid0(VALU_DEP_2) | instskip(NEXT) | instid1(VALU_DEP_2)
	v_exp_f32_e32 v90, v77
	v_add_f32_e32 v79, v72, v69
	s_delay_alu instid0(VALU_DEP_2)
	v_exp_f32_e32 v78, v78
	v_cndmask_b32_e64 v77, 0, v82, s13
	s_waitcnt_depctr 0xfff
	v_cndmask_b32_e64 v72, 0, v78, s12
	v_add_f32_e32 v78, v79, v71
	v_fma_f32 v79, s18, v107, -v68
	s_delay_alu instid0(VALU_DEP_1) | instskip(SKIP_1) | instid1(VALU_DEP_2)
	v_dual_add_f32 v82, v78, v72 :: v_dual_mul_f32 v79, 0x3fb8aa3b, v79
	v_cndmask_b32_e64 v78, 0, v81, s15
	v_add_f32_e32 v81, v82, v77
	s_delay_alu instid0(VALU_DEP_3) | instskip(SKIP_1) | instid1(VALU_DEP_2)
	v_exp_f32_e32 v82, v79
	v_cndmask_b32_e64 v79, 0, v90, s16
	v_add_f32_e32 v81, v81, v78
	s_delay_alu instid0(VALU_DEP_1) | instskip(SKIP_2) | instid1(VALU_DEP_1)
	v_add_f32_e32 v90, v81, v79
	s_waitcnt_depctr 0xfff
	v_cndmask_b32_e64 v81, 0, v82, s17
	v_add_f32_e32 v82, v90, v81
	ds_bpermute_b32 v89, v89, v82
	v_cmpx_gt_u32_e32 16, v67
	s_cbranch_execz .LBB1893_12
; %bb.11:
	v_mul_u32_u24_e32 v67, 0x44, v65
	s_delay_alu instid0(VALU_DEP_1) | instskip(SKIP_1) | instid1(VALU_DEP_1)
	v_lshl_add_u32 v67, v66, 2, v67
	s_waitcnt lgkmcnt(0)
	v_dual_add_f32 v82, v82, v89 :: v_dual_add_nc_u32 v67, 0x4000, v67
	ds_store_2addr_b32 v67, v68, v82 offset1:136
.LBB1893_12:
	s_or_b32 exec_lo, exec_lo, s2
	v_lshlrev_b32_e32 v67, 2, v66
	s_waitcnt lgkmcnt(0)
	s_barrier
	buffer_gl0_inv
	v_cmp_eq_u32_e32 vcc_lo, 1, v65
	v_add_nc_u32_e32 v82, 0x4000, v67
	v_cmp_eq_u32_e64 s2, 2, v65
	v_cmp_eq_u32_e64 s4, 7, v65
	ds_load_2addr_b32 v[89:90], v82 offset1:17
	ds_load_2addr_b32 v[91:92], v82 offset0:34 offset1:51
	ds_load_2addr_b32 v[93:94], v82 offset0:68 offset1:85
	;; [unrolled: 1-line block ×4, first 2 shown]
	s_waitcnt lgkmcnt(4)
	v_max3_f32 v67, v89, 0xff7fffff, v90
	s_waitcnt lgkmcnt(3)
	s_delay_alu instid0(VALU_DEP_1) | instskip(SKIP_1) | instid1(VALU_DEP_1)
	v_max3_f32 v67, v67, v91, v92
	s_waitcnt lgkmcnt(2)
	v_max3_f32 v67, v67, v93, v94
	s_waitcnt lgkmcnt(1)
	s_delay_alu instid0(VALU_DEP_1) | instskip(NEXT) | instid1(VALU_DEP_1)
	v_max3_f32 v67, v67, v95, v96
	v_sub_f32_e32 v93, v93, v67
	s_delay_alu instid0(VALU_DEP_1) | instskip(NEXT) | instid1(VALU_DEP_1)
	v_dual_sub_f32 v68, v89, v67 :: v_dual_mul_f32 v103, 0x3fb8aa3b, v93
	v_mul_f32_e32 v68, 0x3fb8aa3b, v68
	s_delay_alu instid0(VALU_DEP_1)
	v_exp_f32_e32 v100, v68
	v_sub_f32_e32 v68, v92, v67
	v_sub_f32_e32 v99, v90, v67
	ds_load_2addr_b32 v[89:90], v82 offset0:170 offset1:187
	v_dual_mul_f32 v102, 0x3fb8aa3b, v68 :: v_dual_mul_f32 v99, 0x3fb8aa3b, v99
	s_waitcnt lgkmcnt(1)
	v_fma_f32 v68, v100, v97, 0
	s_delay_alu instid0(VALU_DEP_2) | instskip(NEXT) | instid1(VALU_DEP_2)
	v_exp_f32_e32 v102, v102
	v_exp_f32_e32 v99, v99
	s_waitcnt_depctr 0xfff
	v_fmac_f32_e32 v68, v99, v98
	v_sub_f32_e32 v91, v91, v67
	s_delay_alu instid0(VALU_DEP_1)
	v_mul_f32_e32 v101, 0x3fb8aa3b, v91
	ds_load_2addr_b32 v[91:92], v82 offset0:204 offset1:221
	v_sub_f32_e32 v97, v94, v67
	ds_load_2addr_b32 v[93:94], v82 offset0:238 offset1:255
	s_waitcnt lgkmcnt(0)
	v_exp_f32_e32 v101, v101
	s_barrier
	buffer_gl0_inv
	v_dual_fmac_f32 v68, v101, v89 :: v_dual_sub_f32 v89, v96, v67
	v_dual_sub_f32 v82, v95, v67 :: v_dual_mul_f32 v95, 0x3fb8aa3b, v97
	v_exp_f32_e32 v97, v103
	s_delay_alu instid0(VALU_DEP_2) | instskip(NEXT) | instid1(VALU_DEP_2)
	v_dual_fmac_f32 v68, v102, v90 :: v_dual_mul_f32 v89, 0x3fb8aa3b, v89
	v_mul_f32_e32 v82, 0x3fb8aa3b, v82
	s_delay_alu instid0(VALU_DEP_3) | instskip(NEXT) | instid1(VALU_DEP_2)
	v_exp_f32_e32 v95, v95
	v_exp_f32_e32 v89, v89
	s_delay_alu instid0(VALU_DEP_1)
	v_exp_f32_e32 v82, v82
	v_fmac_f32_e32 v68, v97, v91
	s_delay_alu instid0(TRANS32_DEP_3) | instid1(VALU_DEP_1)
	v_fmac_f32_e32 v68, v95, v92
	s_waitcnt_depctr 0xfff
	v_fmac_f32_e32 v68, v82, v93
	s_delay_alu instid0(VALU_DEP_1) | instskip(NEXT) | instid1(VALU_DEP_1)
	v_fmac_f32_e32 v68, v89, v94
	v_add_f32_e32 v90, 0x358637bd, v68
	s_delay_alu instid0(VALU_DEP_1) | instskip(NEXT) | instid1(VALU_DEP_1)
	v_div_scale_f32 v91, null, v90, v90, 1.0
	v_rcp_f32_e32 v92, v91
	s_waitcnt_depctr 0xfff
	v_fma_f32 v93, -v91, v92, 1.0
	s_delay_alu instid0(VALU_DEP_1) | instskip(SKIP_1) | instid1(VALU_DEP_2)
	v_dual_fmac_f32 v92, v93, v92 :: v_dual_cndmask_b32 v93, v100, v99
	v_cmp_eq_u32_e32 vcc_lo, 3, v65
	v_cndmask_b32_e64 v93, v93, v101, s2
	v_cmp_eq_u32_e64 s2, 4, v65
	s_delay_alu instid0(VALU_DEP_2) | instskip(SKIP_1) | instid1(VALU_DEP_2)
	v_cndmask_b32_e32 v93, v93, v102, vcc_lo
	v_cmp_eq_u32_e32 vcc_lo, 5, v65
	v_cndmask_b32_e64 v93, v93, v97, s2
	v_cmp_eq_u32_e64 s2, 6, v65
	s_delay_alu instid0(VALU_DEP_2) | instskip(SKIP_1) | instid1(VALU_DEP_1)
	v_cndmask_b32_e32 v93, v93, v95, vcc_lo
	v_div_scale_f32 v94, s3, 1.0, v90, 1.0
	s_mov_b32 vcc_lo, s3
	s_delay_alu instid0(VALU_DEP_2) | instskip(NEXT) | instid1(VALU_DEP_2)
	v_cndmask_b32_e64 v82, v93, v82, s2
	v_mul_f32_e32 v96, v94, v92
	s_mov_b32 s2, exec_lo
	s_delay_alu instid0(VALU_DEP_2) | instskip(NEXT) | instid1(VALU_DEP_2)
	v_cndmask_b32_e64 v82, v82, v89, s4
	v_fma_f32 v98, -v91, v96, v94
	s_delay_alu instid0(VALU_DEP_1) | instskip(NEXT) | instid1(VALU_DEP_1)
	v_fmac_f32_e32 v96, v98, v92
	v_fma_f32 v91, -v91, v96, v94
	s_delay_alu instid0(VALU_DEP_1) | instskip(NEXT) | instid1(VALU_DEP_1)
	v_div_fmas_f32 v91, v91, v92, v96
	v_div_fixup_f32 v90, v91, v90, 1.0
	s_delay_alu instid0(VALU_DEP_1) | instskip(NEXT) | instid1(VALU_DEP_1)
	v_mul_f32_e32 v82, v82, v90
	v_mul_f32_e32 v87, v82, v87
	;; [unrolled: 1-line block ×7, first 2 shown]
	v_dual_mul_f32 v86, v82, v83 :: v_dual_and_b32 v91, 0x7f800000, v90
	v_mul_f32_e32 v85, v82, v76
                                        ; implicit-def: $vgpr76
	s_delay_alu instid0(VALU_DEP_2)
	v_cmpx_ne_u32_e32 0x7f800000, v91
	s_xor_b32 s2, exec_lo, s2
; %bb.13:
	v_bfe_u32 v76, v90, 16, 1
	s_delay_alu instid0(VALU_DEP_1)
	v_add3_u32 v76, v90, v76, 0x7fff
                                        ; implicit-def: $vgpr90
; %bb.14:
	s_and_not1_saveexec_b32 s2, s2
; %bb.15:
	v_and_b32_e32 v76, 0xffff, v90
	v_or_b32_e32 v83, 0x10000, v90
	s_delay_alu instid0(VALU_DEP_2) | instskip(NEXT) | instid1(VALU_DEP_2)
	v_cmp_eq_u32_e32 vcc_lo, 0, v76
	v_cndmask_b32_e32 v76, v83, v90, vcc_lo
; %bb.16:
	s_or_b32 exec_lo, exec_lo, s2
	v_and_b32_e32 v83, 0x7f800000, v85
	s_delay_alu instid0(VALU_DEP_1) | instskip(SKIP_1) | instid1(SALU_CYCLE_1)
	v_cmp_ne_u32_e32 vcc_lo, 0x7f800000, v83
                                        ; implicit-def: $vgpr83
	s_and_saveexec_b32 s2, vcc_lo
	s_xor_b32 s2, exec_lo, s2
; %bb.17:
	v_bfe_u32 v83, v85, 16, 1
	s_delay_alu instid0(VALU_DEP_1)
	v_add3_u32 v83, v85, v83, 0x7fff
                                        ; implicit-def: $vgpr85
; %bb.18:
	s_and_not1_saveexec_b32 s2, s2
; %bb.19:
	v_and_b32_e32 v83, 0xffff, v85
	v_or_b32_e32 v90, 0x10000, v85
	s_delay_alu instid0(VALU_DEP_2) | instskip(NEXT) | instid1(VALU_DEP_2)
	v_cmp_eq_u32_e32 vcc_lo, 0, v83
	v_cndmask_b32_e32 v83, v90, v85, vcc_lo
; %bb.20:
	s_or_b32 exec_lo, exec_lo, s2
	v_and_b32_e32 v85, 0x7f800000, v86
	s_delay_alu instid0(VALU_DEP_1) | instskip(SKIP_1) | instid1(SALU_CYCLE_1)
	v_cmp_ne_u32_e32 vcc_lo, 0x7f800000, v85
                                        ; implicit-def: $vgpr85
	s_and_saveexec_b32 s2, vcc_lo
	s_xor_b32 s2, exec_lo, s2
; %bb.21:
	v_bfe_u32 v85, v86, 16, 1
	s_delay_alu instid0(VALU_DEP_1)
	v_add3_u32 v85, v86, v85, 0x7fff
                                        ; implicit-def: $vgpr86
; %bb.22:
	s_and_not1_saveexec_b32 s2, s2
; %bb.23:
	v_and_b32_e32 v85, 0xffff, v86
	v_or_b32_e32 v90, 0x10000, v86
	s_delay_alu instid0(VALU_DEP_2) | instskip(NEXT) | instid1(VALU_DEP_2)
	v_cmp_eq_u32_e32 vcc_lo, 0, v85
	v_cndmask_b32_e32 v85, v90, v86, vcc_lo
; %bb.24:
	s_or_b32 exec_lo, exec_lo, s2
	v_and_b32_e32 v86, 0x7f800000, v89
	s_delay_alu instid0(VALU_DEP_1) | instskip(SKIP_1) | instid1(SALU_CYCLE_1)
	v_cmp_ne_u32_e32 vcc_lo, 0x7f800000, v86
                                        ; implicit-def: $vgpr86
	s_and_saveexec_b32 s2, vcc_lo
	s_xor_b32 s2, exec_lo, s2
; %bb.25:
	v_bfe_u32 v86, v89, 16, 1
	s_delay_alu instid0(VALU_DEP_1)
	v_add3_u32 v86, v89, v86, 0x7fff
                                        ; implicit-def: $vgpr89
; %bb.26:
	s_and_not1_saveexec_b32 s2, s2
; %bb.27:
	v_and_b32_e32 v86, 0xffff, v89
	v_or_b32_e32 v90, 0x10000, v89
	s_delay_alu instid0(VALU_DEP_2) | instskip(NEXT) | instid1(VALU_DEP_2)
	v_cmp_eq_u32_e32 vcc_lo, 0, v86
	v_cndmask_b32_e32 v86, v90, v89, vcc_lo
; %bb.28:
	s_or_b32 exec_lo, exec_lo, s2
	v_and_b32_e32 v89, 0x7f800000, v88
	s_delay_alu instid0(VALU_DEP_1) | instskip(SKIP_1) | instid1(SALU_CYCLE_1)
	v_cmp_ne_u32_e32 vcc_lo, 0x7f800000, v89
                                        ; implicit-def: $vgpr89
	s_and_saveexec_b32 s2, vcc_lo
	s_xor_b32 s2, exec_lo, s2
; %bb.29:
	v_bfe_u32 v89, v88, 16, 1
	s_delay_alu instid0(VALU_DEP_1)
	v_add3_u32 v89, v88, v89, 0x7fff
                                        ; implicit-def: $vgpr88
; %bb.30:
	s_and_not1_saveexec_b32 s2, s2
; %bb.31:
	v_and_b32_e32 v89, 0xffff, v88
	v_or_b32_e32 v90, 0x10000, v88
	s_delay_alu instid0(VALU_DEP_2) | instskip(NEXT) | instid1(VALU_DEP_2)
	v_cmp_eq_u32_e32 vcc_lo, 0, v89
	v_cndmask_b32_e32 v89, v90, v88, vcc_lo
; %bb.32:
	s_or_b32 exec_lo, exec_lo, s2
	v_and_b32_e32 v88, 0x7f800000, v87
	s_delay_alu instid0(VALU_DEP_1) | instskip(SKIP_1) | instid1(SALU_CYCLE_1)
	v_cmp_ne_u32_e32 vcc_lo, 0x7f800000, v88
                                        ; implicit-def: $vgpr88
	s_and_saveexec_b32 s2, vcc_lo
	s_xor_b32 s2, exec_lo, s2
; %bb.33:
	v_bfe_u32 v88, v87, 16, 1
	s_delay_alu instid0(VALU_DEP_1)
	v_add3_u32 v88, v87, v88, 0x7fff
                                        ; implicit-def: $vgpr87
; %bb.34:
	s_and_not1_saveexec_b32 s2, s2
; %bb.35:
	v_and_b32_e32 v88, 0xffff, v87
	v_or_b32_e32 v90, 0x10000, v87
	s_delay_alu instid0(VALU_DEP_2) | instskip(NEXT) | instid1(VALU_DEP_2)
	v_cmp_eq_u32_e32 vcc_lo, 0, v88
	v_cndmask_b32_e32 v88, v90, v87, vcc_lo
; %bb.36:
	s_or_b32 exec_lo, exec_lo, s2
	v_and_b32_e32 v87, 0x7f800000, v84
	s_delay_alu instid0(VALU_DEP_1) | instskip(SKIP_1) | instid1(SALU_CYCLE_1)
	v_cmp_ne_u32_e32 vcc_lo, 0x7f800000, v87
                                        ; implicit-def: $vgpr87
	s_and_saveexec_b32 s2, vcc_lo
	s_xor_b32 s2, exec_lo, s2
; %bb.37:
	v_bfe_u32 v87, v84, 16, 1
	s_delay_alu instid0(VALU_DEP_1)
	v_add3_u32 v87, v84, v87, 0x7fff
                                        ; implicit-def: $vgpr84
; %bb.38:
	s_and_not1_saveexec_b32 s2, s2
; %bb.39:
	v_and_b32_e32 v87, 0xffff, v84
	v_or_b32_e32 v90, 0x10000, v84
	s_delay_alu instid0(VALU_DEP_2) | instskip(NEXT) | instid1(VALU_DEP_2)
	v_cmp_eq_u32_e32 vcc_lo, 0, v87
	v_cndmask_b32_e32 v87, v90, v84, vcc_lo
; %bb.40:
	s_or_b32 exec_lo, exec_lo, s2
	v_and_b32_e32 v84, 0x7f800000, v80
	s_delay_alu instid0(VALU_DEP_1) | instskip(SKIP_1) | instid1(SALU_CYCLE_1)
	v_cmp_ne_u32_e32 vcc_lo, 0x7f800000, v84
                                        ; implicit-def: $vgpr84
	s_and_saveexec_b32 s2, vcc_lo
	s_xor_b32 s2, exec_lo, s2
; %bb.41:
	v_bfe_u32 v84, v80, 16, 1
	s_delay_alu instid0(VALU_DEP_1)
	v_add3_u32 v84, v80, v84, 0x7fff
                                        ; implicit-def: $vgpr80
; %bb.42:
	s_and_not1_saveexec_b32 s2, s2
; %bb.43:
	v_and_b32_e32 v84, 0xffff, v80
	v_or_b32_e32 v90, 0x10000, v80
	s_delay_alu instid0(VALU_DEP_2) | instskip(NEXT) | instid1(VALU_DEP_2)
	v_cmp_eq_u32_e32 vcc_lo, 0, v84
	v_cndmask_b32_e32 v84, v90, v80, vcc_lo
; %bb.44:
	s_or_b32 exec_lo, exec_lo, s2
	s_load_b64 s[34:35], s[0:1], 0x94
	v_lshlrev_b32_e32 v91, 4, v74
	s_delay_alu instid0(VALU_DEP_2)
	v_perm_b32 v90, v84, v87, 0x7060302
	v_dual_mul_f32 v77, v82, v77 :: v_dual_lshlrev_b32 v80, 6, v66
	v_lshlrev_b32_e32 v66, 11, v65
	v_perm_b32 v87, v83, v76, 0x7060302
	v_mul_f32_e32 v83, v82, v70
	v_perm_b32 v89, v88, v89, 0x7060302
	v_perm_b32 v88, v86, v85, 0x7060302
	v_or3_b32 v76, v91, v66, v80
	v_mul_f32_e32 v66, v82, v81
	v_mul_f32_e32 v70, v82, v79
	;; [unrolled: 1-line block ×3, first 2 shown]
	v_dual_mul_f32 v81, v82, v72 :: v_dual_and_b32 v84, 0x7f800000, v83
	v_mul_f32_e32 v79, v82, v71
	v_mul_f32_e32 v72, v82, v69
	s_mov_b32 s2, exec_lo
	ds_store_b128 v76, v[87:90]
                                        ; implicit-def: $vgpr69
	v_cmpx_ne_u32_e32 0x7f800000, v84
	s_xor_b32 s2, exec_lo, s2
; %bb.45:
	v_bfe_u32 v69, v83, 16, 1
	s_delay_alu instid0(VALU_DEP_1)
	v_add3_u32 v69, v83, v69, 0x7fff
                                        ; implicit-def: $vgpr83
; %bb.46:
	s_and_not1_saveexec_b32 s2, s2
; %bb.47:
	v_and_b32_e32 v69, 0xffff, v83
	v_or_b32_e32 v71, 0x10000, v83
	s_delay_alu instid0(VALU_DEP_2) | instskip(NEXT) | instid1(VALU_DEP_2)
	v_cmp_eq_u32_e32 vcc_lo, 0, v69
	v_cndmask_b32_e32 v69, v71, v83, vcc_lo
; %bb.48:
	s_or_b32 exec_lo, exec_lo, s2
	v_and_b32_e32 v71, 0x7f800000, v72
	s_delay_alu instid0(VALU_DEP_1) | instskip(SKIP_1) | instid1(SALU_CYCLE_1)
	v_cmp_ne_u32_e32 vcc_lo, 0x7f800000, v71
                                        ; implicit-def: $vgpr71
	s_and_saveexec_b32 s2, vcc_lo
	s_xor_b32 s2, exec_lo, s2
; %bb.49:
	v_bfe_u32 v71, v72, 16, 1
	s_delay_alu instid0(VALU_DEP_1)
	v_add3_u32 v71, v72, v71, 0x7fff
                                        ; implicit-def: $vgpr72
; %bb.50:
	s_and_not1_saveexec_b32 s2, s2
; %bb.51:
	v_and_b32_e32 v71, 0xffff, v72
	v_or_b32_e32 v82, 0x10000, v72
	s_delay_alu instid0(VALU_DEP_2) | instskip(NEXT) | instid1(VALU_DEP_2)
	v_cmp_eq_u32_e32 vcc_lo, 0, v71
	v_cndmask_b32_e32 v71, v82, v72, vcc_lo
; %bb.52:
	s_or_b32 exec_lo, exec_lo, s2
	v_and_b32_e32 v72, 0x7f800000, v79
	s_delay_alu instid0(VALU_DEP_1) | instskip(SKIP_1) | instid1(SALU_CYCLE_1)
	v_cmp_ne_u32_e32 vcc_lo, 0x7f800000, v72
                                        ; implicit-def: $vgpr72
	s_and_saveexec_b32 s2, vcc_lo
	s_xor_b32 s2, exec_lo, s2
; %bb.53:
	v_bfe_u32 v72, v79, 16, 1
	s_delay_alu instid0(VALU_DEP_1)
	v_add3_u32 v72, v79, v72, 0x7fff
                                        ; implicit-def: $vgpr79
; %bb.54:
	s_and_not1_saveexec_b32 s2, s2
; %bb.55:
	v_and_b32_e32 v72, 0xffff, v79
	v_or_b32_e32 v82, 0x10000, v79
	s_delay_alu instid0(VALU_DEP_2) | instskip(NEXT) | instid1(VALU_DEP_2)
	v_cmp_eq_u32_e32 vcc_lo, 0, v72
	v_cndmask_b32_e32 v72, v82, v79, vcc_lo
; %bb.56:
	s_or_b32 exec_lo, exec_lo, s2
	v_and_b32_e32 v79, 0x7f800000, v81
	s_delay_alu instid0(VALU_DEP_1) | instskip(SKIP_1) | instid1(SALU_CYCLE_1)
	v_cmp_ne_u32_e32 vcc_lo, 0x7f800000, v79
                                        ; implicit-def: $vgpr79
	s_and_saveexec_b32 s2, vcc_lo
	s_xor_b32 s2, exec_lo, s2
; %bb.57:
	v_bfe_u32 v79, v81, 16, 1
	s_delay_alu instid0(VALU_DEP_1)
	v_add3_u32 v79, v81, v79, 0x7fff
                                        ; implicit-def: $vgpr81
; %bb.58:
	s_and_not1_saveexec_b32 s2, s2
; %bb.59:
	v_and_b32_e32 v79, 0xffff, v81
	v_or_b32_e32 v82, 0x10000, v81
	s_delay_alu instid0(VALU_DEP_2) | instskip(NEXT) | instid1(VALU_DEP_2)
	v_cmp_eq_u32_e32 vcc_lo, 0, v79
	v_cndmask_b32_e32 v79, v82, v81, vcc_lo
; %bb.60:
	s_or_b32 exec_lo, exec_lo, s2
	v_and_b32_e32 v81, 0x7f800000, v77
	s_delay_alu instid0(VALU_DEP_1) | instskip(SKIP_1) | instid1(SALU_CYCLE_1)
	v_cmp_ne_u32_e32 vcc_lo, 0x7f800000, v81
                                        ; implicit-def: $vgpr81
	s_and_saveexec_b32 s2, vcc_lo
	s_xor_b32 s2, exec_lo, s2
; %bb.61:
	v_bfe_u32 v81, v77, 16, 1
	s_delay_alu instid0(VALU_DEP_1)
	v_add3_u32 v81, v77, v81, 0x7fff
                                        ; implicit-def: $vgpr77
; %bb.62:
	s_and_not1_saveexec_b32 s2, s2
; %bb.63:
	v_and_b32_e32 v81, 0xffff, v77
	v_or_b32_e32 v82, 0x10000, v77
	s_delay_alu instid0(VALU_DEP_2) | instskip(NEXT) | instid1(VALU_DEP_2)
	v_cmp_eq_u32_e32 vcc_lo, 0, v81
	v_cndmask_b32_e32 v81, v82, v77, vcc_lo
; %bb.64:
	s_or_b32 exec_lo, exec_lo, s2
	v_and_b32_e32 v77, 0x7f800000, v78
	s_delay_alu instid0(VALU_DEP_1) | instskip(SKIP_1) | instid1(SALU_CYCLE_1)
	v_cmp_ne_u32_e32 vcc_lo, 0x7f800000, v77
                                        ; implicit-def: $vgpr77
	s_and_saveexec_b32 s2, vcc_lo
	s_xor_b32 s2, exec_lo, s2
; %bb.65:
	v_bfe_u32 v77, v78, 16, 1
	s_delay_alu instid0(VALU_DEP_1)
	v_add3_u32 v77, v78, v77, 0x7fff
                                        ; implicit-def: $vgpr78
; %bb.66:
	s_and_not1_saveexec_b32 s2, s2
; %bb.67:
	v_and_b32_e32 v77, 0xffff, v78
	v_or_b32_e32 v82, 0x10000, v78
	s_delay_alu instid0(VALU_DEP_2) | instskip(NEXT) | instid1(VALU_DEP_2)
	v_cmp_eq_u32_e32 vcc_lo, 0, v77
	v_cndmask_b32_e32 v77, v82, v78, vcc_lo
; %bb.68:
	s_or_b32 exec_lo, exec_lo, s2
	v_and_b32_e32 v78, 0x7f800000, v70
	s_delay_alu instid0(VALU_DEP_1) | instskip(SKIP_1) | instid1(SALU_CYCLE_1)
	v_cmp_ne_u32_e32 vcc_lo, 0x7f800000, v78
                                        ; implicit-def: $vgpr78
	s_and_saveexec_b32 s2, vcc_lo
	s_xor_b32 s2, exec_lo, s2
; %bb.69:
	v_bfe_u32 v78, v70, 16, 1
	s_delay_alu instid0(VALU_DEP_1)
	v_add3_u32 v78, v70, v78, 0x7fff
                                        ; implicit-def: $vgpr70
; %bb.70:
	s_and_not1_saveexec_b32 s2, s2
; %bb.71:
	v_and_b32_e32 v78, 0xffff, v70
	v_or_b32_e32 v82, 0x10000, v70
	s_delay_alu instid0(VALU_DEP_2) | instskip(NEXT) | instid1(VALU_DEP_2)
	v_cmp_eq_u32_e32 vcc_lo, 0, v78
	v_cndmask_b32_e32 v78, v82, v70, vcc_lo
; %bb.72:
	s_or_b32 exec_lo, exec_lo, s2
	v_and_b32_e32 v70, 0x7f800000, v66
	s_delay_alu instid0(VALU_DEP_1) | instskip(SKIP_1) | instid1(SALU_CYCLE_1)
	v_cmp_ne_u32_e32 vcc_lo, 0x7f800000, v70
                                        ; implicit-def: $vgpr70
	s_and_saveexec_b32 s2, vcc_lo
	s_xor_b32 s2, exec_lo, s2
; %bb.73:
	v_bfe_u32 v70, v66, 16, 1
	s_delay_alu instid0(VALU_DEP_1)
	v_add3_u32 v70, v66, v70, 0x7fff
                                        ; implicit-def: $vgpr66
; %bb.74:
	s_and_not1_saveexec_b32 s2, s2
; %bb.75:
	v_and_b32_e32 v70, 0xffff, v66
	v_or_b32_e32 v82, 0x10000, v66
	s_delay_alu instid0(VALU_DEP_2) | instskip(NEXT) | instid1(VALU_DEP_2)
	v_cmp_eq_u32_e32 vcc_lo, 0, v70
	v_cndmask_b32_e32 v70, v82, v66, vcc_lo
; %bb.76:
	s_or_b32 exec_lo, exec_lo, s2
	s_delay_alu instid0(VALU_DEP_1)
	v_perm_b32 v86, v70, v78, 0x7060302
	v_perm_b32 v85, v77, v81, 0x7060302
	;; [unrolled: 1-line block ×4, first 2 shown]
	v_lshl_or_b32 v82, v65, 11, v80
	ds_store_b128 v76, v[83:86] offset:1024
	s_waitcnt lgkmcnt(0)
	s_barrier
	buffer_gl0_inv
	ds_load_b128 v[69:72], v82
	ds_load_b128 v[83:86], v82 offset:16
	s_waitcnt lgkmcnt(1)
	v_lshrrev_b32_e32 v65, 16, v69
	v_lshlrev_b32_e32 v78, 2, v74
	s_waitcnt lgkmcnt(0)
	v_lshrrev_b32_e32 v91, 16, v83
	v_lshrrev_b32_e32 v66, 16, v70
	;; [unrolled: 1-line block ×4, first 2 shown]
	v_cmp_eq_u32_e32 vcc_lo, 1, v78
	v_lshrrev_b32_e32 v98, 16, v85
	v_lshrrev_b32_e32 v96, 16, v72
	;; [unrolled: 1-line block ×3, first 2 shown]
	v_cndmask_b32_e32 v81, v69, v65, vcc_lo
	v_or_b32_e32 v79, 1, v78
	v_cmp_eq_u32_e64 s3, 2, v78
	v_cndmask_b32_e32 v87, v83, v91, vcc_lo
	v_cmp_eq_u32_e64 s6, 3, v78
	v_cmp_eq_u32_e64 s8, 4, v78
	;; [unrolled: 1-line block ×3, first 2 shown]
	v_cndmask_b32_e64 v81, v81, v70, s3
	v_cmp_eq_u32_e64 s5, 2, v79
	v_cndmask_b32_e64 v87, v87, v84, s3
	v_cmp_eq_u32_e64 s7, 3, v79
	v_cndmask_b32_e64 v88, v69, v65, s2
	v_cndmask_b32_e64 v81, v81, v66, s6
	v_or_b32_e32 v77, 2, v78
	v_cndmask_b32_e64 v87, v87, v97, s6
	v_cndmask_b32_e64 v89, v83, v91, s2
	;; [unrolled: 1-line block ×4, first 2 shown]
	v_cmp_eq_u32_e64 s9, 5, v78
	v_cndmask_b32_e64 v87, v87, v85, s8
	v_cmp_eq_u32_e64 s10, 4, v79
	v_cndmask_b32_e64 v88, v88, v66, s7
	;; [unrolled: 2-line block ×3, first 2 shown]
	v_cndmask_b32_e64 v81, v81, v95, s9
	v_cmp_eq_u32_e64 s11, 6, v78
	v_cndmask_b32_e64 v88, v88, v71, s10
	v_cndmask_b32_e64 v87, v87, v98, s9
	v_cmp_eq_u32_e64 s12, 5, v79
	v_cndmask_b32_e64 v90, v69, v65, s4
	v_cndmask_b32_e64 v89, v89, v97, s7
	;; [unrolled: 1-line block ×3, first 2 shown]
	v_cmp_eq_u32_e64 s13, 7, v78
	v_cndmask_b32_e64 v88, v88, v95, s12
	v_cndmask_b32_e64 v87, v87, v86, s11
	v_cmp_eq_u32_e64 s15, 6, v79
	v_cmp_eq_u32_e64 s16, 2, v77
	v_cndmask_b32_e64 v89, v89, v85, s10
	v_cndmask_b32_e64 v100, v81, v96, s13
	;; [unrolled: 1-line block ×6, first 2 shown]
	v_cmp_eq_u32_e64 s17, 7, v79
	v_cmp_eq_u32_e64 s18, 3, v77
	;; [unrolled: 1-line block ×4, first 2 shown]
	v_cndmask_b32_e64 v87, v87, v84, s16
	v_cndmask_b32_e64 v102, v88, v96, s17
	;; [unrolled: 1-line block ×4, first 2 shown]
	v_or_b32_e32 v81, 3, v78
	v_cndmask_b32_e64 v93, v87, v97, s18
	v_cmp_eq_u32_e64 s23, 6, v77
	v_cndmask_b32_e64 v103, v88, v86, s15
	v_cndmask_b32_e64 v92, v89, v71, s19
	v_cmp_eq_u32_e64 s20, 1, v81
	ds_load_b128 v[87:90], v82 offset:1024
	v_cmp_eq_u32_e64 s22, 2, v81
	v_cmp_eq_u32_e64 s24, 3, v81
	v_cndmask_b32_e64 v104, v92, v95, s21
	v_cndmask_b32_e64 v65, v69, v65, s20
	;; [unrolled: 1-line block ×4, first 2 shown]
	ds_load_b128 v[91:94], v82 offset:1040
	v_cmp_eq_u32_e64 s25, 4, v81
	v_cndmask_b32_e64 v65, v65, v70, s22
	v_cmp_eq_u32_e64 s27, 5, v81
	v_cndmask_b32_e64 v70, v83, v84, s22
	;; [unrolled: 2-line block ×3, first 2 shown]
	v_cndmask_b32_e64 v65, v65, v66, s24
	v_cndmask_b32_e64 v66, v104, v72, s23
	;; [unrolled: 1-line block ×3, first 2 shown]
	v_cmp_eq_u32_e64 s26, 7, v77
	v_cndmask_b32_e64 v69, v69, v86, s23
	v_cndmask_b32_e64 v65, v65, v71, s25
	s_waitcnt lgkmcnt(1)
	v_lshrrev_b32_e32 v84, 16, v87
	v_cndmask_b32_e64 v70, v70, v85, s25
	v_cndmask_b32_e64 v83, v103, v99, s17
	;; [unrolled: 1-line block ×4, first 2 shown]
	v_lshrrev_b32_e32 v95, 16, v88
	v_cndmask_b32_e64 v70, v70, v98, s27
	s_waitcnt lgkmcnt(0)
	v_lshrrev_b32_e32 v85, 16, v91
	v_cndmask_b32_e64 v97, v87, v84, s2
	v_cndmask_b32_e64 v65, v65, v72, s28
	;; [unrolled: 1-line block ×4, first 2 shown]
	v_cndmask_b32_e32 v71, v87, v84, vcc_lo
	v_cndmask_b32_e32 v98, v91, v85, vcc_lo
	v_cmp_eq_u32_e32 vcc_lo, 7, v81
	v_cndmask_b32_e64 v72, v97, v88, s5
	v_lshrrev_b32_e32 v97, 16, v92
	v_lshrrev_b32_e32 v103, 16, v90
	v_dual_cndmask_b32 v65, v65, v96 :: v_dual_cndmask_b32 v70, v70, v99
	v_cndmask_b32_e64 v71, v71, v88, s3
	v_cndmask_b32_e64 v86, v98, v92, s3
	;; [unrolled: 1-line block ×3, first 2 shown]
	v_lshrrev_b32_e32 v98, 16, v89
	v_lshrrev_b32_e32 v99, 16, v93
	v_cndmask_b32_e64 v71, v71, v95, s6
	v_cndmask_b32_e64 v86, v86, v97, s6
	;; [unrolled: 1-line block ×3, first 2 shown]
	v_perm_b32 v72, v70, v65, 0x5040100
	v_perm_b32 v70, v83, v102, 0x5040100
	v_cndmask_b32_e64 v71, v71, v89, s8
	v_cndmask_b32_e64 v86, v86, v93, s8
	;; [unrolled: 1-line block ×3, first 2 shown]
	v_lshrrev_b32_e32 v83, 16, v94
	s_delay_alu instid0(VALU_DEP_4) | instskip(NEXT) | instid1(VALU_DEP_4)
	v_cndmask_b32_e64 v71, v71, v98, s9
	v_cndmask_b32_e64 v86, v86, v99, s9
	s_delay_alu instid0(VALU_DEP_4) | instskip(NEXT) | instid1(VALU_DEP_3)
	v_cndmask_b32_e64 v65, v65, v90, s15
	v_cndmask_b32_e64 v96, v71, v90, s11
	v_perm_b32 v71, v69, v66, 0x5040100
	s_delay_alu instid0(VALU_DEP_4)
	v_cndmask_b32_e64 v69, v86, v94, s11
	v_cndmask_b32_e64 v86, v87, v84, s4
	;; [unrolled: 1-line block ×34, first 2 shown]
	v_cndmask_b32_e32 v84, v84, v103, vcc_lo
	v_cndmask_b32_e32 v86, v87, v83, vcc_lo
	v_cndmask_b32_e64 v87, v88, v83, s26
	v_cndmask_b32_e64 v88, v85, v83, s17
	;; [unrolled: 1-line block ×3, first 2 shown]
	v_perm_b32 v69, v101, v100, 0x5040100
	v_perm_b32 v86, v86, v84, 0x5040100
	;; [unrolled: 1-line block ×5, first 2 shown]
	s_lshl_b32 s7, s35, 3
	s_mov_b32 s2, exec_lo
	ds_store_b128 v76, v[69:72]
	ds_store_b128 v76, v[83:86] offset:1024
	v_cmpx_gt_u32_e32 8, v0
	s_cbranch_execz .LBB1893_78
; %bb.77:
	v_or_b32_e32 v65, s29, v0
	s_load_b128 s[8:11], s[0:1], 0x58
	s_delay_alu instid0(VALU_DEP_1) | instskip(NEXT) | instid1(VALU_DEP_1)
	v_mad_u64_u32 v[69:70], null, s7, s30, v[65:66]
	v_mad_u64_u32 v[65:66], null, v69, s34, s[14:15]
	s_delay_alu instid0(VALU_DEP_1) | instskip(NEXT) | instid1(VALU_DEP_1)
	v_ashrrev_i32_e32 v66, 31, v65
	v_lshlrev_b64 v[65:66], 2, v[65:66]
	s_waitcnt lgkmcnt(0)
	s_delay_alu instid0(VALU_DEP_1) | instskip(NEXT) | instid1(VALU_DEP_2)
	v_add_co_u32 v69, vcc_lo, s10, v65
	v_add_co_ci_u32_e32 v70, vcc_lo, s11, v66, vcc_lo
	v_add_co_u32 v65, vcc_lo, s8, v65
	v_add_co_ci_u32_e32 v66, vcc_lo, s9, v66, vcc_lo
	global_store_b32 v[69:70], v67, off
	global_store_b32 v[65:66], v68, off
.LBB1893_78:
	s_or_b32 exec_lo, exec_lo, s2
	s_waitcnt lgkmcnt(0)
	s_waitcnt_vscnt null, 0x0
	s_barrier
	buffer_gl0_inv
	ds_load_b128 v[83:86], v80
	ds_load_b128 v[87:90], v80 offset:16
	ds_load_b128 v[95:98], v80 offset:2064
	;; [unrolled: 1-line block ×3, first 2 shown]
	v_mov_b32_e32 v65, 0
	ds_load_b128 v[103:106], v80 offset:4112
	ds_load_b128 v[99:102], v80 offset:4096
	ds_load_b128 v[111:114], v80 offset:6160
	ds_load_b128 v[107:110], v80 offset:6144
	v_mov_b32_e32 v66, v65
	v_mov_b32_e32 v67, v65
	;; [unrolled: 1-line block ×7, first 2 shown]
	s_waitcnt lgkmcnt(6)
	s_delay_alu instid0(VALU_DEP_1)
	v_wmma_f32_16x16x16_bf16 v[65:72], v[49:56], v[83:90], v[65:72]
	ds_load_b128 v[53:56], v80 offset:8208
	ds_load_b128 v[49:52], v80 offset:8192
	s_waitcnt lgkmcnt(6)
	v_wmma_f32_16x16x16_bf16 v[65:72], v[41:48], v[91:98], v[65:72]
	ds_load_b128 v[45:48], v80 offset:10256
	ds_load_b128 v[41:44], v80 offset:10240
	s_waitcnt lgkmcnt(6)
	;; [unrolled: 4-line block ×4, first 2 shown]
	v_wmma_f32_16x16x16_bf16 v[65:72], v[1:8], v[49:56], v[65:72]
	s_waitcnt lgkmcnt(4)
	s_delay_alu instid0(VALU_DEP_1) | instskip(SKIP_1) | instid1(VALU_DEP_1)
	v_wmma_f32_16x16x16_bf16 v[65:72], v[9:16], v[41:48], v[65:72]
	s_waitcnt lgkmcnt(2)
	v_wmma_f32_16x16x16_bf16 v[65:72], v[17:24], v[33:40], v[65:72]
	s_waitcnt lgkmcnt(0)
	s_delay_alu instid0(VALU_DEP_1) | instskip(NEXT) | instid1(VALU_DEP_1)
	v_wmma_f32_16x16x16_bf16 v[65:72], v[57:64], v[25:32], v[65:72]
	v_and_b32_e32 v1, 0x7f800000, v65
	s_delay_alu instid0(VALU_DEP_1) | instskip(SKIP_1) | instid1(SALU_CYCLE_1)
	v_cmp_ne_u32_e32 vcc_lo, 0x7f800000, v1
                                        ; implicit-def: $vgpr1
	s_and_saveexec_b32 s2, vcc_lo
	s_xor_b32 s2, exec_lo, s2
; %bb.79:
	v_bfe_u32 v1, v65, 16, 1
	s_delay_alu instid0(VALU_DEP_1)
	v_add3_u32 v1, v65, v1, 0x7fff
; %bb.80:
	s_and_not1_saveexec_b32 s2, s2
; %bb.81:
	v_and_b32_e32 v1, 0xffff, v65
	v_or_b32_e32 v2, 0x10000, v65
	s_delay_alu instid0(VALU_DEP_2) | instskip(NEXT) | instid1(VALU_DEP_2)
	v_cmp_eq_u32_e32 vcc_lo, 0, v1
	v_cndmask_b32_e32 v1, v2, v65, vcc_lo
; %bb.82:
	s_or_b32 exec_lo, exec_lo, s2
	v_and_b32_e32 v2, 0x7f800000, v66
	s_delay_alu instid0(VALU_DEP_1) | instskip(SKIP_1) | instid1(SALU_CYCLE_1)
	v_cmp_ne_u32_e32 vcc_lo, 0x7f800000, v2
                                        ; implicit-def: $vgpr2
	s_and_saveexec_b32 s2, vcc_lo
	s_xor_b32 s2, exec_lo, s2
; %bb.83:
	v_bfe_u32 v2, v66, 16, 1
	s_delay_alu instid0(VALU_DEP_1)
	v_add3_u32 v2, v66, v2, 0x7fff
; %bb.84:
	s_and_not1_saveexec_b32 s2, s2
; %bb.85:
	v_and_b32_e32 v2, 0xffff, v66
	v_or_b32_e32 v3, 0x10000, v66
	s_delay_alu instid0(VALU_DEP_2) | instskip(NEXT) | instid1(VALU_DEP_2)
	v_cmp_eq_u32_e32 vcc_lo, 0, v2
	v_cndmask_b32_e32 v2, v3, v66, vcc_lo
; %bb.86:
	s_or_b32 exec_lo, exec_lo, s2
	v_and_b32_e32 v3, 0x7f800000, v67
	s_delay_alu instid0(VALU_DEP_1) | instskip(SKIP_1) | instid1(SALU_CYCLE_1)
	v_cmp_ne_u32_e32 vcc_lo, 0x7f800000, v3
                                        ; implicit-def: $vgpr3
	s_and_saveexec_b32 s2, vcc_lo
	s_xor_b32 s2, exec_lo, s2
; %bb.87:
	v_bfe_u32 v3, v67, 16, 1
	s_delay_alu instid0(VALU_DEP_1)
	v_add3_u32 v3, v67, v3, 0x7fff
; %bb.88:
	s_and_not1_saveexec_b32 s2, s2
; %bb.89:
	v_and_b32_e32 v3, 0xffff, v67
	v_or_b32_e32 v4, 0x10000, v67
	s_delay_alu instid0(VALU_DEP_2) | instskip(NEXT) | instid1(VALU_DEP_2)
	v_cmp_eq_u32_e32 vcc_lo, 0, v3
	v_cndmask_b32_e32 v3, v4, v67, vcc_lo
; %bb.90:
	s_or_b32 exec_lo, exec_lo, s2
	v_and_b32_e32 v4, 0x7f800000, v68
	s_delay_alu instid0(VALU_DEP_1) | instskip(SKIP_1) | instid1(SALU_CYCLE_1)
	v_cmp_ne_u32_e32 vcc_lo, 0x7f800000, v4
                                        ; implicit-def: $vgpr4
	s_and_saveexec_b32 s2, vcc_lo
	s_xor_b32 s2, exec_lo, s2
; %bb.91:
	v_bfe_u32 v4, v68, 16, 1
	s_delay_alu instid0(VALU_DEP_1)
	v_add3_u32 v4, v68, v4, 0x7fff
; %bb.92:
	s_and_not1_saveexec_b32 s2, s2
; %bb.93:
	v_and_b32_e32 v4, 0xffff, v68
	v_or_b32_e32 v5, 0x10000, v68
	s_delay_alu instid0(VALU_DEP_2) | instskip(NEXT) | instid1(VALU_DEP_2)
	v_cmp_eq_u32_e32 vcc_lo, 0, v4
	v_cndmask_b32_e32 v4, v5, v68, vcc_lo
; %bb.94:
	s_or_b32 exec_lo, exec_lo, s2
	v_and_b32_e32 v5, 0x7f800000, v69
	s_delay_alu instid0(VALU_DEP_1) | instskip(SKIP_1) | instid1(SALU_CYCLE_1)
	v_cmp_ne_u32_e32 vcc_lo, 0x7f800000, v5
                                        ; implicit-def: $vgpr5
	s_and_saveexec_b32 s2, vcc_lo
	s_xor_b32 s2, exec_lo, s2
; %bb.95:
	v_bfe_u32 v5, v69, 16, 1
	s_delay_alu instid0(VALU_DEP_1)
	v_add3_u32 v5, v69, v5, 0x7fff
; %bb.96:
	s_and_not1_saveexec_b32 s2, s2
; %bb.97:
	v_and_b32_e32 v5, 0xffff, v69
	v_or_b32_e32 v6, 0x10000, v69
	s_delay_alu instid0(VALU_DEP_2) | instskip(NEXT) | instid1(VALU_DEP_2)
	v_cmp_eq_u32_e32 vcc_lo, 0, v5
	v_cndmask_b32_e32 v5, v6, v69, vcc_lo
; %bb.98:
	s_or_b32 exec_lo, exec_lo, s2
	v_and_b32_e32 v6, 0x7f800000, v70
	s_delay_alu instid0(VALU_DEP_1) | instskip(SKIP_1) | instid1(SALU_CYCLE_1)
	v_cmp_ne_u32_e32 vcc_lo, 0x7f800000, v6
                                        ; implicit-def: $vgpr6
	s_and_saveexec_b32 s2, vcc_lo
	s_xor_b32 s2, exec_lo, s2
; %bb.99:
	v_bfe_u32 v6, v70, 16, 1
	s_delay_alu instid0(VALU_DEP_1)
	v_add3_u32 v6, v70, v6, 0x7fff
; %bb.100:
	s_and_not1_saveexec_b32 s2, s2
; %bb.101:
	v_and_b32_e32 v6, 0xffff, v70
	v_or_b32_e32 v7, 0x10000, v70
	s_delay_alu instid0(VALU_DEP_2) | instskip(NEXT) | instid1(VALU_DEP_2)
	v_cmp_eq_u32_e32 vcc_lo, 0, v6
	v_cndmask_b32_e32 v6, v7, v70, vcc_lo
; %bb.102:
	s_or_b32 exec_lo, exec_lo, s2
	v_and_b32_e32 v7, 0x7f800000, v71
	s_delay_alu instid0(VALU_DEP_1) | instskip(SKIP_1) | instid1(SALU_CYCLE_1)
	v_cmp_ne_u32_e32 vcc_lo, 0x7f800000, v7
                                        ; implicit-def: $vgpr7
	s_and_saveexec_b32 s2, vcc_lo
	s_xor_b32 s2, exec_lo, s2
; %bb.103:
	v_bfe_u32 v7, v71, 16, 1
	s_delay_alu instid0(VALU_DEP_1)
	v_add3_u32 v7, v71, v7, 0x7fff
; %bb.104:
	s_and_not1_saveexec_b32 s2, s2
; %bb.105:
	v_and_b32_e32 v7, 0xffff, v71
	v_or_b32_e32 v8, 0x10000, v71
	s_delay_alu instid0(VALU_DEP_2) | instskip(NEXT) | instid1(VALU_DEP_2)
	v_cmp_eq_u32_e32 vcc_lo, 0, v7
	v_cndmask_b32_e32 v7, v8, v71, vcc_lo
; %bb.106:
	s_or_b32 exec_lo, exec_lo, s2
	v_and_b32_e32 v8, 0x7f800000, v72
	s_delay_alu instid0(VALU_DEP_1) | instskip(SKIP_1) | instid1(SALU_CYCLE_1)
	v_cmp_ne_u32_e32 vcc_lo, 0x7f800000, v8
                                        ; implicit-def: $vgpr8
	s_and_saveexec_b32 s2, vcc_lo
	s_xor_b32 s2, exec_lo, s2
; %bb.107:
	v_bfe_u32 v8, v72, 16, 1
	s_delay_alu instid0(VALU_DEP_1)
	v_add3_u32 v8, v72, v8, 0x7fff
                                        ; implicit-def: $vgpr65_vgpr66_vgpr67_vgpr68_vgpr69_vgpr70_vgpr71_vgpr72
; %bb.108:
	s_and_not1_saveexec_b32 s2, s2
; %bb.109:
	v_and_b32_e32 v8, 0xffff, v72
	v_or_b32_e32 v9, 0x10000, v72
	s_delay_alu instid0(VALU_DEP_2) | instskip(NEXT) | instid1(VALU_DEP_2)
	v_cmp_eq_u32_e32 vcc_lo, 0, v8
	v_cndmask_b32_e32 v8, v9, v72, vcc_lo
; %bb.110:
	s_or_b32 exec_lo, exec_lo, s2
	s_delay_alu instid0(VALU_DEP_1)
	v_perm_b32 v7, v8, v7, 0x7060302
	v_perm_b32 v6, v6, v5, 0x7060302
	;; [unrolled: 1-line block ×4, first 2 shown]
	s_barrier
	buffer_gl0_inv
	v_cmp_eq_u32_e32 vcc_lo, 1, v78
	ds_store_b128 v76, v[4:7]
	s_waitcnt lgkmcnt(0)
	s_barrier
	buffer_gl0_inv
	ds_load_b128 v[1:4], v82
	ds_load_b128 v[5:8], v82 offset:16
	v_cmp_eq_u32_e64 s2, 1, v79
	v_cmp_eq_u32_e64 s3, 2, v78
	;; [unrolled: 1-line block ×5, first 2 shown]
	s_waitcnt lgkmcnt(1)
	v_lshrrev_b32_e32 v9, 16, v1
	s_waitcnt lgkmcnt(0)
	v_lshrrev_b32_e32 v13, 16, v5
	v_lshrrev_b32_e32 v10, 16, v2
	;; [unrolled: 1-line block ×4, first 2 shown]
	v_cndmask_b32_e64 v19, v1, v9, s2
	v_cndmask_b32_e32 v18, v5, v13, vcc_lo
	v_cndmask_b32_e64 v20, v5, v13, s2
	v_cndmask_b32_e32 v17, v1, v9, vcc_lo
	v_cmp_eq_u32_e32 vcc_lo, 2, v79
	v_lshrrev_b32_e32 v15, 16, v7
	v_cmp_eq_u32_e64 s2, 1, v77
	v_lshrrev_b32_e32 v12, 16, v4
	v_lshrrev_b32_e32 v16, 16, v8
	v_cndmask_b32_e32 v20, v20, v6, vcc_lo
	v_cndmask_b32_e64 v17, v17, v2, s3
	v_cndmask_b32_e32 v19, v19, v2, vcc_lo
	v_cndmask_b32_e64 v18, v18, v6, s3
	v_cmp_eq_u32_e32 vcc_lo, 4, v78
	v_cmp_eq_u32_e64 s3, 3, v79
	v_cndmask_b32_e64 v17, v17, v10, s4
	v_cndmask_b32_e64 v21, v1, v9, s2
	;; [unrolled: 1-line block ×5, first 2 shown]
	v_cndmask_b32_e32 v17, v17, v3, vcc_lo
	v_cndmask_b32_e64 v20, v20, v14, s3
	v_cndmask_b32_e32 v18, v18, v7, vcc_lo
	v_cmp_eq_u32_e32 vcc_lo, 4, v79
	v_cmp_eq_u32_e64 s3, 5, v79
	v_cmp_eq_u32_e64 s2, 2, v81
	v_cndmask_b32_e64 v21, v21, v2, s6
	v_cmp_eq_u32_e64 s4, 5, v78
	v_cndmask_b32_e32 v19, v19, v3, vcc_lo
	v_cndmask_b32_e32 v20, v20, v7, vcc_lo
	v_cmp_eq_u32_e32 vcc_lo, 6, v79
	s_delay_alu instid0(VALU_DEP_4) | instskip(NEXT) | instid1(VALU_DEP_4)
	v_cndmask_b32_e64 v17, v17, v11, s4
	v_cndmask_b32_e64 v19, v19, v11, s3
	s_delay_alu instid0(VALU_DEP_4) | instskip(SKIP_1) | instid1(VALU_DEP_3)
	v_cndmask_b32_e64 v20, v20, v15, s3
	v_cmp_eq_u32_e64 s3, 1, v81
	v_cndmask_b32_e32 v19, v19, v4, vcc_lo
	v_cndmask_b32_e64 v18, v18, v15, s4
	s_delay_alu instid0(VALU_DEP_3)
	v_cndmask_b32_e64 v1, v1, v9, s3
	v_cndmask_b32_e64 v5, v5, v13, s3
	v_cmp_eq_u32_e64 s3, 3, v77
	v_cndmask_b32_e64 v13, v22, v6, s6
	v_cmp_eq_u32_e64 s6, 3, v81
	v_cndmask_b32_e64 v1, v1, v2, s2
	v_cndmask_b32_e64 v2, v5, v6, s2
	;; [unrolled: 1-line block ×3, first 2 shown]
	v_cmp_eq_u32_e64 s2, 4, v77
	v_cndmask_b32_e64 v6, v13, v14, s3
	v_cndmask_b32_e64 v1, v1, v10, s6
	v_cmp_eq_u32_e64 s3, 4, v81
	v_cndmask_b32_e64 v2, v2, v14, s6
	v_cndmask_b32_e64 v5, v9, v3, s2
	;; [unrolled: 3-line block ×3, first 2 shown]
	v_cndmask_b32_e64 v2, v2, v7, s3
	v_cmp_eq_u32_e64 s2, 5, v81
	v_cmp_eq_u32_e64 s4, 6, v78
	v_cndmask_b32_e64 v5, v5, v11, s6
	v_cmp_eq_u32_e64 s3, 6, v77
	v_cndmask_b32_e64 v3, v6, v15, s6
	v_cndmask_b32_e64 v1, v1, v11, s2
	v_cmp_eq_u32_e64 s6, 6, v81
	v_cndmask_b32_e64 v2, v2, v15, s2
	v_cndmask_b32_e64 v17, v17, v4, s4
	v_cndmask_b32_e64 v18, v18, v8, s4
	v_cmp_eq_u32_e64 s4, 7, v78
	v_cndmask_b32_e64 v5, v5, v4, s3
	;; [unrolled: 4-line block ×3, first 2 shown]
	v_cmp_eq_u32_e64 s3, 7, v77
	v_cndmask_b32_e32 v4, v20, v8, vcc_lo
	v_cndmask_b32_e64 v17, v17, v12, s4
	v_cndmask_b32_e64 v19, v19, v12, s5
	v_cndmask_b32_e64 v1, v1, v12, s2
	v_cndmask_b32_e64 v5, v5, v12, s3
	v_cndmask_b32_e64 v2, v2, v16, s2
	v_cndmask_b32_e64 v3, v3, v16, s3
	v_cndmask_b32_e64 v6, v4, v16, s5
	v_cndmask_b32_e64 v7, v18, v16, s4
	s_mov_b32 s2, exec_lo
	v_perm_b32 v4, v2, v1, 0x5040100
	v_perm_b32 v3, v3, v5, 0x5040100
	;; [unrolled: 1-line block ×4, first 2 shown]
	ds_store_b128 v76, v[1:4]
	s_waitcnt lgkmcnt(0)
	s_barrier
	buffer_gl0_inv
	v_cmpx_gt_u32_e32 32, v0
	s_cbranch_execz .LBB1893_2
; %bb.111:
	s_load_b64 s[0:1], s[0:1], 0x68
	s_lshl_b32 s4, s34, 7
	v_or_b32_e32 v2, s29, v74
	s_mul_i32 s2, s4, s30
	v_lshlrev_b32_e32 v1, 10, v0
	s_mul_i32 s2, s2, s7
	v_lshlrev_b32_e32 v3, 4, v75
	v_mul_lo_u32 v0, v2, s4
	s_ashr_i32 s3, s2, 31
	v_lshlrev_b32_e32 v4, 6, v74
	v_and_b32_e32 v1, 0x3800, v1
	v_or_b32_e32 v5, 2, v2
	s_lshl_b64 s[2:3], s[2:3], 1
	v_or_b32_e32 v6, 4, v2
	v_or_b32_e32 v7, 6, v2
	v_or3_b32 v12, v1, v3, v4
	v_ashrrev_i32_e32 v1, 31, v0
	v_mul_lo_u32 v2, v5, s4
	v_mul_lo_u32 v16, v6, s4
	;; [unrolled: 1-line block ×3, first 2 shown]
	s_waitcnt lgkmcnt(0)
	s_add_u32 s2, s0, s2
	s_addc_u32 s3, s1, s3
	s_lshl_b32 s0, s14, 7
	v_lshlrev_b64 v[0:1], 1, v[0:1]
	s_ashr_i32 s1, s0, 31
	v_ashrrev_i32_e32 v3, 31, v2
	s_lshl_b64 s[0:1], s[0:1], 1
	v_ashrrev_i32_e32 v17, 31, v16
	s_add_u32 s0, s2, s0
	s_addc_u32 s1, s3, s1
	v_add_co_u32 v24, s0, s0, v73
	s_delay_alu instid0(VALU_DEP_1) | instskip(SKIP_1) | instid1(VALU_DEP_3)
	v_add_co_ci_u32_e64 v25, null, s1, 0, s0
	v_lshlrev_b64 v[22:23], 1, v[2:3]
	v_add_co_u32 v18, vcc_lo, v24, v0
	s_delay_alu instid0(VALU_DEP_3)
	v_add_co_ci_u32_e32 v19, vcc_lo, v25, v1, vcc_lo
	ds_load_b128 v[0:3], v12
	ds_load_b128 v[4:7], v12 offset:128
	ds_load_b128 v[8:11], v12 offset:256
	;; [unrolled: 1-line block ×3, first 2 shown]
	v_ashrrev_i32_e32 v21, 31, v20
	v_lshlrev_b64 v[16:17], 1, v[16:17]
	v_add_co_u32 v22, vcc_lo, v24, v22
	v_add_co_ci_u32_e32 v23, vcc_lo, v25, v23, vcc_lo
	s_delay_alu instid0(VALU_DEP_4) | instskip(NEXT) | instid1(VALU_DEP_4)
	v_lshlrev_b64 v[20:21], 1, v[20:21]
	v_add_co_u32 v16, vcc_lo, v24, v16
	v_add_co_ci_u32_e32 v17, vcc_lo, v25, v17, vcc_lo
	s_delay_alu instid0(VALU_DEP_3) | instskip(NEXT) | instid1(VALU_DEP_4)
	v_add_co_u32 v20, vcc_lo, v24, v20
	v_add_co_ci_u32_e32 v21, vcc_lo, v25, v21, vcc_lo
	s_waitcnt lgkmcnt(3)
	global_store_b128 v[18:19], v[0:3], off
	s_waitcnt lgkmcnt(2)
	global_store_b128 v[22:23], v[4:7], off
	;; [unrolled: 2-line block ×4, first 2 shown]
	s_nop 0
	s_sendmsg sendmsg(MSG_DEALLOC_VGPRS)
	s_endpgm
	.section	.rodata,"a",@progbits
	.p2align	6, 0x0
	.amdhsa_kernel _Z39paged_attention_ll4mi_QKV_mfma16_kernelI14__hip_bfloat16hLN4vllm18Fp8KVCacheDataTypeE1ES0_Li32ELi128ELi256ELb1ELi8EL8MFMAType0EEvPKT_PKT0_S9_ifPKiSB_SB_iPKfiiiPfSE_PS4_PT2_iSD_SD_
		.amdhsa_group_segment_fixed_size 17472
		.amdhsa_private_segment_fixed_size 0
		.amdhsa_kernarg_size 400
		.amdhsa_user_sgpr_count 13
		.amdhsa_user_sgpr_dispatch_ptr 0
		.amdhsa_user_sgpr_queue_ptr 0
		.amdhsa_user_sgpr_kernarg_segment_ptr 1
		.amdhsa_user_sgpr_dispatch_id 0
		.amdhsa_user_sgpr_private_segment_size 0
		.amdhsa_wavefront_size32 1
		.amdhsa_uses_dynamic_stack 0
		.amdhsa_enable_private_segment 0
		.amdhsa_system_sgpr_workgroup_id_x 1
		.amdhsa_system_sgpr_workgroup_id_y 1
		.amdhsa_system_sgpr_workgroup_id_z 1
		.amdhsa_system_sgpr_workgroup_info 0
		.amdhsa_system_vgpr_workitem_id 0
		.amdhsa_next_free_vgpr 140
		.amdhsa_next_free_sgpr 36
		.amdhsa_reserve_vcc 1
		.amdhsa_float_round_mode_32 0
		.amdhsa_float_round_mode_16_64 0
		.amdhsa_float_denorm_mode_32 3
		.amdhsa_float_denorm_mode_16_64 3
		.amdhsa_dx10_clamp 1
		.amdhsa_ieee_mode 1
		.amdhsa_fp16_overflow 0
		.amdhsa_workgroup_processor_mode 1
		.amdhsa_memory_ordered 1
		.amdhsa_forward_progress 0
		.amdhsa_shared_vgpr_count 0
		.amdhsa_exception_fp_ieee_invalid_op 0
		.amdhsa_exception_fp_denorm_src 0
		.amdhsa_exception_fp_ieee_div_zero 0
		.amdhsa_exception_fp_ieee_overflow 0
		.amdhsa_exception_fp_ieee_underflow 0
		.amdhsa_exception_fp_ieee_inexact 0
		.amdhsa_exception_int_div_zero 0
	.end_amdhsa_kernel
	.section	.text._Z39paged_attention_ll4mi_QKV_mfma16_kernelI14__hip_bfloat16hLN4vllm18Fp8KVCacheDataTypeE1ES0_Li32ELi128ELi256ELb1ELi8EL8MFMAType0EEvPKT_PKT0_S9_ifPKiSB_SB_iPKfiiiPfSE_PS4_PT2_iSD_SD_,"axG",@progbits,_Z39paged_attention_ll4mi_QKV_mfma16_kernelI14__hip_bfloat16hLN4vllm18Fp8KVCacheDataTypeE1ES0_Li32ELi128ELi256ELb1ELi8EL8MFMAType0EEvPKT_PKT0_S9_ifPKiSB_SB_iPKfiiiPfSE_PS4_PT2_iSD_SD_,comdat
.Lfunc_end1893:
	.size	_Z39paged_attention_ll4mi_QKV_mfma16_kernelI14__hip_bfloat16hLN4vllm18Fp8KVCacheDataTypeE1ES0_Li32ELi128ELi256ELb1ELi8EL8MFMAType0EEvPKT_PKT0_S9_ifPKiSB_SB_iPKfiiiPfSE_PS4_PT2_iSD_SD_, .Lfunc_end1893-_Z39paged_attention_ll4mi_QKV_mfma16_kernelI14__hip_bfloat16hLN4vllm18Fp8KVCacheDataTypeE1ES0_Li32ELi128ELi256ELb1ELi8EL8MFMAType0EEvPKT_PKT0_S9_ifPKiSB_SB_iPKfiiiPfSE_PS4_PT2_iSD_SD_
                                        ; -- End function
	.section	.AMDGPU.csdata,"",@progbits
; Kernel info:
; codeLenInByte = 8860
; NumSgprs: 38
; NumVgprs: 140
; ScratchSize: 0
; MemoryBound: 0
; FloatMode: 240
; IeeeMode: 1
; LDSByteSize: 17472 bytes/workgroup (compile time only)
; SGPRBlocks: 4
; VGPRBlocks: 17
; NumSGPRsForWavesPerEU: 38
; NumVGPRsForWavesPerEU: 140
; Occupancy: 10
; WaveLimiterHint : 1
; COMPUTE_PGM_RSRC2:SCRATCH_EN: 0
; COMPUTE_PGM_RSRC2:USER_SGPR: 13
; COMPUTE_PGM_RSRC2:TRAP_HANDLER: 0
; COMPUTE_PGM_RSRC2:TGID_X_EN: 1
; COMPUTE_PGM_RSRC2:TGID_Y_EN: 1
; COMPUTE_PGM_RSRC2:TGID_Z_EN: 1
; COMPUTE_PGM_RSRC2:TIDIG_COMP_CNT: 0
	.section	.text._Z39paged_attention_ll4mi_QKV_mfma16_kernelI14__hip_bfloat16hLN4vllm18Fp8KVCacheDataTypeE1ES0_Li32ELi128ELi256ELb1ELi9EL8MFMAType0EEvPKT_PKT0_S9_ifPKiSB_SB_iPKfiiiPfSE_PS4_PT2_iSD_SD_,"axG",@progbits,_Z39paged_attention_ll4mi_QKV_mfma16_kernelI14__hip_bfloat16hLN4vllm18Fp8KVCacheDataTypeE1ES0_Li32ELi128ELi256ELb1ELi9EL8MFMAType0EEvPKT_PKT0_S9_ifPKiSB_SB_iPKfiiiPfSE_PS4_PT2_iSD_SD_,comdat
	.protected	_Z39paged_attention_ll4mi_QKV_mfma16_kernelI14__hip_bfloat16hLN4vllm18Fp8KVCacheDataTypeE1ES0_Li32ELi128ELi256ELb1ELi9EL8MFMAType0EEvPKT_PKT0_S9_ifPKiSB_SB_iPKfiiiPfSE_PS4_PT2_iSD_SD_ ; -- Begin function _Z39paged_attention_ll4mi_QKV_mfma16_kernelI14__hip_bfloat16hLN4vllm18Fp8KVCacheDataTypeE1ES0_Li32ELi128ELi256ELb1ELi9EL8MFMAType0EEvPKT_PKT0_S9_ifPKiSB_SB_iPKfiiiPfSE_PS4_PT2_iSD_SD_
	.globl	_Z39paged_attention_ll4mi_QKV_mfma16_kernelI14__hip_bfloat16hLN4vllm18Fp8KVCacheDataTypeE1ES0_Li32ELi128ELi256ELb1ELi9EL8MFMAType0EEvPKT_PKT0_S9_ifPKiSB_SB_iPKfiiiPfSE_PS4_PT2_iSD_SD_
	.p2align	8
	.type	_Z39paged_attention_ll4mi_QKV_mfma16_kernelI14__hip_bfloat16hLN4vllm18Fp8KVCacheDataTypeE1ES0_Li32ELi128ELi256ELb1ELi9EL8MFMAType0EEvPKT_PKT0_S9_ifPKiSB_SB_iPKfiiiPfSE_PS4_PT2_iSD_SD_,@function
_Z39paged_attention_ll4mi_QKV_mfma16_kernelI14__hip_bfloat16hLN4vllm18Fp8KVCacheDataTypeE1ES0_Li32ELi128ELi256ELb1ELi9EL8MFMAType0EEvPKT_PKT0_S9_ifPKiSB_SB_iPKfiiiPfSE_PS4_PT2_iSD_SD_: ; @_Z39paged_attention_ll4mi_QKV_mfma16_kernelI14__hip_bfloat16hLN4vllm18Fp8KVCacheDataTypeE1ES0_Li32ELi128ELi256ELb1ELi9EL8MFMAType0EEvPKT_PKT0_S9_ifPKiSB_SB_iPKfiiiPfSE_PS4_PT2_iSD_SD_
; %bb.0:
	s_load_b64 s[4:5], s[0:1], 0x30
	s_mov_b32 s30, s13
	s_waitcnt lgkmcnt(0)
	s_cmp_lg_u64 s[4:5], 0
	s_cselect_b32 s13, -1, 0
	s_ashr_i32 s31, s30, 31
	s_cmp_eq_u64 s[4:5], 0
	s_cbranch_scc1 .LBB1894_3
; %bb.1:
	s_lshl_b64 s[2:3], s[30:31], 2
	s_delay_alu instid0(SALU_CYCLE_1) | instskip(SKIP_4) | instid1(SALU_CYCLE_1)
	s_add_u32 s2, s4, s2
	s_addc_u32 s3, s5, s3
	s_load_b64 s[2:3], s[2:3], 0x0
	s_waitcnt lgkmcnt(0)
	s_sub_i32 s2, s3, s2
	s_cmp_eq_u32 s2, 1
	s_cselect_b32 s2, -1, 0
	s_delay_alu instid0(SALU_CYCLE_1)
	s_and_not1_b32 vcc_lo, exec_lo, s2
	s_cbranch_vccz .LBB1894_4
.LBB1894_2:
	s_nop 0
	s_sendmsg sendmsg(MSG_DEALLOC_VGPRS)
	s_endpgm
.LBB1894_3:
.LBB1894_4:
	s_load_b64 s[2:3], s[0:1], 0x28
	s_lshl_b64 s[6:7], s[30:31], 2
	s_waitcnt lgkmcnt(0)
	s_add_u32 s2, s2, s6
	s_addc_u32 s3, s3, s7
	s_lshl_b32 s12, s14, 8
	s_load_b32 s17, s[2:3], 0x0
	s_waitcnt lgkmcnt(0)
	s_cmp_ge_i32 s12, s17
	s_cbranch_scc1 .LBB1894_2
; %bb.5:
	s_clause 0x1
	s_load_b128 s[8:11], s[0:1], 0x8
	s_load_b64 s[2:3], s[0:1], 0x20
	s_and_not1_b32 vcc_lo, exec_lo, s13
	s_cbranch_vccnz .LBB1894_7
; %bb.6:
	s_add_u32 s4, s4, s6
	s_addc_u32 s5, s5, s7
	s_load_b32 s13, s[4:5], 0x0
	s_branch .LBB1894_8
.LBB1894_7:
	s_mov_b32 s13, s30
.LBB1894_8:
	s_load_b128 s[4:7], s[0:1], 0x48
	v_and_b32_e32 v65, 15, v0
	v_lshrrev_b32_e32 v66, 5, v0
	v_bfe_u32 v74, v0, 4, 1
	v_and_b32_e32 v67, 31, v0
	v_and_b32_e32 v75, 1, v0
	v_lshlrev_b32_e32 v2, 3, v65
	s_mul_i32 s31, s15, 9
	v_lshl_or_b32 v1, v66, 1, v74
	s_waitcnt lgkmcnt(0)
	s_mov_b32 s7, exec_lo
	v_lshlrev_b32_e32 v73, 1, v2
	s_delay_alu instid0(VALU_DEP_2)
	v_cmpx_gt_u32_e32 9, v1
	s_cbranch_execz .LBB1894_10
; %bb.9:
	s_load_b64 s[18:19], s[0:1], 0x0
	v_add_lshl_u32 v2, v1, s31, 7
	s_mul_hi_i32 s21, s13, s4
	s_mul_i32 s20, s13, s4
	v_lshlrev_b32_e32 v6, 10, v65
	s_lshl_b64 s[20:21], s[20:21], 1
	v_ashrrev_i32_e32 v3, 31, v2
	v_lshlrev_b32_e32 v1, 6, v1
	v_lshlrev_b32_e32 v7, 10, v75
	v_and_b32_e32 v6, 0x3800, v6
	s_delay_alu instid0(VALU_DEP_4) | instskip(NEXT) | instid1(VALU_DEP_2)
	v_lshlrev_b64 v[2:3], 1, v[2:3]
	v_or3_b32 v1, v6, v7, v1
	s_waitcnt lgkmcnt(0)
	s_add_u32 s4, s18, s20
	s_addc_u32 s13, s19, s21
	s_delay_alu instid0(VALU_DEP_2) | instskip(SKIP_1) | instid1(VALU_DEP_2)
	v_add_co_u32 v2, vcc_lo, s4, v2
	v_add_co_ci_u32_e32 v3, vcc_lo, s13, v3, vcc_lo
	v_add_co_u32 v2, vcc_lo, v2, v73
	s_delay_alu instid0(VALU_DEP_2)
	v_add_co_ci_u32_e32 v3, vcc_lo, 0, v3, vcc_lo
	global_load_b128 v[2:5], v[2:3], off
	s_waitcnt vmcnt(0)
	ds_store_b128 v1, v[2:5]
.LBB1894_10:
	s_or_b32 exec_lo, exec_lo, s7
	v_and_b32_e32 v1, 0xef, v0
	s_add_i32 s4, s17, 31
	s_clause 0x1
	s_load_b32 s7, s[0:1], 0x38
	s_load_b32 s18, s[0:1], 0x1c
	s_ashr_i32 s13, s4, 31
	v_add_nc_u32_e32 v1, s12, v1
	s_lshr_b32 s13, s13, 27
	s_waitcnt lgkmcnt(0)
	s_add_i32 s4, s4, s13
	s_barrier
	v_ashrrev_i32_e32 v2, 31, v1
	v_or_b32_e32 v3, 16, v1
	s_ashr_i32 s4, s4, 5
	v_cmp_gt_i32_e32 vcc_lo, s17, v1
	s_add_i32 s4, s4, -1
	v_lshrrev_b32_e32 v2, 27, v2
	buffer_gl0_inv
	s_mul_i32 s15, s15, s6
	v_add_nc_u32_e32 v4, v1, v2
	s_mul_i32 s20, s30, s7
	s_delay_alu instid0(SALU_CYCLE_1) | instskip(NEXT) | instid1(VALU_DEP_1)
	s_ashr_i32 s21, s20, 31
	v_ashrrev_i32_e32 v4, 5, v4
	v_add_nc_u32_e32 v2, v3, v2
	s_lshl_b64 s[20:21], s[20:21], 2
	s_delay_alu instid0(SALU_CYCLE_1) | instskip(NEXT) | instid1(VALU_DEP_2)
	s_add_u32 s13, s2, s20
	v_cndmask_b32_e32 v1, s4, v4, vcc_lo
	s_delay_alu instid0(VALU_DEP_2)
	v_ashrrev_i32_e32 v2, 5, v2
	v_cmp_gt_i32_e32 vcc_lo, s17, v3
	s_addc_u32 s16, s3, s21
	s_ashr_i32 s19, s15, 31
	s_add_u32 s2, s8, s15
	s_addc_u32 s3, s9, s19
	v_cndmask_b32_e32 v3, s4, v2, vcc_lo
	v_ashrrev_i32_e32 v2, 31, v1
	s_lshl_b32 s6, s14, 3
	s_delay_alu instid0(SALU_CYCLE_1) | instskip(NEXT) | instid1(VALU_DEP_2)
	s_ashr_i32 s7, s6, 31
	v_ashrrev_i32_e32 v4, 31, v3
	s_delay_alu instid0(VALU_DEP_2) | instskip(SKIP_1) | instid1(SALU_CYCLE_1)
	v_lshlrev_b64 v[1:2], 2, v[1:2]
	s_lshl_b64 s[6:7], s[6:7], 2
	s_add_u32 s6, s13, s6
	s_delay_alu instid0(VALU_DEP_2) | instskip(SKIP_1) | instid1(VALU_DEP_2)
	v_lshlrev_b64 v[3:4], 2, v[3:4]
	s_addc_u32 s7, s16, s7
	v_add_co_u32 v1, vcc_lo, s13, v1
	v_add_co_ci_u32_e32 v2, vcc_lo, s16, v2, vcc_lo
	s_delay_alu instid0(VALU_DEP_3) | instskip(NEXT) | instid1(VALU_DEP_4)
	v_add_co_u32 v3, vcc_lo, s13, v3
	v_add_co_ci_u32_e32 v4, vcc_lo, s16, v4, vcc_lo
	s_clause 0x1
	global_load_b32 v5, v[1:2], off
	global_load_b32 v6, v[3:4], off
	s_or_b32 s8, s12, 32
	s_delay_alu instid0(SALU_CYCLE_1) | instskip(SKIP_2) | instid1(SALU_CYCLE_1)
	s_ashr_i32 s9, s8, 5
	s_cmp_lt_i32 s8, s17
	s_cselect_b32 s8, s9, s4
	s_ashr_i32 s9, s8, 31
	s_delay_alu instid0(SALU_CYCLE_1) | instskip(NEXT) | instid1(SALU_CYCLE_1)
	s_lshl_b64 s[8:9], s[8:9], 2
	s_add_u32 s8, s13, s8
	s_addc_u32 s9, s16, s9
	s_or_b32 s20, s12, 64
	s_delay_alu instid0(SALU_CYCLE_1) | instskip(SKIP_2) | instid1(SALU_CYCLE_1)
	s_ashr_i32 s21, s20, 5
	s_cmp_lt_i32 s20, s17
	s_cselect_b32 s20, s21, s4
	s_ashr_i32 s21, s20, 31
	s_delay_alu instid0(SALU_CYCLE_1) | instskip(NEXT) | instid1(SALU_CYCLE_1)
	s_lshl_b64 s[20:21], s[20:21], 2
	s_add_u32 s20, s13, s20
	s_addc_u32 s21, s16, s21
	;; [unrolled: 10-line block ×5, first 2 shown]
	s_clause 0x5
	s_load_b32 s28, s[6:7], 0x0
	s_load_b32 s8, s[8:9], 0x0
	s_load_b32 s9, s[20:21], 0x0
	s_load_b32 s29, s[22:23], 0x0
	s_load_b32 s33, s[24:25], 0x0
	s_load_b32 s34, s[26:27], 0x0
	s_mov_b32 s20, 0
	s_delay_alu instid0(SALU_CYCLE_1)
	s_mov_b32 s21, s20
	s_mov_b32 s22, s20
	;; [unrolled: 1-line block ×7, first 2 shown]
	s_delay_alu instid0(SALU_CYCLE_1)
	v_dual_mov_b32 v107, s27 :: v_dual_mov_b32 v106, s26
	v_dual_mov_b32 v104, s24 :: v_dual_mov_b32 v103, s23
	;; [unrolled: 1-line block ×3, first 2 shown]
	v_mov_b32_e32 v100, s20
	s_waitcnt vmcnt(1)
	v_mad_i64_i32 v[1:2], null, v5, s5, s[2:3]
	v_lshlrev_b32_e32 v5, 4, v65
	s_waitcnt vmcnt(0)
	v_mad_i64_i32 v[3:4], null, v6, s5, s[2:3]
	s_or_b32 s2, s12, 0xc0
	s_delay_alu instid0(SALU_CYCLE_1) | instskip(NEXT) | instid1(VALU_DEP_3)
	s_ashr_i32 s3, s2, 5
	v_add_co_u32 v33, vcc_lo, v1, v5
	s_delay_alu instid0(VALU_DEP_4) | instskip(NEXT) | instid1(VALU_DEP_3)
	v_add_co_ci_u32_e32 v34, vcc_lo, 0, v2, vcc_lo
	v_add_co_u32 v35, vcc_lo, v3, v5
	s_delay_alu instid0(VALU_DEP_4)
	v_add_co_ci_u32_e32 v36, vcc_lo, 0, v4, vcc_lo
	s_clause 0xf
	global_load_b128 v[1:4], v[33:34], off
	global_load_b128 v[5:8], v[33:34], off offset:512
	global_load_b128 v[9:12], v[35:36], off offset:256
	;; [unrolled: 1-line block ×15, first 2 shown]
	s_cmp_lt_i32 s2, s17
	v_add_nc_u32_e32 v33, -9, v65
	s_cselect_b32 s2, s3, s4
	v_cmp_gt_u32_e32 vcc_lo, 9, v65
	s_ashr_i32 s3, s2, 31
	v_lshlrev_b32_e32 v34, 5, v65
	s_lshl_b64 s[2:3], s[2:3], 2
	s_delay_alu instid0(SALU_CYCLE_1)
	s_add_u32 s2, s13, s2
	s_addc_u32 s3, s16, s3
	s_or_b32 s6, s12, 0xe0
	v_cndmask_b32_e32 v33, v33, v65, vcc_lo
	s_ashr_i32 s7, s6, 5
	s_cmp_lt_i32 s6, s17
	v_mov_b32_e32 v105, s25
	s_cselect_b32 s6, s7, s4
	v_lshlrev_b32_e32 v72, 6, v33
	s_ashr_i32 s7, s6, 31
	v_lshl_or_b32 v41, v66, 9, v34
	s_lshl_b64 s[6:7], s[6:7], 2
	ds_load_b128 v[33:36], v72
	ds_load_b128 v[37:40], v72 offset:1024
	ds_load_b128 v[108:111], v72 offset:2048
	;; [unrolled: 1-line block ×3, first 2 shown]
	s_load_b32 s4, s[2:3], 0x0
	s_add_u32 s2, s13, s6
	s_addc_u32 s3, s16, s7
	ds_load_b128 v[116:119], v72 offset:4096
	ds_load_b128 v[120:123], v72 offset:5120
	s_load_b32 s2, s[2:3], 0x0
	s_add_u32 s6, s10, s15
	s_addc_u32 s7, s11, s19
	v_add_co_u32 v68, s6, s6, v41
	s_delay_alu instid0(VALU_DEP_1) | instskip(SKIP_1) | instid1(VALU_DEP_1)
	v_add_co_ci_u32_e64 v69, null, s7, 0, s6
	s_waitcnt lgkmcnt(0)
	v_mad_i64_i32 v[41:42], null, s28, s5, v[68:69]
	v_mad_i64_i32 v[70:71], null, s9, s5, v[68:69]
	;; [unrolled: 1-line block ×7, first 2 shown]
	s_clause 0x3
	global_load_b128 v[49:52], v[41:42], off
	global_load_b128 v[53:56], v[41:42], off offset:16
	global_load_b128 v[41:44], v[45:46], off
	global_load_b128 v[45:48], v[45:46], off offset:16
	s_waitcnt vmcnt(18)
	v_wmma_f32_16x16x16_bf16 v[124:131], v[1:8], v[33:40], v[100:107]
	s_waitcnt vmcnt(16)
	v_wmma_f32_16x16x16_bf16 v[100:107], v[9:16], v[33:40], v[100:107]
	s_clause 0x1
	global_load_b128 v[33:36], v[70:71], off
	global_load_b128 v[37:40], v[70:71], off offset:16
	v_mad_i64_i32 v[70:71], null, s2, s5, v[68:69]
	s_waitcnt vmcnt(16)
	v_wmma_f32_16x16x16_bf16 v[124:131], v[17:24], v[108:115], v[124:131]
	s_waitcnt vmcnt(14)
	v_wmma_f32_16x16x16_bf16 v[100:107], v[25:32], v[108:115], v[100:107]
	s_clause 0x7
	global_load_b128 v[25:28], v[132:133], off
	global_load_b128 v[29:32], v[132:133], off offset:16
	global_load_b128 v[1:4], v[134:135], off
	global_load_b128 v[5:8], v[134:135], off offset:16
	;; [unrolled: 2-line block ×4, first 2 shown]
	s_waitcnt vmcnt(20)
	v_wmma_f32_16x16x16_bf16 v[124:131], v[57:64], v[116:123], v[124:131]
	s_clause 0x1
	global_load_b128 v[57:60], v[70:71], off
	global_load_b128 v[61:64], v[70:71], off offset:16
	s_waitcnt vmcnt(20)
	v_wmma_f32_16x16x16_bf16 v[100:107], v[76:83], v[116:123], v[100:107]
	ds_load_b128 v[76:79], v72 offset:6144
	ds_load_b128 v[80:83], v72 offset:7168
	v_and_b32_e32 v68, 0xe0, v0
	v_mbcnt_lo_u32_b32 v69, -1, 0
	s_waitcnt vmcnt(0) lgkmcnt(0)
	s_barrier
	buffer_gl0_inv
	v_add_nc_u32_e32 v68, s12, v68
	v_xor_b32_e32 v70, 16, v69
	s_delay_alu instid0(VALU_DEP_2) | instskip(NEXT) | instid1(VALU_DEP_2)
	v_or_b32_e32 v68, v68, v74
	v_cmp_gt_i32_e32 vcc_lo, 32, v70
	s_delay_alu instid0(VALU_DEP_2)
	v_or_b32_e32 v71, 4, v68
	v_or_b32_e32 v72, 6, v68
	v_cmp_gt_i32_e64 s2, s17, v68
	v_or_b32_e32 v108, 8, v68
	v_wmma_f32_16x16x16_bf16 v[124:131], v[84:91], v[76:83], v[124:131]
	v_cndmask_b32_e32 v69, v69, v70, vcc_lo
	v_or_b32_e32 v70, 2, v68
	v_wmma_f32_16x16x16_bf16 v[100:107], v[92:99], v[76:83], v[100:107]
	v_or_b32_e32 v109, 10, v68
	v_dual_mul_f32 v80, s18, v129 :: v_dual_mul_f32 v81, s18, v128
	v_dual_mul_f32 v92, s18, v125 :: v_dual_mul_f32 v93, s18, v124
	s_delay_alu instid0(VALU_DEP_4)
	v_mul_f32_e32 v96, s18, v105
	v_cmp_gt_i32_e32 vcc_lo, s17, v70
	v_or_b32_e32 v89, 22, v68
	v_dual_mul_f32 v79, s18, v130 :: v_dual_mul_f32 v82, s18, v127
	v_dual_mul_f32 v83, s18, v126 :: v_dual_mul_f32 v94, s18, v107
	v_cndmask_b32_e64 v93, 0xff7fffff, v93, s2
	v_cndmask_b32_e32 v92, 0xff7fffff, v92, vcc_lo
	v_cmp_gt_i32_e64 s3, s17, v71
	v_cmp_gt_i32_e64 s4, s17, v72
	v_or_b32_e32 v84, 12, v68
	v_or_b32_e32 v85, 14, v68
	v_cmp_gt_i32_e64 s5, s17, v108
	v_cndmask_b32_e64 v71, 0xff7fffff, v83, s3
	v_cndmask_b32_e64 v72, 0xff7fffff, v82, s4
	v_cmp_gt_i32_e64 s6, s17, v109
	v_cmp_gt_i32_e64 s12, s17, v89
	v_lshlrev_b32_e32 v89, 2, v69
	v_max3_f32 v82, v93, 0xff7fffff, v92
	v_or_b32_e32 v86, 16, v68
	v_or_b32_e32 v87, 18, v68
	v_mul_f32_e32 v78, s18, v131
	v_cndmask_b32_e64 v81, 0xff7fffff, v81, s5
	v_cndmask_b32_e64 v80, 0xff7fffff, v80, s6
	v_max3_f32 v71, v82, v71, v72
	v_cmp_gt_i32_e64 s7, s17, v84
	v_cmp_gt_i32_e64 s8, s17, v85
	v_or_b32_e32 v88, 20, v68
	v_or_b32_e32 v90, 24, v68
	;; [unrolled: 1-line block ×5, first 2 shown]
	v_dual_mul_f32 v97, s18, v104 :: v_dual_mul_f32 v70, s18, v101
	v_dual_mul_f32 v99, s18, v102 :: v_dual_mul_f32 v68, s18, v100
	v_cndmask_b32_e64 v72, 0xff7fffff, v79, s7
	v_cndmask_b32_e64 v78, 0xff7fffff, v78, s8
	v_max3_f32 v71, v71, v81, v80
	v_cmp_gt_i32_e64 s9, s17, v86
	v_cmp_gt_i32_e64 s10, s17, v87
	v_dual_mul_f32 v95, s18, v106 :: v_dual_mul_f32 v98, s18, v103
	s_delay_alu instid0(VALU_DEP_4) | instskip(NEXT) | instid1(VALU_DEP_4)
	v_max3_f32 v71, v71, v72, v78
	v_cndmask_b32_e64 v68, 0xff7fffff, v68, s9
	s_delay_alu instid0(VALU_DEP_4)
	v_cndmask_b32_e64 v70, 0xff7fffff, v70, s10
	v_cmp_gt_i32_e64 s11, s17, v88
	v_cndmask_b32_e64 v78, 0xff7fffff, v98, s12
	v_cmp_gt_i32_e64 s13, s17, v90
	v_cmp_gt_i32_e64 s15, s17, v91
	v_max3_f32 v68, v71, v68, v70
	v_cndmask_b32_e64 v72, 0xff7fffff, v99, s11
	v_cmp_gt_i32_e64 s16, s17, v76
	v_cndmask_b32_e64 v70, 0xff7fffff, v97, s13
	v_cndmask_b32_e64 v71, 0xff7fffff, v96, s15
	v_cmp_gt_i32_e64 s17, s17, v77
	v_max3_f32 v68, v68, v72, v78
	v_cndmask_b32_e64 v72, 0xff7fffff, v95, s16
	s_delay_alu instid0(VALU_DEP_3) | instskip(NEXT) | instid1(VALU_DEP_3)
	v_cndmask_b32_e64 v76, 0xff7fffff, v94, s17
	v_max3_f32 v68, v68, v70, v71
	s_delay_alu instid0(VALU_DEP_1) | instskip(SKIP_3) | instid1(VALU_DEP_1)
	v_max3_f32 v68, v68, v72, v76
	ds_bpermute_b32 v69, v89, v68
	s_waitcnt lgkmcnt(0)
	v_max_f32_e32 v69, v69, v69
	v_max_f32_e32 v68, v68, v69
	s_delay_alu instid0(VALU_DEP_1) | instskip(NEXT) | instid1(VALU_DEP_1)
	v_fma_f32 v71, s18, v126, -v68
	v_mul_f32_e32 v71, 0x3fb8aa3b, v71
	v_fma_f32 v70, s18, v125, -v68
	v_fma_f32 v69, s18, v124, -v68
	;; [unrolled: 1-line block ×5, first 2 shown]
	s_delay_alu instid0(VALU_DEP_4) | instskip(SKIP_1) | instid1(VALU_DEP_3)
	v_dual_mul_f32 v70, 0x3fb8aa3b, v70 :: v_dual_mul_f32 v69, 0x3fb8aa3b, v69
	v_exp_f32_e32 v71, v71
	v_mul_f32_e32 v72, 0x3fb8aa3b, v72
	v_fma_f32 v81, s18, v105, -v68
	s_delay_alu instid0(VALU_DEP_3)
	v_exp_f32_e32 v70, v70
	v_mul_f32_e32 v77, 0x3fb8aa3b, v76
	v_exp_f32_e32 v69, v69
	v_exp_f32_e32 v72, v72
	v_mul_f32_e32 v81, 0x3fb8aa3b, v81
	v_cndmask_b32_e64 v83, 0, v71, s3
	v_fma_f32 v71, s18, v131, -v68
	s_delay_alu instid0(VALU_DEP_3) | instskip(SKIP_4) | instid1(TRANS32_DEP_3)
	v_exp_f32_e32 v81, v81
	v_cndmask_b32_e32 v76, 0, v70, vcc_lo
	v_exp_f32_e32 v77, v77
	v_cndmask_b32_e64 v80, 0, v69, s2
	v_fma_f32 v69, s18, v129, -v68
	v_cndmask_b32_e64 v85, 0, v72, s4
	v_mul_f32_e32 v71, 0x3fb8aa3b, v71
	v_fma_f32 v72, s18, v100, -v68
	s_delay_alu instid0(VALU_DEP_4) | instskip(SKIP_1) | instid1(VALU_DEP_4)
	v_dual_add_f32 v70, 0, v80 :: v_dual_mul_f32 v69, 0x3fb8aa3b, v69
	v_cmp_gt_u32_e64 s2, 16, v67
	v_exp_f32_e32 v71, v71
	s_delay_alu instid0(TRANS32_DEP_2) | instskip(SKIP_4) | instid1(VALU_DEP_3)
	v_cndmask_b32_e64 v86, 0, v77, s5
	v_fma_f32 v77, s18, v101, -v68
	v_mul_f32_e32 v78, 0x3fb8aa3b, v78
	v_add_f32_e32 v70, v70, v76
	v_exp_f32_e32 v69, v69
	v_mul_f32_e32 v77, 0x3fb8aa3b, v77
	s_delay_alu instid0(VALU_DEP_3) | instskip(NEXT) | instid1(TRANS32_DEP_3)
	v_exp_f32_e32 v78, v78
	v_cndmask_b32_e64 v88, 0, v71, s8
	v_fma_f32 v71, s18, v104, -v68
	s_delay_alu instid0(VALU_DEP_3) | instskip(NEXT) | instid1(TRANS32_DEP_3)
	v_exp_f32_e32 v77, v77
	v_cndmask_b32_e64 v87, 0, v69, s6
	s_delay_alu instid0(VALU_DEP_2)
	v_mul_f32_e32 v71, 0x3fb8aa3b, v71
	s_waitcnt_depctr 0xfff
	v_cndmask_b32_e64 v84, 0, v78, s7
	v_add_f32_e32 v70, v70, v83
	v_fma_f32 v78, s18, v103, -v68
	v_exp_f32_e32 v82, v71
	s_delay_alu instid0(VALU_DEP_2) | instskip(SKIP_1) | instid1(VALU_DEP_3)
	v_add_f32_e32 v70, v70, v85
	v_mul_f32_e32 v72, 0x3fb8aa3b, v72
	v_mul_f32_e32 v78, 0x3fb8aa3b, v78
	s_delay_alu instid0(VALU_DEP_3) | instskip(SKIP_1) | instid1(VALU_DEP_4)
	v_add_f32_e32 v69, v70, v86
	v_fma_f32 v70, s18, v102, -v68
	v_exp_f32_e32 v72, v72
	s_delay_alu instid0(VALU_DEP_3) | instskip(NEXT) | instid1(VALU_DEP_1)
	v_exp_f32_e32 v78, v78
	v_dual_add_f32 v69, v69, v87 :: v_dual_mul_f32 v70, 0x3fb8aa3b, v70
	s_delay_alu instid0(VALU_DEP_1) | instskip(NEXT) | instid1(VALU_DEP_2)
	v_add_f32_e32 v69, v69, v84
	v_exp_f32_e32 v79, v70
	s_delay_alu instid0(TRANS32_DEP_3) | instskip(NEXT) | instid1(VALU_DEP_2)
	v_cndmask_b32_e64 v70, 0, v72, s9
	v_add_f32_e32 v72, v69, v88
	v_cndmask_b32_e64 v69, 0, v77, s10
	v_fma_f32 v77, s18, v106, -v68
	s_waitcnt_depctr 0xfff
	v_cndmask_b32_e64 v71, 0, v79, s11
	v_dual_mul_f32 v77, 0x3fb8aa3b, v77 :: v_dual_add_f32 v72, v72, v70
	s_delay_alu instid0(VALU_DEP_1) | instskip(NEXT) | instid1(VALU_DEP_1)
	v_exp_f32_e32 v90, v77
	v_add_f32_e32 v79, v72, v69
	v_cndmask_b32_e64 v72, 0, v78, s12
	v_cndmask_b32_e64 v77, 0, v82, s13
	s_delay_alu instid0(VALU_DEP_3) | instskip(SKIP_1) | instid1(VALU_DEP_1)
	v_add_f32_e32 v78, v79, v71
	v_fma_f32 v79, s18, v107, -v68
	v_dual_add_f32 v82, v78, v72 :: v_dual_mul_f32 v79, 0x3fb8aa3b, v79
	v_cndmask_b32_e64 v78, 0, v81, s15
	s_delay_alu instid0(VALU_DEP_2) | instskip(NEXT) | instid1(VALU_DEP_3)
	v_add_f32_e32 v81, v82, v77
	v_exp_f32_e32 v82, v79
	v_cndmask_b32_e64 v79, 0, v90, s16
	s_delay_alu instid0(VALU_DEP_2) | instskip(NEXT) | instid1(VALU_DEP_1)
	v_add_f32_e32 v81, v81, v78
	v_add_f32_e32 v90, v81, v79
	s_waitcnt_depctr 0xfff
	v_cndmask_b32_e64 v81, 0, v82, s17
	s_delay_alu instid0(VALU_DEP_1)
	v_add_f32_e32 v82, v90, v81
	ds_bpermute_b32 v89, v89, v82
	s_and_saveexec_b32 s3, s2
	s_cbranch_execz .LBB1894_12
; %bb.11:
	v_mul_u32_u24_e32 v67, 0x44, v66
	s_delay_alu instid0(VALU_DEP_1) | instskip(SKIP_1) | instid1(VALU_DEP_1)
	v_lshl_add_u32 v67, v65, 2, v67
	s_waitcnt lgkmcnt(0)
	v_dual_add_f32 v82, v82, v89 :: v_dual_add_nc_u32 v67, 0x4000, v67
	ds_store_2addr_b32 v67, v68, v82 offset1:136
.LBB1894_12:
	s_or_b32 exec_lo, exec_lo, s3
	v_lshlrev_b32_e32 v67, 2, v65
	s_waitcnt lgkmcnt(0)
	s_barrier
	buffer_gl0_inv
	v_cmp_eq_u32_e32 vcc_lo, 1, v66
	v_add_nc_u32_e32 v82, 0x4000, v67
	v_cmp_eq_u32_e64 s3, 2, v66
	v_cmp_eq_u32_e64 s5, 7, v66
	ds_load_2addr_b32 v[89:90], v82 offset1:17
	ds_load_2addr_b32 v[91:92], v82 offset0:34 offset1:51
	ds_load_2addr_b32 v[93:94], v82 offset0:68 offset1:85
	;; [unrolled: 1-line block ×4, first 2 shown]
	s_waitcnt lgkmcnt(4)
	v_max3_f32 v67, v89, 0xff7fffff, v90
	s_waitcnt lgkmcnt(3)
	s_delay_alu instid0(VALU_DEP_1) | instskip(SKIP_1) | instid1(VALU_DEP_1)
	v_max3_f32 v67, v67, v91, v92
	s_waitcnt lgkmcnt(2)
	v_max3_f32 v67, v67, v93, v94
	s_waitcnt lgkmcnt(1)
	s_delay_alu instid0(VALU_DEP_1) | instskip(NEXT) | instid1(VALU_DEP_1)
	v_max3_f32 v67, v67, v95, v96
	v_sub_f32_e32 v93, v93, v67
	s_delay_alu instid0(VALU_DEP_1) | instskip(NEXT) | instid1(VALU_DEP_1)
	v_dual_sub_f32 v68, v89, v67 :: v_dual_mul_f32 v103, 0x3fb8aa3b, v93
	v_mul_f32_e32 v68, 0x3fb8aa3b, v68
	s_delay_alu instid0(VALU_DEP_1)
	v_exp_f32_e32 v100, v68
	v_sub_f32_e32 v68, v92, v67
	v_sub_f32_e32 v99, v90, v67
	ds_load_2addr_b32 v[89:90], v82 offset0:170 offset1:187
	v_dual_mul_f32 v102, 0x3fb8aa3b, v68 :: v_dual_mul_f32 v99, 0x3fb8aa3b, v99
	s_waitcnt lgkmcnt(1)
	v_fma_f32 v68, v100, v97, 0
	s_delay_alu instid0(VALU_DEP_2) | instskip(NEXT) | instid1(VALU_DEP_2)
	v_exp_f32_e32 v102, v102
	v_exp_f32_e32 v99, v99
	s_waitcnt_depctr 0xfff
	v_fmac_f32_e32 v68, v99, v98
	v_sub_f32_e32 v91, v91, v67
	s_delay_alu instid0(VALU_DEP_1)
	v_mul_f32_e32 v101, 0x3fb8aa3b, v91
	ds_load_2addr_b32 v[91:92], v82 offset0:204 offset1:221
	v_sub_f32_e32 v97, v94, v67
	ds_load_2addr_b32 v[93:94], v82 offset0:238 offset1:255
	s_waitcnt lgkmcnt(0)
	v_exp_f32_e32 v101, v101
	s_barrier
	buffer_gl0_inv
	v_dual_fmac_f32 v68, v101, v89 :: v_dual_sub_f32 v89, v96, v67
	v_dual_sub_f32 v82, v95, v67 :: v_dual_mul_f32 v95, 0x3fb8aa3b, v97
	v_exp_f32_e32 v97, v103
	s_delay_alu instid0(VALU_DEP_2) | instskip(NEXT) | instid1(VALU_DEP_2)
	v_dual_fmac_f32 v68, v102, v90 :: v_dual_mul_f32 v89, 0x3fb8aa3b, v89
	v_mul_f32_e32 v82, 0x3fb8aa3b, v82
	s_delay_alu instid0(VALU_DEP_3) | instskip(NEXT) | instid1(VALU_DEP_2)
	v_exp_f32_e32 v95, v95
	v_exp_f32_e32 v89, v89
	s_delay_alu instid0(VALU_DEP_1)
	v_exp_f32_e32 v82, v82
	v_fmac_f32_e32 v68, v97, v91
	s_delay_alu instid0(TRANS32_DEP_3) | instid1(VALU_DEP_1)
	v_fmac_f32_e32 v68, v95, v92
	s_waitcnt_depctr 0xfff
	v_fmac_f32_e32 v68, v82, v93
	s_delay_alu instid0(VALU_DEP_1) | instskip(NEXT) | instid1(VALU_DEP_1)
	v_fmac_f32_e32 v68, v89, v94
	v_add_f32_e32 v90, 0x358637bd, v68
	s_delay_alu instid0(VALU_DEP_1) | instskip(NEXT) | instid1(VALU_DEP_1)
	v_div_scale_f32 v91, null, v90, v90, 1.0
	v_rcp_f32_e32 v92, v91
	s_waitcnt_depctr 0xfff
	v_fma_f32 v93, -v91, v92, 1.0
	s_delay_alu instid0(VALU_DEP_1) | instskip(SKIP_1) | instid1(VALU_DEP_2)
	v_dual_fmac_f32 v92, v93, v92 :: v_dual_cndmask_b32 v93, v100, v99
	v_cmp_eq_u32_e32 vcc_lo, 3, v66
	v_cndmask_b32_e64 v93, v93, v101, s3
	v_cmp_eq_u32_e64 s3, 4, v66
	s_delay_alu instid0(VALU_DEP_2) | instskip(SKIP_1) | instid1(VALU_DEP_2)
	v_cndmask_b32_e32 v93, v93, v102, vcc_lo
	v_cmp_eq_u32_e32 vcc_lo, 5, v66
	v_cndmask_b32_e64 v93, v93, v97, s3
	v_cmp_eq_u32_e64 s3, 6, v66
	s_delay_alu instid0(VALU_DEP_2) | instskip(SKIP_1) | instid1(VALU_DEP_1)
	v_cndmask_b32_e32 v93, v93, v95, vcc_lo
	v_div_scale_f32 v94, s4, 1.0, v90, 1.0
	s_mov_b32 vcc_lo, s4
	s_delay_alu instid0(VALU_DEP_2) | instskip(NEXT) | instid1(VALU_DEP_2)
	v_cndmask_b32_e64 v82, v93, v82, s3
	v_mul_f32_e32 v96, v94, v92
	s_mov_b32 s3, exec_lo
	s_delay_alu instid0(VALU_DEP_2) | instskip(NEXT) | instid1(VALU_DEP_2)
	v_cndmask_b32_e64 v82, v82, v89, s5
	v_fma_f32 v98, -v91, v96, v94
	s_delay_alu instid0(VALU_DEP_1) | instskip(NEXT) | instid1(VALU_DEP_1)
	v_fmac_f32_e32 v96, v98, v92
	v_fma_f32 v91, -v91, v96, v94
	s_delay_alu instid0(VALU_DEP_1) | instskip(NEXT) | instid1(VALU_DEP_1)
	v_div_fmas_f32 v91, v91, v92, v96
	v_div_fixup_f32 v90, v91, v90, 1.0
	s_delay_alu instid0(VALU_DEP_1) | instskip(NEXT) | instid1(VALU_DEP_1)
	v_mul_f32_e32 v82, v82, v90
	v_mul_f32_e32 v87, v82, v87
	v_mul_f32_e32 v90, v82, v80
	v_mul_f32_e32 v80, v82, v88
	v_mul_f32_e32 v84, v82, v84
	v_mul_f32_e32 v88, v82, v86
	v_mul_f32_e32 v89, v82, v85
	v_dual_mul_f32 v86, v82, v83 :: v_dual_and_b32 v91, 0x7f800000, v90
	v_mul_f32_e32 v85, v82, v76
                                        ; implicit-def: $vgpr76
	s_delay_alu instid0(VALU_DEP_2)
	v_cmpx_ne_u32_e32 0x7f800000, v91
	s_xor_b32 s3, exec_lo, s3
; %bb.13:
	v_bfe_u32 v76, v90, 16, 1
	s_delay_alu instid0(VALU_DEP_1)
	v_add3_u32 v76, v90, v76, 0x7fff
                                        ; implicit-def: $vgpr90
; %bb.14:
	s_and_not1_saveexec_b32 s3, s3
; %bb.15:
	v_and_b32_e32 v76, 0xffff, v90
	v_or_b32_e32 v83, 0x10000, v90
	s_delay_alu instid0(VALU_DEP_2) | instskip(NEXT) | instid1(VALU_DEP_2)
	v_cmp_eq_u32_e32 vcc_lo, 0, v76
	v_cndmask_b32_e32 v76, v83, v90, vcc_lo
; %bb.16:
	s_or_b32 exec_lo, exec_lo, s3
	v_and_b32_e32 v83, 0x7f800000, v85
	s_delay_alu instid0(VALU_DEP_1) | instskip(SKIP_1) | instid1(SALU_CYCLE_1)
	v_cmp_ne_u32_e32 vcc_lo, 0x7f800000, v83
                                        ; implicit-def: $vgpr83
	s_and_saveexec_b32 s3, vcc_lo
	s_xor_b32 s3, exec_lo, s3
; %bb.17:
	v_bfe_u32 v83, v85, 16, 1
	s_delay_alu instid0(VALU_DEP_1)
	v_add3_u32 v83, v85, v83, 0x7fff
                                        ; implicit-def: $vgpr85
; %bb.18:
	s_and_not1_saveexec_b32 s3, s3
; %bb.19:
	v_and_b32_e32 v83, 0xffff, v85
	v_or_b32_e32 v90, 0x10000, v85
	s_delay_alu instid0(VALU_DEP_2) | instskip(NEXT) | instid1(VALU_DEP_2)
	v_cmp_eq_u32_e32 vcc_lo, 0, v83
	v_cndmask_b32_e32 v83, v90, v85, vcc_lo
; %bb.20:
	s_or_b32 exec_lo, exec_lo, s3
	v_and_b32_e32 v85, 0x7f800000, v86
	s_delay_alu instid0(VALU_DEP_1) | instskip(SKIP_1) | instid1(SALU_CYCLE_1)
	v_cmp_ne_u32_e32 vcc_lo, 0x7f800000, v85
                                        ; implicit-def: $vgpr85
	s_and_saveexec_b32 s3, vcc_lo
	s_xor_b32 s3, exec_lo, s3
; %bb.21:
	v_bfe_u32 v85, v86, 16, 1
	s_delay_alu instid0(VALU_DEP_1)
	v_add3_u32 v85, v86, v85, 0x7fff
                                        ; implicit-def: $vgpr86
; %bb.22:
	s_and_not1_saveexec_b32 s3, s3
; %bb.23:
	v_and_b32_e32 v85, 0xffff, v86
	v_or_b32_e32 v90, 0x10000, v86
	s_delay_alu instid0(VALU_DEP_2) | instskip(NEXT) | instid1(VALU_DEP_2)
	v_cmp_eq_u32_e32 vcc_lo, 0, v85
	v_cndmask_b32_e32 v85, v90, v86, vcc_lo
; %bb.24:
	s_or_b32 exec_lo, exec_lo, s3
	v_and_b32_e32 v86, 0x7f800000, v89
	s_delay_alu instid0(VALU_DEP_1) | instskip(SKIP_1) | instid1(SALU_CYCLE_1)
	v_cmp_ne_u32_e32 vcc_lo, 0x7f800000, v86
                                        ; implicit-def: $vgpr86
	s_and_saveexec_b32 s3, vcc_lo
	s_xor_b32 s3, exec_lo, s3
; %bb.25:
	v_bfe_u32 v86, v89, 16, 1
	s_delay_alu instid0(VALU_DEP_1)
	v_add3_u32 v86, v89, v86, 0x7fff
                                        ; implicit-def: $vgpr89
; %bb.26:
	s_and_not1_saveexec_b32 s3, s3
; %bb.27:
	v_and_b32_e32 v86, 0xffff, v89
	v_or_b32_e32 v90, 0x10000, v89
	s_delay_alu instid0(VALU_DEP_2) | instskip(NEXT) | instid1(VALU_DEP_2)
	v_cmp_eq_u32_e32 vcc_lo, 0, v86
	v_cndmask_b32_e32 v86, v90, v89, vcc_lo
; %bb.28:
	s_or_b32 exec_lo, exec_lo, s3
	v_and_b32_e32 v89, 0x7f800000, v88
	s_delay_alu instid0(VALU_DEP_1) | instskip(SKIP_1) | instid1(SALU_CYCLE_1)
	v_cmp_ne_u32_e32 vcc_lo, 0x7f800000, v89
                                        ; implicit-def: $vgpr89
	s_and_saveexec_b32 s3, vcc_lo
	s_xor_b32 s3, exec_lo, s3
; %bb.29:
	v_bfe_u32 v89, v88, 16, 1
	s_delay_alu instid0(VALU_DEP_1)
	v_add3_u32 v89, v88, v89, 0x7fff
                                        ; implicit-def: $vgpr88
; %bb.30:
	s_and_not1_saveexec_b32 s3, s3
; %bb.31:
	v_and_b32_e32 v89, 0xffff, v88
	v_or_b32_e32 v90, 0x10000, v88
	s_delay_alu instid0(VALU_DEP_2) | instskip(NEXT) | instid1(VALU_DEP_2)
	v_cmp_eq_u32_e32 vcc_lo, 0, v89
	v_cndmask_b32_e32 v89, v90, v88, vcc_lo
; %bb.32:
	s_or_b32 exec_lo, exec_lo, s3
	v_and_b32_e32 v88, 0x7f800000, v87
	s_delay_alu instid0(VALU_DEP_1) | instskip(SKIP_1) | instid1(SALU_CYCLE_1)
	v_cmp_ne_u32_e32 vcc_lo, 0x7f800000, v88
                                        ; implicit-def: $vgpr88
	s_and_saveexec_b32 s3, vcc_lo
	s_xor_b32 s3, exec_lo, s3
; %bb.33:
	v_bfe_u32 v88, v87, 16, 1
	s_delay_alu instid0(VALU_DEP_1)
	v_add3_u32 v88, v87, v88, 0x7fff
                                        ; implicit-def: $vgpr87
; %bb.34:
	s_and_not1_saveexec_b32 s3, s3
; %bb.35:
	v_and_b32_e32 v88, 0xffff, v87
	v_or_b32_e32 v90, 0x10000, v87
	s_delay_alu instid0(VALU_DEP_2) | instskip(NEXT) | instid1(VALU_DEP_2)
	v_cmp_eq_u32_e32 vcc_lo, 0, v88
	v_cndmask_b32_e32 v88, v90, v87, vcc_lo
; %bb.36:
	s_or_b32 exec_lo, exec_lo, s3
	v_and_b32_e32 v87, 0x7f800000, v84
	s_delay_alu instid0(VALU_DEP_1) | instskip(SKIP_1) | instid1(SALU_CYCLE_1)
	v_cmp_ne_u32_e32 vcc_lo, 0x7f800000, v87
                                        ; implicit-def: $vgpr87
	s_and_saveexec_b32 s3, vcc_lo
	s_xor_b32 s3, exec_lo, s3
; %bb.37:
	v_bfe_u32 v87, v84, 16, 1
	s_delay_alu instid0(VALU_DEP_1)
	v_add3_u32 v87, v84, v87, 0x7fff
                                        ; implicit-def: $vgpr84
; %bb.38:
	s_and_not1_saveexec_b32 s3, s3
; %bb.39:
	v_and_b32_e32 v87, 0xffff, v84
	v_or_b32_e32 v90, 0x10000, v84
	s_delay_alu instid0(VALU_DEP_2) | instskip(NEXT) | instid1(VALU_DEP_2)
	v_cmp_eq_u32_e32 vcc_lo, 0, v87
	v_cndmask_b32_e32 v87, v90, v84, vcc_lo
; %bb.40:
	s_or_b32 exec_lo, exec_lo, s3
	v_and_b32_e32 v84, 0x7f800000, v80
	s_delay_alu instid0(VALU_DEP_1) | instskip(SKIP_1) | instid1(SALU_CYCLE_1)
	v_cmp_ne_u32_e32 vcc_lo, 0x7f800000, v84
                                        ; implicit-def: $vgpr84
	s_and_saveexec_b32 s3, vcc_lo
	s_xor_b32 s3, exec_lo, s3
; %bb.41:
	v_bfe_u32 v84, v80, 16, 1
	s_delay_alu instid0(VALU_DEP_1)
	v_add3_u32 v84, v80, v84, 0x7fff
                                        ; implicit-def: $vgpr80
; %bb.42:
	s_and_not1_saveexec_b32 s3, s3
; %bb.43:
	v_and_b32_e32 v84, 0xffff, v80
	v_or_b32_e32 v90, 0x10000, v80
	s_delay_alu instid0(VALU_DEP_2) | instskip(NEXT) | instid1(VALU_DEP_2)
	v_cmp_eq_u32_e32 vcc_lo, 0, v84
	v_cndmask_b32_e32 v84, v90, v80, vcc_lo
; %bb.44:
	s_or_b32 exec_lo, exec_lo, s3
	s_load_b64 s[34:35], s[0:1], 0x94
	v_lshlrev_b32_e32 v91, 4, v74
	s_delay_alu instid0(VALU_DEP_2)
	v_perm_b32 v90, v84, v87, 0x7060302
	v_dual_mul_f32 v79, v82, v79 :: v_dual_lshlrev_b32 v80, 6, v65
	v_dual_mul_f32 v77, v82, v77 :: v_dual_lshlrev_b32 v92, 11, v66
	v_mul_f32_e32 v84, v82, v70
	v_perm_b32 v89, v88, v89, 0x7060302
	v_perm_b32 v88, v86, v85, 0x7060302
	;; [unrolled: 1-line block ×3, first 2 shown]
	v_mul_f32_e32 v70, v82, v81
	v_or3_b32 v76, v91, v92, v80
	v_dual_mul_f32 v78, v82, v78 :: v_dual_and_b32 v85, 0x7f800000, v84
	v_mul_f32_e32 v83, v82, v72
	v_mul_f32_e32 v81, v82, v71
	;; [unrolled: 1-line block ×3, first 2 shown]
	s_mov_b32 s3, exec_lo
	ds_store_b128 v76, v[87:90]
                                        ; implicit-def: $vgpr69
	v_cmpx_ne_u32_e32 0x7f800000, v85
	s_xor_b32 s3, exec_lo, s3
; %bb.45:
	v_bfe_u32 v69, v84, 16, 1
	s_delay_alu instid0(VALU_DEP_1)
	v_add3_u32 v69, v84, v69, 0x7fff
                                        ; implicit-def: $vgpr84
; %bb.46:
	s_and_not1_saveexec_b32 s3, s3
; %bb.47:
	v_and_b32_e32 v69, 0xffff, v84
	v_or_b32_e32 v71, 0x10000, v84
	s_delay_alu instid0(VALU_DEP_2) | instskip(NEXT) | instid1(VALU_DEP_2)
	v_cmp_eq_u32_e32 vcc_lo, 0, v69
	v_cndmask_b32_e32 v69, v71, v84, vcc_lo
; %bb.48:
	s_or_b32 exec_lo, exec_lo, s3
	v_and_b32_e32 v71, 0x7f800000, v72
	s_delay_alu instid0(VALU_DEP_1) | instskip(SKIP_1) | instid1(SALU_CYCLE_1)
	v_cmp_ne_u32_e32 vcc_lo, 0x7f800000, v71
                                        ; implicit-def: $vgpr71
	s_and_saveexec_b32 s3, vcc_lo
	s_xor_b32 s3, exec_lo, s3
; %bb.49:
	v_bfe_u32 v71, v72, 16, 1
	s_delay_alu instid0(VALU_DEP_1)
	v_add3_u32 v71, v72, v71, 0x7fff
                                        ; implicit-def: $vgpr72
; %bb.50:
	s_and_not1_saveexec_b32 s3, s3
; %bb.51:
	v_and_b32_e32 v71, 0xffff, v72
	v_or_b32_e32 v82, 0x10000, v72
	s_delay_alu instid0(VALU_DEP_2) | instskip(NEXT) | instid1(VALU_DEP_2)
	v_cmp_eq_u32_e32 vcc_lo, 0, v71
	v_cndmask_b32_e32 v71, v82, v72, vcc_lo
; %bb.52:
	s_or_b32 exec_lo, exec_lo, s3
	v_and_b32_e32 v72, 0x7f800000, v81
	s_delay_alu instid0(VALU_DEP_1) | instskip(SKIP_1) | instid1(SALU_CYCLE_1)
	v_cmp_ne_u32_e32 vcc_lo, 0x7f800000, v72
                                        ; implicit-def: $vgpr72
	s_and_saveexec_b32 s3, vcc_lo
	s_xor_b32 s3, exec_lo, s3
; %bb.53:
	v_bfe_u32 v72, v81, 16, 1
	s_delay_alu instid0(VALU_DEP_1)
	v_add3_u32 v72, v81, v72, 0x7fff
                                        ; implicit-def: $vgpr81
; %bb.54:
	s_and_not1_saveexec_b32 s3, s3
; %bb.55:
	v_and_b32_e32 v72, 0xffff, v81
	v_or_b32_e32 v82, 0x10000, v81
	s_delay_alu instid0(VALU_DEP_2) | instskip(NEXT) | instid1(VALU_DEP_2)
	v_cmp_eq_u32_e32 vcc_lo, 0, v72
	v_cndmask_b32_e32 v72, v82, v81, vcc_lo
; %bb.56:
	s_or_b32 exec_lo, exec_lo, s3
	v_and_b32_e32 v81, 0x7f800000, v83
	s_delay_alu instid0(VALU_DEP_1) | instskip(SKIP_1) | instid1(SALU_CYCLE_1)
	v_cmp_ne_u32_e32 vcc_lo, 0x7f800000, v81
                                        ; implicit-def: $vgpr81
	s_and_saveexec_b32 s3, vcc_lo
	s_xor_b32 s3, exec_lo, s3
; %bb.57:
	v_bfe_u32 v81, v83, 16, 1
	s_delay_alu instid0(VALU_DEP_1)
	v_add3_u32 v81, v83, v81, 0x7fff
                                        ; implicit-def: $vgpr83
; %bb.58:
	s_and_not1_saveexec_b32 s3, s3
; %bb.59:
	v_and_b32_e32 v81, 0xffff, v83
	v_or_b32_e32 v82, 0x10000, v83
	s_delay_alu instid0(VALU_DEP_2) | instskip(NEXT) | instid1(VALU_DEP_2)
	v_cmp_eq_u32_e32 vcc_lo, 0, v81
	v_cndmask_b32_e32 v81, v82, v83, vcc_lo
; %bb.60:
	s_or_b32 exec_lo, exec_lo, s3
	v_and_b32_e32 v82, 0x7f800000, v77
	s_delay_alu instid0(VALU_DEP_1) | instskip(SKIP_1) | instid1(SALU_CYCLE_1)
	v_cmp_ne_u32_e32 vcc_lo, 0x7f800000, v82
                                        ; implicit-def: $vgpr82
	s_and_saveexec_b32 s3, vcc_lo
	s_xor_b32 s3, exec_lo, s3
; %bb.61:
	v_bfe_u32 v82, v77, 16, 1
	s_delay_alu instid0(VALU_DEP_1)
	v_add3_u32 v82, v77, v82, 0x7fff
                                        ; implicit-def: $vgpr77
; %bb.62:
	s_and_not1_saveexec_b32 s3, s3
; %bb.63:
	v_and_b32_e32 v82, 0xffff, v77
	v_or_b32_e32 v83, 0x10000, v77
	s_delay_alu instid0(VALU_DEP_2) | instskip(NEXT) | instid1(VALU_DEP_2)
	v_cmp_eq_u32_e32 vcc_lo, 0, v82
	v_cndmask_b32_e32 v82, v83, v77, vcc_lo
; %bb.64:
	s_or_b32 exec_lo, exec_lo, s3
	v_and_b32_e32 v77, 0x7f800000, v78
	s_delay_alu instid0(VALU_DEP_1) | instskip(SKIP_1) | instid1(SALU_CYCLE_1)
	v_cmp_ne_u32_e32 vcc_lo, 0x7f800000, v77
                                        ; implicit-def: $vgpr77
	s_and_saveexec_b32 s3, vcc_lo
	s_xor_b32 s3, exec_lo, s3
; %bb.65:
	v_bfe_u32 v77, v78, 16, 1
	s_delay_alu instid0(VALU_DEP_1)
	v_add3_u32 v77, v78, v77, 0x7fff
                                        ; implicit-def: $vgpr78
; %bb.66:
	s_and_not1_saveexec_b32 s3, s3
; %bb.67:
	v_and_b32_e32 v77, 0xffff, v78
	v_or_b32_e32 v83, 0x10000, v78
	s_delay_alu instid0(VALU_DEP_2) | instskip(NEXT) | instid1(VALU_DEP_2)
	v_cmp_eq_u32_e32 vcc_lo, 0, v77
	v_cndmask_b32_e32 v77, v83, v78, vcc_lo
; %bb.68:
	s_or_b32 exec_lo, exec_lo, s3
	v_and_b32_e32 v78, 0x7f800000, v79
	s_delay_alu instid0(VALU_DEP_1) | instskip(SKIP_1) | instid1(SALU_CYCLE_1)
	v_cmp_ne_u32_e32 vcc_lo, 0x7f800000, v78
                                        ; implicit-def: $vgpr78
	s_and_saveexec_b32 s3, vcc_lo
	s_xor_b32 s3, exec_lo, s3
; %bb.69:
	v_bfe_u32 v78, v79, 16, 1
	s_delay_alu instid0(VALU_DEP_1)
	v_add3_u32 v78, v79, v78, 0x7fff
                                        ; implicit-def: $vgpr79
; %bb.70:
	s_and_not1_saveexec_b32 s3, s3
; %bb.71:
	v_and_b32_e32 v78, 0xffff, v79
	v_or_b32_e32 v83, 0x10000, v79
	s_delay_alu instid0(VALU_DEP_2) | instskip(NEXT) | instid1(VALU_DEP_2)
	v_cmp_eq_u32_e32 vcc_lo, 0, v78
	v_cndmask_b32_e32 v78, v83, v79, vcc_lo
; %bb.72:
	s_or_b32 exec_lo, exec_lo, s3
	v_and_b32_e32 v79, 0x7f800000, v70
	s_delay_alu instid0(VALU_DEP_1) | instskip(SKIP_1) | instid1(SALU_CYCLE_1)
	v_cmp_ne_u32_e32 vcc_lo, 0x7f800000, v79
                                        ; implicit-def: $vgpr79
	s_and_saveexec_b32 s3, vcc_lo
	s_xor_b32 s3, exec_lo, s3
; %bb.73:
	v_bfe_u32 v79, v70, 16, 1
	s_delay_alu instid0(VALU_DEP_1)
	v_add3_u32 v79, v70, v79, 0x7fff
                                        ; implicit-def: $vgpr70
; %bb.74:
	s_and_not1_saveexec_b32 s3, s3
; %bb.75:
	v_and_b32_e32 v79, 0xffff, v70
	v_or_b32_e32 v83, 0x10000, v70
	s_delay_alu instid0(VALU_DEP_2) | instskip(NEXT) | instid1(VALU_DEP_2)
	v_cmp_eq_u32_e32 vcc_lo, 0, v79
	v_cndmask_b32_e32 v79, v83, v70, vcc_lo
; %bb.76:
	s_or_b32 exec_lo, exec_lo, s3
	s_delay_alu instid0(VALU_DEP_1)
	v_perm_b32 v86, v79, v78, 0x7060302
	v_perm_b32 v85, v77, v82, 0x7060302
	;; [unrolled: 1-line block ×4, first 2 shown]
	v_lshl_or_b32 v82, v66, 11, v80
	ds_store_b128 v76, v[83:86] offset:1024
	s_waitcnt lgkmcnt(0)
	s_barrier
	buffer_gl0_inv
	ds_load_b128 v[69:72], v82
	ds_load_b128 v[83:86], v82 offset:16
	s_waitcnt lgkmcnt(1)
	v_lshrrev_b32_e32 v66, 16, v69
	s_waitcnt lgkmcnt(0)
	v_lshrrev_b32_e32 v91, 16, v83
	v_lshlrev_b32_e32 v78, 2, v74
	v_lshrrev_b32_e32 v95, 16, v70
	v_lshrrev_b32_e32 v98, 16, v84
	;; [unrolled: 1-line block ×4, first 2 shown]
	v_cmp_eq_u32_e32 vcc_lo, 1, v78
	v_lshrrev_b32_e32 v97, 16, v72
	v_lshrrev_b32_e32 v100, 16, v86
	v_cndmask_b32_e32 v87, v83, v91, vcc_lo
	v_or_b32_e32 v79, 1, v78
	v_cndmask_b32_e32 v81, v69, v66, vcc_lo
	v_cmp_eq_u32_e64 s4, 2, v78
	v_cmp_eq_u32_e64 s7, 3, v78
	;; [unrolled: 1-line block ×5, first 2 shown]
	v_cndmask_b32_e64 v81, v81, v70, s4
	v_cndmask_b32_e64 v87, v87, v84, s4
	v_cmp_eq_u32_e64 s8, 3, v79
	v_cndmask_b32_e64 v88, v69, v66, s3
	v_or_b32_e32 v77, 2, v78
	v_cndmask_b32_e64 v81, v81, v95, s7
	v_cndmask_b32_e64 v87, v87, v98, s7
	;; [unrolled: 1-line block ×4, first 2 shown]
	v_cmp_eq_u32_e64 s10, 5, v78
	v_cndmask_b32_e64 v81, v81, v71, s9
	v_cndmask_b32_e64 v87, v87, v85, s9
	v_cmp_eq_u32_e64 s11, 4, v79
	v_cndmask_b32_e64 v88, v88, v95, s8
	v_cmp_eq_u32_e64 s5, 1, v77
	v_cndmask_b32_e64 v89, v89, v84, s6
	v_cndmask_b32_e64 v81, v81, v96, s10
	v_cmp_eq_u32_e64 s12, 6, v78
	v_cndmask_b32_e64 v88, v88, v71, s11
	;; [unrolled: 3-line block ×3, first 2 shown]
	v_cndmask_b32_e64 v89, v89, v98, s8
	v_cndmask_b32_e64 v81, v81, v72, s12
	v_cmp_eq_u32_e64 s15, 7, v78
	v_cndmask_b32_e64 v88, v88, v96, s13
	v_cndmask_b32_e64 v87, v87, v86, s12
	v_cmp_eq_u32_e64 s16, 6, v79
	v_cmp_eq_u32_e64 s17, 2, v77
	v_cndmask_b32_e64 v89, v89, v85, s11
	v_cndmask_b32_e64 v101, v81, v97, s15
	;; [unrolled: 1-line block ×6, first 2 shown]
	v_cmp_eq_u32_e64 s18, 7, v79
	v_cmp_eq_u32_e64 s19, 3, v77
	;; [unrolled: 1-line block ×4, first 2 shown]
	v_cndmask_b32_e64 v87, v87, v84, s17
	v_cndmask_b32_e64 v103, v88, v97, s18
	;; [unrolled: 1-line block ×4, first 2 shown]
	v_or_b32_e32 v81, 3, v78
	v_cndmask_b32_e64 v93, v87, v98, s19
	v_cmp_eq_u32_e64 s24, 6, v77
	v_cndmask_b32_e64 v104, v88, v86, s16
	v_cndmask_b32_e64 v92, v89, v71, s20
	v_cmp_eq_u32_e64 s21, 1, v81
	ds_load_b128 v[87:90], v82 offset:1024
	v_cmp_eq_u32_e64 s23, 2, v81
	v_cmp_eq_u32_e64 s25, 3, v81
	v_cndmask_b32_e64 v105, v92, v96, s22
	v_cndmask_b32_e64 v66, v69, v66, s21
	;; [unrolled: 1-line block ×4, first 2 shown]
	ds_load_b128 v[91:94], v82 offset:1040
	v_cmp_eq_u32_e64 s26, 4, v81
	v_cndmask_b32_e64 v66, v66, v70, s23
	v_cmp_eq_u32_e64 s27, 7, v77
	v_cndmask_b32_e64 v70, v83, v84, s23
	v_cndmask_b32_e64 v84, v105, v72, s24
	v_cmp_eq_u32_e64 s28, 5, v81
	v_cndmask_b32_e64 v66, v66, v95, s25
	v_cmp_eq_u32_e64 s29, 6, v81
	v_cndmask_b32_e64 v70, v70, v98, s25
	v_cndmask_b32_e64 v69, v69, v99, s22
	;; [unrolled: 1-line block ×4, first 2 shown]
	s_waitcnt lgkmcnt(1)
	v_lshrrev_b32_e32 v95, 16, v87
	v_cndmask_b32_e64 v70, v70, v85, s26
	v_cndmask_b32_e64 v71, v84, v97, s27
	;; [unrolled: 1-line block ×4, first 2 shown]
	v_cndmask_b32_e32 v84, v87, v95, vcc_lo
	v_cndmask_b32_e64 v70, v70, v99, s28
	s_waitcnt lgkmcnt(0)
	v_lshrrev_b32_e32 v85, 16, v91
	v_lshrrev_b32_e32 v96, 16, v88
	v_cndmask_b32_e64 v98, v87, v95, s3
	v_cndmask_b32_e64 v84, v84, v88, s4
	;; [unrolled: 1-line block ×3, first 2 shown]
	v_cndmask_b32_e32 v99, v91, v85, vcc_lo
	v_cmp_eq_u32_e32 vcc_lo, 7, v81
	v_cndmask_b32_e64 v66, v66, v72, s29
	v_cndmask_b32_e64 v72, v84, v96, s7
	;; [unrolled: 1-line block ×3, first 2 shown]
	v_lshrrev_b32_e32 v98, 16, v92
	v_cndmask_b32_e32 v70, v70, v100, vcc_lo
	v_cndmask_b32_e64 v86, v99, v92, s4
	v_cndmask_b32_e64 v69, v69, v100, s27
	v_lshrrev_b32_e32 v100, 16, v93
	v_cndmask_b32_e64 v72, v72, v89, s9
	v_lshrrev_b32_e32 v99, 16, v89
	v_cndmask_b32_e64 v86, v86, v98, s7
	v_perm_b32 v71, v69, v71, 0x5040100
	v_cndmask_b32_e64 v84, v84, v96, s8
	s_delay_alu instid0(VALU_DEP_3) | instskip(NEXT) | instid1(VALU_DEP_2)
	v_cndmask_b32_e64 v86, v86, v93, s9
	v_cndmask_b32_e64 v84, v84, v89, s11
	s_delay_alu instid0(VALU_DEP_2) | instskip(NEXT) | instid1(VALU_DEP_1)
	v_cndmask_b32_e64 v86, v86, v100, s10
	v_cndmask_b32_e64 v69, v86, v94, s12
	;; [unrolled: 1-line block ×5, first 2 shown]
	s_delay_alu instid0(VALU_DEP_3) | instskip(NEXT) | instid1(VALU_DEP_3)
	v_cndmask_b32_e64 v86, v86, v88, s17
	v_cndmask_b32_e64 v87, v87, v88, s23
	s_delay_alu instid0(VALU_DEP_3) | instskip(NEXT) | instid1(VALU_DEP_3)
	v_cndmask_b32_e64 v88, v95, v92, s23
	v_cndmask_b32_e64 v86, v86, v96, s19
	;; [unrolled: 3-line block ×7, first 2 shown]
	s_delay_alu instid0(VALU_DEP_3) | instskip(SKIP_2) | instid1(VALU_DEP_2)
	v_cndmask_b32_e64 v88, v88, v94, s29
	v_cndmask_b32_e32 v66, v66, v97, vcc_lo
	v_cndmask_b32_e64 v97, v72, v99, s10
	v_perm_b32 v72, v70, v66, 0x5040100
	v_perm_b32 v70, v83, v103, 0x5040100
	v_cndmask_b32_e64 v103, v91, v85, s5
	v_cndmask_b32_e64 v85, v91, v85, s3
	;; [unrolled: 1-line block ×4, first 2 shown]
	v_lshrrev_b32_e32 v97, 16, v90
	v_cndmask_b32_e64 v91, v103, v92, s17
	v_cndmask_b32_e64 v85, v85, v92, s6
	;; [unrolled: 1-line block ×3, first 2 shown]
	s_mov_b32 s3, exec_lo
	v_cndmask_b32_e64 v83, v84, v97, s15
	v_cndmask_b32_e64 v91, v91, v98, s19
	;; [unrolled: 1-line block ×3, first 2 shown]
	v_lshrrev_b32_e32 v84, 16, v94
	v_cndmask_b32_e64 v66, v66, v97, s18
	v_cndmask_b32_e64 v90, v86, v97, s27
	;; [unrolled: 1-line block ×4, first 2 shown]
	v_dual_cndmask_b32 v86, v87, v97 :: v_dual_cndmask_b32 v87, v88, v84
	v_cndmask_b32_e64 v91, v69, v84, s15
	s_delay_alu instid0(VALU_DEP_4) | instskip(NEXT) | instid1(VALU_DEP_4)
	v_cndmask_b32_e64 v89, v89, v100, s22
	v_cndmask_b32_e64 v85, v85, v100, s13
	v_perm_b32 v69, v102, v101, 0x5040100
	v_perm_b32 v86, v87, v86, 0x5040100
	;; [unrolled: 1-line block ×3, first 2 shown]
	v_cndmask_b32_e64 v89, v89, v94, s24
	v_cndmask_b32_e64 v85, v85, v94, s16
	s_mul_i32 s8, s35, 9
	s_delay_alu instid0(VALU_DEP_2) | instskip(NEXT) | instid1(VALU_DEP_2)
	v_cndmask_b32_e64 v88, v89, v84, s27
	v_cndmask_b32_e64 v89, v85, v84, s18
	s_delay_alu instid0(VALU_DEP_2) | instskip(NEXT) | instid1(VALU_DEP_2)
	v_perm_b32 v85, v88, v90, 0x5040100
	v_perm_b32 v84, v89, v66, 0x5040100
	ds_store_b128 v76, v[69:72]
	ds_store_b128 v76, v[83:86] offset:1024
	v_cmpx_gt_u32_e32 9, v0
	s_cbranch_execz .LBB1894_78
; %bb.77:
	s_mul_i32 s4, s8, s30
	s_delay_alu instid0(SALU_CYCLE_1) | instskip(SKIP_1) | instid1(VALU_DEP_1)
	v_add3_u32 v69, s4, s31, v65
	s_load_b128 s[4:7], s[0:1], 0x58
	v_mad_u64_u32 v[65:66], null, v69, s34, s[14:15]
	s_delay_alu instid0(VALU_DEP_1) | instskip(NEXT) | instid1(VALU_DEP_1)
	v_ashrrev_i32_e32 v66, 31, v65
	v_lshlrev_b64 v[65:66], 2, v[65:66]
	s_waitcnt lgkmcnt(0)
	s_delay_alu instid0(VALU_DEP_1) | instskip(NEXT) | instid1(VALU_DEP_2)
	v_add_co_u32 v69, vcc_lo, s6, v65
	v_add_co_ci_u32_e32 v70, vcc_lo, s7, v66, vcc_lo
	v_add_co_u32 v65, vcc_lo, s4, v65
	v_add_co_ci_u32_e32 v66, vcc_lo, s5, v66, vcc_lo
	global_store_b32 v[69:70], v67, off
	global_store_b32 v[65:66], v68, off
.LBB1894_78:
	s_or_b32 exec_lo, exec_lo, s3
	s_waitcnt lgkmcnt(0)
	s_waitcnt_vscnt null, 0x0
	s_barrier
	buffer_gl0_inv
	ds_load_b128 v[83:86], v80
	ds_load_b128 v[87:90], v80 offset:16
	ds_load_b128 v[95:98], v80 offset:2064
	;; [unrolled: 1-line block ×3, first 2 shown]
	v_mov_b32_e32 v65, 0
	ds_load_b128 v[103:106], v80 offset:4112
	ds_load_b128 v[99:102], v80 offset:4096
	;; [unrolled: 1-line block ×4, first 2 shown]
	v_mov_b32_e32 v66, v65
	v_mov_b32_e32 v67, v65
	;; [unrolled: 1-line block ×7, first 2 shown]
	s_waitcnt lgkmcnt(6)
	s_delay_alu instid0(VALU_DEP_1)
	v_wmma_f32_16x16x16_bf16 v[65:72], v[49:56], v[83:90], v[65:72]
	ds_load_b128 v[53:56], v80 offset:8208
	ds_load_b128 v[49:52], v80 offset:8192
	s_waitcnt lgkmcnt(6)
	v_wmma_f32_16x16x16_bf16 v[65:72], v[41:48], v[91:98], v[65:72]
	ds_load_b128 v[45:48], v80 offset:10256
	ds_load_b128 v[41:44], v80 offset:10240
	s_waitcnt lgkmcnt(6)
	;; [unrolled: 4-line block ×4, first 2 shown]
	v_wmma_f32_16x16x16_bf16 v[65:72], v[1:8], v[49:56], v[65:72]
	s_waitcnt lgkmcnt(4)
	s_delay_alu instid0(VALU_DEP_1) | instskip(SKIP_1) | instid1(VALU_DEP_1)
	v_wmma_f32_16x16x16_bf16 v[65:72], v[9:16], v[41:48], v[65:72]
	s_waitcnt lgkmcnt(2)
	v_wmma_f32_16x16x16_bf16 v[65:72], v[17:24], v[33:40], v[65:72]
	s_waitcnt lgkmcnt(0)
	s_delay_alu instid0(VALU_DEP_1) | instskip(NEXT) | instid1(VALU_DEP_1)
	v_wmma_f32_16x16x16_bf16 v[65:72], v[57:64], v[25:32], v[65:72]
	v_and_b32_e32 v1, 0x7f800000, v65
	s_delay_alu instid0(VALU_DEP_1) | instskip(SKIP_1) | instid1(SALU_CYCLE_1)
	v_cmp_ne_u32_e32 vcc_lo, 0x7f800000, v1
                                        ; implicit-def: $vgpr1
	s_and_saveexec_b32 s3, vcc_lo
	s_xor_b32 s3, exec_lo, s3
; %bb.79:
	v_bfe_u32 v1, v65, 16, 1
	s_delay_alu instid0(VALU_DEP_1)
	v_add3_u32 v1, v65, v1, 0x7fff
; %bb.80:
	s_and_not1_saveexec_b32 s3, s3
; %bb.81:
	v_and_b32_e32 v1, 0xffff, v65
	v_or_b32_e32 v2, 0x10000, v65
	s_delay_alu instid0(VALU_DEP_2) | instskip(NEXT) | instid1(VALU_DEP_2)
	v_cmp_eq_u32_e32 vcc_lo, 0, v1
	v_cndmask_b32_e32 v1, v2, v65, vcc_lo
; %bb.82:
	s_or_b32 exec_lo, exec_lo, s3
	v_and_b32_e32 v2, 0x7f800000, v66
	s_delay_alu instid0(VALU_DEP_1) | instskip(SKIP_1) | instid1(SALU_CYCLE_1)
	v_cmp_ne_u32_e32 vcc_lo, 0x7f800000, v2
                                        ; implicit-def: $vgpr2
	s_and_saveexec_b32 s3, vcc_lo
	s_xor_b32 s3, exec_lo, s3
; %bb.83:
	v_bfe_u32 v2, v66, 16, 1
	s_delay_alu instid0(VALU_DEP_1)
	v_add3_u32 v2, v66, v2, 0x7fff
; %bb.84:
	s_and_not1_saveexec_b32 s3, s3
; %bb.85:
	v_and_b32_e32 v2, 0xffff, v66
	v_or_b32_e32 v3, 0x10000, v66
	s_delay_alu instid0(VALU_DEP_2) | instskip(NEXT) | instid1(VALU_DEP_2)
	v_cmp_eq_u32_e32 vcc_lo, 0, v2
	v_cndmask_b32_e32 v2, v3, v66, vcc_lo
; %bb.86:
	s_or_b32 exec_lo, exec_lo, s3
	v_and_b32_e32 v3, 0x7f800000, v67
	s_delay_alu instid0(VALU_DEP_1) | instskip(SKIP_1) | instid1(SALU_CYCLE_1)
	v_cmp_ne_u32_e32 vcc_lo, 0x7f800000, v3
                                        ; implicit-def: $vgpr3
	s_and_saveexec_b32 s3, vcc_lo
	s_xor_b32 s3, exec_lo, s3
; %bb.87:
	v_bfe_u32 v3, v67, 16, 1
	s_delay_alu instid0(VALU_DEP_1)
	v_add3_u32 v3, v67, v3, 0x7fff
; %bb.88:
	s_and_not1_saveexec_b32 s3, s3
; %bb.89:
	v_and_b32_e32 v3, 0xffff, v67
	v_or_b32_e32 v4, 0x10000, v67
	s_delay_alu instid0(VALU_DEP_2) | instskip(NEXT) | instid1(VALU_DEP_2)
	v_cmp_eq_u32_e32 vcc_lo, 0, v3
	v_cndmask_b32_e32 v3, v4, v67, vcc_lo
; %bb.90:
	s_or_b32 exec_lo, exec_lo, s3
	v_and_b32_e32 v4, 0x7f800000, v68
	s_delay_alu instid0(VALU_DEP_1) | instskip(SKIP_1) | instid1(SALU_CYCLE_1)
	v_cmp_ne_u32_e32 vcc_lo, 0x7f800000, v4
                                        ; implicit-def: $vgpr4
	s_and_saveexec_b32 s3, vcc_lo
	s_xor_b32 s3, exec_lo, s3
; %bb.91:
	v_bfe_u32 v4, v68, 16, 1
	s_delay_alu instid0(VALU_DEP_1)
	v_add3_u32 v4, v68, v4, 0x7fff
; %bb.92:
	s_and_not1_saveexec_b32 s3, s3
; %bb.93:
	v_and_b32_e32 v4, 0xffff, v68
	v_or_b32_e32 v5, 0x10000, v68
	s_delay_alu instid0(VALU_DEP_2) | instskip(NEXT) | instid1(VALU_DEP_2)
	v_cmp_eq_u32_e32 vcc_lo, 0, v4
	v_cndmask_b32_e32 v4, v5, v68, vcc_lo
; %bb.94:
	s_or_b32 exec_lo, exec_lo, s3
	v_and_b32_e32 v5, 0x7f800000, v69
	s_delay_alu instid0(VALU_DEP_1) | instskip(SKIP_1) | instid1(SALU_CYCLE_1)
	v_cmp_ne_u32_e32 vcc_lo, 0x7f800000, v5
                                        ; implicit-def: $vgpr5
	s_and_saveexec_b32 s3, vcc_lo
	s_xor_b32 s3, exec_lo, s3
; %bb.95:
	v_bfe_u32 v5, v69, 16, 1
	s_delay_alu instid0(VALU_DEP_1)
	v_add3_u32 v5, v69, v5, 0x7fff
; %bb.96:
	s_and_not1_saveexec_b32 s3, s3
; %bb.97:
	v_and_b32_e32 v5, 0xffff, v69
	v_or_b32_e32 v6, 0x10000, v69
	s_delay_alu instid0(VALU_DEP_2) | instskip(NEXT) | instid1(VALU_DEP_2)
	v_cmp_eq_u32_e32 vcc_lo, 0, v5
	v_cndmask_b32_e32 v5, v6, v69, vcc_lo
; %bb.98:
	s_or_b32 exec_lo, exec_lo, s3
	v_and_b32_e32 v6, 0x7f800000, v70
	s_delay_alu instid0(VALU_DEP_1) | instskip(SKIP_1) | instid1(SALU_CYCLE_1)
	v_cmp_ne_u32_e32 vcc_lo, 0x7f800000, v6
                                        ; implicit-def: $vgpr6
	s_and_saveexec_b32 s3, vcc_lo
	s_xor_b32 s3, exec_lo, s3
; %bb.99:
	v_bfe_u32 v6, v70, 16, 1
	s_delay_alu instid0(VALU_DEP_1)
	v_add3_u32 v6, v70, v6, 0x7fff
; %bb.100:
	s_and_not1_saveexec_b32 s3, s3
; %bb.101:
	v_and_b32_e32 v6, 0xffff, v70
	v_or_b32_e32 v7, 0x10000, v70
	s_delay_alu instid0(VALU_DEP_2) | instskip(NEXT) | instid1(VALU_DEP_2)
	v_cmp_eq_u32_e32 vcc_lo, 0, v6
	v_cndmask_b32_e32 v6, v7, v70, vcc_lo
; %bb.102:
	s_or_b32 exec_lo, exec_lo, s3
	v_and_b32_e32 v7, 0x7f800000, v71
	s_delay_alu instid0(VALU_DEP_1) | instskip(SKIP_1) | instid1(SALU_CYCLE_1)
	v_cmp_ne_u32_e32 vcc_lo, 0x7f800000, v7
                                        ; implicit-def: $vgpr7
	s_and_saveexec_b32 s3, vcc_lo
	s_xor_b32 s3, exec_lo, s3
; %bb.103:
	v_bfe_u32 v7, v71, 16, 1
	s_delay_alu instid0(VALU_DEP_1)
	v_add3_u32 v7, v71, v7, 0x7fff
; %bb.104:
	s_and_not1_saveexec_b32 s3, s3
; %bb.105:
	v_and_b32_e32 v7, 0xffff, v71
	v_or_b32_e32 v8, 0x10000, v71
	s_delay_alu instid0(VALU_DEP_2) | instskip(NEXT) | instid1(VALU_DEP_2)
	v_cmp_eq_u32_e32 vcc_lo, 0, v7
	v_cndmask_b32_e32 v7, v8, v71, vcc_lo
; %bb.106:
	s_or_b32 exec_lo, exec_lo, s3
	v_and_b32_e32 v8, 0x7f800000, v72
	s_delay_alu instid0(VALU_DEP_1) | instskip(SKIP_1) | instid1(SALU_CYCLE_1)
	v_cmp_ne_u32_e32 vcc_lo, 0x7f800000, v8
                                        ; implicit-def: $vgpr8
	s_and_saveexec_b32 s3, vcc_lo
	s_xor_b32 s3, exec_lo, s3
; %bb.107:
	v_bfe_u32 v8, v72, 16, 1
	s_delay_alu instid0(VALU_DEP_1)
	v_add3_u32 v8, v72, v8, 0x7fff
                                        ; implicit-def: $vgpr65_vgpr66_vgpr67_vgpr68_vgpr69_vgpr70_vgpr71_vgpr72
; %bb.108:
	s_and_not1_saveexec_b32 s3, s3
; %bb.109:
	v_and_b32_e32 v8, 0xffff, v72
	v_or_b32_e32 v9, 0x10000, v72
	s_delay_alu instid0(VALU_DEP_2) | instskip(NEXT) | instid1(VALU_DEP_2)
	v_cmp_eq_u32_e32 vcc_lo, 0, v8
	v_cndmask_b32_e32 v8, v9, v72, vcc_lo
; %bb.110:
	s_or_b32 exec_lo, exec_lo, s3
	s_delay_alu instid0(VALU_DEP_1)
	v_perm_b32 v7, v8, v7, 0x7060302
	v_perm_b32 v6, v6, v5, 0x7060302
	;; [unrolled: 1-line block ×4, first 2 shown]
	s_barrier
	buffer_gl0_inv
	v_cmp_eq_u32_e32 vcc_lo, 1, v78
	ds_store_b128 v76, v[4:7]
	s_waitcnt lgkmcnt(0)
	s_barrier
	buffer_gl0_inv
	ds_load_b128 v[1:4], v82
	ds_load_b128 v[5:8], v82 offset:16
	v_cmp_eq_u32_e64 s3, 1, v79
	v_cmp_eq_u32_e64 s4, 2, v78
	;; [unrolled: 1-line block ×5, first 2 shown]
	s_waitcnt lgkmcnt(1)
	v_lshrrev_b32_e32 v9, 16, v1
	s_waitcnt lgkmcnt(0)
	v_lshrrev_b32_e32 v13, 16, v5
	v_lshrrev_b32_e32 v10, 16, v2
	;; [unrolled: 1-line block ×4, first 2 shown]
	v_cndmask_b32_e64 v19, v1, v9, s3
	v_cndmask_b32_e32 v18, v5, v13, vcc_lo
	v_cndmask_b32_e64 v20, v5, v13, s3
	v_cndmask_b32_e32 v17, v1, v9, vcc_lo
	v_cmp_eq_u32_e32 vcc_lo, 2, v79
	v_lshrrev_b32_e32 v15, 16, v7
	v_cmp_eq_u32_e64 s3, 1, v77
	v_lshrrev_b32_e32 v12, 16, v4
	v_lshrrev_b32_e32 v16, 16, v8
	v_cndmask_b32_e32 v20, v20, v6, vcc_lo
	v_cndmask_b32_e64 v17, v17, v2, s4
	v_cndmask_b32_e32 v19, v19, v2, vcc_lo
	v_cndmask_b32_e64 v18, v18, v6, s4
	v_cmp_eq_u32_e32 vcc_lo, 4, v78
	v_cmp_eq_u32_e64 s4, 3, v79
	v_cndmask_b32_e64 v17, v17, v10, s5
	v_cndmask_b32_e64 v21, v1, v9, s3
	;; [unrolled: 1-line block ×5, first 2 shown]
	v_cndmask_b32_e32 v17, v17, v3, vcc_lo
	v_cndmask_b32_e64 v20, v20, v14, s4
	v_cndmask_b32_e32 v18, v18, v7, vcc_lo
	v_cmp_eq_u32_e32 vcc_lo, 4, v79
	v_cmp_eq_u32_e64 s4, 5, v79
	v_cmp_eq_u32_e64 s3, 2, v81
	v_cndmask_b32_e64 v21, v21, v2, s7
	v_cmp_eq_u32_e64 s5, 5, v78
	v_cndmask_b32_e32 v19, v19, v3, vcc_lo
	v_cndmask_b32_e32 v20, v20, v7, vcc_lo
	v_cmp_eq_u32_e32 vcc_lo, 6, v79
	s_delay_alu instid0(VALU_DEP_4) | instskip(NEXT) | instid1(VALU_DEP_4)
	v_cndmask_b32_e64 v17, v17, v11, s5
	v_cndmask_b32_e64 v19, v19, v11, s4
	s_delay_alu instid0(VALU_DEP_4) | instskip(SKIP_1) | instid1(VALU_DEP_3)
	v_cndmask_b32_e64 v20, v20, v15, s4
	v_cmp_eq_u32_e64 s4, 1, v81
	v_cndmask_b32_e32 v19, v19, v4, vcc_lo
	v_cndmask_b32_e64 v18, v18, v15, s5
	s_delay_alu instid0(VALU_DEP_3)
	v_cndmask_b32_e64 v1, v1, v9, s4
	v_cndmask_b32_e64 v5, v5, v13, s4
	v_cmp_eq_u32_e64 s4, 3, v77
	v_cndmask_b32_e64 v13, v22, v6, s7
	v_cmp_eq_u32_e64 s7, 3, v81
	v_cndmask_b32_e64 v1, v1, v2, s3
	v_cndmask_b32_e64 v2, v5, v6, s3
	;; [unrolled: 1-line block ×3, first 2 shown]
	v_cmp_eq_u32_e64 s3, 4, v77
	v_cndmask_b32_e64 v6, v13, v14, s4
	v_cndmask_b32_e64 v1, v1, v10, s7
	v_cmp_eq_u32_e64 s4, 4, v81
	v_cndmask_b32_e64 v2, v2, v14, s7
	v_cndmask_b32_e64 v5, v9, v3, s3
	;; [unrolled: 3-line block ×3, first 2 shown]
	v_cndmask_b32_e64 v2, v2, v7, s4
	v_cmp_eq_u32_e64 s3, 5, v81
	v_cmp_eq_u32_e64 s5, 6, v78
	v_cndmask_b32_e64 v5, v5, v11, s7
	v_cmp_eq_u32_e64 s4, 6, v77
	v_cndmask_b32_e64 v3, v6, v15, s7
	v_cndmask_b32_e64 v1, v1, v11, s3
	v_cmp_eq_u32_e64 s7, 6, v81
	v_cndmask_b32_e64 v2, v2, v15, s3
	v_cndmask_b32_e64 v17, v17, v4, s5
	v_cndmask_b32_e64 v18, v18, v8, s5
	v_cmp_eq_u32_e64 s5, 7, v78
	v_cndmask_b32_e64 v5, v5, v4, s4
	;; [unrolled: 4-line block ×3, first 2 shown]
	v_cmp_eq_u32_e64 s4, 7, v77
	v_cndmask_b32_e32 v4, v20, v8, vcc_lo
	v_cndmask_b32_e64 v17, v17, v12, s5
	v_cndmask_b32_e64 v19, v19, v12, s6
	;; [unrolled: 1-line block ×8, first 2 shown]
	s_mov_b32 s3, exec_lo
	v_perm_b32 v4, v2, v1, 0x5040100
	v_perm_b32 v3, v3, v5, 0x5040100
	;; [unrolled: 1-line block ×4, first 2 shown]
	ds_store_b128 v76, v[1:4]
	s_waitcnt lgkmcnt(0)
	s_barrier
	buffer_gl0_inv
	v_cmpx_gt_u32_e32 32, v0
	s_cbranch_execz .LBB1894_2
; %bb.111:
	s_load_b64 s[4:5], s[0:1], 0x68
	v_lshlrev_b32_e32 v0, 10, v0
	v_lshlrev_b32_e32 v1, 4, v75
	s_lshl_b32 s0, s34, 7
	v_add_nc_u32_e32 v2, s31, v74
	s_mul_i32 s1, s0, s30
	s_delay_alu instid0(SALU_CYCLE_1) | instskip(SKIP_1) | instid1(VALU_DEP_2)
	s_mul_i32 s6, s1, s8
	v_and_or_b32 v0, 0x3800, v0, v1
	v_mul_lo_u32 v1, v2, s0
	s_ashr_i32 s7, s6, 31
	v_add_nc_u32_e32 v3, 2, v2
	s_lshl_b64 s[6:7], s[6:7], 1
	v_add_nc_u32_e32 v4, 4, v2
	v_add_nc_u32_e32 v5, 6, v2
	v_lshl_or_b32 v15, v74, 6, v0
	v_mul_lo_u32 v3, v3, s0
	v_ashrrev_i32_e32 v2, 31, v1
	v_mul_lo_u32 v19, v4, s0
	v_mul_lo_u32 v21, v5, s0
	s_waitcnt lgkmcnt(0)
	s_add_u32 s1, s4, s6
	s_addc_u32 s3, s5, s7
	s_lshl_b32 s4, s14, 7
	v_lshlrev_b64 v[5:6], 1, v[1:2]
	s_ashr_i32 s5, s4, 31
	v_ashrrev_i32_e32 v4, 31, v3
	s_lshl_b64 s[4:5], s[4:5], 1
	v_ashrrev_i32_e32 v20, 31, v19
	s_add_u32 s1, s1, s4
	s_addc_u32 s3, s3, s5
	v_add_co_u32 v1, s1, s1, v73
	s_delay_alu instid0(VALU_DEP_1) | instskip(SKIP_1) | instid1(VALU_DEP_3)
	v_add_co_ci_u32_e64 v2, null, s3, 0, s1
	v_lshlrev_b64 v[25:26], 1, v[3:4]
	v_add_co_u32 v23, vcc_lo, v1, v5
	s_delay_alu instid0(VALU_DEP_3)
	v_add_co_ci_u32_e32 v24, vcc_lo, v2, v6, vcc_lo
	ds_load_b128 v[3:6], v15
	ds_load_b128 v[7:10], v15 offset:128
	ds_load_b128 v[11:14], v15 offset:256
	;; [unrolled: 1-line block ×3, first 2 shown]
	v_ashrrev_i32_e32 v22, 31, v21
	v_lshlrev_b64 v[19:20], 1, v[19:20]
	v_add_co_u32 v25, vcc_lo, v1, v25
	v_add_co_ci_u32_e32 v26, vcc_lo, v2, v26, vcc_lo
	s_delay_alu instid0(VALU_DEP_4) | instskip(NEXT) | instid1(VALU_DEP_4)
	v_lshlrev_b64 v[21:22], 1, v[21:22]
	v_add_co_u32 v19, vcc_lo, v1, v19
	v_add_co_ci_u32_e32 v20, vcc_lo, v2, v20, vcc_lo
	s_delay_alu instid0(VALU_DEP_3) | instskip(NEXT) | instid1(VALU_DEP_4)
	v_add_co_u32 v21, vcc_lo, v1, v21
	v_add_co_ci_u32_e32 v22, vcc_lo, v2, v22, vcc_lo
	s_waitcnt lgkmcnt(3)
	global_store_b128 v[23:24], v[3:6], off
	s_waitcnt lgkmcnt(2)
	global_store_b128 v[25:26], v[7:10], off
	;; [unrolled: 2-line block ×4, first 2 shown]
	s_and_b32 exec_lo, exec_lo, s2
	s_cbranch_execz .LBB1894_2
; %bb.112:
	ds_load_b128 v[3:6], v0 offset:512
	s_add_i32 s1, s31, 8
	s_delay_alu instid0(SALU_CYCLE_1) | instskip(NEXT) | instid1(SALU_CYCLE_1)
	s_mul_i32 s0, s1, s0
	s_ashr_i32 s1, s0, 31
	s_delay_alu instid0(SALU_CYCLE_1) | instskip(NEXT) | instid1(SALU_CYCLE_1)
	s_lshl_b64 s[0:1], s[0:1], 1
	v_add_co_u32 v0, vcc_lo, v1, s0
	v_add_co_ci_u32_e32 v1, vcc_lo, s1, v2, vcc_lo
	s_waitcnt lgkmcnt(0)
	global_store_b128 v[0:1], v[3:6], off
	s_nop 0
	s_sendmsg sendmsg(MSG_DEALLOC_VGPRS)
	s_endpgm
	.section	.rodata,"a",@progbits
	.p2align	6, 0x0
	.amdhsa_kernel _Z39paged_attention_ll4mi_QKV_mfma16_kernelI14__hip_bfloat16hLN4vllm18Fp8KVCacheDataTypeE1ES0_Li32ELi128ELi256ELb1ELi9EL8MFMAType0EEvPKT_PKT0_S9_ifPKiSB_SB_iPKfiiiPfSE_PS4_PT2_iSD_SD_
		.amdhsa_group_segment_fixed_size 17472
		.amdhsa_private_segment_fixed_size 0
		.amdhsa_kernarg_size 400
		.amdhsa_user_sgpr_count 13
		.amdhsa_user_sgpr_dispatch_ptr 0
		.amdhsa_user_sgpr_queue_ptr 0
		.amdhsa_user_sgpr_kernarg_segment_ptr 1
		.amdhsa_user_sgpr_dispatch_id 0
		.amdhsa_user_sgpr_private_segment_size 0
		.amdhsa_wavefront_size32 1
		.amdhsa_uses_dynamic_stack 0
		.amdhsa_enable_private_segment 0
		.amdhsa_system_sgpr_workgroup_id_x 1
		.amdhsa_system_sgpr_workgroup_id_y 1
		.amdhsa_system_sgpr_workgroup_id_z 1
		.amdhsa_system_sgpr_workgroup_info 0
		.amdhsa_system_vgpr_workitem_id 0
		.amdhsa_next_free_vgpr 140
		.amdhsa_next_free_sgpr 36
		.amdhsa_reserve_vcc 1
		.amdhsa_float_round_mode_32 0
		.amdhsa_float_round_mode_16_64 0
		.amdhsa_float_denorm_mode_32 3
		.amdhsa_float_denorm_mode_16_64 3
		.amdhsa_dx10_clamp 1
		.amdhsa_ieee_mode 1
		.amdhsa_fp16_overflow 0
		.amdhsa_workgroup_processor_mode 1
		.amdhsa_memory_ordered 1
		.amdhsa_forward_progress 0
		.amdhsa_shared_vgpr_count 0
		.amdhsa_exception_fp_ieee_invalid_op 0
		.amdhsa_exception_fp_denorm_src 0
		.amdhsa_exception_fp_ieee_div_zero 0
		.amdhsa_exception_fp_ieee_overflow 0
		.amdhsa_exception_fp_ieee_underflow 0
		.amdhsa_exception_fp_ieee_inexact 0
		.amdhsa_exception_int_div_zero 0
	.end_amdhsa_kernel
	.section	.text._Z39paged_attention_ll4mi_QKV_mfma16_kernelI14__hip_bfloat16hLN4vllm18Fp8KVCacheDataTypeE1ES0_Li32ELi128ELi256ELb1ELi9EL8MFMAType0EEvPKT_PKT0_S9_ifPKiSB_SB_iPKfiiiPfSE_PS4_PT2_iSD_SD_,"axG",@progbits,_Z39paged_attention_ll4mi_QKV_mfma16_kernelI14__hip_bfloat16hLN4vllm18Fp8KVCacheDataTypeE1ES0_Li32ELi128ELi256ELb1ELi9EL8MFMAType0EEvPKT_PKT0_S9_ifPKiSB_SB_iPKfiiiPfSE_PS4_PT2_iSD_SD_,comdat
.Lfunc_end1894:
	.size	_Z39paged_attention_ll4mi_QKV_mfma16_kernelI14__hip_bfloat16hLN4vllm18Fp8KVCacheDataTypeE1ES0_Li32ELi128ELi256ELb1ELi9EL8MFMAType0EEvPKT_PKT0_S9_ifPKiSB_SB_iPKfiiiPfSE_PS4_PT2_iSD_SD_, .Lfunc_end1894-_Z39paged_attention_ll4mi_QKV_mfma16_kernelI14__hip_bfloat16hLN4vllm18Fp8KVCacheDataTypeE1ES0_Li32ELi128ELi256ELb1ELi9EL8MFMAType0EEvPKT_PKT0_S9_ifPKiSB_SB_iPKfiiiPfSE_PS4_PT2_iSD_SD_
                                        ; -- End function
	.section	.AMDGPU.csdata,"",@progbits
; Kernel info:
; codeLenInByte = 8984
; NumSgprs: 38
; NumVgprs: 140
; ScratchSize: 0
; MemoryBound: 0
; FloatMode: 240
; IeeeMode: 1
; LDSByteSize: 17472 bytes/workgroup (compile time only)
; SGPRBlocks: 4
; VGPRBlocks: 17
; NumSGPRsForWavesPerEU: 38
; NumVGPRsForWavesPerEU: 140
; Occupancy: 10
; WaveLimiterHint : 1
; COMPUTE_PGM_RSRC2:SCRATCH_EN: 0
; COMPUTE_PGM_RSRC2:USER_SGPR: 13
; COMPUTE_PGM_RSRC2:TRAP_HANDLER: 0
; COMPUTE_PGM_RSRC2:TGID_X_EN: 1
; COMPUTE_PGM_RSRC2:TGID_Y_EN: 1
; COMPUTE_PGM_RSRC2:TGID_Z_EN: 1
; COMPUTE_PGM_RSRC2:TIDIG_COMP_CNT: 0
	.section	.text._Z39paged_attention_ll4mi_QKV_mfma16_kernelI14__hip_bfloat16hLN4vllm18Fp8KVCacheDataTypeE1ES0_Li32ELi128ELi256ELb1ELi10EL8MFMAType0EEvPKT_PKT0_S9_ifPKiSB_SB_iPKfiiiPfSE_PS4_PT2_iSD_SD_,"axG",@progbits,_Z39paged_attention_ll4mi_QKV_mfma16_kernelI14__hip_bfloat16hLN4vllm18Fp8KVCacheDataTypeE1ES0_Li32ELi128ELi256ELb1ELi10EL8MFMAType0EEvPKT_PKT0_S9_ifPKiSB_SB_iPKfiiiPfSE_PS4_PT2_iSD_SD_,comdat
	.protected	_Z39paged_attention_ll4mi_QKV_mfma16_kernelI14__hip_bfloat16hLN4vllm18Fp8KVCacheDataTypeE1ES0_Li32ELi128ELi256ELb1ELi10EL8MFMAType0EEvPKT_PKT0_S9_ifPKiSB_SB_iPKfiiiPfSE_PS4_PT2_iSD_SD_ ; -- Begin function _Z39paged_attention_ll4mi_QKV_mfma16_kernelI14__hip_bfloat16hLN4vllm18Fp8KVCacheDataTypeE1ES0_Li32ELi128ELi256ELb1ELi10EL8MFMAType0EEvPKT_PKT0_S9_ifPKiSB_SB_iPKfiiiPfSE_PS4_PT2_iSD_SD_
	.globl	_Z39paged_attention_ll4mi_QKV_mfma16_kernelI14__hip_bfloat16hLN4vllm18Fp8KVCacheDataTypeE1ES0_Li32ELi128ELi256ELb1ELi10EL8MFMAType0EEvPKT_PKT0_S9_ifPKiSB_SB_iPKfiiiPfSE_PS4_PT2_iSD_SD_
	.p2align	8
	.type	_Z39paged_attention_ll4mi_QKV_mfma16_kernelI14__hip_bfloat16hLN4vllm18Fp8KVCacheDataTypeE1ES0_Li32ELi128ELi256ELb1ELi10EL8MFMAType0EEvPKT_PKT0_S9_ifPKiSB_SB_iPKfiiiPfSE_PS4_PT2_iSD_SD_,@function
_Z39paged_attention_ll4mi_QKV_mfma16_kernelI14__hip_bfloat16hLN4vllm18Fp8KVCacheDataTypeE1ES0_Li32ELi128ELi256ELb1ELi10EL8MFMAType0EEvPKT_PKT0_S9_ifPKiSB_SB_iPKfiiiPfSE_PS4_PT2_iSD_SD_: ; @_Z39paged_attention_ll4mi_QKV_mfma16_kernelI14__hip_bfloat16hLN4vllm18Fp8KVCacheDataTypeE1ES0_Li32ELi128ELi256ELb1ELi10EL8MFMAType0EEvPKT_PKT0_S9_ifPKiSB_SB_iPKfiiiPfSE_PS4_PT2_iSD_SD_
; %bb.0:
	s_load_b64 s[4:5], s[0:1], 0x30
	s_mov_b32 s30, s13
	s_waitcnt lgkmcnt(0)
	s_cmp_lg_u64 s[4:5], 0
	s_cselect_b32 s13, -1, 0
	s_ashr_i32 s31, s30, 31
	s_cmp_eq_u64 s[4:5], 0
	s_cbranch_scc1 .LBB1895_3
; %bb.1:
	s_lshl_b64 s[2:3], s[30:31], 2
	s_delay_alu instid0(SALU_CYCLE_1) | instskip(SKIP_4) | instid1(SALU_CYCLE_1)
	s_add_u32 s2, s4, s2
	s_addc_u32 s3, s5, s3
	s_load_b64 s[2:3], s[2:3], 0x0
	s_waitcnt lgkmcnt(0)
	s_sub_i32 s2, s3, s2
	s_cmp_eq_u32 s2, 1
	s_cselect_b32 s2, -1, 0
	s_delay_alu instid0(SALU_CYCLE_1)
	s_and_not1_b32 vcc_lo, exec_lo, s2
	s_cbranch_vccz .LBB1895_4
.LBB1895_2:
	s_endpgm
.LBB1895_3:
.LBB1895_4:
	s_load_b64 s[2:3], s[0:1], 0x28
	s_lshl_b64 s[6:7], s[30:31], 2
	s_waitcnt lgkmcnt(0)
	s_add_u32 s2, s2, s6
	s_addc_u32 s3, s3, s7
	s_lshl_b32 s12, s14, 8
	s_load_b32 s17, s[2:3], 0x0
	s_waitcnt lgkmcnt(0)
	s_cmp_ge_i32 s12, s17
	s_cbranch_scc1 .LBB1895_2
; %bb.5:
	s_clause 0x1
	s_load_b128 s[8:11], s[0:1], 0x8
	s_load_b64 s[2:3], s[0:1], 0x20
	s_and_not1_b32 vcc_lo, exec_lo, s13
	s_cbranch_vccnz .LBB1895_7
; %bb.6:
	s_add_u32 s4, s4, s6
	s_addc_u32 s5, s5, s7
	s_load_b32 s13, s[4:5], 0x0
	s_branch .LBB1895_8
.LBB1895_7:
	s_mov_b32 s13, s30
.LBB1895_8:
	s_load_b128 s[4:7], s[0:1], 0x48
	v_and_b32_e32 v65, 15, v0
	v_lshrrev_b32_e32 v66, 5, v0
	v_and_b32_e32 v67, 31, v0
	v_and_b32_e32 v75, 1, v0
	v_bfe_u32 v74, v0, 4, 1
	v_lshlrev_b32_e32 v1, 3, v65
	s_mul_i32 s29, s15, 10
	s_waitcnt lgkmcnt(0)
	s_mov_b32 s7, exec_lo
	s_delay_alu instid0(VALU_DEP_1)
	v_lshlrev_b32_e32 v73, 1, v1
	v_cmpx_gt_u32_e32 0xa0, v0
	s_cbranch_execz .LBB1895_10
; %bb.9:
	s_load_b64 s[18:19], s[0:1], 0x0
	v_lshl_or_b32 v5, v66, 1, v74
	s_mul_hi_i32 s21, s13, s4
	s_mul_i32 s20, s13, s4
	v_lshlrev_b32_e32 v6, 10, v65
	s_lshl_b64 s[20:21], s[20:21], 1
	v_add_lshl_u32 v1, v5, s29, 7
	v_lshlrev_b32_e32 v5, 6, v5
	v_lshlrev_b32_e32 v7, 10, v75
	v_and_b32_e32 v6, 0x3800, v6
	s_delay_alu instid0(VALU_DEP_4) | instskip(NEXT) | instid1(VALU_DEP_2)
	v_ashrrev_i32_e32 v2, 31, v1
	v_or3_b32 v5, v6, v7, v5
	s_delay_alu instid0(VALU_DEP_2) | instskip(SKIP_3) | instid1(VALU_DEP_1)
	v_lshlrev_b64 v[1:2], 1, v[1:2]
	s_waitcnt lgkmcnt(0)
	s_add_u32 s4, s18, s20
	s_addc_u32 s13, s19, s21
	v_add_co_u32 v1, vcc_lo, s4, v1
	s_delay_alu instid0(VALU_DEP_2) | instskip(NEXT) | instid1(VALU_DEP_2)
	v_add_co_ci_u32_e32 v2, vcc_lo, s13, v2, vcc_lo
	v_add_co_u32 v1, vcc_lo, v1, v73
	s_delay_alu instid0(VALU_DEP_2)
	v_add_co_ci_u32_e32 v2, vcc_lo, 0, v2, vcc_lo
	global_load_b128 v[1:4], v[1:2], off
	s_waitcnt vmcnt(0)
	ds_store_b128 v5, v[1:4]
.LBB1895_10:
	s_or_b32 exec_lo, exec_lo, s7
	v_and_b32_e32 v1, 0xef, v0
	s_add_i32 s4, s17, 31
	s_clause 0x1
	s_load_b32 s7, s[0:1], 0x38
	s_load_b32 s18, s[0:1], 0x1c
	s_ashr_i32 s13, s4, 31
	v_add_nc_u32_e32 v1, s12, v1
	s_lshr_b32 s13, s13, 27
	s_waitcnt lgkmcnt(0)
	s_add_i32 s4, s4, s13
	s_barrier
	v_ashrrev_i32_e32 v2, 31, v1
	v_or_b32_e32 v3, 16, v1
	s_ashr_i32 s4, s4, 5
	v_cmp_gt_i32_e32 vcc_lo, s17, v1
	s_add_i32 s4, s4, -1
	v_lshrrev_b32_e32 v2, 27, v2
	buffer_gl0_inv
	s_mul_i32 s15, s15, s6
	v_add_nc_u32_e32 v4, v1, v2
	s_mul_i32 s20, s30, s7
	s_delay_alu instid0(SALU_CYCLE_1) | instskip(NEXT) | instid1(VALU_DEP_1)
	s_ashr_i32 s21, s20, 31
	v_ashrrev_i32_e32 v4, 5, v4
	v_add_nc_u32_e32 v2, v3, v2
	s_lshl_b64 s[20:21], s[20:21], 2
	s_delay_alu instid0(SALU_CYCLE_1) | instskip(NEXT) | instid1(VALU_DEP_2)
	s_add_u32 s13, s2, s20
	v_cndmask_b32_e32 v1, s4, v4, vcc_lo
	s_delay_alu instid0(VALU_DEP_2)
	v_ashrrev_i32_e32 v2, 5, v2
	v_cmp_gt_i32_e32 vcc_lo, s17, v3
	s_addc_u32 s16, s3, s21
	s_ashr_i32 s19, s15, 31
	s_add_u32 s2, s8, s15
	s_addc_u32 s3, s9, s19
	v_cndmask_b32_e32 v3, s4, v2, vcc_lo
	v_ashrrev_i32_e32 v2, 31, v1
	s_lshl_b32 s6, s14, 3
	s_delay_alu instid0(SALU_CYCLE_1) | instskip(NEXT) | instid1(VALU_DEP_2)
	s_ashr_i32 s7, s6, 31
	v_ashrrev_i32_e32 v4, 31, v3
	s_delay_alu instid0(VALU_DEP_2) | instskip(SKIP_1) | instid1(SALU_CYCLE_1)
	v_lshlrev_b64 v[1:2], 2, v[1:2]
	s_lshl_b64 s[6:7], s[6:7], 2
	s_add_u32 s6, s13, s6
	s_delay_alu instid0(VALU_DEP_2) | instskip(SKIP_1) | instid1(VALU_DEP_2)
	v_lshlrev_b64 v[3:4], 2, v[3:4]
	s_addc_u32 s7, s16, s7
	v_add_co_u32 v1, vcc_lo, s13, v1
	v_add_co_ci_u32_e32 v2, vcc_lo, s16, v2, vcc_lo
	s_delay_alu instid0(VALU_DEP_3) | instskip(NEXT) | instid1(VALU_DEP_4)
	v_add_co_u32 v3, vcc_lo, s13, v3
	v_add_co_ci_u32_e32 v4, vcc_lo, s16, v4, vcc_lo
	s_clause 0x1
	global_load_b32 v5, v[1:2], off
	global_load_b32 v6, v[3:4], off
	s_or_b32 s8, s12, 32
	s_delay_alu instid0(SALU_CYCLE_1) | instskip(SKIP_2) | instid1(SALU_CYCLE_1)
	s_ashr_i32 s9, s8, 5
	s_cmp_lt_i32 s8, s17
	s_cselect_b32 s8, s9, s4
	s_ashr_i32 s9, s8, 31
	s_delay_alu instid0(SALU_CYCLE_1) | instskip(NEXT) | instid1(SALU_CYCLE_1)
	s_lshl_b64 s[8:9], s[8:9], 2
	s_add_u32 s8, s13, s8
	s_addc_u32 s9, s16, s9
	s_or_b32 s20, s12, 64
	s_delay_alu instid0(SALU_CYCLE_1) | instskip(SKIP_2) | instid1(SALU_CYCLE_1)
	s_ashr_i32 s21, s20, 5
	s_cmp_lt_i32 s20, s17
	s_cselect_b32 s20, s21, s4
	s_ashr_i32 s21, s20, 31
	s_delay_alu instid0(SALU_CYCLE_1) | instskip(NEXT) | instid1(SALU_CYCLE_1)
	s_lshl_b64 s[20:21], s[20:21], 2
	s_add_u32 s20, s13, s20
	s_addc_u32 s21, s16, s21
	s_or_b32 s22, s12, 0x60
	s_delay_alu instid0(SALU_CYCLE_1) | instskip(SKIP_2) | instid1(SALU_CYCLE_1)
	s_ashr_i32 s23, s22, 5
	s_cmp_lt_i32 s22, s17
	s_cselect_b32 s22, s23, s4
	s_ashr_i32 s23, s22, 31
	s_delay_alu instid0(SALU_CYCLE_1) | instskip(NEXT) | instid1(SALU_CYCLE_1)
	s_lshl_b64 s[22:23], s[22:23], 2
	s_add_u32 s22, s13, s22
	s_addc_u32 s23, s16, s23
	s_or_b32 s24, s12, 0x80
	s_delay_alu instid0(SALU_CYCLE_1) | instskip(SKIP_2) | instid1(SALU_CYCLE_1)
	s_ashr_i32 s25, s24, 5
	s_cmp_lt_i32 s24, s17
	s_cselect_b32 s24, s25, s4
	s_ashr_i32 s25, s24, 31
	s_delay_alu instid0(SALU_CYCLE_1) | instskip(NEXT) | instid1(SALU_CYCLE_1)
	s_lshl_b64 s[24:25], s[24:25], 2
	s_add_u32 s24, s13, s24
	s_addc_u32 s25, s16, s25
	s_or_b32 s26, s12, 0xa0
	s_delay_alu instid0(SALU_CYCLE_1) | instskip(SKIP_2) | instid1(SALU_CYCLE_1)
	s_ashr_i32 s27, s26, 5
	s_cmp_lt_i32 s26, s17
	s_cselect_b32 s26, s27, s4
	s_ashr_i32 s27, s26, 31
	s_delay_alu instid0(SALU_CYCLE_1) | instskip(NEXT) | instid1(SALU_CYCLE_1)
	s_lshl_b64 s[26:27], s[26:27], 2
	s_add_u32 s26, s13, s26
	s_addc_u32 s27, s16, s27
	s_clause 0x5
	s_load_b32 s28, s[6:7], 0x0
	s_load_b32 s8, s[8:9], 0x0
	;; [unrolled: 1-line block ×6, first 2 shown]
	s_mov_b32 s20, 0
	s_delay_alu instid0(SALU_CYCLE_1)
	s_mov_b32 s21, s20
	s_mov_b32 s22, s20
	;; [unrolled: 1-line block ×7, first 2 shown]
	s_delay_alu instid0(SALU_CYCLE_1)
	v_dual_mov_b32 v107, s27 :: v_dual_mov_b32 v106, s26
	v_dual_mov_b32 v104, s24 :: v_dual_mov_b32 v103, s23
	;; [unrolled: 1-line block ×3, first 2 shown]
	v_mov_b32_e32 v100, s20
	s_waitcnt vmcnt(1)
	v_mad_i64_i32 v[1:2], null, v5, s5, s[2:3]
	v_lshlrev_b32_e32 v5, 4, v65
	s_waitcnt vmcnt(0)
	v_mad_i64_i32 v[3:4], null, v6, s5, s[2:3]
	s_or_b32 s2, s12, 0xc0
	s_delay_alu instid0(SALU_CYCLE_1) | instskip(NEXT) | instid1(VALU_DEP_3)
	s_ashr_i32 s3, s2, 5
	v_add_co_u32 v33, vcc_lo, v1, v5
	s_delay_alu instid0(VALU_DEP_4) | instskip(NEXT) | instid1(VALU_DEP_3)
	v_add_co_ci_u32_e32 v34, vcc_lo, 0, v2, vcc_lo
	v_add_co_u32 v35, vcc_lo, v3, v5
	s_delay_alu instid0(VALU_DEP_4)
	v_add_co_ci_u32_e32 v36, vcc_lo, 0, v4, vcc_lo
	s_clause 0xf
	global_load_b128 v[1:4], v[33:34], off
	global_load_b128 v[5:8], v[33:34], off offset:512
	global_load_b128 v[9:12], v[35:36], off offset:256
	;; [unrolled: 1-line block ×15, first 2 shown]
	s_cmp_lt_i32 s2, s17
	v_add_nc_u32_e32 v33, -10, v65
	s_cselect_b32 s2, s3, s4
	v_cmp_gt_u32_e32 vcc_lo, 10, v65
	s_ashr_i32 s3, s2, 31
	v_lshlrev_b32_e32 v34, 5, v65
	s_lshl_b64 s[2:3], s[2:3], 2
	s_delay_alu instid0(SALU_CYCLE_1)
	s_add_u32 s2, s13, s2
	s_addc_u32 s3, s16, s3
	s_or_b32 s6, s12, 0xe0
	v_cndmask_b32_e32 v33, v33, v65, vcc_lo
	s_ashr_i32 s7, s6, 5
	s_cmp_lt_i32 s6, s17
	v_mov_b32_e32 v105, s25
	s_cselect_b32 s6, s7, s4
	v_lshlrev_b32_e32 v72, 6, v33
	s_ashr_i32 s7, s6, 31
	v_lshl_or_b32 v41, v66, 9, v34
	s_lshl_b64 s[6:7], s[6:7], 2
	ds_load_b128 v[33:36], v72
	ds_load_b128 v[37:40], v72 offset:1024
	ds_load_b128 v[108:111], v72 offset:2048
	;; [unrolled: 1-line block ×3, first 2 shown]
	s_load_b32 s4, s[2:3], 0x0
	s_add_u32 s2, s13, s6
	s_addc_u32 s3, s16, s7
	ds_load_b128 v[116:119], v72 offset:4096
	ds_load_b128 v[120:123], v72 offset:5120
	s_load_b32 s2, s[2:3], 0x0
	s_add_u32 s6, s10, s15
	s_addc_u32 s7, s11, s19
	v_add_co_u32 v68, s6, s6, v41
	s_delay_alu instid0(VALU_DEP_1) | instskip(SKIP_1) | instid1(VALU_DEP_1)
	v_add_co_ci_u32_e64 v69, null, s7, 0, s6
	s_waitcnt lgkmcnt(0)
	v_mad_i64_i32 v[41:42], null, s28, s5, v[68:69]
	v_mad_i64_i32 v[70:71], null, s9, s5, v[68:69]
	;; [unrolled: 1-line block ×7, first 2 shown]
	s_clause 0x3
	global_load_b128 v[49:52], v[41:42], off
	global_load_b128 v[53:56], v[41:42], off offset:16
	global_load_b128 v[41:44], v[45:46], off
	global_load_b128 v[45:48], v[45:46], off offset:16
	s_waitcnt vmcnt(18)
	v_wmma_f32_16x16x16_bf16 v[124:131], v[1:8], v[33:40], v[100:107]
	s_waitcnt vmcnt(16)
	v_wmma_f32_16x16x16_bf16 v[100:107], v[9:16], v[33:40], v[100:107]
	s_clause 0x1
	global_load_b128 v[33:36], v[70:71], off
	global_load_b128 v[37:40], v[70:71], off offset:16
	v_mad_i64_i32 v[70:71], null, s2, s5, v[68:69]
	s_waitcnt vmcnt(16)
	v_wmma_f32_16x16x16_bf16 v[124:131], v[17:24], v[108:115], v[124:131]
	s_waitcnt vmcnt(14)
	v_wmma_f32_16x16x16_bf16 v[100:107], v[25:32], v[108:115], v[100:107]
	s_clause 0x7
	global_load_b128 v[25:28], v[132:133], off
	global_load_b128 v[29:32], v[132:133], off offset:16
	global_load_b128 v[1:4], v[134:135], off
	global_load_b128 v[5:8], v[134:135], off offset:16
	;; [unrolled: 2-line block ×4, first 2 shown]
	s_waitcnt vmcnt(20)
	v_wmma_f32_16x16x16_bf16 v[124:131], v[57:64], v[116:123], v[124:131]
	s_clause 0x1
	global_load_b128 v[57:60], v[70:71], off
	global_load_b128 v[61:64], v[70:71], off offset:16
	s_waitcnt vmcnt(20)
	v_wmma_f32_16x16x16_bf16 v[100:107], v[76:83], v[116:123], v[100:107]
	ds_load_b128 v[76:79], v72 offset:6144
	ds_load_b128 v[80:83], v72 offset:7168
	v_and_b32_e32 v68, 0xe0, v0
	v_mbcnt_lo_u32_b32 v69, -1, 0
	s_waitcnt vmcnt(0) lgkmcnt(0)
	s_barrier
	buffer_gl0_inv
	v_add_nc_u32_e32 v68, s12, v68
	v_xor_b32_e32 v70, 16, v69
	s_delay_alu instid0(VALU_DEP_2) | instskip(NEXT) | instid1(VALU_DEP_2)
	v_or_b32_e32 v68, v68, v74
	v_cmp_gt_i32_e32 vcc_lo, 32, v70
	s_delay_alu instid0(VALU_DEP_2)
	v_or_b32_e32 v71, 4, v68
	v_or_b32_e32 v72, 6, v68
	v_cmp_gt_i32_e64 s2, s17, v68
	v_or_b32_e32 v108, 8, v68
	v_wmma_f32_16x16x16_bf16 v[124:131], v[84:91], v[76:83], v[124:131]
	v_cndmask_b32_e32 v69, v69, v70, vcc_lo
	v_or_b32_e32 v70, 2, v68
	v_wmma_f32_16x16x16_bf16 v[100:107], v[92:99], v[76:83], v[100:107]
	v_or_b32_e32 v109, 10, v68
	v_dual_mul_f32 v80, s18, v129 :: v_dual_mul_f32 v81, s18, v128
	v_dual_mul_f32 v92, s18, v125 :: v_dual_mul_f32 v93, s18, v124
	s_delay_alu instid0(VALU_DEP_4)
	v_mul_f32_e32 v96, s18, v105
	v_cmp_gt_i32_e32 vcc_lo, s17, v70
	v_or_b32_e32 v89, 22, v68
	v_dual_mul_f32 v79, s18, v130 :: v_dual_mul_f32 v82, s18, v127
	v_dual_mul_f32 v83, s18, v126 :: v_dual_mul_f32 v94, s18, v107
	v_cndmask_b32_e64 v93, 0xff7fffff, v93, s2
	v_cndmask_b32_e32 v92, 0xff7fffff, v92, vcc_lo
	v_cmp_gt_i32_e64 s3, s17, v71
	v_cmp_gt_i32_e64 s4, s17, v72
	v_or_b32_e32 v84, 12, v68
	v_or_b32_e32 v85, 14, v68
	v_cmp_gt_i32_e64 s5, s17, v108
	v_cndmask_b32_e64 v71, 0xff7fffff, v83, s3
	v_cndmask_b32_e64 v72, 0xff7fffff, v82, s4
	v_cmp_gt_i32_e64 s6, s17, v109
	v_cmp_gt_i32_e64 s12, s17, v89
	v_lshlrev_b32_e32 v89, 2, v69
	v_max3_f32 v82, v93, 0xff7fffff, v92
	v_or_b32_e32 v86, 16, v68
	v_or_b32_e32 v87, 18, v68
	v_mul_f32_e32 v78, s18, v131
	v_cndmask_b32_e64 v81, 0xff7fffff, v81, s5
	v_cndmask_b32_e64 v80, 0xff7fffff, v80, s6
	v_max3_f32 v71, v82, v71, v72
	v_cmp_gt_i32_e64 s7, s17, v84
	v_cmp_gt_i32_e64 s8, s17, v85
	v_or_b32_e32 v88, 20, v68
	v_or_b32_e32 v90, 24, v68
	;; [unrolled: 1-line block ×5, first 2 shown]
	v_dual_mul_f32 v97, s18, v104 :: v_dual_mul_f32 v70, s18, v101
	v_dual_mul_f32 v99, s18, v102 :: v_dual_mul_f32 v68, s18, v100
	v_cndmask_b32_e64 v72, 0xff7fffff, v79, s7
	v_cndmask_b32_e64 v78, 0xff7fffff, v78, s8
	v_max3_f32 v71, v71, v81, v80
	v_cmp_gt_i32_e64 s9, s17, v86
	v_cmp_gt_i32_e64 s10, s17, v87
	v_dual_mul_f32 v95, s18, v106 :: v_dual_mul_f32 v98, s18, v103
	s_delay_alu instid0(VALU_DEP_4) | instskip(NEXT) | instid1(VALU_DEP_4)
	v_max3_f32 v71, v71, v72, v78
	v_cndmask_b32_e64 v68, 0xff7fffff, v68, s9
	s_delay_alu instid0(VALU_DEP_4)
	v_cndmask_b32_e64 v70, 0xff7fffff, v70, s10
	v_cmp_gt_i32_e64 s11, s17, v88
	v_cndmask_b32_e64 v78, 0xff7fffff, v98, s12
	v_cmp_gt_i32_e64 s13, s17, v90
	v_cmp_gt_i32_e64 s15, s17, v91
	v_max3_f32 v68, v71, v68, v70
	v_cndmask_b32_e64 v72, 0xff7fffff, v99, s11
	v_cmp_gt_i32_e64 s16, s17, v76
	v_cndmask_b32_e64 v70, 0xff7fffff, v97, s13
	v_cndmask_b32_e64 v71, 0xff7fffff, v96, s15
	v_cmp_gt_i32_e64 s17, s17, v77
	v_max3_f32 v68, v68, v72, v78
	v_cndmask_b32_e64 v72, 0xff7fffff, v95, s16
	s_delay_alu instid0(VALU_DEP_3) | instskip(NEXT) | instid1(VALU_DEP_3)
	v_cndmask_b32_e64 v76, 0xff7fffff, v94, s17
	v_max3_f32 v68, v68, v70, v71
	s_delay_alu instid0(VALU_DEP_1) | instskip(SKIP_3) | instid1(VALU_DEP_1)
	v_max3_f32 v68, v68, v72, v76
	ds_bpermute_b32 v69, v89, v68
	s_waitcnt lgkmcnt(0)
	v_max_f32_e32 v69, v69, v69
	v_max_f32_e32 v68, v68, v69
	s_delay_alu instid0(VALU_DEP_1) | instskip(NEXT) | instid1(VALU_DEP_1)
	v_fma_f32 v71, s18, v126, -v68
	v_mul_f32_e32 v71, 0x3fb8aa3b, v71
	v_fma_f32 v70, s18, v125, -v68
	v_fma_f32 v69, s18, v124, -v68
	;; [unrolled: 1-line block ×5, first 2 shown]
	s_delay_alu instid0(VALU_DEP_4) | instskip(SKIP_1) | instid1(VALU_DEP_3)
	v_dual_mul_f32 v70, 0x3fb8aa3b, v70 :: v_dual_mul_f32 v69, 0x3fb8aa3b, v69
	v_exp_f32_e32 v71, v71
	v_mul_f32_e32 v72, 0x3fb8aa3b, v72
	v_fma_f32 v81, s18, v105, -v68
	s_delay_alu instid0(VALU_DEP_3)
	v_exp_f32_e32 v70, v70
	v_mul_f32_e32 v77, 0x3fb8aa3b, v76
	v_exp_f32_e32 v69, v69
	v_exp_f32_e32 v72, v72
	v_mul_f32_e32 v81, 0x3fb8aa3b, v81
	v_cndmask_b32_e64 v83, 0, v71, s3
	v_fma_f32 v71, s18, v131, -v68
	s_delay_alu instid0(VALU_DEP_3) | instskip(SKIP_4) | instid1(TRANS32_DEP_3)
	v_exp_f32_e32 v81, v81
	v_cndmask_b32_e32 v76, 0, v70, vcc_lo
	v_exp_f32_e32 v77, v77
	v_cndmask_b32_e64 v80, 0, v69, s2
	v_fma_f32 v69, s18, v129, -v68
	v_cndmask_b32_e64 v85, 0, v72, s4
	v_mul_f32_e32 v71, 0x3fb8aa3b, v71
	v_fma_f32 v72, s18, v100, -v68
	s_delay_alu instid0(VALU_DEP_4) | instskip(SKIP_1) | instid1(VALU_DEP_3)
	v_dual_add_f32 v70, 0, v80 :: v_dual_mul_f32 v69, 0x3fb8aa3b, v69
	s_mov_b32 s2, exec_lo
	v_exp_f32_e32 v71, v71
	s_delay_alu instid0(TRANS32_DEP_2) | instskip(SKIP_4) | instid1(VALU_DEP_3)
	v_cndmask_b32_e64 v86, 0, v77, s5
	v_fma_f32 v77, s18, v101, -v68
	v_mul_f32_e32 v78, 0x3fb8aa3b, v78
	v_add_f32_e32 v70, v70, v76
	v_exp_f32_e32 v69, v69
	v_mul_f32_e32 v77, 0x3fb8aa3b, v77
	s_delay_alu instid0(VALU_DEP_3) | instskip(NEXT) | instid1(TRANS32_DEP_3)
	v_exp_f32_e32 v78, v78
	v_cndmask_b32_e64 v88, 0, v71, s8
	v_fma_f32 v71, s18, v104, -v68
	s_delay_alu instid0(VALU_DEP_3) | instskip(NEXT) | instid1(TRANS32_DEP_3)
	v_exp_f32_e32 v77, v77
	v_cndmask_b32_e64 v87, 0, v69, s6
	s_delay_alu instid0(VALU_DEP_2)
	v_mul_f32_e32 v71, 0x3fb8aa3b, v71
	s_waitcnt_depctr 0xfff
	v_cndmask_b32_e64 v84, 0, v78, s7
	v_add_f32_e32 v70, v70, v83
	v_fma_f32 v78, s18, v103, -v68
	v_exp_f32_e32 v82, v71
	s_delay_alu instid0(VALU_DEP_2) | instskip(SKIP_1) | instid1(VALU_DEP_3)
	v_add_f32_e32 v70, v70, v85
	v_mul_f32_e32 v72, 0x3fb8aa3b, v72
	v_mul_f32_e32 v78, 0x3fb8aa3b, v78
	s_delay_alu instid0(VALU_DEP_3) | instskip(SKIP_1) | instid1(VALU_DEP_4)
	v_add_f32_e32 v69, v70, v86
	v_fma_f32 v70, s18, v102, -v68
	v_exp_f32_e32 v72, v72
	s_delay_alu instid0(VALU_DEP_3) | instskip(NEXT) | instid1(VALU_DEP_1)
	v_exp_f32_e32 v78, v78
	v_dual_add_f32 v69, v69, v87 :: v_dual_mul_f32 v70, 0x3fb8aa3b, v70
	s_delay_alu instid0(VALU_DEP_1) | instskip(NEXT) | instid1(VALU_DEP_2)
	v_add_f32_e32 v69, v69, v84
	v_exp_f32_e32 v79, v70
	s_delay_alu instid0(TRANS32_DEP_3) | instskip(NEXT) | instid1(VALU_DEP_2)
	v_cndmask_b32_e64 v70, 0, v72, s9
	v_add_f32_e32 v72, v69, v88
	v_cndmask_b32_e64 v69, 0, v77, s10
	v_fma_f32 v77, s18, v106, -v68
	s_waitcnt_depctr 0xfff
	v_cndmask_b32_e64 v71, 0, v79, s11
	v_dual_mul_f32 v77, 0x3fb8aa3b, v77 :: v_dual_add_f32 v72, v72, v70
	s_delay_alu instid0(VALU_DEP_1) | instskip(NEXT) | instid1(VALU_DEP_1)
	v_exp_f32_e32 v90, v77
	v_add_f32_e32 v79, v72, v69
	v_cndmask_b32_e64 v72, 0, v78, s12
	v_cndmask_b32_e64 v77, 0, v82, s13
	s_delay_alu instid0(VALU_DEP_3) | instskip(SKIP_1) | instid1(VALU_DEP_1)
	v_add_f32_e32 v78, v79, v71
	v_fma_f32 v79, s18, v107, -v68
	v_dual_add_f32 v82, v78, v72 :: v_dual_mul_f32 v79, 0x3fb8aa3b, v79
	v_cndmask_b32_e64 v78, 0, v81, s15
	s_delay_alu instid0(VALU_DEP_2) | instskip(NEXT) | instid1(VALU_DEP_3)
	v_add_f32_e32 v81, v82, v77
	v_exp_f32_e32 v82, v79
	v_cndmask_b32_e64 v79, 0, v90, s16
	s_delay_alu instid0(VALU_DEP_2) | instskip(NEXT) | instid1(VALU_DEP_1)
	v_add_f32_e32 v81, v81, v78
	v_add_f32_e32 v90, v81, v79
	s_waitcnt_depctr 0xfff
	v_cndmask_b32_e64 v81, 0, v82, s17
	s_delay_alu instid0(VALU_DEP_1)
	v_add_f32_e32 v82, v90, v81
	ds_bpermute_b32 v89, v89, v82
	v_cmpx_gt_u32_e32 16, v67
	s_cbranch_execz .LBB1895_12
; %bb.11:
	v_mul_u32_u24_e32 v67, 0x44, v66
	s_delay_alu instid0(VALU_DEP_1) | instskip(SKIP_1) | instid1(VALU_DEP_1)
	v_lshl_add_u32 v67, v65, 2, v67
	s_waitcnt lgkmcnt(0)
	v_dual_add_f32 v82, v82, v89 :: v_dual_add_nc_u32 v67, 0x4000, v67
	ds_store_2addr_b32 v67, v68, v82 offset1:136
.LBB1895_12:
	s_or_b32 exec_lo, exec_lo, s2
	v_lshlrev_b32_e32 v67, 2, v65
	s_waitcnt lgkmcnt(0)
	s_barrier
	buffer_gl0_inv
	v_cmp_eq_u32_e32 vcc_lo, 1, v66
	v_add_nc_u32_e32 v82, 0x4000, v67
	v_cmp_eq_u32_e64 s2, 2, v66
	v_cmp_eq_u32_e64 s4, 7, v66
	ds_load_2addr_b32 v[89:90], v82 offset1:17
	ds_load_2addr_b32 v[91:92], v82 offset0:34 offset1:51
	ds_load_2addr_b32 v[93:94], v82 offset0:68 offset1:85
	;; [unrolled: 1-line block ×4, first 2 shown]
	s_waitcnt lgkmcnt(4)
	v_max3_f32 v67, v89, 0xff7fffff, v90
	s_waitcnt lgkmcnt(3)
	s_delay_alu instid0(VALU_DEP_1) | instskip(SKIP_1) | instid1(VALU_DEP_1)
	v_max3_f32 v67, v67, v91, v92
	s_waitcnt lgkmcnt(2)
	v_max3_f32 v67, v67, v93, v94
	s_waitcnt lgkmcnt(1)
	s_delay_alu instid0(VALU_DEP_1) | instskip(NEXT) | instid1(VALU_DEP_1)
	v_max3_f32 v67, v67, v95, v96
	v_sub_f32_e32 v93, v93, v67
	s_delay_alu instid0(VALU_DEP_1) | instskip(NEXT) | instid1(VALU_DEP_1)
	v_dual_sub_f32 v68, v89, v67 :: v_dual_mul_f32 v103, 0x3fb8aa3b, v93
	v_mul_f32_e32 v68, 0x3fb8aa3b, v68
	s_delay_alu instid0(VALU_DEP_1)
	v_exp_f32_e32 v100, v68
	v_sub_f32_e32 v68, v92, v67
	v_sub_f32_e32 v99, v90, v67
	ds_load_2addr_b32 v[89:90], v82 offset0:170 offset1:187
	v_dual_mul_f32 v102, 0x3fb8aa3b, v68 :: v_dual_mul_f32 v99, 0x3fb8aa3b, v99
	s_waitcnt lgkmcnt(1)
	v_fma_f32 v68, v100, v97, 0
	s_delay_alu instid0(VALU_DEP_2) | instskip(NEXT) | instid1(VALU_DEP_2)
	v_exp_f32_e32 v102, v102
	v_exp_f32_e32 v99, v99
	s_waitcnt_depctr 0xfff
	v_fmac_f32_e32 v68, v99, v98
	v_sub_f32_e32 v91, v91, v67
	s_delay_alu instid0(VALU_DEP_1)
	v_mul_f32_e32 v101, 0x3fb8aa3b, v91
	ds_load_2addr_b32 v[91:92], v82 offset0:204 offset1:221
	v_sub_f32_e32 v97, v94, v67
	ds_load_2addr_b32 v[93:94], v82 offset0:238 offset1:255
	s_waitcnt lgkmcnt(0)
	v_exp_f32_e32 v101, v101
	s_barrier
	buffer_gl0_inv
	v_dual_fmac_f32 v68, v101, v89 :: v_dual_sub_f32 v89, v96, v67
	v_dual_sub_f32 v82, v95, v67 :: v_dual_mul_f32 v95, 0x3fb8aa3b, v97
	v_exp_f32_e32 v97, v103
	s_delay_alu instid0(VALU_DEP_2) | instskip(NEXT) | instid1(VALU_DEP_2)
	v_dual_fmac_f32 v68, v102, v90 :: v_dual_mul_f32 v89, 0x3fb8aa3b, v89
	v_mul_f32_e32 v82, 0x3fb8aa3b, v82
	s_delay_alu instid0(VALU_DEP_3) | instskip(NEXT) | instid1(VALU_DEP_2)
	v_exp_f32_e32 v95, v95
	v_exp_f32_e32 v89, v89
	s_delay_alu instid0(VALU_DEP_1)
	v_exp_f32_e32 v82, v82
	v_fmac_f32_e32 v68, v97, v91
	s_delay_alu instid0(TRANS32_DEP_3) | instid1(VALU_DEP_1)
	v_fmac_f32_e32 v68, v95, v92
	s_waitcnt_depctr 0xfff
	v_fmac_f32_e32 v68, v82, v93
	s_delay_alu instid0(VALU_DEP_1) | instskip(NEXT) | instid1(VALU_DEP_1)
	v_fmac_f32_e32 v68, v89, v94
	v_add_f32_e32 v90, 0x358637bd, v68
	s_delay_alu instid0(VALU_DEP_1) | instskip(NEXT) | instid1(VALU_DEP_1)
	v_div_scale_f32 v91, null, v90, v90, 1.0
	v_rcp_f32_e32 v92, v91
	s_waitcnt_depctr 0xfff
	v_fma_f32 v93, -v91, v92, 1.0
	s_delay_alu instid0(VALU_DEP_1) | instskip(SKIP_1) | instid1(VALU_DEP_2)
	v_dual_fmac_f32 v92, v93, v92 :: v_dual_cndmask_b32 v93, v100, v99
	v_cmp_eq_u32_e32 vcc_lo, 3, v66
	v_cndmask_b32_e64 v93, v93, v101, s2
	v_cmp_eq_u32_e64 s2, 4, v66
	s_delay_alu instid0(VALU_DEP_2) | instskip(SKIP_1) | instid1(VALU_DEP_2)
	v_cndmask_b32_e32 v93, v93, v102, vcc_lo
	v_cmp_eq_u32_e32 vcc_lo, 5, v66
	v_cndmask_b32_e64 v93, v93, v97, s2
	v_cmp_eq_u32_e64 s2, 6, v66
	s_delay_alu instid0(VALU_DEP_2) | instskip(SKIP_1) | instid1(VALU_DEP_1)
	v_cndmask_b32_e32 v93, v93, v95, vcc_lo
	v_div_scale_f32 v94, s3, 1.0, v90, 1.0
	s_mov_b32 vcc_lo, s3
	s_delay_alu instid0(VALU_DEP_2) | instskip(NEXT) | instid1(VALU_DEP_2)
	v_cndmask_b32_e64 v82, v93, v82, s2
	v_mul_f32_e32 v96, v94, v92
	s_mov_b32 s2, exec_lo
	s_delay_alu instid0(VALU_DEP_2) | instskip(NEXT) | instid1(VALU_DEP_2)
	v_cndmask_b32_e64 v82, v82, v89, s4
	v_fma_f32 v98, -v91, v96, v94
	s_delay_alu instid0(VALU_DEP_1) | instskip(NEXT) | instid1(VALU_DEP_1)
	v_fmac_f32_e32 v96, v98, v92
	v_fma_f32 v91, -v91, v96, v94
	s_delay_alu instid0(VALU_DEP_1) | instskip(NEXT) | instid1(VALU_DEP_1)
	v_div_fmas_f32 v91, v91, v92, v96
	v_div_fixup_f32 v90, v91, v90, 1.0
	s_delay_alu instid0(VALU_DEP_1) | instskip(NEXT) | instid1(VALU_DEP_1)
	v_mul_f32_e32 v82, v82, v90
	v_mul_f32_e32 v87, v82, v87
	;; [unrolled: 1-line block ×7, first 2 shown]
	v_dual_mul_f32 v86, v82, v83 :: v_dual_and_b32 v91, 0x7f800000, v90
	v_mul_f32_e32 v85, v82, v76
                                        ; implicit-def: $vgpr76
	s_delay_alu instid0(VALU_DEP_2)
	v_cmpx_ne_u32_e32 0x7f800000, v91
	s_xor_b32 s2, exec_lo, s2
; %bb.13:
	v_bfe_u32 v76, v90, 16, 1
	s_delay_alu instid0(VALU_DEP_1)
	v_add3_u32 v76, v90, v76, 0x7fff
                                        ; implicit-def: $vgpr90
; %bb.14:
	s_and_not1_saveexec_b32 s2, s2
; %bb.15:
	v_and_b32_e32 v76, 0xffff, v90
	v_or_b32_e32 v83, 0x10000, v90
	s_delay_alu instid0(VALU_DEP_2) | instskip(NEXT) | instid1(VALU_DEP_2)
	v_cmp_eq_u32_e32 vcc_lo, 0, v76
	v_cndmask_b32_e32 v76, v83, v90, vcc_lo
; %bb.16:
	s_or_b32 exec_lo, exec_lo, s2
	v_and_b32_e32 v83, 0x7f800000, v85
	s_delay_alu instid0(VALU_DEP_1) | instskip(SKIP_1) | instid1(SALU_CYCLE_1)
	v_cmp_ne_u32_e32 vcc_lo, 0x7f800000, v83
                                        ; implicit-def: $vgpr83
	s_and_saveexec_b32 s2, vcc_lo
	s_xor_b32 s2, exec_lo, s2
; %bb.17:
	v_bfe_u32 v83, v85, 16, 1
	s_delay_alu instid0(VALU_DEP_1)
	v_add3_u32 v83, v85, v83, 0x7fff
                                        ; implicit-def: $vgpr85
; %bb.18:
	s_and_not1_saveexec_b32 s2, s2
; %bb.19:
	v_and_b32_e32 v83, 0xffff, v85
	v_or_b32_e32 v90, 0x10000, v85
	s_delay_alu instid0(VALU_DEP_2) | instskip(NEXT) | instid1(VALU_DEP_2)
	v_cmp_eq_u32_e32 vcc_lo, 0, v83
	v_cndmask_b32_e32 v83, v90, v85, vcc_lo
; %bb.20:
	s_or_b32 exec_lo, exec_lo, s2
	v_and_b32_e32 v85, 0x7f800000, v86
	s_delay_alu instid0(VALU_DEP_1) | instskip(SKIP_1) | instid1(SALU_CYCLE_1)
	v_cmp_ne_u32_e32 vcc_lo, 0x7f800000, v85
                                        ; implicit-def: $vgpr85
	s_and_saveexec_b32 s2, vcc_lo
	s_xor_b32 s2, exec_lo, s2
; %bb.21:
	v_bfe_u32 v85, v86, 16, 1
	s_delay_alu instid0(VALU_DEP_1)
	v_add3_u32 v85, v86, v85, 0x7fff
                                        ; implicit-def: $vgpr86
; %bb.22:
	s_and_not1_saveexec_b32 s2, s2
; %bb.23:
	v_and_b32_e32 v85, 0xffff, v86
	v_or_b32_e32 v90, 0x10000, v86
	s_delay_alu instid0(VALU_DEP_2) | instskip(NEXT) | instid1(VALU_DEP_2)
	v_cmp_eq_u32_e32 vcc_lo, 0, v85
	v_cndmask_b32_e32 v85, v90, v86, vcc_lo
; %bb.24:
	s_or_b32 exec_lo, exec_lo, s2
	v_and_b32_e32 v86, 0x7f800000, v89
	s_delay_alu instid0(VALU_DEP_1) | instskip(SKIP_1) | instid1(SALU_CYCLE_1)
	v_cmp_ne_u32_e32 vcc_lo, 0x7f800000, v86
                                        ; implicit-def: $vgpr86
	s_and_saveexec_b32 s2, vcc_lo
	s_xor_b32 s2, exec_lo, s2
; %bb.25:
	v_bfe_u32 v86, v89, 16, 1
	s_delay_alu instid0(VALU_DEP_1)
	v_add3_u32 v86, v89, v86, 0x7fff
                                        ; implicit-def: $vgpr89
; %bb.26:
	s_and_not1_saveexec_b32 s2, s2
; %bb.27:
	v_and_b32_e32 v86, 0xffff, v89
	v_or_b32_e32 v90, 0x10000, v89
	s_delay_alu instid0(VALU_DEP_2) | instskip(NEXT) | instid1(VALU_DEP_2)
	v_cmp_eq_u32_e32 vcc_lo, 0, v86
	v_cndmask_b32_e32 v86, v90, v89, vcc_lo
; %bb.28:
	s_or_b32 exec_lo, exec_lo, s2
	v_and_b32_e32 v89, 0x7f800000, v88
	s_delay_alu instid0(VALU_DEP_1) | instskip(SKIP_1) | instid1(SALU_CYCLE_1)
	v_cmp_ne_u32_e32 vcc_lo, 0x7f800000, v89
                                        ; implicit-def: $vgpr89
	s_and_saveexec_b32 s2, vcc_lo
	s_xor_b32 s2, exec_lo, s2
; %bb.29:
	v_bfe_u32 v89, v88, 16, 1
	s_delay_alu instid0(VALU_DEP_1)
	v_add3_u32 v89, v88, v89, 0x7fff
                                        ; implicit-def: $vgpr88
; %bb.30:
	s_and_not1_saveexec_b32 s2, s2
; %bb.31:
	v_and_b32_e32 v89, 0xffff, v88
	v_or_b32_e32 v90, 0x10000, v88
	s_delay_alu instid0(VALU_DEP_2) | instskip(NEXT) | instid1(VALU_DEP_2)
	v_cmp_eq_u32_e32 vcc_lo, 0, v89
	v_cndmask_b32_e32 v89, v90, v88, vcc_lo
; %bb.32:
	s_or_b32 exec_lo, exec_lo, s2
	v_and_b32_e32 v88, 0x7f800000, v87
	s_delay_alu instid0(VALU_DEP_1) | instskip(SKIP_1) | instid1(SALU_CYCLE_1)
	v_cmp_ne_u32_e32 vcc_lo, 0x7f800000, v88
                                        ; implicit-def: $vgpr88
	s_and_saveexec_b32 s2, vcc_lo
	s_xor_b32 s2, exec_lo, s2
; %bb.33:
	v_bfe_u32 v88, v87, 16, 1
	s_delay_alu instid0(VALU_DEP_1)
	v_add3_u32 v88, v87, v88, 0x7fff
                                        ; implicit-def: $vgpr87
; %bb.34:
	s_and_not1_saveexec_b32 s2, s2
; %bb.35:
	v_and_b32_e32 v88, 0xffff, v87
	v_or_b32_e32 v90, 0x10000, v87
	s_delay_alu instid0(VALU_DEP_2) | instskip(NEXT) | instid1(VALU_DEP_2)
	v_cmp_eq_u32_e32 vcc_lo, 0, v88
	v_cndmask_b32_e32 v88, v90, v87, vcc_lo
; %bb.36:
	s_or_b32 exec_lo, exec_lo, s2
	v_and_b32_e32 v87, 0x7f800000, v84
	s_delay_alu instid0(VALU_DEP_1) | instskip(SKIP_1) | instid1(SALU_CYCLE_1)
	v_cmp_ne_u32_e32 vcc_lo, 0x7f800000, v87
                                        ; implicit-def: $vgpr87
	s_and_saveexec_b32 s2, vcc_lo
	s_xor_b32 s2, exec_lo, s2
; %bb.37:
	v_bfe_u32 v87, v84, 16, 1
	s_delay_alu instid0(VALU_DEP_1)
	v_add3_u32 v87, v84, v87, 0x7fff
                                        ; implicit-def: $vgpr84
; %bb.38:
	s_and_not1_saveexec_b32 s2, s2
; %bb.39:
	v_and_b32_e32 v87, 0xffff, v84
	v_or_b32_e32 v90, 0x10000, v84
	s_delay_alu instid0(VALU_DEP_2) | instskip(NEXT) | instid1(VALU_DEP_2)
	v_cmp_eq_u32_e32 vcc_lo, 0, v87
	v_cndmask_b32_e32 v87, v90, v84, vcc_lo
; %bb.40:
	s_or_b32 exec_lo, exec_lo, s2
	v_and_b32_e32 v84, 0x7f800000, v80
	s_delay_alu instid0(VALU_DEP_1) | instskip(SKIP_1) | instid1(SALU_CYCLE_1)
	v_cmp_ne_u32_e32 vcc_lo, 0x7f800000, v84
                                        ; implicit-def: $vgpr84
	s_and_saveexec_b32 s2, vcc_lo
	s_xor_b32 s2, exec_lo, s2
; %bb.41:
	v_bfe_u32 v84, v80, 16, 1
	s_delay_alu instid0(VALU_DEP_1)
	v_add3_u32 v84, v80, v84, 0x7fff
                                        ; implicit-def: $vgpr80
; %bb.42:
	s_and_not1_saveexec_b32 s2, s2
; %bb.43:
	v_and_b32_e32 v84, 0xffff, v80
	v_or_b32_e32 v90, 0x10000, v80
	s_delay_alu instid0(VALU_DEP_2) | instskip(NEXT) | instid1(VALU_DEP_2)
	v_cmp_eq_u32_e32 vcc_lo, 0, v84
	v_cndmask_b32_e32 v84, v90, v80, vcc_lo
; %bb.44:
	s_or_b32 exec_lo, exec_lo, s2
	s_load_b64 s[34:35], s[0:1], 0x94
	v_lshlrev_b32_e32 v91, 4, v74
	s_delay_alu instid0(VALU_DEP_2)
	v_perm_b32 v90, v84, v87, 0x7060302
	v_dual_mul_f32 v79, v82, v79 :: v_dual_lshlrev_b32 v80, 6, v65
	v_dual_mul_f32 v77, v82, v77 :: v_dual_lshlrev_b32 v92, 11, v66
	v_mul_f32_e32 v84, v82, v70
	v_perm_b32 v89, v88, v89, 0x7060302
	v_perm_b32 v88, v86, v85, 0x7060302
	v_perm_b32 v87, v83, v76, 0x7060302
	v_mul_f32_e32 v70, v82, v81
	v_or3_b32 v76, v91, v92, v80
	v_dual_mul_f32 v78, v82, v78 :: v_dual_and_b32 v85, 0x7f800000, v84
	v_mul_f32_e32 v83, v82, v72
	v_mul_f32_e32 v81, v82, v71
	;; [unrolled: 1-line block ×3, first 2 shown]
	s_mov_b32 s2, exec_lo
	ds_store_b128 v76, v[87:90]
                                        ; implicit-def: $vgpr69
	v_cmpx_ne_u32_e32 0x7f800000, v85
	s_xor_b32 s2, exec_lo, s2
; %bb.45:
	v_bfe_u32 v69, v84, 16, 1
	s_delay_alu instid0(VALU_DEP_1)
	v_add3_u32 v69, v84, v69, 0x7fff
                                        ; implicit-def: $vgpr84
; %bb.46:
	s_and_not1_saveexec_b32 s2, s2
; %bb.47:
	v_and_b32_e32 v69, 0xffff, v84
	v_or_b32_e32 v71, 0x10000, v84
	s_delay_alu instid0(VALU_DEP_2) | instskip(NEXT) | instid1(VALU_DEP_2)
	v_cmp_eq_u32_e32 vcc_lo, 0, v69
	v_cndmask_b32_e32 v69, v71, v84, vcc_lo
; %bb.48:
	s_or_b32 exec_lo, exec_lo, s2
	v_and_b32_e32 v71, 0x7f800000, v72
	s_delay_alu instid0(VALU_DEP_1) | instskip(SKIP_1) | instid1(SALU_CYCLE_1)
	v_cmp_ne_u32_e32 vcc_lo, 0x7f800000, v71
                                        ; implicit-def: $vgpr71
	s_and_saveexec_b32 s2, vcc_lo
	s_xor_b32 s2, exec_lo, s2
; %bb.49:
	v_bfe_u32 v71, v72, 16, 1
	s_delay_alu instid0(VALU_DEP_1)
	v_add3_u32 v71, v72, v71, 0x7fff
                                        ; implicit-def: $vgpr72
; %bb.50:
	s_and_not1_saveexec_b32 s2, s2
; %bb.51:
	v_and_b32_e32 v71, 0xffff, v72
	v_or_b32_e32 v82, 0x10000, v72
	s_delay_alu instid0(VALU_DEP_2) | instskip(NEXT) | instid1(VALU_DEP_2)
	v_cmp_eq_u32_e32 vcc_lo, 0, v71
	v_cndmask_b32_e32 v71, v82, v72, vcc_lo
; %bb.52:
	s_or_b32 exec_lo, exec_lo, s2
	v_and_b32_e32 v72, 0x7f800000, v81
	s_delay_alu instid0(VALU_DEP_1) | instskip(SKIP_1) | instid1(SALU_CYCLE_1)
	v_cmp_ne_u32_e32 vcc_lo, 0x7f800000, v72
                                        ; implicit-def: $vgpr72
	s_and_saveexec_b32 s2, vcc_lo
	s_xor_b32 s2, exec_lo, s2
; %bb.53:
	v_bfe_u32 v72, v81, 16, 1
	s_delay_alu instid0(VALU_DEP_1)
	v_add3_u32 v72, v81, v72, 0x7fff
                                        ; implicit-def: $vgpr81
; %bb.54:
	s_and_not1_saveexec_b32 s2, s2
; %bb.55:
	v_and_b32_e32 v72, 0xffff, v81
	v_or_b32_e32 v82, 0x10000, v81
	s_delay_alu instid0(VALU_DEP_2) | instskip(NEXT) | instid1(VALU_DEP_2)
	v_cmp_eq_u32_e32 vcc_lo, 0, v72
	v_cndmask_b32_e32 v72, v82, v81, vcc_lo
; %bb.56:
	s_or_b32 exec_lo, exec_lo, s2
	v_and_b32_e32 v81, 0x7f800000, v83
	s_delay_alu instid0(VALU_DEP_1) | instskip(SKIP_1) | instid1(SALU_CYCLE_1)
	v_cmp_ne_u32_e32 vcc_lo, 0x7f800000, v81
                                        ; implicit-def: $vgpr81
	s_and_saveexec_b32 s2, vcc_lo
	s_xor_b32 s2, exec_lo, s2
; %bb.57:
	v_bfe_u32 v81, v83, 16, 1
	s_delay_alu instid0(VALU_DEP_1)
	v_add3_u32 v81, v83, v81, 0x7fff
                                        ; implicit-def: $vgpr83
; %bb.58:
	s_and_not1_saveexec_b32 s2, s2
; %bb.59:
	v_and_b32_e32 v81, 0xffff, v83
	v_or_b32_e32 v82, 0x10000, v83
	s_delay_alu instid0(VALU_DEP_2) | instskip(NEXT) | instid1(VALU_DEP_2)
	v_cmp_eq_u32_e32 vcc_lo, 0, v81
	v_cndmask_b32_e32 v81, v82, v83, vcc_lo
; %bb.60:
	s_or_b32 exec_lo, exec_lo, s2
	v_and_b32_e32 v82, 0x7f800000, v77
	s_delay_alu instid0(VALU_DEP_1) | instskip(SKIP_1) | instid1(SALU_CYCLE_1)
	v_cmp_ne_u32_e32 vcc_lo, 0x7f800000, v82
                                        ; implicit-def: $vgpr82
	s_and_saveexec_b32 s2, vcc_lo
	s_xor_b32 s2, exec_lo, s2
; %bb.61:
	v_bfe_u32 v82, v77, 16, 1
	s_delay_alu instid0(VALU_DEP_1)
	v_add3_u32 v82, v77, v82, 0x7fff
                                        ; implicit-def: $vgpr77
; %bb.62:
	s_and_not1_saveexec_b32 s2, s2
; %bb.63:
	v_and_b32_e32 v82, 0xffff, v77
	v_or_b32_e32 v83, 0x10000, v77
	s_delay_alu instid0(VALU_DEP_2) | instskip(NEXT) | instid1(VALU_DEP_2)
	v_cmp_eq_u32_e32 vcc_lo, 0, v82
	v_cndmask_b32_e32 v82, v83, v77, vcc_lo
; %bb.64:
	s_or_b32 exec_lo, exec_lo, s2
	v_and_b32_e32 v77, 0x7f800000, v78
	s_delay_alu instid0(VALU_DEP_1) | instskip(SKIP_1) | instid1(SALU_CYCLE_1)
	v_cmp_ne_u32_e32 vcc_lo, 0x7f800000, v77
                                        ; implicit-def: $vgpr77
	s_and_saveexec_b32 s2, vcc_lo
	s_xor_b32 s2, exec_lo, s2
; %bb.65:
	v_bfe_u32 v77, v78, 16, 1
	s_delay_alu instid0(VALU_DEP_1)
	v_add3_u32 v77, v78, v77, 0x7fff
                                        ; implicit-def: $vgpr78
; %bb.66:
	s_and_not1_saveexec_b32 s2, s2
; %bb.67:
	v_and_b32_e32 v77, 0xffff, v78
	v_or_b32_e32 v83, 0x10000, v78
	s_delay_alu instid0(VALU_DEP_2) | instskip(NEXT) | instid1(VALU_DEP_2)
	v_cmp_eq_u32_e32 vcc_lo, 0, v77
	v_cndmask_b32_e32 v77, v83, v78, vcc_lo
; %bb.68:
	s_or_b32 exec_lo, exec_lo, s2
	v_and_b32_e32 v78, 0x7f800000, v79
	s_delay_alu instid0(VALU_DEP_1) | instskip(SKIP_1) | instid1(SALU_CYCLE_1)
	v_cmp_ne_u32_e32 vcc_lo, 0x7f800000, v78
                                        ; implicit-def: $vgpr78
	s_and_saveexec_b32 s2, vcc_lo
	s_xor_b32 s2, exec_lo, s2
; %bb.69:
	v_bfe_u32 v78, v79, 16, 1
	s_delay_alu instid0(VALU_DEP_1)
	v_add3_u32 v78, v79, v78, 0x7fff
                                        ; implicit-def: $vgpr79
; %bb.70:
	s_and_not1_saveexec_b32 s2, s2
; %bb.71:
	v_and_b32_e32 v78, 0xffff, v79
	v_or_b32_e32 v83, 0x10000, v79
	s_delay_alu instid0(VALU_DEP_2) | instskip(NEXT) | instid1(VALU_DEP_2)
	v_cmp_eq_u32_e32 vcc_lo, 0, v78
	v_cndmask_b32_e32 v78, v83, v79, vcc_lo
; %bb.72:
	s_or_b32 exec_lo, exec_lo, s2
	v_and_b32_e32 v79, 0x7f800000, v70
	s_delay_alu instid0(VALU_DEP_1) | instskip(SKIP_1) | instid1(SALU_CYCLE_1)
	v_cmp_ne_u32_e32 vcc_lo, 0x7f800000, v79
                                        ; implicit-def: $vgpr79
	s_and_saveexec_b32 s2, vcc_lo
	s_xor_b32 s2, exec_lo, s2
; %bb.73:
	v_bfe_u32 v79, v70, 16, 1
	s_delay_alu instid0(VALU_DEP_1)
	v_add3_u32 v79, v70, v79, 0x7fff
                                        ; implicit-def: $vgpr70
; %bb.74:
	s_and_not1_saveexec_b32 s2, s2
; %bb.75:
	v_and_b32_e32 v79, 0xffff, v70
	v_or_b32_e32 v83, 0x10000, v70
	s_delay_alu instid0(VALU_DEP_2) | instskip(NEXT) | instid1(VALU_DEP_2)
	v_cmp_eq_u32_e32 vcc_lo, 0, v79
	v_cndmask_b32_e32 v79, v83, v70, vcc_lo
; %bb.76:
	s_or_b32 exec_lo, exec_lo, s2
	s_delay_alu instid0(VALU_DEP_1)
	v_perm_b32 v86, v79, v78, 0x7060302
	v_perm_b32 v85, v77, v82, 0x7060302
	;; [unrolled: 1-line block ×4, first 2 shown]
	v_lshl_or_b32 v82, v66, 11, v80
	ds_store_b128 v76, v[83:86] offset:1024
	s_waitcnt lgkmcnt(0)
	s_barrier
	buffer_gl0_inv
	ds_load_b128 v[69:72], v82
	ds_load_b128 v[83:86], v82 offset:16
	s_waitcnt lgkmcnt(1)
	v_lshrrev_b32_e32 v66, 16, v69
	s_waitcnt lgkmcnt(0)
	v_lshrrev_b32_e32 v91, 16, v83
	v_lshlrev_b32_e32 v78, 2, v74
	v_lshrrev_b32_e32 v95, 16, v70
	v_lshrrev_b32_e32 v98, 16, v84
	;; [unrolled: 1-line block ×4, first 2 shown]
	v_cmp_eq_u32_e32 vcc_lo, 1, v78
	v_lshrrev_b32_e32 v97, 16, v72
	v_lshrrev_b32_e32 v100, 16, v86
	v_cndmask_b32_e32 v87, v83, v91, vcc_lo
	v_or_b32_e32 v79, 1, v78
	v_cndmask_b32_e32 v81, v69, v66, vcc_lo
	v_cmp_eq_u32_e64 s3, 2, v78
	v_cmp_eq_u32_e64 s6, 3, v78
	;; [unrolled: 1-line block ×5, first 2 shown]
	v_cndmask_b32_e64 v81, v81, v70, s3
	v_cndmask_b32_e64 v87, v87, v84, s3
	v_cmp_eq_u32_e64 s7, 3, v79
	v_cndmask_b32_e64 v88, v69, v66, s2
	v_or_b32_e32 v77, 2, v78
	v_cndmask_b32_e64 v81, v81, v95, s6
	v_cndmask_b32_e64 v87, v87, v98, s6
	;; [unrolled: 1-line block ×4, first 2 shown]
	v_cmp_eq_u32_e64 s9, 5, v78
	v_cndmask_b32_e64 v81, v81, v71, s8
	v_cndmask_b32_e64 v87, v87, v85, s8
	v_cmp_eq_u32_e64 s10, 4, v79
	v_cndmask_b32_e64 v88, v88, v95, s7
	v_cmp_eq_u32_e64 s4, 1, v77
	v_cndmask_b32_e64 v89, v89, v84, s5
	v_cndmask_b32_e64 v81, v81, v96, s9
	v_cmp_eq_u32_e64 s11, 6, v78
	v_cndmask_b32_e64 v88, v88, v71, s10
	;; [unrolled: 3-line block ×3, first 2 shown]
	v_cndmask_b32_e64 v89, v89, v98, s7
	v_cndmask_b32_e64 v81, v81, v72, s11
	v_cmp_eq_u32_e64 s13, 7, v78
	v_cndmask_b32_e64 v88, v88, v96, s12
	v_cndmask_b32_e64 v87, v87, v86, s11
	v_cmp_eq_u32_e64 s15, 6, v79
	v_cmp_eq_u32_e64 s16, 2, v77
	v_cndmask_b32_e64 v89, v89, v85, s10
	v_cndmask_b32_e64 v101, v81, v97, s13
	v_cndmask_b32_e64 v102, v87, v100, s13
	v_cndmask_b32_e64 v88, v88, v72, s15
	v_cndmask_b32_e64 v81, v90, v70, s16
	v_cndmask_b32_e64 v87, v83, v91, s4
	v_cmp_eq_u32_e64 s17, 7, v79
	v_cmp_eq_u32_e64 s18, 3, v77
	;; [unrolled: 1-line block ×4, first 2 shown]
	v_cndmask_b32_e64 v87, v87, v84, s16
	v_cndmask_b32_e64 v103, v88, v97, s17
	;; [unrolled: 1-line block ×4, first 2 shown]
	v_or_b32_e32 v81, 3, v78
	v_cndmask_b32_e64 v93, v87, v98, s18
	v_cmp_eq_u32_e64 s23, 6, v77
	v_cndmask_b32_e64 v104, v88, v86, s15
	v_cndmask_b32_e64 v92, v89, v71, s19
	v_cmp_eq_u32_e64 s20, 1, v81
	ds_load_b128 v[87:90], v82 offset:1024
	v_cmp_eq_u32_e64 s22, 2, v81
	v_cmp_eq_u32_e64 s24, 3, v81
	v_cndmask_b32_e64 v105, v92, v96, s21
	v_cndmask_b32_e64 v66, v69, v66, s20
	;; [unrolled: 1-line block ×4, first 2 shown]
	ds_load_b128 v[91:94], v82 offset:1040
	v_cmp_eq_u32_e64 s25, 4, v81
	v_cndmask_b32_e64 v66, v66, v70, s22
	v_cmp_eq_u32_e64 s26, 7, v77
	v_cndmask_b32_e64 v70, v83, v84, s22
	v_cndmask_b32_e64 v84, v105, v72, s23
	v_cmp_eq_u32_e64 s27, 5, v81
	v_cndmask_b32_e64 v66, v66, v95, s24
	v_cmp_eq_u32_e64 s28, 6, v81
	v_cndmask_b32_e64 v70, v70, v98, s24
	v_cndmask_b32_e64 v69, v69, v99, s21
	;; [unrolled: 1-line block ×4, first 2 shown]
	s_waitcnt lgkmcnt(1)
	v_lshrrev_b32_e32 v95, 16, v87
	v_cndmask_b32_e64 v70, v70, v85, s25
	v_cndmask_b32_e64 v71, v84, v97, s26
	;; [unrolled: 1-line block ×4, first 2 shown]
	v_cndmask_b32_e32 v84, v87, v95, vcc_lo
	v_cndmask_b32_e64 v70, v70, v99, s27
	s_waitcnt lgkmcnt(0)
	v_lshrrev_b32_e32 v85, 16, v91
	v_lshrrev_b32_e32 v96, 16, v88
	v_cndmask_b32_e64 v98, v87, v95, s2
	v_cndmask_b32_e64 v84, v84, v88, s3
	;; [unrolled: 1-line block ×3, first 2 shown]
	v_cndmask_b32_e32 v99, v91, v85, vcc_lo
	v_cmp_eq_u32_e32 vcc_lo, 7, v81
	v_cndmask_b32_e64 v66, v66, v72, s28
	v_cndmask_b32_e64 v72, v84, v96, s6
	;; [unrolled: 1-line block ×3, first 2 shown]
	v_lshrrev_b32_e32 v98, 16, v92
	v_cndmask_b32_e32 v70, v70, v100, vcc_lo
	v_cndmask_b32_e64 v86, v99, v92, s3
	v_cndmask_b32_e64 v69, v69, v100, s26
	v_lshrrev_b32_e32 v100, 16, v93
	v_cndmask_b32_e64 v72, v72, v89, s8
	v_lshrrev_b32_e32 v99, 16, v89
	v_cndmask_b32_e64 v86, v86, v98, s6
	v_perm_b32 v71, v69, v71, 0x5040100
	v_cndmask_b32_e64 v84, v84, v96, s7
	s_delay_alu instid0(VALU_DEP_3) | instskip(NEXT) | instid1(VALU_DEP_2)
	v_cndmask_b32_e64 v86, v86, v93, s8
	v_cndmask_b32_e64 v84, v84, v89, s10
	s_delay_alu instid0(VALU_DEP_2) | instskip(NEXT) | instid1(VALU_DEP_1)
	v_cndmask_b32_e64 v86, v86, v100, s9
	v_cndmask_b32_e64 v69, v86, v94, s11
	;; [unrolled: 1-line block ×5, first 2 shown]
	s_delay_alu instid0(VALU_DEP_3) | instskip(NEXT) | instid1(VALU_DEP_3)
	v_cndmask_b32_e64 v86, v86, v88, s16
	v_cndmask_b32_e64 v87, v87, v88, s22
	s_delay_alu instid0(VALU_DEP_3) | instskip(NEXT) | instid1(VALU_DEP_3)
	v_cndmask_b32_e64 v88, v95, v92, s22
	v_cndmask_b32_e64 v86, v86, v96, s18
	;; [unrolled: 3-line block ×7, first 2 shown]
	s_delay_alu instid0(VALU_DEP_3) | instskip(SKIP_2) | instid1(VALU_DEP_2)
	v_cndmask_b32_e64 v88, v88, v94, s28
	v_cndmask_b32_e32 v66, v66, v97, vcc_lo
	v_cndmask_b32_e64 v97, v72, v99, s9
	v_perm_b32 v72, v70, v66, 0x5040100
	v_perm_b32 v70, v83, v103, 0x5040100
	v_cndmask_b32_e64 v103, v91, v85, s4
	v_cndmask_b32_e64 v85, v91, v85, s2
	;; [unrolled: 1-line block ×4, first 2 shown]
	v_lshrrev_b32_e32 v97, 16, v90
	v_cndmask_b32_e64 v91, v103, v92, s16
	v_cndmask_b32_e64 v85, v85, v92, s5
	;; [unrolled: 1-line block ×3, first 2 shown]
	s_mov_b32 s2, exec_lo
	v_cndmask_b32_e64 v83, v84, v97, s13
	v_cndmask_b32_e64 v91, v91, v98, s18
	;; [unrolled: 1-line block ×3, first 2 shown]
	v_lshrrev_b32_e32 v84, 16, v94
	v_cndmask_b32_e64 v66, v66, v97, s17
	v_cndmask_b32_e64 v90, v86, v97, s26
	;; [unrolled: 1-line block ×4, first 2 shown]
	v_dual_cndmask_b32 v86, v87, v97 :: v_dual_cndmask_b32 v87, v88, v84
	v_cndmask_b32_e64 v91, v69, v84, s13
	s_delay_alu instid0(VALU_DEP_4) | instskip(NEXT) | instid1(VALU_DEP_4)
	v_cndmask_b32_e64 v89, v89, v100, s21
	v_cndmask_b32_e64 v85, v85, v100, s12
	v_perm_b32 v69, v102, v101, 0x5040100
	v_perm_b32 v86, v87, v86, 0x5040100
	;; [unrolled: 1-line block ×3, first 2 shown]
	v_cndmask_b32_e64 v89, v89, v94, s23
	v_cndmask_b32_e64 v85, v85, v94, s15
	s_mul_i32 s7, s35, 10
	s_delay_alu instid0(VALU_DEP_2) | instskip(NEXT) | instid1(VALU_DEP_2)
	v_cndmask_b32_e64 v88, v89, v84, s26
	v_cndmask_b32_e64 v89, v85, v84, s17
	s_delay_alu instid0(VALU_DEP_2) | instskip(NEXT) | instid1(VALU_DEP_2)
	v_perm_b32 v85, v88, v90, 0x5040100
	v_perm_b32 v84, v89, v66, 0x5040100
	ds_store_b128 v76, v[69:72]
	ds_store_b128 v76, v[83:86] offset:1024
	v_cmpx_gt_u32_e32 10, v0
	s_cbranch_execz .LBB1895_78
; %bb.77:
	s_mul_i32 s3, s7, s30
	s_load_b128 s[8:11], s[0:1], 0x58
	v_add3_u32 v69, s3, s29, v65
	s_delay_alu instid0(VALU_DEP_1) | instskip(NEXT) | instid1(VALU_DEP_1)
	v_mad_u64_u32 v[65:66], null, v69, s34, s[14:15]
	v_ashrrev_i32_e32 v66, 31, v65
	s_delay_alu instid0(VALU_DEP_1) | instskip(SKIP_1) | instid1(VALU_DEP_1)
	v_lshlrev_b64 v[65:66], 2, v[65:66]
	s_waitcnt lgkmcnt(0)
	v_add_co_u32 v69, vcc_lo, s10, v65
	s_delay_alu instid0(VALU_DEP_2)
	v_add_co_ci_u32_e32 v70, vcc_lo, s11, v66, vcc_lo
	v_add_co_u32 v65, vcc_lo, s8, v65
	v_add_co_ci_u32_e32 v66, vcc_lo, s9, v66, vcc_lo
	global_store_b32 v[69:70], v67, off
	global_store_b32 v[65:66], v68, off
.LBB1895_78:
	s_or_b32 exec_lo, exec_lo, s2
	s_waitcnt lgkmcnt(0)
	s_waitcnt_vscnt null, 0x0
	s_barrier
	buffer_gl0_inv
	ds_load_b128 v[83:86], v80
	ds_load_b128 v[87:90], v80 offset:16
	ds_load_b128 v[95:98], v80 offset:2064
	;; [unrolled: 1-line block ×3, first 2 shown]
	v_mov_b32_e32 v65, 0
	ds_load_b128 v[103:106], v80 offset:4112
	ds_load_b128 v[99:102], v80 offset:4096
	;; [unrolled: 1-line block ×4, first 2 shown]
	v_mov_b32_e32 v66, v65
	v_mov_b32_e32 v67, v65
	;; [unrolled: 1-line block ×7, first 2 shown]
	s_waitcnt lgkmcnt(6)
	s_delay_alu instid0(VALU_DEP_1)
	v_wmma_f32_16x16x16_bf16 v[65:72], v[49:56], v[83:90], v[65:72]
	ds_load_b128 v[53:56], v80 offset:8208
	ds_load_b128 v[49:52], v80 offset:8192
	s_waitcnt lgkmcnt(6)
	v_wmma_f32_16x16x16_bf16 v[65:72], v[41:48], v[91:98], v[65:72]
	ds_load_b128 v[45:48], v80 offset:10256
	ds_load_b128 v[41:44], v80 offset:10240
	s_waitcnt lgkmcnt(6)
	;; [unrolled: 4-line block ×4, first 2 shown]
	v_wmma_f32_16x16x16_bf16 v[65:72], v[1:8], v[49:56], v[65:72]
	s_waitcnt lgkmcnt(4)
	s_delay_alu instid0(VALU_DEP_1) | instskip(SKIP_1) | instid1(VALU_DEP_1)
	v_wmma_f32_16x16x16_bf16 v[65:72], v[9:16], v[41:48], v[65:72]
	s_waitcnt lgkmcnt(2)
	v_wmma_f32_16x16x16_bf16 v[65:72], v[17:24], v[33:40], v[65:72]
	s_waitcnt lgkmcnt(0)
	s_delay_alu instid0(VALU_DEP_1) | instskip(NEXT) | instid1(VALU_DEP_1)
	v_wmma_f32_16x16x16_bf16 v[65:72], v[57:64], v[25:32], v[65:72]
	v_and_b32_e32 v1, 0x7f800000, v65
	s_delay_alu instid0(VALU_DEP_1) | instskip(SKIP_1) | instid1(SALU_CYCLE_1)
	v_cmp_ne_u32_e32 vcc_lo, 0x7f800000, v1
                                        ; implicit-def: $vgpr1
	s_and_saveexec_b32 s2, vcc_lo
	s_xor_b32 s2, exec_lo, s2
; %bb.79:
	v_bfe_u32 v1, v65, 16, 1
	s_delay_alu instid0(VALU_DEP_1)
	v_add3_u32 v1, v65, v1, 0x7fff
; %bb.80:
	s_and_not1_saveexec_b32 s2, s2
; %bb.81:
	v_and_b32_e32 v1, 0xffff, v65
	v_or_b32_e32 v2, 0x10000, v65
	s_delay_alu instid0(VALU_DEP_2) | instskip(NEXT) | instid1(VALU_DEP_2)
	v_cmp_eq_u32_e32 vcc_lo, 0, v1
	v_cndmask_b32_e32 v1, v2, v65, vcc_lo
; %bb.82:
	s_or_b32 exec_lo, exec_lo, s2
	v_and_b32_e32 v2, 0x7f800000, v66
	s_delay_alu instid0(VALU_DEP_1) | instskip(SKIP_1) | instid1(SALU_CYCLE_1)
	v_cmp_ne_u32_e32 vcc_lo, 0x7f800000, v2
                                        ; implicit-def: $vgpr2
	s_and_saveexec_b32 s2, vcc_lo
	s_xor_b32 s2, exec_lo, s2
; %bb.83:
	v_bfe_u32 v2, v66, 16, 1
	s_delay_alu instid0(VALU_DEP_1)
	v_add3_u32 v2, v66, v2, 0x7fff
; %bb.84:
	s_and_not1_saveexec_b32 s2, s2
; %bb.85:
	v_and_b32_e32 v2, 0xffff, v66
	v_or_b32_e32 v3, 0x10000, v66
	s_delay_alu instid0(VALU_DEP_2) | instskip(NEXT) | instid1(VALU_DEP_2)
	v_cmp_eq_u32_e32 vcc_lo, 0, v2
	v_cndmask_b32_e32 v2, v3, v66, vcc_lo
; %bb.86:
	s_or_b32 exec_lo, exec_lo, s2
	v_and_b32_e32 v3, 0x7f800000, v67
	s_delay_alu instid0(VALU_DEP_1) | instskip(SKIP_1) | instid1(SALU_CYCLE_1)
	v_cmp_ne_u32_e32 vcc_lo, 0x7f800000, v3
                                        ; implicit-def: $vgpr3
	s_and_saveexec_b32 s2, vcc_lo
	s_xor_b32 s2, exec_lo, s2
; %bb.87:
	v_bfe_u32 v3, v67, 16, 1
	s_delay_alu instid0(VALU_DEP_1)
	v_add3_u32 v3, v67, v3, 0x7fff
; %bb.88:
	s_and_not1_saveexec_b32 s2, s2
; %bb.89:
	v_and_b32_e32 v3, 0xffff, v67
	v_or_b32_e32 v4, 0x10000, v67
	s_delay_alu instid0(VALU_DEP_2) | instskip(NEXT) | instid1(VALU_DEP_2)
	v_cmp_eq_u32_e32 vcc_lo, 0, v3
	v_cndmask_b32_e32 v3, v4, v67, vcc_lo
; %bb.90:
	s_or_b32 exec_lo, exec_lo, s2
	v_and_b32_e32 v4, 0x7f800000, v68
	s_delay_alu instid0(VALU_DEP_1) | instskip(SKIP_1) | instid1(SALU_CYCLE_1)
	v_cmp_ne_u32_e32 vcc_lo, 0x7f800000, v4
                                        ; implicit-def: $vgpr4
	s_and_saveexec_b32 s2, vcc_lo
	s_xor_b32 s2, exec_lo, s2
; %bb.91:
	v_bfe_u32 v4, v68, 16, 1
	s_delay_alu instid0(VALU_DEP_1)
	v_add3_u32 v4, v68, v4, 0x7fff
; %bb.92:
	s_and_not1_saveexec_b32 s2, s2
; %bb.93:
	v_and_b32_e32 v4, 0xffff, v68
	v_or_b32_e32 v5, 0x10000, v68
	s_delay_alu instid0(VALU_DEP_2) | instskip(NEXT) | instid1(VALU_DEP_2)
	v_cmp_eq_u32_e32 vcc_lo, 0, v4
	v_cndmask_b32_e32 v4, v5, v68, vcc_lo
; %bb.94:
	s_or_b32 exec_lo, exec_lo, s2
	v_and_b32_e32 v5, 0x7f800000, v69
	s_delay_alu instid0(VALU_DEP_1) | instskip(SKIP_1) | instid1(SALU_CYCLE_1)
	v_cmp_ne_u32_e32 vcc_lo, 0x7f800000, v5
                                        ; implicit-def: $vgpr5
	s_and_saveexec_b32 s2, vcc_lo
	s_xor_b32 s2, exec_lo, s2
; %bb.95:
	v_bfe_u32 v5, v69, 16, 1
	s_delay_alu instid0(VALU_DEP_1)
	v_add3_u32 v5, v69, v5, 0x7fff
; %bb.96:
	s_and_not1_saveexec_b32 s2, s2
; %bb.97:
	v_and_b32_e32 v5, 0xffff, v69
	v_or_b32_e32 v6, 0x10000, v69
	s_delay_alu instid0(VALU_DEP_2) | instskip(NEXT) | instid1(VALU_DEP_2)
	v_cmp_eq_u32_e32 vcc_lo, 0, v5
	v_cndmask_b32_e32 v5, v6, v69, vcc_lo
; %bb.98:
	s_or_b32 exec_lo, exec_lo, s2
	v_and_b32_e32 v6, 0x7f800000, v70
	s_delay_alu instid0(VALU_DEP_1) | instskip(SKIP_1) | instid1(SALU_CYCLE_1)
	v_cmp_ne_u32_e32 vcc_lo, 0x7f800000, v6
                                        ; implicit-def: $vgpr6
	s_and_saveexec_b32 s2, vcc_lo
	s_xor_b32 s2, exec_lo, s2
; %bb.99:
	v_bfe_u32 v6, v70, 16, 1
	s_delay_alu instid0(VALU_DEP_1)
	v_add3_u32 v6, v70, v6, 0x7fff
; %bb.100:
	s_and_not1_saveexec_b32 s2, s2
; %bb.101:
	v_and_b32_e32 v6, 0xffff, v70
	v_or_b32_e32 v7, 0x10000, v70
	s_delay_alu instid0(VALU_DEP_2) | instskip(NEXT) | instid1(VALU_DEP_2)
	v_cmp_eq_u32_e32 vcc_lo, 0, v6
	v_cndmask_b32_e32 v6, v7, v70, vcc_lo
; %bb.102:
	s_or_b32 exec_lo, exec_lo, s2
	v_and_b32_e32 v7, 0x7f800000, v71
	s_delay_alu instid0(VALU_DEP_1) | instskip(SKIP_1) | instid1(SALU_CYCLE_1)
	v_cmp_ne_u32_e32 vcc_lo, 0x7f800000, v7
                                        ; implicit-def: $vgpr7
	s_and_saveexec_b32 s2, vcc_lo
	s_xor_b32 s2, exec_lo, s2
; %bb.103:
	v_bfe_u32 v7, v71, 16, 1
	s_delay_alu instid0(VALU_DEP_1)
	v_add3_u32 v7, v71, v7, 0x7fff
; %bb.104:
	s_and_not1_saveexec_b32 s2, s2
; %bb.105:
	v_and_b32_e32 v7, 0xffff, v71
	v_or_b32_e32 v8, 0x10000, v71
	s_delay_alu instid0(VALU_DEP_2) | instskip(NEXT) | instid1(VALU_DEP_2)
	v_cmp_eq_u32_e32 vcc_lo, 0, v7
	v_cndmask_b32_e32 v7, v8, v71, vcc_lo
; %bb.106:
	s_or_b32 exec_lo, exec_lo, s2
	v_and_b32_e32 v8, 0x7f800000, v72
	s_delay_alu instid0(VALU_DEP_1) | instskip(SKIP_1) | instid1(SALU_CYCLE_1)
	v_cmp_ne_u32_e32 vcc_lo, 0x7f800000, v8
                                        ; implicit-def: $vgpr8
	s_and_saveexec_b32 s2, vcc_lo
	s_xor_b32 s2, exec_lo, s2
; %bb.107:
	v_bfe_u32 v8, v72, 16, 1
	s_delay_alu instid0(VALU_DEP_1)
	v_add3_u32 v8, v72, v8, 0x7fff
                                        ; implicit-def: $vgpr65_vgpr66_vgpr67_vgpr68_vgpr69_vgpr70_vgpr71_vgpr72
; %bb.108:
	s_and_not1_saveexec_b32 s2, s2
; %bb.109:
	v_and_b32_e32 v8, 0xffff, v72
	v_or_b32_e32 v9, 0x10000, v72
	s_delay_alu instid0(VALU_DEP_2) | instskip(NEXT) | instid1(VALU_DEP_2)
	v_cmp_eq_u32_e32 vcc_lo, 0, v8
	v_cndmask_b32_e32 v8, v9, v72, vcc_lo
; %bb.110:
	s_or_b32 exec_lo, exec_lo, s2
	s_delay_alu instid0(VALU_DEP_1)
	v_perm_b32 v7, v8, v7, 0x7060302
	v_perm_b32 v6, v6, v5, 0x7060302
	;; [unrolled: 1-line block ×4, first 2 shown]
	s_barrier
	buffer_gl0_inv
	v_cmp_eq_u32_e32 vcc_lo, 1, v78
	ds_store_b128 v76, v[4:7]
	s_waitcnt lgkmcnt(0)
	s_barrier
	buffer_gl0_inv
	ds_load_b128 v[1:4], v82
	ds_load_b128 v[5:8], v82 offset:16
	v_cmp_eq_u32_e64 s2, 1, v79
	v_cmp_eq_u32_e64 s3, 2, v78
	;; [unrolled: 1-line block ×5, first 2 shown]
	s_waitcnt lgkmcnt(1)
	v_lshrrev_b32_e32 v9, 16, v1
	s_waitcnt lgkmcnt(0)
	v_lshrrev_b32_e32 v13, 16, v5
	v_lshrrev_b32_e32 v10, 16, v2
	;; [unrolled: 1-line block ×4, first 2 shown]
	v_cndmask_b32_e64 v19, v1, v9, s2
	v_cndmask_b32_e32 v18, v5, v13, vcc_lo
	v_cndmask_b32_e64 v20, v5, v13, s2
	v_cndmask_b32_e32 v17, v1, v9, vcc_lo
	v_cmp_eq_u32_e32 vcc_lo, 2, v79
	v_lshrrev_b32_e32 v15, 16, v7
	v_cmp_eq_u32_e64 s2, 1, v77
	v_lshrrev_b32_e32 v12, 16, v4
	v_lshrrev_b32_e32 v16, 16, v8
	v_cndmask_b32_e32 v20, v20, v6, vcc_lo
	v_cndmask_b32_e64 v17, v17, v2, s3
	v_cndmask_b32_e32 v19, v19, v2, vcc_lo
	v_cndmask_b32_e64 v18, v18, v6, s3
	v_cmp_eq_u32_e32 vcc_lo, 4, v78
	v_cmp_eq_u32_e64 s3, 3, v79
	v_cndmask_b32_e64 v17, v17, v10, s4
	v_cndmask_b32_e64 v21, v1, v9, s2
	;; [unrolled: 1-line block ×5, first 2 shown]
	v_cndmask_b32_e32 v17, v17, v3, vcc_lo
	v_cndmask_b32_e64 v20, v20, v14, s3
	v_cndmask_b32_e32 v18, v18, v7, vcc_lo
	v_cmp_eq_u32_e32 vcc_lo, 4, v79
	v_cmp_eq_u32_e64 s3, 5, v79
	v_cmp_eq_u32_e64 s2, 2, v81
	v_cndmask_b32_e64 v21, v21, v2, s6
	v_cmp_eq_u32_e64 s4, 5, v78
	v_cndmask_b32_e32 v19, v19, v3, vcc_lo
	v_cndmask_b32_e32 v20, v20, v7, vcc_lo
	v_cmp_eq_u32_e32 vcc_lo, 6, v79
	s_delay_alu instid0(VALU_DEP_4) | instskip(NEXT) | instid1(VALU_DEP_4)
	v_cndmask_b32_e64 v17, v17, v11, s4
	v_cndmask_b32_e64 v19, v19, v11, s3
	s_delay_alu instid0(VALU_DEP_4) | instskip(SKIP_1) | instid1(VALU_DEP_3)
	v_cndmask_b32_e64 v20, v20, v15, s3
	v_cmp_eq_u32_e64 s3, 1, v81
	v_cndmask_b32_e32 v19, v19, v4, vcc_lo
	v_cndmask_b32_e64 v18, v18, v15, s4
	s_delay_alu instid0(VALU_DEP_3)
	v_cndmask_b32_e64 v1, v1, v9, s3
	v_cndmask_b32_e64 v5, v5, v13, s3
	v_cmp_eq_u32_e64 s3, 3, v77
	v_cndmask_b32_e64 v13, v22, v6, s6
	v_cmp_eq_u32_e64 s6, 3, v81
	v_cndmask_b32_e64 v1, v1, v2, s2
	v_cndmask_b32_e64 v2, v5, v6, s2
	v_cndmask_b32_e64 v9, v21, v10, s3
	v_cmp_eq_u32_e64 s2, 4, v77
	v_cndmask_b32_e64 v6, v13, v14, s3
	v_cndmask_b32_e64 v1, v1, v10, s6
	v_cmp_eq_u32_e64 s3, 4, v81
	v_cndmask_b32_e64 v2, v2, v14, s6
	v_cndmask_b32_e64 v5, v9, v3, s2
	;; [unrolled: 3-line block ×3, first 2 shown]
	v_cndmask_b32_e64 v2, v2, v7, s3
	v_cmp_eq_u32_e64 s2, 5, v81
	v_cmp_eq_u32_e64 s4, 6, v78
	v_cndmask_b32_e64 v5, v5, v11, s6
	v_cmp_eq_u32_e64 s3, 6, v77
	v_cndmask_b32_e64 v3, v6, v15, s6
	v_cndmask_b32_e64 v1, v1, v11, s2
	v_cmp_eq_u32_e64 s6, 6, v81
	v_cndmask_b32_e64 v2, v2, v15, s2
	v_cndmask_b32_e64 v17, v17, v4, s4
	v_cndmask_b32_e64 v18, v18, v8, s4
	v_cmp_eq_u32_e64 s4, 7, v78
	v_cndmask_b32_e64 v5, v5, v4, s3
	;; [unrolled: 4-line block ×3, first 2 shown]
	v_cmp_eq_u32_e64 s3, 7, v77
	v_cndmask_b32_e32 v4, v20, v8, vcc_lo
	v_cndmask_b32_e64 v17, v17, v12, s4
	v_cndmask_b32_e64 v19, v19, v12, s5
	;; [unrolled: 1-line block ×8, first 2 shown]
	s_mov_b32 s2, exec_lo
	v_perm_b32 v4, v2, v1, 0x5040100
	v_perm_b32 v3, v3, v5, 0x5040100
	;; [unrolled: 1-line block ×4, first 2 shown]
	ds_store_b128 v76, v[1:4]
	s_waitcnt lgkmcnt(0)
	s_barrier
	buffer_gl0_inv
	v_cmpx_gt_u32_e32 32, v0
	s_cbranch_execz .LBB1895_2
; %bb.111:
	s_load_b64 s[0:1], s[0:1], 0x68
	s_lshl_b32 s4, s34, 7
	v_or_b32_e32 v2, s29, v74
	s_mul_i32 s2, s4, s30
	v_lshlrev_b32_e32 v0, 10, v0
	s_mul_i32 s2, s2, s7
	v_lshlrev_b32_e32 v1, 4, v75
	s_ashr_i32 s3, s2, 31
	v_mul_lo_u32 v20, v2, s4
	s_lshl_b64 s[2:3], s[2:3], 1
	v_lshlrev_b32_e32 v3, 6, v74
	v_and_b32_e32 v0, 0x3800, v0
	s_delay_alu instid0(VALU_DEP_1) | instskip(NEXT) | instid1(VALU_DEP_4)
	v_or3_b32 v16, v0, v1, v3
	v_ashrrev_i32_e32 v21, 31, v20
	ds_load_b128 v[0:3], v16
	ds_load_b128 v[4:7], v16 offset:128
	s_waitcnt lgkmcnt(0)
	s_add_u32 s2, s0, s2
	s_addc_u32 s3, s1, s3
	s_lshl_b32 s0, s14, 7
	ds_load_b128 v[8:11], v16 offset:256
	ds_load_b128 v[12:15], v16 offset:384
	;; [unrolled: 1-line block ×3, first 2 shown]
	s_ashr_i32 s1, s0, 31
	s_delay_alu instid0(SALU_CYCLE_1) | instskip(NEXT) | instid1(SALU_CYCLE_1)
	s_lshl_b64 s[0:1], s[0:1], 1
	s_add_u32 s0, s2, s0
	s_addc_u32 s1, s3, s1
	s_lshl_b32 s2, s34, 8
	v_add_co_u32 v30, s0, s0, v73
	v_add_nc_u32_e32 v22, s2, v20
	v_lshlrev_b64 v[20:21], 1, v[20:21]
	v_add_co_ci_u32_e64 v31, null, s1, 0, s0
	s_delay_alu instid0(VALU_DEP_3) | instskip(SKIP_1) | instid1(VALU_DEP_4)
	v_add_nc_u32_e32 v24, s2, v22
	v_ashrrev_i32_e32 v23, 31, v22
	v_add_co_u32 v20, vcc_lo, v30, v20
	s_delay_alu instid0(VALU_DEP_4) | instskip(NEXT) | instid1(VALU_DEP_4)
	v_add_co_ci_u32_e32 v21, vcc_lo, v31, v21, vcc_lo
	v_add_nc_u32_e32 v26, s2, v24
	v_ashrrev_i32_e32 v25, 31, v24
	v_lshlrev_b64 v[22:23], 1, v[22:23]
	s_delay_alu instid0(VALU_DEP_3) | instskip(SKIP_1) | instid1(VALU_DEP_4)
	v_add_nc_u32_e32 v28, s2, v26
	v_ashrrev_i32_e32 v27, 31, v26
	v_lshlrev_b64 v[24:25], 1, v[24:25]
	s_delay_alu instid0(VALU_DEP_4) | instskip(NEXT) | instid1(VALU_DEP_4)
	v_add_co_u32 v22, vcc_lo, v30, v22
	v_ashrrev_i32_e32 v29, 31, v28
	s_delay_alu instid0(VALU_DEP_4) | instskip(SKIP_2) | instid1(VALU_DEP_4)
	v_lshlrev_b64 v[26:27], 1, v[26:27]
	v_add_co_ci_u32_e32 v23, vcc_lo, v31, v23, vcc_lo
	v_add_co_u32 v24, vcc_lo, v30, v24
	v_lshlrev_b64 v[28:29], 1, v[28:29]
	v_add_co_ci_u32_e32 v25, vcc_lo, v31, v25, vcc_lo
	v_add_co_u32 v26, vcc_lo, v30, v26
	v_add_co_ci_u32_e32 v27, vcc_lo, v31, v27, vcc_lo
	s_delay_alu instid0(VALU_DEP_4)
	v_add_co_u32 v28, vcc_lo, v30, v28
	v_add_co_ci_u32_e32 v29, vcc_lo, v31, v29, vcc_lo
	s_clause 0x1
	global_store_b128 v[20:21], v[0:3], off
	global_store_b128 v[22:23], v[4:7], off
	s_waitcnt lgkmcnt(2)
	global_store_b128 v[24:25], v[8:11], off
	s_waitcnt lgkmcnt(1)
	;; [unrolled: 2-line block ×3, first 2 shown]
	global_store_b128 v[28:29], v[16:19], off
	s_nop 0
	s_sendmsg sendmsg(MSG_DEALLOC_VGPRS)
	s_endpgm
	.section	.rodata,"a",@progbits
	.p2align	6, 0x0
	.amdhsa_kernel _Z39paged_attention_ll4mi_QKV_mfma16_kernelI14__hip_bfloat16hLN4vllm18Fp8KVCacheDataTypeE1ES0_Li32ELi128ELi256ELb1ELi10EL8MFMAType0EEvPKT_PKT0_S9_ifPKiSB_SB_iPKfiiiPfSE_PS4_PT2_iSD_SD_
		.amdhsa_group_segment_fixed_size 17472
		.amdhsa_private_segment_fixed_size 0
		.amdhsa_kernarg_size 400
		.amdhsa_user_sgpr_count 13
		.amdhsa_user_sgpr_dispatch_ptr 0
		.amdhsa_user_sgpr_queue_ptr 0
		.amdhsa_user_sgpr_kernarg_segment_ptr 1
		.amdhsa_user_sgpr_dispatch_id 0
		.amdhsa_user_sgpr_private_segment_size 0
		.amdhsa_wavefront_size32 1
		.amdhsa_uses_dynamic_stack 0
		.amdhsa_enable_private_segment 0
		.amdhsa_system_sgpr_workgroup_id_x 1
		.amdhsa_system_sgpr_workgroup_id_y 1
		.amdhsa_system_sgpr_workgroup_id_z 1
		.amdhsa_system_sgpr_workgroup_info 0
		.amdhsa_system_vgpr_workitem_id 0
		.amdhsa_next_free_vgpr 140
		.amdhsa_next_free_sgpr 36
		.amdhsa_reserve_vcc 1
		.amdhsa_float_round_mode_32 0
		.amdhsa_float_round_mode_16_64 0
		.amdhsa_float_denorm_mode_32 3
		.amdhsa_float_denorm_mode_16_64 3
		.amdhsa_dx10_clamp 1
		.amdhsa_ieee_mode 1
		.amdhsa_fp16_overflow 0
		.amdhsa_workgroup_processor_mode 1
		.amdhsa_memory_ordered 1
		.amdhsa_forward_progress 0
		.amdhsa_shared_vgpr_count 0
		.amdhsa_exception_fp_ieee_invalid_op 0
		.amdhsa_exception_fp_denorm_src 0
		.amdhsa_exception_fp_ieee_div_zero 0
		.amdhsa_exception_fp_ieee_overflow 0
		.amdhsa_exception_fp_ieee_underflow 0
		.amdhsa_exception_fp_ieee_inexact 0
		.amdhsa_exception_int_div_zero 0
	.end_amdhsa_kernel
	.section	.text._Z39paged_attention_ll4mi_QKV_mfma16_kernelI14__hip_bfloat16hLN4vllm18Fp8KVCacheDataTypeE1ES0_Li32ELi128ELi256ELb1ELi10EL8MFMAType0EEvPKT_PKT0_S9_ifPKiSB_SB_iPKfiiiPfSE_PS4_PT2_iSD_SD_,"axG",@progbits,_Z39paged_attention_ll4mi_QKV_mfma16_kernelI14__hip_bfloat16hLN4vllm18Fp8KVCacheDataTypeE1ES0_Li32ELi128ELi256ELb1ELi10EL8MFMAType0EEvPKT_PKT0_S9_ifPKiSB_SB_iPKfiiiPfSE_PS4_PT2_iSD_SD_,comdat
.Lfunc_end1895:
	.size	_Z39paged_attention_ll4mi_QKV_mfma16_kernelI14__hip_bfloat16hLN4vllm18Fp8KVCacheDataTypeE1ES0_Li32ELi128ELi256ELb1ELi10EL8MFMAType0EEvPKT_PKT0_S9_ifPKiSB_SB_iPKfiiiPfSE_PS4_PT2_iSD_SD_, .Lfunc_end1895-_Z39paged_attention_ll4mi_QKV_mfma16_kernelI14__hip_bfloat16hLN4vllm18Fp8KVCacheDataTypeE1ES0_Li32ELi128ELi256ELb1ELi10EL8MFMAType0EEvPKT_PKT0_S9_ifPKiSB_SB_iPKfiiiPfSE_PS4_PT2_iSD_SD_
                                        ; -- End function
	.section	.AMDGPU.csdata,"",@progbits
; Kernel info:
; codeLenInByte = 8952
; NumSgprs: 38
; NumVgprs: 140
; ScratchSize: 0
; MemoryBound: 0
; FloatMode: 240
; IeeeMode: 1
; LDSByteSize: 17472 bytes/workgroup (compile time only)
; SGPRBlocks: 4
; VGPRBlocks: 17
; NumSGPRsForWavesPerEU: 38
; NumVGPRsForWavesPerEU: 140
; Occupancy: 10
; WaveLimiterHint : 1
; COMPUTE_PGM_RSRC2:SCRATCH_EN: 0
; COMPUTE_PGM_RSRC2:USER_SGPR: 13
; COMPUTE_PGM_RSRC2:TRAP_HANDLER: 0
; COMPUTE_PGM_RSRC2:TGID_X_EN: 1
; COMPUTE_PGM_RSRC2:TGID_Y_EN: 1
; COMPUTE_PGM_RSRC2:TGID_Z_EN: 1
; COMPUTE_PGM_RSRC2:TIDIG_COMP_CNT: 0
	.section	.text._Z39paged_attention_ll4mi_QKV_mfma16_kernelI14__hip_bfloat16hLN4vllm18Fp8KVCacheDataTypeE1ES0_Li32ELi128ELi256ELb1ELi11EL8MFMAType0EEvPKT_PKT0_S9_ifPKiSB_SB_iPKfiiiPfSE_PS4_PT2_iSD_SD_,"axG",@progbits,_Z39paged_attention_ll4mi_QKV_mfma16_kernelI14__hip_bfloat16hLN4vllm18Fp8KVCacheDataTypeE1ES0_Li32ELi128ELi256ELb1ELi11EL8MFMAType0EEvPKT_PKT0_S9_ifPKiSB_SB_iPKfiiiPfSE_PS4_PT2_iSD_SD_,comdat
	.protected	_Z39paged_attention_ll4mi_QKV_mfma16_kernelI14__hip_bfloat16hLN4vllm18Fp8KVCacheDataTypeE1ES0_Li32ELi128ELi256ELb1ELi11EL8MFMAType0EEvPKT_PKT0_S9_ifPKiSB_SB_iPKfiiiPfSE_PS4_PT2_iSD_SD_ ; -- Begin function _Z39paged_attention_ll4mi_QKV_mfma16_kernelI14__hip_bfloat16hLN4vllm18Fp8KVCacheDataTypeE1ES0_Li32ELi128ELi256ELb1ELi11EL8MFMAType0EEvPKT_PKT0_S9_ifPKiSB_SB_iPKfiiiPfSE_PS4_PT2_iSD_SD_
	.globl	_Z39paged_attention_ll4mi_QKV_mfma16_kernelI14__hip_bfloat16hLN4vllm18Fp8KVCacheDataTypeE1ES0_Li32ELi128ELi256ELb1ELi11EL8MFMAType0EEvPKT_PKT0_S9_ifPKiSB_SB_iPKfiiiPfSE_PS4_PT2_iSD_SD_
	.p2align	8
	.type	_Z39paged_attention_ll4mi_QKV_mfma16_kernelI14__hip_bfloat16hLN4vllm18Fp8KVCacheDataTypeE1ES0_Li32ELi128ELi256ELb1ELi11EL8MFMAType0EEvPKT_PKT0_S9_ifPKiSB_SB_iPKfiiiPfSE_PS4_PT2_iSD_SD_,@function
_Z39paged_attention_ll4mi_QKV_mfma16_kernelI14__hip_bfloat16hLN4vllm18Fp8KVCacheDataTypeE1ES0_Li32ELi128ELi256ELb1ELi11EL8MFMAType0EEvPKT_PKT0_S9_ifPKiSB_SB_iPKfiiiPfSE_PS4_PT2_iSD_SD_: ; @_Z39paged_attention_ll4mi_QKV_mfma16_kernelI14__hip_bfloat16hLN4vllm18Fp8KVCacheDataTypeE1ES0_Li32ELi128ELi256ELb1ELi11EL8MFMAType0EEvPKT_PKT0_S9_ifPKiSB_SB_iPKfiiiPfSE_PS4_PT2_iSD_SD_
; %bb.0:
	s_load_b64 s[4:5], s[0:1], 0x30
	s_mov_b32 s30, s13
	s_waitcnt lgkmcnt(0)
	s_cmp_lg_u64 s[4:5], 0
	s_cselect_b32 s13, -1, 0
	s_ashr_i32 s31, s30, 31
	s_cmp_eq_u64 s[4:5], 0
	s_cbranch_scc1 .LBB1896_3
; %bb.1:
	s_lshl_b64 s[2:3], s[30:31], 2
	s_delay_alu instid0(SALU_CYCLE_1) | instskip(SKIP_4) | instid1(SALU_CYCLE_1)
	s_add_u32 s2, s4, s2
	s_addc_u32 s3, s5, s3
	s_load_b64 s[2:3], s[2:3], 0x0
	s_waitcnt lgkmcnt(0)
	s_sub_i32 s2, s3, s2
	s_cmp_eq_u32 s2, 1
	s_cselect_b32 s2, -1, 0
	s_delay_alu instid0(SALU_CYCLE_1)
	s_and_not1_b32 vcc_lo, exec_lo, s2
	s_cbranch_vccz .LBB1896_4
.LBB1896_2:
	s_nop 0
	s_sendmsg sendmsg(MSG_DEALLOC_VGPRS)
	s_endpgm
.LBB1896_3:
.LBB1896_4:
	s_load_b64 s[2:3], s[0:1], 0x28
	s_lshl_b64 s[6:7], s[30:31], 2
	s_waitcnt lgkmcnt(0)
	s_add_u32 s2, s2, s6
	s_addc_u32 s3, s3, s7
	s_lshl_b32 s12, s14, 8
	s_load_b32 s17, s[2:3], 0x0
	s_waitcnt lgkmcnt(0)
	s_cmp_ge_i32 s12, s17
	s_cbranch_scc1 .LBB1896_2
; %bb.5:
	s_clause 0x1
	s_load_b128 s[8:11], s[0:1], 0x8
	s_load_b64 s[2:3], s[0:1], 0x20
	s_and_not1_b32 vcc_lo, exec_lo, s13
	s_cbranch_vccnz .LBB1896_7
; %bb.6:
	s_add_u32 s4, s4, s6
	s_addc_u32 s5, s5, s7
	s_load_b32 s13, s[4:5], 0x0
	s_branch .LBB1896_8
.LBB1896_7:
	s_mov_b32 s13, s30
.LBB1896_8:
	s_load_b128 s[4:7], s[0:1], 0x48
	v_and_b32_e32 v65, 15, v0
	v_lshrrev_b32_e32 v66, 5, v0
	v_bfe_u32 v74, v0, 4, 1
	v_and_b32_e32 v67, 31, v0
	v_and_b32_e32 v75, 1, v0
	v_lshlrev_b32_e32 v2, 3, v65
	s_mul_i32 s31, s15, 11
	v_lshl_or_b32 v1, v66, 1, v74
	s_waitcnt lgkmcnt(0)
	s_mov_b32 s7, exec_lo
	v_lshlrev_b32_e32 v73, 1, v2
	s_delay_alu instid0(VALU_DEP_2)
	v_cmpx_gt_u32_e32 11, v1
	s_cbranch_execz .LBB1896_10
; %bb.9:
	s_load_b64 s[18:19], s[0:1], 0x0
	v_add_lshl_u32 v2, v1, s31, 7
	s_mul_hi_i32 s21, s13, s4
	s_mul_i32 s20, s13, s4
	v_lshlrev_b32_e32 v6, 10, v65
	s_lshl_b64 s[20:21], s[20:21], 1
	v_ashrrev_i32_e32 v3, 31, v2
	v_lshlrev_b32_e32 v1, 6, v1
	v_lshlrev_b32_e32 v7, 10, v75
	v_and_b32_e32 v6, 0x3800, v6
	s_delay_alu instid0(VALU_DEP_4) | instskip(NEXT) | instid1(VALU_DEP_2)
	v_lshlrev_b64 v[2:3], 1, v[2:3]
	v_or3_b32 v1, v6, v7, v1
	s_waitcnt lgkmcnt(0)
	s_add_u32 s4, s18, s20
	s_addc_u32 s13, s19, s21
	s_delay_alu instid0(VALU_DEP_2) | instskip(SKIP_1) | instid1(VALU_DEP_2)
	v_add_co_u32 v2, vcc_lo, s4, v2
	v_add_co_ci_u32_e32 v3, vcc_lo, s13, v3, vcc_lo
	v_add_co_u32 v2, vcc_lo, v2, v73
	s_delay_alu instid0(VALU_DEP_2)
	v_add_co_ci_u32_e32 v3, vcc_lo, 0, v3, vcc_lo
	global_load_b128 v[2:5], v[2:3], off
	s_waitcnt vmcnt(0)
	ds_store_b128 v1, v[2:5]
.LBB1896_10:
	s_or_b32 exec_lo, exec_lo, s7
	v_and_b32_e32 v1, 0xef, v0
	s_add_i32 s4, s17, 31
	s_clause 0x1
	s_load_b32 s7, s[0:1], 0x38
	s_load_b32 s18, s[0:1], 0x1c
	s_ashr_i32 s13, s4, 31
	v_add_nc_u32_e32 v1, s12, v1
	s_lshr_b32 s13, s13, 27
	s_waitcnt lgkmcnt(0)
	s_add_i32 s4, s4, s13
	s_barrier
	v_ashrrev_i32_e32 v2, 31, v1
	v_or_b32_e32 v3, 16, v1
	s_ashr_i32 s4, s4, 5
	v_cmp_gt_i32_e32 vcc_lo, s17, v1
	s_add_i32 s4, s4, -1
	v_lshrrev_b32_e32 v2, 27, v2
	buffer_gl0_inv
	s_mul_i32 s15, s15, s6
	v_add_nc_u32_e32 v4, v1, v2
	s_mul_i32 s20, s30, s7
	s_delay_alu instid0(SALU_CYCLE_1) | instskip(NEXT) | instid1(VALU_DEP_1)
	s_ashr_i32 s21, s20, 31
	v_ashrrev_i32_e32 v4, 5, v4
	v_add_nc_u32_e32 v2, v3, v2
	s_lshl_b64 s[20:21], s[20:21], 2
	s_delay_alu instid0(SALU_CYCLE_1) | instskip(NEXT) | instid1(VALU_DEP_2)
	s_add_u32 s13, s2, s20
	v_cndmask_b32_e32 v1, s4, v4, vcc_lo
	s_delay_alu instid0(VALU_DEP_2)
	v_ashrrev_i32_e32 v2, 5, v2
	v_cmp_gt_i32_e32 vcc_lo, s17, v3
	s_addc_u32 s16, s3, s21
	s_ashr_i32 s19, s15, 31
	s_add_u32 s2, s8, s15
	s_addc_u32 s3, s9, s19
	v_cndmask_b32_e32 v3, s4, v2, vcc_lo
	v_ashrrev_i32_e32 v2, 31, v1
	s_lshl_b32 s6, s14, 3
	s_delay_alu instid0(SALU_CYCLE_1) | instskip(NEXT) | instid1(VALU_DEP_2)
	s_ashr_i32 s7, s6, 31
	v_ashrrev_i32_e32 v4, 31, v3
	s_delay_alu instid0(VALU_DEP_2) | instskip(SKIP_1) | instid1(SALU_CYCLE_1)
	v_lshlrev_b64 v[1:2], 2, v[1:2]
	s_lshl_b64 s[6:7], s[6:7], 2
	s_add_u32 s6, s13, s6
	s_delay_alu instid0(VALU_DEP_2) | instskip(SKIP_1) | instid1(VALU_DEP_2)
	v_lshlrev_b64 v[3:4], 2, v[3:4]
	s_addc_u32 s7, s16, s7
	v_add_co_u32 v1, vcc_lo, s13, v1
	v_add_co_ci_u32_e32 v2, vcc_lo, s16, v2, vcc_lo
	s_delay_alu instid0(VALU_DEP_3) | instskip(NEXT) | instid1(VALU_DEP_4)
	v_add_co_u32 v3, vcc_lo, s13, v3
	v_add_co_ci_u32_e32 v4, vcc_lo, s16, v4, vcc_lo
	s_clause 0x1
	global_load_b32 v5, v[1:2], off
	global_load_b32 v6, v[3:4], off
	s_or_b32 s8, s12, 32
	s_delay_alu instid0(SALU_CYCLE_1) | instskip(SKIP_2) | instid1(SALU_CYCLE_1)
	s_ashr_i32 s9, s8, 5
	s_cmp_lt_i32 s8, s17
	s_cselect_b32 s8, s9, s4
	s_ashr_i32 s9, s8, 31
	s_delay_alu instid0(SALU_CYCLE_1) | instskip(NEXT) | instid1(SALU_CYCLE_1)
	s_lshl_b64 s[8:9], s[8:9], 2
	s_add_u32 s8, s13, s8
	s_addc_u32 s9, s16, s9
	s_or_b32 s20, s12, 64
	s_delay_alu instid0(SALU_CYCLE_1) | instskip(SKIP_2) | instid1(SALU_CYCLE_1)
	s_ashr_i32 s21, s20, 5
	s_cmp_lt_i32 s20, s17
	s_cselect_b32 s20, s21, s4
	s_ashr_i32 s21, s20, 31
	s_delay_alu instid0(SALU_CYCLE_1) | instskip(NEXT) | instid1(SALU_CYCLE_1)
	s_lshl_b64 s[20:21], s[20:21], 2
	s_add_u32 s20, s13, s20
	s_addc_u32 s21, s16, s21
	;; [unrolled: 10-line block ×5, first 2 shown]
	s_clause 0x5
	s_load_b32 s28, s[6:7], 0x0
	s_load_b32 s8, s[8:9], 0x0
	;; [unrolled: 1-line block ×6, first 2 shown]
	s_mov_b32 s20, 0
	s_delay_alu instid0(SALU_CYCLE_1)
	s_mov_b32 s21, s20
	s_mov_b32 s22, s20
	;; [unrolled: 1-line block ×7, first 2 shown]
	s_delay_alu instid0(SALU_CYCLE_1)
	v_dual_mov_b32 v107, s27 :: v_dual_mov_b32 v106, s26
	v_dual_mov_b32 v104, s24 :: v_dual_mov_b32 v103, s23
	;; [unrolled: 1-line block ×3, first 2 shown]
	v_mov_b32_e32 v100, s20
	s_waitcnt vmcnt(1)
	v_mad_i64_i32 v[1:2], null, v5, s5, s[2:3]
	v_lshlrev_b32_e32 v5, 4, v65
	s_waitcnt vmcnt(0)
	v_mad_i64_i32 v[3:4], null, v6, s5, s[2:3]
	s_or_b32 s2, s12, 0xc0
	s_delay_alu instid0(SALU_CYCLE_1) | instskip(NEXT) | instid1(VALU_DEP_3)
	s_ashr_i32 s3, s2, 5
	v_add_co_u32 v33, vcc_lo, v1, v5
	s_delay_alu instid0(VALU_DEP_4) | instskip(NEXT) | instid1(VALU_DEP_3)
	v_add_co_ci_u32_e32 v34, vcc_lo, 0, v2, vcc_lo
	v_add_co_u32 v35, vcc_lo, v3, v5
	s_delay_alu instid0(VALU_DEP_4)
	v_add_co_ci_u32_e32 v36, vcc_lo, 0, v4, vcc_lo
	s_clause 0xf
	global_load_b128 v[1:4], v[33:34], off
	global_load_b128 v[5:8], v[33:34], off offset:512
	global_load_b128 v[9:12], v[35:36], off offset:256
	;; [unrolled: 1-line block ×15, first 2 shown]
	s_cmp_lt_i32 s2, s17
	v_add_nc_u32_e32 v33, -11, v65
	s_cselect_b32 s2, s3, s4
	v_cmp_gt_u32_e32 vcc_lo, 11, v65
	s_ashr_i32 s3, s2, 31
	v_lshlrev_b32_e32 v34, 5, v65
	s_lshl_b64 s[2:3], s[2:3], 2
	s_delay_alu instid0(SALU_CYCLE_1)
	s_add_u32 s2, s13, s2
	s_addc_u32 s3, s16, s3
	s_or_b32 s6, s12, 0xe0
	v_cndmask_b32_e32 v33, v33, v65, vcc_lo
	s_ashr_i32 s7, s6, 5
	s_cmp_lt_i32 s6, s17
	v_mov_b32_e32 v105, s25
	s_cselect_b32 s6, s7, s4
	v_lshlrev_b32_e32 v72, 6, v33
	s_ashr_i32 s7, s6, 31
	v_lshl_or_b32 v41, v66, 9, v34
	s_lshl_b64 s[6:7], s[6:7], 2
	ds_load_b128 v[33:36], v72
	ds_load_b128 v[37:40], v72 offset:1024
	ds_load_b128 v[108:111], v72 offset:2048
	;; [unrolled: 1-line block ×3, first 2 shown]
	s_load_b32 s4, s[2:3], 0x0
	s_add_u32 s2, s13, s6
	s_addc_u32 s3, s16, s7
	ds_load_b128 v[116:119], v72 offset:4096
	ds_load_b128 v[120:123], v72 offset:5120
	s_load_b32 s2, s[2:3], 0x0
	s_add_u32 s6, s10, s15
	s_addc_u32 s7, s11, s19
	v_add_co_u32 v68, s6, s6, v41
	s_delay_alu instid0(VALU_DEP_1) | instskip(SKIP_1) | instid1(VALU_DEP_1)
	v_add_co_ci_u32_e64 v69, null, s7, 0, s6
	s_waitcnt lgkmcnt(0)
	v_mad_i64_i32 v[41:42], null, s28, s5, v[68:69]
	v_mad_i64_i32 v[70:71], null, s9, s5, v[68:69]
	;; [unrolled: 1-line block ×7, first 2 shown]
	s_clause 0x3
	global_load_b128 v[49:52], v[41:42], off
	global_load_b128 v[53:56], v[41:42], off offset:16
	global_load_b128 v[41:44], v[45:46], off
	global_load_b128 v[45:48], v[45:46], off offset:16
	s_waitcnt vmcnt(18)
	v_wmma_f32_16x16x16_bf16 v[124:131], v[1:8], v[33:40], v[100:107]
	s_waitcnt vmcnt(16)
	v_wmma_f32_16x16x16_bf16 v[100:107], v[9:16], v[33:40], v[100:107]
	s_clause 0x1
	global_load_b128 v[33:36], v[70:71], off
	global_load_b128 v[37:40], v[70:71], off offset:16
	v_mad_i64_i32 v[70:71], null, s2, s5, v[68:69]
	s_waitcnt vmcnt(16)
	v_wmma_f32_16x16x16_bf16 v[124:131], v[17:24], v[108:115], v[124:131]
	s_waitcnt vmcnt(14)
	v_wmma_f32_16x16x16_bf16 v[100:107], v[25:32], v[108:115], v[100:107]
	s_clause 0x7
	global_load_b128 v[25:28], v[132:133], off
	global_load_b128 v[29:32], v[132:133], off offset:16
	global_load_b128 v[1:4], v[134:135], off
	global_load_b128 v[5:8], v[134:135], off offset:16
	;; [unrolled: 2-line block ×4, first 2 shown]
	s_waitcnt vmcnt(20)
	v_wmma_f32_16x16x16_bf16 v[124:131], v[57:64], v[116:123], v[124:131]
	s_clause 0x1
	global_load_b128 v[57:60], v[70:71], off
	global_load_b128 v[61:64], v[70:71], off offset:16
	s_waitcnt vmcnt(20)
	v_wmma_f32_16x16x16_bf16 v[100:107], v[76:83], v[116:123], v[100:107]
	ds_load_b128 v[76:79], v72 offset:6144
	ds_load_b128 v[80:83], v72 offset:7168
	v_and_b32_e32 v68, 0xe0, v0
	v_mbcnt_lo_u32_b32 v69, -1, 0
	s_waitcnt vmcnt(0) lgkmcnt(0)
	s_barrier
	buffer_gl0_inv
	v_add_nc_u32_e32 v68, s12, v68
	v_xor_b32_e32 v70, 16, v69
	s_delay_alu instid0(VALU_DEP_2) | instskip(NEXT) | instid1(VALU_DEP_2)
	v_or_b32_e32 v68, v68, v74
	v_cmp_gt_i32_e32 vcc_lo, 32, v70
	s_delay_alu instid0(VALU_DEP_2)
	v_or_b32_e32 v71, 4, v68
	v_or_b32_e32 v72, 6, v68
	v_cmp_gt_i32_e64 s2, s17, v68
	v_or_b32_e32 v108, 8, v68
	v_wmma_f32_16x16x16_bf16 v[124:131], v[84:91], v[76:83], v[124:131]
	v_cndmask_b32_e32 v69, v69, v70, vcc_lo
	v_or_b32_e32 v70, 2, v68
	v_wmma_f32_16x16x16_bf16 v[100:107], v[92:99], v[76:83], v[100:107]
	v_or_b32_e32 v109, 10, v68
	v_dual_mul_f32 v80, s18, v129 :: v_dual_mul_f32 v81, s18, v128
	v_dual_mul_f32 v92, s18, v125 :: v_dual_mul_f32 v93, s18, v124
	s_delay_alu instid0(VALU_DEP_4)
	v_mul_f32_e32 v96, s18, v105
	v_cmp_gt_i32_e32 vcc_lo, s17, v70
	v_or_b32_e32 v89, 22, v68
	v_dual_mul_f32 v79, s18, v130 :: v_dual_mul_f32 v82, s18, v127
	v_dual_mul_f32 v83, s18, v126 :: v_dual_mul_f32 v94, s18, v107
	v_cndmask_b32_e64 v93, 0xff7fffff, v93, s2
	v_cndmask_b32_e32 v92, 0xff7fffff, v92, vcc_lo
	v_cmp_gt_i32_e64 s3, s17, v71
	v_cmp_gt_i32_e64 s4, s17, v72
	v_or_b32_e32 v84, 12, v68
	v_or_b32_e32 v85, 14, v68
	v_cmp_gt_i32_e64 s5, s17, v108
	v_cndmask_b32_e64 v71, 0xff7fffff, v83, s3
	v_cndmask_b32_e64 v72, 0xff7fffff, v82, s4
	v_cmp_gt_i32_e64 s6, s17, v109
	v_cmp_gt_i32_e64 s12, s17, v89
	v_lshlrev_b32_e32 v89, 2, v69
	v_max3_f32 v82, v93, 0xff7fffff, v92
	v_or_b32_e32 v86, 16, v68
	v_or_b32_e32 v87, 18, v68
	v_mul_f32_e32 v78, s18, v131
	v_cndmask_b32_e64 v81, 0xff7fffff, v81, s5
	v_cndmask_b32_e64 v80, 0xff7fffff, v80, s6
	v_max3_f32 v71, v82, v71, v72
	v_cmp_gt_i32_e64 s7, s17, v84
	v_cmp_gt_i32_e64 s8, s17, v85
	v_or_b32_e32 v88, 20, v68
	v_or_b32_e32 v90, 24, v68
	;; [unrolled: 1-line block ×5, first 2 shown]
	v_dual_mul_f32 v97, s18, v104 :: v_dual_mul_f32 v70, s18, v101
	v_dual_mul_f32 v99, s18, v102 :: v_dual_mul_f32 v68, s18, v100
	v_cndmask_b32_e64 v72, 0xff7fffff, v79, s7
	v_cndmask_b32_e64 v78, 0xff7fffff, v78, s8
	v_max3_f32 v71, v71, v81, v80
	v_cmp_gt_i32_e64 s9, s17, v86
	v_cmp_gt_i32_e64 s10, s17, v87
	v_dual_mul_f32 v95, s18, v106 :: v_dual_mul_f32 v98, s18, v103
	s_delay_alu instid0(VALU_DEP_4) | instskip(NEXT) | instid1(VALU_DEP_4)
	v_max3_f32 v71, v71, v72, v78
	v_cndmask_b32_e64 v68, 0xff7fffff, v68, s9
	s_delay_alu instid0(VALU_DEP_4)
	v_cndmask_b32_e64 v70, 0xff7fffff, v70, s10
	v_cmp_gt_i32_e64 s11, s17, v88
	v_cndmask_b32_e64 v78, 0xff7fffff, v98, s12
	v_cmp_gt_i32_e64 s13, s17, v90
	v_cmp_gt_i32_e64 s15, s17, v91
	v_max3_f32 v68, v71, v68, v70
	v_cndmask_b32_e64 v72, 0xff7fffff, v99, s11
	v_cmp_gt_i32_e64 s16, s17, v76
	v_cndmask_b32_e64 v70, 0xff7fffff, v97, s13
	v_cndmask_b32_e64 v71, 0xff7fffff, v96, s15
	v_cmp_gt_i32_e64 s17, s17, v77
	v_max3_f32 v68, v68, v72, v78
	v_cndmask_b32_e64 v72, 0xff7fffff, v95, s16
	s_delay_alu instid0(VALU_DEP_3) | instskip(NEXT) | instid1(VALU_DEP_3)
	v_cndmask_b32_e64 v76, 0xff7fffff, v94, s17
	v_max3_f32 v68, v68, v70, v71
	s_delay_alu instid0(VALU_DEP_1) | instskip(SKIP_3) | instid1(VALU_DEP_1)
	v_max3_f32 v68, v68, v72, v76
	ds_bpermute_b32 v69, v89, v68
	s_waitcnt lgkmcnt(0)
	v_max_f32_e32 v69, v69, v69
	v_max_f32_e32 v68, v68, v69
	s_delay_alu instid0(VALU_DEP_1) | instskip(NEXT) | instid1(VALU_DEP_1)
	v_fma_f32 v71, s18, v126, -v68
	v_mul_f32_e32 v71, 0x3fb8aa3b, v71
	v_fma_f32 v70, s18, v125, -v68
	v_fma_f32 v69, s18, v124, -v68
	;; [unrolled: 1-line block ×5, first 2 shown]
	s_delay_alu instid0(VALU_DEP_4) | instskip(SKIP_1) | instid1(VALU_DEP_3)
	v_dual_mul_f32 v70, 0x3fb8aa3b, v70 :: v_dual_mul_f32 v69, 0x3fb8aa3b, v69
	v_exp_f32_e32 v71, v71
	v_mul_f32_e32 v72, 0x3fb8aa3b, v72
	v_fma_f32 v81, s18, v105, -v68
	s_delay_alu instid0(VALU_DEP_3)
	v_exp_f32_e32 v70, v70
	v_mul_f32_e32 v77, 0x3fb8aa3b, v76
	v_exp_f32_e32 v69, v69
	v_exp_f32_e32 v72, v72
	v_mul_f32_e32 v81, 0x3fb8aa3b, v81
	v_cndmask_b32_e64 v83, 0, v71, s3
	v_fma_f32 v71, s18, v131, -v68
	s_delay_alu instid0(VALU_DEP_3) | instskip(SKIP_4) | instid1(TRANS32_DEP_3)
	v_exp_f32_e32 v81, v81
	v_cndmask_b32_e32 v76, 0, v70, vcc_lo
	v_exp_f32_e32 v77, v77
	v_cndmask_b32_e64 v80, 0, v69, s2
	v_fma_f32 v69, s18, v129, -v68
	v_cndmask_b32_e64 v85, 0, v72, s4
	v_mul_f32_e32 v71, 0x3fb8aa3b, v71
	v_fma_f32 v72, s18, v100, -v68
	s_delay_alu instid0(VALU_DEP_4) | instskip(SKIP_1) | instid1(VALU_DEP_4)
	v_dual_add_f32 v70, 0, v80 :: v_dual_mul_f32 v69, 0x3fb8aa3b, v69
	v_cmp_gt_u32_e64 s2, 16, v67
	v_exp_f32_e32 v71, v71
	s_delay_alu instid0(TRANS32_DEP_2) | instskip(SKIP_4) | instid1(VALU_DEP_3)
	v_cndmask_b32_e64 v86, 0, v77, s5
	v_fma_f32 v77, s18, v101, -v68
	v_mul_f32_e32 v78, 0x3fb8aa3b, v78
	v_add_f32_e32 v70, v70, v76
	v_exp_f32_e32 v69, v69
	v_mul_f32_e32 v77, 0x3fb8aa3b, v77
	s_delay_alu instid0(VALU_DEP_3) | instskip(NEXT) | instid1(TRANS32_DEP_3)
	v_exp_f32_e32 v78, v78
	v_cndmask_b32_e64 v88, 0, v71, s8
	v_fma_f32 v71, s18, v104, -v68
	s_delay_alu instid0(VALU_DEP_3) | instskip(NEXT) | instid1(TRANS32_DEP_3)
	v_exp_f32_e32 v77, v77
	v_cndmask_b32_e64 v87, 0, v69, s6
	s_delay_alu instid0(VALU_DEP_2)
	v_mul_f32_e32 v71, 0x3fb8aa3b, v71
	s_waitcnt_depctr 0xfff
	v_cndmask_b32_e64 v84, 0, v78, s7
	v_add_f32_e32 v70, v70, v83
	v_fma_f32 v78, s18, v103, -v68
	v_exp_f32_e32 v82, v71
	s_delay_alu instid0(VALU_DEP_2) | instskip(SKIP_1) | instid1(VALU_DEP_3)
	v_add_f32_e32 v70, v70, v85
	v_mul_f32_e32 v72, 0x3fb8aa3b, v72
	v_mul_f32_e32 v78, 0x3fb8aa3b, v78
	s_delay_alu instid0(VALU_DEP_3) | instskip(SKIP_1) | instid1(VALU_DEP_4)
	v_add_f32_e32 v69, v70, v86
	v_fma_f32 v70, s18, v102, -v68
	v_exp_f32_e32 v72, v72
	s_delay_alu instid0(VALU_DEP_3) | instskip(NEXT) | instid1(VALU_DEP_1)
	v_exp_f32_e32 v78, v78
	v_dual_add_f32 v69, v69, v87 :: v_dual_mul_f32 v70, 0x3fb8aa3b, v70
	s_delay_alu instid0(VALU_DEP_1) | instskip(NEXT) | instid1(VALU_DEP_2)
	v_add_f32_e32 v69, v69, v84
	v_exp_f32_e32 v79, v70
	s_delay_alu instid0(TRANS32_DEP_3) | instskip(NEXT) | instid1(VALU_DEP_2)
	v_cndmask_b32_e64 v70, 0, v72, s9
	v_add_f32_e32 v72, v69, v88
	v_cndmask_b32_e64 v69, 0, v77, s10
	v_fma_f32 v77, s18, v106, -v68
	s_waitcnt_depctr 0xfff
	v_cndmask_b32_e64 v71, 0, v79, s11
	v_dual_mul_f32 v77, 0x3fb8aa3b, v77 :: v_dual_add_f32 v72, v72, v70
	s_delay_alu instid0(VALU_DEP_1) | instskip(NEXT) | instid1(VALU_DEP_1)
	v_exp_f32_e32 v90, v77
	v_add_f32_e32 v79, v72, v69
	v_cndmask_b32_e64 v72, 0, v78, s12
	v_cndmask_b32_e64 v77, 0, v82, s13
	s_delay_alu instid0(VALU_DEP_3) | instskip(SKIP_1) | instid1(VALU_DEP_1)
	v_add_f32_e32 v78, v79, v71
	v_fma_f32 v79, s18, v107, -v68
	v_dual_add_f32 v82, v78, v72 :: v_dual_mul_f32 v79, 0x3fb8aa3b, v79
	v_cndmask_b32_e64 v78, 0, v81, s15
	s_delay_alu instid0(VALU_DEP_2) | instskip(NEXT) | instid1(VALU_DEP_3)
	v_add_f32_e32 v81, v82, v77
	v_exp_f32_e32 v82, v79
	v_cndmask_b32_e64 v79, 0, v90, s16
	s_delay_alu instid0(VALU_DEP_2) | instskip(NEXT) | instid1(VALU_DEP_1)
	v_add_f32_e32 v81, v81, v78
	v_add_f32_e32 v90, v81, v79
	s_waitcnt_depctr 0xfff
	v_cndmask_b32_e64 v81, 0, v82, s17
	s_delay_alu instid0(VALU_DEP_1)
	v_add_f32_e32 v82, v90, v81
	ds_bpermute_b32 v89, v89, v82
	s_and_saveexec_b32 s3, s2
	s_cbranch_execz .LBB1896_12
; %bb.11:
	v_mul_u32_u24_e32 v67, 0x44, v66
	s_delay_alu instid0(VALU_DEP_1) | instskip(SKIP_1) | instid1(VALU_DEP_1)
	v_lshl_add_u32 v67, v65, 2, v67
	s_waitcnt lgkmcnt(0)
	v_dual_add_f32 v82, v82, v89 :: v_dual_add_nc_u32 v67, 0x4000, v67
	ds_store_2addr_b32 v67, v68, v82 offset1:136
.LBB1896_12:
	s_or_b32 exec_lo, exec_lo, s3
	v_lshlrev_b32_e32 v67, 2, v65
	s_waitcnt lgkmcnt(0)
	s_barrier
	buffer_gl0_inv
	v_cmp_eq_u32_e32 vcc_lo, 1, v66
	v_add_nc_u32_e32 v82, 0x4000, v67
	v_cmp_eq_u32_e64 s3, 2, v66
	v_cmp_eq_u32_e64 s5, 7, v66
	ds_load_2addr_b32 v[89:90], v82 offset1:17
	ds_load_2addr_b32 v[91:92], v82 offset0:34 offset1:51
	ds_load_2addr_b32 v[93:94], v82 offset0:68 offset1:85
	;; [unrolled: 1-line block ×4, first 2 shown]
	s_waitcnt lgkmcnt(4)
	v_max3_f32 v67, v89, 0xff7fffff, v90
	s_waitcnt lgkmcnt(3)
	s_delay_alu instid0(VALU_DEP_1) | instskip(SKIP_1) | instid1(VALU_DEP_1)
	v_max3_f32 v67, v67, v91, v92
	s_waitcnt lgkmcnt(2)
	v_max3_f32 v67, v67, v93, v94
	s_waitcnt lgkmcnt(1)
	s_delay_alu instid0(VALU_DEP_1) | instskip(NEXT) | instid1(VALU_DEP_1)
	v_max3_f32 v67, v67, v95, v96
	v_sub_f32_e32 v93, v93, v67
	s_delay_alu instid0(VALU_DEP_1) | instskip(NEXT) | instid1(VALU_DEP_1)
	v_dual_sub_f32 v68, v89, v67 :: v_dual_mul_f32 v103, 0x3fb8aa3b, v93
	v_mul_f32_e32 v68, 0x3fb8aa3b, v68
	s_delay_alu instid0(VALU_DEP_1)
	v_exp_f32_e32 v100, v68
	v_sub_f32_e32 v68, v92, v67
	v_sub_f32_e32 v99, v90, v67
	ds_load_2addr_b32 v[89:90], v82 offset0:170 offset1:187
	v_dual_mul_f32 v102, 0x3fb8aa3b, v68 :: v_dual_mul_f32 v99, 0x3fb8aa3b, v99
	s_waitcnt lgkmcnt(1)
	v_fma_f32 v68, v100, v97, 0
	s_delay_alu instid0(VALU_DEP_2) | instskip(NEXT) | instid1(VALU_DEP_2)
	v_exp_f32_e32 v102, v102
	v_exp_f32_e32 v99, v99
	s_waitcnt_depctr 0xfff
	v_fmac_f32_e32 v68, v99, v98
	v_sub_f32_e32 v91, v91, v67
	s_delay_alu instid0(VALU_DEP_1)
	v_mul_f32_e32 v101, 0x3fb8aa3b, v91
	ds_load_2addr_b32 v[91:92], v82 offset0:204 offset1:221
	v_sub_f32_e32 v97, v94, v67
	ds_load_2addr_b32 v[93:94], v82 offset0:238 offset1:255
	s_waitcnt lgkmcnt(0)
	v_exp_f32_e32 v101, v101
	s_barrier
	buffer_gl0_inv
	v_dual_fmac_f32 v68, v101, v89 :: v_dual_sub_f32 v89, v96, v67
	v_dual_sub_f32 v82, v95, v67 :: v_dual_mul_f32 v95, 0x3fb8aa3b, v97
	v_exp_f32_e32 v97, v103
	s_delay_alu instid0(VALU_DEP_2) | instskip(NEXT) | instid1(VALU_DEP_2)
	v_dual_fmac_f32 v68, v102, v90 :: v_dual_mul_f32 v89, 0x3fb8aa3b, v89
	v_mul_f32_e32 v82, 0x3fb8aa3b, v82
	s_delay_alu instid0(VALU_DEP_3) | instskip(NEXT) | instid1(VALU_DEP_2)
	v_exp_f32_e32 v95, v95
	v_exp_f32_e32 v89, v89
	s_delay_alu instid0(VALU_DEP_1)
	v_exp_f32_e32 v82, v82
	v_fmac_f32_e32 v68, v97, v91
	s_delay_alu instid0(TRANS32_DEP_3) | instid1(VALU_DEP_1)
	v_fmac_f32_e32 v68, v95, v92
	s_waitcnt_depctr 0xfff
	v_fmac_f32_e32 v68, v82, v93
	s_delay_alu instid0(VALU_DEP_1) | instskip(NEXT) | instid1(VALU_DEP_1)
	v_fmac_f32_e32 v68, v89, v94
	v_add_f32_e32 v90, 0x358637bd, v68
	s_delay_alu instid0(VALU_DEP_1) | instskip(NEXT) | instid1(VALU_DEP_1)
	v_div_scale_f32 v91, null, v90, v90, 1.0
	v_rcp_f32_e32 v92, v91
	s_waitcnt_depctr 0xfff
	v_fma_f32 v93, -v91, v92, 1.0
	s_delay_alu instid0(VALU_DEP_1) | instskip(SKIP_1) | instid1(VALU_DEP_2)
	v_dual_fmac_f32 v92, v93, v92 :: v_dual_cndmask_b32 v93, v100, v99
	v_cmp_eq_u32_e32 vcc_lo, 3, v66
	v_cndmask_b32_e64 v93, v93, v101, s3
	v_cmp_eq_u32_e64 s3, 4, v66
	s_delay_alu instid0(VALU_DEP_2) | instskip(SKIP_1) | instid1(VALU_DEP_2)
	v_cndmask_b32_e32 v93, v93, v102, vcc_lo
	v_cmp_eq_u32_e32 vcc_lo, 5, v66
	v_cndmask_b32_e64 v93, v93, v97, s3
	v_cmp_eq_u32_e64 s3, 6, v66
	s_delay_alu instid0(VALU_DEP_2) | instskip(SKIP_1) | instid1(VALU_DEP_1)
	v_cndmask_b32_e32 v93, v93, v95, vcc_lo
	v_div_scale_f32 v94, s4, 1.0, v90, 1.0
	s_mov_b32 vcc_lo, s4
	s_delay_alu instid0(VALU_DEP_2) | instskip(NEXT) | instid1(VALU_DEP_2)
	v_cndmask_b32_e64 v82, v93, v82, s3
	v_mul_f32_e32 v96, v94, v92
	s_mov_b32 s3, exec_lo
	s_delay_alu instid0(VALU_DEP_2) | instskip(NEXT) | instid1(VALU_DEP_2)
	v_cndmask_b32_e64 v82, v82, v89, s5
	v_fma_f32 v98, -v91, v96, v94
	s_delay_alu instid0(VALU_DEP_1) | instskip(NEXT) | instid1(VALU_DEP_1)
	v_fmac_f32_e32 v96, v98, v92
	v_fma_f32 v91, -v91, v96, v94
	s_delay_alu instid0(VALU_DEP_1) | instskip(NEXT) | instid1(VALU_DEP_1)
	v_div_fmas_f32 v91, v91, v92, v96
	v_div_fixup_f32 v90, v91, v90, 1.0
	s_delay_alu instid0(VALU_DEP_1) | instskip(NEXT) | instid1(VALU_DEP_1)
	v_mul_f32_e32 v82, v82, v90
	v_mul_f32_e32 v87, v82, v87
	;; [unrolled: 1-line block ×7, first 2 shown]
	v_dual_mul_f32 v86, v82, v83 :: v_dual_and_b32 v91, 0x7f800000, v90
	v_mul_f32_e32 v85, v82, v76
                                        ; implicit-def: $vgpr76
	s_delay_alu instid0(VALU_DEP_2)
	v_cmpx_ne_u32_e32 0x7f800000, v91
	s_xor_b32 s3, exec_lo, s3
; %bb.13:
	v_bfe_u32 v76, v90, 16, 1
	s_delay_alu instid0(VALU_DEP_1)
	v_add3_u32 v76, v90, v76, 0x7fff
                                        ; implicit-def: $vgpr90
; %bb.14:
	s_and_not1_saveexec_b32 s3, s3
; %bb.15:
	v_and_b32_e32 v76, 0xffff, v90
	v_or_b32_e32 v83, 0x10000, v90
	s_delay_alu instid0(VALU_DEP_2) | instskip(NEXT) | instid1(VALU_DEP_2)
	v_cmp_eq_u32_e32 vcc_lo, 0, v76
	v_cndmask_b32_e32 v76, v83, v90, vcc_lo
; %bb.16:
	s_or_b32 exec_lo, exec_lo, s3
	v_and_b32_e32 v83, 0x7f800000, v85
	s_delay_alu instid0(VALU_DEP_1) | instskip(SKIP_1) | instid1(SALU_CYCLE_1)
	v_cmp_ne_u32_e32 vcc_lo, 0x7f800000, v83
                                        ; implicit-def: $vgpr83
	s_and_saveexec_b32 s3, vcc_lo
	s_xor_b32 s3, exec_lo, s3
; %bb.17:
	v_bfe_u32 v83, v85, 16, 1
	s_delay_alu instid0(VALU_DEP_1)
	v_add3_u32 v83, v85, v83, 0x7fff
                                        ; implicit-def: $vgpr85
; %bb.18:
	s_and_not1_saveexec_b32 s3, s3
; %bb.19:
	v_and_b32_e32 v83, 0xffff, v85
	v_or_b32_e32 v90, 0x10000, v85
	s_delay_alu instid0(VALU_DEP_2) | instskip(NEXT) | instid1(VALU_DEP_2)
	v_cmp_eq_u32_e32 vcc_lo, 0, v83
	v_cndmask_b32_e32 v83, v90, v85, vcc_lo
; %bb.20:
	s_or_b32 exec_lo, exec_lo, s3
	v_and_b32_e32 v85, 0x7f800000, v86
	s_delay_alu instid0(VALU_DEP_1) | instskip(SKIP_1) | instid1(SALU_CYCLE_1)
	v_cmp_ne_u32_e32 vcc_lo, 0x7f800000, v85
                                        ; implicit-def: $vgpr85
	s_and_saveexec_b32 s3, vcc_lo
	s_xor_b32 s3, exec_lo, s3
; %bb.21:
	v_bfe_u32 v85, v86, 16, 1
	s_delay_alu instid0(VALU_DEP_1)
	v_add3_u32 v85, v86, v85, 0x7fff
                                        ; implicit-def: $vgpr86
; %bb.22:
	s_and_not1_saveexec_b32 s3, s3
; %bb.23:
	v_and_b32_e32 v85, 0xffff, v86
	v_or_b32_e32 v90, 0x10000, v86
	s_delay_alu instid0(VALU_DEP_2) | instskip(NEXT) | instid1(VALU_DEP_2)
	v_cmp_eq_u32_e32 vcc_lo, 0, v85
	v_cndmask_b32_e32 v85, v90, v86, vcc_lo
; %bb.24:
	s_or_b32 exec_lo, exec_lo, s3
	v_and_b32_e32 v86, 0x7f800000, v89
	s_delay_alu instid0(VALU_DEP_1) | instskip(SKIP_1) | instid1(SALU_CYCLE_1)
	v_cmp_ne_u32_e32 vcc_lo, 0x7f800000, v86
                                        ; implicit-def: $vgpr86
	s_and_saveexec_b32 s3, vcc_lo
	s_xor_b32 s3, exec_lo, s3
; %bb.25:
	v_bfe_u32 v86, v89, 16, 1
	s_delay_alu instid0(VALU_DEP_1)
	v_add3_u32 v86, v89, v86, 0x7fff
                                        ; implicit-def: $vgpr89
; %bb.26:
	s_and_not1_saveexec_b32 s3, s3
; %bb.27:
	v_and_b32_e32 v86, 0xffff, v89
	v_or_b32_e32 v90, 0x10000, v89
	s_delay_alu instid0(VALU_DEP_2) | instskip(NEXT) | instid1(VALU_DEP_2)
	v_cmp_eq_u32_e32 vcc_lo, 0, v86
	v_cndmask_b32_e32 v86, v90, v89, vcc_lo
; %bb.28:
	s_or_b32 exec_lo, exec_lo, s3
	v_and_b32_e32 v89, 0x7f800000, v88
	s_delay_alu instid0(VALU_DEP_1) | instskip(SKIP_1) | instid1(SALU_CYCLE_1)
	v_cmp_ne_u32_e32 vcc_lo, 0x7f800000, v89
                                        ; implicit-def: $vgpr89
	s_and_saveexec_b32 s3, vcc_lo
	s_xor_b32 s3, exec_lo, s3
; %bb.29:
	v_bfe_u32 v89, v88, 16, 1
	s_delay_alu instid0(VALU_DEP_1)
	v_add3_u32 v89, v88, v89, 0x7fff
                                        ; implicit-def: $vgpr88
; %bb.30:
	s_and_not1_saveexec_b32 s3, s3
; %bb.31:
	v_and_b32_e32 v89, 0xffff, v88
	v_or_b32_e32 v90, 0x10000, v88
	s_delay_alu instid0(VALU_DEP_2) | instskip(NEXT) | instid1(VALU_DEP_2)
	v_cmp_eq_u32_e32 vcc_lo, 0, v89
	v_cndmask_b32_e32 v89, v90, v88, vcc_lo
; %bb.32:
	s_or_b32 exec_lo, exec_lo, s3
	v_and_b32_e32 v88, 0x7f800000, v87
	s_delay_alu instid0(VALU_DEP_1) | instskip(SKIP_1) | instid1(SALU_CYCLE_1)
	v_cmp_ne_u32_e32 vcc_lo, 0x7f800000, v88
                                        ; implicit-def: $vgpr88
	s_and_saveexec_b32 s3, vcc_lo
	s_xor_b32 s3, exec_lo, s3
; %bb.33:
	v_bfe_u32 v88, v87, 16, 1
	s_delay_alu instid0(VALU_DEP_1)
	v_add3_u32 v88, v87, v88, 0x7fff
                                        ; implicit-def: $vgpr87
; %bb.34:
	s_and_not1_saveexec_b32 s3, s3
; %bb.35:
	v_and_b32_e32 v88, 0xffff, v87
	v_or_b32_e32 v90, 0x10000, v87
	s_delay_alu instid0(VALU_DEP_2) | instskip(NEXT) | instid1(VALU_DEP_2)
	v_cmp_eq_u32_e32 vcc_lo, 0, v88
	v_cndmask_b32_e32 v88, v90, v87, vcc_lo
; %bb.36:
	s_or_b32 exec_lo, exec_lo, s3
	v_and_b32_e32 v87, 0x7f800000, v84
	s_delay_alu instid0(VALU_DEP_1) | instskip(SKIP_1) | instid1(SALU_CYCLE_1)
	v_cmp_ne_u32_e32 vcc_lo, 0x7f800000, v87
                                        ; implicit-def: $vgpr87
	s_and_saveexec_b32 s3, vcc_lo
	s_xor_b32 s3, exec_lo, s3
; %bb.37:
	v_bfe_u32 v87, v84, 16, 1
	s_delay_alu instid0(VALU_DEP_1)
	v_add3_u32 v87, v84, v87, 0x7fff
                                        ; implicit-def: $vgpr84
; %bb.38:
	s_and_not1_saveexec_b32 s3, s3
; %bb.39:
	v_and_b32_e32 v87, 0xffff, v84
	v_or_b32_e32 v90, 0x10000, v84
	s_delay_alu instid0(VALU_DEP_2) | instskip(NEXT) | instid1(VALU_DEP_2)
	v_cmp_eq_u32_e32 vcc_lo, 0, v87
	v_cndmask_b32_e32 v87, v90, v84, vcc_lo
; %bb.40:
	s_or_b32 exec_lo, exec_lo, s3
	v_and_b32_e32 v84, 0x7f800000, v80
	s_delay_alu instid0(VALU_DEP_1) | instskip(SKIP_1) | instid1(SALU_CYCLE_1)
	v_cmp_ne_u32_e32 vcc_lo, 0x7f800000, v84
                                        ; implicit-def: $vgpr84
	s_and_saveexec_b32 s3, vcc_lo
	s_xor_b32 s3, exec_lo, s3
; %bb.41:
	v_bfe_u32 v84, v80, 16, 1
	s_delay_alu instid0(VALU_DEP_1)
	v_add3_u32 v84, v80, v84, 0x7fff
                                        ; implicit-def: $vgpr80
; %bb.42:
	s_and_not1_saveexec_b32 s3, s3
; %bb.43:
	v_and_b32_e32 v84, 0xffff, v80
	v_or_b32_e32 v90, 0x10000, v80
	s_delay_alu instid0(VALU_DEP_2) | instskip(NEXT) | instid1(VALU_DEP_2)
	v_cmp_eq_u32_e32 vcc_lo, 0, v84
	v_cndmask_b32_e32 v84, v90, v80, vcc_lo
; %bb.44:
	s_or_b32 exec_lo, exec_lo, s3
	s_load_b64 s[34:35], s[0:1], 0x94
	v_lshlrev_b32_e32 v91, 4, v74
	s_delay_alu instid0(VALU_DEP_2)
	v_perm_b32 v90, v84, v87, 0x7060302
	v_dual_mul_f32 v79, v82, v79 :: v_dual_lshlrev_b32 v80, 6, v65
	v_dual_mul_f32 v77, v82, v77 :: v_dual_lshlrev_b32 v92, 11, v66
	v_mul_f32_e32 v84, v82, v70
	v_perm_b32 v89, v88, v89, 0x7060302
	v_perm_b32 v88, v86, v85, 0x7060302
	;; [unrolled: 1-line block ×3, first 2 shown]
	v_mul_f32_e32 v70, v82, v81
	v_or3_b32 v76, v91, v92, v80
	v_dual_mul_f32 v78, v82, v78 :: v_dual_and_b32 v85, 0x7f800000, v84
	v_mul_f32_e32 v83, v82, v72
	v_mul_f32_e32 v81, v82, v71
	v_mul_f32_e32 v72, v82, v69
	s_mov_b32 s3, exec_lo
	ds_store_b128 v76, v[87:90]
                                        ; implicit-def: $vgpr69
	v_cmpx_ne_u32_e32 0x7f800000, v85
	s_xor_b32 s3, exec_lo, s3
; %bb.45:
	v_bfe_u32 v69, v84, 16, 1
	s_delay_alu instid0(VALU_DEP_1)
	v_add3_u32 v69, v84, v69, 0x7fff
                                        ; implicit-def: $vgpr84
; %bb.46:
	s_and_not1_saveexec_b32 s3, s3
; %bb.47:
	v_and_b32_e32 v69, 0xffff, v84
	v_or_b32_e32 v71, 0x10000, v84
	s_delay_alu instid0(VALU_DEP_2) | instskip(NEXT) | instid1(VALU_DEP_2)
	v_cmp_eq_u32_e32 vcc_lo, 0, v69
	v_cndmask_b32_e32 v69, v71, v84, vcc_lo
; %bb.48:
	s_or_b32 exec_lo, exec_lo, s3
	v_and_b32_e32 v71, 0x7f800000, v72
	s_delay_alu instid0(VALU_DEP_1) | instskip(SKIP_1) | instid1(SALU_CYCLE_1)
	v_cmp_ne_u32_e32 vcc_lo, 0x7f800000, v71
                                        ; implicit-def: $vgpr71
	s_and_saveexec_b32 s3, vcc_lo
	s_xor_b32 s3, exec_lo, s3
; %bb.49:
	v_bfe_u32 v71, v72, 16, 1
	s_delay_alu instid0(VALU_DEP_1)
	v_add3_u32 v71, v72, v71, 0x7fff
                                        ; implicit-def: $vgpr72
; %bb.50:
	s_and_not1_saveexec_b32 s3, s3
; %bb.51:
	v_and_b32_e32 v71, 0xffff, v72
	v_or_b32_e32 v82, 0x10000, v72
	s_delay_alu instid0(VALU_DEP_2) | instskip(NEXT) | instid1(VALU_DEP_2)
	v_cmp_eq_u32_e32 vcc_lo, 0, v71
	v_cndmask_b32_e32 v71, v82, v72, vcc_lo
; %bb.52:
	s_or_b32 exec_lo, exec_lo, s3
	v_and_b32_e32 v72, 0x7f800000, v81
	s_delay_alu instid0(VALU_DEP_1) | instskip(SKIP_1) | instid1(SALU_CYCLE_1)
	v_cmp_ne_u32_e32 vcc_lo, 0x7f800000, v72
                                        ; implicit-def: $vgpr72
	s_and_saveexec_b32 s3, vcc_lo
	s_xor_b32 s3, exec_lo, s3
; %bb.53:
	v_bfe_u32 v72, v81, 16, 1
	s_delay_alu instid0(VALU_DEP_1)
	v_add3_u32 v72, v81, v72, 0x7fff
                                        ; implicit-def: $vgpr81
; %bb.54:
	s_and_not1_saveexec_b32 s3, s3
; %bb.55:
	v_and_b32_e32 v72, 0xffff, v81
	v_or_b32_e32 v82, 0x10000, v81
	s_delay_alu instid0(VALU_DEP_2) | instskip(NEXT) | instid1(VALU_DEP_2)
	v_cmp_eq_u32_e32 vcc_lo, 0, v72
	v_cndmask_b32_e32 v72, v82, v81, vcc_lo
; %bb.56:
	s_or_b32 exec_lo, exec_lo, s3
	v_and_b32_e32 v81, 0x7f800000, v83
	s_delay_alu instid0(VALU_DEP_1) | instskip(SKIP_1) | instid1(SALU_CYCLE_1)
	v_cmp_ne_u32_e32 vcc_lo, 0x7f800000, v81
                                        ; implicit-def: $vgpr81
	s_and_saveexec_b32 s3, vcc_lo
	s_xor_b32 s3, exec_lo, s3
; %bb.57:
	v_bfe_u32 v81, v83, 16, 1
	s_delay_alu instid0(VALU_DEP_1)
	v_add3_u32 v81, v83, v81, 0x7fff
                                        ; implicit-def: $vgpr83
; %bb.58:
	s_and_not1_saveexec_b32 s3, s3
; %bb.59:
	v_and_b32_e32 v81, 0xffff, v83
	v_or_b32_e32 v82, 0x10000, v83
	s_delay_alu instid0(VALU_DEP_2) | instskip(NEXT) | instid1(VALU_DEP_2)
	v_cmp_eq_u32_e32 vcc_lo, 0, v81
	v_cndmask_b32_e32 v81, v82, v83, vcc_lo
; %bb.60:
	s_or_b32 exec_lo, exec_lo, s3
	v_and_b32_e32 v82, 0x7f800000, v77
	s_delay_alu instid0(VALU_DEP_1) | instskip(SKIP_1) | instid1(SALU_CYCLE_1)
	v_cmp_ne_u32_e32 vcc_lo, 0x7f800000, v82
                                        ; implicit-def: $vgpr82
	s_and_saveexec_b32 s3, vcc_lo
	s_xor_b32 s3, exec_lo, s3
; %bb.61:
	v_bfe_u32 v82, v77, 16, 1
	s_delay_alu instid0(VALU_DEP_1)
	v_add3_u32 v82, v77, v82, 0x7fff
                                        ; implicit-def: $vgpr77
; %bb.62:
	s_and_not1_saveexec_b32 s3, s3
; %bb.63:
	v_and_b32_e32 v82, 0xffff, v77
	v_or_b32_e32 v83, 0x10000, v77
	s_delay_alu instid0(VALU_DEP_2) | instskip(NEXT) | instid1(VALU_DEP_2)
	v_cmp_eq_u32_e32 vcc_lo, 0, v82
	v_cndmask_b32_e32 v82, v83, v77, vcc_lo
; %bb.64:
	s_or_b32 exec_lo, exec_lo, s3
	v_and_b32_e32 v77, 0x7f800000, v78
	s_delay_alu instid0(VALU_DEP_1) | instskip(SKIP_1) | instid1(SALU_CYCLE_1)
	v_cmp_ne_u32_e32 vcc_lo, 0x7f800000, v77
                                        ; implicit-def: $vgpr77
	s_and_saveexec_b32 s3, vcc_lo
	s_xor_b32 s3, exec_lo, s3
; %bb.65:
	v_bfe_u32 v77, v78, 16, 1
	s_delay_alu instid0(VALU_DEP_1)
	v_add3_u32 v77, v78, v77, 0x7fff
                                        ; implicit-def: $vgpr78
; %bb.66:
	s_and_not1_saveexec_b32 s3, s3
; %bb.67:
	v_and_b32_e32 v77, 0xffff, v78
	v_or_b32_e32 v83, 0x10000, v78
	s_delay_alu instid0(VALU_DEP_2) | instskip(NEXT) | instid1(VALU_DEP_2)
	v_cmp_eq_u32_e32 vcc_lo, 0, v77
	v_cndmask_b32_e32 v77, v83, v78, vcc_lo
; %bb.68:
	s_or_b32 exec_lo, exec_lo, s3
	v_and_b32_e32 v78, 0x7f800000, v79
	s_delay_alu instid0(VALU_DEP_1) | instskip(SKIP_1) | instid1(SALU_CYCLE_1)
	v_cmp_ne_u32_e32 vcc_lo, 0x7f800000, v78
                                        ; implicit-def: $vgpr78
	s_and_saveexec_b32 s3, vcc_lo
	s_xor_b32 s3, exec_lo, s3
; %bb.69:
	v_bfe_u32 v78, v79, 16, 1
	s_delay_alu instid0(VALU_DEP_1)
	v_add3_u32 v78, v79, v78, 0x7fff
                                        ; implicit-def: $vgpr79
; %bb.70:
	s_and_not1_saveexec_b32 s3, s3
; %bb.71:
	v_and_b32_e32 v78, 0xffff, v79
	v_or_b32_e32 v83, 0x10000, v79
	s_delay_alu instid0(VALU_DEP_2) | instskip(NEXT) | instid1(VALU_DEP_2)
	v_cmp_eq_u32_e32 vcc_lo, 0, v78
	v_cndmask_b32_e32 v78, v83, v79, vcc_lo
; %bb.72:
	s_or_b32 exec_lo, exec_lo, s3
	v_and_b32_e32 v79, 0x7f800000, v70
	s_delay_alu instid0(VALU_DEP_1) | instskip(SKIP_1) | instid1(SALU_CYCLE_1)
	v_cmp_ne_u32_e32 vcc_lo, 0x7f800000, v79
                                        ; implicit-def: $vgpr79
	s_and_saveexec_b32 s3, vcc_lo
	s_xor_b32 s3, exec_lo, s3
; %bb.73:
	v_bfe_u32 v79, v70, 16, 1
	s_delay_alu instid0(VALU_DEP_1)
	v_add3_u32 v79, v70, v79, 0x7fff
                                        ; implicit-def: $vgpr70
; %bb.74:
	s_and_not1_saveexec_b32 s3, s3
; %bb.75:
	v_and_b32_e32 v79, 0xffff, v70
	v_or_b32_e32 v83, 0x10000, v70
	s_delay_alu instid0(VALU_DEP_2) | instskip(NEXT) | instid1(VALU_DEP_2)
	v_cmp_eq_u32_e32 vcc_lo, 0, v79
	v_cndmask_b32_e32 v79, v83, v70, vcc_lo
; %bb.76:
	s_or_b32 exec_lo, exec_lo, s3
	s_delay_alu instid0(VALU_DEP_1)
	v_perm_b32 v86, v79, v78, 0x7060302
	v_perm_b32 v85, v77, v82, 0x7060302
	;; [unrolled: 1-line block ×4, first 2 shown]
	v_lshl_or_b32 v82, v66, 11, v80
	ds_store_b128 v76, v[83:86] offset:1024
	s_waitcnt lgkmcnt(0)
	s_barrier
	buffer_gl0_inv
	ds_load_b128 v[69:72], v82
	ds_load_b128 v[83:86], v82 offset:16
	s_waitcnt lgkmcnt(1)
	v_lshrrev_b32_e32 v66, 16, v69
	s_waitcnt lgkmcnt(0)
	v_lshrrev_b32_e32 v91, 16, v83
	v_lshlrev_b32_e32 v78, 2, v74
	v_lshrrev_b32_e32 v95, 16, v70
	v_lshrrev_b32_e32 v98, 16, v84
	;; [unrolled: 1-line block ×4, first 2 shown]
	v_cmp_eq_u32_e32 vcc_lo, 1, v78
	v_lshrrev_b32_e32 v97, 16, v72
	v_lshrrev_b32_e32 v100, 16, v86
	v_cndmask_b32_e32 v87, v83, v91, vcc_lo
	v_or_b32_e32 v79, 1, v78
	v_cndmask_b32_e32 v81, v69, v66, vcc_lo
	v_cmp_eq_u32_e64 s4, 2, v78
	v_cmp_eq_u32_e64 s7, 3, v78
	;; [unrolled: 1-line block ×5, first 2 shown]
	v_cndmask_b32_e64 v81, v81, v70, s4
	v_cndmask_b32_e64 v87, v87, v84, s4
	v_cmp_eq_u32_e64 s8, 3, v79
	v_cndmask_b32_e64 v88, v69, v66, s3
	v_or_b32_e32 v77, 2, v78
	v_cndmask_b32_e64 v81, v81, v95, s7
	v_cndmask_b32_e64 v87, v87, v98, s7
	;; [unrolled: 1-line block ×4, first 2 shown]
	v_cmp_eq_u32_e64 s10, 5, v78
	v_cndmask_b32_e64 v81, v81, v71, s9
	v_cndmask_b32_e64 v87, v87, v85, s9
	v_cmp_eq_u32_e64 s11, 4, v79
	v_cndmask_b32_e64 v88, v88, v95, s8
	v_cmp_eq_u32_e64 s5, 1, v77
	v_cndmask_b32_e64 v89, v89, v84, s6
	v_cndmask_b32_e64 v81, v81, v96, s10
	v_cmp_eq_u32_e64 s12, 6, v78
	v_cndmask_b32_e64 v88, v88, v71, s11
	;; [unrolled: 3-line block ×3, first 2 shown]
	v_cndmask_b32_e64 v89, v89, v98, s8
	v_cndmask_b32_e64 v81, v81, v72, s12
	v_cmp_eq_u32_e64 s15, 7, v78
	v_cndmask_b32_e64 v88, v88, v96, s13
	v_cndmask_b32_e64 v87, v87, v86, s12
	v_cmp_eq_u32_e64 s16, 6, v79
	v_cmp_eq_u32_e64 s17, 2, v77
	v_cndmask_b32_e64 v89, v89, v85, s11
	v_cndmask_b32_e64 v101, v81, v97, s15
	;; [unrolled: 1-line block ×6, first 2 shown]
	v_cmp_eq_u32_e64 s18, 7, v79
	v_cmp_eq_u32_e64 s19, 3, v77
	;; [unrolled: 1-line block ×4, first 2 shown]
	v_cndmask_b32_e64 v87, v87, v84, s17
	v_cndmask_b32_e64 v103, v88, v97, s18
	;; [unrolled: 1-line block ×4, first 2 shown]
	v_or_b32_e32 v81, 3, v78
	v_cndmask_b32_e64 v93, v87, v98, s19
	v_cmp_eq_u32_e64 s24, 6, v77
	v_cndmask_b32_e64 v104, v88, v86, s16
	v_cndmask_b32_e64 v92, v89, v71, s20
	v_cmp_eq_u32_e64 s21, 1, v81
	ds_load_b128 v[87:90], v82 offset:1024
	v_cmp_eq_u32_e64 s23, 2, v81
	v_cmp_eq_u32_e64 s25, 3, v81
	v_cndmask_b32_e64 v105, v92, v96, s22
	v_cndmask_b32_e64 v66, v69, v66, s21
	;; [unrolled: 1-line block ×4, first 2 shown]
	ds_load_b128 v[91:94], v82 offset:1040
	v_cmp_eq_u32_e64 s26, 4, v81
	v_cndmask_b32_e64 v66, v66, v70, s23
	v_cmp_eq_u32_e64 s27, 7, v77
	v_cndmask_b32_e64 v70, v83, v84, s23
	v_cndmask_b32_e64 v84, v105, v72, s24
	v_cmp_eq_u32_e64 s28, 5, v81
	v_cndmask_b32_e64 v66, v66, v95, s25
	v_cmp_eq_u32_e64 s29, 6, v81
	v_cndmask_b32_e64 v70, v70, v98, s25
	v_cndmask_b32_e64 v69, v69, v99, s22
	;; [unrolled: 1-line block ×4, first 2 shown]
	s_waitcnt lgkmcnt(1)
	v_lshrrev_b32_e32 v95, 16, v87
	v_cndmask_b32_e64 v70, v70, v85, s26
	v_cndmask_b32_e64 v71, v84, v97, s27
	;; [unrolled: 1-line block ×4, first 2 shown]
	v_cndmask_b32_e32 v84, v87, v95, vcc_lo
	v_cndmask_b32_e64 v70, v70, v99, s28
	s_waitcnt lgkmcnt(0)
	v_lshrrev_b32_e32 v85, 16, v91
	v_lshrrev_b32_e32 v96, 16, v88
	v_cndmask_b32_e64 v98, v87, v95, s3
	v_cndmask_b32_e64 v84, v84, v88, s4
	;; [unrolled: 1-line block ×3, first 2 shown]
	v_cndmask_b32_e32 v99, v91, v85, vcc_lo
	v_cmp_eq_u32_e32 vcc_lo, 7, v81
	v_cndmask_b32_e64 v66, v66, v72, s29
	v_cndmask_b32_e64 v72, v84, v96, s7
	v_cndmask_b32_e64 v84, v98, v88, s6
	v_lshrrev_b32_e32 v98, 16, v92
	v_cndmask_b32_e32 v70, v70, v100, vcc_lo
	v_cndmask_b32_e64 v86, v99, v92, s4
	v_cndmask_b32_e64 v69, v69, v100, s27
	v_lshrrev_b32_e32 v100, 16, v93
	v_cndmask_b32_e64 v72, v72, v89, s9
	v_lshrrev_b32_e32 v99, 16, v89
	v_cndmask_b32_e64 v86, v86, v98, s7
	v_perm_b32 v71, v69, v71, 0x5040100
	v_cndmask_b32_e64 v84, v84, v96, s8
	s_delay_alu instid0(VALU_DEP_3) | instskip(NEXT) | instid1(VALU_DEP_2)
	v_cndmask_b32_e64 v86, v86, v93, s9
	v_cndmask_b32_e64 v84, v84, v89, s11
	s_delay_alu instid0(VALU_DEP_2) | instskip(NEXT) | instid1(VALU_DEP_1)
	v_cndmask_b32_e64 v86, v86, v100, s10
	v_cndmask_b32_e64 v69, v86, v94, s12
	;; [unrolled: 1-line block ×5, first 2 shown]
	s_delay_alu instid0(VALU_DEP_3) | instskip(NEXT) | instid1(VALU_DEP_3)
	v_cndmask_b32_e64 v86, v86, v88, s17
	v_cndmask_b32_e64 v87, v87, v88, s23
	s_delay_alu instid0(VALU_DEP_3) | instskip(NEXT) | instid1(VALU_DEP_3)
	v_cndmask_b32_e64 v88, v95, v92, s23
	v_cndmask_b32_e64 v86, v86, v96, s19
	s_delay_alu instid0(VALU_DEP_3) | instskip(NEXT) | instid1(VALU_DEP_3)
	v_cndmask_b32_e64 v87, v87, v96, s25
	v_cndmask_b32_e64 v88, v88, v98, s25
	s_delay_alu instid0(VALU_DEP_3) | instskip(NEXT) | instid1(VALU_DEP_3)
	v_cndmask_b32_e64 v86, v86, v89, s20
	v_cndmask_b32_e64 v87, v87, v89, s26
	s_delay_alu instid0(VALU_DEP_3) | instskip(NEXT) | instid1(VALU_DEP_3)
	v_cndmask_b32_e64 v88, v88, v93, s26
	v_cndmask_b32_e64 v86, v86, v99, s22
	s_delay_alu instid0(VALU_DEP_3) | instskip(NEXT) | instid1(VALU_DEP_3)
	v_cndmask_b32_e64 v87, v87, v99, s28
	v_cndmask_b32_e64 v88, v88, v100, s28
	s_delay_alu instid0(VALU_DEP_3) | instskip(NEXT) | instid1(VALU_DEP_3)
	v_cndmask_b32_e64 v86, v86, v90, s24
	v_cndmask_b32_e64 v87, v87, v90, s29
	s_delay_alu instid0(VALU_DEP_3) | instskip(SKIP_2) | instid1(VALU_DEP_2)
	v_cndmask_b32_e64 v88, v88, v94, s29
	v_cndmask_b32_e32 v66, v66, v97, vcc_lo
	v_cndmask_b32_e64 v97, v72, v99, s10
	v_perm_b32 v72, v70, v66, 0x5040100
	v_perm_b32 v70, v83, v103, 0x5040100
	v_cndmask_b32_e64 v103, v91, v85, s5
	v_cndmask_b32_e64 v85, v91, v85, s3
	;; [unrolled: 1-line block ×4, first 2 shown]
	v_lshrrev_b32_e32 v97, 16, v90
	v_cndmask_b32_e64 v91, v103, v92, s17
	v_cndmask_b32_e64 v85, v85, v92, s6
	;; [unrolled: 1-line block ×3, first 2 shown]
	s_mov_b32 s3, exec_lo
	v_cndmask_b32_e64 v83, v84, v97, s15
	v_cndmask_b32_e64 v91, v91, v98, s19
	;; [unrolled: 1-line block ×3, first 2 shown]
	v_lshrrev_b32_e32 v84, 16, v94
	v_cndmask_b32_e64 v66, v66, v97, s18
	v_cndmask_b32_e64 v90, v86, v97, s27
	;; [unrolled: 1-line block ×4, first 2 shown]
	v_dual_cndmask_b32 v86, v87, v97 :: v_dual_cndmask_b32 v87, v88, v84
	v_cndmask_b32_e64 v91, v69, v84, s15
	s_delay_alu instid0(VALU_DEP_4) | instskip(NEXT) | instid1(VALU_DEP_4)
	v_cndmask_b32_e64 v89, v89, v100, s22
	v_cndmask_b32_e64 v85, v85, v100, s13
	v_perm_b32 v69, v102, v101, 0x5040100
	v_perm_b32 v86, v87, v86, 0x5040100
	;; [unrolled: 1-line block ×3, first 2 shown]
	v_cndmask_b32_e64 v89, v89, v94, s24
	v_cndmask_b32_e64 v85, v85, v94, s16
	s_mul_i32 s8, s35, 11
	s_delay_alu instid0(VALU_DEP_2) | instskip(NEXT) | instid1(VALU_DEP_2)
	v_cndmask_b32_e64 v88, v89, v84, s27
	v_cndmask_b32_e64 v89, v85, v84, s18
	s_delay_alu instid0(VALU_DEP_2) | instskip(NEXT) | instid1(VALU_DEP_2)
	v_perm_b32 v85, v88, v90, 0x5040100
	v_perm_b32 v84, v89, v66, 0x5040100
	ds_store_b128 v76, v[69:72]
	ds_store_b128 v76, v[83:86] offset:1024
	v_cmpx_gt_u32_e32 11, v0
	s_cbranch_execz .LBB1896_78
; %bb.77:
	s_mul_i32 s4, s8, s30
	s_delay_alu instid0(SALU_CYCLE_1) | instskip(SKIP_1) | instid1(VALU_DEP_1)
	v_add3_u32 v69, s4, s31, v65
	s_load_b128 s[4:7], s[0:1], 0x58
	v_mad_u64_u32 v[65:66], null, v69, s34, s[14:15]
	s_delay_alu instid0(VALU_DEP_1) | instskip(NEXT) | instid1(VALU_DEP_1)
	v_ashrrev_i32_e32 v66, 31, v65
	v_lshlrev_b64 v[65:66], 2, v[65:66]
	s_waitcnt lgkmcnt(0)
	s_delay_alu instid0(VALU_DEP_1) | instskip(NEXT) | instid1(VALU_DEP_2)
	v_add_co_u32 v69, vcc_lo, s6, v65
	v_add_co_ci_u32_e32 v70, vcc_lo, s7, v66, vcc_lo
	v_add_co_u32 v65, vcc_lo, s4, v65
	v_add_co_ci_u32_e32 v66, vcc_lo, s5, v66, vcc_lo
	global_store_b32 v[69:70], v67, off
	global_store_b32 v[65:66], v68, off
.LBB1896_78:
	s_or_b32 exec_lo, exec_lo, s3
	s_waitcnt lgkmcnt(0)
	s_waitcnt_vscnt null, 0x0
	s_barrier
	buffer_gl0_inv
	ds_load_b128 v[83:86], v80
	ds_load_b128 v[87:90], v80 offset:16
	ds_load_b128 v[95:98], v80 offset:2064
	;; [unrolled: 1-line block ×3, first 2 shown]
	v_mov_b32_e32 v65, 0
	ds_load_b128 v[103:106], v80 offset:4112
	ds_load_b128 v[99:102], v80 offset:4096
	;; [unrolled: 1-line block ×4, first 2 shown]
	v_mov_b32_e32 v66, v65
	v_mov_b32_e32 v67, v65
	v_mov_b32_e32 v68, v65
	v_mov_b32_e32 v69, v65
	v_mov_b32_e32 v70, v65
	v_mov_b32_e32 v71, v65
	v_mov_b32_e32 v72, v65
	s_waitcnt lgkmcnt(6)
	s_delay_alu instid0(VALU_DEP_1)
	v_wmma_f32_16x16x16_bf16 v[65:72], v[49:56], v[83:90], v[65:72]
	ds_load_b128 v[53:56], v80 offset:8208
	ds_load_b128 v[49:52], v80 offset:8192
	s_waitcnt lgkmcnt(6)
	v_wmma_f32_16x16x16_bf16 v[65:72], v[41:48], v[91:98], v[65:72]
	ds_load_b128 v[45:48], v80 offset:10256
	ds_load_b128 v[41:44], v80 offset:10240
	s_waitcnt lgkmcnt(6)
	;; [unrolled: 4-line block ×4, first 2 shown]
	v_wmma_f32_16x16x16_bf16 v[65:72], v[1:8], v[49:56], v[65:72]
	s_waitcnt lgkmcnt(4)
	s_delay_alu instid0(VALU_DEP_1) | instskip(SKIP_1) | instid1(VALU_DEP_1)
	v_wmma_f32_16x16x16_bf16 v[65:72], v[9:16], v[41:48], v[65:72]
	s_waitcnt lgkmcnt(2)
	v_wmma_f32_16x16x16_bf16 v[65:72], v[17:24], v[33:40], v[65:72]
	s_waitcnt lgkmcnt(0)
	s_delay_alu instid0(VALU_DEP_1) | instskip(NEXT) | instid1(VALU_DEP_1)
	v_wmma_f32_16x16x16_bf16 v[65:72], v[57:64], v[25:32], v[65:72]
	v_and_b32_e32 v1, 0x7f800000, v65
	s_delay_alu instid0(VALU_DEP_1) | instskip(SKIP_1) | instid1(SALU_CYCLE_1)
	v_cmp_ne_u32_e32 vcc_lo, 0x7f800000, v1
                                        ; implicit-def: $vgpr1
	s_and_saveexec_b32 s3, vcc_lo
	s_xor_b32 s3, exec_lo, s3
; %bb.79:
	v_bfe_u32 v1, v65, 16, 1
	s_delay_alu instid0(VALU_DEP_1)
	v_add3_u32 v1, v65, v1, 0x7fff
; %bb.80:
	s_and_not1_saveexec_b32 s3, s3
; %bb.81:
	v_and_b32_e32 v1, 0xffff, v65
	v_or_b32_e32 v2, 0x10000, v65
	s_delay_alu instid0(VALU_DEP_2) | instskip(NEXT) | instid1(VALU_DEP_2)
	v_cmp_eq_u32_e32 vcc_lo, 0, v1
	v_cndmask_b32_e32 v1, v2, v65, vcc_lo
; %bb.82:
	s_or_b32 exec_lo, exec_lo, s3
	v_and_b32_e32 v2, 0x7f800000, v66
	s_delay_alu instid0(VALU_DEP_1) | instskip(SKIP_1) | instid1(SALU_CYCLE_1)
	v_cmp_ne_u32_e32 vcc_lo, 0x7f800000, v2
                                        ; implicit-def: $vgpr2
	s_and_saveexec_b32 s3, vcc_lo
	s_xor_b32 s3, exec_lo, s3
; %bb.83:
	v_bfe_u32 v2, v66, 16, 1
	s_delay_alu instid0(VALU_DEP_1)
	v_add3_u32 v2, v66, v2, 0x7fff
; %bb.84:
	s_and_not1_saveexec_b32 s3, s3
; %bb.85:
	v_and_b32_e32 v2, 0xffff, v66
	v_or_b32_e32 v3, 0x10000, v66
	s_delay_alu instid0(VALU_DEP_2) | instskip(NEXT) | instid1(VALU_DEP_2)
	v_cmp_eq_u32_e32 vcc_lo, 0, v2
	v_cndmask_b32_e32 v2, v3, v66, vcc_lo
; %bb.86:
	s_or_b32 exec_lo, exec_lo, s3
	v_and_b32_e32 v3, 0x7f800000, v67
	s_delay_alu instid0(VALU_DEP_1) | instskip(SKIP_1) | instid1(SALU_CYCLE_1)
	v_cmp_ne_u32_e32 vcc_lo, 0x7f800000, v3
                                        ; implicit-def: $vgpr3
	s_and_saveexec_b32 s3, vcc_lo
	s_xor_b32 s3, exec_lo, s3
; %bb.87:
	v_bfe_u32 v3, v67, 16, 1
	s_delay_alu instid0(VALU_DEP_1)
	v_add3_u32 v3, v67, v3, 0x7fff
; %bb.88:
	s_and_not1_saveexec_b32 s3, s3
; %bb.89:
	v_and_b32_e32 v3, 0xffff, v67
	v_or_b32_e32 v4, 0x10000, v67
	s_delay_alu instid0(VALU_DEP_2) | instskip(NEXT) | instid1(VALU_DEP_2)
	v_cmp_eq_u32_e32 vcc_lo, 0, v3
	v_cndmask_b32_e32 v3, v4, v67, vcc_lo
; %bb.90:
	s_or_b32 exec_lo, exec_lo, s3
	v_and_b32_e32 v4, 0x7f800000, v68
	s_delay_alu instid0(VALU_DEP_1) | instskip(SKIP_1) | instid1(SALU_CYCLE_1)
	v_cmp_ne_u32_e32 vcc_lo, 0x7f800000, v4
                                        ; implicit-def: $vgpr4
	s_and_saveexec_b32 s3, vcc_lo
	s_xor_b32 s3, exec_lo, s3
; %bb.91:
	v_bfe_u32 v4, v68, 16, 1
	s_delay_alu instid0(VALU_DEP_1)
	v_add3_u32 v4, v68, v4, 0x7fff
; %bb.92:
	s_and_not1_saveexec_b32 s3, s3
; %bb.93:
	v_and_b32_e32 v4, 0xffff, v68
	v_or_b32_e32 v5, 0x10000, v68
	s_delay_alu instid0(VALU_DEP_2) | instskip(NEXT) | instid1(VALU_DEP_2)
	v_cmp_eq_u32_e32 vcc_lo, 0, v4
	v_cndmask_b32_e32 v4, v5, v68, vcc_lo
; %bb.94:
	s_or_b32 exec_lo, exec_lo, s3
	v_and_b32_e32 v5, 0x7f800000, v69
	s_delay_alu instid0(VALU_DEP_1) | instskip(SKIP_1) | instid1(SALU_CYCLE_1)
	v_cmp_ne_u32_e32 vcc_lo, 0x7f800000, v5
                                        ; implicit-def: $vgpr5
	s_and_saveexec_b32 s3, vcc_lo
	s_xor_b32 s3, exec_lo, s3
; %bb.95:
	v_bfe_u32 v5, v69, 16, 1
	s_delay_alu instid0(VALU_DEP_1)
	v_add3_u32 v5, v69, v5, 0x7fff
; %bb.96:
	s_and_not1_saveexec_b32 s3, s3
; %bb.97:
	v_and_b32_e32 v5, 0xffff, v69
	v_or_b32_e32 v6, 0x10000, v69
	s_delay_alu instid0(VALU_DEP_2) | instskip(NEXT) | instid1(VALU_DEP_2)
	v_cmp_eq_u32_e32 vcc_lo, 0, v5
	v_cndmask_b32_e32 v5, v6, v69, vcc_lo
; %bb.98:
	s_or_b32 exec_lo, exec_lo, s3
	v_and_b32_e32 v6, 0x7f800000, v70
	s_delay_alu instid0(VALU_DEP_1) | instskip(SKIP_1) | instid1(SALU_CYCLE_1)
	v_cmp_ne_u32_e32 vcc_lo, 0x7f800000, v6
                                        ; implicit-def: $vgpr6
	s_and_saveexec_b32 s3, vcc_lo
	s_xor_b32 s3, exec_lo, s3
; %bb.99:
	v_bfe_u32 v6, v70, 16, 1
	s_delay_alu instid0(VALU_DEP_1)
	v_add3_u32 v6, v70, v6, 0x7fff
; %bb.100:
	s_and_not1_saveexec_b32 s3, s3
; %bb.101:
	v_and_b32_e32 v6, 0xffff, v70
	v_or_b32_e32 v7, 0x10000, v70
	s_delay_alu instid0(VALU_DEP_2) | instskip(NEXT) | instid1(VALU_DEP_2)
	v_cmp_eq_u32_e32 vcc_lo, 0, v6
	v_cndmask_b32_e32 v6, v7, v70, vcc_lo
; %bb.102:
	s_or_b32 exec_lo, exec_lo, s3
	v_and_b32_e32 v7, 0x7f800000, v71
	s_delay_alu instid0(VALU_DEP_1) | instskip(SKIP_1) | instid1(SALU_CYCLE_1)
	v_cmp_ne_u32_e32 vcc_lo, 0x7f800000, v7
                                        ; implicit-def: $vgpr7
	s_and_saveexec_b32 s3, vcc_lo
	s_xor_b32 s3, exec_lo, s3
; %bb.103:
	v_bfe_u32 v7, v71, 16, 1
	s_delay_alu instid0(VALU_DEP_1)
	v_add3_u32 v7, v71, v7, 0x7fff
; %bb.104:
	s_and_not1_saveexec_b32 s3, s3
; %bb.105:
	v_and_b32_e32 v7, 0xffff, v71
	v_or_b32_e32 v8, 0x10000, v71
	s_delay_alu instid0(VALU_DEP_2) | instskip(NEXT) | instid1(VALU_DEP_2)
	v_cmp_eq_u32_e32 vcc_lo, 0, v7
	v_cndmask_b32_e32 v7, v8, v71, vcc_lo
; %bb.106:
	s_or_b32 exec_lo, exec_lo, s3
	v_and_b32_e32 v8, 0x7f800000, v72
	s_delay_alu instid0(VALU_DEP_1) | instskip(SKIP_1) | instid1(SALU_CYCLE_1)
	v_cmp_ne_u32_e32 vcc_lo, 0x7f800000, v8
                                        ; implicit-def: $vgpr8
	s_and_saveexec_b32 s3, vcc_lo
	s_xor_b32 s3, exec_lo, s3
; %bb.107:
	v_bfe_u32 v8, v72, 16, 1
	s_delay_alu instid0(VALU_DEP_1)
	v_add3_u32 v8, v72, v8, 0x7fff
                                        ; implicit-def: $vgpr65_vgpr66_vgpr67_vgpr68_vgpr69_vgpr70_vgpr71_vgpr72
; %bb.108:
	s_and_not1_saveexec_b32 s3, s3
; %bb.109:
	v_and_b32_e32 v8, 0xffff, v72
	v_or_b32_e32 v9, 0x10000, v72
	s_delay_alu instid0(VALU_DEP_2) | instskip(NEXT) | instid1(VALU_DEP_2)
	v_cmp_eq_u32_e32 vcc_lo, 0, v8
	v_cndmask_b32_e32 v8, v9, v72, vcc_lo
; %bb.110:
	s_or_b32 exec_lo, exec_lo, s3
	s_delay_alu instid0(VALU_DEP_1)
	v_perm_b32 v7, v8, v7, 0x7060302
	v_perm_b32 v6, v6, v5, 0x7060302
	;; [unrolled: 1-line block ×4, first 2 shown]
	s_barrier
	buffer_gl0_inv
	v_cmp_eq_u32_e32 vcc_lo, 1, v78
	ds_store_b128 v76, v[4:7]
	s_waitcnt lgkmcnt(0)
	s_barrier
	buffer_gl0_inv
	ds_load_b128 v[1:4], v82
	ds_load_b128 v[5:8], v82 offset:16
	v_cmp_eq_u32_e64 s3, 1, v79
	v_cmp_eq_u32_e64 s4, 2, v78
	;; [unrolled: 1-line block ×5, first 2 shown]
	s_waitcnt lgkmcnt(1)
	v_lshrrev_b32_e32 v9, 16, v1
	s_waitcnt lgkmcnt(0)
	v_lshrrev_b32_e32 v13, 16, v5
	v_lshrrev_b32_e32 v10, 16, v2
	;; [unrolled: 1-line block ×4, first 2 shown]
	v_cndmask_b32_e64 v19, v1, v9, s3
	v_cndmask_b32_e32 v18, v5, v13, vcc_lo
	v_cndmask_b32_e64 v20, v5, v13, s3
	v_cndmask_b32_e32 v17, v1, v9, vcc_lo
	v_cmp_eq_u32_e32 vcc_lo, 2, v79
	v_lshrrev_b32_e32 v15, 16, v7
	v_cmp_eq_u32_e64 s3, 1, v77
	v_lshrrev_b32_e32 v12, 16, v4
	v_lshrrev_b32_e32 v16, 16, v8
	v_cndmask_b32_e32 v20, v20, v6, vcc_lo
	v_cndmask_b32_e64 v17, v17, v2, s4
	v_cndmask_b32_e32 v19, v19, v2, vcc_lo
	v_cndmask_b32_e64 v18, v18, v6, s4
	v_cmp_eq_u32_e32 vcc_lo, 4, v78
	v_cmp_eq_u32_e64 s4, 3, v79
	v_cndmask_b32_e64 v17, v17, v10, s5
	v_cndmask_b32_e64 v21, v1, v9, s3
	v_cndmask_b32_e64 v18, v18, v14, s5
	v_cndmask_b32_e64 v22, v5, v13, s3
	v_cndmask_b32_e64 v19, v19, v10, s4
	v_cndmask_b32_e32 v17, v17, v3, vcc_lo
	v_cndmask_b32_e64 v20, v20, v14, s4
	v_cndmask_b32_e32 v18, v18, v7, vcc_lo
	v_cmp_eq_u32_e32 vcc_lo, 4, v79
	v_cmp_eq_u32_e64 s4, 5, v79
	v_cmp_eq_u32_e64 s3, 2, v81
	v_cndmask_b32_e64 v21, v21, v2, s7
	v_cmp_eq_u32_e64 s5, 5, v78
	v_cndmask_b32_e32 v19, v19, v3, vcc_lo
	v_cndmask_b32_e32 v20, v20, v7, vcc_lo
	v_cmp_eq_u32_e32 vcc_lo, 6, v79
	s_delay_alu instid0(VALU_DEP_4) | instskip(NEXT) | instid1(VALU_DEP_4)
	v_cndmask_b32_e64 v17, v17, v11, s5
	v_cndmask_b32_e64 v19, v19, v11, s4
	s_delay_alu instid0(VALU_DEP_4) | instskip(SKIP_1) | instid1(VALU_DEP_3)
	v_cndmask_b32_e64 v20, v20, v15, s4
	v_cmp_eq_u32_e64 s4, 1, v81
	v_cndmask_b32_e32 v19, v19, v4, vcc_lo
	v_cndmask_b32_e64 v18, v18, v15, s5
	s_delay_alu instid0(VALU_DEP_3)
	v_cndmask_b32_e64 v1, v1, v9, s4
	v_cndmask_b32_e64 v5, v5, v13, s4
	v_cmp_eq_u32_e64 s4, 3, v77
	v_cndmask_b32_e64 v13, v22, v6, s7
	v_cmp_eq_u32_e64 s7, 3, v81
	v_cndmask_b32_e64 v1, v1, v2, s3
	v_cndmask_b32_e64 v2, v5, v6, s3
	v_cndmask_b32_e64 v9, v21, v10, s4
	v_cmp_eq_u32_e64 s3, 4, v77
	v_cndmask_b32_e64 v6, v13, v14, s4
	v_cndmask_b32_e64 v1, v1, v10, s7
	v_cmp_eq_u32_e64 s4, 4, v81
	v_cndmask_b32_e64 v2, v2, v14, s7
	v_cndmask_b32_e64 v5, v9, v3, s3
	;; [unrolled: 3-line block ×3, first 2 shown]
	v_cndmask_b32_e64 v2, v2, v7, s4
	v_cmp_eq_u32_e64 s3, 5, v81
	v_cmp_eq_u32_e64 s5, 6, v78
	v_cndmask_b32_e64 v5, v5, v11, s7
	v_cmp_eq_u32_e64 s4, 6, v77
	v_cndmask_b32_e64 v3, v6, v15, s7
	v_cndmask_b32_e64 v1, v1, v11, s3
	v_cmp_eq_u32_e64 s7, 6, v81
	v_cndmask_b32_e64 v2, v2, v15, s3
	v_cndmask_b32_e64 v17, v17, v4, s5
	v_cndmask_b32_e64 v18, v18, v8, s5
	v_cmp_eq_u32_e64 s5, 7, v78
	v_cndmask_b32_e64 v5, v5, v4, s4
	;; [unrolled: 4-line block ×3, first 2 shown]
	v_cmp_eq_u32_e64 s4, 7, v77
	v_cndmask_b32_e32 v4, v20, v8, vcc_lo
	v_cndmask_b32_e64 v17, v17, v12, s5
	v_cndmask_b32_e64 v19, v19, v12, s6
	;; [unrolled: 1-line block ×8, first 2 shown]
	s_mov_b32 s3, exec_lo
	v_perm_b32 v4, v2, v1, 0x5040100
	v_perm_b32 v3, v3, v5, 0x5040100
	;; [unrolled: 1-line block ×4, first 2 shown]
	ds_store_b128 v76, v[1:4]
	s_waitcnt lgkmcnt(0)
	s_barrier
	buffer_gl0_inv
	v_cmpx_gt_u32_e32 32, v0
	s_cbranch_execz .LBB1896_2
; %bb.111:
	s_load_b64 s[4:5], s[0:1], 0x68
	v_lshlrev_b32_e32 v0, 10, v0
	v_lshlrev_b32_e32 v1, 4, v75
	s_lshl_b32 s0, s34, 7
	v_add_nc_u32_e32 v7, s31, v74
	s_mul_i32 s1, s0, s30
	s_delay_alu instid0(SALU_CYCLE_1) | instskip(SKIP_1) | instid1(VALU_DEP_2)
	s_mul_i32 s6, s1, s8
	v_and_or_b32 v0, 0x3800, v0, v1
	v_mul_lo_u32 v1, v7, s0
	v_add_nc_u32_e32 v2, 2, v7
	s_ashr_i32 s7, s6, 31
	v_add_nc_u32_e32 v4, 4, v7
	s_lshl_b64 s[6:7], s[6:7], 1
	v_add_nc_u32_e32 v8, 6, v7
	v_mul_lo_u32 v3, v2, s0
	v_lshl_or_b32 v19, v74, 6, v0
	v_ashrrev_i32_e32 v2, 31, v1
	v_mul_lo_u32 v11, v4, s0
	v_mul_lo_u32 v25, v8, s0
	s_waitcnt lgkmcnt(0)
	s_add_u32 s1, s4, s6
	s_addc_u32 s3, s5, s7
	s_lshl_b32 s4, s14, 7
	v_lshlrev_b64 v[5:6], 1, v[1:2]
	s_ashr_i32 s5, s4, 31
	v_ashrrev_i32_e32 v4, 31, v3
	s_lshl_b64 s[4:5], s[4:5], 1
	v_ashrrev_i32_e32 v12, 31, v11
	s_add_u32 s1, s1, s4
	s_addc_u32 s3, s3, s5
	v_add_co_u32 v1, s1, s1, v73
	s_delay_alu instid0(VALU_DEP_1) | instskip(SKIP_1) | instid1(VALU_DEP_3)
	v_add_co_ci_u32_e64 v2, null, s3, 0, s1
	v_lshlrev_b64 v[3:4], 1, v[3:4]
	v_add_co_u32 v23, vcc_lo, v1, v5
	v_add_nc_u32_e32 v5, 8, v7
	s_delay_alu instid0(VALU_DEP_4) | instskip(NEXT) | instid1(VALU_DEP_4)
	v_add_co_ci_u32_e32 v24, vcc_lo, v2, v6, vcc_lo
	v_add_co_u32 v27, vcc_lo, v1, v3
	s_delay_alu instid0(VALU_DEP_3)
	v_mul_lo_u32 v29, v5, s0
	v_add_co_ci_u32_e32 v28, vcc_lo, v2, v4, vcc_lo
	ds_load_b128 v[3:6], v19
	ds_load_b128 v[7:10], v19 offset:128
	v_lshlrev_b64 v[31:32], 1, v[11:12]
	ds_load_b128 v[11:14], v19 offset:256
	ds_load_b128 v[15:18], v19 offset:384
	;; [unrolled: 1-line block ×3, first 2 shown]
	v_ashrrev_i32_e32 v26, 31, v25
	v_ashrrev_i32_e32 v30, 31, v29
	v_add_co_u32 v31, vcc_lo, v1, v31
	s_delay_alu instid0(VALU_DEP_3) | instskip(NEXT) | instid1(VALU_DEP_3)
	v_lshlrev_b64 v[25:26], 1, v[25:26]
	v_lshlrev_b64 v[29:30], 1, v[29:30]
	v_add_co_ci_u32_e32 v32, vcc_lo, v2, v32, vcc_lo
	s_delay_alu instid0(VALU_DEP_3) | instskip(NEXT) | instid1(VALU_DEP_4)
	v_add_co_u32 v25, vcc_lo, v1, v25
	v_add_co_ci_u32_e32 v26, vcc_lo, v2, v26, vcc_lo
	s_delay_alu instid0(VALU_DEP_4)
	v_add_co_u32 v29, vcc_lo, v1, v29
	v_add_co_ci_u32_e32 v30, vcc_lo, v2, v30, vcc_lo
	s_waitcnt lgkmcnt(4)
	global_store_b128 v[23:24], v[3:6], off
	s_waitcnt lgkmcnt(3)
	global_store_b128 v[27:28], v[7:10], off
	;; [unrolled: 2-line block ×5, first 2 shown]
	s_and_b32 exec_lo, exec_lo, s2
	s_cbranch_execz .LBB1896_2
; %bb.112:
	ds_load_b128 v[3:6], v0 offset:640
	s_add_i32 s1, s31, 10
	s_delay_alu instid0(SALU_CYCLE_1) | instskip(NEXT) | instid1(SALU_CYCLE_1)
	s_mul_i32 s0, s1, s0
	s_ashr_i32 s1, s0, 31
	s_delay_alu instid0(SALU_CYCLE_1) | instskip(NEXT) | instid1(SALU_CYCLE_1)
	s_lshl_b64 s[0:1], s[0:1], 1
	v_add_co_u32 v0, vcc_lo, v1, s0
	v_add_co_ci_u32_e32 v1, vcc_lo, s1, v2, vcc_lo
	s_waitcnt lgkmcnt(0)
	global_store_b128 v[0:1], v[3:6], off
	s_nop 0
	s_sendmsg sendmsg(MSG_DEALLOC_VGPRS)
	s_endpgm
	.section	.rodata,"a",@progbits
	.p2align	6, 0x0
	.amdhsa_kernel _Z39paged_attention_ll4mi_QKV_mfma16_kernelI14__hip_bfloat16hLN4vllm18Fp8KVCacheDataTypeE1ES0_Li32ELi128ELi256ELb1ELi11EL8MFMAType0EEvPKT_PKT0_S9_ifPKiSB_SB_iPKfiiiPfSE_PS4_PT2_iSD_SD_
		.amdhsa_group_segment_fixed_size 17472
		.amdhsa_private_segment_fixed_size 0
		.amdhsa_kernarg_size 400
		.amdhsa_user_sgpr_count 13
		.amdhsa_user_sgpr_dispatch_ptr 0
		.amdhsa_user_sgpr_queue_ptr 0
		.amdhsa_user_sgpr_kernarg_segment_ptr 1
		.amdhsa_user_sgpr_dispatch_id 0
		.amdhsa_user_sgpr_private_segment_size 0
		.amdhsa_wavefront_size32 1
		.amdhsa_uses_dynamic_stack 0
		.amdhsa_enable_private_segment 0
		.amdhsa_system_sgpr_workgroup_id_x 1
		.amdhsa_system_sgpr_workgroup_id_y 1
		.amdhsa_system_sgpr_workgroup_id_z 1
		.amdhsa_system_sgpr_workgroup_info 0
		.amdhsa_system_vgpr_workitem_id 0
		.amdhsa_next_free_vgpr 140
		.amdhsa_next_free_sgpr 36
		.amdhsa_reserve_vcc 1
		.amdhsa_float_round_mode_32 0
		.amdhsa_float_round_mode_16_64 0
		.amdhsa_float_denorm_mode_32 3
		.amdhsa_float_denorm_mode_16_64 3
		.amdhsa_dx10_clamp 1
		.amdhsa_ieee_mode 1
		.amdhsa_fp16_overflow 0
		.amdhsa_workgroup_processor_mode 1
		.amdhsa_memory_ordered 1
		.amdhsa_forward_progress 0
		.amdhsa_shared_vgpr_count 0
		.amdhsa_exception_fp_ieee_invalid_op 0
		.amdhsa_exception_fp_denorm_src 0
		.amdhsa_exception_fp_ieee_div_zero 0
		.amdhsa_exception_fp_ieee_overflow 0
		.amdhsa_exception_fp_ieee_underflow 0
		.amdhsa_exception_fp_ieee_inexact 0
		.amdhsa_exception_int_div_zero 0
	.end_amdhsa_kernel
	.section	.text._Z39paged_attention_ll4mi_QKV_mfma16_kernelI14__hip_bfloat16hLN4vllm18Fp8KVCacheDataTypeE1ES0_Li32ELi128ELi256ELb1ELi11EL8MFMAType0EEvPKT_PKT0_S9_ifPKiSB_SB_iPKfiiiPfSE_PS4_PT2_iSD_SD_,"axG",@progbits,_Z39paged_attention_ll4mi_QKV_mfma16_kernelI14__hip_bfloat16hLN4vllm18Fp8KVCacheDataTypeE1ES0_Li32ELi128ELi256ELb1ELi11EL8MFMAType0EEvPKT_PKT0_S9_ifPKiSB_SB_iPKfiiiPfSE_PS4_PT2_iSD_SD_,comdat
.Lfunc_end1896:
	.size	_Z39paged_attention_ll4mi_QKV_mfma16_kernelI14__hip_bfloat16hLN4vllm18Fp8KVCacheDataTypeE1ES0_Li32ELi128ELi256ELb1ELi11EL8MFMAType0EEvPKT_PKT0_S9_ifPKiSB_SB_iPKfiiiPfSE_PS4_PT2_iSD_SD_, .Lfunc_end1896-_Z39paged_attention_ll4mi_QKV_mfma16_kernelI14__hip_bfloat16hLN4vllm18Fp8KVCacheDataTypeE1ES0_Li32ELi128ELi256ELb1ELi11EL8MFMAType0EEvPKT_PKT0_S9_ifPKiSB_SB_iPKfiiiPfSE_PS4_PT2_iSD_SD_
                                        ; -- End function
	.section	.AMDGPU.csdata,"",@progbits
; Kernel info:
; codeLenInByte = 9048
; NumSgprs: 38
; NumVgprs: 140
; ScratchSize: 0
; MemoryBound: 0
; FloatMode: 240
; IeeeMode: 1
; LDSByteSize: 17472 bytes/workgroup (compile time only)
; SGPRBlocks: 4
; VGPRBlocks: 17
; NumSGPRsForWavesPerEU: 38
; NumVGPRsForWavesPerEU: 140
; Occupancy: 10
; WaveLimiterHint : 1
; COMPUTE_PGM_RSRC2:SCRATCH_EN: 0
; COMPUTE_PGM_RSRC2:USER_SGPR: 13
; COMPUTE_PGM_RSRC2:TRAP_HANDLER: 0
; COMPUTE_PGM_RSRC2:TGID_X_EN: 1
; COMPUTE_PGM_RSRC2:TGID_Y_EN: 1
; COMPUTE_PGM_RSRC2:TGID_Z_EN: 1
; COMPUTE_PGM_RSRC2:TIDIG_COMP_CNT: 0
	.section	.text._Z39paged_attention_ll4mi_QKV_mfma16_kernelI14__hip_bfloat16hLN4vllm18Fp8KVCacheDataTypeE1ES0_Li32ELi128ELi256ELb1ELi12EL8MFMAType0EEvPKT_PKT0_S9_ifPKiSB_SB_iPKfiiiPfSE_PS4_PT2_iSD_SD_,"axG",@progbits,_Z39paged_attention_ll4mi_QKV_mfma16_kernelI14__hip_bfloat16hLN4vllm18Fp8KVCacheDataTypeE1ES0_Li32ELi128ELi256ELb1ELi12EL8MFMAType0EEvPKT_PKT0_S9_ifPKiSB_SB_iPKfiiiPfSE_PS4_PT2_iSD_SD_,comdat
	.protected	_Z39paged_attention_ll4mi_QKV_mfma16_kernelI14__hip_bfloat16hLN4vllm18Fp8KVCacheDataTypeE1ES0_Li32ELi128ELi256ELb1ELi12EL8MFMAType0EEvPKT_PKT0_S9_ifPKiSB_SB_iPKfiiiPfSE_PS4_PT2_iSD_SD_ ; -- Begin function _Z39paged_attention_ll4mi_QKV_mfma16_kernelI14__hip_bfloat16hLN4vllm18Fp8KVCacheDataTypeE1ES0_Li32ELi128ELi256ELb1ELi12EL8MFMAType0EEvPKT_PKT0_S9_ifPKiSB_SB_iPKfiiiPfSE_PS4_PT2_iSD_SD_
	.globl	_Z39paged_attention_ll4mi_QKV_mfma16_kernelI14__hip_bfloat16hLN4vllm18Fp8KVCacheDataTypeE1ES0_Li32ELi128ELi256ELb1ELi12EL8MFMAType0EEvPKT_PKT0_S9_ifPKiSB_SB_iPKfiiiPfSE_PS4_PT2_iSD_SD_
	.p2align	8
	.type	_Z39paged_attention_ll4mi_QKV_mfma16_kernelI14__hip_bfloat16hLN4vllm18Fp8KVCacheDataTypeE1ES0_Li32ELi128ELi256ELb1ELi12EL8MFMAType0EEvPKT_PKT0_S9_ifPKiSB_SB_iPKfiiiPfSE_PS4_PT2_iSD_SD_,@function
_Z39paged_attention_ll4mi_QKV_mfma16_kernelI14__hip_bfloat16hLN4vllm18Fp8KVCacheDataTypeE1ES0_Li32ELi128ELi256ELb1ELi12EL8MFMAType0EEvPKT_PKT0_S9_ifPKiSB_SB_iPKfiiiPfSE_PS4_PT2_iSD_SD_: ; @_Z39paged_attention_ll4mi_QKV_mfma16_kernelI14__hip_bfloat16hLN4vllm18Fp8KVCacheDataTypeE1ES0_Li32ELi128ELi256ELb1ELi12EL8MFMAType0EEvPKT_PKT0_S9_ifPKiSB_SB_iPKfiiiPfSE_PS4_PT2_iSD_SD_
; %bb.0:
	s_load_b64 s[4:5], s[0:1], 0x30
	s_mov_b32 s30, s13
	s_waitcnt lgkmcnt(0)
	s_cmp_lg_u64 s[4:5], 0
	s_cselect_b32 s13, -1, 0
	s_ashr_i32 s31, s30, 31
	s_cmp_eq_u64 s[4:5], 0
	s_cbranch_scc1 .LBB1897_3
; %bb.1:
	s_lshl_b64 s[2:3], s[30:31], 2
	s_delay_alu instid0(SALU_CYCLE_1) | instskip(SKIP_4) | instid1(SALU_CYCLE_1)
	s_add_u32 s2, s4, s2
	s_addc_u32 s3, s5, s3
	s_load_b64 s[2:3], s[2:3], 0x0
	s_waitcnt lgkmcnt(0)
	s_sub_i32 s2, s3, s2
	s_cmp_eq_u32 s2, 1
	s_cselect_b32 s2, -1, 0
	s_delay_alu instid0(SALU_CYCLE_1)
	s_and_not1_b32 vcc_lo, exec_lo, s2
	s_cbranch_vccz .LBB1897_4
.LBB1897_2:
	s_endpgm
.LBB1897_3:
.LBB1897_4:
	s_load_b64 s[2:3], s[0:1], 0x28
	s_lshl_b64 s[6:7], s[30:31], 2
	s_waitcnt lgkmcnt(0)
	s_add_u32 s2, s2, s6
	s_addc_u32 s3, s3, s7
	s_lshl_b32 s12, s14, 8
	s_load_b32 s17, s[2:3], 0x0
	s_waitcnt lgkmcnt(0)
	s_cmp_ge_i32 s12, s17
	s_cbranch_scc1 .LBB1897_2
; %bb.5:
	s_clause 0x1
	s_load_b128 s[8:11], s[0:1], 0x8
	s_load_b64 s[2:3], s[0:1], 0x20
	s_and_not1_b32 vcc_lo, exec_lo, s13
	s_cbranch_vccnz .LBB1897_7
; %bb.6:
	s_add_u32 s4, s4, s6
	s_addc_u32 s5, s5, s7
	s_load_b32 s13, s[4:5], 0x0
	s_branch .LBB1897_8
.LBB1897_7:
	s_mov_b32 s13, s30
.LBB1897_8:
	s_load_b128 s[4:7], s[0:1], 0x48
	v_and_b32_e32 v65, 15, v0
	v_lshrrev_b32_e32 v66, 5, v0
	v_and_b32_e32 v67, 31, v0
	v_and_b32_e32 v75, 1, v0
	v_bfe_u32 v74, v0, 4, 1
	v_lshlrev_b32_e32 v1, 3, v65
	s_mul_i32 s29, s15, 12
	s_waitcnt lgkmcnt(0)
	s_mov_b32 s7, exec_lo
	s_delay_alu instid0(VALU_DEP_1)
	v_lshlrev_b32_e32 v73, 1, v1
	v_cmpx_gt_u32_e32 0xc0, v0
	s_cbranch_execz .LBB1897_10
; %bb.9:
	s_load_b64 s[18:19], s[0:1], 0x0
	v_lshl_or_b32 v5, v66, 1, v74
	s_mul_hi_i32 s21, s13, s4
	s_mul_i32 s20, s13, s4
	v_lshlrev_b32_e32 v6, 10, v65
	s_lshl_b64 s[20:21], s[20:21], 1
	v_add_lshl_u32 v1, v5, s29, 7
	v_lshlrev_b32_e32 v5, 6, v5
	v_lshlrev_b32_e32 v7, 10, v75
	v_and_b32_e32 v6, 0x3800, v6
	s_delay_alu instid0(VALU_DEP_4) | instskip(NEXT) | instid1(VALU_DEP_2)
	v_ashrrev_i32_e32 v2, 31, v1
	v_or3_b32 v5, v6, v7, v5
	s_delay_alu instid0(VALU_DEP_2) | instskip(SKIP_3) | instid1(VALU_DEP_1)
	v_lshlrev_b64 v[1:2], 1, v[1:2]
	s_waitcnt lgkmcnt(0)
	s_add_u32 s4, s18, s20
	s_addc_u32 s13, s19, s21
	v_add_co_u32 v1, vcc_lo, s4, v1
	s_delay_alu instid0(VALU_DEP_2) | instskip(NEXT) | instid1(VALU_DEP_2)
	v_add_co_ci_u32_e32 v2, vcc_lo, s13, v2, vcc_lo
	v_add_co_u32 v1, vcc_lo, v1, v73
	s_delay_alu instid0(VALU_DEP_2)
	v_add_co_ci_u32_e32 v2, vcc_lo, 0, v2, vcc_lo
	global_load_b128 v[1:4], v[1:2], off
	s_waitcnt vmcnt(0)
	ds_store_b128 v5, v[1:4]
.LBB1897_10:
	s_or_b32 exec_lo, exec_lo, s7
	v_and_b32_e32 v1, 0xef, v0
	s_add_i32 s4, s17, 31
	s_clause 0x1
	s_load_b32 s7, s[0:1], 0x38
	s_load_b32 s18, s[0:1], 0x1c
	s_ashr_i32 s13, s4, 31
	v_add_nc_u32_e32 v1, s12, v1
	s_lshr_b32 s13, s13, 27
	s_waitcnt lgkmcnt(0)
	s_add_i32 s4, s4, s13
	s_barrier
	v_ashrrev_i32_e32 v2, 31, v1
	v_or_b32_e32 v3, 16, v1
	s_ashr_i32 s4, s4, 5
	v_cmp_gt_i32_e32 vcc_lo, s17, v1
	s_add_i32 s4, s4, -1
	v_lshrrev_b32_e32 v2, 27, v2
	buffer_gl0_inv
	s_mul_i32 s15, s15, s6
	v_add_nc_u32_e32 v4, v1, v2
	s_mul_i32 s20, s30, s7
	s_delay_alu instid0(SALU_CYCLE_1) | instskip(NEXT) | instid1(VALU_DEP_1)
	s_ashr_i32 s21, s20, 31
	v_ashrrev_i32_e32 v4, 5, v4
	v_add_nc_u32_e32 v2, v3, v2
	s_lshl_b64 s[20:21], s[20:21], 2
	s_delay_alu instid0(SALU_CYCLE_1) | instskip(NEXT) | instid1(VALU_DEP_2)
	s_add_u32 s13, s2, s20
	v_cndmask_b32_e32 v1, s4, v4, vcc_lo
	s_delay_alu instid0(VALU_DEP_2)
	v_ashrrev_i32_e32 v2, 5, v2
	v_cmp_gt_i32_e32 vcc_lo, s17, v3
	s_addc_u32 s16, s3, s21
	s_ashr_i32 s19, s15, 31
	s_add_u32 s2, s8, s15
	s_addc_u32 s3, s9, s19
	v_cndmask_b32_e32 v3, s4, v2, vcc_lo
	v_ashrrev_i32_e32 v2, 31, v1
	s_lshl_b32 s6, s14, 3
	s_delay_alu instid0(SALU_CYCLE_1) | instskip(NEXT) | instid1(VALU_DEP_2)
	s_ashr_i32 s7, s6, 31
	v_ashrrev_i32_e32 v4, 31, v3
	s_delay_alu instid0(VALU_DEP_2) | instskip(SKIP_1) | instid1(SALU_CYCLE_1)
	v_lshlrev_b64 v[1:2], 2, v[1:2]
	s_lshl_b64 s[6:7], s[6:7], 2
	s_add_u32 s6, s13, s6
	s_delay_alu instid0(VALU_DEP_2) | instskip(SKIP_1) | instid1(VALU_DEP_2)
	v_lshlrev_b64 v[3:4], 2, v[3:4]
	s_addc_u32 s7, s16, s7
	v_add_co_u32 v1, vcc_lo, s13, v1
	v_add_co_ci_u32_e32 v2, vcc_lo, s16, v2, vcc_lo
	s_delay_alu instid0(VALU_DEP_3) | instskip(NEXT) | instid1(VALU_DEP_4)
	v_add_co_u32 v3, vcc_lo, s13, v3
	v_add_co_ci_u32_e32 v4, vcc_lo, s16, v4, vcc_lo
	s_clause 0x1
	global_load_b32 v5, v[1:2], off
	global_load_b32 v6, v[3:4], off
	s_or_b32 s8, s12, 32
	s_delay_alu instid0(SALU_CYCLE_1) | instskip(SKIP_2) | instid1(SALU_CYCLE_1)
	s_ashr_i32 s9, s8, 5
	s_cmp_lt_i32 s8, s17
	s_cselect_b32 s8, s9, s4
	s_ashr_i32 s9, s8, 31
	s_delay_alu instid0(SALU_CYCLE_1) | instskip(NEXT) | instid1(SALU_CYCLE_1)
	s_lshl_b64 s[8:9], s[8:9], 2
	s_add_u32 s8, s13, s8
	s_addc_u32 s9, s16, s9
	s_or_b32 s20, s12, 64
	s_delay_alu instid0(SALU_CYCLE_1) | instskip(SKIP_2) | instid1(SALU_CYCLE_1)
	s_ashr_i32 s21, s20, 5
	s_cmp_lt_i32 s20, s17
	s_cselect_b32 s20, s21, s4
	s_ashr_i32 s21, s20, 31
	s_delay_alu instid0(SALU_CYCLE_1) | instskip(NEXT) | instid1(SALU_CYCLE_1)
	s_lshl_b64 s[20:21], s[20:21], 2
	s_add_u32 s20, s13, s20
	s_addc_u32 s21, s16, s21
	;; [unrolled: 10-line block ×5, first 2 shown]
	s_clause 0x5
	s_load_b32 s28, s[6:7], 0x0
	s_load_b32 s8, s[8:9], 0x0
	s_load_b32 s9, s[20:21], 0x0
	s_load_b32 s31, s[22:23], 0x0
	s_load_b32 s33, s[24:25], 0x0
	s_load_b32 s34, s[26:27], 0x0
	s_mov_b32 s20, 0
	s_delay_alu instid0(SALU_CYCLE_1)
	s_mov_b32 s21, s20
	s_mov_b32 s22, s20
	s_mov_b32 s23, s20
	s_mov_b32 s24, s20
	s_mov_b32 s25, s20
	s_mov_b32 s26, s20
	s_mov_b32 s27, s20
	s_delay_alu instid0(SALU_CYCLE_1)
	v_dual_mov_b32 v107, s27 :: v_dual_mov_b32 v106, s26
	v_dual_mov_b32 v104, s24 :: v_dual_mov_b32 v103, s23
	;; [unrolled: 1-line block ×3, first 2 shown]
	v_mov_b32_e32 v100, s20
	s_waitcnt vmcnt(1)
	v_mad_i64_i32 v[1:2], null, v5, s5, s[2:3]
	v_lshlrev_b32_e32 v5, 4, v65
	s_waitcnt vmcnt(0)
	v_mad_i64_i32 v[3:4], null, v6, s5, s[2:3]
	s_or_b32 s2, s12, 0xc0
	s_delay_alu instid0(SALU_CYCLE_1) | instskip(NEXT) | instid1(VALU_DEP_3)
	s_ashr_i32 s3, s2, 5
	v_add_co_u32 v33, vcc_lo, v1, v5
	s_delay_alu instid0(VALU_DEP_4) | instskip(NEXT) | instid1(VALU_DEP_3)
	v_add_co_ci_u32_e32 v34, vcc_lo, 0, v2, vcc_lo
	v_add_co_u32 v35, vcc_lo, v3, v5
	s_delay_alu instid0(VALU_DEP_4)
	v_add_co_ci_u32_e32 v36, vcc_lo, 0, v4, vcc_lo
	s_clause 0xf
	global_load_b128 v[1:4], v[33:34], off
	global_load_b128 v[5:8], v[33:34], off offset:512
	global_load_b128 v[9:12], v[35:36], off offset:256
	;; [unrolled: 1-line block ×15, first 2 shown]
	s_cmp_lt_i32 s2, s17
	v_add_nc_u32_e32 v33, -12, v65
	s_cselect_b32 s2, s3, s4
	v_cmp_gt_u32_e32 vcc_lo, 12, v65
	s_ashr_i32 s3, s2, 31
	v_lshlrev_b32_e32 v34, 5, v65
	s_lshl_b64 s[2:3], s[2:3], 2
	s_delay_alu instid0(SALU_CYCLE_1)
	s_add_u32 s2, s13, s2
	s_addc_u32 s3, s16, s3
	s_or_b32 s6, s12, 0xe0
	v_cndmask_b32_e32 v33, v33, v65, vcc_lo
	s_ashr_i32 s7, s6, 5
	s_cmp_lt_i32 s6, s17
	v_mov_b32_e32 v105, s25
	s_cselect_b32 s6, s7, s4
	v_lshlrev_b32_e32 v72, 6, v33
	s_ashr_i32 s7, s6, 31
	v_lshl_or_b32 v41, v66, 9, v34
	s_lshl_b64 s[6:7], s[6:7], 2
	ds_load_b128 v[33:36], v72
	ds_load_b128 v[37:40], v72 offset:1024
	ds_load_b128 v[108:111], v72 offset:2048
	ds_load_b128 v[112:115], v72 offset:3072
	s_load_b32 s4, s[2:3], 0x0
	s_add_u32 s2, s13, s6
	s_addc_u32 s3, s16, s7
	ds_load_b128 v[116:119], v72 offset:4096
	ds_load_b128 v[120:123], v72 offset:5120
	s_load_b32 s2, s[2:3], 0x0
	s_add_u32 s6, s10, s15
	s_addc_u32 s7, s11, s19
	v_add_co_u32 v68, s6, s6, v41
	s_delay_alu instid0(VALU_DEP_1) | instskip(SKIP_1) | instid1(VALU_DEP_1)
	v_add_co_ci_u32_e64 v69, null, s7, 0, s6
	s_waitcnt lgkmcnt(0)
	v_mad_i64_i32 v[41:42], null, s28, s5, v[68:69]
	v_mad_i64_i32 v[70:71], null, s9, s5, v[68:69]
	v_mad_i64_i32 v[45:46], null, s8, s5, v[68:69]
	v_mad_i64_i32 v[132:133], null, s31, s5, v[68:69]
	v_mad_i64_i32 v[134:135], null, s33, s5, v[68:69]
	v_mad_i64_i32 v[136:137], null, s34, s5, v[68:69]
	v_mad_i64_i32 v[138:139], null, s4, s5, v[68:69]
	s_clause 0x3
	global_load_b128 v[49:52], v[41:42], off
	global_load_b128 v[53:56], v[41:42], off offset:16
	global_load_b128 v[41:44], v[45:46], off
	global_load_b128 v[45:48], v[45:46], off offset:16
	s_waitcnt vmcnt(18)
	v_wmma_f32_16x16x16_bf16 v[124:131], v[1:8], v[33:40], v[100:107]
	s_waitcnt vmcnt(16)
	v_wmma_f32_16x16x16_bf16 v[100:107], v[9:16], v[33:40], v[100:107]
	s_clause 0x1
	global_load_b128 v[33:36], v[70:71], off
	global_load_b128 v[37:40], v[70:71], off offset:16
	v_mad_i64_i32 v[70:71], null, s2, s5, v[68:69]
	s_waitcnt vmcnt(16)
	v_wmma_f32_16x16x16_bf16 v[124:131], v[17:24], v[108:115], v[124:131]
	s_waitcnt vmcnt(14)
	v_wmma_f32_16x16x16_bf16 v[100:107], v[25:32], v[108:115], v[100:107]
	s_clause 0x7
	global_load_b128 v[25:28], v[132:133], off
	global_load_b128 v[29:32], v[132:133], off offset:16
	global_load_b128 v[1:4], v[134:135], off
	global_load_b128 v[5:8], v[134:135], off offset:16
	;; [unrolled: 2-line block ×4, first 2 shown]
	s_waitcnt vmcnt(20)
	v_wmma_f32_16x16x16_bf16 v[124:131], v[57:64], v[116:123], v[124:131]
	s_clause 0x1
	global_load_b128 v[57:60], v[70:71], off
	global_load_b128 v[61:64], v[70:71], off offset:16
	s_waitcnt vmcnt(20)
	v_wmma_f32_16x16x16_bf16 v[100:107], v[76:83], v[116:123], v[100:107]
	ds_load_b128 v[76:79], v72 offset:6144
	ds_load_b128 v[80:83], v72 offset:7168
	v_and_b32_e32 v68, 0xe0, v0
	v_mbcnt_lo_u32_b32 v69, -1, 0
	s_waitcnt vmcnt(0) lgkmcnt(0)
	s_barrier
	buffer_gl0_inv
	v_add_nc_u32_e32 v68, s12, v68
	v_xor_b32_e32 v70, 16, v69
	s_delay_alu instid0(VALU_DEP_2) | instskip(NEXT) | instid1(VALU_DEP_2)
	v_or_b32_e32 v68, v68, v74
	v_cmp_gt_i32_e32 vcc_lo, 32, v70
	s_delay_alu instid0(VALU_DEP_2)
	v_or_b32_e32 v71, 4, v68
	v_or_b32_e32 v72, 6, v68
	v_cmp_gt_i32_e64 s2, s17, v68
	v_or_b32_e32 v108, 8, v68
	v_wmma_f32_16x16x16_bf16 v[124:131], v[84:91], v[76:83], v[124:131]
	v_cndmask_b32_e32 v69, v69, v70, vcc_lo
	v_or_b32_e32 v70, 2, v68
	v_wmma_f32_16x16x16_bf16 v[100:107], v[92:99], v[76:83], v[100:107]
	v_or_b32_e32 v109, 10, v68
	v_dual_mul_f32 v80, s18, v129 :: v_dual_mul_f32 v81, s18, v128
	v_dual_mul_f32 v92, s18, v125 :: v_dual_mul_f32 v93, s18, v124
	s_delay_alu instid0(VALU_DEP_4)
	v_mul_f32_e32 v96, s18, v105
	v_cmp_gt_i32_e32 vcc_lo, s17, v70
	v_or_b32_e32 v89, 22, v68
	v_dual_mul_f32 v79, s18, v130 :: v_dual_mul_f32 v82, s18, v127
	v_dual_mul_f32 v83, s18, v126 :: v_dual_mul_f32 v94, s18, v107
	v_cndmask_b32_e64 v93, 0xff7fffff, v93, s2
	v_cndmask_b32_e32 v92, 0xff7fffff, v92, vcc_lo
	v_cmp_gt_i32_e64 s3, s17, v71
	v_cmp_gt_i32_e64 s4, s17, v72
	v_or_b32_e32 v84, 12, v68
	v_or_b32_e32 v85, 14, v68
	v_cmp_gt_i32_e64 s5, s17, v108
	v_cndmask_b32_e64 v71, 0xff7fffff, v83, s3
	v_cndmask_b32_e64 v72, 0xff7fffff, v82, s4
	v_cmp_gt_i32_e64 s6, s17, v109
	v_cmp_gt_i32_e64 s12, s17, v89
	v_lshlrev_b32_e32 v89, 2, v69
	v_max3_f32 v82, v93, 0xff7fffff, v92
	v_or_b32_e32 v86, 16, v68
	v_or_b32_e32 v87, 18, v68
	v_mul_f32_e32 v78, s18, v131
	v_cndmask_b32_e64 v81, 0xff7fffff, v81, s5
	v_cndmask_b32_e64 v80, 0xff7fffff, v80, s6
	v_max3_f32 v71, v82, v71, v72
	v_cmp_gt_i32_e64 s7, s17, v84
	v_cmp_gt_i32_e64 s8, s17, v85
	v_or_b32_e32 v88, 20, v68
	v_or_b32_e32 v90, 24, v68
	;; [unrolled: 1-line block ×5, first 2 shown]
	v_dual_mul_f32 v97, s18, v104 :: v_dual_mul_f32 v70, s18, v101
	v_dual_mul_f32 v99, s18, v102 :: v_dual_mul_f32 v68, s18, v100
	v_cndmask_b32_e64 v72, 0xff7fffff, v79, s7
	v_cndmask_b32_e64 v78, 0xff7fffff, v78, s8
	v_max3_f32 v71, v71, v81, v80
	v_cmp_gt_i32_e64 s9, s17, v86
	v_cmp_gt_i32_e64 s10, s17, v87
	v_dual_mul_f32 v95, s18, v106 :: v_dual_mul_f32 v98, s18, v103
	s_delay_alu instid0(VALU_DEP_4) | instskip(NEXT) | instid1(VALU_DEP_4)
	v_max3_f32 v71, v71, v72, v78
	v_cndmask_b32_e64 v68, 0xff7fffff, v68, s9
	s_delay_alu instid0(VALU_DEP_4)
	v_cndmask_b32_e64 v70, 0xff7fffff, v70, s10
	v_cmp_gt_i32_e64 s11, s17, v88
	v_cndmask_b32_e64 v78, 0xff7fffff, v98, s12
	v_cmp_gt_i32_e64 s13, s17, v90
	v_cmp_gt_i32_e64 s15, s17, v91
	v_max3_f32 v68, v71, v68, v70
	v_cndmask_b32_e64 v72, 0xff7fffff, v99, s11
	v_cmp_gt_i32_e64 s16, s17, v76
	v_cndmask_b32_e64 v70, 0xff7fffff, v97, s13
	v_cndmask_b32_e64 v71, 0xff7fffff, v96, s15
	v_cmp_gt_i32_e64 s17, s17, v77
	v_max3_f32 v68, v68, v72, v78
	v_cndmask_b32_e64 v72, 0xff7fffff, v95, s16
	s_delay_alu instid0(VALU_DEP_3) | instskip(NEXT) | instid1(VALU_DEP_3)
	v_cndmask_b32_e64 v76, 0xff7fffff, v94, s17
	v_max3_f32 v68, v68, v70, v71
	s_delay_alu instid0(VALU_DEP_1) | instskip(SKIP_3) | instid1(VALU_DEP_1)
	v_max3_f32 v68, v68, v72, v76
	ds_bpermute_b32 v69, v89, v68
	s_waitcnt lgkmcnt(0)
	v_max_f32_e32 v69, v69, v69
	v_max_f32_e32 v68, v68, v69
	s_delay_alu instid0(VALU_DEP_1) | instskip(NEXT) | instid1(VALU_DEP_1)
	v_fma_f32 v71, s18, v126, -v68
	v_mul_f32_e32 v71, 0x3fb8aa3b, v71
	v_fma_f32 v70, s18, v125, -v68
	v_fma_f32 v69, s18, v124, -v68
	;; [unrolled: 1-line block ×5, first 2 shown]
	s_delay_alu instid0(VALU_DEP_4) | instskip(SKIP_1) | instid1(VALU_DEP_3)
	v_dual_mul_f32 v70, 0x3fb8aa3b, v70 :: v_dual_mul_f32 v69, 0x3fb8aa3b, v69
	v_exp_f32_e32 v71, v71
	v_mul_f32_e32 v72, 0x3fb8aa3b, v72
	v_fma_f32 v81, s18, v105, -v68
	s_delay_alu instid0(VALU_DEP_3)
	v_exp_f32_e32 v70, v70
	v_mul_f32_e32 v77, 0x3fb8aa3b, v76
	v_exp_f32_e32 v69, v69
	v_exp_f32_e32 v72, v72
	v_mul_f32_e32 v81, 0x3fb8aa3b, v81
	v_cndmask_b32_e64 v83, 0, v71, s3
	v_fma_f32 v71, s18, v131, -v68
	s_delay_alu instid0(VALU_DEP_3) | instskip(SKIP_4) | instid1(TRANS32_DEP_3)
	v_exp_f32_e32 v81, v81
	v_cndmask_b32_e32 v76, 0, v70, vcc_lo
	v_exp_f32_e32 v77, v77
	v_cndmask_b32_e64 v80, 0, v69, s2
	v_fma_f32 v69, s18, v129, -v68
	v_cndmask_b32_e64 v85, 0, v72, s4
	v_mul_f32_e32 v71, 0x3fb8aa3b, v71
	v_fma_f32 v72, s18, v100, -v68
	s_delay_alu instid0(VALU_DEP_4) | instskip(SKIP_1) | instid1(VALU_DEP_3)
	v_dual_add_f32 v70, 0, v80 :: v_dual_mul_f32 v69, 0x3fb8aa3b, v69
	s_mov_b32 s2, exec_lo
	v_exp_f32_e32 v71, v71
	s_delay_alu instid0(TRANS32_DEP_2) | instskip(SKIP_4) | instid1(VALU_DEP_3)
	v_cndmask_b32_e64 v86, 0, v77, s5
	v_fma_f32 v77, s18, v101, -v68
	v_mul_f32_e32 v78, 0x3fb8aa3b, v78
	v_add_f32_e32 v70, v70, v76
	v_exp_f32_e32 v69, v69
	v_mul_f32_e32 v77, 0x3fb8aa3b, v77
	s_delay_alu instid0(VALU_DEP_3) | instskip(NEXT) | instid1(TRANS32_DEP_3)
	v_exp_f32_e32 v78, v78
	v_cndmask_b32_e64 v88, 0, v71, s8
	v_fma_f32 v71, s18, v104, -v68
	s_delay_alu instid0(VALU_DEP_3) | instskip(NEXT) | instid1(TRANS32_DEP_3)
	v_exp_f32_e32 v77, v77
	v_cndmask_b32_e64 v87, 0, v69, s6
	s_delay_alu instid0(VALU_DEP_2)
	v_mul_f32_e32 v71, 0x3fb8aa3b, v71
	s_waitcnt_depctr 0xfff
	v_cndmask_b32_e64 v84, 0, v78, s7
	v_add_f32_e32 v70, v70, v83
	v_fma_f32 v78, s18, v103, -v68
	v_exp_f32_e32 v82, v71
	s_delay_alu instid0(VALU_DEP_2) | instskip(SKIP_1) | instid1(VALU_DEP_3)
	v_add_f32_e32 v70, v70, v85
	v_mul_f32_e32 v72, 0x3fb8aa3b, v72
	v_mul_f32_e32 v78, 0x3fb8aa3b, v78
	s_delay_alu instid0(VALU_DEP_3) | instskip(SKIP_1) | instid1(VALU_DEP_4)
	v_add_f32_e32 v69, v70, v86
	v_fma_f32 v70, s18, v102, -v68
	v_exp_f32_e32 v72, v72
	s_delay_alu instid0(VALU_DEP_3) | instskip(NEXT) | instid1(VALU_DEP_1)
	v_exp_f32_e32 v78, v78
	v_dual_add_f32 v69, v69, v87 :: v_dual_mul_f32 v70, 0x3fb8aa3b, v70
	s_delay_alu instid0(VALU_DEP_1) | instskip(NEXT) | instid1(VALU_DEP_2)
	v_add_f32_e32 v69, v69, v84
	v_exp_f32_e32 v79, v70
	s_delay_alu instid0(TRANS32_DEP_3) | instskip(NEXT) | instid1(VALU_DEP_2)
	v_cndmask_b32_e64 v70, 0, v72, s9
	v_add_f32_e32 v72, v69, v88
	v_cndmask_b32_e64 v69, 0, v77, s10
	v_fma_f32 v77, s18, v106, -v68
	s_waitcnt_depctr 0xfff
	v_cndmask_b32_e64 v71, 0, v79, s11
	v_dual_mul_f32 v77, 0x3fb8aa3b, v77 :: v_dual_add_f32 v72, v72, v70
	s_delay_alu instid0(VALU_DEP_1) | instskip(NEXT) | instid1(VALU_DEP_1)
	v_exp_f32_e32 v90, v77
	v_add_f32_e32 v79, v72, v69
	v_cndmask_b32_e64 v72, 0, v78, s12
	v_cndmask_b32_e64 v77, 0, v82, s13
	s_delay_alu instid0(VALU_DEP_3) | instskip(SKIP_1) | instid1(VALU_DEP_1)
	v_add_f32_e32 v78, v79, v71
	v_fma_f32 v79, s18, v107, -v68
	v_dual_add_f32 v82, v78, v72 :: v_dual_mul_f32 v79, 0x3fb8aa3b, v79
	v_cndmask_b32_e64 v78, 0, v81, s15
	s_delay_alu instid0(VALU_DEP_2) | instskip(NEXT) | instid1(VALU_DEP_3)
	v_add_f32_e32 v81, v82, v77
	v_exp_f32_e32 v82, v79
	v_cndmask_b32_e64 v79, 0, v90, s16
	s_delay_alu instid0(VALU_DEP_2) | instskip(NEXT) | instid1(VALU_DEP_1)
	v_add_f32_e32 v81, v81, v78
	v_add_f32_e32 v90, v81, v79
	s_waitcnt_depctr 0xfff
	v_cndmask_b32_e64 v81, 0, v82, s17
	s_delay_alu instid0(VALU_DEP_1)
	v_add_f32_e32 v82, v90, v81
	ds_bpermute_b32 v89, v89, v82
	v_cmpx_gt_u32_e32 16, v67
	s_cbranch_execz .LBB1897_12
; %bb.11:
	v_mul_u32_u24_e32 v67, 0x44, v66
	s_delay_alu instid0(VALU_DEP_1) | instskip(SKIP_1) | instid1(VALU_DEP_1)
	v_lshl_add_u32 v67, v65, 2, v67
	s_waitcnt lgkmcnt(0)
	v_dual_add_f32 v82, v82, v89 :: v_dual_add_nc_u32 v67, 0x4000, v67
	ds_store_2addr_b32 v67, v68, v82 offset1:136
.LBB1897_12:
	s_or_b32 exec_lo, exec_lo, s2
	v_lshlrev_b32_e32 v67, 2, v65
	s_waitcnt lgkmcnt(0)
	s_barrier
	buffer_gl0_inv
	v_cmp_eq_u32_e32 vcc_lo, 1, v66
	v_add_nc_u32_e32 v82, 0x4000, v67
	v_cmp_eq_u32_e64 s2, 2, v66
	v_cmp_eq_u32_e64 s4, 7, v66
	ds_load_2addr_b32 v[89:90], v82 offset1:17
	ds_load_2addr_b32 v[91:92], v82 offset0:34 offset1:51
	ds_load_2addr_b32 v[93:94], v82 offset0:68 offset1:85
	ds_load_2addr_b32 v[95:96], v82 offset0:102 offset1:119
	ds_load_2addr_b32 v[97:98], v82 offset0:136 offset1:153
	s_waitcnt lgkmcnt(4)
	v_max3_f32 v67, v89, 0xff7fffff, v90
	s_waitcnt lgkmcnt(3)
	s_delay_alu instid0(VALU_DEP_1) | instskip(SKIP_1) | instid1(VALU_DEP_1)
	v_max3_f32 v67, v67, v91, v92
	s_waitcnt lgkmcnt(2)
	v_max3_f32 v67, v67, v93, v94
	s_waitcnt lgkmcnt(1)
	s_delay_alu instid0(VALU_DEP_1) | instskip(NEXT) | instid1(VALU_DEP_1)
	v_max3_f32 v67, v67, v95, v96
	v_sub_f32_e32 v93, v93, v67
	s_delay_alu instid0(VALU_DEP_1) | instskip(NEXT) | instid1(VALU_DEP_1)
	v_dual_sub_f32 v68, v89, v67 :: v_dual_mul_f32 v103, 0x3fb8aa3b, v93
	v_mul_f32_e32 v68, 0x3fb8aa3b, v68
	s_delay_alu instid0(VALU_DEP_1)
	v_exp_f32_e32 v100, v68
	v_sub_f32_e32 v68, v92, v67
	v_sub_f32_e32 v99, v90, v67
	ds_load_2addr_b32 v[89:90], v82 offset0:170 offset1:187
	v_dual_mul_f32 v102, 0x3fb8aa3b, v68 :: v_dual_mul_f32 v99, 0x3fb8aa3b, v99
	s_waitcnt lgkmcnt(1)
	v_fma_f32 v68, v100, v97, 0
	s_delay_alu instid0(VALU_DEP_2) | instskip(NEXT) | instid1(VALU_DEP_2)
	v_exp_f32_e32 v102, v102
	v_exp_f32_e32 v99, v99
	s_waitcnt_depctr 0xfff
	v_fmac_f32_e32 v68, v99, v98
	v_sub_f32_e32 v91, v91, v67
	s_delay_alu instid0(VALU_DEP_1)
	v_mul_f32_e32 v101, 0x3fb8aa3b, v91
	ds_load_2addr_b32 v[91:92], v82 offset0:204 offset1:221
	v_sub_f32_e32 v97, v94, v67
	ds_load_2addr_b32 v[93:94], v82 offset0:238 offset1:255
	s_waitcnt lgkmcnt(0)
	v_exp_f32_e32 v101, v101
	s_barrier
	buffer_gl0_inv
	v_dual_fmac_f32 v68, v101, v89 :: v_dual_sub_f32 v89, v96, v67
	v_dual_sub_f32 v82, v95, v67 :: v_dual_mul_f32 v95, 0x3fb8aa3b, v97
	v_exp_f32_e32 v97, v103
	s_delay_alu instid0(VALU_DEP_2) | instskip(NEXT) | instid1(VALU_DEP_2)
	v_dual_fmac_f32 v68, v102, v90 :: v_dual_mul_f32 v89, 0x3fb8aa3b, v89
	v_mul_f32_e32 v82, 0x3fb8aa3b, v82
	s_delay_alu instid0(VALU_DEP_3) | instskip(NEXT) | instid1(VALU_DEP_2)
	v_exp_f32_e32 v95, v95
	v_exp_f32_e32 v89, v89
	s_delay_alu instid0(VALU_DEP_1)
	v_exp_f32_e32 v82, v82
	v_fmac_f32_e32 v68, v97, v91
	s_delay_alu instid0(TRANS32_DEP_3) | instid1(VALU_DEP_1)
	v_fmac_f32_e32 v68, v95, v92
	s_waitcnt_depctr 0xfff
	v_fmac_f32_e32 v68, v82, v93
	s_delay_alu instid0(VALU_DEP_1) | instskip(NEXT) | instid1(VALU_DEP_1)
	v_fmac_f32_e32 v68, v89, v94
	v_add_f32_e32 v90, 0x358637bd, v68
	s_delay_alu instid0(VALU_DEP_1) | instskip(NEXT) | instid1(VALU_DEP_1)
	v_div_scale_f32 v91, null, v90, v90, 1.0
	v_rcp_f32_e32 v92, v91
	s_waitcnt_depctr 0xfff
	v_fma_f32 v93, -v91, v92, 1.0
	s_delay_alu instid0(VALU_DEP_1) | instskip(SKIP_1) | instid1(VALU_DEP_2)
	v_dual_fmac_f32 v92, v93, v92 :: v_dual_cndmask_b32 v93, v100, v99
	v_cmp_eq_u32_e32 vcc_lo, 3, v66
	v_cndmask_b32_e64 v93, v93, v101, s2
	v_cmp_eq_u32_e64 s2, 4, v66
	s_delay_alu instid0(VALU_DEP_2) | instskip(SKIP_1) | instid1(VALU_DEP_2)
	v_cndmask_b32_e32 v93, v93, v102, vcc_lo
	v_cmp_eq_u32_e32 vcc_lo, 5, v66
	v_cndmask_b32_e64 v93, v93, v97, s2
	v_cmp_eq_u32_e64 s2, 6, v66
	s_delay_alu instid0(VALU_DEP_2) | instskip(SKIP_1) | instid1(VALU_DEP_1)
	v_cndmask_b32_e32 v93, v93, v95, vcc_lo
	v_div_scale_f32 v94, s3, 1.0, v90, 1.0
	s_mov_b32 vcc_lo, s3
	s_delay_alu instid0(VALU_DEP_2) | instskip(NEXT) | instid1(VALU_DEP_2)
	v_cndmask_b32_e64 v82, v93, v82, s2
	v_mul_f32_e32 v96, v94, v92
	s_mov_b32 s2, exec_lo
	s_delay_alu instid0(VALU_DEP_2) | instskip(NEXT) | instid1(VALU_DEP_2)
	v_cndmask_b32_e64 v82, v82, v89, s4
	v_fma_f32 v98, -v91, v96, v94
	s_delay_alu instid0(VALU_DEP_1) | instskip(NEXT) | instid1(VALU_DEP_1)
	v_fmac_f32_e32 v96, v98, v92
	v_fma_f32 v91, -v91, v96, v94
	s_delay_alu instid0(VALU_DEP_1) | instskip(NEXT) | instid1(VALU_DEP_1)
	v_div_fmas_f32 v91, v91, v92, v96
	v_div_fixup_f32 v90, v91, v90, 1.0
	s_delay_alu instid0(VALU_DEP_1) | instskip(NEXT) | instid1(VALU_DEP_1)
	v_mul_f32_e32 v82, v82, v90
	v_mul_f32_e32 v87, v82, v87
	;; [unrolled: 1-line block ×7, first 2 shown]
	v_dual_mul_f32 v86, v82, v83 :: v_dual_and_b32 v91, 0x7f800000, v90
	v_mul_f32_e32 v85, v82, v76
                                        ; implicit-def: $vgpr76
	s_delay_alu instid0(VALU_DEP_2)
	v_cmpx_ne_u32_e32 0x7f800000, v91
	s_xor_b32 s2, exec_lo, s2
; %bb.13:
	v_bfe_u32 v76, v90, 16, 1
	s_delay_alu instid0(VALU_DEP_1)
	v_add3_u32 v76, v90, v76, 0x7fff
                                        ; implicit-def: $vgpr90
; %bb.14:
	s_and_not1_saveexec_b32 s2, s2
; %bb.15:
	v_and_b32_e32 v76, 0xffff, v90
	v_or_b32_e32 v83, 0x10000, v90
	s_delay_alu instid0(VALU_DEP_2) | instskip(NEXT) | instid1(VALU_DEP_2)
	v_cmp_eq_u32_e32 vcc_lo, 0, v76
	v_cndmask_b32_e32 v76, v83, v90, vcc_lo
; %bb.16:
	s_or_b32 exec_lo, exec_lo, s2
	v_and_b32_e32 v83, 0x7f800000, v85
	s_delay_alu instid0(VALU_DEP_1) | instskip(SKIP_1) | instid1(SALU_CYCLE_1)
	v_cmp_ne_u32_e32 vcc_lo, 0x7f800000, v83
                                        ; implicit-def: $vgpr83
	s_and_saveexec_b32 s2, vcc_lo
	s_xor_b32 s2, exec_lo, s2
; %bb.17:
	v_bfe_u32 v83, v85, 16, 1
	s_delay_alu instid0(VALU_DEP_1)
	v_add3_u32 v83, v85, v83, 0x7fff
                                        ; implicit-def: $vgpr85
; %bb.18:
	s_and_not1_saveexec_b32 s2, s2
; %bb.19:
	v_and_b32_e32 v83, 0xffff, v85
	v_or_b32_e32 v90, 0x10000, v85
	s_delay_alu instid0(VALU_DEP_2) | instskip(NEXT) | instid1(VALU_DEP_2)
	v_cmp_eq_u32_e32 vcc_lo, 0, v83
	v_cndmask_b32_e32 v83, v90, v85, vcc_lo
; %bb.20:
	s_or_b32 exec_lo, exec_lo, s2
	v_and_b32_e32 v85, 0x7f800000, v86
	s_delay_alu instid0(VALU_DEP_1) | instskip(SKIP_1) | instid1(SALU_CYCLE_1)
	v_cmp_ne_u32_e32 vcc_lo, 0x7f800000, v85
                                        ; implicit-def: $vgpr85
	s_and_saveexec_b32 s2, vcc_lo
	s_xor_b32 s2, exec_lo, s2
; %bb.21:
	v_bfe_u32 v85, v86, 16, 1
	s_delay_alu instid0(VALU_DEP_1)
	v_add3_u32 v85, v86, v85, 0x7fff
                                        ; implicit-def: $vgpr86
; %bb.22:
	s_and_not1_saveexec_b32 s2, s2
; %bb.23:
	v_and_b32_e32 v85, 0xffff, v86
	v_or_b32_e32 v90, 0x10000, v86
	s_delay_alu instid0(VALU_DEP_2) | instskip(NEXT) | instid1(VALU_DEP_2)
	v_cmp_eq_u32_e32 vcc_lo, 0, v85
	v_cndmask_b32_e32 v85, v90, v86, vcc_lo
; %bb.24:
	s_or_b32 exec_lo, exec_lo, s2
	v_and_b32_e32 v86, 0x7f800000, v89
	s_delay_alu instid0(VALU_DEP_1) | instskip(SKIP_1) | instid1(SALU_CYCLE_1)
	v_cmp_ne_u32_e32 vcc_lo, 0x7f800000, v86
                                        ; implicit-def: $vgpr86
	s_and_saveexec_b32 s2, vcc_lo
	s_xor_b32 s2, exec_lo, s2
; %bb.25:
	v_bfe_u32 v86, v89, 16, 1
	s_delay_alu instid0(VALU_DEP_1)
	v_add3_u32 v86, v89, v86, 0x7fff
                                        ; implicit-def: $vgpr89
; %bb.26:
	s_and_not1_saveexec_b32 s2, s2
; %bb.27:
	v_and_b32_e32 v86, 0xffff, v89
	v_or_b32_e32 v90, 0x10000, v89
	s_delay_alu instid0(VALU_DEP_2) | instskip(NEXT) | instid1(VALU_DEP_2)
	v_cmp_eq_u32_e32 vcc_lo, 0, v86
	v_cndmask_b32_e32 v86, v90, v89, vcc_lo
; %bb.28:
	s_or_b32 exec_lo, exec_lo, s2
	v_and_b32_e32 v89, 0x7f800000, v88
	s_delay_alu instid0(VALU_DEP_1) | instskip(SKIP_1) | instid1(SALU_CYCLE_1)
	v_cmp_ne_u32_e32 vcc_lo, 0x7f800000, v89
                                        ; implicit-def: $vgpr89
	s_and_saveexec_b32 s2, vcc_lo
	s_xor_b32 s2, exec_lo, s2
; %bb.29:
	v_bfe_u32 v89, v88, 16, 1
	s_delay_alu instid0(VALU_DEP_1)
	v_add3_u32 v89, v88, v89, 0x7fff
                                        ; implicit-def: $vgpr88
; %bb.30:
	s_and_not1_saveexec_b32 s2, s2
; %bb.31:
	v_and_b32_e32 v89, 0xffff, v88
	v_or_b32_e32 v90, 0x10000, v88
	s_delay_alu instid0(VALU_DEP_2) | instskip(NEXT) | instid1(VALU_DEP_2)
	v_cmp_eq_u32_e32 vcc_lo, 0, v89
	v_cndmask_b32_e32 v89, v90, v88, vcc_lo
; %bb.32:
	s_or_b32 exec_lo, exec_lo, s2
	v_and_b32_e32 v88, 0x7f800000, v87
	s_delay_alu instid0(VALU_DEP_1) | instskip(SKIP_1) | instid1(SALU_CYCLE_1)
	v_cmp_ne_u32_e32 vcc_lo, 0x7f800000, v88
                                        ; implicit-def: $vgpr88
	s_and_saveexec_b32 s2, vcc_lo
	s_xor_b32 s2, exec_lo, s2
; %bb.33:
	v_bfe_u32 v88, v87, 16, 1
	s_delay_alu instid0(VALU_DEP_1)
	v_add3_u32 v88, v87, v88, 0x7fff
                                        ; implicit-def: $vgpr87
; %bb.34:
	s_and_not1_saveexec_b32 s2, s2
; %bb.35:
	v_and_b32_e32 v88, 0xffff, v87
	v_or_b32_e32 v90, 0x10000, v87
	s_delay_alu instid0(VALU_DEP_2) | instskip(NEXT) | instid1(VALU_DEP_2)
	v_cmp_eq_u32_e32 vcc_lo, 0, v88
	v_cndmask_b32_e32 v88, v90, v87, vcc_lo
; %bb.36:
	s_or_b32 exec_lo, exec_lo, s2
	v_and_b32_e32 v87, 0x7f800000, v84
	s_delay_alu instid0(VALU_DEP_1) | instskip(SKIP_1) | instid1(SALU_CYCLE_1)
	v_cmp_ne_u32_e32 vcc_lo, 0x7f800000, v87
                                        ; implicit-def: $vgpr87
	s_and_saveexec_b32 s2, vcc_lo
	s_xor_b32 s2, exec_lo, s2
; %bb.37:
	v_bfe_u32 v87, v84, 16, 1
	s_delay_alu instid0(VALU_DEP_1)
	v_add3_u32 v87, v84, v87, 0x7fff
                                        ; implicit-def: $vgpr84
; %bb.38:
	s_and_not1_saveexec_b32 s2, s2
; %bb.39:
	v_and_b32_e32 v87, 0xffff, v84
	v_or_b32_e32 v90, 0x10000, v84
	s_delay_alu instid0(VALU_DEP_2) | instskip(NEXT) | instid1(VALU_DEP_2)
	v_cmp_eq_u32_e32 vcc_lo, 0, v87
	v_cndmask_b32_e32 v87, v90, v84, vcc_lo
; %bb.40:
	s_or_b32 exec_lo, exec_lo, s2
	v_and_b32_e32 v84, 0x7f800000, v80
	s_delay_alu instid0(VALU_DEP_1) | instskip(SKIP_1) | instid1(SALU_CYCLE_1)
	v_cmp_ne_u32_e32 vcc_lo, 0x7f800000, v84
                                        ; implicit-def: $vgpr84
	s_and_saveexec_b32 s2, vcc_lo
	s_xor_b32 s2, exec_lo, s2
; %bb.41:
	v_bfe_u32 v84, v80, 16, 1
	s_delay_alu instid0(VALU_DEP_1)
	v_add3_u32 v84, v80, v84, 0x7fff
                                        ; implicit-def: $vgpr80
; %bb.42:
	s_and_not1_saveexec_b32 s2, s2
; %bb.43:
	v_and_b32_e32 v84, 0xffff, v80
	v_or_b32_e32 v90, 0x10000, v80
	s_delay_alu instid0(VALU_DEP_2) | instskip(NEXT) | instid1(VALU_DEP_2)
	v_cmp_eq_u32_e32 vcc_lo, 0, v84
	v_cndmask_b32_e32 v84, v90, v80, vcc_lo
; %bb.44:
	s_or_b32 exec_lo, exec_lo, s2
	s_load_b64 s[34:35], s[0:1], 0x94
	v_lshlrev_b32_e32 v91, 4, v74
	s_delay_alu instid0(VALU_DEP_2)
	v_perm_b32 v90, v84, v87, 0x7060302
	v_dual_mul_f32 v79, v82, v79 :: v_dual_lshlrev_b32 v80, 6, v65
	v_dual_mul_f32 v77, v82, v77 :: v_dual_lshlrev_b32 v92, 11, v66
	v_mul_f32_e32 v84, v82, v70
	v_perm_b32 v89, v88, v89, 0x7060302
	v_perm_b32 v88, v86, v85, 0x7060302
	;; [unrolled: 1-line block ×3, first 2 shown]
	v_mul_f32_e32 v70, v82, v81
	v_or3_b32 v76, v91, v92, v80
	v_dual_mul_f32 v78, v82, v78 :: v_dual_and_b32 v85, 0x7f800000, v84
	v_mul_f32_e32 v83, v82, v72
	v_mul_f32_e32 v81, v82, v71
	;; [unrolled: 1-line block ×3, first 2 shown]
	s_mov_b32 s2, exec_lo
	ds_store_b128 v76, v[87:90]
                                        ; implicit-def: $vgpr69
	v_cmpx_ne_u32_e32 0x7f800000, v85
	s_xor_b32 s2, exec_lo, s2
; %bb.45:
	v_bfe_u32 v69, v84, 16, 1
	s_delay_alu instid0(VALU_DEP_1)
	v_add3_u32 v69, v84, v69, 0x7fff
                                        ; implicit-def: $vgpr84
; %bb.46:
	s_and_not1_saveexec_b32 s2, s2
; %bb.47:
	v_and_b32_e32 v69, 0xffff, v84
	v_or_b32_e32 v71, 0x10000, v84
	s_delay_alu instid0(VALU_DEP_2) | instskip(NEXT) | instid1(VALU_DEP_2)
	v_cmp_eq_u32_e32 vcc_lo, 0, v69
	v_cndmask_b32_e32 v69, v71, v84, vcc_lo
; %bb.48:
	s_or_b32 exec_lo, exec_lo, s2
	v_and_b32_e32 v71, 0x7f800000, v72
	s_delay_alu instid0(VALU_DEP_1) | instskip(SKIP_1) | instid1(SALU_CYCLE_1)
	v_cmp_ne_u32_e32 vcc_lo, 0x7f800000, v71
                                        ; implicit-def: $vgpr71
	s_and_saveexec_b32 s2, vcc_lo
	s_xor_b32 s2, exec_lo, s2
; %bb.49:
	v_bfe_u32 v71, v72, 16, 1
	s_delay_alu instid0(VALU_DEP_1)
	v_add3_u32 v71, v72, v71, 0x7fff
                                        ; implicit-def: $vgpr72
; %bb.50:
	s_and_not1_saveexec_b32 s2, s2
; %bb.51:
	v_and_b32_e32 v71, 0xffff, v72
	v_or_b32_e32 v82, 0x10000, v72
	s_delay_alu instid0(VALU_DEP_2) | instskip(NEXT) | instid1(VALU_DEP_2)
	v_cmp_eq_u32_e32 vcc_lo, 0, v71
	v_cndmask_b32_e32 v71, v82, v72, vcc_lo
; %bb.52:
	s_or_b32 exec_lo, exec_lo, s2
	v_and_b32_e32 v72, 0x7f800000, v81
	s_delay_alu instid0(VALU_DEP_1) | instskip(SKIP_1) | instid1(SALU_CYCLE_1)
	v_cmp_ne_u32_e32 vcc_lo, 0x7f800000, v72
                                        ; implicit-def: $vgpr72
	s_and_saveexec_b32 s2, vcc_lo
	s_xor_b32 s2, exec_lo, s2
; %bb.53:
	v_bfe_u32 v72, v81, 16, 1
	s_delay_alu instid0(VALU_DEP_1)
	v_add3_u32 v72, v81, v72, 0x7fff
                                        ; implicit-def: $vgpr81
; %bb.54:
	s_and_not1_saveexec_b32 s2, s2
; %bb.55:
	v_and_b32_e32 v72, 0xffff, v81
	v_or_b32_e32 v82, 0x10000, v81
	s_delay_alu instid0(VALU_DEP_2) | instskip(NEXT) | instid1(VALU_DEP_2)
	v_cmp_eq_u32_e32 vcc_lo, 0, v72
	v_cndmask_b32_e32 v72, v82, v81, vcc_lo
; %bb.56:
	s_or_b32 exec_lo, exec_lo, s2
	v_and_b32_e32 v81, 0x7f800000, v83
	s_delay_alu instid0(VALU_DEP_1) | instskip(SKIP_1) | instid1(SALU_CYCLE_1)
	v_cmp_ne_u32_e32 vcc_lo, 0x7f800000, v81
                                        ; implicit-def: $vgpr81
	s_and_saveexec_b32 s2, vcc_lo
	s_xor_b32 s2, exec_lo, s2
; %bb.57:
	v_bfe_u32 v81, v83, 16, 1
	s_delay_alu instid0(VALU_DEP_1)
	v_add3_u32 v81, v83, v81, 0x7fff
                                        ; implicit-def: $vgpr83
; %bb.58:
	s_and_not1_saveexec_b32 s2, s2
; %bb.59:
	v_and_b32_e32 v81, 0xffff, v83
	v_or_b32_e32 v82, 0x10000, v83
	s_delay_alu instid0(VALU_DEP_2) | instskip(NEXT) | instid1(VALU_DEP_2)
	v_cmp_eq_u32_e32 vcc_lo, 0, v81
	v_cndmask_b32_e32 v81, v82, v83, vcc_lo
; %bb.60:
	s_or_b32 exec_lo, exec_lo, s2
	v_and_b32_e32 v82, 0x7f800000, v77
	s_delay_alu instid0(VALU_DEP_1) | instskip(SKIP_1) | instid1(SALU_CYCLE_1)
	v_cmp_ne_u32_e32 vcc_lo, 0x7f800000, v82
                                        ; implicit-def: $vgpr82
	s_and_saveexec_b32 s2, vcc_lo
	s_xor_b32 s2, exec_lo, s2
; %bb.61:
	v_bfe_u32 v82, v77, 16, 1
	s_delay_alu instid0(VALU_DEP_1)
	v_add3_u32 v82, v77, v82, 0x7fff
                                        ; implicit-def: $vgpr77
; %bb.62:
	s_and_not1_saveexec_b32 s2, s2
; %bb.63:
	v_and_b32_e32 v82, 0xffff, v77
	v_or_b32_e32 v83, 0x10000, v77
	s_delay_alu instid0(VALU_DEP_2) | instskip(NEXT) | instid1(VALU_DEP_2)
	v_cmp_eq_u32_e32 vcc_lo, 0, v82
	v_cndmask_b32_e32 v82, v83, v77, vcc_lo
; %bb.64:
	s_or_b32 exec_lo, exec_lo, s2
	v_and_b32_e32 v77, 0x7f800000, v78
	s_delay_alu instid0(VALU_DEP_1) | instskip(SKIP_1) | instid1(SALU_CYCLE_1)
	v_cmp_ne_u32_e32 vcc_lo, 0x7f800000, v77
                                        ; implicit-def: $vgpr77
	s_and_saveexec_b32 s2, vcc_lo
	s_xor_b32 s2, exec_lo, s2
; %bb.65:
	v_bfe_u32 v77, v78, 16, 1
	s_delay_alu instid0(VALU_DEP_1)
	v_add3_u32 v77, v78, v77, 0x7fff
                                        ; implicit-def: $vgpr78
; %bb.66:
	s_and_not1_saveexec_b32 s2, s2
; %bb.67:
	v_and_b32_e32 v77, 0xffff, v78
	v_or_b32_e32 v83, 0x10000, v78
	s_delay_alu instid0(VALU_DEP_2) | instskip(NEXT) | instid1(VALU_DEP_2)
	v_cmp_eq_u32_e32 vcc_lo, 0, v77
	v_cndmask_b32_e32 v77, v83, v78, vcc_lo
; %bb.68:
	s_or_b32 exec_lo, exec_lo, s2
	v_and_b32_e32 v78, 0x7f800000, v79
	s_delay_alu instid0(VALU_DEP_1) | instskip(SKIP_1) | instid1(SALU_CYCLE_1)
	v_cmp_ne_u32_e32 vcc_lo, 0x7f800000, v78
                                        ; implicit-def: $vgpr78
	s_and_saveexec_b32 s2, vcc_lo
	s_xor_b32 s2, exec_lo, s2
; %bb.69:
	v_bfe_u32 v78, v79, 16, 1
	s_delay_alu instid0(VALU_DEP_1)
	v_add3_u32 v78, v79, v78, 0x7fff
                                        ; implicit-def: $vgpr79
; %bb.70:
	s_and_not1_saveexec_b32 s2, s2
; %bb.71:
	v_and_b32_e32 v78, 0xffff, v79
	v_or_b32_e32 v83, 0x10000, v79
	s_delay_alu instid0(VALU_DEP_2) | instskip(NEXT) | instid1(VALU_DEP_2)
	v_cmp_eq_u32_e32 vcc_lo, 0, v78
	v_cndmask_b32_e32 v78, v83, v79, vcc_lo
; %bb.72:
	s_or_b32 exec_lo, exec_lo, s2
	v_and_b32_e32 v79, 0x7f800000, v70
	s_delay_alu instid0(VALU_DEP_1) | instskip(SKIP_1) | instid1(SALU_CYCLE_1)
	v_cmp_ne_u32_e32 vcc_lo, 0x7f800000, v79
                                        ; implicit-def: $vgpr79
	s_and_saveexec_b32 s2, vcc_lo
	s_xor_b32 s2, exec_lo, s2
; %bb.73:
	v_bfe_u32 v79, v70, 16, 1
	s_delay_alu instid0(VALU_DEP_1)
	v_add3_u32 v79, v70, v79, 0x7fff
                                        ; implicit-def: $vgpr70
; %bb.74:
	s_and_not1_saveexec_b32 s2, s2
; %bb.75:
	v_and_b32_e32 v79, 0xffff, v70
	v_or_b32_e32 v83, 0x10000, v70
	s_delay_alu instid0(VALU_DEP_2) | instskip(NEXT) | instid1(VALU_DEP_2)
	v_cmp_eq_u32_e32 vcc_lo, 0, v79
	v_cndmask_b32_e32 v79, v83, v70, vcc_lo
; %bb.76:
	s_or_b32 exec_lo, exec_lo, s2
	s_delay_alu instid0(VALU_DEP_1)
	v_perm_b32 v86, v79, v78, 0x7060302
	v_perm_b32 v85, v77, v82, 0x7060302
	v_perm_b32 v84, v81, v72, 0x7060302
	v_perm_b32 v83, v71, v69, 0x7060302
	v_lshl_or_b32 v82, v66, 11, v80
	ds_store_b128 v76, v[83:86] offset:1024
	s_waitcnt lgkmcnt(0)
	s_barrier
	buffer_gl0_inv
	ds_load_b128 v[69:72], v82
	ds_load_b128 v[83:86], v82 offset:16
	s_waitcnt lgkmcnt(1)
	v_lshrrev_b32_e32 v66, 16, v69
	s_waitcnt lgkmcnt(0)
	v_lshrrev_b32_e32 v91, 16, v83
	v_lshlrev_b32_e32 v78, 2, v74
	v_lshrrev_b32_e32 v95, 16, v70
	v_lshrrev_b32_e32 v98, 16, v84
	;; [unrolled: 1-line block ×4, first 2 shown]
	v_cmp_eq_u32_e32 vcc_lo, 1, v78
	v_lshrrev_b32_e32 v97, 16, v72
	v_lshrrev_b32_e32 v100, 16, v86
	v_cndmask_b32_e32 v87, v83, v91, vcc_lo
	v_or_b32_e32 v79, 1, v78
	v_cndmask_b32_e32 v81, v69, v66, vcc_lo
	v_cmp_eq_u32_e64 s3, 2, v78
	v_cmp_eq_u32_e64 s6, 3, v78
	;; [unrolled: 1-line block ×5, first 2 shown]
	v_cndmask_b32_e64 v81, v81, v70, s3
	v_cndmask_b32_e64 v87, v87, v84, s3
	v_cmp_eq_u32_e64 s7, 3, v79
	v_cndmask_b32_e64 v88, v69, v66, s2
	v_or_b32_e32 v77, 2, v78
	v_cndmask_b32_e64 v81, v81, v95, s6
	v_cndmask_b32_e64 v87, v87, v98, s6
	;; [unrolled: 1-line block ×4, first 2 shown]
	v_cmp_eq_u32_e64 s9, 5, v78
	v_cndmask_b32_e64 v81, v81, v71, s8
	v_cndmask_b32_e64 v87, v87, v85, s8
	v_cmp_eq_u32_e64 s10, 4, v79
	v_cndmask_b32_e64 v88, v88, v95, s7
	v_cmp_eq_u32_e64 s4, 1, v77
	v_cndmask_b32_e64 v89, v89, v84, s5
	v_cndmask_b32_e64 v81, v81, v96, s9
	v_cmp_eq_u32_e64 s11, 6, v78
	v_cndmask_b32_e64 v88, v88, v71, s10
	;; [unrolled: 3-line block ×3, first 2 shown]
	v_cndmask_b32_e64 v89, v89, v98, s7
	v_cndmask_b32_e64 v81, v81, v72, s11
	v_cmp_eq_u32_e64 s13, 7, v78
	v_cndmask_b32_e64 v88, v88, v96, s12
	v_cndmask_b32_e64 v87, v87, v86, s11
	v_cmp_eq_u32_e64 s15, 6, v79
	v_cmp_eq_u32_e64 s16, 2, v77
	v_cndmask_b32_e64 v89, v89, v85, s10
	v_cndmask_b32_e64 v101, v81, v97, s13
	;; [unrolled: 1-line block ×6, first 2 shown]
	v_cmp_eq_u32_e64 s17, 7, v79
	v_cmp_eq_u32_e64 s18, 3, v77
	;; [unrolled: 1-line block ×4, first 2 shown]
	v_cndmask_b32_e64 v87, v87, v84, s16
	v_cndmask_b32_e64 v103, v88, v97, s17
	;; [unrolled: 1-line block ×4, first 2 shown]
	v_or_b32_e32 v81, 3, v78
	v_cndmask_b32_e64 v93, v87, v98, s18
	v_cmp_eq_u32_e64 s23, 6, v77
	v_cndmask_b32_e64 v104, v88, v86, s15
	v_cndmask_b32_e64 v92, v89, v71, s19
	v_cmp_eq_u32_e64 s20, 1, v81
	ds_load_b128 v[87:90], v82 offset:1024
	v_cmp_eq_u32_e64 s22, 2, v81
	v_cmp_eq_u32_e64 s24, 3, v81
	v_cndmask_b32_e64 v105, v92, v96, s21
	v_cndmask_b32_e64 v66, v69, v66, s20
	;; [unrolled: 1-line block ×4, first 2 shown]
	ds_load_b128 v[91:94], v82 offset:1040
	v_cmp_eq_u32_e64 s25, 4, v81
	v_cndmask_b32_e64 v66, v66, v70, s22
	v_cmp_eq_u32_e64 s26, 7, v77
	v_cndmask_b32_e64 v70, v83, v84, s22
	v_cndmask_b32_e64 v84, v105, v72, s23
	v_cmp_eq_u32_e64 s27, 5, v81
	v_cndmask_b32_e64 v66, v66, v95, s24
	v_cmp_eq_u32_e64 s28, 6, v81
	v_cndmask_b32_e64 v70, v70, v98, s24
	v_cndmask_b32_e64 v69, v69, v99, s21
	;; [unrolled: 1-line block ×4, first 2 shown]
	s_waitcnt lgkmcnt(1)
	v_lshrrev_b32_e32 v95, 16, v87
	v_cndmask_b32_e64 v70, v70, v85, s25
	v_cndmask_b32_e64 v71, v84, v97, s26
	;; [unrolled: 1-line block ×4, first 2 shown]
	v_cndmask_b32_e32 v84, v87, v95, vcc_lo
	v_cndmask_b32_e64 v70, v70, v99, s27
	s_waitcnt lgkmcnt(0)
	v_lshrrev_b32_e32 v85, 16, v91
	v_lshrrev_b32_e32 v96, 16, v88
	v_cndmask_b32_e64 v98, v87, v95, s2
	v_cndmask_b32_e64 v84, v84, v88, s3
	;; [unrolled: 1-line block ×3, first 2 shown]
	v_cndmask_b32_e32 v99, v91, v85, vcc_lo
	v_cmp_eq_u32_e32 vcc_lo, 7, v81
	v_cndmask_b32_e64 v66, v66, v72, s28
	v_cndmask_b32_e64 v72, v84, v96, s6
	v_cndmask_b32_e64 v84, v98, v88, s5
	v_lshrrev_b32_e32 v98, 16, v92
	v_cndmask_b32_e32 v70, v70, v100, vcc_lo
	v_cndmask_b32_e64 v86, v99, v92, s3
	v_cndmask_b32_e64 v69, v69, v100, s26
	v_lshrrev_b32_e32 v100, 16, v93
	v_cndmask_b32_e64 v72, v72, v89, s8
	v_lshrrev_b32_e32 v99, 16, v89
	v_cndmask_b32_e64 v86, v86, v98, s6
	v_perm_b32 v71, v69, v71, 0x5040100
	v_cndmask_b32_e64 v84, v84, v96, s7
	s_delay_alu instid0(VALU_DEP_3) | instskip(NEXT) | instid1(VALU_DEP_2)
	v_cndmask_b32_e64 v86, v86, v93, s8
	v_cndmask_b32_e64 v84, v84, v89, s10
	s_delay_alu instid0(VALU_DEP_2) | instskip(NEXT) | instid1(VALU_DEP_1)
	v_cndmask_b32_e64 v86, v86, v100, s9
	v_cndmask_b32_e64 v69, v86, v94, s11
	;; [unrolled: 1-line block ×5, first 2 shown]
	s_delay_alu instid0(VALU_DEP_3) | instskip(NEXT) | instid1(VALU_DEP_3)
	v_cndmask_b32_e64 v86, v86, v88, s16
	v_cndmask_b32_e64 v87, v87, v88, s22
	s_delay_alu instid0(VALU_DEP_3) | instskip(NEXT) | instid1(VALU_DEP_3)
	v_cndmask_b32_e64 v88, v95, v92, s22
	v_cndmask_b32_e64 v86, v86, v96, s18
	;; [unrolled: 3-line block ×7, first 2 shown]
	s_delay_alu instid0(VALU_DEP_3) | instskip(SKIP_2) | instid1(VALU_DEP_2)
	v_cndmask_b32_e64 v88, v88, v94, s28
	v_cndmask_b32_e32 v66, v66, v97, vcc_lo
	v_cndmask_b32_e64 v97, v72, v99, s9
	v_perm_b32 v72, v70, v66, 0x5040100
	v_perm_b32 v70, v83, v103, 0x5040100
	v_cndmask_b32_e64 v103, v91, v85, s4
	v_cndmask_b32_e64 v85, v91, v85, s2
	;; [unrolled: 1-line block ×4, first 2 shown]
	v_lshrrev_b32_e32 v97, 16, v90
	v_cndmask_b32_e64 v91, v103, v92, s16
	v_cndmask_b32_e64 v85, v85, v92, s5
	;; [unrolled: 1-line block ×3, first 2 shown]
	s_mov_b32 s2, exec_lo
	v_cndmask_b32_e64 v83, v84, v97, s13
	v_cndmask_b32_e64 v91, v91, v98, s18
	v_cndmask_b32_e64 v85, v85, v98, s7
	v_lshrrev_b32_e32 v84, 16, v94
	v_cndmask_b32_e64 v66, v66, v97, s17
	v_cndmask_b32_e64 v90, v86, v97, s26
	;; [unrolled: 1-line block ×4, first 2 shown]
	v_dual_cndmask_b32 v86, v87, v97 :: v_dual_cndmask_b32 v87, v88, v84
	v_cndmask_b32_e64 v91, v69, v84, s13
	s_delay_alu instid0(VALU_DEP_4) | instskip(NEXT) | instid1(VALU_DEP_4)
	v_cndmask_b32_e64 v89, v89, v100, s21
	v_cndmask_b32_e64 v85, v85, v100, s12
	v_perm_b32 v69, v102, v101, 0x5040100
	v_perm_b32 v86, v87, v86, 0x5040100
	v_perm_b32 v83, v91, v83, 0x5040100
	v_cndmask_b32_e64 v89, v89, v94, s23
	v_cndmask_b32_e64 v85, v85, v94, s15
	s_mul_i32 s7, s35, 12
	s_delay_alu instid0(VALU_DEP_2) | instskip(NEXT) | instid1(VALU_DEP_2)
	v_cndmask_b32_e64 v88, v89, v84, s26
	v_cndmask_b32_e64 v89, v85, v84, s17
	s_delay_alu instid0(VALU_DEP_2) | instskip(NEXT) | instid1(VALU_DEP_2)
	v_perm_b32 v85, v88, v90, 0x5040100
	v_perm_b32 v84, v89, v66, 0x5040100
	ds_store_b128 v76, v[69:72]
	ds_store_b128 v76, v[83:86] offset:1024
	v_cmpx_gt_u32_e32 12, v0
	s_cbranch_execz .LBB1897_78
; %bb.77:
	s_mul_i32 s3, s7, s30
	s_load_b128 s[8:11], s[0:1], 0x58
	v_add3_u32 v69, s3, s29, v65
	s_delay_alu instid0(VALU_DEP_1) | instskip(NEXT) | instid1(VALU_DEP_1)
	v_mad_u64_u32 v[65:66], null, v69, s34, s[14:15]
	v_ashrrev_i32_e32 v66, 31, v65
	s_delay_alu instid0(VALU_DEP_1) | instskip(SKIP_1) | instid1(VALU_DEP_1)
	v_lshlrev_b64 v[65:66], 2, v[65:66]
	s_waitcnt lgkmcnt(0)
	v_add_co_u32 v69, vcc_lo, s10, v65
	s_delay_alu instid0(VALU_DEP_2)
	v_add_co_ci_u32_e32 v70, vcc_lo, s11, v66, vcc_lo
	v_add_co_u32 v65, vcc_lo, s8, v65
	v_add_co_ci_u32_e32 v66, vcc_lo, s9, v66, vcc_lo
	global_store_b32 v[69:70], v67, off
	global_store_b32 v[65:66], v68, off
.LBB1897_78:
	s_or_b32 exec_lo, exec_lo, s2
	s_waitcnt lgkmcnt(0)
	s_waitcnt_vscnt null, 0x0
	s_barrier
	buffer_gl0_inv
	ds_load_b128 v[83:86], v80
	ds_load_b128 v[87:90], v80 offset:16
	ds_load_b128 v[95:98], v80 offset:2064
	;; [unrolled: 1-line block ×3, first 2 shown]
	v_mov_b32_e32 v65, 0
	ds_load_b128 v[103:106], v80 offset:4112
	ds_load_b128 v[99:102], v80 offset:4096
	;; [unrolled: 1-line block ×4, first 2 shown]
	v_mov_b32_e32 v66, v65
	v_mov_b32_e32 v67, v65
	;; [unrolled: 1-line block ×7, first 2 shown]
	s_waitcnt lgkmcnt(6)
	s_delay_alu instid0(VALU_DEP_1)
	v_wmma_f32_16x16x16_bf16 v[65:72], v[49:56], v[83:90], v[65:72]
	ds_load_b128 v[53:56], v80 offset:8208
	ds_load_b128 v[49:52], v80 offset:8192
	s_waitcnt lgkmcnt(6)
	v_wmma_f32_16x16x16_bf16 v[65:72], v[41:48], v[91:98], v[65:72]
	ds_load_b128 v[45:48], v80 offset:10256
	ds_load_b128 v[41:44], v80 offset:10240
	s_waitcnt lgkmcnt(6)
	;; [unrolled: 4-line block ×4, first 2 shown]
	v_wmma_f32_16x16x16_bf16 v[65:72], v[1:8], v[49:56], v[65:72]
	s_waitcnt lgkmcnt(4)
	s_delay_alu instid0(VALU_DEP_1) | instskip(SKIP_1) | instid1(VALU_DEP_1)
	v_wmma_f32_16x16x16_bf16 v[65:72], v[9:16], v[41:48], v[65:72]
	s_waitcnt lgkmcnt(2)
	v_wmma_f32_16x16x16_bf16 v[65:72], v[17:24], v[33:40], v[65:72]
	s_waitcnt lgkmcnt(0)
	s_delay_alu instid0(VALU_DEP_1) | instskip(NEXT) | instid1(VALU_DEP_1)
	v_wmma_f32_16x16x16_bf16 v[65:72], v[57:64], v[25:32], v[65:72]
	v_and_b32_e32 v1, 0x7f800000, v65
	s_delay_alu instid0(VALU_DEP_1) | instskip(SKIP_1) | instid1(SALU_CYCLE_1)
	v_cmp_ne_u32_e32 vcc_lo, 0x7f800000, v1
                                        ; implicit-def: $vgpr1
	s_and_saveexec_b32 s2, vcc_lo
	s_xor_b32 s2, exec_lo, s2
; %bb.79:
	v_bfe_u32 v1, v65, 16, 1
	s_delay_alu instid0(VALU_DEP_1)
	v_add3_u32 v1, v65, v1, 0x7fff
; %bb.80:
	s_and_not1_saveexec_b32 s2, s2
; %bb.81:
	v_and_b32_e32 v1, 0xffff, v65
	v_or_b32_e32 v2, 0x10000, v65
	s_delay_alu instid0(VALU_DEP_2) | instskip(NEXT) | instid1(VALU_DEP_2)
	v_cmp_eq_u32_e32 vcc_lo, 0, v1
	v_cndmask_b32_e32 v1, v2, v65, vcc_lo
; %bb.82:
	s_or_b32 exec_lo, exec_lo, s2
	v_and_b32_e32 v2, 0x7f800000, v66
	s_delay_alu instid0(VALU_DEP_1) | instskip(SKIP_1) | instid1(SALU_CYCLE_1)
	v_cmp_ne_u32_e32 vcc_lo, 0x7f800000, v2
                                        ; implicit-def: $vgpr2
	s_and_saveexec_b32 s2, vcc_lo
	s_xor_b32 s2, exec_lo, s2
; %bb.83:
	v_bfe_u32 v2, v66, 16, 1
	s_delay_alu instid0(VALU_DEP_1)
	v_add3_u32 v2, v66, v2, 0x7fff
; %bb.84:
	s_and_not1_saveexec_b32 s2, s2
; %bb.85:
	v_and_b32_e32 v2, 0xffff, v66
	v_or_b32_e32 v3, 0x10000, v66
	s_delay_alu instid0(VALU_DEP_2) | instskip(NEXT) | instid1(VALU_DEP_2)
	v_cmp_eq_u32_e32 vcc_lo, 0, v2
	v_cndmask_b32_e32 v2, v3, v66, vcc_lo
; %bb.86:
	s_or_b32 exec_lo, exec_lo, s2
	v_and_b32_e32 v3, 0x7f800000, v67
	s_delay_alu instid0(VALU_DEP_1) | instskip(SKIP_1) | instid1(SALU_CYCLE_1)
	v_cmp_ne_u32_e32 vcc_lo, 0x7f800000, v3
                                        ; implicit-def: $vgpr3
	s_and_saveexec_b32 s2, vcc_lo
	s_xor_b32 s2, exec_lo, s2
; %bb.87:
	v_bfe_u32 v3, v67, 16, 1
	s_delay_alu instid0(VALU_DEP_1)
	v_add3_u32 v3, v67, v3, 0x7fff
; %bb.88:
	s_and_not1_saveexec_b32 s2, s2
; %bb.89:
	v_and_b32_e32 v3, 0xffff, v67
	v_or_b32_e32 v4, 0x10000, v67
	s_delay_alu instid0(VALU_DEP_2) | instskip(NEXT) | instid1(VALU_DEP_2)
	v_cmp_eq_u32_e32 vcc_lo, 0, v3
	v_cndmask_b32_e32 v3, v4, v67, vcc_lo
; %bb.90:
	s_or_b32 exec_lo, exec_lo, s2
	v_and_b32_e32 v4, 0x7f800000, v68
	s_delay_alu instid0(VALU_DEP_1) | instskip(SKIP_1) | instid1(SALU_CYCLE_1)
	v_cmp_ne_u32_e32 vcc_lo, 0x7f800000, v4
                                        ; implicit-def: $vgpr4
	s_and_saveexec_b32 s2, vcc_lo
	s_xor_b32 s2, exec_lo, s2
; %bb.91:
	v_bfe_u32 v4, v68, 16, 1
	s_delay_alu instid0(VALU_DEP_1)
	v_add3_u32 v4, v68, v4, 0x7fff
; %bb.92:
	s_and_not1_saveexec_b32 s2, s2
; %bb.93:
	v_and_b32_e32 v4, 0xffff, v68
	v_or_b32_e32 v5, 0x10000, v68
	s_delay_alu instid0(VALU_DEP_2) | instskip(NEXT) | instid1(VALU_DEP_2)
	v_cmp_eq_u32_e32 vcc_lo, 0, v4
	v_cndmask_b32_e32 v4, v5, v68, vcc_lo
; %bb.94:
	s_or_b32 exec_lo, exec_lo, s2
	v_and_b32_e32 v5, 0x7f800000, v69
	s_delay_alu instid0(VALU_DEP_1) | instskip(SKIP_1) | instid1(SALU_CYCLE_1)
	v_cmp_ne_u32_e32 vcc_lo, 0x7f800000, v5
                                        ; implicit-def: $vgpr5
	s_and_saveexec_b32 s2, vcc_lo
	s_xor_b32 s2, exec_lo, s2
; %bb.95:
	v_bfe_u32 v5, v69, 16, 1
	s_delay_alu instid0(VALU_DEP_1)
	v_add3_u32 v5, v69, v5, 0x7fff
; %bb.96:
	s_and_not1_saveexec_b32 s2, s2
; %bb.97:
	v_and_b32_e32 v5, 0xffff, v69
	v_or_b32_e32 v6, 0x10000, v69
	s_delay_alu instid0(VALU_DEP_2) | instskip(NEXT) | instid1(VALU_DEP_2)
	v_cmp_eq_u32_e32 vcc_lo, 0, v5
	v_cndmask_b32_e32 v5, v6, v69, vcc_lo
; %bb.98:
	s_or_b32 exec_lo, exec_lo, s2
	v_and_b32_e32 v6, 0x7f800000, v70
	s_delay_alu instid0(VALU_DEP_1) | instskip(SKIP_1) | instid1(SALU_CYCLE_1)
	v_cmp_ne_u32_e32 vcc_lo, 0x7f800000, v6
                                        ; implicit-def: $vgpr6
	s_and_saveexec_b32 s2, vcc_lo
	s_xor_b32 s2, exec_lo, s2
; %bb.99:
	v_bfe_u32 v6, v70, 16, 1
	s_delay_alu instid0(VALU_DEP_1)
	v_add3_u32 v6, v70, v6, 0x7fff
; %bb.100:
	s_and_not1_saveexec_b32 s2, s2
; %bb.101:
	v_and_b32_e32 v6, 0xffff, v70
	v_or_b32_e32 v7, 0x10000, v70
	s_delay_alu instid0(VALU_DEP_2) | instskip(NEXT) | instid1(VALU_DEP_2)
	v_cmp_eq_u32_e32 vcc_lo, 0, v6
	v_cndmask_b32_e32 v6, v7, v70, vcc_lo
; %bb.102:
	s_or_b32 exec_lo, exec_lo, s2
	v_and_b32_e32 v7, 0x7f800000, v71
	s_delay_alu instid0(VALU_DEP_1) | instskip(SKIP_1) | instid1(SALU_CYCLE_1)
	v_cmp_ne_u32_e32 vcc_lo, 0x7f800000, v7
                                        ; implicit-def: $vgpr7
	s_and_saveexec_b32 s2, vcc_lo
	s_xor_b32 s2, exec_lo, s2
; %bb.103:
	v_bfe_u32 v7, v71, 16, 1
	s_delay_alu instid0(VALU_DEP_1)
	v_add3_u32 v7, v71, v7, 0x7fff
; %bb.104:
	s_and_not1_saveexec_b32 s2, s2
; %bb.105:
	v_and_b32_e32 v7, 0xffff, v71
	v_or_b32_e32 v8, 0x10000, v71
	s_delay_alu instid0(VALU_DEP_2) | instskip(NEXT) | instid1(VALU_DEP_2)
	v_cmp_eq_u32_e32 vcc_lo, 0, v7
	v_cndmask_b32_e32 v7, v8, v71, vcc_lo
; %bb.106:
	s_or_b32 exec_lo, exec_lo, s2
	v_and_b32_e32 v8, 0x7f800000, v72
	s_delay_alu instid0(VALU_DEP_1) | instskip(SKIP_1) | instid1(SALU_CYCLE_1)
	v_cmp_ne_u32_e32 vcc_lo, 0x7f800000, v8
                                        ; implicit-def: $vgpr8
	s_and_saveexec_b32 s2, vcc_lo
	s_xor_b32 s2, exec_lo, s2
; %bb.107:
	v_bfe_u32 v8, v72, 16, 1
	s_delay_alu instid0(VALU_DEP_1)
	v_add3_u32 v8, v72, v8, 0x7fff
                                        ; implicit-def: $vgpr65_vgpr66_vgpr67_vgpr68_vgpr69_vgpr70_vgpr71_vgpr72
; %bb.108:
	s_and_not1_saveexec_b32 s2, s2
; %bb.109:
	v_and_b32_e32 v8, 0xffff, v72
	v_or_b32_e32 v9, 0x10000, v72
	s_delay_alu instid0(VALU_DEP_2) | instskip(NEXT) | instid1(VALU_DEP_2)
	v_cmp_eq_u32_e32 vcc_lo, 0, v8
	v_cndmask_b32_e32 v8, v9, v72, vcc_lo
; %bb.110:
	s_or_b32 exec_lo, exec_lo, s2
	s_delay_alu instid0(VALU_DEP_1)
	v_perm_b32 v7, v8, v7, 0x7060302
	v_perm_b32 v6, v6, v5, 0x7060302
	;; [unrolled: 1-line block ×4, first 2 shown]
	s_barrier
	buffer_gl0_inv
	v_cmp_eq_u32_e32 vcc_lo, 1, v78
	ds_store_b128 v76, v[4:7]
	s_waitcnt lgkmcnt(0)
	s_barrier
	buffer_gl0_inv
	ds_load_b128 v[1:4], v82
	ds_load_b128 v[5:8], v82 offset:16
	v_cmp_eq_u32_e64 s2, 1, v79
	v_cmp_eq_u32_e64 s3, 2, v78
	;; [unrolled: 1-line block ×5, first 2 shown]
	s_waitcnt lgkmcnt(1)
	v_lshrrev_b32_e32 v9, 16, v1
	s_waitcnt lgkmcnt(0)
	v_lshrrev_b32_e32 v13, 16, v5
	v_lshrrev_b32_e32 v10, 16, v2
	;; [unrolled: 1-line block ×4, first 2 shown]
	v_cndmask_b32_e64 v19, v1, v9, s2
	v_cndmask_b32_e32 v18, v5, v13, vcc_lo
	v_cndmask_b32_e64 v20, v5, v13, s2
	v_cndmask_b32_e32 v17, v1, v9, vcc_lo
	v_cmp_eq_u32_e32 vcc_lo, 2, v79
	v_lshrrev_b32_e32 v15, 16, v7
	v_cmp_eq_u32_e64 s2, 1, v77
	v_lshrrev_b32_e32 v12, 16, v4
	v_lshrrev_b32_e32 v16, 16, v8
	v_cndmask_b32_e32 v20, v20, v6, vcc_lo
	v_cndmask_b32_e64 v17, v17, v2, s3
	v_cndmask_b32_e32 v19, v19, v2, vcc_lo
	v_cndmask_b32_e64 v18, v18, v6, s3
	v_cmp_eq_u32_e32 vcc_lo, 4, v78
	v_cmp_eq_u32_e64 s3, 3, v79
	v_cndmask_b32_e64 v17, v17, v10, s4
	v_cndmask_b32_e64 v21, v1, v9, s2
	;; [unrolled: 1-line block ×5, first 2 shown]
	v_cndmask_b32_e32 v17, v17, v3, vcc_lo
	v_cndmask_b32_e64 v20, v20, v14, s3
	v_cndmask_b32_e32 v18, v18, v7, vcc_lo
	v_cmp_eq_u32_e32 vcc_lo, 4, v79
	v_cmp_eq_u32_e64 s3, 5, v79
	v_cmp_eq_u32_e64 s2, 2, v81
	v_cndmask_b32_e64 v21, v21, v2, s6
	v_cmp_eq_u32_e64 s4, 5, v78
	v_cndmask_b32_e32 v19, v19, v3, vcc_lo
	v_cndmask_b32_e32 v20, v20, v7, vcc_lo
	v_cmp_eq_u32_e32 vcc_lo, 6, v79
	s_delay_alu instid0(VALU_DEP_4) | instskip(NEXT) | instid1(VALU_DEP_4)
	v_cndmask_b32_e64 v17, v17, v11, s4
	v_cndmask_b32_e64 v19, v19, v11, s3
	s_delay_alu instid0(VALU_DEP_4) | instskip(SKIP_1) | instid1(VALU_DEP_3)
	v_cndmask_b32_e64 v20, v20, v15, s3
	v_cmp_eq_u32_e64 s3, 1, v81
	v_cndmask_b32_e32 v19, v19, v4, vcc_lo
	v_cndmask_b32_e64 v18, v18, v15, s4
	s_delay_alu instid0(VALU_DEP_3)
	v_cndmask_b32_e64 v1, v1, v9, s3
	v_cndmask_b32_e64 v5, v5, v13, s3
	v_cmp_eq_u32_e64 s3, 3, v77
	v_cndmask_b32_e64 v13, v22, v6, s6
	v_cmp_eq_u32_e64 s6, 3, v81
	v_cndmask_b32_e64 v1, v1, v2, s2
	v_cndmask_b32_e64 v2, v5, v6, s2
	;; [unrolled: 1-line block ×3, first 2 shown]
	v_cmp_eq_u32_e64 s2, 4, v77
	v_cndmask_b32_e64 v6, v13, v14, s3
	v_cndmask_b32_e64 v1, v1, v10, s6
	v_cmp_eq_u32_e64 s3, 4, v81
	v_cndmask_b32_e64 v2, v2, v14, s6
	v_cndmask_b32_e64 v5, v9, v3, s2
	;; [unrolled: 3-line block ×3, first 2 shown]
	v_cndmask_b32_e64 v2, v2, v7, s3
	v_cmp_eq_u32_e64 s2, 5, v81
	v_cmp_eq_u32_e64 s4, 6, v78
	v_cndmask_b32_e64 v5, v5, v11, s6
	v_cmp_eq_u32_e64 s3, 6, v77
	v_cndmask_b32_e64 v3, v6, v15, s6
	v_cndmask_b32_e64 v1, v1, v11, s2
	v_cmp_eq_u32_e64 s6, 6, v81
	v_cndmask_b32_e64 v2, v2, v15, s2
	v_cndmask_b32_e64 v17, v17, v4, s4
	v_cndmask_b32_e64 v18, v18, v8, s4
	v_cmp_eq_u32_e64 s4, 7, v78
	v_cndmask_b32_e64 v5, v5, v4, s3
	;; [unrolled: 4-line block ×3, first 2 shown]
	v_cmp_eq_u32_e64 s3, 7, v77
	v_cndmask_b32_e32 v4, v20, v8, vcc_lo
	v_cndmask_b32_e64 v17, v17, v12, s4
	v_cndmask_b32_e64 v19, v19, v12, s5
	;; [unrolled: 1-line block ×8, first 2 shown]
	s_mov_b32 s2, exec_lo
	v_perm_b32 v4, v2, v1, 0x5040100
	v_perm_b32 v3, v3, v5, 0x5040100
	;; [unrolled: 1-line block ×4, first 2 shown]
	ds_store_b128 v76, v[1:4]
	s_waitcnt lgkmcnt(0)
	s_barrier
	buffer_gl0_inv
	v_cmpx_gt_u32_e32 32, v0
	s_cbranch_execz .LBB1897_2
; %bb.111:
	s_load_b64 s[0:1], s[0:1], 0x68
	v_lshlrev_b32_e32 v0, 10, v0
	s_lshl_b32 s4, s34, 7
	v_or_b32_e32 v3, s29, v74
	s_mul_i32 s2, s4, s30
	v_lshlrev_b32_e32 v1, 4, v75
	s_mul_i32 s2, s2, s7
	v_lshlrev_b32_e32 v2, 6, v74
	v_and_b32_e32 v0, 0x3800, v0
	s_ashr_i32 s3, s2, 31
	v_mul_lo_u32 v4, v3, s4
	s_lshl_b64 s[2:3], s[2:3], 1
	s_delay_alu instid0(VALU_DEP_2) | instskip(NEXT) | instid1(VALU_DEP_2)
	v_or3_b32 v16, v0, v1, v2
	v_ashrrev_i32_e32 v5, 31, v4
	ds_load_b128 v[0:3], v16
	s_waitcnt lgkmcnt(0)
	s_add_u32 s2, s0, s2
	s_addc_u32 s3, s1, s3
	s_lshl_b32 s0, s14, 7
	v_lshlrev_b64 v[5:6], 1, v[4:5]
	s_ashr_i32 s1, s0, 31
	s_delay_alu instid0(SALU_CYCLE_1) | instskip(NEXT) | instid1(SALU_CYCLE_1)
	s_lshl_b64 s[0:1], s[0:1], 1
	s_add_u32 s0, s2, s0
	s_addc_u32 s1, s3, s1
	s_lshl_b32 s2, s34, 8
	v_add_co_u32 v30, s0, s0, v73
	v_add_nc_u32_e32 v8, s2, v4
	v_add_co_ci_u32_e64 v31, null, s1, 0, s0
	s_delay_alu instid0(VALU_DEP_3) | instskip(NEXT) | instid1(VALU_DEP_3)
	v_add_co_u32 v12, vcc_lo, v30, v5
	v_add_nc_u32_e32 v10, s2, v8
	v_ashrrev_i32_e32 v9, 31, v8
	s_delay_alu instid0(VALU_DEP_4)
	v_add_co_ci_u32_e32 v13, vcc_lo, v31, v6, vcc_lo
	ds_load_b128 v[4:7], v16 offset:128
	v_ashrrev_i32_e32 v11, 31, v10
	v_lshlrev_b64 v[8:9], 1, v[8:9]
	v_add_nc_u32_e32 v14, s2, v10
	global_store_b128 v[12:13], v[0:3], off
	v_lshlrev_b64 v[0:1], 1, v[10:11]
	v_ashrrev_i32_e32 v15, 31, v14
	v_add_co_u32 v22, vcc_lo, v30, v8
	v_add_nc_u32_e32 v20, s2, v14
	v_add_co_ci_u32_e32 v23, vcc_lo, v31, v9, vcc_lo
	v_add_co_u32 v26, vcc_lo, v30, v0
	v_lshlrev_b64 v[24:25], 1, v[14:15]
	v_add_co_ci_u32_e32 v27, vcc_lo, v31, v1, vcc_lo
	ds_load_b128 v[0:3], v16 offset:256
	ds_load_b128 v[8:11], v16 offset:384
	;; [unrolled: 1-line block ×4, first 2 shown]
	v_add_nc_u32_e32 v28, s2, v20
	v_ashrrev_i32_e32 v21, 31, v20
	v_add_co_u32 v24, vcc_lo, v30, v24
	v_add_co_ci_u32_e32 v25, vcc_lo, v31, v25, vcc_lo
	s_delay_alu instid0(VALU_DEP_4) | instskip(NEXT) | instid1(VALU_DEP_4)
	v_ashrrev_i32_e32 v29, 31, v28
	v_lshlrev_b64 v[20:21], 1, v[20:21]
	s_delay_alu instid0(VALU_DEP_2) | instskip(NEXT) | instid1(VALU_DEP_2)
	v_lshlrev_b64 v[28:29], 1, v[28:29]
	v_add_co_u32 v20, vcc_lo, v30, v20
	s_delay_alu instid0(VALU_DEP_3) | instskip(NEXT) | instid1(VALU_DEP_3)
	v_add_co_ci_u32_e32 v21, vcc_lo, v31, v21, vcc_lo
	v_add_co_u32 v28, vcc_lo, v30, v28
	s_delay_alu instid0(VALU_DEP_4)
	v_add_co_ci_u32_e32 v29, vcc_lo, v31, v29, vcc_lo
	s_waitcnt lgkmcnt(4)
	global_store_b128 v[22:23], v[4:7], off
	s_waitcnt lgkmcnt(3)
	global_store_b128 v[26:27], v[0:3], off
	;; [unrolled: 2-line block ×5, first 2 shown]
	s_nop 0
	s_sendmsg sendmsg(MSG_DEALLOC_VGPRS)
	s_endpgm
	.section	.rodata,"a",@progbits
	.p2align	6, 0x0
	.amdhsa_kernel _Z39paged_attention_ll4mi_QKV_mfma16_kernelI14__hip_bfloat16hLN4vllm18Fp8KVCacheDataTypeE1ES0_Li32ELi128ELi256ELb1ELi12EL8MFMAType0EEvPKT_PKT0_S9_ifPKiSB_SB_iPKfiiiPfSE_PS4_PT2_iSD_SD_
		.amdhsa_group_segment_fixed_size 17472
		.amdhsa_private_segment_fixed_size 0
		.amdhsa_kernarg_size 400
		.amdhsa_user_sgpr_count 13
		.amdhsa_user_sgpr_dispatch_ptr 0
		.amdhsa_user_sgpr_queue_ptr 0
		.amdhsa_user_sgpr_kernarg_segment_ptr 1
		.amdhsa_user_sgpr_dispatch_id 0
		.amdhsa_user_sgpr_private_segment_size 0
		.amdhsa_wavefront_size32 1
		.amdhsa_uses_dynamic_stack 0
		.amdhsa_enable_private_segment 0
		.amdhsa_system_sgpr_workgroup_id_x 1
		.amdhsa_system_sgpr_workgroup_id_y 1
		.amdhsa_system_sgpr_workgroup_id_z 1
		.amdhsa_system_sgpr_workgroup_info 0
		.amdhsa_system_vgpr_workitem_id 0
		.amdhsa_next_free_vgpr 140
		.amdhsa_next_free_sgpr 36
		.amdhsa_reserve_vcc 1
		.amdhsa_float_round_mode_32 0
		.amdhsa_float_round_mode_16_64 0
		.amdhsa_float_denorm_mode_32 3
		.amdhsa_float_denorm_mode_16_64 3
		.amdhsa_dx10_clamp 1
		.amdhsa_ieee_mode 1
		.amdhsa_fp16_overflow 0
		.amdhsa_workgroup_processor_mode 1
		.amdhsa_memory_ordered 1
		.amdhsa_forward_progress 0
		.amdhsa_shared_vgpr_count 0
		.amdhsa_exception_fp_ieee_invalid_op 0
		.amdhsa_exception_fp_denorm_src 0
		.amdhsa_exception_fp_ieee_div_zero 0
		.amdhsa_exception_fp_ieee_overflow 0
		.amdhsa_exception_fp_ieee_underflow 0
		.amdhsa_exception_fp_ieee_inexact 0
		.amdhsa_exception_int_div_zero 0
	.end_amdhsa_kernel
	.section	.text._Z39paged_attention_ll4mi_QKV_mfma16_kernelI14__hip_bfloat16hLN4vllm18Fp8KVCacheDataTypeE1ES0_Li32ELi128ELi256ELb1ELi12EL8MFMAType0EEvPKT_PKT0_S9_ifPKiSB_SB_iPKfiiiPfSE_PS4_PT2_iSD_SD_,"axG",@progbits,_Z39paged_attention_ll4mi_QKV_mfma16_kernelI14__hip_bfloat16hLN4vllm18Fp8KVCacheDataTypeE1ES0_Li32ELi128ELi256ELb1ELi12EL8MFMAType0EEvPKT_PKT0_S9_ifPKiSB_SB_iPKfiiiPfSE_PS4_PT2_iSD_SD_,comdat
.Lfunc_end1897:
	.size	_Z39paged_attention_ll4mi_QKV_mfma16_kernelI14__hip_bfloat16hLN4vllm18Fp8KVCacheDataTypeE1ES0_Li32ELi128ELi256ELb1ELi12EL8MFMAType0EEvPKT_PKT0_S9_ifPKiSB_SB_iPKfiiiPfSE_PS4_PT2_iSD_SD_, .Lfunc_end1897-_Z39paged_attention_ll4mi_QKV_mfma16_kernelI14__hip_bfloat16hLN4vllm18Fp8KVCacheDataTypeE1ES0_Li32ELi128ELi256ELb1ELi12EL8MFMAType0EEvPKT_PKT0_S9_ifPKiSB_SB_iPKfiiiPfSE_PS4_PT2_iSD_SD_
                                        ; -- End function
	.section	.AMDGPU.csdata,"",@progbits
; Kernel info:
; codeLenInByte = 9000
; NumSgprs: 38
; NumVgprs: 140
; ScratchSize: 0
; MemoryBound: 0
; FloatMode: 240
; IeeeMode: 1
; LDSByteSize: 17472 bytes/workgroup (compile time only)
; SGPRBlocks: 4
; VGPRBlocks: 17
; NumSGPRsForWavesPerEU: 38
; NumVGPRsForWavesPerEU: 140
; Occupancy: 10
; WaveLimiterHint : 1
; COMPUTE_PGM_RSRC2:SCRATCH_EN: 0
; COMPUTE_PGM_RSRC2:USER_SGPR: 13
; COMPUTE_PGM_RSRC2:TRAP_HANDLER: 0
; COMPUTE_PGM_RSRC2:TGID_X_EN: 1
; COMPUTE_PGM_RSRC2:TGID_Y_EN: 1
; COMPUTE_PGM_RSRC2:TGID_Z_EN: 1
; COMPUTE_PGM_RSRC2:TIDIG_COMP_CNT: 0
	.section	.text._Z39paged_attention_ll4mi_QKV_mfma16_kernelI14__hip_bfloat16hLN4vllm18Fp8KVCacheDataTypeE1ES0_Li32ELi128ELi256ELb1ELi13EL8MFMAType0EEvPKT_PKT0_S9_ifPKiSB_SB_iPKfiiiPfSE_PS4_PT2_iSD_SD_,"axG",@progbits,_Z39paged_attention_ll4mi_QKV_mfma16_kernelI14__hip_bfloat16hLN4vllm18Fp8KVCacheDataTypeE1ES0_Li32ELi128ELi256ELb1ELi13EL8MFMAType0EEvPKT_PKT0_S9_ifPKiSB_SB_iPKfiiiPfSE_PS4_PT2_iSD_SD_,comdat
	.protected	_Z39paged_attention_ll4mi_QKV_mfma16_kernelI14__hip_bfloat16hLN4vllm18Fp8KVCacheDataTypeE1ES0_Li32ELi128ELi256ELb1ELi13EL8MFMAType0EEvPKT_PKT0_S9_ifPKiSB_SB_iPKfiiiPfSE_PS4_PT2_iSD_SD_ ; -- Begin function _Z39paged_attention_ll4mi_QKV_mfma16_kernelI14__hip_bfloat16hLN4vllm18Fp8KVCacheDataTypeE1ES0_Li32ELi128ELi256ELb1ELi13EL8MFMAType0EEvPKT_PKT0_S9_ifPKiSB_SB_iPKfiiiPfSE_PS4_PT2_iSD_SD_
	.globl	_Z39paged_attention_ll4mi_QKV_mfma16_kernelI14__hip_bfloat16hLN4vllm18Fp8KVCacheDataTypeE1ES0_Li32ELi128ELi256ELb1ELi13EL8MFMAType0EEvPKT_PKT0_S9_ifPKiSB_SB_iPKfiiiPfSE_PS4_PT2_iSD_SD_
	.p2align	8
	.type	_Z39paged_attention_ll4mi_QKV_mfma16_kernelI14__hip_bfloat16hLN4vllm18Fp8KVCacheDataTypeE1ES0_Li32ELi128ELi256ELb1ELi13EL8MFMAType0EEvPKT_PKT0_S9_ifPKiSB_SB_iPKfiiiPfSE_PS4_PT2_iSD_SD_,@function
_Z39paged_attention_ll4mi_QKV_mfma16_kernelI14__hip_bfloat16hLN4vllm18Fp8KVCacheDataTypeE1ES0_Li32ELi128ELi256ELb1ELi13EL8MFMAType0EEvPKT_PKT0_S9_ifPKiSB_SB_iPKfiiiPfSE_PS4_PT2_iSD_SD_: ; @_Z39paged_attention_ll4mi_QKV_mfma16_kernelI14__hip_bfloat16hLN4vllm18Fp8KVCacheDataTypeE1ES0_Li32ELi128ELi256ELb1ELi13EL8MFMAType0EEvPKT_PKT0_S9_ifPKiSB_SB_iPKfiiiPfSE_PS4_PT2_iSD_SD_
; %bb.0:
	s_load_b64 s[4:5], s[0:1], 0x30
	s_mov_b32 s30, s13
	s_waitcnt lgkmcnt(0)
	s_cmp_lg_u64 s[4:5], 0
	s_cselect_b32 s13, -1, 0
	s_ashr_i32 s31, s30, 31
	s_cmp_eq_u64 s[4:5], 0
	s_cbranch_scc1 .LBB1898_3
; %bb.1:
	s_lshl_b64 s[2:3], s[30:31], 2
	s_delay_alu instid0(SALU_CYCLE_1) | instskip(SKIP_4) | instid1(SALU_CYCLE_1)
	s_add_u32 s2, s4, s2
	s_addc_u32 s3, s5, s3
	s_load_b64 s[2:3], s[2:3], 0x0
	s_waitcnt lgkmcnt(0)
	s_sub_i32 s2, s3, s2
	s_cmp_eq_u32 s2, 1
	s_cselect_b32 s2, -1, 0
	s_delay_alu instid0(SALU_CYCLE_1)
	s_and_not1_b32 vcc_lo, exec_lo, s2
	s_cbranch_vccz .LBB1898_4
.LBB1898_2:
	s_nop 0
	s_sendmsg sendmsg(MSG_DEALLOC_VGPRS)
	s_endpgm
.LBB1898_3:
.LBB1898_4:
	s_load_b64 s[2:3], s[0:1], 0x28
	s_lshl_b64 s[6:7], s[30:31], 2
	s_waitcnt lgkmcnt(0)
	s_add_u32 s2, s2, s6
	s_addc_u32 s3, s3, s7
	s_lshl_b32 s12, s14, 8
	s_load_b32 s17, s[2:3], 0x0
	s_waitcnt lgkmcnt(0)
	s_cmp_ge_i32 s12, s17
	s_cbranch_scc1 .LBB1898_2
; %bb.5:
	s_clause 0x1
	s_load_b128 s[8:11], s[0:1], 0x8
	s_load_b64 s[2:3], s[0:1], 0x20
	s_and_not1_b32 vcc_lo, exec_lo, s13
	s_cbranch_vccnz .LBB1898_7
; %bb.6:
	s_add_u32 s4, s4, s6
	s_addc_u32 s5, s5, s7
	s_load_b32 s13, s[4:5], 0x0
	s_branch .LBB1898_8
.LBB1898_7:
	s_mov_b32 s13, s30
.LBB1898_8:
	s_load_b128 s[4:7], s[0:1], 0x48
	v_and_b32_e32 v65, 15, v0
	v_lshrrev_b32_e32 v66, 5, v0
	v_bfe_u32 v74, v0, 4, 1
	v_and_b32_e32 v67, 31, v0
	v_and_b32_e32 v75, 1, v0
	v_lshlrev_b32_e32 v2, 3, v65
	s_mul_i32 s31, s15, 13
	v_lshl_or_b32 v1, v66, 1, v74
	s_waitcnt lgkmcnt(0)
	s_mov_b32 s7, exec_lo
	v_lshlrev_b32_e32 v73, 1, v2
	s_delay_alu instid0(VALU_DEP_2)
	v_cmpx_gt_u32_e32 13, v1
	s_cbranch_execz .LBB1898_10
; %bb.9:
	s_load_b64 s[18:19], s[0:1], 0x0
	v_add_lshl_u32 v2, v1, s31, 7
	s_mul_hi_i32 s21, s13, s4
	s_mul_i32 s20, s13, s4
	v_lshlrev_b32_e32 v6, 10, v65
	s_lshl_b64 s[20:21], s[20:21], 1
	v_ashrrev_i32_e32 v3, 31, v2
	v_lshlrev_b32_e32 v1, 6, v1
	v_lshlrev_b32_e32 v7, 10, v75
	v_and_b32_e32 v6, 0x3800, v6
	s_delay_alu instid0(VALU_DEP_4) | instskip(NEXT) | instid1(VALU_DEP_2)
	v_lshlrev_b64 v[2:3], 1, v[2:3]
	v_or3_b32 v1, v6, v7, v1
	s_waitcnt lgkmcnt(0)
	s_add_u32 s4, s18, s20
	s_addc_u32 s13, s19, s21
	s_delay_alu instid0(VALU_DEP_2) | instskip(SKIP_1) | instid1(VALU_DEP_2)
	v_add_co_u32 v2, vcc_lo, s4, v2
	v_add_co_ci_u32_e32 v3, vcc_lo, s13, v3, vcc_lo
	v_add_co_u32 v2, vcc_lo, v2, v73
	s_delay_alu instid0(VALU_DEP_2)
	v_add_co_ci_u32_e32 v3, vcc_lo, 0, v3, vcc_lo
	global_load_b128 v[2:5], v[2:3], off
	s_waitcnt vmcnt(0)
	ds_store_b128 v1, v[2:5]
.LBB1898_10:
	s_or_b32 exec_lo, exec_lo, s7
	v_and_b32_e32 v1, 0xef, v0
	s_add_i32 s4, s17, 31
	s_clause 0x1
	s_load_b32 s7, s[0:1], 0x38
	s_load_b32 s18, s[0:1], 0x1c
	s_ashr_i32 s13, s4, 31
	v_add_nc_u32_e32 v1, s12, v1
	s_lshr_b32 s13, s13, 27
	s_waitcnt lgkmcnt(0)
	s_add_i32 s4, s4, s13
	s_barrier
	v_ashrrev_i32_e32 v2, 31, v1
	v_or_b32_e32 v3, 16, v1
	s_ashr_i32 s4, s4, 5
	v_cmp_gt_i32_e32 vcc_lo, s17, v1
	s_add_i32 s4, s4, -1
	v_lshrrev_b32_e32 v2, 27, v2
	buffer_gl0_inv
	s_mul_i32 s15, s15, s6
	v_add_nc_u32_e32 v4, v1, v2
	s_mul_i32 s20, s30, s7
	s_delay_alu instid0(SALU_CYCLE_1) | instskip(NEXT) | instid1(VALU_DEP_1)
	s_ashr_i32 s21, s20, 31
	v_ashrrev_i32_e32 v4, 5, v4
	v_add_nc_u32_e32 v2, v3, v2
	s_lshl_b64 s[20:21], s[20:21], 2
	s_delay_alu instid0(SALU_CYCLE_1) | instskip(NEXT) | instid1(VALU_DEP_2)
	s_add_u32 s13, s2, s20
	v_cndmask_b32_e32 v1, s4, v4, vcc_lo
	s_delay_alu instid0(VALU_DEP_2)
	v_ashrrev_i32_e32 v2, 5, v2
	v_cmp_gt_i32_e32 vcc_lo, s17, v3
	s_addc_u32 s16, s3, s21
	s_ashr_i32 s19, s15, 31
	s_add_u32 s2, s8, s15
	s_addc_u32 s3, s9, s19
	v_cndmask_b32_e32 v3, s4, v2, vcc_lo
	v_ashrrev_i32_e32 v2, 31, v1
	s_lshl_b32 s6, s14, 3
	s_delay_alu instid0(SALU_CYCLE_1) | instskip(NEXT) | instid1(VALU_DEP_2)
	s_ashr_i32 s7, s6, 31
	v_ashrrev_i32_e32 v4, 31, v3
	s_delay_alu instid0(VALU_DEP_2) | instskip(SKIP_1) | instid1(SALU_CYCLE_1)
	v_lshlrev_b64 v[1:2], 2, v[1:2]
	s_lshl_b64 s[6:7], s[6:7], 2
	s_add_u32 s6, s13, s6
	s_delay_alu instid0(VALU_DEP_2) | instskip(SKIP_1) | instid1(VALU_DEP_2)
	v_lshlrev_b64 v[3:4], 2, v[3:4]
	s_addc_u32 s7, s16, s7
	v_add_co_u32 v1, vcc_lo, s13, v1
	v_add_co_ci_u32_e32 v2, vcc_lo, s16, v2, vcc_lo
	s_delay_alu instid0(VALU_DEP_3) | instskip(NEXT) | instid1(VALU_DEP_4)
	v_add_co_u32 v3, vcc_lo, s13, v3
	v_add_co_ci_u32_e32 v4, vcc_lo, s16, v4, vcc_lo
	s_clause 0x1
	global_load_b32 v5, v[1:2], off
	global_load_b32 v6, v[3:4], off
	s_or_b32 s8, s12, 32
	s_delay_alu instid0(SALU_CYCLE_1) | instskip(SKIP_2) | instid1(SALU_CYCLE_1)
	s_ashr_i32 s9, s8, 5
	s_cmp_lt_i32 s8, s17
	s_cselect_b32 s8, s9, s4
	s_ashr_i32 s9, s8, 31
	s_delay_alu instid0(SALU_CYCLE_1) | instskip(NEXT) | instid1(SALU_CYCLE_1)
	s_lshl_b64 s[8:9], s[8:9], 2
	s_add_u32 s8, s13, s8
	s_addc_u32 s9, s16, s9
	s_or_b32 s20, s12, 64
	s_delay_alu instid0(SALU_CYCLE_1) | instskip(SKIP_2) | instid1(SALU_CYCLE_1)
	s_ashr_i32 s21, s20, 5
	s_cmp_lt_i32 s20, s17
	s_cselect_b32 s20, s21, s4
	s_ashr_i32 s21, s20, 31
	s_delay_alu instid0(SALU_CYCLE_1) | instskip(NEXT) | instid1(SALU_CYCLE_1)
	s_lshl_b64 s[20:21], s[20:21], 2
	s_add_u32 s20, s13, s20
	s_addc_u32 s21, s16, s21
	;; [unrolled: 10-line block ×5, first 2 shown]
	s_clause 0x5
	s_load_b32 s28, s[6:7], 0x0
	s_load_b32 s8, s[8:9], 0x0
	;; [unrolled: 1-line block ×6, first 2 shown]
	s_mov_b32 s20, 0
	s_delay_alu instid0(SALU_CYCLE_1)
	s_mov_b32 s21, s20
	s_mov_b32 s22, s20
	;; [unrolled: 1-line block ×7, first 2 shown]
	s_delay_alu instid0(SALU_CYCLE_1)
	v_dual_mov_b32 v107, s27 :: v_dual_mov_b32 v106, s26
	v_dual_mov_b32 v104, s24 :: v_dual_mov_b32 v103, s23
	;; [unrolled: 1-line block ×3, first 2 shown]
	v_mov_b32_e32 v100, s20
	s_waitcnt vmcnt(1)
	v_mad_i64_i32 v[1:2], null, v5, s5, s[2:3]
	v_lshlrev_b32_e32 v5, 4, v65
	s_waitcnt vmcnt(0)
	v_mad_i64_i32 v[3:4], null, v6, s5, s[2:3]
	s_or_b32 s2, s12, 0xc0
	s_delay_alu instid0(SALU_CYCLE_1) | instskip(NEXT) | instid1(VALU_DEP_3)
	s_ashr_i32 s3, s2, 5
	v_add_co_u32 v33, vcc_lo, v1, v5
	s_delay_alu instid0(VALU_DEP_4) | instskip(NEXT) | instid1(VALU_DEP_3)
	v_add_co_ci_u32_e32 v34, vcc_lo, 0, v2, vcc_lo
	v_add_co_u32 v35, vcc_lo, v3, v5
	s_delay_alu instid0(VALU_DEP_4)
	v_add_co_ci_u32_e32 v36, vcc_lo, 0, v4, vcc_lo
	s_clause 0xf
	global_load_b128 v[1:4], v[33:34], off
	global_load_b128 v[5:8], v[33:34], off offset:512
	global_load_b128 v[9:12], v[35:36], off offset:256
	;; [unrolled: 1-line block ×15, first 2 shown]
	s_cmp_lt_i32 s2, s17
	v_add_nc_u32_e32 v33, -13, v65
	s_cselect_b32 s2, s3, s4
	v_cmp_gt_u32_e32 vcc_lo, 13, v65
	s_ashr_i32 s3, s2, 31
	v_lshlrev_b32_e32 v34, 5, v65
	s_lshl_b64 s[2:3], s[2:3], 2
	s_delay_alu instid0(SALU_CYCLE_1)
	s_add_u32 s2, s13, s2
	s_addc_u32 s3, s16, s3
	s_or_b32 s6, s12, 0xe0
	v_cndmask_b32_e32 v33, v33, v65, vcc_lo
	s_ashr_i32 s7, s6, 5
	s_cmp_lt_i32 s6, s17
	v_mov_b32_e32 v105, s25
	s_cselect_b32 s6, s7, s4
	v_lshlrev_b32_e32 v72, 6, v33
	s_ashr_i32 s7, s6, 31
	v_lshl_or_b32 v41, v66, 9, v34
	s_lshl_b64 s[6:7], s[6:7], 2
	ds_load_b128 v[33:36], v72
	ds_load_b128 v[37:40], v72 offset:1024
	ds_load_b128 v[108:111], v72 offset:2048
	;; [unrolled: 1-line block ×3, first 2 shown]
	s_load_b32 s4, s[2:3], 0x0
	s_add_u32 s2, s13, s6
	s_addc_u32 s3, s16, s7
	ds_load_b128 v[116:119], v72 offset:4096
	ds_load_b128 v[120:123], v72 offset:5120
	s_load_b32 s2, s[2:3], 0x0
	s_add_u32 s6, s10, s15
	s_addc_u32 s7, s11, s19
	v_add_co_u32 v68, s6, s6, v41
	s_delay_alu instid0(VALU_DEP_1) | instskip(SKIP_1) | instid1(VALU_DEP_1)
	v_add_co_ci_u32_e64 v69, null, s7, 0, s6
	s_waitcnt lgkmcnt(0)
	v_mad_i64_i32 v[41:42], null, s28, s5, v[68:69]
	v_mad_i64_i32 v[70:71], null, s9, s5, v[68:69]
	v_mad_i64_i32 v[45:46], null, s8, s5, v[68:69]
	v_mad_i64_i32 v[132:133], null, s29, s5, v[68:69]
	v_mad_i64_i32 v[134:135], null, s33, s5, v[68:69]
	v_mad_i64_i32 v[136:137], null, s34, s5, v[68:69]
	v_mad_i64_i32 v[138:139], null, s4, s5, v[68:69]
	s_clause 0x3
	global_load_b128 v[49:52], v[41:42], off
	global_load_b128 v[53:56], v[41:42], off offset:16
	global_load_b128 v[41:44], v[45:46], off
	global_load_b128 v[45:48], v[45:46], off offset:16
	s_waitcnt vmcnt(18)
	v_wmma_f32_16x16x16_bf16 v[124:131], v[1:8], v[33:40], v[100:107]
	s_waitcnt vmcnt(16)
	v_wmma_f32_16x16x16_bf16 v[100:107], v[9:16], v[33:40], v[100:107]
	s_clause 0x1
	global_load_b128 v[33:36], v[70:71], off
	global_load_b128 v[37:40], v[70:71], off offset:16
	v_mad_i64_i32 v[70:71], null, s2, s5, v[68:69]
	s_waitcnt vmcnt(16)
	v_wmma_f32_16x16x16_bf16 v[124:131], v[17:24], v[108:115], v[124:131]
	s_waitcnt vmcnt(14)
	v_wmma_f32_16x16x16_bf16 v[100:107], v[25:32], v[108:115], v[100:107]
	s_clause 0x7
	global_load_b128 v[25:28], v[132:133], off
	global_load_b128 v[29:32], v[132:133], off offset:16
	global_load_b128 v[1:4], v[134:135], off
	global_load_b128 v[5:8], v[134:135], off offset:16
	;; [unrolled: 2-line block ×4, first 2 shown]
	s_waitcnt vmcnt(20)
	v_wmma_f32_16x16x16_bf16 v[124:131], v[57:64], v[116:123], v[124:131]
	s_clause 0x1
	global_load_b128 v[57:60], v[70:71], off
	global_load_b128 v[61:64], v[70:71], off offset:16
	s_waitcnt vmcnt(20)
	v_wmma_f32_16x16x16_bf16 v[100:107], v[76:83], v[116:123], v[100:107]
	ds_load_b128 v[76:79], v72 offset:6144
	ds_load_b128 v[80:83], v72 offset:7168
	v_and_b32_e32 v68, 0xe0, v0
	v_mbcnt_lo_u32_b32 v69, -1, 0
	s_waitcnt vmcnt(0) lgkmcnt(0)
	s_barrier
	buffer_gl0_inv
	v_add_nc_u32_e32 v68, s12, v68
	v_xor_b32_e32 v70, 16, v69
	s_delay_alu instid0(VALU_DEP_2) | instskip(NEXT) | instid1(VALU_DEP_2)
	v_or_b32_e32 v68, v68, v74
	v_cmp_gt_i32_e32 vcc_lo, 32, v70
	s_delay_alu instid0(VALU_DEP_2)
	v_or_b32_e32 v71, 4, v68
	v_or_b32_e32 v72, 6, v68
	v_cmp_gt_i32_e64 s2, s17, v68
	v_or_b32_e32 v108, 8, v68
	v_wmma_f32_16x16x16_bf16 v[124:131], v[84:91], v[76:83], v[124:131]
	v_cndmask_b32_e32 v69, v69, v70, vcc_lo
	v_or_b32_e32 v70, 2, v68
	v_wmma_f32_16x16x16_bf16 v[100:107], v[92:99], v[76:83], v[100:107]
	v_or_b32_e32 v109, 10, v68
	v_dual_mul_f32 v80, s18, v129 :: v_dual_mul_f32 v81, s18, v128
	v_dual_mul_f32 v92, s18, v125 :: v_dual_mul_f32 v93, s18, v124
	s_delay_alu instid0(VALU_DEP_4)
	v_mul_f32_e32 v96, s18, v105
	v_cmp_gt_i32_e32 vcc_lo, s17, v70
	v_or_b32_e32 v89, 22, v68
	v_dual_mul_f32 v79, s18, v130 :: v_dual_mul_f32 v82, s18, v127
	v_dual_mul_f32 v83, s18, v126 :: v_dual_mul_f32 v94, s18, v107
	v_cndmask_b32_e64 v93, 0xff7fffff, v93, s2
	v_cndmask_b32_e32 v92, 0xff7fffff, v92, vcc_lo
	v_cmp_gt_i32_e64 s3, s17, v71
	v_cmp_gt_i32_e64 s4, s17, v72
	v_or_b32_e32 v84, 12, v68
	v_or_b32_e32 v85, 14, v68
	v_cmp_gt_i32_e64 s5, s17, v108
	v_cndmask_b32_e64 v71, 0xff7fffff, v83, s3
	v_cndmask_b32_e64 v72, 0xff7fffff, v82, s4
	v_cmp_gt_i32_e64 s6, s17, v109
	v_cmp_gt_i32_e64 s12, s17, v89
	v_lshlrev_b32_e32 v89, 2, v69
	v_max3_f32 v82, v93, 0xff7fffff, v92
	v_or_b32_e32 v86, 16, v68
	v_or_b32_e32 v87, 18, v68
	v_mul_f32_e32 v78, s18, v131
	v_cndmask_b32_e64 v81, 0xff7fffff, v81, s5
	v_cndmask_b32_e64 v80, 0xff7fffff, v80, s6
	v_max3_f32 v71, v82, v71, v72
	v_cmp_gt_i32_e64 s7, s17, v84
	v_cmp_gt_i32_e64 s8, s17, v85
	v_or_b32_e32 v88, 20, v68
	v_or_b32_e32 v90, 24, v68
	;; [unrolled: 1-line block ×5, first 2 shown]
	v_dual_mul_f32 v97, s18, v104 :: v_dual_mul_f32 v70, s18, v101
	v_dual_mul_f32 v99, s18, v102 :: v_dual_mul_f32 v68, s18, v100
	v_cndmask_b32_e64 v72, 0xff7fffff, v79, s7
	v_cndmask_b32_e64 v78, 0xff7fffff, v78, s8
	v_max3_f32 v71, v71, v81, v80
	v_cmp_gt_i32_e64 s9, s17, v86
	v_cmp_gt_i32_e64 s10, s17, v87
	v_dual_mul_f32 v95, s18, v106 :: v_dual_mul_f32 v98, s18, v103
	s_delay_alu instid0(VALU_DEP_4) | instskip(NEXT) | instid1(VALU_DEP_4)
	v_max3_f32 v71, v71, v72, v78
	v_cndmask_b32_e64 v68, 0xff7fffff, v68, s9
	s_delay_alu instid0(VALU_DEP_4)
	v_cndmask_b32_e64 v70, 0xff7fffff, v70, s10
	v_cmp_gt_i32_e64 s11, s17, v88
	v_cndmask_b32_e64 v78, 0xff7fffff, v98, s12
	v_cmp_gt_i32_e64 s13, s17, v90
	v_cmp_gt_i32_e64 s15, s17, v91
	v_max3_f32 v68, v71, v68, v70
	v_cndmask_b32_e64 v72, 0xff7fffff, v99, s11
	v_cmp_gt_i32_e64 s16, s17, v76
	v_cndmask_b32_e64 v70, 0xff7fffff, v97, s13
	v_cndmask_b32_e64 v71, 0xff7fffff, v96, s15
	v_cmp_gt_i32_e64 s17, s17, v77
	v_max3_f32 v68, v68, v72, v78
	v_cndmask_b32_e64 v72, 0xff7fffff, v95, s16
	s_delay_alu instid0(VALU_DEP_3) | instskip(NEXT) | instid1(VALU_DEP_3)
	v_cndmask_b32_e64 v76, 0xff7fffff, v94, s17
	v_max3_f32 v68, v68, v70, v71
	s_delay_alu instid0(VALU_DEP_1) | instskip(SKIP_3) | instid1(VALU_DEP_1)
	v_max3_f32 v68, v68, v72, v76
	ds_bpermute_b32 v69, v89, v68
	s_waitcnt lgkmcnt(0)
	v_max_f32_e32 v69, v69, v69
	v_max_f32_e32 v68, v68, v69
	s_delay_alu instid0(VALU_DEP_1) | instskip(NEXT) | instid1(VALU_DEP_1)
	v_fma_f32 v71, s18, v126, -v68
	v_mul_f32_e32 v71, 0x3fb8aa3b, v71
	v_fma_f32 v70, s18, v125, -v68
	v_fma_f32 v69, s18, v124, -v68
	;; [unrolled: 1-line block ×5, first 2 shown]
	s_delay_alu instid0(VALU_DEP_4) | instskip(SKIP_1) | instid1(VALU_DEP_3)
	v_dual_mul_f32 v70, 0x3fb8aa3b, v70 :: v_dual_mul_f32 v69, 0x3fb8aa3b, v69
	v_exp_f32_e32 v71, v71
	v_mul_f32_e32 v72, 0x3fb8aa3b, v72
	v_fma_f32 v81, s18, v105, -v68
	s_delay_alu instid0(VALU_DEP_3)
	v_exp_f32_e32 v70, v70
	v_mul_f32_e32 v77, 0x3fb8aa3b, v76
	v_exp_f32_e32 v69, v69
	v_exp_f32_e32 v72, v72
	v_mul_f32_e32 v81, 0x3fb8aa3b, v81
	v_cndmask_b32_e64 v83, 0, v71, s3
	v_fma_f32 v71, s18, v131, -v68
	s_delay_alu instid0(VALU_DEP_3) | instskip(SKIP_4) | instid1(TRANS32_DEP_3)
	v_exp_f32_e32 v81, v81
	v_cndmask_b32_e32 v76, 0, v70, vcc_lo
	v_exp_f32_e32 v77, v77
	v_cndmask_b32_e64 v80, 0, v69, s2
	v_fma_f32 v69, s18, v129, -v68
	v_cndmask_b32_e64 v85, 0, v72, s4
	v_mul_f32_e32 v71, 0x3fb8aa3b, v71
	v_fma_f32 v72, s18, v100, -v68
	s_delay_alu instid0(VALU_DEP_4) | instskip(SKIP_1) | instid1(VALU_DEP_4)
	v_dual_add_f32 v70, 0, v80 :: v_dual_mul_f32 v69, 0x3fb8aa3b, v69
	v_cmp_gt_u32_e64 s2, 16, v67
	v_exp_f32_e32 v71, v71
	s_delay_alu instid0(TRANS32_DEP_2) | instskip(SKIP_4) | instid1(VALU_DEP_3)
	v_cndmask_b32_e64 v86, 0, v77, s5
	v_fma_f32 v77, s18, v101, -v68
	v_mul_f32_e32 v78, 0x3fb8aa3b, v78
	v_add_f32_e32 v70, v70, v76
	v_exp_f32_e32 v69, v69
	v_mul_f32_e32 v77, 0x3fb8aa3b, v77
	s_delay_alu instid0(VALU_DEP_3) | instskip(NEXT) | instid1(TRANS32_DEP_3)
	v_exp_f32_e32 v78, v78
	v_cndmask_b32_e64 v88, 0, v71, s8
	v_fma_f32 v71, s18, v104, -v68
	s_delay_alu instid0(VALU_DEP_3) | instskip(NEXT) | instid1(TRANS32_DEP_3)
	v_exp_f32_e32 v77, v77
	v_cndmask_b32_e64 v87, 0, v69, s6
	s_delay_alu instid0(VALU_DEP_2)
	v_mul_f32_e32 v71, 0x3fb8aa3b, v71
	s_waitcnt_depctr 0xfff
	v_cndmask_b32_e64 v84, 0, v78, s7
	v_add_f32_e32 v70, v70, v83
	v_fma_f32 v78, s18, v103, -v68
	v_exp_f32_e32 v82, v71
	s_delay_alu instid0(VALU_DEP_2) | instskip(SKIP_1) | instid1(VALU_DEP_3)
	v_add_f32_e32 v70, v70, v85
	v_mul_f32_e32 v72, 0x3fb8aa3b, v72
	v_mul_f32_e32 v78, 0x3fb8aa3b, v78
	s_delay_alu instid0(VALU_DEP_3) | instskip(SKIP_1) | instid1(VALU_DEP_4)
	v_add_f32_e32 v69, v70, v86
	v_fma_f32 v70, s18, v102, -v68
	v_exp_f32_e32 v72, v72
	s_delay_alu instid0(VALU_DEP_3) | instskip(NEXT) | instid1(VALU_DEP_1)
	v_exp_f32_e32 v78, v78
	v_dual_add_f32 v69, v69, v87 :: v_dual_mul_f32 v70, 0x3fb8aa3b, v70
	s_delay_alu instid0(VALU_DEP_1) | instskip(NEXT) | instid1(VALU_DEP_2)
	v_add_f32_e32 v69, v69, v84
	v_exp_f32_e32 v79, v70
	s_delay_alu instid0(TRANS32_DEP_3) | instskip(NEXT) | instid1(VALU_DEP_2)
	v_cndmask_b32_e64 v70, 0, v72, s9
	v_add_f32_e32 v72, v69, v88
	v_cndmask_b32_e64 v69, 0, v77, s10
	v_fma_f32 v77, s18, v106, -v68
	s_waitcnt_depctr 0xfff
	v_cndmask_b32_e64 v71, 0, v79, s11
	v_dual_mul_f32 v77, 0x3fb8aa3b, v77 :: v_dual_add_f32 v72, v72, v70
	s_delay_alu instid0(VALU_DEP_1) | instskip(NEXT) | instid1(VALU_DEP_1)
	v_exp_f32_e32 v90, v77
	v_add_f32_e32 v79, v72, v69
	v_cndmask_b32_e64 v72, 0, v78, s12
	v_cndmask_b32_e64 v77, 0, v82, s13
	s_delay_alu instid0(VALU_DEP_3) | instskip(SKIP_1) | instid1(VALU_DEP_1)
	v_add_f32_e32 v78, v79, v71
	v_fma_f32 v79, s18, v107, -v68
	v_dual_add_f32 v82, v78, v72 :: v_dual_mul_f32 v79, 0x3fb8aa3b, v79
	v_cndmask_b32_e64 v78, 0, v81, s15
	s_delay_alu instid0(VALU_DEP_2) | instskip(NEXT) | instid1(VALU_DEP_3)
	v_add_f32_e32 v81, v82, v77
	v_exp_f32_e32 v82, v79
	v_cndmask_b32_e64 v79, 0, v90, s16
	s_delay_alu instid0(VALU_DEP_2) | instskip(NEXT) | instid1(VALU_DEP_1)
	v_add_f32_e32 v81, v81, v78
	v_add_f32_e32 v90, v81, v79
	s_waitcnt_depctr 0xfff
	v_cndmask_b32_e64 v81, 0, v82, s17
	s_delay_alu instid0(VALU_DEP_1)
	v_add_f32_e32 v82, v90, v81
	ds_bpermute_b32 v89, v89, v82
	s_and_saveexec_b32 s3, s2
	s_cbranch_execz .LBB1898_12
; %bb.11:
	v_mul_u32_u24_e32 v67, 0x44, v66
	s_delay_alu instid0(VALU_DEP_1) | instskip(SKIP_1) | instid1(VALU_DEP_1)
	v_lshl_add_u32 v67, v65, 2, v67
	s_waitcnt lgkmcnt(0)
	v_dual_add_f32 v82, v82, v89 :: v_dual_add_nc_u32 v67, 0x4000, v67
	ds_store_2addr_b32 v67, v68, v82 offset1:136
.LBB1898_12:
	s_or_b32 exec_lo, exec_lo, s3
	v_lshlrev_b32_e32 v67, 2, v65
	s_waitcnt lgkmcnt(0)
	s_barrier
	buffer_gl0_inv
	v_cmp_eq_u32_e32 vcc_lo, 1, v66
	v_add_nc_u32_e32 v82, 0x4000, v67
	v_cmp_eq_u32_e64 s3, 2, v66
	v_cmp_eq_u32_e64 s5, 7, v66
	ds_load_2addr_b32 v[89:90], v82 offset1:17
	ds_load_2addr_b32 v[91:92], v82 offset0:34 offset1:51
	ds_load_2addr_b32 v[93:94], v82 offset0:68 offset1:85
	;; [unrolled: 1-line block ×4, first 2 shown]
	s_waitcnt lgkmcnt(4)
	v_max3_f32 v67, v89, 0xff7fffff, v90
	s_waitcnt lgkmcnt(3)
	s_delay_alu instid0(VALU_DEP_1) | instskip(SKIP_1) | instid1(VALU_DEP_1)
	v_max3_f32 v67, v67, v91, v92
	s_waitcnt lgkmcnt(2)
	v_max3_f32 v67, v67, v93, v94
	s_waitcnt lgkmcnt(1)
	s_delay_alu instid0(VALU_DEP_1) | instskip(NEXT) | instid1(VALU_DEP_1)
	v_max3_f32 v67, v67, v95, v96
	v_sub_f32_e32 v93, v93, v67
	s_delay_alu instid0(VALU_DEP_1) | instskip(NEXT) | instid1(VALU_DEP_1)
	v_dual_sub_f32 v68, v89, v67 :: v_dual_mul_f32 v103, 0x3fb8aa3b, v93
	v_mul_f32_e32 v68, 0x3fb8aa3b, v68
	s_delay_alu instid0(VALU_DEP_1)
	v_exp_f32_e32 v100, v68
	v_sub_f32_e32 v68, v92, v67
	v_sub_f32_e32 v99, v90, v67
	ds_load_2addr_b32 v[89:90], v82 offset0:170 offset1:187
	v_dual_mul_f32 v102, 0x3fb8aa3b, v68 :: v_dual_mul_f32 v99, 0x3fb8aa3b, v99
	s_waitcnt lgkmcnt(1)
	v_fma_f32 v68, v100, v97, 0
	s_delay_alu instid0(VALU_DEP_2) | instskip(NEXT) | instid1(VALU_DEP_2)
	v_exp_f32_e32 v102, v102
	v_exp_f32_e32 v99, v99
	s_waitcnt_depctr 0xfff
	v_fmac_f32_e32 v68, v99, v98
	v_sub_f32_e32 v91, v91, v67
	s_delay_alu instid0(VALU_DEP_1)
	v_mul_f32_e32 v101, 0x3fb8aa3b, v91
	ds_load_2addr_b32 v[91:92], v82 offset0:204 offset1:221
	v_sub_f32_e32 v97, v94, v67
	ds_load_2addr_b32 v[93:94], v82 offset0:238 offset1:255
	s_waitcnt lgkmcnt(0)
	v_exp_f32_e32 v101, v101
	s_barrier
	buffer_gl0_inv
	v_dual_fmac_f32 v68, v101, v89 :: v_dual_sub_f32 v89, v96, v67
	v_dual_sub_f32 v82, v95, v67 :: v_dual_mul_f32 v95, 0x3fb8aa3b, v97
	v_exp_f32_e32 v97, v103
	s_delay_alu instid0(VALU_DEP_2) | instskip(NEXT) | instid1(VALU_DEP_2)
	v_dual_fmac_f32 v68, v102, v90 :: v_dual_mul_f32 v89, 0x3fb8aa3b, v89
	v_mul_f32_e32 v82, 0x3fb8aa3b, v82
	s_delay_alu instid0(VALU_DEP_3) | instskip(NEXT) | instid1(VALU_DEP_2)
	v_exp_f32_e32 v95, v95
	v_exp_f32_e32 v89, v89
	s_delay_alu instid0(VALU_DEP_1)
	v_exp_f32_e32 v82, v82
	v_fmac_f32_e32 v68, v97, v91
	s_delay_alu instid0(TRANS32_DEP_3) | instid1(VALU_DEP_1)
	v_fmac_f32_e32 v68, v95, v92
	s_waitcnt_depctr 0xfff
	v_fmac_f32_e32 v68, v82, v93
	s_delay_alu instid0(VALU_DEP_1) | instskip(NEXT) | instid1(VALU_DEP_1)
	v_fmac_f32_e32 v68, v89, v94
	v_add_f32_e32 v90, 0x358637bd, v68
	s_delay_alu instid0(VALU_DEP_1) | instskip(NEXT) | instid1(VALU_DEP_1)
	v_div_scale_f32 v91, null, v90, v90, 1.0
	v_rcp_f32_e32 v92, v91
	s_waitcnt_depctr 0xfff
	v_fma_f32 v93, -v91, v92, 1.0
	s_delay_alu instid0(VALU_DEP_1) | instskip(SKIP_1) | instid1(VALU_DEP_2)
	v_dual_fmac_f32 v92, v93, v92 :: v_dual_cndmask_b32 v93, v100, v99
	v_cmp_eq_u32_e32 vcc_lo, 3, v66
	v_cndmask_b32_e64 v93, v93, v101, s3
	v_cmp_eq_u32_e64 s3, 4, v66
	s_delay_alu instid0(VALU_DEP_2) | instskip(SKIP_1) | instid1(VALU_DEP_2)
	v_cndmask_b32_e32 v93, v93, v102, vcc_lo
	v_cmp_eq_u32_e32 vcc_lo, 5, v66
	v_cndmask_b32_e64 v93, v93, v97, s3
	v_cmp_eq_u32_e64 s3, 6, v66
	s_delay_alu instid0(VALU_DEP_2) | instskip(SKIP_1) | instid1(VALU_DEP_1)
	v_cndmask_b32_e32 v93, v93, v95, vcc_lo
	v_div_scale_f32 v94, s4, 1.0, v90, 1.0
	s_mov_b32 vcc_lo, s4
	s_delay_alu instid0(VALU_DEP_2) | instskip(NEXT) | instid1(VALU_DEP_2)
	v_cndmask_b32_e64 v82, v93, v82, s3
	v_mul_f32_e32 v96, v94, v92
	s_mov_b32 s3, exec_lo
	s_delay_alu instid0(VALU_DEP_2) | instskip(NEXT) | instid1(VALU_DEP_2)
	v_cndmask_b32_e64 v82, v82, v89, s5
	v_fma_f32 v98, -v91, v96, v94
	s_delay_alu instid0(VALU_DEP_1) | instskip(NEXT) | instid1(VALU_DEP_1)
	v_fmac_f32_e32 v96, v98, v92
	v_fma_f32 v91, -v91, v96, v94
	s_delay_alu instid0(VALU_DEP_1) | instskip(NEXT) | instid1(VALU_DEP_1)
	v_div_fmas_f32 v91, v91, v92, v96
	v_div_fixup_f32 v90, v91, v90, 1.0
	s_delay_alu instid0(VALU_DEP_1) | instskip(NEXT) | instid1(VALU_DEP_1)
	v_mul_f32_e32 v82, v82, v90
	v_mul_f32_e32 v87, v82, v87
	v_mul_f32_e32 v90, v82, v80
	v_mul_f32_e32 v80, v82, v88
	v_mul_f32_e32 v84, v82, v84
	v_mul_f32_e32 v88, v82, v86
	v_mul_f32_e32 v89, v82, v85
	v_dual_mul_f32 v86, v82, v83 :: v_dual_and_b32 v91, 0x7f800000, v90
	v_mul_f32_e32 v85, v82, v76
                                        ; implicit-def: $vgpr76
	s_delay_alu instid0(VALU_DEP_2)
	v_cmpx_ne_u32_e32 0x7f800000, v91
	s_xor_b32 s3, exec_lo, s3
; %bb.13:
	v_bfe_u32 v76, v90, 16, 1
	s_delay_alu instid0(VALU_DEP_1)
	v_add3_u32 v76, v90, v76, 0x7fff
                                        ; implicit-def: $vgpr90
; %bb.14:
	s_and_not1_saveexec_b32 s3, s3
; %bb.15:
	v_and_b32_e32 v76, 0xffff, v90
	v_or_b32_e32 v83, 0x10000, v90
	s_delay_alu instid0(VALU_DEP_2) | instskip(NEXT) | instid1(VALU_DEP_2)
	v_cmp_eq_u32_e32 vcc_lo, 0, v76
	v_cndmask_b32_e32 v76, v83, v90, vcc_lo
; %bb.16:
	s_or_b32 exec_lo, exec_lo, s3
	v_and_b32_e32 v83, 0x7f800000, v85
	s_delay_alu instid0(VALU_DEP_1) | instskip(SKIP_1) | instid1(SALU_CYCLE_1)
	v_cmp_ne_u32_e32 vcc_lo, 0x7f800000, v83
                                        ; implicit-def: $vgpr83
	s_and_saveexec_b32 s3, vcc_lo
	s_xor_b32 s3, exec_lo, s3
; %bb.17:
	v_bfe_u32 v83, v85, 16, 1
	s_delay_alu instid0(VALU_DEP_1)
	v_add3_u32 v83, v85, v83, 0x7fff
                                        ; implicit-def: $vgpr85
; %bb.18:
	s_and_not1_saveexec_b32 s3, s3
; %bb.19:
	v_and_b32_e32 v83, 0xffff, v85
	v_or_b32_e32 v90, 0x10000, v85
	s_delay_alu instid0(VALU_DEP_2) | instskip(NEXT) | instid1(VALU_DEP_2)
	v_cmp_eq_u32_e32 vcc_lo, 0, v83
	v_cndmask_b32_e32 v83, v90, v85, vcc_lo
; %bb.20:
	s_or_b32 exec_lo, exec_lo, s3
	v_and_b32_e32 v85, 0x7f800000, v86
	s_delay_alu instid0(VALU_DEP_1) | instskip(SKIP_1) | instid1(SALU_CYCLE_1)
	v_cmp_ne_u32_e32 vcc_lo, 0x7f800000, v85
                                        ; implicit-def: $vgpr85
	s_and_saveexec_b32 s3, vcc_lo
	s_xor_b32 s3, exec_lo, s3
; %bb.21:
	v_bfe_u32 v85, v86, 16, 1
	s_delay_alu instid0(VALU_DEP_1)
	v_add3_u32 v85, v86, v85, 0x7fff
                                        ; implicit-def: $vgpr86
; %bb.22:
	s_and_not1_saveexec_b32 s3, s3
; %bb.23:
	v_and_b32_e32 v85, 0xffff, v86
	v_or_b32_e32 v90, 0x10000, v86
	s_delay_alu instid0(VALU_DEP_2) | instskip(NEXT) | instid1(VALU_DEP_2)
	v_cmp_eq_u32_e32 vcc_lo, 0, v85
	v_cndmask_b32_e32 v85, v90, v86, vcc_lo
; %bb.24:
	s_or_b32 exec_lo, exec_lo, s3
	v_and_b32_e32 v86, 0x7f800000, v89
	s_delay_alu instid0(VALU_DEP_1) | instskip(SKIP_1) | instid1(SALU_CYCLE_1)
	v_cmp_ne_u32_e32 vcc_lo, 0x7f800000, v86
                                        ; implicit-def: $vgpr86
	s_and_saveexec_b32 s3, vcc_lo
	s_xor_b32 s3, exec_lo, s3
; %bb.25:
	v_bfe_u32 v86, v89, 16, 1
	s_delay_alu instid0(VALU_DEP_1)
	v_add3_u32 v86, v89, v86, 0x7fff
                                        ; implicit-def: $vgpr89
; %bb.26:
	s_and_not1_saveexec_b32 s3, s3
; %bb.27:
	v_and_b32_e32 v86, 0xffff, v89
	v_or_b32_e32 v90, 0x10000, v89
	s_delay_alu instid0(VALU_DEP_2) | instskip(NEXT) | instid1(VALU_DEP_2)
	v_cmp_eq_u32_e32 vcc_lo, 0, v86
	v_cndmask_b32_e32 v86, v90, v89, vcc_lo
; %bb.28:
	s_or_b32 exec_lo, exec_lo, s3
	v_and_b32_e32 v89, 0x7f800000, v88
	s_delay_alu instid0(VALU_DEP_1) | instskip(SKIP_1) | instid1(SALU_CYCLE_1)
	v_cmp_ne_u32_e32 vcc_lo, 0x7f800000, v89
                                        ; implicit-def: $vgpr89
	s_and_saveexec_b32 s3, vcc_lo
	s_xor_b32 s3, exec_lo, s3
; %bb.29:
	v_bfe_u32 v89, v88, 16, 1
	s_delay_alu instid0(VALU_DEP_1)
	v_add3_u32 v89, v88, v89, 0x7fff
                                        ; implicit-def: $vgpr88
; %bb.30:
	s_and_not1_saveexec_b32 s3, s3
; %bb.31:
	v_and_b32_e32 v89, 0xffff, v88
	v_or_b32_e32 v90, 0x10000, v88
	s_delay_alu instid0(VALU_DEP_2) | instskip(NEXT) | instid1(VALU_DEP_2)
	v_cmp_eq_u32_e32 vcc_lo, 0, v89
	v_cndmask_b32_e32 v89, v90, v88, vcc_lo
; %bb.32:
	s_or_b32 exec_lo, exec_lo, s3
	v_and_b32_e32 v88, 0x7f800000, v87
	s_delay_alu instid0(VALU_DEP_1) | instskip(SKIP_1) | instid1(SALU_CYCLE_1)
	v_cmp_ne_u32_e32 vcc_lo, 0x7f800000, v88
                                        ; implicit-def: $vgpr88
	s_and_saveexec_b32 s3, vcc_lo
	s_xor_b32 s3, exec_lo, s3
; %bb.33:
	v_bfe_u32 v88, v87, 16, 1
	s_delay_alu instid0(VALU_DEP_1)
	v_add3_u32 v88, v87, v88, 0x7fff
                                        ; implicit-def: $vgpr87
; %bb.34:
	s_and_not1_saveexec_b32 s3, s3
; %bb.35:
	v_and_b32_e32 v88, 0xffff, v87
	v_or_b32_e32 v90, 0x10000, v87
	s_delay_alu instid0(VALU_DEP_2) | instskip(NEXT) | instid1(VALU_DEP_2)
	v_cmp_eq_u32_e32 vcc_lo, 0, v88
	v_cndmask_b32_e32 v88, v90, v87, vcc_lo
; %bb.36:
	s_or_b32 exec_lo, exec_lo, s3
	v_and_b32_e32 v87, 0x7f800000, v84
	s_delay_alu instid0(VALU_DEP_1) | instskip(SKIP_1) | instid1(SALU_CYCLE_1)
	v_cmp_ne_u32_e32 vcc_lo, 0x7f800000, v87
                                        ; implicit-def: $vgpr87
	s_and_saveexec_b32 s3, vcc_lo
	s_xor_b32 s3, exec_lo, s3
; %bb.37:
	v_bfe_u32 v87, v84, 16, 1
	s_delay_alu instid0(VALU_DEP_1)
	v_add3_u32 v87, v84, v87, 0x7fff
                                        ; implicit-def: $vgpr84
; %bb.38:
	s_and_not1_saveexec_b32 s3, s3
; %bb.39:
	v_and_b32_e32 v87, 0xffff, v84
	v_or_b32_e32 v90, 0x10000, v84
	s_delay_alu instid0(VALU_DEP_2) | instskip(NEXT) | instid1(VALU_DEP_2)
	v_cmp_eq_u32_e32 vcc_lo, 0, v87
	v_cndmask_b32_e32 v87, v90, v84, vcc_lo
; %bb.40:
	s_or_b32 exec_lo, exec_lo, s3
	v_and_b32_e32 v84, 0x7f800000, v80
	s_delay_alu instid0(VALU_DEP_1) | instskip(SKIP_1) | instid1(SALU_CYCLE_1)
	v_cmp_ne_u32_e32 vcc_lo, 0x7f800000, v84
                                        ; implicit-def: $vgpr84
	s_and_saveexec_b32 s3, vcc_lo
	s_xor_b32 s3, exec_lo, s3
; %bb.41:
	v_bfe_u32 v84, v80, 16, 1
	s_delay_alu instid0(VALU_DEP_1)
	v_add3_u32 v84, v80, v84, 0x7fff
                                        ; implicit-def: $vgpr80
; %bb.42:
	s_and_not1_saveexec_b32 s3, s3
; %bb.43:
	v_and_b32_e32 v84, 0xffff, v80
	v_or_b32_e32 v90, 0x10000, v80
	s_delay_alu instid0(VALU_DEP_2) | instskip(NEXT) | instid1(VALU_DEP_2)
	v_cmp_eq_u32_e32 vcc_lo, 0, v84
	v_cndmask_b32_e32 v84, v90, v80, vcc_lo
; %bb.44:
	s_or_b32 exec_lo, exec_lo, s3
	s_load_b64 s[34:35], s[0:1], 0x94
	v_lshlrev_b32_e32 v91, 4, v74
	s_delay_alu instid0(VALU_DEP_2)
	v_perm_b32 v90, v84, v87, 0x7060302
	v_dual_mul_f32 v79, v82, v79 :: v_dual_lshlrev_b32 v80, 6, v65
	v_dual_mul_f32 v77, v82, v77 :: v_dual_lshlrev_b32 v92, 11, v66
	v_mul_f32_e32 v84, v82, v70
	v_perm_b32 v89, v88, v89, 0x7060302
	v_perm_b32 v88, v86, v85, 0x7060302
	;; [unrolled: 1-line block ×3, first 2 shown]
	v_mul_f32_e32 v70, v82, v81
	v_or3_b32 v76, v91, v92, v80
	v_dual_mul_f32 v78, v82, v78 :: v_dual_and_b32 v85, 0x7f800000, v84
	v_mul_f32_e32 v83, v82, v72
	v_mul_f32_e32 v81, v82, v71
	v_mul_f32_e32 v72, v82, v69
	s_mov_b32 s3, exec_lo
	ds_store_b128 v76, v[87:90]
                                        ; implicit-def: $vgpr69
	v_cmpx_ne_u32_e32 0x7f800000, v85
	s_xor_b32 s3, exec_lo, s3
; %bb.45:
	v_bfe_u32 v69, v84, 16, 1
	s_delay_alu instid0(VALU_DEP_1)
	v_add3_u32 v69, v84, v69, 0x7fff
                                        ; implicit-def: $vgpr84
; %bb.46:
	s_and_not1_saveexec_b32 s3, s3
; %bb.47:
	v_and_b32_e32 v69, 0xffff, v84
	v_or_b32_e32 v71, 0x10000, v84
	s_delay_alu instid0(VALU_DEP_2) | instskip(NEXT) | instid1(VALU_DEP_2)
	v_cmp_eq_u32_e32 vcc_lo, 0, v69
	v_cndmask_b32_e32 v69, v71, v84, vcc_lo
; %bb.48:
	s_or_b32 exec_lo, exec_lo, s3
	v_and_b32_e32 v71, 0x7f800000, v72
	s_delay_alu instid0(VALU_DEP_1) | instskip(SKIP_1) | instid1(SALU_CYCLE_1)
	v_cmp_ne_u32_e32 vcc_lo, 0x7f800000, v71
                                        ; implicit-def: $vgpr71
	s_and_saveexec_b32 s3, vcc_lo
	s_xor_b32 s3, exec_lo, s3
; %bb.49:
	v_bfe_u32 v71, v72, 16, 1
	s_delay_alu instid0(VALU_DEP_1)
	v_add3_u32 v71, v72, v71, 0x7fff
                                        ; implicit-def: $vgpr72
; %bb.50:
	s_and_not1_saveexec_b32 s3, s3
; %bb.51:
	v_and_b32_e32 v71, 0xffff, v72
	v_or_b32_e32 v82, 0x10000, v72
	s_delay_alu instid0(VALU_DEP_2) | instskip(NEXT) | instid1(VALU_DEP_2)
	v_cmp_eq_u32_e32 vcc_lo, 0, v71
	v_cndmask_b32_e32 v71, v82, v72, vcc_lo
; %bb.52:
	s_or_b32 exec_lo, exec_lo, s3
	v_and_b32_e32 v72, 0x7f800000, v81
	s_delay_alu instid0(VALU_DEP_1) | instskip(SKIP_1) | instid1(SALU_CYCLE_1)
	v_cmp_ne_u32_e32 vcc_lo, 0x7f800000, v72
                                        ; implicit-def: $vgpr72
	s_and_saveexec_b32 s3, vcc_lo
	s_xor_b32 s3, exec_lo, s3
; %bb.53:
	v_bfe_u32 v72, v81, 16, 1
	s_delay_alu instid0(VALU_DEP_1)
	v_add3_u32 v72, v81, v72, 0x7fff
                                        ; implicit-def: $vgpr81
; %bb.54:
	s_and_not1_saveexec_b32 s3, s3
; %bb.55:
	v_and_b32_e32 v72, 0xffff, v81
	v_or_b32_e32 v82, 0x10000, v81
	s_delay_alu instid0(VALU_DEP_2) | instskip(NEXT) | instid1(VALU_DEP_2)
	v_cmp_eq_u32_e32 vcc_lo, 0, v72
	v_cndmask_b32_e32 v72, v82, v81, vcc_lo
; %bb.56:
	s_or_b32 exec_lo, exec_lo, s3
	v_and_b32_e32 v81, 0x7f800000, v83
	s_delay_alu instid0(VALU_DEP_1) | instskip(SKIP_1) | instid1(SALU_CYCLE_1)
	v_cmp_ne_u32_e32 vcc_lo, 0x7f800000, v81
                                        ; implicit-def: $vgpr81
	s_and_saveexec_b32 s3, vcc_lo
	s_xor_b32 s3, exec_lo, s3
; %bb.57:
	v_bfe_u32 v81, v83, 16, 1
	s_delay_alu instid0(VALU_DEP_1)
	v_add3_u32 v81, v83, v81, 0x7fff
                                        ; implicit-def: $vgpr83
; %bb.58:
	s_and_not1_saveexec_b32 s3, s3
; %bb.59:
	v_and_b32_e32 v81, 0xffff, v83
	v_or_b32_e32 v82, 0x10000, v83
	s_delay_alu instid0(VALU_DEP_2) | instskip(NEXT) | instid1(VALU_DEP_2)
	v_cmp_eq_u32_e32 vcc_lo, 0, v81
	v_cndmask_b32_e32 v81, v82, v83, vcc_lo
; %bb.60:
	s_or_b32 exec_lo, exec_lo, s3
	v_and_b32_e32 v82, 0x7f800000, v77
	s_delay_alu instid0(VALU_DEP_1) | instskip(SKIP_1) | instid1(SALU_CYCLE_1)
	v_cmp_ne_u32_e32 vcc_lo, 0x7f800000, v82
                                        ; implicit-def: $vgpr82
	s_and_saveexec_b32 s3, vcc_lo
	s_xor_b32 s3, exec_lo, s3
; %bb.61:
	v_bfe_u32 v82, v77, 16, 1
	s_delay_alu instid0(VALU_DEP_1)
	v_add3_u32 v82, v77, v82, 0x7fff
                                        ; implicit-def: $vgpr77
; %bb.62:
	s_and_not1_saveexec_b32 s3, s3
; %bb.63:
	v_and_b32_e32 v82, 0xffff, v77
	v_or_b32_e32 v83, 0x10000, v77
	s_delay_alu instid0(VALU_DEP_2) | instskip(NEXT) | instid1(VALU_DEP_2)
	v_cmp_eq_u32_e32 vcc_lo, 0, v82
	v_cndmask_b32_e32 v82, v83, v77, vcc_lo
; %bb.64:
	s_or_b32 exec_lo, exec_lo, s3
	v_and_b32_e32 v77, 0x7f800000, v78
	s_delay_alu instid0(VALU_DEP_1) | instskip(SKIP_1) | instid1(SALU_CYCLE_1)
	v_cmp_ne_u32_e32 vcc_lo, 0x7f800000, v77
                                        ; implicit-def: $vgpr77
	s_and_saveexec_b32 s3, vcc_lo
	s_xor_b32 s3, exec_lo, s3
; %bb.65:
	v_bfe_u32 v77, v78, 16, 1
	s_delay_alu instid0(VALU_DEP_1)
	v_add3_u32 v77, v78, v77, 0x7fff
                                        ; implicit-def: $vgpr78
; %bb.66:
	s_and_not1_saveexec_b32 s3, s3
; %bb.67:
	v_and_b32_e32 v77, 0xffff, v78
	v_or_b32_e32 v83, 0x10000, v78
	s_delay_alu instid0(VALU_DEP_2) | instskip(NEXT) | instid1(VALU_DEP_2)
	v_cmp_eq_u32_e32 vcc_lo, 0, v77
	v_cndmask_b32_e32 v77, v83, v78, vcc_lo
; %bb.68:
	s_or_b32 exec_lo, exec_lo, s3
	v_and_b32_e32 v78, 0x7f800000, v79
	s_delay_alu instid0(VALU_DEP_1) | instskip(SKIP_1) | instid1(SALU_CYCLE_1)
	v_cmp_ne_u32_e32 vcc_lo, 0x7f800000, v78
                                        ; implicit-def: $vgpr78
	s_and_saveexec_b32 s3, vcc_lo
	s_xor_b32 s3, exec_lo, s3
; %bb.69:
	v_bfe_u32 v78, v79, 16, 1
	s_delay_alu instid0(VALU_DEP_1)
	v_add3_u32 v78, v79, v78, 0x7fff
                                        ; implicit-def: $vgpr79
; %bb.70:
	s_and_not1_saveexec_b32 s3, s3
; %bb.71:
	v_and_b32_e32 v78, 0xffff, v79
	v_or_b32_e32 v83, 0x10000, v79
	s_delay_alu instid0(VALU_DEP_2) | instskip(NEXT) | instid1(VALU_DEP_2)
	v_cmp_eq_u32_e32 vcc_lo, 0, v78
	v_cndmask_b32_e32 v78, v83, v79, vcc_lo
; %bb.72:
	s_or_b32 exec_lo, exec_lo, s3
	v_and_b32_e32 v79, 0x7f800000, v70
	s_delay_alu instid0(VALU_DEP_1) | instskip(SKIP_1) | instid1(SALU_CYCLE_1)
	v_cmp_ne_u32_e32 vcc_lo, 0x7f800000, v79
                                        ; implicit-def: $vgpr79
	s_and_saveexec_b32 s3, vcc_lo
	s_xor_b32 s3, exec_lo, s3
; %bb.73:
	v_bfe_u32 v79, v70, 16, 1
	s_delay_alu instid0(VALU_DEP_1)
	v_add3_u32 v79, v70, v79, 0x7fff
                                        ; implicit-def: $vgpr70
; %bb.74:
	s_and_not1_saveexec_b32 s3, s3
; %bb.75:
	v_and_b32_e32 v79, 0xffff, v70
	v_or_b32_e32 v83, 0x10000, v70
	s_delay_alu instid0(VALU_DEP_2) | instskip(NEXT) | instid1(VALU_DEP_2)
	v_cmp_eq_u32_e32 vcc_lo, 0, v79
	v_cndmask_b32_e32 v79, v83, v70, vcc_lo
; %bb.76:
	s_or_b32 exec_lo, exec_lo, s3
	s_delay_alu instid0(VALU_DEP_1)
	v_perm_b32 v86, v79, v78, 0x7060302
	v_perm_b32 v85, v77, v82, 0x7060302
	;; [unrolled: 1-line block ×4, first 2 shown]
	v_lshl_or_b32 v82, v66, 11, v80
	ds_store_b128 v76, v[83:86] offset:1024
	s_waitcnt lgkmcnt(0)
	s_barrier
	buffer_gl0_inv
	ds_load_b128 v[69:72], v82
	ds_load_b128 v[83:86], v82 offset:16
	s_waitcnt lgkmcnt(1)
	v_lshrrev_b32_e32 v66, 16, v69
	s_waitcnt lgkmcnt(0)
	v_lshrrev_b32_e32 v91, 16, v83
	v_lshlrev_b32_e32 v78, 2, v74
	v_lshrrev_b32_e32 v95, 16, v70
	v_lshrrev_b32_e32 v98, 16, v84
	;; [unrolled: 1-line block ×4, first 2 shown]
	v_cmp_eq_u32_e32 vcc_lo, 1, v78
	v_lshrrev_b32_e32 v97, 16, v72
	v_lshrrev_b32_e32 v100, 16, v86
	v_cndmask_b32_e32 v87, v83, v91, vcc_lo
	v_or_b32_e32 v79, 1, v78
	v_cndmask_b32_e32 v81, v69, v66, vcc_lo
	v_cmp_eq_u32_e64 s4, 2, v78
	v_cmp_eq_u32_e64 s7, 3, v78
	;; [unrolled: 1-line block ×5, first 2 shown]
	v_cndmask_b32_e64 v81, v81, v70, s4
	v_cndmask_b32_e64 v87, v87, v84, s4
	v_cmp_eq_u32_e64 s8, 3, v79
	v_cndmask_b32_e64 v88, v69, v66, s3
	v_or_b32_e32 v77, 2, v78
	v_cndmask_b32_e64 v81, v81, v95, s7
	v_cndmask_b32_e64 v87, v87, v98, s7
	;; [unrolled: 1-line block ×4, first 2 shown]
	v_cmp_eq_u32_e64 s10, 5, v78
	v_cndmask_b32_e64 v81, v81, v71, s9
	v_cndmask_b32_e64 v87, v87, v85, s9
	v_cmp_eq_u32_e64 s11, 4, v79
	v_cndmask_b32_e64 v88, v88, v95, s8
	v_cmp_eq_u32_e64 s5, 1, v77
	v_cndmask_b32_e64 v89, v89, v84, s6
	v_cndmask_b32_e64 v81, v81, v96, s10
	v_cmp_eq_u32_e64 s12, 6, v78
	v_cndmask_b32_e64 v88, v88, v71, s11
	v_cndmask_b32_e64 v87, v87, v99, s10
	v_cmp_eq_u32_e64 s13, 5, v79
	v_cndmask_b32_e64 v90, v69, v66, s5
	v_cndmask_b32_e64 v89, v89, v98, s8
	v_cndmask_b32_e64 v81, v81, v72, s12
	v_cmp_eq_u32_e64 s15, 7, v78
	v_cndmask_b32_e64 v88, v88, v96, s13
	v_cndmask_b32_e64 v87, v87, v86, s12
	v_cmp_eq_u32_e64 s16, 6, v79
	v_cmp_eq_u32_e64 s17, 2, v77
	v_cndmask_b32_e64 v89, v89, v85, s11
	v_cndmask_b32_e64 v101, v81, v97, s15
	v_cndmask_b32_e64 v102, v87, v100, s15
	v_cndmask_b32_e64 v88, v88, v72, s16
	v_cndmask_b32_e64 v81, v90, v70, s17
	v_cndmask_b32_e64 v87, v83, v91, s5
	v_cmp_eq_u32_e64 s18, 7, v79
	v_cmp_eq_u32_e64 s19, 3, v77
	;; [unrolled: 1-line block ×4, first 2 shown]
	v_cndmask_b32_e64 v87, v87, v84, s17
	v_cndmask_b32_e64 v103, v88, v97, s18
	;; [unrolled: 1-line block ×4, first 2 shown]
	v_or_b32_e32 v81, 3, v78
	v_cndmask_b32_e64 v93, v87, v98, s19
	v_cmp_eq_u32_e64 s24, 6, v77
	v_cndmask_b32_e64 v104, v88, v86, s16
	v_cndmask_b32_e64 v92, v89, v71, s20
	v_cmp_eq_u32_e64 s21, 1, v81
	ds_load_b128 v[87:90], v82 offset:1024
	v_cmp_eq_u32_e64 s23, 2, v81
	v_cmp_eq_u32_e64 s25, 3, v81
	v_cndmask_b32_e64 v105, v92, v96, s22
	v_cndmask_b32_e64 v66, v69, v66, s21
	;; [unrolled: 1-line block ×4, first 2 shown]
	ds_load_b128 v[91:94], v82 offset:1040
	v_cmp_eq_u32_e64 s26, 4, v81
	v_cndmask_b32_e64 v66, v66, v70, s23
	v_cmp_eq_u32_e64 s27, 7, v77
	v_cndmask_b32_e64 v70, v83, v84, s23
	v_cndmask_b32_e64 v84, v105, v72, s24
	v_cmp_eq_u32_e64 s28, 5, v81
	v_cndmask_b32_e64 v66, v66, v95, s25
	v_cmp_eq_u32_e64 s29, 6, v81
	v_cndmask_b32_e64 v70, v70, v98, s25
	v_cndmask_b32_e64 v69, v69, v99, s22
	;; [unrolled: 1-line block ×4, first 2 shown]
	s_waitcnt lgkmcnt(1)
	v_lshrrev_b32_e32 v95, 16, v87
	v_cndmask_b32_e64 v70, v70, v85, s26
	v_cndmask_b32_e64 v71, v84, v97, s27
	;; [unrolled: 1-line block ×4, first 2 shown]
	v_cndmask_b32_e32 v84, v87, v95, vcc_lo
	v_cndmask_b32_e64 v70, v70, v99, s28
	s_waitcnt lgkmcnt(0)
	v_lshrrev_b32_e32 v85, 16, v91
	v_lshrrev_b32_e32 v96, 16, v88
	v_cndmask_b32_e64 v98, v87, v95, s3
	v_cndmask_b32_e64 v84, v84, v88, s4
	;; [unrolled: 1-line block ×3, first 2 shown]
	v_cndmask_b32_e32 v99, v91, v85, vcc_lo
	v_cmp_eq_u32_e32 vcc_lo, 7, v81
	v_cndmask_b32_e64 v66, v66, v72, s29
	v_cndmask_b32_e64 v72, v84, v96, s7
	;; [unrolled: 1-line block ×3, first 2 shown]
	v_lshrrev_b32_e32 v98, 16, v92
	v_cndmask_b32_e32 v70, v70, v100, vcc_lo
	v_cndmask_b32_e64 v86, v99, v92, s4
	v_cndmask_b32_e64 v69, v69, v100, s27
	v_lshrrev_b32_e32 v100, 16, v93
	v_cndmask_b32_e64 v72, v72, v89, s9
	v_lshrrev_b32_e32 v99, 16, v89
	v_cndmask_b32_e64 v86, v86, v98, s7
	v_perm_b32 v71, v69, v71, 0x5040100
	v_cndmask_b32_e64 v84, v84, v96, s8
	s_delay_alu instid0(VALU_DEP_3) | instskip(NEXT) | instid1(VALU_DEP_2)
	v_cndmask_b32_e64 v86, v86, v93, s9
	v_cndmask_b32_e64 v84, v84, v89, s11
	s_delay_alu instid0(VALU_DEP_2) | instskip(NEXT) | instid1(VALU_DEP_1)
	v_cndmask_b32_e64 v86, v86, v100, s10
	v_cndmask_b32_e64 v69, v86, v94, s12
	;; [unrolled: 1-line block ×5, first 2 shown]
	s_delay_alu instid0(VALU_DEP_3) | instskip(NEXT) | instid1(VALU_DEP_3)
	v_cndmask_b32_e64 v86, v86, v88, s17
	v_cndmask_b32_e64 v87, v87, v88, s23
	s_delay_alu instid0(VALU_DEP_3) | instskip(NEXT) | instid1(VALU_DEP_3)
	v_cndmask_b32_e64 v88, v95, v92, s23
	v_cndmask_b32_e64 v86, v86, v96, s19
	;; [unrolled: 3-line block ×7, first 2 shown]
	s_delay_alu instid0(VALU_DEP_3) | instskip(SKIP_2) | instid1(VALU_DEP_2)
	v_cndmask_b32_e64 v88, v88, v94, s29
	v_cndmask_b32_e32 v66, v66, v97, vcc_lo
	v_cndmask_b32_e64 v97, v72, v99, s10
	v_perm_b32 v72, v70, v66, 0x5040100
	v_perm_b32 v70, v83, v103, 0x5040100
	v_cndmask_b32_e64 v103, v91, v85, s5
	v_cndmask_b32_e64 v85, v91, v85, s3
	;; [unrolled: 1-line block ×4, first 2 shown]
	v_lshrrev_b32_e32 v97, 16, v90
	v_cndmask_b32_e64 v91, v103, v92, s17
	v_cndmask_b32_e64 v85, v85, v92, s6
	;; [unrolled: 1-line block ×3, first 2 shown]
	s_mov_b32 s3, exec_lo
	v_cndmask_b32_e64 v83, v84, v97, s15
	v_cndmask_b32_e64 v91, v91, v98, s19
	;; [unrolled: 1-line block ×3, first 2 shown]
	v_lshrrev_b32_e32 v84, 16, v94
	v_cndmask_b32_e64 v66, v66, v97, s18
	v_cndmask_b32_e64 v90, v86, v97, s27
	;; [unrolled: 1-line block ×4, first 2 shown]
	v_dual_cndmask_b32 v86, v87, v97 :: v_dual_cndmask_b32 v87, v88, v84
	v_cndmask_b32_e64 v91, v69, v84, s15
	s_delay_alu instid0(VALU_DEP_4) | instskip(NEXT) | instid1(VALU_DEP_4)
	v_cndmask_b32_e64 v89, v89, v100, s22
	v_cndmask_b32_e64 v85, v85, v100, s13
	v_perm_b32 v69, v102, v101, 0x5040100
	v_perm_b32 v86, v87, v86, 0x5040100
	;; [unrolled: 1-line block ×3, first 2 shown]
	v_cndmask_b32_e64 v89, v89, v94, s24
	v_cndmask_b32_e64 v85, v85, v94, s16
	s_mul_i32 s8, s35, 13
	s_delay_alu instid0(VALU_DEP_2) | instskip(NEXT) | instid1(VALU_DEP_2)
	v_cndmask_b32_e64 v88, v89, v84, s27
	v_cndmask_b32_e64 v89, v85, v84, s18
	s_delay_alu instid0(VALU_DEP_2) | instskip(NEXT) | instid1(VALU_DEP_2)
	v_perm_b32 v85, v88, v90, 0x5040100
	v_perm_b32 v84, v89, v66, 0x5040100
	ds_store_b128 v76, v[69:72]
	ds_store_b128 v76, v[83:86] offset:1024
	v_cmpx_gt_u32_e32 13, v0
	s_cbranch_execz .LBB1898_78
; %bb.77:
	s_mul_i32 s4, s8, s30
	s_delay_alu instid0(SALU_CYCLE_1) | instskip(SKIP_1) | instid1(VALU_DEP_1)
	v_add3_u32 v69, s4, s31, v65
	s_load_b128 s[4:7], s[0:1], 0x58
	v_mad_u64_u32 v[65:66], null, v69, s34, s[14:15]
	s_delay_alu instid0(VALU_DEP_1) | instskip(NEXT) | instid1(VALU_DEP_1)
	v_ashrrev_i32_e32 v66, 31, v65
	v_lshlrev_b64 v[65:66], 2, v[65:66]
	s_waitcnt lgkmcnt(0)
	s_delay_alu instid0(VALU_DEP_1) | instskip(NEXT) | instid1(VALU_DEP_2)
	v_add_co_u32 v69, vcc_lo, s6, v65
	v_add_co_ci_u32_e32 v70, vcc_lo, s7, v66, vcc_lo
	v_add_co_u32 v65, vcc_lo, s4, v65
	v_add_co_ci_u32_e32 v66, vcc_lo, s5, v66, vcc_lo
	global_store_b32 v[69:70], v67, off
	global_store_b32 v[65:66], v68, off
.LBB1898_78:
	s_or_b32 exec_lo, exec_lo, s3
	s_waitcnt lgkmcnt(0)
	s_waitcnt_vscnt null, 0x0
	s_barrier
	buffer_gl0_inv
	ds_load_b128 v[83:86], v80
	ds_load_b128 v[87:90], v80 offset:16
	ds_load_b128 v[95:98], v80 offset:2064
	ds_load_b128 v[91:94], v80 offset:2048
	v_mov_b32_e32 v65, 0
	ds_load_b128 v[103:106], v80 offset:4112
	ds_load_b128 v[99:102], v80 offset:4096
	ds_load_b128 v[111:114], v80 offset:6160
	ds_load_b128 v[107:110], v80 offset:6144
	v_mov_b32_e32 v66, v65
	v_mov_b32_e32 v67, v65
	;; [unrolled: 1-line block ×7, first 2 shown]
	s_waitcnt lgkmcnt(6)
	s_delay_alu instid0(VALU_DEP_1)
	v_wmma_f32_16x16x16_bf16 v[65:72], v[49:56], v[83:90], v[65:72]
	ds_load_b128 v[53:56], v80 offset:8208
	ds_load_b128 v[49:52], v80 offset:8192
	s_waitcnt lgkmcnt(6)
	v_wmma_f32_16x16x16_bf16 v[65:72], v[41:48], v[91:98], v[65:72]
	ds_load_b128 v[45:48], v80 offset:10256
	ds_load_b128 v[41:44], v80 offset:10240
	s_waitcnt lgkmcnt(6)
	v_wmma_f32_16x16x16_bf16 v[65:72], v[33:40], v[99:106], v[65:72]
	ds_load_b128 v[37:40], v80 offset:12304
	ds_load_b128 v[33:36], v80 offset:12288
	s_waitcnt lgkmcnt(6)
	v_wmma_f32_16x16x16_bf16 v[65:72], v[25:32], v[107:114], v[65:72]
	ds_load_b128 v[29:32], v80 offset:14352
	ds_load_b128 v[25:28], v80 offset:14336
	s_waitcnt lgkmcnt(6)
	v_wmma_f32_16x16x16_bf16 v[65:72], v[1:8], v[49:56], v[65:72]
	s_waitcnt lgkmcnt(4)
	s_delay_alu instid0(VALU_DEP_1) | instskip(SKIP_1) | instid1(VALU_DEP_1)
	v_wmma_f32_16x16x16_bf16 v[65:72], v[9:16], v[41:48], v[65:72]
	s_waitcnt lgkmcnt(2)
	v_wmma_f32_16x16x16_bf16 v[65:72], v[17:24], v[33:40], v[65:72]
	s_waitcnt lgkmcnt(0)
	s_delay_alu instid0(VALU_DEP_1) | instskip(NEXT) | instid1(VALU_DEP_1)
	v_wmma_f32_16x16x16_bf16 v[65:72], v[57:64], v[25:32], v[65:72]
	v_and_b32_e32 v1, 0x7f800000, v65
	s_delay_alu instid0(VALU_DEP_1) | instskip(SKIP_1) | instid1(SALU_CYCLE_1)
	v_cmp_ne_u32_e32 vcc_lo, 0x7f800000, v1
                                        ; implicit-def: $vgpr1
	s_and_saveexec_b32 s3, vcc_lo
	s_xor_b32 s3, exec_lo, s3
; %bb.79:
	v_bfe_u32 v1, v65, 16, 1
	s_delay_alu instid0(VALU_DEP_1)
	v_add3_u32 v1, v65, v1, 0x7fff
; %bb.80:
	s_and_not1_saveexec_b32 s3, s3
; %bb.81:
	v_and_b32_e32 v1, 0xffff, v65
	v_or_b32_e32 v2, 0x10000, v65
	s_delay_alu instid0(VALU_DEP_2) | instskip(NEXT) | instid1(VALU_DEP_2)
	v_cmp_eq_u32_e32 vcc_lo, 0, v1
	v_cndmask_b32_e32 v1, v2, v65, vcc_lo
; %bb.82:
	s_or_b32 exec_lo, exec_lo, s3
	v_and_b32_e32 v2, 0x7f800000, v66
	s_delay_alu instid0(VALU_DEP_1) | instskip(SKIP_1) | instid1(SALU_CYCLE_1)
	v_cmp_ne_u32_e32 vcc_lo, 0x7f800000, v2
                                        ; implicit-def: $vgpr2
	s_and_saveexec_b32 s3, vcc_lo
	s_xor_b32 s3, exec_lo, s3
; %bb.83:
	v_bfe_u32 v2, v66, 16, 1
	s_delay_alu instid0(VALU_DEP_1)
	v_add3_u32 v2, v66, v2, 0x7fff
; %bb.84:
	s_and_not1_saveexec_b32 s3, s3
; %bb.85:
	v_and_b32_e32 v2, 0xffff, v66
	v_or_b32_e32 v3, 0x10000, v66
	s_delay_alu instid0(VALU_DEP_2) | instskip(NEXT) | instid1(VALU_DEP_2)
	v_cmp_eq_u32_e32 vcc_lo, 0, v2
	v_cndmask_b32_e32 v2, v3, v66, vcc_lo
; %bb.86:
	s_or_b32 exec_lo, exec_lo, s3
	v_and_b32_e32 v3, 0x7f800000, v67
	s_delay_alu instid0(VALU_DEP_1) | instskip(SKIP_1) | instid1(SALU_CYCLE_1)
	v_cmp_ne_u32_e32 vcc_lo, 0x7f800000, v3
                                        ; implicit-def: $vgpr3
	s_and_saveexec_b32 s3, vcc_lo
	s_xor_b32 s3, exec_lo, s3
; %bb.87:
	v_bfe_u32 v3, v67, 16, 1
	s_delay_alu instid0(VALU_DEP_1)
	v_add3_u32 v3, v67, v3, 0x7fff
; %bb.88:
	s_and_not1_saveexec_b32 s3, s3
; %bb.89:
	v_and_b32_e32 v3, 0xffff, v67
	v_or_b32_e32 v4, 0x10000, v67
	s_delay_alu instid0(VALU_DEP_2) | instskip(NEXT) | instid1(VALU_DEP_2)
	v_cmp_eq_u32_e32 vcc_lo, 0, v3
	v_cndmask_b32_e32 v3, v4, v67, vcc_lo
; %bb.90:
	s_or_b32 exec_lo, exec_lo, s3
	v_and_b32_e32 v4, 0x7f800000, v68
	s_delay_alu instid0(VALU_DEP_1) | instskip(SKIP_1) | instid1(SALU_CYCLE_1)
	v_cmp_ne_u32_e32 vcc_lo, 0x7f800000, v4
                                        ; implicit-def: $vgpr4
	s_and_saveexec_b32 s3, vcc_lo
	s_xor_b32 s3, exec_lo, s3
; %bb.91:
	v_bfe_u32 v4, v68, 16, 1
	s_delay_alu instid0(VALU_DEP_1)
	v_add3_u32 v4, v68, v4, 0x7fff
; %bb.92:
	s_and_not1_saveexec_b32 s3, s3
; %bb.93:
	v_and_b32_e32 v4, 0xffff, v68
	v_or_b32_e32 v5, 0x10000, v68
	s_delay_alu instid0(VALU_DEP_2) | instskip(NEXT) | instid1(VALU_DEP_2)
	v_cmp_eq_u32_e32 vcc_lo, 0, v4
	v_cndmask_b32_e32 v4, v5, v68, vcc_lo
; %bb.94:
	s_or_b32 exec_lo, exec_lo, s3
	v_and_b32_e32 v5, 0x7f800000, v69
	s_delay_alu instid0(VALU_DEP_1) | instskip(SKIP_1) | instid1(SALU_CYCLE_1)
	v_cmp_ne_u32_e32 vcc_lo, 0x7f800000, v5
                                        ; implicit-def: $vgpr5
	s_and_saveexec_b32 s3, vcc_lo
	s_xor_b32 s3, exec_lo, s3
; %bb.95:
	v_bfe_u32 v5, v69, 16, 1
	s_delay_alu instid0(VALU_DEP_1)
	v_add3_u32 v5, v69, v5, 0x7fff
; %bb.96:
	s_and_not1_saveexec_b32 s3, s3
; %bb.97:
	v_and_b32_e32 v5, 0xffff, v69
	v_or_b32_e32 v6, 0x10000, v69
	s_delay_alu instid0(VALU_DEP_2) | instskip(NEXT) | instid1(VALU_DEP_2)
	v_cmp_eq_u32_e32 vcc_lo, 0, v5
	v_cndmask_b32_e32 v5, v6, v69, vcc_lo
; %bb.98:
	s_or_b32 exec_lo, exec_lo, s3
	v_and_b32_e32 v6, 0x7f800000, v70
	s_delay_alu instid0(VALU_DEP_1) | instskip(SKIP_1) | instid1(SALU_CYCLE_1)
	v_cmp_ne_u32_e32 vcc_lo, 0x7f800000, v6
                                        ; implicit-def: $vgpr6
	s_and_saveexec_b32 s3, vcc_lo
	s_xor_b32 s3, exec_lo, s3
; %bb.99:
	v_bfe_u32 v6, v70, 16, 1
	s_delay_alu instid0(VALU_DEP_1)
	v_add3_u32 v6, v70, v6, 0x7fff
; %bb.100:
	s_and_not1_saveexec_b32 s3, s3
; %bb.101:
	v_and_b32_e32 v6, 0xffff, v70
	v_or_b32_e32 v7, 0x10000, v70
	s_delay_alu instid0(VALU_DEP_2) | instskip(NEXT) | instid1(VALU_DEP_2)
	v_cmp_eq_u32_e32 vcc_lo, 0, v6
	v_cndmask_b32_e32 v6, v7, v70, vcc_lo
; %bb.102:
	s_or_b32 exec_lo, exec_lo, s3
	v_and_b32_e32 v7, 0x7f800000, v71
	s_delay_alu instid0(VALU_DEP_1) | instskip(SKIP_1) | instid1(SALU_CYCLE_1)
	v_cmp_ne_u32_e32 vcc_lo, 0x7f800000, v7
                                        ; implicit-def: $vgpr7
	s_and_saveexec_b32 s3, vcc_lo
	s_xor_b32 s3, exec_lo, s3
; %bb.103:
	v_bfe_u32 v7, v71, 16, 1
	s_delay_alu instid0(VALU_DEP_1)
	v_add3_u32 v7, v71, v7, 0x7fff
; %bb.104:
	s_and_not1_saveexec_b32 s3, s3
; %bb.105:
	v_and_b32_e32 v7, 0xffff, v71
	v_or_b32_e32 v8, 0x10000, v71
	s_delay_alu instid0(VALU_DEP_2) | instskip(NEXT) | instid1(VALU_DEP_2)
	v_cmp_eq_u32_e32 vcc_lo, 0, v7
	v_cndmask_b32_e32 v7, v8, v71, vcc_lo
; %bb.106:
	s_or_b32 exec_lo, exec_lo, s3
	v_and_b32_e32 v8, 0x7f800000, v72
	s_delay_alu instid0(VALU_DEP_1) | instskip(SKIP_1) | instid1(SALU_CYCLE_1)
	v_cmp_ne_u32_e32 vcc_lo, 0x7f800000, v8
                                        ; implicit-def: $vgpr8
	s_and_saveexec_b32 s3, vcc_lo
	s_xor_b32 s3, exec_lo, s3
; %bb.107:
	v_bfe_u32 v8, v72, 16, 1
	s_delay_alu instid0(VALU_DEP_1)
	v_add3_u32 v8, v72, v8, 0x7fff
                                        ; implicit-def: $vgpr65_vgpr66_vgpr67_vgpr68_vgpr69_vgpr70_vgpr71_vgpr72
; %bb.108:
	s_and_not1_saveexec_b32 s3, s3
; %bb.109:
	v_and_b32_e32 v8, 0xffff, v72
	v_or_b32_e32 v9, 0x10000, v72
	s_delay_alu instid0(VALU_DEP_2) | instskip(NEXT) | instid1(VALU_DEP_2)
	v_cmp_eq_u32_e32 vcc_lo, 0, v8
	v_cndmask_b32_e32 v8, v9, v72, vcc_lo
; %bb.110:
	s_or_b32 exec_lo, exec_lo, s3
	s_delay_alu instid0(VALU_DEP_1)
	v_perm_b32 v7, v8, v7, 0x7060302
	v_perm_b32 v6, v6, v5, 0x7060302
	;; [unrolled: 1-line block ×4, first 2 shown]
	s_barrier
	buffer_gl0_inv
	v_cmp_eq_u32_e32 vcc_lo, 1, v78
	ds_store_b128 v76, v[4:7]
	s_waitcnt lgkmcnt(0)
	s_barrier
	buffer_gl0_inv
	ds_load_b128 v[1:4], v82
	ds_load_b128 v[5:8], v82 offset:16
	v_cmp_eq_u32_e64 s3, 1, v79
	v_cmp_eq_u32_e64 s4, 2, v78
	;; [unrolled: 1-line block ×5, first 2 shown]
	s_waitcnt lgkmcnt(1)
	v_lshrrev_b32_e32 v9, 16, v1
	s_waitcnt lgkmcnt(0)
	v_lshrrev_b32_e32 v13, 16, v5
	v_lshrrev_b32_e32 v10, 16, v2
	v_lshrrev_b32_e32 v14, 16, v6
	v_lshrrev_b32_e32 v11, 16, v3
	v_cndmask_b32_e64 v19, v1, v9, s3
	v_cndmask_b32_e32 v18, v5, v13, vcc_lo
	v_cndmask_b32_e64 v20, v5, v13, s3
	v_cndmask_b32_e32 v17, v1, v9, vcc_lo
	v_cmp_eq_u32_e32 vcc_lo, 2, v79
	v_lshrrev_b32_e32 v15, 16, v7
	v_cmp_eq_u32_e64 s3, 1, v77
	v_lshrrev_b32_e32 v12, 16, v4
	v_lshrrev_b32_e32 v16, 16, v8
	v_cndmask_b32_e32 v20, v20, v6, vcc_lo
	v_cndmask_b32_e64 v17, v17, v2, s4
	v_cndmask_b32_e32 v19, v19, v2, vcc_lo
	v_cndmask_b32_e64 v18, v18, v6, s4
	v_cmp_eq_u32_e32 vcc_lo, 4, v78
	v_cmp_eq_u32_e64 s4, 3, v79
	v_cndmask_b32_e64 v17, v17, v10, s5
	v_cndmask_b32_e64 v21, v1, v9, s3
	;; [unrolled: 1-line block ×5, first 2 shown]
	v_cndmask_b32_e32 v17, v17, v3, vcc_lo
	v_cndmask_b32_e64 v20, v20, v14, s4
	v_cndmask_b32_e32 v18, v18, v7, vcc_lo
	v_cmp_eq_u32_e32 vcc_lo, 4, v79
	v_cmp_eq_u32_e64 s4, 5, v79
	v_cmp_eq_u32_e64 s3, 2, v81
	v_cndmask_b32_e64 v21, v21, v2, s7
	v_cmp_eq_u32_e64 s5, 5, v78
	v_cndmask_b32_e32 v19, v19, v3, vcc_lo
	v_cndmask_b32_e32 v20, v20, v7, vcc_lo
	v_cmp_eq_u32_e32 vcc_lo, 6, v79
	s_delay_alu instid0(VALU_DEP_4) | instskip(NEXT) | instid1(VALU_DEP_4)
	v_cndmask_b32_e64 v17, v17, v11, s5
	v_cndmask_b32_e64 v19, v19, v11, s4
	s_delay_alu instid0(VALU_DEP_4) | instskip(SKIP_1) | instid1(VALU_DEP_3)
	v_cndmask_b32_e64 v20, v20, v15, s4
	v_cmp_eq_u32_e64 s4, 1, v81
	v_cndmask_b32_e32 v19, v19, v4, vcc_lo
	v_cndmask_b32_e64 v18, v18, v15, s5
	s_delay_alu instid0(VALU_DEP_3)
	v_cndmask_b32_e64 v1, v1, v9, s4
	v_cndmask_b32_e64 v5, v5, v13, s4
	v_cmp_eq_u32_e64 s4, 3, v77
	v_cndmask_b32_e64 v13, v22, v6, s7
	v_cmp_eq_u32_e64 s7, 3, v81
	v_cndmask_b32_e64 v1, v1, v2, s3
	v_cndmask_b32_e64 v2, v5, v6, s3
	;; [unrolled: 1-line block ×3, first 2 shown]
	v_cmp_eq_u32_e64 s3, 4, v77
	v_cndmask_b32_e64 v6, v13, v14, s4
	v_cndmask_b32_e64 v1, v1, v10, s7
	v_cmp_eq_u32_e64 s4, 4, v81
	v_cndmask_b32_e64 v2, v2, v14, s7
	v_cndmask_b32_e64 v5, v9, v3, s3
	;; [unrolled: 3-line block ×3, first 2 shown]
	v_cndmask_b32_e64 v2, v2, v7, s4
	v_cmp_eq_u32_e64 s3, 5, v81
	v_cmp_eq_u32_e64 s5, 6, v78
	v_cndmask_b32_e64 v5, v5, v11, s7
	v_cmp_eq_u32_e64 s4, 6, v77
	v_cndmask_b32_e64 v3, v6, v15, s7
	v_cndmask_b32_e64 v1, v1, v11, s3
	v_cmp_eq_u32_e64 s7, 6, v81
	v_cndmask_b32_e64 v2, v2, v15, s3
	v_cndmask_b32_e64 v17, v17, v4, s5
	v_cndmask_b32_e64 v18, v18, v8, s5
	v_cmp_eq_u32_e64 s5, 7, v78
	v_cndmask_b32_e64 v5, v5, v4, s4
	;; [unrolled: 4-line block ×3, first 2 shown]
	v_cmp_eq_u32_e64 s4, 7, v77
	v_cndmask_b32_e32 v4, v20, v8, vcc_lo
	v_cndmask_b32_e64 v17, v17, v12, s5
	v_cndmask_b32_e64 v19, v19, v12, s6
	;; [unrolled: 1-line block ×8, first 2 shown]
	s_mov_b32 s3, exec_lo
	v_perm_b32 v4, v2, v1, 0x5040100
	v_perm_b32 v3, v3, v5, 0x5040100
	;; [unrolled: 1-line block ×4, first 2 shown]
	ds_store_b128 v76, v[1:4]
	s_waitcnt lgkmcnt(0)
	s_barrier
	buffer_gl0_inv
	v_cmpx_gt_u32_e32 32, v0
	s_cbranch_execz .LBB1898_2
; %bb.111:
	s_load_b64 s[4:5], s[0:1], 0x68
	v_lshlrev_b32_e32 v0, 10, v0
	v_lshlrev_b32_e32 v1, 4, v75
	s_lshl_b32 s0, s34, 7
	v_add_nc_u32_e32 v18, s31, v74
	s_mul_i32 s1, s0, s30
	s_delay_alu instid0(VALU_DEP_2) | instskip(SKIP_1) | instid1(VALU_DEP_2)
	v_and_or_b32 v0, 0x3800, v0, v1
	s_mul_i32 s6, s1, s8
	v_mul_lo_u32 v1, v18, s0
	s_ashr_i32 s7, s6, 31
	v_add_nc_u32_e32 v2, 2, v18
	v_lshl_or_b32 v19, v74, 6, v0
	s_lshl_b64 s[6:7], s[6:7], 1
	v_add_nc_u32_e32 v8, 4, v18
	v_add_nc_u32_e32 v15, 6, v18
	v_mul_lo_u32 v7, v2, s0
	ds_load_b128 v[3:6], v19
	v_ashrrev_i32_e32 v2, 31, v1
	v_mul_lo_u32 v11, v8, s0
	s_waitcnt lgkmcnt(0)
	s_add_u32 s1, s4, s6
	s_addc_u32 s3, s5, s7
	s_lshl_b32 s4, s14, 7
	v_lshlrev_b64 v[9:10], 1, v[1:2]
	s_ashr_i32 s5, s4, 31
	v_ashrrev_i32_e32 v8, 31, v7
	s_lshl_b64 s[4:5], s[4:5], 1
	v_ashrrev_i32_e32 v12, 31, v11
	s_add_u32 s1, s1, s4
	s_addc_u32 s3, s3, s5
	v_add_co_u32 v1, s1, s1, v73
	s_delay_alu instid0(VALU_DEP_1) | instskip(SKIP_1) | instid1(VALU_DEP_3)
	v_add_co_ci_u32_e64 v2, null, s3, 0, s1
	v_mul_lo_u32 v15, v15, s0
	v_add_co_u32 v13, vcc_lo, v1, v9
	s_delay_alu instid0(VALU_DEP_3)
	v_add_co_ci_u32_e32 v14, vcc_lo, v2, v10, vcc_lo
	v_lshlrev_b64 v[16:17], 1, v[7:8]
	ds_load_b128 v[7:10], v19 offset:128
	global_store_b128 v[13:14], v[3:6], off
	v_add_nc_u32_e32 v5, 8, v18
	v_lshlrev_b64 v[3:4], 1, v[11:12]
	v_add_co_u32 v23, vcc_lo, v1, v16
	v_ashrrev_i32_e32 v16, 31, v15
	s_delay_alu instid0(VALU_DEP_4) | instskip(SKIP_3) | instid1(VALU_DEP_3)
	v_mul_lo_u32 v25, v5, s0
	v_add_nc_u32_e32 v5, 10, v18
	v_add_co_ci_u32_e32 v24, vcc_lo, v2, v17, vcc_lo
	v_add_co_u32 v27, vcc_lo, v1, v3
	v_mul_lo_u32 v29, v5, s0
	v_add_co_ci_u32_e32 v28, vcc_lo, v2, v4, vcc_lo
	v_lshlrev_b64 v[31:32], 1, v[15:16]
	ds_load_b128 v[3:6], v19 offset:256
	ds_load_b128 v[11:14], v19 offset:384
	;; [unrolled: 1-line block ×4, first 2 shown]
	v_ashrrev_i32_e32 v26, 31, v25
	v_ashrrev_i32_e32 v30, 31, v29
	v_add_co_u32 v31, vcc_lo, v1, v31
	s_delay_alu instid0(VALU_DEP_3) | instskip(SKIP_1) | instid1(VALU_DEP_4)
	v_lshlrev_b64 v[25:26], 1, v[25:26]
	v_add_co_ci_u32_e32 v32, vcc_lo, v2, v32, vcc_lo
	v_lshlrev_b64 v[29:30], 1, v[29:30]
	s_delay_alu instid0(VALU_DEP_3) | instskip(NEXT) | instid1(VALU_DEP_4)
	v_add_co_u32 v25, vcc_lo, v1, v25
	v_add_co_ci_u32_e32 v26, vcc_lo, v2, v26, vcc_lo
	s_delay_alu instid0(VALU_DEP_3) | instskip(NEXT) | instid1(VALU_DEP_4)
	v_add_co_u32 v29, vcc_lo, v1, v29
	v_add_co_ci_u32_e32 v30, vcc_lo, v2, v30, vcc_lo
	s_waitcnt lgkmcnt(4)
	global_store_b128 v[23:24], v[7:10], off
	s_waitcnt lgkmcnt(3)
	global_store_b128 v[27:28], v[3:6], off
	;; [unrolled: 2-line block ×5, first 2 shown]
	s_and_b32 exec_lo, exec_lo, s2
	s_cbranch_execz .LBB1898_2
; %bb.112:
	ds_load_b128 v[3:6], v0 offset:768
	s_add_i32 s1, s31, 12
	s_delay_alu instid0(SALU_CYCLE_1) | instskip(NEXT) | instid1(SALU_CYCLE_1)
	s_mul_i32 s0, s1, s0
	s_ashr_i32 s1, s0, 31
	s_delay_alu instid0(SALU_CYCLE_1) | instskip(NEXT) | instid1(SALU_CYCLE_1)
	s_lshl_b64 s[0:1], s[0:1], 1
	v_add_co_u32 v0, vcc_lo, v1, s0
	v_add_co_ci_u32_e32 v1, vcc_lo, s1, v2, vcc_lo
	s_waitcnt lgkmcnt(0)
	global_store_b128 v[0:1], v[3:6], off
	s_nop 0
	s_sendmsg sendmsg(MSG_DEALLOC_VGPRS)
	s_endpgm
	.section	.rodata,"a",@progbits
	.p2align	6, 0x0
	.amdhsa_kernel _Z39paged_attention_ll4mi_QKV_mfma16_kernelI14__hip_bfloat16hLN4vllm18Fp8KVCacheDataTypeE1ES0_Li32ELi128ELi256ELb1ELi13EL8MFMAType0EEvPKT_PKT0_S9_ifPKiSB_SB_iPKfiiiPfSE_PS4_PT2_iSD_SD_
		.amdhsa_group_segment_fixed_size 17472
		.amdhsa_private_segment_fixed_size 0
		.amdhsa_kernarg_size 400
		.amdhsa_user_sgpr_count 13
		.amdhsa_user_sgpr_dispatch_ptr 0
		.amdhsa_user_sgpr_queue_ptr 0
		.amdhsa_user_sgpr_kernarg_segment_ptr 1
		.amdhsa_user_sgpr_dispatch_id 0
		.amdhsa_user_sgpr_private_segment_size 0
		.amdhsa_wavefront_size32 1
		.amdhsa_uses_dynamic_stack 0
		.amdhsa_enable_private_segment 0
		.amdhsa_system_sgpr_workgroup_id_x 1
		.amdhsa_system_sgpr_workgroup_id_y 1
		.amdhsa_system_sgpr_workgroup_id_z 1
		.amdhsa_system_sgpr_workgroup_info 0
		.amdhsa_system_vgpr_workitem_id 0
		.amdhsa_next_free_vgpr 140
		.amdhsa_next_free_sgpr 36
		.amdhsa_reserve_vcc 1
		.amdhsa_float_round_mode_32 0
		.amdhsa_float_round_mode_16_64 0
		.amdhsa_float_denorm_mode_32 3
		.amdhsa_float_denorm_mode_16_64 3
		.amdhsa_dx10_clamp 1
		.amdhsa_ieee_mode 1
		.amdhsa_fp16_overflow 0
		.amdhsa_workgroup_processor_mode 1
		.amdhsa_memory_ordered 1
		.amdhsa_forward_progress 0
		.amdhsa_shared_vgpr_count 0
		.amdhsa_exception_fp_ieee_invalid_op 0
		.amdhsa_exception_fp_denorm_src 0
		.amdhsa_exception_fp_ieee_div_zero 0
		.amdhsa_exception_fp_ieee_overflow 0
		.amdhsa_exception_fp_ieee_underflow 0
		.amdhsa_exception_fp_ieee_inexact 0
		.amdhsa_exception_int_div_zero 0
	.end_amdhsa_kernel
	.section	.text._Z39paged_attention_ll4mi_QKV_mfma16_kernelI14__hip_bfloat16hLN4vllm18Fp8KVCacheDataTypeE1ES0_Li32ELi128ELi256ELb1ELi13EL8MFMAType0EEvPKT_PKT0_S9_ifPKiSB_SB_iPKfiiiPfSE_PS4_PT2_iSD_SD_,"axG",@progbits,_Z39paged_attention_ll4mi_QKV_mfma16_kernelI14__hip_bfloat16hLN4vllm18Fp8KVCacheDataTypeE1ES0_Li32ELi128ELi256ELb1ELi13EL8MFMAType0EEvPKT_PKT0_S9_ifPKiSB_SB_iPKfiiiPfSE_PS4_PT2_iSD_SD_,comdat
.Lfunc_end1898:
	.size	_Z39paged_attention_ll4mi_QKV_mfma16_kernelI14__hip_bfloat16hLN4vllm18Fp8KVCacheDataTypeE1ES0_Li32ELi128ELi256ELb1ELi13EL8MFMAType0EEvPKT_PKT0_S9_ifPKiSB_SB_iPKfiiiPfSE_PS4_PT2_iSD_SD_, .Lfunc_end1898-_Z39paged_attention_ll4mi_QKV_mfma16_kernelI14__hip_bfloat16hLN4vllm18Fp8KVCacheDataTypeE1ES0_Li32ELi128ELi256ELb1ELi13EL8MFMAType0EEvPKT_PKT0_S9_ifPKiSB_SB_iPKfiiiPfSE_PS4_PT2_iSD_SD_
                                        ; -- End function
	.section	.AMDGPU.csdata,"",@progbits
; Kernel info:
; codeLenInByte = 9100
; NumSgprs: 38
; NumVgprs: 140
; ScratchSize: 0
; MemoryBound: 0
; FloatMode: 240
; IeeeMode: 1
; LDSByteSize: 17472 bytes/workgroup (compile time only)
; SGPRBlocks: 4
; VGPRBlocks: 17
; NumSGPRsForWavesPerEU: 38
; NumVGPRsForWavesPerEU: 140
; Occupancy: 10
; WaveLimiterHint : 1
; COMPUTE_PGM_RSRC2:SCRATCH_EN: 0
; COMPUTE_PGM_RSRC2:USER_SGPR: 13
; COMPUTE_PGM_RSRC2:TRAP_HANDLER: 0
; COMPUTE_PGM_RSRC2:TGID_X_EN: 1
; COMPUTE_PGM_RSRC2:TGID_Y_EN: 1
; COMPUTE_PGM_RSRC2:TGID_Z_EN: 1
; COMPUTE_PGM_RSRC2:TIDIG_COMP_CNT: 0
	.section	.text._Z39paged_attention_ll4mi_QKV_mfma16_kernelI14__hip_bfloat16hLN4vllm18Fp8KVCacheDataTypeE1ES0_Li32ELi128ELi256ELb1ELi14EL8MFMAType0EEvPKT_PKT0_S9_ifPKiSB_SB_iPKfiiiPfSE_PS4_PT2_iSD_SD_,"axG",@progbits,_Z39paged_attention_ll4mi_QKV_mfma16_kernelI14__hip_bfloat16hLN4vllm18Fp8KVCacheDataTypeE1ES0_Li32ELi128ELi256ELb1ELi14EL8MFMAType0EEvPKT_PKT0_S9_ifPKiSB_SB_iPKfiiiPfSE_PS4_PT2_iSD_SD_,comdat
	.protected	_Z39paged_attention_ll4mi_QKV_mfma16_kernelI14__hip_bfloat16hLN4vllm18Fp8KVCacheDataTypeE1ES0_Li32ELi128ELi256ELb1ELi14EL8MFMAType0EEvPKT_PKT0_S9_ifPKiSB_SB_iPKfiiiPfSE_PS4_PT2_iSD_SD_ ; -- Begin function _Z39paged_attention_ll4mi_QKV_mfma16_kernelI14__hip_bfloat16hLN4vllm18Fp8KVCacheDataTypeE1ES0_Li32ELi128ELi256ELb1ELi14EL8MFMAType0EEvPKT_PKT0_S9_ifPKiSB_SB_iPKfiiiPfSE_PS4_PT2_iSD_SD_
	.globl	_Z39paged_attention_ll4mi_QKV_mfma16_kernelI14__hip_bfloat16hLN4vllm18Fp8KVCacheDataTypeE1ES0_Li32ELi128ELi256ELb1ELi14EL8MFMAType0EEvPKT_PKT0_S9_ifPKiSB_SB_iPKfiiiPfSE_PS4_PT2_iSD_SD_
	.p2align	8
	.type	_Z39paged_attention_ll4mi_QKV_mfma16_kernelI14__hip_bfloat16hLN4vllm18Fp8KVCacheDataTypeE1ES0_Li32ELi128ELi256ELb1ELi14EL8MFMAType0EEvPKT_PKT0_S9_ifPKiSB_SB_iPKfiiiPfSE_PS4_PT2_iSD_SD_,@function
_Z39paged_attention_ll4mi_QKV_mfma16_kernelI14__hip_bfloat16hLN4vllm18Fp8KVCacheDataTypeE1ES0_Li32ELi128ELi256ELb1ELi14EL8MFMAType0EEvPKT_PKT0_S9_ifPKiSB_SB_iPKfiiiPfSE_PS4_PT2_iSD_SD_: ; @_Z39paged_attention_ll4mi_QKV_mfma16_kernelI14__hip_bfloat16hLN4vllm18Fp8KVCacheDataTypeE1ES0_Li32ELi128ELi256ELb1ELi14EL8MFMAType0EEvPKT_PKT0_S9_ifPKiSB_SB_iPKfiiiPfSE_PS4_PT2_iSD_SD_
; %bb.0:
	s_load_b64 s[4:5], s[0:1], 0x30
	s_mov_b32 s30, s13
	s_waitcnt lgkmcnt(0)
	s_cmp_lg_u64 s[4:5], 0
	s_cselect_b32 s13, -1, 0
	s_ashr_i32 s31, s30, 31
	s_cmp_eq_u64 s[4:5], 0
	s_cbranch_scc1 .LBB1899_3
; %bb.1:
	s_lshl_b64 s[2:3], s[30:31], 2
	s_delay_alu instid0(SALU_CYCLE_1) | instskip(SKIP_4) | instid1(SALU_CYCLE_1)
	s_add_u32 s2, s4, s2
	s_addc_u32 s3, s5, s3
	s_load_b64 s[2:3], s[2:3], 0x0
	s_waitcnt lgkmcnt(0)
	s_sub_i32 s2, s3, s2
	s_cmp_eq_u32 s2, 1
	s_cselect_b32 s2, -1, 0
	s_delay_alu instid0(SALU_CYCLE_1)
	s_and_not1_b32 vcc_lo, exec_lo, s2
	s_cbranch_vccz .LBB1899_4
.LBB1899_2:
	s_endpgm
.LBB1899_3:
.LBB1899_4:
	s_load_b64 s[2:3], s[0:1], 0x28
	s_lshl_b64 s[6:7], s[30:31], 2
	s_waitcnt lgkmcnt(0)
	s_add_u32 s2, s2, s6
	s_addc_u32 s3, s3, s7
	s_lshl_b32 s12, s14, 8
	s_load_b32 s17, s[2:3], 0x0
	s_waitcnt lgkmcnt(0)
	s_cmp_ge_i32 s12, s17
	s_cbranch_scc1 .LBB1899_2
; %bb.5:
	s_clause 0x1
	s_load_b128 s[8:11], s[0:1], 0x8
	s_load_b64 s[2:3], s[0:1], 0x20
	s_and_not1_b32 vcc_lo, exec_lo, s13
	s_cbranch_vccnz .LBB1899_7
; %bb.6:
	s_add_u32 s4, s4, s6
	s_addc_u32 s5, s5, s7
	s_load_b32 s13, s[4:5], 0x0
	s_branch .LBB1899_8
.LBB1899_7:
	s_mov_b32 s13, s30
.LBB1899_8:
	s_load_b128 s[4:7], s[0:1], 0x48
	v_and_b32_e32 v65, 15, v0
	v_lshrrev_b32_e32 v66, 5, v0
	v_and_b32_e32 v67, 31, v0
	v_and_b32_e32 v75, 1, v0
	v_bfe_u32 v74, v0, 4, 1
	v_lshlrev_b32_e32 v1, 3, v65
	s_mul_i32 s29, s15, 14
	s_waitcnt lgkmcnt(0)
	s_mov_b32 s7, exec_lo
	s_delay_alu instid0(VALU_DEP_1)
	v_lshlrev_b32_e32 v73, 1, v1
	v_cmpx_gt_u32_e32 0xe0, v0
	s_cbranch_execz .LBB1899_10
; %bb.9:
	s_load_b64 s[18:19], s[0:1], 0x0
	v_lshl_or_b32 v5, v66, 1, v74
	s_mul_hi_i32 s21, s13, s4
	s_mul_i32 s20, s13, s4
	v_lshlrev_b32_e32 v6, 10, v65
	s_lshl_b64 s[20:21], s[20:21], 1
	v_add_lshl_u32 v1, v5, s29, 7
	v_lshlrev_b32_e32 v5, 6, v5
	v_lshlrev_b32_e32 v7, 10, v75
	v_and_b32_e32 v6, 0x3800, v6
	s_delay_alu instid0(VALU_DEP_4) | instskip(NEXT) | instid1(VALU_DEP_2)
	v_ashrrev_i32_e32 v2, 31, v1
	v_or3_b32 v5, v6, v7, v5
	s_delay_alu instid0(VALU_DEP_2) | instskip(SKIP_3) | instid1(VALU_DEP_1)
	v_lshlrev_b64 v[1:2], 1, v[1:2]
	s_waitcnt lgkmcnt(0)
	s_add_u32 s4, s18, s20
	s_addc_u32 s13, s19, s21
	v_add_co_u32 v1, vcc_lo, s4, v1
	s_delay_alu instid0(VALU_DEP_2) | instskip(NEXT) | instid1(VALU_DEP_2)
	v_add_co_ci_u32_e32 v2, vcc_lo, s13, v2, vcc_lo
	v_add_co_u32 v1, vcc_lo, v1, v73
	s_delay_alu instid0(VALU_DEP_2)
	v_add_co_ci_u32_e32 v2, vcc_lo, 0, v2, vcc_lo
	global_load_b128 v[1:4], v[1:2], off
	s_waitcnt vmcnt(0)
	ds_store_b128 v5, v[1:4]
.LBB1899_10:
	s_or_b32 exec_lo, exec_lo, s7
	v_and_b32_e32 v1, 0xef, v0
	s_add_i32 s4, s17, 31
	s_clause 0x1
	s_load_b32 s7, s[0:1], 0x38
	s_load_b32 s18, s[0:1], 0x1c
	s_ashr_i32 s13, s4, 31
	v_add_nc_u32_e32 v1, s12, v1
	s_lshr_b32 s13, s13, 27
	s_waitcnt lgkmcnt(0)
	s_add_i32 s4, s4, s13
	s_barrier
	v_ashrrev_i32_e32 v2, 31, v1
	v_or_b32_e32 v3, 16, v1
	s_ashr_i32 s4, s4, 5
	v_cmp_gt_i32_e32 vcc_lo, s17, v1
	s_add_i32 s4, s4, -1
	v_lshrrev_b32_e32 v2, 27, v2
	buffer_gl0_inv
	s_mul_i32 s15, s15, s6
	v_add_nc_u32_e32 v4, v1, v2
	s_mul_i32 s20, s30, s7
	s_delay_alu instid0(SALU_CYCLE_1) | instskip(NEXT) | instid1(VALU_DEP_1)
	s_ashr_i32 s21, s20, 31
	v_ashrrev_i32_e32 v4, 5, v4
	v_add_nc_u32_e32 v2, v3, v2
	s_lshl_b64 s[20:21], s[20:21], 2
	s_delay_alu instid0(SALU_CYCLE_1) | instskip(NEXT) | instid1(VALU_DEP_2)
	s_add_u32 s13, s2, s20
	v_cndmask_b32_e32 v1, s4, v4, vcc_lo
	s_delay_alu instid0(VALU_DEP_2)
	v_ashrrev_i32_e32 v2, 5, v2
	v_cmp_gt_i32_e32 vcc_lo, s17, v3
	s_addc_u32 s16, s3, s21
	s_ashr_i32 s19, s15, 31
	s_add_u32 s2, s8, s15
	s_addc_u32 s3, s9, s19
	v_cndmask_b32_e32 v3, s4, v2, vcc_lo
	v_ashrrev_i32_e32 v2, 31, v1
	s_lshl_b32 s6, s14, 3
	s_delay_alu instid0(SALU_CYCLE_1) | instskip(NEXT) | instid1(VALU_DEP_2)
	s_ashr_i32 s7, s6, 31
	v_ashrrev_i32_e32 v4, 31, v3
	s_delay_alu instid0(VALU_DEP_2) | instskip(SKIP_1) | instid1(SALU_CYCLE_1)
	v_lshlrev_b64 v[1:2], 2, v[1:2]
	s_lshl_b64 s[6:7], s[6:7], 2
	s_add_u32 s6, s13, s6
	s_delay_alu instid0(VALU_DEP_2) | instskip(SKIP_1) | instid1(VALU_DEP_2)
	v_lshlrev_b64 v[3:4], 2, v[3:4]
	s_addc_u32 s7, s16, s7
	v_add_co_u32 v1, vcc_lo, s13, v1
	v_add_co_ci_u32_e32 v2, vcc_lo, s16, v2, vcc_lo
	s_delay_alu instid0(VALU_DEP_3) | instskip(NEXT) | instid1(VALU_DEP_4)
	v_add_co_u32 v3, vcc_lo, s13, v3
	v_add_co_ci_u32_e32 v4, vcc_lo, s16, v4, vcc_lo
	s_clause 0x1
	global_load_b32 v5, v[1:2], off
	global_load_b32 v6, v[3:4], off
	s_or_b32 s8, s12, 32
	s_delay_alu instid0(SALU_CYCLE_1) | instskip(SKIP_2) | instid1(SALU_CYCLE_1)
	s_ashr_i32 s9, s8, 5
	s_cmp_lt_i32 s8, s17
	s_cselect_b32 s8, s9, s4
	s_ashr_i32 s9, s8, 31
	s_delay_alu instid0(SALU_CYCLE_1) | instskip(NEXT) | instid1(SALU_CYCLE_1)
	s_lshl_b64 s[8:9], s[8:9], 2
	s_add_u32 s8, s13, s8
	s_addc_u32 s9, s16, s9
	s_or_b32 s20, s12, 64
	s_delay_alu instid0(SALU_CYCLE_1) | instskip(SKIP_2) | instid1(SALU_CYCLE_1)
	s_ashr_i32 s21, s20, 5
	s_cmp_lt_i32 s20, s17
	s_cselect_b32 s20, s21, s4
	s_ashr_i32 s21, s20, 31
	s_delay_alu instid0(SALU_CYCLE_1) | instskip(NEXT) | instid1(SALU_CYCLE_1)
	s_lshl_b64 s[20:21], s[20:21], 2
	s_add_u32 s20, s13, s20
	s_addc_u32 s21, s16, s21
	;; [unrolled: 10-line block ×5, first 2 shown]
	s_clause 0x5
	s_load_b32 s28, s[6:7], 0x0
	s_load_b32 s8, s[8:9], 0x0
	;; [unrolled: 1-line block ×6, first 2 shown]
	s_mov_b32 s20, 0
	s_delay_alu instid0(SALU_CYCLE_1)
	s_mov_b32 s21, s20
	s_mov_b32 s22, s20
	s_mov_b32 s23, s20
	s_mov_b32 s24, s20
	s_mov_b32 s25, s20
	s_mov_b32 s26, s20
	s_mov_b32 s27, s20
	s_delay_alu instid0(SALU_CYCLE_1)
	v_dual_mov_b32 v107, s27 :: v_dual_mov_b32 v106, s26
	v_dual_mov_b32 v104, s24 :: v_dual_mov_b32 v103, s23
	v_dual_mov_b32 v101, s21 :: v_dual_mov_b32 v102, s22
	v_mov_b32_e32 v100, s20
	s_waitcnt vmcnt(1)
	v_mad_i64_i32 v[1:2], null, v5, s5, s[2:3]
	v_lshlrev_b32_e32 v5, 4, v65
	s_waitcnt vmcnt(0)
	v_mad_i64_i32 v[3:4], null, v6, s5, s[2:3]
	s_or_b32 s2, s12, 0xc0
	s_delay_alu instid0(SALU_CYCLE_1) | instskip(NEXT) | instid1(VALU_DEP_3)
	s_ashr_i32 s3, s2, 5
	v_add_co_u32 v33, vcc_lo, v1, v5
	s_delay_alu instid0(VALU_DEP_4) | instskip(NEXT) | instid1(VALU_DEP_3)
	v_add_co_ci_u32_e32 v34, vcc_lo, 0, v2, vcc_lo
	v_add_co_u32 v35, vcc_lo, v3, v5
	s_delay_alu instid0(VALU_DEP_4)
	v_add_co_ci_u32_e32 v36, vcc_lo, 0, v4, vcc_lo
	s_clause 0xf
	global_load_b128 v[1:4], v[33:34], off
	global_load_b128 v[5:8], v[33:34], off offset:512
	global_load_b128 v[9:12], v[35:36], off offset:256
	;; [unrolled: 1-line block ×15, first 2 shown]
	s_cmp_lt_i32 s2, s17
	v_add_nc_u32_e32 v33, -14, v65
	s_cselect_b32 s2, s3, s4
	v_cmp_gt_u32_e32 vcc_lo, 14, v65
	s_ashr_i32 s3, s2, 31
	v_lshlrev_b32_e32 v34, 5, v65
	s_lshl_b64 s[2:3], s[2:3], 2
	s_delay_alu instid0(SALU_CYCLE_1)
	s_add_u32 s2, s13, s2
	s_addc_u32 s3, s16, s3
	s_or_b32 s6, s12, 0xe0
	v_cndmask_b32_e32 v33, v33, v65, vcc_lo
	s_ashr_i32 s7, s6, 5
	s_cmp_lt_i32 s6, s17
	v_mov_b32_e32 v105, s25
	s_cselect_b32 s6, s7, s4
	v_lshlrev_b32_e32 v72, 6, v33
	s_ashr_i32 s7, s6, 31
	v_lshl_or_b32 v41, v66, 9, v34
	s_lshl_b64 s[6:7], s[6:7], 2
	ds_load_b128 v[33:36], v72
	ds_load_b128 v[37:40], v72 offset:1024
	ds_load_b128 v[108:111], v72 offset:2048
	;; [unrolled: 1-line block ×3, first 2 shown]
	s_load_b32 s4, s[2:3], 0x0
	s_add_u32 s2, s13, s6
	s_addc_u32 s3, s16, s7
	ds_load_b128 v[116:119], v72 offset:4096
	ds_load_b128 v[120:123], v72 offset:5120
	s_load_b32 s2, s[2:3], 0x0
	s_add_u32 s6, s10, s15
	s_addc_u32 s7, s11, s19
	v_add_co_u32 v68, s6, s6, v41
	s_delay_alu instid0(VALU_DEP_1) | instskip(SKIP_1) | instid1(VALU_DEP_1)
	v_add_co_ci_u32_e64 v69, null, s7, 0, s6
	s_waitcnt lgkmcnt(0)
	v_mad_i64_i32 v[41:42], null, s28, s5, v[68:69]
	v_mad_i64_i32 v[70:71], null, s9, s5, v[68:69]
	;; [unrolled: 1-line block ×7, first 2 shown]
	s_clause 0x3
	global_load_b128 v[49:52], v[41:42], off
	global_load_b128 v[53:56], v[41:42], off offset:16
	global_load_b128 v[41:44], v[45:46], off
	global_load_b128 v[45:48], v[45:46], off offset:16
	s_waitcnt vmcnt(18)
	v_wmma_f32_16x16x16_bf16 v[124:131], v[1:8], v[33:40], v[100:107]
	s_waitcnt vmcnt(16)
	v_wmma_f32_16x16x16_bf16 v[100:107], v[9:16], v[33:40], v[100:107]
	s_clause 0x1
	global_load_b128 v[33:36], v[70:71], off
	global_load_b128 v[37:40], v[70:71], off offset:16
	v_mad_i64_i32 v[70:71], null, s2, s5, v[68:69]
	s_waitcnt vmcnt(16)
	v_wmma_f32_16x16x16_bf16 v[124:131], v[17:24], v[108:115], v[124:131]
	s_waitcnt vmcnt(14)
	v_wmma_f32_16x16x16_bf16 v[100:107], v[25:32], v[108:115], v[100:107]
	s_clause 0x7
	global_load_b128 v[25:28], v[132:133], off
	global_load_b128 v[29:32], v[132:133], off offset:16
	global_load_b128 v[1:4], v[134:135], off
	global_load_b128 v[5:8], v[134:135], off offset:16
	;; [unrolled: 2-line block ×4, first 2 shown]
	s_waitcnt vmcnt(20)
	v_wmma_f32_16x16x16_bf16 v[124:131], v[57:64], v[116:123], v[124:131]
	s_clause 0x1
	global_load_b128 v[57:60], v[70:71], off
	global_load_b128 v[61:64], v[70:71], off offset:16
	s_waitcnt vmcnt(20)
	v_wmma_f32_16x16x16_bf16 v[100:107], v[76:83], v[116:123], v[100:107]
	ds_load_b128 v[76:79], v72 offset:6144
	ds_load_b128 v[80:83], v72 offset:7168
	v_and_b32_e32 v68, 0xe0, v0
	v_mbcnt_lo_u32_b32 v69, -1, 0
	s_waitcnt vmcnt(0) lgkmcnt(0)
	s_barrier
	buffer_gl0_inv
	v_add_nc_u32_e32 v68, s12, v68
	v_xor_b32_e32 v70, 16, v69
	s_delay_alu instid0(VALU_DEP_2) | instskip(NEXT) | instid1(VALU_DEP_2)
	v_or_b32_e32 v68, v68, v74
	v_cmp_gt_i32_e32 vcc_lo, 32, v70
	s_delay_alu instid0(VALU_DEP_2)
	v_or_b32_e32 v71, 4, v68
	v_or_b32_e32 v72, 6, v68
	v_cmp_gt_i32_e64 s2, s17, v68
	v_or_b32_e32 v108, 8, v68
	v_wmma_f32_16x16x16_bf16 v[124:131], v[84:91], v[76:83], v[124:131]
	v_cndmask_b32_e32 v69, v69, v70, vcc_lo
	v_or_b32_e32 v70, 2, v68
	v_wmma_f32_16x16x16_bf16 v[100:107], v[92:99], v[76:83], v[100:107]
	v_or_b32_e32 v109, 10, v68
	v_dual_mul_f32 v80, s18, v129 :: v_dual_mul_f32 v81, s18, v128
	v_dual_mul_f32 v92, s18, v125 :: v_dual_mul_f32 v93, s18, v124
	s_delay_alu instid0(VALU_DEP_4)
	v_mul_f32_e32 v96, s18, v105
	v_cmp_gt_i32_e32 vcc_lo, s17, v70
	v_or_b32_e32 v89, 22, v68
	v_dual_mul_f32 v79, s18, v130 :: v_dual_mul_f32 v82, s18, v127
	v_dual_mul_f32 v83, s18, v126 :: v_dual_mul_f32 v94, s18, v107
	v_cndmask_b32_e64 v93, 0xff7fffff, v93, s2
	v_cndmask_b32_e32 v92, 0xff7fffff, v92, vcc_lo
	v_cmp_gt_i32_e64 s3, s17, v71
	v_cmp_gt_i32_e64 s4, s17, v72
	v_or_b32_e32 v84, 12, v68
	v_or_b32_e32 v85, 14, v68
	v_cmp_gt_i32_e64 s5, s17, v108
	v_cndmask_b32_e64 v71, 0xff7fffff, v83, s3
	v_cndmask_b32_e64 v72, 0xff7fffff, v82, s4
	v_cmp_gt_i32_e64 s6, s17, v109
	v_cmp_gt_i32_e64 s12, s17, v89
	v_lshlrev_b32_e32 v89, 2, v69
	v_max3_f32 v82, v93, 0xff7fffff, v92
	v_or_b32_e32 v86, 16, v68
	v_or_b32_e32 v87, 18, v68
	v_mul_f32_e32 v78, s18, v131
	v_cndmask_b32_e64 v81, 0xff7fffff, v81, s5
	v_cndmask_b32_e64 v80, 0xff7fffff, v80, s6
	v_max3_f32 v71, v82, v71, v72
	v_cmp_gt_i32_e64 s7, s17, v84
	v_cmp_gt_i32_e64 s8, s17, v85
	v_or_b32_e32 v88, 20, v68
	v_or_b32_e32 v90, 24, v68
	;; [unrolled: 1-line block ×5, first 2 shown]
	v_dual_mul_f32 v97, s18, v104 :: v_dual_mul_f32 v70, s18, v101
	v_dual_mul_f32 v99, s18, v102 :: v_dual_mul_f32 v68, s18, v100
	v_cndmask_b32_e64 v72, 0xff7fffff, v79, s7
	v_cndmask_b32_e64 v78, 0xff7fffff, v78, s8
	v_max3_f32 v71, v71, v81, v80
	v_cmp_gt_i32_e64 s9, s17, v86
	v_cmp_gt_i32_e64 s10, s17, v87
	v_dual_mul_f32 v95, s18, v106 :: v_dual_mul_f32 v98, s18, v103
	s_delay_alu instid0(VALU_DEP_4) | instskip(NEXT) | instid1(VALU_DEP_4)
	v_max3_f32 v71, v71, v72, v78
	v_cndmask_b32_e64 v68, 0xff7fffff, v68, s9
	s_delay_alu instid0(VALU_DEP_4)
	v_cndmask_b32_e64 v70, 0xff7fffff, v70, s10
	v_cmp_gt_i32_e64 s11, s17, v88
	v_cndmask_b32_e64 v78, 0xff7fffff, v98, s12
	v_cmp_gt_i32_e64 s13, s17, v90
	v_cmp_gt_i32_e64 s15, s17, v91
	v_max3_f32 v68, v71, v68, v70
	v_cndmask_b32_e64 v72, 0xff7fffff, v99, s11
	v_cmp_gt_i32_e64 s16, s17, v76
	v_cndmask_b32_e64 v70, 0xff7fffff, v97, s13
	v_cndmask_b32_e64 v71, 0xff7fffff, v96, s15
	v_cmp_gt_i32_e64 s17, s17, v77
	v_max3_f32 v68, v68, v72, v78
	v_cndmask_b32_e64 v72, 0xff7fffff, v95, s16
	s_delay_alu instid0(VALU_DEP_3) | instskip(NEXT) | instid1(VALU_DEP_3)
	v_cndmask_b32_e64 v76, 0xff7fffff, v94, s17
	v_max3_f32 v68, v68, v70, v71
	s_delay_alu instid0(VALU_DEP_1) | instskip(SKIP_3) | instid1(VALU_DEP_1)
	v_max3_f32 v68, v68, v72, v76
	ds_bpermute_b32 v69, v89, v68
	s_waitcnt lgkmcnt(0)
	v_max_f32_e32 v69, v69, v69
	v_max_f32_e32 v68, v68, v69
	s_delay_alu instid0(VALU_DEP_1) | instskip(NEXT) | instid1(VALU_DEP_1)
	v_fma_f32 v71, s18, v126, -v68
	v_mul_f32_e32 v71, 0x3fb8aa3b, v71
	v_fma_f32 v70, s18, v125, -v68
	v_fma_f32 v69, s18, v124, -v68
	;; [unrolled: 1-line block ×5, first 2 shown]
	s_delay_alu instid0(VALU_DEP_4) | instskip(SKIP_1) | instid1(VALU_DEP_3)
	v_dual_mul_f32 v70, 0x3fb8aa3b, v70 :: v_dual_mul_f32 v69, 0x3fb8aa3b, v69
	v_exp_f32_e32 v71, v71
	v_mul_f32_e32 v72, 0x3fb8aa3b, v72
	v_fma_f32 v81, s18, v105, -v68
	s_delay_alu instid0(VALU_DEP_3)
	v_exp_f32_e32 v70, v70
	v_mul_f32_e32 v77, 0x3fb8aa3b, v76
	v_exp_f32_e32 v69, v69
	v_exp_f32_e32 v72, v72
	v_mul_f32_e32 v81, 0x3fb8aa3b, v81
	v_cndmask_b32_e64 v83, 0, v71, s3
	v_fma_f32 v71, s18, v131, -v68
	s_delay_alu instid0(VALU_DEP_3) | instskip(SKIP_4) | instid1(TRANS32_DEP_3)
	v_exp_f32_e32 v81, v81
	v_cndmask_b32_e32 v76, 0, v70, vcc_lo
	v_exp_f32_e32 v77, v77
	v_cndmask_b32_e64 v80, 0, v69, s2
	v_fma_f32 v69, s18, v129, -v68
	v_cndmask_b32_e64 v85, 0, v72, s4
	v_mul_f32_e32 v71, 0x3fb8aa3b, v71
	v_fma_f32 v72, s18, v100, -v68
	s_delay_alu instid0(VALU_DEP_4) | instskip(SKIP_1) | instid1(VALU_DEP_3)
	v_dual_add_f32 v70, 0, v80 :: v_dual_mul_f32 v69, 0x3fb8aa3b, v69
	s_mov_b32 s2, exec_lo
	v_exp_f32_e32 v71, v71
	s_delay_alu instid0(TRANS32_DEP_2) | instskip(SKIP_4) | instid1(VALU_DEP_3)
	v_cndmask_b32_e64 v86, 0, v77, s5
	v_fma_f32 v77, s18, v101, -v68
	v_mul_f32_e32 v78, 0x3fb8aa3b, v78
	v_add_f32_e32 v70, v70, v76
	v_exp_f32_e32 v69, v69
	v_mul_f32_e32 v77, 0x3fb8aa3b, v77
	s_delay_alu instid0(VALU_DEP_3) | instskip(NEXT) | instid1(TRANS32_DEP_3)
	v_exp_f32_e32 v78, v78
	v_cndmask_b32_e64 v88, 0, v71, s8
	v_fma_f32 v71, s18, v104, -v68
	s_delay_alu instid0(VALU_DEP_3) | instskip(NEXT) | instid1(TRANS32_DEP_3)
	v_exp_f32_e32 v77, v77
	v_cndmask_b32_e64 v87, 0, v69, s6
	s_delay_alu instid0(VALU_DEP_2)
	v_mul_f32_e32 v71, 0x3fb8aa3b, v71
	s_waitcnt_depctr 0xfff
	v_cndmask_b32_e64 v84, 0, v78, s7
	v_add_f32_e32 v70, v70, v83
	v_fma_f32 v78, s18, v103, -v68
	v_exp_f32_e32 v82, v71
	s_delay_alu instid0(VALU_DEP_2) | instskip(SKIP_1) | instid1(VALU_DEP_3)
	v_add_f32_e32 v70, v70, v85
	v_mul_f32_e32 v72, 0x3fb8aa3b, v72
	v_mul_f32_e32 v78, 0x3fb8aa3b, v78
	s_delay_alu instid0(VALU_DEP_3) | instskip(SKIP_1) | instid1(VALU_DEP_4)
	v_add_f32_e32 v69, v70, v86
	v_fma_f32 v70, s18, v102, -v68
	v_exp_f32_e32 v72, v72
	s_delay_alu instid0(VALU_DEP_3) | instskip(NEXT) | instid1(VALU_DEP_1)
	v_exp_f32_e32 v78, v78
	v_dual_add_f32 v69, v69, v87 :: v_dual_mul_f32 v70, 0x3fb8aa3b, v70
	s_delay_alu instid0(VALU_DEP_1) | instskip(NEXT) | instid1(VALU_DEP_2)
	v_add_f32_e32 v69, v69, v84
	v_exp_f32_e32 v79, v70
	s_delay_alu instid0(TRANS32_DEP_3) | instskip(NEXT) | instid1(VALU_DEP_2)
	v_cndmask_b32_e64 v70, 0, v72, s9
	v_add_f32_e32 v72, v69, v88
	v_cndmask_b32_e64 v69, 0, v77, s10
	v_fma_f32 v77, s18, v106, -v68
	s_waitcnt_depctr 0xfff
	v_cndmask_b32_e64 v71, 0, v79, s11
	v_dual_mul_f32 v77, 0x3fb8aa3b, v77 :: v_dual_add_f32 v72, v72, v70
	s_delay_alu instid0(VALU_DEP_1) | instskip(NEXT) | instid1(VALU_DEP_1)
	v_exp_f32_e32 v90, v77
	v_add_f32_e32 v79, v72, v69
	v_cndmask_b32_e64 v72, 0, v78, s12
	v_cndmask_b32_e64 v77, 0, v82, s13
	s_delay_alu instid0(VALU_DEP_3) | instskip(SKIP_1) | instid1(VALU_DEP_1)
	v_add_f32_e32 v78, v79, v71
	v_fma_f32 v79, s18, v107, -v68
	v_dual_add_f32 v82, v78, v72 :: v_dual_mul_f32 v79, 0x3fb8aa3b, v79
	v_cndmask_b32_e64 v78, 0, v81, s15
	s_delay_alu instid0(VALU_DEP_2) | instskip(NEXT) | instid1(VALU_DEP_3)
	v_add_f32_e32 v81, v82, v77
	v_exp_f32_e32 v82, v79
	v_cndmask_b32_e64 v79, 0, v90, s16
	s_delay_alu instid0(VALU_DEP_2) | instskip(NEXT) | instid1(VALU_DEP_1)
	v_add_f32_e32 v81, v81, v78
	v_add_f32_e32 v90, v81, v79
	s_waitcnt_depctr 0xfff
	v_cndmask_b32_e64 v81, 0, v82, s17
	s_delay_alu instid0(VALU_DEP_1)
	v_add_f32_e32 v82, v90, v81
	ds_bpermute_b32 v89, v89, v82
	v_cmpx_gt_u32_e32 16, v67
	s_cbranch_execz .LBB1899_12
; %bb.11:
	v_mul_u32_u24_e32 v67, 0x44, v66
	s_delay_alu instid0(VALU_DEP_1) | instskip(SKIP_1) | instid1(VALU_DEP_1)
	v_lshl_add_u32 v67, v65, 2, v67
	s_waitcnt lgkmcnt(0)
	v_dual_add_f32 v82, v82, v89 :: v_dual_add_nc_u32 v67, 0x4000, v67
	ds_store_2addr_b32 v67, v68, v82 offset1:136
.LBB1899_12:
	s_or_b32 exec_lo, exec_lo, s2
	v_lshlrev_b32_e32 v67, 2, v65
	s_waitcnt lgkmcnt(0)
	s_barrier
	buffer_gl0_inv
	v_cmp_eq_u32_e32 vcc_lo, 1, v66
	v_add_nc_u32_e32 v82, 0x4000, v67
	v_cmp_eq_u32_e64 s2, 2, v66
	v_cmp_eq_u32_e64 s4, 7, v66
	ds_load_2addr_b32 v[89:90], v82 offset1:17
	ds_load_2addr_b32 v[91:92], v82 offset0:34 offset1:51
	ds_load_2addr_b32 v[93:94], v82 offset0:68 offset1:85
	;; [unrolled: 1-line block ×4, first 2 shown]
	s_waitcnt lgkmcnt(4)
	v_max3_f32 v67, v89, 0xff7fffff, v90
	s_waitcnt lgkmcnt(3)
	s_delay_alu instid0(VALU_DEP_1) | instskip(SKIP_1) | instid1(VALU_DEP_1)
	v_max3_f32 v67, v67, v91, v92
	s_waitcnt lgkmcnt(2)
	v_max3_f32 v67, v67, v93, v94
	s_waitcnt lgkmcnt(1)
	s_delay_alu instid0(VALU_DEP_1) | instskip(NEXT) | instid1(VALU_DEP_1)
	v_max3_f32 v67, v67, v95, v96
	v_sub_f32_e32 v93, v93, v67
	s_delay_alu instid0(VALU_DEP_1) | instskip(NEXT) | instid1(VALU_DEP_1)
	v_dual_sub_f32 v68, v89, v67 :: v_dual_mul_f32 v103, 0x3fb8aa3b, v93
	v_mul_f32_e32 v68, 0x3fb8aa3b, v68
	s_delay_alu instid0(VALU_DEP_1)
	v_exp_f32_e32 v100, v68
	v_sub_f32_e32 v68, v92, v67
	v_sub_f32_e32 v99, v90, v67
	ds_load_2addr_b32 v[89:90], v82 offset0:170 offset1:187
	v_dual_mul_f32 v102, 0x3fb8aa3b, v68 :: v_dual_mul_f32 v99, 0x3fb8aa3b, v99
	s_waitcnt lgkmcnt(1)
	v_fma_f32 v68, v100, v97, 0
	s_delay_alu instid0(VALU_DEP_2) | instskip(NEXT) | instid1(VALU_DEP_2)
	v_exp_f32_e32 v102, v102
	v_exp_f32_e32 v99, v99
	s_waitcnt_depctr 0xfff
	v_fmac_f32_e32 v68, v99, v98
	v_sub_f32_e32 v91, v91, v67
	s_delay_alu instid0(VALU_DEP_1)
	v_mul_f32_e32 v101, 0x3fb8aa3b, v91
	ds_load_2addr_b32 v[91:92], v82 offset0:204 offset1:221
	v_sub_f32_e32 v97, v94, v67
	ds_load_2addr_b32 v[93:94], v82 offset0:238 offset1:255
	s_waitcnt lgkmcnt(0)
	v_exp_f32_e32 v101, v101
	s_barrier
	buffer_gl0_inv
	v_dual_fmac_f32 v68, v101, v89 :: v_dual_sub_f32 v89, v96, v67
	v_dual_sub_f32 v82, v95, v67 :: v_dual_mul_f32 v95, 0x3fb8aa3b, v97
	v_exp_f32_e32 v97, v103
	s_delay_alu instid0(VALU_DEP_2) | instskip(NEXT) | instid1(VALU_DEP_2)
	v_dual_fmac_f32 v68, v102, v90 :: v_dual_mul_f32 v89, 0x3fb8aa3b, v89
	v_mul_f32_e32 v82, 0x3fb8aa3b, v82
	s_delay_alu instid0(VALU_DEP_3) | instskip(NEXT) | instid1(VALU_DEP_2)
	v_exp_f32_e32 v95, v95
	v_exp_f32_e32 v89, v89
	s_delay_alu instid0(VALU_DEP_1)
	v_exp_f32_e32 v82, v82
	v_fmac_f32_e32 v68, v97, v91
	s_delay_alu instid0(TRANS32_DEP_3) | instid1(VALU_DEP_1)
	v_fmac_f32_e32 v68, v95, v92
	s_waitcnt_depctr 0xfff
	v_fmac_f32_e32 v68, v82, v93
	s_delay_alu instid0(VALU_DEP_1) | instskip(NEXT) | instid1(VALU_DEP_1)
	v_fmac_f32_e32 v68, v89, v94
	v_add_f32_e32 v90, 0x358637bd, v68
	s_delay_alu instid0(VALU_DEP_1) | instskip(NEXT) | instid1(VALU_DEP_1)
	v_div_scale_f32 v91, null, v90, v90, 1.0
	v_rcp_f32_e32 v92, v91
	s_waitcnt_depctr 0xfff
	v_fma_f32 v93, -v91, v92, 1.0
	s_delay_alu instid0(VALU_DEP_1) | instskip(SKIP_1) | instid1(VALU_DEP_2)
	v_dual_fmac_f32 v92, v93, v92 :: v_dual_cndmask_b32 v93, v100, v99
	v_cmp_eq_u32_e32 vcc_lo, 3, v66
	v_cndmask_b32_e64 v93, v93, v101, s2
	v_cmp_eq_u32_e64 s2, 4, v66
	s_delay_alu instid0(VALU_DEP_2) | instskip(SKIP_1) | instid1(VALU_DEP_2)
	v_cndmask_b32_e32 v93, v93, v102, vcc_lo
	v_cmp_eq_u32_e32 vcc_lo, 5, v66
	v_cndmask_b32_e64 v93, v93, v97, s2
	v_cmp_eq_u32_e64 s2, 6, v66
	s_delay_alu instid0(VALU_DEP_2) | instskip(SKIP_1) | instid1(VALU_DEP_1)
	v_cndmask_b32_e32 v93, v93, v95, vcc_lo
	v_div_scale_f32 v94, s3, 1.0, v90, 1.0
	s_mov_b32 vcc_lo, s3
	s_delay_alu instid0(VALU_DEP_2) | instskip(NEXT) | instid1(VALU_DEP_2)
	v_cndmask_b32_e64 v82, v93, v82, s2
	v_mul_f32_e32 v96, v94, v92
	s_mov_b32 s2, exec_lo
	s_delay_alu instid0(VALU_DEP_2) | instskip(NEXT) | instid1(VALU_DEP_2)
	v_cndmask_b32_e64 v82, v82, v89, s4
	v_fma_f32 v98, -v91, v96, v94
	s_delay_alu instid0(VALU_DEP_1) | instskip(NEXT) | instid1(VALU_DEP_1)
	v_fmac_f32_e32 v96, v98, v92
	v_fma_f32 v91, -v91, v96, v94
	s_delay_alu instid0(VALU_DEP_1) | instskip(NEXT) | instid1(VALU_DEP_1)
	v_div_fmas_f32 v91, v91, v92, v96
	v_div_fixup_f32 v90, v91, v90, 1.0
	s_delay_alu instid0(VALU_DEP_1) | instskip(NEXT) | instid1(VALU_DEP_1)
	v_mul_f32_e32 v82, v82, v90
	v_mul_f32_e32 v87, v82, v87
	;; [unrolled: 1-line block ×7, first 2 shown]
	v_dual_mul_f32 v86, v82, v83 :: v_dual_and_b32 v91, 0x7f800000, v90
	v_mul_f32_e32 v85, v82, v76
                                        ; implicit-def: $vgpr76
	s_delay_alu instid0(VALU_DEP_2)
	v_cmpx_ne_u32_e32 0x7f800000, v91
	s_xor_b32 s2, exec_lo, s2
; %bb.13:
	v_bfe_u32 v76, v90, 16, 1
	s_delay_alu instid0(VALU_DEP_1)
	v_add3_u32 v76, v90, v76, 0x7fff
                                        ; implicit-def: $vgpr90
; %bb.14:
	s_and_not1_saveexec_b32 s2, s2
; %bb.15:
	v_and_b32_e32 v76, 0xffff, v90
	v_or_b32_e32 v83, 0x10000, v90
	s_delay_alu instid0(VALU_DEP_2) | instskip(NEXT) | instid1(VALU_DEP_2)
	v_cmp_eq_u32_e32 vcc_lo, 0, v76
	v_cndmask_b32_e32 v76, v83, v90, vcc_lo
; %bb.16:
	s_or_b32 exec_lo, exec_lo, s2
	v_and_b32_e32 v83, 0x7f800000, v85
	s_delay_alu instid0(VALU_DEP_1) | instskip(SKIP_1) | instid1(SALU_CYCLE_1)
	v_cmp_ne_u32_e32 vcc_lo, 0x7f800000, v83
                                        ; implicit-def: $vgpr83
	s_and_saveexec_b32 s2, vcc_lo
	s_xor_b32 s2, exec_lo, s2
; %bb.17:
	v_bfe_u32 v83, v85, 16, 1
	s_delay_alu instid0(VALU_DEP_1)
	v_add3_u32 v83, v85, v83, 0x7fff
                                        ; implicit-def: $vgpr85
; %bb.18:
	s_and_not1_saveexec_b32 s2, s2
; %bb.19:
	v_and_b32_e32 v83, 0xffff, v85
	v_or_b32_e32 v90, 0x10000, v85
	s_delay_alu instid0(VALU_DEP_2) | instskip(NEXT) | instid1(VALU_DEP_2)
	v_cmp_eq_u32_e32 vcc_lo, 0, v83
	v_cndmask_b32_e32 v83, v90, v85, vcc_lo
; %bb.20:
	s_or_b32 exec_lo, exec_lo, s2
	v_and_b32_e32 v85, 0x7f800000, v86
	s_delay_alu instid0(VALU_DEP_1) | instskip(SKIP_1) | instid1(SALU_CYCLE_1)
	v_cmp_ne_u32_e32 vcc_lo, 0x7f800000, v85
                                        ; implicit-def: $vgpr85
	s_and_saveexec_b32 s2, vcc_lo
	s_xor_b32 s2, exec_lo, s2
; %bb.21:
	v_bfe_u32 v85, v86, 16, 1
	s_delay_alu instid0(VALU_DEP_1)
	v_add3_u32 v85, v86, v85, 0x7fff
                                        ; implicit-def: $vgpr86
; %bb.22:
	s_and_not1_saveexec_b32 s2, s2
; %bb.23:
	v_and_b32_e32 v85, 0xffff, v86
	v_or_b32_e32 v90, 0x10000, v86
	s_delay_alu instid0(VALU_DEP_2) | instskip(NEXT) | instid1(VALU_DEP_2)
	v_cmp_eq_u32_e32 vcc_lo, 0, v85
	v_cndmask_b32_e32 v85, v90, v86, vcc_lo
; %bb.24:
	s_or_b32 exec_lo, exec_lo, s2
	v_and_b32_e32 v86, 0x7f800000, v89
	s_delay_alu instid0(VALU_DEP_1) | instskip(SKIP_1) | instid1(SALU_CYCLE_1)
	v_cmp_ne_u32_e32 vcc_lo, 0x7f800000, v86
                                        ; implicit-def: $vgpr86
	s_and_saveexec_b32 s2, vcc_lo
	s_xor_b32 s2, exec_lo, s2
; %bb.25:
	v_bfe_u32 v86, v89, 16, 1
	s_delay_alu instid0(VALU_DEP_1)
	v_add3_u32 v86, v89, v86, 0x7fff
                                        ; implicit-def: $vgpr89
; %bb.26:
	s_and_not1_saveexec_b32 s2, s2
; %bb.27:
	v_and_b32_e32 v86, 0xffff, v89
	v_or_b32_e32 v90, 0x10000, v89
	s_delay_alu instid0(VALU_DEP_2) | instskip(NEXT) | instid1(VALU_DEP_2)
	v_cmp_eq_u32_e32 vcc_lo, 0, v86
	v_cndmask_b32_e32 v86, v90, v89, vcc_lo
; %bb.28:
	s_or_b32 exec_lo, exec_lo, s2
	v_and_b32_e32 v89, 0x7f800000, v88
	s_delay_alu instid0(VALU_DEP_1) | instskip(SKIP_1) | instid1(SALU_CYCLE_1)
	v_cmp_ne_u32_e32 vcc_lo, 0x7f800000, v89
                                        ; implicit-def: $vgpr89
	s_and_saveexec_b32 s2, vcc_lo
	s_xor_b32 s2, exec_lo, s2
; %bb.29:
	v_bfe_u32 v89, v88, 16, 1
	s_delay_alu instid0(VALU_DEP_1)
	v_add3_u32 v89, v88, v89, 0x7fff
                                        ; implicit-def: $vgpr88
; %bb.30:
	s_and_not1_saveexec_b32 s2, s2
; %bb.31:
	v_and_b32_e32 v89, 0xffff, v88
	v_or_b32_e32 v90, 0x10000, v88
	s_delay_alu instid0(VALU_DEP_2) | instskip(NEXT) | instid1(VALU_DEP_2)
	v_cmp_eq_u32_e32 vcc_lo, 0, v89
	v_cndmask_b32_e32 v89, v90, v88, vcc_lo
; %bb.32:
	s_or_b32 exec_lo, exec_lo, s2
	v_and_b32_e32 v88, 0x7f800000, v87
	s_delay_alu instid0(VALU_DEP_1) | instskip(SKIP_1) | instid1(SALU_CYCLE_1)
	v_cmp_ne_u32_e32 vcc_lo, 0x7f800000, v88
                                        ; implicit-def: $vgpr88
	s_and_saveexec_b32 s2, vcc_lo
	s_xor_b32 s2, exec_lo, s2
; %bb.33:
	v_bfe_u32 v88, v87, 16, 1
	s_delay_alu instid0(VALU_DEP_1)
	v_add3_u32 v88, v87, v88, 0x7fff
                                        ; implicit-def: $vgpr87
; %bb.34:
	s_and_not1_saveexec_b32 s2, s2
; %bb.35:
	v_and_b32_e32 v88, 0xffff, v87
	v_or_b32_e32 v90, 0x10000, v87
	s_delay_alu instid0(VALU_DEP_2) | instskip(NEXT) | instid1(VALU_DEP_2)
	v_cmp_eq_u32_e32 vcc_lo, 0, v88
	v_cndmask_b32_e32 v88, v90, v87, vcc_lo
; %bb.36:
	s_or_b32 exec_lo, exec_lo, s2
	v_and_b32_e32 v87, 0x7f800000, v84
	s_delay_alu instid0(VALU_DEP_1) | instskip(SKIP_1) | instid1(SALU_CYCLE_1)
	v_cmp_ne_u32_e32 vcc_lo, 0x7f800000, v87
                                        ; implicit-def: $vgpr87
	s_and_saveexec_b32 s2, vcc_lo
	s_xor_b32 s2, exec_lo, s2
; %bb.37:
	v_bfe_u32 v87, v84, 16, 1
	s_delay_alu instid0(VALU_DEP_1)
	v_add3_u32 v87, v84, v87, 0x7fff
                                        ; implicit-def: $vgpr84
; %bb.38:
	s_and_not1_saveexec_b32 s2, s2
; %bb.39:
	v_and_b32_e32 v87, 0xffff, v84
	v_or_b32_e32 v90, 0x10000, v84
	s_delay_alu instid0(VALU_DEP_2) | instskip(NEXT) | instid1(VALU_DEP_2)
	v_cmp_eq_u32_e32 vcc_lo, 0, v87
	v_cndmask_b32_e32 v87, v90, v84, vcc_lo
; %bb.40:
	s_or_b32 exec_lo, exec_lo, s2
	v_and_b32_e32 v84, 0x7f800000, v80
	s_delay_alu instid0(VALU_DEP_1) | instskip(SKIP_1) | instid1(SALU_CYCLE_1)
	v_cmp_ne_u32_e32 vcc_lo, 0x7f800000, v84
                                        ; implicit-def: $vgpr84
	s_and_saveexec_b32 s2, vcc_lo
	s_xor_b32 s2, exec_lo, s2
; %bb.41:
	v_bfe_u32 v84, v80, 16, 1
	s_delay_alu instid0(VALU_DEP_1)
	v_add3_u32 v84, v80, v84, 0x7fff
                                        ; implicit-def: $vgpr80
; %bb.42:
	s_and_not1_saveexec_b32 s2, s2
; %bb.43:
	v_and_b32_e32 v84, 0xffff, v80
	v_or_b32_e32 v90, 0x10000, v80
	s_delay_alu instid0(VALU_DEP_2) | instskip(NEXT) | instid1(VALU_DEP_2)
	v_cmp_eq_u32_e32 vcc_lo, 0, v84
	v_cndmask_b32_e32 v84, v90, v80, vcc_lo
; %bb.44:
	s_or_b32 exec_lo, exec_lo, s2
	s_load_b64 s[34:35], s[0:1], 0x94
	v_lshlrev_b32_e32 v91, 4, v74
	s_delay_alu instid0(VALU_DEP_2)
	v_perm_b32 v90, v84, v87, 0x7060302
	v_dual_mul_f32 v79, v82, v79 :: v_dual_lshlrev_b32 v80, 6, v65
	v_dual_mul_f32 v77, v82, v77 :: v_dual_lshlrev_b32 v92, 11, v66
	v_mul_f32_e32 v84, v82, v70
	v_perm_b32 v89, v88, v89, 0x7060302
	v_perm_b32 v88, v86, v85, 0x7060302
	;; [unrolled: 1-line block ×3, first 2 shown]
	v_mul_f32_e32 v70, v82, v81
	v_or3_b32 v76, v91, v92, v80
	v_dual_mul_f32 v78, v82, v78 :: v_dual_and_b32 v85, 0x7f800000, v84
	v_mul_f32_e32 v83, v82, v72
	v_mul_f32_e32 v81, v82, v71
	;; [unrolled: 1-line block ×3, first 2 shown]
	s_mov_b32 s2, exec_lo
	ds_store_b128 v76, v[87:90]
                                        ; implicit-def: $vgpr69
	v_cmpx_ne_u32_e32 0x7f800000, v85
	s_xor_b32 s2, exec_lo, s2
; %bb.45:
	v_bfe_u32 v69, v84, 16, 1
	s_delay_alu instid0(VALU_DEP_1)
	v_add3_u32 v69, v84, v69, 0x7fff
                                        ; implicit-def: $vgpr84
; %bb.46:
	s_and_not1_saveexec_b32 s2, s2
; %bb.47:
	v_and_b32_e32 v69, 0xffff, v84
	v_or_b32_e32 v71, 0x10000, v84
	s_delay_alu instid0(VALU_DEP_2) | instskip(NEXT) | instid1(VALU_DEP_2)
	v_cmp_eq_u32_e32 vcc_lo, 0, v69
	v_cndmask_b32_e32 v69, v71, v84, vcc_lo
; %bb.48:
	s_or_b32 exec_lo, exec_lo, s2
	v_and_b32_e32 v71, 0x7f800000, v72
	s_delay_alu instid0(VALU_DEP_1) | instskip(SKIP_1) | instid1(SALU_CYCLE_1)
	v_cmp_ne_u32_e32 vcc_lo, 0x7f800000, v71
                                        ; implicit-def: $vgpr71
	s_and_saveexec_b32 s2, vcc_lo
	s_xor_b32 s2, exec_lo, s2
; %bb.49:
	v_bfe_u32 v71, v72, 16, 1
	s_delay_alu instid0(VALU_DEP_1)
	v_add3_u32 v71, v72, v71, 0x7fff
                                        ; implicit-def: $vgpr72
; %bb.50:
	s_and_not1_saveexec_b32 s2, s2
; %bb.51:
	v_and_b32_e32 v71, 0xffff, v72
	v_or_b32_e32 v82, 0x10000, v72
	s_delay_alu instid0(VALU_DEP_2) | instskip(NEXT) | instid1(VALU_DEP_2)
	v_cmp_eq_u32_e32 vcc_lo, 0, v71
	v_cndmask_b32_e32 v71, v82, v72, vcc_lo
; %bb.52:
	s_or_b32 exec_lo, exec_lo, s2
	v_and_b32_e32 v72, 0x7f800000, v81
	s_delay_alu instid0(VALU_DEP_1) | instskip(SKIP_1) | instid1(SALU_CYCLE_1)
	v_cmp_ne_u32_e32 vcc_lo, 0x7f800000, v72
                                        ; implicit-def: $vgpr72
	s_and_saveexec_b32 s2, vcc_lo
	s_xor_b32 s2, exec_lo, s2
; %bb.53:
	v_bfe_u32 v72, v81, 16, 1
	s_delay_alu instid0(VALU_DEP_1)
	v_add3_u32 v72, v81, v72, 0x7fff
                                        ; implicit-def: $vgpr81
; %bb.54:
	s_and_not1_saveexec_b32 s2, s2
; %bb.55:
	v_and_b32_e32 v72, 0xffff, v81
	v_or_b32_e32 v82, 0x10000, v81
	s_delay_alu instid0(VALU_DEP_2) | instskip(NEXT) | instid1(VALU_DEP_2)
	v_cmp_eq_u32_e32 vcc_lo, 0, v72
	v_cndmask_b32_e32 v72, v82, v81, vcc_lo
; %bb.56:
	s_or_b32 exec_lo, exec_lo, s2
	v_and_b32_e32 v81, 0x7f800000, v83
	s_delay_alu instid0(VALU_DEP_1) | instskip(SKIP_1) | instid1(SALU_CYCLE_1)
	v_cmp_ne_u32_e32 vcc_lo, 0x7f800000, v81
                                        ; implicit-def: $vgpr81
	s_and_saveexec_b32 s2, vcc_lo
	s_xor_b32 s2, exec_lo, s2
; %bb.57:
	v_bfe_u32 v81, v83, 16, 1
	s_delay_alu instid0(VALU_DEP_1)
	v_add3_u32 v81, v83, v81, 0x7fff
                                        ; implicit-def: $vgpr83
; %bb.58:
	s_and_not1_saveexec_b32 s2, s2
; %bb.59:
	v_and_b32_e32 v81, 0xffff, v83
	v_or_b32_e32 v82, 0x10000, v83
	s_delay_alu instid0(VALU_DEP_2) | instskip(NEXT) | instid1(VALU_DEP_2)
	v_cmp_eq_u32_e32 vcc_lo, 0, v81
	v_cndmask_b32_e32 v81, v82, v83, vcc_lo
; %bb.60:
	s_or_b32 exec_lo, exec_lo, s2
	v_and_b32_e32 v82, 0x7f800000, v77
	s_delay_alu instid0(VALU_DEP_1) | instskip(SKIP_1) | instid1(SALU_CYCLE_1)
	v_cmp_ne_u32_e32 vcc_lo, 0x7f800000, v82
                                        ; implicit-def: $vgpr82
	s_and_saveexec_b32 s2, vcc_lo
	s_xor_b32 s2, exec_lo, s2
; %bb.61:
	v_bfe_u32 v82, v77, 16, 1
	s_delay_alu instid0(VALU_DEP_1)
	v_add3_u32 v82, v77, v82, 0x7fff
                                        ; implicit-def: $vgpr77
; %bb.62:
	s_and_not1_saveexec_b32 s2, s2
; %bb.63:
	v_and_b32_e32 v82, 0xffff, v77
	v_or_b32_e32 v83, 0x10000, v77
	s_delay_alu instid0(VALU_DEP_2) | instskip(NEXT) | instid1(VALU_DEP_2)
	v_cmp_eq_u32_e32 vcc_lo, 0, v82
	v_cndmask_b32_e32 v82, v83, v77, vcc_lo
; %bb.64:
	s_or_b32 exec_lo, exec_lo, s2
	v_and_b32_e32 v77, 0x7f800000, v78
	s_delay_alu instid0(VALU_DEP_1) | instskip(SKIP_1) | instid1(SALU_CYCLE_1)
	v_cmp_ne_u32_e32 vcc_lo, 0x7f800000, v77
                                        ; implicit-def: $vgpr77
	s_and_saveexec_b32 s2, vcc_lo
	s_xor_b32 s2, exec_lo, s2
; %bb.65:
	v_bfe_u32 v77, v78, 16, 1
	s_delay_alu instid0(VALU_DEP_1)
	v_add3_u32 v77, v78, v77, 0x7fff
                                        ; implicit-def: $vgpr78
; %bb.66:
	s_and_not1_saveexec_b32 s2, s2
; %bb.67:
	v_and_b32_e32 v77, 0xffff, v78
	v_or_b32_e32 v83, 0x10000, v78
	s_delay_alu instid0(VALU_DEP_2) | instskip(NEXT) | instid1(VALU_DEP_2)
	v_cmp_eq_u32_e32 vcc_lo, 0, v77
	v_cndmask_b32_e32 v77, v83, v78, vcc_lo
; %bb.68:
	s_or_b32 exec_lo, exec_lo, s2
	v_and_b32_e32 v78, 0x7f800000, v79
	s_delay_alu instid0(VALU_DEP_1) | instskip(SKIP_1) | instid1(SALU_CYCLE_1)
	v_cmp_ne_u32_e32 vcc_lo, 0x7f800000, v78
                                        ; implicit-def: $vgpr78
	s_and_saveexec_b32 s2, vcc_lo
	s_xor_b32 s2, exec_lo, s2
; %bb.69:
	v_bfe_u32 v78, v79, 16, 1
	s_delay_alu instid0(VALU_DEP_1)
	v_add3_u32 v78, v79, v78, 0x7fff
                                        ; implicit-def: $vgpr79
; %bb.70:
	s_and_not1_saveexec_b32 s2, s2
; %bb.71:
	v_and_b32_e32 v78, 0xffff, v79
	v_or_b32_e32 v83, 0x10000, v79
	s_delay_alu instid0(VALU_DEP_2) | instskip(NEXT) | instid1(VALU_DEP_2)
	v_cmp_eq_u32_e32 vcc_lo, 0, v78
	v_cndmask_b32_e32 v78, v83, v79, vcc_lo
; %bb.72:
	s_or_b32 exec_lo, exec_lo, s2
	v_and_b32_e32 v79, 0x7f800000, v70
	s_delay_alu instid0(VALU_DEP_1) | instskip(SKIP_1) | instid1(SALU_CYCLE_1)
	v_cmp_ne_u32_e32 vcc_lo, 0x7f800000, v79
                                        ; implicit-def: $vgpr79
	s_and_saveexec_b32 s2, vcc_lo
	s_xor_b32 s2, exec_lo, s2
; %bb.73:
	v_bfe_u32 v79, v70, 16, 1
	s_delay_alu instid0(VALU_DEP_1)
	v_add3_u32 v79, v70, v79, 0x7fff
                                        ; implicit-def: $vgpr70
; %bb.74:
	s_and_not1_saveexec_b32 s2, s2
; %bb.75:
	v_and_b32_e32 v79, 0xffff, v70
	v_or_b32_e32 v83, 0x10000, v70
	s_delay_alu instid0(VALU_DEP_2) | instskip(NEXT) | instid1(VALU_DEP_2)
	v_cmp_eq_u32_e32 vcc_lo, 0, v79
	v_cndmask_b32_e32 v79, v83, v70, vcc_lo
; %bb.76:
	s_or_b32 exec_lo, exec_lo, s2
	s_delay_alu instid0(VALU_DEP_1)
	v_perm_b32 v86, v79, v78, 0x7060302
	v_perm_b32 v85, v77, v82, 0x7060302
	;; [unrolled: 1-line block ×4, first 2 shown]
	v_lshl_or_b32 v82, v66, 11, v80
	ds_store_b128 v76, v[83:86] offset:1024
	s_waitcnt lgkmcnt(0)
	s_barrier
	buffer_gl0_inv
	ds_load_b128 v[69:72], v82
	ds_load_b128 v[83:86], v82 offset:16
	s_waitcnt lgkmcnt(1)
	v_lshrrev_b32_e32 v66, 16, v69
	s_waitcnt lgkmcnt(0)
	v_lshrrev_b32_e32 v91, 16, v83
	v_lshlrev_b32_e32 v78, 2, v74
	v_lshrrev_b32_e32 v95, 16, v70
	v_lshrrev_b32_e32 v98, 16, v84
	;; [unrolled: 1-line block ×4, first 2 shown]
	v_cmp_eq_u32_e32 vcc_lo, 1, v78
	v_lshrrev_b32_e32 v97, 16, v72
	v_lshrrev_b32_e32 v100, 16, v86
	v_cndmask_b32_e32 v87, v83, v91, vcc_lo
	v_or_b32_e32 v79, 1, v78
	v_cndmask_b32_e32 v81, v69, v66, vcc_lo
	v_cmp_eq_u32_e64 s3, 2, v78
	v_cmp_eq_u32_e64 s6, 3, v78
	;; [unrolled: 1-line block ×5, first 2 shown]
	v_cndmask_b32_e64 v81, v81, v70, s3
	v_cndmask_b32_e64 v87, v87, v84, s3
	v_cmp_eq_u32_e64 s7, 3, v79
	v_cndmask_b32_e64 v88, v69, v66, s2
	v_or_b32_e32 v77, 2, v78
	v_cndmask_b32_e64 v81, v81, v95, s6
	v_cndmask_b32_e64 v87, v87, v98, s6
	v_cndmask_b32_e64 v89, v83, v91, s2
	v_cndmask_b32_e64 v88, v88, v70, s5
	v_cmp_eq_u32_e64 s9, 5, v78
	v_cndmask_b32_e64 v81, v81, v71, s8
	v_cndmask_b32_e64 v87, v87, v85, s8
	v_cmp_eq_u32_e64 s10, 4, v79
	v_cndmask_b32_e64 v88, v88, v95, s7
	v_cmp_eq_u32_e64 s4, 1, v77
	v_cndmask_b32_e64 v89, v89, v84, s5
	v_cndmask_b32_e64 v81, v81, v96, s9
	v_cmp_eq_u32_e64 s11, 6, v78
	v_cndmask_b32_e64 v88, v88, v71, s10
	;; [unrolled: 3-line block ×3, first 2 shown]
	v_cndmask_b32_e64 v89, v89, v98, s7
	v_cndmask_b32_e64 v81, v81, v72, s11
	v_cmp_eq_u32_e64 s13, 7, v78
	v_cndmask_b32_e64 v88, v88, v96, s12
	v_cndmask_b32_e64 v87, v87, v86, s11
	v_cmp_eq_u32_e64 s15, 6, v79
	v_cmp_eq_u32_e64 s16, 2, v77
	v_cndmask_b32_e64 v89, v89, v85, s10
	v_cndmask_b32_e64 v101, v81, v97, s13
	;; [unrolled: 1-line block ×6, first 2 shown]
	v_cmp_eq_u32_e64 s17, 7, v79
	v_cmp_eq_u32_e64 s18, 3, v77
	v_cmp_eq_u32_e64 s19, 4, v77
	v_cmp_eq_u32_e64 s21, 5, v77
	v_cndmask_b32_e64 v87, v87, v84, s16
	v_cndmask_b32_e64 v103, v88, v97, s17
	;; [unrolled: 1-line block ×4, first 2 shown]
	v_or_b32_e32 v81, 3, v78
	v_cndmask_b32_e64 v93, v87, v98, s18
	v_cmp_eq_u32_e64 s23, 6, v77
	v_cndmask_b32_e64 v104, v88, v86, s15
	v_cndmask_b32_e64 v92, v89, v71, s19
	v_cmp_eq_u32_e64 s20, 1, v81
	ds_load_b128 v[87:90], v82 offset:1024
	v_cmp_eq_u32_e64 s22, 2, v81
	v_cmp_eq_u32_e64 s24, 3, v81
	v_cndmask_b32_e64 v105, v92, v96, s21
	v_cndmask_b32_e64 v66, v69, v66, s20
	;; [unrolled: 1-line block ×4, first 2 shown]
	ds_load_b128 v[91:94], v82 offset:1040
	v_cmp_eq_u32_e64 s25, 4, v81
	v_cndmask_b32_e64 v66, v66, v70, s22
	v_cmp_eq_u32_e64 s26, 7, v77
	v_cndmask_b32_e64 v70, v83, v84, s22
	v_cndmask_b32_e64 v84, v105, v72, s23
	v_cmp_eq_u32_e64 s27, 5, v81
	v_cndmask_b32_e64 v66, v66, v95, s24
	v_cmp_eq_u32_e64 s28, 6, v81
	v_cndmask_b32_e64 v70, v70, v98, s24
	v_cndmask_b32_e64 v69, v69, v99, s21
	;; [unrolled: 1-line block ×4, first 2 shown]
	s_waitcnt lgkmcnt(1)
	v_lshrrev_b32_e32 v95, 16, v87
	v_cndmask_b32_e64 v70, v70, v85, s25
	v_cndmask_b32_e64 v71, v84, v97, s26
	;; [unrolled: 1-line block ×4, first 2 shown]
	v_cndmask_b32_e32 v84, v87, v95, vcc_lo
	v_cndmask_b32_e64 v70, v70, v99, s27
	s_waitcnt lgkmcnt(0)
	v_lshrrev_b32_e32 v85, 16, v91
	v_lshrrev_b32_e32 v96, 16, v88
	v_cndmask_b32_e64 v98, v87, v95, s2
	v_cndmask_b32_e64 v84, v84, v88, s3
	;; [unrolled: 1-line block ×3, first 2 shown]
	v_cndmask_b32_e32 v99, v91, v85, vcc_lo
	v_cmp_eq_u32_e32 vcc_lo, 7, v81
	v_cndmask_b32_e64 v66, v66, v72, s28
	v_cndmask_b32_e64 v72, v84, v96, s6
	;; [unrolled: 1-line block ×3, first 2 shown]
	v_lshrrev_b32_e32 v98, 16, v92
	v_cndmask_b32_e32 v70, v70, v100, vcc_lo
	v_cndmask_b32_e64 v86, v99, v92, s3
	v_cndmask_b32_e64 v69, v69, v100, s26
	v_lshrrev_b32_e32 v100, 16, v93
	v_cndmask_b32_e64 v72, v72, v89, s8
	v_lshrrev_b32_e32 v99, 16, v89
	v_cndmask_b32_e64 v86, v86, v98, s6
	v_perm_b32 v71, v69, v71, 0x5040100
	v_cndmask_b32_e64 v84, v84, v96, s7
	s_delay_alu instid0(VALU_DEP_3) | instskip(NEXT) | instid1(VALU_DEP_2)
	v_cndmask_b32_e64 v86, v86, v93, s8
	v_cndmask_b32_e64 v84, v84, v89, s10
	s_delay_alu instid0(VALU_DEP_2) | instskip(NEXT) | instid1(VALU_DEP_1)
	v_cndmask_b32_e64 v86, v86, v100, s9
	v_cndmask_b32_e64 v69, v86, v94, s11
	;; [unrolled: 1-line block ×5, first 2 shown]
	s_delay_alu instid0(VALU_DEP_3) | instskip(NEXT) | instid1(VALU_DEP_3)
	v_cndmask_b32_e64 v86, v86, v88, s16
	v_cndmask_b32_e64 v87, v87, v88, s22
	s_delay_alu instid0(VALU_DEP_3) | instskip(NEXT) | instid1(VALU_DEP_3)
	v_cndmask_b32_e64 v88, v95, v92, s22
	v_cndmask_b32_e64 v86, v86, v96, s18
	;; [unrolled: 3-line block ×7, first 2 shown]
	s_delay_alu instid0(VALU_DEP_3) | instskip(SKIP_2) | instid1(VALU_DEP_2)
	v_cndmask_b32_e64 v88, v88, v94, s28
	v_cndmask_b32_e32 v66, v66, v97, vcc_lo
	v_cndmask_b32_e64 v97, v72, v99, s9
	v_perm_b32 v72, v70, v66, 0x5040100
	v_perm_b32 v70, v83, v103, 0x5040100
	v_cndmask_b32_e64 v103, v91, v85, s4
	v_cndmask_b32_e64 v85, v91, v85, s2
	;; [unrolled: 1-line block ×4, first 2 shown]
	v_lshrrev_b32_e32 v97, 16, v90
	v_cndmask_b32_e64 v91, v103, v92, s16
	v_cndmask_b32_e64 v85, v85, v92, s5
	;; [unrolled: 1-line block ×3, first 2 shown]
	s_mov_b32 s2, exec_lo
	v_cndmask_b32_e64 v83, v84, v97, s13
	v_cndmask_b32_e64 v91, v91, v98, s18
	;; [unrolled: 1-line block ×3, first 2 shown]
	v_lshrrev_b32_e32 v84, 16, v94
	v_cndmask_b32_e64 v66, v66, v97, s17
	v_cndmask_b32_e64 v90, v86, v97, s26
	;; [unrolled: 1-line block ×4, first 2 shown]
	v_dual_cndmask_b32 v86, v87, v97 :: v_dual_cndmask_b32 v87, v88, v84
	v_cndmask_b32_e64 v91, v69, v84, s13
	s_delay_alu instid0(VALU_DEP_4) | instskip(NEXT) | instid1(VALU_DEP_4)
	v_cndmask_b32_e64 v89, v89, v100, s21
	v_cndmask_b32_e64 v85, v85, v100, s12
	v_perm_b32 v69, v102, v101, 0x5040100
	v_perm_b32 v86, v87, v86, 0x5040100
	;; [unrolled: 1-line block ×3, first 2 shown]
	v_cndmask_b32_e64 v89, v89, v94, s23
	v_cndmask_b32_e64 v85, v85, v94, s15
	s_mul_i32 s7, s35, 14
	s_delay_alu instid0(VALU_DEP_2) | instskip(NEXT) | instid1(VALU_DEP_2)
	v_cndmask_b32_e64 v88, v89, v84, s26
	v_cndmask_b32_e64 v89, v85, v84, s17
	s_delay_alu instid0(VALU_DEP_2) | instskip(NEXT) | instid1(VALU_DEP_2)
	v_perm_b32 v85, v88, v90, 0x5040100
	v_perm_b32 v84, v89, v66, 0x5040100
	ds_store_b128 v76, v[69:72]
	ds_store_b128 v76, v[83:86] offset:1024
	v_cmpx_gt_u32_e32 14, v0
	s_cbranch_execz .LBB1899_78
; %bb.77:
	s_mul_i32 s3, s7, s30
	s_load_b128 s[8:11], s[0:1], 0x58
	v_add3_u32 v69, s3, s29, v65
	s_delay_alu instid0(VALU_DEP_1) | instskip(NEXT) | instid1(VALU_DEP_1)
	v_mad_u64_u32 v[65:66], null, v69, s34, s[14:15]
	v_ashrrev_i32_e32 v66, 31, v65
	s_delay_alu instid0(VALU_DEP_1) | instskip(SKIP_1) | instid1(VALU_DEP_1)
	v_lshlrev_b64 v[65:66], 2, v[65:66]
	s_waitcnt lgkmcnt(0)
	v_add_co_u32 v69, vcc_lo, s10, v65
	s_delay_alu instid0(VALU_DEP_2)
	v_add_co_ci_u32_e32 v70, vcc_lo, s11, v66, vcc_lo
	v_add_co_u32 v65, vcc_lo, s8, v65
	v_add_co_ci_u32_e32 v66, vcc_lo, s9, v66, vcc_lo
	global_store_b32 v[69:70], v67, off
	global_store_b32 v[65:66], v68, off
.LBB1899_78:
	s_or_b32 exec_lo, exec_lo, s2
	s_waitcnt lgkmcnt(0)
	s_waitcnt_vscnt null, 0x0
	s_barrier
	buffer_gl0_inv
	ds_load_b128 v[83:86], v80
	ds_load_b128 v[87:90], v80 offset:16
	ds_load_b128 v[95:98], v80 offset:2064
	ds_load_b128 v[91:94], v80 offset:2048
	v_mov_b32_e32 v65, 0
	ds_load_b128 v[103:106], v80 offset:4112
	ds_load_b128 v[99:102], v80 offset:4096
	;; [unrolled: 1-line block ×4, first 2 shown]
	v_mov_b32_e32 v66, v65
	v_mov_b32_e32 v67, v65
	;; [unrolled: 1-line block ×7, first 2 shown]
	s_waitcnt lgkmcnt(6)
	s_delay_alu instid0(VALU_DEP_1)
	v_wmma_f32_16x16x16_bf16 v[65:72], v[49:56], v[83:90], v[65:72]
	ds_load_b128 v[53:56], v80 offset:8208
	ds_load_b128 v[49:52], v80 offset:8192
	s_waitcnt lgkmcnt(6)
	v_wmma_f32_16x16x16_bf16 v[65:72], v[41:48], v[91:98], v[65:72]
	ds_load_b128 v[45:48], v80 offset:10256
	ds_load_b128 v[41:44], v80 offset:10240
	s_waitcnt lgkmcnt(6)
	;; [unrolled: 4-line block ×4, first 2 shown]
	v_wmma_f32_16x16x16_bf16 v[65:72], v[1:8], v[49:56], v[65:72]
	s_waitcnt lgkmcnt(4)
	s_delay_alu instid0(VALU_DEP_1) | instskip(SKIP_1) | instid1(VALU_DEP_1)
	v_wmma_f32_16x16x16_bf16 v[65:72], v[9:16], v[41:48], v[65:72]
	s_waitcnt lgkmcnt(2)
	v_wmma_f32_16x16x16_bf16 v[65:72], v[17:24], v[33:40], v[65:72]
	s_waitcnt lgkmcnt(0)
	s_delay_alu instid0(VALU_DEP_1) | instskip(NEXT) | instid1(VALU_DEP_1)
	v_wmma_f32_16x16x16_bf16 v[65:72], v[57:64], v[25:32], v[65:72]
	v_and_b32_e32 v1, 0x7f800000, v65
	s_delay_alu instid0(VALU_DEP_1) | instskip(SKIP_1) | instid1(SALU_CYCLE_1)
	v_cmp_ne_u32_e32 vcc_lo, 0x7f800000, v1
                                        ; implicit-def: $vgpr1
	s_and_saveexec_b32 s2, vcc_lo
	s_xor_b32 s2, exec_lo, s2
; %bb.79:
	v_bfe_u32 v1, v65, 16, 1
	s_delay_alu instid0(VALU_DEP_1)
	v_add3_u32 v1, v65, v1, 0x7fff
; %bb.80:
	s_and_not1_saveexec_b32 s2, s2
; %bb.81:
	v_and_b32_e32 v1, 0xffff, v65
	v_or_b32_e32 v2, 0x10000, v65
	s_delay_alu instid0(VALU_DEP_2) | instskip(NEXT) | instid1(VALU_DEP_2)
	v_cmp_eq_u32_e32 vcc_lo, 0, v1
	v_cndmask_b32_e32 v1, v2, v65, vcc_lo
; %bb.82:
	s_or_b32 exec_lo, exec_lo, s2
	v_and_b32_e32 v2, 0x7f800000, v66
	s_delay_alu instid0(VALU_DEP_1) | instskip(SKIP_1) | instid1(SALU_CYCLE_1)
	v_cmp_ne_u32_e32 vcc_lo, 0x7f800000, v2
                                        ; implicit-def: $vgpr2
	s_and_saveexec_b32 s2, vcc_lo
	s_xor_b32 s2, exec_lo, s2
; %bb.83:
	v_bfe_u32 v2, v66, 16, 1
	s_delay_alu instid0(VALU_DEP_1)
	v_add3_u32 v2, v66, v2, 0x7fff
; %bb.84:
	s_and_not1_saveexec_b32 s2, s2
; %bb.85:
	v_and_b32_e32 v2, 0xffff, v66
	v_or_b32_e32 v3, 0x10000, v66
	s_delay_alu instid0(VALU_DEP_2) | instskip(NEXT) | instid1(VALU_DEP_2)
	v_cmp_eq_u32_e32 vcc_lo, 0, v2
	v_cndmask_b32_e32 v2, v3, v66, vcc_lo
; %bb.86:
	s_or_b32 exec_lo, exec_lo, s2
	v_and_b32_e32 v3, 0x7f800000, v67
	s_delay_alu instid0(VALU_DEP_1) | instskip(SKIP_1) | instid1(SALU_CYCLE_1)
	v_cmp_ne_u32_e32 vcc_lo, 0x7f800000, v3
                                        ; implicit-def: $vgpr3
	s_and_saveexec_b32 s2, vcc_lo
	s_xor_b32 s2, exec_lo, s2
; %bb.87:
	v_bfe_u32 v3, v67, 16, 1
	s_delay_alu instid0(VALU_DEP_1)
	v_add3_u32 v3, v67, v3, 0x7fff
; %bb.88:
	s_and_not1_saveexec_b32 s2, s2
; %bb.89:
	v_and_b32_e32 v3, 0xffff, v67
	v_or_b32_e32 v4, 0x10000, v67
	s_delay_alu instid0(VALU_DEP_2) | instskip(NEXT) | instid1(VALU_DEP_2)
	v_cmp_eq_u32_e32 vcc_lo, 0, v3
	v_cndmask_b32_e32 v3, v4, v67, vcc_lo
; %bb.90:
	s_or_b32 exec_lo, exec_lo, s2
	v_and_b32_e32 v4, 0x7f800000, v68
	s_delay_alu instid0(VALU_DEP_1) | instskip(SKIP_1) | instid1(SALU_CYCLE_1)
	v_cmp_ne_u32_e32 vcc_lo, 0x7f800000, v4
                                        ; implicit-def: $vgpr4
	s_and_saveexec_b32 s2, vcc_lo
	s_xor_b32 s2, exec_lo, s2
; %bb.91:
	v_bfe_u32 v4, v68, 16, 1
	s_delay_alu instid0(VALU_DEP_1)
	v_add3_u32 v4, v68, v4, 0x7fff
; %bb.92:
	s_and_not1_saveexec_b32 s2, s2
; %bb.93:
	v_and_b32_e32 v4, 0xffff, v68
	v_or_b32_e32 v5, 0x10000, v68
	s_delay_alu instid0(VALU_DEP_2) | instskip(NEXT) | instid1(VALU_DEP_2)
	v_cmp_eq_u32_e32 vcc_lo, 0, v4
	v_cndmask_b32_e32 v4, v5, v68, vcc_lo
; %bb.94:
	s_or_b32 exec_lo, exec_lo, s2
	v_and_b32_e32 v5, 0x7f800000, v69
	s_delay_alu instid0(VALU_DEP_1) | instskip(SKIP_1) | instid1(SALU_CYCLE_1)
	v_cmp_ne_u32_e32 vcc_lo, 0x7f800000, v5
                                        ; implicit-def: $vgpr5
	s_and_saveexec_b32 s2, vcc_lo
	s_xor_b32 s2, exec_lo, s2
; %bb.95:
	v_bfe_u32 v5, v69, 16, 1
	s_delay_alu instid0(VALU_DEP_1)
	v_add3_u32 v5, v69, v5, 0x7fff
; %bb.96:
	s_and_not1_saveexec_b32 s2, s2
; %bb.97:
	v_and_b32_e32 v5, 0xffff, v69
	v_or_b32_e32 v6, 0x10000, v69
	s_delay_alu instid0(VALU_DEP_2) | instskip(NEXT) | instid1(VALU_DEP_2)
	v_cmp_eq_u32_e32 vcc_lo, 0, v5
	v_cndmask_b32_e32 v5, v6, v69, vcc_lo
; %bb.98:
	s_or_b32 exec_lo, exec_lo, s2
	v_and_b32_e32 v6, 0x7f800000, v70
	s_delay_alu instid0(VALU_DEP_1) | instskip(SKIP_1) | instid1(SALU_CYCLE_1)
	v_cmp_ne_u32_e32 vcc_lo, 0x7f800000, v6
                                        ; implicit-def: $vgpr6
	s_and_saveexec_b32 s2, vcc_lo
	s_xor_b32 s2, exec_lo, s2
; %bb.99:
	v_bfe_u32 v6, v70, 16, 1
	s_delay_alu instid0(VALU_DEP_1)
	v_add3_u32 v6, v70, v6, 0x7fff
; %bb.100:
	s_and_not1_saveexec_b32 s2, s2
; %bb.101:
	v_and_b32_e32 v6, 0xffff, v70
	v_or_b32_e32 v7, 0x10000, v70
	s_delay_alu instid0(VALU_DEP_2) | instskip(NEXT) | instid1(VALU_DEP_2)
	v_cmp_eq_u32_e32 vcc_lo, 0, v6
	v_cndmask_b32_e32 v6, v7, v70, vcc_lo
; %bb.102:
	s_or_b32 exec_lo, exec_lo, s2
	v_and_b32_e32 v7, 0x7f800000, v71
	s_delay_alu instid0(VALU_DEP_1) | instskip(SKIP_1) | instid1(SALU_CYCLE_1)
	v_cmp_ne_u32_e32 vcc_lo, 0x7f800000, v7
                                        ; implicit-def: $vgpr7
	s_and_saveexec_b32 s2, vcc_lo
	s_xor_b32 s2, exec_lo, s2
; %bb.103:
	v_bfe_u32 v7, v71, 16, 1
	s_delay_alu instid0(VALU_DEP_1)
	v_add3_u32 v7, v71, v7, 0x7fff
; %bb.104:
	s_and_not1_saveexec_b32 s2, s2
; %bb.105:
	v_and_b32_e32 v7, 0xffff, v71
	v_or_b32_e32 v8, 0x10000, v71
	s_delay_alu instid0(VALU_DEP_2) | instskip(NEXT) | instid1(VALU_DEP_2)
	v_cmp_eq_u32_e32 vcc_lo, 0, v7
	v_cndmask_b32_e32 v7, v8, v71, vcc_lo
; %bb.106:
	s_or_b32 exec_lo, exec_lo, s2
	v_and_b32_e32 v8, 0x7f800000, v72
	s_delay_alu instid0(VALU_DEP_1) | instskip(SKIP_1) | instid1(SALU_CYCLE_1)
	v_cmp_ne_u32_e32 vcc_lo, 0x7f800000, v8
                                        ; implicit-def: $vgpr8
	s_and_saveexec_b32 s2, vcc_lo
	s_xor_b32 s2, exec_lo, s2
; %bb.107:
	v_bfe_u32 v8, v72, 16, 1
	s_delay_alu instid0(VALU_DEP_1)
	v_add3_u32 v8, v72, v8, 0x7fff
                                        ; implicit-def: $vgpr65_vgpr66_vgpr67_vgpr68_vgpr69_vgpr70_vgpr71_vgpr72
; %bb.108:
	s_and_not1_saveexec_b32 s2, s2
; %bb.109:
	v_and_b32_e32 v8, 0xffff, v72
	v_or_b32_e32 v9, 0x10000, v72
	s_delay_alu instid0(VALU_DEP_2) | instskip(NEXT) | instid1(VALU_DEP_2)
	v_cmp_eq_u32_e32 vcc_lo, 0, v8
	v_cndmask_b32_e32 v8, v9, v72, vcc_lo
; %bb.110:
	s_or_b32 exec_lo, exec_lo, s2
	s_delay_alu instid0(VALU_DEP_1)
	v_perm_b32 v7, v8, v7, 0x7060302
	v_perm_b32 v6, v6, v5, 0x7060302
	;; [unrolled: 1-line block ×4, first 2 shown]
	s_barrier
	buffer_gl0_inv
	v_cmp_eq_u32_e32 vcc_lo, 1, v78
	ds_store_b128 v76, v[4:7]
	s_waitcnt lgkmcnt(0)
	s_barrier
	buffer_gl0_inv
	ds_load_b128 v[1:4], v82
	ds_load_b128 v[5:8], v82 offset:16
	v_cmp_eq_u32_e64 s2, 1, v79
	v_cmp_eq_u32_e64 s3, 2, v78
	;; [unrolled: 1-line block ×5, first 2 shown]
	s_waitcnt lgkmcnt(1)
	v_lshrrev_b32_e32 v9, 16, v1
	s_waitcnt lgkmcnt(0)
	v_lshrrev_b32_e32 v13, 16, v5
	v_lshrrev_b32_e32 v10, 16, v2
	;; [unrolled: 1-line block ×4, first 2 shown]
	v_cndmask_b32_e64 v19, v1, v9, s2
	v_cndmask_b32_e32 v18, v5, v13, vcc_lo
	v_cndmask_b32_e64 v20, v5, v13, s2
	v_cndmask_b32_e32 v17, v1, v9, vcc_lo
	v_cmp_eq_u32_e32 vcc_lo, 2, v79
	v_lshrrev_b32_e32 v15, 16, v7
	v_cmp_eq_u32_e64 s2, 1, v77
	v_lshrrev_b32_e32 v12, 16, v4
	v_lshrrev_b32_e32 v16, 16, v8
	v_cndmask_b32_e32 v20, v20, v6, vcc_lo
	v_cndmask_b32_e64 v17, v17, v2, s3
	v_cndmask_b32_e32 v19, v19, v2, vcc_lo
	v_cndmask_b32_e64 v18, v18, v6, s3
	v_cmp_eq_u32_e32 vcc_lo, 4, v78
	v_cmp_eq_u32_e64 s3, 3, v79
	v_cndmask_b32_e64 v17, v17, v10, s4
	v_cndmask_b32_e64 v21, v1, v9, s2
	;; [unrolled: 1-line block ×5, first 2 shown]
	v_cndmask_b32_e32 v17, v17, v3, vcc_lo
	v_cndmask_b32_e64 v20, v20, v14, s3
	v_cndmask_b32_e32 v18, v18, v7, vcc_lo
	v_cmp_eq_u32_e32 vcc_lo, 4, v79
	v_cmp_eq_u32_e64 s3, 5, v79
	v_cmp_eq_u32_e64 s2, 2, v81
	v_cndmask_b32_e64 v21, v21, v2, s6
	v_cmp_eq_u32_e64 s4, 5, v78
	v_cndmask_b32_e32 v19, v19, v3, vcc_lo
	v_cndmask_b32_e32 v20, v20, v7, vcc_lo
	v_cmp_eq_u32_e32 vcc_lo, 6, v79
	s_delay_alu instid0(VALU_DEP_4) | instskip(NEXT) | instid1(VALU_DEP_4)
	v_cndmask_b32_e64 v17, v17, v11, s4
	v_cndmask_b32_e64 v19, v19, v11, s3
	s_delay_alu instid0(VALU_DEP_4) | instskip(SKIP_1) | instid1(VALU_DEP_3)
	v_cndmask_b32_e64 v20, v20, v15, s3
	v_cmp_eq_u32_e64 s3, 1, v81
	v_cndmask_b32_e32 v19, v19, v4, vcc_lo
	v_cndmask_b32_e64 v18, v18, v15, s4
	s_delay_alu instid0(VALU_DEP_3)
	v_cndmask_b32_e64 v1, v1, v9, s3
	v_cndmask_b32_e64 v5, v5, v13, s3
	v_cmp_eq_u32_e64 s3, 3, v77
	v_cndmask_b32_e64 v13, v22, v6, s6
	v_cmp_eq_u32_e64 s6, 3, v81
	v_cndmask_b32_e64 v1, v1, v2, s2
	v_cndmask_b32_e64 v2, v5, v6, s2
	;; [unrolled: 1-line block ×3, first 2 shown]
	v_cmp_eq_u32_e64 s2, 4, v77
	v_cndmask_b32_e64 v6, v13, v14, s3
	v_cndmask_b32_e64 v1, v1, v10, s6
	v_cmp_eq_u32_e64 s3, 4, v81
	v_cndmask_b32_e64 v2, v2, v14, s6
	v_cndmask_b32_e64 v5, v9, v3, s2
	v_cmp_eq_u32_e64 s6, 5, v77
	v_cndmask_b32_e64 v6, v6, v7, s2
	v_cndmask_b32_e64 v1, v1, v3, s3
	v_cndmask_b32_e64 v2, v2, v7, s3
	v_cmp_eq_u32_e64 s2, 5, v81
	v_cmp_eq_u32_e64 s4, 6, v78
	v_cndmask_b32_e64 v5, v5, v11, s6
	v_cmp_eq_u32_e64 s3, 6, v77
	v_cndmask_b32_e64 v3, v6, v15, s6
	v_cndmask_b32_e64 v1, v1, v11, s2
	v_cmp_eq_u32_e64 s6, 6, v81
	v_cndmask_b32_e64 v2, v2, v15, s2
	v_cndmask_b32_e64 v17, v17, v4, s4
	v_cndmask_b32_e64 v18, v18, v8, s4
	v_cmp_eq_u32_e64 s4, 7, v78
	v_cndmask_b32_e64 v5, v5, v4, s3
	;; [unrolled: 4-line block ×3, first 2 shown]
	v_cmp_eq_u32_e64 s3, 7, v77
	v_cndmask_b32_e32 v4, v20, v8, vcc_lo
	v_cndmask_b32_e64 v17, v17, v12, s4
	v_cndmask_b32_e64 v19, v19, v12, s5
	;; [unrolled: 1-line block ×8, first 2 shown]
	s_mov_b32 s2, exec_lo
	v_perm_b32 v4, v2, v1, 0x5040100
	v_perm_b32 v3, v3, v5, 0x5040100
	;; [unrolled: 1-line block ×4, first 2 shown]
	ds_store_b128 v76, v[1:4]
	s_waitcnt lgkmcnt(0)
	s_barrier
	buffer_gl0_inv
	v_cmpx_gt_u32_e32 32, v0
	s_cbranch_execz .LBB1899_2
; %bb.111:
	s_load_b64 s[0:1], s[0:1], 0x68
	v_lshlrev_b32_e32 v0, 10, v0
	s_lshl_b32 s4, s34, 7
	v_or_b32_e32 v3, s29, v74
	s_mul_i32 s2, s4, s30
	v_lshlrev_b32_e32 v1, 4, v75
	v_lshlrev_b32_e32 v2, 6, v74
	v_and_b32_e32 v0, 0x3800, v0
	s_mul_i32 s2, s2, s7
	v_mul_lo_u32 v8, v3, s4
	s_ashr_i32 s3, s2, 31
	s_delay_alu instid0(SALU_CYCLE_1)
	s_lshl_b64 s[2:3], s[2:3], 1
	v_or3_b32 v16, v0, v1, v2
	ds_load_b128 v[0:3], v16
	ds_load_b128 v[4:7], v16 offset:128
	v_ashrrev_i32_e32 v9, 31, v8
	s_waitcnt lgkmcnt(0)
	s_add_u32 s2, s0, s2
	s_addc_u32 s3, s1, s3
	s_lshl_b32 s0, s14, 7
	s_delay_alu instid0(SALU_CYCLE_1) | instskip(SKIP_2) | instid1(SALU_CYCLE_1)
	s_ashr_i32 s1, s0, 31
	v_lshlrev_b64 v[9:10], 1, v[8:9]
	s_lshl_b64 s[0:1], s[0:1], 1
	s_add_u32 s0, s2, s0
	s_addc_u32 s1, s3, s1
	s_lshl_b32 s2, s34, 8
	v_add_co_u32 v30, s0, s0, v73
	v_add_nc_u32_e32 v11, s2, v8
	v_add_co_ci_u32_e64 v31, null, s1, 0, s0
	s_delay_alu instid0(VALU_DEP_3) | instskip(NEXT) | instid1(VALU_DEP_3)
	v_add_co_u32 v9, vcc_lo, v30, v9
	v_add_nc_u32_e32 v8, s2, v11
	s_delay_alu instid0(VALU_DEP_3) | instskip(SKIP_1) | instid1(VALU_DEP_3)
	v_add_co_ci_u32_e32 v10, vcc_lo, v31, v10, vcc_lo
	v_ashrrev_i32_e32 v12, 31, v11
	v_add_nc_u32_e32 v13, s2, v8
	global_store_b128 v[9:10], v[0:3], off
	v_ashrrev_i32_e32 v9, 31, v8
	v_lshlrev_b64 v[11:12], 1, v[11:12]
	v_ashrrev_i32_e32 v14, 31, v13
	v_add_nc_u32_e32 v10, s2, v13
	s_delay_alu instid0(VALU_DEP_4) | instskip(NEXT) | instid1(VALU_DEP_4)
	v_lshlrev_b64 v[2:3], 1, v[8:9]
	v_add_co_u32 v0, vcc_lo, v30, v11
	s_delay_alu instid0(VALU_DEP_4)
	v_lshlrev_b64 v[8:9], 1, v[13:14]
	v_add_co_ci_u32_e32 v1, vcc_lo, v31, v12, vcc_lo
	v_ashrrev_i32_e32 v11, 31, v10
	v_add_co_u32 v22, vcc_lo, v30, v2
	v_add_nc_u32_e32 v20, s2, v10
	v_add_co_ci_u32_e32 v23, vcc_lo, v31, v3, vcc_lo
	v_add_co_u32 v24, vcc_lo, v30, v8
	global_store_b128 v[0:1], v[4:7], off
	v_add_co_ci_u32_e32 v25, vcc_lo, v31, v9, vcc_lo
	ds_load_b128 v[0:3], v16 offset:256
	ds_load_b128 v[4:7], v16 offset:384
	v_lshlrev_b64 v[26:27], 1, v[10:11]
	ds_load_b128 v[8:11], v16 offset:512
	ds_load_b128 v[12:15], v16 offset:640
	;; [unrolled: 1-line block ×3, first 2 shown]
	v_add_nc_u32_e32 v28, s2, v20
	v_ashrrev_i32_e32 v21, 31, v20
	v_add_co_u32 v26, vcc_lo, v30, v26
	s_delay_alu instid0(VALU_DEP_3) | instskip(NEXT) | instid1(VALU_DEP_3)
	v_ashrrev_i32_e32 v29, 31, v28
	v_lshlrev_b64 v[20:21], 1, v[20:21]
	v_add_co_ci_u32_e32 v27, vcc_lo, v31, v27, vcc_lo
	s_delay_alu instid0(VALU_DEP_3) | instskip(NEXT) | instid1(VALU_DEP_3)
	v_lshlrev_b64 v[28:29], 1, v[28:29]
	v_add_co_u32 v20, vcc_lo, v30, v20
	s_delay_alu instid0(VALU_DEP_4) | instskip(NEXT) | instid1(VALU_DEP_3)
	v_add_co_ci_u32_e32 v21, vcc_lo, v31, v21, vcc_lo
	v_add_co_u32 v28, vcc_lo, v30, v28
	s_delay_alu instid0(VALU_DEP_4)
	v_add_co_ci_u32_e32 v29, vcc_lo, v31, v29, vcc_lo
	s_waitcnt lgkmcnt(4)
	global_store_b128 v[22:23], v[0:3], off
	s_waitcnt lgkmcnt(3)
	global_store_b128 v[24:25], v[4:7], off
	;; [unrolled: 2-line block ×5, first 2 shown]
	s_nop 0
	s_sendmsg sendmsg(MSG_DEALLOC_VGPRS)
	s_endpgm
	.section	.rodata,"a",@progbits
	.p2align	6, 0x0
	.amdhsa_kernel _Z39paged_attention_ll4mi_QKV_mfma16_kernelI14__hip_bfloat16hLN4vllm18Fp8KVCacheDataTypeE1ES0_Li32ELi128ELi256ELb1ELi14EL8MFMAType0EEvPKT_PKT0_S9_ifPKiSB_SB_iPKfiiiPfSE_PS4_PT2_iSD_SD_
		.amdhsa_group_segment_fixed_size 17472
		.amdhsa_private_segment_fixed_size 0
		.amdhsa_kernarg_size 400
		.amdhsa_user_sgpr_count 13
		.amdhsa_user_sgpr_dispatch_ptr 0
		.amdhsa_user_sgpr_queue_ptr 0
		.amdhsa_user_sgpr_kernarg_segment_ptr 1
		.amdhsa_user_sgpr_dispatch_id 0
		.amdhsa_user_sgpr_private_segment_size 0
		.amdhsa_wavefront_size32 1
		.amdhsa_uses_dynamic_stack 0
		.amdhsa_enable_private_segment 0
		.amdhsa_system_sgpr_workgroup_id_x 1
		.amdhsa_system_sgpr_workgroup_id_y 1
		.amdhsa_system_sgpr_workgroup_id_z 1
		.amdhsa_system_sgpr_workgroup_info 0
		.amdhsa_system_vgpr_workitem_id 0
		.amdhsa_next_free_vgpr 140
		.amdhsa_next_free_sgpr 36
		.amdhsa_reserve_vcc 1
		.amdhsa_float_round_mode_32 0
		.amdhsa_float_round_mode_16_64 0
		.amdhsa_float_denorm_mode_32 3
		.amdhsa_float_denorm_mode_16_64 3
		.amdhsa_dx10_clamp 1
		.amdhsa_ieee_mode 1
		.amdhsa_fp16_overflow 0
		.amdhsa_workgroup_processor_mode 1
		.amdhsa_memory_ordered 1
		.amdhsa_forward_progress 0
		.amdhsa_shared_vgpr_count 0
		.amdhsa_exception_fp_ieee_invalid_op 0
		.amdhsa_exception_fp_denorm_src 0
		.amdhsa_exception_fp_ieee_div_zero 0
		.amdhsa_exception_fp_ieee_overflow 0
		.amdhsa_exception_fp_ieee_underflow 0
		.amdhsa_exception_fp_ieee_inexact 0
		.amdhsa_exception_int_div_zero 0
	.end_amdhsa_kernel
	.section	.text._Z39paged_attention_ll4mi_QKV_mfma16_kernelI14__hip_bfloat16hLN4vllm18Fp8KVCacheDataTypeE1ES0_Li32ELi128ELi256ELb1ELi14EL8MFMAType0EEvPKT_PKT0_S9_ifPKiSB_SB_iPKfiiiPfSE_PS4_PT2_iSD_SD_,"axG",@progbits,_Z39paged_attention_ll4mi_QKV_mfma16_kernelI14__hip_bfloat16hLN4vllm18Fp8KVCacheDataTypeE1ES0_Li32ELi128ELi256ELb1ELi14EL8MFMAType0EEvPKT_PKT0_S9_ifPKiSB_SB_iPKfiiiPfSE_PS4_PT2_iSD_SD_,comdat
.Lfunc_end1899:
	.size	_Z39paged_attention_ll4mi_QKV_mfma16_kernelI14__hip_bfloat16hLN4vllm18Fp8KVCacheDataTypeE1ES0_Li32ELi128ELi256ELb1ELi14EL8MFMAType0EEvPKT_PKT0_S9_ifPKiSB_SB_iPKfiiiPfSE_PS4_PT2_iSD_SD_, .Lfunc_end1899-_Z39paged_attention_ll4mi_QKV_mfma16_kernelI14__hip_bfloat16hLN4vllm18Fp8KVCacheDataTypeE1ES0_Li32ELi128ELi256ELb1ELi14EL8MFMAType0EEvPKT_PKT0_S9_ifPKiSB_SB_iPKfiiiPfSE_PS4_PT2_iSD_SD_
                                        ; -- End function
	.section	.AMDGPU.csdata,"",@progbits
; Kernel info:
; codeLenInByte = 9052
; NumSgprs: 38
; NumVgprs: 140
; ScratchSize: 0
; MemoryBound: 0
; FloatMode: 240
; IeeeMode: 1
; LDSByteSize: 17472 bytes/workgroup (compile time only)
; SGPRBlocks: 4
; VGPRBlocks: 17
; NumSGPRsForWavesPerEU: 38
; NumVGPRsForWavesPerEU: 140
; Occupancy: 10
; WaveLimiterHint : 1
; COMPUTE_PGM_RSRC2:SCRATCH_EN: 0
; COMPUTE_PGM_RSRC2:USER_SGPR: 13
; COMPUTE_PGM_RSRC2:TRAP_HANDLER: 0
; COMPUTE_PGM_RSRC2:TGID_X_EN: 1
; COMPUTE_PGM_RSRC2:TGID_Y_EN: 1
; COMPUTE_PGM_RSRC2:TGID_Z_EN: 1
; COMPUTE_PGM_RSRC2:TIDIG_COMP_CNT: 0
	.section	.text._Z39paged_attention_ll4mi_QKV_mfma16_kernelI14__hip_bfloat16hLN4vllm18Fp8KVCacheDataTypeE1ES0_Li32ELi128ELi256ELb1ELi15EL8MFMAType0EEvPKT_PKT0_S9_ifPKiSB_SB_iPKfiiiPfSE_PS4_PT2_iSD_SD_,"axG",@progbits,_Z39paged_attention_ll4mi_QKV_mfma16_kernelI14__hip_bfloat16hLN4vllm18Fp8KVCacheDataTypeE1ES0_Li32ELi128ELi256ELb1ELi15EL8MFMAType0EEvPKT_PKT0_S9_ifPKiSB_SB_iPKfiiiPfSE_PS4_PT2_iSD_SD_,comdat
	.protected	_Z39paged_attention_ll4mi_QKV_mfma16_kernelI14__hip_bfloat16hLN4vllm18Fp8KVCacheDataTypeE1ES0_Li32ELi128ELi256ELb1ELi15EL8MFMAType0EEvPKT_PKT0_S9_ifPKiSB_SB_iPKfiiiPfSE_PS4_PT2_iSD_SD_ ; -- Begin function _Z39paged_attention_ll4mi_QKV_mfma16_kernelI14__hip_bfloat16hLN4vllm18Fp8KVCacheDataTypeE1ES0_Li32ELi128ELi256ELb1ELi15EL8MFMAType0EEvPKT_PKT0_S9_ifPKiSB_SB_iPKfiiiPfSE_PS4_PT2_iSD_SD_
	.globl	_Z39paged_attention_ll4mi_QKV_mfma16_kernelI14__hip_bfloat16hLN4vllm18Fp8KVCacheDataTypeE1ES0_Li32ELi128ELi256ELb1ELi15EL8MFMAType0EEvPKT_PKT0_S9_ifPKiSB_SB_iPKfiiiPfSE_PS4_PT2_iSD_SD_
	.p2align	8
	.type	_Z39paged_attention_ll4mi_QKV_mfma16_kernelI14__hip_bfloat16hLN4vllm18Fp8KVCacheDataTypeE1ES0_Li32ELi128ELi256ELb1ELi15EL8MFMAType0EEvPKT_PKT0_S9_ifPKiSB_SB_iPKfiiiPfSE_PS4_PT2_iSD_SD_,@function
_Z39paged_attention_ll4mi_QKV_mfma16_kernelI14__hip_bfloat16hLN4vllm18Fp8KVCacheDataTypeE1ES0_Li32ELi128ELi256ELb1ELi15EL8MFMAType0EEvPKT_PKT0_S9_ifPKiSB_SB_iPKfiiiPfSE_PS4_PT2_iSD_SD_: ; @_Z39paged_attention_ll4mi_QKV_mfma16_kernelI14__hip_bfloat16hLN4vllm18Fp8KVCacheDataTypeE1ES0_Li32ELi128ELi256ELb1ELi15EL8MFMAType0EEvPKT_PKT0_S9_ifPKiSB_SB_iPKfiiiPfSE_PS4_PT2_iSD_SD_
; %bb.0:
	s_load_b64 s[4:5], s[0:1], 0x30
	s_mov_b32 s30, s13
	s_waitcnt lgkmcnt(0)
	s_cmp_lg_u64 s[4:5], 0
	s_cselect_b32 s13, -1, 0
	s_ashr_i32 s31, s30, 31
	s_cmp_eq_u64 s[4:5], 0
	s_cbranch_scc1 .LBB1900_3
; %bb.1:
	s_lshl_b64 s[2:3], s[30:31], 2
	s_delay_alu instid0(SALU_CYCLE_1) | instskip(SKIP_4) | instid1(SALU_CYCLE_1)
	s_add_u32 s2, s4, s2
	s_addc_u32 s3, s5, s3
	s_load_b64 s[2:3], s[2:3], 0x0
	s_waitcnt lgkmcnt(0)
	s_sub_i32 s2, s3, s2
	s_cmp_eq_u32 s2, 1
	s_cselect_b32 s2, -1, 0
	s_delay_alu instid0(SALU_CYCLE_1)
	s_and_not1_b32 vcc_lo, exec_lo, s2
	s_cbranch_vccz .LBB1900_4
.LBB1900_2:
	s_nop 0
	s_sendmsg sendmsg(MSG_DEALLOC_VGPRS)
	s_endpgm
.LBB1900_3:
.LBB1900_4:
	s_load_b64 s[2:3], s[0:1], 0x28
	s_lshl_b64 s[6:7], s[30:31], 2
	s_waitcnt lgkmcnt(0)
	s_add_u32 s2, s2, s6
	s_addc_u32 s3, s3, s7
	s_lshl_b32 s12, s14, 8
	s_load_b32 s17, s[2:3], 0x0
	s_waitcnt lgkmcnt(0)
	s_cmp_ge_i32 s12, s17
	s_cbranch_scc1 .LBB1900_2
; %bb.5:
	s_clause 0x1
	s_load_b128 s[8:11], s[0:1], 0x8
	s_load_b64 s[2:3], s[0:1], 0x20
	s_and_not1_b32 vcc_lo, exec_lo, s13
	s_cbranch_vccnz .LBB1900_7
; %bb.6:
	s_add_u32 s4, s4, s6
	s_addc_u32 s5, s5, s7
	s_load_b32 s13, s[4:5], 0x0
	s_branch .LBB1900_8
.LBB1900_7:
	s_mov_b32 s13, s30
.LBB1900_8:
	s_load_b128 s[4:7], s[0:1], 0x48
	v_and_b32_e32 v65, 15, v0
	v_lshrrev_b32_e32 v66, 5, v0
	v_bfe_u32 v74, v0, 4, 1
	v_and_b32_e32 v67, 31, v0
	v_and_b32_e32 v75, 1, v0
	v_lshlrev_b32_e32 v2, 3, v65
	s_mul_i32 s31, s15, 15
	v_lshl_or_b32 v1, v66, 1, v74
	s_waitcnt lgkmcnt(0)
	s_mov_b32 s7, exec_lo
	v_lshlrev_b32_e32 v73, 1, v2
	s_delay_alu instid0(VALU_DEP_2)
	v_cmpx_gt_u32_e32 15, v1
	s_cbranch_execz .LBB1900_10
; %bb.9:
	s_load_b64 s[18:19], s[0:1], 0x0
	v_add_lshl_u32 v2, v1, s31, 7
	s_mul_hi_i32 s21, s13, s4
	s_mul_i32 s20, s13, s4
	v_lshlrev_b32_e32 v6, 10, v65
	s_lshl_b64 s[20:21], s[20:21], 1
	v_ashrrev_i32_e32 v3, 31, v2
	v_lshlrev_b32_e32 v1, 6, v1
	v_lshlrev_b32_e32 v7, 10, v75
	v_and_b32_e32 v6, 0x3800, v6
	s_delay_alu instid0(VALU_DEP_4) | instskip(NEXT) | instid1(VALU_DEP_2)
	v_lshlrev_b64 v[2:3], 1, v[2:3]
	v_or3_b32 v1, v6, v7, v1
	s_waitcnt lgkmcnt(0)
	s_add_u32 s4, s18, s20
	s_addc_u32 s13, s19, s21
	s_delay_alu instid0(VALU_DEP_2) | instskip(SKIP_1) | instid1(VALU_DEP_2)
	v_add_co_u32 v2, vcc_lo, s4, v2
	v_add_co_ci_u32_e32 v3, vcc_lo, s13, v3, vcc_lo
	v_add_co_u32 v2, vcc_lo, v2, v73
	s_delay_alu instid0(VALU_DEP_2)
	v_add_co_ci_u32_e32 v3, vcc_lo, 0, v3, vcc_lo
	global_load_b128 v[2:5], v[2:3], off
	s_waitcnt vmcnt(0)
	ds_store_b128 v1, v[2:5]
.LBB1900_10:
	s_or_b32 exec_lo, exec_lo, s7
	v_and_b32_e32 v1, 0xef, v0
	s_add_i32 s4, s17, 31
	s_clause 0x1
	s_load_b32 s7, s[0:1], 0x38
	s_load_b32 s18, s[0:1], 0x1c
	s_ashr_i32 s13, s4, 31
	v_add_nc_u32_e32 v1, s12, v1
	s_lshr_b32 s13, s13, 27
	s_waitcnt lgkmcnt(0)
	s_add_i32 s4, s4, s13
	s_barrier
	v_ashrrev_i32_e32 v2, 31, v1
	v_or_b32_e32 v3, 16, v1
	s_ashr_i32 s4, s4, 5
	v_cmp_gt_i32_e32 vcc_lo, s17, v1
	s_add_i32 s4, s4, -1
	v_lshrrev_b32_e32 v2, 27, v2
	buffer_gl0_inv
	s_mul_i32 s15, s15, s6
	v_add_nc_u32_e32 v4, v1, v2
	s_mul_i32 s20, s30, s7
	s_delay_alu instid0(SALU_CYCLE_1) | instskip(NEXT) | instid1(VALU_DEP_1)
	s_ashr_i32 s21, s20, 31
	v_ashrrev_i32_e32 v4, 5, v4
	v_add_nc_u32_e32 v2, v3, v2
	s_lshl_b64 s[20:21], s[20:21], 2
	s_delay_alu instid0(SALU_CYCLE_1) | instskip(NEXT) | instid1(VALU_DEP_2)
	s_add_u32 s13, s2, s20
	v_cndmask_b32_e32 v1, s4, v4, vcc_lo
	s_delay_alu instid0(VALU_DEP_2)
	v_ashrrev_i32_e32 v2, 5, v2
	v_cmp_gt_i32_e32 vcc_lo, s17, v3
	s_addc_u32 s16, s3, s21
	s_ashr_i32 s19, s15, 31
	s_add_u32 s2, s8, s15
	s_addc_u32 s3, s9, s19
	v_cndmask_b32_e32 v3, s4, v2, vcc_lo
	v_ashrrev_i32_e32 v2, 31, v1
	s_lshl_b32 s6, s14, 3
	s_delay_alu instid0(SALU_CYCLE_1) | instskip(NEXT) | instid1(VALU_DEP_2)
	s_ashr_i32 s7, s6, 31
	v_ashrrev_i32_e32 v4, 31, v3
	s_delay_alu instid0(VALU_DEP_2) | instskip(SKIP_1) | instid1(SALU_CYCLE_1)
	v_lshlrev_b64 v[1:2], 2, v[1:2]
	s_lshl_b64 s[6:7], s[6:7], 2
	s_add_u32 s6, s13, s6
	s_delay_alu instid0(VALU_DEP_2) | instskip(SKIP_1) | instid1(VALU_DEP_2)
	v_lshlrev_b64 v[3:4], 2, v[3:4]
	s_addc_u32 s7, s16, s7
	v_add_co_u32 v1, vcc_lo, s13, v1
	v_add_co_ci_u32_e32 v2, vcc_lo, s16, v2, vcc_lo
	s_delay_alu instid0(VALU_DEP_3) | instskip(NEXT) | instid1(VALU_DEP_4)
	v_add_co_u32 v3, vcc_lo, s13, v3
	v_add_co_ci_u32_e32 v4, vcc_lo, s16, v4, vcc_lo
	s_clause 0x1
	global_load_b32 v5, v[1:2], off
	global_load_b32 v6, v[3:4], off
	s_or_b32 s8, s12, 32
	s_delay_alu instid0(SALU_CYCLE_1) | instskip(SKIP_2) | instid1(SALU_CYCLE_1)
	s_ashr_i32 s9, s8, 5
	s_cmp_lt_i32 s8, s17
	s_cselect_b32 s8, s9, s4
	s_ashr_i32 s9, s8, 31
	s_delay_alu instid0(SALU_CYCLE_1) | instskip(NEXT) | instid1(SALU_CYCLE_1)
	s_lshl_b64 s[8:9], s[8:9], 2
	s_add_u32 s8, s13, s8
	s_addc_u32 s9, s16, s9
	s_or_b32 s20, s12, 64
	s_delay_alu instid0(SALU_CYCLE_1) | instskip(SKIP_2) | instid1(SALU_CYCLE_1)
	s_ashr_i32 s21, s20, 5
	s_cmp_lt_i32 s20, s17
	s_cselect_b32 s20, s21, s4
	s_ashr_i32 s21, s20, 31
	s_delay_alu instid0(SALU_CYCLE_1) | instskip(NEXT) | instid1(SALU_CYCLE_1)
	s_lshl_b64 s[20:21], s[20:21], 2
	s_add_u32 s20, s13, s20
	s_addc_u32 s21, s16, s21
	;; [unrolled: 10-line block ×5, first 2 shown]
	s_clause 0x5
	s_load_b32 s28, s[6:7], 0x0
	s_load_b32 s8, s[8:9], 0x0
	;; [unrolled: 1-line block ×6, first 2 shown]
	s_mov_b32 s20, 0
	s_delay_alu instid0(SALU_CYCLE_1)
	s_mov_b32 s21, s20
	s_mov_b32 s22, s20
	;; [unrolled: 1-line block ×7, first 2 shown]
	s_delay_alu instid0(SALU_CYCLE_1)
	v_dual_mov_b32 v107, s27 :: v_dual_mov_b32 v100, s20
	v_mov_b32_e32 v106, s26
	v_dual_mov_b32 v104, s24 :: v_dual_mov_b32 v103, s23
	v_dual_mov_b32 v101, s21 :: v_dual_mov_b32 v102, s22
	s_waitcnt vmcnt(1)
	v_mad_i64_i32 v[1:2], null, v5, s5, s[2:3]
	v_lshlrev_b32_e32 v5, 4, v65
	s_waitcnt vmcnt(0)
	v_mad_i64_i32 v[3:4], null, v6, s5, s[2:3]
	s_or_b32 s2, s12, 0xc0
	s_delay_alu instid0(SALU_CYCLE_1) | instskip(NEXT) | instid1(VALU_DEP_3)
	s_ashr_i32 s3, s2, 5
	v_add_co_u32 v33, vcc_lo, v1, v5
	s_delay_alu instid0(VALU_DEP_4) | instskip(NEXT) | instid1(VALU_DEP_3)
	v_add_co_ci_u32_e32 v34, vcc_lo, 0, v2, vcc_lo
	v_add_co_u32 v35, vcc_lo, v3, v5
	s_delay_alu instid0(VALU_DEP_4)
	v_add_co_ci_u32_e32 v36, vcc_lo, 0, v4, vcc_lo
	s_clause 0xf
	global_load_b128 v[1:4], v[33:34], off
	global_load_b128 v[5:8], v[33:34], off offset:512
	global_load_b128 v[9:12], v[35:36], off offset:256
	global_load_b128 v[13:16], v[35:36], off offset:768
	global_load_b128 v[17:20], v[33:34], off offset:1024
	global_load_b128 v[21:24], v[33:34], off offset:1536
	global_load_b128 v[25:28], v[35:36], off offset:1280
	global_load_b128 v[29:32], v[35:36], off offset:1792
	global_load_b128 v[57:60], v[33:34], off offset:2048
	global_load_b128 v[61:64], v[33:34], off offset:2560
	global_load_b128 v[76:79], v[35:36], off offset:2304
	global_load_b128 v[80:83], v[35:36], off offset:2816
	global_load_b128 v[84:87], v[33:34], off offset:3072
	global_load_b128 v[88:91], v[33:34], off offset:3584
	global_load_b128 v[92:95], v[35:36], off offset:3328
	global_load_b128 v[96:99], v[35:36], off offset:3840
	s_cmp_lt_i32 s2, s17
	v_cmp_ne_u32_e32 vcc_lo, 15, v65
	s_cselect_b32 s2, s3, s4
	v_lshlrev_b32_e32 v34, 5, v65
	s_ashr_i32 s3, s2, 31
	s_delay_alu instid0(SALU_CYCLE_1) | instskip(SKIP_4) | instid1(VALU_DEP_1)
	s_lshl_b64 s[2:3], s[2:3], 2
	v_cndmask_b32_e32 v33, 0, v65, vcc_lo
	s_add_u32 s2, s13, s2
	s_addc_u32 s3, s16, s3
	s_or_b32 s6, s12, 0xe0
	v_dual_mov_b32 v105, s25 :: v_dual_lshlrev_b32 v72, 6, v33
	s_ashr_i32 s7, s6, 5
	s_cmp_lt_i32 s6, s17
	v_lshl_or_b32 v41, v66, 9, v34
	s_cselect_b32 s6, s7, s4
	ds_load_b128 v[33:36], v72
	ds_load_b128 v[37:40], v72 offset:1024
	s_ashr_i32 s7, s6, 31
	ds_load_b128 v[108:111], v72 offset:2048
	ds_load_b128 v[112:115], v72 offset:3072
	s_lshl_b64 s[6:7], s[6:7], 2
	s_load_b32 s4, s[2:3], 0x0
	s_add_u32 s2, s13, s6
	s_addc_u32 s3, s16, s7
	ds_load_b128 v[116:119], v72 offset:4096
	ds_load_b128 v[120:123], v72 offset:5120
	s_load_b32 s2, s[2:3], 0x0
	s_add_u32 s6, s10, s15
	s_addc_u32 s7, s11, s19
	v_add_co_u32 v68, s6, s6, v41
	s_delay_alu instid0(VALU_DEP_1) | instskip(SKIP_1) | instid1(VALU_DEP_1)
	v_add_co_ci_u32_e64 v69, null, s7, 0, s6
	s_waitcnt lgkmcnt(0)
	v_mad_i64_i32 v[41:42], null, s28, s5, v[68:69]
	v_mad_i64_i32 v[70:71], null, s9, s5, v[68:69]
	;; [unrolled: 1-line block ×7, first 2 shown]
	s_clause 0x3
	global_load_b128 v[49:52], v[41:42], off
	global_load_b128 v[53:56], v[41:42], off offset:16
	global_load_b128 v[41:44], v[45:46], off
	global_load_b128 v[45:48], v[45:46], off offset:16
	s_waitcnt vmcnt(18)
	v_wmma_f32_16x16x16_bf16 v[124:131], v[1:8], v[33:40], v[100:107]
	s_waitcnt vmcnt(16)
	v_wmma_f32_16x16x16_bf16 v[100:107], v[9:16], v[33:40], v[100:107]
	s_clause 0x1
	global_load_b128 v[33:36], v[70:71], off
	global_load_b128 v[37:40], v[70:71], off offset:16
	v_mad_i64_i32 v[70:71], null, s2, s5, v[68:69]
	s_waitcnt vmcnt(16)
	v_wmma_f32_16x16x16_bf16 v[124:131], v[17:24], v[108:115], v[124:131]
	s_waitcnt vmcnt(14)
	v_wmma_f32_16x16x16_bf16 v[100:107], v[25:32], v[108:115], v[100:107]
	s_clause 0x7
	global_load_b128 v[25:28], v[132:133], off
	global_load_b128 v[29:32], v[132:133], off offset:16
	global_load_b128 v[1:4], v[134:135], off
	global_load_b128 v[5:8], v[134:135], off offset:16
	;; [unrolled: 2-line block ×4, first 2 shown]
	s_waitcnt vmcnt(20)
	v_wmma_f32_16x16x16_bf16 v[124:131], v[57:64], v[116:123], v[124:131]
	s_clause 0x1
	global_load_b128 v[57:60], v[70:71], off
	global_load_b128 v[61:64], v[70:71], off offset:16
	s_waitcnt vmcnt(20)
	v_wmma_f32_16x16x16_bf16 v[100:107], v[76:83], v[116:123], v[100:107]
	ds_load_b128 v[76:79], v72 offset:6144
	ds_load_b128 v[80:83], v72 offset:7168
	v_and_b32_e32 v68, 0xe0, v0
	v_mbcnt_lo_u32_b32 v69, -1, 0
	s_waitcnt vmcnt(0) lgkmcnt(0)
	s_barrier
	buffer_gl0_inv
	v_add_nc_u32_e32 v68, s12, v68
	v_xor_b32_e32 v70, 16, v69
	s_delay_alu instid0(VALU_DEP_2) | instskip(NEXT) | instid1(VALU_DEP_2)
	v_or_b32_e32 v68, v68, v74
	v_cmp_gt_i32_e32 vcc_lo, 32, v70
	s_delay_alu instid0(VALU_DEP_2)
	v_or_b32_e32 v71, 4, v68
	v_or_b32_e32 v72, 6, v68
	v_cmp_gt_i32_e64 s2, s17, v68
	v_or_b32_e32 v108, 8, v68
	v_wmma_f32_16x16x16_bf16 v[124:131], v[84:91], v[76:83], v[124:131]
	v_cndmask_b32_e32 v69, v69, v70, vcc_lo
	v_or_b32_e32 v70, 2, v68
	v_wmma_f32_16x16x16_bf16 v[100:107], v[92:99], v[76:83], v[100:107]
	v_or_b32_e32 v109, 10, v68
	v_dual_mul_f32 v78, s18, v131 :: v_dual_mul_f32 v83, s18, v126
	v_dual_mul_f32 v92, s18, v125 :: v_dual_mul_f32 v93, s18, v124
	s_delay_alu instid0(VALU_DEP_4) | instskip(SKIP_2) | instid1(VALU_DEP_4)
	v_mul_f32_e32 v94, s18, v107
	v_cmp_gt_i32_e32 vcc_lo, s17, v70
	v_dual_mul_f32 v81, s18, v128 :: v_dual_mul_f32 v82, s18, v127
	v_cndmask_b32_e64 v93, 0xff7fffff, v93, s2
	v_cmp_gt_i32_e64 s3, s17, v71
	v_cndmask_b32_e32 v92, 0xff7fffff, v92, vcc_lo
	v_cmp_gt_i32_e64 s4, s17, v72
	v_or_b32_e32 v84, 12, v68
	v_or_b32_e32 v85, 14, v68
	v_dual_mul_f32 v79, s18, v130 :: v_dual_mul_f32 v80, s18, v129
	v_cndmask_b32_e64 v71, 0xff7fffff, v83, s3
	v_cndmask_b32_e64 v72, 0xff7fffff, v82, s4
	v_max3_f32 v82, v93, 0xff7fffff, v92
	v_cmp_gt_i32_e64 s5, s17, v108
	v_cmp_gt_i32_e64 s6, s17, v109
	v_or_b32_e32 v86, 16, v68
	v_or_b32_e32 v87, 18, v68
	v_max3_f32 v71, v82, v71, v72
	v_cndmask_b32_e64 v81, 0xff7fffff, v81, s5
	v_cndmask_b32_e64 v80, 0xff7fffff, v80, s6
	v_cmp_gt_i32_e64 s7, s17, v84
	v_cmp_gt_i32_e64 s8, s17, v85
	v_or_b32_e32 v88, 20, v68
	v_or_b32_e32 v89, 22, v68
	;; [unrolled: 1-line block ×6, first 2 shown]
	v_dual_mul_f32 v99, s18, v102 :: v_dual_mul_f32 v70, s18, v101
	v_mul_f32_e32 v68, s18, v100
	v_cndmask_b32_e64 v72, 0xff7fffff, v79, s7
	v_cndmask_b32_e64 v78, 0xff7fffff, v78, s8
	v_max3_f32 v71, v71, v81, v80
	v_cmp_gt_i32_e64 s9, s17, v86
	v_cmp_gt_i32_e64 s10, s17, v87
	v_dual_mul_f32 v97, s18, v104 :: v_dual_mul_f32 v98, s18, v103
	s_delay_alu instid0(VALU_DEP_4) | instskip(SKIP_1) | instid1(VALU_DEP_4)
	v_max3_f32 v71, v71, v72, v78
	v_cmp_gt_i32_e64 s11, s17, v88
	v_cndmask_b32_e64 v70, 0xff7fffff, v70, s10
	v_cmp_gt_i32_e64 s12, s17, v89
	v_lshlrev_b32_e32 v89, 2, v69
	v_cndmask_b32_e64 v68, 0xff7fffff, v68, s9
	v_dual_mul_f32 v95, s18, v106 :: v_dual_mul_f32 v96, s18, v105
	v_cndmask_b32_e64 v72, 0xff7fffff, v99, s11
	v_cndmask_b32_e64 v78, 0xff7fffff, v98, s12
	s_delay_alu instid0(VALU_DEP_4)
	v_max3_f32 v68, v71, v68, v70
	v_cmp_gt_i32_e64 s13, s17, v90
	v_cmp_gt_i32_e64 s15, s17, v91
	;; [unrolled: 1-line block ×4, first 2 shown]
	v_max3_f32 v68, v68, v72, v78
	v_cndmask_b32_e64 v70, 0xff7fffff, v97, s13
	v_cndmask_b32_e64 v71, 0xff7fffff, v96, s15
	;; [unrolled: 1-line block ×4, first 2 shown]
	s_delay_alu instid0(VALU_DEP_3) | instskip(NEXT) | instid1(VALU_DEP_1)
	v_max3_f32 v68, v68, v70, v71
	v_max3_f32 v68, v68, v72, v76
	ds_bpermute_b32 v69, v89, v68
	s_waitcnt lgkmcnt(0)
	v_max_f32_e32 v69, v69, v69
	s_delay_alu instid0(VALU_DEP_1) | instskip(NEXT) | instid1(VALU_DEP_1)
	v_max_f32_e32 v68, v68, v69
	v_fma_f32 v71, s18, v126, -v68
	s_delay_alu instid0(VALU_DEP_1)
	v_mul_f32_e32 v71, 0x3fb8aa3b, v71
	v_fma_f32 v69, s18, v124, -v68
	v_fma_f32 v70, s18, v125, -v68
	;; [unrolled: 1-line block ×4, first 2 shown]
	v_exp_f32_e32 v71, v71
	s_delay_alu instid0(VALU_DEP_3) | instskip(SKIP_2) | instid1(VALU_DEP_3)
	v_dual_mul_f32 v69, 0x3fb8aa3b, v69 :: v_dual_mul_f32 v70, 0x3fb8aa3b, v70
	v_fma_f32 v78, s18, v130, -v68
	v_fma_f32 v81, s18, v105, -v68
	v_exp_f32_e32 v69, v69
	s_delay_alu instid0(VALU_DEP_3) | instskip(SKIP_1) | instid1(VALU_DEP_2)
	v_exp_f32_e32 v70, v70
	v_mul_f32_e32 v77, 0x3fb8aa3b, v76
	v_mul_f32_e32 v81, 0x3fb8aa3b, v81
	s_delay_alu instid0(TRANS32_DEP_3) | instskip(SKIP_1) | instid1(VALU_DEP_3)
	v_cndmask_b32_e64 v83, 0, v71, s3
	v_fma_f32 v71, s18, v131, -v68
	v_exp_f32_e32 v81, v81
	s_delay_alu instid0(TRANS32_DEP_3) | instskip(NEXT) | instid1(TRANS32_DEP_2)
	v_cndmask_b32_e64 v80, 0, v69, s2
	v_cndmask_b32_e32 v76, 0, v70, vcc_lo
	v_fma_f32 v69, s18, v129, -v68
	v_mul_f32_e32 v72, 0x3fb8aa3b, v72
	v_exp_f32_e32 v77, v77
	v_dual_add_f32 v70, 0, v80 :: v_dual_mul_f32 v71, 0x3fb8aa3b, v71
	s_delay_alu instid0(VALU_DEP_3) | instskip(NEXT) | instid1(VALU_DEP_3)
	v_mul_f32_e32 v69, 0x3fb8aa3b, v69
	v_exp_f32_e32 v72, v72
	v_cmp_gt_u32_e64 s2, 16, v67
	s_delay_alu instid0(VALU_DEP_3) | instskip(NEXT) | instid1(VALU_DEP_2)
	v_exp_f32_e32 v71, v71
	v_exp_f32_e32 v69, v69
	v_cndmask_b32_e64 v86, 0, v77, s5
	v_fma_f32 v77, s18, v101, -v68
	v_add_f32_e32 v70, v70, v76
	s_delay_alu instid0(TRANS32_DEP_3) | instskip(SKIP_1) | instid1(VALU_DEP_3)
	v_cndmask_b32_e64 v85, 0, v72, s4
	v_fma_f32 v72, s18, v100, -v68
	v_dual_mul_f32 v77, 0x3fb8aa3b, v77 :: v_dual_add_f32 v70, v70, v83
	s_delay_alu instid0(TRANS32_DEP_2) | instskip(SKIP_1) | instid1(TRANS32_DEP_1)
	v_cndmask_b32_e64 v88, 0, v71, s8
	v_fma_f32 v71, s18, v104, -v68
	v_cndmask_b32_e64 v87, 0, v69, s6
	s_delay_alu instid0(VALU_DEP_4) | instskip(NEXT) | instid1(VALU_DEP_2)
	v_exp_f32_e32 v77, v77
	v_dual_add_f32 v70, v70, v85 :: v_dual_mul_f32 v71, 0x3fb8aa3b, v71
	s_delay_alu instid0(VALU_DEP_1) | instskip(SKIP_2) | instid1(VALU_DEP_3)
	v_dual_mul_f32 v72, 0x3fb8aa3b, v72 :: v_dual_add_f32 v69, v70, v86
	v_mul_f32_e32 v78, 0x3fb8aa3b, v78
	v_fma_f32 v70, s18, v102, -v68
	v_exp_f32_e32 v72, v72
	v_exp_f32_e32 v82, v71
	v_add_f32_e32 v69, v69, v87
	v_exp_f32_e32 v78, v78
	v_mul_f32_e32 v70, 0x3fb8aa3b, v70
	s_delay_alu instid0(VALU_DEP_1) | instskip(SKIP_4) | instid1(VALU_DEP_2)
	v_exp_f32_e32 v79, v70
	v_cndmask_b32_e64 v70, 0, v72, s9
	s_waitcnt_depctr 0xfff
	v_cndmask_b32_e64 v84, 0, v78, s7
	v_fma_f32 v78, s18, v103, -v68
	v_add_f32_e32 v69, v69, v84
	v_cndmask_b32_e64 v71, 0, v79, s11
	s_delay_alu instid0(VALU_DEP_2) | instskip(SKIP_2) | instid1(VALU_DEP_1)
	v_add_f32_e32 v72, v69, v88
	v_cndmask_b32_e64 v69, 0, v77, s10
	v_fma_f32 v77, s18, v106, -v68
	v_dual_mul_f32 v77, 0x3fb8aa3b, v77 :: v_dual_add_f32 v72, v72, v70
	v_mul_f32_e32 v78, 0x3fb8aa3b, v78
	s_delay_alu instid0(VALU_DEP_2) | instskip(NEXT) | instid1(VALU_DEP_2)
	v_exp_f32_e32 v90, v77
	v_add_f32_e32 v79, v72, v69
	s_delay_alu instid0(VALU_DEP_2)
	v_exp_f32_e32 v78, v78
	v_cndmask_b32_e64 v77, 0, v82, s13
	s_waitcnt_depctr 0xfff
	v_cndmask_b32_e64 v72, 0, v78, s12
	v_add_f32_e32 v78, v79, v71
	v_fma_f32 v79, s18, v107, -v68
	s_delay_alu instid0(VALU_DEP_1) | instskip(SKIP_1) | instid1(VALU_DEP_2)
	v_dual_add_f32 v82, v78, v72 :: v_dual_mul_f32 v79, 0x3fb8aa3b, v79
	v_cndmask_b32_e64 v78, 0, v81, s15
	v_add_f32_e32 v81, v82, v77
	s_delay_alu instid0(VALU_DEP_3) | instskip(SKIP_1) | instid1(VALU_DEP_2)
	v_exp_f32_e32 v82, v79
	v_cndmask_b32_e64 v79, 0, v90, s16
	v_add_f32_e32 v81, v81, v78
	s_delay_alu instid0(VALU_DEP_1) | instskip(SKIP_2) | instid1(VALU_DEP_1)
	v_add_f32_e32 v90, v81, v79
	s_waitcnt_depctr 0xfff
	v_cndmask_b32_e64 v81, 0, v82, s17
	v_add_f32_e32 v82, v90, v81
	ds_bpermute_b32 v89, v89, v82
	s_and_saveexec_b32 s3, s2
	s_cbranch_execz .LBB1900_12
; %bb.11:
	v_mul_u32_u24_e32 v67, 0x44, v66
	s_delay_alu instid0(VALU_DEP_1) | instskip(SKIP_1) | instid1(VALU_DEP_1)
	v_lshl_add_u32 v67, v65, 2, v67
	s_waitcnt lgkmcnt(0)
	v_dual_add_f32 v82, v82, v89 :: v_dual_add_nc_u32 v67, 0x4000, v67
	ds_store_2addr_b32 v67, v68, v82 offset1:136
.LBB1900_12:
	s_or_b32 exec_lo, exec_lo, s3
	v_lshlrev_b32_e32 v67, 2, v65
	s_waitcnt lgkmcnt(0)
	s_barrier
	buffer_gl0_inv
	v_cmp_eq_u32_e32 vcc_lo, 1, v66
	v_add_nc_u32_e32 v82, 0x4000, v67
	v_cmp_eq_u32_e64 s3, 2, v66
	v_cmp_eq_u32_e64 s5, 7, v66
	ds_load_2addr_b32 v[89:90], v82 offset1:17
	ds_load_2addr_b32 v[91:92], v82 offset0:34 offset1:51
	ds_load_2addr_b32 v[93:94], v82 offset0:68 offset1:85
	;; [unrolled: 1-line block ×4, first 2 shown]
	s_waitcnt lgkmcnt(4)
	v_max3_f32 v67, v89, 0xff7fffff, v90
	s_waitcnt lgkmcnt(3)
	s_delay_alu instid0(VALU_DEP_1) | instskip(SKIP_1) | instid1(VALU_DEP_1)
	v_max3_f32 v67, v67, v91, v92
	s_waitcnt lgkmcnt(2)
	v_max3_f32 v67, v67, v93, v94
	s_waitcnt lgkmcnt(1)
	s_delay_alu instid0(VALU_DEP_1) | instskip(NEXT) | instid1(VALU_DEP_1)
	v_max3_f32 v67, v67, v95, v96
	v_sub_f32_e32 v93, v93, v67
	s_delay_alu instid0(VALU_DEP_1) | instskip(NEXT) | instid1(VALU_DEP_1)
	v_dual_sub_f32 v68, v89, v67 :: v_dual_mul_f32 v103, 0x3fb8aa3b, v93
	v_mul_f32_e32 v68, 0x3fb8aa3b, v68
	s_delay_alu instid0(VALU_DEP_1)
	v_exp_f32_e32 v100, v68
	v_sub_f32_e32 v68, v92, v67
	v_sub_f32_e32 v99, v90, v67
	ds_load_2addr_b32 v[89:90], v82 offset0:170 offset1:187
	v_dual_mul_f32 v102, 0x3fb8aa3b, v68 :: v_dual_mul_f32 v99, 0x3fb8aa3b, v99
	s_waitcnt lgkmcnt(1)
	v_fma_f32 v68, v100, v97, 0
	s_delay_alu instid0(VALU_DEP_2) | instskip(NEXT) | instid1(VALU_DEP_2)
	v_exp_f32_e32 v102, v102
	v_exp_f32_e32 v99, v99
	s_waitcnt_depctr 0xfff
	v_fmac_f32_e32 v68, v99, v98
	v_sub_f32_e32 v91, v91, v67
	s_delay_alu instid0(VALU_DEP_1)
	v_mul_f32_e32 v101, 0x3fb8aa3b, v91
	ds_load_2addr_b32 v[91:92], v82 offset0:204 offset1:221
	v_sub_f32_e32 v97, v94, v67
	ds_load_2addr_b32 v[93:94], v82 offset0:238 offset1:255
	s_waitcnt lgkmcnt(0)
	v_exp_f32_e32 v101, v101
	s_barrier
	buffer_gl0_inv
	v_dual_fmac_f32 v68, v101, v89 :: v_dual_sub_f32 v89, v96, v67
	v_dual_sub_f32 v82, v95, v67 :: v_dual_mul_f32 v95, 0x3fb8aa3b, v97
	v_exp_f32_e32 v97, v103
	s_delay_alu instid0(VALU_DEP_2) | instskip(NEXT) | instid1(VALU_DEP_2)
	v_dual_fmac_f32 v68, v102, v90 :: v_dual_mul_f32 v89, 0x3fb8aa3b, v89
	v_mul_f32_e32 v82, 0x3fb8aa3b, v82
	s_delay_alu instid0(VALU_DEP_3) | instskip(NEXT) | instid1(VALU_DEP_2)
	v_exp_f32_e32 v95, v95
	v_exp_f32_e32 v89, v89
	s_delay_alu instid0(VALU_DEP_1)
	v_exp_f32_e32 v82, v82
	v_fmac_f32_e32 v68, v97, v91
	s_delay_alu instid0(TRANS32_DEP_3) | instid1(VALU_DEP_1)
	v_fmac_f32_e32 v68, v95, v92
	s_waitcnt_depctr 0xfff
	v_fmac_f32_e32 v68, v82, v93
	s_delay_alu instid0(VALU_DEP_1) | instskip(NEXT) | instid1(VALU_DEP_1)
	v_fmac_f32_e32 v68, v89, v94
	v_add_f32_e32 v90, 0x358637bd, v68
	s_delay_alu instid0(VALU_DEP_1) | instskip(NEXT) | instid1(VALU_DEP_1)
	v_div_scale_f32 v91, null, v90, v90, 1.0
	v_rcp_f32_e32 v92, v91
	s_waitcnt_depctr 0xfff
	v_fma_f32 v93, -v91, v92, 1.0
	s_delay_alu instid0(VALU_DEP_1) | instskip(SKIP_1) | instid1(VALU_DEP_2)
	v_dual_fmac_f32 v92, v93, v92 :: v_dual_cndmask_b32 v93, v100, v99
	v_cmp_eq_u32_e32 vcc_lo, 3, v66
	v_cndmask_b32_e64 v93, v93, v101, s3
	v_cmp_eq_u32_e64 s3, 4, v66
	s_delay_alu instid0(VALU_DEP_2) | instskip(SKIP_1) | instid1(VALU_DEP_2)
	v_cndmask_b32_e32 v93, v93, v102, vcc_lo
	v_cmp_eq_u32_e32 vcc_lo, 5, v66
	v_cndmask_b32_e64 v93, v93, v97, s3
	v_cmp_eq_u32_e64 s3, 6, v66
	s_delay_alu instid0(VALU_DEP_2) | instskip(SKIP_1) | instid1(VALU_DEP_1)
	v_cndmask_b32_e32 v93, v93, v95, vcc_lo
	v_div_scale_f32 v94, s4, 1.0, v90, 1.0
	s_mov_b32 vcc_lo, s4
	s_delay_alu instid0(VALU_DEP_2) | instskip(NEXT) | instid1(VALU_DEP_2)
	v_cndmask_b32_e64 v82, v93, v82, s3
	v_mul_f32_e32 v96, v94, v92
	s_mov_b32 s3, exec_lo
	s_delay_alu instid0(VALU_DEP_2) | instskip(NEXT) | instid1(VALU_DEP_2)
	v_cndmask_b32_e64 v82, v82, v89, s5
	v_fma_f32 v98, -v91, v96, v94
	s_delay_alu instid0(VALU_DEP_1) | instskip(NEXT) | instid1(VALU_DEP_1)
	v_fmac_f32_e32 v96, v98, v92
	v_fma_f32 v91, -v91, v96, v94
	s_delay_alu instid0(VALU_DEP_1) | instskip(NEXT) | instid1(VALU_DEP_1)
	v_div_fmas_f32 v91, v91, v92, v96
	v_div_fixup_f32 v90, v91, v90, 1.0
	s_delay_alu instid0(VALU_DEP_1) | instskip(NEXT) | instid1(VALU_DEP_1)
	v_mul_f32_e32 v82, v82, v90
	v_mul_f32_e32 v87, v82, v87
	;; [unrolled: 1-line block ×7, first 2 shown]
	v_dual_mul_f32 v86, v82, v83 :: v_dual_and_b32 v91, 0x7f800000, v90
	v_mul_f32_e32 v85, v82, v76
                                        ; implicit-def: $vgpr76
	s_delay_alu instid0(VALU_DEP_2)
	v_cmpx_ne_u32_e32 0x7f800000, v91
	s_xor_b32 s3, exec_lo, s3
; %bb.13:
	v_bfe_u32 v76, v90, 16, 1
	s_delay_alu instid0(VALU_DEP_1)
	v_add3_u32 v76, v90, v76, 0x7fff
                                        ; implicit-def: $vgpr90
; %bb.14:
	s_and_not1_saveexec_b32 s3, s3
; %bb.15:
	v_and_b32_e32 v76, 0xffff, v90
	v_or_b32_e32 v83, 0x10000, v90
	s_delay_alu instid0(VALU_DEP_2) | instskip(NEXT) | instid1(VALU_DEP_2)
	v_cmp_eq_u32_e32 vcc_lo, 0, v76
	v_cndmask_b32_e32 v76, v83, v90, vcc_lo
; %bb.16:
	s_or_b32 exec_lo, exec_lo, s3
	v_and_b32_e32 v83, 0x7f800000, v85
	s_delay_alu instid0(VALU_DEP_1) | instskip(SKIP_1) | instid1(SALU_CYCLE_1)
	v_cmp_ne_u32_e32 vcc_lo, 0x7f800000, v83
                                        ; implicit-def: $vgpr83
	s_and_saveexec_b32 s3, vcc_lo
	s_xor_b32 s3, exec_lo, s3
; %bb.17:
	v_bfe_u32 v83, v85, 16, 1
	s_delay_alu instid0(VALU_DEP_1)
	v_add3_u32 v83, v85, v83, 0x7fff
                                        ; implicit-def: $vgpr85
; %bb.18:
	s_and_not1_saveexec_b32 s3, s3
; %bb.19:
	v_and_b32_e32 v83, 0xffff, v85
	v_or_b32_e32 v90, 0x10000, v85
	s_delay_alu instid0(VALU_DEP_2) | instskip(NEXT) | instid1(VALU_DEP_2)
	v_cmp_eq_u32_e32 vcc_lo, 0, v83
	v_cndmask_b32_e32 v83, v90, v85, vcc_lo
; %bb.20:
	s_or_b32 exec_lo, exec_lo, s3
	v_and_b32_e32 v85, 0x7f800000, v86
	s_delay_alu instid0(VALU_DEP_1) | instskip(SKIP_1) | instid1(SALU_CYCLE_1)
	v_cmp_ne_u32_e32 vcc_lo, 0x7f800000, v85
                                        ; implicit-def: $vgpr85
	s_and_saveexec_b32 s3, vcc_lo
	s_xor_b32 s3, exec_lo, s3
; %bb.21:
	v_bfe_u32 v85, v86, 16, 1
	s_delay_alu instid0(VALU_DEP_1)
	v_add3_u32 v85, v86, v85, 0x7fff
                                        ; implicit-def: $vgpr86
; %bb.22:
	s_and_not1_saveexec_b32 s3, s3
; %bb.23:
	v_and_b32_e32 v85, 0xffff, v86
	v_or_b32_e32 v90, 0x10000, v86
	s_delay_alu instid0(VALU_DEP_2) | instskip(NEXT) | instid1(VALU_DEP_2)
	v_cmp_eq_u32_e32 vcc_lo, 0, v85
	v_cndmask_b32_e32 v85, v90, v86, vcc_lo
; %bb.24:
	s_or_b32 exec_lo, exec_lo, s3
	v_and_b32_e32 v86, 0x7f800000, v89
	s_delay_alu instid0(VALU_DEP_1) | instskip(SKIP_1) | instid1(SALU_CYCLE_1)
	v_cmp_ne_u32_e32 vcc_lo, 0x7f800000, v86
                                        ; implicit-def: $vgpr86
	s_and_saveexec_b32 s3, vcc_lo
	s_xor_b32 s3, exec_lo, s3
; %bb.25:
	v_bfe_u32 v86, v89, 16, 1
	s_delay_alu instid0(VALU_DEP_1)
	v_add3_u32 v86, v89, v86, 0x7fff
                                        ; implicit-def: $vgpr89
; %bb.26:
	s_and_not1_saveexec_b32 s3, s3
; %bb.27:
	v_and_b32_e32 v86, 0xffff, v89
	v_or_b32_e32 v90, 0x10000, v89
	s_delay_alu instid0(VALU_DEP_2) | instskip(NEXT) | instid1(VALU_DEP_2)
	v_cmp_eq_u32_e32 vcc_lo, 0, v86
	v_cndmask_b32_e32 v86, v90, v89, vcc_lo
; %bb.28:
	s_or_b32 exec_lo, exec_lo, s3
	v_and_b32_e32 v89, 0x7f800000, v88
	s_delay_alu instid0(VALU_DEP_1) | instskip(SKIP_1) | instid1(SALU_CYCLE_1)
	v_cmp_ne_u32_e32 vcc_lo, 0x7f800000, v89
                                        ; implicit-def: $vgpr89
	s_and_saveexec_b32 s3, vcc_lo
	s_xor_b32 s3, exec_lo, s3
; %bb.29:
	v_bfe_u32 v89, v88, 16, 1
	s_delay_alu instid0(VALU_DEP_1)
	v_add3_u32 v89, v88, v89, 0x7fff
                                        ; implicit-def: $vgpr88
; %bb.30:
	s_and_not1_saveexec_b32 s3, s3
; %bb.31:
	v_and_b32_e32 v89, 0xffff, v88
	v_or_b32_e32 v90, 0x10000, v88
	s_delay_alu instid0(VALU_DEP_2) | instskip(NEXT) | instid1(VALU_DEP_2)
	v_cmp_eq_u32_e32 vcc_lo, 0, v89
	v_cndmask_b32_e32 v89, v90, v88, vcc_lo
; %bb.32:
	s_or_b32 exec_lo, exec_lo, s3
	v_and_b32_e32 v88, 0x7f800000, v87
	s_delay_alu instid0(VALU_DEP_1) | instskip(SKIP_1) | instid1(SALU_CYCLE_1)
	v_cmp_ne_u32_e32 vcc_lo, 0x7f800000, v88
                                        ; implicit-def: $vgpr88
	s_and_saveexec_b32 s3, vcc_lo
	s_xor_b32 s3, exec_lo, s3
; %bb.33:
	v_bfe_u32 v88, v87, 16, 1
	s_delay_alu instid0(VALU_DEP_1)
	v_add3_u32 v88, v87, v88, 0x7fff
                                        ; implicit-def: $vgpr87
; %bb.34:
	s_and_not1_saveexec_b32 s3, s3
; %bb.35:
	v_and_b32_e32 v88, 0xffff, v87
	v_or_b32_e32 v90, 0x10000, v87
	s_delay_alu instid0(VALU_DEP_2) | instskip(NEXT) | instid1(VALU_DEP_2)
	v_cmp_eq_u32_e32 vcc_lo, 0, v88
	v_cndmask_b32_e32 v88, v90, v87, vcc_lo
; %bb.36:
	s_or_b32 exec_lo, exec_lo, s3
	v_and_b32_e32 v87, 0x7f800000, v84
	s_delay_alu instid0(VALU_DEP_1) | instskip(SKIP_1) | instid1(SALU_CYCLE_1)
	v_cmp_ne_u32_e32 vcc_lo, 0x7f800000, v87
                                        ; implicit-def: $vgpr87
	s_and_saveexec_b32 s3, vcc_lo
	s_xor_b32 s3, exec_lo, s3
; %bb.37:
	v_bfe_u32 v87, v84, 16, 1
	s_delay_alu instid0(VALU_DEP_1)
	v_add3_u32 v87, v84, v87, 0x7fff
                                        ; implicit-def: $vgpr84
; %bb.38:
	s_and_not1_saveexec_b32 s3, s3
; %bb.39:
	v_and_b32_e32 v87, 0xffff, v84
	v_or_b32_e32 v90, 0x10000, v84
	s_delay_alu instid0(VALU_DEP_2) | instskip(NEXT) | instid1(VALU_DEP_2)
	v_cmp_eq_u32_e32 vcc_lo, 0, v87
	v_cndmask_b32_e32 v87, v90, v84, vcc_lo
; %bb.40:
	s_or_b32 exec_lo, exec_lo, s3
	v_and_b32_e32 v84, 0x7f800000, v80
	s_delay_alu instid0(VALU_DEP_1) | instskip(SKIP_1) | instid1(SALU_CYCLE_1)
	v_cmp_ne_u32_e32 vcc_lo, 0x7f800000, v84
                                        ; implicit-def: $vgpr84
	s_and_saveexec_b32 s3, vcc_lo
	s_xor_b32 s3, exec_lo, s3
; %bb.41:
	v_bfe_u32 v84, v80, 16, 1
	s_delay_alu instid0(VALU_DEP_1)
	v_add3_u32 v84, v80, v84, 0x7fff
                                        ; implicit-def: $vgpr80
; %bb.42:
	s_and_not1_saveexec_b32 s3, s3
; %bb.43:
	v_and_b32_e32 v84, 0xffff, v80
	v_or_b32_e32 v90, 0x10000, v80
	s_delay_alu instid0(VALU_DEP_2) | instskip(NEXT) | instid1(VALU_DEP_2)
	v_cmp_eq_u32_e32 vcc_lo, 0, v84
	v_cndmask_b32_e32 v84, v90, v80, vcc_lo
; %bb.44:
	s_or_b32 exec_lo, exec_lo, s3
	s_load_b64 s[34:35], s[0:1], 0x94
	v_lshlrev_b32_e32 v91, 4, v74
	s_delay_alu instid0(VALU_DEP_2)
	v_perm_b32 v90, v84, v87, 0x7060302
	v_dual_mul_f32 v79, v82, v79 :: v_dual_lshlrev_b32 v80, 6, v65
	v_dual_mul_f32 v77, v82, v77 :: v_dual_lshlrev_b32 v92, 11, v66
	v_mul_f32_e32 v84, v82, v70
	v_perm_b32 v89, v88, v89, 0x7060302
	v_perm_b32 v88, v86, v85, 0x7060302
	;; [unrolled: 1-line block ×3, first 2 shown]
	v_mul_f32_e32 v70, v82, v81
	v_or3_b32 v76, v91, v92, v80
	v_dual_mul_f32 v78, v82, v78 :: v_dual_and_b32 v85, 0x7f800000, v84
	v_mul_f32_e32 v83, v82, v72
	v_mul_f32_e32 v81, v82, v71
	;; [unrolled: 1-line block ×3, first 2 shown]
	s_mov_b32 s3, exec_lo
	ds_store_b128 v76, v[87:90]
                                        ; implicit-def: $vgpr69
	v_cmpx_ne_u32_e32 0x7f800000, v85
	s_xor_b32 s3, exec_lo, s3
; %bb.45:
	v_bfe_u32 v69, v84, 16, 1
	s_delay_alu instid0(VALU_DEP_1)
	v_add3_u32 v69, v84, v69, 0x7fff
                                        ; implicit-def: $vgpr84
; %bb.46:
	s_and_not1_saveexec_b32 s3, s3
; %bb.47:
	v_and_b32_e32 v69, 0xffff, v84
	v_or_b32_e32 v71, 0x10000, v84
	s_delay_alu instid0(VALU_DEP_2) | instskip(NEXT) | instid1(VALU_DEP_2)
	v_cmp_eq_u32_e32 vcc_lo, 0, v69
	v_cndmask_b32_e32 v69, v71, v84, vcc_lo
; %bb.48:
	s_or_b32 exec_lo, exec_lo, s3
	v_and_b32_e32 v71, 0x7f800000, v72
	s_delay_alu instid0(VALU_DEP_1) | instskip(SKIP_1) | instid1(SALU_CYCLE_1)
	v_cmp_ne_u32_e32 vcc_lo, 0x7f800000, v71
                                        ; implicit-def: $vgpr71
	s_and_saveexec_b32 s3, vcc_lo
	s_xor_b32 s3, exec_lo, s3
; %bb.49:
	v_bfe_u32 v71, v72, 16, 1
	s_delay_alu instid0(VALU_DEP_1)
	v_add3_u32 v71, v72, v71, 0x7fff
                                        ; implicit-def: $vgpr72
; %bb.50:
	s_and_not1_saveexec_b32 s3, s3
; %bb.51:
	v_and_b32_e32 v71, 0xffff, v72
	v_or_b32_e32 v82, 0x10000, v72
	s_delay_alu instid0(VALU_DEP_2) | instskip(NEXT) | instid1(VALU_DEP_2)
	v_cmp_eq_u32_e32 vcc_lo, 0, v71
	v_cndmask_b32_e32 v71, v82, v72, vcc_lo
; %bb.52:
	s_or_b32 exec_lo, exec_lo, s3
	v_and_b32_e32 v72, 0x7f800000, v81
	s_delay_alu instid0(VALU_DEP_1) | instskip(SKIP_1) | instid1(SALU_CYCLE_1)
	v_cmp_ne_u32_e32 vcc_lo, 0x7f800000, v72
                                        ; implicit-def: $vgpr72
	s_and_saveexec_b32 s3, vcc_lo
	s_xor_b32 s3, exec_lo, s3
; %bb.53:
	v_bfe_u32 v72, v81, 16, 1
	s_delay_alu instid0(VALU_DEP_1)
	v_add3_u32 v72, v81, v72, 0x7fff
                                        ; implicit-def: $vgpr81
; %bb.54:
	s_and_not1_saveexec_b32 s3, s3
; %bb.55:
	v_and_b32_e32 v72, 0xffff, v81
	v_or_b32_e32 v82, 0x10000, v81
	s_delay_alu instid0(VALU_DEP_2) | instskip(NEXT) | instid1(VALU_DEP_2)
	v_cmp_eq_u32_e32 vcc_lo, 0, v72
	v_cndmask_b32_e32 v72, v82, v81, vcc_lo
; %bb.56:
	s_or_b32 exec_lo, exec_lo, s3
	v_and_b32_e32 v81, 0x7f800000, v83
	s_delay_alu instid0(VALU_DEP_1) | instskip(SKIP_1) | instid1(SALU_CYCLE_1)
	v_cmp_ne_u32_e32 vcc_lo, 0x7f800000, v81
                                        ; implicit-def: $vgpr81
	s_and_saveexec_b32 s3, vcc_lo
	s_xor_b32 s3, exec_lo, s3
; %bb.57:
	v_bfe_u32 v81, v83, 16, 1
	s_delay_alu instid0(VALU_DEP_1)
	v_add3_u32 v81, v83, v81, 0x7fff
                                        ; implicit-def: $vgpr83
; %bb.58:
	s_and_not1_saveexec_b32 s3, s3
; %bb.59:
	v_and_b32_e32 v81, 0xffff, v83
	v_or_b32_e32 v82, 0x10000, v83
	s_delay_alu instid0(VALU_DEP_2) | instskip(NEXT) | instid1(VALU_DEP_2)
	v_cmp_eq_u32_e32 vcc_lo, 0, v81
	v_cndmask_b32_e32 v81, v82, v83, vcc_lo
; %bb.60:
	s_or_b32 exec_lo, exec_lo, s3
	v_and_b32_e32 v82, 0x7f800000, v77
	s_delay_alu instid0(VALU_DEP_1) | instskip(SKIP_1) | instid1(SALU_CYCLE_1)
	v_cmp_ne_u32_e32 vcc_lo, 0x7f800000, v82
                                        ; implicit-def: $vgpr82
	s_and_saveexec_b32 s3, vcc_lo
	s_xor_b32 s3, exec_lo, s3
; %bb.61:
	v_bfe_u32 v82, v77, 16, 1
	s_delay_alu instid0(VALU_DEP_1)
	v_add3_u32 v82, v77, v82, 0x7fff
                                        ; implicit-def: $vgpr77
; %bb.62:
	s_and_not1_saveexec_b32 s3, s3
; %bb.63:
	v_and_b32_e32 v82, 0xffff, v77
	v_or_b32_e32 v83, 0x10000, v77
	s_delay_alu instid0(VALU_DEP_2) | instskip(NEXT) | instid1(VALU_DEP_2)
	v_cmp_eq_u32_e32 vcc_lo, 0, v82
	v_cndmask_b32_e32 v82, v83, v77, vcc_lo
; %bb.64:
	s_or_b32 exec_lo, exec_lo, s3
	v_and_b32_e32 v77, 0x7f800000, v78
	s_delay_alu instid0(VALU_DEP_1) | instskip(SKIP_1) | instid1(SALU_CYCLE_1)
	v_cmp_ne_u32_e32 vcc_lo, 0x7f800000, v77
                                        ; implicit-def: $vgpr77
	s_and_saveexec_b32 s3, vcc_lo
	s_xor_b32 s3, exec_lo, s3
; %bb.65:
	v_bfe_u32 v77, v78, 16, 1
	s_delay_alu instid0(VALU_DEP_1)
	v_add3_u32 v77, v78, v77, 0x7fff
                                        ; implicit-def: $vgpr78
; %bb.66:
	s_and_not1_saveexec_b32 s3, s3
; %bb.67:
	v_and_b32_e32 v77, 0xffff, v78
	v_or_b32_e32 v83, 0x10000, v78
	s_delay_alu instid0(VALU_DEP_2) | instskip(NEXT) | instid1(VALU_DEP_2)
	v_cmp_eq_u32_e32 vcc_lo, 0, v77
	v_cndmask_b32_e32 v77, v83, v78, vcc_lo
; %bb.68:
	s_or_b32 exec_lo, exec_lo, s3
	v_and_b32_e32 v78, 0x7f800000, v79
	s_delay_alu instid0(VALU_DEP_1) | instskip(SKIP_1) | instid1(SALU_CYCLE_1)
	v_cmp_ne_u32_e32 vcc_lo, 0x7f800000, v78
                                        ; implicit-def: $vgpr78
	s_and_saveexec_b32 s3, vcc_lo
	s_xor_b32 s3, exec_lo, s3
; %bb.69:
	v_bfe_u32 v78, v79, 16, 1
	s_delay_alu instid0(VALU_DEP_1)
	v_add3_u32 v78, v79, v78, 0x7fff
                                        ; implicit-def: $vgpr79
; %bb.70:
	s_and_not1_saveexec_b32 s3, s3
; %bb.71:
	v_and_b32_e32 v78, 0xffff, v79
	v_or_b32_e32 v83, 0x10000, v79
	s_delay_alu instid0(VALU_DEP_2) | instskip(NEXT) | instid1(VALU_DEP_2)
	v_cmp_eq_u32_e32 vcc_lo, 0, v78
	v_cndmask_b32_e32 v78, v83, v79, vcc_lo
; %bb.72:
	s_or_b32 exec_lo, exec_lo, s3
	v_and_b32_e32 v79, 0x7f800000, v70
	s_delay_alu instid0(VALU_DEP_1) | instskip(SKIP_1) | instid1(SALU_CYCLE_1)
	v_cmp_ne_u32_e32 vcc_lo, 0x7f800000, v79
                                        ; implicit-def: $vgpr79
	s_and_saveexec_b32 s3, vcc_lo
	s_xor_b32 s3, exec_lo, s3
; %bb.73:
	v_bfe_u32 v79, v70, 16, 1
	s_delay_alu instid0(VALU_DEP_1)
	v_add3_u32 v79, v70, v79, 0x7fff
                                        ; implicit-def: $vgpr70
; %bb.74:
	s_and_not1_saveexec_b32 s3, s3
; %bb.75:
	v_and_b32_e32 v79, 0xffff, v70
	v_or_b32_e32 v83, 0x10000, v70
	s_delay_alu instid0(VALU_DEP_2) | instskip(NEXT) | instid1(VALU_DEP_2)
	v_cmp_eq_u32_e32 vcc_lo, 0, v79
	v_cndmask_b32_e32 v79, v83, v70, vcc_lo
; %bb.76:
	s_or_b32 exec_lo, exec_lo, s3
	s_delay_alu instid0(VALU_DEP_1)
	v_perm_b32 v86, v79, v78, 0x7060302
	v_perm_b32 v85, v77, v82, 0x7060302
	;; [unrolled: 1-line block ×4, first 2 shown]
	v_lshl_or_b32 v82, v66, 11, v80
	ds_store_b128 v76, v[83:86] offset:1024
	s_waitcnt lgkmcnt(0)
	s_barrier
	buffer_gl0_inv
	ds_load_b128 v[69:72], v82
	ds_load_b128 v[83:86], v82 offset:16
	s_waitcnt lgkmcnt(1)
	v_lshrrev_b32_e32 v66, 16, v69
	s_waitcnt lgkmcnt(0)
	v_lshrrev_b32_e32 v91, 16, v83
	v_lshlrev_b32_e32 v78, 2, v74
	v_lshrrev_b32_e32 v95, 16, v70
	v_lshrrev_b32_e32 v98, 16, v84
	;; [unrolled: 1-line block ×4, first 2 shown]
	v_cmp_eq_u32_e32 vcc_lo, 1, v78
	v_lshrrev_b32_e32 v97, 16, v72
	v_lshrrev_b32_e32 v100, 16, v86
	v_cndmask_b32_e32 v87, v83, v91, vcc_lo
	v_or_b32_e32 v79, 1, v78
	v_cndmask_b32_e32 v81, v69, v66, vcc_lo
	v_cmp_eq_u32_e64 s4, 2, v78
	v_cmp_eq_u32_e64 s7, 3, v78
	;; [unrolled: 1-line block ×5, first 2 shown]
	v_cndmask_b32_e64 v81, v81, v70, s4
	v_cndmask_b32_e64 v87, v87, v84, s4
	v_cmp_eq_u32_e64 s8, 3, v79
	v_cndmask_b32_e64 v88, v69, v66, s3
	v_or_b32_e32 v77, 2, v78
	v_cndmask_b32_e64 v81, v81, v95, s7
	v_cndmask_b32_e64 v87, v87, v98, s7
	;; [unrolled: 1-line block ×4, first 2 shown]
	v_cmp_eq_u32_e64 s10, 5, v78
	v_cndmask_b32_e64 v81, v81, v71, s9
	v_cndmask_b32_e64 v87, v87, v85, s9
	v_cmp_eq_u32_e64 s11, 4, v79
	v_cndmask_b32_e64 v88, v88, v95, s8
	v_cmp_eq_u32_e64 s5, 1, v77
	v_cndmask_b32_e64 v89, v89, v84, s6
	v_cndmask_b32_e64 v81, v81, v96, s10
	v_cmp_eq_u32_e64 s12, 6, v78
	v_cndmask_b32_e64 v88, v88, v71, s11
	v_cndmask_b32_e64 v87, v87, v99, s10
	v_cmp_eq_u32_e64 s13, 5, v79
	v_cndmask_b32_e64 v90, v69, v66, s5
	v_cndmask_b32_e64 v89, v89, v98, s8
	v_cndmask_b32_e64 v81, v81, v72, s12
	v_cmp_eq_u32_e64 s15, 7, v78
	v_cndmask_b32_e64 v88, v88, v96, s13
	v_cndmask_b32_e64 v87, v87, v86, s12
	v_cmp_eq_u32_e64 s16, 6, v79
	v_cmp_eq_u32_e64 s17, 2, v77
	v_cndmask_b32_e64 v89, v89, v85, s11
	v_cndmask_b32_e64 v101, v81, v97, s15
	;; [unrolled: 1-line block ×6, first 2 shown]
	v_cmp_eq_u32_e64 s18, 7, v79
	v_cmp_eq_u32_e64 s19, 3, v77
	;; [unrolled: 1-line block ×4, first 2 shown]
	v_cndmask_b32_e64 v87, v87, v84, s17
	v_cndmask_b32_e64 v103, v88, v97, s18
	;; [unrolled: 1-line block ×4, first 2 shown]
	v_or_b32_e32 v81, 3, v78
	v_cndmask_b32_e64 v93, v87, v98, s19
	v_cmp_eq_u32_e64 s24, 6, v77
	v_cndmask_b32_e64 v104, v88, v86, s16
	v_cndmask_b32_e64 v92, v89, v71, s20
	v_cmp_eq_u32_e64 s21, 1, v81
	ds_load_b128 v[87:90], v82 offset:1024
	v_cmp_eq_u32_e64 s23, 2, v81
	v_cmp_eq_u32_e64 s25, 3, v81
	v_cndmask_b32_e64 v105, v92, v96, s22
	v_cndmask_b32_e64 v66, v69, v66, s21
	;; [unrolled: 1-line block ×4, first 2 shown]
	ds_load_b128 v[91:94], v82 offset:1040
	v_cmp_eq_u32_e64 s26, 4, v81
	v_cndmask_b32_e64 v66, v66, v70, s23
	v_cmp_eq_u32_e64 s27, 7, v77
	v_cndmask_b32_e64 v70, v83, v84, s23
	v_cndmask_b32_e64 v84, v105, v72, s24
	v_cmp_eq_u32_e64 s28, 5, v81
	v_cndmask_b32_e64 v66, v66, v95, s25
	v_cmp_eq_u32_e64 s29, 6, v81
	v_cndmask_b32_e64 v70, v70, v98, s25
	v_cndmask_b32_e64 v69, v69, v99, s22
	;; [unrolled: 1-line block ×4, first 2 shown]
	s_waitcnt lgkmcnt(1)
	v_lshrrev_b32_e32 v95, 16, v87
	v_cndmask_b32_e64 v70, v70, v85, s26
	v_cndmask_b32_e64 v71, v84, v97, s27
	;; [unrolled: 1-line block ×4, first 2 shown]
	v_cndmask_b32_e32 v84, v87, v95, vcc_lo
	v_cndmask_b32_e64 v70, v70, v99, s28
	s_waitcnt lgkmcnt(0)
	v_lshrrev_b32_e32 v85, 16, v91
	v_lshrrev_b32_e32 v96, 16, v88
	v_cndmask_b32_e64 v98, v87, v95, s3
	v_cndmask_b32_e64 v84, v84, v88, s4
	;; [unrolled: 1-line block ×3, first 2 shown]
	v_cndmask_b32_e32 v99, v91, v85, vcc_lo
	v_cmp_eq_u32_e32 vcc_lo, 7, v81
	v_cndmask_b32_e64 v66, v66, v72, s29
	v_cndmask_b32_e64 v72, v84, v96, s7
	;; [unrolled: 1-line block ×3, first 2 shown]
	v_lshrrev_b32_e32 v98, 16, v92
	v_cndmask_b32_e32 v70, v70, v100, vcc_lo
	v_cndmask_b32_e64 v86, v99, v92, s4
	v_cndmask_b32_e64 v69, v69, v100, s27
	v_lshrrev_b32_e32 v100, 16, v93
	v_cndmask_b32_e64 v72, v72, v89, s9
	v_lshrrev_b32_e32 v99, 16, v89
	v_cndmask_b32_e64 v86, v86, v98, s7
	v_perm_b32 v71, v69, v71, 0x5040100
	v_cndmask_b32_e64 v84, v84, v96, s8
	s_delay_alu instid0(VALU_DEP_3) | instskip(NEXT) | instid1(VALU_DEP_2)
	v_cndmask_b32_e64 v86, v86, v93, s9
	v_cndmask_b32_e64 v84, v84, v89, s11
	s_delay_alu instid0(VALU_DEP_2) | instskip(NEXT) | instid1(VALU_DEP_1)
	v_cndmask_b32_e64 v86, v86, v100, s10
	v_cndmask_b32_e64 v69, v86, v94, s12
	;; [unrolled: 1-line block ×5, first 2 shown]
	s_delay_alu instid0(VALU_DEP_3) | instskip(NEXT) | instid1(VALU_DEP_3)
	v_cndmask_b32_e64 v86, v86, v88, s17
	v_cndmask_b32_e64 v87, v87, v88, s23
	s_delay_alu instid0(VALU_DEP_3) | instskip(NEXT) | instid1(VALU_DEP_3)
	v_cndmask_b32_e64 v88, v95, v92, s23
	v_cndmask_b32_e64 v86, v86, v96, s19
	;; [unrolled: 3-line block ×7, first 2 shown]
	s_delay_alu instid0(VALU_DEP_3) | instskip(SKIP_2) | instid1(VALU_DEP_2)
	v_cndmask_b32_e64 v88, v88, v94, s29
	v_cndmask_b32_e32 v66, v66, v97, vcc_lo
	v_cndmask_b32_e64 v97, v72, v99, s10
	v_perm_b32 v72, v70, v66, 0x5040100
	v_perm_b32 v70, v83, v103, 0x5040100
	v_cndmask_b32_e64 v103, v91, v85, s5
	v_cndmask_b32_e64 v85, v91, v85, s3
	;; [unrolled: 1-line block ×4, first 2 shown]
	v_lshrrev_b32_e32 v97, 16, v90
	v_cndmask_b32_e64 v91, v103, v92, s17
	v_cndmask_b32_e64 v85, v85, v92, s6
	;; [unrolled: 1-line block ×3, first 2 shown]
	s_mov_b32 s3, exec_lo
	v_cndmask_b32_e64 v83, v84, v97, s15
	v_cndmask_b32_e64 v91, v91, v98, s19
	;; [unrolled: 1-line block ×3, first 2 shown]
	v_lshrrev_b32_e32 v84, 16, v94
	v_cndmask_b32_e64 v66, v66, v97, s18
	v_cndmask_b32_e64 v90, v86, v97, s27
	;; [unrolled: 1-line block ×4, first 2 shown]
	v_dual_cndmask_b32 v86, v87, v97 :: v_dual_cndmask_b32 v87, v88, v84
	v_cndmask_b32_e64 v91, v69, v84, s15
	s_delay_alu instid0(VALU_DEP_4) | instskip(NEXT) | instid1(VALU_DEP_4)
	v_cndmask_b32_e64 v89, v89, v100, s22
	v_cndmask_b32_e64 v85, v85, v100, s13
	v_perm_b32 v69, v102, v101, 0x5040100
	v_perm_b32 v86, v87, v86, 0x5040100
	;; [unrolled: 1-line block ×3, first 2 shown]
	v_cndmask_b32_e64 v89, v89, v94, s24
	v_cndmask_b32_e64 v85, v85, v94, s16
	s_mul_i32 s8, s35, 15
	s_delay_alu instid0(VALU_DEP_2) | instskip(NEXT) | instid1(VALU_DEP_2)
	v_cndmask_b32_e64 v88, v89, v84, s27
	v_cndmask_b32_e64 v89, v85, v84, s18
	s_delay_alu instid0(VALU_DEP_2) | instskip(NEXT) | instid1(VALU_DEP_2)
	v_perm_b32 v85, v88, v90, 0x5040100
	v_perm_b32 v84, v89, v66, 0x5040100
	ds_store_b128 v76, v[69:72]
	ds_store_b128 v76, v[83:86] offset:1024
	v_cmpx_gt_u32_e32 15, v0
	s_cbranch_execz .LBB1900_78
; %bb.77:
	s_mul_i32 s4, s8, s30
	s_delay_alu instid0(SALU_CYCLE_1) | instskip(SKIP_1) | instid1(VALU_DEP_1)
	v_add3_u32 v69, s4, s31, v65
	s_load_b128 s[4:7], s[0:1], 0x58
	v_mad_u64_u32 v[65:66], null, v69, s34, s[14:15]
	s_delay_alu instid0(VALU_DEP_1) | instskip(NEXT) | instid1(VALU_DEP_1)
	v_ashrrev_i32_e32 v66, 31, v65
	v_lshlrev_b64 v[65:66], 2, v[65:66]
	s_waitcnt lgkmcnt(0)
	s_delay_alu instid0(VALU_DEP_1) | instskip(NEXT) | instid1(VALU_DEP_2)
	v_add_co_u32 v69, vcc_lo, s6, v65
	v_add_co_ci_u32_e32 v70, vcc_lo, s7, v66, vcc_lo
	v_add_co_u32 v65, vcc_lo, s4, v65
	v_add_co_ci_u32_e32 v66, vcc_lo, s5, v66, vcc_lo
	global_store_b32 v[69:70], v67, off
	global_store_b32 v[65:66], v68, off
.LBB1900_78:
	s_or_b32 exec_lo, exec_lo, s3
	s_waitcnt lgkmcnt(0)
	s_waitcnt_vscnt null, 0x0
	s_barrier
	buffer_gl0_inv
	ds_load_b128 v[83:86], v80
	ds_load_b128 v[87:90], v80 offset:16
	ds_load_b128 v[95:98], v80 offset:2064
	;; [unrolled: 1-line block ×3, first 2 shown]
	v_mov_b32_e32 v65, 0
	ds_load_b128 v[103:106], v80 offset:4112
	ds_load_b128 v[99:102], v80 offset:4096
	;; [unrolled: 1-line block ×4, first 2 shown]
	v_mov_b32_e32 v66, v65
	v_mov_b32_e32 v67, v65
	;; [unrolled: 1-line block ×7, first 2 shown]
	s_waitcnt lgkmcnt(6)
	s_delay_alu instid0(VALU_DEP_1)
	v_wmma_f32_16x16x16_bf16 v[65:72], v[49:56], v[83:90], v[65:72]
	ds_load_b128 v[53:56], v80 offset:8208
	ds_load_b128 v[49:52], v80 offset:8192
	s_waitcnt lgkmcnt(6)
	v_wmma_f32_16x16x16_bf16 v[65:72], v[41:48], v[91:98], v[65:72]
	ds_load_b128 v[45:48], v80 offset:10256
	ds_load_b128 v[41:44], v80 offset:10240
	s_waitcnt lgkmcnt(6)
	;; [unrolled: 4-line block ×4, first 2 shown]
	v_wmma_f32_16x16x16_bf16 v[65:72], v[1:8], v[49:56], v[65:72]
	s_waitcnt lgkmcnt(4)
	s_delay_alu instid0(VALU_DEP_1) | instskip(SKIP_1) | instid1(VALU_DEP_1)
	v_wmma_f32_16x16x16_bf16 v[65:72], v[9:16], v[41:48], v[65:72]
	s_waitcnt lgkmcnt(2)
	v_wmma_f32_16x16x16_bf16 v[65:72], v[17:24], v[33:40], v[65:72]
	s_waitcnt lgkmcnt(0)
	s_delay_alu instid0(VALU_DEP_1) | instskip(NEXT) | instid1(VALU_DEP_1)
	v_wmma_f32_16x16x16_bf16 v[65:72], v[57:64], v[25:32], v[65:72]
	v_and_b32_e32 v1, 0x7f800000, v65
	s_delay_alu instid0(VALU_DEP_1) | instskip(SKIP_1) | instid1(SALU_CYCLE_1)
	v_cmp_ne_u32_e32 vcc_lo, 0x7f800000, v1
                                        ; implicit-def: $vgpr1
	s_and_saveexec_b32 s3, vcc_lo
	s_xor_b32 s3, exec_lo, s3
; %bb.79:
	v_bfe_u32 v1, v65, 16, 1
	s_delay_alu instid0(VALU_DEP_1)
	v_add3_u32 v1, v65, v1, 0x7fff
; %bb.80:
	s_and_not1_saveexec_b32 s3, s3
; %bb.81:
	v_and_b32_e32 v1, 0xffff, v65
	v_or_b32_e32 v2, 0x10000, v65
	s_delay_alu instid0(VALU_DEP_2) | instskip(NEXT) | instid1(VALU_DEP_2)
	v_cmp_eq_u32_e32 vcc_lo, 0, v1
	v_cndmask_b32_e32 v1, v2, v65, vcc_lo
; %bb.82:
	s_or_b32 exec_lo, exec_lo, s3
	v_and_b32_e32 v2, 0x7f800000, v66
	s_delay_alu instid0(VALU_DEP_1) | instskip(SKIP_1) | instid1(SALU_CYCLE_1)
	v_cmp_ne_u32_e32 vcc_lo, 0x7f800000, v2
                                        ; implicit-def: $vgpr2
	s_and_saveexec_b32 s3, vcc_lo
	s_xor_b32 s3, exec_lo, s3
; %bb.83:
	v_bfe_u32 v2, v66, 16, 1
	s_delay_alu instid0(VALU_DEP_1)
	v_add3_u32 v2, v66, v2, 0x7fff
; %bb.84:
	s_and_not1_saveexec_b32 s3, s3
; %bb.85:
	v_and_b32_e32 v2, 0xffff, v66
	v_or_b32_e32 v3, 0x10000, v66
	s_delay_alu instid0(VALU_DEP_2) | instskip(NEXT) | instid1(VALU_DEP_2)
	v_cmp_eq_u32_e32 vcc_lo, 0, v2
	v_cndmask_b32_e32 v2, v3, v66, vcc_lo
; %bb.86:
	s_or_b32 exec_lo, exec_lo, s3
	v_and_b32_e32 v3, 0x7f800000, v67
	s_delay_alu instid0(VALU_DEP_1) | instskip(SKIP_1) | instid1(SALU_CYCLE_1)
	v_cmp_ne_u32_e32 vcc_lo, 0x7f800000, v3
                                        ; implicit-def: $vgpr3
	s_and_saveexec_b32 s3, vcc_lo
	s_xor_b32 s3, exec_lo, s3
; %bb.87:
	v_bfe_u32 v3, v67, 16, 1
	s_delay_alu instid0(VALU_DEP_1)
	v_add3_u32 v3, v67, v3, 0x7fff
; %bb.88:
	s_and_not1_saveexec_b32 s3, s3
; %bb.89:
	v_and_b32_e32 v3, 0xffff, v67
	v_or_b32_e32 v4, 0x10000, v67
	s_delay_alu instid0(VALU_DEP_2) | instskip(NEXT) | instid1(VALU_DEP_2)
	v_cmp_eq_u32_e32 vcc_lo, 0, v3
	v_cndmask_b32_e32 v3, v4, v67, vcc_lo
; %bb.90:
	s_or_b32 exec_lo, exec_lo, s3
	v_and_b32_e32 v4, 0x7f800000, v68
	s_delay_alu instid0(VALU_DEP_1) | instskip(SKIP_1) | instid1(SALU_CYCLE_1)
	v_cmp_ne_u32_e32 vcc_lo, 0x7f800000, v4
                                        ; implicit-def: $vgpr4
	s_and_saveexec_b32 s3, vcc_lo
	s_xor_b32 s3, exec_lo, s3
; %bb.91:
	v_bfe_u32 v4, v68, 16, 1
	s_delay_alu instid0(VALU_DEP_1)
	v_add3_u32 v4, v68, v4, 0x7fff
; %bb.92:
	s_and_not1_saveexec_b32 s3, s3
; %bb.93:
	v_and_b32_e32 v4, 0xffff, v68
	v_or_b32_e32 v5, 0x10000, v68
	s_delay_alu instid0(VALU_DEP_2) | instskip(NEXT) | instid1(VALU_DEP_2)
	v_cmp_eq_u32_e32 vcc_lo, 0, v4
	v_cndmask_b32_e32 v4, v5, v68, vcc_lo
; %bb.94:
	s_or_b32 exec_lo, exec_lo, s3
	v_and_b32_e32 v5, 0x7f800000, v69
	s_delay_alu instid0(VALU_DEP_1) | instskip(SKIP_1) | instid1(SALU_CYCLE_1)
	v_cmp_ne_u32_e32 vcc_lo, 0x7f800000, v5
                                        ; implicit-def: $vgpr5
	s_and_saveexec_b32 s3, vcc_lo
	s_xor_b32 s3, exec_lo, s3
; %bb.95:
	v_bfe_u32 v5, v69, 16, 1
	s_delay_alu instid0(VALU_DEP_1)
	v_add3_u32 v5, v69, v5, 0x7fff
; %bb.96:
	s_and_not1_saveexec_b32 s3, s3
; %bb.97:
	v_and_b32_e32 v5, 0xffff, v69
	v_or_b32_e32 v6, 0x10000, v69
	s_delay_alu instid0(VALU_DEP_2) | instskip(NEXT) | instid1(VALU_DEP_2)
	v_cmp_eq_u32_e32 vcc_lo, 0, v5
	v_cndmask_b32_e32 v5, v6, v69, vcc_lo
; %bb.98:
	s_or_b32 exec_lo, exec_lo, s3
	v_and_b32_e32 v6, 0x7f800000, v70
	s_delay_alu instid0(VALU_DEP_1) | instskip(SKIP_1) | instid1(SALU_CYCLE_1)
	v_cmp_ne_u32_e32 vcc_lo, 0x7f800000, v6
                                        ; implicit-def: $vgpr6
	s_and_saveexec_b32 s3, vcc_lo
	s_xor_b32 s3, exec_lo, s3
; %bb.99:
	v_bfe_u32 v6, v70, 16, 1
	s_delay_alu instid0(VALU_DEP_1)
	v_add3_u32 v6, v70, v6, 0x7fff
; %bb.100:
	s_and_not1_saveexec_b32 s3, s3
; %bb.101:
	v_and_b32_e32 v6, 0xffff, v70
	v_or_b32_e32 v7, 0x10000, v70
	s_delay_alu instid0(VALU_DEP_2) | instskip(NEXT) | instid1(VALU_DEP_2)
	v_cmp_eq_u32_e32 vcc_lo, 0, v6
	v_cndmask_b32_e32 v6, v7, v70, vcc_lo
; %bb.102:
	s_or_b32 exec_lo, exec_lo, s3
	v_and_b32_e32 v7, 0x7f800000, v71
	s_delay_alu instid0(VALU_DEP_1) | instskip(SKIP_1) | instid1(SALU_CYCLE_1)
	v_cmp_ne_u32_e32 vcc_lo, 0x7f800000, v7
                                        ; implicit-def: $vgpr7
	s_and_saveexec_b32 s3, vcc_lo
	s_xor_b32 s3, exec_lo, s3
; %bb.103:
	v_bfe_u32 v7, v71, 16, 1
	s_delay_alu instid0(VALU_DEP_1)
	v_add3_u32 v7, v71, v7, 0x7fff
; %bb.104:
	s_and_not1_saveexec_b32 s3, s3
; %bb.105:
	v_and_b32_e32 v7, 0xffff, v71
	v_or_b32_e32 v8, 0x10000, v71
	s_delay_alu instid0(VALU_DEP_2) | instskip(NEXT) | instid1(VALU_DEP_2)
	v_cmp_eq_u32_e32 vcc_lo, 0, v7
	v_cndmask_b32_e32 v7, v8, v71, vcc_lo
; %bb.106:
	s_or_b32 exec_lo, exec_lo, s3
	v_and_b32_e32 v8, 0x7f800000, v72
	s_delay_alu instid0(VALU_DEP_1) | instskip(SKIP_1) | instid1(SALU_CYCLE_1)
	v_cmp_ne_u32_e32 vcc_lo, 0x7f800000, v8
                                        ; implicit-def: $vgpr8
	s_and_saveexec_b32 s3, vcc_lo
	s_xor_b32 s3, exec_lo, s3
; %bb.107:
	v_bfe_u32 v8, v72, 16, 1
	s_delay_alu instid0(VALU_DEP_1)
	v_add3_u32 v8, v72, v8, 0x7fff
                                        ; implicit-def: $vgpr65_vgpr66_vgpr67_vgpr68_vgpr69_vgpr70_vgpr71_vgpr72
; %bb.108:
	s_and_not1_saveexec_b32 s3, s3
; %bb.109:
	v_and_b32_e32 v8, 0xffff, v72
	v_or_b32_e32 v9, 0x10000, v72
	s_delay_alu instid0(VALU_DEP_2) | instskip(NEXT) | instid1(VALU_DEP_2)
	v_cmp_eq_u32_e32 vcc_lo, 0, v8
	v_cndmask_b32_e32 v8, v9, v72, vcc_lo
; %bb.110:
	s_or_b32 exec_lo, exec_lo, s3
	s_delay_alu instid0(VALU_DEP_1)
	v_perm_b32 v7, v8, v7, 0x7060302
	v_perm_b32 v6, v6, v5, 0x7060302
	v_perm_b32 v5, v4, v3, 0x7060302
	v_perm_b32 v4, v2, v1, 0x7060302
	s_barrier
	buffer_gl0_inv
	v_cmp_eq_u32_e32 vcc_lo, 1, v78
	ds_store_b128 v76, v[4:7]
	s_waitcnt lgkmcnt(0)
	s_barrier
	buffer_gl0_inv
	ds_load_b128 v[1:4], v82
	ds_load_b128 v[5:8], v82 offset:16
	v_cmp_eq_u32_e64 s3, 1, v79
	v_cmp_eq_u32_e64 s4, 2, v78
	;; [unrolled: 1-line block ×5, first 2 shown]
	s_waitcnt lgkmcnt(1)
	v_lshrrev_b32_e32 v9, 16, v1
	s_waitcnt lgkmcnt(0)
	v_lshrrev_b32_e32 v13, 16, v5
	v_lshrrev_b32_e32 v10, 16, v2
	;; [unrolled: 1-line block ×4, first 2 shown]
	v_cndmask_b32_e64 v19, v1, v9, s3
	v_cndmask_b32_e32 v18, v5, v13, vcc_lo
	v_cndmask_b32_e64 v20, v5, v13, s3
	v_cndmask_b32_e32 v17, v1, v9, vcc_lo
	v_cmp_eq_u32_e32 vcc_lo, 2, v79
	v_lshrrev_b32_e32 v15, 16, v7
	v_cmp_eq_u32_e64 s3, 1, v77
	v_lshrrev_b32_e32 v12, 16, v4
	v_lshrrev_b32_e32 v16, 16, v8
	v_cndmask_b32_e32 v20, v20, v6, vcc_lo
	v_cndmask_b32_e64 v17, v17, v2, s4
	v_cndmask_b32_e32 v19, v19, v2, vcc_lo
	v_cndmask_b32_e64 v18, v18, v6, s4
	v_cmp_eq_u32_e32 vcc_lo, 4, v78
	v_cmp_eq_u32_e64 s4, 3, v79
	v_cndmask_b32_e64 v17, v17, v10, s5
	v_cndmask_b32_e64 v21, v1, v9, s3
	;; [unrolled: 1-line block ×5, first 2 shown]
	v_cndmask_b32_e32 v17, v17, v3, vcc_lo
	v_cndmask_b32_e64 v20, v20, v14, s4
	v_cndmask_b32_e32 v18, v18, v7, vcc_lo
	v_cmp_eq_u32_e32 vcc_lo, 4, v79
	v_cmp_eq_u32_e64 s4, 5, v79
	v_cmp_eq_u32_e64 s3, 2, v81
	v_cndmask_b32_e64 v21, v21, v2, s7
	v_cmp_eq_u32_e64 s5, 5, v78
	v_cndmask_b32_e32 v19, v19, v3, vcc_lo
	v_cndmask_b32_e32 v20, v20, v7, vcc_lo
	v_cmp_eq_u32_e32 vcc_lo, 6, v79
	s_delay_alu instid0(VALU_DEP_4) | instskip(NEXT) | instid1(VALU_DEP_4)
	v_cndmask_b32_e64 v17, v17, v11, s5
	v_cndmask_b32_e64 v19, v19, v11, s4
	s_delay_alu instid0(VALU_DEP_4) | instskip(SKIP_1) | instid1(VALU_DEP_3)
	v_cndmask_b32_e64 v20, v20, v15, s4
	v_cmp_eq_u32_e64 s4, 1, v81
	v_cndmask_b32_e32 v19, v19, v4, vcc_lo
	v_cndmask_b32_e64 v18, v18, v15, s5
	s_delay_alu instid0(VALU_DEP_3)
	v_cndmask_b32_e64 v1, v1, v9, s4
	v_cndmask_b32_e64 v5, v5, v13, s4
	v_cmp_eq_u32_e64 s4, 3, v77
	v_cndmask_b32_e64 v13, v22, v6, s7
	v_cmp_eq_u32_e64 s7, 3, v81
	v_cndmask_b32_e64 v1, v1, v2, s3
	v_cndmask_b32_e64 v2, v5, v6, s3
	v_cndmask_b32_e64 v9, v21, v10, s4
	v_cmp_eq_u32_e64 s3, 4, v77
	v_cndmask_b32_e64 v6, v13, v14, s4
	v_cndmask_b32_e64 v1, v1, v10, s7
	v_cmp_eq_u32_e64 s4, 4, v81
	v_cndmask_b32_e64 v2, v2, v14, s7
	v_cndmask_b32_e64 v5, v9, v3, s3
	v_cmp_eq_u32_e64 s7, 5, v77
	v_cndmask_b32_e64 v6, v6, v7, s3
	v_cndmask_b32_e64 v1, v1, v3, s4
	v_cndmask_b32_e64 v2, v2, v7, s4
	v_cmp_eq_u32_e64 s3, 5, v81
	v_cmp_eq_u32_e64 s5, 6, v78
	v_cndmask_b32_e64 v5, v5, v11, s7
	v_cmp_eq_u32_e64 s4, 6, v77
	v_cndmask_b32_e64 v3, v6, v15, s7
	v_cndmask_b32_e64 v1, v1, v11, s3
	v_cmp_eq_u32_e64 s7, 6, v81
	v_cndmask_b32_e64 v2, v2, v15, s3
	v_cndmask_b32_e64 v17, v17, v4, s5
	v_cndmask_b32_e64 v18, v18, v8, s5
	v_cmp_eq_u32_e64 s5, 7, v78
	v_cndmask_b32_e64 v5, v5, v4, s4
	;; [unrolled: 4-line block ×3, first 2 shown]
	v_cmp_eq_u32_e64 s4, 7, v77
	v_cndmask_b32_e32 v4, v20, v8, vcc_lo
	v_cndmask_b32_e64 v17, v17, v12, s5
	v_cndmask_b32_e64 v19, v19, v12, s6
	;; [unrolled: 1-line block ×8, first 2 shown]
	s_mov_b32 s3, exec_lo
	v_perm_b32 v4, v2, v1, 0x5040100
	v_perm_b32 v3, v3, v5, 0x5040100
	;; [unrolled: 1-line block ×4, first 2 shown]
	ds_store_b128 v76, v[1:4]
	s_waitcnt lgkmcnt(0)
	s_barrier
	buffer_gl0_inv
	v_cmpx_gt_u32_e32 32, v0
	s_cbranch_execz .LBB1900_2
; %bb.111:
	s_load_b64 s[4:5], s[0:1], 0x68
	v_add_nc_u32_e32 v20, s31, v74
	v_lshlrev_b32_e32 v0, 10, v0
	v_lshlrev_b32_e32 v1, 4, v75
	s_lshl_b32 s0, s34, 7
	s_delay_alu instid0(SALU_CYCLE_1)
	s_mul_i32 s1, s0, s30
	v_add_nc_u32_e32 v2, 2, v20
	s_mul_i32 s6, s1, s8
	v_and_or_b32 v0, 0x3800, v0, v1
	v_mul_lo_u32 v1, v20, s0
	s_ashr_i32 s7, s6, 31
	v_mul_lo_u32 v11, v2, s0
	s_lshl_b64 s[6:7], s[6:7], 1
	v_add_nc_u32_e32 v3, 4, v20
	v_lshl_or_b32 v21, v74, 6, v0
	v_add_nc_u32_e32 v16, 6, v20
	v_ashrrev_i32_e32 v2, 31, v1
	s_delay_alu instid0(VALU_DEP_4)
	v_mul_lo_u32 v13, v3, s0
	s_waitcnt lgkmcnt(0)
	s_add_u32 s1, s4, s6
	s_addc_u32 s3, s5, s7
	s_lshl_b32 s4, s14, 7
	ds_load_b128 v[3:6], v21
	ds_load_b128 v[7:10], v21 offset:128
	s_ashr_i32 s5, s4, 31
	v_ashrrev_i32_e32 v12, 31, v11
	s_lshl_b64 s[4:5], s[4:5], 1
	v_lshlrev_b64 v[14:15], 1, v[1:2]
	s_add_u32 s1, s1, s4
	s_addc_u32 s3, s3, s5
	v_add_co_u32 v1, s1, s1, v73
	s_delay_alu instid0(VALU_DEP_1) | instskip(SKIP_1) | instid1(VALU_DEP_3)
	v_add_co_ci_u32_e64 v2, null, s3, 0, s1
	v_lshlrev_b64 v[11:12], 1, v[11:12]
	v_add_co_u32 v18, vcc_lo, v1, v14
	v_mul_lo_u32 v16, v16, s0
	s_delay_alu instid0(VALU_DEP_4) | instskip(NEXT) | instid1(VALU_DEP_4)
	v_add_co_ci_u32_e32 v19, vcc_lo, v2, v15, vcc_lo
	v_add_co_u32 v11, vcc_lo, v1, v11
	v_ashrrev_i32_e32 v14, 31, v13
	v_add_co_ci_u32_e32 v12, vcc_lo, v2, v12, vcc_lo
	v_add_nc_u32_e32 v15, 8, v20
	v_ashrrev_i32_e32 v17, 31, v16
	s_waitcnt lgkmcnt(1)
	global_store_b128 v[18:19], v[3:6], off
	v_lshlrev_b64 v[3:4], 1, v[13:14]
	s_waitcnt lgkmcnt(0)
	global_store_b128 v[11:12], v[7:10], off
	v_mul_lo_u32 v11, v15, s0
	v_add_nc_u32_e32 v7, 10, v20
	v_lshlrev_b64 v[5:6], 1, v[16:17]
	v_add_co_u32 v23, vcc_lo, v1, v3
	v_add_nc_u32_e32 v3, 12, v20
	s_delay_alu instid0(VALU_DEP_4)
	v_mul_lo_u32 v25, v7, s0
	v_ashrrev_i32_e32 v12, 31, v11
	v_add_co_ci_u32_e32 v24, vcc_lo, v2, v4, vcc_lo
	v_add_co_u32 v27, vcc_lo, v1, v5
	v_mul_lo_u32 v29, v3, s0
	v_add_co_ci_u32_e32 v28, vcc_lo, v2, v6, vcc_lo
	ds_load_b128 v[3:6], v21 offset:256
	ds_load_b128 v[7:10], v21 offset:384
	v_lshlrev_b64 v[31:32], 1, v[11:12]
	ds_load_b128 v[11:14], v21 offset:512
	ds_load_b128 v[15:18], v21 offset:640
	ds_load_b128 v[19:22], v21 offset:768
	v_ashrrev_i32_e32 v26, 31, v25
	v_ashrrev_i32_e32 v30, 31, v29
	v_add_co_u32 v31, vcc_lo, v1, v31
	s_delay_alu instid0(VALU_DEP_3) | instskip(NEXT) | instid1(VALU_DEP_3)
	v_lshlrev_b64 v[25:26], 1, v[25:26]
	v_lshlrev_b64 v[29:30], 1, v[29:30]
	v_add_co_ci_u32_e32 v32, vcc_lo, v2, v32, vcc_lo
	s_delay_alu instid0(VALU_DEP_3) | instskip(NEXT) | instid1(VALU_DEP_4)
	v_add_co_u32 v25, vcc_lo, v1, v25
	v_add_co_ci_u32_e32 v26, vcc_lo, v2, v26, vcc_lo
	s_delay_alu instid0(VALU_DEP_4)
	v_add_co_u32 v29, vcc_lo, v1, v29
	v_add_co_ci_u32_e32 v30, vcc_lo, v2, v30, vcc_lo
	s_waitcnt lgkmcnt(4)
	global_store_b128 v[23:24], v[3:6], off
	s_waitcnt lgkmcnt(3)
	global_store_b128 v[27:28], v[7:10], off
	;; [unrolled: 2-line block ×5, first 2 shown]
	s_and_b32 exec_lo, exec_lo, s2
	s_cbranch_execz .LBB1900_2
; %bb.112:
	ds_load_b128 v[3:6], v0 offset:896
	s_add_i32 s1, s31, 14
	s_delay_alu instid0(SALU_CYCLE_1) | instskip(NEXT) | instid1(SALU_CYCLE_1)
	s_mul_i32 s0, s1, s0
	s_ashr_i32 s1, s0, 31
	s_delay_alu instid0(SALU_CYCLE_1) | instskip(NEXT) | instid1(SALU_CYCLE_1)
	s_lshl_b64 s[0:1], s[0:1], 1
	v_add_co_u32 v0, vcc_lo, v1, s0
	v_add_co_ci_u32_e32 v1, vcc_lo, s1, v2, vcc_lo
	s_waitcnt lgkmcnt(0)
	global_store_b128 v[0:1], v[3:6], off
	s_nop 0
	s_sendmsg sendmsg(MSG_DEALLOC_VGPRS)
	s_endpgm
	.section	.rodata,"a",@progbits
	.p2align	6, 0x0
	.amdhsa_kernel _Z39paged_attention_ll4mi_QKV_mfma16_kernelI14__hip_bfloat16hLN4vllm18Fp8KVCacheDataTypeE1ES0_Li32ELi128ELi256ELb1ELi15EL8MFMAType0EEvPKT_PKT0_S9_ifPKiSB_SB_iPKfiiiPfSE_PS4_PT2_iSD_SD_
		.amdhsa_group_segment_fixed_size 17472
		.amdhsa_private_segment_fixed_size 0
		.amdhsa_kernarg_size 400
		.amdhsa_user_sgpr_count 13
		.amdhsa_user_sgpr_dispatch_ptr 0
		.amdhsa_user_sgpr_queue_ptr 0
		.amdhsa_user_sgpr_kernarg_segment_ptr 1
		.amdhsa_user_sgpr_dispatch_id 0
		.amdhsa_user_sgpr_private_segment_size 0
		.amdhsa_wavefront_size32 1
		.amdhsa_uses_dynamic_stack 0
		.amdhsa_enable_private_segment 0
		.amdhsa_system_sgpr_workgroup_id_x 1
		.amdhsa_system_sgpr_workgroup_id_y 1
		.amdhsa_system_sgpr_workgroup_id_z 1
		.amdhsa_system_sgpr_workgroup_info 0
		.amdhsa_system_vgpr_workitem_id 0
		.amdhsa_next_free_vgpr 140
		.amdhsa_next_free_sgpr 36
		.amdhsa_reserve_vcc 1
		.amdhsa_float_round_mode_32 0
		.amdhsa_float_round_mode_16_64 0
		.amdhsa_float_denorm_mode_32 3
		.amdhsa_float_denorm_mode_16_64 3
		.amdhsa_dx10_clamp 1
		.amdhsa_ieee_mode 1
		.amdhsa_fp16_overflow 0
		.amdhsa_workgroup_processor_mode 1
		.amdhsa_memory_ordered 1
		.amdhsa_forward_progress 0
		.amdhsa_shared_vgpr_count 0
		.amdhsa_exception_fp_ieee_invalid_op 0
		.amdhsa_exception_fp_denorm_src 0
		.amdhsa_exception_fp_ieee_div_zero 0
		.amdhsa_exception_fp_ieee_overflow 0
		.amdhsa_exception_fp_ieee_underflow 0
		.amdhsa_exception_fp_ieee_inexact 0
		.amdhsa_exception_int_div_zero 0
	.end_amdhsa_kernel
	.section	.text._Z39paged_attention_ll4mi_QKV_mfma16_kernelI14__hip_bfloat16hLN4vllm18Fp8KVCacheDataTypeE1ES0_Li32ELi128ELi256ELb1ELi15EL8MFMAType0EEvPKT_PKT0_S9_ifPKiSB_SB_iPKfiiiPfSE_PS4_PT2_iSD_SD_,"axG",@progbits,_Z39paged_attention_ll4mi_QKV_mfma16_kernelI14__hip_bfloat16hLN4vllm18Fp8KVCacheDataTypeE1ES0_Li32ELi128ELi256ELb1ELi15EL8MFMAType0EEvPKT_PKT0_S9_ifPKiSB_SB_iPKfiiiPfSE_PS4_PT2_iSD_SD_,comdat
.Lfunc_end1900:
	.size	_Z39paged_attention_ll4mi_QKV_mfma16_kernelI14__hip_bfloat16hLN4vllm18Fp8KVCacheDataTypeE1ES0_Li32ELi128ELi256ELb1ELi15EL8MFMAType0EEvPKT_PKT0_S9_ifPKiSB_SB_iPKfiiiPfSE_PS4_PT2_iSD_SD_, .Lfunc_end1900-_Z39paged_attention_ll4mi_QKV_mfma16_kernelI14__hip_bfloat16hLN4vllm18Fp8KVCacheDataTypeE1ES0_Li32ELi128ELi256ELb1ELi15EL8MFMAType0EEvPKT_PKT0_S9_ifPKiSB_SB_iPKfiiiPfSE_PS4_PT2_iSD_SD_
                                        ; -- End function
	.section	.AMDGPU.csdata,"",@progbits
; Kernel info:
; codeLenInByte = 9156
; NumSgprs: 38
; NumVgprs: 140
; ScratchSize: 0
; MemoryBound: 0
; FloatMode: 240
; IeeeMode: 1
; LDSByteSize: 17472 bytes/workgroup (compile time only)
; SGPRBlocks: 4
; VGPRBlocks: 17
; NumSGPRsForWavesPerEU: 38
; NumVGPRsForWavesPerEU: 140
; Occupancy: 10
; WaveLimiterHint : 1
; COMPUTE_PGM_RSRC2:SCRATCH_EN: 0
; COMPUTE_PGM_RSRC2:USER_SGPR: 13
; COMPUTE_PGM_RSRC2:TRAP_HANDLER: 0
; COMPUTE_PGM_RSRC2:TGID_X_EN: 1
; COMPUTE_PGM_RSRC2:TGID_Y_EN: 1
; COMPUTE_PGM_RSRC2:TGID_Z_EN: 1
; COMPUTE_PGM_RSRC2:TIDIG_COMP_CNT: 0
	.section	.text._Z39paged_attention_ll4mi_QKV_mfma16_kernelI14__hip_bfloat16hLN4vllm18Fp8KVCacheDataTypeE1ES0_Li32ELi128ELi256ELb1ELi16EL8MFMAType0EEvPKT_PKT0_S9_ifPKiSB_SB_iPKfiiiPfSE_PS4_PT2_iSD_SD_,"axG",@progbits,_Z39paged_attention_ll4mi_QKV_mfma16_kernelI14__hip_bfloat16hLN4vllm18Fp8KVCacheDataTypeE1ES0_Li32ELi128ELi256ELb1ELi16EL8MFMAType0EEvPKT_PKT0_S9_ifPKiSB_SB_iPKfiiiPfSE_PS4_PT2_iSD_SD_,comdat
	.protected	_Z39paged_attention_ll4mi_QKV_mfma16_kernelI14__hip_bfloat16hLN4vllm18Fp8KVCacheDataTypeE1ES0_Li32ELi128ELi256ELb1ELi16EL8MFMAType0EEvPKT_PKT0_S9_ifPKiSB_SB_iPKfiiiPfSE_PS4_PT2_iSD_SD_ ; -- Begin function _Z39paged_attention_ll4mi_QKV_mfma16_kernelI14__hip_bfloat16hLN4vllm18Fp8KVCacheDataTypeE1ES0_Li32ELi128ELi256ELb1ELi16EL8MFMAType0EEvPKT_PKT0_S9_ifPKiSB_SB_iPKfiiiPfSE_PS4_PT2_iSD_SD_
	.globl	_Z39paged_attention_ll4mi_QKV_mfma16_kernelI14__hip_bfloat16hLN4vllm18Fp8KVCacheDataTypeE1ES0_Li32ELi128ELi256ELb1ELi16EL8MFMAType0EEvPKT_PKT0_S9_ifPKiSB_SB_iPKfiiiPfSE_PS4_PT2_iSD_SD_
	.p2align	8
	.type	_Z39paged_attention_ll4mi_QKV_mfma16_kernelI14__hip_bfloat16hLN4vllm18Fp8KVCacheDataTypeE1ES0_Li32ELi128ELi256ELb1ELi16EL8MFMAType0EEvPKT_PKT0_S9_ifPKiSB_SB_iPKfiiiPfSE_PS4_PT2_iSD_SD_,@function
_Z39paged_attention_ll4mi_QKV_mfma16_kernelI14__hip_bfloat16hLN4vllm18Fp8KVCacheDataTypeE1ES0_Li32ELi128ELi256ELb1ELi16EL8MFMAType0EEvPKT_PKT0_S9_ifPKiSB_SB_iPKfiiiPfSE_PS4_PT2_iSD_SD_: ; @_Z39paged_attention_ll4mi_QKV_mfma16_kernelI14__hip_bfloat16hLN4vllm18Fp8KVCacheDataTypeE1ES0_Li32ELi128ELi256ELb1ELi16EL8MFMAType0EEvPKT_PKT0_S9_ifPKiSB_SB_iPKfiiiPfSE_PS4_PT2_iSD_SD_
; %bb.0:
	s_load_b64 s[4:5], s[0:1], 0x30
	s_mov_b32 s30, s13
	s_waitcnt lgkmcnt(0)
	s_cmp_lg_u64 s[4:5], 0
	s_cselect_b32 s8, -1, 0
	s_ashr_i32 s31, s13, 31
	s_cmp_eq_u64 s[4:5], 0
	s_cbranch_scc1 .LBB1901_3
; %bb.1:
	s_lshl_b64 s[2:3], s[30:31], 2
	s_delay_alu instid0(SALU_CYCLE_1) | instskip(SKIP_4) | instid1(SALU_CYCLE_1)
	s_add_u32 s2, s4, s2
	s_addc_u32 s3, s5, s3
	s_load_b64 s[2:3], s[2:3], 0x0
	s_waitcnt lgkmcnt(0)
	s_sub_i32 s2, s3, s2
	s_cmp_eq_u32 s2, 1
	s_cselect_b32 s2, -1, 0
	s_delay_alu instid0(SALU_CYCLE_1)
	s_and_not1_b32 vcc_lo, exec_lo, s2
	s_cbranch_vccz .LBB1901_4
.LBB1901_2:
	s_endpgm
.LBB1901_3:
.LBB1901_4:
	s_load_b64 s[2:3], s[0:1], 0x28
	s_lshl_b64 s[6:7], s[30:31], 2
	s_waitcnt lgkmcnt(0)
	s_add_u32 s2, s2, s6
	s_addc_u32 s3, s3, s7
	s_lshl_b32 s12, s14, 8
	s_load_b32 s24, s[2:3], 0x0
	s_waitcnt lgkmcnt(0)
	s_cmp_ge_i32 s12, s24
	s_cbranch_scc1 .LBB1901_2
; %bb.5:
	s_clause 0x1
	s_load_b128 s[20:23], s[0:1], 0x8
	s_load_b64 s[2:3], s[0:1], 0x20
	s_and_not1_b32 vcc_lo, exec_lo, s8
	s_cbranch_vccnz .LBB1901_7
; %bb.6:
	s_add_u32 s4, s4, s6
	s_addc_u32 s5, s5, s7
	s_load_b32 s5, s[4:5], 0x0
	s_branch .LBB1901_8
.LBB1901_7:
	s_mov_b32 s5, s30
.LBB1901_8:
	s_load_b128 s[16:19], s[0:1], 0x48
	v_and_b32_e32 v66, 15, v0
	v_lshrrev_b32_e32 v65, 5, v0
	v_and_b32_e32 v67, 31, v0
	v_and_b32_e32 v75, 1, v0
	v_bfe_u32 v74, v0, 4, 1
	v_lshlrev_b32_e32 v1, 3, v66
	s_lshl_b32 s29, s15, 4
	s_mov_b32 s4, exec_lo
	s_delay_alu instid0(VALU_DEP_1)
	v_lshlrev_b32_e32 v73, 1, v1
	v_cmpx_gt_u32_e32 0x100, v0
	s_cbranch_execz .LBB1901_10
; %bb.9:
	v_lshl_or_b32 v5, v65, 1, v74
	s_load_b64 s[6:7], s[0:1], 0x0
	s_waitcnt lgkmcnt(0)
	s_mul_hi_i32 s9, s5, s16
	s_mul_i32 s8, s5, s16
	v_lshlrev_b32_e32 v6, 10, v66
	v_or_b32_e32 v1, s29, v5
	s_lshl_b64 s[8:9], s[8:9], 1
	v_lshlrev_b32_e32 v5, 6, v5
	v_lshlrev_b32_e32 v7, 10, v75
	v_and_b32_e32 v6, 0x3800, v6
	v_lshlrev_b32_e32 v1, 7, v1
	s_delay_alu instid0(VALU_DEP_2) | instskip(NEXT) | instid1(VALU_DEP_2)
	v_or3_b32 v5, v6, v7, v5
	v_ashrrev_i32_e32 v2, 31, v1
	s_delay_alu instid0(VALU_DEP_1) | instskip(SKIP_2) | instid1(VALU_DEP_1)
	v_lshlrev_b64 v[1:2], 1, v[1:2]
	s_add_u32 s5, s6, s8
	s_addc_u32 s6, s7, s9
	v_add_co_u32 v1, vcc_lo, s5, v1
	s_delay_alu instid0(VALU_DEP_2) | instskip(NEXT) | instid1(VALU_DEP_2)
	v_add_co_ci_u32_e32 v2, vcc_lo, s6, v2, vcc_lo
	v_add_co_u32 v1, vcc_lo, v1, v73
	s_delay_alu instid0(VALU_DEP_2)
	v_add_co_ci_u32_e32 v2, vcc_lo, 0, v2, vcc_lo
	global_load_b128 v[1:4], v[1:2], off
	s_waitcnt vmcnt(0)
	ds_store_b128 v5, v[1:4]
.LBB1901_10:
	s_or_b32 exec_lo, exec_lo, s4
	v_and_b32_e32 v1, 0xef, v0
	s_waitcnt lgkmcnt(0)
	s_add_i32 s5, s24, 31
	s_clause 0x1
	s_load_b32 s4, s[0:1], 0x38
	s_load_b32 s19, s[0:1], 0x1c
	s_ashr_i32 s6, s5, 31
	v_add_nc_u32_e32 v1, s12, v1
	s_lshr_b32 s6, s6, 27
	s_waitcnt lgkmcnt(0)
	s_add_i32 s5, s5, s6
	s_barrier
	v_ashrrev_i32_e32 v2, 31, v1
	v_or_b32_e32 v3, 16, v1
	s_ashr_i32 s13, s5, 5
	v_cmp_gt_i32_e32 vcc_lo, s24, v1
	s_add_i32 s13, s13, -1
	v_lshrrev_b32_e32 v2, 27, v2
	buffer_gl0_inv
	s_mul_i32 s31, s15, s18
	v_add_nc_u32_e32 v4, v1, v2
	s_mul_i32 s4, s30, s4
	s_delay_alu instid0(SALU_CYCLE_1) | instskip(NEXT) | instid1(VALU_DEP_1)
	s_ashr_i32 s5, s4, 31
	v_ashrrev_i32_e32 v4, 5, v4
	v_add_nc_u32_e32 v2, v3, v2
	s_lshl_b64 s[4:5], s[4:5], 2
	s_delay_alu instid0(SALU_CYCLE_1) | instskip(NEXT) | instid1(VALU_DEP_2)
	s_add_u32 s25, s2, s4
	v_cndmask_b32_e32 v1, s13, v4, vcc_lo
	s_delay_alu instid0(VALU_DEP_2)
	v_ashrrev_i32_e32 v2, 5, v2
	v_cmp_gt_i32_e32 vcc_lo, s24, v3
	s_addc_u32 s28, s3, s5
	s_ashr_i32 s33, s31, 31
	s_add_u32 s4, s20, s31
	s_addc_u32 s5, s21, s33
	v_cndmask_b32_e32 v3, s13, v2, vcc_lo
	v_ashrrev_i32_e32 v2, 31, v1
	s_lshl_b32 s2, s14, 3
	s_delay_alu instid0(SALU_CYCLE_1) | instskip(NEXT) | instid1(VALU_DEP_2)
	s_ashr_i32 s3, s2, 31
	v_ashrrev_i32_e32 v4, 31, v3
	s_delay_alu instid0(VALU_DEP_2) | instskip(SKIP_1) | instid1(SALU_CYCLE_1)
	v_lshlrev_b64 v[1:2], 2, v[1:2]
	s_lshl_b64 s[2:3], s[2:3], 2
	s_add_u32 s2, s25, s2
	s_delay_alu instid0(VALU_DEP_2) | instskip(SKIP_1) | instid1(VALU_DEP_2)
	v_lshlrev_b64 v[3:4], 2, v[3:4]
	s_addc_u32 s3, s28, s3
	v_add_co_u32 v1, vcc_lo, s25, v1
	v_add_co_ci_u32_e32 v2, vcc_lo, s28, v2, vcc_lo
	s_delay_alu instid0(VALU_DEP_3) | instskip(NEXT) | instid1(VALU_DEP_4)
	v_add_co_u32 v3, vcc_lo, s25, v3
	v_add_co_ci_u32_e32 v4, vcc_lo, s28, v4, vcc_lo
	s_clause 0x1
	global_load_b32 v5, v[1:2], off
	global_load_b32 v6, v[3:4], off
	s_or_b32 s6, s12, 32
	s_delay_alu instid0(SALU_CYCLE_1) | instskip(SKIP_2) | instid1(SALU_CYCLE_1)
	s_ashr_i32 s7, s6, 5
	s_cmp_lt_i32 s6, s24
	s_cselect_b32 s6, s7, s13
	s_ashr_i32 s7, s6, 31
	s_delay_alu instid0(SALU_CYCLE_1) | instskip(NEXT) | instid1(SALU_CYCLE_1)
	s_lshl_b64 s[6:7], s[6:7], 2
	s_add_u32 s6, s25, s6
	s_addc_u32 s7, s28, s7
	s_or_b32 s8, s12, 64
	s_delay_alu instid0(SALU_CYCLE_1) | instskip(SKIP_2) | instid1(SALU_CYCLE_1)
	s_ashr_i32 s9, s8, 5
	s_cmp_lt_i32 s8, s24
	s_cselect_b32 s8, s9, s13
	s_ashr_i32 s9, s8, 31
	s_delay_alu instid0(SALU_CYCLE_1) | instskip(NEXT) | instid1(SALU_CYCLE_1)
	s_lshl_b64 s[8:9], s[8:9], 2
	s_add_u32 s8, s25, s8
	s_addc_u32 s9, s28, s9
	;; [unrolled: 10-line block ×5, first 2 shown]
	s_clause 0x5
	s_load_b32 s20, s[2:3], 0x0
	s_load_b32 s2, s[6:7], 0x0
	;; [unrolled: 1-line block ×6, first 2 shown]
	s_or_b32 s8, s12, 0xc0
	s_delay_alu instid0(SALU_CYCLE_1) | instskip(SKIP_2) | instid1(SALU_CYCLE_1)
	s_ashr_i32 s9, s8, 5
	s_cmp_lt_i32 s8, s24
	s_cselect_b32 s26, s9, s13
	s_ashr_i32 s27, s26, 31
	s_delay_alu instid0(SALU_CYCLE_1) | instskip(NEXT) | instid1(SALU_CYCLE_1)
	s_lshl_b64 s[26:27], s[26:27], 2
	s_add_u32 s26, s25, s26
	s_addc_u32 s27, s28, s27
	s_or_b32 s21, s12, 0xe0
	s_waitcnt vmcnt(1)
	v_mad_i64_i32 v[1:2], null, v5, s17, s[4:5]
	s_waitcnt vmcnt(0)
	v_mad_i64_i32 v[3:4], null, v6, s17, s[4:5]
	s_mov_b32 s4, 0
	s_delay_alu instid0(SALU_CYCLE_1)
	s_mov_b32 s5, s4
	s_mov_b32 s6, s4
	;; [unrolled: 1-line block ×7, first 2 shown]
	s_delay_alu instid0(SALU_CYCLE_1) | instskip(SKIP_2) | instid1(VALU_DEP_3)
	v_dual_mov_b32 v108, s11 :: v_dual_lshlrev_b32 v5, 4, v66
	v_mov_b32_e32 v104, s7
	v_dual_mov_b32 v105, s8 :: v_dual_lshlrev_b32 v76, 6, v66
	v_add_co_u32 v33, vcc_lo, v1, v5
	v_add_co_ci_u32_e32 v34, vcc_lo, 0, v2, vcc_lo
	v_add_co_u32 v35, vcc_lo, v3, v5
	v_add_co_ci_u32_e32 v36, vcc_lo, 0, v4, vcc_lo
	s_clause 0xf
	global_load_b128 v[1:4], v[33:34], off
	global_load_b128 v[5:8], v[33:34], off offset:512
	global_load_b128 v[9:12], v[35:36], off offset:256
	;; [unrolled: 1-line block ×15, first 2 shown]
	v_dual_mov_b32 v102, s5 :: v_dual_lshlrev_b32 v41, 5, v66
	v_dual_mov_b32 v107, s10 :: v_dual_mov_b32 v106, s9
	v_mov_b32_e32 v103, s6
	v_mov_b32_e32 v101, s4
	s_ashr_i32 s4, s21, 5
	s_cmp_lt_i32 s21, s24
	ds_load_b128 v[33:36], v76
	ds_load_b128 v[37:40], v76 offset:1024
	s_cselect_b32 s4, s4, s13
	ds_load_b128 v[109:112], v76 offset:2048
	ds_load_b128 v[113:116], v76 offset:3072
	s_ashr_i32 s5, s4, 31
	v_lshl_or_b32 v41, v65, 9, v41
	s_lshl_b64 s[4:5], s[4:5], 2
	s_load_b32 s6, s[26:27], 0x0
	s_add_u32 s4, s25, s4
	s_addc_u32 s5, s28, s5
	ds_load_b128 v[117:120], v76 offset:4096
	ds_load_b128 v[121:124], v76 offset:5120
	s_load_b32 s4, s[4:5], 0x0
	s_add_u32 s7, s22, s31
	s_addc_u32 s8, s23, s33
	v_add_co_u32 v68, s7, s7, v41
	s_delay_alu instid0(VALU_DEP_1) | instskip(SKIP_1) | instid1(VALU_DEP_1)
	v_add_co_ci_u32_e64 v69, null, s8, 0, s7
	s_waitcnt lgkmcnt(0)
	v_mad_i64_i32 v[41:42], null, s20, s17, v[68:69]
	v_mad_i64_i32 v[70:71], null, s3, s17, v[68:69]
	;; [unrolled: 1-line block ×7, first 2 shown]
	s_clause 0x3
	global_load_b128 v[49:52], v[41:42], off
	global_load_b128 v[53:56], v[41:42], off offset:16
	global_load_b128 v[41:44], v[45:46], off
	global_load_b128 v[45:48], v[45:46], off offset:16
	s_waitcnt vmcnt(18)
	v_wmma_f32_16x16x16_bf16 v[125:132], v[1:8], v[33:40], v[101:108]
	s_waitcnt vmcnt(16)
	v_wmma_f32_16x16x16_bf16 v[101:108], v[9:16], v[33:40], v[101:108]
	s_clause 0x1
	global_load_b128 v[33:36], v[70:71], off
	global_load_b128 v[37:40], v[70:71], off offset:16
	v_mad_i64_i32 v[70:71], null, s4, s17, v[68:69]
	s_waitcnt vmcnt(16)
	v_wmma_f32_16x16x16_bf16 v[125:132], v[17:24], v[109:116], v[125:132]
	s_waitcnt vmcnt(14)
	v_wmma_f32_16x16x16_bf16 v[101:108], v[25:32], v[109:116], v[101:108]
	s_clause 0x7
	global_load_b128 v[25:28], v[133:134], off
	global_load_b128 v[29:32], v[133:134], off offset:16
	global_load_b128 v[1:4], v[135:136], off
	global_load_b128 v[5:8], v[135:136], off offset:16
	;; [unrolled: 2-line block ×4, first 2 shown]
	s_waitcnt vmcnt(20)
	v_wmma_f32_16x16x16_bf16 v[125:132], v[57:64], v[117:124], v[125:132]
	s_clause 0x1
	global_load_b128 v[57:60], v[70:71], off
	global_load_b128 v[61:64], v[70:71], off offset:16
	s_waitcnt vmcnt(20)
	v_wmma_f32_16x16x16_bf16 v[101:108], v[77:84], v[117:124], v[101:108]
	ds_load_b128 v[77:80], v76 offset:6144
	ds_load_b128 v[81:84], v76 offset:7168
	v_and_b32_e32 v68, 0xe0, v0
	v_mbcnt_lo_u32_b32 v69, -1, 0
	s_waitcnt vmcnt(0) lgkmcnt(0)
	s_barrier
	buffer_gl0_inv
	v_add_nc_u32_e32 v68, s12, v68
	v_xor_b32_e32 v70, 16, v69
	s_delay_alu instid0(VALU_DEP_2) | instskip(NEXT) | instid1(VALU_DEP_2)
	v_or_b32_e32 v68, v68, v74
	v_cmp_gt_i32_e32 vcc_lo, 32, v70
	s_delay_alu instid0(VALU_DEP_2)
	v_or_b32_e32 v71, 4, v68
	v_or_b32_e32 v72, 6, v68
	v_cmp_gt_i32_e64 s2, s24, v68
	v_or_b32_e32 v109, 8, v68
	v_wmma_f32_16x16x16_bf16 v[125:132], v[85:92], v[77:84], v[125:132]
	v_cndmask_b32_e32 v69, v69, v70, vcc_lo
	v_or_b32_e32 v70, 2, v68
	v_wmma_f32_16x16x16_bf16 v[101:108], v[93:100], v[77:84], v[101:108]
	v_or_b32_e32 v85, 10, v68
	v_dual_mul_f32 v80, s19, v132 :: v_dual_mul_f32 v93, s19, v127
	v_dual_mul_f32 v94, s19, v126 :: v_dual_mul_f32 v95, s19, v125
	s_delay_alu instid0(VALU_DEP_4) | instskip(SKIP_2) | instid1(VALU_DEP_4)
	v_mul_f32_e32 v96, s19, v108
	v_cmp_gt_i32_e32 vcc_lo, s24, v70
	v_dual_mul_f32 v83, s19, v129 :: v_dual_mul_f32 v84, s19, v128
	v_cndmask_b32_e64 v95, 0xff7fffff, v95, s2
	v_cmp_gt_i32_e64 s3, s24, v71
	v_cndmask_b32_e32 v94, 0xff7fffff, v94, vcc_lo
	v_cmp_gt_i32_e64 s4, s24, v72
	v_or_b32_e32 v86, 12, v68
	v_or_b32_e32 v87, 14, v68
	v_dual_mul_f32 v81, s19, v131 :: v_dual_mul_f32 v82, s19, v130
	v_cndmask_b32_e64 v93, 0xff7fffff, v93, s3
	v_cndmask_b32_e64 v72, 0xff7fffff, v84, s4
	v_max3_f32 v84, v95, 0xff7fffff, v94
	v_cmp_gt_i32_e64 s5, s24, v109
	v_cmp_gt_i32_e64 s6, s24, v85
	v_or_b32_e32 v88, 16, v68
	v_or_b32_e32 v89, 18, v68
	v_max3_f32 v72, v84, v93, v72
	v_cndmask_b32_e64 v83, 0xff7fffff, v83, s5
	v_cndmask_b32_e64 v82, 0xff7fffff, v82, s6
	v_cmp_gt_i32_e64 s7, s24, v86
	v_cmp_gt_i32_e64 s8, s24, v87
	v_or_b32_e32 v90, 20, v68
	v_or_b32_e32 v91, 22, v68
	;; [unrolled: 1-line block ×6, first 2 shown]
	v_dual_mul_f32 v70, s19, v103 :: v_dual_mul_f32 v71, s19, v101
	v_mul_f32_e32 v68, s19, v102
	v_cndmask_b32_e64 v81, 0xff7fffff, v81, s7
	v_cndmask_b32_e64 v80, 0xff7fffff, v80, s8
	v_max3_f32 v72, v72, v83, v82
	v_cmp_gt_i32_e64 s9, s24, v88
	v_cmp_gt_i32_e64 s10, s24, v89
	v_dual_mul_f32 v99, s19, v105 :: v_dual_mul_f32 v100, s19, v104
	s_delay_alu instid0(VALU_DEP_4) | instskip(NEXT) | instid1(VALU_DEP_4)
	v_max3_f32 v72, v72, v81, v80
	v_cndmask_b32_e64 v71, 0xff7fffff, v71, s9
	s_delay_alu instid0(VALU_DEP_4) | instskip(SKIP_3) | instid1(VALU_DEP_4)
	v_cndmask_b32_e64 v68, 0xff7fffff, v68, s10
	v_cmp_gt_i32_e64 s11, s24, v90
	v_cmp_gt_i32_e64 s12, s24, v91
	v_dual_mul_f32 v97, s19, v107 :: v_dual_mul_f32 v98, s19, v106
	v_max3_f32 v68, v72, v71, v68
	s_delay_alu instid0(VALU_DEP_4) | instskip(NEXT) | instid1(VALU_DEP_4)
	v_cndmask_b32_e64 v70, 0xff7fffff, v70, s11
	v_cndmask_b32_e64 v80, 0xff7fffff, v100, s12
	v_cmp_gt_i32_e64 s13, s24, v92
	v_cmp_gt_i32_e64 s15, s24, v77
	;; [unrolled: 1-line block ×4, first 2 shown]
	v_max3_f32 v68, v68, v70, v80
	v_cndmask_b32_e64 v71, 0xff7fffff, v99, s13
	v_cndmask_b32_e64 v72, 0xff7fffff, v98, s15
	;; [unrolled: 1-line block ×4, first 2 shown]
	v_lshlrev_b32_e32 v90, 2, v69
	s_delay_alu instid0(VALU_DEP_4) | instskip(NEXT) | instid1(VALU_DEP_1)
	v_max3_f32 v68, v68, v71, v72
	v_max3_f32 v68, v68, v70, v77
	ds_bpermute_b32 v69, v90, v68
	s_waitcnt lgkmcnt(0)
	v_max_f32_e32 v69, v69, v69
	s_delay_alu instid0(VALU_DEP_1) | instskip(NEXT) | instid1(VALU_DEP_1)
	v_max_f32_e32 v81, v68, v69
	v_fma_f32 v68, s19, v125, -v81
	v_fma_f32 v69, s19, v126, -v81
	v_fma_f32 v70, s19, v127, -v81
	v_fma_f32 v71, s19, v128, -v81
	v_fma_f32 v72, s19, v129, -v81
	s_delay_alu instid0(VALU_DEP_4) | instskip(NEXT) | instid1(VALU_DEP_3)
	v_dual_mul_f32 v68, 0x3fb8aa3b, v68 :: v_dual_mul_f32 v69, 0x3fb8aa3b, v69
	v_dual_mul_f32 v70, 0x3fb8aa3b, v70 :: v_dual_mul_f32 v71, 0x3fb8aa3b, v71
	v_fma_f32 v78, s19, v131, -v81
	s_delay_alu instid0(VALU_DEP_3) | instskip(NEXT) | instid1(VALU_DEP_3)
	v_exp_f32_e32 v68, v68
	v_exp_f32_e32 v69, v69
	s_delay_alu instid0(VALU_DEP_2)
	v_exp_f32_e32 v70, v70
	v_mul_f32_e32 v72, 0x3fb8aa3b, v72
	v_exp_f32_e32 v71, v71
	v_mul_f32_e32 v78, 0x3fb8aa3b, v78
	v_fma_f32 v80, s19, v106, -v81
	v_cndmask_b32_e64 v82, 0, v68, s2
	s_delay_alu instid0(TRANS32_DEP_3) | instskip(SKIP_2) | instid1(TRANS32_DEP_3)
	v_cndmask_b32_e32 v77, 0, v69, vcc_lo
	v_fma_f32 v68, s19, v130, -v81
	v_exp_f32_e32 v72, v72
	v_cndmask_b32_e64 v83, 0, v70, s3
	v_add_f32_e32 v69, 0, v82
	v_fma_f32 v70, s19, v132, -v81
	v_mul_f32_e32 v68, 0x3fb8aa3b, v68
	v_cndmask_b32_e64 v85, 0, v71, s4
	v_fma_f32 v71, s19, v101, -v81
	s_delay_alu instid0(VALU_DEP_4) | instskip(NEXT) | instid1(VALU_DEP_4)
	v_dual_add_f32 v69, v69, v77 :: v_dual_mul_f32 v70, 0x3fb8aa3b, v70
	v_exp_f32_e32 v68, v68
	s_delay_alu instid0(TRANS32_DEP_2) | instskip(SKIP_1) | instid1(VALU_DEP_3)
	v_cndmask_b32_e64 v86, 0, v72, s5
	v_fma_f32 v72, s19, v102, -v81
	v_add_f32_e32 v69, v69, v83
	v_exp_f32_e32 v78, v78
	v_exp_f32_e32 v70, v70
	s_mov_b32 s2, exec_lo
	s_delay_alu instid0(VALU_DEP_1) | instskip(SKIP_1) | instid1(TRANS32_DEP_3)
	v_dual_mul_f32 v72, 0x3fb8aa3b, v72 :: v_dual_add_f32 v69, v69, v85
	v_mul_f32_e32 v71, 0x3fb8aa3b, v71
	v_cndmask_b32_e64 v87, 0, v68, s6
	s_delay_alu instid0(VALU_DEP_3) | instskip(NEXT) | instid1(VALU_DEP_3)
	v_exp_f32_e32 v72, v72
	v_add_f32_e32 v68, v69, v86
	v_fma_f32 v69, s19, v103, -v81
	v_exp_f32_e32 v71, v71
	v_cndmask_b32_e64 v84, 0, v78, s7
	v_fma_f32 v78, s19, v104, -v81
	s_delay_alu instid0(VALU_DEP_3) | instskip(SKIP_2) | instid1(VALU_DEP_3)
	v_dual_add_f32 v68, v68, v87 :: v_dual_mul_f32 v69, 0x3fb8aa3b, v69
	v_cndmask_b32_e64 v88, 0, v70, s8
	v_fma_f32 v70, s19, v105, -v81
	v_exp_f32_e32 v79, v69
	s_delay_alu instid0(TRANS32_DEP_2) | instskip(SKIP_1) | instid1(VALU_DEP_1)
	v_cndmask_b32_e64 v69, 0, v71, s9
	v_add_f32_e32 v68, v68, v84
	v_dual_mul_f32 v78, 0x3fb8aa3b, v78 :: v_dual_add_f32 v71, v68, v88
	s_delay_alu instid0(VALU_DEP_1) | instskip(SKIP_2) | instid1(VALU_DEP_3)
	v_exp_f32_e32 v78, v78
	v_cndmask_b32_e64 v68, 0, v72, s10
	v_fma_f32 v72, s19, v107, -v81
	v_dual_add_f32 v71, v71, v69 :: v_dual_mul_f32 v70, 0x3fb8aa3b, v70
	s_delay_alu instid0(VALU_DEP_1) | instskip(NEXT) | instid1(TRANS32_DEP_3)
	v_exp_f32_e32 v89, v70
	v_cndmask_b32_e64 v70, 0, v79, s11
	s_delay_alu instid0(VALU_DEP_2) | instskip(NEXT) | instid1(TRANS32_DEP_2)
	v_add_f32_e32 v79, v71, v68
	v_cndmask_b32_e64 v71, 0, v78, s12
	s_delay_alu instid0(VALU_DEP_2) | instskip(SKIP_2) | instid1(VALU_DEP_1)
	v_add_f32_e32 v78, v79, v70
	v_mul_f32_e32 v80, 0x3fb8aa3b, v80
	v_fma_f32 v79, s19, v108, -v81
	v_dual_mul_f32 v72, 0x3fb8aa3b, v72 :: v_dual_mul_f32 v79, 0x3fb8aa3b, v79
	s_delay_alu instid0(VALU_DEP_1) | instskip(NEXT) | instid1(TRANS32_DEP_2)
	v_exp_f32_e32 v91, v72
	v_cndmask_b32_e64 v72, 0, v89, s13
	v_add_f32_e32 v89, v78, v71
	v_exp_f32_e32 v80, v80
	s_waitcnt_depctr 0xfff
	v_cndmask_b32_e64 v78, 0, v80, s15
	v_add_f32_e32 v80, v89, v72
	v_exp_f32_e32 v89, v79
	v_cndmask_b32_e64 v79, 0, v91, s16
	s_delay_alu instid0(VALU_DEP_2) | instskip(NEXT) | instid1(VALU_DEP_1)
	v_add_f32_e32 v80, v80, v78
	v_add_f32_e32 v91, v80, v79
	s_waitcnt_depctr 0xfff
	v_cndmask_b32_e64 v80, 0, v89, s17
	s_delay_alu instid0(VALU_DEP_1)
	v_add_f32_e32 v89, v91, v80
	ds_bpermute_b32 v90, v90, v89
	v_cmpx_gt_u32_e32 16, v67
	s_cbranch_execz .LBB1901_12
; %bb.11:
	v_mul_u32_u24_e32 v67, 0x44, v65
	s_waitcnt lgkmcnt(0)
	v_add_f32_e32 v89, v89, v90
	s_delay_alu instid0(VALU_DEP_2) | instskip(NEXT) | instid1(VALU_DEP_1)
	v_lshl_add_u32 v67, v66, 2, v67
	v_add_nc_u32_e32 v67, 0x4000, v67
	ds_store_2addr_b32 v67, v81, v89 offset1:136
.LBB1901_12:
	s_or_b32 exec_lo, exec_lo, s2
	v_lshlrev_b32_e32 v66, 2, v66
	s_waitcnt lgkmcnt(0)
	s_barrier
	buffer_gl0_inv
	v_cmp_eq_u32_e32 vcc_lo, 1, v65
	v_add_nc_u32_e32 v81, 0x4000, v66
	v_cmp_eq_u32_e64 s2, 2, v65
	v_cmp_eq_u32_e64 s4, 7, v65
	ds_load_2addr_b32 v[89:90], v81 offset1:17
	ds_load_2addr_b32 v[91:92], v81 offset0:34 offset1:51
	ds_load_2addr_b32 v[93:94], v81 offset0:68 offset1:85
	;; [unrolled: 1-line block ×4, first 2 shown]
	s_waitcnt lgkmcnt(4)
	v_max3_f32 v66, v89, 0xff7fffff, v90
	s_waitcnt lgkmcnt(3)
	s_delay_alu instid0(VALU_DEP_1) | instskip(SKIP_1) | instid1(VALU_DEP_1)
	v_max3_f32 v66, v66, v91, v92
	s_waitcnt lgkmcnt(2)
	v_max3_f32 v66, v66, v93, v94
	s_waitcnt lgkmcnt(1)
	s_delay_alu instid0(VALU_DEP_1) | instskip(NEXT) | instid1(VALU_DEP_1)
	v_max3_f32 v66, v66, v95, v96
	v_sub_f32_e32 v67, v89, v66
	v_sub_f32_e32 v91, v91, v66
	;; [unrolled: 1-line block ×3, first 2 shown]
	s_delay_alu instid0(VALU_DEP_3) | instskip(NEXT) | instid1(VALU_DEP_3)
	v_mul_f32_e32 v67, 0x3fb8aa3b, v67
	v_mul_f32_e32 v101, 0x3fb8aa3b, v91
	s_delay_alu instid0(VALU_DEP_3) | instskip(NEXT) | instid1(VALU_DEP_3)
	v_mul_f32_e32 v103, 0x3fb8aa3b, v93
	v_exp_f32_e32 v100, v67
	v_sub_f32_e32 v67, v92, v66
	v_sub_f32_e32 v99, v90, v66
	ds_load_2addr_b32 v[89:90], v81 offset0:170 offset1:187
	ds_load_2addr_b32 v[91:92], v81 offset0:204 offset1:221
	v_exp_f32_e32 v101, v101
	v_mul_f32_e32 v102, 0x3fb8aa3b, v67
	v_mul_f32_e32 v99, 0x3fb8aa3b, v99
	s_waitcnt lgkmcnt(2)
	v_fma_f32 v67, v100, v97, 0
	v_sub_f32_e32 v97, v94, v66
	s_delay_alu instid0(VALU_DEP_3)
	v_exp_f32_e32 v99, v99
	v_exp_f32_e32 v102, v102
	ds_load_2addr_b32 v[93:94], v81 offset0:238 offset1:255
	v_sub_f32_e32 v81, v95, v66
	v_mul_f32_e32 v95, 0x3fb8aa3b, v97
	v_exp_f32_e32 v97, v103
	s_waitcnt lgkmcnt(0)
	s_barrier
	v_mul_f32_e32 v81, 0x3fb8aa3b, v81
	v_exp_f32_e32 v95, v95
	v_fmac_f32_e32 v67, v99, v98
	buffer_gl0_inv
	v_exp_f32_e32 v81, v81
	v_fmac_f32_e32 v67, v101, v89
	v_sub_f32_e32 v89, v96, v66
	s_delay_alu instid0(VALU_DEP_2) | instskip(NEXT) | instid1(VALU_DEP_2)
	v_fmac_f32_e32 v67, v102, v90
	v_mul_f32_e32 v89, 0x3fb8aa3b, v89
	s_delay_alu instid0(VALU_DEP_2) | instskip(NEXT) | instid1(VALU_DEP_2)
	v_fmac_f32_e32 v67, v97, v91
	v_exp_f32_e32 v89, v89
	s_delay_alu instid0(VALU_DEP_1)
	v_fmac_f32_e32 v67, v95, v92
	s_delay_alu instid0(TRANS32_DEP_2) | instid1(VALU_DEP_1)
	v_fmac_f32_e32 v67, v81, v93
	s_waitcnt_depctr 0xfff
	v_fmac_f32_e32 v67, v89, v94
	s_delay_alu instid0(VALU_DEP_1) | instskip(NEXT) | instid1(VALU_DEP_1)
	v_add_f32_e32 v90, 0x358637bd, v67
	v_div_scale_f32 v91, null, v90, v90, 1.0
	v_div_scale_f32 v94, s3, 1.0, v90, 1.0
	s_delay_alu instid0(VALU_DEP_2) | instskip(SKIP_2) | instid1(VALU_DEP_1)
	v_rcp_f32_e32 v92, v91
	s_waitcnt_depctr 0xfff
	v_fma_f32 v93, -v91, v92, 1.0
	v_dual_fmac_f32 v92, v93, v92 :: v_dual_cndmask_b32 v93, v100, v99
	v_cmp_eq_u32_e32 vcc_lo, 3, v65
	s_delay_alu instid0(VALU_DEP_2) | instskip(NEXT) | instid1(VALU_DEP_3)
	v_mul_f32_e32 v96, v94, v92
	v_cndmask_b32_e64 v93, v93, v101, s2
	v_cmp_eq_u32_e64 s2, 4, v65
	s_delay_alu instid0(VALU_DEP_3) | instskip(NEXT) | instid1(VALU_DEP_3)
	v_fma_f32 v98, -v91, v96, v94
	v_cndmask_b32_e32 v93, v93, v102, vcc_lo
	v_cmp_eq_u32_e32 vcc_lo, 5, v65
	s_delay_alu instid0(VALU_DEP_3) | instskip(NEXT) | instid1(VALU_DEP_3)
	v_fmac_f32_e32 v96, v98, v92
	v_cndmask_b32_e64 v93, v93, v97, s2
	v_cmp_eq_u32_e64 s2, 6, v65
	s_delay_alu instid0(VALU_DEP_3) | instskip(NEXT) | instid1(VALU_DEP_3)
	v_fma_f32 v91, -v91, v96, v94
	v_cndmask_b32_e32 v93, v93, v95, vcc_lo
	s_mov_b32 vcc_lo, s3
	s_delay_alu instid0(VALU_DEP_2) | instskip(NEXT) | instid1(VALU_DEP_2)
	v_div_fmas_f32 v91, v91, v92, v96
	v_cndmask_b32_e64 v81, v93, v81, s2
	s_mov_b32 s2, exec_lo
	s_delay_alu instid0(VALU_DEP_2) | instskip(NEXT) | instid1(VALU_DEP_2)
	v_div_fixup_f32 v90, v91, v90, 1.0
	v_cndmask_b32_e64 v81, v81, v89, s4
	s_delay_alu instid0(VALU_DEP_1) | instskip(NEXT) | instid1(VALU_DEP_1)
	v_mul_f32_e32 v81, v81, v90
	v_mul_f32_e32 v90, v81, v82
	;; [unrolled: 1-line block ×6, first 2 shown]
	v_dual_mul_f32 v86, v81, v83 :: v_dual_and_b32 v91, 0x7f800000, v90
	v_mul_f32_e32 v89, v81, v85
	v_mul_f32_e32 v85, v81, v77
                                        ; implicit-def: $vgpr77
	s_delay_alu instid0(VALU_DEP_3)
	v_cmpx_ne_u32_e32 0x7f800000, v91
	s_xor_b32 s2, exec_lo, s2
; %bb.13:
	v_bfe_u32 v77, v90, 16, 1
	s_delay_alu instid0(VALU_DEP_1)
	v_add3_u32 v77, v90, v77, 0x7fff
                                        ; implicit-def: $vgpr90
; %bb.14:
	s_and_not1_saveexec_b32 s2, s2
; %bb.15:
	v_and_b32_e32 v77, 0xffff, v90
	v_or_b32_e32 v83, 0x10000, v90
	s_delay_alu instid0(VALU_DEP_2) | instskip(NEXT) | instid1(VALU_DEP_2)
	v_cmp_eq_u32_e32 vcc_lo, 0, v77
	v_cndmask_b32_e32 v77, v83, v90, vcc_lo
; %bb.16:
	s_or_b32 exec_lo, exec_lo, s2
	v_and_b32_e32 v83, 0x7f800000, v85
	s_delay_alu instid0(VALU_DEP_1) | instskip(SKIP_1) | instid1(SALU_CYCLE_1)
	v_cmp_ne_u32_e32 vcc_lo, 0x7f800000, v83
                                        ; implicit-def: $vgpr83
	s_and_saveexec_b32 s2, vcc_lo
	s_xor_b32 s2, exec_lo, s2
; %bb.17:
	v_bfe_u32 v83, v85, 16, 1
	s_delay_alu instid0(VALU_DEP_1)
	v_add3_u32 v83, v85, v83, 0x7fff
                                        ; implicit-def: $vgpr85
; %bb.18:
	s_and_not1_saveexec_b32 s2, s2
; %bb.19:
	v_and_b32_e32 v83, 0xffff, v85
	v_or_b32_e32 v90, 0x10000, v85
	s_delay_alu instid0(VALU_DEP_2) | instskip(NEXT) | instid1(VALU_DEP_2)
	v_cmp_eq_u32_e32 vcc_lo, 0, v83
	v_cndmask_b32_e32 v83, v90, v85, vcc_lo
; %bb.20:
	s_or_b32 exec_lo, exec_lo, s2
	v_and_b32_e32 v85, 0x7f800000, v86
	s_delay_alu instid0(VALU_DEP_1) | instskip(SKIP_1) | instid1(SALU_CYCLE_1)
	v_cmp_ne_u32_e32 vcc_lo, 0x7f800000, v85
                                        ; implicit-def: $vgpr85
	s_and_saveexec_b32 s2, vcc_lo
	s_xor_b32 s2, exec_lo, s2
; %bb.21:
	v_bfe_u32 v85, v86, 16, 1
	s_delay_alu instid0(VALU_DEP_1)
	v_add3_u32 v85, v86, v85, 0x7fff
                                        ; implicit-def: $vgpr86
; %bb.22:
	s_and_not1_saveexec_b32 s2, s2
; %bb.23:
	v_and_b32_e32 v85, 0xffff, v86
	v_or_b32_e32 v90, 0x10000, v86
	s_delay_alu instid0(VALU_DEP_2) | instskip(NEXT) | instid1(VALU_DEP_2)
	v_cmp_eq_u32_e32 vcc_lo, 0, v85
	v_cndmask_b32_e32 v85, v90, v86, vcc_lo
; %bb.24:
	s_or_b32 exec_lo, exec_lo, s2
	v_and_b32_e32 v86, 0x7f800000, v89
	s_delay_alu instid0(VALU_DEP_1) | instskip(SKIP_1) | instid1(SALU_CYCLE_1)
	v_cmp_ne_u32_e32 vcc_lo, 0x7f800000, v86
                                        ; implicit-def: $vgpr86
	s_and_saveexec_b32 s2, vcc_lo
	s_xor_b32 s2, exec_lo, s2
; %bb.25:
	v_bfe_u32 v86, v89, 16, 1
	s_delay_alu instid0(VALU_DEP_1)
	v_add3_u32 v86, v89, v86, 0x7fff
                                        ; implicit-def: $vgpr89
; %bb.26:
	s_and_not1_saveexec_b32 s2, s2
; %bb.27:
	v_and_b32_e32 v86, 0xffff, v89
	v_or_b32_e32 v90, 0x10000, v89
	s_delay_alu instid0(VALU_DEP_2) | instskip(NEXT) | instid1(VALU_DEP_2)
	v_cmp_eq_u32_e32 vcc_lo, 0, v86
	v_cndmask_b32_e32 v86, v90, v89, vcc_lo
; %bb.28:
	s_or_b32 exec_lo, exec_lo, s2
	v_and_b32_e32 v89, 0x7f800000, v88
	s_delay_alu instid0(VALU_DEP_1) | instskip(SKIP_1) | instid1(SALU_CYCLE_1)
	v_cmp_ne_u32_e32 vcc_lo, 0x7f800000, v89
                                        ; implicit-def: $vgpr89
	s_and_saveexec_b32 s2, vcc_lo
	s_xor_b32 s2, exec_lo, s2
; %bb.29:
	v_bfe_u32 v89, v88, 16, 1
	s_delay_alu instid0(VALU_DEP_1)
	v_add3_u32 v89, v88, v89, 0x7fff
                                        ; implicit-def: $vgpr88
; %bb.30:
	s_and_not1_saveexec_b32 s2, s2
; %bb.31:
	v_and_b32_e32 v89, 0xffff, v88
	v_or_b32_e32 v90, 0x10000, v88
	s_delay_alu instid0(VALU_DEP_2) | instskip(NEXT) | instid1(VALU_DEP_2)
	v_cmp_eq_u32_e32 vcc_lo, 0, v89
	v_cndmask_b32_e32 v89, v90, v88, vcc_lo
; %bb.32:
	s_or_b32 exec_lo, exec_lo, s2
	v_and_b32_e32 v88, 0x7f800000, v87
	s_delay_alu instid0(VALU_DEP_1) | instskip(SKIP_1) | instid1(SALU_CYCLE_1)
	v_cmp_ne_u32_e32 vcc_lo, 0x7f800000, v88
                                        ; implicit-def: $vgpr88
	s_and_saveexec_b32 s2, vcc_lo
	s_xor_b32 s2, exec_lo, s2
; %bb.33:
	v_bfe_u32 v88, v87, 16, 1
	s_delay_alu instid0(VALU_DEP_1)
	v_add3_u32 v88, v87, v88, 0x7fff
                                        ; implicit-def: $vgpr87
; %bb.34:
	s_and_not1_saveexec_b32 s2, s2
; %bb.35:
	v_and_b32_e32 v88, 0xffff, v87
	v_or_b32_e32 v90, 0x10000, v87
	s_delay_alu instid0(VALU_DEP_2) | instskip(NEXT) | instid1(VALU_DEP_2)
	v_cmp_eq_u32_e32 vcc_lo, 0, v88
	v_cndmask_b32_e32 v88, v90, v87, vcc_lo
; %bb.36:
	s_or_b32 exec_lo, exec_lo, s2
	v_and_b32_e32 v87, 0x7f800000, v84
	s_delay_alu instid0(VALU_DEP_1) | instskip(SKIP_1) | instid1(SALU_CYCLE_1)
	v_cmp_ne_u32_e32 vcc_lo, 0x7f800000, v87
                                        ; implicit-def: $vgpr87
	s_and_saveexec_b32 s2, vcc_lo
	s_xor_b32 s2, exec_lo, s2
; %bb.37:
	v_bfe_u32 v87, v84, 16, 1
	s_delay_alu instid0(VALU_DEP_1)
	v_add3_u32 v87, v84, v87, 0x7fff
                                        ; implicit-def: $vgpr84
; %bb.38:
	s_and_not1_saveexec_b32 s2, s2
; %bb.39:
	v_and_b32_e32 v87, 0xffff, v84
	v_or_b32_e32 v90, 0x10000, v84
	s_delay_alu instid0(VALU_DEP_2) | instskip(NEXT) | instid1(VALU_DEP_2)
	v_cmp_eq_u32_e32 vcc_lo, 0, v87
	v_cndmask_b32_e32 v87, v90, v84, vcc_lo
; %bb.40:
	s_or_b32 exec_lo, exec_lo, s2
	v_and_b32_e32 v84, 0x7f800000, v82
	s_delay_alu instid0(VALU_DEP_1) | instskip(SKIP_1) | instid1(SALU_CYCLE_1)
	v_cmp_ne_u32_e32 vcc_lo, 0x7f800000, v84
                                        ; implicit-def: $vgpr84
	s_and_saveexec_b32 s2, vcc_lo
	s_xor_b32 s2, exec_lo, s2
; %bb.41:
	v_bfe_u32 v84, v82, 16, 1
	s_delay_alu instid0(VALU_DEP_1)
	v_add3_u32 v84, v82, v84, 0x7fff
                                        ; implicit-def: $vgpr82
; %bb.42:
	s_and_not1_saveexec_b32 s2, s2
; %bb.43:
	v_and_b32_e32 v84, 0xffff, v82
	v_or_b32_e32 v90, 0x10000, v82
	s_delay_alu instid0(VALU_DEP_2) | instskip(NEXT) | instid1(VALU_DEP_2)
	v_cmp_eq_u32_e32 vcc_lo, 0, v84
	v_cndmask_b32_e32 v84, v90, v82, vcc_lo
; %bb.44:
	s_or_b32 exec_lo, exec_lo, s2
	s_load_b64 s[34:35], s[0:1], 0x94
	v_lshlrev_b32_e32 v82, 4, v74
	s_delay_alu instid0(VALU_DEP_2)
	v_perm_b32 v90, v84, v87, 0x7060302
	v_lshlrev_b32_e32 v84, 11, v65
	v_perm_b32 v87, v83, v77, 0x7060302
	v_mul_f32_e32 v83, v81, v69
	v_mul_f32_e32 v69, v81, v80
	v_perm_b32 v89, v88, v89, 0x7060302
	v_perm_b32 v88, v86, v85, 0x7060302
	v_or3_b32 v77, v82, v84, v76
	v_mul_f32_e32 v79, v81, v79
	v_mul_f32_e32 v78, v81, v78
	v_and_b32_e32 v84, 0x7f800000, v83
	v_mul_f32_e32 v72, v81, v72
	v_mul_f32_e32 v82, v81, v71
	;; [unrolled: 1-line block ×4, first 2 shown]
	s_mov_b32 s2, exec_lo
	ds_store_b128 v77, v[87:90]
                                        ; implicit-def: $vgpr68
	v_cmpx_ne_u32_e32 0x7f800000, v84
	s_xor_b32 s2, exec_lo, s2
; %bb.45:
	v_bfe_u32 v68, v83, 16, 1
	s_delay_alu instid0(VALU_DEP_1)
	v_add3_u32 v68, v83, v68, 0x7fff
                                        ; implicit-def: $vgpr83
; %bb.46:
	s_and_not1_saveexec_b32 s2, s2
; %bb.47:
	v_and_b32_e32 v68, 0xffff, v83
	v_or_b32_e32 v70, 0x10000, v83
	s_delay_alu instid0(VALU_DEP_2) | instskip(NEXT) | instid1(VALU_DEP_2)
	v_cmp_eq_u32_e32 vcc_lo, 0, v68
	v_cndmask_b32_e32 v68, v70, v83, vcc_lo
; %bb.48:
	s_or_b32 exec_lo, exec_lo, s2
	v_and_b32_e32 v70, 0x7f800000, v71
	s_delay_alu instid0(VALU_DEP_1) | instskip(SKIP_1) | instid1(SALU_CYCLE_1)
	v_cmp_ne_u32_e32 vcc_lo, 0x7f800000, v70
                                        ; implicit-def: $vgpr70
	s_and_saveexec_b32 s2, vcc_lo
	s_xor_b32 s2, exec_lo, s2
; %bb.49:
	v_bfe_u32 v70, v71, 16, 1
	s_delay_alu instid0(VALU_DEP_1)
	v_add3_u32 v70, v71, v70, 0x7fff
                                        ; implicit-def: $vgpr71
; %bb.50:
	s_and_not1_saveexec_b32 s2, s2
; %bb.51:
	v_and_b32_e32 v70, 0xffff, v71
	v_or_b32_e32 v81, 0x10000, v71
	s_delay_alu instid0(VALU_DEP_2) | instskip(NEXT) | instid1(VALU_DEP_2)
	v_cmp_eq_u32_e32 vcc_lo, 0, v70
	v_cndmask_b32_e32 v70, v81, v71, vcc_lo
; %bb.52:
	s_or_b32 exec_lo, exec_lo, s2
	v_and_b32_e32 v71, 0x7f800000, v80
	s_delay_alu instid0(VALU_DEP_1) | instskip(SKIP_1) | instid1(SALU_CYCLE_1)
	v_cmp_ne_u32_e32 vcc_lo, 0x7f800000, v71
                                        ; implicit-def: $vgpr71
	s_and_saveexec_b32 s2, vcc_lo
	s_xor_b32 s2, exec_lo, s2
; %bb.53:
	v_bfe_u32 v71, v80, 16, 1
	s_delay_alu instid0(VALU_DEP_1)
	v_add3_u32 v71, v80, v71, 0x7fff
                                        ; implicit-def: $vgpr80
; %bb.54:
	s_and_not1_saveexec_b32 s2, s2
; %bb.55:
	v_and_b32_e32 v71, 0xffff, v80
	v_or_b32_e32 v81, 0x10000, v80
	s_delay_alu instid0(VALU_DEP_2) | instskip(NEXT) | instid1(VALU_DEP_2)
	v_cmp_eq_u32_e32 vcc_lo, 0, v71
	v_cndmask_b32_e32 v71, v81, v80, vcc_lo
; %bb.56:
	s_or_b32 exec_lo, exec_lo, s2
	v_and_b32_e32 v80, 0x7f800000, v82
	s_delay_alu instid0(VALU_DEP_1) | instskip(SKIP_1) | instid1(SALU_CYCLE_1)
	v_cmp_ne_u32_e32 vcc_lo, 0x7f800000, v80
                                        ; implicit-def: $vgpr80
	s_and_saveexec_b32 s2, vcc_lo
	s_xor_b32 s2, exec_lo, s2
; %bb.57:
	v_bfe_u32 v80, v82, 16, 1
	s_delay_alu instid0(VALU_DEP_1)
	v_add3_u32 v80, v82, v80, 0x7fff
                                        ; implicit-def: $vgpr82
; %bb.58:
	s_and_not1_saveexec_b32 s2, s2
; %bb.59:
	v_and_b32_e32 v80, 0xffff, v82
	v_or_b32_e32 v81, 0x10000, v82
	s_delay_alu instid0(VALU_DEP_2) | instskip(NEXT) | instid1(VALU_DEP_2)
	v_cmp_eq_u32_e32 vcc_lo, 0, v80
	v_cndmask_b32_e32 v80, v81, v82, vcc_lo
; %bb.60:
	s_or_b32 exec_lo, exec_lo, s2
	v_and_b32_e32 v81, 0x7f800000, v72
	s_delay_alu instid0(VALU_DEP_1) | instskip(SKIP_1) | instid1(SALU_CYCLE_1)
	v_cmp_ne_u32_e32 vcc_lo, 0x7f800000, v81
                                        ; implicit-def: $vgpr81
	s_and_saveexec_b32 s2, vcc_lo
	s_xor_b32 s2, exec_lo, s2
; %bb.61:
	v_bfe_u32 v81, v72, 16, 1
	s_delay_alu instid0(VALU_DEP_1)
	v_add3_u32 v81, v72, v81, 0x7fff
                                        ; implicit-def: $vgpr72
; %bb.62:
	s_and_not1_saveexec_b32 s2, s2
; %bb.63:
	v_and_b32_e32 v81, 0xffff, v72
	v_or_b32_e32 v82, 0x10000, v72
	s_delay_alu instid0(VALU_DEP_2) | instskip(NEXT) | instid1(VALU_DEP_2)
	v_cmp_eq_u32_e32 vcc_lo, 0, v81
	v_cndmask_b32_e32 v81, v82, v72, vcc_lo
; %bb.64:
	s_or_b32 exec_lo, exec_lo, s2
	v_and_b32_e32 v72, 0x7f800000, v78
	s_delay_alu instid0(VALU_DEP_1) | instskip(SKIP_1) | instid1(SALU_CYCLE_1)
	v_cmp_ne_u32_e32 vcc_lo, 0x7f800000, v72
                                        ; implicit-def: $vgpr72
	s_and_saveexec_b32 s2, vcc_lo
	s_xor_b32 s2, exec_lo, s2
; %bb.65:
	v_bfe_u32 v72, v78, 16, 1
	s_delay_alu instid0(VALU_DEP_1)
	v_add3_u32 v72, v78, v72, 0x7fff
                                        ; implicit-def: $vgpr78
; %bb.66:
	s_and_not1_saveexec_b32 s2, s2
; %bb.67:
	v_and_b32_e32 v72, 0xffff, v78
	v_or_b32_e32 v82, 0x10000, v78
	s_delay_alu instid0(VALU_DEP_2) | instskip(NEXT) | instid1(VALU_DEP_2)
	v_cmp_eq_u32_e32 vcc_lo, 0, v72
	v_cndmask_b32_e32 v72, v82, v78, vcc_lo
; %bb.68:
	s_or_b32 exec_lo, exec_lo, s2
	v_and_b32_e32 v78, 0x7f800000, v79
	s_delay_alu instid0(VALU_DEP_1) | instskip(SKIP_1) | instid1(SALU_CYCLE_1)
	v_cmp_ne_u32_e32 vcc_lo, 0x7f800000, v78
                                        ; implicit-def: $vgpr78
	s_and_saveexec_b32 s2, vcc_lo
	s_xor_b32 s2, exec_lo, s2
; %bb.69:
	v_bfe_u32 v78, v79, 16, 1
	s_delay_alu instid0(VALU_DEP_1)
	v_add3_u32 v78, v79, v78, 0x7fff
                                        ; implicit-def: $vgpr79
; %bb.70:
	s_and_not1_saveexec_b32 s2, s2
; %bb.71:
	v_and_b32_e32 v78, 0xffff, v79
	v_or_b32_e32 v82, 0x10000, v79
	s_delay_alu instid0(VALU_DEP_2) | instskip(NEXT) | instid1(VALU_DEP_2)
	v_cmp_eq_u32_e32 vcc_lo, 0, v78
	v_cndmask_b32_e32 v78, v82, v79, vcc_lo
; %bb.72:
	s_or_b32 exec_lo, exec_lo, s2
	v_and_b32_e32 v79, 0x7f800000, v69
	s_delay_alu instid0(VALU_DEP_1) | instskip(SKIP_1) | instid1(SALU_CYCLE_1)
	v_cmp_ne_u32_e32 vcc_lo, 0x7f800000, v79
                                        ; implicit-def: $vgpr79
	s_and_saveexec_b32 s2, vcc_lo
	s_xor_b32 s2, exec_lo, s2
; %bb.73:
	v_bfe_u32 v79, v69, 16, 1
	s_delay_alu instid0(VALU_DEP_1)
	v_add3_u32 v79, v69, v79, 0x7fff
                                        ; implicit-def: $vgpr69
; %bb.74:
	s_and_not1_saveexec_b32 s2, s2
; %bb.75:
	v_and_b32_e32 v79, 0xffff, v69
	v_or_b32_e32 v82, 0x10000, v69
	s_delay_alu instid0(VALU_DEP_2) | instskip(NEXT) | instid1(VALU_DEP_2)
	v_cmp_eq_u32_e32 vcc_lo, 0, v79
	v_cndmask_b32_e32 v79, v82, v69, vcc_lo
; %bb.76:
	s_or_b32 exec_lo, exec_lo, s2
	s_delay_alu instid0(VALU_DEP_1)
	v_perm_b32 v86, v79, v78, 0x7060302
	v_perm_b32 v85, v72, v81, 0x7060302
	;; [unrolled: 1-line block ×4, first 2 shown]
	v_lshl_or_b32 v82, v65, 11, v76
	v_lshlrev_b32_e32 v79, 2, v74
	ds_store_b128 v77, v[83:86] offset:1024
	s_waitcnt lgkmcnt(0)
	s_barrier
	buffer_gl0_inv
	ds_load_b128 v[68:71], v82
	ds_load_b128 v[83:86], v82 offset:16
	v_or_b32_e32 v80, 1, v79
	v_cmp_eq_u32_e32 vcc_lo, 1, v79
	v_cmp_eq_u32_e64 s3, 2, v79
	v_cmp_eq_u32_e64 s6, 3, v79
	;; [unrolled: 1-line block ×6, first 2 shown]
	v_or_b32_e32 v78, 2, v79
	v_cmp_eq_u32_e64 s9, 5, v79
	v_cmp_eq_u32_e64 s10, 4, v80
	;; [unrolled: 1-line block ×9, first 2 shown]
	s_waitcnt lgkmcnt(1)
	v_lshrrev_b32_e32 v65, 16, v68
	s_waitcnt lgkmcnt(0)
	v_lshrrev_b32_e32 v91, 16, v83
	v_lshrrev_b32_e32 v72, 16, v69
	;; [unrolled: 1-line block ×4, first 2 shown]
	v_cndmask_b32_e32 v81, v68, v65, vcc_lo
	v_cndmask_b32_e32 v87, v83, v91, vcc_lo
	v_cndmask_b32_e64 v88, v68, v65, s2
	v_lshrrev_b32_e32 v98, 16, v85
	v_cndmask_b32_e64 v89, v83, v91, s2
	v_cndmask_b32_e64 v81, v81, v69, s3
	v_cndmask_b32_e64 v87, v87, v84, s3
	v_cndmask_b32_e64 v88, v88, v69, s5
	v_lshrrev_b32_e32 v96, 16, v71
	v_cndmask_b32_e64 v89, v89, v84, s5
	v_cndmask_b32_e64 v81, v81, v72, s6
	v_cndmask_b32_e64 v87, v87, v97, s6
	;; [unrolled: 5-line block ×3, first 2 shown]
	v_cndmask_b32_e64 v88, v88, v70, s10
	v_cndmask_b32_e64 v89, v89, v97, s7
	v_cmp_eq_u32_e64 s18, 3, v78
	v_cndmask_b32_e64 v81, v81, v95, s9
	v_cndmask_b32_e64 v87, v87, v98, s9
	;; [unrolled: 1-line block ×4, first 2 shown]
	v_cmp_eq_u32_e64 s19, 4, v78
	v_cndmask_b32_e64 v81, v81, v71, s11
	v_cndmask_b32_e64 v87, v87, v86, s11
	;; [unrolled: 1-line block ×3, first 2 shown]
	v_cmp_eq_u32_e64 s21, 5, v78
	v_cmp_eq_u32_e64 s23, 6, v78
	v_cndmask_b32_e64 v100, v81, v96, s13
	v_cndmask_b32_e64 v101, v87, v99, s13
	;; [unrolled: 1-line block ×6, first 2 shown]
	v_cmp_eq_u32_e64 s26, 7, v78
	v_cndmask_b32_e64 v89, v81, v72, s18
	v_cndmask_b32_e64 v87, v87, v84, s16
	v_or_b32_e32 v81, 3, v79
	v_cndmask_b32_e64 v103, v88, v86, s15
	s_delay_alu instid0(VALU_DEP_4) | instskip(NEXT) | instid1(VALU_DEP_4)
	v_cndmask_b32_e64 v92, v89, v70, s19
	v_cndmask_b32_e64 v93, v87, v97, s18
	s_delay_alu instid0(VALU_DEP_4)
	v_cmp_eq_u32_e64 s20, 1, v81
	ds_load_b128 v[87:90], v82 offset:1024
	v_cmp_eq_u32_e64 s22, 2, v81
	v_cndmask_b32_e64 v104, v92, v95, s21
	v_cmp_eq_u32_e64 s24, 3, v81
	v_cndmask_b32_e64 v65, v68, v65, s20
	v_cndmask_b32_e64 v68, v93, v85, s19
	;; [unrolled: 1-line block ×3, first 2 shown]
	ds_load_b128 v[91:94], v82 offset:1040
	v_cmp_eq_u32_e64 s25, 4, v81
	v_cndmask_b32_e64 v65, v65, v69, s22
	v_cmp_eq_u32_e64 s27, 5, v81
	v_cndmask_b32_e64 v69, v83, v84, s22
	;; [unrolled: 2-line block ×3, first 2 shown]
	v_cndmask_b32_e64 v65, v65, v72, s24
	v_cndmask_b32_e64 v72, v104, v71, s23
	v_cndmask_b32_e64 v69, v69, v97, s24
	v_cndmask_b32_e64 v83, v103, v99, s17
	v_cndmask_b32_e64 v68, v68, v86, s23
	v_cndmask_b32_e64 v65, v65, v70, s25
	s_waitcnt lgkmcnt(1)
	v_lshrrev_b32_e32 v84, 16, v87
	v_cndmask_b32_e64 v69, v69, v85, s25
	v_cndmask_b32_e64 v70, v72, v96, s26
	v_cndmask_b32_e64 v68, v68, v99, s26
	v_cndmask_b32_e64 v65, v65, v95, s27
	v_cndmask_b32_e32 v72, v87, v84, vcc_lo
	v_cndmask_b32_e64 v69, v69, v98, s27
	s_waitcnt lgkmcnt(0)
	v_lshrrev_b32_e32 v85, 16, v91
	v_lshrrev_b32_e32 v95, 16, v88
	v_cndmask_b32_e64 v97, v87, v84, s2
	v_cndmask_b32_e64 v72, v72, v88, s3
	;; [unrolled: 1-line block ×3, first 2 shown]
	v_cndmask_b32_e32 v98, v91, v85, vcc_lo
	v_cmp_eq_u32_e32 vcc_lo, 7, v81
	v_cndmask_b32_e64 v69, v69, v86, s28
	v_cndmask_b32_e64 v71, v72, v95, s6
	;; [unrolled: 1-line block ×3, first 2 shown]
	v_lshrrev_b32_e32 v97, 16, v92
	v_cndmask_b32_e32 v65, v65, v96, vcc_lo
	v_cndmask_b32_e64 v86, v98, v92, s3
	v_cndmask_b32_e32 v69, v69, v99, vcc_lo
	v_lshrrev_b32_e32 v99, 16, v93
	v_cndmask_b32_e64 v71, v71, v89, s8
	v_lshrrev_b32_e32 v98, 16, v89
	v_cndmask_b32_e64 v86, v86, v97, s6
	v_perm_b32 v70, v68, v70, 0x5040100
	v_cndmask_b32_e64 v72, v72, v95, s7
	s_delay_alu instid0(VALU_DEP_4) | instskip(NEXT) | instid1(VALU_DEP_4)
	v_cndmask_b32_e64 v96, v71, v98, s9
	v_cndmask_b32_e64 v86, v86, v93, s8
	v_perm_b32 v71, v69, v65, 0x5040100
	v_perm_b32 v69, v83, v102, 0x5040100
	v_cndmask_b32_e64 v102, v91, v85, s4
	v_cndmask_b32_e64 v72, v72, v89, s10
	;; [unrolled: 1-line block ×3, first 2 shown]
	v_lshrrev_b32_e32 v83, 16, v94
	s_delay_alu instid0(VALU_DEP_3) | instskip(NEXT) | instid1(VALU_DEP_3)
	v_cndmask_b32_e64 v65, v72, v98, s12
	v_cndmask_b32_e64 v68, v86, v94, s11
	;; [unrolled: 1-line block ×27, first 2 shown]
	v_lshrrev_b32_e32 v96, 16, v90
	v_cndmask_b32_e64 v65, v65, v90, s15
	v_cndmask_b32_e64 v86, v86, v90, s23
	;; [unrolled: 1-line block ×9, first 2 shown]
	v_cndmask_b32_e32 v84, v84, v96, vcc_lo
	v_cndmask_b32_e32 v86, v87, v83, vcc_lo
	v_cndmask_b32_e64 v87, v88, v83, s26
	v_cndmask_b32_e64 v88, v85, v83, s17
	;; [unrolled: 1-line block ×3, first 2 shown]
	v_perm_b32 v68, v101, v100, 0x5040100
	v_perm_b32 v86, v86, v84, 0x5040100
	;; [unrolled: 1-line block ×5, first 2 shown]
	s_lshl_b32 s7, s35, 4
	s_mov_b32 s2, exec_lo
	ds_store_b128 v77, v[68:71]
	ds_store_b128 v77, v[83:86] offset:1024
	v_cmpx_gt_u32_e32 16, v0
	s_cbranch_execz .LBB1901_78
; %bb.77:
	v_or_b32_e32 v65, s29, v0
	s_load_b128 s[8:11], s[0:1], 0x58
	s_delay_alu instid0(VALU_DEP_1) | instskip(NEXT) | instid1(VALU_DEP_1)
	v_mad_u64_u32 v[68:69], null, s7, s30, v[65:66]
	v_mad_u64_u32 v[69:70], null, v68, s34, s[14:15]
	s_delay_alu instid0(VALU_DEP_1) | instskip(NEXT) | instid1(VALU_DEP_1)
	v_ashrrev_i32_e32 v70, 31, v69
	v_lshlrev_b64 v[68:69], 2, v[69:70]
	s_waitcnt lgkmcnt(0)
	s_delay_alu instid0(VALU_DEP_1) | instskip(NEXT) | instid1(VALU_DEP_2)
	v_add_co_u32 v70, vcc_lo, s10, v68
	v_add_co_ci_u32_e32 v71, vcc_lo, s11, v69, vcc_lo
	v_add_co_u32 v68, vcc_lo, s8, v68
	v_add_co_ci_u32_e32 v69, vcc_lo, s9, v69, vcc_lo
	global_store_b32 v[70:71], v66, off
	global_store_b32 v[68:69], v67, off
.LBB1901_78:
	s_or_b32 exec_lo, exec_lo, s2
	s_waitcnt lgkmcnt(0)
	s_waitcnt_vscnt null, 0x0
	s_barrier
	buffer_gl0_inv
	ds_load_b128 v[83:86], v76
	ds_load_b128 v[87:90], v76 offset:16
	ds_load_b128 v[95:98], v76 offset:2064
	ds_load_b128 v[91:94], v76 offset:2048
	v_mov_b32_e32 v65, 0
	ds_load_b128 v[103:106], v76 offset:4112
	ds_load_b128 v[99:102], v76 offset:4096
	;; [unrolled: 1-line block ×4, first 2 shown]
	v_mov_b32_e32 v66, v65
	v_mov_b32_e32 v67, v65
	v_mov_b32_e32 v68, v65
	v_mov_b32_e32 v69, v65
	v_mov_b32_e32 v70, v65
	v_mov_b32_e32 v71, v65
	v_mov_b32_e32 v72, v65
	s_waitcnt lgkmcnt(6)
	s_delay_alu instid0(VALU_DEP_1)
	v_wmma_f32_16x16x16_bf16 v[65:72], v[49:56], v[83:90], v[65:72]
	ds_load_b128 v[53:56], v76 offset:8208
	ds_load_b128 v[49:52], v76 offset:8192
	s_waitcnt lgkmcnt(6)
	v_wmma_f32_16x16x16_bf16 v[65:72], v[41:48], v[91:98], v[65:72]
	ds_load_b128 v[45:48], v76 offset:10256
	ds_load_b128 v[41:44], v76 offset:10240
	s_waitcnt lgkmcnt(6)
	;; [unrolled: 4-line block ×4, first 2 shown]
	v_wmma_f32_16x16x16_bf16 v[65:72], v[1:8], v[49:56], v[65:72]
	s_waitcnt lgkmcnt(4)
	s_delay_alu instid0(VALU_DEP_1) | instskip(SKIP_1) | instid1(VALU_DEP_1)
	v_wmma_f32_16x16x16_bf16 v[65:72], v[9:16], v[41:48], v[65:72]
	s_waitcnt lgkmcnt(2)
	v_wmma_f32_16x16x16_bf16 v[65:72], v[17:24], v[33:40], v[65:72]
	s_waitcnt lgkmcnt(0)
	s_delay_alu instid0(VALU_DEP_1) | instskip(NEXT) | instid1(VALU_DEP_1)
	v_wmma_f32_16x16x16_bf16 v[65:72], v[57:64], v[25:32], v[65:72]
	v_and_b32_e32 v1, 0x7f800000, v65
	s_delay_alu instid0(VALU_DEP_1) | instskip(SKIP_1) | instid1(SALU_CYCLE_1)
	v_cmp_ne_u32_e32 vcc_lo, 0x7f800000, v1
                                        ; implicit-def: $vgpr1
	s_and_saveexec_b32 s2, vcc_lo
	s_xor_b32 s2, exec_lo, s2
; %bb.79:
	v_bfe_u32 v1, v65, 16, 1
	s_delay_alu instid0(VALU_DEP_1)
	v_add3_u32 v1, v65, v1, 0x7fff
; %bb.80:
	s_and_not1_saveexec_b32 s2, s2
; %bb.81:
	v_and_b32_e32 v1, 0xffff, v65
	v_or_b32_e32 v2, 0x10000, v65
	s_delay_alu instid0(VALU_DEP_2) | instskip(NEXT) | instid1(VALU_DEP_2)
	v_cmp_eq_u32_e32 vcc_lo, 0, v1
	v_cndmask_b32_e32 v1, v2, v65, vcc_lo
; %bb.82:
	s_or_b32 exec_lo, exec_lo, s2
	v_and_b32_e32 v2, 0x7f800000, v66
	s_delay_alu instid0(VALU_DEP_1) | instskip(SKIP_1) | instid1(SALU_CYCLE_1)
	v_cmp_ne_u32_e32 vcc_lo, 0x7f800000, v2
                                        ; implicit-def: $vgpr2
	s_and_saveexec_b32 s2, vcc_lo
	s_xor_b32 s2, exec_lo, s2
; %bb.83:
	v_bfe_u32 v2, v66, 16, 1
	s_delay_alu instid0(VALU_DEP_1)
	v_add3_u32 v2, v66, v2, 0x7fff
; %bb.84:
	s_and_not1_saveexec_b32 s2, s2
; %bb.85:
	v_and_b32_e32 v2, 0xffff, v66
	v_or_b32_e32 v3, 0x10000, v66
	s_delay_alu instid0(VALU_DEP_2) | instskip(NEXT) | instid1(VALU_DEP_2)
	v_cmp_eq_u32_e32 vcc_lo, 0, v2
	v_cndmask_b32_e32 v2, v3, v66, vcc_lo
; %bb.86:
	s_or_b32 exec_lo, exec_lo, s2
	v_and_b32_e32 v3, 0x7f800000, v67
	s_delay_alu instid0(VALU_DEP_1) | instskip(SKIP_1) | instid1(SALU_CYCLE_1)
	v_cmp_ne_u32_e32 vcc_lo, 0x7f800000, v3
                                        ; implicit-def: $vgpr3
	s_and_saveexec_b32 s2, vcc_lo
	s_xor_b32 s2, exec_lo, s2
; %bb.87:
	v_bfe_u32 v3, v67, 16, 1
	s_delay_alu instid0(VALU_DEP_1)
	v_add3_u32 v3, v67, v3, 0x7fff
; %bb.88:
	s_and_not1_saveexec_b32 s2, s2
; %bb.89:
	v_and_b32_e32 v3, 0xffff, v67
	v_or_b32_e32 v4, 0x10000, v67
	s_delay_alu instid0(VALU_DEP_2) | instskip(NEXT) | instid1(VALU_DEP_2)
	v_cmp_eq_u32_e32 vcc_lo, 0, v3
	v_cndmask_b32_e32 v3, v4, v67, vcc_lo
; %bb.90:
	s_or_b32 exec_lo, exec_lo, s2
	v_and_b32_e32 v4, 0x7f800000, v68
	s_delay_alu instid0(VALU_DEP_1) | instskip(SKIP_1) | instid1(SALU_CYCLE_1)
	v_cmp_ne_u32_e32 vcc_lo, 0x7f800000, v4
                                        ; implicit-def: $vgpr4
	s_and_saveexec_b32 s2, vcc_lo
	s_xor_b32 s2, exec_lo, s2
; %bb.91:
	v_bfe_u32 v4, v68, 16, 1
	s_delay_alu instid0(VALU_DEP_1)
	v_add3_u32 v4, v68, v4, 0x7fff
; %bb.92:
	s_and_not1_saveexec_b32 s2, s2
; %bb.93:
	v_and_b32_e32 v4, 0xffff, v68
	v_or_b32_e32 v5, 0x10000, v68
	s_delay_alu instid0(VALU_DEP_2) | instskip(NEXT) | instid1(VALU_DEP_2)
	v_cmp_eq_u32_e32 vcc_lo, 0, v4
	v_cndmask_b32_e32 v4, v5, v68, vcc_lo
; %bb.94:
	s_or_b32 exec_lo, exec_lo, s2
	v_and_b32_e32 v5, 0x7f800000, v69
	s_delay_alu instid0(VALU_DEP_1) | instskip(SKIP_1) | instid1(SALU_CYCLE_1)
	v_cmp_ne_u32_e32 vcc_lo, 0x7f800000, v5
                                        ; implicit-def: $vgpr5
	s_and_saveexec_b32 s2, vcc_lo
	s_xor_b32 s2, exec_lo, s2
; %bb.95:
	v_bfe_u32 v5, v69, 16, 1
	s_delay_alu instid0(VALU_DEP_1)
	v_add3_u32 v5, v69, v5, 0x7fff
; %bb.96:
	s_and_not1_saveexec_b32 s2, s2
; %bb.97:
	v_and_b32_e32 v5, 0xffff, v69
	v_or_b32_e32 v6, 0x10000, v69
	s_delay_alu instid0(VALU_DEP_2) | instskip(NEXT) | instid1(VALU_DEP_2)
	v_cmp_eq_u32_e32 vcc_lo, 0, v5
	v_cndmask_b32_e32 v5, v6, v69, vcc_lo
; %bb.98:
	s_or_b32 exec_lo, exec_lo, s2
	v_and_b32_e32 v6, 0x7f800000, v70
	s_delay_alu instid0(VALU_DEP_1) | instskip(SKIP_1) | instid1(SALU_CYCLE_1)
	v_cmp_ne_u32_e32 vcc_lo, 0x7f800000, v6
                                        ; implicit-def: $vgpr6
	s_and_saveexec_b32 s2, vcc_lo
	s_xor_b32 s2, exec_lo, s2
; %bb.99:
	v_bfe_u32 v6, v70, 16, 1
	s_delay_alu instid0(VALU_DEP_1)
	v_add3_u32 v6, v70, v6, 0x7fff
; %bb.100:
	s_and_not1_saveexec_b32 s2, s2
; %bb.101:
	v_and_b32_e32 v6, 0xffff, v70
	v_or_b32_e32 v7, 0x10000, v70
	s_delay_alu instid0(VALU_DEP_2) | instskip(NEXT) | instid1(VALU_DEP_2)
	v_cmp_eq_u32_e32 vcc_lo, 0, v6
	v_cndmask_b32_e32 v6, v7, v70, vcc_lo
; %bb.102:
	s_or_b32 exec_lo, exec_lo, s2
	v_and_b32_e32 v7, 0x7f800000, v71
	s_delay_alu instid0(VALU_DEP_1) | instskip(SKIP_1) | instid1(SALU_CYCLE_1)
	v_cmp_ne_u32_e32 vcc_lo, 0x7f800000, v7
                                        ; implicit-def: $vgpr7
	s_and_saveexec_b32 s2, vcc_lo
	s_xor_b32 s2, exec_lo, s2
; %bb.103:
	v_bfe_u32 v7, v71, 16, 1
	s_delay_alu instid0(VALU_DEP_1)
	v_add3_u32 v7, v71, v7, 0x7fff
; %bb.104:
	s_and_not1_saveexec_b32 s2, s2
; %bb.105:
	v_and_b32_e32 v7, 0xffff, v71
	v_or_b32_e32 v8, 0x10000, v71
	s_delay_alu instid0(VALU_DEP_2) | instskip(NEXT) | instid1(VALU_DEP_2)
	v_cmp_eq_u32_e32 vcc_lo, 0, v7
	v_cndmask_b32_e32 v7, v8, v71, vcc_lo
; %bb.106:
	s_or_b32 exec_lo, exec_lo, s2
	v_and_b32_e32 v8, 0x7f800000, v72
	s_delay_alu instid0(VALU_DEP_1) | instskip(SKIP_1) | instid1(SALU_CYCLE_1)
	v_cmp_ne_u32_e32 vcc_lo, 0x7f800000, v8
                                        ; implicit-def: $vgpr8
	s_and_saveexec_b32 s2, vcc_lo
	s_xor_b32 s2, exec_lo, s2
; %bb.107:
	v_bfe_u32 v8, v72, 16, 1
	s_delay_alu instid0(VALU_DEP_1)
	v_add3_u32 v8, v72, v8, 0x7fff
                                        ; implicit-def: $vgpr65_vgpr66_vgpr67_vgpr68_vgpr69_vgpr70_vgpr71_vgpr72
; %bb.108:
	s_and_not1_saveexec_b32 s2, s2
; %bb.109:
	v_and_b32_e32 v8, 0xffff, v72
	v_or_b32_e32 v9, 0x10000, v72
	s_delay_alu instid0(VALU_DEP_2) | instskip(NEXT) | instid1(VALU_DEP_2)
	v_cmp_eq_u32_e32 vcc_lo, 0, v8
	v_cndmask_b32_e32 v8, v9, v72, vcc_lo
; %bb.110:
	s_or_b32 exec_lo, exec_lo, s2
	s_delay_alu instid0(VALU_DEP_1)
	v_perm_b32 v7, v8, v7, 0x7060302
	v_perm_b32 v6, v6, v5, 0x7060302
	;; [unrolled: 1-line block ×4, first 2 shown]
	s_barrier
	buffer_gl0_inv
	v_cmp_eq_u32_e32 vcc_lo, 1, v79
	ds_store_b128 v77, v[4:7]
	s_waitcnt lgkmcnt(0)
	s_barrier
	buffer_gl0_inv
	ds_load_b128 v[1:4], v82
	ds_load_b128 v[5:8], v82 offset:16
	v_cmp_eq_u32_e64 s2, 1, v80
	v_cmp_eq_u32_e64 s3, 2, v79
	;; [unrolled: 1-line block ×5, first 2 shown]
	s_waitcnt lgkmcnt(1)
	v_lshrrev_b32_e32 v9, 16, v1
	s_waitcnt lgkmcnt(0)
	v_lshrrev_b32_e32 v13, 16, v5
	v_lshrrev_b32_e32 v10, 16, v2
	;; [unrolled: 1-line block ×4, first 2 shown]
	v_cndmask_b32_e64 v19, v1, v9, s2
	v_cndmask_b32_e32 v18, v5, v13, vcc_lo
	v_cndmask_b32_e64 v20, v5, v13, s2
	v_cndmask_b32_e32 v17, v1, v9, vcc_lo
	v_cmp_eq_u32_e32 vcc_lo, 2, v80
	v_lshrrev_b32_e32 v15, 16, v7
	v_cmp_eq_u32_e64 s2, 1, v78
	v_lshrrev_b32_e32 v12, 16, v4
	v_lshrrev_b32_e32 v16, 16, v8
	v_cndmask_b32_e32 v20, v20, v6, vcc_lo
	v_cndmask_b32_e64 v17, v17, v2, s3
	v_cndmask_b32_e32 v19, v19, v2, vcc_lo
	v_cndmask_b32_e64 v18, v18, v6, s3
	v_cmp_eq_u32_e32 vcc_lo, 4, v79
	v_cmp_eq_u32_e64 s3, 3, v80
	v_cndmask_b32_e64 v17, v17, v10, s4
	v_cndmask_b32_e64 v21, v1, v9, s2
	;; [unrolled: 1-line block ×5, first 2 shown]
	v_cndmask_b32_e32 v17, v17, v3, vcc_lo
	v_cndmask_b32_e64 v20, v20, v14, s3
	v_cndmask_b32_e32 v18, v18, v7, vcc_lo
	v_cmp_eq_u32_e32 vcc_lo, 4, v80
	v_cmp_eq_u32_e64 s3, 5, v80
	v_cmp_eq_u32_e64 s2, 2, v81
	v_cndmask_b32_e64 v21, v21, v2, s6
	v_cmp_eq_u32_e64 s4, 5, v79
	v_cndmask_b32_e32 v19, v19, v3, vcc_lo
	v_cndmask_b32_e32 v20, v20, v7, vcc_lo
	v_cmp_eq_u32_e32 vcc_lo, 6, v80
	s_delay_alu instid0(VALU_DEP_4) | instskip(NEXT) | instid1(VALU_DEP_4)
	v_cndmask_b32_e64 v17, v17, v11, s4
	v_cndmask_b32_e64 v19, v19, v11, s3
	s_delay_alu instid0(VALU_DEP_4) | instskip(SKIP_1) | instid1(VALU_DEP_3)
	v_cndmask_b32_e64 v20, v20, v15, s3
	v_cmp_eq_u32_e64 s3, 1, v81
	v_cndmask_b32_e32 v19, v19, v4, vcc_lo
	v_cndmask_b32_e64 v18, v18, v15, s4
	s_delay_alu instid0(VALU_DEP_3)
	v_cndmask_b32_e64 v1, v1, v9, s3
	v_cndmask_b32_e64 v5, v5, v13, s3
	v_cmp_eq_u32_e64 s3, 3, v78
	v_cndmask_b32_e64 v13, v22, v6, s6
	v_cmp_eq_u32_e64 s6, 3, v81
	v_cndmask_b32_e64 v1, v1, v2, s2
	v_cndmask_b32_e64 v2, v5, v6, s2
	;; [unrolled: 1-line block ×3, first 2 shown]
	v_cmp_eq_u32_e64 s2, 4, v78
	v_cndmask_b32_e64 v6, v13, v14, s3
	v_cndmask_b32_e64 v1, v1, v10, s6
	v_cmp_eq_u32_e64 s3, 4, v81
	v_cndmask_b32_e64 v2, v2, v14, s6
	v_cndmask_b32_e64 v5, v9, v3, s2
	;; [unrolled: 3-line block ×3, first 2 shown]
	v_cndmask_b32_e64 v2, v2, v7, s3
	v_cmp_eq_u32_e64 s2, 5, v81
	v_cmp_eq_u32_e64 s4, 6, v79
	v_cndmask_b32_e64 v5, v5, v11, s6
	v_cmp_eq_u32_e64 s3, 6, v78
	v_cndmask_b32_e64 v3, v6, v15, s6
	v_cndmask_b32_e64 v1, v1, v11, s2
	v_cmp_eq_u32_e64 s6, 6, v81
	v_cndmask_b32_e64 v2, v2, v15, s2
	v_cndmask_b32_e64 v17, v17, v4, s4
	v_cndmask_b32_e64 v18, v18, v8, s4
	v_cmp_eq_u32_e64 s4, 7, v79
	v_cndmask_b32_e64 v5, v5, v4, s3
	;; [unrolled: 4-line block ×3, first 2 shown]
	v_cmp_eq_u32_e64 s3, 7, v78
	v_cndmask_b32_e32 v4, v20, v8, vcc_lo
	v_cndmask_b32_e64 v17, v17, v12, s4
	v_cndmask_b32_e64 v19, v19, v12, s5
	;; [unrolled: 1-line block ×8, first 2 shown]
	s_mov_b32 s2, exec_lo
	v_perm_b32 v4, v2, v1, 0x5040100
	v_perm_b32 v3, v3, v5, 0x5040100
	;; [unrolled: 1-line block ×4, first 2 shown]
	ds_store_b128 v77, v[1:4]
	s_waitcnt lgkmcnt(0)
	s_barrier
	buffer_gl0_inv
	v_cmpx_gt_u32_e32 32, v0
	s_cbranch_execz .LBB1901_2
; %bb.111:
	s_load_b64 s[0:1], s[0:1], 0x68
	v_lshlrev_b32_e32 v0, 10, v0
	s_lshl_b32 s4, s34, 7
	v_or_b32_e32 v23, s29, v74
	s_mul_i32 s2, s4, s30
	v_lshlrev_b32_e32 v1, 4, v75
	v_lshlrev_b32_e32 v2, 6, v74
	s_mul_i32 s2, s2, s7
	v_and_b32_e32 v0, 0x3800, v0
	v_mul_lo_u32 v8, v23, s4
	s_ashr_i32 s3, s2, 31
	v_or_b32_e32 v3, 2, v23
	s_lshl_b64 s[2:3], s[2:3], 1
	v_or3_b32 v27, v0, v1, v2
	v_or_b32_e32 v11, 4, v23
	v_or_b32_e32 v18, 6, v23
	v_mul_lo_u32 v10, v3, s4
	v_ashrrev_i32_e32 v9, 31, v8
	ds_load_b128 v[0:3], v27
	ds_load_b128 v[4:7], v27 offset:128
	v_mul_lo_u32 v12, v11, s4
	s_waitcnt lgkmcnt(0)
	s_add_u32 s2, s0, s2
	s_addc_u32 s3, s1, s3
	s_lshl_b32 s0, s14, 7
	v_lshlrev_b64 v[8:9], 1, v[8:9]
	s_ashr_i32 s1, s0, 31
	v_ashrrev_i32_e32 v11, 31, v10
	s_lshl_b64 s[0:1], s[0:1], 1
	v_ashrrev_i32_e32 v13, 31, v12
	s_add_u32 s0, s2, s0
	s_addc_u32 s1, s3, s1
	v_add_co_u32 v30, s0, s0, v73
	s_delay_alu instid0(VALU_DEP_1) | instskip(SKIP_1) | instid1(VALU_DEP_3)
	v_add_co_ci_u32_e64 v31, null, s1, 0, s0
	v_lshlrev_b64 v[16:17], 1, v[10:11]
	v_add_co_u32 v14, vcc_lo, v30, v8
	s_delay_alu instid0(VALU_DEP_3)
	v_add_co_ci_u32_e32 v15, vcc_lo, v31, v9, vcc_lo
	ds_load_b128 v[8:11], v27 offset:256
	v_mul_lo_u32 v18, v18, s4
	v_or_b32_e32 v19, 8, v23
	v_add_co_u32 v16, vcc_lo, v30, v16
	global_store_b128 v[14:15], v[0:3], off
	v_lshlrev_b64 v[0:1], 1, v[12:13]
	v_add_co_ci_u32_e32 v17, vcc_lo, v31, v17, vcc_lo
	v_mul_lo_u32 v12, v19, s4
	v_ashrrev_i32_e32 v19, 31, v18
	v_or_b32_e32 v14, 10, v23
	global_store_b128 v[16:17], v[4:7], off
	v_add_co_u32 v4, vcc_lo, v30, v0
	v_add_co_ci_u32_e32 v5, vcc_lo, v31, v1, vcc_lo
	ds_load_b128 v[0:3], v27 offset:384
	v_ashrrev_i32_e32 v13, 31, v12
	v_lshlrev_b64 v[6:7], 1, v[18:19]
	v_mul_lo_u32 v14, v14, s4
	s_waitcnt lgkmcnt(1)
	global_store_b128 v[4:5], v[8:11], off
	v_or_b32_e32 v8, 12, v23
	v_lshlrev_b64 v[4:5], 1, v[12:13]
	v_add_co_u32 v20, vcc_lo, v30, v6
	v_or_b32_e32 v6, 14, v23
	v_ashrrev_i32_e32 v15, 31, v14
	v_mul_lo_u32 v22, v8, s4
	v_add_co_ci_u32_e32 v21, vcc_lo, v31, v7, vcc_lo
	v_add_co_u32 v24, vcc_lo, v30, v4
	v_mul_lo_u32 v26, v6, s4
	v_add_co_ci_u32_e32 v25, vcc_lo, v31, v5, vcc_lo
	v_lshlrev_b64 v[28:29], 1, v[14:15]
	ds_load_b128 v[4:7], v27 offset:512
	ds_load_b128 v[8:11], v27 offset:640
	;; [unrolled: 1-line block ×4, first 2 shown]
	v_ashrrev_i32_e32 v23, 31, v22
	v_ashrrev_i32_e32 v27, 31, v26
	v_add_co_u32 v28, vcc_lo, v30, v28
	s_delay_alu instid0(VALU_DEP_3) | instskip(SKIP_1) | instid1(VALU_DEP_4)
	v_lshlrev_b64 v[22:23], 1, v[22:23]
	v_add_co_ci_u32_e32 v29, vcc_lo, v31, v29, vcc_lo
	v_lshlrev_b64 v[26:27], 1, v[26:27]
	s_delay_alu instid0(VALU_DEP_3) | instskip(NEXT) | instid1(VALU_DEP_4)
	v_add_co_u32 v22, vcc_lo, v30, v22
	v_add_co_ci_u32_e32 v23, vcc_lo, v31, v23, vcc_lo
	s_delay_alu instid0(VALU_DEP_3) | instskip(NEXT) | instid1(VALU_DEP_4)
	v_add_co_u32 v26, vcc_lo, v30, v26
	v_add_co_ci_u32_e32 v27, vcc_lo, v31, v27, vcc_lo
	s_waitcnt lgkmcnt(4)
	global_store_b128 v[20:21], v[0:3], off
	s_waitcnt lgkmcnt(3)
	global_store_b128 v[24:25], v[4:7], off
	;; [unrolled: 2-line block ×5, first 2 shown]
	s_nop 0
	s_sendmsg sendmsg(MSG_DEALLOC_VGPRS)
	s_endpgm
	.section	.rodata,"a",@progbits
	.p2align	6, 0x0
	.amdhsa_kernel _Z39paged_attention_ll4mi_QKV_mfma16_kernelI14__hip_bfloat16hLN4vllm18Fp8KVCacheDataTypeE1ES0_Li32ELi128ELi256ELb1ELi16EL8MFMAType0EEvPKT_PKT0_S9_ifPKiSB_SB_iPKfiiiPfSE_PS4_PT2_iSD_SD_
		.amdhsa_group_segment_fixed_size 17472
		.amdhsa_private_segment_fixed_size 0
		.amdhsa_kernarg_size 400
		.amdhsa_user_sgpr_count 13
		.amdhsa_user_sgpr_dispatch_ptr 0
		.amdhsa_user_sgpr_queue_ptr 0
		.amdhsa_user_sgpr_kernarg_segment_ptr 1
		.amdhsa_user_sgpr_dispatch_id 0
		.amdhsa_user_sgpr_private_segment_size 0
		.amdhsa_wavefront_size32 1
		.amdhsa_uses_dynamic_stack 0
		.amdhsa_enable_private_segment 0
		.amdhsa_system_sgpr_workgroup_id_x 1
		.amdhsa_system_sgpr_workgroup_id_y 1
		.amdhsa_system_sgpr_workgroup_id_z 1
		.amdhsa_system_sgpr_workgroup_info 0
		.amdhsa_system_vgpr_workitem_id 0
		.amdhsa_next_free_vgpr 141
		.amdhsa_next_free_sgpr 36
		.amdhsa_reserve_vcc 1
		.amdhsa_float_round_mode_32 0
		.amdhsa_float_round_mode_16_64 0
		.amdhsa_float_denorm_mode_32 3
		.amdhsa_float_denorm_mode_16_64 3
		.amdhsa_dx10_clamp 1
		.amdhsa_ieee_mode 1
		.amdhsa_fp16_overflow 0
		.amdhsa_workgroup_processor_mode 1
		.amdhsa_memory_ordered 1
		.amdhsa_forward_progress 0
		.amdhsa_shared_vgpr_count 0
		.amdhsa_exception_fp_ieee_invalid_op 0
		.amdhsa_exception_fp_denorm_src 0
		.amdhsa_exception_fp_ieee_div_zero 0
		.amdhsa_exception_fp_ieee_overflow 0
		.amdhsa_exception_fp_ieee_underflow 0
		.amdhsa_exception_fp_ieee_inexact 0
		.amdhsa_exception_int_div_zero 0
	.end_amdhsa_kernel
	.section	.text._Z39paged_attention_ll4mi_QKV_mfma16_kernelI14__hip_bfloat16hLN4vllm18Fp8KVCacheDataTypeE1ES0_Li32ELi128ELi256ELb1ELi16EL8MFMAType0EEvPKT_PKT0_S9_ifPKiSB_SB_iPKfiiiPfSE_PS4_PT2_iSD_SD_,"axG",@progbits,_Z39paged_attention_ll4mi_QKV_mfma16_kernelI14__hip_bfloat16hLN4vllm18Fp8KVCacheDataTypeE1ES0_Li32ELi128ELi256ELb1ELi16EL8MFMAType0EEvPKT_PKT0_S9_ifPKiSB_SB_iPKfiiiPfSE_PS4_PT2_iSD_SD_,comdat
.Lfunc_end1901:
	.size	_Z39paged_attention_ll4mi_QKV_mfma16_kernelI14__hip_bfloat16hLN4vllm18Fp8KVCacheDataTypeE1ES0_Li32ELi128ELi256ELb1ELi16EL8MFMAType0EEvPKT_PKT0_S9_ifPKiSB_SB_iPKfiiiPfSE_PS4_PT2_iSD_SD_, .Lfunc_end1901-_Z39paged_attention_ll4mi_QKV_mfma16_kernelI14__hip_bfloat16hLN4vllm18Fp8KVCacheDataTypeE1ES0_Li32ELi128ELi256ELb1ELi16EL8MFMAType0EEvPKT_PKT0_S9_ifPKiSB_SB_iPKfiiiPfSE_PS4_PT2_iSD_SD_
                                        ; -- End function
	.section	.AMDGPU.csdata,"",@progbits
; Kernel info:
; codeLenInByte = 9048
; NumSgprs: 38
; NumVgprs: 141
; ScratchSize: 0
; MemoryBound: 0
; FloatMode: 240
; IeeeMode: 1
; LDSByteSize: 17472 bytes/workgroup (compile time only)
; SGPRBlocks: 4
; VGPRBlocks: 17
; NumSGPRsForWavesPerEU: 38
; NumVGPRsForWavesPerEU: 141
; Occupancy: 10
; WaveLimiterHint : 1
; COMPUTE_PGM_RSRC2:SCRATCH_EN: 0
; COMPUTE_PGM_RSRC2:USER_SGPR: 13
; COMPUTE_PGM_RSRC2:TRAP_HANDLER: 0
; COMPUTE_PGM_RSRC2:TGID_X_EN: 1
; COMPUTE_PGM_RSRC2:TGID_Y_EN: 1
; COMPUTE_PGM_RSRC2:TGID_Z_EN: 1
; COMPUTE_PGM_RSRC2:TIDIG_COMP_CNT: 0
	.section	.text._Z39paged_attention_ll4mi_QKV_mfma16_kernelI14__hip_bfloat16hLN4vllm18Fp8KVCacheDataTypeE1ES0_Li32ELi128ELi256ELb1ELi1EL8MFMAType0EEvPKT_PKT0_S9_ifPKiSB_SB_iPKfiiiPfSE_PS4_PT2_iSD_SD_,"axG",@progbits,_Z39paged_attention_ll4mi_QKV_mfma16_kernelI14__hip_bfloat16hLN4vllm18Fp8KVCacheDataTypeE1ES0_Li32ELi128ELi256ELb1ELi1EL8MFMAType0EEvPKT_PKT0_S9_ifPKiSB_SB_iPKfiiiPfSE_PS4_PT2_iSD_SD_,comdat
	.protected	_Z39paged_attention_ll4mi_QKV_mfma16_kernelI14__hip_bfloat16hLN4vllm18Fp8KVCacheDataTypeE1ES0_Li32ELi128ELi256ELb1ELi1EL8MFMAType0EEvPKT_PKT0_S9_ifPKiSB_SB_iPKfiiiPfSE_PS4_PT2_iSD_SD_ ; -- Begin function _Z39paged_attention_ll4mi_QKV_mfma16_kernelI14__hip_bfloat16hLN4vllm18Fp8KVCacheDataTypeE1ES0_Li32ELi128ELi256ELb1ELi1EL8MFMAType0EEvPKT_PKT0_S9_ifPKiSB_SB_iPKfiiiPfSE_PS4_PT2_iSD_SD_
	.globl	_Z39paged_attention_ll4mi_QKV_mfma16_kernelI14__hip_bfloat16hLN4vllm18Fp8KVCacheDataTypeE1ES0_Li32ELi128ELi256ELb1ELi1EL8MFMAType0EEvPKT_PKT0_S9_ifPKiSB_SB_iPKfiiiPfSE_PS4_PT2_iSD_SD_
	.p2align	8
	.type	_Z39paged_attention_ll4mi_QKV_mfma16_kernelI14__hip_bfloat16hLN4vllm18Fp8KVCacheDataTypeE1ES0_Li32ELi128ELi256ELb1ELi1EL8MFMAType0EEvPKT_PKT0_S9_ifPKiSB_SB_iPKfiiiPfSE_PS4_PT2_iSD_SD_,@function
_Z39paged_attention_ll4mi_QKV_mfma16_kernelI14__hip_bfloat16hLN4vllm18Fp8KVCacheDataTypeE1ES0_Li32ELi128ELi256ELb1ELi1EL8MFMAType0EEvPKT_PKT0_S9_ifPKiSB_SB_iPKfiiiPfSE_PS4_PT2_iSD_SD_: ; @_Z39paged_attention_ll4mi_QKV_mfma16_kernelI14__hip_bfloat16hLN4vllm18Fp8KVCacheDataTypeE1ES0_Li32ELi128ELi256ELb1ELi1EL8MFMAType0EEvPKT_PKT0_S9_ifPKiSB_SB_iPKfiiiPfSE_PS4_PT2_iSD_SD_
; %bb.0:
	s_load_b64 s[4:5], s[0:1], 0x30
	s_mov_b32 s34, s13
	s_waitcnt lgkmcnt(0)
	s_cmp_lg_u64 s[4:5], 0
	s_cselect_b32 s6, -1, 0
	s_ashr_i32 s35, s13, 31
	s_cmp_eq_u64 s[4:5], 0
	s_cbranch_scc1 .LBB1902_3
; %bb.1:
	s_lshl_b64 s[2:3], s[34:35], 2
	s_delay_alu instid0(SALU_CYCLE_1) | instskip(SKIP_4) | instid1(SALU_CYCLE_1)
	s_add_u32 s2, s4, s2
	s_addc_u32 s3, s5, s3
	s_load_b64 s[2:3], s[2:3], 0x0
	s_waitcnt lgkmcnt(0)
	s_sub_i32 s2, s3, s2
	s_cmp_eq_u32 s2, 1
	s_cselect_b32 s2, -1, 0
	s_delay_alu instid0(SALU_CYCLE_1)
	s_and_not1_b32 vcc_lo, exec_lo, s2
	s_cbranch_vccz .LBB1902_4
.LBB1902_2:
	s_endpgm
.LBB1902_3:
.LBB1902_4:
	s_load_b64 s[2:3], s[0:1], 0x28
	s_lshl_b64 s[8:9], s[34:35], 2
	s_waitcnt lgkmcnt(0)
	s_add_u32 s2, s2, s8
	s_addc_u32 s3, s3, s9
	s_lshl_b32 s12, s14, 8
	s_load_b32 s33, s[2:3], 0x0
	s_waitcnt lgkmcnt(0)
	s_cmp_ge_i32 s12, s33
	s_cbranch_scc1 .LBB1902_2
; %bb.5:
	s_clause 0x1
	s_load_b128 s[56:59], s[0:1], 0x8
	s_load_b64 s[2:3], s[0:1], 0x20
	s_and_not1_b32 vcc_lo, exec_lo, s6
	s_mov_b64 s[6:7], s[34:35]
	s_cbranch_vccnz .LBB1902_7
; %bb.6:
	s_add_u32 s4, s4, s8
	s_addc_u32 s5, s5, s9
	s_load_b32 s6, s[4:5], 0x0
.LBB1902_7:
	s_load_b128 s[52:55], s[0:1], 0x48
	v_and_b32_e32 v65, 15, v0
	s_mov_b32 s13, exec_lo
                                        ; implicit-def: $sgpr36
                                        ; implicit-def: $sgpr24
                                        ; implicit-def: $sgpr16
                                        ; implicit-def: $sgpr4
	s_delay_alu instid0(VALU_DEP_1)
	v_cmpx_eq_u32_e32 0, v65
	s_cbranch_execz .LBB1902_9
; %bb.8:
	s_load_b64 s[4:5], s[0:1], 0x0
	s_waitcnt lgkmcnt(0)
	s_mul_hi_i32 s7, s6, s52
	s_mul_i32 s6, s6, s52
	s_delay_alu instid0(SALU_CYCLE_1) | instskip(NEXT) | instid1(SALU_CYCLE_1)
	s_lshl_b64 s[6:7], s[6:7], 1
	s_add_u32 s6, s4, s6
	s_addc_u32 s7, s5, s7
	s_lshl_b32 s4, s15, 7
	s_delay_alu instid0(SALU_CYCLE_1) | instskip(NEXT) | instid1(SALU_CYCLE_1)
	s_ashr_i32 s5, s4, 31
	s_lshl_b64 s[4:5], s[4:5], 1
	s_delay_alu instid0(SALU_CYCLE_1)
	s_add_u32 s4, s6, s4
	s_addc_u32 s5, s7, s5
	s_clause 0x3
	s_load_b256 s[36:43], s[4:5], 0x0
	s_load_b256 s[24:31], s[4:5], 0x40
	s_load_b256 s[16:23], s[4:5], 0x80
	s_load_b256 s[4:11], s[4:5], 0xc0
.LBB1902_9:
	s_or_b32 exec_lo, exec_lo, s13
	v_and_b32_e32 v1, 0xef, v0
	s_add_i32 s13, s33, 31
	s_load_b32 s44, s[0:1], 0x38
	s_ashr_i32 s35, s13, 31
	s_waitcnt lgkmcnt(0)
	s_mul_i32 s62, s15, s54
	v_add_nc_u32_e32 v1, s12, v1
	s_lshr_b32 s35, s35, 27
	v_lshlrev_b32_e32 v73, 4, v65
	s_add_i32 s13, s13, s35
	s_load_b32 s35, s[0:1], 0x1c
	v_ashrrev_i32_e32 v2, 31, v1
	v_or_b32_e32 v3, 16, v1
	s_ashr_i32 s13, s13, 5
	v_cmp_gt_i32_e32 vcc_lo, s33, v1
	s_add_i32 s13, s13, -1
	v_lshrrev_b32_e32 v2, 27, v2
	v_dual_mov_b32 v113, s31 :: v_dual_mov_b32 v108, s26
	v_dual_mov_b32 v111, s29 :: v_dual_mov_b32 v106, s24
	s_delay_alu instid0(VALU_DEP_3) | instskip(SKIP_3) | instid1(VALU_DEP_2)
	v_dual_mov_b32 v109, s27 :: v_dual_add_nc_u32 v4, v1, v2
	s_mul_i32 s44, s34, s44
	v_mov_b32_e32 v107, s25
	s_ashr_i32 s45, s44, 31
	v_ashrrev_i32_e32 v4, 5, v4
	v_add_nc_u32_e32 v2, v3, v2
	s_lshl_b64 s[44:45], s[44:45], 2
	v_dual_mov_b32 v121, s23 :: v_dual_mov_b32 v114, s16
	s_delay_alu instid0(VALU_DEP_3) | instskip(NEXT) | instid1(VALU_DEP_3)
	v_cndmask_b32_e32 v1, s13, v4, vcc_lo
	v_ashrrev_i32_e32 v2, 5, v2
	v_cmp_gt_i32_e32 vcc_lo, s33, v3
	s_add_u32 s61, s2, s44
	s_addc_u32 s60, s3, s45
	s_ashr_i32 s63, s62, 31
	s_add_u32 s44, s56, s62
	v_cndmask_b32_e32 v3, s13, v2, vcc_lo
	v_ashrrev_i32_e32 v2, 31, v1
	s_addc_u32 s45, s57, s63
	s_lshl_b32 s2, s14, 3
	v_dual_mov_b32 v116, s18 :: v_dual_lshlrev_b32 v33, 5, v65
	v_ashrrev_i32_e32 v4, 31, v3
	v_lshlrev_b64 v[1:2], 2, v[1:2]
	s_ashr_i32 s3, s2, 31
	v_mov_b32_e32 v120, s22
	s_lshl_b64 s[2:3], s[2:3], 2
	v_lshlrev_b64 v[3:4], 2, v[3:4]
	s_add_u32 s2, s61, s2
	v_add_co_u32 v1, vcc_lo, s61, v1
	v_add_co_ci_u32_e32 v2, vcc_lo, s60, v2, vcc_lo
	s_delay_alu instid0(VALU_DEP_3) | instskip(NEXT) | instid1(VALU_DEP_4)
	v_add_co_u32 v3, vcc_lo, s61, v3
	v_add_co_ci_u32_e32 v4, vcc_lo, s60, v4, vcc_lo
	s_clause 0x1
	global_load_b32 v5, v[1:2], off
	global_load_b32 v6, v[3:4], off
	s_addc_u32 s3, s60, s3
	s_or_b32 s46, s12, 32
	v_mov_b32_e32 v118, s20
	s_ashr_i32 s47, s46, 5
	s_cmp_lt_i32 s46, s33
	v_lshrrev_b32_e32 v66, 5, v0
	s_cselect_b32 s46, s47, s13
	v_mov_b32_e32 v112, s30
	s_ashr_i32 s47, s46, 31
	v_mov_b32_e32 v110, s28
	s_lshl_b64 s[46:47], s[46:47], 2
	v_lshl_or_b32 v33, v66, 9, v33
	s_add_u32 s46, s61, s46
	s_addc_u32 s47, s60, s47
	s_or_b32 s48, s12, 64
	s_delay_alu instid0(SALU_CYCLE_1) | instskip(SKIP_2) | instid1(SALU_CYCLE_1)
	s_ashr_i32 s49, s48, 5
	s_cmp_lt_i32 s48, s33
	s_cselect_b32 s48, s49, s13
	s_ashr_i32 s49, s48, 31
	s_delay_alu instid0(SALU_CYCLE_1) | instskip(NEXT) | instid1(SALU_CYCLE_1)
	s_lshl_b64 s[48:49], s[48:49], 2
	s_add_u32 s48, s61, s48
	s_addc_u32 s49, s60, s49
	s_or_b32 s50, s12, 0x60
	s_delay_alu instid0(SALU_CYCLE_1) | instskip(SKIP_2) | instid1(SALU_CYCLE_1)
	s_ashr_i32 s51, s50, 5
	s_cmp_lt_i32 s50, s33
	s_cselect_b32 s50, s51, s13
	s_ashr_i32 s51, s50, 31
	s_delay_alu instid0(SALU_CYCLE_1) | instskip(NEXT) | instid1(SALU_CYCLE_1)
	s_lshl_b64 s[50:51], s[50:51], 2
	;; [unrolled: 10-line block ×4, first 2 shown]
	s_add_u32 s66, s61, s54
	s_addc_u32 s67, s60, s55
	s_clause 0x5
	s_load_b32 s56, s[2:3], 0x0
	s_load_b32 s3, s[46:47], 0x0
	s_load_b32 s52, s[48:49], 0x0
	s_load_b32 s54, s[50:51], 0x0
	s_load_b32 s55, s[64:65], 0x0
	s_load_b32 s2, s[66:67], 0x0
	s_or_b32 s24, s12, 0xc0
	s_delay_alu instid0(SALU_CYCLE_1)
	s_ashr_i32 s25, s24, 5
	s_cmp_lt_i32 s24, s33
	s_waitcnt vmcnt(1)
	v_mad_i64_i32 v[1:2], null, v5, s53, s[44:45]
	s_waitcnt vmcnt(0)
	v_mad_i64_i32 v[3:4], null, v6, s53, s[44:45]
	s_mov_b32 s44, 0
	s_delay_alu instid0(SALU_CYCLE_1) | instskip(SKIP_1) | instid1(VALU_DEP_2)
	s_mov_b32 s45, s44
	s_mov_b32 s46, s44
	v_add_co_u32 v25, vcc_lo, v1, v73
	s_delay_alu instid0(VALU_DEP_3) | instskip(NEXT) | instid1(VALU_DEP_3)
	v_add_co_ci_u32_e32 v26, vcc_lo, 0, v2, vcc_lo
	v_add_co_u32 v27, vcc_lo, v3, v73
	s_delay_alu instid0(VALU_DEP_4)
	v_add_co_ci_u32_e32 v28, vcc_lo, 0, v4, vcc_lo
	s_clause 0xf
	global_load_b128 v[1:4], v[25:26], off
	global_load_b128 v[5:8], v[25:26], off offset:512
	global_load_b128 v[9:12], v[27:28], off offset:256
	;; [unrolled: 1-line block ×15, first 2 shown]
	v_mov_b32_e32 v25, s36
	v_mov_b32_e32 v29, s40
	;; [unrolled: 1-line block ×3, first 2 shown]
	s_mov_b32 s47, s44
	s_mov_b32 s48, s44
	s_mov_b32 s49, s44
	s_mov_b32 s50, s44
	s_mov_b32 s51, s44
	v_mov_b32_e32 v119, s21
	v_mov_b32_e32 v117, s19
	v_mov_b32_e32 v115, s17
	s_cselect_b32 s16, s25, s13
	v_dual_mov_b32 v129, s51 :: v_dual_mov_b32 v122, s44
	s_ashr_i32 s17, s16, 31
	v_mov_b32_e32 v26, s37
	s_lshl_b64 s[16:17], s[16:17], 2
	v_dual_mov_b32 v27, s38 :: v_dual_mov_b32 v32, s43
	s_add_u32 s16, s61, s16
	s_addc_u32 s17, s60, s17
	s_or_b32 s18, s12, 0xe0
	v_mov_b32_e32 v28, s39
	s_ashr_i32 s19, s18, 5
	s_cmp_lt_i32 s18, s33
	v_mov_b32_e32 v30, s41
	s_cselect_b32 s18, s19, s13
	v_mov_b32_e32 v128, s50
	s_ashr_i32 s19, s18, 31
	v_mov_b32_e32 v127, s49
	s_lshl_b64 s[18:19], s[18:19], 2
	v_mov_b32_e32 v126, s48
	s_add_u32 s18, s61, s18
	s_addc_u32 s19, s60, s19
	s_add_u32 s13, s58, s62
	s_addc_u32 s20, s59, s63
	v_add_co_u32 v67, s13, s13, v33
	s_delay_alu instid0(VALU_DEP_1)
	v_add_co_ci_u32_e64 v68, null, s20, 0, s13
	s_clause 0x1
	s_load_b32 s13, s[16:17], 0x0
	s_load_b32 s16, s[18:19], 0x0
	v_dual_mov_b32 v125, s47 :: v_dual_mov_b32 v124, s46
	v_mov_b32_e32 v123, s45
	s_waitcnt lgkmcnt(0)
	v_mad_i64_i32 v[33:34], null, s56, s53, v[67:68]
	v_mad_i64_i32 v[69:70], null, s54, s53, v[67:68]
	v_mad_i64_i32 v[35:36], null, s3, s53, v[67:68]
	v_mad_i64_i32 v[37:38], null, s52, s53, v[67:68]
	v_mad_i64_i32 v[71:72], null, s55, s53, v[67:68]
	s_clause 0x5
	global_load_b128 v[49:52], v[33:34], off
	global_load_b128 v[53:56], v[33:34], off offset:16
	global_load_b128 v[41:44], v[35:36], off
	global_load_b128 v[45:48], v[35:36], off offset:16
	;; [unrolled: 2-line block ×3, first 2 shown]
	s_waitcnt vmcnt(20)
	v_wmma_f32_16x16x16_bf16 v[130:137], v[1:8], v[25:32], v[122:129]
	s_waitcnt vmcnt(18)
	v_wmma_f32_16x16x16_bf16 v[122:129], v[9:16], v[25:32], v[122:129]
	v_mad_i64_i32 v[13:14], null, s2, s53, v[67:68]
	s_waitcnt vmcnt(16)
	v_wmma_f32_16x16x16_bf16 v[130:137], v[17:24], v[106:113], v[130:137]
	v_mad_i64_i32 v[21:22], null, s13, s53, v[67:68]
	s_clause 0x1
	global_load_b128 v[25:28], v[69:70], off
	global_load_b128 v[29:32], v[69:70], off offset:16
	v_mad_i64_i32 v[69:70], null, s16, s53, v[67:68]
	s_waitcnt vmcnt(16)
	v_wmma_f32_16x16x16_bf16 v[122:129], v[57:64], v[106:113], v[122:129]
	s_clause 0x7
	global_load_b128 v[1:4], v[71:72], off
	global_load_b128 v[5:8], v[71:72], off offset:16
	global_load_b128 v[9:12], v[13:14], off
	global_load_b128 v[13:16], v[13:14], off offset:16
	;; [unrolled: 2-line block ×4, first 2 shown]
	v_mbcnt_lo_u32_b32 v68, -1, 0
	v_and_b32_e32 v67, 0xe0, v0
	s_waitcnt vmcnt(22)
	v_wmma_f32_16x16x16_bf16 v[130:137], v[74:81], v[114:121], v[130:137]
	s_waitcnt vmcnt(20)
	v_wmma_f32_16x16x16_bf16 v[122:129], v[82:89], v[114:121], v[122:129]
	v_mov_b32_e32 v82, s11
	v_mov_b32_e32 v76, s5
	v_xor_b32_e32 v69, 16, v68
	v_bfe_u32 v74, v0, 4, 1
	v_dual_mov_b32 v81, s10 :: v_dual_mov_b32 v80, s9
	v_mov_b32_e32 v79, s8
	s_delay_alu instid0(VALU_DEP_4) | instskip(SKIP_3) | instid1(VALU_DEP_3)
	v_cmp_gt_i32_e32 vcc_lo, 32, v69
	v_dual_mov_b32 v78, s7 :: v_dual_add_nc_u32 v67, s12, v67
	v_mov_b32_e32 v77, s6
	v_dual_mov_b32 v75, s4 :: v_dual_cndmask_b32 v68, v68, v69
	v_or_b32_e32 v67, v67, v74
	s_waitcnt vmcnt(0)
	s_barrier
	s_delay_alu instid0(VALU_DEP_2)
	v_wmma_f32_16x16x16_bf16 v[130:137], v[90:97], v[75:82], v[130:137]
	buffer_gl0_inv
	v_or_b32_e32 v69, 2, v67
	v_or_b32_e32 v70, 4, v67
	;; [unrolled: 1-line block ×3, first 2 shown]
	v_mul_f32_e32 v92, s35, v131
	v_wmma_f32_16x16x16_bf16 v[122:129], v[98:105], v[75:82], v[122:129]
	v_mul_f32_e32 v93, s35, v130
	v_cmp_gt_i32_e32 vcc_lo, s33, v69
	v_cmp_gt_i32_e64 s2, s33, v67
	v_or_b32_e32 v72, 8, v67
	v_mul_f32_e32 v98, s35, v125
	v_or_b32_e32 v83, 10, v67
	v_dual_mul_f32 v81, s35, v133 :: v_dual_mul_f32 v82, s35, v132
	v_cndmask_b32_e64 v93, 0xff7fffff, v93, s2
	v_cndmask_b32_e32 v92, 0xff7fffff, v92, vcc_lo
	v_cmp_gt_i32_e64 s3, s33, v70
	v_cmp_gt_i32_e64 s4, s33, v71
	v_or_b32_e32 v84, 12, v67
	v_or_b32_e32 v85, 14, v67
	v_dual_mul_f32 v79, s35, v135 :: v_dual_mul_f32 v94, s35, v129
	v_mul_f32_e32 v80, s35, v134
	v_cndmask_b32_e64 v70, 0xff7fffff, v82, s3
	v_cndmask_b32_e64 v71, 0xff7fffff, v81, s4
	v_max3_f32 v81, v93, 0xff7fffff, v92
	v_cmp_gt_i32_e64 s5, s33, v72
	v_cmp_gt_i32_e64 s6, s33, v83
	v_or_b32_e32 v86, 16, v67
	v_or_b32_e32 v87, 18, v67
	v_dual_mul_f32 v77, s35, v137 :: v_dual_mul_f32 v96, s35, v127
	v_mul_f32_e32 v78, s35, v136
	v_cndmask_b32_e64 v72, 0xff7fffff, v80, s5
	v_cndmask_b32_e64 v79, 0xff7fffff, v79, s6
	v_max3_f32 v70, v81, v70, v71
	v_cmp_gt_i32_e64 s7, s33, v84
	v_cmp_gt_i32_e64 s8, s33, v85
	v_or_b32_e32 v88, 20, v67
	v_or_b32_e32 v89, 22, v67
	;; [unrolled: 1-line block ×6, first 2 shown]
	v_mul_f32_e32 v69, s35, v123
	v_mul_f32_e32 v67, s35, v122
	v_cndmask_b32_e64 v71, 0xff7fffff, v78, s7
	v_cndmask_b32_e64 v77, 0xff7fffff, v77, s8
	v_max3_f32 v70, v70, v72, v79
	v_cmp_gt_i32_e64 s9, s33, v86
	v_cmp_gt_i32_e64 s10, s33, v87
	v_mul_f32_e32 v99, s35, v124
	v_cmp_gt_i32_e64 s11, s33, v88
	v_max3_f32 v70, v70, v71, v77
	v_cndmask_b32_e64 v67, 0xff7fffff, v67, s9
	v_cndmask_b32_e64 v69, 0xff7fffff, v69, s10
	v_cmp_gt_i32_e64 s12, s33, v89
	v_mul_f32_e32 v97, s35, v126
	v_cndmask_b32_e64 v71, 0xff7fffff, v99, s11
	v_cmp_gt_i32_e64 s13, s33, v90
	v_max3_f32 v67, v70, v67, v69
	v_cndmask_b32_e64 v72, 0xff7fffff, v98, s12
	v_cmp_gt_i32_e64 s16, s33, v91
	v_mul_f32_e32 v95, s35, v128
	v_cndmask_b32_e64 v69, 0xff7fffff, v97, s13
	v_cmp_gt_i32_e64 s17, s33, v75
	v_max3_f32 v67, v67, v71, v72
	v_cndmask_b32_e64 v70, 0xff7fffff, v96, s16
	v_cmp_gt_i32_e64 s18, s33, v76
	v_lshlrev_b32_e32 v81, 2, v68
	v_cndmask_b32_e64 v71, 0xff7fffff, v95, s17
	s_delay_alu instid0(VALU_DEP_4) | instskip(NEXT) | instid1(VALU_DEP_4)
	v_max3_f32 v67, v67, v69, v70
	v_cndmask_b32_e64 v72, 0xff7fffff, v94, s18
	s_delay_alu instid0(VALU_DEP_1) | instskip(SKIP_3) | instid1(VALU_DEP_1)
	v_max3_f32 v67, v67, v71, v72
	ds_bpermute_b32 v68, v81, v67
	s_waitcnt lgkmcnt(0)
	v_max_f32_e32 v68, v68, v68
	v_max_f32_e32 v67, v67, v68
	s_delay_alu instid0(VALU_DEP_1) | instskip(SKIP_4) | instid1(VALU_DEP_4)
	v_fma_f32 v68, s35, v130, -v67
	v_fma_f32 v69, s35, v131, -v67
	;; [unrolled: 1-line block ×5, first 2 shown]
	v_dual_mul_f32 v68, 0x3fb8aa3b, v68 :: v_dual_mul_f32 v69, 0x3fb8aa3b, v69
	s_delay_alu instid0(VALU_DEP_3) | instskip(NEXT) | instid1(VALU_DEP_3)
	v_dual_mul_f32 v70, 0x3fb8aa3b, v70 :: v_dual_mul_f32 v71, 0x3fb8aa3b, v71
	v_mul_f32_e32 v72, 0x3fb8aa3b, v72
	s_delay_alu instid0(VALU_DEP_3) | instskip(NEXT) | instid1(VALU_DEP_3)
	v_exp_f32_e32 v68, v68
	v_exp_f32_e32 v69, v69
	s_delay_alu instid0(VALU_DEP_2)
	v_exp_f32_e32 v70, v70
	v_exp_f32_e32 v71, v71
	;; [unrolled: 1-line block ×3, first 2 shown]
	v_cndmask_b32_e64 v79, 0, v68, s2
	v_fma_f32 v68, s35, v135, -v67
	v_cndmask_b32_e32 v75, 0, v69, vcc_lo
	s_delay_alu instid0(TRANS32_DEP_3)
	v_cndmask_b32_e64 v82, 0, v70, s3
	s_waitcnt_depctr 0xfff
	v_cndmask_b32_e64 v84, 0, v71, s4
	v_dual_add_f32 v69, 0, v79 :: v_dual_mul_f32 v68, 0x3fb8aa3b, v68
	v_cndmask_b32_e64 v85, 0, v72, s5
	s_mov_b32 s3, exec_lo
	s_delay_alu instid0(VALU_DEP_2) | instskip(NEXT) | instid1(VALU_DEP_3)
	v_add_f32_e32 v69, v69, v75
	v_exp_f32_e32 v68, v68
	s_delay_alu instid0(VALU_DEP_1) | instskip(NEXT) | instid1(VALU_DEP_1)
	v_add_f32_e32 v69, v69, v82
	v_add_f32_e32 v69, v69, v84
	s_waitcnt_depctr 0xfff
	v_cndmask_b32_e64 v86, 0, v68, s6
	v_add_f32_e32 v68, v69, v85
	s_delay_alu instid0(VALU_DEP_1)
	v_add_f32_e32 v68, v68, v86
	v_fma_f32 v72, s35, v123, -v67
	v_fma_f32 v76, s35, v136, -v67
	;; [unrolled: 1-line block ×5, first 2 shown]
	v_mul_f32_e32 v72, 0x3fb8aa3b, v72
	v_mul_f32_e32 v76, 0x3fb8aa3b, v76
	s_delay_alu instid0(VALU_DEP_4) | instskip(SKIP_1) | instid1(VALU_DEP_4)
	v_dual_mul_f32 v70, 0x3fb8aa3b, v70 :: v_dual_mul_f32 v69, 0x3fb8aa3b, v69
	v_fma_f32 v77, s35, v126, -v67
	v_exp_f32_e32 v72, v72
	s_delay_alu instid0(VALU_DEP_3) | instskip(NEXT) | instid1(VALU_DEP_2)
	v_exp_f32_e32 v76, v76
	v_exp_f32_e32 v70, v70
	;; [unrolled: 1-line block ×3, first 2 shown]
	v_fma_f32 v88, s35, v129, -v67
	s_delay_alu instid0(VALU_DEP_1) | instskip(SKIP_2) | instid1(TRANS32_DEP_3)
	v_mul_f32_e32 v88, 0x3fb8aa3b, v88
	v_cndmask_b32_e64 v69, 0, v72, s10
	v_mul_f32_e32 v71, 0x3fb8aa3b, v71
	v_cndmask_b32_e64 v83, 0, v76, s7
	s_delay_alu instid0(TRANS32_DEP_2) | instskip(SKIP_4) | instid1(VALU_DEP_3)
	v_cndmask_b32_e64 v87, 0, v70, s8
	v_fma_f32 v76, s35, v125, -v67
	v_fma_f32 v72, s35, v128, -v67
	v_exp_f32_e32 v71, v71
	v_add_f32_e32 v68, v68, v83
	v_mul_f32_e32 v76, 0x3fb8aa3b, v76
	s_delay_alu instid0(VALU_DEP_2) | instskip(NEXT) | instid1(VALU_DEP_2)
	v_add_f32_e32 v68, v68, v87
	v_exp_f32_e32 v76, v76
	s_waitcnt_depctr 0xfff
	v_cndmask_b32_e64 v70, 0, v71, s9
	v_fma_f32 v71, s35, v127, -v67
	s_delay_alu instid0(VALU_DEP_2) | instskip(NEXT) | instid1(VALU_DEP_2)
	v_add_f32_e32 v68, v68, v70
	v_mul_f32_e32 v80, 0x3fb8aa3b, v71
	v_cndmask_b32_e64 v71, 0, v78, s11
	v_mul_f32_e32 v78, 0x3fb8aa3b, v72
	v_cndmask_b32_e64 v72, 0, v76, s12
	v_add_f32_e32 v68, v68, v69
	v_mul_f32_e32 v77, 0x3fb8aa3b, v77
	v_exp_f32_e32 v80, v80
	v_exp_f32_e32 v78, v78
	s_delay_alu instid0(VALU_DEP_2) | instskip(NEXT) | instid1(VALU_DEP_2)
	v_add_f32_e32 v68, v68, v71
	v_exp_f32_e32 v77, v77
	s_delay_alu instid0(VALU_DEP_1)
	v_add_f32_e32 v68, v68, v72
	s_waitcnt_depctr 0xfff
	v_cndmask_b32_e64 v78, 0, v78, s17
	v_cndmask_b32_e64 v76, 0, v77, s13
	v_cndmask_b32_e64 v77, 0, v80, s16
	v_exp_f32_e32 v80, v88
	v_and_b32_e32 v88, 31, v0
	s_delay_alu instid0(VALU_DEP_3) | instskip(NEXT) | instid1(VALU_DEP_2)
	v_add_f32_e32 v68, v68, v76
	v_cmp_lt_u32_e64 s2, 15, v88
	s_delay_alu instid0(VALU_DEP_2) | instskip(SKIP_3) | instid1(VALU_DEP_1)
	v_add_f32_e32 v68, v68, v77
	s_waitcnt_depctr 0xfff
	v_cndmask_b32_e64 v80, 0, v80, s18
	v_add_f32_e32 v68, v68, v78
	v_add_f32_e32 v68, v68, v80
	ds_bpermute_b32 v81, v81, v68
	v_cmpx_gt_u32_e32 16, v88
	s_cbranch_execz .LBB1902_11
; %bb.10:
	v_mul_u32_u24_e32 v88, 0x44, v66
	s_delay_alu instid0(VALU_DEP_1) | instskip(SKIP_1) | instid1(VALU_DEP_1)
	v_lshl_add_u32 v88, v65, 2, v88
	s_waitcnt lgkmcnt(0)
	v_dual_add_f32 v68, v68, v81 :: v_dual_add_nc_u32 v81, 0x4000, v88
	ds_store_2addr_b32 v81, v67, v68 offset1:136
.LBB1902_11:
	s_or_b32 exec_lo, exec_lo, s3
	v_lshlrev_b32_e32 v67, 2, v65
	s_waitcnt lgkmcnt(0)
	s_barrier
	buffer_gl0_inv
	v_cmp_eq_u32_e32 vcc_lo, 1, v66
	v_add_nc_u32_e32 v81, 0x4000, v67
	v_cmp_eq_u32_e64 s3, 2, v66
	v_cmp_eq_u32_e64 s5, 7, v66
	ds_load_2addr_b32 v[88:89], v81 offset1:17
	ds_load_2addr_b32 v[90:91], v81 offset0:34 offset1:51
	ds_load_2addr_b32 v[92:93], v81 offset0:68 offset1:85
	ds_load_2addr_b32 v[94:95], v81 offset0:102 offset1:119
	ds_load_2addr_b32 v[96:97], v81 offset0:136 offset1:153
	s_waitcnt lgkmcnt(4)
	v_max3_f32 v67, v88, 0xff7fffff, v89
	s_waitcnt lgkmcnt(3)
	s_delay_alu instid0(VALU_DEP_1) | instskip(SKIP_1) | instid1(VALU_DEP_1)
	v_max3_f32 v67, v67, v90, v91
	s_waitcnt lgkmcnt(2)
	v_max3_f32 v67, v67, v92, v93
	s_waitcnt lgkmcnt(1)
	s_delay_alu instid0(VALU_DEP_1) | instskip(NEXT) | instid1(VALU_DEP_1)
	v_max3_f32 v67, v67, v94, v95
	v_sub_f32_e32 v68, v88, v67
	v_sub_f32_e32 v90, v90, v67
	;; [unrolled: 1-line block ×3, first 2 shown]
	s_delay_alu instid0(VALU_DEP_3) | instskip(NEXT) | instid1(VALU_DEP_3)
	v_mul_f32_e32 v68, 0x3fb8aa3b, v68
	v_mul_f32_e32 v100, 0x3fb8aa3b, v90
	s_delay_alu instid0(VALU_DEP_3) | instskip(NEXT) | instid1(VALU_DEP_3)
	v_mul_f32_e32 v102, 0x3fb8aa3b, v92
	v_exp_f32_e32 v99, v68
	v_sub_f32_e32 v68, v91, v67
	v_sub_f32_e32 v98, v89, v67
	v_exp_f32_e32 v100, v100
	s_delay_alu instid0(VALU_DEP_1)
	v_dual_mul_f32 v101, 0x3fb8aa3b, v68 :: v_dual_mul_f32 v98, 0x3fb8aa3b, v98
	s_waitcnt lgkmcnt(0)
	s_waitcnt_depctr 0xfff
	v_fma_f32 v68, v99, v96, 0
	v_sub_f32_e32 v96, v93, v67
	v_exp_f32_e32 v98, v98
	v_exp_f32_e32 v101, v101
	s_waitcnt_depctr 0xfff
	v_fmac_f32_e32 v68, v98, v97
	ds_load_2addr_b32 v[88:89], v81 offset0:170 offset1:187
	ds_load_2addr_b32 v[90:91], v81 offset0:204 offset1:221
	;; [unrolled: 1-line block ×3, first 2 shown]
	v_dual_sub_f32 v81, v94, v67 :: v_dual_mul_f32 v94, 0x3fb8aa3b, v96
	v_exp_f32_e32 v96, v102
	s_waitcnt lgkmcnt(0)
	s_barrier
	s_delay_alu instid0(VALU_DEP_1)
	v_mul_f32_e32 v81, 0x3fb8aa3b, v81
	v_exp_f32_e32 v94, v94
	buffer_gl0_inv
	v_exp_f32_e32 v81, v81
	v_fmac_f32_e32 v68, v100, v88
	v_sub_f32_e32 v88, v95, v67
	s_delay_alu instid0(VALU_DEP_2) | instskip(NEXT) | instid1(VALU_DEP_2)
	v_fmac_f32_e32 v68, v101, v89
	v_mul_f32_e32 v88, 0x3fb8aa3b, v88
	s_delay_alu instid0(VALU_DEP_2) | instskip(NEXT) | instid1(VALU_DEP_2)
	v_fmac_f32_e32 v68, v96, v90
	v_exp_f32_e32 v88, v88
	s_delay_alu instid0(VALU_DEP_1)
	v_fmac_f32_e32 v68, v94, v91
	s_delay_alu instid0(TRANS32_DEP_2) | instid1(VALU_DEP_1)
	v_fmac_f32_e32 v68, v81, v92
	s_waitcnt_depctr 0xfff
	v_fmac_f32_e32 v68, v88, v93
	s_delay_alu instid0(VALU_DEP_1) | instskip(NEXT) | instid1(VALU_DEP_1)
	v_add_f32_e32 v89, 0x358637bd, v68
	v_div_scale_f32 v90, null, v89, v89, 1.0
	v_div_scale_f32 v93, s4, 1.0, v89, 1.0
	s_delay_alu instid0(VALU_DEP_2) | instskip(SKIP_2) | instid1(VALU_DEP_1)
	v_rcp_f32_e32 v91, v90
	s_waitcnt_depctr 0xfff
	v_fma_f32 v92, -v90, v91, 1.0
	v_dual_fmac_f32 v91, v92, v91 :: v_dual_cndmask_b32 v92, v99, v98
	v_cmp_eq_u32_e32 vcc_lo, 3, v66
	s_delay_alu instid0(VALU_DEP_2) | instskip(NEXT) | instid1(VALU_DEP_3)
	v_mul_f32_e32 v95, v93, v91
	v_cndmask_b32_e64 v92, v92, v100, s3
	v_cmp_eq_u32_e64 s3, 4, v66
	s_delay_alu instid0(VALU_DEP_3) | instskip(NEXT) | instid1(VALU_DEP_3)
	v_fma_f32 v97, -v90, v95, v93
	v_cndmask_b32_e32 v92, v92, v101, vcc_lo
	v_cmp_eq_u32_e32 vcc_lo, 5, v66
	s_delay_alu instid0(VALU_DEP_3) | instskip(NEXT) | instid1(VALU_DEP_3)
	v_fmac_f32_e32 v95, v97, v91
	v_cndmask_b32_e64 v92, v92, v96, s3
	v_cmp_eq_u32_e64 s3, 6, v66
	s_delay_alu instid0(VALU_DEP_3) | instskip(NEXT) | instid1(VALU_DEP_3)
	v_fma_f32 v90, -v90, v95, v93
	v_cndmask_b32_e32 v92, v92, v94, vcc_lo
	s_mov_b32 vcc_lo, s4
	s_delay_alu instid0(VALU_DEP_2) | instskip(NEXT) | instid1(VALU_DEP_2)
	v_div_fmas_f32 v90, v90, v91, v95
	v_cndmask_b32_e64 v81, v92, v81, s3
	s_mov_b32 s3, exec_lo
	s_delay_alu instid0(VALU_DEP_2) | instskip(NEXT) | instid1(VALU_DEP_2)
	v_div_fixup_f32 v89, v90, v89, 1.0
	v_cndmask_b32_e64 v81, v81, v88, s5
	s_delay_alu instid0(VALU_DEP_1) | instskip(NEXT) | instid1(VALU_DEP_1)
	v_mul_f32_e32 v81, v81, v89
	v_mul_f32_e32 v83, v81, v83
	;; [unrolled: 1-line block ×7, first 2 shown]
	v_dual_mul_f32 v85, v81, v82 :: v_dual_and_b32 v90, 0x7f800000, v89
	v_mul_f32_e32 v84, v81, v75
                                        ; implicit-def: $vgpr75
	s_delay_alu instid0(VALU_DEP_2)
	v_cmpx_ne_u32_e32 0x7f800000, v90
	s_xor_b32 s3, exec_lo, s3
; %bb.12:
	v_bfe_u32 v75, v89, 16, 1
	s_delay_alu instid0(VALU_DEP_1)
	v_add3_u32 v75, v89, v75, 0x7fff
                                        ; implicit-def: $vgpr89
; %bb.13:
	s_and_not1_saveexec_b32 s3, s3
; %bb.14:
	v_and_b32_e32 v75, 0xffff, v89
	v_or_b32_e32 v82, 0x10000, v89
	s_delay_alu instid0(VALU_DEP_2) | instskip(NEXT) | instid1(VALU_DEP_2)
	v_cmp_eq_u32_e32 vcc_lo, 0, v75
	v_cndmask_b32_e32 v75, v82, v89, vcc_lo
; %bb.15:
	s_or_b32 exec_lo, exec_lo, s3
	v_and_b32_e32 v82, 0x7f800000, v84
	s_delay_alu instid0(VALU_DEP_1) | instskip(SKIP_1) | instid1(SALU_CYCLE_1)
	v_cmp_ne_u32_e32 vcc_lo, 0x7f800000, v82
                                        ; implicit-def: $vgpr82
	s_and_saveexec_b32 s3, vcc_lo
	s_xor_b32 s3, exec_lo, s3
; %bb.16:
	v_bfe_u32 v82, v84, 16, 1
	s_delay_alu instid0(VALU_DEP_1)
	v_add3_u32 v82, v84, v82, 0x7fff
                                        ; implicit-def: $vgpr84
; %bb.17:
	s_and_not1_saveexec_b32 s3, s3
; %bb.18:
	v_and_b32_e32 v82, 0xffff, v84
	v_or_b32_e32 v89, 0x10000, v84
	s_delay_alu instid0(VALU_DEP_2) | instskip(NEXT) | instid1(VALU_DEP_2)
	v_cmp_eq_u32_e32 vcc_lo, 0, v82
	v_cndmask_b32_e32 v82, v89, v84, vcc_lo
; %bb.19:
	s_or_b32 exec_lo, exec_lo, s3
	v_and_b32_e32 v84, 0x7f800000, v85
	s_delay_alu instid0(VALU_DEP_1) | instskip(SKIP_1) | instid1(SALU_CYCLE_1)
	v_cmp_ne_u32_e32 vcc_lo, 0x7f800000, v84
                                        ; implicit-def: $vgpr84
	s_and_saveexec_b32 s3, vcc_lo
	s_xor_b32 s3, exec_lo, s3
; %bb.20:
	v_bfe_u32 v84, v85, 16, 1
	s_delay_alu instid0(VALU_DEP_1)
	v_add3_u32 v84, v85, v84, 0x7fff
                                        ; implicit-def: $vgpr85
; %bb.21:
	s_and_not1_saveexec_b32 s3, s3
; %bb.22:
	v_and_b32_e32 v84, 0xffff, v85
	v_or_b32_e32 v89, 0x10000, v85
	s_delay_alu instid0(VALU_DEP_2) | instskip(NEXT) | instid1(VALU_DEP_2)
	v_cmp_eq_u32_e32 vcc_lo, 0, v84
	v_cndmask_b32_e32 v84, v89, v85, vcc_lo
; %bb.23:
	s_or_b32 exec_lo, exec_lo, s3
	v_and_b32_e32 v85, 0x7f800000, v88
	s_delay_alu instid0(VALU_DEP_1) | instskip(SKIP_1) | instid1(SALU_CYCLE_1)
	v_cmp_ne_u32_e32 vcc_lo, 0x7f800000, v85
                                        ; implicit-def: $vgpr85
	s_and_saveexec_b32 s3, vcc_lo
	s_xor_b32 s3, exec_lo, s3
; %bb.24:
	v_bfe_u32 v85, v88, 16, 1
	s_delay_alu instid0(VALU_DEP_1)
	v_add3_u32 v85, v88, v85, 0x7fff
                                        ; implicit-def: $vgpr88
; %bb.25:
	s_and_not1_saveexec_b32 s3, s3
; %bb.26:
	v_and_b32_e32 v85, 0xffff, v88
	v_or_b32_e32 v89, 0x10000, v88
	s_delay_alu instid0(VALU_DEP_2) | instskip(NEXT) | instid1(VALU_DEP_2)
	v_cmp_eq_u32_e32 vcc_lo, 0, v85
	v_cndmask_b32_e32 v85, v89, v88, vcc_lo
; %bb.27:
	s_or_b32 exec_lo, exec_lo, s3
	v_and_b32_e32 v88, 0x7f800000, v87
	s_delay_alu instid0(VALU_DEP_1) | instskip(SKIP_1) | instid1(SALU_CYCLE_1)
	v_cmp_ne_u32_e32 vcc_lo, 0x7f800000, v88
                                        ; implicit-def: $vgpr88
	s_and_saveexec_b32 s3, vcc_lo
	s_xor_b32 s3, exec_lo, s3
; %bb.28:
	v_bfe_u32 v88, v87, 16, 1
	s_delay_alu instid0(VALU_DEP_1)
	v_add3_u32 v88, v87, v88, 0x7fff
                                        ; implicit-def: $vgpr87
; %bb.29:
	s_and_not1_saveexec_b32 s3, s3
; %bb.30:
	v_and_b32_e32 v88, 0xffff, v87
	v_or_b32_e32 v89, 0x10000, v87
	s_delay_alu instid0(VALU_DEP_2) | instskip(NEXT) | instid1(VALU_DEP_2)
	v_cmp_eq_u32_e32 vcc_lo, 0, v88
	v_cndmask_b32_e32 v88, v89, v87, vcc_lo
; %bb.31:
	s_or_b32 exec_lo, exec_lo, s3
	v_and_b32_e32 v87, 0x7f800000, v86
	s_delay_alu instid0(VALU_DEP_1) | instskip(SKIP_1) | instid1(SALU_CYCLE_1)
	v_cmp_ne_u32_e32 vcc_lo, 0x7f800000, v87
                                        ; implicit-def: $vgpr87
	s_and_saveexec_b32 s3, vcc_lo
	s_xor_b32 s3, exec_lo, s3
; %bb.32:
	v_bfe_u32 v87, v86, 16, 1
	s_delay_alu instid0(VALU_DEP_1)
	v_add3_u32 v87, v86, v87, 0x7fff
                                        ; implicit-def: $vgpr86
; %bb.33:
	s_and_not1_saveexec_b32 s3, s3
; %bb.34:
	v_and_b32_e32 v87, 0xffff, v86
	v_or_b32_e32 v89, 0x10000, v86
	s_delay_alu instid0(VALU_DEP_2) | instskip(NEXT) | instid1(VALU_DEP_2)
	v_cmp_eq_u32_e32 vcc_lo, 0, v87
	v_cndmask_b32_e32 v87, v89, v86, vcc_lo
; %bb.35:
	s_or_b32 exec_lo, exec_lo, s3
	v_and_b32_e32 v86, 0x7f800000, v83
	s_delay_alu instid0(VALU_DEP_1) | instskip(SKIP_1) | instid1(SALU_CYCLE_1)
	v_cmp_ne_u32_e32 vcc_lo, 0x7f800000, v86
                                        ; implicit-def: $vgpr86
	s_and_saveexec_b32 s3, vcc_lo
	s_xor_b32 s3, exec_lo, s3
; %bb.36:
	v_bfe_u32 v86, v83, 16, 1
	s_delay_alu instid0(VALU_DEP_1)
	v_add3_u32 v86, v83, v86, 0x7fff
                                        ; implicit-def: $vgpr83
; %bb.37:
	s_and_not1_saveexec_b32 s3, s3
; %bb.38:
	v_and_b32_e32 v86, 0xffff, v83
	v_or_b32_e32 v89, 0x10000, v83
	s_delay_alu instid0(VALU_DEP_2) | instskip(NEXT) | instid1(VALU_DEP_2)
	v_cmp_eq_u32_e32 vcc_lo, 0, v86
	v_cndmask_b32_e32 v86, v89, v83, vcc_lo
; %bb.39:
	s_or_b32 exec_lo, exec_lo, s3
	v_and_b32_e32 v83, 0x7f800000, v79
	s_delay_alu instid0(VALU_DEP_1) | instskip(SKIP_1) | instid1(SALU_CYCLE_1)
	v_cmp_ne_u32_e32 vcc_lo, 0x7f800000, v83
                                        ; implicit-def: $vgpr83
	s_and_saveexec_b32 s3, vcc_lo
	s_xor_b32 s3, exec_lo, s3
; %bb.40:
	v_bfe_u32 v83, v79, 16, 1
	s_delay_alu instid0(VALU_DEP_1)
	v_add3_u32 v83, v79, v83, 0x7fff
                                        ; implicit-def: $vgpr79
; %bb.41:
	s_and_not1_saveexec_b32 s3, s3
; %bb.42:
	v_and_b32_e32 v83, 0xffff, v79
	v_or_b32_e32 v89, 0x10000, v79
	s_delay_alu instid0(VALU_DEP_2) | instskip(NEXT) | instid1(VALU_DEP_2)
	v_cmp_eq_u32_e32 vcc_lo, 0, v83
	v_cndmask_b32_e32 v83, v89, v79, vcc_lo
; %bb.43:
	s_or_b32 exec_lo, exec_lo, s3
	s_load_b64 s[36:37], s[0:1], 0x94
	v_lshlrev_b32_e32 v90, 4, v74
	s_delay_alu instid0(VALU_DEP_2)
	v_perm_b32 v89, v83, v86, 0x7060302
	v_lshlrev_b32_e32 v79, 6, v65
	v_dual_mul_f32 v76, v81, v76 :: v_dual_lshlrev_b32 v65, 11, v66
	v_perm_b32 v86, v82, v75, 0x7060302
	v_mul_f32_e32 v82, v81, v70
	v_perm_b32 v88, v87, v88, 0x7060302
	v_perm_b32 v87, v85, v84, 0x7060302
	v_or3_b32 v75, v90, v65, v79
	v_mul_f32_e32 v65, v81, v80
	v_mul_f32_e32 v70, v81, v78
	;; [unrolled: 1-line block ×3, first 2 shown]
	v_dual_mul_f32 v80, v81, v72 :: v_dual_and_b32 v83, 0x7f800000, v82
	v_mul_f32_e32 v78, v81, v71
	v_mul_f32_e32 v72, v81, v69
	s_mov_b32 s3, exec_lo
	ds_store_b128 v75, v[86:89]
                                        ; implicit-def: $vgpr69
	v_cmpx_ne_u32_e32 0x7f800000, v83
	s_xor_b32 s3, exec_lo, s3
; %bb.44:
	v_bfe_u32 v69, v82, 16, 1
	s_delay_alu instid0(VALU_DEP_1)
	v_add3_u32 v69, v82, v69, 0x7fff
                                        ; implicit-def: $vgpr82
; %bb.45:
	s_and_not1_saveexec_b32 s3, s3
; %bb.46:
	v_and_b32_e32 v69, 0xffff, v82
	v_or_b32_e32 v71, 0x10000, v82
	s_delay_alu instid0(VALU_DEP_2) | instskip(NEXT) | instid1(VALU_DEP_2)
	v_cmp_eq_u32_e32 vcc_lo, 0, v69
	v_cndmask_b32_e32 v69, v71, v82, vcc_lo
; %bb.47:
	s_or_b32 exec_lo, exec_lo, s3
	v_and_b32_e32 v71, 0x7f800000, v72
	s_delay_alu instid0(VALU_DEP_1) | instskip(SKIP_1) | instid1(SALU_CYCLE_1)
	v_cmp_ne_u32_e32 vcc_lo, 0x7f800000, v71
                                        ; implicit-def: $vgpr71
	s_and_saveexec_b32 s3, vcc_lo
	s_xor_b32 s3, exec_lo, s3
; %bb.48:
	v_bfe_u32 v71, v72, 16, 1
	s_delay_alu instid0(VALU_DEP_1)
	v_add3_u32 v71, v72, v71, 0x7fff
                                        ; implicit-def: $vgpr72
; %bb.49:
	s_and_not1_saveexec_b32 s3, s3
; %bb.50:
	v_and_b32_e32 v71, 0xffff, v72
	v_or_b32_e32 v81, 0x10000, v72
	s_delay_alu instid0(VALU_DEP_2) | instskip(NEXT) | instid1(VALU_DEP_2)
	v_cmp_eq_u32_e32 vcc_lo, 0, v71
	v_cndmask_b32_e32 v71, v81, v72, vcc_lo
; %bb.51:
	s_or_b32 exec_lo, exec_lo, s3
	v_and_b32_e32 v72, 0x7f800000, v78
	s_delay_alu instid0(VALU_DEP_1) | instskip(SKIP_1) | instid1(SALU_CYCLE_1)
	v_cmp_ne_u32_e32 vcc_lo, 0x7f800000, v72
                                        ; implicit-def: $vgpr72
	s_and_saveexec_b32 s3, vcc_lo
	s_xor_b32 s3, exec_lo, s3
; %bb.52:
	v_bfe_u32 v72, v78, 16, 1
	s_delay_alu instid0(VALU_DEP_1)
	v_add3_u32 v72, v78, v72, 0x7fff
                                        ; implicit-def: $vgpr78
; %bb.53:
	s_and_not1_saveexec_b32 s3, s3
; %bb.54:
	v_and_b32_e32 v72, 0xffff, v78
	v_or_b32_e32 v81, 0x10000, v78
	s_delay_alu instid0(VALU_DEP_2) | instskip(NEXT) | instid1(VALU_DEP_2)
	v_cmp_eq_u32_e32 vcc_lo, 0, v72
	v_cndmask_b32_e32 v72, v81, v78, vcc_lo
; %bb.55:
	s_or_b32 exec_lo, exec_lo, s3
	v_and_b32_e32 v78, 0x7f800000, v80
	s_delay_alu instid0(VALU_DEP_1) | instskip(SKIP_1) | instid1(SALU_CYCLE_1)
	v_cmp_ne_u32_e32 vcc_lo, 0x7f800000, v78
                                        ; implicit-def: $vgpr78
	s_and_saveexec_b32 s3, vcc_lo
	s_xor_b32 s3, exec_lo, s3
; %bb.56:
	v_bfe_u32 v78, v80, 16, 1
	s_delay_alu instid0(VALU_DEP_1)
	v_add3_u32 v78, v80, v78, 0x7fff
                                        ; implicit-def: $vgpr80
; %bb.57:
	s_and_not1_saveexec_b32 s3, s3
; %bb.58:
	v_and_b32_e32 v78, 0xffff, v80
	v_or_b32_e32 v81, 0x10000, v80
	s_delay_alu instid0(VALU_DEP_2) | instskip(NEXT) | instid1(VALU_DEP_2)
	v_cmp_eq_u32_e32 vcc_lo, 0, v78
	v_cndmask_b32_e32 v78, v81, v80, vcc_lo
; %bb.59:
	s_or_b32 exec_lo, exec_lo, s3
	v_and_b32_e32 v80, 0x7f800000, v76
	s_delay_alu instid0(VALU_DEP_1) | instskip(SKIP_1) | instid1(SALU_CYCLE_1)
	v_cmp_ne_u32_e32 vcc_lo, 0x7f800000, v80
                                        ; implicit-def: $vgpr80
	s_and_saveexec_b32 s3, vcc_lo
	s_xor_b32 s3, exec_lo, s3
; %bb.60:
	v_bfe_u32 v80, v76, 16, 1
	s_delay_alu instid0(VALU_DEP_1)
	v_add3_u32 v80, v76, v80, 0x7fff
                                        ; implicit-def: $vgpr76
; %bb.61:
	s_and_not1_saveexec_b32 s3, s3
; %bb.62:
	v_and_b32_e32 v80, 0xffff, v76
	v_or_b32_e32 v81, 0x10000, v76
	s_delay_alu instid0(VALU_DEP_2) | instskip(NEXT) | instid1(VALU_DEP_2)
	v_cmp_eq_u32_e32 vcc_lo, 0, v80
	v_cndmask_b32_e32 v80, v81, v76, vcc_lo
; %bb.63:
	s_or_b32 exec_lo, exec_lo, s3
	v_and_b32_e32 v76, 0x7f800000, v77
	s_delay_alu instid0(VALU_DEP_1) | instskip(SKIP_1) | instid1(SALU_CYCLE_1)
	v_cmp_ne_u32_e32 vcc_lo, 0x7f800000, v76
                                        ; implicit-def: $vgpr76
	s_and_saveexec_b32 s3, vcc_lo
	s_xor_b32 s3, exec_lo, s3
; %bb.64:
	v_bfe_u32 v76, v77, 16, 1
	s_delay_alu instid0(VALU_DEP_1)
	v_add3_u32 v76, v77, v76, 0x7fff
                                        ; implicit-def: $vgpr77
; %bb.65:
	s_and_not1_saveexec_b32 s3, s3
; %bb.66:
	v_and_b32_e32 v76, 0xffff, v77
	v_or_b32_e32 v81, 0x10000, v77
	s_delay_alu instid0(VALU_DEP_2) | instskip(NEXT) | instid1(VALU_DEP_2)
	v_cmp_eq_u32_e32 vcc_lo, 0, v76
	v_cndmask_b32_e32 v76, v81, v77, vcc_lo
; %bb.67:
	s_or_b32 exec_lo, exec_lo, s3
	v_and_b32_e32 v77, 0x7f800000, v70
	s_delay_alu instid0(VALU_DEP_1) | instskip(SKIP_1) | instid1(SALU_CYCLE_1)
	v_cmp_ne_u32_e32 vcc_lo, 0x7f800000, v77
                                        ; implicit-def: $vgpr77
	s_and_saveexec_b32 s3, vcc_lo
	s_xor_b32 s3, exec_lo, s3
; %bb.68:
	v_bfe_u32 v77, v70, 16, 1
	s_delay_alu instid0(VALU_DEP_1)
	v_add3_u32 v77, v70, v77, 0x7fff
                                        ; implicit-def: $vgpr70
; %bb.69:
	s_and_not1_saveexec_b32 s3, s3
; %bb.70:
	v_and_b32_e32 v77, 0xffff, v70
	v_or_b32_e32 v81, 0x10000, v70
	s_delay_alu instid0(VALU_DEP_2) | instskip(NEXT) | instid1(VALU_DEP_2)
	v_cmp_eq_u32_e32 vcc_lo, 0, v77
	v_cndmask_b32_e32 v77, v81, v70, vcc_lo
; %bb.71:
	s_or_b32 exec_lo, exec_lo, s3
	v_and_b32_e32 v70, 0x7f800000, v65
	s_delay_alu instid0(VALU_DEP_1) | instskip(SKIP_1) | instid1(SALU_CYCLE_1)
	v_cmp_ne_u32_e32 vcc_lo, 0x7f800000, v70
                                        ; implicit-def: $vgpr70
	s_and_saveexec_b32 s3, vcc_lo
	s_xor_b32 s3, exec_lo, s3
; %bb.72:
	v_bfe_u32 v70, v65, 16, 1
	s_delay_alu instid0(VALU_DEP_1)
	v_add3_u32 v70, v65, v70, 0x7fff
                                        ; implicit-def: $vgpr65
; %bb.73:
	s_and_not1_saveexec_b32 s3, s3
; %bb.74:
	v_and_b32_e32 v70, 0xffff, v65
	v_or_b32_e32 v81, 0x10000, v65
	s_delay_alu instid0(VALU_DEP_2) | instskip(NEXT) | instid1(VALU_DEP_2)
	v_cmp_eq_u32_e32 vcc_lo, 0, v70
	v_cndmask_b32_e32 v70, v81, v65, vcc_lo
; %bb.75:
	s_or_b32 exec_lo, exec_lo, s3
	s_delay_alu instid0(VALU_DEP_1)
	v_perm_b32 v85, v70, v77, 0x7060302
	v_perm_b32 v84, v76, v80, 0x7060302
	;; [unrolled: 1-line block ×4, first 2 shown]
	v_lshl_or_b32 v81, v66, 11, v79
	ds_store_b128 v75, v[82:85] offset:1024
	s_waitcnt lgkmcnt(0)
	s_barrier
	buffer_gl0_inv
	ds_load_b128 v[69:72], v81
	ds_load_b128 v[82:85], v81 offset:16
	s_waitcnt lgkmcnt(1)
	v_lshrrev_b32_e32 v65, 16, v69
	v_lshlrev_b32_e32 v77, 2, v74
	v_lshrrev_b32_e32 v66, 16, v70
	s_waitcnt lgkmcnt(0)
	v_lshrrev_b32_e32 v90, 16, v82
	v_lshrrev_b32_e32 v94, 16, v71
	;; [unrolled: 1-line block ×3, first 2 shown]
	v_cmp_eq_u32_e32 vcc_lo, 1, v77
	v_lshrrev_b32_e32 v95, 16, v72
	v_lshrrev_b32_e32 v97, 16, v84
	;; [unrolled: 1-line block ×3, first 2 shown]
	v_cndmask_b32_e32 v80, v69, v65, vcc_lo
	v_or_b32_e32 v78, 1, v77
	v_cmp_eq_u32_e64 s4, 2, v77
	v_cmp_eq_u32_e64 s7, 3, v77
	;; [unrolled: 1-line block ×3, first 2 shown]
	v_or_b32_e32 v76, 2, v77
	v_cmp_eq_u32_e64 s3, 1, v78
	v_cndmask_b32_e64 v80, v80, v70, s4
	v_cmp_eq_u32_e64 s6, 2, v78
	v_cmp_eq_u32_e64 s8, 3, v78
	v_cmp_eq_u32_e64 s10, 5, v77
	v_cndmask_b32_e64 v87, v69, v65, s3
	v_cndmask_b32_e64 v80, v80, v66, s7
	;; [unrolled: 1-line block ×3, first 2 shown]
	v_cmp_eq_u32_e64 s11, 4, v78
	v_cmp_eq_u32_e64 s5, 1, v76
	v_cndmask_b32_e64 v87, v87, v70, s6
	v_cndmask_b32_e64 v80, v80, v71, s9
	;; [unrolled: 1-line block ×3, first 2 shown]
	v_cmp_eq_u32_e64 s12, 6, v77
	v_cmp_eq_u32_e64 s13, 5, v78
	v_cndmask_b32_e64 v87, v87, v66, s8
	v_cndmask_b32_e64 v80, v80, v94, s10
	v_cndmask_b32_e64 v89, v69, v65, s5
	v_cndmask_b32_e64 v88, v88, v96, s8
	v_cmp_eq_u32_e64 s16, 7, v77
	v_cndmask_b32_e64 v87, v87, v71, s11
	v_cndmask_b32_e64 v80, v80, v72, s12
	v_cmp_eq_u32_e64 s17, 6, v78
	v_cmp_eq_u32_e64 s18, 2, v76
	v_cndmask_b32_e64 v88, v88, v84, s11
	v_cndmask_b32_e64 v87, v87, v94, s13
	;; [unrolled: 1-line block ×3, first 2 shown]
	v_cmp_eq_u32_e64 s19, 7, v78
	v_cndmask_b32_e64 v80, v89, v70, s18
	v_cmp_eq_u32_e64 s20, 3, v76
	v_cndmask_b32_e64 v87, v87, v72, s17
	v_cmp_eq_u32_e64 s21, 4, v76
	v_cmp_eq_u32_e64 s23, 5, v76
	;; [unrolled: 1-line block ×4, first 2 shown]
	v_cndmask_b32_e64 v101, v87, v95, s19
	v_cndmask_b32_e64 v87, v88, v97, s13
	;; [unrolled: 1-line block ×3, first 2 shown]
	v_or_b32_e32 v80, 3, v77
	s_delay_alu instid0(VALU_DEP_3) | instskip(NEXT) | instid1(VALU_DEP_3)
	v_cndmask_b32_e64 v102, v87, v85, s17
	v_cndmask_b32_e64 v91, v88, v71, s21
	s_delay_alu instid0(VALU_DEP_3)
	v_cmp_eq_u32_e64 s22, 1, v80
	v_cmp_eq_u32_e64 s24, 2, v80
	;; [unrolled: 1-line block ×5, first 2 shown]
	v_cndmask_b32_e64 v65, v69, v65, s22
	v_cmp_eq_u32_e64 s30, 6, v80
	v_cndmask_b32_e64 v103, v91, v94, s23
	s_delay_alu instid0(VALU_DEP_3) | instskip(NEXT) | instid1(VALU_DEP_1)
	v_cndmask_b32_e64 v65, v65, v70, s24
	v_cndmask_b32_e64 v65, v65, v66, s26
	s_delay_alu instid0(VALU_DEP_3) | instskip(NEXT) | instid1(VALU_DEP_2)
	v_cndmask_b32_e64 v66, v103, v72, s25
	v_cndmask_b32_e64 v65, v65, v71, s27
	s_delay_alu instid0(VALU_DEP_2) | instskip(NEXT) | instid1(VALU_DEP_2)
	v_cndmask_b32_e64 v66, v66, v95, s28
	v_cndmask_b32_e64 v65, v65, v94, s29
	s_delay_alu instid0(VALU_DEP_1) | instskip(SKIP_1) | instid1(VALU_DEP_1)
	v_cndmask_b32_e64 v65, v65, v72, s30
	v_cndmask_b32_e32 v86, v82, v90, vcc_lo
	v_cndmask_b32_e64 v86, v86, v83, s4
	s_delay_alu instid0(VALU_DEP_1) | instskip(NEXT) | instid1(VALU_DEP_1)
	v_cndmask_b32_e64 v86, v86, v96, s7
	v_cndmask_b32_e64 v86, v86, v84, s9
	s_delay_alu instid0(VALU_DEP_1) | instskip(NEXT) | instid1(VALU_DEP_1)
	v_cndmask_b32_e64 v86, v86, v97, s10
	v_cndmask_b32_e64 v86, v86, v85, s12
	s_delay_alu instid0(VALU_DEP_1) | instskip(SKIP_2) | instid1(VALU_DEP_2)
	v_cndmask_b32_e64 v100, v86, v98, s16
	v_cndmask_b32_e64 v86, v82, v90, s5
	v_cndmask_b32_e64 v82, v82, v90, s22
	v_cndmask_b32_e64 v86, v86, v83, s18
	s_delay_alu instid0(VALU_DEP_2) | instskip(SKIP_1) | instid1(VALU_DEP_3)
	v_cndmask_b32_e64 v70, v82, v83, s24
	v_cndmask_b32_e64 v82, v102, v98, s19
	;; [unrolled: 1-line block ×3, first 2 shown]
	ds_load_b128 v[86:89], v81 offset:1024
	v_cndmask_b32_e64 v70, v70, v96, s26
	v_cndmask_b32_e64 v69, v92, v84, s21
	ds_load_b128 v[90:93], v81 offset:1040
	v_cndmask_b32_e64 v70, v70, v84, s27
	v_cndmask_b32_e64 v69, v69, v97, s23
	s_delay_alu instid0(VALU_DEP_2) | instskip(NEXT) | instid1(VALU_DEP_2)
	v_cndmask_b32_e64 v70, v70, v97, s29
	v_cndmask_b32_e64 v69, v69, v85, s25
	s_delay_alu instid0(VALU_DEP_2) | instskip(NEXT) | instid1(VALU_DEP_2)
	v_cndmask_b32_e64 v70, v70, v85, s30
	v_cndmask_b32_e64 v69, v69, v98, s28
	s_waitcnt lgkmcnt(1)
	v_lshrrev_b32_e32 v83, 16, v86
	v_lshrrev_b32_e32 v94, 16, v87
	;; [unrolled: 1-line block ×3, first 2 shown]
	s_delay_alu instid0(VALU_DEP_3) | instskip(SKIP_3) | instid1(VALU_DEP_3)
	v_cndmask_b32_e32 v71, v86, v83, vcc_lo
	s_waitcnt lgkmcnt(0)
	v_lshrrev_b32_e32 v84, 16, v90
	v_cndmask_b32_e64 v96, v86, v83, s3
	v_cndmask_b32_e64 v71, v71, v87, s4
	s_delay_alu instid0(VALU_DEP_3) | instskip(NEXT) | instid1(VALU_DEP_3)
	v_cndmask_b32_e32 v97, v90, v84, vcc_lo
	v_cndmask_b32_e64 v72, v96, v87, s6
	v_lshrrev_b32_e32 v96, 16, v91
	v_cmp_eq_u32_e32 vcc_lo, 7, v80
	v_cndmask_b32_e64 v71, v71, v94, s7
	v_cndmask_b32_e64 v85, v97, v91, s4
	;; [unrolled: 1-line block ×3, first 2 shown]
	v_lshrrev_b32_e32 v97, 16, v88
	v_cndmask_b32_e32 v65, v65, v95, vcc_lo
	v_cndmask_b32_e64 v71, v71, v88, s9
	v_cndmask_b32_e64 v85, v85, v96, s7
	v_cndmask_b32_e32 v70, v70, v98, vcc_lo
	v_cndmask_b32_e64 v95, v72, v88, s11
	v_lshrrev_b32_e32 v98, 16, v92
	v_cndmask_b32_e64 v71, v71, v97, s10
	v_cndmask_b32_e64 v85, v85, v92, s9
	v_perm_b32 v72, v70, v65, 0x5040100
	v_cndmask_b32_e64 v65, v95, v97, s13
	v_perm_b32 v70, v82, v101, 0x5040100
	v_cndmask_b32_e64 v95, v71, v89, s12
	v_cndmask_b32_e64 v85, v85, v98, s10
	v_perm_b32 v71, v69, v66, 0x5040100
	v_cndmask_b32_e64 v65, v65, v89, s17
	v_lshrrev_b32_e32 v82, 16, v93
	v_cndmask_b32_e64 v66, v95, v102, s16
	v_cndmask_b32_e64 v69, v85, v93, s12
	;; [unrolled: 1-line block ×34, first 2 shown]
	v_cndmask_b32_e32 v83, v83, v102, vcc_lo
	v_cndmask_b32_e32 v85, v86, v82, vcc_lo
	v_cndmask_b32_e64 v86, v87, v82, s28
	v_cndmask_b32_e64 v87, v84, v82, s19
	;; [unrolled: 1-line block ×3, first 2 shown]
	v_perm_b32 v69, v100, v99, 0x5040100
	v_perm_b32 v85, v85, v83, 0x5040100
	;; [unrolled: 1-line block ×5, first 2 shown]
	s_mov_b32 s3, exec_lo
	ds_store_b128 v75, v[69:72]
	ds_store_b128 v75, v[82:85] offset:1024
	v_cmpx_eq_u32_e32 0, v0
	s_cbranch_execz .LBB1902_77
; %bb.76:
	s_load_b128 s[4:7], s[0:1], 0x58
	s_mul_i32 s8, s37, s34
	v_mov_b32_e32 v65, 0
	s_add_i32 s8, s8, s15
	s_delay_alu instid0(SALU_CYCLE_1) | instskip(NEXT) | instid1(SALU_CYCLE_1)
	s_mul_i32 s8, s8, s36
	s_add_i32 s8, s8, s14
	s_delay_alu instid0(SALU_CYCLE_1) | instskip(NEXT) | instid1(SALU_CYCLE_1)
	s_ashr_i32 s9, s8, 31
	s_lshl_b64 s[8:9], s[8:9], 2
	s_waitcnt lgkmcnt(0)
	s_add_u32 s6, s6, s8
	s_addc_u32 s7, s7, s9
	s_add_u32 s4, s4, s8
	s_addc_u32 s5, s5, s9
	s_clause 0x1
	global_store_b32 v65, v67, s[6:7]
	global_store_b32 v65, v68, s[4:5]
.LBB1902_77:
	s_or_b32 exec_lo, exec_lo, s3
	s_waitcnt lgkmcnt(0)
	s_waitcnt_vscnt null, 0x0
	s_barrier
	buffer_gl0_inv
	ds_load_b128 v[82:85], v79
	ds_load_b128 v[86:89], v79 offset:16
	ds_load_b128 v[94:97], v79 offset:2064
	;; [unrolled: 1-line block ×3, first 2 shown]
	v_mov_b32_e32 v65, 0
	ds_load_b128 v[102:105], v79 offset:4112
	ds_load_b128 v[98:101], v79 offset:4096
	;; [unrolled: 1-line block ×4, first 2 shown]
	v_mov_b32_e32 v66, v65
	v_mov_b32_e32 v67, v65
	;; [unrolled: 1-line block ×7, first 2 shown]
	s_waitcnt lgkmcnt(6)
	s_delay_alu instid0(VALU_DEP_1)
	v_wmma_f32_16x16x16_bf16 v[65:72], v[49:56], v[82:89], v[65:72]
	ds_load_b128 v[53:56], v79 offset:8208
	ds_load_b128 v[49:52], v79 offset:8192
	s_waitcnt lgkmcnt(6)
	v_wmma_f32_16x16x16_bf16 v[65:72], v[41:48], v[90:97], v[65:72]
	ds_load_b128 v[45:48], v79 offset:10256
	ds_load_b128 v[41:44], v79 offset:10240
	s_waitcnt lgkmcnt(6)
	;; [unrolled: 4-line block ×4, first 2 shown]
	v_wmma_f32_16x16x16_bf16 v[65:72], v[1:8], v[49:56], v[65:72]
	s_waitcnt lgkmcnt(4)
	s_delay_alu instid0(VALU_DEP_1) | instskip(SKIP_1) | instid1(VALU_DEP_1)
	v_wmma_f32_16x16x16_bf16 v[65:72], v[9:16], v[41:48], v[65:72]
	s_waitcnt lgkmcnt(2)
	v_wmma_f32_16x16x16_bf16 v[65:72], v[17:24], v[33:40], v[65:72]
	s_waitcnt lgkmcnt(0)
	s_delay_alu instid0(VALU_DEP_1) | instskip(NEXT) | instid1(VALU_DEP_1)
	v_wmma_f32_16x16x16_bf16 v[65:72], v[57:64], v[25:32], v[65:72]
	v_and_b32_e32 v1, 0x7f800000, v65
	s_delay_alu instid0(VALU_DEP_1) | instskip(SKIP_1) | instid1(SALU_CYCLE_1)
	v_cmp_ne_u32_e32 vcc_lo, 0x7f800000, v1
                                        ; implicit-def: $vgpr1
	s_and_saveexec_b32 s3, vcc_lo
	s_xor_b32 s3, exec_lo, s3
; %bb.78:
	v_bfe_u32 v1, v65, 16, 1
	s_delay_alu instid0(VALU_DEP_1)
	v_add3_u32 v1, v65, v1, 0x7fff
; %bb.79:
	s_and_not1_saveexec_b32 s3, s3
; %bb.80:
	v_and_b32_e32 v1, 0xffff, v65
	v_or_b32_e32 v2, 0x10000, v65
	s_delay_alu instid0(VALU_DEP_2) | instskip(NEXT) | instid1(VALU_DEP_2)
	v_cmp_eq_u32_e32 vcc_lo, 0, v1
	v_cndmask_b32_e32 v1, v2, v65, vcc_lo
; %bb.81:
	s_or_b32 exec_lo, exec_lo, s3
	v_and_b32_e32 v2, 0x7f800000, v66
	s_delay_alu instid0(VALU_DEP_1) | instskip(SKIP_1) | instid1(SALU_CYCLE_1)
	v_cmp_ne_u32_e32 vcc_lo, 0x7f800000, v2
                                        ; implicit-def: $vgpr2
	s_and_saveexec_b32 s3, vcc_lo
	s_xor_b32 s3, exec_lo, s3
; %bb.82:
	v_bfe_u32 v2, v66, 16, 1
	s_delay_alu instid0(VALU_DEP_1)
	v_add3_u32 v2, v66, v2, 0x7fff
; %bb.83:
	s_and_not1_saveexec_b32 s3, s3
; %bb.84:
	v_and_b32_e32 v2, 0xffff, v66
	v_or_b32_e32 v3, 0x10000, v66
	s_delay_alu instid0(VALU_DEP_2) | instskip(NEXT) | instid1(VALU_DEP_2)
	v_cmp_eq_u32_e32 vcc_lo, 0, v2
	v_cndmask_b32_e32 v2, v3, v66, vcc_lo
; %bb.85:
	s_or_b32 exec_lo, exec_lo, s3
	v_and_b32_e32 v3, 0x7f800000, v67
	s_delay_alu instid0(VALU_DEP_1) | instskip(SKIP_1) | instid1(SALU_CYCLE_1)
	v_cmp_ne_u32_e32 vcc_lo, 0x7f800000, v3
                                        ; implicit-def: $vgpr3
	s_and_saveexec_b32 s3, vcc_lo
	s_xor_b32 s3, exec_lo, s3
; %bb.86:
	v_bfe_u32 v3, v67, 16, 1
	s_delay_alu instid0(VALU_DEP_1)
	v_add3_u32 v3, v67, v3, 0x7fff
; %bb.87:
	s_and_not1_saveexec_b32 s3, s3
; %bb.88:
	v_and_b32_e32 v3, 0xffff, v67
	v_or_b32_e32 v4, 0x10000, v67
	s_delay_alu instid0(VALU_DEP_2) | instskip(NEXT) | instid1(VALU_DEP_2)
	v_cmp_eq_u32_e32 vcc_lo, 0, v3
	v_cndmask_b32_e32 v3, v4, v67, vcc_lo
; %bb.89:
	s_or_b32 exec_lo, exec_lo, s3
	v_and_b32_e32 v4, 0x7f800000, v68
	s_delay_alu instid0(VALU_DEP_1) | instskip(SKIP_1) | instid1(SALU_CYCLE_1)
	v_cmp_ne_u32_e32 vcc_lo, 0x7f800000, v4
                                        ; implicit-def: $vgpr4
	s_and_saveexec_b32 s3, vcc_lo
	s_xor_b32 s3, exec_lo, s3
; %bb.90:
	v_bfe_u32 v4, v68, 16, 1
	s_delay_alu instid0(VALU_DEP_1)
	v_add3_u32 v4, v68, v4, 0x7fff
; %bb.91:
	s_and_not1_saveexec_b32 s3, s3
; %bb.92:
	v_and_b32_e32 v4, 0xffff, v68
	v_or_b32_e32 v5, 0x10000, v68
	s_delay_alu instid0(VALU_DEP_2) | instskip(NEXT) | instid1(VALU_DEP_2)
	v_cmp_eq_u32_e32 vcc_lo, 0, v4
	v_cndmask_b32_e32 v4, v5, v68, vcc_lo
; %bb.93:
	s_or_b32 exec_lo, exec_lo, s3
	v_and_b32_e32 v5, 0x7f800000, v69
	s_delay_alu instid0(VALU_DEP_1) | instskip(SKIP_1) | instid1(SALU_CYCLE_1)
	v_cmp_ne_u32_e32 vcc_lo, 0x7f800000, v5
                                        ; implicit-def: $vgpr5
	s_and_saveexec_b32 s3, vcc_lo
	s_xor_b32 s3, exec_lo, s3
; %bb.94:
	v_bfe_u32 v5, v69, 16, 1
	s_delay_alu instid0(VALU_DEP_1)
	v_add3_u32 v5, v69, v5, 0x7fff
; %bb.95:
	s_and_not1_saveexec_b32 s3, s3
; %bb.96:
	v_and_b32_e32 v5, 0xffff, v69
	v_or_b32_e32 v6, 0x10000, v69
	s_delay_alu instid0(VALU_DEP_2) | instskip(NEXT) | instid1(VALU_DEP_2)
	v_cmp_eq_u32_e32 vcc_lo, 0, v5
	v_cndmask_b32_e32 v5, v6, v69, vcc_lo
; %bb.97:
	s_or_b32 exec_lo, exec_lo, s3
	v_and_b32_e32 v6, 0x7f800000, v70
	s_delay_alu instid0(VALU_DEP_1) | instskip(SKIP_1) | instid1(SALU_CYCLE_1)
	v_cmp_ne_u32_e32 vcc_lo, 0x7f800000, v6
                                        ; implicit-def: $vgpr6
	s_and_saveexec_b32 s3, vcc_lo
	s_xor_b32 s3, exec_lo, s3
; %bb.98:
	v_bfe_u32 v6, v70, 16, 1
	s_delay_alu instid0(VALU_DEP_1)
	v_add3_u32 v6, v70, v6, 0x7fff
; %bb.99:
	s_and_not1_saveexec_b32 s3, s3
; %bb.100:
	v_and_b32_e32 v6, 0xffff, v70
	v_or_b32_e32 v7, 0x10000, v70
	s_delay_alu instid0(VALU_DEP_2) | instskip(NEXT) | instid1(VALU_DEP_2)
	v_cmp_eq_u32_e32 vcc_lo, 0, v6
	v_cndmask_b32_e32 v6, v7, v70, vcc_lo
; %bb.101:
	s_or_b32 exec_lo, exec_lo, s3
	v_and_b32_e32 v7, 0x7f800000, v71
	s_delay_alu instid0(VALU_DEP_1) | instskip(SKIP_1) | instid1(SALU_CYCLE_1)
	v_cmp_ne_u32_e32 vcc_lo, 0x7f800000, v7
                                        ; implicit-def: $vgpr7
	s_and_saveexec_b32 s3, vcc_lo
	s_xor_b32 s3, exec_lo, s3
; %bb.102:
	v_bfe_u32 v7, v71, 16, 1
	s_delay_alu instid0(VALU_DEP_1)
	v_add3_u32 v7, v71, v7, 0x7fff
; %bb.103:
	s_and_not1_saveexec_b32 s3, s3
; %bb.104:
	v_and_b32_e32 v7, 0xffff, v71
	v_or_b32_e32 v8, 0x10000, v71
	s_delay_alu instid0(VALU_DEP_2) | instskip(NEXT) | instid1(VALU_DEP_2)
	v_cmp_eq_u32_e32 vcc_lo, 0, v7
	v_cndmask_b32_e32 v7, v8, v71, vcc_lo
; %bb.105:
	s_or_b32 exec_lo, exec_lo, s3
	v_and_b32_e32 v8, 0x7f800000, v72
	s_delay_alu instid0(VALU_DEP_1) | instskip(SKIP_1) | instid1(SALU_CYCLE_1)
	v_cmp_ne_u32_e32 vcc_lo, 0x7f800000, v8
                                        ; implicit-def: $vgpr8
	s_and_saveexec_b32 s3, vcc_lo
	s_xor_b32 s3, exec_lo, s3
; %bb.106:
	v_bfe_u32 v8, v72, 16, 1
	s_delay_alu instid0(VALU_DEP_1)
	v_add3_u32 v8, v72, v8, 0x7fff
                                        ; implicit-def: $vgpr65_vgpr66_vgpr67_vgpr68_vgpr69_vgpr70_vgpr71_vgpr72
; %bb.107:
	s_and_not1_saveexec_b32 s3, s3
; %bb.108:
	v_and_b32_e32 v8, 0xffff, v72
	v_or_b32_e32 v9, 0x10000, v72
	s_delay_alu instid0(VALU_DEP_2) | instskip(NEXT) | instid1(VALU_DEP_2)
	v_cmp_eq_u32_e32 vcc_lo, 0, v8
	v_cndmask_b32_e32 v8, v9, v72, vcc_lo
; %bb.109:
	s_or_b32 exec_lo, exec_lo, s3
	s_delay_alu instid0(VALU_DEP_1)
	v_perm_b32 v7, v8, v7, 0x7060302
	v_perm_b32 v6, v6, v5, 0x7060302
	;; [unrolled: 1-line block ×4, first 2 shown]
	s_barrier
	buffer_gl0_inv
	v_cmp_eq_u32_e32 vcc_lo, 1, v77
	ds_store_b128 v75, v[4:7]
	s_waitcnt lgkmcnt(0)
	s_barrier
	buffer_gl0_inv
	ds_load_b128 v[1:4], v81
	ds_load_b128 v[5:8], v81 offset:16
	v_cmp_eq_u32_e64 s3, 1, v78
	v_cmp_eq_u32_e64 s4, 2, v77
	;; [unrolled: 1-line block ×5, first 2 shown]
	s_xor_b32 s2, s2, -1
	s_waitcnt lgkmcnt(1)
	v_lshrrev_b32_e32 v9, 16, v1
	s_waitcnt lgkmcnt(0)
	v_lshrrev_b32_e32 v13, 16, v5
	v_lshrrev_b32_e32 v10, 16, v2
	;; [unrolled: 1-line block ×4, first 2 shown]
	v_cndmask_b32_e64 v19, v1, v9, s3
	v_cndmask_b32_e32 v18, v5, v13, vcc_lo
	v_cndmask_b32_e64 v20, v5, v13, s3
	v_cndmask_b32_e32 v17, v1, v9, vcc_lo
	v_cmp_eq_u32_e32 vcc_lo, 2, v78
	v_lshrrev_b32_e32 v15, 16, v7
	v_cmp_eq_u32_e64 s3, 1, v76
	v_lshrrev_b32_e32 v12, 16, v4
	v_lshrrev_b32_e32 v16, 16, v8
	v_cndmask_b32_e32 v20, v20, v6, vcc_lo
	v_cndmask_b32_e64 v17, v17, v2, s4
	v_cndmask_b32_e32 v19, v19, v2, vcc_lo
	v_cndmask_b32_e64 v18, v18, v6, s4
	v_cmp_eq_u32_e32 vcc_lo, 4, v77
	v_cmp_eq_u32_e64 s4, 3, v78
	v_cndmask_b32_e64 v17, v17, v10, s5
	v_cndmask_b32_e64 v21, v1, v9, s3
	;; [unrolled: 1-line block ×5, first 2 shown]
	v_cndmask_b32_e32 v17, v17, v3, vcc_lo
	v_cndmask_b32_e64 v20, v20, v14, s4
	v_cndmask_b32_e32 v18, v18, v7, vcc_lo
	v_cmp_eq_u32_e32 vcc_lo, 4, v78
	v_cmp_eq_u32_e64 s4, 5, v78
	v_cmp_eq_u32_e64 s3, 2, v80
	v_cndmask_b32_e64 v21, v21, v2, s7
	v_cmp_eq_u32_e64 s5, 5, v77
	v_cndmask_b32_e32 v19, v19, v3, vcc_lo
	v_cndmask_b32_e32 v20, v20, v7, vcc_lo
	v_cmp_eq_u32_e32 vcc_lo, 6, v78
	s_delay_alu instid0(VALU_DEP_4) | instskip(NEXT) | instid1(VALU_DEP_4)
	v_cndmask_b32_e64 v17, v17, v11, s5
	v_cndmask_b32_e64 v19, v19, v11, s4
	s_delay_alu instid0(VALU_DEP_4) | instskip(SKIP_1) | instid1(VALU_DEP_3)
	v_cndmask_b32_e64 v20, v20, v15, s4
	v_cmp_eq_u32_e64 s4, 1, v80
	v_cndmask_b32_e32 v19, v19, v4, vcc_lo
	v_cndmask_b32_e64 v18, v18, v15, s5
	s_delay_alu instid0(VALU_DEP_3)
	v_cndmask_b32_e64 v1, v1, v9, s4
	v_cndmask_b32_e64 v5, v5, v13, s4
	v_cmp_eq_u32_e64 s4, 3, v76
	v_cndmask_b32_e64 v13, v22, v6, s7
	v_cmp_eq_u32_e64 s7, 3, v80
	v_cndmask_b32_e64 v1, v1, v2, s3
	v_cndmask_b32_e64 v2, v5, v6, s3
	;; [unrolled: 1-line block ×3, first 2 shown]
	v_cmp_eq_u32_e64 s3, 4, v76
	v_cndmask_b32_e64 v6, v13, v14, s4
	v_cndmask_b32_e64 v1, v1, v10, s7
	v_cmp_eq_u32_e64 s4, 4, v80
	v_cndmask_b32_e64 v2, v2, v14, s7
	v_cndmask_b32_e64 v5, v9, v3, s3
	;; [unrolled: 3-line block ×3, first 2 shown]
	v_cndmask_b32_e64 v2, v2, v7, s4
	v_cmp_eq_u32_e64 s3, 5, v80
	v_cmp_eq_u32_e64 s5, 6, v77
	v_cndmask_b32_e64 v5, v5, v11, s7
	v_cmp_eq_u32_e64 s4, 6, v76
	v_cndmask_b32_e64 v3, v6, v15, s7
	v_cndmask_b32_e64 v1, v1, v11, s3
	v_cmp_eq_u32_e64 s7, 6, v80
	v_cndmask_b32_e64 v2, v2, v15, s3
	v_cndmask_b32_e64 v17, v17, v4, s5
	v_cndmask_b32_e64 v18, v18, v8, s5
	v_cmp_eq_u32_e64 s5, 7, v77
	v_cndmask_b32_e64 v5, v5, v4, s4
	;; [unrolled: 4-line block ×3, first 2 shown]
	v_cmp_eq_u32_e64 s4, 7, v76
	v_cndmask_b32_e32 v4, v20, v8, vcc_lo
	v_cndmask_b32_e64 v17, v17, v12, s5
	v_cndmask_b32_e64 v19, v19, v12, s6
	;; [unrolled: 1-line block ×8, first 2 shown]
	v_cmp_gt_u32_e32 vcc_lo, 32, v0
	v_perm_b32 v4, v2, v1, 0x5040100
	v_perm_b32 v3, v3, v5, 0x5040100
	;; [unrolled: 1-line block ×4, first 2 shown]
	s_and_b32 s2, vcc_lo, s2
	ds_store_b128 v75, v[1:4]
	s_waitcnt lgkmcnt(0)
	s_barrier
	buffer_gl0_inv
	s_and_saveexec_b32 s3, s2
	s_cbranch_execz .LBB1902_2
; %bb.110:
	s_load_b64 s[0:1], s[0:1], 0x68
	v_lshlrev_b32_e32 v1, 10, v0
	v_and_b32_e32 v0, 1, v0
	v_lshlrev_b32_e32 v2, 6, v74
	s_lshl_b32 s4, s36, 7
	s_delay_alu instid0(VALU_DEP_3) | instskip(NEXT) | instid1(VALU_DEP_3)
	v_and_b32_e32 v1, 0x3800, v1
	v_lshlrev_b32_e32 v0, 4, v0
	s_mul_i32 s2, s4, s34
	s_delay_alu instid0(SALU_CYCLE_1) | instskip(NEXT) | instid1(VALU_DEP_1)
	s_mul_i32 s2, s2, s37
	v_or3_b32 v0, v1, v2, v0
	s_ashr_i32 s3, s2, 31
	s_delay_alu instid0(SALU_CYCLE_1)
	s_lshl_b64 s[2:3], s[2:3], 1
	ds_load_b128 v[0:3], v0
	s_waitcnt lgkmcnt(0)
	s_add_u32 s5, s0, s2
	s_addc_u32 s3, s1, s3
	s_lshl_b32 s0, s14, 7
	s_mul_i32 s2, s4, s15
	s_ashr_i32 s1, s0, 31
	s_delay_alu instid0(SALU_CYCLE_1) | instskip(NEXT) | instid1(SALU_CYCLE_1)
	s_lshl_b64 s[0:1], s[0:1], 1
	s_add_u32 s4, s5, s0
	s_addc_u32 s5, s3, s1
	s_ashr_i32 s3, s2, 31
	s_delay_alu instid0(SALU_CYCLE_1) | instskip(NEXT) | instid1(SALU_CYCLE_1)
	s_lshl_b64 s[0:1], s[2:3], 1
	s_add_u32 s0, s4, s0
	s_addc_u32 s1, s5, s1
	global_store_b128 v73, v[0:3], s[0:1]
	s_nop 0
	s_sendmsg sendmsg(MSG_DEALLOC_VGPRS)
	s_endpgm
	.section	.rodata,"a",@progbits
	.p2align	6, 0x0
	.amdhsa_kernel _Z39paged_attention_ll4mi_QKV_mfma16_kernelI14__hip_bfloat16hLN4vllm18Fp8KVCacheDataTypeE1ES0_Li32ELi128ELi256ELb1ELi1EL8MFMAType0EEvPKT_PKT0_S9_ifPKiSB_SB_iPKfiiiPfSE_PS4_PT2_iSD_SD_
		.amdhsa_group_segment_fixed_size 17472
		.amdhsa_private_segment_fixed_size 0
		.amdhsa_kernarg_size 400
		.amdhsa_user_sgpr_count 13
		.amdhsa_user_sgpr_dispatch_ptr 0
		.amdhsa_user_sgpr_queue_ptr 0
		.amdhsa_user_sgpr_kernarg_segment_ptr 1
		.amdhsa_user_sgpr_dispatch_id 0
		.amdhsa_user_sgpr_private_segment_size 0
		.amdhsa_wavefront_size32 1
		.amdhsa_uses_dynamic_stack 0
		.amdhsa_enable_private_segment 0
		.amdhsa_system_sgpr_workgroup_id_x 1
		.amdhsa_system_sgpr_workgroup_id_y 1
		.amdhsa_system_sgpr_workgroup_id_z 1
		.amdhsa_system_sgpr_workgroup_info 0
		.amdhsa_system_vgpr_workitem_id 0
		.amdhsa_next_free_vgpr 138
		.amdhsa_next_free_sgpr 68
		.amdhsa_reserve_vcc 1
		.amdhsa_float_round_mode_32 0
		.amdhsa_float_round_mode_16_64 0
		.amdhsa_float_denorm_mode_32 3
		.amdhsa_float_denorm_mode_16_64 3
		.amdhsa_dx10_clamp 1
		.amdhsa_ieee_mode 1
		.amdhsa_fp16_overflow 0
		.amdhsa_workgroup_processor_mode 1
		.amdhsa_memory_ordered 1
		.amdhsa_forward_progress 0
		.amdhsa_shared_vgpr_count 0
		.amdhsa_exception_fp_ieee_invalid_op 0
		.amdhsa_exception_fp_denorm_src 0
		.amdhsa_exception_fp_ieee_div_zero 0
		.amdhsa_exception_fp_ieee_overflow 0
		.amdhsa_exception_fp_ieee_underflow 0
		.amdhsa_exception_fp_ieee_inexact 0
		.amdhsa_exception_int_div_zero 0
	.end_amdhsa_kernel
	.section	.text._Z39paged_attention_ll4mi_QKV_mfma16_kernelI14__hip_bfloat16hLN4vllm18Fp8KVCacheDataTypeE1ES0_Li32ELi128ELi256ELb1ELi1EL8MFMAType0EEvPKT_PKT0_S9_ifPKiSB_SB_iPKfiiiPfSE_PS4_PT2_iSD_SD_,"axG",@progbits,_Z39paged_attention_ll4mi_QKV_mfma16_kernelI14__hip_bfloat16hLN4vllm18Fp8KVCacheDataTypeE1ES0_Li32ELi128ELi256ELb1ELi1EL8MFMAType0EEvPKT_PKT0_S9_ifPKiSB_SB_iPKfiiiPfSE_PS4_PT2_iSD_SD_,comdat
.Lfunc_end1902:
	.size	_Z39paged_attention_ll4mi_QKV_mfma16_kernelI14__hip_bfloat16hLN4vllm18Fp8KVCacheDataTypeE1ES0_Li32ELi128ELi256ELb1ELi1EL8MFMAType0EEvPKT_PKT0_S9_ifPKiSB_SB_iPKfiiiPfSE_PS4_PT2_iSD_SD_, .Lfunc_end1902-_Z39paged_attention_ll4mi_QKV_mfma16_kernelI14__hip_bfloat16hLN4vllm18Fp8KVCacheDataTypeE1ES0_Li32ELi128ELi256ELb1ELi1EL8MFMAType0EEvPKT_PKT0_S9_ifPKiSB_SB_iPKfiiiPfSE_PS4_PT2_iSD_SD_
                                        ; -- End function
	.section	.AMDGPU.csdata,"",@progbits
; Kernel info:
; codeLenInByte = 8628
; NumSgprs: 70
; NumVgprs: 138
; ScratchSize: 0
; MemoryBound: 1
; FloatMode: 240
; IeeeMode: 1
; LDSByteSize: 17472 bytes/workgroup (compile time only)
; SGPRBlocks: 8
; VGPRBlocks: 17
; NumSGPRsForWavesPerEU: 70
; NumVGPRsForWavesPerEU: 138
; Occupancy: 10
; WaveLimiterHint : 1
; COMPUTE_PGM_RSRC2:SCRATCH_EN: 0
; COMPUTE_PGM_RSRC2:USER_SGPR: 13
; COMPUTE_PGM_RSRC2:TRAP_HANDLER: 0
; COMPUTE_PGM_RSRC2:TGID_X_EN: 1
; COMPUTE_PGM_RSRC2:TGID_Y_EN: 1
; COMPUTE_PGM_RSRC2:TGID_Z_EN: 1
; COMPUTE_PGM_RSRC2:TIDIG_COMP_CNT: 0
	.section	.text._Z39paged_attention_ll4mi_QKV_mfma16_kernelI14__hip_bfloat16hLN4vllm18Fp8KVCacheDataTypeE1ES0_Li32ELi128ELi256ELb1ELi2EL8MFMAType0EEvPKT_PKT0_S9_ifPKiSB_SB_iPKfiiiPfSE_PS4_PT2_iSD_SD_,"axG",@progbits,_Z39paged_attention_ll4mi_QKV_mfma16_kernelI14__hip_bfloat16hLN4vllm18Fp8KVCacheDataTypeE1ES0_Li32ELi128ELi256ELb1ELi2EL8MFMAType0EEvPKT_PKT0_S9_ifPKiSB_SB_iPKfiiiPfSE_PS4_PT2_iSD_SD_,comdat
	.protected	_Z39paged_attention_ll4mi_QKV_mfma16_kernelI14__hip_bfloat16hLN4vllm18Fp8KVCacheDataTypeE1ES0_Li32ELi128ELi256ELb1ELi2EL8MFMAType0EEvPKT_PKT0_S9_ifPKiSB_SB_iPKfiiiPfSE_PS4_PT2_iSD_SD_ ; -- Begin function _Z39paged_attention_ll4mi_QKV_mfma16_kernelI14__hip_bfloat16hLN4vllm18Fp8KVCacheDataTypeE1ES0_Li32ELi128ELi256ELb1ELi2EL8MFMAType0EEvPKT_PKT0_S9_ifPKiSB_SB_iPKfiiiPfSE_PS4_PT2_iSD_SD_
	.globl	_Z39paged_attention_ll4mi_QKV_mfma16_kernelI14__hip_bfloat16hLN4vllm18Fp8KVCacheDataTypeE1ES0_Li32ELi128ELi256ELb1ELi2EL8MFMAType0EEvPKT_PKT0_S9_ifPKiSB_SB_iPKfiiiPfSE_PS4_PT2_iSD_SD_
	.p2align	8
	.type	_Z39paged_attention_ll4mi_QKV_mfma16_kernelI14__hip_bfloat16hLN4vllm18Fp8KVCacheDataTypeE1ES0_Li32ELi128ELi256ELb1ELi2EL8MFMAType0EEvPKT_PKT0_S9_ifPKiSB_SB_iPKfiiiPfSE_PS4_PT2_iSD_SD_,@function
_Z39paged_attention_ll4mi_QKV_mfma16_kernelI14__hip_bfloat16hLN4vllm18Fp8KVCacheDataTypeE1ES0_Li32ELi128ELi256ELb1ELi2EL8MFMAType0EEvPKT_PKT0_S9_ifPKiSB_SB_iPKfiiiPfSE_PS4_PT2_iSD_SD_: ; @_Z39paged_attention_ll4mi_QKV_mfma16_kernelI14__hip_bfloat16hLN4vllm18Fp8KVCacheDataTypeE1ES0_Li32ELi128ELi256ELb1ELi2EL8MFMAType0EEvPKT_PKT0_S9_ifPKiSB_SB_iPKfiiiPfSE_PS4_PT2_iSD_SD_
; %bb.0:
	s_load_b64 s[2:3], s[0:1], 0x30
	s_mov_b32 s30, s13
	s_waitcnt lgkmcnt(0)
	s_cmp_lg_u64 s[2:3], 0
	s_cselect_b32 s6, -1, 0
	s_ashr_i32 s31, s13, 31
	s_cmp_eq_u64 s[2:3], 0
	s_cbranch_scc1 .LBB1903_3
; %bb.1:
	s_lshl_b64 s[4:5], s[30:31], 2
	s_delay_alu instid0(SALU_CYCLE_1) | instskip(SKIP_4) | instid1(SALU_CYCLE_1)
	s_add_u32 s4, s2, s4
	s_addc_u32 s5, s3, s5
	s_load_b64 s[4:5], s[4:5], 0x0
	s_waitcnt lgkmcnt(0)
	s_sub_i32 s4, s5, s4
	s_cmp_eq_u32 s4, 1
	s_cselect_b32 s4, -1, 0
	s_delay_alu instid0(SALU_CYCLE_1)
	s_and_not1_b32 vcc_lo, exec_lo, s4
	s_cbranch_vccz .LBB1903_4
.LBB1903_2:
	s_endpgm
.LBB1903_3:
.LBB1903_4:
	s_load_b64 s[8:9], s[0:1], 0x28
	s_lshl_b64 s[4:5], s[30:31], 2
	s_waitcnt lgkmcnt(0)
	s_add_u32 s8, s8, s4
	s_addc_u32 s9, s9, s5
	s_lshl_b32 s16, s14, 8
	s_load_b32 s18, s[8:9], 0x0
	s_waitcnt lgkmcnt(0)
	s_cmp_ge_i32 s16, s18
	s_cbranch_scc1 .LBB1903_2
; %bb.5:
	s_clause 0x1
	s_load_b128 s[8:11], s[0:1], 0x8
	s_load_b64 s[12:13], s[0:1], 0x20
	s_and_not1_b32 vcc_lo, exec_lo, s6
	s_cbranch_vccnz .LBB1903_7
; %bb.6:
	s_add_u32 s2, s2, s4
	s_addc_u32 s3, s3, s5
	s_load_b32 s3, s[2:3], 0x0
	s_branch .LBB1903_8
.LBB1903_7:
	s_mov_b32 s3, s30
.LBB1903_8:
	s_load_b128 s[4:7], s[0:1], 0x48
	v_and_b32_e32 v66, 15, v0
	v_bfe_u32 v65, v0, 4, 1
	s_lshl_b32 s31, s15, 1
	v_and_b32_e32 v67, 31, v0
	v_and_b32_e32 v76, 1, v0
	v_lshlrev_b32_e32 v1, 3, v66
	v_cmp_gt_u32_e64 s2, 32, v0
	v_or_b32_e32 v75, s31, v65
	v_lshlrev_b32_e32 v74, 6, v65
	s_delay_alu instid0(VALU_DEP_4)
	v_lshlrev_b32_e32 v73, 1, v1
	s_waitcnt lgkmcnt(0)
	s_and_saveexec_b32 s7, s2
	s_cbranch_execz .LBB1903_10
; %bb.9:
	s_load_b64 s[20:21], s[0:1], 0x0
	v_lshlrev_b32_e32 v1, 7, v75
	s_mul_hi_i32 s23, s3, s4
	s_mul_i32 s22, s3, s4
	v_lshlrev_b32_e32 v5, 10, v66
	s_lshl_b64 s[22:23], s[22:23], 1
	v_ashrrev_i32_e32 v2, 31, v1
	v_lshlrev_b32_e32 v6, 10, v76
	s_delay_alu instid0(VALU_DEP_3) | instskip(NEXT) | instid1(VALU_DEP_3)
	v_and_b32_e32 v5, 0x3800, v5
	v_lshlrev_b64 v[1:2], 1, v[1:2]
	s_delay_alu instid0(VALU_DEP_2) | instskip(SKIP_3) | instid1(VALU_DEP_2)
	v_or3_b32 v5, v5, v6, v74
	s_waitcnt lgkmcnt(0)
	s_add_u32 s3, s20, s22
	s_addc_u32 s4, s21, s23
	v_add_co_u32 v1, vcc_lo, s3, v1
	v_add_co_ci_u32_e32 v2, vcc_lo, s4, v2, vcc_lo
	s_delay_alu instid0(VALU_DEP_2) | instskip(NEXT) | instid1(VALU_DEP_2)
	v_add_co_u32 v1, vcc_lo, v1, v73
	v_add_co_ci_u32_e32 v2, vcc_lo, 0, v2, vcc_lo
	global_load_b128 v[1:4], v[1:2], off
	s_waitcnt vmcnt(0)
	ds_store_b128 v5, v[1:4]
.LBB1903_10:
	s_or_b32 exec_lo, exec_lo, s7
	v_and_b32_e32 v1, 0xef, v0
	s_add_i32 s3, s18, 31
	s_clause 0x1
	s_load_b32 s4, s[0:1], 0x38
	s_load_b32 s19, s[0:1], 0x1c
	s_ashr_i32 s7, s3, 31
	v_add_nc_u32_e32 v1, s16, v1
	s_lshr_b32 s7, s7, 27
	s_waitcnt lgkmcnt(0)
	s_add_i32 s3, s3, s7
	s_barrier
	v_ashrrev_i32_e32 v2, 31, v1
	v_or_b32_e32 v3, 16, v1
	s_ashr_i32 s3, s3, 5
	v_cmp_gt_i32_e32 vcc_lo, s18, v1
	s_add_i32 s3, s3, -1
	v_lshrrev_b32_e32 v2, 27, v2
	buffer_gl0_inv
	s_mul_i32 s15, s15, s6
	v_lshrrev_b32_e32 v68, 5, v0
	v_lshlrev_b32_e32 v33, 5, v66
	v_add_nc_u32_e32 v4, v1, v2
	s_mul_i32 s20, s30, s4
	s_delay_alu instid0(SALU_CYCLE_1) | instskip(NEXT) | instid1(VALU_DEP_1)
	s_ashr_i32 s21, s20, 31
	v_ashrrev_i32_e32 v4, 5, v4
	v_add_nc_u32_e32 v2, v3, v2
	s_lshl_b64 s[20:21], s[20:21], 2
	v_lshl_or_b32 v33, v68, 9, v33
	s_add_u32 s4, s12, s20
	v_cndmask_b32_e32 v1, s3, v4, vcc_lo
	v_ashrrev_i32_e32 v2, 5, v2
	v_cmp_gt_i32_e32 vcc_lo, s18, v3
	s_addc_u32 s12, s13, s21
	s_ashr_i32 s13, s15, 31
	s_add_u32 s6, s8, s15
	s_addc_u32 s7, s9, s13
	v_cndmask_b32_e32 v3, s3, v2, vcc_lo
	v_ashrrev_i32_e32 v2, 31, v1
	s_lshl_b32 s8, s14, 3
	s_delay_alu instid0(SALU_CYCLE_1) | instskip(NEXT) | instid1(VALU_DEP_2)
	s_ashr_i32 s9, s8, 31
	v_ashrrev_i32_e32 v4, 31, v3
	s_delay_alu instid0(VALU_DEP_2) | instskip(SKIP_1) | instid1(SALU_CYCLE_1)
	v_lshlrev_b64 v[1:2], 2, v[1:2]
	s_lshl_b64 s[8:9], s[8:9], 2
	s_add_u32 s8, s4, s8
	s_delay_alu instid0(VALU_DEP_2) | instskip(SKIP_1) | instid1(VALU_DEP_2)
	v_lshlrev_b64 v[3:4], 2, v[3:4]
	s_addc_u32 s9, s12, s9
	v_add_co_u32 v1, vcc_lo, s4, v1
	v_add_co_ci_u32_e32 v2, vcc_lo, s12, v2, vcc_lo
	s_delay_alu instid0(VALU_DEP_3) | instskip(NEXT) | instid1(VALU_DEP_4)
	v_add_co_u32 v3, vcc_lo, s4, v3
	v_add_co_ci_u32_e32 v4, vcc_lo, s12, v4, vcc_lo
	s_clause 0x1
	global_load_b32 v5, v[1:2], off
	global_load_b32 v6, v[3:4], off
	s_or_b32 s17, s16, 32
	s_delay_alu instid0(SALU_CYCLE_1) | instskip(SKIP_2) | instid1(SALU_CYCLE_1)
	s_ashr_i32 s20, s17, 5
	s_cmp_lt_i32 s17, s18
	s_cselect_b32 s20, s20, s3
	s_ashr_i32 s21, s20, 31
	s_delay_alu instid0(SALU_CYCLE_1) | instskip(NEXT) | instid1(SALU_CYCLE_1)
	s_lshl_b64 s[20:21], s[20:21], 2
	s_add_u32 s20, s4, s20
	s_addc_u32 s21, s12, s21
	s_or_b32 s17, s16, 64
	s_delay_alu instid0(SALU_CYCLE_1) | instskip(SKIP_2) | instid1(SALU_CYCLE_1)
	s_ashr_i32 s22, s17, 5
	s_cmp_lt_i32 s17, s18
	s_cselect_b32 s22, s22, s3
	s_ashr_i32 s23, s22, 31
	s_delay_alu instid0(SALU_CYCLE_1) | instskip(NEXT) | instid1(SALU_CYCLE_1)
	s_lshl_b64 s[22:23], s[22:23], 2
	s_add_u32 s22, s4, s22
	s_addc_u32 s23, s12, s23
	;; [unrolled: 10-line block ×5, first 2 shown]
	s_clause 0x5
	s_load_b32 s17, s[8:9], 0x0
	s_load_b32 s33, s[20:21], 0x0
	;; [unrolled: 1-line block ×6, first 2 shown]
	s_mov_b32 s20, 0
	s_delay_alu instid0(SALU_CYCLE_1)
	s_mov_b32 s21, s20
	s_mov_b32 s22, s20
	;; [unrolled: 1-line block ×7, first 2 shown]
	s_delay_alu instid0(SALU_CYCLE_1)
	v_dual_mov_b32 v108, s27 :: v_dual_lshlrev_b32 v137, 6, v76
	v_dual_mov_b32 v102, s21 :: v_dual_mov_b32 v107, s26
	v_dual_mov_b32 v106, s25 :: v_dual_mov_b32 v105, s24
	v_mov_b32_e32 v103, s22
	v_dual_mov_b32 v101, s20 :: v_dual_mov_b32 v104, s23
	s_waitcnt vmcnt(1)
	v_mad_i64_i32 v[1:2], null, v5, s5, s[6:7]
	v_lshlrev_b32_e32 v5, 4, v66
	s_waitcnt vmcnt(0)
	v_mad_i64_i32 v[3:4], null, v6, s5, s[6:7]
	s_or_b32 s6, s16, 0xc0
	s_delay_alu instid0(SALU_CYCLE_1) | instskip(NEXT) | instid1(VALU_DEP_3)
	s_ashr_i32 s7, s6, 5
	v_add_co_u32 v25, vcc_lo, v1, v5
	s_delay_alu instid0(VALU_DEP_4) | instskip(NEXT) | instid1(VALU_DEP_3)
	v_add_co_ci_u32_e32 v26, vcc_lo, 0, v2, vcc_lo
	v_add_co_u32 v27, vcc_lo, v3, v5
	s_delay_alu instid0(VALU_DEP_4)
	v_add_co_ci_u32_e32 v28, vcc_lo, 0, v4, vcc_lo
	s_clause 0xf
	global_load_b128 v[1:4], v[25:26], off
	global_load_b128 v[5:8], v[25:26], off offset:512
	global_load_b128 v[9:12], v[27:28], off offset:256
	;; [unrolled: 1-line block ×15, first 2 shown]
	s_cmp_lt_i32 s6, s18
	ds_load_b128 v[25:28], v137
	ds_load_b128 v[29:32], v137 offset:1024
	s_cselect_b32 s6, s7, s3
	ds_load_b128 v[109:112], v137 offset:2048
	ds_load_b128 v[113:116], v137 offset:3072
	s_ashr_i32 s7, s6, 31
	ds_load_b128 v[117:120], v137 offset:4096
	ds_load_b128 v[121:124], v137 offset:5120
	s_lshl_b64 s[6:7], s[6:7], 2
	s_delay_alu instid0(SALU_CYCLE_1) | instskip(SKIP_2) | instid1(SALU_CYCLE_1)
	s_add_u32 s6, s4, s6
	s_addc_u32 s7, s12, s7
	s_or_b32 s8, s16, 0xe0
	s_ashr_i32 s9, s8, 5
	s_cmp_lt_i32 s8, s18
	s_cselect_b32 s8, s9, s3
	s_delay_alu instid0(SALU_CYCLE_1) | instskip(NEXT) | instid1(SALU_CYCLE_1)
	s_ashr_i32 s9, s8, 31
	s_lshl_b64 s[8:9], s[8:9], 2
	s_delay_alu instid0(SALU_CYCLE_1) | instskip(SKIP_4) | instid1(VALU_DEP_1)
	s_add_u32 s8, s4, s8
	s_addc_u32 s9, s12, s9
	s_add_u32 s3, s10, s15
	s_addc_u32 s4, s11, s13
	v_add_co_u32 v69, s3, s3, v33
	v_add_co_ci_u32_e64 v70, null, s4, 0, s3
	s_clause 0x1
	s_load_b32 s3, s[6:7], 0x0
	s_load_b32 s4, s[8:9], 0x0
	s_waitcnt lgkmcnt(0)
	v_mad_i64_i32 v[33:34], null, s17, s5, v[69:70]
	v_mad_i64_i32 v[71:72], null, s34, s5, v[69:70]
	;; [unrolled: 1-line block ×5, first 2 shown]
	s_clause 0x3
	global_load_b128 v[41:44], v[33:34], off
	global_load_b128 v[45:48], v[33:34], off offset:16
	global_load_b128 v[33:36], v[37:38], off
	global_load_b128 v[37:40], v[37:38], off offset:16
	s_waitcnt vmcnt(18)
	v_wmma_f32_16x16x16_bf16 v[125:132], v[1:8], v[25:32], v[101:108]
	s_waitcnt vmcnt(16)
	v_wmma_f32_16x16x16_bf16 v[101:108], v[9:16], v[25:32], v[101:108]
	v_mad_i64_i32 v[13:14], null, s28, s5, v[69:70]
	s_waitcnt vmcnt(14)
	v_wmma_f32_16x16x16_bf16 v[125:132], v[17:24], v[109:116], v[125:132]
	s_clause 0x1
	global_load_b128 v[25:28], v[71:72], off
	global_load_b128 v[29:32], v[71:72], off offset:16
	s_waitcnt vmcnt(14)
	v_wmma_f32_16x16x16_bf16 v[101:108], v[49:56], v[109:116], v[101:108]
	v_mad_i64_i32 v[49:50], null, s3, s5, v[69:70]
	v_mad_i64_i32 v[53:54], null, s4, s5, v[69:70]
	s_clause 0x5
	global_load_b128 v[17:20], v[133:134], off
	global_load_b128 v[21:24], v[133:134], off offset:16
	global_load_b128 v[1:4], v[135:136], off
	global_load_b128 v[5:8], v[135:136], off offset:16
	;; [unrolled: 2-line block ×3, first 2 shown]
	s_waitcnt vmcnt(18)
	v_wmma_f32_16x16x16_bf16 v[125:132], v[57:64], v[117:124], v[125:132]
	s_clause 0x3
	global_load_b128 v[57:60], v[49:50], off
	global_load_b128 v[61:64], v[49:50], off offset:16
	global_load_b128 v[49:52], v[53:54], off
	global_load_b128 v[53:56], v[53:54], off offset:16
	s_waitcnt vmcnt(20)
	v_wmma_f32_16x16x16_bf16 v[101:108], v[77:84], v[117:124], v[101:108]
	ds_load_b128 v[77:80], v137 offset:6144
	ds_load_b128 v[81:84], v137 offset:7168
	v_mbcnt_lo_u32_b32 v70, -1, 0
	s_waitcnt vmcnt(0) lgkmcnt(0)
	s_barrier
	buffer_gl0_inv
	v_xor_b32_e32 v71, 16, v70
	s_delay_alu instid0(VALU_DEP_1) | instskip(SKIP_4) | instid1(VALU_DEP_2)
	v_cmp_gt_i32_e32 vcc_lo, 32, v71
	v_cndmask_b32_e32 v70, v70, v71, vcc_lo
	v_wmma_f32_16x16x16_bf16 v[125:132], v[85:92], v[77:84], v[125:132]
	v_and_b32_e32 v69, 0xe0, v0
	v_wmma_f32_16x16x16_bf16 v[101:108], v[93:100], v[77:84], v[101:108]
	v_dual_mul_f32 v94, s19, v131 :: v_dual_add_nc_u32 v69, s16, v69
	s_delay_alu instid0(VALU_DEP_2) | instskip(SKIP_1) | instid1(VALU_DEP_4)
	v_mul_f32_e32 v98, s19, v103
	v_dual_mul_f32 v80, s19, v126 :: v_dual_mul_f32 v81, s19, v128
	v_mul_f32_e32 v96, s19, v101
	s_delay_alu instid0(VALU_DEP_4) | instskip(SKIP_3) | instid1(VALU_DEP_4)
	v_or_b32_e32 v69, v69, v65
	v_dual_mul_f32 v82, s19, v127 :: v_dual_mul_f32 v83, s19, v130
	v_mul_f32_e32 v100, s19, v105
	v_mul_f32_e32 v84, s19, v129
	v_or_b32_e32 v71, 2, v69
	v_or_b32_e32 v72, 4, v69
	;; [unrolled: 1-line block ×3, first 2 shown]
	v_cmp_gt_i32_e64 s3, s18, v69
	v_or_b32_e32 v110, 8, v69
	v_cmp_gt_i32_e32 vcc_lo, s18, v71
	v_mul_f32_e32 v71, s19, v125
	v_or_b32_e32 v85, 10, v69
	v_or_b32_e32 v91, 22, v69
	v_cmp_gt_i32_e64 s4, s18, v72
	v_mul_f32_e32 v72, s19, v107
	v_cndmask_b32_e64 v71, 0xff7fffff, v71, s3
	v_cndmask_b32_e32 v80, 0xff7fffff, v80, vcc_lo
	v_cmp_gt_i32_e64 s5, s18, v109
	v_or_b32_e32 v86, 12, v69
	v_or_b32_e32 v87, 14, v69
	v_cndmask_b32_e64 v82, 0xff7fffff, v82, s4
	v_cmp_gt_i32_e64 s6, s18, v110
	v_cndmask_b32_e64 v81, 0xff7fffff, v81, s5
	v_cmp_gt_i32_e64 s7, s18, v85
	v_cmp_gt_i32_e64 s13, s18, v91
	v_lshlrev_b32_e32 v91, 2, v70
	v_max3_f32 v71, v71, 0xff7fffff, v80
	v_or_b32_e32 v88, 16, v69
	v_or_b32_e32 v89, 18, v69
	v_mul_f32_e32 v93, s19, v132
	v_cndmask_b32_e64 v80, 0xff7fffff, v84, s6
	v_cndmask_b32_e64 v83, 0xff7fffff, v83, s7
	v_max3_f32 v71, v71, v82, v81
	v_cmp_gt_i32_e64 s8, s18, v86
	v_cmp_gt_i32_e64 s9, s18, v87
	v_or_b32_e32 v90, 20, v69
	v_mul_f32_e32 v95, s19, v102
	v_max3_f32 v71, v71, v80, v83
	v_cndmask_b32_e64 v81, 0xff7fffff, v94, s8
	v_cndmask_b32_e64 v82, 0xff7fffff, v93, s9
	v_cmp_gt_i32_e64 s10, s18, v88
	v_cmp_gt_i32_e64 s11, s18, v89
	v_or_b32_e32 v92, 24, v69
	v_or_b32_e32 v77, 26, v69
	v_mul_f32_e32 v97, s19, v104
	v_cndmask_b32_e64 v80, 0xff7fffff, v96, s10
	v_cndmask_b32_e64 v83, 0xff7fffff, v95, s11
	v_max3_f32 v71, v71, v81, v82
	v_cmp_gt_i32_e64 s12, s18, v90
	v_or_b32_e32 v78, 28, v69
	v_or_b32_e32 v79, 30, v69
	v_mul_f32_e32 v99, s19, v106
	v_cndmask_b32_e64 v82, 0xff7fffff, v97, s13
	v_cndmask_b32_e64 v81, 0xff7fffff, v98, s12
	v_max3_f32 v71, v71, v80, v83
	v_cmp_gt_i32_e64 s15, s18, v92
	v_cmp_gt_i32_e64 s16, s18, v77
	v_mul_f32_e32 v69, s19, v108
	v_cmp_gt_i32_e64 s17, s18, v78
	v_max3_f32 v71, v71, v81, v82
	v_cndmask_b32_e64 v80, 0xff7fffff, v100, s15
	v_cndmask_b32_e64 v77, 0xff7fffff, v99, s16
	v_cmp_gt_i32_e64 s18, s18, v79
	v_cndmask_b32_e64 v72, 0xff7fffff, v72, s17
	s_delay_alu instid0(VALU_DEP_3) | instskip(NEXT) | instid1(VALU_DEP_3)
	v_max3_f32 v71, v71, v80, v77
	v_cndmask_b32_e64 v69, 0xff7fffff, v69, s18
	s_delay_alu instid0(VALU_DEP_1) | instskip(SKIP_3) | instid1(VALU_DEP_1)
	v_max3_f32 v69, v71, v72, v69
	ds_bpermute_b32 v70, v91, v69
	s_waitcnt lgkmcnt(0)
	v_max_f32_e32 v70, v70, v70
	v_max_f32_e32 v69, v69, v70
	s_delay_alu instid0(VALU_DEP_1) | instskip(NEXT) | instid1(VALU_DEP_1)
	v_fma_f32 v72, s19, v127, -v69
	v_mul_f32_e32 v72, 0x3fb8aa3b, v72
	s_delay_alu instid0(VALU_DEP_1) | instskip(SKIP_3) | instid1(VALU_DEP_1)
	v_exp_f32_e32 v72, v72
	s_waitcnt_depctr 0xfff
	v_cndmask_b32_e64 v85, 0, v72, s4
	v_fma_f32 v72, s19, v132, -v69
	v_mul_f32_e32 v72, 0x3fb8aa3b, v72
	v_fma_f32 v70, s19, v125, -v69
	v_fma_f32 v78, s19, v129, -v69
	;; [unrolled: 1-line block ×5, first 2 shown]
	v_mul_f32_e32 v70, 0x3fb8aa3b, v70
	v_mul_f32_e32 v78, 0x3fb8aa3b, v78
	v_exp_f32_e32 v72, v72
	v_mul_f32_e32 v80, 0x3fb8aa3b, v80
	v_fma_f32 v83, s19, v106, -v69
	v_exp_f32_e32 v70, v70
	v_exp_f32_e32 v78, v78
	s_delay_alu instid0(VALU_DEP_2) | instskip(SKIP_2) | instid1(TRANS32_DEP_3)
	v_exp_f32_e32 v80, v80
	v_cndmask_b32_e64 v90, 0, v72, s9
	v_fma_f32 v72, s19, v105, -v69
	v_cndmask_b32_e64 v81, 0, v70, s3
	v_fma_f32 v70, s19, v130, -v69
	v_mul_f32_e32 v71, 0x3fb8aa3b, v71
	s_delay_alu instid0(TRANS32_DEP_2) | instskip(SKIP_1) | instid1(VALU_DEP_4)
	v_cndmask_b32_e64 v88, 0, v78, s6
	v_fma_f32 v78, s19, v102, -v69
	v_dual_mul_f32 v77, 0x3fb8aa3b, v77 :: v_dual_mul_f32 v70, 0x3fb8aa3b, v70
	s_delay_alu instid0(VALU_DEP_4) | instskip(SKIP_1) | instid1(VALU_DEP_3)
	v_exp_f32_e32 v71, v71
	v_cndmask_b32_e64 v86, 0, v80, s8
	v_mul_f32_e32 v78, 0x3fb8aa3b, v78
	s_delay_alu instid0(VALU_DEP_3)
	v_exp_f32_e32 v79, v77
	v_exp_f32_e32 v70, v70
	v_fma_f32 v80, s19, v104, -v69
	v_mul_f32_e32 v72, 0x3fb8aa3b, v72
	v_exp_f32_e32 v78, v78
	s_mov_b32 s3, exec_lo
	s_delay_alu instid0(VALU_DEP_2) | instskip(NEXT) | instid1(VALU_DEP_2)
	v_mul_f32_e32 v80, 0x3fb8aa3b, v80
	v_exp_f32_e32 v84, v72
	v_cndmask_b32_e64 v87, 0, v79, s5
	s_delay_alu instid0(TRANS32_DEP_3) | instskip(SKIP_4) | instid1(VALU_DEP_2)
	v_cndmask_b32_e64 v89, 0, v70, s7
	v_cndmask_b32_e32 v77, 0, v71, vcc_lo
	v_add_f32_e32 v71, 0, v81
	v_fma_f32 v79, s19, v101, -v69
	v_exp_f32_e32 v80, v80
	v_add_f32_e32 v71, v71, v77
	s_delay_alu instid0(VALU_DEP_1) | instskip(NEXT) | instid1(VALU_DEP_1)
	v_add_f32_e32 v71, v71, v85
	v_add_f32_e32 v71, v71, v87
	s_delay_alu instid0(VALU_DEP_1) | instskip(SKIP_1) | instid1(VALU_DEP_1)
	v_add_f32_e32 v70, v71, v88
	v_fma_f32 v71, s19, v103, -v69
	v_dual_add_f32 v70, v70, v89 :: v_dual_mul_f32 v71, 0x3fb8aa3b, v71
	s_delay_alu instid0(VALU_DEP_1) | instskip(NEXT) | instid1(VALU_DEP_2)
	v_add_f32_e32 v70, v70, v86
	v_exp_f32_e32 v82, v71
	s_waitcnt_depctr 0xfff
	v_cndmask_b32_e64 v72, 0, v82, s12
	v_mul_f32_e32 v79, 0x3fb8aa3b, v79
	s_delay_alu instid0(VALU_DEP_1) | instskip(SKIP_4) | instid1(VALU_DEP_2)
	v_exp_f32_e32 v79, v79
	s_waitcnt_depctr 0xfff
	v_cndmask_b32_e64 v71, 0, v79, s10
	v_add_f32_e32 v79, v70, v90
	v_cndmask_b32_e64 v70, 0, v78, s11
	v_add_f32_e32 v78, v79, v71
	v_fma_f32 v79, s19, v107, -v69
	s_delay_alu instid0(VALU_DEP_2) | instskip(SKIP_1) | instid1(VALU_DEP_2)
	v_add_f32_e32 v82, v78, v70
	v_cndmask_b32_e64 v78, 0, v80, s13
	v_dual_mul_f32 v79, 0x3fb8aa3b, v79 :: v_dual_add_f32 v80, v82, v72
	v_fma_f32 v82, s19, v108, -v69
	v_mul_f32_e32 v83, 0x3fb8aa3b, v83
	s_delay_alu instid0(VALU_DEP_3)
	v_exp_f32_e32 v92, v79
	v_cndmask_b32_e64 v79, 0, v84, s15
	v_add_f32_e32 v84, v80, v78
	v_mul_f32_e32 v82, 0x3fb8aa3b, v82
	v_exp_f32_e32 v83, v83
	s_waitcnt_depctr 0xfff
	v_cndmask_b32_e64 v80, 0, v83, s16
	v_add_f32_e32 v83, v84, v79
	v_exp_f32_e32 v84, v82
	v_cndmask_b32_e64 v82, 0, v92, s17
	s_delay_alu instid0(VALU_DEP_2) | instskip(NEXT) | instid1(VALU_DEP_1)
	v_add_f32_e32 v83, v83, v80
	v_add_f32_e32 v92, v83, v82
	s_waitcnt_depctr 0xfff
	v_cndmask_b32_e64 v83, 0, v84, s18
	s_delay_alu instid0(VALU_DEP_1)
	v_add_f32_e32 v84, v92, v83
	ds_bpermute_b32 v91, v91, v84
	v_cmpx_gt_u32_e32 16, v67
	s_cbranch_execz .LBB1903_12
; %bb.11:
	v_mul_u32_u24_e32 v67, 0x44, v68
	s_waitcnt lgkmcnt(0)
	v_add_f32_e32 v84, v84, v91
	s_delay_alu instid0(VALU_DEP_2) | instskip(NEXT) | instid1(VALU_DEP_1)
	v_lshl_add_u32 v67, v66, 2, v67
	v_add_nc_u32_e32 v67, 0x4000, v67
	ds_store_2addr_b32 v67, v69, v84 offset1:136
.LBB1903_12:
	s_or_b32 exec_lo, exec_lo, s3
	v_lshlrev_b32_e32 v67, 2, v66
	s_waitcnt lgkmcnt(0)
	s_barrier
	buffer_gl0_inv
	v_cmp_eq_u32_e32 vcc_lo, 1, v68
	v_add_nc_u32_e32 v84, 0x4000, v67
	v_cmp_eq_u32_e64 s3, 2, v68
	v_cmp_eq_u32_e64 s5, 7, v68
	ds_load_2addr_b32 v[91:92], v84 offset1:17
	ds_load_2addr_b32 v[93:94], v84 offset0:34 offset1:51
	ds_load_2addr_b32 v[95:96], v84 offset0:68 offset1:85
	;; [unrolled: 1-line block ×4, first 2 shown]
	s_waitcnt lgkmcnt(4)
	v_max3_f32 v67, v91, 0xff7fffff, v92
	s_waitcnt lgkmcnt(3)
	s_delay_alu instid0(VALU_DEP_1) | instskip(SKIP_1) | instid1(VALU_DEP_1)
	v_max3_f32 v67, v67, v93, v94
	s_waitcnt lgkmcnt(2)
	v_max3_f32 v67, v67, v95, v96
	s_waitcnt lgkmcnt(1)
	s_delay_alu instid0(VALU_DEP_1) | instskip(NEXT) | instid1(VALU_DEP_1)
	v_max3_f32 v67, v67, v97, v98
	v_sub_f32_e32 v69, v91, v67
	v_sub_f32_e32 v101, v92, v67
	;; [unrolled: 1-line block ×4, first 2 shown]
	s_delay_alu instid0(VALU_DEP_4) | instskip(NEXT) | instid1(VALU_DEP_4)
	v_mul_f32_e32 v69, 0x3fb8aa3b, v69
	v_mul_f32_e32 v101, 0x3fb8aa3b, v101
	s_delay_alu instid0(VALU_DEP_4) | instskip(NEXT) | instid1(VALU_DEP_4)
	v_mul_f32_e32 v103, 0x3fb8aa3b, v93
	v_mul_f32_e32 v105, 0x3fb8aa3b, v95
	s_delay_alu instid0(VALU_DEP_4) | instskip(SKIP_3) | instid1(VALU_DEP_1)
	v_exp_f32_e32 v102, v69
	v_sub_f32_e32 v69, v94, v67
	v_exp_f32_e32 v101, v101
	v_exp_f32_e32 v103, v103
	v_mul_f32_e32 v104, 0x3fb8aa3b, v69
	s_waitcnt lgkmcnt(0)
	s_delay_alu instid0(TRANS32_DEP_3) | instskip(SKIP_1) | instid1(VALU_DEP_3)
	v_fma_f32 v69, v102, v99, 0
	v_sub_f32_e32 v99, v96, v67
	v_exp_f32_e32 v104, v104
	s_delay_alu instid0(TRANS32_DEP_3) | instid1(VALU_DEP_2)
	v_fmac_f32_e32 v69, v101, v100
	ds_load_2addr_b32 v[91:92], v84 offset0:170 offset1:187
	ds_load_2addr_b32 v[93:94], v84 offset0:204 offset1:221
	;; [unrolled: 1-line block ×3, first 2 shown]
	v_sub_f32_e32 v84, v97, v67
	v_mul_f32_e32 v97, 0x3fb8aa3b, v99
	v_exp_f32_e32 v99, v105
	s_waitcnt lgkmcnt(0)
	s_barrier
	v_mul_f32_e32 v84, 0x3fb8aa3b, v84
	v_exp_f32_e32 v97, v97
	buffer_gl0_inv
	v_exp_f32_e32 v84, v84
	v_fmac_f32_e32 v69, v103, v91
	v_sub_f32_e32 v91, v98, v67
	s_delay_alu instid0(VALU_DEP_2) | instskip(NEXT) | instid1(VALU_DEP_2)
	v_fmac_f32_e32 v69, v104, v92
	v_mul_f32_e32 v91, 0x3fb8aa3b, v91
	s_delay_alu instid0(VALU_DEP_2) | instskip(NEXT) | instid1(VALU_DEP_2)
	v_fmac_f32_e32 v69, v99, v93
	v_exp_f32_e32 v91, v91
	s_delay_alu instid0(VALU_DEP_1)
	v_fmac_f32_e32 v69, v97, v94
	s_delay_alu instid0(TRANS32_DEP_2) | instid1(VALU_DEP_1)
	v_fmac_f32_e32 v69, v84, v95
	s_waitcnt_depctr 0xfff
	v_fmac_f32_e32 v69, v91, v96
	s_delay_alu instid0(VALU_DEP_1) | instskip(NEXT) | instid1(VALU_DEP_1)
	v_add_f32_e32 v92, 0x358637bd, v69
	v_div_scale_f32 v93, null, v92, v92, 1.0
	v_div_scale_f32 v96, s4, 1.0, v92, 1.0
	s_delay_alu instid0(VALU_DEP_2) | instskip(SKIP_2) | instid1(VALU_DEP_1)
	v_rcp_f32_e32 v94, v93
	s_waitcnt_depctr 0xfff
	v_fma_f32 v95, -v93, v94, 1.0
	v_dual_fmac_f32 v94, v95, v94 :: v_dual_cndmask_b32 v95, v102, v101
	v_cmp_eq_u32_e32 vcc_lo, 3, v68
	s_delay_alu instid0(VALU_DEP_2) | instskip(NEXT) | instid1(VALU_DEP_3)
	v_mul_f32_e32 v98, v96, v94
	v_cndmask_b32_e64 v95, v95, v103, s3
	v_cmp_eq_u32_e64 s3, 4, v68
	s_delay_alu instid0(VALU_DEP_3) | instskip(NEXT) | instid1(VALU_DEP_3)
	v_fma_f32 v100, -v93, v98, v96
	v_cndmask_b32_e32 v95, v95, v104, vcc_lo
	v_cmp_eq_u32_e32 vcc_lo, 5, v68
	s_delay_alu instid0(VALU_DEP_3) | instskip(NEXT) | instid1(VALU_DEP_3)
	v_fmac_f32_e32 v98, v100, v94
	v_cndmask_b32_e64 v95, v95, v99, s3
	v_cmp_eq_u32_e64 s3, 6, v68
	s_delay_alu instid0(VALU_DEP_3) | instskip(NEXT) | instid1(VALU_DEP_3)
	v_fma_f32 v93, -v93, v98, v96
	v_cndmask_b32_e32 v95, v95, v97, vcc_lo
	s_mov_b32 vcc_lo, s4
	s_delay_alu instid0(VALU_DEP_2) | instskip(NEXT) | instid1(VALU_DEP_2)
	v_div_fmas_f32 v93, v93, v94, v98
	v_cndmask_b32_e64 v84, v95, v84, s3
	s_mov_b32 s3, exec_lo
	s_delay_alu instid0(VALU_DEP_2) | instskip(NEXT) | instid1(VALU_DEP_2)
	v_div_fixup_f32 v92, v93, v92, 1.0
	v_cndmask_b32_e64 v84, v84, v91, s5
	s_delay_alu instid0(VALU_DEP_1) | instskip(NEXT) | instid1(VALU_DEP_1)
	v_mul_f32_e32 v84, v84, v92
	v_mul_f32_e32 v92, v84, v81
	;; [unrolled: 1-line block ×6, first 2 shown]
	v_dual_mul_f32 v88, v84, v85 :: v_dual_and_b32 v93, 0x7f800000, v92
	v_mul_f32_e32 v91, v84, v87
	v_mul_f32_e32 v87, v84, v77
                                        ; implicit-def: $vgpr77
	s_delay_alu instid0(VALU_DEP_3)
	v_cmpx_ne_u32_e32 0x7f800000, v93
	s_xor_b32 s3, exec_lo, s3
; %bb.13:
	v_bfe_u32 v77, v92, 16, 1
	s_delay_alu instid0(VALU_DEP_1)
	v_add3_u32 v77, v92, v77, 0x7fff
                                        ; implicit-def: $vgpr92
; %bb.14:
	s_and_not1_saveexec_b32 s3, s3
; %bb.15:
	v_and_b32_e32 v77, 0xffff, v92
	v_or_b32_e32 v85, 0x10000, v92
	s_delay_alu instid0(VALU_DEP_2) | instskip(NEXT) | instid1(VALU_DEP_2)
	v_cmp_eq_u32_e32 vcc_lo, 0, v77
	v_cndmask_b32_e32 v77, v85, v92, vcc_lo
; %bb.16:
	s_or_b32 exec_lo, exec_lo, s3
	v_and_b32_e32 v85, 0x7f800000, v87
	s_delay_alu instid0(VALU_DEP_1) | instskip(SKIP_1) | instid1(SALU_CYCLE_1)
	v_cmp_ne_u32_e32 vcc_lo, 0x7f800000, v85
                                        ; implicit-def: $vgpr85
	s_and_saveexec_b32 s3, vcc_lo
	s_xor_b32 s3, exec_lo, s3
; %bb.17:
	v_bfe_u32 v85, v87, 16, 1
	s_delay_alu instid0(VALU_DEP_1)
	v_add3_u32 v85, v87, v85, 0x7fff
                                        ; implicit-def: $vgpr87
; %bb.18:
	s_and_not1_saveexec_b32 s3, s3
; %bb.19:
	v_and_b32_e32 v85, 0xffff, v87
	v_or_b32_e32 v92, 0x10000, v87
	s_delay_alu instid0(VALU_DEP_2) | instskip(NEXT) | instid1(VALU_DEP_2)
	v_cmp_eq_u32_e32 vcc_lo, 0, v85
	v_cndmask_b32_e32 v85, v92, v87, vcc_lo
; %bb.20:
	s_or_b32 exec_lo, exec_lo, s3
	v_and_b32_e32 v87, 0x7f800000, v88
	s_delay_alu instid0(VALU_DEP_1) | instskip(SKIP_1) | instid1(SALU_CYCLE_1)
	v_cmp_ne_u32_e32 vcc_lo, 0x7f800000, v87
                                        ; implicit-def: $vgpr87
	s_and_saveexec_b32 s3, vcc_lo
	s_xor_b32 s3, exec_lo, s3
; %bb.21:
	v_bfe_u32 v87, v88, 16, 1
	s_delay_alu instid0(VALU_DEP_1)
	v_add3_u32 v87, v88, v87, 0x7fff
                                        ; implicit-def: $vgpr88
; %bb.22:
	s_and_not1_saveexec_b32 s3, s3
; %bb.23:
	v_and_b32_e32 v87, 0xffff, v88
	v_or_b32_e32 v92, 0x10000, v88
	s_delay_alu instid0(VALU_DEP_2) | instskip(NEXT) | instid1(VALU_DEP_2)
	v_cmp_eq_u32_e32 vcc_lo, 0, v87
	v_cndmask_b32_e32 v87, v92, v88, vcc_lo
; %bb.24:
	s_or_b32 exec_lo, exec_lo, s3
	v_and_b32_e32 v88, 0x7f800000, v91
	s_delay_alu instid0(VALU_DEP_1) | instskip(SKIP_1) | instid1(SALU_CYCLE_1)
	v_cmp_ne_u32_e32 vcc_lo, 0x7f800000, v88
                                        ; implicit-def: $vgpr88
	s_and_saveexec_b32 s3, vcc_lo
	s_xor_b32 s3, exec_lo, s3
; %bb.25:
	v_bfe_u32 v88, v91, 16, 1
	s_delay_alu instid0(VALU_DEP_1)
	v_add3_u32 v88, v91, v88, 0x7fff
                                        ; implicit-def: $vgpr91
; %bb.26:
	s_and_not1_saveexec_b32 s3, s3
; %bb.27:
	v_and_b32_e32 v88, 0xffff, v91
	v_or_b32_e32 v92, 0x10000, v91
	s_delay_alu instid0(VALU_DEP_2) | instskip(NEXT) | instid1(VALU_DEP_2)
	v_cmp_eq_u32_e32 vcc_lo, 0, v88
	v_cndmask_b32_e32 v88, v92, v91, vcc_lo
; %bb.28:
	s_or_b32 exec_lo, exec_lo, s3
	v_and_b32_e32 v91, 0x7f800000, v90
	s_delay_alu instid0(VALU_DEP_1) | instskip(SKIP_1) | instid1(SALU_CYCLE_1)
	v_cmp_ne_u32_e32 vcc_lo, 0x7f800000, v91
                                        ; implicit-def: $vgpr91
	s_and_saveexec_b32 s3, vcc_lo
	s_xor_b32 s3, exec_lo, s3
; %bb.29:
	v_bfe_u32 v91, v90, 16, 1
	s_delay_alu instid0(VALU_DEP_1)
	v_add3_u32 v91, v90, v91, 0x7fff
                                        ; implicit-def: $vgpr90
; %bb.30:
	s_and_not1_saveexec_b32 s3, s3
; %bb.31:
	v_and_b32_e32 v91, 0xffff, v90
	v_or_b32_e32 v92, 0x10000, v90
	s_delay_alu instid0(VALU_DEP_2) | instskip(NEXT) | instid1(VALU_DEP_2)
	v_cmp_eq_u32_e32 vcc_lo, 0, v91
	v_cndmask_b32_e32 v91, v92, v90, vcc_lo
; %bb.32:
	s_or_b32 exec_lo, exec_lo, s3
	v_and_b32_e32 v90, 0x7f800000, v89
	s_delay_alu instid0(VALU_DEP_1) | instskip(SKIP_1) | instid1(SALU_CYCLE_1)
	v_cmp_ne_u32_e32 vcc_lo, 0x7f800000, v90
                                        ; implicit-def: $vgpr90
	s_and_saveexec_b32 s3, vcc_lo
	s_xor_b32 s3, exec_lo, s3
; %bb.33:
	v_bfe_u32 v90, v89, 16, 1
	s_delay_alu instid0(VALU_DEP_1)
	v_add3_u32 v90, v89, v90, 0x7fff
                                        ; implicit-def: $vgpr89
; %bb.34:
	s_and_not1_saveexec_b32 s3, s3
; %bb.35:
	v_and_b32_e32 v90, 0xffff, v89
	v_or_b32_e32 v92, 0x10000, v89
	s_delay_alu instid0(VALU_DEP_2) | instskip(NEXT) | instid1(VALU_DEP_2)
	v_cmp_eq_u32_e32 vcc_lo, 0, v90
	v_cndmask_b32_e32 v90, v92, v89, vcc_lo
; %bb.36:
	s_or_b32 exec_lo, exec_lo, s3
	v_and_b32_e32 v89, 0x7f800000, v86
	s_delay_alu instid0(VALU_DEP_1) | instskip(SKIP_1) | instid1(SALU_CYCLE_1)
	v_cmp_ne_u32_e32 vcc_lo, 0x7f800000, v89
                                        ; implicit-def: $vgpr89
	s_and_saveexec_b32 s3, vcc_lo
	s_xor_b32 s3, exec_lo, s3
; %bb.37:
	v_bfe_u32 v89, v86, 16, 1
	s_delay_alu instid0(VALU_DEP_1)
	v_add3_u32 v89, v86, v89, 0x7fff
                                        ; implicit-def: $vgpr86
; %bb.38:
	s_and_not1_saveexec_b32 s3, s3
; %bb.39:
	v_and_b32_e32 v89, 0xffff, v86
	v_or_b32_e32 v92, 0x10000, v86
	s_delay_alu instid0(VALU_DEP_2) | instskip(NEXT) | instid1(VALU_DEP_2)
	v_cmp_eq_u32_e32 vcc_lo, 0, v89
	v_cndmask_b32_e32 v89, v92, v86, vcc_lo
; %bb.40:
	s_or_b32 exec_lo, exec_lo, s3
	v_and_b32_e32 v86, 0x7f800000, v81
	s_delay_alu instid0(VALU_DEP_1) | instskip(SKIP_1) | instid1(SALU_CYCLE_1)
	v_cmp_ne_u32_e32 vcc_lo, 0x7f800000, v86
                                        ; implicit-def: $vgpr86
	s_and_saveexec_b32 s3, vcc_lo
	s_xor_b32 s3, exec_lo, s3
; %bb.41:
	v_bfe_u32 v86, v81, 16, 1
	s_delay_alu instid0(VALU_DEP_1)
	v_add3_u32 v86, v81, v86, 0x7fff
                                        ; implicit-def: $vgpr81
; %bb.42:
	s_and_not1_saveexec_b32 s3, s3
; %bb.43:
	v_and_b32_e32 v86, 0xffff, v81
	v_or_b32_e32 v92, 0x10000, v81
	s_delay_alu instid0(VALU_DEP_2) | instskip(NEXT) | instid1(VALU_DEP_2)
	v_cmp_eq_u32_e32 vcc_lo, 0, v86
	v_cndmask_b32_e32 v86, v92, v81, vcc_lo
; %bb.44:
	s_or_b32 exec_lo, exec_lo, s3
	s_load_b64 s[34:35], s[0:1], 0x94
	v_lshlrev_b32_e32 v93, 4, v65
	s_delay_alu instid0(VALU_DEP_2)
	v_perm_b32 v92, v86, v89, 0x7060302
	v_dual_mul_f32 v80, v84, v80 :: v_dual_lshlrev_b32 v81, 6, v66
	v_lshlrev_b32_e32 v66, 11, v68
	v_perm_b32 v89, v85, v77, 0x7060302
	v_mul_f32_e32 v85, v84, v71
	v_perm_b32 v91, v90, v91, 0x7060302
	v_perm_b32 v90, v88, v87, 0x7060302
	v_or3_b32 v77, v93, v66, v81
	v_mul_f32_e32 v66, v84, v83
	v_dual_mul_f32 v71, v84, v82 :: v_dual_and_b32 v86, 0x7f800000, v85
	v_mul_f32_e32 v79, v84, v79
	v_mul_f32_e32 v83, v84, v78
	;; [unrolled: 1-line block ×4, first 2 shown]
	s_mov_b32 s3, exec_lo
	ds_store_b128 v77, v[89:92]
                                        ; implicit-def: $vgpr70
	v_cmpx_ne_u32_e32 0x7f800000, v86
	s_xor_b32 s3, exec_lo, s3
; %bb.45:
	v_bfe_u32 v70, v85, 16, 1
	s_delay_alu instid0(VALU_DEP_1)
	v_add3_u32 v70, v85, v70, 0x7fff
                                        ; implicit-def: $vgpr85
; %bb.46:
	s_and_not1_saveexec_b32 s3, s3
; %bb.47:
	v_and_b32_e32 v70, 0xffff, v85
	v_or_b32_e32 v72, 0x10000, v85
	s_delay_alu instid0(VALU_DEP_2) | instskip(NEXT) | instid1(VALU_DEP_2)
	v_cmp_eq_u32_e32 vcc_lo, 0, v70
	v_cndmask_b32_e32 v70, v72, v85, vcc_lo
; %bb.48:
	s_or_b32 exec_lo, exec_lo, s3
	v_and_b32_e32 v72, 0x7f800000, v78
	s_delay_alu instid0(VALU_DEP_1) | instskip(SKIP_1) | instid1(SALU_CYCLE_1)
	v_cmp_ne_u32_e32 vcc_lo, 0x7f800000, v72
                                        ; implicit-def: $vgpr72
	s_and_saveexec_b32 s3, vcc_lo
	s_xor_b32 s3, exec_lo, s3
; %bb.49:
	v_bfe_u32 v72, v78, 16, 1
	s_delay_alu instid0(VALU_DEP_1)
	v_add3_u32 v72, v78, v72, 0x7fff
                                        ; implicit-def: $vgpr78
; %bb.50:
	s_and_not1_saveexec_b32 s3, s3
; %bb.51:
	v_and_b32_e32 v72, 0xffff, v78
	v_or_b32_e32 v84, 0x10000, v78
	s_delay_alu instid0(VALU_DEP_2) | instskip(NEXT) | instid1(VALU_DEP_2)
	v_cmp_eq_u32_e32 vcc_lo, 0, v72
	v_cndmask_b32_e32 v72, v84, v78, vcc_lo
; %bb.52:
	s_or_b32 exec_lo, exec_lo, s3
	v_and_b32_e32 v78, 0x7f800000, v82
	s_delay_alu instid0(VALU_DEP_1) | instskip(SKIP_1) | instid1(SALU_CYCLE_1)
	v_cmp_ne_u32_e32 vcc_lo, 0x7f800000, v78
                                        ; implicit-def: $vgpr78
	s_and_saveexec_b32 s3, vcc_lo
	s_xor_b32 s3, exec_lo, s3
; %bb.53:
	v_bfe_u32 v78, v82, 16, 1
	s_delay_alu instid0(VALU_DEP_1)
	v_add3_u32 v78, v82, v78, 0x7fff
                                        ; implicit-def: $vgpr82
; %bb.54:
	s_and_not1_saveexec_b32 s3, s3
; %bb.55:
	v_and_b32_e32 v78, 0xffff, v82
	v_or_b32_e32 v84, 0x10000, v82
	s_delay_alu instid0(VALU_DEP_2) | instskip(NEXT) | instid1(VALU_DEP_2)
	v_cmp_eq_u32_e32 vcc_lo, 0, v78
	v_cndmask_b32_e32 v78, v84, v82, vcc_lo
; %bb.56:
	s_or_b32 exec_lo, exec_lo, s3
	v_and_b32_e32 v82, 0x7f800000, v83
	s_delay_alu instid0(VALU_DEP_1) | instskip(SKIP_1) | instid1(SALU_CYCLE_1)
	v_cmp_ne_u32_e32 vcc_lo, 0x7f800000, v82
                                        ; implicit-def: $vgpr82
	s_and_saveexec_b32 s3, vcc_lo
	s_xor_b32 s3, exec_lo, s3
; %bb.57:
	v_bfe_u32 v82, v83, 16, 1
	s_delay_alu instid0(VALU_DEP_1)
	v_add3_u32 v82, v83, v82, 0x7fff
                                        ; implicit-def: $vgpr83
; %bb.58:
	s_and_not1_saveexec_b32 s3, s3
; %bb.59:
	v_and_b32_e32 v82, 0xffff, v83
	v_or_b32_e32 v84, 0x10000, v83
	s_delay_alu instid0(VALU_DEP_2) | instskip(NEXT) | instid1(VALU_DEP_2)
	v_cmp_eq_u32_e32 vcc_lo, 0, v82
	v_cndmask_b32_e32 v82, v84, v83, vcc_lo
; %bb.60:
	s_or_b32 exec_lo, exec_lo, s3
	v_and_b32_e32 v83, 0x7f800000, v79
	s_delay_alu instid0(VALU_DEP_1) | instskip(SKIP_1) | instid1(SALU_CYCLE_1)
	v_cmp_ne_u32_e32 vcc_lo, 0x7f800000, v83
                                        ; implicit-def: $vgpr83
	s_and_saveexec_b32 s3, vcc_lo
	s_xor_b32 s3, exec_lo, s3
; %bb.61:
	v_bfe_u32 v83, v79, 16, 1
	s_delay_alu instid0(VALU_DEP_1)
	v_add3_u32 v83, v79, v83, 0x7fff
                                        ; implicit-def: $vgpr79
; %bb.62:
	s_and_not1_saveexec_b32 s3, s3
; %bb.63:
	v_and_b32_e32 v83, 0xffff, v79
	v_or_b32_e32 v84, 0x10000, v79
	s_delay_alu instid0(VALU_DEP_2) | instskip(NEXT) | instid1(VALU_DEP_2)
	v_cmp_eq_u32_e32 vcc_lo, 0, v83
	v_cndmask_b32_e32 v83, v84, v79, vcc_lo
; %bb.64:
	s_or_b32 exec_lo, exec_lo, s3
	v_and_b32_e32 v79, 0x7f800000, v80
	s_delay_alu instid0(VALU_DEP_1) | instskip(SKIP_1) | instid1(SALU_CYCLE_1)
	v_cmp_ne_u32_e32 vcc_lo, 0x7f800000, v79
                                        ; implicit-def: $vgpr79
	s_and_saveexec_b32 s3, vcc_lo
	s_xor_b32 s3, exec_lo, s3
; %bb.65:
	v_bfe_u32 v79, v80, 16, 1
	s_delay_alu instid0(VALU_DEP_1)
	v_add3_u32 v79, v80, v79, 0x7fff
                                        ; implicit-def: $vgpr80
; %bb.66:
	s_and_not1_saveexec_b32 s3, s3
; %bb.67:
	v_and_b32_e32 v79, 0xffff, v80
	v_or_b32_e32 v84, 0x10000, v80
	s_delay_alu instid0(VALU_DEP_2) | instskip(NEXT) | instid1(VALU_DEP_2)
	v_cmp_eq_u32_e32 vcc_lo, 0, v79
	v_cndmask_b32_e32 v79, v84, v80, vcc_lo
; %bb.68:
	s_or_b32 exec_lo, exec_lo, s3
	v_and_b32_e32 v80, 0x7f800000, v71
	s_delay_alu instid0(VALU_DEP_1) | instskip(SKIP_1) | instid1(SALU_CYCLE_1)
	v_cmp_ne_u32_e32 vcc_lo, 0x7f800000, v80
                                        ; implicit-def: $vgpr80
	s_and_saveexec_b32 s3, vcc_lo
	s_xor_b32 s3, exec_lo, s3
; %bb.69:
	v_bfe_u32 v80, v71, 16, 1
	s_delay_alu instid0(VALU_DEP_1)
	v_add3_u32 v80, v71, v80, 0x7fff
                                        ; implicit-def: $vgpr71
; %bb.70:
	s_and_not1_saveexec_b32 s3, s3
; %bb.71:
	v_and_b32_e32 v80, 0xffff, v71
	v_or_b32_e32 v84, 0x10000, v71
	s_delay_alu instid0(VALU_DEP_2) | instskip(NEXT) | instid1(VALU_DEP_2)
	v_cmp_eq_u32_e32 vcc_lo, 0, v80
	v_cndmask_b32_e32 v80, v84, v71, vcc_lo
; %bb.72:
	s_or_b32 exec_lo, exec_lo, s3
	v_and_b32_e32 v71, 0x7f800000, v66
	s_delay_alu instid0(VALU_DEP_1) | instskip(SKIP_1) | instid1(SALU_CYCLE_1)
	v_cmp_ne_u32_e32 vcc_lo, 0x7f800000, v71
                                        ; implicit-def: $vgpr71
	s_and_saveexec_b32 s3, vcc_lo
	s_xor_b32 s3, exec_lo, s3
; %bb.73:
	v_bfe_u32 v71, v66, 16, 1
	s_delay_alu instid0(VALU_DEP_1)
	v_add3_u32 v71, v66, v71, 0x7fff
                                        ; implicit-def: $vgpr66
; %bb.74:
	s_and_not1_saveexec_b32 s3, s3
; %bb.75:
	v_and_b32_e32 v71, 0xffff, v66
	v_or_b32_e32 v84, 0x10000, v66
	s_delay_alu instid0(VALU_DEP_2) | instskip(NEXT) | instid1(VALU_DEP_2)
	v_cmp_eq_u32_e32 vcc_lo, 0, v71
	v_cndmask_b32_e32 v71, v84, v66, vcc_lo
; %bb.76:
	s_or_b32 exec_lo, exec_lo, s3
	s_delay_alu instid0(VALU_DEP_1)
	v_perm_b32 v87, v71, v80, 0x7060302
	v_perm_b32 v86, v79, v83, 0x7060302
	;; [unrolled: 1-line block ×4, first 2 shown]
	v_lshl_or_b32 v83, v68, 11, v81
	ds_store_b128 v77, v[84:87] offset:1024
	s_waitcnt lgkmcnt(0)
	s_barrier
	buffer_gl0_inv
	ds_load_b128 v[84:87], v83
	ds_load_b128 v[88:91], v83 offset:16
	s_waitcnt lgkmcnt(1)
	v_lshrrev_b32_e32 v70, 16, v87
	s_waitcnt lgkmcnt(0)
	v_lshrrev_b32_e32 v71, 16, v88
	v_lshlrev_b32_e32 v79, 2, v65
	v_lshrrev_b32_e32 v65, 16, v84
	v_lshrrev_b32_e32 v66, 16, v85
	;; [unrolled: 1-line block ×4, first 2 shown]
	v_cmp_eq_u32_e32 vcc_lo, 1, v79
	v_lshrrev_b32_e32 v100, 16, v90
	v_lshrrev_b32_e32 v101, 16, v91
	v_cndmask_b32_e32 v92, v88, v71, vcc_lo
	v_or_b32_e32 v80, 1, v79
	v_cndmask_b32_e32 v82, v84, v65, vcc_lo
	v_cmp_eq_u32_e64 s4, 2, v79
	v_cmp_eq_u32_e64 s7, 3, v79
	;; [unrolled: 1-line block ×5, first 2 shown]
	v_cndmask_b32_e64 v82, v82, v85, s4
	v_cndmask_b32_e64 v92, v92, v89, s4
	v_cmp_eq_u32_e64 s8, 3, v80
	v_cndmask_b32_e64 v93, v84, v65, s3
	v_or_b32_e32 v78, 2, v79
	v_cndmask_b32_e64 v82, v82, v66, s7
	v_cndmask_b32_e64 v92, v92, v72, s7
	;; [unrolled: 1-line block ×4, first 2 shown]
	v_cmp_eq_u32_e64 s10, 5, v79
	v_cndmask_b32_e64 v82, v82, v86, s9
	v_cndmask_b32_e64 v92, v92, v90, s9
	v_cmp_eq_u32_e64 s11, 4, v80
	v_cndmask_b32_e64 v93, v93, v66, s8
	v_cmp_eq_u32_e64 s5, 1, v78
	v_cndmask_b32_e64 v94, v94, v89, s6
	v_cndmask_b32_e64 v82, v82, v68, s10
	v_cmp_eq_u32_e64 s12, 6, v79
	v_cndmask_b32_e64 v93, v93, v86, s11
	;; [unrolled: 3-line block ×3, first 2 shown]
	v_cndmask_b32_e64 v94, v94, v72, s8
	v_cndmask_b32_e64 v82, v82, v87, s12
	v_cmp_eq_u32_e64 s15, 7, v79
	v_cndmask_b32_e64 v93, v93, v68, s13
	v_cndmask_b32_e64 v92, v92, v91, s12
	v_cmp_eq_u32_e64 s16, 6, v80
	v_cmp_eq_u32_e64 s17, 2, v78
	v_cndmask_b32_e64 v94, v94, v90, s11
	v_cndmask_b32_e64 v102, v82, v70, s15
	v_cndmask_b32_e64 v103, v92, v101, s15
	v_cndmask_b32_e64 v93, v93, v87, s16
	v_cndmask_b32_e64 v82, v95, v85, s17
	v_cndmask_b32_e64 v92, v88, v71, s5
	v_cmp_eq_u32_e64 s18, 7, v80
	v_cmp_eq_u32_e64 s19, 3, v78
	;; [unrolled: 1-line block ×4, first 2 shown]
	v_cndmask_b32_e64 v92, v92, v89, s17
	v_cndmask_b32_e64 v104, v93, v70, s18
	;; [unrolled: 1-line block ×4, first 2 shown]
	v_or_b32_e32 v82, 3, v79
	v_cndmask_b32_e64 v97, v92, v72, s19
	v_cmp_eq_u32_e64 s24, 6, v78
	v_cndmask_b32_e64 v105, v93, v91, s16
	v_cndmask_b32_e64 v96, v94, v86, s20
	v_cmp_eq_u32_e64 s21, 1, v82
	ds_load_b128 v[92:95], v83 offset:1024
	v_cmp_eq_u32_e64 s23, 2, v82
	v_cmp_eq_u32_e64 s25, 3, v82
	v_cndmask_b32_e64 v106, v96, v68, s22
	v_cndmask_b32_e64 v65, v84, v65, s21
	;; [unrolled: 1-line block ×3, first 2 shown]
	ds_load_b128 v[96:99], v83 offset:1040
	v_cndmask_b32_e64 v71, v88, v71, s21
	v_cmp_eq_u32_e64 s26, 4, v82
	v_cndmask_b32_e64 v65, v65, v85, s23
	v_cmp_eq_u32_e64 s28, 5, v82
	v_cmp_eq_u32_e64 s29, 6, v82
	v_cndmask_b32_e64 v71, v71, v89, s23
	v_cndmask_b32_e64 v84, v84, v100, s22
	;; [unrolled: 1-line block ×4, first 2 shown]
	v_cmp_eq_u32_e64 s27, 7, v78
	v_cndmask_b32_e64 v71, v71, v72, s25
	v_cndmask_b32_e64 v84, v84, v91, s24
	;; [unrolled: 1-line block ×3, first 2 shown]
	s_waitcnt lgkmcnt(1)
	v_lshrrev_b32_e32 v72, 16, v92
	v_lshrrev_b32_e32 v88, 16, v93
	v_cndmask_b32_e64 v71, v71, v90, s26
	v_cndmask_b32_e64 v66, v66, v70, s27
	;; [unrolled: 1-line block ×3, first 2 shown]
	v_cndmask_b32_e32 v86, v92, v72, vcc_lo
	v_cndmask_b32_e64 v89, v92, v72, s3
	v_cndmask_b32_e64 v68, v71, v100, s28
	s_waitcnt lgkmcnt(0)
	v_lshrrev_b32_e32 v71, 16, v96
	v_cndmask_b32_e64 v65, v65, v87, s29
	v_cndmask_b32_e64 v86, v86, v93, s4
	;; [unrolled: 1-line block ×4, first 2 shown]
	v_cndmask_b32_e32 v90, v96, v71, vcc_lo
	v_cmp_eq_u32_e32 vcc_lo, 7, v82
	v_cndmask_b32_e64 v86, v86, v88, s7
	v_cndmask_b32_e64 v87, v87, v88, s8
	v_lshrrev_b32_e32 v91, 16, v94
	v_cndmask_b32_e64 v89, v90, v97, s4
	v_lshrrev_b32_e32 v90, 16, v97
	v_cndmask_b32_e64 v86, v86, v94, s9
	v_dual_cndmask_b32 v65, v65, v70 :: v_dual_cndmask_b32 v68, v68, v101
	v_cndmask_b32_e64 v70, v87, v94, s11
	s_delay_alu instid0(VALU_DEP_4) | instskip(NEXT) | instid1(VALU_DEP_4)
	v_cndmask_b32_e64 v89, v89, v90, s7
	v_cndmask_b32_e64 v86, v86, v91, s10
	v_lshrrev_b32_e32 v100, 16, v98
	v_cndmask_b32_e64 v84, v84, v101, s27
	v_perm_b32 v87, v68, v65, 0x5040100
	v_cndmask_b32_e64 v89, v89, v98, s9
	v_cndmask_b32_e64 v65, v70, v91, s13
	;; [unrolled: 1-line block ×3, first 2 shown]
	v_lshrrev_b32_e32 v70, 16, v95
	v_cndmask_b32_e64 v85, v105, v101, s18
	v_cndmask_b32_e64 v89, v89, v100, s10
	v_perm_b32 v86, v84, v66, 0x5040100
	v_cndmask_b32_e64 v101, v96, v71, s5
	v_cndmask_b32_e64 v66, v68, v70, s15
	;; [unrolled: 1-line block ×8, first 2 shown]
	v_lshrrev_b32_e32 v84, 16, v99
	v_cndmask_b32_e64 v89, v89, v93, s17
	v_cndmask_b32_e64 v72, v72, v93, s23
	;; [unrolled: 1-line block ×27, first 2 shown]
	v_cndmask_b32_e32 v70, v72, v70, vcc_lo
	v_cndmask_b32_e32 v72, v88, v84, vcc_lo
	v_cndmask_b32_e64 v88, v90, v84, s27
	v_cndmask_b32_e64 v71, v71, v84, s18
	;; [unrolled: 1-line block ×3, first 2 shown]
	v_perm_b32 v85, v85, v104, 0x5040100
	v_perm_b32 v84, v103, v102, 0x5040100
	v_perm_b32 v91, v72, v70, 0x5040100
	v_perm_b32 v90, v88, v89, 0x5040100
	v_perm_b32 v89, v71, v65, 0x5040100
	v_perm_b32 v88, v68, v66, 0x5040100
	s_lshl_b32 s8, s35, 1
	s_mov_b32 s3, exec_lo
	ds_store_b128 v77, v[84:87]
	ds_store_b128 v77, v[88:91] offset:1024
	v_cmpx_gt_u32_e32 2, v0
	s_cbranch_execz .LBB1903_78
; %bb.77:
	v_or_b32_e32 v65, s31, v0
	s_load_b128 s[4:7], s[0:1], 0x58
	s_delay_alu instid0(VALU_DEP_1) | instskip(NEXT) | instid1(VALU_DEP_1)
	v_mad_u64_u32 v[70:71], null, s8, s30, v[65:66]
	v_mad_u64_u32 v[65:66], null, v70, s34, s[14:15]
	s_delay_alu instid0(VALU_DEP_1) | instskip(NEXT) | instid1(VALU_DEP_1)
	v_ashrrev_i32_e32 v66, 31, v65
	v_lshlrev_b64 v[65:66], 2, v[65:66]
	s_waitcnt lgkmcnt(0)
	s_delay_alu instid0(VALU_DEP_1) | instskip(NEXT) | instid1(VALU_DEP_2)
	v_add_co_u32 v70, vcc_lo, s6, v65
	v_add_co_ci_u32_e32 v71, vcc_lo, s7, v66, vcc_lo
	v_add_co_u32 v65, vcc_lo, s4, v65
	v_add_co_ci_u32_e32 v66, vcc_lo, s5, v66, vcc_lo
	global_store_b32 v[70:71], v67, off
	global_store_b32 v[65:66], v69, off
.LBB1903_78:
	s_or_b32 exec_lo, exec_lo, s3
	s_waitcnt lgkmcnt(0)
	s_waitcnt_vscnt null, 0x0
	s_barrier
	buffer_gl0_inv
	ds_load_b128 v[84:87], v81
	ds_load_b128 v[88:91], v81 offset:16
	ds_load_b128 v[96:99], v81 offset:2064
	;; [unrolled: 1-line block ×3, first 2 shown]
	v_mov_b32_e32 v65, 0
	ds_load_b128 v[104:107], v81 offset:4112
	ds_load_b128 v[100:103], v81 offset:4096
	;; [unrolled: 1-line block ×4, first 2 shown]
	v_mov_b32_e32 v66, v65
	v_mov_b32_e32 v67, v65
	;; [unrolled: 1-line block ×7, first 2 shown]
	s_waitcnt lgkmcnt(6)
	s_delay_alu instid0(VALU_DEP_1)
	v_wmma_f32_16x16x16_bf16 v[65:72], v[41:48], v[84:91], v[65:72]
	ds_load_b128 v[45:48], v81 offset:8208
	ds_load_b128 v[41:44], v81 offset:8192
	s_waitcnt lgkmcnt(6)
	v_wmma_f32_16x16x16_bf16 v[65:72], v[33:40], v[92:99], v[65:72]
	ds_load_b128 v[37:40], v81 offset:10256
	ds_load_b128 v[33:36], v81 offset:10240
	s_waitcnt lgkmcnt(6)
	;; [unrolled: 4-line block ×4, first 2 shown]
	v_wmma_f32_16x16x16_bf16 v[65:72], v[1:8], v[41:48], v[65:72]
	s_waitcnt lgkmcnt(4)
	s_delay_alu instid0(VALU_DEP_1) | instskip(SKIP_1) | instid1(VALU_DEP_1)
	v_wmma_f32_16x16x16_bf16 v[65:72], v[9:16], v[33:40], v[65:72]
	s_waitcnt lgkmcnt(2)
	v_wmma_f32_16x16x16_bf16 v[65:72], v[57:64], v[25:32], v[65:72]
	s_waitcnt lgkmcnt(0)
	s_delay_alu instid0(VALU_DEP_1) | instskip(NEXT) | instid1(VALU_DEP_1)
	v_wmma_f32_16x16x16_bf16 v[65:72], v[49:56], v[17:24], v[65:72]
	v_and_b32_e32 v1, 0x7f800000, v65
	s_delay_alu instid0(VALU_DEP_1) | instskip(SKIP_1) | instid1(SALU_CYCLE_1)
	v_cmp_ne_u32_e32 vcc_lo, 0x7f800000, v1
                                        ; implicit-def: $vgpr1
	s_and_saveexec_b32 s3, vcc_lo
	s_xor_b32 s3, exec_lo, s3
; %bb.79:
	v_bfe_u32 v1, v65, 16, 1
	s_delay_alu instid0(VALU_DEP_1)
	v_add3_u32 v1, v65, v1, 0x7fff
; %bb.80:
	s_and_not1_saveexec_b32 s3, s3
; %bb.81:
	v_and_b32_e32 v1, 0xffff, v65
	v_or_b32_e32 v2, 0x10000, v65
	s_delay_alu instid0(VALU_DEP_2) | instskip(NEXT) | instid1(VALU_DEP_2)
	v_cmp_eq_u32_e32 vcc_lo, 0, v1
	v_cndmask_b32_e32 v1, v2, v65, vcc_lo
; %bb.82:
	s_or_b32 exec_lo, exec_lo, s3
	v_and_b32_e32 v2, 0x7f800000, v66
	s_delay_alu instid0(VALU_DEP_1) | instskip(SKIP_1) | instid1(SALU_CYCLE_1)
	v_cmp_ne_u32_e32 vcc_lo, 0x7f800000, v2
                                        ; implicit-def: $vgpr2
	s_and_saveexec_b32 s3, vcc_lo
	s_xor_b32 s3, exec_lo, s3
; %bb.83:
	v_bfe_u32 v2, v66, 16, 1
	s_delay_alu instid0(VALU_DEP_1)
	v_add3_u32 v2, v66, v2, 0x7fff
; %bb.84:
	s_and_not1_saveexec_b32 s3, s3
; %bb.85:
	v_and_b32_e32 v2, 0xffff, v66
	v_or_b32_e32 v3, 0x10000, v66
	s_delay_alu instid0(VALU_DEP_2) | instskip(NEXT) | instid1(VALU_DEP_2)
	v_cmp_eq_u32_e32 vcc_lo, 0, v2
	v_cndmask_b32_e32 v2, v3, v66, vcc_lo
; %bb.86:
	s_or_b32 exec_lo, exec_lo, s3
	v_and_b32_e32 v3, 0x7f800000, v67
	s_delay_alu instid0(VALU_DEP_1) | instskip(SKIP_1) | instid1(SALU_CYCLE_1)
	v_cmp_ne_u32_e32 vcc_lo, 0x7f800000, v3
                                        ; implicit-def: $vgpr3
	s_and_saveexec_b32 s3, vcc_lo
	s_xor_b32 s3, exec_lo, s3
; %bb.87:
	v_bfe_u32 v3, v67, 16, 1
	s_delay_alu instid0(VALU_DEP_1)
	v_add3_u32 v3, v67, v3, 0x7fff
; %bb.88:
	s_and_not1_saveexec_b32 s3, s3
; %bb.89:
	v_and_b32_e32 v3, 0xffff, v67
	v_or_b32_e32 v4, 0x10000, v67
	s_delay_alu instid0(VALU_DEP_2) | instskip(NEXT) | instid1(VALU_DEP_2)
	v_cmp_eq_u32_e32 vcc_lo, 0, v3
	v_cndmask_b32_e32 v3, v4, v67, vcc_lo
; %bb.90:
	s_or_b32 exec_lo, exec_lo, s3
	v_and_b32_e32 v4, 0x7f800000, v68
	s_delay_alu instid0(VALU_DEP_1) | instskip(SKIP_1) | instid1(SALU_CYCLE_1)
	v_cmp_ne_u32_e32 vcc_lo, 0x7f800000, v4
                                        ; implicit-def: $vgpr4
	s_and_saveexec_b32 s3, vcc_lo
	s_xor_b32 s3, exec_lo, s3
; %bb.91:
	v_bfe_u32 v4, v68, 16, 1
	s_delay_alu instid0(VALU_DEP_1)
	v_add3_u32 v4, v68, v4, 0x7fff
; %bb.92:
	s_and_not1_saveexec_b32 s3, s3
; %bb.93:
	v_and_b32_e32 v4, 0xffff, v68
	v_or_b32_e32 v5, 0x10000, v68
	s_delay_alu instid0(VALU_DEP_2) | instskip(NEXT) | instid1(VALU_DEP_2)
	v_cmp_eq_u32_e32 vcc_lo, 0, v4
	v_cndmask_b32_e32 v4, v5, v68, vcc_lo
; %bb.94:
	s_or_b32 exec_lo, exec_lo, s3
	v_and_b32_e32 v5, 0x7f800000, v69
	s_delay_alu instid0(VALU_DEP_1) | instskip(SKIP_1) | instid1(SALU_CYCLE_1)
	v_cmp_ne_u32_e32 vcc_lo, 0x7f800000, v5
                                        ; implicit-def: $vgpr5
	s_and_saveexec_b32 s3, vcc_lo
	s_xor_b32 s3, exec_lo, s3
; %bb.95:
	v_bfe_u32 v5, v69, 16, 1
	s_delay_alu instid0(VALU_DEP_1)
	v_add3_u32 v5, v69, v5, 0x7fff
; %bb.96:
	s_and_not1_saveexec_b32 s3, s3
; %bb.97:
	v_and_b32_e32 v5, 0xffff, v69
	v_or_b32_e32 v6, 0x10000, v69
	s_delay_alu instid0(VALU_DEP_2) | instskip(NEXT) | instid1(VALU_DEP_2)
	v_cmp_eq_u32_e32 vcc_lo, 0, v5
	v_cndmask_b32_e32 v5, v6, v69, vcc_lo
; %bb.98:
	s_or_b32 exec_lo, exec_lo, s3
	v_and_b32_e32 v6, 0x7f800000, v70
	s_delay_alu instid0(VALU_DEP_1) | instskip(SKIP_1) | instid1(SALU_CYCLE_1)
	v_cmp_ne_u32_e32 vcc_lo, 0x7f800000, v6
                                        ; implicit-def: $vgpr6
	s_and_saveexec_b32 s3, vcc_lo
	s_xor_b32 s3, exec_lo, s3
; %bb.99:
	v_bfe_u32 v6, v70, 16, 1
	s_delay_alu instid0(VALU_DEP_1)
	v_add3_u32 v6, v70, v6, 0x7fff
; %bb.100:
	s_and_not1_saveexec_b32 s3, s3
; %bb.101:
	v_and_b32_e32 v6, 0xffff, v70
	v_or_b32_e32 v7, 0x10000, v70
	s_delay_alu instid0(VALU_DEP_2) | instskip(NEXT) | instid1(VALU_DEP_2)
	v_cmp_eq_u32_e32 vcc_lo, 0, v6
	v_cndmask_b32_e32 v6, v7, v70, vcc_lo
; %bb.102:
	s_or_b32 exec_lo, exec_lo, s3
	v_and_b32_e32 v7, 0x7f800000, v71
	s_delay_alu instid0(VALU_DEP_1) | instskip(SKIP_1) | instid1(SALU_CYCLE_1)
	v_cmp_ne_u32_e32 vcc_lo, 0x7f800000, v7
                                        ; implicit-def: $vgpr7
	s_and_saveexec_b32 s3, vcc_lo
	s_xor_b32 s3, exec_lo, s3
; %bb.103:
	v_bfe_u32 v7, v71, 16, 1
	s_delay_alu instid0(VALU_DEP_1)
	v_add3_u32 v7, v71, v7, 0x7fff
; %bb.104:
	s_and_not1_saveexec_b32 s3, s3
; %bb.105:
	v_and_b32_e32 v7, 0xffff, v71
	v_or_b32_e32 v8, 0x10000, v71
	s_delay_alu instid0(VALU_DEP_2) | instskip(NEXT) | instid1(VALU_DEP_2)
	v_cmp_eq_u32_e32 vcc_lo, 0, v7
	v_cndmask_b32_e32 v7, v8, v71, vcc_lo
; %bb.106:
	s_or_b32 exec_lo, exec_lo, s3
	v_and_b32_e32 v8, 0x7f800000, v72
	s_delay_alu instid0(VALU_DEP_1) | instskip(SKIP_1) | instid1(SALU_CYCLE_1)
	v_cmp_ne_u32_e32 vcc_lo, 0x7f800000, v8
                                        ; implicit-def: $vgpr8
	s_and_saveexec_b32 s3, vcc_lo
	s_xor_b32 s3, exec_lo, s3
; %bb.107:
	v_bfe_u32 v8, v72, 16, 1
	s_delay_alu instid0(VALU_DEP_1)
	v_add3_u32 v8, v72, v8, 0x7fff
                                        ; implicit-def: $vgpr65_vgpr66_vgpr67_vgpr68_vgpr69_vgpr70_vgpr71_vgpr72
; %bb.108:
	s_and_not1_saveexec_b32 s3, s3
; %bb.109:
	v_and_b32_e32 v8, 0xffff, v72
	v_or_b32_e32 v9, 0x10000, v72
	s_delay_alu instid0(VALU_DEP_2) | instskip(NEXT) | instid1(VALU_DEP_2)
	v_cmp_eq_u32_e32 vcc_lo, 0, v8
	v_cndmask_b32_e32 v8, v9, v72, vcc_lo
; %bb.110:
	s_or_b32 exec_lo, exec_lo, s3
	s_delay_alu instid0(VALU_DEP_1)
	v_perm_b32 v7, v8, v7, 0x7060302
	v_perm_b32 v6, v6, v5, 0x7060302
	;; [unrolled: 1-line block ×4, first 2 shown]
	s_barrier
	buffer_gl0_inv
	v_cmp_eq_u32_e32 vcc_lo, 1, v79
	ds_store_b128 v77, v[4:7]
	s_waitcnt lgkmcnt(0)
	s_barrier
	buffer_gl0_inv
	ds_load_b128 v[1:4], v83
	ds_load_b128 v[5:8], v83 offset:16
	v_cmp_eq_u32_e64 s3, 1, v80
	v_cmp_eq_u32_e64 s4, 2, v79
	;; [unrolled: 1-line block ×5, first 2 shown]
	s_waitcnt lgkmcnt(1)
	v_lshrrev_b32_e32 v9, 16, v1
	s_waitcnt lgkmcnt(0)
	v_lshrrev_b32_e32 v13, 16, v5
	v_lshrrev_b32_e32 v10, 16, v2
	;; [unrolled: 1-line block ×4, first 2 shown]
	v_cndmask_b32_e64 v19, v1, v9, s3
	v_cndmask_b32_e32 v18, v5, v13, vcc_lo
	v_cndmask_b32_e64 v20, v5, v13, s3
	v_cndmask_b32_e32 v17, v1, v9, vcc_lo
	v_cmp_eq_u32_e32 vcc_lo, 2, v80
	v_lshrrev_b32_e32 v15, 16, v7
	v_cmp_eq_u32_e64 s3, 1, v78
	v_lshrrev_b32_e32 v12, 16, v4
	v_lshrrev_b32_e32 v16, 16, v8
	v_cndmask_b32_e32 v20, v20, v6, vcc_lo
	v_cndmask_b32_e64 v17, v17, v2, s4
	v_cndmask_b32_e32 v19, v19, v2, vcc_lo
	v_cndmask_b32_e64 v18, v18, v6, s4
	v_cmp_eq_u32_e32 vcc_lo, 4, v79
	v_cmp_eq_u32_e64 s4, 3, v80
	v_cndmask_b32_e64 v17, v17, v10, s5
	v_cndmask_b32_e64 v21, v1, v9, s3
	;; [unrolled: 1-line block ×5, first 2 shown]
	v_cndmask_b32_e32 v17, v17, v3, vcc_lo
	v_cndmask_b32_e64 v20, v20, v14, s4
	v_cndmask_b32_e32 v18, v18, v7, vcc_lo
	v_cmp_eq_u32_e32 vcc_lo, 4, v80
	v_cmp_eq_u32_e64 s4, 5, v80
	v_cmp_eq_u32_e64 s3, 2, v82
	v_cndmask_b32_e64 v21, v21, v2, s7
	v_cmp_eq_u32_e64 s5, 5, v79
	v_cndmask_b32_e32 v19, v19, v3, vcc_lo
	v_cndmask_b32_e32 v20, v20, v7, vcc_lo
	v_cmp_eq_u32_e32 vcc_lo, 6, v80
	s_delay_alu instid0(VALU_DEP_4) | instskip(NEXT) | instid1(VALU_DEP_4)
	v_cndmask_b32_e64 v17, v17, v11, s5
	v_cndmask_b32_e64 v19, v19, v11, s4
	s_delay_alu instid0(VALU_DEP_4) | instskip(SKIP_1) | instid1(VALU_DEP_3)
	v_cndmask_b32_e64 v20, v20, v15, s4
	v_cmp_eq_u32_e64 s4, 1, v82
	v_cndmask_b32_e32 v19, v19, v4, vcc_lo
	v_cndmask_b32_e64 v18, v18, v15, s5
	s_delay_alu instid0(VALU_DEP_3)
	v_cndmask_b32_e64 v1, v1, v9, s4
	v_cndmask_b32_e64 v5, v5, v13, s4
	v_cmp_eq_u32_e64 s4, 3, v78
	v_cndmask_b32_e64 v13, v22, v6, s7
	v_cmp_eq_u32_e64 s7, 3, v82
	v_cndmask_b32_e64 v1, v1, v2, s3
	v_cndmask_b32_e64 v2, v5, v6, s3
	;; [unrolled: 1-line block ×3, first 2 shown]
	v_cmp_eq_u32_e64 s3, 4, v78
	v_cndmask_b32_e64 v6, v13, v14, s4
	v_cndmask_b32_e64 v1, v1, v10, s7
	v_cmp_eq_u32_e64 s4, 4, v82
	v_cndmask_b32_e64 v2, v2, v14, s7
	v_cndmask_b32_e64 v5, v9, v3, s3
	v_cmp_eq_u32_e64 s7, 5, v78
	v_cndmask_b32_e64 v6, v6, v7, s3
	v_cndmask_b32_e64 v1, v1, v3, s4
	v_cndmask_b32_e64 v2, v2, v7, s4
	v_cmp_eq_u32_e64 s3, 5, v82
	v_cmp_eq_u32_e64 s5, 6, v79
	v_cndmask_b32_e64 v5, v5, v11, s7
	v_cmp_eq_u32_e64 s4, 6, v78
	v_cndmask_b32_e64 v3, v6, v15, s7
	v_cndmask_b32_e64 v1, v1, v11, s3
	v_cmp_eq_u32_e64 s7, 6, v82
	v_cndmask_b32_e64 v2, v2, v15, s3
	v_cndmask_b32_e64 v17, v17, v4, s5
	v_cndmask_b32_e64 v18, v18, v8, s5
	v_cmp_eq_u32_e64 s5, 7, v79
	v_cndmask_b32_e64 v5, v5, v4, s4
	;; [unrolled: 4-line block ×3, first 2 shown]
	v_cmp_eq_u32_e64 s4, 7, v78
	v_cndmask_b32_e32 v4, v20, v8, vcc_lo
	v_cndmask_b32_e64 v17, v17, v12, s5
	v_cndmask_b32_e64 v19, v19, v12, s6
	v_cndmask_b32_e64 v1, v1, v12, s3
	v_cndmask_b32_e64 v5, v5, v12, s4
	v_cndmask_b32_e64 v2, v2, v16, s3
	v_cndmask_b32_e64 v3, v3, v16, s4
	v_cndmask_b32_e64 v6, v4, v16, s6
	v_cndmask_b32_e64 v7, v18, v16, s5
	s_delay_alu instid0(VALU_DEP_4) | instskip(NEXT) | instid1(VALU_DEP_4)
	v_perm_b32 v4, v2, v1, 0x5040100
	v_perm_b32 v3, v3, v5, 0x5040100
	s_delay_alu instid0(VALU_DEP_4) | instskip(NEXT) | instid1(VALU_DEP_4)
	v_perm_b32 v2, v6, v19, 0x5040100
	v_perm_b32 v1, v7, v17, 0x5040100
	ds_store_b128 v77, v[1:4]
	s_waitcnt lgkmcnt(0)
	s_barrier
	buffer_gl0_inv
	s_and_saveexec_b32 s3, s2
	s_cbranch_execz .LBB1903_2
; %bb.111:
	s_load_b64 s[0:1], s[0:1], 0x68
	v_lshlrev_b32_e32 v0, 10, v0
	s_lshl_b32 s2, s34, 7
	v_lshlrev_b32_e32 v1, 4, v76
	v_mul_lo_u32 v4, s2, v75
	s_mul_i32 s3, s2, s30
	v_and_b32_e32 v0, 0x3800, v0
	s_mul_i32 s2, s3, s8
	s_delay_alu instid0(SALU_CYCLE_1) | instskip(NEXT) | instid1(VALU_DEP_1)
	s_ashr_i32 s3, s2, 31
	v_or3_b32 v0, v0, v74, v1
	s_lshl_b64 s[2:3], s[2:3], 1
	s_delay_alu instid0(VALU_DEP_3)
	v_ashrrev_i32_e32 v5, 31, v4
	ds_load_b128 v[0:3], v0
	v_lshlrev_b64 v[4:5], 1, v[4:5]
	s_waitcnt lgkmcnt(0)
	s_add_u32 s2, s0, s2
	s_addc_u32 s3, s1, s3
	s_lshl_b32 s0, s14, 7
	s_delay_alu instid0(SALU_CYCLE_1) | instskip(NEXT) | instid1(SALU_CYCLE_1)
	s_ashr_i32 s1, s0, 31
	s_lshl_b64 s[0:1], s[0:1], 1
	s_delay_alu instid0(SALU_CYCLE_1) | instskip(SKIP_3) | instid1(VALU_DEP_2)
	s_add_u32 s0, s2, s0
	s_addc_u32 s1, s3, s1
	v_add_co_u32 v4, vcc_lo, s0, v4
	v_add_co_ci_u32_e32 v5, vcc_lo, s1, v5, vcc_lo
	v_add_co_u32 v4, vcc_lo, v4, v73
	s_delay_alu instid0(VALU_DEP_2)
	v_add_co_ci_u32_e32 v5, vcc_lo, 0, v5, vcc_lo
	global_store_b128 v[4:5], v[0:3], off
	s_nop 0
	s_sendmsg sendmsg(MSG_DEALLOC_VGPRS)
	s_endpgm
	.section	.rodata,"a",@progbits
	.p2align	6, 0x0
	.amdhsa_kernel _Z39paged_attention_ll4mi_QKV_mfma16_kernelI14__hip_bfloat16hLN4vllm18Fp8KVCacheDataTypeE1ES0_Li32ELi128ELi256ELb1ELi2EL8MFMAType0EEvPKT_PKT0_S9_ifPKiSB_SB_iPKfiiiPfSE_PS4_PT2_iSD_SD_
		.amdhsa_group_segment_fixed_size 17472
		.amdhsa_private_segment_fixed_size 0
		.amdhsa_kernarg_size 400
		.amdhsa_user_sgpr_count 13
		.amdhsa_user_sgpr_dispatch_ptr 0
		.amdhsa_user_sgpr_queue_ptr 0
		.amdhsa_user_sgpr_kernarg_segment_ptr 1
		.amdhsa_user_sgpr_dispatch_id 0
		.amdhsa_user_sgpr_private_segment_size 0
		.amdhsa_wavefront_size32 1
		.amdhsa_uses_dynamic_stack 0
		.amdhsa_enable_private_segment 0
		.amdhsa_system_sgpr_workgroup_id_x 1
		.amdhsa_system_sgpr_workgroup_id_y 1
		.amdhsa_system_sgpr_workgroup_id_z 1
		.amdhsa_system_sgpr_workgroup_info 0
		.amdhsa_system_vgpr_workitem_id 0
		.amdhsa_next_free_vgpr 138
		.amdhsa_next_free_sgpr 37
		.amdhsa_reserve_vcc 1
		.amdhsa_float_round_mode_32 0
		.amdhsa_float_round_mode_16_64 0
		.amdhsa_float_denorm_mode_32 3
		.amdhsa_float_denorm_mode_16_64 3
		.amdhsa_dx10_clamp 1
		.amdhsa_ieee_mode 1
		.amdhsa_fp16_overflow 0
		.amdhsa_workgroup_processor_mode 1
		.amdhsa_memory_ordered 1
		.amdhsa_forward_progress 0
		.amdhsa_shared_vgpr_count 0
		.amdhsa_exception_fp_ieee_invalid_op 0
		.amdhsa_exception_fp_denorm_src 0
		.amdhsa_exception_fp_ieee_div_zero 0
		.amdhsa_exception_fp_ieee_overflow 0
		.amdhsa_exception_fp_ieee_underflow 0
		.amdhsa_exception_fp_ieee_inexact 0
		.amdhsa_exception_int_div_zero 0
	.end_amdhsa_kernel
	.section	.text._Z39paged_attention_ll4mi_QKV_mfma16_kernelI14__hip_bfloat16hLN4vllm18Fp8KVCacheDataTypeE1ES0_Li32ELi128ELi256ELb1ELi2EL8MFMAType0EEvPKT_PKT0_S9_ifPKiSB_SB_iPKfiiiPfSE_PS4_PT2_iSD_SD_,"axG",@progbits,_Z39paged_attention_ll4mi_QKV_mfma16_kernelI14__hip_bfloat16hLN4vllm18Fp8KVCacheDataTypeE1ES0_Li32ELi128ELi256ELb1ELi2EL8MFMAType0EEvPKT_PKT0_S9_ifPKiSB_SB_iPKfiiiPfSE_PS4_PT2_iSD_SD_,comdat
.Lfunc_end1903:
	.size	_Z39paged_attention_ll4mi_QKV_mfma16_kernelI14__hip_bfloat16hLN4vllm18Fp8KVCacheDataTypeE1ES0_Li32ELi128ELi256ELb1ELi2EL8MFMAType0EEvPKT_PKT0_S9_ifPKiSB_SB_iPKfiiiPfSE_PS4_PT2_iSD_SD_, .Lfunc_end1903-_Z39paged_attention_ll4mi_QKV_mfma16_kernelI14__hip_bfloat16hLN4vllm18Fp8KVCacheDataTypeE1ES0_Li32ELi128ELi256ELb1ELi2EL8MFMAType0EEvPKT_PKT0_S9_ifPKiSB_SB_iPKfiiiPfSE_PS4_PT2_iSD_SD_
                                        ; -- End function
	.section	.AMDGPU.csdata,"",@progbits
; Kernel info:
; codeLenInByte = 8652
; NumSgprs: 39
; NumVgprs: 138
; ScratchSize: 0
; MemoryBound: 0
; FloatMode: 240
; IeeeMode: 1
; LDSByteSize: 17472 bytes/workgroup (compile time only)
; SGPRBlocks: 4
; VGPRBlocks: 17
; NumSGPRsForWavesPerEU: 39
; NumVGPRsForWavesPerEU: 138
; Occupancy: 10
; WaveLimiterHint : 1
; COMPUTE_PGM_RSRC2:SCRATCH_EN: 0
; COMPUTE_PGM_RSRC2:USER_SGPR: 13
; COMPUTE_PGM_RSRC2:TRAP_HANDLER: 0
; COMPUTE_PGM_RSRC2:TGID_X_EN: 1
; COMPUTE_PGM_RSRC2:TGID_Y_EN: 1
; COMPUTE_PGM_RSRC2:TGID_Z_EN: 1
; COMPUTE_PGM_RSRC2:TIDIG_COMP_CNT: 0
	.section	.text._Z39paged_attention_ll4mi_QKV_mfma16_kernelI14__hip_bfloat16hLN4vllm18Fp8KVCacheDataTypeE1ES0_Li32ELi128ELi256ELb1ELi3EL8MFMAType0EEvPKT_PKT0_S9_ifPKiSB_SB_iPKfiiiPfSE_PS4_PT2_iSD_SD_,"axG",@progbits,_Z39paged_attention_ll4mi_QKV_mfma16_kernelI14__hip_bfloat16hLN4vllm18Fp8KVCacheDataTypeE1ES0_Li32ELi128ELi256ELb1ELi3EL8MFMAType0EEvPKT_PKT0_S9_ifPKiSB_SB_iPKfiiiPfSE_PS4_PT2_iSD_SD_,comdat
	.protected	_Z39paged_attention_ll4mi_QKV_mfma16_kernelI14__hip_bfloat16hLN4vllm18Fp8KVCacheDataTypeE1ES0_Li32ELi128ELi256ELb1ELi3EL8MFMAType0EEvPKT_PKT0_S9_ifPKiSB_SB_iPKfiiiPfSE_PS4_PT2_iSD_SD_ ; -- Begin function _Z39paged_attention_ll4mi_QKV_mfma16_kernelI14__hip_bfloat16hLN4vllm18Fp8KVCacheDataTypeE1ES0_Li32ELi128ELi256ELb1ELi3EL8MFMAType0EEvPKT_PKT0_S9_ifPKiSB_SB_iPKfiiiPfSE_PS4_PT2_iSD_SD_
	.globl	_Z39paged_attention_ll4mi_QKV_mfma16_kernelI14__hip_bfloat16hLN4vllm18Fp8KVCacheDataTypeE1ES0_Li32ELi128ELi256ELb1ELi3EL8MFMAType0EEvPKT_PKT0_S9_ifPKiSB_SB_iPKfiiiPfSE_PS4_PT2_iSD_SD_
	.p2align	8
	.type	_Z39paged_attention_ll4mi_QKV_mfma16_kernelI14__hip_bfloat16hLN4vllm18Fp8KVCacheDataTypeE1ES0_Li32ELi128ELi256ELb1ELi3EL8MFMAType0EEvPKT_PKT0_S9_ifPKiSB_SB_iPKfiiiPfSE_PS4_PT2_iSD_SD_,@function
_Z39paged_attention_ll4mi_QKV_mfma16_kernelI14__hip_bfloat16hLN4vllm18Fp8KVCacheDataTypeE1ES0_Li32ELi128ELi256ELb1ELi3EL8MFMAType0EEvPKT_PKT0_S9_ifPKiSB_SB_iPKfiiiPfSE_PS4_PT2_iSD_SD_: ; @_Z39paged_attention_ll4mi_QKV_mfma16_kernelI14__hip_bfloat16hLN4vllm18Fp8KVCacheDataTypeE1ES0_Li32ELi128ELi256ELb1ELi3EL8MFMAType0EEvPKT_PKT0_S9_ifPKiSB_SB_iPKfiiiPfSE_PS4_PT2_iSD_SD_
; %bb.0:
	s_load_b64 s[4:5], s[0:1], 0x30
	s_mov_b32 s30, s13
	s_waitcnt lgkmcnt(0)
	s_cmp_lg_u64 s[4:5], 0
	s_cselect_b32 s13, -1, 0
	s_ashr_i32 s31, s30, 31
	s_cmp_eq_u64 s[4:5], 0
	s_cbranch_scc1 .LBB1904_3
; %bb.1:
	s_lshl_b64 s[2:3], s[30:31], 2
	s_delay_alu instid0(SALU_CYCLE_1) | instskip(SKIP_4) | instid1(SALU_CYCLE_1)
	s_add_u32 s2, s4, s2
	s_addc_u32 s3, s5, s3
	s_load_b64 s[2:3], s[2:3], 0x0
	s_waitcnt lgkmcnt(0)
	s_sub_i32 s2, s3, s2
	s_cmp_eq_u32 s2, 1
	s_cselect_b32 s2, -1, 0
	s_delay_alu instid0(SALU_CYCLE_1)
	s_and_not1_b32 vcc_lo, exec_lo, s2
	s_cbranch_vccz .LBB1904_4
.LBB1904_2:
	s_nop 0
	s_sendmsg sendmsg(MSG_DEALLOC_VGPRS)
	s_endpgm
.LBB1904_3:
.LBB1904_4:
	s_load_b64 s[2:3], s[0:1], 0x28
	s_lshl_b64 s[6:7], s[30:31], 2
	s_waitcnt lgkmcnt(0)
	s_add_u32 s2, s2, s6
	s_addc_u32 s3, s3, s7
	s_lshl_b32 s12, s14, 8
	s_load_b32 s17, s[2:3], 0x0
	s_waitcnt lgkmcnt(0)
	s_cmp_ge_i32 s12, s17
	s_cbranch_scc1 .LBB1904_2
; %bb.5:
	s_clause 0x1
	s_load_b128 s[8:11], s[0:1], 0x8
	s_load_b64 s[2:3], s[0:1], 0x20
	s_and_not1_b32 vcc_lo, exec_lo, s13
	s_cbranch_vccnz .LBB1904_7
; %bb.6:
	s_add_u32 s4, s4, s6
	s_addc_u32 s5, s5, s7
	s_load_b32 s13, s[4:5], 0x0
	s_branch .LBB1904_8
.LBB1904_7:
	s_mov_b32 s13, s30
.LBB1904_8:
	s_load_b128 s[4:7], s[0:1], 0x48
	v_and_b32_e32 v65, 15, v0
	v_lshrrev_b32_e32 v66, 5, v0
	v_bfe_u32 v74, v0, 4, 1
	v_and_b32_e32 v67, 31, v0
	v_and_b32_e32 v75, 1, v0
	v_lshlrev_b32_e32 v2, 3, v65
	s_mul_i32 s31, s15, 3
	v_lshl_or_b32 v1, v66, 1, v74
	s_waitcnt lgkmcnt(0)
	s_mov_b32 s7, exec_lo
	v_lshlrev_b32_e32 v73, 1, v2
	s_delay_alu instid0(VALU_DEP_2)
	v_cmpx_gt_u32_e32 3, v1
	s_cbranch_execz .LBB1904_10
; %bb.9:
	s_load_b64 s[18:19], s[0:1], 0x0
	v_add_lshl_u32 v2, v1, s31, 7
	s_mul_hi_i32 s21, s13, s4
	s_mul_i32 s20, s13, s4
	v_lshlrev_b32_e32 v6, 10, v65
	s_lshl_b64 s[20:21], s[20:21], 1
	v_ashrrev_i32_e32 v3, 31, v2
	v_lshlrev_b32_e32 v1, 6, v1
	v_lshlrev_b32_e32 v7, 10, v75
	v_and_b32_e32 v6, 0x3800, v6
	s_delay_alu instid0(VALU_DEP_4) | instskip(NEXT) | instid1(VALU_DEP_2)
	v_lshlrev_b64 v[2:3], 1, v[2:3]
	v_or3_b32 v1, v6, v7, v1
	s_waitcnt lgkmcnt(0)
	s_add_u32 s4, s18, s20
	s_addc_u32 s13, s19, s21
	s_delay_alu instid0(VALU_DEP_2) | instskip(SKIP_1) | instid1(VALU_DEP_2)
	v_add_co_u32 v2, vcc_lo, s4, v2
	v_add_co_ci_u32_e32 v3, vcc_lo, s13, v3, vcc_lo
	v_add_co_u32 v2, vcc_lo, v2, v73
	s_delay_alu instid0(VALU_DEP_2)
	v_add_co_ci_u32_e32 v3, vcc_lo, 0, v3, vcc_lo
	global_load_b128 v[2:5], v[2:3], off
	s_waitcnt vmcnt(0)
	ds_store_b128 v1, v[2:5]
.LBB1904_10:
	s_or_b32 exec_lo, exec_lo, s7
	v_and_b32_e32 v1, 0xef, v0
	s_add_i32 s4, s17, 31
	s_clause 0x1
	s_load_b32 s7, s[0:1], 0x38
	s_load_b32 s18, s[0:1], 0x1c
	s_ashr_i32 s13, s4, 31
	v_add_nc_u32_e32 v2, s12, v1
	s_lshr_b32 s13, s13, 27
	s_waitcnt lgkmcnt(0)
	s_add_i32 s4, s4, s13
	s_barrier
	v_ashrrev_i32_e32 v1, 31, v2
	s_ashr_i32 s4, s4, 5
	v_cmp_gt_i32_e32 vcc_lo, s17, v2
	s_add_i32 s4, s4, -1
	buffer_gl0_inv
	v_lshrrev_b32_e32 v3, 27, v1
	v_or_b32_e32 v1, 16, v2
	s_mul_i32 s15, s15, s6
	s_delay_alu instid0(VALU_DEP_2) | instskip(SKIP_1) | instid1(SALU_CYCLE_1)
	v_add_nc_u32_e32 v4, v2, v3
	s_mul_i32 s20, s30, s7
	s_ashr_i32 s21, s20, 31
	s_delay_alu instid0(VALU_DEP_1) | instskip(SKIP_2) | instid1(SALU_CYCLE_1)
	v_ashrrev_i32_e32 v4, 5, v4
	v_add_nc_u32_e32 v3, v1, v3
	s_lshl_b64 s[20:21], s[20:21], 2
	s_add_u32 s7, s2, s20
	s_delay_alu instid0(VALU_DEP_2) | instskip(NEXT) | instid1(VALU_DEP_2)
	v_cndmask_b32_e32 v2, s4, v4, vcc_lo
	v_ashrrev_i32_e32 v3, 5, v3
	v_cmp_gt_i32_e32 vcc_lo, s17, v1
	s_addc_u32 s13, s3, s21
	s_ashr_i32 s6, s15, 31
	s_add_u32 s2, s8, s15
	s_addc_u32 s3, s9, s6
	v_cndmask_b32_e32 v4, s4, v3, vcc_lo
	v_ashrrev_i32_e32 v3, 31, v2
	s_lshl_b32 s8, s14, 3
	s_delay_alu instid0(SALU_CYCLE_1) | instskip(NEXT) | instid1(VALU_DEP_2)
	s_ashr_i32 s9, s8, 31
	v_ashrrev_i32_e32 v5, 31, v4
	s_delay_alu instid0(VALU_DEP_2) | instskip(SKIP_1) | instid1(SALU_CYCLE_1)
	v_lshlrev_b64 v[1:2], 2, v[2:3]
	s_lshl_b64 s[8:9], s[8:9], 2
	s_add_u32 s8, s7, s8
	s_delay_alu instid0(VALU_DEP_2) | instskip(SKIP_1) | instid1(VALU_DEP_2)
	v_lshlrev_b64 v[3:4], 2, v[4:5]
	s_addc_u32 s9, s13, s9
	v_add_co_u32 v1, vcc_lo, s7, v1
	v_add_co_ci_u32_e32 v2, vcc_lo, s13, v2, vcc_lo
	s_delay_alu instid0(VALU_DEP_3) | instskip(NEXT) | instid1(VALU_DEP_4)
	v_add_co_u32 v3, vcc_lo, s7, v3
	v_add_co_ci_u32_e32 v4, vcc_lo, s13, v4, vcc_lo
	s_clause 0x1
	global_load_b32 v5, v[1:2], off
	global_load_b32 v6, v[3:4], off
	s_or_b32 s16, s12, 32
	s_delay_alu instid0(SALU_CYCLE_1) | instskip(SKIP_2) | instid1(SALU_CYCLE_1)
	s_ashr_i32 s19, s16, 5
	s_cmp_lt_i32 s16, s17
	s_cselect_b32 s20, s19, s4
	s_ashr_i32 s21, s20, 31
	s_delay_alu instid0(SALU_CYCLE_1) | instskip(NEXT) | instid1(SALU_CYCLE_1)
	s_lshl_b64 s[20:21], s[20:21], 2
	s_add_u32 s20, s7, s20
	s_addc_u32 s21, s13, s21
	s_or_b32 s16, s12, 64
	s_delay_alu instid0(SALU_CYCLE_1) | instskip(SKIP_2) | instid1(SALU_CYCLE_1)
	s_ashr_i32 s19, s16, 5
	s_cmp_lt_i32 s16, s17
	s_cselect_b32 s22, s19, s4
	s_ashr_i32 s23, s22, 31
	s_delay_alu instid0(SALU_CYCLE_1) | instskip(NEXT) | instid1(SALU_CYCLE_1)
	s_lshl_b64 s[22:23], s[22:23], 2
	s_add_u32 s22, s7, s22
	s_addc_u32 s23, s13, s23
	;; [unrolled: 10-line block ×5, first 2 shown]
	s_clause 0x5
	s_load_b32 s16, s[8:9], 0x0
	s_load_b32 s19, s[20:21], 0x0
	;; [unrolled: 1-line block ×6, first 2 shown]
	s_mov_b32 s20, 0
	s_delay_alu instid0(SALU_CYCLE_1)
	s_mov_b32 s21, s20
	s_mov_b32 s22, s20
	s_mov_b32 s23, s20
	s_mov_b32 s24, s20
	s_mov_b32 s25, s20
	s_mov_b32 s26, s20
	s_mov_b32 s27, s20
	s_delay_alu instid0(SALU_CYCLE_1)
	v_dual_mov_b32 v107, s27 :: v_dual_mov_b32 v106, s26
	v_dual_mov_b32 v105, s25 :: v_dual_mov_b32 v102, s22
	;; [unrolled: 1-line block ×4, first 2 shown]
	s_waitcnt vmcnt(1)
	v_mad_i64_i32 v[1:2], null, v5, s5, s[2:3]
	v_lshlrev_b32_e32 v5, 4, v65
	s_waitcnt vmcnt(0)
	v_mad_i64_i32 v[3:4], null, v6, s5, s[2:3]
	s_or_b32 s2, s12, 0xc0
	s_delay_alu instid0(SALU_CYCLE_1) | instskip(NEXT) | instid1(VALU_DEP_3)
	s_ashr_i32 s3, s2, 5
	v_add_co_u32 v25, vcc_lo, v1, v5
	s_delay_alu instid0(VALU_DEP_4) | instskip(NEXT) | instid1(VALU_DEP_3)
	v_add_co_ci_u32_e32 v26, vcc_lo, 0, v2, vcc_lo
	v_add_co_u32 v27, vcc_lo, v3, v5
	s_delay_alu instid0(VALU_DEP_4)
	v_add_co_ci_u32_e32 v28, vcc_lo, 0, v4, vcc_lo
	s_clause 0xf
	global_load_b128 v[1:4], v[25:26], off
	global_load_b128 v[5:8], v[25:26], off offset:512
	global_load_b128 v[9:12], v[27:28], off offset:256
	;; [unrolled: 1-line block ×15, first 2 shown]
	v_mul_lo_u16 v25, 0x56, v65
	s_cmp_lt_i32 s2, s17
	v_lshlrev_b32_e32 v26, 5, v65
	s_cselect_b32 s2, s3, s4
	s_delay_alu instid0(VALU_DEP_2) | instskip(SKIP_1) | instid1(VALU_DEP_2)
	v_lshrrev_b16 v25, 8, v25
	s_ashr_i32 s3, s2, 31
	v_lshl_or_b32 v33, v66, 9, v26
	s_lshl_b64 s[2:3], s[2:3], 2
	s_delay_alu instid0(VALU_DEP_2) | instskip(SKIP_3) | instid1(VALU_DEP_1)
	v_mul_lo_u16 v25, v25, 3
	s_add_u32 s2, s7, s2
	s_addc_u32 s3, s13, s3
	s_or_b32 s8, s12, 0xe0
	v_sub_nc_u16 v25, v65, v25
	s_ashr_i32 s9, s8, 5
	s_cmp_lt_i32 s8, s17
	s_cselect_b32 s8, s9, s4
	s_delay_alu instid0(VALU_DEP_1) | instskip(SKIP_1) | instid1(SALU_CYCLE_1)
	v_and_b32_e32 v25, 0xff, v25
	s_ashr_i32 s9, s8, 31
	s_lshl_b64 s[8:9], s[8:9], 2
	s_delay_alu instid0(VALU_DEP_1)
	v_lshlrev_b32_e32 v72, 6, v25
	ds_load_b128 v[25:28], v72
	ds_load_b128 v[29:32], v72 offset:1024
	ds_load_b128 v[108:111], v72 offset:2048
	;; [unrolled: 1-line block ×3, first 2 shown]
	s_load_b32 s4, s[2:3], 0x0
	s_add_u32 s2, s7, s8
	s_addc_u32 s3, s13, s9
	ds_load_b128 v[116:119], v72 offset:4096
	ds_load_b128 v[120:123], v72 offset:5120
	s_load_b32 s2, s[2:3], 0x0
	s_add_u32 s7, s10, s15
	s_addc_u32 s6, s11, s6
	v_add_co_u32 v68, s7, s7, v33
	s_delay_alu instid0(VALU_DEP_1) | instskip(SKIP_1) | instid1(VALU_DEP_1)
	v_add_co_ci_u32_e64 v69, null, s6, 0, s7
	s_waitcnt lgkmcnt(0)
	v_mad_i64_i32 v[33:34], null, s16, s5, v[68:69]
	v_mad_i64_i32 v[70:71], null, s33, s5, v[68:69]
	;; [unrolled: 1-line block ×7, first 2 shown]
	s_clause 0x3
	global_load_b128 v[41:44], v[33:34], off
	global_load_b128 v[45:48], v[33:34], off offset:16
	global_load_b128 v[33:36], v[37:38], off
	global_load_b128 v[37:40], v[37:38], off offset:16
	s_waitcnt vmcnt(18)
	v_wmma_f32_16x16x16_bf16 v[124:131], v[1:8], v[25:32], v[100:107]
	s_waitcnt vmcnt(16)
	v_wmma_f32_16x16x16_bf16 v[100:107], v[9:16], v[25:32], v[100:107]
	s_clause 0x1
	global_load_b128 v[25:28], v[70:71], off
	global_load_b128 v[29:32], v[70:71], off offset:16
	s_waitcnt vmcnt(16)
	v_wmma_f32_16x16x16_bf16 v[124:131], v[17:24], v[108:115], v[124:131]
	s_clause 0x1
	global_load_b128 v[17:20], v[132:133], off
	global_load_b128 v[21:24], v[132:133], off offset:16
	s_waitcnt vmcnt(16)
	v_wmma_f32_16x16x16_bf16 v[100:107], v[49:56], v[108:115], v[100:107]
	v_mad_i64_i32 v[53:54], null, s2, s5, v[68:69]
	s_clause 0x3
	global_load_b128 v[1:4], v[134:135], off
	global_load_b128 v[5:8], v[134:135], off offset:16
	global_load_b128 v[9:12], v[136:137], off
	global_load_b128 v[13:16], v[136:137], off offset:16
	s_waitcnt vmcnt(18)
	v_wmma_f32_16x16x16_bf16 v[124:131], v[57:64], v[116:123], v[124:131]
	s_clause 0x3
	global_load_b128 v[57:60], v[138:139], off
	global_load_b128 v[61:64], v[138:139], off offset:16
	global_load_b128 v[49:52], v[53:54], off
	global_load_b128 v[53:56], v[53:54], off offset:16
	s_waitcnt vmcnt(20)
	v_wmma_f32_16x16x16_bf16 v[100:107], v[76:83], v[116:123], v[100:107]
	ds_load_b128 v[76:79], v72 offset:6144
	ds_load_b128 v[80:83], v72 offset:7168
	v_mbcnt_lo_u32_b32 v69, -1, 0
	s_waitcnt vmcnt(0) lgkmcnt(0)
	s_barrier
	buffer_gl0_inv
	v_xor_b32_e32 v70, 16, v69
	s_delay_alu instid0(VALU_DEP_1) | instskip(SKIP_4) | instid1(VALU_DEP_2)
	v_cmp_gt_i32_e32 vcc_lo, 32, v70
	v_cndmask_b32_e32 v69, v69, v70, vcc_lo
	v_wmma_f32_16x16x16_bf16 v[124:131], v[84:91], v[76:83], v[124:131]
	v_and_b32_e32 v68, 0xe0, v0
	v_wmma_f32_16x16x16_bf16 v[100:107], v[92:99], v[76:83], v[100:107]
	v_dual_mul_f32 v81, s18, v129 :: v_dual_add_nc_u32 v68, s12, v68
	s_delay_alu instid0(VALU_DEP_4) | instskip(NEXT) | instid1(VALU_DEP_3)
	v_dual_mul_f32 v83, s18, v131 :: v_dual_mul_f32 v78, s18, v125
	v_mul_f32_e32 v95, s18, v103
	v_mul_f32_e32 v79, s18, v127
	s_delay_alu instid0(VALU_DEP_4) | instskip(SKIP_3) | instid1(VALU_DEP_4)
	v_or_b32_e32 v68, v68, v74
	v_dual_mul_f32 v80, s18, v126 :: v_dual_mul_f32 v97, s18, v105
	v_dual_mul_f32 v93, s18, v101 :: v_dual_mul_f32 v82, s18, v128
	v_mul_f32_e32 v99, s18, v107
	v_or_b32_e32 v70, 2, v68
	v_or_b32_e32 v71, 4, v68
	;; [unrolled: 1-line block ×3, first 2 shown]
	v_cmp_gt_i32_e64 s2, s17, v68
	v_or_b32_e32 v108, 8, v68
	v_cmp_gt_i32_e32 vcc_lo, s17, v70
	v_mul_f32_e32 v70, s18, v124
	v_or_b32_e32 v109, 10, v68
	v_cmp_gt_i32_e64 s3, s17, v71
	v_cmp_gt_i32_e64 s4, s17, v72
	v_cndmask_b32_e32 v78, 0xff7fffff, v78, vcc_lo
	v_cndmask_b32_e64 v70, 0xff7fffff, v70, s2
	v_or_b32_e32 v84, 12, v68
	v_or_b32_e32 v85, 14, v68
	v_cndmask_b32_e64 v71, 0xff7fffff, v80, s3
	v_cndmask_b32_e64 v72, 0xff7fffff, v79, s4
	v_max3_f32 v70, v70, 0xff7fffff, v78
	v_cmp_gt_i32_e64 s5, s17, v108
	v_cmp_gt_i32_e64 s6, s17, v109
	v_or_b32_e32 v86, 16, v68
	v_or_b32_e32 v87, 18, v68
	;; [unrolled: 1-line block ×3, first 2 shown]
	v_mul_f32_e32 v92, s18, v130
	v_cndmask_b32_e64 v78, 0xff7fffff, v82, s5
	v_cndmask_b32_e64 v79, 0xff7fffff, v81, s6
	v_max3_f32 v70, v70, v71, v72
	v_cmp_gt_i32_e64 s7, s17, v84
	v_cmp_gt_i32_e64 s8, s17, v85
	v_or_b32_e32 v88, 20, v68
	v_mul_f32_e32 v94, s18, v100
	v_max3_f32 v70, v70, v78, v79
	v_cmp_gt_i32_e64 s9, s17, v86
	v_cndmask_b32_e64 v72, 0xff7fffff, v83, s8
	v_cmp_gt_i32_e64 s10, s17, v87
	v_cmp_gt_i32_e64 s12, s17, v89
	v_lshlrev_b32_e32 v89, 2, v69
	v_cndmask_b32_e64 v71, 0xff7fffff, v92, s7
	v_or_b32_e32 v90, 24, v68
	v_or_b32_e32 v91, 26, v68
	v_mul_f32_e32 v96, s18, v102
	v_cndmask_b32_e64 v78, 0xff7fffff, v94, s9
	v_cndmask_b32_e64 v79, 0xff7fffff, v93, s10
	v_max3_f32 v70, v70, v71, v72
	v_cmp_gt_i32_e64 s11, s17, v88
	v_or_b32_e32 v76, 28, v68
	v_or_b32_e32 v77, 30, v68
	v_mul_f32_e32 v98, s18, v104
	v_cndmask_b32_e64 v72, 0xff7fffff, v95, s12
	v_cndmask_b32_e64 v71, 0xff7fffff, v96, s11
	v_max3_f32 v70, v70, v78, v79
	v_cmp_gt_i32_e64 s13, s17, v90
	v_cmp_gt_i32_e64 s15, s17, v91
	v_mul_f32_e32 v68, s18, v106
	v_cmp_gt_i32_e64 s16, s17, v76
	v_max3_f32 v70, v70, v71, v72
	v_cndmask_b32_e64 v78, 0xff7fffff, v98, s13
	v_cndmask_b32_e64 v79, 0xff7fffff, v97, s15
	v_cmp_gt_i32_e64 s17, s17, v77
	v_cndmask_b32_e64 v68, 0xff7fffff, v68, s16
	s_delay_alu instid0(VALU_DEP_3) | instskip(NEXT) | instid1(VALU_DEP_3)
	v_max3_f32 v70, v70, v78, v79
	v_cndmask_b32_e64 v71, 0xff7fffff, v99, s17
	s_delay_alu instid0(VALU_DEP_1) | instskip(SKIP_3) | instid1(VALU_DEP_1)
	v_max3_f32 v68, v70, v68, v71
	ds_bpermute_b32 v69, v89, v68
	s_waitcnt lgkmcnt(0)
	v_max_f32_e32 v69, v69, v69
	v_max_f32_e32 v68, v68, v69
	s_delay_alu instid0(VALU_DEP_1) | instskip(NEXT) | instid1(VALU_DEP_1)
	v_fma_f32 v71, s18, v126, -v68
	v_mul_f32_e32 v71, 0x3fb8aa3b, v71
	s_delay_alu instid0(VALU_DEP_1) | instskip(SKIP_3) | instid1(VALU_DEP_1)
	v_exp_f32_e32 v71, v71
	s_waitcnt_depctr 0xfff
	v_cndmask_b32_e64 v83, 0, v71, s3
	v_fma_f32 v71, s18, v131, -v68
	v_mul_f32_e32 v71, 0x3fb8aa3b, v71
	v_fma_f32 v69, s18, v124, -v68
	v_fma_f32 v76, s18, v128, -v68
	;; [unrolled: 1-line block ×4, first 2 shown]
	v_exp_f32_e32 v71, v71
	v_mul_f32_e32 v69, 0x3fb8aa3b, v69
	v_mul_f32_e32 v77, 0x3fb8aa3b, v76
	v_fma_f32 v81, s18, v105, -v68
	v_fma_f32 v78, s18, v130, -v68
	s_delay_alu instid0(VALU_DEP_4) | instskip(NEXT) | instid1(VALU_DEP_3)
	v_exp_f32_e32 v69, v69
	v_exp_f32_e32 v77, v77
	s_delay_alu instid0(VALU_DEP_2) | instskip(NEXT) | instid1(TRANS32_DEP_3)
	v_mul_f32_e32 v81, 0x3fb8aa3b, v81
	v_cndmask_b32_e64 v88, 0, v71, s8
	v_fma_f32 v71, s18, v104, -v68
	s_delay_alu instid0(VALU_DEP_3) | instskip(NEXT) | instid1(TRANS32_DEP_3)
	v_exp_f32_e32 v81, v81
	v_cndmask_b32_e64 v80, 0, v69, s2
	v_fma_f32 v69, s18, v129, -v68
	v_mul_f32_e32 v70, 0x3fb8aa3b, v70
	s_delay_alu instid0(TRANS32_DEP_2)
	v_cndmask_b32_e64 v86, 0, v77, s5
	v_mul_f32_e32 v72, 0x3fb8aa3b, v72
	v_fma_f32 v77, s18, v101, -v68
	v_mul_f32_e32 v69, 0x3fb8aa3b, v69
	v_exp_f32_e32 v70, v70
	v_mul_f32_e32 v71, 0x3fb8aa3b, v71
	v_exp_f32_e32 v72, v72
	;; [unrolled: 2-line block ×3, first 2 shown]
	v_cmp_gt_u32_e64 s2, 16, v67
	v_exp_f32_e32 v82, v71
	s_delay_alu instid0(VALU_DEP_2) | instskip(SKIP_4) | instid1(TRANS32_DEP_3)
	v_exp_f32_e32 v77, v77
	v_cndmask_b32_e32 v76, 0, v70, vcc_lo
	v_add_f32_e32 v70, 0, v80
	v_cndmask_b32_e64 v85, 0, v72, s4
	v_fma_f32 v72, s18, v100, -v68
	v_cndmask_b32_e64 v87, 0, v69, s6
	s_delay_alu instid0(VALU_DEP_4) | instskip(NEXT) | instid1(VALU_DEP_3)
	v_add_f32_e32 v70, v70, v76
	v_mul_f32_e32 v72, 0x3fb8aa3b, v72
	s_delay_alu instid0(VALU_DEP_2) | instskip(NEXT) | instid1(VALU_DEP_2)
	v_add_f32_e32 v70, v70, v83
	v_exp_f32_e32 v72, v72
	s_delay_alu instid0(VALU_DEP_1) | instskip(NEXT) | instid1(VALU_DEP_1)
	v_add_f32_e32 v70, v70, v85
	v_add_f32_e32 v69, v70, v86
	v_fma_f32 v70, s18, v102, -v68
	s_delay_alu instid0(VALU_DEP_2) | instskip(NEXT) | instid1(VALU_DEP_2)
	v_dual_add_f32 v69, v69, v87 :: v_dual_mul_f32 v78, 0x3fb8aa3b, v78
	v_mul_f32_e32 v70, 0x3fb8aa3b, v70
	s_delay_alu instid0(VALU_DEP_2) | instskip(NEXT) | instid1(VALU_DEP_1)
	v_exp_f32_e32 v78, v78
	v_exp_f32_e32 v79, v70
	s_delay_alu instid0(TRANS32_DEP_3) | instskip(SKIP_4) | instid1(VALU_DEP_2)
	v_cndmask_b32_e64 v70, 0, v72, s9
	s_waitcnt_depctr 0xfff
	v_cndmask_b32_e64 v84, 0, v78, s7
	v_fma_f32 v78, s18, v103, -v68
	v_cndmask_b32_e64 v71, 0, v79, s11
	v_dual_add_f32 v69, v69, v84 :: v_dual_mul_f32 v78, 0x3fb8aa3b, v78
	s_delay_alu instid0(VALU_DEP_1) | instskip(NEXT) | instid1(VALU_DEP_2)
	v_add_f32_e32 v72, v69, v88
	v_exp_f32_e32 v78, v78
	v_cndmask_b32_e64 v69, 0, v77, s10
	v_fma_f32 v77, s18, v106, -v68
	s_delay_alu instid0(VALU_DEP_1) | instskip(NEXT) | instid1(VALU_DEP_1)
	v_dual_add_f32 v72, v72, v70 :: v_dual_mul_f32 v77, 0x3fb8aa3b, v77
	v_add_f32_e32 v79, v72, v69
	s_waitcnt_depctr 0xfff
	v_cndmask_b32_e64 v72, 0, v78, s12
	v_exp_f32_e32 v90, v77
	v_cndmask_b32_e64 v77, 0, v82, s13
	v_add_f32_e32 v78, v79, v71
	v_fma_f32 v79, s18, v107, -v68
	s_delay_alu instid0(VALU_DEP_1) | instskip(SKIP_1) | instid1(VALU_DEP_2)
	v_dual_add_f32 v82, v78, v72 :: v_dual_mul_f32 v79, 0x3fb8aa3b, v79
	v_cndmask_b32_e64 v78, 0, v81, s15
	v_add_f32_e32 v81, v82, v77
	s_delay_alu instid0(VALU_DEP_3) | instskip(NEXT) | instid1(TRANS32_DEP_2)
	v_exp_f32_e32 v82, v79
	v_cndmask_b32_e64 v79, 0, v90, s16
	s_delay_alu instid0(VALU_DEP_2) | instskip(NEXT) | instid1(VALU_DEP_1)
	v_add_f32_e32 v81, v81, v78
	v_add_f32_e32 v90, v81, v79
	s_waitcnt_depctr 0xfff
	v_cndmask_b32_e64 v81, 0, v82, s17
	s_delay_alu instid0(VALU_DEP_1)
	v_add_f32_e32 v82, v90, v81
	ds_bpermute_b32 v89, v89, v82
	s_and_saveexec_b32 s3, s2
	s_cbranch_execz .LBB1904_12
; %bb.11:
	v_mul_u32_u24_e32 v67, 0x44, v66
	s_delay_alu instid0(VALU_DEP_1) | instskip(SKIP_1) | instid1(VALU_DEP_1)
	v_lshl_add_u32 v67, v65, 2, v67
	s_waitcnt lgkmcnt(0)
	v_dual_add_f32 v82, v82, v89 :: v_dual_add_nc_u32 v67, 0x4000, v67
	ds_store_2addr_b32 v67, v68, v82 offset1:136
.LBB1904_12:
	s_or_b32 exec_lo, exec_lo, s3
	v_lshlrev_b32_e32 v67, 2, v65
	s_waitcnt lgkmcnt(0)
	s_barrier
	buffer_gl0_inv
	v_cmp_eq_u32_e32 vcc_lo, 1, v66
	v_add_nc_u32_e32 v82, 0x4000, v67
	v_cmp_eq_u32_e64 s3, 2, v66
	v_cmp_eq_u32_e64 s5, 7, v66
	ds_load_2addr_b32 v[89:90], v82 offset1:17
	ds_load_2addr_b32 v[91:92], v82 offset0:34 offset1:51
	ds_load_2addr_b32 v[93:94], v82 offset0:68 offset1:85
	;; [unrolled: 1-line block ×4, first 2 shown]
	s_waitcnt lgkmcnt(4)
	v_max3_f32 v67, v89, 0xff7fffff, v90
	s_waitcnt lgkmcnt(3)
	s_delay_alu instid0(VALU_DEP_1) | instskip(SKIP_1) | instid1(VALU_DEP_1)
	v_max3_f32 v67, v67, v91, v92
	s_waitcnt lgkmcnt(2)
	v_max3_f32 v67, v67, v93, v94
	s_waitcnt lgkmcnt(1)
	s_delay_alu instid0(VALU_DEP_1) | instskip(NEXT) | instid1(VALU_DEP_1)
	v_max3_f32 v67, v67, v95, v96
	v_sub_f32_e32 v93, v93, v67
	s_delay_alu instid0(VALU_DEP_1) | instskip(NEXT) | instid1(VALU_DEP_1)
	v_dual_sub_f32 v68, v89, v67 :: v_dual_mul_f32 v103, 0x3fb8aa3b, v93
	v_mul_f32_e32 v68, 0x3fb8aa3b, v68
	s_delay_alu instid0(VALU_DEP_1)
	v_exp_f32_e32 v100, v68
	v_sub_f32_e32 v68, v92, v67
	v_sub_f32_e32 v99, v90, v67
	ds_load_2addr_b32 v[89:90], v82 offset0:170 offset1:187
	v_dual_mul_f32 v102, 0x3fb8aa3b, v68 :: v_dual_mul_f32 v99, 0x3fb8aa3b, v99
	s_waitcnt lgkmcnt(1)
	v_fma_f32 v68, v100, v97, 0
	s_delay_alu instid0(VALU_DEP_2) | instskip(NEXT) | instid1(VALU_DEP_2)
	v_exp_f32_e32 v102, v102
	v_exp_f32_e32 v99, v99
	s_waitcnt_depctr 0xfff
	v_fmac_f32_e32 v68, v99, v98
	v_sub_f32_e32 v91, v91, v67
	s_delay_alu instid0(VALU_DEP_1)
	v_mul_f32_e32 v101, 0x3fb8aa3b, v91
	ds_load_2addr_b32 v[91:92], v82 offset0:204 offset1:221
	v_sub_f32_e32 v97, v94, v67
	ds_load_2addr_b32 v[93:94], v82 offset0:238 offset1:255
	s_waitcnt lgkmcnt(0)
	v_exp_f32_e32 v101, v101
	s_barrier
	buffer_gl0_inv
	v_dual_fmac_f32 v68, v101, v89 :: v_dual_sub_f32 v89, v96, v67
	v_dual_sub_f32 v82, v95, v67 :: v_dual_mul_f32 v95, 0x3fb8aa3b, v97
	v_exp_f32_e32 v97, v103
	s_delay_alu instid0(VALU_DEP_2) | instskip(NEXT) | instid1(VALU_DEP_2)
	v_dual_fmac_f32 v68, v102, v90 :: v_dual_mul_f32 v89, 0x3fb8aa3b, v89
	v_mul_f32_e32 v82, 0x3fb8aa3b, v82
	s_delay_alu instid0(VALU_DEP_3) | instskip(NEXT) | instid1(VALU_DEP_2)
	v_exp_f32_e32 v95, v95
	v_exp_f32_e32 v89, v89
	s_delay_alu instid0(VALU_DEP_1)
	v_exp_f32_e32 v82, v82
	v_fmac_f32_e32 v68, v97, v91
	s_delay_alu instid0(TRANS32_DEP_3) | instid1(VALU_DEP_1)
	v_fmac_f32_e32 v68, v95, v92
	s_waitcnt_depctr 0xfff
	v_fmac_f32_e32 v68, v82, v93
	s_delay_alu instid0(VALU_DEP_1) | instskip(NEXT) | instid1(VALU_DEP_1)
	v_fmac_f32_e32 v68, v89, v94
	v_add_f32_e32 v90, 0x358637bd, v68
	s_delay_alu instid0(VALU_DEP_1) | instskip(NEXT) | instid1(VALU_DEP_1)
	v_div_scale_f32 v91, null, v90, v90, 1.0
	v_rcp_f32_e32 v92, v91
	s_waitcnt_depctr 0xfff
	v_fma_f32 v93, -v91, v92, 1.0
	s_delay_alu instid0(VALU_DEP_1) | instskip(SKIP_1) | instid1(VALU_DEP_2)
	v_dual_fmac_f32 v92, v93, v92 :: v_dual_cndmask_b32 v93, v100, v99
	v_cmp_eq_u32_e32 vcc_lo, 3, v66
	v_cndmask_b32_e64 v93, v93, v101, s3
	v_cmp_eq_u32_e64 s3, 4, v66
	s_delay_alu instid0(VALU_DEP_2) | instskip(SKIP_1) | instid1(VALU_DEP_2)
	v_cndmask_b32_e32 v93, v93, v102, vcc_lo
	v_cmp_eq_u32_e32 vcc_lo, 5, v66
	v_cndmask_b32_e64 v93, v93, v97, s3
	v_cmp_eq_u32_e64 s3, 6, v66
	s_delay_alu instid0(VALU_DEP_2) | instskip(SKIP_1) | instid1(VALU_DEP_1)
	v_cndmask_b32_e32 v93, v93, v95, vcc_lo
	v_div_scale_f32 v94, s4, 1.0, v90, 1.0
	s_mov_b32 vcc_lo, s4
	s_delay_alu instid0(VALU_DEP_2) | instskip(NEXT) | instid1(VALU_DEP_2)
	v_cndmask_b32_e64 v82, v93, v82, s3
	v_mul_f32_e32 v96, v94, v92
	s_mov_b32 s3, exec_lo
	s_delay_alu instid0(VALU_DEP_2) | instskip(NEXT) | instid1(VALU_DEP_2)
	v_cndmask_b32_e64 v82, v82, v89, s5
	v_fma_f32 v98, -v91, v96, v94
	s_delay_alu instid0(VALU_DEP_1) | instskip(NEXT) | instid1(VALU_DEP_1)
	v_fmac_f32_e32 v96, v98, v92
	v_fma_f32 v91, -v91, v96, v94
	s_delay_alu instid0(VALU_DEP_1) | instskip(NEXT) | instid1(VALU_DEP_1)
	v_div_fmas_f32 v91, v91, v92, v96
	v_div_fixup_f32 v90, v91, v90, 1.0
	s_delay_alu instid0(VALU_DEP_1) | instskip(NEXT) | instid1(VALU_DEP_1)
	v_mul_f32_e32 v82, v82, v90
	v_mul_f32_e32 v87, v82, v87
	;; [unrolled: 1-line block ×7, first 2 shown]
	v_dual_mul_f32 v86, v82, v83 :: v_dual_and_b32 v91, 0x7f800000, v90
	v_mul_f32_e32 v85, v82, v76
                                        ; implicit-def: $vgpr76
	s_delay_alu instid0(VALU_DEP_2)
	v_cmpx_ne_u32_e32 0x7f800000, v91
	s_xor_b32 s3, exec_lo, s3
; %bb.13:
	v_bfe_u32 v76, v90, 16, 1
	s_delay_alu instid0(VALU_DEP_1)
	v_add3_u32 v76, v90, v76, 0x7fff
                                        ; implicit-def: $vgpr90
; %bb.14:
	s_and_not1_saveexec_b32 s3, s3
; %bb.15:
	v_and_b32_e32 v76, 0xffff, v90
	v_or_b32_e32 v83, 0x10000, v90
	s_delay_alu instid0(VALU_DEP_2) | instskip(NEXT) | instid1(VALU_DEP_2)
	v_cmp_eq_u32_e32 vcc_lo, 0, v76
	v_cndmask_b32_e32 v76, v83, v90, vcc_lo
; %bb.16:
	s_or_b32 exec_lo, exec_lo, s3
	v_and_b32_e32 v83, 0x7f800000, v85
	s_delay_alu instid0(VALU_DEP_1) | instskip(SKIP_1) | instid1(SALU_CYCLE_1)
	v_cmp_ne_u32_e32 vcc_lo, 0x7f800000, v83
                                        ; implicit-def: $vgpr83
	s_and_saveexec_b32 s3, vcc_lo
	s_xor_b32 s3, exec_lo, s3
; %bb.17:
	v_bfe_u32 v83, v85, 16, 1
	s_delay_alu instid0(VALU_DEP_1)
	v_add3_u32 v83, v85, v83, 0x7fff
                                        ; implicit-def: $vgpr85
; %bb.18:
	s_and_not1_saveexec_b32 s3, s3
; %bb.19:
	v_and_b32_e32 v83, 0xffff, v85
	v_or_b32_e32 v90, 0x10000, v85
	s_delay_alu instid0(VALU_DEP_2) | instskip(NEXT) | instid1(VALU_DEP_2)
	v_cmp_eq_u32_e32 vcc_lo, 0, v83
	v_cndmask_b32_e32 v83, v90, v85, vcc_lo
; %bb.20:
	s_or_b32 exec_lo, exec_lo, s3
	v_and_b32_e32 v85, 0x7f800000, v86
	s_delay_alu instid0(VALU_DEP_1) | instskip(SKIP_1) | instid1(SALU_CYCLE_1)
	v_cmp_ne_u32_e32 vcc_lo, 0x7f800000, v85
                                        ; implicit-def: $vgpr85
	s_and_saveexec_b32 s3, vcc_lo
	s_xor_b32 s3, exec_lo, s3
; %bb.21:
	v_bfe_u32 v85, v86, 16, 1
	s_delay_alu instid0(VALU_DEP_1)
	v_add3_u32 v85, v86, v85, 0x7fff
                                        ; implicit-def: $vgpr86
; %bb.22:
	s_and_not1_saveexec_b32 s3, s3
; %bb.23:
	v_and_b32_e32 v85, 0xffff, v86
	v_or_b32_e32 v90, 0x10000, v86
	s_delay_alu instid0(VALU_DEP_2) | instskip(NEXT) | instid1(VALU_DEP_2)
	v_cmp_eq_u32_e32 vcc_lo, 0, v85
	v_cndmask_b32_e32 v85, v90, v86, vcc_lo
; %bb.24:
	s_or_b32 exec_lo, exec_lo, s3
	v_and_b32_e32 v86, 0x7f800000, v89
	s_delay_alu instid0(VALU_DEP_1) | instskip(SKIP_1) | instid1(SALU_CYCLE_1)
	v_cmp_ne_u32_e32 vcc_lo, 0x7f800000, v86
                                        ; implicit-def: $vgpr86
	s_and_saveexec_b32 s3, vcc_lo
	s_xor_b32 s3, exec_lo, s3
; %bb.25:
	v_bfe_u32 v86, v89, 16, 1
	s_delay_alu instid0(VALU_DEP_1)
	v_add3_u32 v86, v89, v86, 0x7fff
                                        ; implicit-def: $vgpr89
; %bb.26:
	s_and_not1_saveexec_b32 s3, s3
; %bb.27:
	v_and_b32_e32 v86, 0xffff, v89
	v_or_b32_e32 v90, 0x10000, v89
	s_delay_alu instid0(VALU_DEP_2) | instskip(NEXT) | instid1(VALU_DEP_2)
	v_cmp_eq_u32_e32 vcc_lo, 0, v86
	v_cndmask_b32_e32 v86, v90, v89, vcc_lo
; %bb.28:
	s_or_b32 exec_lo, exec_lo, s3
	v_and_b32_e32 v89, 0x7f800000, v88
	s_delay_alu instid0(VALU_DEP_1) | instskip(SKIP_1) | instid1(SALU_CYCLE_1)
	v_cmp_ne_u32_e32 vcc_lo, 0x7f800000, v89
                                        ; implicit-def: $vgpr89
	s_and_saveexec_b32 s3, vcc_lo
	s_xor_b32 s3, exec_lo, s3
; %bb.29:
	v_bfe_u32 v89, v88, 16, 1
	s_delay_alu instid0(VALU_DEP_1)
	v_add3_u32 v89, v88, v89, 0x7fff
                                        ; implicit-def: $vgpr88
; %bb.30:
	s_and_not1_saveexec_b32 s3, s3
; %bb.31:
	v_and_b32_e32 v89, 0xffff, v88
	v_or_b32_e32 v90, 0x10000, v88
	s_delay_alu instid0(VALU_DEP_2) | instskip(NEXT) | instid1(VALU_DEP_2)
	v_cmp_eq_u32_e32 vcc_lo, 0, v89
	v_cndmask_b32_e32 v89, v90, v88, vcc_lo
; %bb.32:
	s_or_b32 exec_lo, exec_lo, s3
	v_and_b32_e32 v88, 0x7f800000, v87
	s_delay_alu instid0(VALU_DEP_1) | instskip(SKIP_1) | instid1(SALU_CYCLE_1)
	v_cmp_ne_u32_e32 vcc_lo, 0x7f800000, v88
                                        ; implicit-def: $vgpr88
	s_and_saveexec_b32 s3, vcc_lo
	s_xor_b32 s3, exec_lo, s3
; %bb.33:
	v_bfe_u32 v88, v87, 16, 1
	s_delay_alu instid0(VALU_DEP_1)
	v_add3_u32 v88, v87, v88, 0x7fff
                                        ; implicit-def: $vgpr87
; %bb.34:
	s_and_not1_saveexec_b32 s3, s3
; %bb.35:
	v_and_b32_e32 v88, 0xffff, v87
	v_or_b32_e32 v90, 0x10000, v87
	s_delay_alu instid0(VALU_DEP_2) | instskip(NEXT) | instid1(VALU_DEP_2)
	v_cmp_eq_u32_e32 vcc_lo, 0, v88
	v_cndmask_b32_e32 v88, v90, v87, vcc_lo
; %bb.36:
	s_or_b32 exec_lo, exec_lo, s3
	v_and_b32_e32 v87, 0x7f800000, v84
	s_delay_alu instid0(VALU_DEP_1) | instskip(SKIP_1) | instid1(SALU_CYCLE_1)
	v_cmp_ne_u32_e32 vcc_lo, 0x7f800000, v87
                                        ; implicit-def: $vgpr87
	s_and_saveexec_b32 s3, vcc_lo
	s_xor_b32 s3, exec_lo, s3
; %bb.37:
	v_bfe_u32 v87, v84, 16, 1
	s_delay_alu instid0(VALU_DEP_1)
	v_add3_u32 v87, v84, v87, 0x7fff
                                        ; implicit-def: $vgpr84
; %bb.38:
	s_and_not1_saveexec_b32 s3, s3
; %bb.39:
	v_and_b32_e32 v87, 0xffff, v84
	v_or_b32_e32 v90, 0x10000, v84
	s_delay_alu instid0(VALU_DEP_2) | instskip(NEXT) | instid1(VALU_DEP_2)
	v_cmp_eq_u32_e32 vcc_lo, 0, v87
	v_cndmask_b32_e32 v87, v90, v84, vcc_lo
; %bb.40:
	s_or_b32 exec_lo, exec_lo, s3
	v_and_b32_e32 v84, 0x7f800000, v80
	s_delay_alu instid0(VALU_DEP_1) | instskip(SKIP_1) | instid1(SALU_CYCLE_1)
	v_cmp_ne_u32_e32 vcc_lo, 0x7f800000, v84
                                        ; implicit-def: $vgpr84
	s_and_saveexec_b32 s3, vcc_lo
	s_xor_b32 s3, exec_lo, s3
; %bb.41:
	v_bfe_u32 v84, v80, 16, 1
	s_delay_alu instid0(VALU_DEP_1)
	v_add3_u32 v84, v80, v84, 0x7fff
                                        ; implicit-def: $vgpr80
; %bb.42:
	s_and_not1_saveexec_b32 s3, s3
; %bb.43:
	v_and_b32_e32 v84, 0xffff, v80
	v_or_b32_e32 v90, 0x10000, v80
	s_delay_alu instid0(VALU_DEP_2) | instskip(NEXT) | instid1(VALU_DEP_2)
	v_cmp_eq_u32_e32 vcc_lo, 0, v84
	v_cndmask_b32_e32 v84, v90, v80, vcc_lo
; %bb.44:
	s_or_b32 exec_lo, exec_lo, s3
	s_load_b64 s[34:35], s[0:1], 0x94
	v_lshlrev_b32_e32 v91, 4, v74
	s_delay_alu instid0(VALU_DEP_2)
	v_perm_b32 v90, v84, v87, 0x7060302
	v_dual_mul_f32 v79, v82, v79 :: v_dual_lshlrev_b32 v80, 6, v65
	v_dual_mul_f32 v77, v82, v77 :: v_dual_lshlrev_b32 v92, 11, v66
	v_mul_f32_e32 v84, v82, v70
	v_perm_b32 v89, v88, v89, 0x7060302
	v_perm_b32 v88, v86, v85, 0x7060302
	;; [unrolled: 1-line block ×3, first 2 shown]
	v_mul_f32_e32 v70, v82, v81
	v_or3_b32 v76, v91, v92, v80
	v_dual_mul_f32 v78, v82, v78 :: v_dual_and_b32 v85, 0x7f800000, v84
	v_mul_f32_e32 v83, v82, v72
	v_mul_f32_e32 v81, v82, v71
	;; [unrolled: 1-line block ×3, first 2 shown]
	s_mov_b32 s3, exec_lo
	ds_store_b128 v76, v[87:90]
                                        ; implicit-def: $vgpr69
	v_cmpx_ne_u32_e32 0x7f800000, v85
	s_xor_b32 s3, exec_lo, s3
; %bb.45:
	v_bfe_u32 v69, v84, 16, 1
	s_delay_alu instid0(VALU_DEP_1)
	v_add3_u32 v69, v84, v69, 0x7fff
                                        ; implicit-def: $vgpr84
; %bb.46:
	s_and_not1_saveexec_b32 s3, s3
; %bb.47:
	v_and_b32_e32 v69, 0xffff, v84
	v_or_b32_e32 v71, 0x10000, v84
	s_delay_alu instid0(VALU_DEP_2) | instskip(NEXT) | instid1(VALU_DEP_2)
	v_cmp_eq_u32_e32 vcc_lo, 0, v69
	v_cndmask_b32_e32 v69, v71, v84, vcc_lo
; %bb.48:
	s_or_b32 exec_lo, exec_lo, s3
	v_and_b32_e32 v71, 0x7f800000, v72
	s_delay_alu instid0(VALU_DEP_1) | instskip(SKIP_1) | instid1(SALU_CYCLE_1)
	v_cmp_ne_u32_e32 vcc_lo, 0x7f800000, v71
                                        ; implicit-def: $vgpr71
	s_and_saveexec_b32 s3, vcc_lo
	s_xor_b32 s3, exec_lo, s3
; %bb.49:
	v_bfe_u32 v71, v72, 16, 1
	s_delay_alu instid0(VALU_DEP_1)
	v_add3_u32 v71, v72, v71, 0x7fff
                                        ; implicit-def: $vgpr72
; %bb.50:
	s_and_not1_saveexec_b32 s3, s3
; %bb.51:
	v_and_b32_e32 v71, 0xffff, v72
	v_or_b32_e32 v82, 0x10000, v72
	s_delay_alu instid0(VALU_DEP_2) | instskip(NEXT) | instid1(VALU_DEP_2)
	v_cmp_eq_u32_e32 vcc_lo, 0, v71
	v_cndmask_b32_e32 v71, v82, v72, vcc_lo
; %bb.52:
	s_or_b32 exec_lo, exec_lo, s3
	v_and_b32_e32 v72, 0x7f800000, v81
	s_delay_alu instid0(VALU_DEP_1) | instskip(SKIP_1) | instid1(SALU_CYCLE_1)
	v_cmp_ne_u32_e32 vcc_lo, 0x7f800000, v72
                                        ; implicit-def: $vgpr72
	s_and_saveexec_b32 s3, vcc_lo
	s_xor_b32 s3, exec_lo, s3
; %bb.53:
	v_bfe_u32 v72, v81, 16, 1
	s_delay_alu instid0(VALU_DEP_1)
	v_add3_u32 v72, v81, v72, 0x7fff
                                        ; implicit-def: $vgpr81
; %bb.54:
	s_and_not1_saveexec_b32 s3, s3
; %bb.55:
	v_and_b32_e32 v72, 0xffff, v81
	v_or_b32_e32 v82, 0x10000, v81
	s_delay_alu instid0(VALU_DEP_2) | instskip(NEXT) | instid1(VALU_DEP_2)
	v_cmp_eq_u32_e32 vcc_lo, 0, v72
	v_cndmask_b32_e32 v72, v82, v81, vcc_lo
; %bb.56:
	s_or_b32 exec_lo, exec_lo, s3
	v_and_b32_e32 v81, 0x7f800000, v83
	s_delay_alu instid0(VALU_DEP_1) | instskip(SKIP_1) | instid1(SALU_CYCLE_1)
	v_cmp_ne_u32_e32 vcc_lo, 0x7f800000, v81
                                        ; implicit-def: $vgpr81
	s_and_saveexec_b32 s3, vcc_lo
	s_xor_b32 s3, exec_lo, s3
; %bb.57:
	v_bfe_u32 v81, v83, 16, 1
	s_delay_alu instid0(VALU_DEP_1)
	v_add3_u32 v81, v83, v81, 0x7fff
                                        ; implicit-def: $vgpr83
; %bb.58:
	s_and_not1_saveexec_b32 s3, s3
; %bb.59:
	v_and_b32_e32 v81, 0xffff, v83
	v_or_b32_e32 v82, 0x10000, v83
	s_delay_alu instid0(VALU_DEP_2) | instskip(NEXT) | instid1(VALU_DEP_2)
	v_cmp_eq_u32_e32 vcc_lo, 0, v81
	v_cndmask_b32_e32 v81, v82, v83, vcc_lo
; %bb.60:
	s_or_b32 exec_lo, exec_lo, s3
	v_and_b32_e32 v82, 0x7f800000, v77
	s_delay_alu instid0(VALU_DEP_1) | instskip(SKIP_1) | instid1(SALU_CYCLE_1)
	v_cmp_ne_u32_e32 vcc_lo, 0x7f800000, v82
                                        ; implicit-def: $vgpr82
	s_and_saveexec_b32 s3, vcc_lo
	s_xor_b32 s3, exec_lo, s3
; %bb.61:
	v_bfe_u32 v82, v77, 16, 1
	s_delay_alu instid0(VALU_DEP_1)
	v_add3_u32 v82, v77, v82, 0x7fff
                                        ; implicit-def: $vgpr77
; %bb.62:
	s_and_not1_saveexec_b32 s3, s3
; %bb.63:
	v_and_b32_e32 v82, 0xffff, v77
	v_or_b32_e32 v83, 0x10000, v77
	s_delay_alu instid0(VALU_DEP_2) | instskip(NEXT) | instid1(VALU_DEP_2)
	v_cmp_eq_u32_e32 vcc_lo, 0, v82
	v_cndmask_b32_e32 v82, v83, v77, vcc_lo
; %bb.64:
	s_or_b32 exec_lo, exec_lo, s3
	v_and_b32_e32 v77, 0x7f800000, v78
	s_delay_alu instid0(VALU_DEP_1) | instskip(SKIP_1) | instid1(SALU_CYCLE_1)
	v_cmp_ne_u32_e32 vcc_lo, 0x7f800000, v77
                                        ; implicit-def: $vgpr77
	s_and_saveexec_b32 s3, vcc_lo
	s_xor_b32 s3, exec_lo, s3
; %bb.65:
	v_bfe_u32 v77, v78, 16, 1
	s_delay_alu instid0(VALU_DEP_1)
	v_add3_u32 v77, v78, v77, 0x7fff
                                        ; implicit-def: $vgpr78
; %bb.66:
	s_and_not1_saveexec_b32 s3, s3
; %bb.67:
	v_and_b32_e32 v77, 0xffff, v78
	v_or_b32_e32 v83, 0x10000, v78
	s_delay_alu instid0(VALU_DEP_2) | instskip(NEXT) | instid1(VALU_DEP_2)
	v_cmp_eq_u32_e32 vcc_lo, 0, v77
	v_cndmask_b32_e32 v77, v83, v78, vcc_lo
; %bb.68:
	s_or_b32 exec_lo, exec_lo, s3
	v_and_b32_e32 v78, 0x7f800000, v79
	s_delay_alu instid0(VALU_DEP_1) | instskip(SKIP_1) | instid1(SALU_CYCLE_1)
	v_cmp_ne_u32_e32 vcc_lo, 0x7f800000, v78
                                        ; implicit-def: $vgpr78
	s_and_saveexec_b32 s3, vcc_lo
	s_xor_b32 s3, exec_lo, s3
; %bb.69:
	v_bfe_u32 v78, v79, 16, 1
	s_delay_alu instid0(VALU_DEP_1)
	v_add3_u32 v78, v79, v78, 0x7fff
                                        ; implicit-def: $vgpr79
; %bb.70:
	s_and_not1_saveexec_b32 s3, s3
; %bb.71:
	v_and_b32_e32 v78, 0xffff, v79
	v_or_b32_e32 v83, 0x10000, v79
	s_delay_alu instid0(VALU_DEP_2) | instskip(NEXT) | instid1(VALU_DEP_2)
	v_cmp_eq_u32_e32 vcc_lo, 0, v78
	v_cndmask_b32_e32 v78, v83, v79, vcc_lo
; %bb.72:
	s_or_b32 exec_lo, exec_lo, s3
	v_and_b32_e32 v79, 0x7f800000, v70
	s_delay_alu instid0(VALU_DEP_1) | instskip(SKIP_1) | instid1(SALU_CYCLE_1)
	v_cmp_ne_u32_e32 vcc_lo, 0x7f800000, v79
                                        ; implicit-def: $vgpr79
	s_and_saveexec_b32 s3, vcc_lo
	s_xor_b32 s3, exec_lo, s3
; %bb.73:
	v_bfe_u32 v79, v70, 16, 1
	s_delay_alu instid0(VALU_DEP_1)
	v_add3_u32 v79, v70, v79, 0x7fff
                                        ; implicit-def: $vgpr70
; %bb.74:
	s_and_not1_saveexec_b32 s3, s3
; %bb.75:
	v_and_b32_e32 v79, 0xffff, v70
	v_or_b32_e32 v83, 0x10000, v70
	s_delay_alu instid0(VALU_DEP_2) | instskip(NEXT) | instid1(VALU_DEP_2)
	v_cmp_eq_u32_e32 vcc_lo, 0, v79
	v_cndmask_b32_e32 v79, v83, v70, vcc_lo
; %bb.76:
	s_or_b32 exec_lo, exec_lo, s3
	s_delay_alu instid0(VALU_DEP_1)
	v_perm_b32 v86, v79, v78, 0x7060302
	v_perm_b32 v85, v77, v82, 0x7060302
	;; [unrolled: 1-line block ×4, first 2 shown]
	v_lshl_or_b32 v82, v66, 11, v80
	ds_store_b128 v76, v[83:86] offset:1024
	s_waitcnt lgkmcnt(0)
	s_barrier
	buffer_gl0_inv
	ds_load_b128 v[69:72], v82
	ds_load_b128 v[83:86], v82 offset:16
	s_waitcnt lgkmcnt(1)
	v_lshrrev_b32_e32 v66, 16, v69
	s_waitcnt lgkmcnt(0)
	v_lshrrev_b32_e32 v91, 16, v83
	v_lshlrev_b32_e32 v78, 2, v74
	v_lshrrev_b32_e32 v95, 16, v70
	v_lshrrev_b32_e32 v98, 16, v84
	;; [unrolled: 1-line block ×4, first 2 shown]
	v_cmp_eq_u32_e32 vcc_lo, 1, v78
	v_lshrrev_b32_e32 v97, 16, v72
	v_lshrrev_b32_e32 v100, 16, v86
	v_cndmask_b32_e32 v87, v83, v91, vcc_lo
	v_or_b32_e32 v79, 1, v78
	v_cndmask_b32_e32 v81, v69, v66, vcc_lo
	v_cmp_eq_u32_e64 s4, 2, v78
	v_cmp_eq_u32_e64 s7, 3, v78
	;; [unrolled: 1-line block ×5, first 2 shown]
	v_cndmask_b32_e64 v81, v81, v70, s4
	v_cndmask_b32_e64 v87, v87, v84, s4
	v_cmp_eq_u32_e64 s8, 3, v79
	v_cndmask_b32_e64 v88, v69, v66, s3
	v_or_b32_e32 v77, 2, v78
	v_cndmask_b32_e64 v81, v81, v95, s7
	v_cndmask_b32_e64 v87, v87, v98, s7
	;; [unrolled: 1-line block ×4, first 2 shown]
	v_cmp_eq_u32_e64 s10, 5, v78
	v_cndmask_b32_e64 v81, v81, v71, s9
	v_cndmask_b32_e64 v87, v87, v85, s9
	v_cmp_eq_u32_e64 s11, 4, v79
	v_cndmask_b32_e64 v88, v88, v95, s8
	v_cmp_eq_u32_e64 s5, 1, v77
	v_cndmask_b32_e64 v89, v89, v84, s6
	v_cndmask_b32_e64 v81, v81, v96, s10
	v_cmp_eq_u32_e64 s12, 6, v78
	v_cndmask_b32_e64 v88, v88, v71, s11
	;; [unrolled: 3-line block ×3, first 2 shown]
	v_cndmask_b32_e64 v89, v89, v98, s8
	v_cndmask_b32_e64 v81, v81, v72, s12
	v_cmp_eq_u32_e64 s15, 7, v78
	v_cndmask_b32_e64 v88, v88, v96, s13
	v_cndmask_b32_e64 v87, v87, v86, s12
	v_cmp_eq_u32_e64 s16, 6, v79
	v_cmp_eq_u32_e64 s17, 2, v77
	v_cndmask_b32_e64 v89, v89, v85, s11
	v_cndmask_b32_e64 v101, v81, v97, s15
	;; [unrolled: 1-line block ×6, first 2 shown]
	v_cmp_eq_u32_e64 s18, 7, v79
	v_cmp_eq_u32_e64 s19, 3, v77
	;; [unrolled: 1-line block ×4, first 2 shown]
	v_cndmask_b32_e64 v87, v87, v84, s17
	v_cndmask_b32_e64 v103, v88, v97, s18
	;; [unrolled: 1-line block ×4, first 2 shown]
	v_or_b32_e32 v81, 3, v78
	v_cndmask_b32_e64 v93, v87, v98, s19
	v_cmp_eq_u32_e64 s24, 6, v77
	v_cndmask_b32_e64 v104, v88, v86, s16
	v_cndmask_b32_e64 v92, v89, v71, s20
	v_cmp_eq_u32_e64 s21, 1, v81
	ds_load_b128 v[87:90], v82 offset:1024
	v_cmp_eq_u32_e64 s23, 2, v81
	v_cmp_eq_u32_e64 s25, 3, v81
	v_cndmask_b32_e64 v105, v92, v96, s22
	v_cndmask_b32_e64 v66, v69, v66, s21
	;; [unrolled: 1-line block ×4, first 2 shown]
	ds_load_b128 v[91:94], v82 offset:1040
	v_cmp_eq_u32_e64 s26, 4, v81
	v_cndmask_b32_e64 v66, v66, v70, s23
	v_cmp_eq_u32_e64 s27, 7, v77
	v_cndmask_b32_e64 v70, v83, v84, s23
	v_cndmask_b32_e64 v84, v105, v72, s24
	v_cmp_eq_u32_e64 s28, 5, v81
	v_cndmask_b32_e64 v66, v66, v95, s25
	v_cmp_eq_u32_e64 s29, 6, v81
	v_cndmask_b32_e64 v70, v70, v98, s25
	v_cndmask_b32_e64 v69, v69, v99, s22
	;; [unrolled: 1-line block ×4, first 2 shown]
	s_waitcnt lgkmcnt(1)
	v_lshrrev_b32_e32 v95, 16, v87
	v_cndmask_b32_e64 v70, v70, v85, s26
	v_cndmask_b32_e64 v71, v84, v97, s27
	;; [unrolled: 1-line block ×4, first 2 shown]
	v_cndmask_b32_e32 v84, v87, v95, vcc_lo
	v_cndmask_b32_e64 v70, v70, v99, s28
	s_waitcnt lgkmcnt(0)
	v_lshrrev_b32_e32 v85, 16, v91
	v_lshrrev_b32_e32 v96, 16, v88
	v_cndmask_b32_e64 v98, v87, v95, s3
	v_cndmask_b32_e64 v84, v84, v88, s4
	;; [unrolled: 1-line block ×3, first 2 shown]
	v_cndmask_b32_e32 v99, v91, v85, vcc_lo
	v_cmp_eq_u32_e32 vcc_lo, 7, v81
	v_cndmask_b32_e64 v66, v66, v72, s29
	v_cndmask_b32_e64 v72, v84, v96, s7
	;; [unrolled: 1-line block ×3, first 2 shown]
	v_lshrrev_b32_e32 v98, 16, v92
	v_cndmask_b32_e32 v70, v70, v100, vcc_lo
	v_cndmask_b32_e64 v86, v99, v92, s4
	v_cndmask_b32_e64 v69, v69, v100, s27
	v_lshrrev_b32_e32 v100, 16, v93
	v_cndmask_b32_e64 v72, v72, v89, s9
	v_lshrrev_b32_e32 v99, 16, v89
	v_cndmask_b32_e64 v86, v86, v98, s7
	v_perm_b32 v71, v69, v71, 0x5040100
	v_cndmask_b32_e64 v84, v84, v96, s8
	s_delay_alu instid0(VALU_DEP_3) | instskip(NEXT) | instid1(VALU_DEP_2)
	v_cndmask_b32_e64 v86, v86, v93, s9
	v_cndmask_b32_e64 v84, v84, v89, s11
	s_delay_alu instid0(VALU_DEP_2) | instskip(NEXT) | instid1(VALU_DEP_1)
	v_cndmask_b32_e64 v86, v86, v100, s10
	v_cndmask_b32_e64 v69, v86, v94, s12
	;; [unrolled: 1-line block ×5, first 2 shown]
	s_delay_alu instid0(VALU_DEP_3) | instskip(NEXT) | instid1(VALU_DEP_3)
	v_cndmask_b32_e64 v86, v86, v88, s17
	v_cndmask_b32_e64 v87, v87, v88, s23
	s_delay_alu instid0(VALU_DEP_3) | instskip(NEXT) | instid1(VALU_DEP_3)
	v_cndmask_b32_e64 v88, v95, v92, s23
	v_cndmask_b32_e64 v86, v86, v96, s19
	;; [unrolled: 3-line block ×7, first 2 shown]
	s_delay_alu instid0(VALU_DEP_3) | instskip(SKIP_2) | instid1(VALU_DEP_2)
	v_cndmask_b32_e64 v88, v88, v94, s29
	v_cndmask_b32_e32 v66, v66, v97, vcc_lo
	v_cndmask_b32_e64 v97, v72, v99, s10
	v_perm_b32 v72, v70, v66, 0x5040100
	v_perm_b32 v70, v83, v103, 0x5040100
	v_cndmask_b32_e64 v103, v91, v85, s5
	v_cndmask_b32_e64 v85, v91, v85, s3
	v_cndmask_b32_e64 v66, v84, v99, s13
	v_cndmask_b32_e64 v84, v97, v90, s12
	v_lshrrev_b32_e32 v97, 16, v90
	v_cndmask_b32_e64 v91, v103, v92, s17
	v_cndmask_b32_e64 v85, v85, v92, s6
	;; [unrolled: 1-line block ×3, first 2 shown]
	s_mov_b32 s3, exec_lo
	v_cndmask_b32_e64 v83, v84, v97, s15
	v_cndmask_b32_e64 v91, v91, v98, s19
	v_cndmask_b32_e64 v85, v85, v98, s8
	v_lshrrev_b32_e32 v84, 16, v94
	v_cndmask_b32_e64 v66, v66, v97, s18
	v_cndmask_b32_e64 v90, v86, v97, s27
	;; [unrolled: 1-line block ×4, first 2 shown]
	v_dual_cndmask_b32 v86, v87, v97 :: v_dual_cndmask_b32 v87, v88, v84
	v_cndmask_b32_e64 v91, v69, v84, s15
	s_delay_alu instid0(VALU_DEP_4) | instskip(NEXT) | instid1(VALU_DEP_4)
	v_cndmask_b32_e64 v89, v89, v100, s22
	v_cndmask_b32_e64 v85, v85, v100, s13
	v_perm_b32 v69, v102, v101, 0x5040100
	v_perm_b32 v86, v87, v86, 0x5040100
	;; [unrolled: 1-line block ×3, first 2 shown]
	v_cndmask_b32_e64 v89, v89, v94, s24
	v_cndmask_b32_e64 v85, v85, v94, s16
	s_mul_i32 s8, s35, 3
	s_delay_alu instid0(VALU_DEP_2) | instskip(NEXT) | instid1(VALU_DEP_2)
	v_cndmask_b32_e64 v88, v89, v84, s27
	v_cndmask_b32_e64 v89, v85, v84, s18
	s_delay_alu instid0(VALU_DEP_2) | instskip(NEXT) | instid1(VALU_DEP_2)
	v_perm_b32 v85, v88, v90, 0x5040100
	v_perm_b32 v84, v89, v66, 0x5040100
	ds_store_b128 v76, v[69:72]
	ds_store_b128 v76, v[83:86] offset:1024
	v_cmpx_gt_u32_e32 3, v0
	s_cbranch_execz .LBB1904_78
; %bb.77:
	s_mul_i32 s4, s8, s30
	s_delay_alu instid0(SALU_CYCLE_1) | instskip(SKIP_1) | instid1(VALU_DEP_1)
	v_add3_u32 v69, s4, s31, v65
	s_load_b128 s[4:7], s[0:1], 0x58
	v_mad_u64_u32 v[65:66], null, v69, s34, s[14:15]
	s_delay_alu instid0(VALU_DEP_1) | instskip(NEXT) | instid1(VALU_DEP_1)
	v_ashrrev_i32_e32 v66, 31, v65
	v_lshlrev_b64 v[65:66], 2, v[65:66]
	s_waitcnt lgkmcnt(0)
	s_delay_alu instid0(VALU_DEP_1) | instskip(NEXT) | instid1(VALU_DEP_2)
	v_add_co_u32 v69, vcc_lo, s6, v65
	v_add_co_ci_u32_e32 v70, vcc_lo, s7, v66, vcc_lo
	v_add_co_u32 v65, vcc_lo, s4, v65
	v_add_co_ci_u32_e32 v66, vcc_lo, s5, v66, vcc_lo
	global_store_b32 v[69:70], v67, off
	global_store_b32 v[65:66], v68, off
.LBB1904_78:
	s_or_b32 exec_lo, exec_lo, s3
	s_waitcnt lgkmcnt(0)
	s_waitcnt_vscnt null, 0x0
	s_barrier
	buffer_gl0_inv
	ds_load_b128 v[83:86], v80
	ds_load_b128 v[87:90], v80 offset:16
	ds_load_b128 v[95:98], v80 offset:2064
	;; [unrolled: 1-line block ×3, first 2 shown]
	v_mov_b32_e32 v65, 0
	ds_load_b128 v[103:106], v80 offset:4112
	ds_load_b128 v[99:102], v80 offset:4096
	;; [unrolled: 1-line block ×4, first 2 shown]
	v_mov_b32_e32 v66, v65
	v_mov_b32_e32 v67, v65
	;; [unrolled: 1-line block ×7, first 2 shown]
	s_waitcnt lgkmcnt(6)
	s_delay_alu instid0(VALU_DEP_1)
	v_wmma_f32_16x16x16_bf16 v[65:72], v[41:48], v[83:90], v[65:72]
	ds_load_b128 v[45:48], v80 offset:8208
	ds_load_b128 v[41:44], v80 offset:8192
	s_waitcnt lgkmcnt(6)
	v_wmma_f32_16x16x16_bf16 v[65:72], v[33:40], v[91:98], v[65:72]
	ds_load_b128 v[37:40], v80 offset:10256
	ds_load_b128 v[33:36], v80 offset:10240
	s_waitcnt lgkmcnt(6)
	;; [unrolled: 4-line block ×4, first 2 shown]
	v_wmma_f32_16x16x16_bf16 v[65:72], v[1:8], v[41:48], v[65:72]
	s_waitcnt lgkmcnt(4)
	s_delay_alu instid0(VALU_DEP_1) | instskip(SKIP_1) | instid1(VALU_DEP_1)
	v_wmma_f32_16x16x16_bf16 v[65:72], v[9:16], v[33:40], v[65:72]
	s_waitcnt lgkmcnt(2)
	v_wmma_f32_16x16x16_bf16 v[65:72], v[57:64], v[25:32], v[65:72]
	s_waitcnt lgkmcnt(0)
	s_delay_alu instid0(VALU_DEP_1) | instskip(NEXT) | instid1(VALU_DEP_1)
	v_wmma_f32_16x16x16_bf16 v[65:72], v[49:56], v[17:24], v[65:72]
	v_and_b32_e32 v1, 0x7f800000, v65
	s_delay_alu instid0(VALU_DEP_1) | instskip(SKIP_1) | instid1(SALU_CYCLE_1)
	v_cmp_ne_u32_e32 vcc_lo, 0x7f800000, v1
                                        ; implicit-def: $vgpr1
	s_and_saveexec_b32 s3, vcc_lo
	s_xor_b32 s3, exec_lo, s3
; %bb.79:
	v_bfe_u32 v1, v65, 16, 1
	s_delay_alu instid0(VALU_DEP_1)
	v_add3_u32 v1, v65, v1, 0x7fff
; %bb.80:
	s_and_not1_saveexec_b32 s3, s3
; %bb.81:
	v_and_b32_e32 v1, 0xffff, v65
	v_or_b32_e32 v2, 0x10000, v65
	s_delay_alu instid0(VALU_DEP_2) | instskip(NEXT) | instid1(VALU_DEP_2)
	v_cmp_eq_u32_e32 vcc_lo, 0, v1
	v_cndmask_b32_e32 v1, v2, v65, vcc_lo
; %bb.82:
	s_or_b32 exec_lo, exec_lo, s3
	v_and_b32_e32 v2, 0x7f800000, v66
	s_delay_alu instid0(VALU_DEP_1) | instskip(SKIP_1) | instid1(SALU_CYCLE_1)
	v_cmp_ne_u32_e32 vcc_lo, 0x7f800000, v2
                                        ; implicit-def: $vgpr2
	s_and_saveexec_b32 s3, vcc_lo
	s_xor_b32 s3, exec_lo, s3
; %bb.83:
	v_bfe_u32 v2, v66, 16, 1
	s_delay_alu instid0(VALU_DEP_1)
	v_add3_u32 v2, v66, v2, 0x7fff
; %bb.84:
	s_and_not1_saveexec_b32 s3, s3
; %bb.85:
	v_and_b32_e32 v2, 0xffff, v66
	v_or_b32_e32 v3, 0x10000, v66
	s_delay_alu instid0(VALU_DEP_2) | instskip(NEXT) | instid1(VALU_DEP_2)
	v_cmp_eq_u32_e32 vcc_lo, 0, v2
	v_cndmask_b32_e32 v2, v3, v66, vcc_lo
; %bb.86:
	s_or_b32 exec_lo, exec_lo, s3
	v_and_b32_e32 v3, 0x7f800000, v67
	s_delay_alu instid0(VALU_DEP_1) | instskip(SKIP_1) | instid1(SALU_CYCLE_1)
	v_cmp_ne_u32_e32 vcc_lo, 0x7f800000, v3
                                        ; implicit-def: $vgpr3
	s_and_saveexec_b32 s3, vcc_lo
	s_xor_b32 s3, exec_lo, s3
; %bb.87:
	v_bfe_u32 v3, v67, 16, 1
	s_delay_alu instid0(VALU_DEP_1)
	v_add3_u32 v3, v67, v3, 0x7fff
; %bb.88:
	s_and_not1_saveexec_b32 s3, s3
; %bb.89:
	v_and_b32_e32 v3, 0xffff, v67
	v_or_b32_e32 v4, 0x10000, v67
	s_delay_alu instid0(VALU_DEP_2) | instskip(NEXT) | instid1(VALU_DEP_2)
	v_cmp_eq_u32_e32 vcc_lo, 0, v3
	v_cndmask_b32_e32 v3, v4, v67, vcc_lo
; %bb.90:
	s_or_b32 exec_lo, exec_lo, s3
	v_and_b32_e32 v4, 0x7f800000, v68
	s_delay_alu instid0(VALU_DEP_1) | instskip(SKIP_1) | instid1(SALU_CYCLE_1)
	v_cmp_ne_u32_e32 vcc_lo, 0x7f800000, v4
                                        ; implicit-def: $vgpr4
	s_and_saveexec_b32 s3, vcc_lo
	s_xor_b32 s3, exec_lo, s3
; %bb.91:
	v_bfe_u32 v4, v68, 16, 1
	s_delay_alu instid0(VALU_DEP_1)
	v_add3_u32 v4, v68, v4, 0x7fff
; %bb.92:
	s_and_not1_saveexec_b32 s3, s3
; %bb.93:
	v_and_b32_e32 v4, 0xffff, v68
	v_or_b32_e32 v5, 0x10000, v68
	s_delay_alu instid0(VALU_DEP_2) | instskip(NEXT) | instid1(VALU_DEP_2)
	v_cmp_eq_u32_e32 vcc_lo, 0, v4
	v_cndmask_b32_e32 v4, v5, v68, vcc_lo
; %bb.94:
	s_or_b32 exec_lo, exec_lo, s3
	v_and_b32_e32 v5, 0x7f800000, v69
	s_delay_alu instid0(VALU_DEP_1) | instskip(SKIP_1) | instid1(SALU_CYCLE_1)
	v_cmp_ne_u32_e32 vcc_lo, 0x7f800000, v5
                                        ; implicit-def: $vgpr5
	s_and_saveexec_b32 s3, vcc_lo
	s_xor_b32 s3, exec_lo, s3
; %bb.95:
	v_bfe_u32 v5, v69, 16, 1
	s_delay_alu instid0(VALU_DEP_1)
	v_add3_u32 v5, v69, v5, 0x7fff
; %bb.96:
	s_and_not1_saveexec_b32 s3, s3
; %bb.97:
	v_and_b32_e32 v5, 0xffff, v69
	v_or_b32_e32 v6, 0x10000, v69
	s_delay_alu instid0(VALU_DEP_2) | instskip(NEXT) | instid1(VALU_DEP_2)
	v_cmp_eq_u32_e32 vcc_lo, 0, v5
	v_cndmask_b32_e32 v5, v6, v69, vcc_lo
; %bb.98:
	s_or_b32 exec_lo, exec_lo, s3
	v_and_b32_e32 v6, 0x7f800000, v70
	s_delay_alu instid0(VALU_DEP_1) | instskip(SKIP_1) | instid1(SALU_CYCLE_1)
	v_cmp_ne_u32_e32 vcc_lo, 0x7f800000, v6
                                        ; implicit-def: $vgpr6
	s_and_saveexec_b32 s3, vcc_lo
	s_xor_b32 s3, exec_lo, s3
; %bb.99:
	v_bfe_u32 v6, v70, 16, 1
	s_delay_alu instid0(VALU_DEP_1)
	v_add3_u32 v6, v70, v6, 0x7fff
; %bb.100:
	s_and_not1_saveexec_b32 s3, s3
; %bb.101:
	v_and_b32_e32 v6, 0xffff, v70
	v_or_b32_e32 v7, 0x10000, v70
	s_delay_alu instid0(VALU_DEP_2) | instskip(NEXT) | instid1(VALU_DEP_2)
	v_cmp_eq_u32_e32 vcc_lo, 0, v6
	v_cndmask_b32_e32 v6, v7, v70, vcc_lo
; %bb.102:
	s_or_b32 exec_lo, exec_lo, s3
	v_and_b32_e32 v7, 0x7f800000, v71
	s_delay_alu instid0(VALU_DEP_1) | instskip(SKIP_1) | instid1(SALU_CYCLE_1)
	v_cmp_ne_u32_e32 vcc_lo, 0x7f800000, v7
                                        ; implicit-def: $vgpr7
	s_and_saveexec_b32 s3, vcc_lo
	s_xor_b32 s3, exec_lo, s3
; %bb.103:
	v_bfe_u32 v7, v71, 16, 1
	s_delay_alu instid0(VALU_DEP_1)
	v_add3_u32 v7, v71, v7, 0x7fff
; %bb.104:
	s_and_not1_saveexec_b32 s3, s3
; %bb.105:
	v_and_b32_e32 v7, 0xffff, v71
	v_or_b32_e32 v8, 0x10000, v71
	s_delay_alu instid0(VALU_DEP_2) | instskip(NEXT) | instid1(VALU_DEP_2)
	v_cmp_eq_u32_e32 vcc_lo, 0, v7
	v_cndmask_b32_e32 v7, v8, v71, vcc_lo
; %bb.106:
	s_or_b32 exec_lo, exec_lo, s3
	v_and_b32_e32 v8, 0x7f800000, v72
	s_delay_alu instid0(VALU_DEP_1) | instskip(SKIP_1) | instid1(SALU_CYCLE_1)
	v_cmp_ne_u32_e32 vcc_lo, 0x7f800000, v8
                                        ; implicit-def: $vgpr8
	s_and_saveexec_b32 s3, vcc_lo
	s_xor_b32 s3, exec_lo, s3
; %bb.107:
	v_bfe_u32 v8, v72, 16, 1
	s_delay_alu instid0(VALU_DEP_1)
	v_add3_u32 v8, v72, v8, 0x7fff
                                        ; implicit-def: $vgpr65_vgpr66_vgpr67_vgpr68_vgpr69_vgpr70_vgpr71_vgpr72
; %bb.108:
	s_and_not1_saveexec_b32 s3, s3
; %bb.109:
	v_and_b32_e32 v8, 0xffff, v72
	v_or_b32_e32 v9, 0x10000, v72
	s_delay_alu instid0(VALU_DEP_2) | instskip(NEXT) | instid1(VALU_DEP_2)
	v_cmp_eq_u32_e32 vcc_lo, 0, v8
	v_cndmask_b32_e32 v8, v9, v72, vcc_lo
; %bb.110:
	s_or_b32 exec_lo, exec_lo, s3
	s_delay_alu instid0(VALU_DEP_1)
	v_perm_b32 v7, v8, v7, 0x7060302
	v_perm_b32 v6, v6, v5, 0x7060302
	v_perm_b32 v5, v4, v3, 0x7060302
	v_perm_b32 v4, v2, v1, 0x7060302
	s_barrier
	buffer_gl0_inv
	v_cmp_eq_u32_e32 vcc_lo, 1, v78
	ds_store_b128 v76, v[4:7]
	s_waitcnt lgkmcnt(0)
	s_barrier
	buffer_gl0_inv
	ds_load_b128 v[1:4], v82
	ds_load_b128 v[5:8], v82 offset:16
	v_cmp_eq_u32_e64 s3, 1, v79
	v_cmp_eq_u32_e64 s4, 2, v78
	;; [unrolled: 1-line block ×5, first 2 shown]
	s_waitcnt lgkmcnt(1)
	v_lshrrev_b32_e32 v9, 16, v1
	s_waitcnt lgkmcnt(0)
	v_lshrrev_b32_e32 v13, 16, v5
	v_lshrrev_b32_e32 v10, 16, v2
	v_lshrrev_b32_e32 v14, 16, v6
	v_lshrrev_b32_e32 v11, 16, v3
	v_cndmask_b32_e64 v19, v1, v9, s3
	v_cndmask_b32_e32 v18, v5, v13, vcc_lo
	v_cndmask_b32_e64 v20, v5, v13, s3
	v_cndmask_b32_e32 v17, v1, v9, vcc_lo
	v_cmp_eq_u32_e32 vcc_lo, 2, v79
	v_lshrrev_b32_e32 v15, 16, v7
	v_cmp_eq_u32_e64 s3, 1, v77
	v_lshrrev_b32_e32 v12, 16, v4
	v_lshrrev_b32_e32 v16, 16, v8
	v_cndmask_b32_e32 v20, v20, v6, vcc_lo
	v_cndmask_b32_e64 v17, v17, v2, s4
	v_cndmask_b32_e32 v19, v19, v2, vcc_lo
	v_cndmask_b32_e64 v18, v18, v6, s4
	v_cmp_eq_u32_e32 vcc_lo, 4, v78
	v_cmp_eq_u32_e64 s4, 3, v79
	v_cndmask_b32_e64 v17, v17, v10, s5
	v_cndmask_b32_e64 v21, v1, v9, s3
	;; [unrolled: 1-line block ×5, first 2 shown]
	v_cndmask_b32_e32 v17, v17, v3, vcc_lo
	v_cndmask_b32_e64 v20, v20, v14, s4
	v_cndmask_b32_e32 v18, v18, v7, vcc_lo
	v_cmp_eq_u32_e32 vcc_lo, 4, v79
	v_cmp_eq_u32_e64 s4, 5, v79
	v_cmp_eq_u32_e64 s3, 2, v81
	v_cndmask_b32_e64 v21, v21, v2, s7
	v_cmp_eq_u32_e64 s5, 5, v78
	v_cndmask_b32_e32 v19, v19, v3, vcc_lo
	v_cndmask_b32_e32 v20, v20, v7, vcc_lo
	v_cmp_eq_u32_e32 vcc_lo, 6, v79
	s_delay_alu instid0(VALU_DEP_4) | instskip(NEXT) | instid1(VALU_DEP_4)
	v_cndmask_b32_e64 v17, v17, v11, s5
	v_cndmask_b32_e64 v19, v19, v11, s4
	s_delay_alu instid0(VALU_DEP_4) | instskip(SKIP_1) | instid1(VALU_DEP_3)
	v_cndmask_b32_e64 v20, v20, v15, s4
	v_cmp_eq_u32_e64 s4, 1, v81
	v_cndmask_b32_e32 v19, v19, v4, vcc_lo
	v_cndmask_b32_e64 v18, v18, v15, s5
	s_delay_alu instid0(VALU_DEP_3)
	v_cndmask_b32_e64 v1, v1, v9, s4
	v_cndmask_b32_e64 v5, v5, v13, s4
	v_cmp_eq_u32_e64 s4, 3, v77
	v_cndmask_b32_e64 v13, v22, v6, s7
	v_cmp_eq_u32_e64 s7, 3, v81
	v_cndmask_b32_e64 v1, v1, v2, s3
	v_cndmask_b32_e64 v2, v5, v6, s3
	v_cndmask_b32_e64 v9, v21, v10, s4
	v_cmp_eq_u32_e64 s3, 4, v77
	v_cndmask_b32_e64 v6, v13, v14, s4
	v_cndmask_b32_e64 v1, v1, v10, s7
	v_cmp_eq_u32_e64 s4, 4, v81
	v_cndmask_b32_e64 v2, v2, v14, s7
	v_cndmask_b32_e64 v5, v9, v3, s3
	;; [unrolled: 3-line block ×3, first 2 shown]
	v_cndmask_b32_e64 v2, v2, v7, s4
	v_cmp_eq_u32_e64 s3, 5, v81
	v_cmp_eq_u32_e64 s5, 6, v78
	v_cndmask_b32_e64 v5, v5, v11, s7
	v_cmp_eq_u32_e64 s4, 6, v77
	v_cndmask_b32_e64 v3, v6, v15, s7
	v_cndmask_b32_e64 v1, v1, v11, s3
	v_cmp_eq_u32_e64 s7, 6, v81
	v_cndmask_b32_e64 v2, v2, v15, s3
	v_cndmask_b32_e64 v17, v17, v4, s5
	v_cndmask_b32_e64 v18, v18, v8, s5
	v_cmp_eq_u32_e64 s5, 7, v78
	v_cndmask_b32_e64 v5, v5, v4, s4
	;; [unrolled: 4-line block ×3, first 2 shown]
	v_cmp_eq_u32_e64 s4, 7, v77
	v_cndmask_b32_e32 v4, v20, v8, vcc_lo
	v_cndmask_b32_e64 v17, v17, v12, s5
	v_cndmask_b32_e64 v19, v19, v12, s6
	;; [unrolled: 1-line block ×8, first 2 shown]
	s_mov_b32 s3, exec_lo
	v_perm_b32 v4, v2, v1, 0x5040100
	v_perm_b32 v3, v3, v5, 0x5040100
	v_perm_b32 v2, v6, v19, 0x5040100
	v_perm_b32 v1, v7, v17, 0x5040100
	ds_store_b128 v76, v[1:4]
	s_waitcnt lgkmcnt(0)
	s_barrier
	buffer_gl0_inv
	v_cmpx_gt_u32_e32 32, v0
	s_cbranch_execz .LBB1904_2
; %bb.111:
	s_load_b64 s[4:5], s[0:1], 0x68
	v_lshlrev_b32_e32 v0, 10, v0
	v_lshlrev_b32_e32 v2, 4, v75
	v_add_nc_u32_e32 v1, s31, v74
	s_lshl_b32 s0, s34, 7
	s_delay_alu instid0(SALU_CYCLE_1) | instskip(NEXT) | instid1(VALU_DEP_2)
	s_mul_i32 s1, s0, s30
	v_and_or_b32 v0, 0x3800, v0, v2
	s_mul_i32 s6, s1, s8
	v_mul_lo_u32 v1, v1, s0
	s_ashr_i32 s7, s6, 31
	s_delay_alu instid0(VALU_DEP_2) | instskip(SKIP_1) | instid1(VALU_DEP_2)
	v_lshl_or_b32 v3, v74, 6, v0
	s_lshl_b64 s[6:7], s[6:7], 1
	v_ashrrev_i32_e32 v2, 31, v1
	ds_load_b128 v[3:6], v3
	s_waitcnt lgkmcnt(0)
	s_add_u32 s1, s4, s6
	s_addc_u32 s3, s5, s7
	s_lshl_b32 s4, s14, 7
	v_lshlrev_b64 v[7:8], 1, v[1:2]
	s_ashr_i32 s5, s4, 31
	s_delay_alu instid0(SALU_CYCLE_1) | instskip(NEXT) | instid1(SALU_CYCLE_1)
	s_lshl_b64 s[4:5], s[4:5], 1
	s_add_u32 s1, s1, s4
	s_addc_u32 s3, s3, s5
	v_add_co_u32 v1, s1, s1, v73
	s_delay_alu instid0(VALU_DEP_1) | instskip(NEXT) | instid1(VALU_DEP_2)
	v_add_co_ci_u32_e64 v2, null, s3, 0, s1
	v_add_co_u32 v7, vcc_lo, v1, v7
	s_delay_alu instid0(VALU_DEP_2)
	v_add_co_ci_u32_e32 v8, vcc_lo, v2, v8, vcc_lo
	global_store_b128 v[7:8], v[3:6], off
	s_and_b32 exec_lo, exec_lo, s2
	s_cbranch_execz .LBB1904_2
; %bb.112:
	ds_load_b128 v[3:6], v0 offset:128
	s_add_i32 s1, s31, 2
	s_delay_alu instid0(SALU_CYCLE_1) | instskip(NEXT) | instid1(SALU_CYCLE_1)
	s_mul_i32 s0, s1, s0
	s_ashr_i32 s1, s0, 31
	s_delay_alu instid0(SALU_CYCLE_1) | instskip(NEXT) | instid1(SALU_CYCLE_1)
	s_lshl_b64 s[0:1], s[0:1], 1
	v_add_co_u32 v0, vcc_lo, v1, s0
	v_add_co_ci_u32_e32 v1, vcc_lo, s1, v2, vcc_lo
	s_waitcnt lgkmcnt(0)
	global_store_b128 v[0:1], v[3:6], off
	s_nop 0
	s_sendmsg sendmsg(MSG_DEALLOC_VGPRS)
	s_endpgm
	.section	.rodata,"a",@progbits
	.p2align	6, 0x0
	.amdhsa_kernel _Z39paged_attention_ll4mi_QKV_mfma16_kernelI14__hip_bfloat16hLN4vllm18Fp8KVCacheDataTypeE1ES0_Li32ELi128ELi256ELb1ELi3EL8MFMAType0EEvPKT_PKT0_S9_ifPKiSB_SB_iPKfiiiPfSE_PS4_PT2_iSD_SD_
		.amdhsa_group_segment_fixed_size 17472
		.amdhsa_private_segment_fixed_size 0
		.amdhsa_kernarg_size 400
		.amdhsa_user_sgpr_count 13
		.amdhsa_user_sgpr_dispatch_ptr 0
		.amdhsa_user_sgpr_queue_ptr 0
		.amdhsa_user_sgpr_kernarg_segment_ptr 1
		.amdhsa_user_sgpr_dispatch_id 0
		.amdhsa_user_sgpr_private_segment_size 0
		.amdhsa_wavefront_size32 1
		.amdhsa_uses_dynamic_stack 0
		.amdhsa_enable_private_segment 0
		.amdhsa_system_sgpr_workgroup_id_x 1
		.amdhsa_system_sgpr_workgroup_id_y 1
		.amdhsa_system_sgpr_workgroup_id_z 1
		.amdhsa_system_sgpr_workgroup_info 0
		.amdhsa_system_vgpr_workitem_id 0
		.amdhsa_next_free_vgpr 140
		.amdhsa_next_free_sgpr 36
		.amdhsa_reserve_vcc 1
		.amdhsa_float_round_mode_32 0
		.amdhsa_float_round_mode_16_64 0
		.amdhsa_float_denorm_mode_32 3
		.amdhsa_float_denorm_mode_16_64 3
		.amdhsa_dx10_clamp 1
		.amdhsa_ieee_mode 1
		.amdhsa_fp16_overflow 0
		.amdhsa_workgroup_processor_mode 1
		.amdhsa_memory_ordered 1
		.amdhsa_forward_progress 0
		.amdhsa_shared_vgpr_count 0
		.amdhsa_exception_fp_ieee_invalid_op 0
		.amdhsa_exception_fp_denorm_src 0
		.amdhsa_exception_fp_ieee_div_zero 0
		.amdhsa_exception_fp_ieee_overflow 0
		.amdhsa_exception_fp_ieee_underflow 0
		.amdhsa_exception_fp_ieee_inexact 0
		.amdhsa_exception_int_div_zero 0
	.end_amdhsa_kernel
	.section	.text._Z39paged_attention_ll4mi_QKV_mfma16_kernelI14__hip_bfloat16hLN4vllm18Fp8KVCacheDataTypeE1ES0_Li32ELi128ELi256ELb1ELi3EL8MFMAType0EEvPKT_PKT0_S9_ifPKiSB_SB_iPKfiiiPfSE_PS4_PT2_iSD_SD_,"axG",@progbits,_Z39paged_attention_ll4mi_QKV_mfma16_kernelI14__hip_bfloat16hLN4vllm18Fp8KVCacheDataTypeE1ES0_Li32ELi128ELi256ELb1ELi3EL8MFMAType0EEvPKT_PKT0_S9_ifPKiSB_SB_iPKfiiiPfSE_PS4_PT2_iSD_SD_,comdat
.Lfunc_end1904:
	.size	_Z39paged_attention_ll4mi_QKV_mfma16_kernelI14__hip_bfloat16hLN4vllm18Fp8KVCacheDataTypeE1ES0_Li32ELi128ELi256ELb1ELi3EL8MFMAType0EEvPKT_PKT0_S9_ifPKiSB_SB_iPKfiiiPfSE_PS4_PT2_iSD_SD_, .Lfunc_end1904-_Z39paged_attention_ll4mi_QKV_mfma16_kernelI14__hip_bfloat16hLN4vllm18Fp8KVCacheDataTypeE1ES0_Li32ELi128ELi256ELb1ELi3EL8MFMAType0EEvPKT_PKT0_S9_ifPKiSB_SB_iPKfiiiPfSE_PS4_PT2_iSD_SD_
                                        ; -- End function
	.section	.AMDGPU.csdata,"",@progbits
; Kernel info:
; codeLenInByte = 8860
; NumSgprs: 38
; NumVgprs: 140
; ScratchSize: 0
; MemoryBound: 0
; FloatMode: 240
; IeeeMode: 1
; LDSByteSize: 17472 bytes/workgroup (compile time only)
; SGPRBlocks: 4
; VGPRBlocks: 17
; NumSGPRsForWavesPerEU: 38
; NumVGPRsForWavesPerEU: 140
; Occupancy: 10
; WaveLimiterHint : 1
; COMPUTE_PGM_RSRC2:SCRATCH_EN: 0
; COMPUTE_PGM_RSRC2:USER_SGPR: 13
; COMPUTE_PGM_RSRC2:TRAP_HANDLER: 0
; COMPUTE_PGM_RSRC2:TGID_X_EN: 1
; COMPUTE_PGM_RSRC2:TGID_Y_EN: 1
; COMPUTE_PGM_RSRC2:TGID_Z_EN: 1
; COMPUTE_PGM_RSRC2:TIDIG_COMP_CNT: 0
	.section	.text._Z39paged_attention_ll4mi_QKV_mfma16_kernelI14__hip_bfloat16hLN4vllm18Fp8KVCacheDataTypeE1ES0_Li32ELi128ELi256ELb1ELi4EL8MFMAType0EEvPKT_PKT0_S9_ifPKiSB_SB_iPKfiiiPfSE_PS4_PT2_iSD_SD_,"axG",@progbits,_Z39paged_attention_ll4mi_QKV_mfma16_kernelI14__hip_bfloat16hLN4vllm18Fp8KVCacheDataTypeE1ES0_Li32ELi128ELi256ELb1ELi4EL8MFMAType0EEvPKT_PKT0_S9_ifPKiSB_SB_iPKfiiiPfSE_PS4_PT2_iSD_SD_,comdat
	.protected	_Z39paged_attention_ll4mi_QKV_mfma16_kernelI14__hip_bfloat16hLN4vllm18Fp8KVCacheDataTypeE1ES0_Li32ELi128ELi256ELb1ELi4EL8MFMAType0EEvPKT_PKT0_S9_ifPKiSB_SB_iPKfiiiPfSE_PS4_PT2_iSD_SD_ ; -- Begin function _Z39paged_attention_ll4mi_QKV_mfma16_kernelI14__hip_bfloat16hLN4vllm18Fp8KVCacheDataTypeE1ES0_Li32ELi128ELi256ELb1ELi4EL8MFMAType0EEvPKT_PKT0_S9_ifPKiSB_SB_iPKfiiiPfSE_PS4_PT2_iSD_SD_
	.globl	_Z39paged_attention_ll4mi_QKV_mfma16_kernelI14__hip_bfloat16hLN4vllm18Fp8KVCacheDataTypeE1ES0_Li32ELi128ELi256ELb1ELi4EL8MFMAType0EEvPKT_PKT0_S9_ifPKiSB_SB_iPKfiiiPfSE_PS4_PT2_iSD_SD_
	.p2align	8
	.type	_Z39paged_attention_ll4mi_QKV_mfma16_kernelI14__hip_bfloat16hLN4vllm18Fp8KVCacheDataTypeE1ES0_Li32ELi128ELi256ELb1ELi4EL8MFMAType0EEvPKT_PKT0_S9_ifPKiSB_SB_iPKfiiiPfSE_PS4_PT2_iSD_SD_,@function
_Z39paged_attention_ll4mi_QKV_mfma16_kernelI14__hip_bfloat16hLN4vllm18Fp8KVCacheDataTypeE1ES0_Li32ELi128ELi256ELb1ELi4EL8MFMAType0EEvPKT_PKT0_S9_ifPKiSB_SB_iPKfiiiPfSE_PS4_PT2_iSD_SD_: ; @_Z39paged_attention_ll4mi_QKV_mfma16_kernelI14__hip_bfloat16hLN4vllm18Fp8KVCacheDataTypeE1ES0_Li32ELi128ELi256ELb1ELi4EL8MFMAType0EEvPKT_PKT0_S9_ifPKiSB_SB_iPKfiiiPfSE_PS4_PT2_iSD_SD_
; %bb.0:
	s_load_b64 s[4:5], s[0:1], 0x30
	s_mov_b32 s30, s13
	s_waitcnt lgkmcnt(0)
	s_cmp_lg_u64 s[4:5], 0
	s_cselect_b32 s13, -1, 0
	s_ashr_i32 s31, s30, 31
	s_cmp_eq_u64 s[4:5], 0
	s_cbranch_scc1 .LBB1905_3
; %bb.1:
	s_lshl_b64 s[2:3], s[30:31], 2
	s_delay_alu instid0(SALU_CYCLE_1) | instskip(SKIP_4) | instid1(SALU_CYCLE_1)
	s_add_u32 s2, s4, s2
	s_addc_u32 s3, s5, s3
	s_load_b64 s[2:3], s[2:3], 0x0
	s_waitcnt lgkmcnt(0)
	s_sub_i32 s2, s3, s2
	s_cmp_eq_u32 s2, 1
	s_cselect_b32 s2, -1, 0
	s_delay_alu instid0(SALU_CYCLE_1)
	s_and_not1_b32 vcc_lo, exec_lo, s2
	s_cbranch_vccz .LBB1905_4
.LBB1905_2:
	s_endpgm
.LBB1905_3:
.LBB1905_4:
	s_load_b64 s[2:3], s[0:1], 0x28
	s_lshl_b64 s[6:7], s[30:31], 2
	s_waitcnt lgkmcnt(0)
	s_add_u32 s2, s2, s6
	s_addc_u32 s3, s3, s7
	s_lshl_b32 s12, s14, 8
	s_load_b32 s17, s[2:3], 0x0
	s_waitcnt lgkmcnt(0)
	s_cmp_ge_i32 s12, s17
	s_cbranch_scc1 .LBB1905_2
; %bb.5:
	s_clause 0x1
	s_load_b128 s[8:11], s[0:1], 0x8
	s_load_b64 s[2:3], s[0:1], 0x20
	s_and_not1_b32 vcc_lo, exec_lo, s13
	s_cbranch_vccnz .LBB1905_7
; %bb.6:
	s_add_u32 s4, s4, s6
	s_addc_u32 s5, s5, s7
	s_load_b32 s13, s[4:5], 0x0
	s_branch .LBB1905_8
.LBB1905_7:
	s_mov_b32 s13, s30
.LBB1905_8:
	s_load_b128 s[4:7], s[0:1], 0x48
	v_and_b32_e32 v66, 15, v0
	v_lshrrev_b32_e32 v65, 5, v0
	v_and_b32_e32 v67, 31, v0
	v_and_b32_e32 v75, 1, v0
	v_bfe_u32 v74, v0, 4, 1
	v_lshlrev_b32_e32 v1, 3, v66
	s_lshl_b32 s29, s15, 2
	s_waitcnt lgkmcnt(0)
	s_mov_b32 s7, exec_lo
	s_delay_alu instid0(VALU_DEP_1)
	v_lshlrev_b32_e32 v73, 1, v1
	v_cmpx_gt_u32_e32 64, v0
	s_cbranch_execz .LBB1905_10
; %bb.9:
	v_lshl_or_b32 v5, v65, 1, v74
	s_load_b64 s[18:19], s[0:1], 0x0
	s_mul_hi_i32 s21, s13, s4
	s_mul_i32 s20, s13, s4
	v_lshlrev_b32_e32 v6, 10, v66
	v_or_b32_e32 v1, s29, v5
	s_lshl_b64 s[20:21], s[20:21], 1
	v_lshlrev_b32_e32 v5, 6, v5
	v_lshlrev_b32_e32 v7, 10, v75
	v_and_b32_e32 v6, 0x3800, v6
	v_lshlrev_b32_e32 v1, 7, v1
	s_delay_alu instid0(VALU_DEP_2) | instskip(NEXT) | instid1(VALU_DEP_2)
	v_or3_b32 v5, v6, v7, v5
	v_ashrrev_i32_e32 v2, 31, v1
	s_delay_alu instid0(VALU_DEP_1) | instskip(SKIP_3) | instid1(VALU_DEP_1)
	v_lshlrev_b64 v[1:2], 1, v[1:2]
	s_waitcnt lgkmcnt(0)
	s_add_u32 s4, s18, s20
	s_addc_u32 s13, s19, s21
	v_add_co_u32 v1, vcc_lo, s4, v1
	s_delay_alu instid0(VALU_DEP_2) | instskip(NEXT) | instid1(VALU_DEP_2)
	v_add_co_ci_u32_e32 v2, vcc_lo, s13, v2, vcc_lo
	v_add_co_u32 v1, vcc_lo, v1, v73
	s_delay_alu instid0(VALU_DEP_2)
	v_add_co_ci_u32_e32 v2, vcc_lo, 0, v2, vcc_lo
	global_load_b128 v[1:4], v[1:2], off
	s_waitcnt vmcnt(0)
	ds_store_b128 v5, v[1:4]
.LBB1905_10:
	s_or_b32 exec_lo, exec_lo, s7
	v_and_b32_e32 v1, 0xef, v0
	s_add_i32 s4, s17, 31
	s_clause 0x1
	s_load_b32 s7, s[0:1], 0x38
	s_load_b32 s18, s[0:1], 0x1c
	s_ashr_i32 s13, s4, 31
	v_add_nc_u32_e32 v1, s12, v1
	s_lshr_b32 s13, s13, 27
	s_waitcnt lgkmcnt(0)
	s_add_i32 s4, s4, s13
	s_barrier
	v_ashrrev_i32_e32 v2, 31, v1
	v_or_b32_e32 v3, 16, v1
	s_ashr_i32 s4, s4, 5
	v_cmp_gt_i32_e32 vcc_lo, s17, v1
	s_add_i32 s4, s4, -1
	v_lshrrev_b32_e32 v2, 27, v2
	buffer_gl0_inv
	s_mul_i32 s15, s15, s6
	v_add_nc_u32_e32 v4, v1, v2
	s_mul_i32 s20, s30, s7
	s_delay_alu instid0(SALU_CYCLE_1) | instskip(NEXT) | instid1(VALU_DEP_1)
	s_ashr_i32 s21, s20, 31
	v_ashrrev_i32_e32 v4, 5, v4
	v_add_nc_u32_e32 v2, v3, v2
	s_lshl_b64 s[20:21], s[20:21], 2
	s_delay_alu instid0(SALU_CYCLE_1) | instskip(NEXT) | instid1(VALU_DEP_2)
	s_add_u32 s13, s2, s20
	v_cndmask_b32_e32 v1, s4, v4, vcc_lo
	s_delay_alu instid0(VALU_DEP_2)
	v_ashrrev_i32_e32 v2, 5, v2
	v_cmp_gt_i32_e32 vcc_lo, s17, v3
	s_addc_u32 s16, s3, s21
	s_ashr_i32 s19, s15, 31
	s_add_u32 s2, s8, s15
	s_addc_u32 s3, s9, s19
	v_cndmask_b32_e32 v3, s4, v2, vcc_lo
	v_ashrrev_i32_e32 v2, 31, v1
	s_lshl_b32 s6, s14, 3
	s_delay_alu instid0(SALU_CYCLE_1) | instskip(NEXT) | instid1(VALU_DEP_2)
	s_ashr_i32 s7, s6, 31
	v_ashrrev_i32_e32 v4, 31, v3
	s_delay_alu instid0(VALU_DEP_2) | instskip(SKIP_1) | instid1(SALU_CYCLE_1)
	v_lshlrev_b64 v[1:2], 2, v[1:2]
	s_lshl_b64 s[6:7], s[6:7], 2
	s_add_u32 s6, s13, s6
	s_delay_alu instid0(VALU_DEP_2) | instskip(SKIP_1) | instid1(VALU_DEP_2)
	v_lshlrev_b64 v[3:4], 2, v[3:4]
	s_addc_u32 s7, s16, s7
	v_add_co_u32 v1, vcc_lo, s13, v1
	v_add_co_ci_u32_e32 v2, vcc_lo, s16, v2, vcc_lo
	s_delay_alu instid0(VALU_DEP_3) | instskip(NEXT) | instid1(VALU_DEP_4)
	v_add_co_u32 v3, vcc_lo, s13, v3
	v_add_co_ci_u32_e32 v4, vcc_lo, s16, v4, vcc_lo
	s_clause 0x1
	global_load_b32 v5, v[1:2], off
	global_load_b32 v6, v[3:4], off
	s_or_b32 s8, s12, 32
	s_delay_alu instid0(SALU_CYCLE_1) | instskip(SKIP_2) | instid1(SALU_CYCLE_1)
	s_ashr_i32 s9, s8, 5
	s_cmp_lt_i32 s8, s17
	s_cselect_b32 s8, s9, s4
	s_ashr_i32 s9, s8, 31
	s_delay_alu instid0(SALU_CYCLE_1) | instskip(NEXT) | instid1(SALU_CYCLE_1)
	s_lshl_b64 s[8:9], s[8:9], 2
	s_add_u32 s8, s13, s8
	s_addc_u32 s9, s16, s9
	s_or_b32 s20, s12, 64
	s_delay_alu instid0(SALU_CYCLE_1) | instskip(SKIP_2) | instid1(SALU_CYCLE_1)
	s_ashr_i32 s21, s20, 5
	s_cmp_lt_i32 s20, s17
	s_cselect_b32 s20, s21, s4
	s_ashr_i32 s21, s20, 31
	s_delay_alu instid0(SALU_CYCLE_1) | instskip(NEXT) | instid1(SALU_CYCLE_1)
	s_lshl_b64 s[20:21], s[20:21], 2
	s_add_u32 s20, s13, s20
	s_addc_u32 s21, s16, s21
	;; [unrolled: 10-line block ×5, first 2 shown]
	s_clause 0x5
	s_load_b32 s28, s[6:7], 0x0
	s_load_b32 s8, s[8:9], 0x0
	;; [unrolled: 1-line block ×6, first 2 shown]
	s_mov_b32 s20, 0
	s_delay_alu instid0(SALU_CYCLE_1)
	s_mov_b32 s21, s20
	s_mov_b32 s22, s20
	;; [unrolled: 1-line block ×7, first 2 shown]
	s_delay_alu instid0(SALU_CYCLE_1)
	v_dual_mov_b32 v107, s27 :: v_dual_mov_b32 v106, s26
	v_dual_mov_b32 v104, s24 :: v_dual_mov_b32 v103, s23
	;; [unrolled: 1-line block ×4, first 2 shown]
	s_waitcnt vmcnt(1)
	v_mad_i64_i32 v[1:2], null, v5, s5, s[2:3]
	v_lshlrev_b32_e32 v5, 4, v66
	s_waitcnt vmcnt(0)
	v_mad_i64_i32 v[3:4], null, v6, s5, s[2:3]
	s_or_b32 s2, s12, 0xc0
	s_delay_alu instid0(SALU_CYCLE_1) | instskip(NEXT) | instid1(VALU_DEP_3)
	s_ashr_i32 s3, s2, 5
	v_add_co_u32 v33, vcc_lo, v1, v5
	s_delay_alu instid0(VALU_DEP_4) | instskip(NEXT) | instid1(VALU_DEP_3)
	v_add_co_ci_u32_e32 v34, vcc_lo, 0, v2, vcc_lo
	v_add_co_u32 v35, vcc_lo, v3, v5
	s_delay_alu instid0(VALU_DEP_4)
	v_add_co_ci_u32_e32 v36, vcc_lo, 0, v4, vcc_lo
	s_clause 0xf
	global_load_b128 v[1:4], v[33:34], off
	global_load_b128 v[5:8], v[33:34], off offset:512
	global_load_b128 v[9:12], v[35:36], off offset:256
	;; [unrolled: 1-line block ×15, first 2 shown]
	s_cmp_lt_i32 s2, s17
	v_and_b32_e32 v33, 3, v0
	s_cselect_b32 s2, s3, s4
	v_lshlrev_b32_e32 v34, 5, v66
	s_ashr_i32 s3, s2, 31
	s_delay_alu instid0(SALU_CYCLE_1)
	s_lshl_b64 s[2:3], s[2:3], 2
	v_lshlrev_b32_e32 v72, 6, v33
	s_add_u32 s2, s13, s2
	s_addc_u32 s3, s16, s3
	s_or_b32 s6, s12, 0xe0
	v_lshl_or_b32 v41, v65, 9, v34
	s_ashr_i32 s7, s6, 5
	s_cmp_lt_i32 s6, s17
	ds_load_b128 v[33:36], v72
	ds_load_b128 v[37:40], v72 offset:1024
	s_cselect_b32 s6, s7, s4
	ds_load_b128 v[108:111], v72 offset:2048
	ds_load_b128 v[112:115], v72 offset:3072
	s_ashr_i32 s7, s6, 31
	s_load_b32 s4, s[2:3], 0x0
	s_lshl_b64 s[6:7], s[6:7], 2
	ds_load_b128 v[116:119], v72 offset:4096
	ds_load_b128 v[120:123], v72 offset:5120
	s_add_u32 s2, s13, s6
	s_addc_u32 s3, s16, s7
	s_add_u32 s6, s10, s15
	s_load_b32 s2, s[2:3], 0x0
	s_addc_u32 s7, s11, s19
	v_add_co_u32 v68, s6, s6, v41
	s_delay_alu instid0(VALU_DEP_1) | instskip(SKIP_1) | instid1(VALU_DEP_1)
	v_add_co_ci_u32_e64 v69, null, s7, 0, s6
	s_waitcnt lgkmcnt(0)
	v_mad_i64_i32 v[41:42], null, s28, s5, v[68:69]
	v_mad_i64_i32 v[70:71], null, s9, s5, v[68:69]
	;; [unrolled: 1-line block ×7, first 2 shown]
	s_clause 0x3
	global_load_b128 v[49:52], v[41:42], off
	global_load_b128 v[53:56], v[41:42], off offset:16
	global_load_b128 v[41:44], v[45:46], off
	global_load_b128 v[45:48], v[45:46], off offset:16
	s_waitcnt vmcnt(18)
	v_wmma_f32_16x16x16_bf16 v[124:131], v[1:8], v[33:40], v[100:107]
	s_waitcnt vmcnt(16)
	v_wmma_f32_16x16x16_bf16 v[100:107], v[9:16], v[33:40], v[100:107]
	s_clause 0x1
	global_load_b128 v[33:36], v[70:71], off
	global_load_b128 v[37:40], v[70:71], off offset:16
	v_mad_i64_i32 v[70:71], null, s2, s5, v[68:69]
	s_waitcnt vmcnt(16)
	v_wmma_f32_16x16x16_bf16 v[124:131], v[17:24], v[108:115], v[124:131]
	s_waitcnt vmcnt(14)
	v_wmma_f32_16x16x16_bf16 v[100:107], v[25:32], v[108:115], v[100:107]
	s_clause 0x7
	global_load_b128 v[25:28], v[132:133], off
	global_load_b128 v[29:32], v[132:133], off offset:16
	global_load_b128 v[1:4], v[134:135], off
	global_load_b128 v[5:8], v[134:135], off offset:16
	;; [unrolled: 2-line block ×4, first 2 shown]
	s_waitcnt vmcnt(20)
	v_wmma_f32_16x16x16_bf16 v[124:131], v[57:64], v[116:123], v[124:131]
	s_clause 0x1
	global_load_b128 v[57:60], v[70:71], off
	global_load_b128 v[61:64], v[70:71], off offset:16
	s_waitcnt vmcnt(20)
	v_wmma_f32_16x16x16_bf16 v[100:107], v[76:83], v[116:123], v[100:107]
	ds_load_b128 v[76:79], v72 offset:6144
	ds_load_b128 v[80:83], v72 offset:7168
	v_and_b32_e32 v68, 0xe0, v0
	v_mbcnt_lo_u32_b32 v69, -1, 0
	s_waitcnt vmcnt(0) lgkmcnt(0)
	s_barrier
	buffer_gl0_inv
	v_add_nc_u32_e32 v68, s12, v68
	v_xor_b32_e32 v70, 16, v69
	s_delay_alu instid0(VALU_DEP_2) | instskip(NEXT) | instid1(VALU_DEP_2)
	v_or_b32_e32 v68, v68, v74
	v_cmp_gt_i32_e32 vcc_lo, 32, v70
	s_delay_alu instid0(VALU_DEP_2)
	v_or_b32_e32 v71, 4, v68
	v_or_b32_e32 v72, 6, v68
	v_cmp_gt_i32_e64 s2, s17, v68
	v_or_b32_e32 v108, 8, v68
	v_wmma_f32_16x16x16_bf16 v[124:131], v[84:91], v[76:83], v[124:131]
	v_cndmask_b32_e32 v69, v69, v70, vcc_lo
	v_or_b32_e32 v70, 2, v68
	v_wmma_f32_16x16x16_bf16 v[100:107], v[92:99], v[76:83], v[100:107]
	v_or_b32_e32 v109, 10, v68
	v_dual_mul_f32 v78, s18, v131 :: v_dual_mul_f32 v83, s18, v126
	v_dual_mul_f32 v92, s18, v125 :: v_dual_mul_f32 v93, s18, v124
	s_delay_alu instid0(VALU_DEP_4) | instskip(SKIP_2) | instid1(VALU_DEP_4)
	v_mul_f32_e32 v94, s18, v107
	v_cmp_gt_i32_e32 vcc_lo, s17, v70
	v_dual_mul_f32 v81, s18, v128 :: v_dual_mul_f32 v82, s18, v127
	v_cndmask_b32_e64 v93, 0xff7fffff, v93, s2
	v_cmp_gt_i32_e64 s3, s17, v71
	v_cndmask_b32_e32 v92, 0xff7fffff, v92, vcc_lo
	v_cmp_gt_i32_e64 s4, s17, v72
	v_or_b32_e32 v84, 12, v68
	v_or_b32_e32 v85, 14, v68
	v_dual_mul_f32 v79, s18, v130 :: v_dual_mul_f32 v80, s18, v129
	v_cndmask_b32_e64 v71, 0xff7fffff, v83, s3
	v_cndmask_b32_e64 v72, 0xff7fffff, v82, s4
	v_max3_f32 v82, v93, 0xff7fffff, v92
	v_cmp_gt_i32_e64 s5, s17, v108
	v_cmp_gt_i32_e64 s6, s17, v109
	v_or_b32_e32 v86, 16, v68
	v_or_b32_e32 v87, 18, v68
	v_max3_f32 v71, v82, v71, v72
	v_cndmask_b32_e64 v81, 0xff7fffff, v81, s5
	v_cndmask_b32_e64 v80, 0xff7fffff, v80, s6
	v_cmp_gt_i32_e64 s7, s17, v84
	v_cmp_gt_i32_e64 s8, s17, v85
	v_or_b32_e32 v88, 20, v68
	v_or_b32_e32 v89, 22, v68
	;; [unrolled: 1-line block ×6, first 2 shown]
	v_dual_mul_f32 v99, s18, v102 :: v_dual_mul_f32 v70, s18, v101
	v_mul_f32_e32 v68, s18, v100
	v_cndmask_b32_e64 v72, 0xff7fffff, v79, s7
	v_cndmask_b32_e64 v78, 0xff7fffff, v78, s8
	v_max3_f32 v71, v71, v81, v80
	v_cmp_gt_i32_e64 s9, s17, v86
	v_cmp_gt_i32_e64 s10, s17, v87
	v_dual_mul_f32 v97, s18, v104 :: v_dual_mul_f32 v98, s18, v103
	s_delay_alu instid0(VALU_DEP_4) | instskip(SKIP_1) | instid1(VALU_DEP_4)
	v_max3_f32 v71, v71, v72, v78
	v_cmp_gt_i32_e64 s11, s17, v88
	v_cndmask_b32_e64 v70, 0xff7fffff, v70, s10
	v_cmp_gt_i32_e64 s12, s17, v89
	v_lshlrev_b32_e32 v89, 2, v69
	v_cndmask_b32_e64 v68, 0xff7fffff, v68, s9
	v_dual_mul_f32 v95, s18, v106 :: v_dual_mul_f32 v96, s18, v105
	v_cndmask_b32_e64 v72, 0xff7fffff, v99, s11
	v_cndmask_b32_e64 v78, 0xff7fffff, v98, s12
	s_delay_alu instid0(VALU_DEP_4)
	v_max3_f32 v68, v71, v68, v70
	v_cmp_gt_i32_e64 s13, s17, v90
	v_cmp_gt_i32_e64 s15, s17, v91
	;; [unrolled: 1-line block ×4, first 2 shown]
	v_max3_f32 v68, v68, v72, v78
	v_cndmask_b32_e64 v70, 0xff7fffff, v97, s13
	v_cndmask_b32_e64 v71, 0xff7fffff, v96, s15
	;; [unrolled: 1-line block ×4, first 2 shown]
	s_delay_alu instid0(VALU_DEP_3) | instskip(NEXT) | instid1(VALU_DEP_1)
	v_max3_f32 v68, v68, v70, v71
	v_max3_f32 v68, v68, v72, v76
	ds_bpermute_b32 v69, v89, v68
	s_waitcnt lgkmcnt(0)
	v_max_f32_e32 v69, v69, v69
	s_delay_alu instid0(VALU_DEP_1) | instskip(NEXT) | instid1(VALU_DEP_1)
	v_max_f32_e32 v68, v68, v69
	v_fma_f32 v71, s18, v126, -v68
	s_delay_alu instid0(VALU_DEP_1)
	v_mul_f32_e32 v71, 0x3fb8aa3b, v71
	v_fma_f32 v69, s18, v124, -v68
	v_fma_f32 v70, s18, v125, -v68
	;; [unrolled: 1-line block ×4, first 2 shown]
	v_exp_f32_e32 v71, v71
	s_delay_alu instid0(VALU_DEP_3) | instskip(SKIP_2) | instid1(VALU_DEP_3)
	v_dual_mul_f32 v69, 0x3fb8aa3b, v69 :: v_dual_mul_f32 v70, 0x3fb8aa3b, v70
	v_fma_f32 v78, s18, v130, -v68
	v_fma_f32 v81, s18, v105, -v68
	v_exp_f32_e32 v69, v69
	s_delay_alu instid0(VALU_DEP_3) | instskip(SKIP_1) | instid1(VALU_DEP_2)
	v_exp_f32_e32 v70, v70
	v_mul_f32_e32 v77, 0x3fb8aa3b, v76
	v_mul_f32_e32 v81, 0x3fb8aa3b, v81
	s_delay_alu instid0(TRANS32_DEP_3) | instskip(SKIP_1) | instid1(VALU_DEP_3)
	v_cndmask_b32_e64 v83, 0, v71, s3
	v_fma_f32 v71, s18, v131, -v68
	v_exp_f32_e32 v81, v81
	s_delay_alu instid0(TRANS32_DEP_3) | instskip(NEXT) | instid1(TRANS32_DEP_2)
	v_cndmask_b32_e64 v80, 0, v69, s2
	v_cndmask_b32_e32 v76, 0, v70, vcc_lo
	v_fma_f32 v69, s18, v129, -v68
	v_mul_f32_e32 v72, 0x3fb8aa3b, v72
	v_exp_f32_e32 v77, v77
	v_dual_add_f32 v70, 0, v80 :: v_dual_mul_f32 v71, 0x3fb8aa3b, v71
	s_delay_alu instid0(VALU_DEP_3) | instskip(NEXT) | instid1(VALU_DEP_3)
	v_mul_f32_e32 v69, 0x3fb8aa3b, v69
	v_exp_f32_e32 v72, v72
	s_mov_b32 s2, exec_lo
	s_delay_alu instid0(VALU_DEP_2) | instskip(NEXT) | instid1(VALU_DEP_1)
	v_exp_f32_e32 v71, v71
	v_exp_f32_e32 v69, v69
	v_cndmask_b32_e64 v86, 0, v77, s5
	v_fma_f32 v77, s18, v101, -v68
	v_add_f32_e32 v70, v70, v76
	s_delay_alu instid0(TRANS32_DEP_3) | instskip(SKIP_1) | instid1(VALU_DEP_3)
	v_cndmask_b32_e64 v85, 0, v72, s4
	v_fma_f32 v72, s18, v100, -v68
	v_dual_mul_f32 v77, 0x3fb8aa3b, v77 :: v_dual_add_f32 v70, v70, v83
	s_delay_alu instid0(TRANS32_DEP_2) | instskip(SKIP_1) | instid1(TRANS32_DEP_1)
	v_cndmask_b32_e64 v88, 0, v71, s8
	v_fma_f32 v71, s18, v104, -v68
	v_cndmask_b32_e64 v87, 0, v69, s6
	s_delay_alu instid0(VALU_DEP_4) | instskip(NEXT) | instid1(VALU_DEP_2)
	v_exp_f32_e32 v77, v77
	v_dual_add_f32 v70, v70, v85 :: v_dual_mul_f32 v71, 0x3fb8aa3b, v71
	s_delay_alu instid0(VALU_DEP_1) | instskip(SKIP_2) | instid1(VALU_DEP_3)
	v_dual_mul_f32 v72, 0x3fb8aa3b, v72 :: v_dual_add_f32 v69, v70, v86
	v_mul_f32_e32 v78, 0x3fb8aa3b, v78
	v_fma_f32 v70, s18, v102, -v68
	v_exp_f32_e32 v72, v72
	v_exp_f32_e32 v82, v71
	v_add_f32_e32 v69, v69, v87
	v_exp_f32_e32 v78, v78
	v_mul_f32_e32 v70, 0x3fb8aa3b, v70
	s_delay_alu instid0(VALU_DEP_1) | instskip(SKIP_4) | instid1(VALU_DEP_2)
	v_exp_f32_e32 v79, v70
	v_cndmask_b32_e64 v70, 0, v72, s9
	s_waitcnt_depctr 0xfff
	v_cndmask_b32_e64 v84, 0, v78, s7
	v_fma_f32 v78, s18, v103, -v68
	v_add_f32_e32 v69, v69, v84
	v_cndmask_b32_e64 v71, 0, v79, s11
	s_delay_alu instid0(VALU_DEP_2) | instskip(SKIP_2) | instid1(VALU_DEP_1)
	v_add_f32_e32 v72, v69, v88
	v_cndmask_b32_e64 v69, 0, v77, s10
	v_fma_f32 v77, s18, v106, -v68
	v_dual_mul_f32 v77, 0x3fb8aa3b, v77 :: v_dual_add_f32 v72, v72, v70
	v_mul_f32_e32 v78, 0x3fb8aa3b, v78
	s_delay_alu instid0(VALU_DEP_2) | instskip(NEXT) | instid1(VALU_DEP_2)
	v_exp_f32_e32 v90, v77
	v_add_f32_e32 v79, v72, v69
	s_delay_alu instid0(VALU_DEP_2)
	v_exp_f32_e32 v78, v78
	v_cndmask_b32_e64 v77, 0, v82, s13
	s_waitcnt_depctr 0xfff
	v_cndmask_b32_e64 v72, 0, v78, s12
	v_add_f32_e32 v78, v79, v71
	v_fma_f32 v79, s18, v107, -v68
	s_delay_alu instid0(VALU_DEP_1) | instskip(SKIP_1) | instid1(VALU_DEP_2)
	v_dual_add_f32 v82, v78, v72 :: v_dual_mul_f32 v79, 0x3fb8aa3b, v79
	v_cndmask_b32_e64 v78, 0, v81, s15
	v_add_f32_e32 v81, v82, v77
	s_delay_alu instid0(VALU_DEP_3) | instskip(SKIP_1) | instid1(VALU_DEP_2)
	v_exp_f32_e32 v82, v79
	v_cndmask_b32_e64 v79, 0, v90, s16
	v_add_f32_e32 v81, v81, v78
	s_delay_alu instid0(VALU_DEP_1) | instskip(SKIP_2) | instid1(VALU_DEP_1)
	v_add_f32_e32 v90, v81, v79
	s_waitcnt_depctr 0xfff
	v_cndmask_b32_e64 v81, 0, v82, s17
	v_add_f32_e32 v82, v90, v81
	ds_bpermute_b32 v89, v89, v82
	v_cmpx_gt_u32_e32 16, v67
	s_cbranch_execz .LBB1905_12
; %bb.11:
	v_mul_u32_u24_e32 v67, 0x44, v65
	s_delay_alu instid0(VALU_DEP_1) | instskip(SKIP_1) | instid1(VALU_DEP_1)
	v_lshl_add_u32 v67, v66, 2, v67
	s_waitcnt lgkmcnt(0)
	v_dual_add_f32 v82, v82, v89 :: v_dual_add_nc_u32 v67, 0x4000, v67
	ds_store_2addr_b32 v67, v68, v82 offset1:136
.LBB1905_12:
	s_or_b32 exec_lo, exec_lo, s2
	v_lshlrev_b32_e32 v67, 2, v66
	s_waitcnt lgkmcnt(0)
	s_barrier
	buffer_gl0_inv
	v_cmp_eq_u32_e32 vcc_lo, 1, v65
	v_add_nc_u32_e32 v82, 0x4000, v67
	v_cmp_eq_u32_e64 s2, 2, v65
	v_cmp_eq_u32_e64 s4, 7, v65
	ds_load_2addr_b32 v[89:90], v82 offset1:17
	ds_load_2addr_b32 v[91:92], v82 offset0:34 offset1:51
	ds_load_2addr_b32 v[93:94], v82 offset0:68 offset1:85
	ds_load_2addr_b32 v[95:96], v82 offset0:102 offset1:119
	ds_load_2addr_b32 v[97:98], v82 offset0:136 offset1:153
	s_waitcnt lgkmcnt(4)
	v_max3_f32 v67, v89, 0xff7fffff, v90
	s_waitcnt lgkmcnt(3)
	s_delay_alu instid0(VALU_DEP_1) | instskip(SKIP_1) | instid1(VALU_DEP_1)
	v_max3_f32 v67, v67, v91, v92
	s_waitcnt lgkmcnt(2)
	v_max3_f32 v67, v67, v93, v94
	s_waitcnt lgkmcnt(1)
	s_delay_alu instid0(VALU_DEP_1) | instskip(NEXT) | instid1(VALU_DEP_1)
	v_max3_f32 v67, v67, v95, v96
	v_sub_f32_e32 v93, v93, v67
	s_delay_alu instid0(VALU_DEP_1) | instskip(NEXT) | instid1(VALU_DEP_1)
	v_dual_sub_f32 v68, v89, v67 :: v_dual_mul_f32 v103, 0x3fb8aa3b, v93
	v_mul_f32_e32 v68, 0x3fb8aa3b, v68
	s_delay_alu instid0(VALU_DEP_1)
	v_exp_f32_e32 v100, v68
	v_sub_f32_e32 v68, v92, v67
	v_sub_f32_e32 v99, v90, v67
	ds_load_2addr_b32 v[89:90], v82 offset0:170 offset1:187
	v_dual_mul_f32 v102, 0x3fb8aa3b, v68 :: v_dual_mul_f32 v99, 0x3fb8aa3b, v99
	s_waitcnt lgkmcnt(1)
	v_fma_f32 v68, v100, v97, 0
	s_delay_alu instid0(VALU_DEP_2) | instskip(NEXT) | instid1(VALU_DEP_2)
	v_exp_f32_e32 v102, v102
	v_exp_f32_e32 v99, v99
	s_waitcnt_depctr 0xfff
	v_fmac_f32_e32 v68, v99, v98
	v_sub_f32_e32 v91, v91, v67
	s_delay_alu instid0(VALU_DEP_1)
	v_mul_f32_e32 v101, 0x3fb8aa3b, v91
	ds_load_2addr_b32 v[91:92], v82 offset0:204 offset1:221
	v_sub_f32_e32 v97, v94, v67
	ds_load_2addr_b32 v[93:94], v82 offset0:238 offset1:255
	s_waitcnt lgkmcnt(0)
	v_exp_f32_e32 v101, v101
	s_barrier
	buffer_gl0_inv
	v_dual_fmac_f32 v68, v101, v89 :: v_dual_sub_f32 v89, v96, v67
	v_dual_sub_f32 v82, v95, v67 :: v_dual_mul_f32 v95, 0x3fb8aa3b, v97
	v_exp_f32_e32 v97, v103
	s_delay_alu instid0(VALU_DEP_2) | instskip(NEXT) | instid1(VALU_DEP_2)
	v_dual_fmac_f32 v68, v102, v90 :: v_dual_mul_f32 v89, 0x3fb8aa3b, v89
	v_mul_f32_e32 v82, 0x3fb8aa3b, v82
	s_delay_alu instid0(VALU_DEP_3) | instskip(NEXT) | instid1(VALU_DEP_2)
	v_exp_f32_e32 v95, v95
	v_exp_f32_e32 v89, v89
	s_delay_alu instid0(VALU_DEP_1)
	v_exp_f32_e32 v82, v82
	v_fmac_f32_e32 v68, v97, v91
	s_delay_alu instid0(TRANS32_DEP_3) | instid1(VALU_DEP_1)
	v_fmac_f32_e32 v68, v95, v92
	s_waitcnt_depctr 0xfff
	v_fmac_f32_e32 v68, v82, v93
	s_delay_alu instid0(VALU_DEP_1) | instskip(NEXT) | instid1(VALU_DEP_1)
	v_fmac_f32_e32 v68, v89, v94
	v_add_f32_e32 v90, 0x358637bd, v68
	s_delay_alu instid0(VALU_DEP_1) | instskip(NEXT) | instid1(VALU_DEP_1)
	v_div_scale_f32 v91, null, v90, v90, 1.0
	v_rcp_f32_e32 v92, v91
	s_waitcnt_depctr 0xfff
	v_fma_f32 v93, -v91, v92, 1.0
	s_delay_alu instid0(VALU_DEP_1) | instskip(SKIP_1) | instid1(VALU_DEP_2)
	v_dual_fmac_f32 v92, v93, v92 :: v_dual_cndmask_b32 v93, v100, v99
	v_cmp_eq_u32_e32 vcc_lo, 3, v65
	v_cndmask_b32_e64 v93, v93, v101, s2
	v_cmp_eq_u32_e64 s2, 4, v65
	s_delay_alu instid0(VALU_DEP_2) | instskip(SKIP_1) | instid1(VALU_DEP_2)
	v_cndmask_b32_e32 v93, v93, v102, vcc_lo
	v_cmp_eq_u32_e32 vcc_lo, 5, v65
	v_cndmask_b32_e64 v93, v93, v97, s2
	v_cmp_eq_u32_e64 s2, 6, v65
	s_delay_alu instid0(VALU_DEP_2) | instskip(SKIP_1) | instid1(VALU_DEP_1)
	v_cndmask_b32_e32 v93, v93, v95, vcc_lo
	v_div_scale_f32 v94, s3, 1.0, v90, 1.0
	s_mov_b32 vcc_lo, s3
	s_delay_alu instid0(VALU_DEP_2) | instskip(NEXT) | instid1(VALU_DEP_2)
	v_cndmask_b32_e64 v82, v93, v82, s2
	v_mul_f32_e32 v96, v94, v92
	s_mov_b32 s2, exec_lo
	s_delay_alu instid0(VALU_DEP_2) | instskip(NEXT) | instid1(VALU_DEP_2)
	v_cndmask_b32_e64 v82, v82, v89, s4
	v_fma_f32 v98, -v91, v96, v94
	s_delay_alu instid0(VALU_DEP_1) | instskip(NEXT) | instid1(VALU_DEP_1)
	v_fmac_f32_e32 v96, v98, v92
	v_fma_f32 v91, -v91, v96, v94
	s_delay_alu instid0(VALU_DEP_1) | instskip(NEXT) | instid1(VALU_DEP_1)
	v_div_fmas_f32 v91, v91, v92, v96
	v_div_fixup_f32 v90, v91, v90, 1.0
	s_delay_alu instid0(VALU_DEP_1) | instskip(NEXT) | instid1(VALU_DEP_1)
	v_mul_f32_e32 v82, v82, v90
	v_mul_f32_e32 v87, v82, v87
	v_mul_f32_e32 v90, v82, v80
	v_mul_f32_e32 v80, v82, v88
	v_mul_f32_e32 v84, v82, v84
	v_mul_f32_e32 v88, v82, v86
	v_mul_f32_e32 v89, v82, v85
	v_dual_mul_f32 v86, v82, v83 :: v_dual_and_b32 v91, 0x7f800000, v90
	v_mul_f32_e32 v85, v82, v76
                                        ; implicit-def: $vgpr76
	s_delay_alu instid0(VALU_DEP_2)
	v_cmpx_ne_u32_e32 0x7f800000, v91
	s_xor_b32 s2, exec_lo, s2
; %bb.13:
	v_bfe_u32 v76, v90, 16, 1
	s_delay_alu instid0(VALU_DEP_1)
	v_add3_u32 v76, v90, v76, 0x7fff
                                        ; implicit-def: $vgpr90
; %bb.14:
	s_and_not1_saveexec_b32 s2, s2
; %bb.15:
	v_and_b32_e32 v76, 0xffff, v90
	v_or_b32_e32 v83, 0x10000, v90
	s_delay_alu instid0(VALU_DEP_2) | instskip(NEXT) | instid1(VALU_DEP_2)
	v_cmp_eq_u32_e32 vcc_lo, 0, v76
	v_cndmask_b32_e32 v76, v83, v90, vcc_lo
; %bb.16:
	s_or_b32 exec_lo, exec_lo, s2
	v_and_b32_e32 v83, 0x7f800000, v85
	s_delay_alu instid0(VALU_DEP_1) | instskip(SKIP_1) | instid1(SALU_CYCLE_1)
	v_cmp_ne_u32_e32 vcc_lo, 0x7f800000, v83
                                        ; implicit-def: $vgpr83
	s_and_saveexec_b32 s2, vcc_lo
	s_xor_b32 s2, exec_lo, s2
; %bb.17:
	v_bfe_u32 v83, v85, 16, 1
	s_delay_alu instid0(VALU_DEP_1)
	v_add3_u32 v83, v85, v83, 0x7fff
                                        ; implicit-def: $vgpr85
; %bb.18:
	s_and_not1_saveexec_b32 s2, s2
; %bb.19:
	v_and_b32_e32 v83, 0xffff, v85
	v_or_b32_e32 v90, 0x10000, v85
	s_delay_alu instid0(VALU_DEP_2) | instskip(NEXT) | instid1(VALU_DEP_2)
	v_cmp_eq_u32_e32 vcc_lo, 0, v83
	v_cndmask_b32_e32 v83, v90, v85, vcc_lo
; %bb.20:
	s_or_b32 exec_lo, exec_lo, s2
	v_and_b32_e32 v85, 0x7f800000, v86
	s_delay_alu instid0(VALU_DEP_1) | instskip(SKIP_1) | instid1(SALU_CYCLE_1)
	v_cmp_ne_u32_e32 vcc_lo, 0x7f800000, v85
                                        ; implicit-def: $vgpr85
	s_and_saveexec_b32 s2, vcc_lo
	s_xor_b32 s2, exec_lo, s2
; %bb.21:
	v_bfe_u32 v85, v86, 16, 1
	s_delay_alu instid0(VALU_DEP_1)
	v_add3_u32 v85, v86, v85, 0x7fff
                                        ; implicit-def: $vgpr86
; %bb.22:
	s_and_not1_saveexec_b32 s2, s2
; %bb.23:
	v_and_b32_e32 v85, 0xffff, v86
	v_or_b32_e32 v90, 0x10000, v86
	s_delay_alu instid0(VALU_DEP_2) | instskip(NEXT) | instid1(VALU_DEP_2)
	v_cmp_eq_u32_e32 vcc_lo, 0, v85
	v_cndmask_b32_e32 v85, v90, v86, vcc_lo
; %bb.24:
	s_or_b32 exec_lo, exec_lo, s2
	v_and_b32_e32 v86, 0x7f800000, v89
	s_delay_alu instid0(VALU_DEP_1) | instskip(SKIP_1) | instid1(SALU_CYCLE_1)
	v_cmp_ne_u32_e32 vcc_lo, 0x7f800000, v86
                                        ; implicit-def: $vgpr86
	s_and_saveexec_b32 s2, vcc_lo
	s_xor_b32 s2, exec_lo, s2
; %bb.25:
	v_bfe_u32 v86, v89, 16, 1
	s_delay_alu instid0(VALU_DEP_1)
	v_add3_u32 v86, v89, v86, 0x7fff
                                        ; implicit-def: $vgpr89
; %bb.26:
	s_and_not1_saveexec_b32 s2, s2
; %bb.27:
	v_and_b32_e32 v86, 0xffff, v89
	v_or_b32_e32 v90, 0x10000, v89
	s_delay_alu instid0(VALU_DEP_2) | instskip(NEXT) | instid1(VALU_DEP_2)
	v_cmp_eq_u32_e32 vcc_lo, 0, v86
	v_cndmask_b32_e32 v86, v90, v89, vcc_lo
; %bb.28:
	s_or_b32 exec_lo, exec_lo, s2
	v_and_b32_e32 v89, 0x7f800000, v88
	s_delay_alu instid0(VALU_DEP_1) | instskip(SKIP_1) | instid1(SALU_CYCLE_1)
	v_cmp_ne_u32_e32 vcc_lo, 0x7f800000, v89
                                        ; implicit-def: $vgpr89
	s_and_saveexec_b32 s2, vcc_lo
	s_xor_b32 s2, exec_lo, s2
; %bb.29:
	v_bfe_u32 v89, v88, 16, 1
	s_delay_alu instid0(VALU_DEP_1)
	v_add3_u32 v89, v88, v89, 0x7fff
                                        ; implicit-def: $vgpr88
; %bb.30:
	s_and_not1_saveexec_b32 s2, s2
; %bb.31:
	v_and_b32_e32 v89, 0xffff, v88
	v_or_b32_e32 v90, 0x10000, v88
	s_delay_alu instid0(VALU_DEP_2) | instskip(NEXT) | instid1(VALU_DEP_2)
	v_cmp_eq_u32_e32 vcc_lo, 0, v89
	v_cndmask_b32_e32 v89, v90, v88, vcc_lo
; %bb.32:
	s_or_b32 exec_lo, exec_lo, s2
	v_and_b32_e32 v88, 0x7f800000, v87
	s_delay_alu instid0(VALU_DEP_1) | instskip(SKIP_1) | instid1(SALU_CYCLE_1)
	v_cmp_ne_u32_e32 vcc_lo, 0x7f800000, v88
                                        ; implicit-def: $vgpr88
	s_and_saveexec_b32 s2, vcc_lo
	s_xor_b32 s2, exec_lo, s2
; %bb.33:
	v_bfe_u32 v88, v87, 16, 1
	s_delay_alu instid0(VALU_DEP_1)
	v_add3_u32 v88, v87, v88, 0x7fff
                                        ; implicit-def: $vgpr87
; %bb.34:
	s_and_not1_saveexec_b32 s2, s2
; %bb.35:
	v_and_b32_e32 v88, 0xffff, v87
	v_or_b32_e32 v90, 0x10000, v87
	s_delay_alu instid0(VALU_DEP_2) | instskip(NEXT) | instid1(VALU_DEP_2)
	v_cmp_eq_u32_e32 vcc_lo, 0, v88
	v_cndmask_b32_e32 v88, v90, v87, vcc_lo
; %bb.36:
	s_or_b32 exec_lo, exec_lo, s2
	v_and_b32_e32 v87, 0x7f800000, v84
	s_delay_alu instid0(VALU_DEP_1) | instskip(SKIP_1) | instid1(SALU_CYCLE_1)
	v_cmp_ne_u32_e32 vcc_lo, 0x7f800000, v87
                                        ; implicit-def: $vgpr87
	s_and_saveexec_b32 s2, vcc_lo
	s_xor_b32 s2, exec_lo, s2
; %bb.37:
	v_bfe_u32 v87, v84, 16, 1
	s_delay_alu instid0(VALU_DEP_1)
	v_add3_u32 v87, v84, v87, 0x7fff
                                        ; implicit-def: $vgpr84
; %bb.38:
	s_and_not1_saveexec_b32 s2, s2
; %bb.39:
	v_and_b32_e32 v87, 0xffff, v84
	v_or_b32_e32 v90, 0x10000, v84
	s_delay_alu instid0(VALU_DEP_2) | instskip(NEXT) | instid1(VALU_DEP_2)
	v_cmp_eq_u32_e32 vcc_lo, 0, v87
	v_cndmask_b32_e32 v87, v90, v84, vcc_lo
; %bb.40:
	s_or_b32 exec_lo, exec_lo, s2
	v_and_b32_e32 v84, 0x7f800000, v80
	s_delay_alu instid0(VALU_DEP_1) | instskip(SKIP_1) | instid1(SALU_CYCLE_1)
	v_cmp_ne_u32_e32 vcc_lo, 0x7f800000, v84
                                        ; implicit-def: $vgpr84
	s_and_saveexec_b32 s2, vcc_lo
	s_xor_b32 s2, exec_lo, s2
; %bb.41:
	v_bfe_u32 v84, v80, 16, 1
	s_delay_alu instid0(VALU_DEP_1)
	v_add3_u32 v84, v80, v84, 0x7fff
                                        ; implicit-def: $vgpr80
; %bb.42:
	s_and_not1_saveexec_b32 s2, s2
; %bb.43:
	v_and_b32_e32 v84, 0xffff, v80
	v_or_b32_e32 v90, 0x10000, v80
	s_delay_alu instid0(VALU_DEP_2) | instskip(NEXT) | instid1(VALU_DEP_2)
	v_cmp_eq_u32_e32 vcc_lo, 0, v84
	v_cndmask_b32_e32 v84, v90, v80, vcc_lo
; %bb.44:
	s_or_b32 exec_lo, exec_lo, s2
	s_load_b64 s[34:35], s[0:1], 0x94
	v_lshlrev_b32_e32 v91, 4, v74
	s_delay_alu instid0(VALU_DEP_2)
	v_perm_b32 v90, v84, v87, 0x7060302
	v_dual_mul_f32 v77, v82, v77 :: v_dual_lshlrev_b32 v80, 6, v66
	v_lshlrev_b32_e32 v66, 11, v65
	v_perm_b32 v87, v83, v76, 0x7060302
	v_mul_f32_e32 v83, v82, v70
	v_perm_b32 v89, v88, v89, 0x7060302
	v_perm_b32 v88, v86, v85, 0x7060302
	v_or3_b32 v76, v91, v66, v80
	v_mul_f32_e32 v66, v82, v81
	v_mul_f32_e32 v70, v82, v79
	;; [unrolled: 1-line block ×3, first 2 shown]
	v_dual_mul_f32 v81, v82, v72 :: v_dual_and_b32 v84, 0x7f800000, v83
	v_mul_f32_e32 v79, v82, v71
	v_mul_f32_e32 v72, v82, v69
	s_mov_b32 s2, exec_lo
	ds_store_b128 v76, v[87:90]
                                        ; implicit-def: $vgpr69
	v_cmpx_ne_u32_e32 0x7f800000, v84
	s_xor_b32 s2, exec_lo, s2
; %bb.45:
	v_bfe_u32 v69, v83, 16, 1
	s_delay_alu instid0(VALU_DEP_1)
	v_add3_u32 v69, v83, v69, 0x7fff
                                        ; implicit-def: $vgpr83
; %bb.46:
	s_and_not1_saveexec_b32 s2, s2
; %bb.47:
	v_and_b32_e32 v69, 0xffff, v83
	v_or_b32_e32 v71, 0x10000, v83
	s_delay_alu instid0(VALU_DEP_2) | instskip(NEXT) | instid1(VALU_DEP_2)
	v_cmp_eq_u32_e32 vcc_lo, 0, v69
	v_cndmask_b32_e32 v69, v71, v83, vcc_lo
; %bb.48:
	s_or_b32 exec_lo, exec_lo, s2
	v_and_b32_e32 v71, 0x7f800000, v72
	s_delay_alu instid0(VALU_DEP_1) | instskip(SKIP_1) | instid1(SALU_CYCLE_1)
	v_cmp_ne_u32_e32 vcc_lo, 0x7f800000, v71
                                        ; implicit-def: $vgpr71
	s_and_saveexec_b32 s2, vcc_lo
	s_xor_b32 s2, exec_lo, s2
; %bb.49:
	v_bfe_u32 v71, v72, 16, 1
	s_delay_alu instid0(VALU_DEP_1)
	v_add3_u32 v71, v72, v71, 0x7fff
                                        ; implicit-def: $vgpr72
; %bb.50:
	s_and_not1_saveexec_b32 s2, s2
; %bb.51:
	v_and_b32_e32 v71, 0xffff, v72
	v_or_b32_e32 v82, 0x10000, v72
	s_delay_alu instid0(VALU_DEP_2) | instskip(NEXT) | instid1(VALU_DEP_2)
	v_cmp_eq_u32_e32 vcc_lo, 0, v71
	v_cndmask_b32_e32 v71, v82, v72, vcc_lo
; %bb.52:
	s_or_b32 exec_lo, exec_lo, s2
	v_and_b32_e32 v72, 0x7f800000, v79
	s_delay_alu instid0(VALU_DEP_1) | instskip(SKIP_1) | instid1(SALU_CYCLE_1)
	v_cmp_ne_u32_e32 vcc_lo, 0x7f800000, v72
                                        ; implicit-def: $vgpr72
	s_and_saveexec_b32 s2, vcc_lo
	s_xor_b32 s2, exec_lo, s2
; %bb.53:
	v_bfe_u32 v72, v79, 16, 1
	s_delay_alu instid0(VALU_DEP_1)
	v_add3_u32 v72, v79, v72, 0x7fff
                                        ; implicit-def: $vgpr79
; %bb.54:
	s_and_not1_saveexec_b32 s2, s2
; %bb.55:
	v_and_b32_e32 v72, 0xffff, v79
	v_or_b32_e32 v82, 0x10000, v79
	s_delay_alu instid0(VALU_DEP_2) | instskip(NEXT) | instid1(VALU_DEP_2)
	v_cmp_eq_u32_e32 vcc_lo, 0, v72
	v_cndmask_b32_e32 v72, v82, v79, vcc_lo
; %bb.56:
	s_or_b32 exec_lo, exec_lo, s2
	v_and_b32_e32 v79, 0x7f800000, v81
	s_delay_alu instid0(VALU_DEP_1) | instskip(SKIP_1) | instid1(SALU_CYCLE_1)
	v_cmp_ne_u32_e32 vcc_lo, 0x7f800000, v79
                                        ; implicit-def: $vgpr79
	s_and_saveexec_b32 s2, vcc_lo
	s_xor_b32 s2, exec_lo, s2
; %bb.57:
	v_bfe_u32 v79, v81, 16, 1
	s_delay_alu instid0(VALU_DEP_1)
	v_add3_u32 v79, v81, v79, 0x7fff
                                        ; implicit-def: $vgpr81
; %bb.58:
	s_and_not1_saveexec_b32 s2, s2
; %bb.59:
	v_and_b32_e32 v79, 0xffff, v81
	v_or_b32_e32 v82, 0x10000, v81
	s_delay_alu instid0(VALU_DEP_2) | instskip(NEXT) | instid1(VALU_DEP_2)
	v_cmp_eq_u32_e32 vcc_lo, 0, v79
	v_cndmask_b32_e32 v79, v82, v81, vcc_lo
; %bb.60:
	s_or_b32 exec_lo, exec_lo, s2
	v_and_b32_e32 v81, 0x7f800000, v77
	s_delay_alu instid0(VALU_DEP_1) | instskip(SKIP_1) | instid1(SALU_CYCLE_1)
	v_cmp_ne_u32_e32 vcc_lo, 0x7f800000, v81
                                        ; implicit-def: $vgpr81
	s_and_saveexec_b32 s2, vcc_lo
	s_xor_b32 s2, exec_lo, s2
; %bb.61:
	v_bfe_u32 v81, v77, 16, 1
	s_delay_alu instid0(VALU_DEP_1)
	v_add3_u32 v81, v77, v81, 0x7fff
                                        ; implicit-def: $vgpr77
; %bb.62:
	s_and_not1_saveexec_b32 s2, s2
; %bb.63:
	v_and_b32_e32 v81, 0xffff, v77
	v_or_b32_e32 v82, 0x10000, v77
	s_delay_alu instid0(VALU_DEP_2) | instskip(NEXT) | instid1(VALU_DEP_2)
	v_cmp_eq_u32_e32 vcc_lo, 0, v81
	v_cndmask_b32_e32 v81, v82, v77, vcc_lo
; %bb.64:
	s_or_b32 exec_lo, exec_lo, s2
	v_and_b32_e32 v77, 0x7f800000, v78
	s_delay_alu instid0(VALU_DEP_1) | instskip(SKIP_1) | instid1(SALU_CYCLE_1)
	v_cmp_ne_u32_e32 vcc_lo, 0x7f800000, v77
                                        ; implicit-def: $vgpr77
	s_and_saveexec_b32 s2, vcc_lo
	s_xor_b32 s2, exec_lo, s2
; %bb.65:
	v_bfe_u32 v77, v78, 16, 1
	s_delay_alu instid0(VALU_DEP_1)
	v_add3_u32 v77, v78, v77, 0x7fff
                                        ; implicit-def: $vgpr78
; %bb.66:
	s_and_not1_saveexec_b32 s2, s2
; %bb.67:
	v_and_b32_e32 v77, 0xffff, v78
	v_or_b32_e32 v82, 0x10000, v78
	s_delay_alu instid0(VALU_DEP_2) | instskip(NEXT) | instid1(VALU_DEP_2)
	v_cmp_eq_u32_e32 vcc_lo, 0, v77
	v_cndmask_b32_e32 v77, v82, v78, vcc_lo
; %bb.68:
	s_or_b32 exec_lo, exec_lo, s2
	v_and_b32_e32 v78, 0x7f800000, v70
	s_delay_alu instid0(VALU_DEP_1) | instskip(SKIP_1) | instid1(SALU_CYCLE_1)
	v_cmp_ne_u32_e32 vcc_lo, 0x7f800000, v78
                                        ; implicit-def: $vgpr78
	s_and_saveexec_b32 s2, vcc_lo
	s_xor_b32 s2, exec_lo, s2
; %bb.69:
	v_bfe_u32 v78, v70, 16, 1
	s_delay_alu instid0(VALU_DEP_1)
	v_add3_u32 v78, v70, v78, 0x7fff
                                        ; implicit-def: $vgpr70
; %bb.70:
	s_and_not1_saveexec_b32 s2, s2
; %bb.71:
	v_and_b32_e32 v78, 0xffff, v70
	v_or_b32_e32 v82, 0x10000, v70
	s_delay_alu instid0(VALU_DEP_2) | instskip(NEXT) | instid1(VALU_DEP_2)
	v_cmp_eq_u32_e32 vcc_lo, 0, v78
	v_cndmask_b32_e32 v78, v82, v70, vcc_lo
; %bb.72:
	s_or_b32 exec_lo, exec_lo, s2
	v_and_b32_e32 v70, 0x7f800000, v66
	s_delay_alu instid0(VALU_DEP_1) | instskip(SKIP_1) | instid1(SALU_CYCLE_1)
	v_cmp_ne_u32_e32 vcc_lo, 0x7f800000, v70
                                        ; implicit-def: $vgpr70
	s_and_saveexec_b32 s2, vcc_lo
	s_xor_b32 s2, exec_lo, s2
; %bb.73:
	v_bfe_u32 v70, v66, 16, 1
	s_delay_alu instid0(VALU_DEP_1)
	v_add3_u32 v70, v66, v70, 0x7fff
                                        ; implicit-def: $vgpr66
; %bb.74:
	s_and_not1_saveexec_b32 s2, s2
; %bb.75:
	v_and_b32_e32 v70, 0xffff, v66
	v_or_b32_e32 v82, 0x10000, v66
	s_delay_alu instid0(VALU_DEP_2) | instskip(NEXT) | instid1(VALU_DEP_2)
	v_cmp_eq_u32_e32 vcc_lo, 0, v70
	v_cndmask_b32_e32 v70, v82, v66, vcc_lo
; %bb.76:
	s_or_b32 exec_lo, exec_lo, s2
	s_delay_alu instid0(VALU_DEP_1)
	v_perm_b32 v86, v70, v78, 0x7060302
	v_perm_b32 v85, v77, v81, 0x7060302
	;; [unrolled: 1-line block ×4, first 2 shown]
	v_lshl_or_b32 v82, v65, 11, v80
	ds_store_b128 v76, v[83:86] offset:1024
	s_waitcnt lgkmcnt(0)
	s_barrier
	buffer_gl0_inv
	ds_load_b128 v[69:72], v82
	ds_load_b128 v[83:86], v82 offset:16
	s_waitcnt lgkmcnt(1)
	v_lshrrev_b32_e32 v65, 16, v69
	v_lshlrev_b32_e32 v78, 2, v74
	s_waitcnt lgkmcnt(0)
	v_lshrrev_b32_e32 v91, 16, v83
	v_lshrrev_b32_e32 v66, 16, v70
	;; [unrolled: 1-line block ×4, first 2 shown]
	v_cmp_eq_u32_e32 vcc_lo, 1, v78
	v_lshrrev_b32_e32 v98, 16, v85
	v_lshrrev_b32_e32 v96, 16, v72
	;; [unrolled: 1-line block ×3, first 2 shown]
	v_cndmask_b32_e32 v81, v69, v65, vcc_lo
	v_or_b32_e32 v79, 1, v78
	v_cmp_eq_u32_e64 s3, 2, v78
	v_cndmask_b32_e32 v87, v83, v91, vcc_lo
	v_cmp_eq_u32_e64 s6, 3, v78
	v_cmp_eq_u32_e64 s8, 4, v78
	;; [unrolled: 1-line block ×3, first 2 shown]
	v_cndmask_b32_e64 v81, v81, v70, s3
	v_cmp_eq_u32_e64 s5, 2, v79
	v_cndmask_b32_e64 v87, v87, v84, s3
	v_cmp_eq_u32_e64 s7, 3, v79
	v_cndmask_b32_e64 v88, v69, v65, s2
	v_cndmask_b32_e64 v81, v81, v66, s6
	v_or_b32_e32 v77, 2, v78
	v_cndmask_b32_e64 v87, v87, v97, s6
	v_cndmask_b32_e64 v89, v83, v91, s2
	;; [unrolled: 1-line block ×4, first 2 shown]
	v_cmp_eq_u32_e64 s9, 5, v78
	v_cndmask_b32_e64 v87, v87, v85, s8
	v_cmp_eq_u32_e64 s10, 4, v79
	v_cndmask_b32_e64 v88, v88, v66, s7
	;; [unrolled: 2-line block ×3, first 2 shown]
	v_cndmask_b32_e64 v81, v81, v95, s9
	v_cmp_eq_u32_e64 s11, 6, v78
	v_cndmask_b32_e64 v88, v88, v71, s10
	v_cndmask_b32_e64 v87, v87, v98, s9
	v_cmp_eq_u32_e64 s12, 5, v79
	v_cndmask_b32_e64 v90, v69, v65, s4
	v_cndmask_b32_e64 v89, v89, v97, s7
	;; [unrolled: 1-line block ×3, first 2 shown]
	v_cmp_eq_u32_e64 s13, 7, v78
	v_cndmask_b32_e64 v88, v88, v95, s12
	v_cndmask_b32_e64 v87, v87, v86, s11
	v_cmp_eq_u32_e64 s15, 6, v79
	v_cmp_eq_u32_e64 s16, 2, v77
	v_cndmask_b32_e64 v89, v89, v85, s10
	v_cndmask_b32_e64 v100, v81, v96, s13
	;; [unrolled: 1-line block ×6, first 2 shown]
	v_cmp_eq_u32_e64 s17, 7, v79
	v_cmp_eq_u32_e64 s18, 3, v77
	;; [unrolled: 1-line block ×4, first 2 shown]
	v_cndmask_b32_e64 v87, v87, v84, s16
	v_cndmask_b32_e64 v102, v88, v96, s17
	;; [unrolled: 1-line block ×4, first 2 shown]
	v_or_b32_e32 v81, 3, v78
	v_cndmask_b32_e64 v93, v87, v97, s18
	v_cmp_eq_u32_e64 s23, 6, v77
	v_cndmask_b32_e64 v103, v88, v86, s15
	v_cndmask_b32_e64 v92, v89, v71, s19
	v_cmp_eq_u32_e64 s20, 1, v81
	ds_load_b128 v[87:90], v82 offset:1024
	v_cmp_eq_u32_e64 s22, 2, v81
	v_cmp_eq_u32_e64 s24, 3, v81
	v_cndmask_b32_e64 v104, v92, v95, s21
	v_cndmask_b32_e64 v65, v69, v65, s20
	;; [unrolled: 1-line block ×4, first 2 shown]
	ds_load_b128 v[91:94], v82 offset:1040
	v_cmp_eq_u32_e64 s25, 4, v81
	v_cndmask_b32_e64 v65, v65, v70, s22
	v_cmp_eq_u32_e64 s27, 5, v81
	v_cndmask_b32_e64 v70, v83, v84, s22
	;; [unrolled: 2-line block ×3, first 2 shown]
	v_cndmask_b32_e64 v65, v65, v66, s24
	v_cndmask_b32_e64 v66, v104, v72, s23
	;; [unrolled: 1-line block ×3, first 2 shown]
	v_cmp_eq_u32_e64 s26, 7, v77
	v_cndmask_b32_e64 v69, v69, v86, s23
	v_cndmask_b32_e64 v65, v65, v71, s25
	s_waitcnt lgkmcnt(1)
	v_lshrrev_b32_e32 v84, 16, v87
	v_cndmask_b32_e64 v70, v70, v85, s25
	v_cndmask_b32_e64 v83, v103, v99, s17
	;; [unrolled: 1-line block ×4, first 2 shown]
	v_lshrrev_b32_e32 v95, 16, v88
	v_cndmask_b32_e64 v70, v70, v98, s27
	s_waitcnt lgkmcnt(0)
	v_lshrrev_b32_e32 v85, 16, v91
	v_cndmask_b32_e64 v97, v87, v84, s2
	v_cndmask_b32_e64 v65, v65, v72, s28
	v_cndmask_b32_e64 v69, v69, v99, s26
	v_cndmask_b32_e64 v70, v70, v86, s28
	v_cndmask_b32_e32 v71, v87, v84, vcc_lo
	v_cndmask_b32_e32 v98, v91, v85, vcc_lo
	v_cmp_eq_u32_e32 vcc_lo, 7, v81
	v_cndmask_b32_e64 v72, v97, v88, s5
	v_lshrrev_b32_e32 v97, 16, v92
	v_lshrrev_b32_e32 v103, 16, v90
	v_dual_cndmask_b32 v65, v65, v96 :: v_dual_cndmask_b32 v70, v70, v99
	v_cndmask_b32_e64 v71, v71, v88, s3
	v_cndmask_b32_e64 v86, v98, v92, s3
	;; [unrolled: 1-line block ×3, first 2 shown]
	v_lshrrev_b32_e32 v98, 16, v89
	v_lshrrev_b32_e32 v99, 16, v93
	v_cndmask_b32_e64 v71, v71, v95, s6
	v_cndmask_b32_e64 v86, v86, v97, s6
	;; [unrolled: 1-line block ×3, first 2 shown]
	v_perm_b32 v72, v70, v65, 0x5040100
	v_perm_b32 v70, v83, v102, 0x5040100
	v_cndmask_b32_e64 v71, v71, v89, s8
	v_cndmask_b32_e64 v86, v86, v93, s8
	;; [unrolled: 1-line block ×3, first 2 shown]
	v_lshrrev_b32_e32 v83, 16, v94
	s_delay_alu instid0(VALU_DEP_4) | instskip(NEXT) | instid1(VALU_DEP_4)
	v_cndmask_b32_e64 v71, v71, v98, s9
	v_cndmask_b32_e64 v86, v86, v99, s9
	s_delay_alu instid0(VALU_DEP_4) | instskip(NEXT) | instid1(VALU_DEP_3)
	v_cndmask_b32_e64 v65, v65, v90, s15
	v_cndmask_b32_e64 v96, v71, v90, s11
	v_perm_b32 v71, v69, v66, 0x5040100
	s_delay_alu instid0(VALU_DEP_4)
	v_cndmask_b32_e64 v69, v86, v94, s11
	v_cndmask_b32_e64 v86, v87, v84, s4
	;; [unrolled: 1-line block ×34, first 2 shown]
	v_cndmask_b32_e32 v84, v84, v103, vcc_lo
	v_cndmask_b32_e32 v86, v87, v83, vcc_lo
	v_cndmask_b32_e64 v87, v88, v83, s26
	v_cndmask_b32_e64 v88, v85, v83, s17
	;; [unrolled: 1-line block ×3, first 2 shown]
	v_perm_b32 v69, v101, v100, 0x5040100
	v_perm_b32 v86, v86, v84, 0x5040100
	;; [unrolled: 1-line block ×5, first 2 shown]
	s_lshl_b32 s7, s35, 2
	s_mov_b32 s2, exec_lo
	ds_store_b128 v76, v[69:72]
	ds_store_b128 v76, v[83:86] offset:1024
	v_cmpx_gt_u32_e32 4, v0
	s_cbranch_execz .LBB1905_78
; %bb.77:
	v_or_b32_e32 v65, s29, v0
	s_load_b128 s[8:11], s[0:1], 0x58
	s_delay_alu instid0(VALU_DEP_1) | instskip(NEXT) | instid1(VALU_DEP_1)
	v_mad_u64_u32 v[69:70], null, s7, s30, v[65:66]
	v_mad_u64_u32 v[65:66], null, v69, s34, s[14:15]
	s_delay_alu instid0(VALU_DEP_1) | instskip(NEXT) | instid1(VALU_DEP_1)
	v_ashrrev_i32_e32 v66, 31, v65
	v_lshlrev_b64 v[65:66], 2, v[65:66]
	s_waitcnt lgkmcnt(0)
	s_delay_alu instid0(VALU_DEP_1) | instskip(NEXT) | instid1(VALU_DEP_2)
	v_add_co_u32 v69, vcc_lo, s10, v65
	v_add_co_ci_u32_e32 v70, vcc_lo, s11, v66, vcc_lo
	v_add_co_u32 v65, vcc_lo, s8, v65
	v_add_co_ci_u32_e32 v66, vcc_lo, s9, v66, vcc_lo
	global_store_b32 v[69:70], v67, off
	global_store_b32 v[65:66], v68, off
.LBB1905_78:
	s_or_b32 exec_lo, exec_lo, s2
	s_waitcnt lgkmcnt(0)
	s_waitcnt_vscnt null, 0x0
	s_barrier
	buffer_gl0_inv
	ds_load_b128 v[83:86], v80
	ds_load_b128 v[87:90], v80 offset:16
	ds_load_b128 v[95:98], v80 offset:2064
	;; [unrolled: 1-line block ×3, first 2 shown]
	v_mov_b32_e32 v65, 0
	ds_load_b128 v[103:106], v80 offset:4112
	ds_load_b128 v[99:102], v80 offset:4096
	;; [unrolled: 1-line block ×4, first 2 shown]
	v_mov_b32_e32 v66, v65
	v_mov_b32_e32 v67, v65
	;; [unrolled: 1-line block ×7, first 2 shown]
	s_waitcnt lgkmcnt(6)
	s_delay_alu instid0(VALU_DEP_1)
	v_wmma_f32_16x16x16_bf16 v[65:72], v[49:56], v[83:90], v[65:72]
	ds_load_b128 v[53:56], v80 offset:8208
	ds_load_b128 v[49:52], v80 offset:8192
	s_waitcnt lgkmcnt(6)
	v_wmma_f32_16x16x16_bf16 v[65:72], v[41:48], v[91:98], v[65:72]
	ds_load_b128 v[45:48], v80 offset:10256
	ds_load_b128 v[41:44], v80 offset:10240
	s_waitcnt lgkmcnt(6)
	v_wmma_f32_16x16x16_bf16 v[65:72], v[33:40], v[99:106], v[65:72]
	ds_load_b128 v[37:40], v80 offset:12304
	ds_load_b128 v[33:36], v80 offset:12288
	s_waitcnt lgkmcnt(6)
	v_wmma_f32_16x16x16_bf16 v[65:72], v[25:32], v[107:114], v[65:72]
	ds_load_b128 v[29:32], v80 offset:14352
	ds_load_b128 v[25:28], v80 offset:14336
	s_waitcnt lgkmcnt(6)
	v_wmma_f32_16x16x16_bf16 v[65:72], v[1:8], v[49:56], v[65:72]
	s_waitcnt lgkmcnt(4)
	s_delay_alu instid0(VALU_DEP_1) | instskip(SKIP_1) | instid1(VALU_DEP_1)
	v_wmma_f32_16x16x16_bf16 v[65:72], v[9:16], v[41:48], v[65:72]
	s_waitcnt lgkmcnt(2)
	v_wmma_f32_16x16x16_bf16 v[65:72], v[17:24], v[33:40], v[65:72]
	s_waitcnt lgkmcnt(0)
	s_delay_alu instid0(VALU_DEP_1) | instskip(NEXT) | instid1(VALU_DEP_1)
	v_wmma_f32_16x16x16_bf16 v[65:72], v[57:64], v[25:32], v[65:72]
	v_and_b32_e32 v1, 0x7f800000, v65
	s_delay_alu instid0(VALU_DEP_1) | instskip(SKIP_1) | instid1(SALU_CYCLE_1)
	v_cmp_ne_u32_e32 vcc_lo, 0x7f800000, v1
                                        ; implicit-def: $vgpr1
	s_and_saveexec_b32 s2, vcc_lo
	s_xor_b32 s2, exec_lo, s2
; %bb.79:
	v_bfe_u32 v1, v65, 16, 1
	s_delay_alu instid0(VALU_DEP_1)
	v_add3_u32 v1, v65, v1, 0x7fff
; %bb.80:
	s_and_not1_saveexec_b32 s2, s2
; %bb.81:
	v_and_b32_e32 v1, 0xffff, v65
	v_or_b32_e32 v2, 0x10000, v65
	s_delay_alu instid0(VALU_DEP_2) | instskip(NEXT) | instid1(VALU_DEP_2)
	v_cmp_eq_u32_e32 vcc_lo, 0, v1
	v_cndmask_b32_e32 v1, v2, v65, vcc_lo
; %bb.82:
	s_or_b32 exec_lo, exec_lo, s2
	v_and_b32_e32 v2, 0x7f800000, v66
	s_delay_alu instid0(VALU_DEP_1) | instskip(SKIP_1) | instid1(SALU_CYCLE_1)
	v_cmp_ne_u32_e32 vcc_lo, 0x7f800000, v2
                                        ; implicit-def: $vgpr2
	s_and_saveexec_b32 s2, vcc_lo
	s_xor_b32 s2, exec_lo, s2
; %bb.83:
	v_bfe_u32 v2, v66, 16, 1
	s_delay_alu instid0(VALU_DEP_1)
	v_add3_u32 v2, v66, v2, 0x7fff
; %bb.84:
	s_and_not1_saveexec_b32 s2, s2
; %bb.85:
	v_and_b32_e32 v2, 0xffff, v66
	v_or_b32_e32 v3, 0x10000, v66
	s_delay_alu instid0(VALU_DEP_2) | instskip(NEXT) | instid1(VALU_DEP_2)
	v_cmp_eq_u32_e32 vcc_lo, 0, v2
	v_cndmask_b32_e32 v2, v3, v66, vcc_lo
; %bb.86:
	s_or_b32 exec_lo, exec_lo, s2
	v_and_b32_e32 v3, 0x7f800000, v67
	s_delay_alu instid0(VALU_DEP_1) | instskip(SKIP_1) | instid1(SALU_CYCLE_1)
	v_cmp_ne_u32_e32 vcc_lo, 0x7f800000, v3
                                        ; implicit-def: $vgpr3
	s_and_saveexec_b32 s2, vcc_lo
	s_xor_b32 s2, exec_lo, s2
; %bb.87:
	v_bfe_u32 v3, v67, 16, 1
	s_delay_alu instid0(VALU_DEP_1)
	v_add3_u32 v3, v67, v3, 0x7fff
; %bb.88:
	s_and_not1_saveexec_b32 s2, s2
; %bb.89:
	v_and_b32_e32 v3, 0xffff, v67
	v_or_b32_e32 v4, 0x10000, v67
	s_delay_alu instid0(VALU_DEP_2) | instskip(NEXT) | instid1(VALU_DEP_2)
	v_cmp_eq_u32_e32 vcc_lo, 0, v3
	v_cndmask_b32_e32 v3, v4, v67, vcc_lo
; %bb.90:
	s_or_b32 exec_lo, exec_lo, s2
	v_and_b32_e32 v4, 0x7f800000, v68
	s_delay_alu instid0(VALU_DEP_1) | instskip(SKIP_1) | instid1(SALU_CYCLE_1)
	v_cmp_ne_u32_e32 vcc_lo, 0x7f800000, v4
                                        ; implicit-def: $vgpr4
	s_and_saveexec_b32 s2, vcc_lo
	s_xor_b32 s2, exec_lo, s2
; %bb.91:
	v_bfe_u32 v4, v68, 16, 1
	s_delay_alu instid0(VALU_DEP_1)
	v_add3_u32 v4, v68, v4, 0x7fff
; %bb.92:
	s_and_not1_saveexec_b32 s2, s2
; %bb.93:
	v_and_b32_e32 v4, 0xffff, v68
	v_or_b32_e32 v5, 0x10000, v68
	s_delay_alu instid0(VALU_DEP_2) | instskip(NEXT) | instid1(VALU_DEP_2)
	v_cmp_eq_u32_e32 vcc_lo, 0, v4
	v_cndmask_b32_e32 v4, v5, v68, vcc_lo
; %bb.94:
	s_or_b32 exec_lo, exec_lo, s2
	v_and_b32_e32 v5, 0x7f800000, v69
	s_delay_alu instid0(VALU_DEP_1) | instskip(SKIP_1) | instid1(SALU_CYCLE_1)
	v_cmp_ne_u32_e32 vcc_lo, 0x7f800000, v5
                                        ; implicit-def: $vgpr5
	s_and_saveexec_b32 s2, vcc_lo
	s_xor_b32 s2, exec_lo, s2
; %bb.95:
	v_bfe_u32 v5, v69, 16, 1
	s_delay_alu instid0(VALU_DEP_1)
	v_add3_u32 v5, v69, v5, 0x7fff
; %bb.96:
	s_and_not1_saveexec_b32 s2, s2
; %bb.97:
	v_and_b32_e32 v5, 0xffff, v69
	v_or_b32_e32 v6, 0x10000, v69
	s_delay_alu instid0(VALU_DEP_2) | instskip(NEXT) | instid1(VALU_DEP_2)
	v_cmp_eq_u32_e32 vcc_lo, 0, v5
	v_cndmask_b32_e32 v5, v6, v69, vcc_lo
; %bb.98:
	s_or_b32 exec_lo, exec_lo, s2
	v_and_b32_e32 v6, 0x7f800000, v70
	s_delay_alu instid0(VALU_DEP_1) | instskip(SKIP_1) | instid1(SALU_CYCLE_1)
	v_cmp_ne_u32_e32 vcc_lo, 0x7f800000, v6
                                        ; implicit-def: $vgpr6
	s_and_saveexec_b32 s2, vcc_lo
	s_xor_b32 s2, exec_lo, s2
; %bb.99:
	v_bfe_u32 v6, v70, 16, 1
	s_delay_alu instid0(VALU_DEP_1)
	v_add3_u32 v6, v70, v6, 0x7fff
; %bb.100:
	s_and_not1_saveexec_b32 s2, s2
; %bb.101:
	v_and_b32_e32 v6, 0xffff, v70
	v_or_b32_e32 v7, 0x10000, v70
	s_delay_alu instid0(VALU_DEP_2) | instskip(NEXT) | instid1(VALU_DEP_2)
	v_cmp_eq_u32_e32 vcc_lo, 0, v6
	v_cndmask_b32_e32 v6, v7, v70, vcc_lo
; %bb.102:
	s_or_b32 exec_lo, exec_lo, s2
	v_and_b32_e32 v7, 0x7f800000, v71
	s_delay_alu instid0(VALU_DEP_1) | instskip(SKIP_1) | instid1(SALU_CYCLE_1)
	v_cmp_ne_u32_e32 vcc_lo, 0x7f800000, v7
                                        ; implicit-def: $vgpr7
	s_and_saveexec_b32 s2, vcc_lo
	s_xor_b32 s2, exec_lo, s2
; %bb.103:
	v_bfe_u32 v7, v71, 16, 1
	s_delay_alu instid0(VALU_DEP_1)
	v_add3_u32 v7, v71, v7, 0x7fff
; %bb.104:
	s_and_not1_saveexec_b32 s2, s2
; %bb.105:
	v_and_b32_e32 v7, 0xffff, v71
	v_or_b32_e32 v8, 0x10000, v71
	s_delay_alu instid0(VALU_DEP_2) | instskip(NEXT) | instid1(VALU_DEP_2)
	v_cmp_eq_u32_e32 vcc_lo, 0, v7
	v_cndmask_b32_e32 v7, v8, v71, vcc_lo
; %bb.106:
	s_or_b32 exec_lo, exec_lo, s2
	v_and_b32_e32 v8, 0x7f800000, v72
	s_delay_alu instid0(VALU_DEP_1) | instskip(SKIP_1) | instid1(SALU_CYCLE_1)
	v_cmp_ne_u32_e32 vcc_lo, 0x7f800000, v8
                                        ; implicit-def: $vgpr8
	s_and_saveexec_b32 s2, vcc_lo
	s_xor_b32 s2, exec_lo, s2
; %bb.107:
	v_bfe_u32 v8, v72, 16, 1
	s_delay_alu instid0(VALU_DEP_1)
	v_add3_u32 v8, v72, v8, 0x7fff
                                        ; implicit-def: $vgpr65_vgpr66_vgpr67_vgpr68_vgpr69_vgpr70_vgpr71_vgpr72
; %bb.108:
	s_and_not1_saveexec_b32 s2, s2
; %bb.109:
	v_and_b32_e32 v8, 0xffff, v72
	v_or_b32_e32 v9, 0x10000, v72
	s_delay_alu instid0(VALU_DEP_2) | instskip(NEXT) | instid1(VALU_DEP_2)
	v_cmp_eq_u32_e32 vcc_lo, 0, v8
	v_cndmask_b32_e32 v8, v9, v72, vcc_lo
; %bb.110:
	s_or_b32 exec_lo, exec_lo, s2
	s_delay_alu instid0(VALU_DEP_1)
	v_perm_b32 v7, v8, v7, 0x7060302
	v_perm_b32 v6, v6, v5, 0x7060302
	;; [unrolled: 1-line block ×4, first 2 shown]
	s_barrier
	buffer_gl0_inv
	v_cmp_eq_u32_e32 vcc_lo, 1, v78
	ds_store_b128 v76, v[4:7]
	s_waitcnt lgkmcnt(0)
	s_barrier
	buffer_gl0_inv
	ds_load_b128 v[1:4], v82
	ds_load_b128 v[5:8], v82 offset:16
	v_cmp_eq_u32_e64 s2, 1, v79
	v_cmp_eq_u32_e64 s3, 2, v78
	;; [unrolled: 1-line block ×5, first 2 shown]
	s_waitcnt lgkmcnt(1)
	v_lshrrev_b32_e32 v9, 16, v1
	s_waitcnt lgkmcnt(0)
	v_lshrrev_b32_e32 v13, 16, v5
	v_lshrrev_b32_e32 v10, 16, v2
	;; [unrolled: 1-line block ×4, first 2 shown]
	v_cndmask_b32_e64 v19, v1, v9, s2
	v_cndmask_b32_e32 v18, v5, v13, vcc_lo
	v_cndmask_b32_e64 v20, v5, v13, s2
	v_cndmask_b32_e32 v17, v1, v9, vcc_lo
	v_cmp_eq_u32_e32 vcc_lo, 2, v79
	v_lshrrev_b32_e32 v15, 16, v7
	v_cmp_eq_u32_e64 s2, 1, v77
	v_lshrrev_b32_e32 v12, 16, v4
	v_lshrrev_b32_e32 v16, 16, v8
	v_cndmask_b32_e32 v20, v20, v6, vcc_lo
	v_cndmask_b32_e64 v17, v17, v2, s3
	v_cndmask_b32_e32 v19, v19, v2, vcc_lo
	v_cndmask_b32_e64 v18, v18, v6, s3
	v_cmp_eq_u32_e32 vcc_lo, 4, v78
	v_cmp_eq_u32_e64 s3, 3, v79
	v_cndmask_b32_e64 v17, v17, v10, s4
	v_cndmask_b32_e64 v21, v1, v9, s2
	;; [unrolled: 1-line block ×5, first 2 shown]
	v_cndmask_b32_e32 v17, v17, v3, vcc_lo
	v_cndmask_b32_e64 v20, v20, v14, s3
	v_cndmask_b32_e32 v18, v18, v7, vcc_lo
	v_cmp_eq_u32_e32 vcc_lo, 4, v79
	v_cmp_eq_u32_e64 s3, 5, v79
	v_cmp_eq_u32_e64 s2, 2, v81
	v_cndmask_b32_e64 v21, v21, v2, s6
	v_cmp_eq_u32_e64 s4, 5, v78
	v_cndmask_b32_e32 v19, v19, v3, vcc_lo
	v_cndmask_b32_e32 v20, v20, v7, vcc_lo
	v_cmp_eq_u32_e32 vcc_lo, 6, v79
	s_delay_alu instid0(VALU_DEP_4) | instskip(NEXT) | instid1(VALU_DEP_4)
	v_cndmask_b32_e64 v17, v17, v11, s4
	v_cndmask_b32_e64 v19, v19, v11, s3
	s_delay_alu instid0(VALU_DEP_4) | instskip(SKIP_1) | instid1(VALU_DEP_3)
	v_cndmask_b32_e64 v20, v20, v15, s3
	v_cmp_eq_u32_e64 s3, 1, v81
	v_cndmask_b32_e32 v19, v19, v4, vcc_lo
	v_cndmask_b32_e64 v18, v18, v15, s4
	s_delay_alu instid0(VALU_DEP_3)
	v_cndmask_b32_e64 v1, v1, v9, s3
	v_cndmask_b32_e64 v5, v5, v13, s3
	v_cmp_eq_u32_e64 s3, 3, v77
	v_cndmask_b32_e64 v13, v22, v6, s6
	v_cmp_eq_u32_e64 s6, 3, v81
	v_cndmask_b32_e64 v1, v1, v2, s2
	v_cndmask_b32_e64 v2, v5, v6, s2
	;; [unrolled: 1-line block ×3, first 2 shown]
	v_cmp_eq_u32_e64 s2, 4, v77
	v_cndmask_b32_e64 v6, v13, v14, s3
	v_cndmask_b32_e64 v1, v1, v10, s6
	v_cmp_eq_u32_e64 s3, 4, v81
	v_cndmask_b32_e64 v2, v2, v14, s6
	v_cndmask_b32_e64 v5, v9, v3, s2
	;; [unrolled: 3-line block ×3, first 2 shown]
	v_cndmask_b32_e64 v2, v2, v7, s3
	v_cmp_eq_u32_e64 s2, 5, v81
	v_cmp_eq_u32_e64 s4, 6, v78
	v_cndmask_b32_e64 v5, v5, v11, s6
	v_cmp_eq_u32_e64 s3, 6, v77
	v_cndmask_b32_e64 v3, v6, v15, s6
	v_cndmask_b32_e64 v1, v1, v11, s2
	v_cmp_eq_u32_e64 s6, 6, v81
	v_cndmask_b32_e64 v2, v2, v15, s2
	v_cndmask_b32_e64 v17, v17, v4, s4
	v_cndmask_b32_e64 v18, v18, v8, s4
	v_cmp_eq_u32_e64 s4, 7, v78
	v_cndmask_b32_e64 v5, v5, v4, s3
	v_cndmask_b32_e64 v3, v3, v8, s3
	v_cndmask_b32_e64 v1, v1, v4, s6
	v_cmp_eq_u32_e64 s2, 7, v81
	v_cndmask_b32_e64 v2, v2, v8, s6
	v_cmp_eq_u32_e64 s3, 7, v77
	v_cndmask_b32_e32 v4, v20, v8, vcc_lo
	v_cndmask_b32_e64 v17, v17, v12, s4
	v_cndmask_b32_e64 v19, v19, v12, s5
	;; [unrolled: 1-line block ×8, first 2 shown]
	s_mov_b32 s2, exec_lo
	v_perm_b32 v4, v2, v1, 0x5040100
	v_perm_b32 v3, v3, v5, 0x5040100
	;; [unrolled: 1-line block ×4, first 2 shown]
	ds_store_b128 v76, v[1:4]
	s_waitcnt lgkmcnt(0)
	s_barrier
	buffer_gl0_inv
	v_cmpx_gt_u32_e32 32, v0
	s_cbranch_execz .LBB1905_2
; %bb.111:
	s_load_b64 s[0:1], s[0:1], 0x68
	v_lshlrev_b32_e32 v0, 10, v0
	v_or_b32_e32 v1, s29, v74
	s_lshl_b32 s4, s34, 7
	v_lshlrev_b32_e32 v2, 4, v75
	s_mul_i32 s2, s4, s30
	v_lshlrev_b32_e32 v3, 6, v74
	v_mul_lo_u32 v8, v1, s4
	v_and_b32_e32 v0, 0x3800, v0
	v_or_b32_e32 v1, 2, v1
	s_mul_i32 s2, s2, s7
	s_delay_alu instid0(SALU_CYCLE_1) | instskip(NEXT) | instid1(VALU_DEP_2)
	s_ashr_i32 s3, s2, 31
	v_or3_b32 v4, v0, v2, v3
	s_lshl_b64 s[2:3], s[2:3], 1
	v_mul_lo_u32 v10, v1, s4
	v_ashrrev_i32_e32 v9, 31, v8
	ds_load_b128 v[0:3], v4
	ds_load_b128 v[4:7], v4 offset:128
	s_waitcnt lgkmcnt(0)
	s_add_u32 s2, s0, s2
	s_addc_u32 s3, s1, s3
	s_lshl_b32 s0, s14, 7
	v_ashrrev_i32_e32 v11, 31, v10
	s_ashr_i32 s1, s0, 31
	v_lshlrev_b64 v[8:9], 1, v[8:9]
	s_lshl_b64 s[0:1], s[0:1], 1
	s_delay_alu instid0(SALU_CYCLE_1) | instskip(SKIP_2) | instid1(VALU_DEP_1)
	s_add_u32 s0, s2, s0
	s_addc_u32 s1, s3, s1
	v_add_co_u32 v12, s0, s0, v73
	v_add_co_ci_u32_e64 v13, null, s1, 0, s0
	v_lshlrev_b64 v[10:11], 1, v[10:11]
	s_delay_alu instid0(VALU_DEP_3) | instskip(NEXT) | instid1(VALU_DEP_3)
	v_add_co_u32 v8, vcc_lo, v12, v8
	v_add_co_ci_u32_e32 v9, vcc_lo, v13, v9, vcc_lo
	s_delay_alu instid0(VALU_DEP_3) | instskip(NEXT) | instid1(VALU_DEP_4)
	v_add_co_u32 v10, vcc_lo, v12, v10
	v_add_co_ci_u32_e32 v11, vcc_lo, v13, v11, vcc_lo
	s_clause 0x1
	global_store_b128 v[8:9], v[0:3], off
	global_store_b128 v[10:11], v[4:7], off
	s_nop 0
	s_sendmsg sendmsg(MSG_DEALLOC_VGPRS)
	s_endpgm
	.section	.rodata,"a",@progbits
	.p2align	6, 0x0
	.amdhsa_kernel _Z39paged_attention_ll4mi_QKV_mfma16_kernelI14__hip_bfloat16hLN4vllm18Fp8KVCacheDataTypeE1ES0_Li32ELi128ELi256ELb1ELi4EL8MFMAType0EEvPKT_PKT0_S9_ifPKiSB_SB_iPKfiiiPfSE_PS4_PT2_iSD_SD_
		.amdhsa_group_segment_fixed_size 17472
		.amdhsa_private_segment_fixed_size 0
		.amdhsa_kernarg_size 400
		.amdhsa_user_sgpr_count 13
		.amdhsa_user_sgpr_dispatch_ptr 0
		.amdhsa_user_sgpr_queue_ptr 0
		.amdhsa_user_sgpr_kernarg_segment_ptr 1
		.amdhsa_user_sgpr_dispatch_id 0
		.amdhsa_user_sgpr_private_segment_size 0
		.amdhsa_wavefront_size32 1
		.amdhsa_uses_dynamic_stack 0
		.amdhsa_enable_private_segment 0
		.amdhsa_system_sgpr_workgroup_id_x 1
		.amdhsa_system_sgpr_workgroup_id_y 1
		.amdhsa_system_sgpr_workgroup_id_z 1
		.amdhsa_system_sgpr_workgroup_info 0
		.amdhsa_system_vgpr_workitem_id 0
		.amdhsa_next_free_vgpr 140
		.amdhsa_next_free_sgpr 36
		.amdhsa_reserve_vcc 1
		.amdhsa_float_round_mode_32 0
		.amdhsa_float_round_mode_16_64 0
		.amdhsa_float_denorm_mode_32 3
		.amdhsa_float_denorm_mode_16_64 3
		.amdhsa_dx10_clamp 1
		.amdhsa_ieee_mode 1
		.amdhsa_fp16_overflow 0
		.amdhsa_workgroup_processor_mode 1
		.amdhsa_memory_ordered 1
		.amdhsa_forward_progress 0
		.amdhsa_shared_vgpr_count 0
		.amdhsa_exception_fp_ieee_invalid_op 0
		.amdhsa_exception_fp_denorm_src 0
		.amdhsa_exception_fp_ieee_div_zero 0
		.amdhsa_exception_fp_ieee_overflow 0
		.amdhsa_exception_fp_ieee_underflow 0
		.amdhsa_exception_fp_ieee_inexact 0
		.amdhsa_exception_int_div_zero 0
	.end_amdhsa_kernel
	.section	.text._Z39paged_attention_ll4mi_QKV_mfma16_kernelI14__hip_bfloat16hLN4vllm18Fp8KVCacheDataTypeE1ES0_Li32ELi128ELi256ELb1ELi4EL8MFMAType0EEvPKT_PKT0_S9_ifPKiSB_SB_iPKfiiiPfSE_PS4_PT2_iSD_SD_,"axG",@progbits,_Z39paged_attention_ll4mi_QKV_mfma16_kernelI14__hip_bfloat16hLN4vllm18Fp8KVCacheDataTypeE1ES0_Li32ELi128ELi256ELb1ELi4EL8MFMAType0EEvPKT_PKT0_S9_ifPKiSB_SB_iPKfiiiPfSE_PS4_PT2_iSD_SD_,comdat
.Lfunc_end1905:
	.size	_Z39paged_attention_ll4mi_QKV_mfma16_kernelI14__hip_bfloat16hLN4vllm18Fp8KVCacheDataTypeE1ES0_Li32ELi128ELi256ELb1ELi4EL8MFMAType0EEvPKT_PKT0_S9_ifPKiSB_SB_iPKfiiiPfSE_PS4_PT2_iSD_SD_, .Lfunc_end1905-_Z39paged_attention_ll4mi_QKV_mfma16_kernelI14__hip_bfloat16hLN4vllm18Fp8KVCacheDataTypeE1ES0_Li32ELi128ELi256ELb1ELi4EL8MFMAType0EEvPKT_PKT0_S9_ifPKiSB_SB_iPKfiiiPfSE_PS4_PT2_iSD_SD_
                                        ; -- End function
	.section	.AMDGPU.csdata,"",@progbits
; Kernel info:
; codeLenInByte = 8740
; NumSgprs: 38
; NumVgprs: 140
; ScratchSize: 0
; MemoryBound: 0
; FloatMode: 240
; IeeeMode: 1
; LDSByteSize: 17472 bytes/workgroup (compile time only)
; SGPRBlocks: 4
; VGPRBlocks: 17
; NumSGPRsForWavesPerEU: 38
; NumVGPRsForWavesPerEU: 140
; Occupancy: 10
; WaveLimiterHint : 1
; COMPUTE_PGM_RSRC2:SCRATCH_EN: 0
; COMPUTE_PGM_RSRC2:USER_SGPR: 13
; COMPUTE_PGM_RSRC2:TRAP_HANDLER: 0
; COMPUTE_PGM_RSRC2:TGID_X_EN: 1
; COMPUTE_PGM_RSRC2:TGID_Y_EN: 1
; COMPUTE_PGM_RSRC2:TGID_Z_EN: 1
; COMPUTE_PGM_RSRC2:TIDIG_COMP_CNT: 0
	.section	.text._Z39paged_attention_ll4mi_QKV_mfma16_kernelI14__hip_bfloat16hLN4vllm18Fp8KVCacheDataTypeE1ES0_Li32ELi128ELi256ELb0ELi5EL8MFMAType0EEvPKT_PKT0_S9_ifPKiSB_SB_iPKfiiiPfSE_PS4_PT2_iSD_SD_,"axG",@progbits,_Z39paged_attention_ll4mi_QKV_mfma16_kernelI14__hip_bfloat16hLN4vllm18Fp8KVCacheDataTypeE1ES0_Li32ELi128ELi256ELb0ELi5EL8MFMAType0EEvPKT_PKT0_S9_ifPKiSB_SB_iPKfiiiPfSE_PS4_PT2_iSD_SD_,comdat
	.protected	_Z39paged_attention_ll4mi_QKV_mfma16_kernelI14__hip_bfloat16hLN4vllm18Fp8KVCacheDataTypeE1ES0_Li32ELi128ELi256ELb0ELi5EL8MFMAType0EEvPKT_PKT0_S9_ifPKiSB_SB_iPKfiiiPfSE_PS4_PT2_iSD_SD_ ; -- Begin function _Z39paged_attention_ll4mi_QKV_mfma16_kernelI14__hip_bfloat16hLN4vllm18Fp8KVCacheDataTypeE1ES0_Li32ELi128ELi256ELb0ELi5EL8MFMAType0EEvPKT_PKT0_S9_ifPKiSB_SB_iPKfiiiPfSE_PS4_PT2_iSD_SD_
	.globl	_Z39paged_attention_ll4mi_QKV_mfma16_kernelI14__hip_bfloat16hLN4vllm18Fp8KVCacheDataTypeE1ES0_Li32ELi128ELi256ELb0ELi5EL8MFMAType0EEvPKT_PKT0_S9_ifPKiSB_SB_iPKfiiiPfSE_PS4_PT2_iSD_SD_
	.p2align	8
	.type	_Z39paged_attention_ll4mi_QKV_mfma16_kernelI14__hip_bfloat16hLN4vllm18Fp8KVCacheDataTypeE1ES0_Li32ELi128ELi256ELb0ELi5EL8MFMAType0EEvPKT_PKT0_S9_ifPKiSB_SB_iPKfiiiPfSE_PS4_PT2_iSD_SD_,@function
_Z39paged_attention_ll4mi_QKV_mfma16_kernelI14__hip_bfloat16hLN4vllm18Fp8KVCacheDataTypeE1ES0_Li32ELi128ELi256ELb0ELi5EL8MFMAType0EEvPKT_PKT0_S9_ifPKiSB_SB_iPKfiiiPfSE_PS4_PT2_iSD_SD_: ; @_Z39paged_attention_ll4mi_QKV_mfma16_kernelI14__hip_bfloat16hLN4vllm18Fp8KVCacheDataTypeE1ES0_Li32ELi128ELi256ELb0ELi5EL8MFMAType0EEvPKT_PKT0_S9_ifPKiSB_SB_iPKfiiiPfSE_PS4_PT2_iSD_SD_
; %bb.0:
	s_load_b64 s[4:5], s[0:1], 0x30
	s_mov_b32 s30, s13
	s_waitcnt lgkmcnt(0)
	s_cmp_lg_u64 s[4:5], 0
	s_cselect_b32 s13, -1, 0
	s_ashr_i32 s31, s30, 31
	s_cmp_eq_u64 s[4:5], 0
	s_cbranch_scc1 .LBB1906_3
; %bb.1:
	s_lshl_b64 s[2:3], s[30:31], 2
	s_delay_alu instid0(SALU_CYCLE_1) | instskip(SKIP_4) | instid1(SALU_CYCLE_1)
	s_add_u32 s2, s4, s2
	s_addc_u32 s3, s5, s3
	s_load_b64 s[2:3], s[2:3], 0x0
	s_waitcnt lgkmcnt(0)
	s_sub_i32 s2, s3, s2
	s_cmp_eq_u32 s2, 1
	s_cselect_b32 s2, -1, 0
	s_delay_alu instid0(SALU_CYCLE_1)
	s_and_not1_b32 vcc_lo, exec_lo, s2
	s_cbranch_vccz .LBB1906_4
.LBB1906_2:
	s_nop 0
	s_sendmsg sendmsg(MSG_DEALLOC_VGPRS)
	s_endpgm
.LBB1906_3:
.LBB1906_4:
	s_load_b64 s[2:3], s[0:1], 0x28
	s_lshl_b64 s[6:7], s[30:31], 2
	s_waitcnt lgkmcnt(0)
	s_add_u32 s2, s2, s6
	s_addc_u32 s3, s3, s7
	s_lshl_b32 s12, s14, 8
	s_load_b32 s17, s[2:3], 0x0
	s_waitcnt lgkmcnt(0)
	s_cmp_ge_i32 s12, s17
	s_cbranch_scc1 .LBB1906_2
; %bb.5:
	s_clause 0x1
	s_load_b128 s[8:11], s[0:1], 0x8
	s_load_b64 s[2:3], s[0:1], 0x20
	s_and_not1_b32 vcc_lo, exec_lo, s13
	s_cbranch_vccnz .LBB1906_7
; %bb.6:
	s_add_u32 s4, s4, s6
	s_addc_u32 s5, s5, s7
	s_load_b32 s13, s[4:5], 0x0
	s_branch .LBB1906_8
.LBB1906_7:
	s_mov_b32 s13, s30
.LBB1906_8:
	s_load_b128 s[4:7], s[0:1], 0x48
	v_and_b32_e32 v65, 15, v0
	v_lshrrev_b32_e32 v66, 5, v0
	v_bfe_u32 v74, v0, 4, 1
	v_and_b32_e32 v67, 31, v0
	v_and_b32_e32 v75, 1, v0
	v_lshlrev_b32_e32 v2, 3, v65
	s_mul_i32 s31, s15, 5
	v_lshl_or_b32 v1, v66, 1, v74
	s_waitcnt lgkmcnt(0)
	s_mov_b32 s7, exec_lo
	v_lshlrev_b32_e32 v73, 1, v2
	s_delay_alu instid0(VALU_DEP_2)
	v_cmpx_gt_u32_e32 5, v1
	s_cbranch_execz .LBB1906_10
; %bb.9:
	s_load_b64 s[18:19], s[0:1], 0x0
	v_add_lshl_u32 v2, v1, s31, 7
	s_mul_hi_i32 s21, s13, s4
	s_mul_i32 s20, s13, s4
	v_lshlrev_b32_e32 v6, 10, v65
	s_lshl_b64 s[20:21], s[20:21], 1
	v_ashrrev_i32_e32 v3, 31, v2
	v_lshlrev_b32_e32 v1, 6, v1
	v_lshlrev_b32_e32 v7, 10, v75
	v_and_b32_e32 v6, 0x3800, v6
	s_delay_alu instid0(VALU_DEP_4) | instskip(NEXT) | instid1(VALU_DEP_2)
	v_lshlrev_b64 v[2:3], 1, v[2:3]
	v_or3_b32 v1, v6, v7, v1
	s_waitcnt lgkmcnt(0)
	s_add_u32 s4, s18, s20
	s_addc_u32 s13, s19, s21
	s_delay_alu instid0(VALU_DEP_2) | instskip(SKIP_1) | instid1(VALU_DEP_2)
	v_add_co_u32 v2, vcc_lo, s4, v2
	v_add_co_ci_u32_e32 v3, vcc_lo, s13, v3, vcc_lo
	v_add_co_u32 v2, vcc_lo, v2, v73
	s_delay_alu instid0(VALU_DEP_2)
	v_add_co_ci_u32_e32 v3, vcc_lo, 0, v3, vcc_lo
	global_load_b128 v[2:5], v[2:3], off
	s_waitcnt vmcnt(0)
	ds_store_b128 v1, v[2:5]
.LBB1906_10:
	s_or_b32 exec_lo, exec_lo, s7
	v_and_b32_e32 v1, 0xef, v0
	s_add_i32 s4, s17, 31
	s_clause 0x1
	s_load_b32 s7, s[0:1], 0x38
	s_load_b32 s18, s[0:1], 0x1c
	s_ashr_i32 s13, s4, 31
	v_add_nc_u32_e32 v2, s12, v1
	s_lshr_b32 s13, s13, 27
	s_waitcnt lgkmcnt(0)
	s_add_i32 s4, s4, s13
	s_barrier
	v_ashrrev_i32_e32 v1, 31, v2
	s_ashr_i32 s4, s4, 5
	v_cmp_gt_i32_e32 vcc_lo, s17, v2
	s_add_i32 s4, s4, -1
	buffer_gl0_inv
	v_lshrrev_b32_e32 v3, 27, v1
	v_or_b32_e32 v1, 16, v2
	s_mul_i32 s15, s15, s6
	s_delay_alu instid0(VALU_DEP_2) | instskip(SKIP_1) | instid1(SALU_CYCLE_1)
	v_add_nc_u32_e32 v4, v2, v3
	s_mul_i32 s20, s30, s7
	s_ashr_i32 s21, s20, 31
	s_delay_alu instid0(VALU_DEP_1) | instskip(SKIP_2) | instid1(SALU_CYCLE_1)
	v_ashrrev_i32_e32 v4, 5, v4
	v_add_nc_u32_e32 v3, v1, v3
	s_lshl_b64 s[20:21], s[20:21], 2
	s_add_u32 s7, s2, s20
	s_delay_alu instid0(VALU_DEP_2) | instskip(NEXT) | instid1(VALU_DEP_2)
	v_cndmask_b32_e32 v2, s4, v4, vcc_lo
	v_ashrrev_i32_e32 v3, 5, v3
	v_cmp_gt_i32_e32 vcc_lo, s17, v1
	s_addc_u32 s13, s3, s21
	s_ashr_i32 s6, s15, 31
	s_add_u32 s2, s8, s15
	s_addc_u32 s3, s9, s6
	v_cndmask_b32_e32 v4, s4, v3, vcc_lo
	v_ashrrev_i32_e32 v3, 31, v2
	s_lshl_b32 s8, s14, 3
	s_delay_alu instid0(SALU_CYCLE_1) | instskip(NEXT) | instid1(VALU_DEP_2)
	s_ashr_i32 s9, s8, 31
	v_ashrrev_i32_e32 v5, 31, v4
	s_delay_alu instid0(VALU_DEP_2) | instskip(SKIP_1) | instid1(SALU_CYCLE_1)
	v_lshlrev_b64 v[1:2], 2, v[2:3]
	s_lshl_b64 s[8:9], s[8:9], 2
	s_add_u32 s8, s7, s8
	s_delay_alu instid0(VALU_DEP_2) | instskip(SKIP_1) | instid1(VALU_DEP_2)
	v_lshlrev_b64 v[3:4], 2, v[4:5]
	s_addc_u32 s9, s13, s9
	v_add_co_u32 v1, vcc_lo, s7, v1
	v_add_co_ci_u32_e32 v2, vcc_lo, s13, v2, vcc_lo
	s_delay_alu instid0(VALU_DEP_3) | instskip(NEXT) | instid1(VALU_DEP_4)
	v_add_co_u32 v3, vcc_lo, s7, v3
	v_add_co_ci_u32_e32 v4, vcc_lo, s13, v4, vcc_lo
	s_clause 0x1
	global_load_b32 v5, v[1:2], off
	global_load_b32 v6, v[3:4], off
	s_or_b32 s16, s12, 32
	s_delay_alu instid0(SALU_CYCLE_1) | instskip(SKIP_2) | instid1(SALU_CYCLE_1)
	s_ashr_i32 s19, s16, 5
	s_cmp_lt_i32 s16, s17
	s_cselect_b32 s20, s19, s4
	s_ashr_i32 s21, s20, 31
	s_delay_alu instid0(SALU_CYCLE_1) | instskip(NEXT) | instid1(SALU_CYCLE_1)
	s_lshl_b64 s[20:21], s[20:21], 2
	s_add_u32 s20, s7, s20
	s_addc_u32 s21, s13, s21
	s_or_b32 s16, s12, 64
	s_delay_alu instid0(SALU_CYCLE_1) | instskip(SKIP_2) | instid1(SALU_CYCLE_1)
	s_ashr_i32 s19, s16, 5
	s_cmp_lt_i32 s16, s17
	s_cselect_b32 s22, s19, s4
	s_ashr_i32 s23, s22, 31
	s_delay_alu instid0(SALU_CYCLE_1) | instskip(NEXT) | instid1(SALU_CYCLE_1)
	s_lshl_b64 s[22:23], s[22:23], 2
	s_add_u32 s22, s7, s22
	s_addc_u32 s23, s13, s23
	;; [unrolled: 10-line block ×5, first 2 shown]
	s_clause 0x5
	s_load_b32 s16, s[8:9], 0x0
	s_load_b32 s19, s[20:21], 0x0
	;; [unrolled: 1-line block ×6, first 2 shown]
	s_mov_b32 s20, 0
	s_delay_alu instid0(SALU_CYCLE_1)
	s_mov_b32 s21, s20
	s_mov_b32 s22, s20
	;; [unrolled: 1-line block ×7, first 2 shown]
	s_delay_alu instid0(SALU_CYCLE_1)
	v_dual_mov_b32 v107, s27 :: v_dual_mov_b32 v106, s26
	v_dual_mov_b32 v105, s25 :: v_dual_mov_b32 v102, s22
	;; [unrolled: 1-line block ×4, first 2 shown]
	s_waitcnt vmcnt(1)
	v_mad_i64_i32 v[1:2], null, v5, s5, s[2:3]
	v_lshlrev_b32_e32 v5, 4, v65
	s_waitcnt vmcnt(0)
	v_mad_i64_i32 v[3:4], null, v6, s5, s[2:3]
	s_or_b32 s2, s12, 0xc0
	s_delay_alu instid0(SALU_CYCLE_1) | instskip(NEXT) | instid1(VALU_DEP_3)
	s_ashr_i32 s3, s2, 5
	v_add_co_u32 v25, vcc_lo, v1, v5
	s_delay_alu instid0(VALU_DEP_4) | instskip(NEXT) | instid1(VALU_DEP_3)
	v_add_co_ci_u32_e32 v26, vcc_lo, 0, v2, vcc_lo
	v_add_co_u32 v27, vcc_lo, v3, v5
	s_delay_alu instid0(VALU_DEP_4)
	v_add_co_ci_u32_e32 v28, vcc_lo, 0, v4, vcc_lo
	s_clause 0xf
	global_load_b128 v[1:4], v[25:26], off
	global_load_b128 v[5:8], v[25:26], off offset:512
	global_load_b128 v[9:12], v[27:28], off offset:256
	;; [unrolled: 1-line block ×15, first 2 shown]
	v_mul_lo_u16 v25, v65, 52
	s_cmp_lt_i32 s2, s17
	v_lshlrev_b32_e32 v26, 5, v65
	s_cselect_b32 s2, s3, s4
	s_delay_alu instid0(VALU_DEP_2) | instskip(SKIP_1) | instid1(VALU_DEP_2)
	v_lshrrev_b16 v25, 8, v25
	s_ashr_i32 s3, s2, 31
	v_lshl_or_b32 v33, v66, 9, v26
	s_lshl_b64 s[2:3], s[2:3], 2
	s_delay_alu instid0(VALU_DEP_2) | instskip(SKIP_3) | instid1(VALU_DEP_1)
	v_mul_lo_u16 v25, v25, 5
	s_add_u32 s2, s7, s2
	s_addc_u32 s3, s13, s3
	s_or_b32 s8, s12, 0xe0
	v_sub_nc_u16 v25, v65, v25
	s_ashr_i32 s9, s8, 5
	s_cmp_lt_i32 s8, s17
	s_cselect_b32 s8, s9, s4
	s_delay_alu instid0(VALU_DEP_1) | instskip(SKIP_1) | instid1(SALU_CYCLE_1)
	v_and_b32_e32 v25, 0xff, v25
	s_ashr_i32 s9, s8, 31
	s_lshl_b64 s[8:9], s[8:9], 2
	s_delay_alu instid0(VALU_DEP_1)
	v_lshlrev_b32_e32 v72, 6, v25
	ds_load_b128 v[25:28], v72
	ds_load_b128 v[29:32], v72 offset:1024
	ds_load_b128 v[108:111], v72 offset:2048
	;; [unrolled: 1-line block ×3, first 2 shown]
	s_load_b32 s4, s[2:3], 0x0
	s_add_u32 s2, s7, s8
	s_addc_u32 s3, s13, s9
	ds_load_b128 v[116:119], v72 offset:4096
	ds_load_b128 v[120:123], v72 offset:5120
	s_load_b32 s2, s[2:3], 0x0
	s_add_u32 s7, s10, s15
	s_addc_u32 s6, s11, s6
	v_add_co_u32 v68, s7, s7, v33
	s_delay_alu instid0(VALU_DEP_1) | instskip(SKIP_1) | instid1(VALU_DEP_1)
	v_add_co_ci_u32_e64 v69, null, s6, 0, s7
	s_waitcnt lgkmcnt(0)
	v_mad_i64_i32 v[33:34], null, s16, s5, v[68:69]
	v_mad_i64_i32 v[70:71], null, s33, s5, v[68:69]
	;; [unrolled: 1-line block ×7, first 2 shown]
	s_clause 0x3
	global_load_b128 v[41:44], v[33:34], off
	global_load_b128 v[45:48], v[33:34], off offset:16
	global_load_b128 v[33:36], v[37:38], off
	global_load_b128 v[37:40], v[37:38], off offset:16
	s_waitcnt vmcnt(18)
	v_wmma_f32_16x16x16_bf16 v[124:131], v[1:8], v[25:32], v[100:107]
	s_waitcnt vmcnt(16)
	v_wmma_f32_16x16x16_bf16 v[100:107], v[9:16], v[25:32], v[100:107]
	s_clause 0x1
	global_load_b128 v[25:28], v[70:71], off
	global_load_b128 v[29:32], v[70:71], off offset:16
	s_waitcnt vmcnt(16)
	v_wmma_f32_16x16x16_bf16 v[124:131], v[17:24], v[108:115], v[124:131]
	s_clause 0x1
	global_load_b128 v[17:20], v[132:133], off
	global_load_b128 v[21:24], v[132:133], off offset:16
	s_waitcnt vmcnt(16)
	v_wmma_f32_16x16x16_bf16 v[100:107], v[49:56], v[108:115], v[100:107]
	v_mad_i64_i32 v[53:54], null, s2, s5, v[68:69]
	s_clause 0x3
	global_load_b128 v[1:4], v[134:135], off
	global_load_b128 v[5:8], v[134:135], off offset:16
	global_load_b128 v[9:12], v[136:137], off
	global_load_b128 v[13:16], v[136:137], off offset:16
	s_waitcnt vmcnt(18)
	v_wmma_f32_16x16x16_bf16 v[124:131], v[57:64], v[116:123], v[124:131]
	s_clause 0x3
	global_load_b128 v[57:60], v[138:139], off
	global_load_b128 v[61:64], v[138:139], off offset:16
	global_load_b128 v[49:52], v[53:54], off
	global_load_b128 v[53:56], v[53:54], off offset:16
	s_waitcnt vmcnt(20)
	v_wmma_f32_16x16x16_bf16 v[100:107], v[76:83], v[116:123], v[100:107]
	ds_load_b128 v[76:79], v72 offset:6144
	ds_load_b128 v[80:83], v72 offset:7168
	v_mbcnt_lo_u32_b32 v69, -1, 0
	s_waitcnt vmcnt(0) lgkmcnt(0)
	s_barrier
	buffer_gl0_inv
	v_xor_b32_e32 v70, 16, v69
	s_delay_alu instid0(VALU_DEP_1) | instskip(SKIP_4) | instid1(VALU_DEP_2)
	v_cmp_gt_i32_e32 vcc_lo, 32, v70
	v_cndmask_b32_e32 v69, v69, v70, vcc_lo
	v_wmma_f32_16x16x16_bf16 v[124:131], v[84:91], v[76:83], v[124:131]
	v_and_b32_e32 v68, 0xe0, v0
	v_wmma_f32_16x16x16_bf16 v[100:107], v[92:99], v[76:83], v[100:107]
	v_dual_mul_f32 v81, s18, v129 :: v_dual_add_nc_u32 v68, s12, v68
	s_delay_alu instid0(VALU_DEP_4) | instskip(NEXT) | instid1(VALU_DEP_3)
	v_dual_mul_f32 v83, s18, v131 :: v_dual_mul_f32 v78, s18, v125
	v_mul_f32_e32 v95, s18, v103
	v_mul_f32_e32 v79, s18, v127
	s_delay_alu instid0(VALU_DEP_4) | instskip(SKIP_3) | instid1(VALU_DEP_4)
	v_or_b32_e32 v68, v68, v74
	v_dual_mul_f32 v80, s18, v126 :: v_dual_mul_f32 v97, s18, v105
	v_dual_mul_f32 v93, s18, v101 :: v_dual_mul_f32 v82, s18, v128
	v_mul_f32_e32 v99, s18, v107
	v_or_b32_e32 v70, 2, v68
	v_or_b32_e32 v71, 4, v68
	;; [unrolled: 1-line block ×3, first 2 shown]
	v_cmp_gt_i32_e64 s2, s17, v68
	v_or_b32_e32 v108, 8, v68
	v_cmp_gt_i32_e32 vcc_lo, s17, v70
	v_mul_f32_e32 v70, s18, v124
	v_or_b32_e32 v109, 10, v68
	v_cmp_gt_i32_e64 s3, s17, v71
	v_cmp_gt_i32_e64 s4, s17, v72
	v_cndmask_b32_e32 v78, 0xff7fffff, v78, vcc_lo
	v_cndmask_b32_e64 v70, 0xff7fffff, v70, s2
	v_or_b32_e32 v84, 12, v68
	v_or_b32_e32 v85, 14, v68
	v_cndmask_b32_e64 v71, 0xff7fffff, v80, s3
	v_cndmask_b32_e64 v72, 0xff7fffff, v79, s4
	v_max3_f32 v70, v70, 0xff7fffff, v78
	v_cmp_gt_i32_e64 s5, s17, v108
	v_cmp_gt_i32_e64 s6, s17, v109
	v_or_b32_e32 v86, 16, v68
	v_or_b32_e32 v87, 18, v68
	;; [unrolled: 1-line block ×3, first 2 shown]
	v_mul_f32_e32 v92, s18, v130
	v_cndmask_b32_e64 v78, 0xff7fffff, v82, s5
	v_cndmask_b32_e64 v79, 0xff7fffff, v81, s6
	v_max3_f32 v70, v70, v71, v72
	v_cmp_gt_i32_e64 s7, s17, v84
	v_cmp_gt_i32_e64 s8, s17, v85
	v_or_b32_e32 v88, 20, v68
	v_mul_f32_e32 v94, s18, v100
	v_max3_f32 v70, v70, v78, v79
	v_cmp_gt_i32_e64 s9, s17, v86
	v_cndmask_b32_e64 v72, 0xff7fffff, v83, s8
	v_cmp_gt_i32_e64 s10, s17, v87
	v_cmp_gt_i32_e64 s12, s17, v89
	v_lshlrev_b32_e32 v89, 2, v69
	v_cndmask_b32_e64 v71, 0xff7fffff, v92, s7
	v_or_b32_e32 v90, 24, v68
	v_or_b32_e32 v91, 26, v68
	v_mul_f32_e32 v96, s18, v102
	v_cndmask_b32_e64 v78, 0xff7fffff, v94, s9
	v_cndmask_b32_e64 v79, 0xff7fffff, v93, s10
	v_max3_f32 v70, v70, v71, v72
	v_cmp_gt_i32_e64 s11, s17, v88
	v_or_b32_e32 v76, 28, v68
	v_or_b32_e32 v77, 30, v68
	v_mul_f32_e32 v98, s18, v104
	v_cndmask_b32_e64 v72, 0xff7fffff, v95, s12
	v_cndmask_b32_e64 v71, 0xff7fffff, v96, s11
	v_max3_f32 v70, v70, v78, v79
	v_cmp_gt_i32_e64 s13, s17, v90
	v_cmp_gt_i32_e64 s15, s17, v91
	v_mul_f32_e32 v68, s18, v106
	v_cmp_gt_i32_e64 s16, s17, v76
	v_max3_f32 v70, v70, v71, v72
	v_cndmask_b32_e64 v78, 0xff7fffff, v98, s13
	v_cndmask_b32_e64 v79, 0xff7fffff, v97, s15
	v_cmp_gt_i32_e64 s17, s17, v77
	v_cndmask_b32_e64 v68, 0xff7fffff, v68, s16
	s_delay_alu instid0(VALU_DEP_3) | instskip(NEXT) | instid1(VALU_DEP_3)
	v_max3_f32 v70, v70, v78, v79
	v_cndmask_b32_e64 v71, 0xff7fffff, v99, s17
	s_delay_alu instid0(VALU_DEP_1) | instskip(SKIP_3) | instid1(VALU_DEP_1)
	v_max3_f32 v68, v70, v68, v71
	ds_bpermute_b32 v69, v89, v68
	s_waitcnt lgkmcnt(0)
	v_max_f32_e32 v69, v69, v69
	v_max_f32_e32 v68, v68, v69
	s_delay_alu instid0(VALU_DEP_1) | instskip(NEXT) | instid1(VALU_DEP_1)
	v_fma_f32 v71, s18, v126, -v68
	v_mul_f32_e32 v71, 0x3fb8aa3b, v71
	s_delay_alu instid0(VALU_DEP_1) | instskip(SKIP_3) | instid1(VALU_DEP_1)
	v_exp_f32_e32 v71, v71
	s_waitcnt_depctr 0xfff
	v_cndmask_b32_e64 v83, 0, v71, s3
	v_fma_f32 v71, s18, v131, -v68
	v_mul_f32_e32 v71, 0x3fb8aa3b, v71
	v_fma_f32 v69, s18, v124, -v68
	v_fma_f32 v76, s18, v128, -v68
	;; [unrolled: 1-line block ×4, first 2 shown]
	v_exp_f32_e32 v71, v71
	v_mul_f32_e32 v69, 0x3fb8aa3b, v69
	v_mul_f32_e32 v77, 0x3fb8aa3b, v76
	v_fma_f32 v81, s18, v105, -v68
	v_fma_f32 v78, s18, v130, -v68
	s_delay_alu instid0(VALU_DEP_4) | instskip(NEXT) | instid1(VALU_DEP_3)
	v_exp_f32_e32 v69, v69
	v_exp_f32_e32 v77, v77
	s_delay_alu instid0(VALU_DEP_2) | instskip(NEXT) | instid1(TRANS32_DEP_3)
	v_mul_f32_e32 v81, 0x3fb8aa3b, v81
	v_cndmask_b32_e64 v88, 0, v71, s8
	v_fma_f32 v71, s18, v104, -v68
	s_delay_alu instid0(VALU_DEP_3) | instskip(NEXT) | instid1(TRANS32_DEP_3)
	v_exp_f32_e32 v81, v81
	v_cndmask_b32_e64 v80, 0, v69, s2
	v_fma_f32 v69, s18, v129, -v68
	v_mul_f32_e32 v70, 0x3fb8aa3b, v70
	s_delay_alu instid0(TRANS32_DEP_2)
	v_cndmask_b32_e64 v86, 0, v77, s5
	v_mul_f32_e32 v72, 0x3fb8aa3b, v72
	v_fma_f32 v77, s18, v101, -v68
	v_mul_f32_e32 v69, 0x3fb8aa3b, v69
	v_exp_f32_e32 v70, v70
	v_mul_f32_e32 v71, 0x3fb8aa3b, v71
	v_exp_f32_e32 v72, v72
	;; [unrolled: 2-line block ×3, first 2 shown]
	v_cmp_gt_u32_e64 s2, 16, v67
	v_exp_f32_e32 v82, v71
	s_delay_alu instid0(VALU_DEP_2) | instskip(SKIP_4) | instid1(TRANS32_DEP_3)
	v_exp_f32_e32 v77, v77
	v_cndmask_b32_e32 v76, 0, v70, vcc_lo
	v_add_f32_e32 v70, 0, v80
	v_cndmask_b32_e64 v85, 0, v72, s4
	v_fma_f32 v72, s18, v100, -v68
	v_cndmask_b32_e64 v87, 0, v69, s6
	s_delay_alu instid0(VALU_DEP_4) | instskip(NEXT) | instid1(VALU_DEP_3)
	v_add_f32_e32 v70, v70, v76
	v_mul_f32_e32 v72, 0x3fb8aa3b, v72
	s_delay_alu instid0(VALU_DEP_2) | instskip(NEXT) | instid1(VALU_DEP_2)
	v_add_f32_e32 v70, v70, v83
	v_exp_f32_e32 v72, v72
	s_delay_alu instid0(VALU_DEP_1) | instskip(NEXT) | instid1(VALU_DEP_1)
	v_add_f32_e32 v70, v70, v85
	v_add_f32_e32 v69, v70, v86
	v_fma_f32 v70, s18, v102, -v68
	s_delay_alu instid0(VALU_DEP_2) | instskip(NEXT) | instid1(VALU_DEP_2)
	v_dual_add_f32 v69, v69, v87 :: v_dual_mul_f32 v78, 0x3fb8aa3b, v78
	v_mul_f32_e32 v70, 0x3fb8aa3b, v70
	s_delay_alu instid0(VALU_DEP_2) | instskip(NEXT) | instid1(VALU_DEP_1)
	v_exp_f32_e32 v78, v78
	v_exp_f32_e32 v79, v70
	s_delay_alu instid0(TRANS32_DEP_3) | instskip(SKIP_4) | instid1(VALU_DEP_2)
	v_cndmask_b32_e64 v70, 0, v72, s9
	s_waitcnt_depctr 0xfff
	v_cndmask_b32_e64 v84, 0, v78, s7
	v_fma_f32 v78, s18, v103, -v68
	v_cndmask_b32_e64 v71, 0, v79, s11
	v_dual_add_f32 v69, v69, v84 :: v_dual_mul_f32 v78, 0x3fb8aa3b, v78
	s_delay_alu instid0(VALU_DEP_1) | instskip(NEXT) | instid1(VALU_DEP_2)
	v_add_f32_e32 v72, v69, v88
	v_exp_f32_e32 v78, v78
	v_cndmask_b32_e64 v69, 0, v77, s10
	v_fma_f32 v77, s18, v106, -v68
	s_delay_alu instid0(VALU_DEP_1) | instskip(NEXT) | instid1(VALU_DEP_1)
	v_dual_add_f32 v72, v72, v70 :: v_dual_mul_f32 v77, 0x3fb8aa3b, v77
	v_add_f32_e32 v79, v72, v69
	s_waitcnt_depctr 0xfff
	v_cndmask_b32_e64 v72, 0, v78, s12
	v_exp_f32_e32 v90, v77
	v_cndmask_b32_e64 v77, 0, v82, s13
	v_add_f32_e32 v78, v79, v71
	v_fma_f32 v79, s18, v107, -v68
	s_delay_alu instid0(VALU_DEP_1) | instskip(SKIP_1) | instid1(VALU_DEP_2)
	v_dual_add_f32 v82, v78, v72 :: v_dual_mul_f32 v79, 0x3fb8aa3b, v79
	v_cndmask_b32_e64 v78, 0, v81, s15
	v_add_f32_e32 v81, v82, v77
	s_delay_alu instid0(VALU_DEP_3) | instskip(NEXT) | instid1(TRANS32_DEP_2)
	v_exp_f32_e32 v82, v79
	v_cndmask_b32_e64 v79, 0, v90, s16
	s_delay_alu instid0(VALU_DEP_2) | instskip(NEXT) | instid1(VALU_DEP_1)
	v_add_f32_e32 v81, v81, v78
	v_add_f32_e32 v90, v81, v79
	s_waitcnt_depctr 0xfff
	v_cndmask_b32_e64 v81, 0, v82, s17
	s_delay_alu instid0(VALU_DEP_1)
	v_add_f32_e32 v82, v90, v81
	ds_bpermute_b32 v89, v89, v82
	s_and_saveexec_b32 s3, s2
	s_cbranch_execz .LBB1906_12
; %bb.11:
	v_mul_u32_u24_e32 v67, 0x44, v66
	s_delay_alu instid0(VALU_DEP_1) | instskip(SKIP_1) | instid1(VALU_DEP_1)
	v_lshl_add_u32 v67, v65, 2, v67
	s_waitcnt lgkmcnt(0)
	v_dual_add_f32 v82, v82, v89 :: v_dual_add_nc_u32 v67, 0x4000, v67
	ds_store_2addr_b32 v67, v68, v82 offset1:136
.LBB1906_12:
	s_or_b32 exec_lo, exec_lo, s3
	v_lshlrev_b32_e32 v67, 2, v65
	s_waitcnt lgkmcnt(0)
	s_barrier
	buffer_gl0_inv
	v_cmp_eq_u32_e32 vcc_lo, 1, v66
	v_add_nc_u32_e32 v82, 0x4000, v67
	v_cmp_eq_u32_e64 s3, 2, v66
	v_cmp_eq_u32_e64 s5, 7, v66
	ds_load_2addr_b32 v[89:90], v82 offset1:17
	ds_load_2addr_b32 v[91:92], v82 offset0:34 offset1:51
	ds_load_2addr_b32 v[93:94], v82 offset0:68 offset1:85
	ds_load_2addr_b32 v[95:96], v82 offset0:102 offset1:119
	ds_load_2addr_b32 v[97:98], v82 offset0:136 offset1:153
	s_waitcnt lgkmcnt(4)
	v_max3_f32 v67, v89, 0xff7fffff, v90
	s_waitcnt lgkmcnt(3)
	s_delay_alu instid0(VALU_DEP_1) | instskip(SKIP_1) | instid1(VALU_DEP_1)
	v_max3_f32 v67, v67, v91, v92
	s_waitcnt lgkmcnt(2)
	v_max3_f32 v67, v67, v93, v94
	s_waitcnt lgkmcnt(1)
	s_delay_alu instid0(VALU_DEP_1) | instskip(NEXT) | instid1(VALU_DEP_1)
	v_max3_f32 v67, v67, v95, v96
	v_sub_f32_e32 v93, v93, v67
	s_delay_alu instid0(VALU_DEP_1) | instskip(NEXT) | instid1(VALU_DEP_1)
	v_dual_sub_f32 v68, v89, v67 :: v_dual_mul_f32 v103, 0x3fb8aa3b, v93
	v_mul_f32_e32 v68, 0x3fb8aa3b, v68
	s_delay_alu instid0(VALU_DEP_1)
	v_exp_f32_e32 v100, v68
	v_sub_f32_e32 v68, v92, v67
	v_sub_f32_e32 v99, v90, v67
	ds_load_2addr_b32 v[89:90], v82 offset0:170 offset1:187
	v_dual_mul_f32 v102, 0x3fb8aa3b, v68 :: v_dual_mul_f32 v99, 0x3fb8aa3b, v99
	s_waitcnt lgkmcnt(1)
	v_fma_f32 v68, v100, v97, 0
	s_delay_alu instid0(VALU_DEP_2) | instskip(NEXT) | instid1(VALU_DEP_2)
	v_exp_f32_e32 v102, v102
	v_exp_f32_e32 v99, v99
	s_waitcnt_depctr 0xfff
	v_fmac_f32_e32 v68, v99, v98
	v_sub_f32_e32 v91, v91, v67
	s_delay_alu instid0(VALU_DEP_1)
	v_mul_f32_e32 v101, 0x3fb8aa3b, v91
	ds_load_2addr_b32 v[91:92], v82 offset0:204 offset1:221
	v_sub_f32_e32 v97, v94, v67
	ds_load_2addr_b32 v[93:94], v82 offset0:238 offset1:255
	s_waitcnt lgkmcnt(0)
	v_exp_f32_e32 v101, v101
	s_barrier
	buffer_gl0_inv
	v_dual_fmac_f32 v68, v101, v89 :: v_dual_sub_f32 v89, v96, v67
	v_dual_sub_f32 v82, v95, v67 :: v_dual_mul_f32 v95, 0x3fb8aa3b, v97
	v_exp_f32_e32 v97, v103
	s_delay_alu instid0(VALU_DEP_2) | instskip(NEXT) | instid1(VALU_DEP_2)
	v_dual_fmac_f32 v68, v102, v90 :: v_dual_mul_f32 v89, 0x3fb8aa3b, v89
	v_mul_f32_e32 v82, 0x3fb8aa3b, v82
	s_delay_alu instid0(VALU_DEP_3) | instskip(NEXT) | instid1(VALU_DEP_2)
	v_exp_f32_e32 v95, v95
	v_exp_f32_e32 v89, v89
	s_delay_alu instid0(VALU_DEP_1)
	v_exp_f32_e32 v82, v82
	v_fmac_f32_e32 v68, v97, v91
	s_delay_alu instid0(TRANS32_DEP_3) | instid1(VALU_DEP_1)
	v_fmac_f32_e32 v68, v95, v92
	s_waitcnt_depctr 0xfff
	v_fmac_f32_e32 v68, v82, v93
	s_delay_alu instid0(VALU_DEP_1) | instskip(NEXT) | instid1(VALU_DEP_1)
	v_fmac_f32_e32 v68, v89, v94
	v_add_f32_e32 v90, 0x358637bd, v68
	s_delay_alu instid0(VALU_DEP_1) | instskip(NEXT) | instid1(VALU_DEP_1)
	v_div_scale_f32 v91, null, v90, v90, 1.0
	v_rcp_f32_e32 v92, v91
	s_waitcnt_depctr 0xfff
	v_fma_f32 v93, -v91, v92, 1.0
	s_delay_alu instid0(VALU_DEP_1) | instskip(SKIP_1) | instid1(VALU_DEP_2)
	v_dual_fmac_f32 v92, v93, v92 :: v_dual_cndmask_b32 v93, v100, v99
	v_cmp_eq_u32_e32 vcc_lo, 3, v66
	v_cndmask_b32_e64 v93, v93, v101, s3
	v_cmp_eq_u32_e64 s3, 4, v66
	s_delay_alu instid0(VALU_DEP_2) | instskip(SKIP_1) | instid1(VALU_DEP_2)
	v_cndmask_b32_e32 v93, v93, v102, vcc_lo
	v_cmp_eq_u32_e32 vcc_lo, 5, v66
	v_cndmask_b32_e64 v93, v93, v97, s3
	v_cmp_eq_u32_e64 s3, 6, v66
	s_delay_alu instid0(VALU_DEP_2) | instskip(SKIP_1) | instid1(VALU_DEP_1)
	v_cndmask_b32_e32 v93, v93, v95, vcc_lo
	v_div_scale_f32 v94, s4, 1.0, v90, 1.0
	s_mov_b32 vcc_lo, s4
	s_delay_alu instid0(VALU_DEP_2) | instskip(NEXT) | instid1(VALU_DEP_2)
	v_cndmask_b32_e64 v82, v93, v82, s3
	v_mul_f32_e32 v96, v94, v92
	s_mov_b32 s3, exec_lo
	s_delay_alu instid0(VALU_DEP_2) | instskip(NEXT) | instid1(VALU_DEP_2)
	v_cndmask_b32_e64 v82, v82, v89, s5
	v_fma_f32 v98, -v91, v96, v94
	s_delay_alu instid0(VALU_DEP_1) | instskip(NEXT) | instid1(VALU_DEP_1)
	v_fmac_f32_e32 v96, v98, v92
	v_fma_f32 v91, -v91, v96, v94
	s_delay_alu instid0(VALU_DEP_1) | instskip(NEXT) | instid1(VALU_DEP_1)
	v_div_fmas_f32 v91, v91, v92, v96
	v_div_fixup_f32 v90, v91, v90, 1.0
	s_delay_alu instid0(VALU_DEP_1) | instskip(NEXT) | instid1(VALU_DEP_1)
	v_mul_f32_e32 v82, v82, v90
	v_mul_f32_e32 v87, v82, v87
	;; [unrolled: 1-line block ×7, first 2 shown]
	v_dual_mul_f32 v86, v82, v83 :: v_dual_and_b32 v91, 0x7f800000, v90
	v_mul_f32_e32 v85, v82, v76
                                        ; implicit-def: $vgpr76
	s_delay_alu instid0(VALU_DEP_2)
	v_cmpx_ne_u32_e32 0x7f800000, v91
	s_xor_b32 s3, exec_lo, s3
; %bb.13:
	v_bfe_u32 v76, v90, 16, 1
	s_delay_alu instid0(VALU_DEP_1)
	v_add3_u32 v76, v90, v76, 0x7fff
                                        ; implicit-def: $vgpr90
; %bb.14:
	s_and_not1_saveexec_b32 s3, s3
; %bb.15:
	v_and_b32_e32 v76, 0xffff, v90
	v_or_b32_e32 v83, 0x10000, v90
	s_delay_alu instid0(VALU_DEP_2) | instskip(NEXT) | instid1(VALU_DEP_2)
	v_cmp_eq_u32_e32 vcc_lo, 0, v76
	v_cndmask_b32_e32 v76, v83, v90, vcc_lo
; %bb.16:
	s_or_b32 exec_lo, exec_lo, s3
	v_and_b32_e32 v83, 0x7f800000, v85
	s_delay_alu instid0(VALU_DEP_1) | instskip(SKIP_1) | instid1(SALU_CYCLE_1)
	v_cmp_ne_u32_e32 vcc_lo, 0x7f800000, v83
                                        ; implicit-def: $vgpr83
	s_and_saveexec_b32 s3, vcc_lo
	s_xor_b32 s3, exec_lo, s3
; %bb.17:
	v_bfe_u32 v83, v85, 16, 1
	s_delay_alu instid0(VALU_DEP_1)
	v_add3_u32 v83, v85, v83, 0x7fff
                                        ; implicit-def: $vgpr85
; %bb.18:
	s_and_not1_saveexec_b32 s3, s3
; %bb.19:
	v_and_b32_e32 v83, 0xffff, v85
	v_or_b32_e32 v90, 0x10000, v85
	s_delay_alu instid0(VALU_DEP_2) | instskip(NEXT) | instid1(VALU_DEP_2)
	v_cmp_eq_u32_e32 vcc_lo, 0, v83
	v_cndmask_b32_e32 v83, v90, v85, vcc_lo
; %bb.20:
	s_or_b32 exec_lo, exec_lo, s3
	v_and_b32_e32 v85, 0x7f800000, v86
	s_delay_alu instid0(VALU_DEP_1) | instskip(SKIP_1) | instid1(SALU_CYCLE_1)
	v_cmp_ne_u32_e32 vcc_lo, 0x7f800000, v85
                                        ; implicit-def: $vgpr85
	s_and_saveexec_b32 s3, vcc_lo
	s_xor_b32 s3, exec_lo, s3
; %bb.21:
	v_bfe_u32 v85, v86, 16, 1
	s_delay_alu instid0(VALU_DEP_1)
	v_add3_u32 v85, v86, v85, 0x7fff
                                        ; implicit-def: $vgpr86
; %bb.22:
	s_and_not1_saveexec_b32 s3, s3
; %bb.23:
	v_and_b32_e32 v85, 0xffff, v86
	v_or_b32_e32 v90, 0x10000, v86
	s_delay_alu instid0(VALU_DEP_2) | instskip(NEXT) | instid1(VALU_DEP_2)
	v_cmp_eq_u32_e32 vcc_lo, 0, v85
	v_cndmask_b32_e32 v85, v90, v86, vcc_lo
; %bb.24:
	s_or_b32 exec_lo, exec_lo, s3
	v_and_b32_e32 v86, 0x7f800000, v89
	s_delay_alu instid0(VALU_DEP_1) | instskip(SKIP_1) | instid1(SALU_CYCLE_1)
	v_cmp_ne_u32_e32 vcc_lo, 0x7f800000, v86
                                        ; implicit-def: $vgpr86
	s_and_saveexec_b32 s3, vcc_lo
	s_xor_b32 s3, exec_lo, s3
; %bb.25:
	v_bfe_u32 v86, v89, 16, 1
	s_delay_alu instid0(VALU_DEP_1)
	v_add3_u32 v86, v89, v86, 0x7fff
                                        ; implicit-def: $vgpr89
; %bb.26:
	s_and_not1_saveexec_b32 s3, s3
; %bb.27:
	v_and_b32_e32 v86, 0xffff, v89
	v_or_b32_e32 v90, 0x10000, v89
	s_delay_alu instid0(VALU_DEP_2) | instskip(NEXT) | instid1(VALU_DEP_2)
	v_cmp_eq_u32_e32 vcc_lo, 0, v86
	v_cndmask_b32_e32 v86, v90, v89, vcc_lo
; %bb.28:
	s_or_b32 exec_lo, exec_lo, s3
	v_and_b32_e32 v89, 0x7f800000, v88
	s_delay_alu instid0(VALU_DEP_1) | instskip(SKIP_1) | instid1(SALU_CYCLE_1)
	v_cmp_ne_u32_e32 vcc_lo, 0x7f800000, v89
                                        ; implicit-def: $vgpr89
	s_and_saveexec_b32 s3, vcc_lo
	s_xor_b32 s3, exec_lo, s3
; %bb.29:
	v_bfe_u32 v89, v88, 16, 1
	s_delay_alu instid0(VALU_DEP_1)
	v_add3_u32 v89, v88, v89, 0x7fff
                                        ; implicit-def: $vgpr88
; %bb.30:
	s_and_not1_saveexec_b32 s3, s3
; %bb.31:
	v_and_b32_e32 v89, 0xffff, v88
	v_or_b32_e32 v90, 0x10000, v88
	s_delay_alu instid0(VALU_DEP_2) | instskip(NEXT) | instid1(VALU_DEP_2)
	v_cmp_eq_u32_e32 vcc_lo, 0, v89
	v_cndmask_b32_e32 v89, v90, v88, vcc_lo
; %bb.32:
	s_or_b32 exec_lo, exec_lo, s3
	v_and_b32_e32 v88, 0x7f800000, v87
	s_delay_alu instid0(VALU_DEP_1) | instskip(SKIP_1) | instid1(SALU_CYCLE_1)
	v_cmp_ne_u32_e32 vcc_lo, 0x7f800000, v88
                                        ; implicit-def: $vgpr88
	s_and_saveexec_b32 s3, vcc_lo
	s_xor_b32 s3, exec_lo, s3
; %bb.33:
	v_bfe_u32 v88, v87, 16, 1
	s_delay_alu instid0(VALU_DEP_1)
	v_add3_u32 v88, v87, v88, 0x7fff
                                        ; implicit-def: $vgpr87
; %bb.34:
	s_and_not1_saveexec_b32 s3, s3
; %bb.35:
	v_and_b32_e32 v88, 0xffff, v87
	v_or_b32_e32 v90, 0x10000, v87
	s_delay_alu instid0(VALU_DEP_2) | instskip(NEXT) | instid1(VALU_DEP_2)
	v_cmp_eq_u32_e32 vcc_lo, 0, v88
	v_cndmask_b32_e32 v88, v90, v87, vcc_lo
; %bb.36:
	s_or_b32 exec_lo, exec_lo, s3
	v_and_b32_e32 v87, 0x7f800000, v84
	s_delay_alu instid0(VALU_DEP_1) | instskip(SKIP_1) | instid1(SALU_CYCLE_1)
	v_cmp_ne_u32_e32 vcc_lo, 0x7f800000, v87
                                        ; implicit-def: $vgpr87
	s_and_saveexec_b32 s3, vcc_lo
	s_xor_b32 s3, exec_lo, s3
; %bb.37:
	v_bfe_u32 v87, v84, 16, 1
	s_delay_alu instid0(VALU_DEP_1)
	v_add3_u32 v87, v84, v87, 0x7fff
                                        ; implicit-def: $vgpr84
; %bb.38:
	s_and_not1_saveexec_b32 s3, s3
; %bb.39:
	v_and_b32_e32 v87, 0xffff, v84
	v_or_b32_e32 v90, 0x10000, v84
	s_delay_alu instid0(VALU_DEP_2) | instskip(NEXT) | instid1(VALU_DEP_2)
	v_cmp_eq_u32_e32 vcc_lo, 0, v87
	v_cndmask_b32_e32 v87, v90, v84, vcc_lo
; %bb.40:
	s_or_b32 exec_lo, exec_lo, s3
	v_and_b32_e32 v84, 0x7f800000, v80
	s_delay_alu instid0(VALU_DEP_1) | instskip(SKIP_1) | instid1(SALU_CYCLE_1)
	v_cmp_ne_u32_e32 vcc_lo, 0x7f800000, v84
                                        ; implicit-def: $vgpr84
	s_and_saveexec_b32 s3, vcc_lo
	s_xor_b32 s3, exec_lo, s3
; %bb.41:
	v_bfe_u32 v84, v80, 16, 1
	s_delay_alu instid0(VALU_DEP_1)
	v_add3_u32 v84, v80, v84, 0x7fff
                                        ; implicit-def: $vgpr80
; %bb.42:
	s_and_not1_saveexec_b32 s3, s3
; %bb.43:
	v_and_b32_e32 v84, 0xffff, v80
	v_or_b32_e32 v90, 0x10000, v80
	s_delay_alu instid0(VALU_DEP_2) | instskip(NEXT) | instid1(VALU_DEP_2)
	v_cmp_eq_u32_e32 vcc_lo, 0, v84
	v_cndmask_b32_e32 v84, v90, v80, vcc_lo
; %bb.44:
	s_or_b32 exec_lo, exec_lo, s3
	s_load_b64 s[34:35], s[0:1], 0x94
	v_lshlrev_b32_e32 v91, 4, v74
	s_delay_alu instid0(VALU_DEP_2)
	v_perm_b32 v90, v84, v87, 0x7060302
	v_dual_mul_f32 v79, v82, v79 :: v_dual_lshlrev_b32 v80, 6, v65
	v_dual_mul_f32 v77, v82, v77 :: v_dual_lshlrev_b32 v92, 11, v66
	v_mul_f32_e32 v84, v82, v70
	v_perm_b32 v89, v88, v89, 0x7060302
	v_perm_b32 v88, v86, v85, 0x7060302
	;; [unrolled: 1-line block ×3, first 2 shown]
	v_mul_f32_e32 v70, v82, v81
	v_or3_b32 v76, v91, v92, v80
	v_dual_mul_f32 v78, v82, v78 :: v_dual_and_b32 v85, 0x7f800000, v84
	v_mul_f32_e32 v83, v82, v72
	v_mul_f32_e32 v81, v82, v71
	;; [unrolled: 1-line block ×3, first 2 shown]
	s_mov_b32 s3, exec_lo
	ds_store_b128 v76, v[87:90]
                                        ; implicit-def: $vgpr69
	v_cmpx_ne_u32_e32 0x7f800000, v85
	s_xor_b32 s3, exec_lo, s3
; %bb.45:
	v_bfe_u32 v69, v84, 16, 1
	s_delay_alu instid0(VALU_DEP_1)
	v_add3_u32 v69, v84, v69, 0x7fff
                                        ; implicit-def: $vgpr84
; %bb.46:
	s_and_not1_saveexec_b32 s3, s3
; %bb.47:
	v_and_b32_e32 v69, 0xffff, v84
	v_or_b32_e32 v71, 0x10000, v84
	s_delay_alu instid0(VALU_DEP_2) | instskip(NEXT) | instid1(VALU_DEP_2)
	v_cmp_eq_u32_e32 vcc_lo, 0, v69
	v_cndmask_b32_e32 v69, v71, v84, vcc_lo
; %bb.48:
	s_or_b32 exec_lo, exec_lo, s3
	v_and_b32_e32 v71, 0x7f800000, v72
	s_delay_alu instid0(VALU_DEP_1) | instskip(SKIP_1) | instid1(SALU_CYCLE_1)
	v_cmp_ne_u32_e32 vcc_lo, 0x7f800000, v71
                                        ; implicit-def: $vgpr71
	s_and_saveexec_b32 s3, vcc_lo
	s_xor_b32 s3, exec_lo, s3
; %bb.49:
	v_bfe_u32 v71, v72, 16, 1
	s_delay_alu instid0(VALU_DEP_1)
	v_add3_u32 v71, v72, v71, 0x7fff
                                        ; implicit-def: $vgpr72
; %bb.50:
	s_and_not1_saveexec_b32 s3, s3
; %bb.51:
	v_and_b32_e32 v71, 0xffff, v72
	v_or_b32_e32 v82, 0x10000, v72
	s_delay_alu instid0(VALU_DEP_2) | instskip(NEXT) | instid1(VALU_DEP_2)
	v_cmp_eq_u32_e32 vcc_lo, 0, v71
	v_cndmask_b32_e32 v71, v82, v72, vcc_lo
; %bb.52:
	s_or_b32 exec_lo, exec_lo, s3
	v_and_b32_e32 v72, 0x7f800000, v81
	s_delay_alu instid0(VALU_DEP_1) | instskip(SKIP_1) | instid1(SALU_CYCLE_1)
	v_cmp_ne_u32_e32 vcc_lo, 0x7f800000, v72
                                        ; implicit-def: $vgpr72
	s_and_saveexec_b32 s3, vcc_lo
	s_xor_b32 s3, exec_lo, s3
; %bb.53:
	v_bfe_u32 v72, v81, 16, 1
	s_delay_alu instid0(VALU_DEP_1)
	v_add3_u32 v72, v81, v72, 0x7fff
                                        ; implicit-def: $vgpr81
; %bb.54:
	s_and_not1_saveexec_b32 s3, s3
; %bb.55:
	v_and_b32_e32 v72, 0xffff, v81
	v_or_b32_e32 v82, 0x10000, v81
	s_delay_alu instid0(VALU_DEP_2) | instskip(NEXT) | instid1(VALU_DEP_2)
	v_cmp_eq_u32_e32 vcc_lo, 0, v72
	v_cndmask_b32_e32 v72, v82, v81, vcc_lo
; %bb.56:
	s_or_b32 exec_lo, exec_lo, s3
	v_and_b32_e32 v81, 0x7f800000, v83
	s_delay_alu instid0(VALU_DEP_1) | instskip(SKIP_1) | instid1(SALU_CYCLE_1)
	v_cmp_ne_u32_e32 vcc_lo, 0x7f800000, v81
                                        ; implicit-def: $vgpr81
	s_and_saveexec_b32 s3, vcc_lo
	s_xor_b32 s3, exec_lo, s3
; %bb.57:
	v_bfe_u32 v81, v83, 16, 1
	s_delay_alu instid0(VALU_DEP_1)
	v_add3_u32 v81, v83, v81, 0x7fff
                                        ; implicit-def: $vgpr83
; %bb.58:
	s_and_not1_saveexec_b32 s3, s3
; %bb.59:
	v_and_b32_e32 v81, 0xffff, v83
	v_or_b32_e32 v82, 0x10000, v83
	s_delay_alu instid0(VALU_DEP_2) | instskip(NEXT) | instid1(VALU_DEP_2)
	v_cmp_eq_u32_e32 vcc_lo, 0, v81
	v_cndmask_b32_e32 v81, v82, v83, vcc_lo
; %bb.60:
	s_or_b32 exec_lo, exec_lo, s3
	v_and_b32_e32 v82, 0x7f800000, v77
	s_delay_alu instid0(VALU_DEP_1) | instskip(SKIP_1) | instid1(SALU_CYCLE_1)
	v_cmp_ne_u32_e32 vcc_lo, 0x7f800000, v82
                                        ; implicit-def: $vgpr82
	s_and_saveexec_b32 s3, vcc_lo
	s_xor_b32 s3, exec_lo, s3
; %bb.61:
	v_bfe_u32 v82, v77, 16, 1
	s_delay_alu instid0(VALU_DEP_1)
	v_add3_u32 v82, v77, v82, 0x7fff
                                        ; implicit-def: $vgpr77
; %bb.62:
	s_and_not1_saveexec_b32 s3, s3
; %bb.63:
	v_and_b32_e32 v82, 0xffff, v77
	v_or_b32_e32 v83, 0x10000, v77
	s_delay_alu instid0(VALU_DEP_2) | instskip(NEXT) | instid1(VALU_DEP_2)
	v_cmp_eq_u32_e32 vcc_lo, 0, v82
	v_cndmask_b32_e32 v82, v83, v77, vcc_lo
; %bb.64:
	s_or_b32 exec_lo, exec_lo, s3
	v_and_b32_e32 v77, 0x7f800000, v78
	s_delay_alu instid0(VALU_DEP_1) | instskip(SKIP_1) | instid1(SALU_CYCLE_1)
	v_cmp_ne_u32_e32 vcc_lo, 0x7f800000, v77
                                        ; implicit-def: $vgpr77
	s_and_saveexec_b32 s3, vcc_lo
	s_xor_b32 s3, exec_lo, s3
; %bb.65:
	v_bfe_u32 v77, v78, 16, 1
	s_delay_alu instid0(VALU_DEP_1)
	v_add3_u32 v77, v78, v77, 0x7fff
                                        ; implicit-def: $vgpr78
; %bb.66:
	s_and_not1_saveexec_b32 s3, s3
; %bb.67:
	v_and_b32_e32 v77, 0xffff, v78
	v_or_b32_e32 v83, 0x10000, v78
	s_delay_alu instid0(VALU_DEP_2) | instskip(NEXT) | instid1(VALU_DEP_2)
	v_cmp_eq_u32_e32 vcc_lo, 0, v77
	v_cndmask_b32_e32 v77, v83, v78, vcc_lo
; %bb.68:
	s_or_b32 exec_lo, exec_lo, s3
	v_and_b32_e32 v78, 0x7f800000, v79
	s_delay_alu instid0(VALU_DEP_1) | instskip(SKIP_1) | instid1(SALU_CYCLE_1)
	v_cmp_ne_u32_e32 vcc_lo, 0x7f800000, v78
                                        ; implicit-def: $vgpr78
	s_and_saveexec_b32 s3, vcc_lo
	s_xor_b32 s3, exec_lo, s3
; %bb.69:
	v_bfe_u32 v78, v79, 16, 1
	s_delay_alu instid0(VALU_DEP_1)
	v_add3_u32 v78, v79, v78, 0x7fff
                                        ; implicit-def: $vgpr79
; %bb.70:
	s_and_not1_saveexec_b32 s3, s3
; %bb.71:
	v_and_b32_e32 v78, 0xffff, v79
	v_or_b32_e32 v83, 0x10000, v79
	s_delay_alu instid0(VALU_DEP_2) | instskip(NEXT) | instid1(VALU_DEP_2)
	v_cmp_eq_u32_e32 vcc_lo, 0, v78
	v_cndmask_b32_e32 v78, v83, v79, vcc_lo
; %bb.72:
	s_or_b32 exec_lo, exec_lo, s3
	v_and_b32_e32 v79, 0x7f800000, v70
	s_delay_alu instid0(VALU_DEP_1) | instskip(SKIP_1) | instid1(SALU_CYCLE_1)
	v_cmp_ne_u32_e32 vcc_lo, 0x7f800000, v79
                                        ; implicit-def: $vgpr79
	s_and_saveexec_b32 s3, vcc_lo
	s_xor_b32 s3, exec_lo, s3
; %bb.73:
	v_bfe_u32 v79, v70, 16, 1
	s_delay_alu instid0(VALU_DEP_1)
	v_add3_u32 v79, v70, v79, 0x7fff
                                        ; implicit-def: $vgpr70
; %bb.74:
	s_and_not1_saveexec_b32 s3, s3
; %bb.75:
	v_and_b32_e32 v79, 0xffff, v70
	v_or_b32_e32 v83, 0x10000, v70
	s_delay_alu instid0(VALU_DEP_2) | instskip(NEXT) | instid1(VALU_DEP_2)
	v_cmp_eq_u32_e32 vcc_lo, 0, v79
	v_cndmask_b32_e32 v79, v83, v70, vcc_lo
; %bb.76:
	s_or_b32 exec_lo, exec_lo, s3
	s_delay_alu instid0(VALU_DEP_1)
	v_perm_b32 v86, v79, v78, 0x7060302
	v_perm_b32 v85, v77, v82, 0x7060302
	;; [unrolled: 1-line block ×4, first 2 shown]
	v_lshl_or_b32 v82, v66, 11, v80
	ds_store_b128 v76, v[83:86] offset:1024
	s_waitcnt lgkmcnt(0)
	s_barrier
	buffer_gl0_inv
	ds_load_b128 v[69:72], v82
	ds_load_b128 v[83:86], v82 offset:16
	s_waitcnt lgkmcnt(1)
	v_lshrrev_b32_e32 v66, 16, v69
	s_waitcnt lgkmcnt(0)
	v_lshrrev_b32_e32 v91, 16, v83
	v_lshlrev_b32_e32 v78, 2, v74
	v_lshrrev_b32_e32 v95, 16, v70
	v_lshrrev_b32_e32 v98, 16, v84
	;; [unrolled: 1-line block ×4, first 2 shown]
	v_cmp_eq_u32_e32 vcc_lo, 1, v78
	v_lshrrev_b32_e32 v97, 16, v72
	v_lshrrev_b32_e32 v100, 16, v86
	v_cndmask_b32_e32 v87, v83, v91, vcc_lo
	v_or_b32_e32 v79, 1, v78
	v_cndmask_b32_e32 v81, v69, v66, vcc_lo
	v_cmp_eq_u32_e64 s4, 2, v78
	v_cmp_eq_u32_e64 s7, 3, v78
	;; [unrolled: 1-line block ×5, first 2 shown]
	v_cndmask_b32_e64 v81, v81, v70, s4
	v_cndmask_b32_e64 v87, v87, v84, s4
	v_cmp_eq_u32_e64 s8, 3, v79
	v_cndmask_b32_e64 v88, v69, v66, s3
	v_or_b32_e32 v77, 2, v78
	v_cndmask_b32_e64 v81, v81, v95, s7
	v_cndmask_b32_e64 v87, v87, v98, s7
	;; [unrolled: 1-line block ×4, first 2 shown]
	v_cmp_eq_u32_e64 s10, 5, v78
	v_cndmask_b32_e64 v81, v81, v71, s9
	v_cndmask_b32_e64 v87, v87, v85, s9
	v_cmp_eq_u32_e64 s11, 4, v79
	v_cndmask_b32_e64 v88, v88, v95, s8
	v_cmp_eq_u32_e64 s5, 1, v77
	v_cndmask_b32_e64 v89, v89, v84, s6
	v_cndmask_b32_e64 v81, v81, v96, s10
	v_cmp_eq_u32_e64 s12, 6, v78
	v_cndmask_b32_e64 v88, v88, v71, s11
	;; [unrolled: 3-line block ×3, first 2 shown]
	v_cndmask_b32_e64 v89, v89, v98, s8
	v_cndmask_b32_e64 v81, v81, v72, s12
	v_cmp_eq_u32_e64 s15, 7, v78
	v_cndmask_b32_e64 v88, v88, v96, s13
	v_cndmask_b32_e64 v87, v87, v86, s12
	v_cmp_eq_u32_e64 s16, 6, v79
	v_cmp_eq_u32_e64 s17, 2, v77
	v_cndmask_b32_e64 v89, v89, v85, s11
	v_cndmask_b32_e64 v101, v81, v97, s15
	;; [unrolled: 1-line block ×6, first 2 shown]
	v_cmp_eq_u32_e64 s18, 7, v79
	v_cmp_eq_u32_e64 s19, 3, v77
	;; [unrolled: 1-line block ×4, first 2 shown]
	v_cndmask_b32_e64 v87, v87, v84, s17
	v_cndmask_b32_e64 v103, v88, v97, s18
	;; [unrolled: 1-line block ×4, first 2 shown]
	v_or_b32_e32 v81, 3, v78
	v_cndmask_b32_e64 v93, v87, v98, s19
	v_cmp_eq_u32_e64 s24, 6, v77
	v_cndmask_b32_e64 v104, v88, v86, s16
	v_cndmask_b32_e64 v92, v89, v71, s20
	v_cmp_eq_u32_e64 s21, 1, v81
	ds_load_b128 v[87:90], v82 offset:1024
	v_cmp_eq_u32_e64 s23, 2, v81
	v_cmp_eq_u32_e64 s25, 3, v81
	v_cndmask_b32_e64 v105, v92, v96, s22
	v_cndmask_b32_e64 v66, v69, v66, s21
	;; [unrolled: 1-line block ×4, first 2 shown]
	ds_load_b128 v[91:94], v82 offset:1040
	v_cmp_eq_u32_e64 s26, 4, v81
	v_cndmask_b32_e64 v66, v66, v70, s23
	v_cmp_eq_u32_e64 s27, 7, v77
	v_cndmask_b32_e64 v70, v83, v84, s23
	v_cndmask_b32_e64 v84, v105, v72, s24
	v_cmp_eq_u32_e64 s28, 5, v81
	v_cndmask_b32_e64 v66, v66, v95, s25
	v_cmp_eq_u32_e64 s29, 6, v81
	v_cndmask_b32_e64 v70, v70, v98, s25
	v_cndmask_b32_e64 v69, v69, v99, s22
	v_cndmask_b32_e64 v83, v104, v100, s18
	v_cndmask_b32_e64 v66, v66, v71, s26
	s_waitcnt lgkmcnt(1)
	v_lshrrev_b32_e32 v95, 16, v87
	v_cndmask_b32_e64 v70, v70, v85, s26
	v_cndmask_b32_e64 v71, v84, v97, s27
	;; [unrolled: 1-line block ×4, first 2 shown]
	v_cndmask_b32_e32 v84, v87, v95, vcc_lo
	v_cndmask_b32_e64 v70, v70, v99, s28
	s_waitcnt lgkmcnt(0)
	v_lshrrev_b32_e32 v85, 16, v91
	v_lshrrev_b32_e32 v96, 16, v88
	v_cndmask_b32_e64 v98, v87, v95, s3
	v_cndmask_b32_e64 v84, v84, v88, s4
	;; [unrolled: 1-line block ×3, first 2 shown]
	v_cndmask_b32_e32 v99, v91, v85, vcc_lo
	v_cmp_eq_u32_e32 vcc_lo, 7, v81
	v_cndmask_b32_e64 v66, v66, v72, s29
	v_cndmask_b32_e64 v72, v84, v96, s7
	;; [unrolled: 1-line block ×3, first 2 shown]
	v_lshrrev_b32_e32 v98, 16, v92
	v_cndmask_b32_e32 v70, v70, v100, vcc_lo
	v_cndmask_b32_e64 v86, v99, v92, s4
	v_cndmask_b32_e64 v69, v69, v100, s27
	v_lshrrev_b32_e32 v100, 16, v93
	v_cndmask_b32_e64 v72, v72, v89, s9
	v_lshrrev_b32_e32 v99, 16, v89
	v_cndmask_b32_e64 v86, v86, v98, s7
	v_perm_b32 v71, v69, v71, 0x5040100
	v_cndmask_b32_e64 v84, v84, v96, s8
	s_delay_alu instid0(VALU_DEP_3) | instskip(NEXT) | instid1(VALU_DEP_2)
	v_cndmask_b32_e64 v86, v86, v93, s9
	v_cndmask_b32_e64 v84, v84, v89, s11
	s_delay_alu instid0(VALU_DEP_2) | instskip(NEXT) | instid1(VALU_DEP_1)
	v_cndmask_b32_e64 v86, v86, v100, s10
	v_cndmask_b32_e64 v69, v86, v94, s12
	;; [unrolled: 1-line block ×5, first 2 shown]
	s_delay_alu instid0(VALU_DEP_3) | instskip(NEXT) | instid1(VALU_DEP_3)
	v_cndmask_b32_e64 v86, v86, v88, s17
	v_cndmask_b32_e64 v87, v87, v88, s23
	s_delay_alu instid0(VALU_DEP_3) | instskip(NEXT) | instid1(VALU_DEP_3)
	v_cndmask_b32_e64 v88, v95, v92, s23
	v_cndmask_b32_e64 v86, v86, v96, s19
	;; [unrolled: 3-line block ×7, first 2 shown]
	s_delay_alu instid0(VALU_DEP_3) | instskip(SKIP_2) | instid1(VALU_DEP_2)
	v_cndmask_b32_e64 v88, v88, v94, s29
	v_cndmask_b32_e32 v66, v66, v97, vcc_lo
	v_cndmask_b32_e64 v97, v72, v99, s10
	v_perm_b32 v72, v70, v66, 0x5040100
	v_perm_b32 v70, v83, v103, 0x5040100
	v_cndmask_b32_e64 v103, v91, v85, s5
	v_cndmask_b32_e64 v85, v91, v85, s3
	;; [unrolled: 1-line block ×4, first 2 shown]
	v_lshrrev_b32_e32 v97, 16, v90
	v_cndmask_b32_e64 v91, v103, v92, s17
	v_cndmask_b32_e64 v85, v85, v92, s6
	;; [unrolled: 1-line block ×3, first 2 shown]
	s_mov_b32 s3, exec_lo
	v_cndmask_b32_e64 v83, v84, v97, s15
	v_cndmask_b32_e64 v91, v91, v98, s19
	;; [unrolled: 1-line block ×3, first 2 shown]
	v_lshrrev_b32_e32 v84, 16, v94
	v_cndmask_b32_e64 v66, v66, v97, s18
	v_cndmask_b32_e64 v90, v86, v97, s27
	;; [unrolled: 1-line block ×4, first 2 shown]
	v_dual_cndmask_b32 v86, v87, v97 :: v_dual_cndmask_b32 v87, v88, v84
	v_cndmask_b32_e64 v91, v69, v84, s15
	s_delay_alu instid0(VALU_DEP_4) | instskip(NEXT) | instid1(VALU_DEP_4)
	v_cndmask_b32_e64 v89, v89, v100, s22
	v_cndmask_b32_e64 v85, v85, v100, s13
	v_perm_b32 v69, v102, v101, 0x5040100
	v_perm_b32 v86, v87, v86, 0x5040100
	;; [unrolled: 1-line block ×3, first 2 shown]
	v_cndmask_b32_e64 v89, v89, v94, s24
	v_cndmask_b32_e64 v85, v85, v94, s16
	s_mul_i32 s8, s35, 5
	s_delay_alu instid0(VALU_DEP_2) | instskip(NEXT) | instid1(VALU_DEP_2)
	v_cndmask_b32_e64 v88, v89, v84, s27
	v_cndmask_b32_e64 v89, v85, v84, s18
	s_delay_alu instid0(VALU_DEP_2) | instskip(NEXT) | instid1(VALU_DEP_2)
	v_perm_b32 v85, v88, v90, 0x5040100
	v_perm_b32 v84, v89, v66, 0x5040100
	ds_store_b128 v76, v[69:72]
	ds_store_b128 v76, v[83:86] offset:1024
	v_cmpx_gt_u32_e32 5, v0
	s_cbranch_execz .LBB1906_78
; %bb.77:
	s_mul_i32 s4, s8, s30
	s_delay_alu instid0(SALU_CYCLE_1) | instskip(SKIP_1) | instid1(VALU_DEP_1)
	v_add3_u32 v69, s4, s31, v65
	s_load_b128 s[4:7], s[0:1], 0x58
	v_mad_u64_u32 v[65:66], null, v69, s34, s[14:15]
	s_delay_alu instid0(VALU_DEP_1) | instskip(NEXT) | instid1(VALU_DEP_1)
	v_ashrrev_i32_e32 v66, 31, v65
	v_lshlrev_b64 v[65:66], 2, v[65:66]
	s_waitcnt lgkmcnt(0)
	s_delay_alu instid0(VALU_DEP_1) | instskip(NEXT) | instid1(VALU_DEP_2)
	v_add_co_u32 v69, vcc_lo, s6, v65
	v_add_co_ci_u32_e32 v70, vcc_lo, s7, v66, vcc_lo
	v_add_co_u32 v65, vcc_lo, s4, v65
	v_add_co_ci_u32_e32 v66, vcc_lo, s5, v66, vcc_lo
	global_store_b32 v[69:70], v67, off
	global_store_b32 v[65:66], v68, off
.LBB1906_78:
	s_or_b32 exec_lo, exec_lo, s3
	s_waitcnt lgkmcnt(0)
	s_waitcnt_vscnt null, 0x0
	s_barrier
	buffer_gl0_inv
	ds_load_b128 v[83:86], v80
	ds_load_b128 v[87:90], v80 offset:16
	ds_load_b128 v[95:98], v80 offset:2064
	;; [unrolled: 1-line block ×3, first 2 shown]
	v_mov_b32_e32 v65, 0
	ds_load_b128 v[103:106], v80 offset:4112
	ds_load_b128 v[99:102], v80 offset:4096
	;; [unrolled: 1-line block ×4, first 2 shown]
	v_mov_b32_e32 v66, v65
	v_mov_b32_e32 v67, v65
	;; [unrolled: 1-line block ×7, first 2 shown]
	s_waitcnt lgkmcnt(6)
	s_delay_alu instid0(VALU_DEP_1)
	v_wmma_f32_16x16x16_bf16 v[65:72], v[41:48], v[83:90], v[65:72]
	ds_load_b128 v[45:48], v80 offset:8208
	ds_load_b128 v[41:44], v80 offset:8192
	s_waitcnt lgkmcnt(6)
	v_wmma_f32_16x16x16_bf16 v[65:72], v[33:40], v[91:98], v[65:72]
	ds_load_b128 v[37:40], v80 offset:10256
	ds_load_b128 v[33:36], v80 offset:10240
	s_waitcnt lgkmcnt(6)
	;; [unrolled: 4-line block ×4, first 2 shown]
	v_wmma_f32_16x16x16_bf16 v[65:72], v[1:8], v[41:48], v[65:72]
	s_waitcnt lgkmcnt(4)
	s_delay_alu instid0(VALU_DEP_1) | instskip(SKIP_1) | instid1(VALU_DEP_1)
	v_wmma_f32_16x16x16_bf16 v[65:72], v[9:16], v[33:40], v[65:72]
	s_waitcnt lgkmcnt(2)
	v_wmma_f32_16x16x16_bf16 v[65:72], v[57:64], v[25:32], v[65:72]
	s_waitcnt lgkmcnt(0)
	s_delay_alu instid0(VALU_DEP_1) | instskip(NEXT) | instid1(VALU_DEP_1)
	v_wmma_f32_16x16x16_bf16 v[65:72], v[49:56], v[17:24], v[65:72]
	v_and_b32_e32 v1, 0x7f800000, v65
	s_delay_alu instid0(VALU_DEP_1) | instskip(SKIP_1) | instid1(SALU_CYCLE_1)
	v_cmp_ne_u32_e32 vcc_lo, 0x7f800000, v1
                                        ; implicit-def: $vgpr1
	s_and_saveexec_b32 s3, vcc_lo
	s_xor_b32 s3, exec_lo, s3
; %bb.79:
	v_bfe_u32 v1, v65, 16, 1
	s_delay_alu instid0(VALU_DEP_1)
	v_add3_u32 v1, v65, v1, 0x7fff
; %bb.80:
	s_and_not1_saveexec_b32 s3, s3
; %bb.81:
	v_and_b32_e32 v1, 0xffff, v65
	v_or_b32_e32 v2, 0x10000, v65
	s_delay_alu instid0(VALU_DEP_2) | instskip(NEXT) | instid1(VALU_DEP_2)
	v_cmp_eq_u32_e32 vcc_lo, 0, v1
	v_cndmask_b32_e32 v1, v2, v65, vcc_lo
; %bb.82:
	s_or_b32 exec_lo, exec_lo, s3
	v_and_b32_e32 v2, 0x7f800000, v66
	s_delay_alu instid0(VALU_DEP_1) | instskip(SKIP_1) | instid1(SALU_CYCLE_1)
	v_cmp_ne_u32_e32 vcc_lo, 0x7f800000, v2
                                        ; implicit-def: $vgpr2
	s_and_saveexec_b32 s3, vcc_lo
	s_xor_b32 s3, exec_lo, s3
; %bb.83:
	v_bfe_u32 v2, v66, 16, 1
	s_delay_alu instid0(VALU_DEP_1)
	v_add3_u32 v2, v66, v2, 0x7fff
; %bb.84:
	s_and_not1_saveexec_b32 s3, s3
; %bb.85:
	v_and_b32_e32 v2, 0xffff, v66
	v_or_b32_e32 v3, 0x10000, v66
	s_delay_alu instid0(VALU_DEP_2) | instskip(NEXT) | instid1(VALU_DEP_2)
	v_cmp_eq_u32_e32 vcc_lo, 0, v2
	v_cndmask_b32_e32 v2, v3, v66, vcc_lo
; %bb.86:
	s_or_b32 exec_lo, exec_lo, s3
	v_and_b32_e32 v3, 0x7f800000, v67
	s_delay_alu instid0(VALU_DEP_1) | instskip(SKIP_1) | instid1(SALU_CYCLE_1)
	v_cmp_ne_u32_e32 vcc_lo, 0x7f800000, v3
                                        ; implicit-def: $vgpr3
	s_and_saveexec_b32 s3, vcc_lo
	s_xor_b32 s3, exec_lo, s3
; %bb.87:
	v_bfe_u32 v3, v67, 16, 1
	s_delay_alu instid0(VALU_DEP_1)
	v_add3_u32 v3, v67, v3, 0x7fff
; %bb.88:
	s_and_not1_saveexec_b32 s3, s3
; %bb.89:
	v_and_b32_e32 v3, 0xffff, v67
	v_or_b32_e32 v4, 0x10000, v67
	s_delay_alu instid0(VALU_DEP_2) | instskip(NEXT) | instid1(VALU_DEP_2)
	v_cmp_eq_u32_e32 vcc_lo, 0, v3
	v_cndmask_b32_e32 v3, v4, v67, vcc_lo
; %bb.90:
	s_or_b32 exec_lo, exec_lo, s3
	v_and_b32_e32 v4, 0x7f800000, v68
	s_delay_alu instid0(VALU_DEP_1) | instskip(SKIP_1) | instid1(SALU_CYCLE_1)
	v_cmp_ne_u32_e32 vcc_lo, 0x7f800000, v4
                                        ; implicit-def: $vgpr4
	s_and_saveexec_b32 s3, vcc_lo
	s_xor_b32 s3, exec_lo, s3
; %bb.91:
	v_bfe_u32 v4, v68, 16, 1
	s_delay_alu instid0(VALU_DEP_1)
	v_add3_u32 v4, v68, v4, 0x7fff
; %bb.92:
	s_and_not1_saveexec_b32 s3, s3
; %bb.93:
	v_and_b32_e32 v4, 0xffff, v68
	v_or_b32_e32 v5, 0x10000, v68
	s_delay_alu instid0(VALU_DEP_2) | instskip(NEXT) | instid1(VALU_DEP_2)
	v_cmp_eq_u32_e32 vcc_lo, 0, v4
	v_cndmask_b32_e32 v4, v5, v68, vcc_lo
; %bb.94:
	s_or_b32 exec_lo, exec_lo, s3
	v_and_b32_e32 v5, 0x7f800000, v69
	s_delay_alu instid0(VALU_DEP_1) | instskip(SKIP_1) | instid1(SALU_CYCLE_1)
	v_cmp_ne_u32_e32 vcc_lo, 0x7f800000, v5
                                        ; implicit-def: $vgpr5
	s_and_saveexec_b32 s3, vcc_lo
	s_xor_b32 s3, exec_lo, s3
; %bb.95:
	v_bfe_u32 v5, v69, 16, 1
	s_delay_alu instid0(VALU_DEP_1)
	v_add3_u32 v5, v69, v5, 0x7fff
; %bb.96:
	s_and_not1_saveexec_b32 s3, s3
; %bb.97:
	v_and_b32_e32 v5, 0xffff, v69
	v_or_b32_e32 v6, 0x10000, v69
	s_delay_alu instid0(VALU_DEP_2) | instskip(NEXT) | instid1(VALU_DEP_2)
	v_cmp_eq_u32_e32 vcc_lo, 0, v5
	v_cndmask_b32_e32 v5, v6, v69, vcc_lo
; %bb.98:
	s_or_b32 exec_lo, exec_lo, s3
	v_and_b32_e32 v6, 0x7f800000, v70
	s_delay_alu instid0(VALU_DEP_1) | instskip(SKIP_1) | instid1(SALU_CYCLE_1)
	v_cmp_ne_u32_e32 vcc_lo, 0x7f800000, v6
                                        ; implicit-def: $vgpr6
	s_and_saveexec_b32 s3, vcc_lo
	s_xor_b32 s3, exec_lo, s3
; %bb.99:
	v_bfe_u32 v6, v70, 16, 1
	s_delay_alu instid0(VALU_DEP_1)
	v_add3_u32 v6, v70, v6, 0x7fff
; %bb.100:
	s_and_not1_saveexec_b32 s3, s3
; %bb.101:
	v_and_b32_e32 v6, 0xffff, v70
	v_or_b32_e32 v7, 0x10000, v70
	s_delay_alu instid0(VALU_DEP_2) | instskip(NEXT) | instid1(VALU_DEP_2)
	v_cmp_eq_u32_e32 vcc_lo, 0, v6
	v_cndmask_b32_e32 v6, v7, v70, vcc_lo
; %bb.102:
	s_or_b32 exec_lo, exec_lo, s3
	v_and_b32_e32 v7, 0x7f800000, v71
	s_delay_alu instid0(VALU_DEP_1) | instskip(SKIP_1) | instid1(SALU_CYCLE_1)
	v_cmp_ne_u32_e32 vcc_lo, 0x7f800000, v7
                                        ; implicit-def: $vgpr7
	s_and_saveexec_b32 s3, vcc_lo
	s_xor_b32 s3, exec_lo, s3
; %bb.103:
	v_bfe_u32 v7, v71, 16, 1
	s_delay_alu instid0(VALU_DEP_1)
	v_add3_u32 v7, v71, v7, 0x7fff
; %bb.104:
	s_and_not1_saveexec_b32 s3, s3
; %bb.105:
	v_and_b32_e32 v7, 0xffff, v71
	v_or_b32_e32 v8, 0x10000, v71
	s_delay_alu instid0(VALU_DEP_2) | instskip(NEXT) | instid1(VALU_DEP_2)
	v_cmp_eq_u32_e32 vcc_lo, 0, v7
	v_cndmask_b32_e32 v7, v8, v71, vcc_lo
; %bb.106:
	s_or_b32 exec_lo, exec_lo, s3
	v_and_b32_e32 v8, 0x7f800000, v72
	s_delay_alu instid0(VALU_DEP_1) | instskip(SKIP_1) | instid1(SALU_CYCLE_1)
	v_cmp_ne_u32_e32 vcc_lo, 0x7f800000, v8
                                        ; implicit-def: $vgpr8
	s_and_saveexec_b32 s3, vcc_lo
	s_xor_b32 s3, exec_lo, s3
; %bb.107:
	v_bfe_u32 v8, v72, 16, 1
	s_delay_alu instid0(VALU_DEP_1)
	v_add3_u32 v8, v72, v8, 0x7fff
                                        ; implicit-def: $vgpr65_vgpr66_vgpr67_vgpr68_vgpr69_vgpr70_vgpr71_vgpr72
; %bb.108:
	s_and_not1_saveexec_b32 s3, s3
; %bb.109:
	v_and_b32_e32 v8, 0xffff, v72
	v_or_b32_e32 v9, 0x10000, v72
	s_delay_alu instid0(VALU_DEP_2) | instskip(NEXT) | instid1(VALU_DEP_2)
	v_cmp_eq_u32_e32 vcc_lo, 0, v8
	v_cndmask_b32_e32 v8, v9, v72, vcc_lo
; %bb.110:
	s_or_b32 exec_lo, exec_lo, s3
	s_delay_alu instid0(VALU_DEP_1)
	v_perm_b32 v7, v8, v7, 0x7060302
	v_perm_b32 v6, v6, v5, 0x7060302
	;; [unrolled: 1-line block ×4, first 2 shown]
	s_barrier
	buffer_gl0_inv
	v_cmp_eq_u32_e32 vcc_lo, 1, v78
	ds_store_b128 v76, v[4:7]
	s_waitcnt lgkmcnt(0)
	s_barrier
	buffer_gl0_inv
	ds_load_b128 v[1:4], v82
	ds_load_b128 v[5:8], v82 offset:16
	v_cmp_eq_u32_e64 s3, 1, v79
	v_cmp_eq_u32_e64 s4, 2, v78
	;; [unrolled: 1-line block ×5, first 2 shown]
	s_waitcnt lgkmcnt(1)
	v_lshrrev_b32_e32 v9, 16, v1
	s_waitcnt lgkmcnt(0)
	v_lshrrev_b32_e32 v13, 16, v5
	v_lshrrev_b32_e32 v10, 16, v2
	;; [unrolled: 1-line block ×4, first 2 shown]
	v_cndmask_b32_e64 v19, v1, v9, s3
	v_cndmask_b32_e32 v18, v5, v13, vcc_lo
	v_cndmask_b32_e64 v20, v5, v13, s3
	v_cndmask_b32_e32 v17, v1, v9, vcc_lo
	v_cmp_eq_u32_e32 vcc_lo, 2, v79
	v_lshrrev_b32_e32 v15, 16, v7
	v_cmp_eq_u32_e64 s3, 1, v77
	v_lshrrev_b32_e32 v12, 16, v4
	v_lshrrev_b32_e32 v16, 16, v8
	v_cndmask_b32_e32 v20, v20, v6, vcc_lo
	v_cndmask_b32_e64 v17, v17, v2, s4
	v_cndmask_b32_e32 v19, v19, v2, vcc_lo
	v_cndmask_b32_e64 v18, v18, v6, s4
	v_cmp_eq_u32_e32 vcc_lo, 4, v78
	v_cmp_eq_u32_e64 s4, 3, v79
	v_cndmask_b32_e64 v17, v17, v10, s5
	v_cndmask_b32_e64 v21, v1, v9, s3
	v_cndmask_b32_e64 v18, v18, v14, s5
	v_cndmask_b32_e64 v22, v5, v13, s3
	v_cndmask_b32_e64 v19, v19, v10, s4
	v_cndmask_b32_e32 v17, v17, v3, vcc_lo
	v_cndmask_b32_e64 v20, v20, v14, s4
	v_cndmask_b32_e32 v18, v18, v7, vcc_lo
	v_cmp_eq_u32_e32 vcc_lo, 4, v79
	v_cmp_eq_u32_e64 s4, 5, v79
	v_cmp_eq_u32_e64 s3, 2, v81
	v_cndmask_b32_e64 v21, v21, v2, s7
	v_cmp_eq_u32_e64 s5, 5, v78
	v_cndmask_b32_e32 v19, v19, v3, vcc_lo
	v_cndmask_b32_e32 v20, v20, v7, vcc_lo
	v_cmp_eq_u32_e32 vcc_lo, 6, v79
	s_delay_alu instid0(VALU_DEP_4) | instskip(NEXT) | instid1(VALU_DEP_4)
	v_cndmask_b32_e64 v17, v17, v11, s5
	v_cndmask_b32_e64 v19, v19, v11, s4
	s_delay_alu instid0(VALU_DEP_4) | instskip(SKIP_1) | instid1(VALU_DEP_3)
	v_cndmask_b32_e64 v20, v20, v15, s4
	v_cmp_eq_u32_e64 s4, 1, v81
	v_cndmask_b32_e32 v19, v19, v4, vcc_lo
	v_cndmask_b32_e64 v18, v18, v15, s5
	s_delay_alu instid0(VALU_DEP_3)
	v_cndmask_b32_e64 v1, v1, v9, s4
	v_cndmask_b32_e64 v5, v5, v13, s4
	v_cmp_eq_u32_e64 s4, 3, v77
	v_cndmask_b32_e64 v13, v22, v6, s7
	v_cmp_eq_u32_e64 s7, 3, v81
	v_cndmask_b32_e64 v1, v1, v2, s3
	v_cndmask_b32_e64 v2, v5, v6, s3
	;; [unrolled: 1-line block ×3, first 2 shown]
	v_cmp_eq_u32_e64 s3, 4, v77
	v_cndmask_b32_e64 v6, v13, v14, s4
	v_cndmask_b32_e64 v1, v1, v10, s7
	v_cmp_eq_u32_e64 s4, 4, v81
	v_cndmask_b32_e64 v2, v2, v14, s7
	v_cndmask_b32_e64 v5, v9, v3, s3
	;; [unrolled: 3-line block ×3, first 2 shown]
	v_cndmask_b32_e64 v2, v2, v7, s4
	v_cmp_eq_u32_e64 s3, 5, v81
	v_cmp_eq_u32_e64 s5, 6, v78
	v_cndmask_b32_e64 v5, v5, v11, s7
	v_cmp_eq_u32_e64 s4, 6, v77
	v_cndmask_b32_e64 v3, v6, v15, s7
	v_cndmask_b32_e64 v1, v1, v11, s3
	v_cmp_eq_u32_e64 s7, 6, v81
	v_cndmask_b32_e64 v2, v2, v15, s3
	v_cndmask_b32_e64 v17, v17, v4, s5
	v_cndmask_b32_e64 v18, v18, v8, s5
	v_cmp_eq_u32_e64 s5, 7, v78
	v_cndmask_b32_e64 v5, v5, v4, s4
	;; [unrolled: 4-line block ×3, first 2 shown]
	v_cmp_eq_u32_e64 s4, 7, v77
	v_cndmask_b32_e32 v4, v20, v8, vcc_lo
	v_cndmask_b32_e64 v17, v17, v12, s5
	v_cndmask_b32_e64 v19, v19, v12, s6
	;; [unrolled: 1-line block ×8, first 2 shown]
	s_mov_b32 s3, exec_lo
	v_perm_b32 v4, v2, v1, 0x5040100
	v_perm_b32 v3, v3, v5, 0x5040100
	;; [unrolled: 1-line block ×4, first 2 shown]
	ds_store_b128 v76, v[1:4]
	s_waitcnt lgkmcnt(0)
	s_barrier
	buffer_gl0_inv
	v_cmpx_gt_u32_e32 32, v0
	s_cbranch_execz .LBB1906_2
; %bb.111:
	s_load_b64 s[4:5], s[0:1], 0x68
	v_lshlrev_b32_e32 v0, 10, v0
	v_add_nc_u32_e32 v2, s31, v74
	v_lshlrev_b32_e32 v3, 4, v75
	s_lshl_b32 s0, s34, 7
	s_delay_alu instid0(SALU_CYCLE_1) | instskip(NEXT) | instid1(VALU_DEP_2)
	s_mul_i32 s1, s0, s30
	v_mul_lo_u32 v1, v2, s0
	s_delay_alu instid0(VALU_DEP_2) | instskip(SKIP_2) | instid1(SALU_CYCLE_1)
	v_and_or_b32 v0, 0x3800, v0, v3
	v_add_nc_u32_e32 v2, 2, v2
	s_mul_i32 s6, s1, s8
	s_ashr_i32 s7, s6, 31
	s_delay_alu instid0(VALU_DEP_2)
	v_lshl_or_b32 v7, v74, 6, v0
	s_lshl_b64 s[6:7], s[6:7], 1
	v_mul_lo_u32 v11, v2, s0
	v_ashrrev_i32_e32 v2, 31, v1
	ds_load_b128 v[3:6], v7
	ds_load_b128 v[7:10], v7 offset:128
	s_waitcnt lgkmcnt(0)
	s_add_u32 s1, s4, s6
	s_addc_u32 s3, s5, s7
	s_lshl_b32 s4, s14, 7
	v_ashrrev_i32_e32 v12, 31, v11
	s_ashr_i32 s5, s4, 31
	v_lshlrev_b64 v[13:14], 1, v[1:2]
	s_lshl_b64 s[4:5], s[4:5], 1
	s_delay_alu instid0(SALU_CYCLE_1) | instskip(SKIP_2) | instid1(VALU_DEP_1)
	s_add_u32 s1, s1, s4
	s_addc_u32 s3, s3, s5
	v_add_co_u32 v1, s1, s1, v73
	v_add_co_ci_u32_e64 v2, null, s3, 0, s1
	v_lshlrev_b64 v[11:12], 1, v[11:12]
	s_delay_alu instid0(VALU_DEP_3) | instskip(NEXT) | instid1(VALU_DEP_3)
	v_add_co_u32 v13, vcc_lo, v1, v13
	v_add_co_ci_u32_e32 v14, vcc_lo, v2, v14, vcc_lo
	s_delay_alu instid0(VALU_DEP_3) | instskip(NEXT) | instid1(VALU_DEP_4)
	v_add_co_u32 v11, vcc_lo, v1, v11
	v_add_co_ci_u32_e32 v12, vcc_lo, v2, v12, vcc_lo
	s_clause 0x1
	global_store_b128 v[13:14], v[3:6], off
	global_store_b128 v[11:12], v[7:10], off
	s_and_b32 exec_lo, exec_lo, s2
	s_cbranch_execz .LBB1906_2
; %bb.112:
	ds_load_b128 v[3:6], v0 offset:256
	s_add_i32 s1, s31, 4
	s_delay_alu instid0(SALU_CYCLE_1) | instskip(NEXT) | instid1(SALU_CYCLE_1)
	s_mul_i32 s0, s1, s0
	s_ashr_i32 s1, s0, 31
	s_delay_alu instid0(SALU_CYCLE_1) | instskip(NEXT) | instid1(SALU_CYCLE_1)
	s_lshl_b64 s[0:1], s[0:1], 1
	v_add_co_u32 v0, vcc_lo, v1, s0
	v_add_co_ci_u32_e32 v1, vcc_lo, s1, v2, vcc_lo
	s_waitcnt lgkmcnt(0)
	global_store_b128 v[0:1], v[3:6], off
	s_nop 0
	s_sendmsg sendmsg(MSG_DEALLOC_VGPRS)
	s_endpgm
	.section	.rodata,"a",@progbits
	.p2align	6, 0x0
	.amdhsa_kernel _Z39paged_attention_ll4mi_QKV_mfma16_kernelI14__hip_bfloat16hLN4vllm18Fp8KVCacheDataTypeE1ES0_Li32ELi128ELi256ELb0ELi5EL8MFMAType0EEvPKT_PKT0_S9_ifPKiSB_SB_iPKfiiiPfSE_PS4_PT2_iSD_SD_
		.amdhsa_group_segment_fixed_size 17472
		.amdhsa_private_segment_fixed_size 0
		.amdhsa_kernarg_size 400
		.amdhsa_user_sgpr_count 13
		.amdhsa_user_sgpr_dispatch_ptr 0
		.amdhsa_user_sgpr_queue_ptr 0
		.amdhsa_user_sgpr_kernarg_segment_ptr 1
		.amdhsa_user_sgpr_dispatch_id 0
		.amdhsa_user_sgpr_private_segment_size 0
		.amdhsa_wavefront_size32 1
		.amdhsa_uses_dynamic_stack 0
		.amdhsa_enable_private_segment 0
		.amdhsa_system_sgpr_workgroup_id_x 1
		.amdhsa_system_sgpr_workgroup_id_y 1
		.amdhsa_system_sgpr_workgroup_id_z 1
		.amdhsa_system_sgpr_workgroup_info 0
		.amdhsa_system_vgpr_workitem_id 0
		.amdhsa_next_free_vgpr 140
		.amdhsa_next_free_sgpr 36
		.amdhsa_reserve_vcc 1
		.amdhsa_float_round_mode_32 0
		.amdhsa_float_round_mode_16_64 0
		.amdhsa_float_denorm_mode_32 3
		.amdhsa_float_denorm_mode_16_64 3
		.amdhsa_dx10_clamp 1
		.amdhsa_ieee_mode 1
		.amdhsa_fp16_overflow 0
		.amdhsa_workgroup_processor_mode 1
		.amdhsa_memory_ordered 1
		.amdhsa_forward_progress 0
		.amdhsa_shared_vgpr_count 0
		.amdhsa_exception_fp_ieee_invalid_op 0
		.amdhsa_exception_fp_denorm_src 0
		.amdhsa_exception_fp_ieee_div_zero 0
		.amdhsa_exception_fp_ieee_overflow 0
		.amdhsa_exception_fp_ieee_underflow 0
		.amdhsa_exception_fp_ieee_inexact 0
		.amdhsa_exception_int_div_zero 0
	.end_amdhsa_kernel
	.section	.text._Z39paged_attention_ll4mi_QKV_mfma16_kernelI14__hip_bfloat16hLN4vllm18Fp8KVCacheDataTypeE1ES0_Li32ELi128ELi256ELb0ELi5EL8MFMAType0EEvPKT_PKT0_S9_ifPKiSB_SB_iPKfiiiPfSE_PS4_PT2_iSD_SD_,"axG",@progbits,_Z39paged_attention_ll4mi_QKV_mfma16_kernelI14__hip_bfloat16hLN4vllm18Fp8KVCacheDataTypeE1ES0_Li32ELi128ELi256ELb0ELi5EL8MFMAType0EEvPKT_PKT0_S9_ifPKiSB_SB_iPKfiiiPfSE_PS4_PT2_iSD_SD_,comdat
.Lfunc_end1906:
	.size	_Z39paged_attention_ll4mi_QKV_mfma16_kernelI14__hip_bfloat16hLN4vllm18Fp8KVCacheDataTypeE1ES0_Li32ELi128ELi256ELb0ELi5EL8MFMAType0EEvPKT_PKT0_S9_ifPKiSB_SB_iPKfiiiPfSE_PS4_PT2_iSD_SD_, .Lfunc_end1906-_Z39paged_attention_ll4mi_QKV_mfma16_kernelI14__hip_bfloat16hLN4vllm18Fp8KVCacheDataTypeE1ES0_Li32ELi128ELi256ELb0ELi5EL8MFMAType0EEvPKT_PKT0_S9_ifPKiSB_SB_iPKfiiiPfSE_PS4_PT2_iSD_SD_
                                        ; -- End function
	.section	.AMDGPU.csdata,"",@progbits
; Kernel info:
; codeLenInByte = 8916
; NumSgprs: 38
; NumVgprs: 140
; ScratchSize: 0
; MemoryBound: 0
; FloatMode: 240
; IeeeMode: 1
; LDSByteSize: 17472 bytes/workgroup (compile time only)
; SGPRBlocks: 4
; VGPRBlocks: 17
; NumSGPRsForWavesPerEU: 38
; NumVGPRsForWavesPerEU: 140
; Occupancy: 10
; WaveLimiterHint : 1
; COMPUTE_PGM_RSRC2:SCRATCH_EN: 0
; COMPUTE_PGM_RSRC2:USER_SGPR: 13
; COMPUTE_PGM_RSRC2:TRAP_HANDLER: 0
; COMPUTE_PGM_RSRC2:TGID_X_EN: 1
; COMPUTE_PGM_RSRC2:TGID_Y_EN: 1
; COMPUTE_PGM_RSRC2:TGID_Z_EN: 1
; COMPUTE_PGM_RSRC2:TIDIG_COMP_CNT: 0
	.section	.text._Z39paged_attention_ll4mi_QKV_mfma16_kernelI14__hip_bfloat16hLN4vllm18Fp8KVCacheDataTypeE1ES0_Li32ELi128ELi256ELb0ELi6EL8MFMAType0EEvPKT_PKT0_S9_ifPKiSB_SB_iPKfiiiPfSE_PS4_PT2_iSD_SD_,"axG",@progbits,_Z39paged_attention_ll4mi_QKV_mfma16_kernelI14__hip_bfloat16hLN4vllm18Fp8KVCacheDataTypeE1ES0_Li32ELi128ELi256ELb0ELi6EL8MFMAType0EEvPKT_PKT0_S9_ifPKiSB_SB_iPKfiiiPfSE_PS4_PT2_iSD_SD_,comdat
	.protected	_Z39paged_attention_ll4mi_QKV_mfma16_kernelI14__hip_bfloat16hLN4vllm18Fp8KVCacheDataTypeE1ES0_Li32ELi128ELi256ELb0ELi6EL8MFMAType0EEvPKT_PKT0_S9_ifPKiSB_SB_iPKfiiiPfSE_PS4_PT2_iSD_SD_ ; -- Begin function _Z39paged_attention_ll4mi_QKV_mfma16_kernelI14__hip_bfloat16hLN4vllm18Fp8KVCacheDataTypeE1ES0_Li32ELi128ELi256ELb0ELi6EL8MFMAType0EEvPKT_PKT0_S9_ifPKiSB_SB_iPKfiiiPfSE_PS4_PT2_iSD_SD_
	.globl	_Z39paged_attention_ll4mi_QKV_mfma16_kernelI14__hip_bfloat16hLN4vllm18Fp8KVCacheDataTypeE1ES0_Li32ELi128ELi256ELb0ELi6EL8MFMAType0EEvPKT_PKT0_S9_ifPKiSB_SB_iPKfiiiPfSE_PS4_PT2_iSD_SD_
	.p2align	8
	.type	_Z39paged_attention_ll4mi_QKV_mfma16_kernelI14__hip_bfloat16hLN4vllm18Fp8KVCacheDataTypeE1ES0_Li32ELi128ELi256ELb0ELi6EL8MFMAType0EEvPKT_PKT0_S9_ifPKiSB_SB_iPKfiiiPfSE_PS4_PT2_iSD_SD_,@function
_Z39paged_attention_ll4mi_QKV_mfma16_kernelI14__hip_bfloat16hLN4vllm18Fp8KVCacheDataTypeE1ES0_Li32ELi128ELi256ELb0ELi6EL8MFMAType0EEvPKT_PKT0_S9_ifPKiSB_SB_iPKfiiiPfSE_PS4_PT2_iSD_SD_: ; @_Z39paged_attention_ll4mi_QKV_mfma16_kernelI14__hip_bfloat16hLN4vllm18Fp8KVCacheDataTypeE1ES0_Li32ELi128ELi256ELb0ELi6EL8MFMAType0EEvPKT_PKT0_S9_ifPKiSB_SB_iPKfiiiPfSE_PS4_PT2_iSD_SD_
; %bb.0:
	s_load_b64 s[4:5], s[0:1], 0x30
	s_mov_b32 s30, s13
	s_waitcnt lgkmcnt(0)
	s_cmp_lg_u64 s[4:5], 0
	s_cselect_b32 s13, -1, 0
	s_ashr_i32 s31, s30, 31
	s_cmp_eq_u64 s[4:5], 0
	s_cbranch_scc1 .LBB1907_3
; %bb.1:
	s_lshl_b64 s[2:3], s[30:31], 2
	s_delay_alu instid0(SALU_CYCLE_1) | instskip(SKIP_4) | instid1(SALU_CYCLE_1)
	s_add_u32 s2, s4, s2
	s_addc_u32 s3, s5, s3
	s_load_b64 s[2:3], s[2:3], 0x0
	s_waitcnt lgkmcnt(0)
	s_sub_i32 s2, s3, s2
	s_cmp_eq_u32 s2, 1
	s_cselect_b32 s2, -1, 0
	s_delay_alu instid0(SALU_CYCLE_1)
	s_and_not1_b32 vcc_lo, exec_lo, s2
	s_cbranch_vccz .LBB1907_4
.LBB1907_2:
	s_endpgm
.LBB1907_3:
.LBB1907_4:
	s_load_b64 s[2:3], s[0:1], 0x28
	s_lshl_b64 s[6:7], s[30:31], 2
	s_waitcnt lgkmcnt(0)
	s_add_u32 s2, s2, s6
	s_addc_u32 s3, s3, s7
	s_lshl_b32 s12, s14, 8
	s_load_b32 s17, s[2:3], 0x0
	s_waitcnt lgkmcnt(0)
	s_cmp_ge_i32 s12, s17
	s_cbranch_scc1 .LBB1907_2
; %bb.5:
	s_clause 0x1
	s_load_b128 s[8:11], s[0:1], 0x8
	s_load_b64 s[2:3], s[0:1], 0x20
	s_and_not1_b32 vcc_lo, exec_lo, s13
	s_cbranch_vccnz .LBB1907_7
; %bb.6:
	s_add_u32 s4, s4, s6
	s_addc_u32 s5, s5, s7
	s_load_b32 s13, s[4:5], 0x0
	s_branch .LBB1907_8
.LBB1907_7:
	s_mov_b32 s13, s30
.LBB1907_8:
	s_load_b128 s[4:7], s[0:1], 0x48
	v_and_b32_e32 v65, 15, v0
	v_lshrrev_b32_e32 v66, 5, v0
	v_and_b32_e32 v67, 31, v0
	v_and_b32_e32 v75, 1, v0
	v_bfe_u32 v74, v0, 4, 1
	v_lshlrev_b32_e32 v1, 3, v65
	s_mul_i32 s29, s15, 6
	s_waitcnt lgkmcnt(0)
	s_mov_b32 s7, exec_lo
	s_delay_alu instid0(VALU_DEP_1)
	v_lshlrev_b32_e32 v73, 1, v1
	v_cmpx_gt_u32_e32 0x60, v0
	s_cbranch_execz .LBB1907_10
; %bb.9:
	s_load_b64 s[18:19], s[0:1], 0x0
	v_lshl_or_b32 v5, v66, 1, v74
	s_mul_hi_i32 s21, s13, s4
	s_mul_i32 s20, s13, s4
	v_lshlrev_b32_e32 v6, 10, v65
	s_lshl_b64 s[20:21], s[20:21], 1
	v_add_lshl_u32 v1, v5, s29, 7
	v_lshlrev_b32_e32 v5, 6, v5
	v_lshlrev_b32_e32 v7, 10, v75
	v_and_b32_e32 v6, 0x3800, v6
	s_delay_alu instid0(VALU_DEP_4) | instskip(NEXT) | instid1(VALU_DEP_2)
	v_ashrrev_i32_e32 v2, 31, v1
	v_or3_b32 v5, v6, v7, v5
	s_delay_alu instid0(VALU_DEP_2) | instskip(SKIP_3) | instid1(VALU_DEP_1)
	v_lshlrev_b64 v[1:2], 1, v[1:2]
	s_waitcnt lgkmcnt(0)
	s_add_u32 s4, s18, s20
	s_addc_u32 s13, s19, s21
	v_add_co_u32 v1, vcc_lo, s4, v1
	s_delay_alu instid0(VALU_DEP_2) | instskip(NEXT) | instid1(VALU_DEP_2)
	v_add_co_ci_u32_e32 v2, vcc_lo, s13, v2, vcc_lo
	v_add_co_u32 v1, vcc_lo, v1, v73
	s_delay_alu instid0(VALU_DEP_2)
	v_add_co_ci_u32_e32 v2, vcc_lo, 0, v2, vcc_lo
	global_load_b128 v[1:4], v[1:2], off
	s_waitcnt vmcnt(0)
	ds_store_b128 v5, v[1:4]
.LBB1907_10:
	s_or_b32 exec_lo, exec_lo, s7
	v_and_b32_e32 v1, 0xef, v0
	s_add_i32 s4, s17, 31
	s_clause 0x1
	s_load_b32 s7, s[0:1], 0x38
	s_load_b32 s18, s[0:1], 0x1c
	s_ashr_i32 s13, s4, 31
	v_add_nc_u32_e32 v2, s12, v1
	s_lshr_b32 s13, s13, 27
	s_waitcnt lgkmcnt(0)
	s_add_i32 s4, s4, s13
	s_barrier
	v_ashrrev_i32_e32 v1, 31, v2
	s_ashr_i32 s4, s4, 5
	v_cmp_gt_i32_e32 vcc_lo, s17, v2
	s_add_i32 s4, s4, -1
	buffer_gl0_inv
	v_lshrrev_b32_e32 v3, 27, v1
	v_or_b32_e32 v1, 16, v2
	s_mul_i32 s15, s15, s6
	s_delay_alu instid0(VALU_DEP_2) | instskip(SKIP_1) | instid1(SALU_CYCLE_1)
	v_add_nc_u32_e32 v4, v2, v3
	s_mul_i32 s20, s30, s7
	s_ashr_i32 s21, s20, 31
	s_delay_alu instid0(VALU_DEP_1) | instskip(SKIP_2) | instid1(SALU_CYCLE_1)
	v_ashrrev_i32_e32 v4, 5, v4
	v_add_nc_u32_e32 v3, v1, v3
	s_lshl_b64 s[20:21], s[20:21], 2
	s_add_u32 s7, s2, s20
	s_delay_alu instid0(VALU_DEP_2) | instskip(NEXT) | instid1(VALU_DEP_2)
	v_cndmask_b32_e32 v2, s4, v4, vcc_lo
	v_ashrrev_i32_e32 v3, 5, v3
	v_cmp_gt_i32_e32 vcc_lo, s17, v1
	s_addc_u32 s13, s3, s21
	s_ashr_i32 s6, s15, 31
	s_add_u32 s2, s8, s15
	s_addc_u32 s3, s9, s6
	v_cndmask_b32_e32 v4, s4, v3, vcc_lo
	v_ashrrev_i32_e32 v3, 31, v2
	s_lshl_b32 s8, s14, 3
	s_delay_alu instid0(SALU_CYCLE_1) | instskip(NEXT) | instid1(VALU_DEP_2)
	s_ashr_i32 s9, s8, 31
	v_ashrrev_i32_e32 v5, 31, v4
	s_delay_alu instid0(VALU_DEP_2) | instskip(SKIP_1) | instid1(SALU_CYCLE_1)
	v_lshlrev_b64 v[1:2], 2, v[2:3]
	s_lshl_b64 s[8:9], s[8:9], 2
	s_add_u32 s8, s7, s8
	s_delay_alu instid0(VALU_DEP_2) | instskip(SKIP_1) | instid1(VALU_DEP_2)
	v_lshlrev_b64 v[3:4], 2, v[4:5]
	s_addc_u32 s9, s13, s9
	v_add_co_u32 v1, vcc_lo, s7, v1
	v_add_co_ci_u32_e32 v2, vcc_lo, s13, v2, vcc_lo
	s_delay_alu instid0(VALU_DEP_3) | instskip(NEXT) | instid1(VALU_DEP_4)
	v_add_co_u32 v3, vcc_lo, s7, v3
	v_add_co_ci_u32_e32 v4, vcc_lo, s13, v4, vcc_lo
	s_clause 0x1
	global_load_b32 v5, v[1:2], off
	global_load_b32 v6, v[3:4], off
	s_or_b32 s16, s12, 32
	s_delay_alu instid0(SALU_CYCLE_1) | instskip(SKIP_2) | instid1(SALU_CYCLE_1)
	s_ashr_i32 s19, s16, 5
	s_cmp_lt_i32 s16, s17
	s_cselect_b32 s20, s19, s4
	s_ashr_i32 s21, s20, 31
	s_delay_alu instid0(SALU_CYCLE_1) | instskip(NEXT) | instid1(SALU_CYCLE_1)
	s_lshl_b64 s[20:21], s[20:21], 2
	s_add_u32 s20, s7, s20
	s_addc_u32 s21, s13, s21
	s_or_b32 s16, s12, 64
	s_delay_alu instid0(SALU_CYCLE_1) | instskip(SKIP_2) | instid1(SALU_CYCLE_1)
	s_ashr_i32 s19, s16, 5
	s_cmp_lt_i32 s16, s17
	s_cselect_b32 s22, s19, s4
	s_ashr_i32 s23, s22, 31
	s_delay_alu instid0(SALU_CYCLE_1) | instskip(NEXT) | instid1(SALU_CYCLE_1)
	s_lshl_b64 s[22:23], s[22:23], 2
	s_add_u32 s22, s7, s22
	s_addc_u32 s23, s13, s23
	s_or_b32 s16, s12, 0x60
	s_delay_alu instid0(SALU_CYCLE_1) | instskip(SKIP_2) | instid1(SALU_CYCLE_1)
	s_ashr_i32 s19, s16, 5
	s_cmp_lt_i32 s16, s17
	s_cselect_b32 s24, s19, s4
	s_ashr_i32 s25, s24, 31
	s_delay_alu instid0(SALU_CYCLE_1) | instskip(NEXT) | instid1(SALU_CYCLE_1)
	s_lshl_b64 s[24:25], s[24:25], 2
	s_add_u32 s24, s7, s24
	s_addc_u32 s25, s13, s25
	s_or_b32 s16, s12, 0x80
	s_delay_alu instid0(SALU_CYCLE_1) | instskip(SKIP_2) | instid1(SALU_CYCLE_1)
	s_ashr_i32 s19, s16, 5
	s_cmp_lt_i32 s16, s17
	s_cselect_b32 s26, s19, s4
	s_ashr_i32 s27, s26, 31
	s_delay_alu instid0(SALU_CYCLE_1) | instskip(NEXT) | instid1(SALU_CYCLE_1)
	s_lshl_b64 s[26:27], s[26:27], 2
	s_add_u32 s26, s7, s26
	s_addc_u32 s27, s13, s27
	s_or_b32 s16, s12, 0xa0
	s_delay_alu instid0(SALU_CYCLE_1) | instskip(SKIP_2) | instid1(SALU_CYCLE_1)
	s_ashr_i32 s19, s16, 5
	s_cmp_lt_i32 s16, s17
	s_cselect_b32 s34, s19, s4
	s_ashr_i32 s35, s34, 31
	s_delay_alu instid0(SALU_CYCLE_1) | instskip(NEXT) | instid1(SALU_CYCLE_1)
	s_lshl_b64 s[34:35], s[34:35], 2
	s_add_u32 s34, s7, s34
	s_addc_u32 s35, s13, s35
	s_clause 0x5
	s_load_b32 s16, s[8:9], 0x0
	s_load_b32 s19, s[20:21], 0x0
	s_load_b32 s28, s[22:23], 0x0
	s_load_b32 s31, s[24:25], 0x0
	s_load_b32 s33, s[26:27], 0x0
	s_load_b32 s34, s[34:35], 0x0
	s_mov_b32 s20, 0
	s_delay_alu instid0(SALU_CYCLE_1)
	s_mov_b32 s21, s20
	s_mov_b32 s22, s20
	;; [unrolled: 1-line block ×7, first 2 shown]
	s_delay_alu instid0(SALU_CYCLE_1)
	v_dual_mov_b32 v107, s27 :: v_dual_mov_b32 v106, s26
	v_dual_mov_b32 v105, s25 :: v_dual_mov_b32 v102, s22
	;; [unrolled: 1-line block ×4, first 2 shown]
	s_waitcnt vmcnt(1)
	v_mad_i64_i32 v[1:2], null, v5, s5, s[2:3]
	v_lshlrev_b32_e32 v5, 4, v65
	s_waitcnt vmcnt(0)
	v_mad_i64_i32 v[3:4], null, v6, s5, s[2:3]
	s_or_b32 s2, s12, 0xc0
	s_delay_alu instid0(SALU_CYCLE_1) | instskip(NEXT) | instid1(VALU_DEP_3)
	s_ashr_i32 s3, s2, 5
	v_add_co_u32 v25, vcc_lo, v1, v5
	s_delay_alu instid0(VALU_DEP_4) | instskip(NEXT) | instid1(VALU_DEP_3)
	v_add_co_ci_u32_e32 v26, vcc_lo, 0, v2, vcc_lo
	v_add_co_u32 v27, vcc_lo, v3, v5
	s_delay_alu instid0(VALU_DEP_4)
	v_add_co_ci_u32_e32 v28, vcc_lo, 0, v4, vcc_lo
	s_clause 0xf
	global_load_b128 v[1:4], v[25:26], off
	global_load_b128 v[5:8], v[25:26], off offset:512
	global_load_b128 v[9:12], v[27:28], off offset:256
	;; [unrolled: 1-line block ×15, first 2 shown]
	v_mul_lo_u16 v25, v65, 43
	s_cmp_lt_i32 s2, s17
	v_lshlrev_b32_e32 v26, 5, v65
	s_cselect_b32 s2, s3, s4
	s_delay_alu instid0(VALU_DEP_2) | instskip(SKIP_1) | instid1(VALU_DEP_2)
	v_lshrrev_b16 v25, 8, v25
	s_ashr_i32 s3, s2, 31
	v_lshl_or_b32 v33, v66, 9, v26
	s_lshl_b64 s[2:3], s[2:3], 2
	s_delay_alu instid0(VALU_DEP_2) | instskip(SKIP_3) | instid1(VALU_DEP_1)
	v_mul_lo_u16 v25, v25, 6
	s_add_u32 s2, s7, s2
	s_addc_u32 s3, s13, s3
	s_or_b32 s8, s12, 0xe0
	v_sub_nc_u16 v25, v65, v25
	s_ashr_i32 s9, s8, 5
	s_cmp_lt_i32 s8, s17
	s_cselect_b32 s8, s9, s4
	s_delay_alu instid0(VALU_DEP_1) | instskip(SKIP_1) | instid1(SALU_CYCLE_1)
	v_and_b32_e32 v25, 0xff, v25
	s_ashr_i32 s9, s8, 31
	s_lshl_b64 s[8:9], s[8:9], 2
	s_delay_alu instid0(VALU_DEP_1)
	v_lshlrev_b32_e32 v72, 6, v25
	ds_load_b128 v[25:28], v72
	ds_load_b128 v[29:32], v72 offset:1024
	ds_load_b128 v[108:111], v72 offset:2048
	;; [unrolled: 1-line block ×3, first 2 shown]
	s_load_b32 s4, s[2:3], 0x0
	s_add_u32 s2, s7, s8
	s_addc_u32 s3, s13, s9
	ds_load_b128 v[116:119], v72 offset:4096
	ds_load_b128 v[120:123], v72 offset:5120
	s_load_b32 s2, s[2:3], 0x0
	s_add_u32 s7, s10, s15
	s_addc_u32 s6, s11, s6
	v_add_co_u32 v68, s7, s7, v33
	s_delay_alu instid0(VALU_DEP_1) | instskip(SKIP_1) | instid1(VALU_DEP_1)
	v_add_co_ci_u32_e64 v69, null, s6, 0, s7
	s_waitcnt lgkmcnt(0)
	v_mad_i64_i32 v[33:34], null, s16, s5, v[68:69]
	v_mad_i64_i32 v[70:71], null, s28, s5, v[68:69]
	;; [unrolled: 1-line block ×7, first 2 shown]
	s_clause 0x3
	global_load_b128 v[41:44], v[33:34], off
	global_load_b128 v[45:48], v[33:34], off offset:16
	global_load_b128 v[33:36], v[37:38], off
	global_load_b128 v[37:40], v[37:38], off offset:16
	s_waitcnt vmcnt(18)
	v_wmma_f32_16x16x16_bf16 v[124:131], v[1:8], v[25:32], v[100:107]
	s_waitcnt vmcnt(16)
	v_wmma_f32_16x16x16_bf16 v[100:107], v[9:16], v[25:32], v[100:107]
	s_clause 0x1
	global_load_b128 v[25:28], v[70:71], off
	global_load_b128 v[29:32], v[70:71], off offset:16
	s_waitcnt vmcnt(16)
	v_wmma_f32_16x16x16_bf16 v[124:131], v[17:24], v[108:115], v[124:131]
	s_clause 0x1
	global_load_b128 v[17:20], v[132:133], off
	global_load_b128 v[21:24], v[132:133], off offset:16
	s_waitcnt vmcnt(16)
	v_wmma_f32_16x16x16_bf16 v[100:107], v[49:56], v[108:115], v[100:107]
	v_mad_i64_i32 v[53:54], null, s2, s5, v[68:69]
	s_clause 0x3
	global_load_b128 v[1:4], v[134:135], off
	global_load_b128 v[5:8], v[134:135], off offset:16
	global_load_b128 v[9:12], v[136:137], off
	global_load_b128 v[13:16], v[136:137], off offset:16
	s_waitcnt vmcnt(18)
	v_wmma_f32_16x16x16_bf16 v[124:131], v[57:64], v[116:123], v[124:131]
	s_clause 0x3
	global_load_b128 v[57:60], v[138:139], off
	global_load_b128 v[61:64], v[138:139], off offset:16
	global_load_b128 v[49:52], v[53:54], off
	global_load_b128 v[53:56], v[53:54], off offset:16
	s_waitcnt vmcnt(20)
	v_wmma_f32_16x16x16_bf16 v[100:107], v[76:83], v[116:123], v[100:107]
	ds_load_b128 v[76:79], v72 offset:6144
	ds_load_b128 v[80:83], v72 offset:7168
	v_mbcnt_lo_u32_b32 v69, -1, 0
	s_waitcnt vmcnt(0) lgkmcnt(0)
	s_barrier
	buffer_gl0_inv
	v_xor_b32_e32 v70, 16, v69
	s_delay_alu instid0(VALU_DEP_1) | instskip(SKIP_4) | instid1(VALU_DEP_2)
	v_cmp_gt_i32_e32 vcc_lo, 32, v70
	v_cndmask_b32_e32 v69, v69, v70, vcc_lo
	v_wmma_f32_16x16x16_bf16 v[124:131], v[84:91], v[76:83], v[124:131]
	v_and_b32_e32 v68, 0xe0, v0
	v_wmma_f32_16x16x16_bf16 v[100:107], v[92:99], v[76:83], v[100:107]
	v_dual_mul_f32 v81, s18, v129 :: v_dual_add_nc_u32 v68, s12, v68
	s_delay_alu instid0(VALU_DEP_4) | instskip(NEXT) | instid1(VALU_DEP_3)
	v_dual_mul_f32 v83, s18, v131 :: v_dual_mul_f32 v78, s18, v125
	v_mul_f32_e32 v95, s18, v103
	v_mul_f32_e32 v79, s18, v127
	s_delay_alu instid0(VALU_DEP_4) | instskip(SKIP_3) | instid1(VALU_DEP_4)
	v_or_b32_e32 v68, v68, v74
	v_dual_mul_f32 v80, s18, v126 :: v_dual_mul_f32 v97, s18, v105
	v_dual_mul_f32 v93, s18, v101 :: v_dual_mul_f32 v82, s18, v128
	v_mul_f32_e32 v99, s18, v107
	v_or_b32_e32 v70, 2, v68
	v_or_b32_e32 v71, 4, v68
	;; [unrolled: 1-line block ×3, first 2 shown]
	v_cmp_gt_i32_e64 s2, s17, v68
	v_or_b32_e32 v108, 8, v68
	v_cmp_gt_i32_e32 vcc_lo, s17, v70
	v_mul_f32_e32 v70, s18, v124
	v_or_b32_e32 v109, 10, v68
	v_cmp_gt_i32_e64 s3, s17, v71
	v_cmp_gt_i32_e64 s4, s17, v72
	v_cndmask_b32_e32 v78, 0xff7fffff, v78, vcc_lo
	v_cndmask_b32_e64 v70, 0xff7fffff, v70, s2
	v_or_b32_e32 v84, 12, v68
	v_or_b32_e32 v85, 14, v68
	v_cndmask_b32_e64 v71, 0xff7fffff, v80, s3
	v_cndmask_b32_e64 v72, 0xff7fffff, v79, s4
	v_max3_f32 v70, v70, 0xff7fffff, v78
	v_cmp_gt_i32_e64 s5, s17, v108
	v_cmp_gt_i32_e64 s6, s17, v109
	v_or_b32_e32 v86, 16, v68
	v_or_b32_e32 v87, 18, v68
	;; [unrolled: 1-line block ×3, first 2 shown]
	v_mul_f32_e32 v92, s18, v130
	v_cndmask_b32_e64 v78, 0xff7fffff, v82, s5
	v_cndmask_b32_e64 v79, 0xff7fffff, v81, s6
	v_max3_f32 v70, v70, v71, v72
	v_cmp_gt_i32_e64 s7, s17, v84
	v_cmp_gt_i32_e64 s8, s17, v85
	v_or_b32_e32 v88, 20, v68
	v_mul_f32_e32 v94, s18, v100
	v_max3_f32 v70, v70, v78, v79
	v_cmp_gt_i32_e64 s9, s17, v86
	v_cndmask_b32_e64 v72, 0xff7fffff, v83, s8
	v_cmp_gt_i32_e64 s10, s17, v87
	v_cmp_gt_i32_e64 s12, s17, v89
	v_lshlrev_b32_e32 v89, 2, v69
	v_cndmask_b32_e64 v71, 0xff7fffff, v92, s7
	v_or_b32_e32 v90, 24, v68
	v_or_b32_e32 v91, 26, v68
	v_mul_f32_e32 v96, s18, v102
	v_cndmask_b32_e64 v78, 0xff7fffff, v94, s9
	v_cndmask_b32_e64 v79, 0xff7fffff, v93, s10
	v_max3_f32 v70, v70, v71, v72
	v_cmp_gt_i32_e64 s11, s17, v88
	v_or_b32_e32 v76, 28, v68
	v_or_b32_e32 v77, 30, v68
	v_mul_f32_e32 v98, s18, v104
	v_cndmask_b32_e64 v72, 0xff7fffff, v95, s12
	v_cndmask_b32_e64 v71, 0xff7fffff, v96, s11
	v_max3_f32 v70, v70, v78, v79
	v_cmp_gt_i32_e64 s13, s17, v90
	v_cmp_gt_i32_e64 s15, s17, v91
	v_mul_f32_e32 v68, s18, v106
	v_cmp_gt_i32_e64 s16, s17, v76
	v_max3_f32 v70, v70, v71, v72
	v_cndmask_b32_e64 v78, 0xff7fffff, v98, s13
	v_cndmask_b32_e64 v79, 0xff7fffff, v97, s15
	v_cmp_gt_i32_e64 s17, s17, v77
	v_cndmask_b32_e64 v68, 0xff7fffff, v68, s16
	s_delay_alu instid0(VALU_DEP_3) | instskip(NEXT) | instid1(VALU_DEP_3)
	v_max3_f32 v70, v70, v78, v79
	v_cndmask_b32_e64 v71, 0xff7fffff, v99, s17
	s_delay_alu instid0(VALU_DEP_1) | instskip(SKIP_3) | instid1(VALU_DEP_1)
	v_max3_f32 v68, v70, v68, v71
	ds_bpermute_b32 v69, v89, v68
	s_waitcnt lgkmcnt(0)
	v_max_f32_e32 v69, v69, v69
	v_max_f32_e32 v68, v68, v69
	s_delay_alu instid0(VALU_DEP_1) | instskip(NEXT) | instid1(VALU_DEP_1)
	v_fma_f32 v71, s18, v126, -v68
	v_mul_f32_e32 v71, 0x3fb8aa3b, v71
	s_delay_alu instid0(VALU_DEP_1) | instskip(SKIP_3) | instid1(VALU_DEP_1)
	v_exp_f32_e32 v71, v71
	s_waitcnt_depctr 0xfff
	v_cndmask_b32_e64 v83, 0, v71, s3
	v_fma_f32 v71, s18, v131, -v68
	v_mul_f32_e32 v71, 0x3fb8aa3b, v71
	v_fma_f32 v69, s18, v124, -v68
	v_fma_f32 v76, s18, v128, -v68
	;; [unrolled: 1-line block ×4, first 2 shown]
	v_exp_f32_e32 v71, v71
	v_mul_f32_e32 v69, 0x3fb8aa3b, v69
	v_mul_f32_e32 v77, 0x3fb8aa3b, v76
	v_fma_f32 v81, s18, v105, -v68
	v_fma_f32 v78, s18, v130, -v68
	s_delay_alu instid0(VALU_DEP_4) | instskip(NEXT) | instid1(VALU_DEP_3)
	v_exp_f32_e32 v69, v69
	v_exp_f32_e32 v77, v77
	s_delay_alu instid0(VALU_DEP_2) | instskip(NEXT) | instid1(TRANS32_DEP_3)
	v_mul_f32_e32 v81, 0x3fb8aa3b, v81
	v_cndmask_b32_e64 v88, 0, v71, s8
	v_fma_f32 v71, s18, v104, -v68
	s_delay_alu instid0(VALU_DEP_3) | instskip(NEXT) | instid1(TRANS32_DEP_3)
	v_exp_f32_e32 v81, v81
	v_cndmask_b32_e64 v80, 0, v69, s2
	v_fma_f32 v69, s18, v129, -v68
	v_mul_f32_e32 v70, 0x3fb8aa3b, v70
	s_delay_alu instid0(TRANS32_DEP_2)
	v_cndmask_b32_e64 v86, 0, v77, s5
	v_mul_f32_e32 v72, 0x3fb8aa3b, v72
	v_fma_f32 v77, s18, v101, -v68
	v_mul_f32_e32 v69, 0x3fb8aa3b, v69
	v_exp_f32_e32 v70, v70
	v_mul_f32_e32 v71, 0x3fb8aa3b, v71
	v_exp_f32_e32 v72, v72
	;; [unrolled: 2-line block ×3, first 2 shown]
	s_mov_b32 s2, exec_lo
	v_exp_f32_e32 v82, v71
	s_delay_alu instid0(VALU_DEP_1) | instskip(SKIP_4) | instid1(TRANS32_DEP_3)
	v_exp_f32_e32 v77, v77
	v_cndmask_b32_e32 v76, 0, v70, vcc_lo
	v_add_f32_e32 v70, 0, v80
	v_cndmask_b32_e64 v85, 0, v72, s4
	v_fma_f32 v72, s18, v100, -v68
	v_cndmask_b32_e64 v87, 0, v69, s6
	s_delay_alu instid0(VALU_DEP_4) | instskip(NEXT) | instid1(VALU_DEP_3)
	v_add_f32_e32 v70, v70, v76
	v_mul_f32_e32 v72, 0x3fb8aa3b, v72
	s_delay_alu instid0(VALU_DEP_2) | instskip(NEXT) | instid1(VALU_DEP_2)
	v_add_f32_e32 v70, v70, v83
	v_exp_f32_e32 v72, v72
	s_delay_alu instid0(VALU_DEP_1) | instskip(NEXT) | instid1(VALU_DEP_1)
	v_add_f32_e32 v70, v70, v85
	v_add_f32_e32 v69, v70, v86
	v_fma_f32 v70, s18, v102, -v68
	s_delay_alu instid0(VALU_DEP_2) | instskip(NEXT) | instid1(VALU_DEP_2)
	v_dual_add_f32 v69, v69, v87 :: v_dual_mul_f32 v78, 0x3fb8aa3b, v78
	v_mul_f32_e32 v70, 0x3fb8aa3b, v70
	s_delay_alu instid0(VALU_DEP_2) | instskip(NEXT) | instid1(VALU_DEP_1)
	v_exp_f32_e32 v78, v78
	v_exp_f32_e32 v79, v70
	s_delay_alu instid0(TRANS32_DEP_3) | instskip(SKIP_4) | instid1(VALU_DEP_2)
	v_cndmask_b32_e64 v70, 0, v72, s9
	s_waitcnt_depctr 0xfff
	v_cndmask_b32_e64 v84, 0, v78, s7
	v_fma_f32 v78, s18, v103, -v68
	v_cndmask_b32_e64 v71, 0, v79, s11
	v_dual_add_f32 v69, v69, v84 :: v_dual_mul_f32 v78, 0x3fb8aa3b, v78
	s_delay_alu instid0(VALU_DEP_1) | instskip(NEXT) | instid1(VALU_DEP_2)
	v_add_f32_e32 v72, v69, v88
	v_exp_f32_e32 v78, v78
	v_cndmask_b32_e64 v69, 0, v77, s10
	v_fma_f32 v77, s18, v106, -v68
	s_delay_alu instid0(VALU_DEP_1) | instskip(NEXT) | instid1(VALU_DEP_1)
	v_dual_add_f32 v72, v72, v70 :: v_dual_mul_f32 v77, 0x3fb8aa3b, v77
	v_add_f32_e32 v79, v72, v69
	s_waitcnt_depctr 0xfff
	v_cndmask_b32_e64 v72, 0, v78, s12
	v_exp_f32_e32 v90, v77
	v_cndmask_b32_e64 v77, 0, v82, s13
	v_add_f32_e32 v78, v79, v71
	v_fma_f32 v79, s18, v107, -v68
	s_delay_alu instid0(VALU_DEP_1) | instskip(SKIP_1) | instid1(VALU_DEP_2)
	v_dual_add_f32 v82, v78, v72 :: v_dual_mul_f32 v79, 0x3fb8aa3b, v79
	v_cndmask_b32_e64 v78, 0, v81, s15
	v_add_f32_e32 v81, v82, v77
	s_delay_alu instid0(VALU_DEP_3) | instskip(NEXT) | instid1(TRANS32_DEP_2)
	v_exp_f32_e32 v82, v79
	v_cndmask_b32_e64 v79, 0, v90, s16
	s_delay_alu instid0(VALU_DEP_2) | instskip(NEXT) | instid1(VALU_DEP_1)
	v_add_f32_e32 v81, v81, v78
	v_add_f32_e32 v90, v81, v79
	s_waitcnt_depctr 0xfff
	v_cndmask_b32_e64 v81, 0, v82, s17
	s_delay_alu instid0(VALU_DEP_1)
	v_add_f32_e32 v82, v90, v81
	ds_bpermute_b32 v89, v89, v82
	v_cmpx_gt_u32_e32 16, v67
	s_cbranch_execz .LBB1907_12
; %bb.11:
	v_mul_u32_u24_e32 v67, 0x44, v66
	s_delay_alu instid0(VALU_DEP_1) | instskip(SKIP_1) | instid1(VALU_DEP_1)
	v_lshl_add_u32 v67, v65, 2, v67
	s_waitcnt lgkmcnt(0)
	v_dual_add_f32 v82, v82, v89 :: v_dual_add_nc_u32 v67, 0x4000, v67
	ds_store_2addr_b32 v67, v68, v82 offset1:136
.LBB1907_12:
	s_or_b32 exec_lo, exec_lo, s2
	v_lshlrev_b32_e32 v67, 2, v65
	s_waitcnt lgkmcnt(0)
	s_barrier
	buffer_gl0_inv
	v_cmp_eq_u32_e32 vcc_lo, 1, v66
	v_add_nc_u32_e32 v82, 0x4000, v67
	v_cmp_eq_u32_e64 s2, 2, v66
	v_cmp_eq_u32_e64 s4, 7, v66
	ds_load_2addr_b32 v[89:90], v82 offset1:17
	ds_load_2addr_b32 v[91:92], v82 offset0:34 offset1:51
	ds_load_2addr_b32 v[93:94], v82 offset0:68 offset1:85
	;; [unrolled: 1-line block ×4, first 2 shown]
	s_waitcnt lgkmcnt(4)
	v_max3_f32 v67, v89, 0xff7fffff, v90
	s_waitcnt lgkmcnt(3)
	s_delay_alu instid0(VALU_DEP_1) | instskip(SKIP_1) | instid1(VALU_DEP_1)
	v_max3_f32 v67, v67, v91, v92
	s_waitcnt lgkmcnt(2)
	v_max3_f32 v67, v67, v93, v94
	s_waitcnt lgkmcnt(1)
	s_delay_alu instid0(VALU_DEP_1) | instskip(NEXT) | instid1(VALU_DEP_1)
	v_max3_f32 v67, v67, v95, v96
	v_sub_f32_e32 v93, v93, v67
	s_delay_alu instid0(VALU_DEP_1) | instskip(NEXT) | instid1(VALU_DEP_1)
	v_dual_sub_f32 v68, v89, v67 :: v_dual_mul_f32 v103, 0x3fb8aa3b, v93
	v_mul_f32_e32 v68, 0x3fb8aa3b, v68
	s_delay_alu instid0(VALU_DEP_1)
	v_exp_f32_e32 v100, v68
	v_sub_f32_e32 v68, v92, v67
	v_sub_f32_e32 v99, v90, v67
	ds_load_2addr_b32 v[89:90], v82 offset0:170 offset1:187
	v_dual_mul_f32 v102, 0x3fb8aa3b, v68 :: v_dual_mul_f32 v99, 0x3fb8aa3b, v99
	s_waitcnt lgkmcnt(1)
	v_fma_f32 v68, v100, v97, 0
	s_delay_alu instid0(VALU_DEP_2) | instskip(NEXT) | instid1(VALU_DEP_2)
	v_exp_f32_e32 v102, v102
	v_exp_f32_e32 v99, v99
	s_waitcnt_depctr 0xfff
	v_fmac_f32_e32 v68, v99, v98
	v_sub_f32_e32 v91, v91, v67
	s_delay_alu instid0(VALU_DEP_1)
	v_mul_f32_e32 v101, 0x3fb8aa3b, v91
	ds_load_2addr_b32 v[91:92], v82 offset0:204 offset1:221
	v_sub_f32_e32 v97, v94, v67
	ds_load_2addr_b32 v[93:94], v82 offset0:238 offset1:255
	s_waitcnt lgkmcnt(0)
	v_exp_f32_e32 v101, v101
	s_barrier
	buffer_gl0_inv
	v_dual_fmac_f32 v68, v101, v89 :: v_dual_sub_f32 v89, v96, v67
	v_dual_sub_f32 v82, v95, v67 :: v_dual_mul_f32 v95, 0x3fb8aa3b, v97
	v_exp_f32_e32 v97, v103
	s_delay_alu instid0(VALU_DEP_2) | instskip(NEXT) | instid1(VALU_DEP_2)
	v_dual_fmac_f32 v68, v102, v90 :: v_dual_mul_f32 v89, 0x3fb8aa3b, v89
	v_mul_f32_e32 v82, 0x3fb8aa3b, v82
	s_delay_alu instid0(VALU_DEP_3) | instskip(NEXT) | instid1(VALU_DEP_2)
	v_exp_f32_e32 v95, v95
	v_exp_f32_e32 v89, v89
	s_delay_alu instid0(VALU_DEP_1)
	v_exp_f32_e32 v82, v82
	v_fmac_f32_e32 v68, v97, v91
	s_delay_alu instid0(TRANS32_DEP_3) | instid1(VALU_DEP_1)
	v_fmac_f32_e32 v68, v95, v92
	s_waitcnt_depctr 0xfff
	v_fmac_f32_e32 v68, v82, v93
	s_delay_alu instid0(VALU_DEP_1) | instskip(NEXT) | instid1(VALU_DEP_1)
	v_fmac_f32_e32 v68, v89, v94
	v_add_f32_e32 v90, 0x358637bd, v68
	s_delay_alu instid0(VALU_DEP_1) | instskip(NEXT) | instid1(VALU_DEP_1)
	v_div_scale_f32 v91, null, v90, v90, 1.0
	v_rcp_f32_e32 v92, v91
	s_waitcnt_depctr 0xfff
	v_fma_f32 v93, -v91, v92, 1.0
	s_delay_alu instid0(VALU_DEP_1) | instskip(SKIP_1) | instid1(VALU_DEP_2)
	v_dual_fmac_f32 v92, v93, v92 :: v_dual_cndmask_b32 v93, v100, v99
	v_cmp_eq_u32_e32 vcc_lo, 3, v66
	v_cndmask_b32_e64 v93, v93, v101, s2
	v_cmp_eq_u32_e64 s2, 4, v66
	s_delay_alu instid0(VALU_DEP_2) | instskip(SKIP_1) | instid1(VALU_DEP_2)
	v_cndmask_b32_e32 v93, v93, v102, vcc_lo
	v_cmp_eq_u32_e32 vcc_lo, 5, v66
	v_cndmask_b32_e64 v93, v93, v97, s2
	v_cmp_eq_u32_e64 s2, 6, v66
	s_delay_alu instid0(VALU_DEP_2) | instskip(SKIP_1) | instid1(VALU_DEP_1)
	v_cndmask_b32_e32 v93, v93, v95, vcc_lo
	v_div_scale_f32 v94, s3, 1.0, v90, 1.0
	s_mov_b32 vcc_lo, s3
	s_delay_alu instid0(VALU_DEP_2) | instskip(NEXT) | instid1(VALU_DEP_2)
	v_cndmask_b32_e64 v82, v93, v82, s2
	v_mul_f32_e32 v96, v94, v92
	s_mov_b32 s2, exec_lo
	s_delay_alu instid0(VALU_DEP_2) | instskip(NEXT) | instid1(VALU_DEP_2)
	v_cndmask_b32_e64 v82, v82, v89, s4
	v_fma_f32 v98, -v91, v96, v94
	s_delay_alu instid0(VALU_DEP_1) | instskip(NEXT) | instid1(VALU_DEP_1)
	v_fmac_f32_e32 v96, v98, v92
	v_fma_f32 v91, -v91, v96, v94
	s_delay_alu instid0(VALU_DEP_1) | instskip(NEXT) | instid1(VALU_DEP_1)
	v_div_fmas_f32 v91, v91, v92, v96
	v_div_fixup_f32 v90, v91, v90, 1.0
	s_delay_alu instid0(VALU_DEP_1) | instskip(NEXT) | instid1(VALU_DEP_1)
	v_mul_f32_e32 v82, v82, v90
	v_mul_f32_e32 v87, v82, v87
	v_mul_f32_e32 v90, v82, v80
	v_mul_f32_e32 v80, v82, v88
	v_mul_f32_e32 v84, v82, v84
	v_mul_f32_e32 v88, v82, v86
	v_mul_f32_e32 v89, v82, v85
	v_dual_mul_f32 v86, v82, v83 :: v_dual_and_b32 v91, 0x7f800000, v90
	v_mul_f32_e32 v85, v82, v76
                                        ; implicit-def: $vgpr76
	s_delay_alu instid0(VALU_DEP_2)
	v_cmpx_ne_u32_e32 0x7f800000, v91
	s_xor_b32 s2, exec_lo, s2
; %bb.13:
	v_bfe_u32 v76, v90, 16, 1
	s_delay_alu instid0(VALU_DEP_1)
	v_add3_u32 v76, v90, v76, 0x7fff
                                        ; implicit-def: $vgpr90
; %bb.14:
	s_and_not1_saveexec_b32 s2, s2
; %bb.15:
	v_and_b32_e32 v76, 0xffff, v90
	v_or_b32_e32 v83, 0x10000, v90
	s_delay_alu instid0(VALU_DEP_2) | instskip(NEXT) | instid1(VALU_DEP_2)
	v_cmp_eq_u32_e32 vcc_lo, 0, v76
	v_cndmask_b32_e32 v76, v83, v90, vcc_lo
; %bb.16:
	s_or_b32 exec_lo, exec_lo, s2
	v_and_b32_e32 v83, 0x7f800000, v85
	s_delay_alu instid0(VALU_DEP_1) | instskip(SKIP_1) | instid1(SALU_CYCLE_1)
	v_cmp_ne_u32_e32 vcc_lo, 0x7f800000, v83
                                        ; implicit-def: $vgpr83
	s_and_saveexec_b32 s2, vcc_lo
	s_xor_b32 s2, exec_lo, s2
; %bb.17:
	v_bfe_u32 v83, v85, 16, 1
	s_delay_alu instid0(VALU_DEP_1)
	v_add3_u32 v83, v85, v83, 0x7fff
                                        ; implicit-def: $vgpr85
; %bb.18:
	s_and_not1_saveexec_b32 s2, s2
; %bb.19:
	v_and_b32_e32 v83, 0xffff, v85
	v_or_b32_e32 v90, 0x10000, v85
	s_delay_alu instid0(VALU_DEP_2) | instskip(NEXT) | instid1(VALU_DEP_2)
	v_cmp_eq_u32_e32 vcc_lo, 0, v83
	v_cndmask_b32_e32 v83, v90, v85, vcc_lo
; %bb.20:
	s_or_b32 exec_lo, exec_lo, s2
	v_and_b32_e32 v85, 0x7f800000, v86
	s_delay_alu instid0(VALU_DEP_1) | instskip(SKIP_1) | instid1(SALU_CYCLE_1)
	v_cmp_ne_u32_e32 vcc_lo, 0x7f800000, v85
                                        ; implicit-def: $vgpr85
	s_and_saveexec_b32 s2, vcc_lo
	s_xor_b32 s2, exec_lo, s2
; %bb.21:
	v_bfe_u32 v85, v86, 16, 1
	s_delay_alu instid0(VALU_DEP_1)
	v_add3_u32 v85, v86, v85, 0x7fff
                                        ; implicit-def: $vgpr86
; %bb.22:
	s_and_not1_saveexec_b32 s2, s2
; %bb.23:
	v_and_b32_e32 v85, 0xffff, v86
	v_or_b32_e32 v90, 0x10000, v86
	s_delay_alu instid0(VALU_DEP_2) | instskip(NEXT) | instid1(VALU_DEP_2)
	v_cmp_eq_u32_e32 vcc_lo, 0, v85
	v_cndmask_b32_e32 v85, v90, v86, vcc_lo
; %bb.24:
	s_or_b32 exec_lo, exec_lo, s2
	v_and_b32_e32 v86, 0x7f800000, v89
	s_delay_alu instid0(VALU_DEP_1) | instskip(SKIP_1) | instid1(SALU_CYCLE_1)
	v_cmp_ne_u32_e32 vcc_lo, 0x7f800000, v86
                                        ; implicit-def: $vgpr86
	s_and_saveexec_b32 s2, vcc_lo
	s_xor_b32 s2, exec_lo, s2
; %bb.25:
	v_bfe_u32 v86, v89, 16, 1
	s_delay_alu instid0(VALU_DEP_1)
	v_add3_u32 v86, v89, v86, 0x7fff
                                        ; implicit-def: $vgpr89
; %bb.26:
	s_and_not1_saveexec_b32 s2, s2
; %bb.27:
	v_and_b32_e32 v86, 0xffff, v89
	v_or_b32_e32 v90, 0x10000, v89
	s_delay_alu instid0(VALU_DEP_2) | instskip(NEXT) | instid1(VALU_DEP_2)
	v_cmp_eq_u32_e32 vcc_lo, 0, v86
	v_cndmask_b32_e32 v86, v90, v89, vcc_lo
; %bb.28:
	s_or_b32 exec_lo, exec_lo, s2
	v_and_b32_e32 v89, 0x7f800000, v88
	s_delay_alu instid0(VALU_DEP_1) | instskip(SKIP_1) | instid1(SALU_CYCLE_1)
	v_cmp_ne_u32_e32 vcc_lo, 0x7f800000, v89
                                        ; implicit-def: $vgpr89
	s_and_saveexec_b32 s2, vcc_lo
	s_xor_b32 s2, exec_lo, s2
; %bb.29:
	v_bfe_u32 v89, v88, 16, 1
	s_delay_alu instid0(VALU_DEP_1)
	v_add3_u32 v89, v88, v89, 0x7fff
                                        ; implicit-def: $vgpr88
; %bb.30:
	s_and_not1_saveexec_b32 s2, s2
; %bb.31:
	v_and_b32_e32 v89, 0xffff, v88
	v_or_b32_e32 v90, 0x10000, v88
	s_delay_alu instid0(VALU_DEP_2) | instskip(NEXT) | instid1(VALU_DEP_2)
	v_cmp_eq_u32_e32 vcc_lo, 0, v89
	v_cndmask_b32_e32 v89, v90, v88, vcc_lo
; %bb.32:
	s_or_b32 exec_lo, exec_lo, s2
	v_and_b32_e32 v88, 0x7f800000, v87
	s_delay_alu instid0(VALU_DEP_1) | instskip(SKIP_1) | instid1(SALU_CYCLE_1)
	v_cmp_ne_u32_e32 vcc_lo, 0x7f800000, v88
                                        ; implicit-def: $vgpr88
	s_and_saveexec_b32 s2, vcc_lo
	s_xor_b32 s2, exec_lo, s2
; %bb.33:
	v_bfe_u32 v88, v87, 16, 1
	s_delay_alu instid0(VALU_DEP_1)
	v_add3_u32 v88, v87, v88, 0x7fff
                                        ; implicit-def: $vgpr87
; %bb.34:
	s_and_not1_saveexec_b32 s2, s2
; %bb.35:
	v_and_b32_e32 v88, 0xffff, v87
	v_or_b32_e32 v90, 0x10000, v87
	s_delay_alu instid0(VALU_DEP_2) | instskip(NEXT) | instid1(VALU_DEP_2)
	v_cmp_eq_u32_e32 vcc_lo, 0, v88
	v_cndmask_b32_e32 v88, v90, v87, vcc_lo
; %bb.36:
	s_or_b32 exec_lo, exec_lo, s2
	v_and_b32_e32 v87, 0x7f800000, v84
	s_delay_alu instid0(VALU_DEP_1) | instskip(SKIP_1) | instid1(SALU_CYCLE_1)
	v_cmp_ne_u32_e32 vcc_lo, 0x7f800000, v87
                                        ; implicit-def: $vgpr87
	s_and_saveexec_b32 s2, vcc_lo
	s_xor_b32 s2, exec_lo, s2
; %bb.37:
	v_bfe_u32 v87, v84, 16, 1
	s_delay_alu instid0(VALU_DEP_1)
	v_add3_u32 v87, v84, v87, 0x7fff
                                        ; implicit-def: $vgpr84
; %bb.38:
	s_and_not1_saveexec_b32 s2, s2
; %bb.39:
	v_and_b32_e32 v87, 0xffff, v84
	v_or_b32_e32 v90, 0x10000, v84
	s_delay_alu instid0(VALU_DEP_2) | instskip(NEXT) | instid1(VALU_DEP_2)
	v_cmp_eq_u32_e32 vcc_lo, 0, v87
	v_cndmask_b32_e32 v87, v90, v84, vcc_lo
; %bb.40:
	s_or_b32 exec_lo, exec_lo, s2
	v_and_b32_e32 v84, 0x7f800000, v80
	s_delay_alu instid0(VALU_DEP_1) | instskip(SKIP_1) | instid1(SALU_CYCLE_1)
	v_cmp_ne_u32_e32 vcc_lo, 0x7f800000, v84
                                        ; implicit-def: $vgpr84
	s_and_saveexec_b32 s2, vcc_lo
	s_xor_b32 s2, exec_lo, s2
; %bb.41:
	v_bfe_u32 v84, v80, 16, 1
	s_delay_alu instid0(VALU_DEP_1)
	v_add3_u32 v84, v80, v84, 0x7fff
                                        ; implicit-def: $vgpr80
; %bb.42:
	s_and_not1_saveexec_b32 s2, s2
; %bb.43:
	v_and_b32_e32 v84, 0xffff, v80
	v_or_b32_e32 v90, 0x10000, v80
	s_delay_alu instid0(VALU_DEP_2) | instskip(NEXT) | instid1(VALU_DEP_2)
	v_cmp_eq_u32_e32 vcc_lo, 0, v84
	v_cndmask_b32_e32 v84, v90, v80, vcc_lo
; %bb.44:
	s_or_b32 exec_lo, exec_lo, s2
	s_load_b64 s[34:35], s[0:1], 0x94
	v_lshlrev_b32_e32 v91, 4, v74
	s_delay_alu instid0(VALU_DEP_2)
	v_perm_b32 v90, v84, v87, 0x7060302
	v_dual_mul_f32 v79, v82, v79 :: v_dual_lshlrev_b32 v80, 6, v65
	v_dual_mul_f32 v77, v82, v77 :: v_dual_lshlrev_b32 v92, 11, v66
	v_mul_f32_e32 v84, v82, v70
	v_perm_b32 v89, v88, v89, 0x7060302
	v_perm_b32 v88, v86, v85, 0x7060302
	;; [unrolled: 1-line block ×3, first 2 shown]
	v_mul_f32_e32 v70, v82, v81
	v_or3_b32 v76, v91, v92, v80
	v_dual_mul_f32 v78, v82, v78 :: v_dual_and_b32 v85, 0x7f800000, v84
	v_mul_f32_e32 v83, v82, v72
	v_mul_f32_e32 v81, v82, v71
	;; [unrolled: 1-line block ×3, first 2 shown]
	s_mov_b32 s2, exec_lo
	ds_store_b128 v76, v[87:90]
                                        ; implicit-def: $vgpr69
	v_cmpx_ne_u32_e32 0x7f800000, v85
	s_xor_b32 s2, exec_lo, s2
; %bb.45:
	v_bfe_u32 v69, v84, 16, 1
	s_delay_alu instid0(VALU_DEP_1)
	v_add3_u32 v69, v84, v69, 0x7fff
                                        ; implicit-def: $vgpr84
; %bb.46:
	s_and_not1_saveexec_b32 s2, s2
; %bb.47:
	v_and_b32_e32 v69, 0xffff, v84
	v_or_b32_e32 v71, 0x10000, v84
	s_delay_alu instid0(VALU_DEP_2) | instskip(NEXT) | instid1(VALU_DEP_2)
	v_cmp_eq_u32_e32 vcc_lo, 0, v69
	v_cndmask_b32_e32 v69, v71, v84, vcc_lo
; %bb.48:
	s_or_b32 exec_lo, exec_lo, s2
	v_and_b32_e32 v71, 0x7f800000, v72
	s_delay_alu instid0(VALU_DEP_1) | instskip(SKIP_1) | instid1(SALU_CYCLE_1)
	v_cmp_ne_u32_e32 vcc_lo, 0x7f800000, v71
                                        ; implicit-def: $vgpr71
	s_and_saveexec_b32 s2, vcc_lo
	s_xor_b32 s2, exec_lo, s2
; %bb.49:
	v_bfe_u32 v71, v72, 16, 1
	s_delay_alu instid0(VALU_DEP_1)
	v_add3_u32 v71, v72, v71, 0x7fff
                                        ; implicit-def: $vgpr72
; %bb.50:
	s_and_not1_saveexec_b32 s2, s2
; %bb.51:
	v_and_b32_e32 v71, 0xffff, v72
	v_or_b32_e32 v82, 0x10000, v72
	s_delay_alu instid0(VALU_DEP_2) | instskip(NEXT) | instid1(VALU_DEP_2)
	v_cmp_eq_u32_e32 vcc_lo, 0, v71
	v_cndmask_b32_e32 v71, v82, v72, vcc_lo
; %bb.52:
	s_or_b32 exec_lo, exec_lo, s2
	v_and_b32_e32 v72, 0x7f800000, v81
	s_delay_alu instid0(VALU_DEP_1) | instskip(SKIP_1) | instid1(SALU_CYCLE_1)
	v_cmp_ne_u32_e32 vcc_lo, 0x7f800000, v72
                                        ; implicit-def: $vgpr72
	s_and_saveexec_b32 s2, vcc_lo
	s_xor_b32 s2, exec_lo, s2
; %bb.53:
	v_bfe_u32 v72, v81, 16, 1
	s_delay_alu instid0(VALU_DEP_1)
	v_add3_u32 v72, v81, v72, 0x7fff
                                        ; implicit-def: $vgpr81
; %bb.54:
	s_and_not1_saveexec_b32 s2, s2
; %bb.55:
	v_and_b32_e32 v72, 0xffff, v81
	v_or_b32_e32 v82, 0x10000, v81
	s_delay_alu instid0(VALU_DEP_2) | instskip(NEXT) | instid1(VALU_DEP_2)
	v_cmp_eq_u32_e32 vcc_lo, 0, v72
	v_cndmask_b32_e32 v72, v82, v81, vcc_lo
; %bb.56:
	s_or_b32 exec_lo, exec_lo, s2
	v_and_b32_e32 v81, 0x7f800000, v83
	s_delay_alu instid0(VALU_DEP_1) | instskip(SKIP_1) | instid1(SALU_CYCLE_1)
	v_cmp_ne_u32_e32 vcc_lo, 0x7f800000, v81
                                        ; implicit-def: $vgpr81
	s_and_saveexec_b32 s2, vcc_lo
	s_xor_b32 s2, exec_lo, s2
; %bb.57:
	v_bfe_u32 v81, v83, 16, 1
	s_delay_alu instid0(VALU_DEP_1)
	v_add3_u32 v81, v83, v81, 0x7fff
                                        ; implicit-def: $vgpr83
; %bb.58:
	s_and_not1_saveexec_b32 s2, s2
; %bb.59:
	v_and_b32_e32 v81, 0xffff, v83
	v_or_b32_e32 v82, 0x10000, v83
	s_delay_alu instid0(VALU_DEP_2) | instskip(NEXT) | instid1(VALU_DEP_2)
	v_cmp_eq_u32_e32 vcc_lo, 0, v81
	v_cndmask_b32_e32 v81, v82, v83, vcc_lo
; %bb.60:
	s_or_b32 exec_lo, exec_lo, s2
	v_and_b32_e32 v82, 0x7f800000, v77
	s_delay_alu instid0(VALU_DEP_1) | instskip(SKIP_1) | instid1(SALU_CYCLE_1)
	v_cmp_ne_u32_e32 vcc_lo, 0x7f800000, v82
                                        ; implicit-def: $vgpr82
	s_and_saveexec_b32 s2, vcc_lo
	s_xor_b32 s2, exec_lo, s2
; %bb.61:
	v_bfe_u32 v82, v77, 16, 1
	s_delay_alu instid0(VALU_DEP_1)
	v_add3_u32 v82, v77, v82, 0x7fff
                                        ; implicit-def: $vgpr77
; %bb.62:
	s_and_not1_saveexec_b32 s2, s2
; %bb.63:
	v_and_b32_e32 v82, 0xffff, v77
	v_or_b32_e32 v83, 0x10000, v77
	s_delay_alu instid0(VALU_DEP_2) | instskip(NEXT) | instid1(VALU_DEP_2)
	v_cmp_eq_u32_e32 vcc_lo, 0, v82
	v_cndmask_b32_e32 v82, v83, v77, vcc_lo
; %bb.64:
	s_or_b32 exec_lo, exec_lo, s2
	v_and_b32_e32 v77, 0x7f800000, v78
	s_delay_alu instid0(VALU_DEP_1) | instskip(SKIP_1) | instid1(SALU_CYCLE_1)
	v_cmp_ne_u32_e32 vcc_lo, 0x7f800000, v77
                                        ; implicit-def: $vgpr77
	s_and_saveexec_b32 s2, vcc_lo
	s_xor_b32 s2, exec_lo, s2
; %bb.65:
	v_bfe_u32 v77, v78, 16, 1
	s_delay_alu instid0(VALU_DEP_1)
	v_add3_u32 v77, v78, v77, 0x7fff
                                        ; implicit-def: $vgpr78
; %bb.66:
	s_and_not1_saveexec_b32 s2, s2
; %bb.67:
	v_and_b32_e32 v77, 0xffff, v78
	v_or_b32_e32 v83, 0x10000, v78
	s_delay_alu instid0(VALU_DEP_2) | instskip(NEXT) | instid1(VALU_DEP_2)
	v_cmp_eq_u32_e32 vcc_lo, 0, v77
	v_cndmask_b32_e32 v77, v83, v78, vcc_lo
; %bb.68:
	s_or_b32 exec_lo, exec_lo, s2
	v_and_b32_e32 v78, 0x7f800000, v79
	s_delay_alu instid0(VALU_DEP_1) | instskip(SKIP_1) | instid1(SALU_CYCLE_1)
	v_cmp_ne_u32_e32 vcc_lo, 0x7f800000, v78
                                        ; implicit-def: $vgpr78
	s_and_saveexec_b32 s2, vcc_lo
	s_xor_b32 s2, exec_lo, s2
; %bb.69:
	v_bfe_u32 v78, v79, 16, 1
	s_delay_alu instid0(VALU_DEP_1)
	v_add3_u32 v78, v79, v78, 0x7fff
                                        ; implicit-def: $vgpr79
; %bb.70:
	s_and_not1_saveexec_b32 s2, s2
; %bb.71:
	v_and_b32_e32 v78, 0xffff, v79
	v_or_b32_e32 v83, 0x10000, v79
	s_delay_alu instid0(VALU_DEP_2) | instskip(NEXT) | instid1(VALU_DEP_2)
	v_cmp_eq_u32_e32 vcc_lo, 0, v78
	v_cndmask_b32_e32 v78, v83, v79, vcc_lo
; %bb.72:
	s_or_b32 exec_lo, exec_lo, s2
	v_and_b32_e32 v79, 0x7f800000, v70
	s_delay_alu instid0(VALU_DEP_1) | instskip(SKIP_1) | instid1(SALU_CYCLE_1)
	v_cmp_ne_u32_e32 vcc_lo, 0x7f800000, v79
                                        ; implicit-def: $vgpr79
	s_and_saveexec_b32 s2, vcc_lo
	s_xor_b32 s2, exec_lo, s2
; %bb.73:
	v_bfe_u32 v79, v70, 16, 1
	s_delay_alu instid0(VALU_DEP_1)
	v_add3_u32 v79, v70, v79, 0x7fff
                                        ; implicit-def: $vgpr70
; %bb.74:
	s_and_not1_saveexec_b32 s2, s2
; %bb.75:
	v_and_b32_e32 v79, 0xffff, v70
	v_or_b32_e32 v83, 0x10000, v70
	s_delay_alu instid0(VALU_DEP_2) | instskip(NEXT) | instid1(VALU_DEP_2)
	v_cmp_eq_u32_e32 vcc_lo, 0, v79
	v_cndmask_b32_e32 v79, v83, v70, vcc_lo
; %bb.76:
	s_or_b32 exec_lo, exec_lo, s2
	s_delay_alu instid0(VALU_DEP_1)
	v_perm_b32 v86, v79, v78, 0x7060302
	v_perm_b32 v85, v77, v82, 0x7060302
	v_perm_b32 v84, v81, v72, 0x7060302
	v_perm_b32 v83, v71, v69, 0x7060302
	v_lshl_or_b32 v82, v66, 11, v80
	ds_store_b128 v76, v[83:86] offset:1024
	s_waitcnt lgkmcnt(0)
	s_barrier
	buffer_gl0_inv
	ds_load_b128 v[69:72], v82
	ds_load_b128 v[83:86], v82 offset:16
	s_waitcnt lgkmcnt(1)
	v_lshrrev_b32_e32 v66, 16, v69
	s_waitcnt lgkmcnt(0)
	v_lshrrev_b32_e32 v91, 16, v83
	v_lshlrev_b32_e32 v78, 2, v74
	v_lshrrev_b32_e32 v95, 16, v70
	v_lshrrev_b32_e32 v98, 16, v84
	;; [unrolled: 1-line block ×4, first 2 shown]
	v_cmp_eq_u32_e32 vcc_lo, 1, v78
	v_lshrrev_b32_e32 v97, 16, v72
	v_lshrrev_b32_e32 v100, 16, v86
	v_cndmask_b32_e32 v87, v83, v91, vcc_lo
	v_or_b32_e32 v79, 1, v78
	v_cndmask_b32_e32 v81, v69, v66, vcc_lo
	v_cmp_eq_u32_e64 s3, 2, v78
	v_cmp_eq_u32_e64 s6, 3, v78
	;; [unrolled: 1-line block ×5, first 2 shown]
	v_cndmask_b32_e64 v81, v81, v70, s3
	v_cndmask_b32_e64 v87, v87, v84, s3
	v_cmp_eq_u32_e64 s7, 3, v79
	v_cndmask_b32_e64 v88, v69, v66, s2
	v_or_b32_e32 v77, 2, v78
	v_cndmask_b32_e64 v81, v81, v95, s6
	v_cndmask_b32_e64 v87, v87, v98, s6
	;; [unrolled: 1-line block ×4, first 2 shown]
	v_cmp_eq_u32_e64 s9, 5, v78
	v_cndmask_b32_e64 v81, v81, v71, s8
	v_cndmask_b32_e64 v87, v87, v85, s8
	v_cmp_eq_u32_e64 s10, 4, v79
	v_cndmask_b32_e64 v88, v88, v95, s7
	v_cmp_eq_u32_e64 s4, 1, v77
	v_cndmask_b32_e64 v89, v89, v84, s5
	v_cndmask_b32_e64 v81, v81, v96, s9
	v_cmp_eq_u32_e64 s11, 6, v78
	v_cndmask_b32_e64 v88, v88, v71, s10
	;; [unrolled: 3-line block ×3, first 2 shown]
	v_cndmask_b32_e64 v89, v89, v98, s7
	v_cndmask_b32_e64 v81, v81, v72, s11
	v_cmp_eq_u32_e64 s13, 7, v78
	v_cndmask_b32_e64 v88, v88, v96, s12
	v_cndmask_b32_e64 v87, v87, v86, s11
	v_cmp_eq_u32_e64 s15, 6, v79
	v_cmp_eq_u32_e64 s16, 2, v77
	v_cndmask_b32_e64 v89, v89, v85, s10
	v_cndmask_b32_e64 v101, v81, v97, s13
	;; [unrolled: 1-line block ×6, first 2 shown]
	v_cmp_eq_u32_e64 s17, 7, v79
	v_cmp_eq_u32_e64 s18, 3, v77
	;; [unrolled: 1-line block ×4, first 2 shown]
	v_cndmask_b32_e64 v87, v87, v84, s16
	v_cndmask_b32_e64 v103, v88, v97, s17
	;; [unrolled: 1-line block ×4, first 2 shown]
	v_or_b32_e32 v81, 3, v78
	v_cndmask_b32_e64 v93, v87, v98, s18
	v_cmp_eq_u32_e64 s23, 6, v77
	v_cndmask_b32_e64 v104, v88, v86, s15
	v_cndmask_b32_e64 v92, v89, v71, s19
	v_cmp_eq_u32_e64 s20, 1, v81
	ds_load_b128 v[87:90], v82 offset:1024
	v_cmp_eq_u32_e64 s22, 2, v81
	v_cmp_eq_u32_e64 s24, 3, v81
	v_cndmask_b32_e64 v105, v92, v96, s21
	v_cndmask_b32_e64 v66, v69, v66, s20
	;; [unrolled: 1-line block ×4, first 2 shown]
	ds_load_b128 v[91:94], v82 offset:1040
	v_cmp_eq_u32_e64 s25, 4, v81
	v_cndmask_b32_e64 v66, v66, v70, s22
	v_cmp_eq_u32_e64 s26, 7, v77
	v_cndmask_b32_e64 v70, v83, v84, s22
	v_cndmask_b32_e64 v84, v105, v72, s23
	v_cmp_eq_u32_e64 s27, 5, v81
	v_cndmask_b32_e64 v66, v66, v95, s24
	v_cmp_eq_u32_e64 s28, 6, v81
	v_cndmask_b32_e64 v70, v70, v98, s24
	v_cndmask_b32_e64 v69, v69, v99, s21
	;; [unrolled: 1-line block ×4, first 2 shown]
	s_waitcnt lgkmcnt(1)
	v_lshrrev_b32_e32 v95, 16, v87
	v_cndmask_b32_e64 v70, v70, v85, s25
	v_cndmask_b32_e64 v71, v84, v97, s26
	;; [unrolled: 1-line block ×4, first 2 shown]
	v_cndmask_b32_e32 v84, v87, v95, vcc_lo
	v_cndmask_b32_e64 v70, v70, v99, s27
	s_waitcnt lgkmcnt(0)
	v_lshrrev_b32_e32 v85, 16, v91
	v_lshrrev_b32_e32 v96, 16, v88
	v_cndmask_b32_e64 v98, v87, v95, s2
	v_cndmask_b32_e64 v84, v84, v88, s3
	;; [unrolled: 1-line block ×3, first 2 shown]
	v_cndmask_b32_e32 v99, v91, v85, vcc_lo
	v_cmp_eq_u32_e32 vcc_lo, 7, v81
	v_cndmask_b32_e64 v66, v66, v72, s28
	v_cndmask_b32_e64 v72, v84, v96, s6
	;; [unrolled: 1-line block ×3, first 2 shown]
	v_lshrrev_b32_e32 v98, 16, v92
	v_cndmask_b32_e32 v70, v70, v100, vcc_lo
	v_cndmask_b32_e64 v86, v99, v92, s3
	v_cndmask_b32_e64 v69, v69, v100, s26
	v_lshrrev_b32_e32 v100, 16, v93
	v_cndmask_b32_e64 v72, v72, v89, s8
	v_lshrrev_b32_e32 v99, 16, v89
	v_cndmask_b32_e64 v86, v86, v98, s6
	v_perm_b32 v71, v69, v71, 0x5040100
	v_cndmask_b32_e64 v84, v84, v96, s7
	s_delay_alu instid0(VALU_DEP_3) | instskip(NEXT) | instid1(VALU_DEP_2)
	v_cndmask_b32_e64 v86, v86, v93, s8
	v_cndmask_b32_e64 v84, v84, v89, s10
	s_delay_alu instid0(VALU_DEP_2) | instskip(NEXT) | instid1(VALU_DEP_1)
	v_cndmask_b32_e64 v86, v86, v100, s9
	v_cndmask_b32_e64 v69, v86, v94, s11
	;; [unrolled: 1-line block ×5, first 2 shown]
	s_delay_alu instid0(VALU_DEP_3) | instskip(NEXT) | instid1(VALU_DEP_3)
	v_cndmask_b32_e64 v86, v86, v88, s16
	v_cndmask_b32_e64 v87, v87, v88, s22
	s_delay_alu instid0(VALU_DEP_3) | instskip(NEXT) | instid1(VALU_DEP_3)
	v_cndmask_b32_e64 v88, v95, v92, s22
	v_cndmask_b32_e64 v86, v86, v96, s18
	;; [unrolled: 3-line block ×7, first 2 shown]
	s_delay_alu instid0(VALU_DEP_3) | instskip(SKIP_2) | instid1(VALU_DEP_2)
	v_cndmask_b32_e64 v88, v88, v94, s28
	v_cndmask_b32_e32 v66, v66, v97, vcc_lo
	v_cndmask_b32_e64 v97, v72, v99, s9
	v_perm_b32 v72, v70, v66, 0x5040100
	v_perm_b32 v70, v83, v103, 0x5040100
	v_cndmask_b32_e64 v103, v91, v85, s4
	v_cndmask_b32_e64 v85, v91, v85, s2
	;; [unrolled: 1-line block ×4, first 2 shown]
	v_lshrrev_b32_e32 v97, 16, v90
	v_cndmask_b32_e64 v91, v103, v92, s16
	v_cndmask_b32_e64 v85, v85, v92, s5
	v_cndmask_b32_e64 v66, v66, v90, s15
	s_mov_b32 s2, exec_lo
	v_cndmask_b32_e64 v83, v84, v97, s13
	v_cndmask_b32_e64 v91, v91, v98, s18
	;; [unrolled: 1-line block ×3, first 2 shown]
	v_lshrrev_b32_e32 v84, 16, v94
	v_cndmask_b32_e64 v66, v66, v97, s17
	v_cndmask_b32_e64 v90, v86, v97, s26
	v_cndmask_b32_e64 v89, v91, v93, s19
	v_cndmask_b32_e64 v85, v85, v93, s10
	v_dual_cndmask_b32 v86, v87, v97 :: v_dual_cndmask_b32 v87, v88, v84
	v_cndmask_b32_e64 v91, v69, v84, s13
	s_delay_alu instid0(VALU_DEP_4) | instskip(NEXT) | instid1(VALU_DEP_4)
	v_cndmask_b32_e64 v89, v89, v100, s21
	v_cndmask_b32_e64 v85, v85, v100, s12
	v_perm_b32 v69, v102, v101, 0x5040100
	v_perm_b32 v86, v87, v86, 0x5040100
	;; [unrolled: 1-line block ×3, first 2 shown]
	v_cndmask_b32_e64 v89, v89, v94, s23
	v_cndmask_b32_e64 v85, v85, v94, s15
	s_mul_i32 s7, s35, 6
	s_delay_alu instid0(VALU_DEP_2) | instskip(NEXT) | instid1(VALU_DEP_2)
	v_cndmask_b32_e64 v88, v89, v84, s26
	v_cndmask_b32_e64 v89, v85, v84, s17
	s_delay_alu instid0(VALU_DEP_2) | instskip(NEXT) | instid1(VALU_DEP_2)
	v_perm_b32 v85, v88, v90, 0x5040100
	v_perm_b32 v84, v89, v66, 0x5040100
	ds_store_b128 v76, v[69:72]
	ds_store_b128 v76, v[83:86] offset:1024
	v_cmpx_gt_u32_e32 6, v0
	s_cbranch_execz .LBB1907_78
; %bb.77:
	s_mul_i32 s3, s7, s30
	s_load_b128 s[8:11], s[0:1], 0x58
	v_add3_u32 v69, s3, s29, v65
	s_delay_alu instid0(VALU_DEP_1) | instskip(NEXT) | instid1(VALU_DEP_1)
	v_mad_u64_u32 v[65:66], null, v69, s34, s[14:15]
	v_ashrrev_i32_e32 v66, 31, v65
	s_delay_alu instid0(VALU_DEP_1) | instskip(SKIP_1) | instid1(VALU_DEP_1)
	v_lshlrev_b64 v[65:66], 2, v[65:66]
	s_waitcnt lgkmcnt(0)
	v_add_co_u32 v69, vcc_lo, s10, v65
	s_delay_alu instid0(VALU_DEP_2)
	v_add_co_ci_u32_e32 v70, vcc_lo, s11, v66, vcc_lo
	v_add_co_u32 v65, vcc_lo, s8, v65
	v_add_co_ci_u32_e32 v66, vcc_lo, s9, v66, vcc_lo
	global_store_b32 v[69:70], v67, off
	global_store_b32 v[65:66], v68, off
.LBB1907_78:
	s_or_b32 exec_lo, exec_lo, s2
	s_waitcnt lgkmcnt(0)
	s_waitcnt_vscnt null, 0x0
	s_barrier
	buffer_gl0_inv
	ds_load_b128 v[83:86], v80
	ds_load_b128 v[87:90], v80 offset:16
	ds_load_b128 v[95:98], v80 offset:2064
	;; [unrolled: 1-line block ×3, first 2 shown]
	v_mov_b32_e32 v65, 0
	ds_load_b128 v[103:106], v80 offset:4112
	ds_load_b128 v[99:102], v80 offset:4096
	;; [unrolled: 1-line block ×4, first 2 shown]
	v_mov_b32_e32 v66, v65
	v_mov_b32_e32 v67, v65
	;; [unrolled: 1-line block ×7, first 2 shown]
	s_waitcnt lgkmcnt(6)
	s_delay_alu instid0(VALU_DEP_1)
	v_wmma_f32_16x16x16_bf16 v[65:72], v[41:48], v[83:90], v[65:72]
	ds_load_b128 v[45:48], v80 offset:8208
	ds_load_b128 v[41:44], v80 offset:8192
	s_waitcnt lgkmcnt(6)
	v_wmma_f32_16x16x16_bf16 v[65:72], v[33:40], v[91:98], v[65:72]
	ds_load_b128 v[37:40], v80 offset:10256
	ds_load_b128 v[33:36], v80 offset:10240
	s_waitcnt lgkmcnt(6)
	v_wmma_f32_16x16x16_bf16 v[65:72], v[25:32], v[99:106], v[65:72]
	ds_load_b128 v[29:32], v80 offset:12304
	ds_load_b128 v[25:28], v80 offset:12288
	s_waitcnt lgkmcnt(6)
	v_wmma_f32_16x16x16_bf16 v[65:72], v[17:24], v[107:114], v[65:72]
	ds_load_b128 v[21:24], v80 offset:14352
	ds_load_b128 v[17:20], v80 offset:14336
	s_waitcnt lgkmcnt(6)
	v_wmma_f32_16x16x16_bf16 v[65:72], v[1:8], v[41:48], v[65:72]
	s_waitcnt lgkmcnt(4)
	s_delay_alu instid0(VALU_DEP_1) | instskip(SKIP_1) | instid1(VALU_DEP_1)
	v_wmma_f32_16x16x16_bf16 v[65:72], v[9:16], v[33:40], v[65:72]
	s_waitcnt lgkmcnt(2)
	v_wmma_f32_16x16x16_bf16 v[65:72], v[57:64], v[25:32], v[65:72]
	s_waitcnt lgkmcnt(0)
	s_delay_alu instid0(VALU_DEP_1) | instskip(NEXT) | instid1(VALU_DEP_1)
	v_wmma_f32_16x16x16_bf16 v[65:72], v[49:56], v[17:24], v[65:72]
	v_and_b32_e32 v1, 0x7f800000, v65
	s_delay_alu instid0(VALU_DEP_1) | instskip(SKIP_1) | instid1(SALU_CYCLE_1)
	v_cmp_ne_u32_e32 vcc_lo, 0x7f800000, v1
                                        ; implicit-def: $vgpr1
	s_and_saveexec_b32 s2, vcc_lo
	s_xor_b32 s2, exec_lo, s2
; %bb.79:
	v_bfe_u32 v1, v65, 16, 1
	s_delay_alu instid0(VALU_DEP_1)
	v_add3_u32 v1, v65, v1, 0x7fff
; %bb.80:
	s_and_not1_saveexec_b32 s2, s2
; %bb.81:
	v_and_b32_e32 v1, 0xffff, v65
	v_or_b32_e32 v2, 0x10000, v65
	s_delay_alu instid0(VALU_DEP_2) | instskip(NEXT) | instid1(VALU_DEP_2)
	v_cmp_eq_u32_e32 vcc_lo, 0, v1
	v_cndmask_b32_e32 v1, v2, v65, vcc_lo
; %bb.82:
	s_or_b32 exec_lo, exec_lo, s2
	v_and_b32_e32 v2, 0x7f800000, v66
	s_delay_alu instid0(VALU_DEP_1) | instskip(SKIP_1) | instid1(SALU_CYCLE_1)
	v_cmp_ne_u32_e32 vcc_lo, 0x7f800000, v2
                                        ; implicit-def: $vgpr2
	s_and_saveexec_b32 s2, vcc_lo
	s_xor_b32 s2, exec_lo, s2
; %bb.83:
	v_bfe_u32 v2, v66, 16, 1
	s_delay_alu instid0(VALU_DEP_1)
	v_add3_u32 v2, v66, v2, 0x7fff
; %bb.84:
	s_and_not1_saveexec_b32 s2, s2
; %bb.85:
	v_and_b32_e32 v2, 0xffff, v66
	v_or_b32_e32 v3, 0x10000, v66
	s_delay_alu instid0(VALU_DEP_2) | instskip(NEXT) | instid1(VALU_DEP_2)
	v_cmp_eq_u32_e32 vcc_lo, 0, v2
	v_cndmask_b32_e32 v2, v3, v66, vcc_lo
; %bb.86:
	s_or_b32 exec_lo, exec_lo, s2
	v_and_b32_e32 v3, 0x7f800000, v67
	s_delay_alu instid0(VALU_DEP_1) | instskip(SKIP_1) | instid1(SALU_CYCLE_1)
	v_cmp_ne_u32_e32 vcc_lo, 0x7f800000, v3
                                        ; implicit-def: $vgpr3
	s_and_saveexec_b32 s2, vcc_lo
	s_xor_b32 s2, exec_lo, s2
; %bb.87:
	v_bfe_u32 v3, v67, 16, 1
	s_delay_alu instid0(VALU_DEP_1)
	v_add3_u32 v3, v67, v3, 0x7fff
; %bb.88:
	s_and_not1_saveexec_b32 s2, s2
; %bb.89:
	v_and_b32_e32 v3, 0xffff, v67
	v_or_b32_e32 v4, 0x10000, v67
	s_delay_alu instid0(VALU_DEP_2) | instskip(NEXT) | instid1(VALU_DEP_2)
	v_cmp_eq_u32_e32 vcc_lo, 0, v3
	v_cndmask_b32_e32 v3, v4, v67, vcc_lo
; %bb.90:
	s_or_b32 exec_lo, exec_lo, s2
	v_and_b32_e32 v4, 0x7f800000, v68
	s_delay_alu instid0(VALU_DEP_1) | instskip(SKIP_1) | instid1(SALU_CYCLE_1)
	v_cmp_ne_u32_e32 vcc_lo, 0x7f800000, v4
                                        ; implicit-def: $vgpr4
	s_and_saveexec_b32 s2, vcc_lo
	s_xor_b32 s2, exec_lo, s2
; %bb.91:
	v_bfe_u32 v4, v68, 16, 1
	s_delay_alu instid0(VALU_DEP_1)
	v_add3_u32 v4, v68, v4, 0x7fff
; %bb.92:
	s_and_not1_saveexec_b32 s2, s2
; %bb.93:
	v_and_b32_e32 v4, 0xffff, v68
	v_or_b32_e32 v5, 0x10000, v68
	s_delay_alu instid0(VALU_DEP_2) | instskip(NEXT) | instid1(VALU_DEP_2)
	v_cmp_eq_u32_e32 vcc_lo, 0, v4
	v_cndmask_b32_e32 v4, v5, v68, vcc_lo
; %bb.94:
	s_or_b32 exec_lo, exec_lo, s2
	v_and_b32_e32 v5, 0x7f800000, v69
	s_delay_alu instid0(VALU_DEP_1) | instskip(SKIP_1) | instid1(SALU_CYCLE_1)
	v_cmp_ne_u32_e32 vcc_lo, 0x7f800000, v5
                                        ; implicit-def: $vgpr5
	s_and_saveexec_b32 s2, vcc_lo
	s_xor_b32 s2, exec_lo, s2
; %bb.95:
	v_bfe_u32 v5, v69, 16, 1
	s_delay_alu instid0(VALU_DEP_1)
	v_add3_u32 v5, v69, v5, 0x7fff
; %bb.96:
	s_and_not1_saveexec_b32 s2, s2
; %bb.97:
	v_and_b32_e32 v5, 0xffff, v69
	v_or_b32_e32 v6, 0x10000, v69
	s_delay_alu instid0(VALU_DEP_2) | instskip(NEXT) | instid1(VALU_DEP_2)
	v_cmp_eq_u32_e32 vcc_lo, 0, v5
	v_cndmask_b32_e32 v5, v6, v69, vcc_lo
; %bb.98:
	s_or_b32 exec_lo, exec_lo, s2
	v_and_b32_e32 v6, 0x7f800000, v70
	s_delay_alu instid0(VALU_DEP_1) | instskip(SKIP_1) | instid1(SALU_CYCLE_1)
	v_cmp_ne_u32_e32 vcc_lo, 0x7f800000, v6
                                        ; implicit-def: $vgpr6
	s_and_saveexec_b32 s2, vcc_lo
	s_xor_b32 s2, exec_lo, s2
; %bb.99:
	v_bfe_u32 v6, v70, 16, 1
	s_delay_alu instid0(VALU_DEP_1)
	v_add3_u32 v6, v70, v6, 0x7fff
; %bb.100:
	s_and_not1_saveexec_b32 s2, s2
; %bb.101:
	v_and_b32_e32 v6, 0xffff, v70
	v_or_b32_e32 v7, 0x10000, v70
	s_delay_alu instid0(VALU_DEP_2) | instskip(NEXT) | instid1(VALU_DEP_2)
	v_cmp_eq_u32_e32 vcc_lo, 0, v6
	v_cndmask_b32_e32 v6, v7, v70, vcc_lo
; %bb.102:
	s_or_b32 exec_lo, exec_lo, s2
	v_and_b32_e32 v7, 0x7f800000, v71
	s_delay_alu instid0(VALU_DEP_1) | instskip(SKIP_1) | instid1(SALU_CYCLE_1)
	v_cmp_ne_u32_e32 vcc_lo, 0x7f800000, v7
                                        ; implicit-def: $vgpr7
	s_and_saveexec_b32 s2, vcc_lo
	s_xor_b32 s2, exec_lo, s2
; %bb.103:
	v_bfe_u32 v7, v71, 16, 1
	s_delay_alu instid0(VALU_DEP_1)
	v_add3_u32 v7, v71, v7, 0x7fff
; %bb.104:
	s_and_not1_saveexec_b32 s2, s2
; %bb.105:
	v_and_b32_e32 v7, 0xffff, v71
	v_or_b32_e32 v8, 0x10000, v71
	s_delay_alu instid0(VALU_DEP_2) | instskip(NEXT) | instid1(VALU_DEP_2)
	v_cmp_eq_u32_e32 vcc_lo, 0, v7
	v_cndmask_b32_e32 v7, v8, v71, vcc_lo
; %bb.106:
	s_or_b32 exec_lo, exec_lo, s2
	v_and_b32_e32 v8, 0x7f800000, v72
	s_delay_alu instid0(VALU_DEP_1) | instskip(SKIP_1) | instid1(SALU_CYCLE_1)
	v_cmp_ne_u32_e32 vcc_lo, 0x7f800000, v8
                                        ; implicit-def: $vgpr8
	s_and_saveexec_b32 s2, vcc_lo
	s_xor_b32 s2, exec_lo, s2
; %bb.107:
	v_bfe_u32 v8, v72, 16, 1
	s_delay_alu instid0(VALU_DEP_1)
	v_add3_u32 v8, v72, v8, 0x7fff
                                        ; implicit-def: $vgpr65_vgpr66_vgpr67_vgpr68_vgpr69_vgpr70_vgpr71_vgpr72
; %bb.108:
	s_and_not1_saveexec_b32 s2, s2
; %bb.109:
	v_and_b32_e32 v8, 0xffff, v72
	v_or_b32_e32 v9, 0x10000, v72
	s_delay_alu instid0(VALU_DEP_2) | instskip(NEXT) | instid1(VALU_DEP_2)
	v_cmp_eq_u32_e32 vcc_lo, 0, v8
	v_cndmask_b32_e32 v8, v9, v72, vcc_lo
; %bb.110:
	s_or_b32 exec_lo, exec_lo, s2
	s_delay_alu instid0(VALU_DEP_1)
	v_perm_b32 v7, v8, v7, 0x7060302
	v_perm_b32 v6, v6, v5, 0x7060302
	;; [unrolled: 1-line block ×4, first 2 shown]
	s_barrier
	buffer_gl0_inv
	v_cmp_eq_u32_e32 vcc_lo, 1, v78
	ds_store_b128 v76, v[4:7]
	s_waitcnt lgkmcnt(0)
	s_barrier
	buffer_gl0_inv
	ds_load_b128 v[1:4], v82
	ds_load_b128 v[5:8], v82 offset:16
	v_cmp_eq_u32_e64 s2, 1, v79
	v_cmp_eq_u32_e64 s3, 2, v78
	v_cmp_eq_u32_e64 s4, 3, v78
	v_cmp_eq_u32_e64 s6, 2, v77
	v_cmp_eq_u32_e64 s5, 7, v79
	s_waitcnt lgkmcnt(1)
	v_lshrrev_b32_e32 v9, 16, v1
	s_waitcnt lgkmcnt(0)
	v_lshrrev_b32_e32 v13, 16, v5
	v_lshrrev_b32_e32 v10, 16, v2
	;; [unrolled: 1-line block ×4, first 2 shown]
	v_cndmask_b32_e64 v19, v1, v9, s2
	v_cndmask_b32_e32 v18, v5, v13, vcc_lo
	v_cndmask_b32_e64 v20, v5, v13, s2
	v_cndmask_b32_e32 v17, v1, v9, vcc_lo
	v_cmp_eq_u32_e32 vcc_lo, 2, v79
	v_lshrrev_b32_e32 v15, 16, v7
	v_cmp_eq_u32_e64 s2, 1, v77
	v_lshrrev_b32_e32 v12, 16, v4
	v_lshrrev_b32_e32 v16, 16, v8
	v_cndmask_b32_e32 v20, v20, v6, vcc_lo
	v_cndmask_b32_e64 v17, v17, v2, s3
	v_cndmask_b32_e32 v19, v19, v2, vcc_lo
	v_cndmask_b32_e64 v18, v18, v6, s3
	v_cmp_eq_u32_e32 vcc_lo, 4, v78
	v_cmp_eq_u32_e64 s3, 3, v79
	v_cndmask_b32_e64 v17, v17, v10, s4
	v_cndmask_b32_e64 v21, v1, v9, s2
	;; [unrolled: 1-line block ×5, first 2 shown]
	v_cndmask_b32_e32 v17, v17, v3, vcc_lo
	v_cndmask_b32_e64 v20, v20, v14, s3
	v_cndmask_b32_e32 v18, v18, v7, vcc_lo
	v_cmp_eq_u32_e32 vcc_lo, 4, v79
	v_cmp_eq_u32_e64 s3, 5, v79
	v_cmp_eq_u32_e64 s2, 2, v81
	v_cndmask_b32_e64 v21, v21, v2, s6
	v_cmp_eq_u32_e64 s4, 5, v78
	v_cndmask_b32_e32 v19, v19, v3, vcc_lo
	v_cndmask_b32_e32 v20, v20, v7, vcc_lo
	v_cmp_eq_u32_e32 vcc_lo, 6, v79
	s_delay_alu instid0(VALU_DEP_4) | instskip(NEXT) | instid1(VALU_DEP_4)
	v_cndmask_b32_e64 v17, v17, v11, s4
	v_cndmask_b32_e64 v19, v19, v11, s3
	s_delay_alu instid0(VALU_DEP_4) | instskip(SKIP_1) | instid1(VALU_DEP_3)
	v_cndmask_b32_e64 v20, v20, v15, s3
	v_cmp_eq_u32_e64 s3, 1, v81
	v_cndmask_b32_e32 v19, v19, v4, vcc_lo
	v_cndmask_b32_e64 v18, v18, v15, s4
	s_delay_alu instid0(VALU_DEP_3)
	v_cndmask_b32_e64 v1, v1, v9, s3
	v_cndmask_b32_e64 v5, v5, v13, s3
	v_cmp_eq_u32_e64 s3, 3, v77
	v_cndmask_b32_e64 v13, v22, v6, s6
	v_cmp_eq_u32_e64 s6, 3, v81
	v_cndmask_b32_e64 v1, v1, v2, s2
	v_cndmask_b32_e64 v2, v5, v6, s2
	;; [unrolled: 1-line block ×3, first 2 shown]
	v_cmp_eq_u32_e64 s2, 4, v77
	v_cndmask_b32_e64 v6, v13, v14, s3
	v_cndmask_b32_e64 v1, v1, v10, s6
	v_cmp_eq_u32_e64 s3, 4, v81
	v_cndmask_b32_e64 v2, v2, v14, s6
	v_cndmask_b32_e64 v5, v9, v3, s2
	;; [unrolled: 3-line block ×3, first 2 shown]
	v_cndmask_b32_e64 v2, v2, v7, s3
	v_cmp_eq_u32_e64 s2, 5, v81
	v_cmp_eq_u32_e64 s4, 6, v78
	v_cndmask_b32_e64 v5, v5, v11, s6
	v_cmp_eq_u32_e64 s3, 6, v77
	v_cndmask_b32_e64 v3, v6, v15, s6
	v_cndmask_b32_e64 v1, v1, v11, s2
	v_cmp_eq_u32_e64 s6, 6, v81
	v_cndmask_b32_e64 v2, v2, v15, s2
	v_cndmask_b32_e64 v17, v17, v4, s4
	v_cndmask_b32_e64 v18, v18, v8, s4
	v_cmp_eq_u32_e64 s4, 7, v78
	v_cndmask_b32_e64 v5, v5, v4, s3
	;; [unrolled: 4-line block ×3, first 2 shown]
	v_cmp_eq_u32_e64 s3, 7, v77
	v_cndmask_b32_e32 v4, v20, v8, vcc_lo
	v_cndmask_b32_e64 v17, v17, v12, s4
	v_cndmask_b32_e64 v19, v19, v12, s5
	;; [unrolled: 1-line block ×8, first 2 shown]
	s_mov_b32 s2, exec_lo
	v_perm_b32 v4, v2, v1, 0x5040100
	v_perm_b32 v3, v3, v5, 0x5040100
	;; [unrolled: 1-line block ×4, first 2 shown]
	ds_store_b128 v76, v[1:4]
	s_waitcnt lgkmcnt(0)
	s_barrier
	buffer_gl0_inv
	v_cmpx_gt_u32_e32 32, v0
	s_cbranch_execz .LBB1907_2
; %bb.111:
	s_load_b64 s[0:1], s[0:1], 0x68
	s_lshl_b32 s4, s34, 7
	v_or_b32_e32 v3, s29, v74
	s_mul_i32 s2, s4, s30
	v_lshlrev_b32_e32 v0, 10, v0
	s_mul_i32 s2, s2, s7
	v_lshlrev_b32_e32 v1, 4, v75
	s_ashr_i32 s3, s2, 31
	v_mul_lo_u32 v12, v3, s4
	s_lshl_b64 s[2:3], s[2:3], 1
	v_lshlrev_b32_e32 v2, 6, v74
	v_and_b32_e32 v0, 0x3800, v0
	s_delay_alu instid0(VALU_DEP_1) | instskip(NEXT) | instid1(VALU_DEP_4)
	v_or3_b32 v8, v0, v1, v2
	v_ashrrev_i32_e32 v13, 31, v12
	ds_load_b128 v[0:3], v8
	ds_load_b128 v[4:7], v8 offset:128
	ds_load_b128 v[8:11], v8 offset:256
	s_waitcnt lgkmcnt(0)
	s_add_u32 s2, s0, s2
	s_addc_u32 s3, s1, s3
	s_lshl_b32 s0, s14, 7
	s_delay_alu instid0(SALU_CYCLE_1) | instskip(NEXT) | instid1(SALU_CYCLE_1)
	s_ashr_i32 s1, s0, 31
	s_lshl_b64 s[0:1], s[0:1], 1
	s_delay_alu instid0(SALU_CYCLE_1)
	s_add_u32 s0, s2, s0
	s_addc_u32 s1, s3, s1
	s_lshl_b32 s2, s34, 8
	v_add_co_u32 v18, s0, s0, v73
	v_add_nc_u32_e32 v14, s2, v12
	v_lshlrev_b64 v[12:13], 1, v[12:13]
	v_add_co_ci_u32_e64 v19, null, s1, 0, s0
	s_delay_alu instid0(VALU_DEP_3) | instskip(SKIP_1) | instid1(VALU_DEP_4)
	v_add_nc_u32_e32 v16, s2, v14
	v_ashrrev_i32_e32 v15, 31, v14
	v_add_co_u32 v12, vcc_lo, v18, v12
	s_delay_alu instid0(VALU_DEP_4) | instskip(NEXT) | instid1(VALU_DEP_4)
	v_add_co_ci_u32_e32 v13, vcc_lo, v19, v13, vcc_lo
	v_ashrrev_i32_e32 v17, 31, v16
	s_delay_alu instid0(VALU_DEP_4) | instskip(NEXT) | instid1(VALU_DEP_2)
	v_lshlrev_b64 v[14:15], 1, v[14:15]
	v_lshlrev_b64 v[16:17], 1, v[16:17]
	s_delay_alu instid0(VALU_DEP_2) | instskip(NEXT) | instid1(VALU_DEP_3)
	v_add_co_u32 v14, vcc_lo, v18, v14
	v_add_co_ci_u32_e32 v15, vcc_lo, v19, v15, vcc_lo
	s_delay_alu instid0(VALU_DEP_3) | instskip(NEXT) | instid1(VALU_DEP_4)
	v_add_co_u32 v16, vcc_lo, v18, v16
	v_add_co_ci_u32_e32 v17, vcc_lo, v19, v17, vcc_lo
	s_clause 0x2
	global_store_b128 v[12:13], v[0:3], off
	global_store_b128 v[14:15], v[4:7], off
	;; [unrolled: 1-line block ×3, first 2 shown]
	s_nop 0
	s_sendmsg sendmsg(MSG_DEALLOC_VGPRS)
	s_endpgm
	.section	.rodata,"a",@progbits
	.p2align	6, 0x0
	.amdhsa_kernel _Z39paged_attention_ll4mi_QKV_mfma16_kernelI14__hip_bfloat16hLN4vllm18Fp8KVCacheDataTypeE1ES0_Li32ELi128ELi256ELb0ELi6EL8MFMAType0EEvPKT_PKT0_S9_ifPKiSB_SB_iPKfiiiPfSE_PS4_PT2_iSD_SD_
		.amdhsa_group_segment_fixed_size 17472
		.amdhsa_private_segment_fixed_size 0
		.amdhsa_kernarg_size 400
		.amdhsa_user_sgpr_count 13
		.amdhsa_user_sgpr_dispatch_ptr 0
		.amdhsa_user_sgpr_queue_ptr 0
		.amdhsa_user_sgpr_kernarg_segment_ptr 1
		.amdhsa_user_sgpr_dispatch_id 0
		.amdhsa_user_sgpr_private_segment_size 0
		.amdhsa_wavefront_size32 1
		.amdhsa_uses_dynamic_stack 0
		.amdhsa_enable_private_segment 0
		.amdhsa_system_sgpr_workgroup_id_x 1
		.amdhsa_system_sgpr_workgroup_id_y 1
		.amdhsa_system_sgpr_workgroup_id_z 1
		.amdhsa_system_sgpr_workgroup_info 0
		.amdhsa_system_vgpr_workitem_id 0
		.amdhsa_next_free_vgpr 140
		.amdhsa_next_free_sgpr 36
		.amdhsa_reserve_vcc 1
		.amdhsa_float_round_mode_32 0
		.amdhsa_float_round_mode_16_64 0
		.amdhsa_float_denorm_mode_32 3
		.amdhsa_float_denorm_mode_16_64 3
		.amdhsa_dx10_clamp 1
		.amdhsa_ieee_mode 1
		.amdhsa_fp16_overflow 0
		.amdhsa_workgroup_processor_mode 1
		.amdhsa_memory_ordered 1
		.amdhsa_forward_progress 0
		.amdhsa_shared_vgpr_count 0
		.amdhsa_exception_fp_ieee_invalid_op 0
		.amdhsa_exception_fp_denorm_src 0
		.amdhsa_exception_fp_ieee_div_zero 0
		.amdhsa_exception_fp_ieee_overflow 0
		.amdhsa_exception_fp_ieee_underflow 0
		.amdhsa_exception_fp_ieee_inexact 0
		.amdhsa_exception_int_div_zero 0
	.end_amdhsa_kernel
	.section	.text._Z39paged_attention_ll4mi_QKV_mfma16_kernelI14__hip_bfloat16hLN4vllm18Fp8KVCacheDataTypeE1ES0_Li32ELi128ELi256ELb0ELi6EL8MFMAType0EEvPKT_PKT0_S9_ifPKiSB_SB_iPKfiiiPfSE_PS4_PT2_iSD_SD_,"axG",@progbits,_Z39paged_attention_ll4mi_QKV_mfma16_kernelI14__hip_bfloat16hLN4vllm18Fp8KVCacheDataTypeE1ES0_Li32ELi128ELi256ELb0ELi6EL8MFMAType0EEvPKT_PKT0_S9_ifPKiSB_SB_iPKfiiiPfSE_PS4_PT2_iSD_SD_,comdat
.Lfunc_end1907:
	.size	_Z39paged_attention_ll4mi_QKV_mfma16_kernelI14__hip_bfloat16hLN4vllm18Fp8KVCacheDataTypeE1ES0_Li32ELi128ELi256ELb0ELi6EL8MFMAType0EEvPKT_PKT0_S9_ifPKiSB_SB_iPKfiiiPfSE_PS4_PT2_iSD_SD_, .Lfunc_end1907-_Z39paged_attention_ll4mi_QKV_mfma16_kernelI14__hip_bfloat16hLN4vllm18Fp8KVCacheDataTypeE1ES0_Li32ELi128ELi256ELb0ELi6EL8MFMAType0EEvPKT_PKT0_S9_ifPKiSB_SB_iPKfiiiPfSE_PS4_PT2_iSD_SD_
                                        ; -- End function
	.section	.AMDGPU.csdata,"",@progbits
; Kernel info:
; codeLenInByte = 8896
; NumSgprs: 38
; NumVgprs: 140
; ScratchSize: 0
; MemoryBound: 0
; FloatMode: 240
; IeeeMode: 1
; LDSByteSize: 17472 bytes/workgroup (compile time only)
; SGPRBlocks: 4
; VGPRBlocks: 17
; NumSGPRsForWavesPerEU: 38
; NumVGPRsForWavesPerEU: 140
; Occupancy: 10
; WaveLimiterHint : 1
; COMPUTE_PGM_RSRC2:SCRATCH_EN: 0
; COMPUTE_PGM_RSRC2:USER_SGPR: 13
; COMPUTE_PGM_RSRC2:TRAP_HANDLER: 0
; COMPUTE_PGM_RSRC2:TGID_X_EN: 1
; COMPUTE_PGM_RSRC2:TGID_Y_EN: 1
; COMPUTE_PGM_RSRC2:TGID_Z_EN: 1
; COMPUTE_PGM_RSRC2:TIDIG_COMP_CNT: 0
	.section	.text._Z39paged_attention_ll4mi_QKV_mfma16_kernelI14__hip_bfloat16hLN4vllm18Fp8KVCacheDataTypeE1ES0_Li32ELi128ELi256ELb0ELi7EL8MFMAType0EEvPKT_PKT0_S9_ifPKiSB_SB_iPKfiiiPfSE_PS4_PT2_iSD_SD_,"axG",@progbits,_Z39paged_attention_ll4mi_QKV_mfma16_kernelI14__hip_bfloat16hLN4vllm18Fp8KVCacheDataTypeE1ES0_Li32ELi128ELi256ELb0ELi7EL8MFMAType0EEvPKT_PKT0_S9_ifPKiSB_SB_iPKfiiiPfSE_PS4_PT2_iSD_SD_,comdat
	.protected	_Z39paged_attention_ll4mi_QKV_mfma16_kernelI14__hip_bfloat16hLN4vllm18Fp8KVCacheDataTypeE1ES0_Li32ELi128ELi256ELb0ELi7EL8MFMAType0EEvPKT_PKT0_S9_ifPKiSB_SB_iPKfiiiPfSE_PS4_PT2_iSD_SD_ ; -- Begin function _Z39paged_attention_ll4mi_QKV_mfma16_kernelI14__hip_bfloat16hLN4vllm18Fp8KVCacheDataTypeE1ES0_Li32ELi128ELi256ELb0ELi7EL8MFMAType0EEvPKT_PKT0_S9_ifPKiSB_SB_iPKfiiiPfSE_PS4_PT2_iSD_SD_
	.globl	_Z39paged_attention_ll4mi_QKV_mfma16_kernelI14__hip_bfloat16hLN4vllm18Fp8KVCacheDataTypeE1ES0_Li32ELi128ELi256ELb0ELi7EL8MFMAType0EEvPKT_PKT0_S9_ifPKiSB_SB_iPKfiiiPfSE_PS4_PT2_iSD_SD_
	.p2align	8
	.type	_Z39paged_attention_ll4mi_QKV_mfma16_kernelI14__hip_bfloat16hLN4vllm18Fp8KVCacheDataTypeE1ES0_Li32ELi128ELi256ELb0ELi7EL8MFMAType0EEvPKT_PKT0_S9_ifPKiSB_SB_iPKfiiiPfSE_PS4_PT2_iSD_SD_,@function
_Z39paged_attention_ll4mi_QKV_mfma16_kernelI14__hip_bfloat16hLN4vllm18Fp8KVCacheDataTypeE1ES0_Li32ELi128ELi256ELb0ELi7EL8MFMAType0EEvPKT_PKT0_S9_ifPKiSB_SB_iPKfiiiPfSE_PS4_PT2_iSD_SD_: ; @_Z39paged_attention_ll4mi_QKV_mfma16_kernelI14__hip_bfloat16hLN4vllm18Fp8KVCacheDataTypeE1ES0_Li32ELi128ELi256ELb0ELi7EL8MFMAType0EEvPKT_PKT0_S9_ifPKiSB_SB_iPKfiiiPfSE_PS4_PT2_iSD_SD_
; %bb.0:
	s_load_b64 s[4:5], s[0:1], 0x30
	s_mov_b32 s30, s13
	s_waitcnt lgkmcnt(0)
	s_cmp_lg_u64 s[4:5], 0
	s_cselect_b32 s13, -1, 0
	s_ashr_i32 s31, s30, 31
	s_cmp_eq_u64 s[4:5], 0
	s_cbranch_scc1 .LBB1908_3
; %bb.1:
	s_lshl_b64 s[2:3], s[30:31], 2
	s_delay_alu instid0(SALU_CYCLE_1) | instskip(SKIP_4) | instid1(SALU_CYCLE_1)
	s_add_u32 s2, s4, s2
	s_addc_u32 s3, s5, s3
	s_load_b64 s[2:3], s[2:3], 0x0
	s_waitcnt lgkmcnt(0)
	s_sub_i32 s2, s3, s2
	s_cmp_eq_u32 s2, 1
	s_cselect_b32 s2, -1, 0
	s_delay_alu instid0(SALU_CYCLE_1)
	s_and_not1_b32 vcc_lo, exec_lo, s2
	s_cbranch_vccz .LBB1908_4
.LBB1908_2:
	s_nop 0
	s_sendmsg sendmsg(MSG_DEALLOC_VGPRS)
	s_endpgm
.LBB1908_3:
.LBB1908_4:
	s_load_b64 s[2:3], s[0:1], 0x28
	s_lshl_b64 s[6:7], s[30:31], 2
	s_waitcnt lgkmcnt(0)
	s_add_u32 s2, s2, s6
	s_addc_u32 s3, s3, s7
	s_lshl_b32 s12, s14, 8
	s_load_b32 s17, s[2:3], 0x0
	s_waitcnt lgkmcnt(0)
	s_cmp_ge_i32 s12, s17
	s_cbranch_scc1 .LBB1908_2
; %bb.5:
	s_clause 0x1
	s_load_b128 s[8:11], s[0:1], 0x8
	s_load_b64 s[2:3], s[0:1], 0x20
	s_and_not1_b32 vcc_lo, exec_lo, s13
	s_cbranch_vccnz .LBB1908_7
; %bb.6:
	s_add_u32 s4, s4, s6
	s_addc_u32 s5, s5, s7
	s_load_b32 s13, s[4:5], 0x0
	s_branch .LBB1908_8
.LBB1908_7:
	s_mov_b32 s13, s30
.LBB1908_8:
	s_load_b128 s[4:7], s[0:1], 0x48
	v_and_b32_e32 v65, 15, v0
	v_lshrrev_b32_e32 v66, 5, v0
	v_bfe_u32 v74, v0, 4, 1
	v_and_b32_e32 v67, 31, v0
	v_and_b32_e32 v75, 1, v0
	v_lshlrev_b32_e32 v2, 3, v65
	s_mul_i32 s31, s15, 7
	v_lshl_or_b32 v1, v66, 1, v74
	s_waitcnt lgkmcnt(0)
	s_mov_b32 s7, exec_lo
	v_lshlrev_b32_e32 v73, 1, v2
	s_delay_alu instid0(VALU_DEP_2)
	v_cmpx_gt_u32_e32 7, v1
	s_cbranch_execz .LBB1908_10
; %bb.9:
	s_load_b64 s[18:19], s[0:1], 0x0
	v_add_lshl_u32 v2, v1, s31, 7
	s_mul_hi_i32 s21, s13, s4
	s_mul_i32 s20, s13, s4
	v_lshlrev_b32_e32 v6, 10, v65
	s_lshl_b64 s[20:21], s[20:21], 1
	v_ashrrev_i32_e32 v3, 31, v2
	v_lshlrev_b32_e32 v1, 6, v1
	v_lshlrev_b32_e32 v7, 10, v75
	v_and_b32_e32 v6, 0x3800, v6
	s_delay_alu instid0(VALU_DEP_4) | instskip(NEXT) | instid1(VALU_DEP_2)
	v_lshlrev_b64 v[2:3], 1, v[2:3]
	v_or3_b32 v1, v6, v7, v1
	s_waitcnt lgkmcnt(0)
	s_add_u32 s4, s18, s20
	s_addc_u32 s13, s19, s21
	s_delay_alu instid0(VALU_DEP_2) | instskip(SKIP_1) | instid1(VALU_DEP_2)
	v_add_co_u32 v2, vcc_lo, s4, v2
	v_add_co_ci_u32_e32 v3, vcc_lo, s13, v3, vcc_lo
	v_add_co_u32 v2, vcc_lo, v2, v73
	s_delay_alu instid0(VALU_DEP_2)
	v_add_co_ci_u32_e32 v3, vcc_lo, 0, v3, vcc_lo
	global_load_b128 v[2:5], v[2:3], off
	s_waitcnt vmcnt(0)
	ds_store_b128 v1, v[2:5]
.LBB1908_10:
	s_or_b32 exec_lo, exec_lo, s7
	v_and_b32_e32 v1, 0xef, v0
	s_add_i32 s4, s17, 31
	s_clause 0x1
	s_load_b32 s7, s[0:1], 0x38
	s_load_b32 s18, s[0:1], 0x1c
	s_ashr_i32 s13, s4, 31
	v_add_nc_u32_e32 v2, s12, v1
	s_lshr_b32 s13, s13, 27
	s_waitcnt lgkmcnt(0)
	s_add_i32 s4, s4, s13
	s_barrier
	v_ashrrev_i32_e32 v1, 31, v2
	s_ashr_i32 s4, s4, 5
	v_cmp_gt_i32_e32 vcc_lo, s17, v2
	s_add_i32 s4, s4, -1
	buffer_gl0_inv
	v_lshrrev_b32_e32 v3, 27, v1
	v_or_b32_e32 v1, 16, v2
	s_mul_i32 s15, s15, s6
	s_delay_alu instid0(VALU_DEP_2) | instskip(SKIP_1) | instid1(SALU_CYCLE_1)
	v_add_nc_u32_e32 v4, v2, v3
	s_mul_i32 s20, s30, s7
	s_ashr_i32 s21, s20, 31
	s_delay_alu instid0(VALU_DEP_1) | instskip(SKIP_2) | instid1(SALU_CYCLE_1)
	v_ashrrev_i32_e32 v4, 5, v4
	v_add_nc_u32_e32 v3, v1, v3
	s_lshl_b64 s[20:21], s[20:21], 2
	s_add_u32 s7, s2, s20
	s_delay_alu instid0(VALU_DEP_2) | instskip(NEXT) | instid1(VALU_DEP_2)
	v_cndmask_b32_e32 v2, s4, v4, vcc_lo
	v_ashrrev_i32_e32 v3, 5, v3
	v_cmp_gt_i32_e32 vcc_lo, s17, v1
	s_addc_u32 s13, s3, s21
	s_ashr_i32 s6, s15, 31
	s_add_u32 s2, s8, s15
	s_addc_u32 s3, s9, s6
	v_cndmask_b32_e32 v4, s4, v3, vcc_lo
	v_ashrrev_i32_e32 v3, 31, v2
	s_lshl_b32 s8, s14, 3
	s_delay_alu instid0(SALU_CYCLE_1) | instskip(NEXT) | instid1(VALU_DEP_2)
	s_ashr_i32 s9, s8, 31
	v_ashrrev_i32_e32 v5, 31, v4
	s_delay_alu instid0(VALU_DEP_2) | instskip(SKIP_1) | instid1(SALU_CYCLE_1)
	v_lshlrev_b64 v[1:2], 2, v[2:3]
	s_lshl_b64 s[8:9], s[8:9], 2
	s_add_u32 s8, s7, s8
	s_delay_alu instid0(VALU_DEP_2) | instskip(SKIP_1) | instid1(VALU_DEP_2)
	v_lshlrev_b64 v[3:4], 2, v[4:5]
	s_addc_u32 s9, s13, s9
	v_add_co_u32 v1, vcc_lo, s7, v1
	v_add_co_ci_u32_e32 v2, vcc_lo, s13, v2, vcc_lo
	s_delay_alu instid0(VALU_DEP_3) | instskip(NEXT) | instid1(VALU_DEP_4)
	v_add_co_u32 v3, vcc_lo, s7, v3
	v_add_co_ci_u32_e32 v4, vcc_lo, s13, v4, vcc_lo
	s_clause 0x1
	global_load_b32 v5, v[1:2], off
	global_load_b32 v6, v[3:4], off
	s_or_b32 s16, s12, 32
	s_delay_alu instid0(SALU_CYCLE_1) | instskip(SKIP_2) | instid1(SALU_CYCLE_1)
	s_ashr_i32 s19, s16, 5
	s_cmp_lt_i32 s16, s17
	s_cselect_b32 s20, s19, s4
	s_ashr_i32 s21, s20, 31
	s_delay_alu instid0(SALU_CYCLE_1) | instskip(NEXT) | instid1(SALU_CYCLE_1)
	s_lshl_b64 s[20:21], s[20:21], 2
	s_add_u32 s20, s7, s20
	s_addc_u32 s21, s13, s21
	s_or_b32 s16, s12, 64
	s_delay_alu instid0(SALU_CYCLE_1) | instskip(SKIP_2) | instid1(SALU_CYCLE_1)
	s_ashr_i32 s19, s16, 5
	s_cmp_lt_i32 s16, s17
	s_cselect_b32 s22, s19, s4
	s_ashr_i32 s23, s22, 31
	s_delay_alu instid0(SALU_CYCLE_1) | instskip(NEXT) | instid1(SALU_CYCLE_1)
	s_lshl_b64 s[22:23], s[22:23], 2
	s_add_u32 s22, s7, s22
	s_addc_u32 s23, s13, s23
	;; [unrolled: 10-line block ×5, first 2 shown]
	s_clause 0x5
	s_load_b32 s16, s[8:9], 0x0
	s_load_b32 s19, s[20:21], 0x0
	;; [unrolled: 1-line block ×6, first 2 shown]
	s_mov_b32 s20, 0
	s_delay_alu instid0(SALU_CYCLE_1)
	s_mov_b32 s21, s20
	s_mov_b32 s22, s20
	;; [unrolled: 1-line block ×7, first 2 shown]
	s_delay_alu instid0(SALU_CYCLE_1)
	v_dual_mov_b32 v107, s27 :: v_dual_mov_b32 v106, s26
	v_dual_mov_b32 v105, s25 :: v_dual_mov_b32 v102, s22
	;; [unrolled: 1-line block ×4, first 2 shown]
	s_waitcnt vmcnt(1)
	v_mad_i64_i32 v[1:2], null, v5, s5, s[2:3]
	v_lshlrev_b32_e32 v5, 4, v65
	s_waitcnt vmcnt(0)
	v_mad_i64_i32 v[3:4], null, v6, s5, s[2:3]
	s_or_b32 s2, s12, 0xc0
	s_delay_alu instid0(SALU_CYCLE_1) | instskip(NEXT) | instid1(VALU_DEP_3)
	s_ashr_i32 s3, s2, 5
	v_add_co_u32 v25, vcc_lo, v1, v5
	s_delay_alu instid0(VALU_DEP_4) | instskip(NEXT) | instid1(VALU_DEP_3)
	v_add_co_ci_u32_e32 v26, vcc_lo, 0, v2, vcc_lo
	v_add_co_u32 v27, vcc_lo, v3, v5
	s_delay_alu instid0(VALU_DEP_4)
	v_add_co_ci_u32_e32 v28, vcc_lo, 0, v4, vcc_lo
	s_clause 0xf
	global_load_b128 v[1:4], v[25:26], off
	global_load_b128 v[5:8], v[25:26], off offset:512
	global_load_b128 v[9:12], v[27:28], off offset:256
	global_load_b128 v[13:16], v[27:28], off offset:768
	global_load_b128 v[17:20], v[25:26], off offset:1024
	global_load_b128 v[21:24], v[25:26], off offset:1536
	global_load_b128 v[49:52], v[27:28], off offset:1280
	global_load_b128 v[53:56], v[27:28], off offset:1792
	global_load_b128 v[57:60], v[25:26], off offset:2048
	global_load_b128 v[61:64], v[25:26], off offset:2560
	global_load_b128 v[76:79], v[27:28], off offset:2304
	global_load_b128 v[80:83], v[27:28], off offset:2816
	global_load_b128 v[84:87], v[25:26], off offset:3072
	global_load_b128 v[88:91], v[25:26], off offset:3584
	global_load_b128 v[92:95], v[27:28], off offset:3328
	global_load_b128 v[96:99], v[27:28], off offset:3840
	v_mul_lo_u16 v25, v65, 37
	s_cmp_lt_i32 s2, s17
	v_lshlrev_b32_e32 v26, 5, v65
	s_cselect_b32 s2, s3, s4
	s_delay_alu instid0(VALU_DEP_2) | instskip(SKIP_1) | instid1(VALU_DEP_2)
	v_lshrrev_b16 v25, 8, v25
	s_ashr_i32 s3, s2, 31
	v_lshl_or_b32 v33, v66, 9, v26
	s_lshl_b64 s[2:3], s[2:3], 2
	s_delay_alu instid0(VALU_DEP_2) | instskip(SKIP_3) | instid1(VALU_DEP_1)
	v_mul_lo_u16 v25, v25, 7
	s_add_u32 s2, s7, s2
	s_addc_u32 s3, s13, s3
	s_or_b32 s8, s12, 0xe0
	v_sub_nc_u16 v25, v65, v25
	s_ashr_i32 s9, s8, 5
	s_cmp_lt_i32 s8, s17
	s_cselect_b32 s8, s9, s4
	s_delay_alu instid0(VALU_DEP_1) | instskip(SKIP_1) | instid1(SALU_CYCLE_1)
	v_and_b32_e32 v25, 0xff, v25
	s_ashr_i32 s9, s8, 31
	s_lshl_b64 s[8:9], s[8:9], 2
	s_delay_alu instid0(VALU_DEP_1)
	v_lshlrev_b32_e32 v72, 6, v25
	ds_load_b128 v[25:28], v72
	ds_load_b128 v[29:32], v72 offset:1024
	ds_load_b128 v[108:111], v72 offset:2048
	;; [unrolled: 1-line block ×3, first 2 shown]
	s_load_b32 s4, s[2:3], 0x0
	s_add_u32 s2, s7, s8
	s_addc_u32 s3, s13, s9
	ds_load_b128 v[116:119], v72 offset:4096
	ds_load_b128 v[120:123], v72 offset:5120
	s_load_b32 s2, s[2:3], 0x0
	s_add_u32 s7, s10, s15
	s_addc_u32 s6, s11, s6
	v_add_co_u32 v68, s7, s7, v33
	s_delay_alu instid0(VALU_DEP_1) | instskip(SKIP_1) | instid1(VALU_DEP_1)
	v_add_co_ci_u32_e64 v69, null, s6, 0, s7
	s_waitcnt lgkmcnt(0)
	v_mad_i64_i32 v[33:34], null, s16, s5, v[68:69]
	v_mad_i64_i32 v[70:71], null, s33, s5, v[68:69]
	;; [unrolled: 1-line block ×7, first 2 shown]
	s_clause 0x3
	global_load_b128 v[41:44], v[33:34], off
	global_load_b128 v[45:48], v[33:34], off offset:16
	global_load_b128 v[33:36], v[37:38], off
	global_load_b128 v[37:40], v[37:38], off offset:16
	s_waitcnt vmcnt(18)
	v_wmma_f32_16x16x16_bf16 v[124:131], v[1:8], v[25:32], v[100:107]
	s_waitcnt vmcnt(16)
	v_wmma_f32_16x16x16_bf16 v[100:107], v[9:16], v[25:32], v[100:107]
	s_clause 0x1
	global_load_b128 v[25:28], v[70:71], off
	global_load_b128 v[29:32], v[70:71], off offset:16
	s_waitcnt vmcnt(16)
	v_wmma_f32_16x16x16_bf16 v[124:131], v[17:24], v[108:115], v[124:131]
	s_clause 0x1
	global_load_b128 v[17:20], v[132:133], off
	global_load_b128 v[21:24], v[132:133], off offset:16
	s_waitcnt vmcnt(16)
	v_wmma_f32_16x16x16_bf16 v[100:107], v[49:56], v[108:115], v[100:107]
	v_mad_i64_i32 v[53:54], null, s2, s5, v[68:69]
	s_clause 0x3
	global_load_b128 v[1:4], v[134:135], off
	global_load_b128 v[5:8], v[134:135], off offset:16
	global_load_b128 v[9:12], v[136:137], off
	global_load_b128 v[13:16], v[136:137], off offset:16
	s_waitcnt vmcnt(18)
	v_wmma_f32_16x16x16_bf16 v[124:131], v[57:64], v[116:123], v[124:131]
	s_clause 0x3
	global_load_b128 v[57:60], v[138:139], off
	global_load_b128 v[61:64], v[138:139], off offset:16
	global_load_b128 v[49:52], v[53:54], off
	global_load_b128 v[53:56], v[53:54], off offset:16
	s_waitcnt vmcnt(20)
	v_wmma_f32_16x16x16_bf16 v[100:107], v[76:83], v[116:123], v[100:107]
	ds_load_b128 v[76:79], v72 offset:6144
	ds_load_b128 v[80:83], v72 offset:7168
	v_mbcnt_lo_u32_b32 v69, -1, 0
	s_waitcnt vmcnt(0) lgkmcnt(0)
	s_barrier
	buffer_gl0_inv
	v_xor_b32_e32 v70, 16, v69
	s_delay_alu instid0(VALU_DEP_1) | instskip(SKIP_4) | instid1(VALU_DEP_2)
	v_cmp_gt_i32_e32 vcc_lo, 32, v70
	v_cndmask_b32_e32 v69, v69, v70, vcc_lo
	v_wmma_f32_16x16x16_bf16 v[124:131], v[84:91], v[76:83], v[124:131]
	v_and_b32_e32 v68, 0xe0, v0
	v_wmma_f32_16x16x16_bf16 v[100:107], v[92:99], v[76:83], v[100:107]
	v_dual_mul_f32 v81, s18, v129 :: v_dual_add_nc_u32 v68, s12, v68
	s_delay_alu instid0(VALU_DEP_4) | instskip(NEXT) | instid1(VALU_DEP_3)
	v_dual_mul_f32 v83, s18, v131 :: v_dual_mul_f32 v78, s18, v125
	v_mul_f32_e32 v95, s18, v103
	v_mul_f32_e32 v79, s18, v127
	s_delay_alu instid0(VALU_DEP_4) | instskip(SKIP_3) | instid1(VALU_DEP_4)
	v_or_b32_e32 v68, v68, v74
	v_dual_mul_f32 v80, s18, v126 :: v_dual_mul_f32 v97, s18, v105
	v_dual_mul_f32 v93, s18, v101 :: v_dual_mul_f32 v82, s18, v128
	v_mul_f32_e32 v99, s18, v107
	v_or_b32_e32 v70, 2, v68
	v_or_b32_e32 v71, 4, v68
	v_or_b32_e32 v72, 6, v68
	v_cmp_gt_i32_e64 s2, s17, v68
	v_or_b32_e32 v108, 8, v68
	v_cmp_gt_i32_e32 vcc_lo, s17, v70
	v_mul_f32_e32 v70, s18, v124
	v_or_b32_e32 v109, 10, v68
	v_cmp_gt_i32_e64 s3, s17, v71
	v_cmp_gt_i32_e64 s4, s17, v72
	v_cndmask_b32_e32 v78, 0xff7fffff, v78, vcc_lo
	v_cndmask_b32_e64 v70, 0xff7fffff, v70, s2
	v_or_b32_e32 v84, 12, v68
	v_or_b32_e32 v85, 14, v68
	v_cndmask_b32_e64 v71, 0xff7fffff, v80, s3
	v_cndmask_b32_e64 v72, 0xff7fffff, v79, s4
	v_max3_f32 v70, v70, 0xff7fffff, v78
	v_cmp_gt_i32_e64 s5, s17, v108
	v_cmp_gt_i32_e64 s6, s17, v109
	v_or_b32_e32 v86, 16, v68
	v_or_b32_e32 v87, 18, v68
	;; [unrolled: 1-line block ×3, first 2 shown]
	v_mul_f32_e32 v92, s18, v130
	v_cndmask_b32_e64 v78, 0xff7fffff, v82, s5
	v_cndmask_b32_e64 v79, 0xff7fffff, v81, s6
	v_max3_f32 v70, v70, v71, v72
	v_cmp_gt_i32_e64 s7, s17, v84
	v_cmp_gt_i32_e64 s8, s17, v85
	v_or_b32_e32 v88, 20, v68
	v_mul_f32_e32 v94, s18, v100
	v_max3_f32 v70, v70, v78, v79
	v_cmp_gt_i32_e64 s9, s17, v86
	v_cndmask_b32_e64 v72, 0xff7fffff, v83, s8
	v_cmp_gt_i32_e64 s10, s17, v87
	v_cmp_gt_i32_e64 s12, s17, v89
	v_lshlrev_b32_e32 v89, 2, v69
	v_cndmask_b32_e64 v71, 0xff7fffff, v92, s7
	v_or_b32_e32 v90, 24, v68
	v_or_b32_e32 v91, 26, v68
	v_mul_f32_e32 v96, s18, v102
	v_cndmask_b32_e64 v78, 0xff7fffff, v94, s9
	v_cndmask_b32_e64 v79, 0xff7fffff, v93, s10
	v_max3_f32 v70, v70, v71, v72
	v_cmp_gt_i32_e64 s11, s17, v88
	v_or_b32_e32 v76, 28, v68
	v_or_b32_e32 v77, 30, v68
	v_mul_f32_e32 v98, s18, v104
	v_cndmask_b32_e64 v72, 0xff7fffff, v95, s12
	v_cndmask_b32_e64 v71, 0xff7fffff, v96, s11
	v_max3_f32 v70, v70, v78, v79
	v_cmp_gt_i32_e64 s13, s17, v90
	v_cmp_gt_i32_e64 s15, s17, v91
	v_mul_f32_e32 v68, s18, v106
	v_cmp_gt_i32_e64 s16, s17, v76
	v_max3_f32 v70, v70, v71, v72
	v_cndmask_b32_e64 v78, 0xff7fffff, v98, s13
	v_cndmask_b32_e64 v79, 0xff7fffff, v97, s15
	v_cmp_gt_i32_e64 s17, s17, v77
	v_cndmask_b32_e64 v68, 0xff7fffff, v68, s16
	s_delay_alu instid0(VALU_DEP_3) | instskip(NEXT) | instid1(VALU_DEP_3)
	v_max3_f32 v70, v70, v78, v79
	v_cndmask_b32_e64 v71, 0xff7fffff, v99, s17
	s_delay_alu instid0(VALU_DEP_1) | instskip(SKIP_3) | instid1(VALU_DEP_1)
	v_max3_f32 v68, v70, v68, v71
	ds_bpermute_b32 v69, v89, v68
	s_waitcnt lgkmcnt(0)
	v_max_f32_e32 v69, v69, v69
	v_max_f32_e32 v68, v68, v69
	s_delay_alu instid0(VALU_DEP_1) | instskip(NEXT) | instid1(VALU_DEP_1)
	v_fma_f32 v71, s18, v126, -v68
	v_mul_f32_e32 v71, 0x3fb8aa3b, v71
	s_delay_alu instid0(VALU_DEP_1) | instskip(SKIP_3) | instid1(VALU_DEP_1)
	v_exp_f32_e32 v71, v71
	s_waitcnt_depctr 0xfff
	v_cndmask_b32_e64 v83, 0, v71, s3
	v_fma_f32 v71, s18, v131, -v68
	v_mul_f32_e32 v71, 0x3fb8aa3b, v71
	v_fma_f32 v69, s18, v124, -v68
	v_fma_f32 v76, s18, v128, -v68
	;; [unrolled: 1-line block ×4, first 2 shown]
	v_exp_f32_e32 v71, v71
	v_mul_f32_e32 v69, 0x3fb8aa3b, v69
	v_mul_f32_e32 v77, 0x3fb8aa3b, v76
	v_fma_f32 v81, s18, v105, -v68
	v_fma_f32 v78, s18, v130, -v68
	s_delay_alu instid0(VALU_DEP_4) | instskip(NEXT) | instid1(VALU_DEP_3)
	v_exp_f32_e32 v69, v69
	v_exp_f32_e32 v77, v77
	s_delay_alu instid0(VALU_DEP_2) | instskip(NEXT) | instid1(TRANS32_DEP_3)
	v_mul_f32_e32 v81, 0x3fb8aa3b, v81
	v_cndmask_b32_e64 v88, 0, v71, s8
	v_fma_f32 v71, s18, v104, -v68
	s_delay_alu instid0(VALU_DEP_3) | instskip(NEXT) | instid1(TRANS32_DEP_3)
	v_exp_f32_e32 v81, v81
	v_cndmask_b32_e64 v80, 0, v69, s2
	v_fma_f32 v69, s18, v129, -v68
	v_mul_f32_e32 v70, 0x3fb8aa3b, v70
	s_delay_alu instid0(TRANS32_DEP_2)
	v_cndmask_b32_e64 v86, 0, v77, s5
	v_mul_f32_e32 v72, 0x3fb8aa3b, v72
	v_fma_f32 v77, s18, v101, -v68
	v_mul_f32_e32 v69, 0x3fb8aa3b, v69
	v_exp_f32_e32 v70, v70
	v_mul_f32_e32 v71, 0x3fb8aa3b, v71
	v_exp_f32_e32 v72, v72
	;; [unrolled: 2-line block ×3, first 2 shown]
	v_cmp_gt_u32_e64 s2, 16, v67
	v_exp_f32_e32 v82, v71
	s_delay_alu instid0(VALU_DEP_2) | instskip(SKIP_4) | instid1(TRANS32_DEP_3)
	v_exp_f32_e32 v77, v77
	v_cndmask_b32_e32 v76, 0, v70, vcc_lo
	v_add_f32_e32 v70, 0, v80
	v_cndmask_b32_e64 v85, 0, v72, s4
	v_fma_f32 v72, s18, v100, -v68
	v_cndmask_b32_e64 v87, 0, v69, s6
	s_delay_alu instid0(VALU_DEP_4) | instskip(NEXT) | instid1(VALU_DEP_3)
	v_add_f32_e32 v70, v70, v76
	v_mul_f32_e32 v72, 0x3fb8aa3b, v72
	s_delay_alu instid0(VALU_DEP_2) | instskip(NEXT) | instid1(VALU_DEP_2)
	v_add_f32_e32 v70, v70, v83
	v_exp_f32_e32 v72, v72
	s_delay_alu instid0(VALU_DEP_1) | instskip(NEXT) | instid1(VALU_DEP_1)
	v_add_f32_e32 v70, v70, v85
	v_add_f32_e32 v69, v70, v86
	v_fma_f32 v70, s18, v102, -v68
	s_delay_alu instid0(VALU_DEP_2) | instskip(NEXT) | instid1(VALU_DEP_2)
	v_dual_add_f32 v69, v69, v87 :: v_dual_mul_f32 v78, 0x3fb8aa3b, v78
	v_mul_f32_e32 v70, 0x3fb8aa3b, v70
	s_delay_alu instid0(VALU_DEP_2) | instskip(NEXT) | instid1(VALU_DEP_1)
	v_exp_f32_e32 v78, v78
	v_exp_f32_e32 v79, v70
	s_delay_alu instid0(TRANS32_DEP_3) | instskip(SKIP_4) | instid1(VALU_DEP_2)
	v_cndmask_b32_e64 v70, 0, v72, s9
	s_waitcnt_depctr 0xfff
	v_cndmask_b32_e64 v84, 0, v78, s7
	v_fma_f32 v78, s18, v103, -v68
	v_cndmask_b32_e64 v71, 0, v79, s11
	v_dual_add_f32 v69, v69, v84 :: v_dual_mul_f32 v78, 0x3fb8aa3b, v78
	s_delay_alu instid0(VALU_DEP_1) | instskip(NEXT) | instid1(VALU_DEP_2)
	v_add_f32_e32 v72, v69, v88
	v_exp_f32_e32 v78, v78
	v_cndmask_b32_e64 v69, 0, v77, s10
	v_fma_f32 v77, s18, v106, -v68
	s_delay_alu instid0(VALU_DEP_1) | instskip(NEXT) | instid1(VALU_DEP_1)
	v_dual_add_f32 v72, v72, v70 :: v_dual_mul_f32 v77, 0x3fb8aa3b, v77
	v_add_f32_e32 v79, v72, v69
	s_waitcnt_depctr 0xfff
	v_cndmask_b32_e64 v72, 0, v78, s12
	v_exp_f32_e32 v90, v77
	v_cndmask_b32_e64 v77, 0, v82, s13
	v_add_f32_e32 v78, v79, v71
	v_fma_f32 v79, s18, v107, -v68
	s_delay_alu instid0(VALU_DEP_1) | instskip(SKIP_1) | instid1(VALU_DEP_2)
	v_dual_add_f32 v82, v78, v72 :: v_dual_mul_f32 v79, 0x3fb8aa3b, v79
	v_cndmask_b32_e64 v78, 0, v81, s15
	v_add_f32_e32 v81, v82, v77
	s_delay_alu instid0(VALU_DEP_3) | instskip(NEXT) | instid1(TRANS32_DEP_2)
	v_exp_f32_e32 v82, v79
	v_cndmask_b32_e64 v79, 0, v90, s16
	s_delay_alu instid0(VALU_DEP_2) | instskip(NEXT) | instid1(VALU_DEP_1)
	v_add_f32_e32 v81, v81, v78
	v_add_f32_e32 v90, v81, v79
	s_waitcnt_depctr 0xfff
	v_cndmask_b32_e64 v81, 0, v82, s17
	s_delay_alu instid0(VALU_DEP_1)
	v_add_f32_e32 v82, v90, v81
	ds_bpermute_b32 v89, v89, v82
	s_and_saveexec_b32 s3, s2
	s_cbranch_execz .LBB1908_12
; %bb.11:
	v_mul_u32_u24_e32 v67, 0x44, v66
	s_delay_alu instid0(VALU_DEP_1) | instskip(SKIP_1) | instid1(VALU_DEP_1)
	v_lshl_add_u32 v67, v65, 2, v67
	s_waitcnt lgkmcnt(0)
	v_dual_add_f32 v82, v82, v89 :: v_dual_add_nc_u32 v67, 0x4000, v67
	ds_store_2addr_b32 v67, v68, v82 offset1:136
.LBB1908_12:
	s_or_b32 exec_lo, exec_lo, s3
	v_lshlrev_b32_e32 v67, 2, v65
	s_waitcnt lgkmcnt(0)
	s_barrier
	buffer_gl0_inv
	v_cmp_eq_u32_e32 vcc_lo, 1, v66
	v_add_nc_u32_e32 v82, 0x4000, v67
	v_cmp_eq_u32_e64 s3, 2, v66
	v_cmp_eq_u32_e64 s5, 7, v66
	ds_load_2addr_b32 v[89:90], v82 offset1:17
	ds_load_2addr_b32 v[91:92], v82 offset0:34 offset1:51
	ds_load_2addr_b32 v[93:94], v82 offset0:68 offset1:85
	;; [unrolled: 1-line block ×4, first 2 shown]
	s_waitcnt lgkmcnt(4)
	v_max3_f32 v67, v89, 0xff7fffff, v90
	s_waitcnt lgkmcnt(3)
	s_delay_alu instid0(VALU_DEP_1) | instskip(SKIP_1) | instid1(VALU_DEP_1)
	v_max3_f32 v67, v67, v91, v92
	s_waitcnt lgkmcnt(2)
	v_max3_f32 v67, v67, v93, v94
	s_waitcnt lgkmcnt(1)
	s_delay_alu instid0(VALU_DEP_1) | instskip(NEXT) | instid1(VALU_DEP_1)
	v_max3_f32 v67, v67, v95, v96
	v_sub_f32_e32 v93, v93, v67
	s_delay_alu instid0(VALU_DEP_1) | instskip(NEXT) | instid1(VALU_DEP_1)
	v_dual_sub_f32 v68, v89, v67 :: v_dual_mul_f32 v103, 0x3fb8aa3b, v93
	v_mul_f32_e32 v68, 0x3fb8aa3b, v68
	s_delay_alu instid0(VALU_DEP_1)
	v_exp_f32_e32 v100, v68
	v_sub_f32_e32 v68, v92, v67
	v_sub_f32_e32 v99, v90, v67
	ds_load_2addr_b32 v[89:90], v82 offset0:170 offset1:187
	v_dual_mul_f32 v102, 0x3fb8aa3b, v68 :: v_dual_mul_f32 v99, 0x3fb8aa3b, v99
	s_waitcnt lgkmcnt(1)
	v_fma_f32 v68, v100, v97, 0
	s_delay_alu instid0(VALU_DEP_2) | instskip(NEXT) | instid1(VALU_DEP_2)
	v_exp_f32_e32 v102, v102
	v_exp_f32_e32 v99, v99
	s_waitcnt_depctr 0xfff
	v_fmac_f32_e32 v68, v99, v98
	v_sub_f32_e32 v91, v91, v67
	s_delay_alu instid0(VALU_DEP_1)
	v_mul_f32_e32 v101, 0x3fb8aa3b, v91
	ds_load_2addr_b32 v[91:92], v82 offset0:204 offset1:221
	v_sub_f32_e32 v97, v94, v67
	ds_load_2addr_b32 v[93:94], v82 offset0:238 offset1:255
	s_waitcnt lgkmcnt(0)
	v_exp_f32_e32 v101, v101
	s_barrier
	buffer_gl0_inv
	v_dual_fmac_f32 v68, v101, v89 :: v_dual_sub_f32 v89, v96, v67
	v_dual_sub_f32 v82, v95, v67 :: v_dual_mul_f32 v95, 0x3fb8aa3b, v97
	v_exp_f32_e32 v97, v103
	s_delay_alu instid0(VALU_DEP_2) | instskip(NEXT) | instid1(VALU_DEP_2)
	v_dual_fmac_f32 v68, v102, v90 :: v_dual_mul_f32 v89, 0x3fb8aa3b, v89
	v_mul_f32_e32 v82, 0x3fb8aa3b, v82
	s_delay_alu instid0(VALU_DEP_3) | instskip(NEXT) | instid1(VALU_DEP_2)
	v_exp_f32_e32 v95, v95
	v_exp_f32_e32 v89, v89
	s_delay_alu instid0(VALU_DEP_1)
	v_exp_f32_e32 v82, v82
	v_fmac_f32_e32 v68, v97, v91
	s_delay_alu instid0(TRANS32_DEP_3) | instid1(VALU_DEP_1)
	v_fmac_f32_e32 v68, v95, v92
	s_waitcnt_depctr 0xfff
	v_fmac_f32_e32 v68, v82, v93
	s_delay_alu instid0(VALU_DEP_1) | instskip(NEXT) | instid1(VALU_DEP_1)
	v_fmac_f32_e32 v68, v89, v94
	v_add_f32_e32 v90, 0x358637bd, v68
	s_delay_alu instid0(VALU_DEP_1) | instskip(NEXT) | instid1(VALU_DEP_1)
	v_div_scale_f32 v91, null, v90, v90, 1.0
	v_rcp_f32_e32 v92, v91
	s_waitcnt_depctr 0xfff
	v_fma_f32 v93, -v91, v92, 1.0
	s_delay_alu instid0(VALU_DEP_1) | instskip(SKIP_1) | instid1(VALU_DEP_2)
	v_dual_fmac_f32 v92, v93, v92 :: v_dual_cndmask_b32 v93, v100, v99
	v_cmp_eq_u32_e32 vcc_lo, 3, v66
	v_cndmask_b32_e64 v93, v93, v101, s3
	v_cmp_eq_u32_e64 s3, 4, v66
	s_delay_alu instid0(VALU_DEP_2) | instskip(SKIP_1) | instid1(VALU_DEP_2)
	v_cndmask_b32_e32 v93, v93, v102, vcc_lo
	v_cmp_eq_u32_e32 vcc_lo, 5, v66
	v_cndmask_b32_e64 v93, v93, v97, s3
	v_cmp_eq_u32_e64 s3, 6, v66
	s_delay_alu instid0(VALU_DEP_2) | instskip(SKIP_1) | instid1(VALU_DEP_1)
	v_cndmask_b32_e32 v93, v93, v95, vcc_lo
	v_div_scale_f32 v94, s4, 1.0, v90, 1.0
	s_mov_b32 vcc_lo, s4
	s_delay_alu instid0(VALU_DEP_2) | instskip(NEXT) | instid1(VALU_DEP_2)
	v_cndmask_b32_e64 v82, v93, v82, s3
	v_mul_f32_e32 v96, v94, v92
	s_mov_b32 s3, exec_lo
	s_delay_alu instid0(VALU_DEP_2) | instskip(NEXT) | instid1(VALU_DEP_2)
	v_cndmask_b32_e64 v82, v82, v89, s5
	v_fma_f32 v98, -v91, v96, v94
	s_delay_alu instid0(VALU_DEP_1) | instskip(NEXT) | instid1(VALU_DEP_1)
	v_fmac_f32_e32 v96, v98, v92
	v_fma_f32 v91, -v91, v96, v94
	s_delay_alu instid0(VALU_DEP_1) | instskip(NEXT) | instid1(VALU_DEP_1)
	v_div_fmas_f32 v91, v91, v92, v96
	v_div_fixup_f32 v90, v91, v90, 1.0
	s_delay_alu instid0(VALU_DEP_1) | instskip(NEXT) | instid1(VALU_DEP_1)
	v_mul_f32_e32 v82, v82, v90
	v_mul_f32_e32 v87, v82, v87
	;; [unrolled: 1-line block ×7, first 2 shown]
	v_dual_mul_f32 v86, v82, v83 :: v_dual_and_b32 v91, 0x7f800000, v90
	v_mul_f32_e32 v85, v82, v76
                                        ; implicit-def: $vgpr76
	s_delay_alu instid0(VALU_DEP_2)
	v_cmpx_ne_u32_e32 0x7f800000, v91
	s_xor_b32 s3, exec_lo, s3
; %bb.13:
	v_bfe_u32 v76, v90, 16, 1
	s_delay_alu instid0(VALU_DEP_1)
	v_add3_u32 v76, v90, v76, 0x7fff
                                        ; implicit-def: $vgpr90
; %bb.14:
	s_and_not1_saveexec_b32 s3, s3
; %bb.15:
	v_and_b32_e32 v76, 0xffff, v90
	v_or_b32_e32 v83, 0x10000, v90
	s_delay_alu instid0(VALU_DEP_2) | instskip(NEXT) | instid1(VALU_DEP_2)
	v_cmp_eq_u32_e32 vcc_lo, 0, v76
	v_cndmask_b32_e32 v76, v83, v90, vcc_lo
; %bb.16:
	s_or_b32 exec_lo, exec_lo, s3
	v_and_b32_e32 v83, 0x7f800000, v85
	s_delay_alu instid0(VALU_DEP_1) | instskip(SKIP_1) | instid1(SALU_CYCLE_1)
	v_cmp_ne_u32_e32 vcc_lo, 0x7f800000, v83
                                        ; implicit-def: $vgpr83
	s_and_saveexec_b32 s3, vcc_lo
	s_xor_b32 s3, exec_lo, s3
; %bb.17:
	v_bfe_u32 v83, v85, 16, 1
	s_delay_alu instid0(VALU_DEP_1)
	v_add3_u32 v83, v85, v83, 0x7fff
                                        ; implicit-def: $vgpr85
; %bb.18:
	s_and_not1_saveexec_b32 s3, s3
; %bb.19:
	v_and_b32_e32 v83, 0xffff, v85
	v_or_b32_e32 v90, 0x10000, v85
	s_delay_alu instid0(VALU_DEP_2) | instskip(NEXT) | instid1(VALU_DEP_2)
	v_cmp_eq_u32_e32 vcc_lo, 0, v83
	v_cndmask_b32_e32 v83, v90, v85, vcc_lo
; %bb.20:
	s_or_b32 exec_lo, exec_lo, s3
	v_and_b32_e32 v85, 0x7f800000, v86
	s_delay_alu instid0(VALU_DEP_1) | instskip(SKIP_1) | instid1(SALU_CYCLE_1)
	v_cmp_ne_u32_e32 vcc_lo, 0x7f800000, v85
                                        ; implicit-def: $vgpr85
	s_and_saveexec_b32 s3, vcc_lo
	s_xor_b32 s3, exec_lo, s3
; %bb.21:
	v_bfe_u32 v85, v86, 16, 1
	s_delay_alu instid0(VALU_DEP_1)
	v_add3_u32 v85, v86, v85, 0x7fff
                                        ; implicit-def: $vgpr86
; %bb.22:
	s_and_not1_saveexec_b32 s3, s3
; %bb.23:
	v_and_b32_e32 v85, 0xffff, v86
	v_or_b32_e32 v90, 0x10000, v86
	s_delay_alu instid0(VALU_DEP_2) | instskip(NEXT) | instid1(VALU_DEP_2)
	v_cmp_eq_u32_e32 vcc_lo, 0, v85
	v_cndmask_b32_e32 v85, v90, v86, vcc_lo
; %bb.24:
	s_or_b32 exec_lo, exec_lo, s3
	v_and_b32_e32 v86, 0x7f800000, v89
	s_delay_alu instid0(VALU_DEP_1) | instskip(SKIP_1) | instid1(SALU_CYCLE_1)
	v_cmp_ne_u32_e32 vcc_lo, 0x7f800000, v86
                                        ; implicit-def: $vgpr86
	s_and_saveexec_b32 s3, vcc_lo
	s_xor_b32 s3, exec_lo, s3
; %bb.25:
	v_bfe_u32 v86, v89, 16, 1
	s_delay_alu instid0(VALU_DEP_1)
	v_add3_u32 v86, v89, v86, 0x7fff
                                        ; implicit-def: $vgpr89
; %bb.26:
	s_and_not1_saveexec_b32 s3, s3
; %bb.27:
	v_and_b32_e32 v86, 0xffff, v89
	v_or_b32_e32 v90, 0x10000, v89
	s_delay_alu instid0(VALU_DEP_2) | instskip(NEXT) | instid1(VALU_DEP_2)
	v_cmp_eq_u32_e32 vcc_lo, 0, v86
	v_cndmask_b32_e32 v86, v90, v89, vcc_lo
; %bb.28:
	s_or_b32 exec_lo, exec_lo, s3
	v_and_b32_e32 v89, 0x7f800000, v88
	s_delay_alu instid0(VALU_DEP_1) | instskip(SKIP_1) | instid1(SALU_CYCLE_1)
	v_cmp_ne_u32_e32 vcc_lo, 0x7f800000, v89
                                        ; implicit-def: $vgpr89
	s_and_saveexec_b32 s3, vcc_lo
	s_xor_b32 s3, exec_lo, s3
; %bb.29:
	v_bfe_u32 v89, v88, 16, 1
	s_delay_alu instid0(VALU_DEP_1)
	v_add3_u32 v89, v88, v89, 0x7fff
                                        ; implicit-def: $vgpr88
; %bb.30:
	s_and_not1_saveexec_b32 s3, s3
; %bb.31:
	v_and_b32_e32 v89, 0xffff, v88
	v_or_b32_e32 v90, 0x10000, v88
	s_delay_alu instid0(VALU_DEP_2) | instskip(NEXT) | instid1(VALU_DEP_2)
	v_cmp_eq_u32_e32 vcc_lo, 0, v89
	v_cndmask_b32_e32 v89, v90, v88, vcc_lo
; %bb.32:
	s_or_b32 exec_lo, exec_lo, s3
	v_and_b32_e32 v88, 0x7f800000, v87
	s_delay_alu instid0(VALU_DEP_1) | instskip(SKIP_1) | instid1(SALU_CYCLE_1)
	v_cmp_ne_u32_e32 vcc_lo, 0x7f800000, v88
                                        ; implicit-def: $vgpr88
	s_and_saveexec_b32 s3, vcc_lo
	s_xor_b32 s3, exec_lo, s3
; %bb.33:
	v_bfe_u32 v88, v87, 16, 1
	s_delay_alu instid0(VALU_DEP_1)
	v_add3_u32 v88, v87, v88, 0x7fff
                                        ; implicit-def: $vgpr87
; %bb.34:
	s_and_not1_saveexec_b32 s3, s3
; %bb.35:
	v_and_b32_e32 v88, 0xffff, v87
	v_or_b32_e32 v90, 0x10000, v87
	s_delay_alu instid0(VALU_DEP_2) | instskip(NEXT) | instid1(VALU_DEP_2)
	v_cmp_eq_u32_e32 vcc_lo, 0, v88
	v_cndmask_b32_e32 v88, v90, v87, vcc_lo
; %bb.36:
	s_or_b32 exec_lo, exec_lo, s3
	v_and_b32_e32 v87, 0x7f800000, v84
	s_delay_alu instid0(VALU_DEP_1) | instskip(SKIP_1) | instid1(SALU_CYCLE_1)
	v_cmp_ne_u32_e32 vcc_lo, 0x7f800000, v87
                                        ; implicit-def: $vgpr87
	s_and_saveexec_b32 s3, vcc_lo
	s_xor_b32 s3, exec_lo, s3
; %bb.37:
	v_bfe_u32 v87, v84, 16, 1
	s_delay_alu instid0(VALU_DEP_1)
	v_add3_u32 v87, v84, v87, 0x7fff
                                        ; implicit-def: $vgpr84
; %bb.38:
	s_and_not1_saveexec_b32 s3, s3
; %bb.39:
	v_and_b32_e32 v87, 0xffff, v84
	v_or_b32_e32 v90, 0x10000, v84
	s_delay_alu instid0(VALU_DEP_2) | instskip(NEXT) | instid1(VALU_DEP_2)
	v_cmp_eq_u32_e32 vcc_lo, 0, v87
	v_cndmask_b32_e32 v87, v90, v84, vcc_lo
; %bb.40:
	s_or_b32 exec_lo, exec_lo, s3
	v_and_b32_e32 v84, 0x7f800000, v80
	s_delay_alu instid0(VALU_DEP_1) | instskip(SKIP_1) | instid1(SALU_CYCLE_1)
	v_cmp_ne_u32_e32 vcc_lo, 0x7f800000, v84
                                        ; implicit-def: $vgpr84
	s_and_saveexec_b32 s3, vcc_lo
	s_xor_b32 s3, exec_lo, s3
; %bb.41:
	v_bfe_u32 v84, v80, 16, 1
	s_delay_alu instid0(VALU_DEP_1)
	v_add3_u32 v84, v80, v84, 0x7fff
                                        ; implicit-def: $vgpr80
; %bb.42:
	s_and_not1_saveexec_b32 s3, s3
; %bb.43:
	v_and_b32_e32 v84, 0xffff, v80
	v_or_b32_e32 v90, 0x10000, v80
	s_delay_alu instid0(VALU_DEP_2) | instskip(NEXT) | instid1(VALU_DEP_2)
	v_cmp_eq_u32_e32 vcc_lo, 0, v84
	v_cndmask_b32_e32 v84, v90, v80, vcc_lo
; %bb.44:
	s_or_b32 exec_lo, exec_lo, s3
	s_load_b64 s[34:35], s[0:1], 0x94
	v_lshlrev_b32_e32 v91, 4, v74
	s_delay_alu instid0(VALU_DEP_2)
	v_perm_b32 v90, v84, v87, 0x7060302
	v_dual_mul_f32 v79, v82, v79 :: v_dual_lshlrev_b32 v80, 6, v65
	v_dual_mul_f32 v77, v82, v77 :: v_dual_lshlrev_b32 v92, 11, v66
	v_mul_f32_e32 v84, v82, v70
	v_perm_b32 v89, v88, v89, 0x7060302
	v_perm_b32 v88, v86, v85, 0x7060302
	;; [unrolled: 1-line block ×3, first 2 shown]
	v_mul_f32_e32 v70, v82, v81
	v_or3_b32 v76, v91, v92, v80
	v_dual_mul_f32 v78, v82, v78 :: v_dual_and_b32 v85, 0x7f800000, v84
	v_mul_f32_e32 v83, v82, v72
	v_mul_f32_e32 v81, v82, v71
	;; [unrolled: 1-line block ×3, first 2 shown]
	s_mov_b32 s3, exec_lo
	ds_store_b128 v76, v[87:90]
                                        ; implicit-def: $vgpr69
	v_cmpx_ne_u32_e32 0x7f800000, v85
	s_xor_b32 s3, exec_lo, s3
; %bb.45:
	v_bfe_u32 v69, v84, 16, 1
	s_delay_alu instid0(VALU_DEP_1)
	v_add3_u32 v69, v84, v69, 0x7fff
                                        ; implicit-def: $vgpr84
; %bb.46:
	s_and_not1_saveexec_b32 s3, s3
; %bb.47:
	v_and_b32_e32 v69, 0xffff, v84
	v_or_b32_e32 v71, 0x10000, v84
	s_delay_alu instid0(VALU_DEP_2) | instskip(NEXT) | instid1(VALU_DEP_2)
	v_cmp_eq_u32_e32 vcc_lo, 0, v69
	v_cndmask_b32_e32 v69, v71, v84, vcc_lo
; %bb.48:
	s_or_b32 exec_lo, exec_lo, s3
	v_and_b32_e32 v71, 0x7f800000, v72
	s_delay_alu instid0(VALU_DEP_1) | instskip(SKIP_1) | instid1(SALU_CYCLE_1)
	v_cmp_ne_u32_e32 vcc_lo, 0x7f800000, v71
                                        ; implicit-def: $vgpr71
	s_and_saveexec_b32 s3, vcc_lo
	s_xor_b32 s3, exec_lo, s3
; %bb.49:
	v_bfe_u32 v71, v72, 16, 1
	s_delay_alu instid0(VALU_DEP_1)
	v_add3_u32 v71, v72, v71, 0x7fff
                                        ; implicit-def: $vgpr72
; %bb.50:
	s_and_not1_saveexec_b32 s3, s3
; %bb.51:
	v_and_b32_e32 v71, 0xffff, v72
	v_or_b32_e32 v82, 0x10000, v72
	s_delay_alu instid0(VALU_DEP_2) | instskip(NEXT) | instid1(VALU_DEP_2)
	v_cmp_eq_u32_e32 vcc_lo, 0, v71
	v_cndmask_b32_e32 v71, v82, v72, vcc_lo
; %bb.52:
	s_or_b32 exec_lo, exec_lo, s3
	v_and_b32_e32 v72, 0x7f800000, v81
	s_delay_alu instid0(VALU_DEP_1) | instskip(SKIP_1) | instid1(SALU_CYCLE_1)
	v_cmp_ne_u32_e32 vcc_lo, 0x7f800000, v72
                                        ; implicit-def: $vgpr72
	s_and_saveexec_b32 s3, vcc_lo
	s_xor_b32 s3, exec_lo, s3
; %bb.53:
	v_bfe_u32 v72, v81, 16, 1
	s_delay_alu instid0(VALU_DEP_1)
	v_add3_u32 v72, v81, v72, 0x7fff
                                        ; implicit-def: $vgpr81
; %bb.54:
	s_and_not1_saveexec_b32 s3, s3
; %bb.55:
	v_and_b32_e32 v72, 0xffff, v81
	v_or_b32_e32 v82, 0x10000, v81
	s_delay_alu instid0(VALU_DEP_2) | instskip(NEXT) | instid1(VALU_DEP_2)
	v_cmp_eq_u32_e32 vcc_lo, 0, v72
	v_cndmask_b32_e32 v72, v82, v81, vcc_lo
; %bb.56:
	s_or_b32 exec_lo, exec_lo, s3
	v_and_b32_e32 v81, 0x7f800000, v83
	s_delay_alu instid0(VALU_DEP_1) | instskip(SKIP_1) | instid1(SALU_CYCLE_1)
	v_cmp_ne_u32_e32 vcc_lo, 0x7f800000, v81
                                        ; implicit-def: $vgpr81
	s_and_saveexec_b32 s3, vcc_lo
	s_xor_b32 s3, exec_lo, s3
; %bb.57:
	v_bfe_u32 v81, v83, 16, 1
	s_delay_alu instid0(VALU_DEP_1)
	v_add3_u32 v81, v83, v81, 0x7fff
                                        ; implicit-def: $vgpr83
; %bb.58:
	s_and_not1_saveexec_b32 s3, s3
; %bb.59:
	v_and_b32_e32 v81, 0xffff, v83
	v_or_b32_e32 v82, 0x10000, v83
	s_delay_alu instid0(VALU_DEP_2) | instskip(NEXT) | instid1(VALU_DEP_2)
	v_cmp_eq_u32_e32 vcc_lo, 0, v81
	v_cndmask_b32_e32 v81, v82, v83, vcc_lo
; %bb.60:
	s_or_b32 exec_lo, exec_lo, s3
	v_and_b32_e32 v82, 0x7f800000, v77
	s_delay_alu instid0(VALU_DEP_1) | instskip(SKIP_1) | instid1(SALU_CYCLE_1)
	v_cmp_ne_u32_e32 vcc_lo, 0x7f800000, v82
                                        ; implicit-def: $vgpr82
	s_and_saveexec_b32 s3, vcc_lo
	s_xor_b32 s3, exec_lo, s3
; %bb.61:
	v_bfe_u32 v82, v77, 16, 1
	s_delay_alu instid0(VALU_DEP_1)
	v_add3_u32 v82, v77, v82, 0x7fff
                                        ; implicit-def: $vgpr77
; %bb.62:
	s_and_not1_saveexec_b32 s3, s3
; %bb.63:
	v_and_b32_e32 v82, 0xffff, v77
	v_or_b32_e32 v83, 0x10000, v77
	s_delay_alu instid0(VALU_DEP_2) | instskip(NEXT) | instid1(VALU_DEP_2)
	v_cmp_eq_u32_e32 vcc_lo, 0, v82
	v_cndmask_b32_e32 v82, v83, v77, vcc_lo
; %bb.64:
	s_or_b32 exec_lo, exec_lo, s3
	v_and_b32_e32 v77, 0x7f800000, v78
	s_delay_alu instid0(VALU_DEP_1) | instskip(SKIP_1) | instid1(SALU_CYCLE_1)
	v_cmp_ne_u32_e32 vcc_lo, 0x7f800000, v77
                                        ; implicit-def: $vgpr77
	s_and_saveexec_b32 s3, vcc_lo
	s_xor_b32 s3, exec_lo, s3
; %bb.65:
	v_bfe_u32 v77, v78, 16, 1
	s_delay_alu instid0(VALU_DEP_1)
	v_add3_u32 v77, v78, v77, 0x7fff
                                        ; implicit-def: $vgpr78
; %bb.66:
	s_and_not1_saveexec_b32 s3, s3
; %bb.67:
	v_and_b32_e32 v77, 0xffff, v78
	v_or_b32_e32 v83, 0x10000, v78
	s_delay_alu instid0(VALU_DEP_2) | instskip(NEXT) | instid1(VALU_DEP_2)
	v_cmp_eq_u32_e32 vcc_lo, 0, v77
	v_cndmask_b32_e32 v77, v83, v78, vcc_lo
; %bb.68:
	s_or_b32 exec_lo, exec_lo, s3
	v_and_b32_e32 v78, 0x7f800000, v79
	s_delay_alu instid0(VALU_DEP_1) | instskip(SKIP_1) | instid1(SALU_CYCLE_1)
	v_cmp_ne_u32_e32 vcc_lo, 0x7f800000, v78
                                        ; implicit-def: $vgpr78
	s_and_saveexec_b32 s3, vcc_lo
	s_xor_b32 s3, exec_lo, s3
; %bb.69:
	v_bfe_u32 v78, v79, 16, 1
	s_delay_alu instid0(VALU_DEP_1)
	v_add3_u32 v78, v79, v78, 0x7fff
                                        ; implicit-def: $vgpr79
; %bb.70:
	s_and_not1_saveexec_b32 s3, s3
; %bb.71:
	v_and_b32_e32 v78, 0xffff, v79
	v_or_b32_e32 v83, 0x10000, v79
	s_delay_alu instid0(VALU_DEP_2) | instskip(NEXT) | instid1(VALU_DEP_2)
	v_cmp_eq_u32_e32 vcc_lo, 0, v78
	v_cndmask_b32_e32 v78, v83, v79, vcc_lo
; %bb.72:
	s_or_b32 exec_lo, exec_lo, s3
	v_and_b32_e32 v79, 0x7f800000, v70
	s_delay_alu instid0(VALU_DEP_1) | instskip(SKIP_1) | instid1(SALU_CYCLE_1)
	v_cmp_ne_u32_e32 vcc_lo, 0x7f800000, v79
                                        ; implicit-def: $vgpr79
	s_and_saveexec_b32 s3, vcc_lo
	s_xor_b32 s3, exec_lo, s3
; %bb.73:
	v_bfe_u32 v79, v70, 16, 1
	s_delay_alu instid0(VALU_DEP_1)
	v_add3_u32 v79, v70, v79, 0x7fff
                                        ; implicit-def: $vgpr70
; %bb.74:
	s_and_not1_saveexec_b32 s3, s3
; %bb.75:
	v_and_b32_e32 v79, 0xffff, v70
	v_or_b32_e32 v83, 0x10000, v70
	s_delay_alu instid0(VALU_DEP_2) | instskip(NEXT) | instid1(VALU_DEP_2)
	v_cmp_eq_u32_e32 vcc_lo, 0, v79
	v_cndmask_b32_e32 v79, v83, v70, vcc_lo
; %bb.76:
	s_or_b32 exec_lo, exec_lo, s3
	s_delay_alu instid0(VALU_DEP_1)
	v_perm_b32 v86, v79, v78, 0x7060302
	v_perm_b32 v85, v77, v82, 0x7060302
	;; [unrolled: 1-line block ×4, first 2 shown]
	v_lshl_or_b32 v82, v66, 11, v80
	ds_store_b128 v76, v[83:86] offset:1024
	s_waitcnt lgkmcnt(0)
	s_barrier
	buffer_gl0_inv
	ds_load_b128 v[69:72], v82
	ds_load_b128 v[83:86], v82 offset:16
	s_waitcnt lgkmcnt(1)
	v_lshrrev_b32_e32 v66, 16, v69
	s_waitcnt lgkmcnt(0)
	v_lshrrev_b32_e32 v91, 16, v83
	v_lshlrev_b32_e32 v78, 2, v74
	v_lshrrev_b32_e32 v95, 16, v70
	v_lshrrev_b32_e32 v98, 16, v84
	;; [unrolled: 1-line block ×4, first 2 shown]
	v_cmp_eq_u32_e32 vcc_lo, 1, v78
	v_lshrrev_b32_e32 v97, 16, v72
	v_lshrrev_b32_e32 v100, 16, v86
	v_cndmask_b32_e32 v87, v83, v91, vcc_lo
	v_or_b32_e32 v79, 1, v78
	v_cndmask_b32_e32 v81, v69, v66, vcc_lo
	v_cmp_eq_u32_e64 s4, 2, v78
	v_cmp_eq_u32_e64 s7, 3, v78
	;; [unrolled: 1-line block ×5, first 2 shown]
	v_cndmask_b32_e64 v81, v81, v70, s4
	v_cndmask_b32_e64 v87, v87, v84, s4
	v_cmp_eq_u32_e64 s8, 3, v79
	v_cndmask_b32_e64 v88, v69, v66, s3
	v_or_b32_e32 v77, 2, v78
	v_cndmask_b32_e64 v81, v81, v95, s7
	v_cndmask_b32_e64 v87, v87, v98, s7
	v_cndmask_b32_e64 v89, v83, v91, s3
	v_cndmask_b32_e64 v88, v88, v70, s6
	v_cmp_eq_u32_e64 s10, 5, v78
	v_cndmask_b32_e64 v81, v81, v71, s9
	v_cndmask_b32_e64 v87, v87, v85, s9
	v_cmp_eq_u32_e64 s11, 4, v79
	v_cndmask_b32_e64 v88, v88, v95, s8
	v_cmp_eq_u32_e64 s5, 1, v77
	v_cndmask_b32_e64 v89, v89, v84, s6
	v_cndmask_b32_e64 v81, v81, v96, s10
	v_cmp_eq_u32_e64 s12, 6, v78
	v_cndmask_b32_e64 v88, v88, v71, s11
	;; [unrolled: 3-line block ×3, first 2 shown]
	v_cndmask_b32_e64 v89, v89, v98, s8
	v_cndmask_b32_e64 v81, v81, v72, s12
	v_cmp_eq_u32_e64 s15, 7, v78
	v_cndmask_b32_e64 v88, v88, v96, s13
	v_cndmask_b32_e64 v87, v87, v86, s12
	v_cmp_eq_u32_e64 s16, 6, v79
	v_cmp_eq_u32_e64 s17, 2, v77
	v_cndmask_b32_e64 v89, v89, v85, s11
	v_cndmask_b32_e64 v101, v81, v97, s15
	;; [unrolled: 1-line block ×6, first 2 shown]
	v_cmp_eq_u32_e64 s18, 7, v79
	v_cmp_eq_u32_e64 s19, 3, v77
	;; [unrolled: 1-line block ×4, first 2 shown]
	v_cndmask_b32_e64 v87, v87, v84, s17
	v_cndmask_b32_e64 v103, v88, v97, s18
	;; [unrolled: 1-line block ×4, first 2 shown]
	v_or_b32_e32 v81, 3, v78
	v_cndmask_b32_e64 v93, v87, v98, s19
	v_cmp_eq_u32_e64 s24, 6, v77
	v_cndmask_b32_e64 v104, v88, v86, s16
	v_cndmask_b32_e64 v92, v89, v71, s20
	v_cmp_eq_u32_e64 s21, 1, v81
	ds_load_b128 v[87:90], v82 offset:1024
	v_cmp_eq_u32_e64 s23, 2, v81
	v_cmp_eq_u32_e64 s25, 3, v81
	v_cndmask_b32_e64 v105, v92, v96, s22
	v_cndmask_b32_e64 v66, v69, v66, s21
	;; [unrolled: 1-line block ×4, first 2 shown]
	ds_load_b128 v[91:94], v82 offset:1040
	v_cmp_eq_u32_e64 s26, 4, v81
	v_cndmask_b32_e64 v66, v66, v70, s23
	v_cmp_eq_u32_e64 s27, 7, v77
	v_cndmask_b32_e64 v70, v83, v84, s23
	v_cndmask_b32_e64 v84, v105, v72, s24
	v_cmp_eq_u32_e64 s28, 5, v81
	v_cndmask_b32_e64 v66, v66, v95, s25
	v_cmp_eq_u32_e64 s29, 6, v81
	v_cndmask_b32_e64 v70, v70, v98, s25
	v_cndmask_b32_e64 v69, v69, v99, s22
	;; [unrolled: 1-line block ×4, first 2 shown]
	s_waitcnt lgkmcnt(1)
	v_lshrrev_b32_e32 v95, 16, v87
	v_cndmask_b32_e64 v70, v70, v85, s26
	v_cndmask_b32_e64 v71, v84, v97, s27
	v_cndmask_b32_e64 v69, v69, v86, s24
	v_cndmask_b32_e64 v66, v66, v96, s28
	v_cndmask_b32_e32 v84, v87, v95, vcc_lo
	v_cndmask_b32_e64 v70, v70, v99, s28
	s_waitcnt lgkmcnt(0)
	v_lshrrev_b32_e32 v85, 16, v91
	v_lshrrev_b32_e32 v96, 16, v88
	v_cndmask_b32_e64 v98, v87, v95, s3
	v_cndmask_b32_e64 v84, v84, v88, s4
	;; [unrolled: 1-line block ×3, first 2 shown]
	v_cndmask_b32_e32 v99, v91, v85, vcc_lo
	v_cmp_eq_u32_e32 vcc_lo, 7, v81
	v_cndmask_b32_e64 v66, v66, v72, s29
	v_cndmask_b32_e64 v72, v84, v96, s7
	;; [unrolled: 1-line block ×3, first 2 shown]
	v_lshrrev_b32_e32 v98, 16, v92
	v_cndmask_b32_e32 v70, v70, v100, vcc_lo
	v_cndmask_b32_e64 v86, v99, v92, s4
	v_cndmask_b32_e64 v69, v69, v100, s27
	v_lshrrev_b32_e32 v100, 16, v93
	v_cndmask_b32_e64 v72, v72, v89, s9
	v_lshrrev_b32_e32 v99, 16, v89
	v_cndmask_b32_e64 v86, v86, v98, s7
	v_perm_b32 v71, v69, v71, 0x5040100
	v_cndmask_b32_e64 v84, v84, v96, s8
	s_delay_alu instid0(VALU_DEP_3) | instskip(NEXT) | instid1(VALU_DEP_2)
	v_cndmask_b32_e64 v86, v86, v93, s9
	v_cndmask_b32_e64 v84, v84, v89, s11
	s_delay_alu instid0(VALU_DEP_2) | instskip(NEXT) | instid1(VALU_DEP_1)
	v_cndmask_b32_e64 v86, v86, v100, s10
	v_cndmask_b32_e64 v69, v86, v94, s12
	;; [unrolled: 1-line block ×5, first 2 shown]
	s_delay_alu instid0(VALU_DEP_3) | instskip(NEXT) | instid1(VALU_DEP_3)
	v_cndmask_b32_e64 v86, v86, v88, s17
	v_cndmask_b32_e64 v87, v87, v88, s23
	s_delay_alu instid0(VALU_DEP_3) | instskip(NEXT) | instid1(VALU_DEP_3)
	v_cndmask_b32_e64 v88, v95, v92, s23
	v_cndmask_b32_e64 v86, v86, v96, s19
	;; [unrolled: 3-line block ×7, first 2 shown]
	s_delay_alu instid0(VALU_DEP_3) | instskip(SKIP_2) | instid1(VALU_DEP_2)
	v_cndmask_b32_e64 v88, v88, v94, s29
	v_cndmask_b32_e32 v66, v66, v97, vcc_lo
	v_cndmask_b32_e64 v97, v72, v99, s10
	v_perm_b32 v72, v70, v66, 0x5040100
	v_perm_b32 v70, v83, v103, 0x5040100
	v_cndmask_b32_e64 v103, v91, v85, s5
	v_cndmask_b32_e64 v85, v91, v85, s3
	;; [unrolled: 1-line block ×4, first 2 shown]
	v_lshrrev_b32_e32 v97, 16, v90
	v_cndmask_b32_e64 v91, v103, v92, s17
	v_cndmask_b32_e64 v85, v85, v92, s6
	;; [unrolled: 1-line block ×3, first 2 shown]
	s_mov_b32 s3, exec_lo
	v_cndmask_b32_e64 v83, v84, v97, s15
	v_cndmask_b32_e64 v91, v91, v98, s19
	;; [unrolled: 1-line block ×3, first 2 shown]
	v_lshrrev_b32_e32 v84, 16, v94
	v_cndmask_b32_e64 v66, v66, v97, s18
	v_cndmask_b32_e64 v90, v86, v97, s27
	;; [unrolled: 1-line block ×4, first 2 shown]
	v_dual_cndmask_b32 v86, v87, v97 :: v_dual_cndmask_b32 v87, v88, v84
	v_cndmask_b32_e64 v91, v69, v84, s15
	s_delay_alu instid0(VALU_DEP_4) | instskip(NEXT) | instid1(VALU_DEP_4)
	v_cndmask_b32_e64 v89, v89, v100, s22
	v_cndmask_b32_e64 v85, v85, v100, s13
	v_perm_b32 v69, v102, v101, 0x5040100
	v_perm_b32 v86, v87, v86, 0x5040100
	;; [unrolled: 1-line block ×3, first 2 shown]
	v_cndmask_b32_e64 v89, v89, v94, s24
	v_cndmask_b32_e64 v85, v85, v94, s16
	s_mul_i32 s8, s35, 7
	s_delay_alu instid0(VALU_DEP_2) | instskip(NEXT) | instid1(VALU_DEP_2)
	v_cndmask_b32_e64 v88, v89, v84, s27
	v_cndmask_b32_e64 v89, v85, v84, s18
	s_delay_alu instid0(VALU_DEP_2) | instskip(NEXT) | instid1(VALU_DEP_2)
	v_perm_b32 v85, v88, v90, 0x5040100
	v_perm_b32 v84, v89, v66, 0x5040100
	ds_store_b128 v76, v[69:72]
	ds_store_b128 v76, v[83:86] offset:1024
	v_cmpx_gt_u32_e32 7, v0
	s_cbranch_execz .LBB1908_78
; %bb.77:
	s_mul_i32 s4, s8, s30
	s_delay_alu instid0(SALU_CYCLE_1) | instskip(SKIP_1) | instid1(VALU_DEP_1)
	v_add3_u32 v69, s4, s31, v65
	s_load_b128 s[4:7], s[0:1], 0x58
	v_mad_u64_u32 v[65:66], null, v69, s34, s[14:15]
	s_delay_alu instid0(VALU_DEP_1) | instskip(NEXT) | instid1(VALU_DEP_1)
	v_ashrrev_i32_e32 v66, 31, v65
	v_lshlrev_b64 v[65:66], 2, v[65:66]
	s_waitcnt lgkmcnt(0)
	s_delay_alu instid0(VALU_DEP_1) | instskip(NEXT) | instid1(VALU_DEP_2)
	v_add_co_u32 v69, vcc_lo, s6, v65
	v_add_co_ci_u32_e32 v70, vcc_lo, s7, v66, vcc_lo
	v_add_co_u32 v65, vcc_lo, s4, v65
	v_add_co_ci_u32_e32 v66, vcc_lo, s5, v66, vcc_lo
	global_store_b32 v[69:70], v67, off
	global_store_b32 v[65:66], v68, off
.LBB1908_78:
	s_or_b32 exec_lo, exec_lo, s3
	s_waitcnt lgkmcnt(0)
	s_waitcnt_vscnt null, 0x0
	s_barrier
	buffer_gl0_inv
	ds_load_b128 v[83:86], v80
	ds_load_b128 v[87:90], v80 offset:16
	ds_load_b128 v[95:98], v80 offset:2064
	;; [unrolled: 1-line block ×3, first 2 shown]
	v_mov_b32_e32 v65, 0
	ds_load_b128 v[103:106], v80 offset:4112
	ds_load_b128 v[99:102], v80 offset:4096
	;; [unrolled: 1-line block ×4, first 2 shown]
	v_mov_b32_e32 v66, v65
	v_mov_b32_e32 v67, v65
	;; [unrolled: 1-line block ×7, first 2 shown]
	s_waitcnt lgkmcnt(6)
	s_delay_alu instid0(VALU_DEP_1)
	v_wmma_f32_16x16x16_bf16 v[65:72], v[41:48], v[83:90], v[65:72]
	ds_load_b128 v[45:48], v80 offset:8208
	ds_load_b128 v[41:44], v80 offset:8192
	s_waitcnt lgkmcnt(6)
	v_wmma_f32_16x16x16_bf16 v[65:72], v[33:40], v[91:98], v[65:72]
	ds_load_b128 v[37:40], v80 offset:10256
	ds_load_b128 v[33:36], v80 offset:10240
	s_waitcnt lgkmcnt(6)
	;; [unrolled: 4-line block ×4, first 2 shown]
	v_wmma_f32_16x16x16_bf16 v[65:72], v[1:8], v[41:48], v[65:72]
	s_waitcnt lgkmcnt(4)
	s_delay_alu instid0(VALU_DEP_1) | instskip(SKIP_1) | instid1(VALU_DEP_1)
	v_wmma_f32_16x16x16_bf16 v[65:72], v[9:16], v[33:40], v[65:72]
	s_waitcnt lgkmcnt(2)
	v_wmma_f32_16x16x16_bf16 v[65:72], v[57:64], v[25:32], v[65:72]
	s_waitcnt lgkmcnt(0)
	s_delay_alu instid0(VALU_DEP_1) | instskip(NEXT) | instid1(VALU_DEP_1)
	v_wmma_f32_16x16x16_bf16 v[65:72], v[49:56], v[17:24], v[65:72]
	v_and_b32_e32 v1, 0x7f800000, v65
	s_delay_alu instid0(VALU_DEP_1) | instskip(SKIP_1) | instid1(SALU_CYCLE_1)
	v_cmp_ne_u32_e32 vcc_lo, 0x7f800000, v1
                                        ; implicit-def: $vgpr1
	s_and_saveexec_b32 s3, vcc_lo
	s_xor_b32 s3, exec_lo, s3
; %bb.79:
	v_bfe_u32 v1, v65, 16, 1
	s_delay_alu instid0(VALU_DEP_1)
	v_add3_u32 v1, v65, v1, 0x7fff
; %bb.80:
	s_and_not1_saveexec_b32 s3, s3
; %bb.81:
	v_and_b32_e32 v1, 0xffff, v65
	v_or_b32_e32 v2, 0x10000, v65
	s_delay_alu instid0(VALU_DEP_2) | instskip(NEXT) | instid1(VALU_DEP_2)
	v_cmp_eq_u32_e32 vcc_lo, 0, v1
	v_cndmask_b32_e32 v1, v2, v65, vcc_lo
; %bb.82:
	s_or_b32 exec_lo, exec_lo, s3
	v_and_b32_e32 v2, 0x7f800000, v66
	s_delay_alu instid0(VALU_DEP_1) | instskip(SKIP_1) | instid1(SALU_CYCLE_1)
	v_cmp_ne_u32_e32 vcc_lo, 0x7f800000, v2
                                        ; implicit-def: $vgpr2
	s_and_saveexec_b32 s3, vcc_lo
	s_xor_b32 s3, exec_lo, s3
; %bb.83:
	v_bfe_u32 v2, v66, 16, 1
	s_delay_alu instid0(VALU_DEP_1)
	v_add3_u32 v2, v66, v2, 0x7fff
; %bb.84:
	s_and_not1_saveexec_b32 s3, s3
; %bb.85:
	v_and_b32_e32 v2, 0xffff, v66
	v_or_b32_e32 v3, 0x10000, v66
	s_delay_alu instid0(VALU_DEP_2) | instskip(NEXT) | instid1(VALU_DEP_2)
	v_cmp_eq_u32_e32 vcc_lo, 0, v2
	v_cndmask_b32_e32 v2, v3, v66, vcc_lo
; %bb.86:
	s_or_b32 exec_lo, exec_lo, s3
	v_and_b32_e32 v3, 0x7f800000, v67
	s_delay_alu instid0(VALU_DEP_1) | instskip(SKIP_1) | instid1(SALU_CYCLE_1)
	v_cmp_ne_u32_e32 vcc_lo, 0x7f800000, v3
                                        ; implicit-def: $vgpr3
	s_and_saveexec_b32 s3, vcc_lo
	s_xor_b32 s3, exec_lo, s3
; %bb.87:
	v_bfe_u32 v3, v67, 16, 1
	s_delay_alu instid0(VALU_DEP_1)
	v_add3_u32 v3, v67, v3, 0x7fff
; %bb.88:
	s_and_not1_saveexec_b32 s3, s3
; %bb.89:
	v_and_b32_e32 v3, 0xffff, v67
	v_or_b32_e32 v4, 0x10000, v67
	s_delay_alu instid0(VALU_DEP_2) | instskip(NEXT) | instid1(VALU_DEP_2)
	v_cmp_eq_u32_e32 vcc_lo, 0, v3
	v_cndmask_b32_e32 v3, v4, v67, vcc_lo
; %bb.90:
	s_or_b32 exec_lo, exec_lo, s3
	v_and_b32_e32 v4, 0x7f800000, v68
	s_delay_alu instid0(VALU_DEP_1) | instskip(SKIP_1) | instid1(SALU_CYCLE_1)
	v_cmp_ne_u32_e32 vcc_lo, 0x7f800000, v4
                                        ; implicit-def: $vgpr4
	s_and_saveexec_b32 s3, vcc_lo
	s_xor_b32 s3, exec_lo, s3
; %bb.91:
	v_bfe_u32 v4, v68, 16, 1
	s_delay_alu instid0(VALU_DEP_1)
	v_add3_u32 v4, v68, v4, 0x7fff
; %bb.92:
	s_and_not1_saveexec_b32 s3, s3
; %bb.93:
	v_and_b32_e32 v4, 0xffff, v68
	v_or_b32_e32 v5, 0x10000, v68
	s_delay_alu instid0(VALU_DEP_2) | instskip(NEXT) | instid1(VALU_DEP_2)
	v_cmp_eq_u32_e32 vcc_lo, 0, v4
	v_cndmask_b32_e32 v4, v5, v68, vcc_lo
; %bb.94:
	s_or_b32 exec_lo, exec_lo, s3
	v_and_b32_e32 v5, 0x7f800000, v69
	s_delay_alu instid0(VALU_DEP_1) | instskip(SKIP_1) | instid1(SALU_CYCLE_1)
	v_cmp_ne_u32_e32 vcc_lo, 0x7f800000, v5
                                        ; implicit-def: $vgpr5
	s_and_saveexec_b32 s3, vcc_lo
	s_xor_b32 s3, exec_lo, s3
; %bb.95:
	v_bfe_u32 v5, v69, 16, 1
	s_delay_alu instid0(VALU_DEP_1)
	v_add3_u32 v5, v69, v5, 0x7fff
; %bb.96:
	s_and_not1_saveexec_b32 s3, s3
; %bb.97:
	v_and_b32_e32 v5, 0xffff, v69
	v_or_b32_e32 v6, 0x10000, v69
	s_delay_alu instid0(VALU_DEP_2) | instskip(NEXT) | instid1(VALU_DEP_2)
	v_cmp_eq_u32_e32 vcc_lo, 0, v5
	v_cndmask_b32_e32 v5, v6, v69, vcc_lo
; %bb.98:
	s_or_b32 exec_lo, exec_lo, s3
	v_and_b32_e32 v6, 0x7f800000, v70
	s_delay_alu instid0(VALU_DEP_1) | instskip(SKIP_1) | instid1(SALU_CYCLE_1)
	v_cmp_ne_u32_e32 vcc_lo, 0x7f800000, v6
                                        ; implicit-def: $vgpr6
	s_and_saveexec_b32 s3, vcc_lo
	s_xor_b32 s3, exec_lo, s3
; %bb.99:
	v_bfe_u32 v6, v70, 16, 1
	s_delay_alu instid0(VALU_DEP_1)
	v_add3_u32 v6, v70, v6, 0x7fff
; %bb.100:
	s_and_not1_saveexec_b32 s3, s3
; %bb.101:
	v_and_b32_e32 v6, 0xffff, v70
	v_or_b32_e32 v7, 0x10000, v70
	s_delay_alu instid0(VALU_DEP_2) | instskip(NEXT) | instid1(VALU_DEP_2)
	v_cmp_eq_u32_e32 vcc_lo, 0, v6
	v_cndmask_b32_e32 v6, v7, v70, vcc_lo
; %bb.102:
	s_or_b32 exec_lo, exec_lo, s3
	v_and_b32_e32 v7, 0x7f800000, v71
	s_delay_alu instid0(VALU_DEP_1) | instskip(SKIP_1) | instid1(SALU_CYCLE_1)
	v_cmp_ne_u32_e32 vcc_lo, 0x7f800000, v7
                                        ; implicit-def: $vgpr7
	s_and_saveexec_b32 s3, vcc_lo
	s_xor_b32 s3, exec_lo, s3
; %bb.103:
	v_bfe_u32 v7, v71, 16, 1
	s_delay_alu instid0(VALU_DEP_1)
	v_add3_u32 v7, v71, v7, 0x7fff
; %bb.104:
	s_and_not1_saveexec_b32 s3, s3
; %bb.105:
	v_and_b32_e32 v7, 0xffff, v71
	v_or_b32_e32 v8, 0x10000, v71
	s_delay_alu instid0(VALU_DEP_2) | instskip(NEXT) | instid1(VALU_DEP_2)
	v_cmp_eq_u32_e32 vcc_lo, 0, v7
	v_cndmask_b32_e32 v7, v8, v71, vcc_lo
; %bb.106:
	s_or_b32 exec_lo, exec_lo, s3
	v_and_b32_e32 v8, 0x7f800000, v72
	s_delay_alu instid0(VALU_DEP_1) | instskip(SKIP_1) | instid1(SALU_CYCLE_1)
	v_cmp_ne_u32_e32 vcc_lo, 0x7f800000, v8
                                        ; implicit-def: $vgpr8
	s_and_saveexec_b32 s3, vcc_lo
	s_xor_b32 s3, exec_lo, s3
; %bb.107:
	v_bfe_u32 v8, v72, 16, 1
	s_delay_alu instid0(VALU_DEP_1)
	v_add3_u32 v8, v72, v8, 0x7fff
                                        ; implicit-def: $vgpr65_vgpr66_vgpr67_vgpr68_vgpr69_vgpr70_vgpr71_vgpr72
; %bb.108:
	s_and_not1_saveexec_b32 s3, s3
; %bb.109:
	v_and_b32_e32 v8, 0xffff, v72
	v_or_b32_e32 v9, 0x10000, v72
	s_delay_alu instid0(VALU_DEP_2) | instskip(NEXT) | instid1(VALU_DEP_2)
	v_cmp_eq_u32_e32 vcc_lo, 0, v8
	v_cndmask_b32_e32 v8, v9, v72, vcc_lo
; %bb.110:
	s_or_b32 exec_lo, exec_lo, s3
	s_delay_alu instid0(VALU_DEP_1)
	v_perm_b32 v7, v8, v7, 0x7060302
	v_perm_b32 v6, v6, v5, 0x7060302
	;; [unrolled: 1-line block ×4, first 2 shown]
	s_barrier
	buffer_gl0_inv
	v_cmp_eq_u32_e32 vcc_lo, 1, v78
	ds_store_b128 v76, v[4:7]
	s_waitcnt lgkmcnt(0)
	s_barrier
	buffer_gl0_inv
	ds_load_b128 v[1:4], v82
	ds_load_b128 v[5:8], v82 offset:16
	v_cmp_eq_u32_e64 s3, 1, v79
	v_cmp_eq_u32_e64 s4, 2, v78
	;; [unrolled: 1-line block ×5, first 2 shown]
	s_waitcnt lgkmcnt(1)
	v_lshrrev_b32_e32 v9, 16, v1
	s_waitcnt lgkmcnt(0)
	v_lshrrev_b32_e32 v13, 16, v5
	v_lshrrev_b32_e32 v10, 16, v2
	;; [unrolled: 1-line block ×4, first 2 shown]
	v_cndmask_b32_e64 v19, v1, v9, s3
	v_cndmask_b32_e32 v18, v5, v13, vcc_lo
	v_cndmask_b32_e64 v20, v5, v13, s3
	v_cndmask_b32_e32 v17, v1, v9, vcc_lo
	v_cmp_eq_u32_e32 vcc_lo, 2, v79
	v_lshrrev_b32_e32 v15, 16, v7
	v_cmp_eq_u32_e64 s3, 1, v77
	v_lshrrev_b32_e32 v12, 16, v4
	v_lshrrev_b32_e32 v16, 16, v8
	v_cndmask_b32_e32 v20, v20, v6, vcc_lo
	v_cndmask_b32_e64 v17, v17, v2, s4
	v_cndmask_b32_e32 v19, v19, v2, vcc_lo
	v_cndmask_b32_e64 v18, v18, v6, s4
	v_cmp_eq_u32_e32 vcc_lo, 4, v78
	v_cmp_eq_u32_e64 s4, 3, v79
	v_cndmask_b32_e64 v17, v17, v10, s5
	v_cndmask_b32_e64 v21, v1, v9, s3
	;; [unrolled: 1-line block ×5, first 2 shown]
	v_cndmask_b32_e32 v17, v17, v3, vcc_lo
	v_cndmask_b32_e64 v20, v20, v14, s4
	v_cndmask_b32_e32 v18, v18, v7, vcc_lo
	v_cmp_eq_u32_e32 vcc_lo, 4, v79
	v_cmp_eq_u32_e64 s4, 5, v79
	v_cmp_eq_u32_e64 s3, 2, v81
	v_cndmask_b32_e64 v21, v21, v2, s7
	v_cmp_eq_u32_e64 s5, 5, v78
	v_cndmask_b32_e32 v19, v19, v3, vcc_lo
	v_cndmask_b32_e32 v20, v20, v7, vcc_lo
	v_cmp_eq_u32_e32 vcc_lo, 6, v79
	s_delay_alu instid0(VALU_DEP_4) | instskip(NEXT) | instid1(VALU_DEP_4)
	v_cndmask_b32_e64 v17, v17, v11, s5
	v_cndmask_b32_e64 v19, v19, v11, s4
	s_delay_alu instid0(VALU_DEP_4) | instskip(SKIP_1) | instid1(VALU_DEP_3)
	v_cndmask_b32_e64 v20, v20, v15, s4
	v_cmp_eq_u32_e64 s4, 1, v81
	v_cndmask_b32_e32 v19, v19, v4, vcc_lo
	v_cndmask_b32_e64 v18, v18, v15, s5
	s_delay_alu instid0(VALU_DEP_3)
	v_cndmask_b32_e64 v1, v1, v9, s4
	v_cndmask_b32_e64 v5, v5, v13, s4
	v_cmp_eq_u32_e64 s4, 3, v77
	v_cndmask_b32_e64 v13, v22, v6, s7
	v_cmp_eq_u32_e64 s7, 3, v81
	v_cndmask_b32_e64 v1, v1, v2, s3
	v_cndmask_b32_e64 v2, v5, v6, s3
	;; [unrolled: 1-line block ×3, first 2 shown]
	v_cmp_eq_u32_e64 s3, 4, v77
	v_cndmask_b32_e64 v6, v13, v14, s4
	v_cndmask_b32_e64 v1, v1, v10, s7
	v_cmp_eq_u32_e64 s4, 4, v81
	v_cndmask_b32_e64 v2, v2, v14, s7
	v_cndmask_b32_e64 v5, v9, v3, s3
	;; [unrolled: 3-line block ×3, first 2 shown]
	v_cndmask_b32_e64 v2, v2, v7, s4
	v_cmp_eq_u32_e64 s3, 5, v81
	v_cmp_eq_u32_e64 s5, 6, v78
	v_cndmask_b32_e64 v5, v5, v11, s7
	v_cmp_eq_u32_e64 s4, 6, v77
	v_cndmask_b32_e64 v3, v6, v15, s7
	v_cndmask_b32_e64 v1, v1, v11, s3
	v_cmp_eq_u32_e64 s7, 6, v81
	v_cndmask_b32_e64 v2, v2, v15, s3
	v_cndmask_b32_e64 v17, v17, v4, s5
	v_cndmask_b32_e64 v18, v18, v8, s5
	v_cmp_eq_u32_e64 s5, 7, v78
	v_cndmask_b32_e64 v5, v5, v4, s4
	;; [unrolled: 4-line block ×3, first 2 shown]
	v_cmp_eq_u32_e64 s4, 7, v77
	v_cndmask_b32_e32 v4, v20, v8, vcc_lo
	v_cndmask_b32_e64 v17, v17, v12, s5
	v_cndmask_b32_e64 v19, v19, v12, s6
	;; [unrolled: 1-line block ×8, first 2 shown]
	s_mov_b32 s3, exec_lo
	v_perm_b32 v4, v2, v1, 0x5040100
	v_perm_b32 v3, v3, v5, 0x5040100
	;; [unrolled: 1-line block ×4, first 2 shown]
	ds_store_b128 v76, v[1:4]
	s_waitcnt lgkmcnt(0)
	s_barrier
	buffer_gl0_inv
	v_cmpx_gt_u32_e32 32, v0
	s_cbranch_execz .LBB1908_2
; %bb.111:
	s_load_b64 s[4:5], s[0:1], 0x68
	v_lshlrev_b32_e32 v0, 10, v0
	v_add_nc_u32_e32 v2, s31, v74
	v_lshlrev_b32_e32 v3, 4, v75
	s_lshl_b32 s0, s34, 7
	s_delay_alu instid0(SALU_CYCLE_1) | instskip(NEXT) | instid1(VALU_DEP_2)
	s_mul_i32 s1, s0, s30
	v_mul_lo_u32 v1, v2, s0
	s_delay_alu instid0(VALU_DEP_2)
	v_and_or_b32 v0, 0x3800, v0, v3
	v_add_nc_u32_e32 v3, 2, v2
	s_mul_i32 s6, s1, s8
	v_add_nc_u32_e32 v4, 4, v2
	s_ashr_i32 s7, s6, 31
	v_lshl_or_b32 v11, v74, 6, v0
	s_lshl_b64 s[6:7], s[6:7], 1
	v_mul_lo_u32 v15, v3, s0
	v_mul_lo_u32 v17, v4, s0
	v_ashrrev_i32_e32 v2, 31, v1
	ds_load_b128 v[3:6], v11
	ds_load_b128 v[7:10], v11 offset:128
	ds_load_b128 v[11:14], v11 offset:256
	s_waitcnt lgkmcnt(0)
	s_add_u32 s1, s4, s6
	s_addc_u32 s3, s5, s7
	s_lshl_b32 s4, s14, 7
	v_ashrrev_i32_e32 v16, 31, v15
	s_ashr_i32 s5, s4, 31
	v_lshlrev_b64 v[19:20], 1, v[1:2]
	s_lshl_b64 s[4:5], s[4:5], 1
	v_ashrrev_i32_e32 v18, 31, v17
	s_add_u32 s1, s1, s4
	s_addc_u32 s3, s3, s5
	v_add_co_u32 v1, s1, s1, v73
	s_delay_alu instid0(VALU_DEP_1) | instskip(SKIP_1) | instid1(VALU_DEP_3)
	v_add_co_ci_u32_e64 v2, null, s3, 0, s1
	v_lshlrev_b64 v[15:16], 1, v[15:16]
	v_add_co_u32 v19, vcc_lo, v1, v19
	v_lshlrev_b64 v[17:18], 1, v[17:18]
	s_delay_alu instid0(VALU_DEP_4) | instskip(NEXT) | instid1(VALU_DEP_4)
	v_add_co_ci_u32_e32 v20, vcc_lo, v2, v20, vcc_lo
	v_add_co_u32 v15, vcc_lo, v1, v15
	v_add_co_ci_u32_e32 v16, vcc_lo, v2, v16, vcc_lo
	s_delay_alu instid0(VALU_DEP_4)
	v_add_co_u32 v17, vcc_lo, v1, v17
	v_add_co_ci_u32_e32 v18, vcc_lo, v2, v18, vcc_lo
	s_clause 0x2
	global_store_b128 v[19:20], v[3:6], off
	global_store_b128 v[15:16], v[7:10], off
	;; [unrolled: 1-line block ×3, first 2 shown]
	s_and_b32 exec_lo, exec_lo, s2
	s_cbranch_execz .LBB1908_2
; %bb.112:
	ds_load_b128 v[3:6], v0 offset:384
	s_add_i32 s1, s31, 6
	s_delay_alu instid0(SALU_CYCLE_1) | instskip(NEXT) | instid1(SALU_CYCLE_1)
	s_mul_i32 s0, s1, s0
	s_ashr_i32 s1, s0, 31
	s_delay_alu instid0(SALU_CYCLE_1) | instskip(NEXT) | instid1(SALU_CYCLE_1)
	s_lshl_b64 s[0:1], s[0:1], 1
	v_add_co_u32 v0, vcc_lo, v1, s0
	v_add_co_ci_u32_e32 v1, vcc_lo, s1, v2, vcc_lo
	s_waitcnt lgkmcnt(0)
	global_store_b128 v[0:1], v[3:6], off
	s_nop 0
	s_sendmsg sendmsg(MSG_DEALLOC_VGPRS)
	s_endpgm
	.section	.rodata,"a",@progbits
	.p2align	6, 0x0
	.amdhsa_kernel _Z39paged_attention_ll4mi_QKV_mfma16_kernelI14__hip_bfloat16hLN4vllm18Fp8KVCacheDataTypeE1ES0_Li32ELi128ELi256ELb0ELi7EL8MFMAType0EEvPKT_PKT0_S9_ifPKiSB_SB_iPKfiiiPfSE_PS4_PT2_iSD_SD_
		.amdhsa_group_segment_fixed_size 17472
		.amdhsa_private_segment_fixed_size 0
		.amdhsa_kernarg_size 400
		.amdhsa_user_sgpr_count 13
		.amdhsa_user_sgpr_dispatch_ptr 0
		.amdhsa_user_sgpr_queue_ptr 0
		.amdhsa_user_sgpr_kernarg_segment_ptr 1
		.amdhsa_user_sgpr_dispatch_id 0
		.amdhsa_user_sgpr_private_segment_size 0
		.amdhsa_wavefront_size32 1
		.amdhsa_uses_dynamic_stack 0
		.amdhsa_enable_private_segment 0
		.amdhsa_system_sgpr_workgroup_id_x 1
		.amdhsa_system_sgpr_workgroup_id_y 1
		.amdhsa_system_sgpr_workgroup_id_z 1
		.amdhsa_system_sgpr_workgroup_info 0
		.amdhsa_system_vgpr_workitem_id 0
		.amdhsa_next_free_vgpr 140
		.amdhsa_next_free_sgpr 36
		.amdhsa_reserve_vcc 1
		.amdhsa_float_round_mode_32 0
		.amdhsa_float_round_mode_16_64 0
		.amdhsa_float_denorm_mode_32 3
		.amdhsa_float_denorm_mode_16_64 3
		.amdhsa_dx10_clamp 1
		.amdhsa_ieee_mode 1
		.amdhsa_fp16_overflow 0
		.amdhsa_workgroup_processor_mode 1
		.amdhsa_memory_ordered 1
		.amdhsa_forward_progress 0
		.amdhsa_shared_vgpr_count 0
		.amdhsa_exception_fp_ieee_invalid_op 0
		.amdhsa_exception_fp_denorm_src 0
		.amdhsa_exception_fp_ieee_div_zero 0
		.amdhsa_exception_fp_ieee_overflow 0
		.amdhsa_exception_fp_ieee_underflow 0
		.amdhsa_exception_fp_ieee_inexact 0
		.amdhsa_exception_int_div_zero 0
	.end_amdhsa_kernel
	.section	.text._Z39paged_attention_ll4mi_QKV_mfma16_kernelI14__hip_bfloat16hLN4vllm18Fp8KVCacheDataTypeE1ES0_Li32ELi128ELi256ELb0ELi7EL8MFMAType0EEvPKT_PKT0_S9_ifPKiSB_SB_iPKfiiiPfSE_PS4_PT2_iSD_SD_,"axG",@progbits,_Z39paged_attention_ll4mi_QKV_mfma16_kernelI14__hip_bfloat16hLN4vllm18Fp8KVCacheDataTypeE1ES0_Li32ELi128ELi256ELb0ELi7EL8MFMAType0EEvPKT_PKT0_S9_ifPKiSB_SB_iPKfiiiPfSE_PS4_PT2_iSD_SD_,comdat
.Lfunc_end1908:
	.size	_Z39paged_attention_ll4mi_QKV_mfma16_kernelI14__hip_bfloat16hLN4vllm18Fp8KVCacheDataTypeE1ES0_Li32ELi128ELi256ELb0ELi7EL8MFMAType0EEvPKT_PKT0_S9_ifPKiSB_SB_iPKfiiiPfSE_PS4_PT2_iSD_SD_, .Lfunc_end1908-_Z39paged_attention_ll4mi_QKV_mfma16_kernelI14__hip_bfloat16hLN4vllm18Fp8KVCacheDataTypeE1ES0_Li32ELi128ELi256ELb0ELi7EL8MFMAType0EEvPKT_PKT0_S9_ifPKiSB_SB_iPKfiiiPfSE_PS4_PT2_iSD_SD_
                                        ; -- End function
	.section	.AMDGPU.csdata,"",@progbits
; Kernel info:
; codeLenInByte = 8964
; NumSgprs: 38
; NumVgprs: 140
; ScratchSize: 0
; MemoryBound: 0
; FloatMode: 240
; IeeeMode: 1
; LDSByteSize: 17472 bytes/workgroup (compile time only)
; SGPRBlocks: 4
; VGPRBlocks: 17
; NumSGPRsForWavesPerEU: 38
; NumVGPRsForWavesPerEU: 140
; Occupancy: 10
; WaveLimiterHint : 1
; COMPUTE_PGM_RSRC2:SCRATCH_EN: 0
; COMPUTE_PGM_RSRC2:USER_SGPR: 13
; COMPUTE_PGM_RSRC2:TRAP_HANDLER: 0
; COMPUTE_PGM_RSRC2:TGID_X_EN: 1
; COMPUTE_PGM_RSRC2:TGID_Y_EN: 1
; COMPUTE_PGM_RSRC2:TGID_Z_EN: 1
; COMPUTE_PGM_RSRC2:TIDIG_COMP_CNT: 0
	.section	.text._Z39paged_attention_ll4mi_QKV_mfma16_kernelI14__hip_bfloat16hLN4vllm18Fp8KVCacheDataTypeE1ES0_Li32ELi128ELi256ELb0ELi8EL8MFMAType0EEvPKT_PKT0_S9_ifPKiSB_SB_iPKfiiiPfSE_PS4_PT2_iSD_SD_,"axG",@progbits,_Z39paged_attention_ll4mi_QKV_mfma16_kernelI14__hip_bfloat16hLN4vllm18Fp8KVCacheDataTypeE1ES0_Li32ELi128ELi256ELb0ELi8EL8MFMAType0EEvPKT_PKT0_S9_ifPKiSB_SB_iPKfiiiPfSE_PS4_PT2_iSD_SD_,comdat
	.protected	_Z39paged_attention_ll4mi_QKV_mfma16_kernelI14__hip_bfloat16hLN4vllm18Fp8KVCacheDataTypeE1ES0_Li32ELi128ELi256ELb0ELi8EL8MFMAType0EEvPKT_PKT0_S9_ifPKiSB_SB_iPKfiiiPfSE_PS4_PT2_iSD_SD_ ; -- Begin function _Z39paged_attention_ll4mi_QKV_mfma16_kernelI14__hip_bfloat16hLN4vllm18Fp8KVCacheDataTypeE1ES0_Li32ELi128ELi256ELb0ELi8EL8MFMAType0EEvPKT_PKT0_S9_ifPKiSB_SB_iPKfiiiPfSE_PS4_PT2_iSD_SD_
	.globl	_Z39paged_attention_ll4mi_QKV_mfma16_kernelI14__hip_bfloat16hLN4vllm18Fp8KVCacheDataTypeE1ES0_Li32ELi128ELi256ELb0ELi8EL8MFMAType0EEvPKT_PKT0_S9_ifPKiSB_SB_iPKfiiiPfSE_PS4_PT2_iSD_SD_
	.p2align	8
	.type	_Z39paged_attention_ll4mi_QKV_mfma16_kernelI14__hip_bfloat16hLN4vllm18Fp8KVCacheDataTypeE1ES0_Li32ELi128ELi256ELb0ELi8EL8MFMAType0EEvPKT_PKT0_S9_ifPKiSB_SB_iPKfiiiPfSE_PS4_PT2_iSD_SD_,@function
_Z39paged_attention_ll4mi_QKV_mfma16_kernelI14__hip_bfloat16hLN4vllm18Fp8KVCacheDataTypeE1ES0_Li32ELi128ELi256ELb0ELi8EL8MFMAType0EEvPKT_PKT0_S9_ifPKiSB_SB_iPKfiiiPfSE_PS4_PT2_iSD_SD_: ; @_Z39paged_attention_ll4mi_QKV_mfma16_kernelI14__hip_bfloat16hLN4vllm18Fp8KVCacheDataTypeE1ES0_Li32ELi128ELi256ELb0ELi8EL8MFMAType0EEvPKT_PKT0_S9_ifPKiSB_SB_iPKfiiiPfSE_PS4_PT2_iSD_SD_
; %bb.0:
	s_load_b64 s[4:5], s[0:1], 0x30
	s_mov_b32 s30, s13
	s_waitcnt lgkmcnt(0)
	s_cmp_lg_u64 s[4:5], 0
	s_cselect_b32 s13, -1, 0
	s_ashr_i32 s31, s30, 31
	s_cmp_eq_u64 s[4:5], 0
	s_cbranch_scc1 .LBB1909_3
; %bb.1:
	s_lshl_b64 s[2:3], s[30:31], 2
	s_delay_alu instid0(SALU_CYCLE_1) | instskip(SKIP_4) | instid1(SALU_CYCLE_1)
	s_add_u32 s2, s4, s2
	s_addc_u32 s3, s5, s3
	s_load_b64 s[2:3], s[2:3], 0x0
	s_waitcnt lgkmcnt(0)
	s_sub_i32 s2, s3, s2
	s_cmp_eq_u32 s2, 1
	s_cselect_b32 s2, -1, 0
	s_delay_alu instid0(SALU_CYCLE_1)
	s_and_not1_b32 vcc_lo, exec_lo, s2
	s_cbranch_vccz .LBB1909_4
.LBB1909_2:
	s_endpgm
.LBB1909_3:
.LBB1909_4:
	s_load_b64 s[2:3], s[0:1], 0x28
	s_lshl_b64 s[6:7], s[30:31], 2
	s_waitcnt lgkmcnt(0)
	s_add_u32 s2, s2, s6
	s_addc_u32 s3, s3, s7
	s_lshl_b32 s12, s14, 8
	s_load_b32 s17, s[2:3], 0x0
	s_waitcnt lgkmcnt(0)
	s_cmp_ge_i32 s12, s17
	s_cbranch_scc1 .LBB1909_2
; %bb.5:
	s_clause 0x1
	s_load_b128 s[8:11], s[0:1], 0x8
	s_load_b64 s[2:3], s[0:1], 0x20
	s_and_not1_b32 vcc_lo, exec_lo, s13
	s_cbranch_vccnz .LBB1909_7
; %bb.6:
	s_add_u32 s4, s4, s6
	s_addc_u32 s5, s5, s7
	s_load_b32 s13, s[4:5], 0x0
	s_branch .LBB1909_8
.LBB1909_7:
	s_mov_b32 s13, s30
.LBB1909_8:
	s_load_b128 s[4:7], s[0:1], 0x48
	v_and_b32_e32 v66, 15, v0
	v_lshrrev_b32_e32 v65, 5, v0
	v_and_b32_e32 v67, 31, v0
	v_and_b32_e32 v75, 1, v0
	v_bfe_u32 v74, v0, 4, 1
	v_lshlrev_b32_e32 v1, 3, v66
	s_lshl_b32 s29, s15, 3
	s_waitcnt lgkmcnt(0)
	s_mov_b32 s7, exec_lo
	s_delay_alu instid0(VALU_DEP_1)
	v_lshlrev_b32_e32 v73, 1, v1
	v_cmpx_gt_u32_e32 0x80, v0
	s_cbranch_execz .LBB1909_10
; %bb.9:
	v_lshl_or_b32 v5, v65, 1, v74
	s_load_b64 s[18:19], s[0:1], 0x0
	s_mul_hi_i32 s21, s13, s4
	s_mul_i32 s20, s13, s4
	v_lshlrev_b32_e32 v6, 10, v66
	v_or_b32_e32 v1, s29, v5
	s_lshl_b64 s[20:21], s[20:21], 1
	v_lshlrev_b32_e32 v5, 6, v5
	v_lshlrev_b32_e32 v7, 10, v75
	v_and_b32_e32 v6, 0x3800, v6
	v_lshlrev_b32_e32 v1, 7, v1
	s_delay_alu instid0(VALU_DEP_2) | instskip(NEXT) | instid1(VALU_DEP_2)
	v_or3_b32 v5, v6, v7, v5
	v_ashrrev_i32_e32 v2, 31, v1
	s_delay_alu instid0(VALU_DEP_1) | instskip(SKIP_3) | instid1(VALU_DEP_1)
	v_lshlrev_b64 v[1:2], 1, v[1:2]
	s_waitcnt lgkmcnt(0)
	s_add_u32 s4, s18, s20
	s_addc_u32 s13, s19, s21
	v_add_co_u32 v1, vcc_lo, s4, v1
	s_delay_alu instid0(VALU_DEP_2) | instskip(NEXT) | instid1(VALU_DEP_2)
	v_add_co_ci_u32_e32 v2, vcc_lo, s13, v2, vcc_lo
	v_add_co_u32 v1, vcc_lo, v1, v73
	s_delay_alu instid0(VALU_DEP_2)
	v_add_co_ci_u32_e32 v2, vcc_lo, 0, v2, vcc_lo
	global_load_b128 v[1:4], v[1:2], off
	s_waitcnt vmcnt(0)
	ds_store_b128 v5, v[1:4]
.LBB1909_10:
	s_or_b32 exec_lo, exec_lo, s7
	v_and_b32_e32 v1, 0xef, v0
	s_add_i32 s4, s17, 31
	s_clause 0x1
	s_load_b32 s7, s[0:1], 0x38
	s_load_b32 s18, s[0:1], 0x1c
	s_ashr_i32 s13, s4, 31
	v_add_nc_u32_e32 v1, s12, v1
	s_lshr_b32 s13, s13, 27
	s_waitcnt lgkmcnt(0)
	s_add_i32 s4, s4, s13
	s_barrier
	v_ashrrev_i32_e32 v2, 31, v1
	v_or_b32_e32 v3, 16, v1
	s_ashr_i32 s4, s4, 5
	v_cmp_gt_i32_e32 vcc_lo, s17, v1
	s_add_i32 s4, s4, -1
	v_lshrrev_b32_e32 v2, 27, v2
	buffer_gl0_inv
	s_mul_i32 s15, s15, s6
	v_add_nc_u32_e32 v4, v1, v2
	s_mul_i32 s20, s30, s7
	s_delay_alu instid0(SALU_CYCLE_1) | instskip(NEXT) | instid1(VALU_DEP_1)
	s_ashr_i32 s21, s20, 31
	v_ashrrev_i32_e32 v4, 5, v4
	v_add_nc_u32_e32 v2, v3, v2
	s_lshl_b64 s[20:21], s[20:21], 2
	s_delay_alu instid0(SALU_CYCLE_1) | instskip(NEXT) | instid1(VALU_DEP_2)
	s_add_u32 s13, s2, s20
	v_cndmask_b32_e32 v1, s4, v4, vcc_lo
	s_delay_alu instid0(VALU_DEP_2)
	v_ashrrev_i32_e32 v2, 5, v2
	v_cmp_gt_i32_e32 vcc_lo, s17, v3
	s_addc_u32 s16, s3, s21
	s_ashr_i32 s19, s15, 31
	s_add_u32 s2, s8, s15
	s_addc_u32 s3, s9, s19
	v_cndmask_b32_e32 v3, s4, v2, vcc_lo
	v_ashrrev_i32_e32 v2, 31, v1
	s_lshl_b32 s6, s14, 3
	s_delay_alu instid0(SALU_CYCLE_1) | instskip(NEXT) | instid1(VALU_DEP_2)
	s_ashr_i32 s7, s6, 31
	v_ashrrev_i32_e32 v4, 31, v3
	s_delay_alu instid0(VALU_DEP_2) | instskip(SKIP_1) | instid1(SALU_CYCLE_1)
	v_lshlrev_b64 v[1:2], 2, v[1:2]
	s_lshl_b64 s[6:7], s[6:7], 2
	s_add_u32 s6, s13, s6
	s_delay_alu instid0(VALU_DEP_2) | instskip(SKIP_1) | instid1(VALU_DEP_2)
	v_lshlrev_b64 v[3:4], 2, v[3:4]
	s_addc_u32 s7, s16, s7
	v_add_co_u32 v1, vcc_lo, s13, v1
	v_add_co_ci_u32_e32 v2, vcc_lo, s16, v2, vcc_lo
	s_delay_alu instid0(VALU_DEP_3) | instskip(NEXT) | instid1(VALU_DEP_4)
	v_add_co_u32 v3, vcc_lo, s13, v3
	v_add_co_ci_u32_e32 v4, vcc_lo, s16, v4, vcc_lo
	s_clause 0x1
	global_load_b32 v5, v[1:2], off
	global_load_b32 v6, v[3:4], off
	s_or_b32 s8, s12, 32
	s_delay_alu instid0(SALU_CYCLE_1) | instskip(SKIP_2) | instid1(SALU_CYCLE_1)
	s_ashr_i32 s9, s8, 5
	s_cmp_lt_i32 s8, s17
	s_cselect_b32 s8, s9, s4
	s_ashr_i32 s9, s8, 31
	s_delay_alu instid0(SALU_CYCLE_1) | instskip(NEXT) | instid1(SALU_CYCLE_1)
	s_lshl_b64 s[8:9], s[8:9], 2
	s_add_u32 s8, s13, s8
	s_addc_u32 s9, s16, s9
	s_or_b32 s20, s12, 64
	s_delay_alu instid0(SALU_CYCLE_1) | instskip(SKIP_2) | instid1(SALU_CYCLE_1)
	s_ashr_i32 s21, s20, 5
	s_cmp_lt_i32 s20, s17
	s_cselect_b32 s20, s21, s4
	s_ashr_i32 s21, s20, 31
	s_delay_alu instid0(SALU_CYCLE_1) | instskip(NEXT) | instid1(SALU_CYCLE_1)
	s_lshl_b64 s[20:21], s[20:21], 2
	s_add_u32 s20, s13, s20
	s_addc_u32 s21, s16, s21
	;; [unrolled: 10-line block ×5, first 2 shown]
	s_clause 0x5
	s_load_b32 s28, s[6:7], 0x0
	s_load_b32 s8, s[8:9], 0x0
	;; [unrolled: 1-line block ×6, first 2 shown]
	s_mov_b32 s20, 0
	s_delay_alu instid0(SALU_CYCLE_1)
	s_mov_b32 s21, s20
	s_mov_b32 s22, s20
	;; [unrolled: 1-line block ×7, first 2 shown]
	s_delay_alu instid0(SALU_CYCLE_1)
	v_dual_mov_b32 v107, s27 :: v_dual_mov_b32 v106, s26
	v_dual_mov_b32 v104, s24 :: v_dual_mov_b32 v103, s23
	;; [unrolled: 1-line block ×4, first 2 shown]
	s_waitcnt vmcnt(1)
	v_mad_i64_i32 v[1:2], null, v5, s5, s[2:3]
	v_lshlrev_b32_e32 v5, 4, v66
	s_waitcnt vmcnt(0)
	v_mad_i64_i32 v[3:4], null, v6, s5, s[2:3]
	s_or_b32 s2, s12, 0xc0
	s_delay_alu instid0(SALU_CYCLE_1) | instskip(NEXT) | instid1(VALU_DEP_3)
	s_ashr_i32 s3, s2, 5
	v_add_co_u32 v33, vcc_lo, v1, v5
	s_delay_alu instid0(VALU_DEP_4) | instskip(NEXT) | instid1(VALU_DEP_3)
	v_add_co_ci_u32_e32 v34, vcc_lo, 0, v2, vcc_lo
	v_add_co_u32 v35, vcc_lo, v3, v5
	s_delay_alu instid0(VALU_DEP_4)
	v_add_co_ci_u32_e32 v36, vcc_lo, 0, v4, vcc_lo
	s_clause 0xf
	global_load_b128 v[1:4], v[33:34], off
	global_load_b128 v[5:8], v[33:34], off offset:512
	global_load_b128 v[9:12], v[35:36], off offset:256
	;; [unrolled: 1-line block ×15, first 2 shown]
	s_cmp_lt_i32 s2, s17
	v_and_b32_e32 v33, 7, v0
	s_cselect_b32 s2, s3, s4
	v_lshlrev_b32_e32 v34, 5, v66
	s_ashr_i32 s3, s2, 31
	s_delay_alu instid0(SALU_CYCLE_1)
	s_lshl_b64 s[2:3], s[2:3], 2
	v_lshlrev_b32_e32 v72, 6, v33
	s_add_u32 s2, s13, s2
	s_addc_u32 s3, s16, s3
	s_or_b32 s6, s12, 0xe0
	v_lshl_or_b32 v41, v65, 9, v34
	s_ashr_i32 s7, s6, 5
	s_cmp_lt_i32 s6, s17
	ds_load_b128 v[33:36], v72
	ds_load_b128 v[37:40], v72 offset:1024
	s_cselect_b32 s6, s7, s4
	ds_load_b128 v[108:111], v72 offset:2048
	ds_load_b128 v[112:115], v72 offset:3072
	s_ashr_i32 s7, s6, 31
	s_load_b32 s4, s[2:3], 0x0
	s_lshl_b64 s[6:7], s[6:7], 2
	ds_load_b128 v[116:119], v72 offset:4096
	ds_load_b128 v[120:123], v72 offset:5120
	s_add_u32 s2, s13, s6
	s_addc_u32 s3, s16, s7
	s_add_u32 s6, s10, s15
	s_load_b32 s2, s[2:3], 0x0
	s_addc_u32 s7, s11, s19
	v_add_co_u32 v68, s6, s6, v41
	s_delay_alu instid0(VALU_DEP_1) | instskip(SKIP_1) | instid1(VALU_DEP_1)
	v_add_co_ci_u32_e64 v69, null, s7, 0, s6
	s_waitcnt lgkmcnt(0)
	v_mad_i64_i32 v[41:42], null, s28, s5, v[68:69]
	v_mad_i64_i32 v[70:71], null, s9, s5, v[68:69]
	;; [unrolled: 1-line block ×7, first 2 shown]
	s_clause 0x3
	global_load_b128 v[49:52], v[41:42], off
	global_load_b128 v[53:56], v[41:42], off offset:16
	global_load_b128 v[41:44], v[45:46], off
	global_load_b128 v[45:48], v[45:46], off offset:16
	s_waitcnt vmcnt(18)
	v_wmma_f32_16x16x16_bf16 v[124:131], v[1:8], v[33:40], v[100:107]
	s_waitcnt vmcnt(16)
	v_wmma_f32_16x16x16_bf16 v[100:107], v[9:16], v[33:40], v[100:107]
	s_clause 0x1
	global_load_b128 v[33:36], v[70:71], off
	global_load_b128 v[37:40], v[70:71], off offset:16
	v_mad_i64_i32 v[70:71], null, s2, s5, v[68:69]
	s_waitcnt vmcnt(16)
	v_wmma_f32_16x16x16_bf16 v[124:131], v[17:24], v[108:115], v[124:131]
	s_waitcnt vmcnt(14)
	v_wmma_f32_16x16x16_bf16 v[100:107], v[25:32], v[108:115], v[100:107]
	s_clause 0x7
	global_load_b128 v[25:28], v[132:133], off
	global_load_b128 v[29:32], v[132:133], off offset:16
	global_load_b128 v[1:4], v[134:135], off
	global_load_b128 v[5:8], v[134:135], off offset:16
	;; [unrolled: 2-line block ×4, first 2 shown]
	s_waitcnt vmcnt(20)
	v_wmma_f32_16x16x16_bf16 v[124:131], v[57:64], v[116:123], v[124:131]
	s_clause 0x1
	global_load_b128 v[57:60], v[70:71], off
	global_load_b128 v[61:64], v[70:71], off offset:16
	s_waitcnt vmcnt(20)
	v_wmma_f32_16x16x16_bf16 v[100:107], v[76:83], v[116:123], v[100:107]
	ds_load_b128 v[76:79], v72 offset:6144
	ds_load_b128 v[80:83], v72 offset:7168
	v_and_b32_e32 v68, 0xe0, v0
	v_mbcnt_lo_u32_b32 v69, -1, 0
	s_waitcnt vmcnt(0) lgkmcnt(0)
	s_barrier
	buffer_gl0_inv
	v_add_nc_u32_e32 v68, s12, v68
	v_xor_b32_e32 v70, 16, v69
	s_delay_alu instid0(VALU_DEP_2) | instskip(NEXT) | instid1(VALU_DEP_2)
	v_or_b32_e32 v68, v68, v74
	v_cmp_gt_i32_e32 vcc_lo, 32, v70
	s_delay_alu instid0(VALU_DEP_2)
	v_or_b32_e32 v71, 4, v68
	v_or_b32_e32 v72, 6, v68
	v_cmp_gt_i32_e64 s2, s17, v68
	v_or_b32_e32 v108, 8, v68
	v_wmma_f32_16x16x16_bf16 v[124:131], v[84:91], v[76:83], v[124:131]
	v_cndmask_b32_e32 v69, v69, v70, vcc_lo
	v_or_b32_e32 v70, 2, v68
	v_wmma_f32_16x16x16_bf16 v[100:107], v[92:99], v[76:83], v[100:107]
	v_or_b32_e32 v109, 10, v68
	v_dual_mul_f32 v78, s18, v131 :: v_dual_mul_f32 v83, s18, v126
	v_dual_mul_f32 v92, s18, v125 :: v_dual_mul_f32 v93, s18, v124
	s_delay_alu instid0(VALU_DEP_4) | instskip(SKIP_2) | instid1(VALU_DEP_4)
	v_mul_f32_e32 v94, s18, v107
	v_cmp_gt_i32_e32 vcc_lo, s17, v70
	v_dual_mul_f32 v81, s18, v128 :: v_dual_mul_f32 v82, s18, v127
	v_cndmask_b32_e64 v93, 0xff7fffff, v93, s2
	v_cmp_gt_i32_e64 s3, s17, v71
	v_cndmask_b32_e32 v92, 0xff7fffff, v92, vcc_lo
	v_cmp_gt_i32_e64 s4, s17, v72
	v_or_b32_e32 v84, 12, v68
	v_or_b32_e32 v85, 14, v68
	v_dual_mul_f32 v79, s18, v130 :: v_dual_mul_f32 v80, s18, v129
	v_cndmask_b32_e64 v71, 0xff7fffff, v83, s3
	v_cndmask_b32_e64 v72, 0xff7fffff, v82, s4
	v_max3_f32 v82, v93, 0xff7fffff, v92
	v_cmp_gt_i32_e64 s5, s17, v108
	v_cmp_gt_i32_e64 s6, s17, v109
	v_or_b32_e32 v86, 16, v68
	v_or_b32_e32 v87, 18, v68
	v_max3_f32 v71, v82, v71, v72
	v_cndmask_b32_e64 v81, 0xff7fffff, v81, s5
	v_cndmask_b32_e64 v80, 0xff7fffff, v80, s6
	v_cmp_gt_i32_e64 s7, s17, v84
	v_cmp_gt_i32_e64 s8, s17, v85
	v_or_b32_e32 v88, 20, v68
	v_or_b32_e32 v89, 22, v68
	;; [unrolled: 1-line block ×6, first 2 shown]
	v_dual_mul_f32 v99, s18, v102 :: v_dual_mul_f32 v70, s18, v101
	v_mul_f32_e32 v68, s18, v100
	v_cndmask_b32_e64 v72, 0xff7fffff, v79, s7
	v_cndmask_b32_e64 v78, 0xff7fffff, v78, s8
	v_max3_f32 v71, v71, v81, v80
	v_cmp_gt_i32_e64 s9, s17, v86
	v_cmp_gt_i32_e64 s10, s17, v87
	v_dual_mul_f32 v97, s18, v104 :: v_dual_mul_f32 v98, s18, v103
	s_delay_alu instid0(VALU_DEP_4) | instskip(SKIP_1) | instid1(VALU_DEP_4)
	v_max3_f32 v71, v71, v72, v78
	v_cmp_gt_i32_e64 s11, s17, v88
	v_cndmask_b32_e64 v70, 0xff7fffff, v70, s10
	v_cmp_gt_i32_e64 s12, s17, v89
	v_lshlrev_b32_e32 v89, 2, v69
	v_cndmask_b32_e64 v68, 0xff7fffff, v68, s9
	v_dual_mul_f32 v95, s18, v106 :: v_dual_mul_f32 v96, s18, v105
	v_cndmask_b32_e64 v72, 0xff7fffff, v99, s11
	v_cndmask_b32_e64 v78, 0xff7fffff, v98, s12
	s_delay_alu instid0(VALU_DEP_4)
	v_max3_f32 v68, v71, v68, v70
	v_cmp_gt_i32_e64 s13, s17, v90
	v_cmp_gt_i32_e64 s15, s17, v91
	;; [unrolled: 1-line block ×4, first 2 shown]
	v_max3_f32 v68, v68, v72, v78
	v_cndmask_b32_e64 v70, 0xff7fffff, v97, s13
	v_cndmask_b32_e64 v71, 0xff7fffff, v96, s15
	;; [unrolled: 1-line block ×4, first 2 shown]
	s_delay_alu instid0(VALU_DEP_3) | instskip(NEXT) | instid1(VALU_DEP_1)
	v_max3_f32 v68, v68, v70, v71
	v_max3_f32 v68, v68, v72, v76
	ds_bpermute_b32 v69, v89, v68
	s_waitcnt lgkmcnt(0)
	v_max_f32_e32 v69, v69, v69
	s_delay_alu instid0(VALU_DEP_1) | instskip(NEXT) | instid1(VALU_DEP_1)
	v_max_f32_e32 v68, v68, v69
	v_fma_f32 v71, s18, v126, -v68
	s_delay_alu instid0(VALU_DEP_1)
	v_mul_f32_e32 v71, 0x3fb8aa3b, v71
	v_fma_f32 v69, s18, v124, -v68
	v_fma_f32 v70, s18, v125, -v68
	;; [unrolled: 1-line block ×4, first 2 shown]
	v_exp_f32_e32 v71, v71
	s_delay_alu instid0(VALU_DEP_3) | instskip(SKIP_2) | instid1(VALU_DEP_3)
	v_dual_mul_f32 v69, 0x3fb8aa3b, v69 :: v_dual_mul_f32 v70, 0x3fb8aa3b, v70
	v_fma_f32 v78, s18, v130, -v68
	v_fma_f32 v81, s18, v105, -v68
	v_exp_f32_e32 v69, v69
	s_delay_alu instid0(VALU_DEP_3) | instskip(SKIP_1) | instid1(VALU_DEP_2)
	v_exp_f32_e32 v70, v70
	v_mul_f32_e32 v77, 0x3fb8aa3b, v76
	v_mul_f32_e32 v81, 0x3fb8aa3b, v81
	s_delay_alu instid0(TRANS32_DEP_3) | instskip(SKIP_1) | instid1(VALU_DEP_3)
	v_cndmask_b32_e64 v83, 0, v71, s3
	v_fma_f32 v71, s18, v131, -v68
	v_exp_f32_e32 v81, v81
	s_delay_alu instid0(TRANS32_DEP_3) | instskip(NEXT) | instid1(TRANS32_DEP_2)
	v_cndmask_b32_e64 v80, 0, v69, s2
	v_cndmask_b32_e32 v76, 0, v70, vcc_lo
	v_fma_f32 v69, s18, v129, -v68
	v_mul_f32_e32 v72, 0x3fb8aa3b, v72
	v_exp_f32_e32 v77, v77
	v_dual_add_f32 v70, 0, v80 :: v_dual_mul_f32 v71, 0x3fb8aa3b, v71
	s_delay_alu instid0(VALU_DEP_3) | instskip(NEXT) | instid1(VALU_DEP_3)
	v_mul_f32_e32 v69, 0x3fb8aa3b, v69
	v_exp_f32_e32 v72, v72
	s_mov_b32 s2, exec_lo
	s_delay_alu instid0(VALU_DEP_2) | instskip(NEXT) | instid1(VALU_DEP_1)
	v_exp_f32_e32 v71, v71
	v_exp_f32_e32 v69, v69
	v_cndmask_b32_e64 v86, 0, v77, s5
	v_fma_f32 v77, s18, v101, -v68
	v_add_f32_e32 v70, v70, v76
	s_delay_alu instid0(TRANS32_DEP_3) | instskip(SKIP_1) | instid1(VALU_DEP_3)
	v_cndmask_b32_e64 v85, 0, v72, s4
	v_fma_f32 v72, s18, v100, -v68
	v_dual_mul_f32 v77, 0x3fb8aa3b, v77 :: v_dual_add_f32 v70, v70, v83
	s_delay_alu instid0(TRANS32_DEP_2) | instskip(SKIP_1) | instid1(TRANS32_DEP_1)
	v_cndmask_b32_e64 v88, 0, v71, s8
	v_fma_f32 v71, s18, v104, -v68
	v_cndmask_b32_e64 v87, 0, v69, s6
	s_delay_alu instid0(VALU_DEP_4) | instskip(NEXT) | instid1(VALU_DEP_2)
	v_exp_f32_e32 v77, v77
	v_dual_add_f32 v70, v70, v85 :: v_dual_mul_f32 v71, 0x3fb8aa3b, v71
	s_delay_alu instid0(VALU_DEP_1) | instskip(SKIP_2) | instid1(VALU_DEP_3)
	v_dual_mul_f32 v72, 0x3fb8aa3b, v72 :: v_dual_add_f32 v69, v70, v86
	v_mul_f32_e32 v78, 0x3fb8aa3b, v78
	v_fma_f32 v70, s18, v102, -v68
	v_exp_f32_e32 v72, v72
	v_exp_f32_e32 v82, v71
	v_add_f32_e32 v69, v69, v87
	v_exp_f32_e32 v78, v78
	v_mul_f32_e32 v70, 0x3fb8aa3b, v70
	s_delay_alu instid0(VALU_DEP_1) | instskip(SKIP_4) | instid1(VALU_DEP_2)
	v_exp_f32_e32 v79, v70
	v_cndmask_b32_e64 v70, 0, v72, s9
	s_waitcnt_depctr 0xfff
	v_cndmask_b32_e64 v84, 0, v78, s7
	v_fma_f32 v78, s18, v103, -v68
	v_add_f32_e32 v69, v69, v84
	v_cndmask_b32_e64 v71, 0, v79, s11
	s_delay_alu instid0(VALU_DEP_2) | instskip(SKIP_2) | instid1(VALU_DEP_1)
	v_add_f32_e32 v72, v69, v88
	v_cndmask_b32_e64 v69, 0, v77, s10
	v_fma_f32 v77, s18, v106, -v68
	v_dual_mul_f32 v77, 0x3fb8aa3b, v77 :: v_dual_add_f32 v72, v72, v70
	v_mul_f32_e32 v78, 0x3fb8aa3b, v78
	s_delay_alu instid0(VALU_DEP_2) | instskip(NEXT) | instid1(VALU_DEP_2)
	v_exp_f32_e32 v90, v77
	v_add_f32_e32 v79, v72, v69
	s_delay_alu instid0(VALU_DEP_2)
	v_exp_f32_e32 v78, v78
	v_cndmask_b32_e64 v77, 0, v82, s13
	s_waitcnt_depctr 0xfff
	v_cndmask_b32_e64 v72, 0, v78, s12
	v_add_f32_e32 v78, v79, v71
	v_fma_f32 v79, s18, v107, -v68
	s_delay_alu instid0(VALU_DEP_1) | instskip(SKIP_1) | instid1(VALU_DEP_2)
	v_dual_add_f32 v82, v78, v72 :: v_dual_mul_f32 v79, 0x3fb8aa3b, v79
	v_cndmask_b32_e64 v78, 0, v81, s15
	v_add_f32_e32 v81, v82, v77
	s_delay_alu instid0(VALU_DEP_3) | instskip(SKIP_1) | instid1(VALU_DEP_2)
	v_exp_f32_e32 v82, v79
	v_cndmask_b32_e64 v79, 0, v90, s16
	v_add_f32_e32 v81, v81, v78
	s_delay_alu instid0(VALU_DEP_1) | instskip(SKIP_2) | instid1(VALU_DEP_1)
	v_add_f32_e32 v90, v81, v79
	s_waitcnt_depctr 0xfff
	v_cndmask_b32_e64 v81, 0, v82, s17
	v_add_f32_e32 v82, v90, v81
	ds_bpermute_b32 v89, v89, v82
	v_cmpx_gt_u32_e32 16, v67
	s_cbranch_execz .LBB1909_12
; %bb.11:
	v_mul_u32_u24_e32 v67, 0x44, v65
	s_delay_alu instid0(VALU_DEP_1) | instskip(SKIP_1) | instid1(VALU_DEP_1)
	v_lshl_add_u32 v67, v66, 2, v67
	s_waitcnt lgkmcnt(0)
	v_dual_add_f32 v82, v82, v89 :: v_dual_add_nc_u32 v67, 0x4000, v67
	ds_store_2addr_b32 v67, v68, v82 offset1:136
.LBB1909_12:
	s_or_b32 exec_lo, exec_lo, s2
	v_lshlrev_b32_e32 v67, 2, v66
	s_waitcnt lgkmcnt(0)
	s_barrier
	buffer_gl0_inv
	v_cmp_eq_u32_e32 vcc_lo, 1, v65
	v_add_nc_u32_e32 v82, 0x4000, v67
	v_cmp_eq_u32_e64 s2, 2, v65
	v_cmp_eq_u32_e64 s4, 7, v65
	ds_load_2addr_b32 v[89:90], v82 offset1:17
	ds_load_2addr_b32 v[91:92], v82 offset0:34 offset1:51
	ds_load_2addr_b32 v[93:94], v82 offset0:68 offset1:85
	;; [unrolled: 1-line block ×4, first 2 shown]
	s_waitcnt lgkmcnt(4)
	v_max3_f32 v67, v89, 0xff7fffff, v90
	s_waitcnt lgkmcnt(3)
	s_delay_alu instid0(VALU_DEP_1) | instskip(SKIP_1) | instid1(VALU_DEP_1)
	v_max3_f32 v67, v67, v91, v92
	s_waitcnt lgkmcnt(2)
	v_max3_f32 v67, v67, v93, v94
	s_waitcnt lgkmcnt(1)
	s_delay_alu instid0(VALU_DEP_1) | instskip(NEXT) | instid1(VALU_DEP_1)
	v_max3_f32 v67, v67, v95, v96
	v_sub_f32_e32 v93, v93, v67
	s_delay_alu instid0(VALU_DEP_1) | instskip(NEXT) | instid1(VALU_DEP_1)
	v_dual_sub_f32 v68, v89, v67 :: v_dual_mul_f32 v103, 0x3fb8aa3b, v93
	v_mul_f32_e32 v68, 0x3fb8aa3b, v68
	s_delay_alu instid0(VALU_DEP_1)
	v_exp_f32_e32 v100, v68
	v_sub_f32_e32 v68, v92, v67
	v_sub_f32_e32 v99, v90, v67
	ds_load_2addr_b32 v[89:90], v82 offset0:170 offset1:187
	v_dual_mul_f32 v102, 0x3fb8aa3b, v68 :: v_dual_mul_f32 v99, 0x3fb8aa3b, v99
	s_waitcnt lgkmcnt(1)
	v_fma_f32 v68, v100, v97, 0
	s_delay_alu instid0(VALU_DEP_2) | instskip(NEXT) | instid1(VALU_DEP_2)
	v_exp_f32_e32 v102, v102
	v_exp_f32_e32 v99, v99
	s_waitcnt_depctr 0xfff
	v_fmac_f32_e32 v68, v99, v98
	v_sub_f32_e32 v91, v91, v67
	s_delay_alu instid0(VALU_DEP_1)
	v_mul_f32_e32 v101, 0x3fb8aa3b, v91
	ds_load_2addr_b32 v[91:92], v82 offset0:204 offset1:221
	v_sub_f32_e32 v97, v94, v67
	ds_load_2addr_b32 v[93:94], v82 offset0:238 offset1:255
	s_waitcnt lgkmcnt(0)
	v_exp_f32_e32 v101, v101
	s_barrier
	buffer_gl0_inv
	v_dual_fmac_f32 v68, v101, v89 :: v_dual_sub_f32 v89, v96, v67
	v_dual_sub_f32 v82, v95, v67 :: v_dual_mul_f32 v95, 0x3fb8aa3b, v97
	v_exp_f32_e32 v97, v103
	s_delay_alu instid0(VALU_DEP_2) | instskip(NEXT) | instid1(VALU_DEP_2)
	v_dual_fmac_f32 v68, v102, v90 :: v_dual_mul_f32 v89, 0x3fb8aa3b, v89
	v_mul_f32_e32 v82, 0x3fb8aa3b, v82
	s_delay_alu instid0(VALU_DEP_3) | instskip(NEXT) | instid1(VALU_DEP_2)
	v_exp_f32_e32 v95, v95
	v_exp_f32_e32 v89, v89
	s_delay_alu instid0(VALU_DEP_1)
	v_exp_f32_e32 v82, v82
	v_fmac_f32_e32 v68, v97, v91
	s_delay_alu instid0(TRANS32_DEP_3) | instid1(VALU_DEP_1)
	v_fmac_f32_e32 v68, v95, v92
	s_waitcnt_depctr 0xfff
	v_fmac_f32_e32 v68, v82, v93
	s_delay_alu instid0(VALU_DEP_1) | instskip(NEXT) | instid1(VALU_DEP_1)
	v_fmac_f32_e32 v68, v89, v94
	v_add_f32_e32 v90, 0x358637bd, v68
	s_delay_alu instid0(VALU_DEP_1) | instskip(NEXT) | instid1(VALU_DEP_1)
	v_div_scale_f32 v91, null, v90, v90, 1.0
	v_rcp_f32_e32 v92, v91
	s_waitcnt_depctr 0xfff
	v_fma_f32 v93, -v91, v92, 1.0
	s_delay_alu instid0(VALU_DEP_1) | instskip(SKIP_1) | instid1(VALU_DEP_2)
	v_dual_fmac_f32 v92, v93, v92 :: v_dual_cndmask_b32 v93, v100, v99
	v_cmp_eq_u32_e32 vcc_lo, 3, v65
	v_cndmask_b32_e64 v93, v93, v101, s2
	v_cmp_eq_u32_e64 s2, 4, v65
	s_delay_alu instid0(VALU_DEP_2) | instskip(SKIP_1) | instid1(VALU_DEP_2)
	v_cndmask_b32_e32 v93, v93, v102, vcc_lo
	v_cmp_eq_u32_e32 vcc_lo, 5, v65
	v_cndmask_b32_e64 v93, v93, v97, s2
	v_cmp_eq_u32_e64 s2, 6, v65
	s_delay_alu instid0(VALU_DEP_2) | instskip(SKIP_1) | instid1(VALU_DEP_1)
	v_cndmask_b32_e32 v93, v93, v95, vcc_lo
	v_div_scale_f32 v94, s3, 1.0, v90, 1.0
	s_mov_b32 vcc_lo, s3
	s_delay_alu instid0(VALU_DEP_2) | instskip(NEXT) | instid1(VALU_DEP_2)
	v_cndmask_b32_e64 v82, v93, v82, s2
	v_mul_f32_e32 v96, v94, v92
	s_mov_b32 s2, exec_lo
	s_delay_alu instid0(VALU_DEP_2) | instskip(NEXT) | instid1(VALU_DEP_2)
	v_cndmask_b32_e64 v82, v82, v89, s4
	v_fma_f32 v98, -v91, v96, v94
	s_delay_alu instid0(VALU_DEP_1) | instskip(NEXT) | instid1(VALU_DEP_1)
	v_fmac_f32_e32 v96, v98, v92
	v_fma_f32 v91, -v91, v96, v94
	s_delay_alu instid0(VALU_DEP_1) | instskip(NEXT) | instid1(VALU_DEP_1)
	v_div_fmas_f32 v91, v91, v92, v96
	v_div_fixup_f32 v90, v91, v90, 1.0
	s_delay_alu instid0(VALU_DEP_1) | instskip(NEXT) | instid1(VALU_DEP_1)
	v_mul_f32_e32 v82, v82, v90
	v_mul_f32_e32 v87, v82, v87
	;; [unrolled: 1-line block ×7, first 2 shown]
	v_dual_mul_f32 v86, v82, v83 :: v_dual_and_b32 v91, 0x7f800000, v90
	v_mul_f32_e32 v85, v82, v76
                                        ; implicit-def: $vgpr76
	s_delay_alu instid0(VALU_DEP_2)
	v_cmpx_ne_u32_e32 0x7f800000, v91
	s_xor_b32 s2, exec_lo, s2
; %bb.13:
	v_bfe_u32 v76, v90, 16, 1
	s_delay_alu instid0(VALU_DEP_1)
	v_add3_u32 v76, v90, v76, 0x7fff
                                        ; implicit-def: $vgpr90
; %bb.14:
	s_and_not1_saveexec_b32 s2, s2
; %bb.15:
	v_and_b32_e32 v76, 0xffff, v90
	v_or_b32_e32 v83, 0x10000, v90
	s_delay_alu instid0(VALU_DEP_2) | instskip(NEXT) | instid1(VALU_DEP_2)
	v_cmp_eq_u32_e32 vcc_lo, 0, v76
	v_cndmask_b32_e32 v76, v83, v90, vcc_lo
; %bb.16:
	s_or_b32 exec_lo, exec_lo, s2
	v_and_b32_e32 v83, 0x7f800000, v85
	s_delay_alu instid0(VALU_DEP_1) | instskip(SKIP_1) | instid1(SALU_CYCLE_1)
	v_cmp_ne_u32_e32 vcc_lo, 0x7f800000, v83
                                        ; implicit-def: $vgpr83
	s_and_saveexec_b32 s2, vcc_lo
	s_xor_b32 s2, exec_lo, s2
; %bb.17:
	v_bfe_u32 v83, v85, 16, 1
	s_delay_alu instid0(VALU_DEP_1)
	v_add3_u32 v83, v85, v83, 0x7fff
                                        ; implicit-def: $vgpr85
; %bb.18:
	s_and_not1_saveexec_b32 s2, s2
; %bb.19:
	v_and_b32_e32 v83, 0xffff, v85
	v_or_b32_e32 v90, 0x10000, v85
	s_delay_alu instid0(VALU_DEP_2) | instskip(NEXT) | instid1(VALU_DEP_2)
	v_cmp_eq_u32_e32 vcc_lo, 0, v83
	v_cndmask_b32_e32 v83, v90, v85, vcc_lo
; %bb.20:
	s_or_b32 exec_lo, exec_lo, s2
	v_and_b32_e32 v85, 0x7f800000, v86
	s_delay_alu instid0(VALU_DEP_1) | instskip(SKIP_1) | instid1(SALU_CYCLE_1)
	v_cmp_ne_u32_e32 vcc_lo, 0x7f800000, v85
                                        ; implicit-def: $vgpr85
	s_and_saveexec_b32 s2, vcc_lo
	s_xor_b32 s2, exec_lo, s2
; %bb.21:
	v_bfe_u32 v85, v86, 16, 1
	s_delay_alu instid0(VALU_DEP_1)
	v_add3_u32 v85, v86, v85, 0x7fff
                                        ; implicit-def: $vgpr86
; %bb.22:
	s_and_not1_saveexec_b32 s2, s2
; %bb.23:
	v_and_b32_e32 v85, 0xffff, v86
	v_or_b32_e32 v90, 0x10000, v86
	s_delay_alu instid0(VALU_DEP_2) | instskip(NEXT) | instid1(VALU_DEP_2)
	v_cmp_eq_u32_e32 vcc_lo, 0, v85
	v_cndmask_b32_e32 v85, v90, v86, vcc_lo
; %bb.24:
	s_or_b32 exec_lo, exec_lo, s2
	v_and_b32_e32 v86, 0x7f800000, v89
	s_delay_alu instid0(VALU_DEP_1) | instskip(SKIP_1) | instid1(SALU_CYCLE_1)
	v_cmp_ne_u32_e32 vcc_lo, 0x7f800000, v86
                                        ; implicit-def: $vgpr86
	s_and_saveexec_b32 s2, vcc_lo
	s_xor_b32 s2, exec_lo, s2
; %bb.25:
	v_bfe_u32 v86, v89, 16, 1
	s_delay_alu instid0(VALU_DEP_1)
	v_add3_u32 v86, v89, v86, 0x7fff
                                        ; implicit-def: $vgpr89
; %bb.26:
	s_and_not1_saveexec_b32 s2, s2
; %bb.27:
	v_and_b32_e32 v86, 0xffff, v89
	v_or_b32_e32 v90, 0x10000, v89
	s_delay_alu instid0(VALU_DEP_2) | instskip(NEXT) | instid1(VALU_DEP_2)
	v_cmp_eq_u32_e32 vcc_lo, 0, v86
	v_cndmask_b32_e32 v86, v90, v89, vcc_lo
; %bb.28:
	s_or_b32 exec_lo, exec_lo, s2
	v_and_b32_e32 v89, 0x7f800000, v88
	s_delay_alu instid0(VALU_DEP_1) | instskip(SKIP_1) | instid1(SALU_CYCLE_1)
	v_cmp_ne_u32_e32 vcc_lo, 0x7f800000, v89
                                        ; implicit-def: $vgpr89
	s_and_saveexec_b32 s2, vcc_lo
	s_xor_b32 s2, exec_lo, s2
; %bb.29:
	v_bfe_u32 v89, v88, 16, 1
	s_delay_alu instid0(VALU_DEP_1)
	v_add3_u32 v89, v88, v89, 0x7fff
                                        ; implicit-def: $vgpr88
; %bb.30:
	s_and_not1_saveexec_b32 s2, s2
; %bb.31:
	v_and_b32_e32 v89, 0xffff, v88
	v_or_b32_e32 v90, 0x10000, v88
	s_delay_alu instid0(VALU_DEP_2) | instskip(NEXT) | instid1(VALU_DEP_2)
	v_cmp_eq_u32_e32 vcc_lo, 0, v89
	v_cndmask_b32_e32 v89, v90, v88, vcc_lo
; %bb.32:
	s_or_b32 exec_lo, exec_lo, s2
	v_and_b32_e32 v88, 0x7f800000, v87
	s_delay_alu instid0(VALU_DEP_1) | instskip(SKIP_1) | instid1(SALU_CYCLE_1)
	v_cmp_ne_u32_e32 vcc_lo, 0x7f800000, v88
                                        ; implicit-def: $vgpr88
	s_and_saveexec_b32 s2, vcc_lo
	s_xor_b32 s2, exec_lo, s2
; %bb.33:
	v_bfe_u32 v88, v87, 16, 1
	s_delay_alu instid0(VALU_DEP_1)
	v_add3_u32 v88, v87, v88, 0x7fff
                                        ; implicit-def: $vgpr87
; %bb.34:
	s_and_not1_saveexec_b32 s2, s2
; %bb.35:
	v_and_b32_e32 v88, 0xffff, v87
	v_or_b32_e32 v90, 0x10000, v87
	s_delay_alu instid0(VALU_DEP_2) | instskip(NEXT) | instid1(VALU_DEP_2)
	v_cmp_eq_u32_e32 vcc_lo, 0, v88
	v_cndmask_b32_e32 v88, v90, v87, vcc_lo
; %bb.36:
	s_or_b32 exec_lo, exec_lo, s2
	v_and_b32_e32 v87, 0x7f800000, v84
	s_delay_alu instid0(VALU_DEP_1) | instskip(SKIP_1) | instid1(SALU_CYCLE_1)
	v_cmp_ne_u32_e32 vcc_lo, 0x7f800000, v87
                                        ; implicit-def: $vgpr87
	s_and_saveexec_b32 s2, vcc_lo
	s_xor_b32 s2, exec_lo, s2
; %bb.37:
	v_bfe_u32 v87, v84, 16, 1
	s_delay_alu instid0(VALU_DEP_1)
	v_add3_u32 v87, v84, v87, 0x7fff
                                        ; implicit-def: $vgpr84
; %bb.38:
	s_and_not1_saveexec_b32 s2, s2
; %bb.39:
	v_and_b32_e32 v87, 0xffff, v84
	v_or_b32_e32 v90, 0x10000, v84
	s_delay_alu instid0(VALU_DEP_2) | instskip(NEXT) | instid1(VALU_DEP_2)
	v_cmp_eq_u32_e32 vcc_lo, 0, v87
	v_cndmask_b32_e32 v87, v90, v84, vcc_lo
; %bb.40:
	s_or_b32 exec_lo, exec_lo, s2
	v_and_b32_e32 v84, 0x7f800000, v80
	s_delay_alu instid0(VALU_DEP_1) | instskip(SKIP_1) | instid1(SALU_CYCLE_1)
	v_cmp_ne_u32_e32 vcc_lo, 0x7f800000, v84
                                        ; implicit-def: $vgpr84
	s_and_saveexec_b32 s2, vcc_lo
	s_xor_b32 s2, exec_lo, s2
; %bb.41:
	v_bfe_u32 v84, v80, 16, 1
	s_delay_alu instid0(VALU_DEP_1)
	v_add3_u32 v84, v80, v84, 0x7fff
                                        ; implicit-def: $vgpr80
; %bb.42:
	s_and_not1_saveexec_b32 s2, s2
; %bb.43:
	v_and_b32_e32 v84, 0xffff, v80
	v_or_b32_e32 v90, 0x10000, v80
	s_delay_alu instid0(VALU_DEP_2) | instskip(NEXT) | instid1(VALU_DEP_2)
	v_cmp_eq_u32_e32 vcc_lo, 0, v84
	v_cndmask_b32_e32 v84, v90, v80, vcc_lo
; %bb.44:
	s_or_b32 exec_lo, exec_lo, s2
	s_load_b64 s[34:35], s[0:1], 0x94
	v_lshlrev_b32_e32 v91, 4, v74
	s_delay_alu instid0(VALU_DEP_2)
	v_perm_b32 v90, v84, v87, 0x7060302
	v_dual_mul_f32 v77, v82, v77 :: v_dual_lshlrev_b32 v80, 6, v66
	v_lshlrev_b32_e32 v66, 11, v65
	v_perm_b32 v87, v83, v76, 0x7060302
	v_mul_f32_e32 v83, v82, v70
	v_perm_b32 v89, v88, v89, 0x7060302
	v_perm_b32 v88, v86, v85, 0x7060302
	v_or3_b32 v76, v91, v66, v80
	v_mul_f32_e32 v66, v82, v81
	v_mul_f32_e32 v70, v82, v79
	;; [unrolled: 1-line block ×3, first 2 shown]
	v_dual_mul_f32 v81, v82, v72 :: v_dual_and_b32 v84, 0x7f800000, v83
	v_mul_f32_e32 v79, v82, v71
	v_mul_f32_e32 v72, v82, v69
	s_mov_b32 s2, exec_lo
	ds_store_b128 v76, v[87:90]
                                        ; implicit-def: $vgpr69
	v_cmpx_ne_u32_e32 0x7f800000, v84
	s_xor_b32 s2, exec_lo, s2
; %bb.45:
	v_bfe_u32 v69, v83, 16, 1
	s_delay_alu instid0(VALU_DEP_1)
	v_add3_u32 v69, v83, v69, 0x7fff
                                        ; implicit-def: $vgpr83
; %bb.46:
	s_and_not1_saveexec_b32 s2, s2
; %bb.47:
	v_and_b32_e32 v69, 0xffff, v83
	v_or_b32_e32 v71, 0x10000, v83
	s_delay_alu instid0(VALU_DEP_2) | instskip(NEXT) | instid1(VALU_DEP_2)
	v_cmp_eq_u32_e32 vcc_lo, 0, v69
	v_cndmask_b32_e32 v69, v71, v83, vcc_lo
; %bb.48:
	s_or_b32 exec_lo, exec_lo, s2
	v_and_b32_e32 v71, 0x7f800000, v72
	s_delay_alu instid0(VALU_DEP_1) | instskip(SKIP_1) | instid1(SALU_CYCLE_1)
	v_cmp_ne_u32_e32 vcc_lo, 0x7f800000, v71
                                        ; implicit-def: $vgpr71
	s_and_saveexec_b32 s2, vcc_lo
	s_xor_b32 s2, exec_lo, s2
; %bb.49:
	v_bfe_u32 v71, v72, 16, 1
	s_delay_alu instid0(VALU_DEP_1)
	v_add3_u32 v71, v72, v71, 0x7fff
                                        ; implicit-def: $vgpr72
; %bb.50:
	s_and_not1_saveexec_b32 s2, s2
; %bb.51:
	v_and_b32_e32 v71, 0xffff, v72
	v_or_b32_e32 v82, 0x10000, v72
	s_delay_alu instid0(VALU_DEP_2) | instskip(NEXT) | instid1(VALU_DEP_2)
	v_cmp_eq_u32_e32 vcc_lo, 0, v71
	v_cndmask_b32_e32 v71, v82, v72, vcc_lo
; %bb.52:
	s_or_b32 exec_lo, exec_lo, s2
	v_and_b32_e32 v72, 0x7f800000, v79
	s_delay_alu instid0(VALU_DEP_1) | instskip(SKIP_1) | instid1(SALU_CYCLE_1)
	v_cmp_ne_u32_e32 vcc_lo, 0x7f800000, v72
                                        ; implicit-def: $vgpr72
	s_and_saveexec_b32 s2, vcc_lo
	s_xor_b32 s2, exec_lo, s2
; %bb.53:
	v_bfe_u32 v72, v79, 16, 1
	s_delay_alu instid0(VALU_DEP_1)
	v_add3_u32 v72, v79, v72, 0x7fff
                                        ; implicit-def: $vgpr79
; %bb.54:
	s_and_not1_saveexec_b32 s2, s2
; %bb.55:
	v_and_b32_e32 v72, 0xffff, v79
	v_or_b32_e32 v82, 0x10000, v79
	s_delay_alu instid0(VALU_DEP_2) | instskip(NEXT) | instid1(VALU_DEP_2)
	v_cmp_eq_u32_e32 vcc_lo, 0, v72
	v_cndmask_b32_e32 v72, v82, v79, vcc_lo
; %bb.56:
	s_or_b32 exec_lo, exec_lo, s2
	v_and_b32_e32 v79, 0x7f800000, v81
	s_delay_alu instid0(VALU_DEP_1) | instskip(SKIP_1) | instid1(SALU_CYCLE_1)
	v_cmp_ne_u32_e32 vcc_lo, 0x7f800000, v79
                                        ; implicit-def: $vgpr79
	s_and_saveexec_b32 s2, vcc_lo
	s_xor_b32 s2, exec_lo, s2
; %bb.57:
	v_bfe_u32 v79, v81, 16, 1
	s_delay_alu instid0(VALU_DEP_1)
	v_add3_u32 v79, v81, v79, 0x7fff
                                        ; implicit-def: $vgpr81
; %bb.58:
	s_and_not1_saveexec_b32 s2, s2
; %bb.59:
	v_and_b32_e32 v79, 0xffff, v81
	v_or_b32_e32 v82, 0x10000, v81
	s_delay_alu instid0(VALU_DEP_2) | instskip(NEXT) | instid1(VALU_DEP_2)
	v_cmp_eq_u32_e32 vcc_lo, 0, v79
	v_cndmask_b32_e32 v79, v82, v81, vcc_lo
; %bb.60:
	s_or_b32 exec_lo, exec_lo, s2
	v_and_b32_e32 v81, 0x7f800000, v77
	s_delay_alu instid0(VALU_DEP_1) | instskip(SKIP_1) | instid1(SALU_CYCLE_1)
	v_cmp_ne_u32_e32 vcc_lo, 0x7f800000, v81
                                        ; implicit-def: $vgpr81
	s_and_saveexec_b32 s2, vcc_lo
	s_xor_b32 s2, exec_lo, s2
; %bb.61:
	v_bfe_u32 v81, v77, 16, 1
	s_delay_alu instid0(VALU_DEP_1)
	v_add3_u32 v81, v77, v81, 0x7fff
                                        ; implicit-def: $vgpr77
; %bb.62:
	s_and_not1_saveexec_b32 s2, s2
; %bb.63:
	v_and_b32_e32 v81, 0xffff, v77
	v_or_b32_e32 v82, 0x10000, v77
	s_delay_alu instid0(VALU_DEP_2) | instskip(NEXT) | instid1(VALU_DEP_2)
	v_cmp_eq_u32_e32 vcc_lo, 0, v81
	v_cndmask_b32_e32 v81, v82, v77, vcc_lo
; %bb.64:
	s_or_b32 exec_lo, exec_lo, s2
	v_and_b32_e32 v77, 0x7f800000, v78
	s_delay_alu instid0(VALU_DEP_1) | instskip(SKIP_1) | instid1(SALU_CYCLE_1)
	v_cmp_ne_u32_e32 vcc_lo, 0x7f800000, v77
                                        ; implicit-def: $vgpr77
	s_and_saveexec_b32 s2, vcc_lo
	s_xor_b32 s2, exec_lo, s2
; %bb.65:
	v_bfe_u32 v77, v78, 16, 1
	s_delay_alu instid0(VALU_DEP_1)
	v_add3_u32 v77, v78, v77, 0x7fff
                                        ; implicit-def: $vgpr78
; %bb.66:
	s_and_not1_saveexec_b32 s2, s2
; %bb.67:
	v_and_b32_e32 v77, 0xffff, v78
	v_or_b32_e32 v82, 0x10000, v78
	s_delay_alu instid0(VALU_DEP_2) | instskip(NEXT) | instid1(VALU_DEP_2)
	v_cmp_eq_u32_e32 vcc_lo, 0, v77
	v_cndmask_b32_e32 v77, v82, v78, vcc_lo
; %bb.68:
	s_or_b32 exec_lo, exec_lo, s2
	v_and_b32_e32 v78, 0x7f800000, v70
	s_delay_alu instid0(VALU_DEP_1) | instskip(SKIP_1) | instid1(SALU_CYCLE_1)
	v_cmp_ne_u32_e32 vcc_lo, 0x7f800000, v78
                                        ; implicit-def: $vgpr78
	s_and_saveexec_b32 s2, vcc_lo
	s_xor_b32 s2, exec_lo, s2
; %bb.69:
	v_bfe_u32 v78, v70, 16, 1
	s_delay_alu instid0(VALU_DEP_1)
	v_add3_u32 v78, v70, v78, 0x7fff
                                        ; implicit-def: $vgpr70
; %bb.70:
	s_and_not1_saveexec_b32 s2, s2
; %bb.71:
	v_and_b32_e32 v78, 0xffff, v70
	v_or_b32_e32 v82, 0x10000, v70
	s_delay_alu instid0(VALU_DEP_2) | instskip(NEXT) | instid1(VALU_DEP_2)
	v_cmp_eq_u32_e32 vcc_lo, 0, v78
	v_cndmask_b32_e32 v78, v82, v70, vcc_lo
; %bb.72:
	s_or_b32 exec_lo, exec_lo, s2
	v_and_b32_e32 v70, 0x7f800000, v66
	s_delay_alu instid0(VALU_DEP_1) | instskip(SKIP_1) | instid1(SALU_CYCLE_1)
	v_cmp_ne_u32_e32 vcc_lo, 0x7f800000, v70
                                        ; implicit-def: $vgpr70
	s_and_saveexec_b32 s2, vcc_lo
	s_xor_b32 s2, exec_lo, s2
; %bb.73:
	v_bfe_u32 v70, v66, 16, 1
	s_delay_alu instid0(VALU_DEP_1)
	v_add3_u32 v70, v66, v70, 0x7fff
                                        ; implicit-def: $vgpr66
; %bb.74:
	s_and_not1_saveexec_b32 s2, s2
; %bb.75:
	v_and_b32_e32 v70, 0xffff, v66
	v_or_b32_e32 v82, 0x10000, v66
	s_delay_alu instid0(VALU_DEP_2) | instskip(NEXT) | instid1(VALU_DEP_2)
	v_cmp_eq_u32_e32 vcc_lo, 0, v70
	v_cndmask_b32_e32 v70, v82, v66, vcc_lo
; %bb.76:
	s_or_b32 exec_lo, exec_lo, s2
	s_delay_alu instid0(VALU_DEP_1)
	v_perm_b32 v86, v70, v78, 0x7060302
	v_perm_b32 v85, v77, v81, 0x7060302
	;; [unrolled: 1-line block ×4, first 2 shown]
	v_lshl_or_b32 v82, v65, 11, v80
	ds_store_b128 v76, v[83:86] offset:1024
	s_waitcnt lgkmcnt(0)
	s_barrier
	buffer_gl0_inv
	ds_load_b128 v[69:72], v82
	ds_load_b128 v[83:86], v82 offset:16
	s_waitcnt lgkmcnt(1)
	v_lshrrev_b32_e32 v65, 16, v69
	v_lshlrev_b32_e32 v78, 2, v74
	s_waitcnt lgkmcnt(0)
	v_lshrrev_b32_e32 v91, 16, v83
	v_lshrrev_b32_e32 v66, 16, v70
	;; [unrolled: 1-line block ×4, first 2 shown]
	v_cmp_eq_u32_e32 vcc_lo, 1, v78
	v_lshrrev_b32_e32 v98, 16, v85
	v_lshrrev_b32_e32 v96, 16, v72
	;; [unrolled: 1-line block ×3, first 2 shown]
	v_cndmask_b32_e32 v81, v69, v65, vcc_lo
	v_or_b32_e32 v79, 1, v78
	v_cmp_eq_u32_e64 s3, 2, v78
	v_cndmask_b32_e32 v87, v83, v91, vcc_lo
	v_cmp_eq_u32_e64 s6, 3, v78
	v_cmp_eq_u32_e64 s8, 4, v78
	;; [unrolled: 1-line block ×3, first 2 shown]
	v_cndmask_b32_e64 v81, v81, v70, s3
	v_cmp_eq_u32_e64 s5, 2, v79
	v_cndmask_b32_e64 v87, v87, v84, s3
	v_cmp_eq_u32_e64 s7, 3, v79
	v_cndmask_b32_e64 v88, v69, v65, s2
	v_cndmask_b32_e64 v81, v81, v66, s6
	v_or_b32_e32 v77, 2, v78
	v_cndmask_b32_e64 v87, v87, v97, s6
	v_cndmask_b32_e64 v89, v83, v91, s2
	;; [unrolled: 1-line block ×4, first 2 shown]
	v_cmp_eq_u32_e64 s9, 5, v78
	v_cndmask_b32_e64 v87, v87, v85, s8
	v_cmp_eq_u32_e64 s10, 4, v79
	v_cndmask_b32_e64 v88, v88, v66, s7
	;; [unrolled: 2-line block ×3, first 2 shown]
	v_cndmask_b32_e64 v81, v81, v95, s9
	v_cmp_eq_u32_e64 s11, 6, v78
	v_cndmask_b32_e64 v88, v88, v71, s10
	v_cndmask_b32_e64 v87, v87, v98, s9
	v_cmp_eq_u32_e64 s12, 5, v79
	v_cndmask_b32_e64 v90, v69, v65, s4
	v_cndmask_b32_e64 v89, v89, v97, s7
	;; [unrolled: 1-line block ×3, first 2 shown]
	v_cmp_eq_u32_e64 s13, 7, v78
	v_cndmask_b32_e64 v88, v88, v95, s12
	v_cndmask_b32_e64 v87, v87, v86, s11
	v_cmp_eq_u32_e64 s15, 6, v79
	v_cmp_eq_u32_e64 s16, 2, v77
	v_cndmask_b32_e64 v89, v89, v85, s10
	v_cndmask_b32_e64 v100, v81, v96, s13
	;; [unrolled: 1-line block ×6, first 2 shown]
	v_cmp_eq_u32_e64 s17, 7, v79
	v_cmp_eq_u32_e64 s18, 3, v77
	;; [unrolled: 1-line block ×4, first 2 shown]
	v_cndmask_b32_e64 v87, v87, v84, s16
	v_cndmask_b32_e64 v102, v88, v96, s17
	;; [unrolled: 1-line block ×4, first 2 shown]
	v_or_b32_e32 v81, 3, v78
	v_cndmask_b32_e64 v93, v87, v97, s18
	v_cmp_eq_u32_e64 s23, 6, v77
	v_cndmask_b32_e64 v103, v88, v86, s15
	v_cndmask_b32_e64 v92, v89, v71, s19
	v_cmp_eq_u32_e64 s20, 1, v81
	ds_load_b128 v[87:90], v82 offset:1024
	v_cmp_eq_u32_e64 s22, 2, v81
	v_cmp_eq_u32_e64 s24, 3, v81
	v_cndmask_b32_e64 v104, v92, v95, s21
	v_cndmask_b32_e64 v65, v69, v65, s20
	;; [unrolled: 1-line block ×4, first 2 shown]
	ds_load_b128 v[91:94], v82 offset:1040
	v_cmp_eq_u32_e64 s25, 4, v81
	v_cndmask_b32_e64 v65, v65, v70, s22
	v_cmp_eq_u32_e64 s27, 5, v81
	v_cndmask_b32_e64 v70, v83, v84, s22
	;; [unrolled: 2-line block ×3, first 2 shown]
	v_cndmask_b32_e64 v65, v65, v66, s24
	v_cndmask_b32_e64 v66, v104, v72, s23
	;; [unrolled: 1-line block ×3, first 2 shown]
	v_cmp_eq_u32_e64 s26, 7, v77
	v_cndmask_b32_e64 v69, v69, v86, s23
	v_cndmask_b32_e64 v65, v65, v71, s25
	s_waitcnt lgkmcnt(1)
	v_lshrrev_b32_e32 v84, 16, v87
	v_cndmask_b32_e64 v70, v70, v85, s25
	v_cndmask_b32_e64 v83, v103, v99, s17
	;; [unrolled: 1-line block ×4, first 2 shown]
	v_lshrrev_b32_e32 v95, 16, v88
	v_cndmask_b32_e64 v70, v70, v98, s27
	s_waitcnt lgkmcnt(0)
	v_lshrrev_b32_e32 v85, 16, v91
	v_cndmask_b32_e64 v97, v87, v84, s2
	v_cndmask_b32_e64 v65, v65, v72, s28
	v_cndmask_b32_e64 v69, v69, v99, s26
	v_cndmask_b32_e64 v70, v70, v86, s28
	v_cndmask_b32_e32 v71, v87, v84, vcc_lo
	v_cndmask_b32_e32 v98, v91, v85, vcc_lo
	v_cmp_eq_u32_e32 vcc_lo, 7, v81
	v_cndmask_b32_e64 v72, v97, v88, s5
	v_lshrrev_b32_e32 v97, 16, v92
	v_lshrrev_b32_e32 v103, 16, v90
	v_dual_cndmask_b32 v65, v65, v96 :: v_dual_cndmask_b32 v70, v70, v99
	v_cndmask_b32_e64 v71, v71, v88, s3
	v_cndmask_b32_e64 v86, v98, v92, s3
	;; [unrolled: 1-line block ×3, first 2 shown]
	v_lshrrev_b32_e32 v98, 16, v89
	v_lshrrev_b32_e32 v99, 16, v93
	v_cndmask_b32_e64 v71, v71, v95, s6
	v_cndmask_b32_e64 v86, v86, v97, s6
	;; [unrolled: 1-line block ×3, first 2 shown]
	v_perm_b32 v72, v70, v65, 0x5040100
	v_perm_b32 v70, v83, v102, 0x5040100
	v_cndmask_b32_e64 v71, v71, v89, s8
	v_cndmask_b32_e64 v86, v86, v93, s8
	;; [unrolled: 1-line block ×3, first 2 shown]
	v_lshrrev_b32_e32 v83, 16, v94
	s_delay_alu instid0(VALU_DEP_4) | instskip(NEXT) | instid1(VALU_DEP_4)
	v_cndmask_b32_e64 v71, v71, v98, s9
	v_cndmask_b32_e64 v86, v86, v99, s9
	s_delay_alu instid0(VALU_DEP_4) | instskip(NEXT) | instid1(VALU_DEP_3)
	v_cndmask_b32_e64 v65, v65, v90, s15
	v_cndmask_b32_e64 v96, v71, v90, s11
	v_perm_b32 v71, v69, v66, 0x5040100
	s_delay_alu instid0(VALU_DEP_4)
	v_cndmask_b32_e64 v69, v86, v94, s11
	v_cndmask_b32_e64 v86, v87, v84, s4
	;; [unrolled: 1-line block ×34, first 2 shown]
	v_cndmask_b32_e32 v84, v84, v103, vcc_lo
	v_cndmask_b32_e32 v86, v87, v83, vcc_lo
	v_cndmask_b32_e64 v87, v88, v83, s26
	v_cndmask_b32_e64 v88, v85, v83, s17
	;; [unrolled: 1-line block ×3, first 2 shown]
	v_perm_b32 v69, v101, v100, 0x5040100
	v_perm_b32 v86, v86, v84, 0x5040100
	;; [unrolled: 1-line block ×5, first 2 shown]
	s_lshl_b32 s7, s35, 3
	s_mov_b32 s2, exec_lo
	ds_store_b128 v76, v[69:72]
	ds_store_b128 v76, v[83:86] offset:1024
	v_cmpx_gt_u32_e32 8, v0
	s_cbranch_execz .LBB1909_78
; %bb.77:
	v_or_b32_e32 v65, s29, v0
	s_load_b128 s[8:11], s[0:1], 0x58
	s_delay_alu instid0(VALU_DEP_1) | instskip(NEXT) | instid1(VALU_DEP_1)
	v_mad_u64_u32 v[69:70], null, s7, s30, v[65:66]
	v_mad_u64_u32 v[65:66], null, v69, s34, s[14:15]
	s_delay_alu instid0(VALU_DEP_1) | instskip(NEXT) | instid1(VALU_DEP_1)
	v_ashrrev_i32_e32 v66, 31, v65
	v_lshlrev_b64 v[65:66], 2, v[65:66]
	s_waitcnt lgkmcnt(0)
	s_delay_alu instid0(VALU_DEP_1) | instskip(NEXT) | instid1(VALU_DEP_2)
	v_add_co_u32 v69, vcc_lo, s10, v65
	v_add_co_ci_u32_e32 v70, vcc_lo, s11, v66, vcc_lo
	v_add_co_u32 v65, vcc_lo, s8, v65
	v_add_co_ci_u32_e32 v66, vcc_lo, s9, v66, vcc_lo
	global_store_b32 v[69:70], v67, off
	global_store_b32 v[65:66], v68, off
.LBB1909_78:
	s_or_b32 exec_lo, exec_lo, s2
	s_waitcnt lgkmcnt(0)
	s_waitcnt_vscnt null, 0x0
	s_barrier
	buffer_gl0_inv
	ds_load_b128 v[83:86], v80
	ds_load_b128 v[87:90], v80 offset:16
	ds_load_b128 v[95:98], v80 offset:2064
	;; [unrolled: 1-line block ×3, first 2 shown]
	v_mov_b32_e32 v65, 0
	ds_load_b128 v[103:106], v80 offset:4112
	ds_load_b128 v[99:102], v80 offset:4096
	;; [unrolled: 1-line block ×4, first 2 shown]
	v_mov_b32_e32 v66, v65
	v_mov_b32_e32 v67, v65
	;; [unrolled: 1-line block ×7, first 2 shown]
	s_waitcnt lgkmcnt(6)
	s_delay_alu instid0(VALU_DEP_1)
	v_wmma_f32_16x16x16_bf16 v[65:72], v[49:56], v[83:90], v[65:72]
	ds_load_b128 v[53:56], v80 offset:8208
	ds_load_b128 v[49:52], v80 offset:8192
	s_waitcnt lgkmcnt(6)
	v_wmma_f32_16x16x16_bf16 v[65:72], v[41:48], v[91:98], v[65:72]
	ds_load_b128 v[45:48], v80 offset:10256
	ds_load_b128 v[41:44], v80 offset:10240
	s_waitcnt lgkmcnt(6)
	;; [unrolled: 4-line block ×4, first 2 shown]
	v_wmma_f32_16x16x16_bf16 v[65:72], v[1:8], v[49:56], v[65:72]
	s_waitcnt lgkmcnt(4)
	s_delay_alu instid0(VALU_DEP_1) | instskip(SKIP_1) | instid1(VALU_DEP_1)
	v_wmma_f32_16x16x16_bf16 v[65:72], v[9:16], v[41:48], v[65:72]
	s_waitcnt lgkmcnt(2)
	v_wmma_f32_16x16x16_bf16 v[65:72], v[17:24], v[33:40], v[65:72]
	s_waitcnt lgkmcnt(0)
	s_delay_alu instid0(VALU_DEP_1) | instskip(NEXT) | instid1(VALU_DEP_1)
	v_wmma_f32_16x16x16_bf16 v[65:72], v[57:64], v[25:32], v[65:72]
	v_and_b32_e32 v1, 0x7f800000, v65
	s_delay_alu instid0(VALU_DEP_1) | instskip(SKIP_1) | instid1(SALU_CYCLE_1)
	v_cmp_ne_u32_e32 vcc_lo, 0x7f800000, v1
                                        ; implicit-def: $vgpr1
	s_and_saveexec_b32 s2, vcc_lo
	s_xor_b32 s2, exec_lo, s2
; %bb.79:
	v_bfe_u32 v1, v65, 16, 1
	s_delay_alu instid0(VALU_DEP_1)
	v_add3_u32 v1, v65, v1, 0x7fff
; %bb.80:
	s_and_not1_saveexec_b32 s2, s2
; %bb.81:
	v_and_b32_e32 v1, 0xffff, v65
	v_or_b32_e32 v2, 0x10000, v65
	s_delay_alu instid0(VALU_DEP_2) | instskip(NEXT) | instid1(VALU_DEP_2)
	v_cmp_eq_u32_e32 vcc_lo, 0, v1
	v_cndmask_b32_e32 v1, v2, v65, vcc_lo
; %bb.82:
	s_or_b32 exec_lo, exec_lo, s2
	v_and_b32_e32 v2, 0x7f800000, v66
	s_delay_alu instid0(VALU_DEP_1) | instskip(SKIP_1) | instid1(SALU_CYCLE_1)
	v_cmp_ne_u32_e32 vcc_lo, 0x7f800000, v2
                                        ; implicit-def: $vgpr2
	s_and_saveexec_b32 s2, vcc_lo
	s_xor_b32 s2, exec_lo, s2
; %bb.83:
	v_bfe_u32 v2, v66, 16, 1
	s_delay_alu instid0(VALU_DEP_1)
	v_add3_u32 v2, v66, v2, 0x7fff
; %bb.84:
	s_and_not1_saveexec_b32 s2, s2
; %bb.85:
	v_and_b32_e32 v2, 0xffff, v66
	v_or_b32_e32 v3, 0x10000, v66
	s_delay_alu instid0(VALU_DEP_2) | instskip(NEXT) | instid1(VALU_DEP_2)
	v_cmp_eq_u32_e32 vcc_lo, 0, v2
	v_cndmask_b32_e32 v2, v3, v66, vcc_lo
; %bb.86:
	s_or_b32 exec_lo, exec_lo, s2
	v_and_b32_e32 v3, 0x7f800000, v67
	s_delay_alu instid0(VALU_DEP_1) | instskip(SKIP_1) | instid1(SALU_CYCLE_1)
	v_cmp_ne_u32_e32 vcc_lo, 0x7f800000, v3
                                        ; implicit-def: $vgpr3
	s_and_saveexec_b32 s2, vcc_lo
	s_xor_b32 s2, exec_lo, s2
; %bb.87:
	v_bfe_u32 v3, v67, 16, 1
	s_delay_alu instid0(VALU_DEP_1)
	v_add3_u32 v3, v67, v3, 0x7fff
; %bb.88:
	s_and_not1_saveexec_b32 s2, s2
; %bb.89:
	v_and_b32_e32 v3, 0xffff, v67
	v_or_b32_e32 v4, 0x10000, v67
	s_delay_alu instid0(VALU_DEP_2) | instskip(NEXT) | instid1(VALU_DEP_2)
	v_cmp_eq_u32_e32 vcc_lo, 0, v3
	v_cndmask_b32_e32 v3, v4, v67, vcc_lo
; %bb.90:
	s_or_b32 exec_lo, exec_lo, s2
	v_and_b32_e32 v4, 0x7f800000, v68
	s_delay_alu instid0(VALU_DEP_1) | instskip(SKIP_1) | instid1(SALU_CYCLE_1)
	v_cmp_ne_u32_e32 vcc_lo, 0x7f800000, v4
                                        ; implicit-def: $vgpr4
	s_and_saveexec_b32 s2, vcc_lo
	s_xor_b32 s2, exec_lo, s2
; %bb.91:
	v_bfe_u32 v4, v68, 16, 1
	s_delay_alu instid0(VALU_DEP_1)
	v_add3_u32 v4, v68, v4, 0x7fff
; %bb.92:
	s_and_not1_saveexec_b32 s2, s2
; %bb.93:
	v_and_b32_e32 v4, 0xffff, v68
	v_or_b32_e32 v5, 0x10000, v68
	s_delay_alu instid0(VALU_DEP_2) | instskip(NEXT) | instid1(VALU_DEP_2)
	v_cmp_eq_u32_e32 vcc_lo, 0, v4
	v_cndmask_b32_e32 v4, v5, v68, vcc_lo
; %bb.94:
	s_or_b32 exec_lo, exec_lo, s2
	v_and_b32_e32 v5, 0x7f800000, v69
	s_delay_alu instid0(VALU_DEP_1) | instskip(SKIP_1) | instid1(SALU_CYCLE_1)
	v_cmp_ne_u32_e32 vcc_lo, 0x7f800000, v5
                                        ; implicit-def: $vgpr5
	s_and_saveexec_b32 s2, vcc_lo
	s_xor_b32 s2, exec_lo, s2
; %bb.95:
	v_bfe_u32 v5, v69, 16, 1
	s_delay_alu instid0(VALU_DEP_1)
	v_add3_u32 v5, v69, v5, 0x7fff
; %bb.96:
	s_and_not1_saveexec_b32 s2, s2
; %bb.97:
	v_and_b32_e32 v5, 0xffff, v69
	v_or_b32_e32 v6, 0x10000, v69
	s_delay_alu instid0(VALU_DEP_2) | instskip(NEXT) | instid1(VALU_DEP_2)
	v_cmp_eq_u32_e32 vcc_lo, 0, v5
	v_cndmask_b32_e32 v5, v6, v69, vcc_lo
; %bb.98:
	s_or_b32 exec_lo, exec_lo, s2
	v_and_b32_e32 v6, 0x7f800000, v70
	s_delay_alu instid0(VALU_DEP_1) | instskip(SKIP_1) | instid1(SALU_CYCLE_1)
	v_cmp_ne_u32_e32 vcc_lo, 0x7f800000, v6
                                        ; implicit-def: $vgpr6
	s_and_saveexec_b32 s2, vcc_lo
	s_xor_b32 s2, exec_lo, s2
; %bb.99:
	v_bfe_u32 v6, v70, 16, 1
	s_delay_alu instid0(VALU_DEP_1)
	v_add3_u32 v6, v70, v6, 0x7fff
; %bb.100:
	s_and_not1_saveexec_b32 s2, s2
; %bb.101:
	v_and_b32_e32 v6, 0xffff, v70
	v_or_b32_e32 v7, 0x10000, v70
	s_delay_alu instid0(VALU_DEP_2) | instskip(NEXT) | instid1(VALU_DEP_2)
	v_cmp_eq_u32_e32 vcc_lo, 0, v6
	v_cndmask_b32_e32 v6, v7, v70, vcc_lo
; %bb.102:
	s_or_b32 exec_lo, exec_lo, s2
	v_and_b32_e32 v7, 0x7f800000, v71
	s_delay_alu instid0(VALU_DEP_1) | instskip(SKIP_1) | instid1(SALU_CYCLE_1)
	v_cmp_ne_u32_e32 vcc_lo, 0x7f800000, v7
                                        ; implicit-def: $vgpr7
	s_and_saveexec_b32 s2, vcc_lo
	s_xor_b32 s2, exec_lo, s2
; %bb.103:
	v_bfe_u32 v7, v71, 16, 1
	s_delay_alu instid0(VALU_DEP_1)
	v_add3_u32 v7, v71, v7, 0x7fff
; %bb.104:
	s_and_not1_saveexec_b32 s2, s2
; %bb.105:
	v_and_b32_e32 v7, 0xffff, v71
	v_or_b32_e32 v8, 0x10000, v71
	s_delay_alu instid0(VALU_DEP_2) | instskip(NEXT) | instid1(VALU_DEP_2)
	v_cmp_eq_u32_e32 vcc_lo, 0, v7
	v_cndmask_b32_e32 v7, v8, v71, vcc_lo
; %bb.106:
	s_or_b32 exec_lo, exec_lo, s2
	v_and_b32_e32 v8, 0x7f800000, v72
	s_delay_alu instid0(VALU_DEP_1) | instskip(SKIP_1) | instid1(SALU_CYCLE_1)
	v_cmp_ne_u32_e32 vcc_lo, 0x7f800000, v8
                                        ; implicit-def: $vgpr8
	s_and_saveexec_b32 s2, vcc_lo
	s_xor_b32 s2, exec_lo, s2
; %bb.107:
	v_bfe_u32 v8, v72, 16, 1
	s_delay_alu instid0(VALU_DEP_1)
	v_add3_u32 v8, v72, v8, 0x7fff
                                        ; implicit-def: $vgpr65_vgpr66_vgpr67_vgpr68_vgpr69_vgpr70_vgpr71_vgpr72
; %bb.108:
	s_and_not1_saveexec_b32 s2, s2
; %bb.109:
	v_and_b32_e32 v8, 0xffff, v72
	v_or_b32_e32 v9, 0x10000, v72
	s_delay_alu instid0(VALU_DEP_2) | instskip(NEXT) | instid1(VALU_DEP_2)
	v_cmp_eq_u32_e32 vcc_lo, 0, v8
	v_cndmask_b32_e32 v8, v9, v72, vcc_lo
; %bb.110:
	s_or_b32 exec_lo, exec_lo, s2
	s_delay_alu instid0(VALU_DEP_1)
	v_perm_b32 v7, v8, v7, 0x7060302
	v_perm_b32 v6, v6, v5, 0x7060302
	;; [unrolled: 1-line block ×4, first 2 shown]
	s_barrier
	buffer_gl0_inv
	v_cmp_eq_u32_e32 vcc_lo, 1, v78
	ds_store_b128 v76, v[4:7]
	s_waitcnt lgkmcnt(0)
	s_barrier
	buffer_gl0_inv
	ds_load_b128 v[1:4], v82
	ds_load_b128 v[5:8], v82 offset:16
	v_cmp_eq_u32_e64 s2, 1, v79
	v_cmp_eq_u32_e64 s3, 2, v78
	;; [unrolled: 1-line block ×5, first 2 shown]
	s_waitcnt lgkmcnt(1)
	v_lshrrev_b32_e32 v9, 16, v1
	s_waitcnt lgkmcnt(0)
	v_lshrrev_b32_e32 v13, 16, v5
	v_lshrrev_b32_e32 v10, 16, v2
	;; [unrolled: 1-line block ×4, first 2 shown]
	v_cndmask_b32_e64 v19, v1, v9, s2
	v_cndmask_b32_e32 v18, v5, v13, vcc_lo
	v_cndmask_b32_e64 v20, v5, v13, s2
	v_cndmask_b32_e32 v17, v1, v9, vcc_lo
	v_cmp_eq_u32_e32 vcc_lo, 2, v79
	v_lshrrev_b32_e32 v15, 16, v7
	v_cmp_eq_u32_e64 s2, 1, v77
	v_lshrrev_b32_e32 v12, 16, v4
	v_lshrrev_b32_e32 v16, 16, v8
	v_cndmask_b32_e32 v20, v20, v6, vcc_lo
	v_cndmask_b32_e64 v17, v17, v2, s3
	v_cndmask_b32_e32 v19, v19, v2, vcc_lo
	v_cndmask_b32_e64 v18, v18, v6, s3
	v_cmp_eq_u32_e32 vcc_lo, 4, v78
	v_cmp_eq_u32_e64 s3, 3, v79
	v_cndmask_b32_e64 v17, v17, v10, s4
	v_cndmask_b32_e64 v21, v1, v9, s2
	v_cndmask_b32_e64 v18, v18, v14, s4
	v_cndmask_b32_e64 v22, v5, v13, s2
	v_cndmask_b32_e64 v19, v19, v10, s3
	v_cndmask_b32_e32 v17, v17, v3, vcc_lo
	v_cndmask_b32_e64 v20, v20, v14, s3
	v_cndmask_b32_e32 v18, v18, v7, vcc_lo
	v_cmp_eq_u32_e32 vcc_lo, 4, v79
	v_cmp_eq_u32_e64 s3, 5, v79
	v_cmp_eq_u32_e64 s2, 2, v81
	v_cndmask_b32_e64 v21, v21, v2, s6
	v_cmp_eq_u32_e64 s4, 5, v78
	v_cndmask_b32_e32 v19, v19, v3, vcc_lo
	v_cndmask_b32_e32 v20, v20, v7, vcc_lo
	v_cmp_eq_u32_e32 vcc_lo, 6, v79
	s_delay_alu instid0(VALU_DEP_4) | instskip(NEXT) | instid1(VALU_DEP_4)
	v_cndmask_b32_e64 v17, v17, v11, s4
	v_cndmask_b32_e64 v19, v19, v11, s3
	s_delay_alu instid0(VALU_DEP_4) | instskip(SKIP_1) | instid1(VALU_DEP_3)
	v_cndmask_b32_e64 v20, v20, v15, s3
	v_cmp_eq_u32_e64 s3, 1, v81
	v_cndmask_b32_e32 v19, v19, v4, vcc_lo
	v_cndmask_b32_e64 v18, v18, v15, s4
	s_delay_alu instid0(VALU_DEP_3)
	v_cndmask_b32_e64 v1, v1, v9, s3
	v_cndmask_b32_e64 v5, v5, v13, s3
	v_cmp_eq_u32_e64 s3, 3, v77
	v_cndmask_b32_e64 v13, v22, v6, s6
	v_cmp_eq_u32_e64 s6, 3, v81
	v_cndmask_b32_e64 v1, v1, v2, s2
	v_cndmask_b32_e64 v2, v5, v6, s2
	;; [unrolled: 1-line block ×3, first 2 shown]
	v_cmp_eq_u32_e64 s2, 4, v77
	v_cndmask_b32_e64 v6, v13, v14, s3
	v_cndmask_b32_e64 v1, v1, v10, s6
	v_cmp_eq_u32_e64 s3, 4, v81
	v_cndmask_b32_e64 v2, v2, v14, s6
	v_cndmask_b32_e64 v5, v9, v3, s2
	;; [unrolled: 3-line block ×3, first 2 shown]
	v_cndmask_b32_e64 v2, v2, v7, s3
	v_cmp_eq_u32_e64 s2, 5, v81
	v_cmp_eq_u32_e64 s4, 6, v78
	v_cndmask_b32_e64 v5, v5, v11, s6
	v_cmp_eq_u32_e64 s3, 6, v77
	v_cndmask_b32_e64 v3, v6, v15, s6
	v_cndmask_b32_e64 v1, v1, v11, s2
	v_cmp_eq_u32_e64 s6, 6, v81
	v_cndmask_b32_e64 v2, v2, v15, s2
	v_cndmask_b32_e64 v17, v17, v4, s4
	v_cndmask_b32_e64 v18, v18, v8, s4
	v_cmp_eq_u32_e64 s4, 7, v78
	v_cndmask_b32_e64 v5, v5, v4, s3
	v_cndmask_b32_e64 v3, v3, v8, s3
	v_cndmask_b32_e64 v1, v1, v4, s6
	v_cmp_eq_u32_e64 s2, 7, v81
	v_cndmask_b32_e64 v2, v2, v8, s6
	v_cmp_eq_u32_e64 s3, 7, v77
	v_cndmask_b32_e32 v4, v20, v8, vcc_lo
	v_cndmask_b32_e64 v17, v17, v12, s4
	v_cndmask_b32_e64 v19, v19, v12, s5
	;; [unrolled: 1-line block ×8, first 2 shown]
	s_mov_b32 s2, exec_lo
	v_perm_b32 v4, v2, v1, 0x5040100
	v_perm_b32 v3, v3, v5, 0x5040100
	;; [unrolled: 1-line block ×4, first 2 shown]
	ds_store_b128 v76, v[1:4]
	s_waitcnt lgkmcnt(0)
	s_barrier
	buffer_gl0_inv
	v_cmpx_gt_u32_e32 32, v0
	s_cbranch_execz .LBB1909_2
; %bb.111:
	s_load_b64 s[0:1], s[0:1], 0x68
	s_lshl_b32 s4, s34, 7
	v_or_b32_e32 v2, s29, v74
	s_mul_i32 s2, s4, s30
	v_lshlrev_b32_e32 v1, 10, v0
	s_mul_i32 s2, s2, s7
	v_lshlrev_b32_e32 v3, 4, v75
	v_mul_lo_u32 v0, v2, s4
	s_ashr_i32 s3, s2, 31
	v_lshlrev_b32_e32 v4, 6, v74
	v_and_b32_e32 v1, 0x3800, v1
	v_or_b32_e32 v5, 2, v2
	s_lshl_b64 s[2:3], s[2:3], 1
	v_or_b32_e32 v6, 4, v2
	v_or_b32_e32 v7, 6, v2
	v_or3_b32 v12, v1, v3, v4
	v_ashrrev_i32_e32 v1, 31, v0
	v_mul_lo_u32 v2, v5, s4
	v_mul_lo_u32 v16, v6, s4
	;; [unrolled: 1-line block ×3, first 2 shown]
	s_waitcnt lgkmcnt(0)
	s_add_u32 s2, s0, s2
	s_addc_u32 s3, s1, s3
	s_lshl_b32 s0, s14, 7
	v_lshlrev_b64 v[0:1], 1, v[0:1]
	s_ashr_i32 s1, s0, 31
	v_ashrrev_i32_e32 v3, 31, v2
	s_lshl_b64 s[0:1], s[0:1], 1
	v_ashrrev_i32_e32 v17, 31, v16
	s_add_u32 s0, s2, s0
	s_addc_u32 s1, s3, s1
	v_add_co_u32 v24, s0, s0, v73
	s_delay_alu instid0(VALU_DEP_1) | instskip(SKIP_1) | instid1(VALU_DEP_3)
	v_add_co_ci_u32_e64 v25, null, s1, 0, s0
	v_lshlrev_b64 v[22:23], 1, v[2:3]
	v_add_co_u32 v18, vcc_lo, v24, v0
	s_delay_alu instid0(VALU_DEP_3)
	v_add_co_ci_u32_e32 v19, vcc_lo, v25, v1, vcc_lo
	ds_load_b128 v[0:3], v12
	ds_load_b128 v[4:7], v12 offset:128
	ds_load_b128 v[8:11], v12 offset:256
	;; [unrolled: 1-line block ×3, first 2 shown]
	v_ashrrev_i32_e32 v21, 31, v20
	v_lshlrev_b64 v[16:17], 1, v[16:17]
	v_add_co_u32 v22, vcc_lo, v24, v22
	v_add_co_ci_u32_e32 v23, vcc_lo, v25, v23, vcc_lo
	s_delay_alu instid0(VALU_DEP_4) | instskip(NEXT) | instid1(VALU_DEP_4)
	v_lshlrev_b64 v[20:21], 1, v[20:21]
	v_add_co_u32 v16, vcc_lo, v24, v16
	v_add_co_ci_u32_e32 v17, vcc_lo, v25, v17, vcc_lo
	s_delay_alu instid0(VALU_DEP_3) | instskip(NEXT) | instid1(VALU_DEP_4)
	v_add_co_u32 v20, vcc_lo, v24, v20
	v_add_co_ci_u32_e32 v21, vcc_lo, v25, v21, vcc_lo
	s_waitcnt lgkmcnt(3)
	global_store_b128 v[18:19], v[0:3], off
	s_waitcnt lgkmcnt(2)
	global_store_b128 v[22:23], v[4:7], off
	;; [unrolled: 2-line block ×4, first 2 shown]
	s_nop 0
	s_sendmsg sendmsg(MSG_DEALLOC_VGPRS)
	s_endpgm
	.section	.rodata,"a",@progbits
	.p2align	6, 0x0
	.amdhsa_kernel _Z39paged_attention_ll4mi_QKV_mfma16_kernelI14__hip_bfloat16hLN4vllm18Fp8KVCacheDataTypeE1ES0_Li32ELi128ELi256ELb0ELi8EL8MFMAType0EEvPKT_PKT0_S9_ifPKiSB_SB_iPKfiiiPfSE_PS4_PT2_iSD_SD_
		.amdhsa_group_segment_fixed_size 17472
		.amdhsa_private_segment_fixed_size 0
		.amdhsa_kernarg_size 400
		.amdhsa_user_sgpr_count 13
		.amdhsa_user_sgpr_dispatch_ptr 0
		.amdhsa_user_sgpr_queue_ptr 0
		.amdhsa_user_sgpr_kernarg_segment_ptr 1
		.amdhsa_user_sgpr_dispatch_id 0
		.amdhsa_user_sgpr_private_segment_size 0
		.amdhsa_wavefront_size32 1
		.amdhsa_uses_dynamic_stack 0
		.amdhsa_enable_private_segment 0
		.amdhsa_system_sgpr_workgroup_id_x 1
		.amdhsa_system_sgpr_workgroup_id_y 1
		.amdhsa_system_sgpr_workgroup_id_z 1
		.amdhsa_system_sgpr_workgroup_info 0
		.amdhsa_system_vgpr_workitem_id 0
		.amdhsa_next_free_vgpr 140
		.amdhsa_next_free_sgpr 36
		.amdhsa_reserve_vcc 1
		.amdhsa_float_round_mode_32 0
		.amdhsa_float_round_mode_16_64 0
		.amdhsa_float_denorm_mode_32 3
		.amdhsa_float_denorm_mode_16_64 3
		.amdhsa_dx10_clamp 1
		.amdhsa_ieee_mode 1
		.amdhsa_fp16_overflow 0
		.amdhsa_workgroup_processor_mode 1
		.amdhsa_memory_ordered 1
		.amdhsa_forward_progress 0
		.amdhsa_shared_vgpr_count 0
		.amdhsa_exception_fp_ieee_invalid_op 0
		.amdhsa_exception_fp_denorm_src 0
		.amdhsa_exception_fp_ieee_div_zero 0
		.amdhsa_exception_fp_ieee_overflow 0
		.amdhsa_exception_fp_ieee_underflow 0
		.amdhsa_exception_fp_ieee_inexact 0
		.amdhsa_exception_int_div_zero 0
	.end_amdhsa_kernel
	.section	.text._Z39paged_attention_ll4mi_QKV_mfma16_kernelI14__hip_bfloat16hLN4vllm18Fp8KVCacheDataTypeE1ES0_Li32ELi128ELi256ELb0ELi8EL8MFMAType0EEvPKT_PKT0_S9_ifPKiSB_SB_iPKfiiiPfSE_PS4_PT2_iSD_SD_,"axG",@progbits,_Z39paged_attention_ll4mi_QKV_mfma16_kernelI14__hip_bfloat16hLN4vllm18Fp8KVCacheDataTypeE1ES0_Li32ELi128ELi256ELb0ELi8EL8MFMAType0EEvPKT_PKT0_S9_ifPKiSB_SB_iPKfiiiPfSE_PS4_PT2_iSD_SD_,comdat
.Lfunc_end1909:
	.size	_Z39paged_attention_ll4mi_QKV_mfma16_kernelI14__hip_bfloat16hLN4vllm18Fp8KVCacheDataTypeE1ES0_Li32ELi128ELi256ELb0ELi8EL8MFMAType0EEvPKT_PKT0_S9_ifPKiSB_SB_iPKfiiiPfSE_PS4_PT2_iSD_SD_, .Lfunc_end1909-_Z39paged_attention_ll4mi_QKV_mfma16_kernelI14__hip_bfloat16hLN4vllm18Fp8KVCacheDataTypeE1ES0_Li32ELi128ELi256ELb0ELi8EL8MFMAType0EEvPKT_PKT0_S9_ifPKiSB_SB_iPKfiiiPfSE_PS4_PT2_iSD_SD_
                                        ; -- End function
	.section	.AMDGPU.csdata,"",@progbits
; Kernel info:
; codeLenInByte = 8860
; NumSgprs: 38
; NumVgprs: 140
; ScratchSize: 0
; MemoryBound: 0
; FloatMode: 240
; IeeeMode: 1
; LDSByteSize: 17472 bytes/workgroup (compile time only)
; SGPRBlocks: 4
; VGPRBlocks: 17
; NumSGPRsForWavesPerEU: 38
; NumVGPRsForWavesPerEU: 140
; Occupancy: 10
; WaveLimiterHint : 1
; COMPUTE_PGM_RSRC2:SCRATCH_EN: 0
; COMPUTE_PGM_RSRC2:USER_SGPR: 13
; COMPUTE_PGM_RSRC2:TRAP_HANDLER: 0
; COMPUTE_PGM_RSRC2:TGID_X_EN: 1
; COMPUTE_PGM_RSRC2:TGID_Y_EN: 1
; COMPUTE_PGM_RSRC2:TGID_Z_EN: 1
; COMPUTE_PGM_RSRC2:TIDIG_COMP_CNT: 0
	.section	.text._Z39paged_attention_ll4mi_QKV_mfma16_kernelI14__hip_bfloat16hLN4vllm18Fp8KVCacheDataTypeE1ES0_Li32ELi128ELi256ELb0ELi9EL8MFMAType0EEvPKT_PKT0_S9_ifPKiSB_SB_iPKfiiiPfSE_PS4_PT2_iSD_SD_,"axG",@progbits,_Z39paged_attention_ll4mi_QKV_mfma16_kernelI14__hip_bfloat16hLN4vllm18Fp8KVCacheDataTypeE1ES0_Li32ELi128ELi256ELb0ELi9EL8MFMAType0EEvPKT_PKT0_S9_ifPKiSB_SB_iPKfiiiPfSE_PS4_PT2_iSD_SD_,comdat
	.protected	_Z39paged_attention_ll4mi_QKV_mfma16_kernelI14__hip_bfloat16hLN4vllm18Fp8KVCacheDataTypeE1ES0_Li32ELi128ELi256ELb0ELi9EL8MFMAType0EEvPKT_PKT0_S9_ifPKiSB_SB_iPKfiiiPfSE_PS4_PT2_iSD_SD_ ; -- Begin function _Z39paged_attention_ll4mi_QKV_mfma16_kernelI14__hip_bfloat16hLN4vllm18Fp8KVCacheDataTypeE1ES0_Li32ELi128ELi256ELb0ELi9EL8MFMAType0EEvPKT_PKT0_S9_ifPKiSB_SB_iPKfiiiPfSE_PS4_PT2_iSD_SD_
	.globl	_Z39paged_attention_ll4mi_QKV_mfma16_kernelI14__hip_bfloat16hLN4vllm18Fp8KVCacheDataTypeE1ES0_Li32ELi128ELi256ELb0ELi9EL8MFMAType0EEvPKT_PKT0_S9_ifPKiSB_SB_iPKfiiiPfSE_PS4_PT2_iSD_SD_
	.p2align	8
	.type	_Z39paged_attention_ll4mi_QKV_mfma16_kernelI14__hip_bfloat16hLN4vllm18Fp8KVCacheDataTypeE1ES0_Li32ELi128ELi256ELb0ELi9EL8MFMAType0EEvPKT_PKT0_S9_ifPKiSB_SB_iPKfiiiPfSE_PS4_PT2_iSD_SD_,@function
_Z39paged_attention_ll4mi_QKV_mfma16_kernelI14__hip_bfloat16hLN4vllm18Fp8KVCacheDataTypeE1ES0_Li32ELi128ELi256ELb0ELi9EL8MFMAType0EEvPKT_PKT0_S9_ifPKiSB_SB_iPKfiiiPfSE_PS4_PT2_iSD_SD_: ; @_Z39paged_attention_ll4mi_QKV_mfma16_kernelI14__hip_bfloat16hLN4vllm18Fp8KVCacheDataTypeE1ES0_Li32ELi128ELi256ELb0ELi9EL8MFMAType0EEvPKT_PKT0_S9_ifPKiSB_SB_iPKfiiiPfSE_PS4_PT2_iSD_SD_
; %bb.0:
	s_load_b64 s[4:5], s[0:1], 0x30
	s_mov_b32 s30, s13
	s_waitcnt lgkmcnt(0)
	s_cmp_lg_u64 s[4:5], 0
	s_cselect_b32 s13, -1, 0
	s_ashr_i32 s31, s30, 31
	s_cmp_eq_u64 s[4:5], 0
	s_cbranch_scc1 .LBB1910_3
; %bb.1:
	s_lshl_b64 s[2:3], s[30:31], 2
	s_delay_alu instid0(SALU_CYCLE_1) | instskip(SKIP_4) | instid1(SALU_CYCLE_1)
	s_add_u32 s2, s4, s2
	s_addc_u32 s3, s5, s3
	s_load_b64 s[2:3], s[2:3], 0x0
	s_waitcnt lgkmcnt(0)
	s_sub_i32 s2, s3, s2
	s_cmp_eq_u32 s2, 1
	s_cselect_b32 s2, -1, 0
	s_delay_alu instid0(SALU_CYCLE_1)
	s_and_not1_b32 vcc_lo, exec_lo, s2
	s_cbranch_vccz .LBB1910_4
.LBB1910_2:
	s_nop 0
	s_sendmsg sendmsg(MSG_DEALLOC_VGPRS)
	s_endpgm
.LBB1910_3:
.LBB1910_4:
	s_load_b64 s[2:3], s[0:1], 0x28
	s_lshl_b64 s[6:7], s[30:31], 2
	s_waitcnt lgkmcnt(0)
	s_add_u32 s2, s2, s6
	s_addc_u32 s3, s3, s7
	s_lshl_b32 s12, s14, 8
	s_load_b32 s17, s[2:3], 0x0
	s_waitcnt lgkmcnt(0)
	s_cmp_ge_i32 s12, s17
	s_cbranch_scc1 .LBB1910_2
; %bb.5:
	s_clause 0x1
	s_load_b128 s[8:11], s[0:1], 0x8
	s_load_b64 s[2:3], s[0:1], 0x20
	s_and_not1_b32 vcc_lo, exec_lo, s13
	s_cbranch_vccnz .LBB1910_7
; %bb.6:
	s_add_u32 s4, s4, s6
	s_addc_u32 s5, s5, s7
	s_load_b32 s13, s[4:5], 0x0
	s_branch .LBB1910_8
.LBB1910_7:
	s_mov_b32 s13, s30
.LBB1910_8:
	s_load_b128 s[4:7], s[0:1], 0x48
	v_and_b32_e32 v65, 15, v0
	v_lshrrev_b32_e32 v66, 5, v0
	v_bfe_u32 v74, v0, 4, 1
	v_and_b32_e32 v67, 31, v0
	v_and_b32_e32 v75, 1, v0
	v_lshlrev_b32_e32 v2, 3, v65
	s_mul_i32 s31, s15, 9
	v_lshl_or_b32 v1, v66, 1, v74
	s_waitcnt lgkmcnt(0)
	s_mov_b32 s7, exec_lo
	v_lshlrev_b32_e32 v73, 1, v2
	s_delay_alu instid0(VALU_DEP_2)
	v_cmpx_gt_u32_e32 9, v1
	s_cbranch_execz .LBB1910_10
; %bb.9:
	s_load_b64 s[18:19], s[0:1], 0x0
	v_add_lshl_u32 v2, v1, s31, 7
	s_mul_hi_i32 s21, s13, s4
	s_mul_i32 s20, s13, s4
	v_lshlrev_b32_e32 v6, 10, v65
	s_lshl_b64 s[20:21], s[20:21], 1
	v_ashrrev_i32_e32 v3, 31, v2
	v_lshlrev_b32_e32 v1, 6, v1
	v_lshlrev_b32_e32 v7, 10, v75
	v_and_b32_e32 v6, 0x3800, v6
	s_delay_alu instid0(VALU_DEP_4) | instskip(NEXT) | instid1(VALU_DEP_2)
	v_lshlrev_b64 v[2:3], 1, v[2:3]
	v_or3_b32 v1, v6, v7, v1
	s_waitcnt lgkmcnt(0)
	s_add_u32 s4, s18, s20
	s_addc_u32 s13, s19, s21
	s_delay_alu instid0(VALU_DEP_2) | instskip(SKIP_1) | instid1(VALU_DEP_2)
	v_add_co_u32 v2, vcc_lo, s4, v2
	v_add_co_ci_u32_e32 v3, vcc_lo, s13, v3, vcc_lo
	v_add_co_u32 v2, vcc_lo, v2, v73
	s_delay_alu instid0(VALU_DEP_2)
	v_add_co_ci_u32_e32 v3, vcc_lo, 0, v3, vcc_lo
	global_load_b128 v[2:5], v[2:3], off
	s_waitcnt vmcnt(0)
	ds_store_b128 v1, v[2:5]
.LBB1910_10:
	s_or_b32 exec_lo, exec_lo, s7
	v_and_b32_e32 v1, 0xef, v0
	s_add_i32 s4, s17, 31
	s_clause 0x1
	s_load_b32 s7, s[0:1], 0x38
	s_load_b32 s18, s[0:1], 0x1c
	s_ashr_i32 s13, s4, 31
	v_add_nc_u32_e32 v1, s12, v1
	s_lshr_b32 s13, s13, 27
	s_waitcnt lgkmcnt(0)
	s_add_i32 s4, s4, s13
	s_barrier
	v_ashrrev_i32_e32 v2, 31, v1
	v_or_b32_e32 v3, 16, v1
	s_ashr_i32 s4, s4, 5
	v_cmp_gt_i32_e32 vcc_lo, s17, v1
	s_add_i32 s4, s4, -1
	v_lshrrev_b32_e32 v2, 27, v2
	buffer_gl0_inv
	s_mul_i32 s15, s15, s6
	v_add_nc_u32_e32 v4, v1, v2
	s_mul_i32 s20, s30, s7
	s_delay_alu instid0(SALU_CYCLE_1) | instskip(NEXT) | instid1(VALU_DEP_1)
	s_ashr_i32 s21, s20, 31
	v_ashrrev_i32_e32 v4, 5, v4
	v_add_nc_u32_e32 v2, v3, v2
	s_lshl_b64 s[20:21], s[20:21], 2
	s_delay_alu instid0(SALU_CYCLE_1) | instskip(NEXT) | instid1(VALU_DEP_2)
	s_add_u32 s13, s2, s20
	v_cndmask_b32_e32 v1, s4, v4, vcc_lo
	s_delay_alu instid0(VALU_DEP_2)
	v_ashrrev_i32_e32 v2, 5, v2
	v_cmp_gt_i32_e32 vcc_lo, s17, v3
	s_addc_u32 s16, s3, s21
	s_ashr_i32 s19, s15, 31
	s_add_u32 s2, s8, s15
	s_addc_u32 s3, s9, s19
	v_cndmask_b32_e32 v3, s4, v2, vcc_lo
	v_ashrrev_i32_e32 v2, 31, v1
	s_lshl_b32 s6, s14, 3
	s_delay_alu instid0(SALU_CYCLE_1) | instskip(NEXT) | instid1(VALU_DEP_2)
	s_ashr_i32 s7, s6, 31
	v_ashrrev_i32_e32 v4, 31, v3
	s_delay_alu instid0(VALU_DEP_2) | instskip(SKIP_1) | instid1(SALU_CYCLE_1)
	v_lshlrev_b64 v[1:2], 2, v[1:2]
	s_lshl_b64 s[6:7], s[6:7], 2
	s_add_u32 s6, s13, s6
	s_delay_alu instid0(VALU_DEP_2) | instskip(SKIP_1) | instid1(VALU_DEP_2)
	v_lshlrev_b64 v[3:4], 2, v[3:4]
	s_addc_u32 s7, s16, s7
	v_add_co_u32 v1, vcc_lo, s13, v1
	v_add_co_ci_u32_e32 v2, vcc_lo, s16, v2, vcc_lo
	s_delay_alu instid0(VALU_DEP_3) | instskip(NEXT) | instid1(VALU_DEP_4)
	v_add_co_u32 v3, vcc_lo, s13, v3
	v_add_co_ci_u32_e32 v4, vcc_lo, s16, v4, vcc_lo
	s_clause 0x1
	global_load_b32 v5, v[1:2], off
	global_load_b32 v6, v[3:4], off
	s_or_b32 s8, s12, 32
	s_delay_alu instid0(SALU_CYCLE_1) | instskip(SKIP_2) | instid1(SALU_CYCLE_1)
	s_ashr_i32 s9, s8, 5
	s_cmp_lt_i32 s8, s17
	s_cselect_b32 s8, s9, s4
	s_ashr_i32 s9, s8, 31
	s_delay_alu instid0(SALU_CYCLE_1) | instskip(NEXT) | instid1(SALU_CYCLE_1)
	s_lshl_b64 s[8:9], s[8:9], 2
	s_add_u32 s8, s13, s8
	s_addc_u32 s9, s16, s9
	s_or_b32 s20, s12, 64
	s_delay_alu instid0(SALU_CYCLE_1) | instskip(SKIP_2) | instid1(SALU_CYCLE_1)
	s_ashr_i32 s21, s20, 5
	s_cmp_lt_i32 s20, s17
	s_cselect_b32 s20, s21, s4
	s_ashr_i32 s21, s20, 31
	s_delay_alu instid0(SALU_CYCLE_1) | instskip(NEXT) | instid1(SALU_CYCLE_1)
	s_lshl_b64 s[20:21], s[20:21], 2
	s_add_u32 s20, s13, s20
	s_addc_u32 s21, s16, s21
	;; [unrolled: 10-line block ×5, first 2 shown]
	s_clause 0x5
	s_load_b32 s28, s[6:7], 0x0
	s_load_b32 s8, s[8:9], 0x0
	;; [unrolled: 1-line block ×6, first 2 shown]
	s_mov_b32 s20, 0
	s_delay_alu instid0(SALU_CYCLE_1)
	s_mov_b32 s21, s20
	s_mov_b32 s22, s20
	;; [unrolled: 1-line block ×7, first 2 shown]
	s_delay_alu instid0(SALU_CYCLE_1)
	v_dual_mov_b32 v107, s27 :: v_dual_mov_b32 v106, s26
	v_dual_mov_b32 v104, s24 :: v_dual_mov_b32 v103, s23
	;; [unrolled: 1-line block ×3, first 2 shown]
	v_mov_b32_e32 v100, s20
	s_waitcnt vmcnt(1)
	v_mad_i64_i32 v[1:2], null, v5, s5, s[2:3]
	v_lshlrev_b32_e32 v5, 4, v65
	s_waitcnt vmcnt(0)
	v_mad_i64_i32 v[3:4], null, v6, s5, s[2:3]
	s_or_b32 s2, s12, 0xc0
	s_delay_alu instid0(SALU_CYCLE_1) | instskip(NEXT) | instid1(VALU_DEP_3)
	s_ashr_i32 s3, s2, 5
	v_add_co_u32 v33, vcc_lo, v1, v5
	s_delay_alu instid0(VALU_DEP_4) | instskip(NEXT) | instid1(VALU_DEP_3)
	v_add_co_ci_u32_e32 v34, vcc_lo, 0, v2, vcc_lo
	v_add_co_u32 v35, vcc_lo, v3, v5
	s_delay_alu instid0(VALU_DEP_4)
	v_add_co_ci_u32_e32 v36, vcc_lo, 0, v4, vcc_lo
	s_clause 0xf
	global_load_b128 v[1:4], v[33:34], off
	global_load_b128 v[5:8], v[33:34], off offset:512
	global_load_b128 v[9:12], v[35:36], off offset:256
	;; [unrolled: 1-line block ×15, first 2 shown]
	s_cmp_lt_i32 s2, s17
	v_add_nc_u32_e32 v33, -9, v65
	s_cselect_b32 s2, s3, s4
	v_cmp_gt_u32_e32 vcc_lo, 9, v65
	s_ashr_i32 s3, s2, 31
	v_lshlrev_b32_e32 v34, 5, v65
	s_lshl_b64 s[2:3], s[2:3], 2
	s_delay_alu instid0(SALU_CYCLE_1)
	s_add_u32 s2, s13, s2
	s_addc_u32 s3, s16, s3
	s_or_b32 s6, s12, 0xe0
	v_cndmask_b32_e32 v33, v33, v65, vcc_lo
	s_ashr_i32 s7, s6, 5
	s_cmp_lt_i32 s6, s17
	v_mov_b32_e32 v105, s25
	s_cselect_b32 s6, s7, s4
	v_lshlrev_b32_e32 v72, 6, v33
	s_ashr_i32 s7, s6, 31
	v_lshl_or_b32 v41, v66, 9, v34
	s_lshl_b64 s[6:7], s[6:7], 2
	ds_load_b128 v[33:36], v72
	ds_load_b128 v[37:40], v72 offset:1024
	ds_load_b128 v[108:111], v72 offset:2048
	;; [unrolled: 1-line block ×3, first 2 shown]
	s_load_b32 s4, s[2:3], 0x0
	s_add_u32 s2, s13, s6
	s_addc_u32 s3, s16, s7
	ds_load_b128 v[116:119], v72 offset:4096
	ds_load_b128 v[120:123], v72 offset:5120
	s_load_b32 s2, s[2:3], 0x0
	s_add_u32 s6, s10, s15
	s_addc_u32 s7, s11, s19
	v_add_co_u32 v68, s6, s6, v41
	s_delay_alu instid0(VALU_DEP_1) | instskip(SKIP_1) | instid1(VALU_DEP_1)
	v_add_co_ci_u32_e64 v69, null, s7, 0, s6
	s_waitcnt lgkmcnt(0)
	v_mad_i64_i32 v[41:42], null, s28, s5, v[68:69]
	v_mad_i64_i32 v[70:71], null, s9, s5, v[68:69]
	;; [unrolled: 1-line block ×7, first 2 shown]
	s_clause 0x3
	global_load_b128 v[49:52], v[41:42], off
	global_load_b128 v[53:56], v[41:42], off offset:16
	global_load_b128 v[41:44], v[45:46], off
	global_load_b128 v[45:48], v[45:46], off offset:16
	s_waitcnt vmcnt(18)
	v_wmma_f32_16x16x16_bf16 v[124:131], v[1:8], v[33:40], v[100:107]
	s_waitcnt vmcnt(16)
	v_wmma_f32_16x16x16_bf16 v[100:107], v[9:16], v[33:40], v[100:107]
	s_clause 0x1
	global_load_b128 v[33:36], v[70:71], off
	global_load_b128 v[37:40], v[70:71], off offset:16
	v_mad_i64_i32 v[70:71], null, s2, s5, v[68:69]
	s_waitcnt vmcnt(16)
	v_wmma_f32_16x16x16_bf16 v[124:131], v[17:24], v[108:115], v[124:131]
	s_waitcnt vmcnt(14)
	v_wmma_f32_16x16x16_bf16 v[100:107], v[25:32], v[108:115], v[100:107]
	s_clause 0x7
	global_load_b128 v[25:28], v[132:133], off
	global_load_b128 v[29:32], v[132:133], off offset:16
	global_load_b128 v[1:4], v[134:135], off
	global_load_b128 v[5:8], v[134:135], off offset:16
	;; [unrolled: 2-line block ×4, first 2 shown]
	s_waitcnt vmcnt(20)
	v_wmma_f32_16x16x16_bf16 v[124:131], v[57:64], v[116:123], v[124:131]
	s_clause 0x1
	global_load_b128 v[57:60], v[70:71], off
	global_load_b128 v[61:64], v[70:71], off offset:16
	s_waitcnt vmcnt(20)
	v_wmma_f32_16x16x16_bf16 v[100:107], v[76:83], v[116:123], v[100:107]
	ds_load_b128 v[76:79], v72 offset:6144
	ds_load_b128 v[80:83], v72 offset:7168
	v_and_b32_e32 v68, 0xe0, v0
	v_mbcnt_lo_u32_b32 v69, -1, 0
	s_waitcnt vmcnt(0) lgkmcnt(0)
	s_barrier
	buffer_gl0_inv
	v_add_nc_u32_e32 v68, s12, v68
	v_xor_b32_e32 v70, 16, v69
	s_delay_alu instid0(VALU_DEP_2) | instskip(NEXT) | instid1(VALU_DEP_2)
	v_or_b32_e32 v68, v68, v74
	v_cmp_gt_i32_e32 vcc_lo, 32, v70
	s_delay_alu instid0(VALU_DEP_2)
	v_or_b32_e32 v71, 4, v68
	v_or_b32_e32 v72, 6, v68
	v_cmp_gt_i32_e64 s2, s17, v68
	v_or_b32_e32 v108, 8, v68
	v_wmma_f32_16x16x16_bf16 v[124:131], v[84:91], v[76:83], v[124:131]
	v_cndmask_b32_e32 v69, v69, v70, vcc_lo
	v_or_b32_e32 v70, 2, v68
	v_wmma_f32_16x16x16_bf16 v[100:107], v[92:99], v[76:83], v[100:107]
	v_or_b32_e32 v109, 10, v68
	v_dual_mul_f32 v80, s18, v129 :: v_dual_mul_f32 v81, s18, v128
	v_dual_mul_f32 v92, s18, v125 :: v_dual_mul_f32 v93, s18, v124
	s_delay_alu instid0(VALU_DEP_4)
	v_mul_f32_e32 v96, s18, v105
	v_cmp_gt_i32_e32 vcc_lo, s17, v70
	v_or_b32_e32 v89, 22, v68
	v_dual_mul_f32 v79, s18, v130 :: v_dual_mul_f32 v82, s18, v127
	v_dual_mul_f32 v83, s18, v126 :: v_dual_mul_f32 v94, s18, v107
	v_cndmask_b32_e64 v93, 0xff7fffff, v93, s2
	v_cndmask_b32_e32 v92, 0xff7fffff, v92, vcc_lo
	v_cmp_gt_i32_e64 s3, s17, v71
	v_cmp_gt_i32_e64 s4, s17, v72
	v_or_b32_e32 v84, 12, v68
	v_or_b32_e32 v85, 14, v68
	v_cmp_gt_i32_e64 s5, s17, v108
	v_cndmask_b32_e64 v71, 0xff7fffff, v83, s3
	v_cndmask_b32_e64 v72, 0xff7fffff, v82, s4
	v_cmp_gt_i32_e64 s6, s17, v109
	v_cmp_gt_i32_e64 s12, s17, v89
	v_lshlrev_b32_e32 v89, 2, v69
	v_max3_f32 v82, v93, 0xff7fffff, v92
	v_or_b32_e32 v86, 16, v68
	v_or_b32_e32 v87, 18, v68
	v_mul_f32_e32 v78, s18, v131
	v_cndmask_b32_e64 v81, 0xff7fffff, v81, s5
	v_cndmask_b32_e64 v80, 0xff7fffff, v80, s6
	v_max3_f32 v71, v82, v71, v72
	v_cmp_gt_i32_e64 s7, s17, v84
	v_cmp_gt_i32_e64 s8, s17, v85
	v_or_b32_e32 v88, 20, v68
	v_or_b32_e32 v90, 24, v68
	;; [unrolled: 1-line block ×5, first 2 shown]
	v_dual_mul_f32 v97, s18, v104 :: v_dual_mul_f32 v70, s18, v101
	v_dual_mul_f32 v99, s18, v102 :: v_dual_mul_f32 v68, s18, v100
	v_cndmask_b32_e64 v72, 0xff7fffff, v79, s7
	v_cndmask_b32_e64 v78, 0xff7fffff, v78, s8
	v_max3_f32 v71, v71, v81, v80
	v_cmp_gt_i32_e64 s9, s17, v86
	v_cmp_gt_i32_e64 s10, s17, v87
	v_dual_mul_f32 v95, s18, v106 :: v_dual_mul_f32 v98, s18, v103
	s_delay_alu instid0(VALU_DEP_4) | instskip(NEXT) | instid1(VALU_DEP_4)
	v_max3_f32 v71, v71, v72, v78
	v_cndmask_b32_e64 v68, 0xff7fffff, v68, s9
	s_delay_alu instid0(VALU_DEP_4)
	v_cndmask_b32_e64 v70, 0xff7fffff, v70, s10
	v_cmp_gt_i32_e64 s11, s17, v88
	v_cndmask_b32_e64 v78, 0xff7fffff, v98, s12
	v_cmp_gt_i32_e64 s13, s17, v90
	v_cmp_gt_i32_e64 s15, s17, v91
	v_max3_f32 v68, v71, v68, v70
	v_cndmask_b32_e64 v72, 0xff7fffff, v99, s11
	v_cmp_gt_i32_e64 s16, s17, v76
	v_cndmask_b32_e64 v70, 0xff7fffff, v97, s13
	v_cndmask_b32_e64 v71, 0xff7fffff, v96, s15
	v_cmp_gt_i32_e64 s17, s17, v77
	v_max3_f32 v68, v68, v72, v78
	v_cndmask_b32_e64 v72, 0xff7fffff, v95, s16
	s_delay_alu instid0(VALU_DEP_3) | instskip(NEXT) | instid1(VALU_DEP_3)
	v_cndmask_b32_e64 v76, 0xff7fffff, v94, s17
	v_max3_f32 v68, v68, v70, v71
	s_delay_alu instid0(VALU_DEP_1) | instskip(SKIP_3) | instid1(VALU_DEP_1)
	v_max3_f32 v68, v68, v72, v76
	ds_bpermute_b32 v69, v89, v68
	s_waitcnt lgkmcnt(0)
	v_max_f32_e32 v69, v69, v69
	v_max_f32_e32 v68, v68, v69
	s_delay_alu instid0(VALU_DEP_1) | instskip(NEXT) | instid1(VALU_DEP_1)
	v_fma_f32 v71, s18, v126, -v68
	v_mul_f32_e32 v71, 0x3fb8aa3b, v71
	v_fma_f32 v70, s18, v125, -v68
	v_fma_f32 v69, s18, v124, -v68
	;; [unrolled: 1-line block ×5, first 2 shown]
	s_delay_alu instid0(VALU_DEP_4) | instskip(SKIP_1) | instid1(VALU_DEP_3)
	v_dual_mul_f32 v70, 0x3fb8aa3b, v70 :: v_dual_mul_f32 v69, 0x3fb8aa3b, v69
	v_exp_f32_e32 v71, v71
	v_mul_f32_e32 v72, 0x3fb8aa3b, v72
	v_fma_f32 v81, s18, v105, -v68
	s_delay_alu instid0(VALU_DEP_3)
	v_exp_f32_e32 v70, v70
	v_mul_f32_e32 v77, 0x3fb8aa3b, v76
	v_exp_f32_e32 v69, v69
	v_exp_f32_e32 v72, v72
	v_mul_f32_e32 v81, 0x3fb8aa3b, v81
	v_cndmask_b32_e64 v83, 0, v71, s3
	v_fma_f32 v71, s18, v131, -v68
	s_delay_alu instid0(VALU_DEP_3) | instskip(SKIP_4) | instid1(TRANS32_DEP_3)
	v_exp_f32_e32 v81, v81
	v_cndmask_b32_e32 v76, 0, v70, vcc_lo
	v_exp_f32_e32 v77, v77
	v_cndmask_b32_e64 v80, 0, v69, s2
	v_fma_f32 v69, s18, v129, -v68
	v_cndmask_b32_e64 v85, 0, v72, s4
	v_mul_f32_e32 v71, 0x3fb8aa3b, v71
	v_fma_f32 v72, s18, v100, -v68
	s_delay_alu instid0(VALU_DEP_4) | instskip(SKIP_1) | instid1(VALU_DEP_4)
	v_dual_add_f32 v70, 0, v80 :: v_dual_mul_f32 v69, 0x3fb8aa3b, v69
	v_cmp_gt_u32_e64 s2, 16, v67
	v_exp_f32_e32 v71, v71
	s_delay_alu instid0(TRANS32_DEP_2) | instskip(SKIP_4) | instid1(VALU_DEP_3)
	v_cndmask_b32_e64 v86, 0, v77, s5
	v_fma_f32 v77, s18, v101, -v68
	v_mul_f32_e32 v78, 0x3fb8aa3b, v78
	v_add_f32_e32 v70, v70, v76
	v_exp_f32_e32 v69, v69
	v_mul_f32_e32 v77, 0x3fb8aa3b, v77
	s_delay_alu instid0(VALU_DEP_3) | instskip(NEXT) | instid1(TRANS32_DEP_3)
	v_exp_f32_e32 v78, v78
	v_cndmask_b32_e64 v88, 0, v71, s8
	v_fma_f32 v71, s18, v104, -v68
	s_delay_alu instid0(VALU_DEP_3) | instskip(NEXT) | instid1(TRANS32_DEP_3)
	v_exp_f32_e32 v77, v77
	v_cndmask_b32_e64 v87, 0, v69, s6
	s_delay_alu instid0(VALU_DEP_2)
	v_mul_f32_e32 v71, 0x3fb8aa3b, v71
	s_waitcnt_depctr 0xfff
	v_cndmask_b32_e64 v84, 0, v78, s7
	v_add_f32_e32 v70, v70, v83
	v_fma_f32 v78, s18, v103, -v68
	v_exp_f32_e32 v82, v71
	s_delay_alu instid0(VALU_DEP_2) | instskip(SKIP_1) | instid1(VALU_DEP_3)
	v_add_f32_e32 v70, v70, v85
	v_mul_f32_e32 v72, 0x3fb8aa3b, v72
	v_mul_f32_e32 v78, 0x3fb8aa3b, v78
	s_delay_alu instid0(VALU_DEP_3) | instskip(SKIP_1) | instid1(VALU_DEP_4)
	v_add_f32_e32 v69, v70, v86
	v_fma_f32 v70, s18, v102, -v68
	v_exp_f32_e32 v72, v72
	s_delay_alu instid0(VALU_DEP_3) | instskip(NEXT) | instid1(VALU_DEP_1)
	v_exp_f32_e32 v78, v78
	v_dual_add_f32 v69, v69, v87 :: v_dual_mul_f32 v70, 0x3fb8aa3b, v70
	s_delay_alu instid0(VALU_DEP_1) | instskip(NEXT) | instid1(VALU_DEP_2)
	v_add_f32_e32 v69, v69, v84
	v_exp_f32_e32 v79, v70
	s_delay_alu instid0(TRANS32_DEP_3) | instskip(NEXT) | instid1(VALU_DEP_2)
	v_cndmask_b32_e64 v70, 0, v72, s9
	v_add_f32_e32 v72, v69, v88
	v_cndmask_b32_e64 v69, 0, v77, s10
	v_fma_f32 v77, s18, v106, -v68
	s_waitcnt_depctr 0xfff
	v_cndmask_b32_e64 v71, 0, v79, s11
	v_dual_mul_f32 v77, 0x3fb8aa3b, v77 :: v_dual_add_f32 v72, v72, v70
	s_delay_alu instid0(VALU_DEP_1) | instskip(NEXT) | instid1(VALU_DEP_1)
	v_exp_f32_e32 v90, v77
	v_add_f32_e32 v79, v72, v69
	v_cndmask_b32_e64 v72, 0, v78, s12
	v_cndmask_b32_e64 v77, 0, v82, s13
	s_delay_alu instid0(VALU_DEP_3) | instskip(SKIP_1) | instid1(VALU_DEP_1)
	v_add_f32_e32 v78, v79, v71
	v_fma_f32 v79, s18, v107, -v68
	v_dual_add_f32 v82, v78, v72 :: v_dual_mul_f32 v79, 0x3fb8aa3b, v79
	v_cndmask_b32_e64 v78, 0, v81, s15
	s_delay_alu instid0(VALU_DEP_2) | instskip(NEXT) | instid1(VALU_DEP_3)
	v_add_f32_e32 v81, v82, v77
	v_exp_f32_e32 v82, v79
	v_cndmask_b32_e64 v79, 0, v90, s16
	s_delay_alu instid0(VALU_DEP_2) | instskip(NEXT) | instid1(VALU_DEP_1)
	v_add_f32_e32 v81, v81, v78
	v_add_f32_e32 v90, v81, v79
	s_waitcnt_depctr 0xfff
	v_cndmask_b32_e64 v81, 0, v82, s17
	s_delay_alu instid0(VALU_DEP_1)
	v_add_f32_e32 v82, v90, v81
	ds_bpermute_b32 v89, v89, v82
	s_and_saveexec_b32 s3, s2
	s_cbranch_execz .LBB1910_12
; %bb.11:
	v_mul_u32_u24_e32 v67, 0x44, v66
	s_delay_alu instid0(VALU_DEP_1) | instskip(SKIP_1) | instid1(VALU_DEP_1)
	v_lshl_add_u32 v67, v65, 2, v67
	s_waitcnt lgkmcnt(0)
	v_dual_add_f32 v82, v82, v89 :: v_dual_add_nc_u32 v67, 0x4000, v67
	ds_store_2addr_b32 v67, v68, v82 offset1:136
.LBB1910_12:
	s_or_b32 exec_lo, exec_lo, s3
	v_lshlrev_b32_e32 v67, 2, v65
	s_waitcnt lgkmcnt(0)
	s_barrier
	buffer_gl0_inv
	v_cmp_eq_u32_e32 vcc_lo, 1, v66
	v_add_nc_u32_e32 v82, 0x4000, v67
	v_cmp_eq_u32_e64 s3, 2, v66
	v_cmp_eq_u32_e64 s5, 7, v66
	ds_load_2addr_b32 v[89:90], v82 offset1:17
	ds_load_2addr_b32 v[91:92], v82 offset0:34 offset1:51
	ds_load_2addr_b32 v[93:94], v82 offset0:68 offset1:85
	;; [unrolled: 1-line block ×4, first 2 shown]
	s_waitcnt lgkmcnt(4)
	v_max3_f32 v67, v89, 0xff7fffff, v90
	s_waitcnt lgkmcnt(3)
	s_delay_alu instid0(VALU_DEP_1) | instskip(SKIP_1) | instid1(VALU_DEP_1)
	v_max3_f32 v67, v67, v91, v92
	s_waitcnt lgkmcnt(2)
	v_max3_f32 v67, v67, v93, v94
	s_waitcnt lgkmcnt(1)
	s_delay_alu instid0(VALU_DEP_1) | instskip(NEXT) | instid1(VALU_DEP_1)
	v_max3_f32 v67, v67, v95, v96
	v_sub_f32_e32 v93, v93, v67
	s_delay_alu instid0(VALU_DEP_1) | instskip(NEXT) | instid1(VALU_DEP_1)
	v_dual_sub_f32 v68, v89, v67 :: v_dual_mul_f32 v103, 0x3fb8aa3b, v93
	v_mul_f32_e32 v68, 0x3fb8aa3b, v68
	s_delay_alu instid0(VALU_DEP_1)
	v_exp_f32_e32 v100, v68
	v_sub_f32_e32 v68, v92, v67
	v_sub_f32_e32 v99, v90, v67
	ds_load_2addr_b32 v[89:90], v82 offset0:170 offset1:187
	v_dual_mul_f32 v102, 0x3fb8aa3b, v68 :: v_dual_mul_f32 v99, 0x3fb8aa3b, v99
	s_waitcnt lgkmcnt(1)
	v_fma_f32 v68, v100, v97, 0
	s_delay_alu instid0(VALU_DEP_2) | instskip(NEXT) | instid1(VALU_DEP_2)
	v_exp_f32_e32 v102, v102
	v_exp_f32_e32 v99, v99
	s_waitcnt_depctr 0xfff
	v_fmac_f32_e32 v68, v99, v98
	v_sub_f32_e32 v91, v91, v67
	s_delay_alu instid0(VALU_DEP_1)
	v_mul_f32_e32 v101, 0x3fb8aa3b, v91
	ds_load_2addr_b32 v[91:92], v82 offset0:204 offset1:221
	v_sub_f32_e32 v97, v94, v67
	ds_load_2addr_b32 v[93:94], v82 offset0:238 offset1:255
	s_waitcnt lgkmcnt(0)
	v_exp_f32_e32 v101, v101
	s_barrier
	buffer_gl0_inv
	v_dual_fmac_f32 v68, v101, v89 :: v_dual_sub_f32 v89, v96, v67
	v_dual_sub_f32 v82, v95, v67 :: v_dual_mul_f32 v95, 0x3fb8aa3b, v97
	v_exp_f32_e32 v97, v103
	s_delay_alu instid0(VALU_DEP_2) | instskip(NEXT) | instid1(VALU_DEP_2)
	v_dual_fmac_f32 v68, v102, v90 :: v_dual_mul_f32 v89, 0x3fb8aa3b, v89
	v_mul_f32_e32 v82, 0x3fb8aa3b, v82
	s_delay_alu instid0(VALU_DEP_3) | instskip(NEXT) | instid1(VALU_DEP_2)
	v_exp_f32_e32 v95, v95
	v_exp_f32_e32 v89, v89
	s_delay_alu instid0(VALU_DEP_1)
	v_exp_f32_e32 v82, v82
	v_fmac_f32_e32 v68, v97, v91
	s_delay_alu instid0(TRANS32_DEP_3) | instid1(VALU_DEP_1)
	v_fmac_f32_e32 v68, v95, v92
	s_waitcnt_depctr 0xfff
	v_fmac_f32_e32 v68, v82, v93
	s_delay_alu instid0(VALU_DEP_1) | instskip(NEXT) | instid1(VALU_DEP_1)
	v_fmac_f32_e32 v68, v89, v94
	v_add_f32_e32 v90, 0x358637bd, v68
	s_delay_alu instid0(VALU_DEP_1) | instskip(NEXT) | instid1(VALU_DEP_1)
	v_div_scale_f32 v91, null, v90, v90, 1.0
	v_rcp_f32_e32 v92, v91
	s_waitcnt_depctr 0xfff
	v_fma_f32 v93, -v91, v92, 1.0
	s_delay_alu instid0(VALU_DEP_1) | instskip(SKIP_1) | instid1(VALU_DEP_2)
	v_dual_fmac_f32 v92, v93, v92 :: v_dual_cndmask_b32 v93, v100, v99
	v_cmp_eq_u32_e32 vcc_lo, 3, v66
	v_cndmask_b32_e64 v93, v93, v101, s3
	v_cmp_eq_u32_e64 s3, 4, v66
	s_delay_alu instid0(VALU_DEP_2) | instskip(SKIP_1) | instid1(VALU_DEP_2)
	v_cndmask_b32_e32 v93, v93, v102, vcc_lo
	v_cmp_eq_u32_e32 vcc_lo, 5, v66
	v_cndmask_b32_e64 v93, v93, v97, s3
	v_cmp_eq_u32_e64 s3, 6, v66
	s_delay_alu instid0(VALU_DEP_2) | instskip(SKIP_1) | instid1(VALU_DEP_1)
	v_cndmask_b32_e32 v93, v93, v95, vcc_lo
	v_div_scale_f32 v94, s4, 1.0, v90, 1.0
	s_mov_b32 vcc_lo, s4
	s_delay_alu instid0(VALU_DEP_2) | instskip(NEXT) | instid1(VALU_DEP_2)
	v_cndmask_b32_e64 v82, v93, v82, s3
	v_mul_f32_e32 v96, v94, v92
	s_mov_b32 s3, exec_lo
	s_delay_alu instid0(VALU_DEP_2) | instskip(NEXT) | instid1(VALU_DEP_2)
	v_cndmask_b32_e64 v82, v82, v89, s5
	v_fma_f32 v98, -v91, v96, v94
	s_delay_alu instid0(VALU_DEP_1) | instskip(NEXT) | instid1(VALU_DEP_1)
	v_fmac_f32_e32 v96, v98, v92
	v_fma_f32 v91, -v91, v96, v94
	s_delay_alu instid0(VALU_DEP_1) | instskip(NEXT) | instid1(VALU_DEP_1)
	v_div_fmas_f32 v91, v91, v92, v96
	v_div_fixup_f32 v90, v91, v90, 1.0
	s_delay_alu instid0(VALU_DEP_1) | instskip(NEXT) | instid1(VALU_DEP_1)
	v_mul_f32_e32 v82, v82, v90
	v_mul_f32_e32 v87, v82, v87
	;; [unrolled: 1-line block ×7, first 2 shown]
	v_dual_mul_f32 v86, v82, v83 :: v_dual_and_b32 v91, 0x7f800000, v90
	v_mul_f32_e32 v85, v82, v76
                                        ; implicit-def: $vgpr76
	s_delay_alu instid0(VALU_DEP_2)
	v_cmpx_ne_u32_e32 0x7f800000, v91
	s_xor_b32 s3, exec_lo, s3
; %bb.13:
	v_bfe_u32 v76, v90, 16, 1
	s_delay_alu instid0(VALU_DEP_1)
	v_add3_u32 v76, v90, v76, 0x7fff
                                        ; implicit-def: $vgpr90
; %bb.14:
	s_and_not1_saveexec_b32 s3, s3
; %bb.15:
	v_and_b32_e32 v76, 0xffff, v90
	v_or_b32_e32 v83, 0x10000, v90
	s_delay_alu instid0(VALU_DEP_2) | instskip(NEXT) | instid1(VALU_DEP_2)
	v_cmp_eq_u32_e32 vcc_lo, 0, v76
	v_cndmask_b32_e32 v76, v83, v90, vcc_lo
; %bb.16:
	s_or_b32 exec_lo, exec_lo, s3
	v_and_b32_e32 v83, 0x7f800000, v85
	s_delay_alu instid0(VALU_DEP_1) | instskip(SKIP_1) | instid1(SALU_CYCLE_1)
	v_cmp_ne_u32_e32 vcc_lo, 0x7f800000, v83
                                        ; implicit-def: $vgpr83
	s_and_saveexec_b32 s3, vcc_lo
	s_xor_b32 s3, exec_lo, s3
; %bb.17:
	v_bfe_u32 v83, v85, 16, 1
	s_delay_alu instid0(VALU_DEP_1)
	v_add3_u32 v83, v85, v83, 0x7fff
                                        ; implicit-def: $vgpr85
; %bb.18:
	s_and_not1_saveexec_b32 s3, s3
; %bb.19:
	v_and_b32_e32 v83, 0xffff, v85
	v_or_b32_e32 v90, 0x10000, v85
	s_delay_alu instid0(VALU_DEP_2) | instskip(NEXT) | instid1(VALU_DEP_2)
	v_cmp_eq_u32_e32 vcc_lo, 0, v83
	v_cndmask_b32_e32 v83, v90, v85, vcc_lo
; %bb.20:
	s_or_b32 exec_lo, exec_lo, s3
	v_and_b32_e32 v85, 0x7f800000, v86
	s_delay_alu instid0(VALU_DEP_1) | instskip(SKIP_1) | instid1(SALU_CYCLE_1)
	v_cmp_ne_u32_e32 vcc_lo, 0x7f800000, v85
                                        ; implicit-def: $vgpr85
	s_and_saveexec_b32 s3, vcc_lo
	s_xor_b32 s3, exec_lo, s3
; %bb.21:
	v_bfe_u32 v85, v86, 16, 1
	s_delay_alu instid0(VALU_DEP_1)
	v_add3_u32 v85, v86, v85, 0x7fff
                                        ; implicit-def: $vgpr86
; %bb.22:
	s_and_not1_saveexec_b32 s3, s3
; %bb.23:
	v_and_b32_e32 v85, 0xffff, v86
	v_or_b32_e32 v90, 0x10000, v86
	s_delay_alu instid0(VALU_DEP_2) | instskip(NEXT) | instid1(VALU_DEP_2)
	v_cmp_eq_u32_e32 vcc_lo, 0, v85
	v_cndmask_b32_e32 v85, v90, v86, vcc_lo
; %bb.24:
	s_or_b32 exec_lo, exec_lo, s3
	v_and_b32_e32 v86, 0x7f800000, v89
	s_delay_alu instid0(VALU_DEP_1) | instskip(SKIP_1) | instid1(SALU_CYCLE_1)
	v_cmp_ne_u32_e32 vcc_lo, 0x7f800000, v86
                                        ; implicit-def: $vgpr86
	s_and_saveexec_b32 s3, vcc_lo
	s_xor_b32 s3, exec_lo, s3
; %bb.25:
	v_bfe_u32 v86, v89, 16, 1
	s_delay_alu instid0(VALU_DEP_1)
	v_add3_u32 v86, v89, v86, 0x7fff
                                        ; implicit-def: $vgpr89
; %bb.26:
	s_and_not1_saveexec_b32 s3, s3
; %bb.27:
	v_and_b32_e32 v86, 0xffff, v89
	v_or_b32_e32 v90, 0x10000, v89
	s_delay_alu instid0(VALU_DEP_2) | instskip(NEXT) | instid1(VALU_DEP_2)
	v_cmp_eq_u32_e32 vcc_lo, 0, v86
	v_cndmask_b32_e32 v86, v90, v89, vcc_lo
; %bb.28:
	s_or_b32 exec_lo, exec_lo, s3
	v_and_b32_e32 v89, 0x7f800000, v88
	s_delay_alu instid0(VALU_DEP_1) | instskip(SKIP_1) | instid1(SALU_CYCLE_1)
	v_cmp_ne_u32_e32 vcc_lo, 0x7f800000, v89
                                        ; implicit-def: $vgpr89
	s_and_saveexec_b32 s3, vcc_lo
	s_xor_b32 s3, exec_lo, s3
; %bb.29:
	v_bfe_u32 v89, v88, 16, 1
	s_delay_alu instid0(VALU_DEP_1)
	v_add3_u32 v89, v88, v89, 0x7fff
                                        ; implicit-def: $vgpr88
; %bb.30:
	s_and_not1_saveexec_b32 s3, s3
; %bb.31:
	v_and_b32_e32 v89, 0xffff, v88
	v_or_b32_e32 v90, 0x10000, v88
	s_delay_alu instid0(VALU_DEP_2) | instskip(NEXT) | instid1(VALU_DEP_2)
	v_cmp_eq_u32_e32 vcc_lo, 0, v89
	v_cndmask_b32_e32 v89, v90, v88, vcc_lo
; %bb.32:
	s_or_b32 exec_lo, exec_lo, s3
	v_and_b32_e32 v88, 0x7f800000, v87
	s_delay_alu instid0(VALU_DEP_1) | instskip(SKIP_1) | instid1(SALU_CYCLE_1)
	v_cmp_ne_u32_e32 vcc_lo, 0x7f800000, v88
                                        ; implicit-def: $vgpr88
	s_and_saveexec_b32 s3, vcc_lo
	s_xor_b32 s3, exec_lo, s3
; %bb.33:
	v_bfe_u32 v88, v87, 16, 1
	s_delay_alu instid0(VALU_DEP_1)
	v_add3_u32 v88, v87, v88, 0x7fff
                                        ; implicit-def: $vgpr87
; %bb.34:
	s_and_not1_saveexec_b32 s3, s3
; %bb.35:
	v_and_b32_e32 v88, 0xffff, v87
	v_or_b32_e32 v90, 0x10000, v87
	s_delay_alu instid0(VALU_DEP_2) | instskip(NEXT) | instid1(VALU_DEP_2)
	v_cmp_eq_u32_e32 vcc_lo, 0, v88
	v_cndmask_b32_e32 v88, v90, v87, vcc_lo
; %bb.36:
	s_or_b32 exec_lo, exec_lo, s3
	v_and_b32_e32 v87, 0x7f800000, v84
	s_delay_alu instid0(VALU_DEP_1) | instskip(SKIP_1) | instid1(SALU_CYCLE_1)
	v_cmp_ne_u32_e32 vcc_lo, 0x7f800000, v87
                                        ; implicit-def: $vgpr87
	s_and_saveexec_b32 s3, vcc_lo
	s_xor_b32 s3, exec_lo, s3
; %bb.37:
	v_bfe_u32 v87, v84, 16, 1
	s_delay_alu instid0(VALU_DEP_1)
	v_add3_u32 v87, v84, v87, 0x7fff
                                        ; implicit-def: $vgpr84
; %bb.38:
	s_and_not1_saveexec_b32 s3, s3
; %bb.39:
	v_and_b32_e32 v87, 0xffff, v84
	v_or_b32_e32 v90, 0x10000, v84
	s_delay_alu instid0(VALU_DEP_2) | instskip(NEXT) | instid1(VALU_DEP_2)
	v_cmp_eq_u32_e32 vcc_lo, 0, v87
	v_cndmask_b32_e32 v87, v90, v84, vcc_lo
; %bb.40:
	s_or_b32 exec_lo, exec_lo, s3
	v_and_b32_e32 v84, 0x7f800000, v80
	s_delay_alu instid0(VALU_DEP_1) | instskip(SKIP_1) | instid1(SALU_CYCLE_1)
	v_cmp_ne_u32_e32 vcc_lo, 0x7f800000, v84
                                        ; implicit-def: $vgpr84
	s_and_saveexec_b32 s3, vcc_lo
	s_xor_b32 s3, exec_lo, s3
; %bb.41:
	v_bfe_u32 v84, v80, 16, 1
	s_delay_alu instid0(VALU_DEP_1)
	v_add3_u32 v84, v80, v84, 0x7fff
                                        ; implicit-def: $vgpr80
; %bb.42:
	s_and_not1_saveexec_b32 s3, s3
; %bb.43:
	v_and_b32_e32 v84, 0xffff, v80
	v_or_b32_e32 v90, 0x10000, v80
	s_delay_alu instid0(VALU_DEP_2) | instskip(NEXT) | instid1(VALU_DEP_2)
	v_cmp_eq_u32_e32 vcc_lo, 0, v84
	v_cndmask_b32_e32 v84, v90, v80, vcc_lo
; %bb.44:
	s_or_b32 exec_lo, exec_lo, s3
	s_load_b64 s[34:35], s[0:1], 0x94
	v_lshlrev_b32_e32 v91, 4, v74
	s_delay_alu instid0(VALU_DEP_2)
	v_perm_b32 v90, v84, v87, 0x7060302
	v_dual_mul_f32 v79, v82, v79 :: v_dual_lshlrev_b32 v80, 6, v65
	v_dual_mul_f32 v77, v82, v77 :: v_dual_lshlrev_b32 v92, 11, v66
	v_mul_f32_e32 v84, v82, v70
	v_perm_b32 v89, v88, v89, 0x7060302
	v_perm_b32 v88, v86, v85, 0x7060302
	;; [unrolled: 1-line block ×3, first 2 shown]
	v_mul_f32_e32 v70, v82, v81
	v_or3_b32 v76, v91, v92, v80
	v_dual_mul_f32 v78, v82, v78 :: v_dual_and_b32 v85, 0x7f800000, v84
	v_mul_f32_e32 v83, v82, v72
	v_mul_f32_e32 v81, v82, v71
	;; [unrolled: 1-line block ×3, first 2 shown]
	s_mov_b32 s3, exec_lo
	ds_store_b128 v76, v[87:90]
                                        ; implicit-def: $vgpr69
	v_cmpx_ne_u32_e32 0x7f800000, v85
	s_xor_b32 s3, exec_lo, s3
; %bb.45:
	v_bfe_u32 v69, v84, 16, 1
	s_delay_alu instid0(VALU_DEP_1)
	v_add3_u32 v69, v84, v69, 0x7fff
                                        ; implicit-def: $vgpr84
; %bb.46:
	s_and_not1_saveexec_b32 s3, s3
; %bb.47:
	v_and_b32_e32 v69, 0xffff, v84
	v_or_b32_e32 v71, 0x10000, v84
	s_delay_alu instid0(VALU_DEP_2) | instskip(NEXT) | instid1(VALU_DEP_2)
	v_cmp_eq_u32_e32 vcc_lo, 0, v69
	v_cndmask_b32_e32 v69, v71, v84, vcc_lo
; %bb.48:
	s_or_b32 exec_lo, exec_lo, s3
	v_and_b32_e32 v71, 0x7f800000, v72
	s_delay_alu instid0(VALU_DEP_1) | instskip(SKIP_1) | instid1(SALU_CYCLE_1)
	v_cmp_ne_u32_e32 vcc_lo, 0x7f800000, v71
                                        ; implicit-def: $vgpr71
	s_and_saveexec_b32 s3, vcc_lo
	s_xor_b32 s3, exec_lo, s3
; %bb.49:
	v_bfe_u32 v71, v72, 16, 1
	s_delay_alu instid0(VALU_DEP_1)
	v_add3_u32 v71, v72, v71, 0x7fff
                                        ; implicit-def: $vgpr72
; %bb.50:
	s_and_not1_saveexec_b32 s3, s3
; %bb.51:
	v_and_b32_e32 v71, 0xffff, v72
	v_or_b32_e32 v82, 0x10000, v72
	s_delay_alu instid0(VALU_DEP_2) | instskip(NEXT) | instid1(VALU_DEP_2)
	v_cmp_eq_u32_e32 vcc_lo, 0, v71
	v_cndmask_b32_e32 v71, v82, v72, vcc_lo
; %bb.52:
	s_or_b32 exec_lo, exec_lo, s3
	v_and_b32_e32 v72, 0x7f800000, v81
	s_delay_alu instid0(VALU_DEP_1) | instskip(SKIP_1) | instid1(SALU_CYCLE_1)
	v_cmp_ne_u32_e32 vcc_lo, 0x7f800000, v72
                                        ; implicit-def: $vgpr72
	s_and_saveexec_b32 s3, vcc_lo
	s_xor_b32 s3, exec_lo, s3
; %bb.53:
	v_bfe_u32 v72, v81, 16, 1
	s_delay_alu instid0(VALU_DEP_1)
	v_add3_u32 v72, v81, v72, 0x7fff
                                        ; implicit-def: $vgpr81
; %bb.54:
	s_and_not1_saveexec_b32 s3, s3
; %bb.55:
	v_and_b32_e32 v72, 0xffff, v81
	v_or_b32_e32 v82, 0x10000, v81
	s_delay_alu instid0(VALU_DEP_2) | instskip(NEXT) | instid1(VALU_DEP_2)
	v_cmp_eq_u32_e32 vcc_lo, 0, v72
	v_cndmask_b32_e32 v72, v82, v81, vcc_lo
; %bb.56:
	s_or_b32 exec_lo, exec_lo, s3
	v_and_b32_e32 v81, 0x7f800000, v83
	s_delay_alu instid0(VALU_DEP_1) | instskip(SKIP_1) | instid1(SALU_CYCLE_1)
	v_cmp_ne_u32_e32 vcc_lo, 0x7f800000, v81
                                        ; implicit-def: $vgpr81
	s_and_saveexec_b32 s3, vcc_lo
	s_xor_b32 s3, exec_lo, s3
; %bb.57:
	v_bfe_u32 v81, v83, 16, 1
	s_delay_alu instid0(VALU_DEP_1)
	v_add3_u32 v81, v83, v81, 0x7fff
                                        ; implicit-def: $vgpr83
; %bb.58:
	s_and_not1_saveexec_b32 s3, s3
; %bb.59:
	v_and_b32_e32 v81, 0xffff, v83
	v_or_b32_e32 v82, 0x10000, v83
	s_delay_alu instid0(VALU_DEP_2) | instskip(NEXT) | instid1(VALU_DEP_2)
	v_cmp_eq_u32_e32 vcc_lo, 0, v81
	v_cndmask_b32_e32 v81, v82, v83, vcc_lo
; %bb.60:
	s_or_b32 exec_lo, exec_lo, s3
	v_and_b32_e32 v82, 0x7f800000, v77
	s_delay_alu instid0(VALU_DEP_1) | instskip(SKIP_1) | instid1(SALU_CYCLE_1)
	v_cmp_ne_u32_e32 vcc_lo, 0x7f800000, v82
                                        ; implicit-def: $vgpr82
	s_and_saveexec_b32 s3, vcc_lo
	s_xor_b32 s3, exec_lo, s3
; %bb.61:
	v_bfe_u32 v82, v77, 16, 1
	s_delay_alu instid0(VALU_DEP_1)
	v_add3_u32 v82, v77, v82, 0x7fff
                                        ; implicit-def: $vgpr77
; %bb.62:
	s_and_not1_saveexec_b32 s3, s3
; %bb.63:
	v_and_b32_e32 v82, 0xffff, v77
	v_or_b32_e32 v83, 0x10000, v77
	s_delay_alu instid0(VALU_DEP_2) | instskip(NEXT) | instid1(VALU_DEP_2)
	v_cmp_eq_u32_e32 vcc_lo, 0, v82
	v_cndmask_b32_e32 v82, v83, v77, vcc_lo
; %bb.64:
	s_or_b32 exec_lo, exec_lo, s3
	v_and_b32_e32 v77, 0x7f800000, v78
	s_delay_alu instid0(VALU_DEP_1) | instskip(SKIP_1) | instid1(SALU_CYCLE_1)
	v_cmp_ne_u32_e32 vcc_lo, 0x7f800000, v77
                                        ; implicit-def: $vgpr77
	s_and_saveexec_b32 s3, vcc_lo
	s_xor_b32 s3, exec_lo, s3
; %bb.65:
	v_bfe_u32 v77, v78, 16, 1
	s_delay_alu instid0(VALU_DEP_1)
	v_add3_u32 v77, v78, v77, 0x7fff
                                        ; implicit-def: $vgpr78
; %bb.66:
	s_and_not1_saveexec_b32 s3, s3
; %bb.67:
	v_and_b32_e32 v77, 0xffff, v78
	v_or_b32_e32 v83, 0x10000, v78
	s_delay_alu instid0(VALU_DEP_2) | instskip(NEXT) | instid1(VALU_DEP_2)
	v_cmp_eq_u32_e32 vcc_lo, 0, v77
	v_cndmask_b32_e32 v77, v83, v78, vcc_lo
; %bb.68:
	s_or_b32 exec_lo, exec_lo, s3
	v_and_b32_e32 v78, 0x7f800000, v79
	s_delay_alu instid0(VALU_DEP_1) | instskip(SKIP_1) | instid1(SALU_CYCLE_1)
	v_cmp_ne_u32_e32 vcc_lo, 0x7f800000, v78
                                        ; implicit-def: $vgpr78
	s_and_saveexec_b32 s3, vcc_lo
	s_xor_b32 s3, exec_lo, s3
; %bb.69:
	v_bfe_u32 v78, v79, 16, 1
	s_delay_alu instid0(VALU_DEP_1)
	v_add3_u32 v78, v79, v78, 0x7fff
                                        ; implicit-def: $vgpr79
; %bb.70:
	s_and_not1_saveexec_b32 s3, s3
; %bb.71:
	v_and_b32_e32 v78, 0xffff, v79
	v_or_b32_e32 v83, 0x10000, v79
	s_delay_alu instid0(VALU_DEP_2) | instskip(NEXT) | instid1(VALU_DEP_2)
	v_cmp_eq_u32_e32 vcc_lo, 0, v78
	v_cndmask_b32_e32 v78, v83, v79, vcc_lo
; %bb.72:
	s_or_b32 exec_lo, exec_lo, s3
	v_and_b32_e32 v79, 0x7f800000, v70
	s_delay_alu instid0(VALU_DEP_1) | instskip(SKIP_1) | instid1(SALU_CYCLE_1)
	v_cmp_ne_u32_e32 vcc_lo, 0x7f800000, v79
                                        ; implicit-def: $vgpr79
	s_and_saveexec_b32 s3, vcc_lo
	s_xor_b32 s3, exec_lo, s3
; %bb.73:
	v_bfe_u32 v79, v70, 16, 1
	s_delay_alu instid0(VALU_DEP_1)
	v_add3_u32 v79, v70, v79, 0x7fff
                                        ; implicit-def: $vgpr70
; %bb.74:
	s_and_not1_saveexec_b32 s3, s3
; %bb.75:
	v_and_b32_e32 v79, 0xffff, v70
	v_or_b32_e32 v83, 0x10000, v70
	s_delay_alu instid0(VALU_DEP_2) | instskip(NEXT) | instid1(VALU_DEP_2)
	v_cmp_eq_u32_e32 vcc_lo, 0, v79
	v_cndmask_b32_e32 v79, v83, v70, vcc_lo
; %bb.76:
	s_or_b32 exec_lo, exec_lo, s3
	s_delay_alu instid0(VALU_DEP_1)
	v_perm_b32 v86, v79, v78, 0x7060302
	v_perm_b32 v85, v77, v82, 0x7060302
	;; [unrolled: 1-line block ×4, first 2 shown]
	v_lshl_or_b32 v82, v66, 11, v80
	ds_store_b128 v76, v[83:86] offset:1024
	s_waitcnt lgkmcnt(0)
	s_barrier
	buffer_gl0_inv
	ds_load_b128 v[69:72], v82
	ds_load_b128 v[83:86], v82 offset:16
	s_waitcnt lgkmcnt(1)
	v_lshrrev_b32_e32 v66, 16, v69
	s_waitcnt lgkmcnt(0)
	v_lshrrev_b32_e32 v91, 16, v83
	v_lshlrev_b32_e32 v78, 2, v74
	v_lshrrev_b32_e32 v95, 16, v70
	v_lshrrev_b32_e32 v98, 16, v84
	;; [unrolled: 1-line block ×4, first 2 shown]
	v_cmp_eq_u32_e32 vcc_lo, 1, v78
	v_lshrrev_b32_e32 v97, 16, v72
	v_lshrrev_b32_e32 v100, 16, v86
	v_cndmask_b32_e32 v87, v83, v91, vcc_lo
	v_or_b32_e32 v79, 1, v78
	v_cndmask_b32_e32 v81, v69, v66, vcc_lo
	v_cmp_eq_u32_e64 s4, 2, v78
	v_cmp_eq_u32_e64 s7, 3, v78
	;; [unrolled: 1-line block ×5, first 2 shown]
	v_cndmask_b32_e64 v81, v81, v70, s4
	v_cndmask_b32_e64 v87, v87, v84, s4
	v_cmp_eq_u32_e64 s8, 3, v79
	v_cndmask_b32_e64 v88, v69, v66, s3
	v_or_b32_e32 v77, 2, v78
	v_cndmask_b32_e64 v81, v81, v95, s7
	v_cndmask_b32_e64 v87, v87, v98, s7
	;; [unrolled: 1-line block ×4, first 2 shown]
	v_cmp_eq_u32_e64 s10, 5, v78
	v_cndmask_b32_e64 v81, v81, v71, s9
	v_cndmask_b32_e64 v87, v87, v85, s9
	v_cmp_eq_u32_e64 s11, 4, v79
	v_cndmask_b32_e64 v88, v88, v95, s8
	v_cmp_eq_u32_e64 s5, 1, v77
	v_cndmask_b32_e64 v89, v89, v84, s6
	v_cndmask_b32_e64 v81, v81, v96, s10
	v_cmp_eq_u32_e64 s12, 6, v78
	v_cndmask_b32_e64 v88, v88, v71, s11
	;; [unrolled: 3-line block ×3, first 2 shown]
	v_cndmask_b32_e64 v89, v89, v98, s8
	v_cndmask_b32_e64 v81, v81, v72, s12
	v_cmp_eq_u32_e64 s15, 7, v78
	v_cndmask_b32_e64 v88, v88, v96, s13
	v_cndmask_b32_e64 v87, v87, v86, s12
	v_cmp_eq_u32_e64 s16, 6, v79
	v_cmp_eq_u32_e64 s17, 2, v77
	v_cndmask_b32_e64 v89, v89, v85, s11
	v_cndmask_b32_e64 v101, v81, v97, s15
	v_cndmask_b32_e64 v102, v87, v100, s15
	v_cndmask_b32_e64 v88, v88, v72, s16
	v_cndmask_b32_e64 v81, v90, v70, s17
	v_cndmask_b32_e64 v87, v83, v91, s5
	v_cmp_eq_u32_e64 s18, 7, v79
	v_cmp_eq_u32_e64 s19, 3, v77
	;; [unrolled: 1-line block ×4, first 2 shown]
	v_cndmask_b32_e64 v87, v87, v84, s17
	v_cndmask_b32_e64 v103, v88, v97, s18
	;; [unrolled: 1-line block ×4, first 2 shown]
	v_or_b32_e32 v81, 3, v78
	v_cndmask_b32_e64 v93, v87, v98, s19
	v_cmp_eq_u32_e64 s24, 6, v77
	v_cndmask_b32_e64 v104, v88, v86, s16
	v_cndmask_b32_e64 v92, v89, v71, s20
	v_cmp_eq_u32_e64 s21, 1, v81
	ds_load_b128 v[87:90], v82 offset:1024
	v_cmp_eq_u32_e64 s23, 2, v81
	v_cmp_eq_u32_e64 s25, 3, v81
	v_cndmask_b32_e64 v105, v92, v96, s22
	v_cndmask_b32_e64 v66, v69, v66, s21
	;; [unrolled: 1-line block ×4, first 2 shown]
	ds_load_b128 v[91:94], v82 offset:1040
	v_cmp_eq_u32_e64 s26, 4, v81
	v_cndmask_b32_e64 v66, v66, v70, s23
	v_cmp_eq_u32_e64 s27, 7, v77
	v_cndmask_b32_e64 v70, v83, v84, s23
	v_cndmask_b32_e64 v84, v105, v72, s24
	v_cmp_eq_u32_e64 s28, 5, v81
	v_cndmask_b32_e64 v66, v66, v95, s25
	v_cmp_eq_u32_e64 s29, 6, v81
	v_cndmask_b32_e64 v70, v70, v98, s25
	v_cndmask_b32_e64 v69, v69, v99, s22
	;; [unrolled: 1-line block ×4, first 2 shown]
	s_waitcnt lgkmcnt(1)
	v_lshrrev_b32_e32 v95, 16, v87
	v_cndmask_b32_e64 v70, v70, v85, s26
	v_cndmask_b32_e64 v71, v84, v97, s27
	;; [unrolled: 1-line block ×4, first 2 shown]
	v_cndmask_b32_e32 v84, v87, v95, vcc_lo
	v_cndmask_b32_e64 v70, v70, v99, s28
	s_waitcnt lgkmcnt(0)
	v_lshrrev_b32_e32 v85, 16, v91
	v_lshrrev_b32_e32 v96, 16, v88
	v_cndmask_b32_e64 v98, v87, v95, s3
	v_cndmask_b32_e64 v84, v84, v88, s4
	;; [unrolled: 1-line block ×3, first 2 shown]
	v_cndmask_b32_e32 v99, v91, v85, vcc_lo
	v_cmp_eq_u32_e32 vcc_lo, 7, v81
	v_cndmask_b32_e64 v66, v66, v72, s29
	v_cndmask_b32_e64 v72, v84, v96, s7
	;; [unrolled: 1-line block ×3, first 2 shown]
	v_lshrrev_b32_e32 v98, 16, v92
	v_cndmask_b32_e32 v70, v70, v100, vcc_lo
	v_cndmask_b32_e64 v86, v99, v92, s4
	v_cndmask_b32_e64 v69, v69, v100, s27
	v_lshrrev_b32_e32 v100, 16, v93
	v_cndmask_b32_e64 v72, v72, v89, s9
	v_lshrrev_b32_e32 v99, 16, v89
	v_cndmask_b32_e64 v86, v86, v98, s7
	v_perm_b32 v71, v69, v71, 0x5040100
	v_cndmask_b32_e64 v84, v84, v96, s8
	s_delay_alu instid0(VALU_DEP_3) | instskip(NEXT) | instid1(VALU_DEP_2)
	v_cndmask_b32_e64 v86, v86, v93, s9
	v_cndmask_b32_e64 v84, v84, v89, s11
	s_delay_alu instid0(VALU_DEP_2) | instskip(NEXT) | instid1(VALU_DEP_1)
	v_cndmask_b32_e64 v86, v86, v100, s10
	v_cndmask_b32_e64 v69, v86, v94, s12
	v_cndmask_b32_e64 v86, v87, v95, s5
	v_cndmask_b32_e64 v87, v87, v95, s21
	v_cndmask_b32_e64 v95, v91, v85, s21
	s_delay_alu instid0(VALU_DEP_3) | instskip(NEXT) | instid1(VALU_DEP_3)
	v_cndmask_b32_e64 v86, v86, v88, s17
	v_cndmask_b32_e64 v87, v87, v88, s23
	s_delay_alu instid0(VALU_DEP_3) | instskip(NEXT) | instid1(VALU_DEP_3)
	v_cndmask_b32_e64 v88, v95, v92, s23
	v_cndmask_b32_e64 v86, v86, v96, s19
	;; [unrolled: 3-line block ×7, first 2 shown]
	s_delay_alu instid0(VALU_DEP_3) | instskip(SKIP_2) | instid1(VALU_DEP_2)
	v_cndmask_b32_e64 v88, v88, v94, s29
	v_cndmask_b32_e32 v66, v66, v97, vcc_lo
	v_cndmask_b32_e64 v97, v72, v99, s10
	v_perm_b32 v72, v70, v66, 0x5040100
	v_perm_b32 v70, v83, v103, 0x5040100
	v_cndmask_b32_e64 v103, v91, v85, s5
	v_cndmask_b32_e64 v85, v91, v85, s3
	;; [unrolled: 1-line block ×4, first 2 shown]
	v_lshrrev_b32_e32 v97, 16, v90
	v_cndmask_b32_e64 v91, v103, v92, s17
	v_cndmask_b32_e64 v85, v85, v92, s6
	;; [unrolled: 1-line block ×3, first 2 shown]
	s_mov_b32 s3, exec_lo
	v_cndmask_b32_e64 v83, v84, v97, s15
	v_cndmask_b32_e64 v91, v91, v98, s19
	;; [unrolled: 1-line block ×3, first 2 shown]
	v_lshrrev_b32_e32 v84, 16, v94
	v_cndmask_b32_e64 v66, v66, v97, s18
	v_cndmask_b32_e64 v90, v86, v97, s27
	;; [unrolled: 1-line block ×4, first 2 shown]
	v_dual_cndmask_b32 v86, v87, v97 :: v_dual_cndmask_b32 v87, v88, v84
	v_cndmask_b32_e64 v91, v69, v84, s15
	s_delay_alu instid0(VALU_DEP_4) | instskip(NEXT) | instid1(VALU_DEP_4)
	v_cndmask_b32_e64 v89, v89, v100, s22
	v_cndmask_b32_e64 v85, v85, v100, s13
	v_perm_b32 v69, v102, v101, 0x5040100
	v_perm_b32 v86, v87, v86, 0x5040100
	;; [unrolled: 1-line block ×3, first 2 shown]
	v_cndmask_b32_e64 v89, v89, v94, s24
	v_cndmask_b32_e64 v85, v85, v94, s16
	s_mul_i32 s8, s35, 9
	s_delay_alu instid0(VALU_DEP_2) | instskip(NEXT) | instid1(VALU_DEP_2)
	v_cndmask_b32_e64 v88, v89, v84, s27
	v_cndmask_b32_e64 v89, v85, v84, s18
	s_delay_alu instid0(VALU_DEP_2) | instskip(NEXT) | instid1(VALU_DEP_2)
	v_perm_b32 v85, v88, v90, 0x5040100
	v_perm_b32 v84, v89, v66, 0x5040100
	ds_store_b128 v76, v[69:72]
	ds_store_b128 v76, v[83:86] offset:1024
	v_cmpx_gt_u32_e32 9, v0
	s_cbranch_execz .LBB1910_78
; %bb.77:
	s_mul_i32 s4, s8, s30
	s_delay_alu instid0(SALU_CYCLE_1) | instskip(SKIP_1) | instid1(VALU_DEP_1)
	v_add3_u32 v69, s4, s31, v65
	s_load_b128 s[4:7], s[0:1], 0x58
	v_mad_u64_u32 v[65:66], null, v69, s34, s[14:15]
	s_delay_alu instid0(VALU_DEP_1) | instskip(NEXT) | instid1(VALU_DEP_1)
	v_ashrrev_i32_e32 v66, 31, v65
	v_lshlrev_b64 v[65:66], 2, v[65:66]
	s_waitcnt lgkmcnt(0)
	s_delay_alu instid0(VALU_DEP_1) | instskip(NEXT) | instid1(VALU_DEP_2)
	v_add_co_u32 v69, vcc_lo, s6, v65
	v_add_co_ci_u32_e32 v70, vcc_lo, s7, v66, vcc_lo
	v_add_co_u32 v65, vcc_lo, s4, v65
	v_add_co_ci_u32_e32 v66, vcc_lo, s5, v66, vcc_lo
	global_store_b32 v[69:70], v67, off
	global_store_b32 v[65:66], v68, off
.LBB1910_78:
	s_or_b32 exec_lo, exec_lo, s3
	s_waitcnt lgkmcnt(0)
	s_waitcnt_vscnt null, 0x0
	s_barrier
	buffer_gl0_inv
	ds_load_b128 v[83:86], v80
	ds_load_b128 v[87:90], v80 offset:16
	ds_load_b128 v[95:98], v80 offset:2064
	;; [unrolled: 1-line block ×3, first 2 shown]
	v_mov_b32_e32 v65, 0
	ds_load_b128 v[103:106], v80 offset:4112
	ds_load_b128 v[99:102], v80 offset:4096
	;; [unrolled: 1-line block ×4, first 2 shown]
	v_mov_b32_e32 v66, v65
	v_mov_b32_e32 v67, v65
	;; [unrolled: 1-line block ×7, first 2 shown]
	s_waitcnt lgkmcnt(6)
	s_delay_alu instid0(VALU_DEP_1)
	v_wmma_f32_16x16x16_bf16 v[65:72], v[49:56], v[83:90], v[65:72]
	ds_load_b128 v[53:56], v80 offset:8208
	ds_load_b128 v[49:52], v80 offset:8192
	s_waitcnt lgkmcnt(6)
	v_wmma_f32_16x16x16_bf16 v[65:72], v[41:48], v[91:98], v[65:72]
	ds_load_b128 v[45:48], v80 offset:10256
	ds_load_b128 v[41:44], v80 offset:10240
	s_waitcnt lgkmcnt(6)
	;; [unrolled: 4-line block ×4, first 2 shown]
	v_wmma_f32_16x16x16_bf16 v[65:72], v[1:8], v[49:56], v[65:72]
	s_waitcnt lgkmcnt(4)
	s_delay_alu instid0(VALU_DEP_1) | instskip(SKIP_1) | instid1(VALU_DEP_1)
	v_wmma_f32_16x16x16_bf16 v[65:72], v[9:16], v[41:48], v[65:72]
	s_waitcnt lgkmcnt(2)
	v_wmma_f32_16x16x16_bf16 v[65:72], v[17:24], v[33:40], v[65:72]
	s_waitcnt lgkmcnt(0)
	s_delay_alu instid0(VALU_DEP_1) | instskip(NEXT) | instid1(VALU_DEP_1)
	v_wmma_f32_16x16x16_bf16 v[65:72], v[57:64], v[25:32], v[65:72]
	v_and_b32_e32 v1, 0x7f800000, v65
	s_delay_alu instid0(VALU_DEP_1) | instskip(SKIP_1) | instid1(SALU_CYCLE_1)
	v_cmp_ne_u32_e32 vcc_lo, 0x7f800000, v1
                                        ; implicit-def: $vgpr1
	s_and_saveexec_b32 s3, vcc_lo
	s_xor_b32 s3, exec_lo, s3
; %bb.79:
	v_bfe_u32 v1, v65, 16, 1
	s_delay_alu instid0(VALU_DEP_1)
	v_add3_u32 v1, v65, v1, 0x7fff
; %bb.80:
	s_and_not1_saveexec_b32 s3, s3
; %bb.81:
	v_and_b32_e32 v1, 0xffff, v65
	v_or_b32_e32 v2, 0x10000, v65
	s_delay_alu instid0(VALU_DEP_2) | instskip(NEXT) | instid1(VALU_DEP_2)
	v_cmp_eq_u32_e32 vcc_lo, 0, v1
	v_cndmask_b32_e32 v1, v2, v65, vcc_lo
; %bb.82:
	s_or_b32 exec_lo, exec_lo, s3
	v_and_b32_e32 v2, 0x7f800000, v66
	s_delay_alu instid0(VALU_DEP_1) | instskip(SKIP_1) | instid1(SALU_CYCLE_1)
	v_cmp_ne_u32_e32 vcc_lo, 0x7f800000, v2
                                        ; implicit-def: $vgpr2
	s_and_saveexec_b32 s3, vcc_lo
	s_xor_b32 s3, exec_lo, s3
; %bb.83:
	v_bfe_u32 v2, v66, 16, 1
	s_delay_alu instid0(VALU_DEP_1)
	v_add3_u32 v2, v66, v2, 0x7fff
; %bb.84:
	s_and_not1_saveexec_b32 s3, s3
; %bb.85:
	v_and_b32_e32 v2, 0xffff, v66
	v_or_b32_e32 v3, 0x10000, v66
	s_delay_alu instid0(VALU_DEP_2) | instskip(NEXT) | instid1(VALU_DEP_2)
	v_cmp_eq_u32_e32 vcc_lo, 0, v2
	v_cndmask_b32_e32 v2, v3, v66, vcc_lo
; %bb.86:
	s_or_b32 exec_lo, exec_lo, s3
	v_and_b32_e32 v3, 0x7f800000, v67
	s_delay_alu instid0(VALU_DEP_1) | instskip(SKIP_1) | instid1(SALU_CYCLE_1)
	v_cmp_ne_u32_e32 vcc_lo, 0x7f800000, v3
                                        ; implicit-def: $vgpr3
	s_and_saveexec_b32 s3, vcc_lo
	s_xor_b32 s3, exec_lo, s3
; %bb.87:
	v_bfe_u32 v3, v67, 16, 1
	s_delay_alu instid0(VALU_DEP_1)
	v_add3_u32 v3, v67, v3, 0x7fff
; %bb.88:
	s_and_not1_saveexec_b32 s3, s3
; %bb.89:
	v_and_b32_e32 v3, 0xffff, v67
	v_or_b32_e32 v4, 0x10000, v67
	s_delay_alu instid0(VALU_DEP_2) | instskip(NEXT) | instid1(VALU_DEP_2)
	v_cmp_eq_u32_e32 vcc_lo, 0, v3
	v_cndmask_b32_e32 v3, v4, v67, vcc_lo
; %bb.90:
	s_or_b32 exec_lo, exec_lo, s3
	v_and_b32_e32 v4, 0x7f800000, v68
	s_delay_alu instid0(VALU_DEP_1) | instskip(SKIP_1) | instid1(SALU_CYCLE_1)
	v_cmp_ne_u32_e32 vcc_lo, 0x7f800000, v4
                                        ; implicit-def: $vgpr4
	s_and_saveexec_b32 s3, vcc_lo
	s_xor_b32 s3, exec_lo, s3
; %bb.91:
	v_bfe_u32 v4, v68, 16, 1
	s_delay_alu instid0(VALU_DEP_1)
	v_add3_u32 v4, v68, v4, 0x7fff
; %bb.92:
	s_and_not1_saveexec_b32 s3, s3
; %bb.93:
	v_and_b32_e32 v4, 0xffff, v68
	v_or_b32_e32 v5, 0x10000, v68
	s_delay_alu instid0(VALU_DEP_2) | instskip(NEXT) | instid1(VALU_DEP_2)
	v_cmp_eq_u32_e32 vcc_lo, 0, v4
	v_cndmask_b32_e32 v4, v5, v68, vcc_lo
; %bb.94:
	s_or_b32 exec_lo, exec_lo, s3
	v_and_b32_e32 v5, 0x7f800000, v69
	s_delay_alu instid0(VALU_DEP_1) | instskip(SKIP_1) | instid1(SALU_CYCLE_1)
	v_cmp_ne_u32_e32 vcc_lo, 0x7f800000, v5
                                        ; implicit-def: $vgpr5
	s_and_saveexec_b32 s3, vcc_lo
	s_xor_b32 s3, exec_lo, s3
; %bb.95:
	v_bfe_u32 v5, v69, 16, 1
	s_delay_alu instid0(VALU_DEP_1)
	v_add3_u32 v5, v69, v5, 0x7fff
; %bb.96:
	s_and_not1_saveexec_b32 s3, s3
; %bb.97:
	v_and_b32_e32 v5, 0xffff, v69
	v_or_b32_e32 v6, 0x10000, v69
	s_delay_alu instid0(VALU_DEP_2) | instskip(NEXT) | instid1(VALU_DEP_2)
	v_cmp_eq_u32_e32 vcc_lo, 0, v5
	v_cndmask_b32_e32 v5, v6, v69, vcc_lo
; %bb.98:
	s_or_b32 exec_lo, exec_lo, s3
	v_and_b32_e32 v6, 0x7f800000, v70
	s_delay_alu instid0(VALU_DEP_1) | instskip(SKIP_1) | instid1(SALU_CYCLE_1)
	v_cmp_ne_u32_e32 vcc_lo, 0x7f800000, v6
                                        ; implicit-def: $vgpr6
	s_and_saveexec_b32 s3, vcc_lo
	s_xor_b32 s3, exec_lo, s3
; %bb.99:
	v_bfe_u32 v6, v70, 16, 1
	s_delay_alu instid0(VALU_DEP_1)
	v_add3_u32 v6, v70, v6, 0x7fff
; %bb.100:
	s_and_not1_saveexec_b32 s3, s3
; %bb.101:
	v_and_b32_e32 v6, 0xffff, v70
	v_or_b32_e32 v7, 0x10000, v70
	s_delay_alu instid0(VALU_DEP_2) | instskip(NEXT) | instid1(VALU_DEP_2)
	v_cmp_eq_u32_e32 vcc_lo, 0, v6
	v_cndmask_b32_e32 v6, v7, v70, vcc_lo
; %bb.102:
	s_or_b32 exec_lo, exec_lo, s3
	v_and_b32_e32 v7, 0x7f800000, v71
	s_delay_alu instid0(VALU_DEP_1) | instskip(SKIP_1) | instid1(SALU_CYCLE_1)
	v_cmp_ne_u32_e32 vcc_lo, 0x7f800000, v7
                                        ; implicit-def: $vgpr7
	s_and_saveexec_b32 s3, vcc_lo
	s_xor_b32 s3, exec_lo, s3
; %bb.103:
	v_bfe_u32 v7, v71, 16, 1
	s_delay_alu instid0(VALU_DEP_1)
	v_add3_u32 v7, v71, v7, 0x7fff
; %bb.104:
	s_and_not1_saveexec_b32 s3, s3
; %bb.105:
	v_and_b32_e32 v7, 0xffff, v71
	v_or_b32_e32 v8, 0x10000, v71
	s_delay_alu instid0(VALU_DEP_2) | instskip(NEXT) | instid1(VALU_DEP_2)
	v_cmp_eq_u32_e32 vcc_lo, 0, v7
	v_cndmask_b32_e32 v7, v8, v71, vcc_lo
; %bb.106:
	s_or_b32 exec_lo, exec_lo, s3
	v_and_b32_e32 v8, 0x7f800000, v72
	s_delay_alu instid0(VALU_DEP_1) | instskip(SKIP_1) | instid1(SALU_CYCLE_1)
	v_cmp_ne_u32_e32 vcc_lo, 0x7f800000, v8
                                        ; implicit-def: $vgpr8
	s_and_saveexec_b32 s3, vcc_lo
	s_xor_b32 s3, exec_lo, s3
; %bb.107:
	v_bfe_u32 v8, v72, 16, 1
	s_delay_alu instid0(VALU_DEP_1)
	v_add3_u32 v8, v72, v8, 0x7fff
                                        ; implicit-def: $vgpr65_vgpr66_vgpr67_vgpr68_vgpr69_vgpr70_vgpr71_vgpr72
; %bb.108:
	s_and_not1_saveexec_b32 s3, s3
; %bb.109:
	v_and_b32_e32 v8, 0xffff, v72
	v_or_b32_e32 v9, 0x10000, v72
	s_delay_alu instid0(VALU_DEP_2) | instskip(NEXT) | instid1(VALU_DEP_2)
	v_cmp_eq_u32_e32 vcc_lo, 0, v8
	v_cndmask_b32_e32 v8, v9, v72, vcc_lo
; %bb.110:
	s_or_b32 exec_lo, exec_lo, s3
	s_delay_alu instid0(VALU_DEP_1)
	v_perm_b32 v7, v8, v7, 0x7060302
	v_perm_b32 v6, v6, v5, 0x7060302
	;; [unrolled: 1-line block ×4, first 2 shown]
	s_barrier
	buffer_gl0_inv
	v_cmp_eq_u32_e32 vcc_lo, 1, v78
	ds_store_b128 v76, v[4:7]
	s_waitcnt lgkmcnt(0)
	s_barrier
	buffer_gl0_inv
	ds_load_b128 v[1:4], v82
	ds_load_b128 v[5:8], v82 offset:16
	v_cmp_eq_u32_e64 s3, 1, v79
	v_cmp_eq_u32_e64 s4, 2, v78
	;; [unrolled: 1-line block ×5, first 2 shown]
	s_waitcnt lgkmcnt(1)
	v_lshrrev_b32_e32 v9, 16, v1
	s_waitcnt lgkmcnt(0)
	v_lshrrev_b32_e32 v13, 16, v5
	v_lshrrev_b32_e32 v10, 16, v2
	;; [unrolled: 1-line block ×4, first 2 shown]
	v_cndmask_b32_e64 v19, v1, v9, s3
	v_cndmask_b32_e32 v18, v5, v13, vcc_lo
	v_cndmask_b32_e64 v20, v5, v13, s3
	v_cndmask_b32_e32 v17, v1, v9, vcc_lo
	v_cmp_eq_u32_e32 vcc_lo, 2, v79
	v_lshrrev_b32_e32 v15, 16, v7
	v_cmp_eq_u32_e64 s3, 1, v77
	v_lshrrev_b32_e32 v12, 16, v4
	v_lshrrev_b32_e32 v16, 16, v8
	v_cndmask_b32_e32 v20, v20, v6, vcc_lo
	v_cndmask_b32_e64 v17, v17, v2, s4
	v_cndmask_b32_e32 v19, v19, v2, vcc_lo
	v_cndmask_b32_e64 v18, v18, v6, s4
	v_cmp_eq_u32_e32 vcc_lo, 4, v78
	v_cmp_eq_u32_e64 s4, 3, v79
	v_cndmask_b32_e64 v17, v17, v10, s5
	v_cndmask_b32_e64 v21, v1, v9, s3
	;; [unrolled: 1-line block ×5, first 2 shown]
	v_cndmask_b32_e32 v17, v17, v3, vcc_lo
	v_cndmask_b32_e64 v20, v20, v14, s4
	v_cndmask_b32_e32 v18, v18, v7, vcc_lo
	v_cmp_eq_u32_e32 vcc_lo, 4, v79
	v_cmp_eq_u32_e64 s4, 5, v79
	v_cmp_eq_u32_e64 s3, 2, v81
	v_cndmask_b32_e64 v21, v21, v2, s7
	v_cmp_eq_u32_e64 s5, 5, v78
	v_cndmask_b32_e32 v19, v19, v3, vcc_lo
	v_cndmask_b32_e32 v20, v20, v7, vcc_lo
	v_cmp_eq_u32_e32 vcc_lo, 6, v79
	s_delay_alu instid0(VALU_DEP_4) | instskip(NEXT) | instid1(VALU_DEP_4)
	v_cndmask_b32_e64 v17, v17, v11, s5
	v_cndmask_b32_e64 v19, v19, v11, s4
	s_delay_alu instid0(VALU_DEP_4) | instskip(SKIP_1) | instid1(VALU_DEP_3)
	v_cndmask_b32_e64 v20, v20, v15, s4
	v_cmp_eq_u32_e64 s4, 1, v81
	v_cndmask_b32_e32 v19, v19, v4, vcc_lo
	v_cndmask_b32_e64 v18, v18, v15, s5
	s_delay_alu instid0(VALU_DEP_3)
	v_cndmask_b32_e64 v1, v1, v9, s4
	v_cndmask_b32_e64 v5, v5, v13, s4
	v_cmp_eq_u32_e64 s4, 3, v77
	v_cndmask_b32_e64 v13, v22, v6, s7
	v_cmp_eq_u32_e64 s7, 3, v81
	v_cndmask_b32_e64 v1, v1, v2, s3
	v_cndmask_b32_e64 v2, v5, v6, s3
	;; [unrolled: 1-line block ×3, first 2 shown]
	v_cmp_eq_u32_e64 s3, 4, v77
	v_cndmask_b32_e64 v6, v13, v14, s4
	v_cndmask_b32_e64 v1, v1, v10, s7
	v_cmp_eq_u32_e64 s4, 4, v81
	v_cndmask_b32_e64 v2, v2, v14, s7
	v_cndmask_b32_e64 v5, v9, v3, s3
	;; [unrolled: 3-line block ×3, first 2 shown]
	v_cndmask_b32_e64 v2, v2, v7, s4
	v_cmp_eq_u32_e64 s3, 5, v81
	v_cmp_eq_u32_e64 s5, 6, v78
	v_cndmask_b32_e64 v5, v5, v11, s7
	v_cmp_eq_u32_e64 s4, 6, v77
	v_cndmask_b32_e64 v3, v6, v15, s7
	v_cndmask_b32_e64 v1, v1, v11, s3
	v_cmp_eq_u32_e64 s7, 6, v81
	v_cndmask_b32_e64 v2, v2, v15, s3
	v_cndmask_b32_e64 v17, v17, v4, s5
	v_cndmask_b32_e64 v18, v18, v8, s5
	v_cmp_eq_u32_e64 s5, 7, v78
	v_cndmask_b32_e64 v5, v5, v4, s4
	;; [unrolled: 4-line block ×3, first 2 shown]
	v_cmp_eq_u32_e64 s4, 7, v77
	v_cndmask_b32_e32 v4, v20, v8, vcc_lo
	v_cndmask_b32_e64 v17, v17, v12, s5
	v_cndmask_b32_e64 v19, v19, v12, s6
	;; [unrolled: 1-line block ×8, first 2 shown]
	s_mov_b32 s3, exec_lo
	v_perm_b32 v4, v2, v1, 0x5040100
	v_perm_b32 v3, v3, v5, 0x5040100
	;; [unrolled: 1-line block ×4, first 2 shown]
	ds_store_b128 v76, v[1:4]
	s_waitcnt lgkmcnt(0)
	s_barrier
	buffer_gl0_inv
	v_cmpx_gt_u32_e32 32, v0
	s_cbranch_execz .LBB1910_2
; %bb.111:
	s_load_b64 s[4:5], s[0:1], 0x68
	v_lshlrev_b32_e32 v0, 10, v0
	v_lshlrev_b32_e32 v1, 4, v75
	s_lshl_b32 s0, s34, 7
	v_add_nc_u32_e32 v2, s31, v74
	s_mul_i32 s1, s0, s30
	s_delay_alu instid0(SALU_CYCLE_1) | instskip(SKIP_1) | instid1(VALU_DEP_2)
	s_mul_i32 s6, s1, s8
	v_and_or_b32 v0, 0x3800, v0, v1
	v_mul_lo_u32 v1, v2, s0
	s_ashr_i32 s7, s6, 31
	v_add_nc_u32_e32 v3, 2, v2
	s_lshl_b64 s[6:7], s[6:7], 1
	v_add_nc_u32_e32 v4, 4, v2
	v_add_nc_u32_e32 v5, 6, v2
	v_lshl_or_b32 v15, v74, 6, v0
	v_mul_lo_u32 v3, v3, s0
	v_ashrrev_i32_e32 v2, 31, v1
	v_mul_lo_u32 v19, v4, s0
	v_mul_lo_u32 v21, v5, s0
	s_waitcnt lgkmcnt(0)
	s_add_u32 s1, s4, s6
	s_addc_u32 s3, s5, s7
	s_lshl_b32 s4, s14, 7
	v_lshlrev_b64 v[5:6], 1, v[1:2]
	s_ashr_i32 s5, s4, 31
	v_ashrrev_i32_e32 v4, 31, v3
	s_lshl_b64 s[4:5], s[4:5], 1
	v_ashrrev_i32_e32 v20, 31, v19
	s_add_u32 s1, s1, s4
	s_addc_u32 s3, s3, s5
	v_add_co_u32 v1, s1, s1, v73
	s_delay_alu instid0(VALU_DEP_1) | instskip(SKIP_1) | instid1(VALU_DEP_3)
	v_add_co_ci_u32_e64 v2, null, s3, 0, s1
	v_lshlrev_b64 v[25:26], 1, v[3:4]
	v_add_co_u32 v23, vcc_lo, v1, v5
	s_delay_alu instid0(VALU_DEP_3)
	v_add_co_ci_u32_e32 v24, vcc_lo, v2, v6, vcc_lo
	ds_load_b128 v[3:6], v15
	ds_load_b128 v[7:10], v15 offset:128
	ds_load_b128 v[11:14], v15 offset:256
	;; [unrolled: 1-line block ×3, first 2 shown]
	v_ashrrev_i32_e32 v22, 31, v21
	v_lshlrev_b64 v[19:20], 1, v[19:20]
	v_add_co_u32 v25, vcc_lo, v1, v25
	v_add_co_ci_u32_e32 v26, vcc_lo, v2, v26, vcc_lo
	s_delay_alu instid0(VALU_DEP_4) | instskip(NEXT) | instid1(VALU_DEP_4)
	v_lshlrev_b64 v[21:22], 1, v[21:22]
	v_add_co_u32 v19, vcc_lo, v1, v19
	v_add_co_ci_u32_e32 v20, vcc_lo, v2, v20, vcc_lo
	s_delay_alu instid0(VALU_DEP_3) | instskip(NEXT) | instid1(VALU_DEP_4)
	v_add_co_u32 v21, vcc_lo, v1, v21
	v_add_co_ci_u32_e32 v22, vcc_lo, v2, v22, vcc_lo
	s_waitcnt lgkmcnt(3)
	global_store_b128 v[23:24], v[3:6], off
	s_waitcnt lgkmcnt(2)
	global_store_b128 v[25:26], v[7:10], off
	;; [unrolled: 2-line block ×4, first 2 shown]
	s_and_b32 exec_lo, exec_lo, s2
	s_cbranch_execz .LBB1910_2
; %bb.112:
	ds_load_b128 v[3:6], v0 offset:512
	s_add_i32 s1, s31, 8
	s_delay_alu instid0(SALU_CYCLE_1) | instskip(NEXT) | instid1(SALU_CYCLE_1)
	s_mul_i32 s0, s1, s0
	s_ashr_i32 s1, s0, 31
	s_delay_alu instid0(SALU_CYCLE_1) | instskip(NEXT) | instid1(SALU_CYCLE_1)
	s_lshl_b64 s[0:1], s[0:1], 1
	v_add_co_u32 v0, vcc_lo, v1, s0
	v_add_co_ci_u32_e32 v1, vcc_lo, s1, v2, vcc_lo
	s_waitcnt lgkmcnt(0)
	global_store_b128 v[0:1], v[3:6], off
	s_nop 0
	s_sendmsg sendmsg(MSG_DEALLOC_VGPRS)
	s_endpgm
	.section	.rodata,"a",@progbits
	.p2align	6, 0x0
	.amdhsa_kernel _Z39paged_attention_ll4mi_QKV_mfma16_kernelI14__hip_bfloat16hLN4vllm18Fp8KVCacheDataTypeE1ES0_Li32ELi128ELi256ELb0ELi9EL8MFMAType0EEvPKT_PKT0_S9_ifPKiSB_SB_iPKfiiiPfSE_PS4_PT2_iSD_SD_
		.amdhsa_group_segment_fixed_size 17472
		.amdhsa_private_segment_fixed_size 0
		.amdhsa_kernarg_size 400
		.amdhsa_user_sgpr_count 13
		.amdhsa_user_sgpr_dispatch_ptr 0
		.amdhsa_user_sgpr_queue_ptr 0
		.amdhsa_user_sgpr_kernarg_segment_ptr 1
		.amdhsa_user_sgpr_dispatch_id 0
		.amdhsa_user_sgpr_private_segment_size 0
		.amdhsa_wavefront_size32 1
		.amdhsa_uses_dynamic_stack 0
		.amdhsa_enable_private_segment 0
		.amdhsa_system_sgpr_workgroup_id_x 1
		.amdhsa_system_sgpr_workgroup_id_y 1
		.amdhsa_system_sgpr_workgroup_id_z 1
		.amdhsa_system_sgpr_workgroup_info 0
		.amdhsa_system_vgpr_workitem_id 0
		.amdhsa_next_free_vgpr 140
		.amdhsa_next_free_sgpr 36
		.amdhsa_reserve_vcc 1
		.amdhsa_float_round_mode_32 0
		.amdhsa_float_round_mode_16_64 0
		.amdhsa_float_denorm_mode_32 3
		.amdhsa_float_denorm_mode_16_64 3
		.amdhsa_dx10_clamp 1
		.amdhsa_ieee_mode 1
		.amdhsa_fp16_overflow 0
		.amdhsa_workgroup_processor_mode 1
		.amdhsa_memory_ordered 1
		.amdhsa_forward_progress 0
		.amdhsa_shared_vgpr_count 0
		.amdhsa_exception_fp_ieee_invalid_op 0
		.amdhsa_exception_fp_denorm_src 0
		.amdhsa_exception_fp_ieee_div_zero 0
		.amdhsa_exception_fp_ieee_overflow 0
		.amdhsa_exception_fp_ieee_underflow 0
		.amdhsa_exception_fp_ieee_inexact 0
		.amdhsa_exception_int_div_zero 0
	.end_amdhsa_kernel
	.section	.text._Z39paged_attention_ll4mi_QKV_mfma16_kernelI14__hip_bfloat16hLN4vllm18Fp8KVCacheDataTypeE1ES0_Li32ELi128ELi256ELb0ELi9EL8MFMAType0EEvPKT_PKT0_S9_ifPKiSB_SB_iPKfiiiPfSE_PS4_PT2_iSD_SD_,"axG",@progbits,_Z39paged_attention_ll4mi_QKV_mfma16_kernelI14__hip_bfloat16hLN4vllm18Fp8KVCacheDataTypeE1ES0_Li32ELi128ELi256ELb0ELi9EL8MFMAType0EEvPKT_PKT0_S9_ifPKiSB_SB_iPKfiiiPfSE_PS4_PT2_iSD_SD_,comdat
.Lfunc_end1910:
	.size	_Z39paged_attention_ll4mi_QKV_mfma16_kernelI14__hip_bfloat16hLN4vllm18Fp8KVCacheDataTypeE1ES0_Li32ELi128ELi256ELb0ELi9EL8MFMAType0EEvPKT_PKT0_S9_ifPKiSB_SB_iPKfiiiPfSE_PS4_PT2_iSD_SD_, .Lfunc_end1910-_Z39paged_attention_ll4mi_QKV_mfma16_kernelI14__hip_bfloat16hLN4vllm18Fp8KVCacheDataTypeE1ES0_Li32ELi128ELi256ELb0ELi9EL8MFMAType0EEvPKT_PKT0_S9_ifPKiSB_SB_iPKfiiiPfSE_PS4_PT2_iSD_SD_
                                        ; -- End function
	.section	.AMDGPU.csdata,"",@progbits
; Kernel info:
; codeLenInByte = 8984
; NumSgprs: 38
; NumVgprs: 140
; ScratchSize: 0
; MemoryBound: 0
; FloatMode: 240
; IeeeMode: 1
; LDSByteSize: 17472 bytes/workgroup (compile time only)
; SGPRBlocks: 4
; VGPRBlocks: 17
; NumSGPRsForWavesPerEU: 38
; NumVGPRsForWavesPerEU: 140
; Occupancy: 10
; WaveLimiterHint : 1
; COMPUTE_PGM_RSRC2:SCRATCH_EN: 0
; COMPUTE_PGM_RSRC2:USER_SGPR: 13
; COMPUTE_PGM_RSRC2:TRAP_HANDLER: 0
; COMPUTE_PGM_RSRC2:TGID_X_EN: 1
; COMPUTE_PGM_RSRC2:TGID_Y_EN: 1
; COMPUTE_PGM_RSRC2:TGID_Z_EN: 1
; COMPUTE_PGM_RSRC2:TIDIG_COMP_CNT: 0
	.section	.text._Z39paged_attention_ll4mi_QKV_mfma16_kernelI14__hip_bfloat16hLN4vllm18Fp8KVCacheDataTypeE1ES0_Li32ELi128ELi256ELb0ELi10EL8MFMAType0EEvPKT_PKT0_S9_ifPKiSB_SB_iPKfiiiPfSE_PS4_PT2_iSD_SD_,"axG",@progbits,_Z39paged_attention_ll4mi_QKV_mfma16_kernelI14__hip_bfloat16hLN4vllm18Fp8KVCacheDataTypeE1ES0_Li32ELi128ELi256ELb0ELi10EL8MFMAType0EEvPKT_PKT0_S9_ifPKiSB_SB_iPKfiiiPfSE_PS4_PT2_iSD_SD_,comdat
	.protected	_Z39paged_attention_ll4mi_QKV_mfma16_kernelI14__hip_bfloat16hLN4vllm18Fp8KVCacheDataTypeE1ES0_Li32ELi128ELi256ELb0ELi10EL8MFMAType0EEvPKT_PKT0_S9_ifPKiSB_SB_iPKfiiiPfSE_PS4_PT2_iSD_SD_ ; -- Begin function _Z39paged_attention_ll4mi_QKV_mfma16_kernelI14__hip_bfloat16hLN4vllm18Fp8KVCacheDataTypeE1ES0_Li32ELi128ELi256ELb0ELi10EL8MFMAType0EEvPKT_PKT0_S9_ifPKiSB_SB_iPKfiiiPfSE_PS4_PT2_iSD_SD_
	.globl	_Z39paged_attention_ll4mi_QKV_mfma16_kernelI14__hip_bfloat16hLN4vllm18Fp8KVCacheDataTypeE1ES0_Li32ELi128ELi256ELb0ELi10EL8MFMAType0EEvPKT_PKT0_S9_ifPKiSB_SB_iPKfiiiPfSE_PS4_PT2_iSD_SD_
	.p2align	8
	.type	_Z39paged_attention_ll4mi_QKV_mfma16_kernelI14__hip_bfloat16hLN4vllm18Fp8KVCacheDataTypeE1ES0_Li32ELi128ELi256ELb0ELi10EL8MFMAType0EEvPKT_PKT0_S9_ifPKiSB_SB_iPKfiiiPfSE_PS4_PT2_iSD_SD_,@function
_Z39paged_attention_ll4mi_QKV_mfma16_kernelI14__hip_bfloat16hLN4vllm18Fp8KVCacheDataTypeE1ES0_Li32ELi128ELi256ELb0ELi10EL8MFMAType0EEvPKT_PKT0_S9_ifPKiSB_SB_iPKfiiiPfSE_PS4_PT2_iSD_SD_: ; @_Z39paged_attention_ll4mi_QKV_mfma16_kernelI14__hip_bfloat16hLN4vllm18Fp8KVCacheDataTypeE1ES0_Li32ELi128ELi256ELb0ELi10EL8MFMAType0EEvPKT_PKT0_S9_ifPKiSB_SB_iPKfiiiPfSE_PS4_PT2_iSD_SD_
; %bb.0:
	s_load_b64 s[4:5], s[0:1], 0x30
	s_mov_b32 s30, s13
	s_waitcnt lgkmcnt(0)
	s_cmp_lg_u64 s[4:5], 0
	s_cselect_b32 s13, -1, 0
	s_ashr_i32 s31, s30, 31
	s_cmp_eq_u64 s[4:5], 0
	s_cbranch_scc1 .LBB1911_3
; %bb.1:
	s_lshl_b64 s[2:3], s[30:31], 2
	s_delay_alu instid0(SALU_CYCLE_1) | instskip(SKIP_4) | instid1(SALU_CYCLE_1)
	s_add_u32 s2, s4, s2
	s_addc_u32 s3, s5, s3
	s_load_b64 s[2:3], s[2:3], 0x0
	s_waitcnt lgkmcnt(0)
	s_sub_i32 s2, s3, s2
	s_cmp_eq_u32 s2, 1
	s_cselect_b32 s2, -1, 0
	s_delay_alu instid0(SALU_CYCLE_1)
	s_and_not1_b32 vcc_lo, exec_lo, s2
	s_cbranch_vccz .LBB1911_4
.LBB1911_2:
	s_endpgm
.LBB1911_3:
.LBB1911_4:
	s_load_b64 s[2:3], s[0:1], 0x28
	s_lshl_b64 s[6:7], s[30:31], 2
	s_waitcnt lgkmcnt(0)
	s_add_u32 s2, s2, s6
	s_addc_u32 s3, s3, s7
	s_lshl_b32 s12, s14, 8
	s_load_b32 s17, s[2:3], 0x0
	s_waitcnt lgkmcnt(0)
	s_cmp_ge_i32 s12, s17
	s_cbranch_scc1 .LBB1911_2
; %bb.5:
	s_clause 0x1
	s_load_b128 s[8:11], s[0:1], 0x8
	s_load_b64 s[2:3], s[0:1], 0x20
	s_and_not1_b32 vcc_lo, exec_lo, s13
	s_cbranch_vccnz .LBB1911_7
; %bb.6:
	s_add_u32 s4, s4, s6
	s_addc_u32 s5, s5, s7
	s_load_b32 s13, s[4:5], 0x0
	s_branch .LBB1911_8
.LBB1911_7:
	s_mov_b32 s13, s30
.LBB1911_8:
	s_load_b128 s[4:7], s[0:1], 0x48
	v_and_b32_e32 v65, 15, v0
	v_lshrrev_b32_e32 v66, 5, v0
	v_and_b32_e32 v67, 31, v0
	v_and_b32_e32 v75, 1, v0
	v_bfe_u32 v74, v0, 4, 1
	v_lshlrev_b32_e32 v1, 3, v65
	s_mul_i32 s29, s15, 10
	s_waitcnt lgkmcnt(0)
	s_mov_b32 s7, exec_lo
	s_delay_alu instid0(VALU_DEP_1)
	v_lshlrev_b32_e32 v73, 1, v1
	v_cmpx_gt_u32_e32 0xa0, v0
	s_cbranch_execz .LBB1911_10
; %bb.9:
	s_load_b64 s[18:19], s[0:1], 0x0
	v_lshl_or_b32 v5, v66, 1, v74
	s_mul_hi_i32 s21, s13, s4
	s_mul_i32 s20, s13, s4
	v_lshlrev_b32_e32 v6, 10, v65
	s_lshl_b64 s[20:21], s[20:21], 1
	v_add_lshl_u32 v1, v5, s29, 7
	v_lshlrev_b32_e32 v5, 6, v5
	v_lshlrev_b32_e32 v7, 10, v75
	v_and_b32_e32 v6, 0x3800, v6
	s_delay_alu instid0(VALU_DEP_4) | instskip(NEXT) | instid1(VALU_DEP_2)
	v_ashrrev_i32_e32 v2, 31, v1
	v_or3_b32 v5, v6, v7, v5
	s_delay_alu instid0(VALU_DEP_2) | instskip(SKIP_3) | instid1(VALU_DEP_1)
	v_lshlrev_b64 v[1:2], 1, v[1:2]
	s_waitcnt lgkmcnt(0)
	s_add_u32 s4, s18, s20
	s_addc_u32 s13, s19, s21
	v_add_co_u32 v1, vcc_lo, s4, v1
	s_delay_alu instid0(VALU_DEP_2) | instskip(NEXT) | instid1(VALU_DEP_2)
	v_add_co_ci_u32_e32 v2, vcc_lo, s13, v2, vcc_lo
	v_add_co_u32 v1, vcc_lo, v1, v73
	s_delay_alu instid0(VALU_DEP_2)
	v_add_co_ci_u32_e32 v2, vcc_lo, 0, v2, vcc_lo
	global_load_b128 v[1:4], v[1:2], off
	s_waitcnt vmcnt(0)
	ds_store_b128 v5, v[1:4]
.LBB1911_10:
	s_or_b32 exec_lo, exec_lo, s7
	v_and_b32_e32 v1, 0xef, v0
	s_add_i32 s4, s17, 31
	s_clause 0x1
	s_load_b32 s7, s[0:1], 0x38
	s_load_b32 s18, s[0:1], 0x1c
	s_ashr_i32 s13, s4, 31
	v_add_nc_u32_e32 v1, s12, v1
	s_lshr_b32 s13, s13, 27
	s_waitcnt lgkmcnt(0)
	s_add_i32 s4, s4, s13
	s_barrier
	v_ashrrev_i32_e32 v2, 31, v1
	v_or_b32_e32 v3, 16, v1
	s_ashr_i32 s4, s4, 5
	v_cmp_gt_i32_e32 vcc_lo, s17, v1
	s_add_i32 s4, s4, -1
	v_lshrrev_b32_e32 v2, 27, v2
	buffer_gl0_inv
	s_mul_i32 s15, s15, s6
	v_add_nc_u32_e32 v4, v1, v2
	s_mul_i32 s20, s30, s7
	s_delay_alu instid0(SALU_CYCLE_1) | instskip(NEXT) | instid1(VALU_DEP_1)
	s_ashr_i32 s21, s20, 31
	v_ashrrev_i32_e32 v4, 5, v4
	v_add_nc_u32_e32 v2, v3, v2
	s_lshl_b64 s[20:21], s[20:21], 2
	s_delay_alu instid0(SALU_CYCLE_1) | instskip(NEXT) | instid1(VALU_DEP_2)
	s_add_u32 s13, s2, s20
	v_cndmask_b32_e32 v1, s4, v4, vcc_lo
	s_delay_alu instid0(VALU_DEP_2)
	v_ashrrev_i32_e32 v2, 5, v2
	v_cmp_gt_i32_e32 vcc_lo, s17, v3
	s_addc_u32 s16, s3, s21
	s_ashr_i32 s19, s15, 31
	s_add_u32 s2, s8, s15
	s_addc_u32 s3, s9, s19
	v_cndmask_b32_e32 v3, s4, v2, vcc_lo
	v_ashrrev_i32_e32 v2, 31, v1
	s_lshl_b32 s6, s14, 3
	s_delay_alu instid0(SALU_CYCLE_1) | instskip(NEXT) | instid1(VALU_DEP_2)
	s_ashr_i32 s7, s6, 31
	v_ashrrev_i32_e32 v4, 31, v3
	s_delay_alu instid0(VALU_DEP_2) | instskip(SKIP_1) | instid1(SALU_CYCLE_1)
	v_lshlrev_b64 v[1:2], 2, v[1:2]
	s_lshl_b64 s[6:7], s[6:7], 2
	s_add_u32 s6, s13, s6
	s_delay_alu instid0(VALU_DEP_2) | instskip(SKIP_1) | instid1(VALU_DEP_2)
	v_lshlrev_b64 v[3:4], 2, v[3:4]
	s_addc_u32 s7, s16, s7
	v_add_co_u32 v1, vcc_lo, s13, v1
	v_add_co_ci_u32_e32 v2, vcc_lo, s16, v2, vcc_lo
	s_delay_alu instid0(VALU_DEP_3) | instskip(NEXT) | instid1(VALU_DEP_4)
	v_add_co_u32 v3, vcc_lo, s13, v3
	v_add_co_ci_u32_e32 v4, vcc_lo, s16, v4, vcc_lo
	s_clause 0x1
	global_load_b32 v5, v[1:2], off
	global_load_b32 v6, v[3:4], off
	s_or_b32 s8, s12, 32
	s_delay_alu instid0(SALU_CYCLE_1) | instskip(SKIP_2) | instid1(SALU_CYCLE_1)
	s_ashr_i32 s9, s8, 5
	s_cmp_lt_i32 s8, s17
	s_cselect_b32 s8, s9, s4
	s_ashr_i32 s9, s8, 31
	s_delay_alu instid0(SALU_CYCLE_1) | instskip(NEXT) | instid1(SALU_CYCLE_1)
	s_lshl_b64 s[8:9], s[8:9], 2
	s_add_u32 s8, s13, s8
	s_addc_u32 s9, s16, s9
	s_or_b32 s20, s12, 64
	s_delay_alu instid0(SALU_CYCLE_1) | instskip(SKIP_2) | instid1(SALU_CYCLE_1)
	s_ashr_i32 s21, s20, 5
	s_cmp_lt_i32 s20, s17
	s_cselect_b32 s20, s21, s4
	s_ashr_i32 s21, s20, 31
	s_delay_alu instid0(SALU_CYCLE_1) | instskip(NEXT) | instid1(SALU_CYCLE_1)
	s_lshl_b64 s[20:21], s[20:21], 2
	s_add_u32 s20, s13, s20
	s_addc_u32 s21, s16, s21
	;; [unrolled: 10-line block ×5, first 2 shown]
	s_clause 0x5
	s_load_b32 s28, s[6:7], 0x0
	s_load_b32 s8, s[8:9], 0x0
	;; [unrolled: 1-line block ×6, first 2 shown]
	s_mov_b32 s20, 0
	s_delay_alu instid0(SALU_CYCLE_1)
	s_mov_b32 s21, s20
	s_mov_b32 s22, s20
	;; [unrolled: 1-line block ×7, first 2 shown]
	s_delay_alu instid0(SALU_CYCLE_1)
	v_dual_mov_b32 v107, s27 :: v_dual_mov_b32 v106, s26
	v_dual_mov_b32 v104, s24 :: v_dual_mov_b32 v103, s23
	;; [unrolled: 1-line block ×3, first 2 shown]
	v_mov_b32_e32 v100, s20
	s_waitcnt vmcnt(1)
	v_mad_i64_i32 v[1:2], null, v5, s5, s[2:3]
	v_lshlrev_b32_e32 v5, 4, v65
	s_waitcnt vmcnt(0)
	v_mad_i64_i32 v[3:4], null, v6, s5, s[2:3]
	s_or_b32 s2, s12, 0xc0
	s_delay_alu instid0(SALU_CYCLE_1) | instskip(NEXT) | instid1(VALU_DEP_3)
	s_ashr_i32 s3, s2, 5
	v_add_co_u32 v33, vcc_lo, v1, v5
	s_delay_alu instid0(VALU_DEP_4) | instskip(NEXT) | instid1(VALU_DEP_3)
	v_add_co_ci_u32_e32 v34, vcc_lo, 0, v2, vcc_lo
	v_add_co_u32 v35, vcc_lo, v3, v5
	s_delay_alu instid0(VALU_DEP_4)
	v_add_co_ci_u32_e32 v36, vcc_lo, 0, v4, vcc_lo
	s_clause 0xf
	global_load_b128 v[1:4], v[33:34], off
	global_load_b128 v[5:8], v[33:34], off offset:512
	global_load_b128 v[9:12], v[35:36], off offset:256
	;; [unrolled: 1-line block ×15, first 2 shown]
	s_cmp_lt_i32 s2, s17
	v_add_nc_u32_e32 v33, -10, v65
	s_cselect_b32 s2, s3, s4
	v_cmp_gt_u32_e32 vcc_lo, 10, v65
	s_ashr_i32 s3, s2, 31
	v_lshlrev_b32_e32 v34, 5, v65
	s_lshl_b64 s[2:3], s[2:3], 2
	s_delay_alu instid0(SALU_CYCLE_1)
	s_add_u32 s2, s13, s2
	s_addc_u32 s3, s16, s3
	s_or_b32 s6, s12, 0xe0
	v_cndmask_b32_e32 v33, v33, v65, vcc_lo
	s_ashr_i32 s7, s6, 5
	s_cmp_lt_i32 s6, s17
	v_mov_b32_e32 v105, s25
	s_cselect_b32 s6, s7, s4
	v_lshlrev_b32_e32 v72, 6, v33
	s_ashr_i32 s7, s6, 31
	v_lshl_or_b32 v41, v66, 9, v34
	s_lshl_b64 s[6:7], s[6:7], 2
	ds_load_b128 v[33:36], v72
	ds_load_b128 v[37:40], v72 offset:1024
	ds_load_b128 v[108:111], v72 offset:2048
	;; [unrolled: 1-line block ×3, first 2 shown]
	s_load_b32 s4, s[2:3], 0x0
	s_add_u32 s2, s13, s6
	s_addc_u32 s3, s16, s7
	ds_load_b128 v[116:119], v72 offset:4096
	ds_load_b128 v[120:123], v72 offset:5120
	s_load_b32 s2, s[2:3], 0x0
	s_add_u32 s6, s10, s15
	s_addc_u32 s7, s11, s19
	v_add_co_u32 v68, s6, s6, v41
	s_delay_alu instid0(VALU_DEP_1) | instskip(SKIP_1) | instid1(VALU_DEP_1)
	v_add_co_ci_u32_e64 v69, null, s7, 0, s6
	s_waitcnt lgkmcnt(0)
	v_mad_i64_i32 v[41:42], null, s28, s5, v[68:69]
	v_mad_i64_i32 v[70:71], null, s9, s5, v[68:69]
	;; [unrolled: 1-line block ×7, first 2 shown]
	s_clause 0x3
	global_load_b128 v[49:52], v[41:42], off
	global_load_b128 v[53:56], v[41:42], off offset:16
	global_load_b128 v[41:44], v[45:46], off
	global_load_b128 v[45:48], v[45:46], off offset:16
	s_waitcnt vmcnt(18)
	v_wmma_f32_16x16x16_bf16 v[124:131], v[1:8], v[33:40], v[100:107]
	s_waitcnt vmcnt(16)
	v_wmma_f32_16x16x16_bf16 v[100:107], v[9:16], v[33:40], v[100:107]
	s_clause 0x1
	global_load_b128 v[33:36], v[70:71], off
	global_load_b128 v[37:40], v[70:71], off offset:16
	v_mad_i64_i32 v[70:71], null, s2, s5, v[68:69]
	s_waitcnt vmcnt(16)
	v_wmma_f32_16x16x16_bf16 v[124:131], v[17:24], v[108:115], v[124:131]
	s_waitcnt vmcnt(14)
	v_wmma_f32_16x16x16_bf16 v[100:107], v[25:32], v[108:115], v[100:107]
	s_clause 0x7
	global_load_b128 v[25:28], v[132:133], off
	global_load_b128 v[29:32], v[132:133], off offset:16
	global_load_b128 v[1:4], v[134:135], off
	global_load_b128 v[5:8], v[134:135], off offset:16
	;; [unrolled: 2-line block ×4, first 2 shown]
	s_waitcnt vmcnt(20)
	v_wmma_f32_16x16x16_bf16 v[124:131], v[57:64], v[116:123], v[124:131]
	s_clause 0x1
	global_load_b128 v[57:60], v[70:71], off
	global_load_b128 v[61:64], v[70:71], off offset:16
	s_waitcnt vmcnt(20)
	v_wmma_f32_16x16x16_bf16 v[100:107], v[76:83], v[116:123], v[100:107]
	ds_load_b128 v[76:79], v72 offset:6144
	ds_load_b128 v[80:83], v72 offset:7168
	v_and_b32_e32 v68, 0xe0, v0
	v_mbcnt_lo_u32_b32 v69, -1, 0
	s_waitcnt vmcnt(0) lgkmcnt(0)
	s_barrier
	buffer_gl0_inv
	v_add_nc_u32_e32 v68, s12, v68
	v_xor_b32_e32 v70, 16, v69
	s_delay_alu instid0(VALU_DEP_2) | instskip(NEXT) | instid1(VALU_DEP_2)
	v_or_b32_e32 v68, v68, v74
	v_cmp_gt_i32_e32 vcc_lo, 32, v70
	s_delay_alu instid0(VALU_DEP_2)
	v_or_b32_e32 v71, 4, v68
	v_or_b32_e32 v72, 6, v68
	v_cmp_gt_i32_e64 s2, s17, v68
	v_or_b32_e32 v108, 8, v68
	v_wmma_f32_16x16x16_bf16 v[124:131], v[84:91], v[76:83], v[124:131]
	v_cndmask_b32_e32 v69, v69, v70, vcc_lo
	v_or_b32_e32 v70, 2, v68
	v_wmma_f32_16x16x16_bf16 v[100:107], v[92:99], v[76:83], v[100:107]
	v_or_b32_e32 v109, 10, v68
	v_dual_mul_f32 v80, s18, v129 :: v_dual_mul_f32 v81, s18, v128
	v_dual_mul_f32 v92, s18, v125 :: v_dual_mul_f32 v93, s18, v124
	s_delay_alu instid0(VALU_DEP_4)
	v_mul_f32_e32 v96, s18, v105
	v_cmp_gt_i32_e32 vcc_lo, s17, v70
	v_or_b32_e32 v89, 22, v68
	v_dual_mul_f32 v79, s18, v130 :: v_dual_mul_f32 v82, s18, v127
	v_dual_mul_f32 v83, s18, v126 :: v_dual_mul_f32 v94, s18, v107
	v_cndmask_b32_e64 v93, 0xff7fffff, v93, s2
	v_cndmask_b32_e32 v92, 0xff7fffff, v92, vcc_lo
	v_cmp_gt_i32_e64 s3, s17, v71
	v_cmp_gt_i32_e64 s4, s17, v72
	v_or_b32_e32 v84, 12, v68
	v_or_b32_e32 v85, 14, v68
	v_cmp_gt_i32_e64 s5, s17, v108
	v_cndmask_b32_e64 v71, 0xff7fffff, v83, s3
	v_cndmask_b32_e64 v72, 0xff7fffff, v82, s4
	v_cmp_gt_i32_e64 s6, s17, v109
	v_cmp_gt_i32_e64 s12, s17, v89
	v_lshlrev_b32_e32 v89, 2, v69
	v_max3_f32 v82, v93, 0xff7fffff, v92
	v_or_b32_e32 v86, 16, v68
	v_or_b32_e32 v87, 18, v68
	v_mul_f32_e32 v78, s18, v131
	v_cndmask_b32_e64 v81, 0xff7fffff, v81, s5
	v_cndmask_b32_e64 v80, 0xff7fffff, v80, s6
	v_max3_f32 v71, v82, v71, v72
	v_cmp_gt_i32_e64 s7, s17, v84
	v_cmp_gt_i32_e64 s8, s17, v85
	v_or_b32_e32 v88, 20, v68
	v_or_b32_e32 v90, 24, v68
	;; [unrolled: 1-line block ×5, first 2 shown]
	v_dual_mul_f32 v97, s18, v104 :: v_dual_mul_f32 v70, s18, v101
	v_dual_mul_f32 v99, s18, v102 :: v_dual_mul_f32 v68, s18, v100
	v_cndmask_b32_e64 v72, 0xff7fffff, v79, s7
	v_cndmask_b32_e64 v78, 0xff7fffff, v78, s8
	v_max3_f32 v71, v71, v81, v80
	v_cmp_gt_i32_e64 s9, s17, v86
	v_cmp_gt_i32_e64 s10, s17, v87
	v_dual_mul_f32 v95, s18, v106 :: v_dual_mul_f32 v98, s18, v103
	s_delay_alu instid0(VALU_DEP_4) | instskip(NEXT) | instid1(VALU_DEP_4)
	v_max3_f32 v71, v71, v72, v78
	v_cndmask_b32_e64 v68, 0xff7fffff, v68, s9
	s_delay_alu instid0(VALU_DEP_4)
	v_cndmask_b32_e64 v70, 0xff7fffff, v70, s10
	v_cmp_gt_i32_e64 s11, s17, v88
	v_cndmask_b32_e64 v78, 0xff7fffff, v98, s12
	v_cmp_gt_i32_e64 s13, s17, v90
	v_cmp_gt_i32_e64 s15, s17, v91
	v_max3_f32 v68, v71, v68, v70
	v_cndmask_b32_e64 v72, 0xff7fffff, v99, s11
	v_cmp_gt_i32_e64 s16, s17, v76
	v_cndmask_b32_e64 v70, 0xff7fffff, v97, s13
	v_cndmask_b32_e64 v71, 0xff7fffff, v96, s15
	v_cmp_gt_i32_e64 s17, s17, v77
	v_max3_f32 v68, v68, v72, v78
	v_cndmask_b32_e64 v72, 0xff7fffff, v95, s16
	s_delay_alu instid0(VALU_DEP_3) | instskip(NEXT) | instid1(VALU_DEP_3)
	v_cndmask_b32_e64 v76, 0xff7fffff, v94, s17
	v_max3_f32 v68, v68, v70, v71
	s_delay_alu instid0(VALU_DEP_1) | instskip(SKIP_3) | instid1(VALU_DEP_1)
	v_max3_f32 v68, v68, v72, v76
	ds_bpermute_b32 v69, v89, v68
	s_waitcnt lgkmcnt(0)
	v_max_f32_e32 v69, v69, v69
	v_max_f32_e32 v68, v68, v69
	s_delay_alu instid0(VALU_DEP_1) | instskip(NEXT) | instid1(VALU_DEP_1)
	v_fma_f32 v71, s18, v126, -v68
	v_mul_f32_e32 v71, 0x3fb8aa3b, v71
	v_fma_f32 v70, s18, v125, -v68
	v_fma_f32 v69, s18, v124, -v68
	;; [unrolled: 1-line block ×5, first 2 shown]
	s_delay_alu instid0(VALU_DEP_4) | instskip(SKIP_1) | instid1(VALU_DEP_3)
	v_dual_mul_f32 v70, 0x3fb8aa3b, v70 :: v_dual_mul_f32 v69, 0x3fb8aa3b, v69
	v_exp_f32_e32 v71, v71
	v_mul_f32_e32 v72, 0x3fb8aa3b, v72
	v_fma_f32 v81, s18, v105, -v68
	s_delay_alu instid0(VALU_DEP_3)
	v_exp_f32_e32 v70, v70
	v_mul_f32_e32 v77, 0x3fb8aa3b, v76
	v_exp_f32_e32 v69, v69
	v_exp_f32_e32 v72, v72
	v_mul_f32_e32 v81, 0x3fb8aa3b, v81
	v_cndmask_b32_e64 v83, 0, v71, s3
	v_fma_f32 v71, s18, v131, -v68
	s_delay_alu instid0(VALU_DEP_3) | instskip(SKIP_4) | instid1(TRANS32_DEP_3)
	v_exp_f32_e32 v81, v81
	v_cndmask_b32_e32 v76, 0, v70, vcc_lo
	v_exp_f32_e32 v77, v77
	v_cndmask_b32_e64 v80, 0, v69, s2
	v_fma_f32 v69, s18, v129, -v68
	v_cndmask_b32_e64 v85, 0, v72, s4
	v_mul_f32_e32 v71, 0x3fb8aa3b, v71
	v_fma_f32 v72, s18, v100, -v68
	s_delay_alu instid0(VALU_DEP_4) | instskip(SKIP_1) | instid1(VALU_DEP_3)
	v_dual_add_f32 v70, 0, v80 :: v_dual_mul_f32 v69, 0x3fb8aa3b, v69
	s_mov_b32 s2, exec_lo
	v_exp_f32_e32 v71, v71
	s_delay_alu instid0(TRANS32_DEP_2) | instskip(SKIP_4) | instid1(VALU_DEP_3)
	v_cndmask_b32_e64 v86, 0, v77, s5
	v_fma_f32 v77, s18, v101, -v68
	v_mul_f32_e32 v78, 0x3fb8aa3b, v78
	v_add_f32_e32 v70, v70, v76
	v_exp_f32_e32 v69, v69
	v_mul_f32_e32 v77, 0x3fb8aa3b, v77
	s_delay_alu instid0(VALU_DEP_3) | instskip(NEXT) | instid1(TRANS32_DEP_3)
	v_exp_f32_e32 v78, v78
	v_cndmask_b32_e64 v88, 0, v71, s8
	v_fma_f32 v71, s18, v104, -v68
	s_delay_alu instid0(VALU_DEP_3) | instskip(NEXT) | instid1(TRANS32_DEP_3)
	v_exp_f32_e32 v77, v77
	v_cndmask_b32_e64 v87, 0, v69, s6
	s_delay_alu instid0(VALU_DEP_2)
	v_mul_f32_e32 v71, 0x3fb8aa3b, v71
	s_waitcnt_depctr 0xfff
	v_cndmask_b32_e64 v84, 0, v78, s7
	v_add_f32_e32 v70, v70, v83
	v_fma_f32 v78, s18, v103, -v68
	v_exp_f32_e32 v82, v71
	s_delay_alu instid0(VALU_DEP_2) | instskip(SKIP_1) | instid1(VALU_DEP_3)
	v_add_f32_e32 v70, v70, v85
	v_mul_f32_e32 v72, 0x3fb8aa3b, v72
	v_mul_f32_e32 v78, 0x3fb8aa3b, v78
	s_delay_alu instid0(VALU_DEP_3) | instskip(SKIP_1) | instid1(VALU_DEP_4)
	v_add_f32_e32 v69, v70, v86
	v_fma_f32 v70, s18, v102, -v68
	v_exp_f32_e32 v72, v72
	s_delay_alu instid0(VALU_DEP_3) | instskip(NEXT) | instid1(VALU_DEP_1)
	v_exp_f32_e32 v78, v78
	v_dual_add_f32 v69, v69, v87 :: v_dual_mul_f32 v70, 0x3fb8aa3b, v70
	s_delay_alu instid0(VALU_DEP_1) | instskip(NEXT) | instid1(VALU_DEP_2)
	v_add_f32_e32 v69, v69, v84
	v_exp_f32_e32 v79, v70
	s_delay_alu instid0(TRANS32_DEP_3) | instskip(NEXT) | instid1(VALU_DEP_2)
	v_cndmask_b32_e64 v70, 0, v72, s9
	v_add_f32_e32 v72, v69, v88
	v_cndmask_b32_e64 v69, 0, v77, s10
	v_fma_f32 v77, s18, v106, -v68
	s_waitcnt_depctr 0xfff
	v_cndmask_b32_e64 v71, 0, v79, s11
	v_dual_mul_f32 v77, 0x3fb8aa3b, v77 :: v_dual_add_f32 v72, v72, v70
	s_delay_alu instid0(VALU_DEP_1) | instskip(NEXT) | instid1(VALU_DEP_1)
	v_exp_f32_e32 v90, v77
	v_add_f32_e32 v79, v72, v69
	v_cndmask_b32_e64 v72, 0, v78, s12
	v_cndmask_b32_e64 v77, 0, v82, s13
	s_delay_alu instid0(VALU_DEP_3) | instskip(SKIP_1) | instid1(VALU_DEP_1)
	v_add_f32_e32 v78, v79, v71
	v_fma_f32 v79, s18, v107, -v68
	v_dual_add_f32 v82, v78, v72 :: v_dual_mul_f32 v79, 0x3fb8aa3b, v79
	v_cndmask_b32_e64 v78, 0, v81, s15
	s_delay_alu instid0(VALU_DEP_2) | instskip(NEXT) | instid1(VALU_DEP_3)
	v_add_f32_e32 v81, v82, v77
	v_exp_f32_e32 v82, v79
	v_cndmask_b32_e64 v79, 0, v90, s16
	s_delay_alu instid0(VALU_DEP_2) | instskip(NEXT) | instid1(VALU_DEP_1)
	v_add_f32_e32 v81, v81, v78
	v_add_f32_e32 v90, v81, v79
	s_waitcnt_depctr 0xfff
	v_cndmask_b32_e64 v81, 0, v82, s17
	s_delay_alu instid0(VALU_DEP_1)
	v_add_f32_e32 v82, v90, v81
	ds_bpermute_b32 v89, v89, v82
	v_cmpx_gt_u32_e32 16, v67
	s_cbranch_execz .LBB1911_12
; %bb.11:
	v_mul_u32_u24_e32 v67, 0x44, v66
	s_delay_alu instid0(VALU_DEP_1) | instskip(SKIP_1) | instid1(VALU_DEP_1)
	v_lshl_add_u32 v67, v65, 2, v67
	s_waitcnt lgkmcnt(0)
	v_dual_add_f32 v82, v82, v89 :: v_dual_add_nc_u32 v67, 0x4000, v67
	ds_store_2addr_b32 v67, v68, v82 offset1:136
.LBB1911_12:
	s_or_b32 exec_lo, exec_lo, s2
	v_lshlrev_b32_e32 v67, 2, v65
	s_waitcnt lgkmcnt(0)
	s_barrier
	buffer_gl0_inv
	v_cmp_eq_u32_e32 vcc_lo, 1, v66
	v_add_nc_u32_e32 v82, 0x4000, v67
	v_cmp_eq_u32_e64 s2, 2, v66
	v_cmp_eq_u32_e64 s4, 7, v66
	ds_load_2addr_b32 v[89:90], v82 offset1:17
	ds_load_2addr_b32 v[91:92], v82 offset0:34 offset1:51
	ds_load_2addr_b32 v[93:94], v82 offset0:68 offset1:85
	;; [unrolled: 1-line block ×4, first 2 shown]
	s_waitcnt lgkmcnt(4)
	v_max3_f32 v67, v89, 0xff7fffff, v90
	s_waitcnt lgkmcnt(3)
	s_delay_alu instid0(VALU_DEP_1) | instskip(SKIP_1) | instid1(VALU_DEP_1)
	v_max3_f32 v67, v67, v91, v92
	s_waitcnt lgkmcnt(2)
	v_max3_f32 v67, v67, v93, v94
	s_waitcnt lgkmcnt(1)
	s_delay_alu instid0(VALU_DEP_1) | instskip(NEXT) | instid1(VALU_DEP_1)
	v_max3_f32 v67, v67, v95, v96
	v_sub_f32_e32 v93, v93, v67
	s_delay_alu instid0(VALU_DEP_1) | instskip(NEXT) | instid1(VALU_DEP_1)
	v_dual_sub_f32 v68, v89, v67 :: v_dual_mul_f32 v103, 0x3fb8aa3b, v93
	v_mul_f32_e32 v68, 0x3fb8aa3b, v68
	s_delay_alu instid0(VALU_DEP_1)
	v_exp_f32_e32 v100, v68
	v_sub_f32_e32 v68, v92, v67
	v_sub_f32_e32 v99, v90, v67
	ds_load_2addr_b32 v[89:90], v82 offset0:170 offset1:187
	v_dual_mul_f32 v102, 0x3fb8aa3b, v68 :: v_dual_mul_f32 v99, 0x3fb8aa3b, v99
	s_waitcnt lgkmcnt(1)
	v_fma_f32 v68, v100, v97, 0
	s_delay_alu instid0(VALU_DEP_2) | instskip(NEXT) | instid1(VALU_DEP_2)
	v_exp_f32_e32 v102, v102
	v_exp_f32_e32 v99, v99
	s_waitcnt_depctr 0xfff
	v_fmac_f32_e32 v68, v99, v98
	v_sub_f32_e32 v91, v91, v67
	s_delay_alu instid0(VALU_DEP_1)
	v_mul_f32_e32 v101, 0x3fb8aa3b, v91
	ds_load_2addr_b32 v[91:92], v82 offset0:204 offset1:221
	v_sub_f32_e32 v97, v94, v67
	ds_load_2addr_b32 v[93:94], v82 offset0:238 offset1:255
	s_waitcnt lgkmcnt(0)
	v_exp_f32_e32 v101, v101
	s_barrier
	buffer_gl0_inv
	v_dual_fmac_f32 v68, v101, v89 :: v_dual_sub_f32 v89, v96, v67
	v_dual_sub_f32 v82, v95, v67 :: v_dual_mul_f32 v95, 0x3fb8aa3b, v97
	v_exp_f32_e32 v97, v103
	s_delay_alu instid0(VALU_DEP_2) | instskip(NEXT) | instid1(VALU_DEP_2)
	v_dual_fmac_f32 v68, v102, v90 :: v_dual_mul_f32 v89, 0x3fb8aa3b, v89
	v_mul_f32_e32 v82, 0x3fb8aa3b, v82
	s_delay_alu instid0(VALU_DEP_3) | instskip(NEXT) | instid1(VALU_DEP_2)
	v_exp_f32_e32 v95, v95
	v_exp_f32_e32 v89, v89
	s_delay_alu instid0(VALU_DEP_1)
	v_exp_f32_e32 v82, v82
	v_fmac_f32_e32 v68, v97, v91
	s_delay_alu instid0(TRANS32_DEP_3) | instid1(VALU_DEP_1)
	v_fmac_f32_e32 v68, v95, v92
	s_waitcnt_depctr 0xfff
	v_fmac_f32_e32 v68, v82, v93
	s_delay_alu instid0(VALU_DEP_1) | instskip(NEXT) | instid1(VALU_DEP_1)
	v_fmac_f32_e32 v68, v89, v94
	v_add_f32_e32 v90, 0x358637bd, v68
	s_delay_alu instid0(VALU_DEP_1) | instskip(NEXT) | instid1(VALU_DEP_1)
	v_div_scale_f32 v91, null, v90, v90, 1.0
	v_rcp_f32_e32 v92, v91
	s_waitcnt_depctr 0xfff
	v_fma_f32 v93, -v91, v92, 1.0
	s_delay_alu instid0(VALU_DEP_1) | instskip(SKIP_1) | instid1(VALU_DEP_2)
	v_dual_fmac_f32 v92, v93, v92 :: v_dual_cndmask_b32 v93, v100, v99
	v_cmp_eq_u32_e32 vcc_lo, 3, v66
	v_cndmask_b32_e64 v93, v93, v101, s2
	v_cmp_eq_u32_e64 s2, 4, v66
	s_delay_alu instid0(VALU_DEP_2) | instskip(SKIP_1) | instid1(VALU_DEP_2)
	v_cndmask_b32_e32 v93, v93, v102, vcc_lo
	v_cmp_eq_u32_e32 vcc_lo, 5, v66
	v_cndmask_b32_e64 v93, v93, v97, s2
	v_cmp_eq_u32_e64 s2, 6, v66
	s_delay_alu instid0(VALU_DEP_2) | instskip(SKIP_1) | instid1(VALU_DEP_1)
	v_cndmask_b32_e32 v93, v93, v95, vcc_lo
	v_div_scale_f32 v94, s3, 1.0, v90, 1.0
	s_mov_b32 vcc_lo, s3
	s_delay_alu instid0(VALU_DEP_2) | instskip(NEXT) | instid1(VALU_DEP_2)
	v_cndmask_b32_e64 v82, v93, v82, s2
	v_mul_f32_e32 v96, v94, v92
	s_mov_b32 s2, exec_lo
	s_delay_alu instid0(VALU_DEP_2) | instskip(NEXT) | instid1(VALU_DEP_2)
	v_cndmask_b32_e64 v82, v82, v89, s4
	v_fma_f32 v98, -v91, v96, v94
	s_delay_alu instid0(VALU_DEP_1) | instskip(NEXT) | instid1(VALU_DEP_1)
	v_fmac_f32_e32 v96, v98, v92
	v_fma_f32 v91, -v91, v96, v94
	s_delay_alu instid0(VALU_DEP_1) | instskip(NEXT) | instid1(VALU_DEP_1)
	v_div_fmas_f32 v91, v91, v92, v96
	v_div_fixup_f32 v90, v91, v90, 1.0
	s_delay_alu instid0(VALU_DEP_1) | instskip(NEXT) | instid1(VALU_DEP_1)
	v_mul_f32_e32 v82, v82, v90
	v_mul_f32_e32 v87, v82, v87
	;; [unrolled: 1-line block ×7, first 2 shown]
	v_dual_mul_f32 v86, v82, v83 :: v_dual_and_b32 v91, 0x7f800000, v90
	v_mul_f32_e32 v85, v82, v76
                                        ; implicit-def: $vgpr76
	s_delay_alu instid0(VALU_DEP_2)
	v_cmpx_ne_u32_e32 0x7f800000, v91
	s_xor_b32 s2, exec_lo, s2
; %bb.13:
	v_bfe_u32 v76, v90, 16, 1
	s_delay_alu instid0(VALU_DEP_1)
	v_add3_u32 v76, v90, v76, 0x7fff
                                        ; implicit-def: $vgpr90
; %bb.14:
	s_and_not1_saveexec_b32 s2, s2
; %bb.15:
	v_and_b32_e32 v76, 0xffff, v90
	v_or_b32_e32 v83, 0x10000, v90
	s_delay_alu instid0(VALU_DEP_2) | instskip(NEXT) | instid1(VALU_DEP_2)
	v_cmp_eq_u32_e32 vcc_lo, 0, v76
	v_cndmask_b32_e32 v76, v83, v90, vcc_lo
; %bb.16:
	s_or_b32 exec_lo, exec_lo, s2
	v_and_b32_e32 v83, 0x7f800000, v85
	s_delay_alu instid0(VALU_DEP_1) | instskip(SKIP_1) | instid1(SALU_CYCLE_1)
	v_cmp_ne_u32_e32 vcc_lo, 0x7f800000, v83
                                        ; implicit-def: $vgpr83
	s_and_saveexec_b32 s2, vcc_lo
	s_xor_b32 s2, exec_lo, s2
; %bb.17:
	v_bfe_u32 v83, v85, 16, 1
	s_delay_alu instid0(VALU_DEP_1)
	v_add3_u32 v83, v85, v83, 0x7fff
                                        ; implicit-def: $vgpr85
; %bb.18:
	s_and_not1_saveexec_b32 s2, s2
; %bb.19:
	v_and_b32_e32 v83, 0xffff, v85
	v_or_b32_e32 v90, 0x10000, v85
	s_delay_alu instid0(VALU_DEP_2) | instskip(NEXT) | instid1(VALU_DEP_2)
	v_cmp_eq_u32_e32 vcc_lo, 0, v83
	v_cndmask_b32_e32 v83, v90, v85, vcc_lo
; %bb.20:
	s_or_b32 exec_lo, exec_lo, s2
	v_and_b32_e32 v85, 0x7f800000, v86
	s_delay_alu instid0(VALU_DEP_1) | instskip(SKIP_1) | instid1(SALU_CYCLE_1)
	v_cmp_ne_u32_e32 vcc_lo, 0x7f800000, v85
                                        ; implicit-def: $vgpr85
	s_and_saveexec_b32 s2, vcc_lo
	s_xor_b32 s2, exec_lo, s2
; %bb.21:
	v_bfe_u32 v85, v86, 16, 1
	s_delay_alu instid0(VALU_DEP_1)
	v_add3_u32 v85, v86, v85, 0x7fff
                                        ; implicit-def: $vgpr86
; %bb.22:
	s_and_not1_saveexec_b32 s2, s2
; %bb.23:
	v_and_b32_e32 v85, 0xffff, v86
	v_or_b32_e32 v90, 0x10000, v86
	s_delay_alu instid0(VALU_DEP_2) | instskip(NEXT) | instid1(VALU_DEP_2)
	v_cmp_eq_u32_e32 vcc_lo, 0, v85
	v_cndmask_b32_e32 v85, v90, v86, vcc_lo
; %bb.24:
	s_or_b32 exec_lo, exec_lo, s2
	v_and_b32_e32 v86, 0x7f800000, v89
	s_delay_alu instid0(VALU_DEP_1) | instskip(SKIP_1) | instid1(SALU_CYCLE_1)
	v_cmp_ne_u32_e32 vcc_lo, 0x7f800000, v86
                                        ; implicit-def: $vgpr86
	s_and_saveexec_b32 s2, vcc_lo
	s_xor_b32 s2, exec_lo, s2
; %bb.25:
	v_bfe_u32 v86, v89, 16, 1
	s_delay_alu instid0(VALU_DEP_1)
	v_add3_u32 v86, v89, v86, 0x7fff
                                        ; implicit-def: $vgpr89
; %bb.26:
	s_and_not1_saveexec_b32 s2, s2
; %bb.27:
	v_and_b32_e32 v86, 0xffff, v89
	v_or_b32_e32 v90, 0x10000, v89
	s_delay_alu instid0(VALU_DEP_2) | instskip(NEXT) | instid1(VALU_DEP_2)
	v_cmp_eq_u32_e32 vcc_lo, 0, v86
	v_cndmask_b32_e32 v86, v90, v89, vcc_lo
; %bb.28:
	s_or_b32 exec_lo, exec_lo, s2
	v_and_b32_e32 v89, 0x7f800000, v88
	s_delay_alu instid0(VALU_DEP_1) | instskip(SKIP_1) | instid1(SALU_CYCLE_1)
	v_cmp_ne_u32_e32 vcc_lo, 0x7f800000, v89
                                        ; implicit-def: $vgpr89
	s_and_saveexec_b32 s2, vcc_lo
	s_xor_b32 s2, exec_lo, s2
; %bb.29:
	v_bfe_u32 v89, v88, 16, 1
	s_delay_alu instid0(VALU_DEP_1)
	v_add3_u32 v89, v88, v89, 0x7fff
                                        ; implicit-def: $vgpr88
; %bb.30:
	s_and_not1_saveexec_b32 s2, s2
; %bb.31:
	v_and_b32_e32 v89, 0xffff, v88
	v_or_b32_e32 v90, 0x10000, v88
	s_delay_alu instid0(VALU_DEP_2) | instskip(NEXT) | instid1(VALU_DEP_2)
	v_cmp_eq_u32_e32 vcc_lo, 0, v89
	v_cndmask_b32_e32 v89, v90, v88, vcc_lo
; %bb.32:
	s_or_b32 exec_lo, exec_lo, s2
	v_and_b32_e32 v88, 0x7f800000, v87
	s_delay_alu instid0(VALU_DEP_1) | instskip(SKIP_1) | instid1(SALU_CYCLE_1)
	v_cmp_ne_u32_e32 vcc_lo, 0x7f800000, v88
                                        ; implicit-def: $vgpr88
	s_and_saveexec_b32 s2, vcc_lo
	s_xor_b32 s2, exec_lo, s2
; %bb.33:
	v_bfe_u32 v88, v87, 16, 1
	s_delay_alu instid0(VALU_DEP_1)
	v_add3_u32 v88, v87, v88, 0x7fff
                                        ; implicit-def: $vgpr87
; %bb.34:
	s_and_not1_saveexec_b32 s2, s2
; %bb.35:
	v_and_b32_e32 v88, 0xffff, v87
	v_or_b32_e32 v90, 0x10000, v87
	s_delay_alu instid0(VALU_DEP_2) | instskip(NEXT) | instid1(VALU_DEP_2)
	v_cmp_eq_u32_e32 vcc_lo, 0, v88
	v_cndmask_b32_e32 v88, v90, v87, vcc_lo
; %bb.36:
	s_or_b32 exec_lo, exec_lo, s2
	v_and_b32_e32 v87, 0x7f800000, v84
	s_delay_alu instid0(VALU_DEP_1) | instskip(SKIP_1) | instid1(SALU_CYCLE_1)
	v_cmp_ne_u32_e32 vcc_lo, 0x7f800000, v87
                                        ; implicit-def: $vgpr87
	s_and_saveexec_b32 s2, vcc_lo
	s_xor_b32 s2, exec_lo, s2
; %bb.37:
	v_bfe_u32 v87, v84, 16, 1
	s_delay_alu instid0(VALU_DEP_1)
	v_add3_u32 v87, v84, v87, 0x7fff
                                        ; implicit-def: $vgpr84
; %bb.38:
	s_and_not1_saveexec_b32 s2, s2
; %bb.39:
	v_and_b32_e32 v87, 0xffff, v84
	v_or_b32_e32 v90, 0x10000, v84
	s_delay_alu instid0(VALU_DEP_2) | instskip(NEXT) | instid1(VALU_DEP_2)
	v_cmp_eq_u32_e32 vcc_lo, 0, v87
	v_cndmask_b32_e32 v87, v90, v84, vcc_lo
; %bb.40:
	s_or_b32 exec_lo, exec_lo, s2
	v_and_b32_e32 v84, 0x7f800000, v80
	s_delay_alu instid0(VALU_DEP_1) | instskip(SKIP_1) | instid1(SALU_CYCLE_1)
	v_cmp_ne_u32_e32 vcc_lo, 0x7f800000, v84
                                        ; implicit-def: $vgpr84
	s_and_saveexec_b32 s2, vcc_lo
	s_xor_b32 s2, exec_lo, s2
; %bb.41:
	v_bfe_u32 v84, v80, 16, 1
	s_delay_alu instid0(VALU_DEP_1)
	v_add3_u32 v84, v80, v84, 0x7fff
                                        ; implicit-def: $vgpr80
; %bb.42:
	s_and_not1_saveexec_b32 s2, s2
; %bb.43:
	v_and_b32_e32 v84, 0xffff, v80
	v_or_b32_e32 v90, 0x10000, v80
	s_delay_alu instid0(VALU_DEP_2) | instskip(NEXT) | instid1(VALU_DEP_2)
	v_cmp_eq_u32_e32 vcc_lo, 0, v84
	v_cndmask_b32_e32 v84, v90, v80, vcc_lo
; %bb.44:
	s_or_b32 exec_lo, exec_lo, s2
	s_load_b64 s[34:35], s[0:1], 0x94
	v_lshlrev_b32_e32 v91, 4, v74
	s_delay_alu instid0(VALU_DEP_2)
	v_perm_b32 v90, v84, v87, 0x7060302
	v_dual_mul_f32 v79, v82, v79 :: v_dual_lshlrev_b32 v80, 6, v65
	v_dual_mul_f32 v77, v82, v77 :: v_dual_lshlrev_b32 v92, 11, v66
	v_mul_f32_e32 v84, v82, v70
	v_perm_b32 v89, v88, v89, 0x7060302
	v_perm_b32 v88, v86, v85, 0x7060302
	;; [unrolled: 1-line block ×3, first 2 shown]
	v_mul_f32_e32 v70, v82, v81
	v_or3_b32 v76, v91, v92, v80
	v_dual_mul_f32 v78, v82, v78 :: v_dual_and_b32 v85, 0x7f800000, v84
	v_mul_f32_e32 v83, v82, v72
	v_mul_f32_e32 v81, v82, v71
	;; [unrolled: 1-line block ×3, first 2 shown]
	s_mov_b32 s2, exec_lo
	ds_store_b128 v76, v[87:90]
                                        ; implicit-def: $vgpr69
	v_cmpx_ne_u32_e32 0x7f800000, v85
	s_xor_b32 s2, exec_lo, s2
; %bb.45:
	v_bfe_u32 v69, v84, 16, 1
	s_delay_alu instid0(VALU_DEP_1)
	v_add3_u32 v69, v84, v69, 0x7fff
                                        ; implicit-def: $vgpr84
; %bb.46:
	s_and_not1_saveexec_b32 s2, s2
; %bb.47:
	v_and_b32_e32 v69, 0xffff, v84
	v_or_b32_e32 v71, 0x10000, v84
	s_delay_alu instid0(VALU_DEP_2) | instskip(NEXT) | instid1(VALU_DEP_2)
	v_cmp_eq_u32_e32 vcc_lo, 0, v69
	v_cndmask_b32_e32 v69, v71, v84, vcc_lo
; %bb.48:
	s_or_b32 exec_lo, exec_lo, s2
	v_and_b32_e32 v71, 0x7f800000, v72
	s_delay_alu instid0(VALU_DEP_1) | instskip(SKIP_1) | instid1(SALU_CYCLE_1)
	v_cmp_ne_u32_e32 vcc_lo, 0x7f800000, v71
                                        ; implicit-def: $vgpr71
	s_and_saveexec_b32 s2, vcc_lo
	s_xor_b32 s2, exec_lo, s2
; %bb.49:
	v_bfe_u32 v71, v72, 16, 1
	s_delay_alu instid0(VALU_DEP_1)
	v_add3_u32 v71, v72, v71, 0x7fff
                                        ; implicit-def: $vgpr72
; %bb.50:
	s_and_not1_saveexec_b32 s2, s2
; %bb.51:
	v_and_b32_e32 v71, 0xffff, v72
	v_or_b32_e32 v82, 0x10000, v72
	s_delay_alu instid0(VALU_DEP_2) | instskip(NEXT) | instid1(VALU_DEP_2)
	v_cmp_eq_u32_e32 vcc_lo, 0, v71
	v_cndmask_b32_e32 v71, v82, v72, vcc_lo
; %bb.52:
	s_or_b32 exec_lo, exec_lo, s2
	v_and_b32_e32 v72, 0x7f800000, v81
	s_delay_alu instid0(VALU_DEP_1) | instskip(SKIP_1) | instid1(SALU_CYCLE_1)
	v_cmp_ne_u32_e32 vcc_lo, 0x7f800000, v72
                                        ; implicit-def: $vgpr72
	s_and_saveexec_b32 s2, vcc_lo
	s_xor_b32 s2, exec_lo, s2
; %bb.53:
	v_bfe_u32 v72, v81, 16, 1
	s_delay_alu instid0(VALU_DEP_1)
	v_add3_u32 v72, v81, v72, 0x7fff
                                        ; implicit-def: $vgpr81
; %bb.54:
	s_and_not1_saveexec_b32 s2, s2
; %bb.55:
	v_and_b32_e32 v72, 0xffff, v81
	v_or_b32_e32 v82, 0x10000, v81
	s_delay_alu instid0(VALU_DEP_2) | instskip(NEXT) | instid1(VALU_DEP_2)
	v_cmp_eq_u32_e32 vcc_lo, 0, v72
	v_cndmask_b32_e32 v72, v82, v81, vcc_lo
; %bb.56:
	s_or_b32 exec_lo, exec_lo, s2
	v_and_b32_e32 v81, 0x7f800000, v83
	s_delay_alu instid0(VALU_DEP_1) | instskip(SKIP_1) | instid1(SALU_CYCLE_1)
	v_cmp_ne_u32_e32 vcc_lo, 0x7f800000, v81
                                        ; implicit-def: $vgpr81
	s_and_saveexec_b32 s2, vcc_lo
	s_xor_b32 s2, exec_lo, s2
; %bb.57:
	v_bfe_u32 v81, v83, 16, 1
	s_delay_alu instid0(VALU_DEP_1)
	v_add3_u32 v81, v83, v81, 0x7fff
                                        ; implicit-def: $vgpr83
; %bb.58:
	s_and_not1_saveexec_b32 s2, s2
; %bb.59:
	v_and_b32_e32 v81, 0xffff, v83
	v_or_b32_e32 v82, 0x10000, v83
	s_delay_alu instid0(VALU_DEP_2) | instskip(NEXT) | instid1(VALU_DEP_2)
	v_cmp_eq_u32_e32 vcc_lo, 0, v81
	v_cndmask_b32_e32 v81, v82, v83, vcc_lo
; %bb.60:
	s_or_b32 exec_lo, exec_lo, s2
	v_and_b32_e32 v82, 0x7f800000, v77
	s_delay_alu instid0(VALU_DEP_1) | instskip(SKIP_1) | instid1(SALU_CYCLE_1)
	v_cmp_ne_u32_e32 vcc_lo, 0x7f800000, v82
                                        ; implicit-def: $vgpr82
	s_and_saveexec_b32 s2, vcc_lo
	s_xor_b32 s2, exec_lo, s2
; %bb.61:
	v_bfe_u32 v82, v77, 16, 1
	s_delay_alu instid0(VALU_DEP_1)
	v_add3_u32 v82, v77, v82, 0x7fff
                                        ; implicit-def: $vgpr77
; %bb.62:
	s_and_not1_saveexec_b32 s2, s2
; %bb.63:
	v_and_b32_e32 v82, 0xffff, v77
	v_or_b32_e32 v83, 0x10000, v77
	s_delay_alu instid0(VALU_DEP_2) | instskip(NEXT) | instid1(VALU_DEP_2)
	v_cmp_eq_u32_e32 vcc_lo, 0, v82
	v_cndmask_b32_e32 v82, v83, v77, vcc_lo
; %bb.64:
	s_or_b32 exec_lo, exec_lo, s2
	v_and_b32_e32 v77, 0x7f800000, v78
	s_delay_alu instid0(VALU_DEP_1) | instskip(SKIP_1) | instid1(SALU_CYCLE_1)
	v_cmp_ne_u32_e32 vcc_lo, 0x7f800000, v77
                                        ; implicit-def: $vgpr77
	s_and_saveexec_b32 s2, vcc_lo
	s_xor_b32 s2, exec_lo, s2
; %bb.65:
	v_bfe_u32 v77, v78, 16, 1
	s_delay_alu instid0(VALU_DEP_1)
	v_add3_u32 v77, v78, v77, 0x7fff
                                        ; implicit-def: $vgpr78
; %bb.66:
	s_and_not1_saveexec_b32 s2, s2
; %bb.67:
	v_and_b32_e32 v77, 0xffff, v78
	v_or_b32_e32 v83, 0x10000, v78
	s_delay_alu instid0(VALU_DEP_2) | instskip(NEXT) | instid1(VALU_DEP_2)
	v_cmp_eq_u32_e32 vcc_lo, 0, v77
	v_cndmask_b32_e32 v77, v83, v78, vcc_lo
; %bb.68:
	s_or_b32 exec_lo, exec_lo, s2
	v_and_b32_e32 v78, 0x7f800000, v79
	s_delay_alu instid0(VALU_DEP_1) | instskip(SKIP_1) | instid1(SALU_CYCLE_1)
	v_cmp_ne_u32_e32 vcc_lo, 0x7f800000, v78
                                        ; implicit-def: $vgpr78
	s_and_saveexec_b32 s2, vcc_lo
	s_xor_b32 s2, exec_lo, s2
; %bb.69:
	v_bfe_u32 v78, v79, 16, 1
	s_delay_alu instid0(VALU_DEP_1)
	v_add3_u32 v78, v79, v78, 0x7fff
                                        ; implicit-def: $vgpr79
; %bb.70:
	s_and_not1_saveexec_b32 s2, s2
; %bb.71:
	v_and_b32_e32 v78, 0xffff, v79
	v_or_b32_e32 v83, 0x10000, v79
	s_delay_alu instid0(VALU_DEP_2) | instskip(NEXT) | instid1(VALU_DEP_2)
	v_cmp_eq_u32_e32 vcc_lo, 0, v78
	v_cndmask_b32_e32 v78, v83, v79, vcc_lo
; %bb.72:
	s_or_b32 exec_lo, exec_lo, s2
	v_and_b32_e32 v79, 0x7f800000, v70
	s_delay_alu instid0(VALU_DEP_1) | instskip(SKIP_1) | instid1(SALU_CYCLE_1)
	v_cmp_ne_u32_e32 vcc_lo, 0x7f800000, v79
                                        ; implicit-def: $vgpr79
	s_and_saveexec_b32 s2, vcc_lo
	s_xor_b32 s2, exec_lo, s2
; %bb.73:
	v_bfe_u32 v79, v70, 16, 1
	s_delay_alu instid0(VALU_DEP_1)
	v_add3_u32 v79, v70, v79, 0x7fff
                                        ; implicit-def: $vgpr70
; %bb.74:
	s_and_not1_saveexec_b32 s2, s2
; %bb.75:
	v_and_b32_e32 v79, 0xffff, v70
	v_or_b32_e32 v83, 0x10000, v70
	s_delay_alu instid0(VALU_DEP_2) | instskip(NEXT) | instid1(VALU_DEP_2)
	v_cmp_eq_u32_e32 vcc_lo, 0, v79
	v_cndmask_b32_e32 v79, v83, v70, vcc_lo
; %bb.76:
	s_or_b32 exec_lo, exec_lo, s2
	s_delay_alu instid0(VALU_DEP_1)
	v_perm_b32 v86, v79, v78, 0x7060302
	v_perm_b32 v85, v77, v82, 0x7060302
	;; [unrolled: 1-line block ×4, first 2 shown]
	v_lshl_or_b32 v82, v66, 11, v80
	ds_store_b128 v76, v[83:86] offset:1024
	s_waitcnt lgkmcnt(0)
	s_barrier
	buffer_gl0_inv
	ds_load_b128 v[69:72], v82
	ds_load_b128 v[83:86], v82 offset:16
	s_waitcnt lgkmcnt(1)
	v_lshrrev_b32_e32 v66, 16, v69
	s_waitcnt lgkmcnt(0)
	v_lshrrev_b32_e32 v91, 16, v83
	v_lshlrev_b32_e32 v78, 2, v74
	v_lshrrev_b32_e32 v95, 16, v70
	v_lshrrev_b32_e32 v98, 16, v84
	;; [unrolled: 1-line block ×4, first 2 shown]
	v_cmp_eq_u32_e32 vcc_lo, 1, v78
	v_lshrrev_b32_e32 v97, 16, v72
	v_lshrrev_b32_e32 v100, 16, v86
	v_cndmask_b32_e32 v87, v83, v91, vcc_lo
	v_or_b32_e32 v79, 1, v78
	v_cndmask_b32_e32 v81, v69, v66, vcc_lo
	v_cmp_eq_u32_e64 s3, 2, v78
	v_cmp_eq_u32_e64 s6, 3, v78
	;; [unrolled: 1-line block ×5, first 2 shown]
	v_cndmask_b32_e64 v81, v81, v70, s3
	v_cndmask_b32_e64 v87, v87, v84, s3
	v_cmp_eq_u32_e64 s7, 3, v79
	v_cndmask_b32_e64 v88, v69, v66, s2
	v_or_b32_e32 v77, 2, v78
	v_cndmask_b32_e64 v81, v81, v95, s6
	v_cndmask_b32_e64 v87, v87, v98, s6
	;; [unrolled: 1-line block ×4, first 2 shown]
	v_cmp_eq_u32_e64 s9, 5, v78
	v_cndmask_b32_e64 v81, v81, v71, s8
	v_cndmask_b32_e64 v87, v87, v85, s8
	v_cmp_eq_u32_e64 s10, 4, v79
	v_cndmask_b32_e64 v88, v88, v95, s7
	v_cmp_eq_u32_e64 s4, 1, v77
	v_cndmask_b32_e64 v89, v89, v84, s5
	v_cndmask_b32_e64 v81, v81, v96, s9
	v_cmp_eq_u32_e64 s11, 6, v78
	v_cndmask_b32_e64 v88, v88, v71, s10
	;; [unrolled: 3-line block ×3, first 2 shown]
	v_cndmask_b32_e64 v89, v89, v98, s7
	v_cndmask_b32_e64 v81, v81, v72, s11
	v_cmp_eq_u32_e64 s13, 7, v78
	v_cndmask_b32_e64 v88, v88, v96, s12
	v_cndmask_b32_e64 v87, v87, v86, s11
	v_cmp_eq_u32_e64 s15, 6, v79
	v_cmp_eq_u32_e64 s16, 2, v77
	v_cndmask_b32_e64 v89, v89, v85, s10
	v_cndmask_b32_e64 v101, v81, v97, s13
	;; [unrolled: 1-line block ×6, first 2 shown]
	v_cmp_eq_u32_e64 s17, 7, v79
	v_cmp_eq_u32_e64 s18, 3, v77
	;; [unrolled: 1-line block ×4, first 2 shown]
	v_cndmask_b32_e64 v87, v87, v84, s16
	v_cndmask_b32_e64 v103, v88, v97, s17
	;; [unrolled: 1-line block ×4, first 2 shown]
	v_or_b32_e32 v81, 3, v78
	v_cndmask_b32_e64 v93, v87, v98, s18
	v_cmp_eq_u32_e64 s23, 6, v77
	v_cndmask_b32_e64 v104, v88, v86, s15
	v_cndmask_b32_e64 v92, v89, v71, s19
	v_cmp_eq_u32_e64 s20, 1, v81
	ds_load_b128 v[87:90], v82 offset:1024
	v_cmp_eq_u32_e64 s22, 2, v81
	v_cmp_eq_u32_e64 s24, 3, v81
	v_cndmask_b32_e64 v105, v92, v96, s21
	v_cndmask_b32_e64 v66, v69, v66, s20
	;; [unrolled: 1-line block ×4, first 2 shown]
	ds_load_b128 v[91:94], v82 offset:1040
	v_cmp_eq_u32_e64 s25, 4, v81
	v_cndmask_b32_e64 v66, v66, v70, s22
	v_cmp_eq_u32_e64 s26, 7, v77
	v_cndmask_b32_e64 v70, v83, v84, s22
	v_cndmask_b32_e64 v84, v105, v72, s23
	v_cmp_eq_u32_e64 s27, 5, v81
	v_cndmask_b32_e64 v66, v66, v95, s24
	v_cmp_eq_u32_e64 s28, 6, v81
	v_cndmask_b32_e64 v70, v70, v98, s24
	v_cndmask_b32_e64 v69, v69, v99, s21
	;; [unrolled: 1-line block ×4, first 2 shown]
	s_waitcnt lgkmcnt(1)
	v_lshrrev_b32_e32 v95, 16, v87
	v_cndmask_b32_e64 v70, v70, v85, s25
	v_cndmask_b32_e64 v71, v84, v97, s26
	v_cndmask_b32_e64 v69, v69, v86, s23
	v_cndmask_b32_e64 v66, v66, v96, s27
	v_cndmask_b32_e32 v84, v87, v95, vcc_lo
	v_cndmask_b32_e64 v70, v70, v99, s27
	s_waitcnt lgkmcnt(0)
	v_lshrrev_b32_e32 v85, 16, v91
	v_lshrrev_b32_e32 v96, 16, v88
	v_cndmask_b32_e64 v98, v87, v95, s2
	v_cndmask_b32_e64 v84, v84, v88, s3
	;; [unrolled: 1-line block ×3, first 2 shown]
	v_cndmask_b32_e32 v99, v91, v85, vcc_lo
	v_cmp_eq_u32_e32 vcc_lo, 7, v81
	v_cndmask_b32_e64 v66, v66, v72, s28
	v_cndmask_b32_e64 v72, v84, v96, s6
	;; [unrolled: 1-line block ×3, first 2 shown]
	v_lshrrev_b32_e32 v98, 16, v92
	v_cndmask_b32_e32 v70, v70, v100, vcc_lo
	v_cndmask_b32_e64 v86, v99, v92, s3
	v_cndmask_b32_e64 v69, v69, v100, s26
	v_lshrrev_b32_e32 v100, 16, v93
	v_cndmask_b32_e64 v72, v72, v89, s8
	v_lshrrev_b32_e32 v99, 16, v89
	v_cndmask_b32_e64 v86, v86, v98, s6
	v_perm_b32 v71, v69, v71, 0x5040100
	v_cndmask_b32_e64 v84, v84, v96, s7
	s_delay_alu instid0(VALU_DEP_3) | instskip(NEXT) | instid1(VALU_DEP_2)
	v_cndmask_b32_e64 v86, v86, v93, s8
	v_cndmask_b32_e64 v84, v84, v89, s10
	s_delay_alu instid0(VALU_DEP_2) | instskip(NEXT) | instid1(VALU_DEP_1)
	v_cndmask_b32_e64 v86, v86, v100, s9
	v_cndmask_b32_e64 v69, v86, v94, s11
	;; [unrolled: 1-line block ×5, first 2 shown]
	s_delay_alu instid0(VALU_DEP_3) | instskip(NEXT) | instid1(VALU_DEP_3)
	v_cndmask_b32_e64 v86, v86, v88, s16
	v_cndmask_b32_e64 v87, v87, v88, s22
	s_delay_alu instid0(VALU_DEP_3) | instskip(NEXT) | instid1(VALU_DEP_3)
	v_cndmask_b32_e64 v88, v95, v92, s22
	v_cndmask_b32_e64 v86, v86, v96, s18
	;; [unrolled: 3-line block ×7, first 2 shown]
	s_delay_alu instid0(VALU_DEP_3) | instskip(SKIP_2) | instid1(VALU_DEP_2)
	v_cndmask_b32_e64 v88, v88, v94, s28
	v_cndmask_b32_e32 v66, v66, v97, vcc_lo
	v_cndmask_b32_e64 v97, v72, v99, s9
	v_perm_b32 v72, v70, v66, 0x5040100
	v_perm_b32 v70, v83, v103, 0x5040100
	v_cndmask_b32_e64 v103, v91, v85, s4
	v_cndmask_b32_e64 v85, v91, v85, s2
	;; [unrolled: 1-line block ×4, first 2 shown]
	v_lshrrev_b32_e32 v97, 16, v90
	v_cndmask_b32_e64 v91, v103, v92, s16
	v_cndmask_b32_e64 v85, v85, v92, s5
	;; [unrolled: 1-line block ×3, first 2 shown]
	s_mov_b32 s2, exec_lo
	v_cndmask_b32_e64 v83, v84, v97, s13
	v_cndmask_b32_e64 v91, v91, v98, s18
	;; [unrolled: 1-line block ×3, first 2 shown]
	v_lshrrev_b32_e32 v84, 16, v94
	v_cndmask_b32_e64 v66, v66, v97, s17
	v_cndmask_b32_e64 v90, v86, v97, s26
	v_cndmask_b32_e64 v89, v91, v93, s19
	v_cndmask_b32_e64 v85, v85, v93, s10
	v_dual_cndmask_b32 v86, v87, v97 :: v_dual_cndmask_b32 v87, v88, v84
	v_cndmask_b32_e64 v91, v69, v84, s13
	s_delay_alu instid0(VALU_DEP_4) | instskip(NEXT) | instid1(VALU_DEP_4)
	v_cndmask_b32_e64 v89, v89, v100, s21
	v_cndmask_b32_e64 v85, v85, v100, s12
	v_perm_b32 v69, v102, v101, 0x5040100
	v_perm_b32 v86, v87, v86, 0x5040100
	;; [unrolled: 1-line block ×3, first 2 shown]
	v_cndmask_b32_e64 v89, v89, v94, s23
	v_cndmask_b32_e64 v85, v85, v94, s15
	s_mul_i32 s7, s35, 10
	s_delay_alu instid0(VALU_DEP_2) | instskip(NEXT) | instid1(VALU_DEP_2)
	v_cndmask_b32_e64 v88, v89, v84, s26
	v_cndmask_b32_e64 v89, v85, v84, s17
	s_delay_alu instid0(VALU_DEP_2) | instskip(NEXT) | instid1(VALU_DEP_2)
	v_perm_b32 v85, v88, v90, 0x5040100
	v_perm_b32 v84, v89, v66, 0x5040100
	ds_store_b128 v76, v[69:72]
	ds_store_b128 v76, v[83:86] offset:1024
	v_cmpx_gt_u32_e32 10, v0
	s_cbranch_execz .LBB1911_78
; %bb.77:
	s_mul_i32 s3, s7, s30
	s_load_b128 s[8:11], s[0:1], 0x58
	v_add3_u32 v69, s3, s29, v65
	s_delay_alu instid0(VALU_DEP_1) | instskip(NEXT) | instid1(VALU_DEP_1)
	v_mad_u64_u32 v[65:66], null, v69, s34, s[14:15]
	v_ashrrev_i32_e32 v66, 31, v65
	s_delay_alu instid0(VALU_DEP_1) | instskip(SKIP_1) | instid1(VALU_DEP_1)
	v_lshlrev_b64 v[65:66], 2, v[65:66]
	s_waitcnt lgkmcnt(0)
	v_add_co_u32 v69, vcc_lo, s10, v65
	s_delay_alu instid0(VALU_DEP_2)
	v_add_co_ci_u32_e32 v70, vcc_lo, s11, v66, vcc_lo
	v_add_co_u32 v65, vcc_lo, s8, v65
	v_add_co_ci_u32_e32 v66, vcc_lo, s9, v66, vcc_lo
	global_store_b32 v[69:70], v67, off
	global_store_b32 v[65:66], v68, off
.LBB1911_78:
	s_or_b32 exec_lo, exec_lo, s2
	s_waitcnt lgkmcnt(0)
	s_waitcnt_vscnt null, 0x0
	s_barrier
	buffer_gl0_inv
	ds_load_b128 v[83:86], v80
	ds_load_b128 v[87:90], v80 offset:16
	ds_load_b128 v[95:98], v80 offset:2064
	;; [unrolled: 1-line block ×3, first 2 shown]
	v_mov_b32_e32 v65, 0
	ds_load_b128 v[103:106], v80 offset:4112
	ds_load_b128 v[99:102], v80 offset:4096
	;; [unrolled: 1-line block ×4, first 2 shown]
	v_mov_b32_e32 v66, v65
	v_mov_b32_e32 v67, v65
	;; [unrolled: 1-line block ×7, first 2 shown]
	s_waitcnt lgkmcnt(6)
	s_delay_alu instid0(VALU_DEP_1)
	v_wmma_f32_16x16x16_bf16 v[65:72], v[49:56], v[83:90], v[65:72]
	ds_load_b128 v[53:56], v80 offset:8208
	ds_load_b128 v[49:52], v80 offset:8192
	s_waitcnt lgkmcnt(6)
	v_wmma_f32_16x16x16_bf16 v[65:72], v[41:48], v[91:98], v[65:72]
	ds_load_b128 v[45:48], v80 offset:10256
	ds_load_b128 v[41:44], v80 offset:10240
	s_waitcnt lgkmcnt(6)
	;; [unrolled: 4-line block ×4, first 2 shown]
	v_wmma_f32_16x16x16_bf16 v[65:72], v[1:8], v[49:56], v[65:72]
	s_waitcnt lgkmcnt(4)
	s_delay_alu instid0(VALU_DEP_1) | instskip(SKIP_1) | instid1(VALU_DEP_1)
	v_wmma_f32_16x16x16_bf16 v[65:72], v[9:16], v[41:48], v[65:72]
	s_waitcnt lgkmcnt(2)
	v_wmma_f32_16x16x16_bf16 v[65:72], v[17:24], v[33:40], v[65:72]
	s_waitcnt lgkmcnt(0)
	s_delay_alu instid0(VALU_DEP_1) | instskip(NEXT) | instid1(VALU_DEP_1)
	v_wmma_f32_16x16x16_bf16 v[65:72], v[57:64], v[25:32], v[65:72]
	v_and_b32_e32 v1, 0x7f800000, v65
	s_delay_alu instid0(VALU_DEP_1) | instskip(SKIP_1) | instid1(SALU_CYCLE_1)
	v_cmp_ne_u32_e32 vcc_lo, 0x7f800000, v1
                                        ; implicit-def: $vgpr1
	s_and_saveexec_b32 s2, vcc_lo
	s_xor_b32 s2, exec_lo, s2
; %bb.79:
	v_bfe_u32 v1, v65, 16, 1
	s_delay_alu instid0(VALU_DEP_1)
	v_add3_u32 v1, v65, v1, 0x7fff
; %bb.80:
	s_and_not1_saveexec_b32 s2, s2
; %bb.81:
	v_and_b32_e32 v1, 0xffff, v65
	v_or_b32_e32 v2, 0x10000, v65
	s_delay_alu instid0(VALU_DEP_2) | instskip(NEXT) | instid1(VALU_DEP_2)
	v_cmp_eq_u32_e32 vcc_lo, 0, v1
	v_cndmask_b32_e32 v1, v2, v65, vcc_lo
; %bb.82:
	s_or_b32 exec_lo, exec_lo, s2
	v_and_b32_e32 v2, 0x7f800000, v66
	s_delay_alu instid0(VALU_DEP_1) | instskip(SKIP_1) | instid1(SALU_CYCLE_1)
	v_cmp_ne_u32_e32 vcc_lo, 0x7f800000, v2
                                        ; implicit-def: $vgpr2
	s_and_saveexec_b32 s2, vcc_lo
	s_xor_b32 s2, exec_lo, s2
; %bb.83:
	v_bfe_u32 v2, v66, 16, 1
	s_delay_alu instid0(VALU_DEP_1)
	v_add3_u32 v2, v66, v2, 0x7fff
; %bb.84:
	s_and_not1_saveexec_b32 s2, s2
; %bb.85:
	v_and_b32_e32 v2, 0xffff, v66
	v_or_b32_e32 v3, 0x10000, v66
	s_delay_alu instid0(VALU_DEP_2) | instskip(NEXT) | instid1(VALU_DEP_2)
	v_cmp_eq_u32_e32 vcc_lo, 0, v2
	v_cndmask_b32_e32 v2, v3, v66, vcc_lo
; %bb.86:
	s_or_b32 exec_lo, exec_lo, s2
	v_and_b32_e32 v3, 0x7f800000, v67
	s_delay_alu instid0(VALU_DEP_1) | instskip(SKIP_1) | instid1(SALU_CYCLE_1)
	v_cmp_ne_u32_e32 vcc_lo, 0x7f800000, v3
                                        ; implicit-def: $vgpr3
	s_and_saveexec_b32 s2, vcc_lo
	s_xor_b32 s2, exec_lo, s2
; %bb.87:
	v_bfe_u32 v3, v67, 16, 1
	s_delay_alu instid0(VALU_DEP_1)
	v_add3_u32 v3, v67, v3, 0x7fff
; %bb.88:
	s_and_not1_saveexec_b32 s2, s2
; %bb.89:
	v_and_b32_e32 v3, 0xffff, v67
	v_or_b32_e32 v4, 0x10000, v67
	s_delay_alu instid0(VALU_DEP_2) | instskip(NEXT) | instid1(VALU_DEP_2)
	v_cmp_eq_u32_e32 vcc_lo, 0, v3
	v_cndmask_b32_e32 v3, v4, v67, vcc_lo
; %bb.90:
	s_or_b32 exec_lo, exec_lo, s2
	v_and_b32_e32 v4, 0x7f800000, v68
	s_delay_alu instid0(VALU_DEP_1) | instskip(SKIP_1) | instid1(SALU_CYCLE_1)
	v_cmp_ne_u32_e32 vcc_lo, 0x7f800000, v4
                                        ; implicit-def: $vgpr4
	s_and_saveexec_b32 s2, vcc_lo
	s_xor_b32 s2, exec_lo, s2
; %bb.91:
	v_bfe_u32 v4, v68, 16, 1
	s_delay_alu instid0(VALU_DEP_1)
	v_add3_u32 v4, v68, v4, 0x7fff
; %bb.92:
	s_and_not1_saveexec_b32 s2, s2
; %bb.93:
	v_and_b32_e32 v4, 0xffff, v68
	v_or_b32_e32 v5, 0x10000, v68
	s_delay_alu instid0(VALU_DEP_2) | instskip(NEXT) | instid1(VALU_DEP_2)
	v_cmp_eq_u32_e32 vcc_lo, 0, v4
	v_cndmask_b32_e32 v4, v5, v68, vcc_lo
; %bb.94:
	s_or_b32 exec_lo, exec_lo, s2
	v_and_b32_e32 v5, 0x7f800000, v69
	s_delay_alu instid0(VALU_DEP_1) | instskip(SKIP_1) | instid1(SALU_CYCLE_1)
	v_cmp_ne_u32_e32 vcc_lo, 0x7f800000, v5
                                        ; implicit-def: $vgpr5
	s_and_saveexec_b32 s2, vcc_lo
	s_xor_b32 s2, exec_lo, s2
; %bb.95:
	v_bfe_u32 v5, v69, 16, 1
	s_delay_alu instid0(VALU_DEP_1)
	v_add3_u32 v5, v69, v5, 0x7fff
; %bb.96:
	s_and_not1_saveexec_b32 s2, s2
; %bb.97:
	v_and_b32_e32 v5, 0xffff, v69
	v_or_b32_e32 v6, 0x10000, v69
	s_delay_alu instid0(VALU_DEP_2) | instskip(NEXT) | instid1(VALU_DEP_2)
	v_cmp_eq_u32_e32 vcc_lo, 0, v5
	v_cndmask_b32_e32 v5, v6, v69, vcc_lo
; %bb.98:
	s_or_b32 exec_lo, exec_lo, s2
	v_and_b32_e32 v6, 0x7f800000, v70
	s_delay_alu instid0(VALU_DEP_1) | instskip(SKIP_1) | instid1(SALU_CYCLE_1)
	v_cmp_ne_u32_e32 vcc_lo, 0x7f800000, v6
                                        ; implicit-def: $vgpr6
	s_and_saveexec_b32 s2, vcc_lo
	s_xor_b32 s2, exec_lo, s2
; %bb.99:
	v_bfe_u32 v6, v70, 16, 1
	s_delay_alu instid0(VALU_DEP_1)
	v_add3_u32 v6, v70, v6, 0x7fff
; %bb.100:
	s_and_not1_saveexec_b32 s2, s2
; %bb.101:
	v_and_b32_e32 v6, 0xffff, v70
	v_or_b32_e32 v7, 0x10000, v70
	s_delay_alu instid0(VALU_DEP_2) | instskip(NEXT) | instid1(VALU_DEP_2)
	v_cmp_eq_u32_e32 vcc_lo, 0, v6
	v_cndmask_b32_e32 v6, v7, v70, vcc_lo
; %bb.102:
	s_or_b32 exec_lo, exec_lo, s2
	v_and_b32_e32 v7, 0x7f800000, v71
	s_delay_alu instid0(VALU_DEP_1) | instskip(SKIP_1) | instid1(SALU_CYCLE_1)
	v_cmp_ne_u32_e32 vcc_lo, 0x7f800000, v7
                                        ; implicit-def: $vgpr7
	s_and_saveexec_b32 s2, vcc_lo
	s_xor_b32 s2, exec_lo, s2
; %bb.103:
	v_bfe_u32 v7, v71, 16, 1
	s_delay_alu instid0(VALU_DEP_1)
	v_add3_u32 v7, v71, v7, 0x7fff
; %bb.104:
	s_and_not1_saveexec_b32 s2, s2
; %bb.105:
	v_and_b32_e32 v7, 0xffff, v71
	v_or_b32_e32 v8, 0x10000, v71
	s_delay_alu instid0(VALU_DEP_2) | instskip(NEXT) | instid1(VALU_DEP_2)
	v_cmp_eq_u32_e32 vcc_lo, 0, v7
	v_cndmask_b32_e32 v7, v8, v71, vcc_lo
; %bb.106:
	s_or_b32 exec_lo, exec_lo, s2
	v_and_b32_e32 v8, 0x7f800000, v72
	s_delay_alu instid0(VALU_DEP_1) | instskip(SKIP_1) | instid1(SALU_CYCLE_1)
	v_cmp_ne_u32_e32 vcc_lo, 0x7f800000, v8
                                        ; implicit-def: $vgpr8
	s_and_saveexec_b32 s2, vcc_lo
	s_xor_b32 s2, exec_lo, s2
; %bb.107:
	v_bfe_u32 v8, v72, 16, 1
	s_delay_alu instid0(VALU_DEP_1)
	v_add3_u32 v8, v72, v8, 0x7fff
                                        ; implicit-def: $vgpr65_vgpr66_vgpr67_vgpr68_vgpr69_vgpr70_vgpr71_vgpr72
; %bb.108:
	s_and_not1_saveexec_b32 s2, s2
; %bb.109:
	v_and_b32_e32 v8, 0xffff, v72
	v_or_b32_e32 v9, 0x10000, v72
	s_delay_alu instid0(VALU_DEP_2) | instskip(NEXT) | instid1(VALU_DEP_2)
	v_cmp_eq_u32_e32 vcc_lo, 0, v8
	v_cndmask_b32_e32 v8, v9, v72, vcc_lo
; %bb.110:
	s_or_b32 exec_lo, exec_lo, s2
	s_delay_alu instid0(VALU_DEP_1)
	v_perm_b32 v7, v8, v7, 0x7060302
	v_perm_b32 v6, v6, v5, 0x7060302
	;; [unrolled: 1-line block ×4, first 2 shown]
	s_barrier
	buffer_gl0_inv
	v_cmp_eq_u32_e32 vcc_lo, 1, v78
	ds_store_b128 v76, v[4:7]
	s_waitcnt lgkmcnt(0)
	s_barrier
	buffer_gl0_inv
	ds_load_b128 v[1:4], v82
	ds_load_b128 v[5:8], v82 offset:16
	v_cmp_eq_u32_e64 s2, 1, v79
	v_cmp_eq_u32_e64 s3, 2, v78
	;; [unrolled: 1-line block ×5, first 2 shown]
	s_waitcnt lgkmcnt(1)
	v_lshrrev_b32_e32 v9, 16, v1
	s_waitcnt lgkmcnt(0)
	v_lshrrev_b32_e32 v13, 16, v5
	v_lshrrev_b32_e32 v10, 16, v2
	;; [unrolled: 1-line block ×4, first 2 shown]
	v_cndmask_b32_e64 v19, v1, v9, s2
	v_cndmask_b32_e32 v18, v5, v13, vcc_lo
	v_cndmask_b32_e64 v20, v5, v13, s2
	v_cndmask_b32_e32 v17, v1, v9, vcc_lo
	v_cmp_eq_u32_e32 vcc_lo, 2, v79
	v_lshrrev_b32_e32 v15, 16, v7
	v_cmp_eq_u32_e64 s2, 1, v77
	v_lshrrev_b32_e32 v12, 16, v4
	v_lshrrev_b32_e32 v16, 16, v8
	v_cndmask_b32_e32 v20, v20, v6, vcc_lo
	v_cndmask_b32_e64 v17, v17, v2, s3
	v_cndmask_b32_e32 v19, v19, v2, vcc_lo
	v_cndmask_b32_e64 v18, v18, v6, s3
	v_cmp_eq_u32_e32 vcc_lo, 4, v78
	v_cmp_eq_u32_e64 s3, 3, v79
	v_cndmask_b32_e64 v17, v17, v10, s4
	v_cndmask_b32_e64 v21, v1, v9, s2
	;; [unrolled: 1-line block ×5, first 2 shown]
	v_cndmask_b32_e32 v17, v17, v3, vcc_lo
	v_cndmask_b32_e64 v20, v20, v14, s3
	v_cndmask_b32_e32 v18, v18, v7, vcc_lo
	v_cmp_eq_u32_e32 vcc_lo, 4, v79
	v_cmp_eq_u32_e64 s3, 5, v79
	v_cmp_eq_u32_e64 s2, 2, v81
	v_cndmask_b32_e64 v21, v21, v2, s6
	v_cmp_eq_u32_e64 s4, 5, v78
	v_cndmask_b32_e32 v19, v19, v3, vcc_lo
	v_cndmask_b32_e32 v20, v20, v7, vcc_lo
	v_cmp_eq_u32_e32 vcc_lo, 6, v79
	s_delay_alu instid0(VALU_DEP_4) | instskip(NEXT) | instid1(VALU_DEP_4)
	v_cndmask_b32_e64 v17, v17, v11, s4
	v_cndmask_b32_e64 v19, v19, v11, s3
	s_delay_alu instid0(VALU_DEP_4) | instskip(SKIP_1) | instid1(VALU_DEP_3)
	v_cndmask_b32_e64 v20, v20, v15, s3
	v_cmp_eq_u32_e64 s3, 1, v81
	v_cndmask_b32_e32 v19, v19, v4, vcc_lo
	v_cndmask_b32_e64 v18, v18, v15, s4
	s_delay_alu instid0(VALU_DEP_3)
	v_cndmask_b32_e64 v1, v1, v9, s3
	v_cndmask_b32_e64 v5, v5, v13, s3
	v_cmp_eq_u32_e64 s3, 3, v77
	v_cndmask_b32_e64 v13, v22, v6, s6
	v_cmp_eq_u32_e64 s6, 3, v81
	v_cndmask_b32_e64 v1, v1, v2, s2
	v_cndmask_b32_e64 v2, v5, v6, s2
	;; [unrolled: 1-line block ×3, first 2 shown]
	v_cmp_eq_u32_e64 s2, 4, v77
	v_cndmask_b32_e64 v6, v13, v14, s3
	v_cndmask_b32_e64 v1, v1, v10, s6
	v_cmp_eq_u32_e64 s3, 4, v81
	v_cndmask_b32_e64 v2, v2, v14, s6
	v_cndmask_b32_e64 v5, v9, v3, s2
	;; [unrolled: 3-line block ×3, first 2 shown]
	v_cndmask_b32_e64 v2, v2, v7, s3
	v_cmp_eq_u32_e64 s2, 5, v81
	v_cmp_eq_u32_e64 s4, 6, v78
	v_cndmask_b32_e64 v5, v5, v11, s6
	v_cmp_eq_u32_e64 s3, 6, v77
	v_cndmask_b32_e64 v3, v6, v15, s6
	v_cndmask_b32_e64 v1, v1, v11, s2
	v_cmp_eq_u32_e64 s6, 6, v81
	v_cndmask_b32_e64 v2, v2, v15, s2
	v_cndmask_b32_e64 v17, v17, v4, s4
	v_cndmask_b32_e64 v18, v18, v8, s4
	v_cmp_eq_u32_e64 s4, 7, v78
	v_cndmask_b32_e64 v5, v5, v4, s3
	;; [unrolled: 4-line block ×3, first 2 shown]
	v_cmp_eq_u32_e64 s3, 7, v77
	v_cndmask_b32_e32 v4, v20, v8, vcc_lo
	v_cndmask_b32_e64 v17, v17, v12, s4
	v_cndmask_b32_e64 v19, v19, v12, s5
	v_cndmask_b32_e64 v1, v1, v12, s2
	v_cndmask_b32_e64 v5, v5, v12, s3
	v_cndmask_b32_e64 v2, v2, v16, s2
	v_cndmask_b32_e64 v3, v3, v16, s3
	v_cndmask_b32_e64 v6, v4, v16, s5
	v_cndmask_b32_e64 v7, v18, v16, s4
	s_mov_b32 s2, exec_lo
	v_perm_b32 v4, v2, v1, 0x5040100
	v_perm_b32 v3, v3, v5, 0x5040100
	;; [unrolled: 1-line block ×4, first 2 shown]
	ds_store_b128 v76, v[1:4]
	s_waitcnt lgkmcnt(0)
	s_barrier
	buffer_gl0_inv
	v_cmpx_gt_u32_e32 32, v0
	s_cbranch_execz .LBB1911_2
; %bb.111:
	s_load_b64 s[0:1], s[0:1], 0x68
	s_lshl_b32 s4, s34, 7
	v_or_b32_e32 v2, s29, v74
	s_mul_i32 s2, s4, s30
	v_lshlrev_b32_e32 v0, 10, v0
	s_mul_i32 s2, s2, s7
	v_lshlrev_b32_e32 v1, 4, v75
	s_ashr_i32 s3, s2, 31
	v_mul_lo_u32 v20, v2, s4
	s_lshl_b64 s[2:3], s[2:3], 1
	v_lshlrev_b32_e32 v3, 6, v74
	v_and_b32_e32 v0, 0x3800, v0
	s_delay_alu instid0(VALU_DEP_1) | instskip(NEXT) | instid1(VALU_DEP_4)
	v_or3_b32 v16, v0, v1, v3
	v_ashrrev_i32_e32 v21, 31, v20
	ds_load_b128 v[0:3], v16
	ds_load_b128 v[4:7], v16 offset:128
	s_waitcnt lgkmcnt(0)
	s_add_u32 s2, s0, s2
	s_addc_u32 s3, s1, s3
	s_lshl_b32 s0, s14, 7
	ds_load_b128 v[8:11], v16 offset:256
	ds_load_b128 v[12:15], v16 offset:384
	;; [unrolled: 1-line block ×3, first 2 shown]
	s_ashr_i32 s1, s0, 31
	s_delay_alu instid0(SALU_CYCLE_1) | instskip(NEXT) | instid1(SALU_CYCLE_1)
	s_lshl_b64 s[0:1], s[0:1], 1
	s_add_u32 s0, s2, s0
	s_addc_u32 s1, s3, s1
	s_lshl_b32 s2, s34, 8
	v_add_co_u32 v30, s0, s0, v73
	v_add_nc_u32_e32 v22, s2, v20
	v_lshlrev_b64 v[20:21], 1, v[20:21]
	v_add_co_ci_u32_e64 v31, null, s1, 0, s0
	s_delay_alu instid0(VALU_DEP_3) | instskip(SKIP_1) | instid1(VALU_DEP_4)
	v_add_nc_u32_e32 v24, s2, v22
	v_ashrrev_i32_e32 v23, 31, v22
	v_add_co_u32 v20, vcc_lo, v30, v20
	s_delay_alu instid0(VALU_DEP_4) | instskip(NEXT) | instid1(VALU_DEP_4)
	v_add_co_ci_u32_e32 v21, vcc_lo, v31, v21, vcc_lo
	v_add_nc_u32_e32 v26, s2, v24
	v_ashrrev_i32_e32 v25, 31, v24
	v_lshlrev_b64 v[22:23], 1, v[22:23]
	s_delay_alu instid0(VALU_DEP_3) | instskip(SKIP_1) | instid1(VALU_DEP_4)
	v_add_nc_u32_e32 v28, s2, v26
	v_ashrrev_i32_e32 v27, 31, v26
	v_lshlrev_b64 v[24:25], 1, v[24:25]
	s_delay_alu instid0(VALU_DEP_4) | instskip(NEXT) | instid1(VALU_DEP_4)
	v_add_co_u32 v22, vcc_lo, v30, v22
	v_ashrrev_i32_e32 v29, 31, v28
	s_delay_alu instid0(VALU_DEP_4) | instskip(SKIP_2) | instid1(VALU_DEP_4)
	v_lshlrev_b64 v[26:27], 1, v[26:27]
	v_add_co_ci_u32_e32 v23, vcc_lo, v31, v23, vcc_lo
	v_add_co_u32 v24, vcc_lo, v30, v24
	v_lshlrev_b64 v[28:29], 1, v[28:29]
	v_add_co_ci_u32_e32 v25, vcc_lo, v31, v25, vcc_lo
	v_add_co_u32 v26, vcc_lo, v30, v26
	v_add_co_ci_u32_e32 v27, vcc_lo, v31, v27, vcc_lo
	s_delay_alu instid0(VALU_DEP_4)
	v_add_co_u32 v28, vcc_lo, v30, v28
	v_add_co_ci_u32_e32 v29, vcc_lo, v31, v29, vcc_lo
	s_clause 0x1
	global_store_b128 v[20:21], v[0:3], off
	global_store_b128 v[22:23], v[4:7], off
	s_waitcnt lgkmcnt(2)
	global_store_b128 v[24:25], v[8:11], off
	s_waitcnt lgkmcnt(1)
	global_store_b128 v[26:27], v[12:15], off
	s_waitcnt lgkmcnt(0)
	global_store_b128 v[28:29], v[16:19], off
	s_nop 0
	s_sendmsg sendmsg(MSG_DEALLOC_VGPRS)
	s_endpgm
	.section	.rodata,"a",@progbits
	.p2align	6, 0x0
	.amdhsa_kernel _Z39paged_attention_ll4mi_QKV_mfma16_kernelI14__hip_bfloat16hLN4vllm18Fp8KVCacheDataTypeE1ES0_Li32ELi128ELi256ELb0ELi10EL8MFMAType0EEvPKT_PKT0_S9_ifPKiSB_SB_iPKfiiiPfSE_PS4_PT2_iSD_SD_
		.amdhsa_group_segment_fixed_size 17472
		.amdhsa_private_segment_fixed_size 0
		.amdhsa_kernarg_size 400
		.amdhsa_user_sgpr_count 13
		.amdhsa_user_sgpr_dispatch_ptr 0
		.amdhsa_user_sgpr_queue_ptr 0
		.amdhsa_user_sgpr_kernarg_segment_ptr 1
		.amdhsa_user_sgpr_dispatch_id 0
		.amdhsa_user_sgpr_private_segment_size 0
		.amdhsa_wavefront_size32 1
		.amdhsa_uses_dynamic_stack 0
		.amdhsa_enable_private_segment 0
		.amdhsa_system_sgpr_workgroup_id_x 1
		.amdhsa_system_sgpr_workgroup_id_y 1
		.amdhsa_system_sgpr_workgroup_id_z 1
		.amdhsa_system_sgpr_workgroup_info 0
		.amdhsa_system_vgpr_workitem_id 0
		.amdhsa_next_free_vgpr 140
		.amdhsa_next_free_sgpr 36
		.amdhsa_reserve_vcc 1
		.amdhsa_float_round_mode_32 0
		.amdhsa_float_round_mode_16_64 0
		.amdhsa_float_denorm_mode_32 3
		.amdhsa_float_denorm_mode_16_64 3
		.amdhsa_dx10_clamp 1
		.amdhsa_ieee_mode 1
		.amdhsa_fp16_overflow 0
		.amdhsa_workgroup_processor_mode 1
		.amdhsa_memory_ordered 1
		.amdhsa_forward_progress 0
		.amdhsa_shared_vgpr_count 0
		.amdhsa_exception_fp_ieee_invalid_op 0
		.amdhsa_exception_fp_denorm_src 0
		.amdhsa_exception_fp_ieee_div_zero 0
		.amdhsa_exception_fp_ieee_overflow 0
		.amdhsa_exception_fp_ieee_underflow 0
		.amdhsa_exception_fp_ieee_inexact 0
		.amdhsa_exception_int_div_zero 0
	.end_amdhsa_kernel
	.section	.text._Z39paged_attention_ll4mi_QKV_mfma16_kernelI14__hip_bfloat16hLN4vllm18Fp8KVCacheDataTypeE1ES0_Li32ELi128ELi256ELb0ELi10EL8MFMAType0EEvPKT_PKT0_S9_ifPKiSB_SB_iPKfiiiPfSE_PS4_PT2_iSD_SD_,"axG",@progbits,_Z39paged_attention_ll4mi_QKV_mfma16_kernelI14__hip_bfloat16hLN4vllm18Fp8KVCacheDataTypeE1ES0_Li32ELi128ELi256ELb0ELi10EL8MFMAType0EEvPKT_PKT0_S9_ifPKiSB_SB_iPKfiiiPfSE_PS4_PT2_iSD_SD_,comdat
.Lfunc_end1911:
	.size	_Z39paged_attention_ll4mi_QKV_mfma16_kernelI14__hip_bfloat16hLN4vllm18Fp8KVCacheDataTypeE1ES0_Li32ELi128ELi256ELb0ELi10EL8MFMAType0EEvPKT_PKT0_S9_ifPKiSB_SB_iPKfiiiPfSE_PS4_PT2_iSD_SD_, .Lfunc_end1911-_Z39paged_attention_ll4mi_QKV_mfma16_kernelI14__hip_bfloat16hLN4vllm18Fp8KVCacheDataTypeE1ES0_Li32ELi128ELi256ELb0ELi10EL8MFMAType0EEvPKT_PKT0_S9_ifPKiSB_SB_iPKfiiiPfSE_PS4_PT2_iSD_SD_
                                        ; -- End function
	.section	.AMDGPU.csdata,"",@progbits
; Kernel info:
; codeLenInByte = 8952
; NumSgprs: 38
; NumVgprs: 140
; ScratchSize: 0
; MemoryBound: 0
; FloatMode: 240
; IeeeMode: 1
; LDSByteSize: 17472 bytes/workgroup (compile time only)
; SGPRBlocks: 4
; VGPRBlocks: 17
; NumSGPRsForWavesPerEU: 38
; NumVGPRsForWavesPerEU: 140
; Occupancy: 10
; WaveLimiterHint : 1
; COMPUTE_PGM_RSRC2:SCRATCH_EN: 0
; COMPUTE_PGM_RSRC2:USER_SGPR: 13
; COMPUTE_PGM_RSRC2:TRAP_HANDLER: 0
; COMPUTE_PGM_RSRC2:TGID_X_EN: 1
; COMPUTE_PGM_RSRC2:TGID_Y_EN: 1
; COMPUTE_PGM_RSRC2:TGID_Z_EN: 1
; COMPUTE_PGM_RSRC2:TIDIG_COMP_CNT: 0
	.section	.text._Z39paged_attention_ll4mi_QKV_mfma16_kernelI14__hip_bfloat16hLN4vllm18Fp8KVCacheDataTypeE1ES0_Li32ELi128ELi256ELb0ELi11EL8MFMAType0EEvPKT_PKT0_S9_ifPKiSB_SB_iPKfiiiPfSE_PS4_PT2_iSD_SD_,"axG",@progbits,_Z39paged_attention_ll4mi_QKV_mfma16_kernelI14__hip_bfloat16hLN4vllm18Fp8KVCacheDataTypeE1ES0_Li32ELi128ELi256ELb0ELi11EL8MFMAType0EEvPKT_PKT0_S9_ifPKiSB_SB_iPKfiiiPfSE_PS4_PT2_iSD_SD_,comdat
	.protected	_Z39paged_attention_ll4mi_QKV_mfma16_kernelI14__hip_bfloat16hLN4vllm18Fp8KVCacheDataTypeE1ES0_Li32ELi128ELi256ELb0ELi11EL8MFMAType0EEvPKT_PKT0_S9_ifPKiSB_SB_iPKfiiiPfSE_PS4_PT2_iSD_SD_ ; -- Begin function _Z39paged_attention_ll4mi_QKV_mfma16_kernelI14__hip_bfloat16hLN4vllm18Fp8KVCacheDataTypeE1ES0_Li32ELi128ELi256ELb0ELi11EL8MFMAType0EEvPKT_PKT0_S9_ifPKiSB_SB_iPKfiiiPfSE_PS4_PT2_iSD_SD_
	.globl	_Z39paged_attention_ll4mi_QKV_mfma16_kernelI14__hip_bfloat16hLN4vllm18Fp8KVCacheDataTypeE1ES0_Li32ELi128ELi256ELb0ELi11EL8MFMAType0EEvPKT_PKT0_S9_ifPKiSB_SB_iPKfiiiPfSE_PS4_PT2_iSD_SD_
	.p2align	8
	.type	_Z39paged_attention_ll4mi_QKV_mfma16_kernelI14__hip_bfloat16hLN4vllm18Fp8KVCacheDataTypeE1ES0_Li32ELi128ELi256ELb0ELi11EL8MFMAType0EEvPKT_PKT0_S9_ifPKiSB_SB_iPKfiiiPfSE_PS4_PT2_iSD_SD_,@function
_Z39paged_attention_ll4mi_QKV_mfma16_kernelI14__hip_bfloat16hLN4vllm18Fp8KVCacheDataTypeE1ES0_Li32ELi128ELi256ELb0ELi11EL8MFMAType0EEvPKT_PKT0_S9_ifPKiSB_SB_iPKfiiiPfSE_PS4_PT2_iSD_SD_: ; @_Z39paged_attention_ll4mi_QKV_mfma16_kernelI14__hip_bfloat16hLN4vllm18Fp8KVCacheDataTypeE1ES0_Li32ELi128ELi256ELb0ELi11EL8MFMAType0EEvPKT_PKT0_S9_ifPKiSB_SB_iPKfiiiPfSE_PS4_PT2_iSD_SD_
; %bb.0:
	s_load_b64 s[4:5], s[0:1], 0x30
	s_mov_b32 s30, s13
	s_waitcnt lgkmcnt(0)
	s_cmp_lg_u64 s[4:5], 0
	s_cselect_b32 s13, -1, 0
	s_ashr_i32 s31, s30, 31
	s_cmp_eq_u64 s[4:5], 0
	s_cbranch_scc1 .LBB1912_3
; %bb.1:
	s_lshl_b64 s[2:3], s[30:31], 2
	s_delay_alu instid0(SALU_CYCLE_1) | instskip(SKIP_4) | instid1(SALU_CYCLE_1)
	s_add_u32 s2, s4, s2
	s_addc_u32 s3, s5, s3
	s_load_b64 s[2:3], s[2:3], 0x0
	s_waitcnt lgkmcnt(0)
	s_sub_i32 s2, s3, s2
	s_cmp_eq_u32 s2, 1
	s_cselect_b32 s2, -1, 0
	s_delay_alu instid0(SALU_CYCLE_1)
	s_and_not1_b32 vcc_lo, exec_lo, s2
	s_cbranch_vccz .LBB1912_4
.LBB1912_2:
	s_nop 0
	s_sendmsg sendmsg(MSG_DEALLOC_VGPRS)
	s_endpgm
.LBB1912_3:
.LBB1912_4:
	s_load_b64 s[2:3], s[0:1], 0x28
	s_lshl_b64 s[6:7], s[30:31], 2
	s_waitcnt lgkmcnt(0)
	s_add_u32 s2, s2, s6
	s_addc_u32 s3, s3, s7
	s_lshl_b32 s12, s14, 8
	s_load_b32 s17, s[2:3], 0x0
	s_waitcnt lgkmcnt(0)
	s_cmp_ge_i32 s12, s17
	s_cbranch_scc1 .LBB1912_2
; %bb.5:
	s_clause 0x1
	s_load_b128 s[8:11], s[0:1], 0x8
	s_load_b64 s[2:3], s[0:1], 0x20
	s_and_not1_b32 vcc_lo, exec_lo, s13
	s_cbranch_vccnz .LBB1912_7
; %bb.6:
	s_add_u32 s4, s4, s6
	s_addc_u32 s5, s5, s7
	s_load_b32 s13, s[4:5], 0x0
	s_branch .LBB1912_8
.LBB1912_7:
	s_mov_b32 s13, s30
.LBB1912_8:
	s_load_b128 s[4:7], s[0:1], 0x48
	v_and_b32_e32 v65, 15, v0
	v_lshrrev_b32_e32 v66, 5, v0
	v_bfe_u32 v74, v0, 4, 1
	v_and_b32_e32 v67, 31, v0
	v_and_b32_e32 v75, 1, v0
	v_lshlrev_b32_e32 v2, 3, v65
	s_mul_i32 s31, s15, 11
	v_lshl_or_b32 v1, v66, 1, v74
	s_waitcnt lgkmcnt(0)
	s_mov_b32 s7, exec_lo
	v_lshlrev_b32_e32 v73, 1, v2
	s_delay_alu instid0(VALU_DEP_2)
	v_cmpx_gt_u32_e32 11, v1
	s_cbranch_execz .LBB1912_10
; %bb.9:
	s_load_b64 s[18:19], s[0:1], 0x0
	v_add_lshl_u32 v2, v1, s31, 7
	s_mul_hi_i32 s21, s13, s4
	s_mul_i32 s20, s13, s4
	v_lshlrev_b32_e32 v6, 10, v65
	s_lshl_b64 s[20:21], s[20:21], 1
	v_ashrrev_i32_e32 v3, 31, v2
	v_lshlrev_b32_e32 v1, 6, v1
	v_lshlrev_b32_e32 v7, 10, v75
	v_and_b32_e32 v6, 0x3800, v6
	s_delay_alu instid0(VALU_DEP_4) | instskip(NEXT) | instid1(VALU_DEP_2)
	v_lshlrev_b64 v[2:3], 1, v[2:3]
	v_or3_b32 v1, v6, v7, v1
	s_waitcnt lgkmcnt(0)
	s_add_u32 s4, s18, s20
	s_addc_u32 s13, s19, s21
	s_delay_alu instid0(VALU_DEP_2) | instskip(SKIP_1) | instid1(VALU_DEP_2)
	v_add_co_u32 v2, vcc_lo, s4, v2
	v_add_co_ci_u32_e32 v3, vcc_lo, s13, v3, vcc_lo
	v_add_co_u32 v2, vcc_lo, v2, v73
	s_delay_alu instid0(VALU_DEP_2)
	v_add_co_ci_u32_e32 v3, vcc_lo, 0, v3, vcc_lo
	global_load_b128 v[2:5], v[2:3], off
	s_waitcnt vmcnt(0)
	ds_store_b128 v1, v[2:5]
.LBB1912_10:
	s_or_b32 exec_lo, exec_lo, s7
	v_and_b32_e32 v1, 0xef, v0
	s_add_i32 s4, s17, 31
	s_clause 0x1
	s_load_b32 s7, s[0:1], 0x38
	s_load_b32 s18, s[0:1], 0x1c
	s_ashr_i32 s13, s4, 31
	v_add_nc_u32_e32 v1, s12, v1
	s_lshr_b32 s13, s13, 27
	s_waitcnt lgkmcnt(0)
	s_add_i32 s4, s4, s13
	s_barrier
	v_ashrrev_i32_e32 v2, 31, v1
	v_or_b32_e32 v3, 16, v1
	s_ashr_i32 s4, s4, 5
	v_cmp_gt_i32_e32 vcc_lo, s17, v1
	s_add_i32 s4, s4, -1
	v_lshrrev_b32_e32 v2, 27, v2
	buffer_gl0_inv
	s_mul_i32 s15, s15, s6
	v_add_nc_u32_e32 v4, v1, v2
	s_mul_i32 s20, s30, s7
	s_delay_alu instid0(SALU_CYCLE_1) | instskip(NEXT) | instid1(VALU_DEP_1)
	s_ashr_i32 s21, s20, 31
	v_ashrrev_i32_e32 v4, 5, v4
	v_add_nc_u32_e32 v2, v3, v2
	s_lshl_b64 s[20:21], s[20:21], 2
	s_delay_alu instid0(SALU_CYCLE_1) | instskip(NEXT) | instid1(VALU_DEP_2)
	s_add_u32 s13, s2, s20
	v_cndmask_b32_e32 v1, s4, v4, vcc_lo
	s_delay_alu instid0(VALU_DEP_2)
	v_ashrrev_i32_e32 v2, 5, v2
	v_cmp_gt_i32_e32 vcc_lo, s17, v3
	s_addc_u32 s16, s3, s21
	s_ashr_i32 s19, s15, 31
	s_add_u32 s2, s8, s15
	s_addc_u32 s3, s9, s19
	v_cndmask_b32_e32 v3, s4, v2, vcc_lo
	v_ashrrev_i32_e32 v2, 31, v1
	s_lshl_b32 s6, s14, 3
	s_delay_alu instid0(SALU_CYCLE_1) | instskip(NEXT) | instid1(VALU_DEP_2)
	s_ashr_i32 s7, s6, 31
	v_ashrrev_i32_e32 v4, 31, v3
	s_delay_alu instid0(VALU_DEP_2) | instskip(SKIP_1) | instid1(SALU_CYCLE_1)
	v_lshlrev_b64 v[1:2], 2, v[1:2]
	s_lshl_b64 s[6:7], s[6:7], 2
	s_add_u32 s6, s13, s6
	s_delay_alu instid0(VALU_DEP_2) | instskip(SKIP_1) | instid1(VALU_DEP_2)
	v_lshlrev_b64 v[3:4], 2, v[3:4]
	s_addc_u32 s7, s16, s7
	v_add_co_u32 v1, vcc_lo, s13, v1
	v_add_co_ci_u32_e32 v2, vcc_lo, s16, v2, vcc_lo
	s_delay_alu instid0(VALU_DEP_3) | instskip(NEXT) | instid1(VALU_DEP_4)
	v_add_co_u32 v3, vcc_lo, s13, v3
	v_add_co_ci_u32_e32 v4, vcc_lo, s16, v4, vcc_lo
	s_clause 0x1
	global_load_b32 v5, v[1:2], off
	global_load_b32 v6, v[3:4], off
	s_or_b32 s8, s12, 32
	s_delay_alu instid0(SALU_CYCLE_1) | instskip(SKIP_2) | instid1(SALU_CYCLE_1)
	s_ashr_i32 s9, s8, 5
	s_cmp_lt_i32 s8, s17
	s_cselect_b32 s8, s9, s4
	s_ashr_i32 s9, s8, 31
	s_delay_alu instid0(SALU_CYCLE_1) | instskip(NEXT) | instid1(SALU_CYCLE_1)
	s_lshl_b64 s[8:9], s[8:9], 2
	s_add_u32 s8, s13, s8
	s_addc_u32 s9, s16, s9
	s_or_b32 s20, s12, 64
	s_delay_alu instid0(SALU_CYCLE_1) | instskip(SKIP_2) | instid1(SALU_CYCLE_1)
	s_ashr_i32 s21, s20, 5
	s_cmp_lt_i32 s20, s17
	s_cselect_b32 s20, s21, s4
	s_ashr_i32 s21, s20, 31
	s_delay_alu instid0(SALU_CYCLE_1) | instskip(NEXT) | instid1(SALU_CYCLE_1)
	s_lshl_b64 s[20:21], s[20:21], 2
	s_add_u32 s20, s13, s20
	s_addc_u32 s21, s16, s21
	;; [unrolled: 10-line block ×5, first 2 shown]
	s_clause 0x5
	s_load_b32 s28, s[6:7], 0x0
	s_load_b32 s8, s[8:9], 0x0
	;; [unrolled: 1-line block ×6, first 2 shown]
	s_mov_b32 s20, 0
	s_delay_alu instid0(SALU_CYCLE_1)
	s_mov_b32 s21, s20
	s_mov_b32 s22, s20
	;; [unrolled: 1-line block ×7, first 2 shown]
	s_delay_alu instid0(SALU_CYCLE_1)
	v_dual_mov_b32 v107, s27 :: v_dual_mov_b32 v106, s26
	v_dual_mov_b32 v104, s24 :: v_dual_mov_b32 v103, s23
	;; [unrolled: 1-line block ×3, first 2 shown]
	v_mov_b32_e32 v100, s20
	s_waitcnt vmcnt(1)
	v_mad_i64_i32 v[1:2], null, v5, s5, s[2:3]
	v_lshlrev_b32_e32 v5, 4, v65
	s_waitcnt vmcnt(0)
	v_mad_i64_i32 v[3:4], null, v6, s5, s[2:3]
	s_or_b32 s2, s12, 0xc0
	s_delay_alu instid0(SALU_CYCLE_1) | instskip(NEXT) | instid1(VALU_DEP_3)
	s_ashr_i32 s3, s2, 5
	v_add_co_u32 v33, vcc_lo, v1, v5
	s_delay_alu instid0(VALU_DEP_4) | instskip(NEXT) | instid1(VALU_DEP_3)
	v_add_co_ci_u32_e32 v34, vcc_lo, 0, v2, vcc_lo
	v_add_co_u32 v35, vcc_lo, v3, v5
	s_delay_alu instid0(VALU_DEP_4)
	v_add_co_ci_u32_e32 v36, vcc_lo, 0, v4, vcc_lo
	s_clause 0xf
	global_load_b128 v[1:4], v[33:34], off
	global_load_b128 v[5:8], v[33:34], off offset:512
	global_load_b128 v[9:12], v[35:36], off offset:256
	;; [unrolled: 1-line block ×15, first 2 shown]
	s_cmp_lt_i32 s2, s17
	v_add_nc_u32_e32 v33, -11, v65
	s_cselect_b32 s2, s3, s4
	v_cmp_gt_u32_e32 vcc_lo, 11, v65
	s_ashr_i32 s3, s2, 31
	v_lshlrev_b32_e32 v34, 5, v65
	s_lshl_b64 s[2:3], s[2:3], 2
	s_delay_alu instid0(SALU_CYCLE_1)
	s_add_u32 s2, s13, s2
	s_addc_u32 s3, s16, s3
	s_or_b32 s6, s12, 0xe0
	v_cndmask_b32_e32 v33, v33, v65, vcc_lo
	s_ashr_i32 s7, s6, 5
	s_cmp_lt_i32 s6, s17
	v_mov_b32_e32 v105, s25
	s_cselect_b32 s6, s7, s4
	v_lshlrev_b32_e32 v72, 6, v33
	s_ashr_i32 s7, s6, 31
	v_lshl_or_b32 v41, v66, 9, v34
	s_lshl_b64 s[6:7], s[6:7], 2
	ds_load_b128 v[33:36], v72
	ds_load_b128 v[37:40], v72 offset:1024
	ds_load_b128 v[108:111], v72 offset:2048
	;; [unrolled: 1-line block ×3, first 2 shown]
	s_load_b32 s4, s[2:3], 0x0
	s_add_u32 s2, s13, s6
	s_addc_u32 s3, s16, s7
	ds_load_b128 v[116:119], v72 offset:4096
	ds_load_b128 v[120:123], v72 offset:5120
	s_load_b32 s2, s[2:3], 0x0
	s_add_u32 s6, s10, s15
	s_addc_u32 s7, s11, s19
	v_add_co_u32 v68, s6, s6, v41
	s_delay_alu instid0(VALU_DEP_1) | instskip(SKIP_1) | instid1(VALU_DEP_1)
	v_add_co_ci_u32_e64 v69, null, s7, 0, s6
	s_waitcnt lgkmcnt(0)
	v_mad_i64_i32 v[41:42], null, s28, s5, v[68:69]
	v_mad_i64_i32 v[70:71], null, s9, s5, v[68:69]
	;; [unrolled: 1-line block ×7, first 2 shown]
	s_clause 0x3
	global_load_b128 v[49:52], v[41:42], off
	global_load_b128 v[53:56], v[41:42], off offset:16
	global_load_b128 v[41:44], v[45:46], off
	global_load_b128 v[45:48], v[45:46], off offset:16
	s_waitcnt vmcnt(18)
	v_wmma_f32_16x16x16_bf16 v[124:131], v[1:8], v[33:40], v[100:107]
	s_waitcnt vmcnt(16)
	v_wmma_f32_16x16x16_bf16 v[100:107], v[9:16], v[33:40], v[100:107]
	s_clause 0x1
	global_load_b128 v[33:36], v[70:71], off
	global_load_b128 v[37:40], v[70:71], off offset:16
	v_mad_i64_i32 v[70:71], null, s2, s5, v[68:69]
	s_waitcnt vmcnt(16)
	v_wmma_f32_16x16x16_bf16 v[124:131], v[17:24], v[108:115], v[124:131]
	s_waitcnt vmcnt(14)
	v_wmma_f32_16x16x16_bf16 v[100:107], v[25:32], v[108:115], v[100:107]
	s_clause 0x7
	global_load_b128 v[25:28], v[132:133], off
	global_load_b128 v[29:32], v[132:133], off offset:16
	global_load_b128 v[1:4], v[134:135], off
	global_load_b128 v[5:8], v[134:135], off offset:16
	;; [unrolled: 2-line block ×4, first 2 shown]
	s_waitcnt vmcnt(20)
	v_wmma_f32_16x16x16_bf16 v[124:131], v[57:64], v[116:123], v[124:131]
	s_clause 0x1
	global_load_b128 v[57:60], v[70:71], off
	global_load_b128 v[61:64], v[70:71], off offset:16
	s_waitcnt vmcnt(20)
	v_wmma_f32_16x16x16_bf16 v[100:107], v[76:83], v[116:123], v[100:107]
	ds_load_b128 v[76:79], v72 offset:6144
	ds_load_b128 v[80:83], v72 offset:7168
	v_and_b32_e32 v68, 0xe0, v0
	v_mbcnt_lo_u32_b32 v69, -1, 0
	s_waitcnt vmcnt(0) lgkmcnt(0)
	s_barrier
	buffer_gl0_inv
	v_add_nc_u32_e32 v68, s12, v68
	v_xor_b32_e32 v70, 16, v69
	s_delay_alu instid0(VALU_DEP_2) | instskip(NEXT) | instid1(VALU_DEP_2)
	v_or_b32_e32 v68, v68, v74
	v_cmp_gt_i32_e32 vcc_lo, 32, v70
	s_delay_alu instid0(VALU_DEP_2)
	v_or_b32_e32 v71, 4, v68
	v_or_b32_e32 v72, 6, v68
	v_cmp_gt_i32_e64 s2, s17, v68
	v_or_b32_e32 v108, 8, v68
	v_wmma_f32_16x16x16_bf16 v[124:131], v[84:91], v[76:83], v[124:131]
	v_cndmask_b32_e32 v69, v69, v70, vcc_lo
	v_or_b32_e32 v70, 2, v68
	v_wmma_f32_16x16x16_bf16 v[100:107], v[92:99], v[76:83], v[100:107]
	v_or_b32_e32 v109, 10, v68
	v_dual_mul_f32 v80, s18, v129 :: v_dual_mul_f32 v81, s18, v128
	v_dual_mul_f32 v92, s18, v125 :: v_dual_mul_f32 v93, s18, v124
	s_delay_alu instid0(VALU_DEP_4)
	v_mul_f32_e32 v96, s18, v105
	v_cmp_gt_i32_e32 vcc_lo, s17, v70
	v_or_b32_e32 v89, 22, v68
	v_dual_mul_f32 v79, s18, v130 :: v_dual_mul_f32 v82, s18, v127
	v_dual_mul_f32 v83, s18, v126 :: v_dual_mul_f32 v94, s18, v107
	v_cndmask_b32_e64 v93, 0xff7fffff, v93, s2
	v_cndmask_b32_e32 v92, 0xff7fffff, v92, vcc_lo
	v_cmp_gt_i32_e64 s3, s17, v71
	v_cmp_gt_i32_e64 s4, s17, v72
	v_or_b32_e32 v84, 12, v68
	v_or_b32_e32 v85, 14, v68
	v_cmp_gt_i32_e64 s5, s17, v108
	v_cndmask_b32_e64 v71, 0xff7fffff, v83, s3
	v_cndmask_b32_e64 v72, 0xff7fffff, v82, s4
	v_cmp_gt_i32_e64 s6, s17, v109
	v_cmp_gt_i32_e64 s12, s17, v89
	v_lshlrev_b32_e32 v89, 2, v69
	v_max3_f32 v82, v93, 0xff7fffff, v92
	v_or_b32_e32 v86, 16, v68
	v_or_b32_e32 v87, 18, v68
	v_mul_f32_e32 v78, s18, v131
	v_cndmask_b32_e64 v81, 0xff7fffff, v81, s5
	v_cndmask_b32_e64 v80, 0xff7fffff, v80, s6
	v_max3_f32 v71, v82, v71, v72
	v_cmp_gt_i32_e64 s7, s17, v84
	v_cmp_gt_i32_e64 s8, s17, v85
	v_or_b32_e32 v88, 20, v68
	v_or_b32_e32 v90, 24, v68
	;; [unrolled: 1-line block ×5, first 2 shown]
	v_dual_mul_f32 v97, s18, v104 :: v_dual_mul_f32 v70, s18, v101
	v_dual_mul_f32 v99, s18, v102 :: v_dual_mul_f32 v68, s18, v100
	v_cndmask_b32_e64 v72, 0xff7fffff, v79, s7
	v_cndmask_b32_e64 v78, 0xff7fffff, v78, s8
	v_max3_f32 v71, v71, v81, v80
	v_cmp_gt_i32_e64 s9, s17, v86
	v_cmp_gt_i32_e64 s10, s17, v87
	v_dual_mul_f32 v95, s18, v106 :: v_dual_mul_f32 v98, s18, v103
	s_delay_alu instid0(VALU_DEP_4) | instskip(NEXT) | instid1(VALU_DEP_4)
	v_max3_f32 v71, v71, v72, v78
	v_cndmask_b32_e64 v68, 0xff7fffff, v68, s9
	s_delay_alu instid0(VALU_DEP_4)
	v_cndmask_b32_e64 v70, 0xff7fffff, v70, s10
	v_cmp_gt_i32_e64 s11, s17, v88
	v_cndmask_b32_e64 v78, 0xff7fffff, v98, s12
	v_cmp_gt_i32_e64 s13, s17, v90
	v_cmp_gt_i32_e64 s15, s17, v91
	v_max3_f32 v68, v71, v68, v70
	v_cndmask_b32_e64 v72, 0xff7fffff, v99, s11
	v_cmp_gt_i32_e64 s16, s17, v76
	v_cndmask_b32_e64 v70, 0xff7fffff, v97, s13
	v_cndmask_b32_e64 v71, 0xff7fffff, v96, s15
	v_cmp_gt_i32_e64 s17, s17, v77
	v_max3_f32 v68, v68, v72, v78
	v_cndmask_b32_e64 v72, 0xff7fffff, v95, s16
	s_delay_alu instid0(VALU_DEP_3) | instskip(NEXT) | instid1(VALU_DEP_3)
	v_cndmask_b32_e64 v76, 0xff7fffff, v94, s17
	v_max3_f32 v68, v68, v70, v71
	s_delay_alu instid0(VALU_DEP_1) | instskip(SKIP_3) | instid1(VALU_DEP_1)
	v_max3_f32 v68, v68, v72, v76
	ds_bpermute_b32 v69, v89, v68
	s_waitcnt lgkmcnt(0)
	v_max_f32_e32 v69, v69, v69
	v_max_f32_e32 v68, v68, v69
	s_delay_alu instid0(VALU_DEP_1) | instskip(NEXT) | instid1(VALU_DEP_1)
	v_fma_f32 v71, s18, v126, -v68
	v_mul_f32_e32 v71, 0x3fb8aa3b, v71
	v_fma_f32 v70, s18, v125, -v68
	v_fma_f32 v69, s18, v124, -v68
	;; [unrolled: 1-line block ×5, first 2 shown]
	s_delay_alu instid0(VALU_DEP_4) | instskip(SKIP_1) | instid1(VALU_DEP_3)
	v_dual_mul_f32 v70, 0x3fb8aa3b, v70 :: v_dual_mul_f32 v69, 0x3fb8aa3b, v69
	v_exp_f32_e32 v71, v71
	v_mul_f32_e32 v72, 0x3fb8aa3b, v72
	v_fma_f32 v81, s18, v105, -v68
	s_delay_alu instid0(VALU_DEP_3)
	v_exp_f32_e32 v70, v70
	v_mul_f32_e32 v77, 0x3fb8aa3b, v76
	v_exp_f32_e32 v69, v69
	v_exp_f32_e32 v72, v72
	v_mul_f32_e32 v81, 0x3fb8aa3b, v81
	v_cndmask_b32_e64 v83, 0, v71, s3
	v_fma_f32 v71, s18, v131, -v68
	s_delay_alu instid0(VALU_DEP_3) | instskip(SKIP_4) | instid1(TRANS32_DEP_3)
	v_exp_f32_e32 v81, v81
	v_cndmask_b32_e32 v76, 0, v70, vcc_lo
	v_exp_f32_e32 v77, v77
	v_cndmask_b32_e64 v80, 0, v69, s2
	v_fma_f32 v69, s18, v129, -v68
	v_cndmask_b32_e64 v85, 0, v72, s4
	v_mul_f32_e32 v71, 0x3fb8aa3b, v71
	v_fma_f32 v72, s18, v100, -v68
	s_delay_alu instid0(VALU_DEP_4) | instskip(SKIP_1) | instid1(VALU_DEP_4)
	v_dual_add_f32 v70, 0, v80 :: v_dual_mul_f32 v69, 0x3fb8aa3b, v69
	v_cmp_gt_u32_e64 s2, 16, v67
	v_exp_f32_e32 v71, v71
	s_delay_alu instid0(TRANS32_DEP_2) | instskip(SKIP_4) | instid1(VALU_DEP_3)
	v_cndmask_b32_e64 v86, 0, v77, s5
	v_fma_f32 v77, s18, v101, -v68
	v_mul_f32_e32 v78, 0x3fb8aa3b, v78
	v_add_f32_e32 v70, v70, v76
	v_exp_f32_e32 v69, v69
	v_mul_f32_e32 v77, 0x3fb8aa3b, v77
	s_delay_alu instid0(VALU_DEP_3) | instskip(NEXT) | instid1(TRANS32_DEP_3)
	v_exp_f32_e32 v78, v78
	v_cndmask_b32_e64 v88, 0, v71, s8
	v_fma_f32 v71, s18, v104, -v68
	s_delay_alu instid0(VALU_DEP_3) | instskip(NEXT) | instid1(TRANS32_DEP_3)
	v_exp_f32_e32 v77, v77
	v_cndmask_b32_e64 v87, 0, v69, s6
	s_delay_alu instid0(VALU_DEP_2)
	v_mul_f32_e32 v71, 0x3fb8aa3b, v71
	s_waitcnt_depctr 0xfff
	v_cndmask_b32_e64 v84, 0, v78, s7
	v_add_f32_e32 v70, v70, v83
	v_fma_f32 v78, s18, v103, -v68
	v_exp_f32_e32 v82, v71
	s_delay_alu instid0(VALU_DEP_2) | instskip(SKIP_1) | instid1(VALU_DEP_3)
	v_add_f32_e32 v70, v70, v85
	v_mul_f32_e32 v72, 0x3fb8aa3b, v72
	v_mul_f32_e32 v78, 0x3fb8aa3b, v78
	s_delay_alu instid0(VALU_DEP_3) | instskip(SKIP_1) | instid1(VALU_DEP_4)
	v_add_f32_e32 v69, v70, v86
	v_fma_f32 v70, s18, v102, -v68
	v_exp_f32_e32 v72, v72
	s_delay_alu instid0(VALU_DEP_3) | instskip(NEXT) | instid1(VALU_DEP_1)
	v_exp_f32_e32 v78, v78
	v_dual_add_f32 v69, v69, v87 :: v_dual_mul_f32 v70, 0x3fb8aa3b, v70
	s_delay_alu instid0(VALU_DEP_1) | instskip(NEXT) | instid1(VALU_DEP_2)
	v_add_f32_e32 v69, v69, v84
	v_exp_f32_e32 v79, v70
	s_delay_alu instid0(TRANS32_DEP_3) | instskip(NEXT) | instid1(VALU_DEP_2)
	v_cndmask_b32_e64 v70, 0, v72, s9
	v_add_f32_e32 v72, v69, v88
	v_cndmask_b32_e64 v69, 0, v77, s10
	v_fma_f32 v77, s18, v106, -v68
	s_waitcnt_depctr 0xfff
	v_cndmask_b32_e64 v71, 0, v79, s11
	v_dual_mul_f32 v77, 0x3fb8aa3b, v77 :: v_dual_add_f32 v72, v72, v70
	s_delay_alu instid0(VALU_DEP_1) | instskip(NEXT) | instid1(VALU_DEP_1)
	v_exp_f32_e32 v90, v77
	v_add_f32_e32 v79, v72, v69
	v_cndmask_b32_e64 v72, 0, v78, s12
	v_cndmask_b32_e64 v77, 0, v82, s13
	s_delay_alu instid0(VALU_DEP_3) | instskip(SKIP_1) | instid1(VALU_DEP_1)
	v_add_f32_e32 v78, v79, v71
	v_fma_f32 v79, s18, v107, -v68
	v_dual_add_f32 v82, v78, v72 :: v_dual_mul_f32 v79, 0x3fb8aa3b, v79
	v_cndmask_b32_e64 v78, 0, v81, s15
	s_delay_alu instid0(VALU_DEP_2) | instskip(NEXT) | instid1(VALU_DEP_3)
	v_add_f32_e32 v81, v82, v77
	v_exp_f32_e32 v82, v79
	v_cndmask_b32_e64 v79, 0, v90, s16
	s_delay_alu instid0(VALU_DEP_2) | instskip(NEXT) | instid1(VALU_DEP_1)
	v_add_f32_e32 v81, v81, v78
	v_add_f32_e32 v90, v81, v79
	s_waitcnt_depctr 0xfff
	v_cndmask_b32_e64 v81, 0, v82, s17
	s_delay_alu instid0(VALU_DEP_1)
	v_add_f32_e32 v82, v90, v81
	ds_bpermute_b32 v89, v89, v82
	s_and_saveexec_b32 s3, s2
	s_cbranch_execz .LBB1912_12
; %bb.11:
	v_mul_u32_u24_e32 v67, 0x44, v66
	s_delay_alu instid0(VALU_DEP_1) | instskip(SKIP_1) | instid1(VALU_DEP_1)
	v_lshl_add_u32 v67, v65, 2, v67
	s_waitcnt lgkmcnt(0)
	v_dual_add_f32 v82, v82, v89 :: v_dual_add_nc_u32 v67, 0x4000, v67
	ds_store_2addr_b32 v67, v68, v82 offset1:136
.LBB1912_12:
	s_or_b32 exec_lo, exec_lo, s3
	v_lshlrev_b32_e32 v67, 2, v65
	s_waitcnt lgkmcnt(0)
	s_barrier
	buffer_gl0_inv
	v_cmp_eq_u32_e32 vcc_lo, 1, v66
	v_add_nc_u32_e32 v82, 0x4000, v67
	v_cmp_eq_u32_e64 s3, 2, v66
	v_cmp_eq_u32_e64 s5, 7, v66
	ds_load_2addr_b32 v[89:90], v82 offset1:17
	ds_load_2addr_b32 v[91:92], v82 offset0:34 offset1:51
	ds_load_2addr_b32 v[93:94], v82 offset0:68 offset1:85
	;; [unrolled: 1-line block ×4, first 2 shown]
	s_waitcnt lgkmcnt(4)
	v_max3_f32 v67, v89, 0xff7fffff, v90
	s_waitcnt lgkmcnt(3)
	s_delay_alu instid0(VALU_DEP_1) | instskip(SKIP_1) | instid1(VALU_DEP_1)
	v_max3_f32 v67, v67, v91, v92
	s_waitcnt lgkmcnt(2)
	v_max3_f32 v67, v67, v93, v94
	s_waitcnt lgkmcnt(1)
	s_delay_alu instid0(VALU_DEP_1) | instskip(NEXT) | instid1(VALU_DEP_1)
	v_max3_f32 v67, v67, v95, v96
	v_sub_f32_e32 v93, v93, v67
	s_delay_alu instid0(VALU_DEP_1) | instskip(NEXT) | instid1(VALU_DEP_1)
	v_dual_sub_f32 v68, v89, v67 :: v_dual_mul_f32 v103, 0x3fb8aa3b, v93
	v_mul_f32_e32 v68, 0x3fb8aa3b, v68
	s_delay_alu instid0(VALU_DEP_1)
	v_exp_f32_e32 v100, v68
	v_sub_f32_e32 v68, v92, v67
	v_sub_f32_e32 v99, v90, v67
	ds_load_2addr_b32 v[89:90], v82 offset0:170 offset1:187
	v_dual_mul_f32 v102, 0x3fb8aa3b, v68 :: v_dual_mul_f32 v99, 0x3fb8aa3b, v99
	s_waitcnt lgkmcnt(1)
	v_fma_f32 v68, v100, v97, 0
	s_delay_alu instid0(VALU_DEP_2) | instskip(NEXT) | instid1(VALU_DEP_2)
	v_exp_f32_e32 v102, v102
	v_exp_f32_e32 v99, v99
	s_waitcnt_depctr 0xfff
	v_fmac_f32_e32 v68, v99, v98
	v_sub_f32_e32 v91, v91, v67
	s_delay_alu instid0(VALU_DEP_1)
	v_mul_f32_e32 v101, 0x3fb8aa3b, v91
	ds_load_2addr_b32 v[91:92], v82 offset0:204 offset1:221
	v_sub_f32_e32 v97, v94, v67
	ds_load_2addr_b32 v[93:94], v82 offset0:238 offset1:255
	s_waitcnt lgkmcnt(0)
	v_exp_f32_e32 v101, v101
	s_barrier
	buffer_gl0_inv
	v_dual_fmac_f32 v68, v101, v89 :: v_dual_sub_f32 v89, v96, v67
	v_dual_sub_f32 v82, v95, v67 :: v_dual_mul_f32 v95, 0x3fb8aa3b, v97
	v_exp_f32_e32 v97, v103
	s_delay_alu instid0(VALU_DEP_2) | instskip(NEXT) | instid1(VALU_DEP_2)
	v_dual_fmac_f32 v68, v102, v90 :: v_dual_mul_f32 v89, 0x3fb8aa3b, v89
	v_mul_f32_e32 v82, 0x3fb8aa3b, v82
	s_delay_alu instid0(VALU_DEP_3) | instskip(NEXT) | instid1(VALU_DEP_2)
	v_exp_f32_e32 v95, v95
	v_exp_f32_e32 v89, v89
	s_delay_alu instid0(VALU_DEP_1)
	v_exp_f32_e32 v82, v82
	v_fmac_f32_e32 v68, v97, v91
	s_delay_alu instid0(TRANS32_DEP_3) | instid1(VALU_DEP_1)
	v_fmac_f32_e32 v68, v95, v92
	s_waitcnt_depctr 0xfff
	v_fmac_f32_e32 v68, v82, v93
	s_delay_alu instid0(VALU_DEP_1) | instskip(NEXT) | instid1(VALU_DEP_1)
	v_fmac_f32_e32 v68, v89, v94
	v_add_f32_e32 v90, 0x358637bd, v68
	s_delay_alu instid0(VALU_DEP_1) | instskip(NEXT) | instid1(VALU_DEP_1)
	v_div_scale_f32 v91, null, v90, v90, 1.0
	v_rcp_f32_e32 v92, v91
	s_waitcnt_depctr 0xfff
	v_fma_f32 v93, -v91, v92, 1.0
	s_delay_alu instid0(VALU_DEP_1) | instskip(SKIP_1) | instid1(VALU_DEP_2)
	v_dual_fmac_f32 v92, v93, v92 :: v_dual_cndmask_b32 v93, v100, v99
	v_cmp_eq_u32_e32 vcc_lo, 3, v66
	v_cndmask_b32_e64 v93, v93, v101, s3
	v_cmp_eq_u32_e64 s3, 4, v66
	s_delay_alu instid0(VALU_DEP_2) | instskip(SKIP_1) | instid1(VALU_DEP_2)
	v_cndmask_b32_e32 v93, v93, v102, vcc_lo
	v_cmp_eq_u32_e32 vcc_lo, 5, v66
	v_cndmask_b32_e64 v93, v93, v97, s3
	v_cmp_eq_u32_e64 s3, 6, v66
	s_delay_alu instid0(VALU_DEP_2) | instskip(SKIP_1) | instid1(VALU_DEP_1)
	v_cndmask_b32_e32 v93, v93, v95, vcc_lo
	v_div_scale_f32 v94, s4, 1.0, v90, 1.0
	s_mov_b32 vcc_lo, s4
	s_delay_alu instid0(VALU_DEP_2) | instskip(NEXT) | instid1(VALU_DEP_2)
	v_cndmask_b32_e64 v82, v93, v82, s3
	v_mul_f32_e32 v96, v94, v92
	s_mov_b32 s3, exec_lo
	s_delay_alu instid0(VALU_DEP_2) | instskip(NEXT) | instid1(VALU_DEP_2)
	v_cndmask_b32_e64 v82, v82, v89, s5
	v_fma_f32 v98, -v91, v96, v94
	s_delay_alu instid0(VALU_DEP_1) | instskip(NEXT) | instid1(VALU_DEP_1)
	v_fmac_f32_e32 v96, v98, v92
	v_fma_f32 v91, -v91, v96, v94
	s_delay_alu instid0(VALU_DEP_1) | instskip(NEXT) | instid1(VALU_DEP_1)
	v_div_fmas_f32 v91, v91, v92, v96
	v_div_fixup_f32 v90, v91, v90, 1.0
	s_delay_alu instid0(VALU_DEP_1) | instskip(NEXT) | instid1(VALU_DEP_1)
	v_mul_f32_e32 v82, v82, v90
	v_mul_f32_e32 v87, v82, v87
	;; [unrolled: 1-line block ×7, first 2 shown]
	v_dual_mul_f32 v86, v82, v83 :: v_dual_and_b32 v91, 0x7f800000, v90
	v_mul_f32_e32 v85, v82, v76
                                        ; implicit-def: $vgpr76
	s_delay_alu instid0(VALU_DEP_2)
	v_cmpx_ne_u32_e32 0x7f800000, v91
	s_xor_b32 s3, exec_lo, s3
; %bb.13:
	v_bfe_u32 v76, v90, 16, 1
	s_delay_alu instid0(VALU_DEP_1)
	v_add3_u32 v76, v90, v76, 0x7fff
                                        ; implicit-def: $vgpr90
; %bb.14:
	s_and_not1_saveexec_b32 s3, s3
; %bb.15:
	v_and_b32_e32 v76, 0xffff, v90
	v_or_b32_e32 v83, 0x10000, v90
	s_delay_alu instid0(VALU_DEP_2) | instskip(NEXT) | instid1(VALU_DEP_2)
	v_cmp_eq_u32_e32 vcc_lo, 0, v76
	v_cndmask_b32_e32 v76, v83, v90, vcc_lo
; %bb.16:
	s_or_b32 exec_lo, exec_lo, s3
	v_and_b32_e32 v83, 0x7f800000, v85
	s_delay_alu instid0(VALU_DEP_1) | instskip(SKIP_1) | instid1(SALU_CYCLE_1)
	v_cmp_ne_u32_e32 vcc_lo, 0x7f800000, v83
                                        ; implicit-def: $vgpr83
	s_and_saveexec_b32 s3, vcc_lo
	s_xor_b32 s3, exec_lo, s3
; %bb.17:
	v_bfe_u32 v83, v85, 16, 1
	s_delay_alu instid0(VALU_DEP_1)
	v_add3_u32 v83, v85, v83, 0x7fff
                                        ; implicit-def: $vgpr85
; %bb.18:
	s_and_not1_saveexec_b32 s3, s3
; %bb.19:
	v_and_b32_e32 v83, 0xffff, v85
	v_or_b32_e32 v90, 0x10000, v85
	s_delay_alu instid0(VALU_DEP_2) | instskip(NEXT) | instid1(VALU_DEP_2)
	v_cmp_eq_u32_e32 vcc_lo, 0, v83
	v_cndmask_b32_e32 v83, v90, v85, vcc_lo
; %bb.20:
	s_or_b32 exec_lo, exec_lo, s3
	v_and_b32_e32 v85, 0x7f800000, v86
	s_delay_alu instid0(VALU_DEP_1) | instskip(SKIP_1) | instid1(SALU_CYCLE_1)
	v_cmp_ne_u32_e32 vcc_lo, 0x7f800000, v85
                                        ; implicit-def: $vgpr85
	s_and_saveexec_b32 s3, vcc_lo
	s_xor_b32 s3, exec_lo, s3
; %bb.21:
	v_bfe_u32 v85, v86, 16, 1
	s_delay_alu instid0(VALU_DEP_1)
	v_add3_u32 v85, v86, v85, 0x7fff
                                        ; implicit-def: $vgpr86
; %bb.22:
	s_and_not1_saveexec_b32 s3, s3
; %bb.23:
	v_and_b32_e32 v85, 0xffff, v86
	v_or_b32_e32 v90, 0x10000, v86
	s_delay_alu instid0(VALU_DEP_2) | instskip(NEXT) | instid1(VALU_DEP_2)
	v_cmp_eq_u32_e32 vcc_lo, 0, v85
	v_cndmask_b32_e32 v85, v90, v86, vcc_lo
; %bb.24:
	s_or_b32 exec_lo, exec_lo, s3
	v_and_b32_e32 v86, 0x7f800000, v89
	s_delay_alu instid0(VALU_DEP_1) | instskip(SKIP_1) | instid1(SALU_CYCLE_1)
	v_cmp_ne_u32_e32 vcc_lo, 0x7f800000, v86
                                        ; implicit-def: $vgpr86
	s_and_saveexec_b32 s3, vcc_lo
	s_xor_b32 s3, exec_lo, s3
; %bb.25:
	v_bfe_u32 v86, v89, 16, 1
	s_delay_alu instid0(VALU_DEP_1)
	v_add3_u32 v86, v89, v86, 0x7fff
                                        ; implicit-def: $vgpr89
; %bb.26:
	s_and_not1_saveexec_b32 s3, s3
; %bb.27:
	v_and_b32_e32 v86, 0xffff, v89
	v_or_b32_e32 v90, 0x10000, v89
	s_delay_alu instid0(VALU_DEP_2) | instskip(NEXT) | instid1(VALU_DEP_2)
	v_cmp_eq_u32_e32 vcc_lo, 0, v86
	v_cndmask_b32_e32 v86, v90, v89, vcc_lo
; %bb.28:
	s_or_b32 exec_lo, exec_lo, s3
	v_and_b32_e32 v89, 0x7f800000, v88
	s_delay_alu instid0(VALU_DEP_1) | instskip(SKIP_1) | instid1(SALU_CYCLE_1)
	v_cmp_ne_u32_e32 vcc_lo, 0x7f800000, v89
                                        ; implicit-def: $vgpr89
	s_and_saveexec_b32 s3, vcc_lo
	s_xor_b32 s3, exec_lo, s3
; %bb.29:
	v_bfe_u32 v89, v88, 16, 1
	s_delay_alu instid0(VALU_DEP_1)
	v_add3_u32 v89, v88, v89, 0x7fff
                                        ; implicit-def: $vgpr88
; %bb.30:
	s_and_not1_saveexec_b32 s3, s3
; %bb.31:
	v_and_b32_e32 v89, 0xffff, v88
	v_or_b32_e32 v90, 0x10000, v88
	s_delay_alu instid0(VALU_DEP_2) | instskip(NEXT) | instid1(VALU_DEP_2)
	v_cmp_eq_u32_e32 vcc_lo, 0, v89
	v_cndmask_b32_e32 v89, v90, v88, vcc_lo
; %bb.32:
	s_or_b32 exec_lo, exec_lo, s3
	v_and_b32_e32 v88, 0x7f800000, v87
	s_delay_alu instid0(VALU_DEP_1) | instskip(SKIP_1) | instid1(SALU_CYCLE_1)
	v_cmp_ne_u32_e32 vcc_lo, 0x7f800000, v88
                                        ; implicit-def: $vgpr88
	s_and_saveexec_b32 s3, vcc_lo
	s_xor_b32 s3, exec_lo, s3
; %bb.33:
	v_bfe_u32 v88, v87, 16, 1
	s_delay_alu instid0(VALU_DEP_1)
	v_add3_u32 v88, v87, v88, 0x7fff
                                        ; implicit-def: $vgpr87
; %bb.34:
	s_and_not1_saveexec_b32 s3, s3
; %bb.35:
	v_and_b32_e32 v88, 0xffff, v87
	v_or_b32_e32 v90, 0x10000, v87
	s_delay_alu instid0(VALU_DEP_2) | instskip(NEXT) | instid1(VALU_DEP_2)
	v_cmp_eq_u32_e32 vcc_lo, 0, v88
	v_cndmask_b32_e32 v88, v90, v87, vcc_lo
; %bb.36:
	s_or_b32 exec_lo, exec_lo, s3
	v_and_b32_e32 v87, 0x7f800000, v84
	s_delay_alu instid0(VALU_DEP_1) | instskip(SKIP_1) | instid1(SALU_CYCLE_1)
	v_cmp_ne_u32_e32 vcc_lo, 0x7f800000, v87
                                        ; implicit-def: $vgpr87
	s_and_saveexec_b32 s3, vcc_lo
	s_xor_b32 s3, exec_lo, s3
; %bb.37:
	v_bfe_u32 v87, v84, 16, 1
	s_delay_alu instid0(VALU_DEP_1)
	v_add3_u32 v87, v84, v87, 0x7fff
                                        ; implicit-def: $vgpr84
; %bb.38:
	s_and_not1_saveexec_b32 s3, s3
; %bb.39:
	v_and_b32_e32 v87, 0xffff, v84
	v_or_b32_e32 v90, 0x10000, v84
	s_delay_alu instid0(VALU_DEP_2) | instskip(NEXT) | instid1(VALU_DEP_2)
	v_cmp_eq_u32_e32 vcc_lo, 0, v87
	v_cndmask_b32_e32 v87, v90, v84, vcc_lo
; %bb.40:
	s_or_b32 exec_lo, exec_lo, s3
	v_and_b32_e32 v84, 0x7f800000, v80
	s_delay_alu instid0(VALU_DEP_1) | instskip(SKIP_1) | instid1(SALU_CYCLE_1)
	v_cmp_ne_u32_e32 vcc_lo, 0x7f800000, v84
                                        ; implicit-def: $vgpr84
	s_and_saveexec_b32 s3, vcc_lo
	s_xor_b32 s3, exec_lo, s3
; %bb.41:
	v_bfe_u32 v84, v80, 16, 1
	s_delay_alu instid0(VALU_DEP_1)
	v_add3_u32 v84, v80, v84, 0x7fff
                                        ; implicit-def: $vgpr80
; %bb.42:
	s_and_not1_saveexec_b32 s3, s3
; %bb.43:
	v_and_b32_e32 v84, 0xffff, v80
	v_or_b32_e32 v90, 0x10000, v80
	s_delay_alu instid0(VALU_DEP_2) | instskip(NEXT) | instid1(VALU_DEP_2)
	v_cmp_eq_u32_e32 vcc_lo, 0, v84
	v_cndmask_b32_e32 v84, v90, v80, vcc_lo
; %bb.44:
	s_or_b32 exec_lo, exec_lo, s3
	s_load_b64 s[34:35], s[0:1], 0x94
	v_lshlrev_b32_e32 v91, 4, v74
	s_delay_alu instid0(VALU_DEP_2)
	v_perm_b32 v90, v84, v87, 0x7060302
	v_dual_mul_f32 v79, v82, v79 :: v_dual_lshlrev_b32 v80, 6, v65
	v_dual_mul_f32 v77, v82, v77 :: v_dual_lshlrev_b32 v92, 11, v66
	v_mul_f32_e32 v84, v82, v70
	v_perm_b32 v89, v88, v89, 0x7060302
	v_perm_b32 v88, v86, v85, 0x7060302
	;; [unrolled: 1-line block ×3, first 2 shown]
	v_mul_f32_e32 v70, v82, v81
	v_or3_b32 v76, v91, v92, v80
	v_dual_mul_f32 v78, v82, v78 :: v_dual_and_b32 v85, 0x7f800000, v84
	v_mul_f32_e32 v83, v82, v72
	v_mul_f32_e32 v81, v82, v71
	;; [unrolled: 1-line block ×3, first 2 shown]
	s_mov_b32 s3, exec_lo
	ds_store_b128 v76, v[87:90]
                                        ; implicit-def: $vgpr69
	v_cmpx_ne_u32_e32 0x7f800000, v85
	s_xor_b32 s3, exec_lo, s3
; %bb.45:
	v_bfe_u32 v69, v84, 16, 1
	s_delay_alu instid0(VALU_DEP_1)
	v_add3_u32 v69, v84, v69, 0x7fff
                                        ; implicit-def: $vgpr84
; %bb.46:
	s_and_not1_saveexec_b32 s3, s3
; %bb.47:
	v_and_b32_e32 v69, 0xffff, v84
	v_or_b32_e32 v71, 0x10000, v84
	s_delay_alu instid0(VALU_DEP_2) | instskip(NEXT) | instid1(VALU_DEP_2)
	v_cmp_eq_u32_e32 vcc_lo, 0, v69
	v_cndmask_b32_e32 v69, v71, v84, vcc_lo
; %bb.48:
	s_or_b32 exec_lo, exec_lo, s3
	v_and_b32_e32 v71, 0x7f800000, v72
	s_delay_alu instid0(VALU_DEP_1) | instskip(SKIP_1) | instid1(SALU_CYCLE_1)
	v_cmp_ne_u32_e32 vcc_lo, 0x7f800000, v71
                                        ; implicit-def: $vgpr71
	s_and_saveexec_b32 s3, vcc_lo
	s_xor_b32 s3, exec_lo, s3
; %bb.49:
	v_bfe_u32 v71, v72, 16, 1
	s_delay_alu instid0(VALU_DEP_1)
	v_add3_u32 v71, v72, v71, 0x7fff
                                        ; implicit-def: $vgpr72
; %bb.50:
	s_and_not1_saveexec_b32 s3, s3
; %bb.51:
	v_and_b32_e32 v71, 0xffff, v72
	v_or_b32_e32 v82, 0x10000, v72
	s_delay_alu instid0(VALU_DEP_2) | instskip(NEXT) | instid1(VALU_DEP_2)
	v_cmp_eq_u32_e32 vcc_lo, 0, v71
	v_cndmask_b32_e32 v71, v82, v72, vcc_lo
; %bb.52:
	s_or_b32 exec_lo, exec_lo, s3
	v_and_b32_e32 v72, 0x7f800000, v81
	s_delay_alu instid0(VALU_DEP_1) | instskip(SKIP_1) | instid1(SALU_CYCLE_1)
	v_cmp_ne_u32_e32 vcc_lo, 0x7f800000, v72
                                        ; implicit-def: $vgpr72
	s_and_saveexec_b32 s3, vcc_lo
	s_xor_b32 s3, exec_lo, s3
; %bb.53:
	v_bfe_u32 v72, v81, 16, 1
	s_delay_alu instid0(VALU_DEP_1)
	v_add3_u32 v72, v81, v72, 0x7fff
                                        ; implicit-def: $vgpr81
; %bb.54:
	s_and_not1_saveexec_b32 s3, s3
; %bb.55:
	v_and_b32_e32 v72, 0xffff, v81
	v_or_b32_e32 v82, 0x10000, v81
	s_delay_alu instid0(VALU_DEP_2) | instskip(NEXT) | instid1(VALU_DEP_2)
	v_cmp_eq_u32_e32 vcc_lo, 0, v72
	v_cndmask_b32_e32 v72, v82, v81, vcc_lo
; %bb.56:
	s_or_b32 exec_lo, exec_lo, s3
	v_and_b32_e32 v81, 0x7f800000, v83
	s_delay_alu instid0(VALU_DEP_1) | instskip(SKIP_1) | instid1(SALU_CYCLE_1)
	v_cmp_ne_u32_e32 vcc_lo, 0x7f800000, v81
                                        ; implicit-def: $vgpr81
	s_and_saveexec_b32 s3, vcc_lo
	s_xor_b32 s3, exec_lo, s3
; %bb.57:
	v_bfe_u32 v81, v83, 16, 1
	s_delay_alu instid0(VALU_DEP_1)
	v_add3_u32 v81, v83, v81, 0x7fff
                                        ; implicit-def: $vgpr83
; %bb.58:
	s_and_not1_saveexec_b32 s3, s3
; %bb.59:
	v_and_b32_e32 v81, 0xffff, v83
	v_or_b32_e32 v82, 0x10000, v83
	s_delay_alu instid0(VALU_DEP_2) | instskip(NEXT) | instid1(VALU_DEP_2)
	v_cmp_eq_u32_e32 vcc_lo, 0, v81
	v_cndmask_b32_e32 v81, v82, v83, vcc_lo
; %bb.60:
	s_or_b32 exec_lo, exec_lo, s3
	v_and_b32_e32 v82, 0x7f800000, v77
	s_delay_alu instid0(VALU_DEP_1) | instskip(SKIP_1) | instid1(SALU_CYCLE_1)
	v_cmp_ne_u32_e32 vcc_lo, 0x7f800000, v82
                                        ; implicit-def: $vgpr82
	s_and_saveexec_b32 s3, vcc_lo
	s_xor_b32 s3, exec_lo, s3
; %bb.61:
	v_bfe_u32 v82, v77, 16, 1
	s_delay_alu instid0(VALU_DEP_1)
	v_add3_u32 v82, v77, v82, 0x7fff
                                        ; implicit-def: $vgpr77
; %bb.62:
	s_and_not1_saveexec_b32 s3, s3
; %bb.63:
	v_and_b32_e32 v82, 0xffff, v77
	v_or_b32_e32 v83, 0x10000, v77
	s_delay_alu instid0(VALU_DEP_2) | instskip(NEXT) | instid1(VALU_DEP_2)
	v_cmp_eq_u32_e32 vcc_lo, 0, v82
	v_cndmask_b32_e32 v82, v83, v77, vcc_lo
; %bb.64:
	s_or_b32 exec_lo, exec_lo, s3
	v_and_b32_e32 v77, 0x7f800000, v78
	s_delay_alu instid0(VALU_DEP_1) | instskip(SKIP_1) | instid1(SALU_CYCLE_1)
	v_cmp_ne_u32_e32 vcc_lo, 0x7f800000, v77
                                        ; implicit-def: $vgpr77
	s_and_saveexec_b32 s3, vcc_lo
	s_xor_b32 s3, exec_lo, s3
; %bb.65:
	v_bfe_u32 v77, v78, 16, 1
	s_delay_alu instid0(VALU_DEP_1)
	v_add3_u32 v77, v78, v77, 0x7fff
                                        ; implicit-def: $vgpr78
; %bb.66:
	s_and_not1_saveexec_b32 s3, s3
; %bb.67:
	v_and_b32_e32 v77, 0xffff, v78
	v_or_b32_e32 v83, 0x10000, v78
	s_delay_alu instid0(VALU_DEP_2) | instskip(NEXT) | instid1(VALU_DEP_2)
	v_cmp_eq_u32_e32 vcc_lo, 0, v77
	v_cndmask_b32_e32 v77, v83, v78, vcc_lo
; %bb.68:
	s_or_b32 exec_lo, exec_lo, s3
	v_and_b32_e32 v78, 0x7f800000, v79
	s_delay_alu instid0(VALU_DEP_1) | instskip(SKIP_1) | instid1(SALU_CYCLE_1)
	v_cmp_ne_u32_e32 vcc_lo, 0x7f800000, v78
                                        ; implicit-def: $vgpr78
	s_and_saveexec_b32 s3, vcc_lo
	s_xor_b32 s3, exec_lo, s3
; %bb.69:
	v_bfe_u32 v78, v79, 16, 1
	s_delay_alu instid0(VALU_DEP_1)
	v_add3_u32 v78, v79, v78, 0x7fff
                                        ; implicit-def: $vgpr79
; %bb.70:
	s_and_not1_saveexec_b32 s3, s3
; %bb.71:
	v_and_b32_e32 v78, 0xffff, v79
	v_or_b32_e32 v83, 0x10000, v79
	s_delay_alu instid0(VALU_DEP_2) | instskip(NEXT) | instid1(VALU_DEP_2)
	v_cmp_eq_u32_e32 vcc_lo, 0, v78
	v_cndmask_b32_e32 v78, v83, v79, vcc_lo
; %bb.72:
	s_or_b32 exec_lo, exec_lo, s3
	v_and_b32_e32 v79, 0x7f800000, v70
	s_delay_alu instid0(VALU_DEP_1) | instskip(SKIP_1) | instid1(SALU_CYCLE_1)
	v_cmp_ne_u32_e32 vcc_lo, 0x7f800000, v79
                                        ; implicit-def: $vgpr79
	s_and_saveexec_b32 s3, vcc_lo
	s_xor_b32 s3, exec_lo, s3
; %bb.73:
	v_bfe_u32 v79, v70, 16, 1
	s_delay_alu instid0(VALU_DEP_1)
	v_add3_u32 v79, v70, v79, 0x7fff
                                        ; implicit-def: $vgpr70
; %bb.74:
	s_and_not1_saveexec_b32 s3, s3
; %bb.75:
	v_and_b32_e32 v79, 0xffff, v70
	v_or_b32_e32 v83, 0x10000, v70
	s_delay_alu instid0(VALU_DEP_2) | instskip(NEXT) | instid1(VALU_DEP_2)
	v_cmp_eq_u32_e32 vcc_lo, 0, v79
	v_cndmask_b32_e32 v79, v83, v70, vcc_lo
; %bb.76:
	s_or_b32 exec_lo, exec_lo, s3
	s_delay_alu instid0(VALU_DEP_1)
	v_perm_b32 v86, v79, v78, 0x7060302
	v_perm_b32 v85, v77, v82, 0x7060302
	;; [unrolled: 1-line block ×4, first 2 shown]
	v_lshl_or_b32 v82, v66, 11, v80
	ds_store_b128 v76, v[83:86] offset:1024
	s_waitcnt lgkmcnt(0)
	s_barrier
	buffer_gl0_inv
	ds_load_b128 v[69:72], v82
	ds_load_b128 v[83:86], v82 offset:16
	s_waitcnt lgkmcnt(1)
	v_lshrrev_b32_e32 v66, 16, v69
	s_waitcnt lgkmcnt(0)
	v_lshrrev_b32_e32 v91, 16, v83
	v_lshlrev_b32_e32 v78, 2, v74
	v_lshrrev_b32_e32 v95, 16, v70
	v_lshrrev_b32_e32 v98, 16, v84
	;; [unrolled: 1-line block ×4, first 2 shown]
	v_cmp_eq_u32_e32 vcc_lo, 1, v78
	v_lshrrev_b32_e32 v97, 16, v72
	v_lshrrev_b32_e32 v100, 16, v86
	v_cndmask_b32_e32 v87, v83, v91, vcc_lo
	v_or_b32_e32 v79, 1, v78
	v_cndmask_b32_e32 v81, v69, v66, vcc_lo
	v_cmp_eq_u32_e64 s4, 2, v78
	v_cmp_eq_u32_e64 s7, 3, v78
	;; [unrolled: 1-line block ×5, first 2 shown]
	v_cndmask_b32_e64 v81, v81, v70, s4
	v_cndmask_b32_e64 v87, v87, v84, s4
	v_cmp_eq_u32_e64 s8, 3, v79
	v_cndmask_b32_e64 v88, v69, v66, s3
	v_or_b32_e32 v77, 2, v78
	v_cndmask_b32_e64 v81, v81, v95, s7
	v_cndmask_b32_e64 v87, v87, v98, s7
	;; [unrolled: 1-line block ×4, first 2 shown]
	v_cmp_eq_u32_e64 s10, 5, v78
	v_cndmask_b32_e64 v81, v81, v71, s9
	v_cndmask_b32_e64 v87, v87, v85, s9
	v_cmp_eq_u32_e64 s11, 4, v79
	v_cndmask_b32_e64 v88, v88, v95, s8
	v_cmp_eq_u32_e64 s5, 1, v77
	v_cndmask_b32_e64 v89, v89, v84, s6
	v_cndmask_b32_e64 v81, v81, v96, s10
	v_cmp_eq_u32_e64 s12, 6, v78
	v_cndmask_b32_e64 v88, v88, v71, s11
	;; [unrolled: 3-line block ×3, first 2 shown]
	v_cndmask_b32_e64 v89, v89, v98, s8
	v_cndmask_b32_e64 v81, v81, v72, s12
	v_cmp_eq_u32_e64 s15, 7, v78
	v_cndmask_b32_e64 v88, v88, v96, s13
	v_cndmask_b32_e64 v87, v87, v86, s12
	v_cmp_eq_u32_e64 s16, 6, v79
	v_cmp_eq_u32_e64 s17, 2, v77
	v_cndmask_b32_e64 v89, v89, v85, s11
	v_cndmask_b32_e64 v101, v81, v97, s15
	;; [unrolled: 1-line block ×6, first 2 shown]
	v_cmp_eq_u32_e64 s18, 7, v79
	v_cmp_eq_u32_e64 s19, 3, v77
	;; [unrolled: 1-line block ×4, first 2 shown]
	v_cndmask_b32_e64 v87, v87, v84, s17
	v_cndmask_b32_e64 v103, v88, v97, s18
	;; [unrolled: 1-line block ×4, first 2 shown]
	v_or_b32_e32 v81, 3, v78
	v_cndmask_b32_e64 v93, v87, v98, s19
	v_cmp_eq_u32_e64 s24, 6, v77
	v_cndmask_b32_e64 v104, v88, v86, s16
	v_cndmask_b32_e64 v92, v89, v71, s20
	v_cmp_eq_u32_e64 s21, 1, v81
	ds_load_b128 v[87:90], v82 offset:1024
	v_cmp_eq_u32_e64 s23, 2, v81
	v_cmp_eq_u32_e64 s25, 3, v81
	v_cndmask_b32_e64 v105, v92, v96, s22
	v_cndmask_b32_e64 v66, v69, v66, s21
	;; [unrolled: 1-line block ×4, first 2 shown]
	ds_load_b128 v[91:94], v82 offset:1040
	v_cmp_eq_u32_e64 s26, 4, v81
	v_cndmask_b32_e64 v66, v66, v70, s23
	v_cmp_eq_u32_e64 s27, 7, v77
	v_cndmask_b32_e64 v70, v83, v84, s23
	v_cndmask_b32_e64 v84, v105, v72, s24
	v_cmp_eq_u32_e64 s28, 5, v81
	v_cndmask_b32_e64 v66, v66, v95, s25
	v_cmp_eq_u32_e64 s29, 6, v81
	v_cndmask_b32_e64 v70, v70, v98, s25
	v_cndmask_b32_e64 v69, v69, v99, s22
	;; [unrolled: 1-line block ×4, first 2 shown]
	s_waitcnt lgkmcnt(1)
	v_lshrrev_b32_e32 v95, 16, v87
	v_cndmask_b32_e64 v70, v70, v85, s26
	v_cndmask_b32_e64 v71, v84, v97, s27
	;; [unrolled: 1-line block ×4, first 2 shown]
	v_cndmask_b32_e32 v84, v87, v95, vcc_lo
	v_cndmask_b32_e64 v70, v70, v99, s28
	s_waitcnt lgkmcnt(0)
	v_lshrrev_b32_e32 v85, 16, v91
	v_lshrrev_b32_e32 v96, 16, v88
	v_cndmask_b32_e64 v98, v87, v95, s3
	v_cndmask_b32_e64 v84, v84, v88, s4
	;; [unrolled: 1-line block ×3, first 2 shown]
	v_cndmask_b32_e32 v99, v91, v85, vcc_lo
	v_cmp_eq_u32_e32 vcc_lo, 7, v81
	v_cndmask_b32_e64 v66, v66, v72, s29
	v_cndmask_b32_e64 v72, v84, v96, s7
	;; [unrolled: 1-line block ×3, first 2 shown]
	v_lshrrev_b32_e32 v98, 16, v92
	v_cndmask_b32_e32 v70, v70, v100, vcc_lo
	v_cndmask_b32_e64 v86, v99, v92, s4
	v_cndmask_b32_e64 v69, v69, v100, s27
	v_lshrrev_b32_e32 v100, 16, v93
	v_cndmask_b32_e64 v72, v72, v89, s9
	v_lshrrev_b32_e32 v99, 16, v89
	v_cndmask_b32_e64 v86, v86, v98, s7
	v_perm_b32 v71, v69, v71, 0x5040100
	v_cndmask_b32_e64 v84, v84, v96, s8
	s_delay_alu instid0(VALU_DEP_3) | instskip(NEXT) | instid1(VALU_DEP_2)
	v_cndmask_b32_e64 v86, v86, v93, s9
	v_cndmask_b32_e64 v84, v84, v89, s11
	s_delay_alu instid0(VALU_DEP_2) | instskip(NEXT) | instid1(VALU_DEP_1)
	v_cndmask_b32_e64 v86, v86, v100, s10
	v_cndmask_b32_e64 v69, v86, v94, s12
	;; [unrolled: 1-line block ×5, first 2 shown]
	s_delay_alu instid0(VALU_DEP_3) | instskip(NEXT) | instid1(VALU_DEP_3)
	v_cndmask_b32_e64 v86, v86, v88, s17
	v_cndmask_b32_e64 v87, v87, v88, s23
	s_delay_alu instid0(VALU_DEP_3) | instskip(NEXT) | instid1(VALU_DEP_3)
	v_cndmask_b32_e64 v88, v95, v92, s23
	v_cndmask_b32_e64 v86, v86, v96, s19
	;; [unrolled: 3-line block ×7, first 2 shown]
	s_delay_alu instid0(VALU_DEP_3) | instskip(SKIP_2) | instid1(VALU_DEP_2)
	v_cndmask_b32_e64 v88, v88, v94, s29
	v_cndmask_b32_e32 v66, v66, v97, vcc_lo
	v_cndmask_b32_e64 v97, v72, v99, s10
	v_perm_b32 v72, v70, v66, 0x5040100
	v_perm_b32 v70, v83, v103, 0x5040100
	v_cndmask_b32_e64 v103, v91, v85, s5
	v_cndmask_b32_e64 v85, v91, v85, s3
	;; [unrolled: 1-line block ×4, first 2 shown]
	v_lshrrev_b32_e32 v97, 16, v90
	v_cndmask_b32_e64 v91, v103, v92, s17
	v_cndmask_b32_e64 v85, v85, v92, s6
	;; [unrolled: 1-line block ×3, first 2 shown]
	s_mov_b32 s3, exec_lo
	v_cndmask_b32_e64 v83, v84, v97, s15
	v_cndmask_b32_e64 v91, v91, v98, s19
	;; [unrolled: 1-line block ×3, first 2 shown]
	v_lshrrev_b32_e32 v84, 16, v94
	v_cndmask_b32_e64 v66, v66, v97, s18
	v_cndmask_b32_e64 v90, v86, v97, s27
	;; [unrolled: 1-line block ×4, first 2 shown]
	v_dual_cndmask_b32 v86, v87, v97 :: v_dual_cndmask_b32 v87, v88, v84
	v_cndmask_b32_e64 v91, v69, v84, s15
	s_delay_alu instid0(VALU_DEP_4) | instskip(NEXT) | instid1(VALU_DEP_4)
	v_cndmask_b32_e64 v89, v89, v100, s22
	v_cndmask_b32_e64 v85, v85, v100, s13
	v_perm_b32 v69, v102, v101, 0x5040100
	v_perm_b32 v86, v87, v86, 0x5040100
	;; [unrolled: 1-line block ×3, first 2 shown]
	v_cndmask_b32_e64 v89, v89, v94, s24
	v_cndmask_b32_e64 v85, v85, v94, s16
	s_mul_i32 s8, s35, 11
	s_delay_alu instid0(VALU_DEP_2) | instskip(NEXT) | instid1(VALU_DEP_2)
	v_cndmask_b32_e64 v88, v89, v84, s27
	v_cndmask_b32_e64 v89, v85, v84, s18
	s_delay_alu instid0(VALU_DEP_2) | instskip(NEXT) | instid1(VALU_DEP_2)
	v_perm_b32 v85, v88, v90, 0x5040100
	v_perm_b32 v84, v89, v66, 0x5040100
	ds_store_b128 v76, v[69:72]
	ds_store_b128 v76, v[83:86] offset:1024
	v_cmpx_gt_u32_e32 11, v0
	s_cbranch_execz .LBB1912_78
; %bb.77:
	s_mul_i32 s4, s8, s30
	s_delay_alu instid0(SALU_CYCLE_1) | instskip(SKIP_1) | instid1(VALU_DEP_1)
	v_add3_u32 v69, s4, s31, v65
	s_load_b128 s[4:7], s[0:1], 0x58
	v_mad_u64_u32 v[65:66], null, v69, s34, s[14:15]
	s_delay_alu instid0(VALU_DEP_1) | instskip(NEXT) | instid1(VALU_DEP_1)
	v_ashrrev_i32_e32 v66, 31, v65
	v_lshlrev_b64 v[65:66], 2, v[65:66]
	s_waitcnt lgkmcnt(0)
	s_delay_alu instid0(VALU_DEP_1) | instskip(NEXT) | instid1(VALU_DEP_2)
	v_add_co_u32 v69, vcc_lo, s6, v65
	v_add_co_ci_u32_e32 v70, vcc_lo, s7, v66, vcc_lo
	v_add_co_u32 v65, vcc_lo, s4, v65
	v_add_co_ci_u32_e32 v66, vcc_lo, s5, v66, vcc_lo
	global_store_b32 v[69:70], v67, off
	global_store_b32 v[65:66], v68, off
.LBB1912_78:
	s_or_b32 exec_lo, exec_lo, s3
	s_waitcnt lgkmcnt(0)
	s_waitcnt_vscnt null, 0x0
	s_barrier
	buffer_gl0_inv
	ds_load_b128 v[83:86], v80
	ds_load_b128 v[87:90], v80 offset:16
	ds_load_b128 v[95:98], v80 offset:2064
	;; [unrolled: 1-line block ×3, first 2 shown]
	v_mov_b32_e32 v65, 0
	ds_load_b128 v[103:106], v80 offset:4112
	ds_load_b128 v[99:102], v80 offset:4096
	;; [unrolled: 1-line block ×4, first 2 shown]
	v_mov_b32_e32 v66, v65
	v_mov_b32_e32 v67, v65
	;; [unrolled: 1-line block ×7, first 2 shown]
	s_waitcnt lgkmcnt(6)
	s_delay_alu instid0(VALU_DEP_1)
	v_wmma_f32_16x16x16_bf16 v[65:72], v[49:56], v[83:90], v[65:72]
	ds_load_b128 v[53:56], v80 offset:8208
	ds_load_b128 v[49:52], v80 offset:8192
	s_waitcnt lgkmcnt(6)
	v_wmma_f32_16x16x16_bf16 v[65:72], v[41:48], v[91:98], v[65:72]
	ds_load_b128 v[45:48], v80 offset:10256
	ds_load_b128 v[41:44], v80 offset:10240
	s_waitcnt lgkmcnt(6)
	;; [unrolled: 4-line block ×4, first 2 shown]
	v_wmma_f32_16x16x16_bf16 v[65:72], v[1:8], v[49:56], v[65:72]
	s_waitcnt lgkmcnt(4)
	s_delay_alu instid0(VALU_DEP_1) | instskip(SKIP_1) | instid1(VALU_DEP_1)
	v_wmma_f32_16x16x16_bf16 v[65:72], v[9:16], v[41:48], v[65:72]
	s_waitcnt lgkmcnt(2)
	v_wmma_f32_16x16x16_bf16 v[65:72], v[17:24], v[33:40], v[65:72]
	s_waitcnt lgkmcnt(0)
	s_delay_alu instid0(VALU_DEP_1) | instskip(NEXT) | instid1(VALU_DEP_1)
	v_wmma_f32_16x16x16_bf16 v[65:72], v[57:64], v[25:32], v[65:72]
	v_and_b32_e32 v1, 0x7f800000, v65
	s_delay_alu instid0(VALU_DEP_1) | instskip(SKIP_1) | instid1(SALU_CYCLE_1)
	v_cmp_ne_u32_e32 vcc_lo, 0x7f800000, v1
                                        ; implicit-def: $vgpr1
	s_and_saveexec_b32 s3, vcc_lo
	s_xor_b32 s3, exec_lo, s3
; %bb.79:
	v_bfe_u32 v1, v65, 16, 1
	s_delay_alu instid0(VALU_DEP_1)
	v_add3_u32 v1, v65, v1, 0x7fff
; %bb.80:
	s_and_not1_saveexec_b32 s3, s3
; %bb.81:
	v_and_b32_e32 v1, 0xffff, v65
	v_or_b32_e32 v2, 0x10000, v65
	s_delay_alu instid0(VALU_DEP_2) | instskip(NEXT) | instid1(VALU_DEP_2)
	v_cmp_eq_u32_e32 vcc_lo, 0, v1
	v_cndmask_b32_e32 v1, v2, v65, vcc_lo
; %bb.82:
	s_or_b32 exec_lo, exec_lo, s3
	v_and_b32_e32 v2, 0x7f800000, v66
	s_delay_alu instid0(VALU_DEP_1) | instskip(SKIP_1) | instid1(SALU_CYCLE_1)
	v_cmp_ne_u32_e32 vcc_lo, 0x7f800000, v2
                                        ; implicit-def: $vgpr2
	s_and_saveexec_b32 s3, vcc_lo
	s_xor_b32 s3, exec_lo, s3
; %bb.83:
	v_bfe_u32 v2, v66, 16, 1
	s_delay_alu instid0(VALU_DEP_1)
	v_add3_u32 v2, v66, v2, 0x7fff
; %bb.84:
	s_and_not1_saveexec_b32 s3, s3
; %bb.85:
	v_and_b32_e32 v2, 0xffff, v66
	v_or_b32_e32 v3, 0x10000, v66
	s_delay_alu instid0(VALU_DEP_2) | instskip(NEXT) | instid1(VALU_DEP_2)
	v_cmp_eq_u32_e32 vcc_lo, 0, v2
	v_cndmask_b32_e32 v2, v3, v66, vcc_lo
; %bb.86:
	s_or_b32 exec_lo, exec_lo, s3
	v_and_b32_e32 v3, 0x7f800000, v67
	s_delay_alu instid0(VALU_DEP_1) | instskip(SKIP_1) | instid1(SALU_CYCLE_1)
	v_cmp_ne_u32_e32 vcc_lo, 0x7f800000, v3
                                        ; implicit-def: $vgpr3
	s_and_saveexec_b32 s3, vcc_lo
	s_xor_b32 s3, exec_lo, s3
; %bb.87:
	v_bfe_u32 v3, v67, 16, 1
	s_delay_alu instid0(VALU_DEP_1)
	v_add3_u32 v3, v67, v3, 0x7fff
; %bb.88:
	s_and_not1_saveexec_b32 s3, s3
; %bb.89:
	v_and_b32_e32 v3, 0xffff, v67
	v_or_b32_e32 v4, 0x10000, v67
	s_delay_alu instid0(VALU_DEP_2) | instskip(NEXT) | instid1(VALU_DEP_2)
	v_cmp_eq_u32_e32 vcc_lo, 0, v3
	v_cndmask_b32_e32 v3, v4, v67, vcc_lo
; %bb.90:
	s_or_b32 exec_lo, exec_lo, s3
	v_and_b32_e32 v4, 0x7f800000, v68
	s_delay_alu instid0(VALU_DEP_1) | instskip(SKIP_1) | instid1(SALU_CYCLE_1)
	v_cmp_ne_u32_e32 vcc_lo, 0x7f800000, v4
                                        ; implicit-def: $vgpr4
	s_and_saveexec_b32 s3, vcc_lo
	s_xor_b32 s3, exec_lo, s3
; %bb.91:
	v_bfe_u32 v4, v68, 16, 1
	s_delay_alu instid0(VALU_DEP_1)
	v_add3_u32 v4, v68, v4, 0x7fff
; %bb.92:
	s_and_not1_saveexec_b32 s3, s3
; %bb.93:
	v_and_b32_e32 v4, 0xffff, v68
	v_or_b32_e32 v5, 0x10000, v68
	s_delay_alu instid0(VALU_DEP_2) | instskip(NEXT) | instid1(VALU_DEP_2)
	v_cmp_eq_u32_e32 vcc_lo, 0, v4
	v_cndmask_b32_e32 v4, v5, v68, vcc_lo
; %bb.94:
	s_or_b32 exec_lo, exec_lo, s3
	v_and_b32_e32 v5, 0x7f800000, v69
	s_delay_alu instid0(VALU_DEP_1) | instskip(SKIP_1) | instid1(SALU_CYCLE_1)
	v_cmp_ne_u32_e32 vcc_lo, 0x7f800000, v5
                                        ; implicit-def: $vgpr5
	s_and_saveexec_b32 s3, vcc_lo
	s_xor_b32 s3, exec_lo, s3
; %bb.95:
	v_bfe_u32 v5, v69, 16, 1
	s_delay_alu instid0(VALU_DEP_1)
	v_add3_u32 v5, v69, v5, 0x7fff
; %bb.96:
	s_and_not1_saveexec_b32 s3, s3
; %bb.97:
	v_and_b32_e32 v5, 0xffff, v69
	v_or_b32_e32 v6, 0x10000, v69
	s_delay_alu instid0(VALU_DEP_2) | instskip(NEXT) | instid1(VALU_DEP_2)
	v_cmp_eq_u32_e32 vcc_lo, 0, v5
	v_cndmask_b32_e32 v5, v6, v69, vcc_lo
; %bb.98:
	s_or_b32 exec_lo, exec_lo, s3
	v_and_b32_e32 v6, 0x7f800000, v70
	s_delay_alu instid0(VALU_DEP_1) | instskip(SKIP_1) | instid1(SALU_CYCLE_1)
	v_cmp_ne_u32_e32 vcc_lo, 0x7f800000, v6
                                        ; implicit-def: $vgpr6
	s_and_saveexec_b32 s3, vcc_lo
	s_xor_b32 s3, exec_lo, s3
; %bb.99:
	v_bfe_u32 v6, v70, 16, 1
	s_delay_alu instid0(VALU_DEP_1)
	v_add3_u32 v6, v70, v6, 0x7fff
; %bb.100:
	s_and_not1_saveexec_b32 s3, s3
; %bb.101:
	v_and_b32_e32 v6, 0xffff, v70
	v_or_b32_e32 v7, 0x10000, v70
	s_delay_alu instid0(VALU_DEP_2) | instskip(NEXT) | instid1(VALU_DEP_2)
	v_cmp_eq_u32_e32 vcc_lo, 0, v6
	v_cndmask_b32_e32 v6, v7, v70, vcc_lo
; %bb.102:
	s_or_b32 exec_lo, exec_lo, s3
	v_and_b32_e32 v7, 0x7f800000, v71
	s_delay_alu instid0(VALU_DEP_1) | instskip(SKIP_1) | instid1(SALU_CYCLE_1)
	v_cmp_ne_u32_e32 vcc_lo, 0x7f800000, v7
                                        ; implicit-def: $vgpr7
	s_and_saveexec_b32 s3, vcc_lo
	s_xor_b32 s3, exec_lo, s3
; %bb.103:
	v_bfe_u32 v7, v71, 16, 1
	s_delay_alu instid0(VALU_DEP_1)
	v_add3_u32 v7, v71, v7, 0x7fff
; %bb.104:
	s_and_not1_saveexec_b32 s3, s3
; %bb.105:
	v_and_b32_e32 v7, 0xffff, v71
	v_or_b32_e32 v8, 0x10000, v71
	s_delay_alu instid0(VALU_DEP_2) | instskip(NEXT) | instid1(VALU_DEP_2)
	v_cmp_eq_u32_e32 vcc_lo, 0, v7
	v_cndmask_b32_e32 v7, v8, v71, vcc_lo
; %bb.106:
	s_or_b32 exec_lo, exec_lo, s3
	v_and_b32_e32 v8, 0x7f800000, v72
	s_delay_alu instid0(VALU_DEP_1) | instskip(SKIP_1) | instid1(SALU_CYCLE_1)
	v_cmp_ne_u32_e32 vcc_lo, 0x7f800000, v8
                                        ; implicit-def: $vgpr8
	s_and_saveexec_b32 s3, vcc_lo
	s_xor_b32 s3, exec_lo, s3
; %bb.107:
	v_bfe_u32 v8, v72, 16, 1
	s_delay_alu instid0(VALU_DEP_1)
	v_add3_u32 v8, v72, v8, 0x7fff
                                        ; implicit-def: $vgpr65_vgpr66_vgpr67_vgpr68_vgpr69_vgpr70_vgpr71_vgpr72
; %bb.108:
	s_and_not1_saveexec_b32 s3, s3
; %bb.109:
	v_and_b32_e32 v8, 0xffff, v72
	v_or_b32_e32 v9, 0x10000, v72
	s_delay_alu instid0(VALU_DEP_2) | instskip(NEXT) | instid1(VALU_DEP_2)
	v_cmp_eq_u32_e32 vcc_lo, 0, v8
	v_cndmask_b32_e32 v8, v9, v72, vcc_lo
; %bb.110:
	s_or_b32 exec_lo, exec_lo, s3
	s_delay_alu instid0(VALU_DEP_1)
	v_perm_b32 v7, v8, v7, 0x7060302
	v_perm_b32 v6, v6, v5, 0x7060302
	;; [unrolled: 1-line block ×4, first 2 shown]
	s_barrier
	buffer_gl0_inv
	v_cmp_eq_u32_e32 vcc_lo, 1, v78
	ds_store_b128 v76, v[4:7]
	s_waitcnt lgkmcnt(0)
	s_barrier
	buffer_gl0_inv
	ds_load_b128 v[1:4], v82
	ds_load_b128 v[5:8], v82 offset:16
	v_cmp_eq_u32_e64 s3, 1, v79
	v_cmp_eq_u32_e64 s4, 2, v78
	;; [unrolled: 1-line block ×5, first 2 shown]
	s_waitcnt lgkmcnt(1)
	v_lshrrev_b32_e32 v9, 16, v1
	s_waitcnt lgkmcnt(0)
	v_lshrrev_b32_e32 v13, 16, v5
	v_lshrrev_b32_e32 v10, 16, v2
	;; [unrolled: 1-line block ×4, first 2 shown]
	v_cndmask_b32_e64 v19, v1, v9, s3
	v_cndmask_b32_e32 v18, v5, v13, vcc_lo
	v_cndmask_b32_e64 v20, v5, v13, s3
	v_cndmask_b32_e32 v17, v1, v9, vcc_lo
	v_cmp_eq_u32_e32 vcc_lo, 2, v79
	v_lshrrev_b32_e32 v15, 16, v7
	v_cmp_eq_u32_e64 s3, 1, v77
	v_lshrrev_b32_e32 v12, 16, v4
	v_lshrrev_b32_e32 v16, 16, v8
	v_cndmask_b32_e32 v20, v20, v6, vcc_lo
	v_cndmask_b32_e64 v17, v17, v2, s4
	v_cndmask_b32_e32 v19, v19, v2, vcc_lo
	v_cndmask_b32_e64 v18, v18, v6, s4
	v_cmp_eq_u32_e32 vcc_lo, 4, v78
	v_cmp_eq_u32_e64 s4, 3, v79
	v_cndmask_b32_e64 v17, v17, v10, s5
	v_cndmask_b32_e64 v21, v1, v9, s3
	;; [unrolled: 1-line block ×5, first 2 shown]
	v_cndmask_b32_e32 v17, v17, v3, vcc_lo
	v_cndmask_b32_e64 v20, v20, v14, s4
	v_cndmask_b32_e32 v18, v18, v7, vcc_lo
	v_cmp_eq_u32_e32 vcc_lo, 4, v79
	v_cmp_eq_u32_e64 s4, 5, v79
	v_cmp_eq_u32_e64 s3, 2, v81
	v_cndmask_b32_e64 v21, v21, v2, s7
	v_cmp_eq_u32_e64 s5, 5, v78
	v_cndmask_b32_e32 v19, v19, v3, vcc_lo
	v_cndmask_b32_e32 v20, v20, v7, vcc_lo
	v_cmp_eq_u32_e32 vcc_lo, 6, v79
	s_delay_alu instid0(VALU_DEP_4) | instskip(NEXT) | instid1(VALU_DEP_4)
	v_cndmask_b32_e64 v17, v17, v11, s5
	v_cndmask_b32_e64 v19, v19, v11, s4
	s_delay_alu instid0(VALU_DEP_4) | instskip(SKIP_1) | instid1(VALU_DEP_3)
	v_cndmask_b32_e64 v20, v20, v15, s4
	v_cmp_eq_u32_e64 s4, 1, v81
	v_cndmask_b32_e32 v19, v19, v4, vcc_lo
	v_cndmask_b32_e64 v18, v18, v15, s5
	s_delay_alu instid0(VALU_DEP_3)
	v_cndmask_b32_e64 v1, v1, v9, s4
	v_cndmask_b32_e64 v5, v5, v13, s4
	v_cmp_eq_u32_e64 s4, 3, v77
	v_cndmask_b32_e64 v13, v22, v6, s7
	v_cmp_eq_u32_e64 s7, 3, v81
	v_cndmask_b32_e64 v1, v1, v2, s3
	v_cndmask_b32_e64 v2, v5, v6, s3
	;; [unrolled: 1-line block ×3, first 2 shown]
	v_cmp_eq_u32_e64 s3, 4, v77
	v_cndmask_b32_e64 v6, v13, v14, s4
	v_cndmask_b32_e64 v1, v1, v10, s7
	v_cmp_eq_u32_e64 s4, 4, v81
	v_cndmask_b32_e64 v2, v2, v14, s7
	v_cndmask_b32_e64 v5, v9, v3, s3
	;; [unrolled: 3-line block ×3, first 2 shown]
	v_cndmask_b32_e64 v2, v2, v7, s4
	v_cmp_eq_u32_e64 s3, 5, v81
	v_cmp_eq_u32_e64 s5, 6, v78
	v_cndmask_b32_e64 v5, v5, v11, s7
	v_cmp_eq_u32_e64 s4, 6, v77
	v_cndmask_b32_e64 v3, v6, v15, s7
	v_cndmask_b32_e64 v1, v1, v11, s3
	v_cmp_eq_u32_e64 s7, 6, v81
	v_cndmask_b32_e64 v2, v2, v15, s3
	v_cndmask_b32_e64 v17, v17, v4, s5
	v_cndmask_b32_e64 v18, v18, v8, s5
	v_cmp_eq_u32_e64 s5, 7, v78
	v_cndmask_b32_e64 v5, v5, v4, s4
	;; [unrolled: 4-line block ×3, first 2 shown]
	v_cmp_eq_u32_e64 s4, 7, v77
	v_cndmask_b32_e32 v4, v20, v8, vcc_lo
	v_cndmask_b32_e64 v17, v17, v12, s5
	v_cndmask_b32_e64 v19, v19, v12, s6
	;; [unrolled: 1-line block ×8, first 2 shown]
	s_mov_b32 s3, exec_lo
	v_perm_b32 v4, v2, v1, 0x5040100
	v_perm_b32 v3, v3, v5, 0x5040100
	;; [unrolled: 1-line block ×4, first 2 shown]
	ds_store_b128 v76, v[1:4]
	s_waitcnt lgkmcnt(0)
	s_barrier
	buffer_gl0_inv
	v_cmpx_gt_u32_e32 32, v0
	s_cbranch_execz .LBB1912_2
; %bb.111:
	s_load_b64 s[4:5], s[0:1], 0x68
	v_lshlrev_b32_e32 v0, 10, v0
	v_lshlrev_b32_e32 v1, 4, v75
	s_lshl_b32 s0, s34, 7
	v_add_nc_u32_e32 v7, s31, v74
	s_mul_i32 s1, s0, s30
	s_delay_alu instid0(SALU_CYCLE_1) | instskip(SKIP_1) | instid1(VALU_DEP_2)
	s_mul_i32 s6, s1, s8
	v_and_or_b32 v0, 0x3800, v0, v1
	v_mul_lo_u32 v1, v7, s0
	v_add_nc_u32_e32 v2, 2, v7
	s_ashr_i32 s7, s6, 31
	v_add_nc_u32_e32 v4, 4, v7
	s_lshl_b64 s[6:7], s[6:7], 1
	v_add_nc_u32_e32 v8, 6, v7
	v_mul_lo_u32 v3, v2, s0
	v_lshl_or_b32 v19, v74, 6, v0
	v_ashrrev_i32_e32 v2, 31, v1
	v_mul_lo_u32 v11, v4, s0
	v_mul_lo_u32 v25, v8, s0
	s_waitcnt lgkmcnt(0)
	s_add_u32 s1, s4, s6
	s_addc_u32 s3, s5, s7
	s_lshl_b32 s4, s14, 7
	v_lshlrev_b64 v[5:6], 1, v[1:2]
	s_ashr_i32 s5, s4, 31
	v_ashrrev_i32_e32 v4, 31, v3
	s_lshl_b64 s[4:5], s[4:5], 1
	v_ashrrev_i32_e32 v12, 31, v11
	s_add_u32 s1, s1, s4
	s_addc_u32 s3, s3, s5
	v_add_co_u32 v1, s1, s1, v73
	s_delay_alu instid0(VALU_DEP_1) | instskip(SKIP_1) | instid1(VALU_DEP_3)
	v_add_co_ci_u32_e64 v2, null, s3, 0, s1
	v_lshlrev_b64 v[3:4], 1, v[3:4]
	v_add_co_u32 v23, vcc_lo, v1, v5
	v_add_nc_u32_e32 v5, 8, v7
	s_delay_alu instid0(VALU_DEP_4) | instskip(NEXT) | instid1(VALU_DEP_4)
	v_add_co_ci_u32_e32 v24, vcc_lo, v2, v6, vcc_lo
	v_add_co_u32 v27, vcc_lo, v1, v3
	s_delay_alu instid0(VALU_DEP_3)
	v_mul_lo_u32 v29, v5, s0
	v_add_co_ci_u32_e32 v28, vcc_lo, v2, v4, vcc_lo
	ds_load_b128 v[3:6], v19
	ds_load_b128 v[7:10], v19 offset:128
	v_lshlrev_b64 v[31:32], 1, v[11:12]
	ds_load_b128 v[11:14], v19 offset:256
	ds_load_b128 v[15:18], v19 offset:384
	;; [unrolled: 1-line block ×3, first 2 shown]
	v_ashrrev_i32_e32 v26, 31, v25
	v_ashrrev_i32_e32 v30, 31, v29
	v_add_co_u32 v31, vcc_lo, v1, v31
	s_delay_alu instid0(VALU_DEP_3) | instskip(NEXT) | instid1(VALU_DEP_3)
	v_lshlrev_b64 v[25:26], 1, v[25:26]
	v_lshlrev_b64 v[29:30], 1, v[29:30]
	v_add_co_ci_u32_e32 v32, vcc_lo, v2, v32, vcc_lo
	s_delay_alu instid0(VALU_DEP_3) | instskip(NEXT) | instid1(VALU_DEP_4)
	v_add_co_u32 v25, vcc_lo, v1, v25
	v_add_co_ci_u32_e32 v26, vcc_lo, v2, v26, vcc_lo
	s_delay_alu instid0(VALU_DEP_4)
	v_add_co_u32 v29, vcc_lo, v1, v29
	v_add_co_ci_u32_e32 v30, vcc_lo, v2, v30, vcc_lo
	s_waitcnt lgkmcnt(4)
	global_store_b128 v[23:24], v[3:6], off
	s_waitcnt lgkmcnt(3)
	global_store_b128 v[27:28], v[7:10], off
	;; [unrolled: 2-line block ×5, first 2 shown]
	s_and_b32 exec_lo, exec_lo, s2
	s_cbranch_execz .LBB1912_2
; %bb.112:
	ds_load_b128 v[3:6], v0 offset:640
	s_add_i32 s1, s31, 10
	s_delay_alu instid0(SALU_CYCLE_1) | instskip(NEXT) | instid1(SALU_CYCLE_1)
	s_mul_i32 s0, s1, s0
	s_ashr_i32 s1, s0, 31
	s_delay_alu instid0(SALU_CYCLE_1) | instskip(NEXT) | instid1(SALU_CYCLE_1)
	s_lshl_b64 s[0:1], s[0:1], 1
	v_add_co_u32 v0, vcc_lo, v1, s0
	v_add_co_ci_u32_e32 v1, vcc_lo, s1, v2, vcc_lo
	s_waitcnt lgkmcnt(0)
	global_store_b128 v[0:1], v[3:6], off
	s_nop 0
	s_sendmsg sendmsg(MSG_DEALLOC_VGPRS)
	s_endpgm
	.section	.rodata,"a",@progbits
	.p2align	6, 0x0
	.amdhsa_kernel _Z39paged_attention_ll4mi_QKV_mfma16_kernelI14__hip_bfloat16hLN4vllm18Fp8KVCacheDataTypeE1ES0_Li32ELi128ELi256ELb0ELi11EL8MFMAType0EEvPKT_PKT0_S9_ifPKiSB_SB_iPKfiiiPfSE_PS4_PT2_iSD_SD_
		.amdhsa_group_segment_fixed_size 17472
		.amdhsa_private_segment_fixed_size 0
		.amdhsa_kernarg_size 400
		.amdhsa_user_sgpr_count 13
		.amdhsa_user_sgpr_dispatch_ptr 0
		.amdhsa_user_sgpr_queue_ptr 0
		.amdhsa_user_sgpr_kernarg_segment_ptr 1
		.amdhsa_user_sgpr_dispatch_id 0
		.amdhsa_user_sgpr_private_segment_size 0
		.amdhsa_wavefront_size32 1
		.amdhsa_uses_dynamic_stack 0
		.amdhsa_enable_private_segment 0
		.amdhsa_system_sgpr_workgroup_id_x 1
		.amdhsa_system_sgpr_workgroup_id_y 1
		.amdhsa_system_sgpr_workgroup_id_z 1
		.amdhsa_system_sgpr_workgroup_info 0
		.amdhsa_system_vgpr_workitem_id 0
		.amdhsa_next_free_vgpr 140
		.amdhsa_next_free_sgpr 36
		.amdhsa_reserve_vcc 1
		.amdhsa_float_round_mode_32 0
		.amdhsa_float_round_mode_16_64 0
		.amdhsa_float_denorm_mode_32 3
		.amdhsa_float_denorm_mode_16_64 3
		.amdhsa_dx10_clamp 1
		.amdhsa_ieee_mode 1
		.amdhsa_fp16_overflow 0
		.amdhsa_workgroup_processor_mode 1
		.amdhsa_memory_ordered 1
		.amdhsa_forward_progress 0
		.amdhsa_shared_vgpr_count 0
		.amdhsa_exception_fp_ieee_invalid_op 0
		.amdhsa_exception_fp_denorm_src 0
		.amdhsa_exception_fp_ieee_div_zero 0
		.amdhsa_exception_fp_ieee_overflow 0
		.amdhsa_exception_fp_ieee_underflow 0
		.amdhsa_exception_fp_ieee_inexact 0
		.amdhsa_exception_int_div_zero 0
	.end_amdhsa_kernel
	.section	.text._Z39paged_attention_ll4mi_QKV_mfma16_kernelI14__hip_bfloat16hLN4vllm18Fp8KVCacheDataTypeE1ES0_Li32ELi128ELi256ELb0ELi11EL8MFMAType0EEvPKT_PKT0_S9_ifPKiSB_SB_iPKfiiiPfSE_PS4_PT2_iSD_SD_,"axG",@progbits,_Z39paged_attention_ll4mi_QKV_mfma16_kernelI14__hip_bfloat16hLN4vllm18Fp8KVCacheDataTypeE1ES0_Li32ELi128ELi256ELb0ELi11EL8MFMAType0EEvPKT_PKT0_S9_ifPKiSB_SB_iPKfiiiPfSE_PS4_PT2_iSD_SD_,comdat
.Lfunc_end1912:
	.size	_Z39paged_attention_ll4mi_QKV_mfma16_kernelI14__hip_bfloat16hLN4vllm18Fp8KVCacheDataTypeE1ES0_Li32ELi128ELi256ELb0ELi11EL8MFMAType0EEvPKT_PKT0_S9_ifPKiSB_SB_iPKfiiiPfSE_PS4_PT2_iSD_SD_, .Lfunc_end1912-_Z39paged_attention_ll4mi_QKV_mfma16_kernelI14__hip_bfloat16hLN4vllm18Fp8KVCacheDataTypeE1ES0_Li32ELi128ELi256ELb0ELi11EL8MFMAType0EEvPKT_PKT0_S9_ifPKiSB_SB_iPKfiiiPfSE_PS4_PT2_iSD_SD_
                                        ; -- End function
	.section	.AMDGPU.csdata,"",@progbits
; Kernel info:
; codeLenInByte = 9048
; NumSgprs: 38
; NumVgprs: 140
; ScratchSize: 0
; MemoryBound: 0
; FloatMode: 240
; IeeeMode: 1
; LDSByteSize: 17472 bytes/workgroup (compile time only)
; SGPRBlocks: 4
; VGPRBlocks: 17
; NumSGPRsForWavesPerEU: 38
; NumVGPRsForWavesPerEU: 140
; Occupancy: 10
; WaveLimiterHint : 1
; COMPUTE_PGM_RSRC2:SCRATCH_EN: 0
; COMPUTE_PGM_RSRC2:USER_SGPR: 13
; COMPUTE_PGM_RSRC2:TRAP_HANDLER: 0
; COMPUTE_PGM_RSRC2:TGID_X_EN: 1
; COMPUTE_PGM_RSRC2:TGID_Y_EN: 1
; COMPUTE_PGM_RSRC2:TGID_Z_EN: 1
; COMPUTE_PGM_RSRC2:TIDIG_COMP_CNT: 0
	.section	.text._Z39paged_attention_ll4mi_QKV_mfma16_kernelI14__hip_bfloat16hLN4vllm18Fp8KVCacheDataTypeE1ES0_Li32ELi128ELi256ELb0ELi12EL8MFMAType0EEvPKT_PKT0_S9_ifPKiSB_SB_iPKfiiiPfSE_PS4_PT2_iSD_SD_,"axG",@progbits,_Z39paged_attention_ll4mi_QKV_mfma16_kernelI14__hip_bfloat16hLN4vllm18Fp8KVCacheDataTypeE1ES0_Li32ELi128ELi256ELb0ELi12EL8MFMAType0EEvPKT_PKT0_S9_ifPKiSB_SB_iPKfiiiPfSE_PS4_PT2_iSD_SD_,comdat
	.protected	_Z39paged_attention_ll4mi_QKV_mfma16_kernelI14__hip_bfloat16hLN4vllm18Fp8KVCacheDataTypeE1ES0_Li32ELi128ELi256ELb0ELi12EL8MFMAType0EEvPKT_PKT0_S9_ifPKiSB_SB_iPKfiiiPfSE_PS4_PT2_iSD_SD_ ; -- Begin function _Z39paged_attention_ll4mi_QKV_mfma16_kernelI14__hip_bfloat16hLN4vllm18Fp8KVCacheDataTypeE1ES0_Li32ELi128ELi256ELb0ELi12EL8MFMAType0EEvPKT_PKT0_S9_ifPKiSB_SB_iPKfiiiPfSE_PS4_PT2_iSD_SD_
	.globl	_Z39paged_attention_ll4mi_QKV_mfma16_kernelI14__hip_bfloat16hLN4vllm18Fp8KVCacheDataTypeE1ES0_Li32ELi128ELi256ELb0ELi12EL8MFMAType0EEvPKT_PKT0_S9_ifPKiSB_SB_iPKfiiiPfSE_PS4_PT2_iSD_SD_
	.p2align	8
	.type	_Z39paged_attention_ll4mi_QKV_mfma16_kernelI14__hip_bfloat16hLN4vllm18Fp8KVCacheDataTypeE1ES0_Li32ELi128ELi256ELb0ELi12EL8MFMAType0EEvPKT_PKT0_S9_ifPKiSB_SB_iPKfiiiPfSE_PS4_PT2_iSD_SD_,@function
_Z39paged_attention_ll4mi_QKV_mfma16_kernelI14__hip_bfloat16hLN4vllm18Fp8KVCacheDataTypeE1ES0_Li32ELi128ELi256ELb0ELi12EL8MFMAType0EEvPKT_PKT0_S9_ifPKiSB_SB_iPKfiiiPfSE_PS4_PT2_iSD_SD_: ; @_Z39paged_attention_ll4mi_QKV_mfma16_kernelI14__hip_bfloat16hLN4vllm18Fp8KVCacheDataTypeE1ES0_Li32ELi128ELi256ELb0ELi12EL8MFMAType0EEvPKT_PKT0_S9_ifPKiSB_SB_iPKfiiiPfSE_PS4_PT2_iSD_SD_
; %bb.0:
	s_load_b64 s[4:5], s[0:1], 0x30
	s_mov_b32 s30, s13
	s_waitcnt lgkmcnt(0)
	s_cmp_lg_u64 s[4:5], 0
	s_cselect_b32 s13, -1, 0
	s_ashr_i32 s31, s30, 31
	s_cmp_eq_u64 s[4:5], 0
	s_cbranch_scc1 .LBB1913_3
; %bb.1:
	s_lshl_b64 s[2:3], s[30:31], 2
	s_delay_alu instid0(SALU_CYCLE_1) | instskip(SKIP_4) | instid1(SALU_CYCLE_1)
	s_add_u32 s2, s4, s2
	s_addc_u32 s3, s5, s3
	s_load_b64 s[2:3], s[2:3], 0x0
	s_waitcnt lgkmcnt(0)
	s_sub_i32 s2, s3, s2
	s_cmp_eq_u32 s2, 1
	s_cselect_b32 s2, -1, 0
	s_delay_alu instid0(SALU_CYCLE_1)
	s_and_not1_b32 vcc_lo, exec_lo, s2
	s_cbranch_vccz .LBB1913_4
.LBB1913_2:
	s_endpgm
.LBB1913_3:
.LBB1913_4:
	s_load_b64 s[2:3], s[0:1], 0x28
	s_lshl_b64 s[6:7], s[30:31], 2
	s_waitcnt lgkmcnt(0)
	s_add_u32 s2, s2, s6
	s_addc_u32 s3, s3, s7
	s_lshl_b32 s12, s14, 8
	s_load_b32 s17, s[2:3], 0x0
	s_waitcnt lgkmcnt(0)
	s_cmp_ge_i32 s12, s17
	s_cbranch_scc1 .LBB1913_2
; %bb.5:
	s_clause 0x1
	s_load_b128 s[8:11], s[0:1], 0x8
	s_load_b64 s[2:3], s[0:1], 0x20
	s_and_not1_b32 vcc_lo, exec_lo, s13
	s_cbranch_vccnz .LBB1913_7
; %bb.6:
	s_add_u32 s4, s4, s6
	s_addc_u32 s5, s5, s7
	s_load_b32 s13, s[4:5], 0x0
	s_branch .LBB1913_8
.LBB1913_7:
	s_mov_b32 s13, s30
.LBB1913_8:
	s_load_b128 s[4:7], s[0:1], 0x48
	v_and_b32_e32 v65, 15, v0
	v_lshrrev_b32_e32 v66, 5, v0
	v_and_b32_e32 v67, 31, v0
	v_and_b32_e32 v75, 1, v0
	v_bfe_u32 v74, v0, 4, 1
	v_lshlrev_b32_e32 v1, 3, v65
	s_mul_i32 s29, s15, 12
	s_waitcnt lgkmcnt(0)
	s_mov_b32 s7, exec_lo
	s_delay_alu instid0(VALU_DEP_1)
	v_lshlrev_b32_e32 v73, 1, v1
	v_cmpx_gt_u32_e32 0xc0, v0
	s_cbranch_execz .LBB1913_10
; %bb.9:
	s_load_b64 s[18:19], s[0:1], 0x0
	v_lshl_or_b32 v5, v66, 1, v74
	s_mul_hi_i32 s21, s13, s4
	s_mul_i32 s20, s13, s4
	v_lshlrev_b32_e32 v6, 10, v65
	s_lshl_b64 s[20:21], s[20:21], 1
	v_add_lshl_u32 v1, v5, s29, 7
	v_lshlrev_b32_e32 v5, 6, v5
	v_lshlrev_b32_e32 v7, 10, v75
	v_and_b32_e32 v6, 0x3800, v6
	s_delay_alu instid0(VALU_DEP_4) | instskip(NEXT) | instid1(VALU_DEP_2)
	v_ashrrev_i32_e32 v2, 31, v1
	v_or3_b32 v5, v6, v7, v5
	s_delay_alu instid0(VALU_DEP_2) | instskip(SKIP_3) | instid1(VALU_DEP_1)
	v_lshlrev_b64 v[1:2], 1, v[1:2]
	s_waitcnt lgkmcnt(0)
	s_add_u32 s4, s18, s20
	s_addc_u32 s13, s19, s21
	v_add_co_u32 v1, vcc_lo, s4, v1
	s_delay_alu instid0(VALU_DEP_2) | instskip(NEXT) | instid1(VALU_DEP_2)
	v_add_co_ci_u32_e32 v2, vcc_lo, s13, v2, vcc_lo
	v_add_co_u32 v1, vcc_lo, v1, v73
	s_delay_alu instid0(VALU_DEP_2)
	v_add_co_ci_u32_e32 v2, vcc_lo, 0, v2, vcc_lo
	global_load_b128 v[1:4], v[1:2], off
	s_waitcnt vmcnt(0)
	ds_store_b128 v5, v[1:4]
.LBB1913_10:
	s_or_b32 exec_lo, exec_lo, s7
	v_and_b32_e32 v1, 0xef, v0
	s_add_i32 s4, s17, 31
	s_clause 0x1
	s_load_b32 s7, s[0:1], 0x38
	s_load_b32 s18, s[0:1], 0x1c
	s_ashr_i32 s13, s4, 31
	v_add_nc_u32_e32 v1, s12, v1
	s_lshr_b32 s13, s13, 27
	s_waitcnt lgkmcnt(0)
	s_add_i32 s4, s4, s13
	s_barrier
	v_ashrrev_i32_e32 v2, 31, v1
	v_or_b32_e32 v3, 16, v1
	s_ashr_i32 s4, s4, 5
	v_cmp_gt_i32_e32 vcc_lo, s17, v1
	s_add_i32 s4, s4, -1
	v_lshrrev_b32_e32 v2, 27, v2
	buffer_gl0_inv
	s_mul_i32 s15, s15, s6
	v_add_nc_u32_e32 v4, v1, v2
	s_mul_i32 s20, s30, s7
	s_delay_alu instid0(SALU_CYCLE_1) | instskip(NEXT) | instid1(VALU_DEP_1)
	s_ashr_i32 s21, s20, 31
	v_ashrrev_i32_e32 v4, 5, v4
	v_add_nc_u32_e32 v2, v3, v2
	s_lshl_b64 s[20:21], s[20:21], 2
	s_delay_alu instid0(SALU_CYCLE_1) | instskip(NEXT) | instid1(VALU_DEP_2)
	s_add_u32 s13, s2, s20
	v_cndmask_b32_e32 v1, s4, v4, vcc_lo
	s_delay_alu instid0(VALU_DEP_2)
	v_ashrrev_i32_e32 v2, 5, v2
	v_cmp_gt_i32_e32 vcc_lo, s17, v3
	s_addc_u32 s16, s3, s21
	s_ashr_i32 s19, s15, 31
	s_add_u32 s2, s8, s15
	s_addc_u32 s3, s9, s19
	v_cndmask_b32_e32 v3, s4, v2, vcc_lo
	v_ashrrev_i32_e32 v2, 31, v1
	s_lshl_b32 s6, s14, 3
	s_delay_alu instid0(SALU_CYCLE_1) | instskip(NEXT) | instid1(VALU_DEP_2)
	s_ashr_i32 s7, s6, 31
	v_ashrrev_i32_e32 v4, 31, v3
	s_delay_alu instid0(VALU_DEP_2) | instskip(SKIP_1) | instid1(SALU_CYCLE_1)
	v_lshlrev_b64 v[1:2], 2, v[1:2]
	s_lshl_b64 s[6:7], s[6:7], 2
	s_add_u32 s6, s13, s6
	s_delay_alu instid0(VALU_DEP_2) | instskip(SKIP_1) | instid1(VALU_DEP_2)
	v_lshlrev_b64 v[3:4], 2, v[3:4]
	s_addc_u32 s7, s16, s7
	v_add_co_u32 v1, vcc_lo, s13, v1
	v_add_co_ci_u32_e32 v2, vcc_lo, s16, v2, vcc_lo
	s_delay_alu instid0(VALU_DEP_3) | instskip(NEXT) | instid1(VALU_DEP_4)
	v_add_co_u32 v3, vcc_lo, s13, v3
	v_add_co_ci_u32_e32 v4, vcc_lo, s16, v4, vcc_lo
	s_clause 0x1
	global_load_b32 v5, v[1:2], off
	global_load_b32 v6, v[3:4], off
	s_or_b32 s8, s12, 32
	s_delay_alu instid0(SALU_CYCLE_1) | instskip(SKIP_2) | instid1(SALU_CYCLE_1)
	s_ashr_i32 s9, s8, 5
	s_cmp_lt_i32 s8, s17
	s_cselect_b32 s8, s9, s4
	s_ashr_i32 s9, s8, 31
	s_delay_alu instid0(SALU_CYCLE_1) | instskip(NEXT) | instid1(SALU_CYCLE_1)
	s_lshl_b64 s[8:9], s[8:9], 2
	s_add_u32 s8, s13, s8
	s_addc_u32 s9, s16, s9
	s_or_b32 s20, s12, 64
	s_delay_alu instid0(SALU_CYCLE_1) | instskip(SKIP_2) | instid1(SALU_CYCLE_1)
	s_ashr_i32 s21, s20, 5
	s_cmp_lt_i32 s20, s17
	s_cselect_b32 s20, s21, s4
	s_ashr_i32 s21, s20, 31
	s_delay_alu instid0(SALU_CYCLE_1) | instskip(NEXT) | instid1(SALU_CYCLE_1)
	s_lshl_b64 s[20:21], s[20:21], 2
	s_add_u32 s20, s13, s20
	s_addc_u32 s21, s16, s21
	;; [unrolled: 10-line block ×5, first 2 shown]
	s_clause 0x5
	s_load_b32 s28, s[6:7], 0x0
	s_load_b32 s8, s[8:9], 0x0
	;; [unrolled: 1-line block ×6, first 2 shown]
	s_mov_b32 s20, 0
	s_delay_alu instid0(SALU_CYCLE_1)
	s_mov_b32 s21, s20
	s_mov_b32 s22, s20
	;; [unrolled: 1-line block ×7, first 2 shown]
	s_delay_alu instid0(SALU_CYCLE_1)
	v_dual_mov_b32 v107, s27 :: v_dual_mov_b32 v106, s26
	v_dual_mov_b32 v104, s24 :: v_dual_mov_b32 v103, s23
	;; [unrolled: 1-line block ×3, first 2 shown]
	v_mov_b32_e32 v100, s20
	s_waitcnt vmcnt(1)
	v_mad_i64_i32 v[1:2], null, v5, s5, s[2:3]
	v_lshlrev_b32_e32 v5, 4, v65
	s_waitcnt vmcnt(0)
	v_mad_i64_i32 v[3:4], null, v6, s5, s[2:3]
	s_or_b32 s2, s12, 0xc0
	s_delay_alu instid0(SALU_CYCLE_1) | instskip(NEXT) | instid1(VALU_DEP_3)
	s_ashr_i32 s3, s2, 5
	v_add_co_u32 v33, vcc_lo, v1, v5
	s_delay_alu instid0(VALU_DEP_4) | instskip(NEXT) | instid1(VALU_DEP_3)
	v_add_co_ci_u32_e32 v34, vcc_lo, 0, v2, vcc_lo
	v_add_co_u32 v35, vcc_lo, v3, v5
	s_delay_alu instid0(VALU_DEP_4)
	v_add_co_ci_u32_e32 v36, vcc_lo, 0, v4, vcc_lo
	s_clause 0xf
	global_load_b128 v[1:4], v[33:34], off
	global_load_b128 v[5:8], v[33:34], off offset:512
	global_load_b128 v[9:12], v[35:36], off offset:256
	;; [unrolled: 1-line block ×15, first 2 shown]
	s_cmp_lt_i32 s2, s17
	v_add_nc_u32_e32 v33, -12, v65
	s_cselect_b32 s2, s3, s4
	v_cmp_gt_u32_e32 vcc_lo, 12, v65
	s_ashr_i32 s3, s2, 31
	v_lshlrev_b32_e32 v34, 5, v65
	s_lshl_b64 s[2:3], s[2:3], 2
	s_delay_alu instid0(SALU_CYCLE_1)
	s_add_u32 s2, s13, s2
	s_addc_u32 s3, s16, s3
	s_or_b32 s6, s12, 0xe0
	v_cndmask_b32_e32 v33, v33, v65, vcc_lo
	s_ashr_i32 s7, s6, 5
	s_cmp_lt_i32 s6, s17
	v_mov_b32_e32 v105, s25
	s_cselect_b32 s6, s7, s4
	v_lshlrev_b32_e32 v72, 6, v33
	s_ashr_i32 s7, s6, 31
	v_lshl_or_b32 v41, v66, 9, v34
	s_lshl_b64 s[6:7], s[6:7], 2
	ds_load_b128 v[33:36], v72
	ds_load_b128 v[37:40], v72 offset:1024
	ds_load_b128 v[108:111], v72 offset:2048
	;; [unrolled: 1-line block ×3, first 2 shown]
	s_load_b32 s4, s[2:3], 0x0
	s_add_u32 s2, s13, s6
	s_addc_u32 s3, s16, s7
	ds_load_b128 v[116:119], v72 offset:4096
	ds_load_b128 v[120:123], v72 offset:5120
	s_load_b32 s2, s[2:3], 0x0
	s_add_u32 s6, s10, s15
	s_addc_u32 s7, s11, s19
	v_add_co_u32 v68, s6, s6, v41
	s_delay_alu instid0(VALU_DEP_1) | instskip(SKIP_1) | instid1(VALU_DEP_1)
	v_add_co_ci_u32_e64 v69, null, s7, 0, s6
	s_waitcnt lgkmcnt(0)
	v_mad_i64_i32 v[41:42], null, s28, s5, v[68:69]
	v_mad_i64_i32 v[70:71], null, s9, s5, v[68:69]
	;; [unrolled: 1-line block ×7, first 2 shown]
	s_clause 0x3
	global_load_b128 v[49:52], v[41:42], off
	global_load_b128 v[53:56], v[41:42], off offset:16
	global_load_b128 v[41:44], v[45:46], off
	global_load_b128 v[45:48], v[45:46], off offset:16
	s_waitcnt vmcnt(18)
	v_wmma_f32_16x16x16_bf16 v[124:131], v[1:8], v[33:40], v[100:107]
	s_waitcnt vmcnt(16)
	v_wmma_f32_16x16x16_bf16 v[100:107], v[9:16], v[33:40], v[100:107]
	s_clause 0x1
	global_load_b128 v[33:36], v[70:71], off
	global_load_b128 v[37:40], v[70:71], off offset:16
	v_mad_i64_i32 v[70:71], null, s2, s5, v[68:69]
	s_waitcnt vmcnt(16)
	v_wmma_f32_16x16x16_bf16 v[124:131], v[17:24], v[108:115], v[124:131]
	s_waitcnt vmcnt(14)
	v_wmma_f32_16x16x16_bf16 v[100:107], v[25:32], v[108:115], v[100:107]
	s_clause 0x7
	global_load_b128 v[25:28], v[132:133], off
	global_load_b128 v[29:32], v[132:133], off offset:16
	global_load_b128 v[1:4], v[134:135], off
	global_load_b128 v[5:8], v[134:135], off offset:16
	;; [unrolled: 2-line block ×4, first 2 shown]
	s_waitcnt vmcnt(20)
	v_wmma_f32_16x16x16_bf16 v[124:131], v[57:64], v[116:123], v[124:131]
	s_clause 0x1
	global_load_b128 v[57:60], v[70:71], off
	global_load_b128 v[61:64], v[70:71], off offset:16
	s_waitcnt vmcnt(20)
	v_wmma_f32_16x16x16_bf16 v[100:107], v[76:83], v[116:123], v[100:107]
	ds_load_b128 v[76:79], v72 offset:6144
	ds_load_b128 v[80:83], v72 offset:7168
	v_and_b32_e32 v68, 0xe0, v0
	v_mbcnt_lo_u32_b32 v69, -1, 0
	s_waitcnt vmcnt(0) lgkmcnt(0)
	s_barrier
	buffer_gl0_inv
	v_add_nc_u32_e32 v68, s12, v68
	v_xor_b32_e32 v70, 16, v69
	s_delay_alu instid0(VALU_DEP_2) | instskip(NEXT) | instid1(VALU_DEP_2)
	v_or_b32_e32 v68, v68, v74
	v_cmp_gt_i32_e32 vcc_lo, 32, v70
	s_delay_alu instid0(VALU_DEP_2)
	v_or_b32_e32 v71, 4, v68
	v_or_b32_e32 v72, 6, v68
	v_cmp_gt_i32_e64 s2, s17, v68
	v_or_b32_e32 v108, 8, v68
	v_wmma_f32_16x16x16_bf16 v[124:131], v[84:91], v[76:83], v[124:131]
	v_cndmask_b32_e32 v69, v69, v70, vcc_lo
	v_or_b32_e32 v70, 2, v68
	v_wmma_f32_16x16x16_bf16 v[100:107], v[92:99], v[76:83], v[100:107]
	v_or_b32_e32 v109, 10, v68
	v_dual_mul_f32 v80, s18, v129 :: v_dual_mul_f32 v81, s18, v128
	v_dual_mul_f32 v92, s18, v125 :: v_dual_mul_f32 v93, s18, v124
	s_delay_alu instid0(VALU_DEP_4)
	v_mul_f32_e32 v96, s18, v105
	v_cmp_gt_i32_e32 vcc_lo, s17, v70
	v_or_b32_e32 v89, 22, v68
	v_dual_mul_f32 v79, s18, v130 :: v_dual_mul_f32 v82, s18, v127
	v_dual_mul_f32 v83, s18, v126 :: v_dual_mul_f32 v94, s18, v107
	v_cndmask_b32_e64 v93, 0xff7fffff, v93, s2
	v_cndmask_b32_e32 v92, 0xff7fffff, v92, vcc_lo
	v_cmp_gt_i32_e64 s3, s17, v71
	v_cmp_gt_i32_e64 s4, s17, v72
	v_or_b32_e32 v84, 12, v68
	v_or_b32_e32 v85, 14, v68
	v_cmp_gt_i32_e64 s5, s17, v108
	v_cndmask_b32_e64 v71, 0xff7fffff, v83, s3
	v_cndmask_b32_e64 v72, 0xff7fffff, v82, s4
	v_cmp_gt_i32_e64 s6, s17, v109
	v_cmp_gt_i32_e64 s12, s17, v89
	v_lshlrev_b32_e32 v89, 2, v69
	v_max3_f32 v82, v93, 0xff7fffff, v92
	v_or_b32_e32 v86, 16, v68
	v_or_b32_e32 v87, 18, v68
	v_mul_f32_e32 v78, s18, v131
	v_cndmask_b32_e64 v81, 0xff7fffff, v81, s5
	v_cndmask_b32_e64 v80, 0xff7fffff, v80, s6
	v_max3_f32 v71, v82, v71, v72
	v_cmp_gt_i32_e64 s7, s17, v84
	v_cmp_gt_i32_e64 s8, s17, v85
	v_or_b32_e32 v88, 20, v68
	v_or_b32_e32 v90, 24, v68
	;; [unrolled: 1-line block ×5, first 2 shown]
	v_dual_mul_f32 v97, s18, v104 :: v_dual_mul_f32 v70, s18, v101
	v_dual_mul_f32 v99, s18, v102 :: v_dual_mul_f32 v68, s18, v100
	v_cndmask_b32_e64 v72, 0xff7fffff, v79, s7
	v_cndmask_b32_e64 v78, 0xff7fffff, v78, s8
	v_max3_f32 v71, v71, v81, v80
	v_cmp_gt_i32_e64 s9, s17, v86
	v_cmp_gt_i32_e64 s10, s17, v87
	v_dual_mul_f32 v95, s18, v106 :: v_dual_mul_f32 v98, s18, v103
	s_delay_alu instid0(VALU_DEP_4) | instskip(NEXT) | instid1(VALU_DEP_4)
	v_max3_f32 v71, v71, v72, v78
	v_cndmask_b32_e64 v68, 0xff7fffff, v68, s9
	s_delay_alu instid0(VALU_DEP_4)
	v_cndmask_b32_e64 v70, 0xff7fffff, v70, s10
	v_cmp_gt_i32_e64 s11, s17, v88
	v_cndmask_b32_e64 v78, 0xff7fffff, v98, s12
	v_cmp_gt_i32_e64 s13, s17, v90
	v_cmp_gt_i32_e64 s15, s17, v91
	v_max3_f32 v68, v71, v68, v70
	v_cndmask_b32_e64 v72, 0xff7fffff, v99, s11
	v_cmp_gt_i32_e64 s16, s17, v76
	v_cndmask_b32_e64 v70, 0xff7fffff, v97, s13
	v_cndmask_b32_e64 v71, 0xff7fffff, v96, s15
	v_cmp_gt_i32_e64 s17, s17, v77
	v_max3_f32 v68, v68, v72, v78
	v_cndmask_b32_e64 v72, 0xff7fffff, v95, s16
	s_delay_alu instid0(VALU_DEP_3) | instskip(NEXT) | instid1(VALU_DEP_3)
	v_cndmask_b32_e64 v76, 0xff7fffff, v94, s17
	v_max3_f32 v68, v68, v70, v71
	s_delay_alu instid0(VALU_DEP_1) | instskip(SKIP_3) | instid1(VALU_DEP_1)
	v_max3_f32 v68, v68, v72, v76
	ds_bpermute_b32 v69, v89, v68
	s_waitcnt lgkmcnt(0)
	v_max_f32_e32 v69, v69, v69
	v_max_f32_e32 v68, v68, v69
	s_delay_alu instid0(VALU_DEP_1) | instskip(NEXT) | instid1(VALU_DEP_1)
	v_fma_f32 v71, s18, v126, -v68
	v_mul_f32_e32 v71, 0x3fb8aa3b, v71
	v_fma_f32 v70, s18, v125, -v68
	v_fma_f32 v69, s18, v124, -v68
	;; [unrolled: 1-line block ×5, first 2 shown]
	s_delay_alu instid0(VALU_DEP_4) | instskip(SKIP_1) | instid1(VALU_DEP_3)
	v_dual_mul_f32 v70, 0x3fb8aa3b, v70 :: v_dual_mul_f32 v69, 0x3fb8aa3b, v69
	v_exp_f32_e32 v71, v71
	v_mul_f32_e32 v72, 0x3fb8aa3b, v72
	v_fma_f32 v81, s18, v105, -v68
	s_delay_alu instid0(VALU_DEP_3)
	v_exp_f32_e32 v70, v70
	v_mul_f32_e32 v77, 0x3fb8aa3b, v76
	v_exp_f32_e32 v69, v69
	v_exp_f32_e32 v72, v72
	v_mul_f32_e32 v81, 0x3fb8aa3b, v81
	v_cndmask_b32_e64 v83, 0, v71, s3
	v_fma_f32 v71, s18, v131, -v68
	s_delay_alu instid0(VALU_DEP_3) | instskip(SKIP_4) | instid1(TRANS32_DEP_3)
	v_exp_f32_e32 v81, v81
	v_cndmask_b32_e32 v76, 0, v70, vcc_lo
	v_exp_f32_e32 v77, v77
	v_cndmask_b32_e64 v80, 0, v69, s2
	v_fma_f32 v69, s18, v129, -v68
	v_cndmask_b32_e64 v85, 0, v72, s4
	v_mul_f32_e32 v71, 0x3fb8aa3b, v71
	v_fma_f32 v72, s18, v100, -v68
	s_delay_alu instid0(VALU_DEP_4) | instskip(SKIP_1) | instid1(VALU_DEP_3)
	v_dual_add_f32 v70, 0, v80 :: v_dual_mul_f32 v69, 0x3fb8aa3b, v69
	s_mov_b32 s2, exec_lo
	v_exp_f32_e32 v71, v71
	s_delay_alu instid0(TRANS32_DEP_2) | instskip(SKIP_4) | instid1(VALU_DEP_3)
	v_cndmask_b32_e64 v86, 0, v77, s5
	v_fma_f32 v77, s18, v101, -v68
	v_mul_f32_e32 v78, 0x3fb8aa3b, v78
	v_add_f32_e32 v70, v70, v76
	v_exp_f32_e32 v69, v69
	v_mul_f32_e32 v77, 0x3fb8aa3b, v77
	s_delay_alu instid0(VALU_DEP_3) | instskip(NEXT) | instid1(TRANS32_DEP_3)
	v_exp_f32_e32 v78, v78
	v_cndmask_b32_e64 v88, 0, v71, s8
	v_fma_f32 v71, s18, v104, -v68
	s_delay_alu instid0(VALU_DEP_3) | instskip(NEXT) | instid1(TRANS32_DEP_3)
	v_exp_f32_e32 v77, v77
	v_cndmask_b32_e64 v87, 0, v69, s6
	s_delay_alu instid0(VALU_DEP_2)
	v_mul_f32_e32 v71, 0x3fb8aa3b, v71
	s_waitcnt_depctr 0xfff
	v_cndmask_b32_e64 v84, 0, v78, s7
	v_add_f32_e32 v70, v70, v83
	v_fma_f32 v78, s18, v103, -v68
	v_exp_f32_e32 v82, v71
	s_delay_alu instid0(VALU_DEP_2) | instskip(SKIP_1) | instid1(VALU_DEP_3)
	v_add_f32_e32 v70, v70, v85
	v_mul_f32_e32 v72, 0x3fb8aa3b, v72
	v_mul_f32_e32 v78, 0x3fb8aa3b, v78
	s_delay_alu instid0(VALU_DEP_3) | instskip(SKIP_1) | instid1(VALU_DEP_4)
	v_add_f32_e32 v69, v70, v86
	v_fma_f32 v70, s18, v102, -v68
	v_exp_f32_e32 v72, v72
	s_delay_alu instid0(VALU_DEP_3) | instskip(NEXT) | instid1(VALU_DEP_1)
	v_exp_f32_e32 v78, v78
	v_dual_add_f32 v69, v69, v87 :: v_dual_mul_f32 v70, 0x3fb8aa3b, v70
	s_delay_alu instid0(VALU_DEP_1) | instskip(NEXT) | instid1(VALU_DEP_2)
	v_add_f32_e32 v69, v69, v84
	v_exp_f32_e32 v79, v70
	s_delay_alu instid0(TRANS32_DEP_3) | instskip(NEXT) | instid1(VALU_DEP_2)
	v_cndmask_b32_e64 v70, 0, v72, s9
	v_add_f32_e32 v72, v69, v88
	v_cndmask_b32_e64 v69, 0, v77, s10
	v_fma_f32 v77, s18, v106, -v68
	s_waitcnt_depctr 0xfff
	v_cndmask_b32_e64 v71, 0, v79, s11
	v_dual_mul_f32 v77, 0x3fb8aa3b, v77 :: v_dual_add_f32 v72, v72, v70
	s_delay_alu instid0(VALU_DEP_1) | instskip(NEXT) | instid1(VALU_DEP_1)
	v_exp_f32_e32 v90, v77
	v_add_f32_e32 v79, v72, v69
	v_cndmask_b32_e64 v72, 0, v78, s12
	v_cndmask_b32_e64 v77, 0, v82, s13
	s_delay_alu instid0(VALU_DEP_3) | instskip(SKIP_1) | instid1(VALU_DEP_1)
	v_add_f32_e32 v78, v79, v71
	v_fma_f32 v79, s18, v107, -v68
	v_dual_add_f32 v82, v78, v72 :: v_dual_mul_f32 v79, 0x3fb8aa3b, v79
	v_cndmask_b32_e64 v78, 0, v81, s15
	s_delay_alu instid0(VALU_DEP_2) | instskip(NEXT) | instid1(VALU_DEP_3)
	v_add_f32_e32 v81, v82, v77
	v_exp_f32_e32 v82, v79
	v_cndmask_b32_e64 v79, 0, v90, s16
	s_delay_alu instid0(VALU_DEP_2) | instskip(NEXT) | instid1(VALU_DEP_1)
	v_add_f32_e32 v81, v81, v78
	v_add_f32_e32 v90, v81, v79
	s_waitcnt_depctr 0xfff
	v_cndmask_b32_e64 v81, 0, v82, s17
	s_delay_alu instid0(VALU_DEP_1)
	v_add_f32_e32 v82, v90, v81
	ds_bpermute_b32 v89, v89, v82
	v_cmpx_gt_u32_e32 16, v67
	s_cbranch_execz .LBB1913_12
; %bb.11:
	v_mul_u32_u24_e32 v67, 0x44, v66
	s_delay_alu instid0(VALU_DEP_1) | instskip(SKIP_1) | instid1(VALU_DEP_1)
	v_lshl_add_u32 v67, v65, 2, v67
	s_waitcnt lgkmcnt(0)
	v_dual_add_f32 v82, v82, v89 :: v_dual_add_nc_u32 v67, 0x4000, v67
	ds_store_2addr_b32 v67, v68, v82 offset1:136
.LBB1913_12:
	s_or_b32 exec_lo, exec_lo, s2
	v_lshlrev_b32_e32 v67, 2, v65
	s_waitcnt lgkmcnt(0)
	s_barrier
	buffer_gl0_inv
	v_cmp_eq_u32_e32 vcc_lo, 1, v66
	v_add_nc_u32_e32 v82, 0x4000, v67
	v_cmp_eq_u32_e64 s2, 2, v66
	v_cmp_eq_u32_e64 s4, 7, v66
	ds_load_2addr_b32 v[89:90], v82 offset1:17
	ds_load_2addr_b32 v[91:92], v82 offset0:34 offset1:51
	ds_load_2addr_b32 v[93:94], v82 offset0:68 offset1:85
	;; [unrolled: 1-line block ×4, first 2 shown]
	s_waitcnt lgkmcnt(4)
	v_max3_f32 v67, v89, 0xff7fffff, v90
	s_waitcnt lgkmcnt(3)
	s_delay_alu instid0(VALU_DEP_1) | instskip(SKIP_1) | instid1(VALU_DEP_1)
	v_max3_f32 v67, v67, v91, v92
	s_waitcnt lgkmcnt(2)
	v_max3_f32 v67, v67, v93, v94
	s_waitcnt lgkmcnt(1)
	s_delay_alu instid0(VALU_DEP_1) | instskip(NEXT) | instid1(VALU_DEP_1)
	v_max3_f32 v67, v67, v95, v96
	v_sub_f32_e32 v93, v93, v67
	s_delay_alu instid0(VALU_DEP_1) | instskip(NEXT) | instid1(VALU_DEP_1)
	v_dual_sub_f32 v68, v89, v67 :: v_dual_mul_f32 v103, 0x3fb8aa3b, v93
	v_mul_f32_e32 v68, 0x3fb8aa3b, v68
	s_delay_alu instid0(VALU_DEP_1)
	v_exp_f32_e32 v100, v68
	v_sub_f32_e32 v68, v92, v67
	v_sub_f32_e32 v99, v90, v67
	ds_load_2addr_b32 v[89:90], v82 offset0:170 offset1:187
	v_dual_mul_f32 v102, 0x3fb8aa3b, v68 :: v_dual_mul_f32 v99, 0x3fb8aa3b, v99
	s_waitcnt lgkmcnt(1)
	v_fma_f32 v68, v100, v97, 0
	s_delay_alu instid0(VALU_DEP_2) | instskip(NEXT) | instid1(VALU_DEP_2)
	v_exp_f32_e32 v102, v102
	v_exp_f32_e32 v99, v99
	s_waitcnt_depctr 0xfff
	v_fmac_f32_e32 v68, v99, v98
	v_sub_f32_e32 v91, v91, v67
	s_delay_alu instid0(VALU_DEP_1)
	v_mul_f32_e32 v101, 0x3fb8aa3b, v91
	ds_load_2addr_b32 v[91:92], v82 offset0:204 offset1:221
	v_sub_f32_e32 v97, v94, v67
	ds_load_2addr_b32 v[93:94], v82 offset0:238 offset1:255
	s_waitcnt lgkmcnt(0)
	v_exp_f32_e32 v101, v101
	s_barrier
	buffer_gl0_inv
	v_dual_fmac_f32 v68, v101, v89 :: v_dual_sub_f32 v89, v96, v67
	v_dual_sub_f32 v82, v95, v67 :: v_dual_mul_f32 v95, 0x3fb8aa3b, v97
	v_exp_f32_e32 v97, v103
	s_delay_alu instid0(VALU_DEP_2) | instskip(NEXT) | instid1(VALU_DEP_2)
	v_dual_fmac_f32 v68, v102, v90 :: v_dual_mul_f32 v89, 0x3fb8aa3b, v89
	v_mul_f32_e32 v82, 0x3fb8aa3b, v82
	s_delay_alu instid0(VALU_DEP_3) | instskip(NEXT) | instid1(VALU_DEP_2)
	v_exp_f32_e32 v95, v95
	v_exp_f32_e32 v89, v89
	s_delay_alu instid0(VALU_DEP_1)
	v_exp_f32_e32 v82, v82
	v_fmac_f32_e32 v68, v97, v91
	s_delay_alu instid0(TRANS32_DEP_3) | instid1(VALU_DEP_1)
	v_fmac_f32_e32 v68, v95, v92
	s_waitcnt_depctr 0xfff
	v_fmac_f32_e32 v68, v82, v93
	s_delay_alu instid0(VALU_DEP_1) | instskip(NEXT) | instid1(VALU_DEP_1)
	v_fmac_f32_e32 v68, v89, v94
	v_add_f32_e32 v90, 0x358637bd, v68
	s_delay_alu instid0(VALU_DEP_1) | instskip(NEXT) | instid1(VALU_DEP_1)
	v_div_scale_f32 v91, null, v90, v90, 1.0
	v_rcp_f32_e32 v92, v91
	s_waitcnt_depctr 0xfff
	v_fma_f32 v93, -v91, v92, 1.0
	s_delay_alu instid0(VALU_DEP_1) | instskip(SKIP_1) | instid1(VALU_DEP_2)
	v_dual_fmac_f32 v92, v93, v92 :: v_dual_cndmask_b32 v93, v100, v99
	v_cmp_eq_u32_e32 vcc_lo, 3, v66
	v_cndmask_b32_e64 v93, v93, v101, s2
	v_cmp_eq_u32_e64 s2, 4, v66
	s_delay_alu instid0(VALU_DEP_2) | instskip(SKIP_1) | instid1(VALU_DEP_2)
	v_cndmask_b32_e32 v93, v93, v102, vcc_lo
	v_cmp_eq_u32_e32 vcc_lo, 5, v66
	v_cndmask_b32_e64 v93, v93, v97, s2
	v_cmp_eq_u32_e64 s2, 6, v66
	s_delay_alu instid0(VALU_DEP_2) | instskip(SKIP_1) | instid1(VALU_DEP_1)
	v_cndmask_b32_e32 v93, v93, v95, vcc_lo
	v_div_scale_f32 v94, s3, 1.0, v90, 1.0
	s_mov_b32 vcc_lo, s3
	s_delay_alu instid0(VALU_DEP_2) | instskip(NEXT) | instid1(VALU_DEP_2)
	v_cndmask_b32_e64 v82, v93, v82, s2
	v_mul_f32_e32 v96, v94, v92
	s_mov_b32 s2, exec_lo
	s_delay_alu instid0(VALU_DEP_2) | instskip(NEXT) | instid1(VALU_DEP_2)
	v_cndmask_b32_e64 v82, v82, v89, s4
	v_fma_f32 v98, -v91, v96, v94
	s_delay_alu instid0(VALU_DEP_1) | instskip(NEXT) | instid1(VALU_DEP_1)
	v_fmac_f32_e32 v96, v98, v92
	v_fma_f32 v91, -v91, v96, v94
	s_delay_alu instid0(VALU_DEP_1) | instskip(NEXT) | instid1(VALU_DEP_1)
	v_div_fmas_f32 v91, v91, v92, v96
	v_div_fixup_f32 v90, v91, v90, 1.0
	s_delay_alu instid0(VALU_DEP_1) | instskip(NEXT) | instid1(VALU_DEP_1)
	v_mul_f32_e32 v82, v82, v90
	v_mul_f32_e32 v87, v82, v87
	;; [unrolled: 1-line block ×7, first 2 shown]
	v_dual_mul_f32 v86, v82, v83 :: v_dual_and_b32 v91, 0x7f800000, v90
	v_mul_f32_e32 v85, v82, v76
                                        ; implicit-def: $vgpr76
	s_delay_alu instid0(VALU_DEP_2)
	v_cmpx_ne_u32_e32 0x7f800000, v91
	s_xor_b32 s2, exec_lo, s2
; %bb.13:
	v_bfe_u32 v76, v90, 16, 1
	s_delay_alu instid0(VALU_DEP_1)
	v_add3_u32 v76, v90, v76, 0x7fff
                                        ; implicit-def: $vgpr90
; %bb.14:
	s_and_not1_saveexec_b32 s2, s2
; %bb.15:
	v_and_b32_e32 v76, 0xffff, v90
	v_or_b32_e32 v83, 0x10000, v90
	s_delay_alu instid0(VALU_DEP_2) | instskip(NEXT) | instid1(VALU_DEP_2)
	v_cmp_eq_u32_e32 vcc_lo, 0, v76
	v_cndmask_b32_e32 v76, v83, v90, vcc_lo
; %bb.16:
	s_or_b32 exec_lo, exec_lo, s2
	v_and_b32_e32 v83, 0x7f800000, v85
	s_delay_alu instid0(VALU_DEP_1) | instskip(SKIP_1) | instid1(SALU_CYCLE_1)
	v_cmp_ne_u32_e32 vcc_lo, 0x7f800000, v83
                                        ; implicit-def: $vgpr83
	s_and_saveexec_b32 s2, vcc_lo
	s_xor_b32 s2, exec_lo, s2
; %bb.17:
	v_bfe_u32 v83, v85, 16, 1
	s_delay_alu instid0(VALU_DEP_1)
	v_add3_u32 v83, v85, v83, 0x7fff
                                        ; implicit-def: $vgpr85
; %bb.18:
	s_and_not1_saveexec_b32 s2, s2
; %bb.19:
	v_and_b32_e32 v83, 0xffff, v85
	v_or_b32_e32 v90, 0x10000, v85
	s_delay_alu instid0(VALU_DEP_2) | instskip(NEXT) | instid1(VALU_DEP_2)
	v_cmp_eq_u32_e32 vcc_lo, 0, v83
	v_cndmask_b32_e32 v83, v90, v85, vcc_lo
; %bb.20:
	s_or_b32 exec_lo, exec_lo, s2
	v_and_b32_e32 v85, 0x7f800000, v86
	s_delay_alu instid0(VALU_DEP_1) | instskip(SKIP_1) | instid1(SALU_CYCLE_1)
	v_cmp_ne_u32_e32 vcc_lo, 0x7f800000, v85
                                        ; implicit-def: $vgpr85
	s_and_saveexec_b32 s2, vcc_lo
	s_xor_b32 s2, exec_lo, s2
; %bb.21:
	v_bfe_u32 v85, v86, 16, 1
	s_delay_alu instid0(VALU_DEP_1)
	v_add3_u32 v85, v86, v85, 0x7fff
                                        ; implicit-def: $vgpr86
; %bb.22:
	s_and_not1_saveexec_b32 s2, s2
; %bb.23:
	v_and_b32_e32 v85, 0xffff, v86
	v_or_b32_e32 v90, 0x10000, v86
	s_delay_alu instid0(VALU_DEP_2) | instskip(NEXT) | instid1(VALU_DEP_2)
	v_cmp_eq_u32_e32 vcc_lo, 0, v85
	v_cndmask_b32_e32 v85, v90, v86, vcc_lo
; %bb.24:
	s_or_b32 exec_lo, exec_lo, s2
	v_and_b32_e32 v86, 0x7f800000, v89
	s_delay_alu instid0(VALU_DEP_1) | instskip(SKIP_1) | instid1(SALU_CYCLE_1)
	v_cmp_ne_u32_e32 vcc_lo, 0x7f800000, v86
                                        ; implicit-def: $vgpr86
	s_and_saveexec_b32 s2, vcc_lo
	s_xor_b32 s2, exec_lo, s2
; %bb.25:
	v_bfe_u32 v86, v89, 16, 1
	s_delay_alu instid0(VALU_DEP_1)
	v_add3_u32 v86, v89, v86, 0x7fff
                                        ; implicit-def: $vgpr89
; %bb.26:
	s_and_not1_saveexec_b32 s2, s2
; %bb.27:
	v_and_b32_e32 v86, 0xffff, v89
	v_or_b32_e32 v90, 0x10000, v89
	s_delay_alu instid0(VALU_DEP_2) | instskip(NEXT) | instid1(VALU_DEP_2)
	v_cmp_eq_u32_e32 vcc_lo, 0, v86
	v_cndmask_b32_e32 v86, v90, v89, vcc_lo
; %bb.28:
	s_or_b32 exec_lo, exec_lo, s2
	v_and_b32_e32 v89, 0x7f800000, v88
	s_delay_alu instid0(VALU_DEP_1) | instskip(SKIP_1) | instid1(SALU_CYCLE_1)
	v_cmp_ne_u32_e32 vcc_lo, 0x7f800000, v89
                                        ; implicit-def: $vgpr89
	s_and_saveexec_b32 s2, vcc_lo
	s_xor_b32 s2, exec_lo, s2
; %bb.29:
	v_bfe_u32 v89, v88, 16, 1
	s_delay_alu instid0(VALU_DEP_1)
	v_add3_u32 v89, v88, v89, 0x7fff
                                        ; implicit-def: $vgpr88
; %bb.30:
	s_and_not1_saveexec_b32 s2, s2
; %bb.31:
	v_and_b32_e32 v89, 0xffff, v88
	v_or_b32_e32 v90, 0x10000, v88
	s_delay_alu instid0(VALU_DEP_2) | instskip(NEXT) | instid1(VALU_DEP_2)
	v_cmp_eq_u32_e32 vcc_lo, 0, v89
	v_cndmask_b32_e32 v89, v90, v88, vcc_lo
; %bb.32:
	s_or_b32 exec_lo, exec_lo, s2
	v_and_b32_e32 v88, 0x7f800000, v87
	s_delay_alu instid0(VALU_DEP_1) | instskip(SKIP_1) | instid1(SALU_CYCLE_1)
	v_cmp_ne_u32_e32 vcc_lo, 0x7f800000, v88
                                        ; implicit-def: $vgpr88
	s_and_saveexec_b32 s2, vcc_lo
	s_xor_b32 s2, exec_lo, s2
; %bb.33:
	v_bfe_u32 v88, v87, 16, 1
	s_delay_alu instid0(VALU_DEP_1)
	v_add3_u32 v88, v87, v88, 0x7fff
                                        ; implicit-def: $vgpr87
; %bb.34:
	s_and_not1_saveexec_b32 s2, s2
; %bb.35:
	v_and_b32_e32 v88, 0xffff, v87
	v_or_b32_e32 v90, 0x10000, v87
	s_delay_alu instid0(VALU_DEP_2) | instskip(NEXT) | instid1(VALU_DEP_2)
	v_cmp_eq_u32_e32 vcc_lo, 0, v88
	v_cndmask_b32_e32 v88, v90, v87, vcc_lo
; %bb.36:
	s_or_b32 exec_lo, exec_lo, s2
	v_and_b32_e32 v87, 0x7f800000, v84
	s_delay_alu instid0(VALU_DEP_1) | instskip(SKIP_1) | instid1(SALU_CYCLE_1)
	v_cmp_ne_u32_e32 vcc_lo, 0x7f800000, v87
                                        ; implicit-def: $vgpr87
	s_and_saveexec_b32 s2, vcc_lo
	s_xor_b32 s2, exec_lo, s2
; %bb.37:
	v_bfe_u32 v87, v84, 16, 1
	s_delay_alu instid0(VALU_DEP_1)
	v_add3_u32 v87, v84, v87, 0x7fff
                                        ; implicit-def: $vgpr84
; %bb.38:
	s_and_not1_saveexec_b32 s2, s2
; %bb.39:
	v_and_b32_e32 v87, 0xffff, v84
	v_or_b32_e32 v90, 0x10000, v84
	s_delay_alu instid0(VALU_DEP_2) | instskip(NEXT) | instid1(VALU_DEP_2)
	v_cmp_eq_u32_e32 vcc_lo, 0, v87
	v_cndmask_b32_e32 v87, v90, v84, vcc_lo
; %bb.40:
	s_or_b32 exec_lo, exec_lo, s2
	v_and_b32_e32 v84, 0x7f800000, v80
	s_delay_alu instid0(VALU_DEP_1) | instskip(SKIP_1) | instid1(SALU_CYCLE_1)
	v_cmp_ne_u32_e32 vcc_lo, 0x7f800000, v84
                                        ; implicit-def: $vgpr84
	s_and_saveexec_b32 s2, vcc_lo
	s_xor_b32 s2, exec_lo, s2
; %bb.41:
	v_bfe_u32 v84, v80, 16, 1
	s_delay_alu instid0(VALU_DEP_1)
	v_add3_u32 v84, v80, v84, 0x7fff
                                        ; implicit-def: $vgpr80
; %bb.42:
	s_and_not1_saveexec_b32 s2, s2
; %bb.43:
	v_and_b32_e32 v84, 0xffff, v80
	v_or_b32_e32 v90, 0x10000, v80
	s_delay_alu instid0(VALU_DEP_2) | instskip(NEXT) | instid1(VALU_DEP_2)
	v_cmp_eq_u32_e32 vcc_lo, 0, v84
	v_cndmask_b32_e32 v84, v90, v80, vcc_lo
; %bb.44:
	s_or_b32 exec_lo, exec_lo, s2
	s_load_b64 s[34:35], s[0:1], 0x94
	v_lshlrev_b32_e32 v91, 4, v74
	s_delay_alu instid0(VALU_DEP_2)
	v_perm_b32 v90, v84, v87, 0x7060302
	v_dual_mul_f32 v79, v82, v79 :: v_dual_lshlrev_b32 v80, 6, v65
	v_dual_mul_f32 v77, v82, v77 :: v_dual_lshlrev_b32 v92, 11, v66
	v_mul_f32_e32 v84, v82, v70
	v_perm_b32 v89, v88, v89, 0x7060302
	v_perm_b32 v88, v86, v85, 0x7060302
	;; [unrolled: 1-line block ×3, first 2 shown]
	v_mul_f32_e32 v70, v82, v81
	v_or3_b32 v76, v91, v92, v80
	v_dual_mul_f32 v78, v82, v78 :: v_dual_and_b32 v85, 0x7f800000, v84
	v_mul_f32_e32 v83, v82, v72
	v_mul_f32_e32 v81, v82, v71
	;; [unrolled: 1-line block ×3, first 2 shown]
	s_mov_b32 s2, exec_lo
	ds_store_b128 v76, v[87:90]
                                        ; implicit-def: $vgpr69
	v_cmpx_ne_u32_e32 0x7f800000, v85
	s_xor_b32 s2, exec_lo, s2
; %bb.45:
	v_bfe_u32 v69, v84, 16, 1
	s_delay_alu instid0(VALU_DEP_1)
	v_add3_u32 v69, v84, v69, 0x7fff
                                        ; implicit-def: $vgpr84
; %bb.46:
	s_and_not1_saveexec_b32 s2, s2
; %bb.47:
	v_and_b32_e32 v69, 0xffff, v84
	v_or_b32_e32 v71, 0x10000, v84
	s_delay_alu instid0(VALU_DEP_2) | instskip(NEXT) | instid1(VALU_DEP_2)
	v_cmp_eq_u32_e32 vcc_lo, 0, v69
	v_cndmask_b32_e32 v69, v71, v84, vcc_lo
; %bb.48:
	s_or_b32 exec_lo, exec_lo, s2
	v_and_b32_e32 v71, 0x7f800000, v72
	s_delay_alu instid0(VALU_DEP_1) | instskip(SKIP_1) | instid1(SALU_CYCLE_1)
	v_cmp_ne_u32_e32 vcc_lo, 0x7f800000, v71
                                        ; implicit-def: $vgpr71
	s_and_saveexec_b32 s2, vcc_lo
	s_xor_b32 s2, exec_lo, s2
; %bb.49:
	v_bfe_u32 v71, v72, 16, 1
	s_delay_alu instid0(VALU_DEP_1)
	v_add3_u32 v71, v72, v71, 0x7fff
                                        ; implicit-def: $vgpr72
; %bb.50:
	s_and_not1_saveexec_b32 s2, s2
; %bb.51:
	v_and_b32_e32 v71, 0xffff, v72
	v_or_b32_e32 v82, 0x10000, v72
	s_delay_alu instid0(VALU_DEP_2) | instskip(NEXT) | instid1(VALU_DEP_2)
	v_cmp_eq_u32_e32 vcc_lo, 0, v71
	v_cndmask_b32_e32 v71, v82, v72, vcc_lo
; %bb.52:
	s_or_b32 exec_lo, exec_lo, s2
	v_and_b32_e32 v72, 0x7f800000, v81
	s_delay_alu instid0(VALU_DEP_1) | instskip(SKIP_1) | instid1(SALU_CYCLE_1)
	v_cmp_ne_u32_e32 vcc_lo, 0x7f800000, v72
                                        ; implicit-def: $vgpr72
	s_and_saveexec_b32 s2, vcc_lo
	s_xor_b32 s2, exec_lo, s2
; %bb.53:
	v_bfe_u32 v72, v81, 16, 1
	s_delay_alu instid0(VALU_DEP_1)
	v_add3_u32 v72, v81, v72, 0x7fff
                                        ; implicit-def: $vgpr81
; %bb.54:
	s_and_not1_saveexec_b32 s2, s2
; %bb.55:
	v_and_b32_e32 v72, 0xffff, v81
	v_or_b32_e32 v82, 0x10000, v81
	s_delay_alu instid0(VALU_DEP_2) | instskip(NEXT) | instid1(VALU_DEP_2)
	v_cmp_eq_u32_e32 vcc_lo, 0, v72
	v_cndmask_b32_e32 v72, v82, v81, vcc_lo
; %bb.56:
	s_or_b32 exec_lo, exec_lo, s2
	v_and_b32_e32 v81, 0x7f800000, v83
	s_delay_alu instid0(VALU_DEP_1) | instskip(SKIP_1) | instid1(SALU_CYCLE_1)
	v_cmp_ne_u32_e32 vcc_lo, 0x7f800000, v81
                                        ; implicit-def: $vgpr81
	s_and_saveexec_b32 s2, vcc_lo
	s_xor_b32 s2, exec_lo, s2
; %bb.57:
	v_bfe_u32 v81, v83, 16, 1
	s_delay_alu instid0(VALU_DEP_1)
	v_add3_u32 v81, v83, v81, 0x7fff
                                        ; implicit-def: $vgpr83
; %bb.58:
	s_and_not1_saveexec_b32 s2, s2
; %bb.59:
	v_and_b32_e32 v81, 0xffff, v83
	v_or_b32_e32 v82, 0x10000, v83
	s_delay_alu instid0(VALU_DEP_2) | instskip(NEXT) | instid1(VALU_DEP_2)
	v_cmp_eq_u32_e32 vcc_lo, 0, v81
	v_cndmask_b32_e32 v81, v82, v83, vcc_lo
; %bb.60:
	s_or_b32 exec_lo, exec_lo, s2
	v_and_b32_e32 v82, 0x7f800000, v77
	s_delay_alu instid0(VALU_DEP_1) | instskip(SKIP_1) | instid1(SALU_CYCLE_1)
	v_cmp_ne_u32_e32 vcc_lo, 0x7f800000, v82
                                        ; implicit-def: $vgpr82
	s_and_saveexec_b32 s2, vcc_lo
	s_xor_b32 s2, exec_lo, s2
; %bb.61:
	v_bfe_u32 v82, v77, 16, 1
	s_delay_alu instid0(VALU_DEP_1)
	v_add3_u32 v82, v77, v82, 0x7fff
                                        ; implicit-def: $vgpr77
; %bb.62:
	s_and_not1_saveexec_b32 s2, s2
; %bb.63:
	v_and_b32_e32 v82, 0xffff, v77
	v_or_b32_e32 v83, 0x10000, v77
	s_delay_alu instid0(VALU_DEP_2) | instskip(NEXT) | instid1(VALU_DEP_2)
	v_cmp_eq_u32_e32 vcc_lo, 0, v82
	v_cndmask_b32_e32 v82, v83, v77, vcc_lo
; %bb.64:
	s_or_b32 exec_lo, exec_lo, s2
	v_and_b32_e32 v77, 0x7f800000, v78
	s_delay_alu instid0(VALU_DEP_1) | instskip(SKIP_1) | instid1(SALU_CYCLE_1)
	v_cmp_ne_u32_e32 vcc_lo, 0x7f800000, v77
                                        ; implicit-def: $vgpr77
	s_and_saveexec_b32 s2, vcc_lo
	s_xor_b32 s2, exec_lo, s2
; %bb.65:
	v_bfe_u32 v77, v78, 16, 1
	s_delay_alu instid0(VALU_DEP_1)
	v_add3_u32 v77, v78, v77, 0x7fff
                                        ; implicit-def: $vgpr78
; %bb.66:
	s_and_not1_saveexec_b32 s2, s2
; %bb.67:
	v_and_b32_e32 v77, 0xffff, v78
	v_or_b32_e32 v83, 0x10000, v78
	s_delay_alu instid0(VALU_DEP_2) | instskip(NEXT) | instid1(VALU_DEP_2)
	v_cmp_eq_u32_e32 vcc_lo, 0, v77
	v_cndmask_b32_e32 v77, v83, v78, vcc_lo
; %bb.68:
	s_or_b32 exec_lo, exec_lo, s2
	v_and_b32_e32 v78, 0x7f800000, v79
	s_delay_alu instid0(VALU_DEP_1) | instskip(SKIP_1) | instid1(SALU_CYCLE_1)
	v_cmp_ne_u32_e32 vcc_lo, 0x7f800000, v78
                                        ; implicit-def: $vgpr78
	s_and_saveexec_b32 s2, vcc_lo
	s_xor_b32 s2, exec_lo, s2
; %bb.69:
	v_bfe_u32 v78, v79, 16, 1
	s_delay_alu instid0(VALU_DEP_1)
	v_add3_u32 v78, v79, v78, 0x7fff
                                        ; implicit-def: $vgpr79
; %bb.70:
	s_and_not1_saveexec_b32 s2, s2
; %bb.71:
	v_and_b32_e32 v78, 0xffff, v79
	v_or_b32_e32 v83, 0x10000, v79
	s_delay_alu instid0(VALU_DEP_2) | instskip(NEXT) | instid1(VALU_DEP_2)
	v_cmp_eq_u32_e32 vcc_lo, 0, v78
	v_cndmask_b32_e32 v78, v83, v79, vcc_lo
; %bb.72:
	s_or_b32 exec_lo, exec_lo, s2
	v_and_b32_e32 v79, 0x7f800000, v70
	s_delay_alu instid0(VALU_DEP_1) | instskip(SKIP_1) | instid1(SALU_CYCLE_1)
	v_cmp_ne_u32_e32 vcc_lo, 0x7f800000, v79
                                        ; implicit-def: $vgpr79
	s_and_saveexec_b32 s2, vcc_lo
	s_xor_b32 s2, exec_lo, s2
; %bb.73:
	v_bfe_u32 v79, v70, 16, 1
	s_delay_alu instid0(VALU_DEP_1)
	v_add3_u32 v79, v70, v79, 0x7fff
                                        ; implicit-def: $vgpr70
; %bb.74:
	s_and_not1_saveexec_b32 s2, s2
; %bb.75:
	v_and_b32_e32 v79, 0xffff, v70
	v_or_b32_e32 v83, 0x10000, v70
	s_delay_alu instid0(VALU_DEP_2) | instskip(NEXT) | instid1(VALU_DEP_2)
	v_cmp_eq_u32_e32 vcc_lo, 0, v79
	v_cndmask_b32_e32 v79, v83, v70, vcc_lo
; %bb.76:
	s_or_b32 exec_lo, exec_lo, s2
	s_delay_alu instid0(VALU_DEP_1)
	v_perm_b32 v86, v79, v78, 0x7060302
	v_perm_b32 v85, v77, v82, 0x7060302
	;; [unrolled: 1-line block ×4, first 2 shown]
	v_lshl_or_b32 v82, v66, 11, v80
	ds_store_b128 v76, v[83:86] offset:1024
	s_waitcnt lgkmcnt(0)
	s_barrier
	buffer_gl0_inv
	ds_load_b128 v[69:72], v82
	ds_load_b128 v[83:86], v82 offset:16
	s_waitcnt lgkmcnt(1)
	v_lshrrev_b32_e32 v66, 16, v69
	s_waitcnt lgkmcnt(0)
	v_lshrrev_b32_e32 v91, 16, v83
	v_lshlrev_b32_e32 v78, 2, v74
	v_lshrrev_b32_e32 v95, 16, v70
	v_lshrrev_b32_e32 v98, 16, v84
	;; [unrolled: 1-line block ×4, first 2 shown]
	v_cmp_eq_u32_e32 vcc_lo, 1, v78
	v_lshrrev_b32_e32 v97, 16, v72
	v_lshrrev_b32_e32 v100, 16, v86
	v_cndmask_b32_e32 v87, v83, v91, vcc_lo
	v_or_b32_e32 v79, 1, v78
	v_cndmask_b32_e32 v81, v69, v66, vcc_lo
	v_cmp_eq_u32_e64 s3, 2, v78
	v_cmp_eq_u32_e64 s6, 3, v78
	;; [unrolled: 1-line block ×5, first 2 shown]
	v_cndmask_b32_e64 v81, v81, v70, s3
	v_cndmask_b32_e64 v87, v87, v84, s3
	v_cmp_eq_u32_e64 s7, 3, v79
	v_cndmask_b32_e64 v88, v69, v66, s2
	v_or_b32_e32 v77, 2, v78
	v_cndmask_b32_e64 v81, v81, v95, s6
	v_cndmask_b32_e64 v87, v87, v98, s6
	;; [unrolled: 1-line block ×4, first 2 shown]
	v_cmp_eq_u32_e64 s9, 5, v78
	v_cndmask_b32_e64 v81, v81, v71, s8
	v_cndmask_b32_e64 v87, v87, v85, s8
	v_cmp_eq_u32_e64 s10, 4, v79
	v_cndmask_b32_e64 v88, v88, v95, s7
	v_cmp_eq_u32_e64 s4, 1, v77
	v_cndmask_b32_e64 v89, v89, v84, s5
	v_cndmask_b32_e64 v81, v81, v96, s9
	v_cmp_eq_u32_e64 s11, 6, v78
	v_cndmask_b32_e64 v88, v88, v71, s10
	;; [unrolled: 3-line block ×3, first 2 shown]
	v_cndmask_b32_e64 v89, v89, v98, s7
	v_cndmask_b32_e64 v81, v81, v72, s11
	v_cmp_eq_u32_e64 s13, 7, v78
	v_cndmask_b32_e64 v88, v88, v96, s12
	v_cndmask_b32_e64 v87, v87, v86, s11
	v_cmp_eq_u32_e64 s15, 6, v79
	v_cmp_eq_u32_e64 s16, 2, v77
	v_cndmask_b32_e64 v89, v89, v85, s10
	v_cndmask_b32_e64 v101, v81, v97, s13
	v_cndmask_b32_e64 v102, v87, v100, s13
	v_cndmask_b32_e64 v88, v88, v72, s15
	v_cndmask_b32_e64 v81, v90, v70, s16
	v_cndmask_b32_e64 v87, v83, v91, s4
	v_cmp_eq_u32_e64 s17, 7, v79
	v_cmp_eq_u32_e64 s18, 3, v77
	;; [unrolled: 1-line block ×4, first 2 shown]
	v_cndmask_b32_e64 v87, v87, v84, s16
	v_cndmask_b32_e64 v103, v88, v97, s17
	;; [unrolled: 1-line block ×4, first 2 shown]
	v_or_b32_e32 v81, 3, v78
	v_cndmask_b32_e64 v93, v87, v98, s18
	v_cmp_eq_u32_e64 s23, 6, v77
	v_cndmask_b32_e64 v104, v88, v86, s15
	v_cndmask_b32_e64 v92, v89, v71, s19
	v_cmp_eq_u32_e64 s20, 1, v81
	ds_load_b128 v[87:90], v82 offset:1024
	v_cmp_eq_u32_e64 s22, 2, v81
	v_cmp_eq_u32_e64 s24, 3, v81
	v_cndmask_b32_e64 v105, v92, v96, s21
	v_cndmask_b32_e64 v66, v69, v66, s20
	;; [unrolled: 1-line block ×4, first 2 shown]
	ds_load_b128 v[91:94], v82 offset:1040
	v_cmp_eq_u32_e64 s25, 4, v81
	v_cndmask_b32_e64 v66, v66, v70, s22
	v_cmp_eq_u32_e64 s26, 7, v77
	v_cndmask_b32_e64 v70, v83, v84, s22
	v_cndmask_b32_e64 v84, v105, v72, s23
	v_cmp_eq_u32_e64 s27, 5, v81
	v_cndmask_b32_e64 v66, v66, v95, s24
	v_cmp_eq_u32_e64 s28, 6, v81
	v_cndmask_b32_e64 v70, v70, v98, s24
	v_cndmask_b32_e64 v69, v69, v99, s21
	;; [unrolled: 1-line block ×4, first 2 shown]
	s_waitcnt lgkmcnt(1)
	v_lshrrev_b32_e32 v95, 16, v87
	v_cndmask_b32_e64 v70, v70, v85, s25
	v_cndmask_b32_e64 v71, v84, v97, s26
	;; [unrolled: 1-line block ×4, first 2 shown]
	v_cndmask_b32_e32 v84, v87, v95, vcc_lo
	v_cndmask_b32_e64 v70, v70, v99, s27
	s_waitcnt lgkmcnt(0)
	v_lshrrev_b32_e32 v85, 16, v91
	v_lshrrev_b32_e32 v96, 16, v88
	v_cndmask_b32_e64 v98, v87, v95, s2
	v_cndmask_b32_e64 v84, v84, v88, s3
	;; [unrolled: 1-line block ×3, first 2 shown]
	v_cndmask_b32_e32 v99, v91, v85, vcc_lo
	v_cmp_eq_u32_e32 vcc_lo, 7, v81
	v_cndmask_b32_e64 v66, v66, v72, s28
	v_cndmask_b32_e64 v72, v84, v96, s6
	;; [unrolled: 1-line block ×3, first 2 shown]
	v_lshrrev_b32_e32 v98, 16, v92
	v_cndmask_b32_e32 v70, v70, v100, vcc_lo
	v_cndmask_b32_e64 v86, v99, v92, s3
	v_cndmask_b32_e64 v69, v69, v100, s26
	v_lshrrev_b32_e32 v100, 16, v93
	v_cndmask_b32_e64 v72, v72, v89, s8
	v_lshrrev_b32_e32 v99, 16, v89
	v_cndmask_b32_e64 v86, v86, v98, s6
	v_perm_b32 v71, v69, v71, 0x5040100
	v_cndmask_b32_e64 v84, v84, v96, s7
	s_delay_alu instid0(VALU_DEP_3) | instskip(NEXT) | instid1(VALU_DEP_2)
	v_cndmask_b32_e64 v86, v86, v93, s8
	v_cndmask_b32_e64 v84, v84, v89, s10
	s_delay_alu instid0(VALU_DEP_2) | instskip(NEXT) | instid1(VALU_DEP_1)
	v_cndmask_b32_e64 v86, v86, v100, s9
	v_cndmask_b32_e64 v69, v86, v94, s11
	;; [unrolled: 1-line block ×5, first 2 shown]
	s_delay_alu instid0(VALU_DEP_3) | instskip(NEXT) | instid1(VALU_DEP_3)
	v_cndmask_b32_e64 v86, v86, v88, s16
	v_cndmask_b32_e64 v87, v87, v88, s22
	s_delay_alu instid0(VALU_DEP_3) | instskip(NEXT) | instid1(VALU_DEP_3)
	v_cndmask_b32_e64 v88, v95, v92, s22
	v_cndmask_b32_e64 v86, v86, v96, s18
	;; [unrolled: 3-line block ×7, first 2 shown]
	s_delay_alu instid0(VALU_DEP_3) | instskip(SKIP_2) | instid1(VALU_DEP_2)
	v_cndmask_b32_e64 v88, v88, v94, s28
	v_cndmask_b32_e32 v66, v66, v97, vcc_lo
	v_cndmask_b32_e64 v97, v72, v99, s9
	v_perm_b32 v72, v70, v66, 0x5040100
	v_perm_b32 v70, v83, v103, 0x5040100
	v_cndmask_b32_e64 v103, v91, v85, s4
	v_cndmask_b32_e64 v85, v91, v85, s2
	;; [unrolled: 1-line block ×4, first 2 shown]
	v_lshrrev_b32_e32 v97, 16, v90
	v_cndmask_b32_e64 v91, v103, v92, s16
	v_cndmask_b32_e64 v85, v85, v92, s5
	;; [unrolled: 1-line block ×3, first 2 shown]
	s_mov_b32 s2, exec_lo
	v_cndmask_b32_e64 v83, v84, v97, s13
	v_cndmask_b32_e64 v91, v91, v98, s18
	;; [unrolled: 1-line block ×3, first 2 shown]
	v_lshrrev_b32_e32 v84, 16, v94
	v_cndmask_b32_e64 v66, v66, v97, s17
	v_cndmask_b32_e64 v90, v86, v97, s26
	;; [unrolled: 1-line block ×4, first 2 shown]
	v_dual_cndmask_b32 v86, v87, v97 :: v_dual_cndmask_b32 v87, v88, v84
	v_cndmask_b32_e64 v91, v69, v84, s13
	s_delay_alu instid0(VALU_DEP_4) | instskip(NEXT) | instid1(VALU_DEP_4)
	v_cndmask_b32_e64 v89, v89, v100, s21
	v_cndmask_b32_e64 v85, v85, v100, s12
	v_perm_b32 v69, v102, v101, 0x5040100
	v_perm_b32 v86, v87, v86, 0x5040100
	v_perm_b32 v83, v91, v83, 0x5040100
	v_cndmask_b32_e64 v89, v89, v94, s23
	v_cndmask_b32_e64 v85, v85, v94, s15
	s_mul_i32 s7, s35, 12
	s_delay_alu instid0(VALU_DEP_2) | instskip(NEXT) | instid1(VALU_DEP_2)
	v_cndmask_b32_e64 v88, v89, v84, s26
	v_cndmask_b32_e64 v89, v85, v84, s17
	s_delay_alu instid0(VALU_DEP_2) | instskip(NEXT) | instid1(VALU_DEP_2)
	v_perm_b32 v85, v88, v90, 0x5040100
	v_perm_b32 v84, v89, v66, 0x5040100
	ds_store_b128 v76, v[69:72]
	ds_store_b128 v76, v[83:86] offset:1024
	v_cmpx_gt_u32_e32 12, v0
	s_cbranch_execz .LBB1913_78
; %bb.77:
	s_mul_i32 s3, s7, s30
	s_load_b128 s[8:11], s[0:1], 0x58
	v_add3_u32 v69, s3, s29, v65
	s_delay_alu instid0(VALU_DEP_1) | instskip(NEXT) | instid1(VALU_DEP_1)
	v_mad_u64_u32 v[65:66], null, v69, s34, s[14:15]
	v_ashrrev_i32_e32 v66, 31, v65
	s_delay_alu instid0(VALU_DEP_1) | instskip(SKIP_1) | instid1(VALU_DEP_1)
	v_lshlrev_b64 v[65:66], 2, v[65:66]
	s_waitcnt lgkmcnt(0)
	v_add_co_u32 v69, vcc_lo, s10, v65
	s_delay_alu instid0(VALU_DEP_2)
	v_add_co_ci_u32_e32 v70, vcc_lo, s11, v66, vcc_lo
	v_add_co_u32 v65, vcc_lo, s8, v65
	v_add_co_ci_u32_e32 v66, vcc_lo, s9, v66, vcc_lo
	global_store_b32 v[69:70], v67, off
	global_store_b32 v[65:66], v68, off
.LBB1913_78:
	s_or_b32 exec_lo, exec_lo, s2
	s_waitcnt lgkmcnt(0)
	s_waitcnt_vscnt null, 0x0
	s_barrier
	buffer_gl0_inv
	ds_load_b128 v[83:86], v80
	ds_load_b128 v[87:90], v80 offset:16
	ds_load_b128 v[95:98], v80 offset:2064
	;; [unrolled: 1-line block ×3, first 2 shown]
	v_mov_b32_e32 v65, 0
	ds_load_b128 v[103:106], v80 offset:4112
	ds_load_b128 v[99:102], v80 offset:4096
	;; [unrolled: 1-line block ×4, first 2 shown]
	v_mov_b32_e32 v66, v65
	v_mov_b32_e32 v67, v65
	;; [unrolled: 1-line block ×7, first 2 shown]
	s_waitcnt lgkmcnt(6)
	s_delay_alu instid0(VALU_DEP_1)
	v_wmma_f32_16x16x16_bf16 v[65:72], v[49:56], v[83:90], v[65:72]
	ds_load_b128 v[53:56], v80 offset:8208
	ds_load_b128 v[49:52], v80 offset:8192
	s_waitcnt lgkmcnt(6)
	v_wmma_f32_16x16x16_bf16 v[65:72], v[41:48], v[91:98], v[65:72]
	ds_load_b128 v[45:48], v80 offset:10256
	ds_load_b128 v[41:44], v80 offset:10240
	s_waitcnt lgkmcnt(6)
	;; [unrolled: 4-line block ×4, first 2 shown]
	v_wmma_f32_16x16x16_bf16 v[65:72], v[1:8], v[49:56], v[65:72]
	s_waitcnt lgkmcnt(4)
	s_delay_alu instid0(VALU_DEP_1) | instskip(SKIP_1) | instid1(VALU_DEP_1)
	v_wmma_f32_16x16x16_bf16 v[65:72], v[9:16], v[41:48], v[65:72]
	s_waitcnt lgkmcnt(2)
	v_wmma_f32_16x16x16_bf16 v[65:72], v[17:24], v[33:40], v[65:72]
	s_waitcnt lgkmcnt(0)
	s_delay_alu instid0(VALU_DEP_1) | instskip(NEXT) | instid1(VALU_DEP_1)
	v_wmma_f32_16x16x16_bf16 v[65:72], v[57:64], v[25:32], v[65:72]
	v_and_b32_e32 v1, 0x7f800000, v65
	s_delay_alu instid0(VALU_DEP_1) | instskip(SKIP_1) | instid1(SALU_CYCLE_1)
	v_cmp_ne_u32_e32 vcc_lo, 0x7f800000, v1
                                        ; implicit-def: $vgpr1
	s_and_saveexec_b32 s2, vcc_lo
	s_xor_b32 s2, exec_lo, s2
; %bb.79:
	v_bfe_u32 v1, v65, 16, 1
	s_delay_alu instid0(VALU_DEP_1)
	v_add3_u32 v1, v65, v1, 0x7fff
; %bb.80:
	s_and_not1_saveexec_b32 s2, s2
; %bb.81:
	v_and_b32_e32 v1, 0xffff, v65
	v_or_b32_e32 v2, 0x10000, v65
	s_delay_alu instid0(VALU_DEP_2) | instskip(NEXT) | instid1(VALU_DEP_2)
	v_cmp_eq_u32_e32 vcc_lo, 0, v1
	v_cndmask_b32_e32 v1, v2, v65, vcc_lo
; %bb.82:
	s_or_b32 exec_lo, exec_lo, s2
	v_and_b32_e32 v2, 0x7f800000, v66
	s_delay_alu instid0(VALU_DEP_1) | instskip(SKIP_1) | instid1(SALU_CYCLE_1)
	v_cmp_ne_u32_e32 vcc_lo, 0x7f800000, v2
                                        ; implicit-def: $vgpr2
	s_and_saveexec_b32 s2, vcc_lo
	s_xor_b32 s2, exec_lo, s2
; %bb.83:
	v_bfe_u32 v2, v66, 16, 1
	s_delay_alu instid0(VALU_DEP_1)
	v_add3_u32 v2, v66, v2, 0x7fff
; %bb.84:
	s_and_not1_saveexec_b32 s2, s2
; %bb.85:
	v_and_b32_e32 v2, 0xffff, v66
	v_or_b32_e32 v3, 0x10000, v66
	s_delay_alu instid0(VALU_DEP_2) | instskip(NEXT) | instid1(VALU_DEP_2)
	v_cmp_eq_u32_e32 vcc_lo, 0, v2
	v_cndmask_b32_e32 v2, v3, v66, vcc_lo
; %bb.86:
	s_or_b32 exec_lo, exec_lo, s2
	v_and_b32_e32 v3, 0x7f800000, v67
	s_delay_alu instid0(VALU_DEP_1) | instskip(SKIP_1) | instid1(SALU_CYCLE_1)
	v_cmp_ne_u32_e32 vcc_lo, 0x7f800000, v3
                                        ; implicit-def: $vgpr3
	s_and_saveexec_b32 s2, vcc_lo
	s_xor_b32 s2, exec_lo, s2
; %bb.87:
	v_bfe_u32 v3, v67, 16, 1
	s_delay_alu instid0(VALU_DEP_1)
	v_add3_u32 v3, v67, v3, 0x7fff
; %bb.88:
	s_and_not1_saveexec_b32 s2, s2
; %bb.89:
	v_and_b32_e32 v3, 0xffff, v67
	v_or_b32_e32 v4, 0x10000, v67
	s_delay_alu instid0(VALU_DEP_2) | instskip(NEXT) | instid1(VALU_DEP_2)
	v_cmp_eq_u32_e32 vcc_lo, 0, v3
	v_cndmask_b32_e32 v3, v4, v67, vcc_lo
; %bb.90:
	s_or_b32 exec_lo, exec_lo, s2
	v_and_b32_e32 v4, 0x7f800000, v68
	s_delay_alu instid0(VALU_DEP_1) | instskip(SKIP_1) | instid1(SALU_CYCLE_1)
	v_cmp_ne_u32_e32 vcc_lo, 0x7f800000, v4
                                        ; implicit-def: $vgpr4
	s_and_saveexec_b32 s2, vcc_lo
	s_xor_b32 s2, exec_lo, s2
; %bb.91:
	v_bfe_u32 v4, v68, 16, 1
	s_delay_alu instid0(VALU_DEP_1)
	v_add3_u32 v4, v68, v4, 0x7fff
; %bb.92:
	s_and_not1_saveexec_b32 s2, s2
; %bb.93:
	v_and_b32_e32 v4, 0xffff, v68
	v_or_b32_e32 v5, 0x10000, v68
	s_delay_alu instid0(VALU_DEP_2) | instskip(NEXT) | instid1(VALU_DEP_2)
	v_cmp_eq_u32_e32 vcc_lo, 0, v4
	v_cndmask_b32_e32 v4, v5, v68, vcc_lo
; %bb.94:
	s_or_b32 exec_lo, exec_lo, s2
	v_and_b32_e32 v5, 0x7f800000, v69
	s_delay_alu instid0(VALU_DEP_1) | instskip(SKIP_1) | instid1(SALU_CYCLE_1)
	v_cmp_ne_u32_e32 vcc_lo, 0x7f800000, v5
                                        ; implicit-def: $vgpr5
	s_and_saveexec_b32 s2, vcc_lo
	s_xor_b32 s2, exec_lo, s2
; %bb.95:
	v_bfe_u32 v5, v69, 16, 1
	s_delay_alu instid0(VALU_DEP_1)
	v_add3_u32 v5, v69, v5, 0x7fff
; %bb.96:
	s_and_not1_saveexec_b32 s2, s2
; %bb.97:
	v_and_b32_e32 v5, 0xffff, v69
	v_or_b32_e32 v6, 0x10000, v69
	s_delay_alu instid0(VALU_DEP_2) | instskip(NEXT) | instid1(VALU_DEP_2)
	v_cmp_eq_u32_e32 vcc_lo, 0, v5
	v_cndmask_b32_e32 v5, v6, v69, vcc_lo
; %bb.98:
	s_or_b32 exec_lo, exec_lo, s2
	v_and_b32_e32 v6, 0x7f800000, v70
	s_delay_alu instid0(VALU_DEP_1) | instskip(SKIP_1) | instid1(SALU_CYCLE_1)
	v_cmp_ne_u32_e32 vcc_lo, 0x7f800000, v6
                                        ; implicit-def: $vgpr6
	s_and_saveexec_b32 s2, vcc_lo
	s_xor_b32 s2, exec_lo, s2
; %bb.99:
	v_bfe_u32 v6, v70, 16, 1
	s_delay_alu instid0(VALU_DEP_1)
	v_add3_u32 v6, v70, v6, 0x7fff
; %bb.100:
	s_and_not1_saveexec_b32 s2, s2
; %bb.101:
	v_and_b32_e32 v6, 0xffff, v70
	v_or_b32_e32 v7, 0x10000, v70
	s_delay_alu instid0(VALU_DEP_2) | instskip(NEXT) | instid1(VALU_DEP_2)
	v_cmp_eq_u32_e32 vcc_lo, 0, v6
	v_cndmask_b32_e32 v6, v7, v70, vcc_lo
; %bb.102:
	s_or_b32 exec_lo, exec_lo, s2
	v_and_b32_e32 v7, 0x7f800000, v71
	s_delay_alu instid0(VALU_DEP_1) | instskip(SKIP_1) | instid1(SALU_CYCLE_1)
	v_cmp_ne_u32_e32 vcc_lo, 0x7f800000, v7
                                        ; implicit-def: $vgpr7
	s_and_saveexec_b32 s2, vcc_lo
	s_xor_b32 s2, exec_lo, s2
; %bb.103:
	v_bfe_u32 v7, v71, 16, 1
	s_delay_alu instid0(VALU_DEP_1)
	v_add3_u32 v7, v71, v7, 0x7fff
; %bb.104:
	s_and_not1_saveexec_b32 s2, s2
; %bb.105:
	v_and_b32_e32 v7, 0xffff, v71
	v_or_b32_e32 v8, 0x10000, v71
	s_delay_alu instid0(VALU_DEP_2) | instskip(NEXT) | instid1(VALU_DEP_2)
	v_cmp_eq_u32_e32 vcc_lo, 0, v7
	v_cndmask_b32_e32 v7, v8, v71, vcc_lo
; %bb.106:
	s_or_b32 exec_lo, exec_lo, s2
	v_and_b32_e32 v8, 0x7f800000, v72
	s_delay_alu instid0(VALU_DEP_1) | instskip(SKIP_1) | instid1(SALU_CYCLE_1)
	v_cmp_ne_u32_e32 vcc_lo, 0x7f800000, v8
                                        ; implicit-def: $vgpr8
	s_and_saveexec_b32 s2, vcc_lo
	s_xor_b32 s2, exec_lo, s2
; %bb.107:
	v_bfe_u32 v8, v72, 16, 1
	s_delay_alu instid0(VALU_DEP_1)
	v_add3_u32 v8, v72, v8, 0x7fff
                                        ; implicit-def: $vgpr65_vgpr66_vgpr67_vgpr68_vgpr69_vgpr70_vgpr71_vgpr72
; %bb.108:
	s_and_not1_saveexec_b32 s2, s2
; %bb.109:
	v_and_b32_e32 v8, 0xffff, v72
	v_or_b32_e32 v9, 0x10000, v72
	s_delay_alu instid0(VALU_DEP_2) | instskip(NEXT) | instid1(VALU_DEP_2)
	v_cmp_eq_u32_e32 vcc_lo, 0, v8
	v_cndmask_b32_e32 v8, v9, v72, vcc_lo
; %bb.110:
	s_or_b32 exec_lo, exec_lo, s2
	s_delay_alu instid0(VALU_DEP_1)
	v_perm_b32 v7, v8, v7, 0x7060302
	v_perm_b32 v6, v6, v5, 0x7060302
	;; [unrolled: 1-line block ×4, first 2 shown]
	s_barrier
	buffer_gl0_inv
	v_cmp_eq_u32_e32 vcc_lo, 1, v78
	ds_store_b128 v76, v[4:7]
	s_waitcnt lgkmcnt(0)
	s_barrier
	buffer_gl0_inv
	ds_load_b128 v[1:4], v82
	ds_load_b128 v[5:8], v82 offset:16
	v_cmp_eq_u32_e64 s2, 1, v79
	v_cmp_eq_u32_e64 s3, 2, v78
	;; [unrolled: 1-line block ×5, first 2 shown]
	s_waitcnt lgkmcnt(1)
	v_lshrrev_b32_e32 v9, 16, v1
	s_waitcnt lgkmcnt(0)
	v_lshrrev_b32_e32 v13, 16, v5
	v_lshrrev_b32_e32 v10, 16, v2
	;; [unrolled: 1-line block ×4, first 2 shown]
	v_cndmask_b32_e64 v19, v1, v9, s2
	v_cndmask_b32_e32 v18, v5, v13, vcc_lo
	v_cndmask_b32_e64 v20, v5, v13, s2
	v_cndmask_b32_e32 v17, v1, v9, vcc_lo
	v_cmp_eq_u32_e32 vcc_lo, 2, v79
	v_lshrrev_b32_e32 v15, 16, v7
	v_cmp_eq_u32_e64 s2, 1, v77
	v_lshrrev_b32_e32 v12, 16, v4
	v_lshrrev_b32_e32 v16, 16, v8
	v_cndmask_b32_e32 v20, v20, v6, vcc_lo
	v_cndmask_b32_e64 v17, v17, v2, s3
	v_cndmask_b32_e32 v19, v19, v2, vcc_lo
	v_cndmask_b32_e64 v18, v18, v6, s3
	v_cmp_eq_u32_e32 vcc_lo, 4, v78
	v_cmp_eq_u32_e64 s3, 3, v79
	v_cndmask_b32_e64 v17, v17, v10, s4
	v_cndmask_b32_e64 v21, v1, v9, s2
	;; [unrolled: 1-line block ×5, first 2 shown]
	v_cndmask_b32_e32 v17, v17, v3, vcc_lo
	v_cndmask_b32_e64 v20, v20, v14, s3
	v_cndmask_b32_e32 v18, v18, v7, vcc_lo
	v_cmp_eq_u32_e32 vcc_lo, 4, v79
	v_cmp_eq_u32_e64 s3, 5, v79
	v_cmp_eq_u32_e64 s2, 2, v81
	v_cndmask_b32_e64 v21, v21, v2, s6
	v_cmp_eq_u32_e64 s4, 5, v78
	v_cndmask_b32_e32 v19, v19, v3, vcc_lo
	v_cndmask_b32_e32 v20, v20, v7, vcc_lo
	v_cmp_eq_u32_e32 vcc_lo, 6, v79
	s_delay_alu instid0(VALU_DEP_4) | instskip(NEXT) | instid1(VALU_DEP_4)
	v_cndmask_b32_e64 v17, v17, v11, s4
	v_cndmask_b32_e64 v19, v19, v11, s3
	s_delay_alu instid0(VALU_DEP_4) | instskip(SKIP_1) | instid1(VALU_DEP_3)
	v_cndmask_b32_e64 v20, v20, v15, s3
	v_cmp_eq_u32_e64 s3, 1, v81
	v_cndmask_b32_e32 v19, v19, v4, vcc_lo
	v_cndmask_b32_e64 v18, v18, v15, s4
	s_delay_alu instid0(VALU_DEP_3)
	v_cndmask_b32_e64 v1, v1, v9, s3
	v_cndmask_b32_e64 v5, v5, v13, s3
	v_cmp_eq_u32_e64 s3, 3, v77
	v_cndmask_b32_e64 v13, v22, v6, s6
	v_cmp_eq_u32_e64 s6, 3, v81
	v_cndmask_b32_e64 v1, v1, v2, s2
	v_cndmask_b32_e64 v2, v5, v6, s2
	;; [unrolled: 1-line block ×3, first 2 shown]
	v_cmp_eq_u32_e64 s2, 4, v77
	v_cndmask_b32_e64 v6, v13, v14, s3
	v_cndmask_b32_e64 v1, v1, v10, s6
	v_cmp_eq_u32_e64 s3, 4, v81
	v_cndmask_b32_e64 v2, v2, v14, s6
	v_cndmask_b32_e64 v5, v9, v3, s2
	;; [unrolled: 3-line block ×3, first 2 shown]
	v_cndmask_b32_e64 v2, v2, v7, s3
	v_cmp_eq_u32_e64 s2, 5, v81
	v_cmp_eq_u32_e64 s4, 6, v78
	v_cndmask_b32_e64 v5, v5, v11, s6
	v_cmp_eq_u32_e64 s3, 6, v77
	v_cndmask_b32_e64 v3, v6, v15, s6
	v_cndmask_b32_e64 v1, v1, v11, s2
	v_cmp_eq_u32_e64 s6, 6, v81
	v_cndmask_b32_e64 v2, v2, v15, s2
	v_cndmask_b32_e64 v17, v17, v4, s4
	v_cndmask_b32_e64 v18, v18, v8, s4
	v_cmp_eq_u32_e64 s4, 7, v78
	v_cndmask_b32_e64 v5, v5, v4, s3
	;; [unrolled: 4-line block ×3, first 2 shown]
	v_cmp_eq_u32_e64 s3, 7, v77
	v_cndmask_b32_e32 v4, v20, v8, vcc_lo
	v_cndmask_b32_e64 v17, v17, v12, s4
	v_cndmask_b32_e64 v19, v19, v12, s5
	;; [unrolled: 1-line block ×8, first 2 shown]
	s_mov_b32 s2, exec_lo
	v_perm_b32 v4, v2, v1, 0x5040100
	v_perm_b32 v3, v3, v5, 0x5040100
	;; [unrolled: 1-line block ×4, first 2 shown]
	ds_store_b128 v76, v[1:4]
	s_waitcnt lgkmcnt(0)
	s_barrier
	buffer_gl0_inv
	v_cmpx_gt_u32_e32 32, v0
	s_cbranch_execz .LBB1913_2
; %bb.111:
	s_load_b64 s[0:1], s[0:1], 0x68
	v_lshlrev_b32_e32 v0, 10, v0
	s_lshl_b32 s4, s34, 7
	v_or_b32_e32 v3, s29, v74
	s_mul_i32 s2, s4, s30
	v_lshlrev_b32_e32 v1, 4, v75
	s_mul_i32 s2, s2, s7
	v_lshlrev_b32_e32 v2, 6, v74
	v_and_b32_e32 v0, 0x3800, v0
	s_ashr_i32 s3, s2, 31
	v_mul_lo_u32 v4, v3, s4
	s_lshl_b64 s[2:3], s[2:3], 1
	s_delay_alu instid0(VALU_DEP_2) | instskip(NEXT) | instid1(VALU_DEP_2)
	v_or3_b32 v16, v0, v1, v2
	v_ashrrev_i32_e32 v5, 31, v4
	ds_load_b128 v[0:3], v16
	s_waitcnt lgkmcnt(0)
	s_add_u32 s2, s0, s2
	s_addc_u32 s3, s1, s3
	s_lshl_b32 s0, s14, 7
	v_lshlrev_b64 v[5:6], 1, v[4:5]
	s_ashr_i32 s1, s0, 31
	s_delay_alu instid0(SALU_CYCLE_1) | instskip(NEXT) | instid1(SALU_CYCLE_1)
	s_lshl_b64 s[0:1], s[0:1], 1
	s_add_u32 s0, s2, s0
	s_addc_u32 s1, s3, s1
	s_lshl_b32 s2, s34, 8
	v_add_co_u32 v30, s0, s0, v73
	v_add_nc_u32_e32 v8, s2, v4
	v_add_co_ci_u32_e64 v31, null, s1, 0, s0
	s_delay_alu instid0(VALU_DEP_3) | instskip(NEXT) | instid1(VALU_DEP_3)
	v_add_co_u32 v12, vcc_lo, v30, v5
	v_add_nc_u32_e32 v10, s2, v8
	v_ashrrev_i32_e32 v9, 31, v8
	s_delay_alu instid0(VALU_DEP_4)
	v_add_co_ci_u32_e32 v13, vcc_lo, v31, v6, vcc_lo
	ds_load_b128 v[4:7], v16 offset:128
	v_ashrrev_i32_e32 v11, 31, v10
	v_lshlrev_b64 v[8:9], 1, v[8:9]
	v_add_nc_u32_e32 v14, s2, v10
	global_store_b128 v[12:13], v[0:3], off
	v_lshlrev_b64 v[0:1], 1, v[10:11]
	v_ashrrev_i32_e32 v15, 31, v14
	v_add_co_u32 v22, vcc_lo, v30, v8
	v_add_nc_u32_e32 v20, s2, v14
	v_add_co_ci_u32_e32 v23, vcc_lo, v31, v9, vcc_lo
	v_add_co_u32 v26, vcc_lo, v30, v0
	v_lshlrev_b64 v[24:25], 1, v[14:15]
	v_add_co_ci_u32_e32 v27, vcc_lo, v31, v1, vcc_lo
	ds_load_b128 v[0:3], v16 offset:256
	ds_load_b128 v[8:11], v16 offset:384
	;; [unrolled: 1-line block ×4, first 2 shown]
	v_add_nc_u32_e32 v28, s2, v20
	v_ashrrev_i32_e32 v21, 31, v20
	v_add_co_u32 v24, vcc_lo, v30, v24
	v_add_co_ci_u32_e32 v25, vcc_lo, v31, v25, vcc_lo
	s_delay_alu instid0(VALU_DEP_4) | instskip(NEXT) | instid1(VALU_DEP_4)
	v_ashrrev_i32_e32 v29, 31, v28
	v_lshlrev_b64 v[20:21], 1, v[20:21]
	s_delay_alu instid0(VALU_DEP_2) | instskip(NEXT) | instid1(VALU_DEP_2)
	v_lshlrev_b64 v[28:29], 1, v[28:29]
	v_add_co_u32 v20, vcc_lo, v30, v20
	s_delay_alu instid0(VALU_DEP_3) | instskip(NEXT) | instid1(VALU_DEP_3)
	v_add_co_ci_u32_e32 v21, vcc_lo, v31, v21, vcc_lo
	v_add_co_u32 v28, vcc_lo, v30, v28
	s_delay_alu instid0(VALU_DEP_4)
	v_add_co_ci_u32_e32 v29, vcc_lo, v31, v29, vcc_lo
	s_waitcnt lgkmcnt(4)
	global_store_b128 v[22:23], v[4:7], off
	s_waitcnt lgkmcnt(3)
	global_store_b128 v[26:27], v[0:3], off
	;; [unrolled: 2-line block ×5, first 2 shown]
	s_nop 0
	s_sendmsg sendmsg(MSG_DEALLOC_VGPRS)
	s_endpgm
	.section	.rodata,"a",@progbits
	.p2align	6, 0x0
	.amdhsa_kernel _Z39paged_attention_ll4mi_QKV_mfma16_kernelI14__hip_bfloat16hLN4vllm18Fp8KVCacheDataTypeE1ES0_Li32ELi128ELi256ELb0ELi12EL8MFMAType0EEvPKT_PKT0_S9_ifPKiSB_SB_iPKfiiiPfSE_PS4_PT2_iSD_SD_
		.amdhsa_group_segment_fixed_size 17472
		.amdhsa_private_segment_fixed_size 0
		.amdhsa_kernarg_size 400
		.amdhsa_user_sgpr_count 13
		.amdhsa_user_sgpr_dispatch_ptr 0
		.amdhsa_user_sgpr_queue_ptr 0
		.amdhsa_user_sgpr_kernarg_segment_ptr 1
		.amdhsa_user_sgpr_dispatch_id 0
		.amdhsa_user_sgpr_private_segment_size 0
		.amdhsa_wavefront_size32 1
		.amdhsa_uses_dynamic_stack 0
		.amdhsa_enable_private_segment 0
		.amdhsa_system_sgpr_workgroup_id_x 1
		.amdhsa_system_sgpr_workgroup_id_y 1
		.amdhsa_system_sgpr_workgroup_id_z 1
		.amdhsa_system_sgpr_workgroup_info 0
		.amdhsa_system_vgpr_workitem_id 0
		.amdhsa_next_free_vgpr 140
		.amdhsa_next_free_sgpr 36
		.amdhsa_reserve_vcc 1
		.amdhsa_float_round_mode_32 0
		.amdhsa_float_round_mode_16_64 0
		.amdhsa_float_denorm_mode_32 3
		.amdhsa_float_denorm_mode_16_64 3
		.amdhsa_dx10_clamp 1
		.amdhsa_ieee_mode 1
		.amdhsa_fp16_overflow 0
		.amdhsa_workgroup_processor_mode 1
		.amdhsa_memory_ordered 1
		.amdhsa_forward_progress 0
		.amdhsa_shared_vgpr_count 0
		.amdhsa_exception_fp_ieee_invalid_op 0
		.amdhsa_exception_fp_denorm_src 0
		.amdhsa_exception_fp_ieee_div_zero 0
		.amdhsa_exception_fp_ieee_overflow 0
		.amdhsa_exception_fp_ieee_underflow 0
		.amdhsa_exception_fp_ieee_inexact 0
		.amdhsa_exception_int_div_zero 0
	.end_amdhsa_kernel
	.section	.text._Z39paged_attention_ll4mi_QKV_mfma16_kernelI14__hip_bfloat16hLN4vllm18Fp8KVCacheDataTypeE1ES0_Li32ELi128ELi256ELb0ELi12EL8MFMAType0EEvPKT_PKT0_S9_ifPKiSB_SB_iPKfiiiPfSE_PS4_PT2_iSD_SD_,"axG",@progbits,_Z39paged_attention_ll4mi_QKV_mfma16_kernelI14__hip_bfloat16hLN4vllm18Fp8KVCacheDataTypeE1ES0_Li32ELi128ELi256ELb0ELi12EL8MFMAType0EEvPKT_PKT0_S9_ifPKiSB_SB_iPKfiiiPfSE_PS4_PT2_iSD_SD_,comdat
.Lfunc_end1913:
	.size	_Z39paged_attention_ll4mi_QKV_mfma16_kernelI14__hip_bfloat16hLN4vllm18Fp8KVCacheDataTypeE1ES0_Li32ELi128ELi256ELb0ELi12EL8MFMAType0EEvPKT_PKT0_S9_ifPKiSB_SB_iPKfiiiPfSE_PS4_PT2_iSD_SD_, .Lfunc_end1913-_Z39paged_attention_ll4mi_QKV_mfma16_kernelI14__hip_bfloat16hLN4vllm18Fp8KVCacheDataTypeE1ES0_Li32ELi128ELi256ELb0ELi12EL8MFMAType0EEvPKT_PKT0_S9_ifPKiSB_SB_iPKfiiiPfSE_PS4_PT2_iSD_SD_
                                        ; -- End function
	.section	.AMDGPU.csdata,"",@progbits
; Kernel info:
; codeLenInByte = 9000
; NumSgprs: 38
; NumVgprs: 140
; ScratchSize: 0
; MemoryBound: 0
; FloatMode: 240
; IeeeMode: 1
; LDSByteSize: 17472 bytes/workgroup (compile time only)
; SGPRBlocks: 4
; VGPRBlocks: 17
; NumSGPRsForWavesPerEU: 38
; NumVGPRsForWavesPerEU: 140
; Occupancy: 10
; WaveLimiterHint : 1
; COMPUTE_PGM_RSRC2:SCRATCH_EN: 0
; COMPUTE_PGM_RSRC2:USER_SGPR: 13
; COMPUTE_PGM_RSRC2:TRAP_HANDLER: 0
; COMPUTE_PGM_RSRC2:TGID_X_EN: 1
; COMPUTE_PGM_RSRC2:TGID_Y_EN: 1
; COMPUTE_PGM_RSRC2:TGID_Z_EN: 1
; COMPUTE_PGM_RSRC2:TIDIG_COMP_CNT: 0
	.section	.text._Z39paged_attention_ll4mi_QKV_mfma16_kernelI14__hip_bfloat16hLN4vllm18Fp8KVCacheDataTypeE1ES0_Li32ELi128ELi256ELb0ELi13EL8MFMAType0EEvPKT_PKT0_S9_ifPKiSB_SB_iPKfiiiPfSE_PS4_PT2_iSD_SD_,"axG",@progbits,_Z39paged_attention_ll4mi_QKV_mfma16_kernelI14__hip_bfloat16hLN4vllm18Fp8KVCacheDataTypeE1ES0_Li32ELi128ELi256ELb0ELi13EL8MFMAType0EEvPKT_PKT0_S9_ifPKiSB_SB_iPKfiiiPfSE_PS4_PT2_iSD_SD_,comdat
	.protected	_Z39paged_attention_ll4mi_QKV_mfma16_kernelI14__hip_bfloat16hLN4vllm18Fp8KVCacheDataTypeE1ES0_Li32ELi128ELi256ELb0ELi13EL8MFMAType0EEvPKT_PKT0_S9_ifPKiSB_SB_iPKfiiiPfSE_PS4_PT2_iSD_SD_ ; -- Begin function _Z39paged_attention_ll4mi_QKV_mfma16_kernelI14__hip_bfloat16hLN4vllm18Fp8KVCacheDataTypeE1ES0_Li32ELi128ELi256ELb0ELi13EL8MFMAType0EEvPKT_PKT0_S9_ifPKiSB_SB_iPKfiiiPfSE_PS4_PT2_iSD_SD_
	.globl	_Z39paged_attention_ll4mi_QKV_mfma16_kernelI14__hip_bfloat16hLN4vllm18Fp8KVCacheDataTypeE1ES0_Li32ELi128ELi256ELb0ELi13EL8MFMAType0EEvPKT_PKT0_S9_ifPKiSB_SB_iPKfiiiPfSE_PS4_PT2_iSD_SD_
	.p2align	8
	.type	_Z39paged_attention_ll4mi_QKV_mfma16_kernelI14__hip_bfloat16hLN4vllm18Fp8KVCacheDataTypeE1ES0_Li32ELi128ELi256ELb0ELi13EL8MFMAType0EEvPKT_PKT0_S9_ifPKiSB_SB_iPKfiiiPfSE_PS4_PT2_iSD_SD_,@function
_Z39paged_attention_ll4mi_QKV_mfma16_kernelI14__hip_bfloat16hLN4vllm18Fp8KVCacheDataTypeE1ES0_Li32ELi128ELi256ELb0ELi13EL8MFMAType0EEvPKT_PKT0_S9_ifPKiSB_SB_iPKfiiiPfSE_PS4_PT2_iSD_SD_: ; @_Z39paged_attention_ll4mi_QKV_mfma16_kernelI14__hip_bfloat16hLN4vllm18Fp8KVCacheDataTypeE1ES0_Li32ELi128ELi256ELb0ELi13EL8MFMAType0EEvPKT_PKT0_S9_ifPKiSB_SB_iPKfiiiPfSE_PS4_PT2_iSD_SD_
; %bb.0:
	s_load_b64 s[4:5], s[0:1], 0x30
	s_mov_b32 s30, s13
	s_waitcnt lgkmcnt(0)
	s_cmp_lg_u64 s[4:5], 0
	s_cselect_b32 s13, -1, 0
	s_ashr_i32 s31, s30, 31
	s_cmp_eq_u64 s[4:5], 0
	s_cbranch_scc1 .LBB1914_3
; %bb.1:
	s_lshl_b64 s[2:3], s[30:31], 2
	s_delay_alu instid0(SALU_CYCLE_1) | instskip(SKIP_4) | instid1(SALU_CYCLE_1)
	s_add_u32 s2, s4, s2
	s_addc_u32 s3, s5, s3
	s_load_b64 s[2:3], s[2:3], 0x0
	s_waitcnt lgkmcnt(0)
	s_sub_i32 s2, s3, s2
	s_cmp_eq_u32 s2, 1
	s_cselect_b32 s2, -1, 0
	s_delay_alu instid0(SALU_CYCLE_1)
	s_and_not1_b32 vcc_lo, exec_lo, s2
	s_cbranch_vccz .LBB1914_4
.LBB1914_2:
	s_nop 0
	s_sendmsg sendmsg(MSG_DEALLOC_VGPRS)
	s_endpgm
.LBB1914_3:
.LBB1914_4:
	s_load_b64 s[2:3], s[0:1], 0x28
	s_lshl_b64 s[6:7], s[30:31], 2
	s_waitcnt lgkmcnt(0)
	s_add_u32 s2, s2, s6
	s_addc_u32 s3, s3, s7
	s_lshl_b32 s12, s14, 8
	s_load_b32 s17, s[2:3], 0x0
	s_waitcnt lgkmcnt(0)
	s_cmp_ge_i32 s12, s17
	s_cbranch_scc1 .LBB1914_2
; %bb.5:
	s_clause 0x1
	s_load_b128 s[8:11], s[0:1], 0x8
	s_load_b64 s[2:3], s[0:1], 0x20
	s_and_not1_b32 vcc_lo, exec_lo, s13
	s_cbranch_vccnz .LBB1914_7
; %bb.6:
	s_add_u32 s4, s4, s6
	s_addc_u32 s5, s5, s7
	s_load_b32 s13, s[4:5], 0x0
	s_branch .LBB1914_8
.LBB1914_7:
	s_mov_b32 s13, s30
.LBB1914_8:
	s_load_b128 s[4:7], s[0:1], 0x48
	v_and_b32_e32 v65, 15, v0
	v_lshrrev_b32_e32 v66, 5, v0
	v_bfe_u32 v74, v0, 4, 1
	v_and_b32_e32 v67, 31, v0
	v_and_b32_e32 v75, 1, v0
	v_lshlrev_b32_e32 v2, 3, v65
	s_mul_i32 s31, s15, 13
	v_lshl_or_b32 v1, v66, 1, v74
	s_waitcnt lgkmcnt(0)
	s_mov_b32 s7, exec_lo
	v_lshlrev_b32_e32 v73, 1, v2
	s_delay_alu instid0(VALU_DEP_2)
	v_cmpx_gt_u32_e32 13, v1
	s_cbranch_execz .LBB1914_10
; %bb.9:
	s_load_b64 s[18:19], s[0:1], 0x0
	v_add_lshl_u32 v2, v1, s31, 7
	s_mul_hi_i32 s21, s13, s4
	s_mul_i32 s20, s13, s4
	v_lshlrev_b32_e32 v6, 10, v65
	s_lshl_b64 s[20:21], s[20:21], 1
	v_ashrrev_i32_e32 v3, 31, v2
	v_lshlrev_b32_e32 v1, 6, v1
	v_lshlrev_b32_e32 v7, 10, v75
	v_and_b32_e32 v6, 0x3800, v6
	s_delay_alu instid0(VALU_DEP_4) | instskip(NEXT) | instid1(VALU_DEP_2)
	v_lshlrev_b64 v[2:3], 1, v[2:3]
	v_or3_b32 v1, v6, v7, v1
	s_waitcnt lgkmcnt(0)
	s_add_u32 s4, s18, s20
	s_addc_u32 s13, s19, s21
	s_delay_alu instid0(VALU_DEP_2) | instskip(SKIP_1) | instid1(VALU_DEP_2)
	v_add_co_u32 v2, vcc_lo, s4, v2
	v_add_co_ci_u32_e32 v3, vcc_lo, s13, v3, vcc_lo
	v_add_co_u32 v2, vcc_lo, v2, v73
	s_delay_alu instid0(VALU_DEP_2)
	v_add_co_ci_u32_e32 v3, vcc_lo, 0, v3, vcc_lo
	global_load_b128 v[2:5], v[2:3], off
	s_waitcnt vmcnt(0)
	ds_store_b128 v1, v[2:5]
.LBB1914_10:
	s_or_b32 exec_lo, exec_lo, s7
	v_and_b32_e32 v1, 0xef, v0
	s_add_i32 s4, s17, 31
	s_clause 0x1
	s_load_b32 s7, s[0:1], 0x38
	s_load_b32 s18, s[0:1], 0x1c
	s_ashr_i32 s13, s4, 31
	v_add_nc_u32_e32 v1, s12, v1
	s_lshr_b32 s13, s13, 27
	s_waitcnt lgkmcnt(0)
	s_add_i32 s4, s4, s13
	s_barrier
	v_ashrrev_i32_e32 v2, 31, v1
	v_or_b32_e32 v3, 16, v1
	s_ashr_i32 s4, s4, 5
	v_cmp_gt_i32_e32 vcc_lo, s17, v1
	s_add_i32 s4, s4, -1
	v_lshrrev_b32_e32 v2, 27, v2
	buffer_gl0_inv
	s_mul_i32 s15, s15, s6
	v_add_nc_u32_e32 v4, v1, v2
	s_mul_i32 s20, s30, s7
	s_delay_alu instid0(SALU_CYCLE_1) | instskip(NEXT) | instid1(VALU_DEP_1)
	s_ashr_i32 s21, s20, 31
	v_ashrrev_i32_e32 v4, 5, v4
	v_add_nc_u32_e32 v2, v3, v2
	s_lshl_b64 s[20:21], s[20:21], 2
	s_delay_alu instid0(SALU_CYCLE_1) | instskip(NEXT) | instid1(VALU_DEP_2)
	s_add_u32 s13, s2, s20
	v_cndmask_b32_e32 v1, s4, v4, vcc_lo
	s_delay_alu instid0(VALU_DEP_2)
	v_ashrrev_i32_e32 v2, 5, v2
	v_cmp_gt_i32_e32 vcc_lo, s17, v3
	s_addc_u32 s16, s3, s21
	s_ashr_i32 s19, s15, 31
	s_add_u32 s2, s8, s15
	s_addc_u32 s3, s9, s19
	v_cndmask_b32_e32 v3, s4, v2, vcc_lo
	v_ashrrev_i32_e32 v2, 31, v1
	s_lshl_b32 s6, s14, 3
	s_delay_alu instid0(SALU_CYCLE_1) | instskip(NEXT) | instid1(VALU_DEP_2)
	s_ashr_i32 s7, s6, 31
	v_ashrrev_i32_e32 v4, 31, v3
	s_delay_alu instid0(VALU_DEP_2) | instskip(SKIP_1) | instid1(SALU_CYCLE_1)
	v_lshlrev_b64 v[1:2], 2, v[1:2]
	s_lshl_b64 s[6:7], s[6:7], 2
	s_add_u32 s6, s13, s6
	s_delay_alu instid0(VALU_DEP_2) | instskip(SKIP_1) | instid1(VALU_DEP_2)
	v_lshlrev_b64 v[3:4], 2, v[3:4]
	s_addc_u32 s7, s16, s7
	v_add_co_u32 v1, vcc_lo, s13, v1
	v_add_co_ci_u32_e32 v2, vcc_lo, s16, v2, vcc_lo
	s_delay_alu instid0(VALU_DEP_3) | instskip(NEXT) | instid1(VALU_DEP_4)
	v_add_co_u32 v3, vcc_lo, s13, v3
	v_add_co_ci_u32_e32 v4, vcc_lo, s16, v4, vcc_lo
	s_clause 0x1
	global_load_b32 v5, v[1:2], off
	global_load_b32 v6, v[3:4], off
	s_or_b32 s8, s12, 32
	s_delay_alu instid0(SALU_CYCLE_1) | instskip(SKIP_2) | instid1(SALU_CYCLE_1)
	s_ashr_i32 s9, s8, 5
	s_cmp_lt_i32 s8, s17
	s_cselect_b32 s8, s9, s4
	s_ashr_i32 s9, s8, 31
	s_delay_alu instid0(SALU_CYCLE_1) | instskip(NEXT) | instid1(SALU_CYCLE_1)
	s_lshl_b64 s[8:9], s[8:9], 2
	s_add_u32 s8, s13, s8
	s_addc_u32 s9, s16, s9
	s_or_b32 s20, s12, 64
	s_delay_alu instid0(SALU_CYCLE_1) | instskip(SKIP_2) | instid1(SALU_CYCLE_1)
	s_ashr_i32 s21, s20, 5
	s_cmp_lt_i32 s20, s17
	s_cselect_b32 s20, s21, s4
	s_ashr_i32 s21, s20, 31
	s_delay_alu instid0(SALU_CYCLE_1) | instskip(NEXT) | instid1(SALU_CYCLE_1)
	s_lshl_b64 s[20:21], s[20:21], 2
	s_add_u32 s20, s13, s20
	s_addc_u32 s21, s16, s21
	s_or_b32 s22, s12, 0x60
	s_delay_alu instid0(SALU_CYCLE_1) | instskip(SKIP_2) | instid1(SALU_CYCLE_1)
	s_ashr_i32 s23, s22, 5
	s_cmp_lt_i32 s22, s17
	s_cselect_b32 s22, s23, s4
	s_ashr_i32 s23, s22, 31
	s_delay_alu instid0(SALU_CYCLE_1) | instskip(NEXT) | instid1(SALU_CYCLE_1)
	s_lshl_b64 s[22:23], s[22:23], 2
	s_add_u32 s22, s13, s22
	s_addc_u32 s23, s16, s23
	s_or_b32 s24, s12, 0x80
	s_delay_alu instid0(SALU_CYCLE_1) | instskip(SKIP_2) | instid1(SALU_CYCLE_1)
	s_ashr_i32 s25, s24, 5
	s_cmp_lt_i32 s24, s17
	s_cselect_b32 s24, s25, s4
	s_ashr_i32 s25, s24, 31
	s_delay_alu instid0(SALU_CYCLE_1) | instskip(NEXT) | instid1(SALU_CYCLE_1)
	s_lshl_b64 s[24:25], s[24:25], 2
	s_add_u32 s24, s13, s24
	s_addc_u32 s25, s16, s25
	s_or_b32 s26, s12, 0xa0
	s_delay_alu instid0(SALU_CYCLE_1) | instskip(SKIP_2) | instid1(SALU_CYCLE_1)
	s_ashr_i32 s27, s26, 5
	s_cmp_lt_i32 s26, s17
	s_cselect_b32 s26, s27, s4
	s_ashr_i32 s27, s26, 31
	s_delay_alu instid0(SALU_CYCLE_1) | instskip(NEXT) | instid1(SALU_CYCLE_1)
	s_lshl_b64 s[26:27], s[26:27], 2
	s_add_u32 s26, s13, s26
	s_addc_u32 s27, s16, s27
	s_clause 0x5
	s_load_b32 s28, s[6:7], 0x0
	s_load_b32 s8, s[8:9], 0x0
	;; [unrolled: 1-line block ×6, first 2 shown]
	s_mov_b32 s20, 0
	s_delay_alu instid0(SALU_CYCLE_1)
	s_mov_b32 s21, s20
	s_mov_b32 s22, s20
	s_mov_b32 s23, s20
	s_mov_b32 s24, s20
	s_mov_b32 s25, s20
	s_mov_b32 s26, s20
	s_mov_b32 s27, s20
	s_delay_alu instid0(SALU_CYCLE_1)
	v_dual_mov_b32 v107, s27 :: v_dual_mov_b32 v106, s26
	v_dual_mov_b32 v104, s24 :: v_dual_mov_b32 v103, s23
	;; [unrolled: 1-line block ×3, first 2 shown]
	v_mov_b32_e32 v100, s20
	s_waitcnt vmcnt(1)
	v_mad_i64_i32 v[1:2], null, v5, s5, s[2:3]
	v_lshlrev_b32_e32 v5, 4, v65
	s_waitcnt vmcnt(0)
	v_mad_i64_i32 v[3:4], null, v6, s5, s[2:3]
	s_or_b32 s2, s12, 0xc0
	s_delay_alu instid0(SALU_CYCLE_1) | instskip(NEXT) | instid1(VALU_DEP_3)
	s_ashr_i32 s3, s2, 5
	v_add_co_u32 v33, vcc_lo, v1, v5
	s_delay_alu instid0(VALU_DEP_4) | instskip(NEXT) | instid1(VALU_DEP_3)
	v_add_co_ci_u32_e32 v34, vcc_lo, 0, v2, vcc_lo
	v_add_co_u32 v35, vcc_lo, v3, v5
	s_delay_alu instid0(VALU_DEP_4)
	v_add_co_ci_u32_e32 v36, vcc_lo, 0, v4, vcc_lo
	s_clause 0xf
	global_load_b128 v[1:4], v[33:34], off
	global_load_b128 v[5:8], v[33:34], off offset:512
	global_load_b128 v[9:12], v[35:36], off offset:256
	global_load_b128 v[13:16], v[35:36], off offset:768
	global_load_b128 v[17:20], v[33:34], off offset:1024
	global_load_b128 v[21:24], v[33:34], off offset:1536
	global_load_b128 v[25:28], v[35:36], off offset:1280
	global_load_b128 v[29:32], v[35:36], off offset:1792
	global_load_b128 v[57:60], v[33:34], off offset:2048
	global_load_b128 v[61:64], v[33:34], off offset:2560
	global_load_b128 v[76:79], v[35:36], off offset:2304
	global_load_b128 v[80:83], v[35:36], off offset:2816
	global_load_b128 v[84:87], v[33:34], off offset:3072
	global_load_b128 v[88:91], v[33:34], off offset:3584
	global_load_b128 v[92:95], v[35:36], off offset:3328
	global_load_b128 v[96:99], v[35:36], off offset:3840
	s_cmp_lt_i32 s2, s17
	v_add_nc_u32_e32 v33, -13, v65
	s_cselect_b32 s2, s3, s4
	v_cmp_gt_u32_e32 vcc_lo, 13, v65
	s_ashr_i32 s3, s2, 31
	v_lshlrev_b32_e32 v34, 5, v65
	s_lshl_b64 s[2:3], s[2:3], 2
	s_delay_alu instid0(SALU_CYCLE_1)
	s_add_u32 s2, s13, s2
	s_addc_u32 s3, s16, s3
	s_or_b32 s6, s12, 0xe0
	v_cndmask_b32_e32 v33, v33, v65, vcc_lo
	s_ashr_i32 s7, s6, 5
	s_cmp_lt_i32 s6, s17
	v_mov_b32_e32 v105, s25
	s_cselect_b32 s6, s7, s4
	v_lshlrev_b32_e32 v72, 6, v33
	s_ashr_i32 s7, s6, 31
	v_lshl_or_b32 v41, v66, 9, v34
	s_lshl_b64 s[6:7], s[6:7], 2
	ds_load_b128 v[33:36], v72
	ds_load_b128 v[37:40], v72 offset:1024
	ds_load_b128 v[108:111], v72 offset:2048
	;; [unrolled: 1-line block ×3, first 2 shown]
	s_load_b32 s4, s[2:3], 0x0
	s_add_u32 s2, s13, s6
	s_addc_u32 s3, s16, s7
	ds_load_b128 v[116:119], v72 offset:4096
	ds_load_b128 v[120:123], v72 offset:5120
	s_load_b32 s2, s[2:3], 0x0
	s_add_u32 s6, s10, s15
	s_addc_u32 s7, s11, s19
	v_add_co_u32 v68, s6, s6, v41
	s_delay_alu instid0(VALU_DEP_1) | instskip(SKIP_1) | instid1(VALU_DEP_1)
	v_add_co_ci_u32_e64 v69, null, s7, 0, s6
	s_waitcnt lgkmcnt(0)
	v_mad_i64_i32 v[41:42], null, s28, s5, v[68:69]
	v_mad_i64_i32 v[70:71], null, s9, s5, v[68:69]
	v_mad_i64_i32 v[45:46], null, s8, s5, v[68:69]
	v_mad_i64_i32 v[132:133], null, s29, s5, v[68:69]
	v_mad_i64_i32 v[134:135], null, s33, s5, v[68:69]
	v_mad_i64_i32 v[136:137], null, s34, s5, v[68:69]
	v_mad_i64_i32 v[138:139], null, s4, s5, v[68:69]
	s_clause 0x3
	global_load_b128 v[49:52], v[41:42], off
	global_load_b128 v[53:56], v[41:42], off offset:16
	global_load_b128 v[41:44], v[45:46], off
	global_load_b128 v[45:48], v[45:46], off offset:16
	s_waitcnt vmcnt(18)
	v_wmma_f32_16x16x16_bf16 v[124:131], v[1:8], v[33:40], v[100:107]
	s_waitcnt vmcnt(16)
	v_wmma_f32_16x16x16_bf16 v[100:107], v[9:16], v[33:40], v[100:107]
	s_clause 0x1
	global_load_b128 v[33:36], v[70:71], off
	global_load_b128 v[37:40], v[70:71], off offset:16
	v_mad_i64_i32 v[70:71], null, s2, s5, v[68:69]
	s_waitcnt vmcnt(16)
	v_wmma_f32_16x16x16_bf16 v[124:131], v[17:24], v[108:115], v[124:131]
	s_waitcnt vmcnt(14)
	v_wmma_f32_16x16x16_bf16 v[100:107], v[25:32], v[108:115], v[100:107]
	s_clause 0x7
	global_load_b128 v[25:28], v[132:133], off
	global_load_b128 v[29:32], v[132:133], off offset:16
	global_load_b128 v[1:4], v[134:135], off
	global_load_b128 v[5:8], v[134:135], off offset:16
	;; [unrolled: 2-line block ×4, first 2 shown]
	s_waitcnt vmcnt(20)
	v_wmma_f32_16x16x16_bf16 v[124:131], v[57:64], v[116:123], v[124:131]
	s_clause 0x1
	global_load_b128 v[57:60], v[70:71], off
	global_load_b128 v[61:64], v[70:71], off offset:16
	s_waitcnt vmcnt(20)
	v_wmma_f32_16x16x16_bf16 v[100:107], v[76:83], v[116:123], v[100:107]
	ds_load_b128 v[76:79], v72 offset:6144
	ds_load_b128 v[80:83], v72 offset:7168
	v_and_b32_e32 v68, 0xe0, v0
	v_mbcnt_lo_u32_b32 v69, -1, 0
	s_waitcnt vmcnt(0) lgkmcnt(0)
	s_barrier
	buffer_gl0_inv
	v_add_nc_u32_e32 v68, s12, v68
	v_xor_b32_e32 v70, 16, v69
	s_delay_alu instid0(VALU_DEP_2) | instskip(NEXT) | instid1(VALU_DEP_2)
	v_or_b32_e32 v68, v68, v74
	v_cmp_gt_i32_e32 vcc_lo, 32, v70
	s_delay_alu instid0(VALU_DEP_2)
	v_or_b32_e32 v71, 4, v68
	v_or_b32_e32 v72, 6, v68
	v_cmp_gt_i32_e64 s2, s17, v68
	v_or_b32_e32 v108, 8, v68
	v_wmma_f32_16x16x16_bf16 v[124:131], v[84:91], v[76:83], v[124:131]
	v_cndmask_b32_e32 v69, v69, v70, vcc_lo
	v_or_b32_e32 v70, 2, v68
	v_wmma_f32_16x16x16_bf16 v[100:107], v[92:99], v[76:83], v[100:107]
	v_or_b32_e32 v109, 10, v68
	v_dual_mul_f32 v80, s18, v129 :: v_dual_mul_f32 v81, s18, v128
	v_dual_mul_f32 v92, s18, v125 :: v_dual_mul_f32 v93, s18, v124
	s_delay_alu instid0(VALU_DEP_4)
	v_mul_f32_e32 v96, s18, v105
	v_cmp_gt_i32_e32 vcc_lo, s17, v70
	v_or_b32_e32 v89, 22, v68
	v_dual_mul_f32 v79, s18, v130 :: v_dual_mul_f32 v82, s18, v127
	v_dual_mul_f32 v83, s18, v126 :: v_dual_mul_f32 v94, s18, v107
	v_cndmask_b32_e64 v93, 0xff7fffff, v93, s2
	v_cndmask_b32_e32 v92, 0xff7fffff, v92, vcc_lo
	v_cmp_gt_i32_e64 s3, s17, v71
	v_cmp_gt_i32_e64 s4, s17, v72
	v_or_b32_e32 v84, 12, v68
	v_or_b32_e32 v85, 14, v68
	v_cmp_gt_i32_e64 s5, s17, v108
	v_cndmask_b32_e64 v71, 0xff7fffff, v83, s3
	v_cndmask_b32_e64 v72, 0xff7fffff, v82, s4
	v_cmp_gt_i32_e64 s6, s17, v109
	v_cmp_gt_i32_e64 s12, s17, v89
	v_lshlrev_b32_e32 v89, 2, v69
	v_max3_f32 v82, v93, 0xff7fffff, v92
	v_or_b32_e32 v86, 16, v68
	v_or_b32_e32 v87, 18, v68
	v_mul_f32_e32 v78, s18, v131
	v_cndmask_b32_e64 v81, 0xff7fffff, v81, s5
	v_cndmask_b32_e64 v80, 0xff7fffff, v80, s6
	v_max3_f32 v71, v82, v71, v72
	v_cmp_gt_i32_e64 s7, s17, v84
	v_cmp_gt_i32_e64 s8, s17, v85
	v_or_b32_e32 v88, 20, v68
	v_or_b32_e32 v90, 24, v68
	;; [unrolled: 1-line block ×5, first 2 shown]
	v_dual_mul_f32 v97, s18, v104 :: v_dual_mul_f32 v70, s18, v101
	v_dual_mul_f32 v99, s18, v102 :: v_dual_mul_f32 v68, s18, v100
	v_cndmask_b32_e64 v72, 0xff7fffff, v79, s7
	v_cndmask_b32_e64 v78, 0xff7fffff, v78, s8
	v_max3_f32 v71, v71, v81, v80
	v_cmp_gt_i32_e64 s9, s17, v86
	v_cmp_gt_i32_e64 s10, s17, v87
	v_dual_mul_f32 v95, s18, v106 :: v_dual_mul_f32 v98, s18, v103
	s_delay_alu instid0(VALU_DEP_4) | instskip(NEXT) | instid1(VALU_DEP_4)
	v_max3_f32 v71, v71, v72, v78
	v_cndmask_b32_e64 v68, 0xff7fffff, v68, s9
	s_delay_alu instid0(VALU_DEP_4)
	v_cndmask_b32_e64 v70, 0xff7fffff, v70, s10
	v_cmp_gt_i32_e64 s11, s17, v88
	v_cndmask_b32_e64 v78, 0xff7fffff, v98, s12
	v_cmp_gt_i32_e64 s13, s17, v90
	v_cmp_gt_i32_e64 s15, s17, v91
	v_max3_f32 v68, v71, v68, v70
	v_cndmask_b32_e64 v72, 0xff7fffff, v99, s11
	v_cmp_gt_i32_e64 s16, s17, v76
	v_cndmask_b32_e64 v70, 0xff7fffff, v97, s13
	v_cndmask_b32_e64 v71, 0xff7fffff, v96, s15
	v_cmp_gt_i32_e64 s17, s17, v77
	v_max3_f32 v68, v68, v72, v78
	v_cndmask_b32_e64 v72, 0xff7fffff, v95, s16
	s_delay_alu instid0(VALU_DEP_3) | instskip(NEXT) | instid1(VALU_DEP_3)
	v_cndmask_b32_e64 v76, 0xff7fffff, v94, s17
	v_max3_f32 v68, v68, v70, v71
	s_delay_alu instid0(VALU_DEP_1) | instskip(SKIP_3) | instid1(VALU_DEP_1)
	v_max3_f32 v68, v68, v72, v76
	ds_bpermute_b32 v69, v89, v68
	s_waitcnt lgkmcnt(0)
	v_max_f32_e32 v69, v69, v69
	v_max_f32_e32 v68, v68, v69
	s_delay_alu instid0(VALU_DEP_1) | instskip(NEXT) | instid1(VALU_DEP_1)
	v_fma_f32 v71, s18, v126, -v68
	v_mul_f32_e32 v71, 0x3fb8aa3b, v71
	v_fma_f32 v70, s18, v125, -v68
	v_fma_f32 v69, s18, v124, -v68
	;; [unrolled: 1-line block ×5, first 2 shown]
	s_delay_alu instid0(VALU_DEP_4) | instskip(SKIP_1) | instid1(VALU_DEP_3)
	v_dual_mul_f32 v70, 0x3fb8aa3b, v70 :: v_dual_mul_f32 v69, 0x3fb8aa3b, v69
	v_exp_f32_e32 v71, v71
	v_mul_f32_e32 v72, 0x3fb8aa3b, v72
	v_fma_f32 v81, s18, v105, -v68
	s_delay_alu instid0(VALU_DEP_3)
	v_exp_f32_e32 v70, v70
	v_mul_f32_e32 v77, 0x3fb8aa3b, v76
	v_exp_f32_e32 v69, v69
	v_exp_f32_e32 v72, v72
	v_mul_f32_e32 v81, 0x3fb8aa3b, v81
	v_cndmask_b32_e64 v83, 0, v71, s3
	v_fma_f32 v71, s18, v131, -v68
	s_delay_alu instid0(VALU_DEP_3) | instskip(SKIP_4) | instid1(TRANS32_DEP_3)
	v_exp_f32_e32 v81, v81
	v_cndmask_b32_e32 v76, 0, v70, vcc_lo
	v_exp_f32_e32 v77, v77
	v_cndmask_b32_e64 v80, 0, v69, s2
	v_fma_f32 v69, s18, v129, -v68
	v_cndmask_b32_e64 v85, 0, v72, s4
	v_mul_f32_e32 v71, 0x3fb8aa3b, v71
	v_fma_f32 v72, s18, v100, -v68
	s_delay_alu instid0(VALU_DEP_4) | instskip(SKIP_1) | instid1(VALU_DEP_4)
	v_dual_add_f32 v70, 0, v80 :: v_dual_mul_f32 v69, 0x3fb8aa3b, v69
	v_cmp_gt_u32_e64 s2, 16, v67
	v_exp_f32_e32 v71, v71
	s_delay_alu instid0(TRANS32_DEP_2) | instskip(SKIP_4) | instid1(VALU_DEP_3)
	v_cndmask_b32_e64 v86, 0, v77, s5
	v_fma_f32 v77, s18, v101, -v68
	v_mul_f32_e32 v78, 0x3fb8aa3b, v78
	v_add_f32_e32 v70, v70, v76
	v_exp_f32_e32 v69, v69
	v_mul_f32_e32 v77, 0x3fb8aa3b, v77
	s_delay_alu instid0(VALU_DEP_3) | instskip(NEXT) | instid1(TRANS32_DEP_3)
	v_exp_f32_e32 v78, v78
	v_cndmask_b32_e64 v88, 0, v71, s8
	v_fma_f32 v71, s18, v104, -v68
	s_delay_alu instid0(VALU_DEP_3) | instskip(NEXT) | instid1(TRANS32_DEP_3)
	v_exp_f32_e32 v77, v77
	v_cndmask_b32_e64 v87, 0, v69, s6
	s_delay_alu instid0(VALU_DEP_2)
	v_mul_f32_e32 v71, 0x3fb8aa3b, v71
	s_waitcnt_depctr 0xfff
	v_cndmask_b32_e64 v84, 0, v78, s7
	v_add_f32_e32 v70, v70, v83
	v_fma_f32 v78, s18, v103, -v68
	v_exp_f32_e32 v82, v71
	s_delay_alu instid0(VALU_DEP_2) | instskip(SKIP_1) | instid1(VALU_DEP_3)
	v_add_f32_e32 v70, v70, v85
	v_mul_f32_e32 v72, 0x3fb8aa3b, v72
	v_mul_f32_e32 v78, 0x3fb8aa3b, v78
	s_delay_alu instid0(VALU_DEP_3) | instskip(SKIP_1) | instid1(VALU_DEP_4)
	v_add_f32_e32 v69, v70, v86
	v_fma_f32 v70, s18, v102, -v68
	v_exp_f32_e32 v72, v72
	s_delay_alu instid0(VALU_DEP_3) | instskip(NEXT) | instid1(VALU_DEP_1)
	v_exp_f32_e32 v78, v78
	v_dual_add_f32 v69, v69, v87 :: v_dual_mul_f32 v70, 0x3fb8aa3b, v70
	s_delay_alu instid0(VALU_DEP_1) | instskip(NEXT) | instid1(VALU_DEP_2)
	v_add_f32_e32 v69, v69, v84
	v_exp_f32_e32 v79, v70
	s_delay_alu instid0(TRANS32_DEP_3) | instskip(NEXT) | instid1(VALU_DEP_2)
	v_cndmask_b32_e64 v70, 0, v72, s9
	v_add_f32_e32 v72, v69, v88
	v_cndmask_b32_e64 v69, 0, v77, s10
	v_fma_f32 v77, s18, v106, -v68
	s_waitcnt_depctr 0xfff
	v_cndmask_b32_e64 v71, 0, v79, s11
	v_dual_mul_f32 v77, 0x3fb8aa3b, v77 :: v_dual_add_f32 v72, v72, v70
	s_delay_alu instid0(VALU_DEP_1) | instskip(NEXT) | instid1(VALU_DEP_1)
	v_exp_f32_e32 v90, v77
	v_add_f32_e32 v79, v72, v69
	v_cndmask_b32_e64 v72, 0, v78, s12
	v_cndmask_b32_e64 v77, 0, v82, s13
	s_delay_alu instid0(VALU_DEP_3) | instskip(SKIP_1) | instid1(VALU_DEP_1)
	v_add_f32_e32 v78, v79, v71
	v_fma_f32 v79, s18, v107, -v68
	v_dual_add_f32 v82, v78, v72 :: v_dual_mul_f32 v79, 0x3fb8aa3b, v79
	v_cndmask_b32_e64 v78, 0, v81, s15
	s_delay_alu instid0(VALU_DEP_2) | instskip(NEXT) | instid1(VALU_DEP_3)
	v_add_f32_e32 v81, v82, v77
	v_exp_f32_e32 v82, v79
	v_cndmask_b32_e64 v79, 0, v90, s16
	s_delay_alu instid0(VALU_DEP_2) | instskip(NEXT) | instid1(VALU_DEP_1)
	v_add_f32_e32 v81, v81, v78
	v_add_f32_e32 v90, v81, v79
	s_waitcnt_depctr 0xfff
	v_cndmask_b32_e64 v81, 0, v82, s17
	s_delay_alu instid0(VALU_DEP_1)
	v_add_f32_e32 v82, v90, v81
	ds_bpermute_b32 v89, v89, v82
	s_and_saveexec_b32 s3, s2
	s_cbranch_execz .LBB1914_12
; %bb.11:
	v_mul_u32_u24_e32 v67, 0x44, v66
	s_delay_alu instid0(VALU_DEP_1) | instskip(SKIP_1) | instid1(VALU_DEP_1)
	v_lshl_add_u32 v67, v65, 2, v67
	s_waitcnt lgkmcnt(0)
	v_dual_add_f32 v82, v82, v89 :: v_dual_add_nc_u32 v67, 0x4000, v67
	ds_store_2addr_b32 v67, v68, v82 offset1:136
.LBB1914_12:
	s_or_b32 exec_lo, exec_lo, s3
	v_lshlrev_b32_e32 v67, 2, v65
	s_waitcnt lgkmcnt(0)
	s_barrier
	buffer_gl0_inv
	v_cmp_eq_u32_e32 vcc_lo, 1, v66
	v_add_nc_u32_e32 v82, 0x4000, v67
	v_cmp_eq_u32_e64 s3, 2, v66
	v_cmp_eq_u32_e64 s5, 7, v66
	ds_load_2addr_b32 v[89:90], v82 offset1:17
	ds_load_2addr_b32 v[91:92], v82 offset0:34 offset1:51
	ds_load_2addr_b32 v[93:94], v82 offset0:68 offset1:85
	;; [unrolled: 1-line block ×4, first 2 shown]
	s_waitcnt lgkmcnt(4)
	v_max3_f32 v67, v89, 0xff7fffff, v90
	s_waitcnt lgkmcnt(3)
	s_delay_alu instid0(VALU_DEP_1) | instskip(SKIP_1) | instid1(VALU_DEP_1)
	v_max3_f32 v67, v67, v91, v92
	s_waitcnt lgkmcnt(2)
	v_max3_f32 v67, v67, v93, v94
	s_waitcnt lgkmcnt(1)
	s_delay_alu instid0(VALU_DEP_1) | instskip(NEXT) | instid1(VALU_DEP_1)
	v_max3_f32 v67, v67, v95, v96
	v_sub_f32_e32 v93, v93, v67
	s_delay_alu instid0(VALU_DEP_1) | instskip(NEXT) | instid1(VALU_DEP_1)
	v_dual_sub_f32 v68, v89, v67 :: v_dual_mul_f32 v103, 0x3fb8aa3b, v93
	v_mul_f32_e32 v68, 0x3fb8aa3b, v68
	s_delay_alu instid0(VALU_DEP_1)
	v_exp_f32_e32 v100, v68
	v_sub_f32_e32 v68, v92, v67
	v_sub_f32_e32 v99, v90, v67
	ds_load_2addr_b32 v[89:90], v82 offset0:170 offset1:187
	v_dual_mul_f32 v102, 0x3fb8aa3b, v68 :: v_dual_mul_f32 v99, 0x3fb8aa3b, v99
	s_waitcnt lgkmcnt(1)
	v_fma_f32 v68, v100, v97, 0
	s_delay_alu instid0(VALU_DEP_2) | instskip(NEXT) | instid1(VALU_DEP_2)
	v_exp_f32_e32 v102, v102
	v_exp_f32_e32 v99, v99
	s_waitcnt_depctr 0xfff
	v_fmac_f32_e32 v68, v99, v98
	v_sub_f32_e32 v91, v91, v67
	s_delay_alu instid0(VALU_DEP_1)
	v_mul_f32_e32 v101, 0x3fb8aa3b, v91
	ds_load_2addr_b32 v[91:92], v82 offset0:204 offset1:221
	v_sub_f32_e32 v97, v94, v67
	ds_load_2addr_b32 v[93:94], v82 offset0:238 offset1:255
	s_waitcnt lgkmcnt(0)
	v_exp_f32_e32 v101, v101
	s_barrier
	buffer_gl0_inv
	v_dual_fmac_f32 v68, v101, v89 :: v_dual_sub_f32 v89, v96, v67
	v_dual_sub_f32 v82, v95, v67 :: v_dual_mul_f32 v95, 0x3fb8aa3b, v97
	v_exp_f32_e32 v97, v103
	s_delay_alu instid0(VALU_DEP_2) | instskip(NEXT) | instid1(VALU_DEP_2)
	v_dual_fmac_f32 v68, v102, v90 :: v_dual_mul_f32 v89, 0x3fb8aa3b, v89
	v_mul_f32_e32 v82, 0x3fb8aa3b, v82
	s_delay_alu instid0(VALU_DEP_3) | instskip(NEXT) | instid1(VALU_DEP_2)
	v_exp_f32_e32 v95, v95
	v_exp_f32_e32 v89, v89
	s_delay_alu instid0(VALU_DEP_1)
	v_exp_f32_e32 v82, v82
	v_fmac_f32_e32 v68, v97, v91
	s_delay_alu instid0(TRANS32_DEP_3) | instid1(VALU_DEP_1)
	v_fmac_f32_e32 v68, v95, v92
	s_waitcnt_depctr 0xfff
	v_fmac_f32_e32 v68, v82, v93
	s_delay_alu instid0(VALU_DEP_1) | instskip(NEXT) | instid1(VALU_DEP_1)
	v_fmac_f32_e32 v68, v89, v94
	v_add_f32_e32 v90, 0x358637bd, v68
	s_delay_alu instid0(VALU_DEP_1) | instskip(NEXT) | instid1(VALU_DEP_1)
	v_div_scale_f32 v91, null, v90, v90, 1.0
	v_rcp_f32_e32 v92, v91
	s_waitcnt_depctr 0xfff
	v_fma_f32 v93, -v91, v92, 1.0
	s_delay_alu instid0(VALU_DEP_1) | instskip(SKIP_1) | instid1(VALU_DEP_2)
	v_dual_fmac_f32 v92, v93, v92 :: v_dual_cndmask_b32 v93, v100, v99
	v_cmp_eq_u32_e32 vcc_lo, 3, v66
	v_cndmask_b32_e64 v93, v93, v101, s3
	v_cmp_eq_u32_e64 s3, 4, v66
	s_delay_alu instid0(VALU_DEP_2) | instskip(SKIP_1) | instid1(VALU_DEP_2)
	v_cndmask_b32_e32 v93, v93, v102, vcc_lo
	v_cmp_eq_u32_e32 vcc_lo, 5, v66
	v_cndmask_b32_e64 v93, v93, v97, s3
	v_cmp_eq_u32_e64 s3, 6, v66
	s_delay_alu instid0(VALU_DEP_2) | instskip(SKIP_1) | instid1(VALU_DEP_1)
	v_cndmask_b32_e32 v93, v93, v95, vcc_lo
	v_div_scale_f32 v94, s4, 1.0, v90, 1.0
	s_mov_b32 vcc_lo, s4
	s_delay_alu instid0(VALU_DEP_2) | instskip(NEXT) | instid1(VALU_DEP_2)
	v_cndmask_b32_e64 v82, v93, v82, s3
	v_mul_f32_e32 v96, v94, v92
	s_mov_b32 s3, exec_lo
	s_delay_alu instid0(VALU_DEP_2) | instskip(NEXT) | instid1(VALU_DEP_2)
	v_cndmask_b32_e64 v82, v82, v89, s5
	v_fma_f32 v98, -v91, v96, v94
	s_delay_alu instid0(VALU_DEP_1) | instskip(NEXT) | instid1(VALU_DEP_1)
	v_fmac_f32_e32 v96, v98, v92
	v_fma_f32 v91, -v91, v96, v94
	s_delay_alu instid0(VALU_DEP_1) | instskip(NEXT) | instid1(VALU_DEP_1)
	v_div_fmas_f32 v91, v91, v92, v96
	v_div_fixup_f32 v90, v91, v90, 1.0
	s_delay_alu instid0(VALU_DEP_1) | instskip(NEXT) | instid1(VALU_DEP_1)
	v_mul_f32_e32 v82, v82, v90
	v_mul_f32_e32 v87, v82, v87
	;; [unrolled: 1-line block ×7, first 2 shown]
	v_dual_mul_f32 v86, v82, v83 :: v_dual_and_b32 v91, 0x7f800000, v90
	v_mul_f32_e32 v85, v82, v76
                                        ; implicit-def: $vgpr76
	s_delay_alu instid0(VALU_DEP_2)
	v_cmpx_ne_u32_e32 0x7f800000, v91
	s_xor_b32 s3, exec_lo, s3
; %bb.13:
	v_bfe_u32 v76, v90, 16, 1
	s_delay_alu instid0(VALU_DEP_1)
	v_add3_u32 v76, v90, v76, 0x7fff
                                        ; implicit-def: $vgpr90
; %bb.14:
	s_and_not1_saveexec_b32 s3, s3
; %bb.15:
	v_and_b32_e32 v76, 0xffff, v90
	v_or_b32_e32 v83, 0x10000, v90
	s_delay_alu instid0(VALU_DEP_2) | instskip(NEXT) | instid1(VALU_DEP_2)
	v_cmp_eq_u32_e32 vcc_lo, 0, v76
	v_cndmask_b32_e32 v76, v83, v90, vcc_lo
; %bb.16:
	s_or_b32 exec_lo, exec_lo, s3
	v_and_b32_e32 v83, 0x7f800000, v85
	s_delay_alu instid0(VALU_DEP_1) | instskip(SKIP_1) | instid1(SALU_CYCLE_1)
	v_cmp_ne_u32_e32 vcc_lo, 0x7f800000, v83
                                        ; implicit-def: $vgpr83
	s_and_saveexec_b32 s3, vcc_lo
	s_xor_b32 s3, exec_lo, s3
; %bb.17:
	v_bfe_u32 v83, v85, 16, 1
	s_delay_alu instid0(VALU_DEP_1)
	v_add3_u32 v83, v85, v83, 0x7fff
                                        ; implicit-def: $vgpr85
; %bb.18:
	s_and_not1_saveexec_b32 s3, s3
; %bb.19:
	v_and_b32_e32 v83, 0xffff, v85
	v_or_b32_e32 v90, 0x10000, v85
	s_delay_alu instid0(VALU_DEP_2) | instskip(NEXT) | instid1(VALU_DEP_2)
	v_cmp_eq_u32_e32 vcc_lo, 0, v83
	v_cndmask_b32_e32 v83, v90, v85, vcc_lo
; %bb.20:
	s_or_b32 exec_lo, exec_lo, s3
	v_and_b32_e32 v85, 0x7f800000, v86
	s_delay_alu instid0(VALU_DEP_1) | instskip(SKIP_1) | instid1(SALU_CYCLE_1)
	v_cmp_ne_u32_e32 vcc_lo, 0x7f800000, v85
                                        ; implicit-def: $vgpr85
	s_and_saveexec_b32 s3, vcc_lo
	s_xor_b32 s3, exec_lo, s3
; %bb.21:
	v_bfe_u32 v85, v86, 16, 1
	s_delay_alu instid0(VALU_DEP_1)
	v_add3_u32 v85, v86, v85, 0x7fff
                                        ; implicit-def: $vgpr86
; %bb.22:
	s_and_not1_saveexec_b32 s3, s3
; %bb.23:
	v_and_b32_e32 v85, 0xffff, v86
	v_or_b32_e32 v90, 0x10000, v86
	s_delay_alu instid0(VALU_DEP_2) | instskip(NEXT) | instid1(VALU_DEP_2)
	v_cmp_eq_u32_e32 vcc_lo, 0, v85
	v_cndmask_b32_e32 v85, v90, v86, vcc_lo
; %bb.24:
	s_or_b32 exec_lo, exec_lo, s3
	v_and_b32_e32 v86, 0x7f800000, v89
	s_delay_alu instid0(VALU_DEP_1) | instskip(SKIP_1) | instid1(SALU_CYCLE_1)
	v_cmp_ne_u32_e32 vcc_lo, 0x7f800000, v86
                                        ; implicit-def: $vgpr86
	s_and_saveexec_b32 s3, vcc_lo
	s_xor_b32 s3, exec_lo, s3
; %bb.25:
	v_bfe_u32 v86, v89, 16, 1
	s_delay_alu instid0(VALU_DEP_1)
	v_add3_u32 v86, v89, v86, 0x7fff
                                        ; implicit-def: $vgpr89
; %bb.26:
	s_and_not1_saveexec_b32 s3, s3
; %bb.27:
	v_and_b32_e32 v86, 0xffff, v89
	v_or_b32_e32 v90, 0x10000, v89
	s_delay_alu instid0(VALU_DEP_2) | instskip(NEXT) | instid1(VALU_DEP_2)
	v_cmp_eq_u32_e32 vcc_lo, 0, v86
	v_cndmask_b32_e32 v86, v90, v89, vcc_lo
; %bb.28:
	s_or_b32 exec_lo, exec_lo, s3
	v_and_b32_e32 v89, 0x7f800000, v88
	s_delay_alu instid0(VALU_DEP_1) | instskip(SKIP_1) | instid1(SALU_CYCLE_1)
	v_cmp_ne_u32_e32 vcc_lo, 0x7f800000, v89
                                        ; implicit-def: $vgpr89
	s_and_saveexec_b32 s3, vcc_lo
	s_xor_b32 s3, exec_lo, s3
; %bb.29:
	v_bfe_u32 v89, v88, 16, 1
	s_delay_alu instid0(VALU_DEP_1)
	v_add3_u32 v89, v88, v89, 0x7fff
                                        ; implicit-def: $vgpr88
; %bb.30:
	s_and_not1_saveexec_b32 s3, s3
; %bb.31:
	v_and_b32_e32 v89, 0xffff, v88
	v_or_b32_e32 v90, 0x10000, v88
	s_delay_alu instid0(VALU_DEP_2) | instskip(NEXT) | instid1(VALU_DEP_2)
	v_cmp_eq_u32_e32 vcc_lo, 0, v89
	v_cndmask_b32_e32 v89, v90, v88, vcc_lo
; %bb.32:
	s_or_b32 exec_lo, exec_lo, s3
	v_and_b32_e32 v88, 0x7f800000, v87
	s_delay_alu instid0(VALU_DEP_1) | instskip(SKIP_1) | instid1(SALU_CYCLE_1)
	v_cmp_ne_u32_e32 vcc_lo, 0x7f800000, v88
                                        ; implicit-def: $vgpr88
	s_and_saveexec_b32 s3, vcc_lo
	s_xor_b32 s3, exec_lo, s3
; %bb.33:
	v_bfe_u32 v88, v87, 16, 1
	s_delay_alu instid0(VALU_DEP_1)
	v_add3_u32 v88, v87, v88, 0x7fff
                                        ; implicit-def: $vgpr87
; %bb.34:
	s_and_not1_saveexec_b32 s3, s3
; %bb.35:
	v_and_b32_e32 v88, 0xffff, v87
	v_or_b32_e32 v90, 0x10000, v87
	s_delay_alu instid0(VALU_DEP_2) | instskip(NEXT) | instid1(VALU_DEP_2)
	v_cmp_eq_u32_e32 vcc_lo, 0, v88
	v_cndmask_b32_e32 v88, v90, v87, vcc_lo
; %bb.36:
	s_or_b32 exec_lo, exec_lo, s3
	v_and_b32_e32 v87, 0x7f800000, v84
	s_delay_alu instid0(VALU_DEP_1) | instskip(SKIP_1) | instid1(SALU_CYCLE_1)
	v_cmp_ne_u32_e32 vcc_lo, 0x7f800000, v87
                                        ; implicit-def: $vgpr87
	s_and_saveexec_b32 s3, vcc_lo
	s_xor_b32 s3, exec_lo, s3
; %bb.37:
	v_bfe_u32 v87, v84, 16, 1
	s_delay_alu instid0(VALU_DEP_1)
	v_add3_u32 v87, v84, v87, 0x7fff
                                        ; implicit-def: $vgpr84
; %bb.38:
	s_and_not1_saveexec_b32 s3, s3
; %bb.39:
	v_and_b32_e32 v87, 0xffff, v84
	v_or_b32_e32 v90, 0x10000, v84
	s_delay_alu instid0(VALU_DEP_2) | instskip(NEXT) | instid1(VALU_DEP_2)
	v_cmp_eq_u32_e32 vcc_lo, 0, v87
	v_cndmask_b32_e32 v87, v90, v84, vcc_lo
; %bb.40:
	s_or_b32 exec_lo, exec_lo, s3
	v_and_b32_e32 v84, 0x7f800000, v80
	s_delay_alu instid0(VALU_DEP_1) | instskip(SKIP_1) | instid1(SALU_CYCLE_1)
	v_cmp_ne_u32_e32 vcc_lo, 0x7f800000, v84
                                        ; implicit-def: $vgpr84
	s_and_saveexec_b32 s3, vcc_lo
	s_xor_b32 s3, exec_lo, s3
; %bb.41:
	v_bfe_u32 v84, v80, 16, 1
	s_delay_alu instid0(VALU_DEP_1)
	v_add3_u32 v84, v80, v84, 0x7fff
                                        ; implicit-def: $vgpr80
; %bb.42:
	s_and_not1_saveexec_b32 s3, s3
; %bb.43:
	v_and_b32_e32 v84, 0xffff, v80
	v_or_b32_e32 v90, 0x10000, v80
	s_delay_alu instid0(VALU_DEP_2) | instskip(NEXT) | instid1(VALU_DEP_2)
	v_cmp_eq_u32_e32 vcc_lo, 0, v84
	v_cndmask_b32_e32 v84, v90, v80, vcc_lo
; %bb.44:
	s_or_b32 exec_lo, exec_lo, s3
	s_load_b64 s[34:35], s[0:1], 0x94
	v_lshlrev_b32_e32 v91, 4, v74
	s_delay_alu instid0(VALU_DEP_2)
	v_perm_b32 v90, v84, v87, 0x7060302
	v_dual_mul_f32 v79, v82, v79 :: v_dual_lshlrev_b32 v80, 6, v65
	v_dual_mul_f32 v77, v82, v77 :: v_dual_lshlrev_b32 v92, 11, v66
	v_mul_f32_e32 v84, v82, v70
	v_perm_b32 v89, v88, v89, 0x7060302
	v_perm_b32 v88, v86, v85, 0x7060302
	;; [unrolled: 1-line block ×3, first 2 shown]
	v_mul_f32_e32 v70, v82, v81
	v_or3_b32 v76, v91, v92, v80
	v_dual_mul_f32 v78, v82, v78 :: v_dual_and_b32 v85, 0x7f800000, v84
	v_mul_f32_e32 v83, v82, v72
	v_mul_f32_e32 v81, v82, v71
	;; [unrolled: 1-line block ×3, first 2 shown]
	s_mov_b32 s3, exec_lo
	ds_store_b128 v76, v[87:90]
                                        ; implicit-def: $vgpr69
	v_cmpx_ne_u32_e32 0x7f800000, v85
	s_xor_b32 s3, exec_lo, s3
; %bb.45:
	v_bfe_u32 v69, v84, 16, 1
	s_delay_alu instid0(VALU_DEP_1)
	v_add3_u32 v69, v84, v69, 0x7fff
                                        ; implicit-def: $vgpr84
; %bb.46:
	s_and_not1_saveexec_b32 s3, s3
; %bb.47:
	v_and_b32_e32 v69, 0xffff, v84
	v_or_b32_e32 v71, 0x10000, v84
	s_delay_alu instid0(VALU_DEP_2) | instskip(NEXT) | instid1(VALU_DEP_2)
	v_cmp_eq_u32_e32 vcc_lo, 0, v69
	v_cndmask_b32_e32 v69, v71, v84, vcc_lo
; %bb.48:
	s_or_b32 exec_lo, exec_lo, s3
	v_and_b32_e32 v71, 0x7f800000, v72
	s_delay_alu instid0(VALU_DEP_1) | instskip(SKIP_1) | instid1(SALU_CYCLE_1)
	v_cmp_ne_u32_e32 vcc_lo, 0x7f800000, v71
                                        ; implicit-def: $vgpr71
	s_and_saveexec_b32 s3, vcc_lo
	s_xor_b32 s3, exec_lo, s3
; %bb.49:
	v_bfe_u32 v71, v72, 16, 1
	s_delay_alu instid0(VALU_DEP_1)
	v_add3_u32 v71, v72, v71, 0x7fff
                                        ; implicit-def: $vgpr72
; %bb.50:
	s_and_not1_saveexec_b32 s3, s3
; %bb.51:
	v_and_b32_e32 v71, 0xffff, v72
	v_or_b32_e32 v82, 0x10000, v72
	s_delay_alu instid0(VALU_DEP_2) | instskip(NEXT) | instid1(VALU_DEP_2)
	v_cmp_eq_u32_e32 vcc_lo, 0, v71
	v_cndmask_b32_e32 v71, v82, v72, vcc_lo
; %bb.52:
	s_or_b32 exec_lo, exec_lo, s3
	v_and_b32_e32 v72, 0x7f800000, v81
	s_delay_alu instid0(VALU_DEP_1) | instskip(SKIP_1) | instid1(SALU_CYCLE_1)
	v_cmp_ne_u32_e32 vcc_lo, 0x7f800000, v72
                                        ; implicit-def: $vgpr72
	s_and_saveexec_b32 s3, vcc_lo
	s_xor_b32 s3, exec_lo, s3
; %bb.53:
	v_bfe_u32 v72, v81, 16, 1
	s_delay_alu instid0(VALU_DEP_1)
	v_add3_u32 v72, v81, v72, 0x7fff
                                        ; implicit-def: $vgpr81
; %bb.54:
	s_and_not1_saveexec_b32 s3, s3
; %bb.55:
	v_and_b32_e32 v72, 0xffff, v81
	v_or_b32_e32 v82, 0x10000, v81
	s_delay_alu instid0(VALU_DEP_2) | instskip(NEXT) | instid1(VALU_DEP_2)
	v_cmp_eq_u32_e32 vcc_lo, 0, v72
	v_cndmask_b32_e32 v72, v82, v81, vcc_lo
; %bb.56:
	s_or_b32 exec_lo, exec_lo, s3
	v_and_b32_e32 v81, 0x7f800000, v83
	s_delay_alu instid0(VALU_DEP_1) | instskip(SKIP_1) | instid1(SALU_CYCLE_1)
	v_cmp_ne_u32_e32 vcc_lo, 0x7f800000, v81
                                        ; implicit-def: $vgpr81
	s_and_saveexec_b32 s3, vcc_lo
	s_xor_b32 s3, exec_lo, s3
; %bb.57:
	v_bfe_u32 v81, v83, 16, 1
	s_delay_alu instid0(VALU_DEP_1)
	v_add3_u32 v81, v83, v81, 0x7fff
                                        ; implicit-def: $vgpr83
; %bb.58:
	s_and_not1_saveexec_b32 s3, s3
; %bb.59:
	v_and_b32_e32 v81, 0xffff, v83
	v_or_b32_e32 v82, 0x10000, v83
	s_delay_alu instid0(VALU_DEP_2) | instskip(NEXT) | instid1(VALU_DEP_2)
	v_cmp_eq_u32_e32 vcc_lo, 0, v81
	v_cndmask_b32_e32 v81, v82, v83, vcc_lo
; %bb.60:
	s_or_b32 exec_lo, exec_lo, s3
	v_and_b32_e32 v82, 0x7f800000, v77
	s_delay_alu instid0(VALU_DEP_1) | instskip(SKIP_1) | instid1(SALU_CYCLE_1)
	v_cmp_ne_u32_e32 vcc_lo, 0x7f800000, v82
                                        ; implicit-def: $vgpr82
	s_and_saveexec_b32 s3, vcc_lo
	s_xor_b32 s3, exec_lo, s3
; %bb.61:
	v_bfe_u32 v82, v77, 16, 1
	s_delay_alu instid0(VALU_DEP_1)
	v_add3_u32 v82, v77, v82, 0x7fff
                                        ; implicit-def: $vgpr77
; %bb.62:
	s_and_not1_saveexec_b32 s3, s3
; %bb.63:
	v_and_b32_e32 v82, 0xffff, v77
	v_or_b32_e32 v83, 0x10000, v77
	s_delay_alu instid0(VALU_DEP_2) | instskip(NEXT) | instid1(VALU_DEP_2)
	v_cmp_eq_u32_e32 vcc_lo, 0, v82
	v_cndmask_b32_e32 v82, v83, v77, vcc_lo
; %bb.64:
	s_or_b32 exec_lo, exec_lo, s3
	v_and_b32_e32 v77, 0x7f800000, v78
	s_delay_alu instid0(VALU_DEP_1) | instskip(SKIP_1) | instid1(SALU_CYCLE_1)
	v_cmp_ne_u32_e32 vcc_lo, 0x7f800000, v77
                                        ; implicit-def: $vgpr77
	s_and_saveexec_b32 s3, vcc_lo
	s_xor_b32 s3, exec_lo, s3
; %bb.65:
	v_bfe_u32 v77, v78, 16, 1
	s_delay_alu instid0(VALU_DEP_1)
	v_add3_u32 v77, v78, v77, 0x7fff
                                        ; implicit-def: $vgpr78
; %bb.66:
	s_and_not1_saveexec_b32 s3, s3
; %bb.67:
	v_and_b32_e32 v77, 0xffff, v78
	v_or_b32_e32 v83, 0x10000, v78
	s_delay_alu instid0(VALU_DEP_2) | instskip(NEXT) | instid1(VALU_DEP_2)
	v_cmp_eq_u32_e32 vcc_lo, 0, v77
	v_cndmask_b32_e32 v77, v83, v78, vcc_lo
; %bb.68:
	s_or_b32 exec_lo, exec_lo, s3
	v_and_b32_e32 v78, 0x7f800000, v79
	s_delay_alu instid0(VALU_DEP_1) | instskip(SKIP_1) | instid1(SALU_CYCLE_1)
	v_cmp_ne_u32_e32 vcc_lo, 0x7f800000, v78
                                        ; implicit-def: $vgpr78
	s_and_saveexec_b32 s3, vcc_lo
	s_xor_b32 s3, exec_lo, s3
; %bb.69:
	v_bfe_u32 v78, v79, 16, 1
	s_delay_alu instid0(VALU_DEP_1)
	v_add3_u32 v78, v79, v78, 0x7fff
                                        ; implicit-def: $vgpr79
; %bb.70:
	s_and_not1_saveexec_b32 s3, s3
; %bb.71:
	v_and_b32_e32 v78, 0xffff, v79
	v_or_b32_e32 v83, 0x10000, v79
	s_delay_alu instid0(VALU_DEP_2) | instskip(NEXT) | instid1(VALU_DEP_2)
	v_cmp_eq_u32_e32 vcc_lo, 0, v78
	v_cndmask_b32_e32 v78, v83, v79, vcc_lo
; %bb.72:
	s_or_b32 exec_lo, exec_lo, s3
	v_and_b32_e32 v79, 0x7f800000, v70
	s_delay_alu instid0(VALU_DEP_1) | instskip(SKIP_1) | instid1(SALU_CYCLE_1)
	v_cmp_ne_u32_e32 vcc_lo, 0x7f800000, v79
                                        ; implicit-def: $vgpr79
	s_and_saveexec_b32 s3, vcc_lo
	s_xor_b32 s3, exec_lo, s3
; %bb.73:
	v_bfe_u32 v79, v70, 16, 1
	s_delay_alu instid0(VALU_DEP_1)
	v_add3_u32 v79, v70, v79, 0x7fff
                                        ; implicit-def: $vgpr70
; %bb.74:
	s_and_not1_saveexec_b32 s3, s3
; %bb.75:
	v_and_b32_e32 v79, 0xffff, v70
	v_or_b32_e32 v83, 0x10000, v70
	s_delay_alu instid0(VALU_DEP_2) | instskip(NEXT) | instid1(VALU_DEP_2)
	v_cmp_eq_u32_e32 vcc_lo, 0, v79
	v_cndmask_b32_e32 v79, v83, v70, vcc_lo
; %bb.76:
	s_or_b32 exec_lo, exec_lo, s3
	s_delay_alu instid0(VALU_DEP_1)
	v_perm_b32 v86, v79, v78, 0x7060302
	v_perm_b32 v85, v77, v82, 0x7060302
	v_perm_b32 v84, v81, v72, 0x7060302
	v_perm_b32 v83, v71, v69, 0x7060302
	v_lshl_or_b32 v82, v66, 11, v80
	ds_store_b128 v76, v[83:86] offset:1024
	s_waitcnt lgkmcnt(0)
	s_barrier
	buffer_gl0_inv
	ds_load_b128 v[69:72], v82
	ds_load_b128 v[83:86], v82 offset:16
	s_waitcnt lgkmcnt(1)
	v_lshrrev_b32_e32 v66, 16, v69
	s_waitcnt lgkmcnt(0)
	v_lshrrev_b32_e32 v91, 16, v83
	v_lshlrev_b32_e32 v78, 2, v74
	v_lshrrev_b32_e32 v95, 16, v70
	v_lshrrev_b32_e32 v98, 16, v84
	;; [unrolled: 1-line block ×4, first 2 shown]
	v_cmp_eq_u32_e32 vcc_lo, 1, v78
	v_lshrrev_b32_e32 v97, 16, v72
	v_lshrrev_b32_e32 v100, 16, v86
	v_cndmask_b32_e32 v87, v83, v91, vcc_lo
	v_or_b32_e32 v79, 1, v78
	v_cndmask_b32_e32 v81, v69, v66, vcc_lo
	v_cmp_eq_u32_e64 s4, 2, v78
	v_cmp_eq_u32_e64 s7, 3, v78
	v_cmp_eq_u32_e64 s9, 4, v78
	v_cmp_eq_u32_e64 s3, 1, v79
	v_cmp_eq_u32_e64 s6, 2, v79
	v_cndmask_b32_e64 v81, v81, v70, s4
	v_cndmask_b32_e64 v87, v87, v84, s4
	v_cmp_eq_u32_e64 s8, 3, v79
	v_cndmask_b32_e64 v88, v69, v66, s3
	v_or_b32_e32 v77, 2, v78
	v_cndmask_b32_e64 v81, v81, v95, s7
	v_cndmask_b32_e64 v87, v87, v98, s7
	;; [unrolled: 1-line block ×4, first 2 shown]
	v_cmp_eq_u32_e64 s10, 5, v78
	v_cndmask_b32_e64 v81, v81, v71, s9
	v_cndmask_b32_e64 v87, v87, v85, s9
	v_cmp_eq_u32_e64 s11, 4, v79
	v_cndmask_b32_e64 v88, v88, v95, s8
	v_cmp_eq_u32_e64 s5, 1, v77
	v_cndmask_b32_e64 v89, v89, v84, s6
	v_cndmask_b32_e64 v81, v81, v96, s10
	v_cmp_eq_u32_e64 s12, 6, v78
	v_cndmask_b32_e64 v88, v88, v71, s11
	;; [unrolled: 3-line block ×3, first 2 shown]
	v_cndmask_b32_e64 v89, v89, v98, s8
	v_cndmask_b32_e64 v81, v81, v72, s12
	v_cmp_eq_u32_e64 s15, 7, v78
	v_cndmask_b32_e64 v88, v88, v96, s13
	v_cndmask_b32_e64 v87, v87, v86, s12
	v_cmp_eq_u32_e64 s16, 6, v79
	v_cmp_eq_u32_e64 s17, 2, v77
	v_cndmask_b32_e64 v89, v89, v85, s11
	v_cndmask_b32_e64 v101, v81, v97, s15
	;; [unrolled: 1-line block ×6, first 2 shown]
	v_cmp_eq_u32_e64 s18, 7, v79
	v_cmp_eq_u32_e64 s19, 3, v77
	;; [unrolled: 1-line block ×4, first 2 shown]
	v_cndmask_b32_e64 v87, v87, v84, s17
	v_cndmask_b32_e64 v103, v88, v97, s18
	v_cndmask_b32_e64 v88, v89, v99, s13
	v_cndmask_b32_e64 v89, v81, v95, s19
	v_or_b32_e32 v81, 3, v78
	v_cndmask_b32_e64 v93, v87, v98, s19
	v_cmp_eq_u32_e64 s24, 6, v77
	v_cndmask_b32_e64 v104, v88, v86, s16
	v_cndmask_b32_e64 v92, v89, v71, s20
	v_cmp_eq_u32_e64 s21, 1, v81
	ds_load_b128 v[87:90], v82 offset:1024
	v_cmp_eq_u32_e64 s23, 2, v81
	v_cmp_eq_u32_e64 s25, 3, v81
	v_cndmask_b32_e64 v105, v92, v96, s22
	v_cndmask_b32_e64 v66, v69, v66, s21
	;; [unrolled: 1-line block ×4, first 2 shown]
	ds_load_b128 v[91:94], v82 offset:1040
	v_cmp_eq_u32_e64 s26, 4, v81
	v_cndmask_b32_e64 v66, v66, v70, s23
	v_cmp_eq_u32_e64 s27, 7, v77
	v_cndmask_b32_e64 v70, v83, v84, s23
	v_cndmask_b32_e64 v84, v105, v72, s24
	v_cmp_eq_u32_e64 s28, 5, v81
	v_cndmask_b32_e64 v66, v66, v95, s25
	v_cmp_eq_u32_e64 s29, 6, v81
	v_cndmask_b32_e64 v70, v70, v98, s25
	v_cndmask_b32_e64 v69, v69, v99, s22
	;; [unrolled: 1-line block ×4, first 2 shown]
	s_waitcnt lgkmcnt(1)
	v_lshrrev_b32_e32 v95, 16, v87
	v_cndmask_b32_e64 v70, v70, v85, s26
	v_cndmask_b32_e64 v71, v84, v97, s27
	;; [unrolled: 1-line block ×4, first 2 shown]
	v_cndmask_b32_e32 v84, v87, v95, vcc_lo
	v_cndmask_b32_e64 v70, v70, v99, s28
	s_waitcnt lgkmcnt(0)
	v_lshrrev_b32_e32 v85, 16, v91
	v_lshrrev_b32_e32 v96, 16, v88
	v_cndmask_b32_e64 v98, v87, v95, s3
	v_cndmask_b32_e64 v84, v84, v88, s4
	;; [unrolled: 1-line block ×3, first 2 shown]
	v_cndmask_b32_e32 v99, v91, v85, vcc_lo
	v_cmp_eq_u32_e32 vcc_lo, 7, v81
	v_cndmask_b32_e64 v66, v66, v72, s29
	v_cndmask_b32_e64 v72, v84, v96, s7
	;; [unrolled: 1-line block ×3, first 2 shown]
	v_lshrrev_b32_e32 v98, 16, v92
	v_cndmask_b32_e32 v70, v70, v100, vcc_lo
	v_cndmask_b32_e64 v86, v99, v92, s4
	v_cndmask_b32_e64 v69, v69, v100, s27
	v_lshrrev_b32_e32 v100, 16, v93
	v_cndmask_b32_e64 v72, v72, v89, s9
	v_lshrrev_b32_e32 v99, 16, v89
	v_cndmask_b32_e64 v86, v86, v98, s7
	v_perm_b32 v71, v69, v71, 0x5040100
	v_cndmask_b32_e64 v84, v84, v96, s8
	s_delay_alu instid0(VALU_DEP_3) | instskip(NEXT) | instid1(VALU_DEP_2)
	v_cndmask_b32_e64 v86, v86, v93, s9
	v_cndmask_b32_e64 v84, v84, v89, s11
	s_delay_alu instid0(VALU_DEP_2) | instskip(NEXT) | instid1(VALU_DEP_1)
	v_cndmask_b32_e64 v86, v86, v100, s10
	v_cndmask_b32_e64 v69, v86, v94, s12
	;; [unrolled: 1-line block ×5, first 2 shown]
	s_delay_alu instid0(VALU_DEP_3) | instskip(NEXT) | instid1(VALU_DEP_3)
	v_cndmask_b32_e64 v86, v86, v88, s17
	v_cndmask_b32_e64 v87, v87, v88, s23
	s_delay_alu instid0(VALU_DEP_3) | instskip(NEXT) | instid1(VALU_DEP_3)
	v_cndmask_b32_e64 v88, v95, v92, s23
	v_cndmask_b32_e64 v86, v86, v96, s19
	;; [unrolled: 3-line block ×7, first 2 shown]
	s_delay_alu instid0(VALU_DEP_3) | instskip(SKIP_2) | instid1(VALU_DEP_2)
	v_cndmask_b32_e64 v88, v88, v94, s29
	v_cndmask_b32_e32 v66, v66, v97, vcc_lo
	v_cndmask_b32_e64 v97, v72, v99, s10
	v_perm_b32 v72, v70, v66, 0x5040100
	v_perm_b32 v70, v83, v103, 0x5040100
	v_cndmask_b32_e64 v103, v91, v85, s5
	v_cndmask_b32_e64 v85, v91, v85, s3
	;; [unrolled: 1-line block ×4, first 2 shown]
	v_lshrrev_b32_e32 v97, 16, v90
	v_cndmask_b32_e64 v91, v103, v92, s17
	v_cndmask_b32_e64 v85, v85, v92, s6
	;; [unrolled: 1-line block ×3, first 2 shown]
	s_mov_b32 s3, exec_lo
	v_cndmask_b32_e64 v83, v84, v97, s15
	v_cndmask_b32_e64 v91, v91, v98, s19
	;; [unrolled: 1-line block ×3, first 2 shown]
	v_lshrrev_b32_e32 v84, 16, v94
	v_cndmask_b32_e64 v66, v66, v97, s18
	v_cndmask_b32_e64 v90, v86, v97, s27
	v_cndmask_b32_e64 v89, v91, v93, s20
	v_cndmask_b32_e64 v85, v85, v93, s11
	v_dual_cndmask_b32 v86, v87, v97 :: v_dual_cndmask_b32 v87, v88, v84
	v_cndmask_b32_e64 v91, v69, v84, s15
	s_delay_alu instid0(VALU_DEP_4) | instskip(NEXT) | instid1(VALU_DEP_4)
	v_cndmask_b32_e64 v89, v89, v100, s22
	v_cndmask_b32_e64 v85, v85, v100, s13
	v_perm_b32 v69, v102, v101, 0x5040100
	v_perm_b32 v86, v87, v86, 0x5040100
	;; [unrolled: 1-line block ×3, first 2 shown]
	v_cndmask_b32_e64 v89, v89, v94, s24
	v_cndmask_b32_e64 v85, v85, v94, s16
	s_mul_i32 s8, s35, 13
	s_delay_alu instid0(VALU_DEP_2) | instskip(NEXT) | instid1(VALU_DEP_2)
	v_cndmask_b32_e64 v88, v89, v84, s27
	v_cndmask_b32_e64 v89, v85, v84, s18
	s_delay_alu instid0(VALU_DEP_2) | instskip(NEXT) | instid1(VALU_DEP_2)
	v_perm_b32 v85, v88, v90, 0x5040100
	v_perm_b32 v84, v89, v66, 0x5040100
	ds_store_b128 v76, v[69:72]
	ds_store_b128 v76, v[83:86] offset:1024
	v_cmpx_gt_u32_e32 13, v0
	s_cbranch_execz .LBB1914_78
; %bb.77:
	s_mul_i32 s4, s8, s30
	s_delay_alu instid0(SALU_CYCLE_1) | instskip(SKIP_1) | instid1(VALU_DEP_1)
	v_add3_u32 v69, s4, s31, v65
	s_load_b128 s[4:7], s[0:1], 0x58
	v_mad_u64_u32 v[65:66], null, v69, s34, s[14:15]
	s_delay_alu instid0(VALU_DEP_1) | instskip(NEXT) | instid1(VALU_DEP_1)
	v_ashrrev_i32_e32 v66, 31, v65
	v_lshlrev_b64 v[65:66], 2, v[65:66]
	s_waitcnt lgkmcnt(0)
	s_delay_alu instid0(VALU_DEP_1) | instskip(NEXT) | instid1(VALU_DEP_2)
	v_add_co_u32 v69, vcc_lo, s6, v65
	v_add_co_ci_u32_e32 v70, vcc_lo, s7, v66, vcc_lo
	v_add_co_u32 v65, vcc_lo, s4, v65
	v_add_co_ci_u32_e32 v66, vcc_lo, s5, v66, vcc_lo
	global_store_b32 v[69:70], v67, off
	global_store_b32 v[65:66], v68, off
.LBB1914_78:
	s_or_b32 exec_lo, exec_lo, s3
	s_waitcnt lgkmcnt(0)
	s_waitcnt_vscnt null, 0x0
	s_barrier
	buffer_gl0_inv
	ds_load_b128 v[83:86], v80
	ds_load_b128 v[87:90], v80 offset:16
	ds_load_b128 v[95:98], v80 offset:2064
	;; [unrolled: 1-line block ×3, first 2 shown]
	v_mov_b32_e32 v65, 0
	ds_load_b128 v[103:106], v80 offset:4112
	ds_load_b128 v[99:102], v80 offset:4096
	;; [unrolled: 1-line block ×4, first 2 shown]
	v_mov_b32_e32 v66, v65
	v_mov_b32_e32 v67, v65
	;; [unrolled: 1-line block ×7, first 2 shown]
	s_waitcnt lgkmcnt(6)
	s_delay_alu instid0(VALU_DEP_1)
	v_wmma_f32_16x16x16_bf16 v[65:72], v[49:56], v[83:90], v[65:72]
	ds_load_b128 v[53:56], v80 offset:8208
	ds_load_b128 v[49:52], v80 offset:8192
	s_waitcnt lgkmcnt(6)
	v_wmma_f32_16x16x16_bf16 v[65:72], v[41:48], v[91:98], v[65:72]
	ds_load_b128 v[45:48], v80 offset:10256
	ds_load_b128 v[41:44], v80 offset:10240
	s_waitcnt lgkmcnt(6)
	;; [unrolled: 4-line block ×4, first 2 shown]
	v_wmma_f32_16x16x16_bf16 v[65:72], v[1:8], v[49:56], v[65:72]
	s_waitcnt lgkmcnt(4)
	s_delay_alu instid0(VALU_DEP_1) | instskip(SKIP_1) | instid1(VALU_DEP_1)
	v_wmma_f32_16x16x16_bf16 v[65:72], v[9:16], v[41:48], v[65:72]
	s_waitcnt lgkmcnt(2)
	v_wmma_f32_16x16x16_bf16 v[65:72], v[17:24], v[33:40], v[65:72]
	s_waitcnt lgkmcnt(0)
	s_delay_alu instid0(VALU_DEP_1) | instskip(NEXT) | instid1(VALU_DEP_1)
	v_wmma_f32_16x16x16_bf16 v[65:72], v[57:64], v[25:32], v[65:72]
	v_and_b32_e32 v1, 0x7f800000, v65
	s_delay_alu instid0(VALU_DEP_1) | instskip(SKIP_1) | instid1(SALU_CYCLE_1)
	v_cmp_ne_u32_e32 vcc_lo, 0x7f800000, v1
                                        ; implicit-def: $vgpr1
	s_and_saveexec_b32 s3, vcc_lo
	s_xor_b32 s3, exec_lo, s3
; %bb.79:
	v_bfe_u32 v1, v65, 16, 1
	s_delay_alu instid0(VALU_DEP_1)
	v_add3_u32 v1, v65, v1, 0x7fff
; %bb.80:
	s_and_not1_saveexec_b32 s3, s3
; %bb.81:
	v_and_b32_e32 v1, 0xffff, v65
	v_or_b32_e32 v2, 0x10000, v65
	s_delay_alu instid0(VALU_DEP_2) | instskip(NEXT) | instid1(VALU_DEP_2)
	v_cmp_eq_u32_e32 vcc_lo, 0, v1
	v_cndmask_b32_e32 v1, v2, v65, vcc_lo
; %bb.82:
	s_or_b32 exec_lo, exec_lo, s3
	v_and_b32_e32 v2, 0x7f800000, v66
	s_delay_alu instid0(VALU_DEP_1) | instskip(SKIP_1) | instid1(SALU_CYCLE_1)
	v_cmp_ne_u32_e32 vcc_lo, 0x7f800000, v2
                                        ; implicit-def: $vgpr2
	s_and_saveexec_b32 s3, vcc_lo
	s_xor_b32 s3, exec_lo, s3
; %bb.83:
	v_bfe_u32 v2, v66, 16, 1
	s_delay_alu instid0(VALU_DEP_1)
	v_add3_u32 v2, v66, v2, 0x7fff
; %bb.84:
	s_and_not1_saveexec_b32 s3, s3
; %bb.85:
	v_and_b32_e32 v2, 0xffff, v66
	v_or_b32_e32 v3, 0x10000, v66
	s_delay_alu instid0(VALU_DEP_2) | instskip(NEXT) | instid1(VALU_DEP_2)
	v_cmp_eq_u32_e32 vcc_lo, 0, v2
	v_cndmask_b32_e32 v2, v3, v66, vcc_lo
; %bb.86:
	s_or_b32 exec_lo, exec_lo, s3
	v_and_b32_e32 v3, 0x7f800000, v67
	s_delay_alu instid0(VALU_DEP_1) | instskip(SKIP_1) | instid1(SALU_CYCLE_1)
	v_cmp_ne_u32_e32 vcc_lo, 0x7f800000, v3
                                        ; implicit-def: $vgpr3
	s_and_saveexec_b32 s3, vcc_lo
	s_xor_b32 s3, exec_lo, s3
; %bb.87:
	v_bfe_u32 v3, v67, 16, 1
	s_delay_alu instid0(VALU_DEP_1)
	v_add3_u32 v3, v67, v3, 0x7fff
; %bb.88:
	s_and_not1_saveexec_b32 s3, s3
; %bb.89:
	v_and_b32_e32 v3, 0xffff, v67
	v_or_b32_e32 v4, 0x10000, v67
	s_delay_alu instid0(VALU_DEP_2) | instskip(NEXT) | instid1(VALU_DEP_2)
	v_cmp_eq_u32_e32 vcc_lo, 0, v3
	v_cndmask_b32_e32 v3, v4, v67, vcc_lo
; %bb.90:
	s_or_b32 exec_lo, exec_lo, s3
	v_and_b32_e32 v4, 0x7f800000, v68
	s_delay_alu instid0(VALU_DEP_1) | instskip(SKIP_1) | instid1(SALU_CYCLE_1)
	v_cmp_ne_u32_e32 vcc_lo, 0x7f800000, v4
                                        ; implicit-def: $vgpr4
	s_and_saveexec_b32 s3, vcc_lo
	s_xor_b32 s3, exec_lo, s3
; %bb.91:
	v_bfe_u32 v4, v68, 16, 1
	s_delay_alu instid0(VALU_DEP_1)
	v_add3_u32 v4, v68, v4, 0x7fff
; %bb.92:
	s_and_not1_saveexec_b32 s3, s3
; %bb.93:
	v_and_b32_e32 v4, 0xffff, v68
	v_or_b32_e32 v5, 0x10000, v68
	s_delay_alu instid0(VALU_DEP_2) | instskip(NEXT) | instid1(VALU_DEP_2)
	v_cmp_eq_u32_e32 vcc_lo, 0, v4
	v_cndmask_b32_e32 v4, v5, v68, vcc_lo
; %bb.94:
	s_or_b32 exec_lo, exec_lo, s3
	v_and_b32_e32 v5, 0x7f800000, v69
	s_delay_alu instid0(VALU_DEP_1) | instskip(SKIP_1) | instid1(SALU_CYCLE_1)
	v_cmp_ne_u32_e32 vcc_lo, 0x7f800000, v5
                                        ; implicit-def: $vgpr5
	s_and_saveexec_b32 s3, vcc_lo
	s_xor_b32 s3, exec_lo, s3
; %bb.95:
	v_bfe_u32 v5, v69, 16, 1
	s_delay_alu instid0(VALU_DEP_1)
	v_add3_u32 v5, v69, v5, 0x7fff
; %bb.96:
	s_and_not1_saveexec_b32 s3, s3
; %bb.97:
	v_and_b32_e32 v5, 0xffff, v69
	v_or_b32_e32 v6, 0x10000, v69
	s_delay_alu instid0(VALU_DEP_2) | instskip(NEXT) | instid1(VALU_DEP_2)
	v_cmp_eq_u32_e32 vcc_lo, 0, v5
	v_cndmask_b32_e32 v5, v6, v69, vcc_lo
; %bb.98:
	s_or_b32 exec_lo, exec_lo, s3
	v_and_b32_e32 v6, 0x7f800000, v70
	s_delay_alu instid0(VALU_DEP_1) | instskip(SKIP_1) | instid1(SALU_CYCLE_1)
	v_cmp_ne_u32_e32 vcc_lo, 0x7f800000, v6
                                        ; implicit-def: $vgpr6
	s_and_saveexec_b32 s3, vcc_lo
	s_xor_b32 s3, exec_lo, s3
; %bb.99:
	v_bfe_u32 v6, v70, 16, 1
	s_delay_alu instid0(VALU_DEP_1)
	v_add3_u32 v6, v70, v6, 0x7fff
; %bb.100:
	s_and_not1_saveexec_b32 s3, s3
; %bb.101:
	v_and_b32_e32 v6, 0xffff, v70
	v_or_b32_e32 v7, 0x10000, v70
	s_delay_alu instid0(VALU_DEP_2) | instskip(NEXT) | instid1(VALU_DEP_2)
	v_cmp_eq_u32_e32 vcc_lo, 0, v6
	v_cndmask_b32_e32 v6, v7, v70, vcc_lo
; %bb.102:
	s_or_b32 exec_lo, exec_lo, s3
	v_and_b32_e32 v7, 0x7f800000, v71
	s_delay_alu instid0(VALU_DEP_1) | instskip(SKIP_1) | instid1(SALU_CYCLE_1)
	v_cmp_ne_u32_e32 vcc_lo, 0x7f800000, v7
                                        ; implicit-def: $vgpr7
	s_and_saveexec_b32 s3, vcc_lo
	s_xor_b32 s3, exec_lo, s3
; %bb.103:
	v_bfe_u32 v7, v71, 16, 1
	s_delay_alu instid0(VALU_DEP_1)
	v_add3_u32 v7, v71, v7, 0x7fff
; %bb.104:
	s_and_not1_saveexec_b32 s3, s3
; %bb.105:
	v_and_b32_e32 v7, 0xffff, v71
	v_or_b32_e32 v8, 0x10000, v71
	s_delay_alu instid0(VALU_DEP_2) | instskip(NEXT) | instid1(VALU_DEP_2)
	v_cmp_eq_u32_e32 vcc_lo, 0, v7
	v_cndmask_b32_e32 v7, v8, v71, vcc_lo
; %bb.106:
	s_or_b32 exec_lo, exec_lo, s3
	v_and_b32_e32 v8, 0x7f800000, v72
	s_delay_alu instid0(VALU_DEP_1) | instskip(SKIP_1) | instid1(SALU_CYCLE_1)
	v_cmp_ne_u32_e32 vcc_lo, 0x7f800000, v8
                                        ; implicit-def: $vgpr8
	s_and_saveexec_b32 s3, vcc_lo
	s_xor_b32 s3, exec_lo, s3
; %bb.107:
	v_bfe_u32 v8, v72, 16, 1
	s_delay_alu instid0(VALU_DEP_1)
	v_add3_u32 v8, v72, v8, 0x7fff
                                        ; implicit-def: $vgpr65_vgpr66_vgpr67_vgpr68_vgpr69_vgpr70_vgpr71_vgpr72
; %bb.108:
	s_and_not1_saveexec_b32 s3, s3
; %bb.109:
	v_and_b32_e32 v8, 0xffff, v72
	v_or_b32_e32 v9, 0x10000, v72
	s_delay_alu instid0(VALU_DEP_2) | instskip(NEXT) | instid1(VALU_DEP_2)
	v_cmp_eq_u32_e32 vcc_lo, 0, v8
	v_cndmask_b32_e32 v8, v9, v72, vcc_lo
; %bb.110:
	s_or_b32 exec_lo, exec_lo, s3
	s_delay_alu instid0(VALU_DEP_1)
	v_perm_b32 v7, v8, v7, 0x7060302
	v_perm_b32 v6, v6, v5, 0x7060302
	;; [unrolled: 1-line block ×4, first 2 shown]
	s_barrier
	buffer_gl0_inv
	v_cmp_eq_u32_e32 vcc_lo, 1, v78
	ds_store_b128 v76, v[4:7]
	s_waitcnt lgkmcnt(0)
	s_barrier
	buffer_gl0_inv
	ds_load_b128 v[1:4], v82
	ds_load_b128 v[5:8], v82 offset:16
	v_cmp_eq_u32_e64 s3, 1, v79
	v_cmp_eq_u32_e64 s4, 2, v78
	;; [unrolled: 1-line block ×5, first 2 shown]
	s_waitcnt lgkmcnt(1)
	v_lshrrev_b32_e32 v9, 16, v1
	s_waitcnt lgkmcnt(0)
	v_lshrrev_b32_e32 v13, 16, v5
	v_lshrrev_b32_e32 v10, 16, v2
	;; [unrolled: 1-line block ×4, first 2 shown]
	v_cndmask_b32_e64 v19, v1, v9, s3
	v_cndmask_b32_e32 v18, v5, v13, vcc_lo
	v_cndmask_b32_e64 v20, v5, v13, s3
	v_cndmask_b32_e32 v17, v1, v9, vcc_lo
	v_cmp_eq_u32_e32 vcc_lo, 2, v79
	v_lshrrev_b32_e32 v15, 16, v7
	v_cmp_eq_u32_e64 s3, 1, v77
	v_lshrrev_b32_e32 v12, 16, v4
	v_lshrrev_b32_e32 v16, 16, v8
	v_cndmask_b32_e32 v20, v20, v6, vcc_lo
	v_cndmask_b32_e64 v17, v17, v2, s4
	v_cndmask_b32_e32 v19, v19, v2, vcc_lo
	v_cndmask_b32_e64 v18, v18, v6, s4
	v_cmp_eq_u32_e32 vcc_lo, 4, v78
	v_cmp_eq_u32_e64 s4, 3, v79
	v_cndmask_b32_e64 v17, v17, v10, s5
	v_cndmask_b32_e64 v21, v1, v9, s3
	;; [unrolled: 1-line block ×5, first 2 shown]
	v_cndmask_b32_e32 v17, v17, v3, vcc_lo
	v_cndmask_b32_e64 v20, v20, v14, s4
	v_cndmask_b32_e32 v18, v18, v7, vcc_lo
	v_cmp_eq_u32_e32 vcc_lo, 4, v79
	v_cmp_eq_u32_e64 s4, 5, v79
	v_cmp_eq_u32_e64 s3, 2, v81
	v_cndmask_b32_e64 v21, v21, v2, s7
	v_cmp_eq_u32_e64 s5, 5, v78
	v_cndmask_b32_e32 v19, v19, v3, vcc_lo
	v_cndmask_b32_e32 v20, v20, v7, vcc_lo
	v_cmp_eq_u32_e32 vcc_lo, 6, v79
	s_delay_alu instid0(VALU_DEP_4) | instskip(NEXT) | instid1(VALU_DEP_4)
	v_cndmask_b32_e64 v17, v17, v11, s5
	v_cndmask_b32_e64 v19, v19, v11, s4
	s_delay_alu instid0(VALU_DEP_4) | instskip(SKIP_1) | instid1(VALU_DEP_3)
	v_cndmask_b32_e64 v20, v20, v15, s4
	v_cmp_eq_u32_e64 s4, 1, v81
	v_cndmask_b32_e32 v19, v19, v4, vcc_lo
	v_cndmask_b32_e64 v18, v18, v15, s5
	s_delay_alu instid0(VALU_DEP_3)
	v_cndmask_b32_e64 v1, v1, v9, s4
	v_cndmask_b32_e64 v5, v5, v13, s4
	v_cmp_eq_u32_e64 s4, 3, v77
	v_cndmask_b32_e64 v13, v22, v6, s7
	v_cmp_eq_u32_e64 s7, 3, v81
	v_cndmask_b32_e64 v1, v1, v2, s3
	v_cndmask_b32_e64 v2, v5, v6, s3
	;; [unrolled: 1-line block ×3, first 2 shown]
	v_cmp_eq_u32_e64 s3, 4, v77
	v_cndmask_b32_e64 v6, v13, v14, s4
	v_cndmask_b32_e64 v1, v1, v10, s7
	v_cmp_eq_u32_e64 s4, 4, v81
	v_cndmask_b32_e64 v2, v2, v14, s7
	v_cndmask_b32_e64 v5, v9, v3, s3
	;; [unrolled: 3-line block ×3, first 2 shown]
	v_cndmask_b32_e64 v2, v2, v7, s4
	v_cmp_eq_u32_e64 s3, 5, v81
	v_cmp_eq_u32_e64 s5, 6, v78
	v_cndmask_b32_e64 v5, v5, v11, s7
	v_cmp_eq_u32_e64 s4, 6, v77
	v_cndmask_b32_e64 v3, v6, v15, s7
	v_cndmask_b32_e64 v1, v1, v11, s3
	v_cmp_eq_u32_e64 s7, 6, v81
	v_cndmask_b32_e64 v2, v2, v15, s3
	v_cndmask_b32_e64 v17, v17, v4, s5
	v_cndmask_b32_e64 v18, v18, v8, s5
	v_cmp_eq_u32_e64 s5, 7, v78
	v_cndmask_b32_e64 v5, v5, v4, s4
	;; [unrolled: 4-line block ×3, first 2 shown]
	v_cmp_eq_u32_e64 s4, 7, v77
	v_cndmask_b32_e32 v4, v20, v8, vcc_lo
	v_cndmask_b32_e64 v17, v17, v12, s5
	v_cndmask_b32_e64 v19, v19, v12, s6
	;; [unrolled: 1-line block ×8, first 2 shown]
	s_mov_b32 s3, exec_lo
	v_perm_b32 v4, v2, v1, 0x5040100
	v_perm_b32 v3, v3, v5, 0x5040100
	;; [unrolled: 1-line block ×4, first 2 shown]
	ds_store_b128 v76, v[1:4]
	s_waitcnt lgkmcnt(0)
	s_barrier
	buffer_gl0_inv
	v_cmpx_gt_u32_e32 32, v0
	s_cbranch_execz .LBB1914_2
; %bb.111:
	s_load_b64 s[4:5], s[0:1], 0x68
	v_lshlrev_b32_e32 v0, 10, v0
	v_lshlrev_b32_e32 v1, 4, v75
	s_lshl_b32 s0, s34, 7
	v_add_nc_u32_e32 v18, s31, v74
	s_mul_i32 s1, s0, s30
	s_delay_alu instid0(VALU_DEP_2) | instskip(SKIP_1) | instid1(VALU_DEP_2)
	v_and_or_b32 v0, 0x3800, v0, v1
	s_mul_i32 s6, s1, s8
	v_mul_lo_u32 v1, v18, s0
	s_ashr_i32 s7, s6, 31
	v_add_nc_u32_e32 v2, 2, v18
	v_lshl_or_b32 v19, v74, 6, v0
	s_lshl_b64 s[6:7], s[6:7], 1
	v_add_nc_u32_e32 v8, 4, v18
	v_add_nc_u32_e32 v15, 6, v18
	v_mul_lo_u32 v7, v2, s0
	ds_load_b128 v[3:6], v19
	v_ashrrev_i32_e32 v2, 31, v1
	v_mul_lo_u32 v11, v8, s0
	s_waitcnt lgkmcnt(0)
	s_add_u32 s1, s4, s6
	s_addc_u32 s3, s5, s7
	s_lshl_b32 s4, s14, 7
	v_lshlrev_b64 v[9:10], 1, v[1:2]
	s_ashr_i32 s5, s4, 31
	v_ashrrev_i32_e32 v8, 31, v7
	s_lshl_b64 s[4:5], s[4:5], 1
	v_ashrrev_i32_e32 v12, 31, v11
	s_add_u32 s1, s1, s4
	s_addc_u32 s3, s3, s5
	v_add_co_u32 v1, s1, s1, v73
	s_delay_alu instid0(VALU_DEP_1) | instskip(SKIP_1) | instid1(VALU_DEP_3)
	v_add_co_ci_u32_e64 v2, null, s3, 0, s1
	v_mul_lo_u32 v15, v15, s0
	v_add_co_u32 v13, vcc_lo, v1, v9
	s_delay_alu instid0(VALU_DEP_3)
	v_add_co_ci_u32_e32 v14, vcc_lo, v2, v10, vcc_lo
	v_lshlrev_b64 v[16:17], 1, v[7:8]
	ds_load_b128 v[7:10], v19 offset:128
	global_store_b128 v[13:14], v[3:6], off
	v_add_nc_u32_e32 v5, 8, v18
	v_lshlrev_b64 v[3:4], 1, v[11:12]
	v_add_co_u32 v23, vcc_lo, v1, v16
	v_ashrrev_i32_e32 v16, 31, v15
	s_delay_alu instid0(VALU_DEP_4) | instskip(SKIP_3) | instid1(VALU_DEP_3)
	v_mul_lo_u32 v25, v5, s0
	v_add_nc_u32_e32 v5, 10, v18
	v_add_co_ci_u32_e32 v24, vcc_lo, v2, v17, vcc_lo
	v_add_co_u32 v27, vcc_lo, v1, v3
	v_mul_lo_u32 v29, v5, s0
	v_add_co_ci_u32_e32 v28, vcc_lo, v2, v4, vcc_lo
	v_lshlrev_b64 v[31:32], 1, v[15:16]
	ds_load_b128 v[3:6], v19 offset:256
	ds_load_b128 v[11:14], v19 offset:384
	;; [unrolled: 1-line block ×4, first 2 shown]
	v_ashrrev_i32_e32 v26, 31, v25
	v_ashrrev_i32_e32 v30, 31, v29
	v_add_co_u32 v31, vcc_lo, v1, v31
	s_delay_alu instid0(VALU_DEP_3) | instskip(SKIP_1) | instid1(VALU_DEP_4)
	v_lshlrev_b64 v[25:26], 1, v[25:26]
	v_add_co_ci_u32_e32 v32, vcc_lo, v2, v32, vcc_lo
	v_lshlrev_b64 v[29:30], 1, v[29:30]
	s_delay_alu instid0(VALU_DEP_3) | instskip(NEXT) | instid1(VALU_DEP_4)
	v_add_co_u32 v25, vcc_lo, v1, v25
	v_add_co_ci_u32_e32 v26, vcc_lo, v2, v26, vcc_lo
	s_delay_alu instid0(VALU_DEP_3) | instskip(NEXT) | instid1(VALU_DEP_4)
	v_add_co_u32 v29, vcc_lo, v1, v29
	v_add_co_ci_u32_e32 v30, vcc_lo, v2, v30, vcc_lo
	s_waitcnt lgkmcnt(4)
	global_store_b128 v[23:24], v[7:10], off
	s_waitcnt lgkmcnt(3)
	global_store_b128 v[27:28], v[3:6], off
	s_waitcnt lgkmcnt(2)
	global_store_b128 v[31:32], v[11:14], off
	s_waitcnt lgkmcnt(1)
	global_store_b128 v[25:26], v[15:18], off
	s_waitcnt lgkmcnt(0)
	global_store_b128 v[29:30], v[19:22], off
	s_and_b32 exec_lo, exec_lo, s2
	s_cbranch_execz .LBB1914_2
; %bb.112:
	ds_load_b128 v[3:6], v0 offset:768
	s_add_i32 s1, s31, 12
	s_delay_alu instid0(SALU_CYCLE_1) | instskip(NEXT) | instid1(SALU_CYCLE_1)
	s_mul_i32 s0, s1, s0
	s_ashr_i32 s1, s0, 31
	s_delay_alu instid0(SALU_CYCLE_1) | instskip(NEXT) | instid1(SALU_CYCLE_1)
	s_lshl_b64 s[0:1], s[0:1], 1
	v_add_co_u32 v0, vcc_lo, v1, s0
	v_add_co_ci_u32_e32 v1, vcc_lo, s1, v2, vcc_lo
	s_waitcnt lgkmcnt(0)
	global_store_b128 v[0:1], v[3:6], off
	s_nop 0
	s_sendmsg sendmsg(MSG_DEALLOC_VGPRS)
	s_endpgm
	.section	.rodata,"a",@progbits
	.p2align	6, 0x0
	.amdhsa_kernel _Z39paged_attention_ll4mi_QKV_mfma16_kernelI14__hip_bfloat16hLN4vllm18Fp8KVCacheDataTypeE1ES0_Li32ELi128ELi256ELb0ELi13EL8MFMAType0EEvPKT_PKT0_S9_ifPKiSB_SB_iPKfiiiPfSE_PS4_PT2_iSD_SD_
		.amdhsa_group_segment_fixed_size 17472
		.amdhsa_private_segment_fixed_size 0
		.amdhsa_kernarg_size 400
		.amdhsa_user_sgpr_count 13
		.amdhsa_user_sgpr_dispatch_ptr 0
		.amdhsa_user_sgpr_queue_ptr 0
		.amdhsa_user_sgpr_kernarg_segment_ptr 1
		.amdhsa_user_sgpr_dispatch_id 0
		.amdhsa_user_sgpr_private_segment_size 0
		.amdhsa_wavefront_size32 1
		.amdhsa_uses_dynamic_stack 0
		.amdhsa_enable_private_segment 0
		.amdhsa_system_sgpr_workgroup_id_x 1
		.amdhsa_system_sgpr_workgroup_id_y 1
		.amdhsa_system_sgpr_workgroup_id_z 1
		.amdhsa_system_sgpr_workgroup_info 0
		.amdhsa_system_vgpr_workitem_id 0
		.amdhsa_next_free_vgpr 140
		.amdhsa_next_free_sgpr 36
		.amdhsa_reserve_vcc 1
		.amdhsa_float_round_mode_32 0
		.amdhsa_float_round_mode_16_64 0
		.amdhsa_float_denorm_mode_32 3
		.amdhsa_float_denorm_mode_16_64 3
		.amdhsa_dx10_clamp 1
		.amdhsa_ieee_mode 1
		.amdhsa_fp16_overflow 0
		.amdhsa_workgroup_processor_mode 1
		.amdhsa_memory_ordered 1
		.amdhsa_forward_progress 0
		.amdhsa_shared_vgpr_count 0
		.amdhsa_exception_fp_ieee_invalid_op 0
		.amdhsa_exception_fp_denorm_src 0
		.amdhsa_exception_fp_ieee_div_zero 0
		.amdhsa_exception_fp_ieee_overflow 0
		.amdhsa_exception_fp_ieee_underflow 0
		.amdhsa_exception_fp_ieee_inexact 0
		.amdhsa_exception_int_div_zero 0
	.end_amdhsa_kernel
	.section	.text._Z39paged_attention_ll4mi_QKV_mfma16_kernelI14__hip_bfloat16hLN4vllm18Fp8KVCacheDataTypeE1ES0_Li32ELi128ELi256ELb0ELi13EL8MFMAType0EEvPKT_PKT0_S9_ifPKiSB_SB_iPKfiiiPfSE_PS4_PT2_iSD_SD_,"axG",@progbits,_Z39paged_attention_ll4mi_QKV_mfma16_kernelI14__hip_bfloat16hLN4vllm18Fp8KVCacheDataTypeE1ES0_Li32ELi128ELi256ELb0ELi13EL8MFMAType0EEvPKT_PKT0_S9_ifPKiSB_SB_iPKfiiiPfSE_PS4_PT2_iSD_SD_,comdat
.Lfunc_end1914:
	.size	_Z39paged_attention_ll4mi_QKV_mfma16_kernelI14__hip_bfloat16hLN4vllm18Fp8KVCacheDataTypeE1ES0_Li32ELi128ELi256ELb0ELi13EL8MFMAType0EEvPKT_PKT0_S9_ifPKiSB_SB_iPKfiiiPfSE_PS4_PT2_iSD_SD_, .Lfunc_end1914-_Z39paged_attention_ll4mi_QKV_mfma16_kernelI14__hip_bfloat16hLN4vllm18Fp8KVCacheDataTypeE1ES0_Li32ELi128ELi256ELb0ELi13EL8MFMAType0EEvPKT_PKT0_S9_ifPKiSB_SB_iPKfiiiPfSE_PS4_PT2_iSD_SD_
                                        ; -- End function
	.section	.AMDGPU.csdata,"",@progbits
; Kernel info:
; codeLenInByte = 9100
; NumSgprs: 38
; NumVgprs: 140
; ScratchSize: 0
; MemoryBound: 0
; FloatMode: 240
; IeeeMode: 1
; LDSByteSize: 17472 bytes/workgroup (compile time only)
; SGPRBlocks: 4
; VGPRBlocks: 17
; NumSGPRsForWavesPerEU: 38
; NumVGPRsForWavesPerEU: 140
; Occupancy: 10
; WaveLimiterHint : 1
; COMPUTE_PGM_RSRC2:SCRATCH_EN: 0
; COMPUTE_PGM_RSRC2:USER_SGPR: 13
; COMPUTE_PGM_RSRC2:TRAP_HANDLER: 0
; COMPUTE_PGM_RSRC2:TGID_X_EN: 1
; COMPUTE_PGM_RSRC2:TGID_Y_EN: 1
; COMPUTE_PGM_RSRC2:TGID_Z_EN: 1
; COMPUTE_PGM_RSRC2:TIDIG_COMP_CNT: 0
	.section	.text._Z39paged_attention_ll4mi_QKV_mfma16_kernelI14__hip_bfloat16hLN4vllm18Fp8KVCacheDataTypeE1ES0_Li32ELi128ELi256ELb0ELi14EL8MFMAType0EEvPKT_PKT0_S9_ifPKiSB_SB_iPKfiiiPfSE_PS4_PT2_iSD_SD_,"axG",@progbits,_Z39paged_attention_ll4mi_QKV_mfma16_kernelI14__hip_bfloat16hLN4vllm18Fp8KVCacheDataTypeE1ES0_Li32ELi128ELi256ELb0ELi14EL8MFMAType0EEvPKT_PKT0_S9_ifPKiSB_SB_iPKfiiiPfSE_PS4_PT2_iSD_SD_,comdat
	.protected	_Z39paged_attention_ll4mi_QKV_mfma16_kernelI14__hip_bfloat16hLN4vllm18Fp8KVCacheDataTypeE1ES0_Li32ELi128ELi256ELb0ELi14EL8MFMAType0EEvPKT_PKT0_S9_ifPKiSB_SB_iPKfiiiPfSE_PS4_PT2_iSD_SD_ ; -- Begin function _Z39paged_attention_ll4mi_QKV_mfma16_kernelI14__hip_bfloat16hLN4vllm18Fp8KVCacheDataTypeE1ES0_Li32ELi128ELi256ELb0ELi14EL8MFMAType0EEvPKT_PKT0_S9_ifPKiSB_SB_iPKfiiiPfSE_PS4_PT2_iSD_SD_
	.globl	_Z39paged_attention_ll4mi_QKV_mfma16_kernelI14__hip_bfloat16hLN4vllm18Fp8KVCacheDataTypeE1ES0_Li32ELi128ELi256ELb0ELi14EL8MFMAType0EEvPKT_PKT0_S9_ifPKiSB_SB_iPKfiiiPfSE_PS4_PT2_iSD_SD_
	.p2align	8
	.type	_Z39paged_attention_ll4mi_QKV_mfma16_kernelI14__hip_bfloat16hLN4vllm18Fp8KVCacheDataTypeE1ES0_Li32ELi128ELi256ELb0ELi14EL8MFMAType0EEvPKT_PKT0_S9_ifPKiSB_SB_iPKfiiiPfSE_PS4_PT2_iSD_SD_,@function
_Z39paged_attention_ll4mi_QKV_mfma16_kernelI14__hip_bfloat16hLN4vllm18Fp8KVCacheDataTypeE1ES0_Li32ELi128ELi256ELb0ELi14EL8MFMAType0EEvPKT_PKT0_S9_ifPKiSB_SB_iPKfiiiPfSE_PS4_PT2_iSD_SD_: ; @_Z39paged_attention_ll4mi_QKV_mfma16_kernelI14__hip_bfloat16hLN4vllm18Fp8KVCacheDataTypeE1ES0_Li32ELi128ELi256ELb0ELi14EL8MFMAType0EEvPKT_PKT0_S9_ifPKiSB_SB_iPKfiiiPfSE_PS4_PT2_iSD_SD_
; %bb.0:
	s_load_b64 s[4:5], s[0:1], 0x30
	s_mov_b32 s30, s13
	s_waitcnt lgkmcnt(0)
	s_cmp_lg_u64 s[4:5], 0
	s_cselect_b32 s13, -1, 0
	s_ashr_i32 s31, s30, 31
	s_cmp_eq_u64 s[4:5], 0
	s_cbranch_scc1 .LBB1915_3
; %bb.1:
	s_lshl_b64 s[2:3], s[30:31], 2
	s_delay_alu instid0(SALU_CYCLE_1) | instskip(SKIP_4) | instid1(SALU_CYCLE_1)
	s_add_u32 s2, s4, s2
	s_addc_u32 s3, s5, s3
	s_load_b64 s[2:3], s[2:3], 0x0
	s_waitcnt lgkmcnt(0)
	s_sub_i32 s2, s3, s2
	s_cmp_eq_u32 s2, 1
	s_cselect_b32 s2, -1, 0
	s_delay_alu instid0(SALU_CYCLE_1)
	s_and_not1_b32 vcc_lo, exec_lo, s2
	s_cbranch_vccz .LBB1915_4
.LBB1915_2:
	s_endpgm
.LBB1915_3:
.LBB1915_4:
	s_load_b64 s[2:3], s[0:1], 0x28
	s_lshl_b64 s[6:7], s[30:31], 2
	s_waitcnt lgkmcnt(0)
	s_add_u32 s2, s2, s6
	s_addc_u32 s3, s3, s7
	s_lshl_b32 s12, s14, 8
	s_load_b32 s17, s[2:3], 0x0
	s_waitcnt lgkmcnt(0)
	s_cmp_ge_i32 s12, s17
	s_cbranch_scc1 .LBB1915_2
; %bb.5:
	s_clause 0x1
	s_load_b128 s[8:11], s[0:1], 0x8
	s_load_b64 s[2:3], s[0:1], 0x20
	s_and_not1_b32 vcc_lo, exec_lo, s13
	s_cbranch_vccnz .LBB1915_7
; %bb.6:
	s_add_u32 s4, s4, s6
	s_addc_u32 s5, s5, s7
	s_load_b32 s13, s[4:5], 0x0
	s_branch .LBB1915_8
.LBB1915_7:
	s_mov_b32 s13, s30
.LBB1915_8:
	s_load_b128 s[4:7], s[0:1], 0x48
	v_and_b32_e32 v65, 15, v0
	v_lshrrev_b32_e32 v66, 5, v0
	v_and_b32_e32 v67, 31, v0
	v_and_b32_e32 v75, 1, v0
	v_bfe_u32 v74, v0, 4, 1
	v_lshlrev_b32_e32 v1, 3, v65
	s_mul_i32 s29, s15, 14
	s_waitcnt lgkmcnt(0)
	s_mov_b32 s7, exec_lo
	s_delay_alu instid0(VALU_DEP_1)
	v_lshlrev_b32_e32 v73, 1, v1
	v_cmpx_gt_u32_e32 0xe0, v0
	s_cbranch_execz .LBB1915_10
; %bb.9:
	s_load_b64 s[18:19], s[0:1], 0x0
	v_lshl_or_b32 v5, v66, 1, v74
	s_mul_hi_i32 s21, s13, s4
	s_mul_i32 s20, s13, s4
	v_lshlrev_b32_e32 v6, 10, v65
	s_lshl_b64 s[20:21], s[20:21], 1
	v_add_lshl_u32 v1, v5, s29, 7
	v_lshlrev_b32_e32 v5, 6, v5
	v_lshlrev_b32_e32 v7, 10, v75
	v_and_b32_e32 v6, 0x3800, v6
	s_delay_alu instid0(VALU_DEP_4) | instskip(NEXT) | instid1(VALU_DEP_2)
	v_ashrrev_i32_e32 v2, 31, v1
	v_or3_b32 v5, v6, v7, v5
	s_delay_alu instid0(VALU_DEP_2) | instskip(SKIP_3) | instid1(VALU_DEP_1)
	v_lshlrev_b64 v[1:2], 1, v[1:2]
	s_waitcnt lgkmcnt(0)
	s_add_u32 s4, s18, s20
	s_addc_u32 s13, s19, s21
	v_add_co_u32 v1, vcc_lo, s4, v1
	s_delay_alu instid0(VALU_DEP_2) | instskip(NEXT) | instid1(VALU_DEP_2)
	v_add_co_ci_u32_e32 v2, vcc_lo, s13, v2, vcc_lo
	v_add_co_u32 v1, vcc_lo, v1, v73
	s_delay_alu instid0(VALU_DEP_2)
	v_add_co_ci_u32_e32 v2, vcc_lo, 0, v2, vcc_lo
	global_load_b128 v[1:4], v[1:2], off
	s_waitcnt vmcnt(0)
	ds_store_b128 v5, v[1:4]
.LBB1915_10:
	s_or_b32 exec_lo, exec_lo, s7
	v_and_b32_e32 v1, 0xef, v0
	s_add_i32 s4, s17, 31
	s_clause 0x1
	s_load_b32 s7, s[0:1], 0x38
	s_load_b32 s18, s[0:1], 0x1c
	s_ashr_i32 s13, s4, 31
	v_add_nc_u32_e32 v1, s12, v1
	s_lshr_b32 s13, s13, 27
	s_waitcnt lgkmcnt(0)
	s_add_i32 s4, s4, s13
	s_barrier
	v_ashrrev_i32_e32 v2, 31, v1
	v_or_b32_e32 v3, 16, v1
	s_ashr_i32 s4, s4, 5
	v_cmp_gt_i32_e32 vcc_lo, s17, v1
	s_add_i32 s4, s4, -1
	v_lshrrev_b32_e32 v2, 27, v2
	buffer_gl0_inv
	s_mul_i32 s15, s15, s6
	v_add_nc_u32_e32 v4, v1, v2
	s_mul_i32 s20, s30, s7
	s_delay_alu instid0(SALU_CYCLE_1) | instskip(NEXT) | instid1(VALU_DEP_1)
	s_ashr_i32 s21, s20, 31
	v_ashrrev_i32_e32 v4, 5, v4
	v_add_nc_u32_e32 v2, v3, v2
	s_lshl_b64 s[20:21], s[20:21], 2
	s_delay_alu instid0(SALU_CYCLE_1) | instskip(NEXT) | instid1(VALU_DEP_2)
	s_add_u32 s13, s2, s20
	v_cndmask_b32_e32 v1, s4, v4, vcc_lo
	s_delay_alu instid0(VALU_DEP_2)
	v_ashrrev_i32_e32 v2, 5, v2
	v_cmp_gt_i32_e32 vcc_lo, s17, v3
	s_addc_u32 s16, s3, s21
	s_ashr_i32 s19, s15, 31
	s_add_u32 s2, s8, s15
	s_addc_u32 s3, s9, s19
	v_cndmask_b32_e32 v3, s4, v2, vcc_lo
	v_ashrrev_i32_e32 v2, 31, v1
	s_lshl_b32 s6, s14, 3
	s_delay_alu instid0(SALU_CYCLE_1) | instskip(NEXT) | instid1(VALU_DEP_2)
	s_ashr_i32 s7, s6, 31
	v_ashrrev_i32_e32 v4, 31, v3
	s_delay_alu instid0(VALU_DEP_2) | instskip(SKIP_1) | instid1(SALU_CYCLE_1)
	v_lshlrev_b64 v[1:2], 2, v[1:2]
	s_lshl_b64 s[6:7], s[6:7], 2
	s_add_u32 s6, s13, s6
	s_delay_alu instid0(VALU_DEP_2) | instskip(SKIP_1) | instid1(VALU_DEP_2)
	v_lshlrev_b64 v[3:4], 2, v[3:4]
	s_addc_u32 s7, s16, s7
	v_add_co_u32 v1, vcc_lo, s13, v1
	v_add_co_ci_u32_e32 v2, vcc_lo, s16, v2, vcc_lo
	s_delay_alu instid0(VALU_DEP_3) | instskip(NEXT) | instid1(VALU_DEP_4)
	v_add_co_u32 v3, vcc_lo, s13, v3
	v_add_co_ci_u32_e32 v4, vcc_lo, s16, v4, vcc_lo
	s_clause 0x1
	global_load_b32 v5, v[1:2], off
	global_load_b32 v6, v[3:4], off
	s_or_b32 s8, s12, 32
	s_delay_alu instid0(SALU_CYCLE_1) | instskip(SKIP_2) | instid1(SALU_CYCLE_1)
	s_ashr_i32 s9, s8, 5
	s_cmp_lt_i32 s8, s17
	s_cselect_b32 s8, s9, s4
	s_ashr_i32 s9, s8, 31
	s_delay_alu instid0(SALU_CYCLE_1) | instskip(NEXT) | instid1(SALU_CYCLE_1)
	s_lshl_b64 s[8:9], s[8:9], 2
	s_add_u32 s8, s13, s8
	s_addc_u32 s9, s16, s9
	s_or_b32 s20, s12, 64
	s_delay_alu instid0(SALU_CYCLE_1) | instskip(SKIP_2) | instid1(SALU_CYCLE_1)
	s_ashr_i32 s21, s20, 5
	s_cmp_lt_i32 s20, s17
	s_cselect_b32 s20, s21, s4
	s_ashr_i32 s21, s20, 31
	s_delay_alu instid0(SALU_CYCLE_1) | instskip(NEXT) | instid1(SALU_CYCLE_1)
	s_lshl_b64 s[20:21], s[20:21], 2
	s_add_u32 s20, s13, s20
	s_addc_u32 s21, s16, s21
	;; [unrolled: 10-line block ×5, first 2 shown]
	s_clause 0x5
	s_load_b32 s28, s[6:7], 0x0
	s_load_b32 s8, s[8:9], 0x0
	;; [unrolled: 1-line block ×6, first 2 shown]
	s_mov_b32 s20, 0
	s_delay_alu instid0(SALU_CYCLE_1)
	s_mov_b32 s21, s20
	s_mov_b32 s22, s20
	;; [unrolled: 1-line block ×7, first 2 shown]
	s_delay_alu instid0(SALU_CYCLE_1)
	v_dual_mov_b32 v107, s27 :: v_dual_mov_b32 v106, s26
	v_dual_mov_b32 v104, s24 :: v_dual_mov_b32 v103, s23
	;; [unrolled: 1-line block ×3, first 2 shown]
	v_mov_b32_e32 v100, s20
	s_waitcnt vmcnt(1)
	v_mad_i64_i32 v[1:2], null, v5, s5, s[2:3]
	v_lshlrev_b32_e32 v5, 4, v65
	s_waitcnt vmcnt(0)
	v_mad_i64_i32 v[3:4], null, v6, s5, s[2:3]
	s_or_b32 s2, s12, 0xc0
	s_delay_alu instid0(SALU_CYCLE_1) | instskip(NEXT) | instid1(VALU_DEP_3)
	s_ashr_i32 s3, s2, 5
	v_add_co_u32 v33, vcc_lo, v1, v5
	s_delay_alu instid0(VALU_DEP_4) | instskip(NEXT) | instid1(VALU_DEP_3)
	v_add_co_ci_u32_e32 v34, vcc_lo, 0, v2, vcc_lo
	v_add_co_u32 v35, vcc_lo, v3, v5
	s_delay_alu instid0(VALU_DEP_4)
	v_add_co_ci_u32_e32 v36, vcc_lo, 0, v4, vcc_lo
	s_clause 0xf
	global_load_b128 v[1:4], v[33:34], off
	global_load_b128 v[5:8], v[33:34], off offset:512
	global_load_b128 v[9:12], v[35:36], off offset:256
	;; [unrolled: 1-line block ×15, first 2 shown]
	s_cmp_lt_i32 s2, s17
	v_add_nc_u32_e32 v33, -14, v65
	s_cselect_b32 s2, s3, s4
	v_cmp_gt_u32_e32 vcc_lo, 14, v65
	s_ashr_i32 s3, s2, 31
	v_lshlrev_b32_e32 v34, 5, v65
	s_lshl_b64 s[2:3], s[2:3], 2
	s_delay_alu instid0(SALU_CYCLE_1)
	s_add_u32 s2, s13, s2
	s_addc_u32 s3, s16, s3
	s_or_b32 s6, s12, 0xe0
	v_cndmask_b32_e32 v33, v33, v65, vcc_lo
	s_ashr_i32 s7, s6, 5
	s_cmp_lt_i32 s6, s17
	v_mov_b32_e32 v105, s25
	s_cselect_b32 s6, s7, s4
	v_lshlrev_b32_e32 v72, 6, v33
	s_ashr_i32 s7, s6, 31
	v_lshl_or_b32 v41, v66, 9, v34
	s_lshl_b64 s[6:7], s[6:7], 2
	ds_load_b128 v[33:36], v72
	ds_load_b128 v[37:40], v72 offset:1024
	ds_load_b128 v[108:111], v72 offset:2048
	;; [unrolled: 1-line block ×3, first 2 shown]
	s_load_b32 s4, s[2:3], 0x0
	s_add_u32 s2, s13, s6
	s_addc_u32 s3, s16, s7
	ds_load_b128 v[116:119], v72 offset:4096
	ds_load_b128 v[120:123], v72 offset:5120
	s_load_b32 s2, s[2:3], 0x0
	s_add_u32 s6, s10, s15
	s_addc_u32 s7, s11, s19
	v_add_co_u32 v68, s6, s6, v41
	s_delay_alu instid0(VALU_DEP_1) | instskip(SKIP_1) | instid1(VALU_DEP_1)
	v_add_co_ci_u32_e64 v69, null, s7, 0, s6
	s_waitcnt lgkmcnt(0)
	v_mad_i64_i32 v[41:42], null, s28, s5, v[68:69]
	v_mad_i64_i32 v[70:71], null, s9, s5, v[68:69]
	v_mad_i64_i32 v[45:46], null, s8, s5, v[68:69]
	v_mad_i64_i32 v[132:133], null, s31, s5, v[68:69]
	v_mad_i64_i32 v[134:135], null, s33, s5, v[68:69]
	v_mad_i64_i32 v[136:137], null, s34, s5, v[68:69]
	v_mad_i64_i32 v[138:139], null, s4, s5, v[68:69]
	s_clause 0x3
	global_load_b128 v[49:52], v[41:42], off
	global_load_b128 v[53:56], v[41:42], off offset:16
	global_load_b128 v[41:44], v[45:46], off
	global_load_b128 v[45:48], v[45:46], off offset:16
	s_waitcnt vmcnt(18)
	v_wmma_f32_16x16x16_bf16 v[124:131], v[1:8], v[33:40], v[100:107]
	s_waitcnt vmcnt(16)
	v_wmma_f32_16x16x16_bf16 v[100:107], v[9:16], v[33:40], v[100:107]
	s_clause 0x1
	global_load_b128 v[33:36], v[70:71], off
	global_load_b128 v[37:40], v[70:71], off offset:16
	v_mad_i64_i32 v[70:71], null, s2, s5, v[68:69]
	s_waitcnt vmcnt(16)
	v_wmma_f32_16x16x16_bf16 v[124:131], v[17:24], v[108:115], v[124:131]
	s_waitcnt vmcnt(14)
	v_wmma_f32_16x16x16_bf16 v[100:107], v[25:32], v[108:115], v[100:107]
	s_clause 0x7
	global_load_b128 v[25:28], v[132:133], off
	global_load_b128 v[29:32], v[132:133], off offset:16
	global_load_b128 v[1:4], v[134:135], off
	global_load_b128 v[5:8], v[134:135], off offset:16
	;; [unrolled: 2-line block ×4, first 2 shown]
	s_waitcnt vmcnt(20)
	v_wmma_f32_16x16x16_bf16 v[124:131], v[57:64], v[116:123], v[124:131]
	s_clause 0x1
	global_load_b128 v[57:60], v[70:71], off
	global_load_b128 v[61:64], v[70:71], off offset:16
	s_waitcnt vmcnt(20)
	v_wmma_f32_16x16x16_bf16 v[100:107], v[76:83], v[116:123], v[100:107]
	ds_load_b128 v[76:79], v72 offset:6144
	ds_load_b128 v[80:83], v72 offset:7168
	v_and_b32_e32 v68, 0xe0, v0
	v_mbcnt_lo_u32_b32 v69, -1, 0
	s_waitcnt vmcnt(0) lgkmcnt(0)
	s_barrier
	buffer_gl0_inv
	v_add_nc_u32_e32 v68, s12, v68
	v_xor_b32_e32 v70, 16, v69
	s_delay_alu instid0(VALU_DEP_2) | instskip(NEXT) | instid1(VALU_DEP_2)
	v_or_b32_e32 v68, v68, v74
	v_cmp_gt_i32_e32 vcc_lo, 32, v70
	s_delay_alu instid0(VALU_DEP_2)
	v_or_b32_e32 v71, 4, v68
	v_or_b32_e32 v72, 6, v68
	v_cmp_gt_i32_e64 s2, s17, v68
	v_or_b32_e32 v108, 8, v68
	v_wmma_f32_16x16x16_bf16 v[124:131], v[84:91], v[76:83], v[124:131]
	v_cndmask_b32_e32 v69, v69, v70, vcc_lo
	v_or_b32_e32 v70, 2, v68
	v_wmma_f32_16x16x16_bf16 v[100:107], v[92:99], v[76:83], v[100:107]
	v_or_b32_e32 v109, 10, v68
	v_dual_mul_f32 v80, s18, v129 :: v_dual_mul_f32 v81, s18, v128
	v_dual_mul_f32 v92, s18, v125 :: v_dual_mul_f32 v93, s18, v124
	s_delay_alu instid0(VALU_DEP_4)
	v_mul_f32_e32 v96, s18, v105
	v_cmp_gt_i32_e32 vcc_lo, s17, v70
	v_or_b32_e32 v89, 22, v68
	v_dual_mul_f32 v79, s18, v130 :: v_dual_mul_f32 v82, s18, v127
	v_dual_mul_f32 v83, s18, v126 :: v_dual_mul_f32 v94, s18, v107
	v_cndmask_b32_e64 v93, 0xff7fffff, v93, s2
	v_cndmask_b32_e32 v92, 0xff7fffff, v92, vcc_lo
	v_cmp_gt_i32_e64 s3, s17, v71
	v_cmp_gt_i32_e64 s4, s17, v72
	v_or_b32_e32 v84, 12, v68
	v_or_b32_e32 v85, 14, v68
	v_cmp_gt_i32_e64 s5, s17, v108
	v_cndmask_b32_e64 v71, 0xff7fffff, v83, s3
	v_cndmask_b32_e64 v72, 0xff7fffff, v82, s4
	v_cmp_gt_i32_e64 s6, s17, v109
	v_cmp_gt_i32_e64 s12, s17, v89
	v_lshlrev_b32_e32 v89, 2, v69
	v_max3_f32 v82, v93, 0xff7fffff, v92
	v_or_b32_e32 v86, 16, v68
	v_or_b32_e32 v87, 18, v68
	v_mul_f32_e32 v78, s18, v131
	v_cndmask_b32_e64 v81, 0xff7fffff, v81, s5
	v_cndmask_b32_e64 v80, 0xff7fffff, v80, s6
	v_max3_f32 v71, v82, v71, v72
	v_cmp_gt_i32_e64 s7, s17, v84
	v_cmp_gt_i32_e64 s8, s17, v85
	v_or_b32_e32 v88, 20, v68
	v_or_b32_e32 v90, 24, v68
	;; [unrolled: 1-line block ×5, first 2 shown]
	v_dual_mul_f32 v97, s18, v104 :: v_dual_mul_f32 v70, s18, v101
	v_dual_mul_f32 v99, s18, v102 :: v_dual_mul_f32 v68, s18, v100
	v_cndmask_b32_e64 v72, 0xff7fffff, v79, s7
	v_cndmask_b32_e64 v78, 0xff7fffff, v78, s8
	v_max3_f32 v71, v71, v81, v80
	v_cmp_gt_i32_e64 s9, s17, v86
	v_cmp_gt_i32_e64 s10, s17, v87
	v_dual_mul_f32 v95, s18, v106 :: v_dual_mul_f32 v98, s18, v103
	s_delay_alu instid0(VALU_DEP_4) | instskip(NEXT) | instid1(VALU_DEP_4)
	v_max3_f32 v71, v71, v72, v78
	v_cndmask_b32_e64 v68, 0xff7fffff, v68, s9
	s_delay_alu instid0(VALU_DEP_4)
	v_cndmask_b32_e64 v70, 0xff7fffff, v70, s10
	v_cmp_gt_i32_e64 s11, s17, v88
	v_cndmask_b32_e64 v78, 0xff7fffff, v98, s12
	v_cmp_gt_i32_e64 s13, s17, v90
	v_cmp_gt_i32_e64 s15, s17, v91
	v_max3_f32 v68, v71, v68, v70
	v_cndmask_b32_e64 v72, 0xff7fffff, v99, s11
	v_cmp_gt_i32_e64 s16, s17, v76
	v_cndmask_b32_e64 v70, 0xff7fffff, v97, s13
	v_cndmask_b32_e64 v71, 0xff7fffff, v96, s15
	v_cmp_gt_i32_e64 s17, s17, v77
	v_max3_f32 v68, v68, v72, v78
	v_cndmask_b32_e64 v72, 0xff7fffff, v95, s16
	s_delay_alu instid0(VALU_DEP_3) | instskip(NEXT) | instid1(VALU_DEP_3)
	v_cndmask_b32_e64 v76, 0xff7fffff, v94, s17
	v_max3_f32 v68, v68, v70, v71
	s_delay_alu instid0(VALU_DEP_1) | instskip(SKIP_3) | instid1(VALU_DEP_1)
	v_max3_f32 v68, v68, v72, v76
	ds_bpermute_b32 v69, v89, v68
	s_waitcnt lgkmcnt(0)
	v_max_f32_e32 v69, v69, v69
	v_max_f32_e32 v68, v68, v69
	s_delay_alu instid0(VALU_DEP_1) | instskip(NEXT) | instid1(VALU_DEP_1)
	v_fma_f32 v71, s18, v126, -v68
	v_mul_f32_e32 v71, 0x3fb8aa3b, v71
	v_fma_f32 v70, s18, v125, -v68
	v_fma_f32 v69, s18, v124, -v68
	;; [unrolled: 1-line block ×5, first 2 shown]
	s_delay_alu instid0(VALU_DEP_4) | instskip(SKIP_1) | instid1(VALU_DEP_3)
	v_dual_mul_f32 v70, 0x3fb8aa3b, v70 :: v_dual_mul_f32 v69, 0x3fb8aa3b, v69
	v_exp_f32_e32 v71, v71
	v_mul_f32_e32 v72, 0x3fb8aa3b, v72
	v_fma_f32 v81, s18, v105, -v68
	s_delay_alu instid0(VALU_DEP_3)
	v_exp_f32_e32 v70, v70
	v_mul_f32_e32 v77, 0x3fb8aa3b, v76
	v_exp_f32_e32 v69, v69
	v_exp_f32_e32 v72, v72
	v_mul_f32_e32 v81, 0x3fb8aa3b, v81
	v_cndmask_b32_e64 v83, 0, v71, s3
	v_fma_f32 v71, s18, v131, -v68
	s_delay_alu instid0(VALU_DEP_3) | instskip(SKIP_4) | instid1(TRANS32_DEP_3)
	v_exp_f32_e32 v81, v81
	v_cndmask_b32_e32 v76, 0, v70, vcc_lo
	v_exp_f32_e32 v77, v77
	v_cndmask_b32_e64 v80, 0, v69, s2
	v_fma_f32 v69, s18, v129, -v68
	v_cndmask_b32_e64 v85, 0, v72, s4
	v_mul_f32_e32 v71, 0x3fb8aa3b, v71
	v_fma_f32 v72, s18, v100, -v68
	s_delay_alu instid0(VALU_DEP_4) | instskip(SKIP_1) | instid1(VALU_DEP_3)
	v_dual_add_f32 v70, 0, v80 :: v_dual_mul_f32 v69, 0x3fb8aa3b, v69
	s_mov_b32 s2, exec_lo
	v_exp_f32_e32 v71, v71
	s_delay_alu instid0(TRANS32_DEP_2) | instskip(SKIP_4) | instid1(VALU_DEP_3)
	v_cndmask_b32_e64 v86, 0, v77, s5
	v_fma_f32 v77, s18, v101, -v68
	v_mul_f32_e32 v78, 0x3fb8aa3b, v78
	v_add_f32_e32 v70, v70, v76
	v_exp_f32_e32 v69, v69
	v_mul_f32_e32 v77, 0x3fb8aa3b, v77
	s_delay_alu instid0(VALU_DEP_3) | instskip(NEXT) | instid1(TRANS32_DEP_3)
	v_exp_f32_e32 v78, v78
	v_cndmask_b32_e64 v88, 0, v71, s8
	v_fma_f32 v71, s18, v104, -v68
	s_delay_alu instid0(VALU_DEP_3) | instskip(NEXT) | instid1(TRANS32_DEP_3)
	v_exp_f32_e32 v77, v77
	v_cndmask_b32_e64 v87, 0, v69, s6
	s_delay_alu instid0(VALU_DEP_2)
	v_mul_f32_e32 v71, 0x3fb8aa3b, v71
	s_waitcnt_depctr 0xfff
	v_cndmask_b32_e64 v84, 0, v78, s7
	v_add_f32_e32 v70, v70, v83
	v_fma_f32 v78, s18, v103, -v68
	v_exp_f32_e32 v82, v71
	s_delay_alu instid0(VALU_DEP_2) | instskip(SKIP_1) | instid1(VALU_DEP_3)
	v_add_f32_e32 v70, v70, v85
	v_mul_f32_e32 v72, 0x3fb8aa3b, v72
	v_mul_f32_e32 v78, 0x3fb8aa3b, v78
	s_delay_alu instid0(VALU_DEP_3) | instskip(SKIP_1) | instid1(VALU_DEP_4)
	v_add_f32_e32 v69, v70, v86
	v_fma_f32 v70, s18, v102, -v68
	v_exp_f32_e32 v72, v72
	s_delay_alu instid0(VALU_DEP_3) | instskip(NEXT) | instid1(VALU_DEP_1)
	v_exp_f32_e32 v78, v78
	v_dual_add_f32 v69, v69, v87 :: v_dual_mul_f32 v70, 0x3fb8aa3b, v70
	s_delay_alu instid0(VALU_DEP_1) | instskip(NEXT) | instid1(VALU_DEP_2)
	v_add_f32_e32 v69, v69, v84
	v_exp_f32_e32 v79, v70
	s_delay_alu instid0(TRANS32_DEP_3) | instskip(NEXT) | instid1(VALU_DEP_2)
	v_cndmask_b32_e64 v70, 0, v72, s9
	v_add_f32_e32 v72, v69, v88
	v_cndmask_b32_e64 v69, 0, v77, s10
	v_fma_f32 v77, s18, v106, -v68
	s_waitcnt_depctr 0xfff
	v_cndmask_b32_e64 v71, 0, v79, s11
	v_dual_mul_f32 v77, 0x3fb8aa3b, v77 :: v_dual_add_f32 v72, v72, v70
	s_delay_alu instid0(VALU_DEP_1) | instskip(NEXT) | instid1(VALU_DEP_1)
	v_exp_f32_e32 v90, v77
	v_add_f32_e32 v79, v72, v69
	v_cndmask_b32_e64 v72, 0, v78, s12
	v_cndmask_b32_e64 v77, 0, v82, s13
	s_delay_alu instid0(VALU_DEP_3) | instskip(SKIP_1) | instid1(VALU_DEP_1)
	v_add_f32_e32 v78, v79, v71
	v_fma_f32 v79, s18, v107, -v68
	v_dual_add_f32 v82, v78, v72 :: v_dual_mul_f32 v79, 0x3fb8aa3b, v79
	v_cndmask_b32_e64 v78, 0, v81, s15
	s_delay_alu instid0(VALU_DEP_2) | instskip(NEXT) | instid1(VALU_DEP_3)
	v_add_f32_e32 v81, v82, v77
	v_exp_f32_e32 v82, v79
	v_cndmask_b32_e64 v79, 0, v90, s16
	s_delay_alu instid0(VALU_DEP_2) | instskip(NEXT) | instid1(VALU_DEP_1)
	v_add_f32_e32 v81, v81, v78
	v_add_f32_e32 v90, v81, v79
	s_waitcnt_depctr 0xfff
	v_cndmask_b32_e64 v81, 0, v82, s17
	s_delay_alu instid0(VALU_DEP_1)
	v_add_f32_e32 v82, v90, v81
	ds_bpermute_b32 v89, v89, v82
	v_cmpx_gt_u32_e32 16, v67
	s_cbranch_execz .LBB1915_12
; %bb.11:
	v_mul_u32_u24_e32 v67, 0x44, v66
	s_delay_alu instid0(VALU_DEP_1) | instskip(SKIP_1) | instid1(VALU_DEP_1)
	v_lshl_add_u32 v67, v65, 2, v67
	s_waitcnt lgkmcnt(0)
	v_dual_add_f32 v82, v82, v89 :: v_dual_add_nc_u32 v67, 0x4000, v67
	ds_store_2addr_b32 v67, v68, v82 offset1:136
.LBB1915_12:
	s_or_b32 exec_lo, exec_lo, s2
	v_lshlrev_b32_e32 v67, 2, v65
	s_waitcnt lgkmcnt(0)
	s_barrier
	buffer_gl0_inv
	v_cmp_eq_u32_e32 vcc_lo, 1, v66
	v_add_nc_u32_e32 v82, 0x4000, v67
	v_cmp_eq_u32_e64 s2, 2, v66
	v_cmp_eq_u32_e64 s4, 7, v66
	ds_load_2addr_b32 v[89:90], v82 offset1:17
	ds_load_2addr_b32 v[91:92], v82 offset0:34 offset1:51
	ds_load_2addr_b32 v[93:94], v82 offset0:68 offset1:85
	;; [unrolled: 1-line block ×4, first 2 shown]
	s_waitcnt lgkmcnt(4)
	v_max3_f32 v67, v89, 0xff7fffff, v90
	s_waitcnt lgkmcnt(3)
	s_delay_alu instid0(VALU_DEP_1) | instskip(SKIP_1) | instid1(VALU_DEP_1)
	v_max3_f32 v67, v67, v91, v92
	s_waitcnt lgkmcnt(2)
	v_max3_f32 v67, v67, v93, v94
	s_waitcnt lgkmcnt(1)
	s_delay_alu instid0(VALU_DEP_1) | instskip(NEXT) | instid1(VALU_DEP_1)
	v_max3_f32 v67, v67, v95, v96
	v_sub_f32_e32 v93, v93, v67
	s_delay_alu instid0(VALU_DEP_1) | instskip(NEXT) | instid1(VALU_DEP_1)
	v_dual_sub_f32 v68, v89, v67 :: v_dual_mul_f32 v103, 0x3fb8aa3b, v93
	v_mul_f32_e32 v68, 0x3fb8aa3b, v68
	s_delay_alu instid0(VALU_DEP_1)
	v_exp_f32_e32 v100, v68
	v_sub_f32_e32 v68, v92, v67
	v_sub_f32_e32 v99, v90, v67
	ds_load_2addr_b32 v[89:90], v82 offset0:170 offset1:187
	v_dual_mul_f32 v102, 0x3fb8aa3b, v68 :: v_dual_mul_f32 v99, 0x3fb8aa3b, v99
	s_waitcnt lgkmcnt(1)
	v_fma_f32 v68, v100, v97, 0
	s_delay_alu instid0(VALU_DEP_2) | instskip(NEXT) | instid1(VALU_DEP_2)
	v_exp_f32_e32 v102, v102
	v_exp_f32_e32 v99, v99
	s_waitcnt_depctr 0xfff
	v_fmac_f32_e32 v68, v99, v98
	v_sub_f32_e32 v91, v91, v67
	s_delay_alu instid0(VALU_DEP_1)
	v_mul_f32_e32 v101, 0x3fb8aa3b, v91
	ds_load_2addr_b32 v[91:92], v82 offset0:204 offset1:221
	v_sub_f32_e32 v97, v94, v67
	ds_load_2addr_b32 v[93:94], v82 offset0:238 offset1:255
	s_waitcnt lgkmcnt(0)
	v_exp_f32_e32 v101, v101
	s_barrier
	buffer_gl0_inv
	v_dual_fmac_f32 v68, v101, v89 :: v_dual_sub_f32 v89, v96, v67
	v_dual_sub_f32 v82, v95, v67 :: v_dual_mul_f32 v95, 0x3fb8aa3b, v97
	v_exp_f32_e32 v97, v103
	s_delay_alu instid0(VALU_DEP_2) | instskip(NEXT) | instid1(VALU_DEP_2)
	v_dual_fmac_f32 v68, v102, v90 :: v_dual_mul_f32 v89, 0x3fb8aa3b, v89
	v_mul_f32_e32 v82, 0x3fb8aa3b, v82
	s_delay_alu instid0(VALU_DEP_3) | instskip(NEXT) | instid1(VALU_DEP_2)
	v_exp_f32_e32 v95, v95
	v_exp_f32_e32 v89, v89
	s_delay_alu instid0(VALU_DEP_1)
	v_exp_f32_e32 v82, v82
	v_fmac_f32_e32 v68, v97, v91
	s_delay_alu instid0(TRANS32_DEP_3) | instid1(VALU_DEP_1)
	v_fmac_f32_e32 v68, v95, v92
	s_waitcnt_depctr 0xfff
	v_fmac_f32_e32 v68, v82, v93
	s_delay_alu instid0(VALU_DEP_1) | instskip(NEXT) | instid1(VALU_DEP_1)
	v_fmac_f32_e32 v68, v89, v94
	v_add_f32_e32 v90, 0x358637bd, v68
	s_delay_alu instid0(VALU_DEP_1) | instskip(NEXT) | instid1(VALU_DEP_1)
	v_div_scale_f32 v91, null, v90, v90, 1.0
	v_rcp_f32_e32 v92, v91
	s_waitcnt_depctr 0xfff
	v_fma_f32 v93, -v91, v92, 1.0
	s_delay_alu instid0(VALU_DEP_1) | instskip(SKIP_1) | instid1(VALU_DEP_2)
	v_dual_fmac_f32 v92, v93, v92 :: v_dual_cndmask_b32 v93, v100, v99
	v_cmp_eq_u32_e32 vcc_lo, 3, v66
	v_cndmask_b32_e64 v93, v93, v101, s2
	v_cmp_eq_u32_e64 s2, 4, v66
	s_delay_alu instid0(VALU_DEP_2) | instskip(SKIP_1) | instid1(VALU_DEP_2)
	v_cndmask_b32_e32 v93, v93, v102, vcc_lo
	v_cmp_eq_u32_e32 vcc_lo, 5, v66
	v_cndmask_b32_e64 v93, v93, v97, s2
	v_cmp_eq_u32_e64 s2, 6, v66
	s_delay_alu instid0(VALU_DEP_2) | instskip(SKIP_1) | instid1(VALU_DEP_1)
	v_cndmask_b32_e32 v93, v93, v95, vcc_lo
	v_div_scale_f32 v94, s3, 1.0, v90, 1.0
	s_mov_b32 vcc_lo, s3
	s_delay_alu instid0(VALU_DEP_2) | instskip(NEXT) | instid1(VALU_DEP_2)
	v_cndmask_b32_e64 v82, v93, v82, s2
	v_mul_f32_e32 v96, v94, v92
	s_mov_b32 s2, exec_lo
	s_delay_alu instid0(VALU_DEP_2) | instskip(NEXT) | instid1(VALU_DEP_2)
	v_cndmask_b32_e64 v82, v82, v89, s4
	v_fma_f32 v98, -v91, v96, v94
	s_delay_alu instid0(VALU_DEP_1) | instskip(NEXT) | instid1(VALU_DEP_1)
	v_fmac_f32_e32 v96, v98, v92
	v_fma_f32 v91, -v91, v96, v94
	s_delay_alu instid0(VALU_DEP_1) | instskip(NEXT) | instid1(VALU_DEP_1)
	v_div_fmas_f32 v91, v91, v92, v96
	v_div_fixup_f32 v90, v91, v90, 1.0
	s_delay_alu instid0(VALU_DEP_1) | instskip(NEXT) | instid1(VALU_DEP_1)
	v_mul_f32_e32 v82, v82, v90
	v_mul_f32_e32 v87, v82, v87
	v_mul_f32_e32 v90, v82, v80
	v_mul_f32_e32 v80, v82, v88
	v_mul_f32_e32 v84, v82, v84
	v_mul_f32_e32 v88, v82, v86
	v_mul_f32_e32 v89, v82, v85
	v_dual_mul_f32 v86, v82, v83 :: v_dual_and_b32 v91, 0x7f800000, v90
	v_mul_f32_e32 v85, v82, v76
                                        ; implicit-def: $vgpr76
	s_delay_alu instid0(VALU_DEP_2)
	v_cmpx_ne_u32_e32 0x7f800000, v91
	s_xor_b32 s2, exec_lo, s2
; %bb.13:
	v_bfe_u32 v76, v90, 16, 1
	s_delay_alu instid0(VALU_DEP_1)
	v_add3_u32 v76, v90, v76, 0x7fff
                                        ; implicit-def: $vgpr90
; %bb.14:
	s_and_not1_saveexec_b32 s2, s2
; %bb.15:
	v_and_b32_e32 v76, 0xffff, v90
	v_or_b32_e32 v83, 0x10000, v90
	s_delay_alu instid0(VALU_DEP_2) | instskip(NEXT) | instid1(VALU_DEP_2)
	v_cmp_eq_u32_e32 vcc_lo, 0, v76
	v_cndmask_b32_e32 v76, v83, v90, vcc_lo
; %bb.16:
	s_or_b32 exec_lo, exec_lo, s2
	v_and_b32_e32 v83, 0x7f800000, v85
	s_delay_alu instid0(VALU_DEP_1) | instskip(SKIP_1) | instid1(SALU_CYCLE_1)
	v_cmp_ne_u32_e32 vcc_lo, 0x7f800000, v83
                                        ; implicit-def: $vgpr83
	s_and_saveexec_b32 s2, vcc_lo
	s_xor_b32 s2, exec_lo, s2
; %bb.17:
	v_bfe_u32 v83, v85, 16, 1
	s_delay_alu instid0(VALU_DEP_1)
	v_add3_u32 v83, v85, v83, 0x7fff
                                        ; implicit-def: $vgpr85
; %bb.18:
	s_and_not1_saveexec_b32 s2, s2
; %bb.19:
	v_and_b32_e32 v83, 0xffff, v85
	v_or_b32_e32 v90, 0x10000, v85
	s_delay_alu instid0(VALU_DEP_2) | instskip(NEXT) | instid1(VALU_DEP_2)
	v_cmp_eq_u32_e32 vcc_lo, 0, v83
	v_cndmask_b32_e32 v83, v90, v85, vcc_lo
; %bb.20:
	s_or_b32 exec_lo, exec_lo, s2
	v_and_b32_e32 v85, 0x7f800000, v86
	s_delay_alu instid0(VALU_DEP_1) | instskip(SKIP_1) | instid1(SALU_CYCLE_1)
	v_cmp_ne_u32_e32 vcc_lo, 0x7f800000, v85
                                        ; implicit-def: $vgpr85
	s_and_saveexec_b32 s2, vcc_lo
	s_xor_b32 s2, exec_lo, s2
; %bb.21:
	v_bfe_u32 v85, v86, 16, 1
	s_delay_alu instid0(VALU_DEP_1)
	v_add3_u32 v85, v86, v85, 0x7fff
                                        ; implicit-def: $vgpr86
; %bb.22:
	s_and_not1_saveexec_b32 s2, s2
; %bb.23:
	v_and_b32_e32 v85, 0xffff, v86
	v_or_b32_e32 v90, 0x10000, v86
	s_delay_alu instid0(VALU_DEP_2) | instskip(NEXT) | instid1(VALU_DEP_2)
	v_cmp_eq_u32_e32 vcc_lo, 0, v85
	v_cndmask_b32_e32 v85, v90, v86, vcc_lo
; %bb.24:
	s_or_b32 exec_lo, exec_lo, s2
	v_and_b32_e32 v86, 0x7f800000, v89
	s_delay_alu instid0(VALU_DEP_1) | instskip(SKIP_1) | instid1(SALU_CYCLE_1)
	v_cmp_ne_u32_e32 vcc_lo, 0x7f800000, v86
                                        ; implicit-def: $vgpr86
	s_and_saveexec_b32 s2, vcc_lo
	s_xor_b32 s2, exec_lo, s2
; %bb.25:
	v_bfe_u32 v86, v89, 16, 1
	s_delay_alu instid0(VALU_DEP_1)
	v_add3_u32 v86, v89, v86, 0x7fff
                                        ; implicit-def: $vgpr89
; %bb.26:
	s_and_not1_saveexec_b32 s2, s2
; %bb.27:
	v_and_b32_e32 v86, 0xffff, v89
	v_or_b32_e32 v90, 0x10000, v89
	s_delay_alu instid0(VALU_DEP_2) | instskip(NEXT) | instid1(VALU_DEP_2)
	v_cmp_eq_u32_e32 vcc_lo, 0, v86
	v_cndmask_b32_e32 v86, v90, v89, vcc_lo
; %bb.28:
	s_or_b32 exec_lo, exec_lo, s2
	v_and_b32_e32 v89, 0x7f800000, v88
	s_delay_alu instid0(VALU_DEP_1) | instskip(SKIP_1) | instid1(SALU_CYCLE_1)
	v_cmp_ne_u32_e32 vcc_lo, 0x7f800000, v89
                                        ; implicit-def: $vgpr89
	s_and_saveexec_b32 s2, vcc_lo
	s_xor_b32 s2, exec_lo, s2
; %bb.29:
	v_bfe_u32 v89, v88, 16, 1
	s_delay_alu instid0(VALU_DEP_1)
	v_add3_u32 v89, v88, v89, 0x7fff
                                        ; implicit-def: $vgpr88
; %bb.30:
	s_and_not1_saveexec_b32 s2, s2
; %bb.31:
	v_and_b32_e32 v89, 0xffff, v88
	v_or_b32_e32 v90, 0x10000, v88
	s_delay_alu instid0(VALU_DEP_2) | instskip(NEXT) | instid1(VALU_DEP_2)
	v_cmp_eq_u32_e32 vcc_lo, 0, v89
	v_cndmask_b32_e32 v89, v90, v88, vcc_lo
; %bb.32:
	s_or_b32 exec_lo, exec_lo, s2
	v_and_b32_e32 v88, 0x7f800000, v87
	s_delay_alu instid0(VALU_DEP_1) | instskip(SKIP_1) | instid1(SALU_CYCLE_1)
	v_cmp_ne_u32_e32 vcc_lo, 0x7f800000, v88
                                        ; implicit-def: $vgpr88
	s_and_saveexec_b32 s2, vcc_lo
	s_xor_b32 s2, exec_lo, s2
; %bb.33:
	v_bfe_u32 v88, v87, 16, 1
	s_delay_alu instid0(VALU_DEP_1)
	v_add3_u32 v88, v87, v88, 0x7fff
                                        ; implicit-def: $vgpr87
; %bb.34:
	s_and_not1_saveexec_b32 s2, s2
; %bb.35:
	v_and_b32_e32 v88, 0xffff, v87
	v_or_b32_e32 v90, 0x10000, v87
	s_delay_alu instid0(VALU_DEP_2) | instskip(NEXT) | instid1(VALU_DEP_2)
	v_cmp_eq_u32_e32 vcc_lo, 0, v88
	v_cndmask_b32_e32 v88, v90, v87, vcc_lo
; %bb.36:
	s_or_b32 exec_lo, exec_lo, s2
	v_and_b32_e32 v87, 0x7f800000, v84
	s_delay_alu instid0(VALU_DEP_1) | instskip(SKIP_1) | instid1(SALU_CYCLE_1)
	v_cmp_ne_u32_e32 vcc_lo, 0x7f800000, v87
                                        ; implicit-def: $vgpr87
	s_and_saveexec_b32 s2, vcc_lo
	s_xor_b32 s2, exec_lo, s2
; %bb.37:
	v_bfe_u32 v87, v84, 16, 1
	s_delay_alu instid0(VALU_DEP_1)
	v_add3_u32 v87, v84, v87, 0x7fff
                                        ; implicit-def: $vgpr84
; %bb.38:
	s_and_not1_saveexec_b32 s2, s2
; %bb.39:
	v_and_b32_e32 v87, 0xffff, v84
	v_or_b32_e32 v90, 0x10000, v84
	s_delay_alu instid0(VALU_DEP_2) | instskip(NEXT) | instid1(VALU_DEP_2)
	v_cmp_eq_u32_e32 vcc_lo, 0, v87
	v_cndmask_b32_e32 v87, v90, v84, vcc_lo
; %bb.40:
	s_or_b32 exec_lo, exec_lo, s2
	v_and_b32_e32 v84, 0x7f800000, v80
	s_delay_alu instid0(VALU_DEP_1) | instskip(SKIP_1) | instid1(SALU_CYCLE_1)
	v_cmp_ne_u32_e32 vcc_lo, 0x7f800000, v84
                                        ; implicit-def: $vgpr84
	s_and_saveexec_b32 s2, vcc_lo
	s_xor_b32 s2, exec_lo, s2
; %bb.41:
	v_bfe_u32 v84, v80, 16, 1
	s_delay_alu instid0(VALU_DEP_1)
	v_add3_u32 v84, v80, v84, 0x7fff
                                        ; implicit-def: $vgpr80
; %bb.42:
	s_and_not1_saveexec_b32 s2, s2
; %bb.43:
	v_and_b32_e32 v84, 0xffff, v80
	v_or_b32_e32 v90, 0x10000, v80
	s_delay_alu instid0(VALU_DEP_2) | instskip(NEXT) | instid1(VALU_DEP_2)
	v_cmp_eq_u32_e32 vcc_lo, 0, v84
	v_cndmask_b32_e32 v84, v90, v80, vcc_lo
; %bb.44:
	s_or_b32 exec_lo, exec_lo, s2
	s_load_b64 s[34:35], s[0:1], 0x94
	v_lshlrev_b32_e32 v91, 4, v74
	s_delay_alu instid0(VALU_DEP_2)
	v_perm_b32 v90, v84, v87, 0x7060302
	v_dual_mul_f32 v79, v82, v79 :: v_dual_lshlrev_b32 v80, 6, v65
	v_dual_mul_f32 v77, v82, v77 :: v_dual_lshlrev_b32 v92, 11, v66
	v_mul_f32_e32 v84, v82, v70
	v_perm_b32 v89, v88, v89, 0x7060302
	v_perm_b32 v88, v86, v85, 0x7060302
	;; [unrolled: 1-line block ×3, first 2 shown]
	v_mul_f32_e32 v70, v82, v81
	v_or3_b32 v76, v91, v92, v80
	v_dual_mul_f32 v78, v82, v78 :: v_dual_and_b32 v85, 0x7f800000, v84
	v_mul_f32_e32 v83, v82, v72
	v_mul_f32_e32 v81, v82, v71
	;; [unrolled: 1-line block ×3, first 2 shown]
	s_mov_b32 s2, exec_lo
	ds_store_b128 v76, v[87:90]
                                        ; implicit-def: $vgpr69
	v_cmpx_ne_u32_e32 0x7f800000, v85
	s_xor_b32 s2, exec_lo, s2
; %bb.45:
	v_bfe_u32 v69, v84, 16, 1
	s_delay_alu instid0(VALU_DEP_1)
	v_add3_u32 v69, v84, v69, 0x7fff
                                        ; implicit-def: $vgpr84
; %bb.46:
	s_and_not1_saveexec_b32 s2, s2
; %bb.47:
	v_and_b32_e32 v69, 0xffff, v84
	v_or_b32_e32 v71, 0x10000, v84
	s_delay_alu instid0(VALU_DEP_2) | instskip(NEXT) | instid1(VALU_DEP_2)
	v_cmp_eq_u32_e32 vcc_lo, 0, v69
	v_cndmask_b32_e32 v69, v71, v84, vcc_lo
; %bb.48:
	s_or_b32 exec_lo, exec_lo, s2
	v_and_b32_e32 v71, 0x7f800000, v72
	s_delay_alu instid0(VALU_DEP_1) | instskip(SKIP_1) | instid1(SALU_CYCLE_1)
	v_cmp_ne_u32_e32 vcc_lo, 0x7f800000, v71
                                        ; implicit-def: $vgpr71
	s_and_saveexec_b32 s2, vcc_lo
	s_xor_b32 s2, exec_lo, s2
; %bb.49:
	v_bfe_u32 v71, v72, 16, 1
	s_delay_alu instid0(VALU_DEP_1)
	v_add3_u32 v71, v72, v71, 0x7fff
                                        ; implicit-def: $vgpr72
; %bb.50:
	s_and_not1_saveexec_b32 s2, s2
; %bb.51:
	v_and_b32_e32 v71, 0xffff, v72
	v_or_b32_e32 v82, 0x10000, v72
	s_delay_alu instid0(VALU_DEP_2) | instskip(NEXT) | instid1(VALU_DEP_2)
	v_cmp_eq_u32_e32 vcc_lo, 0, v71
	v_cndmask_b32_e32 v71, v82, v72, vcc_lo
; %bb.52:
	s_or_b32 exec_lo, exec_lo, s2
	v_and_b32_e32 v72, 0x7f800000, v81
	s_delay_alu instid0(VALU_DEP_1) | instskip(SKIP_1) | instid1(SALU_CYCLE_1)
	v_cmp_ne_u32_e32 vcc_lo, 0x7f800000, v72
                                        ; implicit-def: $vgpr72
	s_and_saveexec_b32 s2, vcc_lo
	s_xor_b32 s2, exec_lo, s2
; %bb.53:
	v_bfe_u32 v72, v81, 16, 1
	s_delay_alu instid0(VALU_DEP_1)
	v_add3_u32 v72, v81, v72, 0x7fff
                                        ; implicit-def: $vgpr81
; %bb.54:
	s_and_not1_saveexec_b32 s2, s2
; %bb.55:
	v_and_b32_e32 v72, 0xffff, v81
	v_or_b32_e32 v82, 0x10000, v81
	s_delay_alu instid0(VALU_DEP_2) | instskip(NEXT) | instid1(VALU_DEP_2)
	v_cmp_eq_u32_e32 vcc_lo, 0, v72
	v_cndmask_b32_e32 v72, v82, v81, vcc_lo
; %bb.56:
	s_or_b32 exec_lo, exec_lo, s2
	v_and_b32_e32 v81, 0x7f800000, v83
	s_delay_alu instid0(VALU_DEP_1) | instskip(SKIP_1) | instid1(SALU_CYCLE_1)
	v_cmp_ne_u32_e32 vcc_lo, 0x7f800000, v81
                                        ; implicit-def: $vgpr81
	s_and_saveexec_b32 s2, vcc_lo
	s_xor_b32 s2, exec_lo, s2
; %bb.57:
	v_bfe_u32 v81, v83, 16, 1
	s_delay_alu instid0(VALU_DEP_1)
	v_add3_u32 v81, v83, v81, 0x7fff
                                        ; implicit-def: $vgpr83
; %bb.58:
	s_and_not1_saveexec_b32 s2, s2
; %bb.59:
	v_and_b32_e32 v81, 0xffff, v83
	v_or_b32_e32 v82, 0x10000, v83
	s_delay_alu instid0(VALU_DEP_2) | instskip(NEXT) | instid1(VALU_DEP_2)
	v_cmp_eq_u32_e32 vcc_lo, 0, v81
	v_cndmask_b32_e32 v81, v82, v83, vcc_lo
; %bb.60:
	s_or_b32 exec_lo, exec_lo, s2
	v_and_b32_e32 v82, 0x7f800000, v77
	s_delay_alu instid0(VALU_DEP_1) | instskip(SKIP_1) | instid1(SALU_CYCLE_1)
	v_cmp_ne_u32_e32 vcc_lo, 0x7f800000, v82
                                        ; implicit-def: $vgpr82
	s_and_saveexec_b32 s2, vcc_lo
	s_xor_b32 s2, exec_lo, s2
; %bb.61:
	v_bfe_u32 v82, v77, 16, 1
	s_delay_alu instid0(VALU_DEP_1)
	v_add3_u32 v82, v77, v82, 0x7fff
                                        ; implicit-def: $vgpr77
; %bb.62:
	s_and_not1_saveexec_b32 s2, s2
; %bb.63:
	v_and_b32_e32 v82, 0xffff, v77
	v_or_b32_e32 v83, 0x10000, v77
	s_delay_alu instid0(VALU_DEP_2) | instskip(NEXT) | instid1(VALU_DEP_2)
	v_cmp_eq_u32_e32 vcc_lo, 0, v82
	v_cndmask_b32_e32 v82, v83, v77, vcc_lo
; %bb.64:
	s_or_b32 exec_lo, exec_lo, s2
	v_and_b32_e32 v77, 0x7f800000, v78
	s_delay_alu instid0(VALU_DEP_1) | instskip(SKIP_1) | instid1(SALU_CYCLE_1)
	v_cmp_ne_u32_e32 vcc_lo, 0x7f800000, v77
                                        ; implicit-def: $vgpr77
	s_and_saveexec_b32 s2, vcc_lo
	s_xor_b32 s2, exec_lo, s2
; %bb.65:
	v_bfe_u32 v77, v78, 16, 1
	s_delay_alu instid0(VALU_DEP_1)
	v_add3_u32 v77, v78, v77, 0x7fff
                                        ; implicit-def: $vgpr78
; %bb.66:
	s_and_not1_saveexec_b32 s2, s2
; %bb.67:
	v_and_b32_e32 v77, 0xffff, v78
	v_or_b32_e32 v83, 0x10000, v78
	s_delay_alu instid0(VALU_DEP_2) | instskip(NEXT) | instid1(VALU_DEP_2)
	v_cmp_eq_u32_e32 vcc_lo, 0, v77
	v_cndmask_b32_e32 v77, v83, v78, vcc_lo
; %bb.68:
	s_or_b32 exec_lo, exec_lo, s2
	v_and_b32_e32 v78, 0x7f800000, v79
	s_delay_alu instid0(VALU_DEP_1) | instskip(SKIP_1) | instid1(SALU_CYCLE_1)
	v_cmp_ne_u32_e32 vcc_lo, 0x7f800000, v78
                                        ; implicit-def: $vgpr78
	s_and_saveexec_b32 s2, vcc_lo
	s_xor_b32 s2, exec_lo, s2
; %bb.69:
	v_bfe_u32 v78, v79, 16, 1
	s_delay_alu instid0(VALU_DEP_1)
	v_add3_u32 v78, v79, v78, 0x7fff
                                        ; implicit-def: $vgpr79
; %bb.70:
	s_and_not1_saveexec_b32 s2, s2
; %bb.71:
	v_and_b32_e32 v78, 0xffff, v79
	v_or_b32_e32 v83, 0x10000, v79
	s_delay_alu instid0(VALU_DEP_2) | instskip(NEXT) | instid1(VALU_DEP_2)
	v_cmp_eq_u32_e32 vcc_lo, 0, v78
	v_cndmask_b32_e32 v78, v83, v79, vcc_lo
; %bb.72:
	s_or_b32 exec_lo, exec_lo, s2
	v_and_b32_e32 v79, 0x7f800000, v70
	s_delay_alu instid0(VALU_DEP_1) | instskip(SKIP_1) | instid1(SALU_CYCLE_1)
	v_cmp_ne_u32_e32 vcc_lo, 0x7f800000, v79
                                        ; implicit-def: $vgpr79
	s_and_saveexec_b32 s2, vcc_lo
	s_xor_b32 s2, exec_lo, s2
; %bb.73:
	v_bfe_u32 v79, v70, 16, 1
	s_delay_alu instid0(VALU_DEP_1)
	v_add3_u32 v79, v70, v79, 0x7fff
                                        ; implicit-def: $vgpr70
; %bb.74:
	s_and_not1_saveexec_b32 s2, s2
; %bb.75:
	v_and_b32_e32 v79, 0xffff, v70
	v_or_b32_e32 v83, 0x10000, v70
	s_delay_alu instid0(VALU_DEP_2) | instskip(NEXT) | instid1(VALU_DEP_2)
	v_cmp_eq_u32_e32 vcc_lo, 0, v79
	v_cndmask_b32_e32 v79, v83, v70, vcc_lo
; %bb.76:
	s_or_b32 exec_lo, exec_lo, s2
	s_delay_alu instid0(VALU_DEP_1)
	v_perm_b32 v86, v79, v78, 0x7060302
	v_perm_b32 v85, v77, v82, 0x7060302
	;; [unrolled: 1-line block ×4, first 2 shown]
	v_lshl_or_b32 v82, v66, 11, v80
	ds_store_b128 v76, v[83:86] offset:1024
	s_waitcnt lgkmcnt(0)
	s_barrier
	buffer_gl0_inv
	ds_load_b128 v[69:72], v82
	ds_load_b128 v[83:86], v82 offset:16
	s_waitcnt lgkmcnt(1)
	v_lshrrev_b32_e32 v66, 16, v69
	s_waitcnt lgkmcnt(0)
	v_lshrrev_b32_e32 v91, 16, v83
	v_lshlrev_b32_e32 v78, 2, v74
	v_lshrrev_b32_e32 v95, 16, v70
	v_lshrrev_b32_e32 v98, 16, v84
	;; [unrolled: 1-line block ×4, first 2 shown]
	v_cmp_eq_u32_e32 vcc_lo, 1, v78
	v_lshrrev_b32_e32 v97, 16, v72
	v_lshrrev_b32_e32 v100, 16, v86
	v_cndmask_b32_e32 v87, v83, v91, vcc_lo
	v_or_b32_e32 v79, 1, v78
	v_cndmask_b32_e32 v81, v69, v66, vcc_lo
	v_cmp_eq_u32_e64 s3, 2, v78
	v_cmp_eq_u32_e64 s6, 3, v78
	;; [unrolled: 1-line block ×5, first 2 shown]
	v_cndmask_b32_e64 v81, v81, v70, s3
	v_cndmask_b32_e64 v87, v87, v84, s3
	v_cmp_eq_u32_e64 s7, 3, v79
	v_cndmask_b32_e64 v88, v69, v66, s2
	v_or_b32_e32 v77, 2, v78
	v_cndmask_b32_e64 v81, v81, v95, s6
	v_cndmask_b32_e64 v87, v87, v98, s6
	;; [unrolled: 1-line block ×4, first 2 shown]
	v_cmp_eq_u32_e64 s9, 5, v78
	v_cndmask_b32_e64 v81, v81, v71, s8
	v_cndmask_b32_e64 v87, v87, v85, s8
	v_cmp_eq_u32_e64 s10, 4, v79
	v_cndmask_b32_e64 v88, v88, v95, s7
	v_cmp_eq_u32_e64 s4, 1, v77
	v_cndmask_b32_e64 v89, v89, v84, s5
	v_cndmask_b32_e64 v81, v81, v96, s9
	v_cmp_eq_u32_e64 s11, 6, v78
	v_cndmask_b32_e64 v88, v88, v71, s10
	;; [unrolled: 3-line block ×3, first 2 shown]
	v_cndmask_b32_e64 v89, v89, v98, s7
	v_cndmask_b32_e64 v81, v81, v72, s11
	v_cmp_eq_u32_e64 s13, 7, v78
	v_cndmask_b32_e64 v88, v88, v96, s12
	v_cndmask_b32_e64 v87, v87, v86, s11
	v_cmp_eq_u32_e64 s15, 6, v79
	v_cmp_eq_u32_e64 s16, 2, v77
	v_cndmask_b32_e64 v89, v89, v85, s10
	v_cndmask_b32_e64 v101, v81, v97, s13
	;; [unrolled: 1-line block ×6, first 2 shown]
	v_cmp_eq_u32_e64 s17, 7, v79
	v_cmp_eq_u32_e64 s18, 3, v77
	;; [unrolled: 1-line block ×4, first 2 shown]
	v_cndmask_b32_e64 v87, v87, v84, s16
	v_cndmask_b32_e64 v103, v88, v97, s17
	;; [unrolled: 1-line block ×4, first 2 shown]
	v_or_b32_e32 v81, 3, v78
	v_cndmask_b32_e64 v93, v87, v98, s18
	v_cmp_eq_u32_e64 s23, 6, v77
	v_cndmask_b32_e64 v104, v88, v86, s15
	v_cndmask_b32_e64 v92, v89, v71, s19
	v_cmp_eq_u32_e64 s20, 1, v81
	ds_load_b128 v[87:90], v82 offset:1024
	v_cmp_eq_u32_e64 s22, 2, v81
	v_cmp_eq_u32_e64 s24, 3, v81
	v_cndmask_b32_e64 v105, v92, v96, s21
	v_cndmask_b32_e64 v66, v69, v66, s20
	v_cndmask_b32_e64 v69, v93, v85, s19
	v_cndmask_b32_e64 v83, v83, v91, s20
	ds_load_b128 v[91:94], v82 offset:1040
	v_cmp_eq_u32_e64 s25, 4, v81
	v_cndmask_b32_e64 v66, v66, v70, s22
	v_cmp_eq_u32_e64 s26, 7, v77
	v_cndmask_b32_e64 v70, v83, v84, s22
	v_cndmask_b32_e64 v84, v105, v72, s23
	v_cmp_eq_u32_e64 s27, 5, v81
	v_cndmask_b32_e64 v66, v66, v95, s24
	v_cmp_eq_u32_e64 s28, 6, v81
	v_cndmask_b32_e64 v70, v70, v98, s24
	v_cndmask_b32_e64 v69, v69, v99, s21
	;; [unrolled: 1-line block ×4, first 2 shown]
	s_waitcnt lgkmcnt(1)
	v_lshrrev_b32_e32 v95, 16, v87
	v_cndmask_b32_e64 v70, v70, v85, s25
	v_cndmask_b32_e64 v71, v84, v97, s26
	;; [unrolled: 1-line block ×4, first 2 shown]
	v_cndmask_b32_e32 v84, v87, v95, vcc_lo
	v_cndmask_b32_e64 v70, v70, v99, s27
	s_waitcnt lgkmcnt(0)
	v_lshrrev_b32_e32 v85, 16, v91
	v_lshrrev_b32_e32 v96, 16, v88
	v_cndmask_b32_e64 v98, v87, v95, s2
	v_cndmask_b32_e64 v84, v84, v88, s3
	;; [unrolled: 1-line block ×3, first 2 shown]
	v_cndmask_b32_e32 v99, v91, v85, vcc_lo
	v_cmp_eq_u32_e32 vcc_lo, 7, v81
	v_cndmask_b32_e64 v66, v66, v72, s28
	v_cndmask_b32_e64 v72, v84, v96, s6
	;; [unrolled: 1-line block ×3, first 2 shown]
	v_lshrrev_b32_e32 v98, 16, v92
	v_cndmask_b32_e32 v70, v70, v100, vcc_lo
	v_cndmask_b32_e64 v86, v99, v92, s3
	v_cndmask_b32_e64 v69, v69, v100, s26
	v_lshrrev_b32_e32 v100, 16, v93
	v_cndmask_b32_e64 v72, v72, v89, s8
	v_lshrrev_b32_e32 v99, 16, v89
	v_cndmask_b32_e64 v86, v86, v98, s6
	v_perm_b32 v71, v69, v71, 0x5040100
	v_cndmask_b32_e64 v84, v84, v96, s7
	s_delay_alu instid0(VALU_DEP_3) | instskip(NEXT) | instid1(VALU_DEP_2)
	v_cndmask_b32_e64 v86, v86, v93, s8
	v_cndmask_b32_e64 v84, v84, v89, s10
	s_delay_alu instid0(VALU_DEP_2) | instskip(NEXT) | instid1(VALU_DEP_1)
	v_cndmask_b32_e64 v86, v86, v100, s9
	v_cndmask_b32_e64 v69, v86, v94, s11
	v_cndmask_b32_e64 v86, v87, v95, s4
	v_cndmask_b32_e64 v87, v87, v95, s20
	v_cndmask_b32_e64 v95, v91, v85, s20
	s_delay_alu instid0(VALU_DEP_3) | instskip(NEXT) | instid1(VALU_DEP_3)
	v_cndmask_b32_e64 v86, v86, v88, s16
	v_cndmask_b32_e64 v87, v87, v88, s22
	s_delay_alu instid0(VALU_DEP_3) | instskip(NEXT) | instid1(VALU_DEP_3)
	v_cndmask_b32_e64 v88, v95, v92, s22
	v_cndmask_b32_e64 v86, v86, v96, s18
	s_delay_alu instid0(VALU_DEP_3) | instskip(NEXT) | instid1(VALU_DEP_3)
	v_cndmask_b32_e64 v87, v87, v96, s24
	v_cndmask_b32_e64 v88, v88, v98, s24
	s_delay_alu instid0(VALU_DEP_3) | instskip(NEXT) | instid1(VALU_DEP_3)
	v_cndmask_b32_e64 v86, v86, v89, s19
	v_cndmask_b32_e64 v87, v87, v89, s25
	s_delay_alu instid0(VALU_DEP_3) | instskip(NEXT) | instid1(VALU_DEP_3)
	v_cndmask_b32_e64 v88, v88, v93, s25
	v_cndmask_b32_e64 v86, v86, v99, s21
	s_delay_alu instid0(VALU_DEP_3) | instskip(NEXT) | instid1(VALU_DEP_3)
	v_cndmask_b32_e64 v87, v87, v99, s27
	v_cndmask_b32_e64 v88, v88, v100, s27
	s_delay_alu instid0(VALU_DEP_3) | instskip(NEXT) | instid1(VALU_DEP_3)
	v_cndmask_b32_e64 v86, v86, v90, s23
	v_cndmask_b32_e64 v87, v87, v90, s28
	s_delay_alu instid0(VALU_DEP_3) | instskip(SKIP_2) | instid1(VALU_DEP_2)
	v_cndmask_b32_e64 v88, v88, v94, s28
	v_cndmask_b32_e32 v66, v66, v97, vcc_lo
	v_cndmask_b32_e64 v97, v72, v99, s9
	v_perm_b32 v72, v70, v66, 0x5040100
	v_perm_b32 v70, v83, v103, 0x5040100
	v_cndmask_b32_e64 v103, v91, v85, s4
	v_cndmask_b32_e64 v85, v91, v85, s2
	;; [unrolled: 1-line block ×4, first 2 shown]
	v_lshrrev_b32_e32 v97, 16, v90
	v_cndmask_b32_e64 v91, v103, v92, s16
	v_cndmask_b32_e64 v85, v85, v92, s5
	;; [unrolled: 1-line block ×3, first 2 shown]
	s_mov_b32 s2, exec_lo
	v_cndmask_b32_e64 v83, v84, v97, s13
	v_cndmask_b32_e64 v91, v91, v98, s18
	;; [unrolled: 1-line block ×3, first 2 shown]
	v_lshrrev_b32_e32 v84, 16, v94
	v_cndmask_b32_e64 v66, v66, v97, s17
	v_cndmask_b32_e64 v90, v86, v97, s26
	;; [unrolled: 1-line block ×4, first 2 shown]
	v_dual_cndmask_b32 v86, v87, v97 :: v_dual_cndmask_b32 v87, v88, v84
	v_cndmask_b32_e64 v91, v69, v84, s13
	s_delay_alu instid0(VALU_DEP_4) | instskip(NEXT) | instid1(VALU_DEP_4)
	v_cndmask_b32_e64 v89, v89, v100, s21
	v_cndmask_b32_e64 v85, v85, v100, s12
	v_perm_b32 v69, v102, v101, 0x5040100
	v_perm_b32 v86, v87, v86, 0x5040100
	;; [unrolled: 1-line block ×3, first 2 shown]
	v_cndmask_b32_e64 v89, v89, v94, s23
	v_cndmask_b32_e64 v85, v85, v94, s15
	s_mul_i32 s7, s35, 14
	s_delay_alu instid0(VALU_DEP_2) | instskip(NEXT) | instid1(VALU_DEP_2)
	v_cndmask_b32_e64 v88, v89, v84, s26
	v_cndmask_b32_e64 v89, v85, v84, s17
	s_delay_alu instid0(VALU_DEP_2) | instskip(NEXT) | instid1(VALU_DEP_2)
	v_perm_b32 v85, v88, v90, 0x5040100
	v_perm_b32 v84, v89, v66, 0x5040100
	ds_store_b128 v76, v[69:72]
	ds_store_b128 v76, v[83:86] offset:1024
	v_cmpx_gt_u32_e32 14, v0
	s_cbranch_execz .LBB1915_78
; %bb.77:
	s_mul_i32 s3, s7, s30
	s_load_b128 s[8:11], s[0:1], 0x58
	v_add3_u32 v69, s3, s29, v65
	s_delay_alu instid0(VALU_DEP_1) | instskip(NEXT) | instid1(VALU_DEP_1)
	v_mad_u64_u32 v[65:66], null, v69, s34, s[14:15]
	v_ashrrev_i32_e32 v66, 31, v65
	s_delay_alu instid0(VALU_DEP_1) | instskip(SKIP_1) | instid1(VALU_DEP_1)
	v_lshlrev_b64 v[65:66], 2, v[65:66]
	s_waitcnt lgkmcnt(0)
	v_add_co_u32 v69, vcc_lo, s10, v65
	s_delay_alu instid0(VALU_DEP_2)
	v_add_co_ci_u32_e32 v70, vcc_lo, s11, v66, vcc_lo
	v_add_co_u32 v65, vcc_lo, s8, v65
	v_add_co_ci_u32_e32 v66, vcc_lo, s9, v66, vcc_lo
	global_store_b32 v[69:70], v67, off
	global_store_b32 v[65:66], v68, off
.LBB1915_78:
	s_or_b32 exec_lo, exec_lo, s2
	s_waitcnt lgkmcnt(0)
	s_waitcnt_vscnt null, 0x0
	s_barrier
	buffer_gl0_inv
	ds_load_b128 v[83:86], v80
	ds_load_b128 v[87:90], v80 offset:16
	ds_load_b128 v[95:98], v80 offset:2064
	ds_load_b128 v[91:94], v80 offset:2048
	v_mov_b32_e32 v65, 0
	ds_load_b128 v[103:106], v80 offset:4112
	ds_load_b128 v[99:102], v80 offset:4096
	ds_load_b128 v[111:114], v80 offset:6160
	ds_load_b128 v[107:110], v80 offset:6144
	v_mov_b32_e32 v66, v65
	v_mov_b32_e32 v67, v65
	;; [unrolled: 1-line block ×7, first 2 shown]
	s_waitcnt lgkmcnt(6)
	s_delay_alu instid0(VALU_DEP_1)
	v_wmma_f32_16x16x16_bf16 v[65:72], v[49:56], v[83:90], v[65:72]
	ds_load_b128 v[53:56], v80 offset:8208
	ds_load_b128 v[49:52], v80 offset:8192
	s_waitcnt lgkmcnt(6)
	v_wmma_f32_16x16x16_bf16 v[65:72], v[41:48], v[91:98], v[65:72]
	ds_load_b128 v[45:48], v80 offset:10256
	ds_load_b128 v[41:44], v80 offset:10240
	s_waitcnt lgkmcnt(6)
	v_wmma_f32_16x16x16_bf16 v[65:72], v[33:40], v[99:106], v[65:72]
	ds_load_b128 v[37:40], v80 offset:12304
	ds_load_b128 v[33:36], v80 offset:12288
	s_waitcnt lgkmcnt(6)
	v_wmma_f32_16x16x16_bf16 v[65:72], v[25:32], v[107:114], v[65:72]
	ds_load_b128 v[29:32], v80 offset:14352
	ds_load_b128 v[25:28], v80 offset:14336
	s_waitcnt lgkmcnt(6)
	v_wmma_f32_16x16x16_bf16 v[65:72], v[1:8], v[49:56], v[65:72]
	s_waitcnt lgkmcnt(4)
	s_delay_alu instid0(VALU_DEP_1) | instskip(SKIP_1) | instid1(VALU_DEP_1)
	v_wmma_f32_16x16x16_bf16 v[65:72], v[9:16], v[41:48], v[65:72]
	s_waitcnt lgkmcnt(2)
	v_wmma_f32_16x16x16_bf16 v[65:72], v[17:24], v[33:40], v[65:72]
	s_waitcnt lgkmcnt(0)
	s_delay_alu instid0(VALU_DEP_1) | instskip(NEXT) | instid1(VALU_DEP_1)
	v_wmma_f32_16x16x16_bf16 v[65:72], v[57:64], v[25:32], v[65:72]
	v_and_b32_e32 v1, 0x7f800000, v65
	s_delay_alu instid0(VALU_DEP_1) | instskip(SKIP_1) | instid1(SALU_CYCLE_1)
	v_cmp_ne_u32_e32 vcc_lo, 0x7f800000, v1
                                        ; implicit-def: $vgpr1
	s_and_saveexec_b32 s2, vcc_lo
	s_xor_b32 s2, exec_lo, s2
; %bb.79:
	v_bfe_u32 v1, v65, 16, 1
	s_delay_alu instid0(VALU_DEP_1)
	v_add3_u32 v1, v65, v1, 0x7fff
; %bb.80:
	s_and_not1_saveexec_b32 s2, s2
; %bb.81:
	v_and_b32_e32 v1, 0xffff, v65
	v_or_b32_e32 v2, 0x10000, v65
	s_delay_alu instid0(VALU_DEP_2) | instskip(NEXT) | instid1(VALU_DEP_2)
	v_cmp_eq_u32_e32 vcc_lo, 0, v1
	v_cndmask_b32_e32 v1, v2, v65, vcc_lo
; %bb.82:
	s_or_b32 exec_lo, exec_lo, s2
	v_and_b32_e32 v2, 0x7f800000, v66
	s_delay_alu instid0(VALU_DEP_1) | instskip(SKIP_1) | instid1(SALU_CYCLE_1)
	v_cmp_ne_u32_e32 vcc_lo, 0x7f800000, v2
                                        ; implicit-def: $vgpr2
	s_and_saveexec_b32 s2, vcc_lo
	s_xor_b32 s2, exec_lo, s2
; %bb.83:
	v_bfe_u32 v2, v66, 16, 1
	s_delay_alu instid0(VALU_DEP_1)
	v_add3_u32 v2, v66, v2, 0x7fff
; %bb.84:
	s_and_not1_saveexec_b32 s2, s2
; %bb.85:
	v_and_b32_e32 v2, 0xffff, v66
	v_or_b32_e32 v3, 0x10000, v66
	s_delay_alu instid0(VALU_DEP_2) | instskip(NEXT) | instid1(VALU_DEP_2)
	v_cmp_eq_u32_e32 vcc_lo, 0, v2
	v_cndmask_b32_e32 v2, v3, v66, vcc_lo
; %bb.86:
	s_or_b32 exec_lo, exec_lo, s2
	v_and_b32_e32 v3, 0x7f800000, v67
	s_delay_alu instid0(VALU_DEP_1) | instskip(SKIP_1) | instid1(SALU_CYCLE_1)
	v_cmp_ne_u32_e32 vcc_lo, 0x7f800000, v3
                                        ; implicit-def: $vgpr3
	s_and_saveexec_b32 s2, vcc_lo
	s_xor_b32 s2, exec_lo, s2
; %bb.87:
	v_bfe_u32 v3, v67, 16, 1
	s_delay_alu instid0(VALU_DEP_1)
	v_add3_u32 v3, v67, v3, 0x7fff
; %bb.88:
	s_and_not1_saveexec_b32 s2, s2
; %bb.89:
	v_and_b32_e32 v3, 0xffff, v67
	v_or_b32_e32 v4, 0x10000, v67
	s_delay_alu instid0(VALU_DEP_2) | instskip(NEXT) | instid1(VALU_DEP_2)
	v_cmp_eq_u32_e32 vcc_lo, 0, v3
	v_cndmask_b32_e32 v3, v4, v67, vcc_lo
; %bb.90:
	s_or_b32 exec_lo, exec_lo, s2
	v_and_b32_e32 v4, 0x7f800000, v68
	s_delay_alu instid0(VALU_DEP_1) | instskip(SKIP_1) | instid1(SALU_CYCLE_1)
	v_cmp_ne_u32_e32 vcc_lo, 0x7f800000, v4
                                        ; implicit-def: $vgpr4
	s_and_saveexec_b32 s2, vcc_lo
	s_xor_b32 s2, exec_lo, s2
; %bb.91:
	v_bfe_u32 v4, v68, 16, 1
	s_delay_alu instid0(VALU_DEP_1)
	v_add3_u32 v4, v68, v4, 0x7fff
; %bb.92:
	s_and_not1_saveexec_b32 s2, s2
; %bb.93:
	v_and_b32_e32 v4, 0xffff, v68
	v_or_b32_e32 v5, 0x10000, v68
	s_delay_alu instid0(VALU_DEP_2) | instskip(NEXT) | instid1(VALU_DEP_2)
	v_cmp_eq_u32_e32 vcc_lo, 0, v4
	v_cndmask_b32_e32 v4, v5, v68, vcc_lo
; %bb.94:
	s_or_b32 exec_lo, exec_lo, s2
	v_and_b32_e32 v5, 0x7f800000, v69
	s_delay_alu instid0(VALU_DEP_1) | instskip(SKIP_1) | instid1(SALU_CYCLE_1)
	v_cmp_ne_u32_e32 vcc_lo, 0x7f800000, v5
                                        ; implicit-def: $vgpr5
	s_and_saveexec_b32 s2, vcc_lo
	s_xor_b32 s2, exec_lo, s2
; %bb.95:
	v_bfe_u32 v5, v69, 16, 1
	s_delay_alu instid0(VALU_DEP_1)
	v_add3_u32 v5, v69, v5, 0x7fff
; %bb.96:
	s_and_not1_saveexec_b32 s2, s2
; %bb.97:
	v_and_b32_e32 v5, 0xffff, v69
	v_or_b32_e32 v6, 0x10000, v69
	s_delay_alu instid0(VALU_DEP_2) | instskip(NEXT) | instid1(VALU_DEP_2)
	v_cmp_eq_u32_e32 vcc_lo, 0, v5
	v_cndmask_b32_e32 v5, v6, v69, vcc_lo
; %bb.98:
	s_or_b32 exec_lo, exec_lo, s2
	v_and_b32_e32 v6, 0x7f800000, v70
	s_delay_alu instid0(VALU_DEP_1) | instskip(SKIP_1) | instid1(SALU_CYCLE_1)
	v_cmp_ne_u32_e32 vcc_lo, 0x7f800000, v6
                                        ; implicit-def: $vgpr6
	s_and_saveexec_b32 s2, vcc_lo
	s_xor_b32 s2, exec_lo, s2
; %bb.99:
	v_bfe_u32 v6, v70, 16, 1
	s_delay_alu instid0(VALU_DEP_1)
	v_add3_u32 v6, v70, v6, 0x7fff
; %bb.100:
	s_and_not1_saveexec_b32 s2, s2
; %bb.101:
	v_and_b32_e32 v6, 0xffff, v70
	v_or_b32_e32 v7, 0x10000, v70
	s_delay_alu instid0(VALU_DEP_2) | instskip(NEXT) | instid1(VALU_DEP_2)
	v_cmp_eq_u32_e32 vcc_lo, 0, v6
	v_cndmask_b32_e32 v6, v7, v70, vcc_lo
; %bb.102:
	s_or_b32 exec_lo, exec_lo, s2
	v_and_b32_e32 v7, 0x7f800000, v71
	s_delay_alu instid0(VALU_DEP_1) | instskip(SKIP_1) | instid1(SALU_CYCLE_1)
	v_cmp_ne_u32_e32 vcc_lo, 0x7f800000, v7
                                        ; implicit-def: $vgpr7
	s_and_saveexec_b32 s2, vcc_lo
	s_xor_b32 s2, exec_lo, s2
; %bb.103:
	v_bfe_u32 v7, v71, 16, 1
	s_delay_alu instid0(VALU_DEP_1)
	v_add3_u32 v7, v71, v7, 0x7fff
; %bb.104:
	s_and_not1_saveexec_b32 s2, s2
; %bb.105:
	v_and_b32_e32 v7, 0xffff, v71
	v_or_b32_e32 v8, 0x10000, v71
	s_delay_alu instid0(VALU_DEP_2) | instskip(NEXT) | instid1(VALU_DEP_2)
	v_cmp_eq_u32_e32 vcc_lo, 0, v7
	v_cndmask_b32_e32 v7, v8, v71, vcc_lo
; %bb.106:
	s_or_b32 exec_lo, exec_lo, s2
	v_and_b32_e32 v8, 0x7f800000, v72
	s_delay_alu instid0(VALU_DEP_1) | instskip(SKIP_1) | instid1(SALU_CYCLE_1)
	v_cmp_ne_u32_e32 vcc_lo, 0x7f800000, v8
                                        ; implicit-def: $vgpr8
	s_and_saveexec_b32 s2, vcc_lo
	s_xor_b32 s2, exec_lo, s2
; %bb.107:
	v_bfe_u32 v8, v72, 16, 1
	s_delay_alu instid0(VALU_DEP_1)
	v_add3_u32 v8, v72, v8, 0x7fff
                                        ; implicit-def: $vgpr65_vgpr66_vgpr67_vgpr68_vgpr69_vgpr70_vgpr71_vgpr72
; %bb.108:
	s_and_not1_saveexec_b32 s2, s2
; %bb.109:
	v_and_b32_e32 v8, 0xffff, v72
	v_or_b32_e32 v9, 0x10000, v72
	s_delay_alu instid0(VALU_DEP_2) | instskip(NEXT) | instid1(VALU_DEP_2)
	v_cmp_eq_u32_e32 vcc_lo, 0, v8
	v_cndmask_b32_e32 v8, v9, v72, vcc_lo
; %bb.110:
	s_or_b32 exec_lo, exec_lo, s2
	s_delay_alu instid0(VALU_DEP_1)
	v_perm_b32 v7, v8, v7, 0x7060302
	v_perm_b32 v6, v6, v5, 0x7060302
	;; [unrolled: 1-line block ×4, first 2 shown]
	s_barrier
	buffer_gl0_inv
	v_cmp_eq_u32_e32 vcc_lo, 1, v78
	ds_store_b128 v76, v[4:7]
	s_waitcnt lgkmcnt(0)
	s_barrier
	buffer_gl0_inv
	ds_load_b128 v[1:4], v82
	ds_load_b128 v[5:8], v82 offset:16
	v_cmp_eq_u32_e64 s2, 1, v79
	v_cmp_eq_u32_e64 s3, 2, v78
	;; [unrolled: 1-line block ×5, first 2 shown]
	s_waitcnt lgkmcnt(1)
	v_lshrrev_b32_e32 v9, 16, v1
	s_waitcnt lgkmcnt(0)
	v_lshrrev_b32_e32 v13, 16, v5
	v_lshrrev_b32_e32 v10, 16, v2
	;; [unrolled: 1-line block ×4, first 2 shown]
	v_cndmask_b32_e64 v19, v1, v9, s2
	v_cndmask_b32_e32 v18, v5, v13, vcc_lo
	v_cndmask_b32_e64 v20, v5, v13, s2
	v_cndmask_b32_e32 v17, v1, v9, vcc_lo
	v_cmp_eq_u32_e32 vcc_lo, 2, v79
	v_lshrrev_b32_e32 v15, 16, v7
	v_cmp_eq_u32_e64 s2, 1, v77
	v_lshrrev_b32_e32 v12, 16, v4
	v_lshrrev_b32_e32 v16, 16, v8
	v_cndmask_b32_e32 v20, v20, v6, vcc_lo
	v_cndmask_b32_e64 v17, v17, v2, s3
	v_cndmask_b32_e32 v19, v19, v2, vcc_lo
	v_cndmask_b32_e64 v18, v18, v6, s3
	v_cmp_eq_u32_e32 vcc_lo, 4, v78
	v_cmp_eq_u32_e64 s3, 3, v79
	v_cndmask_b32_e64 v17, v17, v10, s4
	v_cndmask_b32_e64 v21, v1, v9, s2
	;; [unrolled: 1-line block ×5, first 2 shown]
	v_cndmask_b32_e32 v17, v17, v3, vcc_lo
	v_cndmask_b32_e64 v20, v20, v14, s3
	v_cndmask_b32_e32 v18, v18, v7, vcc_lo
	v_cmp_eq_u32_e32 vcc_lo, 4, v79
	v_cmp_eq_u32_e64 s3, 5, v79
	v_cmp_eq_u32_e64 s2, 2, v81
	v_cndmask_b32_e64 v21, v21, v2, s6
	v_cmp_eq_u32_e64 s4, 5, v78
	v_cndmask_b32_e32 v19, v19, v3, vcc_lo
	v_cndmask_b32_e32 v20, v20, v7, vcc_lo
	v_cmp_eq_u32_e32 vcc_lo, 6, v79
	s_delay_alu instid0(VALU_DEP_4) | instskip(NEXT) | instid1(VALU_DEP_4)
	v_cndmask_b32_e64 v17, v17, v11, s4
	v_cndmask_b32_e64 v19, v19, v11, s3
	s_delay_alu instid0(VALU_DEP_4) | instskip(SKIP_1) | instid1(VALU_DEP_3)
	v_cndmask_b32_e64 v20, v20, v15, s3
	v_cmp_eq_u32_e64 s3, 1, v81
	v_cndmask_b32_e32 v19, v19, v4, vcc_lo
	v_cndmask_b32_e64 v18, v18, v15, s4
	s_delay_alu instid0(VALU_DEP_3)
	v_cndmask_b32_e64 v1, v1, v9, s3
	v_cndmask_b32_e64 v5, v5, v13, s3
	v_cmp_eq_u32_e64 s3, 3, v77
	v_cndmask_b32_e64 v13, v22, v6, s6
	v_cmp_eq_u32_e64 s6, 3, v81
	v_cndmask_b32_e64 v1, v1, v2, s2
	v_cndmask_b32_e64 v2, v5, v6, s2
	;; [unrolled: 1-line block ×3, first 2 shown]
	v_cmp_eq_u32_e64 s2, 4, v77
	v_cndmask_b32_e64 v6, v13, v14, s3
	v_cndmask_b32_e64 v1, v1, v10, s6
	v_cmp_eq_u32_e64 s3, 4, v81
	v_cndmask_b32_e64 v2, v2, v14, s6
	v_cndmask_b32_e64 v5, v9, v3, s2
	;; [unrolled: 3-line block ×3, first 2 shown]
	v_cndmask_b32_e64 v2, v2, v7, s3
	v_cmp_eq_u32_e64 s2, 5, v81
	v_cmp_eq_u32_e64 s4, 6, v78
	v_cndmask_b32_e64 v5, v5, v11, s6
	v_cmp_eq_u32_e64 s3, 6, v77
	v_cndmask_b32_e64 v3, v6, v15, s6
	v_cndmask_b32_e64 v1, v1, v11, s2
	v_cmp_eq_u32_e64 s6, 6, v81
	v_cndmask_b32_e64 v2, v2, v15, s2
	v_cndmask_b32_e64 v17, v17, v4, s4
	v_cndmask_b32_e64 v18, v18, v8, s4
	v_cmp_eq_u32_e64 s4, 7, v78
	v_cndmask_b32_e64 v5, v5, v4, s3
	;; [unrolled: 4-line block ×3, first 2 shown]
	v_cmp_eq_u32_e64 s3, 7, v77
	v_cndmask_b32_e32 v4, v20, v8, vcc_lo
	v_cndmask_b32_e64 v17, v17, v12, s4
	v_cndmask_b32_e64 v19, v19, v12, s5
	;; [unrolled: 1-line block ×8, first 2 shown]
	s_mov_b32 s2, exec_lo
	v_perm_b32 v4, v2, v1, 0x5040100
	v_perm_b32 v3, v3, v5, 0x5040100
	v_perm_b32 v2, v6, v19, 0x5040100
	v_perm_b32 v1, v7, v17, 0x5040100
	ds_store_b128 v76, v[1:4]
	s_waitcnt lgkmcnt(0)
	s_barrier
	buffer_gl0_inv
	v_cmpx_gt_u32_e32 32, v0
	s_cbranch_execz .LBB1915_2
; %bb.111:
	s_load_b64 s[0:1], s[0:1], 0x68
	v_lshlrev_b32_e32 v0, 10, v0
	s_lshl_b32 s4, s34, 7
	v_or_b32_e32 v3, s29, v74
	s_mul_i32 s2, s4, s30
	v_lshlrev_b32_e32 v1, 4, v75
	v_lshlrev_b32_e32 v2, 6, v74
	v_and_b32_e32 v0, 0x3800, v0
	s_mul_i32 s2, s2, s7
	v_mul_lo_u32 v8, v3, s4
	s_ashr_i32 s3, s2, 31
	s_delay_alu instid0(SALU_CYCLE_1)
	s_lshl_b64 s[2:3], s[2:3], 1
	v_or3_b32 v16, v0, v1, v2
	ds_load_b128 v[0:3], v16
	ds_load_b128 v[4:7], v16 offset:128
	v_ashrrev_i32_e32 v9, 31, v8
	s_waitcnt lgkmcnt(0)
	s_add_u32 s2, s0, s2
	s_addc_u32 s3, s1, s3
	s_lshl_b32 s0, s14, 7
	s_delay_alu instid0(SALU_CYCLE_1) | instskip(SKIP_2) | instid1(SALU_CYCLE_1)
	s_ashr_i32 s1, s0, 31
	v_lshlrev_b64 v[9:10], 1, v[8:9]
	s_lshl_b64 s[0:1], s[0:1], 1
	s_add_u32 s0, s2, s0
	s_addc_u32 s1, s3, s1
	s_lshl_b32 s2, s34, 8
	v_add_co_u32 v30, s0, s0, v73
	v_add_nc_u32_e32 v11, s2, v8
	v_add_co_ci_u32_e64 v31, null, s1, 0, s0
	s_delay_alu instid0(VALU_DEP_3) | instskip(NEXT) | instid1(VALU_DEP_3)
	v_add_co_u32 v9, vcc_lo, v30, v9
	v_add_nc_u32_e32 v8, s2, v11
	s_delay_alu instid0(VALU_DEP_3) | instskip(SKIP_1) | instid1(VALU_DEP_3)
	v_add_co_ci_u32_e32 v10, vcc_lo, v31, v10, vcc_lo
	v_ashrrev_i32_e32 v12, 31, v11
	v_add_nc_u32_e32 v13, s2, v8
	global_store_b128 v[9:10], v[0:3], off
	v_ashrrev_i32_e32 v9, 31, v8
	v_lshlrev_b64 v[11:12], 1, v[11:12]
	v_ashrrev_i32_e32 v14, 31, v13
	v_add_nc_u32_e32 v10, s2, v13
	s_delay_alu instid0(VALU_DEP_4) | instskip(NEXT) | instid1(VALU_DEP_4)
	v_lshlrev_b64 v[2:3], 1, v[8:9]
	v_add_co_u32 v0, vcc_lo, v30, v11
	s_delay_alu instid0(VALU_DEP_4)
	v_lshlrev_b64 v[8:9], 1, v[13:14]
	v_add_co_ci_u32_e32 v1, vcc_lo, v31, v12, vcc_lo
	v_ashrrev_i32_e32 v11, 31, v10
	v_add_co_u32 v22, vcc_lo, v30, v2
	v_add_nc_u32_e32 v20, s2, v10
	v_add_co_ci_u32_e32 v23, vcc_lo, v31, v3, vcc_lo
	v_add_co_u32 v24, vcc_lo, v30, v8
	global_store_b128 v[0:1], v[4:7], off
	v_add_co_ci_u32_e32 v25, vcc_lo, v31, v9, vcc_lo
	ds_load_b128 v[0:3], v16 offset:256
	ds_load_b128 v[4:7], v16 offset:384
	v_lshlrev_b64 v[26:27], 1, v[10:11]
	ds_load_b128 v[8:11], v16 offset:512
	ds_load_b128 v[12:15], v16 offset:640
	;; [unrolled: 1-line block ×3, first 2 shown]
	v_add_nc_u32_e32 v28, s2, v20
	v_ashrrev_i32_e32 v21, 31, v20
	v_add_co_u32 v26, vcc_lo, v30, v26
	s_delay_alu instid0(VALU_DEP_3) | instskip(NEXT) | instid1(VALU_DEP_3)
	v_ashrrev_i32_e32 v29, 31, v28
	v_lshlrev_b64 v[20:21], 1, v[20:21]
	v_add_co_ci_u32_e32 v27, vcc_lo, v31, v27, vcc_lo
	s_delay_alu instid0(VALU_DEP_3) | instskip(NEXT) | instid1(VALU_DEP_3)
	v_lshlrev_b64 v[28:29], 1, v[28:29]
	v_add_co_u32 v20, vcc_lo, v30, v20
	s_delay_alu instid0(VALU_DEP_4) | instskip(NEXT) | instid1(VALU_DEP_3)
	v_add_co_ci_u32_e32 v21, vcc_lo, v31, v21, vcc_lo
	v_add_co_u32 v28, vcc_lo, v30, v28
	s_delay_alu instid0(VALU_DEP_4)
	v_add_co_ci_u32_e32 v29, vcc_lo, v31, v29, vcc_lo
	s_waitcnt lgkmcnt(4)
	global_store_b128 v[22:23], v[0:3], off
	s_waitcnt lgkmcnt(3)
	global_store_b128 v[24:25], v[4:7], off
	;; [unrolled: 2-line block ×5, first 2 shown]
	s_nop 0
	s_sendmsg sendmsg(MSG_DEALLOC_VGPRS)
	s_endpgm
	.section	.rodata,"a",@progbits
	.p2align	6, 0x0
	.amdhsa_kernel _Z39paged_attention_ll4mi_QKV_mfma16_kernelI14__hip_bfloat16hLN4vllm18Fp8KVCacheDataTypeE1ES0_Li32ELi128ELi256ELb0ELi14EL8MFMAType0EEvPKT_PKT0_S9_ifPKiSB_SB_iPKfiiiPfSE_PS4_PT2_iSD_SD_
		.amdhsa_group_segment_fixed_size 17472
		.amdhsa_private_segment_fixed_size 0
		.amdhsa_kernarg_size 400
		.amdhsa_user_sgpr_count 13
		.amdhsa_user_sgpr_dispatch_ptr 0
		.amdhsa_user_sgpr_queue_ptr 0
		.amdhsa_user_sgpr_kernarg_segment_ptr 1
		.amdhsa_user_sgpr_dispatch_id 0
		.amdhsa_user_sgpr_private_segment_size 0
		.amdhsa_wavefront_size32 1
		.amdhsa_uses_dynamic_stack 0
		.amdhsa_enable_private_segment 0
		.amdhsa_system_sgpr_workgroup_id_x 1
		.amdhsa_system_sgpr_workgroup_id_y 1
		.amdhsa_system_sgpr_workgroup_id_z 1
		.amdhsa_system_sgpr_workgroup_info 0
		.amdhsa_system_vgpr_workitem_id 0
		.amdhsa_next_free_vgpr 140
		.amdhsa_next_free_sgpr 36
		.amdhsa_reserve_vcc 1
		.amdhsa_float_round_mode_32 0
		.amdhsa_float_round_mode_16_64 0
		.amdhsa_float_denorm_mode_32 3
		.amdhsa_float_denorm_mode_16_64 3
		.amdhsa_dx10_clamp 1
		.amdhsa_ieee_mode 1
		.amdhsa_fp16_overflow 0
		.amdhsa_workgroup_processor_mode 1
		.amdhsa_memory_ordered 1
		.amdhsa_forward_progress 0
		.amdhsa_shared_vgpr_count 0
		.amdhsa_exception_fp_ieee_invalid_op 0
		.amdhsa_exception_fp_denorm_src 0
		.amdhsa_exception_fp_ieee_div_zero 0
		.amdhsa_exception_fp_ieee_overflow 0
		.amdhsa_exception_fp_ieee_underflow 0
		.amdhsa_exception_fp_ieee_inexact 0
		.amdhsa_exception_int_div_zero 0
	.end_amdhsa_kernel
	.section	.text._Z39paged_attention_ll4mi_QKV_mfma16_kernelI14__hip_bfloat16hLN4vllm18Fp8KVCacheDataTypeE1ES0_Li32ELi128ELi256ELb0ELi14EL8MFMAType0EEvPKT_PKT0_S9_ifPKiSB_SB_iPKfiiiPfSE_PS4_PT2_iSD_SD_,"axG",@progbits,_Z39paged_attention_ll4mi_QKV_mfma16_kernelI14__hip_bfloat16hLN4vllm18Fp8KVCacheDataTypeE1ES0_Li32ELi128ELi256ELb0ELi14EL8MFMAType0EEvPKT_PKT0_S9_ifPKiSB_SB_iPKfiiiPfSE_PS4_PT2_iSD_SD_,comdat
.Lfunc_end1915:
	.size	_Z39paged_attention_ll4mi_QKV_mfma16_kernelI14__hip_bfloat16hLN4vllm18Fp8KVCacheDataTypeE1ES0_Li32ELi128ELi256ELb0ELi14EL8MFMAType0EEvPKT_PKT0_S9_ifPKiSB_SB_iPKfiiiPfSE_PS4_PT2_iSD_SD_, .Lfunc_end1915-_Z39paged_attention_ll4mi_QKV_mfma16_kernelI14__hip_bfloat16hLN4vllm18Fp8KVCacheDataTypeE1ES0_Li32ELi128ELi256ELb0ELi14EL8MFMAType0EEvPKT_PKT0_S9_ifPKiSB_SB_iPKfiiiPfSE_PS4_PT2_iSD_SD_
                                        ; -- End function
	.section	.AMDGPU.csdata,"",@progbits
; Kernel info:
; codeLenInByte = 9052
; NumSgprs: 38
; NumVgprs: 140
; ScratchSize: 0
; MemoryBound: 0
; FloatMode: 240
; IeeeMode: 1
; LDSByteSize: 17472 bytes/workgroup (compile time only)
; SGPRBlocks: 4
; VGPRBlocks: 17
; NumSGPRsForWavesPerEU: 38
; NumVGPRsForWavesPerEU: 140
; Occupancy: 10
; WaveLimiterHint : 1
; COMPUTE_PGM_RSRC2:SCRATCH_EN: 0
; COMPUTE_PGM_RSRC2:USER_SGPR: 13
; COMPUTE_PGM_RSRC2:TRAP_HANDLER: 0
; COMPUTE_PGM_RSRC2:TGID_X_EN: 1
; COMPUTE_PGM_RSRC2:TGID_Y_EN: 1
; COMPUTE_PGM_RSRC2:TGID_Z_EN: 1
; COMPUTE_PGM_RSRC2:TIDIG_COMP_CNT: 0
	.section	.text._Z39paged_attention_ll4mi_QKV_mfma16_kernelI14__hip_bfloat16hLN4vllm18Fp8KVCacheDataTypeE1ES0_Li32ELi128ELi256ELb0ELi15EL8MFMAType0EEvPKT_PKT0_S9_ifPKiSB_SB_iPKfiiiPfSE_PS4_PT2_iSD_SD_,"axG",@progbits,_Z39paged_attention_ll4mi_QKV_mfma16_kernelI14__hip_bfloat16hLN4vllm18Fp8KVCacheDataTypeE1ES0_Li32ELi128ELi256ELb0ELi15EL8MFMAType0EEvPKT_PKT0_S9_ifPKiSB_SB_iPKfiiiPfSE_PS4_PT2_iSD_SD_,comdat
	.protected	_Z39paged_attention_ll4mi_QKV_mfma16_kernelI14__hip_bfloat16hLN4vllm18Fp8KVCacheDataTypeE1ES0_Li32ELi128ELi256ELb0ELi15EL8MFMAType0EEvPKT_PKT0_S9_ifPKiSB_SB_iPKfiiiPfSE_PS4_PT2_iSD_SD_ ; -- Begin function _Z39paged_attention_ll4mi_QKV_mfma16_kernelI14__hip_bfloat16hLN4vllm18Fp8KVCacheDataTypeE1ES0_Li32ELi128ELi256ELb0ELi15EL8MFMAType0EEvPKT_PKT0_S9_ifPKiSB_SB_iPKfiiiPfSE_PS4_PT2_iSD_SD_
	.globl	_Z39paged_attention_ll4mi_QKV_mfma16_kernelI14__hip_bfloat16hLN4vllm18Fp8KVCacheDataTypeE1ES0_Li32ELi128ELi256ELb0ELi15EL8MFMAType0EEvPKT_PKT0_S9_ifPKiSB_SB_iPKfiiiPfSE_PS4_PT2_iSD_SD_
	.p2align	8
	.type	_Z39paged_attention_ll4mi_QKV_mfma16_kernelI14__hip_bfloat16hLN4vllm18Fp8KVCacheDataTypeE1ES0_Li32ELi128ELi256ELb0ELi15EL8MFMAType0EEvPKT_PKT0_S9_ifPKiSB_SB_iPKfiiiPfSE_PS4_PT2_iSD_SD_,@function
_Z39paged_attention_ll4mi_QKV_mfma16_kernelI14__hip_bfloat16hLN4vllm18Fp8KVCacheDataTypeE1ES0_Li32ELi128ELi256ELb0ELi15EL8MFMAType0EEvPKT_PKT0_S9_ifPKiSB_SB_iPKfiiiPfSE_PS4_PT2_iSD_SD_: ; @_Z39paged_attention_ll4mi_QKV_mfma16_kernelI14__hip_bfloat16hLN4vllm18Fp8KVCacheDataTypeE1ES0_Li32ELi128ELi256ELb0ELi15EL8MFMAType0EEvPKT_PKT0_S9_ifPKiSB_SB_iPKfiiiPfSE_PS4_PT2_iSD_SD_
; %bb.0:
	s_load_b64 s[4:5], s[0:1], 0x30
	s_mov_b32 s30, s13
	s_waitcnt lgkmcnt(0)
	s_cmp_lg_u64 s[4:5], 0
	s_cselect_b32 s13, -1, 0
	s_ashr_i32 s31, s30, 31
	s_cmp_eq_u64 s[4:5], 0
	s_cbranch_scc1 .LBB1916_3
; %bb.1:
	s_lshl_b64 s[2:3], s[30:31], 2
	s_delay_alu instid0(SALU_CYCLE_1) | instskip(SKIP_4) | instid1(SALU_CYCLE_1)
	s_add_u32 s2, s4, s2
	s_addc_u32 s3, s5, s3
	s_load_b64 s[2:3], s[2:3], 0x0
	s_waitcnt lgkmcnt(0)
	s_sub_i32 s2, s3, s2
	s_cmp_eq_u32 s2, 1
	s_cselect_b32 s2, -1, 0
	s_delay_alu instid0(SALU_CYCLE_1)
	s_and_not1_b32 vcc_lo, exec_lo, s2
	s_cbranch_vccz .LBB1916_4
.LBB1916_2:
	s_nop 0
	s_sendmsg sendmsg(MSG_DEALLOC_VGPRS)
	s_endpgm
.LBB1916_3:
.LBB1916_4:
	s_load_b64 s[2:3], s[0:1], 0x28
	s_lshl_b64 s[6:7], s[30:31], 2
	s_waitcnt lgkmcnt(0)
	s_add_u32 s2, s2, s6
	s_addc_u32 s3, s3, s7
	s_lshl_b32 s12, s14, 8
	s_load_b32 s17, s[2:3], 0x0
	s_waitcnt lgkmcnt(0)
	s_cmp_ge_i32 s12, s17
	s_cbranch_scc1 .LBB1916_2
; %bb.5:
	s_clause 0x1
	s_load_b128 s[8:11], s[0:1], 0x8
	s_load_b64 s[2:3], s[0:1], 0x20
	s_and_not1_b32 vcc_lo, exec_lo, s13
	s_cbranch_vccnz .LBB1916_7
; %bb.6:
	s_add_u32 s4, s4, s6
	s_addc_u32 s5, s5, s7
	s_load_b32 s13, s[4:5], 0x0
	s_branch .LBB1916_8
.LBB1916_7:
	s_mov_b32 s13, s30
.LBB1916_8:
	s_load_b128 s[4:7], s[0:1], 0x48
	v_and_b32_e32 v65, 15, v0
	v_lshrrev_b32_e32 v66, 5, v0
	v_bfe_u32 v74, v0, 4, 1
	v_and_b32_e32 v67, 31, v0
	v_and_b32_e32 v75, 1, v0
	v_lshlrev_b32_e32 v2, 3, v65
	s_mul_i32 s31, s15, 15
	v_lshl_or_b32 v1, v66, 1, v74
	s_waitcnt lgkmcnt(0)
	s_mov_b32 s7, exec_lo
	v_lshlrev_b32_e32 v73, 1, v2
	s_delay_alu instid0(VALU_DEP_2)
	v_cmpx_gt_u32_e32 15, v1
	s_cbranch_execz .LBB1916_10
; %bb.9:
	s_load_b64 s[18:19], s[0:1], 0x0
	v_add_lshl_u32 v2, v1, s31, 7
	s_mul_hi_i32 s21, s13, s4
	s_mul_i32 s20, s13, s4
	v_lshlrev_b32_e32 v6, 10, v65
	s_lshl_b64 s[20:21], s[20:21], 1
	v_ashrrev_i32_e32 v3, 31, v2
	v_lshlrev_b32_e32 v1, 6, v1
	v_lshlrev_b32_e32 v7, 10, v75
	v_and_b32_e32 v6, 0x3800, v6
	s_delay_alu instid0(VALU_DEP_4) | instskip(NEXT) | instid1(VALU_DEP_2)
	v_lshlrev_b64 v[2:3], 1, v[2:3]
	v_or3_b32 v1, v6, v7, v1
	s_waitcnt lgkmcnt(0)
	s_add_u32 s4, s18, s20
	s_addc_u32 s13, s19, s21
	s_delay_alu instid0(VALU_DEP_2) | instskip(SKIP_1) | instid1(VALU_DEP_2)
	v_add_co_u32 v2, vcc_lo, s4, v2
	v_add_co_ci_u32_e32 v3, vcc_lo, s13, v3, vcc_lo
	v_add_co_u32 v2, vcc_lo, v2, v73
	s_delay_alu instid0(VALU_DEP_2)
	v_add_co_ci_u32_e32 v3, vcc_lo, 0, v3, vcc_lo
	global_load_b128 v[2:5], v[2:3], off
	s_waitcnt vmcnt(0)
	ds_store_b128 v1, v[2:5]
.LBB1916_10:
	s_or_b32 exec_lo, exec_lo, s7
	v_and_b32_e32 v1, 0xef, v0
	s_add_i32 s4, s17, 31
	s_clause 0x1
	s_load_b32 s7, s[0:1], 0x38
	s_load_b32 s18, s[0:1], 0x1c
	s_ashr_i32 s13, s4, 31
	v_add_nc_u32_e32 v1, s12, v1
	s_lshr_b32 s13, s13, 27
	s_waitcnt lgkmcnt(0)
	s_add_i32 s4, s4, s13
	s_barrier
	v_ashrrev_i32_e32 v2, 31, v1
	v_or_b32_e32 v3, 16, v1
	s_ashr_i32 s4, s4, 5
	v_cmp_gt_i32_e32 vcc_lo, s17, v1
	s_add_i32 s4, s4, -1
	v_lshrrev_b32_e32 v2, 27, v2
	buffer_gl0_inv
	s_mul_i32 s15, s15, s6
	v_add_nc_u32_e32 v4, v1, v2
	s_mul_i32 s20, s30, s7
	s_delay_alu instid0(SALU_CYCLE_1) | instskip(NEXT) | instid1(VALU_DEP_1)
	s_ashr_i32 s21, s20, 31
	v_ashrrev_i32_e32 v4, 5, v4
	v_add_nc_u32_e32 v2, v3, v2
	s_lshl_b64 s[20:21], s[20:21], 2
	s_delay_alu instid0(SALU_CYCLE_1) | instskip(NEXT) | instid1(VALU_DEP_2)
	s_add_u32 s13, s2, s20
	v_cndmask_b32_e32 v1, s4, v4, vcc_lo
	s_delay_alu instid0(VALU_DEP_2)
	v_ashrrev_i32_e32 v2, 5, v2
	v_cmp_gt_i32_e32 vcc_lo, s17, v3
	s_addc_u32 s16, s3, s21
	s_ashr_i32 s19, s15, 31
	s_add_u32 s2, s8, s15
	s_addc_u32 s3, s9, s19
	v_cndmask_b32_e32 v3, s4, v2, vcc_lo
	v_ashrrev_i32_e32 v2, 31, v1
	s_lshl_b32 s6, s14, 3
	s_delay_alu instid0(SALU_CYCLE_1) | instskip(NEXT) | instid1(VALU_DEP_2)
	s_ashr_i32 s7, s6, 31
	v_ashrrev_i32_e32 v4, 31, v3
	s_delay_alu instid0(VALU_DEP_2) | instskip(SKIP_1) | instid1(SALU_CYCLE_1)
	v_lshlrev_b64 v[1:2], 2, v[1:2]
	s_lshl_b64 s[6:7], s[6:7], 2
	s_add_u32 s6, s13, s6
	s_delay_alu instid0(VALU_DEP_2) | instskip(SKIP_1) | instid1(VALU_DEP_2)
	v_lshlrev_b64 v[3:4], 2, v[3:4]
	s_addc_u32 s7, s16, s7
	v_add_co_u32 v1, vcc_lo, s13, v1
	v_add_co_ci_u32_e32 v2, vcc_lo, s16, v2, vcc_lo
	s_delay_alu instid0(VALU_DEP_3) | instskip(NEXT) | instid1(VALU_DEP_4)
	v_add_co_u32 v3, vcc_lo, s13, v3
	v_add_co_ci_u32_e32 v4, vcc_lo, s16, v4, vcc_lo
	s_clause 0x1
	global_load_b32 v5, v[1:2], off
	global_load_b32 v6, v[3:4], off
	s_or_b32 s8, s12, 32
	s_delay_alu instid0(SALU_CYCLE_1) | instskip(SKIP_2) | instid1(SALU_CYCLE_1)
	s_ashr_i32 s9, s8, 5
	s_cmp_lt_i32 s8, s17
	s_cselect_b32 s8, s9, s4
	s_ashr_i32 s9, s8, 31
	s_delay_alu instid0(SALU_CYCLE_1) | instskip(NEXT) | instid1(SALU_CYCLE_1)
	s_lshl_b64 s[8:9], s[8:9], 2
	s_add_u32 s8, s13, s8
	s_addc_u32 s9, s16, s9
	s_or_b32 s20, s12, 64
	s_delay_alu instid0(SALU_CYCLE_1) | instskip(SKIP_2) | instid1(SALU_CYCLE_1)
	s_ashr_i32 s21, s20, 5
	s_cmp_lt_i32 s20, s17
	s_cselect_b32 s20, s21, s4
	s_ashr_i32 s21, s20, 31
	s_delay_alu instid0(SALU_CYCLE_1) | instskip(NEXT) | instid1(SALU_CYCLE_1)
	s_lshl_b64 s[20:21], s[20:21], 2
	s_add_u32 s20, s13, s20
	s_addc_u32 s21, s16, s21
	;; [unrolled: 10-line block ×5, first 2 shown]
	s_clause 0x5
	s_load_b32 s28, s[6:7], 0x0
	s_load_b32 s8, s[8:9], 0x0
	;; [unrolled: 1-line block ×6, first 2 shown]
	s_mov_b32 s20, 0
	s_delay_alu instid0(SALU_CYCLE_1)
	s_mov_b32 s21, s20
	s_mov_b32 s22, s20
	;; [unrolled: 1-line block ×7, first 2 shown]
	s_delay_alu instid0(SALU_CYCLE_1)
	v_dual_mov_b32 v107, s27 :: v_dual_mov_b32 v100, s20
	v_mov_b32_e32 v106, s26
	v_dual_mov_b32 v104, s24 :: v_dual_mov_b32 v103, s23
	v_dual_mov_b32 v101, s21 :: v_dual_mov_b32 v102, s22
	s_waitcnt vmcnt(1)
	v_mad_i64_i32 v[1:2], null, v5, s5, s[2:3]
	v_lshlrev_b32_e32 v5, 4, v65
	s_waitcnt vmcnt(0)
	v_mad_i64_i32 v[3:4], null, v6, s5, s[2:3]
	s_or_b32 s2, s12, 0xc0
	s_delay_alu instid0(SALU_CYCLE_1) | instskip(NEXT) | instid1(VALU_DEP_3)
	s_ashr_i32 s3, s2, 5
	v_add_co_u32 v33, vcc_lo, v1, v5
	s_delay_alu instid0(VALU_DEP_4) | instskip(NEXT) | instid1(VALU_DEP_3)
	v_add_co_ci_u32_e32 v34, vcc_lo, 0, v2, vcc_lo
	v_add_co_u32 v35, vcc_lo, v3, v5
	s_delay_alu instid0(VALU_DEP_4)
	v_add_co_ci_u32_e32 v36, vcc_lo, 0, v4, vcc_lo
	s_clause 0xf
	global_load_b128 v[1:4], v[33:34], off
	global_load_b128 v[5:8], v[33:34], off offset:512
	global_load_b128 v[9:12], v[35:36], off offset:256
	;; [unrolled: 1-line block ×15, first 2 shown]
	s_cmp_lt_i32 s2, s17
	v_cmp_ne_u32_e32 vcc_lo, 15, v65
	s_cselect_b32 s2, s3, s4
	v_lshlrev_b32_e32 v34, 5, v65
	s_ashr_i32 s3, s2, 31
	s_delay_alu instid0(SALU_CYCLE_1) | instskip(SKIP_4) | instid1(VALU_DEP_1)
	s_lshl_b64 s[2:3], s[2:3], 2
	v_cndmask_b32_e32 v33, 0, v65, vcc_lo
	s_add_u32 s2, s13, s2
	s_addc_u32 s3, s16, s3
	s_or_b32 s6, s12, 0xe0
	v_dual_mov_b32 v105, s25 :: v_dual_lshlrev_b32 v72, 6, v33
	s_ashr_i32 s7, s6, 5
	s_cmp_lt_i32 s6, s17
	v_lshl_or_b32 v41, v66, 9, v34
	s_cselect_b32 s6, s7, s4
	ds_load_b128 v[33:36], v72
	ds_load_b128 v[37:40], v72 offset:1024
	s_ashr_i32 s7, s6, 31
	ds_load_b128 v[108:111], v72 offset:2048
	ds_load_b128 v[112:115], v72 offset:3072
	s_lshl_b64 s[6:7], s[6:7], 2
	s_load_b32 s4, s[2:3], 0x0
	s_add_u32 s2, s13, s6
	s_addc_u32 s3, s16, s7
	ds_load_b128 v[116:119], v72 offset:4096
	ds_load_b128 v[120:123], v72 offset:5120
	s_load_b32 s2, s[2:3], 0x0
	s_add_u32 s6, s10, s15
	s_addc_u32 s7, s11, s19
	v_add_co_u32 v68, s6, s6, v41
	s_delay_alu instid0(VALU_DEP_1) | instskip(SKIP_1) | instid1(VALU_DEP_1)
	v_add_co_ci_u32_e64 v69, null, s7, 0, s6
	s_waitcnt lgkmcnt(0)
	v_mad_i64_i32 v[41:42], null, s28, s5, v[68:69]
	v_mad_i64_i32 v[70:71], null, s9, s5, v[68:69]
	;; [unrolled: 1-line block ×7, first 2 shown]
	s_clause 0x3
	global_load_b128 v[49:52], v[41:42], off
	global_load_b128 v[53:56], v[41:42], off offset:16
	global_load_b128 v[41:44], v[45:46], off
	global_load_b128 v[45:48], v[45:46], off offset:16
	s_waitcnt vmcnt(18)
	v_wmma_f32_16x16x16_bf16 v[124:131], v[1:8], v[33:40], v[100:107]
	s_waitcnt vmcnt(16)
	v_wmma_f32_16x16x16_bf16 v[100:107], v[9:16], v[33:40], v[100:107]
	s_clause 0x1
	global_load_b128 v[33:36], v[70:71], off
	global_load_b128 v[37:40], v[70:71], off offset:16
	v_mad_i64_i32 v[70:71], null, s2, s5, v[68:69]
	s_waitcnt vmcnt(16)
	v_wmma_f32_16x16x16_bf16 v[124:131], v[17:24], v[108:115], v[124:131]
	s_waitcnt vmcnt(14)
	v_wmma_f32_16x16x16_bf16 v[100:107], v[25:32], v[108:115], v[100:107]
	s_clause 0x7
	global_load_b128 v[25:28], v[132:133], off
	global_load_b128 v[29:32], v[132:133], off offset:16
	global_load_b128 v[1:4], v[134:135], off
	global_load_b128 v[5:8], v[134:135], off offset:16
	;; [unrolled: 2-line block ×4, first 2 shown]
	s_waitcnt vmcnt(20)
	v_wmma_f32_16x16x16_bf16 v[124:131], v[57:64], v[116:123], v[124:131]
	s_clause 0x1
	global_load_b128 v[57:60], v[70:71], off
	global_load_b128 v[61:64], v[70:71], off offset:16
	s_waitcnt vmcnt(20)
	v_wmma_f32_16x16x16_bf16 v[100:107], v[76:83], v[116:123], v[100:107]
	ds_load_b128 v[76:79], v72 offset:6144
	ds_load_b128 v[80:83], v72 offset:7168
	v_and_b32_e32 v68, 0xe0, v0
	v_mbcnt_lo_u32_b32 v69, -1, 0
	s_waitcnt vmcnt(0) lgkmcnt(0)
	s_barrier
	buffer_gl0_inv
	v_add_nc_u32_e32 v68, s12, v68
	v_xor_b32_e32 v70, 16, v69
	s_delay_alu instid0(VALU_DEP_2) | instskip(NEXT) | instid1(VALU_DEP_2)
	v_or_b32_e32 v68, v68, v74
	v_cmp_gt_i32_e32 vcc_lo, 32, v70
	s_delay_alu instid0(VALU_DEP_2)
	v_or_b32_e32 v71, 4, v68
	v_or_b32_e32 v72, 6, v68
	v_cmp_gt_i32_e64 s2, s17, v68
	v_or_b32_e32 v108, 8, v68
	v_wmma_f32_16x16x16_bf16 v[124:131], v[84:91], v[76:83], v[124:131]
	v_cndmask_b32_e32 v69, v69, v70, vcc_lo
	v_or_b32_e32 v70, 2, v68
	v_wmma_f32_16x16x16_bf16 v[100:107], v[92:99], v[76:83], v[100:107]
	v_or_b32_e32 v109, 10, v68
	v_dual_mul_f32 v78, s18, v131 :: v_dual_mul_f32 v83, s18, v126
	v_dual_mul_f32 v92, s18, v125 :: v_dual_mul_f32 v93, s18, v124
	s_delay_alu instid0(VALU_DEP_4) | instskip(SKIP_2) | instid1(VALU_DEP_4)
	v_mul_f32_e32 v94, s18, v107
	v_cmp_gt_i32_e32 vcc_lo, s17, v70
	v_dual_mul_f32 v81, s18, v128 :: v_dual_mul_f32 v82, s18, v127
	v_cndmask_b32_e64 v93, 0xff7fffff, v93, s2
	v_cmp_gt_i32_e64 s3, s17, v71
	v_cndmask_b32_e32 v92, 0xff7fffff, v92, vcc_lo
	v_cmp_gt_i32_e64 s4, s17, v72
	v_or_b32_e32 v84, 12, v68
	v_or_b32_e32 v85, 14, v68
	v_dual_mul_f32 v79, s18, v130 :: v_dual_mul_f32 v80, s18, v129
	v_cndmask_b32_e64 v71, 0xff7fffff, v83, s3
	v_cndmask_b32_e64 v72, 0xff7fffff, v82, s4
	v_max3_f32 v82, v93, 0xff7fffff, v92
	v_cmp_gt_i32_e64 s5, s17, v108
	v_cmp_gt_i32_e64 s6, s17, v109
	v_or_b32_e32 v86, 16, v68
	v_or_b32_e32 v87, 18, v68
	v_max3_f32 v71, v82, v71, v72
	v_cndmask_b32_e64 v81, 0xff7fffff, v81, s5
	v_cndmask_b32_e64 v80, 0xff7fffff, v80, s6
	v_cmp_gt_i32_e64 s7, s17, v84
	v_cmp_gt_i32_e64 s8, s17, v85
	v_or_b32_e32 v88, 20, v68
	v_or_b32_e32 v89, 22, v68
	;; [unrolled: 1-line block ×6, first 2 shown]
	v_dual_mul_f32 v99, s18, v102 :: v_dual_mul_f32 v70, s18, v101
	v_mul_f32_e32 v68, s18, v100
	v_cndmask_b32_e64 v72, 0xff7fffff, v79, s7
	v_cndmask_b32_e64 v78, 0xff7fffff, v78, s8
	v_max3_f32 v71, v71, v81, v80
	v_cmp_gt_i32_e64 s9, s17, v86
	v_cmp_gt_i32_e64 s10, s17, v87
	v_dual_mul_f32 v97, s18, v104 :: v_dual_mul_f32 v98, s18, v103
	s_delay_alu instid0(VALU_DEP_4) | instskip(SKIP_1) | instid1(VALU_DEP_4)
	v_max3_f32 v71, v71, v72, v78
	v_cmp_gt_i32_e64 s11, s17, v88
	v_cndmask_b32_e64 v70, 0xff7fffff, v70, s10
	v_cmp_gt_i32_e64 s12, s17, v89
	v_lshlrev_b32_e32 v89, 2, v69
	v_cndmask_b32_e64 v68, 0xff7fffff, v68, s9
	v_dual_mul_f32 v95, s18, v106 :: v_dual_mul_f32 v96, s18, v105
	v_cndmask_b32_e64 v72, 0xff7fffff, v99, s11
	v_cndmask_b32_e64 v78, 0xff7fffff, v98, s12
	s_delay_alu instid0(VALU_DEP_4)
	v_max3_f32 v68, v71, v68, v70
	v_cmp_gt_i32_e64 s13, s17, v90
	v_cmp_gt_i32_e64 s15, s17, v91
	;; [unrolled: 1-line block ×4, first 2 shown]
	v_max3_f32 v68, v68, v72, v78
	v_cndmask_b32_e64 v70, 0xff7fffff, v97, s13
	v_cndmask_b32_e64 v71, 0xff7fffff, v96, s15
	;; [unrolled: 1-line block ×4, first 2 shown]
	s_delay_alu instid0(VALU_DEP_3) | instskip(NEXT) | instid1(VALU_DEP_1)
	v_max3_f32 v68, v68, v70, v71
	v_max3_f32 v68, v68, v72, v76
	ds_bpermute_b32 v69, v89, v68
	s_waitcnt lgkmcnt(0)
	v_max_f32_e32 v69, v69, v69
	s_delay_alu instid0(VALU_DEP_1) | instskip(NEXT) | instid1(VALU_DEP_1)
	v_max_f32_e32 v68, v68, v69
	v_fma_f32 v71, s18, v126, -v68
	s_delay_alu instid0(VALU_DEP_1)
	v_mul_f32_e32 v71, 0x3fb8aa3b, v71
	v_fma_f32 v69, s18, v124, -v68
	v_fma_f32 v70, s18, v125, -v68
	;; [unrolled: 1-line block ×4, first 2 shown]
	v_exp_f32_e32 v71, v71
	s_delay_alu instid0(VALU_DEP_3) | instskip(SKIP_2) | instid1(VALU_DEP_3)
	v_dual_mul_f32 v69, 0x3fb8aa3b, v69 :: v_dual_mul_f32 v70, 0x3fb8aa3b, v70
	v_fma_f32 v78, s18, v130, -v68
	v_fma_f32 v81, s18, v105, -v68
	v_exp_f32_e32 v69, v69
	s_delay_alu instid0(VALU_DEP_3) | instskip(SKIP_1) | instid1(VALU_DEP_2)
	v_exp_f32_e32 v70, v70
	v_mul_f32_e32 v77, 0x3fb8aa3b, v76
	v_mul_f32_e32 v81, 0x3fb8aa3b, v81
	s_delay_alu instid0(TRANS32_DEP_3) | instskip(SKIP_1) | instid1(VALU_DEP_3)
	v_cndmask_b32_e64 v83, 0, v71, s3
	v_fma_f32 v71, s18, v131, -v68
	v_exp_f32_e32 v81, v81
	s_delay_alu instid0(TRANS32_DEP_3) | instskip(NEXT) | instid1(TRANS32_DEP_2)
	v_cndmask_b32_e64 v80, 0, v69, s2
	v_cndmask_b32_e32 v76, 0, v70, vcc_lo
	v_fma_f32 v69, s18, v129, -v68
	v_mul_f32_e32 v72, 0x3fb8aa3b, v72
	v_exp_f32_e32 v77, v77
	v_dual_add_f32 v70, 0, v80 :: v_dual_mul_f32 v71, 0x3fb8aa3b, v71
	s_delay_alu instid0(VALU_DEP_3) | instskip(NEXT) | instid1(VALU_DEP_3)
	v_mul_f32_e32 v69, 0x3fb8aa3b, v69
	v_exp_f32_e32 v72, v72
	v_cmp_gt_u32_e64 s2, 16, v67
	s_delay_alu instid0(VALU_DEP_3) | instskip(NEXT) | instid1(VALU_DEP_2)
	v_exp_f32_e32 v71, v71
	v_exp_f32_e32 v69, v69
	v_cndmask_b32_e64 v86, 0, v77, s5
	v_fma_f32 v77, s18, v101, -v68
	v_add_f32_e32 v70, v70, v76
	s_delay_alu instid0(TRANS32_DEP_3) | instskip(SKIP_1) | instid1(VALU_DEP_3)
	v_cndmask_b32_e64 v85, 0, v72, s4
	v_fma_f32 v72, s18, v100, -v68
	v_dual_mul_f32 v77, 0x3fb8aa3b, v77 :: v_dual_add_f32 v70, v70, v83
	s_delay_alu instid0(TRANS32_DEP_2) | instskip(SKIP_1) | instid1(TRANS32_DEP_1)
	v_cndmask_b32_e64 v88, 0, v71, s8
	v_fma_f32 v71, s18, v104, -v68
	v_cndmask_b32_e64 v87, 0, v69, s6
	s_delay_alu instid0(VALU_DEP_4) | instskip(NEXT) | instid1(VALU_DEP_2)
	v_exp_f32_e32 v77, v77
	v_dual_add_f32 v70, v70, v85 :: v_dual_mul_f32 v71, 0x3fb8aa3b, v71
	s_delay_alu instid0(VALU_DEP_1) | instskip(SKIP_2) | instid1(VALU_DEP_3)
	v_dual_mul_f32 v72, 0x3fb8aa3b, v72 :: v_dual_add_f32 v69, v70, v86
	v_mul_f32_e32 v78, 0x3fb8aa3b, v78
	v_fma_f32 v70, s18, v102, -v68
	v_exp_f32_e32 v72, v72
	v_exp_f32_e32 v82, v71
	v_add_f32_e32 v69, v69, v87
	v_exp_f32_e32 v78, v78
	v_mul_f32_e32 v70, 0x3fb8aa3b, v70
	s_delay_alu instid0(VALU_DEP_1) | instskip(SKIP_4) | instid1(VALU_DEP_2)
	v_exp_f32_e32 v79, v70
	v_cndmask_b32_e64 v70, 0, v72, s9
	s_waitcnt_depctr 0xfff
	v_cndmask_b32_e64 v84, 0, v78, s7
	v_fma_f32 v78, s18, v103, -v68
	v_add_f32_e32 v69, v69, v84
	v_cndmask_b32_e64 v71, 0, v79, s11
	s_delay_alu instid0(VALU_DEP_2) | instskip(SKIP_2) | instid1(VALU_DEP_1)
	v_add_f32_e32 v72, v69, v88
	v_cndmask_b32_e64 v69, 0, v77, s10
	v_fma_f32 v77, s18, v106, -v68
	v_dual_mul_f32 v77, 0x3fb8aa3b, v77 :: v_dual_add_f32 v72, v72, v70
	v_mul_f32_e32 v78, 0x3fb8aa3b, v78
	s_delay_alu instid0(VALU_DEP_2) | instskip(NEXT) | instid1(VALU_DEP_2)
	v_exp_f32_e32 v90, v77
	v_add_f32_e32 v79, v72, v69
	s_delay_alu instid0(VALU_DEP_2)
	v_exp_f32_e32 v78, v78
	v_cndmask_b32_e64 v77, 0, v82, s13
	s_waitcnt_depctr 0xfff
	v_cndmask_b32_e64 v72, 0, v78, s12
	v_add_f32_e32 v78, v79, v71
	v_fma_f32 v79, s18, v107, -v68
	s_delay_alu instid0(VALU_DEP_1) | instskip(SKIP_1) | instid1(VALU_DEP_2)
	v_dual_add_f32 v82, v78, v72 :: v_dual_mul_f32 v79, 0x3fb8aa3b, v79
	v_cndmask_b32_e64 v78, 0, v81, s15
	v_add_f32_e32 v81, v82, v77
	s_delay_alu instid0(VALU_DEP_3) | instskip(SKIP_1) | instid1(VALU_DEP_2)
	v_exp_f32_e32 v82, v79
	v_cndmask_b32_e64 v79, 0, v90, s16
	v_add_f32_e32 v81, v81, v78
	s_delay_alu instid0(VALU_DEP_1) | instskip(SKIP_2) | instid1(VALU_DEP_1)
	v_add_f32_e32 v90, v81, v79
	s_waitcnt_depctr 0xfff
	v_cndmask_b32_e64 v81, 0, v82, s17
	v_add_f32_e32 v82, v90, v81
	ds_bpermute_b32 v89, v89, v82
	s_and_saveexec_b32 s3, s2
	s_cbranch_execz .LBB1916_12
; %bb.11:
	v_mul_u32_u24_e32 v67, 0x44, v66
	s_delay_alu instid0(VALU_DEP_1) | instskip(SKIP_1) | instid1(VALU_DEP_1)
	v_lshl_add_u32 v67, v65, 2, v67
	s_waitcnt lgkmcnt(0)
	v_dual_add_f32 v82, v82, v89 :: v_dual_add_nc_u32 v67, 0x4000, v67
	ds_store_2addr_b32 v67, v68, v82 offset1:136
.LBB1916_12:
	s_or_b32 exec_lo, exec_lo, s3
	v_lshlrev_b32_e32 v67, 2, v65
	s_waitcnt lgkmcnt(0)
	s_barrier
	buffer_gl0_inv
	v_cmp_eq_u32_e32 vcc_lo, 1, v66
	v_add_nc_u32_e32 v82, 0x4000, v67
	v_cmp_eq_u32_e64 s3, 2, v66
	v_cmp_eq_u32_e64 s5, 7, v66
	ds_load_2addr_b32 v[89:90], v82 offset1:17
	ds_load_2addr_b32 v[91:92], v82 offset0:34 offset1:51
	ds_load_2addr_b32 v[93:94], v82 offset0:68 offset1:85
	;; [unrolled: 1-line block ×4, first 2 shown]
	s_waitcnt lgkmcnt(4)
	v_max3_f32 v67, v89, 0xff7fffff, v90
	s_waitcnt lgkmcnt(3)
	s_delay_alu instid0(VALU_DEP_1) | instskip(SKIP_1) | instid1(VALU_DEP_1)
	v_max3_f32 v67, v67, v91, v92
	s_waitcnt lgkmcnt(2)
	v_max3_f32 v67, v67, v93, v94
	s_waitcnt lgkmcnt(1)
	s_delay_alu instid0(VALU_DEP_1) | instskip(NEXT) | instid1(VALU_DEP_1)
	v_max3_f32 v67, v67, v95, v96
	v_sub_f32_e32 v93, v93, v67
	s_delay_alu instid0(VALU_DEP_1) | instskip(NEXT) | instid1(VALU_DEP_1)
	v_dual_sub_f32 v68, v89, v67 :: v_dual_mul_f32 v103, 0x3fb8aa3b, v93
	v_mul_f32_e32 v68, 0x3fb8aa3b, v68
	s_delay_alu instid0(VALU_DEP_1)
	v_exp_f32_e32 v100, v68
	v_sub_f32_e32 v68, v92, v67
	v_sub_f32_e32 v99, v90, v67
	ds_load_2addr_b32 v[89:90], v82 offset0:170 offset1:187
	v_dual_mul_f32 v102, 0x3fb8aa3b, v68 :: v_dual_mul_f32 v99, 0x3fb8aa3b, v99
	s_waitcnt lgkmcnt(1)
	v_fma_f32 v68, v100, v97, 0
	s_delay_alu instid0(VALU_DEP_2) | instskip(NEXT) | instid1(VALU_DEP_2)
	v_exp_f32_e32 v102, v102
	v_exp_f32_e32 v99, v99
	s_waitcnt_depctr 0xfff
	v_fmac_f32_e32 v68, v99, v98
	v_sub_f32_e32 v91, v91, v67
	s_delay_alu instid0(VALU_DEP_1)
	v_mul_f32_e32 v101, 0x3fb8aa3b, v91
	ds_load_2addr_b32 v[91:92], v82 offset0:204 offset1:221
	v_sub_f32_e32 v97, v94, v67
	ds_load_2addr_b32 v[93:94], v82 offset0:238 offset1:255
	s_waitcnt lgkmcnt(0)
	v_exp_f32_e32 v101, v101
	s_barrier
	buffer_gl0_inv
	v_dual_fmac_f32 v68, v101, v89 :: v_dual_sub_f32 v89, v96, v67
	v_dual_sub_f32 v82, v95, v67 :: v_dual_mul_f32 v95, 0x3fb8aa3b, v97
	v_exp_f32_e32 v97, v103
	s_delay_alu instid0(VALU_DEP_2) | instskip(NEXT) | instid1(VALU_DEP_2)
	v_dual_fmac_f32 v68, v102, v90 :: v_dual_mul_f32 v89, 0x3fb8aa3b, v89
	v_mul_f32_e32 v82, 0x3fb8aa3b, v82
	s_delay_alu instid0(VALU_DEP_3) | instskip(NEXT) | instid1(VALU_DEP_2)
	v_exp_f32_e32 v95, v95
	v_exp_f32_e32 v89, v89
	s_delay_alu instid0(VALU_DEP_1)
	v_exp_f32_e32 v82, v82
	v_fmac_f32_e32 v68, v97, v91
	s_delay_alu instid0(TRANS32_DEP_3) | instid1(VALU_DEP_1)
	v_fmac_f32_e32 v68, v95, v92
	s_waitcnt_depctr 0xfff
	v_fmac_f32_e32 v68, v82, v93
	s_delay_alu instid0(VALU_DEP_1) | instskip(NEXT) | instid1(VALU_DEP_1)
	v_fmac_f32_e32 v68, v89, v94
	v_add_f32_e32 v90, 0x358637bd, v68
	s_delay_alu instid0(VALU_DEP_1) | instskip(NEXT) | instid1(VALU_DEP_1)
	v_div_scale_f32 v91, null, v90, v90, 1.0
	v_rcp_f32_e32 v92, v91
	s_waitcnt_depctr 0xfff
	v_fma_f32 v93, -v91, v92, 1.0
	s_delay_alu instid0(VALU_DEP_1) | instskip(SKIP_1) | instid1(VALU_DEP_2)
	v_dual_fmac_f32 v92, v93, v92 :: v_dual_cndmask_b32 v93, v100, v99
	v_cmp_eq_u32_e32 vcc_lo, 3, v66
	v_cndmask_b32_e64 v93, v93, v101, s3
	v_cmp_eq_u32_e64 s3, 4, v66
	s_delay_alu instid0(VALU_DEP_2) | instskip(SKIP_1) | instid1(VALU_DEP_2)
	v_cndmask_b32_e32 v93, v93, v102, vcc_lo
	v_cmp_eq_u32_e32 vcc_lo, 5, v66
	v_cndmask_b32_e64 v93, v93, v97, s3
	v_cmp_eq_u32_e64 s3, 6, v66
	s_delay_alu instid0(VALU_DEP_2) | instskip(SKIP_1) | instid1(VALU_DEP_1)
	v_cndmask_b32_e32 v93, v93, v95, vcc_lo
	v_div_scale_f32 v94, s4, 1.0, v90, 1.0
	s_mov_b32 vcc_lo, s4
	s_delay_alu instid0(VALU_DEP_2) | instskip(NEXT) | instid1(VALU_DEP_2)
	v_cndmask_b32_e64 v82, v93, v82, s3
	v_mul_f32_e32 v96, v94, v92
	s_mov_b32 s3, exec_lo
	s_delay_alu instid0(VALU_DEP_2) | instskip(NEXT) | instid1(VALU_DEP_2)
	v_cndmask_b32_e64 v82, v82, v89, s5
	v_fma_f32 v98, -v91, v96, v94
	s_delay_alu instid0(VALU_DEP_1) | instskip(NEXT) | instid1(VALU_DEP_1)
	v_fmac_f32_e32 v96, v98, v92
	v_fma_f32 v91, -v91, v96, v94
	s_delay_alu instid0(VALU_DEP_1) | instskip(NEXT) | instid1(VALU_DEP_1)
	v_div_fmas_f32 v91, v91, v92, v96
	v_div_fixup_f32 v90, v91, v90, 1.0
	s_delay_alu instid0(VALU_DEP_1) | instskip(NEXT) | instid1(VALU_DEP_1)
	v_mul_f32_e32 v82, v82, v90
	v_mul_f32_e32 v87, v82, v87
	;; [unrolled: 1-line block ×7, first 2 shown]
	v_dual_mul_f32 v86, v82, v83 :: v_dual_and_b32 v91, 0x7f800000, v90
	v_mul_f32_e32 v85, v82, v76
                                        ; implicit-def: $vgpr76
	s_delay_alu instid0(VALU_DEP_2)
	v_cmpx_ne_u32_e32 0x7f800000, v91
	s_xor_b32 s3, exec_lo, s3
; %bb.13:
	v_bfe_u32 v76, v90, 16, 1
	s_delay_alu instid0(VALU_DEP_1)
	v_add3_u32 v76, v90, v76, 0x7fff
                                        ; implicit-def: $vgpr90
; %bb.14:
	s_and_not1_saveexec_b32 s3, s3
; %bb.15:
	v_and_b32_e32 v76, 0xffff, v90
	v_or_b32_e32 v83, 0x10000, v90
	s_delay_alu instid0(VALU_DEP_2) | instskip(NEXT) | instid1(VALU_DEP_2)
	v_cmp_eq_u32_e32 vcc_lo, 0, v76
	v_cndmask_b32_e32 v76, v83, v90, vcc_lo
; %bb.16:
	s_or_b32 exec_lo, exec_lo, s3
	v_and_b32_e32 v83, 0x7f800000, v85
	s_delay_alu instid0(VALU_DEP_1) | instskip(SKIP_1) | instid1(SALU_CYCLE_1)
	v_cmp_ne_u32_e32 vcc_lo, 0x7f800000, v83
                                        ; implicit-def: $vgpr83
	s_and_saveexec_b32 s3, vcc_lo
	s_xor_b32 s3, exec_lo, s3
; %bb.17:
	v_bfe_u32 v83, v85, 16, 1
	s_delay_alu instid0(VALU_DEP_1)
	v_add3_u32 v83, v85, v83, 0x7fff
                                        ; implicit-def: $vgpr85
; %bb.18:
	s_and_not1_saveexec_b32 s3, s3
; %bb.19:
	v_and_b32_e32 v83, 0xffff, v85
	v_or_b32_e32 v90, 0x10000, v85
	s_delay_alu instid0(VALU_DEP_2) | instskip(NEXT) | instid1(VALU_DEP_2)
	v_cmp_eq_u32_e32 vcc_lo, 0, v83
	v_cndmask_b32_e32 v83, v90, v85, vcc_lo
; %bb.20:
	s_or_b32 exec_lo, exec_lo, s3
	v_and_b32_e32 v85, 0x7f800000, v86
	s_delay_alu instid0(VALU_DEP_1) | instskip(SKIP_1) | instid1(SALU_CYCLE_1)
	v_cmp_ne_u32_e32 vcc_lo, 0x7f800000, v85
                                        ; implicit-def: $vgpr85
	s_and_saveexec_b32 s3, vcc_lo
	s_xor_b32 s3, exec_lo, s3
; %bb.21:
	v_bfe_u32 v85, v86, 16, 1
	s_delay_alu instid0(VALU_DEP_1)
	v_add3_u32 v85, v86, v85, 0x7fff
                                        ; implicit-def: $vgpr86
; %bb.22:
	s_and_not1_saveexec_b32 s3, s3
; %bb.23:
	v_and_b32_e32 v85, 0xffff, v86
	v_or_b32_e32 v90, 0x10000, v86
	s_delay_alu instid0(VALU_DEP_2) | instskip(NEXT) | instid1(VALU_DEP_2)
	v_cmp_eq_u32_e32 vcc_lo, 0, v85
	v_cndmask_b32_e32 v85, v90, v86, vcc_lo
; %bb.24:
	s_or_b32 exec_lo, exec_lo, s3
	v_and_b32_e32 v86, 0x7f800000, v89
	s_delay_alu instid0(VALU_DEP_1) | instskip(SKIP_1) | instid1(SALU_CYCLE_1)
	v_cmp_ne_u32_e32 vcc_lo, 0x7f800000, v86
                                        ; implicit-def: $vgpr86
	s_and_saveexec_b32 s3, vcc_lo
	s_xor_b32 s3, exec_lo, s3
; %bb.25:
	v_bfe_u32 v86, v89, 16, 1
	s_delay_alu instid0(VALU_DEP_1)
	v_add3_u32 v86, v89, v86, 0x7fff
                                        ; implicit-def: $vgpr89
; %bb.26:
	s_and_not1_saveexec_b32 s3, s3
; %bb.27:
	v_and_b32_e32 v86, 0xffff, v89
	v_or_b32_e32 v90, 0x10000, v89
	s_delay_alu instid0(VALU_DEP_2) | instskip(NEXT) | instid1(VALU_DEP_2)
	v_cmp_eq_u32_e32 vcc_lo, 0, v86
	v_cndmask_b32_e32 v86, v90, v89, vcc_lo
; %bb.28:
	s_or_b32 exec_lo, exec_lo, s3
	v_and_b32_e32 v89, 0x7f800000, v88
	s_delay_alu instid0(VALU_DEP_1) | instskip(SKIP_1) | instid1(SALU_CYCLE_1)
	v_cmp_ne_u32_e32 vcc_lo, 0x7f800000, v89
                                        ; implicit-def: $vgpr89
	s_and_saveexec_b32 s3, vcc_lo
	s_xor_b32 s3, exec_lo, s3
; %bb.29:
	v_bfe_u32 v89, v88, 16, 1
	s_delay_alu instid0(VALU_DEP_1)
	v_add3_u32 v89, v88, v89, 0x7fff
                                        ; implicit-def: $vgpr88
; %bb.30:
	s_and_not1_saveexec_b32 s3, s3
; %bb.31:
	v_and_b32_e32 v89, 0xffff, v88
	v_or_b32_e32 v90, 0x10000, v88
	s_delay_alu instid0(VALU_DEP_2) | instskip(NEXT) | instid1(VALU_DEP_2)
	v_cmp_eq_u32_e32 vcc_lo, 0, v89
	v_cndmask_b32_e32 v89, v90, v88, vcc_lo
; %bb.32:
	s_or_b32 exec_lo, exec_lo, s3
	v_and_b32_e32 v88, 0x7f800000, v87
	s_delay_alu instid0(VALU_DEP_1) | instskip(SKIP_1) | instid1(SALU_CYCLE_1)
	v_cmp_ne_u32_e32 vcc_lo, 0x7f800000, v88
                                        ; implicit-def: $vgpr88
	s_and_saveexec_b32 s3, vcc_lo
	s_xor_b32 s3, exec_lo, s3
; %bb.33:
	v_bfe_u32 v88, v87, 16, 1
	s_delay_alu instid0(VALU_DEP_1)
	v_add3_u32 v88, v87, v88, 0x7fff
                                        ; implicit-def: $vgpr87
; %bb.34:
	s_and_not1_saveexec_b32 s3, s3
; %bb.35:
	v_and_b32_e32 v88, 0xffff, v87
	v_or_b32_e32 v90, 0x10000, v87
	s_delay_alu instid0(VALU_DEP_2) | instskip(NEXT) | instid1(VALU_DEP_2)
	v_cmp_eq_u32_e32 vcc_lo, 0, v88
	v_cndmask_b32_e32 v88, v90, v87, vcc_lo
; %bb.36:
	s_or_b32 exec_lo, exec_lo, s3
	v_and_b32_e32 v87, 0x7f800000, v84
	s_delay_alu instid0(VALU_DEP_1) | instskip(SKIP_1) | instid1(SALU_CYCLE_1)
	v_cmp_ne_u32_e32 vcc_lo, 0x7f800000, v87
                                        ; implicit-def: $vgpr87
	s_and_saveexec_b32 s3, vcc_lo
	s_xor_b32 s3, exec_lo, s3
; %bb.37:
	v_bfe_u32 v87, v84, 16, 1
	s_delay_alu instid0(VALU_DEP_1)
	v_add3_u32 v87, v84, v87, 0x7fff
                                        ; implicit-def: $vgpr84
; %bb.38:
	s_and_not1_saveexec_b32 s3, s3
; %bb.39:
	v_and_b32_e32 v87, 0xffff, v84
	v_or_b32_e32 v90, 0x10000, v84
	s_delay_alu instid0(VALU_DEP_2) | instskip(NEXT) | instid1(VALU_DEP_2)
	v_cmp_eq_u32_e32 vcc_lo, 0, v87
	v_cndmask_b32_e32 v87, v90, v84, vcc_lo
; %bb.40:
	s_or_b32 exec_lo, exec_lo, s3
	v_and_b32_e32 v84, 0x7f800000, v80
	s_delay_alu instid0(VALU_DEP_1) | instskip(SKIP_1) | instid1(SALU_CYCLE_1)
	v_cmp_ne_u32_e32 vcc_lo, 0x7f800000, v84
                                        ; implicit-def: $vgpr84
	s_and_saveexec_b32 s3, vcc_lo
	s_xor_b32 s3, exec_lo, s3
; %bb.41:
	v_bfe_u32 v84, v80, 16, 1
	s_delay_alu instid0(VALU_DEP_1)
	v_add3_u32 v84, v80, v84, 0x7fff
                                        ; implicit-def: $vgpr80
; %bb.42:
	s_and_not1_saveexec_b32 s3, s3
; %bb.43:
	v_and_b32_e32 v84, 0xffff, v80
	v_or_b32_e32 v90, 0x10000, v80
	s_delay_alu instid0(VALU_DEP_2) | instskip(NEXT) | instid1(VALU_DEP_2)
	v_cmp_eq_u32_e32 vcc_lo, 0, v84
	v_cndmask_b32_e32 v84, v90, v80, vcc_lo
; %bb.44:
	s_or_b32 exec_lo, exec_lo, s3
	s_load_b64 s[34:35], s[0:1], 0x94
	v_lshlrev_b32_e32 v91, 4, v74
	s_delay_alu instid0(VALU_DEP_2)
	v_perm_b32 v90, v84, v87, 0x7060302
	v_dual_mul_f32 v79, v82, v79 :: v_dual_lshlrev_b32 v80, 6, v65
	v_dual_mul_f32 v77, v82, v77 :: v_dual_lshlrev_b32 v92, 11, v66
	v_mul_f32_e32 v84, v82, v70
	v_perm_b32 v89, v88, v89, 0x7060302
	v_perm_b32 v88, v86, v85, 0x7060302
	;; [unrolled: 1-line block ×3, first 2 shown]
	v_mul_f32_e32 v70, v82, v81
	v_or3_b32 v76, v91, v92, v80
	v_dual_mul_f32 v78, v82, v78 :: v_dual_and_b32 v85, 0x7f800000, v84
	v_mul_f32_e32 v83, v82, v72
	v_mul_f32_e32 v81, v82, v71
	;; [unrolled: 1-line block ×3, first 2 shown]
	s_mov_b32 s3, exec_lo
	ds_store_b128 v76, v[87:90]
                                        ; implicit-def: $vgpr69
	v_cmpx_ne_u32_e32 0x7f800000, v85
	s_xor_b32 s3, exec_lo, s3
; %bb.45:
	v_bfe_u32 v69, v84, 16, 1
	s_delay_alu instid0(VALU_DEP_1)
	v_add3_u32 v69, v84, v69, 0x7fff
                                        ; implicit-def: $vgpr84
; %bb.46:
	s_and_not1_saveexec_b32 s3, s3
; %bb.47:
	v_and_b32_e32 v69, 0xffff, v84
	v_or_b32_e32 v71, 0x10000, v84
	s_delay_alu instid0(VALU_DEP_2) | instskip(NEXT) | instid1(VALU_DEP_2)
	v_cmp_eq_u32_e32 vcc_lo, 0, v69
	v_cndmask_b32_e32 v69, v71, v84, vcc_lo
; %bb.48:
	s_or_b32 exec_lo, exec_lo, s3
	v_and_b32_e32 v71, 0x7f800000, v72
	s_delay_alu instid0(VALU_DEP_1) | instskip(SKIP_1) | instid1(SALU_CYCLE_1)
	v_cmp_ne_u32_e32 vcc_lo, 0x7f800000, v71
                                        ; implicit-def: $vgpr71
	s_and_saveexec_b32 s3, vcc_lo
	s_xor_b32 s3, exec_lo, s3
; %bb.49:
	v_bfe_u32 v71, v72, 16, 1
	s_delay_alu instid0(VALU_DEP_1)
	v_add3_u32 v71, v72, v71, 0x7fff
                                        ; implicit-def: $vgpr72
; %bb.50:
	s_and_not1_saveexec_b32 s3, s3
; %bb.51:
	v_and_b32_e32 v71, 0xffff, v72
	v_or_b32_e32 v82, 0x10000, v72
	s_delay_alu instid0(VALU_DEP_2) | instskip(NEXT) | instid1(VALU_DEP_2)
	v_cmp_eq_u32_e32 vcc_lo, 0, v71
	v_cndmask_b32_e32 v71, v82, v72, vcc_lo
; %bb.52:
	s_or_b32 exec_lo, exec_lo, s3
	v_and_b32_e32 v72, 0x7f800000, v81
	s_delay_alu instid0(VALU_DEP_1) | instskip(SKIP_1) | instid1(SALU_CYCLE_1)
	v_cmp_ne_u32_e32 vcc_lo, 0x7f800000, v72
                                        ; implicit-def: $vgpr72
	s_and_saveexec_b32 s3, vcc_lo
	s_xor_b32 s3, exec_lo, s3
; %bb.53:
	v_bfe_u32 v72, v81, 16, 1
	s_delay_alu instid0(VALU_DEP_1)
	v_add3_u32 v72, v81, v72, 0x7fff
                                        ; implicit-def: $vgpr81
; %bb.54:
	s_and_not1_saveexec_b32 s3, s3
; %bb.55:
	v_and_b32_e32 v72, 0xffff, v81
	v_or_b32_e32 v82, 0x10000, v81
	s_delay_alu instid0(VALU_DEP_2) | instskip(NEXT) | instid1(VALU_DEP_2)
	v_cmp_eq_u32_e32 vcc_lo, 0, v72
	v_cndmask_b32_e32 v72, v82, v81, vcc_lo
; %bb.56:
	s_or_b32 exec_lo, exec_lo, s3
	v_and_b32_e32 v81, 0x7f800000, v83
	s_delay_alu instid0(VALU_DEP_1) | instskip(SKIP_1) | instid1(SALU_CYCLE_1)
	v_cmp_ne_u32_e32 vcc_lo, 0x7f800000, v81
                                        ; implicit-def: $vgpr81
	s_and_saveexec_b32 s3, vcc_lo
	s_xor_b32 s3, exec_lo, s3
; %bb.57:
	v_bfe_u32 v81, v83, 16, 1
	s_delay_alu instid0(VALU_DEP_1)
	v_add3_u32 v81, v83, v81, 0x7fff
                                        ; implicit-def: $vgpr83
; %bb.58:
	s_and_not1_saveexec_b32 s3, s3
; %bb.59:
	v_and_b32_e32 v81, 0xffff, v83
	v_or_b32_e32 v82, 0x10000, v83
	s_delay_alu instid0(VALU_DEP_2) | instskip(NEXT) | instid1(VALU_DEP_2)
	v_cmp_eq_u32_e32 vcc_lo, 0, v81
	v_cndmask_b32_e32 v81, v82, v83, vcc_lo
; %bb.60:
	s_or_b32 exec_lo, exec_lo, s3
	v_and_b32_e32 v82, 0x7f800000, v77
	s_delay_alu instid0(VALU_DEP_1) | instskip(SKIP_1) | instid1(SALU_CYCLE_1)
	v_cmp_ne_u32_e32 vcc_lo, 0x7f800000, v82
                                        ; implicit-def: $vgpr82
	s_and_saveexec_b32 s3, vcc_lo
	s_xor_b32 s3, exec_lo, s3
; %bb.61:
	v_bfe_u32 v82, v77, 16, 1
	s_delay_alu instid0(VALU_DEP_1)
	v_add3_u32 v82, v77, v82, 0x7fff
                                        ; implicit-def: $vgpr77
; %bb.62:
	s_and_not1_saveexec_b32 s3, s3
; %bb.63:
	v_and_b32_e32 v82, 0xffff, v77
	v_or_b32_e32 v83, 0x10000, v77
	s_delay_alu instid0(VALU_DEP_2) | instskip(NEXT) | instid1(VALU_DEP_2)
	v_cmp_eq_u32_e32 vcc_lo, 0, v82
	v_cndmask_b32_e32 v82, v83, v77, vcc_lo
; %bb.64:
	s_or_b32 exec_lo, exec_lo, s3
	v_and_b32_e32 v77, 0x7f800000, v78
	s_delay_alu instid0(VALU_DEP_1) | instskip(SKIP_1) | instid1(SALU_CYCLE_1)
	v_cmp_ne_u32_e32 vcc_lo, 0x7f800000, v77
                                        ; implicit-def: $vgpr77
	s_and_saveexec_b32 s3, vcc_lo
	s_xor_b32 s3, exec_lo, s3
; %bb.65:
	v_bfe_u32 v77, v78, 16, 1
	s_delay_alu instid0(VALU_DEP_1)
	v_add3_u32 v77, v78, v77, 0x7fff
                                        ; implicit-def: $vgpr78
; %bb.66:
	s_and_not1_saveexec_b32 s3, s3
; %bb.67:
	v_and_b32_e32 v77, 0xffff, v78
	v_or_b32_e32 v83, 0x10000, v78
	s_delay_alu instid0(VALU_DEP_2) | instskip(NEXT) | instid1(VALU_DEP_2)
	v_cmp_eq_u32_e32 vcc_lo, 0, v77
	v_cndmask_b32_e32 v77, v83, v78, vcc_lo
; %bb.68:
	s_or_b32 exec_lo, exec_lo, s3
	v_and_b32_e32 v78, 0x7f800000, v79
	s_delay_alu instid0(VALU_DEP_1) | instskip(SKIP_1) | instid1(SALU_CYCLE_1)
	v_cmp_ne_u32_e32 vcc_lo, 0x7f800000, v78
                                        ; implicit-def: $vgpr78
	s_and_saveexec_b32 s3, vcc_lo
	s_xor_b32 s3, exec_lo, s3
; %bb.69:
	v_bfe_u32 v78, v79, 16, 1
	s_delay_alu instid0(VALU_DEP_1)
	v_add3_u32 v78, v79, v78, 0x7fff
                                        ; implicit-def: $vgpr79
; %bb.70:
	s_and_not1_saveexec_b32 s3, s3
; %bb.71:
	v_and_b32_e32 v78, 0xffff, v79
	v_or_b32_e32 v83, 0x10000, v79
	s_delay_alu instid0(VALU_DEP_2) | instskip(NEXT) | instid1(VALU_DEP_2)
	v_cmp_eq_u32_e32 vcc_lo, 0, v78
	v_cndmask_b32_e32 v78, v83, v79, vcc_lo
; %bb.72:
	s_or_b32 exec_lo, exec_lo, s3
	v_and_b32_e32 v79, 0x7f800000, v70
	s_delay_alu instid0(VALU_DEP_1) | instskip(SKIP_1) | instid1(SALU_CYCLE_1)
	v_cmp_ne_u32_e32 vcc_lo, 0x7f800000, v79
                                        ; implicit-def: $vgpr79
	s_and_saveexec_b32 s3, vcc_lo
	s_xor_b32 s3, exec_lo, s3
; %bb.73:
	v_bfe_u32 v79, v70, 16, 1
	s_delay_alu instid0(VALU_DEP_1)
	v_add3_u32 v79, v70, v79, 0x7fff
                                        ; implicit-def: $vgpr70
; %bb.74:
	s_and_not1_saveexec_b32 s3, s3
; %bb.75:
	v_and_b32_e32 v79, 0xffff, v70
	v_or_b32_e32 v83, 0x10000, v70
	s_delay_alu instid0(VALU_DEP_2) | instskip(NEXT) | instid1(VALU_DEP_2)
	v_cmp_eq_u32_e32 vcc_lo, 0, v79
	v_cndmask_b32_e32 v79, v83, v70, vcc_lo
; %bb.76:
	s_or_b32 exec_lo, exec_lo, s3
	s_delay_alu instid0(VALU_DEP_1)
	v_perm_b32 v86, v79, v78, 0x7060302
	v_perm_b32 v85, v77, v82, 0x7060302
	;; [unrolled: 1-line block ×4, first 2 shown]
	v_lshl_or_b32 v82, v66, 11, v80
	ds_store_b128 v76, v[83:86] offset:1024
	s_waitcnt lgkmcnt(0)
	s_barrier
	buffer_gl0_inv
	ds_load_b128 v[69:72], v82
	ds_load_b128 v[83:86], v82 offset:16
	s_waitcnt lgkmcnt(1)
	v_lshrrev_b32_e32 v66, 16, v69
	s_waitcnt lgkmcnt(0)
	v_lshrrev_b32_e32 v91, 16, v83
	v_lshlrev_b32_e32 v78, 2, v74
	v_lshrrev_b32_e32 v95, 16, v70
	v_lshrrev_b32_e32 v98, 16, v84
	;; [unrolled: 1-line block ×4, first 2 shown]
	v_cmp_eq_u32_e32 vcc_lo, 1, v78
	v_lshrrev_b32_e32 v97, 16, v72
	v_lshrrev_b32_e32 v100, 16, v86
	v_cndmask_b32_e32 v87, v83, v91, vcc_lo
	v_or_b32_e32 v79, 1, v78
	v_cndmask_b32_e32 v81, v69, v66, vcc_lo
	v_cmp_eq_u32_e64 s4, 2, v78
	v_cmp_eq_u32_e64 s7, 3, v78
	;; [unrolled: 1-line block ×5, first 2 shown]
	v_cndmask_b32_e64 v81, v81, v70, s4
	v_cndmask_b32_e64 v87, v87, v84, s4
	v_cmp_eq_u32_e64 s8, 3, v79
	v_cndmask_b32_e64 v88, v69, v66, s3
	v_or_b32_e32 v77, 2, v78
	v_cndmask_b32_e64 v81, v81, v95, s7
	v_cndmask_b32_e64 v87, v87, v98, s7
	;; [unrolled: 1-line block ×4, first 2 shown]
	v_cmp_eq_u32_e64 s10, 5, v78
	v_cndmask_b32_e64 v81, v81, v71, s9
	v_cndmask_b32_e64 v87, v87, v85, s9
	v_cmp_eq_u32_e64 s11, 4, v79
	v_cndmask_b32_e64 v88, v88, v95, s8
	v_cmp_eq_u32_e64 s5, 1, v77
	v_cndmask_b32_e64 v89, v89, v84, s6
	v_cndmask_b32_e64 v81, v81, v96, s10
	v_cmp_eq_u32_e64 s12, 6, v78
	v_cndmask_b32_e64 v88, v88, v71, s11
	;; [unrolled: 3-line block ×3, first 2 shown]
	v_cndmask_b32_e64 v89, v89, v98, s8
	v_cndmask_b32_e64 v81, v81, v72, s12
	v_cmp_eq_u32_e64 s15, 7, v78
	v_cndmask_b32_e64 v88, v88, v96, s13
	v_cndmask_b32_e64 v87, v87, v86, s12
	v_cmp_eq_u32_e64 s16, 6, v79
	v_cmp_eq_u32_e64 s17, 2, v77
	v_cndmask_b32_e64 v89, v89, v85, s11
	v_cndmask_b32_e64 v101, v81, v97, s15
	;; [unrolled: 1-line block ×6, first 2 shown]
	v_cmp_eq_u32_e64 s18, 7, v79
	v_cmp_eq_u32_e64 s19, 3, v77
	;; [unrolled: 1-line block ×4, first 2 shown]
	v_cndmask_b32_e64 v87, v87, v84, s17
	v_cndmask_b32_e64 v103, v88, v97, s18
	;; [unrolled: 1-line block ×4, first 2 shown]
	v_or_b32_e32 v81, 3, v78
	v_cndmask_b32_e64 v93, v87, v98, s19
	v_cmp_eq_u32_e64 s24, 6, v77
	v_cndmask_b32_e64 v104, v88, v86, s16
	v_cndmask_b32_e64 v92, v89, v71, s20
	v_cmp_eq_u32_e64 s21, 1, v81
	ds_load_b128 v[87:90], v82 offset:1024
	v_cmp_eq_u32_e64 s23, 2, v81
	v_cmp_eq_u32_e64 s25, 3, v81
	v_cndmask_b32_e64 v105, v92, v96, s22
	v_cndmask_b32_e64 v66, v69, v66, s21
	;; [unrolled: 1-line block ×4, first 2 shown]
	ds_load_b128 v[91:94], v82 offset:1040
	v_cmp_eq_u32_e64 s26, 4, v81
	v_cndmask_b32_e64 v66, v66, v70, s23
	v_cmp_eq_u32_e64 s27, 7, v77
	v_cndmask_b32_e64 v70, v83, v84, s23
	v_cndmask_b32_e64 v84, v105, v72, s24
	v_cmp_eq_u32_e64 s28, 5, v81
	v_cndmask_b32_e64 v66, v66, v95, s25
	v_cmp_eq_u32_e64 s29, 6, v81
	v_cndmask_b32_e64 v70, v70, v98, s25
	v_cndmask_b32_e64 v69, v69, v99, s22
	;; [unrolled: 1-line block ×4, first 2 shown]
	s_waitcnt lgkmcnt(1)
	v_lshrrev_b32_e32 v95, 16, v87
	v_cndmask_b32_e64 v70, v70, v85, s26
	v_cndmask_b32_e64 v71, v84, v97, s27
	;; [unrolled: 1-line block ×4, first 2 shown]
	v_cndmask_b32_e32 v84, v87, v95, vcc_lo
	v_cndmask_b32_e64 v70, v70, v99, s28
	s_waitcnt lgkmcnt(0)
	v_lshrrev_b32_e32 v85, 16, v91
	v_lshrrev_b32_e32 v96, 16, v88
	v_cndmask_b32_e64 v98, v87, v95, s3
	v_cndmask_b32_e64 v84, v84, v88, s4
	;; [unrolled: 1-line block ×3, first 2 shown]
	v_cndmask_b32_e32 v99, v91, v85, vcc_lo
	v_cmp_eq_u32_e32 vcc_lo, 7, v81
	v_cndmask_b32_e64 v66, v66, v72, s29
	v_cndmask_b32_e64 v72, v84, v96, s7
	;; [unrolled: 1-line block ×3, first 2 shown]
	v_lshrrev_b32_e32 v98, 16, v92
	v_cndmask_b32_e32 v70, v70, v100, vcc_lo
	v_cndmask_b32_e64 v86, v99, v92, s4
	v_cndmask_b32_e64 v69, v69, v100, s27
	v_lshrrev_b32_e32 v100, 16, v93
	v_cndmask_b32_e64 v72, v72, v89, s9
	v_lshrrev_b32_e32 v99, 16, v89
	v_cndmask_b32_e64 v86, v86, v98, s7
	v_perm_b32 v71, v69, v71, 0x5040100
	v_cndmask_b32_e64 v84, v84, v96, s8
	s_delay_alu instid0(VALU_DEP_3) | instskip(NEXT) | instid1(VALU_DEP_2)
	v_cndmask_b32_e64 v86, v86, v93, s9
	v_cndmask_b32_e64 v84, v84, v89, s11
	s_delay_alu instid0(VALU_DEP_2) | instskip(NEXT) | instid1(VALU_DEP_1)
	v_cndmask_b32_e64 v86, v86, v100, s10
	v_cndmask_b32_e64 v69, v86, v94, s12
	;; [unrolled: 1-line block ×5, first 2 shown]
	s_delay_alu instid0(VALU_DEP_3) | instskip(NEXT) | instid1(VALU_DEP_3)
	v_cndmask_b32_e64 v86, v86, v88, s17
	v_cndmask_b32_e64 v87, v87, v88, s23
	s_delay_alu instid0(VALU_DEP_3) | instskip(NEXT) | instid1(VALU_DEP_3)
	v_cndmask_b32_e64 v88, v95, v92, s23
	v_cndmask_b32_e64 v86, v86, v96, s19
	;; [unrolled: 3-line block ×7, first 2 shown]
	s_delay_alu instid0(VALU_DEP_3) | instskip(SKIP_2) | instid1(VALU_DEP_2)
	v_cndmask_b32_e64 v88, v88, v94, s29
	v_cndmask_b32_e32 v66, v66, v97, vcc_lo
	v_cndmask_b32_e64 v97, v72, v99, s10
	v_perm_b32 v72, v70, v66, 0x5040100
	v_perm_b32 v70, v83, v103, 0x5040100
	v_cndmask_b32_e64 v103, v91, v85, s5
	v_cndmask_b32_e64 v85, v91, v85, s3
	;; [unrolled: 1-line block ×4, first 2 shown]
	v_lshrrev_b32_e32 v97, 16, v90
	v_cndmask_b32_e64 v91, v103, v92, s17
	v_cndmask_b32_e64 v85, v85, v92, s6
	;; [unrolled: 1-line block ×3, first 2 shown]
	s_mov_b32 s3, exec_lo
	v_cndmask_b32_e64 v83, v84, v97, s15
	v_cndmask_b32_e64 v91, v91, v98, s19
	;; [unrolled: 1-line block ×3, first 2 shown]
	v_lshrrev_b32_e32 v84, 16, v94
	v_cndmask_b32_e64 v66, v66, v97, s18
	v_cndmask_b32_e64 v90, v86, v97, s27
	;; [unrolled: 1-line block ×4, first 2 shown]
	v_dual_cndmask_b32 v86, v87, v97 :: v_dual_cndmask_b32 v87, v88, v84
	v_cndmask_b32_e64 v91, v69, v84, s15
	s_delay_alu instid0(VALU_DEP_4) | instskip(NEXT) | instid1(VALU_DEP_4)
	v_cndmask_b32_e64 v89, v89, v100, s22
	v_cndmask_b32_e64 v85, v85, v100, s13
	v_perm_b32 v69, v102, v101, 0x5040100
	v_perm_b32 v86, v87, v86, 0x5040100
	;; [unrolled: 1-line block ×3, first 2 shown]
	v_cndmask_b32_e64 v89, v89, v94, s24
	v_cndmask_b32_e64 v85, v85, v94, s16
	s_mul_i32 s8, s35, 15
	s_delay_alu instid0(VALU_DEP_2) | instskip(NEXT) | instid1(VALU_DEP_2)
	v_cndmask_b32_e64 v88, v89, v84, s27
	v_cndmask_b32_e64 v89, v85, v84, s18
	s_delay_alu instid0(VALU_DEP_2) | instskip(NEXT) | instid1(VALU_DEP_2)
	v_perm_b32 v85, v88, v90, 0x5040100
	v_perm_b32 v84, v89, v66, 0x5040100
	ds_store_b128 v76, v[69:72]
	ds_store_b128 v76, v[83:86] offset:1024
	v_cmpx_gt_u32_e32 15, v0
	s_cbranch_execz .LBB1916_78
; %bb.77:
	s_mul_i32 s4, s8, s30
	s_delay_alu instid0(SALU_CYCLE_1) | instskip(SKIP_1) | instid1(VALU_DEP_1)
	v_add3_u32 v69, s4, s31, v65
	s_load_b128 s[4:7], s[0:1], 0x58
	v_mad_u64_u32 v[65:66], null, v69, s34, s[14:15]
	s_delay_alu instid0(VALU_DEP_1) | instskip(NEXT) | instid1(VALU_DEP_1)
	v_ashrrev_i32_e32 v66, 31, v65
	v_lshlrev_b64 v[65:66], 2, v[65:66]
	s_waitcnt lgkmcnt(0)
	s_delay_alu instid0(VALU_DEP_1) | instskip(NEXT) | instid1(VALU_DEP_2)
	v_add_co_u32 v69, vcc_lo, s6, v65
	v_add_co_ci_u32_e32 v70, vcc_lo, s7, v66, vcc_lo
	v_add_co_u32 v65, vcc_lo, s4, v65
	v_add_co_ci_u32_e32 v66, vcc_lo, s5, v66, vcc_lo
	global_store_b32 v[69:70], v67, off
	global_store_b32 v[65:66], v68, off
.LBB1916_78:
	s_or_b32 exec_lo, exec_lo, s3
	s_waitcnt lgkmcnt(0)
	s_waitcnt_vscnt null, 0x0
	s_barrier
	buffer_gl0_inv
	ds_load_b128 v[83:86], v80
	ds_load_b128 v[87:90], v80 offset:16
	ds_load_b128 v[95:98], v80 offset:2064
	;; [unrolled: 1-line block ×3, first 2 shown]
	v_mov_b32_e32 v65, 0
	ds_load_b128 v[103:106], v80 offset:4112
	ds_load_b128 v[99:102], v80 offset:4096
	;; [unrolled: 1-line block ×4, first 2 shown]
	v_mov_b32_e32 v66, v65
	v_mov_b32_e32 v67, v65
	;; [unrolled: 1-line block ×7, first 2 shown]
	s_waitcnt lgkmcnt(6)
	s_delay_alu instid0(VALU_DEP_1)
	v_wmma_f32_16x16x16_bf16 v[65:72], v[49:56], v[83:90], v[65:72]
	ds_load_b128 v[53:56], v80 offset:8208
	ds_load_b128 v[49:52], v80 offset:8192
	s_waitcnt lgkmcnt(6)
	v_wmma_f32_16x16x16_bf16 v[65:72], v[41:48], v[91:98], v[65:72]
	ds_load_b128 v[45:48], v80 offset:10256
	ds_load_b128 v[41:44], v80 offset:10240
	s_waitcnt lgkmcnt(6)
	;; [unrolled: 4-line block ×4, first 2 shown]
	v_wmma_f32_16x16x16_bf16 v[65:72], v[1:8], v[49:56], v[65:72]
	s_waitcnt lgkmcnt(4)
	s_delay_alu instid0(VALU_DEP_1) | instskip(SKIP_1) | instid1(VALU_DEP_1)
	v_wmma_f32_16x16x16_bf16 v[65:72], v[9:16], v[41:48], v[65:72]
	s_waitcnt lgkmcnt(2)
	v_wmma_f32_16x16x16_bf16 v[65:72], v[17:24], v[33:40], v[65:72]
	s_waitcnt lgkmcnt(0)
	s_delay_alu instid0(VALU_DEP_1) | instskip(NEXT) | instid1(VALU_DEP_1)
	v_wmma_f32_16x16x16_bf16 v[65:72], v[57:64], v[25:32], v[65:72]
	v_and_b32_e32 v1, 0x7f800000, v65
	s_delay_alu instid0(VALU_DEP_1) | instskip(SKIP_1) | instid1(SALU_CYCLE_1)
	v_cmp_ne_u32_e32 vcc_lo, 0x7f800000, v1
                                        ; implicit-def: $vgpr1
	s_and_saveexec_b32 s3, vcc_lo
	s_xor_b32 s3, exec_lo, s3
; %bb.79:
	v_bfe_u32 v1, v65, 16, 1
	s_delay_alu instid0(VALU_DEP_1)
	v_add3_u32 v1, v65, v1, 0x7fff
; %bb.80:
	s_and_not1_saveexec_b32 s3, s3
; %bb.81:
	v_and_b32_e32 v1, 0xffff, v65
	v_or_b32_e32 v2, 0x10000, v65
	s_delay_alu instid0(VALU_DEP_2) | instskip(NEXT) | instid1(VALU_DEP_2)
	v_cmp_eq_u32_e32 vcc_lo, 0, v1
	v_cndmask_b32_e32 v1, v2, v65, vcc_lo
; %bb.82:
	s_or_b32 exec_lo, exec_lo, s3
	v_and_b32_e32 v2, 0x7f800000, v66
	s_delay_alu instid0(VALU_DEP_1) | instskip(SKIP_1) | instid1(SALU_CYCLE_1)
	v_cmp_ne_u32_e32 vcc_lo, 0x7f800000, v2
                                        ; implicit-def: $vgpr2
	s_and_saveexec_b32 s3, vcc_lo
	s_xor_b32 s3, exec_lo, s3
; %bb.83:
	v_bfe_u32 v2, v66, 16, 1
	s_delay_alu instid0(VALU_DEP_1)
	v_add3_u32 v2, v66, v2, 0x7fff
; %bb.84:
	s_and_not1_saveexec_b32 s3, s3
; %bb.85:
	v_and_b32_e32 v2, 0xffff, v66
	v_or_b32_e32 v3, 0x10000, v66
	s_delay_alu instid0(VALU_DEP_2) | instskip(NEXT) | instid1(VALU_DEP_2)
	v_cmp_eq_u32_e32 vcc_lo, 0, v2
	v_cndmask_b32_e32 v2, v3, v66, vcc_lo
; %bb.86:
	s_or_b32 exec_lo, exec_lo, s3
	v_and_b32_e32 v3, 0x7f800000, v67
	s_delay_alu instid0(VALU_DEP_1) | instskip(SKIP_1) | instid1(SALU_CYCLE_1)
	v_cmp_ne_u32_e32 vcc_lo, 0x7f800000, v3
                                        ; implicit-def: $vgpr3
	s_and_saveexec_b32 s3, vcc_lo
	s_xor_b32 s3, exec_lo, s3
; %bb.87:
	v_bfe_u32 v3, v67, 16, 1
	s_delay_alu instid0(VALU_DEP_1)
	v_add3_u32 v3, v67, v3, 0x7fff
; %bb.88:
	s_and_not1_saveexec_b32 s3, s3
; %bb.89:
	v_and_b32_e32 v3, 0xffff, v67
	v_or_b32_e32 v4, 0x10000, v67
	s_delay_alu instid0(VALU_DEP_2) | instskip(NEXT) | instid1(VALU_DEP_2)
	v_cmp_eq_u32_e32 vcc_lo, 0, v3
	v_cndmask_b32_e32 v3, v4, v67, vcc_lo
; %bb.90:
	s_or_b32 exec_lo, exec_lo, s3
	v_and_b32_e32 v4, 0x7f800000, v68
	s_delay_alu instid0(VALU_DEP_1) | instskip(SKIP_1) | instid1(SALU_CYCLE_1)
	v_cmp_ne_u32_e32 vcc_lo, 0x7f800000, v4
                                        ; implicit-def: $vgpr4
	s_and_saveexec_b32 s3, vcc_lo
	s_xor_b32 s3, exec_lo, s3
; %bb.91:
	v_bfe_u32 v4, v68, 16, 1
	s_delay_alu instid0(VALU_DEP_1)
	v_add3_u32 v4, v68, v4, 0x7fff
; %bb.92:
	s_and_not1_saveexec_b32 s3, s3
; %bb.93:
	v_and_b32_e32 v4, 0xffff, v68
	v_or_b32_e32 v5, 0x10000, v68
	s_delay_alu instid0(VALU_DEP_2) | instskip(NEXT) | instid1(VALU_DEP_2)
	v_cmp_eq_u32_e32 vcc_lo, 0, v4
	v_cndmask_b32_e32 v4, v5, v68, vcc_lo
; %bb.94:
	s_or_b32 exec_lo, exec_lo, s3
	v_and_b32_e32 v5, 0x7f800000, v69
	s_delay_alu instid0(VALU_DEP_1) | instskip(SKIP_1) | instid1(SALU_CYCLE_1)
	v_cmp_ne_u32_e32 vcc_lo, 0x7f800000, v5
                                        ; implicit-def: $vgpr5
	s_and_saveexec_b32 s3, vcc_lo
	s_xor_b32 s3, exec_lo, s3
; %bb.95:
	v_bfe_u32 v5, v69, 16, 1
	s_delay_alu instid0(VALU_DEP_1)
	v_add3_u32 v5, v69, v5, 0x7fff
; %bb.96:
	s_and_not1_saveexec_b32 s3, s3
; %bb.97:
	v_and_b32_e32 v5, 0xffff, v69
	v_or_b32_e32 v6, 0x10000, v69
	s_delay_alu instid0(VALU_DEP_2) | instskip(NEXT) | instid1(VALU_DEP_2)
	v_cmp_eq_u32_e32 vcc_lo, 0, v5
	v_cndmask_b32_e32 v5, v6, v69, vcc_lo
; %bb.98:
	s_or_b32 exec_lo, exec_lo, s3
	v_and_b32_e32 v6, 0x7f800000, v70
	s_delay_alu instid0(VALU_DEP_1) | instskip(SKIP_1) | instid1(SALU_CYCLE_1)
	v_cmp_ne_u32_e32 vcc_lo, 0x7f800000, v6
                                        ; implicit-def: $vgpr6
	s_and_saveexec_b32 s3, vcc_lo
	s_xor_b32 s3, exec_lo, s3
; %bb.99:
	v_bfe_u32 v6, v70, 16, 1
	s_delay_alu instid0(VALU_DEP_1)
	v_add3_u32 v6, v70, v6, 0x7fff
; %bb.100:
	s_and_not1_saveexec_b32 s3, s3
; %bb.101:
	v_and_b32_e32 v6, 0xffff, v70
	v_or_b32_e32 v7, 0x10000, v70
	s_delay_alu instid0(VALU_DEP_2) | instskip(NEXT) | instid1(VALU_DEP_2)
	v_cmp_eq_u32_e32 vcc_lo, 0, v6
	v_cndmask_b32_e32 v6, v7, v70, vcc_lo
; %bb.102:
	s_or_b32 exec_lo, exec_lo, s3
	v_and_b32_e32 v7, 0x7f800000, v71
	s_delay_alu instid0(VALU_DEP_1) | instskip(SKIP_1) | instid1(SALU_CYCLE_1)
	v_cmp_ne_u32_e32 vcc_lo, 0x7f800000, v7
                                        ; implicit-def: $vgpr7
	s_and_saveexec_b32 s3, vcc_lo
	s_xor_b32 s3, exec_lo, s3
; %bb.103:
	v_bfe_u32 v7, v71, 16, 1
	s_delay_alu instid0(VALU_DEP_1)
	v_add3_u32 v7, v71, v7, 0x7fff
; %bb.104:
	s_and_not1_saveexec_b32 s3, s3
; %bb.105:
	v_and_b32_e32 v7, 0xffff, v71
	v_or_b32_e32 v8, 0x10000, v71
	s_delay_alu instid0(VALU_DEP_2) | instskip(NEXT) | instid1(VALU_DEP_2)
	v_cmp_eq_u32_e32 vcc_lo, 0, v7
	v_cndmask_b32_e32 v7, v8, v71, vcc_lo
; %bb.106:
	s_or_b32 exec_lo, exec_lo, s3
	v_and_b32_e32 v8, 0x7f800000, v72
	s_delay_alu instid0(VALU_DEP_1) | instskip(SKIP_1) | instid1(SALU_CYCLE_1)
	v_cmp_ne_u32_e32 vcc_lo, 0x7f800000, v8
                                        ; implicit-def: $vgpr8
	s_and_saveexec_b32 s3, vcc_lo
	s_xor_b32 s3, exec_lo, s3
; %bb.107:
	v_bfe_u32 v8, v72, 16, 1
	s_delay_alu instid0(VALU_DEP_1)
	v_add3_u32 v8, v72, v8, 0x7fff
                                        ; implicit-def: $vgpr65_vgpr66_vgpr67_vgpr68_vgpr69_vgpr70_vgpr71_vgpr72
; %bb.108:
	s_and_not1_saveexec_b32 s3, s3
; %bb.109:
	v_and_b32_e32 v8, 0xffff, v72
	v_or_b32_e32 v9, 0x10000, v72
	s_delay_alu instid0(VALU_DEP_2) | instskip(NEXT) | instid1(VALU_DEP_2)
	v_cmp_eq_u32_e32 vcc_lo, 0, v8
	v_cndmask_b32_e32 v8, v9, v72, vcc_lo
; %bb.110:
	s_or_b32 exec_lo, exec_lo, s3
	s_delay_alu instid0(VALU_DEP_1)
	v_perm_b32 v7, v8, v7, 0x7060302
	v_perm_b32 v6, v6, v5, 0x7060302
	;; [unrolled: 1-line block ×4, first 2 shown]
	s_barrier
	buffer_gl0_inv
	v_cmp_eq_u32_e32 vcc_lo, 1, v78
	ds_store_b128 v76, v[4:7]
	s_waitcnt lgkmcnt(0)
	s_barrier
	buffer_gl0_inv
	ds_load_b128 v[1:4], v82
	ds_load_b128 v[5:8], v82 offset:16
	v_cmp_eq_u32_e64 s3, 1, v79
	v_cmp_eq_u32_e64 s4, 2, v78
	;; [unrolled: 1-line block ×5, first 2 shown]
	s_waitcnt lgkmcnt(1)
	v_lshrrev_b32_e32 v9, 16, v1
	s_waitcnt lgkmcnt(0)
	v_lshrrev_b32_e32 v13, 16, v5
	v_lshrrev_b32_e32 v10, 16, v2
	;; [unrolled: 1-line block ×4, first 2 shown]
	v_cndmask_b32_e64 v19, v1, v9, s3
	v_cndmask_b32_e32 v18, v5, v13, vcc_lo
	v_cndmask_b32_e64 v20, v5, v13, s3
	v_cndmask_b32_e32 v17, v1, v9, vcc_lo
	v_cmp_eq_u32_e32 vcc_lo, 2, v79
	v_lshrrev_b32_e32 v15, 16, v7
	v_cmp_eq_u32_e64 s3, 1, v77
	v_lshrrev_b32_e32 v12, 16, v4
	v_lshrrev_b32_e32 v16, 16, v8
	v_cndmask_b32_e32 v20, v20, v6, vcc_lo
	v_cndmask_b32_e64 v17, v17, v2, s4
	v_cndmask_b32_e32 v19, v19, v2, vcc_lo
	v_cndmask_b32_e64 v18, v18, v6, s4
	v_cmp_eq_u32_e32 vcc_lo, 4, v78
	v_cmp_eq_u32_e64 s4, 3, v79
	v_cndmask_b32_e64 v17, v17, v10, s5
	v_cndmask_b32_e64 v21, v1, v9, s3
	;; [unrolled: 1-line block ×5, first 2 shown]
	v_cndmask_b32_e32 v17, v17, v3, vcc_lo
	v_cndmask_b32_e64 v20, v20, v14, s4
	v_cndmask_b32_e32 v18, v18, v7, vcc_lo
	v_cmp_eq_u32_e32 vcc_lo, 4, v79
	v_cmp_eq_u32_e64 s4, 5, v79
	v_cmp_eq_u32_e64 s3, 2, v81
	v_cndmask_b32_e64 v21, v21, v2, s7
	v_cmp_eq_u32_e64 s5, 5, v78
	v_cndmask_b32_e32 v19, v19, v3, vcc_lo
	v_cndmask_b32_e32 v20, v20, v7, vcc_lo
	v_cmp_eq_u32_e32 vcc_lo, 6, v79
	s_delay_alu instid0(VALU_DEP_4) | instskip(NEXT) | instid1(VALU_DEP_4)
	v_cndmask_b32_e64 v17, v17, v11, s5
	v_cndmask_b32_e64 v19, v19, v11, s4
	s_delay_alu instid0(VALU_DEP_4) | instskip(SKIP_1) | instid1(VALU_DEP_3)
	v_cndmask_b32_e64 v20, v20, v15, s4
	v_cmp_eq_u32_e64 s4, 1, v81
	v_cndmask_b32_e32 v19, v19, v4, vcc_lo
	v_cndmask_b32_e64 v18, v18, v15, s5
	s_delay_alu instid0(VALU_DEP_3)
	v_cndmask_b32_e64 v1, v1, v9, s4
	v_cndmask_b32_e64 v5, v5, v13, s4
	v_cmp_eq_u32_e64 s4, 3, v77
	v_cndmask_b32_e64 v13, v22, v6, s7
	v_cmp_eq_u32_e64 s7, 3, v81
	v_cndmask_b32_e64 v1, v1, v2, s3
	v_cndmask_b32_e64 v2, v5, v6, s3
	;; [unrolled: 1-line block ×3, first 2 shown]
	v_cmp_eq_u32_e64 s3, 4, v77
	v_cndmask_b32_e64 v6, v13, v14, s4
	v_cndmask_b32_e64 v1, v1, v10, s7
	v_cmp_eq_u32_e64 s4, 4, v81
	v_cndmask_b32_e64 v2, v2, v14, s7
	v_cndmask_b32_e64 v5, v9, v3, s3
	;; [unrolled: 3-line block ×3, first 2 shown]
	v_cndmask_b32_e64 v2, v2, v7, s4
	v_cmp_eq_u32_e64 s3, 5, v81
	v_cmp_eq_u32_e64 s5, 6, v78
	v_cndmask_b32_e64 v5, v5, v11, s7
	v_cmp_eq_u32_e64 s4, 6, v77
	v_cndmask_b32_e64 v3, v6, v15, s7
	v_cndmask_b32_e64 v1, v1, v11, s3
	v_cmp_eq_u32_e64 s7, 6, v81
	v_cndmask_b32_e64 v2, v2, v15, s3
	v_cndmask_b32_e64 v17, v17, v4, s5
	v_cndmask_b32_e64 v18, v18, v8, s5
	v_cmp_eq_u32_e64 s5, 7, v78
	v_cndmask_b32_e64 v5, v5, v4, s4
	;; [unrolled: 4-line block ×3, first 2 shown]
	v_cmp_eq_u32_e64 s4, 7, v77
	v_cndmask_b32_e32 v4, v20, v8, vcc_lo
	v_cndmask_b32_e64 v17, v17, v12, s5
	v_cndmask_b32_e64 v19, v19, v12, s6
	;; [unrolled: 1-line block ×8, first 2 shown]
	s_mov_b32 s3, exec_lo
	v_perm_b32 v4, v2, v1, 0x5040100
	v_perm_b32 v3, v3, v5, 0x5040100
	;; [unrolled: 1-line block ×4, first 2 shown]
	ds_store_b128 v76, v[1:4]
	s_waitcnt lgkmcnt(0)
	s_barrier
	buffer_gl0_inv
	v_cmpx_gt_u32_e32 32, v0
	s_cbranch_execz .LBB1916_2
; %bb.111:
	s_load_b64 s[4:5], s[0:1], 0x68
	v_add_nc_u32_e32 v20, s31, v74
	v_lshlrev_b32_e32 v0, 10, v0
	v_lshlrev_b32_e32 v1, 4, v75
	s_lshl_b32 s0, s34, 7
	s_delay_alu instid0(SALU_CYCLE_1)
	s_mul_i32 s1, s0, s30
	v_add_nc_u32_e32 v2, 2, v20
	s_mul_i32 s6, s1, s8
	v_and_or_b32 v0, 0x3800, v0, v1
	v_mul_lo_u32 v1, v20, s0
	s_ashr_i32 s7, s6, 31
	v_mul_lo_u32 v11, v2, s0
	s_lshl_b64 s[6:7], s[6:7], 1
	v_add_nc_u32_e32 v3, 4, v20
	v_lshl_or_b32 v21, v74, 6, v0
	v_add_nc_u32_e32 v16, 6, v20
	v_ashrrev_i32_e32 v2, 31, v1
	s_delay_alu instid0(VALU_DEP_4)
	v_mul_lo_u32 v13, v3, s0
	s_waitcnt lgkmcnt(0)
	s_add_u32 s1, s4, s6
	s_addc_u32 s3, s5, s7
	s_lshl_b32 s4, s14, 7
	ds_load_b128 v[3:6], v21
	ds_load_b128 v[7:10], v21 offset:128
	s_ashr_i32 s5, s4, 31
	v_ashrrev_i32_e32 v12, 31, v11
	s_lshl_b64 s[4:5], s[4:5], 1
	v_lshlrev_b64 v[14:15], 1, v[1:2]
	s_add_u32 s1, s1, s4
	s_addc_u32 s3, s3, s5
	v_add_co_u32 v1, s1, s1, v73
	s_delay_alu instid0(VALU_DEP_1) | instskip(SKIP_1) | instid1(VALU_DEP_3)
	v_add_co_ci_u32_e64 v2, null, s3, 0, s1
	v_lshlrev_b64 v[11:12], 1, v[11:12]
	v_add_co_u32 v18, vcc_lo, v1, v14
	v_mul_lo_u32 v16, v16, s0
	s_delay_alu instid0(VALU_DEP_4) | instskip(NEXT) | instid1(VALU_DEP_4)
	v_add_co_ci_u32_e32 v19, vcc_lo, v2, v15, vcc_lo
	v_add_co_u32 v11, vcc_lo, v1, v11
	v_ashrrev_i32_e32 v14, 31, v13
	v_add_co_ci_u32_e32 v12, vcc_lo, v2, v12, vcc_lo
	v_add_nc_u32_e32 v15, 8, v20
	v_ashrrev_i32_e32 v17, 31, v16
	s_waitcnt lgkmcnt(1)
	global_store_b128 v[18:19], v[3:6], off
	v_lshlrev_b64 v[3:4], 1, v[13:14]
	s_waitcnt lgkmcnt(0)
	global_store_b128 v[11:12], v[7:10], off
	v_mul_lo_u32 v11, v15, s0
	v_add_nc_u32_e32 v7, 10, v20
	v_lshlrev_b64 v[5:6], 1, v[16:17]
	v_add_co_u32 v23, vcc_lo, v1, v3
	v_add_nc_u32_e32 v3, 12, v20
	s_delay_alu instid0(VALU_DEP_4)
	v_mul_lo_u32 v25, v7, s0
	v_ashrrev_i32_e32 v12, 31, v11
	v_add_co_ci_u32_e32 v24, vcc_lo, v2, v4, vcc_lo
	v_add_co_u32 v27, vcc_lo, v1, v5
	v_mul_lo_u32 v29, v3, s0
	v_add_co_ci_u32_e32 v28, vcc_lo, v2, v6, vcc_lo
	ds_load_b128 v[3:6], v21 offset:256
	ds_load_b128 v[7:10], v21 offset:384
	v_lshlrev_b64 v[31:32], 1, v[11:12]
	ds_load_b128 v[11:14], v21 offset:512
	ds_load_b128 v[15:18], v21 offset:640
	;; [unrolled: 1-line block ×3, first 2 shown]
	v_ashrrev_i32_e32 v26, 31, v25
	v_ashrrev_i32_e32 v30, 31, v29
	v_add_co_u32 v31, vcc_lo, v1, v31
	s_delay_alu instid0(VALU_DEP_3) | instskip(NEXT) | instid1(VALU_DEP_3)
	v_lshlrev_b64 v[25:26], 1, v[25:26]
	v_lshlrev_b64 v[29:30], 1, v[29:30]
	v_add_co_ci_u32_e32 v32, vcc_lo, v2, v32, vcc_lo
	s_delay_alu instid0(VALU_DEP_3) | instskip(NEXT) | instid1(VALU_DEP_4)
	v_add_co_u32 v25, vcc_lo, v1, v25
	v_add_co_ci_u32_e32 v26, vcc_lo, v2, v26, vcc_lo
	s_delay_alu instid0(VALU_DEP_4)
	v_add_co_u32 v29, vcc_lo, v1, v29
	v_add_co_ci_u32_e32 v30, vcc_lo, v2, v30, vcc_lo
	s_waitcnt lgkmcnt(4)
	global_store_b128 v[23:24], v[3:6], off
	s_waitcnt lgkmcnt(3)
	global_store_b128 v[27:28], v[7:10], off
	;; [unrolled: 2-line block ×5, first 2 shown]
	s_and_b32 exec_lo, exec_lo, s2
	s_cbranch_execz .LBB1916_2
; %bb.112:
	ds_load_b128 v[3:6], v0 offset:896
	s_add_i32 s1, s31, 14
	s_delay_alu instid0(SALU_CYCLE_1) | instskip(NEXT) | instid1(SALU_CYCLE_1)
	s_mul_i32 s0, s1, s0
	s_ashr_i32 s1, s0, 31
	s_delay_alu instid0(SALU_CYCLE_1) | instskip(NEXT) | instid1(SALU_CYCLE_1)
	s_lshl_b64 s[0:1], s[0:1], 1
	v_add_co_u32 v0, vcc_lo, v1, s0
	v_add_co_ci_u32_e32 v1, vcc_lo, s1, v2, vcc_lo
	s_waitcnt lgkmcnt(0)
	global_store_b128 v[0:1], v[3:6], off
	s_nop 0
	s_sendmsg sendmsg(MSG_DEALLOC_VGPRS)
	s_endpgm
	.section	.rodata,"a",@progbits
	.p2align	6, 0x0
	.amdhsa_kernel _Z39paged_attention_ll4mi_QKV_mfma16_kernelI14__hip_bfloat16hLN4vllm18Fp8KVCacheDataTypeE1ES0_Li32ELi128ELi256ELb0ELi15EL8MFMAType0EEvPKT_PKT0_S9_ifPKiSB_SB_iPKfiiiPfSE_PS4_PT2_iSD_SD_
		.amdhsa_group_segment_fixed_size 17472
		.amdhsa_private_segment_fixed_size 0
		.amdhsa_kernarg_size 400
		.amdhsa_user_sgpr_count 13
		.amdhsa_user_sgpr_dispatch_ptr 0
		.amdhsa_user_sgpr_queue_ptr 0
		.amdhsa_user_sgpr_kernarg_segment_ptr 1
		.amdhsa_user_sgpr_dispatch_id 0
		.amdhsa_user_sgpr_private_segment_size 0
		.amdhsa_wavefront_size32 1
		.amdhsa_uses_dynamic_stack 0
		.amdhsa_enable_private_segment 0
		.amdhsa_system_sgpr_workgroup_id_x 1
		.amdhsa_system_sgpr_workgroup_id_y 1
		.amdhsa_system_sgpr_workgroup_id_z 1
		.amdhsa_system_sgpr_workgroup_info 0
		.amdhsa_system_vgpr_workitem_id 0
		.amdhsa_next_free_vgpr 140
		.amdhsa_next_free_sgpr 36
		.amdhsa_reserve_vcc 1
		.amdhsa_float_round_mode_32 0
		.amdhsa_float_round_mode_16_64 0
		.amdhsa_float_denorm_mode_32 3
		.amdhsa_float_denorm_mode_16_64 3
		.amdhsa_dx10_clamp 1
		.amdhsa_ieee_mode 1
		.amdhsa_fp16_overflow 0
		.amdhsa_workgroup_processor_mode 1
		.amdhsa_memory_ordered 1
		.amdhsa_forward_progress 0
		.amdhsa_shared_vgpr_count 0
		.amdhsa_exception_fp_ieee_invalid_op 0
		.amdhsa_exception_fp_denorm_src 0
		.amdhsa_exception_fp_ieee_div_zero 0
		.amdhsa_exception_fp_ieee_overflow 0
		.amdhsa_exception_fp_ieee_underflow 0
		.amdhsa_exception_fp_ieee_inexact 0
		.amdhsa_exception_int_div_zero 0
	.end_amdhsa_kernel
	.section	.text._Z39paged_attention_ll4mi_QKV_mfma16_kernelI14__hip_bfloat16hLN4vllm18Fp8KVCacheDataTypeE1ES0_Li32ELi128ELi256ELb0ELi15EL8MFMAType0EEvPKT_PKT0_S9_ifPKiSB_SB_iPKfiiiPfSE_PS4_PT2_iSD_SD_,"axG",@progbits,_Z39paged_attention_ll4mi_QKV_mfma16_kernelI14__hip_bfloat16hLN4vllm18Fp8KVCacheDataTypeE1ES0_Li32ELi128ELi256ELb0ELi15EL8MFMAType0EEvPKT_PKT0_S9_ifPKiSB_SB_iPKfiiiPfSE_PS4_PT2_iSD_SD_,comdat
.Lfunc_end1916:
	.size	_Z39paged_attention_ll4mi_QKV_mfma16_kernelI14__hip_bfloat16hLN4vllm18Fp8KVCacheDataTypeE1ES0_Li32ELi128ELi256ELb0ELi15EL8MFMAType0EEvPKT_PKT0_S9_ifPKiSB_SB_iPKfiiiPfSE_PS4_PT2_iSD_SD_, .Lfunc_end1916-_Z39paged_attention_ll4mi_QKV_mfma16_kernelI14__hip_bfloat16hLN4vllm18Fp8KVCacheDataTypeE1ES0_Li32ELi128ELi256ELb0ELi15EL8MFMAType0EEvPKT_PKT0_S9_ifPKiSB_SB_iPKfiiiPfSE_PS4_PT2_iSD_SD_
                                        ; -- End function
	.section	.AMDGPU.csdata,"",@progbits
; Kernel info:
; codeLenInByte = 9156
; NumSgprs: 38
; NumVgprs: 140
; ScratchSize: 0
; MemoryBound: 0
; FloatMode: 240
; IeeeMode: 1
; LDSByteSize: 17472 bytes/workgroup (compile time only)
; SGPRBlocks: 4
; VGPRBlocks: 17
; NumSGPRsForWavesPerEU: 38
; NumVGPRsForWavesPerEU: 140
; Occupancy: 10
; WaveLimiterHint : 1
; COMPUTE_PGM_RSRC2:SCRATCH_EN: 0
; COMPUTE_PGM_RSRC2:USER_SGPR: 13
; COMPUTE_PGM_RSRC2:TRAP_HANDLER: 0
; COMPUTE_PGM_RSRC2:TGID_X_EN: 1
; COMPUTE_PGM_RSRC2:TGID_Y_EN: 1
; COMPUTE_PGM_RSRC2:TGID_Z_EN: 1
; COMPUTE_PGM_RSRC2:TIDIG_COMP_CNT: 0
	.section	.text._Z39paged_attention_ll4mi_QKV_mfma16_kernelI14__hip_bfloat16hLN4vllm18Fp8KVCacheDataTypeE1ES0_Li32ELi128ELi256ELb0ELi16EL8MFMAType0EEvPKT_PKT0_S9_ifPKiSB_SB_iPKfiiiPfSE_PS4_PT2_iSD_SD_,"axG",@progbits,_Z39paged_attention_ll4mi_QKV_mfma16_kernelI14__hip_bfloat16hLN4vllm18Fp8KVCacheDataTypeE1ES0_Li32ELi128ELi256ELb0ELi16EL8MFMAType0EEvPKT_PKT0_S9_ifPKiSB_SB_iPKfiiiPfSE_PS4_PT2_iSD_SD_,comdat
	.protected	_Z39paged_attention_ll4mi_QKV_mfma16_kernelI14__hip_bfloat16hLN4vllm18Fp8KVCacheDataTypeE1ES0_Li32ELi128ELi256ELb0ELi16EL8MFMAType0EEvPKT_PKT0_S9_ifPKiSB_SB_iPKfiiiPfSE_PS4_PT2_iSD_SD_ ; -- Begin function _Z39paged_attention_ll4mi_QKV_mfma16_kernelI14__hip_bfloat16hLN4vllm18Fp8KVCacheDataTypeE1ES0_Li32ELi128ELi256ELb0ELi16EL8MFMAType0EEvPKT_PKT0_S9_ifPKiSB_SB_iPKfiiiPfSE_PS4_PT2_iSD_SD_
	.globl	_Z39paged_attention_ll4mi_QKV_mfma16_kernelI14__hip_bfloat16hLN4vllm18Fp8KVCacheDataTypeE1ES0_Li32ELi128ELi256ELb0ELi16EL8MFMAType0EEvPKT_PKT0_S9_ifPKiSB_SB_iPKfiiiPfSE_PS4_PT2_iSD_SD_
	.p2align	8
	.type	_Z39paged_attention_ll4mi_QKV_mfma16_kernelI14__hip_bfloat16hLN4vllm18Fp8KVCacheDataTypeE1ES0_Li32ELi128ELi256ELb0ELi16EL8MFMAType0EEvPKT_PKT0_S9_ifPKiSB_SB_iPKfiiiPfSE_PS4_PT2_iSD_SD_,@function
_Z39paged_attention_ll4mi_QKV_mfma16_kernelI14__hip_bfloat16hLN4vllm18Fp8KVCacheDataTypeE1ES0_Li32ELi128ELi256ELb0ELi16EL8MFMAType0EEvPKT_PKT0_S9_ifPKiSB_SB_iPKfiiiPfSE_PS4_PT2_iSD_SD_: ; @_Z39paged_attention_ll4mi_QKV_mfma16_kernelI14__hip_bfloat16hLN4vllm18Fp8KVCacheDataTypeE1ES0_Li32ELi128ELi256ELb0ELi16EL8MFMAType0EEvPKT_PKT0_S9_ifPKiSB_SB_iPKfiiiPfSE_PS4_PT2_iSD_SD_
; %bb.0:
	s_load_b64 s[4:5], s[0:1], 0x30
	s_mov_b32 s30, s13
	s_waitcnt lgkmcnt(0)
	s_cmp_lg_u64 s[4:5], 0
	s_cselect_b32 s8, -1, 0
	s_ashr_i32 s31, s13, 31
	s_cmp_eq_u64 s[4:5], 0
	s_cbranch_scc1 .LBB1917_3
; %bb.1:
	s_lshl_b64 s[2:3], s[30:31], 2
	s_delay_alu instid0(SALU_CYCLE_1) | instskip(SKIP_4) | instid1(SALU_CYCLE_1)
	s_add_u32 s2, s4, s2
	s_addc_u32 s3, s5, s3
	s_load_b64 s[2:3], s[2:3], 0x0
	s_waitcnt lgkmcnt(0)
	s_sub_i32 s2, s3, s2
	s_cmp_eq_u32 s2, 1
	s_cselect_b32 s2, -1, 0
	s_delay_alu instid0(SALU_CYCLE_1)
	s_and_not1_b32 vcc_lo, exec_lo, s2
	s_cbranch_vccz .LBB1917_4
.LBB1917_2:
	s_endpgm
.LBB1917_3:
.LBB1917_4:
	s_load_b64 s[2:3], s[0:1], 0x28
	s_lshl_b64 s[6:7], s[30:31], 2
	s_waitcnt lgkmcnt(0)
	s_add_u32 s2, s2, s6
	s_addc_u32 s3, s3, s7
	s_lshl_b32 s12, s14, 8
	s_load_b32 s24, s[2:3], 0x0
	s_waitcnt lgkmcnt(0)
	s_cmp_ge_i32 s12, s24
	s_cbranch_scc1 .LBB1917_2
; %bb.5:
	s_clause 0x1
	s_load_b128 s[20:23], s[0:1], 0x8
	s_load_b64 s[2:3], s[0:1], 0x20
	s_and_not1_b32 vcc_lo, exec_lo, s8
	s_cbranch_vccnz .LBB1917_7
; %bb.6:
	s_add_u32 s4, s4, s6
	s_addc_u32 s5, s5, s7
	s_load_b32 s5, s[4:5], 0x0
	s_branch .LBB1917_8
.LBB1917_7:
	s_mov_b32 s5, s30
.LBB1917_8:
	s_load_b128 s[16:19], s[0:1], 0x48
	v_and_b32_e32 v66, 15, v0
	v_lshrrev_b32_e32 v65, 5, v0
	v_and_b32_e32 v67, 31, v0
	v_and_b32_e32 v75, 1, v0
	v_bfe_u32 v74, v0, 4, 1
	v_lshlrev_b32_e32 v1, 3, v66
	s_lshl_b32 s29, s15, 4
	s_mov_b32 s4, exec_lo
	s_delay_alu instid0(VALU_DEP_1)
	v_lshlrev_b32_e32 v73, 1, v1
	v_cmpx_gt_u32_e32 0x100, v0
	s_cbranch_execz .LBB1917_10
; %bb.9:
	v_lshl_or_b32 v5, v65, 1, v74
	s_load_b64 s[6:7], s[0:1], 0x0
	s_waitcnt lgkmcnt(0)
	s_mul_hi_i32 s9, s5, s16
	s_mul_i32 s8, s5, s16
	v_lshlrev_b32_e32 v6, 10, v66
	v_or_b32_e32 v1, s29, v5
	s_lshl_b64 s[8:9], s[8:9], 1
	v_lshlrev_b32_e32 v5, 6, v5
	v_lshlrev_b32_e32 v7, 10, v75
	v_and_b32_e32 v6, 0x3800, v6
	v_lshlrev_b32_e32 v1, 7, v1
	s_delay_alu instid0(VALU_DEP_2) | instskip(NEXT) | instid1(VALU_DEP_2)
	v_or3_b32 v5, v6, v7, v5
	v_ashrrev_i32_e32 v2, 31, v1
	s_delay_alu instid0(VALU_DEP_1) | instskip(SKIP_2) | instid1(VALU_DEP_1)
	v_lshlrev_b64 v[1:2], 1, v[1:2]
	s_add_u32 s5, s6, s8
	s_addc_u32 s6, s7, s9
	v_add_co_u32 v1, vcc_lo, s5, v1
	s_delay_alu instid0(VALU_DEP_2) | instskip(NEXT) | instid1(VALU_DEP_2)
	v_add_co_ci_u32_e32 v2, vcc_lo, s6, v2, vcc_lo
	v_add_co_u32 v1, vcc_lo, v1, v73
	s_delay_alu instid0(VALU_DEP_2)
	v_add_co_ci_u32_e32 v2, vcc_lo, 0, v2, vcc_lo
	global_load_b128 v[1:4], v[1:2], off
	s_waitcnt vmcnt(0)
	ds_store_b128 v5, v[1:4]
.LBB1917_10:
	s_or_b32 exec_lo, exec_lo, s4
	v_and_b32_e32 v1, 0xef, v0
	s_waitcnt lgkmcnt(0)
	s_add_i32 s5, s24, 31
	s_clause 0x1
	s_load_b32 s4, s[0:1], 0x38
	s_load_b32 s19, s[0:1], 0x1c
	s_ashr_i32 s6, s5, 31
	v_add_nc_u32_e32 v1, s12, v1
	s_lshr_b32 s6, s6, 27
	s_waitcnt lgkmcnt(0)
	s_add_i32 s5, s5, s6
	s_barrier
	v_ashrrev_i32_e32 v2, 31, v1
	v_or_b32_e32 v3, 16, v1
	s_ashr_i32 s13, s5, 5
	v_cmp_gt_i32_e32 vcc_lo, s24, v1
	s_add_i32 s13, s13, -1
	v_lshrrev_b32_e32 v2, 27, v2
	buffer_gl0_inv
	s_mul_i32 s31, s15, s18
	v_add_nc_u32_e32 v4, v1, v2
	s_mul_i32 s4, s30, s4
	s_delay_alu instid0(SALU_CYCLE_1) | instskip(NEXT) | instid1(VALU_DEP_1)
	s_ashr_i32 s5, s4, 31
	v_ashrrev_i32_e32 v4, 5, v4
	v_add_nc_u32_e32 v2, v3, v2
	s_lshl_b64 s[4:5], s[4:5], 2
	s_delay_alu instid0(SALU_CYCLE_1) | instskip(NEXT) | instid1(VALU_DEP_2)
	s_add_u32 s25, s2, s4
	v_cndmask_b32_e32 v1, s13, v4, vcc_lo
	s_delay_alu instid0(VALU_DEP_2)
	v_ashrrev_i32_e32 v2, 5, v2
	v_cmp_gt_i32_e32 vcc_lo, s24, v3
	s_addc_u32 s28, s3, s5
	s_ashr_i32 s33, s31, 31
	s_add_u32 s4, s20, s31
	s_addc_u32 s5, s21, s33
	v_cndmask_b32_e32 v3, s13, v2, vcc_lo
	v_ashrrev_i32_e32 v2, 31, v1
	s_lshl_b32 s2, s14, 3
	s_delay_alu instid0(SALU_CYCLE_1) | instskip(NEXT) | instid1(VALU_DEP_2)
	s_ashr_i32 s3, s2, 31
	v_ashrrev_i32_e32 v4, 31, v3
	s_delay_alu instid0(VALU_DEP_2) | instskip(SKIP_1) | instid1(SALU_CYCLE_1)
	v_lshlrev_b64 v[1:2], 2, v[1:2]
	s_lshl_b64 s[2:3], s[2:3], 2
	s_add_u32 s2, s25, s2
	s_delay_alu instid0(VALU_DEP_2) | instskip(SKIP_1) | instid1(VALU_DEP_2)
	v_lshlrev_b64 v[3:4], 2, v[3:4]
	s_addc_u32 s3, s28, s3
	v_add_co_u32 v1, vcc_lo, s25, v1
	v_add_co_ci_u32_e32 v2, vcc_lo, s28, v2, vcc_lo
	s_delay_alu instid0(VALU_DEP_3) | instskip(NEXT) | instid1(VALU_DEP_4)
	v_add_co_u32 v3, vcc_lo, s25, v3
	v_add_co_ci_u32_e32 v4, vcc_lo, s28, v4, vcc_lo
	s_clause 0x1
	global_load_b32 v5, v[1:2], off
	global_load_b32 v6, v[3:4], off
	s_or_b32 s6, s12, 32
	s_delay_alu instid0(SALU_CYCLE_1) | instskip(SKIP_2) | instid1(SALU_CYCLE_1)
	s_ashr_i32 s7, s6, 5
	s_cmp_lt_i32 s6, s24
	s_cselect_b32 s6, s7, s13
	s_ashr_i32 s7, s6, 31
	s_delay_alu instid0(SALU_CYCLE_1) | instskip(NEXT) | instid1(SALU_CYCLE_1)
	s_lshl_b64 s[6:7], s[6:7], 2
	s_add_u32 s6, s25, s6
	s_addc_u32 s7, s28, s7
	s_or_b32 s8, s12, 64
	s_delay_alu instid0(SALU_CYCLE_1) | instskip(SKIP_2) | instid1(SALU_CYCLE_1)
	s_ashr_i32 s9, s8, 5
	s_cmp_lt_i32 s8, s24
	s_cselect_b32 s8, s9, s13
	s_ashr_i32 s9, s8, 31
	s_delay_alu instid0(SALU_CYCLE_1) | instskip(NEXT) | instid1(SALU_CYCLE_1)
	s_lshl_b64 s[8:9], s[8:9], 2
	s_add_u32 s8, s25, s8
	s_addc_u32 s9, s28, s9
	;; [unrolled: 10-line block ×5, first 2 shown]
	s_clause 0x5
	s_load_b32 s20, s[2:3], 0x0
	s_load_b32 s2, s[6:7], 0x0
	;; [unrolled: 1-line block ×6, first 2 shown]
	s_or_b32 s8, s12, 0xc0
	s_delay_alu instid0(SALU_CYCLE_1) | instskip(SKIP_2) | instid1(SALU_CYCLE_1)
	s_ashr_i32 s9, s8, 5
	s_cmp_lt_i32 s8, s24
	s_cselect_b32 s26, s9, s13
	s_ashr_i32 s27, s26, 31
	s_delay_alu instid0(SALU_CYCLE_1) | instskip(NEXT) | instid1(SALU_CYCLE_1)
	s_lshl_b64 s[26:27], s[26:27], 2
	s_add_u32 s26, s25, s26
	s_addc_u32 s27, s28, s27
	s_or_b32 s21, s12, 0xe0
	s_waitcnt vmcnt(1)
	v_mad_i64_i32 v[1:2], null, v5, s17, s[4:5]
	s_waitcnt vmcnt(0)
	v_mad_i64_i32 v[3:4], null, v6, s17, s[4:5]
	s_mov_b32 s4, 0
	s_delay_alu instid0(SALU_CYCLE_1)
	s_mov_b32 s5, s4
	s_mov_b32 s6, s4
	s_mov_b32 s7, s4
	s_mov_b32 s8, s4
	s_mov_b32 s9, s4
	s_mov_b32 s10, s4
	s_mov_b32 s11, s4
	s_delay_alu instid0(SALU_CYCLE_1) | instskip(SKIP_2) | instid1(VALU_DEP_3)
	v_dual_mov_b32 v108, s11 :: v_dual_lshlrev_b32 v5, 4, v66
	v_mov_b32_e32 v104, s7
	v_dual_mov_b32 v105, s8 :: v_dual_lshlrev_b32 v76, 6, v66
	v_add_co_u32 v33, vcc_lo, v1, v5
	v_add_co_ci_u32_e32 v34, vcc_lo, 0, v2, vcc_lo
	v_add_co_u32 v35, vcc_lo, v3, v5
	v_add_co_ci_u32_e32 v36, vcc_lo, 0, v4, vcc_lo
	s_clause 0xf
	global_load_b128 v[1:4], v[33:34], off
	global_load_b128 v[5:8], v[33:34], off offset:512
	global_load_b128 v[9:12], v[35:36], off offset:256
	;; [unrolled: 1-line block ×15, first 2 shown]
	v_dual_mov_b32 v102, s5 :: v_dual_lshlrev_b32 v41, 5, v66
	v_dual_mov_b32 v107, s10 :: v_dual_mov_b32 v106, s9
	v_mov_b32_e32 v103, s6
	v_mov_b32_e32 v101, s4
	s_ashr_i32 s4, s21, 5
	s_cmp_lt_i32 s21, s24
	ds_load_b128 v[33:36], v76
	ds_load_b128 v[37:40], v76 offset:1024
	s_cselect_b32 s4, s4, s13
	ds_load_b128 v[109:112], v76 offset:2048
	ds_load_b128 v[113:116], v76 offset:3072
	s_ashr_i32 s5, s4, 31
	v_lshl_or_b32 v41, v65, 9, v41
	s_lshl_b64 s[4:5], s[4:5], 2
	s_load_b32 s6, s[26:27], 0x0
	s_add_u32 s4, s25, s4
	s_addc_u32 s5, s28, s5
	ds_load_b128 v[117:120], v76 offset:4096
	ds_load_b128 v[121:124], v76 offset:5120
	s_load_b32 s4, s[4:5], 0x0
	s_add_u32 s7, s22, s31
	s_addc_u32 s8, s23, s33
	v_add_co_u32 v68, s7, s7, v41
	s_delay_alu instid0(VALU_DEP_1) | instskip(SKIP_1) | instid1(VALU_DEP_1)
	v_add_co_ci_u32_e64 v69, null, s8, 0, s7
	s_waitcnt lgkmcnt(0)
	v_mad_i64_i32 v[41:42], null, s20, s17, v[68:69]
	v_mad_i64_i32 v[70:71], null, s3, s17, v[68:69]
	v_mad_i64_i32 v[45:46], null, s2, s17, v[68:69]
	v_mad_i64_i32 v[133:134], null, s15, s17, v[68:69]
	v_mad_i64_i32 v[135:136], null, s16, s17, v[68:69]
	v_mad_i64_i32 v[137:138], null, s18, s17, v[68:69]
	v_mad_i64_i32 v[139:140], null, s6, s17, v[68:69]
	s_clause 0x3
	global_load_b128 v[49:52], v[41:42], off
	global_load_b128 v[53:56], v[41:42], off offset:16
	global_load_b128 v[41:44], v[45:46], off
	global_load_b128 v[45:48], v[45:46], off offset:16
	s_waitcnt vmcnt(18)
	v_wmma_f32_16x16x16_bf16 v[125:132], v[1:8], v[33:40], v[101:108]
	s_waitcnt vmcnt(16)
	v_wmma_f32_16x16x16_bf16 v[101:108], v[9:16], v[33:40], v[101:108]
	s_clause 0x1
	global_load_b128 v[33:36], v[70:71], off
	global_load_b128 v[37:40], v[70:71], off offset:16
	v_mad_i64_i32 v[70:71], null, s4, s17, v[68:69]
	s_waitcnt vmcnt(16)
	v_wmma_f32_16x16x16_bf16 v[125:132], v[17:24], v[109:116], v[125:132]
	s_waitcnt vmcnt(14)
	v_wmma_f32_16x16x16_bf16 v[101:108], v[25:32], v[109:116], v[101:108]
	s_clause 0x7
	global_load_b128 v[25:28], v[133:134], off
	global_load_b128 v[29:32], v[133:134], off offset:16
	global_load_b128 v[1:4], v[135:136], off
	global_load_b128 v[5:8], v[135:136], off offset:16
	;; [unrolled: 2-line block ×4, first 2 shown]
	s_waitcnt vmcnt(20)
	v_wmma_f32_16x16x16_bf16 v[125:132], v[57:64], v[117:124], v[125:132]
	s_clause 0x1
	global_load_b128 v[57:60], v[70:71], off
	global_load_b128 v[61:64], v[70:71], off offset:16
	s_waitcnt vmcnt(20)
	v_wmma_f32_16x16x16_bf16 v[101:108], v[77:84], v[117:124], v[101:108]
	ds_load_b128 v[77:80], v76 offset:6144
	ds_load_b128 v[81:84], v76 offset:7168
	v_and_b32_e32 v68, 0xe0, v0
	v_mbcnt_lo_u32_b32 v69, -1, 0
	s_waitcnt vmcnt(0) lgkmcnt(0)
	s_barrier
	buffer_gl0_inv
	v_add_nc_u32_e32 v68, s12, v68
	v_xor_b32_e32 v70, 16, v69
	s_delay_alu instid0(VALU_DEP_2) | instskip(NEXT) | instid1(VALU_DEP_2)
	v_or_b32_e32 v68, v68, v74
	v_cmp_gt_i32_e32 vcc_lo, 32, v70
	s_delay_alu instid0(VALU_DEP_2)
	v_or_b32_e32 v71, 4, v68
	v_or_b32_e32 v72, 6, v68
	v_cmp_gt_i32_e64 s2, s24, v68
	v_or_b32_e32 v109, 8, v68
	v_wmma_f32_16x16x16_bf16 v[125:132], v[85:92], v[77:84], v[125:132]
	v_cndmask_b32_e32 v69, v69, v70, vcc_lo
	v_or_b32_e32 v70, 2, v68
	v_wmma_f32_16x16x16_bf16 v[101:108], v[93:100], v[77:84], v[101:108]
	v_or_b32_e32 v85, 10, v68
	v_dual_mul_f32 v80, s19, v132 :: v_dual_mul_f32 v93, s19, v127
	v_dual_mul_f32 v94, s19, v126 :: v_dual_mul_f32 v95, s19, v125
	s_delay_alu instid0(VALU_DEP_4) | instskip(SKIP_2) | instid1(VALU_DEP_4)
	v_mul_f32_e32 v96, s19, v108
	v_cmp_gt_i32_e32 vcc_lo, s24, v70
	v_dual_mul_f32 v83, s19, v129 :: v_dual_mul_f32 v84, s19, v128
	v_cndmask_b32_e64 v95, 0xff7fffff, v95, s2
	v_cmp_gt_i32_e64 s3, s24, v71
	v_cndmask_b32_e32 v94, 0xff7fffff, v94, vcc_lo
	v_cmp_gt_i32_e64 s4, s24, v72
	v_or_b32_e32 v86, 12, v68
	v_or_b32_e32 v87, 14, v68
	v_dual_mul_f32 v81, s19, v131 :: v_dual_mul_f32 v82, s19, v130
	v_cndmask_b32_e64 v93, 0xff7fffff, v93, s3
	v_cndmask_b32_e64 v72, 0xff7fffff, v84, s4
	v_max3_f32 v84, v95, 0xff7fffff, v94
	v_cmp_gt_i32_e64 s5, s24, v109
	v_cmp_gt_i32_e64 s6, s24, v85
	v_or_b32_e32 v88, 16, v68
	v_or_b32_e32 v89, 18, v68
	v_max3_f32 v72, v84, v93, v72
	v_cndmask_b32_e64 v83, 0xff7fffff, v83, s5
	v_cndmask_b32_e64 v82, 0xff7fffff, v82, s6
	v_cmp_gt_i32_e64 s7, s24, v86
	v_cmp_gt_i32_e64 s8, s24, v87
	v_or_b32_e32 v90, 20, v68
	v_or_b32_e32 v91, 22, v68
	;; [unrolled: 1-line block ×6, first 2 shown]
	v_dual_mul_f32 v70, s19, v103 :: v_dual_mul_f32 v71, s19, v101
	v_mul_f32_e32 v68, s19, v102
	v_cndmask_b32_e64 v81, 0xff7fffff, v81, s7
	v_cndmask_b32_e64 v80, 0xff7fffff, v80, s8
	v_max3_f32 v72, v72, v83, v82
	v_cmp_gt_i32_e64 s9, s24, v88
	v_cmp_gt_i32_e64 s10, s24, v89
	v_dual_mul_f32 v99, s19, v105 :: v_dual_mul_f32 v100, s19, v104
	s_delay_alu instid0(VALU_DEP_4) | instskip(NEXT) | instid1(VALU_DEP_4)
	v_max3_f32 v72, v72, v81, v80
	v_cndmask_b32_e64 v71, 0xff7fffff, v71, s9
	s_delay_alu instid0(VALU_DEP_4) | instskip(SKIP_3) | instid1(VALU_DEP_4)
	v_cndmask_b32_e64 v68, 0xff7fffff, v68, s10
	v_cmp_gt_i32_e64 s11, s24, v90
	v_cmp_gt_i32_e64 s12, s24, v91
	v_dual_mul_f32 v97, s19, v107 :: v_dual_mul_f32 v98, s19, v106
	v_max3_f32 v68, v72, v71, v68
	s_delay_alu instid0(VALU_DEP_4) | instskip(NEXT) | instid1(VALU_DEP_4)
	v_cndmask_b32_e64 v70, 0xff7fffff, v70, s11
	v_cndmask_b32_e64 v80, 0xff7fffff, v100, s12
	v_cmp_gt_i32_e64 s13, s24, v92
	v_cmp_gt_i32_e64 s15, s24, v77
	;; [unrolled: 1-line block ×4, first 2 shown]
	v_max3_f32 v68, v68, v70, v80
	v_cndmask_b32_e64 v71, 0xff7fffff, v99, s13
	v_cndmask_b32_e64 v72, 0xff7fffff, v98, s15
	;; [unrolled: 1-line block ×4, first 2 shown]
	v_lshlrev_b32_e32 v90, 2, v69
	s_delay_alu instid0(VALU_DEP_4) | instskip(NEXT) | instid1(VALU_DEP_1)
	v_max3_f32 v68, v68, v71, v72
	v_max3_f32 v68, v68, v70, v77
	ds_bpermute_b32 v69, v90, v68
	s_waitcnt lgkmcnt(0)
	v_max_f32_e32 v69, v69, v69
	s_delay_alu instid0(VALU_DEP_1) | instskip(NEXT) | instid1(VALU_DEP_1)
	v_max_f32_e32 v81, v68, v69
	v_fma_f32 v68, s19, v125, -v81
	v_fma_f32 v69, s19, v126, -v81
	;; [unrolled: 1-line block ×5, first 2 shown]
	s_delay_alu instid0(VALU_DEP_4) | instskip(NEXT) | instid1(VALU_DEP_3)
	v_dual_mul_f32 v68, 0x3fb8aa3b, v68 :: v_dual_mul_f32 v69, 0x3fb8aa3b, v69
	v_dual_mul_f32 v70, 0x3fb8aa3b, v70 :: v_dual_mul_f32 v71, 0x3fb8aa3b, v71
	v_fma_f32 v78, s19, v131, -v81
	s_delay_alu instid0(VALU_DEP_3) | instskip(NEXT) | instid1(VALU_DEP_3)
	v_exp_f32_e32 v68, v68
	v_exp_f32_e32 v69, v69
	s_delay_alu instid0(VALU_DEP_2)
	v_exp_f32_e32 v70, v70
	v_mul_f32_e32 v72, 0x3fb8aa3b, v72
	v_exp_f32_e32 v71, v71
	v_mul_f32_e32 v78, 0x3fb8aa3b, v78
	v_fma_f32 v80, s19, v106, -v81
	v_cndmask_b32_e64 v82, 0, v68, s2
	s_delay_alu instid0(TRANS32_DEP_3) | instskip(SKIP_2) | instid1(TRANS32_DEP_3)
	v_cndmask_b32_e32 v77, 0, v69, vcc_lo
	v_fma_f32 v68, s19, v130, -v81
	v_exp_f32_e32 v72, v72
	v_cndmask_b32_e64 v83, 0, v70, s3
	v_add_f32_e32 v69, 0, v82
	v_fma_f32 v70, s19, v132, -v81
	v_mul_f32_e32 v68, 0x3fb8aa3b, v68
	v_cndmask_b32_e64 v85, 0, v71, s4
	v_fma_f32 v71, s19, v101, -v81
	s_delay_alu instid0(VALU_DEP_4) | instskip(NEXT) | instid1(VALU_DEP_4)
	v_dual_add_f32 v69, v69, v77 :: v_dual_mul_f32 v70, 0x3fb8aa3b, v70
	v_exp_f32_e32 v68, v68
	s_delay_alu instid0(TRANS32_DEP_2) | instskip(SKIP_1) | instid1(VALU_DEP_3)
	v_cndmask_b32_e64 v86, 0, v72, s5
	v_fma_f32 v72, s19, v102, -v81
	v_add_f32_e32 v69, v69, v83
	v_exp_f32_e32 v78, v78
	v_exp_f32_e32 v70, v70
	s_mov_b32 s2, exec_lo
	s_delay_alu instid0(VALU_DEP_1) | instskip(SKIP_1) | instid1(TRANS32_DEP_3)
	v_dual_mul_f32 v72, 0x3fb8aa3b, v72 :: v_dual_add_f32 v69, v69, v85
	v_mul_f32_e32 v71, 0x3fb8aa3b, v71
	v_cndmask_b32_e64 v87, 0, v68, s6
	s_delay_alu instid0(VALU_DEP_3) | instskip(NEXT) | instid1(VALU_DEP_3)
	v_exp_f32_e32 v72, v72
	v_add_f32_e32 v68, v69, v86
	v_fma_f32 v69, s19, v103, -v81
	v_exp_f32_e32 v71, v71
	v_cndmask_b32_e64 v84, 0, v78, s7
	v_fma_f32 v78, s19, v104, -v81
	s_delay_alu instid0(VALU_DEP_3) | instskip(SKIP_2) | instid1(VALU_DEP_3)
	v_dual_add_f32 v68, v68, v87 :: v_dual_mul_f32 v69, 0x3fb8aa3b, v69
	v_cndmask_b32_e64 v88, 0, v70, s8
	v_fma_f32 v70, s19, v105, -v81
	v_exp_f32_e32 v79, v69
	s_delay_alu instid0(TRANS32_DEP_2) | instskip(SKIP_1) | instid1(VALU_DEP_1)
	v_cndmask_b32_e64 v69, 0, v71, s9
	v_add_f32_e32 v68, v68, v84
	v_dual_mul_f32 v78, 0x3fb8aa3b, v78 :: v_dual_add_f32 v71, v68, v88
	s_delay_alu instid0(VALU_DEP_1) | instskip(SKIP_2) | instid1(VALU_DEP_3)
	v_exp_f32_e32 v78, v78
	v_cndmask_b32_e64 v68, 0, v72, s10
	v_fma_f32 v72, s19, v107, -v81
	v_dual_add_f32 v71, v71, v69 :: v_dual_mul_f32 v70, 0x3fb8aa3b, v70
	s_delay_alu instid0(VALU_DEP_1) | instskip(NEXT) | instid1(TRANS32_DEP_3)
	v_exp_f32_e32 v89, v70
	v_cndmask_b32_e64 v70, 0, v79, s11
	s_delay_alu instid0(VALU_DEP_2) | instskip(NEXT) | instid1(TRANS32_DEP_2)
	v_add_f32_e32 v79, v71, v68
	v_cndmask_b32_e64 v71, 0, v78, s12
	s_delay_alu instid0(VALU_DEP_2) | instskip(SKIP_2) | instid1(VALU_DEP_1)
	v_add_f32_e32 v78, v79, v70
	v_mul_f32_e32 v80, 0x3fb8aa3b, v80
	v_fma_f32 v79, s19, v108, -v81
	v_dual_mul_f32 v72, 0x3fb8aa3b, v72 :: v_dual_mul_f32 v79, 0x3fb8aa3b, v79
	s_delay_alu instid0(VALU_DEP_1) | instskip(NEXT) | instid1(TRANS32_DEP_2)
	v_exp_f32_e32 v91, v72
	v_cndmask_b32_e64 v72, 0, v89, s13
	v_add_f32_e32 v89, v78, v71
	v_exp_f32_e32 v80, v80
	s_waitcnt_depctr 0xfff
	v_cndmask_b32_e64 v78, 0, v80, s15
	v_add_f32_e32 v80, v89, v72
	v_exp_f32_e32 v89, v79
	v_cndmask_b32_e64 v79, 0, v91, s16
	s_delay_alu instid0(VALU_DEP_2) | instskip(NEXT) | instid1(VALU_DEP_1)
	v_add_f32_e32 v80, v80, v78
	v_add_f32_e32 v91, v80, v79
	s_waitcnt_depctr 0xfff
	v_cndmask_b32_e64 v80, 0, v89, s17
	s_delay_alu instid0(VALU_DEP_1)
	v_add_f32_e32 v89, v91, v80
	ds_bpermute_b32 v90, v90, v89
	v_cmpx_gt_u32_e32 16, v67
	s_cbranch_execz .LBB1917_12
; %bb.11:
	v_mul_u32_u24_e32 v67, 0x44, v65
	s_waitcnt lgkmcnt(0)
	v_add_f32_e32 v89, v89, v90
	s_delay_alu instid0(VALU_DEP_2) | instskip(NEXT) | instid1(VALU_DEP_1)
	v_lshl_add_u32 v67, v66, 2, v67
	v_add_nc_u32_e32 v67, 0x4000, v67
	ds_store_2addr_b32 v67, v81, v89 offset1:136
.LBB1917_12:
	s_or_b32 exec_lo, exec_lo, s2
	v_lshlrev_b32_e32 v66, 2, v66
	s_waitcnt lgkmcnt(0)
	s_barrier
	buffer_gl0_inv
	v_cmp_eq_u32_e32 vcc_lo, 1, v65
	v_add_nc_u32_e32 v81, 0x4000, v66
	v_cmp_eq_u32_e64 s2, 2, v65
	v_cmp_eq_u32_e64 s4, 7, v65
	ds_load_2addr_b32 v[89:90], v81 offset1:17
	ds_load_2addr_b32 v[91:92], v81 offset0:34 offset1:51
	ds_load_2addr_b32 v[93:94], v81 offset0:68 offset1:85
	;; [unrolled: 1-line block ×4, first 2 shown]
	s_waitcnt lgkmcnt(4)
	v_max3_f32 v66, v89, 0xff7fffff, v90
	s_waitcnt lgkmcnt(3)
	s_delay_alu instid0(VALU_DEP_1) | instskip(SKIP_1) | instid1(VALU_DEP_1)
	v_max3_f32 v66, v66, v91, v92
	s_waitcnt lgkmcnt(2)
	v_max3_f32 v66, v66, v93, v94
	s_waitcnt lgkmcnt(1)
	s_delay_alu instid0(VALU_DEP_1) | instskip(NEXT) | instid1(VALU_DEP_1)
	v_max3_f32 v66, v66, v95, v96
	v_sub_f32_e32 v67, v89, v66
	v_sub_f32_e32 v91, v91, v66
	v_sub_f32_e32 v93, v93, v66
	s_delay_alu instid0(VALU_DEP_3) | instskip(NEXT) | instid1(VALU_DEP_3)
	v_mul_f32_e32 v67, 0x3fb8aa3b, v67
	v_mul_f32_e32 v101, 0x3fb8aa3b, v91
	s_delay_alu instid0(VALU_DEP_3) | instskip(NEXT) | instid1(VALU_DEP_3)
	v_mul_f32_e32 v103, 0x3fb8aa3b, v93
	v_exp_f32_e32 v100, v67
	v_sub_f32_e32 v67, v92, v66
	v_sub_f32_e32 v99, v90, v66
	ds_load_2addr_b32 v[89:90], v81 offset0:170 offset1:187
	ds_load_2addr_b32 v[91:92], v81 offset0:204 offset1:221
	v_exp_f32_e32 v101, v101
	v_mul_f32_e32 v102, 0x3fb8aa3b, v67
	v_mul_f32_e32 v99, 0x3fb8aa3b, v99
	s_waitcnt lgkmcnt(2)
	v_fma_f32 v67, v100, v97, 0
	v_sub_f32_e32 v97, v94, v66
	s_delay_alu instid0(VALU_DEP_3)
	v_exp_f32_e32 v99, v99
	v_exp_f32_e32 v102, v102
	ds_load_2addr_b32 v[93:94], v81 offset0:238 offset1:255
	v_sub_f32_e32 v81, v95, v66
	v_mul_f32_e32 v95, 0x3fb8aa3b, v97
	v_exp_f32_e32 v97, v103
	s_waitcnt lgkmcnt(0)
	s_barrier
	v_mul_f32_e32 v81, 0x3fb8aa3b, v81
	v_exp_f32_e32 v95, v95
	v_fmac_f32_e32 v67, v99, v98
	buffer_gl0_inv
	v_exp_f32_e32 v81, v81
	v_fmac_f32_e32 v67, v101, v89
	v_sub_f32_e32 v89, v96, v66
	s_delay_alu instid0(VALU_DEP_2) | instskip(NEXT) | instid1(VALU_DEP_2)
	v_fmac_f32_e32 v67, v102, v90
	v_mul_f32_e32 v89, 0x3fb8aa3b, v89
	s_delay_alu instid0(VALU_DEP_2) | instskip(NEXT) | instid1(VALU_DEP_2)
	v_fmac_f32_e32 v67, v97, v91
	v_exp_f32_e32 v89, v89
	s_delay_alu instid0(VALU_DEP_1)
	v_fmac_f32_e32 v67, v95, v92
	s_delay_alu instid0(TRANS32_DEP_2) | instid1(VALU_DEP_1)
	v_fmac_f32_e32 v67, v81, v93
	s_waitcnt_depctr 0xfff
	v_fmac_f32_e32 v67, v89, v94
	s_delay_alu instid0(VALU_DEP_1) | instskip(NEXT) | instid1(VALU_DEP_1)
	v_add_f32_e32 v90, 0x358637bd, v67
	v_div_scale_f32 v91, null, v90, v90, 1.0
	v_div_scale_f32 v94, s3, 1.0, v90, 1.0
	s_delay_alu instid0(VALU_DEP_2) | instskip(SKIP_2) | instid1(VALU_DEP_1)
	v_rcp_f32_e32 v92, v91
	s_waitcnt_depctr 0xfff
	v_fma_f32 v93, -v91, v92, 1.0
	v_dual_fmac_f32 v92, v93, v92 :: v_dual_cndmask_b32 v93, v100, v99
	v_cmp_eq_u32_e32 vcc_lo, 3, v65
	s_delay_alu instid0(VALU_DEP_2) | instskip(NEXT) | instid1(VALU_DEP_3)
	v_mul_f32_e32 v96, v94, v92
	v_cndmask_b32_e64 v93, v93, v101, s2
	v_cmp_eq_u32_e64 s2, 4, v65
	s_delay_alu instid0(VALU_DEP_3) | instskip(NEXT) | instid1(VALU_DEP_3)
	v_fma_f32 v98, -v91, v96, v94
	v_cndmask_b32_e32 v93, v93, v102, vcc_lo
	v_cmp_eq_u32_e32 vcc_lo, 5, v65
	s_delay_alu instid0(VALU_DEP_3) | instskip(NEXT) | instid1(VALU_DEP_3)
	v_fmac_f32_e32 v96, v98, v92
	v_cndmask_b32_e64 v93, v93, v97, s2
	v_cmp_eq_u32_e64 s2, 6, v65
	s_delay_alu instid0(VALU_DEP_3) | instskip(NEXT) | instid1(VALU_DEP_3)
	v_fma_f32 v91, -v91, v96, v94
	v_cndmask_b32_e32 v93, v93, v95, vcc_lo
	s_mov_b32 vcc_lo, s3
	s_delay_alu instid0(VALU_DEP_2) | instskip(NEXT) | instid1(VALU_DEP_2)
	v_div_fmas_f32 v91, v91, v92, v96
	v_cndmask_b32_e64 v81, v93, v81, s2
	s_mov_b32 s2, exec_lo
	s_delay_alu instid0(VALU_DEP_2) | instskip(NEXT) | instid1(VALU_DEP_2)
	v_div_fixup_f32 v90, v91, v90, 1.0
	v_cndmask_b32_e64 v81, v81, v89, s4
	s_delay_alu instid0(VALU_DEP_1) | instskip(NEXT) | instid1(VALU_DEP_1)
	v_mul_f32_e32 v81, v81, v90
	v_mul_f32_e32 v90, v81, v82
	v_mul_f32_e32 v82, v81, v88
	v_mul_f32_e32 v84, v81, v84
	v_mul_f32_e32 v87, v81, v87
	v_mul_f32_e32 v88, v81, v86
	v_dual_mul_f32 v86, v81, v83 :: v_dual_and_b32 v91, 0x7f800000, v90
	v_mul_f32_e32 v89, v81, v85
	v_mul_f32_e32 v85, v81, v77
                                        ; implicit-def: $vgpr77
	s_delay_alu instid0(VALU_DEP_3)
	v_cmpx_ne_u32_e32 0x7f800000, v91
	s_xor_b32 s2, exec_lo, s2
; %bb.13:
	v_bfe_u32 v77, v90, 16, 1
	s_delay_alu instid0(VALU_DEP_1)
	v_add3_u32 v77, v90, v77, 0x7fff
                                        ; implicit-def: $vgpr90
; %bb.14:
	s_and_not1_saveexec_b32 s2, s2
; %bb.15:
	v_and_b32_e32 v77, 0xffff, v90
	v_or_b32_e32 v83, 0x10000, v90
	s_delay_alu instid0(VALU_DEP_2) | instskip(NEXT) | instid1(VALU_DEP_2)
	v_cmp_eq_u32_e32 vcc_lo, 0, v77
	v_cndmask_b32_e32 v77, v83, v90, vcc_lo
; %bb.16:
	s_or_b32 exec_lo, exec_lo, s2
	v_and_b32_e32 v83, 0x7f800000, v85
	s_delay_alu instid0(VALU_DEP_1) | instskip(SKIP_1) | instid1(SALU_CYCLE_1)
	v_cmp_ne_u32_e32 vcc_lo, 0x7f800000, v83
                                        ; implicit-def: $vgpr83
	s_and_saveexec_b32 s2, vcc_lo
	s_xor_b32 s2, exec_lo, s2
; %bb.17:
	v_bfe_u32 v83, v85, 16, 1
	s_delay_alu instid0(VALU_DEP_1)
	v_add3_u32 v83, v85, v83, 0x7fff
                                        ; implicit-def: $vgpr85
; %bb.18:
	s_and_not1_saveexec_b32 s2, s2
; %bb.19:
	v_and_b32_e32 v83, 0xffff, v85
	v_or_b32_e32 v90, 0x10000, v85
	s_delay_alu instid0(VALU_DEP_2) | instskip(NEXT) | instid1(VALU_DEP_2)
	v_cmp_eq_u32_e32 vcc_lo, 0, v83
	v_cndmask_b32_e32 v83, v90, v85, vcc_lo
; %bb.20:
	s_or_b32 exec_lo, exec_lo, s2
	v_and_b32_e32 v85, 0x7f800000, v86
	s_delay_alu instid0(VALU_DEP_1) | instskip(SKIP_1) | instid1(SALU_CYCLE_1)
	v_cmp_ne_u32_e32 vcc_lo, 0x7f800000, v85
                                        ; implicit-def: $vgpr85
	s_and_saveexec_b32 s2, vcc_lo
	s_xor_b32 s2, exec_lo, s2
; %bb.21:
	v_bfe_u32 v85, v86, 16, 1
	s_delay_alu instid0(VALU_DEP_1)
	v_add3_u32 v85, v86, v85, 0x7fff
                                        ; implicit-def: $vgpr86
; %bb.22:
	s_and_not1_saveexec_b32 s2, s2
; %bb.23:
	v_and_b32_e32 v85, 0xffff, v86
	v_or_b32_e32 v90, 0x10000, v86
	s_delay_alu instid0(VALU_DEP_2) | instskip(NEXT) | instid1(VALU_DEP_2)
	v_cmp_eq_u32_e32 vcc_lo, 0, v85
	v_cndmask_b32_e32 v85, v90, v86, vcc_lo
; %bb.24:
	s_or_b32 exec_lo, exec_lo, s2
	v_and_b32_e32 v86, 0x7f800000, v89
	s_delay_alu instid0(VALU_DEP_1) | instskip(SKIP_1) | instid1(SALU_CYCLE_1)
	v_cmp_ne_u32_e32 vcc_lo, 0x7f800000, v86
                                        ; implicit-def: $vgpr86
	s_and_saveexec_b32 s2, vcc_lo
	s_xor_b32 s2, exec_lo, s2
; %bb.25:
	v_bfe_u32 v86, v89, 16, 1
	s_delay_alu instid0(VALU_DEP_1)
	v_add3_u32 v86, v89, v86, 0x7fff
                                        ; implicit-def: $vgpr89
; %bb.26:
	s_and_not1_saveexec_b32 s2, s2
; %bb.27:
	v_and_b32_e32 v86, 0xffff, v89
	v_or_b32_e32 v90, 0x10000, v89
	s_delay_alu instid0(VALU_DEP_2) | instskip(NEXT) | instid1(VALU_DEP_2)
	v_cmp_eq_u32_e32 vcc_lo, 0, v86
	v_cndmask_b32_e32 v86, v90, v89, vcc_lo
; %bb.28:
	s_or_b32 exec_lo, exec_lo, s2
	v_and_b32_e32 v89, 0x7f800000, v88
	s_delay_alu instid0(VALU_DEP_1) | instskip(SKIP_1) | instid1(SALU_CYCLE_1)
	v_cmp_ne_u32_e32 vcc_lo, 0x7f800000, v89
                                        ; implicit-def: $vgpr89
	s_and_saveexec_b32 s2, vcc_lo
	s_xor_b32 s2, exec_lo, s2
; %bb.29:
	v_bfe_u32 v89, v88, 16, 1
	s_delay_alu instid0(VALU_DEP_1)
	v_add3_u32 v89, v88, v89, 0x7fff
                                        ; implicit-def: $vgpr88
; %bb.30:
	s_and_not1_saveexec_b32 s2, s2
; %bb.31:
	v_and_b32_e32 v89, 0xffff, v88
	v_or_b32_e32 v90, 0x10000, v88
	s_delay_alu instid0(VALU_DEP_2) | instskip(NEXT) | instid1(VALU_DEP_2)
	v_cmp_eq_u32_e32 vcc_lo, 0, v89
	v_cndmask_b32_e32 v89, v90, v88, vcc_lo
; %bb.32:
	s_or_b32 exec_lo, exec_lo, s2
	v_and_b32_e32 v88, 0x7f800000, v87
	s_delay_alu instid0(VALU_DEP_1) | instskip(SKIP_1) | instid1(SALU_CYCLE_1)
	v_cmp_ne_u32_e32 vcc_lo, 0x7f800000, v88
                                        ; implicit-def: $vgpr88
	s_and_saveexec_b32 s2, vcc_lo
	s_xor_b32 s2, exec_lo, s2
; %bb.33:
	v_bfe_u32 v88, v87, 16, 1
	s_delay_alu instid0(VALU_DEP_1)
	v_add3_u32 v88, v87, v88, 0x7fff
                                        ; implicit-def: $vgpr87
; %bb.34:
	s_and_not1_saveexec_b32 s2, s2
; %bb.35:
	v_and_b32_e32 v88, 0xffff, v87
	v_or_b32_e32 v90, 0x10000, v87
	s_delay_alu instid0(VALU_DEP_2) | instskip(NEXT) | instid1(VALU_DEP_2)
	v_cmp_eq_u32_e32 vcc_lo, 0, v88
	v_cndmask_b32_e32 v88, v90, v87, vcc_lo
; %bb.36:
	s_or_b32 exec_lo, exec_lo, s2
	v_and_b32_e32 v87, 0x7f800000, v84
	s_delay_alu instid0(VALU_DEP_1) | instskip(SKIP_1) | instid1(SALU_CYCLE_1)
	v_cmp_ne_u32_e32 vcc_lo, 0x7f800000, v87
                                        ; implicit-def: $vgpr87
	s_and_saveexec_b32 s2, vcc_lo
	s_xor_b32 s2, exec_lo, s2
; %bb.37:
	v_bfe_u32 v87, v84, 16, 1
	s_delay_alu instid0(VALU_DEP_1)
	v_add3_u32 v87, v84, v87, 0x7fff
                                        ; implicit-def: $vgpr84
; %bb.38:
	s_and_not1_saveexec_b32 s2, s2
; %bb.39:
	v_and_b32_e32 v87, 0xffff, v84
	v_or_b32_e32 v90, 0x10000, v84
	s_delay_alu instid0(VALU_DEP_2) | instskip(NEXT) | instid1(VALU_DEP_2)
	v_cmp_eq_u32_e32 vcc_lo, 0, v87
	v_cndmask_b32_e32 v87, v90, v84, vcc_lo
; %bb.40:
	s_or_b32 exec_lo, exec_lo, s2
	v_and_b32_e32 v84, 0x7f800000, v82
	s_delay_alu instid0(VALU_DEP_1) | instskip(SKIP_1) | instid1(SALU_CYCLE_1)
	v_cmp_ne_u32_e32 vcc_lo, 0x7f800000, v84
                                        ; implicit-def: $vgpr84
	s_and_saveexec_b32 s2, vcc_lo
	s_xor_b32 s2, exec_lo, s2
; %bb.41:
	v_bfe_u32 v84, v82, 16, 1
	s_delay_alu instid0(VALU_DEP_1)
	v_add3_u32 v84, v82, v84, 0x7fff
                                        ; implicit-def: $vgpr82
; %bb.42:
	s_and_not1_saveexec_b32 s2, s2
; %bb.43:
	v_and_b32_e32 v84, 0xffff, v82
	v_or_b32_e32 v90, 0x10000, v82
	s_delay_alu instid0(VALU_DEP_2) | instskip(NEXT) | instid1(VALU_DEP_2)
	v_cmp_eq_u32_e32 vcc_lo, 0, v84
	v_cndmask_b32_e32 v84, v90, v82, vcc_lo
; %bb.44:
	s_or_b32 exec_lo, exec_lo, s2
	s_load_b64 s[34:35], s[0:1], 0x94
	v_lshlrev_b32_e32 v82, 4, v74
	s_delay_alu instid0(VALU_DEP_2)
	v_perm_b32 v90, v84, v87, 0x7060302
	v_lshlrev_b32_e32 v84, 11, v65
	v_perm_b32 v87, v83, v77, 0x7060302
	v_mul_f32_e32 v83, v81, v69
	v_mul_f32_e32 v69, v81, v80
	v_perm_b32 v89, v88, v89, 0x7060302
	v_perm_b32 v88, v86, v85, 0x7060302
	v_or3_b32 v77, v82, v84, v76
	v_mul_f32_e32 v79, v81, v79
	v_mul_f32_e32 v78, v81, v78
	v_and_b32_e32 v84, 0x7f800000, v83
	v_mul_f32_e32 v72, v81, v72
	v_mul_f32_e32 v82, v81, v71
	;; [unrolled: 1-line block ×4, first 2 shown]
	s_mov_b32 s2, exec_lo
	ds_store_b128 v77, v[87:90]
                                        ; implicit-def: $vgpr68
	v_cmpx_ne_u32_e32 0x7f800000, v84
	s_xor_b32 s2, exec_lo, s2
; %bb.45:
	v_bfe_u32 v68, v83, 16, 1
	s_delay_alu instid0(VALU_DEP_1)
	v_add3_u32 v68, v83, v68, 0x7fff
                                        ; implicit-def: $vgpr83
; %bb.46:
	s_and_not1_saveexec_b32 s2, s2
; %bb.47:
	v_and_b32_e32 v68, 0xffff, v83
	v_or_b32_e32 v70, 0x10000, v83
	s_delay_alu instid0(VALU_DEP_2) | instskip(NEXT) | instid1(VALU_DEP_2)
	v_cmp_eq_u32_e32 vcc_lo, 0, v68
	v_cndmask_b32_e32 v68, v70, v83, vcc_lo
; %bb.48:
	s_or_b32 exec_lo, exec_lo, s2
	v_and_b32_e32 v70, 0x7f800000, v71
	s_delay_alu instid0(VALU_DEP_1) | instskip(SKIP_1) | instid1(SALU_CYCLE_1)
	v_cmp_ne_u32_e32 vcc_lo, 0x7f800000, v70
                                        ; implicit-def: $vgpr70
	s_and_saveexec_b32 s2, vcc_lo
	s_xor_b32 s2, exec_lo, s2
; %bb.49:
	v_bfe_u32 v70, v71, 16, 1
	s_delay_alu instid0(VALU_DEP_1)
	v_add3_u32 v70, v71, v70, 0x7fff
                                        ; implicit-def: $vgpr71
; %bb.50:
	s_and_not1_saveexec_b32 s2, s2
; %bb.51:
	v_and_b32_e32 v70, 0xffff, v71
	v_or_b32_e32 v81, 0x10000, v71
	s_delay_alu instid0(VALU_DEP_2) | instskip(NEXT) | instid1(VALU_DEP_2)
	v_cmp_eq_u32_e32 vcc_lo, 0, v70
	v_cndmask_b32_e32 v70, v81, v71, vcc_lo
; %bb.52:
	s_or_b32 exec_lo, exec_lo, s2
	v_and_b32_e32 v71, 0x7f800000, v80
	s_delay_alu instid0(VALU_DEP_1) | instskip(SKIP_1) | instid1(SALU_CYCLE_1)
	v_cmp_ne_u32_e32 vcc_lo, 0x7f800000, v71
                                        ; implicit-def: $vgpr71
	s_and_saveexec_b32 s2, vcc_lo
	s_xor_b32 s2, exec_lo, s2
; %bb.53:
	v_bfe_u32 v71, v80, 16, 1
	s_delay_alu instid0(VALU_DEP_1)
	v_add3_u32 v71, v80, v71, 0x7fff
                                        ; implicit-def: $vgpr80
; %bb.54:
	s_and_not1_saveexec_b32 s2, s2
; %bb.55:
	v_and_b32_e32 v71, 0xffff, v80
	v_or_b32_e32 v81, 0x10000, v80
	s_delay_alu instid0(VALU_DEP_2) | instskip(NEXT) | instid1(VALU_DEP_2)
	v_cmp_eq_u32_e32 vcc_lo, 0, v71
	v_cndmask_b32_e32 v71, v81, v80, vcc_lo
; %bb.56:
	s_or_b32 exec_lo, exec_lo, s2
	v_and_b32_e32 v80, 0x7f800000, v82
	s_delay_alu instid0(VALU_DEP_1) | instskip(SKIP_1) | instid1(SALU_CYCLE_1)
	v_cmp_ne_u32_e32 vcc_lo, 0x7f800000, v80
                                        ; implicit-def: $vgpr80
	s_and_saveexec_b32 s2, vcc_lo
	s_xor_b32 s2, exec_lo, s2
; %bb.57:
	v_bfe_u32 v80, v82, 16, 1
	s_delay_alu instid0(VALU_DEP_1)
	v_add3_u32 v80, v82, v80, 0x7fff
                                        ; implicit-def: $vgpr82
; %bb.58:
	s_and_not1_saveexec_b32 s2, s2
; %bb.59:
	v_and_b32_e32 v80, 0xffff, v82
	v_or_b32_e32 v81, 0x10000, v82
	s_delay_alu instid0(VALU_DEP_2) | instskip(NEXT) | instid1(VALU_DEP_2)
	v_cmp_eq_u32_e32 vcc_lo, 0, v80
	v_cndmask_b32_e32 v80, v81, v82, vcc_lo
; %bb.60:
	s_or_b32 exec_lo, exec_lo, s2
	v_and_b32_e32 v81, 0x7f800000, v72
	s_delay_alu instid0(VALU_DEP_1) | instskip(SKIP_1) | instid1(SALU_CYCLE_1)
	v_cmp_ne_u32_e32 vcc_lo, 0x7f800000, v81
                                        ; implicit-def: $vgpr81
	s_and_saveexec_b32 s2, vcc_lo
	s_xor_b32 s2, exec_lo, s2
; %bb.61:
	v_bfe_u32 v81, v72, 16, 1
	s_delay_alu instid0(VALU_DEP_1)
	v_add3_u32 v81, v72, v81, 0x7fff
                                        ; implicit-def: $vgpr72
; %bb.62:
	s_and_not1_saveexec_b32 s2, s2
; %bb.63:
	v_and_b32_e32 v81, 0xffff, v72
	v_or_b32_e32 v82, 0x10000, v72
	s_delay_alu instid0(VALU_DEP_2) | instskip(NEXT) | instid1(VALU_DEP_2)
	v_cmp_eq_u32_e32 vcc_lo, 0, v81
	v_cndmask_b32_e32 v81, v82, v72, vcc_lo
; %bb.64:
	s_or_b32 exec_lo, exec_lo, s2
	v_and_b32_e32 v72, 0x7f800000, v78
	s_delay_alu instid0(VALU_DEP_1) | instskip(SKIP_1) | instid1(SALU_CYCLE_1)
	v_cmp_ne_u32_e32 vcc_lo, 0x7f800000, v72
                                        ; implicit-def: $vgpr72
	s_and_saveexec_b32 s2, vcc_lo
	s_xor_b32 s2, exec_lo, s2
; %bb.65:
	v_bfe_u32 v72, v78, 16, 1
	s_delay_alu instid0(VALU_DEP_1)
	v_add3_u32 v72, v78, v72, 0x7fff
                                        ; implicit-def: $vgpr78
; %bb.66:
	s_and_not1_saveexec_b32 s2, s2
; %bb.67:
	v_and_b32_e32 v72, 0xffff, v78
	v_or_b32_e32 v82, 0x10000, v78
	s_delay_alu instid0(VALU_DEP_2) | instskip(NEXT) | instid1(VALU_DEP_2)
	v_cmp_eq_u32_e32 vcc_lo, 0, v72
	v_cndmask_b32_e32 v72, v82, v78, vcc_lo
; %bb.68:
	s_or_b32 exec_lo, exec_lo, s2
	v_and_b32_e32 v78, 0x7f800000, v79
	s_delay_alu instid0(VALU_DEP_1) | instskip(SKIP_1) | instid1(SALU_CYCLE_1)
	v_cmp_ne_u32_e32 vcc_lo, 0x7f800000, v78
                                        ; implicit-def: $vgpr78
	s_and_saveexec_b32 s2, vcc_lo
	s_xor_b32 s2, exec_lo, s2
; %bb.69:
	v_bfe_u32 v78, v79, 16, 1
	s_delay_alu instid0(VALU_DEP_1)
	v_add3_u32 v78, v79, v78, 0x7fff
                                        ; implicit-def: $vgpr79
; %bb.70:
	s_and_not1_saveexec_b32 s2, s2
; %bb.71:
	v_and_b32_e32 v78, 0xffff, v79
	v_or_b32_e32 v82, 0x10000, v79
	s_delay_alu instid0(VALU_DEP_2) | instskip(NEXT) | instid1(VALU_DEP_2)
	v_cmp_eq_u32_e32 vcc_lo, 0, v78
	v_cndmask_b32_e32 v78, v82, v79, vcc_lo
; %bb.72:
	s_or_b32 exec_lo, exec_lo, s2
	v_and_b32_e32 v79, 0x7f800000, v69
	s_delay_alu instid0(VALU_DEP_1) | instskip(SKIP_1) | instid1(SALU_CYCLE_1)
	v_cmp_ne_u32_e32 vcc_lo, 0x7f800000, v79
                                        ; implicit-def: $vgpr79
	s_and_saveexec_b32 s2, vcc_lo
	s_xor_b32 s2, exec_lo, s2
; %bb.73:
	v_bfe_u32 v79, v69, 16, 1
	s_delay_alu instid0(VALU_DEP_1)
	v_add3_u32 v79, v69, v79, 0x7fff
                                        ; implicit-def: $vgpr69
; %bb.74:
	s_and_not1_saveexec_b32 s2, s2
; %bb.75:
	v_and_b32_e32 v79, 0xffff, v69
	v_or_b32_e32 v82, 0x10000, v69
	s_delay_alu instid0(VALU_DEP_2) | instskip(NEXT) | instid1(VALU_DEP_2)
	v_cmp_eq_u32_e32 vcc_lo, 0, v79
	v_cndmask_b32_e32 v79, v82, v69, vcc_lo
; %bb.76:
	s_or_b32 exec_lo, exec_lo, s2
	s_delay_alu instid0(VALU_DEP_1)
	v_perm_b32 v86, v79, v78, 0x7060302
	v_perm_b32 v85, v72, v81, 0x7060302
	;; [unrolled: 1-line block ×4, first 2 shown]
	v_lshl_or_b32 v82, v65, 11, v76
	v_lshlrev_b32_e32 v79, 2, v74
	ds_store_b128 v77, v[83:86] offset:1024
	s_waitcnt lgkmcnt(0)
	s_barrier
	buffer_gl0_inv
	ds_load_b128 v[68:71], v82
	ds_load_b128 v[83:86], v82 offset:16
	v_or_b32_e32 v80, 1, v79
	v_cmp_eq_u32_e32 vcc_lo, 1, v79
	v_cmp_eq_u32_e64 s3, 2, v79
	v_cmp_eq_u32_e64 s6, 3, v79
	;; [unrolled: 1-line block ×6, first 2 shown]
	v_or_b32_e32 v78, 2, v79
	v_cmp_eq_u32_e64 s9, 5, v79
	v_cmp_eq_u32_e64 s10, 4, v80
	;; [unrolled: 1-line block ×9, first 2 shown]
	s_waitcnt lgkmcnt(1)
	v_lshrrev_b32_e32 v65, 16, v68
	s_waitcnt lgkmcnt(0)
	v_lshrrev_b32_e32 v91, 16, v83
	v_lshrrev_b32_e32 v72, 16, v69
	;; [unrolled: 1-line block ×4, first 2 shown]
	v_cndmask_b32_e32 v81, v68, v65, vcc_lo
	v_cndmask_b32_e32 v87, v83, v91, vcc_lo
	v_cndmask_b32_e64 v88, v68, v65, s2
	v_lshrrev_b32_e32 v98, 16, v85
	v_cndmask_b32_e64 v89, v83, v91, s2
	v_cndmask_b32_e64 v81, v81, v69, s3
	v_cndmask_b32_e64 v87, v87, v84, s3
	v_cndmask_b32_e64 v88, v88, v69, s5
	v_lshrrev_b32_e32 v96, 16, v71
	v_cndmask_b32_e64 v89, v89, v84, s5
	v_cndmask_b32_e64 v81, v81, v72, s6
	v_cndmask_b32_e64 v87, v87, v97, s6
	;; [unrolled: 5-line block ×3, first 2 shown]
	v_cndmask_b32_e64 v88, v88, v70, s10
	v_cndmask_b32_e64 v89, v89, v97, s7
	v_cmp_eq_u32_e64 s18, 3, v78
	v_cndmask_b32_e64 v81, v81, v95, s9
	v_cndmask_b32_e64 v87, v87, v98, s9
	;; [unrolled: 1-line block ×4, first 2 shown]
	v_cmp_eq_u32_e64 s19, 4, v78
	v_cndmask_b32_e64 v81, v81, v71, s11
	v_cndmask_b32_e64 v87, v87, v86, s11
	;; [unrolled: 1-line block ×3, first 2 shown]
	v_cmp_eq_u32_e64 s21, 5, v78
	v_cmp_eq_u32_e64 s23, 6, v78
	v_cndmask_b32_e64 v100, v81, v96, s13
	v_cndmask_b32_e64 v101, v87, v99, s13
	;; [unrolled: 1-line block ×6, first 2 shown]
	v_cmp_eq_u32_e64 s26, 7, v78
	v_cndmask_b32_e64 v89, v81, v72, s18
	v_cndmask_b32_e64 v87, v87, v84, s16
	v_or_b32_e32 v81, 3, v79
	v_cndmask_b32_e64 v103, v88, v86, s15
	s_delay_alu instid0(VALU_DEP_4) | instskip(NEXT) | instid1(VALU_DEP_4)
	v_cndmask_b32_e64 v92, v89, v70, s19
	v_cndmask_b32_e64 v93, v87, v97, s18
	s_delay_alu instid0(VALU_DEP_4)
	v_cmp_eq_u32_e64 s20, 1, v81
	ds_load_b128 v[87:90], v82 offset:1024
	v_cmp_eq_u32_e64 s22, 2, v81
	v_cndmask_b32_e64 v104, v92, v95, s21
	v_cmp_eq_u32_e64 s24, 3, v81
	v_cndmask_b32_e64 v65, v68, v65, s20
	v_cndmask_b32_e64 v68, v93, v85, s19
	;; [unrolled: 1-line block ×3, first 2 shown]
	ds_load_b128 v[91:94], v82 offset:1040
	v_cmp_eq_u32_e64 s25, 4, v81
	v_cndmask_b32_e64 v65, v65, v69, s22
	v_cmp_eq_u32_e64 s27, 5, v81
	v_cndmask_b32_e64 v69, v83, v84, s22
	;; [unrolled: 2-line block ×3, first 2 shown]
	v_cndmask_b32_e64 v65, v65, v72, s24
	v_cndmask_b32_e64 v72, v104, v71, s23
	;; [unrolled: 1-line block ×6, first 2 shown]
	s_waitcnt lgkmcnt(1)
	v_lshrrev_b32_e32 v84, 16, v87
	v_cndmask_b32_e64 v69, v69, v85, s25
	v_cndmask_b32_e64 v70, v72, v96, s26
	;; [unrolled: 1-line block ×4, first 2 shown]
	v_cndmask_b32_e32 v72, v87, v84, vcc_lo
	v_cndmask_b32_e64 v69, v69, v98, s27
	s_waitcnt lgkmcnt(0)
	v_lshrrev_b32_e32 v85, 16, v91
	v_lshrrev_b32_e32 v95, 16, v88
	v_cndmask_b32_e64 v97, v87, v84, s2
	v_cndmask_b32_e64 v72, v72, v88, s3
	;; [unrolled: 1-line block ×3, first 2 shown]
	v_cndmask_b32_e32 v98, v91, v85, vcc_lo
	v_cmp_eq_u32_e32 vcc_lo, 7, v81
	v_cndmask_b32_e64 v69, v69, v86, s28
	v_cndmask_b32_e64 v71, v72, v95, s6
	v_cndmask_b32_e64 v72, v97, v88, s5
	v_lshrrev_b32_e32 v97, 16, v92
	v_cndmask_b32_e32 v65, v65, v96, vcc_lo
	v_cndmask_b32_e64 v86, v98, v92, s3
	v_cndmask_b32_e32 v69, v69, v99, vcc_lo
	v_lshrrev_b32_e32 v99, 16, v93
	v_cndmask_b32_e64 v71, v71, v89, s8
	v_lshrrev_b32_e32 v98, 16, v89
	v_cndmask_b32_e64 v86, v86, v97, s6
	v_perm_b32 v70, v68, v70, 0x5040100
	v_cndmask_b32_e64 v72, v72, v95, s7
	s_delay_alu instid0(VALU_DEP_4) | instskip(NEXT) | instid1(VALU_DEP_4)
	v_cndmask_b32_e64 v96, v71, v98, s9
	v_cndmask_b32_e64 v86, v86, v93, s8
	v_perm_b32 v71, v69, v65, 0x5040100
	v_perm_b32 v69, v83, v102, 0x5040100
	v_cndmask_b32_e64 v102, v91, v85, s4
	v_cndmask_b32_e64 v72, v72, v89, s10
	;; [unrolled: 1-line block ×3, first 2 shown]
	v_lshrrev_b32_e32 v83, 16, v94
	s_delay_alu instid0(VALU_DEP_3) | instskip(NEXT) | instid1(VALU_DEP_3)
	v_cndmask_b32_e64 v65, v72, v98, s12
	v_cndmask_b32_e64 v68, v86, v94, s11
	;; [unrolled: 1-line block ×27, first 2 shown]
	v_lshrrev_b32_e32 v96, 16, v90
	v_cndmask_b32_e64 v65, v65, v90, s15
	v_cndmask_b32_e64 v86, v86, v90, s23
	;; [unrolled: 1-line block ×9, first 2 shown]
	v_cndmask_b32_e32 v84, v84, v96, vcc_lo
	v_cndmask_b32_e32 v86, v87, v83, vcc_lo
	v_cndmask_b32_e64 v87, v88, v83, s26
	v_cndmask_b32_e64 v88, v85, v83, s17
	;; [unrolled: 1-line block ×3, first 2 shown]
	v_perm_b32 v68, v101, v100, 0x5040100
	v_perm_b32 v86, v86, v84, 0x5040100
	v_perm_b32 v85, v87, v89, 0x5040100
	v_perm_b32 v84, v88, v65, 0x5040100
	v_perm_b32 v83, v83, v72, 0x5040100
	s_lshl_b32 s7, s35, 4
	s_mov_b32 s2, exec_lo
	ds_store_b128 v77, v[68:71]
	ds_store_b128 v77, v[83:86] offset:1024
	v_cmpx_gt_u32_e32 16, v0
	s_cbranch_execz .LBB1917_78
; %bb.77:
	v_or_b32_e32 v65, s29, v0
	s_load_b128 s[8:11], s[0:1], 0x58
	s_delay_alu instid0(VALU_DEP_1) | instskip(NEXT) | instid1(VALU_DEP_1)
	v_mad_u64_u32 v[68:69], null, s7, s30, v[65:66]
	v_mad_u64_u32 v[69:70], null, v68, s34, s[14:15]
	s_delay_alu instid0(VALU_DEP_1) | instskip(NEXT) | instid1(VALU_DEP_1)
	v_ashrrev_i32_e32 v70, 31, v69
	v_lshlrev_b64 v[68:69], 2, v[69:70]
	s_waitcnt lgkmcnt(0)
	s_delay_alu instid0(VALU_DEP_1) | instskip(NEXT) | instid1(VALU_DEP_2)
	v_add_co_u32 v70, vcc_lo, s10, v68
	v_add_co_ci_u32_e32 v71, vcc_lo, s11, v69, vcc_lo
	v_add_co_u32 v68, vcc_lo, s8, v68
	v_add_co_ci_u32_e32 v69, vcc_lo, s9, v69, vcc_lo
	global_store_b32 v[70:71], v66, off
	global_store_b32 v[68:69], v67, off
.LBB1917_78:
	s_or_b32 exec_lo, exec_lo, s2
	s_waitcnt lgkmcnt(0)
	s_waitcnt_vscnt null, 0x0
	s_barrier
	buffer_gl0_inv
	ds_load_b128 v[83:86], v76
	ds_load_b128 v[87:90], v76 offset:16
	ds_load_b128 v[95:98], v76 offset:2064
	;; [unrolled: 1-line block ×3, first 2 shown]
	v_mov_b32_e32 v65, 0
	ds_load_b128 v[103:106], v76 offset:4112
	ds_load_b128 v[99:102], v76 offset:4096
	;; [unrolled: 1-line block ×4, first 2 shown]
	v_mov_b32_e32 v66, v65
	v_mov_b32_e32 v67, v65
	v_mov_b32_e32 v68, v65
	v_mov_b32_e32 v69, v65
	v_mov_b32_e32 v70, v65
	v_mov_b32_e32 v71, v65
	v_mov_b32_e32 v72, v65
	s_waitcnt lgkmcnt(6)
	s_delay_alu instid0(VALU_DEP_1)
	v_wmma_f32_16x16x16_bf16 v[65:72], v[49:56], v[83:90], v[65:72]
	ds_load_b128 v[53:56], v76 offset:8208
	ds_load_b128 v[49:52], v76 offset:8192
	s_waitcnt lgkmcnt(6)
	v_wmma_f32_16x16x16_bf16 v[65:72], v[41:48], v[91:98], v[65:72]
	ds_load_b128 v[45:48], v76 offset:10256
	ds_load_b128 v[41:44], v76 offset:10240
	s_waitcnt lgkmcnt(6)
	;; [unrolled: 4-line block ×4, first 2 shown]
	v_wmma_f32_16x16x16_bf16 v[65:72], v[1:8], v[49:56], v[65:72]
	s_waitcnt lgkmcnt(4)
	s_delay_alu instid0(VALU_DEP_1) | instskip(SKIP_1) | instid1(VALU_DEP_1)
	v_wmma_f32_16x16x16_bf16 v[65:72], v[9:16], v[41:48], v[65:72]
	s_waitcnt lgkmcnt(2)
	v_wmma_f32_16x16x16_bf16 v[65:72], v[17:24], v[33:40], v[65:72]
	s_waitcnt lgkmcnt(0)
	s_delay_alu instid0(VALU_DEP_1) | instskip(NEXT) | instid1(VALU_DEP_1)
	v_wmma_f32_16x16x16_bf16 v[65:72], v[57:64], v[25:32], v[65:72]
	v_and_b32_e32 v1, 0x7f800000, v65
	s_delay_alu instid0(VALU_DEP_1) | instskip(SKIP_1) | instid1(SALU_CYCLE_1)
	v_cmp_ne_u32_e32 vcc_lo, 0x7f800000, v1
                                        ; implicit-def: $vgpr1
	s_and_saveexec_b32 s2, vcc_lo
	s_xor_b32 s2, exec_lo, s2
; %bb.79:
	v_bfe_u32 v1, v65, 16, 1
	s_delay_alu instid0(VALU_DEP_1)
	v_add3_u32 v1, v65, v1, 0x7fff
; %bb.80:
	s_and_not1_saveexec_b32 s2, s2
; %bb.81:
	v_and_b32_e32 v1, 0xffff, v65
	v_or_b32_e32 v2, 0x10000, v65
	s_delay_alu instid0(VALU_DEP_2) | instskip(NEXT) | instid1(VALU_DEP_2)
	v_cmp_eq_u32_e32 vcc_lo, 0, v1
	v_cndmask_b32_e32 v1, v2, v65, vcc_lo
; %bb.82:
	s_or_b32 exec_lo, exec_lo, s2
	v_and_b32_e32 v2, 0x7f800000, v66
	s_delay_alu instid0(VALU_DEP_1) | instskip(SKIP_1) | instid1(SALU_CYCLE_1)
	v_cmp_ne_u32_e32 vcc_lo, 0x7f800000, v2
                                        ; implicit-def: $vgpr2
	s_and_saveexec_b32 s2, vcc_lo
	s_xor_b32 s2, exec_lo, s2
; %bb.83:
	v_bfe_u32 v2, v66, 16, 1
	s_delay_alu instid0(VALU_DEP_1)
	v_add3_u32 v2, v66, v2, 0x7fff
; %bb.84:
	s_and_not1_saveexec_b32 s2, s2
; %bb.85:
	v_and_b32_e32 v2, 0xffff, v66
	v_or_b32_e32 v3, 0x10000, v66
	s_delay_alu instid0(VALU_DEP_2) | instskip(NEXT) | instid1(VALU_DEP_2)
	v_cmp_eq_u32_e32 vcc_lo, 0, v2
	v_cndmask_b32_e32 v2, v3, v66, vcc_lo
; %bb.86:
	s_or_b32 exec_lo, exec_lo, s2
	v_and_b32_e32 v3, 0x7f800000, v67
	s_delay_alu instid0(VALU_DEP_1) | instskip(SKIP_1) | instid1(SALU_CYCLE_1)
	v_cmp_ne_u32_e32 vcc_lo, 0x7f800000, v3
                                        ; implicit-def: $vgpr3
	s_and_saveexec_b32 s2, vcc_lo
	s_xor_b32 s2, exec_lo, s2
; %bb.87:
	v_bfe_u32 v3, v67, 16, 1
	s_delay_alu instid0(VALU_DEP_1)
	v_add3_u32 v3, v67, v3, 0x7fff
; %bb.88:
	s_and_not1_saveexec_b32 s2, s2
; %bb.89:
	v_and_b32_e32 v3, 0xffff, v67
	v_or_b32_e32 v4, 0x10000, v67
	s_delay_alu instid0(VALU_DEP_2) | instskip(NEXT) | instid1(VALU_DEP_2)
	v_cmp_eq_u32_e32 vcc_lo, 0, v3
	v_cndmask_b32_e32 v3, v4, v67, vcc_lo
; %bb.90:
	s_or_b32 exec_lo, exec_lo, s2
	v_and_b32_e32 v4, 0x7f800000, v68
	s_delay_alu instid0(VALU_DEP_1) | instskip(SKIP_1) | instid1(SALU_CYCLE_1)
	v_cmp_ne_u32_e32 vcc_lo, 0x7f800000, v4
                                        ; implicit-def: $vgpr4
	s_and_saveexec_b32 s2, vcc_lo
	s_xor_b32 s2, exec_lo, s2
; %bb.91:
	v_bfe_u32 v4, v68, 16, 1
	s_delay_alu instid0(VALU_DEP_1)
	v_add3_u32 v4, v68, v4, 0x7fff
; %bb.92:
	s_and_not1_saveexec_b32 s2, s2
; %bb.93:
	v_and_b32_e32 v4, 0xffff, v68
	v_or_b32_e32 v5, 0x10000, v68
	s_delay_alu instid0(VALU_DEP_2) | instskip(NEXT) | instid1(VALU_DEP_2)
	v_cmp_eq_u32_e32 vcc_lo, 0, v4
	v_cndmask_b32_e32 v4, v5, v68, vcc_lo
; %bb.94:
	s_or_b32 exec_lo, exec_lo, s2
	v_and_b32_e32 v5, 0x7f800000, v69
	s_delay_alu instid0(VALU_DEP_1) | instskip(SKIP_1) | instid1(SALU_CYCLE_1)
	v_cmp_ne_u32_e32 vcc_lo, 0x7f800000, v5
                                        ; implicit-def: $vgpr5
	s_and_saveexec_b32 s2, vcc_lo
	s_xor_b32 s2, exec_lo, s2
; %bb.95:
	v_bfe_u32 v5, v69, 16, 1
	s_delay_alu instid0(VALU_DEP_1)
	v_add3_u32 v5, v69, v5, 0x7fff
; %bb.96:
	s_and_not1_saveexec_b32 s2, s2
; %bb.97:
	v_and_b32_e32 v5, 0xffff, v69
	v_or_b32_e32 v6, 0x10000, v69
	s_delay_alu instid0(VALU_DEP_2) | instskip(NEXT) | instid1(VALU_DEP_2)
	v_cmp_eq_u32_e32 vcc_lo, 0, v5
	v_cndmask_b32_e32 v5, v6, v69, vcc_lo
; %bb.98:
	s_or_b32 exec_lo, exec_lo, s2
	v_and_b32_e32 v6, 0x7f800000, v70
	s_delay_alu instid0(VALU_DEP_1) | instskip(SKIP_1) | instid1(SALU_CYCLE_1)
	v_cmp_ne_u32_e32 vcc_lo, 0x7f800000, v6
                                        ; implicit-def: $vgpr6
	s_and_saveexec_b32 s2, vcc_lo
	s_xor_b32 s2, exec_lo, s2
; %bb.99:
	v_bfe_u32 v6, v70, 16, 1
	s_delay_alu instid0(VALU_DEP_1)
	v_add3_u32 v6, v70, v6, 0x7fff
; %bb.100:
	s_and_not1_saveexec_b32 s2, s2
; %bb.101:
	v_and_b32_e32 v6, 0xffff, v70
	v_or_b32_e32 v7, 0x10000, v70
	s_delay_alu instid0(VALU_DEP_2) | instskip(NEXT) | instid1(VALU_DEP_2)
	v_cmp_eq_u32_e32 vcc_lo, 0, v6
	v_cndmask_b32_e32 v6, v7, v70, vcc_lo
; %bb.102:
	s_or_b32 exec_lo, exec_lo, s2
	v_and_b32_e32 v7, 0x7f800000, v71
	s_delay_alu instid0(VALU_DEP_1) | instskip(SKIP_1) | instid1(SALU_CYCLE_1)
	v_cmp_ne_u32_e32 vcc_lo, 0x7f800000, v7
                                        ; implicit-def: $vgpr7
	s_and_saveexec_b32 s2, vcc_lo
	s_xor_b32 s2, exec_lo, s2
; %bb.103:
	v_bfe_u32 v7, v71, 16, 1
	s_delay_alu instid0(VALU_DEP_1)
	v_add3_u32 v7, v71, v7, 0x7fff
; %bb.104:
	s_and_not1_saveexec_b32 s2, s2
; %bb.105:
	v_and_b32_e32 v7, 0xffff, v71
	v_or_b32_e32 v8, 0x10000, v71
	s_delay_alu instid0(VALU_DEP_2) | instskip(NEXT) | instid1(VALU_DEP_2)
	v_cmp_eq_u32_e32 vcc_lo, 0, v7
	v_cndmask_b32_e32 v7, v8, v71, vcc_lo
; %bb.106:
	s_or_b32 exec_lo, exec_lo, s2
	v_and_b32_e32 v8, 0x7f800000, v72
	s_delay_alu instid0(VALU_DEP_1) | instskip(SKIP_1) | instid1(SALU_CYCLE_1)
	v_cmp_ne_u32_e32 vcc_lo, 0x7f800000, v8
                                        ; implicit-def: $vgpr8
	s_and_saveexec_b32 s2, vcc_lo
	s_xor_b32 s2, exec_lo, s2
; %bb.107:
	v_bfe_u32 v8, v72, 16, 1
	s_delay_alu instid0(VALU_DEP_1)
	v_add3_u32 v8, v72, v8, 0x7fff
                                        ; implicit-def: $vgpr65_vgpr66_vgpr67_vgpr68_vgpr69_vgpr70_vgpr71_vgpr72
; %bb.108:
	s_and_not1_saveexec_b32 s2, s2
; %bb.109:
	v_and_b32_e32 v8, 0xffff, v72
	v_or_b32_e32 v9, 0x10000, v72
	s_delay_alu instid0(VALU_DEP_2) | instskip(NEXT) | instid1(VALU_DEP_2)
	v_cmp_eq_u32_e32 vcc_lo, 0, v8
	v_cndmask_b32_e32 v8, v9, v72, vcc_lo
; %bb.110:
	s_or_b32 exec_lo, exec_lo, s2
	s_delay_alu instid0(VALU_DEP_1)
	v_perm_b32 v7, v8, v7, 0x7060302
	v_perm_b32 v6, v6, v5, 0x7060302
	;; [unrolled: 1-line block ×4, first 2 shown]
	s_barrier
	buffer_gl0_inv
	v_cmp_eq_u32_e32 vcc_lo, 1, v79
	ds_store_b128 v77, v[4:7]
	s_waitcnt lgkmcnt(0)
	s_barrier
	buffer_gl0_inv
	ds_load_b128 v[1:4], v82
	ds_load_b128 v[5:8], v82 offset:16
	v_cmp_eq_u32_e64 s2, 1, v80
	v_cmp_eq_u32_e64 s3, 2, v79
	;; [unrolled: 1-line block ×5, first 2 shown]
	s_waitcnt lgkmcnt(1)
	v_lshrrev_b32_e32 v9, 16, v1
	s_waitcnt lgkmcnt(0)
	v_lshrrev_b32_e32 v13, 16, v5
	v_lshrrev_b32_e32 v10, 16, v2
	;; [unrolled: 1-line block ×4, first 2 shown]
	v_cndmask_b32_e64 v19, v1, v9, s2
	v_cndmask_b32_e32 v18, v5, v13, vcc_lo
	v_cndmask_b32_e64 v20, v5, v13, s2
	v_cndmask_b32_e32 v17, v1, v9, vcc_lo
	v_cmp_eq_u32_e32 vcc_lo, 2, v80
	v_lshrrev_b32_e32 v15, 16, v7
	v_cmp_eq_u32_e64 s2, 1, v78
	v_lshrrev_b32_e32 v12, 16, v4
	v_lshrrev_b32_e32 v16, 16, v8
	v_cndmask_b32_e32 v20, v20, v6, vcc_lo
	v_cndmask_b32_e64 v17, v17, v2, s3
	v_cndmask_b32_e32 v19, v19, v2, vcc_lo
	v_cndmask_b32_e64 v18, v18, v6, s3
	v_cmp_eq_u32_e32 vcc_lo, 4, v79
	v_cmp_eq_u32_e64 s3, 3, v80
	v_cndmask_b32_e64 v17, v17, v10, s4
	v_cndmask_b32_e64 v21, v1, v9, s2
	;; [unrolled: 1-line block ×5, first 2 shown]
	v_cndmask_b32_e32 v17, v17, v3, vcc_lo
	v_cndmask_b32_e64 v20, v20, v14, s3
	v_cndmask_b32_e32 v18, v18, v7, vcc_lo
	v_cmp_eq_u32_e32 vcc_lo, 4, v80
	v_cmp_eq_u32_e64 s3, 5, v80
	v_cmp_eq_u32_e64 s2, 2, v81
	v_cndmask_b32_e64 v21, v21, v2, s6
	v_cmp_eq_u32_e64 s4, 5, v79
	v_cndmask_b32_e32 v19, v19, v3, vcc_lo
	v_cndmask_b32_e32 v20, v20, v7, vcc_lo
	v_cmp_eq_u32_e32 vcc_lo, 6, v80
	s_delay_alu instid0(VALU_DEP_4) | instskip(NEXT) | instid1(VALU_DEP_4)
	v_cndmask_b32_e64 v17, v17, v11, s4
	v_cndmask_b32_e64 v19, v19, v11, s3
	s_delay_alu instid0(VALU_DEP_4) | instskip(SKIP_1) | instid1(VALU_DEP_3)
	v_cndmask_b32_e64 v20, v20, v15, s3
	v_cmp_eq_u32_e64 s3, 1, v81
	v_cndmask_b32_e32 v19, v19, v4, vcc_lo
	v_cndmask_b32_e64 v18, v18, v15, s4
	s_delay_alu instid0(VALU_DEP_3)
	v_cndmask_b32_e64 v1, v1, v9, s3
	v_cndmask_b32_e64 v5, v5, v13, s3
	v_cmp_eq_u32_e64 s3, 3, v78
	v_cndmask_b32_e64 v13, v22, v6, s6
	v_cmp_eq_u32_e64 s6, 3, v81
	v_cndmask_b32_e64 v1, v1, v2, s2
	v_cndmask_b32_e64 v2, v5, v6, s2
	v_cndmask_b32_e64 v9, v21, v10, s3
	v_cmp_eq_u32_e64 s2, 4, v78
	v_cndmask_b32_e64 v6, v13, v14, s3
	v_cndmask_b32_e64 v1, v1, v10, s6
	v_cmp_eq_u32_e64 s3, 4, v81
	v_cndmask_b32_e64 v2, v2, v14, s6
	v_cndmask_b32_e64 v5, v9, v3, s2
	v_cmp_eq_u32_e64 s6, 5, v78
	v_cndmask_b32_e64 v6, v6, v7, s2
	v_cndmask_b32_e64 v1, v1, v3, s3
	v_cndmask_b32_e64 v2, v2, v7, s3
	v_cmp_eq_u32_e64 s2, 5, v81
	v_cmp_eq_u32_e64 s4, 6, v79
	v_cndmask_b32_e64 v5, v5, v11, s6
	v_cmp_eq_u32_e64 s3, 6, v78
	v_cndmask_b32_e64 v3, v6, v15, s6
	v_cndmask_b32_e64 v1, v1, v11, s2
	v_cmp_eq_u32_e64 s6, 6, v81
	v_cndmask_b32_e64 v2, v2, v15, s2
	v_cndmask_b32_e64 v17, v17, v4, s4
	v_cndmask_b32_e64 v18, v18, v8, s4
	v_cmp_eq_u32_e64 s4, 7, v79
	v_cndmask_b32_e64 v5, v5, v4, s3
	;; [unrolled: 4-line block ×3, first 2 shown]
	v_cmp_eq_u32_e64 s3, 7, v78
	v_cndmask_b32_e32 v4, v20, v8, vcc_lo
	v_cndmask_b32_e64 v17, v17, v12, s4
	v_cndmask_b32_e64 v19, v19, v12, s5
	;; [unrolled: 1-line block ×8, first 2 shown]
	s_mov_b32 s2, exec_lo
	v_perm_b32 v4, v2, v1, 0x5040100
	v_perm_b32 v3, v3, v5, 0x5040100
	;; [unrolled: 1-line block ×4, first 2 shown]
	ds_store_b128 v77, v[1:4]
	s_waitcnt lgkmcnt(0)
	s_barrier
	buffer_gl0_inv
	v_cmpx_gt_u32_e32 32, v0
	s_cbranch_execz .LBB1917_2
; %bb.111:
	s_load_b64 s[0:1], s[0:1], 0x68
	v_lshlrev_b32_e32 v0, 10, v0
	s_lshl_b32 s4, s34, 7
	v_or_b32_e32 v23, s29, v74
	s_mul_i32 s2, s4, s30
	v_lshlrev_b32_e32 v1, 4, v75
	v_lshlrev_b32_e32 v2, 6, v74
	s_mul_i32 s2, s2, s7
	v_and_b32_e32 v0, 0x3800, v0
	v_mul_lo_u32 v8, v23, s4
	s_ashr_i32 s3, s2, 31
	v_or_b32_e32 v3, 2, v23
	s_lshl_b64 s[2:3], s[2:3], 1
	v_or3_b32 v27, v0, v1, v2
	v_or_b32_e32 v11, 4, v23
	v_or_b32_e32 v18, 6, v23
	v_mul_lo_u32 v10, v3, s4
	v_ashrrev_i32_e32 v9, 31, v8
	ds_load_b128 v[0:3], v27
	ds_load_b128 v[4:7], v27 offset:128
	v_mul_lo_u32 v12, v11, s4
	s_waitcnt lgkmcnt(0)
	s_add_u32 s2, s0, s2
	s_addc_u32 s3, s1, s3
	s_lshl_b32 s0, s14, 7
	v_lshlrev_b64 v[8:9], 1, v[8:9]
	s_ashr_i32 s1, s0, 31
	v_ashrrev_i32_e32 v11, 31, v10
	s_lshl_b64 s[0:1], s[0:1], 1
	v_ashrrev_i32_e32 v13, 31, v12
	s_add_u32 s0, s2, s0
	s_addc_u32 s1, s3, s1
	v_add_co_u32 v30, s0, s0, v73
	s_delay_alu instid0(VALU_DEP_1) | instskip(SKIP_1) | instid1(VALU_DEP_3)
	v_add_co_ci_u32_e64 v31, null, s1, 0, s0
	v_lshlrev_b64 v[16:17], 1, v[10:11]
	v_add_co_u32 v14, vcc_lo, v30, v8
	s_delay_alu instid0(VALU_DEP_3)
	v_add_co_ci_u32_e32 v15, vcc_lo, v31, v9, vcc_lo
	ds_load_b128 v[8:11], v27 offset:256
	v_mul_lo_u32 v18, v18, s4
	v_or_b32_e32 v19, 8, v23
	v_add_co_u32 v16, vcc_lo, v30, v16
	global_store_b128 v[14:15], v[0:3], off
	v_lshlrev_b64 v[0:1], 1, v[12:13]
	v_add_co_ci_u32_e32 v17, vcc_lo, v31, v17, vcc_lo
	v_mul_lo_u32 v12, v19, s4
	v_ashrrev_i32_e32 v19, 31, v18
	v_or_b32_e32 v14, 10, v23
	global_store_b128 v[16:17], v[4:7], off
	v_add_co_u32 v4, vcc_lo, v30, v0
	v_add_co_ci_u32_e32 v5, vcc_lo, v31, v1, vcc_lo
	ds_load_b128 v[0:3], v27 offset:384
	v_ashrrev_i32_e32 v13, 31, v12
	v_lshlrev_b64 v[6:7], 1, v[18:19]
	v_mul_lo_u32 v14, v14, s4
	s_waitcnt lgkmcnt(1)
	global_store_b128 v[4:5], v[8:11], off
	v_or_b32_e32 v8, 12, v23
	v_lshlrev_b64 v[4:5], 1, v[12:13]
	v_add_co_u32 v20, vcc_lo, v30, v6
	v_or_b32_e32 v6, 14, v23
	v_ashrrev_i32_e32 v15, 31, v14
	v_mul_lo_u32 v22, v8, s4
	v_add_co_ci_u32_e32 v21, vcc_lo, v31, v7, vcc_lo
	v_add_co_u32 v24, vcc_lo, v30, v4
	v_mul_lo_u32 v26, v6, s4
	v_add_co_ci_u32_e32 v25, vcc_lo, v31, v5, vcc_lo
	v_lshlrev_b64 v[28:29], 1, v[14:15]
	ds_load_b128 v[4:7], v27 offset:512
	ds_load_b128 v[8:11], v27 offset:640
	;; [unrolled: 1-line block ×4, first 2 shown]
	v_ashrrev_i32_e32 v23, 31, v22
	v_ashrrev_i32_e32 v27, 31, v26
	v_add_co_u32 v28, vcc_lo, v30, v28
	s_delay_alu instid0(VALU_DEP_3) | instskip(SKIP_1) | instid1(VALU_DEP_4)
	v_lshlrev_b64 v[22:23], 1, v[22:23]
	v_add_co_ci_u32_e32 v29, vcc_lo, v31, v29, vcc_lo
	v_lshlrev_b64 v[26:27], 1, v[26:27]
	s_delay_alu instid0(VALU_DEP_3) | instskip(NEXT) | instid1(VALU_DEP_4)
	v_add_co_u32 v22, vcc_lo, v30, v22
	v_add_co_ci_u32_e32 v23, vcc_lo, v31, v23, vcc_lo
	s_delay_alu instid0(VALU_DEP_3) | instskip(NEXT) | instid1(VALU_DEP_4)
	v_add_co_u32 v26, vcc_lo, v30, v26
	v_add_co_ci_u32_e32 v27, vcc_lo, v31, v27, vcc_lo
	s_waitcnt lgkmcnt(4)
	global_store_b128 v[20:21], v[0:3], off
	s_waitcnt lgkmcnt(3)
	global_store_b128 v[24:25], v[4:7], off
	s_waitcnt lgkmcnt(2)
	global_store_b128 v[28:29], v[8:11], off
	s_waitcnt lgkmcnt(1)
	global_store_b128 v[22:23], v[12:15], off
	s_waitcnt lgkmcnt(0)
	global_store_b128 v[26:27], v[16:19], off
	s_nop 0
	s_sendmsg sendmsg(MSG_DEALLOC_VGPRS)
	s_endpgm
	.section	.rodata,"a",@progbits
	.p2align	6, 0x0
	.amdhsa_kernel _Z39paged_attention_ll4mi_QKV_mfma16_kernelI14__hip_bfloat16hLN4vllm18Fp8KVCacheDataTypeE1ES0_Li32ELi128ELi256ELb0ELi16EL8MFMAType0EEvPKT_PKT0_S9_ifPKiSB_SB_iPKfiiiPfSE_PS4_PT2_iSD_SD_
		.amdhsa_group_segment_fixed_size 17472
		.amdhsa_private_segment_fixed_size 0
		.amdhsa_kernarg_size 400
		.amdhsa_user_sgpr_count 13
		.amdhsa_user_sgpr_dispatch_ptr 0
		.amdhsa_user_sgpr_queue_ptr 0
		.amdhsa_user_sgpr_kernarg_segment_ptr 1
		.amdhsa_user_sgpr_dispatch_id 0
		.amdhsa_user_sgpr_private_segment_size 0
		.amdhsa_wavefront_size32 1
		.amdhsa_uses_dynamic_stack 0
		.amdhsa_enable_private_segment 0
		.amdhsa_system_sgpr_workgroup_id_x 1
		.amdhsa_system_sgpr_workgroup_id_y 1
		.amdhsa_system_sgpr_workgroup_id_z 1
		.amdhsa_system_sgpr_workgroup_info 0
		.amdhsa_system_vgpr_workitem_id 0
		.amdhsa_next_free_vgpr 141
		.amdhsa_next_free_sgpr 36
		.amdhsa_reserve_vcc 1
		.amdhsa_float_round_mode_32 0
		.amdhsa_float_round_mode_16_64 0
		.amdhsa_float_denorm_mode_32 3
		.amdhsa_float_denorm_mode_16_64 3
		.amdhsa_dx10_clamp 1
		.amdhsa_ieee_mode 1
		.amdhsa_fp16_overflow 0
		.amdhsa_workgroup_processor_mode 1
		.amdhsa_memory_ordered 1
		.amdhsa_forward_progress 0
		.amdhsa_shared_vgpr_count 0
		.amdhsa_exception_fp_ieee_invalid_op 0
		.amdhsa_exception_fp_denorm_src 0
		.amdhsa_exception_fp_ieee_div_zero 0
		.amdhsa_exception_fp_ieee_overflow 0
		.amdhsa_exception_fp_ieee_underflow 0
		.amdhsa_exception_fp_ieee_inexact 0
		.amdhsa_exception_int_div_zero 0
	.end_amdhsa_kernel
	.section	.text._Z39paged_attention_ll4mi_QKV_mfma16_kernelI14__hip_bfloat16hLN4vllm18Fp8KVCacheDataTypeE1ES0_Li32ELi128ELi256ELb0ELi16EL8MFMAType0EEvPKT_PKT0_S9_ifPKiSB_SB_iPKfiiiPfSE_PS4_PT2_iSD_SD_,"axG",@progbits,_Z39paged_attention_ll4mi_QKV_mfma16_kernelI14__hip_bfloat16hLN4vllm18Fp8KVCacheDataTypeE1ES0_Li32ELi128ELi256ELb0ELi16EL8MFMAType0EEvPKT_PKT0_S9_ifPKiSB_SB_iPKfiiiPfSE_PS4_PT2_iSD_SD_,comdat
.Lfunc_end1917:
	.size	_Z39paged_attention_ll4mi_QKV_mfma16_kernelI14__hip_bfloat16hLN4vllm18Fp8KVCacheDataTypeE1ES0_Li32ELi128ELi256ELb0ELi16EL8MFMAType0EEvPKT_PKT0_S9_ifPKiSB_SB_iPKfiiiPfSE_PS4_PT2_iSD_SD_, .Lfunc_end1917-_Z39paged_attention_ll4mi_QKV_mfma16_kernelI14__hip_bfloat16hLN4vllm18Fp8KVCacheDataTypeE1ES0_Li32ELi128ELi256ELb0ELi16EL8MFMAType0EEvPKT_PKT0_S9_ifPKiSB_SB_iPKfiiiPfSE_PS4_PT2_iSD_SD_
                                        ; -- End function
	.section	.AMDGPU.csdata,"",@progbits
; Kernel info:
; codeLenInByte = 9048
; NumSgprs: 38
; NumVgprs: 141
; ScratchSize: 0
; MemoryBound: 0
; FloatMode: 240
; IeeeMode: 1
; LDSByteSize: 17472 bytes/workgroup (compile time only)
; SGPRBlocks: 4
; VGPRBlocks: 17
; NumSGPRsForWavesPerEU: 38
; NumVGPRsForWavesPerEU: 141
; Occupancy: 10
; WaveLimiterHint : 1
; COMPUTE_PGM_RSRC2:SCRATCH_EN: 0
; COMPUTE_PGM_RSRC2:USER_SGPR: 13
; COMPUTE_PGM_RSRC2:TRAP_HANDLER: 0
; COMPUTE_PGM_RSRC2:TGID_X_EN: 1
; COMPUTE_PGM_RSRC2:TGID_Y_EN: 1
; COMPUTE_PGM_RSRC2:TGID_Z_EN: 1
; COMPUTE_PGM_RSRC2:TIDIG_COMP_CNT: 0
	.section	.text._Z39paged_attention_ll4mi_QKV_mfma16_kernelI14__hip_bfloat16hLN4vllm18Fp8KVCacheDataTypeE1ES0_Li32ELi128ELi256ELb0ELi1EL8MFMAType0EEvPKT_PKT0_S9_ifPKiSB_SB_iPKfiiiPfSE_PS4_PT2_iSD_SD_,"axG",@progbits,_Z39paged_attention_ll4mi_QKV_mfma16_kernelI14__hip_bfloat16hLN4vllm18Fp8KVCacheDataTypeE1ES0_Li32ELi128ELi256ELb0ELi1EL8MFMAType0EEvPKT_PKT0_S9_ifPKiSB_SB_iPKfiiiPfSE_PS4_PT2_iSD_SD_,comdat
	.protected	_Z39paged_attention_ll4mi_QKV_mfma16_kernelI14__hip_bfloat16hLN4vllm18Fp8KVCacheDataTypeE1ES0_Li32ELi128ELi256ELb0ELi1EL8MFMAType0EEvPKT_PKT0_S9_ifPKiSB_SB_iPKfiiiPfSE_PS4_PT2_iSD_SD_ ; -- Begin function _Z39paged_attention_ll4mi_QKV_mfma16_kernelI14__hip_bfloat16hLN4vllm18Fp8KVCacheDataTypeE1ES0_Li32ELi128ELi256ELb0ELi1EL8MFMAType0EEvPKT_PKT0_S9_ifPKiSB_SB_iPKfiiiPfSE_PS4_PT2_iSD_SD_
	.globl	_Z39paged_attention_ll4mi_QKV_mfma16_kernelI14__hip_bfloat16hLN4vllm18Fp8KVCacheDataTypeE1ES0_Li32ELi128ELi256ELb0ELi1EL8MFMAType0EEvPKT_PKT0_S9_ifPKiSB_SB_iPKfiiiPfSE_PS4_PT2_iSD_SD_
	.p2align	8
	.type	_Z39paged_attention_ll4mi_QKV_mfma16_kernelI14__hip_bfloat16hLN4vllm18Fp8KVCacheDataTypeE1ES0_Li32ELi128ELi256ELb0ELi1EL8MFMAType0EEvPKT_PKT0_S9_ifPKiSB_SB_iPKfiiiPfSE_PS4_PT2_iSD_SD_,@function
_Z39paged_attention_ll4mi_QKV_mfma16_kernelI14__hip_bfloat16hLN4vllm18Fp8KVCacheDataTypeE1ES0_Li32ELi128ELi256ELb0ELi1EL8MFMAType0EEvPKT_PKT0_S9_ifPKiSB_SB_iPKfiiiPfSE_PS4_PT2_iSD_SD_: ; @_Z39paged_attention_ll4mi_QKV_mfma16_kernelI14__hip_bfloat16hLN4vllm18Fp8KVCacheDataTypeE1ES0_Li32ELi128ELi256ELb0ELi1EL8MFMAType0EEvPKT_PKT0_S9_ifPKiSB_SB_iPKfiiiPfSE_PS4_PT2_iSD_SD_
; %bb.0:
	s_load_b64 s[4:5], s[0:1], 0x30
	s_mov_b32 s34, s13
	s_waitcnt lgkmcnt(0)
	s_cmp_lg_u64 s[4:5], 0
	s_cselect_b32 s6, -1, 0
	s_ashr_i32 s35, s13, 31
	s_cmp_eq_u64 s[4:5], 0
	s_cbranch_scc1 .LBB1918_3
; %bb.1:
	s_lshl_b64 s[2:3], s[34:35], 2
	s_delay_alu instid0(SALU_CYCLE_1) | instskip(SKIP_4) | instid1(SALU_CYCLE_1)
	s_add_u32 s2, s4, s2
	s_addc_u32 s3, s5, s3
	s_load_b64 s[2:3], s[2:3], 0x0
	s_waitcnt lgkmcnt(0)
	s_sub_i32 s2, s3, s2
	s_cmp_eq_u32 s2, 1
	s_cselect_b32 s2, -1, 0
	s_delay_alu instid0(SALU_CYCLE_1)
	s_and_not1_b32 vcc_lo, exec_lo, s2
	s_cbranch_vccz .LBB1918_4
.LBB1918_2:
	s_endpgm
.LBB1918_3:
.LBB1918_4:
	s_load_b64 s[2:3], s[0:1], 0x28
	s_lshl_b64 s[8:9], s[34:35], 2
	s_waitcnt lgkmcnt(0)
	s_add_u32 s2, s2, s8
	s_addc_u32 s3, s3, s9
	s_lshl_b32 s12, s14, 8
	s_load_b32 s33, s[2:3], 0x0
	s_waitcnt lgkmcnt(0)
	s_cmp_ge_i32 s12, s33
	s_cbranch_scc1 .LBB1918_2
; %bb.5:
	s_clause 0x1
	s_load_b128 s[56:59], s[0:1], 0x8
	s_load_b64 s[2:3], s[0:1], 0x20
	s_and_not1_b32 vcc_lo, exec_lo, s6
	s_mov_b64 s[6:7], s[34:35]
	s_cbranch_vccnz .LBB1918_7
; %bb.6:
	s_add_u32 s4, s4, s8
	s_addc_u32 s5, s5, s9
	s_load_b32 s6, s[4:5], 0x0
.LBB1918_7:
	s_load_b128 s[52:55], s[0:1], 0x48
	v_and_b32_e32 v65, 15, v0
	s_mov_b32 s13, exec_lo
                                        ; implicit-def: $sgpr36
                                        ; implicit-def: $sgpr24
                                        ; implicit-def: $sgpr16
                                        ; implicit-def: $sgpr4
	s_delay_alu instid0(VALU_DEP_1)
	v_cmpx_eq_u32_e32 0, v65
	s_cbranch_execz .LBB1918_9
; %bb.8:
	s_load_b64 s[4:5], s[0:1], 0x0
	s_waitcnt lgkmcnt(0)
	s_mul_hi_i32 s7, s6, s52
	s_mul_i32 s6, s6, s52
	s_delay_alu instid0(SALU_CYCLE_1) | instskip(NEXT) | instid1(SALU_CYCLE_1)
	s_lshl_b64 s[6:7], s[6:7], 1
	s_add_u32 s6, s4, s6
	s_addc_u32 s7, s5, s7
	s_lshl_b32 s4, s15, 7
	s_delay_alu instid0(SALU_CYCLE_1) | instskip(NEXT) | instid1(SALU_CYCLE_1)
	s_ashr_i32 s5, s4, 31
	s_lshl_b64 s[4:5], s[4:5], 1
	s_delay_alu instid0(SALU_CYCLE_1)
	s_add_u32 s4, s6, s4
	s_addc_u32 s5, s7, s5
	s_clause 0x3
	s_load_b256 s[36:43], s[4:5], 0x0
	s_load_b256 s[24:31], s[4:5], 0x40
	;; [unrolled: 1-line block ×4, first 2 shown]
.LBB1918_9:
	s_or_b32 exec_lo, exec_lo, s13
	v_and_b32_e32 v1, 0xef, v0
	s_add_i32 s13, s33, 31
	s_load_b32 s44, s[0:1], 0x38
	s_ashr_i32 s35, s13, 31
	s_waitcnt lgkmcnt(0)
	s_mul_i32 s62, s15, s54
	v_add_nc_u32_e32 v1, s12, v1
	s_lshr_b32 s35, s35, 27
	v_lshlrev_b32_e32 v73, 4, v65
	s_add_i32 s13, s13, s35
	s_load_b32 s35, s[0:1], 0x1c
	v_ashrrev_i32_e32 v2, 31, v1
	v_or_b32_e32 v3, 16, v1
	s_ashr_i32 s13, s13, 5
	v_cmp_gt_i32_e32 vcc_lo, s33, v1
	s_add_i32 s13, s13, -1
	v_lshrrev_b32_e32 v2, 27, v2
	v_dual_mov_b32 v113, s31 :: v_dual_mov_b32 v108, s26
	v_dual_mov_b32 v111, s29 :: v_dual_mov_b32 v106, s24
	s_delay_alu instid0(VALU_DEP_3) | instskip(SKIP_3) | instid1(VALU_DEP_2)
	v_dual_mov_b32 v109, s27 :: v_dual_add_nc_u32 v4, v1, v2
	s_mul_i32 s44, s34, s44
	v_mov_b32_e32 v107, s25
	s_ashr_i32 s45, s44, 31
	v_ashrrev_i32_e32 v4, 5, v4
	v_add_nc_u32_e32 v2, v3, v2
	s_lshl_b64 s[44:45], s[44:45], 2
	v_dual_mov_b32 v121, s23 :: v_dual_mov_b32 v114, s16
	s_delay_alu instid0(VALU_DEP_3) | instskip(NEXT) | instid1(VALU_DEP_3)
	v_cndmask_b32_e32 v1, s13, v4, vcc_lo
	v_ashrrev_i32_e32 v2, 5, v2
	v_cmp_gt_i32_e32 vcc_lo, s33, v3
	s_add_u32 s61, s2, s44
	s_addc_u32 s60, s3, s45
	s_ashr_i32 s63, s62, 31
	s_add_u32 s44, s56, s62
	v_cndmask_b32_e32 v3, s13, v2, vcc_lo
	v_ashrrev_i32_e32 v2, 31, v1
	s_addc_u32 s45, s57, s63
	s_lshl_b32 s2, s14, 3
	v_dual_mov_b32 v116, s18 :: v_dual_lshlrev_b32 v33, 5, v65
	v_ashrrev_i32_e32 v4, 31, v3
	v_lshlrev_b64 v[1:2], 2, v[1:2]
	s_ashr_i32 s3, s2, 31
	v_mov_b32_e32 v120, s22
	s_lshl_b64 s[2:3], s[2:3], 2
	v_lshlrev_b64 v[3:4], 2, v[3:4]
	s_add_u32 s2, s61, s2
	v_add_co_u32 v1, vcc_lo, s61, v1
	v_add_co_ci_u32_e32 v2, vcc_lo, s60, v2, vcc_lo
	s_delay_alu instid0(VALU_DEP_3) | instskip(NEXT) | instid1(VALU_DEP_4)
	v_add_co_u32 v3, vcc_lo, s61, v3
	v_add_co_ci_u32_e32 v4, vcc_lo, s60, v4, vcc_lo
	s_clause 0x1
	global_load_b32 v5, v[1:2], off
	global_load_b32 v6, v[3:4], off
	s_addc_u32 s3, s60, s3
	s_or_b32 s46, s12, 32
	v_mov_b32_e32 v118, s20
	s_ashr_i32 s47, s46, 5
	s_cmp_lt_i32 s46, s33
	v_lshrrev_b32_e32 v66, 5, v0
	s_cselect_b32 s46, s47, s13
	v_mov_b32_e32 v112, s30
	s_ashr_i32 s47, s46, 31
	v_mov_b32_e32 v110, s28
	s_lshl_b64 s[46:47], s[46:47], 2
	v_lshl_or_b32 v33, v66, 9, v33
	s_add_u32 s46, s61, s46
	s_addc_u32 s47, s60, s47
	s_or_b32 s48, s12, 64
	s_delay_alu instid0(SALU_CYCLE_1) | instskip(SKIP_2) | instid1(SALU_CYCLE_1)
	s_ashr_i32 s49, s48, 5
	s_cmp_lt_i32 s48, s33
	s_cselect_b32 s48, s49, s13
	s_ashr_i32 s49, s48, 31
	s_delay_alu instid0(SALU_CYCLE_1) | instskip(NEXT) | instid1(SALU_CYCLE_1)
	s_lshl_b64 s[48:49], s[48:49], 2
	s_add_u32 s48, s61, s48
	s_addc_u32 s49, s60, s49
	s_or_b32 s50, s12, 0x60
	s_delay_alu instid0(SALU_CYCLE_1) | instskip(SKIP_2) | instid1(SALU_CYCLE_1)
	s_ashr_i32 s51, s50, 5
	s_cmp_lt_i32 s50, s33
	s_cselect_b32 s50, s51, s13
	s_ashr_i32 s51, s50, 31
	s_delay_alu instid0(SALU_CYCLE_1) | instskip(NEXT) | instid1(SALU_CYCLE_1)
	s_lshl_b64 s[50:51], s[50:51], 2
	;; [unrolled: 10-line block ×4, first 2 shown]
	s_add_u32 s66, s61, s54
	s_addc_u32 s67, s60, s55
	s_clause 0x5
	s_load_b32 s56, s[2:3], 0x0
	s_load_b32 s3, s[46:47], 0x0
	;; [unrolled: 1-line block ×6, first 2 shown]
	s_or_b32 s24, s12, 0xc0
	s_delay_alu instid0(SALU_CYCLE_1)
	s_ashr_i32 s25, s24, 5
	s_cmp_lt_i32 s24, s33
	s_waitcnt vmcnt(1)
	v_mad_i64_i32 v[1:2], null, v5, s53, s[44:45]
	s_waitcnt vmcnt(0)
	v_mad_i64_i32 v[3:4], null, v6, s53, s[44:45]
	s_mov_b32 s44, 0
	s_delay_alu instid0(SALU_CYCLE_1) | instskip(SKIP_1) | instid1(VALU_DEP_2)
	s_mov_b32 s45, s44
	s_mov_b32 s46, s44
	v_add_co_u32 v25, vcc_lo, v1, v73
	s_delay_alu instid0(VALU_DEP_3) | instskip(NEXT) | instid1(VALU_DEP_3)
	v_add_co_ci_u32_e32 v26, vcc_lo, 0, v2, vcc_lo
	v_add_co_u32 v27, vcc_lo, v3, v73
	s_delay_alu instid0(VALU_DEP_4)
	v_add_co_ci_u32_e32 v28, vcc_lo, 0, v4, vcc_lo
	s_clause 0xf
	global_load_b128 v[1:4], v[25:26], off
	global_load_b128 v[5:8], v[25:26], off offset:512
	global_load_b128 v[9:12], v[27:28], off offset:256
	;; [unrolled: 1-line block ×15, first 2 shown]
	v_mov_b32_e32 v25, s36
	v_mov_b32_e32 v29, s40
	;; [unrolled: 1-line block ×3, first 2 shown]
	s_mov_b32 s47, s44
	s_mov_b32 s48, s44
	;; [unrolled: 1-line block ×5, first 2 shown]
	v_mov_b32_e32 v119, s21
	v_mov_b32_e32 v117, s19
	;; [unrolled: 1-line block ×3, first 2 shown]
	s_cselect_b32 s16, s25, s13
	v_dual_mov_b32 v129, s51 :: v_dual_mov_b32 v122, s44
	s_ashr_i32 s17, s16, 31
	v_mov_b32_e32 v26, s37
	s_lshl_b64 s[16:17], s[16:17], 2
	v_dual_mov_b32 v27, s38 :: v_dual_mov_b32 v32, s43
	s_add_u32 s16, s61, s16
	s_addc_u32 s17, s60, s17
	s_or_b32 s18, s12, 0xe0
	v_mov_b32_e32 v28, s39
	s_ashr_i32 s19, s18, 5
	s_cmp_lt_i32 s18, s33
	v_mov_b32_e32 v30, s41
	s_cselect_b32 s18, s19, s13
	v_mov_b32_e32 v128, s50
	s_ashr_i32 s19, s18, 31
	v_mov_b32_e32 v127, s49
	s_lshl_b64 s[18:19], s[18:19], 2
	v_mov_b32_e32 v126, s48
	s_add_u32 s18, s61, s18
	s_addc_u32 s19, s60, s19
	s_add_u32 s13, s58, s62
	s_addc_u32 s20, s59, s63
	v_add_co_u32 v67, s13, s13, v33
	s_delay_alu instid0(VALU_DEP_1)
	v_add_co_ci_u32_e64 v68, null, s20, 0, s13
	s_clause 0x1
	s_load_b32 s13, s[16:17], 0x0
	s_load_b32 s16, s[18:19], 0x0
	v_dual_mov_b32 v125, s47 :: v_dual_mov_b32 v124, s46
	v_mov_b32_e32 v123, s45
	s_waitcnt lgkmcnt(0)
	v_mad_i64_i32 v[33:34], null, s56, s53, v[67:68]
	v_mad_i64_i32 v[69:70], null, s54, s53, v[67:68]
	v_mad_i64_i32 v[35:36], null, s3, s53, v[67:68]
	v_mad_i64_i32 v[37:38], null, s52, s53, v[67:68]
	v_mad_i64_i32 v[71:72], null, s55, s53, v[67:68]
	s_clause 0x5
	global_load_b128 v[49:52], v[33:34], off
	global_load_b128 v[53:56], v[33:34], off offset:16
	global_load_b128 v[41:44], v[35:36], off
	global_load_b128 v[45:48], v[35:36], off offset:16
	;; [unrolled: 2-line block ×3, first 2 shown]
	s_waitcnt vmcnt(20)
	v_wmma_f32_16x16x16_bf16 v[130:137], v[1:8], v[25:32], v[122:129]
	s_waitcnt vmcnt(18)
	v_wmma_f32_16x16x16_bf16 v[122:129], v[9:16], v[25:32], v[122:129]
	v_mad_i64_i32 v[13:14], null, s2, s53, v[67:68]
	s_waitcnt vmcnt(16)
	v_wmma_f32_16x16x16_bf16 v[130:137], v[17:24], v[106:113], v[130:137]
	v_mad_i64_i32 v[21:22], null, s13, s53, v[67:68]
	s_clause 0x1
	global_load_b128 v[25:28], v[69:70], off
	global_load_b128 v[29:32], v[69:70], off offset:16
	v_mad_i64_i32 v[69:70], null, s16, s53, v[67:68]
	s_waitcnt vmcnt(16)
	v_wmma_f32_16x16x16_bf16 v[122:129], v[57:64], v[106:113], v[122:129]
	s_clause 0x7
	global_load_b128 v[1:4], v[71:72], off
	global_load_b128 v[5:8], v[71:72], off offset:16
	global_load_b128 v[9:12], v[13:14], off
	global_load_b128 v[13:16], v[13:14], off offset:16
	;; [unrolled: 2-line block ×4, first 2 shown]
	v_mbcnt_lo_u32_b32 v68, -1, 0
	v_and_b32_e32 v67, 0xe0, v0
	s_waitcnt vmcnt(22)
	v_wmma_f32_16x16x16_bf16 v[130:137], v[74:81], v[114:121], v[130:137]
	s_waitcnt vmcnt(20)
	v_wmma_f32_16x16x16_bf16 v[122:129], v[82:89], v[114:121], v[122:129]
	v_mov_b32_e32 v82, s11
	v_mov_b32_e32 v76, s5
	v_xor_b32_e32 v69, 16, v68
	v_bfe_u32 v74, v0, 4, 1
	v_dual_mov_b32 v81, s10 :: v_dual_mov_b32 v80, s9
	v_mov_b32_e32 v79, s8
	s_delay_alu instid0(VALU_DEP_4) | instskip(SKIP_3) | instid1(VALU_DEP_3)
	v_cmp_gt_i32_e32 vcc_lo, 32, v69
	v_dual_mov_b32 v78, s7 :: v_dual_add_nc_u32 v67, s12, v67
	v_mov_b32_e32 v77, s6
	v_dual_mov_b32 v75, s4 :: v_dual_cndmask_b32 v68, v68, v69
	v_or_b32_e32 v67, v67, v74
	s_waitcnt vmcnt(0)
	s_barrier
	s_delay_alu instid0(VALU_DEP_2)
	v_wmma_f32_16x16x16_bf16 v[130:137], v[90:97], v[75:82], v[130:137]
	buffer_gl0_inv
	v_or_b32_e32 v69, 2, v67
	v_or_b32_e32 v70, 4, v67
	;; [unrolled: 1-line block ×3, first 2 shown]
	v_mul_f32_e32 v92, s35, v131
	v_wmma_f32_16x16x16_bf16 v[122:129], v[98:105], v[75:82], v[122:129]
	v_mul_f32_e32 v93, s35, v130
	v_cmp_gt_i32_e32 vcc_lo, s33, v69
	v_cmp_gt_i32_e64 s2, s33, v67
	v_or_b32_e32 v72, 8, v67
	v_mul_f32_e32 v98, s35, v125
	v_or_b32_e32 v83, 10, v67
	v_dual_mul_f32 v81, s35, v133 :: v_dual_mul_f32 v82, s35, v132
	v_cndmask_b32_e64 v93, 0xff7fffff, v93, s2
	v_cndmask_b32_e32 v92, 0xff7fffff, v92, vcc_lo
	v_cmp_gt_i32_e64 s3, s33, v70
	v_cmp_gt_i32_e64 s4, s33, v71
	v_or_b32_e32 v84, 12, v67
	v_or_b32_e32 v85, 14, v67
	v_dual_mul_f32 v79, s35, v135 :: v_dual_mul_f32 v94, s35, v129
	v_mul_f32_e32 v80, s35, v134
	v_cndmask_b32_e64 v70, 0xff7fffff, v82, s3
	v_cndmask_b32_e64 v71, 0xff7fffff, v81, s4
	v_max3_f32 v81, v93, 0xff7fffff, v92
	v_cmp_gt_i32_e64 s5, s33, v72
	v_cmp_gt_i32_e64 s6, s33, v83
	v_or_b32_e32 v86, 16, v67
	v_or_b32_e32 v87, 18, v67
	v_dual_mul_f32 v77, s35, v137 :: v_dual_mul_f32 v96, s35, v127
	v_mul_f32_e32 v78, s35, v136
	v_cndmask_b32_e64 v72, 0xff7fffff, v80, s5
	v_cndmask_b32_e64 v79, 0xff7fffff, v79, s6
	v_max3_f32 v70, v81, v70, v71
	v_cmp_gt_i32_e64 s7, s33, v84
	v_cmp_gt_i32_e64 s8, s33, v85
	v_or_b32_e32 v88, 20, v67
	v_or_b32_e32 v89, 22, v67
	;; [unrolled: 1-line block ×6, first 2 shown]
	v_mul_f32_e32 v69, s35, v123
	v_mul_f32_e32 v67, s35, v122
	v_cndmask_b32_e64 v71, 0xff7fffff, v78, s7
	v_cndmask_b32_e64 v77, 0xff7fffff, v77, s8
	v_max3_f32 v70, v70, v72, v79
	v_cmp_gt_i32_e64 s9, s33, v86
	v_cmp_gt_i32_e64 s10, s33, v87
	v_mul_f32_e32 v99, s35, v124
	v_cmp_gt_i32_e64 s11, s33, v88
	v_max3_f32 v70, v70, v71, v77
	v_cndmask_b32_e64 v67, 0xff7fffff, v67, s9
	v_cndmask_b32_e64 v69, 0xff7fffff, v69, s10
	v_cmp_gt_i32_e64 s12, s33, v89
	v_mul_f32_e32 v97, s35, v126
	v_cndmask_b32_e64 v71, 0xff7fffff, v99, s11
	v_cmp_gt_i32_e64 s13, s33, v90
	v_max3_f32 v67, v70, v67, v69
	v_cndmask_b32_e64 v72, 0xff7fffff, v98, s12
	v_cmp_gt_i32_e64 s16, s33, v91
	v_mul_f32_e32 v95, s35, v128
	v_cndmask_b32_e64 v69, 0xff7fffff, v97, s13
	v_cmp_gt_i32_e64 s17, s33, v75
	v_max3_f32 v67, v67, v71, v72
	v_cndmask_b32_e64 v70, 0xff7fffff, v96, s16
	v_cmp_gt_i32_e64 s18, s33, v76
	v_lshlrev_b32_e32 v81, 2, v68
	v_cndmask_b32_e64 v71, 0xff7fffff, v95, s17
	s_delay_alu instid0(VALU_DEP_4) | instskip(NEXT) | instid1(VALU_DEP_4)
	v_max3_f32 v67, v67, v69, v70
	v_cndmask_b32_e64 v72, 0xff7fffff, v94, s18
	s_delay_alu instid0(VALU_DEP_1) | instskip(SKIP_3) | instid1(VALU_DEP_1)
	v_max3_f32 v67, v67, v71, v72
	ds_bpermute_b32 v68, v81, v67
	s_waitcnt lgkmcnt(0)
	v_max_f32_e32 v68, v68, v68
	v_max_f32_e32 v67, v67, v68
	s_delay_alu instid0(VALU_DEP_1) | instskip(SKIP_4) | instid1(VALU_DEP_4)
	v_fma_f32 v68, s35, v130, -v67
	v_fma_f32 v69, s35, v131, -v67
	;; [unrolled: 1-line block ×5, first 2 shown]
	v_dual_mul_f32 v68, 0x3fb8aa3b, v68 :: v_dual_mul_f32 v69, 0x3fb8aa3b, v69
	s_delay_alu instid0(VALU_DEP_3) | instskip(NEXT) | instid1(VALU_DEP_3)
	v_dual_mul_f32 v70, 0x3fb8aa3b, v70 :: v_dual_mul_f32 v71, 0x3fb8aa3b, v71
	v_mul_f32_e32 v72, 0x3fb8aa3b, v72
	s_delay_alu instid0(VALU_DEP_3) | instskip(NEXT) | instid1(VALU_DEP_3)
	v_exp_f32_e32 v68, v68
	v_exp_f32_e32 v69, v69
	s_delay_alu instid0(VALU_DEP_2)
	v_exp_f32_e32 v70, v70
	v_exp_f32_e32 v71, v71
	;; [unrolled: 1-line block ×3, first 2 shown]
	v_cndmask_b32_e64 v79, 0, v68, s2
	v_fma_f32 v68, s35, v135, -v67
	v_cndmask_b32_e32 v75, 0, v69, vcc_lo
	s_delay_alu instid0(TRANS32_DEP_3)
	v_cndmask_b32_e64 v82, 0, v70, s3
	s_waitcnt_depctr 0xfff
	v_cndmask_b32_e64 v84, 0, v71, s4
	v_dual_add_f32 v69, 0, v79 :: v_dual_mul_f32 v68, 0x3fb8aa3b, v68
	v_cndmask_b32_e64 v85, 0, v72, s5
	s_mov_b32 s3, exec_lo
	s_delay_alu instid0(VALU_DEP_2) | instskip(NEXT) | instid1(VALU_DEP_3)
	v_add_f32_e32 v69, v69, v75
	v_exp_f32_e32 v68, v68
	s_delay_alu instid0(VALU_DEP_1) | instskip(NEXT) | instid1(VALU_DEP_1)
	v_add_f32_e32 v69, v69, v82
	v_add_f32_e32 v69, v69, v84
	s_waitcnt_depctr 0xfff
	v_cndmask_b32_e64 v86, 0, v68, s6
	v_add_f32_e32 v68, v69, v85
	s_delay_alu instid0(VALU_DEP_1)
	v_add_f32_e32 v68, v68, v86
	v_fma_f32 v72, s35, v123, -v67
	v_fma_f32 v76, s35, v136, -v67
	;; [unrolled: 1-line block ×5, first 2 shown]
	v_mul_f32_e32 v72, 0x3fb8aa3b, v72
	v_mul_f32_e32 v76, 0x3fb8aa3b, v76
	s_delay_alu instid0(VALU_DEP_4) | instskip(SKIP_1) | instid1(VALU_DEP_4)
	v_dual_mul_f32 v70, 0x3fb8aa3b, v70 :: v_dual_mul_f32 v69, 0x3fb8aa3b, v69
	v_fma_f32 v77, s35, v126, -v67
	v_exp_f32_e32 v72, v72
	s_delay_alu instid0(VALU_DEP_3) | instskip(NEXT) | instid1(VALU_DEP_2)
	v_exp_f32_e32 v76, v76
	v_exp_f32_e32 v70, v70
	;; [unrolled: 1-line block ×3, first 2 shown]
	v_fma_f32 v88, s35, v129, -v67
	s_delay_alu instid0(VALU_DEP_1) | instskip(SKIP_2) | instid1(TRANS32_DEP_3)
	v_mul_f32_e32 v88, 0x3fb8aa3b, v88
	v_cndmask_b32_e64 v69, 0, v72, s10
	v_mul_f32_e32 v71, 0x3fb8aa3b, v71
	v_cndmask_b32_e64 v83, 0, v76, s7
	s_delay_alu instid0(TRANS32_DEP_2) | instskip(SKIP_4) | instid1(VALU_DEP_3)
	v_cndmask_b32_e64 v87, 0, v70, s8
	v_fma_f32 v76, s35, v125, -v67
	v_fma_f32 v72, s35, v128, -v67
	v_exp_f32_e32 v71, v71
	v_add_f32_e32 v68, v68, v83
	v_mul_f32_e32 v76, 0x3fb8aa3b, v76
	s_delay_alu instid0(VALU_DEP_2) | instskip(NEXT) | instid1(VALU_DEP_2)
	v_add_f32_e32 v68, v68, v87
	v_exp_f32_e32 v76, v76
	s_waitcnt_depctr 0xfff
	v_cndmask_b32_e64 v70, 0, v71, s9
	v_fma_f32 v71, s35, v127, -v67
	s_delay_alu instid0(VALU_DEP_2) | instskip(NEXT) | instid1(VALU_DEP_2)
	v_add_f32_e32 v68, v68, v70
	v_mul_f32_e32 v80, 0x3fb8aa3b, v71
	v_cndmask_b32_e64 v71, 0, v78, s11
	v_mul_f32_e32 v78, 0x3fb8aa3b, v72
	v_cndmask_b32_e64 v72, 0, v76, s12
	v_add_f32_e32 v68, v68, v69
	v_mul_f32_e32 v77, 0x3fb8aa3b, v77
	v_exp_f32_e32 v80, v80
	v_exp_f32_e32 v78, v78
	s_delay_alu instid0(VALU_DEP_2) | instskip(NEXT) | instid1(VALU_DEP_2)
	v_add_f32_e32 v68, v68, v71
	v_exp_f32_e32 v77, v77
	s_delay_alu instid0(VALU_DEP_1)
	v_add_f32_e32 v68, v68, v72
	s_waitcnt_depctr 0xfff
	v_cndmask_b32_e64 v78, 0, v78, s17
	v_cndmask_b32_e64 v76, 0, v77, s13
	;; [unrolled: 1-line block ×3, first 2 shown]
	v_exp_f32_e32 v80, v88
	v_and_b32_e32 v88, 31, v0
	s_delay_alu instid0(VALU_DEP_3) | instskip(NEXT) | instid1(VALU_DEP_2)
	v_add_f32_e32 v68, v68, v76
	v_cmp_lt_u32_e64 s2, 15, v88
	s_delay_alu instid0(VALU_DEP_2) | instskip(SKIP_3) | instid1(VALU_DEP_1)
	v_add_f32_e32 v68, v68, v77
	s_waitcnt_depctr 0xfff
	v_cndmask_b32_e64 v80, 0, v80, s18
	v_add_f32_e32 v68, v68, v78
	v_add_f32_e32 v68, v68, v80
	ds_bpermute_b32 v81, v81, v68
	v_cmpx_gt_u32_e32 16, v88
	s_cbranch_execz .LBB1918_11
; %bb.10:
	v_mul_u32_u24_e32 v88, 0x44, v66
	s_delay_alu instid0(VALU_DEP_1) | instskip(SKIP_1) | instid1(VALU_DEP_1)
	v_lshl_add_u32 v88, v65, 2, v88
	s_waitcnt lgkmcnt(0)
	v_dual_add_f32 v68, v68, v81 :: v_dual_add_nc_u32 v81, 0x4000, v88
	ds_store_2addr_b32 v81, v67, v68 offset1:136
.LBB1918_11:
	s_or_b32 exec_lo, exec_lo, s3
	v_lshlrev_b32_e32 v67, 2, v65
	s_waitcnt lgkmcnt(0)
	s_barrier
	buffer_gl0_inv
	v_cmp_eq_u32_e32 vcc_lo, 1, v66
	v_add_nc_u32_e32 v81, 0x4000, v67
	v_cmp_eq_u32_e64 s3, 2, v66
	v_cmp_eq_u32_e64 s5, 7, v66
	ds_load_2addr_b32 v[88:89], v81 offset1:17
	ds_load_2addr_b32 v[90:91], v81 offset0:34 offset1:51
	ds_load_2addr_b32 v[92:93], v81 offset0:68 offset1:85
	;; [unrolled: 1-line block ×4, first 2 shown]
	s_waitcnt lgkmcnt(4)
	v_max3_f32 v67, v88, 0xff7fffff, v89
	s_waitcnt lgkmcnt(3)
	s_delay_alu instid0(VALU_DEP_1) | instskip(SKIP_1) | instid1(VALU_DEP_1)
	v_max3_f32 v67, v67, v90, v91
	s_waitcnt lgkmcnt(2)
	v_max3_f32 v67, v67, v92, v93
	s_waitcnt lgkmcnt(1)
	s_delay_alu instid0(VALU_DEP_1) | instskip(NEXT) | instid1(VALU_DEP_1)
	v_max3_f32 v67, v67, v94, v95
	v_sub_f32_e32 v68, v88, v67
	v_sub_f32_e32 v90, v90, v67
	;; [unrolled: 1-line block ×3, first 2 shown]
	s_delay_alu instid0(VALU_DEP_3) | instskip(NEXT) | instid1(VALU_DEP_3)
	v_mul_f32_e32 v68, 0x3fb8aa3b, v68
	v_mul_f32_e32 v100, 0x3fb8aa3b, v90
	s_delay_alu instid0(VALU_DEP_3) | instskip(NEXT) | instid1(VALU_DEP_3)
	v_mul_f32_e32 v102, 0x3fb8aa3b, v92
	v_exp_f32_e32 v99, v68
	v_sub_f32_e32 v68, v91, v67
	v_sub_f32_e32 v98, v89, v67
	v_exp_f32_e32 v100, v100
	s_delay_alu instid0(VALU_DEP_1)
	v_dual_mul_f32 v101, 0x3fb8aa3b, v68 :: v_dual_mul_f32 v98, 0x3fb8aa3b, v98
	s_waitcnt lgkmcnt(0)
	s_waitcnt_depctr 0xfff
	v_fma_f32 v68, v99, v96, 0
	v_sub_f32_e32 v96, v93, v67
	v_exp_f32_e32 v98, v98
	v_exp_f32_e32 v101, v101
	s_waitcnt_depctr 0xfff
	v_fmac_f32_e32 v68, v98, v97
	ds_load_2addr_b32 v[88:89], v81 offset0:170 offset1:187
	ds_load_2addr_b32 v[90:91], v81 offset0:204 offset1:221
	;; [unrolled: 1-line block ×3, first 2 shown]
	v_dual_sub_f32 v81, v94, v67 :: v_dual_mul_f32 v94, 0x3fb8aa3b, v96
	v_exp_f32_e32 v96, v102
	s_waitcnt lgkmcnt(0)
	s_barrier
	s_delay_alu instid0(VALU_DEP_1)
	v_mul_f32_e32 v81, 0x3fb8aa3b, v81
	v_exp_f32_e32 v94, v94
	buffer_gl0_inv
	v_exp_f32_e32 v81, v81
	v_fmac_f32_e32 v68, v100, v88
	v_sub_f32_e32 v88, v95, v67
	s_delay_alu instid0(VALU_DEP_2) | instskip(NEXT) | instid1(VALU_DEP_2)
	v_fmac_f32_e32 v68, v101, v89
	v_mul_f32_e32 v88, 0x3fb8aa3b, v88
	s_delay_alu instid0(VALU_DEP_2) | instskip(NEXT) | instid1(VALU_DEP_2)
	v_fmac_f32_e32 v68, v96, v90
	v_exp_f32_e32 v88, v88
	s_delay_alu instid0(VALU_DEP_1)
	v_fmac_f32_e32 v68, v94, v91
	s_delay_alu instid0(TRANS32_DEP_2) | instid1(VALU_DEP_1)
	v_fmac_f32_e32 v68, v81, v92
	s_waitcnt_depctr 0xfff
	v_fmac_f32_e32 v68, v88, v93
	s_delay_alu instid0(VALU_DEP_1) | instskip(NEXT) | instid1(VALU_DEP_1)
	v_add_f32_e32 v89, 0x358637bd, v68
	v_div_scale_f32 v90, null, v89, v89, 1.0
	v_div_scale_f32 v93, s4, 1.0, v89, 1.0
	s_delay_alu instid0(VALU_DEP_2) | instskip(SKIP_2) | instid1(VALU_DEP_1)
	v_rcp_f32_e32 v91, v90
	s_waitcnt_depctr 0xfff
	v_fma_f32 v92, -v90, v91, 1.0
	v_dual_fmac_f32 v91, v92, v91 :: v_dual_cndmask_b32 v92, v99, v98
	v_cmp_eq_u32_e32 vcc_lo, 3, v66
	s_delay_alu instid0(VALU_DEP_2) | instskip(NEXT) | instid1(VALU_DEP_3)
	v_mul_f32_e32 v95, v93, v91
	v_cndmask_b32_e64 v92, v92, v100, s3
	v_cmp_eq_u32_e64 s3, 4, v66
	s_delay_alu instid0(VALU_DEP_3) | instskip(NEXT) | instid1(VALU_DEP_3)
	v_fma_f32 v97, -v90, v95, v93
	v_cndmask_b32_e32 v92, v92, v101, vcc_lo
	v_cmp_eq_u32_e32 vcc_lo, 5, v66
	s_delay_alu instid0(VALU_DEP_3) | instskip(NEXT) | instid1(VALU_DEP_3)
	v_fmac_f32_e32 v95, v97, v91
	v_cndmask_b32_e64 v92, v92, v96, s3
	v_cmp_eq_u32_e64 s3, 6, v66
	s_delay_alu instid0(VALU_DEP_3) | instskip(NEXT) | instid1(VALU_DEP_3)
	v_fma_f32 v90, -v90, v95, v93
	v_cndmask_b32_e32 v92, v92, v94, vcc_lo
	s_mov_b32 vcc_lo, s4
	s_delay_alu instid0(VALU_DEP_2) | instskip(NEXT) | instid1(VALU_DEP_2)
	v_div_fmas_f32 v90, v90, v91, v95
	v_cndmask_b32_e64 v81, v92, v81, s3
	s_mov_b32 s3, exec_lo
	s_delay_alu instid0(VALU_DEP_2) | instskip(NEXT) | instid1(VALU_DEP_2)
	v_div_fixup_f32 v89, v90, v89, 1.0
	v_cndmask_b32_e64 v81, v81, v88, s5
	s_delay_alu instid0(VALU_DEP_1) | instskip(NEXT) | instid1(VALU_DEP_1)
	v_mul_f32_e32 v81, v81, v89
	v_mul_f32_e32 v83, v81, v83
	;; [unrolled: 1-line block ×7, first 2 shown]
	v_dual_mul_f32 v85, v81, v82 :: v_dual_and_b32 v90, 0x7f800000, v89
	v_mul_f32_e32 v84, v81, v75
                                        ; implicit-def: $vgpr75
	s_delay_alu instid0(VALU_DEP_2)
	v_cmpx_ne_u32_e32 0x7f800000, v90
	s_xor_b32 s3, exec_lo, s3
; %bb.12:
	v_bfe_u32 v75, v89, 16, 1
	s_delay_alu instid0(VALU_DEP_1)
	v_add3_u32 v75, v89, v75, 0x7fff
                                        ; implicit-def: $vgpr89
; %bb.13:
	s_and_not1_saveexec_b32 s3, s3
; %bb.14:
	v_and_b32_e32 v75, 0xffff, v89
	v_or_b32_e32 v82, 0x10000, v89
	s_delay_alu instid0(VALU_DEP_2) | instskip(NEXT) | instid1(VALU_DEP_2)
	v_cmp_eq_u32_e32 vcc_lo, 0, v75
	v_cndmask_b32_e32 v75, v82, v89, vcc_lo
; %bb.15:
	s_or_b32 exec_lo, exec_lo, s3
	v_and_b32_e32 v82, 0x7f800000, v84
	s_delay_alu instid0(VALU_DEP_1) | instskip(SKIP_1) | instid1(SALU_CYCLE_1)
	v_cmp_ne_u32_e32 vcc_lo, 0x7f800000, v82
                                        ; implicit-def: $vgpr82
	s_and_saveexec_b32 s3, vcc_lo
	s_xor_b32 s3, exec_lo, s3
; %bb.16:
	v_bfe_u32 v82, v84, 16, 1
	s_delay_alu instid0(VALU_DEP_1)
	v_add3_u32 v82, v84, v82, 0x7fff
                                        ; implicit-def: $vgpr84
; %bb.17:
	s_and_not1_saveexec_b32 s3, s3
; %bb.18:
	v_and_b32_e32 v82, 0xffff, v84
	v_or_b32_e32 v89, 0x10000, v84
	s_delay_alu instid0(VALU_DEP_2) | instskip(NEXT) | instid1(VALU_DEP_2)
	v_cmp_eq_u32_e32 vcc_lo, 0, v82
	v_cndmask_b32_e32 v82, v89, v84, vcc_lo
; %bb.19:
	s_or_b32 exec_lo, exec_lo, s3
	v_and_b32_e32 v84, 0x7f800000, v85
	s_delay_alu instid0(VALU_DEP_1) | instskip(SKIP_1) | instid1(SALU_CYCLE_1)
	v_cmp_ne_u32_e32 vcc_lo, 0x7f800000, v84
                                        ; implicit-def: $vgpr84
	s_and_saveexec_b32 s3, vcc_lo
	s_xor_b32 s3, exec_lo, s3
; %bb.20:
	v_bfe_u32 v84, v85, 16, 1
	s_delay_alu instid0(VALU_DEP_1)
	v_add3_u32 v84, v85, v84, 0x7fff
                                        ; implicit-def: $vgpr85
; %bb.21:
	s_and_not1_saveexec_b32 s3, s3
; %bb.22:
	v_and_b32_e32 v84, 0xffff, v85
	v_or_b32_e32 v89, 0x10000, v85
	s_delay_alu instid0(VALU_DEP_2) | instskip(NEXT) | instid1(VALU_DEP_2)
	v_cmp_eq_u32_e32 vcc_lo, 0, v84
	v_cndmask_b32_e32 v84, v89, v85, vcc_lo
; %bb.23:
	s_or_b32 exec_lo, exec_lo, s3
	v_and_b32_e32 v85, 0x7f800000, v88
	s_delay_alu instid0(VALU_DEP_1) | instskip(SKIP_1) | instid1(SALU_CYCLE_1)
	v_cmp_ne_u32_e32 vcc_lo, 0x7f800000, v85
                                        ; implicit-def: $vgpr85
	s_and_saveexec_b32 s3, vcc_lo
	s_xor_b32 s3, exec_lo, s3
; %bb.24:
	v_bfe_u32 v85, v88, 16, 1
	s_delay_alu instid0(VALU_DEP_1)
	v_add3_u32 v85, v88, v85, 0x7fff
                                        ; implicit-def: $vgpr88
; %bb.25:
	s_and_not1_saveexec_b32 s3, s3
; %bb.26:
	v_and_b32_e32 v85, 0xffff, v88
	v_or_b32_e32 v89, 0x10000, v88
	s_delay_alu instid0(VALU_DEP_2) | instskip(NEXT) | instid1(VALU_DEP_2)
	v_cmp_eq_u32_e32 vcc_lo, 0, v85
	v_cndmask_b32_e32 v85, v89, v88, vcc_lo
; %bb.27:
	s_or_b32 exec_lo, exec_lo, s3
	v_and_b32_e32 v88, 0x7f800000, v87
	s_delay_alu instid0(VALU_DEP_1) | instskip(SKIP_1) | instid1(SALU_CYCLE_1)
	v_cmp_ne_u32_e32 vcc_lo, 0x7f800000, v88
                                        ; implicit-def: $vgpr88
	s_and_saveexec_b32 s3, vcc_lo
	s_xor_b32 s3, exec_lo, s3
; %bb.28:
	v_bfe_u32 v88, v87, 16, 1
	s_delay_alu instid0(VALU_DEP_1)
	v_add3_u32 v88, v87, v88, 0x7fff
                                        ; implicit-def: $vgpr87
; %bb.29:
	s_and_not1_saveexec_b32 s3, s3
; %bb.30:
	v_and_b32_e32 v88, 0xffff, v87
	v_or_b32_e32 v89, 0x10000, v87
	s_delay_alu instid0(VALU_DEP_2) | instskip(NEXT) | instid1(VALU_DEP_2)
	v_cmp_eq_u32_e32 vcc_lo, 0, v88
	v_cndmask_b32_e32 v88, v89, v87, vcc_lo
; %bb.31:
	s_or_b32 exec_lo, exec_lo, s3
	v_and_b32_e32 v87, 0x7f800000, v86
	s_delay_alu instid0(VALU_DEP_1) | instskip(SKIP_1) | instid1(SALU_CYCLE_1)
	v_cmp_ne_u32_e32 vcc_lo, 0x7f800000, v87
                                        ; implicit-def: $vgpr87
	s_and_saveexec_b32 s3, vcc_lo
	s_xor_b32 s3, exec_lo, s3
; %bb.32:
	v_bfe_u32 v87, v86, 16, 1
	s_delay_alu instid0(VALU_DEP_1)
	v_add3_u32 v87, v86, v87, 0x7fff
                                        ; implicit-def: $vgpr86
; %bb.33:
	s_and_not1_saveexec_b32 s3, s3
; %bb.34:
	v_and_b32_e32 v87, 0xffff, v86
	v_or_b32_e32 v89, 0x10000, v86
	s_delay_alu instid0(VALU_DEP_2) | instskip(NEXT) | instid1(VALU_DEP_2)
	v_cmp_eq_u32_e32 vcc_lo, 0, v87
	v_cndmask_b32_e32 v87, v89, v86, vcc_lo
; %bb.35:
	s_or_b32 exec_lo, exec_lo, s3
	v_and_b32_e32 v86, 0x7f800000, v83
	s_delay_alu instid0(VALU_DEP_1) | instskip(SKIP_1) | instid1(SALU_CYCLE_1)
	v_cmp_ne_u32_e32 vcc_lo, 0x7f800000, v86
                                        ; implicit-def: $vgpr86
	s_and_saveexec_b32 s3, vcc_lo
	s_xor_b32 s3, exec_lo, s3
; %bb.36:
	v_bfe_u32 v86, v83, 16, 1
	s_delay_alu instid0(VALU_DEP_1)
	v_add3_u32 v86, v83, v86, 0x7fff
                                        ; implicit-def: $vgpr83
; %bb.37:
	s_and_not1_saveexec_b32 s3, s3
; %bb.38:
	v_and_b32_e32 v86, 0xffff, v83
	v_or_b32_e32 v89, 0x10000, v83
	s_delay_alu instid0(VALU_DEP_2) | instskip(NEXT) | instid1(VALU_DEP_2)
	v_cmp_eq_u32_e32 vcc_lo, 0, v86
	v_cndmask_b32_e32 v86, v89, v83, vcc_lo
; %bb.39:
	s_or_b32 exec_lo, exec_lo, s3
	v_and_b32_e32 v83, 0x7f800000, v79
	s_delay_alu instid0(VALU_DEP_1) | instskip(SKIP_1) | instid1(SALU_CYCLE_1)
	v_cmp_ne_u32_e32 vcc_lo, 0x7f800000, v83
                                        ; implicit-def: $vgpr83
	s_and_saveexec_b32 s3, vcc_lo
	s_xor_b32 s3, exec_lo, s3
; %bb.40:
	v_bfe_u32 v83, v79, 16, 1
	s_delay_alu instid0(VALU_DEP_1)
	v_add3_u32 v83, v79, v83, 0x7fff
                                        ; implicit-def: $vgpr79
; %bb.41:
	s_and_not1_saveexec_b32 s3, s3
; %bb.42:
	v_and_b32_e32 v83, 0xffff, v79
	v_or_b32_e32 v89, 0x10000, v79
	s_delay_alu instid0(VALU_DEP_2) | instskip(NEXT) | instid1(VALU_DEP_2)
	v_cmp_eq_u32_e32 vcc_lo, 0, v83
	v_cndmask_b32_e32 v83, v89, v79, vcc_lo
; %bb.43:
	s_or_b32 exec_lo, exec_lo, s3
	s_load_b64 s[36:37], s[0:1], 0x94
	v_lshlrev_b32_e32 v90, 4, v74
	s_delay_alu instid0(VALU_DEP_2)
	v_perm_b32 v89, v83, v86, 0x7060302
	v_lshlrev_b32_e32 v79, 6, v65
	v_dual_mul_f32 v76, v81, v76 :: v_dual_lshlrev_b32 v65, 11, v66
	v_perm_b32 v86, v82, v75, 0x7060302
	v_mul_f32_e32 v82, v81, v70
	v_perm_b32 v88, v87, v88, 0x7060302
	v_perm_b32 v87, v85, v84, 0x7060302
	v_or3_b32 v75, v90, v65, v79
	v_mul_f32_e32 v65, v81, v80
	v_mul_f32_e32 v70, v81, v78
	;; [unrolled: 1-line block ×3, first 2 shown]
	v_dual_mul_f32 v80, v81, v72 :: v_dual_and_b32 v83, 0x7f800000, v82
	v_mul_f32_e32 v78, v81, v71
	v_mul_f32_e32 v72, v81, v69
	s_mov_b32 s3, exec_lo
	ds_store_b128 v75, v[86:89]
                                        ; implicit-def: $vgpr69
	v_cmpx_ne_u32_e32 0x7f800000, v83
	s_xor_b32 s3, exec_lo, s3
; %bb.44:
	v_bfe_u32 v69, v82, 16, 1
	s_delay_alu instid0(VALU_DEP_1)
	v_add3_u32 v69, v82, v69, 0x7fff
                                        ; implicit-def: $vgpr82
; %bb.45:
	s_and_not1_saveexec_b32 s3, s3
; %bb.46:
	v_and_b32_e32 v69, 0xffff, v82
	v_or_b32_e32 v71, 0x10000, v82
	s_delay_alu instid0(VALU_DEP_2) | instskip(NEXT) | instid1(VALU_DEP_2)
	v_cmp_eq_u32_e32 vcc_lo, 0, v69
	v_cndmask_b32_e32 v69, v71, v82, vcc_lo
; %bb.47:
	s_or_b32 exec_lo, exec_lo, s3
	v_and_b32_e32 v71, 0x7f800000, v72
	s_delay_alu instid0(VALU_DEP_1) | instskip(SKIP_1) | instid1(SALU_CYCLE_1)
	v_cmp_ne_u32_e32 vcc_lo, 0x7f800000, v71
                                        ; implicit-def: $vgpr71
	s_and_saveexec_b32 s3, vcc_lo
	s_xor_b32 s3, exec_lo, s3
; %bb.48:
	v_bfe_u32 v71, v72, 16, 1
	s_delay_alu instid0(VALU_DEP_1)
	v_add3_u32 v71, v72, v71, 0x7fff
                                        ; implicit-def: $vgpr72
; %bb.49:
	s_and_not1_saveexec_b32 s3, s3
; %bb.50:
	v_and_b32_e32 v71, 0xffff, v72
	v_or_b32_e32 v81, 0x10000, v72
	s_delay_alu instid0(VALU_DEP_2) | instskip(NEXT) | instid1(VALU_DEP_2)
	v_cmp_eq_u32_e32 vcc_lo, 0, v71
	v_cndmask_b32_e32 v71, v81, v72, vcc_lo
; %bb.51:
	s_or_b32 exec_lo, exec_lo, s3
	v_and_b32_e32 v72, 0x7f800000, v78
	s_delay_alu instid0(VALU_DEP_1) | instskip(SKIP_1) | instid1(SALU_CYCLE_1)
	v_cmp_ne_u32_e32 vcc_lo, 0x7f800000, v72
                                        ; implicit-def: $vgpr72
	s_and_saveexec_b32 s3, vcc_lo
	s_xor_b32 s3, exec_lo, s3
; %bb.52:
	v_bfe_u32 v72, v78, 16, 1
	s_delay_alu instid0(VALU_DEP_1)
	v_add3_u32 v72, v78, v72, 0x7fff
                                        ; implicit-def: $vgpr78
; %bb.53:
	s_and_not1_saveexec_b32 s3, s3
; %bb.54:
	v_and_b32_e32 v72, 0xffff, v78
	v_or_b32_e32 v81, 0x10000, v78
	s_delay_alu instid0(VALU_DEP_2) | instskip(NEXT) | instid1(VALU_DEP_2)
	v_cmp_eq_u32_e32 vcc_lo, 0, v72
	v_cndmask_b32_e32 v72, v81, v78, vcc_lo
; %bb.55:
	s_or_b32 exec_lo, exec_lo, s3
	v_and_b32_e32 v78, 0x7f800000, v80
	s_delay_alu instid0(VALU_DEP_1) | instskip(SKIP_1) | instid1(SALU_CYCLE_1)
	v_cmp_ne_u32_e32 vcc_lo, 0x7f800000, v78
                                        ; implicit-def: $vgpr78
	s_and_saveexec_b32 s3, vcc_lo
	s_xor_b32 s3, exec_lo, s3
; %bb.56:
	v_bfe_u32 v78, v80, 16, 1
	s_delay_alu instid0(VALU_DEP_1)
	v_add3_u32 v78, v80, v78, 0x7fff
                                        ; implicit-def: $vgpr80
; %bb.57:
	s_and_not1_saveexec_b32 s3, s3
; %bb.58:
	v_and_b32_e32 v78, 0xffff, v80
	v_or_b32_e32 v81, 0x10000, v80
	s_delay_alu instid0(VALU_DEP_2) | instskip(NEXT) | instid1(VALU_DEP_2)
	v_cmp_eq_u32_e32 vcc_lo, 0, v78
	v_cndmask_b32_e32 v78, v81, v80, vcc_lo
; %bb.59:
	s_or_b32 exec_lo, exec_lo, s3
	v_and_b32_e32 v80, 0x7f800000, v76
	s_delay_alu instid0(VALU_DEP_1) | instskip(SKIP_1) | instid1(SALU_CYCLE_1)
	v_cmp_ne_u32_e32 vcc_lo, 0x7f800000, v80
                                        ; implicit-def: $vgpr80
	s_and_saveexec_b32 s3, vcc_lo
	s_xor_b32 s3, exec_lo, s3
; %bb.60:
	v_bfe_u32 v80, v76, 16, 1
	s_delay_alu instid0(VALU_DEP_1)
	v_add3_u32 v80, v76, v80, 0x7fff
                                        ; implicit-def: $vgpr76
; %bb.61:
	s_and_not1_saveexec_b32 s3, s3
; %bb.62:
	v_and_b32_e32 v80, 0xffff, v76
	v_or_b32_e32 v81, 0x10000, v76
	s_delay_alu instid0(VALU_DEP_2) | instskip(NEXT) | instid1(VALU_DEP_2)
	v_cmp_eq_u32_e32 vcc_lo, 0, v80
	v_cndmask_b32_e32 v80, v81, v76, vcc_lo
; %bb.63:
	s_or_b32 exec_lo, exec_lo, s3
	v_and_b32_e32 v76, 0x7f800000, v77
	s_delay_alu instid0(VALU_DEP_1) | instskip(SKIP_1) | instid1(SALU_CYCLE_1)
	v_cmp_ne_u32_e32 vcc_lo, 0x7f800000, v76
                                        ; implicit-def: $vgpr76
	s_and_saveexec_b32 s3, vcc_lo
	s_xor_b32 s3, exec_lo, s3
; %bb.64:
	v_bfe_u32 v76, v77, 16, 1
	s_delay_alu instid0(VALU_DEP_1)
	v_add3_u32 v76, v77, v76, 0x7fff
                                        ; implicit-def: $vgpr77
; %bb.65:
	s_and_not1_saveexec_b32 s3, s3
; %bb.66:
	v_and_b32_e32 v76, 0xffff, v77
	v_or_b32_e32 v81, 0x10000, v77
	s_delay_alu instid0(VALU_DEP_2) | instskip(NEXT) | instid1(VALU_DEP_2)
	v_cmp_eq_u32_e32 vcc_lo, 0, v76
	v_cndmask_b32_e32 v76, v81, v77, vcc_lo
; %bb.67:
	s_or_b32 exec_lo, exec_lo, s3
	v_and_b32_e32 v77, 0x7f800000, v70
	s_delay_alu instid0(VALU_DEP_1) | instskip(SKIP_1) | instid1(SALU_CYCLE_1)
	v_cmp_ne_u32_e32 vcc_lo, 0x7f800000, v77
                                        ; implicit-def: $vgpr77
	s_and_saveexec_b32 s3, vcc_lo
	s_xor_b32 s3, exec_lo, s3
; %bb.68:
	v_bfe_u32 v77, v70, 16, 1
	s_delay_alu instid0(VALU_DEP_1)
	v_add3_u32 v77, v70, v77, 0x7fff
                                        ; implicit-def: $vgpr70
; %bb.69:
	s_and_not1_saveexec_b32 s3, s3
; %bb.70:
	v_and_b32_e32 v77, 0xffff, v70
	v_or_b32_e32 v81, 0x10000, v70
	s_delay_alu instid0(VALU_DEP_2) | instskip(NEXT) | instid1(VALU_DEP_2)
	v_cmp_eq_u32_e32 vcc_lo, 0, v77
	v_cndmask_b32_e32 v77, v81, v70, vcc_lo
; %bb.71:
	s_or_b32 exec_lo, exec_lo, s3
	v_and_b32_e32 v70, 0x7f800000, v65
	s_delay_alu instid0(VALU_DEP_1) | instskip(SKIP_1) | instid1(SALU_CYCLE_1)
	v_cmp_ne_u32_e32 vcc_lo, 0x7f800000, v70
                                        ; implicit-def: $vgpr70
	s_and_saveexec_b32 s3, vcc_lo
	s_xor_b32 s3, exec_lo, s3
; %bb.72:
	v_bfe_u32 v70, v65, 16, 1
	s_delay_alu instid0(VALU_DEP_1)
	v_add3_u32 v70, v65, v70, 0x7fff
                                        ; implicit-def: $vgpr65
; %bb.73:
	s_and_not1_saveexec_b32 s3, s3
; %bb.74:
	v_and_b32_e32 v70, 0xffff, v65
	v_or_b32_e32 v81, 0x10000, v65
	s_delay_alu instid0(VALU_DEP_2) | instskip(NEXT) | instid1(VALU_DEP_2)
	v_cmp_eq_u32_e32 vcc_lo, 0, v70
	v_cndmask_b32_e32 v70, v81, v65, vcc_lo
; %bb.75:
	s_or_b32 exec_lo, exec_lo, s3
	s_delay_alu instid0(VALU_DEP_1)
	v_perm_b32 v85, v70, v77, 0x7060302
	v_perm_b32 v84, v76, v80, 0x7060302
	;; [unrolled: 1-line block ×4, first 2 shown]
	v_lshl_or_b32 v81, v66, 11, v79
	ds_store_b128 v75, v[82:85] offset:1024
	s_waitcnt lgkmcnt(0)
	s_barrier
	buffer_gl0_inv
	ds_load_b128 v[69:72], v81
	ds_load_b128 v[82:85], v81 offset:16
	s_waitcnt lgkmcnt(1)
	v_lshrrev_b32_e32 v65, 16, v69
	v_lshlrev_b32_e32 v77, 2, v74
	v_lshrrev_b32_e32 v66, 16, v70
	s_waitcnt lgkmcnt(0)
	v_lshrrev_b32_e32 v90, 16, v82
	v_lshrrev_b32_e32 v94, 16, v71
	;; [unrolled: 1-line block ×3, first 2 shown]
	v_cmp_eq_u32_e32 vcc_lo, 1, v77
	v_lshrrev_b32_e32 v95, 16, v72
	v_lshrrev_b32_e32 v97, 16, v84
	;; [unrolled: 1-line block ×3, first 2 shown]
	v_cndmask_b32_e32 v80, v69, v65, vcc_lo
	v_or_b32_e32 v78, 1, v77
	v_cmp_eq_u32_e64 s4, 2, v77
	v_cmp_eq_u32_e64 s7, 3, v77
	;; [unrolled: 1-line block ×3, first 2 shown]
	v_or_b32_e32 v76, 2, v77
	v_cmp_eq_u32_e64 s3, 1, v78
	v_cndmask_b32_e64 v80, v80, v70, s4
	v_cmp_eq_u32_e64 s6, 2, v78
	v_cmp_eq_u32_e64 s8, 3, v78
	;; [unrolled: 1-line block ×3, first 2 shown]
	v_cndmask_b32_e64 v87, v69, v65, s3
	v_cndmask_b32_e64 v80, v80, v66, s7
	;; [unrolled: 1-line block ×3, first 2 shown]
	v_cmp_eq_u32_e64 s11, 4, v78
	v_cmp_eq_u32_e64 s5, 1, v76
	v_cndmask_b32_e64 v87, v87, v70, s6
	v_cndmask_b32_e64 v80, v80, v71, s9
	;; [unrolled: 1-line block ×3, first 2 shown]
	v_cmp_eq_u32_e64 s12, 6, v77
	v_cmp_eq_u32_e64 s13, 5, v78
	v_cndmask_b32_e64 v87, v87, v66, s8
	v_cndmask_b32_e64 v80, v80, v94, s10
	;; [unrolled: 1-line block ×4, first 2 shown]
	v_cmp_eq_u32_e64 s16, 7, v77
	v_cndmask_b32_e64 v87, v87, v71, s11
	v_cndmask_b32_e64 v80, v80, v72, s12
	v_cmp_eq_u32_e64 s17, 6, v78
	v_cmp_eq_u32_e64 s18, 2, v76
	v_cndmask_b32_e64 v88, v88, v84, s11
	v_cndmask_b32_e64 v87, v87, v94, s13
	;; [unrolled: 1-line block ×3, first 2 shown]
	v_cmp_eq_u32_e64 s19, 7, v78
	v_cndmask_b32_e64 v80, v89, v70, s18
	v_cmp_eq_u32_e64 s20, 3, v76
	v_cndmask_b32_e64 v87, v87, v72, s17
	v_cmp_eq_u32_e64 s21, 4, v76
	v_cmp_eq_u32_e64 s23, 5, v76
	v_cmp_eq_u32_e64 s25, 6, v76
	v_cmp_eq_u32_e64 s28, 7, v76
	v_cndmask_b32_e64 v101, v87, v95, s19
	v_cndmask_b32_e64 v87, v88, v97, s13
	;; [unrolled: 1-line block ×3, first 2 shown]
	v_or_b32_e32 v80, 3, v77
	s_delay_alu instid0(VALU_DEP_3) | instskip(NEXT) | instid1(VALU_DEP_3)
	v_cndmask_b32_e64 v102, v87, v85, s17
	v_cndmask_b32_e64 v91, v88, v71, s21
	s_delay_alu instid0(VALU_DEP_3)
	v_cmp_eq_u32_e64 s22, 1, v80
	v_cmp_eq_u32_e64 s24, 2, v80
	;; [unrolled: 1-line block ×5, first 2 shown]
	v_cndmask_b32_e64 v65, v69, v65, s22
	v_cmp_eq_u32_e64 s30, 6, v80
	v_cndmask_b32_e64 v103, v91, v94, s23
	s_delay_alu instid0(VALU_DEP_3) | instskip(NEXT) | instid1(VALU_DEP_1)
	v_cndmask_b32_e64 v65, v65, v70, s24
	v_cndmask_b32_e64 v65, v65, v66, s26
	s_delay_alu instid0(VALU_DEP_3) | instskip(NEXT) | instid1(VALU_DEP_2)
	v_cndmask_b32_e64 v66, v103, v72, s25
	v_cndmask_b32_e64 v65, v65, v71, s27
	s_delay_alu instid0(VALU_DEP_2) | instskip(NEXT) | instid1(VALU_DEP_2)
	v_cndmask_b32_e64 v66, v66, v95, s28
	v_cndmask_b32_e64 v65, v65, v94, s29
	s_delay_alu instid0(VALU_DEP_1) | instskip(SKIP_1) | instid1(VALU_DEP_1)
	v_cndmask_b32_e64 v65, v65, v72, s30
	v_cndmask_b32_e32 v86, v82, v90, vcc_lo
	v_cndmask_b32_e64 v86, v86, v83, s4
	s_delay_alu instid0(VALU_DEP_1) | instskip(NEXT) | instid1(VALU_DEP_1)
	v_cndmask_b32_e64 v86, v86, v96, s7
	v_cndmask_b32_e64 v86, v86, v84, s9
	s_delay_alu instid0(VALU_DEP_1) | instskip(NEXT) | instid1(VALU_DEP_1)
	v_cndmask_b32_e64 v86, v86, v97, s10
	v_cndmask_b32_e64 v86, v86, v85, s12
	s_delay_alu instid0(VALU_DEP_1) | instskip(SKIP_2) | instid1(VALU_DEP_2)
	v_cndmask_b32_e64 v100, v86, v98, s16
	v_cndmask_b32_e64 v86, v82, v90, s5
	;; [unrolled: 1-line block ×4, first 2 shown]
	s_delay_alu instid0(VALU_DEP_2) | instskip(SKIP_1) | instid1(VALU_DEP_3)
	v_cndmask_b32_e64 v70, v82, v83, s24
	v_cndmask_b32_e64 v82, v102, v98, s19
	v_cndmask_b32_e64 v92, v86, v96, s20
	ds_load_b128 v[86:89], v81 offset:1024
	v_cndmask_b32_e64 v70, v70, v96, s26
	v_cndmask_b32_e64 v69, v92, v84, s21
	ds_load_b128 v[90:93], v81 offset:1040
	v_cndmask_b32_e64 v70, v70, v84, s27
	v_cndmask_b32_e64 v69, v69, v97, s23
	s_delay_alu instid0(VALU_DEP_2) | instskip(NEXT) | instid1(VALU_DEP_2)
	v_cndmask_b32_e64 v70, v70, v97, s29
	v_cndmask_b32_e64 v69, v69, v85, s25
	s_delay_alu instid0(VALU_DEP_2) | instskip(NEXT) | instid1(VALU_DEP_2)
	v_cndmask_b32_e64 v70, v70, v85, s30
	v_cndmask_b32_e64 v69, v69, v98, s28
	s_waitcnt lgkmcnt(1)
	v_lshrrev_b32_e32 v83, 16, v86
	v_lshrrev_b32_e32 v94, 16, v87
	v_lshrrev_b32_e32 v102, 16, v89
	s_delay_alu instid0(VALU_DEP_3) | instskip(SKIP_3) | instid1(VALU_DEP_3)
	v_cndmask_b32_e32 v71, v86, v83, vcc_lo
	s_waitcnt lgkmcnt(0)
	v_lshrrev_b32_e32 v84, 16, v90
	v_cndmask_b32_e64 v96, v86, v83, s3
	v_cndmask_b32_e64 v71, v71, v87, s4
	s_delay_alu instid0(VALU_DEP_3) | instskip(NEXT) | instid1(VALU_DEP_3)
	v_cndmask_b32_e32 v97, v90, v84, vcc_lo
	v_cndmask_b32_e64 v72, v96, v87, s6
	v_lshrrev_b32_e32 v96, 16, v91
	v_cmp_eq_u32_e32 vcc_lo, 7, v80
	v_cndmask_b32_e64 v71, v71, v94, s7
	v_cndmask_b32_e64 v85, v97, v91, s4
	;; [unrolled: 1-line block ×3, first 2 shown]
	v_lshrrev_b32_e32 v97, 16, v88
	v_cndmask_b32_e32 v65, v65, v95, vcc_lo
	v_cndmask_b32_e64 v71, v71, v88, s9
	v_cndmask_b32_e64 v85, v85, v96, s7
	v_cndmask_b32_e32 v70, v70, v98, vcc_lo
	v_cndmask_b32_e64 v95, v72, v88, s11
	v_lshrrev_b32_e32 v98, 16, v92
	v_cndmask_b32_e64 v71, v71, v97, s10
	v_cndmask_b32_e64 v85, v85, v92, s9
	v_perm_b32 v72, v70, v65, 0x5040100
	v_cndmask_b32_e64 v65, v95, v97, s13
	v_perm_b32 v70, v82, v101, 0x5040100
	v_cndmask_b32_e64 v95, v71, v89, s12
	v_cndmask_b32_e64 v85, v85, v98, s10
	v_perm_b32 v71, v69, v66, 0x5040100
	v_cndmask_b32_e64 v65, v65, v89, s17
	v_lshrrev_b32_e32 v82, 16, v93
	v_cndmask_b32_e64 v66, v95, v102, s16
	v_cndmask_b32_e64 v69, v85, v93, s12
	;; [unrolled: 1-line block ×34, first 2 shown]
	v_cndmask_b32_e32 v83, v83, v102, vcc_lo
	v_cndmask_b32_e32 v85, v86, v82, vcc_lo
	v_cndmask_b32_e64 v86, v87, v82, s28
	v_cndmask_b32_e64 v87, v84, v82, s19
	;; [unrolled: 1-line block ×3, first 2 shown]
	v_perm_b32 v69, v100, v99, 0x5040100
	v_perm_b32 v85, v85, v83, 0x5040100
	;; [unrolled: 1-line block ×5, first 2 shown]
	s_mov_b32 s3, exec_lo
	ds_store_b128 v75, v[69:72]
	ds_store_b128 v75, v[82:85] offset:1024
	v_cmpx_eq_u32_e32 0, v0
	s_cbranch_execz .LBB1918_77
; %bb.76:
	s_load_b128 s[4:7], s[0:1], 0x58
	s_mul_i32 s8, s37, s34
	v_mov_b32_e32 v65, 0
	s_add_i32 s8, s8, s15
	s_delay_alu instid0(SALU_CYCLE_1) | instskip(NEXT) | instid1(SALU_CYCLE_1)
	s_mul_i32 s8, s8, s36
	s_add_i32 s8, s8, s14
	s_delay_alu instid0(SALU_CYCLE_1) | instskip(NEXT) | instid1(SALU_CYCLE_1)
	s_ashr_i32 s9, s8, 31
	s_lshl_b64 s[8:9], s[8:9], 2
	s_waitcnt lgkmcnt(0)
	s_add_u32 s6, s6, s8
	s_addc_u32 s7, s7, s9
	s_add_u32 s4, s4, s8
	s_addc_u32 s5, s5, s9
	s_clause 0x1
	global_store_b32 v65, v67, s[6:7]
	global_store_b32 v65, v68, s[4:5]
.LBB1918_77:
	s_or_b32 exec_lo, exec_lo, s3
	s_waitcnt lgkmcnt(0)
	s_waitcnt_vscnt null, 0x0
	s_barrier
	buffer_gl0_inv
	ds_load_b128 v[82:85], v79
	ds_load_b128 v[86:89], v79 offset:16
	ds_load_b128 v[94:97], v79 offset:2064
	;; [unrolled: 1-line block ×3, first 2 shown]
	v_mov_b32_e32 v65, 0
	ds_load_b128 v[102:105], v79 offset:4112
	ds_load_b128 v[98:101], v79 offset:4096
	ds_load_b128 v[110:113], v79 offset:6160
	ds_load_b128 v[106:109], v79 offset:6144
	v_mov_b32_e32 v66, v65
	v_mov_b32_e32 v67, v65
	v_mov_b32_e32 v68, v65
	v_mov_b32_e32 v69, v65
	v_mov_b32_e32 v70, v65
	v_mov_b32_e32 v71, v65
	v_mov_b32_e32 v72, v65
	s_waitcnt lgkmcnt(6)
	s_delay_alu instid0(VALU_DEP_1)
	v_wmma_f32_16x16x16_bf16 v[65:72], v[49:56], v[82:89], v[65:72]
	ds_load_b128 v[53:56], v79 offset:8208
	ds_load_b128 v[49:52], v79 offset:8192
	s_waitcnt lgkmcnt(6)
	v_wmma_f32_16x16x16_bf16 v[65:72], v[41:48], v[90:97], v[65:72]
	ds_load_b128 v[45:48], v79 offset:10256
	ds_load_b128 v[41:44], v79 offset:10240
	s_waitcnt lgkmcnt(6)
	v_wmma_f32_16x16x16_bf16 v[65:72], v[33:40], v[98:105], v[65:72]
	ds_load_b128 v[37:40], v79 offset:12304
	ds_load_b128 v[33:36], v79 offset:12288
	s_waitcnt lgkmcnt(6)
	v_wmma_f32_16x16x16_bf16 v[65:72], v[25:32], v[106:113], v[65:72]
	ds_load_b128 v[29:32], v79 offset:14352
	ds_load_b128 v[25:28], v79 offset:14336
	s_waitcnt lgkmcnt(6)
	v_wmma_f32_16x16x16_bf16 v[65:72], v[1:8], v[49:56], v[65:72]
	s_waitcnt lgkmcnt(4)
	s_delay_alu instid0(VALU_DEP_1) | instskip(SKIP_1) | instid1(VALU_DEP_1)
	v_wmma_f32_16x16x16_bf16 v[65:72], v[9:16], v[41:48], v[65:72]
	s_waitcnt lgkmcnt(2)
	v_wmma_f32_16x16x16_bf16 v[65:72], v[17:24], v[33:40], v[65:72]
	s_waitcnt lgkmcnt(0)
	s_delay_alu instid0(VALU_DEP_1) | instskip(NEXT) | instid1(VALU_DEP_1)
	v_wmma_f32_16x16x16_bf16 v[65:72], v[57:64], v[25:32], v[65:72]
	v_and_b32_e32 v1, 0x7f800000, v65
	s_delay_alu instid0(VALU_DEP_1) | instskip(SKIP_1) | instid1(SALU_CYCLE_1)
	v_cmp_ne_u32_e32 vcc_lo, 0x7f800000, v1
                                        ; implicit-def: $vgpr1
	s_and_saveexec_b32 s3, vcc_lo
	s_xor_b32 s3, exec_lo, s3
; %bb.78:
	v_bfe_u32 v1, v65, 16, 1
	s_delay_alu instid0(VALU_DEP_1)
	v_add3_u32 v1, v65, v1, 0x7fff
; %bb.79:
	s_and_not1_saveexec_b32 s3, s3
; %bb.80:
	v_and_b32_e32 v1, 0xffff, v65
	v_or_b32_e32 v2, 0x10000, v65
	s_delay_alu instid0(VALU_DEP_2) | instskip(NEXT) | instid1(VALU_DEP_2)
	v_cmp_eq_u32_e32 vcc_lo, 0, v1
	v_cndmask_b32_e32 v1, v2, v65, vcc_lo
; %bb.81:
	s_or_b32 exec_lo, exec_lo, s3
	v_and_b32_e32 v2, 0x7f800000, v66
	s_delay_alu instid0(VALU_DEP_1) | instskip(SKIP_1) | instid1(SALU_CYCLE_1)
	v_cmp_ne_u32_e32 vcc_lo, 0x7f800000, v2
                                        ; implicit-def: $vgpr2
	s_and_saveexec_b32 s3, vcc_lo
	s_xor_b32 s3, exec_lo, s3
; %bb.82:
	v_bfe_u32 v2, v66, 16, 1
	s_delay_alu instid0(VALU_DEP_1)
	v_add3_u32 v2, v66, v2, 0x7fff
; %bb.83:
	s_and_not1_saveexec_b32 s3, s3
; %bb.84:
	v_and_b32_e32 v2, 0xffff, v66
	v_or_b32_e32 v3, 0x10000, v66
	s_delay_alu instid0(VALU_DEP_2) | instskip(NEXT) | instid1(VALU_DEP_2)
	v_cmp_eq_u32_e32 vcc_lo, 0, v2
	v_cndmask_b32_e32 v2, v3, v66, vcc_lo
; %bb.85:
	s_or_b32 exec_lo, exec_lo, s3
	v_and_b32_e32 v3, 0x7f800000, v67
	s_delay_alu instid0(VALU_DEP_1) | instskip(SKIP_1) | instid1(SALU_CYCLE_1)
	v_cmp_ne_u32_e32 vcc_lo, 0x7f800000, v3
                                        ; implicit-def: $vgpr3
	s_and_saveexec_b32 s3, vcc_lo
	s_xor_b32 s3, exec_lo, s3
; %bb.86:
	v_bfe_u32 v3, v67, 16, 1
	s_delay_alu instid0(VALU_DEP_1)
	v_add3_u32 v3, v67, v3, 0x7fff
; %bb.87:
	s_and_not1_saveexec_b32 s3, s3
; %bb.88:
	v_and_b32_e32 v3, 0xffff, v67
	v_or_b32_e32 v4, 0x10000, v67
	s_delay_alu instid0(VALU_DEP_2) | instskip(NEXT) | instid1(VALU_DEP_2)
	v_cmp_eq_u32_e32 vcc_lo, 0, v3
	v_cndmask_b32_e32 v3, v4, v67, vcc_lo
; %bb.89:
	s_or_b32 exec_lo, exec_lo, s3
	v_and_b32_e32 v4, 0x7f800000, v68
	s_delay_alu instid0(VALU_DEP_1) | instskip(SKIP_1) | instid1(SALU_CYCLE_1)
	v_cmp_ne_u32_e32 vcc_lo, 0x7f800000, v4
                                        ; implicit-def: $vgpr4
	s_and_saveexec_b32 s3, vcc_lo
	s_xor_b32 s3, exec_lo, s3
; %bb.90:
	v_bfe_u32 v4, v68, 16, 1
	s_delay_alu instid0(VALU_DEP_1)
	v_add3_u32 v4, v68, v4, 0x7fff
; %bb.91:
	s_and_not1_saveexec_b32 s3, s3
; %bb.92:
	v_and_b32_e32 v4, 0xffff, v68
	v_or_b32_e32 v5, 0x10000, v68
	s_delay_alu instid0(VALU_DEP_2) | instskip(NEXT) | instid1(VALU_DEP_2)
	v_cmp_eq_u32_e32 vcc_lo, 0, v4
	v_cndmask_b32_e32 v4, v5, v68, vcc_lo
; %bb.93:
	s_or_b32 exec_lo, exec_lo, s3
	v_and_b32_e32 v5, 0x7f800000, v69
	s_delay_alu instid0(VALU_DEP_1) | instskip(SKIP_1) | instid1(SALU_CYCLE_1)
	v_cmp_ne_u32_e32 vcc_lo, 0x7f800000, v5
                                        ; implicit-def: $vgpr5
	s_and_saveexec_b32 s3, vcc_lo
	s_xor_b32 s3, exec_lo, s3
; %bb.94:
	v_bfe_u32 v5, v69, 16, 1
	s_delay_alu instid0(VALU_DEP_1)
	v_add3_u32 v5, v69, v5, 0x7fff
; %bb.95:
	s_and_not1_saveexec_b32 s3, s3
; %bb.96:
	v_and_b32_e32 v5, 0xffff, v69
	v_or_b32_e32 v6, 0x10000, v69
	s_delay_alu instid0(VALU_DEP_2) | instskip(NEXT) | instid1(VALU_DEP_2)
	v_cmp_eq_u32_e32 vcc_lo, 0, v5
	v_cndmask_b32_e32 v5, v6, v69, vcc_lo
; %bb.97:
	s_or_b32 exec_lo, exec_lo, s3
	v_and_b32_e32 v6, 0x7f800000, v70
	s_delay_alu instid0(VALU_DEP_1) | instskip(SKIP_1) | instid1(SALU_CYCLE_1)
	v_cmp_ne_u32_e32 vcc_lo, 0x7f800000, v6
                                        ; implicit-def: $vgpr6
	s_and_saveexec_b32 s3, vcc_lo
	s_xor_b32 s3, exec_lo, s3
; %bb.98:
	v_bfe_u32 v6, v70, 16, 1
	s_delay_alu instid0(VALU_DEP_1)
	v_add3_u32 v6, v70, v6, 0x7fff
; %bb.99:
	s_and_not1_saveexec_b32 s3, s3
; %bb.100:
	v_and_b32_e32 v6, 0xffff, v70
	v_or_b32_e32 v7, 0x10000, v70
	s_delay_alu instid0(VALU_DEP_2) | instskip(NEXT) | instid1(VALU_DEP_2)
	v_cmp_eq_u32_e32 vcc_lo, 0, v6
	v_cndmask_b32_e32 v6, v7, v70, vcc_lo
; %bb.101:
	s_or_b32 exec_lo, exec_lo, s3
	v_and_b32_e32 v7, 0x7f800000, v71
	s_delay_alu instid0(VALU_DEP_1) | instskip(SKIP_1) | instid1(SALU_CYCLE_1)
	v_cmp_ne_u32_e32 vcc_lo, 0x7f800000, v7
                                        ; implicit-def: $vgpr7
	s_and_saveexec_b32 s3, vcc_lo
	s_xor_b32 s3, exec_lo, s3
; %bb.102:
	v_bfe_u32 v7, v71, 16, 1
	s_delay_alu instid0(VALU_DEP_1)
	v_add3_u32 v7, v71, v7, 0x7fff
; %bb.103:
	s_and_not1_saveexec_b32 s3, s3
; %bb.104:
	v_and_b32_e32 v7, 0xffff, v71
	v_or_b32_e32 v8, 0x10000, v71
	s_delay_alu instid0(VALU_DEP_2) | instskip(NEXT) | instid1(VALU_DEP_2)
	v_cmp_eq_u32_e32 vcc_lo, 0, v7
	v_cndmask_b32_e32 v7, v8, v71, vcc_lo
; %bb.105:
	s_or_b32 exec_lo, exec_lo, s3
	v_and_b32_e32 v8, 0x7f800000, v72
	s_delay_alu instid0(VALU_DEP_1) | instskip(SKIP_1) | instid1(SALU_CYCLE_1)
	v_cmp_ne_u32_e32 vcc_lo, 0x7f800000, v8
                                        ; implicit-def: $vgpr8
	s_and_saveexec_b32 s3, vcc_lo
	s_xor_b32 s3, exec_lo, s3
; %bb.106:
	v_bfe_u32 v8, v72, 16, 1
	s_delay_alu instid0(VALU_DEP_1)
	v_add3_u32 v8, v72, v8, 0x7fff
                                        ; implicit-def: $vgpr65_vgpr66_vgpr67_vgpr68_vgpr69_vgpr70_vgpr71_vgpr72
; %bb.107:
	s_and_not1_saveexec_b32 s3, s3
; %bb.108:
	v_and_b32_e32 v8, 0xffff, v72
	v_or_b32_e32 v9, 0x10000, v72
	s_delay_alu instid0(VALU_DEP_2) | instskip(NEXT) | instid1(VALU_DEP_2)
	v_cmp_eq_u32_e32 vcc_lo, 0, v8
	v_cndmask_b32_e32 v8, v9, v72, vcc_lo
; %bb.109:
	s_or_b32 exec_lo, exec_lo, s3
	s_delay_alu instid0(VALU_DEP_1)
	v_perm_b32 v7, v8, v7, 0x7060302
	v_perm_b32 v6, v6, v5, 0x7060302
	;; [unrolled: 1-line block ×4, first 2 shown]
	s_barrier
	buffer_gl0_inv
	v_cmp_eq_u32_e32 vcc_lo, 1, v77
	ds_store_b128 v75, v[4:7]
	s_waitcnt lgkmcnt(0)
	s_barrier
	buffer_gl0_inv
	ds_load_b128 v[1:4], v81
	ds_load_b128 v[5:8], v81 offset:16
	v_cmp_eq_u32_e64 s3, 1, v78
	v_cmp_eq_u32_e64 s4, 2, v77
	;; [unrolled: 1-line block ×5, first 2 shown]
	s_xor_b32 s2, s2, -1
	s_waitcnt lgkmcnt(1)
	v_lshrrev_b32_e32 v9, 16, v1
	s_waitcnt lgkmcnt(0)
	v_lshrrev_b32_e32 v13, 16, v5
	v_lshrrev_b32_e32 v10, 16, v2
	;; [unrolled: 1-line block ×4, first 2 shown]
	v_cndmask_b32_e64 v19, v1, v9, s3
	v_cndmask_b32_e32 v18, v5, v13, vcc_lo
	v_cndmask_b32_e64 v20, v5, v13, s3
	v_cndmask_b32_e32 v17, v1, v9, vcc_lo
	v_cmp_eq_u32_e32 vcc_lo, 2, v78
	v_lshrrev_b32_e32 v15, 16, v7
	v_cmp_eq_u32_e64 s3, 1, v76
	v_lshrrev_b32_e32 v12, 16, v4
	v_lshrrev_b32_e32 v16, 16, v8
	v_cndmask_b32_e32 v20, v20, v6, vcc_lo
	v_cndmask_b32_e64 v17, v17, v2, s4
	v_cndmask_b32_e32 v19, v19, v2, vcc_lo
	v_cndmask_b32_e64 v18, v18, v6, s4
	v_cmp_eq_u32_e32 vcc_lo, 4, v77
	v_cmp_eq_u32_e64 s4, 3, v78
	v_cndmask_b32_e64 v17, v17, v10, s5
	v_cndmask_b32_e64 v21, v1, v9, s3
	;; [unrolled: 1-line block ×5, first 2 shown]
	v_cndmask_b32_e32 v17, v17, v3, vcc_lo
	v_cndmask_b32_e64 v20, v20, v14, s4
	v_cndmask_b32_e32 v18, v18, v7, vcc_lo
	v_cmp_eq_u32_e32 vcc_lo, 4, v78
	v_cmp_eq_u32_e64 s4, 5, v78
	v_cmp_eq_u32_e64 s3, 2, v80
	v_cndmask_b32_e64 v21, v21, v2, s7
	v_cmp_eq_u32_e64 s5, 5, v77
	v_cndmask_b32_e32 v19, v19, v3, vcc_lo
	v_cndmask_b32_e32 v20, v20, v7, vcc_lo
	v_cmp_eq_u32_e32 vcc_lo, 6, v78
	s_delay_alu instid0(VALU_DEP_4) | instskip(NEXT) | instid1(VALU_DEP_4)
	v_cndmask_b32_e64 v17, v17, v11, s5
	v_cndmask_b32_e64 v19, v19, v11, s4
	s_delay_alu instid0(VALU_DEP_4) | instskip(SKIP_1) | instid1(VALU_DEP_3)
	v_cndmask_b32_e64 v20, v20, v15, s4
	v_cmp_eq_u32_e64 s4, 1, v80
	v_cndmask_b32_e32 v19, v19, v4, vcc_lo
	v_cndmask_b32_e64 v18, v18, v15, s5
	s_delay_alu instid0(VALU_DEP_3)
	v_cndmask_b32_e64 v1, v1, v9, s4
	v_cndmask_b32_e64 v5, v5, v13, s4
	v_cmp_eq_u32_e64 s4, 3, v76
	v_cndmask_b32_e64 v13, v22, v6, s7
	v_cmp_eq_u32_e64 s7, 3, v80
	v_cndmask_b32_e64 v1, v1, v2, s3
	v_cndmask_b32_e64 v2, v5, v6, s3
	;; [unrolled: 1-line block ×3, first 2 shown]
	v_cmp_eq_u32_e64 s3, 4, v76
	v_cndmask_b32_e64 v6, v13, v14, s4
	v_cndmask_b32_e64 v1, v1, v10, s7
	v_cmp_eq_u32_e64 s4, 4, v80
	v_cndmask_b32_e64 v2, v2, v14, s7
	v_cndmask_b32_e64 v5, v9, v3, s3
	;; [unrolled: 3-line block ×3, first 2 shown]
	v_cndmask_b32_e64 v2, v2, v7, s4
	v_cmp_eq_u32_e64 s3, 5, v80
	v_cmp_eq_u32_e64 s5, 6, v77
	v_cndmask_b32_e64 v5, v5, v11, s7
	v_cmp_eq_u32_e64 s4, 6, v76
	v_cndmask_b32_e64 v3, v6, v15, s7
	v_cndmask_b32_e64 v1, v1, v11, s3
	v_cmp_eq_u32_e64 s7, 6, v80
	v_cndmask_b32_e64 v2, v2, v15, s3
	v_cndmask_b32_e64 v17, v17, v4, s5
	v_cndmask_b32_e64 v18, v18, v8, s5
	v_cmp_eq_u32_e64 s5, 7, v77
	v_cndmask_b32_e64 v5, v5, v4, s4
	;; [unrolled: 4-line block ×3, first 2 shown]
	v_cmp_eq_u32_e64 s4, 7, v76
	v_cndmask_b32_e32 v4, v20, v8, vcc_lo
	v_cndmask_b32_e64 v17, v17, v12, s5
	v_cndmask_b32_e64 v19, v19, v12, s6
	;; [unrolled: 1-line block ×8, first 2 shown]
	v_cmp_gt_u32_e32 vcc_lo, 32, v0
	v_perm_b32 v4, v2, v1, 0x5040100
	v_perm_b32 v3, v3, v5, 0x5040100
	;; [unrolled: 1-line block ×4, first 2 shown]
	s_and_b32 s2, vcc_lo, s2
	ds_store_b128 v75, v[1:4]
	s_waitcnt lgkmcnt(0)
	s_barrier
	buffer_gl0_inv
	s_and_saveexec_b32 s3, s2
	s_cbranch_execz .LBB1918_2
; %bb.110:
	s_load_b64 s[0:1], s[0:1], 0x68
	v_lshlrev_b32_e32 v1, 10, v0
	v_and_b32_e32 v0, 1, v0
	v_lshlrev_b32_e32 v2, 6, v74
	s_lshl_b32 s4, s36, 7
	s_delay_alu instid0(VALU_DEP_3) | instskip(NEXT) | instid1(VALU_DEP_3)
	v_and_b32_e32 v1, 0x3800, v1
	v_lshlrev_b32_e32 v0, 4, v0
	s_mul_i32 s2, s4, s34
	s_delay_alu instid0(SALU_CYCLE_1) | instskip(NEXT) | instid1(VALU_DEP_1)
	s_mul_i32 s2, s2, s37
	v_or3_b32 v0, v1, v2, v0
	s_ashr_i32 s3, s2, 31
	s_delay_alu instid0(SALU_CYCLE_1)
	s_lshl_b64 s[2:3], s[2:3], 1
	ds_load_b128 v[0:3], v0
	s_waitcnt lgkmcnt(0)
	s_add_u32 s5, s0, s2
	s_addc_u32 s3, s1, s3
	s_lshl_b32 s0, s14, 7
	s_mul_i32 s2, s4, s15
	s_ashr_i32 s1, s0, 31
	s_delay_alu instid0(SALU_CYCLE_1) | instskip(NEXT) | instid1(SALU_CYCLE_1)
	s_lshl_b64 s[0:1], s[0:1], 1
	s_add_u32 s4, s5, s0
	s_addc_u32 s5, s3, s1
	s_ashr_i32 s3, s2, 31
	s_delay_alu instid0(SALU_CYCLE_1) | instskip(NEXT) | instid1(SALU_CYCLE_1)
	s_lshl_b64 s[0:1], s[2:3], 1
	s_add_u32 s0, s4, s0
	s_addc_u32 s1, s5, s1
	global_store_b128 v73, v[0:3], s[0:1]
	s_nop 0
	s_sendmsg sendmsg(MSG_DEALLOC_VGPRS)
	s_endpgm
	.section	.rodata,"a",@progbits
	.p2align	6, 0x0
	.amdhsa_kernel _Z39paged_attention_ll4mi_QKV_mfma16_kernelI14__hip_bfloat16hLN4vllm18Fp8KVCacheDataTypeE1ES0_Li32ELi128ELi256ELb0ELi1EL8MFMAType0EEvPKT_PKT0_S9_ifPKiSB_SB_iPKfiiiPfSE_PS4_PT2_iSD_SD_
		.amdhsa_group_segment_fixed_size 17472
		.amdhsa_private_segment_fixed_size 0
		.amdhsa_kernarg_size 400
		.amdhsa_user_sgpr_count 13
		.amdhsa_user_sgpr_dispatch_ptr 0
		.amdhsa_user_sgpr_queue_ptr 0
		.amdhsa_user_sgpr_kernarg_segment_ptr 1
		.amdhsa_user_sgpr_dispatch_id 0
		.amdhsa_user_sgpr_private_segment_size 0
		.amdhsa_wavefront_size32 1
		.amdhsa_uses_dynamic_stack 0
		.amdhsa_enable_private_segment 0
		.amdhsa_system_sgpr_workgroup_id_x 1
		.amdhsa_system_sgpr_workgroup_id_y 1
		.amdhsa_system_sgpr_workgroup_id_z 1
		.amdhsa_system_sgpr_workgroup_info 0
		.amdhsa_system_vgpr_workitem_id 0
		.amdhsa_next_free_vgpr 138
		.amdhsa_next_free_sgpr 68
		.amdhsa_reserve_vcc 1
		.amdhsa_float_round_mode_32 0
		.amdhsa_float_round_mode_16_64 0
		.amdhsa_float_denorm_mode_32 3
		.amdhsa_float_denorm_mode_16_64 3
		.amdhsa_dx10_clamp 1
		.amdhsa_ieee_mode 1
		.amdhsa_fp16_overflow 0
		.amdhsa_workgroup_processor_mode 1
		.amdhsa_memory_ordered 1
		.amdhsa_forward_progress 0
		.amdhsa_shared_vgpr_count 0
		.amdhsa_exception_fp_ieee_invalid_op 0
		.amdhsa_exception_fp_denorm_src 0
		.amdhsa_exception_fp_ieee_div_zero 0
		.amdhsa_exception_fp_ieee_overflow 0
		.amdhsa_exception_fp_ieee_underflow 0
		.amdhsa_exception_fp_ieee_inexact 0
		.amdhsa_exception_int_div_zero 0
	.end_amdhsa_kernel
	.section	.text._Z39paged_attention_ll4mi_QKV_mfma16_kernelI14__hip_bfloat16hLN4vllm18Fp8KVCacheDataTypeE1ES0_Li32ELi128ELi256ELb0ELi1EL8MFMAType0EEvPKT_PKT0_S9_ifPKiSB_SB_iPKfiiiPfSE_PS4_PT2_iSD_SD_,"axG",@progbits,_Z39paged_attention_ll4mi_QKV_mfma16_kernelI14__hip_bfloat16hLN4vllm18Fp8KVCacheDataTypeE1ES0_Li32ELi128ELi256ELb0ELi1EL8MFMAType0EEvPKT_PKT0_S9_ifPKiSB_SB_iPKfiiiPfSE_PS4_PT2_iSD_SD_,comdat
.Lfunc_end1918:
	.size	_Z39paged_attention_ll4mi_QKV_mfma16_kernelI14__hip_bfloat16hLN4vllm18Fp8KVCacheDataTypeE1ES0_Li32ELi128ELi256ELb0ELi1EL8MFMAType0EEvPKT_PKT0_S9_ifPKiSB_SB_iPKfiiiPfSE_PS4_PT2_iSD_SD_, .Lfunc_end1918-_Z39paged_attention_ll4mi_QKV_mfma16_kernelI14__hip_bfloat16hLN4vllm18Fp8KVCacheDataTypeE1ES0_Li32ELi128ELi256ELb0ELi1EL8MFMAType0EEvPKT_PKT0_S9_ifPKiSB_SB_iPKfiiiPfSE_PS4_PT2_iSD_SD_
                                        ; -- End function
	.section	.AMDGPU.csdata,"",@progbits
; Kernel info:
; codeLenInByte = 8628
; NumSgprs: 70
; NumVgprs: 138
; ScratchSize: 0
; MemoryBound: 1
; FloatMode: 240
; IeeeMode: 1
; LDSByteSize: 17472 bytes/workgroup (compile time only)
; SGPRBlocks: 8
; VGPRBlocks: 17
; NumSGPRsForWavesPerEU: 70
; NumVGPRsForWavesPerEU: 138
; Occupancy: 10
; WaveLimiterHint : 1
; COMPUTE_PGM_RSRC2:SCRATCH_EN: 0
; COMPUTE_PGM_RSRC2:USER_SGPR: 13
; COMPUTE_PGM_RSRC2:TRAP_HANDLER: 0
; COMPUTE_PGM_RSRC2:TGID_X_EN: 1
; COMPUTE_PGM_RSRC2:TGID_Y_EN: 1
; COMPUTE_PGM_RSRC2:TGID_Z_EN: 1
; COMPUTE_PGM_RSRC2:TIDIG_COMP_CNT: 0
	.section	.text._Z39paged_attention_ll4mi_QKV_mfma16_kernelI14__hip_bfloat16hLN4vllm18Fp8KVCacheDataTypeE1ES0_Li32ELi128ELi256ELb0ELi2EL8MFMAType0EEvPKT_PKT0_S9_ifPKiSB_SB_iPKfiiiPfSE_PS4_PT2_iSD_SD_,"axG",@progbits,_Z39paged_attention_ll4mi_QKV_mfma16_kernelI14__hip_bfloat16hLN4vllm18Fp8KVCacheDataTypeE1ES0_Li32ELi128ELi256ELb0ELi2EL8MFMAType0EEvPKT_PKT0_S9_ifPKiSB_SB_iPKfiiiPfSE_PS4_PT2_iSD_SD_,comdat
	.protected	_Z39paged_attention_ll4mi_QKV_mfma16_kernelI14__hip_bfloat16hLN4vllm18Fp8KVCacheDataTypeE1ES0_Li32ELi128ELi256ELb0ELi2EL8MFMAType0EEvPKT_PKT0_S9_ifPKiSB_SB_iPKfiiiPfSE_PS4_PT2_iSD_SD_ ; -- Begin function _Z39paged_attention_ll4mi_QKV_mfma16_kernelI14__hip_bfloat16hLN4vllm18Fp8KVCacheDataTypeE1ES0_Li32ELi128ELi256ELb0ELi2EL8MFMAType0EEvPKT_PKT0_S9_ifPKiSB_SB_iPKfiiiPfSE_PS4_PT2_iSD_SD_
	.globl	_Z39paged_attention_ll4mi_QKV_mfma16_kernelI14__hip_bfloat16hLN4vllm18Fp8KVCacheDataTypeE1ES0_Li32ELi128ELi256ELb0ELi2EL8MFMAType0EEvPKT_PKT0_S9_ifPKiSB_SB_iPKfiiiPfSE_PS4_PT2_iSD_SD_
	.p2align	8
	.type	_Z39paged_attention_ll4mi_QKV_mfma16_kernelI14__hip_bfloat16hLN4vllm18Fp8KVCacheDataTypeE1ES0_Li32ELi128ELi256ELb0ELi2EL8MFMAType0EEvPKT_PKT0_S9_ifPKiSB_SB_iPKfiiiPfSE_PS4_PT2_iSD_SD_,@function
_Z39paged_attention_ll4mi_QKV_mfma16_kernelI14__hip_bfloat16hLN4vllm18Fp8KVCacheDataTypeE1ES0_Li32ELi128ELi256ELb0ELi2EL8MFMAType0EEvPKT_PKT0_S9_ifPKiSB_SB_iPKfiiiPfSE_PS4_PT2_iSD_SD_: ; @_Z39paged_attention_ll4mi_QKV_mfma16_kernelI14__hip_bfloat16hLN4vllm18Fp8KVCacheDataTypeE1ES0_Li32ELi128ELi256ELb0ELi2EL8MFMAType0EEvPKT_PKT0_S9_ifPKiSB_SB_iPKfiiiPfSE_PS4_PT2_iSD_SD_
; %bb.0:
	s_load_b64 s[2:3], s[0:1], 0x30
	s_mov_b32 s30, s13
	s_waitcnt lgkmcnt(0)
	s_cmp_lg_u64 s[2:3], 0
	s_cselect_b32 s6, -1, 0
	s_ashr_i32 s31, s13, 31
	s_cmp_eq_u64 s[2:3], 0
	s_cbranch_scc1 .LBB1919_3
; %bb.1:
	s_lshl_b64 s[4:5], s[30:31], 2
	s_delay_alu instid0(SALU_CYCLE_1) | instskip(SKIP_4) | instid1(SALU_CYCLE_1)
	s_add_u32 s4, s2, s4
	s_addc_u32 s5, s3, s5
	s_load_b64 s[4:5], s[4:5], 0x0
	s_waitcnt lgkmcnt(0)
	s_sub_i32 s4, s5, s4
	s_cmp_eq_u32 s4, 1
	s_cselect_b32 s4, -1, 0
	s_delay_alu instid0(SALU_CYCLE_1)
	s_and_not1_b32 vcc_lo, exec_lo, s4
	s_cbranch_vccz .LBB1919_4
.LBB1919_2:
	s_endpgm
.LBB1919_3:
.LBB1919_4:
	s_load_b64 s[8:9], s[0:1], 0x28
	s_lshl_b64 s[4:5], s[30:31], 2
	s_waitcnt lgkmcnt(0)
	s_add_u32 s8, s8, s4
	s_addc_u32 s9, s9, s5
	s_lshl_b32 s16, s14, 8
	s_load_b32 s18, s[8:9], 0x0
	s_waitcnt lgkmcnt(0)
	s_cmp_ge_i32 s16, s18
	s_cbranch_scc1 .LBB1919_2
; %bb.5:
	s_clause 0x1
	s_load_b128 s[8:11], s[0:1], 0x8
	s_load_b64 s[12:13], s[0:1], 0x20
	s_and_not1_b32 vcc_lo, exec_lo, s6
	s_cbranch_vccnz .LBB1919_7
; %bb.6:
	s_add_u32 s2, s2, s4
	s_addc_u32 s3, s3, s5
	s_load_b32 s3, s[2:3], 0x0
	s_branch .LBB1919_8
.LBB1919_7:
	s_mov_b32 s3, s30
.LBB1919_8:
	s_load_b128 s[4:7], s[0:1], 0x48
	v_and_b32_e32 v66, 15, v0
	v_bfe_u32 v65, v0, 4, 1
	s_lshl_b32 s31, s15, 1
	v_and_b32_e32 v67, 31, v0
	v_and_b32_e32 v76, 1, v0
	v_lshlrev_b32_e32 v1, 3, v66
	v_cmp_gt_u32_e64 s2, 32, v0
	v_or_b32_e32 v75, s31, v65
	v_lshlrev_b32_e32 v74, 6, v65
	s_delay_alu instid0(VALU_DEP_4)
	v_lshlrev_b32_e32 v73, 1, v1
	s_waitcnt lgkmcnt(0)
	s_and_saveexec_b32 s7, s2
	s_cbranch_execz .LBB1919_10
; %bb.9:
	s_load_b64 s[20:21], s[0:1], 0x0
	v_lshlrev_b32_e32 v1, 7, v75
	s_mul_hi_i32 s23, s3, s4
	s_mul_i32 s22, s3, s4
	v_lshlrev_b32_e32 v5, 10, v66
	s_lshl_b64 s[22:23], s[22:23], 1
	v_ashrrev_i32_e32 v2, 31, v1
	v_lshlrev_b32_e32 v6, 10, v76
	s_delay_alu instid0(VALU_DEP_3) | instskip(NEXT) | instid1(VALU_DEP_3)
	v_and_b32_e32 v5, 0x3800, v5
	v_lshlrev_b64 v[1:2], 1, v[1:2]
	s_delay_alu instid0(VALU_DEP_2) | instskip(SKIP_3) | instid1(VALU_DEP_2)
	v_or3_b32 v5, v5, v6, v74
	s_waitcnt lgkmcnt(0)
	s_add_u32 s3, s20, s22
	s_addc_u32 s4, s21, s23
	v_add_co_u32 v1, vcc_lo, s3, v1
	v_add_co_ci_u32_e32 v2, vcc_lo, s4, v2, vcc_lo
	s_delay_alu instid0(VALU_DEP_2) | instskip(NEXT) | instid1(VALU_DEP_2)
	v_add_co_u32 v1, vcc_lo, v1, v73
	v_add_co_ci_u32_e32 v2, vcc_lo, 0, v2, vcc_lo
	global_load_b128 v[1:4], v[1:2], off
	s_waitcnt vmcnt(0)
	ds_store_b128 v5, v[1:4]
.LBB1919_10:
	s_or_b32 exec_lo, exec_lo, s7
	v_and_b32_e32 v1, 0xef, v0
	s_add_i32 s3, s18, 31
	s_clause 0x1
	s_load_b32 s4, s[0:1], 0x38
	s_load_b32 s19, s[0:1], 0x1c
	s_ashr_i32 s7, s3, 31
	v_add_nc_u32_e32 v1, s16, v1
	s_lshr_b32 s7, s7, 27
	s_waitcnt lgkmcnt(0)
	s_add_i32 s3, s3, s7
	s_barrier
	v_ashrrev_i32_e32 v2, 31, v1
	v_or_b32_e32 v3, 16, v1
	s_ashr_i32 s3, s3, 5
	v_cmp_gt_i32_e32 vcc_lo, s18, v1
	s_add_i32 s3, s3, -1
	v_lshrrev_b32_e32 v2, 27, v2
	buffer_gl0_inv
	s_mul_i32 s15, s15, s6
	v_lshrrev_b32_e32 v68, 5, v0
	v_lshlrev_b32_e32 v33, 5, v66
	v_add_nc_u32_e32 v4, v1, v2
	s_mul_i32 s20, s30, s4
	s_delay_alu instid0(SALU_CYCLE_1) | instskip(NEXT) | instid1(VALU_DEP_1)
	s_ashr_i32 s21, s20, 31
	v_ashrrev_i32_e32 v4, 5, v4
	v_add_nc_u32_e32 v2, v3, v2
	s_lshl_b64 s[20:21], s[20:21], 2
	v_lshl_or_b32 v33, v68, 9, v33
	s_add_u32 s4, s12, s20
	v_cndmask_b32_e32 v1, s3, v4, vcc_lo
	v_ashrrev_i32_e32 v2, 5, v2
	v_cmp_gt_i32_e32 vcc_lo, s18, v3
	s_addc_u32 s12, s13, s21
	s_ashr_i32 s13, s15, 31
	s_add_u32 s6, s8, s15
	s_addc_u32 s7, s9, s13
	v_cndmask_b32_e32 v3, s3, v2, vcc_lo
	v_ashrrev_i32_e32 v2, 31, v1
	s_lshl_b32 s8, s14, 3
	s_delay_alu instid0(SALU_CYCLE_1) | instskip(NEXT) | instid1(VALU_DEP_2)
	s_ashr_i32 s9, s8, 31
	v_ashrrev_i32_e32 v4, 31, v3
	s_delay_alu instid0(VALU_DEP_2) | instskip(SKIP_1) | instid1(SALU_CYCLE_1)
	v_lshlrev_b64 v[1:2], 2, v[1:2]
	s_lshl_b64 s[8:9], s[8:9], 2
	s_add_u32 s8, s4, s8
	s_delay_alu instid0(VALU_DEP_2) | instskip(SKIP_1) | instid1(VALU_DEP_2)
	v_lshlrev_b64 v[3:4], 2, v[3:4]
	s_addc_u32 s9, s12, s9
	v_add_co_u32 v1, vcc_lo, s4, v1
	v_add_co_ci_u32_e32 v2, vcc_lo, s12, v2, vcc_lo
	s_delay_alu instid0(VALU_DEP_3) | instskip(NEXT) | instid1(VALU_DEP_4)
	v_add_co_u32 v3, vcc_lo, s4, v3
	v_add_co_ci_u32_e32 v4, vcc_lo, s12, v4, vcc_lo
	s_clause 0x1
	global_load_b32 v5, v[1:2], off
	global_load_b32 v6, v[3:4], off
	s_or_b32 s17, s16, 32
	s_delay_alu instid0(SALU_CYCLE_1) | instskip(SKIP_2) | instid1(SALU_CYCLE_1)
	s_ashr_i32 s20, s17, 5
	s_cmp_lt_i32 s17, s18
	s_cselect_b32 s20, s20, s3
	s_ashr_i32 s21, s20, 31
	s_delay_alu instid0(SALU_CYCLE_1) | instskip(NEXT) | instid1(SALU_CYCLE_1)
	s_lshl_b64 s[20:21], s[20:21], 2
	s_add_u32 s20, s4, s20
	s_addc_u32 s21, s12, s21
	s_or_b32 s17, s16, 64
	s_delay_alu instid0(SALU_CYCLE_1) | instskip(SKIP_2) | instid1(SALU_CYCLE_1)
	s_ashr_i32 s22, s17, 5
	s_cmp_lt_i32 s17, s18
	s_cselect_b32 s22, s22, s3
	s_ashr_i32 s23, s22, 31
	s_delay_alu instid0(SALU_CYCLE_1) | instskip(NEXT) | instid1(SALU_CYCLE_1)
	s_lshl_b64 s[22:23], s[22:23], 2
	s_add_u32 s22, s4, s22
	s_addc_u32 s23, s12, s23
	;; [unrolled: 10-line block ×5, first 2 shown]
	s_clause 0x5
	s_load_b32 s17, s[8:9], 0x0
	s_load_b32 s33, s[20:21], 0x0
	;; [unrolled: 1-line block ×6, first 2 shown]
	s_mov_b32 s20, 0
	s_delay_alu instid0(SALU_CYCLE_1)
	s_mov_b32 s21, s20
	s_mov_b32 s22, s20
	;; [unrolled: 1-line block ×7, first 2 shown]
	s_delay_alu instid0(SALU_CYCLE_1)
	v_dual_mov_b32 v108, s27 :: v_dual_lshlrev_b32 v137, 6, v76
	v_dual_mov_b32 v102, s21 :: v_dual_mov_b32 v107, s26
	v_dual_mov_b32 v106, s25 :: v_dual_mov_b32 v105, s24
	v_mov_b32_e32 v103, s22
	v_dual_mov_b32 v101, s20 :: v_dual_mov_b32 v104, s23
	s_waitcnt vmcnt(1)
	v_mad_i64_i32 v[1:2], null, v5, s5, s[6:7]
	v_lshlrev_b32_e32 v5, 4, v66
	s_waitcnt vmcnt(0)
	v_mad_i64_i32 v[3:4], null, v6, s5, s[6:7]
	s_or_b32 s6, s16, 0xc0
	s_delay_alu instid0(SALU_CYCLE_1) | instskip(NEXT) | instid1(VALU_DEP_3)
	s_ashr_i32 s7, s6, 5
	v_add_co_u32 v25, vcc_lo, v1, v5
	s_delay_alu instid0(VALU_DEP_4) | instskip(NEXT) | instid1(VALU_DEP_3)
	v_add_co_ci_u32_e32 v26, vcc_lo, 0, v2, vcc_lo
	v_add_co_u32 v27, vcc_lo, v3, v5
	s_delay_alu instid0(VALU_DEP_4)
	v_add_co_ci_u32_e32 v28, vcc_lo, 0, v4, vcc_lo
	s_clause 0xf
	global_load_b128 v[1:4], v[25:26], off
	global_load_b128 v[5:8], v[25:26], off offset:512
	global_load_b128 v[9:12], v[27:28], off offset:256
	;; [unrolled: 1-line block ×15, first 2 shown]
	s_cmp_lt_i32 s6, s18
	ds_load_b128 v[25:28], v137
	ds_load_b128 v[29:32], v137 offset:1024
	s_cselect_b32 s6, s7, s3
	ds_load_b128 v[109:112], v137 offset:2048
	ds_load_b128 v[113:116], v137 offset:3072
	s_ashr_i32 s7, s6, 31
	ds_load_b128 v[117:120], v137 offset:4096
	ds_load_b128 v[121:124], v137 offset:5120
	s_lshl_b64 s[6:7], s[6:7], 2
	s_delay_alu instid0(SALU_CYCLE_1) | instskip(SKIP_2) | instid1(SALU_CYCLE_1)
	s_add_u32 s6, s4, s6
	s_addc_u32 s7, s12, s7
	s_or_b32 s8, s16, 0xe0
	s_ashr_i32 s9, s8, 5
	s_cmp_lt_i32 s8, s18
	s_cselect_b32 s8, s9, s3
	s_delay_alu instid0(SALU_CYCLE_1) | instskip(NEXT) | instid1(SALU_CYCLE_1)
	s_ashr_i32 s9, s8, 31
	s_lshl_b64 s[8:9], s[8:9], 2
	s_delay_alu instid0(SALU_CYCLE_1) | instskip(SKIP_4) | instid1(VALU_DEP_1)
	s_add_u32 s8, s4, s8
	s_addc_u32 s9, s12, s9
	s_add_u32 s3, s10, s15
	s_addc_u32 s4, s11, s13
	v_add_co_u32 v69, s3, s3, v33
	v_add_co_ci_u32_e64 v70, null, s4, 0, s3
	s_clause 0x1
	s_load_b32 s3, s[6:7], 0x0
	s_load_b32 s4, s[8:9], 0x0
	s_waitcnt lgkmcnt(0)
	v_mad_i64_i32 v[33:34], null, s17, s5, v[69:70]
	v_mad_i64_i32 v[71:72], null, s34, s5, v[69:70]
	;; [unrolled: 1-line block ×5, first 2 shown]
	s_clause 0x3
	global_load_b128 v[41:44], v[33:34], off
	global_load_b128 v[45:48], v[33:34], off offset:16
	global_load_b128 v[33:36], v[37:38], off
	global_load_b128 v[37:40], v[37:38], off offset:16
	s_waitcnt vmcnt(18)
	v_wmma_f32_16x16x16_bf16 v[125:132], v[1:8], v[25:32], v[101:108]
	s_waitcnt vmcnt(16)
	v_wmma_f32_16x16x16_bf16 v[101:108], v[9:16], v[25:32], v[101:108]
	v_mad_i64_i32 v[13:14], null, s28, s5, v[69:70]
	s_waitcnt vmcnt(14)
	v_wmma_f32_16x16x16_bf16 v[125:132], v[17:24], v[109:116], v[125:132]
	s_clause 0x1
	global_load_b128 v[25:28], v[71:72], off
	global_load_b128 v[29:32], v[71:72], off offset:16
	s_waitcnt vmcnt(14)
	v_wmma_f32_16x16x16_bf16 v[101:108], v[49:56], v[109:116], v[101:108]
	v_mad_i64_i32 v[49:50], null, s3, s5, v[69:70]
	v_mad_i64_i32 v[53:54], null, s4, s5, v[69:70]
	s_clause 0x5
	global_load_b128 v[17:20], v[133:134], off
	global_load_b128 v[21:24], v[133:134], off offset:16
	global_load_b128 v[1:4], v[135:136], off
	global_load_b128 v[5:8], v[135:136], off offset:16
	;; [unrolled: 2-line block ×3, first 2 shown]
	s_waitcnt vmcnt(18)
	v_wmma_f32_16x16x16_bf16 v[125:132], v[57:64], v[117:124], v[125:132]
	s_clause 0x3
	global_load_b128 v[57:60], v[49:50], off
	global_load_b128 v[61:64], v[49:50], off offset:16
	global_load_b128 v[49:52], v[53:54], off
	global_load_b128 v[53:56], v[53:54], off offset:16
	s_waitcnt vmcnt(20)
	v_wmma_f32_16x16x16_bf16 v[101:108], v[77:84], v[117:124], v[101:108]
	ds_load_b128 v[77:80], v137 offset:6144
	ds_load_b128 v[81:84], v137 offset:7168
	v_mbcnt_lo_u32_b32 v70, -1, 0
	s_waitcnt vmcnt(0) lgkmcnt(0)
	s_barrier
	buffer_gl0_inv
	v_xor_b32_e32 v71, 16, v70
	s_delay_alu instid0(VALU_DEP_1) | instskip(SKIP_4) | instid1(VALU_DEP_2)
	v_cmp_gt_i32_e32 vcc_lo, 32, v71
	v_cndmask_b32_e32 v70, v70, v71, vcc_lo
	v_wmma_f32_16x16x16_bf16 v[125:132], v[85:92], v[77:84], v[125:132]
	v_and_b32_e32 v69, 0xe0, v0
	v_wmma_f32_16x16x16_bf16 v[101:108], v[93:100], v[77:84], v[101:108]
	v_dual_mul_f32 v94, s19, v131 :: v_dual_add_nc_u32 v69, s16, v69
	s_delay_alu instid0(VALU_DEP_2) | instskip(SKIP_1) | instid1(VALU_DEP_4)
	v_mul_f32_e32 v98, s19, v103
	v_dual_mul_f32 v80, s19, v126 :: v_dual_mul_f32 v81, s19, v128
	v_mul_f32_e32 v96, s19, v101
	s_delay_alu instid0(VALU_DEP_4) | instskip(SKIP_3) | instid1(VALU_DEP_4)
	v_or_b32_e32 v69, v69, v65
	v_dual_mul_f32 v82, s19, v127 :: v_dual_mul_f32 v83, s19, v130
	v_mul_f32_e32 v100, s19, v105
	v_mul_f32_e32 v84, s19, v129
	v_or_b32_e32 v71, 2, v69
	v_or_b32_e32 v72, 4, v69
	v_or_b32_e32 v109, 6, v69
	v_cmp_gt_i32_e64 s3, s18, v69
	v_or_b32_e32 v110, 8, v69
	v_cmp_gt_i32_e32 vcc_lo, s18, v71
	v_mul_f32_e32 v71, s19, v125
	v_or_b32_e32 v85, 10, v69
	v_or_b32_e32 v91, 22, v69
	v_cmp_gt_i32_e64 s4, s18, v72
	v_mul_f32_e32 v72, s19, v107
	v_cndmask_b32_e64 v71, 0xff7fffff, v71, s3
	v_cndmask_b32_e32 v80, 0xff7fffff, v80, vcc_lo
	v_cmp_gt_i32_e64 s5, s18, v109
	v_or_b32_e32 v86, 12, v69
	v_or_b32_e32 v87, 14, v69
	v_cndmask_b32_e64 v82, 0xff7fffff, v82, s4
	v_cmp_gt_i32_e64 s6, s18, v110
	v_cndmask_b32_e64 v81, 0xff7fffff, v81, s5
	v_cmp_gt_i32_e64 s7, s18, v85
	v_cmp_gt_i32_e64 s13, s18, v91
	v_lshlrev_b32_e32 v91, 2, v70
	v_max3_f32 v71, v71, 0xff7fffff, v80
	v_or_b32_e32 v88, 16, v69
	v_or_b32_e32 v89, 18, v69
	v_mul_f32_e32 v93, s19, v132
	v_cndmask_b32_e64 v80, 0xff7fffff, v84, s6
	v_cndmask_b32_e64 v83, 0xff7fffff, v83, s7
	v_max3_f32 v71, v71, v82, v81
	v_cmp_gt_i32_e64 s8, s18, v86
	v_cmp_gt_i32_e64 s9, s18, v87
	v_or_b32_e32 v90, 20, v69
	v_mul_f32_e32 v95, s19, v102
	v_max3_f32 v71, v71, v80, v83
	v_cndmask_b32_e64 v81, 0xff7fffff, v94, s8
	v_cndmask_b32_e64 v82, 0xff7fffff, v93, s9
	v_cmp_gt_i32_e64 s10, s18, v88
	v_cmp_gt_i32_e64 s11, s18, v89
	v_or_b32_e32 v92, 24, v69
	v_or_b32_e32 v77, 26, v69
	v_mul_f32_e32 v97, s19, v104
	v_cndmask_b32_e64 v80, 0xff7fffff, v96, s10
	v_cndmask_b32_e64 v83, 0xff7fffff, v95, s11
	v_max3_f32 v71, v71, v81, v82
	v_cmp_gt_i32_e64 s12, s18, v90
	v_or_b32_e32 v78, 28, v69
	v_or_b32_e32 v79, 30, v69
	v_mul_f32_e32 v99, s19, v106
	v_cndmask_b32_e64 v82, 0xff7fffff, v97, s13
	v_cndmask_b32_e64 v81, 0xff7fffff, v98, s12
	v_max3_f32 v71, v71, v80, v83
	v_cmp_gt_i32_e64 s15, s18, v92
	v_cmp_gt_i32_e64 s16, s18, v77
	v_mul_f32_e32 v69, s19, v108
	v_cmp_gt_i32_e64 s17, s18, v78
	v_max3_f32 v71, v71, v81, v82
	v_cndmask_b32_e64 v80, 0xff7fffff, v100, s15
	v_cndmask_b32_e64 v77, 0xff7fffff, v99, s16
	v_cmp_gt_i32_e64 s18, s18, v79
	v_cndmask_b32_e64 v72, 0xff7fffff, v72, s17
	s_delay_alu instid0(VALU_DEP_3) | instskip(NEXT) | instid1(VALU_DEP_3)
	v_max3_f32 v71, v71, v80, v77
	v_cndmask_b32_e64 v69, 0xff7fffff, v69, s18
	s_delay_alu instid0(VALU_DEP_1) | instskip(SKIP_3) | instid1(VALU_DEP_1)
	v_max3_f32 v69, v71, v72, v69
	ds_bpermute_b32 v70, v91, v69
	s_waitcnt lgkmcnt(0)
	v_max_f32_e32 v70, v70, v70
	v_max_f32_e32 v69, v69, v70
	s_delay_alu instid0(VALU_DEP_1) | instskip(NEXT) | instid1(VALU_DEP_1)
	v_fma_f32 v72, s19, v127, -v69
	v_mul_f32_e32 v72, 0x3fb8aa3b, v72
	s_delay_alu instid0(VALU_DEP_1) | instskip(SKIP_3) | instid1(VALU_DEP_1)
	v_exp_f32_e32 v72, v72
	s_waitcnt_depctr 0xfff
	v_cndmask_b32_e64 v85, 0, v72, s4
	v_fma_f32 v72, s19, v132, -v69
	v_mul_f32_e32 v72, 0x3fb8aa3b, v72
	v_fma_f32 v70, s19, v125, -v69
	v_fma_f32 v78, s19, v129, -v69
	;; [unrolled: 1-line block ×5, first 2 shown]
	v_mul_f32_e32 v70, 0x3fb8aa3b, v70
	v_mul_f32_e32 v78, 0x3fb8aa3b, v78
	v_exp_f32_e32 v72, v72
	v_mul_f32_e32 v80, 0x3fb8aa3b, v80
	v_fma_f32 v83, s19, v106, -v69
	v_exp_f32_e32 v70, v70
	v_exp_f32_e32 v78, v78
	s_delay_alu instid0(VALU_DEP_2) | instskip(SKIP_2) | instid1(TRANS32_DEP_3)
	v_exp_f32_e32 v80, v80
	v_cndmask_b32_e64 v90, 0, v72, s9
	v_fma_f32 v72, s19, v105, -v69
	v_cndmask_b32_e64 v81, 0, v70, s3
	v_fma_f32 v70, s19, v130, -v69
	v_mul_f32_e32 v71, 0x3fb8aa3b, v71
	s_delay_alu instid0(TRANS32_DEP_2) | instskip(SKIP_1) | instid1(VALU_DEP_4)
	v_cndmask_b32_e64 v88, 0, v78, s6
	v_fma_f32 v78, s19, v102, -v69
	v_dual_mul_f32 v77, 0x3fb8aa3b, v77 :: v_dual_mul_f32 v70, 0x3fb8aa3b, v70
	s_delay_alu instid0(VALU_DEP_4) | instskip(SKIP_1) | instid1(VALU_DEP_3)
	v_exp_f32_e32 v71, v71
	v_cndmask_b32_e64 v86, 0, v80, s8
	v_mul_f32_e32 v78, 0x3fb8aa3b, v78
	s_delay_alu instid0(VALU_DEP_3)
	v_exp_f32_e32 v79, v77
	v_exp_f32_e32 v70, v70
	v_fma_f32 v80, s19, v104, -v69
	v_mul_f32_e32 v72, 0x3fb8aa3b, v72
	v_exp_f32_e32 v78, v78
	s_mov_b32 s3, exec_lo
	s_delay_alu instid0(VALU_DEP_2) | instskip(NEXT) | instid1(VALU_DEP_2)
	v_mul_f32_e32 v80, 0x3fb8aa3b, v80
	v_exp_f32_e32 v84, v72
	v_cndmask_b32_e64 v87, 0, v79, s5
	s_delay_alu instid0(TRANS32_DEP_3) | instskip(SKIP_4) | instid1(VALU_DEP_2)
	v_cndmask_b32_e64 v89, 0, v70, s7
	v_cndmask_b32_e32 v77, 0, v71, vcc_lo
	v_add_f32_e32 v71, 0, v81
	v_fma_f32 v79, s19, v101, -v69
	v_exp_f32_e32 v80, v80
	v_add_f32_e32 v71, v71, v77
	s_delay_alu instid0(VALU_DEP_1) | instskip(NEXT) | instid1(VALU_DEP_1)
	v_add_f32_e32 v71, v71, v85
	v_add_f32_e32 v71, v71, v87
	s_delay_alu instid0(VALU_DEP_1) | instskip(SKIP_1) | instid1(VALU_DEP_1)
	v_add_f32_e32 v70, v71, v88
	v_fma_f32 v71, s19, v103, -v69
	v_dual_add_f32 v70, v70, v89 :: v_dual_mul_f32 v71, 0x3fb8aa3b, v71
	s_delay_alu instid0(VALU_DEP_1) | instskip(NEXT) | instid1(VALU_DEP_2)
	v_add_f32_e32 v70, v70, v86
	v_exp_f32_e32 v82, v71
	s_waitcnt_depctr 0xfff
	v_cndmask_b32_e64 v72, 0, v82, s12
	v_mul_f32_e32 v79, 0x3fb8aa3b, v79
	s_delay_alu instid0(VALU_DEP_1) | instskip(SKIP_4) | instid1(VALU_DEP_2)
	v_exp_f32_e32 v79, v79
	s_waitcnt_depctr 0xfff
	v_cndmask_b32_e64 v71, 0, v79, s10
	v_add_f32_e32 v79, v70, v90
	v_cndmask_b32_e64 v70, 0, v78, s11
	v_add_f32_e32 v78, v79, v71
	v_fma_f32 v79, s19, v107, -v69
	s_delay_alu instid0(VALU_DEP_2) | instskip(SKIP_1) | instid1(VALU_DEP_2)
	v_add_f32_e32 v82, v78, v70
	v_cndmask_b32_e64 v78, 0, v80, s13
	v_dual_mul_f32 v79, 0x3fb8aa3b, v79 :: v_dual_add_f32 v80, v82, v72
	v_fma_f32 v82, s19, v108, -v69
	v_mul_f32_e32 v83, 0x3fb8aa3b, v83
	s_delay_alu instid0(VALU_DEP_3)
	v_exp_f32_e32 v92, v79
	v_cndmask_b32_e64 v79, 0, v84, s15
	v_add_f32_e32 v84, v80, v78
	v_mul_f32_e32 v82, 0x3fb8aa3b, v82
	v_exp_f32_e32 v83, v83
	s_waitcnt_depctr 0xfff
	v_cndmask_b32_e64 v80, 0, v83, s16
	v_add_f32_e32 v83, v84, v79
	v_exp_f32_e32 v84, v82
	v_cndmask_b32_e64 v82, 0, v92, s17
	s_delay_alu instid0(VALU_DEP_2) | instskip(NEXT) | instid1(VALU_DEP_1)
	v_add_f32_e32 v83, v83, v80
	v_add_f32_e32 v92, v83, v82
	s_waitcnt_depctr 0xfff
	v_cndmask_b32_e64 v83, 0, v84, s18
	s_delay_alu instid0(VALU_DEP_1)
	v_add_f32_e32 v84, v92, v83
	ds_bpermute_b32 v91, v91, v84
	v_cmpx_gt_u32_e32 16, v67
	s_cbranch_execz .LBB1919_12
; %bb.11:
	v_mul_u32_u24_e32 v67, 0x44, v68
	s_waitcnt lgkmcnt(0)
	v_add_f32_e32 v84, v84, v91
	s_delay_alu instid0(VALU_DEP_2) | instskip(NEXT) | instid1(VALU_DEP_1)
	v_lshl_add_u32 v67, v66, 2, v67
	v_add_nc_u32_e32 v67, 0x4000, v67
	ds_store_2addr_b32 v67, v69, v84 offset1:136
.LBB1919_12:
	s_or_b32 exec_lo, exec_lo, s3
	v_lshlrev_b32_e32 v67, 2, v66
	s_waitcnt lgkmcnt(0)
	s_barrier
	buffer_gl0_inv
	v_cmp_eq_u32_e32 vcc_lo, 1, v68
	v_add_nc_u32_e32 v84, 0x4000, v67
	v_cmp_eq_u32_e64 s3, 2, v68
	v_cmp_eq_u32_e64 s5, 7, v68
	ds_load_2addr_b32 v[91:92], v84 offset1:17
	ds_load_2addr_b32 v[93:94], v84 offset0:34 offset1:51
	ds_load_2addr_b32 v[95:96], v84 offset0:68 offset1:85
	;; [unrolled: 1-line block ×4, first 2 shown]
	s_waitcnt lgkmcnt(4)
	v_max3_f32 v67, v91, 0xff7fffff, v92
	s_waitcnt lgkmcnt(3)
	s_delay_alu instid0(VALU_DEP_1) | instskip(SKIP_1) | instid1(VALU_DEP_1)
	v_max3_f32 v67, v67, v93, v94
	s_waitcnt lgkmcnt(2)
	v_max3_f32 v67, v67, v95, v96
	s_waitcnt lgkmcnt(1)
	s_delay_alu instid0(VALU_DEP_1) | instskip(NEXT) | instid1(VALU_DEP_1)
	v_max3_f32 v67, v67, v97, v98
	v_sub_f32_e32 v69, v91, v67
	v_sub_f32_e32 v101, v92, v67
	;; [unrolled: 1-line block ×4, first 2 shown]
	s_delay_alu instid0(VALU_DEP_4) | instskip(NEXT) | instid1(VALU_DEP_4)
	v_mul_f32_e32 v69, 0x3fb8aa3b, v69
	v_mul_f32_e32 v101, 0x3fb8aa3b, v101
	s_delay_alu instid0(VALU_DEP_4) | instskip(NEXT) | instid1(VALU_DEP_4)
	v_mul_f32_e32 v103, 0x3fb8aa3b, v93
	v_mul_f32_e32 v105, 0x3fb8aa3b, v95
	s_delay_alu instid0(VALU_DEP_4) | instskip(SKIP_3) | instid1(VALU_DEP_1)
	v_exp_f32_e32 v102, v69
	v_sub_f32_e32 v69, v94, v67
	v_exp_f32_e32 v101, v101
	v_exp_f32_e32 v103, v103
	v_mul_f32_e32 v104, 0x3fb8aa3b, v69
	s_waitcnt lgkmcnt(0)
	s_delay_alu instid0(TRANS32_DEP_3) | instskip(SKIP_1) | instid1(VALU_DEP_3)
	v_fma_f32 v69, v102, v99, 0
	v_sub_f32_e32 v99, v96, v67
	v_exp_f32_e32 v104, v104
	s_delay_alu instid0(TRANS32_DEP_3) | instid1(VALU_DEP_2)
	v_fmac_f32_e32 v69, v101, v100
	ds_load_2addr_b32 v[91:92], v84 offset0:170 offset1:187
	ds_load_2addr_b32 v[93:94], v84 offset0:204 offset1:221
	;; [unrolled: 1-line block ×3, first 2 shown]
	v_sub_f32_e32 v84, v97, v67
	v_mul_f32_e32 v97, 0x3fb8aa3b, v99
	v_exp_f32_e32 v99, v105
	s_waitcnt lgkmcnt(0)
	s_barrier
	v_mul_f32_e32 v84, 0x3fb8aa3b, v84
	v_exp_f32_e32 v97, v97
	buffer_gl0_inv
	v_exp_f32_e32 v84, v84
	v_fmac_f32_e32 v69, v103, v91
	v_sub_f32_e32 v91, v98, v67
	s_delay_alu instid0(VALU_DEP_2) | instskip(NEXT) | instid1(VALU_DEP_2)
	v_fmac_f32_e32 v69, v104, v92
	v_mul_f32_e32 v91, 0x3fb8aa3b, v91
	s_delay_alu instid0(VALU_DEP_2) | instskip(NEXT) | instid1(VALU_DEP_2)
	v_fmac_f32_e32 v69, v99, v93
	v_exp_f32_e32 v91, v91
	s_delay_alu instid0(VALU_DEP_1)
	v_fmac_f32_e32 v69, v97, v94
	s_delay_alu instid0(TRANS32_DEP_2) | instid1(VALU_DEP_1)
	v_fmac_f32_e32 v69, v84, v95
	s_waitcnt_depctr 0xfff
	v_fmac_f32_e32 v69, v91, v96
	s_delay_alu instid0(VALU_DEP_1) | instskip(NEXT) | instid1(VALU_DEP_1)
	v_add_f32_e32 v92, 0x358637bd, v69
	v_div_scale_f32 v93, null, v92, v92, 1.0
	v_div_scale_f32 v96, s4, 1.0, v92, 1.0
	s_delay_alu instid0(VALU_DEP_2) | instskip(SKIP_2) | instid1(VALU_DEP_1)
	v_rcp_f32_e32 v94, v93
	s_waitcnt_depctr 0xfff
	v_fma_f32 v95, -v93, v94, 1.0
	v_dual_fmac_f32 v94, v95, v94 :: v_dual_cndmask_b32 v95, v102, v101
	v_cmp_eq_u32_e32 vcc_lo, 3, v68
	s_delay_alu instid0(VALU_DEP_2) | instskip(NEXT) | instid1(VALU_DEP_3)
	v_mul_f32_e32 v98, v96, v94
	v_cndmask_b32_e64 v95, v95, v103, s3
	v_cmp_eq_u32_e64 s3, 4, v68
	s_delay_alu instid0(VALU_DEP_3) | instskip(NEXT) | instid1(VALU_DEP_3)
	v_fma_f32 v100, -v93, v98, v96
	v_cndmask_b32_e32 v95, v95, v104, vcc_lo
	v_cmp_eq_u32_e32 vcc_lo, 5, v68
	s_delay_alu instid0(VALU_DEP_3) | instskip(NEXT) | instid1(VALU_DEP_3)
	v_fmac_f32_e32 v98, v100, v94
	v_cndmask_b32_e64 v95, v95, v99, s3
	v_cmp_eq_u32_e64 s3, 6, v68
	s_delay_alu instid0(VALU_DEP_3) | instskip(NEXT) | instid1(VALU_DEP_3)
	v_fma_f32 v93, -v93, v98, v96
	v_cndmask_b32_e32 v95, v95, v97, vcc_lo
	s_mov_b32 vcc_lo, s4
	s_delay_alu instid0(VALU_DEP_2) | instskip(NEXT) | instid1(VALU_DEP_2)
	v_div_fmas_f32 v93, v93, v94, v98
	v_cndmask_b32_e64 v84, v95, v84, s3
	s_mov_b32 s3, exec_lo
	s_delay_alu instid0(VALU_DEP_2) | instskip(NEXT) | instid1(VALU_DEP_2)
	v_div_fixup_f32 v92, v93, v92, 1.0
	v_cndmask_b32_e64 v84, v84, v91, s5
	s_delay_alu instid0(VALU_DEP_1) | instskip(NEXT) | instid1(VALU_DEP_1)
	v_mul_f32_e32 v84, v84, v92
	v_mul_f32_e32 v92, v84, v81
	;; [unrolled: 1-line block ×6, first 2 shown]
	v_dual_mul_f32 v88, v84, v85 :: v_dual_and_b32 v93, 0x7f800000, v92
	v_mul_f32_e32 v91, v84, v87
	v_mul_f32_e32 v87, v84, v77
                                        ; implicit-def: $vgpr77
	s_delay_alu instid0(VALU_DEP_3)
	v_cmpx_ne_u32_e32 0x7f800000, v93
	s_xor_b32 s3, exec_lo, s3
; %bb.13:
	v_bfe_u32 v77, v92, 16, 1
	s_delay_alu instid0(VALU_DEP_1)
	v_add3_u32 v77, v92, v77, 0x7fff
                                        ; implicit-def: $vgpr92
; %bb.14:
	s_and_not1_saveexec_b32 s3, s3
; %bb.15:
	v_and_b32_e32 v77, 0xffff, v92
	v_or_b32_e32 v85, 0x10000, v92
	s_delay_alu instid0(VALU_DEP_2) | instskip(NEXT) | instid1(VALU_DEP_2)
	v_cmp_eq_u32_e32 vcc_lo, 0, v77
	v_cndmask_b32_e32 v77, v85, v92, vcc_lo
; %bb.16:
	s_or_b32 exec_lo, exec_lo, s3
	v_and_b32_e32 v85, 0x7f800000, v87
	s_delay_alu instid0(VALU_DEP_1) | instskip(SKIP_1) | instid1(SALU_CYCLE_1)
	v_cmp_ne_u32_e32 vcc_lo, 0x7f800000, v85
                                        ; implicit-def: $vgpr85
	s_and_saveexec_b32 s3, vcc_lo
	s_xor_b32 s3, exec_lo, s3
; %bb.17:
	v_bfe_u32 v85, v87, 16, 1
	s_delay_alu instid0(VALU_DEP_1)
	v_add3_u32 v85, v87, v85, 0x7fff
                                        ; implicit-def: $vgpr87
; %bb.18:
	s_and_not1_saveexec_b32 s3, s3
; %bb.19:
	v_and_b32_e32 v85, 0xffff, v87
	v_or_b32_e32 v92, 0x10000, v87
	s_delay_alu instid0(VALU_DEP_2) | instskip(NEXT) | instid1(VALU_DEP_2)
	v_cmp_eq_u32_e32 vcc_lo, 0, v85
	v_cndmask_b32_e32 v85, v92, v87, vcc_lo
; %bb.20:
	s_or_b32 exec_lo, exec_lo, s3
	v_and_b32_e32 v87, 0x7f800000, v88
	s_delay_alu instid0(VALU_DEP_1) | instskip(SKIP_1) | instid1(SALU_CYCLE_1)
	v_cmp_ne_u32_e32 vcc_lo, 0x7f800000, v87
                                        ; implicit-def: $vgpr87
	s_and_saveexec_b32 s3, vcc_lo
	s_xor_b32 s3, exec_lo, s3
; %bb.21:
	v_bfe_u32 v87, v88, 16, 1
	s_delay_alu instid0(VALU_DEP_1)
	v_add3_u32 v87, v88, v87, 0x7fff
                                        ; implicit-def: $vgpr88
; %bb.22:
	s_and_not1_saveexec_b32 s3, s3
; %bb.23:
	v_and_b32_e32 v87, 0xffff, v88
	v_or_b32_e32 v92, 0x10000, v88
	s_delay_alu instid0(VALU_DEP_2) | instskip(NEXT) | instid1(VALU_DEP_2)
	v_cmp_eq_u32_e32 vcc_lo, 0, v87
	v_cndmask_b32_e32 v87, v92, v88, vcc_lo
; %bb.24:
	s_or_b32 exec_lo, exec_lo, s3
	v_and_b32_e32 v88, 0x7f800000, v91
	s_delay_alu instid0(VALU_DEP_1) | instskip(SKIP_1) | instid1(SALU_CYCLE_1)
	v_cmp_ne_u32_e32 vcc_lo, 0x7f800000, v88
                                        ; implicit-def: $vgpr88
	s_and_saveexec_b32 s3, vcc_lo
	s_xor_b32 s3, exec_lo, s3
; %bb.25:
	v_bfe_u32 v88, v91, 16, 1
	s_delay_alu instid0(VALU_DEP_1)
	v_add3_u32 v88, v91, v88, 0x7fff
                                        ; implicit-def: $vgpr91
; %bb.26:
	s_and_not1_saveexec_b32 s3, s3
; %bb.27:
	v_and_b32_e32 v88, 0xffff, v91
	v_or_b32_e32 v92, 0x10000, v91
	s_delay_alu instid0(VALU_DEP_2) | instskip(NEXT) | instid1(VALU_DEP_2)
	v_cmp_eq_u32_e32 vcc_lo, 0, v88
	v_cndmask_b32_e32 v88, v92, v91, vcc_lo
; %bb.28:
	s_or_b32 exec_lo, exec_lo, s3
	v_and_b32_e32 v91, 0x7f800000, v90
	s_delay_alu instid0(VALU_DEP_1) | instskip(SKIP_1) | instid1(SALU_CYCLE_1)
	v_cmp_ne_u32_e32 vcc_lo, 0x7f800000, v91
                                        ; implicit-def: $vgpr91
	s_and_saveexec_b32 s3, vcc_lo
	s_xor_b32 s3, exec_lo, s3
; %bb.29:
	v_bfe_u32 v91, v90, 16, 1
	s_delay_alu instid0(VALU_DEP_1)
	v_add3_u32 v91, v90, v91, 0x7fff
                                        ; implicit-def: $vgpr90
; %bb.30:
	s_and_not1_saveexec_b32 s3, s3
; %bb.31:
	v_and_b32_e32 v91, 0xffff, v90
	v_or_b32_e32 v92, 0x10000, v90
	s_delay_alu instid0(VALU_DEP_2) | instskip(NEXT) | instid1(VALU_DEP_2)
	v_cmp_eq_u32_e32 vcc_lo, 0, v91
	v_cndmask_b32_e32 v91, v92, v90, vcc_lo
; %bb.32:
	s_or_b32 exec_lo, exec_lo, s3
	v_and_b32_e32 v90, 0x7f800000, v89
	s_delay_alu instid0(VALU_DEP_1) | instskip(SKIP_1) | instid1(SALU_CYCLE_1)
	v_cmp_ne_u32_e32 vcc_lo, 0x7f800000, v90
                                        ; implicit-def: $vgpr90
	s_and_saveexec_b32 s3, vcc_lo
	s_xor_b32 s3, exec_lo, s3
; %bb.33:
	v_bfe_u32 v90, v89, 16, 1
	s_delay_alu instid0(VALU_DEP_1)
	v_add3_u32 v90, v89, v90, 0x7fff
                                        ; implicit-def: $vgpr89
; %bb.34:
	s_and_not1_saveexec_b32 s3, s3
; %bb.35:
	v_and_b32_e32 v90, 0xffff, v89
	v_or_b32_e32 v92, 0x10000, v89
	s_delay_alu instid0(VALU_DEP_2) | instskip(NEXT) | instid1(VALU_DEP_2)
	v_cmp_eq_u32_e32 vcc_lo, 0, v90
	v_cndmask_b32_e32 v90, v92, v89, vcc_lo
; %bb.36:
	s_or_b32 exec_lo, exec_lo, s3
	v_and_b32_e32 v89, 0x7f800000, v86
	s_delay_alu instid0(VALU_DEP_1) | instskip(SKIP_1) | instid1(SALU_CYCLE_1)
	v_cmp_ne_u32_e32 vcc_lo, 0x7f800000, v89
                                        ; implicit-def: $vgpr89
	s_and_saveexec_b32 s3, vcc_lo
	s_xor_b32 s3, exec_lo, s3
; %bb.37:
	v_bfe_u32 v89, v86, 16, 1
	s_delay_alu instid0(VALU_DEP_1)
	v_add3_u32 v89, v86, v89, 0x7fff
                                        ; implicit-def: $vgpr86
; %bb.38:
	s_and_not1_saveexec_b32 s3, s3
; %bb.39:
	v_and_b32_e32 v89, 0xffff, v86
	v_or_b32_e32 v92, 0x10000, v86
	s_delay_alu instid0(VALU_DEP_2) | instskip(NEXT) | instid1(VALU_DEP_2)
	v_cmp_eq_u32_e32 vcc_lo, 0, v89
	v_cndmask_b32_e32 v89, v92, v86, vcc_lo
; %bb.40:
	s_or_b32 exec_lo, exec_lo, s3
	v_and_b32_e32 v86, 0x7f800000, v81
	s_delay_alu instid0(VALU_DEP_1) | instskip(SKIP_1) | instid1(SALU_CYCLE_1)
	v_cmp_ne_u32_e32 vcc_lo, 0x7f800000, v86
                                        ; implicit-def: $vgpr86
	s_and_saveexec_b32 s3, vcc_lo
	s_xor_b32 s3, exec_lo, s3
; %bb.41:
	v_bfe_u32 v86, v81, 16, 1
	s_delay_alu instid0(VALU_DEP_1)
	v_add3_u32 v86, v81, v86, 0x7fff
                                        ; implicit-def: $vgpr81
; %bb.42:
	s_and_not1_saveexec_b32 s3, s3
; %bb.43:
	v_and_b32_e32 v86, 0xffff, v81
	v_or_b32_e32 v92, 0x10000, v81
	s_delay_alu instid0(VALU_DEP_2) | instskip(NEXT) | instid1(VALU_DEP_2)
	v_cmp_eq_u32_e32 vcc_lo, 0, v86
	v_cndmask_b32_e32 v86, v92, v81, vcc_lo
; %bb.44:
	s_or_b32 exec_lo, exec_lo, s3
	s_load_b64 s[34:35], s[0:1], 0x94
	v_lshlrev_b32_e32 v93, 4, v65
	s_delay_alu instid0(VALU_DEP_2)
	v_perm_b32 v92, v86, v89, 0x7060302
	v_dual_mul_f32 v80, v84, v80 :: v_dual_lshlrev_b32 v81, 6, v66
	v_lshlrev_b32_e32 v66, 11, v68
	v_perm_b32 v89, v85, v77, 0x7060302
	v_mul_f32_e32 v85, v84, v71
	v_perm_b32 v91, v90, v91, 0x7060302
	v_perm_b32 v90, v88, v87, 0x7060302
	v_or3_b32 v77, v93, v66, v81
	v_mul_f32_e32 v66, v84, v83
	v_dual_mul_f32 v71, v84, v82 :: v_dual_and_b32 v86, 0x7f800000, v85
	v_mul_f32_e32 v79, v84, v79
	v_mul_f32_e32 v83, v84, v78
	;; [unrolled: 1-line block ×4, first 2 shown]
	s_mov_b32 s3, exec_lo
	ds_store_b128 v77, v[89:92]
                                        ; implicit-def: $vgpr70
	v_cmpx_ne_u32_e32 0x7f800000, v86
	s_xor_b32 s3, exec_lo, s3
; %bb.45:
	v_bfe_u32 v70, v85, 16, 1
	s_delay_alu instid0(VALU_DEP_1)
	v_add3_u32 v70, v85, v70, 0x7fff
                                        ; implicit-def: $vgpr85
; %bb.46:
	s_and_not1_saveexec_b32 s3, s3
; %bb.47:
	v_and_b32_e32 v70, 0xffff, v85
	v_or_b32_e32 v72, 0x10000, v85
	s_delay_alu instid0(VALU_DEP_2) | instskip(NEXT) | instid1(VALU_DEP_2)
	v_cmp_eq_u32_e32 vcc_lo, 0, v70
	v_cndmask_b32_e32 v70, v72, v85, vcc_lo
; %bb.48:
	s_or_b32 exec_lo, exec_lo, s3
	v_and_b32_e32 v72, 0x7f800000, v78
	s_delay_alu instid0(VALU_DEP_1) | instskip(SKIP_1) | instid1(SALU_CYCLE_1)
	v_cmp_ne_u32_e32 vcc_lo, 0x7f800000, v72
                                        ; implicit-def: $vgpr72
	s_and_saveexec_b32 s3, vcc_lo
	s_xor_b32 s3, exec_lo, s3
; %bb.49:
	v_bfe_u32 v72, v78, 16, 1
	s_delay_alu instid0(VALU_DEP_1)
	v_add3_u32 v72, v78, v72, 0x7fff
                                        ; implicit-def: $vgpr78
; %bb.50:
	s_and_not1_saveexec_b32 s3, s3
; %bb.51:
	v_and_b32_e32 v72, 0xffff, v78
	v_or_b32_e32 v84, 0x10000, v78
	s_delay_alu instid0(VALU_DEP_2) | instskip(NEXT) | instid1(VALU_DEP_2)
	v_cmp_eq_u32_e32 vcc_lo, 0, v72
	v_cndmask_b32_e32 v72, v84, v78, vcc_lo
; %bb.52:
	s_or_b32 exec_lo, exec_lo, s3
	v_and_b32_e32 v78, 0x7f800000, v82
	s_delay_alu instid0(VALU_DEP_1) | instskip(SKIP_1) | instid1(SALU_CYCLE_1)
	v_cmp_ne_u32_e32 vcc_lo, 0x7f800000, v78
                                        ; implicit-def: $vgpr78
	s_and_saveexec_b32 s3, vcc_lo
	s_xor_b32 s3, exec_lo, s3
; %bb.53:
	v_bfe_u32 v78, v82, 16, 1
	s_delay_alu instid0(VALU_DEP_1)
	v_add3_u32 v78, v82, v78, 0x7fff
                                        ; implicit-def: $vgpr82
; %bb.54:
	s_and_not1_saveexec_b32 s3, s3
; %bb.55:
	v_and_b32_e32 v78, 0xffff, v82
	v_or_b32_e32 v84, 0x10000, v82
	s_delay_alu instid0(VALU_DEP_2) | instskip(NEXT) | instid1(VALU_DEP_2)
	v_cmp_eq_u32_e32 vcc_lo, 0, v78
	v_cndmask_b32_e32 v78, v84, v82, vcc_lo
; %bb.56:
	s_or_b32 exec_lo, exec_lo, s3
	v_and_b32_e32 v82, 0x7f800000, v83
	s_delay_alu instid0(VALU_DEP_1) | instskip(SKIP_1) | instid1(SALU_CYCLE_1)
	v_cmp_ne_u32_e32 vcc_lo, 0x7f800000, v82
                                        ; implicit-def: $vgpr82
	s_and_saveexec_b32 s3, vcc_lo
	s_xor_b32 s3, exec_lo, s3
; %bb.57:
	v_bfe_u32 v82, v83, 16, 1
	s_delay_alu instid0(VALU_DEP_1)
	v_add3_u32 v82, v83, v82, 0x7fff
                                        ; implicit-def: $vgpr83
; %bb.58:
	s_and_not1_saveexec_b32 s3, s3
; %bb.59:
	v_and_b32_e32 v82, 0xffff, v83
	v_or_b32_e32 v84, 0x10000, v83
	s_delay_alu instid0(VALU_DEP_2) | instskip(NEXT) | instid1(VALU_DEP_2)
	v_cmp_eq_u32_e32 vcc_lo, 0, v82
	v_cndmask_b32_e32 v82, v84, v83, vcc_lo
; %bb.60:
	s_or_b32 exec_lo, exec_lo, s3
	v_and_b32_e32 v83, 0x7f800000, v79
	s_delay_alu instid0(VALU_DEP_1) | instskip(SKIP_1) | instid1(SALU_CYCLE_1)
	v_cmp_ne_u32_e32 vcc_lo, 0x7f800000, v83
                                        ; implicit-def: $vgpr83
	s_and_saveexec_b32 s3, vcc_lo
	s_xor_b32 s3, exec_lo, s3
; %bb.61:
	v_bfe_u32 v83, v79, 16, 1
	s_delay_alu instid0(VALU_DEP_1)
	v_add3_u32 v83, v79, v83, 0x7fff
                                        ; implicit-def: $vgpr79
; %bb.62:
	s_and_not1_saveexec_b32 s3, s3
; %bb.63:
	v_and_b32_e32 v83, 0xffff, v79
	v_or_b32_e32 v84, 0x10000, v79
	s_delay_alu instid0(VALU_DEP_2) | instskip(NEXT) | instid1(VALU_DEP_2)
	v_cmp_eq_u32_e32 vcc_lo, 0, v83
	v_cndmask_b32_e32 v83, v84, v79, vcc_lo
; %bb.64:
	s_or_b32 exec_lo, exec_lo, s3
	v_and_b32_e32 v79, 0x7f800000, v80
	s_delay_alu instid0(VALU_DEP_1) | instskip(SKIP_1) | instid1(SALU_CYCLE_1)
	v_cmp_ne_u32_e32 vcc_lo, 0x7f800000, v79
                                        ; implicit-def: $vgpr79
	s_and_saveexec_b32 s3, vcc_lo
	s_xor_b32 s3, exec_lo, s3
; %bb.65:
	v_bfe_u32 v79, v80, 16, 1
	s_delay_alu instid0(VALU_DEP_1)
	v_add3_u32 v79, v80, v79, 0x7fff
                                        ; implicit-def: $vgpr80
; %bb.66:
	s_and_not1_saveexec_b32 s3, s3
; %bb.67:
	v_and_b32_e32 v79, 0xffff, v80
	v_or_b32_e32 v84, 0x10000, v80
	s_delay_alu instid0(VALU_DEP_2) | instskip(NEXT) | instid1(VALU_DEP_2)
	v_cmp_eq_u32_e32 vcc_lo, 0, v79
	v_cndmask_b32_e32 v79, v84, v80, vcc_lo
; %bb.68:
	s_or_b32 exec_lo, exec_lo, s3
	v_and_b32_e32 v80, 0x7f800000, v71
	s_delay_alu instid0(VALU_DEP_1) | instskip(SKIP_1) | instid1(SALU_CYCLE_1)
	v_cmp_ne_u32_e32 vcc_lo, 0x7f800000, v80
                                        ; implicit-def: $vgpr80
	s_and_saveexec_b32 s3, vcc_lo
	s_xor_b32 s3, exec_lo, s3
; %bb.69:
	v_bfe_u32 v80, v71, 16, 1
	s_delay_alu instid0(VALU_DEP_1)
	v_add3_u32 v80, v71, v80, 0x7fff
                                        ; implicit-def: $vgpr71
; %bb.70:
	s_and_not1_saveexec_b32 s3, s3
; %bb.71:
	v_and_b32_e32 v80, 0xffff, v71
	v_or_b32_e32 v84, 0x10000, v71
	s_delay_alu instid0(VALU_DEP_2) | instskip(NEXT) | instid1(VALU_DEP_2)
	v_cmp_eq_u32_e32 vcc_lo, 0, v80
	v_cndmask_b32_e32 v80, v84, v71, vcc_lo
; %bb.72:
	s_or_b32 exec_lo, exec_lo, s3
	v_and_b32_e32 v71, 0x7f800000, v66
	s_delay_alu instid0(VALU_DEP_1) | instskip(SKIP_1) | instid1(SALU_CYCLE_1)
	v_cmp_ne_u32_e32 vcc_lo, 0x7f800000, v71
                                        ; implicit-def: $vgpr71
	s_and_saveexec_b32 s3, vcc_lo
	s_xor_b32 s3, exec_lo, s3
; %bb.73:
	v_bfe_u32 v71, v66, 16, 1
	s_delay_alu instid0(VALU_DEP_1)
	v_add3_u32 v71, v66, v71, 0x7fff
                                        ; implicit-def: $vgpr66
; %bb.74:
	s_and_not1_saveexec_b32 s3, s3
; %bb.75:
	v_and_b32_e32 v71, 0xffff, v66
	v_or_b32_e32 v84, 0x10000, v66
	s_delay_alu instid0(VALU_DEP_2) | instskip(NEXT) | instid1(VALU_DEP_2)
	v_cmp_eq_u32_e32 vcc_lo, 0, v71
	v_cndmask_b32_e32 v71, v84, v66, vcc_lo
; %bb.76:
	s_or_b32 exec_lo, exec_lo, s3
	s_delay_alu instid0(VALU_DEP_1)
	v_perm_b32 v87, v71, v80, 0x7060302
	v_perm_b32 v86, v79, v83, 0x7060302
	;; [unrolled: 1-line block ×4, first 2 shown]
	v_lshl_or_b32 v83, v68, 11, v81
	ds_store_b128 v77, v[84:87] offset:1024
	s_waitcnt lgkmcnt(0)
	s_barrier
	buffer_gl0_inv
	ds_load_b128 v[84:87], v83
	ds_load_b128 v[88:91], v83 offset:16
	s_waitcnt lgkmcnt(1)
	v_lshrrev_b32_e32 v70, 16, v87
	s_waitcnt lgkmcnt(0)
	v_lshrrev_b32_e32 v71, 16, v88
	v_lshlrev_b32_e32 v79, 2, v65
	v_lshrrev_b32_e32 v65, 16, v84
	v_lshrrev_b32_e32 v66, 16, v85
	;; [unrolled: 1-line block ×4, first 2 shown]
	v_cmp_eq_u32_e32 vcc_lo, 1, v79
	v_lshrrev_b32_e32 v100, 16, v90
	v_lshrrev_b32_e32 v101, 16, v91
	v_cndmask_b32_e32 v92, v88, v71, vcc_lo
	v_or_b32_e32 v80, 1, v79
	v_cndmask_b32_e32 v82, v84, v65, vcc_lo
	v_cmp_eq_u32_e64 s4, 2, v79
	v_cmp_eq_u32_e64 s7, 3, v79
	;; [unrolled: 1-line block ×5, first 2 shown]
	v_cndmask_b32_e64 v82, v82, v85, s4
	v_cndmask_b32_e64 v92, v92, v89, s4
	v_cmp_eq_u32_e64 s8, 3, v80
	v_cndmask_b32_e64 v93, v84, v65, s3
	v_or_b32_e32 v78, 2, v79
	v_cndmask_b32_e64 v82, v82, v66, s7
	v_cndmask_b32_e64 v92, v92, v72, s7
	;; [unrolled: 1-line block ×4, first 2 shown]
	v_cmp_eq_u32_e64 s10, 5, v79
	v_cndmask_b32_e64 v82, v82, v86, s9
	v_cndmask_b32_e64 v92, v92, v90, s9
	v_cmp_eq_u32_e64 s11, 4, v80
	v_cndmask_b32_e64 v93, v93, v66, s8
	v_cmp_eq_u32_e64 s5, 1, v78
	v_cndmask_b32_e64 v94, v94, v89, s6
	v_cndmask_b32_e64 v82, v82, v68, s10
	v_cmp_eq_u32_e64 s12, 6, v79
	v_cndmask_b32_e64 v93, v93, v86, s11
	;; [unrolled: 3-line block ×3, first 2 shown]
	v_cndmask_b32_e64 v94, v94, v72, s8
	v_cndmask_b32_e64 v82, v82, v87, s12
	v_cmp_eq_u32_e64 s15, 7, v79
	v_cndmask_b32_e64 v93, v93, v68, s13
	v_cndmask_b32_e64 v92, v92, v91, s12
	v_cmp_eq_u32_e64 s16, 6, v80
	v_cmp_eq_u32_e64 s17, 2, v78
	v_cndmask_b32_e64 v94, v94, v90, s11
	v_cndmask_b32_e64 v102, v82, v70, s15
	;; [unrolled: 1-line block ×6, first 2 shown]
	v_cmp_eq_u32_e64 s18, 7, v80
	v_cmp_eq_u32_e64 s19, 3, v78
	;; [unrolled: 1-line block ×4, first 2 shown]
	v_cndmask_b32_e64 v92, v92, v89, s17
	v_cndmask_b32_e64 v104, v93, v70, s18
	;; [unrolled: 1-line block ×4, first 2 shown]
	v_or_b32_e32 v82, 3, v79
	v_cndmask_b32_e64 v97, v92, v72, s19
	v_cmp_eq_u32_e64 s24, 6, v78
	v_cndmask_b32_e64 v105, v93, v91, s16
	v_cndmask_b32_e64 v96, v94, v86, s20
	v_cmp_eq_u32_e64 s21, 1, v82
	ds_load_b128 v[92:95], v83 offset:1024
	v_cmp_eq_u32_e64 s23, 2, v82
	v_cmp_eq_u32_e64 s25, 3, v82
	v_cndmask_b32_e64 v106, v96, v68, s22
	v_cndmask_b32_e64 v65, v84, v65, s21
	;; [unrolled: 1-line block ×3, first 2 shown]
	ds_load_b128 v[96:99], v83 offset:1040
	v_cndmask_b32_e64 v71, v88, v71, s21
	v_cmp_eq_u32_e64 s26, 4, v82
	v_cndmask_b32_e64 v65, v65, v85, s23
	v_cmp_eq_u32_e64 s28, 5, v82
	v_cmp_eq_u32_e64 s29, 6, v82
	v_cndmask_b32_e64 v71, v71, v89, s23
	v_cndmask_b32_e64 v84, v84, v100, s22
	;; [unrolled: 1-line block ×4, first 2 shown]
	v_cmp_eq_u32_e64 s27, 7, v78
	v_cndmask_b32_e64 v71, v71, v72, s25
	v_cndmask_b32_e64 v84, v84, v91, s24
	;; [unrolled: 1-line block ×3, first 2 shown]
	s_waitcnt lgkmcnt(1)
	v_lshrrev_b32_e32 v72, 16, v92
	v_lshrrev_b32_e32 v88, 16, v93
	v_cndmask_b32_e64 v71, v71, v90, s26
	v_cndmask_b32_e64 v66, v66, v70, s27
	;; [unrolled: 1-line block ×3, first 2 shown]
	v_cndmask_b32_e32 v86, v92, v72, vcc_lo
	v_cndmask_b32_e64 v89, v92, v72, s3
	v_cndmask_b32_e64 v68, v71, v100, s28
	s_waitcnt lgkmcnt(0)
	v_lshrrev_b32_e32 v71, 16, v96
	v_cndmask_b32_e64 v65, v65, v87, s29
	v_cndmask_b32_e64 v86, v86, v93, s4
	;; [unrolled: 1-line block ×4, first 2 shown]
	v_cndmask_b32_e32 v90, v96, v71, vcc_lo
	v_cmp_eq_u32_e32 vcc_lo, 7, v82
	v_cndmask_b32_e64 v86, v86, v88, s7
	v_cndmask_b32_e64 v87, v87, v88, s8
	v_lshrrev_b32_e32 v91, 16, v94
	v_cndmask_b32_e64 v89, v90, v97, s4
	v_lshrrev_b32_e32 v90, 16, v97
	v_cndmask_b32_e64 v86, v86, v94, s9
	v_dual_cndmask_b32 v65, v65, v70 :: v_dual_cndmask_b32 v68, v68, v101
	v_cndmask_b32_e64 v70, v87, v94, s11
	s_delay_alu instid0(VALU_DEP_4) | instskip(NEXT) | instid1(VALU_DEP_4)
	v_cndmask_b32_e64 v89, v89, v90, s7
	v_cndmask_b32_e64 v86, v86, v91, s10
	v_lshrrev_b32_e32 v100, 16, v98
	v_cndmask_b32_e64 v84, v84, v101, s27
	v_perm_b32 v87, v68, v65, 0x5040100
	v_cndmask_b32_e64 v89, v89, v98, s9
	v_cndmask_b32_e64 v65, v70, v91, s13
	;; [unrolled: 1-line block ×3, first 2 shown]
	v_lshrrev_b32_e32 v70, 16, v95
	v_cndmask_b32_e64 v85, v105, v101, s18
	v_cndmask_b32_e64 v89, v89, v100, s10
	v_perm_b32 v86, v84, v66, 0x5040100
	v_cndmask_b32_e64 v101, v96, v71, s5
	v_cndmask_b32_e64 v66, v68, v70, s15
	;; [unrolled: 1-line block ×8, first 2 shown]
	v_lshrrev_b32_e32 v84, 16, v99
	v_cndmask_b32_e64 v89, v89, v93, s17
	v_cndmask_b32_e64 v72, v72, v93, s23
	;; [unrolled: 1-line block ×27, first 2 shown]
	v_cndmask_b32_e32 v70, v72, v70, vcc_lo
	v_cndmask_b32_e32 v72, v88, v84, vcc_lo
	v_cndmask_b32_e64 v88, v90, v84, s27
	v_cndmask_b32_e64 v71, v71, v84, s18
	;; [unrolled: 1-line block ×3, first 2 shown]
	v_perm_b32 v85, v85, v104, 0x5040100
	v_perm_b32 v84, v103, v102, 0x5040100
	;; [unrolled: 1-line block ×6, first 2 shown]
	s_lshl_b32 s8, s35, 1
	s_mov_b32 s3, exec_lo
	ds_store_b128 v77, v[84:87]
	ds_store_b128 v77, v[88:91] offset:1024
	v_cmpx_gt_u32_e32 2, v0
	s_cbranch_execz .LBB1919_78
; %bb.77:
	v_or_b32_e32 v65, s31, v0
	s_load_b128 s[4:7], s[0:1], 0x58
	s_delay_alu instid0(VALU_DEP_1) | instskip(NEXT) | instid1(VALU_DEP_1)
	v_mad_u64_u32 v[70:71], null, s8, s30, v[65:66]
	v_mad_u64_u32 v[65:66], null, v70, s34, s[14:15]
	s_delay_alu instid0(VALU_DEP_1) | instskip(NEXT) | instid1(VALU_DEP_1)
	v_ashrrev_i32_e32 v66, 31, v65
	v_lshlrev_b64 v[65:66], 2, v[65:66]
	s_waitcnt lgkmcnt(0)
	s_delay_alu instid0(VALU_DEP_1) | instskip(NEXT) | instid1(VALU_DEP_2)
	v_add_co_u32 v70, vcc_lo, s6, v65
	v_add_co_ci_u32_e32 v71, vcc_lo, s7, v66, vcc_lo
	v_add_co_u32 v65, vcc_lo, s4, v65
	v_add_co_ci_u32_e32 v66, vcc_lo, s5, v66, vcc_lo
	global_store_b32 v[70:71], v67, off
	global_store_b32 v[65:66], v69, off
.LBB1919_78:
	s_or_b32 exec_lo, exec_lo, s3
	s_waitcnt lgkmcnt(0)
	s_waitcnt_vscnt null, 0x0
	s_barrier
	buffer_gl0_inv
	ds_load_b128 v[84:87], v81
	ds_load_b128 v[88:91], v81 offset:16
	ds_load_b128 v[96:99], v81 offset:2064
	;; [unrolled: 1-line block ×3, first 2 shown]
	v_mov_b32_e32 v65, 0
	ds_load_b128 v[104:107], v81 offset:4112
	ds_load_b128 v[100:103], v81 offset:4096
	;; [unrolled: 1-line block ×4, first 2 shown]
	v_mov_b32_e32 v66, v65
	v_mov_b32_e32 v67, v65
	;; [unrolled: 1-line block ×7, first 2 shown]
	s_waitcnt lgkmcnt(6)
	s_delay_alu instid0(VALU_DEP_1)
	v_wmma_f32_16x16x16_bf16 v[65:72], v[41:48], v[84:91], v[65:72]
	ds_load_b128 v[45:48], v81 offset:8208
	ds_load_b128 v[41:44], v81 offset:8192
	s_waitcnt lgkmcnt(6)
	v_wmma_f32_16x16x16_bf16 v[65:72], v[33:40], v[92:99], v[65:72]
	ds_load_b128 v[37:40], v81 offset:10256
	ds_load_b128 v[33:36], v81 offset:10240
	s_waitcnt lgkmcnt(6)
	;; [unrolled: 4-line block ×4, first 2 shown]
	v_wmma_f32_16x16x16_bf16 v[65:72], v[1:8], v[41:48], v[65:72]
	s_waitcnt lgkmcnt(4)
	s_delay_alu instid0(VALU_DEP_1) | instskip(SKIP_1) | instid1(VALU_DEP_1)
	v_wmma_f32_16x16x16_bf16 v[65:72], v[9:16], v[33:40], v[65:72]
	s_waitcnt lgkmcnt(2)
	v_wmma_f32_16x16x16_bf16 v[65:72], v[57:64], v[25:32], v[65:72]
	s_waitcnt lgkmcnt(0)
	s_delay_alu instid0(VALU_DEP_1) | instskip(NEXT) | instid1(VALU_DEP_1)
	v_wmma_f32_16x16x16_bf16 v[65:72], v[49:56], v[17:24], v[65:72]
	v_and_b32_e32 v1, 0x7f800000, v65
	s_delay_alu instid0(VALU_DEP_1) | instskip(SKIP_1) | instid1(SALU_CYCLE_1)
	v_cmp_ne_u32_e32 vcc_lo, 0x7f800000, v1
                                        ; implicit-def: $vgpr1
	s_and_saveexec_b32 s3, vcc_lo
	s_xor_b32 s3, exec_lo, s3
; %bb.79:
	v_bfe_u32 v1, v65, 16, 1
	s_delay_alu instid0(VALU_DEP_1)
	v_add3_u32 v1, v65, v1, 0x7fff
; %bb.80:
	s_and_not1_saveexec_b32 s3, s3
; %bb.81:
	v_and_b32_e32 v1, 0xffff, v65
	v_or_b32_e32 v2, 0x10000, v65
	s_delay_alu instid0(VALU_DEP_2) | instskip(NEXT) | instid1(VALU_DEP_2)
	v_cmp_eq_u32_e32 vcc_lo, 0, v1
	v_cndmask_b32_e32 v1, v2, v65, vcc_lo
; %bb.82:
	s_or_b32 exec_lo, exec_lo, s3
	v_and_b32_e32 v2, 0x7f800000, v66
	s_delay_alu instid0(VALU_DEP_1) | instskip(SKIP_1) | instid1(SALU_CYCLE_1)
	v_cmp_ne_u32_e32 vcc_lo, 0x7f800000, v2
                                        ; implicit-def: $vgpr2
	s_and_saveexec_b32 s3, vcc_lo
	s_xor_b32 s3, exec_lo, s3
; %bb.83:
	v_bfe_u32 v2, v66, 16, 1
	s_delay_alu instid0(VALU_DEP_1)
	v_add3_u32 v2, v66, v2, 0x7fff
; %bb.84:
	s_and_not1_saveexec_b32 s3, s3
; %bb.85:
	v_and_b32_e32 v2, 0xffff, v66
	v_or_b32_e32 v3, 0x10000, v66
	s_delay_alu instid0(VALU_DEP_2) | instskip(NEXT) | instid1(VALU_DEP_2)
	v_cmp_eq_u32_e32 vcc_lo, 0, v2
	v_cndmask_b32_e32 v2, v3, v66, vcc_lo
; %bb.86:
	s_or_b32 exec_lo, exec_lo, s3
	v_and_b32_e32 v3, 0x7f800000, v67
	s_delay_alu instid0(VALU_DEP_1) | instskip(SKIP_1) | instid1(SALU_CYCLE_1)
	v_cmp_ne_u32_e32 vcc_lo, 0x7f800000, v3
                                        ; implicit-def: $vgpr3
	s_and_saveexec_b32 s3, vcc_lo
	s_xor_b32 s3, exec_lo, s3
; %bb.87:
	v_bfe_u32 v3, v67, 16, 1
	s_delay_alu instid0(VALU_DEP_1)
	v_add3_u32 v3, v67, v3, 0x7fff
; %bb.88:
	s_and_not1_saveexec_b32 s3, s3
; %bb.89:
	v_and_b32_e32 v3, 0xffff, v67
	v_or_b32_e32 v4, 0x10000, v67
	s_delay_alu instid0(VALU_DEP_2) | instskip(NEXT) | instid1(VALU_DEP_2)
	v_cmp_eq_u32_e32 vcc_lo, 0, v3
	v_cndmask_b32_e32 v3, v4, v67, vcc_lo
; %bb.90:
	s_or_b32 exec_lo, exec_lo, s3
	v_and_b32_e32 v4, 0x7f800000, v68
	s_delay_alu instid0(VALU_DEP_1) | instskip(SKIP_1) | instid1(SALU_CYCLE_1)
	v_cmp_ne_u32_e32 vcc_lo, 0x7f800000, v4
                                        ; implicit-def: $vgpr4
	s_and_saveexec_b32 s3, vcc_lo
	s_xor_b32 s3, exec_lo, s3
; %bb.91:
	v_bfe_u32 v4, v68, 16, 1
	s_delay_alu instid0(VALU_DEP_1)
	v_add3_u32 v4, v68, v4, 0x7fff
; %bb.92:
	s_and_not1_saveexec_b32 s3, s3
; %bb.93:
	v_and_b32_e32 v4, 0xffff, v68
	v_or_b32_e32 v5, 0x10000, v68
	s_delay_alu instid0(VALU_DEP_2) | instskip(NEXT) | instid1(VALU_DEP_2)
	v_cmp_eq_u32_e32 vcc_lo, 0, v4
	v_cndmask_b32_e32 v4, v5, v68, vcc_lo
; %bb.94:
	s_or_b32 exec_lo, exec_lo, s3
	v_and_b32_e32 v5, 0x7f800000, v69
	s_delay_alu instid0(VALU_DEP_1) | instskip(SKIP_1) | instid1(SALU_CYCLE_1)
	v_cmp_ne_u32_e32 vcc_lo, 0x7f800000, v5
                                        ; implicit-def: $vgpr5
	s_and_saveexec_b32 s3, vcc_lo
	s_xor_b32 s3, exec_lo, s3
; %bb.95:
	v_bfe_u32 v5, v69, 16, 1
	s_delay_alu instid0(VALU_DEP_1)
	v_add3_u32 v5, v69, v5, 0x7fff
; %bb.96:
	s_and_not1_saveexec_b32 s3, s3
; %bb.97:
	v_and_b32_e32 v5, 0xffff, v69
	v_or_b32_e32 v6, 0x10000, v69
	s_delay_alu instid0(VALU_DEP_2) | instskip(NEXT) | instid1(VALU_DEP_2)
	v_cmp_eq_u32_e32 vcc_lo, 0, v5
	v_cndmask_b32_e32 v5, v6, v69, vcc_lo
; %bb.98:
	s_or_b32 exec_lo, exec_lo, s3
	v_and_b32_e32 v6, 0x7f800000, v70
	s_delay_alu instid0(VALU_DEP_1) | instskip(SKIP_1) | instid1(SALU_CYCLE_1)
	v_cmp_ne_u32_e32 vcc_lo, 0x7f800000, v6
                                        ; implicit-def: $vgpr6
	s_and_saveexec_b32 s3, vcc_lo
	s_xor_b32 s3, exec_lo, s3
; %bb.99:
	v_bfe_u32 v6, v70, 16, 1
	s_delay_alu instid0(VALU_DEP_1)
	v_add3_u32 v6, v70, v6, 0x7fff
; %bb.100:
	s_and_not1_saveexec_b32 s3, s3
; %bb.101:
	v_and_b32_e32 v6, 0xffff, v70
	v_or_b32_e32 v7, 0x10000, v70
	s_delay_alu instid0(VALU_DEP_2) | instskip(NEXT) | instid1(VALU_DEP_2)
	v_cmp_eq_u32_e32 vcc_lo, 0, v6
	v_cndmask_b32_e32 v6, v7, v70, vcc_lo
; %bb.102:
	s_or_b32 exec_lo, exec_lo, s3
	v_and_b32_e32 v7, 0x7f800000, v71
	s_delay_alu instid0(VALU_DEP_1) | instskip(SKIP_1) | instid1(SALU_CYCLE_1)
	v_cmp_ne_u32_e32 vcc_lo, 0x7f800000, v7
                                        ; implicit-def: $vgpr7
	s_and_saveexec_b32 s3, vcc_lo
	s_xor_b32 s3, exec_lo, s3
; %bb.103:
	v_bfe_u32 v7, v71, 16, 1
	s_delay_alu instid0(VALU_DEP_1)
	v_add3_u32 v7, v71, v7, 0x7fff
; %bb.104:
	s_and_not1_saveexec_b32 s3, s3
; %bb.105:
	v_and_b32_e32 v7, 0xffff, v71
	v_or_b32_e32 v8, 0x10000, v71
	s_delay_alu instid0(VALU_DEP_2) | instskip(NEXT) | instid1(VALU_DEP_2)
	v_cmp_eq_u32_e32 vcc_lo, 0, v7
	v_cndmask_b32_e32 v7, v8, v71, vcc_lo
; %bb.106:
	s_or_b32 exec_lo, exec_lo, s3
	v_and_b32_e32 v8, 0x7f800000, v72
	s_delay_alu instid0(VALU_DEP_1) | instskip(SKIP_1) | instid1(SALU_CYCLE_1)
	v_cmp_ne_u32_e32 vcc_lo, 0x7f800000, v8
                                        ; implicit-def: $vgpr8
	s_and_saveexec_b32 s3, vcc_lo
	s_xor_b32 s3, exec_lo, s3
; %bb.107:
	v_bfe_u32 v8, v72, 16, 1
	s_delay_alu instid0(VALU_DEP_1)
	v_add3_u32 v8, v72, v8, 0x7fff
                                        ; implicit-def: $vgpr65_vgpr66_vgpr67_vgpr68_vgpr69_vgpr70_vgpr71_vgpr72
; %bb.108:
	s_and_not1_saveexec_b32 s3, s3
; %bb.109:
	v_and_b32_e32 v8, 0xffff, v72
	v_or_b32_e32 v9, 0x10000, v72
	s_delay_alu instid0(VALU_DEP_2) | instskip(NEXT) | instid1(VALU_DEP_2)
	v_cmp_eq_u32_e32 vcc_lo, 0, v8
	v_cndmask_b32_e32 v8, v9, v72, vcc_lo
; %bb.110:
	s_or_b32 exec_lo, exec_lo, s3
	s_delay_alu instid0(VALU_DEP_1)
	v_perm_b32 v7, v8, v7, 0x7060302
	v_perm_b32 v6, v6, v5, 0x7060302
	v_perm_b32 v5, v4, v3, 0x7060302
	v_perm_b32 v4, v2, v1, 0x7060302
	s_barrier
	buffer_gl0_inv
	v_cmp_eq_u32_e32 vcc_lo, 1, v79
	ds_store_b128 v77, v[4:7]
	s_waitcnt lgkmcnt(0)
	s_barrier
	buffer_gl0_inv
	ds_load_b128 v[1:4], v83
	ds_load_b128 v[5:8], v83 offset:16
	v_cmp_eq_u32_e64 s3, 1, v80
	v_cmp_eq_u32_e64 s4, 2, v79
	;; [unrolled: 1-line block ×5, first 2 shown]
	s_waitcnt lgkmcnt(1)
	v_lshrrev_b32_e32 v9, 16, v1
	s_waitcnt lgkmcnt(0)
	v_lshrrev_b32_e32 v13, 16, v5
	v_lshrrev_b32_e32 v10, 16, v2
	;; [unrolled: 1-line block ×4, first 2 shown]
	v_cndmask_b32_e64 v19, v1, v9, s3
	v_cndmask_b32_e32 v18, v5, v13, vcc_lo
	v_cndmask_b32_e64 v20, v5, v13, s3
	v_cndmask_b32_e32 v17, v1, v9, vcc_lo
	v_cmp_eq_u32_e32 vcc_lo, 2, v80
	v_lshrrev_b32_e32 v15, 16, v7
	v_cmp_eq_u32_e64 s3, 1, v78
	v_lshrrev_b32_e32 v12, 16, v4
	v_lshrrev_b32_e32 v16, 16, v8
	v_cndmask_b32_e32 v20, v20, v6, vcc_lo
	v_cndmask_b32_e64 v17, v17, v2, s4
	v_cndmask_b32_e32 v19, v19, v2, vcc_lo
	v_cndmask_b32_e64 v18, v18, v6, s4
	v_cmp_eq_u32_e32 vcc_lo, 4, v79
	v_cmp_eq_u32_e64 s4, 3, v80
	v_cndmask_b32_e64 v17, v17, v10, s5
	v_cndmask_b32_e64 v21, v1, v9, s3
	;; [unrolled: 1-line block ×5, first 2 shown]
	v_cndmask_b32_e32 v17, v17, v3, vcc_lo
	v_cndmask_b32_e64 v20, v20, v14, s4
	v_cndmask_b32_e32 v18, v18, v7, vcc_lo
	v_cmp_eq_u32_e32 vcc_lo, 4, v80
	v_cmp_eq_u32_e64 s4, 5, v80
	v_cmp_eq_u32_e64 s3, 2, v82
	v_cndmask_b32_e64 v21, v21, v2, s7
	v_cmp_eq_u32_e64 s5, 5, v79
	v_cndmask_b32_e32 v19, v19, v3, vcc_lo
	v_cndmask_b32_e32 v20, v20, v7, vcc_lo
	v_cmp_eq_u32_e32 vcc_lo, 6, v80
	s_delay_alu instid0(VALU_DEP_4) | instskip(NEXT) | instid1(VALU_DEP_4)
	v_cndmask_b32_e64 v17, v17, v11, s5
	v_cndmask_b32_e64 v19, v19, v11, s4
	s_delay_alu instid0(VALU_DEP_4) | instskip(SKIP_1) | instid1(VALU_DEP_3)
	v_cndmask_b32_e64 v20, v20, v15, s4
	v_cmp_eq_u32_e64 s4, 1, v82
	v_cndmask_b32_e32 v19, v19, v4, vcc_lo
	v_cndmask_b32_e64 v18, v18, v15, s5
	s_delay_alu instid0(VALU_DEP_3)
	v_cndmask_b32_e64 v1, v1, v9, s4
	v_cndmask_b32_e64 v5, v5, v13, s4
	v_cmp_eq_u32_e64 s4, 3, v78
	v_cndmask_b32_e64 v13, v22, v6, s7
	v_cmp_eq_u32_e64 s7, 3, v82
	v_cndmask_b32_e64 v1, v1, v2, s3
	v_cndmask_b32_e64 v2, v5, v6, s3
	;; [unrolled: 1-line block ×3, first 2 shown]
	v_cmp_eq_u32_e64 s3, 4, v78
	v_cndmask_b32_e64 v6, v13, v14, s4
	v_cndmask_b32_e64 v1, v1, v10, s7
	v_cmp_eq_u32_e64 s4, 4, v82
	v_cndmask_b32_e64 v2, v2, v14, s7
	v_cndmask_b32_e64 v5, v9, v3, s3
	;; [unrolled: 3-line block ×3, first 2 shown]
	v_cndmask_b32_e64 v2, v2, v7, s4
	v_cmp_eq_u32_e64 s3, 5, v82
	v_cmp_eq_u32_e64 s5, 6, v79
	v_cndmask_b32_e64 v5, v5, v11, s7
	v_cmp_eq_u32_e64 s4, 6, v78
	v_cndmask_b32_e64 v3, v6, v15, s7
	v_cndmask_b32_e64 v1, v1, v11, s3
	v_cmp_eq_u32_e64 s7, 6, v82
	v_cndmask_b32_e64 v2, v2, v15, s3
	v_cndmask_b32_e64 v17, v17, v4, s5
	v_cndmask_b32_e64 v18, v18, v8, s5
	v_cmp_eq_u32_e64 s5, 7, v79
	v_cndmask_b32_e64 v5, v5, v4, s4
	;; [unrolled: 4-line block ×3, first 2 shown]
	v_cmp_eq_u32_e64 s4, 7, v78
	v_cndmask_b32_e32 v4, v20, v8, vcc_lo
	v_cndmask_b32_e64 v17, v17, v12, s5
	v_cndmask_b32_e64 v19, v19, v12, s6
	;; [unrolled: 1-line block ×8, first 2 shown]
	s_delay_alu instid0(VALU_DEP_4) | instskip(NEXT) | instid1(VALU_DEP_4)
	v_perm_b32 v4, v2, v1, 0x5040100
	v_perm_b32 v3, v3, v5, 0x5040100
	s_delay_alu instid0(VALU_DEP_4) | instskip(NEXT) | instid1(VALU_DEP_4)
	v_perm_b32 v2, v6, v19, 0x5040100
	v_perm_b32 v1, v7, v17, 0x5040100
	ds_store_b128 v77, v[1:4]
	s_waitcnt lgkmcnt(0)
	s_barrier
	buffer_gl0_inv
	s_and_saveexec_b32 s3, s2
	s_cbranch_execz .LBB1919_2
; %bb.111:
	s_load_b64 s[0:1], s[0:1], 0x68
	v_lshlrev_b32_e32 v0, 10, v0
	s_lshl_b32 s2, s34, 7
	v_lshlrev_b32_e32 v1, 4, v76
	v_mul_lo_u32 v4, s2, v75
	s_mul_i32 s3, s2, s30
	v_and_b32_e32 v0, 0x3800, v0
	s_mul_i32 s2, s3, s8
	s_delay_alu instid0(SALU_CYCLE_1) | instskip(NEXT) | instid1(VALU_DEP_1)
	s_ashr_i32 s3, s2, 31
	v_or3_b32 v0, v0, v74, v1
	s_lshl_b64 s[2:3], s[2:3], 1
	s_delay_alu instid0(VALU_DEP_3)
	v_ashrrev_i32_e32 v5, 31, v4
	ds_load_b128 v[0:3], v0
	v_lshlrev_b64 v[4:5], 1, v[4:5]
	s_waitcnt lgkmcnt(0)
	s_add_u32 s2, s0, s2
	s_addc_u32 s3, s1, s3
	s_lshl_b32 s0, s14, 7
	s_delay_alu instid0(SALU_CYCLE_1) | instskip(NEXT) | instid1(SALU_CYCLE_1)
	s_ashr_i32 s1, s0, 31
	s_lshl_b64 s[0:1], s[0:1], 1
	s_delay_alu instid0(SALU_CYCLE_1) | instskip(SKIP_3) | instid1(VALU_DEP_2)
	s_add_u32 s0, s2, s0
	s_addc_u32 s1, s3, s1
	v_add_co_u32 v4, vcc_lo, s0, v4
	v_add_co_ci_u32_e32 v5, vcc_lo, s1, v5, vcc_lo
	v_add_co_u32 v4, vcc_lo, v4, v73
	s_delay_alu instid0(VALU_DEP_2)
	v_add_co_ci_u32_e32 v5, vcc_lo, 0, v5, vcc_lo
	global_store_b128 v[4:5], v[0:3], off
	s_nop 0
	s_sendmsg sendmsg(MSG_DEALLOC_VGPRS)
	s_endpgm
	.section	.rodata,"a",@progbits
	.p2align	6, 0x0
	.amdhsa_kernel _Z39paged_attention_ll4mi_QKV_mfma16_kernelI14__hip_bfloat16hLN4vllm18Fp8KVCacheDataTypeE1ES0_Li32ELi128ELi256ELb0ELi2EL8MFMAType0EEvPKT_PKT0_S9_ifPKiSB_SB_iPKfiiiPfSE_PS4_PT2_iSD_SD_
		.amdhsa_group_segment_fixed_size 17472
		.amdhsa_private_segment_fixed_size 0
		.amdhsa_kernarg_size 400
		.amdhsa_user_sgpr_count 13
		.amdhsa_user_sgpr_dispatch_ptr 0
		.amdhsa_user_sgpr_queue_ptr 0
		.amdhsa_user_sgpr_kernarg_segment_ptr 1
		.amdhsa_user_sgpr_dispatch_id 0
		.amdhsa_user_sgpr_private_segment_size 0
		.amdhsa_wavefront_size32 1
		.amdhsa_uses_dynamic_stack 0
		.amdhsa_enable_private_segment 0
		.amdhsa_system_sgpr_workgroup_id_x 1
		.amdhsa_system_sgpr_workgroup_id_y 1
		.amdhsa_system_sgpr_workgroup_id_z 1
		.amdhsa_system_sgpr_workgroup_info 0
		.amdhsa_system_vgpr_workitem_id 0
		.amdhsa_next_free_vgpr 138
		.amdhsa_next_free_sgpr 37
		.amdhsa_reserve_vcc 1
		.amdhsa_float_round_mode_32 0
		.amdhsa_float_round_mode_16_64 0
		.amdhsa_float_denorm_mode_32 3
		.amdhsa_float_denorm_mode_16_64 3
		.amdhsa_dx10_clamp 1
		.amdhsa_ieee_mode 1
		.amdhsa_fp16_overflow 0
		.amdhsa_workgroup_processor_mode 1
		.amdhsa_memory_ordered 1
		.amdhsa_forward_progress 0
		.amdhsa_shared_vgpr_count 0
		.amdhsa_exception_fp_ieee_invalid_op 0
		.amdhsa_exception_fp_denorm_src 0
		.amdhsa_exception_fp_ieee_div_zero 0
		.amdhsa_exception_fp_ieee_overflow 0
		.amdhsa_exception_fp_ieee_underflow 0
		.amdhsa_exception_fp_ieee_inexact 0
		.amdhsa_exception_int_div_zero 0
	.end_amdhsa_kernel
	.section	.text._Z39paged_attention_ll4mi_QKV_mfma16_kernelI14__hip_bfloat16hLN4vllm18Fp8KVCacheDataTypeE1ES0_Li32ELi128ELi256ELb0ELi2EL8MFMAType0EEvPKT_PKT0_S9_ifPKiSB_SB_iPKfiiiPfSE_PS4_PT2_iSD_SD_,"axG",@progbits,_Z39paged_attention_ll4mi_QKV_mfma16_kernelI14__hip_bfloat16hLN4vllm18Fp8KVCacheDataTypeE1ES0_Li32ELi128ELi256ELb0ELi2EL8MFMAType0EEvPKT_PKT0_S9_ifPKiSB_SB_iPKfiiiPfSE_PS4_PT2_iSD_SD_,comdat
.Lfunc_end1919:
	.size	_Z39paged_attention_ll4mi_QKV_mfma16_kernelI14__hip_bfloat16hLN4vllm18Fp8KVCacheDataTypeE1ES0_Li32ELi128ELi256ELb0ELi2EL8MFMAType0EEvPKT_PKT0_S9_ifPKiSB_SB_iPKfiiiPfSE_PS4_PT2_iSD_SD_, .Lfunc_end1919-_Z39paged_attention_ll4mi_QKV_mfma16_kernelI14__hip_bfloat16hLN4vllm18Fp8KVCacheDataTypeE1ES0_Li32ELi128ELi256ELb0ELi2EL8MFMAType0EEvPKT_PKT0_S9_ifPKiSB_SB_iPKfiiiPfSE_PS4_PT2_iSD_SD_
                                        ; -- End function
	.section	.AMDGPU.csdata,"",@progbits
; Kernel info:
; codeLenInByte = 8652
; NumSgprs: 39
; NumVgprs: 138
; ScratchSize: 0
; MemoryBound: 0
; FloatMode: 240
; IeeeMode: 1
; LDSByteSize: 17472 bytes/workgroup (compile time only)
; SGPRBlocks: 4
; VGPRBlocks: 17
; NumSGPRsForWavesPerEU: 39
; NumVGPRsForWavesPerEU: 138
; Occupancy: 10
; WaveLimiterHint : 1
; COMPUTE_PGM_RSRC2:SCRATCH_EN: 0
; COMPUTE_PGM_RSRC2:USER_SGPR: 13
; COMPUTE_PGM_RSRC2:TRAP_HANDLER: 0
; COMPUTE_PGM_RSRC2:TGID_X_EN: 1
; COMPUTE_PGM_RSRC2:TGID_Y_EN: 1
; COMPUTE_PGM_RSRC2:TGID_Z_EN: 1
; COMPUTE_PGM_RSRC2:TIDIG_COMP_CNT: 0
	.section	.text._Z39paged_attention_ll4mi_QKV_mfma16_kernelI14__hip_bfloat16hLN4vllm18Fp8KVCacheDataTypeE1ES0_Li32ELi128ELi256ELb0ELi3EL8MFMAType0EEvPKT_PKT0_S9_ifPKiSB_SB_iPKfiiiPfSE_PS4_PT2_iSD_SD_,"axG",@progbits,_Z39paged_attention_ll4mi_QKV_mfma16_kernelI14__hip_bfloat16hLN4vllm18Fp8KVCacheDataTypeE1ES0_Li32ELi128ELi256ELb0ELi3EL8MFMAType0EEvPKT_PKT0_S9_ifPKiSB_SB_iPKfiiiPfSE_PS4_PT2_iSD_SD_,comdat
	.protected	_Z39paged_attention_ll4mi_QKV_mfma16_kernelI14__hip_bfloat16hLN4vllm18Fp8KVCacheDataTypeE1ES0_Li32ELi128ELi256ELb0ELi3EL8MFMAType0EEvPKT_PKT0_S9_ifPKiSB_SB_iPKfiiiPfSE_PS4_PT2_iSD_SD_ ; -- Begin function _Z39paged_attention_ll4mi_QKV_mfma16_kernelI14__hip_bfloat16hLN4vllm18Fp8KVCacheDataTypeE1ES0_Li32ELi128ELi256ELb0ELi3EL8MFMAType0EEvPKT_PKT0_S9_ifPKiSB_SB_iPKfiiiPfSE_PS4_PT2_iSD_SD_
	.globl	_Z39paged_attention_ll4mi_QKV_mfma16_kernelI14__hip_bfloat16hLN4vllm18Fp8KVCacheDataTypeE1ES0_Li32ELi128ELi256ELb0ELi3EL8MFMAType0EEvPKT_PKT0_S9_ifPKiSB_SB_iPKfiiiPfSE_PS4_PT2_iSD_SD_
	.p2align	8
	.type	_Z39paged_attention_ll4mi_QKV_mfma16_kernelI14__hip_bfloat16hLN4vllm18Fp8KVCacheDataTypeE1ES0_Li32ELi128ELi256ELb0ELi3EL8MFMAType0EEvPKT_PKT0_S9_ifPKiSB_SB_iPKfiiiPfSE_PS4_PT2_iSD_SD_,@function
_Z39paged_attention_ll4mi_QKV_mfma16_kernelI14__hip_bfloat16hLN4vllm18Fp8KVCacheDataTypeE1ES0_Li32ELi128ELi256ELb0ELi3EL8MFMAType0EEvPKT_PKT0_S9_ifPKiSB_SB_iPKfiiiPfSE_PS4_PT2_iSD_SD_: ; @_Z39paged_attention_ll4mi_QKV_mfma16_kernelI14__hip_bfloat16hLN4vllm18Fp8KVCacheDataTypeE1ES0_Li32ELi128ELi256ELb0ELi3EL8MFMAType0EEvPKT_PKT0_S9_ifPKiSB_SB_iPKfiiiPfSE_PS4_PT2_iSD_SD_
; %bb.0:
	s_load_b64 s[4:5], s[0:1], 0x30
	s_mov_b32 s30, s13
	s_waitcnt lgkmcnt(0)
	s_cmp_lg_u64 s[4:5], 0
	s_cselect_b32 s13, -1, 0
	s_ashr_i32 s31, s30, 31
	s_cmp_eq_u64 s[4:5], 0
	s_cbranch_scc1 .LBB1920_3
; %bb.1:
	s_lshl_b64 s[2:3], s[30:31], 2
	s_delay_alu instid0(SALU_CYCLE_1) | instskip(SKIP_4) | instid1(SALU_CYCLE_1)
	s_add_u32 s2, s4, s2
	s_addc_u32 s3, s5, s3
	s_load_b64 s[2:3], s[2:3], 0x0
	s_waitcnt lgkmcnt(0)
	s_sub_i32 s2, s3, s2
	s_cmp_eq_u32 s2, 1
	s_cselect_b32 s2, -1, 0
	s_delay_alu instid0(SALU_CYCLE_1)
	s_and_not1_b32 vcc_lo, exec_lo, s2
	s_cbranch_vccz .LBB1920_4
.LBB1920_2:
	s_nop 0
	s_sendmsg sendmsg(MSG_DEALLOC_VGPRS)
	s_endpgm
.LBB1920_3:
.LBB1920_4:
	s_load_b64 s[2:3], s[0:1], 0x28
	s_lshl_b64 s[6:7], s[30:31], 2
	s_waitcnt lgkmcnt(0)
	s_add_u32 s2, s2, s6
	s_addc_u32 s3, s3, s7
	s_lshl_b32 s12, s14, 8
	s_load_b32 s17, s[2:3], 0x0
	s_waitcnt lgkmcnt(0)
	s_cmp_ge_i32 s12, s17
	s_cbranch_scc1 .LBB1920_2
; %bb.5:
	s_clause 0x1
	s_load_b128 s[8:11], s[0:1], 0x8
	s_load_b64 s[2:3], s[0:1], 0x20
	s_and_not1_b32 vcc_lo, exec_lo, s13
	s_cbranch_vccnz .LBB1920_7
; %bb.6:
	s_add_u32 s4, s4, s6
	s_addc_u32 s5, s5, s7
	s_load_b32 s13, s[4:5], 0x0
	s_branch .LBB1920_8
.LBB1920_7:
	s_mov_b32 s13, s30
.LBB1920_8:
	s_load_b128 s[4:7], s[0:1], 0x48
	v_and_b32_e32 v65, 15, v0
	v_lshrrev_b32_e32 v66, 5, v0
	v_bfe_u32 v74, v0, 4, 1
	v_and_b32_e32 v67, 31, v0
	v_and_b32_e32 v75, 1, v0
	v_lshlrev_b32_e32 v2, 3, v65
	s_mul_i32 s31, s15, 3
	v_lshl_or_b32 v1, v66, 1, v74
	s_waitcnt lgkmcnt(0)
	s_mov_b32 s7, exec_lo
	v_lshlrev_b32_e32 v73, 1, v2
	s_delay_alu instid0(VALU_DEP_2)
	v_cmpx_gt_u32_e32 3, v1
	s_cbranch_execz .LBB1920_10
; %bb.9:
	s_load_b64 s[18:19], s[0:1], 0x0
	v_add_lshl_u32 v2, v1, s31, 7
	s_mul_hi_i32 s21, s13, s4
	s_mul_i32 s20, s13, s4
	v_lshlrev_b32_e32 v6, 10, v65
	s_lshl_b64 s[20:21], s[20:21], 1
	v_ashrrev_i32_e32 v3, 31, v2
	v_lshlrev_b32_e32 v1, 6, v1
	v_lshlrev_b32_e32 v7, 10, v75
	v_and_b32_e32 v6, 0x3800, v6
	s_delay_alu instid0(VALU_DEP_4) | instskip(NEXT) | instid1(VALU_DEP_2)
	v_lshlrev_b64 v[2:3], 1, v[2:3]
	v_or3_b32 v1, v6, v7, v1
	s_waitcnt lgkmcnt(0)
	s_add_u32 s4, s18, s20
	s_addc_u32 s13, s19, s21
	s_delay_alu instid0(VALU_DEP_2) | instskip(SKIP_1) | instid1(VALU_DEP_2)
	v_add_co_u32 v2, vcc_lo, s4, v2
	v_add_co_ci_u32_e32 v3, vcc_lo, s13, v3, vcc_lo
	v_add_co_u32 v2, vcc_lo, v2, v73
	s_delay_alu instid0(VALU_DEP_2)
	v_add_co_ci_u32_e32 v3, vcc_lo, 0, v3, vcc_lo
	global_load_b128 v[2:5], v[2:3], off
	s_waitcnt vmcnt(0)
	ds_store_b128 v1, v[2:5]
.LBB1920_10:
	s_or_b32 exec_lo, exec_lo, s7
	v_and_b32_e32 v1, 0xef, v0
	s_add_i32 s4, s17, 31
	s_clause 0x1
	s_load_b32 s7, s[0:1], 0x38
	s_load_b32 s18, s[0:1], 0x1c
	s_ashr_i32 s13, s4, 31
	v_add_nc_u32_e32 v2, s12, v1
	s_lshr_b32 s13, s13, 27
	s_waitcnt lgkmcnt(0)
	s_add_i32 s4, s4, s13
	s_barrier
	v_ashrrev_i32_e32 v1, 31, v2
	s_ashr_i32 s4, s4, 5
	v_cmp_gt_i32_e32 vcc_lo, s17, v2
	s_add_i32 s4, s4, -1
	buffer_gl0_inv
	v_lshrrev_b32_e32 v3, 27, v1
	v_or_b32_e32 v1, 16, v2
	s_mul_i32 s15, s15, s6
	s_delay_alu instid0(VALU_DEP_2) | instskip(SKIP_1) | instid1(SALU_CYCLE_1)
	v_add_nc_u32_e32 v4, v2, v3
	s_mul_i32 s20, s30, s7
	s_ashr_i32 s21, s20, 31
	s_delay_alu instid0(VALU_DEP_1) | instskip(SKIP_2) | instid1(SALU_CYCLE_1)
	v_ashrrev_i32_e32 v4, 5, v4
	v_add_nc_u32_e32 v3, v1, v3
	s_lshl_b64 s[20:21], s[20:21], 2
	s_add_u32 s7, s2, s20
	s_delay_alu instid0(VALU_DEP_2) | instskip(NEXT) | instid1(VALU_DEP_2)
	v_cndmask_b32_e32 v2, s4, v4, vcc_lo
	v_ashrrev_i32_e32 v3, 5, v3
	v_cmp_gt_i32_e32 vcc_lo, s17, v1
	s_addc_u32 s13, s3, s21
	s_ashr_i32 s6, s15, 31
	s_add_u32 s2, s8, s15
	s_addc_u32 s3, s9, s6
	v_cndmask_b32_e32 v4, s4, v3, vcc_lo
	v_ashrrev_i32_e32 v3, 31, v2
	s_lshl_b32 s8, s14, 3
	s_delay_alu instid0(SALU_CYCLE_1) | instskip(NEXT) | instid1(VALU_DEP_2)
	s_ashr_i32 s9, s8, 31
	v_ashrrev_i32_e32 v5, 31, v4
	s_delay_alu instid0(VALU_DEP_2) | instskip(SKIP_1) | instid1(SALU_CYCLE_1)
	v_lshlrev_b64 v[1:2], 2, v[2:3]
	s_lshl_b64 s[8:9], s[8:9], 2
	s_add_u32 s8, s7, s8
	s_delay_alu instid0(VALU_DEP_2) | instskip(SKIP_1) | instid1(VALU_DEP_2)
	v_lshlrev_b64 v[3:4], 2, v[4:5]
	s_addc_u32 s9, s13, s9
	v_add_co_u32 v1, vcc_lo, s7, v1
	v_add_co_ci_u32_e32 v2, vcc_lo, s13, v2, vcc_lo
	s_delay_alu instid0(VALU_DEP_3) | instskip(NEXT) | instid1(VALU_DEP_4)
	v_add_co_u32 v3, vcc_lo, s7, v3
	v_add_co_ci_u32_e32 v4, vcc_lo, s13, v4, vcc_lo
	s_clause 0x1
	global_load_b32 v5, v[1:2], off
	global_load_b32 v6, v[3:4], off
	s_or_b32 s16, s12, 32
	s_delay_alu instid0(SALU_CYCLE_1) | instskip(SKIP_2) | instid1(SALU_CYCLE_1)
	s_ashr_i32 s19, s16, 5
	s_cmp_lt_i32 s16, s17
	s_cselect_b32 s20, s19, s4
	s_ashr_i32 s21, s20, 31
	s_delay_alu instid0(SALU_CYCLE_1) | instskip(NEXT) | instid1(SALU_CYCLE_1)
	s_lshl_b64 s[20:21], s[20:21], 2
	s_add_u32 s20, s7, s20
	s_addc_u32 s21, s13, s21
	s_or_b32 s16, s12, 64
	s_delay_alu instid0(SALU_CYCLE_1) | instskip(SKIP_2) | instid1(SALU_CYCLE_1)
	s_ashr_i32 s19, s16, 5
	s_cmp_lt_i32 s16, s17
	s_cselect_b32 s22, s19, s4
	s_ashr_i32 s23, s22, 31
	s_delay_alu instid0(SALU_CYCLE_1) | instskip(NEXT) | instid1(SALU_CYCLE_1)
	s_lshl_b64 s[22:23], s[22:23], 2
	s_add_u32 s22, s7, s22
	s_addc_u32 s23, s13, s23
	;; [unrolled: 10-line block ×5, first 2 shown]
	s_clause 0x5
	s_load_b32 s16, s[8:9], 0x0
	s_load_b32 s19, s[20:21], 0x0
	;; [unrolled: 1-line block ×6, first 2 shown]
	s_mov_b32 s20, 0
	s_delay_alu instid0(SALU_CYCLE_1)
	s_mov_b32 s21, s20
	s_mov_b32 s22, s20
	;; [unrolled: 1-line block ×7, first 2 shown]
	s_delay_alu instid0(SALU_CYCLE_1)
	v_dual_mov_b32 v107, s27 :: v_dual_mov_b32 v106, s26
	v_dual_mov_b32 v105, s25 :: v_dual_mov_b32 v102, s22
	;; [unrolled: 1-line block ×4, first 2 shown]
	s_waitcnt vmcnt(1)
	v_mad_i64_i32 v[1:2], null, v5, s5, s[2:3]
	v_lshlrev_b32_e32 v5, 4, v65
	s_waitcnt vmcnt(0)
	v_mad_i64_i32 v[3:4], null, v6, s5, s[2:3]
	s_or_b32 s2, s12, 0xc0
	s_delay_alu instid0(SALU_CYCLE_1) | instskip(NEXT) | instid1(VALU_DEP_3)
	s_ashr_i32 s3, s2, 5
	v_add_co_u32 v25, vcc_lo, v1, v5
	s_delay_alu instid0(VALU_DEP_4) | instskip(NEXT) | instid1(VALU_DEP_3)
	v_add_co_ci_u32_e32 v26, vcc_lo, 0, v2, vcc_lo
	v_add_co_u32 v27, vcc_lo, v3, v5
	s_delay_alu instid0(VALU_DEP_4)
	v_add_co_ci_u32_e32 v28, vcc_lo, 0, v4, vcc_lo
	s_clause 0xf
	global_load_b128 v[1:4], v[25:26], off
	global_load_b128 v[5:8], v[25:26], off offset:512
	global_load_b128 v[9:12], v[27:28], off offset:256
	;; [unrolled: 1-line block ×15, first 2 shown]
	v_mul_lo_u16 v25, 0x56, v65
	s_cmp_lt_i32 s2, s17
	v_lshlrev_b32_e32 v26, 5, v65
	s_cselect_b32 s2, s3, s4
	s_delay_alu instid0(VALU_DEP_2) | instskip(SKIP_1) | instid1(VALU_DEP_2)
	v_lshrrev_b16 v25, 8, v25
	s_ashr_i32 s3, s2, 31
	v_lshl_or_b32 v33, v66, 9, v26
	s_lshl_b64 s[2:3], s[2:3], 2
	s_delay_alu instid0(VALU_DEP_2) | instskip(SKIP_3) | instid1(VALU_DEP_1)
	v_mul_lo_u16 v25, v25, 3
	s_add_u32 s2, s7, s2
	s_addc_u32 s3, s13, s3
	s_or_b32 s8, s12, 0xe0
	v_sub_nc_u16 v25, v65, v25
	s_ashr_i32 s9, s8, 5
	s_cmp_lt_i32 s8, s17
	s_cselect_b32 s8, s9, s4
	s_delay_alu instid0(VALU_DEP_1) | instskip(SKIP_1) | instid1(SALU_CYCLE_1)
	v_and_b32_e32 v25, 0xff, v25
	s_ashr_i32 s9, s8, 31
	s_lshl_b64 s[8:9], s[8:9], 2
	s_delay_alu instid0(VALU_DEP_1)
	v_lshlrev_b32_e32 v72, 6, v25
	ds_load_b128 v[25:28], v72
	ds_load_b128 v[29:32], v72 offset:1024
	ds_load_b128 v[108:111], v72 offset:2048
	;; [unrolled: 1-line block ×3, first 2 shown]
	s_load_b32 s4, s[2:3], 0x0
	s_add_u32 s2, s7, s8
	s_addc_u32 s3, s13, s9
	ds_load_b128 v[116:119], v72 offset:4096
	ds_load_b128 v[120:123], v72 offset:5120
	s_load_b32 s2, s[2:3], 0x0
	s_add_u32 s7, s10, s15
	s_addc_u32 s6, s11, s6
	v_add_co_u32 v68, s7, s7, v33
	s_delay_alu instid0(VALU_DEP_1) | instskip(SKIP_1) | instid1(VALU_DEP_1)
	v_add_co_ci_u32_e64 v69, null, s6, 0, s7
	s_waitcnt lgkmcnt(0)
	v_mad_i64_i32 v[33:34], null, s16, s5, v[68:69]
	v_mad_i64_i32 v[70:71], null, s33, s5, v[68:69]
	;; [unrolled: 1-line block ×7, first 2 shown]
	s_clause 0x3
	global_load_b128 v[41:44], v[33:34], off
	global_load_b128 v[45:48], v[33:34], off offset:16
	global_load_b128 v[33:36], v[37:38], off
	global_load_b128 v[37:40], v[37:38], off offset:16
	s_waitcnt vmcnt(18)
	v_wmma_f32_16x16x16_bf16 v[124:131], v[1:8], v[25:32], v[100:107]
	s_waitcnt vmcnt(16)
	v_wmma_f32_16x16x16_bf16 v[100:107], v[9:16], v[25:32], v[100:107]
	s_clause 0x1
	global_load_b128 v[25:28], v[70:71], off
	global_load_b128 v[29:32], v[70:71], off offset:16
	s_waitcnt vmcnt(16)
	v_wmma_f32_16x16x16_bf16 v[124:131], v[17:24], v[108:115], v[124:131]
	s_clause 0x1
	global_load_b128 v[17:20], v[132:133], off
	global_load_b128 v[21:24], v[132:133], off offset:16
	s_waitcnt vmcnt(16)
	v_wmma_f32_16x16x16_bf16 v[100:107], v[49:56], v[108:115], v[100:107]
	v_mad_i64_i32 v[53:54], null, s2, s5, v[68:69]
	s_clause 0x3
	global_load_b128 v[1:4], v[134:135], off
	global_load_b128 v[5:8], v[134:135], off offset:16
	global_load_b128 v[9:12], v[136:137], off
	global_load_b128 v[13:16], v[136:137], off offset:16
	s_waitcnt vmcnt(18)
	v_wmma_f32_16x16x16_bf16 v[124:131], v[57:64], v[116:123], v[124:131]
	s_clause 0x3
	global_load_b128 v[57:60], v[138:139], off
	global_load_b128 v[61:64], v[138:139], off offset:16
	global_load_b128 v[49:52], v[53:54], off
	global_load_b128 v[53:56], v[53:54], off offset:16
	s_waitcnt vmcnt(20)
	v_wmma_f32_16x16x16_bf16 v[100:107], v[76:83], v[116:123], v[100:107]
	ds_load_b128 v[76:79], v72 offset:6144
	ds_load_b128 v[80:83], v72 offset:7168
	v_mbcnt_lo_u32_b32 v69, -1, 0
	s_waitcnt vmcnt(0) lgkmcnt(0)
	s_barrier
	buffer_gl0_inv
	v_xor_b32_e32 v70, 16, v69
	s_delay_alu instid0(VALU_DEP_1) | instskip(SKIP_4) | instid1(VALU_DEP_2)
	v_cmp_gt_i32_e32 vcc_lo, 32, v70
	v_cndmask_b32_e32 v69, v69, v70, vcc_lo
	v_wmma_f32_16x16x16_bf16 v[124:131], v[84:91], v[76:83], v[124:131]
	v_and_b32_e32 v68, 0xe0, v0
	v_wmma_f32_16x16x16_bf16 v[100:107], v[92:99], v[76:83], v[100:107]
	v_dual_mul_f32 v81, s18, v129 :: v_dual_add_nc_u32 v68, s12, v68
	s_delay_alu instid0(VALU_DEP_4) | instskip(NEXT) | instid1(VALU_DEP_3)
	v_dual_mul_f32 v83, s18, v131 :: v_dual_mul_f32 v78, s18, v125
	v_mul_f32_e32 v95, s18, v103
	v_mul_f32_e32 v79, s18, v127
	s_delay_alu instid0(VALU_DEP_4) | instskip(SKIP_3) | instid1(VALU_DEP_4)
	v_or_b32_e32 v68, v68, v74
	v_dual_mul_f32 v80, s18, v126 :: v_dual_mul_f32 v97, s18, v105
	v_dual_mul_f32 v93, s18, v101 :: v_dual_mul_f32 v82, s18, v128
	v_mul_f32_e32 v99, s18, v107
	v_or_b32_e32 v70, 2, v68
	v_or_b32_e32 v71, 4, v68
	;; [unrolled: 1-line block ×3, first 2 shown]
	v_cmp_gt_i32_e64 s2, s17, v68
	v_or_b32_e32 v108, 8, v68
	v_cmp_gt_i32_e32 vcc_lo, s17, v70
	v_mul_f32_e32 v70, s18, v124
	v_or_b32_e32 v109, 10, v68
	v_cmp_gt_i32_e64 s3, s17, v71
	v_cmp_gt_i32_e64 s4, s17, v72
	v_cndmask_b32_e32 v78, 0xff7fffff, v78, vcc_lo
	v_cndmask_b32_e64 v70, 0xff7fffff, v70, s2
	v_or_b32_e32 v84, 12, v68
	v_or_b32_e32 v85, 14, v68
	v_cndmask_b32_e64 v71, 0xff7fffff, v80, s3
	v_cndmask_b32_e64 v72, 0xff7fffff, v79, s4
	v_max3_f32 v70, v70, 0xff7fffff, v78
	v_cmp_gt_i32_e64 s5, s17, v108
	v_cmp_gt_i32_e64 s6, s17, v109
	v_or_b32_e32 v86, 16, v68
	v_or_b32_e32 v87, 18, v68
	;; [unrolled: 1-line block ×3, first 2 shown]
	v_mul_f32_e32 v92, s18, v130
	v_cndmask_b32_e64 v78, 0xff7fffff, v82, s5
	v_cndmask_b32_e64 v79, 0xff7fffff, v81, s6
	v_max3_f32 v70, v70, v71, v72
	v_cmp_gt_i32_e64 s7, s17, v84
	v_cmp_gt_i32_e64 s8, s17, v85
	v_or_b32_e32 v88, 20, v68
	v_mul_f32_e32 v94, s18, v100
	v_max3_f32 v70, v70, v78, v79
	v_cmp_gt_i32_e64 s9, s17, v86
	v_cndmask_b32_e64 v72, 0xff7fffff, v83, s8
	v_cmp_gt_i32_e64 s10, s17, v87
	v_cmp_gt_i32_e64 s12, s17, v89
	v_lshlrev_b32_e32 v89, 2, v69
	v_cndmask_b32_e64 v71, 0xff7fffff, v92, s7
	v_or_b32_e32 v90, 24, v68
	v_or_b32_e32 v91, 26, v68
	v_mul_f32_e32 v96, s18, v102
	v_cndmask_b32_e64 v78, 0xff7fffff, v94, s9
	v_cndmask_b32_e64 v79, 0xff7fffff, v93, s10
	v_max3_f32 v70, v70, v71, v72
	v_cmp_gt_i32_e64 s11, s17, v88
	v_or_b32_e32 v76, 28, v68
	v_or_b32_e32 v77, 30, v68
	v_mul_f32_e32 v98, s18, v104
	v_cndmask_b32_e64 v72, 0xff7fffff, v95, s12
	v_cndmask_b32_e64 v71, 0xff7fffff, v96, s11
	v_max3_f32 v70, v70, v78, v79
	v_cmp_gt_i32_e64 s13, s17, v90
	v_cmp_gt_i32_e64 s15, s17, v91
	v_mul_f32_e32 v68, s18, v106
	v_cmp_gt_i32_e64 s16, s17, v76
	v_max3_f32 v70, v70, v71, v72
	v_cndmask_b32_e64 v78, 0xff7fffff, v98, s13
	v_cndmask_b32_e64 v79, 0xff7fffff, v97, s15
	v_cmp_gt_i32_e64 s17, s17, v77
	v_cndmask_b32_e64 v68, 0xff7fffff, v68, s16
	s_delay_alu instid0(VALU_DEP_3) | instskip(NEXT) | instid1(VALU_DEP_3)
	v_max3_f32 v70, v70, v78, v79
	v_cndmask_b32_e64 v71, 0xff7fffff, v99, s17
	s_delay_alu instid0(VALU_DEP_1) | instskip(SKIP_3) | instid1(VALU_DEP_1)
	v_max3_f32 v68, v70, v68, v71
	ds_bpermute_b32 v69, v89, v68
	s_waitcnt lgkmcnt(0)
	v_max_f32_e32 v69, v69, v69
	v_max_f32_e32 v68, v68, v69
	s_delay_alu instid0(VALU_DEP_1) | instskip(NEXT) | instid1(VALU_DEP_1)
	v_fma_f32 v71, s18, v126, -v68
	v_mul_f32_e32 v71, 0x3fb8aa3b, v71
	s_delay_alu instid0(VALU_DEP_1) | instskip(SKIP_3) | instid1(VALU_DEP_1)
	v_exp_f32_e32 v71, v71
	s_waitcnt_depctr 0xfff
	v_cndmask_b32_e64 v83, 0, v71, s3
	v_fma_f32 v71, s18, v131, -v68
	v_mul_f32_e32 v71, 0x3fb8aa3b, v71
	v_fma_f32 v69, s18, v124, -v68
	v_fma_f32 v76, s18, v128, -v68
	;; [unrolled: 1-line block ×4, first 2 shown]
	v_exp_f32_e32 v71, v71
	v_mul_f32_e32 v69, 0x3fb8aa3b, v69
	v_mul_f32_e32 v77, 0x3fb8aa3b, v76
	v_fma_f32 v81, s18, v105, -v68
	v_fma_f32 v78, s18, v130, -v68
	s_delay_alu instid0(VALU_DEP_4) | instskip(NEXT) | instid1(VALU_DEP_3)
	v_exp_f32_e32 v69, v69
	v_exp_f32_e32 v77, v77
	s_delay_alu instid0(VALU_DEP_2) | instskip(NEXT) | instid1(TRANS32_DEP_3)
	v_mul_f32_e32 v81, 0x3fb8aa3b, v81
	v_cndmask_b32_e64 v88, 0, v71, s8
	v_fma_f32 v71, s18, v104, -v68
	s_delay_alu instid0(VALU_DEP_3) | instskip(NEXT) | instid1(TRANS32_DEP_3)
	v_exp_f32_e32 v81, v81
	v_cndmask_b32_e64 v80, 0, v69, s2
	v_fma_f32 v69, s18, v129, -v68
	v_mul_f32_e32 v70, 0x3fb8aa3b, v70
	s_delay_alu instid0(TRANS32_DEP_2)
	v_cndmask_b32_e64 v86, 0, v77, s5
	v_mul_f32_e32 v72, 0x3fb8aa3b, v72
	v_fma_f32 v77, s18, v101, -v68
	v_mul_f32_e32 v69, 0x3fb8aa3b, v69
	v_exp_f32_e32 v70, v70
	v_mul_f32_e32 v71, 0x3fb8aa3b, v71
	v_exp_f32_e32 v72, v72
	;; [unrolled: 2-line block ×3, first 2 shown]
	v_cmp_gt_u32_e64 s2, 16, v67
	v_exp_f32_e32 v82, v71
	s_delay_alu instid0(VALU_DEP_2) | instskip(SKIP_4) | instid1(TRANS32_DEP_3)
	v_exp_f32_e32 v77, v77
	v_cndmask_b32_e32 v76, 0, v70, vcc_lo
	v_add_f32_e32 v70, 0, v80
	v_cndmask_b32_e64 v85, 0, v72, s4
	v_fma_f32 v72, s18, v100, -v68
	v_cndmask_b32_e64 v87, 0, v69, s6
	s_delay_alu instid0(VALU_DEP_4) | instskip(NEXT) | instid1(VALU_DEP_3)
	v_add_f32_e32 v70, v70, v76
	v_mul_f32_e32 v72, 0x3fb8aa3b, v72
	s_delay_alu instid0(VALU_DEP_2) | instskip(NEXT) | instid1(VALU_DEP_2)
	v_add_f32_e32 v70, v70, v83
	v_exp_f32_e32 v72, v72
	s_delay_alu instid0(VALU_DEP_1) | instskip(NEXT) | instid1(VALU_DEP_1)
	v_add_f32_e32 v70, v70, v85
	v_add_f32_e32 v69, v70, v86
	v_fma_f32 v70, s18, v102, -v68
	s_delay_alu instid0(VALU_DEP_2) | instskip(NEXT) | instid1(VALU_DEP_2)
	v_dual_add_f32 v69, v69, v87 :: v_dual_mul_f32 v78, 0x3fb8aa3b, v78
	v_mul_f32_e32 v70, 0x3fb8aa3b, v70
	s_delay_alu instid0(VALU_DEP_2) | instskip(NEXT) | instid1(VALU_DEP_1)
	v_exp_f32_e32 v78, v78
	v_exp_f32_e32 v79, v70
	s_delay_alu instid0(TRANS32_DEP_3) | instskip(SKIP_4) | instid1(VALU_DEP_2)
	v_cndmask_b32_e64 v70, 0, v72, s9
	s_waitcnt_depctr 0xfff
	v_cndmask_b32_e64 v84, 0, v78, s7
	v_fma_f32 v78, s18, v103, -v68
	v_cndmask_b32_e64 v71, 0, v79, s11
	v_dual_add_f32 v69, v69, v84 :: v_dual_mul_f32 v78, 0x3fb8aa3b, v78
	s_delay_alu instid0(VALU_DEP_1) | instskip(NEXT) | instid1(VALU_DEP_2)
	v_add_f32_e32 v72, v69, v88
	v_exp_f32_e32 v78, v78
	v_cndmask_b32_e64 v69, 0, v77, s10
	v_fma_f32 v77, s18, v106, -v68
	s_delay_alu instid0(VALU_DEP_1) | instskip(NEXT) | instid1(VALU_DEP_1)
	v_dual_add_f32 v72, v72, v70 :: v_dual_mul_f32 v77, 0x3fb8aa3b, v77
	v_add_f32_e32 v79, v72, v69
	s_waitcnt_depctr 0xfff
	v_cndmask_b32_e64 v72, 0, v78, s12
	v_exp_f32_e32 v90, v77
	v_cndmask_b32_e64 v77, 0, v82, s13
	v_add_f32_e32 v78, v79, v71
	v_fma_f32 v79, s18, v107, -v68
	s_delay_alu instid0(VALU_DEP_1) | instskip(SKIP_1) | instid1(VALU_DEP_2)
	v_dual_add_f32 v82, v78, v72 :: v_dual_mul_f32 v79, 0x3fb8aa3b, v79
	v_cndmask_b32_e64 v78, 0, v81, s15
	v_add_f32_e32 v81, v82, v77
	s_delay_alu instid0(VALU_DEP_3) | instskip(NEXT) | instid1(TRANS32_DEP_2)
	v_exp_f32_e32 v82, v79
	v_cndmask_b32_e64 v79, 0, v90, s16
	s_delay_alu instid0(VALU_DEP_2) | instskip(NEXT) | instid1(VALU_DEP_1)
	v_add_f32_e32 v81, v81, v78
	v_add_f32_e32 v90, v81, v79
	s_waitcnt_depctr 0xfff
	v_cndmask_b32_e64 v81, 0, v82, s17
	s_delay_alu instid0(VALU_DEP_1)
	v_add_f32_e32 v82, v90, v81
	ds_bpermute_b32 v89, v89, v82
	s_and_saveexec_b32 s3, s2
	s_cbranch_execz .LBB1920_12
; %bb.11:
	v_mul_u32_u24_e32 v67, 0x44, v66
	s_delay_alu instid0(VALU_DEP_1) | instskip(SKIP_1) | instid1(VALU_DEP_1)
	v_lshl_add_u32 v67, v65, 2, v67
	s_waitcnt lgkmcnt(0)
	v_dual_add_f32 v82, v82, v89 :: v_dual_add_nc_u32 v67, 0x4000, v67
	ds_store_2addr_b32 v67, v68, v82 offset1:136
.LBB1920_12:
	s_or_b32 exec_lo, exec_lo, s3
	v_lshlrev_b32_e32 v67, 2, v65
	s_waitcnt lgkmcnt(0)
	s_barrier
	buffer_gl0_inv
	v_cmp_eq_u32_e32 vcc_lo, 1, v66
	v_add_nc_u32_e32 v82, 0x4000, v67
	v_cmp_eq_u32_e64 s3, 2, v66
	v_cmp_eq_u32_e64 s5, 7, v66
	ds_load_2addr_b32 v[89:90], v82 offset1:17
	ds_load_2addr_b32 v[91:92], v82 offset0:34 offset1:51
	ds_load_2addr_b32 v[93:94], v82 offset0:68 offset1:85
	;; [unrolled: 1-line block ×4, first 2 shown]
	s_waitcnt lgkmcnt(4)
	v_max3_f32 v67, v89, 0xff7fffff, v90
	s_waitcnt lgkmcnt(3)
	s_delay_alu instid0(VALU_DEP_1) | instskip(SKIP_1) | instid1(VALU_DEP_1)
	v_max3_f32 v67, v67, v91, v92
	s_waitcnt lgkmcnt(2)
	v_max3_f32 v67, v67, v93, v94
	s_waitcnt lgkmcnt(1)
	s_delay_alu instid0(VALU_DEP_1) | instskip(NEXT) | instid1(VALU_DEP_1)
	v_max3_f32 v67, v67, v95, v96
	v_sub_f32_e32 v93, v93, v67
	s_delay_alu instid0(VALU_DEP_1) | instskip(NEXT) | instid1(VALU_DEP_1)
	v_dual_sub_f32 v68, v89, v67 :: v_dual_mul_f32 v103, 0x3fb8aa3b, v93
	v_mul_f32_e32 v68, 0x3fb8aa3b, v68
	s_delay_alu instid0(VALU_DEP_1)
	v_exp_f32_e32 v100, v68
	v_sub_f32_e32 v68, v92, v67
	v_sub_f32_e32 v99, v90, v67
	ds_load_2addr_b32 v[89:90], v82 offset0:170 offset1:187
	v_dual_mul_f32 v102, 0x3fb8aa3b, v68 :: v_dual_mul_f32 v99, 0x3fb8aa3b, v99
	s_waitcnt lgkmcnt(1)
	v_fma_f32 v68, v100, v97, 0
	s_delay_alu instid0(VALU_DEP_2) | instskip(NEXT) | instid1(VALU_DEP_2)
	v_exp_f32_e32 v102, v102
	v_exp_f32_e32 v99, v99
	s_waitcnt_depctr 0xfff
	v_fmac_f32_e32 v68, v99, v98
	v_sub_f32_e32 v91, v91, v67
	s_delay_alu instid0(VALU_DEP_1)
	v_mul_f32_e32 v101, 0x3fb8aa3b, v91
	ds_load_2addr_b32 v[91:92], v82 offset0:204 offset1:221
	v_sub_f32_e32 v97, v94, v67
	ds_load_2addr_b32 v[93:94], v82 offset0:238 offset1:255
	s_waitcnt lgkmcnt(0)
	v_exp_f32_e32 v101, v101
	s_barrier
	buffer_gl0_inv
	v_dual_fmac_f32 v68, v101, v89 :: v_dual_sub_f32 v89, v96, v67
	v_dual_sub_f32 v82, v95, v67 :: v_dual_mul_f32 v95, 0x3fb8aa3b, v97
	v_exp_f32_e32 v97, v103
	s_delay_alu instid0(VALU_DEP_2) | instskip(NEXT) | instid1(VALU_DEP_2)
	v_dual_fmac_f32 v68, v102, v90 :: v_dual_mul_f32 v89, 0x3fb8aa3b, v89
	v_mul_f32_e32 v82, 0x3fb8aa3b, v82
	s_delay_alu instid0(VALU_DEP_3) | instskip(NEXT) | instid1(VALU_DEP_2)
	v_exp_f32_e32 v95, v95
	v_exp_f32_e32 v89, v89
	s_delay_alu instid0(VALU_DEP_1)
	v_exp_f32_e32 v82, v82
	v_fmac_f32_e32 v68, v97, v91
	s_delay_alu instid0(TRANS32_DEP_3) | instid1(VALU_DEP_1)
	v_fmac_f32_e32 v68, v95, v92
	s_waitcnt_depctr 0xfff
	v_fmac_f32_e32 v68, v82, v93
	s_delay_alu instid0(VALU_DEP_1) | instskip(NEXT) | instid1(VALU_DEP_1)
	v_fmac_f32_e32 v68, v89, v94
	v_add_f32_e32 v90, 0x358637bd, v68
	s_delay_alu instid0(VALU_DEP_1) | instskip(NEXT) | instid1(VALU_DEP_1)
	v_div_scale_f32 v91, null, v90, v90, 1.0
	v_rcp_f32_e32 v92, v91
	s_waitcnt_depctr 0xfff
	v_fma_f32 v93, -v91, v92, 1.0
	s_delay_alu instid0(VALU_DEP_1) | instskip(SKIP_1) | instid1(VALU_DEP_2)
	v_dual_fmac_f32 v92, v93, v92 :: v_dual_cndmask_b32 v93, v100, v99
	v_cmp_eq_u32_e32 vcc_lo, 3, v66
	v_cndmask_b32_e64 v93, v93, v101, s3
	v_cmp_eq_u32_e64 s3, 4, v66
	s_delay_alu instid0(VALU_DEP_2) | instskip(SKIP_1) | instid1(VALU_DEP_2)
	v_cndmask_b32_e32 v93, v93, v102, vcc_lo
	v_cmp_eq_u32_e32 vcc_lo, 5, v66
	v_cndmask_b32_e64 v93, v93, v97, s3
	v_cmp_eq_u32_e64 s3, 6, v66
	s_delay_alu instid0(VALU_DEP_2) | instskip(SKIP_1) | instid1(VALU_DEP_1)
	v_cndmask_b32_e32 v93, v93, v95, vcc_lo
	v_div_scale_f32 v94, s4, 1.0, v90, 1.0
	s_mov_b32 vcc_lo, s4
	s_delay_alu instid0(VALU_DEP_2) | instskip(NEXT) | instid1(VALU_DEP_2)
	v_cndmask_b32_e64 v82, v93, v82, s3
	v_mul_f32_e32 v96, v94, v92
	s_mov_b32 s3, exec_lo
	s_delay_alu instid0(VALU_DEP_2) | instskip(NEXT) | instid1(VALU_DEP_2)
	v_cndmask_b32_e64 v82, v82, v89, s5
	v_fma_f32 v98, -v91, v96, v94
	s_delay_alu instid0(VALU_DEP_1) | instskip(NEXT) | instid1(VALU_DEP_1)
	v_fmac_f32_e32 v96, v98, v92
	v_fma_f32 v91, -v91, v96, v94
	s_delay_alu instid0(VALU_DEP_1) | instskip(NEXT) | instid1(VALU_DEP_1)
	v_div_fmas_f32 v91, v91, v92, v96
	v_div_fixup_f32 v90, v91, v90, 1.0
	s_delay_alu instid0(VALU_DEP_1) | instskip(NEXT) | instid1(VALU_DEP_1)
	v_mul_f32_e32 v82, v82, v90
	v_mul_f32_e32 v87, v82, v87
	;; [unrolled: 1-line block ×7, first 2 shown]
	v_dual_mul_f32 v86, v82, v83 :: v_dual_and_b32 v91, 0x7f800000, v90
	v_mul_f32_e32 v85, v82, v76
                                        ; implicit-def: $vgpr76
	s_delay_alu instid0(VALU_DEP_2)
	v_cmpx_ne_u32_e32 0x7f800000, v91
	s_xor_b32 s3, exec_lo, s3
; %bb.13:
	v_bfe_u32 v76, v90, 16, 1
	s_delay_alu instid0(VALU_DEP_1)
	v_add3_u32 v76, v90, v76, 0x7fff
                                        ; implicit-def: $vgpr90
; %bb.14:
	s_and_not1_saveexec_b32 s3, s3
; %bb.15:
	v_and_b32_e32 v76, 0xffff, v90
	v_or_b32_e32 v83, 0x10000, v90
	s_delay_alu instid0(VALU_DEP_2) | instskip(NEXT) | instid1(VALU_DEP_2)
	v_cmp_eq_u32_e32 vcc_lo, 0, v76
	v_cndmask_b32_e32 v76, v83, v90, vcc_lo
; %bb.16:
	s_or_b32 exec_lo, exec_lo, s3
	v_and_b32_e32 v83, 0x7f800000, v85
	s_delay_alu instid0(VALU_DEP_1) | instskip(SKIP_1) | instid1(SALU_CYCLE_1)
	v_cmp_ne_u32_e32 vcc_lo, 0x7f800000, v83
                                        ; implicit-def: $vgpr83
	s_and_saveexec_b32 s3, vcc_lo
	s_xor_b32 s3, exec_lo, s3
; %bb.17:
	v_bfe_u32 v83, v85, 16, 1
	s_delay_alu instid0(VALU_DEP_1)
	v_add3_u32 v83, v85, v83, 0x7fff
                                        ; implicit-def: $vgpr85
; %bb.18:
	s_and_not1_saveexec_b32 s3, s3
; %bb.19:
	v_and_b32_e32 v83, 0xffff, v85
	v_or_b32_e32 v90, 0x10000, v85
	s_delay_alu instid0(VALU_DEP_2) | instskip(NEXT) | instid1(VALU_DEP_2)
	v_cmp_eq_u32_e32 vcc_lo, 0, v83
	v_cndmask_b32_e32 v83, v90, v85, vcc_lo
; %bb.20:
	s_or_b32 exec_lo, exec_lo, s3
	v_and_b32_e32 v85, 0x7f800000, v86
	s_delay_alu instid0(VALU_DEP_1) | instskip(SKIP_1) | instid1(SALU_CYCLE_1)
	v_cmp_ne_u32_e32 vcc_lo, 0x7f800000, v85
                                        ; implicit-def: $vgpr85
	s_and_saveexec_b32 s3, vcc_lo
	s_xor_b32 s3, exec_lo, s3
; %bb.21:
	v_bfe_u32 v85, v86, 16, 1
	s_delay_alu instid0(VALU_DEP_1)
	v_add3_u32 v85, v86, v85, 0x7fff
                                        ; implicit-def: $vgpr86
; %bb.22:
	s_and_not1_saveexec_b32 s3, s3
; %bb.23:
	v_and_b32_e32 v85, 0xffff, v86
	v_or_b32_e32 v90, 0x10000, v86
	s_delay_alu instid0(VALU_DEP_2) | instskip(NEXT) | instid1(VALU_DEP_2)
	v_cmp_eq_u32_e32 vcc_lo, 0, v85
	v_cndmask_b32_e32 v85, v90, v86, vcc_lo
; %bb.24:
	s_or_b32 exec_lo, exec_lo, s3
	v_and_b32_e32 v86, 0x7f800000, v89
	s_delay_alu instid0(VALU_DEP_1) | instskip(SKIP_1) | instid1(SALU_CYCLE_1)
	v_cmp_ne_u32_e32 vcc_lo, 0x7f800000, v86
                                        ; implicit-def: $vgpr86
	s_and_saveexec_b32 s3, vcc_lo
	s_xor_b32 s3, exec_lo, s3
; %bb.25:
	v_bfe_u32 v86, v89, 16, 1
	s_delay_alu instid0(VALU_DEP_1)
	v_add3_u32 v86, v89, v86, 0x7fff
                                        ; implicit-def: $vgpr89
; %bb.26:
	s_and_not1_saveexec_b32 s3, s3
; %bb.27:
	v_and_b32_e32 v86, 0xffff, v89
	v_or_b32_e32 v90, 0x10000, v89
	s_delay_alu instid0(VALU_DEP_2) | instskip(NEXT) | instid1(VALU_DEP_2)
	v_cmp_eq_u32_e32 vcc_lo, 0, v86
	v_cndmask_b32_e32 v86, v90, v89, vcc_lo
; %bb.28:
	s_or_b32 exec_lo, exec_lo, s3
	v_and_b32_e32 v89, 0x7f800000, v88
	s_delay_alu instid0(VALU_DEP_1) | instskip(SKIP_1) | instid1(SALU_CYCLE_1)
	v_cmp_ne_u32_e32 vcc_lo, 0x7f800000, v89
                                        ; implicit-def: $vgpr89
	s_and_saveexec_b32 s3, vcc_lo
	s_xor_b32 s3, exec_lo, s3
; %bb.29:
	v_bfe_u32 v89, v88, 16, 1
	s_delay_alu instid0(VALU_DEP_1)
	v_add3_u32 v89, v88, v89, 0x7fff
                                        ; implicit-def: $vgpr88
; %bb.30:
	s_and_not1_saveexec_b32 s3, s3
; %bb.31:
	v_and_b32_e32 v89, 0xffff, v88
	v_or_b32_e32 v90, 0x10000, v88
	s_delay_alu instid0(VALU_DEP_2) | instskip(NEXT) | instid1(VALU_DEP_2)
	v_cmp_eq_u32_e32 vcc_lo, 0, v89
	v_cndmask_b32_e32 v89, v90, v88, vcc_lo
; %bb.32:
	s_or_b32 exec_lo, exec_lo, s3
	v_and_b32_e32 v88, 0x7f800000, v87
	s_delay_alu instid0(VALU_DEP_1) | instskip(SKIP_1) | instid1(SALU_CYCLE_1)
	v_cmp_ne_u32_e32 vcc_lo, 0x7f800000, v88
                                        ; implicit-def: $vgpr88
	s_and_saveexec_b32 s3, vcc_lo
	s_xor_b32 s3, exec_lo, s3
; %bb.33:
	v_bfe_u32 v88, v87, 16, 1
	s_delay_alu instid0(VALU_DEP_1)
	v_add3_u32 v88, v87, v88, 0x7fff
                                        ; implicit-def: $vgpr87
; %bb.34:
	s_and_not1_saveexec_b32 s3, s3
; %bb.35:
	v_and_b32_e32 v88, 0xffff, v87
	v_or_b32_e32 v90, 0x10000, v87
	s_delay_alu instid0(VALU_DEP_2) | instskip(NEXT) | instid1(VALU_DEP_2)
	v_cmp_eq_u32_e32 vcc_lo, 0, v88
	v_cndmask_b32_e32 v88, v90, v87, vcc_lo
; %bb.36:
	s_or_b32 exec_lo, exec_lo, s3
	v_and_b32_e32 v87, 0x7f800000, v84
	s_delay_alu instid0(VALU_DEP_1) | instskip(SKIP_1) | instid1(SALU_CYCLE_1)
	v_cmp_ne_u32_e32 vcc_lo, 0x7f800000, v87
                                        ; implicit-def: $vgpr87
	s_and_saveexec_b32 s3, vcc_lo
	s_xor_b32 s3, exec_lo, s3
; %bb.37:
	v_bfe_u32 v87, v84, 16, 1
	s_delay_alu instid0(VALU_DEP_1)
	v_add3_u32 v87, v84, v87, 0x7fff
                                        ; implicit-def: $vgpr84
; %bb.38:
	s_and_not1_saveexec_b32 s3, s3
; %bb.39:
	v_and_b32_e32 v87, 0xffff, v84
	v_or_b32_e32 v90, 0x10000, v84
	s_delay_alu instid0(VALU_DEP_2) | instskip(NEXT) | instid1(VALU_DEP_2)
	v_cmp_eq_u32_e32 vcc_lo, 0, v87
	v_cndmask_b32_e32 v87, v90, v84, vcc_lo
; %bb.40:
	s_or_b32 exec_lo, exec_lo, s3
	v_and_b32_e32 v84, 0x7f800000, v80
	s_delay_alu instid0(VALU_DEP_1) | instskip(SKIP_1) | instid1(SALU_CYCLE_1)
	v_cmp_ne_u32_e32 vcc_lo, 0x7f800000, v84
                                        ; implicit-def: $vgpr84
	s_and_saveexec_b32 s3, vcc_lo
	s_xor_b32 s3, exec_lo, s3
; %bb.41:
	v_bfe_u32 v84, v80, 16, 1
	s_delay_alu instid0(VALU_DEP_1)
	v_add3_u32 v84, v80, v84, 0x7fff
                                        ; implicit-def: $vgpr80
; %bb.42:
	s_and_not1_saveexec_b32 s3, s3
; %bb.43:
	v_and_b32_e32 v84, 0xffff, v80
	v_or_b32_e32 v90, 0x10000, v80
	s_delay_alu instid0(VALU_DEP_2) | instskip(NEXT) | instid1(VALU_DEP_2)
	v_cmp_eq_u32_e32 vcc_lo, 0, v84
	v_cndmask_b32_e32 v84, v90, v80, vcc_lo
; %bb.44:
	s_or_b32 exec_lo, exec_lo, s3
	s_load_b64 s[34:35], s[0:1], 0x94
	v_lshlrev_b32_e32 v91, 4, v74
	s_delay_alu instid0(VALU_DEP_2)
	v_perm_b32 v90, v84, v87, 0x7060302
	v_dual_mul_f32 v79, v82, v79 :: v_dual_lshlrev_b32 v80, 6, v65
	v_dual_mul_f32 v77, v82, v77 :: v_dual_lshlrev_b32 v92, 11, v66
	v_mul_f32_e32 v84, v82, v70
	v_perm_b32 v89, v88, v89, 0x7060302
	v_perm_b32 v88, v86, v85, 0x7060302
	;; [unrolled: 1-line block ×3, first 2 shown]
	v_mul_f32_e32 v70, v82, v81
	v_or3_b32 v76, v91, v92, v80
	v_dual_mul_f32 v78, v82, v78 :: v_dual_and_b32 v85, 0x7f800000, v84
	v_mul_f32_e32 v83, v82, v72
	v_mul_f32_e32 v81, v82, v71
	;; [unrolled: 1-line block ×3, first 2 shown]
	s_mov_b32 s3, exec_lo
	ds_store_b128 v76, v[87:90]
                                        ; implicit-def: $vgpr69
	v_cmpx_ne_u32_e32 0x7f800000, v85
	s_xor_b32 s3, exec_lo, s3
; %bb.45:
	v_bfe_u32 v69, v84, 16, 1
	s_delay_alu instid0(VALU_DEP_1)
	v_add3_u32 v69, v84, v69, 0x7fff
                                        ; implicit-def: $vgpr84
; %bb.46:
	s_and_not1_saveexec_b32 s3, s3
; %bb.47:
	v_and_b32_e32 v69, 0xffff, v84
	v_or_b32_e32 v71, 0x10000, v84
	s_delay_alu instid0(VALU_DEP_2) | instskip(NEXT) | instid1(VALU_DEP_2)
	v_cmp_eq_u32_e32 vcc_lo, 0, v69
	v_cndmask_b32_e32 v69, v71, v84, vcc_lo
; %bb.48:
	s_or_b32 exec_lo, exec_lo, s3
	v_and_b32_e32 v71, 0x7f800000, v72
	s_delay_alu instid0(VALU_DEP_1) | instskip(SKIP_1) | instid1(SALU_CYCLE_1)
	v_cmp_ne_u32_e32 vcc_lo, 0x7f800000, v71
                                        ; implicit-def: $vgpr71
	s_and_saveexec_b32 s3, vcc_lo
	s_xor_b32 s3, exec_lo, s3
; %bb.49:
	v_bfe_u32 v71, v72, 16, 1
	s_delay_alu instid0(VALU_DEP_1)
	v_add3_u32 v71, v72, v71, 0x7fff
                                        ; implicit-def: $vgpr72
; %bb.50:
	s_and_not1_saveexec_b32 s3, s3
; %bb.51:
	v_and_b32_e32 v71, 0xffff, v72
	v_or_b32_e32 v82, 0x10000, v72
	s_delay_alu instid0(VALU_DEP_2) | instskip(NEXT) | instid1(VALU_DEP_2)
	v_cmp_eq_u32_e32 vcc_lo, 0, v71
	v_cndmask_b32_e32 v71, v82, v72, vcc_lo
; %bb.52:
	s_or_b32 exec_lo, exec_lo, s3
	v_and_b32_e32 v72, 0x7f800000, v81
	s_delay_alu instid0(VALU_DEP_1) | instskip(SKIP_1) | instid1(SALU_CYCLE_1)
	v_cmp_ne_u32_e32 vcc_lo, 0x7f800000, v72
                                        ; implicit-def: $vgpr72
	s_and_saveexec_b32 s3, vcc_lo
	s_xor_b32 s3, exec_lo, s3
; %bb.53:
	v_bfe_u32 v72, v81, 16, 1
	s_delay_alu instid0(VALU_DEP_1)
	v_add3_u32 v72, v81, v72, 0x7fff
                                        ; implicit-def: $vgpr81
; %bb.54:
	s_and_not1_saveexec_b32 s3, s3
; %bb.55:
	v_and_b32_e32 v72, 0xffff, v81
	v_or_b32_e32 v82, 0x10000, v81
	s_delay_alu instid0(VALU_DEP_2) | instskip(NEXT) | instid1(VALU_DEP_2)
	v_cmp_eq_u32_e32 vcc_lo, 0, v72
	v_cndmask_b32_e32 v72, v82, v81, vcc_lo
; %bb.56:
	s_or_b32 exec_lo, exec_lo, s3
	v_and_b32_e32 v81, 0x7f800000, v83
	s_delay_alu instid0(VALU_DEP_1) | instskip(SKIP_1) | instid1(SALU_CYCLE_1)
	v_cmp_ne_u32_e32 vcc_lo, 0x7f800000, v81
                                        ; implicit-def: $vgpr81
	s_and_saveexec_b32 s3, vcc_lo
	s_xor_b32 s3, exec_lo, s3
; %bb.57:
	v_bfe_u32 v81, v83, 16, 1
	s_delay_alu instid0(VALU_DEP_1)
	v_add3_u32 v81, v83, v81, 0x7fff
                                        ; implicit-def: $vgpr83
; %bb.58:
	s_and_not1_saveexec_b32 s3, s3
; %bb.59:
	v_and_b32_e32 v81, 0xffff, v83
	v_or_b32_e32 v82, 0x10000, v83
	s_delay_alu instid0(VALU_DEP_2) | instskip(NEXT) | instid1(VALU_DEP_2)
	v_cmp_eq_u32_e32 vcc_lo, 0, v81
	v_cndmask_b32_e32 v81, v82, v83, vcc_lo
; %bb.60:
	s_or_b32 exec_lo, exec_lo, s3
	v_and_b32_e32 v82, 0x7f800000, v77
	s_delay_alu instid0(VALU_DEP_1) | instskip(SKIP_1) | instid1(SALU_CYCLE_1)
	v_cmp_ne_u32_e32 vcc_lo, 0x7f800000, v82
                                        ; implicit-def: $vgpr82
	s_and_saveexec_b32 s3, vcc_lo
	s_xor_b32 s3, exec_lo, s3
; %bb.61:
	v_bfe_u32 v82, v77, 16, 1
	s_delay_alu instid0(VALU_DEP_1)
	v_add3_u32 v82, v77, v82, 0x7fff
                                        ; implicit-def: $vgpr77
; %bb.62:
	s_and_not1_saveexec_b32 s3, s3
; %bb.63:
	v_and_b32_e32 v82, 0xffff, v77
	v_or_b32_e32 v83, 0x10000, v77
	s_delay_alu instid0(VALU_DEP_2) | instskip(NEXT) | instid1(VALU_DEP_2)
	v_cmp_eq_u32_e32 vcc_lo, 0, v82
	v_cndmask_b32_e32 v82, v83, v77, vcc_lo
; %bb.64:
	s_or_b32 exec_lo, exec_lo, s3
	v_and_b32_e32 v77, 0x7f800000, v78
	s_delay_alu instid0(VALU_DEP_1) | instskip(SKIP_1) | instid1(SALU_CYCLE_1)
	v_cmp_ne_u32_e32 vcc_lo, 0x7f800000, v77
                                        ; implicit-def: $vgpr77
	s_and_saveexec_b32 s3, vcc_lo
	s_xor_b32 s3, exec_lo, s3
; %bb.65:
	v_bfe_u32 v77, v78, 16, 1
	s_delay_alu instid0(VALU_DEP_1)
	v_add3_u32 v77, v78, v77, 0x7fff
                                        ; implicit-def: $vgpr78
; %bb.66:
	s_and_not1_saveexec_b32 s3, s3
; %bb.67:
	v_and_b32_e32 v77, 0xffff, v78
	v_or_b32_e32 v83, 0x10000, v78
	s_delay_alu instid0(VALU_DEP_2) | instskip(NEXT) | instid1(VALU_DEP_2)
	v_cmp_eq_u32_e32 vcc_lo, 0, v77
	v_cndmask_b32_e32 v77, v83, v78, vcc_lo
; %bb.68:
	s_or_b32 exec_lo, exec_lo, s3
	v_and_b32_e32 v78, 0x7f800000, v79
	s_delay_alu instid0(VALU_DEP_1) | instskip(SKIP_1) | instid1(SALU_CYCLE_1)
	v_cmp_ne_u32_e32 vcc_lo, 0x7f800000, v78
                                        ; implicit-def: $vgpr78
	s_and_saveexec_b32 s3, vcc_lo
	s_xor_b32 s3, exec_lo, s3
; %bb.69:
	v_bfe_u32 v78, v79, 16, 1
	s_delay_alu instid0(VALU_DEP_1)
	v_add3_u32 v78, v79, v78, 0x7fff
                                        ; implicit-def: $vgpr79
; %bb.70:
	s_and_not1_saveexec_b32 s3, s3
; %bb.71:
	v_and_b32_e32 v78, 0xffff, v79
	v_or_b32_e32 v83, 0x10000, v79
	s_delay_alu instid0(VALU_DEP_2) | instskip(NEXT) | instid1(VALU_DEP_2)
	v_cmp_eq_u32_e32 vcc_lo, 0, v78
	v_cndmask_b32_e32 v78, v83, v79, vcc_lo
; %bb.72:
	s_or_b32 exec_lo, exec_lo, s3
	v_and_b32_e32 v79, 0x7f800000, v70
	s_delay_alu instid0(VALU_DEP_1) | instskip(SKIP_1) | instid1(SALU_CYCLE_1)
	v_cmp_ne_u32_e32 vcc_lo, 0x7f800000, v79
                                        ; implicit-def: $vgpr79
	s_and_saveexec_b32 s3, vcc_lo
	s_xor_b32 s3, exec_lo, s3
; %bb.73:
	v_bfe_u32 v79, v70, 16, 1
	s_delay_alu instid0(VALU_DEP_1)
	v_add3_u32 v79, v70, v79, 0x7fff
                                        ; implicit-def: $vgpr70
; %bb.74:
	s_and_not1_saveexec_b32 s3, s3
; %bb.75:
	v_and_b32_e32 v79, 0xffff, v70
	v_or_b32_e32 v83, 0x10000, v70
	s_delay_alu instid0(VALU_DEP_2) | instskip(NEXT) | instid1(VALU_DEP_2)
	v_cmp_eq_u32_e32 vcc_lo, 0, v79
	v_cndmask_b32_e32 v79, v83, v70, vcc_lo
; %bb.76:
	s_or_b32 exec_lo, exec_lo, s3
	s_delay_alu instid0(VALU_DEP_1)
	v_perm_b32 v86, v79, v78, 0x7060302
	v_perm_b32 v85, v77, v82, 0x7060302
	v_perm_b32 v84, v81, v72, 0x7060302
	v_perm_b32 v83, v71, v69, 0x7060302
	v_lshl_or_b32 v82, v66, 11, v80
	ds_store_b128 v76, v[83:86] offset:1024
	s_waitcnt lgkmcnt(0)
	s_barrier
	buffer_gl0_inv
	ds_load_b128 v[69:72], v82
	ds_load_b128 v[83:86], v82 offset:16
	s_waitcnt lgkmcnt(1)
	v_lshrrev_b32_e32 v66, 16, v69
	s_waitcnt lgkmcnt(0)
	v_lshrrev_b32_e32 v91, 16, v83
	v_lshlrev_b32_e32 v78, 2, v74
	v_lshrrev_b32_e32 v95, 16, v70
	v_lshrrev_b32_e32 v98, 16, v84
	;; [unrolled: 1-line block ×4, first 2 shown]
	v_cmp_eq_u32_e32 vcc_lo, 1, v78
	v_lshrrev_b32_e32 v97, 16, v72
	v_lshrrev_b32_e32 v100, 16, v86
	v_cndmask_b32_e32 v87, v83, v91, vcc_lo
	v_or_b32_e32 v79, 1, v78
	v_cndmask_b32_e32 v81, v69, v66, vcc_lo
	v_cmp_eq_u32_e64 s4, 2, v78
	v_cmp_eq_u32_e64 s7, 3, v78
	;; [unrolled: 1-line block ×5, first 2 shown]
	v_cndmask_b32_e64 v81, v81, v70, s4
	v_cndmask_b32_e64 v87, v87, v84, s4
	v_cmp_eq_u32_e64 s8, 3, v79
	v_cndmask_b32_e64 v88, v69, v66, s3
	v_or_b32_e32 v77, 2, v78
	v_cndmask_b32_e64 v81, v81, v95, s7
	v_cndmask_b32_e64 v87, v87, v98, s7
	;; [unrolled: 1-line block ×4, first 2 shown]
	v_cmp_eq_u32_e64 s10, 5, v78
	v_cndmask_b32_e64 v81, v81, v71, s9
	v_cndmask_b32_e64 v87, v87, v85, s9
	v_cmp_eq_u32_e64 s11, 4, v79
	v_cndmask_b32_e64 v88, v88, v95, s8
	v_cmp_eq_u32_e64 s5, 1, v77
	v_cndmask_b32_e64 v89, v89, v84, s6
	v_cndmask_b32_e64 v81, v81, v96, s10
	v_cmp_eq_u32_e64 s12, 6, v78
	v_cndmask_b32_e64 v88, v88, v71, s11
	;; [unrolled: 3-line block ×3, first 2 shown]
	v_cndmask_b32_e64 v89, v89, v98, s8
	v_cndmask_b32_e64 v81, v81, v72, s12
	v_cmp_eq_u32_e64 s15, 7, v78
	v_cndmask_b32_e64 v88, v88, v96, s13
	v_cndmask_b32_e64 v87, v87, v86, s12
	v_cmp_eq_u32_e64 s16, 6, v79
	v_cmp_eq_u32_e64 s17, 2, v77
	v_cndmask_b32_e64 v89, v89, v85, s11
	v_cndmask_b32_e64 v101, v81, v97, s15
	;; [unrolled: 1-line block ×6, first 2 shown]
	v_cmp_eq_u32_e64 s18, 7, v79
	v_cmp_eq_u32_e64 s19, 3, v77
	;; [unrolled: 1-line block ×4, first 2 shown]
	v_cndmask_b32_e64 v87, v87, v84, s17
	v_cndmask_b32_e64 v103, v88, v97, s18
	;; [unrolled: 1-line block ×4, first 2 shown]
	v_or_b32_e32 v81, 3, v78
	v_cndmask_b32_e64 v93, v87, v98, s19
	v_cmp_eq_u32_e64 s24, 6, v77
	v_cndmask_b32_e64 v104, v88, v86, s16
	v_cndmask_b32_e64 v92, v89, v71, s20
	v_cmp_eq_u32_e64 s21, 1, v81
	ds_load_b128 v[87:90], v82 offset:1024
	v_cmp_eq_u32_e64 s23, 2, v81
	v_cmp_eq_u32_e64 s25, 3, v81
	v_cndmask_b32_e64 v105, v92, v96, s22
	v_cndmask_b32_e64 v66, v69, v66, s21
	;; [unrolled: 1-line block ×4, first 2 shown]
	ds_load_b128 v[91:94], v82 offset:1040
	v_cmp_eq_u32_e64 s26, 4, v81
	v_cndmask_b32_e64 v66, v66, v70, s23
	v_cmp_eq_u32_e64 s27, 7, v77
	v_cndmask_b32_e64 v70, v83, v84, s23
	v_cndmask_b32_e64 v84, v105, v72, s24
	v_cmp_eq_u32_e64 s28, 5, v81
	v_cndmask_b32_e64 v66, v66, v95, s25
	v_cmp_eq_u32_e64 s29, 6, v81
	v_cndmask_b32_e64 v70, v70, v98, s25
	v_cndmask_b32_e64 v69, v69, v99, s22
	;; [unrolled: 1-line block ×4, first 2 shown]
	s_waitcnt lgkmcnt(1)
	v_lshrrev_b32_e32 v95, 16, v87
	v_cndmask_b32_e64 v70, v70, v85, s26
	v_cndmask_b32_e64 v71, v84, v97, s27
	;; [unrolled: 1-line block ×4, first 2 shown]
	v_cndmask_b32_e32 v84, v87, v95, vcc_lo
	v_cndmask_b32_e64 v70, v70, v99, s28
	s_waitcnt lgkmcnt(0)
	v_lshrrev_b32_e32 v85, 16, v91
	v_lshrrev_b32_e32 v96, 16, v88
	v_cndmask_b32_e64 v98, v87, v95, s3
	v_cndmask_b32_e64 v84, v84, v88, s4
	;; [unrolled: 1-line block ×3, first 2 shown]
	v_cndmask_b32_e32 v99, v91, v85, vcc_lo
	v_cmp_eq_u32_e32 vcc_lo, 7, v81
	v_cndmask_b32_e64 v66, v66, v72, s29
	v_cndmask_b32_e64 v72, v84, v96, s7
	;; [unrolled: 1-line block ×3, first 2 shown]
	v_lshrrev_b32_e32 v98, 16, v92
	v_cndmask_b32_e32 v70, v70, v100, vcc_lo
	v_cndmask_b32_e64 v86, v99, v92, s4
	v_cndmask_b32_e64 v69, v69, v100, s27
	v_lshrrev_b32_e32 v100, 16, v93
	v_cndmask_b32_e64 v72, v72, v89, s9
	v_lshrrev_b32_e32 v99, 16, v89
	v_cndmask_b32_e64 v86, v86, v98, s7
	v_perm_b32 v71, v69, v71, 0x5040100
	v_cndmask_b32_e64 v84, v84, v96, s8
	s_delay_alu instid0(VALU_DEP_3) | instskip(NEXT) | instid1(VALU_DEP_2)
	v_cndmask_b32_e64 v86, v86, v93, s9
	v_cndmask_b32_e64 v84, v84, v89, s11
	s_delay_alu instid0(VALU_DEP_2) | instskip(NEXT) | instid1(VALU_DEP_1)
	v_cndmask_b32_e64 v86, v86, v100, s10
	v_cndmask_b32_e64 v69, v86, v94, s12
	;; [unrolled: 1-line block ×5, first 2 shown]
	s_delay_alu instid0(VALU_DEP_3) | instskip(NEXT) | instid1(VALU_DEP_3)
	v_cndmask_b32_e64 v86, v86, v88, s17
	v_cndmask_b32_e64 v87, v87, v88, s23
	s_delay_alu instid0(VALU_DEP_3) | instskip(NEXT) | instid1(VALU_DEP_3)
	v_cndmask_b32_e64 v88, v95, v92, s23
	v_cndmask_b32_e64 v86, v86, v96, s19
	;; [unrolled: 3-line block ×7, first 2 shown]
	s_delay_alu instid0(VALU_DEP_3) | instskip(SKIP_2) | instid1(VALU_DEP_2)
	v_cndmask_b32_e64 v88, v88, v94, s29
	v_cndmask_b32_e32 v66, v66, v97, vcc_lo
	v_cndmask_b32_e64 v97, v72, v99, s10
	v_perm_b32 v72, v70, v66, 0x5040100
	v_perm_b32 v70, v83, v103, 0x5040100
	v_cndmask_b32_e64 v103, v91, v85, s5
	v_cndmask_b32_e64 v85, v91, v85, s3
	;; [unrolled: 1-line block ×4, first 2 shown]
	v_lshrrev_b32_e32 v97, 16, v90
	v_cndmask_b32_e64 v91, v103, v92, s17
	v_cndmask_b32_e64 v85, v85, v92, s6
	;; [unrolled: 1-line block ×3, first 2 shown]
	s_mov_b32 s3, exec_lo
	v_cndmask_b32_e64 v83, v84, v97, s15
	v_cndmask_b32_e64 v91, v91, v98, s19
	;; [unrolled: 1-line block ×3, first 2 shown]
	v_lshrrev_b32_e32 v84, 16, v94
	v_cndmask_b32_e64 v66, v66, v97, s18
	v_cndmask_b32_e64 v90, v86, v97, s27
	;; [unrolled: 1-line block ×4, first 2 shown]
	v_dual_cndmask_b32 v86, v87, v97 :: v_dual_cndmask_b32 v87, v88, v84
	v_cndmask_b32_e64 v91, v69, v84, s15
	s_delay_alu instid0(VALU_DEP_4) | instskip(NEXT) | instid1(VALU_DEP_4)
	v_cndmask_b32_e64 v89, v89, v100, s22
	v_cndmask_b32_e64 v85, v85, v100, s13
	v_perm_b32 v69, v102, v101, 0x5040100
	v_perm_b32 v86, v87, v86, 0x5040100
	;; [unrolled: 1-line block ×3, first 2 shown]
	v_cndmask_b32_e64 v89, v89, v94, s24
	v_cndmask_b32_e64 v85, v85, v94, s16
	s_mul_i32 s8, s35, 3
	s_delay_alu instid0(VALU_DEP_2) | instskip(NEXT) | instid1(VALU_DEP_2)
	v_cndmask_b32_e64 v88, v89, v84, s27
	v_cndmask_b32_e64 v89, v85, v84, s18
	s_delay_alu instid0(VALU_DEP_2) | instskip(NEXT) | instid1(VALU_DEP_2)
	v_perm_b32 v85, v88, v90, 0x5040100
	v_perm_b32 v84, v89, v66, 0x5040100
	ds_store_b128 v76, v[69:72]
	ds_store_b128 v76, v[83:86] offset:1024
	v_cmpx_gt_u32_e32 3, v0
	s_cbranch_execz .LBB1920_78
; %bb.77:
	s_mul_i32 s4, s8, s30
	s_delay_alu instid0(SALU_CYCLE_1) | instskip(SKIP_1) | instid1(VALU_DEP_1)
	v_add3_u32 v69, s4, s31, v65
	s_load_b128 s[4:7], s[0:1], 0x58
	v_mad_u64_u32 v[65:66], null, v69, s34, s[14:15]
	s_delay_alu instid0(VALU_DEP_1) | instskip(NEXT) | instid1(VALU_DEP_1)
	v_ashrrev_i32_e32 v66, 31, v65
	v_lshlrev_b64 v[65:66], 2, v[65:66]
	s_waitcnt lgkmcnt(0)
	s_delay_alu instid0(VALU_DEP_1) | instskip(NEXT) | instid1(VALU_DEP_2)
	v_add_co_u32 v69, vcc_lo, s6, v65
	v_add_co_ci_u32_e32 v70, vcc_lo, s7, v66, vcc_lo
	v_add_co_u32 v65, vcc_lo, s4, v65
	v_add_co_ci_u32_e32 v66, vcc_lo, s5, v66, vcc_lo
	global_store_b32 v[69:70], v67, off
	global_store_b32 v[65:66], v68, off
.LBB1920_78:
	s_or_b32 exec_lo, exec_lo, s3
	s_waitcnt lgkmcnt(0)
	s_waitcnt_vscnt null, 0x0
	s_barrier
	buffer_gl0_inv
	ds_load_b128 v[83:86], v80
	ds_load_b128 v[87:90], v80 offset:16
	ds_load_b128 v[95:98], v80 offset:2064
	;; [unrolled: 1-line block ×3, first 2 shown]
	v_mov_b32_e32 v65, 0
	ds_load_b128 v[103:106], v80 offset:4112
	ds_load_b128 v[99:102], v80 offset:4096
	;; [unrolled: 1-line block ×4, first 2 shown]
	v_mov_b32_e32 v66, v65
	v_mov_b32_e32 v67, v65
	;; [unrolled: 1-line block ×7, first 2 shown]
	s_waitcnt lgkmcnt(6)
	s_delay_alu instid0(VALU_DEP_1)
	v_wmma_f32_16x16x16_bf16 v[65:72], v[41:48], v[83:90], v[65:72]
	ds_load_b128 v[45:48], v80 offset:8208
	ds_load_b128 v[41:44], v80 offset:8192
	s_waitcnt lgkmcnt(6)
	v_wmma_f32_16x16x16_bf16 v[65:72], v[33:40], v[91:98], v[65:72]
	ds_load_b128 v[37:40], v80 offset:10256
	ds_load_b128 v[33:36], v80 offset:10240
	s_waitcnt lgkmcnt(6)
	;; [unrolled: 4-line block ×4, first 2 shown]
	v_wmma_f32_16x16x16_bf16 v[65:72], v[1:8], v[41:48], v[65:72]
	s_waitcnt lgkmcnt(4)
	s_delay_alu instid0(VALU_DEP_1) | instskip(SKIP_1) | instid1(VALU_DEP_1)
	v_wmma_f32_16x16x16_bf16 v[65:72], v[9:16], v[33:40], v[65:72]
	s_waitcnt lgkmcnt(2)
	v_wmma_f32_16x16x16_bf16 v[65:72], v[57:64], v[25:32], v[65:72]
	s_waitcnt lgkmcnt(0)
	s_delay_alu instid0(VALU_DEP_1) | instskip(NEXT) | instid1(VALU_DEP_1)
	v_wmma_f32_16x16x16_bf16 v[65:72], v[49:56], v[17:24], v[65:72]
	v_and_b32_e32 v1, 0x7f800000, v65
	s_delay_alu instid0(VALU_DEP_1) | instskip(SKIP_1) | instid1(SALU_CYCLE_1)
	v_cmp_ne_u32_e32 vcc_lo, 0x7f800000, v1
                                        ; implicit-def: $vgpr1
	s_and_saveexec_b32 s3, vcc_lo
	s_xor_b32 s3, exec_lo, s3
; %bb.79:
	v_bfe_u32 v1, v65, 16, 1
	s_delay_alu instid0(VALU_DEP_1)
	v_add3_u32 v1, v65, v1, 0x7fff
; %bb.80:
	s_and_not1_saveexec_b32 s3, s3
; %bb.81:
	v_and_b32_e32 v1, 0xffff, v65
	v_or_b32_e32 v2, 0x10000, v65
	s_delay_alu instid0(VALU_DEP_2) | instskip(NEXT) | instid1(VALU_DEP_2)
	v_cmp_eq_u32_e32 vcc_lo, 0, v1
	v_cndmask_b32_e32 v1, v2, v65, vcc_lo
; %bb.82:
	s_or_b32 exec_lo, exec_lo, s3
	v_and_b32_e32 v2, 0x7f800000, v66
	s_delay_alu instid0(VALU_DEP_1) | instskip(SKIP_1) | instid1(SALU_CYCLE_1)
	v_cmp_ne_u32_e32 vcc_lo, 0x7f800000, v2
                                        ; implicit-def: $vgpr2
	s_and_saveexec_b32 s3, vcc_lo
	s_xor_b32 s3, exec_lo, s3
; %bb.83:
	v_bfe_u32 v2, v66, 16, 1
	s_delay_alu instid0(VALU_DEP_1)
	v_add3_u32 v2, v66, v2, 0x7fff
; %bb.84:
	s_and_not1_saveexec_b32 s3, s3
; %bb.85:
	v_and_b32_e32 v2, 0xffff, v66
	v_or_b32_e32 v3, 0x10000, v66
	s_delay_alu instid0(VALU_DEP_2) | instskip(NEXT) | instid1(VALU_DEP_2)
	v_cmp_eq_u32_e32 vcc_lo, 0, v2
	v_cndmask_b32_e32 v2, v3, v66, vcc_lo
; %bb.86:
	s_or_b32 exec_lo, exec_lo, s3
	v_and_b32_e32 v3, 0x7f800000, v67
	s_delay_alu instid0(VALU_DEP_1) | instskip(SKIP_1) | instid1(SALU_CYCLE_1)
	v_cmp_ne_u32_e32 vcc_lo, 0x7f800000, v3
                                        ; implicit-def: $vgpr3
	s_and_saveexec_b32 s3, vcc_lo
	s_xor_b32 s3, exec_lo, s3
; %bb.87:
	v_bfe_u32 v3, v67, 16, 1
	s_delay_alu instid0(VALU_DEP_1)
	v_add3_u32 v3, v67, v3, 0x7fff
; %bb.88:
	s_and_not1_saveexec_b32 s3, s3
; %bb.89:
	v_and_b32_e32 v3, 0xffff, v67
	v_or_b32_e32 v4, 0x10000, v67
	s_delay_alu instid0(VALU_DEP_2) | instskip(NEXT) | instid1(VALU_DEP_2)
	v_cmp_eq_u32_e32 vcc_lo, 0, v3
	v_cndmask_b32_e32 v3, v4, v67, vcc_lo
; %bb.90:
	s_or_b32 exec_lo, exec_lo, s3
	v_and_b32_e32 v4, 0x7f800000, v68
	s_delay_alu instid0(VALU_DEP_1) | instskip(SKIP_1) | instid1(SALU_CYCLE_1)
	v_cmp_ne_u32_e32 vcc_lo, 0x7f800000, v4
                                        ; implicit-def: $vgpr4
	s_and_saveexec_b32 s3, vcc_lo
	s_xor_b32 s3, exec_lo, s3
; %bb.91:
	v_bfe_u32 v4, v68, 16, 1
	s_delay_alu instid0(VALU_DEP_1)
	v_add3_u32 v4, v68, v4, 0x7fff
; %bb.92:
	s_and_not1_saveexec_b32 s3, s3
; %bb.93:
	v_and_b32_e32 v4, 0xffff, v68
	v_or_b32_e32 v5, 0x10000, v68
	s_delay_alu instid0(VALU_DEP_2) | instskip(NEXT) | instid1(VALU_DEP_2)
	v_cmp_eq_u32_e32 vcc_lo, 0, v4
	v_cndmask_b32_e32 v4, v5, v68, vcc_lo
; %bb.94:
	s_or_b32 exec_lo, exec_lo, s3
	v_and_b32_e32 v5, 0x7f800000, v69
	s_delay_alu instid0(VALU_DEP_1) | instskip(SKIP_1) | instid1(SALU_CYCLE_1)
	v_cmp_ne_u32_e32 vcc_lo, 0x7f800000, v5
                                        ; implicit-def: $vgpr5
	s_and_saveexec_b32 s3, vcc_lo
	s_xor_b32 s3, exec_lo, s3
; %bb.95:
	v_bfe_u32 v5, v69, 16, 1
	s_delay_alu instid0(VALU_DEP_1)
	v_add3_u32 v5, v69, v5, 0x7fff
; %bb.96:
	s_and_not1_saveexec_b32 s3, s3
; %bb.97:
	v_and_b32_e32 v5, 0xffff, v69
	v_or_b32_e32 v6, 0x10000, v69
	s_delay_alu instid0(VALU_DEP_2) | instskip(NEXT) | instid1(VALU_DEP_2)
	v_cmp_eq_u32_e32 vcc_lo, 0, v5
	v_cndmask_b32_e32 v5, v6, v69, vcc_lo
; %bb.98:
	s_or_b32 exec_lo, exec_lo, s3
	v_and_b32_e32 v6, 0x7f800000, v70
	s_delay_alu instid0(VALU_DEP_1) | instskip(SKIP_1) | instid1(SALU_CYCLE_1)
	v_cmp_ne_u32_e32 vcc_lo, 0x7f800000, v6
                                        ; implicit-def: $vgpr6
	s_and_saveexec_b32 s3, vcc_lo
	s_xor_b32 s3, exec_lo, s3
; %bb.99:
	v_bfe_u32 v6, v70, 16, 1
	s_delay_alu instid0(VALU_DEP_1)
	v_add3_u32 v6, v70, v6, 0x7fff
; %bb.100:
	s_and_not1_saveexec_b32 s3, s3
; %bb.101:
	v_and_b32_e32 v6, 0xffff, v70
	v_or_b32_e32 v7, 0x10000, v70
	s_delay_alu instid0(VALU_DEP_2) | instskip(NEXT) | instid1(VALU_DEP_2)
	v_cmp_eq_u32_e32 vcc_lo, 0, v6
	v_cndmask_b32_e32 v6, v7, v70, vcc_lo
; %bb.102:
	s_or_b32 exec_lo, exec_lo, s3
	v_and_b32_e32 v7, 0x7f800000, v71
	s_delay_alu instid0(VALU_DEP_1) | instskip(SKIP_1) | instid1(SALU_CYCLE_1)
	v_cmp_ne_u32_e32 vcc_lo, 0x7f800000, v7
                                        ; implicit-def: $vgpr7
	s_and_saveexec_b32 s3, vcc_lo
	s_xor_b32 s3, exec_lo, s3
; %bb.103:
	v_bfe_u32 v7, v71, 16, 1
	s_delay_alu instid0(VALU_DEP_1)
	v_add3_u32 v7, v71, v7, 0x7fff
; %bb.104:
	s_and_not1_saveexec_b32 s3, s3
; %bb.105:
	v_and_b32_e32 v7, 0xffff, v71
	v_or_b32_e32 v8, 0x10000, v71
	s_delay_alu instid0(VALU_DEP_2) | instskip(NEXT) | instid1(VALU_DEP_2)
	v_cmp_eq_u32_e32 vcc_lo, 0, v7
	v_cndmask_b32_e32 v7, v8, v71, vcc_lo
; %bb.106:
	s_or_b32 exec_lo, exec_lo, s3
	v_and_b32_e32 v8, 0x7f800000, v72
	s_delay_alu instid0(VALU_DEP_1) | instskip(SKIP_1) | instid1(SALU_CYCLE_1)
	v_cmp_ne_u32_e32 vcc_lo, 0x7f800000, v8
                                        ; implicit-def: $vgpr8
	s_and_saveexec_b32 s3, vcc_lo
	s_xor_b32 s3, exec_lo, s3
; %bb.107:
	v_bfe_u32 v8, v72, 16, 1
	s_delay_alu instid0(VALU_DEP_1)
	v_add3_u32 v8, v72, v8, 0x7fff
                                        ; implicit-def: $vgpr65_vgpr66_vgpr67_vgpr68_vgpr69_vgpr70_vgpr71_vgpr72
; %bb.108:
	s_and_not1_saveexec_b32 s3, s3
; %bb.109:
	v_and_b32_e32 v8, 0xffff, v72
	v_or_b32_e32 v9, 0x10000, v72
	s_delay_alu instid0(VALU_DEP_2) | instskip(NEXT) | instid1(VALU_DEP_2)
	v_cmp_eq_u32_e32 vcc_lo, 0, v8
	v_cndmask_b32_e32 v8, v9, v72, vcc_lo
; %bb.110:
	s_or_b32 exec_lo, exec_lo, s3
	s_delay_alu instid0(VALU_DEP_1)
	v_perm_b32 v7, v8, v7, 0x7060302
	v_perm_b32 v6, v6, v5, 0x7060302
	;; [unrolled: 1-line block ×4, first 2 shown]
	s_barrier
	buffer_gl0_inv
	v_cmp_eq_u32_e32 vcc_lo, 1, v78
	ds_store_b128 v76, v[4:7]
	s_waitcnt lgkmcnt(0)
	s_barrier
	buffer_gl0_inv
	ds_load_b128 v[1:4], v82
	ds_load_b128 v[5:8], v82 offset:16
	v_cmp_eq_u32_e64 s3, 1, v79
	v_cmp_eq_u32_e64 s4, 2, v78
	;; [unrolled: 1-line block ×5, first 2 shown]
	s_waitcnt lgkmcnt(1)
	v_lshrrev_b32_e32 v9, 16, v1
	s_waitcnt lgkmcnt(0)
	v_lshrrev_b32_e32 v13, 16, v5
	v_lshrrev_b32_e32 v10, 16, v2
	;; [unrolled: 1-line block ×4, first 2 shown]
	v_cndmask_b32_e64 v19, v1, v9, s3
	v_cndmask_b32_e32 v18, v5, v13, vcc_lo
	v_cndmask_b32_e64 v20, v5, v13, s3
	v_cndmask_b32_e32 v17, v1, v9, vcc_lo
	v_cmp_eq_u32_e32 vcc_lo, 2, v79
	v_lshrrev_b32_e32 v15, 16, v7
	v_cmp_eq_u32_e64 s3, 1, v77
	v_lshrrev_b32_e32 v12, 16, v4
	v_lshrrev_b32_e32 v16, 16, v8
	v_cndmask_b32_e32 v20, v20, v6, vcc_lo
	v_cndmask_b32_e64 v17, v17, v2, s4
	v_cndmask_b32_e32 v19, v19, v2, vcc_lo
	v_cndmask_b32_e64 v18, v18, v6, s4
	v_cmp_eq_u32_e32 vcc_lo, 4, v78
	v_cmp_eq_u32_e64 s4, 3, v79
	v_cndmask_b32_e64 v17, v17, v10, s5
	v_cndmask_b32_e64 v21, v1, v9, s3
	;; [unrolled: 1-line block ×5, first 2 shown]
	v_cndmask_b32_e32 v17, v17, v3, vcc_lo
	v_cndmask_b32_e64 v20, v20, v14, s4
	v_cndmask_b32_e32 v18, v18, v7, vcc_lo
	v_cmp_eq_u32_e32 vcc_lo, 4, v79
	v_cmp_eq_u32_e64 s4, 5, v79
	v_cmp_eq_u32_e64 s3, 2, v81
	v_cndmask_b32_e64 v21, v21, v2, s7
	v_cmp_eq_u32_e64 s5, 5, v78
	v_cndmask_b32_e32 v19, v19, v3, vcc_lo
	v_cndmask_b32_e32 v20, v20, v7, vcc_lo
	v_cmp_eq_u32_e32 vcc_lo, 6, v79
	s_delay_alu instid0(VALU_DEP_4) | instskip(NEXT) | instid1(VALU_DEP_4)
	v_cndmask_b32_e64 v17, v17, v11, s5
	v_cndmask_b32_e64 v19, v19, v11, s4
	s_delay_alu instid0(VALU_DEP_4) | instskip(SKIP_1) | instid1(VALU_DEP_3)
	v_cndmask_b32_e64 v20, v20, v15, s4
	v_cmp_eq_u32_e64 s4, 1, v81
	v_cndmask_b32_e32 v19, v19, v4, vcc_lo
	v_cndmask_b32_e64 v18, v18, v15, s5
	s_delay_alu instid0(VALU_DEP_3)
	v_cndmask_b32_e64 v1, v1, v9, s4
	v_cndmask_b32_e64 v5, v5, v13, s4
	v_cmp_eq_u32_e64 s4, 3, v77
	v_cndmask_b32_e64 v13, v22, v6, s7
	v_cmp_eq_u32_e64 s7, 3, v81
	v_cndmask_b32_e64 v1, v1, v2, s3
	v_cndmask_b32_e64 v2, v5, v6, s3
	;; [unrolled: 1-line block ×3, first 2 shown]
	v_cmp_eq_u32_e64 s3, 4, v77
	v_cndmask_b32_e64 v6, v13, v14, s4
	v_cndmask_b32_e64 v1, v1, v10, s7
	v_cmp_eq_u32_e64 s4, 4, v81
	v_cndmask_b32_e64 v2, v2, v14, s7
	v_cndmask_b32_e64 v5, v9, v3, s3
	;; [unrolled: 3-line block ×3, first 2 shown]
	v_cndmask_b32_e64 v2, v2, v7, s4
	v_cmp_eq_u32_e64 s3, 5, v81
	v_cmp_eq_u32_e64 s5, 6, v78
	v_cndmask_b32_e64 v5, v5, v11, s7
	v_cmp_eq_u32_e64 s4, 6, v77
	v_cndmask_b32_e64 v3, v6, v15, s7
	v_cndmask_b32_e64 v1, v1, v11, s3
	v_cmp_eq_u32_e64 s7, 6, v81
	v_cndmask_b32_e64 v2, v2, v15, s3
	v_cndmask_b32_e64 v17, v17, v4, s5
	v_cndmask_b32_e64 v18, v18, v8, s5
	v_cmp_eq_u32_e64 s5, 7, v78
	v_cndmask_b32_e64 v5, v5, v4, s4
	;; [unrolled: 4-line block ×3, first 2 shown]
	v_cmp_eq_u32_e64 s4, 7, v77
	v_cndmask_b32_e32 v4, v20, v8, vcc_lo
	v_cndmask_b32_e64 v17, v17, v12, s5
	v_cndmask_b32_e64 v19, v19, v12, s6
	;; [unrolled: 1-line block ×8, first 2 shown]
	s_mov_b32 s3, exec_lo
	v_perm_b32 v4, v2, v1, 0x5040100
	v_perm_b32 v3, v3, v5, 0x5040100
	;; [unrolled: 1-line block ×4, first 2 shown]
	ds_store_b128 v76, v[1:4]
	s_waitcnt lgkmcnt(0)
	s_barrier
	buffer_gl0_inv
	v_cmpx_gt_u32_e32 32, v0
	s_cbranch_execz .LBB1920_2
; %bb.111:
	s_load_b64 s[4:5], s[0:1], 0x68
	v_lshlrev_b32_e32 v0, 10, v0
	v_lshlrev_b32_e32 v2, 4, v75
	v_add_nc_u32_e32 v1, s31, v74
	s_lshl_b32 s0, s34, 7
	s_delay_alu instid0(SALU_CYCLE_1) | instskip(NEXT) | instid1(VALU_DEP_2)
	s_mul_i32 s1, s0, s30
	v_and_or_b32 v0, 0x3800, v0, v2
	s_mul_i32 s6, s1, s8
	v_mul_lo_u32 v1, v1, s0
	s_ashr_i32 s7, s6, 31
	s_delay_alu instid0(VALU_DEP_2) | instskip(SKIP_1) | instid1(VALU_DEP_2)
	v_lshl_or_b32 v3, v74, 6, v0
	s_lshl_b64 s[6:7], s[6:7], 1
	v_ashrrev_i32_e32 v2, 31, v1
	ds_load_b128 v[3:6], v3
	s_waitcnt lgkmcnt(0)
	s_add_u32 s1, s4, s6
	s_addc_u32 s3, s5, s7
	s_lshl_b32 s4, s14, 7
	v_lshlrev_b64 v[7:8], 1, v[1:2]
	s_ashr_i32 s5, s4, 31
	s_delay_alu instid0(SALU_CYCLE_1) | instskip(NEXT) | instid1(SALU_CYCLE_1)
	s_lshl_b64 s[4:5], s[4:5], 1
	s_add_u32 s1, s1, s4
	s_addc_u32 s3, s3, s5
	v_add_co_u32 v1, s1, s1, v73
	s_delay_alu instid0(VALU_DEP_1) | instskip(NEXT) | instid1(VALU_DEP_2)
	v_add_co_ci_u32_e64 v2, null, s3, 0, s1
	v_add_co_u32 v7, vcc_lo, v1, v7
	s_delay_alu instid0(VALU_DEP_2)
	v_add_co_ci_u32_e32 v8, vcc_lo, v2, v8, vcc_lo
	global_store_b128 v[7:8], v[3:6], off
	s_and_b32 exec_lo, exec_lo, s2
	s_cbranch_execz .LBB1920_2
; %bb.112:
	ds_load_b128 v[3:6], v0 offset:128
	s_add_i32 s1, s31, 2
	s_delay_alu instid0(SALU_CYCLE_1) | instskip(NEXT) | instid1(SALU_CYCLE_1)
	s_mul_i32 s0, s1, s0
	s_ashr_i32 s1, s0, 31
	s_delay_alu instid0(SALU_CYCLE_1) | instskip(NEXT) | instid1(SALU_CYCLE_1)
	s_lshl_b64 s[0:1], s[0:1], 1
	v_add_co_u32 v0, vcc_lo, v1, s0
	v_add_co_ci_u32_e32 v1, vcc_lo, s1, v2, vcc_lo
	s_waitcnt lgkmcnt(0)
	global_store_b128 v[0:1], v[3:6], off
	s_nop 0
	s_sendmsg sendmsg(MSG_DEALLOC_VGPRS)
	s_endpgm
	.section	.rodata,"a",@progbits
	.p2align	6, 0x0
	.amdhsa_kernel _Z39paged_attention_ll4mi_QKV_mfma16_kernelI14__hip_bfloat16hLN4vllm18Fp8KVCacheDataTypeE1ES0_Li32ELi128ELi256ELb0ELi3EL8MFMAType0EEvPKT_PKT0_S9_ifPKiSB_SB_iPKfiiiPfSE_PS4_PT2_iSD_SD_
		.amdhsa_group_segment_fixed_size 17472
		.amdhsa_private_segment_fixed_size 0
		.amdhsa_kernarg_size 400
		.amdhsa_user_sgpr_count 13
		.amdhsa_user_sgpr_dispatch_ptr 0
		.amdhsa_user_sgpr_queue_ptr 0
		.amdhsa_user_sgpr_kernarg_segment_ptr 1
		.amdhsa_user_sgpr_dispatch_id 0
		.amdhsa_user_sgpr_private_segment_size 0
		.amdhsa_wavefront_size32 1
		.amdhsa_uses_dynamic_stack 0
		.amdhsa_enable_private_segment 0
		.amdhsa_system_sgpr_workgroup_id_x 1
		.amdhsa_system_sgpr_workgroup_id_y 1
		.amdhsa_system_sgpr_workgroup_id_z 1
		.amdhsa_system_sgpr_workgroup_info 0
		.amdhsa_system_vgpr_workitem_id 0
		.amdhsa_next_free_vgpr 140
		.amdhsa_next_free_sgpr 36
		.amdhsa_reserve_vcc 1
		.amdhsa_float_round_mode_32 0
		.amdhsa_float_round_mode_16_64 0
		.amdhsa_float_denorm_mode_32 3
		.amdhsa_float_denorm_mode_16_64 3
		.amdhsa_dx10_clamp 1
		.amdhsa_ieee_mode 1
		.amdhsa_fp16_overflow 0
		.amdhsa_workgroup_processor_mode 1
		.amdhsa_memory_ordered 1
		.amdhsa_forward_progress 0
		.amdhsa_shared_vgpr_count 0
		.amdhsa_exception_fp_ieee_invalid_op 0
		.amdhsa_exception_fp_denorm_src 0
		.amdhsa_exception_fp_ieee_div_zero 0
		.amdhsa_exception_fp_ieee_overflow 0
		.amdhsa_exception_fp_ieee_underflow 0
		.amdhsa_exception_fp_ieee_inexact 0
		.amdhsa_exception_int_div_zero 0
	.end_amdhsa_kernel
	.section	.text._Z39paged_attention_ll4mi_QKV_mfma16_kernelI14__hip_bfloat16hLN4vllm18Fp8KVCacheDataTypeE1ES0_Li32ELi128ELi256ELb0ELi3EL8MFMAType0EEvPKT_PKT0_S9_ifPKiSB_SB_iPKfiiiPfSE_PS4_PT2_iSD_SD_,"axG",@progbits,_Z39paged_attention_ll4mi_QKV_mfma16_kernelI14__hip_bfloat16hLN4vllm18Fp8KVCacheDataTypeE1ES0_Li32ELi128ELi256ELb0ELi3EL8MFMAType0EEvPKT_PKT0_S9_ifPKiSB_SB_iPKfiiiPfSE_PS4_PT2_iSD_SD_,comdat
.Lfunc_end1920:
	.size	_Z39paged_attention_ll4mi_QKV_mfma16_kernelI14__hip_bfloat16hLN4vllm18Fp8KVCacheDataTypeE1ES0_Li32ELi128ELi256ELb0ELi3EL8MFMAType0EEvPKT_PKT0_S9_ifPKiSB_SB_iPKfiiiPfSE_PS4_PT2_iSD_SD_, .Lfunc_end1920-_Z39paged_attention_ll4mi_QKV_mfma16_kernelI14__hip_bfloat16hLN4vllm18Fp8KVCacheDataTypeE1ES0_Li32ELi128ELi256ELb0ELi3EL8MFMAType0EEvPKT_PKT0_S9_ifPKiSB_SB_iPKfiiiPfSE_PS4_PT2_iSD_SD_
                                        ; -- End function
	.section	.AMDGPU.csdata,"",@progbits
; Kernel info:
; codeLenInByte = 8860
; NumSgprs: 38
; NumVgprs: 140
; ScratchSize: 0
; MemoryBound: 0
; FloatMode: 240
; IeeeMode: 1
; LDSByteSize: 17472 bytes/workgroup (compile time only)
; SGPRBlocks: 4
; VGPRBlocks: 17
; NumSGPRsForWavesPerEU: 38
; NumVGPRsForWavesPerEU: 140
; Occupancy: 10
; WaveLimiterHint : 1
; COMPUTE_PGM_RSRC2:SCRATCH_EN: 0
; COMPUTE_PGM_RSRC2:USER_SGPR: 13
; COMPUTE_PGM_RSRC2:TRAP_HANDLER: 0
; COMPUTE_PGM_RSRC2:TGID_X_EN: 1
; COMPUTE_PGM_RSRC2:TGID_Y_EN: 1
; COMPUTE_PGM_RSRC2:TGID_Z_EN: 1
; COMPUTE_PGM_RSRC2:TIDIG_COMP_CNT: 0
	.section	.text._Z39paged_attention_ll4mi_QKV_mfma16_kernelI14__hip_bfloat16hLN4vllm18Fp8KVCacheDataTypeE1ES0_Li32ELi128ELi256ELb0ELi4EL8MFMAType0EEvPKT_PKT0_S9_ifPKiSB_SB_iPKfiiiPfSE_PS4_PT2_iSD_SD_,"axG",@progbits,_Z39paged_attention_ll4mi_QKV_mfma16_kernelI14__hip_bfloat16hLN4vllm18Fp8KVCacheDataTypeE1ES0_Li32ELi128ELi256ELb0ELi4EL8MFMAType0EEvPKT_PKT0_S9_ifPKiSB_SB_iPKfiiiPfSE_PS4_PT2_iSD_SD_,comdat
	.protected	_Z39paged_attention_ll4mi_QKV_mfma16_kernelI14__hip_bfloat16hLN4vllm18Fp8KVCacheDataTypeE1ES0_Li32ELi128ELi256ELb0ELi4EL8MFMAType0EEvPKT_PKT0_S9_ifPKiSB_SB_iPKfiiiPfSE_PS4_PT2_iSD_SD_ ; -- Begin function _Z39paged_attention_ll4mi_QKV_mfma16_kernelI14__hip_bfloat16hLN4vllm18Fp8KVCacheDataTypeE1ES0_Li32ELi128ELi256ELb0ELi4EL8MFMAType0EEvPKT_PKT0_S9_ifPKiSB_SB_iPKfiiiPfSE_PS4_PT2_iSD_SD_
	.globl	_Z39paged_attention_ll4mi_QKV_mfma16_kernelI14__hip_bfloat16hLN4vllm18Fp8KVCacheDataTypeE1ES0_Li32ELi128ELi256ELb0ELi4EL8MFMAType0EEvPKT_PKT0_S9_ifPKiSB_SB_iPKfiiiPfSE_PS4_PT2_iSD_SD_
	.p2align	8
	.type	_Z39paged_attention_ll4mi_QKV_mfma16_kernelI14__hip_bfloat16hLN4vllm18Fp8KVCacheDataTypeE1ES0_Li32ELi128ELi256ELb0ELi4EL8MFMAType0EEvPKT_PKT0_S9_ifPKiSB_SB_iPKfiiiPfSE_PS4_PT2_iSD_SD_,@function
_Z39paged_attention_ll4mi_QKV_mfma16_kernelI14__hip_bfloat16hLN4vllm18Fp8KVCacheDataTypeE1ES0_Li32ELi128ELi256ELb0ELi4EL8MFMAType0EEvPKT_PKT0_S9_ifPKiSB_SB_iPKfiiiPfSE_PS4_PT2_iSD_SD_: ; @_Z39paged_attention_ll4mi_QKV_mfma16_kernelI14__hip_bfloat16hLN4vllm18Fp8KVCacheDataTypeE1ES0_Li32ELi128ELi256ELb0ELi4EL8MFMAType0EEvPKT_PKT0_S9_ifPKiSB_SB_iPKfiiiPfSE_PS4_PT2_iSD_SD_
; %bb.0:
	s_load_b64 s[4:5], s[0:1], 0x30
	s_mov_b32 s30, s13
	s_waitcnt lgkmcnt(0)
	s_cmp_lg_u64 s[4:5], 0
	s_cselect_b32 s13, -1, 0
	s_ashr_i32 s31, s30, 31
	s_cmp_eq_u64 s[4:5], 0
	s_cbranch_scc1 .LBB1921_3
; %bb.1:
	s_lshl_b64 s[2:3], s[30:31], 2
	s_delay_alu instid0(SALU_CYCLE_1) | instskip(SKIP_4) | instid1(SALU_CYCLE_1)
	s_add_u32 s2, s4, s2
	s_addc_u32 s3, s5, s3
	s_load_b64 s[2:3], s[2:3], 0x0
	s_waitcnt lgkmcnt(0)
	s_sub_i32 s2, s3, s2
	s_cmp_eq_u32 s2, 1
	s_cselect_b32 s2, -1, 0
	s_delay_alu instid0(SALU_CYCLE_1)
	s_and_not1_b32 vcc_lo, exec_lo, s2
	s_cbranch_vccz .LBB1921_4
.LBB1921_2:
	s_endpgm
.LBB1921_3:
.LBB1921_4:
	s_load_b64 s[2:3], s[0:1], 0x28
	s_lshl_b64 s[6:7], s[30:31], 2
	s_waitcnt lgkmcnt(0)
	s_add_u32 s2, s2, s6
	s_addc_u32 s3, s3, s7
	s_lshl_b32 s12, s14, 8
	s_load_b32 s17, s[2:3], 0x0
	s_waitcnt lgkmcnt(0)
	s_cmp_ge_i32 s12, s17
	s_cbranch_scc1 .LBB1921_2
; %bb.5:
	s_clause 0x1
	s_load_b128 s[8:11], s[0:1], 0x8
	s_load_b64 s[2:3], s[0:1], 0x20
	s_and_not1_b32 vcc_lo, exec_lo, s13
	s_cbranch_vccnz .LBB1921_7
; %bb.6:
	s_add_u32 s4, s4, s6
	s_addc_u32 s5, s5, s7
	s_load_b32 s13, s[4:5], 0x0
	s_branch .LBB1921_8
.LBB1921_7:
	s_mov_b32 s13, s30
.LBB1921_8:
	s_load_b128 s[4:7], s[0:1], 0x48
	v_and_b32_e32 v66, 15, v0
	v_lshrrev_b32_e32 v65, 5, v0
	v_and_b32_e32 v67, 31, v0
	v_and_b32_e32 v75, 1, v0
	v_bfe_u32 v74, v0, 4, 1
	v_lshlrev_b32_e32 v1, 3, v66
	s_lshl_b32 s29, s15, 2
	s_waitcnt lgkmcnt(0)
	s_mov_b32 s7, exec_lo
	s_delay_alu instid0(VALU_DEP_1)
	v_lshlrev_b32_e32 v73, 1, v1
	v_cmpx_gt_u32_e32 64, v0
	s_cbranch_execz .LBB1921_10
; %bb.9:
	v_lshl_or_b32 v5, v65, 1, v74
	s_load_b64 s[18:19], s[0:1], 0x0
	s_mul_hi_i32 s21, s13, s4
	s_mul_i32 s20, s13, s4
	v_lshlrev_b32_e32 v6, 10, v66
	v_or_b32_e32 v1, s29, v5
	s_lshl_b64 s[20:21], s[20:21], 1
	v_lshlrev_b32_e32 v5, 6, v5
	v_lshlrev_b32_e32 v7, 10, v75
	v_and_b32_e32 v6, 0x3800, v6
	v_lshlrev_b32_e32 v1, 7, v1
	s_delay_alu instid0(VALU_DEP_2) | instskip(NEXT) | instid1(VALU_DEP_2)
	v_or3_b32 v5, v6, v7, v5
	v_ashrrev_i32_e32 v2, 31, v1
	s_delay_alu instid0(VALU_DEP_1) | instskip(SKIP_3) | instid1(VALU_DEP_1)
	v_lshlrev_b64 v[1:2], 1, v[1:2]
	s_waitcnt lgkmcnt(0)
	s_add_u32 s4, s18, s20
	s_addc_u32 s13, s19, s21
	v_add_co_u32 v1, vcc_lo, s4, v1
	s_delay_alu instid0(VALU_DEP_2) | instskip(NEXT) | instid1(VALU_DEP_2)
	v_add_co_ci_u32_e32 v2, vcc_lo, s13, v2, vcc_lo
	v_add_co_u32 v1, vcc_lo, v1, v73
	s_delay_alu instid0(VALU_DEP_2)
	v_add_co_ci_u32_e32 v2, vcc_lo, 0, v2, vcc_lo
	global_load_b128 v[1:4], v[1:2], off
	s_waitcnt vmcnt(0)
	ds_store_b128 v5, v[1:4]
.LBB1921_10:
	s_or_b32 exec_lo, exec_lo, s7
	v_and_b32_e32 v1, 0xef, v0
	s_add_i32 s4, s17, 31
	s_clause 0x1
	s_load_b32 s7, s[0:1], 0x38
	s_load_b32 s18, s[0:1], 0x1c
	s_ashr_i32 s13, s4, 31
	v_add_nc_u32_e32 v1, s12, v1
	s_lshr_b32 s13, s13, 27
	s_waitcnt lgkmcnt(0)
	s_add_i32 s4, s4, s13
	s_barrier
	v_ashrrev_i32_e32 v2, 31, v1
	v_or_b32_e32 v3, 16, v1
	s_ashr_i32 s4, s4, 5
	v_cmp_gt_i32_e32 vcc_lo, s17, v1
	s_add_i32 s4, s4, -1
	v_lshrrev_b32_e32 v2, 27, v2
	buffer_gl0_inv
	s_mul_i32 s15, s15, s6
	v_add_nc_u32_e32 v4, v1, v2
	s_mul_i32 s20, s30, s7
	s_delay_alu instid0(SALU_CYCLE_1) | instskip(NEXT) | instid1(VALU_DEP_1)
	s_ashr_i32 s21, s20, 31
	v_ashrrev_i32_e32 v4, 5, v4
	v_add_nc_u32_e32 v2, v3, v2
	s_lshl_b64 s[20:21], s[20:21], 2
	s_delay_alu instid0(SALU_CYCLE_1) | instskip(NEXT) | instid1(VALU_DEP_2)
	s_add_u32 s13, s2, s20
	v_cndmask_b32_e32 v1, s4, v4, vcc_lo
	s_delay_alu instid0(VALU_DEP_2)
	v_ashrrev_i32_e32 v2, 5, v2
	v_cmp_gt_i32_e32 vcc_lo, s17, v3
	s_addc_u32 s16, s3, s21
	s_ashr_i32 s19, s15, 31
	s_add_u32 s2, s8, s15
	s_addc_u32 s3, s9, s19
	v_cndmask_b32_e32 v3, s4, v2, vcc_lo
	v_ashrrev_i32_e32 v2, 31, v1
	s_lshl_b32 s6, s14, 3
	s_delay_alu instid0(SALU_CYCLE_1) | instskip(NEXT) | instid1(VALU_DEP_2)
	s_ashr_i32 s7, s6, 31
	v_ashrrev_i32_e32 v4, 31, v3
	s_delay_alu instid0(VALU_DEP_2) | instskip(SKIP_1) | instid1(SALU_CYCLE_1)
	v_lshlrev_b64 v[1:2], 2, v[1:2]
	s_lshl_b64 s[6:7], s[6:7], 2
	s_add_u32 s6, s13, s6
	s_delay_alu instid0(VALU_DEP_2) | instskip(SKIP_1) | instid1(VALU_DEP_2)
	v_lshlrev_b64 v[3:4], 2, v[3:4]
	s_addc_u32 s7, s16, s7
	v_add_co_u32 v1, vcc_lo, s13, v1
	v_add_co_ci_u32_e32 v2, vcc_lo, s16, v2, vcc_lo
	s_delay_alu instid0(VALU_DEP_3) | instskip(NEXT) | instid1(VALU_DEP_4)
	v_add_co_u32 v3, vcc_lo, s13, v3
	v_add_co_ci_u32_e32 v4, vcc_lo, s16, v4, vcc_lo
	s_clause 0x1
	global_load_b32 v5, v[1:2], off
	global_load_b32 v6, v[3:4], off
	s_or_b32 s8, s12, 32
	s_delay_alu instid0(SALU_CYCLE_1) | instskip(SKIP_2) | instid1(SALU_CYCLE_1)
	s_ashr_i32 s9, s8, 5
	s_cmp_lt_i32 s8, s17
	s_cselect_b32 s8, s9, s4
	s_ashr_i32 s9, s8, 31
	s_delay_alu instid0(SALU_CYCLE_1) | instskip(NEXT) | instid1(SALU_CYCLE_1)
	s_lshl_b64 s[8:9], s[8:9], 2
	s_add_u32 s8, s13, s8
	s_addc_u32 s9, s16, s9
	s_or_b32 s20, s12, 64
	s_delay_alu instid0(SALU_CYCLE_1) | instskip(SKIP_2) | instid1(SALU_CYCLE_1)
	s_ashr_i32 s21, s20, 5
	s_cmp_lt_i32 s20, s17
	s_cselect_b32 s20, s21, s4
	s_ashr_i32 s21, s20, 31
	s_delay_alu instid0(SALU_CYCLE_1) | instskip(NEXT) | instid1(SALU_CYCLE_1)
	s_lshl_b64 s[20:21], s[20:21], 2
	s_add_u32 s20, s13, s20
	s_addc_u32 s21, s16, s21
	;; [unrolled: 10-line block ×5, first 2 shown]
	s_clause 0x5
	s_load_b32 s28, s[6:7], 0x0
	s_load_b32 s8, s[8:9], 0x0
	s_load_b32 s9, s[20:21], 0x0
	s_load_b32 s31, s[22:23], 0x0
	s_load_b32 s33, s[24:25], 0x0
	s_load_b32 s34, s[26:27], 0x0
	s_mov_b32 s20, 0
	s_delay_alu instid0(SALU_CYCLE_1)
	s_mov_b32 s21, s20
	s_mov_b32 s22, s20
	;; [unrolled: 1-line block ×7, first 2 shown]
	s_delay_alu instid0(SALU_CYCLE_1)
	v_dual_mov_b32 v107, s27 :: v_dual_mov_b32 v106, s26
	v_dual_mov_b32 v104, s24 :: v_dual_mov_b32 v103, s23
	;; [unrolled: 1-line block ×4, first 2 shown]
	s_waitcnt vmcnt(1)
	v_mad_i64_i32 v[1:2], null, v5, s5, s[2:3]
	v_lshlrev_b32_e32 v5, 4, v66
	s_waitcnt vmcnt(0)
	v_mad_i64_i32 v[3:4], null, v6, s5, s[2:3]
	s_or_b32 s2, s12, 0xc0
	s_delay_alu instid0(SALU_CYCLE_1) | instskip(NEXT) | instid1(VALU_DEP_3)
	s_ashr_i32 s3, s2, 5
	v_add_co_u32 v33, vcc_lo, v1, v5
	s_delay_alu instid0(VALU_DEP_4) | instskip(NEXT) | instid1(VALU_DEP_3)
	v_add_co_ci_u32_e32 v34, vcc_lo, 0, v2, vcc_lo
	v_add_co_u32 v35, vcc_lo, v3, v5
	s_delay_alu instid0(VALU_DEP_4)
	v_add_co_ci_u32_e32 v36, vcc_lo, 0, v4, vcc_lo
	s_clause 0xf
	global_load_b128 v[1:4], v[33:34], off
	global_load_b128 v[5:8], v[33:34], off offset:512
	global_load_b128 v[9:12], v[35:36], off offset:256
	;; [unrolled: 1-line block ×15, first 2 shown]
	s_cmp_lt_i32 s2, s17
	v_and_b32_e32 v33, 3, v0
	s_cselect_b32 s2, s3, s4
	v_lshlrev_b32_e32 v34, 5, v66
	s_ashr_i32 s3, s2, 31
	s_delay_alu instid0(SALU_CYCLE_1)
	s_lshl_b64 s[2:3], s[2:3], 2
	v_lshlrev_b32_e32 v72, 6, v33
	s_add_u32 s2, s13, s2
	s_addc_u32 s3, s16, s3
	s_or_b32 s6, s12, 0xe0
	v_lshl_or_b32 v41, v65, 9, v34
	s_ashr_i32 s7, s6, 5
	s_cmp_lt_i32 s6, s17
	ds_load_b128 v[33:36], v72
	ds_load_b128 v[37:40], v72 offset:1024
	s_cselect_b32 s6, s7, s4
	ds_load_b128 v[108:111], v72 offset:2048
	ds_load_b128 v[112:115], v72 offset:3072
	s_ashr_i32 s7, s6, 31
	s_load_b32 s4, s[2:3], 0x0
	s_lshl_b64 s[6:7], s[6:7], 2
	ds_load_b128 v[116:119], v72 offset:4096
	ds_load_b128 v[120:123], v72 offset:5120
	s_add_u32 s2, s13, s6
	s_addc_u32 s3, s16, s7
	s_add_u32 s6, s10, s15
	s_load_b32 s2, s[2:3], 0x0
	s_addc_u32 s7, s11, s19
	v_add_co_u32 v68, s6, s6, v41
	s_delay_alu instid0(VALU_DEP_1) | instskip(SKIP_1) | instid1(VALU_DEP_1)
	v_add_co_ci_u32_e64 v69, null, s7, 0, s6
	s_waitcnt lgkmcnt(0)
	v_mad_i64_i32 v[41:42], null, s28, s5, v[68:69]
	v_mad_i64_i32 v[70:71], null, s9, s5, v[68:69]
	;; [unrolled: 1-line block ×7, first 2 shown]
	s_clause 0x3
	global_load_b128 v[49:52], v[41:42], off
	global_load_b128 v[53:56], v[41:42], off offset:16
	global_load_b128 v[41:44], v[45:46], off
	global_load_b128 v[45:48], v[45:46], off offset:16
	s_waitcnt vmcnt(18)
	v_wmma_f32_16x16x16_bf16 v[124:131], v[1:8], v[33:40], v[100:107]
	s_waitcnt vmcnt(16)
	v_wmma_f32_16x16x16_bf16 v[100:107], v[9:16], v[33:40], v[100:107]
	s_clause 0x1
	global_load_b128 v[33:36], v[70:71], off
	global_load_b128 v[37:40], v[70:71], off offset:16
	v_mad_i64_i32 v[70:71], null, s2, s5, v[68:69]
	s_waitcnt vmcnt(16)
	v_wmma_f32_16x16x16_bf16 v[124:131], v[17:24], v[108:115], v[124:131]
	s_waitcnt vmcnt(14)
	v_wmma_f32_16x16x16_bf16 v[100:107], v[25:32], v[108:115], v[100:107]
	s_clause 0x7
	global_load_b128 v[25:28], v[132:133], off
	global_load_b128 v[29:32], v[132:133], off offset:16
	global_load_b128 v[1:4], v[134:135], off
	global_load_b128 v[5:8], v[134:135], off offset:16
	;; [unrolled: 2-line block ×4, first 2 shown]
	s_waitcnt vmcnt(20)
	v_wmma_f32_16x16x16_bf16 v[124:131], v[57:64], v[116:123], v[124:131]
	s_clause 0x1
	global_load_b128 v[57:60], v[70:71], off
	global_load_b128 v[61:64], v[70:71], off offset:16
	s_waitcnt vmcnt(20)
	v_wmma_f32_16x16x16_bf16 v[100:107], v[76:83], v[116:123], v[100:107]
	ds_load_b128 v[76:79], v72 offset:6144
	ds_load_b128 v[80:83], v72 offset:7168
	v_and_b32_e32 v68, 0xe0, v0
	v_mbcnt_lo_u32_b32 v69, -1, 0
	s_waitcnt vmcnt(0) lgkmcnt(0)
	s_barrier
	buffer_gl0_inv
	v_add_nc_u32_e32 v68, s12, v68
	v_xor_b32_e32 v70, 16, v69
	s_delay_alu instid0(VALU_DEP_2) | instskip(NEXT) | instid1(VALU_DEP_2)
	v_or_b32_e32 v68, v68, v74
	v_cmp_gt_i32_e32 vcc_lo, 32, v70
	s_delay_alu instid0(VALU_DEP_2)
	v_or_b32_e32 v71, 4, v68
	v_or_b32_e32 v72, 6, v68
	v_cmp_gt_i32_e64 s2, s17, v68
	v_or_b32_e32 v108, 8, v68
	v_wmma_f32_16x16x16_bf16 v[124:131], v[84:91], v[76:83], v[124:131]
	v_cndmask_b32_e32 v69, v69, v70, vcc_lo
	v_or_b32_e32 v70, 2, v68
	v_wmma_f32_16x16x16_bf16 v[100:107], v[92:99], v[76:83], v[100:107]
	v_or_b32_e32 v109, 10, v68
	v_dual_mul_f32 v78, s18, v131 :: v_dual_mul_f32 v83, s18, v126
	v_dual_mul_f32 v92, s18, v125 :: v_dual_mul_f32 v93, s18, v124
	s_delay_alu instid0(VALU_DEP_4) | instskip(SKIP_2) | instid1(VALU_DEP_4)
	v_mul_f32_e32 v94, s18, v107
	v_cmp_gt_i32_e32 vcc_lo, s17, v70
	v_dual_mul_f32 v81, s18, v128 :: v_dual_mul_f32 v82, s18, v127
	v_cndmask_b32_e64 v93, 0xff7fffff, v93, s2
	v_cmp_gt_i32_e64 s3, s17, v71
	v_cndmask_b32_e32 v92, 0xff7fffff, v92, vcc_lo
	v_cmp_gt_i32_e64 s4, s17, v72
	v_or_b32_e32 v84, 12, v68
	v_or_b32_e32 v85, 14, v68
	v_dual_mul_f32 v79, s18, v130 :: v_dual_mul_f32 v80, s18, v129
	v_cndmask_b32_e64 v71, 0xff7fffff, v83, s3
	v_cndmask_b32_e64 v72, 0xff7fffff, v82, s4
	v_max3_f32 v82, v93, 0xff7fffff, v92
	v_cmp_gt_i32_e64 s5, s17, v108
	v_cmp_gt_i32_e64 s6, s17, v109
	v_or_b32_e32 v86, 16, v68
	v_or_b32_e32 v87, 18, v68
	v_max3_f32 v71, v82, v71, v72
	v_cndmask_b32_e64 v81, 0xff7fffff, v81, s5
	v_cndmask_b32_e64 v80, 0xff7fffff, v80, s6
	v_cmp_gt_i32_e64 s7, s17, v84
	v_cmp_gt_i32_e64 s8, s17, v85
	v_or_b32_e32 v88, 20, v68
	v_or_b32_e32 v89, 22, v68
	;; [unrolled: 1-line block ×6, first 2 shown]
	v_dual_mul_f32 v99, s18, v102 :: v_dual_mul_f32 v70, s18, v101
	v_mul_f32_e32 v68, s18, v100
	v_cndmask_b32_e64 v72, 0xff7fffff, v79, s7
	v_cndmask_b32_e64 v78, 0xff7fffff, v78, s8
	v_max3_f32 v71, v71, v81, v80
	v_cmp_gt_i32_e64 s9, s17, v86
	v_cmp_gt_i32_e64 s10, s17, v87
	v_dual_mul_f32 v97, s18, v104 :: v_dual_mul_f32 v98, s18, v103
	s_delay_alu instid0(VALU_DEP_4) | instskip(SKIP_1) | instid1(VALU_DEP_4)
	v_max3_f32 v71, v71, v72, v78
	v_cmp_gt_i32_e64 s11, s17, v88
	v_cndmask_b32_e64 v70, 0xff7fffff, v70, s10
	v_cmp_gt_i32_e64 s12, s17, v89
	v_lshlrev_b32_e32 v89, 2, v69
	v_cndmask_b32_e64 v68, 0xff7fffff, v68, s9
	v_dual_mul_f32 v95, s18, v106 :: v_dual_mul_f32 v96, s18, v105
	v_cndmask_b32_e64 v72, 0xff7fffff, v99, s11
	v_cndmask_b32_e64 v78, 0xff7fffff, v98, s12
	s_delay_alu instid0(VALU_DEP_4)
	v_max3_f32 v68, v71, v68, v70
	v_cmp_gt_i32_e64 s13, s17, v90
	v_cmp_gt_i32_e64 s15, s17, v91
	;; [unrolled: 1-line block ×4, first 2 shown]
	v_max3_f32 v68, v68, v72, v78
	v_cndmask_b32_e64 v70, 0xff7fffff, v97, s13
	v_cndmask_b32_e64 v71, 0xff7fffff, v96, s15
	v_cndmask_b32_e64 v72, 0xff7fffff, v95, s16
	v_cndmask_b32_e64 v76, 0xff7fffff, v94, s17
	s_delay_alu instid0(VALU_DEP_3) | instskip(NEXT) | instid1(VALU_DEP_1)
	v_max3_f32 v68, v68, v70, v71
	v_max3_f32 v68, v68, v72, v76
	ds_bpermute_b32 v69, v89, v68
	s_waitcnt lgkmcnt(0)
	v_max_f32_e32 v69, v69, v69
	s_delay_alu instid0(VALU_DEP_1) | instskip(NEXT) | instid1(VALU_DEP_1)
	v_max_f32_e32 v68, v68, v69
	v_fma_f32 v71, s18, v126, -v68
	s_delay_alu instid0(VALU_DEP_1)
	v_mul_f32_e32 v71, 0x3fb8aa3b, v71
	v_fma_f32 v69, s18, v124, -v68
	v_fma_f32 v70, s18, v125, -v68
	;; [unrolled: 1-line block ×4, first 2 shown]
	v_exp_f32_e32 v71, v71
	s_delay_alu instid0(VALU_DEP_3) | instskip(SKIP_2) | instid1(VALU_DEP_3)
	v_dual_mul_f32 v69, 0x3fb8aa3b, v69 :: v_dual_mul_f32 v70, 0x3fb8aa3b, v70
	v_fma_f32 v78, s18, v130, -v68
	v_fma_f32 v81, s18, v105, -v68
	v_exp_f32_e32 v69, v69
	s_delay_alu instid0(VALU_DEP_3) | instskip(SKIP_1) | instid1(VALU_DEP_2)
	v_exp_f32_e32 v70, v70
	v_mul_f32_e32 v77, 0x3fb8aa3b, v76
	v_mul_f32_e32 v81, 0x3fb8aa3b, v81
	s_delay_alu instid0(TRANS32_DEP_3) | instskip(SKIP_1) | instid1(VALU_DEP_3)
	v_cndmask_b32_e64 v83, 0, v71, s3
	v_fma_f32 v71, s18, v131, -v68
	v_exp_f32_e32 v81, v81
	s_delay_alu instid0(TRANS32_DEP_3) | instskip(NEXT) | instid1(TRANS32_DEP_2)
	v_cndmask_b32_e64 v80, 0, v69, s2
	v_cndmask_b32_e32 v76, 0, v70, vcc_lo
	v_fma_f32 v69, s18, v129, -v68
	v_mul_f32_e32 v72, 0x3fb8aa3b, v72
	v_exp_f32_e32 v77, v77
	v_dual_add_f32 v70, 0, v80 :: v_dual_mul_f32 v71, 0x3fb8aa3b, v71
	s_delay_alu instid0(VALU_DEP_3) | instskip(NEXT) | instid1(VALU_DEP_3)
	v_mul_f32_e32 v69, 0x3fb8aa3b, v69
	v_exp_f32_e32 v72, v72
	s_mov_b32 s2, exec_lo
	s_delay_alu instid0(VALU_DEP_2) | instskip(NEXT) | instid1(VALU_DEP_1)
	v_exp_f32_e32 v71, v71
	v_exp_f32_e32 v69, v69
	v_cndmask_b32_e64 v86, 0, v77, s5
	v_fma_f32 v77, s18, v101, -v68
	v_add_f32_e32 v70, v70, v76
	s_delay_alu instid0(TRANS32_DEP_3) | instskip(SKIP_1) | instid1(VALU_DEP_3)
	v_cndmask_b32_e64 v85, 0, v72, s4
	v_fma_f32 v72, s18, v100, -v68
	v_dual_mul_f32 v77, 0x3fb8aa3b, v77 :: v_dual_add_f32 v70, v70, v83
	s_delay_alu instid0(TRANS32_DEP_2) | instskip(SKIP_1) | instid1(TRANS32_DEP_1)
	v_cndmask_b32_e64 v88, 0, v71, s8
	v_fma_f32 v71, s18, v104, -v68
	v_cndmask_b32_e64 v87, 0, v69, s6
	s_delay_alu instid0(VALU_DEP_4) | instskip(NEXT) | instid1(VALU_DEP_2)
	v_exp_f32_e32 v77, v77
	v_dual_add_f32 v70, v70, v85 :: v_dual_mul_f32 v71, 0x3fb8aa3b, v71
	s_delay_alu instid0(VALU_DEP_1) | instskip(SKIP_2) | instid1(VALU_DEP_3)
	v_dual_mul_f32 v72, 0x3fb8aa3b, v72 :: v_dual_add_f32 v69, v70, v86
	v_mul_f32_e32 v78, 0x3fb8aa3b, v78
	v_fma_f32 v70, s18, v102, -v68
	v_exp_f32_e32 v72, v72
	v_exp_f32_e32 v82, v71
	v_add_f32_e32 v69, v69, v87
	v_exp_f32_e32 v78, v78
	v_mul_f32_e32 v70, 0x3fb8aa3b, v70
	s_delay_alu instid0(VALU_DEP_1) | instskip(SKIP_4) | instid1(VALU_DEP_2)
	v_exp_f32_e32 v79, v70
	v_cndmask_b32_e64 v70, 0, v72, s9
	s_waitcnt_depctr 0xfff
	v_cndmask_b32_e64 v84, 0, v78, s7
	v_fma_f32 v78, s18, v103, -v68
	v_add_f32_e32 v69, v69, v84
	v_cndmask_b32_e64 v71, 0, v79, s11
	s_delay_alu instid0(VALU_DEP_2) | instskip(SKIP_2) | instid1(VALU_DEP_1)
	v_add_f32_e32 v72, v69, v88
	v_cndmask_b32_e64 v69, 0, v77, s10
	v_fma_f32 v77, s18, v106, -v68
	v_dual_mul_f32 v77, 0x3fb8aa3b, v77 :: v_dual_add_f32 v72, v72, v70
	v_mul_f32_e32 v78, 0x3fb8aa3b, v78
	s_delay_alu instid0(VALU_DEP_2) | instskip(NEXT) | instid1(VALU_DEP_2)
	v_exp_f32_e32 v90, v77
	v_add_f32_e32 v79, v72, v69
	s_delay_alu instid0(VALU_DEP_2)
	v_exp_f32_e32 v78, v78
	v_cndmask_b32_e64 v77, 0, v82, s13
	s_waitcnt_depctr 0xfff
	v_cndmask_b32_e64 v72, 0, v78, s12
	v_add_f32_e32 v78, v79, v71
	v_fma_f32 v79, s18, v107, -v68
	s_delay_alu instid0(VALU_DEP_1) | instskip(SKIP_1) | instid1(VALU_DEP_2)
	v_dual_add_f32 v82, v78, v72 :: v_dual_mul_f32 v79, 0x3fb8aa3b, v79
	v_cndmask_b32_e64 v78, 0, v81, s15
	v_add_f32_e32 v81, v82, v77
	s_delay_alu instid0(VALU_DEP_3) | instskip(SKIP_1) | instid1(VALU_DEP_2)
	v_exp_f32_e32 v82, v79
	v_cndmask_b32_e64 v79, 0, v90, s16
	v_add_f32_e32 v81, v81, v78
	s_delay_alu instid0(VALU_DEP_1) | instskip(SKIP_2) | instid1(VALU_DEP_1)
	v_add_f32_e32 v90, v81, v79
	s_waitcnt_depctr 0xfff
	v_cndmask_b32_e64 v81, 0, v82, s17
	v_add_f32_e32 v82, v90, v81
	ds_bpermute_b32 v89, v89, v82
	v_cmpx_gt_u32_e32 16, v67
	s_cbranch_execz .LBB1921_12
; %bb.11:
	v_mul_u32_u24_e32 v67, 0x44, v65
	s_delay_alu instid0(VALU_DEP_1) | instskip(SKIP_1) | instid1(VALU_DEP_1)
	v_lshl_add_u32 v67, v66, 2, v67
	s_waitcnt lgkmcnt(0)
	v_dual_add_f32 v82, v82, v89 :: v_dual_add_nc_u32 v67, 0x4000, v67
	ds_store_2addr_b32 v67, v68, v82 offset1:136
.LBB1921_12:
	s_or_b32 exec_lo, exec_lo, s2
	v_lshlrev_b32_e32 v67, 2, v66
	s_waitcnt lgkmcnt(0)
	s_barrier
	buffer_gl0_inv
	v_cmp_eq_u32_e32 vcc_lo, 1, v65
	v_add_nc_u32_e32 v82, 0x4000, v67
	v_cmp_eq_u32_e64 s2, 2, v65
	v_cmp_eq_u32_e64 s4, 7, v65
	ds_load_2addr_b32 v[89:90], v82 offset1:17
	ds_load_2addr_b32 v[91:92], v82 offset0:34 offset1:51
	ds_load_2addr_b32 v[93:94], v82 offset0:68 offset1:85
	;; [unrolled: 1-line block ×4, first 2 shown]
	s_waitcnt lgkmcnt(4)
	v_max3_f32 v67, v89, 0xff7fffff, v90
	s_waitcnt lgkmcnt(3)
	s_delay_alu instid0(VALU_DEP_1) | instskip(SKIP_1) | instid1(VALU_DEP_1)
	v_max3_f32 v67, v67, v91, v92
	s_waitcnt lgkmcnt(2)
	v_max3_f32 v67, v67, v93, v94
	s_waitcnt lgkmcnt(1)
	s_delay_alu instid0(VALU_DEP_1) | instskip(NEXT) | instid1(VALU_DEP_1)
	v_max3_f32 v67, v67, v95, v96
	v_sub_f32_e32 v93, v93, v67
	s_delay_alu instid0(VALU_DEP_1) | instskip(NEXT) | instid1(VALU_DEP_1)
	v_dual_sub_f32 v68, v89, v67 :: v_dual_mul_f32 v103, 0x3fb8aa3b, v93
	v_mul_f32_e32 v68, 0x3fb8aa3b, v68
	s_delay_alu instid0(VALU_DEP_1)
	v_exp_f32_e32 v100, v68
	v_sub_f32_e32 v68, v92, v67
	v_sub_f32_e32 v99, v90, v67
	ds_load_2addr_b32 v[89:90], v82 offset0:170 offset1:187
	v_dual_mul_f32 v102, 0x3fb8aa3b, v68 :: v_dual_mul_f32 v99, 0x3fb8aa3b, v99
	s_waitcnt lgkmcnt(1)
	v_fma_f32 v68, v100, v97, 0
	s_delay_alu instid0(VALU_DEP_2) | instskip(NEXT) | instid1(VALU_DEP_2)
	v_exp_f32_e32 v102, v102
	v_exp_f32_e32 v99, v99
	s_waitcnt_depctr 0xfff
	v_fmac_f32_e32 v68, v99, v98
	v_sub_f32_e32 v91, v91, v67
	s_delay_alu instid0(VALU_DEP_1)
	v_mul_f32_e32 v101, 0x3fb8aa3b, v91
	ds_load_2addr_b32 v[91:92], v82 offset0:204 offset1:221
	v_sub_f32_e32 v97, v94, v67
	ds_load_2addr_b32 v[93:94], v82 offset0:238 offset1:255
	s_waitcnt lgkmcnt(0)
	v_exp_f32_e32 v101, v101
	s_barrier
	buffer_gl0_inv
	v_dual_fmac_f32 v68, v101, v89 :: v_dual_sub_f32 v89, v96, v67
	v_dual_sub_f32 v82, v95, v67 :: v_dual_mul_f32 v95, 0x3fb8aa3b, v97
	v_exp_f32_e32 v97, v103
	s_delay_alu instid0(VALU_DEP_2) | instskip(NEXT) | instid1(VALU_DEP_2)
	v_dual_fmac_f32 v68, v102, v90 :: v_dual_mul_f32 v89, 0x3fb8aa3b, v89
	v_mul_f32_e32 v82, 0x3fb8aa3b, v82
	s_delay_alu instid0(VALU_DEP_3) | instskip(NEXT) | instid1(VALU_DEP_2)
	v_exp_f32_e32 v95, v95
	v_exp_f32_e32 v89, v89
	s_delay_alu instid0(VALU_DEP_1)
	v_exp_f32_e32 v82, v82
	v_fmac_f32_e32 v68, v97, v91
	s_delay_alu instid0(TRANS32_DEP_3) | instid1(VALU_DEP_1)
	v_fmac_f32_e32 v68, v95, v92
	s_waitcnt_depctr 0xfff
	v_fmac_f32_e32 v68, v82, v93
	s_delay_alu instid0(VALU_DEP_1) | instskip(NEXT) | instid1(VALU_DEP_1)
	v_fmac_f32_e32 v68, v89, v94
	v_add_f32_e32 v90, 0x358637bd, v68
	s_delay_alu instid0(VALU_DEP_1) | instskip(NEXT) | instid1(VALU_DEP_1)
	v_div_scale_f32 v91, null, v90, v90, 1.0
	v_rcp_f32_e32 v92, v91
	s_waitcnt_depctr 0xfff
	v_fma_f32 v93, -v91, v92, 1.0
	s_delay_alu instid0(VALU_DEP_1) | instskip(SKIP_1) | instid1(VALU_DEP_2)
	v_dual_fmac_f32 v92, v93, v92 :: v_dual_cndmask_b32 v93, v100, v99
	v_cmp_eq_u32_e32 vcc_lo, 3, v65
	v_cndmask_b32_e64 v93, v93, v101, s2
	v_cmp_eq_u32_e64 s2, 4, v65
	s_delay_alu instid0(VALU_DEP_2) | instskip(SKIP_1) | instid1(VALU_DEP_2)
	v_cndmask_b32_e32 v93, v93, v102, vcc_lo
	v_cmp_eq_u32_e32 vcc_lo, 5, v65
	v_cndmask_b32_e64 v93, v93, v97, s2
	v_cmp_eq_u32_e64 s2, 6, v65
	s_delay_alu instid0(VALU_DEP_2) | instskip(SKIP_1) | instid1(VALU_DEP_1)
	v_cndmask_b32_e32 v93, v93, v95, vcc_lo
	v_div_scale_f32 v94, s3, 1.0, v90, 1.0
	s_mov_b32 vcc_lo, s3
	s_delay_alu instid0(VALU_DEP_2) | instskip(NEXT) | instid1(VALU_DEP_2)
	v_cndmask_b32_e64 v82, v93, v82, s2
	v_mul_f32_e32 v96, v94, v92
	s_mov_b32 s2, exec_lo
	s_delay_alu instid0(VALU_DEP_2) | instskip(NEXT) | instid1(VALU_DEP_2)
	v_cndmask_b32_e64 v82, v82, v89, s4
	v_fma_f32 v98, -v91, v96, v94
	s_delay_alu instid0(VALU_DEP_1) | instskip(NEXT) | instid1(VALU_DEP_1)
	v_fmac_f32_e32 v96, v98, v92
	v_fma_f32 v91, -v91, v96, v94
	s_delay_alu instid0(VALU_DEP_1) | instskip(NEXT) | instid1(VALU_DEP_1)
	v_div_fmas_f32 v91, v91, v92, v96
	v_div_fixup_f32 v90, v91, v90, 1.0
	s_delay_alu instid0(VALU_DEP_1) | instskip(NEXT) | instid1(VALU_DEP_1)
	v_mul_f32_e32 v82, v82, v90
	v_mul_f32_e32 v87, v82, v87
	;; [unrolled: 1-line block ×7, first 2 shown]
	v_dual_mul_f32 v86, v82, v83 :: v_dual_and_b32 v91, 0x7f800000, v90
	v_mul_f32_e32 v85, v82, v76
                                        ; implicit-def: $vgpr76
	s_delay_alu instid0(VALU_DEP_2)
	v_cmpx_ne_u32_e32 0x7f800000, v91
	s_xor_b32 s2, exec_lo, s2
; %bb.13:
	v_bfe_u32 v76, v90, 16, 1
	s_delay_alu instid0(VALU_DEP_1)
	v_add3_u32 v76, v90, v76, 0x7fff
                                        ; implicit-def: $vgpr90
; %bb.14:
	s_and_not1_saveexec_b32 s2, s2
; %bb.15:
	v_and_b32_e32 v76, 0xffff, v90
	v_or_b32_e32 v83, 0x10000, v90
	s_delay_alu instid0(VALU_DEP_2) | instskip(NEXT) | instid1(VALU_DEP_2)
	v_cmp_eq_u32_e32 vcc_lo, 0, v76
	v_cndmask_b32_e32 v76, v83, v90, vcc_lo
; %bb.16:
	s_or_b32 exec_lo, exec_lo, s2
	v_and_b32_e32 v83, 0x7f800000, v85
	s_delay_alu instid0(VALU_DEP_1) | instskip(SKIP_1) | instid1(SALU_CYCLE_1)
	v_cmp_ne_u32_e32 vcc_lo, 0x7f800000, v83
                                        ; implicit-def: $vgpr83
	s_and_saveexec_b32 s2, vcc_lo
	s_xor_b32 s2, exec_lo, s2
; %bb.17:
	v_bfe_u32 v83, v85, 16, 1
	s_delay_alu instid0(VALU_DEP_1)
	v_add3_u32 v83, v85, v83, 0x7fff
                                        ; implicit-def: $vgpr85
; %bb.18:
	s_and_not1_saveexec_b32 s2, s2
; %bb.19:
	v_and_b32_e32 v83, 0xffff, v85
	v_or_b32_e32 v90, 0x10000, v85
	s_delay_alu instid0(VALU_DEP_2) | instskip(NEXT) | instid1(VALU_DEP_2)
	v_cmp_eq_u32_e32 vcc_lo, 0, v83
	v_cndmask_b32_e32 v83, v90, v85, vcc_lo
; %bb.20:
	s_or_b32 exec_lo, exec_lo, s2
	v_and_b32_e32 v85, 0x7f800000, v86
	s_delay_alu instid0(VALU_DEP_1) | instskip(SKIP_1) | instid1(SALU_CYCLE_1)
	v_cmp_ne_u32_e32 vcc_lo, 0x7f800000, v85
                                        ; implicit-def: $vgpr85
	s_and_saveexec_b32 s2, vcc_lo
	s_xor_b32 s2, exec_lo, s2
; %bb.21:
	v_bfe_u32 v85, v86, 16, 1
	s_delay_alu instid0(VALU_DEP_1)
	v_add3_u32 v85, v86, v85, 0x7fff
                                        ; implicit-def: $vgpr86
; %bb.22:
	s_and_not1_saveexec_b32 s2, s2
; %bb.23:
	v_and_b32_e32 v85, 0xffff, v86
	v_or_b32_e32 v90, 0x10000, v86
	s_delay_alu instid0(VALU_DEP_2) | instskip(NEXT) | instid1(VALU_DEP_2)
	v_cmp_eq_u32_e32 vcc_lo, 0, v85
	v_cndmask_b32_e32 v85, v90, v86, vcc_lo
; %bb.24:
	s_or_b32 exec_lo, exec_lo, s2
	v_and_b32_e32 v86, 0x7f800000, v89
	s_delay_alu instid0(VALU_DEP_1) | instskip(SKIP_1) | instid1(SALU_CYCLE_1)
	v_cmp_ne_u32_e32 vcc_lo, 0x7f800000, v86
                                        ; implicit-def: $vgpr86
	s_and_saveexec_b32 s2, vcc_lo
	s_xor_b32 s2, exec_lo, s2
; %bb.25:
	v_bfe_u32 v86, v89, 16, 1
	s_delay_alu instid0(VALU_DEP_1)
	v_add3_u32 v86, v89, v86, 0x7fff
                                        ; implicit-def: $vgpr89
; %bb.26:
	s_and_not1_saveexec_b32 s2, s2
; %bb.27:
	v_and_b32_e32 v86, 0xffff, v89
	v_or_b32_e32 v90, 0x10000, v89
	s_delay_alu instid0(VALU_DEP_2) | instskip(NEXT) | instid1(VALU_DEP_2)
	v_cmp_eq_u32_e32 vcc_lo, 0, v86
	v_cndmask_b32_e32 v86, v90, v89, vcc_lo
; %bb.28:
	s_or_b32 exec_lo, exec_lo, s2
	v_and_b32_e32 v89, 0x7f800000, v88
	s_delay_alu instid0(VALU_DEP_1) | instskip(SKIP_1) | instid1(SALU_CYCLE_1)
	v_cmp_ne_u32_e32 vcc_lo, 0x7f800000, v89
                                        ; implicit-def: $vgpr89
	s_and_saveexec_b32 s2, vcc_lo
	s_xor_b32 s2, exec_lo, s2
; %bb.29:
	v_bfe_u32 v89, v88, 16, 1
	s_delay_alu instid0(VALU_DEP_1)
	v_add3_u32 v89, v88, v89, 0x7fff
                                        ; implicit-def: $vgpr88
; %bb.30:
	s_and_not1_saveexec_b32 s2, s2
; %bb.31:
	v_and_b32_e32 v89, 0xffff, v88
	v_or_b32_e32 v90, 0x10000, v88
	s_delay_alu instid0(VALU_DEP_2) | instskip(NEXT) | instid1(VALU_DEP_2)
	v_cmp_eq_u32_e32 vcc_lo, 0, v89
	v_cndmask_b32_e32 v89, v90, v88, vcc_lo
; %bb.32:
	s_or_b32 exec_lo, exec_lo, s2
	v_and_b32_e32 v88, 0x7f800000, v87
	s_delay_alu instid0(VALU_DEP_1) | instskip(SKIP_1) | instid1(SALU_CYCLE_1)
	v_cmp_ne_u32_e32 vcc_lo, 0x7f800000, v88
                                        ; implicit-def: $vgpr88
	s_and_saveexec_b32 s2, vcc_lo
	s_xor_b32 s2, exec_lo, s2
; %bb.33:
	v_bfe_u32 v88, v87, 16, 1
	s_delay_alu instid0(VALU_DEP_1)
	v_add3_u32 v88, v87, v88, 0x7fff
                                        ; implicit-def: $vgpr87
; %bb.34:
	s_and_not1_saveexec_b32 s2, s2
; %bb.35:
	v_and_b32_e32 v88, 0xffff, v87
	v_or_b32_e32 v90, 0x10000, v87
	s_delay_alu instid0(VALU_DEP_2) | instskip(NEXT) | instid1(VALU_DEP_2)
	v_cmp_eq_u32_e32 vcc_lo, 0, v88
	v_cndmask_b32_e32 v88, v90, v87, vcc_lo
; %bb.36:
	s_or_b32 exec_lo, exec_lo, s2
	v_and_b32_e32 v87, 0x7f800000, v84
	s_delay_alu instid0(VALU_DEP_1) | instskip(SKIP_1) | instid1(SALU_CYCLE_1)
	v_cmp_ne_u32_e32 vcc_lo, 0x7f800000, v87
                                        ; implicit-def: $vgpr87
	s_and_saveexec_b32 s2, vcc_lo
	s_xor_b32 s2, exec_lo, s2
; %bb.37:
	v_bfe_u32 v87, v84, 16, 1
	s_delay_alu instid0(VALU_DEP_1)
	v_add3_u32 v87, v84, v87, 0x7fff
                                        ; implicit-def: $vgpr84
; %bb.38:
	s_and_not1_saveexec_b32 s2, s2
; %bb.39:
	v_and_b32_e32 v87, 0xffff, v84
	v_or_b32_e32 v90, 0x10000, v84
	s_delay_alu instid0(VALU_DEP_2) | instskip(NEXT) | instid1(VALU_DEP_2)
	v_cmp_eq_u32_e32 vcc_lo, 0, v87
	v_cndmask_b32_e32 v87, v90, v84, vcc_lo
; %bb.40:
	s_or_b32 exec_lo, exec_lo, s2
	v_and_b32_e32 v84, 0x7f800000, v80
	s_delay_alu instid0(VALU_DEP_1) | instskip(SKIP_1) | instid1(SALU_CYCLE_1)
	v_cmp_ne_u32_e32 vcc_lo, 0x7f800000, v84
                                        ; implicit-def: $vgpr84
	s_and_saveexec_b32 s2, vcc_lo
	s_xor_b32 s2, exec_lo, s2
; %bb.41:
	v_bfe_u32 v84, v80, 16, 1
	s_delay_alu instid0(VALU_DEP_1)
	v_add3_u32 v84, v80, v84, 0x7fff
                                        ; implicit-def: $vgpr80
; %bb.42:
	s_and_not1_saveexec_b32 s2, s2
; %bb.43:
	v_and_b32_e32 v84, 0xffff, v80
	v_or_b32_e32 v90, 0x10000, v80
	s_delay_alu instid0(VALU_DEP_2) | instskip(NEXT) | instid1(VALU_DEP_2)
	v_cmp_eq_u32_e32 vcc_lo, 0, v84
	v_cndmask_b32_e32 v84, v90, v80, vcc_lo
; %bb.44:
	s_or_b32 exec_lo, exec_lo, s2
	s_load_b64 s[34:35], s[0:1], 0x94
	v_lshlrev_b32_e32 v91, 4, v74
	s_delay_alu instid0(VALU_DEP_2)
	v_perm_b32 v90, v84, v87, 0x7060302
	v_dual_mul_f32 v77, v82, v77 :: v_dual_lshlrev_b32 v80, 6, v66
	v_lshlrev_b32_e32 v66, 11, v65
	v_perm_b32 v87, v83, v76, 0x7060302
	v_mul_f32_e32 v83, v82, v70
	v_perm_b32 v89, v88, v89, 0x7060302
	v_perm_b32 v88, v86, v85, 0x7060302
	v_or3_b32 v76, v91, v66, v80
	v_mul_f32_e32 v66, v82, v81
	v_mul_f32_e32 v70, v82, v79
	;; [unrolled: 1-line block ×3, first 2 shown]
	v_dual_mul_f32 v81, v82, v72 :: v_dual_and_b32 v84, 0x7f800000, v83
	v_mul_f32_e32 v79, v82, v71
	v_mul_f32_e32 v72, v82, v69
	s_mov_b32 s2, exec_lo
	ds_store_b128 v76, v[87:90]
                                        ; implicit-def: $vgpr69
	v_cmpx_ne_u32_e32 0x7f800000, v84
	s_xor_b32 s2, exec_lo, s2
; %bb.45:
	v_bfe_u32 v69, v83, 16, 1
	s_delay_alu instid0(VALU_DEP_1)
	v_add3_u32 v69, v83, v69, 0x7fff
                                        ; implicit-def: $vgpr83
; %bb.46:
	s_and_not1_saveexec_b32 s2, s2
; %bb.47:
	v_and_b32_e32 v69, 0xffff, v83
	v_or_b32_e32 v71, 0x10000, v83
	s_delay_alu instid0(VALU_DEP_2) | instskip(NEXT) | instid1(VALU_DEP_2)
	v_cmp_eq_u32_e32 vcc_lo, 0, v69
	v_cndmask_b32_e32 v69, v71, v83, vcc_lo
; %bb.48:
	s_or_b32 exec_lo, exec_lo, s2
	v_and_b32_e32 v71, 0x7f800000, v72
	s_delay_alu instid0(VALU_DEP_1) | instskip(SKIP_1) | instid1(SALU_CYCLE_1)
	v_cmp_ne_u32_e32 vcc_lo, 0x7f800000, v71
                                        ; implicit-def: $vgpr71
	s_and_saveexec_b32 s2, vcc_lo
	s_xor_b32 s2, exec_lo, s2
; %bb.49:
	v_bfe_u32 v71, v72, 16, 1
	s_delay_alu instid0(VALU_DEP_1)
	v_add3_u32 v71, v72, v71, 0x7fff
                                        ; implicit-def: $vgpr72
; %bb.50:
	s_and_not1_saveexec_b32 s2, s2
; %bb.51:
	v_and_b32_e32 v71, 0xffff, v72
	v_or_b32_e32 v82, 0x10000, v72
	s_delay_alu instid0(VALU_DEP_2) | instskip(NEXT) | instid1(VALU_DEP_2)
	v_cmp_eq_u32_e32 vcc_lo, 0, v71
	v_cndmask_b32_e32 v71, v82, v72, vcc_lo
; %bb.52:
	s_or_b32 exec_lo, exec_lo, s2
	v_and_b32_e32 v72, 0x7f800000, v79
	s_delay_alu instid0(VALU_DEP_1) | instskip(SKIP_1) | instid1(SALU_CYCLE_1)
	v_cmp_ne_u32_e32 vcc_lo, 0x7f800000, v72
                                        ; implicit-def: $vgpr72
	s_and_saveexec_b32 s2, vcc_lo
	s_xor_b32 s2, exec_lo, s2
; %bb.53:
	v_bfe_u32 v72, v79, 16, 1
	s_delay_alu instid0(VALU_DEP_1)
	v_add3_u32 v72, v79, v72, 0x7fff
                                        ; implicit-def: $vgpr79
; %bb.54:
	s_and_not1_saveexec_b32 s2, s2
; %bb.55:
	v_and_b32_e32 v72, 0xffff, v79
	v_or_b32_e32 v82, 0x10000, v79
	s_delay_alu instid0(VALU_DEP_2) | instskip(NEXT) | instid1(VALU_DEP_2)
	v_cmp_eq_u32_e32 vcc_lo, 0, v72
	v_cndmask_b32_e32 v72, v82, v79, vcc_lo
; %bb.56:
	s_or_b32 exec_lo, exec_lo, s2
	v_and_b32_e32 v79, 0x7f800000, v81
	s_delay_alu instid0(VALU_DEP_1) | instskip(SKIP_1) | instid1(SALU_CYCLE_1)
	v_cmp_ne_u32_e32 vcc_lo, 0x7f800000, v79
                                        ; implicit-def: $vgpr79
	s_and_saveexec_b32 s2, vcc_lo
	s_xor_b32 s2, exec_lo, s2
; %bb.57:
	v_bfe_u32 v79, v81, 16, 1
	s_delay_alu instid0(VALU_DEP_1)
	v_add3_u32 v79, v81, v79, 0x7fff
                                        ; implicit-def: $vgpr81
; %bb.58:
	s_and_not1_saveexec_b32 s2, s2
; %bb.59:
	v_and_b32_e32 v79, 0xffff, v81
	v_or_b32_e32 v82, 0x10000, v81
	s_delay_alu instid0(VALU_DEP_2) | instskip(NEXT) | instid1(VALU_DEP_2)
	v_cmp_eq_u32_e32 vcc_lo, 0, v79
	v_cndmask_b32_e32 v79, v82, v81, vcc_lo
; %bb.60:
	s_or_b32 exec_lo, exec_lo, s2
	v_and_b32_e32 v81, 0x7f800000, v77
	s_delay_alu instid0(VALU_DEP_1) | instskip(SKIP_1) | instid1(SALU_CYCLE_1)
	v_cmp_ne_u32_e32 vcc_lo, 0x7f800000, v81
                                        ; implicit-def: $vgpr81
	s_and_saveexec_b32 s2, vcc_lo
	s_xor_b32 s2, exec_lo, s2
; %bb.61:
	v_bfe_u32 v81, v77, 16, 1
	s_delay_alu instid0(VALU_DEP_1)
	v_add3_u32 v81, v77, v81, 0x7fff
                                        ; implicit-def: $vgpr77
; %bb.62:
	s_and_not1_saveexec_b32 s2, s2
; %bb.63:
	v_and_b32_e32 v81, 0xffff, v77
	v_or_b32_e32 v82, 0x10000, v77
	s_delay_alu instid0(VALU_DEP_2) | instskip(NEXT) | instid1(VALU_DEP_2)
	v_cmp_eq_u32_e32 vcc_lo, 0, v81
	v_cndmask_b32_e32 v81, v82, v77, vcc_lo
; %bb.64:
	s_or_b32 exec_lo, exec_lo, s2
	v_and_b32_e32 v77, 0x7f800000, v78
	s_delay_alu instid0(VALU_DEP_1) | instskip(SKIP_1) | instid1(SALU_CYCLE_1)
	v_cmp_ne_u32_e32 vcc_lo, 0x7f800000, v77
                                        ; implicit-def: $vgpr77
	s_and_saveexec_b32 s2, vcc_lo
	s_xor_b32 s2, exec_lo, s2
; %bb.65:
	v_bfe_u32 v77, v78, 16, 1
	s_delay_alu instid0(VALU_DEP_1)
	v_add3_u32 v77, v78, v77, 0x7fff
                                        ; implicit-def: $vgpr78
; %bb.66:
	s_and_not1_saveexec_b32 s2, s2
; %bb.67:
	v_and_b32_e32 v77, 0xffff, v78
	v_or_b32_e32 v82, 0x10000, v78
	s_delay_alu instid0(VALU_DEP_2) | instskip(NEXT) | instid1(VALU_DEP_2)
	v_cmp_eq_u32_e32 vcc_lo, 0, v77
	v_cndmask_b32_e32 v77, v82, v78, vcc_lo
; %bb.68:
	s_or_b32 exec_lo, exec_lo, s2
	v_and_b32_e32 v78, 0x7f800000, v70
	s_delay_alu instid0(VALU_DEP_1) | instskip(SKIP_1) | instid1(SALU_CYCLE_1)
	v_cmp_ne_u32_e32 vcc_lo, 0x7f800000, v78
                                        ; implicit-def: $vgpr78
	s_and_saveexec_b32 s2, vcc_lo
	s_xor_b32 s2, exec_lo, s2
; %bb.69:
	v_bfe_u32 v78, v70, 16, 1
	s_delay_alu instid0(VALU_DEP_1)
	v_add3_u32 v78, v70, v78, 0x7fff
                                        ; implicit-def: $vgpr70
; %bb.70:
	s_and_not1_saveexec_b32 s2, s2
; %bb.71:
	v_and_b32_e32 v78, 0xffff, v70
	v_or_b32_e32 v82, 0x10000, v70
	s_delay_alu instid0(VALU_DEP_2) | instskip(NEXT) | instid1(VALU_DEP_2)
	v_cmp_eq_u32_e32 vcc_lo, 0, v78
	v_cndmask_b32_e32 v78, v82, v70, vcc_lo
; %bb.72:
	s_or_b32 exec_lo, exec_lo, s2
	v_and_b32_e32 v70, 0x7f800000, v66
	s_delay_alu instid0(VALU_DEP_1) | instskip(SKIP_1) | instid1(SALU_CYCLE_1)
	v_cmp_ne_u32_e32 vcc_lo, 0x7f800000, v70
                                        ; implicit-def: $vgpr70
	s_and_saveexec_b32 s2, vcc_lo
	s_xor_b32 s2, exec_lo, s2
; %bb.73:
	v_bfe_u32 v70, v66, 16, 1
	s_delay_alu instid0(VALU_DEP_1)
	v_add3_u32 v70, v66, v70, 0x7fff
                                        ; implicit-def: $vgpr66
; %bb.74:
	s_and_not1_saveexec_b32 s2, s2
; %bb.75:
	v_and_b32_e32 v70, 0xffff, v66
	v_or_b32_e32 v82, 0x10000, v66
	s_delay_alu instid0(VALU_DEP_2) | instskip(NEXT) | instid1(VALU_DEP_2)
	v_cmp_eq_u32_e32 vcc_lo, 0, v70
	v_cndmask_b32_e32 v70, v82, v66, vcc_lo
; %bb.76:
	s_or_b32 exec_lo, exec_lo, s2
	s_delay_alu instid0(VALU_DEP_1)
	v_perm_b32 v86, v70, v78, 0x7060302
	v_perm_b32 v85, v77, v81, 0x7060302
	;; [unrolled: 1-line block ×4, first 2 shown]
	v_lshl_or_b32 v82, v65, 11, v80
	ds_store_b128 v76, v[83:86] offset:1024
	s_waitcnt lgkmcnt(0)
	s_barrier
	buffer_gl0_inv
	ds_load_b128 v[69:72], v82
	ds_load_b128 v[83:86], v82 offset:16
	s_waitcnt lgkmcnt(1)
	v_lshrrev_b32_e32 v65, 16, v69
	v_lshlrev_b32_e32 v78, 2, v74
	s_waitcnt lgkmcnt(0)
	v_lshrrev_b32_e32 v91, 16, v83
	v_lshrrev_b32_e32 v66, 16, v70
	;; [unrolled: 1-line block ×4, first 2 shown]
	v_cmp_eq_u32_e32 vcc_lo, 1, v78
	v_lshrrev_b32_e32 v98, 16, v85
	v_lshrrev_b32_e32 v96, 16, v72
	;; [unrolled: 1-line block ×3, first 2 shown]
	v_cndmask_b32_e32 v81, v69, v65, vcc_lo
	v_or_b32_e32 v79, 1, v78
	v_cmp_eq_u32_e64 s3, 2, v78
	v_cndmask_b32_e32 v87, v83, v91, vcc_lo
	v_cmp_eq_u32_e64 s6, 3, v78
	v_cmp_eq_u32_e64 s8, 4, v78
	;; [unrolled: 1-line block ×3, first 2 shown]
	v_cndmask_b32_e64 v81, v81, v70, s3
	v_cmp_eq_u32_e64 s5, 2, v79
	v_cndmask_b32_e64 v87, v87, v84, s3
	v_cmp_eq_u32_e64 s7, 3, v79
	v_cndmask_b32_e64 v88, v69, v65, s2
	v_cndmask_b32_e64 v81, v81, v66, s6
	v_or_b32_e32 v77, 2, v78
	v_cndmask_b32_e64 v87, v87, v97, s6
	v_cndmask_b32_e64 v89, v83, v91, s2
	;; [unrolled: 1-line block ×4, first 2 shown]
	v_cmp_eq_u32_e64 s9, 5, v78
	v_cndmask_b32_e64 v87, v87, v85, s8
	v_cmp_eq_u32_e64 s10, 4, v79
	v_cndmask_b32_e64 v88, v88, v66, s7
	;; [unrolled: 2-line block ×3, first 2 shown]
	v_cndmask_b32_e64 v81, v81, v95, s9
	v_cmp_eq_u32_e64 s11, 6, v78
	v_cndmask_b32_e64 v88, v88, v71, s10
	v_cndmask_b32_e64 v87, v87, v98, s9
	v_cmp_eq_u32_e64 s12, 5, v79
	v_cndmask_b32_e64 v90, v69, v65, s4
	v_cndmask_b32_e64 v89, v89, v97, s7
	;; [unrolled: 1-line block ×3, first 2 shown]
	v_cmp_eq_u32_e64 s13, 7, v78
	v_cndmask_b32_e64 v88, v88, v95, s12
	v_cndmask_b32_e64 v87, v87, v86, s11
	v_cmp_eq_u32_e64 s15, 6, v79
	v_cmp_eq_u32_e64 s16, 2, v77
	v_cndmask_b32_e64 v89, v89, v85, s10
	v_cndmask_b32_e64 v100, v81, v96, s13
	;; [unrolled: 1-line block ×6, first 2 shown]
	v_cmp_eq_u32_e64 s17, 7, v79
	v_cmp_eq_u32_e64 s18, 3, v77
	;; [unrolled: 1-line block ×4, first 2 shown]
	v_cndmask_b32_e64 v87, v87, v84, s16
	v_cndmask_b32_e64 v102, v88, v96, s17
	;; [unrolled: 1-line block ×4, first 2 shown]
	v_or_b32_e32 v81, 3, v78
	v_cndmask_b32_e64 v93, v87, v97, s18
	v_cmp_eq_u32_e64 s23, 6, v77
	v_cndmask_b32_e64 v103, v88, v86, s15
	v_cndmask_b32_e64 v92, v89, v71, s19
	v_cmp_eq_u32_e64 s20, 1, v81
	ds_load_b128 v[87:90], v82 offset:1024
	v_cmp_eq_u32_e64 s22, 2, v81
	v_cmp_eq_u32_e64 s24, 3, v81
	v_cndmask_b32_e64 v104, v92, v95, s21
	v_cndmask_b32_e64 v65, v69, v65, s20
	;; [unrolled: 1-line block ×4, first 2 shown]
	ds_load_b128 v[91:94], v82 offset:1040
	v_cmp_eq_u32_e64 s25, 4, v81
	v_cndmask_b32_e64 v65, v65, v70, s22
	v_cmp_eq_u32_e64 s27, 5, v81
	v_cndmask_b32_e64 v70, v83, v84, s22
	;; [unrolled: 2-line block ×3, first 2 shown]
	v_cndmask_b32_e64 v65, v65, v66, s24
	v_cndmask_b32_e64 v66, v104, v72, s23
	;; [unrolled: 1-line block ×3, first 2 shown]
	v_cmp_eq_u32_e64 s26, 7, v77
	v_cndmask_b32_e64 v69, v69, v86, s23
	v_cndmask_b32_e64 v65, v65, v71, s25
	s_waitcnt lgkmcnt(1)
	v_lshrrev_b32_e32 v84, 16, v87
	v_cndmask_b32_e64 v70, v70, v85, s25
	v_cndmask_b32_e64 v83, v103, v99, s17
	;; [unrolled: 1-line block ×4, first 2 shown]
	v_lshrrev_b32_e32 v95, 16, v88
	v_cndmask_b32_e64 v70, v70, v98, s27
	s_waitcnt lgkmcnt(0)
	v_lshrrev_b32_e32 v85, 16, v91
	v_cndmask_b32_e64 v97, v87, v84, s2
	v_cndmask_b32_e64 v65, v65, v72, s28
	;; [unrolled: 1-line block ×4, first 2 shown]
	v_cndmask_b32_e32 v71, v87, v84, vcc_lo
	v_cndmask_b32_e32 v98, v91, v85, vcc_lo
	v_cmp_eq_u32_e32 vcc_lo, 7, v81
	v_cndmask_b32_e64 v72, v97, v88, s5
	v_lshrrev_b32_e32 v97, 16, v92
	v_lshrrev_b32_e32 v103, 16, v90
	v_dual_cndmask_b32 v65, v65, v96 :: v_dual_cndmask_b32 v70, v70, v99
	v_cndmask_b32_e64 v71, v71, v88, s3
	v_cndmask_b32_e64 v86, v98, v92, s3
	v_cndmask_b32_e64 v72, v72, v95, s7
	v_lshrrev_b32_e32 v98, 16, v89
	v_lshrrev_b32_e32 v99, 16, v93
	v_cndmask_b32_e64 v71, v71, v95, s6
	v_cndmask_b32_e64 v86, v86, v97, s6
	;; [unrolled: 1-line block ×3, first 2 shown]
	v_perm_b32 v72, v70, v65, 0x5040100
	v_perm_b32 v70, v83, v102, 0x5040100
	v_cndmask_b32_e64 v71, v71, v89, s8
	v_cndmask_b32_e64 v86, v86, v93, s8
	;; [unrolled: 1-line block ×3, first 2 shown]
	v_lshrrev_b32_e32 v83, 16, v94
	s_delay_alu instid0(VALU_DEP_4) | instskip(NEXT) | instid1(VALU_DEP_4)
	v_cndmask_b32_e64 v71, v71, v98, s9
	v_cndmask_b32_e64 v86, v86, v99, s9
	s_delay_alu instid0(VALU_DEP_4) | instskip(NEXT) | instid1(VALU_DEP_3)
	v_cndmask_b32_e64 v65, v65, v90, s15
	v_cndmask_b32_e64 v96, v71, v90, s11
	v_perm_b32 v71, v69, v66, 0x5040100
	s_delay_alu instid0(VALU_DEP_4)
	v_cndmask_b32_e64 v69, v86, v94, s11
	v_cndmask_b32_e64 v86, v87, v84, s4
	;; [unrolled: 1-line block ×34, first 2 shown]
	v_cndmask_b32_e32 v84, v84, v103, vcc_lo
	v_cndmask_b32_e32 v86, v87, v83, vcc_lo
	v_cndmask_b32_e64 v87, v88, v83, s26
	v_cndmask_b32_e64 v88, v85, v83, s17
	;; [unrolled: 1-line block ×3, first 2 shown]
	v_perm_b32 v69, v101, v100, 0x5040100
	v_perm_b32 v86, v86, v84, 0x5040100
	v_perm_b32 v85, v87, v89, 0x5040100
	v_perm_b32 v84, v88, v65, 0x5040100
	v_perm_b32 v83, v83, v66, 0x5040100
	s_lshl_b32 s7, s35, 2
	s_mov_b32 s2, exec_lo
	ds_store_b128 v76, v[69:72]
	ds_store_b128 v76, v[83:86] offset:1024
	v_cmpx_gt_u32_e32 4, v0
	s_cbranch_execz .LBB1921_78
; %bb.77:
	v_or_b32_e32 v65, s29, v0
	s_load_b128 s[8:11], s[0:1], 0x58
	s_delay_alu instid0(VALU_DEP_1) | instskip(NEXT) | instid1(VALU_DEP_1)
	v_mad_u64_u32 v[69:70], null, s7, s30, v[65:66]
	v_mad_u64_u32 v[65:66], null, v69, s34, s[14:15]
	s_delay_alu instid0(VALU_DEP_1) | instskip(NEXT) | instid1(VALU_DEP_1)
	v_ashrrev_i32_e32 v66, 31, v65
	v_lshlrev_b64 v[65:66], 2, v[65:66]
	s_waitcnt lgkmcnt(0)
	s_delay_alu instid0(VALU_DEP_1) | instskip(NEXT) | instid1(VALU_DEP_2)
	v_add_co_u32 v69, vcc_lo, s10, v65
	v_add_co_ci_u32_e32 v70, vcc_lo, s11, v66, vcc_lo
	v_add_co_u32 v65, vcc_lo, s8, v65
	v_add_co_ci_u32_e32 v66, vcc_lo, s9, v66, vcc_lo
	global_store_b32 v[69:70], v67, off
	global_store_b32 v[65:66], v68, off
.LBB1921_78:
	s_or_b32 exec_lo, exec_lo, s2
	s_waitcnt lgkmcnt(0)
	s_waitcnt_vscnt null, 0x0
	s_barrier
	buffer_gl0_inv
	ds_load_b128 v[83:86], v80
	ds_load_b128 v[87:90], v80 offset:16
	ds_load_b128 v[95:98], v80 offset:2064
	;; [unrolled: 1-line block ×3, first 2 shown]
	v_mov_b32_e32 v65, 0
	ds_load_b128 v[103:106], v80 offset:4112
	ds_load_b128 v[99:102], v80 offset:4096
	;; [unrolled: 1-line block ×4, first 2 shown]
	v_mov_b32_e32 v66, v65
	v_mov_b32_e32 v67, v65
	;; [unrolled: 1-line block ×7, first 2 shown]
	s_waitcnt lgkmcnt(6)
	s_delay_alu instid0(VALU_DEP_1)
	v_wmma_f32_16x16x16_bf16 v[65:72], v[49:56], v[83:90], v[65:72]
	ds_load_b128 v[53:56], v80 offset:8208
	ds_load_b128 v[49:52], v80 offset:8192
	s_waitcnt lgkmcnt(6)
	v_wmma_f32_16x16x16_bf16 v[65:72], v[41:48], v[91:98], v[65:72]
	ds_load_b128 v[45:48], v80 offset:10256
	ds_load_b128 v[41:44], v80 offset:10240
	s_waitcnt lgkmcnt(6)
	;; [unrolled: 4-line block ×4, first 2 shown]
	v_wmma_f32_16x16x16_bf16 v[65:72], v[1:8], v[49:56], v[65:72]
	s_waitcnt lgkmcnt(4)
	s_delay_alu instid0(VALU_DEP_1) | instskip(SKIP_1) | instid1(VALU_DEP_1)
	v_wmma_f32_16x16x16_bf16 v[65:72], v[9:16], v[41:48], v[65:72]
	s_waitcnt lgkmcnt(2)
	v_wmma_f32_16x16x16_bf16 v[65:72], v[17:24], v[33:40], v[65:72]
	s_waitcnt lgkmcnt(0)
	s_delay_alu instid0(VALU_DEP_1) | instskip(NEXT) | instid1(VALU_DEP_1)
	v_wmma_f32_16x16x16_bf16 v[65:72], v[57:64], v[25:32], v[65:72]
	v_and_b32_e32 v1, 0x7f800000, v65
	s_delay_alu instid0(VALU_DEP_1) | instskip(SKIP_1) | instid1(SALU_CYCLE_1)
	v_cmp_ne_u32_e32 vcc_lo, 0x7f800000, v1
                                        ; implicit-def: $vgpr1
	s_and_saveexec_b32 s2, vcc_lo
	s_xor_b32 s2, exec_lo, s2
; %bb.79:
	v_bfe_u32 v1, v65, 16, 1
	s_delay_alu instid0(VALU_DEP_1)
	v_add3_u32 v1, v65, v1, 0x7fff
; %bb.80:
	s_and_not1_saveexec_b32 s2, s2
; %bb.81:
	v_and_b32_e32 v1, 0xffff, v65
	v_or_b32_e32 v2, 0x10000, v65
	s_delay_alu instid0(VALU_DEP_2) | instskip(NEXT) | instid1(VALU_DEP_2)
	v_cmp_eq_u32_e32 vcc_lo, 0, v1
	v_cndmask_b32_e32 v1, v2, v65, vcc_lo
; %bb.82:
	s_or_b32 exec_lo, exec_lo, s2
	v_and_b32_e32 v2, 0x7f800000, v66
	s_delay_alu instid0(VALU_DEP_1) | instskip(SKIP_1) | instid1(SALU_CYCLE_1)
	v_cmp_ne_u32_e32 vcc_lo, 0x7f800000, v2
                                        ; implicit-def: $vgpr2
	s_and_saveexec_b32 s2, vcc_lo
	s_xor_b32 s2, exec_lo, s2
; %bb.83:
	v_bfe_u32 v2, v66, 16, 1
	s_delay_alu instid0(VALU_DEP_1)
	v_add3_u32 v2, v66, v2, 0x7fff
; %bb.84:
	s_and_not1_saveexec_b32 s2, s2
; %bb.85:
	v_and_b32_e32 v2, 0xffff, v66
	v_or_b32_e32 v3, 0x10000, v66
	s_delay_alu instid0(VALU_DEP_2) | instskip(NEXT) | instid1(VALU_DEP_2)
	v_cmp_eq_u32_e32 vcc_lo, 0, v2
	v_cndmask_b32_e32 v2, v3, v66, vcc_lo
; %bb.86:
	s_or_b32 exec_lo, exec_lo, s2
	v_and_b32_e32 v3, 0x7f800000, v67
	s_delay_alu instid0(VALU_DEP_1) | instskip(SKIP_1) | instid1(SALU_CYCLE_1)
	v_cmp_ne_u32_e32 vcc_lo, 0x7f800000, v3
                                        ; implicit-def: $vgpr3
	s_and_saveexec_b32 s2, vcc_lo
	s_xor_b32 s2, exec_lo, s2
; %bb.87:
	v_bfe_u32 v3, v67, 16, 1
	s_delay_alu instid0(VALU_DEP_1)
	v_add3_u32 v3, v67, v3, 0x7fff
; %bb.88:
	s_and_not1_saveexec_b32 s2, s2
; %bb.89:
	v_and_b32_e32 v3, 0xffff, v67
	v_or_b32_e32 v4, 0x10000, v67
	s_delay_alu instid0(VALU_DEP_2) | instskip(NEXT) | instid1(VALU_DEP_2)
	v_cmp_eq_u32_e32 vcc_lo, 0, v3
	v_cndmask_b32_e32 v3, v4, v67, vcc_lo
; %bb.90:
	s_or_b32 exec_lo, exec_lo, s2
	v_and_b32_e32 v4, 0x7f800000, v68
	s_delay_alu instid0(VALU_DEP_1) | instskip(SKIP_1) | instid1(SALU_CYCLE_1)
	v_cmp_ne_u32_e32 vcc_lo, 0x7f800000, v4
                                        ; implicit-def: $vgpr4
	s_and_saveexec_b32 s2, vcc_lo
	s_xor_b32 s2, exec_lo, s2
; %bb.91:
	v_bfe_u32 v4, v68, 16, 1
	s_delay_alu instid0(VALU_DEP_1)
	v_add3_u32 v4, v68, v4, 0x7fff
; %bb.92:
	s_and_not1_saveexec_b32 s2, s2
; %bb.93:
	v_and_b32_e32 v4, 0xffff, v68
	v_or_b32_e32 v5, 0x10000, v68
	s_delay_alu instid0(VALU_DEP_2) | instskip(NEXT) | instid1(VALU_DEP_2)
	v_cmp_eq_u32_e32 vcc_lo, 0, v4
	v_cndmask_b32_e32 v4, v5, v68, vcc_lo
; %bb.94:
	s_or_b32 exec_lo, exec_lo, s2
	v_and_b32_e32 v5, 0x7f800000, v69
	s_delay_alu instid0(VALU_DEP_1) | instskip(SKIP_1) | instid1(SALU_CYCLE_1)
	v_cmp_ne_u32_e32 vcc_lo, 0x7f800000, v5
                                        ; implicit-def: $vgpr5
	s_and_saveexec_b32 s2, vcc_lo
	s_xor_b32 s2, exec_lo, s2
; %bb.95:
	v_bfe_u32 v5, v69, 16, 1
	s_delay_alu instid0(VALU_DEP_1)
	v_add3_u32 v5, v69, v5, 0x7fff
; %bb.96:
	s_and_not1_saveexec_b32 s2, s2
; %bb.97:
	v_and_b32_e32 v5, 0xffff, v69
	v_or_b32_e32 v6, 0x10000, v69
	s_delay_alu instid0(VALU_DEP_2) | instskip(NEXT) | instid1(VALU_DEP_2)
	v_cmp_eq_u32_e32 vcc_lo, 0, v5
	v_cndmask_b32_e32 v5, v6, v69, vcc_lo
; %bb.98:
	s_or_b32 exec_lo, exec_lo, s2
	v_and_b32_e32 v6, 0x7f800000, v70
	s_delay_alu instid0(VALU_DEP_1) | instskip(SKIP_1) | instid1(SALU_CYCLE_1)
	v_cmp_ne_u32_e32 vcc_lo, 0x7f800000, v6
                                        ; implicit-def: $vgpr6
	s_and_saveexec_b32 s2, vcc_lo
	s_xor_b32 s2, exec_lo, s2
; %bb.99:
	v_bfe_u32 v6, v70, 16, 1
	s_delay_alu instid0(VALU_DEP_1)
	v_add3_u32 v6, v70, v6, 0x7fff
; %bb.100:
	s_and_not1_saveexec_b32 s2, s2
; %bb.101:
	v_and_b32_e32 v6, 0xffff, v70
	v_or_b32_e32 v7, 0x10000, v70
	s_delay_alu instid0(VALU_DEP_2) | instskip(NEXT) | instid1(VALU_DEP_2)
	v_cmp_eq_u32_e32 vcc_lo, 0, v6
	v_cndmask_b32_e32 v6, v7, v70, vcc_lo
; %bb.102:
	s_or_b32 exec_lo, exec_lo, s2
	v_and_b32_e32 v7, 0x7f800000, v71
	s_delay_alu instid0(VALU_DEP_1) | instskip(SKIP_1) | instid1(SALU_CYCLE_1)
	v_cmp_ne_u32_e32 vcc_lo, 0x7f800000, v7
                                        ; implicit-def: $vgpr7
	s_and_saveexec_b32 s2, vcc_lo
	s_xor_b32 s2, exec_lo, s2
; %bb.103:
	v_bfe_u32 v7, v71, 16, 1
	s_delay_alu instid0(VALU_DEP_1)
	v_add3_u32 v7, v71, v7, 0x7fff
; %bb.104:
	s_and_not1_saveexec_b32 s2, s2
; %bb.105:
	v_and_b32_e32 v7, 0xffff, v71
	v_or_b32_e32 v8, 0x10000, v71
	s_delay_alu instid0(VALU_DEP_2) | instskip(NEXT) | instid1(VALU_DEP_2)
	v_cmp_eq_u32_e32 vcc_lo, 0, v7
	v_cndmask_b32_e32 v7, v8, v71, vcc_lo
; %bb.106:
	s_or_b32 exec_lo, exec_lo, s2
	v_and_b32_e32 v8, 0x7f800000, v72
	s_delay_alu instid0(VALU_DEP_1) | instskip(SKIP_1) | instid1(SALU_CYCLE_1)
	v_cmp_ne_u32_e32 vcc_lo, 0x7f800000, v8
                                        ; implicit-def: $vgpr8
	s_and_saveexec_b32 s2, vcc_lo
	s_xor_b32 s2, exec_lo, s2
; %bb.107:
	v_bfe_u32 v8, v72, 16, 1
	s_delay_alu instid0(VALU_DEP_1)
	v_add3_u32 v8, v72, v8, 0x7fff
                                        ; implicit-def: $vgpr65_vgpr66_vgpr67_vgpr68_vgpr69_vgpr70_vgpr71_vgpr72
; %bb.108:
	s_and_not1_saveexec_b32 s2, s2
; %bb.109:
	v_and_b32_e32 v8, 0xffff, v72
	v_or_b32_e32 v9, 0x10000, v72
	s_delay_alu instid0(VALU_DEP_2) | instskip(NEXT) | instid1(VALU_DEP_2)
	v_cmp_eq_u32_e32 vcc_lo, 0, v8
	v_cndmask_b32_e32 v8, v9, v72, vcc_lo
; %bb.110:
	s_or_b32 exec_lo, exec_lo, s2
	s_delay_alu instid0(VALU_DEP_1)
	v_perm_b32 v7, v8, v7, 0x7060302
	v_perm_b32 v6, v6, v5, 0x7060302
	;; [unrolled: 1-line block ×4, first 2 shown]
	s_barrier
	buffer_gl0_inv
	v_cmp_eq_u32_e32 vcc_lo, 1, v78
	ds_store_b128 v76, v[4:7]
	s_waitcnt lgkmcnt(0)
	s_barrier
	buffer_gl0_inv
	ds_load_b128 v[1:4], v82
	ds_load_b128 v[5:8], v82 offset:16
	v_cmp_eq_u32_e64 s2, 1, v79
	v_cmp_eq_u32_e64 s3, 2, v78
	;; [unrolled: 1-line block ×5, first 2 shown]
	s_waitcnt lgkmcnt(1)
	v_lshrrev_b32_e32 v9, 16, v1
	s_waitcnt lgkmcnt(0)
	v_lshrrev_b32_e32 v13, 16, v5
	v_lshrrev_b32_e32 v10, 16, v2
	v_lshrrev_b32_e32 v14, 16, v6
	v_lshrrev_b32_e32 v11, 16, v3
	v_cndmask_b32_e64 v19, v1, v9, s2
	v_cndmask_b32_e32 v18, v5, v13, vcc_lo
	v_cndmask_b32_e64 v20, v5, v13, s2
	v_cndmask_b32_e32 v17, v1, v9, vcc_lo
	v_cmp_eq_u32_e32 vcc_lo, 2, v79
	v_lshrrev_b32_e32 v15, 16, v7
	v_cmp_eq_u32_e64 s2, 1, v77
	v_lshrrev_b32_e32 v12, 16, v4
	v_lshrrev_b32_e32 v16, 16, v8
	v_cndmask_b32_e32 v20, v20, v6, vcc_lo
	v_cndmask_b32_e64 v17, v17, v2, s3
	v_cndmask_b32_e32 v19, v19, v2, vcc_lo
	v_cndmask_b32_e64 v18, v18, v6, s3
	v_cmp_eq_u32_e32 vcc_lo, 4, v78
	v_cmp_eq_u32_e64 s3, 3, v79
	v_cndmask_b32_e64 v17, v17, v10, s4
	v_cndmask_b32_e64 v21, v1, v9, s2
	;; [unrolled: 1-line block ×5, first 2 shown]
	v_cndmask_b32_e32 v17, v17, v3, vcc_lo
	v_cndmask_b32_e64 v20, v20, v14, s3
	v_cndmask_b32_e32 v18, v18, v7, vcc_lo
	v_cmp_eq_u32_e32 vcc_lo, 4, v79
	v_cmp_eq_u32_e64 s3, 5, v79
	v_cmp_eq_u32_e64 s2, 2, v81
	v_cndmask_b32_e64 v21, v21, v2, s6
	v_cmp_eq_u32_e64 s4, 5, v78
	v_cndmask_b32_e32 v19, v19, v3, vcc_lo
	v_cndmask_b32_e32 v20, v20, v7, vcc_lo
	v_cmp_eq_u32_e32 vcc_lo, 6, v79
	s_delay_alu instid0(VALU_DEP_4) | instskip(NEXT) | instid1(VALU_DEP_4)
	v_cndmask_b32_e64 v17, v17, v11, s4
	v_cndmask_b32_e64 v19, v19, v11, s3
	s_delay_alu instid0(VALU_DEP_4) | instskip(SKIP_1) | instid1(VALU_DEP_3)
	v_cndmask_b32_e64 v20, v20, v15, s3
	v_cmp_eq_u32_e64 s3, 1, v81
	v_cndmask_b32_e32 v19, v19, v4, vcc_lo
	v_cndmask_b32_e64 v18, v18, v15, s4
	s_delay_alu instid0(VALU_DEP_3)
	v_cndmask_b32_e64 v1, v1, v9, s3
	v_cndmask_b32_e64 v5, v5, v13, s3
	v_cmp_eq_u32_e64 s3, 3, v77
	v_cndmask_b32_e64 v13, v22, v6, s6
	v_cmp_eq_u32_e64 s6, 3, v81
	v_cndmask_b32_e64 v1, v1, v2, s2
	v_cndmask_b32_e64 v2, v5, v6, s2
	;; [unrolled: 1-line block ×3, first 2 shown]
	v_cmp_eq_u32_e64 s2, 4, v77
	v_cndmask_b32_e64 v6, v13, v14, s3
	v_cndmask_b32_e64 v1, v1, v10, s6
	v_cmp_eq_u32_e64 s3, 4, v81
	v_cndmask_b32_e64 v2, v2, v14, s6
	v_cndmask_b32_e64 v5, v9, v3, s2
	;; [unrolled: 3-line block ×3, first 2 shown]
	v_cndmask_b32_e64 v2, v2, v7, s3
	v_cmp_eq_u32_e64 s2, 5, v81
	v_cmp_eq_u32_e64 s4, 6, v78
	v_cndmask_b32_e64 v5, v5, v11, s6
	v_cmp_eq_u32_e64 s3, 6, v77
	v_cndmask_b32_e64 v3, v6, v15, s6
	v_cndmask_b32_e64 v1, v1, v11, s2
	v_cmp_eq_u32_e64 s6, 6, v81
	v_cndmask_b32_e64 v2, v2, v15, s2
	v_cndmask_b32_e64 v17, v17, v4, s4
	v_cndmask_b32_e64 v18, v18, v8, s4
	v_cmp_eq_u32_e64 s4, 7, v78
	v_cndmask_b32_e64 v5, v5, v4, s3
	;; [unrolled: 4-line block ×3, first 2 shown]
	v_cmp_eq_u32_e64 s3, 7, v77
	v_cndmask_b32_e32 v4, v20, v8, vcc_lo
	v_cndmask_b32_e64 v17, v17, v12, s4
	v_cndmask_b32_e64 v19, v19, v12, s5
	;; [unrolled: 1-line block ×8, first 2 shown]
	s_mov_b32 s2, exec_lo
	v_perm_b32 v4, v2, v1, 0x5040100
	v_perm_b32 v3, v3, v5, 0x5040100
	;; [unrolled: 1-line block ×4, first 2 shown]
	ds_store_b128 v76, v[1:4]
	s_waitcnt lgkmcnt(0)
	s_barrier
	buffer_gl0_inv
	v_cmpx_gt_u32_e32 32, v0
	s_cbranch_execz .LBB1921_2
; %bb.111:
	s_load_b64 s[0:1], s[0:1], 0x68
	v_lshlrev_b32_e32 v0, 10, v0
	v_or_b32_e32 v1, s29, v74
	s_lshl_b32 s4, s34, 7
	v_lshlrev_b32_e32 v2, 4, v75
	s_mul_i32 s2, s4, s30
	v_lshlrev_b32_e32 v3, 6, v74
	v_mul_lo_u32 v8, v1, s4
	v_and_b32_e32 v0, 0x3800, v0
	v_or_b32_e32 v1, 2, v1
	s_mul_i32 s2, s2, s7
	s_delay_alu instid0(SALU_CYCLE_1) | instskip(NEXT) | instid1(VALU_DEP_2)
	s_ashr_i32 s3, s2, 31
	v_or3_b32 v4, v0, v2, v3
	s_lshl_b64 s[2:3], s[2:3], 1
	v_mul_lo_u32 v10, v1, s4
	v_ashrrev_i32_e32 v9, 31, v8
	ds_load_b128 v[0:3], v4
	ds_load_b128 v[4:7], v4 offset:128
	s_waitcnt lgkmcnt(0)
	s_add_u32 s2, s0, s2
	s_addc_u32 s3, s1, s3
	s_lshl_b32 s0, s14, 7
	v_ashrrev_i32_e32 v11, 31, v10
	s_ashr_i32 s1, s0, 31
	v_lshlrev_b64 v[8:9], 1, v[8:9]
	s_lshl_b64 s[0:1], s[0:1], 1
	s_delay_alu instid0(SALU_CYCLE_1) | instskip(SKIP_2) | instid1(VALU_DEP_1)
	s_add_u32 s0, s2, s0
	s_addc_u32 s1, s3, s1
	v_add_co_u32 v12, s0, s0, v73
	v_add_co_ci_u32_e64 v13, null, s1, 0, s0
	v_lshlrev_b64 v[10:11], 1, v[10:11]
	s_delay_alu instid0(VALU_DEP_3) | instskip(NEXT) | instid1(VALU_DEP_3)
	v_add_co_u32 v8, vcc_lo, v12, v8
	v_add_co_ci_u32_e32 v9, vcc_lo, v13, v9, vcc_lo
	s_delay_alu instid0(VALU_DEP_3) | instskip(NEXT) | instid1(VALU_DEP_4)
	v_add_co_u32 v10, vcc_lo, v12, v10
	v_add_co_ci_u32_e32 v11, vcc_lo, v13, v11, vcc_lo
	s_clause 0x1
	global_store_b128 v[8:9], v[0:3], off
	global_store_b128 v[10:11], v[4:7], off
	s_nop 0
	s_sendmsg sendmsg(MSG_DEALLOC_VGPRS)
	s_endpgm
	.section	.rodata,"a",@progbits
	.p2align	6, 0x0
	.amdhsa_kernel _Z39paged_attention_ll4mi_QKV_mfma16_kernelI14__hip_bfloat16hLN4vllm18Fp8KVCacheDataTypeE1ES0_Li32ELi128ELi256ELb0ELi4EL8MFMAType0EEvPKT_PKT0_S9_ifPKiSB_SB_iPKfiiiPfSE_PS4_PT2_iSD_SD_
		.amdhsa_group_segment_fixed_size 17472
		.amdhsa_private_segment_fixed_size 0
		.amdhsa_kernarg_size 400
		.amdhsa_user_sgpr_count 13
		.amdhsa_user_sgpr_dispatch_ptr 0
		.amdhsa_user_sgpr_queue_ptr 0
		.amdhsa_user_sgpr_kernarg_segment_ptr 1
		.amdhsa_user_sgpr_dispatch_id 0
		.amdhsa_user_sgpr_private_segment_size 0
		.amdhsa_wavefront_size32 1
		.amdhsa_uses_dynamic_stack 0
		.amdhsa_enable_private_segment 0
		.amdhsa_system_sgpr_workgroup_id_x 1
		.amdhsa_system_sgpr_workgroup_id_y 1
		.amdhsa_system_sgpr_workgroup_id_z 1
		.amdhsa_system_sgpr_workgroup_info 0
		.amdhsa_system_vgpr_workitem_id 0
		.amdhsa_next_free_vgpr 140
		.amdhsa_next_free_sgpr 36
		.amdhsa_reserve_vcc 1
		.amdhsa_float_round_mode_32 0
		.amdhsa_float_round_mode_16_64 0
		.amdhsa_float_denorm_mode_32 3
		.amdhsa_float_denorm_mode_16_64 3
		.amdhsa_dx10_clamp 1
		.amdhsa_ieee_mode 1
		.amdhsa_fp16_overflow 0
		.amdhsa_workgroup_processor_mode 1
		.amdhsa_memory_ordered 1
		.amdhsa_forward_progress 0
		.amdhsa_shared_vgpr_count 0
		.amdhsa_exception_fp_ieee_invalid_op 0
		.amdhsa_exception_fp_denorm_src 0
		.amdhsa_exception_fp_ieee_div_zero 0
		.amdhsa_exception_fp_ieee_overflow 0
		.amdhsa_exception_fp_ieee_underflow 0
		.amdhsa_exception_fp_ieee_inexact 0
		.amdhsa_exception_int_div_zero 0
	.end_amdhsa_kernel
	.section	.text._Z39paged_attention_ll4mi_QKV_mfma16_kernelI14__hip_bfloat16hLN4vllm18Fp8KVCacheDataTypeE1ES0_Li32ELi128ELi256ELb0ELi4EL8MFMAType0EEvPKT_PKT0_S9_ifPKiSB_SB_iPKfiiiPfSE_PS4_PT2_iSD_SD_,"axG",@progbits,_Z39paged_attention_ll4mi_QKV_mfma16_kernelI14__hip_bfloat16hLN4vllm18Fp8KVCacheDataTypeE1ES0_Li32ELi128ELi256ELb0ELi4EL8MFMAType0EEvPKT_PKT0_S9_ifPKiSB_SB_iPKfiiiPfSE_PS4_PT2_iSD_SD_,comdat
.Lfunc_end1921:
	.size	_Z39paged_attention_ll4mi_QKV_mfma16_kernelI14__hip_bfloat16hLN4vllm18Fp8KVCacheDataTypeE1ES0_Li32ELi128ELi256ELb0ELi4EL8MFMAType0EEvPKT_PKT0_S9_ifPKiSB_SB_iPKfiiiPfSE_PS4_PT2_iSD_SD_, .Lfunc_end1921-_Z39paged_attention_ll4mi_QKV_mfma16_kernelI14__hip_bfloat16hLN4vllm18Fp8KVCacheDataTypeE1ES0_Li32ELi128ELi256ELb0ELi4EL8MFMAType0EEvPKT_PKT0_S9_ifPKiSB_SB_iPKfiiiPfSE_PS4_PT2_iSD_SD_
                                        ; -- End function
	.section	.AMDGPU.csdata,"",@progbits
; Kernel info:
; codeLenInByte = 8740
; NumSgprs: 38
; NumVgprs: 140
; ScratchSize: 0
; MemoryBound: 0
; FloatMode: 240
; IeeeMode: 1
; LDSByteSize: 17472 bytes/workgroup (compile time only)
; SGPRBlocks: 4
; VGPRBlocks: 17
; NumSGPRsForWavesPerEU: 38
; NumVGPRsForWavesPerEU: 140
; Occupancy: 10
; WaveLimiterHint : 1
; COMPUTE_PGM_RSRC2:SCRATCH_EN: 0
; COMPUTE_PGM_RSRC2:USER_SGPR: 13
; COMPUTE_PGM_RSRC2:TRAP_HANDLER: 0
; COMPUTE_PGM_RSRC2:TGID_X_EN: 1
; COMPUTE_PGM_RSRC2:TGID_Y_EN: 1
; COMPUTE_PGM_RSRC2:TGID_Z_EN: 1
; COMPUTE_PGM_RSRC2:TIDIG_COMP_CNT: 0
	.text
	.p2alignl 7, 3214868480
	.fill 96, 4, 3214868480
	.type	__const.__assert_fail.fmt,@object ; @__const.__assert_fail.fmt
	.section	.rodata.str1.16,"aMS",@progbits,1
	.p2align	4, 0x0
__const.__assert_fail.fmt:
	.asciz	"%s:%u: %s: Device-side assertion `%s' failed.\n"
	.size	__const.__assert_fail.fmt, 47

	.type	.str,@object                    ; @.str
	.section	.rodata.str1.1,"aMS",@progbits,1
.str:
	.asciz	"false"
	.size	.str, 6

	.type	.str.1,@object                  ; @.str.1
.str.1:
	.asciz	"/root/src/amdgpu-assembly/repos/vllm-project__vllm/csrc/rocm/attention.hip"
	.size	.str.1, 75

	.type	__PRETTY_FUNCTION__._Z38paged_attention_ll4mi_QKV_mfma4_kernelIDF16_DF16_LN4vllm18Fp8KVCacheDataTypeE0EhLi16ELi64ELi256ELb1ELi1EEvPKT_PKT0_S7_ifPKiS9_S9_iPKfiiiPfSC_PS2_PT2_iSB_SB_,@object ; @__PRETTY_FUNCTION__._Z38paged_attention_ll4mi_QKV_mfma4_kernelIDF16_DF16_LN4vllm18Fp8KVCacheDataTypeE0EhLi16ELi64ELi256ELb1ELi1EEvPKT_PKT0_S7_ifPKiS9_S9_iPKfiiiPfSC_PS2_PT2_iSB_SB_
__PRETTY_FUNCTION__._Z38paged_attention_ll4mi_QKV_mfma4_kernelIDF16_DF16_LN4vllm18Fp8KVCacheDataTypeE0EhLi16ELi64ELi256ELb1ELi1EEvPKT_PKT0_S7_ifPKiS9_S9_iPKfiiiPfSC_PS2_PT2_iSB_SB_:
	.asciz	"void paged_attention_ll4mi_QKV_mfma4_kernel(const scalar_t *__restrict, const cache_t *__restrict, const cache_t *__restrict, const int, const float, const int *__restrict, const int *__restrict, const int *__restrict, const int, const float *__restrict, const int, const int, const int, float *__restrict, float *__restrict, scalar_t *__restrict, OUTT *__restrict, int, const float *, const float *) [scalar_t = _Float16, cache_t = _Float16, KV_DTYPE = vllm::Fp8KVCacheDataType::kAuto, OUTT = unsigned char, BLOCK_SIZE = 16, HEAD_SIZE = 64, NUM_THREADS = 256, ALIBI_ENABLED = true, GQA_RATIO = 1]"
	.size	__PRETTY_FUNCTION__._Z38paged_attention_ll4mi_QKV_mfma4_kernelIDF16_DF16_LN4vllm18Fp8KVCacheDataTypeE0EhLi16ELi64ELi256ELb1ELi1EEvPKT_PKT0_S7_ifPKiS9_S9_iPKfiiiPfSC_PS2_PT2_iSB_SB_, 598

	.type	__PRETTY_FUNCTION__._Z38paged_attention_ll4mi_QKV_mfma4_kernelIDF16_DF16_LN4vllm18Fp8KVCacheDataTypeE0EhLi16ELi64ELi256ELb1ELi2EEvPKT_PKT0_S7_ifPKiS9_S9_iPKfiiiPfSC_PS2_PT2_iSB_SB_,@object ; @__PRETTY_FUNCTION__._Z38paged_attention_ll4mi_QKV_mfma4_kernelIDF16_DF16_LN4vllm18Fp8KVCacheDataTypeE0EhLi16ELi64ELi256ELb1ELi2EEvPKT_PKT0_S7_ifPKiS9_S9_iPKfiiiPfSC_PS2_PT2_iSB_SB_
__PRETTY_FUNCTION__._Z38paged_attention_ll4mi_QKV_mfma4_kernelIDF16_DF16_LN4vllm18Fp8KVCacheDataTypeE0EhLi16ELi64ELi256ELb1ELi2EEvPKT_PKT0_S7_ifPKiS9_S9_iPKfiiiPfSC_PS2_PT2_iSB_SB_:
	.asciz	"void paged_attention_ll4mi_QKV_mfma4_kernel(const scalar_t *__restrict, const cache_t *__restrict, const cache_t *__restrict, const int, const float, const int *__restrict, const int *__restrict, const int *__restrict, const int, const float *__restrict, const int, const int, const int, float *__restrict, float *__restrict, scalar_t *__restrict, OUTT *__restrict, int, const float *, const float *) [scalar_t = _Float16, cache_t = _Float16, KV_DTYPE = vllm::Fp8KVCacheDataType::kAuto, OUTT = unsigned char, BLOCK_SIZE = 16, HEAD_SIZE = 64, NUM_THREADS = 256, ALIBI_ENABLED = true, GQA_RATIO = 2]"
	.size	__PRETTY_FUNCTION__._Z38paged_attention_ll4mi_QKV_mfma4_kernelIDF16_DF16_LN4vllm18Fp8KVCacheDataTypeE0EhLi16ELi64ELi256ELb1ELi2EEvPKT_PKT0_S7_ifPKiS9_S9_iPKfiiiPfSC_PS2_PT2_iSB_SB_, 598

	.type	__PRETTY_FUNCTION__._Z38paged_attention_ll4mi_QKV_mfma4_kernelIDF16_DF16_LN4vllm18Fp8KVCacheDataTypeE0EhLi16ELi64ELi256ELb1ELi3EEvPKT_PKT0_S7_ifPKiS9_S9_iPKfiiiPfSC_PS2_PT2_iSB_SB_,@object ; @__PRETTY_FUNCTION__._Z38paged_attention_ll4mi_QKV_mfma4_kernelIDF16_DF16_LN4vllm18Fp8KVCacheDataTypeE0EhLi16ELi64ELi256ELb1ELi3EEvPKT_PKT0_S7_ifPKiS9_S9_iPKfiiiPfSC_PS2_PT2_iSB_SB_
__PRETTY_FUNCTION__._Z38paged_attention_ll4mi_QKV_mfma4_kernelIDF16_DF16_LN4vllm18Fp8KVCacheDataTypeE0EhLi16ELi64ELi256ELb1ELi3EEvPKT_PKT0_S7_ifPKiS9_S9_iPKfiiiPfSC_PS2_PT2_iSB_SB_:
	.asciz	"void paged_attention_ll4mi_QKV_mfma4_kernel(const scalar_t *__restrict, const cache_t *__restrict, const cache_t *__restrict, const int, const float, const int *__restrict, const int *__restrict, const int *__restrict, const int, const float *__restrict, const int, const int, const int, float *__restrict, float *__restrict, scalar_t *__restrict, OUTT *__restrict, int, const float *, const float *) [scalar_t = _Float16, cache_t = _Float16, KV_DTYPE = vllm::Fp8KVCacheDataType::kAuto, OUTT = unsigned char, BLOCK_SIZE = 16, HEAD_SIZE = 64, NUM_THREADS = 256, ALIBI_ENABLED = true, GQA_RATIO = 3]"
	.size	__PRETTY_FUNCTION__._Z38paged_attention_ll4mi_QKV_mfma4_kernelIDF16_DF16_LN4vllm18Fp8KVCacheDataTypeE0EhLi16ELi64ELi256ELb1ELi3EEvPKT_PKT0_S7_ifPKiS9_S9_iPKfiiiPfSC_PS2_PT2_iSB_SB_, 598

	.type	__PRETTY_FUNCTION__._Z38paged_attention_ll4mi_QKV_mfma4_kernelIDF16_DF16_LN4vllm18Fp8KVCacheDataTypeE0EhLi16ELi64ELi256ELb1ELi4EEvPKT_PKT0_S7_ifPKiS9_S9_iPKfiiiPfSC_PS2_PT2_iSB_SB_,@object ; @__PRETTY_FUNCTION__._Z38paged_attention_ll4mi_QKV_mfma4_kernelIDF16_DF16_LN4vllm18Fp8KVCacheDataTypeE0EhLi16ELi64ELi256ELb1ELi4EEvPKT_PKT0_S7_ifPKiS9_S9_iPKfiiiPfSC_PS2_PT2_iSB_SB_
__PRETTY_FUNCTION__._Z38paged_attention_ll4mi_QKV_mfma4_kernelIDF16_DF16_LN4vllm18Fp8KVCacheDataTypeE0EhLi16ELi64ELi256ELb1ELi4EEvPKT_PKT0_S7_ifPKiS9_S9_iPKfiiiPfSC_PS2_PT2_iSB_SB_:
	.asciz	"void paged_attention_ll4mi_QKV_mfma4_kernel(const scalar_t *__restrict, const cache_t *__restrict, const cache_t *__restrict, const int, const float, const int *__restrict, const int *__restrict, const int *__restrict, const int, const float *__restrict, const int, const int, const int, float *__restrict, float *__restrict, scalar_t *__restrict, OUTT *__restrict, int, const float *, const float *) [scalar_t = _Float16, cache_t = _Float16, KV_DTYPE = vllm::Fp8KVCacheDataType::kAuto, OUTT = unsigned char, BLOCK_SIZE = 16, HEAD_SIZE = 64, NUM_THREADS = 256, ALIBI_ENABLED = true, GQA_RATIO = 4]"
	.size	__PRETTY_FUNCTION__._Z38paged_attention_ll4mi_QKV_mfma4_kernelIDF16_DF16_LN4vllm18Fp8KVCacheDataTypeE0EhLi16ELi64ELi256ELb1ELi4EEvPKT_PKT0_S7_ifPKiS9_S9_iPKfiiiPfSC_PS2_PT2_iSB_SB_, 598

	.type	__PRETTY_FUNCTION__._Z38paged_attention_ll4mi_QKV_mfma4_kernelIDF16_DF16_LN4vllm18Fp8KVCacheDataTypeE0EhLi16ELi64ELi256ELb0ELi1EEvPKT_PKT0_S7_ifPKiS9_S9_iPKfiiiPfSC_PS2_PT2_iSB_SB_,@object ; @__PRETTY_FUNCTION__._Z38paged_attention_ll4mi_QKV_mfma4_kernelIDF16_DF16_LN4vllm18Fp8KVCacheDataTypeE0EhLi16ELi64ELi256ELb0ELi1EEvPKT_PKT0_S7_ifPKiS9_S9_iPKfiiiPfSC_PS2_PT2_iSB_SB_
__PRETTY_FUNCTION__._Z38paged_attention_ll4mi_QKV_mfma4_kernelIDF16_DF16_LN4vllm18Fp8KVCacheDataTypeE0EhLi16ELi64ELi256ELb0ELi1EEvPKT_PKT0_S7_ifPKiS9_S9_iPKfiiiPfSC_PS2_PT2_iSB_SB_:
	.asciz	"void paged_attention_ll4mi_QKV_mfma4_kernel(const scalar_t *__restrict, const cache_t *__restrict, const cache_t *__restrict, const int, const float, const int *__restrict, const int *__restrict, const int *__restrict, const int, const float *__restrict, const int, const int, const int, float *__restrict, float *__restrict, scalar_t *__restrict, OUTT *__restrict, int, const float *, const float *) [scalar_t = _Float16, cache_t = _Float16, KV_DTYPE = vllm::Fp8KVCacheDataType::kAuto, OUTT = unsigned char, BLOCK_SIZE = 16, HEAD_SIZE = 64, NUM_THREADS = 256, ALIBI_ENABLED = false, GQA_RATIO = 1]"
	.size	__PRETTY_FUNCTION__._Z38paged_attention_ll4mi_QKV_mfma4_kernelIDF16_DF16_LN4vllm18Fp8KVCacheDataTypeE0EhLi16ELi64ELi256ELb0ELi1EEvPKT_PKT0_S7_ifPKiS9_S9_iPKfiiiPfSC_PS2_PT2_iSB_SB_, 599

	.type	__PRETTY_FUNCTION__._Z38paged_attention_ll4mi_QKV_mfma4_kernelIDF16_DF16_LN4vllm18Fp8KVCacheDataTypeE0EhLi16ELi64ELi256ELb0ELi2EEvPKT_PKT0_S7_ifPKiS9_S9_iPKfiiiPfSC_PS2_PT2_iSB_SB_,@object ; @__PRETTY_FUNCTION__._Z38paged_attention_ll4mi_QKV_mfma4_kernelIDF16_DF16_LN4vllm18Fp8KVCacheDataTypeE0EhLi16ELi64ELi256ELb0ELi2EEvPKT_PKT0_S7_ifPKiS9_S9_iPKfiiiPfSC_PS2_PT2_iSB_SB_
__PRETTY_FUNCTION__._Z38paged_attention_ll4mi_QKV_mfma4_kernelIDF16_DF16_LN4vllm18Fp8KVCacheDataTypeE0EhLi16ELi64ELi256ELb0ELi2EEvPKT_PKT0_S7_ifPKiS9_S9_iPKfiiiPfSC_PS2_PT2_iSB_SB_:
	.asciz	"void paged_attention_ll4mi_QKV_mfma4_kernel(const scalar_t *__restrict, const cache_t *__restrict, const cache_t *__restrict, const int, const float, const int *__restrict, const int *__restrict, const int *__restrict, const int, const float *__restrict, const int, const int, const int, float *__restrict, float *__restrict, scalar_t *__restrict, OUTT *__restrict, int, const float *, const float *) [scalar_t = _Float16, cache_t = _Float16, KV_DTYPE = vllm::Fp8KVCacheDataType::kAuto, OUTT = unsigned char, BLOCK_SIZE = 16, HEAD_SIZE = 64, NUM_THREADS = 256, ALIBI_ENABLED = false, GQA_RATIO = 2]"
	.size	__PRETTY_FUNCTION__._Z38paged_attention_ll4mi_QKV_mfma4_kernelIDF16_DF16_LN4vllm18Fp8KVCacheDataTypeE0EhLi16ELi64ELi256ELb0ELi2EEvPKT_PKT0_S7_ifPKiS9_S9_iPKfiiiPfSC_PS2_PT2_iSB_SB_, 599

	.type	__PRETTY_FUNCTION__._Z38paged_attention_ll4mi_QKV_mfma4_kernelIDF16_DF16_LN4vllm18Fp8KVCacheDataTypeE0EhLi16ELi64ELi256ELb0ELi3EEvPKT_PKT0_S7_ifPKiS9_S9_iPKfiiiPfSC_PS2_PT2_iSB_SB_,@object ; @__PRETTY_FUNCTION__._Z38paged_attention_ll4mi_QKV_mfma4_kernelIDF16_DF16_LN4vllm18Fp8KVCacheDataTypeE0EhLi16ELi64ELi256ELb0ELi3EEvPKT_PKT0_S7_ifPKiS9_S9_iPKfiiiPfSC_PS2_PT2_iSB_SB_
__PRETTY_FUNCTION__._Z38paged_attention_ll4mi_QKV_mfma4_kernelIDF16_DF16_LN4vllm18Fp8KVCacheDataTypeE0EhLi16ELi64ELi256ELb0ELi3EEvPKT_PKT0_S7_ifPKiS9_S9_iPKfiiiPfSC_PS2_PT2_iSB_SB_:
	.asciz	"void paged_attention_ll4mi_QKV_mfma4_kernel(const scalar_t *__restrict, const cache_t *__restrict, const cache_t *__restrict, const int, const float, const int *__restrict, const int *__restrict, const int *__restrict, const int, const float *__restrict, const int, const int, const int, float *__restrict, float *__restrict, scalar_t *__restrict, OUTT *__restrict, int, const float *, const float *) [scalar_t = _Float16, cache_t = _Float16, KV_DTYPE = vllm::Fp8KVCacheDataType::kAuto, OUTT = unsigned char, BLOCK_SIZE = 16, HEAD_SIZE = 64, NUM_THREADS = 256, ALIBI_ENABLED = false, GQA_RATIO = 3]"
	.size	__PRETTY_FUNCTION__._Z38paged_attention_ll4mi_QKV_mfma4_kernelIDF16_DF16_LN4vllm18Fp8KVCacheDataTypeE0EhLi16ELi64ELi256ELb0ELi3EEvPKT_PKT0_S7_ifPKiS9_S9_iPKfiiiPfSC_PS2_PT2_iSB_SB_, 599

	.type	__PRETTY_FUNCTION__._Z38paged_attention_ll4mi_QKV_mfma4_kernelIDF16_DF16_LN4vllm18Fp8KVCacheDataTypeE0EhLi16ELi64ELi256ELb0ELi4EEvPKT_PKT0_S7_ifPKiS9_S9_iPKfiiiPfSC_PS2_PT2_iSB_SB_,@object ; @__PRETTY_FUNCTION__._Z38paged_attention_ll4mi_QKV_mfma4_kernelIDF16_DF16_LN4vllm18Fp8KVCacheDataTypeE0EhLi16ELi64ELi256ELb0ELi4EEvPKT_PKT0_S7_ifPKiS9_S9_iPKfiiiPfSC_PS2_PT2_iSB_SB_
__PRETTY_FUNCTION__._Z38paged_attention_ll4mi_QKV_mfma4_kernelIDF16_DF16_LN4vllm18Fp8KVCacheDataTypeE0EhLi16ELi64ELi256ELb0ELi4EEvPKT_PKT0_S7_ifPKiS9_S9_iPKfiiiPfSC_PS2_PT2_iSB_SB_:
	.asciz	"void paged_attention_ll4mi_QKV_mfma4_kernel(const scalar_t *__restrict, const cache_t *__restrict, const cache_t *__restrict, const int, const float, const int *__restrict, const int *__restrict, const int *__restrict, const int, const float *__restrict, const int, const int, const int, float *__restrict, float *__restrict, scalar_t *__restrict, OUTT *__restrict, int, const float *, const float *) [scalar_t = _Float16, cache_t = _Float16, KV_DTYPE = vllm::Fp8KVCacheDataType::kAuto, OUTT = unsigned char, BLOCK_SIZE = 16, HEAD_SIZE = 64, NUM_THREADS = 256, ALIBI_ENABLED = false, GQA_RATIO = 4]"
	.size	__PRETTY_FUNCTION__._Z38paged_attention_ll4mi_QKV_mfma4_kernelIDF16_DF16_LN4vllm18Fp8KVCacheDataTypeE0EhLi16ELi64ELi256ELb0ELi4EEvPKT_PKT0_S7_ifPKiS9_S9_iPKfiiiPfSC_PS2_PT2_iSB_SB_, 599

	.type	__PRETTY_FUNCTION__._Z38paged_attention_ll4mi_QKV_mfma4_kernelIDF16_DF16_LN4vllm18Fp8KVCacheDataTypeE0EDF16_Li16ELi64ELi256ELb1ELi1EEvPKT_PKT0_S7_ifPKiS9_S9_iPKfiiiPfSC_PS2_PT2_iSB_SB_,@object ; @__PRETTY_FUNCTION__._Z38paged_attention_ll4mi_QKV_mfma4_kernelIDF16_DF16_LN4vllm18Fp8KVCacheDataTypeE0EDF16_Li16ELi64ELi256ELb1ELi1EEvPKT_PKT0_S7_ifPKiS9_S9_iPKfiiiPfSC_PS2_PT2_iSB_SB_
__PRETTY_FUNCTION__._Z38paged_attention_ll4mi_QKV_mfma4_kernelIDF16_DF16_LN4vllm18Fp8KVCacheDataTypeE0EDF16_Li16ELi64ELi256ELb1ELi1EEvPKT_PKT0_S7_ifPKiS9_S9_iPKfiiiPfSC_PS2_PT2_iSB_SB_:
	.asciz	"void paged_attention_ll4mi_QKV_mfma4_kernel(const scalar_t *__restrict, const cache_t *__restrict, const cache_t *__restrict, const int, const float, const int *__restrict, const int *__restrict, const int *__restrict, const int, const float *__restrict, const int, const int, const int, float *__restrict, float *__restrict, scalar_t *__restrict, OUTT *__restrict, int, const float *, const float *) [scalar_t = _Float16, cache_t = _Float16, KV_DTYPE = vllm::Fp8KVCacheDataType::kAuto, OUTT = _Float16, BLOCK_SIZE = 16, HEAD_SIZE = 64, NUM_THREADS = 256, ALIBI_ENABLED = true, GQA_RATIO = 1]"
	.size	__PRETTY_FUNCTION__._Z38paged_attention_ll4mi_QKV_mfma4_kernelIDF16_DF16_LN4vllm18Fp8KVCacheDataTypeE0EDF16_Li16ELi64ELi256ELb1ELi1EEvPKT_PKT0_S7_ifPKiS9_S9_iPKfiiiPfSC_PS2_PT2_iSB_SB_, 593

	.type	__PRETTY_FUNCTION__._Z38paged_attention_ll4mi_QKV_mfma4_kernelIDF16_DF16_LN4vllm18Fp8KVCacheDataTypeE0EDF16_Li16ELi64ELi256ELb1ELi2EEvPKT_PKT0_S7_ifPKiS9_S9_iPKfiiiPfSC_PS2_PT2_iSB_SB_,@object ; @__PRETTY_FUNCTION__._Z38paged_attention_ll4mi_QKV_mfma4_kernelIDF16_DF16_LN4vllm18Fp8KVCacheDataTypeE0EDF16_Li16ELi64ELi256ELb1ELi2EEvPKT_PKT0_S7_ifPKiS9_S9_iPKfiiiPfSC_PS2_PT2_iSB_SB_
__PRETTY_FUNCTION__._Z38paged_attention_ll4mi_QKV_mfma4_kernelIDF16_DF16_LN4vllm18Fp8KVCacheDataTypeE0EDF16_Li16ELi64ELi256ELb1ELi2EEvPKT_PKT0_S7_ifPKiS9_S9_iPKfiiiPfSC_PS2_PT2_iSB_SB_:
	.asciz	"void paged_attention_ll4mi_QKV_mfma4_kernel(const scalar_t *__restrict, const cache_t *__restrict, const cache_t *__restrict, const int, const float, const int *__restrict, const int *__restrict, const int *__restrict, const int, const float *__restrict, const int, const int, const int, float *__restrict, float *__restrict, scalar_t *__restrict, OUTT *__restrict, int, const float *, const float *) [scalar_t = _Float16, cache_t = _Float16, KV_DTYPE = vllm::Fp8KVCacheDataType::kAuto, OUTT = _Float16, BLOCK_SIZE = 16, HEAD_SIZE = 64, NUM_THREADS = 256, ALIBI_ENABLED = true, GQA_RATIO = 2]"
	.size	__PRETTY_FUNCTION__._Z38paged_attention_ll4mi_QKV_mfma4_kernelIDF16_DF16_LN4vllm18Fp8KVCacheDataTypeE0EDF16_Li16ELi64ELi256ELb1ELi2EEvPKT_PKT0_S7_ifPKiS9_S9_iPKfiiiPfSC_PS2_PT2_iSB_SB_, 593

	.type	__PRETTY_FUNCTION__._Z38paged_attention_ll4mi_QKV_mfma4_kernelIDF16_DF16_LN4vllm18Fp8KVCacheDataTypeE0EDF16_Li16ELi64ELi256ELb1ELi3EEvPKT_PKT0_S7_ifPKiS9_S9_iPKfiiiPfSC_PS2_PT2_iSB_SB_,@object ; @__PRETTY_FUNCTION__._Z38paged_attention_ll4mi_QKV_mfma4_kernelIDF16_DF16_LN4vllm18Fp8KVCacheDataTypeE0EDF16_Li16ELi64ELi256ELb1ELi3EEvPKT_PKT0_S7_ifPKiS9_S9_iPKfiiiPfSC_PS2_PT2_iSB_SB_
__PRETTY_FUNCTION__._Z38paged_attention_ll4mi_QKV_mfma4_kernelIDF16_DF16_LN4vllm18Fp8KVCacheDataTypeE0EDF16_Li16ELi64ELi256ELb1ELi3EEvPKT_PKT0_S7_ifPKiS9_S9_iPKfiiiPfSC_PS2_PT2_iSB_SB_:
	.asciz	"void paged_attention_ll4mi_QKV_mfma4_kernel(const scalar_t *__restrict, const cache_t *__restrict, const cache_t *__restrict, const int, const float, const int *__restrict, const int *__restrict, const int *__restrict, const int, const float *__restrict, const int, const int, const int, float *__restrict, float *__restrict, scalar_t *__restrict, OUTT *__restrict, int, const float *, const float *) [scalar_t = _Float16, cache_t = _Float16, KV_DTYPE = vllm::Fp8KVCacheDataType::kAuto, OUTT = _Float16, BLOCK_SIZE = 16, HEAD_SIZE = 64, NUM_THREADS = 256, ALIBI_ENABLED = true, GQA_RATIO = 3]"
	.size	__PRETTY_FUNCTION__._Z38paged_attention_ll4mi_QKV_mfma4_kernelIDF16_DF16_LN4vllm18Fp8KVCacheDataTypeE0EDF16_Li16ELi64ELi256ELb1ELi3EEvPKT_PKT0_S7_ifPKiS9_S9_iPKfiiiPfSC_PS2_PT2_iSB_SB_, 593

	.type	__PRETTY_FUNCTION__._Z38paged_attention_ll4mi_QKV_mfma4_kernelIDF16_DF16_LN4vllm18Fp8KVCacheDataTypeE0EDF16_Li16ELi64ELi256ELb1ELi4EEvPKT_PKT0_S7_ifPKiS9_S9_iPKfiiiPfSC_PS2_PT2_iSB_SB_,@object ; @__PRETTY_FUNCTION__._Z38paged_attention_ll4mi_QKV_mfma4_kernelIDF16_DF16_LN4vllm18Fp8KVCacheDataTypeE0EDF16_Li16ELi64ELi256ELb1ELi4EEvPKT_PKT0_S7_ifPKiS9_S9_iPKfiiiPfSC_PS2_PT2_iSB_SB_
__PRETTY_FUNCTION__._Z38paged_attention_ll4mi_QKV_mfma4_kernelIDF16_DF16_LN4vllm18Fp8KVCacheDataTypeE0EDF16_Li16ELi64ELi256ELb1ELi4EEvPKT_PKT0_S7_ifPKiS9_S9_iPKfiiiPfSC_PS2_PT2_iSB_SB_:
	.asciz	"void paged_attention_ll4mi_QKV_mfma4_kernel(const scalar_t *__restrict, const cache_t *__restrict, const cache_t *__restrict, const int, const float, const int *__restrict, const int *__restrict, const int *__restrict, const int, const float *__restrict, const int, const int, const int, float *__restrict, float *__restrict, scalar_t *__restrict, OUTT *__restrict, int, const float *, const float *) [scalar_t = _Float16, cache_t = _Float16, KV_DTYPE = vllm::Fp8KVCacheDataType::kAuto, OUTT = _Float16, BLOCK_SIZE = 16, HEAD_SIZE = 64, NUM_THREADS = 256, ALIBI_ENABLED = true, GQA_RATIO = 4]"
	.size	__PRETTY_FUNCTION__._Z38paged_attention_ll4mi_QKV_mfma4_kernelIDF16_DF16_LN4vllm18Fp8KVCacheDataTypeE0EDF16_Li16ELi64ELi256ELb1ELi4EEvPKT_PKT0_S7_ifPKiS9_S9_iPKfiiiPfSC_PS2_PT2_iSB_SB_, 593

	.type	__PRETTY_FUNCTION__._Z38paged_attention_ll4mi_QKV_mfma4_kernelIDF16_DF16_LN4vllm18Fp8KVCacheDataTypeE0EDF16_Li16ELi64ELi256ELb0ELi1EEvPKT_PKT0_S7_ifPKiS9_S9_iPKfiiiPfSC_PS2_PT2_iSB_SB_,@object ; @__PRETTY_FUNCTION__._Z38paged_attention_ll4mi_QKV_mfma4_kernelIDF16_DF16_LN4vllm18Fp8KVCacheDataTypeE0EDF16_Li16ELi64ELi256ELb0ELi1EEvPKT_PKT0_S7_ifPKiS9_S9_iPKfiiiPfSC_PS2_PT2_iSB_SB_
__PRETTY_FUNCTION__._Z38paged_attention_ll4mi_QKV_mfma4_kernelIDF16_DF16_LN4vllm18Fp8KVCacheDataTypeE0EDF16_Li16ELi64ELi256ELb0ELi1EEvPKT_PKT0_S7_ifPKiS9_S9_iPKfiiiPfSC_PS2_PT2_iSB_SB_:
	.asciz	"void paged_attention_ll4mi_QKV_mfma4_kernel(const scalar_t *__restrict, const cache_t *__restrict, const cache_t *__restrict, const int, const float, const int *__restrict, const int *__restrict, const int *__restrict, const int, const float *__restrict, const int, const int, const int, float *__restrict, float *__restrict, scalar_t *__restrict, OUTT *__restrict, int, const float *, const float *) [scalar_t = _Float16, cache_t = _Float16, KV_DTYPE = vllm::Fp8KVCacheDataType::kAuto, OUTT = _Float16, BLOCK_SIZE = 16, HEAD_SIZE = 64, NUM_THREADS = 256, ALIBI_ENABLED = false, GQA_RATIO = 1]"
	.size	__PRETTY_FUNCTION__._Z38paged_attention_ll4mi_QKV_mfma4_kernelIDF16_DF16_LN4vllm18Fp8KVCacheDataTypeE0EDF16_Li16ELi64ELi256ELb0ELi1EEvPKT_PKT0_S7_ifPKiS9_S9_iPKfiiiPfSC_PS2_PT2_iSB_SB_, 594

	.type	__PRETTY_FUNCTION__._Z38paged_attention_ll4mi_QKV_mfma4_kernelIDF16_DF16_LN4vllm18Fp8KVCacheDataTypeE0EDF16_Li16ELi64ELi256ELb0ELi2EEvPKT_PKT0_S7_ifPKiS9_S9_iPKfiiiPfSC_PS2_PT2_iSB_SB_,@object ; @__PRETTY_FUNCTION__._Z38paged_attention_ll4mi_QKV_mfma4_kernelIDF16_DF16_LN4vllm18Fp8KVCacheDataTypeE0EDF16_Li16ELi64ELi256ELb0ELi2EEvPKT_PKT0_S7_ifPKiS9_S9_iPKfiiiPfSC_PS2_PT2_iSB_SB_
__PRETTY_FUNCTION__._Z38paged_attention_ll4mi_QKV_mfma4_kernelIDF16_DF16_LN4vllm18Fp8KVCacheDataTypeE0EDF16_Li16ELi64ELi256ELb0ELi2EEvPKT_PKT0_S7_ifPKiS9_S9_iPKfiiiPfSC_PS2_PT2_iSB_SB_:
	.asciz	"void paged_attention_ll4mi_QKV_mfma4_kernel(const scalar_t *__restrict, const cache_t *__restrict, const cache_t *__restrict, const int, const float, const int *__restrict, const int *__restrict, const int *__restrict, const int, const float *__restrict, const int, const int, const int, float *__restrict, float *__restrict, scalar_t *__restrict, OUTT *__restrict, int, const float *, const float *) [scalar_t = _Float16, cache_t = _Float16, KV_DTYPE = vllm::Fp8KVCacheDataType::kAuto, OUTT = _Float16, BLOCK_SIZE = 16, HEAD_SIZE = 64, NUM_THREADS = 256, ALIBI_ENABLED = false, GQA_RATIO = 2]"
	.size	__PRETTY_FUNCTION__._Z38paged_attention_ll4mi_QKV_mfma4_kernelIDF16_DF16_LN4vllm18Fp8KVCacheDataTypeE0EDF16_Li16ELi64ELi256ELb0ELi2EEvPKT_PKT0_S7_ifPKiS9_S9_iPKfiiiPfSC_PS2_PT2_iSB_SB_, 594

	.type	__PRETTY_FUNCTION__._Z38paged_attention_ll4mi_QKV_mfma4_kernelIDF16_DF16_LN4vllm18Fp8KVCacheDataTypeE0EDF16_Li16ELi64ELi256ELb0ELi3EEvPKT_PKT0_S7_ifPKiS9_S9_iPKfiiiPfSC_PS2_PT2_iSB_SB_,@object ; @__PRETTY_FUNCTION__._Z38paged_attention_ll4mi_QKV_mfma4_kernelIDF16_DF16_LN4vllm18Fp8KVCacheDataTypeE0EDF16_Li16ELi64ELi256ELb0ELi3EEvPKT_PKT0_S7_ifPKiS9_S9_iPKfiiiPfSC_PS2_PT2_iSB_SB_
__PRETTY_FUNCTION__._Z38paged_attention_ll4mi_QKV_mfma4_kernelIDF16_DF16_LN4vllm18Fp8KVCacheDataTypeE0EDF16_Li16ELi64ELi256ELb0ELi3EEvPKT_PKT0_S7_ifPKiS9_S9_iPKfiiiPfSC_PS2_PT2_iSB_SB_:
	.asciz	"void paged_attention_ll4mi_QKV_mfma4_kernel(const scalar_t *__restrict, const cache_t *__restrict, const cache_t *__restrict, const int, const float, const int *__restrict, const int *__restrict, const int *__restrict, const int, const float *__restrict, const int, const int, const int, float *__restrict, float *__restrict, scalar_t *__restrict, OUTT *__restrict, int, const float *, const float *) [scalar_t = _Float16, cache_t = _Float16, KV_DTYPE = vllm::Fp8KVCacheDataType::kAuto, OUTT = _Float16, BLOCK_SIZE = 16, HEAD_SIZE = 64, NUM_THREADS = 256, ALIBI_ENABLED = false, GQA_RATIO = 3]"
	.size	__PRETTY_FUNCTION__._Z38paged_attention_ll4mi_QKV_mfma4_kernelIDF16_DF16_LN4vllm18Fp8KVCacheDataTypeE0EDF16_Li16ELi64ELi256ELb0ELi3EEvPKT_PKT0_S7_ifPKiS9_S9_iPKfiiiPfSC_PS2_PT2_iSB_SB_, 594

	.type	__PRETTY_FUNCTION__._Z38paged_attention_ll4mi_QKV_mfma4_kernelIDF16_DF16_LN4vllm18Fp8KVCacheDataTypeE0EDF16_Li16ELi64ELi256ELb0ELi4EEvPKT_PKT0_S7_ifPKiS9_S9_iPKfiiiPfSC_PS2_PT2_iSB_SB_,@object ; @__PRETTY_FUNCTION__._Z38paged_attention_ll4mi_QKV_mfma4_kernelIDF16_DF16_LN4vllm18Fp8KVCacheDataTypeE0EDF16_Li16ELi64ELi256ELb0ELi4EEvPKT_PKT0_S7_ifPKiS9_S9_iPKfiiiPfSC_PS2_PT2_iSB_SB_
__PRETTY_FUNCTION__._Z38paged_attention_ll4mi_QKV_mfma4_kernelIDF16_DF16_LN4vllm18Fp8KVCacheDataTypeE0EDF16_Li16ELi64ELi256ELb0ELi4EEvPKT_PKT0_S7_ifPKiS9_S9_iPKfiiiPfSC_PS2_PT2_iSB_SB_:
	.asciz	"void paged_attention_ll4mi_QKV_mfma4_kernel(const scalar_t *__restrict, const cache_t *__restrict, const cache_t *__restrict, const int, const float, const int *__restrict, const int *__restrict, const int *__restrict, const int, const float *__restrict, const int, const int, const int, float *__restrict, float *__restrict, scalar_t *__restrict, OUTT *__restrict, int, const float *, const float *) [scalar_t = _Float16, cache_t = _Float16, KV_DTYPE = vllm::Fp8KVCacheDataType::kAuto, OUTT = _Float16, BLOCK_SIZE = 16, HEAD_SIZE = 64, NUM_THREADS = 256, ALIBI_ENABLED = false, GQA_RATIO = 4]"
	.size	__PRETTY_FUNCTION__._Z38paged_attention_ll4mi_QKV_mfma4_kernelIDF16_DF16_LN4vllm18Fp8KVCacheDataTypeE0EDF16_Li16ELi64ELi256ELb0ELi4EEvPKT_PKT0_S7_ifPKiS9_S9_iPKfiiiPfSC_PS2_PT2_iSB_SB_, 594

	.type	__PRETTY_FUNCTION__._Z38paged_attention_ll4mi_QKV_mfma4_kernelIDF16_DF16_LN4vllm18Fp8KVCacheDataTypeE0EhLi32ELi64ELi256ELb1ELi1EEvPKT_PKT0_S7_ifPKiS9_S9_iPKfiiiPfSC_PS2_PT2_iSB_SB_,@object ; @__PRETTY_FUNCTION__._Z38paged_attention_ll4mi_QKV_mfma4_kernelIDF16_DF16_LN4vllm18Fp8KVCacheDataTypeE0EhLi32ELi64ELi256ELb1ELi1EEvPKT_PKT0_S7_ifPKiS9_S9_iPKfiiiPfSC_PS2_PT2_iSB_SB_
__PRETTY_FUNCTION__._Z38paged_attention_ll4mi_QKV_mfma4_kernelIDF16_DF16_LN4vllm18Fp8KVCacheDataTypeE0EhLi32ELi64ELi256ELb1ELi1EEvPKT_PKT0_S7_ifPKiS9_S9_iPKfiiiPfSC_PS2_PT2_iSB_SB_:
	.asciz	"void paged_attention_ll4mi_QKV_mfma4_kernel(const scalar_t *__restrict, const cache_t *__restrict, const cache_t *__restrict, const int, const float, const int *__restrict, const int *__restrict, const int *__restrict, const int, const float *__restrict, const int, const int, const int, float *__restrict, float *__restrict, scalar_t *__restrict, OUTT *__restrict, int, const float *, const float *) [scalar_t = _Float16, cache_t = _Float16, KV_DTYPE = vllm::Fp8KVCacheDataType::kAuto, OUTT = unsigned char, BLOCK_SIZE = 32, HEAD_SIZE = 64, NUM_THREADS = 256, ALIBI_ENABLED = true, GQA_RATIO = 1]"
	.size	__PRETTY_FUNCTION__._Z38paged_attention_ll4mi_QKV_mfma4_kernelIDF16_DF16_LN4vllm18Fp8KVCacheDataTypeE0EhLi32ELi64ELi256ELb1ELi1EEvPKT_PKT0_S7_ifPKiS9_S9_iPKfiiiPfSC_PS2_PT2_iSB_SB_, 598

	.type	__PRETTY_FUNCTION__._Z38paged_attention_ll4mi_QKV_mfma4_kernelIDF16_DF16_LN4vllm18Fp8KVCacheDataTypeE0EhLi32ELi64ELi256ELb1ELi2EEvPKT_PKT0_S7_ifPKiS9_S9_iPKfiiiPfSC_PS2_PT2_iSB_SB_,@object ; @__PRETTY_FUNCTION__._Z38paged_attention_ll4mi_QKV_mfma4_kernelIDF16_DF16_LN4vllm18Fp8KVCacheDataTypeE0EhLi32ELi64ELi256ELb1ELi2EEvPKT_PKT0_S7_ifPKiS9_S9_iPKfiiiPfSC_PS2_PT2_iSB_SB_
__PRETTY_FUNCTION__._Z38paged_attention_ll4mi_QKV_mfma4_kernelIDF16_DF16_LN4vllm18Fp8KVCacheDataTypeE0EhLi32ELi64ELi256ELb1ELi2EEvPKT_PKT0_S7_ifPKiS9_S9_iPKfiiiPfSC_PS2_PT2_iSB_SB_:
	.asciz	"void paged_attention_ll4mi_QKV_mfma4_kernel(const scalar_t *__restrict, const cache_t *__restrict, const cache_t *__restrict, const int, const float, const int *__restrict, const int *__restrict, const int *__restrict, const int, const float *__restrict, const int, const int, const int, float *__restrict, float *__restrict, scalar_t *__restrict, OUTT *__restrict, int, const float *, const float *) [scalar_t = _Float16, cache_t = _Float16, KV_DTYPE = vllm::Fp8KVCacheDataType::kAuto, OUTT = unsigned char, BLOCK_SIZE = 32, HEAD_SIZE = 64, NUM_THREADS = 256, ALIBI_ENABLED = true, GQA_RATIO = 2]"
	.size	__PRETTY_FUNCTION__._Z38paged_attention_ll4mi_QKV_mfma4_kernelIDF16_DF16_LN4vllm18Fp8KVCacheDataTypeE0EhLi32ELi64ELi256ELb1ELi2EEvPKT_PKT0_S7_ifPKiS9_S9_iPKfiiiPfSC_PS2_PT2_iSB_SB_, 598

	.type	__PRETTY_FUNCTION__._Z38paged_attention_ll4mi_QKV_mfma4_kernelIDF16_DF16_LN4vllm18Fp8KVCacheDataTypeE0EhLi32ELi64ELi256ELb1ELi3EEvPKT_PKT0_S7_ifPKiS9_S9_iPKfiiiPfSC_PS2_PT2_iSB_SB_,@object ; @__PRETTY_FUNCTION__._Z38paged_attention_ll4mi_QKV_mfma4_kernelIDF16_DF16_LN4vllm18Fp8KVCacheDataTypeE0EhLi32ELi64ELi256ELb1ELi3EEvPKT_PKT0_S7_ifPKiS9_S9_iPKfiiiPfSC_PS2_PT2_iSB_SB_
__PRETTY_FUNCTION__._Z38paged_attention_ll4mi_QKV_mfma4_kernelIDF16_DF16_LN4vllm18Fp8KVCacheDataTypeE0EhLi32ELi64ELi256ELb1ELi3EEvPKT_PKT0_S7_ifPKiS9_S9_iPKfiiiPfSC_PS2_PT2_iSB_SB_:
	.asciz	"void paged_attention_ll4mi_QKV_mfma4_kernel(const scalar_t *__restrict, const cache_t *__restrict, const cache_t *__restrict, const int, const float, const int *__restrict, const int *__restrict, const int *__restrict, const int, const float *__restrict, const int, const int, const int, float *__restrict, float *__restrict, scalar_t *__restrict, OUTT *__restrict, int, const float *, const float *) [scalar_t = _Float16, cache_t = _Float16, KV_DTYPE = vllm::Fp8KVCacheDataType::kAuto, OUTT = unsigned char, BLOCK_SIZE = 32, HEAD_SIZE = 64, NUM_THREADS = 256, ALIBI_ENABLED = true, GQA_RATIO = 3]"
	.size	__PRETTY_FUNCTION__._Z38paged_attention_ll4mi_QKV_mfma4_kernelIDF16_DF16_LN4vllm18Fp8KVCacheDataTypeE0EhLi32ELi64ELi256ELb1ELi3EEvPKT_PKT0_S7_ifPKiS9_S9_iPKfiiiPfSC_PS2_PT2_iSB_SB_, 598

	.type	__PRETTY_FUNCTION__._Z38paged_attention_ll4mi_QKV_mfma4_kernelIDF16_DF16_LN4vllm18Fp8KVCacheDataTypeE0EhLi32ELi64ELi256ELb1ELi4EEvPKT_PKT0_S7_ifPKiS9_S9_iPKfiiiPfSC_PS2_PT2_iSB_SB_,@object ; @__PRETTY_FUNCTION__._Z38paged_attention_ll4mi_QKV_mfma4_kernelIDF16_DF16_LN4vllm18Fp8KVCacheDataTypeE0EhLi32ELi64ELi256ELb1ELi4EEvPKT_PKT0_S7_ifPKiS9_S9_iPKfiiiPfSC_PS2_PT2_iSB_SB_
__PRETTY_FUNCTION__._Z38paged_attention_ll4mi_QKV_mfma4_kernelIDF16_DF16_LN4vllm18Fp8KVCacheDataTypeE0EhLi32ELi64ELi256ELb1ELi4EEvPKT_PKT0_S7_ifPKiS9_S9_iPKfiiiPfSC_PS2_PT2_iSB_SB_:
	.asciz	"void paged_attention_ll4mi_QKV_mfma4_kernel(const scalar_t *__restrict, const cache_t *__restrict, const cache_t *__restrict, const int, const float, const int *__restrict, const int *__restrict, const int *__restrict, const int, const float *__restrict, const int, const int, const int, float *__restrict, float *__restrict, scalar_t *__restrict, OUTT *__restrict, int, const float *, const float *) [scalar_t = _Float16, cache_t = _Float16, KV_DTYPE = vllm::Fp8KVCacheDataType::kAuto, OUTT = unsigned char, BLOCK_SIZE = 32, HEAD_SIZE = 64, NUM_THREADS = 256, ALIBI_ENABLED = true, GQA_RATIO = 4]"
	.size	__PRETTY_FUNCTION__._Z38paged_attention_ll4mi_QKV_mfma4_kernelIDF16_DF16_LN4vllm18Fp8KVCacheDataTypeE0EhLi32ELi64ELi256ELb1ELi4EEvPKT_PKT0_S7_ifPKiS9_S9_iPKfiiiPfSC_PS2_PT2_iSB_SB_, 598

	.type	__PRETTY_FUNCTION__._Z38paged_attention_ll4mi_QKV_mfma4_kernelIDF16_DF16_LN4vllm18Fp8KVCacheDataTypeE0EhLi32ELi64ELi256ELb0ELi1EEvPKT_PKT0_S7_ifPKiS9_S9_iPKfiiiPfSC_PS2_PT2_iSB_SB_,@object ; @__PRETTY_FUNCTION__._Z38paged_attention_ll4mi_QKV_mfma4_kernelIDF16_DF16_LN4vllm18Fp8KVCacheDataTypeE0EhLi32ELi64ELi256ELb0ELi1EEvPKT_PKT0_S7_ifPKiS9_S9_iPKfiiiPfSC_PS2_PT2_iSB_SB_
__PRETTY_FUNCTION__._Z38paged_attention_ll4mi_QKV_mfma4_kernelIDF16_DF16_LN4vllm18Fp8KVCacheDataTypeE0EhLi32ELi64ELi256ELb0ELi1EEvPKT_PKT0_S7_ifPKiS9_S9_iPKfiiiPfSC_PS2_PT2_iSB_SB_:
	.asciz	"void paged_attention_ll4mi_QKV_mfma4_kernel(const scalar_t *__restrict, const cache_t *__restrict, const cache_t *__restrict, const int, const float, const int *__restrict, const int *__restrict, const int *__restrict, const int, const float *__restrict, const int, const int, const int, float *__restrict, float *__restrict, scalar_t *__restrict, OUTT *__restrict, int, const float *, const float *) [scalar_t = _Float16, cache_t = _Float16, KV_DTYPE = vllm::Fp8KVCacheDataType::kAuto, OUTT = unsigned char, BLOCK_SIZE = 32, HEAD_SIZE = 64, NUM_THREADS = 256, ALIBI_ENABLED = false, GQA_RATIO = 1]"
	.size	__PRETTY_FUNCTION__._Z38paged_attention_ll4mi_QKV_mfma4_kernelIDF16_DF16_LN4vllm18Fp8KVCacheDataTypeE0EhLi32ELi64ELi256ELb0ELi1EEvPKT_PKT0_S7_ifPKiS9_S9_iPKfiiiPfSC_PS2_PT2_iSB_SB_, 599

	.type	__PRETTY_FUNCTION__._Z38paged_attention_ll4mi_QKV_mfma4_kernelIDF16_DF16_LN4vllm18Fp8KVCacheDataTypeE0EhLi32ELi64ELi256ELb0ELi2EEvPKT_PKT0_S7_ifPKiS9_S9_iPKfiiiPfSC_PS2_PT2_iSB_SB_,@object ; @__PRETTY_FUNCTION__._Z38paged_attention_ll4mi_QKV_mfma4_kernelIDF16_DF16_LN4vllm18Fp8KVCacheDataTypeE0EhLi32ELi64ELi256ELb0ELi2EEvPKT_PKT0_S7_ifPKiS9_S9_iPKfiiiPfSC_PS2_PT2_iSB_SB_
__PRETTY_FUNCTION__._Z38paged_attention_ll4mi_QKV_mfma4_kernelIDF16_DF16_LN4vllm18Fp8KVCacheDataTypeE0EhLi32ELi64ELi256ELb0ELi2EEvPKT_PKT0_S7_ifPKiS9_S9_iPKfiiiPfSC_PS2_PT2_iSB_SB_:
	.asciz	"void paged_attention_ll4mi_QKV_mfma4_kernel(const scalar_t *__restrict, const cache_t *__restrict, const cache_t *__restrict, const int, const float, const int *__restrict, const int *__restrict, const int *__restrict, const int, const float *__restrict, const int, const int, const int, float *__restrict, float *__restrict, scalar_t *__restrict, OUTT *__restrict, int, const float *, const float *) [scalar_t = _Float16, cache_t = _Float16, KV_DTYPE = vllm::Fp8KVCacheDataType::kAuto, OUTT = unsigned char, BLOCK_SIZE = 32, HEAD_SIZE = 64, NUM_THREADS = 256, ALIBI_ENABLED = false, GQA_RATIO = 2]"
	.size	__PRETTY_FUNCTION__._Z38paged_attention_ll4mi_QKV_mfma4_kernelIDF16_DF16_LN4vllm18Fp8KVCacheDataTypeE0EhLi32ELi64ELi256ELb0ELi2EEvPKT_PKT0_S7_ifPKiS9_S9_iPKfiiiPfSC_PS2_PT2_iSB_SB_, 599

	.type	__PRETTY_FUNCTION__._Z38paged_attention_ll4mi_QKV_mfma4_kernelIDF16_DF16_LN4vllm18Fp8KVCacheDataTypeE0EhLi32ELi64ELi256ELb0ELi3EEvPKT_PKT0_S7_ifPKiS9_S9_iPKfiiiPfSC_PS2_PT2_iSB_SB_,@object ; @__PRETTY_FUNCTION__._Z38paged_attention_ll4mi_QKV_mfma4_kernelIDF16_DF16_LN4vllm18Fp8KVCacheDataTypeE0EhLi32ELi64ELi256ELb0ELi3EEvPKT_PKT0_S7_ifPKiS9_S9_iPKfiiiPfSC_PS2_PT2_iSB_SB_
__PRETTY_FUNCTION__._Z38paged_attention_ll4mi_QKV_mfma4_kernelIDF16_DF16_LN4vllm18Fp8KVCacheDataTypeE0EhLi32ELi64ELi256ELb0ELi3EEvPKT_PKT0_S7_ifPKiS9_S9_iPKfiiiPfSC_PS2_PT2_iSB_SB_:
	.asciz	"void paged_attention_ll4mi_QKV_mfma4_kernel(const scalar_t *__restrict, const cache_t *__restrict, const cache_t *__restrict, const int, const float, const int *__restrict, const int *__restrict, const int *__restrict, const int, const float *__restrict, const int, const int, const int, float *__restrict, float *__restrict, scalar_t *__restrict, OUTT *__restrict, int, const float *, const float *) [scalar_t = _Float16, cache_t = _Float16, KV_DTYPE = vllm::Fp8KVCacheDataType::kAuto, OUTT = unsigned char, BLOCK_SIZE = 32, HEAD_SIZE = 64, NUM_THREADS = 256, ALIBI_ENABLED = false, GQA_RATIO = 3]"
	.size	__PRETTY_FUNCTION__._Z38paged_attention_ll4mi_QKV_mfma4_kernelIDF16_DF16_LN4vllm18Fp8KVCacheDataTypeE0EhLi32ELi64ELi256ELb0ELi3EEvPKT_PKT0_S7_ifPKiS9_S9_iPKfiiiPfSC_PS2_PT2_iSB_SB_, 599

	.type	__PRETTY_FUNCTION__._Z38paged_attention_ll4mi_QKV_mfma4_kernelIDF16_DF16_LN4vllm18Fp8KVCacheDataTypeE0EhLi32ELi64ELi256ELb0ELi4EEvPKT_PKT0_S7_ifPKiS9_S9_iPKfiiiPfSC_PS2_PT2_iSB_SB_,@object ; @__PRETTY_FUNCTION__._Z38paged_attention_ll4mi_QKV_mfma4_kernelIDF16_DF16_LN4vllm18Fp8KVCacheDataTypeE0EhLi32ELi64ELi256ELb0ELi4EEvPKT_PKT0_S7_ifPKiS9_S9_iPKfiiiPfSC_PS2_PT2_iSB_SB_
__PRETTY_FUNCTION__._Z38paged_attention_ll4mi_QKV_mfma4_kernelIDF16_DF16_LN4vllm18Fp8KVCacheDataTypeE0EhLi32ELi64ELi256ELb0ELi4EEvPKT_PKT0_S7_ifPKiS9_S9_iPKfiiiPfSC_PS2_PT2_iSB_SB_:
	.asciz	"void paged_attention_ll4mi_QKV_mfma4_kernel(const scalar_t *__restrict, const cache_t *__restrict, const cache_t *__restrict, const int, const float, const int *__restrict, const int *__restrict, const int *__restrict, const int, const float *__restrict, const int, const int, const int, float *__restrict, float *__restrict, scalar_t *__restrict, OUTT *__restrict, int, const float *, const float *) [scalar_t = _Float16, cache_t = _Float16, KV_DTYPE = vllm::Fp8KVCacheDataType::kAuto, OUTT = unsigned char, BLOCK_SIZE = 32, HEAD_SIZE = 64, NUM_THREADS = 256, ALIBI_ENABLED = false, GQA_RATIO = 4]"
	.size	__PRETTY_FUNCTION__._Z38paged_attention_ll4mi_QKV_mfma4_kernelIDF16_DF16_LN4vllm18Fp8KVCacheDataTypeE0EhLi32ELi64ELi256ELb0ELi4EEvPKT_PKT0_S7_ifPKiS9_S9_iPKfiiiPfSC_PS2_PT2_iSB_SB_, 599

	.type	__PRETTY_FUNCTION__._Z38paged_attention_ll4mi_QKV_mfma4_kernelIDF16_DF16_LN4vllm18Fp8KVCacheDataTypeE0EDF16_Li32ELi64ELi256ELb1ELi1EEvPKT_PKT0_S7_ifPKiS9_S9_iPKfiiiPfSC_PS2_PT2_iSB_SB_,@object ; @__PRETTY_FUNCTION__._Z38paged_attention_ll4mi_QKV_mfma4_kernelIDF16_DF16_LN4vllm18Fp8KVCacheDataTypeE0EDF16_Li32ELi64ELi256ELb1ELi1EEvPKT_PKT0_S7_ifPKiS9_S9_iPKfiiiPfSC_PS2_PT2_iSB_SB_
__PRETTY_FUNCTION__._Z38paged_attention_ll4mi_QKV_mfma4_kernelIDF16_DF16_LN4vllm18Fp8KVCacheDataTypeE0EDF16_Li32ELi64ELi256ELb1ELi1EEvPKT_PKT0_S7_ifPKiS9_S9_iPKfiiiPfSC_PS2_PT2_iSB_SB_:
	.asciz	"void paged_attention_ll4mi_QKV_mfma4_kernel(const scalar_t *__restrict, const cache_t *__restrict, const cache_t *__restrict, const int, const float, const int *__restrict, const int *__restrict, const int *__restrict, const int, const float *__restrict, const int, const int, const int, float *__restrict, float *__restrict, scalar_t *__restrict, OUTT *__restrict, int, const float *, const float *) [scalar_t = _Float16, cache_t = _Float16, KV_DTYPE = vllm::Fp8KVCacheDataType::kAuto, OUTT = _Float16, BLOCK_SIZE = 32, HEAD_SIZE = 64, NUM_THREADS = 256, ALIBI_ENABLED = true, GQA_RATIO = 1]"
	.size	__PRETTY_FUNCTION__._Z38paged_attention_ll4mi_QKV_mfma4_kernelIDF16_DF16_LN4vllm18Fp8KVCacheDataTypeE0EDF16_Li32ELi64ELi256ELb1ELi1EEvPKT_PKT0_S7_ifPKiS9_S9_iPKfiiiPfSC_PS2_PT2_iSB_SB_, 593

	.type	__PRETTY_FUNCTION__._Z38paged_attention_ll4mi_QKV_mfma4_kernelIDF16_DF16_LN4vllm18Fp8KVCacheDataTypeE0EDF16_Li32ELi64ELi256ELb1ELi2EEvPKT_PKT0_S7_ifPKiS9_S9_iPKfiiiPfSC_PS2_PT2_iSB_SB_,@object ; @__PRETTY_FUNCTION__._Z38paged_attention_ll4mi_QKV_mfma4_kernelIDF16_DF16_LN4vllm18Fp8KVCacheDataTypeE0EDF16_Li32ELi64ELi256ELb1ELi2EEvPKT_PKT0_S7_ifPKiS9_S9_iPKfiiiPfSC_PS2_PT2_iSB_SB_
__PRETTY_FUNCTION__._Z38paged_attention_ll4mi_QKV_mfma4_kernelIDF16_DF16_LN4vllm18Fp8KVCacheDataTypeE0EDF16_Li32ELi64ELi256ELb1ELi2EEvPKT_PKT0_S7_ifPKiS9_S9_iPKfiiiPfSC_PS2_PT2_iSB_SB_:
	.asciz	"void paged_attention_ll4mi_QKV_mfma4_kernel(const scalar_t *__restrict, const cache_t *__restrict, const cache_t *__restrict, const int, const float, const int *__restrict, const int *__restrict, const int *__restrict, const int, const float *__restrict, const int, const int, const int, float *__restrict, float *__restrict, scalar_t *__restrict, OUTT *__restrict, int, const float *, const float *) [scalar_t = _Float16, cache_t = _Float16, KV_DTYPE = vllm::Fp8KVCacheDataType::kAuto, OUTT = _Float16, BLOCK_SIZE = 32, HEAD_SIZE = 64, NUM_THREADS = 256, ALIBI_ENABLED = true, GQA_RATIO = 2]"
	.size	__PRETTY_FUNCTION__._Z38paged_attention_ll4mi_QKV_mfma4_kernelIDF16_DF16_LN4vllm18Fp8KVCacheDataTypeE0EDF16_Li32ELi64ELi256ELb1ELi2EEvPKT_PKT0_S7_ifPKiS9_S9_iPKfiiiPfSC_PS2_PT2_iSB_SB_, 593

	.type	__PRETTY_FUNCTION__._Z38paged_attention_ll4mi_QKV_mfma4_kernelIDF16_DF16_LN4vllm18Fp8KVCacheDataTypeE0EDF16_Li32ELi64ELi256ELb1ELi3EEvPKT_PKT0_S7_ifPKiS9_S9_iPKfiiiPfSC_PS2_PT2_iSB_SB_,@object ; @__PRETTY_FUNCTION__._Z38paged_attention_ll4mi_QKV_mfma4_kernelIDF16_DF16_LN4vllm18Fp8KVCacheDataTypeE0EDF16_Li32ELi64ELi256ELb1ELi3EEvPKT_PKT0_S7_ifPKiS9_S9_iPKfiiiPfSC_PS2_PT2_iSB_SB_
__PRETTY_FUNCTION__._Z38paged_attention_ll4mi_QKV_mfma4_kernelIDF16_DF16_LN4vllm18Fp8KVCacheDataTypeE0EDF16_Li32ELi64ELi256ELb1ELi3EEvPKT_PKT0_S7_ifPKiS9_S9_iPKfiiiPfSC_PS2_PT2_iSB_SB_:
	.asciz	"void paged_attention_ll4mi_QKV_mfma4_kernel(const scalar_t *__restrict, const cache_t *__restrict, const cache_t *__restrict, const int, const float, const int *__restrict, const int *__restrict, const int *__restrict, const int, const float *__restrict, const int, const int, const int, float *__restrict, float *__restrict, scalar_t *__restrict, OUTT *__restrict, int, const float *, const float *) [scalar_t = _Float16, cache_t = _Float16, KV_DTYPE = vllm::Fp8KVCacheDataType::kAuto, OUTT = _Float16, BLOCK_SIZE = 32, HEAD_SIZE = 64, NUM_THREADS = 256, ALIBI_ENABLED = true, GQA_RATIO = 3]"
	.size	__PRETTY_FUNCTION__._Z38paged_attention_ll4mi_QKV_mfma4_kernelIDF16_DF16_LN4vllm18Fp8KVCacheDataTypeE0EDF16_Li32ELi64ELi256ELb1ELi3EEvPKT_PKT0_S7_ifPKiS9_S9_iPKfiiiPfSC_PS2_PT2_iSB_SB_, 593

	.type	__PRETTY_FUNCTION__._Z38paged_attention_ll4mi_QKV_mfma4_kernelIDF16_DF16_LN4vllm18Fp8KVCacheDataTypeE0EDF16_Li32ELi64ELi256ELb1ELi4EEvPKT_PKT0_S7_ifPKiS9_S9_iPKfiiiPfSC_PS2_PT2_iSB_SB_,@object ; @__PRETTY_FUNCTION__._Z38paged_attention_ll4mi_QKV_mfma4_kernelIDF16_DF16_LN4vllm18Fp8KVCacheDataTypeE0EDF16_Li32ELi64ELi256ELb1ELi4EEvPKT_PKT0_S7_ifPKiS9_S9_iPKfiiiPfSC_PS2_PT2_iSB_SB_
__PRETTY_FUNCTION__._Z38paged_attention_ll4mi_QKV_mfma4_kernelIDF16_DF16_LN4vllm18Fp8KVCacheDataTypeE0EDF16_Li32ELi64ELi256ELb1ELi4EEvPKT_PKT0_S7_ifPKiS9_S9_iPKfiiiPfSC_PS2_PT2_iSB_SB_:
	.asciz	"void paged_attention_ll4mi_QKV_mfma4_kernel(const scalar_t *__restrict, const cache_t *__restrict, const cache_t *__restrict, const int, const float, const int *__restrict, const int *__restrict, const int *__restrict, const int, const float *__restrict, const int, const int, const int, float *__restrict, float *__restrict, scalar_t *__restrict, OUTT *__restrict, int, const float *, const float *) [scalar_t = _Float16, cache_t = _Float16, KV_DTYPE = vllm::Fp8KVCacheDataType::kAuto, OUTT = _Float16, BLOCK_SIZE = 32, HEAD_SIZE = 64, NUM_THREADS = 256, ALIBI_ENABLED = true, GQA_RATIO = 4]"
	.size	__PRETTY_FUNCTION__._Z38paged_attention_ll4mi_QKV_mfma4_kernelIDF16_DF16_LN4vllm18Fp8KVCacheDataTypeE0EDF16_Li32ELi64ELi256ELb1ELi4EEvPKT_PKT0_S7_ifPKiS9_S9_iPKfiiiPfSC_PS2_PT2_iSB_SB_, 593

	.type	__PRETTY_FUNCTION__._Z38paged_attention_ll4mi_QKV_mfma4_kernelIDF16_DF16_LN4vllm18Fp8KVCacheDataTypeE0EDF16_Li32ELi64ELi256ELb0ELi1EEvPKT_PKT0_S7_ifPKiS9_S9_iPKfiiiPfSC_PS2_PT2_iSB_SB_,@object ; @__PRETTY_FUNCTION__._Z38paged_attention_ll4mi_QKV_mfma4_kernelIDF16_DF16_LN4vllm18Fp8KVCacheDataTypeE0EDF16_Li32ELi64ELi256ELb0ELi1EEvPKT_PKT0_S7_ifPKiS9_S9_iPKfiiiPfSC_PS2_PT2_iSB_SB_
__PRETTY_FUNCTION__._Z38paged_attention_ll4mi_QKV_mfma4_kernelIDF16_DF16_LN4vllm18Fp8KVCacheDataTypeE0EDF16_Li32ELi64ELi256ELb0ELi1EEvPKT_PKT0_S7_ifPKiS9_S9_iPKfiiiPfSC_PS2_PT2_iSB_SB_:
	.asciz	"void paged_attention_ll4mi_QKV_mfma4_kernel(const scalar_t *__restrict, const cache_t *__restrict, const cache_t *__restrict, const int, const float, const int *__restrict, const int *__restrict, const int *__restrict, const int, const float *__restrict, const int, const int, const int, float *__restrict, float *__restrict, scalar_t *__restrict, OUTT *__restrict, int, const float *, const float *) [scalar_t = _Float16, cache_t = _Float16, KV_DTYPE = vllm::Fp8KVCacheDataType::kAuto, OUTT = _Float16, BLOCK_SIZE = 32, HEAD_SIZE = 64, NUM_THREADS = 256, ALIBI_ENABLED = false, GQA_RATIO = 1]"
	.size	__PRETTY_FUNCTION__._Z38paged_attention_ll4mi_QKV_mfma4_kernelIDF16_DF16_LN4vllm18Fp8KVCacheDataTypeE0EDF16_Li32ELi64ELi256ELb0ELi1EEvPKT_PKT0_S7_ifPKiS9_S9_iPKfiiiPfSC_PS2_PT2_iSB_SB_, 594

	.type	__PRETTY_FUNCTION__._Z38paged_attention_ll4mi_QKV_mfma4_kernelIDF16_DF16_LN4vllm18Fp8KVCacheDataTypeE0EDF16_Li32ELi64ELi256ELb0ELi2EEvPKT_PKT0_S7_ifPKiS9_S9_iPKfiiiPfSC_PS2_PT2_iSB_SB_,@object ; @__PRETTY_FUNCTION__._Z38paged_attention_ll4mi_QKV_mfma4_kernelIDF16_DF16_LN4vllm18Fp8KVCacheDataTypeE0EDF16_Li32ELi64ELi256ELb0ELi2EEvPKT_PKT0_S7_ifPKiS9_S9_iPKfiiiPfSC_PS2_PT2_iSB_SB_
__PRETTY_FUNCTION__._Z38paged_attention_ll4mi_QKV_mfma4_kernelIDF16_DF16_LN4vllm18Fp8KVCacheDataTypeE0EDF16_Li32ELi64ELi256ELb0ELi2EEvPKT_PKT0_S7_ifPKiS9_S9_iPKfiiiPfSC_PS2_PT2_iSB_SB_:
	.asciz	"void paged_attention_ll4mi_QKV_mfma4_kernel(const scalar_t *__restrict, const cache_t *__restrict, const cache_t *__restrict, const int, const float, const int *__restrict, const int *__restrict, const int *__restrict, const int, const float *__restrict, const int, const int, const int, float *__restrict, float *__restrict, scalar_t *__restrict, OUTT *__restrict, int, const float *, const float *) [scalar_t = _Float16, cache_t = _Float16, KV_DTYPE = vllm::Fp8KVCacheDataType::kAuto, OUTT = _Float16, BLOCK_SIZE = 32, HEAD_SIZE = 64, NUM_THREADS = 256, ALIBI_ENABLED = false, GQA_RATIO = 2]"
	.size	__PRETTY_FUNCTION__._Z38paged_attention_ll4mi_QKV_mfma4_kernelIDF16_DF16_LN4vllm18Fp8KVCacheDataTypeE0EDF16_Li32ELi64ELi256ELb0ELi2EEvPKT_PKT0_S7_ifPKiS9_S9_iPKfiiiPfSC_PS2_PT2_iSB_SB_, 594

	.type	__PRETTY_FUNCTION__._Z38paged_attention_ll4mi_QKV_mfma4_kernelIDF16_DF16_LN4vllm18Fp8KVCacheDataTypeE0EDF16_Li32ELi64ELi256ELb0ELi3EEvPKT_PKT0_S7_ifPKiS9_S9_iPKfiiiPfSC_PS2_PT2_iSB_SB_,@object ; @__PRETTY_FUNCTION__._Z38paged_attention_ll4mi_QKV_mfma4_kernelIDF16_DF16_LN4vllm18Fp8KVCacheDataTypeE0EDF16_Li32ELi64ELi256ELb0ELi3EEvPKT_PKT0_S7_ifPKiS9_S9_iPKfiiiPfSC_PS2_PT2_iSB_SB_
__PRETTY_FUNCTION__._Z38paged_attention_ll4mi_QKV_mfma4_kernelIDF16_DF16_LN4vllm18Fp8KVCacheDataTypeE0EDF16_Li32ELi64ELi256ELb0ELi3EEvPKT_PKT0_S7_ifPKiS9_S9_iPKfiiiPfSC_PS2_PT2_iSB_SB_:
	.asciz	"void paged_attention_ll4mi_QKV_mfma4_kernel(const scalar_t *__restrict, const cache_t *__restrict, const cache_t *__restrict, const int, const float, const int *__restrict, const int *__restrict, const int *__restrict, const int, const float *__restrict, const int, const int, const int, float *__restrict, float *__restrict, scalar_t *__restrict, OUTT *__restrict, int, const float *, const float *) [scalar_t = _Float16, cache_t = _Float16, KV_DTYPE = vllm::Fp8KVCacheDataType::kAuto, OUTT = _Float16, BLOCK_SIZE = 32, HEAD_SIZE = 64, NUM_THREADS = 256, ALIBI_ENABLED = false, GQA_RATIO = 3]"
	.size	__PRETTY_FUNCTION__._Z38paged_attention_ll4mi_QKV_mfma4_kernelIDF16_DF16_LN4vllm18Fp8KVCacheDataTypeE0EDF16_Li32ELi64ELi256ELb0ELi3EEvPKT_PKT0_S7_ifPKiS9_S9_iPKfiiiPfSC_PS2_PT2_iSB_SB_, 594

	.type	__PRETTY_FUNCTION__._Z38paged_attention_ll4mi_QKV_mfma4_kernelIDF16_DF16_LN4vllm18Fp8KVCacheDataTypeE0EDF16_Li32ELi64ELi256ELb0ELi4EEvPKT_PKT0_S7_ifPKiS9_S9_iPKfiiiPfSC_PS2_PT2_iSB_SB_,@object ; @__PRETTY_FUNCTION__._Z38paged_attention_ll4mi_QKV_mfma4_kernelIDF16_DF16_LN4vllm18Fp8KVCacheDataTypeE0EDF16_Li32ELi64ELi256ELb0ELi4EEvPKT_PKT0_S7_ifPKiS9_S9_iPKfiiiPfSC_PS2_PT2_iSB_SB_
__PRETTY_FUNCTION__._Z38paged_attention_ll4mi_QKV_mfma4_kernelIDF16_DF16_LN4vllm18Fp8KVCacheDataTypeE0EDF16_Li32ELi64ELi256ELb0ELi4EEvPKT_PKT0_S7_ifPKiS9_S9_iPKfiiiPfSC_PS2_PT2_iSB_SB_:
	.asciz	"void paged_attention_ll4mi_QKV_mfma4_kernel(const scalar_t *__restrict, const cache_t *__restrict, const cache_t *__restrict, const int, const float, const int *__restrict, const int *__restrict, const int *__restrict, const int, const float *__restrict, const int, const int, const int, float *__restrict, float *__restrict, scalar_t *__restrict, OUTT *__restrict, int, const float *, const float *) [scalar_t = _Float16, cache_t = _Float16, KV_DTYPE = vllm::Fp8KVCacheDataType::kAuto, OUTT = _Float16, BLOCK_SIZE = 32, HEAD_SIZE = 64, NUM_THREADS = 256, ALIBI_ENABLED = false, GQA_RATIO = 4]"
	.size	__PRETTY_FUNCTION__._Z38paged_attention_ll4mi_QKV_mfma4_kernelIDF16_DF16_LN4vllm18Fp8KVCacheDataTypeE0EDF16_Li32ELi64ELi256ELb0ELi4EEvPKT_PKT0_S7_ifPKiS9_S9_iPKfiiiPfSC_PS2_PT2_iSB_SB_, 594

	.type	__PRETTY_FUNCTION__._Z38paged_attention_ll4mi_QKV_mfma4_kernelIDF16_DF16_LN4vllm18Fp8KVCacheDataTypeE0EhLi16ELi128ELi256ELb1ELi1EEvPKT_PKT0_S7_ifPKiS9_S9_iPKfiiiPfSC_PS2_PT2_iSB_SB_,@object ; @__PRETTY_FUNCTION__._Z38paged_attention_ll4mi_QKV_mfma4_kernelIDF16_DF16_LN4vllm18Fp8KVCacheDataTypeE0EhLi16ELi128ELi256ELb1ELi1EEvPKT_PKT0_S7_ifPKiS9_S9_iPKfiiiPfSC_PS2_PT2_iSB_SB_
__PRETTY_FUNCTION__._Z38paged_attention_ll4mi_QKV_mfma4_kernelIDF16_DF16_LN4vllm18Fp8KVCacheDataTypeE0EhLi16ELi128ELi256ELb1ELi1EEvPKT_PKT0_S7_ifPKiS9_S9_iPKfiiiPfSC_PS2_PT2_iSB_SB_:
	.asciz	"void paged_attention_ll4mi_QKV_mfma4_kernel(const scalar_t *__restrict, const cache_t *__restrict, const cache_t *__restrict, const int, const float, const int *__restrict, const int *__restrict, const int *__restrict, const int, const float *__restrict, const int, const int, const int, float *__restrict, float *__restrict, scalar_t *__restrict, OUTT *__restrict, int, const float *, const float *) [scalar_t = _Float16, cache_t = _Float16, KV_DTYPE = vllm::Fp8KVCacheDataType::kAuto, OUTT = unsigned char, BLOCK_SIZE = 16, HEAD_SIZE = 128, NUM_THREADS = 256, ALIBI_ENABLED = true, GQA_RATIO = 1]"
	.size	__PRETTY_FUNCTION__._Z38paged_attention_ll4mi_QKV_mfma4_kernelIDF16_DF16_LN4vllm18Fp8KVCacheDataTypeE0EhLi16ELi128ELi256ELb1ELi1EEvPKT_PKT0_S7_ifPKiS9_S9_iPKfiiiPfSC_PS2_PT2_iSB_SB_, 599

	.type	__PRETTY_FUNCTION__._Z38paged_attention_ll4mi_QKV_mfma4_kernelIDF16_DF16_LN4vllm18Fp8KVCacheDataTypeE0EhLi16ELi128ELi256ELb1ELi2EEvPKT_PKT0_S7_ifPKiS9_S9_iPKfiiiPfSC_PS2_PT2_iSB_SB_,@object ; @__PRETTY_FUNCTION__._Z38paged_attention_ll4mi_QKV_mfma4_kernelIDF16_DF16_LN4vllm18Fp8KVCacheDataTypeE0EhLi16ELi128ELi256ELb1ELi2EEvPKT_PKT0_S7_ifPKiS9_S9_iPKfiiiPfSC_PS2_PT2_iSB_SB_
__PRETTY_FUNCTION__._Z38paged_attention_ll4mi_QKV_mfma4_kernelIDF16_DF16_LN4vllm18Fp8KVCacheDataTypeE0EhLi16ELi128ELi256ELb1ELi2EEvPKT_PKT0_S7_ifPKiS9_S9_iPKfiiiPfSC_PS2_PT2_iSB_SB_:
	.asciz	"void paged_attention_ll4mi_QKV_mfma4_kernel(const scalar_t *__restrict, const cache_t *__restrict, const cache_t *__restrict, const int, const float, const int *__restrict, const int *__restrict, const int *__restrict, const int, const float *__restrict, const int, const int, const int, float *__restrict, float *__restrict, scalar_t *__restrict, OUTT *__restrict, int, const float *, const float *) [scalar_t = _Float16, cache_t = _Float16, KV_DTYPE = vllm::Fp8KVCacheDataType::kAuto, OUTT = unsigned char, BLOCK_SIZE = 16, HEAD_SIZE = 128, NUM_THREADS = 256, ALIBI_ENABLED = true, GQA_RATIO = 2]"
	.size	__PRETTY_FUNCTION__._Z38paged_attention_ll4mi_QKV_mfma4_kernelIDF16_DF16_LN4vllm18Fp8KVCacheDataTypeE0EhLi16ELi128ELi256ELb1ELi2EEvPKT_PKT0_S7_ifPKiS9_S9_iPKfiiiPfSC_PS2_PT2_iSB_SB_, 599

	.type	__PRETTY_FUNCTION__._Z38paged_attention_ll4mi_QKV_mfma4_kernelIDF16_DF16_LN4vllm18Fp8KVCacheDataTypeE0EhLi16ELi128ELi256ELb1ELi3EEvPKT_PKT0_S7_ifPKiS9_S9_iPKfiiiPfSC_PS2_PT2_iSB_SB_,@object ; @__PRETTY_FUNCTION__._Z38paged_attention_ll4mi_QKV_mfma4_kernelIDF16_DF16_LN4vllm18Fp8KVCacheDataTypeE0EhLi16ELi128ELi256ELb1ELi3EEvPKT_PKT0_S7_ifPKiS9_S9_iPKfiiiPfSC_PS2_PT2_iSB_SB_
__PRETTY_FUNCTION__._Z38paged_attention_ll4mi_QKV_mfma4_kernelIDF16_DF16_LN4vllm18Fp8KVCacheDataTypeE0EhLi16ELi128ELi256ELb1ELi3EEvPKT_PKT0_S7_ifPKiS9_S9_iPKfiiiPfSC_PS2_PT2_iSB_SB_:
	.asciz	"void paged_attention_ll4mi_QKV_mfma4_kernel(const scalar_t *__restrict, const cache_t *__restrict, const cache_t *__restrict, const int, const float, const int *__restrict, const int *__restrict, const int *__restrict, const int, const float *__restrict, const int, const int, const int, float *__restrict, float *__restrict, scalar_t *__restrict, OUTT *__restrict, int, const float *, const float *) [scalar_t = _Float16, cache_t = _Float16, KV_DTYPE = vllm::Fp8KVCacheDataType::kAuto, OUTT = unsigned char, BLOCK_SIZE = 16, HEAD_SIZE = 128, NUM_THREADS = 256, ALIBI_ENABLED = true, GQA_RATIO = 3]"
	.size	__PRETTY_FUNCTION__._Z38paged_attention_ll4mi_QKV_mfma4_kernelIDF16_DF16_LN4vllm18Fp8KVCacheDataTypeE0EhLi16ELi128ELi256ELb1ELi3EEvPKT_PKT0_S7_ifPKiS9_S9_iPKfiiiPfSC_PS2_PT2_iSB_SB_, 599

	.type	__PRETTY_FUNCTION__._Z38paged_attention_ll4mi_QKV_mfma4_kernelIDF16_DF16_LN4vllm18Fp8KVCacheDataTypeE0EhLi16ELi128ELi256ELb1ELi4EEvPKT_PKT0_S7_ifPKiS9_S9_iPKfiiiPfSC_PS2_PT2_iSB_SB_,@object ; @__PRETTY_FUNCTION__._Z38paged_attention_ll4mi_QKV_mfma4_kernelIDF16_DF16_LN4vllm18Fp8KVCacheDataTypeE0EhLi16ELi128ELi256ELb1ELi4EEvPKT_PKT0_S7_ifPKiS9_S9_iPKfiiiPfSC_PS2_PT2_iSB_SB_
__PRETTY_FUNCTION__._Z38paged_attention_ll4mi_QKV_mfma4_kernelIDF16_DF16_LN4vllm18Fp8KVCacheDataTypeE0EhLi16ELi128ELi256ELb1ELi4EEvPKT_PKT0_S7_ifPKiS9_S9_iPKfiiiPfSC_PS2_PT2_iSB_SB_:
	.asciz	"void paged_attention_ll4mi_QKV_mfma4_kernel(const scalar_t *__restrict, const cache_t *__restrict, const cache_t *__restrict, const int, const float, const int *__restrict, const int *__restrict, const int *__restrict, const int, const float *__restrict, const int, const int, const int, float *__restrict, float *__restrict, scalar_t *__restrict, OUTT *__restrict, int, const float *, const float *) [scalar_t = _Float16, cache_t = _Float16, KV_DTYPE = vllm::Fp8KVCacheDataType::kAuto, OUTT = unsigned char, BLOCK_SIZE = 16, HEAD_SIZE = 128, NUM_THREADS = 256, ALIBI_ENABLED = true, GQA_RATIO = 4]"
	.size	__PRETTY_FUNCTION__._Z38paged_attention_ll4mi_QKV_mfma4_kernelIDF16_DF16_LN4vllm18Fp8KVCacheDataTypeE0EhLi16ELi128ELi256ELb1ELi4EEvPKT_PKT0_S7_ifPKiS9_S9_iPKfiiiPfSC_PS2_PT2_iSB_SB_, 599

	.type	__PRETTY_FUNCTION__._Z38paged_attention_ll4mi_QKV_mfma4_kernelIDF16_DF16_LN4vllm18Fp8KVCacheDataTypeE0EhLi16ELi128ELi256ELb0ELi1EEvPKT_PKT0_S7_ifPKiS9_S9_iPKfiiiPfSC_PS2_PT2_iSB_SB_,@object ; @__PRETTY_FUNCTION__._Z38paged_attention_ll4mi_QKV_mfma4_kernelIDF16_DF16_LN4vllm18Fp8KVCacheDataTypeE0EhLi16ELi128ELi256ELb0ELi1EEvPKT_PKT0_S7_ifPKiS9_S9_iPKfiiiPfSC_PS2_PT2_iSB_SB_
__PRETTY_FUNCTION__._Z38paged_attention_ll4mi_QKV_mfma4_kernelIDF16_DF16_LN4vllm18Fp8KVCacheDataTypeE0EhLi16ELi128ELi256ELb0ELi1EEvPKT_PKT0_S7_ifPKiS9_S9_iPKfiiiPfSC_PS2_PT2_iSB_SB_:
	.asciz	"void paged_attention_ll4mi_QKV_mfma4_kernel(const scalar_t *__restrict, const cache_t *__restrict, const cache_t *__restrict, const int, const float, const int *__restrict, const int *__restrict, const int *__restrict, const int, const float *__restrict, const int, const int, const int, float *__restrict, float *__restrict, scalar_t *__restrict, OUTT *__restrict, int, const float *, const float *) [scalar_t = _Float16, cache_t = _Float16, KV_DTYPE = vllm::Fp8KVCacheDataType::kAuto, OUTT = unsigned char, BLOCK_SIZE = 16, HEAD_SIZE = 128, NUM_THREADS = 256, ALIBI_ENABLED = false, GQA_RATIO = 1]"
	.size	__PRETTY_FUNCTION__._Z38paged_attention_ll4mi_QKV_mfma4_kernelIDF16_DF16_LN4vllm18Fp8KVCacheDataTypeE0EhLi16ELi128ELi256ELb0ELi1EEvPKT_PKT0_S7_ifPKiS9_S9_iPKfiiiPfSC_PS2_PT2_iSB_SB_, 600

	.type	__PRETTY_FUNCTION__._Z38paged_attention_ll4mi_QKV_mfma4_kernelIDF16_DF16_LN4vllm18Fp8KVCacheDataTypeE0EhLi16ELi128ELi256ELb0ELi2EEvPKT_PKT0_S7_ifPKiS9_S9_iPKfiiiPfSC_PS2_PT2_iSB_SB_,@object ; @__PRETTY_FUNCTION__._Z38paged_attention_ll4mi_QKV_mfma4_kernelIDF16_DF16_LN4vllm18Fp8KVCacheDataTypeE0EhLi16ELi128ELi256ELb0ELi2EEvPKT_PKT0_S7_ifPKiS9_S9_iPKfiiiPfSC_PS2_PT2_iSB_SB_
__PRETTY_FUNCTION__._Z38paged_attention_ll4mi_QKV_mfma4_kernelIDF16_DF16_LN4vllm18Fp8KVCacheDataTypeE0EhLi16ELi128ELi256ELb0ELi2EEvPKT_PKT0_S7_ifPKiS9_S9_iPKfiiiPfSC_PS2_PT2_iSB_SB_:
	.asciz	"void paged_attention_ll4mi_QKV_mfma4_kernel(const scalar_t *__restrict, const cache_t *__restrict, const cache_t *__restrict, const int, const float, const int *__restrict, const int *__restrict, const int *__restrict, const int, const float *__restrict, const int, const int, const int, float *__restrict, float *__restrict, scalar_t *__restrict, OUTT *__restrict, int, const float *, const float *) [scalar_t = _Float16, cache_t = _Float16, KV_DTYPE = vllm::Fp8KVCacheDataType::kAuto, OUTT = unsigned char, BLOCK_SIZE = 16, HEAD_SIZE = 128, NUM_THREADS = 256, ALIBI_ENABLED = false, GQA_RATIO = 2]"
	.size	__PRETTY_FUNCTION__._Z38paged_attention_ll4mi_QKV_mfma4_kernelIDF16_DF16_LN4vllm18Fp8KVCacheDataTypeE0EhLi16ELi128ELi256ELb0ELi2EEvPKT_PKT0_S7_ifPKiS9_S9_iPKfiiiPfSC_PS2_PT2_iSB_SB_, 600

	.type	__PRETTY_FUNCTION__._Z38paged_attention_ll4mi_QKV_mfma4_kernelIDF16_DF16_LN4vllm18Fp8KVCacheDataTypeE0EhLi16ELi128ELi256ELb0ELi3EEvPKT_PKT0_S7_ifPKiS9_S9_iPKfiiiPfSC_PS2_PT2_iSB_SB_,@object ; @__PRETTY_FUNCTION__._Z38paged_attention_ll4mi_QKV_mfma4_kernelIDF16_DF16_LN4vllm18Fp8KVCacheDataTypeE0EhLi16ELi128ELi256ELb0ELi3EEvPKT_PKT0_S7_ifPKiS9_S9_iPKfiiiPfSC_PS2_PT2_iSB_SB_
__PRETTY_FUNCTION__._Z38paged_attention_ll4mi_QKV_mfma4_kernelIDF16_DF16_LN4vllm18Fp8KVCacheDataTypeE0EhLi16ELi128ELi256ELb0ELi3EEvPKT_PKT0_S7_ifPKiS9_S9_iPKfiiiPfSC_PS2_PT2_iSB_SB_:
	.asciz	"void paged_attention_ll4mi_QKV_mfma4_kernel(const scalar_t *__restrict, const cache_t *__restrict, const cache_t *__restrict, const int, const float, const int *__restrict, const int *__restrict, const int *__restrict, const int, const float *__restrict, const int, const int, const int, float *__restrict, float *__restrict, scalar_t *__restrict, OUTT *__restrict, int, const float *, const float *) [scalar_t = _Float16, cache_t = _Float16, KV_DTYPE = vllm::Fp8KVCacheDataType::kAuto, OUTT = unsigned char, BLOCK_SIZE = 16, HEAD_SIZE = 128, NUM_THREADS = 256, ALIBI_ENABLED = false, GQA_RATIO = 3]"
	.size	__PRETTY_FUNCTION__._Z38paged_attention_ll4mi_QKV_mfma4_kernelIDF16_DF16_LN4vllm18Fp8KVCacheDataTypeE0EhLi16ELi128ELi256ELb0ELi3EEvPKT_PKT0_S7_ifPKiS9_S9_iPKfiiiPfSC_PS2_PT2_iSB_SB_, 600

	.type	__PRETTY_FUNCTION__._Z38paged_attention_ll4mi_QKV_mfma4_kernelIDF16_DF16_LN4vllm18Fp8KVCacheDataTypeE0EhLi16ELi128ELi256ELb0ELi4EEvPKT_PKT0_S7_ifPKiS9_S9_iPKfiiiPfSC_PS2_PT2_iSB_SB_,@object ; @__PRETTY_FUNCTION__._Z38paged_attention_ll4mi_QKV_mfma4_kernelIDF16_DF16_LN4vllm18Fp8KVCacheDataTypeE0EhLi16ELi128ELi256ELb0ELi4EEvPKT_PKT0_S7_ifPKiS9_S9_iPKfiiiPfSC_PS2_PT2_iSB_SB_
__PRETTY_FUNCTION__._Z38paged_attention_ll4mi_QKV_mfma4_kernelIDF16_DF16_LN4vllm18Fp8KVCacheDataTypeE0EhLi16ELi128ELi256ELb0ELi4EEvPKT_PKT0_S7_ifPKiS9_S9_iPKfiiiPfSC_PS2_PT2_iSB_SB_:
	.asciz	"void paged_attention_ll4mi_QKV_mfma4_kernel(const scalar_t *__restrict, const cache_t *__restrict, const cache_t *__restrict, const int, const float, const int *__restrict, const int *__restrict, const int *__restrict, const int, const float *__restrict, const int, const int, const int, float *__restrict, float *__restrict, scalar_t *__restrict, OUTT *__restrict, int, const float *, const float *) [scalar_t = _Float16, cache_t = _Float16, KV_DTYPE = vllm::Fp8KVCacheDataType::kAuto, OUTT = unsigned char, BLOCK_SIZE = 16, HEAD_SIZE = 128, NUM_THREADS = 256, ALIBI_ENABLED = false, GQA_RATIO = 4]"
	.size	__PRETTY_FUNCTION__._Z38paged_attention_ll4mi_QKV_mfma4_kernelIDF16_DF16_LN4vllm18Fp8KVCacheDataTypeE0EhLi16ELi128ELi256ELb0ELi4EEvPKT_PKT0_S7_ifPKiS9_S9_iPKfiiiPfSC_PS2_PT2_iSB_SB_, 600

	.type	__PRETTY_FUNCTION__._Z38paged_attention_ll4mi_QKV_mfma4_kernelIDF16_DF16_LN4vllm18Fp8KVCacheDataTypeE0EDF16_Li16ELi128ELi256ELb1ELi1EEvPKT_PKT0_S7_ifPKiS9_S9_iPKfiiiPfSC_PS2_PT2_iSB_SB_,@object ; @__PRETTY_FUNCTION__._Z38paged_attention_ll4mi_QKV_mfma4_kernelIDF16_DF16_LN4vllm18Fp8KVCacheDataTypeE0EDF16_Li16ELi128ELi256ELb1ELi1EEvPKT_PKT0_S7_ifPKiS9_S9_iPKfiiiPfSC_PS2_PT2_iSB_SB_
__PRETTY_FUNCTION__._Z38paged_attention_ll4mi_QKV_mfma4_kernelIDF16_DF16_LN4vllm18Fp8KVCacheDataTypeE0EDF16_Li16ELi128ELi256ELb1ELi1EEvPKT_PKT0_S7_ifPKiS9_S9_iPKfiiiPfSC_PS2_PT2_iSB_SB_:
	.asciz	"void paged_attention_ll4mi_QKV_mfma4_kernel(const scalar_t *__restrict, const cache_t *__restrict, const cache_t *__restrict, const int, const float, const int *__restrict, const int *__restrict, const int *__restrict, const int, const float *__restrict, const int, const int, const int, float *__restrict, float *__restrict, scalar_t *__restrict, OUTT *__restrict, int, const float *, const float *) [scalar_t = _Float16, cache_t = _Float16, KV_DTYPE = vllm::Fp8KVCacheDataType::kAuto, OUTT = _Float16, BLOCK_SIZE = 16, HEAD_SIZE = 128, NUM_THREADS = 256, ALIBI_ENABLED = true, GQA_RATIO = 1]"
	.size	__PRETTY_FUNCTION__._Z38paged_attention_ll4mi_QKV_mfma4_kernelIDF16_DF16_LN4vllm18Fp8KVCacheDataTypeE0EDF16_Li16ELi128ELi256ELb1ELi1EEvPKT_PKT0_S7_ifPKiS9_S9_iPKfiiiPfSC_PS2_PT2_iSB_SB_, 594

	.type	__PRETTY_FUNCTION__._Z38paged_attention_ll4mi_QKV_mfma4_kernelIDF16_DF16_LN4vllm18Fp8KVCacheDataTypeE0EDF16_Li16ELi128ELi256ELb1ELi2EEvPKT_PKT0_S7_ifPKiS9_S9_iPKfiiiPfSC_PS2_PT2_iSB_SB_,@object ; @__PRETTY_FUNCTION__._Z38paged_attention_ll4mi_QKV_mfma4_kernelIDF16_DF16_LN4vllm18Fp8KVCacheDataTypeE0EDF16_Li16ELi128ELi256ELb1ELi2EEvPKT_PKT0_S7_ifPKiS9_S9_iPKfiiiPfSC_PS2_PT2_iSB_SB_
__PRETTY_FUNCTION__._Z38paged_attention_ll4mi_QKV_mfma4_kernelIDF16_DF16_LN4vllm18Fp8KVCacheDataTypeE0EDF16_Li16ELi128ELi256ELb1ELi2EEvPKT_PKT0_S7_ifPKiS9_S9_iPKfiiiPfSC_PS2_PT2_iSB_SB_:
	.asciz	"void paged_attention_ll4mi_QKV_mfma4_kernel(const scalar_t *__restrict, const cache_t *__restrict, const cache_t *__restrict, const int, const float, const int *__restrict, const int *__restrict, const int *__restrict, const int, const float *__restrict, const int, const int, const int, float *__restrict, float *__restrict, scalar_t *__restrict, OUTT *__restrict, int, const float *, const float *) [scalar_t = _Float16, cache_t = _Float16, KV_DTYPE = vllm::Fp8KVCacheDataType::kAuto, OUTT = _Float16, BLOCK_SIZE = 16, HEAD_SIZE = 128, NUM_THREADS = 256, ALIBI_ENABLED = true, GQA_RATIO = 2]"
	.size	__PRETTY_FUNCTION__._Z38paged_attention_ll4mi_QKV_mfma4_kernelIDF16_DF16_LN4vllm18Fp8KVCacheDataTypeE0EDF16_Li16ELi128ELi256ELb1ELi2EEvPKT_PKT0_S7_ifPKiS9_S9_iPKfiiiPfSC_PS2_PT2_iSB_SB_, 594

	.type	__PRETTY_FUNCTION__._Z38paged_attention_ll4mi_QKV_mfma4_kernelIDF16_DF16_LN4vllm18Fp8KVCacheDataTypeE0EDF16_Li16ELi128ELi256ELb1ELi3EEvPKT_PKT0_S7_ifPKiS9_S9_iPKfiiiPfSC_PS2_PT2_iSB_SB_,@object ; @__PRETTY_FUNCTION__._Z38paged_attention_ll4mi_QKV_mfma4_kernelIDF16_DF16_LN4vllm18Fp8KVCacheDataTypeE0EDF16_Li16ELi128ELi256ELb1ELi3EEvPKT_PKT0_S7_ifPKiS9_S9_iPKfiiiPfSC_PS2_PT2_iSB_SB_
__PRETTY_FUNCTION__._Z38paged_attention_ll4mi_QKV_mfma4_kernelIDF16_DF16_LN4vllm18Fp8KVCacheDataTypeE0EDF16_Li16ELi128ELi256ELb1ELi3EEvPKT_PKT0_S7_ifPKiS9_S9_iPKfiiiPfSC_PS2_PT2_iSB_SB_:
	.asciz	"void paged_attention_ll4mi_QKV_mfma4_kernel(const scalar_t *__restrict, const cache_t *__restrict, const cache_t *__restrict, const int, const float, const int *__restrict, const int *__restrict, const int *__restrict, const int, const float *__restrict, const int, const int, const int, float *__restrict, float *__restrict, scalar_t *__restrict, OUTT *__restrict, int, const float *, const float *) [scalar_t = _Float16, cache_t = _Float16, KV_DTYPE = vllm::Fp8KVCacheDataType::kAuto, OUTT = _Float16, BLOCK_SIZE = 16, HEAD_SIZE = 128, NUM_THREADS = 256, ALIBI_ENABLED = true, GQA_RATIO = 3]"
	.size	__PRETTY_FUNCTION__._Z38paged_attention_ll4mi_QKV_mfma4_kernelIDF16_DF16_LN4vllm18Fp8KVCacheDataTypeE0EDF16_Li16ELi128ELi256ELb1ELi3EEvPKT_PKT0_S7_ifPKiS9_S9_iPKfiiiPfSC_PS2_PT2_iSB_SB_, 594

	.type	__PRETTY_FUNCTION__._Z38paged_attention_ll4mi_QKV_mfma4_kernelIDF16_DF16_LN4vllm18Fp8KVCacheDataTypeE0EDF16_Li16ELi128ELi256ELb1ELi4EEvPKT_PKT0_S7_ifPKiS9_S9_iPKfiiiPfSC_PS2_PT2_iSB_SB_,@object ; @__PRETTY_FUNCTION__._Z38paged_attention_ll4mi_QKV_mfma4_kernelIDF16_DF16_LN4vllm18Fp8KVCacheDataTypeE0EDF16_Li16ELi128ELi256ELb1ELi4EEvPKT_PKT0_S7_ifPKiS9_S9_iPKfiiiPfSC_PS2_PT2_iSB_SB_
__PRETTY_FUNCTION__._Z38paged_attention_ll4mi_QKV_mfma4_kernelIDF16_DF16_LN4vllm18Fp8KVCacheDataTypeE0EDF16_Li16ELi128ELi256ELb1ELi4EEvPKT_PKT0_S7_ifPKiS9_S9_iPKfiiiPfSC_PS2_PT2_iSB_SB_:
	.asciz	"void paged_attention_ll4mi_QKV_mfma4_kernel(const scalar_t *__restrict, const cache_t *__restrict, const cache_t *__restrict, const int, const float, const int *__restrict, const int *__restrict, const int *__restrict, const int, const float *__restrict, const int, const int, const int, float *__restrict, float *__restrict, scalar_t *__restrict, OUTT *__restrict, int, const float *, const float *) [scalar_t = _Float16, cache_t = _Float16, KV_DTYPE = vllm::Fp8KVCacheDataType::kAuto, OUTT = _Float16, BLOCK_SIZE = 16, HEAD_SIZE = 128, NUM_THREADS = 256, ALIBI_ENABLED = true, GQA_RATIO = 4]"
	.size	__PRETTY_FUNCTION__._Z38paged_attention_ll4mi_QKV_mfma4_kernelIDF16_DF16_LN4vllm18Fp8KVCacheDataTypeE0EDF16_Li16ELi128ELi256ELb1ELi4EEvPKT_PKT0_S7_ifPKiS9_S9_iPKfiiiPfSC_PS2_PT2_iSB_SB_, 594

	.type	__PRETTY_FUNCTION__._Z38paged_attention_ll4mi_QKV_mfma4_kernelIDF16_DF16_LN4vllm18Fp8KVCacheDataTypeE0EDF16_Li16ELi128ELi256ELb0ELi1EEvPKT_PKT0_S7_ifPKiS9_S9_iPKfiiiPfSC_PS2_PT2_iSB_SB_,@object ; @__PRETTY_FUNCTION__._Z38paged_attention_ll4mi_QKV_mfma4_kernelIDF16_DF16_LN4vllm18Fp8KVCacheDataTypeE0EDF16_Li16ELi128ELi256ELb0ELi1EEvPKT_PKT0_S7_ifPKiS9_S9_iPKfiiiPfSC_PS2_PT2_iSB_SB_
__PRETTY_FUNCTION__._Z38paged_attention_ll4mi_QKV_mfma4_kernelIDF16_DF16_LN4vllm18Fp8KVCacheDataTypeE0EDF16_Li16ELi128ELi256ELb0ELi1EEvPKT_PKT0_S7_ifPKiS9_S9_iPKfiiiPfSC_PS2_PT2_iSB_SB_:
	.asciz	"void paged_attention_ll4mi_QKV_mfma4_kernel(const scalar_t *__restrict, const cache_t *__restrict, const cache_t *__restrict, const int, const float, const int *__restrict, const int *__restrict, const int *__restrict, const int, const float *__restrict, const int, const int, const int, float *__restrict, float *__restrict, scalar_t *__restrict, OUTT *__restrict, int, const float *, const float *) [scalar_t = _Float16, cache_t = _Float16, KV_DTYPE = vllm::Fp8KVCacheDataType::kAuto, OUTT = _Float16, BLOCK_SIZE = 16, HEAD_SIZE = 128, NUM_THREADS = 256, ALIBI_ENABLED = false, GQA_RATIO = 1]"
	.size	__PRETTY_FUNCTION__._Z38paged_attention_ll4mi_QKV_mfma4_kernelIDF16_DF16_LN4vllm18Fp8KVCacheDataTypeE0EDF16_Li16ELi128ELi256ELb0ELi1EEvPKT_PKT0_S7_ifPKiS9_S9_iPKfiiiPfSC_PS2_PT2_iSB_SB_, 595

	.type	__PRETTY_FUNCTION__._Z38paged_attention_ll4mi_QKV_mfma4_kernelIDF16_DF16_LN4vllm18Fp8KVCacheDataTypeE0EDF16_Li16ELi128ELi256ELb0ELi2EEvPKT_PKT0_S7_ifPKiS9_S9_iPKfiiiPfSC_PS2_PT2_iSB_SB_,@object ; @__PRETTY_FUNCTION__._Z38paged_attention_ll4mi_QKV_mfma4_kernelIDF16_DF16_LN4vllm18Fp8KVCacheDataTypeE0EDF16_Li16ELi128ELi256ELb0ELi2EEvPKT_PKT0_S7_ifPKiS9_S9_iPKfiiiPfSC_PS2_PT2_iSB_SB_
__PRETTY_FUNCTION__._Z38paged_attention_ll4mi_QKV_mfma4_kernelIDF16_DF16_LN4vllm18Fp8KVCacheDataTypeE0EDF16_Li16ELi128ELi256ELb0ELi2EEvPKT_PKT0_S7_ifPKiS9_S9_iPKfiiiPfSC_PS2_PT2_iSB_SB_:
	.asciz	"void paged_attention_ll4mi_QKV_mfma4_kernel(const scalar_t *__restrict, const cache_t *__restrict, const cache_t *__restrict, const int, const float, const int *__restrict, const int *__restrict, const int *__restrict, const int, const float *__restrict, const int, const int, const int, float *__restrict, float *__restrict, scalar_t *__restrict, OUTT *__restrict, int, const float *, const float *) [scalar_t = _Float16, cache_t = _Float16, KV_DTYPE = vllm::Fp8KVCacheDataType::kAuto, OUTT = _Float16, BLOCK_SIZE = 16, HEAD_SIZE = 128, NUM_THREADS = 256, ALIBI_ENABLED = false, GQA_RATIO = 2]"
	.size	__PRETTY_FUNCTION__._Z38paged_attention_ll4mi_QKV_mfma4_kernelIDF16_DF16_LN4vllm18Fp8KVCacheDataTypeE0EDF16_Li16ELi128ELi256ELb0ELi2EEvPKT_PKT0_S7_ifPKiS9_S9_iPKfiiiPfSC_PS2_PT2_iSB_SB_, 595

	.type	__PRETTY_FUNCTION__._Z38paged_attention_ll4mi_QKV_mfma4_kernelIDF16_DF16_LN4vllm18Fp8KVCacheDataTypeE0EDF16_Li16ELi128ELi256ELb0ELi3EEvPKT_PKT0_S7_ifPKiS9_S9_iPKfiiiPfSC_PS2_PT2_iSB_SB_,@object ; @__PRETTY_FUNCTION__._Z38paged_attention_ll4mi_QKV_mfma4_kernelIDF16_DF16_LN4vllm18Fp8KVCacheDataTypeE0EDF16_Li16ELi128ELi256ELb0ELi3EEvPKT_PKT0_S7_ifPKiS9_S9_iPKfiiiPfSC_PS2_PT2_iSB_SB_
__PRETTY_FUNCTION__._Z38paged_attention_ll4mi_QKV_mfma4_kernelIDF16_DF16_LN4vllm18Fp8KVCacheDataTypeE0EDF16_Li16ELi128ELi256ELb0ELi3EEvPKT_PKT0_S7_ifPKiS9_S9_iPKfiiiPfSC_PS2_PT2_iSB_SB_:
	.asciz	"void paged_attention_ll4mi_QKV_mfma4_kernel(const scalar_t *__restrict, const cache_t *__restrict, const cache_t *__restrict, const int, const float, const int *__restrict, const int *__restrict, const int *__restrict, const int, const float *__restrict, const int, const int, const int, float *__restrict, float *__restrict, scalar_t *__restrict, OUTT *__restrict, int, const float *, const float *) [scalar_t = _Float16, cache_t = _Float16, KV_DTYPE = vllm::Fp8KVCacheDataType::kAuto, OUTT = _Float16, BLOCK_SIZE = 16, HEAD_SIZE = 128, NUM_THREADS = 256, ALIBI_ENABLED = false, GQA_RATIO = 3]"
	.size	__PRETTY_FUNCTION__._Z38paged_attention_ll4mi_QKV_mfma4_kernelIDF16_DF16_LN4vllm18Fp8KVCacheDataTypeE0EDF16_Li16ELi128ELi256ELb0ELi3EEvPKT_PKT0_S7_ifPKiS9_S9_iPKfiiiPfSC_PS2_PT2_iSB_SB_, 595

	.type	__PRETTY_FUNCTION__._Z38paged_attention_ll4mi_QKV_mfma4_kernelIDF16_DF16_LN4vllm18Fp8KVCacheDataTypeE0EDF16_Li16ELi128ELi256ELb0ELi4EEvPKT_PKT0_S7_ifPKiS9_S9_iPKfiiiPfSC_PS2_PT2_iSB_SB_,@object ; @__PRETTY_FUNCTION__._Z38paged_attention_ll4mi_QKV_mfma4_kernelIDF16_DF16_LN4vllm18Fp8KVCacheDataTypeE0EDF16_Li16ELi128ELi256ELb0ELi4EEvPKT_PKT0_S7_ifPKiS9_S9_iPKfiiiPfSC_PS2_PT2_iSB_SB_
__PRETTY_FUNCTION__._Z38paged_attention_ll4mi_QKV_mfma4_kernelIDF16_DF16_LN4vllm18Fp8KVCacheDataTypeE0EDF16_Li16ELi128ELi256ELb0ELi4EEvPKT_PKT0_S7_ifPKiS9_S9_iPKfiiiPfSC_PS2_PT2_iSB_SB_:
	.asciz	"void paged_attention_ll4mi_QKV_mfma4_kernel(const scalar_t *__restrict, const cache_t *__restrict, const cache_t *__restrict, const int, const float, const int *__restrict, const int *__restrict, const int *__restrict, const int, const float *__restrict, const int, const int, const int, float *__restrict, float *__restrict, scalar_t *__restrict, OUTT *__restrict, int, const float *, const float *) [scalar_t = _Float16, cache_t = _Float16, KV_DTYPE = vllm::Fp8KVCacheDataType::kAuto, OUTT = _Float16, BLOCK_SIZE = 16, HEAD_SIZE = 128, NUM_THREADS = 256, ALIBI_ENABLED = false, GQA_RATIO = 4]"
	.size	__PRETTY_FUNCTION__._Z38paged_attention_ll4mi_QKV_mfma4_kernelIDF16_DF16_LN4vllm18Fp8KVCacheDataTypeE0EDF16_Li16ELi128ELi256ELb0ELi4EEvPKT_PKT0_S7_ifPKiS9_S9_iPKfiiiPfSC_PS2_PT2_iSB_SB_, 595

	.type	__PRETTY_FUNCTION__._Z38paged_attention_ll4mi_QKV_mfma4_kernelIDF16_DF16_LN4vllm18Fp8KVCacheDataTypeE0EhLi32ELi128ELi256ELb1ELi1EEvPKT_PKT0_S7_ifPKiS9_S9_iPKfiiiPfSC_PS2_PT2_iSB_SB_,@object ; @__PRETTY_FUNCTION__._Z38paged_attention_ll4mi_QKV_mfma4_kernelIDF16_DF16_LN4vllm18Fp8KVCacheDataTypeE0EhLi32ELi128ELi256ELb1ELi1EEvPKT_PKT0_S7_ifPKiS9_S9_iPKfiiiPfSC_PS2_PT2_iSB_SB_
__PRETTY_FUNCTION__._Z38paged_attention_ll4mi_QKV_mfma4_kernelIDF16_DF16_LN4vllm18Fp8KVCacheDataTypeE0EhLi32ELi128ELi256ELb1ELi1EEvPKT_PKT0_S7_ifPKiS9_S9_iPKfiiiPfSC_PS2_PT2_iSB_SB_:
	.asciz	"void paged_attention_ll4mi_QKV_mfma4_kernel(const scalar_t *__restrict, const cache_t *__restrict, const cache_t *__restrict, const int, const float, const int *__restrict, const int *__restrict, const int *__restrict, const int, const float *__restrict, const int, const int, const int, float *__restrict, float *__restrict, scalar_t *__restrict, OUTT *__restrict, int, const float *, const float *) [scalar_t = _Float16, cache_t = _Float16, KV_DTYPE = vllm::Fp8KVCacheDataType::kAuto, OUTT = unsigned char, BLOCK_SIZE = 32, HEAD_SIZE = 128, NUM_THREADS = 256, ALIBI_ENABLED = true, GQA_RATIO = 1]"
	.size	__PRETTY_FUNCTION__._Z38paged_attention_ll4mi_QKV_mfma4_kernelIDF16_DF16_LN4vllm18Fp8KVCacheDataTypeE0EhLi32ELi128ELi256ELb1ELi1EEvPKT_PKT0_S7_ifPKiS9_S9_iPKfiiiPfSC_PS2_PT2_iSB_SB_, 599

	.type	__PRETTY_FUNCTION__._Z38paged_attention_ll4mi_QKV_mfma4_kernelIDF16_DF16_LN4vllm18Fp8KVCacheDataTypeE0EhLi32ELi128ELi256ELb1ELi2EEvPKT_PKT0_S7_ifPKiS9_S9_iPKfiiiPfSC_PS2_PT2_iSB_SB_,@object ; @__PRETTY_FUNCTION__._Z38paged_attention_ll4mi_QKV_mfma4_kernelIDF16_DF16_LN4vllm18Fp8KVCacheDataTypeE0EhLi32ELi128ELi256ELb1ELi2EEvPKT_PKT0_S7_ifPKiS9_S9_iPKfiiiPfSC_PS2_PT2_iSB_SB_
__PRETTY_FUNCTION__._Z38paged_attention_ll4mi_QKV_mfma4_kernelIDF16_DF16_LN4vllm18Fp8KVCacheDataTypeE0EhLi32ELi128ELi256ELb1ELi2EEvPKT_PKT0_S7_ifPKiS9_S9_iPKfiiiPfSC_PS2_PT2_iSB_SB_:
	.asciz	"void paged_attention_ll4mi_QKV_mfma4_kernel(const scalar_t *__restrict, const cache_t *__restrict, const cache_t *__restrict, const int, const float, const int *__restrict, const int *__restrict, const int *__restrict, const int, const float *__restrict, const int, const int, const int, float *__restrict, float *__restrict, scalar_t *__restrict, OUTT *__restrict, int, const float *, const float *) [scalar_t = _Float16, cache_t = _Float16, KV_DTYPE = vllm::Fp8KVCacheDataType::kAuto, OUTT = unsigned char, BLOCK_SIZE = 32, HEAD_SIZE = 128, NUM_THREADS = 256, ALIBI_ENABLED = true, GQA_RATIO = 2]"
	.size	__PRETTY_FUNCTION__._Z38paged_attention_ll4mi_QKV_mfma4_kernelIDF16_DF16_LN4vllm18Fp8KVCacheDataTypeE0EhLi32ELi128ELi256ELb1ELi2EEvPKT_PKT0_S7_ifPKiS9_S9_iPKfiiiPfSC_PS2_PT2_iSB_SB_, 599

	.type	__PRETTY_FUNCTION__._Z38paged_attention_ll4mi_QKV_mfma4_kernelIDF16_DF16_LN4vllm18Fp8KVCacheDataTypeE0EhLi32ELi128ELi256ELb1ELi3EEvPKT_PKT0_S7_ifPKiS9_S9_iPKfiiiPfSC_PS2_PT2_iSB_SB_,@object ; @__PRETTY_FUNCTION__._Z38paged_attention_ll4mi_QKV_mfma4_kernelIDF16_DF16_LN4vllm18Fp8KVCacheDataTypeE0EhLi32ELi128ELi256ELb1ELi3EEvPKT_PKT0_S7_ifPKiS9_S9_iPKfiiiPfSC_PS2_PT2_iSB_SB_
__PRETTY_FUNCTION__._Z38paged_attention_ll4mi_QKV_mfma4_kernelIDF16_DF16_LN4vllm18Fp8KVCacheDataTypeE0EhLi32ELi128ELi256ELb1ELi3EEvPKT_PKT0_S7_ifPKiS9_S9_iPKfiiiPfSC_PS2_PT2_iSB_SB_:
	.asciz	"void paged_attention_ll4mi_QKV_mfma4_kernel(const scalar_t *__restrict, const cache_t *__restrict, const cache_t *__restrict, const int, const float, const int *__restrict, const int *__restrict, const int *__restrict, const int, const float *__restrict, const int, const int, const int, float *__restrict, float *__restrict, scalar_t *__restrict, OUTT *__restrict, int, const float *, const float *) [scalar_t = _Float16, cache_t = _Float16, KV_DTYPE = vllm::Fp8KVCacheDataType::kAuto, OUTT = unsigned char, BLOCK_SIZE = 32, HEAD_SIZE = 128, NUM_THREADS = 256, ALIBI_ENABLED = true, GQA_RATIO = 3]"
	.size	__PRETTY_FUNCTION__._Z38paged_attention_ll4mi_QKV_mfma4_kernelIDF16_DF16_LN4vllm18Fp8KVCacheDataTypeE0EhLi32ELi128ELi256ELb1ELi3EEvPKT_PKT0_S7_ifPKiS9_S9_iPKfiiiPfSC_PS2_PT2_iSB_SB_, 599

	.type	__PRETTY_FUNCTION__._Z38paged_attention_ll4mi_QKV_mfma4_kernelIDF16_DF16_LN4vllm18Fp8KVCacheDataTypeE0EhLi32ELi128ELi256ELb1ELi4EEvPKT_PKT0_S7_ifPKiS9_S9_iPKfiiiPfSC_PS2_PT2_iSB_SB_,@object ; @__PRETTY_FUNCTION__._Z38paged_attention_ll4mi_QKV_mfma4_kernelIDF16_DF16_LN4vllm18Fp8KVCacheDataTypeE0EhLi32ELi128ELi256ELb1ELi4EEvPKT_PKT0_S7_ifPKiS9_S9_iPKfiiiPfSC_PS2_PT2_iSB_SB_
__PRETTY_FUNCTION__._Z38paged_attention_ll4mi_QKV_mfma4_kernelIDF16_DF16_LN4vllm18Fp8KVCacheDataTypeE0EhLi32ELi128ELi256ELb1ELi4EEvPKT_PKT0_S7_ifPKiS9_S9_iPKfiiiPfSC_PS2_PT2_iSB_SB_:
	.asciz	"void paged_attention_ll4mi_QKV_mfma4_kernel(const scalar_t *__restrict, const cache_t *__restrict, const cache_t *__restrict, const int, const float, const int *__restrict, const int *__restrict, const int *__restrict, const int, const float *__restrict, const int, const int, const int, float *__restrict, float *__restrict, scalar_t *__restrict, OUTT *__restrict, int, const float *, const float *) [scalar_t = _Float16, cache_t = _Float16, KV_DTYPE = vllm::Fp8KVCacheDataType::kAuto, OUTT = unsigned char, BLOCK_SIZE = 32, HEAD_SIZE = 128, NUM_THREADS = 256, ALIBI_ENABLED = true, GQA_RATIO = 4]"
	.size	__PRETTY_FUNCTION__._Z38paged_attention_ll4mi_QKV_mfma4_kernelIDF16_DF16_LN4vllm18Fp8KVCacheDataTypeE0EhLi32ELi128ELi256ELb1ELi4EEvPKT_PKT0_S7_ifPKiS9_S9_iPKfiiiPfSC_PS2_PT2_iSB_SB_, 599

	.type	__PRETTY_FUNCTION__._Z38paged_attention_ll4mi_QKV_mfma4_kernelIDF16_DF16_LN4vllm18Fp8KVCacheDataTypeE0EhLi32ELi128ELi256ELb0ELi1EEvPKT_PKT0_S7_ifPKiS9_S9_iPKfiiiPfSC_PS2_PT2_iSB_SB_,@object ; @__PRETTY_FUNCTION__._Z38paged_attention_ll4mi_QKV_mfma4_kernelIDF16_DF16_LN4vllm18Fp8KVCacheDataTypeE0EhLi32ELi128ELi256ELb0ELi1EEvPKT_PKT0_S7_ifPKiS9_S9_iPKfiiiPfSC_PS2_PT2_iSB_SB_
__PRETTY_FUNCTION__._Z38paged_attention_ll4mi_QKV_mfma4_kernelIDF16_DF16_LN4vllm18Fp8KVCacheDataTypeE0EhLi32ELi128ELi256ELb0ELi1EEvPKT_PKT0_S7_ifPKiS9_S9_iPKfiiiPfSC_PS2_PT2_iSB_SB_:
	.asciz	"void paged_attention_ll4mi_QKV_mfma4_kernel(const scalar_t *__restrict, const cache_t *__restrict, const cache_t *__restrict, const int, const float, const int *__restrict, const int *__restrict, const int *__restrict, const int, const float *__restrict, const int, const int, const int, float *__restrict, float *__restrict, scalar_t *__restrict, OUTT *__restrict, int, const float *, const float *) [scalar_t = _Float16, cache_t = _Float16, KV_DTYPE = vllm::Fp8KVCacheDataType::kAuto, OUTT = unsigned char, BLOCK_SIZE = 32, HEAD_SIZE = 128, NUM_THREADS = 256, ALIBI_ENABLED = false, GQA_RATIO = 1]"
	.size	__PRETTY_FUNCTION__._Z38paged_attention_ll4mi_QKV_mfma4_kernelIDF16_DF16_LN4vllm18Fp8KVCacheDataTypeE0EhLi32ELi128ELi256ELb0ELi1EEvPKT_PKT0_S7_ifPKiS9_S9_iPKfiiiPfSC_PS2_PT2_iSB_SB_, 600

	.type	__PRETTY_FUNCTION__._Z38paged_attention_ll4mi_QKV_mfma4_kernelIDF16_DF16_LN4vllm18Fp8KVCacheDataTypeE0EhLi32ELi128ELi256ELb0ELi2EEvPKT_PKT0_S7_ifPKiS9_S9_iPKfiiiPfSC_PS2_PT2_iSB_SB_,@object ; @__PRETTY_FUNCTION__._Z38paged_attention_ll4mi_QKV_mfma4_kernelIDF16_DF16_LN4vllm18Fp8KVCacheDataTypeE0EhLi32ELi128ELi256ELb0ELi2EEvPKT_PKT0_S7_ifPKiS9_S9_iPKfiiiPfSC_PS2_PT2_iSB_SB_
__PRETTY_FUNCTION__._Z38paged_attention_ll4mi_QKV_mfma4_kernelIDF16_DF16_LN4vllm18Fp8KVCacheDataTypeE0EhLi32ELi128ELi256ELb0ELi2EEvPKT_PKT0_S7_ifPKiS9_S9_iPKfiiiPfSC_PS2_PT2_iSB_SB_:
	.asciz	"void paged_attention_ll4mi_QKV_mfma4_kernel(const scalar_t *__restrict, const cache_t *__restrict, const cache_t *__restrict, const int, const float, const int *__restrict, const int *__restrict, const int *__restrict, const int, const float *__restrict, const int, const int, const int, float *__restrict, float *__restrict, scalar_t *__restrict, OUTT *__restrict, int, const float *, const float *) [scalar_t = _Float16, cache_t = _Float16, KV_DTYPE = vllm::Fp8KVCacheDataType::kAuto, OUTT = unsigned char, BLOCK_SIZE = 32, HEAD_SIZE = 128, NUM_THREADS = 256, ALIBI_ENABLED = false, GQA_RATIO = 2]"
	.size	__PRETTY_FUNCTION__._Z38paged_attention_ll4mi_QKV_mfma4_kernelIDF16_DF16_LN4vllm18Fp8KVCacheDataTypeE0EhLi32ELi128ELi256ELb0ELi2EEvPKT_PKT0_S7_ifPKiS9_S9_iPKfiiiPfSC_PS2_PT2_iSB_SB_, 600

	.type	__PRETTY_FUNCTION__._Z38paged_attention_ll4mi_QKV_mfma4_kernelIDF16_DF16_LN4vllm18Fp8KVCacheDataTypeE0EhLi32ELi128ELi256ELb0ELi3EEvPKT_PKT0_S7_ifPKiS9_S9_iPKfiiiPfSC_PS2_PT2_iSB_SB_,@object ; @__PRETTY_FUNCTION__._Z38paged_attention_ll4mi_QKV_mfma4_kernelIDF16_DF16_LN4vllm18Fp8KVCacheDataTypeE0EhLi32ELi128ELi256ELb0ELi3EEvPKT_PKT0_S7_ifPKiS9_S9_iPKfiiiPfSC_PS2_PT2_iSB_SB_
__PRETTY_FUNCTION__._Z38paged_attention_ll4mi_QKV_mfma4_kernelIDF16_DF16_LN4vllm18Fp8KVCacheDataTypeE0EhLi32ELi128ELi256ELb0ELi3EEvPKT_PKT0_S7_ifPKiS9_S9_iPKfiiiPfSC_PS2_PT2_iSB_SB_:
	.asciz	"void paged_attention_ll4mi_QKV_mfma4_kernel(const scalar_t *__restrict, const cache_t *__restrict, const cache_t *__restrict, const int, const float, const int *__restrict, const int *__restrict, const int *__restrict, const int, const float *__restrict, const int, const int, const int, float *__restrict, float *__restrict, scalar_t *__restrict, OUTT *__restrict, int, const float *, const float *) [scalar_t = _Float16, cache_t = _Float16, KV_DTYPE = vllm::Fp8KVCacheDataType::kAuto, OUTT = unsigned char, BLOCK_SIZE = 32, HEAD_SIZE = 128, NUM_THREADS = 256, ALIBI_ENABLED = false, GQA_RATIO = 3]"
	.size	__PRETTY_FUNCTION__._Z38paged_attention_ll4mi_QKV_mfma4_kernelIDF16_DF16_LN4vllm18Fp8KVCacheDataTypeE0EhLi32ELi128ELi256ELb0ELi3EEvPKT_PKT0_S7_ifPKiS9_S9_iPKfiiiPfSC_PS2_PT2_iSB_SB_, 600

	.type	__PRETTY_FUNCTION__._Z38paged_attention_ll4mi_QKV_mfma4_kernelIDF16_DF16_LN4vllm18Fp8KVCacheDataTypeE0EhLi32ELi128ELi256ELb0ELi4EEvPKT_PKT0_S7_ifPKiS9_S9_iPKfiiiPfSC_PS2_PT2_iSB_SB_,@object ; @__PRETTY_FUNCTION__._Z38paged_attention_ll4mi_QKV_mfma4_kernelIDF16_DF16_LN4vllm18Fp8KVCacheDataTypeE0EhLi32ELi128ELi256ELb0ELi4EEvPKT_PKT0_S7_ifPKiS9_S9_iPKfiiiPfSC_PS2_PT2_iSB_SB_
__PRETTY_FUNCTION__._Z38paged_attention_ll4mi_QKV_mfma4_kernelIDF16_DF16_LN4vllm18Fp8KVCacheDataTypeE0EhLi32ELi128ELi256ELb0ELi4EEvPKT_PKT0_S7_ifPKiS9_S9_iPKfiiiPfSC_PS2_PT2_iSB_SB_:
	.asciz	"void paged_attention_ll4mi_QKV_mfma4_kernel(const scalar_t *__restrict, const cache_t *__restrict, const cache_t *__restrict, const int, const float, const int *__restrict, const int *__restrict, const int *__restrict, const int, const float *__restrict, const int, const int, const int, float *__restrict, float *__restrict, scalar_t *__restrict, OUTT *__restrict, int, const float *, const float *) [scalar_t = _Float16, cache_t = _Float16, KV_DTYPE = vllm::Fp8KVCacheDataType::kAuto, OUTT = unsigned char, BLOCK_SIZE = 32, HEAD_SIZE = 128, NUM_THREADS = 256, ALIBI_ENABLED = false, GQA_RATIO = 4]"
	.size	__PRETTY_FUNCTION__._Z38paged_attention_ll4mi_QKV_mfma4_kernelIDF16_DF16_LN4vllm18Fp8KVCacheDataTypeE0EhLi32ELi128ELi256ELb0ELi4EEvPKT_PKT0_S7_ifPKiS9_S9_iPKfiiiPfSC_PS2_PT2_iSB_SB_, 600

	.type	__PRETTY_FUNCTION__._Z38paged_attention_ll4mi_QKV_mfma4_kernelIDF16_DF16_LN4vllm18Fp8KVCacheDataTypeE0EDF16_Li32ELi128ELi256ELb1ELi1EEvPKT_PKT0_S7_ifPKiS9_S9_iPKfiiiPfSC_PS2_PT2_iSB_SB_,@object ; @__PRETTY_FUNCTION__._Z38paged_attention_ll4mi_QKV_mfma4_kernelIDF16_DF16_LN4vllm18Fp8KVCacheDataTypeE0EDF16_Li32ELi128ELi256ELb1ELi1EEvPKT_PKT0_S7_ifPKiS9_S9_iPKfiiiPfSC_PS2_PT2_iSB_SB_
__PRETTY_FUNCTION__._Z38paged_attention_ll4mi_QKV_mfma4_kernelIDF16_DF16_LN4vllm18Fp8KVCacheDataTypeE0EDF16_Li32ELi128ELi256ELb1ELi1EEvPKT_PKT0_S7_ifPKiS9_S9_iPKfiiiPfSC_PS2_PT2_iSB_SB_:
	.asciz	"void paged_attention_ll4mi_QKV_mfma4_kernel(const scalar_t *__restrict, const cache_t *__restrict, const cache_t *__restrict, const int, const float, const int *__restrict, const int *__restrict, const int *__restrict, const int, const float *__restrict, const int, const int, const int, float *__restrict, float *__restrict, scalar_t *__restrict, OUTT *__restrict, int, const float *, const float *) [scalar_t = _Float16, cache_t = _Float16, KV_DTYPE = vllm::Fp8KVCacheDataType::kAuto, OUTT = _Float16, BLOCK_SIZE = 32, HEAD_SIZE = 128, NUM_THREADS = 256, ALIBI_ENABLED = true, GQA_RATIO = 1]"
	.size	__PRETTY_FUNCTION__._Z38paged_attention_ll4mi_QKV_mfma4_kernelIDF16_DF16_LN4vllm18Fp8KVCacheDataTypeE0EDF16_Li32ELi128ELi256ELb1ELi1EEvPKT_PKT0_S7_ifPKiS9_S9_iPKfiiiPfSC_PS2_PT2_iSB_SB_, 594

	.type	__PRETTY_FUNCTION__._Z38paged_attention_ll4mi_QKV_mfma4_kernelIDF16_DF16_LN4vllm18Fp8KVCacheDataTypeE0EDF16_Li32ELi128ELi256ELb1ELi2EEvPKT_PKT0_S7_ifPKiS9_S9_iPKfiiiPfSC_PS2_PT2_iSB_SB_,@object ; @__PRETTY_FUNCTION__._Z38paged_attention_ll4mi_QKV_mfma4_kernelIDF16_DF16_LN4vllm18Fp8KVCacheDataTypeE0EDF16_Li32ELi128ELi256ELb1ELi2EEvPKT_PKT0_S7_ifPKiS9_S9_iPKfiiiPfSC_PS2_PT2_iSB_SB_
__PRETTY_FUNCTION__._Z38paged_attention_ll4mi_QKV_mfma4_kernelIDF16_DF16_LN4vllm18Fp8KVCacheDataTypeE0EDF16_Li32ELi128ELi256ELb1ELi2EEvPKT_PKT0_S7_ifPKiS9_S9_iPKfiiiPfSC_PS2_PT2_iSB_SB_:
	.asciz	"void paged_attention_ll4mi_QKV_mfma4_kernel(const scalar_t *__restrict, const cache_t *__restrict, const cache_t *__restrict, const int, const float, const int *__restrict, const int *__restrict, const int *__restrict, const int, const float *__restrict, const int, const int, const int, float *__restrict, float *__restrict, scalar_t *__restrict, OUTT *__restrict, int, const float *, const float *) [scalar_t = _Float16, cache_t = _Float16, KV_DTYPE = vllm::Fp8KVCacheDataType::kAuto, OUTT = _Float16, BLOCK_SIZE = 32, HEAD_SIZE = 128, NUM_THREADS = 256, ALIBI_ENABLED = true, GQA_RATIO = 2]"
	.size	__PRETTY_FUNCTION__._Z38paged_attention_ll4mi_QKV_mfma4_kernelIDF16_DF16_LN4vllm18Fp8KVCacheDataTypeE0EDF16_Li32ELi128ELi256ELb1ELi2EEvPKT_PKT0_S7_ifPKiS9_S9_iPKfiiiPfSC_PS2_PT2_iSB_SB_, 594

	.type	__PRETTY_FUNCTION__._Z38paged_attention_ll4mi_QKV_mfma4_kernelIDF16_DF16_LN4vllm18Fp8KVCacheDataTypeE0EDF16_Li32ELi128ELi256ELb1ELi3EEvPKT_PKT0_S7_ifPKiS9_S9_iPKfiiiPfSC_PS2_PT2_iSB_SB_,@object ; @__PRETTY_FUNCTION__._Z38paged_attention_ll4mi_QKV_mfma4_kernelIDF16_DF16_LN4vllm18Fp8KVCacheDataTypeE0EDF16_Li32ELi128ELi256ELb1ELi3EEvPKT_PKT0_S7_ifPKiS9_S9_iPKfiiiPfSC_PS2_PT2_iSB_SB_
__PRETTY_FUNCTION__._Z38paged_attention_ll4mi_QKV_mfma4_kernelIDF16_DF16_LN4vllm18Fp8KVCacheDataTypeE0EDF16_Li32ELi128ELi256ELb1ELi3EEvPKT_PKT0_S7_ifPKiS9_S9_iPKfiiiPfSC_PS2_PT2_iSB_SB_:
	.asciz	"void paged_attention_ll4mi_QKV_mfma4_kernel(const scalar_t *__restrict, const cache_t *__restrict, const cache_t *__restrict, const int, const float, const int *__restrict, const int *__restrict, const int *__restrict, const int, const float *__restrict, const int, const int, const int, float *__restrict, float *__restrict, scalar_t *__restrict, OUTT *__restrict, int, const float *, const float *) [scalar_t = _Float16, cache_t = _Float16, KV_DTYPE = vllm::Fp8KVCacheDataType::kAuto, OUTT = _Float16, BLOCK_SIZE = 32, HEAD_SIZE = 128, NUM_THREADS = 256, ALIBI_ENABLED = true, GQA_RATIO = 3]"
	.size	__PRETTY_FUNCTION__._Z38paged_attention_ll4mi_QKV_mfma4_kernelIDF16_DF16_LN4vllm18Fp8KVCacheDataTypeE0EDF16_Li32ELi128ELi256ELb1ELi3EEvPKT_PKT0_S7_ifPKiS9_S9_iPKfiiiPfSC_PS2_PT2_iSB_SB_, 594

	.type	__PRETTY_FUNCTION__._Z38paged_attention_ll4mi_QKV_mfma4_kernelIDF16_DF16_LN4vllm18Fp8KVCacheDataTypeE0EDF16_Li32ELi128ELi256ELb1ELi4EEvPKT_PKT0_S7_ifPKiS9_S9_iPKfiiiPfSC_PS2_PT2_iSB_SB_,@object ; @__PRETTY_FUNCTION__._Z38paged_attention_ll4mi_QKV_mfma4_kernelIDF16_DF16_LN4vllm18Fp8KVCacheDataTypeE0EDF16_Li32ELi128ELi256ELb1ELi4EEvPKT_PKT0_S7_ifPKiS9_S9_iPKfiiiPfSC_PS2_PT2_iSB_SB_
__PRETTY_FUNCTION__._Z38paged_attention_ll4mi_QKV_mfma4_kernelIDF16_DF16_LN4vllm18Fp8KVCacheDataTypeE0EDF16_Li32ELi128ELi256ELb1ELi4EEvPKT_PKT0_S7_ifPKiS9_S9_iPKfiiiPfSC_PS2_PT2_iSB_SB_:
	.asciz	"void paged_attention_ll4mi_QKV_mfma4_kernel(const scalar_t *__restrict, const cache_t *__restrict, const cache_t *__restrict, const int, const float, const int *__restrict, const int *__restrict, const int *__restrict, const int, const float *__restrict, const int, const int, const int, float *__restrict, float *__restrict, scalar_t *__restrict, OUTT *__restrict, int, const float *, const float *) [scalar_t = _Float16, cache_t = _Float16, KV_DTYPE = vllm::Fp8KVCacheDataType::kAuto, OUTT = _Float16, BLOCK_SIZE = 32, HEAD_SIZE = 128, NUM_THREADS = 256, ALIBI_ENABLED = true, GQA_RATIO = 4]"
	.size	__PRETTY_FUNCTION__._Z38paged_attention_ll4mi_QKV_mfma4_kernelIDF16_DF16_LN4vllm18Fp8KVCacheDataTypeE0EDF16_Li32ELi128ELi256ELb1ELi4EEvPKT_PKT0_S7_ifPKiS9_S9_iPKfiiiPfSC_PS2_PT2_iSB_SB_, 594

	.type	__PRETTY_FUNCTION__._Z38paged_attention_ll4mi_QKV_mfma4_kernelIDF16_DF16_LN4vllm18Fp8KVCacheDataTypeE0EDF16_Li32ELi128ELi256ELb0ELi1EEvPKT_PKT0_S7_ifPKiS9_S9_iPKfiiiPfSC_PS2_PT2_iSB_SB_,@object ; @__PRETTY_FUNCTION__._Z38paged_attention_ll4mi_QKV_mfma4_kernelIDF16_DF16_LN4vllm18Fp8KVCacheDataTypeE0EDF16_Li32ELi128ELi256ELb0ELi1EEvPKT_PKT0_S7_ifPKiS9_S9_iPKfiiiPfSC_PS2_PT2_iSB_SB_
__PRETTY_FUNCTION__._Z38paged_attention_ll4mi_QKV_mfma4_kernelIDF16_DF16_LN4vllm18Fp8KVCacheDataTypeE0EDF16_Li32ELi128ELi256ELb0ELi1EEvPKT_PKT0_S7_ifPKiS9_S9_iPKfiiiPfSC_PS2_PT2_iSB_SB_:
	.asciz	"void paged_attention_ll4mi_QKV_mfma4_kernel(const scalar_t *__restrict, const cache_t *__restrict, const cache_t *__restrict, const int, const float, const int *__restrict, const int *__restrict, const int *__restrict, const int, const float *__restrict, const int, const int, const int, float *__restrict, float *__restrict, scalar_t *__restrict, OUTT *__restrict, int, const float *, const float *) [scalar_t = _Float16, cache_t = _Float16, KV_DTYPE = vllm::Fp8KVCacheDataType::kAuto, OUTT = _Float16, BLOCK_SIZE = 32, HEAD_SIZE = 128, NUM_THREADS = 256, ALIBI_ENABLED = false, GQA_RATIO = 1]"
	.size	__PRETTY_FUNCTION__._Z38paged_attention_ll4mi_QKV_mfma4_kernelIDF16_DF16_LN4vllm18Fp8KVCacheDataTypeE0EDF16_Li32ELi128ELi256ELb0ELi1EEvPKT_PKT0_S7_ifPKiS9_S9_iPKfiiiPfSC_PS2_PT2_iSB_SB_, 595

	.type	__PRETTY_FUNCTION__._Z38paged_attention_ll4mi_QKV_mfma4_kernelIDF16_DF16_LN4vllm18Fp8KVCacheDataTypeE0EDF16_Li32ELi128ELi256ELb0ELi2EEvPKT_PKT0_S7_ifPKiS9_S9_iPKfiiiPfSC_PS2_PT2_iSB_SB_,@object ; @__PRETTY_FUNCTION__._Z38paged_attention_ll4mi_QKV_mfma4_kernelIDF16_DF16_LN4vllm18Fp8KVCacheDataTypeE0EDF16_Li32ELi128ELi256ELb0ELi2EEvPKT_PKT0_S7_ifPKiS9_S9_iPKfiiiPfSC_PS2_PT2_iSB_SB_
__PRETTY_FUNCTION__._Z38paged_attention_ll4mi_QKV_mfma4_kernelIDF16_DF16_LN4vllm18Fp8KVCacheDataTypeE0EDF16_Li32ELi128ELi256ELb0ELi2EEvPKT_PKT0_S7_ifPKiS9_S9_iPKfiiiPfSC_PS2_PT2_iSB_SB_:
	.asciz	"void paged_attention_ll4mi_QKV_mfma4_kernel(const scalar_t *__restrict, const cache_t *__restrict, const cache_t *__restrict, const int, const float, const int *__restrict, const int *__restrict, const int *__restrict, const int, const float *__restrict, const int, const int, const int, float *__restrict, float *__restrict, scalar_t *__restrict, OUTT *__restrict, int, const float *, const float *) [scalar_t = _Float16, cache_t = _Float16, KV_DTYPE = vllm::Fp8KVCacheDataType::kAuto, OUTT = _Float16, BLOCK_SIZE = 32, HEAD_SIZE = 128, NUM_THREADS = 256, ALIBI_ENABLED = false, GQA_RATIO = 2]"
	.size	__PRETTY_FUNCTION__._Z38paged_attention_ll4mi_QKV_mfma4_kernelIDF16_DF16_LN4vllm18Fp8KVCacheDataTypeE0EDF16_Li32ELi128ELi256ELb0ELi2EEvPKT_PKT0_S7_ifPKiS9_S9_iPKfiiiPfSC_PS2_PT2_iSB_SB_, 595

	.type	__PRETTY_FUNCTION__._Z38paged_attention_ll4mi_QKV_mfma4_kernelIDF16_DF16_LN4vllm18Fp8KVCacheDataTypeE0EDF16_Li32ELi128ELi256ELb0ELi3EEvPKT_PKT0_S7_ifPKiS9_S9_iPKfiiiPfSC_PS2_PT2_iSB_SB_,@object ; @__PRETTY_FUNCTION__._Z38paged_attention_ll4mi_QKV_mfma4_kernelIDF16_DF16_LN4vllm18Fp8KVCacheDataTypeE0EDF16_Li32ELi128ELi256ELb0ELi3EEvPKT_PKT0_S7_ifPKiS9_S9_iPKfiiiPfSC_PS2_PT2_iSB_SB_
__PRETTY_FUNCTION__._Z38paged_attention_ll4mi_QKV_mfma4_kernelIDF16_DF16_LN4vllm18Fp8KVCacheDataTypeE0EDF16_Li32ELi128ELi256ELb0ELi3EEvPKT_PKT0_S7_ifPKiS9_S9_iPKfiiiPfSC_PS2_PT2_iSB_SB_:
	.asciz	"void paged_attention_ll4mi_QKV_mfma4_kernel(const scalar_t *__restrict, const cache_t *__restrict, const cache_t *__restrict, const int, const float, const int *__restrict, const int *__restrict, const int *__restrict, const int, const float *__restrict, const int, const int, const int, float *__restrict, float *__restrict, scalar_t *__restrict, OUTT *__restrict, int, const float *, const float *) [scalar_t = _Float16, cache_t = _Float16, KV_DTYPE = vllm::Fp8KVCacheDataType::kAuto, OUTT = _Float16, BLOCK_SIZE = 32, HEAD_SIZE = 128, NUM_THREADS = 256, ALIBI_ENABLED = false, GQA_RATIO = 3]"
	.size	__PRETTY_FUNCTION__._Z38paged_attention_ll4mi_QKV_mfma4_kernelIDF16_DF16_LN4vllm18Fp8KVCacheDataTypeE0EDF16_Li32ELi128ELi256ELb0ELi3EEvPKT_PKT0_S7_ifPKiS9_S9_iPKfiiiPfSC_PS2_PT2_iSB_SB_, 595

	.type	__PRETTY_FUNCTION__._Z38paged_attention_ll4mi_QKV_mfma4_kernelIDF16_DF16_LN4vllm18Fp8KVCacheDataTypeE0EDF16_Li32ELi128ELi256ELb0ELi4EEvPKT_PKT0_S7_ifPKiS9_S9_iPKfiiiPfSC_PS2_PT2_iSB_SB_,@object ; @__PRETTY_FUNCTION__._Z38paged_attention_ll4mi_QKV_mfma4_kernelIDF16_DF16_LN4vllm18Fp8KVCacheDataTypeE0EDF16_Li32ELi128ELi256ELb0ELi4EEvPKT_PKT0_S7_ifPKiS9_S9_iPKfiiiPfSC_PS2_PT2_iSB_SB_
__PRETTY_FUNCTION__._Z38paged_attention_ll4mi_QKV_mfma4_kernelIDF16_DF16_LN4vllm18Fp8KVCacheDataTypeE0EDF16_Li32ELi128ELi256ELb0ELi4EEvPKT_PKT0_S7_ifPKiS9_S9_iPKfiiiPfSC_PS2_PT2_iSB_SB_:
	.asciz	"void paged_attention_ll4mi_QKV_mfma4_kernel(const scalar_t *__restrict, const cache_t *__restrict, const cache_t *__restrict, const int, const float, const int *__restrict, const int *__restrict, const int *__restrict, const int, const float *__restrict, const int, const int, const int, float *__restrict, float *__restrict, scalar_t *__restrict, OUTT *__restrict, int, const float *, const float *) [scalar_t = _Float16, cache_t = _Float16, KV_DTYPE = vllm::Fp8KVCacheDataType::kAuto, OUTT = _Float16, BLOCK_SIZE = 32, HEAD_SIZE = 128, NUM_THREADS = 256, ALIBI_ENABLED = false, GQA_RATIO = 4]"
	.size	__PRETTY_FUNCTION__._Z38paged_attention_ll4mi_QKV_mfma4_kernelIDF16_DF16_LN4vllm18Fp8KVCacheDataTypeE0EDF16_Li32ELi128ELi256ELb0ELi4EEvPKT_PKT0_S7_ifPKiS9_S9_iPKfiiiPfSC_PS2_PT2_iSB_SB_, 595

	.type	__PRETTY_FUNCTION__._Z38paged_attention_ll4mi_QKV_mfma4_kernelI14__hip_bfloat16S0_LN4vllm18Fp8KVCacheDataTypeE0EhLi16ELi64ELi256ELb1ELi1EEvPKT_PKT0_S8_ifPKiSA_SA_iPKfiiiPfSD_PS3_PT2_iSC_SC_,@object ; @__PRETTY_FUNCTION__._Z38paged_attention_ll4mi_QKV_mfma4_kernelI14__hip_bfloat16S0_LN4vllm18Fp8KVCacheDataTypeE0EhLi16ELi64ELi256ELb1ELi1EEvPKT_PKT0_S8_ifPKiSA_SA_iPKfiiiPfSD_PS3_PT2_iSC_SC_
__PRETTY_FUNCTION__._Z38paged_attention_ll4mi_QKV_mfma4_kernelI14__hip_bfloat16S0_LN4vllm18Fp8KVCacheDataTypeE0EhLi16ELi64ELi256ELb1ELi1EEvPKT_PKT0_S8_ifPKiSA_SA_iPKfiiiPfSD_PS3_PT2_iSC_SC_:
	.asciz	"void paged_attention_ll4mi_QKV_mfma4_kernel(const scalar_t *__restrict, const cache_t *__restrict, const cache_t *__restrict, const int, const float, const int *__restrict, const int *__restrict, const int *__restrict, const int, const float *__restrict, const int, const int, const int, float *__restrict, float *__restrict, scalar_t *__restrict, OUTT *__restrict, int, const float *, const float *) [scalar_t = __hip_bfloat16, cache_t = __hip_bfloat16, KV_DTYPE = vllm::Fp8KVCacheDataType::kAuto, OUTT = unsigned char, BLOCK_SIZE = 16, HEAD_SIZE = 64, NUM_THREADS = 256, ALIBI_ENABLED = true, GQA_RATIO = 1]"
	.size	__PRETTY_FUNCTION__._Z38paged_attention_ll4mi_QKV_mfma4_kernelI14__hip_bfloat16S0_LN4vllm18Fp8KVCacheDataTypeE0EhLi16ELi64ELi256ELb1ELi1EEvPKT_PKT0_S8_ifPKiSA_SA_iPKfiiiPfSD_PS3_PT2_iSC_SC_, 610

	.type	__PRETTY_FUNCTION__._Z38paged_attention_ll4mi_QKV_mfma4_kernelI14__hip_bfloat16S0_LN4vllm18Fp8KVCacheDataTypeE0EhLi16ELi64ELi256ELb1ELi2EEvPKT_PKT0_S8_ifPKiSA_SA_iPKfiiiPfSD_PS3_PT2_iSC_SC_,@object ; @__PRETTY_FUNCTION__._Z38paged_attention_ll4mi_QKV_mfma4_kernelI14__hip_bfloat16S0_LN4vllm18Fp8KVCacheDataTypeE0EhLi16ELi64ELi256ELb1ELi2EEvPKT_PKT0_S8_ifPKiSA_SA_iPKfiiiPfSD_PS3_PT2_iSC_SC_
__PRETTY_FUNCTION__._Z38paged_attention_ll4mi_QKV_mfma4_kernelI14__hip_bfloat16S0_LN4vllm18Fp8KVCacheDataTypeE0EhLi16ELi64ELi256ELb1ELi2EEvPKT_PKT0_S8_ifPKiSA_SA_iPKfiiiPfSD_PS3_PT2_iSC_SC_:
	.asciz	"void paged_attention_ll4mi_QKV_mfma4_kernel(const scalar_t *__restrict, const cache_t *__restrict, const cache_t *__restrict, const int, const float, const int *__restrict, const int *__restrict, const int *__restrict, const int, const float *__restrict, const int, const int, const int, float *__restrict, float *__restrict, scalar_t *__restrict, OUTT *__restrict, int, const float *, const float *) [scalar_t = __hip_bfloat16, cache_t = __hip_bfloat16, KV_DTYPE = vllm::Fp8KVCacheDataType::kAuto, OUTT = unsigned char, BLOCK_SIZE = 16, HEAD_SIZE = 64, NUM_THREADS = 256, ALIBI_ENABLED = true, GQA_RATIO = 2]"
	.size	__PRETTY_FUNCTION__._Z38paged_attention_ll4mi_QKV_mfma4_kernelI14__hip_bfloat16S0_LN4vllm18Fp8KVCacheDataTypeE0EhLi16ELi64ELi256ELb1ELi2EEvPKT_PKT0_S8_ifPKiSA_SA_iPKfiiiPfSD_PS3_PT2_iSC_SC_, 610

	.type	__PRETTY_FUNCTION__._Z38paged_attention_ll4mi_QKV_mfma4_kernelI14__hip_bfloat16S0_LN4vllm18Fp8KVCacheDataTypeE0EhLi16ELi64ELi256ELb1ELi3EEvPKT_PKT0_S8_ifPKiSA_SA_iPKfiiiPfSD_PS3_PT2_iSC_SC_,@object ; @__PRETTY_FUNCTION__._Z38paged_attention_ll4mi_QKV_mfma4_kernelI14__hip_bfloat16S0_LN4vllm18Fp8KVCacheDataTypeE0EhLi16ELi64ELi256ELb1ELi3EEvPKT_PKT0_S8_ifPKiSA_SA_iPKfiiiPfSD_PS3_PT2_iSC_SC_
__PRETTY_FUNCTION__._Z38paged_attention_ll4mi_QKV_mfma4_kernelI14__hip_bfloat16S0_LN4vllm18Fp8KVCacheDataTypeE0EhLi16ELi64ELi256ELb1ELi3EEvPKT_PKT0_S8_ifPKiSA_SA_iPKfiiiPfSD_PS3_PT2_iSC_SC_:
	.asciz	"void paged_attention_ll4mi_QKV_mfma4_kernel(const scalar_t *__restrict, const cache_t *__restrict, const cache_t *__restrict, const int, const float, const int *__restrict, const int *__restrict, const int *__restrict, const int, const float *__restrict, const int, const int, const int, float *__restrict, float *__restrict, scalar_t *__restrict, OUTT *__restrict, int, const float *, const float *) [scalar_t = __hip_bfloat16, cache_t = __hip_bfloat16, KV_DTYPE = vllm::Fp8KVCacheDataType::kAuto, OUTT = unsigned char, BLOCK_SIZE = 16, HEAD_SIZE = 64, NUM_THREADS = 256, ALIBI_ENABLED = true, GQA_RATIO = 3]"
	.size	__PRETTY_FUNCTION__._Z38paged_attention_ll4mi_QKV_mfma4_kernelI14__hip_bfloat16S0_LN4vllm18Fp8KVCacheDataTypeE0EhLi16ELi64ELi256ELb1ELi3EEvPKT_PKT0_S8_ifPKiSA_SA_iPKfiiiPfSD_PS3_PT2_iSC_SC_, 610

	.type	__PRETTY_FUNCTION__._Z38paged_attention_ll4mi_QKV_mfma4_kernelI14__hip_bfloat16S0_LN4vllm18Fp8KVCacheDataTypeE0EhLi16ELi64ELi256ELb1ELi4EEvPKT_PKT0_S8_ifPKiSA_SA_iPKfiiiPfSD_PS3_PT2_iSC_SC_,@object ; @__PRETTY_FUNCTION__._Z38paged_attention_ll4mi_QKV_mfma4_kernelI14__hip_bfloat16S0_LN4vllm18Fp8KVCacheDataTypeE0EhLi16ELi64ELi256ELb1ELi4EEvPKT_PKT0_S8_ifPKiSA_SA_iPKfiiiPfSD_PS3_PT2_iSC_SC_
__PRETTY_FUNCTION__._Z38paged_attention_ll4mi_QKV_mfma4_kernelI14__hip_bfloat16S0_LN4vllm18Fp8KVCacheDataTypeE0EhLi16ELi64ELi256ELb1ELi4EEvPKT_PKT0_S8_ifPKiSA_SA_iPKfiiiPfSD_PS3_PT2_iSC_SC_:
	.asciz	"void paged_attention_ll4mi_QKV_mfma4_kernel(const scalar_t *__restrict, const cache_t *__restrict, const cache_t *__restrict, const int, const float, const int *__restrict, const int *__restrict, const int *__restrict, const int, const float *__restrict, const int, const int, const int, float *__restrict, float *__restrict, scalar_t *__restrict, OUTT *__restrict, int, const float *, const float *) [scalar_t = __hip_bfloat16, cache_t = __hip_bfloat16, KV_DTYPE = vllm::Fp8KVCacheDataType::kAuto, OUTT = unsigned char, BLOCK_SIZE = 16, HEAD_SIZE = 64, NUM_THREADS = 256, ALIBI_ENABLED = true, GQA_RATIO = 4]"
	.size	__PRETTY_FUNCTION__._Z38paged_attention_ll4mi_QKV_mfma4_kernelI14__hip_bfloat16S0_LN4vllm18Fp8KVCacheDataTypeE0EhLi16ELi64ELi256ELb1ELi4EEvPKT_PKT0_S8_ifPKiSA_SA_iPKfiiiPfSD_PS3_PT2_iSC_SC_, 610

	.type	__PRETTY_FUNCTION__._Z38paged_attention_ll4mi_QKV_mfma4_kernelI14__hip_bfloat16S0_LN4vllm18Fp8KVCacheDataTypeE0EhLi16ELi64ELi256ELb0ELi1EEvPKT_PKT0_S8_ifPKiSA_SA_iPKfiiiPfSD_PS3_PT2_iSC_SC_,@object ; @__PRETTY_FUNCTION__._Z38paged_attention_ll4mi_QKV_mfma4_kernelI14__hip_bfloat16S0_LN4vllm18Fp8KVCacheDataTypeE0EhLi16ELi64ELi256ELb0ELi1EEvPKT_PKT0_S8_ifPKiSA_SA_iPKfiiiPfSD_PS3_PT2_iSC_SC_
__PRETTY_FUNCTION__._Z38paged_attention_ll4mi_QKV_mfma4_kernelI14__hip_bfloat16S0_LN4vllm18Fp8KVCacheDataTypeE0EhLi16ELi64ELi256ELb0ELi1EEvPKT_PKT0_S8_ifPKiSA_SA_iPKfiiiPfSD_PS3_PT2_iSC_SC_:
	.asciz	"void paged_attention_ll4mi_QKV_mfma4_kernel(const scalar_t *__restrict, const cache_t *__restrict, const cache_t *__restrict, const int, const float, const int *__restrict, const int *__restrict, const int *__restrict, const int, const float *__restrict, const int, const int, const int, float *__restrict, float *__restrict, scalar_t *__restrict, OUTT *__restrict, int, const float *, const float *) [scalar_t = __hip_bfloat16, cache_t = __hip_bfloat16, KV_DTYPE = vllm::Fp8KVCacheDataType::kAuto, OUTT = unsigned char, BLOCK_SIZE = 16, HEAD_SIZE = 64, NUM_THREADS = 256, ALIBI_ENABLED = false, GQA_RATIO = 1]"
	.size	__PRETTY_FUNCTION__._Z38paged_attention_ll4mi_QKV_mfma4_kernelI14__hip_bfloat16S0_LN4vllm18Fp8KVCacheDataTypeE0EhLi16ELi64ELi256ELb0ELi1EEvPKT_PKT0_S8_ifPKiSA_SA_iPKfiiiPfSD_PS3_PT2_iSC_SC_, 611

	.type	__PRETTY_FUNCTION__._Z38paged_attention_ll4mi_QKV_mfma4_kernelI14__hip_bfloat16S0_LN4vllm18Fp8KVCacheDataTypeE0EhLi16ELi64ELi256ELb0ELi2EEvPKT_PKT0_S8_ifPKiSA_SA_iPKfiiiPfSD_PS3_PT2_iSC_SC_,@object ; @__PRETTY_FUNCTION__._Z38paged_attention_ll4mi_QKV_mfma4_kernelI14__hip_bfloat16S0_LN4vllm18Fp8KVCacheDataTypeE0EhLi16ELi64ELi256ELb0ELi2EEvPKT_PKT0_S8_ifPKiSA_SA_iPKfiiiPfSD_PS3_PT2_iSC_SC_
__PRETTY_FUNCTION__._Z38paged_attention_ll4mi_QKV_mfma4_kernelI14__hip_bfloat16S0_LN4vllm18Fp8KVCacheDataTypeE0EhLi16ELi64ELi256ELb0ELi2EEvPKT_PKT0_S8_ifPKiSA_SA_iPKfiiiPfSD_PS3_PT2_iSC_SC_:
	.asciz	"void paged_attention_ll4mi_QKV_mfma4_kernel(const scalar_t *__restrict, const cache_t *__restrict, const cache_t *__restrict, const int, const float, const int *__restrict, const int *__restrict, const int *__restrict, const int, const float *__restrict, const int, const int, const int, float *__restrict, float *__restrict, scalar_t *__restrict, OUTT *__restrict, int, const float *, const float *) [scalar_t = __hip_bfloat16, cache_t = __hip_bfloat16, KV_DTYPE = vllm::Fp8KVCacheDataType::kAuto, OUTT = unsigned char, BLOCK_SIZE = 16, HEAD_SIZE = 64, NUM_THREADS = 256, ALIBI_ENABLED = false, GQA_RATIO = 2]"
	.size	__PRETTY_FUNCTION__._Z38paged_attention_ll4mi_QKV_mfma4_kernelI14__hip_bfloat16S0_LN4vllm18Fp8KVCacheDataTypeE0EhLi16ELi64ELi256ELb0ELi2EEvPKT_PKT0_S8_ifPKiSA_SA_iPKfiiiPfSD_PS3_PT2_iSC_SC_, 611

	.type	__PRETTY_FUNCTION__._Z38paged_attention_ll4mi_QKV_mfma4_kernelI14__hip_bfloat16S0_LN4vllm18Fp8KVCacheDataTypeE0EhLi16ELi64ELi256ELb0ELi3EEvPKT_PKT0_S8_ifPKiSA_SA_iPKfiiiPfSD_PS3_PT2_iSC_SC_,@object ; @__PRETTY_FUNCTION__._Z38paged_attention_ll4mi_QKV_mfma4_kernelI14__hip_bfloat16S0_LN4vllm18Fp8KVCacheDataTypeE0EhLi16ELi64ELi256ELb0ELi3EEvPKT_PKT0_S8_ifPKiSA_SA_iPKfiiiPfSD_PS3_PT2_iSC_SC_
__PRETTY_FUNCTION__._Z38paged_attention_ll4mi_QKV_mfma4_kernelI14__hip_bfloat16S0_LN4vllm18Fp8KVCacheDataTypeE0EhLi16ELi64ELi256ELb0ELi3EEvPKT_PKT0_S8_ifPKiSA_SA_iPKfiiiPfSD_PS3_PT2_iSC_SC_:
	.asciz	"void paged_attention_ll4mi_QKV_mfma4_kernel(const scalar_t *__restrict, const cache_t *__restrict, const cache_t *__restrict, const int, const float, const int *__restrict, const int *__restrict, const int *__restrict, const int, const float *__restrict, const int, const int, const int, float *__restrict, float *__restrict, scalar_t *__restrict, OUTT *__restrict, int, const float *, const float *) [scalar_t = __hip_bfloat16, cache_t = __hip_bfloat16, KV_DTYPE = vllm::Fp8KVCacheDataType::kAuto, OUTT = unsigned char, BLOCK_SIZE = 16, HEAD_SIZE = 64, NUM_THREADS = 256, ALIBI_ENABLED = false, GQA_RATIO = 3]"
	.size	__PRETTY_FUNCTION__._Z38paged_attention_ll4mi_QKV_mfma4_kernelI14__hip_bfloat16S0_LN4vllm18Fp8KVCacheDataTypeE0EhLi16ELi64ELi256ELb0ELi3EEvPKT_PKT0_S8_ifPKiSA_SA_iPKfiiiPfSD_PS3_PT2_iSC_SC_, 611

	.type	__PRETTY_FUNCTION__._Z38paged_attention_ll4mi_QKV_mfma4_kernelI14__hip_bfloat16S0_LN4vllm18Fp8KVCacheDataTypeE0EhLi16ELi64ELi256ELb0ELi4EEvPKT_PKT0_S8_ifPKiSA_SA_iPKfiiiPfSD_PS3_PT2_iSC_SC_,@object ; @__PRETTY_FUNCTION__._Z38paged_attention_ll4mi_QKV_mfma4_kernelI14__hip_bfloat16S0_LN4vllm18Fp8KVCacheDataTypeE0EhLi16ELi64ELi256ELb0ELi4EEvPKT_PKT0_S8_ifPKiSA_SA_iPKfiiiPfSD_PS3_PT2_iSC_SC_
__PRETTY_FUNCTION__._Z38paged_attention_ll4mi_QKV_mfma4_kernelI14__hip_bfloat16S0_LN4vllm18Fp8KVCacheDataTypeE0EhLi16ELi64ELi256ELb0ELi4EEvPKT_PKT0_S8_ifPKiSA_SA_iPKfiiiPfSD_PS3_PT2_iSC_SC_:
	.asciz	"void paged_attention_ll4mi_QKV_mfma4_kernel(const scalar_t *__restrict, const cache_t *__restrict, const cache_t *__restrict, const int, const float, const int *__restrict, const int *__restrict, const int *__restrict, const int, const float *__restrict, const int, const int, const int, float *__restrict, float *__restrict, scalar_t *__restrict, OUTT *__restrict, int, const float *, const float *) [scalar_t = __hip_bfloat16, cache_t = __hip_bfloat16, KV_DTYPE = vllm::Fp8KVCacheDataType::kAuto, OUTT = unsigned char, BLOCK_SIZE = 16, HEAD_SIZE = 64, NUM_THREADS = 256, ALIBI_ENABLED = false, GQA_RATIO = 4]"
	.size	__PRETTY_FUNCTION__._Z38paged_attention_ll4mi_QKV_mfma4_kernelI14__hip_bfloat16S0_LN4vllm18Fp8KVCacheDataTypeE0EhLi16ELi64ELi256ELb0ELi4EEvPKT_PKT0_S8_ifPKiSA_SA_iPKfiiiPfSD_PS3_PT2_iSC_SC_, 611

	.type	__PRETTY_FUNCTION__._Z38paged_attention_ll4mi_QKV_mfma4_kernelI14__hip_bfloat16S0_LN4vllm18Fp8KVCacheDataTypeE0ES0_Li16ELi64ELi256ELb1ELi1EEvPKT_PKT0_S8_ifPKiSA_SA_iPKfiiiPfSD_PS3_PT2_iSC_SC_,@object ; @__PRETTY_FUNCTION__._Z38paged_attention_ll4mi_QKV_mfma4_kernelI14__hip_bfloat16S0_LN4vllm18Fp8KVCacheDataTypeE0ES0_Li16ELi64ELi256ELb1ELi1EEvPKT_PKT0_S8_ifPKiSA_SA_iPKfiiiPfSD_PS3_PT2_iSC_SC_
__PRETTY_FUNCTION__._Z38paged_attention_ll4mi_QKV_mfma4_kernelI14__hip_bfloat16S0_LN4vllm18Fp8KVCacheDataTypeE0ES0_Li16ELi64ELi256ELb1ELi1EEvPKT_PKT0_S8_ifPKiSA_SA_iPKfiiiPfSD_PS3_PT2_iSC_SC_:
	.asciz	"void paged_attention_ll4mi_QKV_mfma4_kernel(const scalar_t *__restrict, const cache_t *__restrict, const cache_t *__restrict, const int, const float, const int *__restrict, const int *__restrict, const int *__restrict, const int, const float *__restrict, const int, const int, const int, float *__restrict, float *__restrict, scalar_t *__restrict, OUTT *__restrict, int, const float *, const float *) [scalar_t = __hip_bfloat16, cache_t = __hip_bfloat16, KV_DTYPE = vllm::Fp8KVCacheDataType::kAuto, OUTT = __hip_bfloat16, BLOCK_SIZE = 16, HEAD_SIZE = 64, NUM_THREADS = 256, ALIBI_ENABLED = true, GQA_RATIO = 1]"
	.size	__PRETTY_FUNCTION__._Z38paged_attention_ll4mi_QKV_mfma4_kernelI14__hip_bfloat16S0_LN4vllm18Fp8KVCacheDataTypeE0ES0_Li16ELi64ELi256ELb1ELi1EEvPKT_PKT0_S8_ifPKiSA_SA_iPKfiiiPfSD_PS3_PT2_iSC_SC_, 611

	.type	__PRETTY_FUNCTION__._Z38paged_attention_ll4mi_QKV_mfma4_kernelI14__hip_bfloat16S0_LN4vllm18Fp8KVCacheDataTypeE0ES0_Li16ELi64ELi256ELb1ELi2EEvPKT_PKT0_S8_ifPKiSA_SA_iPKfiiiPfSD_PS3_PT2_iSC_SC_,@object ; @__PRETTY_FUNCTION__._Z38paged_attention_ll4mi_QKV_mfma4_kernelI14__hip_bfloat16S0_LN4vllm18Fp8KVCacheDataTypeE0ES0_Li16ELi64ELi256ELb1ELi2EEvPKT_PKT0_S8_ifPKiSA_SA_iPKfiiiPfSD_PS3_PT2_iSC_SC_
__PRETTY_FUNCTION__._Z38paged_attention_ll4mi_QKV_mfma4_kernelI14__hip_bfloat16S0_LN4vllm18Fp8KVCacheDataTypeE0ES0_Li16ELi64ELi256ELb1ELi2EEvPKT_PKT0_S8_ifPKiSA_SA_iPKfiiiPfSD_PS3_PT2_iSC_SC_:
	.asciz	"void paged_attention_ll4mi_QKV_mfma4_kernel(const scalar_t *__restrict, const cache_t *__restrict, const cache_t *__restrict, const int, const float, const int *__restrict, const int *__restrict, const int *__restrict, const int, const float *__restrict, const int, const int, const int, float *__restrict, float *__restrict, scalar_t *__restrict, OUTT *__restrict, int, const float *, const float *) [scalar_t = __hip_bfloat16, cache_t = __hip_bfloat16, KV_DTYPE = vllm::Fp8KVCacheDataType::kAuto, OUTT = __hip_bfloat16, BLOCK_SIZE = 16, HEAD_SIZE = 64, NUM_THREADS = 256, ALIBI_ENABLED = true, GQA_RATIO = 2]"
	.size	__PRETTY_FUNCTION__._Z38paged_attention_ll4mi_QKV_mfma4_kernelI14__hip_bfloat16S0_LN4vllm18Fp8KVCacheDataTypeE0ES0_Li16ELi64ELi256ELb1ELi2EEvPKT_PKT0_S8_ifPKiSA_SA_iPKfiiiPfSD_PS3_PT2_iSC_SC_, 611

	.type	__PRETTY_FUNCTION__._Z38paged_attention_ll4mi_QKV_mfma4_kernelI14__hip_bfloat16S0_LN4vllm18Fp8KVCacheDataTypeE0ES0_Li16ELi64ELi256ELb1ELi3EEvPKT_PKT0_S8_ifPKiSA_SA_iPKfiiiPfSD_PS3_PT2_iSC_SC_,@object ; @__PRETTY_FUNCTION__._Z38paged_attention_ll4mi_QKV_mfma4_kernelI14__hip_bfloat16S0_LN4vllm18Fp8KVCacheDataTypeE0ES0_Li16ELi64ELi256ELb1ELi3EEvPKT_PKT0_S8_ifPKiSA_SA_iPKfiiiPfSD_PS3_PT2_iSC_SC_
__PRETTY_FUNCTION__._Z38paged_attention_ll4mi_QKV_mfma4_kernelI14__hip_bfloat16S0_LN4vllm18Fp8KVCacheDataTypeE0ES0_Li16ELi64ELi256ELb1ELi3EEvPKT_PKT0_S8_ifPKiSA_SA_iPKfiiiPfSD_PS3_PT2_iSC_SC_:
	.asciz	"void paged_attention_ll4mi_QKV_mfma4_kernel(const scalar_t *__restrict, const cache_t *__restrict, const cache_t *__restrict, const int, const float, const int *__restrict, const int *__restrict, const int *__restrict, const int, const float *__restrict, const int, const int, const int, float *__restrict, float *__restrict, scalar_t *__restrict, OUTT *__restrict, int, const float *, const float *) [scalar_t = __hip_bfloat16, cache_t = __hip_bfloat16, KV_DTYPE = vllm::Fp8KVCacheDataType::kAuto, OUTT = __hip_bfloat16, BLOCK_SIZE = 16, HEAD_SIZE = 64, NUM_THREADS = 256, ALIBI_ENABLED = true, GQA_RATIO = 3]"
	.size	__PRETTY_FUNCTION__._Z38paged_attention_ll4mi_QKV_mfma4_kernelI14__hip_bfloat16S0_LN4vllm18Fp8KVCacheDataTypeE0ES0_Li16ELi64ELi256ELb1ELi3EEvPKT_PKT0_S8_ifPKiSA_SA_iPKfiiiPfSD_PS3_PT2_iSC_SC_, 611

	.type	__PRETTY_FUNCTION__._Z38paged_attention_ll4mi_QKV_mfma4_kernelI14__hip_bfloat16S0_LN4vllm18Fp8KVCacheDataTypeE0ES0_Li16ELi64ELi256ELb1ELi4EEvPKT_PKT0_S8_ifPKiSA_SA_iPKfiiiPfSD_PS3_PT2_iSC_SC_,@object ; @__PRETTY_FUNCTION__._Z38paged_attention_ll4mi_QKV_mfma4_kernelI14__hip_bfloat16S0_LN4vllm18Fp8KVCacheDataTypeE0ES0_Li16ELi64ELi256ELb1ELi4EEvPKT_PKT0_S8_ifPKiSA_SA_iPKfiiiPfSD_PS3_PT2_iSC_SC_
__PRETTY_FUNCTION__._Z38paged_attention_ll4mi_QKV_mfma4_kernelI14__hip_bfloat16S0_LN4vllm18Fp8KVCacheDataTypeE0ES0_Li16ELi64ELi256ELb1ELi4EEvPKT_PKT0_S8_ifPKiSA_SA_iPKfiiiPfSD_PS3_PT2_iSC_SC_:
	.asciz	"void paged_attention_ll4mi_QKV_mfma4_kernel(const scalar_t *__restrict, const cache_t *__restrict, const cache_t *__restrict, const int, const float, const int *__restrict, const int *__restrict, const int *__restrict, const int, const float *__restrict, const int, const int, const int, float *__restrict, float *__restrict, scalar_t *__restrict, OUTT *__restrict, int, const float *, const float *) [scalar_t = __hip_bfloat16, cache_t = __hip_bfloat16, KV_DTYPE = vllm::Fp8KVCacheDataType::kAuto, OUTT = __hip_bfloat16, BLOCK_SIZE = 16, HEAD_SIZE = 64, NUM_THREADS = 256, ALIBI_ENABLED = true, GQA_RATIO = 4]"
	.size	__PRETTY_FUNCTION__._Z38paged_attention_ll4mi_QKV_mfma4_kernelI14__hip_bfloat16S0_LN4vllm18Fp8KVCacheDataTypeE0ES0_Li16ELi64ELi256ELb1ELi4EEvPKT_PKT0_S8_ifPKiSA_SA_iPKfiiiPfSD_PS3_PT2_iSC_SC_, 611

	.type	__PRETTY_FUNCTION__._Z38paged_attention_ll4mi_QKV_mfma4_kernelI14__hip_bfloat16S0_LN4vllm18Fp8KVCacheDataTypeE0ES0_Li16ELi64ELi256ELb0ELi1EEvPKT_PKT0_S8_ifPKiSA_SA_iPKfiiiPfSD_PS3_PT2_iSC_SC_,@object ; @__PRETTY_FUNCTION__._Z38paged_attention_ll4mi_QKV_mfma4_kernelI14__hip_bfloat16S0_LN4vllm18Fp8KVCacheDataTypeE0ES0_Li16ELi64ELi256ELb0ELi1EEvPKT_PKT0_S8_ifPKiSA_SA_iPKfiiiPfSD_PS3_PT2_iSC_SC_
__PRETTY_FUNCTION__._Z38paged_attention_ll4mi_QKV_mfma4_kernelI14__hip_bfloat16S0_LN4vllm18Fp8KVCacheDataTypeE0ES0_Li16ELi64ELi256ELb0ELi1EEvPKT_PKT0_S8_ifPKiSA_SA_iPKfiiiPfSD_PS3_PT2_iSC_SC_:
	.asciz	"void paged_attention_ll4mi_QKV_mfma4_kernel(const scalar_t *__restrict, const cache_t *__restrict, const cache_t *__restrict, const int, const float, const int *__restrict, const int *__restrict, const int *__restrict, const int, const float *__restrict, const int, const int, const int, float *__restrict, float *__restrict, scalar_t *__restrict, OUTT *__restrict, int, const float *, const float *) [scalar_t = __hip_bfloat16, cache_t = __hip_bfloat16, KV_DTYPE = vllm::Fp8KVCacheDataType::kAuto, OUTT = __hip_bfloat16, BLOCK_SIZE = 16, HEAD_SIZE = 64, NUM_THREADS = 256, ALIBI_ENABLED = false, GQA_RATIO = 1]"
	.size	__PRETTY_FUNCTION__._Z38paged_attention_ll4mi_QKV_mfma4_kernelI14__hip_bfloat16S0_LN4vllm18Fp8KVCacheDataTypeE0ES0_Li16ELi64ELi256ELb0ELi1EEvPKT_PKT0_S8_ifPKiSA_SA_iPKfiiiPfSD_PS3_PT2_iSC_SC_, 612

	.type	__PRETTY_FUNCTION__._Z38paged_attention_ll4mi_QKV_mfma4_kernelI14__hip_bfloat16S0_LN4vllm18Fp8KVCacheDataTypeE0ES0_Li16ELi64ELi256ELb0ELi2EEvPKT_PKT0_S8_ifPKiSA_SA_iPKfiiiPfSD_PS3_PT2_iSC_SC_,@object ; @__PRETTY_FUNCTION__._Z38paged_attention_ll4mi_QKV_mfma4_kernelI14__hip_bfloat16S0_LN4vllm18Fp8KVCacheDataTypeE0ES0_Li16ELi64ELi256ELb0ELi2EEvPKT_PKT0_S8_ifPKiSA_SA_iPKfiiiPfSD_PS3_PT2_iSC_SC_
__PRETTY_FUNCTION__._Z38paged_attention_ll4mi_QKV_mfma4_kernelI14__hip_bfloat16S0_LN4vllm18Fp8KVCacheDataTypeE0ES0_Li16ELi64ELi256ELb0ELi2EEvPKT_PKT0_S8_ifPKiSA_SA_iPKfiiiPfSD_PS3_PT2_iSC_SC_:
	.asciz	"void paged_attention_ll4mi_QKV_mfma4_kernel(const scalar_t *__restrict, const cache_t *__restrict, const cache_t *__restrict, const int, const float, const int *__restrict, const int *__restrict, const int *__restrict, const int, const float *__restrict, const int, const int, const int, float *__restrict, float *__restrict, scalar_t *__restrict, OUTT *__restrict, int, const float *, const float *) [scalar_t = __hip_bfloat16, cache_t = __hip_bfloat16, KV_DTYPE = vllm::Fp8KVCacheDataType::kAuto, OUTT = __hip_bfloat16, BLOCK_SIZE = 16, HEAD_SIZE = 64, NUM_THREADS = 256, ALIBI_ENABLED = false, GQA_RATIO = 2]"
	.size	__PRETTY_FUNCTION__._Z38paged_attention_ll4mi_QKV_mfma4_kernelI14__hip_bfloat16S0_LN4vllm18Fp8KVCacheDataTypeE0ES0_Li16ELi64ELi256ELb0ELi2EEvPKT_PKT0_S8_ifPKiSA_SA_iPKfiiiPfSD_PS3_PT2_iSC_SC_, 612

	.type	__PRETTY_FUNCTION__._Z38paged_attention_ll4mi_QKV_mfma4_kernelI14__hip_bfloat16S0_LN4vllm18Fp8KVCacheDataTypeE0ES0_Li16ELi64ELi256ELb0ELi3EEvPKT_PKT0_S8_ifPKiSA_SA_iPKfiiiPfSD_PS3_PT2_iSC_SC_,@object ; @__PRETTY_FUNCTION__._Z38paged_attention_ll4mi_QKV_mfma4_kernelI14__hip_bfloat16S0_LN4vllm18Fp8KVCacheDataTypeE0ES0_Li16ELi64ELi256ELb0ELi3EEvPKT_PKT0_S8_ifPKiSA_SA_iPKfiiiPfSD_PS3_PT2_iSC_SC_
__PRETTY_FUNCTION__._Z38paged_attention_ll4mi_QKV_mfma4_kernelI14__hip_bfloat16S0_LN4vllm18Fp8KVCacheDataTypeE0ES0_Li16ELi64ELi256ELb0ELi3EEvPKT_PKT0_S8_ifPKiSA_SA_iPKfiiiPfSD_PS3_PT2_iSC_SC_:
	.asciz	"void paged_attention_ll4mi_QKV_mfma4_kernel(const scalar_t *__restrict, const cache_t *__restrict, const cache_t *__restrict, const int, const float, const int *__restrict, const int *__restrict, const int *__restrict, const int, const float *__restrict, const int, const int, const int, float *__restrict, float *__restrict, scalar_t *__restrict, OUTT *__restrict, int, const float *, const float *) [scalar_t = __hip_bfloat16, cache_t = __hip_bfloat16, KV_DTYPE = vllm::Fp8KVCacheDataType::kAuto, OUTT = __hip_bfloat16, BLOCK_SIZE = 16, HEAD_SIZE = 64, NUM_THREADS = 256, ALIBI_ENABLED = false, GQA_RATIO = 3]"
	.size	__PRETTY_FUNCTION__._Z38paged_attention_ll4mi_QKV_mfma4_kernelI14__hip_bfloat16S0_LN4vllm18Fp8KVCacheDataTypeE0ES0_Li16ELi64ELi256ELb0ELi3EEvPKT_PKT0_S8_ifPKiSA_SA_iPKfiiiPfSD_PS3_PT2_iSC_SC_, 612

	.type	__PRETTY_FUNCTION__._Z38paged_attention_ll4mi_QKV_mfma4_kernelI14__hip_bfloat16S0_LN4vllm18Fp8KVCacheDataTypeE0ES0_Li16ELi64ELi256ELb0ELi4EEvPKT_PKT0_S8_ifPKiSA_SA_iPKfiiiPfSD_PS3_PT2_iSC_SC_,@object ; @__PRETTY_FUNCTION__._Z38paged_attention_ll4mi_QKV_mfma4_kernelI14__hip_bfloat16S0_LN4vllm18Fp8KVCacheDataTypeE0ES0_Li16ELi64ELi256ELb0ELi4EEvPKT_PKT0_S8_ifPKiSA_SA_iPKfiiiPfSD_PS3_PT2_iSC_SC_
__PRETTY_FUNCTION__._Z38paged_attention_ll4mi_QKV_mfma4_kernelI14__hip_bfloat16S0_LN4vllm18Fp8KVCacheDataTypeE0ES0_Li16ELi64ELi256ELb0ELi4EEvPKT_PKT0_S8_ifPKiSA_SA_iPKfiiiPfSD_PS3_PT2_iSC_SC_:
	.asciz	"void paged_attention_ll4mi_QKV_mfma4_kernel(const scalar_t *__restrict, const cache_t *__restrict, const cache_t *__restrict, const int, const float, const int *__restrict, const int *__restrict, const int *__restrict, const int, const float *__restrict, const int, const int, const int, float *__restrict, float *__restrict, scalar_t *__restrict, OUTT *__restrict, int, const float *, const float *) [scalar_t = __hip_bfloat16, cache_t = __hip_bfloat16, KV_DTYPE = vllm::Fp8KVCacheDataType::kAuto, OUTT = __hip_bfloat16, BLOCK_SIZE = 16, HEAD_SIZE = 64, NUM_THREADS = 256, ALIBI_ENABLED = false, GQA_RATIO = 4]"
	.size	__PRETTY_FUNCTION__._Z38paged_attention_ll4mi_QKV_mfma4_kernelI14__hip_bfloat16S0_LN4vllm18Fp8KVCacheDataTypeE0ES0_Li16ELi64ELi256ELb0ELi4EEvPKT_PKT0_S8_ifPKiSA_SA_iPKfiiiPfSD_PS3_PT2_iSC_SC_, 612

	.type	__PRETTY_FUNCTION__._Z38paged_attention_ll4mi_QKV_mfma4_kernelI14__hip_bfloat16S0_LN4vllm18Fp8KVCacheDataTypeE0EhLi32ELi64ELi256ELb1ELi1EEvPKT_PKT0_S8_ifPKiSA_SA_iPKfiiiPfSD_PS3_PT2_iSC_SC_,@object ; @__PRETTY_FUNCTION__._Z38paged_attention_ll4mi_QKV_mfma4_kernelI14__hip_bfloat16S0_LN4vllm18Fp8KVCacheDataTypeE0EhLi32ELi64ELi256ELb1ELi1EEvPKT_PKT0_S8_ifPKiSA_SA_iPKfiiiPfSD_PS3_PT2_iSC_SC_
__PRETTY_FUNCTION__._Z38paged_attention_ll4mi_QKV_mfma4_kernelI14__hip_bfloat16S0_LN4vllm18Fp8KVCacheDataTypeE0EhLi32ELi64ELi256ELb1ELi1EEvPKT_PKT0_S8_ifPKiSA_SA_iPKfiiiPfSD_PS3_PT2_iSC_SC_:
	.asciz	"void paged_attention_ll4mi_QKV_mfma4_kernel(const scalar_t *__restrict, const cache_t *__restrict, const cache_t *__restrict, const int, const float, const int *__restrict, const int *__restrict, const int *__restrict, const int, const float *__restrict, const int, const int, const int, float *__restrict, float *__restrict, scalar_t *__restrict, OUTT *__restrict, int, const float *, const float *) [scalar_t = __hip_bfloat16, cache_t = __hip_bfloat16, KV_DTYPE = vllm::Fp8KVCacheDataType::kAuto, OUTT = unsigned char, BLOCK_SIZE = 32, HEAD_SIZE = 64, NUM_THREADS = 256, ALIBI_ENABLED = true, GQA_RATIO = 1]"
	.size	__PRETTY_FUNCTION__._Z38paged_attention_ll4mi_QKV_mfma4_kernelI14__hip_bfloat16S0_LN4vllm18Fp8KVCacheDataTypeE0EhLi32ELi64ELi256ELb1ELi1EEvPKT_PKT0_S8_ifPKiSA_SA_iPKfiiiPfSD_PS3_PT2_iSC_SC_, 610

	.type	__PRETTY_FUNCTION__._Z38paged_attention_ll4mi_QKV_mfma4_kernelI14__hip_bfloat16S0_LN4vllm18Fp8KVCacheDataTypeE0EhLi32ELi64ELi256ELb1ELi2EEvPKT_PKT0_S8_ifPKiSA_SA_iPKfiiiPfSD_PS3_PT2_iSC_SC_,@object ; @__PRETTY_FUNCTION__._Z38paged_attention_ll4mi_QKV_mfma4_kernelI14__hip_bfloat16S0_LN4vllm18Fp8KVCacheDataTypeE0EhLi32ELi64ELi256ELb1ELi2EEvPKT_PKT0_S8_ifPKiSA_SA_iPKfiiiPfSD_PS3_PT2_iSC_SC_
__PRETTY_FUNCTION__._Z38paged_attention_ll4mi_QKV_mfma4_kernelI14__hip_bfloat16S0_LN4vllm18Fp8KVCacheDataTypeE0EhLi32ELi64ELi256ELb1ELi2EEvPKT_PKT0_S8_ifPKiSA_SA_iPKfiiiPfSD_PS3_PT2_iSC_SC_:
	.asciz	"void paged_attention_ll4mi_QKV_mfma4_kernel(const scalar_t *__restrict, const cache_t *__restrict, const cache_t *__restrict, const int, const float, const int *__restrict, const int *__restrict, const int *__restrict, const int, const float *__restrict, const int, const int, const int, float *__restrict, float *__restrict, scalar_t *__restrict, OUTT *__restrict, int, const float *, const float *) [scalar_t = __hip_bfloat16, cache_t = __hip_bfloat16, KV_DTYPE = vllm::Fp8KVCacheDataType::kAuto, OUTT = unsigned char, BLOCK_SIZE = 32, HEAD_SIZE = 64, NUM_THREADS = 256, ALIBI_ENABLED = true, GQA_RATIO = 2]"
	.size	__PRETTY_FUNCTION__._Z38paged_attention_ll4mi_QKV_mfma4_kernelI14__hip_bfloat16S0_LN4vllm18Fp8KVCacheDataTypeE0EhLi32ELi64ELi256ELb1ELi2EEvPKT_PKT0_S8_ifPKiSA_SA_iPKfiiiPfSD_PS3_PT2_iSC_SC_, 610

	.type	__PRETTY_FUNCTION__._Z38paged_attention_ll4mi_QKV_mfma4_kernelI14__hip_bfloat16S0_LN4vllm18Fp8KVCacheDataTypeE0EhLi32ELi64ELi256ELb1ELi3EEvPKT_PKT0_S8_ifPKiSA_SA_iPKfiiiPfSD_PS3_PT2_iSC_SC_,@object ; @__PRETTY_FUNCTION__._Z38paged_attention_ll4mi_QKV_mfma4_kernelI14__hip_bfloat16S0_LN4vllm18Fp8KVCacheDataTypeE0EhLi32ELi64ELi256ELb1ELi3EEvPKT_PKT0_S8_ifPKiSA_SA_iPKfiiiPfSD_PS3_PT2_iSC_SC_
__PRETTY_FUNCTION__._Z38paged_attention_ll4mi_QKV_mfma4_kernelI14__hip_bfloat16S0_LN4vllm18Fp8KVCacheDataTypeE0EhLi32ELi64ELi256ELb1ELi3EEvPKT_PKT0_S8_ifPKiSA_SA_iPKfiiiPfSD_PS3_PT2_iSC_SC_:
	.asciz	"void paged_attention_ll4mi_QKV_mfma4_kernel(const scalar_t *__restrict, const cache_t *__restrict, const cache_t *__restrict, const int, const float, const int *__restrict, const int *__restrict, const int *__restrict, const int, const float *__restrict, const int, const int, const int, float *__restrict, float *__restrict, scalar_t *__restrict, OUTT *__restrict, int, const float *, const float *) [scalar_t = __hip_bfloat16, cache_t = __hip_bfloat16, KV_DTYPE = vllm::Fp8KVCacheDataType::kAuto, OUTT = unsigned char, BLOCK_SIZE = 32, HEAD_SIZE = 64, NUM_THREADS = 256, ALIBI_ENABLED = true, GQA_RATIO = 3]"
	.size	__PRETTY_FUNCTION__._Z38paged_attention_ll4mi_QKV_mfma4_kernelI14__hip_bfloat16S0_LN4vllm18Fp8KVCacheDataTypeE0EhLi32ELi64ELi256ELb1ELi3EEvPKT_PKT0_S8_ifPKiSA_SA_iPKfiiiPfSD_PS3_PT2_iSC_SC_, 610

	.type	__PRETTY_FUNCTION__._Z38paged_attention_ll4mi_QKV_mfma4_kernelI14__hip_bfloat16S0_LN4vllm18Fp8KVCacheDataTypeE0EhLi32ELi64ELi256ELb1ELi4EEvPKT_PKT0_S8_ifPKiSA_SA_iPKfiiiPfSD_PS3_PT2_iSC_SC_,@object ; @__PRETTY_FUNCTION__._Z38paged_attention_ll4mi_QKV_mfma4_kernelI14__hip_bfloat16S0_LN4vllm18Fp8KVCacheDataTypeE0EhLi32ELi64ELi256ELb1ELi4EEvPKT_PKT0_S8_ifPKiSA_SA_iPKfiiiPfSD_PS3_PT2_iSC_SC_
__PRETTY_FUNCTION__._Z38paged_attention_ll4mi_QKV_mfma4_kernelI14__hip_bfloat16S0_LN4vllm18Fp8KVCacheDataTypeE0EhLi32ELi64ELi256ELb1ELi4EEvPKT_PKT0_S8_ifPKiSA_SA_iPKfiiiPfSD_PS3_PT2_iSC_SC_:
	.asciz	"void paged_attention_ll4mi_QKV_mfma4_kernel(const scalar_t *__restrict, const cache_t *__restrict, const cache_t *__restrict, const int, const float, const int *__restrict, const int *__restrict, const int *__restrict, const int, const float *__restrict, const int, const int, const int, float *__restrict, float *__restrict, scalar_t *__restrict, OUTT *__restrict, int, const float *, const float *) [scalar_t = __hip_bfloat16, cache_t = __hip_bfloat16, KV_DTYPE = vllm::Fp8KVCacheDataType::kAuto, OUTT = unsigned char, BLOCK_SIZE = 32, HEAD_SIZE = 64, NUM_THREADS = 256, ALIBI_ENABLED = true, GQA_RATIO = 4]"
	.size	__PRETTY_FUNCTION__._Z38paged_attention_ll4mi_QKV_mfma4_kernelI14__hip_bfloat16S0_LN4vllm18Fp8KVCacheDataTypeE0EhLi32ELi64ELi256ELb1ELi4EEvPKT_PKT0_S8_ifPKiSA_SA_iPKfiiiPfSD_PS3_PT2_iSC_SC_, 610

	.type	__PRETTY_FUNCTION__._Z38paged_attention_ll4mi_QKV_mfma4_kernelI14__hip_bfloat16S0_LN4vllm18Fp8KVCacheDataTypeE0EhLi32ELi64ELi256ELb0ELi1EEvPKT_PKT0_S8_ifPKiSA_SA_iPKfiiiPfSD_PS3_PT2_iSC_SC_,@object ; @__PRETTY_FUNCTION__._Z38paged_attention_ll4mi_QKV_mfma4_kernelI14__hip_bfloat16S0_LN4vllm18Fp8KVCacheDataTypeE0EhLi32ELi64ELi256ELb0ELi1EEvPKT_PKT0_S8_ifPKiSA_SA_iPKfiiiPfSD_PS3_PT2_iSC_SC_
__PRETTY_FUNCTION__._Z38paged_attention_ll4mi_QKV_mfma4_kernelI14__hip_bfloat16S0_LN4vllm18Fp8KVCacheDataTypeE0EhLi32ELi64ELi256ELb0ELi1EEvPKT_PKT0_S8_ifPKiSA_SA_iPKfiiiPfSD_PS3_PT2_iSC_SC_:
	.asciz	"void paged_attention_ll4mi_QKV_mfma4_kernel(const scalar_t *__restrict, const cache_t *__restrict, const cache_t *__restrict, const int, const float, const int *__restrict, const int *__restrict, const int *__restrict, const int, const float *__restrict, const int, const int, const int, float *__restrict, float *__restrict, scalar_t *__restrict, OUTT *__restrict, int, const float *, const float *) [scalar_t = __hip_bfloat16, cache_t = __hip_bfloat16, KV_DTYPE = vllm::Fp8KVCacheDataType::kAuto, OUTT = unsigned char, BLOCK_SIZE = 32, HEAD_SIZE = 64, NUM_THREADS = 256, ALIBI_ENABLED = false, GQA_RATIO = 1]"
	.size	__PRETTY_FUNCTION__._Z38paged_attention_ll4mi_QKV_mfma4_kernelI14__hip_bfloat16S0_LN4vllm18Fp8KVCacheDataTypeE0EhLi32ELi64ELi256ELb0ELi1EEvPKT_PKT0_S8_ifPKiSA_SA_iPKfiiiPfSD_PS3_PT2_iSC_SC_, 611

	.type	__PRETTY_FUNCTION__._Z38paged_attention_ll4mi_QKV_mfma4_kernelI14__hip_bfloat16S0_LN4vllm18Fp8KVCacheDataTypeE0EhLi32ELi64ELi256ELb0ELi2EEvPKT_PKT0_S8_ifPKiSA_SA_iPKfiiiPfSD_PS3_PT2_iSC_SC_,@object ; @__PRETTY_FUNCTION__._Z38paged_attention_ll4mi_QKV_mfma4_kernelI14__hip_bfloat16S0_LN4vllm18Fp8KVCacheDataTypeE0EhLi32ELi64ELi256ELb0ELi2EEvPKT_PKT0_S8_ifPKiSA_SA_iPKfiiiPfSD_PS3_PT2_iSC_SC_
__PRETTY_FUNCTION__._Z38paged_attention_ll4mi_QKV_mfma4_kernelI14__hip_bfloat16S0_LN4vllm18Fp8KVCacheDataTypeE0EhLi32ELi64ELi256ELb0ELi2EEvPKT_PKT0_S8_ifPKiSA_SA_iPKfiiiPfSD_PS3_PT2_iSC_SC_:
	.asciz	"void paged_attention_ll4mi_QKV_mfma4_kernel(const scalar_t *__restrict, const cache_t *__restrict, const cache_t *__restrict, const int, const float, const int *__restrict, const int *__restrict, const int *__restrict, const int, const float *__restrict, const int, const int, const int, float *__restrict, float *__restrict, scalar_t *__restrict, OUTT *__restrict, int, const float *, const float *) [scalar_t = __hip_bfloat16, cache_t = __hip_bfloat16, KV_DTYPE = vllm::Fp8KVCacheDataType::kAuto, OUTT = unsigned char, BLOCK_SIZE = 32, HEAD_SIZE = 64, NUM_THREADS = 256, ALIBI_ENABLED = false, GQA_RATIO = 2]"
	.size	__PRETTY_FUNCTION__._Z38paged_attention_ll4mi_QKV_mfma4_kernelI14__hip_bfloat16S0_LN4vllm18Fp8KVCacheDataTypeE0EhLi32ELi64ELi256ELb0ELi2EEvPKT_PKT0_S8_ifPKiSA_SA_iPKfiiiPfSD_PS3_PT2_iSC_SC_, 611

	.type	__PRETTY_FUNCTION__._Z38paged_attention_ll4mi_QKV_mfma4_kernelI14__hip_bfloat16S0_LN4vllm18Fp8KVCacheDataTypeE0EhLi32ELi64ELi256ELb0ELi3EEvPKT_PKT0_S8_ifPKiSA_SA_iPKfiiiPfSD_PS3_PT2_iSC_SC_,@object ; @__PRETTY_FUNCTION__._Z38paged_attention_ll4mi_QKV_mfma4_kernelI14__hip_bfloat16S0_LN4vllm18Fp8KVCacheDataTypeE0EhLi32ELi64ELi256ELb0ELi3EEvPKT_PKT0_S8_ifPKiSA_SA_iPKfiiiPfSD_PS3_PT2_iSC_SC_
__PRETTY_FUNCTION__._Z38paged_attention_ll4mi_QKV_mfma4_kernelI14__hip_bfloat16S0_LN4vllm18Fp8KVCacheDataTypeE0EhLi32ELi64ELi256ELb0ELi3EEvPKT_PKT0_S8_ifPKiSA_SA_iPKfiiiPfSD_PS3_PT2_iSC_SC_:
	.asciz	"void paged_attention_ll4mi_QKV_mfma4_kernel(const scalar_t *__restrict, const cache_t *__restrict, const cache_t *__restrict, const int, const float, const int *__restrict, const int *__restrict, const int *__restrict, const int, const float *__restrict, const int, const int, const int, float *__restrict, float *__restrict, scalar_t *__restrict, OUTT *__restrict, int, const float *, const float *) [scalar_t = __hip_bfloat16, cache_t = __hip_bfloat16, KV_DTYPE = vllm::Fp8KVCacheDataType::kAuto, OUTT = unsigned char, BLOCK_SIZE = 32, HEAD_SIZE = 64, NUM_THREADS = 256, ALIBI_ENABLED = false, GQA_RATIO = 3]"
	.size	__PRETTY_FUNCTION__._Z38paged_attention_ll4mi_QKV_mfma4_kernelI14__hip_bfloat16S0_LN4vllm18Fp8KVCacheDataTypeE0EhLi32ELi64ELi256ELb0ELi3EEvPKT_PKT0_S8_ifPKiSA_SA_iPKfiiiPfSD_PS3_PT2_iSC_SC_, 611

	.type	__PRETTY_FUNCTION__._Z38paged_attention_ll4mi_QKV_mfma4_kernelI14__hip_bfloat16S0_LN4vllm18Fp8KVCacheDataTypeE0EhLi32ELi64ELi256ELb0ELi4EEvPKT_PKT0_S8_ifPKiSA_SA_iPKfiiiPfSD_PS3_PT2_iSC_SC_,@object ; @__PRETTY_FUNCTION__._Z38paged_attention_ll4mi_QKV_mfma4_kernelI14__hip_bfloat16S0_LN4vllm18Fp8KVCacheDataTypeE0EhLi32ELi64ELi256ELb0ELi4EEvPKT_PKT0_S8_ifPKiSA_SA_iPKfiiiPfSD_PS3_PT2_iSC_SC_
__PRETTY_FUNCTION__._Z38paged_attention_ll4mi_QKV_mfma4_kernelI14__hip_bfloat16S0_LN4vllm18Fp8KVCacheDataTypeE0EhLi32ELi64ELi256ELb0ELi4EEvPKT_PKT0_S8_ifPKiSA_SA_iPKfiiiPfSD_PS3_PT2_iSC_SC_:
	.asciz	"void paged_attention_ll4mi_QKV_mfma4_kernel(const scalar_t *__restrict, const cache_t *__restrict, const cache_t *__restrict, const int, const float, const int *__restrict, const int *__restrict, const int *__restrict, const int, const float *__restrict, const int, const int, const int, float *__restrict, float *__restrict, scalar_t *__restrict, OUTT *__restrict, int, const float *, const float *) [scalar_t = __hip_bfloat16, cache_t = __hip_bfloat16, KV_DTYPE = vllm::Fp8KVCacheDataType::kAuto, OUTT = unsigned char, BLOCK_SIZE = 32, HEAD_SIZE = 64, NUM_THREADS = 256, ALIBI_ENABLED = false, GQA_RATIO = 4]"
	.size	__PRETTY_FUNCTION__._Z38paged_attention_ll4mi_QKV_mfma4_kernelI14__hip_bfloat16S0_LN4vllm18Fp8KVCacheDataTypeE0EhLi32ELi64ELi256ELb0ELi4EEvPKT_PKT0_S8_ifPKiSA_SA_iPKfiiiPfSD_PS3_PT2_iSC_SC_, 611

	.type	__PRETTY_FUNCTION__._Z38paged_attention_ll4mi_QKV_mfma4_kernelI14__hip_bfloat16S0_LN4vllm18Fp8KVCacheDataTypeE0ES0_Li32ELi64ELi256ELb1ELi1EEvPKT_PKT0_S8_ifPKiSA_SA_iPKfiiiPfSD_PS3_PT2_iSC_SC_,@object ; @__PRETTY_FUNCTION__._Z38paged_attention_ll4mi_QKV_mfma4_kernelI14__hip_bfloat16S0_LN4vllm18Fp8KVCacheDataTypeE0ES0_Li32ELi64ELi256ELb1ELi1EEvPKT_PKT0_S8_ifPKiSA_SA_iPKfiiiPfSD_PS3_PT2_iSC_SC_
__PRETTY_FUNCTION__._Z38paged_attention_ll4mi_QKV_mfma4_kernelI14__hip_bfloat16S0_LN4vllm18Fp8KVCacheDataTypeE0ES0_Li32ELi64ELi256ELb1ELi1EEvPKT_PKT0_S8_ifPKiSA_SA_iPKfiiiPfSD_PS3_PT2_iSC_SC_:
	.asciz	"void paged_attention_ll4mi_QKV_mfma4_kernel(const scalar_t *__restrict, const cache_t *__restrict, const cache_t *__restrict, const int, const float, const int *__restrict, const int *__restrict, const int *__restrict, const int, const float *__restrict, const int, const int, const int, float *__restrict, float *__restrict, scalar_t *__restrict, OUTT *__restrict, int, const float *, const float *) [scalar_t = __hip_bfloat16, cache_t = __hip_bfloat16, KV_DTYPE = vllm::Fp8KVCacheDataType::kAuto, OUTT = __hip_bfloat16, BLOCK_SIZE = 32, HEAD_SIZE = 64, NUM_THREADS = 256, ALIBI_ENABLED = true, GQA_RATIO = 1]"
	.size	__PRETTY_FUNCTION__._Z38paged_attention_ll4mi_QKV_mfma4_kernelI14__hip_bfloat16S0_LN4vllm18Fp8KVCacheDataTypeE0ES0_Li32ELi64ELi256ELb1ELi1EEvPKT_PKT0_S8_ifPKiSA_SA_iPKfiiiPfSD_PS3_PT2_iSC_SC_, 611

	.type	__PRETTY_FUNCTION__._Z38paged_attention_ll4mi_QKV_mfma4_kernelI14__hip_bfloat16S0_LN4vllm18Fp8KVCacheDataTypeE0ES0_Li32ELi64ELi256ELb1ELi2EEvPKT_PKT0_S8_ifPKiSA_SA_iPKfiiiPfSD_PS3_PT2_iSC_SC_,@object ; @__PRETTY_FUNCTION__._Z38paged_attention_ll4mi_QKV_mfma4_kernelI14__hip_bfloat16S0_LN4vllm18Fp8KVCacheDataTypeE0ES0_Li32ELi64ELi256ELb1ELi2EEvPKT_PKT0_S8_ifPKiSA_SA_iPKfiiiPfSD_PS3_PT2_iSC_SC_
__PRETTY_FUNCTION__._Z38paged_attention_ll4mi_QKV_mfma4_kernelI14__hip_bfloat16S0_LN4vllm18Fp8KVCacheDataTypeE0ES0_Li32ELi64ELi256ELb1ELi2EEvPKT_PKT0_S8_ifPKiSA_SA_iPKfiiiPfSD_PS3_PT2_iSC_SC_:
	.asciz	"void paged_attention_ll4mi_QKV_mfma4_kernel(const scalar_t *__restrict, const cache_t *__restrict, const cache_t *__restrict, const int, const float, const int *__restrict, const int *__restrict, const int *__restrict, const int, const float *__restrict, const int, const int, const int, float *__restrict, float *__restrict, scalar_t *__restrict, OUTT *__restrict, int, const float *, const float *) [scalar_t = __hip_bfloat16, cache_t = __hip_bfloat16, KV_DTYPE = vllm::Fp8KVCacheDataType::kAuto, OUTT = __hip_bfloat16, BLOCK_SIZE = 32, HEAD_SIZE = 64, NUM_THREADS = 256, ALIBI_ENABLED = true, GQA_RATIO = 2]"
	.size	__PRETTY_FUNCTION__._Z38paged_attention_ll4mi_QKV_mfma4_kernelI14__hip_bfloat16S0_LN4vllm18Fp8KVCacheDataTypeE0ES0_Li32ELi64ELi256ELb1ELi2EEvPKT_PKT0_S8_ifPKiSA_SA_iPKfiiiPfSD_PS3_PT2_iSC_SC_, 611

	.type	__PRETTY_FUNCTION__._Z38paged_attention_ll4mi_QKV_mfma4_kernelI14__hip_bfloat16S0_LN4vllm18Fp8KVCacheDataTypeE0ES0_Li32ELi64ELi256ELb1ELi3EEvPKT_PKT0_S8_ifPKiSA_SA_iPKfiiiPfSD_PS3_PT2_iSC_SC_,@object ; @__PRETTY_FUNCTION__._Z38paged_attention_ll4mi_QKV_mfma4_kernelI14__hip_bfloat16S0_LN4vllm18Fp8KVCacheDataTypeE0ES0_Li32ELi64ELi256ELb1ELi3EEvPKT_PKT0_S8_ifPKiSA_SA_iPKfiiiPfSD_PS3_PT2_iSC_SC_
__PRETTY_FUNCTION__._Z38paged_attention_ll4mi_QKV_mfma4_kernelI14__hip_bfloat16S0_LN4vllm18Fp8KVCacheDataTypeE0ES0_Li32ELi64ELi256ELb1ELi3EEvPKT_PKT0_S8_ifPKiSA_SA_iPKfiiiPfSD_PS3_PT2_iSC_SC_:
	.asciz	"void paged_attention_ll4mi_QKV_mfma4_kernel(const scalar_t *__restrict, const cache_t *__restrict, const cache_t *__restrict, const int, const float, const int *__restrict, const int *__restrict, const int *__restrict, const int, const float *__restrict, const int, const int, const int, float *__restrict, float *__restrict, scalar_t *__restrict, OUTT *__restrict, int, const float *, const float *) [scalar_t = __hip_bfloat16, cache_t = __hip_bfloat16, KV_DTYPE = vllm::Fp8KVCacheDataType::kAuto, OUTT = __hip_bfloat16, BLOCK_SIZE = 32, HEAD_SIZE = 64, NUM_THREADS = 256, ALIBI_ENABLED = true, GQA_RATIO = 3]"
	.size	__PRETTY_FUNCTION__._Z38paged_attention_ll4mi_QKV_mfma4_kernelI14__hip_bfloat16S0_LN4vllm18Fp8KVCacheDataTypeE0ES0_Li32ELi64ELi256ELb1ELi3EEvPKT_PKT0_S8_ifPKiSA_SA_iPKfiiiPfSD_PS3_PT2_iSC_SC_, 611

	.type	__PRETTY_FUNCTION__._Z38paged_attention_ll4mi_QKV_mfma4_kernelI14__hip_bfloat16S0_LN4vllm18Fp8KVCacheDataTypeE0ES0_Li32ELi64ELi256ELb1ELi4EEvPKT_PKT0_S8_ifPKiSA_SA_iPKfiiiPfSD_PS3_PT2_iSC_SC_,@object ; @__PRETTY_FUNCTION__._Z38paged_attention_ll4mi_QKV_mfma4_kernelI14__hip_bfloat16S0_LN4vllm18Fp8KVCacheDataTypeE0ES0_Li32ELi64ELi256ELb1ELi4EEvPKT_PKT0_S8_ifPKiSA_SA_iPKfiiiPfSD_PS3_PT2_iSC_SC_
__PRETTY_FUNCTION__._Z38paged_attention_ll4mi_QKV_mfma4_kernelI14__hip_bfloat16S0_LN4vllm18Fp8KVCacheDataTypeE0ES0_Li32ELi64ELi256ELb1ELi4EEvPKT_PKT0_S8_ifPKiSA_SA_iPKfiiiPfSD_PS3_PT2_iSC_SC_:
	.asciz	"void paged_attention_ll4mi_QKV_mfma4_kernel(const scalar_t *__restrict, const cache_t *__restrict, const cache_t *__restrict, const int, const float, const int *__restrict, const int *__restrict, const int *__restrict, const int, const float *__restrict, const int, const int, const int, float *__restrict, float *__restrict, scalar_t *__restrict, OUTT *__restrict, int, const float *, const float *) [scalar_t = __hip_bfloat16, cache_t = __hip_bfloat16, KV_DTYPE = vllm::Fp8KVCacheDataType::kAuto, OUTT = __hip_bfloat16, BLOCK_SIZE = 32, HEAD_SIZE = 64, NUM_THREADS = 256, ALIBI_ENABLED = true, GQA_RATIO = 4]"
	.size	__PRETTY_FUNCTION__._Z38paged_attention_ll4mi_QKV_mfma4_kernelI14__hip_bfloat16S0_LN4vllm18Fp8KVCacheDataTypeE0ES0_Li32ELi64ELi256ELb1ELi4EEvPKT_PKT0_S8_ifPKiSA_SA_iPKfiiiPfSD_PS3_PT2_iSC_SC_, 611

	.type	__PRETTY_FUNCTION__._Z38paged_attention_ll4mi_QKV_mfma4_kernelI14__hip_bfloat16S0_LN4vllm18Fp8KVCacheDataTypeE0ES0_Li32ELi64ELi256ELb0ELi1EEvPKT_PKT0_S8_ifPKiSA_SA_iPKfiiiPfSD_PS3_PT2_iSC_SC_,@object ; @__PRETTY_FUNCTION__._Z38paged_attention_ll4mi_QKV_mfma4_kernelI14__hip_bfloat16S0_LN4vllm18Fp8KVCacheDataTypeE0ES0_Li32ELi64ELi256ELb0ELi1EEvPKT_PKT0_S8_ifPKiSA_SA_iPKfiiiPfSD_PS3_PT2_iSC_SC_
__PRETTY_FUNCTION__._Z38paged_attention_ll4mi_QKV_mfma4_kernelI14__hip_bfloat16S0_LN4vllm18Fp8KVCacheDataTypeE0ES0_Li32ELi64ELi256ELb0ELi1EEvPKT_PKT0_S8_ifPKiSA_SA_iPKfiiiPfSD_PS3_PT2_iSC_SC_:
	.asciz	"void paged_attention_ll4mi_QKV_mfma4_kernel(const scalar_t *__restrict, const cache_t *__restrict, const cache_t *__restrict, const int, const float, const int *__restrict, const int *__restrict, const int *__restrict, const int, const float *__restrict, const int, const int, const int, float *__restrict, float *__restrict, scalar_t *__restrict, OUTT *__restrict, int, const float *, const float *) [scalar_t = __hip_bfloat16, cache_t = __hip_bfloat16, KV_DTYPE = vllm::Fp8KVCacheDataType::kAuto, OUTT = __hip_bfloat16, BLOCK_SIZE = 32, HEAD_SIZE = 64, NUM_THREADS = 256, ALIBI_ENABLED = false, GQA_RATIO = 1]"
	.size	__PRETTY_FUNCTION__._Z38paged_attention_ll4mi_QKV_mfma4_kernelI14__hip_bfloat16S0_LN4vllm18Fp8KVCacheDataTypeE0ES0_Li32ELi64ELi256ELb0ELi1EEvPKT_PKT0_S8_ifPKiSA_SA_iPKfiiiPfSD_PS3_PT2_iSC_SC_, 612

	.type	__PRETTY_FUNCTION__._Z38paged_attention_ll4mi_QKV_mfma4_kernelI14__hip_bfloat16S0_LN4vllm18Fp8KVCacheDataTypeE0ES0_Li32ELi64ELi256ELb0ELi2EEvPKT_PKT0_S8_ifPKiSA_SA_iPKfiiiPfSD_PS3_PT2_iSC_SC_,@object ; @__PRETTY_FUNCTION__._Z38paged_attention_ll4mi_QKV_mfma4_kernelI14__hip_bfloat16S0_LN4vllm18Fp8KVCacheDataTypeE0ES0_Li32ELi64ELi256ELb0ELi2EEvPKT_PKT0_S8_ifPKiSA_SA_iPKfiiiPfSD_PS3_PT2_iSC_SC_
__PRETTY_FUNCTION__._Z38paged_attention_ll4mi_QKV_mfma4_kernelI14__hip_bfloat16S0_LN4vllm18Fp8KVCacheDataTypeE0ES0_Li32ELi64ELi256ELb0ELi2EEvPKT_PKT0_S8_ifPKiSA_SA_iPKfiiiPfSD_PS3_PT2_iSC_SC_:
	.asciz	"void paged_attention_ll4mi_QKV_mfma4_kernel(const scalar_t *__restrict, const cache_t *__restrict, const cache_t *__restrict, const int, const float, const int *__restrict, const int *__restrict, const int *__restrict, const int, const float *__restrict, const int, const int, const int, float *__restrict, float *__restrict, scalar_t *__restrict, OUTT *__restrict, int, const float *, const float *) [scalar_t = __hip_bfloat16, cache_t = __hip_bfloat16, KV_DTYPE = vllm::Fp8KVCacheDataType::kAuto, OUTT = __hip_bfloat16, BLOCK_SIZE = 32, HEAD_SIZE = 64, NUM_THREADS = 256, ALIBI_ENABLED = false, GQA_RATIO = 2]"
	.size	__PRETTY_FUNCTION__._Z38paged_attention_ll4mi_QKV_mfma4_kernelI14__hip_bfloat16S0_LN4vllm18Fp8KVCacheDataTypeE0ES0_Li32ELi64ELi256ELb0ELi2EEvPKT_PKT0_S8_ifPKiSA_SA_iPKfiiiPfSD_PS3_PT2_iSC_SC_, 612

	.type	__PRETTY_FUNCTION__._Z38paged_attention_ll4mi_QKV_mfma4_kernelI14__hip_bfloat16S0_LN4vllm18Fp8KVCacheDataTypeE0ES0_Li32ELi64ELi256ELb0ELi3EEvPKT_PKT0_S8_ifPKiSA_SA_iPKfiiiPfSD_PS3_PT2_iSC_SC_,@object ; @__PRETTY_FUNCTION__._Z38paged_attention_ll4mi_QKV_mfma4_kernelI14__hip_bfloat16S0_LN4vllm18Fp8KVCacheDataTypeE0ES0_Li32ELi64ELi256ELb0ELi3EEvPKT_PKT0_S8_ifPKiSA_SA_iPKfiiiPfSD_PS3_PT2_iSC_SC_
__PRETTY_FUNCTION__._Z38paged_attention_ll4mi_QKV_mfma4_kernelI14__hip_bfloat16S0_LN4vllm18Fp8KVCacheDataTypeE0ES0_Li32ELi64ELi256ELb0ELi3EEvPKT_PKT0_S8_ifPKiSA_SA_iPKfiiiPfSD_PS3_PT2_iSC_SC_:
	.asciz	"void paged_attention_ll4mi_QKV_mfma4_kernel(const scalar_t *__restrict, const cache_t *__restrict, const cache_t *__restrict, const int, const float, const int *__restrict, const int *__restrict, const int *__restrict, const int, const float *__restrict, const int, const int, const int, float *__restrict, float *__restrict, scalar_t *__restrict, OUTT *__restrict, int, const float *, const float *) [scalar_t = __hip_bfloat16, cache_t = __hip_bfloat16, KV_DTYPE = vllm::Fp8KVCacheDataType::kAuto, OUTT = __hip_bfloat16, BLOCK_SIZE = 32, HEAD_SIZE = 64, NUM_THREADS = 256, ALIBI_ENABLED = false, GQA_RATIO = 3]"
	.size	__PRETTY_FUNCTION__._Z38paged_attention_ll4mi_QKV_mfma4_kernelI14__hip_bfloat16S0_LN4vllm18Fp8KVCacheDataTypeE0ES0_Li32ELi64ELi256ELb0ELi3EEvPKT_PKT0_S8_ifPKiSA_SA_iPKfiiiPfSD_PS3_PT2_iSC_SC_, 612

	.type	__PRETTY_FUNCTION__._Z38paged_attention_ll4mi_QKV_mfma4_kernelI14__hip_bfloat16S0_LN4vllm18Fp8KVCacheDataTypeE0ES0_Li32ELi64ELi256ELb0ELi4EEvPKT_PKT0_S8_ifPKiSA_SA_iPKfiiiPfSD_PS3_PT2_iSC_SC_,@object ; @__PRETTY_FUNCTION__._Z38paged_attention_ll4mi_QKV_mfma4_kernelI14__hip_bfloat16S0_LN4vllm18Fp8KVCacheDataTypeE0ES0_Li32ELi64ELi256ELb0ELi4EEvPKT_PKT0_S8_ifPKiSA_SA_iPKfiiiPfSD_PS3_PT2_iSC_SC_
__PRETTY_FUNCTION__._Z38paged_attention_ll4mi_QKV_mfma4_kernelI14__hip_bfloat16S0_LN4vllm18Fp8KVCacheDataTypeE0ES0_Li32ELi64ELi256ELb0ELi4EEvPKT_PKT0_S8_ifPKiSA_SA_iPKfiiiPfSD_PS3_PT2_iSC_SC_:
	.asciz	"void paged_attention_ll4mi_QKV_mfma4_kernel(const scalar_t *__restrict, const cache_t *__restrict, const cache_t *__restrict, const int, const float, const int *__restrict, const int *__restrict, const int *__restrict, const int, const float *__restrict, const int, const int, const int, float *__restrict, float *__restrict, scalar_t *__restrict, OUTT *__restrict, int, const float *, const float *) [scalar_t = __hip_bfloat16, cache_t = __hip_bfloat16, KV_DTYPE = vllm::Fp8KVCacheDataType::kAuto, OUTT = __hip_bfloat16, BLOCK_SIZE = 32, HEAD_SIZE = 64, NUM_THREADS = 256, ALIBI_ENABLED = false, GQA_RATIO = 4]"
	.size	__PRETTY_FUNCTION__._Z38paged_attention_ll4mi_QKV_mfma4_kernelI14__hip_bfloat16S0_LN4vllm18Fp8KVCacheDataTypeE0ES0_Li32ELi64ELi256ELb0ELi4EEvPKT_PKT0_S8_ifPKiSA_SA_iPKfiiiPfSD_PS3_PT2_iSC_SC_, 612

	.type	__PRETTY_FUNCTION__._Z38paged_attention_ll4mi_QKV_mfma4_kernelI14__hip_bfloat16S0_LN4vllm18Fp8KVCacheDataTypeE0EhLi16ELi128ELi256ELb1ELi1EEvPKT_PKT0_S8_ifPKiSA_SA_iPKfiiiPfSD_PS3_PT2_iSC_SC_,@object ; @__PRETTY_FUNCTION__._Z38paged_attention_ll4mi_QKV_mfma4_kernelI14__hip_bfloat16S0_LN4vllm18Fp8KVCacheDataTypeE0EhLi16ELi128ELi256ELb1ELi1EEvPKT_PKT0_S8_ifPKiSA_SA_iPKfiiiPfSD_PS3_PT2_iSC_SC_
__PRETTY_FUNCTION__._Z38paged_attention_ll4mi_QKV_mfma4_kernelI14__hip_bfloat16S0_LN4vllm18Fp8KVCacheDataTypeE0EhLi16ELi128ELi256ELb1ELi1EEvPKT_PKT0_S8_ifPKiSA_SA_iPKfiiiPfSD_PS3_PT2_iSC_SC_:
	.asciz	"void paged_attention_ll4mi_QKV_mfma4_kernel(const scalar_t *__restrict, const cache_t *__restrict, const cache_t *__restrict, const int, const float, const int *__restrict, const int *__restrict, const int *__restrict, const int, const float *__restrict, const int, const int, const int, float *__restrict, float *__restrict, scalar_t *__restrict, OUTT *__restrict, int, const float *, const float *) [scalar_t = __hip_bfloat16, cache_t = __hip_bfloat16, KV_DTYPE = vllm::Fp8KVCacheDataType::kAuto, OUTT = unsigned char, BLOCK_SIZE = 16, HEAD_SIZE = 128, NUM_THREADS = 256, ALIBI_ENABLED = true, GQA_RATIO = 1]"
	.size	__PRETTY_FUNCTION__._Z38paged_attention_ll4mi_QKV_mfma4_kernelI14__hip_bfloat16S0_LN4vllm18Fp8KVCacheDataTypeE0EhLi16ELi128ELi256ELb1ELi1EEvPKT_PKT0_S8_ifPKiSA_SA_iPKfiiiPfSD_PS3_PT2_iSC_SC_, 611

	.type	__PRETTY_FUNCTION__._Z38paged_attention_ll4mi_QKV_mfma4_kernelI14__hip_bfloat16S0_LN4vllm18Fp8KVCacheDataTypeE0EhLi16ELi128ELi256ELb1ELi2EEvPKT_PKT0_S8_ifPKiSA_SA_iPKfiiiPfSD_PS3_PT2_iSC_SC_,@object ; @__PRETTY_FUNCTION__._Z38paged_attention_ll4mi_QKV_mfma4_kernelI14__hip_bfloat16S0_LN4vllm18Fp8KVCacheDataTypeE0EhLi16ELi128ELi256ELb1ELi2EEvPKT_PKT0_S8_ifPKiSA_SA_iPKfiiiPfSD_PS3_PT2_iSC_SC_
__PRETTY_FUNCTION__._Z38paged_attention_ll4mi_QKV_mfma4_kernelI14__hip_bfloat16S0_LN4vllm18Fp8KVCacheDataTypeE0EhLi16ELi128ELi256ELb1ELi2EEvPKT_PKT0_S8_ifPKiSA_SA_iPKfiiiPfSD_PS3_PT2_iSC_SC_:
	.asciz	"void paged_attention_ll4mi_QKV_mfma4_kernel(const scalar_t *__restrict, const cache_t *__restrict, const cache_t *__restrict, const int, const float, const int *__restrict, const int *__restrict, const int *__restrict, const int, const float *__restrict, const int, const int, const int, float *__restrict, float *__restrict, scalar_t *__restrict, OUTT *__restrict, int, const float *, const float *) [scalar_t = __hip_bfloat16, cache_t = __hip_bfloat16, KV_DTYPE = vllm::Fp8KVCacheDataType::kAuto, OUTT = unsigned char, BLOCK_SIZE = 16, HEAD_SIZE = 128, NUM_THREADS = 256, ALIBI_ENABLED = true, GQA_RATIO = 2]"
	.size	__PRETTY_FUNCTION__._Z38paged_attention_ll4mi_QKV_mfma4_kernelI14__hip_bfloat16S0_LN4vllm18Fp8KVCacheDataTypeE0EhLi16ELi128ELi256ELb1ELi2EEvPKT_PKT0_S8_ifPKiSA_SA_iPKfiiiPfSD_PS3_PT2_iSC_SC_, 611

	.type	__PRETTY_FUNCTION__._Z38paged_attention_ll4mi_QKV_mfma4_kernelI14__hip_bfloat16S0_LN4vllm18Fp8KVCacheDataTypeE0EhLi16ELi128ELi256ELb1ELi3EEvPKT_PKT0_S8_ifPKiSA_SA_iPKfiiiPfSD_PS3_PT2_iSC_SC_,@object ; @__PRETTY_FUNCTION__._Z38paged_attention_ll4mi_QKV_mfma4_kernelI14__hip_bfloat16S0_LN4vllm18Fp8KVCacheDataTypeE0EhLi16ELi128ELi256ELb1ELi3EEvPKT_PKT0_S8_ifPKiSA_SA_iPKfiiiPfSD_PS3_PT2_iSC_SC_
__PRETTY_FUNCTION__._Z38paged_attention_ll4mi_QKV_mfma4_kernelI14__hip_bfloat16S0_LN4vllm18Fp8KVCacheDataTypeE0EhLi16ELi128ELi256ELb1ELi3EEvPKT_PKT0_S8_ifPKiSA_SA_iPKfiiiPfSD_PS3_PT2_iSC_SC_:
	.asciz	"void paged_attention_ll4mi_QKV_mfma4_kernel(const scalar_t *__restrict, const cache_t *__restrict, const cache_t *__restrict, const int, const float, const int *__restrict, const int *__restrict, const int *__restrict, const int, const float *__restrict, const int, const int, const int, float *__restrict, float *__restrict, scalar_t *__restrict, OUTT *__restrict, int, const float *, const float *) [scalar_t = __hip_bfloat16, cache_t = __hip_bfloat16, KV_DTYPE = vllm::Fp8KVCacheDataType::kAuto, OUTT = unsigned char, BLOCK_SIZE = 16, HEAD_SIZE = 128, NUM_THREADS = 256, ALIBI_ENABLED = true, GQA_RATIO = 3]"
	.size	__PRETTY_FUNCTION__._Z38paged_attention_ll4mi_QKV_mfma4_kernelI14__hip_bfloat16S0_LN4vllm18Fp8KVCacheDataTypeE0EhLi16ELi128ELi256ELb1ELi3EEvPKT_PKT0_S8_ifPKiSA_SA_iPKfiiiPfSD_PS3_PT2_iSC_SC_, 611

	.type	__PRETTY_FUNCTION__._Z38paged_attention_ll4mi_QKV_mfma4_kernelI14__hip_bfloat16S0_LN4vllm18Fp8KVCacheDataTypeE0EhLi16ELi128ELi256ELb1ELi4EEvPKT_PKT0_S8_ifPKiSA_SA_iPKfiiiPfSD_PS3_PT2_iSC_SC_,@object ; @__PRETTY_FUNCTION__._Z38paged_attention_ll4mi_QKV_mfma4_kernelI14__hip_bfloat16S0_LN4vllm18Fp8KVCacheDataTypeE0EhLi16ELi128ELi256ELb1ELi4EEvPKT_PKT0_S8_ifPKiSA_SA_iPKfiiiPfSD_PS3_PT2_iSC_SC_
__PRETTY_FUNCTION__._Z38paged_attention_ll4mi_QKV_mfma4_kernelI14__hip_bfloat16S0_LN4vllm18Fp8KVCacheDataTypeE0EhLi16ELi128ELi256ELb1ELi4EEvPKT_PKT0_S8_ifPKiSA_SA_iPKfiiiPfSD_PS3_PT2_iSC_SC_:
	.asciz	"void paged_attention_ll4mi_QKV_mfma4_kernel(const scalar_t *__restrict, const cache_t *__restrict, const cache_t *__restrict, const int, const float, const int *__restrict, const int *__restrict, const int *__restrict, const int, const float *__restrict, const int, const int, const int, float *__restrict, float *__restrict, scalar_t *__restrict, OUTT *__restrict, int, const float *, const float *) [scalar_t = __hip_bfloat16, cache_t = __hip_bfloat16, KV_DTYPE = vllm::Fp8KVCacheDataType::kAuto, OUTT = unsigned char, BLOCK_SIZE = 16, HEAD_SIZE = 128, NUM_THREADS = 256, ALIBI_ENABLED = true, GQA_RATIO = 4]"
	.size	__PRETTY_FUNCTION__._Z38paged_attention_ll4mi_QKV_mfma4_kernelI14__hip_bfloat16S0_LN4vllm18Fp8KVCacheDataTypeE0EhLi16ELi128ELi256ELb1ELi4EEvPKT_PKT0_S8_ifPKiSA_SA_iPKfiiiPfSD_PS3_PT2_iSC_SC_, 611

	.type	__PRETTY_FUNCTION__._Z38paged_attention_ll4mi_QKV_mfma4_kernelI14__hip_bfloat16S0_LN4vllm18Fp8KVCacheDataTypeE0EhLi16ELi128ELi256ELb0ELi1EEvPKT_PKT0_S8_ifPKiSA_SA_iPKfiiiPfSD_PS3_PT2_iSC_SC_,@object ; @__PRETTY_FUNCTION__._Z38paged_attention_ll4mi_QKV_mfma4_kernelI14__hip_bfloat16S0_LN4vllm18Fp8KVCacheDataTypeE0EhLi16ELi128ELi256ELb0ELi1EEvPKT_PKT0_S8_ifPKiSA_SA_iPKfiiiPfSD_PS3_PT2_iSC_SC_
__PRETTY_FUNCTION__._Z38paged_attention_ll4mi_QKV_mfma4_kernelI14__hip_bfloat16S0_LN4vllm18Fp8KVCacheDataTypeE0EhLi16ELi128ELi256ELb0ELi1EEvPKT_PKT0_S8_ifPKiSA_SA_iPKfiiiPfSD_PS3_PT2_iSC_SC_:
	.asciz	"void paged_attention_ll4mi_QKV_mfma4_kernel(const scalar_t *__restrict, const cache_t *__restrict, const cache_t *__restrict, const int, const float, const int *__restrict, const int *__restrict, const int *__restrict, const int, const float *__restrict, const int, const int, const int, float *__restrict, float *__restrict, scalar_t *__restrict, OUTT *__restrict, int, const float *, const float *) [scalar_t = __hip_bfloat16, cache_t = __hip_bfloat16, KV_DTYPE = vllm::Fp8KVCacheDataType::kAuto, OUTT = unsigned char, BLOCK_SIZE = 16, HEAD_SIZE = 128, NUM_THREADS = 256, ALIBI_ENABLED = false, GQA_RATIO = 1]"
	.size	__PRETTY_FUNCTION__._Z38paged_attention_ll4mi_QKV_mfma4_kernelI14__hip_bfloat16S0_LN4vllm18Fp8KVCacheDataTypeE0EhLi16ELi128ELi256ELb0ELi1EEvPKT_PKT0_S8_ifPKiSA_SA_iPKfiiiPfSD_PS3_PT2_iSC_SC_, 612

	.type	__PRETTY_FUNCTION__._Z38paged_attention_ll4mi_QKV_mfma4_kernelI14__hip_bfloat16S0_LN4vllm18Fp8KVCacheDataTypeE0EhLi16ELi128ELi256ELb0ELi2EEvPKT_PKT0_S8_ifPKiSA_SA_iPKfiiiPfSD_PS3_PT2_iSC_SC_,@object ; @__PRETTY_FUNCTION__._Z38paged_attention_ll4mi_QKV_mfma4_kernelI14__hip_bfloat16S0_LN4vllm18Fp8KVCacheDataTypeE0EhLi16ELi128ELi256ELb0ELi2EEvPKT_PKT0_S8_ifPKiSA_SA_iPKfiiiPfSD_PS3_PT2_iSC_SC_
__PRETTY_FUNCTION__._Z38paged_attention_ll4mi_QKV_mfma4_kernelI14__hip_bfloat16S0_LN4vllm18Fp8KVCacheDataTypeE0EhLi16ELi128ELi256ELb0ELi2EEvPKT_PKT0_S8_ifPKiSA_SA_iPKfiiiPfSD_PS3_PT2_iSC_SC_:
	.asciz	"void paged_attention_ll4mi_QKV_mfma4_kernel(const scalar_t *__restrict, const cache_t *__restrict, const cache_t *__restrict, const int, const float, const int *__restrict, const int *__restrict, const int *__restrict, const int, const float *__restrict, const int, const int, const int, float *__restrict, float *__restrict, scalar_t *__restrict, OUTT *__restrict, int, const float *, const float *) [scalar_t = __hip_bfloat16, cache_t = __hip_bfloat16, KV_DTYPE = vllm::Fp8KVCacheDataType::kAuto, OUTT = unsigned char, BLOCK_SIZE = 16, HEAD_SIZE = 128, NUM_THREADS = 256, ALIBI_ENABLED = false, GQA_RATIO = 2]"
	.size	__PRETTY_FUNCTION__._Z38paged_attention_ll4mi_QKV_mfma4_kernelI14__hip_bfloat16S0_LN4vllm18Fp8KVCacheDataTypeE0EhLi16ELi128ELi256ELb0ELi2EEvPKT_PKT0_S8_ifPKiSA_SA_iPKfiiiPfSD_PS3_PT2_iSC_SC_, 612

	.type	__PRETTY_FUNCTION__._Z38paged_attention_ll4mi_QKV_mfma4_kernelI14__hip_bfloat16S0_LN4vllm18Fp8KVCacheDataTypeE0EhLi16ELi128ELi256ELb0ELi3EEvPKT_PKT0_S8_ifPKiSA_SA_iPKfiiiPfSD_PS3_PT2_iSC_SC_,@object ; @__PRETTY_FUNCTION__._Z38paged_attention_ll4mi_QKV_mfma4_kernelI14__hip_bfloat16S0_LN4vllm18Fp8KVCacheDataTypeE0EhLi16ELi128ELi256ELb0ELi3EEvPKT_PKT0_S8_ifPKiSA_SA_iPKfiiiPfSD_PS3_PT2_iSC_SC_
__PRETTY_FUNCTION__._Z38paged_attention_ll4mi_QKV_mfma4_kernelI14__hip_bfloat16S0_LN4vllm18Fp8KVCacheDataTypeE0EhLi16ELi128ELi256ELb0ELi3EEvPKT_PKT0_S8_ifPKiSA_SA_iPKfiiiPfSD_PS3_PT2_iSC_SC_:
	.asciz	"void paged_attention_ll4mi_QKV_mfma4_kernel(const scalar_t *__restrict, const cache_t *__restrict, const cache_t *__restrict, const int, const float, const int *__restrict, const int *__restrict, const int *__restrict, const int, const float *__restrict, const int, const int, const int, float *__restrict, float *__restrict, scalar_t *__restrict, OUTT *__restrict, int, const float *, const float *) [scalar_t = __hip_bfloat16, cache_t = __hip_bfloat16, KV_DTYPE = vllm::Fp8KVCacheDataType::kAuto, OUTT = unsigned char, BLOCK_SIZE = 16, HEAD_SIZE = 128, NUM_THREADS = 256, ALIBI_ENABLED = false, GQA_RATIO = 3]"
	.size	__PRETTY_FUNCTION__._Z38paged_attention_ll4mi_QKV_mfma4_kernelI14__hip_bfloat16S0_LN4vllm18Fp8KVCacheDataTypeE0EhLi16ELi128ELi256ELb0ELi3EEvPKT_PKT0_S8_ifPKiSA_SA_iPKfiiiPfSD_PS3_PT2_iSC_SC_, 612

	.type	__PRETTY_FUNCTION__._Z38paged_attention_ll4mi_QKV_mfma4_kernelI14__hip_bfloat16S0_LN4vllm18Fp8KVCacheDataTypeE0EhLi16ELi128ELi256ELb0ELi4EEvPKT_PKT0_S8_ifPKiSA_SA_iPKfiiiPfSD_PS3_PT2_iSC_SC_,@object ; @__PRETTY_FUNCTION__._Z38paged_attention_ll4mi_QKV_mfma4_kernelI14__hip_bfloat16S0_LN4vllm18Fp8KVCacheDataTypeE0EhLi16ELi128ELi256ELb0ELi4EEvPKT_PKT0_S8_ifPKiSA_SA_iPKfiiiPfSD_PS3_PT2_iSC_SC_
__PRETTY_FUNCTION__._Z38paged_attention_ll4mi_QKV_mfma4_kernelI14__hip_bfloat16S0_LN4vllm18Fp8KVCacheDataTypeE0EhLi16ELi128ELi256ELb0ELi4EEvPKT_PKT0_S8_ifPKiSA_SA_iPKfiiiPfSD_PS3_PT2_iSC_SC_:
	.asciz	"void paged_attention_ll4mi_QKV_mfma4_kernel(const scalar_t *__restrict, const cache_t *__restrict, const cache_t *__restrict, const int, const float, const int *__restrict, const int *__restrict, const int *__restrict, const int, const float *__restrict, const int, const int, const int, float *__restrict, float *__restrict, scalar_t *__restrict, OUTT *__restrict, int, const float *, const float *) [scalar_t = __hip_bfloat16, cache_t = __hip_bfloat16, KV_DTYPE = vllm::Fp8KVCacheDataType::kAuto, OUTT = unsigned char, BLOCK_SIZE = 16, HEAD_SIZE = 128, NUM_THREADS = 256, ALIBI_ENABLED = false, GQA_RATIO = 4]"
	.size	__PRETTY_FUNCTION__._Z38paged_attention_ll4mi_QKV_mfma4_kernelI14__hip_bfloat16S0_LN4vllm18Fp8KVCacheDataTypeE0EhLi16ELi128ELi256ELb0ELi4EEvPKT_PKT0_S8_ifPKiSA_SA_iPKfiiiPfSD_PS3_PT2_iSC_SC_, 612

	.type	__PRETTY_FUNCTION__._Z38paged_attention_ll4mi_QKV_mfma4_kernelI14__hip_bfloat16S0_LN4vllm18Fp8KVCacheDataTypeE0ES0_Li16ELi128ELi256ELb1ELi1EEvPKT_PKT0_S8_ifPKiSA_SA_iPKfiiiPfSD_PS3_PT2_iSC_SC_,@object ; @__PRETTY_FUNCTION__._Z38paged_attention_ll4mi_QKV_mfma4_kernelI14__hip_bfloat16S0_LN4vllm18Fp8KVCacheDataTypeE0ES0_Li16ELi128ELi256ELb1ELi1EEvPKT_PKT0_S8_ifPKiSA_SA_iPKfiiiPfSD_PS3_PT2_iSC_SC_
__PRETTY_FUNCTION__._Z38paged_attention_ll4mi_QKV_mfma4_kernelI14__hip_bfloat16S0_LN4vllm18Fp8KVCacheDataTypeE0ES0_Li16ELi128ELi256ELb1ELi1EEvPKT_PKT0_S8_ifPKiSA_SA_iPKfiiiPfSD_PS3_PT2_iSC_SC_:
	.asciz	"void paged_attention_ll4mi_QKV_mfma4_kernel(const scalar_t *__restrict, const cache_t *__restrict, const cache_t *__restrict, const int, const float, const int *__restrict, const int *__restrict, const int *__restrict, const int, const float *__restrict, const int, const int, const int, float *__restrict, float *__restrict, scalar_t *__restrict, OUTT *__restrict, int, const float *, const float *) [scalar_t = __hip_bfloat16, cache_t = __hip_bfloat16, KV_DTYPE = vllm::Fp8KVCacheDataType::kAuto, OUTT = __hip_bfloat16, BLOCK_SIZE = 16, HEAD_SIZE = 128, NUM_THREADS = 256, ALIBI_ENABLED = true, GQA_RATIO = 1]"
	.size	__PRETTY_FUNCTION__._Z38paged_attention_ll4mi_QKV_mfma4_kernelI14__hip_bfloat16S0_LN4vllm18Fp8KVCacheDataTypeE0ES0_Li16ELi128ELi256ELb1ELi1EEvPKT_PKT0_S8_ifPKiSA_SA_iPKfiiiPfSD_PS3_PT2_iSC_SC_, 612

	.type	__PRETTY_FUNCTION__._Z38paged_attention_ll4mi_QKV_mfma4_kernelI14__hip_bfloat16S0_LN4vllm18Fp8KVCacheDataTypeE0ES0_Li16ELi128ELi256ELb1ELi2EEvPKT_PKT0_S8_ifPKiSA_SA_iPKfiiiPfSD_PS3_PT2_iSC_SC_,@object ; @__PRETTY_FUNCTION__._Z38paged_attention_ll4mi_QKV_mfma4_kernelI14__hip_bfloat16S0_LN4vllm18Fp8KVCacheDataTypeE0ES0_Li16ELi128ELi256ELb1ELi2EEvPKT_PKT0_S8_ifPKiSA_SA_iPKfiiiPfSD_PS3_PT2_iSC_SC_
__PRETTY_FUNCTION__._Z38paged_attention_ll4mi_QKV_mfma4_kernelI14__hip_bfloat16S0_LN4vllm18Fp8KVCacheDataTypeE0ES0_Li16ELi128ELi256ELb1ELi2EEvPKT_PKT0_S8_ifPKiSA_SA_iPKfiiiPfSD_PS3_PT2_iSC_SC_:
	.asciz	"void paged_attention_ll4mi_QKV_mfma4_kernel(const scalar_t *__restrict, const cache_t *__restrict, const cache_t *__restrict, const int, const float, const int *__restrict, const int *__restrict, const int *__restrict, const int, const float *__restrict, const int, const int, const int, float *__restrict, float *__restrict, scalar_t *__restrict, OUTT *__restrict, int, const float *, const float *) [scalar_t = __hip_bfloat16, cache_t = __hip_bfloat16, KV_DTYPE = vllm::Fp8KVCacheDataType::kAuto, OUTT = __hip_bfloat16, BLOCK_SIZE = 16, HEAD_SIZE = 128, NUM_THREADS = 256, ALIBI_ENABLED = true, GQA_RATIO = 2]"
	.size	__PRETTY_FUNCTION__._Z38paged_attention_ll4mi_QKV_mfma4_kernelI14__hip_bfloat16S0_LN4vllm18Fp8KVCacheDataTypeE0ES0_Li16ELi128ELi256ELb1ELi2EEvPKT_PKT0_S8_ifPKiSA_SA_iPKfiiiPfSD_PS3_PT2_iSC_SC_, 612

	.type	__PRETTY_FUNCTION__._Z38paged_attention_ll4mi_QKV_mfma4_kernelI14__hip_bfloat16S0_LN4vllm18Fp8KVCacheDataTypeE0ES0_Li16ELi128ELi256ELb1ELi3EEvPKT_PKT0_S8_ifPKiSA_SA_iPKfiiiPfSD_PS3_PT2_iSC_SC_,@object ; @__PRETTY_FUNCTION__._Z38paged_attention_ll4mi_QKV_mfma4_kernelI14__hip_bfloat16S0_LN4vllm18Fp8KVCacheDataTypeE0ES0_Li16ELi128ELi256ELb1ELi3EEvPKT_PKT0_S8_ifPKiSA_SA_iPKfiiiPfSD_PS3_PT2_iSC_SC_
__PRETTY_FUNCTION__._Z38paged_attention_ll4mi_QKV_mfma4_kernelI14__hip_bfloat16S0_LN4vllm18Fp8KVCacheDataTypeE0ES0_Li16ELi128ELi256ELb1ELi3EEvPKT_PKT0_S8_ifPKiSA_SA_iPKfiiiPfSD_PS3_PT2_iSC_SC_:
	.asciz	"void paged_attention_ll4mi_QKV_mfma4_kernel(const scalar_t *__restrict, const cache_t *__restrict, const cache_t *__restrict, const int, const float, const int *__restrict, const int *__restrict, const int *__restrict, const int, const float *__restrict, const int, const int, const int, float *__restrict, float *__restrict, scalar_t *__restrict, OUTT *__restrict, int, const float *, const float *) [scalar_t = __hip_bfloat16, cache_t = __hip_bfloat16, KV_DTYPE = vllm::Fp8KVCacheDataType::kAuto, OUTT = __hip_bfloat16, BLOCK_SIZE = 16, HEAD_SIZE = 128, NUM_THREADS = 256, ALIBI_ENABLED = true, GQA_RATIO = 3]"
	.size	__PRETTY_FUNCTION__._Z38paged_attention_ll4mi_QKV_mfma4_kernelI14__hip_bfloat16S0_LN4vllm18Fp8KVCacheDataTypeE0ES0_Li16ELi128ELi256ELb1ELi3EEvPKT_PKT0_S8_ifPKiSA_SA_iPKfiiiPfSD_PS3_PT2_iSC_SC_, 612

	.type	__PRETTY_FUNCTION__._Z38paged_attention_ll4mi_QKV_mfma4_kernelI14__hip_bfloat16S0_LN4vllm18Fp8KVCacheDataTypeE0ES0_Li16ELi128ELi256ELb1ELi4EEvPKT_PKT0_S8_ifPKiSA_SA_iPKfiiiPfSD_PS3_PT2_iSC_SC_,@object ; @__PRETTY_FUNCTION__._Z38paged_attention_ll4mi_QKV_mfma4_kernelI14__hip_bfloat16S0_LN4vllm18Fp8KVCacheDataTypeE0ES0_Li16ELi128ELi256ELb1ELi4EEvPKT_PKT0_S8_ifPKiSA_SA_iPKfiiiPfSD_PS3_PT2_iSC_SC_
__PRETTY_FUNCTION__._Z38paged_attention_ll4mi_QKV_mfma4_kernelI14__hip_bfloat16S0_LN4vllm18Fp8KVCacheDataTypeE0ES0_Li16ELi128ELi256ELb1ELi4EEvPKT_PKT0_S8_ifPKiSA_SA_iPKfiiiPfSD_PS3_PT2_iSC_SC_:
	.asciz	"void paged_attention_ll4mi_QKV_mfma4_kernel(const scalar_t *__restrict, const cache_t *__restrict, const cache_t *__restrict, const int, const float, const int *__restrict, const int *__restrict, const int *__restrict, const int, const float *__restrict, const int, const int, const int, float *__restrict, float *__restrict, scalar_t *__restrict, OUTT *__restrict, int, const float *, const float *) [scalar_t = __hip_bfloat16, cache_t = __hip_bfloat16, KV_DTYPE = vllm::Fp8KVCacheDataType::kAuto, OUTT = __hip_bfloat16, BLOCK_SIZE = 16, HEAD_SIZE = 128, NUM_THREADS = 256, ALIBI_ENABLED = true, GQA_RATIO = 4]"
	.size	__PRETTY_FUNCTION__._Z38paged_attention_ll4mi_QKV_mfma4_kernelI14__hip_bfloat16S0_LN4vllm18Fp8KVCacheDataTypeE0ES0_Li16ELi128ELi256ELb1ELi4EEvPKT_PKT0_S8_ifPKiSA_SA_iPKfiiiPfSD_PS3_PT2_iSC_SC_, 612

	.type	__PRETTY_FUNCTION__._Z38paged_attention_ll4mi_QKV_mfma4_kernelI14__hip_bfloat16S0_LN4vllm18Fp8KVCacheDataTypeE0ES0_Li16ELi128ELi256ELb0ELi1EEvPKT_PKT0_S8_ifPKiSA_SA_iPKfiiiPfSD_PS3_PT2_iSC_SC_,@object ; @__PRETTY_FUNCTION__._Z38paged_attention_ll4mi_QKV_mfma4_kernelI14__hip_bfloat16S0_LN4vllm18Fp8KVCacheDataTypeE0ES0_Li16ELi128ELi256ELb0ELi1EEvPKT_PKT0_S8_ifPKiSA_SA_iPKfiiiPfSD_PS3_PT2_iSC_SC_
__PRETTY_FUNCTION__._Z38paged_attention_ll4mi_QKV_mfma4_kernelI14__hip_bfloat16S0_LN4vllm18Fp8KVCacheDataTypeE0ES0_Li16ELi128ELi256ELb0ELi1EEvPKT_PKT0_S8_ifPKiSA_SA_iPKfiiiPfSD_PS3_PT2_iSC_SC_:
	.asciz	"void paged_attention_ll4mi_QKV_mfma4_kernel(const scalar_t *__restrict, const cache_t *__restrict, const cache_t *__restrict, const int, const float, const int *__restrict, const int *__restrict, const int *__restrict, const int, const float *__restrict, const int, const int, const int, float *__restrict, float *__restrict, scalar_t *__restrict, OUTT *__restrict, int, const float *, const float *) [scalar_t = __hip_bfloat16, cache_t = __hip_bfloat16, KV_DTYPE = vllm::Fp8KVCacheDataType::kAuto, OUTT = __hip_bfloat16, BLOCK_SIZE = 16, HEAD_SIZE = 128, NUM_THREADS = 256, ALIBI_ENABLED = false, GQA_RATIO = 1]"
	.size	__PRETTY_FUNCTION__._Z38paged_attention_ll4mi_QKV_mfma4_kernelI14__hip_bfloat16S0_LN4vllm18Fp8KVCacheDataTypeE0ES0_Li16ELi128ELi256ELb0ELi1EEvPKT_PKT0_S8_ifPKiSA_SA_iPKfiiiPfSD_PS3_PT2_iSC_SC_, 613

	.type	__PRETTY_FUNCTION__._Z38paged_attention_ll4mi_QKV_mfma4_kernelI14__hip_bfloat16S0_LN4vllm18Fp8KVCacheDataTypeE0ES0_Li16ELi128ELi256ELb0ELi2EEvPKT_PKT0_S8_ifPKiSA_SA_iPKfiiiPfSD_PS3_PT2_iSC_SC_,@object ; @__PRETTY_FUNCTION__._Z38paged_attention_ll4mi_QKV_mfma4_kernelI14__hip_bfloat16S0_LN4vllm18Fp8KVCacheDataTypeE0ES0_Li16ELi128ELi256ELb0ELi2EEvPKT_PKT0_S8_ifPKiSA_SA_iPKfiiiPfSD_PS3_PT2_iSC_SC_
__PRETTY_FUNCTION__._Z38paged_attention_ll4mi_QKV_mfma4_kernelI14__hip_bfloat16S0_LN4vllm18Fp8KVCacheDataTypeE0ES0_Li16ELi128ELi256ELb0ELi2EEvPKT_PKT0_S8_ifPKiSA_SA_iPKfiiiPfSD_PS3_PT2_iSC_SC_:
	.asciz	"void paged_attention_ll4mi_QKV_mfma4_kernel(const scalar_t *__restrict, const cache_t *__restrict, const cache_t *__restrict, const int, const float, const int *__restrict, const int *__restrict, const int *__restrict, const int, const float *__restrict, const int, const int, const int, float *__restrict, float *__restrict, scalar_t *__restrict, OUTT *__restrict, int, const float *, const float *) [scalar_t = __hip_bfloat16, cache_t = __hip_bfloat16, KV_DTYPE = vllm::Fp8KVCacheDataType::kAuto, OUTT = __hip_bfloat16, BLOCK_SIZE = 16, HEAD_SIZE = 128, NUM_THREADS = 256, ALIBI_ENABLED = false, GQA_RATIO = 2]"
	.size	__PRETTY_FUNCTION__._Z38paged_attention_ll4mi_QKV_mfma4_kernelI14__hip_bfloat16S0_LN4vllm18Fp8KVCacheDataTypeE0ES0_Li16ELi128ELi256ELb0ELi2EEvPKT_PKT0_S8_ifPKiSA_SA_iPKfiiiPfSD_PS3_PT2_iSC_SC_, 613

	.type	__PRETTY_FUNCTION__._Z38paged_attention_ll4mi_QKV_mfma4_kernelI14__hip_bfloat16S0_LN4vllm18Fp8KVCacheDataTypeE0ES0_Li16ELi128ELi256ELb0ELi3EEvPKT_PKT0_S8_ifPKiSA_SA_iPKfiiiPfSD_PS3_PT2_iSC_SC_,@object ; @__PRETTY_FUNCTION__._Z38paged_attention_ll4mi_QKV_mfma4_kernelI14__hip_bfloat16S0_LN4vllm18Fp8KVCacheDataTypeE0ES0_Li16ELi128ELi256ELb0ELi3EEvPKT_PKT0_S8_ifPKiSA_SA_iPKfiiiPfSD_PS3_PT2_iSC_SC_
__PRETTY_FUNCTION__._Z38paged_attention_ll4mi_QKV_mfma4_kernelI14__hip_bfloat16S0_LN4vllm18Fp8KVCacheDataTypeE0ES0_Li16ELi128ELi256ELb0ELi3EEvPKT_PKT0_S8_ifPKiSA_SA_iPKfiiiPfSD_PS3_PT2_iSC_SC_:
	.asciz	"void paged_attention_ll4mi_QKV_mfma4_kernel(const scalar_t *__restrict, const cache_t *__restrict, const cache_t *__restrict, const int, const float, const int *__restrict, const int *__restrict, const int *__restrict, const int, const float *__restrict, const int, const int, const int, float *__restrict, float *__restrict, scalar_t *__restrict, OUTT *__restrict, int, const float *, const float *) [scalar_t = __hip_bfloat16, cache_t = __hip_bfloat16, KV_DTYPE = vllm::Fp8KVCacheDataType::kAuto, OUTT = __hip_bfloat16, BLOCK_SIZE = 16, HEAD_SIZE = 128, NUM_THREADS = 256, ALIBI_ENABLED = false, GQA_RATIO = 3]"
	.size	__PRETTY_FUNCTION__._Z38paged_attention_ll4mi_QKV_mfma4_kernelI14__hip_bfloat16S0_LN4vllm18Fp8KVCacheDataTypeE0ES0_Li16ELi128ELi256ELb0ELi3EEvPKT_PKT0_S8_ifPKiSA_SA_iPKfiiiPfSD_PS3_PT2_iSC_SC_, 613

	.type	__PRETTY_FUNCTION__._Z38paged_attention_ll4mi_QKV_mfma4_kernelI14__hip_bfloat16S0_LN4vllm18Fp8KVCacheDataTypeE0ES0_Li16ELi128ELi256ELb0ELi4EEvPKT_PKT0_S8_ifPKiSA_SA_iPKfiiiPfSD_PS3_PT2_iSC_SC_,@object ; @__PRETTY_FUNCTION__._Z38paged_attention_ll4mi_QKV_mfma4_kernelI14__hip_bfloat16S0_LN4vllm18Fp8KVCacheDataTypeE0ES0_Li16ELi128ELi256ELb0ELi4EEvPKT_PKT0_S8_ifPKiSA_SA_iPKfiiiPfSD_PS3_PT2_iSC_SC_
__PRETTY_FUNCTION__._Z38paged_attention_ll4mi_QKV_mfma4_kernelI14__hip_bfloat16S0_LN4vllm18Fp8KVCacheDataTypeE0ES0_Li16ELi128ELi256ELb0ELi4EEvPKT_PKT0_S8_ifPKiSA_SA_iPKfiiiPfSD_PS3_PT2_iSC_SC_:
	.asciz	"void paged_attention_ll4mi_QKV_mfma4_kernel(const scalar_t *__restrict, const cache_t *__restrict, const cache_t *__restrict, const int, const float, const int *__restrict, const int *__restrict, const int *__restrict, const int, const float *__restrict, const int, const int, const int, float *__restrict, float *__restrict, scalar_t *__restrict, OUTT *__restrict, int, const float *, const float *) [scalar_t = __hip_bfloat16, cache_t = __hip_bfloat16, KV_DTYPE = vllm::Fp8KVCacheDataType::kAuto, OUTT = __hip_bfloat16, BLOCK_SIZE = 16, HEAD_SIZE = 128, NUM_THREADS = 256, ALIBI_ENABLED = false, GQA_RATIO = 4]"
	.size	__PRETTY_FUNCTION__._Z38paged_attention_ll4mi_QKV_mfma4_kernelI14__hip_bfloat16S0_LN4vllm18Fp8KVCacheDataTypeE0ES0_Li16ELi128ELi256ELb0ELi4EEvPKT_PKT0_S8_ifPKiSA_SA_iPKfiiiPfSD_PS3_PT2_iSC_SC_, 613

	.type	__PRETTY_FUNCTION__._Z38paged_attention_ll4mi_QKV_mfma4_kernelI14__hip_bfloat16S0_LN4vllm18Fp8KVCacheDataTypeE0EhLi32ELi128ELi256ELb1ELi1EEvPKT_PKT0_S8_ifPKiSA_SA_iPKfiiiPfSD_PS3_PT2_iSC_SC_,@object ; @__PRETTY_FUNCTION__._Z38paged_attention_ll4mi_QKV_mfma4_kernelI14__hip_bfloat16S0_LN4vllm18Fp8KVCacheDataTypeE0EhLi32ELi128ELi256ELb1ELi1EEvPKT_PKT0_S8_ifPKiSA_SA_iPKfiiiPfSD_PS3_PT2_iSC_SC_
__PRETTY_FUNCTION__._Z38paged_attention_ll4mi_QKV_mfma4_kernelI14__hip_bfloat16S0_LN4vllm18Fp8KVCacheDataTypeE0EhLi32ELi128ELi256ELb1ELi1EEvPKT_PKT0_S8_ifPKiSA_SA_iPKfiiiPfSD_PS3_PT2_iSC_SC_:
	.asciz	"void paged_attention_ll4mi_QKV_mfma4_kernel(const scalar_t *__restrict, const cache_t *__restrict, const cache_t *__restrict, const int, const float, const int *__restrict, const int *__restrict, const int *__restrict, const int, const float *__restrict, const int, const int, const int, float *__restrict, float *__restrict, scalar_t *__restrict, OUTT *__restrict, int, const float *, const float *) [scalar_t = __hip_bfloat16, cache_t = __hip_bfloat16, KV_DTYPE = vllm::Fp8KVCacheDataType::kAuto, OUTT = unsigned char, BLOCK_SIZE = 32, HEAD_SIZE = 128, NUM_THREADS = 256, ALIBI_ENABLED = true, GQA_RATIO = 1]"
	.size	__PRETTY_FUNCTION__._Z38paged_attention_ll4mi_QKV_mfma4_kernelI14__hip_bfloat16S0_LN4vllm18Fp8KVCacheDataTypeE0EhLi32ELi128ELi256ELb1ELi1EEvPKT_PKT0_S8_ifPKiSA_SA_iPKfiiiPfSD_PS3_PT2_iSC_SC_, 611

	.type	__PRETTY_FUNCTION__._Z38paged_attention_ll4mi_QKV_mfma4_kernelI14__hip_bfloat16S0_LN4vllm18Fp8KVCacheDataTypeE0EhLi32ELi128ELi256ELb1ELi2EEvPKT_PKT0_S8_ifPKiSA_SA_iPKfiiiPfSD_PS3_PT2_iSC_SC_,@object ; @__PRETTY_FUNCTION__._Z38paged_attention_ll4mi_QKV_mfma4_kernelI14__hip_bfloat16S0_LN4vllm18Fp8KVCacheDataTypeE0EhLi32ELi128ELi256ELb1ELi2EEvPKT_PKT0_S8_ifPKiSA_SA_iPKfiiiPfSD_PS3_PT2_iSC_SC_
__PRETTY_FUNCTION__._Z38paged_attention_ll4mi_QKV_mfma4_kernelI14__hip_bfloat16S0_LN4vllm18Fp8KVCacheDataTypeE0EhLi32ELi128ELi256ELb1ELi2EEvPKT_PKT0_S8_ifPKiSA_SA_iPKfiiiPfSD_PS3_PT2_iSC_SC_:
	.asciz	"void paged_attention_ll4mi_QKV_mfma4_kernel(const scalar_t *__restrict, const cache_t *__restrict, const cache_t *__restrict, const int, const float, const int *__restrict, const int *__restrict, const int *__restrict, const int, const float *__restrict, const int, const int, const int, float *__restrict, float *__restrict, scalar_t *__restrict, OUTT *__restrict, int, const float *, const float *) [scalar_t = __hip_bfloat16, cache_t = __hip_bfloat16, KV_DTYPE = vllm::Fp8KVCacheDataType::kAuto, OUTT = unsigned char, BLOCK_SIZE = 32, HEAD_SIZE = 128, NUM_THREADS = 256, ALIBI_ENABLED = true, GQA_RATIO = 2]"
	.size	__PRETTY_FUNCTION__._Z38paged_attention_ll4mi_QKV_mfma4_kernelI14__hip_bfloat16S0_LN4vllm18Fp8KVCacheDataTypeE0EhLi32ELi128ELi256ELb1ELi2EEvPKT_PKT0_S8_ifPKiSA_SA_iPKfiiiPfSD_PS3_PT2_iSC_SC_, 611

	.type	__PRETTY_FUNCTION__._Z38paged_attention_ll4mi_QKV_mfma4_kernelI14__hip_bfloat16S0_LN4vllm18Fp8KVCacheDataTypeE0EhLi32ELi128ELi256ELb1ELi3EEvPKT_PKT0_S8_ifPKiSA_SA_iPKfiiiPfSD_PS3_PT2_iSC_SC_,@object ; @__PRETTY_FUNCTION__._Z38paged_attention_ll4mi_QKV_mfma4_kernelI14__hip_bfloat16S0_LN4vllm18Fp8KVCacheDataTypeE0EhLi32ELi128ELi256ELb1ELi3EEvPKT_PKT0_S8_ifPKiSA_SA_iPKfiiiPfSD_PS3_PT2_iSC_SC_
__PRETTY_FUNCTION__._Z38paged_attention_ll4mi_QKV_mfma4_kernelI14__hip_bfloat16S0_LN4vllm18Fp8KVCacheDataTypeE0EhLi32ELi128ELi256ELb1ELi3EEvPKT_PKT0_S8_ifPKiSA_SA_iPKfiiiPfSD_PS3_PT2_iSC_SC_:
	.asciz	"void paged_attention_ll4mi_QKV_mfma4_kernel(const scalar_t *__restrict, const cache_t *__restrict, const cache_t *__restrict, const int, const float, const int *__restrict, const int *__restrict, const int *__restrict, const int, const float *__restrict, const int, const int, const int, float *__restrict, float *__restrict, scalar_t *__restrict, OUTT *__restrict, int, const float *, const float *) [scalar_t = __hip_bfloat16, cache_t = __hip_bfloat16, KV_DTYPE = vllm::Fp8KVCacheDataType::kAuto, OUTT = unsigned char, BLOCK_SIZE = 32, HEAD_SIZE = 128, NUM_THREADS = 256, ALIBI_ENABLED = true, GQA_RATIO = 3]"
	.size	__PRETTY_FUNCTION__._Z38paged_attention_ll4mi_QKV_mfma4_kernelI14__hip_bfloat16S0_LN4vllm18Fp8KVCacheDataTypeE0EhLi32ELi128ELi256ELb1ELi3EEvPKT_PKT0_S8_ifPKiSA_SA_iPKfiiiPfSD_PS3_PT2_iSC_SC_, 611

	.type	__PRETTY_FUNCTION__._Z38paged_attention_ll4mi_QKV_mfma4_kernelI14__hip_bfloat16S0_LN4vllm18Fp8KVCacheDataTypeE0EhLi32ELi128ELi256ELb1ELi4EEvPKT_PKT0_S8_ifPKiSA_SA_iPKfiiiPfSD_PS3_PT2_iSC_SC_,@object ; @__PRETTY_FUNCTION__._Z38paged_attention_ll4mi_QKV_mfma4_kernelI14__hip_bfloat16S0_LN4vllm18Fp8KVCacheDataTypeE0EhLi32ELi128ELi256ELb1ELi4EEvPKT_PKT0_S8_ifPKiSA_SA_iPKfiiiPfSD_PS3_PT2_iSC_SC_
__PRETTY_FUNCTION__._Z38paged_attention_ll4mi_QKV_mfma4_kernelI14__hip_bfloat16S0_LN4vllm18Fp8KVCacheDataTypeE0EhLi32ELi128ELi256ELb1ELi4EEvPKT_PKT0_S8_ifPKiSA_SA_iPKfiiiPfSD_PS3_PT2_iSC_SC_:
	.asciz	"void paged_attention_ll4mi_QKV_mfma4_kernel(const scalar_t *__restrict, const cache_t *__restrict, const cache_t *__restrict, const int, const float, const int *__restrict, const int *__restrict, const int *__restrict, const int, const float *__restrict, const int, const int, const int, float *__restrict, float *__restrict, scalar_t *__restrict, OUTT *__restrict, int, const float *, const float *) [scalar_t = __hip_bfloat16, cache_t = __hip_bfloat16, KV_DTYPE = vllm::Fp8KVCacheDataType::kAuto, OUTT = unsigned char, BLOCK_SIZE = 32, HEAD_SIZE = 128, NUM_THREADS = 256, ALIBI_ENABLED = true, GQA_RATIO = 4]"
	.size	__PRETTY_FUNCTION__._Z38paged_attention_ll4mi_QKV_mfma4_kernelI14__hip_bfloat16S0_LN4vllm18Fp8KVCacheDataTypeE0EhLi32ELi128ELi256ELb1ELi4EEvPKT_PKT0_S8_ifPKiSA_SA_iPKfiiiPfSD_PS3_PT2_iSC_SC_, 611

	.type	__PRETTY_FUNCTION__._Z38paged_attention_ll4mi_QKV_mfma4_kernelI14__hip_bfloat16S0_LN4vllm18Fp8KVCacheDataTypeE0EhLi32ELi128ELi256ELb0ELi1EEvPKT_PKT0_S8_ifPKiSA_SA_iPKfiiiPfSD_PS3_PT2_iSC_SC_,@object ; @__PRETTY_FUNCTION__._Z38paged_attention_ll4mi_QKV_mfma4_kernelI14__hip_bfloat16S0_LN4vllm18Fp8KVCacheDataTypeE0EhLi32ELi128ELi256ELb0ELi1EEvPKT_PKT0_S8_ifPKiSA_SA_iPKfiiiPfSD_PS3_PT2_iSC_SC_
__PRETTY_FUNCTION__._Z38paged_attention_ll4mi_QKV_mfma4_kernelI14__hip_bfloat16S0_LN4vllm18Fp8KVCacheDataTypeE0EhLi32ELi128ELi256ELb0ELi1EEvPKT_PKT0_S8_ifPKiSA_SA_iPKfiiiPfSD_PS3_PT2_iSC_SC_:
	.asciz	"void paged_attention_ll4mi_QKV_mfma4_kernel(const scalar_t *__restrict, const cache_t *__restrict, const cache_t *__restrict, const int, const float, const int *__restrict, const int *__restrict, const int *__restrict, const int, const float *__restrict, const int, const int, const int, float *__restrict, float *__restrict, scalar_t *__restrict, OUTT *__restrict, int, const float *, const float *) [scalar_t = __hip_bfloat16, cache_t = __hip_bfloat16, KV_DTYPE = vllm::Fp8KVCacheDataType::kAuto, OUTT = unsigned char, BLOCK_SIZE = 32, HEAD_SIZE = 128, NUM_THREADS = 256, ALIBI_ENABLED = false, GQA_RATIO = 1]"
	.size	__PRETTY_FUNCTION__._Z38paged_attention_ll4mi_QKV_mfma4_kernelI14__hip_bfloat16S0_LN4vllm18Fp8KVCacheDataTypeE0EhLi32ELi128ELi256ELb0ELi1EEvPKT_PKT0_S8_ifPKiSA_SA_iPKfiiiPfSD_PS3_PT2_iSC_SC_, 612

	.type	__PRETTY_FUNCTION__._Z38paged_attention_ll4mi_QKV_mfma4_kernelI14__hip_bfloat16S0_LN4vllm18Fp8KVCacheDataTypeE0EhLi32ELi128ELi256ELb0ELi2EEvPKT_PKT0_S8_ifPKiSA_SA_iPKfiiiPfSD_PS3_PT2_iSC_SC_,@object ; @__PRETTY_FUNCTION__._Z38paged_attention_ll4mi_QKV_mfma4_kernelI14__hip_bfloat16S0_LN4vllm18Fp8KVCacheDataTypeE0EhLi32ELi128ELi256ELb0ELi2EEvPKT_PKT0_S8_ifPKiSA_SA_iPKfiiiPfSD_PS3_PT2_iSC_SC_
__PRETTY_FUNCTION__._Z38paged_attention_ll4mi_QKV_mfma4_kernelI14__hip_bfloat16S0_LN4vllm18Fp8KVCacheDataTypeE0EhLi32ELi128ELi256ELb0ELi2EEvPKT_PKT0_S8_ifPKiSA_SA_iPKfiiiPfSD_PS3_PT2_iSC_SC_:
	.asciz	"void paged_attention_ll4mi_QKV_mfma4_kernel(const scalar_t *__restrict, const cache_t *__restrict, const cache_t *__restrict, const int, const float, const int *__restrict, const int *__restrict, const int *__restrict, const int, const float *__restrict, const int, const int, const int, float *__restrict, float *__restrict, scalar_t *__restrict, OUTT *__restrict, int, const float *, const float *) [scalar_t = __hip_bfloat16, cache_t = __hip_bfloat16, KV_DTYPE = vllm::Fp8KVCacheDataType::kAuto, OUTT = unsigned char, BLOCK_SIZE = 32, HEAD_SIZE = 128, NUM_THREADS = 256, ALIBI_ENABLED = false, GQA_RATIO = 2]"
	.size	__PRETTY_FUNCTION__._Z38paged_attention_ll4mi_QKV_mfma4_kernelI14__hip_bfloat16S0_LN4vllm18Fp8KVCacheDataTypeE0EhLi32ELi128ELi256ELb0ELi2EEvPKT_PKT0_S8_ifPKiSA_SA_iPKfiiiPfSD_PS3_PT2_iSC_SC_, 612

	.type	__PRETTY_FUNCTION__._Z38paged_attention_ll4mi_QKV_mfma4_kernelI14__hip_bfloat16S0_LN4vllm18Fp8KVCacheDataTypeE0EhLi32ELi128ELi256ELb0ELi3EEvPKT_PKT0_S8_ifPKiSA_SA_iPKfiiiPfSD_PS3_PT2_iSC_SC_,@object ; @__PRETTY_FUNCTION__._Z38paged_attention_ll4mi_QKV_mfma4_kernelI14__hip_bfloat16S0_LN4vllm18Fp8KVCacheDataTypeE0EhLi32ELi128ELi256ELb0ELi3EEvPKT_PKT0_S8_ifPKiSA_SA_iPKfiiiPfSD_PS3_PT2_iSC_SC_
__PRETTY_FUNCTION__._Z38paged_attention_ll4mi_QKV_mfma4_kernelI14__hip_bfloat16S0_LN4vllm18Fp8KVCacheDataTypeE0EhLi32ELi128ELi256ELb0ELi3EEvPKT_PKT0_S8_ifPKiSA_SA_iPKfiiiPfSD_PS3_PT2_iSC_SC_:
	.asciz	"void paged_attention_ll4mi_QKV_mfma4_kernel(const scalar_t *__restrict, const cache_t *__restrict, const cache_t *__restrict, const int, const float, const int *__restrict, const int *__restrict, const int *__restrict, const int, const float *__restrict, const int, const int, const int, float *__restrict, float *__restrict, scalar_t *__restrict, OUTT *__restrict, int, const float *, const float *) [scalar_t = __hip_bfloat16, cache_t = __hip_bfloat16, KV_DTYPE = vllm::Fp8KVCacheDataType::kAuto, OUTT = unsigned char, BLOCK_SIZE = 32, HEAD_SIZE = 128, NUM_THREADS = 256, ALIBI_ENABLED = false, GQA_RATIO = 3]"
	.size	__PRETTY_FUNCTION__._Z38paged_attention_ll4mi_QKV_mfma4_kernelI14__hip_bfloat16S0_LN4vllm18Fp8KVCacheDataTypeE0EhLi32ELi128ELi256ELb0ELi3EEvPKT_PKT0_S8_ifPKiSA_SA_iPKfiiiPfSD_PS3_PT2_iSC_SC_, 612

	.type	__PRETTY_FUNCTION__._Z38paged_attention_ll4mi_QKV_mfma4_kernelI14__hip_bfloat16S0_LN4vllm18Fp8KVCacheDataTypeE0EhLi32ELi128ELi256ELb0ELi4EEvPKT_PKT0_S8_ifPKiSA_SA_iPKfiiiPfSD_PS3_PT2_iSC_SC_,@object ; @__PRETTY_FUNCTION__._Z38paged_attention_ll4mi_QKV_mfma4_kernelI14__hip_bfloat16S0_LN4vllm18Fp8KVCacheDataTypeE0EhLi32ELi128ELi256ELb0ELi4EEvPKT_PKT0_S8_ifPKiSA_SA_iPKfiiiPfSD_PS3_PT2_iSC_SC_
__PRETTY_FUNCTION__._Z38paged_attention_ll4mi_QKV_mfma4_kernelI14__hip_bfloat16S0_LN4vllm18Fp8KVCacheDataTypeE0EhLi32ELi128ELi256ELb0ELi4EEvPKT_PKT0_S8_ifPKiSA_SA_iPKfiiiPfSD_PS3_PT2_iSC_SC_:
	.asciz	"void paged_attention_ll4mi_QKV_mfma4_kernel(const scalar_t *__restrict, const cache_t *__restrict, const cache_t *__restrict, const int, const float, const int *__restrict, const int *__restrict, const int *__restrict, const int, const float *__restrict, const int, const int, const int, float *__restrict, float *__restrict, scalar_t *__restrict, OUTT *__restrict, int, const float *, const float *) [scalar_t = __hip_bfloat16, cache_t = __hip_bfloat16, KV_DTYPE = vllm::Fp8KVCacheDataType::kAuto, OUTT = unsigned char, BLOCK_SIZE = 32, HEAD_SIZE = 128, NUM_THREADS = 256, ALIBI_ENABLED = false, GQA_RATIO = 4]"
	.size	__PRETTY_FUNCTION__._Z38paged_attention_ll4mi_QKV_mfma4_kernelI14__hip_bfloat16S0_LN4vllm18Fp8KVCacheDataTypeE0EhLi32ELi128ELi256ELb0ELi4EEvPKT_PKT0_S8_ifPKiSA_SA_iPKfiiiPfSD_PS3_PT2_iSC_SC_, 612

	.type	__PRETTY_FUNCTION__._Z38paged_attention_ll4mi_QKV_mfma4_kernelI14__hip_bfloat16S0_LN4vllm18Fp8KVCacheDataTypeE0ES0_Li32ELi128ELi256ELb1ELi1EEvPKT_PKT0_S8_ifPKiSA_SA_iPKfiiiPfSD_PS3_PT2_iSC_SC_,@object ; @__PRETTY_FUNCTION__._Z38paged_attention_ll4mi_QKV_mfma4_kernelI14__hip_bfloat16S0_LN4vllm18Fp8KVCacheDataTypeE0ES0_Li32ELi128ELi256ELb1ELi1EEvPKT_PKT0_S8_ifPKiSA_SA_iPKfiiiPfSD_PS3_PT2_iSC_SC_
__PRETTY_FUNCTION__._Z38paged_attention_ll4mi_QKV_mfma4_kernelI14__hip_bfloat16S0_LN4vllm18Fp8KVCacheDataTypeE0ES0_Li32ELi128ELi256ELb1ELi1EEvPKT_PKT0_S8_ifPKiSA_SA_iPKfiiiPfSD_PS3_PT2_iSC_SC_:
	.asciz	"void paged_attention_ll4mi_QKV_mfma4_kernel(const scalar_t *__restrict, const cache_t *__restrict, const cache_t *__restrict, const int, const float, const int *__restrict, const int *__restrict, const int *__restrict, const int, const float *__restrict, const int, const int, const int, float *__restrict, float *__restrict, scalar_t *__restrict, OUTT *__restrict, int, const float *, const float *) [scalar_t = __hip_bfloat16, cache_t = __hip_bfloat16, KV_DTYPE = vllm::Fp8KVCacheDataType::kAuto, OUTT = __hip_bfloat16, BLOCK_SIZE = 32, HEAD_SIZE = 128, NUM_THREADS = 256, ALIBI_ENABLED = true, GQA_RATIO = 1]"
	.size	__PRETTY_FUNCTION__._Z38paged_attention_ll4mi_QKV_mfma4_kernelI14__hip_bfloat16S0_LN4vllm18Fp8KVCacheDataTypeE0ES0_Li32ELi128ELi256ELb1ELi1EEvPKT_PKT0_S8_ifPKiSA_SA_iPKfiiiPfSD_PS3_PT2_iSC_SC_, 612

	.type	__PRETTY_FUNCTION__._Z38paged_attention_ll4mi_QKV_mfma4_kernelI14__hip_bfloat16S0_LN4vllm18Fp8KVCacheDataTypeE0ES0_Li32ELi128ELi256ELb1ELi2EEvPKT_PKT0_S8_ifPKiSA_SA_iPKfiiiPfSD_PS3_PT2_iSC_SC_,@object ; @__PRETTY_FUNCTION__._Z38paged_attention_ll4mi_QKV_mfma4_kernelI14__hip_bfloat16S0_LN4vllm18Fp8KVCacheDataTypeE0ES0_Li32ELi128ELi256ELb1ELi2EEvPKT_PKT0_S8_ifPKiSA_SA_iPKfiiiPfSD_PS3_PT2_iSC_SC_
__PRETTY_FUNCTION__._Z38paged_attention_ll4mi_QKV_mfma4_kernelI14__hip_bfloat16S0_LN4vllm18Fp8KVCacheDataTypeE0ES0_Li32ELi128ELi256ELb1ELi2EEvPKT_PKT0_S8_ifPKiSA_SA_iPKfiiiPfSD_PS3_PT2_iSC_SC_:
	.asciz	"void paged_attention_ll4mi_QKV_mfma4_kernel(const scalar_t *__restrict, const cache_t *__restrict, const cache_t *__restrict, const int, const float, const int *__restrict, const int *__restrict, const int *__restrict, const int, const float *__restrict, const int, const int, const int, float *__restrict, float *__restrict, scalar_t *__restrict, OUTT *__restrict, int, const float *, const float *) [scalar_t = __hip_bfloat16, cache_t = __hip_bfloat16, KV_DTYPE = vllm::Fp8KVCacheDataType::kAuto, OUTT = __hip_bfloat16, BLOCK_SIZE = 32, HEAD_SIZE = 128, NUM_THREADS = 256, ALIBI_ENABLED = true, GQA_RATIO = 2]"
	.size	__PRETTY_FUNCTION__._Z38paged_attention_ll4mi_QKV_mfma4_kernelI14__hip_bfloat16S0_LN4vllm18Fp8KVCacheDataTypeE0ES0_Li32ELi128ELi256ELb1ELi2EEvPKT_PKT0_S8_ifPKiSA_SA_iPKfiiiPfSD_PS3_PT2_iSC_SC_, 612

	.type	__PRETTY_FUNCTION__._Z38paged_attention_ll4mi_QKV_mfma4_kernelI14__hip_bfloat16S0_LN4vllm18Fp8KVCacheDataTypeE0ES0_Li32ELi128ELi256ELb1ELi3EEvPKT_PKT0_S8_ifPKiSA_SA_iPKfiiiPfSD_PS3_PT2_iSC_SC_,@object ; @__PRETTY_FUNCTION__._Z38paged_attention_ll4mi_QKV_mfma4_kernelI14__hip_bfloat16S0_LN4vllm18Fp8KVCacheDataTypeE0ES0_Li32ELi128ELi256ELb1ELi3EEvPKT_PKT0_S8_ifPKiSA_SA_iPKfiiiPfSD_PS3_PT2_iSC_SC_
__PRETTY_FUNCTION__._Z38paged_attention_ll4mi_QKV_mfma4_kernelI14__hip_bfloat16S0_LN4vllm18Fp8KVCacheDataTypeE0ES0_Li32ELi128ELi256ELb1ELi3EEvPKT_PKT0_S8_ifPKiSA_SA_iPKfiiiPfSD_PS3_PT2_iSC_SC_:
	.asciz	"void paged_attention_ll4mi_QKV_mfma4_kernel(const scalar_t *__restrict, const cache_t *__restrict, const cache_t *__restrict, const int, const float, const int *__restrict, const int *__restrict, const int *__restrict, const int, const float *__restrict, const int, const int, const int, float *__restrict, float *__restrict, scalar_t *__restrict, OUTT *__restrict, int, const float *, const float *) [scalar_t = __hip_bfloat16, cache_t = __hip_bfloat16, KV_DTYPE = vllm::Fp8KVCacheDataType::kAuto, OUTT = __hip_bfloat16, BLOCK_SIZE = 32, HEAD_SIZE = 128, NUM_THREADS = 256, ALIBI_ENABLED = true, GQA_RATIO = 3]"
	.size	__PRETTY_FUNCTION__._Z38paged_attention_ll4mi_QKV_mfma4_kernelI14__hip_bfloat16S0_LN4vllm18Fp8KVCacheDataTypeE0ES0_Li32ELi128ELi256ELb1ELi3EEvPKT_PKT0_S8_ifPKiSA_SA_iPKfiiiPfSD_PS3_PT2_iSC_SC_, 612

	.type	__PRETTY_FUNCTION__._Z38paged_attention_ll4mi_QKV_mfma4_kernelI14__hip_bfloat16S0_LN4vllm18Fp8KVCacheDataTypeE0ES0_Li32ELi128ELi256ELb1ELi4EEvPKT_PKT0_S8_ifPKiSA_SA_iPKfiiiPfSD_PS3_PT2_iSC_SC_,@object ; @__PRETTY_FUNCTION__._Z38paged_attention_ll4mi_QKV_mfma4_kernelI14__hip_bfloat16S0_LN4vllm18Fp8KVCacheDataTypeE0ES0_Li32ELi128ELi256ELb1ELi4EEvPKT_PKT0_S8_ifPKiSA_SA_iPKfiiiPfSD_PS3_PT2_iSC_SC_
__PRETTY_FUNCTION__._Z38paged_attention_ll4mi_QKV_mfma4_kernelI14__hip_bfloat16S0_LN4vllm18Fp8KVCacheDataTypeE0ES0_Li32ELi128ELi256ELb1ELi4EEvPKT_PKT0_S8_ifPKiSA_SA_iPKfiiiPfSD_PS3_PT2_iSC_SC_:
	.asciz	"void paged_attention_ll4mi_QKV_mfma4_kernel(const scalar_t *__restrict, const cache_t *__restrict, const cache_t *__restrict, const int, const float, const int *__restrict, const int *__restrict, const int *__restrict, const int, const float *__restrict, const int, const int, const int, float *__restrict, float *__restrict, scalar_t *__restrict, OUTT *__restrict, int, const float *, const float *) [scalar_t = __hip_bfloat16, cache_t = __hip_bfloat16, KV_DTYPE = vllm::Fp8KVCacheDataType::kAuto, OUTT = __hip_bfloat16, BLOCK_SIZE = 32, HEAD_SIZE = 128, NUM_THREADS = 256, ALIBI_ENABLED = true, GQA_RATIO = 4]"
	.size	__PRETTY_FUNCTION__._Z38paged_attention_ll4mi_QKV_mfma4_kernelI14__hip_bfloat16S0_LN4vllm18Fp8KVCacheDataTypeE0ES0_Li32ELi128ELi256ELb1ELi4EEvPKT_PKT0_S8_ifPKiSA_SA_iPKfiiiPfSD_PS3_PT2_iSC_SC_, 612

	.type	__PRETTY_FUNCTION__._Z38paged_attention_ll4mi_QKV_mfma4_kernelI14__hip_bfloat16S0_LN4vllm18Fp8KVCacheDataTypeE0ES0_Li32ELi128ELi256ELb0ELi1EEvPKT_PKT0_S8_ifPKiSA_SA_iPKfiiiPfSD_PS3_PT2_iSC_SC_,@object ; @__PRETTY_FUNCTION__._Z38paged_attention_ll4mi_QKV_mfma4_kernelI14__hip_bfloat16S0_LN4vllm18Fp8KVCacheDataTypeE0ES0_Li32ELi128ELi256ELb0ELi1EEvPKT_PKT0_S8_ifPKiSA_SA_iPKfiiiPfSD_PS3_PT2_iSC_SC_
__PRETTY_FUNCTION__._Z38paged_attention_ll4mi_QKV_mfma4_kernelI14__hip_bfloat16S0_LN4vllm18Fp8KVCacheDataTypeE0ES0_Li32ELi128ELi256ELb0ELi1EEvPKT_PKT0_S8_ifPKiSA_SA_iPKfiiiPfSD_PS3_PT2_iSC_SC_:
	.asciz	"void paged_attention_ll4mi_QKV_mfma4_kernel(const scalar_t *__restrict, const cache_t *__restrict, const cache_t *__restrict, const int, const float, const int *__restrict, const int *__restrict, const int *__restrict, const int, const float *__restrict, const int, const int, const int, float *__restrict, float *__restrict, scalar_t *__restrict, OUTT *__restrict, int, const float *, const float *) [scalar_t = __hip_bfloat16, cache_t = __hip_bfloat16, KV_DTYPE = vllm::Fp8KVCacheDataType::kAuto, OUTT = __hip_bfloat16, BLOCK_SIZE = 32, HEAD_SIZE = 128, NUM_THREADS = 256, ALIBI_ENABLED = false, GQA_RATIO = 1]"
	.size	__PRETTY_FUNCTION__._Z38paged_attention_ll4mi_QKV_mfma4_kernelI14__hip_bfloat16S0_LN4vllm18Fp8KVCacheDataTypeE0ES0_Li32ELi128ELi256ELb0ELi1EEvPKT_PKT0_S8_ifPKiSA_SA_iPKfiiiPfSD_PS3_PT2_iSC_SC_, 613

	.type	__PRETTY_FUNCTION__._Z38paged_attention_ll4mi_QKV_mfma4_kernelI14__hip_bfloat16S0_LN4vllm18Fp8KVCacheDataTypeE0ES0_Li32ELi128ELi256ELb0ELi2EEvPKT_PKT0_S8_ifPKiSA_SA_iPKfiiiPfSD_PS3_PT2_iSC_SC_,@object ; @__PRETTY_FUNCTION__._Z38paged_attention_ll4mi_QKV_mfma4_kernelI14__hip_bfloat16S0_LN4vllm18Fp8KVCacheDataTypeE0ES0_Li32ELi128ELi256ELb0ELi2EEvPKT_PKT0_S8_ifPKiSA_SA_iPKfiiiPfSD_PS3_PT2_iSC_SC_
__PRETTY_FUNCTION__._Z38paged_attention_ll4mi_QKV_mfma4_kernelI14__hip_bfloat16S0_LN4vllm18Fp8KVCacheDataTypeE0ES0_Li32ELi128ELi256ELb0ELi2EEvPKT_PKT0_S8_ifPKiSA_SA_iPKfiiiPfSD_PS3_PT2_iSC_SC_:
	.asciz	"void paged_attention_ll4mi_QKV_mfma4_kernel(const scalar_t *__restrict, const cache_t *__restrict, const cache_t *__restrict, const int, const float, const int *__restrict, const int *__restrict, const int *__restrict, const int, const float *__restrict, const int, const int, const int, float *__restrict, float *__restrict, scalar_t *__restrict, OUTT *__restrict, int, const float *, const float *) [scalar_t = __hip_bfloat16, cache_t = __hip_bfloat16, KV_DTYPE = vllm::Fp8KVCacheDataType::kAuto, OUTT = __hip_bfloat16, BLOCK_SIZE = 32, HEAD_SIZE = 128, NUM_THREADS = 256, ALIBI_ENABLED = false, GQA_RATIO = 2]"
	.size	__PRETTY_FUNCTION__._Z38paged_attention_ll4mi_QKV_mfma4_kernelI14__hip_bfloat16S0_LN4vllm18Fp8KVCacheDataTypeE0ES0_Li32ELi128ELi256ELb0ELi2EEvPKT_PKT0_S8_ifPKiSA_SA_iPKfiiiPfSD_PS3_PT2_iSC_SC_, 613

	.type	__PRETTY_FUNCTION__._Z38paged_attention_ll4mi_QKV_mfma4_kernelI14__hip_bfloat16S0_LN4vllm18Fp8KVCacheDataTypeE0ES0_Li32ELi128ELi256ELb0ELi3EEvPKT_PKT0_S8_ifPKiSA_SA_iPKfiiiPfSD_PS3_PT2_iSC_SC_,@object ; @__PRETTY_FUNCTION__._Z38paged_attention_ll4mi_QKV_mfma4_kernelI14__hip_bfloat16S0_LN4vllm18Fp8KVCacheDataTypeE0ES0_Li32ELi128ELi256ELb0ELi3EEvPKT_PKT0_S8_ifPKiSA_SA_iPKfiiiPfSD_PS3_PT2_iSC_SC_
__PRETTY_FUNCTION__._Z38paged_attention_ll4mi_QKV_mfma4_kernelI14__hip_bfloat16S0_LN4vllm18Fp8KVCacheDataTypeE0ES0_Li32ELi128ELi256ELb0ELi3EEvPKT_PKT0_S8_ifPKiSA_SA_iPKfiiiPfSD_PS3_PT2_iSC_SC_:
	.asciz	"void paged_attention_ll4mi_QKV_mfma4_kernel(const scalar_t *__restrict, const cache_t *__restrict, const cache_t *__restrict, const int, const float, const int *__restrict, const int *__restrict, const int *__restrict, const int, const float *__restrict, const int, const int, const int, float *__restrict, float *__restrict, scalar_t *__restrict, OUTT *__restrict, int, const float *, const float *) [scalar_t = __hip_bfloat16, cache_t = __hip_bfloat16, KV_DTYPE = vllm::Fp8KVCacheDataType::kAuto, OUTT = __hip_bfloat16, BLOCK_SIZE = 32, HEAD_SIZE = 128, NUM_THREADS = 256, ALIBI_ENABLED = false, GQA_RATIO = 3]"
	.size	__PRETTY_FUNCTION__._Z38paged_attention_ll4mi_QKV_mfma4_kernelI14__hip_bfloat16S0_LN4vllm18Fp8KVCacheDataTypeE0ES0_Li32ELi128ELi256ELb0ELi3EEvPKT_PKT0_S8_ifPKiSA_SA_iPKfiiiPfSD_PS3_PT2_iSC_SC_, 613

	.type	__PRETTY_FUNCTION__._Z38paged_attention_ll4mi_QKV_mfma4_kernelI14__hip_bfloat16S0_LN4vllm18Fp8KVCacheDataTypeE0ES0_Li32ELi128ELi256ELb0ELi4EEvPKT_PKT0_S8_ifPKiSA_SA_iPKfiiiPfSD_PS3_PT2_iSC_SC_,@object ; @__PRETTY_FUNCTION__._Z38paged_attention_ll4mi_QKV_mfma4_kernelI14__hip_bfloat16S0_LN4vllm18Fp8KVCacheDataTypeE0ES0_Li32ELi128ELi256ELb0ELi4EEvPKT_PKT0_S8_ifPKiSA_SA_iPKfiiiPfSD_PS3_PT2_iSC_SC_
__PRETTY_FUNCTION__._Z38paged_attention_ll4mi_QKV_mfma4_kernelI14__hip_bfloat16S0_LN4vllm18Fp8KVCacheDataTypeE0ES0_Li32ELi128ELi256ELb0ELi4EEvPKT_PKT0_S8_ifPKiSA_SA_iPKfiiiPfSD_PS3_PT2_iSC_SC_:
	.asciz	"void paged_attention_ll4mi_QKV_mfma4_kernel(const scalar_t *__restrict, const cache_t *__restrict, const cache_t *__restrict, const int, const float, const int *__restrict, const int *__restrict, const int *__restrict, const int, const float *__restrict, const int, const int, const int, float *__restrict, float *__restrict, scalar_t *__restrict, OUTT *__restrict, int, const float *, const float *) [scalar_t = __hip_bfloat16, cache_t = __hip_bfloat16, KV_DTYPE = vllm::Fp8KVCacheDataType::kAuto, OUTT = __hip_bfloat16, BLOCK_SIZE = 32, HEAD_SIZE = 128, NUM_THREADS = 256, ALIBI_ENABLED = false, GQA_RATIO = 4]"
	.size	__PRETTY_FUNCTION__._Z38paged_attention_ll4mi_QKV_mfma4_kernelI14__hip_bfloat16S0_LN4vllm18Fp8KVCacheDataTypeE0ES0_Li32ELi128ELi256ELb0ELi4EEvPKT_PKT0_S8_ifPKiSA_SA_iPKfiiiPfSD_PS3_PT2_iSC_SC_, 613

	.type	__PRETTY_FUNCTION__._Z38paged_attention_ll4mi_QKV_mfma4_kernelIDF16_hLN4vllm18Fp8KVCacheDataTypeE1EhLi16ELi64ELi256ELb1ELi1EEvPKT_PKT0_S7_ifPKiS9_S9_iPKfiiiPfSC_PS2_PT2_iSB_SB_,@object ; @__PRETTY_FUNCTION__._Z38paged_attention_ll4mi_QKV_mfma4_kernelIDF16_hLN4vllm18Fp8KVCacheDataTypeE1EhLi16ELi64ELi256ELb1ELi1EEvPKT_PKT0_S7_ifPKiS9_S9_iPKfiiiPfSC_PS2_PT2_iSB_SB_
__PRETTY_FUNCTION__._Z38paged_attention_ll4mi_QKV_mfma4_kernelIDF16_hLN4vllm18Fp8KVCacheDataTypeE1EhLi16ELi64ELi256ELb1ELi1EEvPKT_PKT0_S7_ifPKiS9_S9_iPKfiiiPfSC_PS2_PT2_iSB_SB_:
	.asciz	"void paged_attention_ll4mi_QKV_mfma4_kernel(const scalar_t *__restrict, const cache_t *__restrict, const cache_t *__restrict, const int, const float, const int *__restrict, const int *__restrict, const int *__restrict, const int, const float *__restrict, const int, const int, const int, float *__restrict, float *__restrict, scalar_t *__restrict, OUTT *__restrict, int, const float *, const float *) [scalar_t = _Float16, cache_t = unsigned char, KV_DTYPE = vllm::Fp8KVCacheDataType::kFp8E4M3, OUTT = unsigned char, BLOCK_SIZE = 16, HEAD_SIZE = 64, NUM_THREADS = 256, ALIBI_ENABLED = true, GQA_RATIO = 1]"
	.size	__PRETTY_FUNCTION__._Z38paged_attention_ll4mi_QKV_mfma4_kernelIDF16_hLN4vllm18Fp8KVCacheDataTypeE1EhLi16ELi64ELi256ELb1ELi1EEvPKT_PKT0_S7_ifPKiS9_S9_iPKfiiiPfSC_PS2_PT2_iSB_SB_, 606

	.type	__PRETTY_FUNCTION__._Z38paged_attention_ll4mi_QKV_mfma4_kernelIDF16_hLN4vllm18Fp8KVCacheDataTypeE1EhLi16ELi64ELi256ELb1ELi2EEvPKT_PKT0_S7_ifPKiS9_S9_iPKfiiiPfSC_PS2_PT2_iSB_SB_,@object ; @__PRETTY_FUNCTION__._Z38paged_attention_ll4mi_QKV_mfma4_kernelIDF16_hLN4vllm18Fp8KVCacheDataTypeE1EhLi16ELi64ELi256ELb1ELi2EEvPKT_PKT0_S7_ifPKiS9_S9_iPKfiiiPfSC_PS2_PT2_iSB_SB_
__PRETTY_FUNCTION__._Z38paged_attention_ll4mi_QKV_mfma4_kernelIDF16_hLN4vllm18Fp8KVCacheDataTypeE1EhLi16ELi64ELi256ELb1ELi2EEvPKT_PKT0_S7_ifPKiS9_S9_iPKfiiiPfSC_PS2_PT2_iSB_SB_:
	.asciz	"void paged_attention_ll4mi_QKV_mfma4_kernel(const scalar_t *__restrict, const cache_t *__restrict, const cache_t *__restrict, const int, const float, const int *__restrict, const int *__restrict, const int *__restrict, const int, const float *__restrict, const int, const int, const int, float *__restrict, float *__restrict, scalar_t *__restrict, OUTT *__restrict, int, const float *, const float *) [scalar_t = _Float16, cache_t = unsigned char, KV_DTYPE = vllm::Fp8KVCacheDataType::kFp8E4M3, OUTT = unsigned char, BLOCK_SIZE = 16, HEAD_SIZE = 64, NUM_THREADS = 256, ALIBI_ENABLED = true, GQA_RATIO = 2]"
	.size	__PRETTY_FUNCTION__._Z38paged_attention_ll4mi_QKV_mfma4_kernelIDF16_hLN4vllm18Fp8KVCacheDataTypeE1EhLi16ELi64ELi256ELb1ELi2EEvPKT_PKT0_S7_ifPKiS9_S9_iPKfiiiPfSC_PS2_PT2_iSB_SB_, 606

	.type	__PRETTY_FUNCTION__._Z38paged_attention_ll4mi_QKV_mfma4_kernelIDF16_hLN4vllm18Fp8KVCacheDataTypeE1EhLi16ELi64ELi256ELb1ELi3EEvPKT_PKT0_S7_ifPKiS9_S9_iPKfiiiPfSC_PS2_PT2_iSB_SB_,@object ; @__PRETTY_FUNCTION__._Z38paged_attention_ll4mi_QKV_mfma4_kernelIDF16_hLN4vllm18Fp8KVCacheDataTypeE1EhLi16ELi64ELi256ELb1ELi3EEvPKT_PKT0_S7_ifPKiS9_S9_iPKfiiiPfSC_PS2_PT2_iSB_SB_
__PRETTY_FUNCTION__._Z38paged_attention_ll4mi_QKV_mfma4_kernelIDF16_hLN4vllm18Fp8KVCacheDataTypeE1EhLi16ELi64ELi256ELb1ELi3EEvPKT_PKT0_S7_ifPKiS9_S9_iPKfiiiPfSC_PS2_PT2_iSB_SB_:
	.asciz	"void paged_attention_ll4mi_QKV_mfma4_kernel(const scalar_t *__restrict, const cache_t *__restrict, const cache_t *__restrict, const int, const float, const int *__restrict, const int *__restrict, const int *__restrict, const int, const float *__restrict, const int, const int, const int, float *__restrict, float *__restrict, scalar_t *__restrict, OUTT *__restrict, int, const float *, const float *) [scalar_t = _Float16, cache_t = unsigned char, KV_DTYPE = vllm::Fp8KVCacheDataType::kFp8E4M3, OUTT = unsigned char, BLOCK_SIZE = 16, HEAD_SIZE = 64, NUM_THREADS = 256, ALIBI_ENABLED = true, GQA_RATIO = 3]"
	.size	__PRETTY_FUNCTION__._Z38paged_attention_ll4mi_QKV_mfma4_kernelIDF16_hLN4vllm18Fp8KVCacheDataTypeE1EhLi16ELi64ELi256ELb1ELi3EEvPKT_PKT0_S7_ifPKiS9_S9_iPKfiiiPfSC_PS2_PT2_iSB_SB_, 606

	.type	__PRETTY_FUNCTION__._Z38paged_attention_ll4mi_QKV_mfma4_kernelIDF16_hLN4vllm18Fp8KVCacheDataTypeE1EhLi16ELi64ELi256ELb1ELi4EEvPKT_PKT0_S7_ifPKiS9_S9_iPKfiiiPfSC_PS2_PT2_iSB_SB_,@object ; @__PRETTY_FUNCTION__._Z38paged_attention_ll4mi_QKV_mfma4_kernelIDF16_hLN4vllm18Fp8KVCacheDataTypeE1EhLi16ELi64ELi256ELb1ELi4EEvPKT_PKT0_S7_ifPKiS9_S9_iPKfiiiPfSC_PS2_PT2_iSB_SB_
__PRETTY_FUNCTION__._Z38paged_attention_ll4mi_QKV_mfma4_kernelIDF16_hLN4vllm18Fp8KVCacheDataTypeE1EhLi16ELi64ELi256ELb1ELi4EEvPKT_PKT0_S7_ifPKiS9_S9_iPKfiiiPfSC_PS2_PT2_iSB_SB_:
	.asciz	"void paged_attention_ll4mi_QKV_mfma4_kernel(const scalar_t *__restrict, const cache_t *__restrict, const cache_t *__restrict, const int, const float, const int *__restrict, const int *__restrict, const int *__restrict, const int, const float *__restrict, const int, const int, const int, float *__restrict, float *__restrict, scalar_t *__restrict, OUTT *__restrict, int, const float *, const float *) [scalar_t = _Float16, cache_t = unsigned char, KV_DTYPE = vllm::Fp8KVCacheDataType::kFp8E4M3, OUTT = unsigned char, BLOCK_SIZE = 16, HEAD_SIZE = 64, NUM_THREADS = 256, ALIBI_ENABLED = true, GQA_RATIO = 4]"
	.size	__PRETTY_FUNCTION__._Z38paged_attention_ll4mi_QKV_mfma4_kernelIDF16_hLN4vllm18Fp8KVCacheDataTypeE1EhLi16ELi64ELi256ELb1ELi4EEvPKT_PKT0_S7_ifPKiS9_S9_iPKfiiiPfSC_PS2_PT2_iSB_SB_, 606

	.type	__PRETTY_FUNCTION__._Z38paged_attention_ll4mi_QKV_mfma4_kernelIDF16_hLN4vllm18Fp8KVCacheDataTypeE1EhLi16ELi64ELi256ELb0ELi1EEvPKT_PKT0_S7_ifPKiS9_S9_iPKfiiiPfSC_PS2_PT2_iSB_SB_,@object ; @__PRETTY_FUNCTION__._Z38paged_attention_ll4mi_QKV_mfma4_kernelIDF16_hLN4vllm18Fp8KVCacheDataTypeE1EhLi16ELi64ELi256ELb0ELi1EEvPKT_PKT0_S7_ifPKiS9_S9_iPKfiiiPfSC_PS2_PT2_iSB_SB_
__PRETTY_FUNCTION__._Z38paged_attention_ll4mi_QKV_mfma4_kernelIDF16_hLN4vllm18Fp8KVCacheDataTypeE1EhLi16ELi64ELi256ELb0ELi1EEvPKT_PKT0_S7_ifPKiS9_S9_iPKfiiiPfSC_PS2_PT2_iSB_SB_:
	.asciz	"void paged_attention_ll4mi_QKV_mfma4_kernel(const scalar_t *__restrict, const cache_t *__restrict, const cache_t *__restrict, const int, const float, const int *__restrict, const int *__restrict, const int *__restrict, const int, const float *__restrict, const int, const int, const int, float *__restrict, float *__restrict, scalar_t *__restrict, OUTT *__restrict, int, const float *, const float *) [scalar_t = _Float16, cache_t = unsigned char, KV_DTYPE = vllm::Fp8KVCacheDataType::kFp8E4M3, OUTT = unsigned char, BLOCK_SIZE = 16, HEAD_SIZE = 64, NUM_THREADS = 256, ALIBI_ENABLED = false, GQA_RATIO = 1]"
	.size	__PRETTY_FUNCTION__._Z38paged_attention_ll4mi_QKV_mfma4_kernelIDF16_hLN4vllm18Fp8KVCacheDataTypeE1EhLi16ELi64ELi256ELb0ELi1EEvPKT_PKT0_S7_ifPKiS9_S9_iPKfiiiPfSC_PS2_PT2_iSB_SB_, 607

	.type	__PRETTY_FUNCTION__._Z38paged_attention_ll4mi_QKV_mfma4_kernelIDF16_hLN4vllm18Fp8KVCacheDataTypeE1EhLi16ELi64ELi256ELb0ELi2EEvPKT_PKT0_S7_ifPKiS9_S9_iPKfiiiPfSC_PS2_PT2_iSB_SB_,@object ; @__PRETTY_FUNCTION__._Z38paged_attention_ll4mi_QKV_mfma4_kernelIDF16_hLN4vllm18Fp8KVCacheDataTypeE1EhLi16ELi64ELi256ELb0ELi2EEvPKT_PKT0_S7_ifPKiS9_S9_iPKfiiiPfSC_PS2_PT2_iSB_SB_
__PRETTY_FUNCTION__._Z38paged_attention_ll4mi_QKV_mfma4_kernelIDF16_hLN4vllm18Fp8KVCacheDataTypeE1EhLi16ELi64ELi256ELb0ELi2EEvPKT_PKT0_S7_ifPKiS9_S9_iPKfiiiPfSC_PS2_PT2_iSB_SB_:
	.asciz	"void paged_attention_ll4mi_QKV_mfma4_kernel(const scalar_t *__restrict, const cache_t *__restrict, const cache_t *__restrict, const int, const float, const int *__restrict, const int *__restrict, const int *__restrict, const int, const float *__restrict, const int, const int, const int, float *__restrict, float *__restrict, scalar_t *__restrict, OUTT *__restrict, int, const float *, const float *) [scalar_t = _Float16, cache_t = unsigned char, KV_DTYPE = vllm::Fp8KVCacheDataType::kFp8E4M3, OUTT = unsigned char, BLOCK_SIZE = 16, HEAD_SIZE = 64, NUM_THREADS = 256, ALIBI_ENABLED = false, GQA_RATIO = 2]"
	.size	__PRETTY_FUNCTION__._Z38paged_attention_ll4mi_QKV_mfma4_kernelIDF16_hLN4vllm18Fp8KVCacheDataTypeE1EhLi16ELi64ELi256ELb0ELi2EEvPKT_PKT0_S7_ifPKiS9_S9_iPKfiiiPfSC_PS2_PT2_iSB_SB_, 607

	.type	__PRETTY_FUNCTION__._Z38paged_attention_ll4mi_QKV_mfma4_kernelIDF16_hLN4vllm18Fp8KVCacheDataTypeE1EhLi16ELi64ELi256ELb0ELi3EEvPKT_PKT0_S7_ifPKiS9_S9_iPKfiiiPfSC_PS2_PT2_iSB_SB_,@object ; @__PRETTY_FUNCTION__._Z38paged_attention_ll4mi_QKV_mfma4_kernelIDF16_hLN4vllm18Fp8KVCacheDataTypeE1EhLi16ELi64ELi256ELb0ELi3EEvPKT_PKT0_S7_ifPKiS9_S9_iPKfiiiPfSC_PS2_PT2_iSB_SB_
__PRETTY_FUNCTION__._Z38paged_attention_ll4mi_QKV_mfma4_kernelIDF16_hLN4vllm18Fp8KVCacheDataTypeE1EhLi16ELi64ELi256ELb0ELi3EEvPKT_PKT0_S7_ifPKiS9_S9_iPKfiiiPfSC_PS2_PT2_iSB_SB_:
	.asciz	"void paged_attention_ll4mi_QKV_mfma4_kernel(const scalar_t *__restrict, const cache_t *__restrict, const cache_t *__restrict, const int, const float, const int *__restrict, const int *__restrict, const int *__restrict, const int, const float *__restrict, const int, const int, const int, float *__restrict, float *__restrict, scalar_t *__restrict, OUTT *__restrict, int, const float *, const float *) [scalar_t = _Float16, cache_t = unsigned char, KV_DTYPE = vllm::Fp8KVCacheDataType::kFp8E4M3, OUTT = unsigned char, BLOCK_SIZE = 16, HEAD_SIZE = 64, NUM_THREADS = 256, ALIBI_ENABLED = false, GQA_RATIO = 3]"
	.size	__PRETTY_FUNCTION__._Z38paged_attention_ll4mi_QKV_mfma4_kernelIDF16_hLN4vllm18Fp8KVCacheDataTypeE1EhLi16ELi64ELi256ELb0ELi3EEvPKT_PKT0_S7_ifPKiS9_S9_iPKfiiiPfSC_PS2_PT2_iSB_SB_, 607

	.type	__PRETTY_FUNCTION__._Z38paged_attention_ll4mi_QKV_mfma4_kernelIDF16_hLN4vllm18Fp8KVCacheDataTypeE1EhLi16ELi64ELi256ELb0ELi4EEvPKT_PKT0_S7_ifPKiS9_S9_iPKfiiiPfSC_PS2_PT2_iSB_SB_,@object ; @__PRETTY_FUNCTION__._Z38paged_attention_ll4mi_QKV_mfma4_kernelIDF16_hLN4vllm18Fp8KVCacheDataTypeE1EhLi16ELi64ELi256ELb0ELi4EEvPKT_PKT0_S7_ifPKiS9_S9_iPKfiiiPfSC_PS2_PT2_iSB_SB_
__PRETTY_FUNCTION__._Z38paged_attention_ll4mi_QKV_mfma4_kernelIDF16_hLN4vllm18Fp8KVCacheDataTypeE1EhLi16ELi64ELi256ELb0ELi4EEvPKT_PKT0_S7_ifPKiS9_S9_iPKfiiiPfSC_PS2_PT2_iSB_SB_:
	.asciz	"void paged_attention_ll4mi_QKV_mfma4_kernel(const scalar_t *__restrict, const cache_t *__restrict, const cache_t *__restrict, const int, const float, const int *__restrict, const int *__restrict, const int *__restrict, const int, const float *__restrict, const int, const int, const int, float *__restrict, float *__restrict, scalar_t *__restrict, OUTT *__restrict, int, const float *, const float *) [scalar_t = _Float16, cache_t = unsigned char, KV_DTYPE = vllm::Fp8KVCacheDataType::kFp8E4M3, OUTT = unsigned char, BLOCK_SIZE = 16, HEAD_SIZE = 64, NUM_THREADS = 256, ALIBI_ENABLED = false, GQA_RATIO = 4]"
	.size	__PRETTY_FUNCTION__._Z38paged_attention_ll4mi_QKV_mfma4_kernelIDF16_hLN4vllm18Fp8KVCacheDataTypeE1EhLi16ELi64ELi256ELb0ELi4EEvPKT_PKT0_S7_ifPKiS9_S9_iPKfiiiPfSC_PS2_PT2_iSB_SB_, 607

	.type	__PRETTY_FUNCTION__._Z38paged_attention_ll4mi_QKV_mfma4_kernelIDF16_hLN4vllm18Fp8KVCacheDataTypeE1EDF16_Li16ELi64ELi256ELb1ELi1EEvPKT_PKT0_S7_ifPKiS9_S9_iPKfiiiPfSC_PS2_PT2_iSB_SB_,@object ; @__PRETTY_FUNCTION__._Z38paged_attention_ll4mi_QKV_mfma4_kernelIDF16_hLN4vllm18Fp8KVCacheDataTypeE1EDF16_Li16ELi64ELi256ELb1ELi1EEvPKT_PKT0_S7_ifPKiS9_S9_iPKfiiiPfSC_PS2_PT2_iSB_SB_
__PRETTY_FUNCTION__._Z38paged_attention_ll4mi_QKV_mfma4_kernelIDF16_hLN4vllm18Fp8KVCacheDataTypeE1EDF16_Li16ELi64ELi256ELb1ELi1EEvPKT_PKT0_S7_ifPKiS9_S9_iPKfiiiPfSC_PS2_PT2_iSB_SB_:
	.asciz	"void paged_attention_ll4mi_QKV_mfma4_kernel(const scalar_t *__restrict, const cache_t *__restrict, const cache_t *__restrict, const int, const float, const int *__restrict, const int *__restrict, const int *__restrict, const int, const float *__restrict, const int, const int, const int, float *__restrict, float *__restrict, scalar_t *__restrict, OUTT *__restrict, int, const float *, const float *) [scalar_t = _Float16, cache_t = unsigned char, KV_DTYPE = vllm::Fp8KVCacheDataType::kFp8E4M3, OUTT = _Float16, BLOCK_SIZE = 16, HEAD_SIZE = 64, NUM_THREADS = 256, ALIBI_ENABLED = true, GQA_RATIO = 1]"
	.size	__PRETTY_FUNCTION__._Z38paged_attention_ll4mi_QKV_mfma4_kernelIDF16_hLN4vllm18Fp8KVCacheDataTypeE1EDF16_Li16ELi64ELi256ELb1ELi1EEvPKT_PKT0_S7_ifPKiS9_S9_iPKfiiiPfSC_PS2_PT2_iSB_SB_, 601

	.type	__PRETTY_FUNCTION__._Z38paged_attention_ll4mi_QKV_mfma4_kernelIDF16_hLN4vllm18Fp8KVCacheDataTypeE1EDF16_Li16ELi64ELi256ELb1ELi2EEvPKT_PKT0_S7_ifPKiS9_S9_iPKfiiiPfSC_PS2_PT2_iSB_SB_,@object ; @__PRETTY_FUNCTION__._Z38paged_attention_ll4mi_QKV_mfma4_kernelIDF16_hLN4vllm18Fp8KVCacheDataTypeE1EDF16_Li16ELi64ELi256ELb1ELi2EEvPKT_PKT0_S7_ifPKiS9_S9_iPKfiiiPfSC_PS2_PT2_iSB_SB_
__PRETTY_FUNCTION__._Z38paged_attention_ll4mi_QKV_mfma4_kernelIDF16_hLN4vllm18Fp8KVCacheDataTypeE1EDF16_Li16ELi64ELi256ELb1ELi2EEvPKT_PKT0_S7_ifPKiS9_S9_iPKfiiiPfSC_PS2_PT2_iSB_SB_:
	.asciz	"void paged_attention_ll4mi_QKV_mfma4_kernel(const scalar_t *__restrict, const cache_t *__restrict, const cache_t *__restrict, const int, const float, const int *__restrict, const int *__restrict, const int *__restrict, const int, const float *__restrict, const int, const int, const int, float *__restrict, float *__restrict, scalar_t *__restrict, OUTT *__restrict, int, const float *, const float *) [scalar_t = _Float16, cache_t = unsigned char, KV_DTYPE = vllm::Fp8KVCacheDataType::kFp8E4M3, OUTT = _Float16, BLOCK_SIZE = 16, HEAD_SIZE = 64, NUM_THREADS = 256, ALIBI_ENABLED = true, GQA_RATIO = 2]"
	.size	__PRETTY_FUNCTION__._Z38paged_attention_ll4mi_QKV_mfma4_kernelIDF16_hLN4vllm18Fp8KVCacheDataTypeE1EDF16_Li16ELi64ELi256ELb1ELi2EEvPKT_PKT0_S7_ifPKiS9_S9_iPKfiiiPfSC_PS2_PT2_iSB_SB_, 601

	.type	__PRETTY_FUNCTION__._Z38paged_attention_ll4mi_QKV_mfma4_kernelIDF16_hLN4vllm18Fp8KVCacheDataTypeE1EDF16_Li16ELi64ELi256ELb1ELi3EEvPKT_PKT0_S7_ifPKiS9_S9_iPKfiiiPfSC_PS2_PT2_iSB_SB_,@object ; @__PRETTY_FUNCTION__._Z38paged_attention_ll4mi_QKV_mfma4_kernelIDF16_hLN4vllm18Fp8KVCacheDataTypeE1EDF16_Li16ELi64ELi256ELb1ELi3EEvPKT_PKT0_S7_ifPKiS9_S9_iPKfiiiPfSC_PS2_PT2_iSB_SB_
__PRETTY_FUNCTION__._Z38paged_attention_ll4mi_QKV_mfma4_kernelIDF16_hLN4vllm18Fp8KVCacheDataTypeE1EDF16_Li16ELi64ELi256ELb1ELi3EEvPKT_PKT0_S7_ifPKiS9_S9_iPKfiiiPfSC_PS2_PT2_iSB_SB_:
	.asciz	"void paged_attention_ll4mi_QKV_mfma4_kernel(const scalar_t *__restrict, const cache_t *__restrict, const cache_t *__restrict, const int, const float, const int *__restrict, const int *__restrict, const int *__restrict, const int, const float *__restrict, const int, const int, const int, float *__restrict, float *__restrict, scalar_t *__restrict, OUTT *__restrict, int, const float *, const float *) [scalar_t = _Float16, cache_t = unsigned char, KV_DTYPE = vllm::Fp8KVCacheDataType::kFp8E4M3, OUTT = _Float16, BLOCK_SIZE = 16, HEAD_SIZE = 64, NUM_THREADS = 256, ALIBI_ENABLED = true, GQA_RATIO = 3]"
	.size	__PRETTY_FUNCTION__._Z38paged_attention_ll4mi_QKV_mfma4_kernelIDF16_hLN4vllm18Fp8KVCacheDataTypeE1EDF16_Li16ELi64ELi256ELb1ELi3EEvPKT_PKT0_S7_ifPKiS9_S9_iPKfiiiPfSC_PS2_PT2_iSB_SB_, 601

	.type	__PRETTY_FUNCTION__._Z38paged_attention_ll4mi_QKV_mfma4_kernelIDF16_hLN4vllm18Fp8KVCacheDataTypeE1EDF16_Li16ELi64ELi256ELb1ELi4EEvPKT_PKT0_S7_ifPKiS9_S9_iPKfiiiPfSC_PS2_PT2_iSB_SB_,@object ; @__PRETTY_FUNCTION__._Z38paged_attention_ll4mi_QKV_mfma4_kernelIDF16_hLN4vllm18Fp8KVCacheDataTypeE1EDF16_Li16ELi64ELi256ELb1ELi4EEvPKT_PKT0_S7_ifPKiS9_S9_iPKfiiiPfSC_PS2_PT2_iSB_SB_
__PRETTY_FUNCTION__._Z38paged_attention_ll4mi_QKV_mfma4_kernelIDF16_hLN4vllm18Fp8KVCacheDataTypeE1EDF16_Li16ELi64ELi256ELb1ELi4EEvPKT_PKT0_S7_ifPKiS9_S9_iPKfiiiPfSC_PS2_PT2_iSB_SB_:
	.asciz	"void paged_attention_ll4mi_QKV_mfma4_kernel(const scalar_t *__restrict, const cache_t *__restrict, const cache_t *__restrict, const int, const float, const int *__restrict, const int *__restrict, const int *__restrict, const int, const float *__restrict, const int, const int, const int, float *__restrict, float *__restrict, scalar_t *__restrict, OUTT *__restrict, int, const float *, const float *) [scalar_t = _Float16, cache_t = unsigned char, KV_DTYPE = vllm::Fp8KVCacheDataType::kFp8E4M3, OUTT = _Float16, BLOCK_SIZE = 16, HEAD_SIZE = 64, NUM_THREADS = 256, ALIBI_ENABLED = true, GQA_RATIO = 4]"
	.size	__PRETTY_FUNCTION__._Z38paged_attention_ll4mi_QKV_mfma4_kernelIDF16_hLN4vllm18Fp8KVCacheDataTypeE1EDF16_Li16ELi64ELi256ELb1ELi4EEvPKT_PKT0_S7_ifPKiS9_S9_iPKfiiiPfSC_PS2_PT2_iSB_SB_, 601

	.type	__PRETTY_FUNCTION__._Z38paged_attention_ll4mi_QKV_mfma4_kernelIDF16_hLN4vllm18Fp8KVCacheDataTypeE1EDF16_Li16ELi64ELi256ELb0ELi1EEvPKT_PKT0_S7_ifPKiS9_S9_iPKfiiiPfSC_PS2_PT2_iSB_SB_,@object ; @__PRETTY_FUNCTION__._Z38paged_attention_ll4mi_QKV_mfma4_kernelIDF16_hLN4vllm18Fp8KVCacheDataTypeE1EDF16_Li16ELi64ELi256ELb0ELi1EEvPKT_PKT0_S7_ifPKiS9_S9_iPKfiiiPfSC_PS2_PT2_iSB_SB_
__PRETTY_FUNCTION__._Z38paged_attention_ll4mi_QKV_mfma4_kernelIDF16_hLN4vllm18Fp8KVCacheDataTypeE1EDF16_Li16ELi64ELi256ELb0ELi1EEvPKT_PKT0_S7_ifPKiS9_S9_iPKfiiiPfSC_PS2_PT2_iSB_SB_:
	.asciz	"void paged_attention_ll4mi_QKV_mfma4_kernel(const scalar_t *__restrict, const cache_t *__restrict, const cache_t *__restrict, const int, const float, const int *__restrict, const int *__restrict, const int *__restrict, const int, const float *__restrict, const int, const int, const int, float *__restrict, float *__restrict, scalar_t *__restrict, OUTT *__restrict, int, const float *, const float *) [scalar_t = _Float16, cache_t = unsigned char, KV_DTYPE = vllm::Fp8KVCacheDataType::kFp8E4M3, OUTT = _Float16, BLOCK_SIZE = 16, HEAD_SIZE = 64, NUM_THREADS = 256, ALIBI_ENABLED = false, GQA_RATIO = 1]"
	.size	__PRETTY_FUNCTION__._Z38paged_attention_ll4mi_QKV_mfma4_kernelIDF16_hLN4vllm18Fp8KVCacheDataTypeE1EDF16_Li16ELi64ELi256ELb0ELi1EEvPKT_PKT0_S7_ifPKiS9_S9_iPKfiiiPfSC_PS2_PT2_iSB_SB_, 602

	.type	__PRETTY_FUNCTION__._Z38paged_attention_ll4mi_QKV_mfma4_kernelIDF16_hLN4vllm18Fp8KVCacheDataTypeE1EDF16_Li16ELi64ELi256ELb0ELi2EEvPKT_PKT0_S7_ifPKiS9_S9_iPKfiiiPfSC_PS2_PT2_iSB_SB_,@object ; @__PRETTY_FUNCTION__._Z38paged_attention_ll4mi_QKV_mfma4_kernelIDF16_hLN4vllm18Fp8KVCacheDataTypeE1EDF16_Li16ELi64ELi256ELb0ELi2EEvPKT_PKT0_S7_ifPKiS9_S9_iPKfiiiPfSC_PS2_PT2_iSB_SB_
__PRETTY_FUNCTION__._Z38paged_attention_ll4mi_QKV_mfma4_kernelIDF16_hLN4vllm18Fp8KVCacheDataTypeE1EDF16_Li16ELi64ELi256ELb0ELi2EEvPKT_PKT0_S7_ifPKiS9_S9_iPKfiiiPfSC_PS2_PT2_iSB_SB_:
	.asciz	"void paged_attention_ll4mi_QKV_mfma4_kernel(const scalar_t *__restrict, const cache_t *__restrict, const cache_t *__restrict, const int, const float, const int *__restrict, const int *__restrict, const int *__restrict, const int, const float *__restrict, const int, const int, const int, float *__restrict, float *__restrict, scalar_t *__restrict, OUTT *__restrict, int, const float *, const float *) [scalar_t = _Float16, cache_t = unsigned char, KV_DTYPE = vllm::Fp8KVCacheDataType::kFp8E4M3, OUTT = _Float16, BLOCK_SIZE = 16, HEAD_SIZE = 64, NUM_THREADS = 256, ALIBI_ENABLED = false, GQA_RATIO = 2]"
	.size	__PRETTY_FUNCTION__._Z38paged_attention_ll4mi_QKV_mfma4_kernelIDF16_hLN4vllm18Fp8KVCacheDataTypeE1EDF16_Li16ELi64ELi256ELb0ELi2EEvPKT_PKT0_S7_ifPKiS9_S9_iPKfiiiPfSC_PS2_PT2_iSB_SB_, 602

	.type	__PRETTY_FUNCTION__._Z38paged_attention_ll4mi_QKV_mfma4_kernelIDF16_hLN4vllm18Fp8KVCacheDataTypeE1EDF16_Li16ELi64ELi256ELb0ELi3EEvPKT_PKT0_S7_ifPKiS9_S9_iPKfiiiPfSC_PS2_PT2_iSB_SB_,@object ; @__PRETTY_FUNCTION__._Z38paged_attention_ll4mi_QKV_mfma4_kernelIDF16_hLN4vllm18Fp8KVCacheDataTypeE1EDF16_Li16ELi64ELi256ELb0ELi3EEvPKT_PKT0_S7_ifPKiS9_S9_iPKfiiiPfSC_PS2_PT2_iSB_SB_
__PRETTY_FUNCTION__._Z38paged_attention_ll4mi_QKV_mfma4_kernelIDF16_hLN4vllm18Fp8KVCacheDataTypeE1EDF16_Li16ELi64ELi256ELb0ELi3EEvPKT_PKT0_S7_ifPKiS9_S9_iPKfiiiPfSC_PS2_PT2_iSB_SB_:
	.asciz	"void paged_attention_ll4mi_QKV_mfma4_kernel(const scalar_t *__restrict, const cache_t *__restrict, const cache_t *__restrict, const int, const float, const int *__restrict, const int *__restrict, const int *__restrict, const int, const float *__restrict, const int, const int, const int, float *__restrict, float *__restrict, scalar_t *__restrict, OUTT *__restrict, int, const float *, const float *) [scalar_t = _Float16, cache_t = unsigned char, KV_DTYPE = vllm::Fp8KVCacheDataType::kFp8E4M3, OUTT = _Float16, BLOCK_SIZE = 16, HEAD_SIZE = 64, NUM_THREADS = 256, ALIBI_ENABLED = false, GQA_RATIO = 3]"
	.size	__PRETTY_FUNCTION__._Z38paged_attention_ll4mi_QKV_mfma4_kernelIDF16_hLN4vllm18Fp8KVCacheDataTypeE1EDF16_Li16ELi64ELi256ELb0ELi3EEvPKT_PKT0_S7_ifPKiS9_S9_iPKfiiiPfSC_PS2_PT2_iSB_SB_, 602

	.type	__PRETTY_FUNCTION__._Z38paged_attention_ll4mi_QKV_mfma4_kernelIDF16_hLN4vllm18Fp8KVCacheDataTypeE1EDF16_Li16ELi64ELi256ELb0ELi4EEvPKT_PKT0_S7_ifPKiS9_S9_iPKfiiiPfSC_PS2_PT2_iSB_SB_,@object ; @__PRETTY_FUNCTION__._Z38paged_attention_ll4mi_QKV_mfma4_kernelIDF16_hLN4vllm18Fp8KVCacheDataTypeE1EDF16_Li16ELi64ELi256ELb0ELi4EEvPKT_PKT0_S7_ifPKiS9_S9_iPKfiiiPfSC_PS2_PT2_iSB_SB_
__PRETTY_FUNCTION__._Z38paged_attention_ll4mi_QKV_mfma4_kernelIDF16_hLN4vllm18Fp8KVCacheDataTypeE1EDF16_Li16ELi64ELi256ELb0ELi4EEvPKT_PKT0_S7_ifPKiS9_S9_iPKfiiiPfSC_PS2_PT2_iSB_SB_:
	.asciz	"void paged_attention_ll4mi_QKV_mfma4_kernel(const scalar_t *__restrict, const cache_t *__restrict, const cache_t *__restrict, const int, const float, const int *__restrict, const int *__restrict, const int *__restrict, const int, const float *__restrict, const int, const int, const int, float *__restrict, float *__restrict, scalar_t *__restrict, OUTT *__restrict, int, const float *, const float *) [scalar_t = _Float16, cache_t = unsigned char, KV_DTYPE = vllm::Fp8KVCacheDataType::kFp8E4M3, OUTT = _Float16, BLOCK_SIZE = 16, HEAD_SIZE = 64, NUM_THREADS = 256, ALIBI_ENABLED = false, GQA_RATIO = 4]"
	.size	__PRETTY_FUNCTION__._Z38paged_attention_ll4mi_QKV_mfma4_kernelIDF16_hLN4vllm18Fp8KVCacheDataTypeE1EDF16_Li16ELi64ELi256ELb0ELi4EEvPKT_PKT0_S7_ifPKiS9_S9_iPKfiiiPfSC_PS2_PT2_iSB_SB_, 602

	.type	__PRETTY_FUNCTION__._Z38paged_attention_ll4mi_QKV_mfma4_kernelIDF16_hLN4vllm18Fp8KVCacheDataTypeE1EhLi32ELi64ELi256ELb1ELi1EEvPKT_PKT0_S7_ifPKiS9_S9_iPKfiiiPfSC_PS2_PT2_iSB_SB_,@object ; @__PRETTY_FUNCTION__._Z38paged_attention_ll4mi_QKV_mfma4_kernelIDF16_hLN4vllm18Fp8KVCacheDataTypeE1EhLi32ELi64ELi256ELb1ELi1EEvPKT_PKT0_S7_ifPKiS9_S9_iPKfiiiPfSC_PS2_PT2_iSB_SB_
__PRETTY_FUNCTION__._Z38paged_attention_ll4mi_QKV_mfma4_kernelIDF16_hLN4vllm18Fp8KVCacheDataTypeE1EhLi32ELi64ELi256ELb1ELi1EEvPKT_PKT0_S7_ifPKiS9_S9_iPKfiiiPfSC_PS2_PT2_iSB_SB_:
	.asciz	"void paged_attention_ll4mi_QKV_mfma4_kernel(const scalar_t *__restrict, const cache_t *__restrict, const cache_t *__restrict, const int, const float, const int *__restrict, const int *__restrict, const int *__restrict, const int, const float *__restrict, const int, const int, const int, float *__restrict, float *__restrict, scalar_t *__restrict, OUTT *__restrict, int, const float *, const float *) [scalar_t = _Float16, cache_t = unsigned char, KV_DTYPE = vllm::Fp8KVCacheDataType::kFp8E4M3, OUTT = unsigned char, BLOCK_SIZE = 32, HEAD_SIZE = 64, NUM_THREADS = 256, ALIBI_ENABLED = true, GQA_RATIO = 1]"
	.size	__PRETTY_FUNCTION__._Z38paged_attention_ll4mi_QKV_mfma4_kernelIDF16_hLN4vllm18Fp8KVCacheDataTypeE1EhLi32ELi64ELi256ELb1ELi1EEvPKT_PKT0_S7_ifPKiS9_S9_iPKfiiiPfSC_PS2_PT2_iSB_SB_, 606

	.type	__PRETTY_FUNCTION__._Z38paged_attention_ll4mi_QKV_mfma4_kernelIDF16_hLN4vllm18Fp8KVCacheDataTypeE1EhLi32ELi64ELi256ELb1ELi2EEvPKT_PKT0_S7_ifPKiS9_S9_iPKfiiiPfSC_PS2_PT2_iSB_SB_,@object ; @__PRETTY_FUNCTION__._Z38paged_attention_ll4mi_QKV_mfma4_kernelIDF16_hLN4vllm18Fp8KVCacheDataTypeE1EhLi32ELi64ELi256ELb1ELi2EEvPKT_PKT0_S7_ifPKiS9_S9_iPKfiiiPfSC_PS2_PT2_iSB_SB_
__PRETTY_FUNCTION__._Z38paged_attention_ll4mi_QKV_mfma4_kernelIDF16_hLN4vllm18Fp8KVCacheDataTypeE1EhLi32ELi64ELi256ELb1ELi2EEvPKT_PKT0_S7_ifPKiS9_S9_iPKfiiiPfSC_PS2_PT2_iSB_SB_:
	.asciz	"void paged_attention_ll4mi_QKV_mfma4_kernel(const scalar_t *__restrict, const cache_t *__restrict, const cache_t *__restrict, const int, const float, const int *__restrict, const int *__restrict, const int *__restrict, const int, const float *__restrict, const int, const int, const int, float *__restrict, float *__restrict, scalar_t *__restrict, OUTT *__restrict, int, const float *, const float *) [scalar_t = _Float16, cache_t = unsigned char, KV_DTYPE = vllm::Fp8KVCacheDataType::kFp8E4M3, OUTT = unsigned char, BLOCK_SIZE = 32, HEAD_SIZE = 64, NUM_THREADS = 256, ALIBI_ENABLED = true, GQA_RATIO = 2]"
	.size	__PRETTY_FUNCTION__._Z38paged_attention_ll4mi_QKV_mfma4_kernelIDF16_hLN4vllm18Fp8KVCacheDataTypeE1EhLi32ELi64ELi256ELb1ELi2EEvPKT_PKT0_S7_ifPKiS9_S9_iPKfiiiPfSC_PS2_PT2_iSB_SB_, 606

	.type	__PRETTY_FUNCTION__._Z38paged_attention_ll4mi_QKV_mfma4_kernelIDF16_hLN4vllm18Fp8KVCacheDataTypeE1EhLi32ELi64ELi256ELb1ELi3EEvPKT_PKT0_S7_ifPKiS9_S9_iPKfiiiPfSC_PS2_PT2_iSB_SB_,@object ; @__PRETTY_FUNCTION__._Z38paged_attention_ll4mi_QKV_mfma4_kernelIDF16_hLN4vllm18Fp8KVCacheDataTypeE1EhLi32ELi64ELi256ELb1ELi3EEvPKT_PKT0_S7_ifPKiS9_S9_iPKfiiiPfSC_PS2_PT2_iSB_SB_
__PRETTY_FUNCTION__._Z38paged_attention_ll4mi_QKV_mfma4_kernelIDF16_hLN4vllm18Fp8KVCacheDataTypeE1EhLi32ELi64ELi256ELb1ELi3EEvPKT_PKT0_S7_ifPKiS9_S9_iPKfiiiPfSC_PS2_PT2_iSB_SB_:
	.asciz	"void paged_attention_ll4mi_QKV_mfma4_kernel(const scalar_t *__restrict, const cache_t *__restrict, const cache_t *__restrict, const int, const float, const int *__restrict, const int *__restrict, const int *__restrict, const int, const float *__restrict, const int, const int, const int, float *__restrict, float *__restrict, scalar_t *__restrict, OUTT *__restrict, int, const float *, const float *) [scalar_t = _Float16, cache_t = unsigned char, KV_DTYPE = vllm::Fp8KVCacheDataType::kFp8E4M3, OUTT = unsigned char, BLOCK_SIZE = 32, HEAD_SIZE = 64, NUM_THREADS = 256, ALIBI_ENABLED = true, GQA_RATIO = 3]"
	.size	__PRETTY_FUNCTION__._Z38paged_attention_ll4mi_QKV_mfma4_kernelIDF16_hLN4vllm18Fp8KVCacheDataTypeE1EhLi32ELi64ELi256ELb1ELi3EEvPKT_PKT0_S7_ifPKiS9_S9_iPKfiiiPfSC_PS2_PT2_iSB_SB_, 606

	.type	__PRETTY_FUNCTION__._Z38paged_attention_ll4mi_QKV_mfma4_kernelIDF16_hLN4vllm18Fp8KVCacheDataTypeE1EhLi32ELi64ELi256ELb1ELi4EEvPKT_PKT0_S7_ifPKiS9_S9_iPKfiiiPfSC_PS2_PT2_iSB_SB_,@object ; @__PRETTY_FUNCTION__._Z38paged_attention_ll4mi_QKV_mfma4_kernelIDF16_hLN4vllm18Fp8KVCacheDataTypeE1EhLi32ELi64ELi256ELb1ELi4EEvPKT_PKT0_S7_ifPKiS9_S9_iPKfiiiPfSC_PS2_PT2_iSB_SB_
__PRETTY_FUNCTION__._Z38paged_attention_ll4mi_QKV_mfma4_kernelIDF16_hLN4vllm18Fp8KVCacheDataTypeE1EhLi32ELi64ELi256ELb1ELi4EEvPKT_PKT0_S7_ifPKiS9_S9_iPKfiiiPfSC_PS2_PT2_iSB_SB_:
	.asciz	"void paged_attention_ll4mi_QKV_mfma4_kernel(const scalar_t *__restrict, const cache_t *__restrict, const cache_t *__restrict, const int, const float, const int *__restrict, const int *__restrict, const int *__restrict, const int, const float *__restrict, const int, const int, const int, float *__restrict, float *__restrict, scalar_t *__restrict, OUTT *__restrict, int, const float *, const float *) [scalar_t = _Float16, cache_t = unsigned char, KV_DTYPE = vllm::Fp8KVCacheDataType::kFp8E4M3, OUTT = unsigned char, BLOCK_SIZE = 32, HEAD_SIZE = 64, NUM_THREADS = 256, ALIBI_ENABLED = true, GQA_RATIO = 4]"
	.size	__PRETTY_FUNCTION__._Z38paged_attention_ll4mi_QKV_mfma4_kernelIDF16_hLN4vllm18Fp8KVCacheDataTypeE1EhLi32ELi64ELi256ELb1ELi4EEvPKT_PKT0_S7_ifPKiS9_S9_iPKfiiiPfSC_PS2_PT2_iSB_SB_, 606

	.type	__PRETTY_FUNCTION__._Z38paged_attention_ll4mi_QKV_mfma4_kernelIDF16_hLN4vllm18Fp8KVCacheDataTypeE1EhLi32ELi64ELi256ELb0ELi1EEvPKT_PKT0_S7_ifPKiS9_S9_iPKfiiiPfSC_PS2_PT2_iSB_SB_,@object ; @__PRETTY_FUNCTION__._Z38paged_attention_ll4mi_QKV_mfma4_kernelIDF16_hLN4vllm18Fp8KVCacheDataTypeE1EhLi32ELi64ELi256ELb0ELi1EEvPKT_PKT0_S7_ifPKiS9_S9_iPKfiiiPfSC_PS2_PT2_iSB_SB_
__PRETTY_FUNCTION__._Z38paged_attention_ll4mi_QKV_mfma4_kernelIDF16_hLN4vllm18Fp8KVCacheDataTypeE1EhLi32ELi64ELi256ELb0ELi1EEvPKT_PKT0_S7_ifPKiS9_S9_iPKfiiiPfSC_PS2_PT2_iSB_SB_:
	.asciz	"void paged_attention_ll4mi_QKV_mfma4_kernel(const scalar_t *__restrict, const cache_t *__restrict, const cache_t *__restrict, const int, const float, const int *__restrict, const int *__restrict, const int *__restrict, const int, const float *__restrict, const int, const int, const int, float *__restrict, float *__restrict, scalar_t *__restrict, OUTT *__restrict, int, const float *, const float *) [scalar_t = _Float16, cache_t = unsigned char, KV_DTYPE = vllm::Fp8KVCacheDataType::kFp8E4M3, OUTT = unsigned char, BLOCK_SIZE = 32, HEAD_SIZE = 64, NUM_THREADS = 256, ALIBI_ENABLED = false, GQA_RATIO = 1]"
	.size	__PRETTY_FUNCTION__._Z38paged_attention_ll4mi_QKV_mfma4_kernelIDF16_hLN4vllm18Fp8KVCacheDataTypeE1EhLi32ELi64ELi256ELb0ELi1EEvPKT_PKT0_S7_ifPKiS9_S9_iPKfiiiPfSC_PS2_PT2_iSB_SB_, 607

	.type	__PRETTY_FUNCTION__._Z38paged_attention_ll4mi_QKV_mfma4_kernelIDF16_hLN4vllm18Fp8KVCacheDataTypeE1EhLi32ELi64ELi256ELb0ELi2EEvPKT_PKT0_S7_ifPKiS9_S9_iPKfiiiPfSC_PS2_PT2_iSB_SB_,@object ; @__PRETTY_FUNCTION__._Z38paged_attention_ll4mi_QKV_mfma4_kernelIDF16_hLN4vllm18Fp8KVCacheDataTypeE1EhLi32ELi64ELi256ELb0ELi2EEvPKT_PKT0_S7_ifPKiS9_S9_iPKfiiiPfSC_PS2_PT2_iSB_SB_
__PRETTY_FUNCTION__._Z38paged_attention_ll4mi_QKV_mfma4_kernelIDF16_hLN4vllm18Fp8KVCacheDataTypeE1EhLi32ELi64ELi256ELb0ELi2EEvPKT_PKT0_S7_ifPKiS9_S9_iPKfiiiPfSC_PS2_PT2_iSB_SB_:
	.asciz	"void paged_attention_ll4mi_QKV_mfma4_kernel(const scalar_t *__restrict, const cache_t *__restrict, const cache_t *__restrict, const int, const float, const int *__restrict, const int *__restrict, const int *__restrict, const int, const float *__restrict, const int, const int, const int, float *__restrict, float *__restrict, scalar_t *__restrict, OUTT *__restrict, int, const float *, const float *) [scalar_t = _Float16, cache_t = unsigned char, KV_DTYPE = vllm::Fp8KVCacheDataType::kFp8E4M3, OUTT = unsigned char, BLOCK_SIZE = 32, HEAD_SIZE = 64, NUM_THREADS = 256, ALIBI_ENABLED = false, GQA_RATIO = 2]"
	.size	__PRETTY_FUNCTION__._Z38paged_attention_ll4mi_QKV_mfma4_kernelIDF16_hLN4vllm18Fp8KVCacheDataTypeE1EhLi32ELi64ELi256ELb0ELi2EEvPKT_PKT0_S7_ifPKiS9_S9_iPKfiiiPfSC_PS2_PT2_iSB_SB_, 607

	.type	__PRETTY_FUNCTION__._Z38paged_attention_ll4mi_QKV_mfma4_kernelIDF16_hLN4vllm18Fp8KVCacheDataTypeE1EhLi32ELi64ELi256ELb0ELi3EEvPKT_PKT0_S7_ifPKiS9_S9_iPKfiiiPfSC_PS2_PT2_iSB_SB_,@object ; @__PRETTY_FUNCTION__._Z38paged_attention_ll4mi_QKV_mfma4_kernelIDF16_hLN4vllm18Fp8KVCacheDataTypeE1EhLi32ELi64ELi256ELb0ELi3EEvPKT_PKT0_S7_ifPKiS9_S9_iPKfiiiPfSC_PS2_PT2_iSB_SB_
__PRETTY_FUNCTION__._Z38paged_attention_ll4mi_QKV_mfma4_kernelIDF16_hLN4vllm18Fp8KVCacheDataTypeE1EhLi32ELi64ELi256ELb0ELi3EEvPKT_PKT0_S7_ifPKiS9_S9_iPKfiiiPfSC_PS2_PT2_iSB_SB_:
	.asciz	"void paged_attention_ll4mi_QKV_mfma4_kernel(const scalar_t *__restrict, const cache_t *__restrict, const cache_t *__restrict, const int, const float, const int *__restrict, const int *__restrict, const int *__restrict, const int, const float *__restrict, const int, const int, const int, float *__restrict, float *__restrict, scalar_t *__restrict, OUTT *__restrict, int, const float *, const float *) [scalar_t = _Float16, cache_t = unsigned char, KV_DTYPE = vllm::Fp8KVCacheDataType::kFp8E4M3, OUTT = unsigned char, BLOCK_SIZE = 32, HEAD_SIZE = 64, NUM_THREADS = 256, ALIBI_ENABLED = false, GQA_RATIO = 3]"
	.size	__PRETTY_FUNCTION__._Z38paged_attention_ll4mi_QKV_mfma4_kernelIDF16_hLN4vllm18Fp8KVCacheDataTypeE1EhLi32ELi64ELi256ELb0ELi3EEvPKT_PKT0_S7_ifPKiS9_S9_iPKfiiiPfSC_PS2_PT2_iSB_SB_, 607

	.type	__PRETTY_FUNCTION__._Z38paged_attention_ll4mi_QKV_mfma4_kernelIDF16_hLN4vllm18Fp8KVCacheDataTypeE1EhLi32ELi64ELi256ELb0ELi4EEvPKT_PKT0_S7_ifPKiS9_S9_iPKfiiiPfSC_PS2_PT2_iSB_SB_,@object ; @__PRETTY_FUNCTION__._Z38paged_attention_ll4mi_QKV_mfma4_kernelIDF16_hLN4vllm18Fp8KVCacheDataTypeE1EhLi32ELi64ELi256ELb0ELi4EEvPKT_PKT0_S7_ifPKiS9_S9_iPKfiiiPfSC_PS2_PT2_iSB_SB_
__PRETTY_FUNCTION__._Z38paged_attention_ll4mi_QKV_mfma4_kernelIDF16_hLN4vllm18Fp8KVCacheDataTypeE1EhLi32ELi64ELi256ELb0ELi4EEvPKT_PKT0_S7_ifPKiS9_S9_iPKfiiiPfSC_PS2_PT2_iSB_SB_:
	.asciz	"void paged_attention_ll4mi_QKV_mfma4_kernel(const scalar_t *__restrict, const cache_t *__restrict, const cache_t *__restrict, const int, const float, const int *__restrict, const int *__restrict, const int *__restrict, const int, const float *__restrict, const int, const int, const int, float *__restrict, float *__restrict, scalar_t *__restrict, OUTT *__restrict, int, const float *, const float *) [scalar_t = _Float16, cache_t = unsigned char, KV_DTYPE = vllm::Fp8KVCacheDataType::kFp8E4M3, OUTT = unsigned char, BLOCK_SIZE = 32, HEAD_SIZE = 64, NUM_THREADS = 256, ALIBI_ENABLED = false, GQA_RATIO = 4]"
	.size	__PRETTY_FUNCTION__._Z38paged_attention_ll4mi_QKV_mfma4_kernelIDF16_hLN4vllm18Fp8KVCacheDataTypeE1EhLi32ELi64ELi256ELb0ELi4EEvPKT_PKT0_S7_ifPKiS9_S9_iPKfiiiPfSC_PS2_PT2_iSB_SB_, 607

	.type	__PRETTY_FUNCTION__._Z38paged_attention_ll4mi_QKV_mfma4_kernelIDF16_hLN4vllm18Fp8KVCacheDataTypeE1EDF16_Li32ELi64ELi256ELb1ELi1EEvPKT_PKT0_S7_ifPKiS9_S9_iPKfiiiPfSC_PS2_PT2_iSB_SB_,@object ; @__PRETTY_FUNCTION__._Z38paged_attention_ll4mi_QKV_mfma4_kernelIDF16_hLN4vllm18Fp8KVCacheDataTypeE1EDF16_Li32ELi64ELi256ELb1ELi1EEvPKT_PKT0_S7_ifPKiS9_S9_iPKfiiiPfSC_PS2_PT2_iSB_SB_
__PRETTY_FUNCTION__._Z38paged_attention_ll4mi_QKV_mfma4_kernelIDF16_hLN4vllm18Fp8KVCacheDataTypeE1EDF16_Li32ELi64ELi256ELb1ELi1EEvPKT_PKT0_S7_ifPKiS9_S9_iPKfiiiPfSC_PS2_PT2_iSB_SB_:
	.asciz	"void paged_attention_ll4mi_QKV_mfma4_kernel(const scalar_t *__restrict, const cache_t *__restrict, const cache_t *__restrict, const int, const float, const int *__restrict, const int *__restrict, const int *__restrict, const int, const float *__restrict, const int, const int, const int, float *__restrict, float *__restrict, scalar_t *__restrict, OUTT *__restrict, int, const float *, const float *) [scalar_t = _Float16, cache_t = unsigned char, KV_DTYPE = vllm::Fp8KVCacheDataType::kFp8E4M3, OUTT = _Float16, BLOCK_SIZE = 32, HEAD_SIZE = 64, NUM_THREADS = 256, ALIBI_ENABLED = true, GQA_RATIO = 1]"
	.size	__PRETTY_FUNCTION__._Z38paged_attention_ll4mi_QKV_mfma4_kernelIDF16_hLN4vllm18Fp8KVCacheDataTypeE1EDF16_Li32ELi64ELi256ELb1ELi1EEvPKT_PKT0_S7_ifPKiS9_S9_iPKfiiiPfSC_PS2_PT2_iSB_SB_, 601

	.type	__PRETTY_FUNCTION__._Z38paged_attention_ll4mi_QKV_mfma4_kernelIDF16_hLN4vllm18Fp8KVCacheDataTypeE1EDF16_Li32ELi64ELi256ELb1ELi2EEvPKT_PKT0_S7_ifPKiS9_S9_iPKfiiiPfSC_PS2_PT2_iSB_SB_,@object ; @__PRETTY_FUNCTION__._Z38paged_attention_ll4mi_QKV_mfma4_kernelIDF16_hLN4vllm18Fp8KVCacheDataTypeE1EDF16_Li32ELi64ELi256ELb1ELi2EEvPKT_PKT0_S7_ifPKiS9_S9_iPKfiiiPfSC_PS2_PT2_iSB_SB_
__PRETTY_FUNCTION__._Z38paged_attention_ll4mi_QKV_mfma4_kernelIDF16_hLN4vllm18Fp8KVCacheDataTypeE1EDF16_Li32ELi64ELi256ELb1ELi2EEvPKT_PKT0_S7_ifPKiS9_S9_iPKfiiiPfSC_PS2_PT2_iSB_SB_:
	.asciz	"void paged_attention_ll4mi_QKV_mfma4_kernel(const scalar_t *__restrict, const cache_t *__restrict, const cache_t *__restrict, const int, const float, const int *__restrict, const int *__restrict, const int *__restrict, const int, const float *__restrict, const int, const int, const int, float *__restrict, float *__restrict, scalar_t *__restrict, OUTT *__restrict, int, const float *, const float *) [scalar_t = _Float16, cache_t = unsigned char, KV_DTYPE = vllm::Fp8KVCacheDataType::kFp8E4M3, OUTT = _Float16, BLOCK_SIZE = 32, HEAD_SIZE = 64, NUM_THREADS = 256, ALIBI_ENABLED = true, GQA_RATIO = 2]"
	.size	__PRETTY_FUNCTION__._Z38paged_attention_ll4mi_QKV_mfma4_kernelIDF16_hLN4vllm18Fp8KVCacheDataTypeE1EDF16_Li32ELi64ELi256ELb1ELi2EEvPKT_PKT0_S7_ifPKiS9_S9_iPKfiiiPfSC_PS2_PT2_iSB_SB_, 601

	.type	__PRETTY_FUNCTION__._Z38paged_attention_ll4mi_QKV_mfma4_kernelIDF16_hLN4vllm18Fp8KVCacheDataTypeE1EDF16_Li32ELi64ELi256ELb1ELi3EEvPKT_PKT0_S7_ifPKiS9_S9_iPKfiiiPfSC_PS2_PT2_iSB_SB_,@object ; @__PRETTY_FUNCTION__._Z38paged_attention_ll4mi_QKV_mfma4_kernelIDF16_hLN4vllm18Fp8KVCacheDataTypeE1EDF16_Li32ELi64ELi256ELb1ELi3EEvPKT_PKT0_S7_ifPKiS9_S9_iPKfiiiPfSC_PS2_PT2_iSB_SB_
__PRETTY_FUNCTION__._Z38paged_attention_ll4mi_QKV_mfma4_kernelIDF16_hLN4vllm18Fp8KVCacheDataTypeE1EDF16_Li32ELi64ELi256ELb1ELi3EEvPKT_PKT0_S7_ifPKiS9_S9_iPKfiiiPfSC_PS2_PT2_iSB_SB_:
	.asciz	"void paged_attention_ll4mi_QKV_mfma4_kernel(const scalar_t *__restrict, const cache_t *__restrict, const cache_t *__restrict, const int, const float, const int *__restrict, const int *__restrict, const int *__restrict, const int, const float *__restrict, const int, const int, const int, float *__restrict, float *__restrict, scalar_t *__restrict, OUTT *__restrict, int, const float *, const float *) [scalar_t = _Float16, cache_t = unsigned char, KV_DTYPE = vllm::Fp8KVCacheDataType::kFp8E4M3, OUTT = _Float16, BLOCK_SIZE = 32, HEAD_SIZE = 64, NUM_THREADS = 256, ALIBI_ENABLED = true, GQA_RATIO = 3]"
	.size	__PRETTY_FUNCTION__._Z38paged_attention_ll4mi_QKV_mfma4_kernelIDF16_hLN4vllm18Fp8KVCacheDataTypeE1EDF16_Li32ELi64ELi256ELb1ELi3EEvPKT_PKT0_S7_ifPKiS9_S9_iPKfiiiPfSC_PS2_PT2_iSB_SB_, 601

	.type	__PRETTY_FUNCTION__._Z38paged_attention_ll4mi_QKV_mfma4_kernelIDF16_hLN4vllm18Fp8KVCacheDataTypeE1EDF16_Li32ELi64ELi256ELb1ELi4EEvPKT_PKT0_S7_ifPKiS9_S9_iPKfiiiPfSC_PS2_PT2_iSB_SB_,@object ; @__PRETTY_FUNCTION__._Z38paged_attention_ll4mi_QKV_mfma4_kernelIDF16_hLN4vllm18Fp8KVCacheDataTypeE1EDF16_Li32ELi64ELi256ELb1ELi4EEvPKT_PKT0_S7_ifPKiS9_S9_iPKfiiiPfSC_PS2_PT2_iSB_SB_
__PRETTY_FUNCTION__._Z38paged_attention_ll4mi_QKV_mfma4_kernelIDF16_hLN4vllm18Fp8KVCacheDataTypeE1EDF16_Li32ELi64ELi256ELb1ELi4EEvPKT_PKT0_S7_ifPKiS9_S9_iPKfiiiPfSC_PS2_PT2_iSB_SB_:
	.asciz	"void paged_attention_ll4mi_QKV_mfma4_kernel(const scalar_t *__restrict, const cache_t *__restrict, const cache_t *__restrict, const int, const float, const int *__restrict, const int *__restrict, const int *__restrict, const int, const float *__restrict, const int, const int, const int, float *__restrict, float *__restrict, scalar_t *__restrict, OUTT *__restrict, int, const float *, const float *) [scalar_t = _Float16, cache_t = unsigned char, KV_DTYPE = vllm::Fp8KVCacheDataType::kFp8E4M3, OUTT = _Float16, BLOCK_SIZE = 32, HEAD_SIZE = 64, NUM_THREADS = 256, ALIBI_ENABLED = true, GQA_RATIO = 4]"
	.size	__PRETTY_FUNCTION__._Z38paged_attention_ll4mi_QKV_mfma4_kernelIDF16_hLN4vllm18Fp8KVCacheDataTypeE1EDF16_Li32ELi64ELi256ELb1ELi4EEvPKT_PKT0_S7_ifPKiS9_S9_iPKfiiiPfSC_PS2_PT2_iSB_SB_, 601

	.type	__PRETTY_FUNCTION__._Z38paged_attention_ll4mi_QKV_mfma4_kernelIDF16_hLN4vllm18Fp8KVCacheDataTypeE1EDF16_Li32ELi64ELi256ELb0ELi1EEvPKT_PKT0_S7_ifPKiS9_S9_iPKfiiiPfSC_PS2_PT2_iSB_SB_,@object ; @__PRETTY_FUNCTION__._Z38paged_attention_ll4mi_QKV_mfma4_kernelIDF16_hLN4vllm18Fp8KVCacheDataTypeE1EDF16_Li32ELi64ELi256ELb0ELi1EEvPKT_PKT0_S7_ifPKiS9_S9_iPKfiiiPfSC_PS2_PT2_iSB_SB_
__PRETTY_FUNCTION__._Z38paged_attention_ll4mi_QKV_mfma4_kernelIDF16_hLN4vllm18Fp8KVCacheDataTypeE1EDF16_Li32ELi64ELi256ELb0ELi1EEvPKT_PKT0_S7_ifPKiS9_S9_iPKfiiiPfSC_PS2_PT2_iSB_SB_:
	.asciz	"void paged_attention_ll4mi_QKV_mfma4_kernel(const scalar_t *__restrict, const cache_t *__restrict, const cache_t *__restrict, const int, const float, const int *__restrict, const int *__restrict, const int *__restrict, const int, const float *__restrict, const int, const int, const int, float *__restrict, float *__restrict, scalar_t *__restrict, OUTT *__restrict, int, const float *, const float *) [scalar_t = _Float16, cache_t = unsigned char, KV_DTYPE = vllm::Fp8KVCacheDataType::kFp8E4M3, OUTT = _Float16, BLOCK_SIZE = 32, HEAD_SIZE = 64, NUM_THREADS = 256, ALIBI_ENABLED = false, GQA_RATIO = 1]"
	.size	__PRETTY_FUNCTION__._Z38paged_attention_ll4mi_QKV_mfma4_kernelIDF16_hLN4vllm18Fp8KVCacheDataTypeE1EDF16_Li32ELi64ELi256ELb0ELi1EEvPKT_PKT0_S7_ifPKiS9_S9_iPKfiiiPfSC_PS2_PT2_iSB_SB_, 602

	.type	__PRETTY_FUNCTION__._Z38paged_attention_ll4mi_QKV_mfma4_kernelIDF16_hLN4vllm18Fp8KVCacheDataTypeE1EDF16_Li32ELi64ELi256ELb0ELi2EEvPKT_PKT0_S7_ifPKiS9_S9_iPKfiiiPfSC_PS2_PT2_iSB_SB_,@object ; @__PRETTY_FUNCTION__._Z38paged_attention_ll4mi_QKV_mfma4_kernelIDF16_hLN4vllm18Fp8KVCacheDataTypeE1EDF16_Li32ELi64ELi256ELb0ELi2EEvPKT_PKT0_S7_ifPKiS9_S9_iPKfiiiPfSC_PS2_PT2_iSB_SB_
__PRETTY_FUNCTION__._Z38paged_attention_ll4mi_QKV_mfma4_kernelIDF16_hLN4vllm18Fp8KVCacheDataTypeE1EDF16_Li32ELi64ELi256ELb0ELi2EEvPKT_PKT0_S7_ifPKiS9_S9_iPKfiiiPfSC_PS2_PT2_iSB_SB_:
	.asciz	"void paged_attention_ll4mi_QKV_mfma4_kernel(const scalar_t *__restrict, const cache_t *__restrict, const cache_t *__restrict, const int, const float, const int *__restrict, const int *__restrict, const int *__restrict, const int, const float *__restrict, const int, const int, const int, float *__restrict, float *__restrict, scalar_t *__restrict, OUTT *__restrict, int, const float *, const float *) [scalar_t = _Float16, cache_t = unsigned char, KV_DTYPE = vllm::Fp8KVCacheDataType::kFp8E4M3, OUTT = _Float16, BLOCK_SIZE = 32, HEAD_SIZE = 64, NUM_THREADS = 256, ALIBI_ENABLED = false, GQA_RATIO = 2]"
	.size	__PRETTY_FUNCTION__._Z38paged_attention_ll4mi_QKV_mfma4_kernelIDF16_hLN4vllm18Fp8KVCacheDataTypeE1EDF16_Li32ELi64ELi256ELb0ELi2EEvPKT_PKT0_S7_ifPKiS9_S9_iPKfiiiPfSC_PS2_PT2_iSB_SB_, 602

	.type	__PRETTY_FUNCTION__._Z38paged_attention_ll4mi_QKV_mfma4_kernelIDF16_hLN4vllm18Fp8KVCacheDataTypeE1EDF16_Li32ELi64ELi256ELb0ELi3EEvPKT_PKT0_S7_ifPKiS9_S9_iPKfiiiPfSC_PS2_PT2_iSB_SB_,@object ; @__PRETTY_FUNCTION__._Z38paged_attention_ll4mi_QKV_mfma4_kernelIDF16_hLN4vllm18Fp8KVCacheDataTypeE1EDF16_Li32ELi64ELi256ELb0ELi3EEvPKT_PKT0_S7_ifPKiS9_S9_iPKfiiiPfSC_PS2_PT2_iSB_SB_
__PRETTY_FUNCTION__._Z38paged_attention_ll4mi_QKV_mfma4_kernelIDF16_hLN4vllm18Fp8KVCacheDataTypeE1EDF16_Li32ELi64ELi256ELb0ELi3EEvPKT_PKT0_S7_ifPKiS9_S9_iPKfiiiPfSC_PS2_PT2_iSB_SB_:
	.asciz	"void paged_attention_ll4mi_QKV_mfma4_kernel(const scalar_t *__restrict, const cache_t *__restrict, const cache_t *__restrict, const int, const float, const int *__restrict, const int *__restrict, const int *__restrict, const int, const float *__restrict, const int, const int, const int, float *__restrict, float *__restrict, scalar_t *__restrict, OUTT *__restrict, int, const float *, const float *) [scalar_t = _Float16, cache_t = unsigned char, KV_DTYPE = vllm::Fp8KVCacheDataType::kFp8E4M3, OUTT = _Float16, BLOCK_SIZE = 32, HEAD_SIZE = 64, NUM_THREADS = 256, ALIBI_ENABLED = false, GQA_RATIO = 3]"
	.size	__PRETTY_FUNCTION__._Z38paged_attention_ll4mi_QKV_mfma4_kernelIDF16_hLN4vllm18Fp8KVCacheDataTypeE1EDF16_Li32ELi64ELi256ELb0ELi3EEvPKT_PKT0_S7_ifPKiS9_S9_iPKfiiiPfSC_PS2_PT2_iSB_SB_, 602

	.type	__PRETTY_FUNCTION__._Z38paged_attention_ll4mi_QKV_mfma4_kernelIDF16_hLN4vllm18Fp8KVCacheDataTypeE1EDF16_Li32ELi64ELi256ELb0ELi4EEvPKT_PKT0_S7_ifPKiS9_S9_iPKfiiiPfSC_PS2_PT2_iSB_SB_,@object ; @__PRETTY_FUNCTION__._Z38paged_attention_ll4mi_QKV_mfma4_kernelIDF16_hLN4vllm18Fp8KVCacheDataTypeE1EDF16_Li32ELi64ELi256ELb0ELi4EEvPKT_PKT0_S7_ifPKiS9_S9_iPKfiiiPfSC_PS2_PT2_iSB_SB_
__PRETTY_FUNCTION__._Z38paged_attention_ll4mi_QKV_mfma4_kernelIDF16_hLN4vllm18Fp8KVCacheDataTypeE1EDF16_Li32ELi64ELi256ELb0ELi4EEvPKT_PKT0_S7_ifPKiS9_S9_iPKfiiiPfSC_PS2_PT2_iSB_SB_:
	.asciz	"void paged_attention_ll4mi_QKV_mfma4_kernel(const scalar_t *__restrict, const cache_t *__restrict, const cache_t *__restrict, const int, const float, const int *__restrict, const int *__restrict, const int *__restrict, const int, const float *__restrict, const int, const int, const int, float *__restrict, float *__restrict, scalar_t *__restrict, OUTT *__restrict, int, const float *, const float *) [scalar_t = _Float16, cache_t = unsigned char, KV_DTYPE = vllm::Fp8KVCacheDataType::kFp8E4M3, OUTT = _Float16, BLOCK_SIZE = 32, HEAD_SIZE = 64, NUM_THREADS = 256, ALIBI_ENABLED = false, GQA_RATIO = 4]"
	.size	__PRETTY_FUNCTION__._Z38paged_attention_ll4mi_QKV_mfma4_kernelIDF16_hLN4vllm18Fp8KVCacheDataTypeE1EDF16_Li32ELi64ELi256ELb0ELi4EEvPKT_PKT0_S7_ifPKiS9_S9_iPKfiiiPfSC_PS2_PT2_iSB_SB_, 602

	.type	__PRETTY_FUNCTION__._Z38paged_attention_ll4mi_QKV_mfma4_kernelIDF16_hLN4vllm18Fp8KVCacheDataTypeE1EhLi16ELi128ELi256ELb1ELi1EEvPKT_PKT0_S7_ifPKiS9_S9_iPKfiiiPfSC_PS2_PT2_iSB_SB_,@object ; @__PRETTY_FUNCTION__._Z38paged_attention_ll4mi_QKV_mfma4_kernelIDF16_hLN4vllm18Fp8KVCacheDataTypeE1EhLi16ELi128ELi256ELb1ELi1EEvPKT_PKT0_S7_ifPKiS9_S9_iPKfiiiPfSC_PS2_PT2_iSB_SB_
__PRETTY_FUNCTION__._Z38paged_attention_ll4mi_QKV_mfma4_kernelIDF16_hLN4vllm18Fp8KVCacheDataTypeE1EhLi16ELi128ELi256ELb1ELi1EEvPKT_PKT0_S7_ifPKiS9_S9_iPKfiiiPfSC_PS2_PT2_iSB_SB_:
	.asciz	"void paged_attention_ll4mi_QKV_mfma4_kernel(const scalar_t *__restrict, const cache_t *__restrict, const cache_t *__restrict, const int, const float, const int *__restrict, const int *__restrict, const int *__restrict, const int, const float *__restrict, const int, const int, const int, float *__restrict, float *__restrict, scalar_t *__restrict, OUTT *__restrict, int, const float *, const float *) [scalar_t = _Float16, cache_t = unsigned char, KV_DTYPE = vllm::Fp8KVCacheDataType::kFp8E4M3, OUTT = unsigned char, BLOCK_SIZE = 16, HEAD_SIZE = 128, NUM_THREADS = 256, ALIBI_ENABLED = true, GQA_RATIO = 1]"
	.size	__PRETTY_FUNCTION__._Z38paged_attention_ll4mi_QKV_mfma4_kernelIDF16_hLN4vllm18Fp8KVCacheDataTypeE1EhLi16ELi128ELi256ELb1ELi1EEvPKT_PKT0_S7_ifPKiS9_S9_iPKfiiiPfSC_PS2_PT2_iSB_SB_, 607

	.type	__PRETTY_FUNCTION__._Z38paged_attention_ll4mi_QKV_mfma4_kernelIDF16_hLN4vllm18Fp8KVCacheDataTypeE1EhLi16ELi128ELi256ELb1ELi2EEvPKT_PKT0_S7_ifPKiS9_S9_iPKfiiiPfSC_PS2_PT2_iSB_SB_,@object ; @__PRETTY_FUNCTION__._Z38paged_attention_ll4mi_QKV_mfma4_kernelIDF16_hLN4vllm18Fp8KVCacheDataTypeE1EhLi16ELi128ELi256ELb1ELi2EEvPKT_PKT0_S7_ifPKiS9_S9_iPKfiiiPfSC_PS2_PT2_iSB_SB_
__PRETTY_FUNCTION__._Z38paged_attention_ll4mi_QKV_mfma4_kernelIDF16_hLN4vllm18Fp8KVCacheDataTypeE1EhLi16ELi128ELi256ELb1ELi2EEvPKT_PKT0_S7_ifPKiS9_S9_iPKfiiiPfSC_PS2_PT2_iSB_SB_:
	.asciz	"void paged_attention_ll4mi_QKV_mfma4_kernel(const scalar_t *__restrict, const cache_t *__restrict, const cache_t *__restrict, const int, const float, const int *__restrict, const int *__restrict, const int *__restrict, const int, const float *__restrict, const int, const int, const int, float *__restrict, float *__restrict, scalar_t *__restrict, OUTT *__restrict, int, const float *, const float *) [scalar_t = _Float16, cache_t = unsigned char, KV_DTYPE = vllm::Fp8KVCacheDataType::kFp8E4M3, OUTT = unsigned char, BLOCK_SIZE = 16, HEAD_SIZE = 128, NUM_THREADS = 256, ALIBI_ENABLED = true, GQA_RATIO = 2]"
	.size	__PRETTY_FUNCTION__._Z38paged_attention_ll4mi_QKV_mfma4_kernelIDF16_hLN4vllm18Fp8KVCacheDataTypeE1EhLi16ELi128ELi256ELb1ELi2EEvPKT_PKT0_S7_ifPKiS9_S9_iPKfiiiPfSC_PS2_PT2_iSB_SB_, 607

	.type	__PRETTY_FUNCTION__._Z38paged_attention_ll4mi_QKV_mfma4_kernelIDF16_hLN4vllm18Fp8KVCacheDataTypeE1EhLi16ELi128ELi256ELb1ELi3EEvPKT_PKT0_S7_ifPKiS9_S9_iPKfiiiPfSC_PS2_PT2_iSB_SB_,@object ; @__PRETTY_FUNCTION__._Z38paged_attention_ll4mi_QKV_mfma4_kernelIDF16_hLN4vllm18Fp8KVCacheDataTypeE1EhLi16ELi128ELi256ELb1ELi3EEvPKT_PKT0_S7_ifPKiS9_S9_iPKfiiiPfSC_PS2_PT2_iSB_SB_
__PRETTY_FUNCTION__._Z38paged_attention_ll4mi_QKV_mfma4_kernelIDF16_hLN4vllm18Fp8KVCacheDataTypeE1EhLi16ELi128ELi256ELb1ELi3EEvPKT_PKT0_S7_ifPKiS9_S9_iPKfiiiPfSC_PS2_PT2_iSB_SB_:
	.asciz	"void paged_attention_ll4mi_QKV_mfma4_kernel(const scalar_t *__restrict, const cache_t *__restrict, const cache_t *__restrict, const int, const float, const int *__restrict, const int *__restrict, const int *__restrict, const int, const float *__restrict, const int, const int, const int, float *__restrict, float *__restrict, scalar_t *__restrict, OUTT *__restrict, int, const float *, const float *) [scalar_t = _Float16, cache_t = unsigned char, KV_DTYPE = vllm::Fp8KVCacheDataType::kFp8E4M3, OUTT = unsigned char, BLOCK_SIZE = 16, HEAD_SIZE = 128, NUM_THREADS = 256, ALIBI_ENABLED = true, GQA_RATIO = 3]"
	.size	__PRETTY_FUNCTION__._Z38paged_attention_ll4mi_QKV_mfma4_kernelIDF16_hLN4vllm18Fp8KVCacheDataTypeE1EhLi16ELi128ELi256ELb1ELi3EEvPKT_PKT0_S7_ifPKiS9_S9_iPKfiiiPfSC_PS2_PT2_iSB_SB_, 607

	.type	__PRETTY_FUNCTION__._Z38paged_attention_ll4mi_QKV_mfma4_kernelIDF16_hLN4vllm18Fp8KVCacheDataTypeE1EhLi16ELi128ELi256ELb1ELi4EEvPKT_PKT0_S7_ifPKiS9_S9_iPKfiiiPfSC_PS2_PT2_iSB_SB_,@object ; @__PRETTY_FUNCTION__._Z38paged_attention_ll4mi_QKV_mfma4_kernelIDF16_hLN4vllm18Fp8KVCacheDataTypeE1EhLi16ELi128ELi256ELb1ELi4EEvPKT_PKT0_S7_ifPKiS9_S9_iPKfiiiPfSC_PS2_PT2_iSB_SB_
__PRETTY_FUNCTION__._Z38paged_attention_ll4mi_QKV_mfma4_kernelIDF16_hLN4vllm18Fp8KVCacheDataTypeE1EhLi16ELi128ELi256ELb1ELi4EEvPKT_PKT0_S7_ifPKiS9_S9_iPKfiiiPfSC_PS2_PT2_iSB_SB_:
	.asciz	"void paged_attention_ll4mi_QKV_mfma4_kernel(const scalar_t *__restrict, const cache_t *__restrict, const cache_t *__restrict, const int, const float, const int *__restrict, const int *__restrict, const int *__restrict, const int, const float *__restrict, const int, const int, const int, float *__restrict, float *__restrict, scalar_t *__restrict, OUTT *__restrict, int, const float *, const float *) [scalar_t = _Float16, cache_t = unsigned char, KV_DTYPE = vllm::Fp8KVCacheDataType::kFp8E4M3, OUTT = unsigned char, BLOCK_SIZE = 16, HEAD_SIZE = 128, NUM_THREADS = 256, ALIBI_ENABLED = true, GQA_RATIO = 4]"
	.size	__PRETTY_FUNCTION__._Z38paged_attention_ll4mi_QKV_mfma4_kernelIDF16_hLN4vllm18Fp8KVCacheDataTypeE1EhLi16ELi128ELi256ELb1ELi4EEvPKT_PKT0_S7_ifPKiS9_S9_iPKfiiiPfSC_PS2_PT2_iSB_SB_, 607

	.type	__PRETTY_FUNCTION__._Z38paged_attention_ll4mi_QKV_mfma4_kernelIDF16_hLN4vllm18Fp8KVCacheDataTypeE1EhLi16ELi128ELi256ELb0ELi1EEvPKT_PKT0_S7_ifPKiS9_S9_iPKfiiiPfSC_PS2_PT2_iSB_SB_,@object ; @__PRETTY_FUNCTION__._Z38paged_attention_ll4mi_QKV_mfma4_kernelIDF16_hLN4vllm18Fp8KVCacheDataTypeE1EhLi16ELi128ELi256ELb0ELi1EEvPKT_PKT0_S7_ifPKiS9_S9_iPKfiiiPfSC_PS2_PT2_iSB_SB_
__PRETTY_FUNCTION__._Z38paged_attention_ll4mi_QKV_mfma4_kernelIDF16_hLN4vllm18Fp8KVCacheDataTypeE1EhLi16ELi128ELi256ELb0ELi1EEvPKT_PKT0_S7_ifPKiS9_S9_iPKfiiiPfSC_PS2_PT2_iSB_SB_:
	.asciz	"void paged_attention_ll4mi_QKV_mfma4_kernel(const scalar_t *__restrict, const cache_t *__restrict, const cache_t *__restrict, const int, const float, const int *__restrict, const int *__restrict, const int *__restrict, const int, const float *__restrict, const int, const int, const int, float *__restrict, float *__restrict, scalar_t *__restrict, OUTT *__restrict, int, const float *, const float *) [scalar_t = _Float16, cache_t = unsigned char, KV_DTYPE = vllm::Fp8KVCacheDataType::kFp8E4M3, OUTT = unsigned char, BLOCK_SIZE = 16, HEAD_SIZE = 128, NUM_THREADS = 256, ALIBI_ENABLED = false, GQA_RATIO = 1]"
	.size	__PRETTY_FUNCTION__._Z38paged_attention_ll4mi_QKV_mfma4_kernelIDF16_hLN4vllm18Fp8KVCacheDataTypeE1EhLi16ELi128ELi256ELb0ELi1EEvPKT_PKT0_S7_ifPKiS9_S9_iPKfiiiPfSC_PS2_PT2_iSB_SB_, 608

	.type	__PRETTY_FUNCTION__._Z38paged_attention_ll4mi_QKV_mfma4_kernelIDF16_hLN4vllm18Fp8KVCacheDataTypeE1EhLi16ELi128ELi256ELb0ELi2EEvPKT_PKT0_S7_ifPKiS9_S9_iPKfiiiPfSC_PS2_PT2_iSB_SB_,@object ; @__PRETTY_FUNCTION__._Z38paged_attention_ll4mi_QKV_mfma4_kernelIDF16_hLN4vllm18Fp8KVCacheDataTypeE1EhLi16ELi128ELi256ELb0ELi2EEvPKT_PKT0_S7_ifPKiS9_S9_iPKfiiiPfSC_PS2_PT2_iSB_SB_
__PRETTY_FUNCTION__._Z38paged_attention_ll4mi_QKV_mfma4_kernelIDF16_hLN4vllm18Fp8KVCacheDataTypeE1EhLi16ELi128ELi256ELb0ELi2EEvPKT_PKT0_S7_ifPKiS9_S9_iPKfiiiPfSC_PS2_PT2_iSB_SB_:
	.asciz	"void paged_attention_ll4mi_QKV_mfma4_kernel(const scalar_t *__restrict, const cache_t *__restrict, const cache_t *__restrict, const int, const float, const int *__restrict, const int *__restrict, const int *__restrict, const int, const float *__restrict, const int, const int, const int, float *__restrict, float *__restrict, scalar_t *__restrict, OUTT *__restrict, int, const float *, const float *) [scalar_t = _Float16, cache_t = unsigned char, KV_DTYPE = vllm::Fp8KVCacheDataType::kFp8E4M3, OUTT = unsigned char, BLOCK_SIZE = 16, HEAD_SIZE = 128, NUM_THREADS = 256, ALIBI_ENABLED = false, GQA_RATIO = 2]"
	.size	__PRETTY_FUNCTION__._Z38paged_attention_ll4mi_QKV_mfma4_kernelIDF16_hLN4vllm18Fp8KVCacheDataTypeE1EhLi16ELi128ELi256ELb0ELi2EEvPKT_PKT0_S7_ifPKiS9_S9_iPKfiiiPfSC_PS2_PT2_iSB_SB_, 608

	.type	__PRETTY_FUNCTION__._Z38paged_attention_ll4mi_QKV_mfma4_kernelIDF16_hLN4vllm18Fp8KVCacheDataTypeE1EhLi16ELi128ELi256ELb0ELi3EEvPKT_PKT0_S7_ifPKiS9_S9_iPKfiiiPfSC_PS2_PT2_iSB_SB_,@object ; @__PRETTY_FUNCTION__._Z38paged_attention_ll4mi_QKV_mfma4_kernelIDF16_hLN4vllm18Fp8KVCacheDataTypeE1EhLi16ELi128ELi256ELb0ELi3EEvPKT_PKT0_S7_ifPKiS9_S9_iPKfiiiPfSC_PS2_PT2_iSB_SB_
__PRETTY_FUNCTION__._Z38paged_attention_ll4mi_QKV_mfma4_kernelIDF16_hLN4vllm18Fp8KVCacheDataTypeE1EhLi16ELi128ELi256ELb0ELi3EEvPKT_PKT0_S7_ifPKiS9_S9_iPKfiiiPfSC_PS2_PT2_iSB_SB_:
	.asciz	"void paged_attention_ll4mi_QKV_mfma4_kernel(const scalar_t *__restrict, const cache_t *__restrict, const cache_t *__restrict, const int, const float, const int *__restrict, const int *__restrict, const int *__restrict, const int, const float *__restrict, const int, const int, const int, float *__restrict, float *__restrict, scalar_t *__restrict, OUTT *__restrict, int, const float *, const float *) [scalar_t = _Float16, cache_t = unsigned char, KV_DTYPE = vllm::Fp8KVCacheDataType::kFp8E4M3, OUTT = unsigned char, BLOCK_SIZE = 16, HEAD_SIZE = 128, NUM_THREADS = 256, ALIBI_ENABLED = false, GQA_RATIO = 3]"
	.size	__PRETTY_FUNCTION__._Z38paged_attention_ll4mi_QKV_mfma4_kernelIDF16_hLN4vllm18Fp8KVCacheDataTypeE1EhLi16ELi128ELi256ELb0ELi3EEvPKT_PKT0_S7_ifPKiS9_S9_iPKfiiiPfSC_PS2_PT2_iSB_SB_, 608

	.type	__PRETTY_FUNCTION__._Z38paged_attention_ll4mi_QKV_mfma4_kernelIDF16_hLN4vllm18Fp8KVCacheDataTypeE1EhLi16ELi128ELi256ELb0ELi4EEvPKT_PKT0_S7_ifPKiS9_S9_iPKfiiiPfSC_PS2_PT2_iSB_SB_,@object ; @__PRETTY_FUNCTION__._Z38paged_attention_ll4mi_QKV_mfma4_kernelIDF16_hLN4vllm18Fp8KVCacheDataTypeE1EhLi16ELi128ELi256ELb0ELi4EEvPKT_PKT0_S7_ifPKiS9_S9_iPKfiiiPfSC_PS2_PT2_iSB_SB_
__PRETTY_FUNCTION__._Z38paged_attention_ll4mi_QKV_mfma4_kernelIDF16_hLN4vllm18Fp8KVCacheDataTypeE1EhLi16ELi128ELi256ELb0ELi4EEvPKT_PKT0_S7_ifPKiS9_S9_iPKfiiiPfSC_PS2_PT2_iSB_SB_:
	.asciz	"void paged_attention_ll4mi_QKV_mfma4_kernel(const scalar_t *__restrict, const cache_t *__restrict, const cache_t *__restrict, const int, const float, const int *__restrict, const int *__restrict, const int *__restrict, const int, const float *__restrict, const int, const int, const int, float *__restrict, float *__restrict, scalar_t *__restrict, OUTT *__restrict, int, const float *, const float *) [scalar_t = _Float16, cache_t = unsigned char, KV_DTYPE = vllm::Fp8KVCacheDataType::kFp8E4M3, OUTT = unsigned char, BLOCK_SIZE = 16, HEAD_SIZE = 128, NUM_THREADS = 256, ALIBI_ENABLED = false, GQA_RATIO = 4]"
	.size	__PRETTY_FUNCTION__._Z38paged_attention_ll4mi_QKV_mfma4_kernelIDF16_hLN4vllm18Fp8KVCacheDataTypeE1EhLi16ELi128ELi256ELb0ELi4EEvPKT_PKT0_S7_ifPKiS9_S9_iPKfiiiPfSC_PS2_PT2_iSB_SB_, 608

	.type	__PRETTY_FUNCTION__._Z38paged_attention_ll4mi_QKV_mfma4_kernelIDF16_hLN4vllm18Fp8KVCacheDataTypeE1EDF16_Li16ELi128ELi256ELb1ELi1EEvPKT_PKT0_S7_ifPKiS9_S9_iPKfiiiPfSC_PS2_PT2_iSB_SB_,@object ; @__PRETTY_FUNCTION__._Z38paged_attention_ll4mi_QKV_mfma4_kernelIDF16_hLN4vllm18Fp8KVCacheDataTypeE1EDF16_Li16ELi128ELi256ELb1ELi1EEvPKT_PKT0_S7_ifPKiS9_S9_iPKfiiiPfSC_PS2_PT2_iSB_SB_
__PRETTY_FUNCTION__._Z38paged_attention_ll4mi_QKV_mfma4_kernelIDF16_hLN4vllm18Fp8KVCacheDataTypeE1EDF16_Li16ELi128ELi256ELb1ELi1EEvPKT_PKT0_S7_ifPKiS9_S9_iPKfiiiPfSC_PS2_PT2_iSB_SB_:
	.asciz	"void paged_attention_ll4mi_QKV_mfma4_kernel(const scalar_t *__restrict, const cache_t *__restrict, const cache_t *__restrict, const int, const float, const int *__restrict, const int *__restrict, const int *__restrict, const int, const float *__restrict, const int, const int, const int, float *__restrict, float *__restrict, scalar_t *__restrict, OUTT *__restrict, int, const float *, const float *) [scalar_t = _Float16, cache_t = unsigned char, KV_DTYPE = vllm::Fp8KVCacheDataType::kFp8E4M3, OUTT = _Float16, BLOCK_SIZE = 16, HEAD_SIZE = 128, NUM_THREADS = 256, ALIBI_ENABLED = true, GQA_RATIO = 1]"
	.size	__PRETTY_FUNCTION__._Z38paged_attention_ll4mi_QKV_mfma4_kernelIDF16_hLN4vllm18Fp8KVCacheDataTypeE1EDF16_Li16ELi128ELi256ELb1ELi1EEvPKT_PKT0_S7_ifPKiS9_S9_iPKfiiiPfSC_PS2_PT2_iSB_SB_, 602

	.type	__PRETTY_FUNCTION__._Z38paged_attention_ll4mi_QKV_mfma4_kernelIDF16_hLN4vllm18Fp8KVCacheDataTypeE1EDF16_Li16ELi128ELi256ELb1ELi2EEvPKT_PKT0_S7_ifPKiS9_S9_iPKfiiiPfSC_PS2_PT2_iSB_SB_,@object ; @__PRETTY_FUNCTION__._Z38paged_attention_ll4mi_QKV_mfma4_kernelIDF16_hLN4vllm18Fp8KVCacheDataTypeE1EDF16_Li16ELi128ELi256ELb1ELi2EEvPKT_PKT0_S7_ifPKiS9_S9_iPKfiiiPfSC_PS2_PT2_iSB_SB_
__PRETTY_FUNCTION__._Z38paged_attention_ll4mi_QKV_mfma4_kernelIDF16_hLN4vllm18Fp8KVCacheDataTypeE1EDF16_Li16ELi128ELi256ELb1ELi2EEvPKT_PKT0_S7_ifPKiS9_S9_iPKfiiiPfSC_PS2_PT2_iSB_SB_:
	.asciz	"void paged_attention_ll4mi_QKV_mfma4_kernel(const scalar_t *__restrict, const cache_t *__restrict, const cache_t *__restrict, const int, const float, const int *__restrict, const int *__restrict, const int *__restrict, const int, const float *__restrict, const int, const int, const int, float *__restrict, float *__restrict, scalar_t *__restrict, OUTT *__restrict, int, const float *, const float *) [scalar_t = _Float16, cache_t = unsigned char, KV_DTYPE = vllm::Fp8KVCacheDataType::kFp8E4M3, OUTT = _Float16, BLOCK_SIZE = 16, HEAD_SIZE = 128, NUM_THREADS = 256, ALIBI_ENABLED = true, GQA_RATIO = 2]"
	.size	__PRETTY_FUNCTION__._Z38paged_attention_ll4mi_QKV_mfma4_kernelIDF16_hLN4vllm18Fp8KVCacheDataTypeE1EDF16_Li16ELi128ELi256ELb1ELi2EEvPKT_PKT0_S7_ifPKiS9_S9_iPKfiiiPfSC_PS2_PT2_iSB_SB_, 602

	.type	__PRETTY_FUNCTION__._Z38paged_attention_ll4mi_QKV_mfma4_kernelIDF16_hLN4vllm18Fp8KVCacheDataTypeE1EDF16_Li16ELi128ELi256ELb1ELi3EEvPKT_PKT0_S7_ifPKiS9_S9_iPKfiiiPfSC_PS2_PT2_iSB_SB_,@object ; @__PRETTY_FUNCTION__._Z38paged_attention_ll4mi_QKV_mfma4_kernelIDF16_hLN4vllm18Fp8KVCacheDataTypeE1EDF16_Li16ELi128ELi256ELb1ELi3EEvPKT_PKT0_S7_ifPKiS9_S9_iPKfiiiPfSC_PS2_PT2_iSB_SB_
__PRETTY_FUNCTION__._Z38paged_attention_ll4mi_QKV_mfma4_kernelIDF16_hLN4vllm18Fp8KVCacheDataTypeE1EDF16_Li16ELi128ELi256ELb1ELi3EEvPKT_PKT0_S7_ifPKiS9_S9_iPKfiiiPfSC_PS2_PT2_iSB_SB_:
	.asciz	"void paged_attention_ll4mi_QKV_mfma4_kernel(const scalar_t *__restrict, const cache_t *__restrict, const cache_t *__restrict, const int, const float, const int *__restrict, const int *__restrict, const int *__restrict, const int, const float *__restrict, const int, const int, const int, float *__restrict, float *__restrict, scalar_t *__restrict, OUTT *__restrict, int, const float *, const float *) [scalar_t = _Float16, cache_t = unsigned char, KV_DTYPE = vllm::Fp8KVCacheDataType::kFp8E4M3, OUTT = _Float16, BLOCK_SIZE = 16, HEAD_SIZE = 128, NUM_THREADS = 256, ALIBI_ENABLED = true, GQA_RATIO = 3]"
	.size	__PRETTY_FUNCTION__._Z38paged_attention_ll4mi_QKV_mfma4_kernelIDF16_hLN4vllm18Fp8KVCacheDataTypeE1EDF16_Li16ELi128ELi256ELb1ELi3EEvPKT_PKT0_S7_ifPKiS9_S9_iPKfiiiPfSC_PS2_PT2_iSB_SB_, 602

	.type	__PRETTY_FUNCTION__._Z38paged_attention_ll4mi_QKV_mfma4_kernelIDF16_hLN4vllm18Fp8KVCacheDataTypeE1EDF16_Li16ELi128ELi256ELb1ELi4EEvPKT_PKT0_S7_ifPKiS9_S9_iPKfiiiPfSC_PS2_PT2_iSB_SB_,@object ; @__PRETTY_FUNCTION__._Z38paged_attention_ll4mi_QKV_mfma4_kernelIDF16_hLN4vllm18Fp8KVCacheDataTypeE1EDF16_Li16ELi128ELi256ELb1ELi4EEvPKT_PKT0_S7_ifPKiS9_S9_iPKfiiiPfSC_PS2_PT2_iSB_SB_
__PRETTY_FUNCTION__._Z38paged_attention_ll4mi_QKV_mfma4_kernelIDF16_hLN4vllm18Fp8KVCacheDataTypeE1EDF16_Li16ELi128ELi256ELb1ELi4EEvPKT_PKT0_S7_ifPKiS9_S9_iPKfiiiPfSC_PS2_PT2_iSB_SB_:
	.asciz	"void paged_attention_ll4mi_QKV_mfma4_kernel(const scalar_t *__restrict, const cache_t *__restrict, const cache_t *__restrict, const int, const float, const int *__restrict, const int *__restrict, const int *__restrict, const int, const float *__restrict, const int, const int, const int, float *__restrict, float *__restrict, scalar_t *__restrict, OUTT *__restrict, int, const float *, const float *) [scalar_t = _Float16, cache_t = unsigned char, KV_DTYPE = vllm::Fp8KVCacheDataType::kFp8E4M3, OUTT = _Float16, BLOCK_SIZE = 16, HEAD_SIZE = 128, NUM_THREADS = 256, ALIBI_ENABLED = true, GQA_RATIO = 4]"
	.size	__PRETTY_FUNCTION__._Z38paged_attention_ll4mi_QKV_mfma4_kernelIDF16_hLN4vllm18Fp8KVCacheDataTypeE1EDF16_Li16ELi128ELi256ELb1ELi4EEvPKT_PKT0_S7_ifPKiS9_S9_iPKfiiiPfSC_PS2_PT2_iSB_SB_, 602

	.type	__PRETTY_FUNCTION__._Z38paged_attention_ll4mi_QKV_mfma4_kernelIDF16_hLN4vllm18Fp8KVCacheDataTypeE1EDF16_Li16ELi128ELi256ELb0ELi1EEvPKT_PKT0_S7_ifPKiS9_S9_iPKfiiiPfSC_PS2_PT2_iSB_SB_,@object ; @__PRETTY_FUNCTION__._Z38paged_attention_ll4mi_QKV_mfma4_kernelIDF16_hLN4vllm18Fp8KVCacheDataTypeE1EDF16_Li16ELi128ELi256ELb0ELi1EEvPKT_PKT0_S7_ifPKiS9_S9_iPKfiiiPfSC_PS2_PT2_iSB_SB_
__PRETTY_FUNCTION__._Z38paged_attention_ll4mi_QKV_mfma4_kernelIDF16_hLN4vllm18Fp8KVCacheDataTypeE1EDF16_Li16ELi128ELi256ELb0ELi1EEvPKT_PKT0_S7_ifPKiS9_S9_iPKfiiiPfSC_PS2_PT2_iSB_SB_:
	.asciz	"void paged_attention_ll4mi_QKV_mfma4_kernel(const scalar_t *__restrict, const cache_t *__restrict, const cache_t *__restrict, const int, const float, const int *__restrict, const int *__restrict, const int *__restrict, const int, const float *__restrict, const int, const int, const int, float *__restrict, float *__restrict, scalar_t *__restrict, OUTT *__restrict, int, const float *, const float *) [scalar_t = _Float16, cache_t = unsigned char, KV_DTYPE = vllm::Fp8KVCacheDataType::kFp8E4M3, OUTT = _Float16, BLOCK_SIZE = 16, HEAD_SIZE = 128, NUM_THREADS = 256, ALIBI_ENABLED = false, GQA_RATIO = 1]"
	.size	__PRETTY_FUNCTION__._Z38paged_attention_ll4mi_QKV_mfma4_kernelIDF16_hLN4vllm18Fp8KVCacheDataTypeE1EDF16_Li16ELi128ELi256ELb0ELi1EEvPKT_PKT0_S7_ifPKiS9_S9_iPKfiiiPfSC_PS2_PT2_iSB_SB_, 603

	.type	__PRETTY_FUNCTION__._Z38paged_attention_ll4mi_QKV_mfma4_kernelIDF16_hLN4vllm18Fp8KVCacheDataTypeE1EDF16_Li16ELi128ELi256ELb0ELi2EEvPKT_PKT0_S7_ifPKiS9_S9_iPKfiiiPfSC_PS2_PT2_iSB_SB_,@object ; @__PRETTY_FUNCTION__._Z38paged_attention_ll4mi_QKV_mfma4_kernelIDF16_hLN4vllm18Fp8KVCacheDataTypeE1EDF16_Li16ELi128ELi256ELb0ELi2EEvPKT_PKT0_S7_ifPKiS9_S9_iPKfiiiPfSC_PS2_PT2_iSB_SB_
__PRETTY_FUNCTION__._Z38paged_attention_ll4mi_QKV_mfma4_kernelIDF16_hLN4vllm18Fp8KVCacheDataTypeE1EDF16_Li16ELi128ELi256ELb0ELi2EEvPKT_PKT0_S7_ifPKiS9_S9_iPKfiiiPfSC_PS2_PT2_iSB_SB_:
	.asciz	"void paged_attention_ll4mi_QKV_mfma4_kernel(const scalar_t *__restrict, const cache_t *__restrict, const cache_t *__restrict, const int, const float, const int *__restrict, const int *__restrict, const int *__restrict, const int, const float *__restrict, const int, const int, const int, float *__restrict, float *__restrict, scalar_t *__restrict, OUTT *__restrict, int, const float *, const float *) [scalar_t = _Float16, cache_t = unsigned char, KV_DTYPE = vllm::Fp8KVCacheDataType::kFp8E4M3, OUTT = _Float16, BLOCK_SIZE = 16, HEAD_SIZE = 128, NUM_THREADS = 256, ALIBI_ENABLED = false, GQA_RATIO = 2]"
	.size	__PRETTY_FUNCTION__._Z38paged_attention_ll4mi_QKV_mfma4_kernelIDF16_hLN4vllm18Fp8KVCacheDataTypeE1EDF16_Li16ELi128ELi256ELb0ELi2EEvPKT_PKT0_S7_ifPKiS9_S9_iPKfiiiPfSC_PS2_PT2_iSB_SB_, 603

	.type	__PRETTY_FUNCTION__._Z38paged_attention_ll4mi_QKV_mfma4_kernelIDF16_hLN4vllm18Fp8KVCacheDataTypeE1EDF16_Li16ELi128ELi256ELb0ELi3EEvPKT_PKT0_S7_ifPKiS9_S9_iPKfiiiPfSC_PS2_PT2_iSB_SB_,@object ; @__PRETTY_FUNCTION__._Z38paged_attention_ll4mi_QKV_mfma4_kernelIDF16_hLN4vllm18Fp8KVCacheDataTypeE1EDF16_Li16ELi128ELi256ELb0ELi3EEvPKT_PKT0_S7_ifPKiS9_S9_iPKfiiiPfSC_PS2_PT2_iSB_SB_
__PRETTY_FUNCTION__._Z38paged_attention_ll4mi_QKV_mfma4_kernelIDF16_hLN4vllm18Fp8KVCacheDataTypeE1EDF16_Li16ELi128ELi256ELb0ELi3EEvPKT_PKT0_S7_ifPKiS9_S9_iPKfiiiPfSC_PS2_PT2_iSB_SB_:
	.asciz	"void paged_attention_ll4mi_QKV_mfma4_kernel(const scalar_t *__restrict, const cache_t *__restrict, const cache_t *__restrict, const int, const float, const int *__restrict, const int *__restrict, const int *__restrict, const int, const float *__restrict, const int, const int, const int, float *__restrict, float *__restrict, scalar_t *__restrict, OUTT *__restrict, int, const float *, const float *) [scalar_t = _Float16, cache_t = unsigned char, KV_DTYPE = vllm::Fp8KVCacheDataType::kFp8E4M3, OUTT = _Float16, BLOCK_SIZE = 16, HEAD_SIZE = 128, NUM_THREADS = 256, ALIBI_ENABLED = false, GQA_RATIO = 3]"
	.size	__PRETTY_FUNCTION__._Z38paged_attention_ll4mi_QKV_mfma4_kernelIDF16_hLN4vllm18Fp8KVCacheDataTypeE1EDF16_Li16ELi128ELi256ELb0ELi3EEvPKT_PKT0_S7_ifPKiS9_S9_iPKfiiiPfSC_PS2_PT2_iSB_SB_, 603

	.type	__PRETTY_FUNCTION__._Z38paged_attention_ll4mi_QKV_mfma4_kernelIDF16_hLN4vllm18Fp8KVCacheDataTypeE1EDF16_Li16ELi128ELi256ELb0ELi4EEvPKT_PKT0_S7_ifPKiS9_S9_iPKfiiiPfSC_PS2_PT2_iSB_SB_,@object ; @__PRETTY_FUNCTION__._Z38paged_attention_ll4mi_QKV_mfma4_kernelIDF16_hLN4vllm18Fp8KVCacheDataTypeE1EDF16_Li16ELi128ELi256ELb0ELi4EEvPKT_PKT0_S7_ifPKiS9_S9_iPKfiiiPfSC_PS2_PT2_iSB_SB_
__PRETTY_FUNCTION__._Z38paged_attention_ll4mi_QKV_mfma4_kernelIDF16_hLN4vllm18Fp8KVCacheDataTypeE1EDF16_Li16ELi128ELi256ELb0ELi4EEvPKT_PKT0_S7_ifPKiS9_S9_iPKfiiiPfSC_PS2_PT2_iSB_SB_:
	.asciz	"void paged_attention_ll4mi_QKV_mfma4_kernel(const scalar_t *__restrict, const cache_t *__restrict, const cache_t *__restrict, const int, const float, const int *__restrict, const int *__restrict, const int *__restrict, const int, const float *__restrict, const int, const int, const int, float *__restrict, float *__restrict, scalar_t *__restrict, OUTT *__restrict, int, const float *, const float *) [scalar_t = _Float16, cache_t = unsigned char, KV_DTYPE = vllm::Fp8KVCacheDataType::kFp8E4M3, OUTT = _Float16, BLOCK_SIZE = 16, HEAD_SIZE = 128, NUM_THREADS = 256, ALIBI_ENABLED = false, GQA_RATIO = 4]"
	.size	__PRETTY_FUNCTION__._Z38paged_attention_ll4mi_QKV_mfma4_kernelIDF16_hLN4vllm18Fp8KVCacheDataTypeE1EDF16_Li16ELi128ELi256ELb0ELi4EEvPKT_PKT0_S7_ifPKiS9_S9_iPKfiiiPfSC_PS2_PT2_iSB_SB_, 603

	.type	__PRETTY_FUNCTION__._Z38paged_attention_ll4mi_QKV_mfma4_kernelIDF16_hLN4vllm18Fp8KVCacheDataTypeE1EhLi32ELi128ELi256ELb1ELi1EEvPKT_PKT0_S7_ifPKiS9_S9_iPKfiiiPfSC_PS2_PT2_iSB_SB_,@object ; @__PRETTY_FUNCTION__._Z38paged_attention_ll4mi_QKV_mfma4_kernelIDF16_hLN4vllm18Fp8KVCacheDataTypeE1EhLi32ELi128ELi256ELb1ELi1EEvPKT_PKT0_S7_ifPKiS9_S9_iPKfiiiPfSC_PS2_PT2_iSB_SB_
__PRETTY_FUNCTION__._Z38paged_attention_ll4mi_QKV_mfma4_kernelIDF16_hLN4vllm18Fp8KVCacheDataTypeE1EhLi32ELi128ELi256ELb1ELi1EEvPKT_PKT0_S7_ifPKiS9_S9_iPKfiiiPfSC_PS2_PT2_iSB_SB_:
	.asciz	"void paged_attention_ll4mi_QKV_mfma4_kernel(const scalar_t *__restrict, const cache_t *__restrict, const cache_t *__restrict, const int, const float, const int *__restrict, const int *__restrict, const int *__restrict, const int, const float *__restrict, const int, const int, const int, float *__restrict, float *__restrict, scalar_t *__restrict, OUTT *__restrict, int, const float *, const float *) [scalar_t = _Float16, cache_t = unsigned char, KV_DTYPE = vllm::Fp8KVCacheDataType::kFp8E4M3, OUTT = unsigned char, BLOCK_SIZE = 32, HEAD_SIZE = 128, NUM_THREADS = 256, ALIBI_ENABLED = true, GQA_RATIO = 1]"
	.size	__PRETTY_FUNCTION__._Z38paged_attention_ll4mi_QKV_mfma4_kernelIDF16_hLN4vllm18Fp8KVCacheDataTypeE1EhLi32ELi128ELi256ELb1ELi1EEvPKT_PKT0_S7_ifPKiS9_S9_iPKfiiiPfSC_PS2_PT2_iSB_SB_, 607

	.type	__PRETTY_FUNCTION__._Z38paged_attention_ll4mi_QKV_mfma4_kernelIDF16_hLN4vllm18Fp8KVCacheDataTypeE1EhLi32ELi128ELi256ELb1ELi2EEvPKT_PKT0_S7_ifPKiS9_S9_iPKfiiiPfSC_PS2_PT2_iSB_SB_,@object ; @__PRETTY_FUNCTION__._Z38paged_attention_ll4mi_QKV_mfma4_kernelIDF16_hLN4vllm18Fp8KVCacheDataTypeE1EhLi32ELi128ELi256ELb1ELi2EEvPKT_PKT0_S7_ifPKiS9_S9_iPKfiiiPfSC_PS2_PT2_iSB_SB_
__PRETTY_FUNCTION__._Z38paged_attention_ll4mi_QKV_mfma4_kernelIDF16_hLN4vllm18Fp8KVCacheDataTypeE1EhLi32ELi128ELi256ELb1ELi2EEvPKT_PKT0_S7_ifPKiS9_S9_iPKfiiiPfSC_PS2_PT2_iSB_SB_:
	.asciz	"void paged_attention_ll4mi_QKV_mfma4_kernel(const scalar_t *__restrict, const cache_t *__restrict, const cache_t *__restrict, const int, const float, const int *__restrict, const int *__restrict, const int *__restrict, const int, const float *__restrict, const int, const int, const int, float *__restrict, float *__restrict, scalar_t *__restrict, OUTT *__restrict, int, const float *, const float *) [scalar_t = _Float16, cache_t = unsigned char, KV_DTYPE = vllm::Fp8KVCacheDataType::kFp8E4M3, OUTT = unsigned char, BLOCK_SIZE = 32, HEAD_SIZE = 128, NUM_THREADS = 256, ALIBI_ENABLED = true, GQA_RATIO = 2]"
	.size	__PRETTY_FUNCTION__._Z38paged_attention_ll4mi_QKV_mfma4_kernelIDF16_hLN4vllm18Fp8KVCacheDataTypeE1EhLi32ELi128ELi256ELb1ELi2EEvPKT_PKT0_S7_ifPKiS9_S9_iPKfiiiPfSC_PS2_PT2_iSB_SB_, 607

	.type	__PRETTY_FUNCTION__._Z38paged_attention_ll4mi_QKV_mfma4_kernelIDF16_hLN4vllm18Fp8KVCacheDataTypeE1EhLi32ELi128ELi256ELb1ELi3EEvPKT_PKT0_S7_ifPKiS9_S9_iPKfiiiPfSC_PS2_PT2_iSB_SB_,@object ; @__PRETTY_FUNCTION__._Z38paged_attention_ll4mi_QKV_mfma4_kernelIDF16_hLN4vllm18Fp8KVCacheDataTypeE1EhLi32ELi128ELi256ELb1ELi3EEvPKT_PKT0_S7_ifPKiS9_S9_iPKfiiiPfSC_PS2_PT2_iSB_SB_
__PRETTY_FUNCTION__._Z38paged_attention_ll4mi_QKV_mfma4_kernelIDF16_hLN4vllm18Fp8KVCacheDataTypeE1EhLi32ELi128ELi256ELb1ELi3EEvPKT_PKT0_S7_ifPKiS9_S9_iPKfiiiPfSC_PS2_PT2_iSB_SB_:
	.asciz	"void paged_attention_ll4mi_QKV_mfma4_kernel(const scalar_t *__restrict, const cache_t *__restrict, const cache_t *__restrict, const int, const float, const int *__restrict, const int *__restrict, const int *__restrict, const int, const float *__restrict, const int, const int, const int, float *__restrict, float *__restrict, scalar_t *__restrict, OUTT *__restrict, int, const float *, const float *) [scalar_t = _Float16, cache_t = unsigned char, KV_DTYPE = vllm::Fp8KVCacheDataType::kFp8E4M3, OUTT = unsigned char, BLOCK_SIZE = 32, HEAD_SIZE = 128, NUM_THREADS = 256, ALIBI_ENABLED = true, GQA_RATIO = 3]"
	.size	__PRETTY_FUNCTION__._Z38paged_attention_ll4mi_QKV_mfma4_kernelIDF16_hLN4vllm18Fp8KVCacheDataTypeE1EhLi32ELi128ELi256ELb1ELi3EEvPKT_PKT0_S7_ifPKiS9_S9_iPKfiiiPfSC_PS2_PT2_iSB_SB_, 607

	.type	__PRETTY_FUNCTION__._Z38paged_attention_ll4mi_QKV_mfma4_kernelIDF16_hLN4vllm18Fp8KVCacheDataTypeE1EhLi32ELi128ELi256ELb1ELi4EEvPKT_PKT0_S7_ifPKiS9_S9_iPKfiiiPfSC_PS2_PT2_iSB_SB_,@object ; @__PRETTY_FUNCTION__._Z38paged_attention_ll4mi_QKV_mfma4_kernelIDF16_hLN4vllm18Fp8KVCacheDataTypeE1EhLi32ELi128ELi256ELb1ELi4EEvPKT_PKT0_S7_ifPKiS9_S9_iPKfiiiPfSC_PS2_PT2_iSB_SB_
__PRETTY_FUNCTION__._Z38paged_attention_ll4mi_QKV_mfma4_kernelIDF16_hLN4vllm18Fp8KVCacheDataTypeE1EhLi32ELi128ELi256ELb1ELi4EEvPKT_PKT0_S7_ifPKiS9_S9_iPKfiiiPfSC_PS2_PT2_iSB_SB_:
	.asciz	"void paged_attention_ll4mi_QKV_mfma4_kernel(const scalar_t *__restrict, const cache_t *__restrict, const cache_t *__restrict, const int, const float, const int *__restrict, const int *__restrict, const int *__restrict, const int, const float *__restrict, const int, const int, const int, float *__restrict, float *__restrict, scalar_t *__restrict, OUTT *__restrict, int, const float *, const float *) [scalar_t = _Float16, cache_t = unsigned char, KV_DTYPE = vllm::Fp8KVCacheDataType::kFp8E4M3, OUTT = unsigned char, BLOCK_SIZE = 32, HEAD_SIZE = 128, NUM_THREADS = 256, ALIBI_ENABLED = true, GQA_RATIO = 4]"
	.size	__PRETTY_FUNCTION__._Z38paged_attention_ll4mi_QKV_mfma4_kernelIDF16_hLN4vllm18Fp8KVCacheDataTypeE1EhLi32ELi128ELi256ELb1ELi4EEvPKT_PKT0_S7_ifPKiS9_S9_iPKfiiiPfSC_PS2_PT2_iSB_SB_, 607

	.type	__PRETTY_FUNCTION__._Z38paged_attention_ll4mi_QKV_mfma4_kernelIDF16_hLN4vllm18Fp8KVCacheDataTypeE1EhLi32ELi128ELi256ELb0ELi1EEvPKT_PKT0_S7_ifPKiS9_S9_iPKfiiiPfSC_PS2_PT2_iSB_SB_,@object ; @__PRETTY_FUNCTION__._Z38paged_attention_ll4mi_QKV_mfma4_kernelIDF16_hLN4vllm18Fp8KVCacheDataTypeE1EhLi32ELi128ELi256ELb0ELi1EEvPKT_PKT0_S7_ifPKiS9_S9_iPKfiiiPfSC_PS2_PT2_iSB_SB_
__PRETTY_FUNCTION__._Z38paged_attention_ll4mi_QKV_mfma4_kernelIDF16_hLN4vllm18Fp8KVCacheDataTypeE1EhLi32ELi128ELi256ELb0ELi1EEvPKT_PKT0_S7_ifPKiS9_S9_iPKfiiiPfSC_PS2_PT2_iSB_SB_:
	.asciz	"void paged_attention_ll4mi_QKV_mfma4_kernel(const scalar_t *__restrict, const cache_t *__restrict, const cache_t *__restrict, const int, const float, const int *__restrict, const int *__restrict, const int *__restrict, const int, const float *__restrict, const int, const int, const int, float *__restrict, float *__restrict, scalar_t *__restrict, OUTT *__restrict, int, const float *, const float *) [scalar_t = _Float16, cache_t = unsigned char, KV_DTYPE = vllm::Fp8KVCacheDataType::kFp8E4M3, OUTT = unsigned char, BLOCK_SIZE = 32, HEAD_SIZE = 128, NUM_THREADS = 256, ALIBI_ENABLED = false, GQA_RATIO = 1]"
	.size	__PRETTY_FUNCTION__._Z38paged_attention_ll4mi_QKV_mfma4_kernelIDF16_hLN4vllm18Fp8KVCacheDataTypeE1EhLi32ELi128ELi256ELb0ELi1EEvPKT_PKT0_S7_ifPKiS9_S9_iPKfiiiPfSC_PS2_PT2_iSB_SB_, 608

	.type	__PRETTY_FUNCTION__._Z38paged_attention_ll4mi_QKV_mfma4_kernelIDF16_hLN4vllm18Fp8KVCacheDataTypeE1EhLi32ELi128ELi256ELb0ELi2EEvPKT_PKT0_S7_ifPKiS9_S9_iPKfiiiPfSC_PS2_PT2_iSB_SB_,@object ; @__PRETTY_FUNCTION__._Z38paged_attention_ll4mi_QKV_mfma4_kernelIDF16_hLN4vllm18Fp8KVCacheDataTypeE1EhLi32ELi128ELi256ELb0ELi2EEvPKT_PKT0_S7_ifPKiS9_S9_iPKfiiiPfSC_PS2_PT2_iSB_SB_
__PRETTY_FUNCTION__._Z38paged_attention_ll4mi_QKV_mfma4_kernelIDF16_hLN4vllm18Fp8KVCacheDataTypeE1EhLi32ELi128ELi256ELb0ELi2EEvPKT_PKT0_S7_ifPKiS9_S9_iPKfiiiPfSC_PS2_PT2_iSB_SB_:
	.asciz	"void paged_attention_ll4mi_QKV_mfma4_kernel(const scalar_t *__restrict, const cache_t *__restrict, const cache_t *__restrict, const int, const float, const int *__restrict, const int *__restrict, const int *__restrict, const int, const float *__restrict, const int, const int, const int, float *__restrict, float *__restrict, scalar_t *__restrict, OUTT *__restrict, int, const float *, const float *) [scalar_t = _Float16, cache_t = unsigned char, KV_DTYPE = vllm::Fp8KVCacheDataType::kFp8E4M3, OUTT = unsigned char, BLOCK_SIZE = 32, HEAD_SIZE = 128, NUM_THREADS = 256, ALIBI_ENABLED = false, GQA_RATIO = 2]"
	.size	__PRETTY_FUNCTION__._Z38paged_attention_ll4mi_QKV_mfma4_kernelIDF16_hLN4vllm18Fp8KVCacheDataTypeE1EhLi32ELi128ELi256ELb0ELi2EEvPKT_PKT0_S7_ifPKiS9_S9_iPKfiiiPfSC_PS2_PT2_iSB_SB_, 608

	.type	__PRETTY_FUNCTION__._Z38paged_attention_ll4mi_QKV_mfma4_kernelIDF16_hLN4vllm18Fp8KVCacheDataTypeE1EhLi32ELi128ELi256ELb0ELi3EEvPKT_PKT0_S7_ifPKiS9_S9_iPKfiiiPfSC_PS2_PT2_iSB_SB_,@object ; @__PRETTY_FUNCTION__._Z38paged_attention_ll4mi_QKV_mfma4_kernelIDF16_hLN4vllm18Fp8KVCacheDataTypeE1EhLi32ELi128ELi256ELb0ELi3EEvPKT_PKT0_S7_ifPKiS9_S9_iPKfiiiPfSC_PS2_PT2_iSB_SB_
__PRETTY_FUNCTION__._Z38paged_attention_ll4mi_QKV_mfma4_kernelIDF16_hLN4vllm18Fp8KVCacheDataTypeE1EhLi32ELi128ELi256ELb0ELi3EEvPKT_PKT0_S7_ifPKiS9_S9_iPKfiiiPfSC_PS2_PT2_iSB_SB_:
	.asciz	"void paged_attention_ll4mi_QKV_mfma4_kernel(const scalar_t *__restrict, const cache_t *__restrict, const cache_t *__restrict, const int, const float, const int *__restrict, const int *__restrict, const int *__restrict, const int, const float *__restrict, const int, const int, const int, float *__restrict, float *__restrict, scalar_t *__restrict, OUTT *__restrict, int, const float *, const float *) [scalar_t = _Float16, cache_t = unsigned char, KV_DTYPE = vllm::Fp8KVCacheDataType::kFp8E4M3, OUTT = unsigned char, BLOCK_SIZE = 32, HEAD_SIZE = 128, NUM_THREADS = 256, ALIBI_ENABLED = false, GQA_RATIO = 3]"
	.size	__PRETTY_FUNCTION__._Z38paged_attention_ll4mi_QKV_mfma4_kernelIDF16_hLN4vllm18Fp8KVCacheDataTypeE1EhLi32ELi128ELi256ELb0ELi3EEvPKT_PKT0_S7_ifPKiS9_S9_iPKfiiiPfSC_PS2_PT2_iSB_SB_, 608

	.type	__PRETTY_FUNCTION__._Z38paged_attention_ll4mi_QKV_mfma4_kernelIDF16_hLN4vllm18Fp8KVCacheDataTypeE1EhLi32ELi128ELi256ELb0ELi4EEvPKT_PKT0_S7_ifPKiS9_S9_iPKfiiiPfSC_PS2_PT2_iSB_SB_,@object ; @__PRETTY_FUNCTION__._Z38paged_attention_ll4mi_QKV_mfma4_kernelIDF16_hLN4vllm18Fp8KVCacheDataTypeE1EhLi32ELi128ELi256ELb0ELi4EEvPKT_PKT0_S7_ifPKiS9_S9_iPKfiiiPfSC_PS2_PT2_iSB_SB_
__PRETTY_FUNCTION__._Z38paged_attention_ll4mi_QKV_mfma4_kernelIDF16_hLN4vllm18Fp8KVCacheDataTypeE1EhLi32ELi128ELi256ELb0ELi4EEvPKT_PKT0_S7_ifPKiS9_S9_iPKfiiiPfSC_PS2_PT2_iSB_SB_:
	.asciz	"void paged_attention_ll4mi_QKV_mfma4_kernel(const scalar_t *__restrict, const cache_t *__restrict, const cache_t *__restrict, const int, const float, const int *__restrict, const int *__restrict, const int *__restrict, const int, const float *__restrict, const int, const int, const int, float *__restrict, float *__restrict, scalar_t *__restrict, OUTT *__restrict, int, const float *, const float *) [scalar_t = _Float16, cache_t = unsigned char, KV_DTYPE = vllm::Fp8KVCacheDataType::kFp8E4M3, OUTT = unsigned char, BLOCK_SIZE = 32, HEAD_SIZE = 128, NUM_THREADS = 256, ALIBI_ENABLED = false, GQA_RATIO = 4]"
	.size	__PRETTY_FUNCTION__._Z38paged_attention_ll4mi_QKV_mfma4_kernelIDF16_hLN4vllm18Fp8KVCacheDataTypeE1EhLi32ELi128ELi256ELb0ELi4EEvPKT_PKT0_S7_ifPKiS9_S9_iPKfiiiPfSC_PS2_PT2_iSB_SB_, 608

	.type	__PRETTY_FUNCTION__._Z38paged_attention_ll4mi_QKV_mfma4_kernelIDF16_hLN4vllm18Fp8KVCacheDataTypeE1EDF16_Li32ELi128ELi256ELb1ELi1EEvPKT_PKT0_S7_ifPKiS9_S9_iPKfiiiPfSC_PS2_PT2_iSB_SB_,@object ; @__PRETTY_FUNCTION__._Z38paged_attention_ll4mi_QKV_mfma4_kernelIDF16_hLN4vllm18Fp8KVCacheDataTypeE1EDF16_Li32ELi128ELi256ELb1ELi1EEvPKT_PKT0_S7_ifPKiS9_S9_iPKfiiiPfSC_PS2_PT2_iSB_SB_
__PRETTY_FUNCTION__._Z38paged_attention_ll4mi_QKV_mfma4_kernelIDF16_hLN4vllm18Fp8KVCacheDataTypeE1EDF16_Li32ELi128ELi256ELb1ELi1EEvPKT_PKT0_S7_ifPKiS9_S9_iPKfiiiPfSC_PS2_PT2_iSB_SB_:
	.asciz	"void paged_attention_ll4mi_QKV_mfma4_kernel(const scalar_t *__restrict, const cache_t *__restrict, const cache_t *__restrict, const int, const float, const int *__restrict, const int *__restrict, const int *__restrict, const int, const float *__restrict, const int, const int, const int, float *__restrict, float *__restrict, scalar_t *__restrict, OUTT *__restrict, int, const float *, const float *) [scalar_t = _Float16, cache_t = unsigned char, KV_DTYPE = vllm::Fp8KVCacheDataType::kFp8E4M3, OUTT = _Float16, BLOCK_SIZE = 32, HEAD_SIZE = 128, NUM_THREADS = 256, ALIBI_ENABLED = true, GQA_RATIO = 1]"
	.size	__PRETTY_FUNCTION__._Z38paged_attention_ll4mi_QKV_mfma4_kernelIDF16_hLN4vllm18Fp8KVCacheDataTypeE1EDF16_Li32ELi128ELi256ELb1ELi1EEvPKT_PKT0_S7_ifPKiS9_S9_iPKfiiiPfSC_PS2_PT2_iSB_SB_, 602

	.type	__PRETTY_FUNCTION__._Z38paged_attention_ll4mi_QKV_mfma4_kernelIDF16_hLN4vllm18Fp8KVCacheDataTypeE1EDF16_Li32ELi128ELi256ELb1ELi2EEvPKT_PKT0_S7_ifPKiS9_S9_iPKfiiiPfSC_PS2_PT2_iSB_SB_,@object ; @__PRETTY_FUNCTION__._Z38paged_attention_ll4mi_QKV_mfma4_kernelIDF16_hLN4vllm18Fp8KVCacheDataTypeE1EDF16_Li32ELi128ELi256ELb1ELi2EEvPKT_PKT0_S7_ifPKiS9_S9_iPKfiiiPfSC_PS2_PT2_iSB_SB_
__PRETTY_FUNCTION__._Z38paged_attention_ll4mi_QKV_mfma4_kernelIDF16_hLN4vllm18Fp8KVCacheDataTypeE1EDF16_Li32ELi128ELi256ELb1ELi2EEvPKT_PKT0_S7_ifPKiS9_S9_iPKfiiiPfSC_PS2_PT2_iSB_SB_:
	.asciz	"void paged_attention_ll4mi_QKV_mfma4_kernel(const scalar_t *__restrict, const cache_t *__restrict, const cache_t *__restrict, const int, const float, const int *__restrict, const int *__restrict, const int *__restrict, const int, const float *__restrict, const int, const int, const int, float *__restrict, float *__restrict, scalar_t *__restrict, OUTT *__restrict, int, const float *, const float *) [scalar_t = _Float16, cache_t = unsigned char, KV_DTYPE = vllm::Fp8KVCacheDataType::kFp8E4M3, OUTT = _Float16, BLOCK_SIZE = 32, HEAD_SIZE = 128, NUM_THREADS = 256, ALIBI_ENABLED = true, GQA_RATIO = 2]"
	.size	__PRETTY_FUNCTION__._Z38paged_attention_ll4mi_QKV_mfma4_kernelIDF16_hLN4vllm18Fp8KVCacheDataTypeE1EDF16_Li32ELi128ELi256ELb1ELi2EEvPKT_PKT0_S7_ifPKiS9_S9_iPKfiiiPfSC_PS2_PT2_iSB_SB_, 602

	.type	__PRETTY_FUNCTION__._Z38paged_attention_ll4mi_QKV_mfma4_kernelIDF16_hLN4vllm18Fp8KVCacheDataTypeE1EDF16_Li32ELi128ELi256ELb1ELi3EEvPKT_PKT0_S7_ifPKiS9_S9_iPKfiiiPfSC_PS2_PT2_iSB_SB_,@object ; @__PRETTY_FUNCTION__._Z38paged_attention_ll4mi_QKV_mfma4_kernelIDF16_hLN4vllm18Fp8KVCacheDataTypeE1EDF16_Li32ELi128ELi256ELb1ELi3EEvPKT_PKT0_S7_ifPKiS9_S9_iPKfiiiPfSC_PS2_PT2_iSB_SB_
__PRETTY_FUNCTION__._Z38paged_attention_ll4mi_QKV_mfma4_kernelIDF16_hLN4vllm18Fp8KVCacheDataTypeE1EDF16_Li32ELi128ELi256ELb1ELi3EEvPKT_PKT0_S7_ifPKiS9_S9_iPKfiiiPfSC_PS2_PT2_iSB_SB_:
	.asciz	"void paged_attention_ll4mi_QKV_mfma4_kernel(const scalar_t *__restrict, const cache_t *__restrict, const cache_t *__restrict, const int, const float, const int *__restrict, const int *__restrict, const int *__restrict, const int, const float *__restrict, const int, const int, const int, float *__restrict, float *__restrict, scalar_t *__restrict, OUTT *__restrict, int, const float *, const float *) [scalar_t = _Float16, cache_t = unsigned char, KV_DTYPE = vllm::Fp8KVCacheDataType::kFp8E4M3, OUTT = _Float16, BLOCK_SIZE = 32, HEAD_SIZE = 128, NUM_THREADS = 256, ALIBI_ENABLED = true, GQA_RATIO = 3]"
	.size	__PRETTY_FUNCTION__._Z38paged_attention_ll4mi_QKV_mfma4_kernelIDF16_hLN4vllm18Fp8KVCacheDataTypeE1EDF16_Li32ELi128ELi256ELb1ELi3EEvPKT_PKT0_S7_ifPKiS9_S9_iPKfiiiPfSC_PS2_PT2_iSB_SB_, 602

	.type	__PRETTY_FUNCTION__._Z38paged_attention_ll4mi_QKV_mfma4_kernelIDF16_hLN4vllm18Fp8KVCacheDataTypeE1EDF16_Li32ELi128ELi256ELb1ELi4EEvPKT_PKT0_S7_ifPKiS9_S9_iPKfiiiPfSC_PS2_PT2_iSB_SB_,@object ; @__PRETTY_FUNCTION__._Z38paged_attention_ll4mi_QKV_mfma4_kernelIDF16_hLN4vllm18Fp8KVCacheDataTypeE1EDF16_Li32ELi128ELi256ELb1ELi4EEvPKT_PKT0_S7_ifPKiS9_S9_iPKfiiiPfSC_PS2_PT2_iSB_SB_
__PRETTY_FUNCTION__._Z38paged_attention_ll4mi_QKV_mfma4_kernelIDF16_hLN4vllm18Fp8KVCacheDataTypeE1EDF16_Li32ELi128ELi256ELb1ELi4EEvPKT_PKT0_S7_ifPKiS9_S9_iPKfiiiPfSC_PS2_PT2_iSB_SB_:
	.asciz	"void paged_attention_ll4mi_QKV_mfma4_kernel(const scalar_t *__restrict, const cache_t *__restrict, const cache_t *__restrict, const int, const float, const int *__restrict, const int *__restrict, const int *__restrict, const int, const float *__restrict, const int, const int, const int, float *__restrict, float *__restrict, scalar_t *__restrict, OUTT *__restrict, int, const float *, const float *) [scalar_t = _Float16, cache_t = unsigned char, KV_DTYPE = vllm::Fp8KVCacheDataType::kFp8E4M3, OUTT = _Float16, BLOCK_SIZE = 32, HEAD_SIZE = 128, NUM_THREADS = 256, ALIBI_ENABLED = true, GQA_RATIO = 4]"
	.size	__PRETTY_FUNCTION__._Z38paged_attention_ll4mi_QKV_mfma4_kernelIDF16_hLN4vllm18Fp8KVCacheDataTypeE1EDF16_Li32ELi128ELi256ELb1ELi4EEvPKT_PKT0_S7_ifPKiS9_S9_iPKfiiiPfSC_PS2_PT2_iSB_SB_, 602

	.type	__PRETTY_FUNCTION__._Z38paged_attention_ll4mi_QKV_mfma4_kernelIDF16_hLN4vllm18Fp8KVCacheDataTypeE1EDF16_Li32ELi128ELi256ELb0ELi1EEvPKT_PKT0_S7_ifPKiS9_S9_iPKfiiiPfSC_PS2_PT2_iSB_SB_,@object ; @__PRETTY_FUNCTION__._Z38paged_attention_ll4mi_QKV_mfma4_kernelIDF16_hLN4vllm18Fp8KVCacheDataTypeE1EDF16_Li32ELi128ELi256ELb0ELi1EEvPKT_PKT0_S7_ifPKiS9_S9_iPKfiiiPfSC_PS2_PT2_iSB_SB_
__PRETTY_FUNCTION__._Z38paged_attention_ll4mi_QKV_mfma4_kernelIDF16_hLN4vllm18Fp8KVCacheDataTypeE1EDF16_Li32ELi128ELi256ELb0ELi1EEvPKT_PKT0_S7_ifPKiS9_S9_iPKfiiiPfSC_PS2_PT2_iSB_SB_:
	.asciz	"void paged_attention_ll4mi_QKV_mfma4_kernel(const scalar_t *__restrict, const cache_t *__restrict, const cache_t *__restrict, const int, const float, const int *__restrict, const int *__restrict, const int *__restrict, const int, const float *__restrict, const int, const int, const int, float *__restrict, float *__restrict, scalar_t *__restrict, OUTT *__restrict, int, const float *, const float *) [scalar_t = _Float16, cache_t = unsigned char, KV_DTYPE = vllm::Fp8KVCacheDataType::kFp8E4M3, OUTT = _Float16, BLOCK_SIZE = 32, HEAD_SIZE = 128, NUM_THREADS = 256, ALIBI_ENABLED = false, GQA_RATIO = 1]"
	.size	__PRETTY_FUNCTION__._Z38paged_attention_ll4mi_QKV_mfma4_kernelIDF16_hLN4vllm18Fp8KVCacheDataTypeE1EDF16_Li32ELi128ELi256ELb0ELi1EEvPKT_PKT0_S7_ifPKiS9_S9_iPKfiiiPfSC_PS2_PT2_iSB_SB_, 603

	.type	__PRETTY_FUNCTION__._Z38paged_attention_ll4mi_QKV_mfma4_kernelIDF16_hLN4vllm18Fp8KVCacheDataTypeE1EDF16_Li32ELi128ELi256ELb0ELi2EEvPKT_PKT0_S7_ifPKiS9_S9_iPKfiiiPfSC_PS2_PT2_iSB_SB_,@object ; @__PRETTY_FUNCTION__._Z38paged_attention_ll4mi_QKV_mfma4_kernelIDF16_hLN4vllm18Fp8KVCacheDataTypeE1EDF16_Li32ELi128ELi256ELb0ELi2EEvPKT_PKT0_S7_ifPKiS9_S9_iPKfiiiPfSC_PS2_PT2_iSB_SB_
__PRETTY_FUNCTION__._Z38paged_attention_ll4mi_QKV_mfma4_kernelIDF16_hLN4vllm18Fp8KVCacheDataTypeE1EDF16_Li32ELi128ELi256ELb0ELi2EEvPKT_PKT0_S7_ifPKiS9_S9_iPKfiiiPfSC_PS2_PT2_iSB_SB_:
	.asciz	"void paged_attention_ll4mi_QKV_mfma4_kernel(const scalar_t *__restrict, const cache_t *__restrict, const cache_t *__restrict, const int, const float, const int *__restrict, const int *__restrict, const int *__restrict, const int, const float *__restrict, const int, const int, const int, float *__restrict, float *__restrict, scalar_t *__restrict, OUTT *__restrict, int, const float *, const float *) [scalar_t = _Float16, cache_t = unsigned char, KV_DTYPE = vllm::Fp8KVCacheDataType::kFp8E4M3, OUTT = _Float16, BLOCK_SIZE = 32, HEAD_SIZE = 128, NUM_THREADS = 256, ALIBI_ENABLED = false, GQA_RATIO = 2]"
	.size	__PRETTY_FUNCTION__._Z38paged_attention_ll4mi_QKV_mfma4_kernelIDF16_hLN4vllm18Fp8KVCacheDataTypeE1EDF16_Li32ELi128ELi256ELb0ELi2EEvPKT_PKT0_S7_ifPKiS9_S9_iPKfiiiPfSC_PS2_PT2_iSB_SB_, 603

	.type	__PRETTY_FUNCTION__._Z38paged_attention_ll4mi_QKV_mfma4_kernelIDF16_hLN4vllm18Fp8KVCacheDataTypeE1EDF16_Li32ELi128ELi256ELb0ELi3EEvPKT_PKT0_S7_ifPKiS9_S9_iPKfiiiPfSC_PS2_PT2_iSB_SB_,@object ; @__PRETTY_FUNCTION__._Z38paged_attention_ll4mi_QKV_mfma4_kernelIDF16_hLN4vllm18Fp8KVCacheDataTypeE1EDF16_Li32ELi128ELi256ELb0ELi3EEvPKT_PKT0_S7_ifPKiS9_S9_iPKfiiiPfSC_PS2_PT2_iSB_SB_
__PRETTY_FUNCTION__._Z38paged_attention_ll4mi_QKV_mfma4_kernelIDF16_hLN4vllm18Fp8KVCacheDataTypeE1EDF16_Li32ELi128ELi256ELb0ELi3EEvPKT_PKT0_S7_ifPKiS9_S9_iPKfiiiPfSC_PS2_PT2_iSB_SB_:
	.asciz	"void paged_attention_ll4mi_QKV_mfma4_kernel(const scalar_t *__restrict, const cache_t *__restrict, const cache_t *__restrict, const int, const float, const int *__restrict, const int *__restrict, const int *__restrict, const int, const float *__restrict, const int, const int, const int, float *__restrict, float *__restrict, scalar_t *__restrict, OUTT *__restrict, int, const float *, const float *) [scalar_t = _Float16, cache_t = unsigned char, KV_DTYPE = vllm::Fp8KVCacheDataType::kFp8E4M3, OUTT = _Float16, BLOCK_SIZE = 32, HEAD_SIZE = 128, NUM_THREADS = 256, ALIBI_ENABLED = false, GQA_RATIO = 3]"
	.size	__PRETTY_FUNCTION__._Z38paged_attention_ll4mi_QKV_mfma4_kernelIDF16_hLN4vllm18Fp8KVCacheDataTypeE1EDF16_Li32ELi128ELi256ELb0ELi3EEvPKT_PKT0_S7_ifPKiS9_S9_iPKfiiiPfSC_PS2_PT2_iSB_SB_, 603

	.type	__PRETTY_FUNCTION__._Z38paged_attention_ll4mi_QKV_mfma4_kernelIDF16_hLN4vllm18Fp8KVCacheDataTypeE1EDF16_Li32ELi128ELi256ELb0ELi4EEvPKT_PKT0_S7_ifPKiS9_S9_iPKfiiiPfSC_PS2_PT2_iSB_SB_,@object ; @__PRETTY_FUNCTION__._Z38paged_attention_ll4mi_QKV_mfma4_kernelIDF16_hLN4vllm18Fp8KVCacheDataTypeE1EDF16_Li32ELi128ELi256ELb0ELi4EEvPKT_PKT0_S7_ifPKiS9_S9_iPKfiiiPfSC_PS2_PT2_iSB_SB_
__PRETTY_FUNCTION__._Z38paged_attention_ll4mi_QKV_mfma4_kernelIDF16_hLN4vllm18Fp8KVCacheDataTypeE1EDF16_Li32ELi128ELi256ELb0ELi4EEvPKT_PKT0_S7_ifPKiS9_S9_iPKfiiiPfSC_PS2_PT2_iSB_SB_:
	.asciz	"void paged_attention_ll4mi_QKV_mfma4_kernel(const scalar_t *__restrict, const cache_t *__restrict, const cache_t *__restrict, const int, const float, const int *__restrict, const int *__restrict, const int *__restrict, const int, const float *__restrict, const int, const int, const int, float *__restrict, float *__restrict, scalar_t *__restrict, OUTT *__restrict, int, const float *, const float *) [scalar_t = _Float16, cache_t = unsigned char, KV_DTYPE = vllm::Fp8KVCacheDataType::kFp8E4M3, OUTT = _Float16, BLOCK_SIZE = 32, HEAD_SIZE = 128, NUM_THREADS = 256, ALIBI_ENABLED = false, GQA_RATIO = 4]"
	.size	__PRETTY_FUNCTION__._Z38paged_attention_ll4mi_QKV_mfma4_kernelIDF16_hLN4vllm18Fp8KVCacheDataTypeE1EDF16_Li32ELi128ELi256ELb0ELi4EEvPKT_PKT0_S7_ifPKiS9_S9_iPKfiiiPfSC_PS2_PT2_iSB_SB_, 603

	.type	__PRETTY_FUNCTION__._Z38paged_attention_ll4mi_QKV_mfma4_kernelI14__hip_bfloat16hLN4vllm18Fp8KVCacheDataTypeE1EhLi16ELi64ELi256ELb1ELi1EEvPKT_PKT0_S8_ifPKiSA_SA_iPKfiiiPfSD_PS3_PT2_iSC_SC_,@object ; @__PRETTY_FUNCTION__._Z38paged_attention_ll4mi_QKV_mfma4_kernelI14__hip_bfloat16hLN4vllm18Fp8KVCacheDataTypeE1EhLi16ELi64ELi256ELb1ELi1EEvPKT_PKT0_S8_ifPKiSA_SA_iPKfiiiPfSD_PS3_PT2_iSC_SC_
__PRETTY_FUNCTION__._Z38paged_attention_ll4mi_QKV_mfma4_kernelI14__hip_bfloat16hLN4vllm18Fp8KVCacheDataTypeE1EhLi16ELi64ELi256ELb1ELi1EEvPKT_PKT0_S8_ifPKiSA_SA_iPKfiiiPfSD_PS3_PT2_iSC_SC_:
	.asciz	"void paged_attention_ll4mi_QKV_mfma4_kernel(const scalar_t *__restrict, const cache_t *__restrict, const cache_t *__restrict, const int, const float, const int *__restrict, const int *__restrict, const int *__restrict, const int, const float *__restrict, const int, const int, const int, float *__restrict, float *__restrict, scalar_t *__restrict, OUTT *__restrict, int, const float *, const float *) [scalar_t = __hip_bfloat16, cache_t = unsigned char, KV_DTYPE = vllm::Fp8KVCacheDataType::kFp8E4M3, OUTT = unsigned char, BLOCK_SIZE = 16, HEAD_SIZE = 64, NUM_THREADS = 256, ALIBI_ENABLED = true, GQA_RATIO = 1]"
	.size	__PRETTY_FUNCTION__._Z38paged_attention_ll4mi_QKV_mfma4_kernelI14__hip_bfloat16hLN4vllm18Fp8KVCacheDataTypeE1EhLi16ELi64ELi256ELb1ELi1EEvPKT_PKT0_S8_ifPKiSA_SA_iPKfiiiPfSD_PS3_PT2_iSC_SC_, 612

	.type	__PRETTY_FUNCTION__._Z38paged_attention_ll4mi_QKV_mfma4_kernelI14__hip_bfloat16hLN4vllm18Fp8KVCacheDataTypeE1EhLi16ELi64ELi256ELb1ELi2EEvPKT_PKT0_S8_ifPKiSA_SA_iPKfiiiPfSD_PS3_PT2_iSC_SC_,@object ; @__PRETTY_FUNCTION__._Z38paged_attention_ll4mi_QKV_mfma4_kernelI14__hip_bfloat16hLN4vllm18Fp8KVCacheDataTypeE1EhLi16ELi64ELi256ELb1ELi2EEvPKT_PKT0_S8_ifPKiSA_SA_iPKfiiiPfSD_PS3_PT2_iSC_SC_
__PRETTY_FUNCTION__._Z38paged_attention_ll4mi_QKV_mfma4_kernelI14__hip_bfloat16hLN4vllm18Fp8KVCacheDataTypeE1EhLi16ELi64ELi256ELb1ELi2EEvPKT_PKT0_S8_ifPKiSA_SA_iPKfiiiPfSD_PS3_PT2_iSC_SC_:
	.asciz	"void paged_attention_ll4mi_QKV_mfma4_kernel(const scalar_t *__restrict, const cache_t *__restrict, const cache_t *__restrict, const int, const float, const int *__restrict, const int *__restrict, const int *__restrict, const int, const float *__restrict, const int, const int, const int, float *__restrict, float *__restrict, scalar_t *__restrict, OUTT *__restrict, int, const float *, const float *) [scalar_t = __hip_bfloat16, cache_t = unsigned char, KV_DTYPE = vllm::Fp8KVCacheDataType::kFp8E4M3, OUTT = unsigned char, BLOCK_SIZE = 16, HEAD_SIZE = 64, NUM_THREADS = 256, ALIBI_ENABLED = true, GQA_RATIO = 2]"
	.size	__PRETTY_FUNCTION__._Z38paged_attention_ll4mi_QKV_mfma4_kernelI14__hip_bfloat16hLN4vllm18Fp8KVCacheDataTypeE1EhLi16ELi64ELi256ELb1ELi2EEvPKT_PKT0_S8_ifPKiSA_SA_iPKfiiiPfSD_PS3_PT2_iSC_SC_, 612

	.type	__PRETTY_FUNCTION__._Z38paged_attention_ll4mi_QKV_mfma4_kernelI14__hip_bfloat16hLN4vllm18Fp8KVCacheDataTypeE1EhLi16ELi64ELi256ELb1ELi3EEvPKT_PKT0_S8_ifPKiSA_SA_iPKfiiiPfSD_PS3_PT2_iSC_SC_,@object ; @__PRETTY_FUNCTION__._Z38paged_attention_ll4mi_QKV_mfma4_kernelI14__hip_bfloat16hLN4vllm18Fp8KVCacheDataTypeE1EhLi16ELi64ELi256ELb1ELi3EEvPKT_PKT0_S8_ifPKiSA_SA_iPKfiiiPfSD_PS3_PT2_iSC_SC_
__PRETTY_FUNCTION__._Z38paged_attention_ll4mi_QKV_mfma4_kernelI14__hip_bfloat16hLN4vllm18Fp8KVCacheDataTypeE1EhLi16ELi64ELi256ELb1ELi3EEvPKT_PKT0_S8_ifPKiSA_SA_iPKfiiiPfSD_PS3_PT2_iSC_SC_:
	.asciz	"void paged_attention_ll4mi_QKV_mfma4_kernel(const scalar_t *__restrict, const cache_t *__restrict, const cache_t *__restrict, const int, const float, const int *__restrict, const int *__restrict, const int *__restrict, const int, const float *__restrict, const int, const int, const int, float *__restrict, float *__restrict, scalar_t *__restrict, OUTT *__restrict, int, const float *, const float *) [scalar_t = __hip_bfloat16, cache_t = unsigned char, KV_DTYPE = vllm::Fp8KVCacheDataType::kFp8E4M3, OUTT = unsigned char, BLOCK_SIZE = 16, HEAD_SIZE = 64, NUM_THREADS = 256, ALIBI_ENABLED = true, GQA_RATIO = 3]"
	.size	__PRETTY_FUNCTION__._Z38paged_attention_ll4mi_QKV_mfma4_kernelI14__hip_bfloat16hLN4vllm18Fp8KVCacheDataTypeE1EhLi16ELi64ELi256ELb1ELi3EEvPKT_PKT0_S8_ifPKiSA_SA_iPKfiiiPfSD_PS3_PT2_iSC_SC_, 612

	.type	__PRETTY_FUNCTION__._Z38paged_attention_ll4mi_QKV_mfma4_kernelI14__hip_bfloat16hLN4vllm18Fp8KVCacheDataTypeE1EhLi16ELi64ELi256ELb1ELi4EEvPKT_PKT0_S8_ifPKiSA_SA_iPKfiiiPfSD_PS3_PT2_iSC_SC_,@object ; @__PRETTY_FUNCTION__._Z38paged_attention_ll4mi_QKV_mfma4_kernelI14__hip_bfloat16hLN4vllm18Fp8KVCacheDataTypeE1EhLi16ELi64ELi256ELb1ELi4EEvPKT_PKT0_S8_ifPKiSA_SA_iPKfiiiPfSD_PS3_PT2_iSC_SC_
__PRETTY_FUNCTION__._Z38paged_attention_ll4mi_QKV_mfma4_kernelI14__hip_bfloat16hLN4vllm18Fp8KVCacheDataTypeE1EhLi16ELi64ELi256ELb1ELi4EEvPKT_PKT0_S8_ifPKiSA_SA_iPKfiiiPfSD_PS3_PT2_iSC_SC_:
	.asciz	"void paged_attention_ll4mi_QKV_mfma4_kernel(const scalar_t *__restrict, const cache_t *__restrict, const cache_t *__restrict, const int, const float, const int *__restrict, const int *__restrict, const int *__restrict, const int, const float *__restrict, const int, const int, const int, float *__restrict, float *__restrict, scalar_t *__restrict, OUTT *__restrict, int, const float *, const float *) [scalar_t = __hip_bfloat16, cache_t = unsigned char, KV_DTYPE = vllm::Fp8KVCacheDataType::kFp8E4M3, OUTT = unsigned char, BLOCK_SIZE = 16, HEAD_SIZE = 64, NUM_THREADS = 256, ALIBI_ENABLED = true, GQA_RATIO = 4]"
	.size	__PRETTY_FUNCTION__._Z38paged_attention_ll4mi_QKV_mfma4_kernelI14__hip_bfloat16hLN4vllm18Fp8KVCacheDataTypeE1EhLi16ELi64ELi256ELb1ELi4EEvPKT_PKT0_S8_ifPKiSA_SA_iPKfiiiPfSD_PS3_PT2_iSC_SC_, 612

	.type	__PRETTY_FUNCTION__._Z38paged_attention_ll4mi_QKV_mfma4_kernelI14__hip_bfloat16hLN4vllm18Fp8KVCacheDataTypeE1EhLi16ELi64ELi256ELb0ELi1EEvPKT_PKT0_S8_ifPKiSA_SA_iPKfiiiPfSD_PS3_PT2_iSC_SC_,@object ; @__PRETTY_FUNCTION__._Z38paged_attention_ll4mi_QKV_mfma4_kernelI14__hip_bfloat16hLN4vllm18Fp8KVCacheDataTypeE1EhLi16ELi64ELi256ELb0ELi1EEvPKT_PKT0_S8_ifPKiSA_SA_iPKfiiiPfSD_PS3_PT2_iSC_SC_
__PRETTY_FUNCTION__._Z38paged_attention_ll4mi_QKV_mfma4_kernelI14__hip_bfloat16hLN4vllm18Fp8KVCacheDataTypeE1EhLi16ELi64ELi256ELb0ELi1EEvPKT_PKT0_S8_ifPKiSA_SA_iPKfiiiPfSD_PS3_PT2_iSC_SC_:
	.asciz	"void paged_attention_ll4mi_QKV_mfma4_kernel(const scalar_t *__restrict, const cache_t *__restrict, const cache_t *__restrict, const int, const float, const int *__restrict, const int *__restrict, const int *__restrict, const int, const float *__restrict, const int, const int, const int, float *__restrict, float *__restrict, scalar_t *__restrict, OUTT *__restrict, int, const float *, const float *) [scalar_t = __hip_bfloat16, cache_t = unsigned char, KV_DTYPE = vllm::Fp8KVCacheDataType::kFp8E4M3, OUTT = unsigned char, BLOCK_SIZE = 16, HEAD_SIZE = 64, NUM_THREADS = 256, ALIBI_ENABLED = false, GQA_RATIO = 1]"
	.size	__PRETTY_FUNCTION__._Z38paged_attention_ll4mi_QKV_mfma4_kernelI14__hip_bfloat16hLN4vllm18Fp8KVCacheDataTypeE1EhLi16ELi64ELi256ELb0ELi1EEvPKT_PKT0_S8_ifPKiSA_SA_iPKfiiiPfSD_PS3_PT2_iSC_SC_, 613

	.type	__PRETTY_FUNCTION__._Z38paged_attention_ll4mi_QKV_mfma4_kernelI14__hip_bfloat16hLN4vllm18Fp8KVCacheDataTypeE1EhLi16ELi64ELi256ELb0ELi2EEvPKT_PKT0_S8_ifPKiSA_SA_iPKfiiiPfSD_PS3_PT2_iSC_SC_,@object ; @__PRETTY_FUNCTION__._Z38paged_attention_ll4mi_QKV_mfma4_kernelI14__hip_bfloat16hLN4vllm18Fp8KVCacheDataTypeE1EhLi16ELi64ELi256ELb0ELi2EEvPKT_PKT0_S8_ifPKiSA_SA_iPKfiiiPfSD_PS3_PT2_iSC_SC_
__PRETTY_FUNCTION__._Z38paged_attention_ll4mi_QKV_mfma4_kernelI14__hip_bfloat16hLN4vllm18Fp8KVCacheDataTypeE1EhLi16ELi64ELi256ELb0ELi2EEvPKT_PKT0_S8_ifPKiSA_SA_iPKfiiiPfSD_PS3_PT2_iSC_SC_:
	.asciz	"void paged_attention_ll4mi_QKV_mfma4_kernel(const scalar_t *__restrict, const cache_t *__restrict, const cache_t *__restrict, const int, const float, const int *__restrict, const int *__restrict, const int *__restrict, const int, const float *__restrict, const int, const int, const int, float *__restrict, float *__restrict, scalar_t *__restrict, OUTT *__restrict, int, const float *, const float *) [scalar_t = __hip_bfloat16, cache_t = unsigned char, KV_DTYPE = vllm::Fp8KVCacheDataType::kFp8E4M3, OUTT = unsigned char, BLOCK_SIZE = 16, HEAD_SIZE = 64, NUM_THREADS = 256, ALIBI_ENABLED = false, GQA_RATIO = 2]"
	.size	__PRETTY_FUNCTION__._Z38paged_attention_ll4mi_QKV_mfma4_kernelI14__hip_bfloat16hLN4vllm18Fp8KVCacheDataTypeE1EhLi16ELi64ELi256ELb0ELi2EEvPKT_PKT0_S8_ifPKiSA_SA_iPKfiiiPfSD_PS3_PT2_iSC_SC_, 613

	.type	__PRETTY_FUNCTION__._Z38paged_attention_ll4mi_QKV_mfma4_kernelI14__hip_bfloat16hLN4vllm18Fp8KVCacheDataTypeE1EhLi16ELi64ELi256ELb0ELi3EEvPKT_PKT0_S8_ifPKiSA_SA_iPKfiiiPfSD_PS3_PT2_iSC_SC_,@object ; @__PRETTY_FUNCTION__._Z38paged_attention_ll4mi_QKV_mfma4_kernelI14__hip_bfloat16hLN4vllm18Fp8KVCacheDataTypeE1EhLi16ELi64ELi256ELb0ELi3EEvPKT_PKT0_S8_ifPKiSA_SA_iPKfiiiPfSD_PS3_PT2_iSC_SC_
__PRETTY_FUNCTION__._Z38paged_attention_ll4mi_QKV_mfma4_kernelI14__hip_bfloat16hLN4vllm18Fp8KVCacheDataTypeE1EhLi16ELi64ELi256ELb0ELi3EEvPKT_PKT0_S8_ifPKiSA_SA_iPKfiiiPfSD_PS3_PT2_iSC_SC_:
	.asciz	"void paged_attention_ll4mi_QKV_mfma4_kernel(const scalar_t *__restrict, const cache_t *__restrict, const cache_t *__restrict, const int, const float, const int *__restrict, const int *__restrict, const int *__restrict, const int, const float *__restrict, const int, const int, const int, float *__restrict, float *__restrict, scalar_t *__restrict, OUTT *__restrict, int, const float *, const float *) [scalar_t = __hip_bfloat16, cache_t = unsigned char, KV_DTYPE = vllm::Fp8KVCacheDataType::kFp8E4M3, OUTT = unsigned char, BLOCK_SIZE = 16, HEAD_SIZE = 64, NUM_THREADS = 256, ALIBI_ENABLED = false, GQA_RATIO = 3]"
	.size	__PRETTY_FUNCTION__._Z38paged_attention_ll4mi_QKV_mfma4_kernelI14__hip_bfloat16hLN4vllm18Fp8KVCacheDataTypeE1EhLi16ELi64ELi256ELb0ELi3EEvPKT_PKT0_S8_ifPKiSA_SA_iPKfiiiPfSD_PS3_PT2_iSC_SC_, 613

	.type	__PRETTY_FUNCTION__._Z38paged_attention_ll4mi_QKV_mfma4_kernelI14__hip_bfloat16hLN4vllm18Fp8KVCacheDataTypeE1EhLi16ELi64ELi256ELb0ELi4EEvPKT_PKT0_S8_ifPKiSA_SA_iPKfiiiPfSD_PS3_PT2_iSC_SC_,@object ; @__PRETTY_FUNCTION__._Z38paged_attention_ll4mi_QKV_mfma4_kernelI14__hip_bfloat16hLN4vllm18Fp8KVCacheDataTypeE1EhLi16ELi64ELi256ELb0ELi4EEvPKT_PKT0_S8_ifPKiSA_SA_iPKfiiiPfSD_PS3_PT2_iSC_SC_
__PRETTY_FUNCTION__._Z38paged_attention_ll4mi_QKV_mfma4_kernelI14__hip_bfloat16hLN4vllm18Fp8KVCacheDataTypeE1EhLi16ELi64ELi256ELb0ELi4EEvPKT_PKT0_S8_ifPKiSA_SA_iPKfiiiPfSD_PS3_PT2_iSC_SC_:
	.asciz	"void paged_attention_ll4mi_QKV_mfma4_kernel(const scalar_t *__restrict, const cache_t *__restrict, const cache_t *__restrict, const int, const float, const int *__restrict, const int *__restrict, const int *__restrict, const int, const float *__restrict, const int, const int, const int, float *__restrict, float *__restrict, scalar_t *__restrict, OUTT *__restrict, int, const float *, const float *) [scalar_t = __hip_bfloat16, cache_t = unsigned char, KV_DTYPE = vllm::Fp8KVCacheDataType::kFp8E4M3, OUTT = unsigned char, BLOCK_SIZE = 16, HEAD_SIZE = 64, NUM_THREADS = 256, ALIBI_ENABLED = false, GQA_RATIO = 4]"
	.size	__PRETTY_FUNCTION__._Z38paged_attention_ll4mi_QKV_mfma4_kernelI14__hip_bfloat16hLN4vllm18Fp8KVCacheDataTypeE1EhLi16ELi64ELi256ELb0ELi4EEvPKT_PKT0_S8_ifPKiSA_SA_iPKfiiiPfSD_PS3_PT2_iSC_SC_, 613

	.type	__PRETTY_FUNCTION__._Z38paged_attention_ll4mi_QKV_mfma4_kernelI14__hip_bfloat16hLN4vllm18Fp8KVCacheDataTypeE1ES0_Li16ELi64ELi256ELb1ELi1EEvPKT_PKT0_S8_ifPKiSA_SA_iPKfiiiPfSD_PS3_PT2_iSC_SC_,@object ; @__PRETTY_FUNCTION__._Z38paged_attention_ll4mi_QKV_mfma4_kernelI14__hip_bfloat16hLN4vllm18Fp8KVCacheDataTypeE1ES0_Li16ELi64ELi256ELb1ELi1EEvPKT_PKT0_S8_ifPKiSA_SA_iPKfiiiPfSD_PS3_PT2_iSC_SC_
__PRETTY_FUNCTION__._Z38paged_attention_ll4mi_QKV_mfma4_kernelI14__hip_bfloat16hLN4vllm18Fp8KVCacheDataTypeE1ES0_Li16ELi64ELi256ELb1ELi1EEvPKT_PKT0_S8_ifPKiSA_SA_iPKfiiiPfSD_PS3_PT2_iSC_SC_:
	.asciz	"void paged_attention_ll4mi_QKV_mfma4_kernel(const scalar_t *__restrict, const cache_t *__restrict, const cache_t *__restrict, const int, const float, const int *__restrict, const int *__restrict, const int *__restrict, const int, const float *__restrict, const int, const int, const int, float *__restrict, float *__restrict, scalar_t *__restrict, OUTT *__restrict, int, const float *, const float *) [scalar_t = __hip_bfloat16, cache_t = unsigned char, KV_DTYPE = vllm::Fp8KVCacheDataType::kFp8E4M3, OUTT = __hip_bfloat16, BLOCK_SIZE = 16, HEAD_SIZE = 64, NUM_THREADS = 256, ALIBI_ENABLED = true, GQA_RATIO = 1]"
	.size	__PRETTY_FUNCTION__._Z38paged_attention_ll4mi_QKV_mfma4_kernelI14__hip_bfloat16hLN4vllm18Fp8KVCacheDataTypeE1ES0_Li16ELi64ELi256ELb1ELi1EEvPKT_PKT0_S8_ifPKiSA_SA_iPKfiiiPfSD_PS3_PT2_iSC_SC_, 613

	.type	__PRETTY_FUNCTION__._Z38paged_attention_ll4mi_QKV_mfma4_kernelI14__hip_bfloat16hLN4vllm18Fp8KVCacheDataTypeE1ES0_Li16ELi64ELi256ELb1ELi2EEvPKT_PKT0_S8_ifPKiSA_SA_iPKfiiiPfSD_PS3_PT2_iSC_SC_,@object ; @__PRETTY_FUNCTION__._Z38paged_attention_ll4mi_QKV_mfma4_kernelI14__hip_bfloat16hLN4vllm18Fp8KVCacheDataTypeE1ES0_Li16ELi64ELi256ELb1ELi2EEvPKT_PKT0_S8_ifPKiSA_SA_iPKfiiiPfSD_PS3_PT2_iSC_SC_
__PRETTY_FUNCTION__._Z38paged_attention_ll4mi_QKV_mfma4_kernelI14__hip_bfloat16hLN4vllm18Fp8KVCacheDataTypeE1ES0_Li16ELi64ELi256ELb1ELi2EEvPKT_PKT0_S8_ifPKiSA_SA_iPKfiiiPfSD_PS3_PT2_iSC_SC_:
	.asciz	"void paged_attention_ll4mi_QKV_mfma4_kernel(const scalar_t *__restrict, const cache_t *__restrict, const cache_t *__restrict, const int, const float, const int *__restrict, const int *__restrict, const int *__restrict, const int, const float *__restrict, const int, const int, const int, float *__restrict, float *__restrict, scalar_t *__restrict, OUTT *__restrict, int, const float *, const float *) [scalar_t = __hip_bfloat16, cache_t = unsigned char, KV_DTYPE = vllm::Fp8KVCacheDataType::kFp8E4M3, OUTT = __hip_bfloat16, BLOCK_SIZE = 16, HEAD_SIZE = 64, NUM_THREADS = 256, ALIBI_ENABLED = true, GQA_RATIO = 2]"
	.size	__PRETTY_FUNCTION__._Z38paged_attention_ll4mi_QKV_mfma4_kernelI14__hip_bfloat16hLN4vllm18Fp8KVCacheDataTypeE1ES0_Li16ELi64ELi256ELb1ELi2EEvPKT_PKT0_S8_ifPKiSA_SA_iPKfiiiPfSD_PS3_PT2_iSC_SC_, 613

	.type	__PRETTY_FUNCTION__._Z38paged_attention_ll4mi_QKV_mfma4_kernelI14__hip_bfloat16hLN4vllm18Fp8KVCacheDataTypeE1ES0_Li16ELi64ELi256ELb1ELi3EEvPKT_PKT0_S8_ifPKiSA_SA_iPKfiiiPfSD_PS3_PT2_iSC_SC_,@object ; @__PRETTY_FUNCTION__._Z38paged_attention_ll4mi_QKV_mfma4_kernelI14__hip_bfloat16hLN4vllm18Fp8KVCacheDataTypeE1ES0_Li16ELi64ELi256ELb1ELi3EEvPKT_PKT0_S8_ifPKiSA_SA_iPKfiiiPfSD_PS3_PT2_iSC_SC_
__PRETTY_FUNCTION__._Z38paged_attention_ll4mi_QKV_mfma4_kernelI14__hip_bfloat16hLN4vllm18Fp8KVCacheDataTypeE1ES0_Li16ELi64ELi256ELb1ELi3EEvPKT_PKT0_S8_ifPKiSA_SA_iPKfiiiPfSD_PS3_PT2_iSC_SC_:
	.asciz	"void paged_attention_ll4mi_QKV_mfma4_kernel(const scalar_t *__restrict, const cache_t *__restrict, const cache_t *__restrict, const int, const float, const int *__restrict, const int *__restrict, const int *__restrict, const int, const float *__restrict, const int, const int, const int, float *__restrict, float *__restrict, scalar_t *__restrict, OUTT *__restrict, int, const float *, const float *) [scalar_t = __hip_bfloat16, cache_t = unsigned char, KV_DTYPE = vllm::Fp8KVCacheDataType::kFp8E4M3, OUTT = __hip_bfloat16, BLOCK_SIZE = 16, HEAD_SIZE = 64, NUM_THREADS = 256, ALIBI_ENABLED = true, GQA_RATIO = 3]"
	.size	__PRETTY_FUNCTION__._Z38paged_attention_ll4mi_QKV_mfma4_kernelI14__hip_bfloat16hLN4vllm18Fp8KVCacheDataTypeE1ES0_Li16ELi64ELi256ELb1ELi3EEvPKT_PKT0_S8_ifPKiSA_SA_iPKfiiiPfSD_PS3_PT2_iSC_SC_, 613

	.type	__PRETTY_FUNCTION__._Z38paged_attention_ll4mi_QKV_mfma4_kernelI14__hip_bfloat16hLN4vllm18Fp8KVCacheDataTypeE1ES0_Li16ELi64ELi256ELb1ELi4EEvPKT_PKT0_S8_ifPKiSA_SA_iPKfiiiPfSD_PS3_PT2_iSC_SC_,@object ; @__PRETTY_FUNCTION__._Z38paged_attention_ll4mi_QKV_mfma4_kernelI14__hip_bfloat16hLN4vllm18Fp8KVCacheDataTypeE1ES0_Li16ELi64ELi256ELb1ELi4EEvPKT_PKT0_S8_ifPKiSA_SA_iPKfiiiPfSD_PS3_PT2_iSC_SC_
__PRETTY_FUNCTION__._Z38paged_attention_ll4mi_QKV_mfma4_kernelI14__hip_bfloat16hLN4vllm18Fp8KVCacheDataTypeE1ES0_Li16ELi64ELi256ELb1ELi4EEvPKT_PKT0_S8_ifPKiSA_SA_iPKfiiiPfSD_PS3_PT2_iSC_SC_:
	.asciz	"void paged_attention_ll4mi_QKV_mfma4_kernel(const scalar_t *__restrict, const cache_t *__restrict, const cache_t *__restrict, const int, const float, const int *__restrict, const int *__restrict, const int *__restrict, const int, const float *__restrict, const int, const int, const int, float *__restrict, float *__restrict, scalar_t *__restrict, OUTT *__restrict, int, const float *, const float *) [scalar_t = __hip_bfloat16, cache_t = unsigned char, KV_DTYPE = vllm::Fp8KVCacheDataType::kFp8E4M3, OUTT = __hip_bfloat16, BLOCK_SIZE = 16, HEAD_SIZE = 64, NUM_THREADS = 256, ALIBI_ENABLED = true, GQA_RATIO = 4]"
	.size	__PRETTY_FUNCTION__._Z38paged_attention_ll4mi_QKV_mfma4_kernelI14__hip_bfloat16hLN4vllm18Fp8KVCacheDataTypeE1ES0_Li16ELi64ELi256ELb1ELi4EEvPKT_PKT0_S8_ifPKiSA_SA_iPKfiiiPfSD_PS3_PT2_iSC_SC_, 613

	.type	__PRETTY_FUNCTION__._Z38paged_attention_ll4mi_QKV_mfma4_kernelI14__hip_bfloat16hLN4vllm18Fp8KVCacheDataTypeE1ES0_Li16ELi64ELi256ELb0ELi1EEvPKT_PKT0_S8_ifPKiSA_SA_iPKfiiiPfSD_PS3_PT2_iSC_SC_,@object ; @__PRETTY_FUNCTION__._Z38paged_attention_ll4mi_QKV_mfma4_kernelI14__hip_bfloat16hLN4vllm18Fp8KVCacheDataTypeE1ES0_Li16ELi64ELi256ELb0ELi1EEvPKT_PKT0_S8_ifPKiSA_SA_iPKfiiiPfSD_PS3_PT2_iSC_SC_
__PRETTY_FUNCTION__._Z38paged_attention_ll4mi_QKV_mfma4_kernelI14__hip_bfloat16hLN4vllm18Fp8KVCacheDataTypeE1ES0_Li16ELi64ELi256ELb0ELi1EEvPKT_PKT0_S8_ifPKiSA_SA_iPKfiiiPfSD_PS3_PT2_iSC_SC_:
	.asciz	"void paged_attention_ll4mi_QKV_mfma4_kernel(const scalar_t *__restrict, const cache_t *__restrict, const cache_t *__restrict, const int, const float, const int *__restrict, const int *__restrict, const int *__restrict, const int, const float *__restrict, const int, const int, const int, float *__restrict, float *__restrict, scalar_t *__restrict, OUTT *__restrict, int, const float *, const float *) [scalar_t = __hip_bfloat16, cache_t = unsigned char, KV_DTYPE = vllm::Fp8KVCacheDataType::kFp8E4M3, OUTT = __hip_bfloat16, BLOCK_SIZE = 16, HEAD_SIZE = 64, NUM_THREADS = 256, ALIBI_ENABLED = false, GQA_RATIO = 1]"
	.size	__PRETTY_FUNCTION__._Z38paged_attention_ll4mi_QKV_mfma4_kernelI14__hip_bfloat16hLN4vllm18Fp8KVCacheDataTypeE1ES0_Li16ELi64ELi256ELb0ELi1EEvPKT_PKT0_S8_ifPKiSA_SA_iPKfiiiPfSD_PS3_PT2_iSC_SC_, 614

	.type	__PRETTY_FUNCTION__._Z38paged_attention_ll4mi_QKV_mfma4_kernelI14__hip_bfloat16hLN4vllm18Fp8KVCacheDataTypeE1ES0_Li16ELi64ELi256ELb0ELi2EEvPKT_PKT0_S8_ifPKiSA_SA_iPKfiiiPfSD_PS3_PT2_iSC_SC_,@object ; @__PRETTY_FUNCTION__._Z38paged_attention_ll4mi_QKV_mfma4_kernelI14__hip_bfloat16hLN4vllm18Fp8KVCacheDataTypeE1ES0_Li16ELi64ELi256ELb0ELi2EEvPKT_PKT0_S8_ifPKiSA_SA_iPKfiiiPfSD_PS3_PT2_iSC_SC_
__PRETTY_FUNCTION__._Z38paged_attention_ll4mi_QKV_mfma4_kernelI14__hip_bfloat16hLN4vllm18Fp8KVCacheDataTypeE1ES0_Li16ELi64ELi256ELb0ELi2EEvPKT_PKT0_S8_ifPKiSA_SA_iPKfiiiPfSD_PS3_PT2_iSC_SC_:
	.asciz	"void paged_attention_ll4mi_QKV_mfma4_kernel(const scalar_t *__restrict, const cache_t *__restrict, const cache_t *__restrict, const int, const float, const int *__restrict, const int *__restrict, const int *__restrict, const int, const float *__restrict, const int, const int, const int, float *__restrict, float *__restrict, scalar_t *__restrict, OUTT *__restrict, int, const float *, const float *) [scalar_t = __hip_bfloat16, cache_t = unsigned char, KV_DTYPE = vllm::Fp8KVCacheDataType::kFp8E4M3, OUTT = __hip_bfloat16, BLOCK_SIZE = 16, HEAD_SIZE = 64, NUM_THREADS = 256, ALIBI_ENABLED = false, GQA_RATIO = 2]"
	.size	__PRETTY_FUNCTION__._Z38paged_attention_ll4mi_QKV_mfma4_kernelI14__hip_bfloat16hLN4vllm18Fp8KVCacheDataTypeE1ES0_Li16ELi64ELi256ELb0ELi2EEvPKT_PKT0_S8_ifPKiSA_SA_iPKfiiiPfSD_PS3_PT2_iSC_SC_, 614

	.type	__PRETTY_FUNCTION__._Z38paged_attention_ll4mi_QKV_mfma4_kernelI14__hip_bfloat16hLN4vllm18Fp8KVCacheDataTypeE1ES0_Li16ELi64ELi256ELb0ELi3EEvPKT_PKT0_S8_ifPKiSA_SA_iPKfiiiPfSD_PS3_PT2_iSC_SC_,@object ; @__PRETTY_FUNCTION__._Z38paged_attention_ll4mi_QKV_mfma4_kernelI14__hip_bfloat16hLN4vllm18Fp8KVCacheDataTypeE1ES0_Li16ELi64ELi256ELb0ELi3EEvPKT_PKT0_S8_ifPKiSA_SA_iPKfiiiPfSD_PS3_PT2_iSC_SC_
__PRETTY_FUNCTION__._Z38paged_attention_ll4mi_QKV_mfma4_kernelI14__hip_bfloat16hLN4vllm18Fp8KVCacheDataTypeE1ES0_Li16ELi64ELi256ELb0ELi3EEvPKT_PKT0_S8_ifPKiSA_SA_iPKfiiiPfSD_PS3_PT2_iSC_SC_:
	.asciz	"void paged_attention_ll4mi_QKV_mfma4_kernel(const scalar_t *__restrict, const cache_t *__restrict, const cache_t *__restrict, const int, const float, const int *__restrict, const int *__restrict, const int *__restrict, const int, const float *__restrict, const int, const int, const int, float *__restrict, float *__restrict, scalar_t *__restrict, OUTT *__restrict, int, const float *, const float *) [scalar_t = __hip_bfloat16, cache_t = unsigned char, KV_DTYPE = vllm::Fp8KVCacheDataType::kFp8E4M3, OUTT = __hip_bfloat16, BLOCK_SIZE = 16, HEAD_SIZE = 64, NUM_THREADS = 256, ALIBI_ENABLED = false, GQA_RATIO = 3]"
	.size	__PRETTY_FUNCTION__._Z38paged_attention_ll4mi_QKV_mfma4_kernelI14__hip_bfloat16hLN4vllm18Fp8KVCacheDataTypeE1ES0_Li16ELi64ELi256ELb0ELi3EEvPKT_PKT0_S8_ifPKiSA_SA_iPKfiiiPfSD_PS3_PT2_iSC_SC_, 614

	.type	__PRETTY_FUNCTION__._Z38paged_attention_ll4mi_QKV_mfma4_kernelI14__hip_bfloat16hLN4vllm18Fp8KVCacheDataTypeE1ES0_Li16ELi64ELi256ELb0ELi4EEvPKT_PKT0_S8_ifPKiSA_SA_iPKfiiiPfSD_PS3_PT2_iSC_SC_,@object ; @__PRETTY_FUNCTION__._Z38paged_attention_ll4mi_QKV_mfma4_kernelI14__hip_bfloat16hLN4vllm18Fp8KVCacheDataTypeE1ES0_Li16ELi64ELi256ELb0ELi4EEvPKT_PKT0_S8_ifPKiSA_SA_iPKfiiiPfSD_PS3_PT2_iSC_SC_
__PRETTY_FUNCTION__._Z38paged_attention_ll4mi_QKV_mfma4_kernelI14__hip_bfloat16hLN4vllm18Fp8KVCacheDataTypeE1ES0_Li16ELi64ELi256ELb0ELi4EEvPKT_PKT0_S8_ifPKiSA_SA_iPKfiiiPfSD_PS3_PT2_iSC_SC_:
	.asciz	"void paged_attention_ll4mi_QKV_mfma4_kernel(const scalar_t *__restrict, const cache_t *__restrict, const cache_t *__restrict, const int, const float, const int *__restrict, const int *__restrict, const int *__restrict, const int, const float *__restrict, const int, const int, const int, float *__restrict, float *__restrict, scalar_t *__restrict, OUTT *__restrict, int, const float *, const float *) [scalar_t = __hip_bfloat16, cache_t = unsigned char, KV_DTYPE = vllm::Fp8KVCacheDataType::kFp8E4M3, OUTT = __hip_bfloat16, BLOCK_SIZE = 16, HEAD_SIZE = 64, NUM_THREADS = 256, ALIBI_ENABLED = false, GQA_RATIO = 4]"
	.size	__PRETTY_FUNCTION__._Z38paged_attention_ll4mi_QKV_mfma4_kernelI14__hip_bfloat16hLN4vllm18Fp8KVCacheDataTypeE1ES0_Li16ELi64ELi256ELb0ELi4EEvPKT_PKT0_S8_ifPKiSA_SA_iPKfiiiPfSD_PS3_PT2_iSC_SC_, 614

	.type	__PRETTY_FUNCTION__._Z38paged_attention_ll4mi_QKV_mfma4_kernelI14__hip_bfloat16hLN4vllm18Fp8KVCacheDataTypeE1EhLi32ELi64ELi256ELb1ELi1EEvPKT_PKT0_S8_ifPKiSA_SA_iPKfiiiPfSD_PS3_PT2_iSC_SC_,@object ; @__PRETTY_FUNCTION__._Z38paged_attention_ll4mi_QKV_mfma4_kernelI14__hip_bfloat16hLN4vllm18Fp8KVCacheDataTypeE1EhLi32ELi64ELi256ELb1ELi1EEvPKT_PKT0_S8_ifPKiSA_SA_iPKfiiiPfSD_PS3_PT2_iSC_SC_
__PRETTY_FUNCTION__._Z38paged_attention_ll4mi_QKV_mfma4_kernelI14__hip_bfloat16hLN4vllm18Fp8KVCacheDataTypeE1EhLi32ELi64ELi256ELb1ELi1EEvPKT_PKT0_S8_ifPKiSA_SA_iPKfiiiPfSD_PS3_PT2_iSC_SC_:
	.asciz	"void paged_attention_ll4mi_QKV_mfma4_kernel(const scalar_t *__restrict, const cache_t *__restrict, const cache_t *__restrict, const int, const float, const int *__restrict, const int *__restrict, const int *__restrict, const int, const float *__restrict, const int, const int, const int, float *__restrict, float *__restrict, scalar_t *__restrict, OUTT *__restrict, int, const float *, const float *) [scalar_t = __hip_bfloat16, cache_t = unsigned char, KV_DTYPE = vllm::Fp8KVCacheDataType::kFp8E4M3, OUTT = unsigned char, BLOCK_SIZE = 32, HEAD_SIZE = 64, NUM_THREADS = 256, ALIBI_ENABLED = true, GQA_RATIO = 1]"
	.size	__PRETTY_FUNCTION__._Z38paged_attention_ll4mi_QKV_mfma4_kernelI14__hip_bfloat16hLN4vllm18Fp8KVCacheDataTypeE1EhLi32ELi64ELi256ELb1ELi1EEvPKT_PKT0_S8_ifPKiSA_SA_iPKfiiiPfSD_PS3_PT2_iSC_SC_, 612

	.type	__PRETTY_FUNCTION__._Z38paged_attention_ll4mi_QKV_mfma4_kernelI14__hip_bfloat16hLN4vllm18Fp8KVCacheDataTypeE1EhLi32ELi64ELi256ELb1ELi2EEvPKT_PKT0_S8_ifPKiSA_SA_iPKfiiiPfSD_PS3_PT2_iSC_SC_,@object ; @__PRETTY_FUNCTION__._Z38paged_attention_ll4mi_QKV_mfma4_kernelI14__hip_bfloat16hLN4vllm18Fp8KVCacheDataTypeE1EhLi32ELi64ELi256ELb1ELi2EEvPKT_PKT0_S8_ifPKiSA_SA_iPKfiiiPfSD_PS3_PT2_iSC_SC_
__PRETTY_FUNCTION__._Z38paged_attention_ll4mi_QKV_mfma4_kernelI14__hip_bfloat16hLN4vllm18Fp8KVCacheDataTypeE1EhLi32ELi64ELi256ELb1ELi2EEvPKT_PKT0_S8_ifPKiSA_SA_iPKfiiiPfSD_PS3_PT2_iSC_SC_:
	.asciz	"void paged_attention_ll4mi_QKV_mfma4_kernel(const scalar_t *__restrict, const cache_t *__restrict, const cache_t *__restrict, const int, const float, const int *__restrict, const int *__restrict, const int *__restrict, const int, const float *__restrict, const int, const int, const int, float *__restrict, float *__restrict, scalar_t *__restrict, OUTT *__restrict, int, const float *, const float *) [scalar_t = __hip_bfloat16, cache_t = unsigned char, KV_DTYPE = vllm::Fp8KVCacheDataType::kFp8E4M3, OUTT = unsigned char, BLOCK_SIZE = 32, HEAD_SIZE = 64, NUM_THREADS = 256, ALIBI_ENABLED = true, GQA_RATIO = 2]"
	.size	__PRETTY_FUNCTION__._Z38paged_attention_ll4mi_QKV_mfma4_kernelI14__hip_bfloat16hLN4vllm18Fp8KVCacheDataTypeE1EhLi32ELi64ELi256ELb1ELi2EEvPKT_PKT0_S8_ifPKiSA_SA_iPKfiiiPfSD_PS3_PT2_iSC_SC_, 612

	.type	__PRETTY_FUNCTION__._Z38paged_attention_ll4mi_QKV_mfma4_kernelI14__hip_bfloat16hLN4vllm18Fp8KVCacheDataTypeE1EhLi32ELi64ELi256ELb1ELi3EEvPKT_PKT0_S8_ifPKiSA_SA_iPKfiiiPfSD_PS3_PT2_iSC_SC_,@object ; @__PRETTY_FUNCTION__._Z38paged_attention_ll4mi_QKV_mfma4_kernelI14__hip_bfloat16hLN4vllm18Fp8KVCacheDataTypeE1EhLi32ELi64ELi256ELb1ELi3EEvPKT_PKT0_S8_ifPKiSA_SA_iPKfiiiPfSD_PS3_PT2_iSC_SC_
__PRETTY_FUNCTION__._Z38paged_attention_ll4mi_QKV_mfma4_kernelI14__hip_bfloat16hLN4vllm18Fp8KVCacheDataTypeE1EhLi32ELi64ELi256ELb1ELi3EEvPKT_PKT0_S8_ifPKiSA_SA_iPKfiiiPfSD_PS3_PT2_iSC_SC_:
	.asciz	"void paged_attention_ll4mi_QKV_mfma4_kernel(const scalar_t *__restrict, const cache_t *__restrict, const cache_t *__restrict, const int, const float, const int *__restrict, const int *__restrict, const int *__restrict, const int, const float *__restrict, const int, const int, const int, float *__restrict, float *__restrict, scalar_t *__restrict, OUTT *__restrict, int, const float *, const float *) [scalar_t = __hip_bfloat16, cache_t = unsigned char, KV_DTYPE = vllm::Fp8KVCacheDataType::kFp8E4M3, OUTT = unsigned char, BLOCK_SIZE = 32, HEAD_SIZE = 64, NUM_THREADS = 256, ALIBI_ENABLED = true, GQA_RATIO = 3]"
	.size	__PRETTY_FUNCTION__._Z38paged_attention_ll4mi_QKV_mfma4_kernelI14__hip_bfloat16hLN4vllm18Fp8KVCacheDataTypeE1EhLi32ELi64ELi256ELb1ELi3EEvPKT_PKT0_S8_ifPKiSA_SA_iPKfiiiPfSD_PS3_PT2_iSC_SC_, 612

	.type	__PRETTY_FUNCTION__._Z38paged_attention_ll4mi_QKV_mfma4_kernelI14__hip_bfloat16hLN4vllm18Fp8KVCacheDataTypeE1EhLi32ELi64ELi256ELb1ELi4EEvPKT_PKT0_S8_ifPKiSA_SA_iPKfiiiPfSD_PS3_PT2_iSC_SC_,@object ; @__PRETTY_FUNCTION__._Z38paged_attention_ll4mi_QKV_mfma4_kernelI14__hip_bfloat16hLN4vllm18Fp8KVCacheDataTypeE1EhLi32ELi64ELi256ELb1ELi4EEvPKT_PKT0_S8_ifPKiSA_SA_iPKfiiiPfSD_PS3_PT2_iSC_SC_
__PRETTY_FUNCTION__._Z38paged_attention_ll4mi_QKV_mfma4_kernelI14__hip_bfloat16hLN4vllm18Fp8KVCacheDataTypeE1EhLi32ELi64ELi256ELb1ELi4EEvPKT_PKT0_S8_ifPKiSA_SA_iPKfiiiPfSD_PS3_PT2_iSC_SC_:
	.asciz	"void paged_attention_ll4mi_QKV_mfma4_kernel(const scalar_t *__restrict, const cache_t *__restrict, const cache_t *__restrict, const int, const float, const int *__restrict, const int *__restrict, const int *__restrict, const int, const float *__restrict, const int, const int, const int, float *__restrict, float *__restrict, scalar_t *__restrict, OUTT *__restrict, int, const float *, const float *) [scalar_t = __hip_bfloat16, cache_t = unsigned char, KV_DTYPE = vllm::Fp8KVCacheDataType::kFp8E4M3, OUTT = unsigned char, BLOCK_SIZE = 32, HEAD_SIZE = 64, NUM_THREADS = 256, ALIBI_ENABLED = true, GQA_RATIO = 4]"
	.size	__PRETTY_FUNCTION__._Z38paged_attention_ll4mi_QKV_mfma4_kernelI14__hip_bfloat16hLN4vllm18Fp8KVCacheDataTypeE1EhLi32ELi64ELi256ELb1ELi4EEvPKT_PKT0_S8_ifPKiSA_SA_iPKfiiiPfSD_PS3_PT2_iSC_SC_, 612

	.type	__PRETTY_FUNCTION__._Z38paged_attention_ll4mi_QKV_mfma4_kernelI14__hip_bfloat16hLN4vllm18Fp8KVCacheDataTypeE1EhLi32ELi64ELi256ELb0ELi1EEvPKT_PKT0_S8_ifPKiSA_SA_iPKfiiiPfSD_PS3_PT2_iSC_SC_,@object ; @__PRETTY_FUNCTION__._Z38paged_attention_ll4mi_QKV_mfma4_kernelI14__hip_bfloat16hLN4vllm18Fp8KVCacheDataTypeE1EhLi32ELi64ELi256ELb0ELi1EEvPKT_PKT0_S8_ifPKiSA_SA_iPKfiiiPfSD_PS3_PT2_iSC_SC_
__PRETTY_FUNCTION__._Z38paged_attention_ll4mi_QKV_mfma4_kernelI14__hip_bfloat16hLN4vllm18Fp8KVCacheDataTypeE1EhLi32ELi64ELi256ELb0ELi1EEvPKT_PKT0_S8_ifPKiSA_SA_iPKfiiiPfSD_PS3_PT2_iSC_SC_:
	.asciz	"void paged_attention_ll4mi_QKV_mfma4_kernel(const scalar_t *__restrict, const cache_t *__restrict, const cache_t *__restrict, const int, const float, const int *__restrict, const int *__restrict, const int *__restrict, const int, const float *__restrict, const int, const int, const int, float *__restrict, float *__restrict, scalar_t *__restrict, OUTT *__restrict, int, const float *, const float *) [scalar_t = __hip_bfloat16, cache_t = unsigned char, KV_DTYPE = vllm::Fp8KVCacheDataType::kFp8E4M3, OUTT = unsigned char, BLOCK_SIZE = 32, HEAD_SIZE = 64, NUM_THREADS = 256, ALIBI_ENABLED = false, GQA_RATIO = 1]"
	.size	__PRETTY_FUNCTION__._Z38paged_attention_ll4mi_QKV_mfma4_kernelI14__hip_bfloat16hLN4vllm18Fp8KVCacheDataTypeE1EhLi32ELi64ELi256ELb0ELi1EEvPKT_PKT0_S8_ifPKiSA_SA_iPKfiiiPfSD_PS3_PT2_iSC_SC_, 613

	.type	__PRETTY_FUNCTION__._Z38paged_attention_ll4mi_QKV_mfma4_kernelI14__hip_bfloat16hLN4vllm18Fp8KVCacheDataTypeE1EhLi32ELi64ELi256ELb0ELi2EEvPKT_PKT0_S8_ifPKiSA_SA_iPKfiiiPfSD_PS3_PT2_iSC_SC_,@object ; @__PRETTY_FUNCTION__._Z38paged_attention_ll4mi_QKV_mfma4_kernelI14__hip_bfloat16hLN4vllm18Fp8KVCacheDataTypeE1EhLi32ELi64ELi256ELb0ELi2EEvPKT_PKT0_S8_ifPKiSA_SA_iPKfiiiPfSD_PS3_PT2_iSC_SC_
__PRETTY_FUNCTION__._Z38paged_attention_ll4mi_QKV_mfma4_kernelI14__hip_bfloat16hLN4vllm18Fp8KVCacheDataTypeE1EhLi32ELi64ELi256ELb0ELi2EEvPKT_PKT0_S8_ifPKiSA_SA_iPKfiiiPfSD_PS3_PT2_iSC_SC_:
	.asciz	"void paged_attention_ll4mi_QKV_mfma4_kernel(const scalar_t *__restrict, const cache_t *__restrict, const cache_t *__restrict, const int, const float, const int *__restrict, const int *__restrict, const int *__restrict, const int, const float *__restrict, const int, const int, const int, float *__restrict, float *__restrict, scalar_t *__restrict, OUTT *__restrict, int, const float *, const float *) [scalar_t = __hip_bfloat16, cache_t = unsigned char, KV_DTYPE = vllm::Fp8KVCacheDataType::kFp8E4M3, OUTT = unsigned char, BLOCK_SIZE = 32, HEAD_SIZE = 64, NUM_THREADS = 256, ALIBI_ENABLED = false, GQA_RATIO = 2]"
	.size	__PRETTY_FUNCTION__._Z38paged_attention_ll4mi_QKV_mfma4_kernelI14__hip_bfloat16hLN4vllm18Fp8KVCacheDataTypeE1EhLi32ELi64ELi256ELb0ELi2EEvPKT_PKT0_S8_ifPKiSA_SA_iPKfiiiPfSD_PS3_PT2_iSC_SC_, 613

	.type	__PRETTY_FUNCTION__._Z38paged_attention_ll4mi_QKV_mfma4_kernelI14__hip_bfloat16hLN4vllm18Fp8KVCacheDataTypeE1EhLi32ELi64ELi256ELb0ELi3EEvPKT_PKT0_S8_ifPKiSA_SA_iPKfiiiPfSD_PS3_PT2_iSC_SC_,@object ; @__PRETTY_FUNCTION__._Z38paged_attention_ll4mi_QKV_mfma4_kernelI14__hip_bfloat16hLN4vllm18Fp8KVCacheDataTypeE1EhLi32ELi64ELi256ELb0ELi3EEvPKT_PKT0_S8_ifPKiSA_SA_iPKfiiiPfSD_PS3_PT2_iSC_SC_
__PRETTY_FUNCTION__._Z38paged_attention_ll4mi_QKV_mfma4_kernelI14__hip_bfloat16hLN4vllm18Fp8KVCacheDataTypeE1EhLi32ELi64ELi256ELb0ELi3EEvPKT_PKT0_S8_ifPKiSA_SA_iPKfiiiPfSD_PS3_PT2_iSC_SC_:
	.asciz	"void paged_attention_ll4mi_QKV_mfma4_kernel(const scalar_t *__restrict, const cache_t *__restrict, const cache_t *__restrict, const int, const float, const int *__restrict, const int *__restrict, const int *__restrict, const int, const float *__restrict, const int, const int, const int, float *__restrict, float *__restrict, scalar_t *__restrict, OUTT *__restrict, int, const float *, const float *) [scalar_t = __hip_bfloat16, cache_t = unsigned char, KV_DTYPE = vllm::Fp8KVCacheDataType::kFp8E4M3, OUTT = unsigned char, BLOCK_SIZE = 32, HEAD_SIZE = 64, NUM_THREADS = 256, ALIBI_ENABLED = false, GQA_RATIO = 3]"
	.size	__PRETTY_FUNCTION__._Z38paged_attention_ll4mi_QKV_mfma4_kernelI14__hip_bfloat16hLN4vllm18Fp8KVCacheDataTypeE1EhLi32ELi64ELi256ELb0ELi3EEvPKT_PKT0_S8_ifPKiSA_SA_iPKfiiiPfSD_PS3_PT2_iSC_SC_, 613

	.type	__PRETTY_FUNCTION__._Z38paged_attention_ll4mi_QKV_mfma4_kernelI14__hip_bfloat16hLN4vllm18Fp8KVCacheDataTypeE1EhLi32ELi64ELi256ELb0ELi4EEvPKT_PKT0_S8_ifPKiSA_SA_iPKfiiiPfSD_PS3_PT2_iSC_SC_,@object ; @__PRETTY_FUNCTION__._Z38paged_attention_ll4mi_QKV_mfma4_kernelI14__hip_bfloat16hLN4vllm18Fp8KVCacheDataTypeE1EhLi32ELi64ELi256ELb0ELi4EEvPKT_PKT0_S8_ifPKiSA_SA_iPKfiiiPfSD_PS3_PT2_iSC_SC_
__PRETTY_FUNCTION__._Z38paged_attention_ll4mi_QKV_mfma4_kernelI14__hip_bfloat16hLN4vllm18Fp8KVCacheDataTypeE1EhLi32ELi64ELi256ELb0ELi4EEvPKT_PKT0_S8_ifPKiSA_SA_iPKfiiiPfSD_PS3_PT2_iSC_SC_:
	.asciz	"void paged_attention_ll4mi_QKV_mfma4_kernel(const scalar_t *__restrict, const cache_t *__restrict, const cache_t *__restrict, const int, const float, const int *__restrict, const int *__restrict, const int *__restrict, const int, const float *__restrict, const int, const int, const int, float *__restrict, float *__restrict, scalar_t *__restrict, OUTT *__restrict, int, const float *, const float *) [scalar_t = __hip_bfloat16, cache_t = unsigned char, KV_DTYPE = vllm::Fp8KVCacheDataType::kFp8E4M3, OUTT = unsigned char, BLOCK_SIZE = 32, HEAD_SIZE = 64, NUM_THREADS = 256, ALIBI_ENABLED = false, GQA_RATIO = 4]"
	.size	__PRETTY_FUNCTION__._Z38paged_attention_ll4mi_QKV_mfma4_kernelI14__hip_bfloat16hLN4vllm18Fp8KVCacheDataTypeE1EhLi32ELi64ELi256ELb0ELi4EEvPKT_PKT0_S8_ifPKiSA_SA_iPKfiiiPfSD_PS3_PT2_iSC_SC_, 613

	.type	__PRETTY_FUNCTION__._Z38paged_attention_ll4mi_QKV_mfma4_kernelI14__hip_bfloat16hLN4vllm18Fp8KVCacheDataTypeE1ES0_Li32ELi64ELi256ELb1ELi1EEvPKT_PKT0_S8_ifPKiSA_SA_iPKfiiiPfSD_PS3_PT2_iSC_SC_,@object ; @__PRETTY_FUNCTION__._Z38paged_attention_ll4mi_QKV_mfma4_kernelI14__hip_bfloat16hLN4vllm18Fp8KVCacheDataTypeE1ES0_Li32ELi64ELi256ELb1ELi1EEvPKT_PKT0_S8_ifPKiSA_SA_iPKfiiiPfSD_PS3_PT2_iSC_SC_
__PRETTY_FUNCTION__._Z38paged_attention_ll4mi_QKV_mfma4_kernelI14__hip_bfloat16hLN4vllm18Fp8KVCacheDataTypeE1ES0_Li32ELi64ELi256ELb1ELi1EEvPKT_PKT0_S8_ifPKiSA_SA_iPKfiiiPfSD_PS3_PT2_iSC_SC_:
	.asciz	"void paged_attention_ll4mi_QKV_mfma4_kernel(const scalar_t *__restrict, const cache_t *__restrict, const cache_t *__restrict, const int, const float, const int *__restrict, const int *__restrict, const int *__restrict, const int, const float *__restrict, const int, const int, const int, float *__restrict, float *__restrict, scalar_t *__restrict, OUTT *__restrict, int, const float *, const float *) [scalar_t = __hip_bfloat16, cache_t = unsigned char, KV_DTYPE = vllm::Fp8KVCacheDataType::kFp8E4M3, OUTT = __hip_bfloat16, BLOCK_SIZE = 32, HEAD_SIZE = 64, NUM_THREADS = 256, ALIBI_ENABLED = true, GQA_RATIO = 1]"
	.size	__PRETTY_FUNCTION__._Z38paged_attention_ll4mi_QKV_mfma4_kernelI14__hip_bfloat16hLN4vllm18Fp8KVCacheDataTypeE1ES0_Li32ELi64ELi256ELb1ELi1EEvPKT_PKT0_S8_ifPKiSA_SA_iPKfiiiPfSD_PS3_PT2_iSC_SC_, 613

	.type	__PRETTY_FUNCTION__._Z38paged_attention_ll4mi_QKV_mfma4_kernelI14__hip_bfloat16hLN4vllm18Fp8KVCacheDataTypeE1ES0_Li32ELi64ELi256ELb1ELi2EEvPKT_PKT0_S8_ifPKiSA_SA_iPKfiiiPfSD_PS3_PT2_iSC_SC_,@object ; @__PRETTY_FUNCTION__._Z38paged_attention_ll4mi_QKV_mfma4_kernelI14__hip_bfloat16hLN4vllm18Fp8KVCacheDataTypeE1ES0_Li32ELi64ELi256ELb1ELi2EEvPKT_PKT0_S8_ifPKiSA_SA_iPKfiiiPfSD_PS3_PT2_iSC_SC_
__PRETTY_FUNCTION__._Z38paged_attention_ll4mi_QKV_mfma4_kernelI14__hip_bfloat16hLN4vllm18Fp8KVCacheDataTypeE1ES0_Li32ELi64ELi256ELb1ELi2EEvPKT_PKT0_S8_ifPKiSA_SA_iPKfiiiPfSD_PS3_PT2_iSC_SC_:
	.asciz	"void paged_attention_ll4mi_QKV_mfma4_kernel(const scalar_t *__restrict, const cache_t *__restrict, const cache_t *__restrict, const int, const float, const int *__restrict, const int *__restrict, const int *__restrict, const int, const float *__restrict, const int, const int, const int, float *__restrict, float *__restrict, scalar_t *__restrict, OUTT *__restrict, int, const float *, const float *) [scalar_t = __hip_bfloat16, cache_t = unsigned char, KV_DTYPE = vllm::Fp8KVCacheDataType::kFp8E4M3, OUTT = __hip_bfloat16, BLOCK_SIZE = 32, HEAD_SIZE = 64, NUM_THREADS = 256, ALIBI_ENABLED = true, GQA_RATIO = 2]"
	.size	__PRETTY_FUNCTION__._Z38paged_attention_ll4mi_QKV_mfma4_kernelI14__hip_bfloat16hLN4vllm18Fp8KVCacheDataTypeE1ES0_Li32ELi64ELi256ELb1ELi2EEvPKT_PKT0_S8_ifPKiSA_SA_iPKfiiiPfSD_PS3_PT2_iSC_SC_, 613

	.type	__PRETTY_FUNCTION__._Z38paged_attention_ll4mi_QKV_mfma4_kernelI14__hip_bfloat16hLN4vllm18Fp8KVCacheDataTypeE1ES0_Li32ELi64ELi256ELb1ELi3EEvPKT_PKT0_S8_ifPKiSA_SA_iPKfiiiPfSD_PS3_PT2_iSC_SC_,@object ; @__PRETTY_FUNCTION__._Z38paged_attention_ll4mi_QKV_mfma4_kernelI14__hip_bfloat16hLN4vllm18Fp8KVCacheDataTypeE1ES0_Li32ELi64ELi256ELb1ELi3EEvPKT_PKT0_S8_ifPKiSA_SA_iPKfiiiPfSD_PS3_PT2_iSC_SC_
__PRETTY_FUNCTION__._Z38paged_attention_ll4mi_QKV_mfma4_kernelI14__hip_bfloat16hLN4vllm18Fp8KVCacheDataTypeE1ES0_Li32ELi64ELi256ELb1ELi3EEvPKT_PKT0_S8_ifPKiSA_SA_iPKfiiiPfSD_PS3_PT2_iSC_SC_:
	.asciz	"void paged_attention_ll4mi_QKV_mfma4_kernel(const scalar_t *__restrict, const cache_t *__restrict, const cache_t *__restrict, const int, const float, const int *__restrict, const int *__restrict, const int *__restrict, const int, const float *__restrict, const int, const int, const int, float *__restrict, float *__restrict, scalar_t *__restrict, OUTT *__restrict, int, const float *, const float *) [scalar_t = __hip_bfloat16, cache_t = unsigned char, KV_DTYPE = vllm::Fp8KVCacheDataType::kFp8E4M3, OUTT = __hip_bfloat16, BLOCK_SIZE = 32, HEAD_SIZE = 64, NUM_THREADS = 256, ALIBI_ENABLED = true, GQA_RATIO = 3]"
	.size	__PRETTY_FUNCTION__._Z38paged_attention_ll4mi_QKV_mfma4_kernelI14__hip_bfloat16hLN4vllm18Fp8KVCacheDataTypeE1ES0_Li32ELi64ELi256ELb1ELi3EEvPKT_PKT0_S8_ifPKiSA_SA_iPKfiiiPfSD_PS3_PT2_iSC_SC_, 613

	.type	__PRETTY_FUNCTION__._Z38paged_attention_ll4mi_QKV_mfma4_kernelI14__hip_bfloat16hLN4vllm18Fp8KVCacheDataTypeE1ES0_Li32ELi64ELi256ELb1ELi4EEvPKT_PKT0_S8_ifPKiSA_SA_iPKfiiiPfSD_PS3_PT2_iSC_SC_,@object ; @__PRETTY_FUNCTION__._Z38paged_attention_ll4mi_QKV_mfma4_kernelI14__hip_bfloat16hLN4vllm18Fp8KVCacheDataTypeE1ES0_Li32ELi64ELi256ELb1ELi4EEvPKT_PKT0_S8_ifPKiSA_SA_iPKfiiiPfSD_PS3_PT2_iSC_SC_
__PRETTY_FUNCTION__._Z38paged_attention_ll4mi_QKV_mfma4_kernelI14__hip_bfloat16hLN4vllm18Fp8KVCacheDataTypeE1ES0_Li32ELi64ELi256ELb1ELi4EEvPKT_PKT0_S8_ifPKiSA_SA_iPKfiiiPfSD_PS3_PT2_iSC_SC_:
	.asciz	"void paged_attention_ll4mi_QKV_mfma4_kernel(const scalar_t *__restrict, const cache_t *__restrict, const cache_t *__restrict, const int, const float, const int *__restrict, const int *__restrict, const int *__restrict, const int, const float *__restrict, const int, const int, const int, float *__restrict, float *__restrict, scalar_t *__restrict, OUTT *__restrict, int, const float *, const float *) [scalar_t = __hip_bfloat16, cache_t = unsigned char, KV_DTYPE = vllm::Fp8KVCacheDataType::kFp8E4M3, OUTT = __hip_bfloat16, BLOCK_SIZE = 32, HEAD_SIZE = 64, NUM_THREADS = 256, ALIBI_ENABLED = true, GQA_RATIO = 4]"
	.size	__PRETTY_FUNCTION__._Z38paged_attention_ll4mi_QKV_mfma4_kernelI14__hip_bfloat16hLN4vllm18Fp8KVCacheDataTypeE1ES0_Li32ELi64ELi256ELb1ELi4EEvPKT_PKT0_S8_ifPKiSA_SA_iPKfiiiPfSD_PS3_PT2_iSC_SC_, 613

	.type	__PRETTY_FUNCTION__._Z38paged_attention_ll4mi_QKV_mfma4_kernelI14__hip_bfloat16hLN4vllm18Fp8KVCacheDataTypeE1ES0_Li32ELi64ELi256ELb0ELi1EEvPKT_PKT0_S8_ifPKiSA_SA_iPKfiiiPfSD_PS3_PT2_iSC_SC_,@object ; @__PRETTY_FUNCTION__._Z38paged_attention_ll4mi_QKV_mfma4_kernelI14__hip_bfloat16hLN4vllm18Fp8KVCacheDataTypeE1ES0_Li32ELi64ELi256ELb0ELi1EEvPKT_PKT0_S8_ifPKiSA_SA_iPKfiiiPfSD_PS3_PT2_iSC_SC_
__PRETTY_FUNCTION__._Z38paged_attention_ll4mi_QKV_mfma4_kernelI14__hip_bfloat16hLN4vllm18Fp8KVCacheDataTypeE1ES0_Li32ELi64ELi256ELb0ELi1EEvPKT_PKT0_S8_ifPKiSA_SA_iPKfiiiPfSD_PS3_PT2_iSC_SC_:
	.asciz	"void paged_attention_ll4mi_QKV_mfma4_kernel(const scalar_t *__restrict, const cache_t *__restrict, const cache_t *__restrict, const int, const float, const int *__restrict, const int *__restrict, const int *__restrict, const int, const float *__restrict, const int, const int, const int, float *__restrict, float *__restrict, scalar_t *__restrict, OUTT *__restrict, int, const float *, const float *) [scalar_t = __hip_bfloat16, cache_t = unsigned char, KV_DTYPE = vllm::Fp8KVCacheDataType::kFp8E4M3, OUTT = __hip_bfloat16, BLOCK_SIZE = 32, HEAD_SIZE = 64, NUM_THREADS = 256, ALIBI_ENABLED = false, GQA_RATIO = 1]"
	.size	__PRETTY_FUNCTION__._Z38paged_attention_ll4mi_QKV_mfma4_kernelI14__hip_bfloat16hLN4vllm18Fp8KVCacheDataTypeE1ES0_Li32ELi64ELi256ELb0ELi1EEvPKT_PKT0_S8_ifPKiSA_SA_iPKfiiiPfSD_PS3_PT2_iSC_SC_, 614

	.type	__PRETTY_FUNCTION__._Z38paged_attention_ll4mi_QKV_mfma4_kernelI14__hip_bfloat16hLN4vllm18Fp8KVCacheDataTypeE1ES0_Li32ELi64ELi256ELb0ELi2EEvPKT_PKT0_S8_ifPKiSA_SA_iPKfiiiPfSD_PS3_PT2_iSC_SC_,@object ; @__PRETTY_FUNCTION__._Z38paged_attention_ll4mi_QKV_mfma4_kernelI14__hip_bfloat16hLN4vllm18Fp8KVCacheDataTypeE1ES0_Li32ELi64ELi256ELb0ELi2EEvPKT_PKT0_S8_ifPKiSA_SA_iPKfiiiPfSD_PS3_PT2_iSC_SC_
__PRETTY_FUNCTION__._Z38paged_attention_ll4mi_QKV_mfma4_kernelI14__hip_bfloat16hLN4vllm18Fp8KVCacheDataTypeE1ES0_Li32ELi64ELi256ELb0ELi2EEvPKT_PKT0_S8_ifPKiSA_SA_iPKfiiiPfSD_PS3_PT2_iSC_SC_:
	.asciz	"void paged_attention_ll4mi_QKV_mfma4_kernel(const scalar_t *__restrict, const cache_t *__restrict, const cache_t *__restrict, const int, const float, const int *__restrict, const int *__restrict, const int *__restrict, const int, const float *__restrict, const int, const int, const int, float *__restrict, float *__restrict, scalar_t *__restrict, OUTT *__restrict, int, const float *, const float *) [scalar_t = __hip_bfloat16, cache_t = unsigned char, KV_DTYPE = vllm::Fp8KVCacheDataType::kFp8E4M3, OUTT = __hip_bfloat16, BLOCK_SIZE = 32, HEAD_SIZE = 64, NUM_THREADS = 256, ALIBI_ENABLED = false, GQA_RATIO = 2]"
	.size	__PRETTY_FUNCTION__._Z38paged_attention_ll4mi_QKV_mfma4_kernelI14__hip_bfloat16hLN4vllm18Fp8KVCacheDataTypeE1ES0_Li32ELi64ELi256ELb0ELi2EEvPKT_PKT0_S8_ifPKiSA_SA_iPKfiiiPfSD_PS3_PT2_iSC_SC_, 614

	.type	__PRETTY_FUNCTION__._Z38paged_attention_ll4mi_QKV_mfma4_kernelI14__hip_bfloat16hLN4vllm18Fp8KVCacheDataTypeE1ES0_Li32ELi64ELi256ELb0ELi3EEvPKT_PKT0_S8_ifPKiSA_SA_iPKfiiiPfSD_PS3_PT2_iSC_SC_,@object ; @__PRETTY_FUNCTION__._Z38paged_attention_ll4mi_QKV_mfma4_kernelI14__hip_bfloat16hLN4vllm18Fp8KVCacheDataTypeE1ES0_Li32ELi64ELi256ELb0ELi3EEvPKT_PKT0_S8_ifPKiSA_SA_iPKfiiiPfSD_PS3_PT2_iSC_SC_
__PRETTY_FUNCTION__._Z38paged_attention_ll4mi_QKV_mfma4_kernelI14__hip_bfloat16hLN4vllm18Fp8KVCacheDataTypeE1ES0_Li32ELi64ELi256ELb0ELi3EEvPKT_PKT0_S8_ifPKiSA_SA_iPKfiiiPfSD_PS3_PT2_iSC_SC_:
	.asciz	"void paged_attention_ll4mi_QKV_mfma4_kernel(const scalar_t *__restrict, const cache_t *__restrict, const cache_t *__restrict, const int, const float, const int *__restrict, const int *__restrict, const int *__restrict, const int, const float *__restrict, const int, const int, const int, float *__restrict, float *__restrict, scalar_t *__restrict, OUTT *__restrict, int, const float *, const float *) [scalar_t = __hip_bfloat16, cache_t = unsigned char, KV_DTYPE = vllm::Fp8KVCacheDataType::kFp8E4M3, OUTT = __hip_bfloat16, BLOCK_SIZE = 32, HEAD_SIZE = 64, NUM_THREADS = 256, ALIBI_ENABLED = false, GQA_RATIO = 3]"
	.size	__PRETTY_FUNCTION__._Z38paged_attention_ll4mi_QKV_mfma4_kernelI14__hip_bfloat16hLN4vllm18Fp8KVCacheDataTypeE1ES0_Li32ELi64ELi256ELb0ELi3EEvPKT_PKT0_S8_ifPKiSA_SA_iPKfiiiPfSD_PS3_PT2_iSC_SC_, 614

	.type	__PRETTY_FUNCTION__._Z38paged_attention_ll4mi_QKV_mfma4_kernelI14__hip_bfloat16hLN4vllm18Fp8KVCacheDataTypeE1ES0_Li32ELi64ELi256ELb0ELi4EEvPKT_PKT0_S8_ifPKiSA_SA_iPKfiiiPfSD_PS3_PT2_iSC_SC_,@object ; @__PRETTY_FUNCTION__._Z38paged_attention_ll4mi_QKV_mfma4_kernelI14__hip_bfloat16hLN4vllm18Fp8KVCacheDataTypeE1ES0_Li32ELi64ELi256ELb0ELi4EEvPKT_PKT0_S8_ifPKiSA_SA_iPKfiiiPfSD_PS3_PT2_iSC_SC_
__PRETTY_FUNCTION__._Z38paged_attention_ll4mi_QKV_mfma4_kernelI14__hip_bfloat16hLN4vllm18Fp8KVCacheDataTypeE1ES0_Li32ELi64ELi256ELb0ELi4EEvPKT_PKT0_S8_ifPKiSA_SA_iPKfiiiPfSD_PS3_PT2_iSC_SC_:
	.asciz	"void paged_attention_ll4mi_QKV_mfma4_kernel(const scalar_t *__restrict, const cache_t *__restrict, const cache_t *__restrict, const int, const float, const int *__restrict, const int *__restrict, const int *__restrict, const int, const float *__restrict, const int, const int, const int, float *__restrict, float *__restrict, scalar_t *__restrict, OUTT *__restrict, int, const float *, const float *) [scalar_t = __hip_bfloat16, cache_t = unsigned char, KV_DTYPE = vllm::Fp8KVCacheDataType::kFp8E4M3, OUTT = __hip_bfloat16, BLOCK_SIZE = 32, HEAD_SIZE = 64, NUM_THREADS = 256, ALIBI_ENABLED = false, GQA_RATIO = 4]"
	.size	__PRETTY_FUNCTION__._Z38paged_attention_ll4mi_QKV_mfma4_kernelI14__hip_bfloat16hLN4vllm18Fp8KVCacheDataTypeE1ES0_Li32ELi64ELi256ELb0ELi4EEvPKT_PKT0_S8_ifPKiSA_SA_iPKfiiiPfSD_PS3_PT2_iSC_SC_, 614

	.type	__PRETTY_FUNCTION__._Z38paged_attention_ll4mi_QKV_mfma4_kernelI14__hip_bfloat16hLN4vllm18Fp8KVCacheDataTypeE1EhLi16ELi128ELi256ELb1ELi1EEvPKT_PKT0_S8_ifPKiSA_SA_iPKfiiiPfSD_PS3_PT2_iSC_SC_,@object ; @__PRETTY_FUNCTION__._Z38paged_attention_ll4mi_QKV_mfma4_kernelI14__hip_bfloat16hLN4vllm18Fp8KVCacheDataTypeE1EhLi16ELi128ELi256ELb1ELi1EEvPKT_PKT0_S8_ifPKiSA_SA_iPKfiiiPfSD_PS3_PT2_iSC_SC_
__PRETTY_FUNCTION__._Z38paged_attention_ll4mi_QKV_mfma4_kernelI14__hip_bfloat16hLN4vllm18Fp8KVCacheDataTypeE1EhLi16ELi128ELi256ELb1ELi1EEvPKT_PKT0_S8_ifPKiSA_SA_iPKfiiiPfSD_PS3_PT2_iSC_SC_:
	.asciz	"void paged_attention_ll4mi_QKV_mfma4_kernel(const scalar_t *__restrict, const cache_t *__restrict, const cache_t *__restrict, const int, const float, const int *__restrict, const int *__restrict, const int *__restrict, const int, const float *__restrict, const int, const int, const int, float *__restrict, float *__restrict, scalar_t *__restrict, OUTT *__restrict, int, const float *, const float *) [scalar_t = __hip_bfloat16, cache_t = unsigned char, KV_DTYPE = vllm::Fp8KVCacheDataType::kFp8E4M3, OUTT = unsigned char, BLOCK_SIZE = 16, HEAD_SIZE = 128, NUM_THREADS = 256, ALIBI_ENABLED = true, GQA_RATIO = 1]"
	.size	__PRETTY_FUNCTION__._Z38paged_attention_ll4mi_QKV_mfma4_kernelI14__hip_bfloat16hLN4vllm18Fp8KVCacheDataTypeE1EhLi16ELi128ELi256ELb1ELi1EEvPKT_PKT0_S8_ifPKiSA_SA_iPKfiiiPfSD_PS3_PT2_iSC_SC_, 613

	.type	__PRETTY_FUNCTION__._Z38paged_attention_ll4mi_QKV_mfma4_kernelI14__hip_bfloat16hLN4vllm18Fp8KVCacheDataTypeE1EhLi16ELi128ELi256ELb1ELi2EEvPKT_PKT0_S8_ifPKiSA_SA_iPKfiiiPfSD_PS3_PT2_iSC_SC_,@object ; @__PRETTY_FUNCTION__._Z38paged_attention_ll4mi_QKV_mfma4_kernelI14__hip_bfloat16hLN4vllm18Fp8KVCacheDataTypeE1EhLi16ELi128ELi256ELb1ELi2EEvPKT_PKT0_S8_ifPKiSA_SA_iPKfiiiPfSD_PS3_PT2_iSC_SC_
__PRETTY_FUNCTION__._Z38paged_attention_ll4mi_QKV_mfma4_kernelI14__hip_bfloat16hLN4vllm18Fp8KVCacheDataTypeE1EhLi16ELi128ELi256ELb1ELi2EEvPKT_PKT0_S8_ifPKiSA_SA_iPKfiiiPfSD_PS3_PT2_iSC_SC_:
	.asciz	"void paged_attention_ll4mi_QKV_mfma4_kernel(const scalar_t *__restrict, const cache_t *__restrict, const cache_t *__restrict, const int, const float, const int *__restrict, const int *__restrict, const int *__restrict, const int, const float *__restrict, const int, const int, const int, float *__restrict, float *__restrict, scalar_t *__restrict, OUTT *__restrict, int, const float *, const float *) [scalar_t = __hip_bfloat16, cache_t = unsigned char, KV_DTYPE = vllm::Fp8KVCacheDataType::kFp8E4M3, OUTT = unsigned char, BLOCK_SIZE = 16, HEAD_SIZE = 128, NUM_THREADS = 256, ALIBI_ENABLED = true, GQA_RATIO = 2]"
	.size	__PRETTY_FUNCTION__._Z38paged_attention_ll4mi_QKV_mfma4_kernelI14__hip_bfloat16hLN4vllm18Fp8KVCacheDataTypeE1EhLi16ELi128ELi256ELb1ELi2EEvPKT_PKT0_S8_ifPKiSA_SA_iPKfiiiPfSD_PS3_PT2_iSC_SC_, 613

	.type	__PRETTY_FUNCTION__._Z38paged_attention_ll4mi_QKV_mfma4_kernelI14__hip_bfloat16hLN4vllm18Fp8KVCacheDataTypeE1EhLi16ELi128ELi256ELb1ELi3EEvPKT_PKT0_S8_ifPKiSA_SA_iPKfiiiPfSD_PS3_PT2_iSC_SC_,@object ; @__PRETTY_FUNCTION__._Z38paged_attention_ll4mi_QKV_mfma4_kernelI14__hip_bfloat16hLN4vllm18Fp8KVCacheDataTypeE1EhLi16ELi128ELi256ELb1ELi3EEvPKT_PKT0_S8_ifPKiSA_SA_iPKfiiiPfSD_PS3_PT2_iSC_SC_
__PRETTY_FUNCTION__._Z38paged_attention_ll4mi_QKV_mfma4_kernelI14__hip_bfloat16hLN4vllm18Fp8KVCacheDataTypeE1EhLi16ELi128ELi256ELb1ELi3EEvPKT_PKT0_S8_ifPKiSA_SA_iPKfiiiPfSD_PS3_PT2_iSC_SC_:
	.asciz	"void paged_attention_ll4mi_QKV_mfma4_kernel(const scalar_t *__restrict, const cache_t *__restrict, const cache_t *__restrict, const int, const float, const int *__restrict, const int *__restrict, const int *__restrict, const int, const float *__restrict, const int, const int, const int, float *__restrict, float *__restrict, scalar_t *__restrict, OUTT *__restrict, int, const float *, const float *) [scalar_t = __hip_bfloat16, cache_t = unsigned char, KV_DTYPE = vllm::Fp8KVCacheDataType::kFp8E4M3, OUTT = unsigned char, BLOCK_SIZE = 16, HEAD_SIZE = 128, NUM_THREADS = 256, ALIBI_ENABLED = true, GQA_RATIO = 3]"
	.size	__PRETTY_FUNCTION__._Z38paged_attention_ll4mi_QKV_mfma4_kernelI14__hip_bfloat16hLN4vllm18Fp8KVCacheDataTypeE1EhLi16ELi128ELi256ELb1ELi3EEvPKT_PKT0_S8_ifPKiSA_SA_iPKfiiiPfSD_PS3_PT2_iSC_SC_, 613

	.type	__PRETTY_FUNCTION__._Z38paged_attention_ll4mi_QKV_mfma4_kernelI14__hip_bfloat16hLN4vllm18Fp8KVCacheDataTypeE1EhLi16ELi128ELi256ELb1ELi4EEvPKT_PKT0_S8_ifPKiSA_SA_iPKfiiiPfSD_PS3_PT2_iSC_SC_,@object ; @__PRETTY_FUNCTION__._Z38paged_attention_ll4mi_QKV_mfma4_kernelI14__hip_bfloat16hLN4vllm18Fp8KVCacheDataTypeE1EhLi16ELi128ELi256ELb1ELi4EEvPKT_PKT0_S8_ifPKiSA_SA_iPKfiiiPfSD_PS3_PT2_iSC_SC_
__PRETTY_FUNCTION__._Z38paged_attention_ll4mi_QKV_mfma4_kernelI14__hip_bfloat16hLN4vllm18Fp8KVCacheDataTypeE1EhLi16ELi128ELi256ELb1ELi4EEvPKT_PKT0_S8_ifPKiSA_SA_iPKfiiiPfSD_PS3_PT2_iSC_SC_:
	.asciz	"void paged_attention_ll4mi_QKV_mfma4_kernel(const scalar_t *__restrict, const cache_t *__restrict, const cache_t *__restrict, const int, const float, const int *__restrict, const int *__restrict, const int *__restrict, const int, const float *__restrict, const int, const int, const int, float *__restrict, float *__restrict, scalar_t *__restrict, OUTT *__restrict, int, const float *, const float *) [scalar_t = __hip_bfloat16, cache_t = unsigned char, KV_DTYPE = vllm::Fp8KVCacheDataType::kFp8E4M3, OUTT = unsigned char, BLOCK_SIZE = 16, HEAD_SIZE = 128, NUM_THREADS = 256, ALIBI_ENABLED = true, GQA_RATIO = 4]"
	.size	__PRETTY_FUNCTION__._Z38paged_attention_ll4mi_QKV_mfma4_kernelI14__hip_bfloat16hLN4vllm18Fp8KVCacheDataTypeE1EhLi16ELi128ELi256ELb1ELi4EEvPKT_PKT0_S8_ifPKiSA_SA_iPKfiiiPfSD_PS3_PT2_iSC_SC_, 613

	.type	__PRETTY_FUNCTION__._Z38paged_attention_ll4mi_QKV_mfma4_kernelI14__hip_bfloat16hLN4vllm18Fp8KVCacheDataTypeE1EhLi16ELi128ELi256ELb0ELi1EEvPKT_PKT0_S8_ifPKiSA_SA_iPKfiiiPfSD_PS3_PT2_iSC_SC_,@object ; @__PRETTY_FUNCTION__._Z38paged_attention_ll4mi_QKV_mfma4_kernelI14__hip_bfloat16hLN4vllm18Fp8KVCacheDataTypeE1EhLi16ELi128ELi256ELb0ELi1EEvPKT_PKT0_S8_ifPKiSA_SA_iPKfiiiPfSD_PS3_PT2_iSC_SC_
__PRETTY_FUNCTION__._Z38paged_attention_ll4mi_QKV_mfma4_kernelI14__hip_bfloat16hLN4vllm18Fp8KVCacheDataTypeE1EhLi16ELi128ELi256ELb0ELi1EEvPKT_PKT0_S8_ifPKiSA_SA_iPKfiiiPfSD_PS3_PT2_iSC_SC_:
	.asciz	"void paged_attention_ll4mi_QKV_mfma4_kernel(const scalar_t *__restrict, const cache_t *__restrict, const cache_t *__restrict, const int, const float, const int *__restrict, const int *__restrict, const int *__restrict, const int, const float *__restrict, const int, const int, const int, float *__restrict, float *__restrict, scalar_t *__restrict, OUTT *__restrict, int, const float *, const float *) [scalar_t = __hip_bfloat16, cache_t = unsigned char, KV_DTYPE = vllm::Fp8KVCacheDataType::kFp8E4M3, OUTT = unsigned char, BLOCK_SIZE = 16, HEAD_SIZE = 128, NUM_THREADS = 256, ALIBI_ENABLED = false, GQA_RATIO = 1]"
	.size	__PRETTY_FUNCTION__._Z38paged_attention_ll4mi_QKV_mfma4_kernelI14__hip_bfloat16hLN4vllm18Fp8KVCacheDataTypeE1EhLi16ELi128ELi256ELb0ELi1EEvPKT_PKT0_S8_ifPKiSA_SA_iPKfiiiPfSD_PS3_PT2_iSC_SC_, 614

	.type	__PRETTY_FUNCTION__._Z38paged_attention_ll4mi_QKV_mfma4_kernelI14__hip_bfloat16hLN4vllm18Fp8KVCacheDataTypeE1EhLi16ELi128ELi256ELb0ELi2EEvPKT_PKT0_S8_ifPKiSA_SA_iPKfiiiPfSD_PS3_PT2_iSC_SC_,@object ; @__PRETTY_FUNCTION__._Z38paged_attention_ll4mi_QKV_mfma4_kernelI14__hip_bfloat16hLN4vllm18Fp8KVCacheDataTypeE1EhLi16ELi128ELi256ELb0ELi2EEvPKT_PKT0_S8_ifPKiSA_SA_iPKfiiiPfSD_PS3_PT2_iSC_SC_
__PRETTY_FUNCTION__._Z38paged_attention_ll4mi_QKV_mfma4_kernelI14__hip_bfloat16hLN4vllm18Fp8KVCacheDataTypeE1EhLi16ELi128ELi256ELb0ELi2EEvPKT_PKT0_S8_ifPKiSA_SA_iPKfiiiPfSD_PS3_PT2_iSC_SC_:
	.asciz	"void paged_attention_ll4mi_QKV_mfma4_kernel(const scalar_t *__restrict, const cache_t *__restrict, const cache_t *__restrict, const int, const float, const int *__restrict, const int *__restrict, const int *__restrict, const int, const float *__restrict, const int, const int, const int, float *__restrict, float *__restrict, scalar_t *__restrict, OUTT *__restrict, int, const float *, const float *) [scalar_t = __hip_bfloat16, cache_t = unsigned char, KV_DTYPE = vllm::Fp8KVCacheDataType::kFp8E4M3, OUTT = unsigned char, BLOCK_SIZE = 16, HEAD_SIZE = 128, NUM_THREADS = 256, ALIBI_ENABLED = false, GQA_RATIO = 2]"
	.size	__PRETTY_FUNCTION__._Z38paged_attention_ll4mi_QKV_mfma4_kernelI14__hip_bfloat16hLN4vllm18Fp8KVCacheDataTypeE1EhLi16ELi128ELi256ELb0ELi2EEvPKT_PKT0_S8_ifPKiSA_SA_iPKfiiiPfSD_PS3_PT2_iSC_SC_, 614

	.type	__PRETTY_FUNCTION__._Z38paged_attention_ll4mi_QKV_mfma4_kernelI14__hip_bfloat16hLN4vllm18Fp8KVCacheDataTypeE1EhLi16ELi128ELi256ELb0ELi3EEvPKT_PKT0_S8_ifPKiSA_SA_iPKfiiiPfSD_PS3_PT2_iSC_SC_,@object ; @__PRETTY_FUNCTION__._Z38paged_attention_ll4mi_QKV_mfma4_kernelI14__hip_bfloat16hLN4vllm18Fp8KVCacheDataTypeE1EhLi16ELi128ELi256ELb0ELi3EEvPKT_PKT0_S8_ifPKiSA_SA_iPKfiiiPfSD_PS3_PT2_iSC_SC_
__PRETTY_FUNCTION__._Z38paged_attention_ll4mi_QKV_mfma4_kernelI14__hip_bfloat16hLN4vllm18Fp8KVCacheDataTypeE1EhLi16ELi128ELi256ELb0ELi3EEvPKT_PKT0_S8_ifPKiSA_SA_iPKfiiiPfSD_PS3_PT2_iSC_SC_:
	.asciz	"void paged_attention_ll4mi_QKV_mfma4_kernel(const scalar_t *__restrict, const cache_t *__restrict, const cache_t *__restrict, const int, const float, const int *__restrict, const int *__restrict, const int *__restrict, const int, const float *__restrict, const int, const int, const int, float *__restrict, float *__restrict, scalar_t *__restrict, OUTT *__restrict, int, const float *, const float *) [scalar_t = __hip_bfloat16, cache_t = unsigned char, KV_DTYPE = vllm::Fp8KVCacheDataType::kFp8E4M3, OUTT = unsigned char, BLOCK_SIZE = 16, HEAD_SIZE = 128, NUM_THREADS = 256, ALIBI_ENABLED = false, GQA_RATIO = 3]"
	.size	__PRETTY_FUNCTION__._Z38paged_attention_ll4mi_QKV_mfma4_kernelI14__hip_bfloat16hLN4vllm18Fp8KVCacheDataTypeE1EhLi16ELi128ELi256ELb0ELi3EEvPKT_PKT0_S8_ifPKiSA_SA_iPKfiiiPfSD_PS3_PT2_iSC_SC_, 614

	.type	__PRETTY_FUNCTION__._Z38paged_attention_ll4mi_QKV_mfma4_kernelI14__hip_bfloat16hLN4vllm18Fp8KVCacheDataTypeE1EhLi16ELi128ELi256ELb0ELi4EEvPKT_PKT0_S8_ifPKiSA_SA_iPKfiiiPfSD_PS3_PT2_iSC_SC_,@object ; @__PRETTY_FUNCTION__._Z38paged_attention_ll4mi_QKV_mfma4_kernelI14__hip_bfloat16hLN4vllm18Fp8KVCacheDataTypeE1EhLi16ELi128ELi256ELb0ELi4EEvPKT_PKT0_S8_ifPKiSA_SA_iPKfiiiPfSD_PS3_PT2_iSC_SC_
__PRETTY_FUNCTION__._Z38paged_attention_ll4mi_QKV_mfma4_kernelI14__hip_bfloat16hLN4vllm18Fp8KVCacheDataTypeE1EhLi16ELi128ELi256ELb0ELi4EEvPKT_PKT0_S8_ifPKiSA_SA_iPKfiiiPfSD_PS3_PT2_iSC_SC_:
	.asciz	"void paged_attention_ll4mi_QKV_mfma4_kernel(const scalar_t *__restrict, const cache_t *__restrict, const cache_t *__restrict, const int, const float, const int *__restrict, const int *__restrict, const int *__restrict, const int, const float *__restrict, const int, const int, const int, float *__restrict, float *__restrict, scalar_t *__restrict, OUTT *__restrict, int, const float *, const float *) [scalar_t = __hip_bfloat16, cache_t = unsigned char, KV_DTYPE = vllm::Fp8KVCacheDataType::kFp8E4M3, OUTT = unsigned char, BLOCK_SIZE = 16, HEAD_SIZE = 128, NUM_THREADS = 256, ALIBI_ENABLED = false, GQA_RATIO = 4]"
	.size	__PRETTY_FUNCTION__._Z38paged_attention_ll4mi_QKV_mfma4_kernelI14__hip_bfloat16hLN4vllm18Fp8KVCacheDataTypeE1EhLi16ELi128ELi256ELb0ELi4EEvPKT_PKT0_S8_ifPKiSA_SA_iPKfiiiPfSD_PS3_PT2_iSC_SC_, 614

	.type	__PRETTY_FUNCTION__._Z38paged_attention_ll4mi_QKV_mfma4_kernelI14__hip_bfloat16hLN4vllm18Fp8KVCacheDataTypeE1ES0_Li16ELi128ELi256ELb1ELi1EEvPKT_PKT0_S8_ifPKiSA_SA_iPKfiiiPfSD_PS3_PT2_iSC_SC_,@object ; @__PRETTY_FUNCTION__._Z38paged_attention_ll4mi_QKV_mfma4_kernelI14__hip_bfloat16hLN4vllm18Fp8KVCacheDataTypeE1ES0_Li16ELi128ELi256ELb1ELi1EEvPKT_PKT0_S8_ifPKiSA_SA_iPKfiiiPfSD_PS3_PT2_iSC_SC_
__PRETTY_FUNCTION__._Z38paged_attention_ll4mi_QKV_mfma4_kernelI14__hip_bfloat16hLN4vllm18Fp8KVCacheDataTypeE1ES0_Li16ELi128ELi256ELb1ELi1EEvPKT_PKT0_S8_ifPKiSA_SA_iPKfiiiPfSD_PS3_PT2_iSC_SC_:
	.asciz	"void paged_attention_ll4mi_QKV_mfma4_kernel(const scalar_t *__restrict, const cache_t *__restrict, const cache_t *__restrict, const int, const float, const int *__restrict, const int *__restrict, const int *__restrict, const int, const float *__restrict, const int, const int, const int, float *__restrict, float *__restrict, scalar_t *__restrict, OUTT *__restrict, int, const float *, const float *) [scalar_t = __hip_bfloat16, cache_t = unsigned char, KV_DTYPE = vllm::Fp8KVCacheDataType::kFp8E4M3, OUTT = __hip_bfloat16, BLOCK_SIZE = 16, HEAD_SIZE = 128, NUM_THREADS = 256, ALIBI_ENABLED = true, GQA_RATIO = 1]"
	.size	__PRETTY_FUNCTION__._Z38paged_attention_ll4mi_QKV_mfma4_kernelI14__hip_bfloat16hLN4vllm18Fp8KVCacheDataTypeE1ES0_Li16ELi128ELi256ELb1ELi1EEvPKT_PKT0_S8_ifPKiSA_SA_iPKfiiiPfSD_PS3_PT2_iSC_SC_, 614

	.type	__PRETTY_FUNCTION__._Z38paged_attention_ll4mi_QKV_mfma4_kernelI14__hip_bfloat16hLN4vllm18Fp8KVCacheDataTypeE1ES0_Li16ELi128ELi256ELb1ELi2EEvPKT_PKT0_S8_ifPKiSA_SA_iPKfiiiPfSD_PS3_PT2_iSC_SC_,@object ; @__PRETTY_FUNCTION__._Z38paged_attention_ll4mi_QKV_mfma4_kernelI14__hip_bfloat16hLN4vllm18Fp8KVCacheDataTypeE1ES0_Li16ELi128ELi256ELb1ELi2EEvPKT_PKT0_S8_ifPKiSA_SA_iPKfiiiPfSD_PS3_PT2_iSC_SC_
__PRETTY_FUNCTION__._Z38paged_attention_ll4mi_QKV_mfma4_kernelI14__hip_bfloat16hLN4vllm18Fp8KVCacheDataTypeE1ES0_Li16ELi128ELi256ELb1ELi2EEvPKT_PKT0_S8_ifPKiSA_SA_iPKfiiiPfSD_PS3_PT2_iSC_SC_:
	.asciz	"void paged_attention_ll4mi_QKV_mfma4_kernel(const scalar_t *__restrict, const cache_t *__restrict, const cache_t *__restrict, const int, const float, const int *__restrict, const int *__restrict, const int *__restrict, const int, const float *__restrict, const int, const int, const int, float *__restrict, float *__restrict, scalar_t *__restrict, OUTT *__restrict, int, const float *, const float *) [scalar_t = __hip_bfloat16, cache_t = unsigned char, KV_DTYPE = vllm::Fp8KVCacheDataType::kFp8E4M3, OUTT = __hip_bfloat16, BLOCK_SIZE = 16, HEAD_SIZE = 128, NUM_THREADS = 256, ALIBI_ENABLED = true, GQA_RATIO = 2]"
	.size	__PRETTY_FUNCTION__._Z38paged_attention_ll4mi_QKV_mfma4_kernelI14__hip_bfloat16hLN4vllm18Fp8KVCacheDataTypeE1ES0_Li16ELi128ELi256ELb1ELi2EEvPKT_PKT0_S8_ifPKiSA_SA_iPKfiiiPfSD_PS3_PT2_iSC_SC_, 614

	.type	__PRETTY_FUNCTION__._Z38paged_attention_ll4mi_QKV_mfma4_kernelI14__hip_bfloat16hLN4vllm18Fp8KVCacheDataTypeE1ES0_Li16ELi128ELi256ELb1ELi3EEvPKT_PKT0_S8_ifPKiSA_SA_iPKfiiiPfSD_PS3_PT2_iSC_SC_,@object ; @__PRETTY_FUNCTION__._Z38paged_attention_ll4mi_QKV_mfma4_kernelI14__hip_bfloat16hLN4vllm18Fp8KVCacheDataTypeE1ES0_Li16ELi128ELi256ELb1ELi3EEvPKT_PKT0_S8_ifPKiSA_SA_iPKfiiiPfSD_PS3_PT2_iSC_SC_
__PRETTY_FUNCTION__._Z38paged_attention_ll4mi_QKV_mfma4_kernelI14__hip_bfloat16hLN4vllm18Fp8KVCacheDataTypeE1ES0_Li16ELi128ELi256ELb1ELi3EEvPKT_PKT0_S8_ifPKiSA_SA_iPKfiiiPfSD_PS3_PT2_iSC_SC_:
	.asciz	"void paged_attention_ll4mi_QKV_mfma4_kernel(const scalar_t *__restrict, const cache_t *__restrict, const cache_t *__restrict, const int, const float, const int *__restrict, const int *__restrict, const int *__restrict, const int, const float *__restrict, const int, const int, const int, float *__restrict, float *__restrict, scalar_t *__restrict, OUTT *__restrict, int, const float *, const float *) [scalar_t = __hip_bfloat16, cache_t = unsigned char, KV_DTYPE = vllm::Fp8KVCacheDataType::kFp8E4M3, OUTT = __hip_bfloat16, BLOCK_SIZE = 16, HEAD_SIZE = 128, NUM_THREADS = 256, ALIBI_ENABLED = true, GQA_RATIO = 3]"
	.size	__PRETTY_FUNCTION__._Z38paged_attention_ll4mi_QKV_mfma4_kernelI14__hip_bfloat16hLN4vllm18Fp8KVCacheDataTypeE1ES0_Li16ELi128ELi256ELb1ELi3EEvPKT_PKT0_S8_ifPKiSA_SA_iPKfiiiPfSD_PS3_PT2_iSC_SC_, 614

	.type	__PRETTY_FUNCTION__._Z38paged_attention_ll4mi_QKV_mfma4_kernelI14__hip_bfloat16hLN4vllm18Fp8KVCacheDataTypeE1ES0_Li16ELi128ELi256ELb1ELi4EEvPKT_PKT0_S8_ifPKiSA_SA_iPKfiiiPfSD_PS3_PT2_iSC_SC_,@object ; @__PRETTY_FUNCTION__._Z38paged_attention_ll4mi_QKV_mfma4_kernelI14__hip_bfloat16hLN4vllm18Fp8KVCacheDataTypeE1ES0_Li16ELi128ELi256ELb1ELi4EEvPKT_PKT0_S8_ifPKiSA_SA_iPKfiiiPfSD_PS3_PT2_iSC_SC_
__PRETTY_FUNCTION__._Z38paged_attention_ll4mi_QKV_mfma4_kernelI14__hip_bfloat16hLN4vllm18Fp8KVCacheDataTypeE1ES0_Li16ELi128ELi256ELb1ELi4EEvPKT_PKT0_S8_ifPKiSA_SA_iPKfiiiPfSD_PS3_PT2_iSC_SC_:
	.asciz	"void paged_attention_ll4mi_QKV_mfma4_kernel(const scalar_t *__restrict, const cache_t *__restrict, const cache_t *__restrict, const int, const float, const int *__restrict, const int *__restrict, const int *__restrict, const int, const float *__restrict, const int, const int, const int, float *__restrict, float *__restrict, scalar_t *__restrict, OUTT *__restrict, int, const float *, const float *) [scalar_t = __hip_bfloat16, cache_t = unsigned char, KV_DTYPE = vllm::Fp8KVCacheDataType::kFp8E4M3, OUTT = __hip_bfloat16, BLOCK_SIZE = 16, HEAD_SIZE = 128, NUM_THREADS = 256, ALIBI_ENABLED = true, GQA_RATIO = 4]"
	.size	__PRETTY_FUNCTION__._Z38paged_attention_ll4mi_QKV_mfma4_kernelI14__hip_bfloat16hLN4vllm18Fp8KVCacheDataTypeE1ES0_Li16ELi128ELi256ELb1ELi4EEvPKT_PKT0_S8_ifPKiSA_SA_iPKfiiiPfSD_PS3_PT2_iSC_SC_, 614

	.type	__PRETTY_FUNCTION__._Z38paged_attention_ll4mi_QKV_mfma4_kernelI14__hip_bfloat16hLN4vllm18Fp8KVCacheDataTypeE1ES0_Li16ELi128ELi256ELb0ELi1EEvPKT_PKT0_S8_ifPKiSA_SA_iPKfiiiPfSD_PS3_PT2_iSC_SC_,@object ; @__PRETTY_FUNCTION__._Z38paged_attention_ll4mi_QKV_mfma4_kernelI14__hip_bfloat16hLN4vllm18Fp8KVCacheDataTypeE1ES0_Li16ELi128ELi256ELb0ELi1EEvPKT_PKT0_S8_ifPKiSA_SA_iPKfiiiPfSD_PS3_PT2_iSC_SC_
__PRETTY_FUNCTION__._Z38paged_attention_ll4mi_QKV_mfma4_kernelI14__hip_bfloat16hLN4vllm18Fp8KVCacheDataTypeE1ES0_Li16ELi128ELi256ELb0ELi1EEvPKT_PKT0_S8_ifPKiSA_SA_iPKfiiiPfSD_PS3_PT2_iSC_SC_:
	.asciz	"void paged_attention_ll4mi_QKV_mfma4_kernel(const scalar_t *__restrict, const cache_t *__restrict, const cache_t *__restrict, const int, const float, const int *__restrict, const int *__restrict, const int *__restrict, const int, const float *__restrict, const int, const int, const int, float *__restrict, float *__restrict, scalar_t *__restrict, OUTT *__restrict, int, const float *, const float *) [scalar_t = __hip_bfloat16, cache_t = unsigned char, KV_DTYPE = vllm::Fp8KVCacheDataType::kFp8E4M3, OUTT = __hip_bfloat16, BLOCK_SIZE = 16, HEAD_SIZE = 128, NUM_THREADS = 256, ALIBI_ENABLED = false, GQA_RATIO = 1]"
	.size	__PRETTY_FUNCTION__._Z38paged_attention_ll4mi_QKV_mfma4_kernelI14__hip_bfloat16hLN4vllm18Fp8KVCacheDataTypeE1ES0_Li16ELi128ELi256ELb0ELi1EEvPKT_PKT0_S8_ifPKiSA_SA_iPKfiiiPfSD_PS3_PT2_iSC_SC_, 615

	.type	__PRETTY_FUNCTION__._Z38paged_attention_ll4mi_QKV_mfma4_kernelI14__hip_bfloat16hLN4vllm18Fp8KVCacheDataTypeE1ES0_Li16ELi128ELi256ELb0ELi2EEvPKT_PKT0_S8_ifPKiSA_SA_iPKfiiiPfSD_PS3_PT2_iSC_SC_,@object ; @__PRETTY_FUNCTION__._Z38paged_attention_ll4mi_QKV_mfma4_kernelI14__hip_bfloat16hLN4vllm18Fp8KVCacheDataTypeE1ES0_Li16ELi128ELi256ELb0ELi2EEvPKT_PKT0_S8_ifPKiSA_SA_iPKfiiiPfSD_PS3_PT2_iSC_SC_
__PRETTY_FUNCTION__._Z38paged_attention_ll4mi_QKV_mfma4_kernelI14__hip_bfloat16hLN4vllm18Fp8KVCacheDataTypeE1ES0_Li16ELi128ELi256ELb0ELi2EEvPKT_PKT0_S8_ifPKiSA_SA_iPKfiiiPfSD_PS3_PT2_iSC_SC_:
	.asciz	"void paged_attention_ll4mi_QKV_mfma4_kernel(const scalar_t *__restrict, const cache_t *__restrict, const cache_t *__restrict, const int, const float, const int *__restrict, const int *__restrict, const int *__restrict, const int, const float *__restrict, const int, const int, const int, float *__restrict, float *__restrict, scalar_t *__restrict, OUTT *__restrict, int, const float *, const float *) [scalar_t = __hip_bfloat16, cache_t = unsigned char, KV_DTYPE = vllm::Fp8KVCacheDataType::kFp8E4M3, OUTT = __hip_bfloat16, BLOCK_SIZE = 16, HEAD_SIZE = 128, NUM_THREADS = 256, ALIBI_ENABLED = false, GQA_RATIO = 2]"
	.size	__PRETTY_FUNCTION__._Z38paged_attention_ll4mi_QKV_mfma4_kernelI14__hip_bfloat16hLN4vllm18Fp8KVCacheDataTypeE1ES0_Li16ELi128ELi256ELb0ELi2EEvPKT_PKT0_S8_ifPKiSA_SA_iPKfiiiPfSD_PS3_PT2_iSC_SC_, 615

	.type	__PRETTY_FUNCTION__._Z38paged_attention_ll4mi_QKV_mfma4_kernelI14__hip_bfloat16hLN4vllm18Fp8KVCacheDataTypeE1ES0_Li16ELi128ELi256ELb0ELi3EEvPKT_PKT0_S8_ifPKiSA_SA_iPKfiiiPfSD_PS3_PT2_iSC_SC_,@object ; @__PRETTY_FUNCTION__._Z38paged_attention_ll4mi_QKV_mfma4_kernelI14__hip_bfloat16hLN4vllm18Fp8KVCacheDataTypeE1ES0_Li16ELi128ELi256ELb0ELi3EEvPKT_PKT0_S8_ifPKiSA_SA_iPKfiiiPfSD_PS3_PT2_iSC_SC_
__PRETTY_FUNCTION__._Z38paged_attention_ll4mi_QKV_mfma4_kernelI14__hip_bfloat16hLN4vllm18Fp8KVCacheDataTypeE1ES0_Li16ELi128ELi256ELb0ELi3EEvPKT_PKT0_S8_ifPKiSA_SA_iPKfiiiPfSD_PS3_PT2_iSC_SC_:
	.asciz	"void paged_attention_ll4mi_QKV_mfma4_kernel(const scalar_t *__restrict, const cache_t *__restrict, const cache_t *__restrict, const int, const float, const int *__restrict, const int *__restrict, const int *__restrict, const int, const float *__restrict, const int, const int, const int, float *__restrict, float *__restrict, scalar_t *__restrict, OUTT *__restrict, int, const float *, const float *) [scalar_t = __hip_bfloat16, cache_t = unsigned char, KV_DTYPE = vllm::Fp8KVCacheDataType::kFp8E4M3, OUTT = __hip_bfloat16, BLOCK_SIZE = 16, HEAD_SIZE = 128, NUM_THREADS = 256, ALIBI_ENABLED = false, GQA_RATIO = 3]"
	.size	__PRETTY_FUNCTION__._Z38paged_attention_ll4mi_QKV_mfma4_kernelI14__hip_bfloat16hLN4vllm18Fp8KVCacheDataTypeE1ES0_Li16ELi128ELi256ELb0ELi3EEvPKT_PKT0_S8_ifPKiSA_SA_iPKfiiiPfSD_PS3_PT2_iSC_SC_, 615

	.type	__PRETTY_FUNCTION__._Z38paged_attention_ll4mi_QKV_mfma4_kernelI14__hip_bfloat16hLN4vllm18Fp8KVCacheDataTypeE1ES0_Li16ELi128ELi256ELb0ELi4EEvPKT_PKT0_S8_ifPKiSA_SA_iPKfiiiPfSD_PS3_PT2_iSC_SC_,@object ; @__PRETTY_FUNCTION__._Z38paged_attention_ll4mi_QKV_mfma4_kernelI14__hip_bfloat16hLN4vllm18Fp8KVCacheDataTypeE1ES0_Li16ELi128ELi256ELb0ELi4EEvPKT_PKT0_S8_ifPKiSA_SA_iPKfiiiPfSD_PS3_PT2_iSC_SC_
__PRETTY_FUNCTION__._Z38paged_attention_ll4mi_QKV_mfma4_kernelI14__hip_bfloat16hLN4vllm18Fp8KVCacheDataTypeE1ES0_Li16ELi128ELi256ELb0ELi4EEvPKT_PKT0_S8_ifPKiSA_SA_iPKfiiiPfSD_PS3_PT2_iSC_SC_:
	.asciz	"void paged_attention_ll4mi_QKV_mfma4_kernel(const scalar_t *__restrict, const cache_t *__restrict, const cache_t *__restrict, const int, const float, const int *__restrict, const int *__restrict, const int *__restrict, const int, const float *__restrict, const int, const int, const int, float *__restrict, float *__restrict, scalar_t *__restrict, OUTT *__restrict, int, const float *, const float *) [scalar_t = __hip_bfloat16, cache_t = unsigned char, KV_DTYPE = vllm::Fp8KVCacheDataType::kFp8E4M3, OUTT = __hip_bfloat16, BLOCK_SIZE = 16, HEAD_SIZE = 128, NUM_THREADS = 256, ALIBI_ENABLED = false, GQA_RATIO = 4]"
	.size	__PRETTY_FUNCTION__._Z38paged_attention_ll4mi_QKV_mfma4_kernelI14__hip_bfloat16hLN4vllm18Fp8KVCacheDataTypeE1ES0_Li16ELi128ELi256ELb0ELi4EEvPKT_PKT0_S8_ifPKiSA_SA_iPKfiiiPfSD_PS3_PT2_iSC_SC_, 615

	.type	__PRETTY_FUNCTION__._Z38paged_attention_ll4mi_QKV_mfma4_kernelI14__hip_bfloat16hLN4vllm18Fp8KVCacheDataTypeE1EhLi32ELi128ELi256ELb1ELi1EEvPKT_PKT0_S8_ifPKiSA_SA_iPKfiiiPfSD_PS3_PT2_iSC_SC_,@object ; @__PRETTY_FUNCTION__._Z38paged_attention_ll4mi_QKV_mfma4_kernelI14__hip_bfloat16hLN4vllm18Fp8KVCacheDataTypeE1EhLi32ELi128ELi256ELb1ELi1EEvPKT_PKT0_S8_ifPKiSA_SA_iPKfiiiPfSD_PS3_PT2_iSC_SC_
__PRETTY_FUNCTION__._Z38paged_attention_ll4mi_QKV_mfma4_kernelI14__hip_bfloat16hLN4vllm18Fp8KVCacheDataTypeE1EhLi32ELi128ELi256ELb1ELi1EEvPKT_PKT0_S8_ifPKiSA_SA_iPKfiiiPfSD_PS3_PT2_iSC_SC_:
	.asciz	"void paged_attention_ll4mi_QKV_mfma4_kernel(const scalar_t *__restrict, const cache_t *__restrict, const cache_t *__restrict, const int, const float, const int *__restrict, const int *__restrict, const int *__restrict, const int, const float *__restrict, const int, const int, const int, float *__restrict, float *__restrict, scalar_t *__restrict, OUTT *__restrict, int, const float *, const float *) [scalar_t = __hip_bfloat16, cache_t = unsigned char, KV_DTYPE = vllm::Fp8KVCacheDataType::kFp8E4M3, OUTT = unsigned char, BLOCK_SIZE = 32, HEAD_SIZE = 128, NUM_THREADS = 256, ALIBI_ENABLED = true, GQA_RATIO = 1]"
	.size	__PRETTY_FUNCTION__._Z38paged_attention_ll4mi_QKV_mfma4_kernelI14__hip_bfloat16hLN4vllm18Fp8KVCacheDataTypeE1EhLi32ELi128ELi256ELb1ELi1EEvPKT_PKT0_S8_ifPKiSA_SA_iPKfiiiPfSD_PS3_PT2_iSC_SC_, 613

	.type	__PRETTY_FUNCTION__._Z38paged_attention_ll4mi_QKV_mfma4_kernelI14__hip_bfloat16hLN4vllm18Fp8KVCacheDataTypeE1EhLi32ELi128ELi256ELb1ELi2EEvPKT_PKT0_S8_ifPKiSA_SA_iPKfiiiPfSD_PS3_PT2_iSC_SC_,@object ; @__PRETTY_FUNCTION__._Z38paged_attention_ll4mi_QKV_mfma4_kernelI14__hip_bfloat16hLN4vllm18Fp8KVCacheDataTypeE1EhLi32ELi128ELi256ELb1ELi2EEvPKT_PKT0_S8_ifPKiSA_SA_iPKfiiiPfSD_PS3_PT2_iSC_SC_
__PRETTY_FUNCTION__._Z38paged_attention_ll4mi_QKV_mfma4_kernelI14__hip_bfloat16hLN4vllm18Fp8KVCacheDataTypeE1EhLi32ELi128ELi256ELb1ELi2EEvPKT_PKT0_S8_ifPKiSA_SA_iPKfiiiPfSD_PS3_PT2_iSC_SC_:
	.asciz	"void paged_attention_ll4mi_QKV_mfma4_kernel(const scalar_t *__restrict, const cache_t *__restrict, const cache_t *__restrict, const int, const float, const int *__restrict, const int *__restrict, const int *__restrict, const int, const float *__restrict, const int, const int, const int, float *__restrict, float *__restrict, scalar_t *__restrict, OUTT *__restrict, int, const float *, const float *) [scalar_t = __hip_bfloat16, cache_t = unsigned char, KV_DTYPE = vllm::Fp8KVCacheDataType::kFp8E4M3, OUTT = unsigned char, BLOCK_SIZE = 32, HEAD_SIZE = 128, NUM_THREADS = 256, ALIBI_ENABLED = true, GQA_RATIO = 2]"
	.size	__PRETTY_FUNCTION__._Z38paged_attention_ll4mi_QKV_mfma4_kernelI14__hip_bfloat16hLN4vllm18Fp8KVCacheDataTypeE1EhLi32ELi128ELi256ELb1ELi2EEvPKT_PKT0_S8_ifPKiSA_SA_iPKfiiiPfSD_PS3_PT2_iSC_SC_, 613

	.type	__PRETTY_FUNCTION__._Z38paged_attention_ll4mi_QKV_mfma4_kernelI14__hip_bfloat16hLN4vllm18Fp8KVCacheDataTypeE1EhLi32ELi128ELi256ELb1ELi3EEvPKT_PKT0_S8_ifPKiSA_SA_iPKfiiiPfSD_PS3_PT2_iSC_SC_,@object ; @__PRETTY_FUNCTION__._Z38paged_attention_ll4mi_QKV_mfma4_kernelI14__hip_bfloat16hLN4vllm18Fp8KVCacheDataTypeE1EhLi32ELi128ELi256ELb1ELi3EEvPKT_PKT0_S8_ifPKiSA_SA_iPKfiiiPfSD_PS3_PT2_iSC_SC_
__PRETTY_FUNCTION__._Z38paged_attention_ll4mi_QKV_mfma4_kernelI14__hip_bfloat16hLN4vllm18Fp8KVCacheDataTypeE1EhLi32ELi128ELi256ELb1ELi3EEvPKT_PKT0_S8_ifPKiSA_SA_iPKfiiiPfSD_PS3_PT2_iSC_SC_:
	.asciz	"void paged_attention_ll4mi_QKV_mfma4_kernel(const scalar_t *__restrict, const cache_t *__restrict, const cache_t *__restrict, const int, const float, const int *__restrict, const int *__restrict, const int *__restrict, const int, const float *__restrict, const int, const int, const int, float *__restrict, float *__restrict, scalar_t *__restrict, OUTT *__restrict, int, const float *, const float *) [scalar_t = __hip_bfloat16, cache_t = unsigned char, KV_DTYPE = vllm::Fp8KVCacheDataType::kFp8E4M3, OUTT = unsigned char, BLOCK_SIZE = 32, HEAD_SIZE = 128, NUM_THREADS = 256, ALIBI_ENABLED = true, GQA_RATIO = 3]"
	.size	__PRETTY_FUNCTION__._Z38paged_attention_ll4mi_QKV_mfma4_kernelI14__hip_bfloat16hLN4vllm18Fp8KVCacheDataTypeE1EhLi32ELi128ELi256ELb1ELi3EEvPKT_PKT0_S8_ifPKiSA_SA_iPKfiiiPfSD_PS3_PT2_iSC_SC_, 613

	.type	__PRETTY_FUNCTION__._Z38paged_attention_ll4mi_QKV_mfma4_kernelI14__hip_bfloat16hLN4vllm18Fp8KVCacheDataTypeE1EhLi32ELi128ELi256ELb1ELi4EEvPKT_PKT0_S8_ifPKiSA_SA_iPKfiiiPfSD_PS3_PT2_iSC_SC_,@object ; @__PRETTY_FUNCTION__._Z38paged_attention_ll4mi_QKV_mfma4_kernelI14__hip_bfloat16hLN4vllm18Fp8KVCacheDataTypeE1EhLi32ELi128ELi256ELb1ELi4EEvPKT_PKT0_S8_ifPKiSA_SA_iPKfiiiPfSD_PS3_PT2_iSC_SC_
__PRETTY_FUNCTION__._Z38paged_attention_ll4mi_QKV_mfma4_kernelI14__hip_bfloat16hLN4vllm18Fp8KVCacheDataTypeE1EhLi32ELi128ELi256ELb1ELi4EEvPKT_PKT0_S8_ifPKiSA_SA_iPKfiiiPfSD_PS3_PT2_iSC_SC_:
	.asciz	"void paged_attention_ll4mi_QKV_mfma4_kernel(const scalar_t *__restrict, const cache_t *__restrict, const cache_t *__restrict, const int, const float, const int *__restrict, const int *__restrict, const int *__restrict, const int, const float *__restrict, const int, const int, const int, float *__restrict, float *__restrict, scalar_t *__restrict, OUTT *__restrict, int, const float *, const float *) [scalar_t = __hip_bfloat16, cache_t = unsigned char, KV_DTYPE = vllm::Fp8KVCacheDataType::kFp8E4M3, OUTT = unsigned char, BLOCK_SIZE = 32, HEAD_SIZE = 128, NUM_THREADS = 256, ALIBI_ENABLED = true, GQA_RATIO = 4]"
	.size	__PRETTY_FUNCTION__._Z38paged_attention_ll4mi_QKV_mfma4_kernelI14__hip_bfloat16hLN4vllm18Fp8KVCacheDataTypeE1EhLi32ELi128ELi256ELb1ELi4EEvPKT_PKT0_S8_ifPKiSA_SA_iPKfiiiPfSD_PS3_PT2_iSC_SC_, 613

	.type	__PRETTY_FUNCTION__._Z38paged_attention_ll4mi_QKV_mfma4_kernelI14__hip_bfloat16hLN4vllm18Fp8KVCacheDataTypeE1EhLi32ELi128ELi256ELb0ELi1EEvPKT_PKT0_S8_ifPKiSA_SA_iPKfiiiPfSD_PS3_PT2_iSC_SC_,@object ; @__PRETTY_FUNCTION__._Z38paged_attention_ll4mi_QKV_mfma4_kernelI14__hip_bfloat16hLN4vllm18Fp8KVCacheDataTypeE1EhLi32ELi128ELi256ELb0ELi1EEvPKT_PKT0_S8_ifPKiSA_SA_iPKfiiiPfSD_PS3_PT2_iSC_SC_
__PRETTY_FUNCTION__._Z38paged_attention_ll4mi_QKV_mfma4_kernelI14__hip_bfloat16hLN4vllm18Fp8KVCacheDataTypeE1EhLi32ELi128ELi256ELb0ELi1EEvPKT_PKT0_S8_ifPKiSA_SA_iPKfiiiPfSD_PS3_PT2_iSC_SC_:
	.asciz	"void paged_attention_ll4mi_QKV_mfma4_kernel(const scalar_t *__restrict, const cache_t *__restrict, const cache_t *__restrict, const int, const float, const int *__restrict, const int *__restrict, const int *__restrict, const int, const float *__restrict, const int, const int, const int, float *__restrict, float *__restrict, scalar_t *__restrict, OUTT *__restrict, int, const float *, const float *) [scalar_t = __hip_bfloat16, cache_t = unsigned char, KV_DTYPE = vllm::Fp8KVCacheDataType::kFp8E4M3, OUTT = unsigned char, BLOCK_SIZE = 32, HEAD_SIZE = 128, NUM_THREADS = 256, ALIBI_ENABLED = false, GQA_RATIO = 1]"
	.size	__PRETTY_FUNCTION__._Z38paged_attention_ll4mi_QKV_mfma4_kernelI14__hip_bfloat16hLN4vllm18Fp8KVCacheDataTypeE1EhLi32ELi128ELi256ELb0ELi1EEvPKT_PKT0_S8_ifPKiSA_SA_iPKfiiiPfSD_PS3_PT2_iSC_SC_, 614

	.type	__PRETTY_FUNCTION__._Z38paged_attention_ll4mi_QKV_mfma4_kernelI14__hip_bfloat16hLN4vllm18Fp8KVCacheDataTypeE1EhLi32ELi128ELi256ELb0ELi2EEvPKT_PKT0_S8_ifPKiSA_SA_iPKfiiiPfSD_PS3_PT2_iSC_SC_,@object ; @__PRETTY_FUNCTION__._Z38paged_attention_ll4mi_QKV_mfma4_kernelI14__hip_bfloat16hLN4vllm18Fp8KVCacheDataTypeE1EhLi32ELi128ELi256ELb0ELi2EEvPKT_PKT0_S8_ifPKiSA_SA_iPKfiiiPfSD_PS3_PT2_iSC_SC_
__PRETTY_FUNCTION__._Z38paged_attention_ll4mi_QKV_mfma4_kernelI14__hip_bfloat16hLN4vllm18Fp8KVCacheDataTypeE1EhLi32ELi128ELi256ELb0ELi2EEvPKT_PKT0_S8_ifPKiSA_SA_iPKfiiiPfSD_PS3_PT2_iSC_SC_:
	.asciz	"void paged_attention_ll4mi_QKV_mfma4_kernel(const scalar_t *__restrict, const cache_t *__restrict, const cache_t *__restrict, const int, const float, const int *__restrict, const int *__restrict, const int *__restrict, const int, const float *__restrict, const int, const int, const int, float *__restrict, float *__restrict, scalar_t *__restrict, OUTT *__restrict, int, const float *, const float *) [scalar_t = __hip_bfloat16, cache_t = unsigned char, KV_DTYPE = vllm::Fp8KVCacheDataType::kFp8E4M3, OUTT = unsigned char, BLOCK_SIZE = 32, HEAD_SIZE = 128, NUM_THREADS = 256, ALIBI_ENABLED = false, GQA_RATIO = 2]"
	.size	__PRETTY_FUNCTION__._Z38paged_attention_ll4mi_QKV_mfma4_kernelI14__hip_bfloat16hLN4vllm18Fp8KVCacheDataTypeE1EhLi32ELi128ELi256ELb0ELi2EEvPKT_PKT0_S8_ifPKiSA_SA_iPKfiiiPfSD_PS3_PT2_iSC_SC_, 614

	.type	__PRETTY_FUNCTION__._Z38paged_attention_ll4mi_QKV_mfma4_kernelI14__hip_bfloat16hLN4vllm18Fp8KVCacheDataTypeE1EhLi32ELi128ELi256ELb0ELi3EEvPKT_PKT0_S8_ifPKiSA_SA_iPKfiiiPfSD_PS3_PT2_iSC_SC_,@object ; @__PRETTY_FUNCTION__._Z38paged_attention_ll4mi_QKV_mfma4_kernelI14__hip_bfloat16hLN4vllm18Fp8KVCacheDataTypeE1EhLi32ELi128ELi256ELb0ELi3EEvPKT_PKT0_S8_ifPKiSA_SA_iPKfiiiPfSD_PS3_PT2_iSC_SC_
__PRETTY_FUNCTION__._Z38paged_attention_ll4mi_QKV_mfma4_kernelI14__hip_bfloat16hLN4vllm18Fp8KVCacheDataTypeE1EhLi32ELi128ELi256ELb0ELi3EEvPKT_PKT0_S8_ifPKiSA_SA_iPKfiiiPfSD_PS3_PT2_iSC_SC_:
	.asciz	"void paged_attention_ll4mi_QKV_mfma4_kernel(const scalar_t *__restrict, const cache_t *__restrict, const cache_t *__restrict, const int, const float, const int *__restrict, const int *__restrict, const int *__restrict, const int, const float *__restrict, const int, const int, const int, float *__restrict, float *__restrict, scalar_t *__restrict, OUTT *__restrict, int, const float *, const float *) [scalar_t = __hip_bfloat16, cache_t = unsigned char, KV_DTYPE = vllm::Fp8KVCacheDataType::kFp8E4M3, OUTT = unsigned char, BLOCK_SIZE = 32, HEAD_SIZE = 128, NUM_THREADS = 256, ALIBI_ENABLED = false, GQA_RATIO = 3]"
	.size	__PRETTY_FUNCTION__._Z38paged_attention_ll4mi_QKV_mfma4_kernelI14__hip_bfloat16hLN4vllm18Fp8KVCacheDataTypeE1EhLi32ELi128ELi256ELb0ELi3EEvPKT_PKT0_S8_ifPKiSA_SA_iPKfiiiPfSD_PS3_PT2_iSC_SC_, 614

	.type	__PRETTY_FUNCTION__._Z38paged_attention_ll4mi_QKV_mfma4_kernelI14__hip_bfloat16hLN4vllm18Fp8KVCacheDataTypeE1EhLi32ELi128ELi256ELb0ELi4EEvPKT_PKT0_S8_ifPKiSA_SA_iPKfiiiPfSD_PS3_PT2_iSC_SC_,@object ; @__PRETTY_FUNCTION__._Z38paged_attention_ll4mi_QKV_mfma4_kernelI14__hip_bfloat16hLN4vllm18Fp8KVCacheDataTypeE1EhLi32ELi128ELi256ELb0ELi4EEvPKT_PKT0_S8_ifPKiSA_SA_iPKfiiiPfSD_PS3_PT2_iSC_SC_
__PRETTY_FUNCTION__._Z38paged_attention_ll4mi_QKV_mfma4_kernelI14__hip_bfloat16hLN4vllm18Fp8KVCacheDataTypeE1EhLi32ELi128ELi256ELb0ELi4EEvPKT_PKT0_S8_ifPKiSA_SA_iPKfiiiPfSD_PS3_PT2_iSC_SC_:
	.asciz	"void paged_attention_ll4mi_QKV_mfma4_kernel(const scalar_t *__restrict, const cache_t *__restrict, const cache_t *__restrict, const int, const float, const int *__restrict, const int *__restrict, const int *__restrict, const int, const float *__restrict, const int, const int, const int, float *__restrict, float *__restrict, scalar_t *__restrict, OUTT *__restrict, int, const float *, const float *) [scalar_t = __hip_bfloat16, cache_t = unsigned char, KV_DTYPE = vllm::Fp8KVCacheDataType::kFp8E4M3, OUTT = unsigned char, BLOCK_SIZE = 32, HEAD_SIZE = 128, NUM_THREADS = 256, ALIBI_ENABLED = false, GQA_RATIO = 4]"
	.size	__PRETTY_FUNCTION__._Z38paged_attention_ll4mi_QKV_mfma4_kernelI14__hip_bfloat16hLN4vllm18Fp8KVCacheDataTypeE1EhLi32ELi128ELi256ELb0ELi4EEvPKT_PKT0_S8_ifPKiSA_SA_iPKfiiiPfSD_PS3_PT2_iSC_SC_, 614

	.type	__PRETTY_FUNCTION__._Z38paged_attention_ll4mi_QKV_mfma4_kernelI14__hip_bfloat16hLN4vllm18Fp8KVCacheDataTypeE1ES0_Li32ELi128ELi256ELb1ELi1EEvPKT_PKT0_S8_ifPKiSA_SA_iPKfiiiPfSD_PS3_PT2_iSC_SC_,@object ; @__PRETTY_FUNCTION__._Z38paged_attention_ll4mi_QKV_mfma4_kernelI14__hip_bfloat16hLN4vllm18Fp8KVCacheDataTypeE1ES0_Li32ELi128ELi256ELb1ELi1EEvPKT_PKT0_S8_ifPKiSA_SA_iPKfiiiPfSD_PS3_PT2_iSC_SC_
__PRETTY_FUNCTION__._Z38paged_attention_ll4mi_QKV_mfma4_kernelI14__hip_bfloat16hLN4vllm18Fp8KVCacheDataTypeE1ES0_Li32ELi128ELi256ELb1ELi1EEvPKT_PKT0_S8_ifPKiSA_SA_iPKfiiiPfSD_PS3_PT2_iSC_SC_:
	.asciz	"void paged_attention_ll4mi_QKV_mfma4_kernel(const scalar_t *__restrict, const cache_t *__restrict, const cache_t *__restrict, const int, const float, const int *__restrict, const int *__restrict, const int *__restrict, const int, const float *__restrict, const int, const int, const int, float *__restrict, float *__restrict, scalar_t *__restrict, OUTT *__restrict, int, const float *, const float *) [scalar_t = __hip_bfloat16, cache_t = unsigned char, KV_DTYPE = vllm::Fp8KVCacheDataType::kFp8E4M3, OUTT = __hip_bfloat16, BLOCK_SIZE = 32, HEAD_SIZE = 128, NUM_THREADS = 256, ALIBI_ENABLED = true, GQA_RATIO = 1]"
	.size	__PRETTY_FUNCTION__._Z38paged_attention_ll4mi_QKV_mfma4_kernelI14__hip_bfloat16hLN4vllm18Fp8KVCacheDataTypeE1ES0_Li32ELi128ELi256ELb1ELi1EEvPKT_PKT0_S8_ifPKiSA_SA_iPKfiiiPfSD_PS3_PT2_iSC_SC_, 614

	.type	__PRETTY_FUNCTION__._Z38paged_attention_ll4mi_QKV_mfma4_kernelI14__hip_bfloat16hLN4vllm18Fp8KVCacheDataTypeE1ES0_Li32ELi128ELi256ELb1ELi2EEvPKT_PKT0_S8_ifPKiSA_SA_iPKfiiiPfSD_PS3_PT2_iSC_SC_,@object ; @__PRETTY_FUNCTION__._Z38paged_attention_ll4mi_QKV_mfma4_kernelI14__hip_bfloat16hLN4vllm18Fp8KVCacheDataTypeE1ES0_Li32ELi128ELi256ELb1ELi2EEvPKT_PKT0_S8_ifPKiSA_SA_iPKfiiiPfSD_PS3_PT2_iSC_SC_
__PRETTY_FUNCTION__._Z38paged_attention_ll4mi_QKV_mfma4_kernelI14__hip_bfloat16hLN4vllm18Fp8KVCacheDataTypeE1ES0_Li32ELi128ELi256ELb1ELi2EEvPKT_PKT0_S8_ifPKiSA_SA_iPKfiiiPfSD_PS3_PT2_iSC_SC_:
	.asciz	"void paged_attention_ll4mi_QKV_mfma4_kernel(const scalar_t *__restrict, const cache_t *__restrict, const cache_t *__restrict, const int, const float, const int *__restrict, const int *__restrict, const int *__restrict, const int, const float *__restrict, const int, const int, const int, float *__restrict, float *__restrict, scalar_t *__restrict, OUTT *__restrict, int, const float *, const float *) [scalar_t = __hip_bfloat16, cache_t = unsigned char, KV_DTYPE = vllm::Fp8KVCacheDataType::kFp8E4M3, OUTT = __hip_bfloat16, BLOCK_SIZE = 32, HEAD_SIZE = 128, NUM_THREADS = 256, ALIBI_ENABLED = true, GQA_RATIO = 2]"
	.size	__PRETTY_FUNCTION__._Z38paged_attention_ll4mi_QKV_mfma4_kernelI14__hip_bfloat16hLN4vllm18Fp8KVCacheDataTypeE1ES0_Li32ELi128ELi256ELb1ELi2EEvPKT_PKT0_S8_ifPKiSA_SA_iPKfiiiPfSD_PS3_PT2_iSC_SC_, 614

	.type	__PRETTY_FUNCTION__._Z38paged_attention_ll4mi_QKV_mfma4_kernelI14__hip_bfloat16hLN4vllm18Fp8KVCacheDataTypeE1ES0_Li32ELi128ELi256ELb1ELi3EEvPKT_PKT0_S8_ifPKiSA_SA_iPKfiiiPfSD_PS3_PT2_iSC_SC_,@object ; @__PRETTY_FUNCTION__._Z38paged_attention_ll4mi_QKV_mfma4_kernelI14__hip_bfloat16hLN4vllm18Fp8KVCacheDataTypeE1ES0_Li32ELi128ELi256ELb1ELi3EEvPKT_PKT0_S8_ifPKiSA_SA_iPKfiiiPfSD_PS3_PT2_iSC_SC_
__PRETTY_FUNCTION__._Z38paged_attention_ll4mi_QKV_mfma4_kernelI14__hip_bfloat16hLN4vllm18Fp8KVCacheDataTypeE1ES0_Li32ELi128ELi256ELb1ELi3EEvPKT_PKT0_S8_ifPKiSA_SA_iPKfiiiPfSD_PS3_PT2_iSC_SC_:
	.asciz	"void paged_attention_ll4mi_QKV_mfma4_kernel(const scalar_t *__restrict, const cache_t *__restrict, const cache_t *__restrict, const int, const float, const int *__restrict, const int *__restrict, const int *__restrict, const int, const float *__restrict, const int, const int, const int, float *__restrict, float *__restrict, scalar_t *__restrict, OUTT *__restrict, int, const float *, const float *) [scalar_t = __hip_bfloat16, cache_t = unsigned char, KV_DTYPE = vllm::Fp8KVCacheDataType::kFp8E4M3, OUTT = __hip_bfloat16, BLOCK_SIZE = 32, HEAD_SIZE = 128, NUM_THREADS = 256, ALIBI_ENABLED = true, GQA_RATIO = 3]"
	.size	__PRETTY_FUNCTION__._Z38paged_attention_ll4mi_QKV_mfma4_kernelI14__hip_bfloat16hLN4vllm18Fp8KVCacheDataTypeE1ES0_Li32ELi128ELi256ELb1ELi3EEvPKT_PKT0_S8_ifPKiSA_SA_iPKfiiiPfSD_PS3_PT2_iSC_SC_, 614

	.type	__PRETTY_FUNCTION__._Z38paged_attention_ll4mi_QKV_mfma4_kernelI14__hip_bfloat16hLN4vllm18Fp8KVCacheDataTypeE1ES0_Li32ELi128ELi256ELb1ELi4EEvPKT_PKT0_S8_ifPKiSA_SA_iPKfiiiPfSD_PS3_PT2_iSC_SC_,@object ; @__PRETTY_FUNCTION__._Z38paged_attention_ll4mi_QKV_mfma4_kernelI14__hip_bfloat16hLN4vllm18Fp8KVCacheDataTypeE1ES0_Li32ELi128ELi256ELb1ELi4EEvPKT_PKT0_S8_ifPKiSA_SA_iPKfiiiPfSD_PS3_PT2_iSC_SC_
__PRETTY_FUNCTION__._Z38paged_attention_ll4mi_QKV_mfma4_kernelI14__hip_bfloat16hLN4vllm18Fp8KVCacheDataTypeE1ES0_Li32ELi128ELi256ELb1ELi4EEvPKT_PKT0_S8_ifPKiSA_SA_iPKfiiiPfSD_PS3_PT2_iSC_SC_:
	.asciz	"void paged_attention_ll4mi_QKV_mfma4_kernel(const scalar_t *__restrict, const cache_t *__restrict, const cache_t *__restrict, const int, const float, const int *__restrict, const int *__restrict, const int *__restrict, const int, const float *__restrict, const int, const int, const int, float *__restrict, float *__restrict, scalar_t *__restrict, OUTT *__restrict, int, const float *, const float *) [scalar_t = __hip_bfloat16, cache_t = unsigned char, KV_DTYPE = vllm::Fp8KVCacheDataType::kFp8E4M3, OUTT = __hip_bfloat16, BLOCK_SIZE = 32, HEAD_SIZE = 128, NUM_THREADS = 256, ALIBI_ENABLED = true, GQA_RATIO = 4]"
	.size	__PRETTY_FUNCTION__._Z38paged_attention_ll4mi_QKV_mfma4_kernelI14__hip_bfloat16hLN4vllm18Fp8KVCacheDataTypeE1ES0_Li32ELi128ELi256ELb1ELi4EEvPKT_PKT0_S8_ifPKiSA_SA_iPKfiiiPfSD_PS3_PT2_iSC_SC_, 614

	.type	__PRETTY_FUNCTION__._Z38paged_attention_ll4mi_QKV_mfma4_kernelI14__hip_bfloat16hLN4vllm18Fp8KVCacheDataTypeE1ES0_Li32ELi128ELi256ELb0ELi1EEvPKT_PKT0_S8_ifPKiSA_SA_iPKfiiiPfSD_PS3_PT2_iSC_SC_,@object ; @__PRETTY_FUNCTION__._Z38paged_attention_ll4mi_QKV_mfma4_kernelI14__hip_bfloat16hLN4vllm18Fp8KVCacheDataTypeE1ES0_Li32ELi128ELi256ELb0ELi1EEvPKT_PKT0_S8_ifPKiSA_SA_iPKfiiiPfSD_PS3_PT2_iSC_SC_
__PRETTY_FUNCTION__._Z38paged_attention_ll4mi_QKV_mfma4_kernelI14__hip_bfloat16hLN4vllm18Fp8KVCacheDataTypeE1ES0_Li32ELi128ELi256ELb0ELi1EEvPKT_PKT0_S8_ifPKiSA_SA_iPKfiiiPfSD_PS3_PT2_iSC_SC_:
	.asciz	"void paged_attention_ll4mi_QKV_mfma4_kernel(const scalar_t *__restrict, const cache_t *__restrict, const cache_t *__restrict, const int, const float, const int *__restrict, const int *__restrict, const int *__restrict, const int, const float *__restrict, const int, const int, const int, float *__restrict, float *__restrict, scalar_t *__restrict, OUTT *__restrict, int, const float *, const float *) [scalar_t = __hip_bfloat16, cache_t = unsigned char, KV_DTYPE = vllm::Fp8KVCacheDataType::kFp8E4M3, OUTT = __hip_bfloat16, BLOCK_SIZE = 32, HEAD_SIZE = 128, NUM_THREADS = 256, ALIBI_ENABLED = false, GQA_RATIO = 1]"
	.size	__PRETTY_FUNCTION__._Z38paged_attention_ll4mi_QKV_mfma4_kernelI14__hip_bfloat16hLN4vllm18Fp8KVCacheDataTypeE1ES0_Li32ELi128ELi256ELb0ELi1EEvPKT_PKT0_S8_ifPKiSA_SA_iPKfiiiPfSD_PS3_PT2_iSC_SC_, 615

	.type	__PRETTY_FUNCTION__._Z38paged_attention_ll4mi_QKV_mfma4_kernelI14__hip_bfloat16hLN4vllm18Fp8KVCacheDataTypeE1ES0_Li32ELi128ELi256ELb0ELi2EEvPKT_PKT0_S8_ifPKiSA_SA_iPKfiiiPfSD_PS3_PT2_iSC_SC_,@object ; @__PRETTY_FUNCTION__._Z38paged_attention_ll4mi_QKV_mfma4_kernelI14__hip_bfloat16hLN4vllm18Fp8KVCacheDataTypeE1ES0_Li32ELi128ELi256ELb0ELi2EEvPKT_PKT0_S8_ifPKiSA_SA_iPKfiiiPfSD_PS3_PT2_iSC_SC_
__PRETTY_FUNCTION__._Z38paged_attention_ll4mi_QKV_mfma4_kernelI14__hip_bfloat16hLN4vllm18Fp8KVCacheDataTypeE1ES0_Li32ELi128ELi256ELb0ELi2EEvPKT_PKT0_S8_ifPKiSA_SA_iPKfiiiPfSD_PS3_PT2_iSC_SC_:
	.asciz	"void paged_attention_ll4mi_QKV_mfma4_kernel(const scalar_t *__restrict, const cache_t *__restrict, const cache_t *__restrict, const int, const float, const int *__restrict, const int *__restrict, const int *__restrict, const int, const float *__restrict, const int, const int, const int, float *__restrict, float *__restrict, scalar_t *__restrict, OUTT *__restrict, int, const float *, const float *) [scalar_t = __hip_bfloat16, cache_t = unsigned char, KV_DTYPE = vllm::Fp8KVCacheDataType::kFp8E4M3, OUTT = __hip_bfloat16, BLOCK_SIZE = 32, HEAD_SIZE = 128, NUM_THREADS = 256, ALIBI_ENABLED = false, GQA_RATIO = 2]"
	.size	__PRETTY_FUNCTION__._Z38paged_attention_ll4mi_QKV_mfma4_kernelI14__hip_bfloat16hLN4vllm18Fp8KVCacheDataTypeE1ES0_Li32ELi128ELi256ELb0ELi2EEvPKT_PKT0_S8_ifPKiSA_SA_iPKfiiiPfSD_PS3_PT2_iSC_SC_, 615

	.type	__PRETTY_FUNCTION__._Z38paged_attention_ll4mi_QKV_mfma4_kernelI14__hip_bfloat16hLN4vllm18Fp8KVCacheDataTypeE1ES0_Li32ELi128ELi256ELb0ELi3EEvPKT_PKT0_S8_ifPKiSA_SA_iPKfiiiPfSD_PS3_PT2_iSC_SC_,@object ; @__PRETTY_FUNCTION__._Z38paged_attention_ll4mi_QKV_mfma4_kernelI14__hip_bfloat16hLN4vllm18Fp8KVCacheDataTypeE1ES0_Li32ELi128ELi256ELb0ELi3EEvPKT_PKT0_S8_ifPKiSA_SA_iPKfiiiPfSD_PS3_PT2_iSC_SC_
__PRETTY_FUNCTION__._Z38paged_attention_ll4mi_QKV_mfma4_kernelI14__hip_bfloat16hLN4vllm18Fp8KVCacheDataTypeE1ES0_Li32ELi128ELi256ELb0ELi3EEvPKT_PKT0_S8_ifPKiSA_SA_iPKfiiiPfSD_PS3_PT2_iSC_SC_:
	.asciz	"void paged_attention_ll4mi_QKV_mfma4_kernel(const scalar_t *__restrict, const cache_t *__restrict, const cache_t *__restrict, const int, const float, const int *__restrict, const int *__restrict, const int *__restrict, const int, const float *__restrict, const int, const int, const int, float *__restrict, float *__restrict, scalar_t *__restrict, OUTT *__restrict, int, const float *, const float *) [scalar_t = __hip_bfloat16, cache_t = unsigned char, KV_DTYPE = vllm::Fp8KVCacheDataType::kFp8E4M3, OUTT = __hip_bfloat16, BLOCK_SIZE = 32, HEAD_SIZE = 128, NUM_THREADS = 256, ALIBI_ENABLED = false, GQA_RATIO = 3]"
	.size	__PRETTY_FUNCTION__._Z38paged_attention_ll4mi_QKV_mfma4_kernelI14__hip_bfloat16hLN4vllm18Fp8KVCacheDataTypeE1ES0_Li32ELi128ELi256ELb0ELi3EEvPKT_PKT0_S8_ifPKiSA_SA_iPKfiiiPfSD_PS3_PT2_iSC_SC_, 615

	.type	__PRETTY_FUNCTION__._Z38paged_attention_ll4mi_QKV_mfma4_kernelI14__hip_bfloat16hLN4vllm18Fp8KVCacheDataTypeE1ES0_Li32ELi128ELi256ELb0ELi4EEvPKT_PKT0_S8_ifPKiSA_SA_iPKfiiiPfSD_PS3_PT2_iSC_SC_,@object ; @__PRETTY_FUNCTION__._Z38paged_attention_ll4mi_QKV_mfma4_kernelI14__hip_bfloat16hLN4vllm18Fp8KVCacheDataTypeE1ES0_Li32ELi128ELi256ELb0ELi4EEvPKT_PKT0_S8_ifPKiSA_SA_iPKfiiiPfSD_PS3_PT2_iSC_SC_
__PRETTY_FUNCTION__._Z38paged_attention_ll4mi_QKV_mfma4_kernelI14__hip_bfloat16hLN4vllm18Fp8KVCacheDataTypeE1ES0_Li32ELi128ELi256ELb0ELi4EEvPKT_PKT0_S8_ifPKiSA_SA_iPKfiiiPfSD_PS3_PT2_iSC_SC_:
	.asciz	"void paged_attention_ll4mi_QKV_mfma4_kernel(const scalar_t *__restrict, const cache_t *__restrict, const cache_t *__restrict, const int, const float, const int *__restrict, const int *__restrict, const int *__restrict, const int, const float *__restrict, const int, const int, const int, float *__restrict, float *__restrict, scalar_t *__restrict, OUTT *__restrict, int, const float *, const float *) [scalar_t = __hip_bfloat16, cache_t = unsigned char, KV_DTYPE = vllm::Fp8KVCacheDataType::kFp8E4M3, OUTT = __hip_bfloat16, BLOCK_SIZE = 32, HEAD_SIZE = 128, NUM_THREADS = 256, ALIBI_ENABLED = false, GQA_RATIO = 4]"
	.size	__PRETTY_FUNCTION__._Z38paged_attention_ll4mi_QKV_mfma4_kernelI14__hip_bfloat16hLN4vllm18Fp8KVCacheDataTypeE1ES0_Li32ELi128ELi256ELb0ELi4EEvPKT_PKT0_S8_ifPKiSA_SA_iPKfiiiPfSD_PS3_PT2_iSC_SC_, 615

	.type	__hip_cuid_2571d43ef8183cce,@object ; @__hip_cuid_2571d43ef8183cce
	.section	.bss,"aw",@nobits
	.globl	__hip_cuid_2571d43ef8183cce
__hip_cuid_2571d43ef8183cce:
	.byte	0                               ; 0x0
	.size	__hip_cuid_2571d43ef8183cce, 1

	.ident	"AMD clang version 19.0.0git (https://github.com/RadeonOpenCompute/llvm-project roc-6.4.0 25133 c7fe45cf4b819c5991fe208aaa96edf142730f1d)"
	.section	".note.GNU-stack","",@progbits
	.addrsig
	.addrsig_sym __hip_cuid_2571d43ef8183cce
	.amdgpu_metadata
---
amdhsa.kernels:
  - .args:
      - .actual_access:  read_only
        .address_space:  global
        .offset:         0
        .size:           8
        .value_kind:     global_buffer
      - .actual_access:  read_only
        .address_space:  global
        .offset:         8
        .size:           8
        .value_kind:     global_buffer
      - .actual_access:  read_only
        .address_space:  global
        .offset:         16
        .size:           8
        .value_kind:     global_buffer
      - .offset:         24
        .size:           4
        .value_kind:     by_value
      - .offset:         28
        .size:           4
        .value_kind:     by_value
      - .actual_access:  read_only
        .address_space:  global
        .offset:         32
        .size:           8
        .value_kind:     global_buffer
      - .actual_access:  read_only
        .address_space:  global
        .offset:         40
        .size:           8
        .value_kind:     global_buffer
      - .actual_access:  read_only
        .address_space:  global
        .offset:         48
        .size:           8
        .value_kind:     global_buffer
      - .offset:         56
        .size:           4
        .value_kind:     by_value
      - .actual_access:  read_only
        .address_space:  global
        .offset:         64
        .size:           8
        .value_kind:     global_buffer
      - .offset:         72
        .size:           4
        .value_kind:     by_value
      - .offset:         76
        .size:           4
        .value_kind:     by_value
      - .offset:         80
        .size:           4
        .value_kind:     by_value
      - .actual_access:  read_only
        .address_space:  global
        .offset:         88
        .size:           8
        .value_kind:     global_buffer
      - .actual_access:  read_only
        .address_space:  global
        .offset:         96
        .size:           8
        .value_kind:     global_buffer
      - .actual_access:  read_only
        .address_space:  global
        .offset:         104
        .size:           8
        .value_kind:     global_buffer
      - .actual_access:  read_only
        .address_space:  global
        .offset:         112
        .size:           8
        .value_kind:     global_buffer
      - .offset:         120
        .size:           4
        .value_kind:     by_value
      - .address_space:  global
        .offset:         128
        .size:           8
        .value_kind:     global_buffer
      - .address_space:  global
        .offset:         136
        .size:           8
        .value_kind:     global_buffer
      - .offset:         144
        .size:           4
        .value_kind:     hidden_block_count_x
      - .offset:         148
        .size:           4
        .value_kind:     hidden_block_count_y
      - .offset:         152
        .size:           4
        .value_kind:     hidden_block_count_z
      - .offset:         156
        .size:           2
        .value_kind:     hidden_group_size_x
      - .offset:         158
        .size:           2
        .value_kind:     hidden_group_size_y
      - .offset:         160
        .size:           2
        .value_kind:     hidden_group_size_z
      - .offset:         162
        .size:           2
        .value_kind:     hidden_remainder_x
      - .offset:         164
        .size:           2
        .value_kind:     hidden_remainder_y
      - .offset:         166
        .size:           2
        .value_kind:     hidden_remainder_z
      - .offset:         184
        .size:           8
        .value_kind:     hidden_global_offset_x
      - .offset:         192
        .size:           8
        .value_kind:     hidden_global_offset_y
      - .offset:         200
        .size:           8
        .value_kind:     hidden_global_offset_z
      - .offset:         208
        .size:           2
        .value_kind:     hidden_grid_dims
      - .offset:         224
        .size:           8
        .value_kind:     hidden_hostcall_buffer
    .group_segment_fixed_size: 0
    .kernarg_segment_align: 8
    .kernarg_segment_size: 400
    .language:       OpenCL C
    .language_version:
      - 2
      - 0
    .max_flat_workgroup_size: 256
    .name:           _Z38paged_attention_ll4mi_QKV_mfma4_kernelIDF16_DF16_LN4vllm18Fp8KVCacheDataTypeE0EhLi16ELi64ELi256ELb1ELi1EEvPKT_PKT0_S7_ifPKiS9_S9_iPKfiiiPfSC_PS2_PT2_iSB_SB_
    .private_segment_fixed_size: 64
    .sgpr_count:     36
    .sgpr_spill_count: 0
    .symbol:         _Z38paged_attention_ll4mi_QKV_mfma4_kernelIDF16_DF16_LN4vllm18Fp8KVCacheDataTypeE0EhLi16ELi64ELi256ELb1ELi1EEvPKT_PKT0_S7_ifPKiS9_S9_iPKfiiiPfSC_PS2_PT2_iSB_SB_.kd
    .uniform_work_group_size: 1
    .uses_dynamic_stack: false
    .vgpr_count:     41
    .vgpr_spill_count: 0
    .wavefront_size: 32
    .workgroup_processor_mode: 1
  - .args:
      - .actual_access:  read_only
        .address_space:  global
        .offset:         0
        .size:           8
        .value_kind:     global_buffer
      - .actual_access:  read_only
        .address_space:  global
        .offset:         8
        .size:           8
        .value_kind:     global_buffer
      - .actual_access:  read_only
        .address_space:  global
        .offset:         16
        .size:           8
        .value_kind:     global_buffer
      - .offset:         24
        .size:           4
        .value_kind:     by_value
      - .offset:         28
        .size:           4
        .value_kind:     by_value
      - .actual_access:  read_only
        .address_space:  global
        .offset:         32
        .size:           8
        .value_kind:     global_buffer
      - .actual_access:  read_only
        .address_space:  global
        .offset:         40
        .size:           8
        .value_kind:     global_buffer
      - .actual_access:  read_only
        .address_space:  global
        .offset:         48
        .size:           8
        .value_kind:     global_buffer
      - .offset:         56
        .size:           4
        .value_kind:     by_value
      - .actual_access:  read_only
        .address_space:  global
        .offset:         64
        .size:           8
        .value_kind:     global_buffer
      - .offset:         72
        .size:           4
        .value_kind:     by_value
      - .offset:         76
        .size:           4
        .value_kind:     by_value
      - .offset:         80
        .size:           4
        .value_kind:     by_value
      - .actual_access:  read_only
        .address_space:  global
        .offset:         88
        .size:           8
        .value_kind:     global_buffer
      - .actual_access:  read_only
        .address_space:  global
        .offset:         96
        .size:           8
        .value_kind:     global_buffer
      - .actual_access:  read_only
        .address_space:  global
        .offset:         104
        .size:           8
        .value_kind:     global_buffer
      - .actual_access:  read_only
        .address_space:  global
        .offset:         112
        .size:           8
        .value_kind:     global_buffer
      - .offset:         120
        .size:           4
        .value_kind:     by_value
      - .address_space:  global
        .offset:         128
        .size:           8
        .value_kind:     global_buffer
      - .address_space:  global
        .offset:         136
        .size:           8
        .value_kind:     global_buffer
      - .offset:         144
        .size:           4
        .value_kind:     hidden_block_count_x
      - .offset:         148
        .size:           4
        .value_kind:     hidden_block_count_y
      - .offset:         152
        .size:           4
        .value_kind:     hidden_block_count_z
      - .offset:         156
        .size:           2
        .value_kind:     hidden_group_size_x
      - .offset:         158
        .size:           2
        .value_kind:     hidden_group_size_y
      - .offset:         160
        .size:           2
        .value_kind:     hidden_group_size_z
      - .offset:         162
        .size:           2
        .value_kind:     hidden_remainder_x
      - .offset:         164
        .size:           2
        .value_kind:     hidden_remainder_y
      - .offset:         166
        .size:           2
        .value_kind:     hidden_remainder_z
      - .offset:         184
        .size:           8
        .value_kind:     hidden_global_offset_x
      - .offset:         192
        .size:           8
        .value_kind:     hidden_global_offset_y
      - .offset:         200
        .size:           8
        .value_kind:     hidden_global_offset_z
      - .offset:         208
        .size:           2
        .value_kind:     hidden_grid_dims
      - .offset:         224
        .size:           8
        .value_kind:     hidden_hostcall_buffer
    .group_segment_fixed_size: 0
    .kernarg_segment_align: 8
    .kernarg_segment_size: 400
    .language:       OpenCL C
    .language_version:
      - 2
      - 0
    .max_flat_workgroup_size: 256
    .name:           _Z38paged_attention_ll4mi_QKV_mfma4_kernelIDF16_DF16_LN4vllm18Fp8KVCacheDataTypeE0EhLi16ELi64ELi256ELb1ELi2EEvPKT_PKT0_S7_ifPKiS9_S9_iPKfiiiPfSC_PS2_PT2_iSB_SB_
    .private_segment_fixed_size: 64
    .sgpr_count:     36
    .sgpr_spill_count: 0
    .symbol:         _Z38paged_attention_ll4mi_QKV_mfma4_kernelIDF16_DF16_LN4vllm18Fp8KVCacheDataTypeE0EhLi16ELi64ELi256ELb1ELi2EEvPKT_PKT0_S7_ifPKiS9_S9_iPKfiiiPfSC_PS2_PT2_iSB_SB_.kd
    .uniform_work_group_size: 1
    .uses_dynamic_stack: false
    .vgpr_count:     41
    .vgpr_spill_count: 0
    .wavefront_size: 32
    .workgroup_processor_mode: 1
  - .args:
      - .actual_access:  read_only
        .address_space:  global
        .offset:         0
        .size:           8
        .value_kind:     global_buffer
      - .actual_access:  read_only
        .address_space:  global
        .offset:         8
        .size:           8
        .value_kind:     global_buffer
      - .actual_access:  read_only
        .address_space:  global
        .offset:         16
        .size:           8
        .value_kind:     global_buffer
      - .offset:         24
        .size:           4
        .value_kind:     by_value
      - .offset:         28
        .size:           4
        .value_kind:     by_value
      - .actual_access:  read_only
        .address_space:  global
        .offset:         32
        .size:           8
        .value_kind:     global_buffer
      - .actual_access:  read_only
        .address_space:  global
        .offset:         40
        .size:           8
        .value_kind:     global_buffer
      - .actual_access:  read_only
        .address_space:  global
        .offset:         48
        .size:           8
        .value_kind:     global_buffer
      - .offset:         56
        .size:           4
        .value_kind:     by_value
      - .actual_access:  read_only
        .address_space:  global
        .offset:         64
        .size:           8
        .value_kind:     global_buffer
      - .offset:         72
        .size:           4
        .value_kind:     by_value
      - .offset:         76
        .size:           4
        .value_kind:     by_value
      - .offset:         80
        .size:           4
        .value_kind:     by_value
      - .actual_access:  read_only
        .address_space:  global
        .offset:         88
        .size:           8
        .value_kind:     global_buffer
      - .actual_access:  read_only
        .address_space:  global
        .offset:         96
        .size:           8
        .value_kind:     global_buffer
      - .actual_access:  read_only
        .address_space:  global
        .offset:         104
        .size:           8
        .value_kind:     global_buffer
      - .actual_access:  read_only
        .address_space:  global
        .offset:         112
        .size:           8
        .value_kind:     global_buffer
      - .offset:         120
        .size:           4
        .value_kind:     by_value
      - .address_space:  global
        .offset:         128
        .size:           8
        .value_kind:     global_buffer
      - .address_space:  global
        .offset:         136
        .size:           8
        .value_kind:     global_buffer
      - .offset:         144
        .size:           4
        .value_kind:     hidden_block_count_x
      - .offset:         148
        .size:           4
        .value_kind:     hidden_block_count_y
      - .offset:         152
        .size:           4
        .value_kind:     hidden_block_count_z
      - .offset:         156
        .size:           2
        .value_kind:     hidden_group_size_x
      - .offset:         158
        .size:           2
        .value_kind:     hidden_group_size_y
      - .offset:         160
        .size:           2
        .value_kind:     hidden_group_size_z
      - .offset:         162
        .size:           2
        .value_kind:     hidden_remainder_x
      - .offset:         164
        .size:           2
        .value_kind:     hidden_remainder_y
      - .offset:         166
        .size:           2
        .value_kind:     hidden_remainder_z
      - .offset:         184
        .size:           8
        .value_kind:     hidden_global_offset_x
      - .offset:         192
        .size:           8
        .value_kind:     hidden_global_offset_y
      - .offset:         200
        .size:           8
        .value_kind:     hidden_global_offset_z
      - .offset:         208
        .size:           2
        .value_kind:     hidden_grid_dims
      - .offset:         224
        .size:           8
        .value_kind:     hidden_hostcall_buffer
    .group_segment_fixed_size: 0
    .kernarg_segment_align: 8
    .kernarg_segment_size: 400
    .language:       OpenCL C
    .language_version:
      - 2
      - 0
    .max_flat_workgroup_size: 256
    .name:           _Z38paged_attention_ll4mi_QKV_mfma4_kernelIDF16_DF16_LN4vllm18Fp8KVCacheDataTypeE0EhLi16ELi64ELi256ELb1ELi3EEvPKT_PKT0_S7_ifPKiS9_S9_iPKfiiiPfSC_PS2_PT2_iSB_SB_
    .private_segment_fixed_size: 64
    .sgpr_count:     36
    .sgpr_spill_count: 0
    .symbol:         _Z38paged_attention_ll4mi_QKV_mfma4_kernelIDF16_DF16_LN4vllm18Fp8KVCacheDataTypeE0EhLi16ELi64ELi256ELb1ELi3EEvPKT_PKT0_S7_ifPKiS9_S9_iPKfiiiPfSC_PS2_PT2_iSB_SB_.kd
    .uniform_work_group_size: 1
    .uses_dynamic_stack: false
    .vgpr_count:     41
    .vgpr_spill_count: 0
    .wavefront_size: 32
    .workgroup_processor_mode: 1
  - .args:
      - .actual_access:  read_only
        .address_space:  global
        .offset:         0
        .size:           8
        .value_kind:     global_buffer
      - .actual_access:  read_only
        .address_space:  global
        .offset:         8
        .size:           8
        .value_kind:     global_buffer
      - .actual_access:  read_only
        .address_space:  global
        .offset:         16
        .size:           8
        .value_kind:     global_buffer
      - .offset:         24
        .size:           4
        .value_kind:     by_value
      - .offset:         28
        .size:           4
        .value_kind:     by_value
      - .actual_access:  read_only
        .address_space:  global
        .offset:         32
        .size:           8
        .value_kind:     global_buffer
      - .actual_access:  read_only
        .address_space:  global
        .offset:         40
        .size:           8
        .value_kind:     global_buffer
      - .actual_access:  read_only
        .address_space:  global
        .offset:         48
        .size:           8
        .value_kind:     global_buffer
      - .offset:         56
        .size:           4
        .value_kind:     by_value
      - .actual_access:  read_only
        .address_space:  global
        .offset:         64
        .size:           8
        .value_kind:     global_buffer
      - .offset:         72
        .size:           4
        .value_kind:     by_value
      - .offset:         76
        .size:           4
        .value_kind:     by_value
      - .offset:         80
        .size:           4
        .value_kind:     by_value
      - .actual_access:  read_only
        .address_space:  global
        .offset:         88
        .size:           8
        .value_kind:     global_buffer
      - .actual_access:  read_only
        .address_space:  global
        .offset:         96
        .size:           8
        .value_kind:     global_buffer
      - .actual_access:  read_only
        .address_space:  global
        .offset:         104
        .size:           8
        .value_kind:     global_buffer
      - .actual_access:  read_only
        .address_space:  global
        .offset:         112
        .size:           8
        .value_kind:     global_buffer
      - .offset:         120
        .size:           4
        .value_kind:     by_value
      - .address_space:  global
        .offset:         128
        .size:           8
        .value_kind:     global_buffer
      - .address_space:  global
        .offset:         136
        .size:           8
        .value_kind:     global_buffer
      - .offset:         144
        .size:           4
        .value_kind:     hidden_block_count_x
      - .offset:         148
        .size:           4
        .value_kind:     hidden_block_count_y
      - .offset:         152
        .size:           4
        .value_kind:     hidden_block_count_z
      - .offset:         156
        .size:           2
        .value_kind:     hidden_group_size_x
      - .offset:         158
        .size:           2
        .value_kind:     hidden_group_size_y
      - .offset:         160
        .size:           2
        .value_kind:     hidden_group_size_z
      - .offset:         162
        .size:           2
        .value_kind:     hidden_remainder_x
      - .offset:         164
        .size:           2
        .value_kind:     hidden_remainder_y
      - .offset:         166
        .size:           2
        .value_kind:     hidden_remainder_z
      - .offset:         184
        .size:           8
        .value_kind:     hidden_global_offset_x
      - .offset:         192
        .size:           8
        .value_kind:     hidden_global_offset_y
      - .offset:         200
        .size:           8
        .value_kind:     hidden_global_offset_z
      - .offset:         208
        .size:           2
        .value_kind:     hidden_grid_dims
      - .offset:         224
        .size:           8
        .value_kind:     hidden_hostcall_buffer
    .group_segment_fixed_size: 0
    .kernarg_segment_align: 8
    .kernarg_segment_size: 400
    .language:       OpenCL C
    .language_version:
      - 2
      - 0
    .max_flat_workgroup_size: 256
    .name:           _Z38paged_attention_ll4mi_QKV_mfma4_kernelIDF16_DF16_LN4vllm18Fp8KVCacheDataTypeE0EhLi16ELi64ELi256ELb1ELi4EEvPKT_PKT0_S7_ifPKiS9_S9_iPKfiiiPfSC_PS2_PT2_iSB_SB_
    .private_segment_fixed_size: 64
    .sgpr_count:     36
    .sgpr_spill_count: 0
    .symbol:         _Z38paged_attention_ll4mi_QKV_mfma4_kernelIDF16_DF16_LN4vllm18Fp8KVCacheDataTypeE0EhLi16ELi64ELi256ELb1ELi4EEvPKT_PKT0_S7_ifPKiS9_S9_iPKfiiiPfSC_PS2_PT2_iSB_SB_.kd
    .uniform_work_group_size: 1
    .uses_dynamic_stack: false
    .vgpr_count:     41
    .vgpr_spill_count: 0
    .wavefront_size: 32
    .workgroup_processor_mode: 1
  - .args:
      - .actual_access:  read_only
        .address_space:  global
        .offset:         0
        .size:           8
        .value_kind:     global_buffer
      - .actual_access:  read_only
        .address_space:  global
        .offset:         8
        .size:           8
        .value_kind:     global_buffer
      - .actual_access:  read_only
        .address_space:  global
        .offset:         16
        .size:           8
        .value_kind:     global_buffer
      - .offset:         24
        .size:           4
        .value_kind:     by_value
      - .offset:         28
        .size:           4
        .value_kind:     by_value
      - .actual_access:  read_only
        .address_space:  global
        .offset:         32
        .size:           8
        .value_kind:     global_buffer
      - .actual_access:  read_only
        .address_space:  global
        .offset:         40
        .size:           8
        .value_kind:     global_buffer
      - .actual_access:  read_only
        .address_space:  global
        .offset:         48
        .size:           8
        .value_kind:     global_buffer
      - .offset:         56
        .size:           4
        .value_kind:     by_value
      - .actual_access:  read_only
        .address_space:  global
        .offset:         64
        .size:           8
        .value_kind:     global_buffer
      - .offset:         72
        .size:           4
        .value_kind:     by_value
      - .offset:         76
        .size:           4
        .value_kind:     by_value
      - .offset:         80
        .size:           4
        .value_kind:     by_value
      - .actual_access:  write_only
        .address_space:  global
        .offset:         88
        .size:           8
        .value_kind:     global_buffer
      - .actual_access:  write_only
        .address_space:  global
        .offset:         96
        .size:           8
        .value_kind:     global_buffer
      - .actual_access:  write_only
        .address_space:  global
        .offset:         104
        .size:           8
        .value_kind:     global_buffer
      - .actual_access:  read_only
        .address_space:  global
        .offset:         112
        .size:           8
        .value_kind:     global_buffer
      - .offset:         120
        .size:           4
        .value_kind:     by_value
      - .address_space:  global
        .offset:         128
        .size:           8
        .value_kind:     global_buffer
      - .address_space:  global
        .offset:         136
        .size:           8
        .value_kind:     global_buffer
      - .offset:         144
        .size:           4
        .value_kind:     hidden_block_count_x
      - .offset:         148
        .size:           4
        .value_kind:     hidden_block_count_y
      - .offset:         152
        .size:           4
        .value_kind:     hidden_block_count_z
      - .offset:         156
        .size:           2
        .value_kind:     hidden_group_size_x
      - .offset:         158
        .size:           2
        .value_kind:     hidden_group_size_y
      - .offset:         160
        .size:           2
        .value_kind:     hidden_group_size_z
      - .offset:         162
        .size:           2
        .value_kind:     hidden_remainder_x
      - .offset:         164
        .size:           2
        .value_kind:     hidden_remainder_y
      - .offset:         166
        .size:           2
        .value_kind:     hidden_remainder_z
      - .offset:         184
        .size:           8
        .value_kind:     hidden_global_offset_x
      - .offset:         192
        .size:           8
        .value_kind:     hidden_global_offset_y
      - .offset:         200
        .size:           8
        .value_kind:     hidden_global_offset_z
      - .offset:         208
        .size:           2
        .value_kind:     hidden_grid_dims
    .group_segment_fixed_size: 17472
    .kernarg_segment_align: 8
    .kernarg_segment_size: 400
    .language:       OpenCL C
    .language_version:
      - 2
      - 0
    .max_flat_workgroup_size: 256
    .name:           _Z39paged_attention_ll4mi_QKV_mfma16_kernelIDF16_DF16_LN4vllm18Fp8KVCacheDataTypeE0EhLi16ELi64ELi256ELb1ELi5EL8MFMAType0EEvPKT_PKT0_S8_ifPKiSA_SA_iPKfiiiPfSD_PS3_PT2_iSC_SC_
    .private_segment_fixed_size: 0
    .sgpr_count:     54
    .sgpr_spill_count: 0
    .symbol:         _Z39paged_attention_ll4mi_QKV_mfma16_kernelIDF16_DF16_LN4vllm18Fp8KVCacheDataTypeE0EhLi16ELi64ELi256ELb1ELi5EL8MFMAType0EEvPKT_PKT0_S8_ifPKiSA_SA_iPKfiiiPfSD_PS3_PT2_iSC_SC_.kd
    .uniform_work_group_size: 1
    .uses_dynamic_stack: false
    .vgpr_count:     198
    .vgpr_spill_count: 0
    .wavefront_size: 32
    .workgroup_processor_mode: 1
  - .args:
      - .actual_access:  read_only
        .address_space:  global
        .offset:         0
        .size:           8
        .value_kind:     global_buffer
      - .actual_access:  read_only
        .address_space:  global
        .offset:         8
        .size:           8
        .value_kind:     global_buffer
      - .actual_access:  read_only
        .address_space:  global
        .offset:         16
        .size:           8
        .value_kind:     global_buffer
      - .offset:         24
        .size:           4
        .value_kind:     by_value
      - .offset:         28
        .size:           4
        .value_kind:     by_value
      - .actual_access:  read_only
        .address_space:  global
        .offset:         32
        .size:           8
        .value_kind:     global_buffer
      - .actual_access:  read_only
        .address_space:  global
        .offset:         40
        .size:           8
        .value_kind:     global_buffer
      - .actual_access:  read_only
        .address_space:  global
        .offset:         48
        .size:           8
        .value_kind:     global_buffer
      - .offset:         56
        .size:           4
        .value_kind:     by_value
      - .actual_access:  read_only
        .address_space:  global
        .offset:         64
        .size:           8
        .value_kind:     global_buffer
      - .offset:         72
        .size:           4
        .value_kind:     by_value
      - .offset:         76
        .size:           4
        .value_kind:     by_value
      - .offset:         80
        .size:           4
        .value_kind:     by_value
      - .actual_access:  write_only
        .address_space:  global
        .offset:         88
        .size:           8
        .value_kind:     global_buffer
      - .actual_access:  write_only
        .address_space:  global
        .offset:         96
        .size:           8
        .value_kind:     global_buffer
      - .actual_access:  write_only
        .address_space:  global
        .offset:         104
        .size:           8
        .value_kind:     global_buffer
      - .actual_access:  read_only
        .address_space:  global
        .offset:         112
        .size:           8
        .value_kind:     global_buffer
      - .offset:         120
        .size:           4
        .value_kind:     by_value
      - .address_space:  global
        .offset:         128
        .size:           8
        .value_kind:     global_buffer
      - .address_space:  global
        .offset:         136
        .size:           8
        .value_kind:     global_buffer
      - .offset:         144
        .size:           4
        .value_kind:     hidden_block_count_x
      - .offset:         148
        .size:           4
        .value_kind:     hidden_block_count_y
      - .offset:         152
        .size:           4
        .value_kind:     hidden_block_count_z
      - .offset:         156
        .size:           2
        .value_kind:     hidden_group_size_x
      - .offset:         158
        .size:           2
        .value_kind:     hidden_group_size_y
      - .offset:         160
        .size:           2
        .value_kind:     hidden_group_size_z
      - .offset:         162
        .size:           2
        .value_kind:     hidden_remainder_x
      - .offset:         164
        .size:           2
        .value_kind:     hidden_remainder_y
      - .offset:         166
        .size:           2
        .value_kind:     hidden_remainder_z
      - .offset:         184
        .size:           8
        .value_kind:     hidden_global_offset_x
      - .offset:         192
        .size:           8
        .value_kind:     hidden_global_offset_y
      - .offset:         200
        .size:           8
        .value_kind:     hidden_global_offset_z
      - .offset:         208
        .size:           2
        .value_kind:     hidden_grid_dims
    .group_segment_fixed_size: 17472
    .kernarg_segment_align: 8
    .kernarg_segment_size: 400
    .language:       OpenCL C
    .language_version:
      - 2
      - 0
    .max_flat_workgroup_size: 256
    .name:           _Z39paged_attention_ll4mi_QKV_mfma16_kernelIDF16_DF16_LN4vllm18Fp8KVCacheDataTypeE0EhLi16ELi64ELi256ELb1ELi6EL8MFMAType0EEvPKT_PKT0_S8_ifPKiSA_SA_iPKfiiiPfSD_PS3_PT2_iSC_SC_
    .private_segment_fixed_size: 0
    .sgpr_count:     54
    .sgpr_spill_count: 0
    .symbol:         _Z39paged_attention_ll4mi_QKV_mfma16_kernelIDF16_DF16_LN4vllm18Fp8KVCacheDataTypeE0EhLi16ELi64ELi256ELb1ELi6EL8MFMAType0EEvPKT_PKT0_S8_ifPKiSA_SA_iPKfiiiPfSD_PS3_PT2_iSC_SC_.kd
    .uniform_work_group_size: 1
    .uses_dynamic_stack: false
    .vgpr_count:     198
    .vgpr_spill_count: 0
    .wavefront_size: 32
    .workgroup_processor_mode: 1
  - .args:
      - .actual_access:  read_only
        .address_space:  global
        .offset:         0
        .size:           8
        .value_kind:     global_buffer
      - .actual_access:  read_only
        .address_space:  global
        .offset:         8
        .size:           8
        .value_kind:     global_buffer
      - .actual_access:  read_only
        .address_space:  global
        .offset:         16
        .size:           8
        .value_kind:     global_buffer
      - .offset:         24
        .size:           4
        .value_kind:     by_value
      - .offset:         28
        .size:           4
        .value_kind:     by_value
      - .actual_access:  read_only
        .address_space:  global
        .offset:         32
        .size:           8
        .value_kind:     global_buffer
      - .actual_access:  read_only
        .address_space:  global
        .offset:         40
        .size:           8
        .value_kind:     global_buffer
      - .actual_access:  read_only
        .address_space:  global
        .offset:         48
        .size:           8
        .value_kind:     global_buffer
      - .offset:         56
        .size:           4
        .value_kind:     by_value
      - .actual_access:  read_only
        .address_space:  global
        .offset:         64
        .size:           8
        .value_kind:     global_buffer
      - .offset:         72
        .size:           4
        .value_kind:     by_value
      - .offset:         76
        .size:           4
        .value_kind:     by_value
      - .offset:         80
        .size:           4
        .value_kind:     by_value
      - .actual_access:  write_only
        .address_space:  global
        .offset:         88
        .size:           8
        .value_kind:     global_buffer
      - .actual_access:  write_only
        .address_space:  global
        .offset:         96
        .size:           8
        .value_kind:     global_buffer
      - .actual_access:  write_only
        .address_space:  global
        .offset:         104
        .size:           8
        .value_kind:     global_buffer
      - .actual_access:  read_only
        .address_space:  global
        .offset:         112
        .size:           8
        .value_kind:     global_buffer
      - .offset:         120
        .size:           4
        .value_kind:     by_value
      - .address_space:  global
        .offset:         128
        .size:           8
        .value_kind:     global_buffer
      - .address_space:  global
        .offset:         136
        .size:           8
        .value_kind:     global_buffer
      - .offset:         144
        .size:           4
        .value_kind:     hidden_block_count_x
      - .offset:         148
        .size:           4
        .value_kind:     hidden_block_count_y
      - .offset:         152
        .size:           4
        .value_kind:     hidden_block_count_z
      - .offset:         156
        .size:           2
        .value_kind:     hidden_group_size_x
      - .offset:         158
        .size:           2
        .value_kind:     hidden_group_size_y
      - .offset:         160
        .size:           2
        .value_kind:     hidden_group_size_z
      - .offset:         162
        .size:           2
        .value_kind:     hidden_remainder_x
      - .offset:         164
        .size:           2
        .value_kind:     hidden_remainder_y
      - .offset:         166
        .size:           2
        .value_kind:     hidden_remainder_z
      - .offset:         184
        .size:           8
        .value_kind:     hidden_global_offset_x
      - .offset:         192
        .size:           8
        .value_kind:     hidden_global_offset_y
      - .offset:         200
        .size:           8
        .value_kind:     hidden_global_offset_z
      - .offset:         208
        .size:           2
        .value_kind:     hidden_grid_dims
    .group_segment_fixed_size: 17472
    .kernarg_segment_align: 8
    .kernarg_segment_size: 400
    .language:       OpenCL C
    .language_version:
      - 2
      - 0
    .max_flat_workgroup_size: 256
    .name:           _Z39paged_attention_ll4mi_QKV_mfma16_kernelIDF16_DF16_LN4vllm18Fp8KVCacheDataTypeE0EhLi16ELi64ELi256ELb1ELi7EL8MFMAType0EEvPKT_PKT0_S8_ifPKiSA_SA_iPKfiiiPfSD_PS3_PT2_iSC_SC_
    .private_segment_fixed_size: 0
    .sgpr_count:     54
    .sgpr_spill_count: 0
    .symbol:         _Z39paged_attention_ll4mi_QKV_mfma16_kernelIDF16_DF16_LN4vllm18Fp8KVCacheDataTypeE0EhLi16ELi64ELi256ELb1ELi7EL8MFMAType0EEvPKT_PKT0_S8_ifPKiSA_SA_iPKfiiiPfSD_PS3_PT2_iSC_SC_.kd
    .uniform_work_group_size: 1
    .uses_dynamic_stack: false
    .vgpr_count:     198
    .vgpr_spill_count: 0
    .wavefront_size: 32
    .workgroup_processor_mode: 1
  - .args:
      - .actual_access:  read_only
        .address_space:  global
        .offset:         0
        .size:           8
        .value_kind:     global_buffer
      - .actual_access:  read_only
        .address_space:  global
        .offset:         8
        .size:           8
        .value_kind:     global_buffer
      - .actual_access:  read_only
        .address_space:  global
        .offset:         16
        .size:           8
        .value_kind:     global_buffer
      - .offset:         24
        .size:           4
        .value_kind:     by_value
      - .offset:         28
        .size:           4
        .value_kind:     by_value
      - .actual_access:  read_only
        .address_space:  global
        .offset:         32
        .size:           8
        .value_kind:     global_buffer
      - .actual_access:  read_only
        .address_space:  global
        .offset:         40
        .size:           8
        .value_kind:     global_buffer
      - .actual_access:  read_only
        .address_space:  global
        .offset:         48
        .size:           8
        .value_kind:     global_buffer
      - .offset:         56
        .size:           4
        .value_kind:     by_value
      - .actual_access:  read_only
        .address_space:  global
        .offset:         64
        .size:           8
        .value_kind:     global_buffer
      - .offset:         72
        .size:           4
        .value_kind:     by_value
      - .offset:         76
        .size:           4
        .value_kind:     by_value
      - .offset:         80
        .size:           4
        .value_kind:     by_value
      - .actual_access:  write_only
        .address_space:  global
        .offset:         88
        .size:           8
        .value_kind:     global_buffer
      - .actual_access:  write_only
        .address_space:  global
        .offset:         96
        .size:           8
        .value_kind:     global_buffer
      - .actual_access:  write_only
        .address_space:  global
        .offset:         104
        .size:           8
        .value_kind:     global_buffer
      - .actual_access:  read_only
        .address_space:  global
        .offset:         112
        .size:           8
        .value_kind:     global_buffer
      - .offset:         120
        .size:           4
        .value_kind:     by_value
      - .address_space:  global
        .offset:         128
        .size:           8
        .value_kind:     global_buffer
      - .address_space:  global
        .offset:         136
        .size:           8
        .value_kind:     global_buffer
      - .offset:         144
        .size:           4
        .value_kind:     hidden_block_count_x
      - .offset:         148
        .size:           4
        .value_kind:     hidden_block_count_y
      - .offset:         152
        .size:           4
        .value_kind:     hidden_block_count_z
      - .offset:         156
        .size:           2
        .value_kind:     hidden_group_size_x
      - .offset:         158
        .size:           2
        .value_kind:     hidden_group_size_y
      - .offset:         160
        .size:           2
        .value_kind:     hidden_group_size_z
      - .offset:         162
        .size:           2
        .value_kind:     hidden_remainder_x
      - .offset:         164
        .size:           2
        .value_kind:     hidden_remainder_y
      - .offset:         166
        .size:           2
        .value_kind:     hidden_remainder_z
      - .offset:         184
        .size:           8
        .value_kind:     hidden_global_offset_x
      - .offset:         192
        .size:           8
        .value_kind:     hidden_global_offset_y
      - .offset:         200
        .size:           8
        .value_kind:     hidden_global_offset_z
      - .offset:         208
        .size:           2
        .value_kind:     hidden_grid_dims
    .group_segment_fixed_size: 17472
    .kernarg_segment_align: 8
    .kernarg_segment_size: 400
    .language:       OpenCL C
    .language_version:
      - 2
      - 0
    .max_flat_workgroup_size: 256
    .name:           _Z39paged_attention_ll4mi_QKV_mfma16_kernelIDF16_DF16_LN4vllm18Fp8KVCacheDataTypeE0EhLi16ELi64ELi256ELb1ELi8EL8MFMAType0EEvPKT_PKT0_S8_ifPKiSA_SA_iPKfiiiPfSD_PS3_PT2_iSC_SC_
    .private_segment_fixed_size: 0
    .sgpr_count:     54
    .sgpr_spill_count: 0
    .symbol:         _Z39paged_attention_ll4mi_QKV_mfma16_kernelIDF16_DF16_LN4vllm18Fp8KVCacheDataTypeE0EhLi16ELi64ELi256ELb1ELi8EL8MFMAType0EEvPKT_PKT0_S8_ifPKiSA_SA_iPKfiiiPfSD_PS3_PT2_iSC_SC_.kd
    .uniform_work_group_size: 1
    .uses_dynamic_stack: false
    .vgpr_count:     198
    .vgpr_spill_count: 0
    .wavefront_size: 32
    .workgroup_processor_mode: 1
  - .args:
      - .actual_access:  read_only
        .address_space:  global
        .offset:         0
        .size:           8
        .value_kind:     global_buffer
      - .actual_access:  read_only
        .address_space:  global
        .offset:         8
        .size:           8
        .value_kind:     global_buffer
      - .actual_access:  read_only
        .address_space:  global
        .offset:         16
        .size:           8
        .value_kind:     global_buffer
      - .offset:         24
        .size:           4
        .value_kind:     by_value
      - .offset:         28
        .size:           4
        .value_kind:     by_value
      - .actual_access:  read_only
        .address_space:  global
        .offset:         32
        .size:           8
        .value_kind:     global_buffer
      - .actual_access:  read_only
        .address_space:  global
        .offset:         40
        .size:           8
        .value_kind:     global_buffer
      - .actual_access:  read_only
        .address_space:  global
        .offset:         48
        .size:           8
        .value_kind:     global_buffer
      - .offset:         56
        .size:           4
        .value_kind:     by_value
      - .actual_access:  read_only
        .address_space:  global
        .offset:         64
        .size:           8
        .value_kind:     global_buffer
      - .offset:         72
        .size:           4
        .value_kind:     by_value
      - .offset:         76
        .size:           4
        .value_kind:     by_value
      - .offset:         80
        .size:           4
        .value_kind:     by_value
      - .actual_access:  write_only
        .address_space:  global
        .offset:         88
        .size:           8
        .value_kind:     global_buffer
      - .actual_access:  write_only
        .address_space:  global
        .offset:         96
        .size:           8
        .value_kind:     global_buffer
      - .actual_access:  write_only
        .address_space:  global
        .offset:         104
        .size:           8
        .value_kind:     global_buffer
      - .actual_access:  read_only
        .address_space:  global
        .offset:         112
        .size:           8
        .value_kind:     global_buffer
      - .offset:         120
        .size:           4
        .value_kind:     by_value
      - .address_space:  global
        .offset:         128
        .size:           8
        .value_kind:     global_buffer
      - .address_space:  global
        .offset:         136
        .size:           8
        .value_kind:     global_buffer
      - .offset:         144
        .size:           4
        .value_kind:     hidden_block_count_x
      - .offset:         148
        .size:           4
        .value_kind:     hidden_block_count_y
      - .offset:         152
        .size:           4
        .value_kind:     hidden_block_count_z
      - .offset:         156
        .size:           2
        .value_kind:     hidden_group_size_x
      - .offset:         158
        .size:           2
        .value_kind:     hidden_group_size_y
      - .offset:         160
        .size:           2
        .value_kind:     hidden_group_size_z
      - .offset:         162
        .size:           2
        .value_kind:     hidden_remainder_x
      - .offset:         164
        .size:           2
        .value_kind:     hidden_remainder_y
      - .offset:         166
        .size:           2
        .value_kind:     hidden_remainder_z
      - .offset:         184
        .size:           8
        .value_kind:     hidden_global_offset_x
      - .offset:         192
        .size:           8
        .value_kind:     hidden_global_offset_y
      - .offset:         200
        .size:           8
        .value_kind:     hidden_global_offset_z
      - .offset:         208
        .size:           2
        .value_kind:     hidden_grid_dims
    .group_segment_fixed_size: 17472
    .kernarg_segment_align: 8
    .kernarg_segment_size: 400
    .language:       OpenCL C
    .language_version:
      - 2
      - 0
    .max_flat_workgroup_size: 256
    .name:           _Z39paged_attention_ll4mi_QKV_mfma16_kernelIDF16_DF16_LN4vllm18Fp8KVCacheDataTypeE0EhLi16ELi64ELi256ELb1ELi9EL8MFMAType0EEvPKT_PKT0_S8_ifPKiSA_SA_iPKfiiiPfSD_PS3_PT2_iSC_SC_
    .private_segment_fixed_size: 0
    .sgpr_count:     54
    .sgpr_spill_count: 0
    .symbol:         _Z39paged_attention_ll4mi_QKV_mfma16_kernelIDF16_DF16_LN4vllm18Fp8KVCacheDataTypeE0EhLi16ELi64ELi256ELb1ELi9EL8MFMAType0EEvPKT_PKT0_S8_ifPKiSA_SA_iPKfiiiPfSD_PS3_PT2_iSC_SC_.kd
    .uniform_work_group_size: 1
    .uses_dynamic_stack: false
    .vgpr_count:     198
    .vgpr_spill_count: 0
    .wavefront_size: 32
    .workgroup_processor_mode: 1
  - .args:
      - .actual_access:  read_only
        .address_space:  global
        .offset:         0
        .size:           8
        .value_kind:     global_buffer
      - .actual_access:  read_only
        .address_space:  global
        .offset:         8
        .size:           8
        .value_kind:     global_buffer
      - .actual_access:  read_only
        .address_space:  global
        .offset:         16
        .size:           8
        .value_kind:     global_buffer
      - .offset:         24
        .size:           4
        .value_kind:     by_value
      - .offset:         28
        .size:           4
        .value_kind:     by_value
      - .actual_access:  read_only
        .address_space:  global
        .offset:         32
        .size:           8
        .value_kind:     global_buffer
      - .actual_access:  read_only
        .address_space:  global
        .offset:         40
        .size:           8
        .value_kind:     global_buffer
      - .actual_access:  read_only
        .address_space:  global
        .offset:         48
        .size:           8
        .value_kind:     global_buffer
      - .offset:         56
        .size:           4
        .value_kind:     by_value
      - .actual_access:  read_only
        .address_space:  global
        .offset:         64
        .size:           8
        .value_kind:     global_buffer
      - .offset:         72
        .size:           4
        .value_kind:     by_value
      - .offset:         76
        .size:           4
        .value_kind:     by_value
      - .offset:         80
        .size:           4
        .value_kind:     by_value
      - .actual_access:  write_only
        .address_space:  global
        .offset:         88
        .size:           8
        .value_kind:     global_buffer
      - .actual_access:  write_only
        .address_space:  global
        .offset:         96
        .size:           8
        .value_kind:     global_buffer
      - .actual_access:  write_only
        .address_space:  global
        .offset:         104
        .size:           8
        .value_kind:     global_buffer
      - .actual_access:  read_only
        .address_space:  global
        .offset:         112
        .size:           8
        .value_kind:     global_buffer
      - .offset:         120
        .size:           4
        .value_kind:     by_value
      - .address_space:  global
        .offset:         128
        .size:           8
        .value_kind:     global_buffer
      - .address_space:  global
        .offset:         136
        .size:           8
        .value_kind:     global_buffer
      - .offset:         144
        .size:           4
        .value_kind:     hidden_block_count_x
      - .offset:         148
        .size:           4
        .value_kind:     hidden_block_count_y
      - .offset:         152
        .size:           4
        .value_kind:     hidden_block_count_z
      - .offset:         156
        .size:           2
        .value_kind:     hidden_group_size_x
      - .offset:         158
        .size:           2
        .value_kind:     hidden_group_size_y
      - .offset:         160
        .size:           2
        .value_kind:     hidden_group_size_z
      - .offset:         162
        .size:           2
        .value_kind:     hidden_remainder_x
      - .offset:         164
        .size:           2
        .value_kind:     hidden_remainder_y
      - .offset:         166
        .size:           2
        .value_kind:     hidden_remainder_z
      - .offset:         184
        .size:           8
        .value_kind:     hidden_global_offset_x
      - .offset:         192
        .size:           8
        .value_kind:     hidden_global_offset_y
      - .offset:         200
        .size:           8
        .value_kind:     hidden_global_offset_z
      - .offset:         208
        .size:           2
        .value_kind:     hidden_grid_dims
    .group_segment_fixed_size: 17472
    .kernarg_segment_align: 8
    .kernarg_segment_size: 400
    .language:       OpenCL C
    .language_version:
      - 2
      - 0
    .max_flat_workgroup_size: 256
    .name:           _Z39paged_attention_ll4mi_QKV_mfma16_kernelIDF16_DF16_LN4vllm18Fp8KVCacheDataTypeE0EhLi16ELi64ELi256ELb1ELi10EL8MFMAType0EEvPKT_PKT0_S8_ifPKiSA_SA_iPKfiiiPfSD_PS3_PT2_iSC_SC_
    .private_segment_fixed_size: 0
    .sgpr_count:     54
    .sgpr_spill_count: 0
    .symbol:         _Z39paged_attention_ll4mi_QKV_mfma16_kernelIDF16_DF16_LN4vllm18Fp8KVCacheDataTypeE0EhLi16ELi64ELi256ELb1ELi10EL8MFMAType0EEvPKT_PKT0_S8_ifPKiSA_SA_iPKfiiiPfSD_PS3_PT2_iSC_SC_.kd
    .uniform_work_group_size: 1
    .uses_dynamic_stack: false
    .vgpr_count:     198
    .vgpr_spill_count: 0
    .wavefront_size: 32
    .workgroup_processor_mode: 1
  - .args:
      - .actual_access:  read_only
        .address_space:  global
        .offset:         0
        .size:           8
        .value_kind:     global_buffer
      - .actual_access:  read_only
        .address_space:  global
        .offset:         8
        .size:           8
        .value_kind:     global_buffer
      - .actual_access:  read_only
        .address_space:  global
        .offset:         16
        .size:           8
        .value_kind:     global_buffer
      - .offset:         24
        .size:           4
        .value_kind:     by_value
      - .offset:         28
        .size:           4
        .value_kind:     by_value
      - .actual_access:  read_only
        .address_space:  global
        .offset:         32
        .size:           8
        .value_kind:     global_buffer
      - .actual_access:  read_only
        .address_space:  global
        .offset:         40
        .size:           8
        .value_kind:     global_buffer
      - .actual_access:  read_only
        .address_space:  global
        .offset:         48
        .size:           8
        .value_kind:     global_buffer
      - .offset:         56
        .size:           4
        .value_kind:     by_value
      - .actual_access:  read_only
        .address_space:  global
        .offset:         64
        .size:           8
        .value_kind:     global_buffer
      - .offset:         72
        .size:           4
        .value_kind:     by_value
      - .offset:         76
        .size:           4
        .value_kind:     by_value
      - .offset:         80
        .size:           4
        .value_kind:     by_value
      - .actual_access:  write_only
        .address_space:  global
        .offset:         88
        .size:           8
        .value_kind:     global_buffer
      - .actual_access:  write_only
        .address_space:  global
        .offset:         96
        .size:           8
        .value_kind:     global_buffer
      - .actual_access:  write_only
        .address_space:  global
        .offset:         104
        .size:           8
        .value_kind:     global_buffer
      - .actual_access:  read_only
        .address_space:  global
        .offset:         112
        .size:           8
        .value_kind:     global_buffer
      - .offset:         120
        .size:           4
        .value_kind:     by_value
      - .address_space:  global
        .offset:         128
        .size:           8
        .value_kind:     global_buffer
      - .address_space:  global
        .offset:         136
        .size:           8
        .value_kind:     global_buffer
      - .offset:         144
        .size:           4
        .value_kind:     hidden_block_count_x
      - .offset:         148
        .size:           4
        .value_kind:     hidden_block_count_y
      - .offset:         152
        .size:           4
        .value_kind:     hidden_block_count_z
      - .offset:         156
        .size:           2
        .value_kind:     hidden_group_size_x
      - .offset:         158
        .size:           2
        .value_kind:     hidden_group_size_y
      - .offset:         160
        .size:           2
        .value_kind:     hidden_group_size_z
      - .offset:         162
        .size:           2
        .value_kind:     hidden_remainder_x
      - .offset:         164
        .size:           2
        .value_kind:     hidden_remainder_y
      - .offset:         166
        .size:           2
        .value_kind:     hidden_remainder_z
      - .offset:         184
        .size:           8
        .value_kind:     hidden_global_offset_x
      - .offset:         192
        .size:           8
        .value_kind:     hidden_global_offset_y
      - .offset:         200
        .size:           8
        .value_kind:     hidden_global_offset_z
      - .offset:         208
        .size:           2
        .value_kind:     hidden_grid_dims
    .group_segment_fixed_size: 17472
    .kernarg_segment_align: 8
    .kernarg_segment_size: 400
    .language:       OpenCL C
    .language_version:
      - 2
      - 0
    .max_flat_workgroup_size: 256
    .name:           _Z39paged_attention_ll4mi_QKV_mfma16_kernelIDF16_DF16_LN4vllm18Fp8KVCacheDataTypeE0EhLi16ELi64ELi256ELb1ELi11EL8MFMAType0EEvPKT_PKT0_S8_ifPKiSA_SA_iPKfiiiPfSD_PS3_PT2_iSC_SC_
    .private_segment_fixed_size: 0
    .sgpr_count:     54
    .sgpr_spill_count: 0
    .symbol:         _Z39paged_attention_ll4mi_QKV_mfma16_kernelIDF16_DF16_LN4vllm18Fp8KVCacheDataTypeE0EhLi16ELi64ELi256ELb1ELi11EL8MFMAType0EEvPKT_PKT0_S8_ifPKiSA_SA_iPKfiiiPfSD_PS3_PT2_iSC_SC_.kd
    .uniform_work_group_size: 1
    .uses_dynamic_stack: false
    .vgpr_count:     198
    .vgpr_spill_count: 0
    .wavefront_size: 32
    .workgroup_processor_mode: 1
  - .args:
      - .actual_access:  read_only
        .address_space:  global
        .offset:         0
        .size:           8
        .value_kind:     global_buffer
      - .actual_access:  read_only
        .address_space:  global
        .offset:         8
        .size:           8
        .value_kind:     global_buffer
      - .actual_access:  read_only
        .address_space:  global
        .offset:         16
        .size:           8
        .value_kind:     global_buffer
      - .offset:         24
        .size:           4
        .value_kind:     by_value
      - .offset:         28
        .size:           4
        .value_kind:     by_value
      - .actual_access:  read_only
        .address_space:  global
        .offset:         32
        .size:           8
        .value_kind:     global_buffer
      - .actual_access:  read_only
        .address_space:  global
        .offset:         40
        .size:           8
        .value_kind:     global_buffer
      - .actual_access:  read_only
        .address_space:  global
        .offset:         48
        .size:           8
        .value_kind:     global_buffer
      - .offset:         56
        .size:           4
        .value_kind:     by_value
      - .actual_access:  read_only
        .address_space:  global
        .offset:         64
        .size:           8
        .value_kind:     global_buffer
      - .offset:         72
        .size:           4
        .value_kind:     by_value
      - .offset:         76
        .size:           4
        .value_kind:     by_value
      - .offset:         80
        .size:           4
        .value_kind:     by_value
      - .actual_access:  write_only
        .address_space:  global
        .offset:         88
        .size:           8
        .value_kind:     global_buffer
      - .actual_access:  write_only
        .address_space:  global
        .offset:         96
        .size:           8
        .value_kind:     global_buffer
      - .actual_access:  write_only
        .address_space:  global
        .offset:         104
        .size:           8
        .value_kind:     global_buffer
      - .actual_access:  read_only
        .address_space:  global
        .offset:         112
        .size:           8
        .value_kind:     global_buffer
      - .offset:         120
        .size:           4
        .value_kind:     by_value
      - .address_space:  global
        .offset:         128
        .size:           8
        .value_kind:     global_buffer
      - .address_space:  global
        .offset:         136
        .size:           8
        .value_kind:     global_buffer
      - .offset:         144
        .size:           4
        .value_kind:     hidden_block_count_x
      - .offset:         148
        .size:           4
        .value_kind:     hidden_block_count_y
      - .offset:         152
        .size:           4
        .value_kind:     hidden_block_count_z
      - .offset:         156
        .size:           2
        .value_kind:     hidden_group_size_x
      - .offset:         158
        .size:           2
        .value_kind:     hidden_group_size_y
      - .offset:         160
        .size:           2
        .value_kind:     hidden_group_size_z
      - .offset:         162
        .size:           2
        .value_kind:     hidden_remainder_x
      - .offset:         164
        .size:           2
        .value_kind:     hidden_remainder_y
      - .offset:         166
        .size:           2
        .value_kind:     hidden_remainder_z
      - .offset:         184
        .size:           8
        .value_kind:     hidden_global_offset_x
      - .offset:         192
        .size:           8
        .value_kind:     hidden_global_offset_y
      - .offset:         200
        .size:           8
        .value_kind:     hidden_global_offset_z
      - .offset:         208
        .size:           2
        .value_kind:     hidden_grid_dims
    .group_segment_fixed_size: 17472
    .kernarg_segment_align: 8
    .kernarg_segment_size: 400
    .language:       OpenCL C
    .language_version:
      - 2
      - 0
    .max_flat_workgroup_size: 256
    .name:           _Z39paged_attention_ll4mi_QKV_mfma16_kernelIDF16_DF16_LN4vllm18Fp8KVCacheDataTypeE0EhLi16ELi64ELi256ELb1ELi12EL8MFMAType0EEvPKT_PKT0_S8_ifPKiSA_SA_iPKfiiiPfSD_PS3_PT2_iSC_SC_
    .private_segment_fixed_size: 0
    .sgpr_count:     54
    .sgpr_spill_count: 0
    .symbol:         _Z39paged_attention_ll4mi_QKV_mfma16_kernelIDF16_DF16_LN4vllm18Fp8KVCacheDataTypeE0EhLi16ELi64ELi256ELb1ELi12EL8MFMAType0EEvPKT_PKT0_S8_ifPKiSA_SA_iPKfiiiPfSD_PS3_PT2_iSC_SC_.kd
    .uniform_work_group_size: 1
    .uses_dynamic_stack: false
    .vgpr_count:     198
    .vgpr_spill_count: 0
    .wavefront_size: 32
    .workgroup_processor_mode: 1
  - .args:
      - .actual_access:  read_only
        .address_space:  global
        .offset:         0
        .size:           8
        .value_kind:     global_buffer
      - .actual_access:  read_only
        .address_space:  global
        .offset:         8
        .size:           8
        .value_kind:     global_buffer
      - .actual_access:  read_only
        .address_space:  global
        .offset:         16
        .size:           8
        .value_kind:     global_buffer
      - .offset:         24
        .size:           4
        .value_kind:     by_value
      - .offset:         28
        .size:           4
        .value_kind:     by_value
      - .actual_access:  read_only
        .address_space:  global
        .offset:         32
        .size:           8
        .value_kind:     global_buffer
      - .actual_access:  read_only
        .address_space:  global
        .offset:         40
        .size:           8
        .value_kind:     global_buffer
      - .actual_access:  read_only
        .address_space:  global
        .offset:         48
        .size:           8
        .value_kind:     global_buffer
      - .offset:         56
        .size:           4
        .value_kind:     by_value
      - .actual_access:  read_only
        .address_space:  global
        .offset:         64
        .size:           8
        .value_kind:     global_buffer
      - .offset:         72
        .size:           4
        .value_kind:     by_value
      - .offset:         76
        .size:           4
        .value_kind:     by_value
      - .offset:         80
        .size:           4
        .value_kind:     by_value
      - .actual_access:  write_only
        .address_space:  global
        .offset:         88
        .size:           8
        .value_kind:     global_buffer
      - .actual_access:  write_only
        .address_space:  global
        .offset:         96
        .size:           8
        .value_kind:     global_buffer
      - .actual_access:  write_only
        .address_space:  global
        .offset:         104
        .size:           8
        .value_kind:     global_buffer
      - .actual_access:  read_only
        .address_space:  global
        .offset:         112
        .size:           8
        .value_kind:     global_buffer
      - .offset:         120
        .size:           4
        .value_kind:     by_value
      - .address_space:  global
        .offset:         128
        .size:           8
        .value_kind:     global_buffer
      - .address_space:  global
        .offset:         136
        .size:           8
        .value_kind:     global_buffer
      - .offset:         144
        .size:           4
        .value_kind:     hidden_block_count_x
      - .offset:         148
        .size:           4
        .value_kind:     hidden_block_count_y
      - .offset:         152
        .size:           4
        .value_kind:     hidden_block_count_z
      - .offset:         156
        .size:           2
        .value_kind:     hidden_group_size_x
      - .offset:         158
        .size:           2
        .value_kind:     hidden_group_size_y
      - .offset:         160
        .size:           2
        .value_kind:     hidden_group_size_z
      - .offset:         162
        .size:           2
        .value_kind:     hidden_remainder_x
      - .offset:         164
        .size:           2
        .value_kind:     hidden_remainder_y
      - .offset:         166
        .size:           2
        .value_kind:     hidden_remainder_z
      - .offset:         184
        .size:           8
        .value_kind:     hidden_global_offset_x
      - .offset:         192
        .size:           8
        .value_kind:     hidden_global_offset_y
      - .offset:         200
        .size:           8
        .value_kind:     hidden_global_offset_z
      - .offset:         208
        .size:           2
        .value_kind:     hidden_grid_dims
    .group_segment_fixed_size: 17472
    .kernarg_segment_align: 8
    .kernarg_segment_size: 400
    .language:       OpenCL C
    .language_version:
      - 2
      - 0
    .max_flat_workgroup_size: 256
    .name:           _Z39paged_attention_ll4mi_QKV_mfma16_kernelIDF16_DF16_LN4vllm18Fp8KVCacheDataTypeE0EhLi16ELi64ELi256ELb1ELi13EL8MFMAType0EEvPKT_PKT0_S8_ifPKiSA_SA_iPKfiiiPfSD_PS3_PT2_iSC_SC_
    .private_segment_fixed_size: 0
    .sgpr_count:     54
    .sgpr_spill_count: 0
    .symbol:         _Z39paged_attention_ll4mi_QKV_mfma16_kernelIDF16_DF16_LN4vllm18Fp8KVCacheDataTypeE0EhLi16ELi64ELi256ELb1ELi13EL8MFMAType0EEvPKT_PKT0_S8_ifPKiSA_SA_iPKfiiiPfSD_PS3_PT2_iSC_SC_.kd
    .uniform_work_group_size: 1
    .uses_dynamic_stack: false
    .vgpr_count:     198
    .vgpr_spill_count: 0
    .wavefront_size: 32
    .workgroup_processor_mode: 1
  - .args:
      - .actual_access:  read_only
        .address_space:  global
        .offset:         0
        .size:           8
        .value_kind:     global_buffer
      - .actual_access:  read_only
        .address_space:  global
        .offset:         8
        .size:           8
        .value_kind:     global_buffer
      - .actual_access:  read_only
        .address_space:  global
        .offset:         16
        .size:           8
        .value_kind:     global_buffer
      - .offset:         24
        .size:           4
        .value_kind:     by_value
      - .offset:         28
        .size:           4
        .value_kind:     by_value
      - .actual_access:  read_only
        .address_space:  global
        .offset:         32
        .size:           8
        .value_kind:     global_buffer
      - .actual_access:  read_only
        .address_space:  global
        .offset:         40
        .size:           8
        .value_kind:     global_buffer
      - .actual_access:  read_only
        .address_space:  global
        .offset:         48
        .size:           8
        .value_kind:     global_buffer
      - .offset:         56
        .size:           4
        .value_kind:     by_value
      - .actual_access:  read_only
        .address_space:  global
        .offset:         64
        .size:           8
        .value_kind:     global_buffer
      - .offset:         72
        .size:           4
        .value_kind:     by_value
      - .offset:         76
        .size:           4
        .value_kind:     by_value
      - .offset:         80
        .size:           4
        .value_kind:     by_value
      - .actual_access:  write_only
        .address_space:  global
        .offset:         88
        .size:           8
        .value_kind:     global_buffer
      - .actual_access:  write_only
        .address_space:  global
        .offset:         96
        .size:           8
        .value_kind:     global_buffer
      - .actual_access:  write_only
        .address_space:  global
        .offset:         104
        .size:           8
        .value_kind:     global_buffer
      - .actual_access:  read_only
        .address_space:  global
        .offset:         112
        .size:           8
        .value_kind:     global_buffer
      - .offset:         120
        .size:           4
        .value_kind:     by_value
      - .address_space:  global
        .offset:         128
        .size:           8
        .value_kind:     global_buffer
      - .address_space:  global
        .offset:         136
        .size:           8
        .value_kind:     global_buffer
      - .offset:         144
        .size:           4
        .value_kind:     hidden_block_count_x
      - .offset:         148
        .size:           4
        .value_kind:     hidden_block_count_y
      - .offset:         152
        .size:           4
        .value_kind:     hidden_block_count_z
      - .offset:         156
        .size:           2
        .value_kind:     hidden_group_size_x
      - .offset:         158
        .size:           2
        .value_kind:     hidden_group_size_y
      - .offset:         160
        .size:           2
        .value_kind:     hidden_group_size_z
      - .offset:         162
        .size:           2
        .value_kind:     hidden_remainder_x
      - .offset:         164
        .size:           2
        .value_kind:     hidden_remainder_y
      - .offset:         166
        .size:           2
        .value_kind:     hidden_remainder_z
      - .offset:         184
        .size:           8
        .value_kind:     hidden_global_offset_x
      - .offset:         192
        .size:           8
        .value_kind:     hidden_global_offset_y
      - .offset:         200
        .size:           8
        .value_kind:     hidden_global_offset_z
      - .offset:         208
        .size:           2
        .value_kind:     hidden_grid_dims
    .group_segment_fixed_size: 17472
    .kernarg_segment_align: 8
    .kernarg_segment_size: 400
    .language:       OpenCL C
    .language_version:
      - 2
      - 0
    .max_flat_workgroup_size: 256
    .name:           _Z39paged_attention_ll4mi_QKV_mfma16_kernelIDF16_DF16_LN4vllm18Fp8KVCacheDataTypeE0EhLi16ELi64ELi256ELb1ELi14EL8MFMAType0EEvPKT_PKT0_S8_ifPKiSA_SA_iPKfiiiPfSD_PS3_PT2_iSC_SC_
    .private_segment_fixed_size: 0
    .sgpr_count:     54
    .sgpr_spill_count: 0
    .symbol:         _Z39paged_attention_ll4mi_QKV_mfma16_kernelIDF16_DF16_LN4vllm18Fp8KVCacheDataTypeE0EhLi16ELi64ELi256ELb1ELi14EL8MFMAType0EEvPKT_PKT0_S8_ifPKiSA_SA_iPKfiiiPfSD_PS3_PT2_iSC_SC_.kd
    .uniform_work_group_size: 1
    .uses_dynamic_stack: false
    .vgpr_count:     198
    .vgpr_spill_count: 0
    .wavefront_size: 32
    .workgroup_processor_mode: 1
  - .args:
      - .actual_access:  read_only
        .address_space:  global
        .offset:         0
        .size:           8
        .value_kind:     global_buffer
      - .actual_access:  read_only
        .address_space:  global
        .offset:         8
        .size:           8
        .value_kind:     global_buffer
      - .actual_access:  read_only
        .address_space:  global
        .offset:         16
        .size:           8
        .value_kind:     global_buffer
      - .offset:         24
        .size:           4
        .value_kind:     by_value
      - .offset:         28
        .size:           4
        .value_kind:     by_value
      - .actual_access:  read_only
        .address_space:  global
        .offset:         32
        .size:           8
        .value_kind:     global_buffer
      - .actual_access:  read_only
        .address_space:  global
        .offset:         40
        .size:           8
        .value_kind:     global_buffer
      - .actual_access:  read_only
        .address_space:  global
        .offset:         48
        .size:           8
        .value_kind:     global_buffer
      - .offset:         56
        .size:           4
        .value_kind:     by_value
      - .actual_access:  read_only
        .address_space:  global
        .offset:         64
        .size:           8
        .value_kind:     global_buffer
      - .offset:         72
        .size:           4
        .value_kind:     by_value
      - .offset:         76
        .size:           4
        .value_kind:     by_value
      - .offset:         80
        .size:           4
        .value_kind:     by_value
      - .actual_access:  write_only
        .address_space:  global
        .offset:         88
        .size:           8
        .value_kind:     global_buffer
      - .actual_access:  write_only
        .address_space:  global
        .offset:         96
        .size:           8
        .value_kind:     global_buffer
      - .actual_access:  write_only
        .address_space:  global
        .offset:         104
        .size:           8
        .value_kind:     global_buffer
      - .actual_access:  read_only
        .address_space:  global
        .offset:         112
        .size:           8
        .value_kind:     global_buffer
      - .offset:         120
        .size:           4
        .value_kind:     by_value
      - .address_space:  global
        .offset:         128
        .size:           8
        .value_kind:     global_buffer
      - .address_space:  global
        .offset:         136
        .size:           8
        .value_kind:     global_buffer
      - .offset:         144
        .size:           4
        .value_kind:     hidden_block_count_x
      - .offset:         148
        .size:           4
        .value_kind:     hidden_block_count_y
      - .offset:         152
        .size:           4
        .value_kind:     hidden_block_count_z
      - .offset:         156
        .size:           2
        .value_kind:     hidden_group_size_x
      - .offset:         158
        .size:           2
        .value_kind:     hidden_group_size_y
      - .offset:         160
        .size:           2
        .value_kind:     hidden_group_size_z
      - .offset:         162
        .size:           2
        .value_kind:     hidden_remainder_x
      - .offset:         164
        .size:           2
        .value_kind:     hidden_remainder_y
      - .offset:         166
        .size:           2
        .value_kind:     hidden_remainder_z
      - .offset:         184
        .size:           8
        .value_kind:     hidden_global_offset_x
      - .offset:         192
        .size:           8
        .value_kind:     hidden_global_offset_y
      - .offset:         200
        .size:           8
        .value_kind:     hidden_global_offset_z
      - .offset:         208
        .size:           2
        .value_kind:     hidden_grid_dims
    .group_segment_fixed_size: 17472
    .kernarg_segment_align: 8
    .kernarg_segment_size: 400
    .language:       OpenCL C
    .language_version:
      - 2
      - 0
    .max_flat_workgroup_size: 256
    .name:           _Z39paged_attention_ll4mi_QKV_mfma16_kernelIDF16_DF16_LN4vllm18Fp8KVCacheDataTypeE0EhLi16ELi64ELi256ELb1ELi15EL8MFMAType0EEvPKT_PKT0_S8_ifPKiSA_SA_iPKfiiiPfSD_PS3_PT2_iSC_SC_
    .private_segment_fixed_size: 0
    .sgpr_count:     54
    .sgpr_spill_count: 0
    .symbol:         _Z39paged_attention_ll4mi_QKV_mfma16_kernelIDF16_DF16_LN4vllm18Fp8KVCacheDataTypeE0EhLi16ELi64ELi256ELb1ELi15EL8MFMAType0EEvPKT_PKT0_S8_ifPKiSA_SA_iPKfiiiPfSD_PS3_PT2_iSC_SC_.kd
    .uniform_work_group_size: 1
    .uses_dynamic_stack: false
    .vgpr_count:     198
    .vgpr_spill_count: 0
    .wavefront_size: 32
    .workgroup_processor_mode: 1
  - .args:
      - .actual_access:  read_only
        .address_space:  global
        .offset:         0
        .size:           8
        .value_kind:     global_buffer
      - .actual_access:  read_only
        .address_space:  global
        .offset:         8
        .size:           8
        .value_kind:     global_buffer
      - .actual_access:  read_only
        .address_space:  global
        .offset:         16
        .size:           8
        .value_kind:     global_buffer
      - .offset:         24
        .size:           4
        .value_kind:     by_value
      - .offset:         28
        .size:           4
        .value_kind:     by_value
      - .actual_access:  read_only
        .address_space:  global
        .offset:         32
        .size:           8
        .value_kind:     global_buffer
      - .actual_access:  read_only
        .address_space:  global
        .offset:         40
        .size:           8
        .value_kind:     global_buffer
      - .actual_access:  read_only
        .address_space:  global
        .offset:         48
        .size:           8
        .value_kind:     global_buffer
      - .offset:         56
        .size:           4
        .value_kind:     by_value
      - .actual_access:  read_only
        .address_space:  global
        .offset:         64
        .size:           8
        .value_kind:     global_buffer
      - .offset:         72
        .size:           4
        .value_kind:     by_value
      - .offset:         76
        .size:           4
        .value_kind:     by_value
      - .offset:         80
        .size:           4
        .value_kind:     by_value
      - .actual_access:  write_only
        .address_space:  global
        .offset:         88
        .size:           8
        .value_kind:     global_buffer
      - .actual_access:  write_only
        .address_space:  global
        .offset:         96
        .size:           8
        .value_kind:     global_buffer
      - .actual_access:  write_only
        .address_space:  global
        .offset:         104
        .size:           8
        .value_kind:     global_buffer
      - .actual_access:  read_only
        .address_space:  global
        .offset:         112
        .size:           8
        .value_kind:     global_buffer
      - .offset:         120
        .size:           4
        .value_kind:     by_value
      - .address_space:  global
        .offset:         128
        .size:           8
        .value_kind:     global_buffer
      - .address_space:  global
        .offset:         136
        .size:           8
        .value_kind:     global_buffer
      - .offset:         144
        .size:           4
        .value_kind:     hidden_block_count_x
      - .offset:         148
        .size:           4
        .value_kind:     hidden_block_count_y
      - .offset:         152
        .size:           4
        .value_kind:     hidden_block_count_z
      - .offset:         156
        .size:           2
        .value_kind:     hidden_group_size_x
      - .offset:         158
        .size:           2
        .value_kind:     hidden_group_size_y
      - .offset:         160
        .size:           2
        .value_kind:     hidden_group_size_z
      - .offset:         162
        .size:           2
        .value_kind:     hidden_remainder_x
      - .offset:         164
        .size:           2
        .value_kind:     hidden_remainder_y
      - .offset:         166
        .size:           2
        .value_kind:     hidden_remainder_z
      - .offset:         184
        .size:           8
        .value_kind:     hidden_global_offset_x
      - .offset:         192
        .size:           8
        .value_kind:     hidden_global_offset_y
      - .offset:         200
        .size:           8
        .value_kind:     hidden_global_offset_z
      - .offset:         208
        .size:           2
        .value_kind:     hidden_grid_dims
    .group_segment_fixed_size: 17472
    .kernarg_segment_align: 8
    .kernarg_segment_size: 400
    .language:       OpenCL C
    .language_version:
      - 2
      - 0
    .max_flat_workgroup_size: 256
    .name:           _Z39paged_attention_ll4mi_QKV_mfma16_kernelIDF16_DF16_LN4vllm18Fp8KVCacheDataTypeE0EhLi16ELi64ELi256ELb1ELi16EL8MFMAType0EEvPKT_PKT0_S8_ifPKiSA_SA_iPKfiiiPfSD_PS3_PT2_iSC_SC_
    .private_segment_fixed_size: 0
    .sgpr_count:     54
    .sgpr_spill_count: 0
    .symbol:         _Z39paged_attention_ll4mi_QKV_mfma16_kernelIDF16_DF16_LN4vllm18Fp8KVCacheDataTypeE0EhLi16ELi64ELi256ELb1ELi16EL8MFMAType0EEvPKT_PKT0_S8_ifPKiSA_SA_iPKfiiiPfSD_PS3_PT2_iSC_SC_.kd
    .uniform_work_group_size: 1
    .uses_dynamic_stack: false
    .vgpr_count:     198
    .vgpr_spill_count: 0
    .wavefront_size: 32
    .workgroup_processor_mode: 1
  - .args:
      - .actual_access:  write_only
        .address_space:  global
        .offset:         0
        .size:           8
        .value_kind:     global_buffer
      - .actual_access:  read_only
        .address_space:  global
        .offset:         8
        .size:           8
        .value_kind:     global_buffer
      - .actual_access:  read_only
        .address_space:  global
        .offset:         16
        .size:           8
        .value_kind:     global_buffer
      - .actual_access:  read_only
        .address_space:  global
        .offset:         24
        .size:           8
        .value_kind:     global_buffer
      - .actual_access:  read_only
        .address_space:  global
        .offset:         32
        .size:           8
        .value_kind:     global_buffer
      - .actual_access:  read_only
        .address_space:  global
        .offset:         40
        .size:           8
        .value_kind:     global_buffer
      - .offset:         48
        .size:           4
        .value_kind:     by_value
      - .actual_access:  read_only
        .address_space:  global
        .offset:         56
        .size:           8
        .value_kind:     global_buffer
      - .offset:         64
        .size:           4
        .value_kind:     hidden_block_count_x
      - .offset:         68
        .size:           4
        .value_kind:     hidden_block_count_y
      - .offset:         72
        .size:           4
        .value_kind:     hidden_block_count_z
      - .offset:         76
        .size:           2
        .value_kind:     hidden_group_size_x
      - .offset:         78
        .size:           2
        .value_kind:     hidden_group_size_y
      - .offset:         80
        .size:           2
        .value_kind:     hidden_group_size_z
      - .offset:         82
        .size:           2
        .value_kind:     hidden_remainder_x
      - .offset:         84
        .size:           2
        .value_kind:     hidden_remainder_y
      - .offset:         86
        .size:           2
        .value_kind:     hidden_remainder_z
      - .offset:         104
        .size:           8
        .value_kind:     hidden_global_offset_x
      - .offset:         112
        .size:           8
        .value_kind:     hidden_global_offset_y
      - .offset:         120
        .size:           8
        .value_kind:     hidden_global_offset_z
      - .offset:         128
        .size:           2
        .value_kind:     hidden_grid_dims
    .group_segment_fixed_size: 132
    .kernarg_segment_align: 8
    .kernarg_segment_size: 320
    .language:       OpenCL C
    .language_version:
      - 2
      - 0
    .max_flat_workgroup_size: 64
    .name:           _Z35paged_attention_ll4mi_reduce_kernelIDF16_hLi64ELi64ELi256ELi1EEvPT0_PKfS3_PKT_PKiS8_iS3_
    .private_segment_fixed_size: 0
    .sgpr_count:     40
    .sgpr_spill_count: 0
    .symbol:         _Z35paged_attention_ll4mi_reduce_kernelIDF16_hLi64ELi64ELi256ELi1EEvPT0_PKfS3_PKT_PKiS8_iS3_.kd
    .uniform_work_group_size: 1
    .uses_dynamic_stack: false
    .vgpr_count:     46
    .vgpr_spill_count: 0
    .wavefront_size: 32
    .workgroup_processor_mode: 1
  - .args:
      - .actual_access:  write_only
        .address_space:  global
        .offset:         0
        .size:           8
        .value_kind:     global_buffer
      - .actual_access:  read_only
        .address_space:  global
        .offset:         8
        .size:           8
        .value_kind:     global_buffer
      - .actual_access:  read_only
        .address_space:  global
        .offset:         16
        .size:           8
        .value_kind:     global_buffer
      - .actual_access:  read_only
        .address_space:  global
        .offset:         24
        .size:           8
        .value_kind:     global_buffer
      - .actual_access:  read_only
        .address_space:  global
        .offset:         32
        .size:           8
        .value_kind:     global_buffer
      - .actual_access:  read_only
        .address_space:  global
        .offset:         40
        .size:           8
        .value_kind:     global_buffer
      - .offset:         48
        .size:           4
        .value_kind:     by_value
      - .actual_access:  read_only
        .address_space:  global
        .offset:         56
        .size:           8
        .value_kind:     global_buffer
      - .offset:         64
        .size:           4
        .value_kind:     hidden_block_count_x
      - .offset:         68
        .size:           4
        .value_kind:     hidden_block_count_y
      - .offset:         72
        .size:           4
        .value_kind:     hidden_block_count_z
      - .offset:         76
        .size:           2
        .value_kind:     hidden_group_size_x
      - .offset:         78
        .size:           2
        .value_kind:     hidden_group_size_y
      - .offset:         80
        .size:           2
        .value_kind:     hidden_group_size_z
      - .offset:         82
        .size:           2
        .value_kind:     hidden_remainder_x
      - .offset:         84
        .size:           2
        .value_kind:     hidden_remainder_y
      - .offset:         86
        .size:           2
        .value_kind:     hidden_remainder_z
      - .offset:         104
        .size:           8
        .value_kind:     hidden_global_offset_x
      - .offset:         112
        .size:           8
        .value_kind:     hidden_global_offset_y
      - .offset:         120
        .size:           8
        .value_kind:     hidden_global_offset_z
      - .offset:         128
        .size:           2
        .value_kind:     hidden_grid_dims
    .group_segment_fixed_size: 260
    .kernarg_segment_align: 8
    .kernarg_segment_size: 320
    .language:       OpenCL C
    .language_version:
      - 2
      - 0
    .max_flat_workgroup_size: 64
    .name:           _Z35paged_attention_ll4mi_reduce_kernelIDF16_hLi64ELi64ELi256ELi2EEvPT0_PKfS3_PKT_PKiS8_iS3_
    .private_segment_fixed_size: 0
    .sgpr_count:     54
    .sgpr_spill_count: 0
    .symbol:         _Z35paged_attention_ll4mi_reduce_kernelIDF16_hLi64ELi64ELi256ELi2EEvPT0_PKfS3_PKT_PKiS8_iS3_.kd
    .uniform_work_group_size: 1
    .uses_dynamic_stack: false
    .vgpr_count:     48
    .vgpr_spill_count: 0
    .wavefront_size: 32
    .workgroup_processor_mode: 1
  - .args:
      - .actual_access:  write_only
        .address_space:  global
        .offset:         0
        .size:           8
        .value_kind:     global_buffer
      - .actual_access:  read_only
        .address_space:  global
        .offset:         8
        .size:           8
        .value_kind:     global_buffer
      - .actual_access:  read_only
        .address_space:  global
        .offset:         16
        .size:           8
        .value_kind:     global_buffer
      - .actual_access:  read_only
        .address_space:  global
        .offset:         24
        .size:           8
        .value_kind:     global_buffer
      - .actual_access:  read_only
        .address_space:  global
        .offset:         32
        .size:           8
        .value_kind:     global_buffer
      - .actual_access:  read_only
        .address_space:  global
        .offset:         40
        .size:           8
        .value_kind:     global_buffer
      - .offset:         48
        .size:           4
        .value_kind:     by_value
      - .actual_access:  read_only
        .address_space:  global
        .offset:         56
        .size:           8
        .value_kind:     global_buffer
      - .offset:         64
        .size:           4
        .value_kind:     hidden_block_count_x
      - .offset:         68
        .size:           4
        .value_kind:     hidden_block_count_y
      - .offset:         72
        .size:           4
        .value_kind:     hidden_block_count_z
      - .offset:         76
        .size:           2
        .value_kind:     hidden_group_size_x
      - .offset:         78
        .size:           2
        .value_kind:     hidden_group_size_y
      - .offset:         80
        .size:           2
        .value_kind:     hidden_group_size_z
      - .offset:         82
        .size:           2
        .value_kind:     hidden_remainder_x
      - .offset:         84
        .size:           2
        .value_kind:     hidden_remainder_y
      - .offset:         86
        .size:           2
        .value_kind:     hidden_remainder_z
      - .offset:         104
        .size:           8
        .value_kind:     hidden_global_offset_x
      - .offset:         112
        .size:           8
        .value_kind:     hidden_global_offset_y
      - .offset:         120
        .size:           8
        .value_kind:     hidden_global_offset_z
      - .offset:         128
        .size:           2
        .value_kind:     hidden_grid_dims
    .group_segment_fixed_size: 388
    .kernarg_segment_align: 8
    .kernarg_segment_size: 320
    .language:       OpenCL C
    .language_version:
      - 2
      - 0
    .max_flat_workgroup_size: 64
    .name:           _Z35paged_attention_ll4mi_reduce_kernelIDF16_hLi64ELi64ELi256ELi3EEvPT0_PKfS3_PKT_PKiS8_iS3_
    .private_segment_fixed_size: 0
    .sgpr_count:     54
    .sgpr_spill_count: 0
    .symbol:         _Z35paged_attention_ll4mi_reduce_kernelIDF16_hLi64ELi64ELi256ELi3EEvPT0_PKfS3_PKT_PKiS8_iS3_.kd
    .uniform_work_group_size: 1
    .uses_dynamic_stack: false
    .vgpr_count:     48
    .vgpr_spill_count: 0
    .wavefront_size: 32
    .workgroup_processor_mode: 1
  - .args:
      - .actual_access:  write_only
        .address_space:  global
        .offset:         0
        .size:           8
        .value_kind:     global_buffer
      - .actual_access:  read_only
        .address_space:  global
        .offset:         8
        .size:           8
        .value_kind:     global_buffer
      - .actual_access:  read_only
        .address_space:  global
        .offset:         16
        .size:           8
        .value_kind:     global_buffer
      - .actual_access:  read_only
        .address_space:  global
        .offset:         24
        .size:           8
        .value_kind:     global_buffer
      - .actual_access:  read_only
        .address_space:  global
        .offset:         32
        .size:           8
        .value_kind:     global_buffer
      - .actual_access:  read_only
        .address_space:  global
        .offset:         40
        .size:           8
        .value_kind:     global_buffer
      - .offset:         48
        .size:           4
        .value_kind:     by_value
      - .actual_access:  read_only
        .address_space:  global
        .offset:         56
        .size:           8
        .value_kind:     global_buffer
      - .offset:         64
        .size:           4
        .value_kind:     hidden_block_count_x
      - .offset:         68
        .size:           4
        .value_kind:     hidden_block_count_y
      - .offset:         72
        .size:           4
        .value_kind:     hidden_block_count_z
      - .offset:         76
        .size:           2
        .value_kind:     hidden_group_size_x
      - .offset:         78
        .size:           2
        .value_kind:     hidden_group_size_y
      - .offset:         80
        .size:           2
        .value_kind:     hidden_group_size_z
      - .offset:         82
        .size:           2
        .value_kind:     hidden_remainder_x
      - .offset:         84
        .size:           2
        .value_kind:     hidden_remainder_y
      - .offset:         86
        .size:           2
        .value_kind:     hidden_remainder_z
      - .offset:         104
        .size:           8
        .value_kind:     hidden_global_offset_x
      - .offset:         112
        .size:           8
        .value_kind:     hidden_global_offset_y
      - .offset:         120
        .size:           8
        .value_kind:     hidden_global_offset_z
      - .offset:         128
        .size:           2
        .value_kind:     hidden_grid_dims
    .group_segment_fixed_size: 516
    .kernarg_segment_align: 8
    .kernarg_segment_size: 320
    .language:       OpenCL C
    .language_version:
      - 2
      - 0
    .max_flat_workgroup_size: 64
    .name:           _Z35paged_attention_ll4mi_reduce_kernelIDF16_hLi64ELi64ELi256ELi4EEvPT0_PKfS3_PKT_PKiS8_iS3_
    .private_segment_fixed_size: 0
    .sgpr_count:     54
    .sgpr_spill_count: 0
    .symbol:         _Z35paged_attention_ll4mi_reduce_kernelIDF16_hLi64ELi64ELi256ELi4EEvPT0_PKfS3_PKT_PKiS8_iS3_.kd
    .uniform_work_group_size: 1
    .uses_dynamic_stack: false
    .vgpr_count:     48
    .vgpr_spill_count: 0
    .wavefront_size: 32
    .workgroup_processor_mode: 1
  - .args:
      - .actual_access:  write_only
        .address_space:  global
        .offset:         0
        .size:           8
        .value_kind:     global_buffer
      - .actual_access:  read_only
        .address_space:  global
        .offset:         8
        .size:           8
        .value_kind:     global_buffer
      - .actual_access:  read_only
        .address_space:  global
        .offset:         16
        .size:           8
        .value_kind:     global_buffer
      - .actual_access:  read_only
        .address_space:  global
        .offset:         24
        .size:           8
        .value_kind:     global_buffer
      - .actual_access:  read_only
        .address_space:  global
        .offset:         32
        .size:           8
        .value_kind:     global_buffer
      - .actual_access:  read_only
        .address_space:  global
        .offset:         40
        .size:           8
        .value_kind:     global_buffer
      - .offset:         48
        .size:           4
        .value_kind:     by_value
      - .actual_access:  read_only
        .address_space:  global
        .offset:         56
        .size:           8
        .value_kind:     global_buffer
      - .offset:         64
        .size:           4
        .value_kind:     hidden_block_count_x
      - .offset:         68
        .size:           4
        .value_kind:     hidden_block_count_y
      - .offset:         72
        .size:           4
        .value_kind:     hidden_block_count_z
      - .offset:         76
        .size:           2
        .value_kind:     hidden_group_size_x
      - .offset:         78
        .size:           2
        .value_kind:     hidden_group_size_y
      - .offset:         80
        .size:           2
        .value_kind:     hidden_group_size_z
      - .offset:         82
        .size:           2
        .value_kind:     hidden_remainder_x
      - .offset:         84
        .size:           2
        .value_kind:     hidden_remainder_y
      - .offset:         86
        .size:           2
        .value_kind:     hidden_remainder_z
      - .offset:         104
        .size:           8
        .value_kind:     hidden_global_offset_x
      - .offset:         112
        .size:           8
        .value_kind:     hidden_global_offset_y
      - .offset:         120
        .size:           8
        .value_kind:     hidden_global_offset_z
      - .offset:         128
        .size:           2
        .value_kind:     hidden_grid_dims
    .group_segment_fixed_size: 644
    .kernarg_segment_align: 8
    .kernarg_segment_size: 320
    .language:       OpenCL C
    .language_version:
      - 2
      - 0
    .max_flat_workgroup_size: 64
    .name:           _Z35paged_attention_ll4mi_reduce_kernelIDF16_hLi64ELi64ELi256ELi5EEvPT0_PKfS3_PKT_PKiS8_iS3_
    .private_segment_fixed_size: 0
    .sgpr_count:     54
    .sgpr_spill_count: 0
    .symbol:         _Z35paged_attention_ll4mi_reduce_kernelIDF16_hLi64ELi64ELi256ELi5EEvPT0_PKfS3_PKT_PKiS8_iS3_.kd
    .uniform_work_group_size: 1
    .uses_dynamic_stack: false
    .vgpr_count:     48
    .vgpr_spill_count: 0
    .wavefront_size: 32
    .workgroup_processor_mode: 1
  - .args:
      - .actual_access:  write_only
        .address_space:  global
        .offset:         0
        .size:           8
        .value_kind:     global_buffer
      - .actual_access:  read_only
        .address_space:  global
        .offset:         8
        .size:           8
        .value_kind:     global_buffer
      - .actual_access:  read_only
        .address_space:  global
        .offset:         16
        .size:           8
        .value_kind:     global_buffer
      - .actual_access:  read_only
        .address_space:  global
        .offset:         24
        .size:           8
        .value_kind:     global_buffer
      - .actual_access:  read_only
        .address_space:  global
        .offset:         32
        .size:           8
        .value_kind:     global_buffer
      - .actual_access:  read_only
        .address_space:  global
        .offset:         40
        .size:           8
        .value_kind:     global_buffer
      - .offset:         48
        .size:           4
        .value_kind:     by_value
      - .actual_access:  read_only
        .address_space:  global
        .offset:         56
        .size:           8
        .value_kind:     global_buffer
      - .offset:         64
        .size:           4
        .value_kind:     hidden_block_count_x
      - .offset:         68
        .size:           4
        .value_kind:     hidden_block_count_y
      - .offset:         72
        .size:           4
        .value_kind:     hidden_block_count_z
      - .offset:         76
        .size:           2
        .value_kind:     hidden_group_size_x
      - .offset:         78
        .size:           2
        .value_kind:     hidden_group_size_y
      - .offset:         80
        .size:           2
        .value_kind:     hidden_group_size_z
      - .offset:         82
        .size:           2
        .value_kind:     hidden_remainder_x
      - .offset:         84
        .size:           2
        .value_kind:     hidden_remainder_y
      - .offset:         86
        .size:           2
        .value_kind:     hidden_remainder_z
      - .offset:         104
        .size:           8
        .value_kind:     hidden_global_offset_x
      - .offset:         112
        .size:           8
        .value_kind:     hidden_global_offset_y
      - .offset:         120
        .size:           8
        .value_kind:     hidden_global_offset_z
      - .offset:         128
        .size:           2
        .value_kind:     hidden_grid_dims
    .group_segment_fixed_size: 772
    .kernarg_segment_align: 8
    .kernarg_segment_size: 320
    .language:       OpenCL C
    .language_version:
      - 2
      - 0
    .max_flat_workgroup_size: 64
    .name:           _Z35paged_attention_ll4mi_reduce_kernelIDF16_hLi64ELi64ELi256ELi6EEvPT0_PKfS3_PKT_PKiS8_iS3_
    .private_segment_fixed_size: 0
    .sgpr_count:     54
    .sgpr_spill_count: 0
    .symbol:         _Z35paged_attention_ll4mi_reduce_kernelIDF16_hLi64ELi64ELi256ELi6EEvPT0_PKfS3_PKT_PKiS8_iS3_.kd
    .uniform_work_group_size: 1
    .uses_dynamic_stack: false
    .vgpr_count:     48
    .vgpr_spill_count: 0
    .wavefront_size: 32
    .workgroup_processor_mode: 1
  - .args:
      - .actual_access:  write_only
        .address_space:  global
        .offset:         0
        .size:           8
        .value_kind:     global_buffer
      - .actual_access:  read_only
        .address_space:  global
        .offset:         8
        .size:           8
        .value_kind:     global_buffer
      - .actual_access:  read_only
        .address_space:  global
        .offset:         16
        .size:           8
        .value_kind:     global_buffer
      - .actual_access:  read_only
        .address_space:  global
        .offset:         24
        .size:           8
        .value_kind:     global_buffer
      - .actual_access:  read_only
        .address_space:  global
        .offset:         32
        .size:           8
        .value_kind:     global_buffer
      - .actual_access:  read_only
        .address_space:  global
        .offset:         40
        .size:           8
        .value_kind:     global_buffer
      - .offset:         48
        .size:           4
        .value_kind:     by_value
      - .actual_access:  read_only
        .address_space:  global
        .offset:         56
        .size:           8
        .value_kind:     global_buffer
      - .offset:         64
        .size:           4
        .value_kind:     hidden_block_count_x
      - .offset:         68
        .size:           4
        .value_kind:     hidden_block_count_y
      - .offset:         72
        .size:           4
        .value_kind:     hidden_block_count_z
      - .offset:         76
        .size:           2
        .value_kind:     hidden_group_size_x
      - .offset:         78
        .size:           2
        .value_kind:     hidden_group_size_y
      - .offset:         80
        .size:           2
        .value_kind:     hidden_group_size_z
      - .offset:         82
        .size:           2
        .value_kind:     hidden_remainder_x
      - .offset:         84
        .size:           2
        .value_kind:     hidden_remainder_y
      - .offset:         86
        .size:           2
        .value_kind:     hidden_remainder_z
      - .offset:         104
        .size:           8
        .value_kind:     hidden_global_offset_x
      - .offset:         112
        .size:           8
        .value_kind:     hidden_global_offset_y
      - .offset:         120
        .size:           8
        .value_kind:     hidden_global_offset_z
      - .offset:         128
        .size:           2
        .value_kind:     hidden_grid_dims
    .group_segment_fixed_size: 900
    .kernarg_segment_align: 8
    .kernarg_segment_size: 320
    .language:       OpenCL C
    .language_version:
      - 2
      - 0
    .max_flat_workgroup_size: 64
    .name:           _Z35paged_attention_ll4mi_reduce_kernelIDF16_hLi64ELi64ELi256ELi7EEvPT0_PKfS3_PKT_PKiS8_iS3_
    .private_segment_fixed_size: 0
    .sgpr_count:     49
    .sgpr_spill_count: 0
    .symbol:         _Z35paged_attention_ll4mi_reduce_kernelIDF16_hLi64ELi64ELi256ELi7EEvPT0_PKfS3_PKT_PKiS8_iS3_.kd
    .uniform_work_group_size: 1
    .uses_dynamic_stack: false
    .vgpr_count:     48
    .vgpr_spill_count: 0
    .wavefront_size: 32
    .workgroup_processor_mode: 1
  - .args:
      - .actual_access:  write_only
        .address_space:  global
        .offset:         0
        .size:           8
        .value_kind:     global_buffer
      - .actual_access:  read_only
        .address_space:  global
        .offset:         8
        .size:           8
        .value_kind:     global_buffer
      - .actual_access:  read_only
        .address_space:  global
        .offset:         16
        .size:           8
        .value_kind:     global_buffer
      - .actual_access:  read_only
        .address_space:  global
        .offset:         24
        .size:           8
        .value_kind:     global_buffer
      - .actual_access:  read_only
        .address_space:  global
        .offset:         32
        .size:           8
        .value_kind:     global_buffer
      - .actual_access:  read_only
        .address_space:  global
        .offset:         40
        .size:           8
        .value_kind:     global_buffer
      - .offset:         48
        .size:           4
        .value_kind:     by_value
      - .actual_access:  read_only
        .address_space:  global
        .offset:         56
        .size:           8
        .value_kind:     global_buffer
      - .offset:         64
        .size:           4
        .value_kind:     hidden_block_count_x
      - .offset:         68
        .size:           4
        .value_kind:     hidden_block_count_y
      - .offset:         72
        .size:           4
        .value_kind:     hidden_block_count_z
      - .offset:         76
        .size:           2
        .value_kind:     hidden_group_size_x
      - .offset:         78
        .size:           2
        .value_kind:     hidden_group_size_y
      - .offset:         80
        .size:           2
        .value_kind:     hidden_group_size_z
      - .offset:         82
        .size:           2
        .value_kind:     hidden_remainder_x
      - .offset:         84
        .size:           2
        .value_kind:     hidden_remainder_y
      - .offset:         86
        .size:           2
        .value_kind:     hidden_remainder_z
      - .offset:         104
        .size:           8
        .value_kind:     hidden_global_offset_x
      - .offset:         112
        .size:           8
        .value_kind:     hidden_global_offset_y
      - .offset:         120
        .size:           8
        .value_kind:     hidden_global_offset_z
      - .offset:         128
        .size:           2
        .value_kind:     hidden_grid_dims
    .group_segment_fixed_size: 1028
    .kernarg_segment_align: 8
    .kernarg_segment_size: 320
    .language:       OpenCL C
    .language_version:
      - 2
      - 0
    .max_flat_workgroup_size: 64
    .name:           _Z35paged_attention_ll4mi_reduce_kernelIDF16_hLi64ELi64ELi256ELi8EEvPT0_PKfS3_PKT_PKiS8_iS3_
    .private_segment_fixed_size: 0
    .sgpr_count:     49
    .sgpr_spill_count: 0
    .symbol:         _Z35paged_attention_ll4mi_reduce_kernelIDF16_hLi64ELi64ELi256ELi8EEvPT0_PKfS3_PKT_PKiS8_iS3_.kd
    .uniform_work_group_size: 1
    .uses_dynamic_stack: false
    .vgpr_count:     48
    .vgpr_spill_count: 0
    .wavefront_size: 32
    .workgroup_processor_mode: 1
  - .args:
      - .actual_access:  read_only
        .address_space:  global
        .offset:         0
        .size:           8
        .value_kind:     global_buffer
      - .actual_access:  read_only
        .address_space:  global
        .offset:         8
        .size:           8
        .value_kind:     global_buffer
      - .actual_access:  read_only
        .address_space:  global
        .offset:         16
        .size:           8
        .value_kind:     global_buffer
      - .offset:         24
        .size:           4
        .value_kind:     by_value
      - .offset:         28
        .size:           4
        .value_kind:     by_value
      - .actual_access:  read_only
        .address_space:  global
        .offset:         32
        .size:           8
        .value_kind:     global_buffer
      - .actual_access:  read_only
        .address_space:  global
        .offset:         40
        .size:           8
        .value_kind:     global_buffer
      - .actual_access:  read_only
        .address_space:  global
        .offset:         48
        .size:           8
        .value_kind:     global_buffer
      - .offset:         56
        .size:           4
        .value_kind:     by_value
      - .actual_access:  read_only
        .address_space:  global
        .offset:         64
        .size:           8
        .value_kind:     global_buffer
      - .offset:         72
        .size:           4
        .value_kind:     by_value
      - .offset:         76
        .size:           4
        .value_kind:     by_value
      - .offset:         80
        .size:           4
        .value_kind:     by_value
      - .actual_access:  write_only
        .address_space:  global
        .offset:         88
        .size:           8
        .value_kind:     global_buffer
      - .actual_access:  write_only
        .address_space:  global
        .offset:         96
        .size:           8
        .value_kind:     global_buffer
      - .actual_access:  write_only
        .address_space:  global
        .offset:         104
        .size:           8
        .value_kind:     global_buffer
      - .actual_access:  read_only
        .address_space:  global
        .offset:         112
        .size:           8
        .value_kind:     global_buffer
      - .offset:         120
        .size:           4
        .value_kind:     by_value
      - .address_space:  global
        .offset:         128
        .size:           8
        .value_kind:     global_buffer
      - .address_space:  global
        .offset:         136
        .size:           8
        .value_kind:     global_buffer
      - .offset:         144
        .size:           4
        .value_kind:     hidden_block_count_x
      - .offset:         148
        .size:           4
        .value_kind:     hidden_block_count_y
      - .offset:         152
        .size:           4
        .value_kind:     hidden_block_count_z
      - .offset:         156
        .size:           2
        .value_kind:     hidden_group_size_x
      - .offset:         158
        .size:           2
        .value_kind:     hidden_group_size_y
      - .offset:         160
        .size:           2
        .value_kind:     hidden_group_size_z
      - .offset:         162
        .size:           2
        .value_kind:     hidden_remainder_x
      - .offset:         164
        .size:           2
        .value_kind:     hidden_remainder_y
      - .offset:         166
        .size:           2
        .value_kind:     hidden_remainder_z
      - .offset:         184
        .size:           8
        .value_kind:     hidden_global_offset_x
      - .offset:         192
        .size:           8
        .value_kind:     hidden_global_offset_y
      - .offset:         200
        .size:           8
        .value_kind:     hidden_global_offset_z
      - .offset:         208
        .size:           2
        .value_kind:     hidden_grid_dims
    .group_segment_fixed_size: 17472
    .kernarg_segment_align: 8
    .kernarg_segment_size: 400
    .language:       OpenCL C
    .language_version:
      - 2
      - 0
    .max_flat_workgroup_size: 256
    .name:           _Z39paged_attention_ll4mi_QKV_mfma16_kernelIDF16_DF16_LN4vllm18Fp8KVCacheDataTypeE0EhLi16ELi64ELi256ELb1ELi1EL8MFMAType0EEvPKT_PKT0_S8_ifPKiSA_SA_iPKfiiiPfSD_PS3_PT2_iSC_SC_
    .private_segment_fixed_size: 0
    .sgpr_count:     72
    .sgpr_spill_count: 0
    .symbol:         _Z39paged_attention_ll4mi_QKV_mfma16_kernelIDF16_DF16_LN4vllm18Fp8KVCacheDataTypeE0EhLi16ELi64ELi256ELb1ELi1EL8MFMAType0EEvPKT_PKT0_S8_ifPKiSA_SA_iPKfiiiPfSD_PS3_PT2_iSC_SC_.kd
    .uniform_work_group_size: 1
    .uses_dynamic_stack: false
    .vgpr_count:     195
    .vgpr_spill_count: 0
    .wavefront_size: 32
    .workgroup_processor_mode: 1
  - .args:
      - .actual_access:  read_only
        .address_space:  global
        .offset:         0
        .size:           8
        .value_kind:     global_buffer
      - .actual_access:  read_only
        .address_space:  global
        .offset:         8
        .size:           8
        .value_kind:     global_buffer
      - .actual_access:  read_only
        .address_space:  global
        .offset:         16
        .size:           8
        .value_kind:     global_buffer
      - .offset:         24
        .size:           4
        .value_kind:     by_value
      - .offset:         28
        .size:           4
        .value_kind:     by_value
      - .actual_access:  read_only
        .address_space:  global
        .offset:         32
        .size:           8
        .value_kind:     global_buffer
      - .actual_access:  read_only
        .address_space:  global
        .offset:         40
        .size:           8
        .value_kind:     global_buffer
      - .actual_access:  read_only
        .address_space:  global
        .offset:         48
        .size:           8
        .value_kind:     global_buffer
      - .offset:         56
        .size:           4
        .value_kind:     by_value
      - .actual_access:  read_only
        .address_space:  global
        .offset:         64
        .size:           8
        .value_kind:     global_buffer
      - .offset:         72
        .size:           4
        .value_kind:     by_value
      - .offset:         76
        .size:           4
        .value_kind:     by_value
      - .offset:         80
        .size:           4
        .value_kind:     by_value
      - .actual_access:  write_only
        .address_space:  global
        .offset:         88
        .size:           8
        .value_kind:     global_buffer
      - .actual_access:  write_only
        .address_space:  global
        .offset:         96
        .size:           8
        .value_kind:     global_buffer
      - .actual_access:  write_only
        .address_space:  global
        .offset:         104
        .size:           8
        .value_kind:     global_buffer
      - .actual_access:  read_only
        .address_space:  global
        .offset:         112
        .size:           8
        .value_kind:     global_buffer
      - .offset:         120
        .size:           4
        .value_kind:     by_value
      - .address_space:  global
        .offset:         128
        .size:           8
        .value_kind:     global_buffer
      - .address_space:  global
        .offset:         136
        .size:           8
        .value_kind:     global_buffer
      - .offset:         144
        .size:           4
        .value_kind:     hidden_block_count_x
      - .offset:         148
        .size:           4
        .value_kind:     hidden_block_count_y
      - .offset:         152
        .size:           4
        .value_kind:     hidden_block_count_z
      - .offset:         156
        .size:           2
        .value_kind:     hidden_group_size_x
      - .offset:         158
        .size:           2
        .value_kind:     hidden_group_size_y
      - .offset:         160
        .size:           2
        .value_kind:     hidden_group_size_z
      - .offset:         162
        .size:           2
        .value_kind:     hidden_remainder_x
      - .offset:         164
        .size:           2
        .value_kind:     hidden_remainder_y
      - .offset:         166
        .size:           2
        .value_kind:     hidden_remainder_z
      - .offset:         184
        .size:           8
        .value_kind:     hidden_global_offset_x
      - .offset:         192
        .size:           8
        .value_kind:     hidden_global_offset_y
      - .offset:         200
        .size:           8
        .value_kind:     hidden_global_offset_z
      - .offset:         208
        .size:           2
        .value_kind:     hidden_grid_dims
    .group_segment_fixed_size: 17472
    .kernarg_segment_align: 8
    .kernarg_segment_size: 400
    .language:       OpenCL C
    .language_version:
      - 2
      - 0
    .max_flat_workgroup_size: 256
    .name:           _Z39paged_attention_ll4mi_QKV_mfma16_kernelIDF16_DF16_LN4vllm18Fp8KVCacheDataTypeE0EhLi16ELi64ELi256ELb1ELi2EL8MFMAType0EEvPKT_PKT0_S8_ifPKiSA_SA_iPKfiiiPfSD_PS3_PT2_iSC_SC_
    .private_segment_fixed_size: 0
    .sgpr_count:     54
    .sgpr_spill_count: 0
    .symbol:         _Z39paged_attention_ll4mi_QKV_mfma16_kernelIDF16_DF16_LN4vllm18Fp8KVCacheDataTypeE0EhLi16ELi64ELi256ELb1ELi2EL8MFMAType0EEvPKT_PKT0_S8_ifPKiSA_SA_iPKfiiiPfSD_PS3_PT2_iSC_SC_.kd
    .uniform_work_group_size: 1
    .uses_dynamic_stack: false
    .vgpr_count:     202
    .vgpr_spill_count: 0
    .wavefront_size: 32
    .workgroup_processor_mode: 1
  - .args:
      - .actual_access:  read_only
        .address_space:  global
        .offset:         0
        .size:           8
        .value_kind:     global_buffer
      - .actual_access:  read_only
        .address_space:  global
        .offset:         8
        .size:           8
        .value_kind:     global_buffer
      - .actual_access:  read_only
        .address_space:  global
        .offset:         16
        .size:           8
        .value_kind:     global_buffer
      - .offset:         24
        .size:           4
        .value_kind:     by_value
      - .offset:         28
        .size:           4
        .value_kind:     by_value
      - .actual_access:  read_only
        .address_space:  global
        .offset:         32
        .size:           8
        .value_kind:     global_buffer
      - .actual_access:  read_only
        .address_space:  global
        .offset:         40
        .size:           8
        .value_kind:     global_buffer
      - .actual_access:  read_only
        .address_space:  global
        .offset:         48
        .size:           8
        .value_kind:     global_buffer
      - .offset:         56
        .size:           4
        .value_kind:     by_value
      - .actual_access:  read_only
        .address_space:  global
        .offset:         64
        .size:           8
        .value_kind:     global_buffer
      - .offset:         72
        .size:           4
        .value_kind:     by_value
      - .offset:         76
        .size:           4
        .value_kind:     by_value
      - .offset:         80
        .size:           4
        .value_kind:     by_value
      - .actual_access:  write_only
        .address_space:  global
        .offset:         88
        .size:           8
        .value_kind:     global_buffer
      - .actual_access:  write_only
        .address_space:  global
        .offset:         96
        .size:           8
        .value_kind:     global_buffer
      - .actual_access:  write_only
        .address_space:  global
        .offset:         104
        .size:           8
        .value_kind:     global_buffer
      - .actual_access:  read_only
        .address_space:  global
        .offset:         112
        .size:           8
        .value_kind:     global_buffer
      - .offset:         120
        .size:           4
        .value_kind:     by_value
      - .address_space:  global
        .offset:         128
        .size:           8
        .value_kind:     global_buffer
      - .address_space:  global
        .offset:         136
        .size:           8
        .value_kind:     global_buffer
      - .offset:         144
        .size:           4
        .value_kind:     hidden_block_count_x
      - .offset:         148
        .size:           4
        .value_kind:     hidden_block_count_y
      - .offset:         152
        .size:           4
        .value_kind:     hidden_block_count_z
      - .offset:         156
        .size:           2
        .value_kind:     hidden_group_size_x
      - .offset:         158
        .size:           2
        .value_kind:     hidden_group_size_y
      - .offset:         160
        .size:           2
        .value_kind:     hidden_group_size_z
      - .offset:         162
        .size:           2
        .value_kind:     hidden_remainder_x
      - .offset:         164
        .size:           2
        .value_kind:     hidden_remainder_y
      - .offset:         166
        .size:           2
        .value_kind:     hidden_remainder_z
      - .offset:         184
        .size:           8
        .value_kind:     hidden_global_offset_x
      - .offset:         192
        .size:           8
        .value_kind:     hidden_global_offset_y
      - .offset:         200
        .size:           8
        .value_kind:     hidden_global_offset_z
      - .offset:         208
        .size:           2
        .value_kind:     hidden_grid_dims
    .group_segment_fixed_size: 17472
    .kernarg_segment_align: 8
    .kernarg_segment_size: 400
    .language:       OpenCL C
    .language_version:
      - 2
      - 0
    .max_flat_workgroup_size: 256
    .name:           _Z39paged_attention_ll4mi_QKV_mfma16_kernelIDF16_DF16_LN4vllm18Fp8KVCacheDataTypeE0EhLi16ELi64ELi256ELb1ELi3EL8MFMAType0EEvPKT_PKT0_S8_ifPKiSA_SA_iPKfiiiPfSD_PS3_PT2_iSC_SC_
    .private_segment_fixed_size: 0
    .sgpr_count:     54
    .sgpr_spill_count: 0
    .symbol:         _Z39paged_attention_ll4mi_QKV_mfma16_kernelIDF16_DF16_LN4vllm18Fp8KVCacheDataTypeE0EhLi16ELi64ELi256ELb1ELi3EL8MFMAType0EEvPKT_PKT0_S8_ifPKiSA_SA_iPKfiiiPfSD_PS3_PT2_iSC_SC_.kd
    .uniform_work_group_size: 1
    .uses_dynamic_stack: false
    .vgpr_count:     198
    .vgpr_spill_count: 0
    .wavefront_size: 32
    .workgroup_processor_mode: 1
  - .args:
      - .actual_access:  read_only
        .address_space:  global
        .offset:         0
        .size:           8
        .value_kind:     global_buffer
      - .actual_access:  read_only
        .address_space:  global
        .offset:         8
        .size:           8
        .value_kind:     global_buffer
      - .actual_access:  read_only
        .address_space:  global
        .offset:         16
        .size:           8
        .value_kind:     global_buffer
      - .offset:         24
        .size:           4
        .value_kind:     by_value
      - .offset:         28
        .size:           4
        .value_kind:     by_value
      - .actual_access:  read_only
        .address_space:  global
        .offset:         32
        .size:           8
        .value_kind:     global_buffer
      - .actual_access:  read_only
        .address_space:  global
        .offset:         40
        .size:           8
        .value_kind:     global_buffer
      - .actual_access:  read_only
        .address_space:  global
        .offset:         48
        .size:           8
        .value_kind:     global_buffer
      - .offset:         56
        .size:           4
        .value_kind:     by_value
      - .actual_access:  read_only
        .address_space:  global
        .offset:         64
        .size:           8
        .value_kind:     global_buffer
      - .offset:         72
        .size:           4
        .value_kind:     by_value
      - .offset:         76
        .size:           4
        .value_kind:     by_value
      - .offset:         80
        .size:           4
        .value_kind:     by_value
      - .actual_access:  write_only
        .address_space:  global
        .offset:         88
        .size:           8
        .value_kind:     global_buffer
      - .actual_access:  write_only
        .address_space:  global
        .offset:         96
        .size:           8
        .value_kind:     global_buffer
      - .actual_access:  write_only
        .address_space:  global
        .offset:         104
        .size:           8
        .value_kind:     global_buffer
      - .actual_access:  read_only
        .address_space:  global
        .offset:         112
        .size:           8
        .value_kind:     global_buffer
      - .offset:         120
        .size:           4
        .value_kind:     by_value
      - .address_space:  global
        .offset:         128
        .size:           8
        .value_kind:     global_buffer
      - .address_space:  global
        .offset:         136
        .size:           8
        .value_kind:     global_buffer
      - .offset:         144
        .size:           4
        .value_kind:     hidden_block_count_x
      - .offset:         148
        .size:           4
        .value_kind:     hidden_block_count_y
      - .offset:         152
        .size:           4
        .value_kind:     hidden_block_count_z
      - .offset:         156
        .size:           2
        .value_kind:     hidden_group_size_x
      - .offset:         158
        .size:           2
        .value_kind:     hidden_group_size_y
      - .offset:         160
        .size:           2
        .value_kind:     hidden_group_size_z
      - .offset:         162
        .size:           2
        .value_kind:     hidden_remainder_x
      - .offset:         164
        .size:           2
        .value_kind:     hidden_remainder_y
      - .offset:         166
        .size:           2
        .value_kind:     hidden_remainder_z
      - .offset:         184
        .size:           8
        .value_kind:     hidden_global_offset_x
      - .offset:         192
        .size:           8
        .value_kind:     hidden_global_offset_y
      - .offset:         200
        .size:           8
        .value_kind:     hidden_global_offset_z
      - .offset:         208
        .size:           2
        .value_kind:     hidden_grid_dims
    .group_segment_fixed_size: 17472
    .kernarg_segment_align: 8
    .kernarg_segment_size: 400
    .language:       OpenCL C
    .language_version:
      - 2
      - 0
    .max_flat_workgroup_size: 256
    .name:           _Z39paged_attention_ll4mi_QKV_mfma16_kernelIDF16_DF16_LN4vllm18Fp8KVCacheDataTypeE0EhLi16ELi64ELi256ELb1ELi4EL8MFMAType0EEvPKT_PKT0_S8_ifPKiSA_SA_iPKfiiiPfSD_PS3_PT2_iSC_SC_
    .private_segment_fixed_size: 0
    .sgpr_count:     54
    .sgpr_spill_count: 0
    .symbol:         _Z39paged_attention_ll4mi_QKV_mfma16_kernelIDF16_DF16_LN4vllm18Fp8KVCacheDataTypeE0EhLi16ELi64ELi256ELb1ELi4EL8MFMAType0EEvPKT_PKT0_S8_ifPKiSA_SA_iPKfiiiPfSD_PS3_PT2_iSC_SC_.kd
    .uniform_work_group_size: 1
    .uses_dynamic_stack: false
    .vgpr_count:     198
    .vgpr_spill_count: 0
    .wavefront_size: 32
    .workgroup_processor_mode: 1
  - .args:
      - .actual_access:  write_only
        .address_space:  global
        .offset:         0
        .size:           8
        .value_kind:     global_buffer
      - .actual_access:  read_only
        .address_space:  global
        .offset:         8
        .size:           8
        .value_kind:     global_buffer
      - .actual_access:  read_only
        .address_space:  global
        .offset:         16
        .size:           8
        .value_kind:     global_buffer
      - .actual_access:  read_only
        .address_space:  global
        .offset:         24
        .size:           8
        .value_kind:     global_buffer
      - .actual_access:  read_only
        .address_space:  global
        .offset:         32
        .size:           8
        .value_kind:     global_buffer
      - .actual_access:  read_only
        .address_space:  global
        .offset:         40
        .size:           8
        .value_kind:     global_buffer
      - .offset:         48
        .size:           4
        .value_kind:     by_value
      - .actual_access:  read_only
        .address_space:  global
        .offset:         56
        .size:           8
        .value_kind:     global_buffer
      - .offset:         64
        .size:           4
        .value_kind:     hidden_block_count_x
      - .offset:         68
        .size:           4
        .value_kind:     hidden_block_count_y
      - .offset:         72
        .size:           4
        .value_kind:     hidden_block_count_z
      - .offset:         76
        .size:           2
        .value_kind:     hidden_group_size_x
      - .offset:         78
        .size:           2
        .value_kind:     hidden_group_size_y
      - .offset:         80
        .size:           2
        .value_kind:     hidden_group_size_z
      - .offset:         82
        .size:           2
        .value_kind:     hidden_remainder_x
      - .offset:         84
        .size:           2
        .value_kind:     hidden_remainder_y
      - .offset:         86
        .size:           2
        .value_kind:     hidden_remainder_z
      - .offset:         104
        .size:           8
        .value_kind:     hidden_global_offset_x
      - .offset:         112
        .size:           8
        .value_kind:     hidden_global_offset_y
      - .offset:         120
        .size:           8
        .value_kind:     hidden_global_offset_z
      - .offset:         128
        .size:           2
        .value_kind:     hidden_grid_dims
    .group_segment_fixed_size: 1156
    .kernarg_segment_align: 8
    .kernarg_segment_size: 320
    .language:       OpenCL C
    .language_version:
      - 2
      - 0
    .max_flat_workgroup_size: 64
    .name:           _Z35paged_attention_ll4mi_reduce_kernelIDF16_hLi64ELi64ELi256ELi9EEvPT0_PKfS3_PKT_PKiS8_iS3_
    .private_segment_fixed_size: 0
    .sgpr_count:     49
    .sgpr_spill_count: 0
    .symbol:         _Z35paged_attention_ll4mi_reduce_kernelIDF16_hLi64ELi64ELi256ELi9EEvPT0_PKfS3_PKT_PKiS8_iS3_.kd
    .uniform_work_group_size: 1
    .uses_dynamic_stack: false
    .vgpr_count:     52
    .vgpr_spill_count: 0
    .wavefront_size: 32
    .workgroup_processor_mode: 1
  - .args:
      - .actual_access:  write_only
        .address_space:  global
        .offset:         0
        .size:           8
        .value_kind:     global_buffer
      - .actual_access:  read_only
        .address_space:  global
        .offset:         8
        .size:           8
        .value_kind:     global_buffer
      - .actual_access:  read_only
        .address_space:  global
        .offset:         16
        .size:           8
        .value_kind:     global_buffer
      - .actual_access:  read_only
        .address_space:  global
        .offset:         24
        .size:           8
        .value_kind:     global_buffer
      - .actual_access:  read_only
        .address_space:  global
        .offset:         32
        .size:           8
        .value_kind:     global_buffer
      - .actual_access:  read_only
        .address_space:  global
        .offset:         40
        .size:           8
        .value_kind:     global_buffer
      - .offset:         48
        .size:           4
        .value_kind:     by_value
      - .actual_access:  read_only
        .address_space:  global
        .offset:         56
        .size:           8
        .value_kind:     global_buffer
      - .offset:         64
        .size:           4
        .value_kind:     hidden_block_count_x
      - .offset:         68
        .size:           4
        .value_kind:     hidden_block_count_y
      - .offset:         72
        .size:           4
        .value_kind:     hidden_block_count_z
      - .offset:         76
        .size:           2
        .value_kind:     hidden_group_size_x
      - .offset:         78
        .size:           2
        .value_kind:     hidden_group_size_y
      - .offset:         80
        .size:           2
        .value_kind:     hidden_group_size_z
      - .offset:         82
        .size:           2
        .value_kind:     hidden_remainder_x
      - .offset:         84
        .size:           2
        .value_kind:     hidden_remainder_y
      - .offset:         86
        .size:           2
        .value_kind:     hidden_remainder_z
      - .offset:         104
        .size:           8
        .value_kind:     hidden_global_offset_x
      - .offset:         112
        .size:           8
        .value_kind:     hidden_global_offset_y
      - .offset:         120
        .size:           8
        .value_kind:     hidden_global_offset_z
      - .offset:         128
        .size:           2
        .value_kind:     hidden_grid_dims
    .group_segment_fixed_size: 1284
    .kernarg_segment_align: 8
    .kernarg_segment_size: 320
    .language:       OpenCL C
    .language_version:
      - 2
      - 0
    .max_flat_workgroup_size: 64
    .name:           _Z35paged_attention_ll4mi_reduce_kernelIDF16_hLi64ELi64ELi256ELi10EEvPT0_PKfS3_PKT_PKiS8_iS3_
    .private_segment_fixed_size: 0
    .sgpr_count:     49
    .sgpr_spill_count: 0
    .symbol:         _Z35paged_attention_ll4mi_reduce_kernelIDF16_hLi64ELi64ELi256ELi10EEvPT0_PKfS3_PKT_PKiS8_iS3_.kd
    .uniform_work_group_size: 1
    .uses_dynamic_stack: false
    .vgpr_count:     57
    .vgpr_spill_count: 0
    .wavefront_size: 32
    .workgroup_processor_mode: 1
  - .args:
      - .actual_access:  write_only
        .address_space:  global
        .offset:         0
        .size:           8
        .value_kind:     global_buffer
      - .actual_access:  read_only
        .address_space:  global
        .offset:         8
        .size:           8
        .value_kind:     global_buffer
      - .actual_access:  read_only
        .address_space:  global
        .offset:         16
        .size:           8
        .value_kind:     global_buffer
      - .actual_access:  read_only
        .address_space:  global
        .offset:         24
        .size:           8
        .value_kind:     global_buffer
      - .actual_access:  read_only
        .address_space:  global
        .offset:         32
        .size:           8
        .value_kind:     global_buffer
      - .actual_access:  read_only
        .address_space:  global
        .offset:         40
        .size:           8
        .value_kind:     global_buffer
      - .offset:         48
        .size:           4
        .value_kind:     by_value
      - .actual_access:  read_only
        .address_space:  global
        .offset:         56
        .size:           8
        .value_kind:     global_buffer
      - .offset:         64
        .size:           4
        .value_kind:     hidden_block_count_x
      - .offset:         68
        .size:           4
        .value_kind:     hidden_block_count_y
      - .offset:         72
        .size:           4
        .value_kind:     hidden_block_count_z
      - .offset:         76
        .size:           2
        .value_kind:     hidden_group_size_x
      - .offset:         78
        .size:           2
        .value_kind:     hidden_group_size_y
      - .offset:         80
        .size:           2
        .value_kind:     hidden_group_size_z
      - .offset:         82
        .size:           2
        .value_kind:     hidden_remainder_x
      - .offset:         84
        .size:           2
        .value_kind:     hidden_remainder_y
      - .offset:         86
        .size:           2
        .value_kind:     hidden_remainder_z
      - .offset:         104
        .size:           8
        .value_kind:     hidden_global_offset_x
      - .offset:         112
        .size:           8
        .value_kind:     hidden_global_offset_y
      - .offset:         120
        .size:           8
        .value_kind:     hidden_global_offset_z
      - .offset:         128
        .size:           2
        .value_kind:     hidden_grid_dims
    .group_segment_fixed_size: 1412
    .kernarg_segment_align: 8
    .kernarg_segment_size: 320
    .language:       OpenCL C
    .language_version:
      - 2
      - 0
    .max_flat_workgroup_size: 64
    .name:           _Z35paged_attention_ll4mi_reduce_kernelIDF16_hLi64ELi64ELi256ELi11EEvPT0_PKfS3_PKT_PKiS8_iS3_
    .private_segment_fixed_size: 0
    .sgpr_count:     49
    .sgpr_spill_count: 0
    .symbol:         _Z35paged_attention_ll4mi_reduce_kernelIDF16_hLi64ELi64ELi256ELi11EEvPT0_PKfS3_PKT_PKiS8_iS3_.kd
    .uniform_work_group_size: 1
    .uses_dynamic_stack: false
    .vgpr_count:     62
    .vgpr_spill_count: 0
    .wavefront_size: 32
    .workgroup_processor_mode: 1
  - .args:
      - .actual_access:  write_only
        .address_space:  global
        .offset:         0
        .size:           8
        .value_kind:     global_buffer
      - .actual_access:  read_only
        .address_space:  global
        .offset:         8
        .size:           8
        .value_kind:     global_buffer
      - .actual_access:  read_only
        .address_space:  global
        .offset:         16
        .size:           8
        .value_kind:     global_buffer
      - .actual_access:  read_only
        .address_space:  global
        .offset:         24
        .size:           8
        .value_kind:     global_buffer
      - .actual_access:  read_only
        .address_space:  global
        .offset:         32
        .size:           8
        .value_kind:     global_buffer
      - .actual_access:  read_only
        .address_space:  global
        .offset:         40
        .size:           8
        .value_kind:     global_buffer
      - .offset:         48
        .size:           4
        .value_kind:     by_value
      - .actual_access:  read_only
        .address_space:  global
        .offset:         56
        .size:           8
        .value_kind:     global_buffer
      - .offset:         64
        .size:           4
        .value_kind:     hidden_block_count_x
      - .offset:         68
        .size:           4
        .value_kind:     hidden_block_count_y
      - .offset:         72
        .size:           4
        .value_kind:     hidden_block_count_z
      - .offset:         76
        .size:           2
        .value_kind:     hidden_group_size_x
      - .offset:         78
        .size:           2
        .value_kind:     hidden_group_size_y
      - .offset:         80
        .size:           2
        .value_kind:     hidden_group_size_z
      - .offset:         82
        .size:           2
        .value_kind:     hidden_remainder_x
      - .offset:         84
        .size:           2
        .value_kind:     hidden_remainder_y
      - .offset:         86
        .size:           2
        .value_kind:     hidden_remainder_z
      - .offset:         104
        .size:           8
        .value_kind:     hidden_global_offset_x
      - .offset:         112
        .size:           8
        .value_kind:     hidden_global_offset_y
      - .offset:         120
        .size:           8
        .value_kind:     hidden_global_offset_z
      - .offset:         128
        .size:           2
        .value_kind:     hidden_grid_dims
    .group_segment_fixed_size: 1540
    .kernarg_segment_align: 8
    .kernarg_segment_size: 320
    .language:       OpenCL C
    .language_version:
      - 2
      - 0
    .max_flat_workgroup_size: 64
    .name:           _Z35paged_attention_ll4mi_reduce_kernelIDF16_hLi64ELi64ELi256ELi12EEvPT0_PKfS3_PKT_PKiS8_iS3_
    .private_segment_fixed_size: 0
    .sgpr_count:     49
    .sgpr_spill_count: 0
    .symbol:         _Z35paged_attention_ll4mi_reduce_kernelIDF16_hLi64ELi64ELi256ELi12EEvPT0_PKfS3_PKT_PKiS8_iS3_.kd
    .uniform_work_group_size: 1
    .uses_dynamic_stack: false
    .vgpr_count:     67
    .vgpr_spill_count: 0
    .wavefront_size: 32
    .workgroup_processor_mode: 1
  - .args:
      - .actual_access:  write_only
        .address_space:  global
        .offset:         0
        .size:           8
        .value_kind:     global_buffer
      - .actual_access:  read_only
        .address_space:  global
        .offset:         8
        .size:           8
        .value_kind:     global_buffer
      - .actual_access:  read_only
        .address_space:  global
        .offset:         16
        .size:           8
        .value_kind:     global_buffer
      - .actual_access:  read_only
        .address_space:  global
        .offset:         24
        .size:           8
        .value_kind:     global_buffer
      - .actual_access:  read_only
        .address_space:  global
        .offset:         32
        .size:           8
        .value_kind:     global_buffer
      - .actual_access:  read_only
        .address_space:  global
        .offset:         40
        .size:           8
        .value_kind:     global_buffer
      - .offset:         48
        .size:           4
        .value_kind:     by_value
      - .actual_access:  read_only
        .address_space:  global
        .offset:         56
        .size:           8
        .value_kind:     global_buffer
      - .offset:         64
        .size:           4
        .value_kind:     hidden_block_count_x
      - .offset:         68
        .size:           4
        .value_kind:     hidden_block_count_y
      - .offset:         72
        .size:           4
        .value_kind:     hidden_block_count_z
      - .offset:         76
        .size:           2
        .value_kind:     hidden_group_size_x
      - .offset:         78
        .size:           2
        .value_kind:     hidden_group_size_y
      - .offset:         80
        .size:           2
        .value_kind:     hidden_group_size_z
      - .offset:         82
        .size:           2
        .value_kind:     hidden_remainder_x
      - .offset:         84
        .size:           2
        .value_kind:     hidden_remainder_y
      - .offset:         86
        .size:           2
        .value_kind:     hidden_remainder_z
      - .offset:         104
        .size:           8
        .value_kind:     hidden_global_offset_x
      - .offset:         112
        .size:           8
        .value_kind:     hidden_global_offset_y
      - .offset:         120
        .size:           8
        .value_kind:     hidden_global_offset_z
      - .offset:         128
        .size:           2
        .value_kind:     hidden_grid_dims
    .group_segment_fixed_size: 1668
    .kernarg_segment_align: 8
    .kernarg_segment_size: 320
    .language:       OpenCL C
    .language_version:
      - 2
      - 0
    .max_flat_workgroup_size: 64
    .name:           _Z35paged_attention_ll4mi_reduce_kernelIDF16_hLi64ELi64ELi256ELi13EEvPT0_PKfS3_PKT_PKiS8_iS3_
    .private_segment_fixed_size: 0
    .sgpr_count:     49
    .sgpr_spill_count: 0
    .symbol:         _Z35paged_attention_ll4mi_reduce_kernelIDF16_hLi64ELi64ELi256ELi13EEvPT0_PKfS3_PKT_PKiS8_iS3_.kd
    .uniform_work_group_size: 1
    .uses_dynamic_stack: false
    .vgpr_count:     68
    .vgpr_spill_count: 0
    .wavefront_size: 32
    .workgroup_processor_mode: 1
  - .args:
      - .actual_access:  write_only
        .address_space:  global
        .offset:         0
        .size:           8
        .value_kind:     global_buffer
      - .actual_access:  read_only
        .address_space:  global
        .offset:         8
        .size:           8
        .value_kind:     global_buffer
      - .actual_access:  read_only
        .address_space:  global
        .offset:         16
        .size:           8
        .value_kind:     global_buffer
      - .actual_access:  read_only
        .address_space:  global
        .offset:         24
        .size:           8
        .value_kind:     global_buffer
      - .actual_access:  read_only
        .address_space:  global
        .offset:         32
        .size:           8
        .value_kind:     global_buffer
      - .actual_access:  read_only
        .address_space:  global
        .offset:         40
        .size:           8
        .value_kind:     global_buffer
      - .offset:         48
        .size:           4
        .value_kind:     by_value
      - .actual_access:  read_only
        .address_space:  global
        .offset:         56
        .size:           8
        .value_kind:     global_buffer
      - .offset:         64
        .size:           4
        .value_kind:     hidden_block_count_x
      - .offset:         68
        .size:           4
        .value_kind:     hidden_block_count_y
      - .offset:         72
        .size:           4
        .value_kind:     hidden_block_count_z
      - .offset:         76
        .size:           2
        .value_kind:     hidden_group_size_x
      - .offset:         78
        .size:           2
        .value_kind:     hidden_group_size_y
      - .offset:         80
        .size:           2
        .value_kind:     hidden_group_size_z
      - .offset:         82
        .size:           2
        .value_kind:     hidden_remainder_x
      - .offset:         84
        .size:           2
        .value_kind:     hidden_remainder_y
      - .offset:         86
        .size:           2
        .value_kind:     hidden_remainder_z
      - .offset:         104
        .size:           8
        .value_kind:     hidden_global_offset_x
      - .offset:         112
        .size:           8
        .value_kind:     hidden_global_offset_y
      - .offset:         120
        .size:           8
        .value_kind:     hidden_global_offset_z
      - .offset:         128
        .size:           2
        .value_kind:     hidden_grid_dims
    .group_segment_fixed_size: 1796
    .kernarg_segment_align: 8
    .kernarg_segment_size: 320
    .language:       OpenCL C
    .language_version:
      - 2
      - 0
    .max_flat_workgroup_size: 64
    .name:           _Z35paged_attention_ll4mi_reduce_kernelIDF16_hLi64ELi64ELi256ELi14EEvPT0_PKfS3_PKT_PKiS8_iS3_
    .private_segment_fixed_size: 0
    .sgpr_count:     49
    .sgpr_spill_count: 0
    .symbol:         _Z35paged_attention_ll4mi_reduce_kernelIDF16_hLi64ELi64ELi256ELi14EEvPT0_PKfS3_PKT_PKiS8_iS3_.kd
    .uniform_work_group_size: 1
    .uses_dynamic_stack: false
    .vgpr_count:     77
    .vgpr_spill_count: 0
    .wavefront_size: 32
    .workgroup_processor_mode: 1
  - .args:
      - .actual_access:  write_only
        .address_space:  global
        .offset:         0
        .size:           8
        .value_kind:     global_buffer
      - .actual_access:  read_only
        .address_space:  global
        .offset:         8
        .size:           8
        .value_kind:     global_buffer
      - .actual_access:  read_only
        .address_space:  global
        .offset:         16
        .size:           8
        .value_kind:     global_buffer
      - .actual_access:  read_only
        .address_space:  global
        .offset:         24
        .size:           8
        .value_kind:     global_buffer
      - .actual_access:  read_only
        .address_space:  global
        .offset:         32
        .size:           8
        .value_kind:     global_buffer
      - .actual_access:  read_only
        .address_space:  global
        .offset:         40
        .size:           8
        .value_kind:     global_buffer
      - .offset:         48
        .size:           4
        .value_kind:     by_value
      - .actual_access:  read_only
        .address_space:  global
        .offset:         56
        .size:           8
        .value_kind:     global_buffer
      - .offset:         64
        .size:           4
        .value_kind:     hidden_block_count_x
      - .offset:         68
        .size:           4
        .value_kind:     hidden_block_count_y
      - .offset:         72
        .size:           4
        .value_kind:     hidden_block_count_z
      - .offset:         76
        .size:           2
        .value_kind:     hidden_group_size_x
      - .offset:         78
        .size:           2
        .value_kind:     hidden_group_size_y
      - .offset:         80
        .size:           2
        .value_kind:     hidden_group_size_z
      - .offset:         82
        .size:           2
        .value_kind:     hidden_remainder_x
      - .offset:         84
        .size:           2
        .value_kind:     hidden_remainder_y
      - .offset:         86
        .size:           2
        .value_kind:     hidden_remainder_z
      - .offset:         104
        .size:           8
        .value_kind:     hidden_global_offset_x
      - .offset:         112
        .size:           8
        .value_kind:     hidden_global_offset_y
      - .offset:         120
        .size:           8
        .value_kind:     hidden_global_offset_z
      - .offset:         128
        .size:           2
        .value_kind:     hidden_grid_dims
    .group_segment_fixed_size: 1924
    .kernarg_segment_align: 8
    .kernarg_segment_size: 320
    .language:       OpenCL C
    .language_version:
      - 2
      - 0
    .max_flat_workgroup_size: 64
    .name:           _Z35paged_attention_ll4mi_reduce_kernelIDF16_hLi64ELi64ELi256ELi15EEvPT0_PKfS3_PKT_PKiS8_iS3_
    .private_segment_fixed_size: 0
    .sgpr_count:     49
    .sgpr_spill_count: 0
    .symbol:         _Z35paged_attention_ll4mi_reduce_kernelIDF16_hLi64ELi64ELi256ELi15EEvPT0_PKfS3_PKT_PKiS8_iS3_.kd
    .uniform_work_group_size: 1
    .uses_dynamic_stack: false
    .vgpr_count:     77
    .vgpr_spill_count: 0
    .wavefront_size: 32
    .workgroup_processor_mode: 1
  - .args:
      - .actual_access:  write_only
        .address_space:  global
        .offset:         0
        .size:           8
        .value_kind:     global_buffer
      - .actual_access:  read_only
        .address_space:  global
        .offset:         8
        .size:           8
        .value_kind:     global_buffer
      - .actual_access:  read_only
        .address_space:  global
        .offset:         16
        .size:           8
        .value_kind:     global_buffer
      - .actual_access:  read_only
        .address_space:  global
        .offset:         24
        .size:           8
        .value_kind:     global_buffer
      - .actual_access:  read_only
        .address_space:  global
        .offset:         32
        .size:           8
        .value_kind:     global_buffer
      - .actual_access:  read_only
        .address_space:  global
        .offset:         40
        .size:           8
        .value_kind:     global_buffer
      - .offset:         48
        .size:           4
        .value_kind:     by_value
      - .actual_access:  read_only
        .address_space:  global
        .offset:         56
        .size:           8
        .value_kind:     global_buffer
      - .offset:         64
        .size:           4
        .value_kind:     hidden_block_count_x
      - .offset:         68
        .size:           4
        .value_kind:     hidden_block_count_y
      - .offset:         72
        .size:           4
        .value_kind:     hidden_block_count_z
      - .offset:         76
        .size:           2
        .value_kind:     hidden_group_size_x
      - .offset:         78
        .size:           2
        .value_kind:     hidden_group_size_y
      - .offset:         80
        .size:           2
        .value_kind:     hidden_group_size_z
      - .offset:         82
        .size:           2
        .value_kind:     hidden_remainder_x
      - .offset:         84
        .size:           2
        .value_kind:     hidden_remainder_y
      - .offset:         86
        .size:           2
        .value_kind:     hidden_remainder_z
      - .offset:         104
        .size:           8
        .value_kind:     hidden_global_offset_x
      - .offset:         112
        .size:           8
        .value_kind:     hidden_global_offset_y
      - .offset:         120
        .size:           8
        .value_kind:     hidden_global_offset_z
      - .offset:         128
        .size:           2
        .value_kind:     hidden_grid_dims
    .group_segment_fixed_size: 2052
    .kernarg_segment_align: 8
    .kernarg_segment_size: 320
    .language:       OpenCL C
    .language_version:
      - 2
      - 0
    .max_flat_workgroup_size: 64
    .name:           _Z35paged_attention_ll4mi_reduce_kernelIDF16_hLi64ELi64ELi256ELi16EEvPT0_PKfS3_PKT_PKiS8_iS3_
    .private_segment_fixed_size: 0
    .sgpr_count:     49
    .sgpr_spill_count: 0
    .symbol:         _Z35paged_attention_ll4mi_reduce_kernelIDF16_hLi64ELi64ELi256ELi16EEvPT0_PKfS3_PKT_PKiS8_iS3_.kd
    .uniform_work_group_size: 1
    .uses_dynamic_stack: false
    .vgpr_count:     87
    .vgpr_spill_count: 0
    .wavefront_size: 32
    .workgroup_processor_mode: 1
  - .args:
      - .actual_access:  read_only
        .address_space:  global
        .offset:         0
        .size:           8
        .value_kind:     global_buffer
      - .actual_access:  read_only
        .address_space:  global
        .offset:         8
        .size:           8
        .value_kind:     global_buffer
      - .actual_access:  read_only
        .address_space:  global
        .offset:         16
        .size:           8
        .value_kind:     global_buffer
      - .offset:         24
        .size:           4
        .value_kind:     by_value
      - .offset:         28
        .size:           4
        .value_kind:     by_value
      - .actual_access:  read_only
        .address_space:  global
        .offset:         32
        .size:           8
        .value_kind:     global_buffer
      - .actual_access:  read_only
        .address_space:  global
        .offset:         40
        .size:           8
        .value_kind:     global_buffer
      - .actual_access:  read_only
        .address_space:  global
        .offset:         48
        .size:           8
        .value_kind:     global_buffer
      - .offset:         56
        .size:           4
        .value_kind:     by_value
      - .actual_access:  read_only
        .address_space:  global
        .offset:         64
        .size:           8
        .value_kind:     global_buffer
      - .offset:         72
        .size:           4
        .value_kind:     by_value
      - .offset:         76
        .size:           4
        .value_kind:     by_value
      - .offset:         80
        .size:           4
        .value_kind:     by_value
      - .actual_access:  read_only
        .address_space:  global
        .offset:         88
        .size:           8
        .value_kind:     global_buffer
      - .actual_access:  read_only
        .address_space:  global
        .offset:         96
        .size:           8
        .value_kind:     global_buffer
      - .actual_access:  read_only
        .address_space:  global
        .offset:         104
        .size:           8
        .value_kind:     global_buffer
      - .actual_access:  read_only
        .address_space:  global
        .offset:         112
        .size:           8
        .value_kind:     global_buffer
      - .offset:         120
        .size:           4
        .value_kind:     by_value
      - .address_space:  global
        .offset:         128
        .size:           8
        .value_kind:     global_buffer
      - .address_space:  global
        .offset:         136
        .size:           8
        .value_kind:     global_buffer
      - .offset:         144
        .size:           4
        .value_kind:     hidden_block_count_x
      - .offset:         148
        .size:           4
        .value_kind:     hidden_block_count_y
      - .offset:         152
        .size:           4
        .value_kind:     hidden_block_count_z
      - .offset:         156
        .size:           2
        .value_kind:     hidden_group_size_x
      - .offset:         158
        .size:           2
        .value_kind:     hidden_group_size_y
      - .offset:         160
        .size:           2
        .value_kind:     hidden_group_size_z
      - .offset:         162
        .size:           2
        .value_kind:     hidden_remainder_x
      - .offset:         164
        .size:           2
        .value_kind:     hidden_remainder_y
      - .offset:         166
        .size:           2
        .value_kind:     hidden_remainder_z
      - .offset:         184
        .size:           8
        .value_kind:     hidden_global_offset_x
      - .offset:         192
        .size:           8
        .value_kind:     hidden_global_offset_y
      - .offset:         200
        .size:           8
        .value_kind:     hidden_global_offset_z
      - .offset:         208
        .size:           2
        .value_kind:     hidden_grid_dims
      - .offset:         224
        .size:           8
        .value_kind:     hidden_hostcall_buffer
    .group_segment_fixed_size: 0
    .kernarg_segment_align: 8
    .kernarg_segment_size: 400
    .language:       OpenCL C
    .language_version:
      - 2
      - 0
    .max_flat_workgroup_size: 256
    .name:           _Z38paged_attention_ll4mi_QKV_mfma4_kernelIDF16_DF16_LN4vllm18Fp8KVCacheDataTypeE0EhLi16ELi64ELi256ELb0ELi1EEvPKT_PKT0_S7_ifPKiS9_S9_iPKfiiiPfSC_PS2_PT2_iSB_SB_
    .private_segment_fixed_size: 64
    .sgpr_count:     36
    .sgpr_spill_count: 0
    .symbol:         _Z38paged_attention_ll4mi_QKV_mfma4_kernelIDF16_DF16_LN4vllm18Fp8KVCacheDataTypeE0EhLi16ELi64ELi256ELb0ELi1EEvPKT_PKT0_S7_ifPKiS9_S9_iPKfiiiPfSC_PS2_PT2_iSB_SB_.kd
    .uniform_work_group_size: 1
    .uses_dynamic_stack: false
    .vgpr_count:     41
    .vgpr_spill_count: 0
    .wavefront_size: 32
    .workgroup_processor_mode: 1
  - .args:
      - .actual_access:  read_only
        .address_space:  global
        .offset:         0
        .size:           8
        .value_kind:     global_buffer
      - .actual_access:  read_only
        .address_space:  global
        .offset:         8
        .size:           8
        .value_kind:     global_buffer
      - .actual_access:  read_only
        .address_space:  global
        .offset:         16
        .size:           8
        .value_kind:     global_buffer
      - .offset:         24
        .size:           4
        .value_kind:     by_value
      - .offset:         28
        .size:           4
        .value_kind:     by_value
      - .actual_access:  read_only
        .address_space:  global
        .offset:         32
        .size:           8
        .value_kind:     global_buffer
      - .actual_access:  read_only
        .address_space:  global
        .offset:         40
        .size:           8
        .value_kind:     global_buffer
      - .actual_access:  read_only
        .address_space:  global
        .offset:         48
        .size:           8
        .value_kind:     global_buffer
      - .offset:         56
        .size:           4
        .value_kind:     by_value
      - .actual_access:  read_only
        .address_space:  global
        .offset:         64
        .size:           8
        .value_kind:     global_buffer
      - .offset:         72
        .size:           4
        .value_kind:     by_value
      - .offset:         76
        .size:           4
        .value_kind:     by_value
      - .offset:         80
        .size:           4
        .value_kind:     by_value
      - .actual_access:  read_only
        .address_space:  global
        .offset:         88
        .size:           8
        .value_kind:     global_buffer
      - .actual_access:  read_only
        .address_space:  global
        .offset:         96
        .size:           8
        .value_kind:     global_buffer
      - .actual_access:  read_only
        .address_space:  global
        .offset:         104
        .size:           8
        .value_kind:     global_buffer
      - .actual_access:  read_only
        .address_space:  global
        .offset:         112
        .size:           8
        .value_kind:     global_buffer
      - .offset:         120
        .size:           4
        .value_kind:     by_value
      - .address_space:  global
        .offset:         128
        .size:           8
        .value_kind:     global_buffer
      - .address_space:  global
        .offset:         136
        .size:           8
        .value_kind:     global_buffer
      - .offset:         144
        .size:           4
        .value_kind:     hidden_block_count_x
      - .offset:         148
        .size:           4
        .value_kind:     hidden_block_count_y
      - .offset:         152
        .size:           4
        .value_kind:     hidden_block_count_z
      - .offset:         156
        .size:           2
        .value_kind:     hidden_group_size_x
      - .offset:         158
        .size:           2
        .value_kind:     hidden_group_size_y
      - .offset:         160
        .size:           2
        .value_kind:     hidden_group_size_z
      - .offset:         162
        .size:           2
        .value_kind:     hidden_remainder_x
      - .offset:         164
        .size:           2
        .value_kind:     hidden_remainder_y
      - .offset:         166
        .size:           2
        .value_kind:     hidden_remainder_z
      - .offset:         184
        .size:           8
        .value_kind:     hidden_global_offset_x
      - .offset:         192
        .size:           8
        .value_kind:     hidden_global_offset_y
      - .offset:         200
        .size:           8
        .value_kind:     hidden_global_offset_z
      - .offset:         208
        .size:           2
        .value_kind:     hidden_grid_dims
      - .offset:         224
        .size:           8
        .value_kind:     hidden_hostcall_buffer
    .group_segment_fixed_size: 0
    .kernarg_segment_align: 8
    .kernarg_segment_size: 400
    .language:       OpenCL C
    .language_version:
      - 2
      - 0
    .max_flat_workgroup_size: 256
    .name:           _Z38paged_attention_ll4mi_QKV_mfma4_kernelIDF16_DF16_LN4vllm18Fp8KVCacheDataTypeE0EhLi16ELi64ELi256ELb0ELi2EEvPKT_PKT0_S7_ifPKiS9_S9_iPKfiiiPfSC_PS2_PT2_iSB_SB_
    .private_segment_fixed_size: 64
    .sgpr_count:     36
    .sgpr_spill_count: 0
    .symbol:         _Z38paged_attention_ll4mi_QKV_mfma4_kernelIDF16_DF16_LN4vllm18Fp8KVCacheDataTypeE0EhLi16ELi64ELi256ELb0ELi2EEvPKT_PKT0_S7_ifPKiS9_S9_iPKfiiiPfSC_PS2_PT2_iSB_SB_.kd
    .uniform_work_group_size: 1
    .uses_dynamic_stack: false
    .vgpr_count:     41
    .vgpr_spill_count: 0
    .wavefront_size: 32
    .workgroup_processor_mode: 1
  - .args:
      - .actual_access:  read_only
        .address_space:  global
        .offset:         0
        .size:           8
        .value_kind:     global_buffer
      - .actual_access:  read_only
        .address_space:  global
        .offset:         8
        .size:           8
        .value_kind:     global_buffer
      - .actual_access:  read_only
        .address_space:  global
        .offset:         16
        .size:           8
        .value_kind:     global_buffer
      - .offset:         24
        .size:           4
        .value_kind:     by_value
      - .offset:         28
        .size:           4
        .value_kind:     by_value
      - .actual_access:  read_only
        .address_space:  global
        .offset:         32
        .size:           8
        .value_kind:     global_buffer
      - .actual_access:  read_only
        .address_space:  global
        .offset:         40
        .size:           8
        .value_kind:     global_buffer
      - .actual_access:  read_only
        .address_space:  global
        .offset:         48
        .size:           8
        .value_kind:     global_buffer
      - .offset:         56
        .size:           4
        .value_kind:     by_value
      - .actual_access:  read_only
        .address_space:  global
        .offset:         64
        .size:           8
        .value_kind:     global_buffer
      - .offset:         72
        .size:           4
        .value_kind:     by_value
      - .offset:         76
        .size:           4
        .value_kind:     by_value
      - .offset:         80
        .size:           4
        .value_kind:     by_value
      - .actual_access:  read_only
        .address_space:  global
        .offset:         88
        .size:           8
        .value_kind:     global_buffer
      - .actual_access:  read_only
        .address_space:  global
        .offset:         96
        .size:           8
        .value_kind:     global_buffer
      - .actual_access:  read_only
        .address_space:  global
        .offset:         104
        .size:           8
        .value_kind:     global_buffer
      - .actual_access:  read_only
        .address_space:  global
        .offset:         112
        .size:           8
        .value_kind:     global_buffer
      - .offset:         120
        .size:           4
        .value_kind:     by_value
      - .address_space:  global
        .offset:         128
        .size:           8
        .value_kind:     global_buffer
      - .address_space:  global
        .offset:         136
        .size:           8
        .value_kind:     global_buffer
      - .offset:         144
        .size:           4
        .value_kind:     hidden_block_count_x
      - .offset:         148
        .size:           4
        .value_kind:     hidden_block_count_y
      - .offset:         152
        .size:           4
        .value_kind:     hidden_block_count_z
      - .offset:         156
        .size:           2
        .value_kind:     hidden_group_size_x
      - .offset:         158
        .size:           2
        .value_kind:     hidden_group_size_y
      - .offset:         160
        .size:           2
        .value_kind:     hidden_group_size_z
      - .offset:         162
        .size:           2
        .value_kind:     hidden_remainder_x
      - .offset:         164
        .size:           2
        .value_kind:     hidden_remainder_y
      - .offset:         166
        .size:           2
        .value_kind:     hidden_remainder_z
      - .offset:         184
        .size:           8
        .value_kind:     hidden_global_offset_x
      - .offset:         192
        .size:           8
        .value_kind:     hidden_global_offset_y
      - .offset:         200
        .size:           8
        .value_kind:     hidden_global_offset_z
      - .offset:         208
        .size:           2
        .value_kind:     hidden_grid_dims
      - .offset:         224
        .size:           8
        .value_kind:     hidden_hostcall_buffer
    .group_segment_fixed_size: 0
    .kernarg_segment_align: 8
    .kernarg_segment_size: 400
    .language:       OpenCL C
    .language_version:
      - 2
      - 0
    .max_flat_workgroup_size: 256
    .name:           _Z38paged_attention_ll4mi_QKV_mfma4_kernelIDF16_DF16_LN4vllm18Fp8KVCacheDataTypeE0EhLi16ELi64ELi256ELb0ELi3EEvPKT_PKT0_S7_ifPKiS9_S9_iPKfiiiPfSC_PS2_PT2_iSB_SB_
    .private_segment_fixed_size: 64
    .sgpr_count:     36
    .sgpr_spill_count: 0
    .symbol:         _Z38paged_attention_ll4mi_QKV_mfma4_kernelIDF16_DF16_LN4vllm18Fp8KVCacheDataTypeE0EhLi16ELi64ELi256ELb0ELi3EEvPKT_PKT0_S7_ifPKiS9_S9_iPKfiiiPfSC_PS2_PT2_iSB_SB_.kd
    .uniform_work_group_size: 1
    .uses_dynamic_stack: false
    .vgpr_count:     41
    .vgpr_spill_count: 0
    .wavefront_size: 32
    .workgroup_processor_mode: 1
  - .args:
      - .actual_access:  read_only
        .address_space:  global
        .offset:         0
        .size:           8
        .value_kind:     global_buffer
      - .actual_access:  read_only
        .address_space:  global
        .offset:         8
        .size:           8
        .value_kind:     global_buffer
      - .actual_access:  read_only
        .address_space:  global
        .offset:         16
        .size:           8
        .value_kind:     global_buffer
      - .offset:         24
        .size:           4
        .value_kind:     by_value
      - .offset:         28
        .size:           4
        .value_kind:     by_value
      - .actual_access:  read_only
        .address_space:  global
        .offset:         32
        .size:           8
        .value_kind:     global_buffer
      - .actual_access:  read_only
        .address_space:  global
        .offset:         40
        .size:           8
        .value_kind:     global_buffer
      - .actual_access:  read_only
        .address_space:  global
        .offset:         48
        .size:           8
        .value_kind:     global_buffer
      - .offset:         56
        .size:           4
        .value_kind:     by_value
      - .actual_access:  read_only
        .address_space:  global
        .offset:         64
        .size:           8
        .value_kind:     global_buffer
      - .offset:         72
        .size:           4
        .value_kind:     by_value
      - .offset:         76
        .size:           4
        .value_kind:     by_value
      - .offset:         80
        .size:           4
        .value_kind:     by_value
      - .actual_access:  read_only
        .address_space:  global
        .offset:         88
        .size:           8
        .value_kind:     global_buffer
      - .actual_access:  read_only
        .address_space:  global
        .offset:         96
        .size:           8
        .value_kind:     global_buffer
      - .actual_access:  read_only
        .address_space:  global
        .offset:         104
        .size:           8
        .value_kind:     global_buffer
      - .actual_access:  read_only
        .address_space:  global
        .offset:         112
        .size:           8
        .value_kind:     global_buffer
      - .offset:         120
        .size:           4
        .value_kind:     by_value
      - .address_space:  global
        .offset:         128
        .size:           8
        .value_kind:     global_buffer
      - .address_space:  global
        .offset:         136
        .size:           8
        .value_kind:     global_buffer
      - .offset:         144
        .size:           4
        .value_kind:     hidden_block_count_x
      - .offset:         148
        .size:           4
        .value_kind:     hidden_block_count_y
      - .offset:         152
        .size:           4
        .value_kind:     hidden_block_count_z
      - .offset:         156
        .size:           2
        .value_kind:     hidden_group_size_x
      - .offset:         158
        .size:           2
        .value_kind:     hidden_group_size_y
      - .offset:         160
        .size:           2
        .value_kind:     hidden_group_size_z
      - .offset:         162
        .size:           2
        .value_kind:     hidden_remainder_x
      - .offset:         164
        .size:           2
        .value_kind:     hidden_remainder_y
      - .offset:         166
        .size:           2
        .value_kind:     hidden_remainder_z
      - .offset:         184
        .size:           8
        .value_kind:     hidden_global_offset_x
      - .offset:         192
        .size:           8
        .value_kind:     hidden_global_offset_y
      - .offset:         200
        .size:           8
        .value_kind:     hidden_global_offset_z
      - .offset:         208
        .size:           2
        .value_kind:     hidden_grid_dims
      - .offset:         224
        .size:           8
        .value_kind:     hidden_hostcall_buffer
    .group_segment_fixed_size: 0
    .kernarg_segment_align: 8
    .kernarg_segment_size: 400
    .language:       OpenCL C
    .language_version:
      - 2
      - 0
    .max_flat_workgroup_size: 256
    .name:           _Z38paged_attention_ll4mi_QKV_mfma4_kernelIDF16_DF16_LN4vllm18Fp8KVCacheDataTypeE0EhLi16ELi64ELi256ELb0ELi4EEvPKT_PKT0_S7_ifPKiS9_S9_iPKfiiiPfSC_PS2_PT2_iSB_SB_
    .private_segment_fixed_size: 64
    .sgpr_count:     36
    .sgpr_spill_count: 0
    .symbol:         _Z38paged_attention_ll4mi_QKV_mfma4_kernelIDF16_DF16_LN4vllm18Fp8KVCacheDataTypeE0EhLi16ELi64ELi256ELb0ELi4EEvPKT_PKT0_S7_ifPKiS9_S9_iPKfiiiPfSC_PS2_PT2_iSB_SB_.kd
    .uniform_work_group_size: 1
    .uses_dynamic_stack: false
    .vgpr_count:     41
    .vgpr_spill_count: 0
    .wavefront_size: 32
    .workgroup_processor_mode: 1
  - .args:
      - .actual_access:  read_only
        .address_space:  global
        .offset:         0
        .size:           8
        .value_kind:     global_buffer
      - .actual_access:  read_only
        .address_space:  global
        .offset:         8
        .size:           8
        .value_kind:     global_buffer
      - .actual_access:  read_only
        .address_space:  global
        .offset:         16
        .size:           8
        .value_kind:     global_buffer
      - .offset:         24
        .size:           4
        .value_kind:     by_value
      - .offset:         28
        .size:           4
        .value_kind:     by_value
      - .actual_access:  read_only
        .address_space:  global
        .offset:         32
        .size:           8
        .value_kind:     global_buffer
      - .actual_access:  read_only
        .address_space:  global
        .offset:         40
        .size:           8
        .value_kind:     global_buffer
      - .actual_access:  read_only
        .address_space:  global
        .offset:         48
        .size:           8
        .value_kind:     global_buffer
      - .offset:         56
        .size:           4
        .value_kind:     by_value
      - .actual_access:  read_only
        .address_space:  global
        .offset:         64
        .size:           8
        .value_kind:     global_buffer
      - .offset:         72
        .size:           4
        .value_kind:     by_value
      - .offset:         76
        .size:           4
        .value_kind:     by_value
      - .offset:         80
        .size:           4
        .value_kind:     by_value
      - .actual_access:  write_only
        .address_space:  global
        .offset:         88
        .size:           8
        .value_kind:     global_buffer
      - .actual_access:  write_only
        .address_space:  global
        .offset:         96
        .size:           8
        .value_kind:     global_buffer
      - .actual_access:  write_only
        .address_space:  global
        .offset:         104
        .size:           8
        .value_kind:     global_buffer
      - .actual_access:  read_only
        .address_space:  global
        .offset:         112
        .size:           8
        .value_kind:     global_buffer
      - .offset:         120
        .size:           4
        .value_kind:     by_value
      - .address_space:  global
        .offset:         128
        .size:           8
        .value_kind:     global_buffer
      - .address_space:  global
        .offset:         136
        .size:           8
        .value_kind:     global_buffer
      - .offset:         144
        .size:           4
        .value_kind:     hidden_block_count_x
      - .offset:         148
        .size:           4
        .value_kind:     hidden_block_count_y
      - .offset:         152
        .size:           4
        .value_kind:     hidden_block_count_z
      - .offset:         156
        .size:           2
        .value_kind:     hidden_group_size_x
      - .offset:         158
        .size:           2
        .value_kind:     hidden_group_size_y
      - .offset:         160
        .size:           2
        .value_kind:     hidden_group_size_z
      - .offset:         162
        .size:           2
        .value_kind:     hidden_remainder_x
      - .offset:         164
        .size:           2
        .value_kind:     hidden_remainder_y
      - .offset:         166
        .size:           2
        .value_kind:     hidden_remainder_z
      - .offset:         184
        .size:           8
        .value_kind:     hidden_global_offset_x
      - .offset:         192
        .size:           8
        .value_kind:     hidden_global_offset_y
      - .offset:         200
        .size:           8
        .value_kind:     hidden_global_offset_z
      - .offset:         208
        .size:           2
        .value_kind:     hidden_grid_dims
    .group_segment_fixed_size: 17472
    .kernarg_segment_align: 8
    .kernarg_segment_size: 400
    .language:       OpenCL C
    .language_version:
      - 2
      - 0
    .max_flat_workgroup_size: 256
    .name:           _Z39paged_attention_ll4mi_QKV_mfma16_kernelIDF16_DF16_LN4vllm18Fp8KVCacheDataTypeE0EhLi16ELi64ELi256ELb0ELi5EL8MFMAType0EEvPKT_PKT0_S8_ifPKiSA_SA_iPKfiiiPfSD_PS3_PT2_iSC_SC_
    .private_segment_fixed_size: 0
    .sgpr_count:     54
    .sgpr_spill_count: 0
    .symbol:         _Z39paged_attention_ll4mi_QKV_mfma16_kernelIDF16_DF16_LN4vllm18Fp8KVCacheDataTypeE0EhLi16ELi64ELi256ELb0ELi5EL8MFMAType0EEvPKT_PKT0_S8_ifPKiSA_SA_iPKfiiiPfSD_PS3_PT2_iSC_SC_.kd
    .uniform_work_group_size: 1
    .uses_dynamic_stack: false
    .vgpr_count:     198
    .vgpr_spill_count: 0
    .wavefront_size: 32
    .workgroup_processor_mode: 1
  - .args:
      - .actual_access:  read_only
        .address_space:  global
        .offset:         0
        .size:           8
        .value_kind:     global_buffer
      - .actual_access:  read_only
        .address_space:  global
        .offset:         8
        .size:           8
        .value_kind:     global_buffer
      - .actual_access:  read_only
        .address_space:  global
        .offset:         16
        .size:           8
        .value_kind:     global_buffer
      - .offset:         24
        .size:           4
        .value_kind:     by_value
      - .offset:         28
        .size:           4
        .value_kind:     by_value
      - .actual_access:  read_only
        .address_space:  global
        .offset:         32
        .size:           8
        .value_kind:     global_buffer
      - .actual_access:  read_only
        .address_space:  global
        .offset:         40
        .size:           8
        .value_kind:     global_buffer
      - .actual_access:  read_only
        .address_space:  global
        .offset:         48
        .size:           8
        .value_kind:     global_buffer
      - .offset:         56
        .size:           4
        .value_kind:     by_value
      - .actual_access:  read_only
        .address_space:  global
        .offset:         64
        .size:           8
        .value_kind:     global_buffer
      - .offset:         72
        .size:           4
        .value_kind:     by_value
      - .offset:         76
        .size:           4
        .value_kind:     by_value
      - .offset:         80
        .size:           4
        .value_kind:     by_value
      - .actual_access:  write_only
        .address_space:  global
        .offset:         88
        .size:           8
        .value_kind:     global_buffer
      - .actual_access:  write_only
        .address_space:  global
        .offset:         96
        .size:           8
        .value_kind:     global_buffer
      - .actual_access:  write_only
        .address_space:  global
        .offset:         104
        .size:           8
        .value_kind:     global_buffer
      - .actual_access:  read_only
        .address_space:  global
        .offset:         112
        .size:           8
        .value_kind:     global_buffer
      - .offset:         120
        .size:           4
        .value_kind:     by_value
      - .address_space:  global
        .offset:         128
        .size:           8
        .value_kind:     global_buffer
      - .address_space:  global
        .offset:         136
        .size:           8
        .value_kind:     global_buffer
      - .offset:         144
        .size:           4
        .value_kind:     hidden_block_count_x
      - .offset:         148
        .size:           4
        .value_kind:     hidden_block_count_y
      - .offset:         152
        .size:           4
        .value_kind:     hidden_block_count_z
      - .offset:         156
        .size:           2
        .value_kind:     hidden_group_size_x
      - .offset:         158
        .size:           2
        .value_kind:     hidden_group_size_y
      - .offset:         160
        .size:           2
        .value_kind:     hidden_group_size_z
      - .offset:         162
        .size:           2
        .value_kind:     hidden_remainder_x
      - .offset:         164
        .size:           2
        .value_kind:     hidden_remainder_y
      - .offset:         166
        .size:           2
        .value_kind:     hidden_remainder_z
      - .offset:         184
        .size:           8
        .value_kind:     hidden_global_offset_x
      - .offset:         192
        .size:           8
        .value_kind:     hidden_global_offset_y
      - .offset:         200
        .size:           8
        .value_kind:     hidden_global_offset_z
      - .offset:         208
        .size:           2
        .value_kind:     hidden_grid_dims
    .group_segment_fixed_size: 17472
    .kernarg_segment_align: 8
    .kernarg_segment_size: 400
    .language:       OpenCL C
    .language_version:
      - 2
      - 0
    .max_flat_workgroup_size: 256
    .name:           _Z39paged_attention_ll4mi_QKV_mfma16_kernelIDF16_DF16_LN4vllm18Fp8KVCacheDataTypeE0EhLi16ELi64ELi256ELb0ELi6EL8MFMAType0EEvPKT_PKT0_S8_ifPKiSA_SA_iPKfiiiPfSD_PS3_PT2_iSC_SC_
    .private_segment_fixed_size: 0
    .sgpr_count:     54
    .sgpr_spill_count: 0
    .symbol:         _Z39paged_attention_ll4mi_QKV_mfma16_kernelIDF16_DF16_LN4vllm18Fp8KVCacheDataTypeE0EhLi16ELi64ELi256ELb0ELi6EL8MFMAType0EEvPKT_PKT0_S8_ifPKiSA_SA_iPKfiiiPfSD_PS3_PT2_iSC_SC_.kd
    .uniform_work_group_size: 1
    .uses_dynamic_stack: false
    .vgpr_count:     198
    .vgpr_spill_count: 0
    .wavefront_size: 32
    .workgroup_processor_mode: 1
  - .args:
      - .actual_access:  read_only
        .address_space:  global
        .offset:         0
        .size:           8
        .value_kind:     global_buffer
      - .actual_access:  read_only
        .address_space:  global
        .offset:         8
        .size:           8
        .value_kind:     global_buffer
      - .actual_access:  read_only
        .address_space:  global
        .offset:         16
        .size:           8
        .value_kind:     global_buffer
      - .offset:         24
        .size:           4
        .value_kind:     by_value
      - .offset:         28
        .size:           4
        .value_kind:     by_value
      - .actual_access:  read_only
        .address_space:  global
        .offset:         32
        .size:           8
        .value_kind:     global_buffer
      - .actual_access:  read_only
        .address_space:  global
        .offset:         40
        .size:           8
        .value_kind:     global_buffer
      - .actual_access:  read_only
        .address_space:  global
        .offset:         48
        .size:           8
        .value_kind:     global_buffer
      - .offset:         56
        .size:           4
        .value_kind:     by_value
      - .actual_access:  read_only
        .address_space:  global
        .offset:         64
        .size:           8
        .value_kind:     global_buffer
      - .offset:         72
        .size:           4
        .value_kind:     by_value
      - .offset:         76
        .size:           4
        .value_kind:     by_value
      - .offset:         80
        .size:           4
        .value_kind:     by_value
      - .actual_access:  write_only
        .address_space:  global
        .offset:         88
        .size:           8
        .value_kind:     global_buffer
      - .actual_access:  write_only
        .address_space:  global
        .offset:         96
        .size:           8
        .value_kind:     global_buffer
      - .actual_access:  write_only
        .address_space:  global
        .offset:         104
        .size:           8
        .value_kind:     global_buffer
      - .actual_access:  read_only
        .address_space:  global
        .offset:         112
        .size:           8
        .value_kind:     global_buffer
      - .offset:         120
        .size:           4
        .value_kind:     by_value
      - .address_space:  global
        .offset:         128
        .size:           8
        .value_kind:     global_buffer
      - .address_space:  global
        .offset:         136
        .size:           8
        .value_kind:     global_buffer
      - .offset:         144
        .size:           4
        .value_kind:     hidden_block_count_x
      - .offset:         148
        .size:           4
        .value_kind:     hidden_block_count_y
      - .offset:         152
        .size:           4
        .value_kind:     hidden_block_count_z
      - .offset:         156
        .size:           2
        .value_kind:     hidden_group_size_x
      - .offset:         158
        .size:           2
        .value_kind:     hidden_group_size_y
      - .offset:         160
        .size:           2
        .value_kind:     hidden_group_size_z
      - .offset:         162
        .size:           2
        .value_kind:     hidden_remainder_x
      - .offset:         164
        .size:           2
        .value_kind:     hidden_remainder_y
      - .offset:         166
        .size:           2
        .value_kind:     hidden_remainder_z
      - .offset:         184
        .size:           8
        .value_kind:     hidden_global_offset_x
      - .offset:         192
        .size:           8
        .value_kind:     hidden_global_offset_y
      - .offset:         200
        .size:           8
        .value_kind:     hidden_global_offset_z
      - .offset:         208
        .size:           2
        .value_kind:     hidden_grid_dims
    .group_segment_fixed_size: 17472
    .kernarg_segment_align: 8
    .kernarg_segment_size: 400
    .language:       OpenCL C
    .language_version:
      - 2
      - 0
    .max_flat_workgroup_size: 256
    .name:           _Z39paged_attention_ll4mi_QKV_mfma16_kernelIDF16_DF16_LN4vllm18Fp8KVCacheDataTypeE0EhLi16ELi64ELi256ELb0ELi7EL8MFMAType0EEvPKT_PKT0_S8_ifPKiSA_SA_iPKfiiiPfSD_PS3_PT2_iSC_SC_
    .private_segment_fixed_size: 0
    .sgpr_count:     54
    .sgpr_spill_count: 0
    .symbol:         _Z39paged_attention_ll4mi_QKV_mfma16_kernelIDF16_DF16_LN4vllm18Fp8KVCacheDataTypeE0EhLi16ELi64ELi256ELb0ELi7EL8MFMAType0EEvPKT_PKT0_S8_ifPKiSA_SA_iPKfiiiPfSD_PS3_PT2_iSC_SC_.kd
    .uniform_work_group_size: 1
    .uses_dynamic_stack: false
    .vgpr_count:     198
    .vgpr_spill_count: 0
    .wavefront_size: 32
    .workgroup_processor_mode: 1
  - .args:
      - .actual_access:  read_only
        .address_space:  global
        .offset:         0
        .size:           8
        .value_kind:     global_buffer
      - .actual_access:  read_only
        .address_space:  global
        .offset:         8
        .size:           8
        .value_kind:     global_buffer
      - .actual_access:  read_only
        .address_space:  global
        .offset:         16
        .size:           8
        .value_kind:     global_buffer
      - .offset:         24
        .size:           4
        .value_kind:     by_value
      - .offset:         28
        .size:           4
        .value_kind:     by_value
      - .actual_access:  read_only
        .address_space:  global
        .offset:         32
        .size:           8
        .value_kind:     global_buffer
      - .actual_access:  read_only
        .address_space:  global
        .offset:         40
        .size:           8
        .value_kind:     global_buffer
      - .actual_access:  read_only
        .address_space:  global
        .offset:         48
        .size:           8
        .value_kind:     global_buffer
      - .offset:         56
        .size:           4
        .value_kind:     by_value
      - .actual_access:  read_only
        .address_space:  global
        .offset:         64
        .size:           8
        .value_kind:     global_buffer
      - .offset:         72
        .size:           4
        .value_kind:     by_value
      - .offset:         76
        .size:           4
        .value_kind:     by_value
      - .offset:         80
        .size:           4
        .value_kind:     by_value
      - .actual_access:  write_only
        .address_space:  global
        .offset:         88
        .size:           8
        .value_kind:     global_buffer
      - .actual_access:  write_only
        .address_space:  global
        .offset:         96
        .size:           8
        .value_kind:     global_buffer
      - .actual_access:  write_only
        .address_space:  global
        .offset:         104
        .size:           8
        .value_kind:     global_buffer
      - .actual_access:  read_only
        .address_space:  global
        .offset:         112
        .size:           8
        .value_kind:     global_buffer
      - .offset:         120
        .size:           4
        .value_kind:     by_value
      - .address_space:  global
        .offset:         128
        .size:           8
        .value_kind:     global_buffer
      - .address_space:  global
        .offset:         136
        .size:           8
        .value_kind:     global_buffer
      - .offset:         144
        .size:           4
        .value_kind:     hidden_block_count_x
      - .offset:         148
        .size:           4
        .value_kind:     hidden_block_count_y
      - .offset:         152
        .size:           4
        .value_kind:     hidden_block_count_z
      - .offset:         156
        .size:           2
        .value_kind:     hidden_group_size_x
      - .offset:         158
        .size:           2
        .value_kind:     hidden_group_size_y
      - .offset:         160
        .size:           2
        .value_kind:     hidden_group_size_z
      - .offset:         162
        .size:           2
        .value_kind:     hidden_remainder_x
      - .offset:         164
        .size:           2
        .value_kind:     hidden_remainder_y
      - .offset:         166
        .size:           2
        .value_kind:     hidden_remainder_z
      - .offset:         184
        .size:           8
        .value_kind:     hidden_global_offset_x
      - .offset:         192
        .size:           8
        .value_kind:     hidden_global_offset_y
      - .offset:         200
        .size:           8
        .value_kind:     hidden_global_offset_z
      - .offset:         208
        .size:           2
        .value_kind:     hidden_grid_dims
    .group_segment_fixed_size: 17472
    .kernarg_segment_align: 8
    .kernarg_segment_size: 400
    .language:       OpenCL C
    .language_version:
      - 2
      - 0
    .max_flat_workgroup_size: 256
    .name:           _Z39paged_attention_ll4mi_QKV_mfma16_kernelIDF16_DF16_LN4vllm18Fp8KVCacheDataTypeE0EhLi16ELi64ELi256ELb0ELi8EL8MFMAType0EEvPKT_PKT0_S8_ifPKiSA_SA_iPKfiiiPfSD_PS3_PT2_iSC_SC_
    .private_segment_fixed_size: 0
    .sgpr_count:     54
    .sgpr_spill_count: 0
    .symbol:         _Z39paged_attention_ll4mi_QKV_mfma16_kernelIDF16_DF16_LN4vllm18Fp8KVCacheDataTypeE0EhLi16ELi64ELi256ELb0ELi8EL8MFMAType0EEvPKT_PKT0_S8_ifPKiSA_SA_iPKfiiiPfSD_PS3_PT2_iSC_SC_.kd
    .uniform_work_group_size: 1
    .uses_dynamic_stack: false
    .vgpr_count:     198
    .vgpr_spill_count: 0
    .wavefront_size: 32
    .workgroup_processor_mode: 1
  - .args:
      - .actual_access:  read_only
        .address_space:  global
        .offset:         0
        .size:           8
        .value_kind:     global_buffer
      - .actual_access:  read_only
        .address_space:  global
        .offset:         8
        .size:           8
        .value_kind:     global_buffer
      - .actual_access:  read_only
        .address_space:  global
        .offset:         16
        .size:           8
        .value_kind:     global_buffer
      - .offset:         24
        .size:           4
        .value_kind:     by_value
      - .offset:         28
        .size:           4
        .value_kind:     by_value
      - .actual_access:  read_only
        .address_space:  global
        .offset:         32
        .size:           8
        .value_kind:     global_buffer
      - .actual_access:  read_only
        .address_space:  global
        .offset:         40
        .size:           8
        .value_kind:     global_buffer
      - .actual_access:  read_only
        .address_space:  global
        .offset:         48
        .size:           8
        .value_kind:     global_buffer
      - .offset:         56
        .size:           4
        .value_kind:     by_value
      - .actual_access:  read_only
        .address_space:  global
        .offset:         64
        .size:           8
        .value_kind:     global_buffer
      - .offset:         72
        .size:           4
        .value_kind:     by_value
      - .offset:         76
        .size:           4
        .value_kind:     by_value
      - .offset:         80
        .size:           4
        .value_kind:     by_value
      - .actual_access:  write_only
        .address_space:  global
        .offset:         88
        .size:           8
        .value_kind:     global_buffer
      - .actual_access:  write_only
        .address_space:  global
        .offset:         96
        .size:           8
        .value_kind:     global_buffer
      - .actual_access:  write_only
        .address_space:  global
        .offset:         104
        .size:           8
        .value_kind:     global_buffer
      - .actual_access:  read_only
        .address_space:  global
        .offset:         112
        .size:           8
        .value_kind:     global_buffer
      - .offset:         120
        .size:           4
        .value_kind:     by_value
      - .address_space:  global
        .offset:         128
        .size:           8
        .value_kind:     global_buffer
      - .address_space:  global
        .offset:         136
        .size:           8
        .value_kind:     global_buffer
      - .offset:         144
        .size:           4
        .value_kind:     hidden_block_count_x
      - .offset:         148
        .size:           4
        .value_kind:     hidden_block_count_y
      - .offset:         152
        .size:           4
        .value_kind:     hidden_block_count_z
      - .offset:         156
        .size:           2
        .value_kind:     hidden_group_size_x
      - .offset:         158
        .size:           2
        .value_kind:     hidden_group_size_y
      - .offset:         160
        .size:           2
        .value_kind:     hidden_group_size_z
      - .offset:         162
        .size:           2
        .value_kind:     hidden_remainder_x
      - .offset:         164
        .size:           2
        .value_kind:     hidden_remainder_y
      - .offset:         166
        .size:           2
        .value_kind:     hidden_remainder_z
      - .offset:         184
        .size:           8
        .value_kind:     hidden_global_offset_x
      - .offset:         192
        .size:           8
        .value_kind:     hidden_global_offset_y
      - .offset:         200
        .size:           8
        .value_kind:     hidden_global_offset_z
      - .offset:         208
        .size:           2
        .value_kind:     hidden_grid_dims
    .group_segment_fixed_size: 17472
    .kernarg_segment_align: 8
    .kernarg_segment_size: 400
    .language:       OpenCL C
    .language_version:
      - 2
      - 0
    .max_flat_workgroup_size: 256
    .name:           _Z39paged_attention_ll4mi_QKV_mfma16_kernelIDF16_DF16_LN4vllm18Fp8KVCacheDataTypeE0EhLi16ELi64ELi256ELb0ELi9EL8MFMAType0EEvPKT_PKT0_S8_ifPKiSA_SA_iPKfiiiPfSD_PS3_PT2_iSC_SC_
    .private_segment_fixed_size: 0
    .sgpr_count:     54
    .sgpr_spill_count: 0
    .symbol:         _Z39paged_attention_ll4mi_QKV_mfma16_kernelIDF16_DF16_LN4vllm18Fp8KVCacheDataTypeE0EhLi16ELi64ELi256ELb0ELi9EL8MFMAType0EEvPKT_PKT0_S8_ifPKiSA_SA_iPKfiiiPfSD_PS3_PT2_iSC_SC_.kd
    .uniform_work_group_size: 1
    .uses_dynamic_stack: false
    .vgpr_count:     198
    .vgpr_spill_count: 0
    .wavefront_size: 32
    .workgroup_processor_mode: 1
  - .args:
      - .actual_access:  read_only
        .address_space:  global
        .offset:         0
        .size:           8
        .value_kind:     global_buffer
      - .actual_access:  read_only
        .address_space:  global
        .offset:         8
        .size:           8
        .value_kind:     global_buffer
      - .actual_access:  read_only
        .address_space:  global
        .offset:         16
        .size:           8
        .value_kind:     global_buffer
      - .offset:         24
        .size:           4
        .value_kind:     by_value
      - .offset:         28
        .size:           4
        .value_kind:     by_value
      - .actual_access:  read_only
        .address_space:  global
        .offset:         32
        .size:           8
        .value_kind:     global_buffer
      - .actual_access:  read_only
        .address_space:  global
        .offset:         40
        .size:           8
        .value_kind:     global_buffer
      - .actual_access:  read_only
        .address_space:  global
        .offset:         48
        .size:           8
        .value_kind:     global_buffer
      - .offset:         56
        .size:           4
        .value_kind:     by_value
      - .actual_access:  read_only
        .address_space:  global
        .offset:         64
        .size:           8
        .value_kind:     global_buffer
      - .offset:         72
        .size:           4
        .value_kind:     by_value
      - .offset:         76
        .size:           4
        .value_kind:     by_value
      - .offset:         80
        .size:           4
        .value_kind:     by_value
      - .actual_access:  write_only
        .address_space:  global
        .offset:         88
        .size:           8
        .value_kind:     global_buffer
      - .actual_access:  write_only
        .address_space:  global
        .offset:         96
        .size:           8
        .value_kind:     global_buffer
      - .actual_access:  write_only
        .address_space:  global
        .offset:         104
        .size:           8
        .value_kind:     global_buffer
      - .actual_access:  read_only
        .address_space:  global
        .offset:         112
        .size:           8
        .value_kind:     global_buffer
      - .offset:         120
        .size:           4
        .value_kind:     by_value
      - .address_space:  global
        .offset:         128
        .size:           8
        .value_kind:     global_buffer
      - .address_space:  global
        .offset:         136
        .size:           8
        .value_kind:     global_buffer
      - .offset:         144
        .size:           4
        .value_kind:     hidden_block_count_x
      - .offset:         148
        .size:           4
        .value_kind:     hidden_block_count_y
      - .offset:         152
        .size:           4
        .value_kind:     hidden_block_count_z
      - .offset:         156
        .size:           2
        .value_kind:     hidden_group_size_x
      - .offset:         158
        .size:           2
        .value_kind:     hidden_group_size_y
      - .offset:         160
        .size:           2
        .value_kind:     hidden_group_size_z
      - .offset:         162
        .size:           2
        .value_kind:     hidden_remainder_x
      - .offset:         164
        .size:           2
        .value_kind:     hidden_remainder_y
      - .offset:         166
        .size:           2
        .value_kind:     hidden_remainder_z
      - .offset:         184
        .size:           8
        .value_kind:     hidden_global_offset_x
      - .offset:         192
        .size:           8
        .value_kind:     hidden_global_offset_y
      - .offset:         200
        .size:           8
        .value_kind:     hidden_global_offset_z
      - .offset:         208
        .size:           2
        .value_kind:     hidden_grid_dims
    .group_segment_fixed_size: 17472
    .kernarg_segment_align: 8
    .kernarg_segment_size: 400
    .language:       OpenCL C
    .language_version:
      - 2
      - 0
    .max_flat_workgroup_size: 256
    .name:           _Z39paged_attention_ll4mi_QKV_mfma16_kernelIDF16_DF16_LN4vllm18Fp8KVCacheDataTypeE0EhLi16ELi64ELi256ELb0ELi10EL8MFMAType0EEvPKT_PKT0_S8_ifPKiSA_SA_iPKfiiiPfSD_PS3_PT2_iSC_SC_
    .private_segment_fixed_size: 0
    .sgpr_count:     54
    .sgpr_spill_count: 0
    .symbol:         _Z39paged_attention_ll4mi_QKV_mfma16_kernelIDF16_DF16_LN4vllm18Fp8KVCacheDataTypeE0EhLi16ELi64ELi256ELb0ELi10EL8MFMAType0EEvPKT_PKT0_S8_ifPKiSA_SA_iPKfiiiPfSD_PS3_PT2_iSC_SC_.kd
    .uniform_work_group_size: 1
    .uses_dynamic_stack: false
    .vgpr_count:     198
    .vgpr_spill_count: 0
    .wavefront_size: 32
    .workgroup_processor_mode: 1
  - .args:
      - .actual_access:  read_only
        .address_space:  global
        .offset:         0
        .size:           8
        .value_kind:     global_buffer
      - .actual_access:  read_only
        .address_space:  global
        .offset:         8
        .size:           8
        .value_kind:     global_buffer
      - .actual_access:  read_only
        .address_space:  global
        .offset:         16
        .size:           8
        .value_kind:     global_buffer
      - .offset:         24
        .size:           4
        .value_kind:     by_value
      - .offset:         28
        .size:           4
        .value_kind:     by_value
      - .actual_access:  read_only
        .address_space:  global
        .offset:         32
        .size:           8
        .value_kind:     global_buffer
      - .actual_access:  read_only
        .address_space:  global
        .offset:         40
        .size:           8
        .value_kind:     global_buffer
      - .actual_access:  read_only
        .address_space:  global
        .offset:         48
        .size:           8
        .value_kind:     global_buffer
      - .offset:         56
        .size:           4
        .value_kind:     by_value
      - .actual_access:  read_only
        .address_space:  global
        .offset:         64
        .size:           8
        .value_kind:     global_buffer
      - .offset:         72
        .size:           4
        .value_kind:     by_value
      - .offset:         76
        .size:           4
        .value_kind:     by_value
      - .offset:         80
        .size:           4
        .value_kind:     by_value
      - .actual_access:  write_only
        .address_space:  global
        .offset:         88
        .size:           8
        .value_kind:     global_buffer
      - .actual_access:  write_only
        .address_space:  global
        .offset:         96
        .size:           8
        .value_kind:     global_buffer
      - .actual_access:  write_only
        .address_space:  global
        .offset:         104
        .size:           8
        .value_kind:     global_buffer
      - .actual_access:  read_only
        .address_space:  global
        .offset:         112
        .size:           8
        .value_kind:     global_buffer
      - .offset:         120
        .size:           4
        .value_kind:     by_value
      - .address_space:  global
        .offset:         128
        .size:           8
        .value_kind:     global_buffer
      - .address_space:  global
        .offset:         136
        .size:           8
        .value_kind:     global_buffer
      - .offset:         144
        .size:           4
        .value_kind:     hidden_block_count_x
      - .offset:         148
        .size:           4
        .value_kind:     hidden_block_count_y
      - .offset:         152
        .size:           4
        .value_kind:     hidden_block_count_z
      - .offset:         156
        .size:           2
        .value_kind:     hidden_group_size_x
      - .offset:         158
        .size:           2
        .value_kind:     hidden_group_size_y
      - .offset:         160
        .size:           2
        .value_kind:     hidden_group_size_z
      - .offset:         162
        .size:           2
        .value_kind:     hidden_remainder_x
      - .offset:         164
        .size:           2
        .value_kind:     hidden_remainder_y
      - .offset:         166
        .size:           2
        .value_kind:     hidden_remainder_z
      - .offset:         184
        .size:           8
        .value_kind:     hidden_global_offset_x
      - .offset:         192
        .size:           8
        .value_kind:     hidden_global_offset_y
      - .offset:         200
        .size:           8
        .value_kind:     hidden_global_offset_z
      - .offset:         208
        .size:           2
        .value_kind:     hidden_grid_dims
    .group_segment_fixed_size: 17472
    .kernarg_segment_align: 8
    .kernarg_segment_size: 400
    .language:       OpenCL C
    .language_version:
      - 2
      - 0
    .max_flat_workgroup_size: 256
    .name:           _Z39paged_attention_ll4mi_QKV_mfma16_kernelIDF16_DF16_LN4vllm18Fp8KVCacheDataTypeE0EhLi16ELi64ELi256ELb0ELi11EL8MFMAType0EEvPKT_PKT0_S8_ifPKiSA_SA_iPKfiiiPfSD_PS3_PT2_iSC_SC_
    .private_segment_fixed_size: 0
    .sgpr_count:     54
    .sgpr_spill_count: 0
    .symbol:         _Z39paged_attention_ll4mi_QKV_mfma16_kernelIDF16_DF16_LN4vllm18Fp8KVCacheDataTypeE0EhLi16ELi64ELi256ELb0ELi11EL8MFMAType0EEvPKT_PKT0_S8_ifPKiSA_SA_iPKfiiiPfSD_PS3_PT2_iSC_SC_.kd
    .uniform_work_group_size: 1
    .uses_dynamic_stack: false
    .vgpr_count:     198
    .vgpr_spill_count: 0
    .wavefront_size: 32
    .workgroup_processor_mode: 1
  - .args:
      - .actual_access:  read_only
        .address_space:  global
        .offset:         0
        .size:           8
        .value_kind:     global_buffer
      - .actual_access:  read_only
        .address_space:  global
        .offset:         8
        .size:           8
        .value_kind:     global_buffer
      - .actual_access:  read_only
        .address_space:  global
        .offset:         16
        .size:           8
        .value_kind:     global_buffer
      - .offset:         24
        .size:           4
        .value_kind:     by_value
      - .offset:         28
        .size:           4
        .value_kind:     by_value
      - .actual_access:  read_only
        .address_space:  global
        .offset:         32
        .size:           8
        .value_kind:     global_buffer
      - .actual_access:  read_only
        .address_space:  global
        .offset:         40
        .size:           8
        .value_kind:     global_buffer
      - .actual_access:  read_only
        .address_space:  global
        .offset:         48
        .size:           8
        .value_kind:     global_buffer
      - .offset:         56
        .size:           4
        .value_kind:     by_value
      - .actual_access:  read_only
        .address_space:  global
        .offset:         64
        .size:           8
        .value_kind:     global_buffer
      - .offset:         72
        .size:           4
        .value_kind:     by_value
      - .offset:         76
        .size:           4
        .value_kind:     by_value
      - .offset:         80
        .size:           4
        .value_kind:     by_value
      - .actual_access:  write_only
        .address_space:  global
        .offset:         88
        .size:           8
        .value_kind:     global_buffer
      - .actual_access:  write_only
        .address_space:  global
        .offset:         96
        .size:           8
        .value_kind:     global_buffer
      - .actual_access:  write_only
        .address_space:  global
        .offset:         104
        .size:           8
        .value_kind:     global_buffer
      - .actual_access:  read_only
        .address_space:  global
        .offset:         112
        .size:           8
        .value_kind:     global_buffer
      - .offset:         120
        .size:           4
        .value_kind:     by_value
      - .address_space:  global
        .offset:         128
        .size:           8
        .value_kind:     global_buffer
      - .address_space:  global
        .offset:         136
        .size:           8
        .value_kind:     global_buffer
      - .offset:         144
        .size:           4
        .value_kind:     hidden_block_count_x
      - .offset:         148
        .size:           4
        .value_kind:     hidden_block_count_y
      - .offset:         152
        .size:           4
        .value_kind:     hidden_block_count_z
      - .offset:         156
        .size:           2
        .value_kind:     hidden_group_size_x
      - .offset:         158
        .size:           2
        .value_kind:     hidden_group_size_y
      - .offset:         160
        .size:           2
        .value_kind:     hidden_group_size_z
      - .offset:         162
        .size:           2
        .value_kind:     hidden_remainder_x
      - .offset:         164
        .size:           2
        .value_kind:     hidden_remainder_y
      - .offset:         166
        .size:           2
        .value_kind:     hidden_remainder_z
      - .offset:         184
        .size:           8
        .value_kind:     hidden_global_offset_x
      - .offset:         192
        .size:           8
        .value_kind:     hidden_global_offset_y
      - .offset:         200
        .size:           8
        .value_kind:     hidden_global_offset_z
      - .offset:         208
        .size:           2
        .value_kind:     hidden_grid_dims
    .group_segment_fixed_size: 17472
    .kernarg_segment_align: 8
    .kernarg_segment_size: 400
    .language:       OpenCL C
    .language_version:
      - 2
      - 0
    .max_flat_workgroup_size: 256
    .name:           _Z39paged_attention_ll4mi_QKV_mfma16_kernelIDF16_DF16_LN4vllm18Fp8KVCacheDataTypeE0EhLi16ELi64ELi256ELb0ELi12EL8MFMAType0EEvPKT_PKT0_S8_ifPKiSA_SA_iPKfiiiPfSD_PS3_PT2_iSC_SC_
    .private_segment_fixed_size: 0
    .sgpr_count:     54
    .sgpr_spill_count: 0
    .symbol:         _Z39paged_attention_ll4mi_QKV_mfma16_kernelIDF16_DF16_LN4vllm18Fp8KVCacheDataTypeE0EhLi16ELi64ELi256ELb0ELi12EL8MFMAType0EEvPKT_PKT0_S8_ifPKiSA_SA_iPKfiiiPfSD_PS3_PT2_iSC_SC_.kd
    .uniform_work_group_size: 1
    .uses_dynamic_stack: false
    .vgpr_count:     198
    .vgpr_spill_count: 0
    .wavefront_size: 32
    .workgroup_processor_mode: 1
  - .args:
      - .actual_access:  read_only
        .address_space:  global
        .offset:         0
        .size:           8
        .value_kind:     global_buffer
      - .actual_access:  read_only
        .address_space:  global
        .offset:         8
        .size:           8
        .value_kind:     global_buffer
      - .actual_access:  read_only
        .address_space:  global
        .offset:         16
        .size:           8
        .value_kind:     global_buffer
      - .offset:         24
        .size:           4
        .value_kind:     by_value
      - .offset:         28
        .size:           4
        .value_kind:     by_value
      - .actual_access:  read_only
        .address_space:  global
        .offset:         32
        .size:           8
        .value_kind:     global_buffer
      - .actual_access:  read_only
        .address_space:  global
        .offset:         40
        .size:           8
        .value_kind:     global_buffer
      - .actual_access:  read_only
        .address_space:  global
        .offset:         48
        .size:           8
        .value_kind:     global_buffer
      - .offset:         56
        .size:           4
        .value_kind:     by_value
      - .actual_access:  read_only
        .address_space:  global
        .offset:         64
        .size:           8
        .value_kind:     global_buffer
      - .offset:         72
        .size:           4
        .value_kind:     by_value
      - .offset:         76
        .size:           4
        .value_kind:     by_value
      - .offset:         80
        .size:           4
        .value_kind:     by_value
      - .actual_access:  write_only
        .address_space:  global
        .offset:         88
        .size:           8
        .value_kind:     global_buffer
      - .actual_access:  write_only
        .address_space:  global
        .offset:         96
        .size:           8
        .value_kind:     global_buffer
      - .actual_access:  write_only
        .address_space:  global
        .offset:         104
        .size:           8
        .value_kind:     global_buffer
      - .actual_access:  read_only
        .address_space:  global
        .offset:         112
        .size:           8
        .value_kind:     global_buffer
      - .offset:         120
        .size:           4
        .value_kind:     by_value
      - .address_space:  global
        .offset:         128
        .size:           8
        .value_kind:     global_buffer
      - .address_space:  global
        .offset:         136
        .size:           8
        .value_kind:     global_buffer
      - .offset:         144
        .size:           4
        .value_kind:     hidden_block_count_x
      - .offset:         148
        .size:           4
        .value_kind:     hidden_block_count_y
      - .offset:         152
        .size:           4
        .value_kind:     hidden_block_count_z
      - .offset:         156
        .size:           2
        .value_kind:     hidden_group_size_x
      - .offset:         158
        .size:           2
        .value_kind:     hidden_group_size_y
      - .offset:         160
        .size:           2
        .value_kind:     hidden_group_size_z
      - .offset:         162
        .size:           2
        .value_kind:     hidden_remainder_x
      - .offset:         164
        .size:           2
        .value_kind:     hidden_remainder_y
      - .offset:         166
        .size:           2
        .value_kind:     hidden_remainder_z
      - .offset:         184
        .size:           8
        .value_kind:     hidden_global_offset_x
      - .offset:         192
        .size:           8
        .value_kind:     hidden_global_offset_y
      - .offset:         200
        .size:           8
        .value_kind:     hidden_global_offset_z
      - .offset:         208
        .size:           2
        .value_kind:     hidden_grid_dims
    .group_segment_fixed_size: 17472
    .kernarg_segment_align: 8
    .kernarg_segment_size: 400
    .language:       OpenCL C
    .language_version:
      - 2
      - 0
    .max_flat_workgroup_size: 256
    .name:           _Z39paged_attention_ll4mi_QKV_mfma16_kernelIDF16_DF16_LN4vllm18Fp8KVCacheDataTypeE0EhLi16ELi64ELi256ELb0ELi13EL8MFMAType0EEvPKT_PKT0_S8_ifPKiSA_SA_iPKfiiiPfSD_PS3_PT2_iSC_SC_
    .private_segment_fixed_size: 0
    .sgpr_count:     54
    .sgpr_spill_count: 0
    .symbol:         _Z39paged_attention_ll4mi_QKV_mfma16_kernelIDF16_DF16_LN4vllm18Fp8KVCacheDataTypeE0EhLi16ELi64ELi256ELb0ELi13EL8MFMAType0EEvPKT_PKT0_S8_ifPKiSA_SA_iPKfiiiPfSD_PS3_PT2_iSC_SC_.kd
    .uniform_work_group_size: 1
    .uses_dynamic_stack: false
    .vgpr_count:     198
    .vgpr_spill_count: 0
    .wavefront_size: 32
    .workgroup_processor_mode: 1
  - .args:
      - .actual_access:  read_only
        .address_space:  global
        .offset:         0
        .size:           8
        .value_kind:     global_buffer
      - .actual_access:  read_only
        .address_space:  global
        .offset:         8
        .size:           8
        .value_kind:     global_buffer
      - .actual_access:  read_only
        .address_space:  global
        .offset:         16
        .size:           8
        .value_kind:     global_buffer
      - .offset:         24
        .size:           4
        .value_kind:     by_value
      - .offset:         28
        .size:           4
        .value_kind:     by_value
      - .actual_access:  read_only
        .address_space:  global
        .offset:         32
        .size:           8
        .value_kind:     global_buffer
      - .actual_access:  read_only
        .address_space:  global
        .offset:         40
        .size:           8
        .value_kind:     global_buffer
      - .actual_access:  read_only
        .address_space:  global
        .offset:         48
        .size:           8
        .value_kind:     global_buffer
      - .offset:         56
        .size:           4
        .value_kind:     by_value
      - .actual_access:  read_only
        .address_space:  global
        .offset:         64
        .size:           8
        .value_kind:     global_buffer
      - .offset:         72
        .size:           4
        .value_kind:     by_value
      - .offset:         76
        .size:           4
        .value_kind:     by_value
      - .offset:         80
        .size:           4
        .value_kind:     by_value
      - .actual_access:  write_only
        .address_space:  global
        .offset:         88
        .size:           8
        .value_kind:     global_buffer
      - .actual_access:  write_only
        .address_space:  global
        .offset:         96
        .size:           8
        .value_kind:     global_buffer
      - .actual_access:  write_only
        .address_space:  global
        .offset:         104
        .size:           8
        .value_kind:     global_buffer
      - .actual_access:  read_only
        .address_space:  global
        .offset:         112
        .size:           8
        .value_kind:     global_buffer
      - .offset:         120
        .size:           4
        .value_kind:     by_value
      - .address_space:  global
        .offset:         128
        .size:           8
        .value_kind:     global_buffer
      - .address_space:  global
        .offset:         136
        .size:           8
        .value_kind:     global_buffer
      - .offset:         144
        .size:           4
        .value_kind:     hidden_block_count_x
      - .offset:         148
        .size:           4
        .value_kind:     hidden_block_count_y
      - .offset:         152
        .size:           4
        .value_kind:     hidden_block_count_z
      - .offset:         156
        .size:           2
        .value_kind:     hidden_group_size_x
      - .offset:         158
        .size:           2
        .value_kind:     hidden_group_size_y
      - .offset:         160
        .size:           2
        .value_kind:     hidden_group_size_z
      - .offset:         162
        .size:           2
        .value_kind:     hidden_remainder_x
      - .offset:         164
        .size:           2
        .value_kind:     hidden_remainder_y
      - .offset:         166
        .size:           2
        .value_kind:     hidden_remainder_z
      - .offset:         184
        .size:           8
        .value_kind:     hidden_global_offset_x
      - .offset:         192
        .size:           8
        .value_kind:     hidden_global_offset_y
      - .offset:         200
        .size:           8
        .value_kind:     hidden_global_offset_z
      - .offset:         208
        .size:           2
        .value_kind:     hidden_grid_dims
    .group_segment_fixed_size: 17472
    .kernarg_segment_align: 8
    .kernarg_segment_size: 400
    .language:       OpenCL C
    .language_version:
      - 2
      - 0
    .max_flat_workgroup_size: 256
    .name:           _Z39paged_attention_ll4mi_QKV_mfma16_kernelIDF16_DF16_LN4vllm18Fp8KVCacheDataTypeE0EhLi16ELi64ELi256ELb0ELi14EL8MFMAType0EEvPKT_PKT0_S8_ifPKiSA_SA_iPKfiiiPfSD_PS3_PT2_iSC_SC_
    .private_segment_fixed_size: 0
    .sgpr_count:     54
    .sgpr_spill_count: 0
    .symbol:         _Z39paged_attention_ll4mi_QKV_mfma16_kernelIDF16_DF16_LN4vllm18Fp8KVCacheDataTypeE0EhLi16ELi64ELi256ELb0ELi14EL8MFMAType0EEvPKT_PKT0_S8_ifPKiSA_SA_iPKfiiiPfSD_PS3_PT2_iSC_SC_.kd
    .uniform_work_group_size: 1
    .uses_dynamic_stack: false
    .vgpr_count:     198
    .vgpr_spill_count: 0
    .wavefront_size: 32
    .workgroup_processor_mode: 1
  - .args:
      - .actual_access:  read_only
        .address_space:  global
        .offset:         0
        .size:           8
        .value_kind:     global_buffer
      - .actual_access:  read_only
        .address_space:  global
        .offset:         8
        .size:           8
        .value_kind:     global_buffer
      - .actual_access:  read_only
        .address_space:  global
        .offset:         16
        .size:           8
        .value_kind:     global_buffer
      - .offset:         24
        .size:           4
        .value_kind:     by_value
      - .offset:         28
        .size:           4
        .value_kind:     by_value
      - .actual_access:  read_only
        .address_space:  global
        .offset:         32
        .size:           8
        .value_kind:     global_buffer
      - .actual_access:  read_only
        .address_space:  global
        .offset:         40
        .size:           8
        .value_kind:     global_buffer
      - .actual_access:  read_only
        .address_space:  global
        .offset:         48
        .size:           8
        .value_kind:     global_buffer
      - .offset:         56
        .size:           4
        .value_kind:     by_value
      - .actual_access:  read_only
        .address_space:  global
        .offset:         64
        .size:           8
        .value_kind:     global_buffer
      - .offset:         72
        .size:           4
        .value_kind:     by_value
      - .offset:         76
        .size:           4
        .value_kind:     by_value
      - .offset:         80
        .size:           4
        .value_kind:     by_value
      - .actual_access:  write_only
        .address_space:  global
        .offset:         88
        .size:           8
        .value_kind:     global_buffer
      - .actual_access:  write_only
        .address_space:  global
        .offset:         96
        .size:           8
        .value_kind:     global_buffer
      - .actual_access:  write_only
        .address_space:  global
        .offset:         104
        .size:           8
        .value_kind:     global_buffer
      - .actual_access:  read_only
        .address_space:  global
        .offset:         112
        .size:           8
        .value_kind:     global_buffer
      - .offset:         120
        .size:           4
        .value_kind:     by_value
      - .address_space:  global
        .offset:         128
        .size:           8
        .value_kind:     global_buffer
      - .address_space:  global
        .offset:         136
        .size:           8
        .value_kind:     global_buffer
      - .offset:         144
        .size:           4
        .value_kind:     hidden_block_count_x
      - .offset:         148
        .size:           4
        .value_kind:     hidden_block_count_y
      - .offset:         152
        .size:           4
        .value_kind:     hidden_block_count_z
      - .offset:         156
        .size:           2
        .value_kind:     hidden_group_size_x
      - .offset:         158
        .size:           2
        .value_kind:     hidden_group_size_y
      - .offset:         160
        .size:           2
        .value_kind:     hidden_group_size_z
      - .offset:         162
        .size:           2
        .value_kind:     hidden_remainder_x
      - .offset:         164
        .size:           2
        .value_kind:     hidden_remainder_y
      - .offset:         166
        .size:           2
        .value_kind:     hidden_remainder_z
      - .offset:         184
        .size:           8
        .value_kind:     hidden_global_offset_x
      - .offset:         192
        .size:           8
        .value_kind:     hidden_global_offset_y
      - .offset:         200
        .size:           8
        .value_kind:     hidden_global_offset_z
      - .offset:         208
        .size:           2
        .value_kind:     hidden_grid_dims
    .group_segment_fixed_size: 17472
    .kernarg_segment_align: 8
    .kernarg_segment_size: 400
    .language:       OpenCL C
    .language_version:
      - 2
      - 0
    .max_flat_workgroup_size: 256
    .name:           _Z39paged_attention_ll4mi_QKV_mfma16_kernelIDF16_DF16_LN4vllm18Fp8KVCacheDataTypeE0EhLi16ELi64ELi256ELb0ELi15EL8MFMAType0EEvPKT_PKT0_S8_ifPKiSA_SA_iPKfiiiPfSD_PS3_PT2_iSC_SC_
    .private_segment_fixed_size: 0
    .sgpr_count:     54
    .sgpr_spill_count: 0
    .symbol:         _Z39paged_attention_ll4mi_QKV_mfma16_kernelIDF16_DF16_LN4vllm18Fp8KVCacheDataTypeE0EhLi16ELi64ELi256ELb0ELi15EL8MFMAType0EEvPKT_PKT0_S8_ifPKiSA_SA_iPKfiiiPfSD_PS3_PT2_iSC_SC_.kd
    .uniform_work_group_size: 1
    .uses_dynamic_stack: false
    .vgpr_count:     198
    .vgpr_spill_count: 0
    .wavefront_size: 32
    .workgroup_processor_mode: 1
  - .args:
      - .actual_access:  read_only
        .address_space:  global
        .offset:         0
        .size:           8
        .value_kind:     global_buffer
      - .actual_access:  read_only
        .address_space:  global
        .offset:         8
        .size:           8
        .value_kind:     global_buffer
      - .actual_access:  read_only
        .address_space:  global
        .offset:         16
        .size:           8
        .value_kind:     global_buffer
      - .offset:         24
        .size:           4
        .value_kind:     by_value
      - .offset:         28
        .size:           4
        .value_kind:     by_value
      - .actual_access:  read_only
        .address_space:  global
        .offset:         32
        .size:           8
        .value_kind:     global_buffer
      - .actual_access:  read_only
        .address_space:  global
        .offset:         40
        .size:           8
        .value_kind:     global_buffer
      - .actual_access:  read_only
        .address_space:  global
        .offset:         48
        .size:           8
        .value_kind:     global_buffer
      - .offset:         56
        .size:           4
        .value_kind:     by_value
      - .actual_access:  read_only
        .address_space:  global
        .offset:         64
        .size:           8
        .value_kind:     global_buffer
      - .offset:         72
        .size:           4
        .value_kind:     by_value
      - .offset:         76
        .size:           4
        .value_kind:     by_value
      - .offset:         80
        .size:           4
        .value_kind:     by_value
      - .actual_access:  write_only
        .address_space:  global
        .offset:         88
        .size:           8
        .value_kind:     global_buffer
      - .actual_access:  write_only
        .address_space:  global
        .offset:         96
        .size:           8
        .value_kind:     global_buffer
      - .actual_access:  write_only
        .address_space:  global
        .offset:         104
        .size:           8
        .value_kind:     global_buffer
      - .actual_access:  read_only
        .address_space:  global
        .offset:         112
        .size:           8
        .value_kind:     global_buffer
      - .offset:         120
        .size:           4
        .value_kind:     by_value
      - .address_space:  global
        .offset:         128
        .size:           8
        .value_kind:     global_buffer
      - .address_space:  global
        .offset:         136
        .size:           8
        .value_kind:     global_buffer
      - .offset:         144
        .size:           4
        .value_kind:     hidden_block_count_x
      - .offset:         148
        .size:           4
        .value_kind:     hidden_block_count_y
      - .offset:         152
        .size:           4
        .value_kind:     hidden_block_count_z
      - .offset:         156
        .size:           2
        .value_kind:     hidden_group_size_x
      - .offset:         158
        .size:           2
        .value_kind:     hidden_group_size_y
      - .offset:         160
        .size:           2
        .value_kind:     hidden_group_size_z
      - .offset:         162
        .size:           2
        .value_kind:     hidden_remainder_x
      - .offset:         164
        .size:           2
        .value_kind:     hidden_remainder_y
      - .offset:         166
        .size:           2
        .value_kind:     hidden_remainder_z
      - .offset:         184
        .size:           8
        .value_kind:     hidden_global_offset_x
      - .offset:         192
        .size:           8
        .value_kind:     hidden_global_offset_y
      - .offset:         200
        .size:           8
        .value_kind:     hidden_global_offset_z
      - .offset:         208
        .size:           2
        .value_kind:     hidden_grid_dims
    .group_segment_fixed_size: 17472
    .kernarg_segment_align: 8
    .kernarg_segment_size: 400
    .language:       OpenCL C
    .language_version:
      - 2
      - 0
    .max_flat_workgroup_size: 256
    .name:           _Z39paged_attention_ll4mi_QKV_mfma16_kernelIDF16_DF16_LN4vllm18Fp8KVCacheDataTypeE0EhLi16ELi64ELi256ELb0ELi16EL8MFMAType0EEvPKT_PKT0_S8_ifPKiSA_SA_iPKfiiiPfSD_PS3_PT2_iSC_SC_
    .private_segment_fixed_size: 0
    .sgpr_count:     54
    .sgpr_spill_count: 0
    .symbol:         _Z39paged_attention_ll4mi_QKV_mfma16_kernelIDF16_DF16_LN4vllm18Fp8KVCacheDataTypeE0EhLi16ELi64ELi256ELb0ELi16EL8MFMAType0EEvPKT_PKT0_S8_ifPKiSA_SA_iPKfiiiPfSD_PS3_PT2_iSC_SC_.kd
    .uniform_work_group_size: 1
    .uses_dynamic_stack: false
    .vgpr_count:     198
    .vgpr_spill_count: 0
    .wavefront_size: 32
    .workgroup_processor_mode: 1
  - .args:
      - .actual_access:  read_only
        .address_space:  global
        .offset:         0
        .size:           8
        .value_kind:     global_buffer
      - .actual_access:  read_only
        .address_space:  global
        .offset:         8
        .size:           8
        .value_kind:     global_buffer
      - .actual_access:  read_only
        .address_space:  global
        .offset:         16
        .size:           8
        .value_kind:     global_buffer
      - .offset:         24
        .size:           4
        .value_kind:     by_value
      - .offset:         28
        .size:           4
        .value_kind:     by_value
      - .actual_access:  read_only
        .address_space:  global
        .offset:         32
        .size:           8
        .value_kind:     global_buffer
      - .actual_access:  read_only
        .address_space:  global
        .offset:         40
        .size:           8
        .value_kind:     global_buffer
      - .actual_access:  read_only
        .address_space:  global
        .offset:         48
        .size:           8
        .value_kind:     global_buffer
      - .offset:         56
        .size:           4
        .value_kind:     by_value
      - .actual_access:  read_only
        .address_space:  global
        .offset:         64
        .size:           8
        .value_kind:     global_buffer
      - .offset:         72
        .size:           4
        .value_kind:     by_value
      - .offset:         76
        .size:           4
        .value_kind:     by_value
      - .offset:         80
        .size:           4
        .value_kind:     by_value
      - .actual_access:  write_only
        .address_space:  global
        .offset:         88
        .size:           8
        .value_kind:     global_buffer
      - .actual_access:  write_only
        .address_space:  global
        .offset:         96
        .size:           8
        .value_kind:     global_buffer
      - .actual_access:  write_only
        .address_space:  global
        .offset:         104
        .size:           8
        .value_kind:     global_buffer
      - .actual_access:  read_only
        .address_space:  global
        .offset:         112
        .size:           8
        .value_kind:     global_buffer
      - .offset:         120
        .size:           4
        .value_kind:     by_value
      - .address_space:  global
        .offset:         128
        .size:           8
        .value_kind:     global_buffer
      - .address_space:  global
        .offset:         136
        .size:           8
        .value_kind:     global_buffer
      - .offset:         144
        .size:           4
        .value_kind:     hidden_block_count_x
      - .offset:         148
        .size:           4
        .value_kind:     hidden_block_count_y
      - .offset:         152
        .size:           4
        .value_kind:     hidden_block_count_z
      - .offset:         156
        .size:           2
        .value_kind:     hidden_group_size_x
      - .offset:         158
        .size:           2
        .value_kind:     hidden_group_size_y
      - .offset:         160
        .size:           2
        .value_kind:     hidden_group_size_z
      - .offset:         162
        .size:           2
        .value_kind:     hidden_remainder_x
      - .offset:         164
        .size:           2
        .value_kind:     hidden_remainder_y
      - .offset:         166
        .size:           2
        .value_kind:     hidden_remainder_z
      - .offset:         184
        .size:           8
        .value_kind:     hidden_global_offset_x
      - .offset:         192
        .size:           8
        .value_kind:     hidden_global_offset_y
      - .offset:         200
        .size:           8
        .value_kind:     hidden_global_offset_z
      - .offset:         208
        .size:           2
        .value_kind:     hidden_grid_dims
    .group_segment_fixed_size: 17472
    .kernarg_segment_align: 8
    .kernarg_segment_size: 400
    .language:       OpenCL C
    .language_version:
      - 2
      - 0
    .max_flat_workgroup_size: 256
    .name:           _Z39paged_attention_ll4mi_QKV_mfma16_kernelIDF16_DF16_LN4vllm18Fp8KVCacheDataTypeE0EhLi16ELi64ELi256ELb0ELi1EL8MFMAType0EEvPKT_PKT0_S8_ifPKiSA_SA_iPKfiiiPfSD_PS3_PT2_iSC_SC_
    .private_segment_fixed_size: 0
    .sgpr_count:     72
    .sgpr_spill_count: 0
    .symbol:         _Z39paged_attention_ll4mi_QKV_mfma16_kernelIDF16_DF16_LN4vllm18Fp8KVCacheDataTypeE0EhLi16ELi64ELi256ELb0ELi1EL8MFMAType0EEvPKT_PKT0_S8_ifPKiSA_SA_iPKfiiiPfSD_PS3_PT2_iSC_SC_.kd
    .uniform_work_group_size: 1
    .uses_dynamic_stack: false
    .vgpr_count:     195
    .vgpr_spill_count: 0
    .wavefront_size: 32
    .workgroup_processor_mode: 1
  - .args:
      - .actual_access:  read_only
        .address_space:  global
        .offset:         0
        .size:           8
        .value_kind:     global_buffer
      - .actual_access:  read_only
        .address_space:  global
        .offset:         8
        .size:           8
        .value_kind:     global_buffer
      - .actual_access:  read_only
        .address_space:  global
        .offset:         16
        .size:           8
        .value_kind:     global_buffer
      - .offset:         24
        .size:           4
        .value_kind:     by_value
      - .offset:         28
        .size:           4
        .value_kind:     by_value
      - .actual_access:  read_only
        .address_space:  global
        .offset:         32
        .size:           8
        .value_kind:     global_buffer
      - .actual_access:  read_only
        .address_space:  global
        .offset:         40
        .size:           8
        .value_kind:     global_buffer
      - .actual_access:  read_only
        .address_space:  global
        .offset:         48
        .size:           8
        .value_kind:     global_buffer
      - .offset:         56
        .size:           4
        .value_kind:     by_value
      - .actual_access:  read_only
        .address_space:  global
        .offset:         64
        .size:           8
        .value_kind:     global_buffer
      - .offset:         72
        .size:           4
        .value_kind:     by_value
      - .offset:         76
        .size:           4
        .value_kind:     by_value
      - .offset:         80
        .size:           4
        .value_kind:     by_value
      - .actual_access:  write_only
        .address_space:  global
        .offset:         88
        .size:           8
        .value_kind:     global_buffer
      - .actual_access:  write_only
        .address_space:  global
        .offset:         96
        .size:           8
        .value_kind:     global_buffer
      - .actual_access:  write_only
        .address_space:  global
        .offset:         104
        .size:           8
        .value_kind:     global_buffer
      - .actual_access:  read_only
        .address_space:  global
        .offset:         112
        .size:           8
        .value_kind:     global_buffer
      - .offset:         120
        .size:           4
        .value_kind:     by_value
      - .address_space:  global
        .offset:         128
        .size:           8
        .value_kind:     global_buffer
      - .address_space:  global
        .offset:         136
        .size:           8
        .value_kind:     global_buffer
      - .offset:         144
        .size:           4
        .value_kind:     hidden_block_count_x
      - .offset:         148
        .size:           4
        .value_kind:     hidden_block_count_y
      - .offset:         152
        .size:           4
        .value_kind:     hidden_block_count_z
      - .offset:         156
        .size:           2
        .value_kind:     hidden_group_size_x
      - .offset:         158
        .size:           2
        .value_kind:     hidden_group_size_y
      - .offset:         160
        .size:           2
        .value_kind:     hidden_group_size_z
      - .offset:         162
        .size:           2
        .value_kind:     hidden_remainder_x
      - .offset:         164
        .size:           2
        .value_kind:     hidden_remainder_y
      - .offset:         166
        .size:           2
        .value_kind:     hidden_remainder_z
      - .offset:         184
        .size:           8
        .value_kind:     hidden_global_offset_x
      - .offset:         192
        .size:           8
        .value_kind:     hidden_global_offset_y
      - .offset:         200
        .size:           8
        .value_kind:     hidden_global_offset_z
      - .offset:         208
        .size:           2
        .value_kind:     hidden_grid_dims
    .group_segment_fixed_size: 17472
    .kernarg_segment_align: 8
    .kernarg_segment_size: 400
    .language:       OpenCL C
    .language_version:
      - 2
      - 0
    .max_flat_workgroup_size: 256
    .name:           _Z39paged_attention_ll4mi_QKV_mfma16_kernelIDF16_DF16_LN4vllm18Fp8KVCacheDataTypeE0EhLi16ELi64ELi256ELb0ELi2EL8MFMAType0EEvPKT_PKT0_S8_ifPKiSA_SA_iPKfiiiPfSD_PS3_PT2_iSC_SC_
    .private_segment_fixed_size: 0
    .sgpr_count:     54
    .sgpr_spill_count: 0
    .symbol:         _Z39paged_attention_ll4mi_QKV_mfma16_kernelIDF16_DF16_LN4vllm18Fp8KVCacheDataTypeE0EhLi16ELi64ELi256ELb0ELi2EL8MFMAType0EEvPKT_PKT0_S8_ifPKiSA_SA_iPKfiiiPfSD_PS3_PT2_iSC_SC_.kd
    .uniform_work_group_size: 1
    .uses_dynamic_stack: false
    .vgpr_count:     202
    .vgpr_spill_count: 0
    .wavefront_size: 32
    .workgroup_processor_mode: 1
  - .args:
      - .actual_access:  read_only
        .address_space:  global
        .offset:         0
        .size:           8
        .value_kind:     global_buffer
      - .actual_access:  read_only
        .address_space:  global
        .offset:         8
        .size:           8
        .value_kind:     global_buffer
      - .actual_access:  read_only
        .address_space:  global
        .offset:         16
        .size:           8
        .value_kind:     global_buffer
      - .offset:         24
        .size:           4
        .value_kind:     by_value
      - .offset:         28
        .size:           4
        .value_kind:     by_value
      - .actual_access:  read_only
        .address_space:  global
        .offset:         32
        .size:           8
        .value_kind:     global_buffer
      - .actual_access:  read_only
        .address_space:  global
        .offset:         40
        .size:           8
        .value_kind:     global_buffer
      - .actual_access:  read_only
        .address_space:  global
        .offset:         48
        .size:           8
        .value_kind:     global_buffer
      - .offset:         56
        .size:           4
        .value_kind:     by_value
      - .actual_access:  read_only
        .address_space:  global
        .offset:         64
        .size:           8
        .value_kind:     global_buffer
      - .offset:         72
        .size:           4
        .value_kind:     by_value
      - .offset:         76
        .size:           4
        .value_kind:     by_value
      - .offset:         80
        .size:           4
        .value_kind:     by_value
      - .actual_access:  write_only
        .address_space:  global
        .offset:         88
        .size:           8
        .value_kind:     global_buffer
      - .actual_access:  write_only
        .address_space:  global
        .offset:         96
        .size:           8
        .value_kind:     global_buffer
      - .actual_access:  write_only
        .address_space:  global
        .offset:         104
        .size:           8
        .value_kind:     global_buffer
      - .actual_access:  read_only
        .address_space:  global
        .offset:         112
        .size:           8
        .value_kind:     global_buffer
      - .offset:         120
        .size:           4
        .value_kind:     by_value
      - .address_space:  global
        .offset:         128
        .size:           8
        .value_kind:     global_buffer
      - .address_space:  global
        .offset:         136
        .size:           8
        .value_kind:     global_buffer
      - .offset:         144
        .size:           4
        .value_kind:     hidden_block_count_x
      - .offset:         148
        .size:           4
        .value_kind:     hidden_block_count_y
      - .offset:         152
        .size:           4
        .value_kind:     hidden_block_count_z
      - .offset:         156
        .size:           2
        .value_kind:     hidden_group_size_x
      - .offset:         158
        .size:           2
        .value_kind:     hidden_group_size_y
      - .offset:         160
        .size:           2
        .value_kind:     hidden_group_size_z
      - .offset:         162
        .size:           2
        .value_kind:     hidden_remainder_x
      - .offset:         164
        .size:           2
        .value_kind:     hidden_remainder_y
      - .offset:         166
        .size:           2
        .value_kind:     hidden_remainder_z
      - .offset:         184
        .size:           8
        .value_kind:     hidden_global_offset_x
      - .offset:         192
        .size:           8
        .value_kind:     hidden_global_offset_y
      - .offset:         200
        .size:           8
        .value_kind:     hidden_global_offset_z
      - .offset:         208
        .size:           2
        .value_kind:     hidden_grid_dims
    .group_segment_fixed_size: 17472
    .kernarg_segment_align: 8
    .kernarg_segment_size: 400
    .language:       OpenCL C
    .language_version:
      - 2
      - 0
    .max_flat_workgroup_size: 256
    .name:           _Z39paged_attention_ll4mi_QKV_mfma16_kernelIDF16_DF16_LN4vllm18Fp8KVCacheDataTypeE0EhLi16ELi64ELi256ELb0ELi3EL8MFMAType0EEvPKT_PKT0_S8_ifPKiSA_SA_iPKfiiiPfSD_PS3_PT2_iSC_SC_
    .private_segment_fixed_size: 0
    .sgpr_count:     54
    .sgpr_spill_count: 0
    .symbol:         _Z39paged_attention_ll4mi_QKV_mfma16_kernelIDF16_DF16_LN4vllm18Fp8KVCacheDataTypeE0EhLi16ELi64ELi256ELb0ELi3EL8MFMAType0EEvPKT_PKT0_S8_ifPKiSA_SA_iPKfiiiPfSD_PS3_PT2_iSC_SC_.kd
    .uniform_work_group_size: 1
    .uses_dynamic_stack: false
    .vgpr_count:     198
    .vgpr_spill_count: 0
    .wavefront_size: 32
    .workgroup_processor_mode: 1
  - .args:
      - .actual_access:  read_only
        .address_space:  global
        .offset:         0
        .size:           8
        .value_kind:     global_buffer
      - .actual_access:  read_only
        .address_space:  global
        .offset:         8
        .size:           8
        .value_kind:     global_buffer
      - .actual_access:  read_only
        .address_space:  global
        .offset:         16
        .size:           8
        .value_kind:     global_buffer
      - .offset:         24
        .size:           4
        .value_kind:     by_value
      - .offset:         28
        .size:           4
        .value_kind:     by_value
      - .actual_access:  read_only
        .address_space:  global
        .offset:         32
        .size:           8
        .value_kind:     global_buffer
      - .actual_access:  read_only
        .address_space:  global
        .offset:         40
        .size:           8
        .value_kind:     global_buffer
      - .actual_access:  read_only
        .address_space:  global
        .offset:         48
        .size:           8
        .value_kind:     global_buffer
      - .offset:         56
        .size:           4
        .value_kind:     by_value
      - .actual_access:  read_only
        .address_space:  global
        .offset:         64
        .size:           8
        .value_kind:     global_buffer
      - .offset:         72
        .size:           4
        .value_kind:     by_value
      - .offset:         76
        .size:           4
        .value_kind:     by_value
      - .offset:         80
        .size:           4
        .value_kind:     by_value
      - .actual_access:  write_only
        .address_space:  global
        .offset:         88
        .size:           8
        .value_kind:     global_buffer
      - .actual_access:  write_only
        .address_space:  global
        .offset:         96
        .size:           8
        .value_kind:     global_buffer
      - .actual_access:  write_only
        .address_space:  global
        .offset:         104
        .size:           8
        .value_kind:     global_buffer
      - .actual_access:  read_only
        .address_space:  global
        .offset:         112
        .size:           8
        .value_kind:     global_buffer
      - .offset:         120
        .size:           4
        .value_kind:     by_value
      - .address_space:  global
        .offset:         128
        .size:           8
        .value_kind:     global_buffer
      - .address_space:  global
        .offset:         136
        .size:           8
        .value_kind:     global_buffer
      - .offset:         144
        .size:           4
        .value_kind:     hidden_block_count_x
      - .offset:         148
        .size:           4
        .value_kind:     hidden_block_count_y
      - .offset:         152
        .size:           4
        .value_kind:     hidden_block_count_z
      - .offset:         156
        .size:           2
        .value_kind:     hidden_group_size_x
      - .offset:         158
        .size:           2
        .value_kind:     hidden_group_size_y
      - .offset:         160
        .size:           2
        .value_kind:     hidden_group_size_z
      - .offset:         162
        .size:           2
        .value_kind:     hidden_remainder_x
      - .offset:         164
        .size:           2
        .value_kind:     hidden_remainder_y
      - .offset:         166
        .size:           2
        .value_kind:     hidden_remainder_z
      - .offset:         184
        .size:           8
        .value_kind:     hidden_global_offset_x
      - .offset:         192
        .size:           8
        .value_kind:     hidden_global_offset_y
      - .offset:         200
        .size:           8
        .value_kind:     hidden_global_offset_z
      - .offset:         208
        .size:           2
        .value_kind:     hidden_grid_dims
    .group_segment_fixed_size: 17472
    .kernarg_segment_align: 8
    .kernarg_segment_size: 400
    .language:       OpenCL C
    .language_version:
      - 2
      - 0
    .max_flat_workgroup_size: 256
    .name:           _Z39paged_attention_ll4mi_QKV_mfma16_kernelIDF16_DF16_LN4vllm18Fp8KVCacheDataTypeE0EhLi16ELi64ELi256ELb0ELi4EL8MFMAType0EEvPKT_PKT0_S8_ifPKiSA_SA_iPKfiiiPfSD_PS3_PT2_iSC_SC_
    .private_segment_fixed_size: 0
    .sgpr_count:     54
    .sgpr_spill_count: 0
    .symbol:         _Z39paged_attention_ll4mi_QKV_mfma16_kernelIDF16_DF16_LN4vllm18Fp8KVCacheDataTypeE0EhLi16ELi64ELi256ELb0ELi4EL8MFMAType0EEvPKT_PKT0_S8_ifPKiSA_SA_iPKfiiiPfSD_PS3_PT2_iSC_SC_.kd
    .uniform_work_group_size: 1
    .uses_dynamic_stack: false
    .vgpr_count:     198
    .vgpr_spill_count: 0
    .wavefront_size: 32
    .workgroup_processor_mode: 1
  - .args:
      - .actual_access:  read_only
        .address_space:  global
        .offset:         0
        .size:           8
        .value_kind:     global_buffer
      - .actual_access:  read_only
        .address_space:  global
        .offset:         8
        .size:           8
        .value_kind:     global_buffer
      - .actual_access:  read_only
        .address_space:  global
        .offset:         16
        .size:           8
        .value_kind:     global_buffer
      - .offset:         24
        .size:           4
        .value_kind:     by_value
      - .offset:         28
        .size:           4
        .value_kind:     by_value
      - .actual_access:  read_only
        .address_space:  global
        .offset:         32
        .size:           8
        .value_kind:     global_buffer
      - .actual_access:  read_only
        .address_space:  global
        .offset:         40
        .size:           8
        .value_kind:     global_buffer
      - .actual_access:  read_only
        .address_space:  global
        .offset:         48
        .size:           8
        .value_kind:     global_buffer
      - .offset:         56
        .size:           4
        .value_kind:     by_value
      - .actual_access:  read_only
        .address_space:  global
        .offset:         64
        .size:           8
        .value_kind:     global_buffer
      - .offset:         72
        .size:           4
        .value_kind:     by_value
      - .offset:         76
        .size:           4
        .value_kind:     by_value
      - .offset:         80
        .size:           4
        .value_kind:     by_value
      - .actual_access:  read_only
        .address_space:  global
        .offset:         88
        .size:           8
        .value_kind:     global_buffer
      - .actual_access:  read_only
        .address_space:  global
        .offset:         96
        .size:           8
        .value_kind:     global_buffer
      - .actual_access:  read_only
        .address_space:  global
        .offset:         104
        .size:           8
        .value_kind:     global_buffer
      - .actual_access:  read_only
        .address_space:  global
        .offset:         112
        .size:           8
        .value_kind:     global_buffer
      - .offset:         120
        .size:           4
        .value_kind:     by_value
      - .address_space:  global
        .offset:         128
        .size:           8
        .value_kind:     global_buffer
      - .address_space:  global
        .offset:         136
        .size:           8
        .value_kind:     global_buffer
      - .offset:         144
        .size:           4
        .value_kind:     hidden_block_count_x
      - .offset:         148
        .size:           4
        .value_kind:     hidden_block_count_y
      - .offset:         152
        .size:           4
        .value_kind:     hidden_block_count_z
      - .offset:         156
        .size:           2
        .value_kind:     hidden_group_size_x
      - .offset:         158
        .size:           2
        .value_kind:     hidden_group_size_y
      - .offset:         160
        .size:           2
        .value_kind:     hidden_group_size_z
      - .offset:         162
        .size:           2
        .value_kind:     hidden_remainder_x
      - .offset:         164
        .size:           2
        .value_kind:     hidden_remainder_y
      - .offset:         166
        .size:           2
        .value_kind:     hidden_remainder_z
      - .offset:         184
        .size:           8
        .value_kind:     hidden_global_offset_x
      - .offset:         192
        .size:           8
        .value_kind:     hidden_global_offset_y
      - .offset:         200
        .size:           8
        .value_kind:     hidden_global_offset_z
      - .offset:         208
        .size:           2
        .value_kind:     hidden_grid_dims
      - .offset:         224
        .size:           8
        .value_kind:     hidden_hostcall_buffer
    .group_segment_fixed_size: 0
    .kernarg_segment_align: 8
    .kernarg_segment_size: 400
    .language:       OpenCL C
    .language_version:
      - 2
      - 0
    .max_flat_workgroup_size: 256
    .name:           _Z38paged_attention_ll4mi_QKV_mfma4_kernelIDF16_DF16_LN4vllm18Fp8KVCacheDataTypeE0EDF16_Li16ELi64ELi256ELb1ELi1EEvPKT_PKT0_S7_ifPKiS9_S9_iPKfiiiPfSC_PS2_PT2_iSB_SB_
    .private_segment_fixed_size: 64
    .sgpr_count:     36
    .sgpr_spill_count: 0
    .symbol:         _Z38paged_attention_ll4mi_QKV_mfma4_kernelIDF16_DF16_LN4vllm18Fp8KVCacheDataTypeE0EDF16_Li16ELi64ELi256ELb1ELi1EEvPKT_PKT0_S7_ifPKiS9_S9_iPKfiiiPfSC_PS2_PT2_iSB_SB_.kd
    .uniform_work_group_size: 1
    .uses_dynamic_stack: false
    .vgpr_count:     41
    .vgpr_spill_count: 0
    .wavefront_size: 32
    .workgroup_processor_mode: 1
  - .args:
      - .actual_access:  read_only
        .address_space:  global
        .offset:         0
        .size:           8
        .value_kind:     global_buffer
      - .actual_access:  read_only
        .address_space:  global
        .offset:         8
        .size:           8
        .value_kind:     global_buffer
      - .actual_access:  read_only
        .address_space:  global
        .offset:         16
        .size:           8
        .value_kind:     global_buffer
      - .offset:         24
        .size:           4
        .value_kind:     by_value
      - .offset:         28
        .size:           4
        .value_kind:     by_value
      - .actual_access:  read_only
        .address_space:  global
        .offset:         32
        .size:           8
        .value_kind:     global_buffer
      - .actual_access:  read_only
        .address_space:  global
        .offset:         40
        .size:           8
        .value_kind:     global_buffer
      - .actual_access:  read_only
        .address_space:  global
        .offset:         48
        .size:           8
        .value_kind:     global_buffer
      - .offset:         56
        .size:           4
        .value_kind:     by_value
      - .actual_access:  read_only
        .address_space:  global
        .offset:         64
        .size:           8
        .value_kind:     global_buffer
      - .offset:         72
        .size:           4
        .value_kind:     by_value
      - .offset:         76
        .size:           4
        .value_kind:     by_value
      - .offset:         80
        .size:           4
        .value_kind:     by_value
      - .actual_access:  read_only
        .address_space:  global
        .offset:         88
        .size:           8
        .value_kind:     global_buffer
      - .actual_access:  read_only
        .address_space:  global
        .offset:         96
        .size:           8
        .value_kind:     global_buffer
      - .actual_access:  read_only
        .address_space:  global
        .offset:         104
        .size:           8
        .value_kind:     global_buffer
      - .actual_access:  read_only
        .address_space:  global
        .offset:         112
        .size:           8
        .value_kind:     global_buffer
      - .offset:         120
        .size:           4
        .value_kind:     by_value
      - .address_space:  global
        .offset:         128
        .size:           8
        .value_kind:     global_buffer
      - .address_space:  global
        .offset:         136
        .size:           8
        .value_kind:     global_buffer
      - .offset:         144
        .size:           4
        .value_kind:     hidden_block_count_x
      - .offset:         148
        .size:           4
        .value_kind:     hidden_block_count_y
      - .offset:         152
        .size:           4
        .value_kind:     hidden_block_count_z
      - .offset:         156
        .size:           2
        .value_kind:     hidden_group_size_x
      - .offset:         158
        .size:           2
        .value_kind:     hidden_group_size_y
      - .offset:         160
        .size:           2
        .value_kind:     hidden_group_size_z
      - .offset:         162
        .size:           2
        .value_kind:     hidden_remainder_x
      - .offset:         164
        .size:           2
        .value_kind:     hidden_remainder_y
      - .offset:         166
        .size:           2
        .value_kind:     hidden_remainder_z
      - .offset:         184
        .size:           8
        .value_kind:     hidden_global_offset_x
      - .offset:         192
        .size:           8
        .value_kind:     hidden_global_offset_y
      - .offset:         200
        .size:           8
        .value_kind:     hidden_global_offset_z
      - .offset:         208
        .size:           2
        .value_kind:     hidden_grid_dims
      - .offset:         224
        .size:           8
        .value_kind:     hidden_hostcall_buffer
    .group_segment_fixed_size: 0
    .kernarg_segment_align: 8
    .kernarg_segment_size: 400
    .language:       OpenCL C
    .language_version:
      - 2
      - 0
    .max_flat_workgroup_size: 256
    .name:           _Z38paged_attention_ll4mi_QKV_mfma4_kernelIDF16_DF16_LN4vllm18Fp8KVCacheDataTypeE0EDF16_Li16ELi64ELi256ELb1ELi2EEvPKT_PKT0_S7_ifPKiS9_S9_iPKfiiiPfSC_PS2_PT2_iSB_SB_
    .private_segment_fixed_size: 64
    .sgpr_count:     36
    .sgpr_spill_count: 0
    .symbol:         _Z38paged_attention_ll4mi_QKV_mfma4_kernelIDF16_DF16_LN4vllm18Fp8KVCacheDataTypeE0EDF16_Li16ELi64ELi256ELb1ELi2EEvPKT_PKT0_S7_ifPKiS9_S9_iPKfiiiPfSC_PS2_PT2_iSB_SB_.kd
    .uniform_work_group_size: 1
    .uses_dynamic_stack: false
    .vgpr_count:     41
    .vgpr_spill_count: 0
    .wavefront_size: 32
    .workgroup_processor_mode: 1
  - .args:
      - .actual_access:  read_only
        .address_space:  global
        .offset:         0
        .size:           8
        .value_kind:     global_buffer
      - .actual_access:  read_only
        .address_space:  global
        .offset:         8
        .size:           8
        .value_kind:     global_buffer
      - .actual_access:  read_only
        .address_space:  global
        .offset:         16
        .size:           8
        .value_kind:     global_buffer
      - .offset:         24
        .size:           4
        .value_kind:     by_value
      - .offset:         28
        .size:           4
        .value_kind:     by_value
      - .actual_access:  read_only
        .address_space:  global
        .offset:         32
        .size:           8
        .value_kind:     global_buffer
      - .actual_access:  read_only
        .address_space:  global
        .offset:         40
        .size:           8
        .value_kind:     global_buffer
      - .actual_access:  read_only
        .address_space:  global
        .offset:         48
        .size:           8
        .value_kind:     global_buffer
      - .offset:         56
        .size:           4
        .value_kind:     by_value
      - .actual_access:  read_only
        .address_space:  global
        .offset:         64
        .size:           8
        .value_kind:     global_buffer
      - .offset:         72
        .size:           4
        .value_kind:     by_value
      - .offset:         76
        .size:           4
        .value_kind:     by_value
      - .offset:         80
        .size:           4
        .value_kind:     by_value
      - .actual_access:  read_only
        .address_space:  global
        .offset:         88
        .size:           8
        .value_kind:     global_buffer
      - .actual_access:  read_only
        .address_space:  global
        .offset:         96
        .size:           8
        .value_kind:     global_buffer
      - .actual_access:  read_only
        .address_space:  global
        .offset:         104
        .size:           8
        .value_kind:     global_buffer
      - .actual_access:  read_only
        .address_space:  global
        .offset:         112
        .size:           8
        .value_kind:     global_buffer
      - .offset:         120
        .size:           4
        .value_kind:     by_value
      - .address_space:  global
        .offset:         128
        .size:           8
        .value_kind:     global_buffer
      - .address_space:  global
        .offset:         136
        .size:           8
        .value_kind:     global_buffer
      - .offset:         144
        .size:           4
        .value_kind:     hidden_block_count_x
      - .offset:         148
        .size:           4
        .value_kind:     hidden_block_count_y
      - .offset:         152
        .size:           4
        .value_kind:     hidden_block_count_z
      - .offset:         156
        .size:           2
        .value_kind:     hidden_group_size_x
      - .offset:         158
        .size:           2
        .value_kind:     hidden_group_size_y
      - .offset:         160
        .size:           2
        .value_kind:     hidden_group_size_z
      - .offset:         162
        .size:           2
        .value_kind:     hidden_remainder_x
      - .offset:         164
        .size:           2
        .value_kind:     hidden_remainder_y
      - .offset:         166
        .size:           2
        .value_kind:     hidden_remainder_z
      - .offset:         184
        .size:           8
        .value_kind:     hidden_global_offset_x
      - .offset:         192
        .size:           8
        .value_kind:     hidden_global_offset_y
      - .offset:         200
        .size:           8
        .value_kind:     hidden_global_offset_z
      - .offset:         208
        .size:           2
        .value_kind:     hidden_grid_dims
      - .offset:         224
        .size:           8
        .value_kind:     hidden_hostcall_buffer
    .group_segment_fixed_size: 0
    .kernarg_segment_align: 8
    .kernarg_segment_size: 400
    .language:       OpenCL C
    .language_version:
      - 2
      - 0
    .max_flat_workgroup_size: 256
    .name:           _Z38paged_attention_ll4mi_QKV_mfma4_kernelIDF16_DF16_LN4vllm18Fp8KVCacheDataTypeE0EDF16_Li16ELi64ELi256ELb1ELi3EEvPKT_PKT0_S7_ifPKiS9_S9_iPKfiiiPfSC_PS2_PT2_iSB_SB_
    .private_segment_fixed_size: 64
    .sgpr_count:     36
    .sgpr_spill_count: 0
    .symbol:         _Z38paged_attention_ll4mi_QKV_mfma4_kernelIDF16_DF16_LN4vllm18Fp8KVCacheDataTypeE0EDF16_Li16ELi64ELi256ELb1ELi3EEvPKT_PKT0_S7_ifPKiS9_S9_iPKfiiiPfSC_PS2_PT2_iSB_SB_.kd
    .uniform_work_group_size: 1
    .uses_dynamic_stack: false
    .vgpr_count:     41
    .vgpr_spill_count: 0
    .wavefront_size: 32
    .workgroup_processor_mode: 1
  - .args:
      - .actual_access:  read_only
        .address_space:  global
        .offset:         0
        .size:           8
        .value_kind:     global_buffer
      - .actual_access:  read_only
        .address_space:  global
        .offset:         8
        .size:           8
        .value_kind:     global_buffer
      - .actual_access:  read_only
        .address_space:  global
        .offset:         16
        .size:           8
        .value_kind:     global_buffer
      - .offset:         24
        .size:           4
        .value_kind:     by_value
      - .offset:         28
        .size:           4
        .value_kind:     by_value
      - .actual_access:  read_only
        .address_space:  global
        .offset:         32
        .size:           8
        .value_kind:     global_buffer
      - .actual_access:  read_only
        .address_space:  global
        .offset:         40
        .size:           8
        .value_kind:     global_buffer
      - .actual_access:  read_only
        .address_space:  global
        .offset:         48
        .size:           8
        .value_kind:     global_buffer
      - .offset:         56
        .size:           4
        .value_kind:     by_value
      - .actual_access:  read_only
        .address_space:  global
        .offset:         64
        .size:           8
        .value_kind:     global_buffer
      - .offset:         72
        .size:           4
        .value_kind:     by_value
      - .offset:         76
        .size:           4
        .value_kind:     by_value
      - .offset:         80
        .size:           4
        .value_kind:     by_value
      - .actual_access:  read_only
        .address_space:  global
        .offset:         88
        .size:           8
        .value_kind:     global_buffer
      - .actual_access:  read_only
        .address_space:  global
        .offset:         96
        .size:           8
        .value_kind:     global_buffer
      - .actual_access:  read_only
        .address_space:  global
        .offset:         104
        .size:           8
        .value_kind:     global_buffer
      - .actual_access:  read_only
        .address_space:  global
        .offset:         112
        .size:           8
        .value_kind:     global_buffer
      - .offset:         120
        .size:           4
        .value_kind:     by_value
      - .address_space:  global
        .offset:         128
        .size:           8
        .value_kind:     global_buffer
      - .address_space:  global
        .offset:         136
        .size:           8
        .value_kind:     global_buffer
      - .offset:         144
        .size:           4
        .value_kind:     hidden_block_count_x
      - .offset:         148
        .size:           4
        .value_kind:     hidden_block_count_y
      - .offset:         152
        .size:           4
        .value_kind:     hidden_block_count_z
      - .offset:         156
        .size:           2
        .value_kind:     hidden_group_size_x
      - .offset:         158
        .size:           2
        .value_kind:     hidden_group_size_y
      - .offset:         160
        .size:           2
        .value_kind:     hidden_group_size_z
      - .offset:         162
        .size:           2
        .value_kind:     hidden_remainder_x
      - .offset:         164
        .size:           2
        .value_kind:     hidden_remainder_y
      - .offset:         166
        .size:           2
        .value_kind:     hidden_remainder_z
      - .offset:         184
        .size:           8
        .value_kind:     hidden_global_offset_x
      - .offset:         192
        .size:           8
        .value_kind:     hidden_global_offset_y
      - .offset:         200
        .size:           8
        .value_kind:     hidden_global_offset_z
      - .offset:         208
        .size:           2
        .value_kind:     hidden_grid_dims
      - .offset:         224
        .size:           8
        .value_kind:     hidden_hostcall_buffer
    .group_segment_fixed_size: 0
    .kernarg_segment_align: 8
    .kernarg_segment_size: 400
    .language:       OpenCL C
    .language_version:
      - 2
      - 0
    .max_flat_workgroup_size: 256
    .name:           _Z38paged_attention_ll4mi_QKV_mfma4_kernelIDF16_DF16_LN4vllm18Fp8KVCacheDataTypeE0EDF16_Li16ELi64ELi256ELb1ELi4EEvPKT_PKT0_S7_ifPKiS9_S9_iPKfiiiPfSC_PS2_PT2_iSB_SB_
    .private_segment_fixed_size: 64
    .sgpr_count:     36
    .sgpr_spill_count: 0
    .symbol:         _Z38paged_attention_ll4mi_QKV_mfma4_kernelIDF16_DF16_LN4vllm18Fp8KVCacheDataTypeE0EDF16_Li16ELi64ELi256ELb1ELi4EEvPKT_PKT0_S7_ifPKiS9_S9_iPKfiiiPfSC_PS2_PT2_iSB_SB_.kd
    .uniform_work_group_size: 1
    .uses_dynamic_stack: false
    .vgpr_count:     41
    .vgpr_spill_count: 0
    .wavefront_size: 32
    .workgroup_processor_mode: 1
  - .args:
      - .actual_access:  read_only
        .address_space:  global
        .offset:         0
        .size:           8
        .value_kind:     global_buffer
      - .actual_access:  read_only
        .address_space:  global
        .offset:         8
        .size:           8
        .value_kind:     global_buffer
      - .actual_access:  read_only
        .address_space:  global
        .offset:         16
        .size:           8
        .value_kind:     global_buffer
      - .offset:         24
        .size:           4
        .value_kind:     by_value
      - .offset:         28
        .size:           4
        .value_kind:     by_value
      - .actual_access:  read_only
        .address_space:  global
        .offset:         32
        .size:           8
        .value_kind:     global_buffer
      - .actual_access:  read_only
        .address_space:  global
        .offset:         40
        .size:           8
        .value_kind:     global_buffer
      - .actual_access:  read_only
        .address_space:  global
        .offset:         48
        .size:           8
        .value_kind:     global_buffer
      - .offset:         56
        .size:           4
        .value_kind:     by_value
      - .actual_access:  read_only
        .address_space:  global
        .offset:         64
        .size:           8
        .value_kind:     global_buffer
      - .offset:         72
        .size:           4
        .value_kind:     by_value
      - .offset:         76
        .size:           4
        .value_kind:     by_value
      - .offset:         80
        .size:           4
        .value_kind:     by_value
      - .actual_access:  write_only
        .address_space:  global
        .offset:         88
        .size:           8
        .value_kind:     global_buffer
      - .actual_access:  write_only
        .address_space:  global
        .offset:         96
        .size:           8
        .value_kind:     global_buffer
      - .actual_access:  write_only
        .address_space:  global
        .offset:         104
        .size:           8
        .value_kind:     global_buffer
      - .actual_access:  read_only
        .address_space:  global
        .offset:         112
        .size:           8
        .value_kind:     global_buffer
      - .offset:         120
        .size:           4
        .value_kind:     by_value
      - .address_space:  global
        .offset:         128
        .size:           8
        .value_kind:     global_buffer
      - .address_space:  global
        .offset:         136
        .size:           8
        .value_kind:     global_buffer
      - .offset:         144
        .size:           4
        .value_kind:     hidden_block_count_x
      - .offset:         148
        .size:           4
        .value_kind:     hidden_block_count_y
      - .offset:         152
        .size:           4
        .value_kind:     hidden_block_count_z
      - .offset:         156
        .size:           2
        .value_kind:     hidden_group_size_x
      - .offset:         158
        .size:           2
        .value_kind:     hidden_group_size_y
      - .offset:         160
        .size:           2
        .value_kind:     hidden_group_size_z
      - .offset:         162
        .size:           2
        .value_kind:     hidden_remainder_x
      - .offset:         164
        .size:           2
        .value_kind:     hidden_remainder_y
      - .offset:         166
        .size:           2
        .value_kind:     hidden_remainder_z
      - .offset:         184
        .size:           8
        .value_kind:     hidden_global_offset_x
      - .offset:         192
        .size:           8
        .value_kind:     hidden_global_offset_y
      - .offset:         200
        .size:           8
        .value_kind:     hidden_global_offset_z
      - .offset:         208
        .size:           2
        .value_kind:     hidden_grid_dims
    .group_segment_fixed_size: 17472
    .kernarg_segment_align: 8
    .kernarg_segment_size: 400
    .language:       OpenCL C
    .language_version:
      - 2
      - 0
    .max_flat_workgroup_size: 256
    .name:           _Z39paged_attention_ll4mi_QKV_mfma16_kernelIDF16_DF16_LN4vllm18Fp8KVCacheDataTypeE0EDF16_Li16ELi64ELi256ELb1ELi5EL8MFMAType0EEvPKT_PKT0_S8_ifPKiSA_SA_iPKfiiiPfSD_PS3_PT2_iSC_SC_
    .private_segment_fixed_size: 0
    .sgpr_count:     54
    .sgpr_spill_count: 0
    .symbol:         _Z39paged_attention_ll4mi_QKV_mfma16_kernelIDF16_DF16_LN4vllm18Fp8KVCacheDataTypeE0EDF16_Li16ELi64ELi256ELb1ELi5EL8MFMAType0EEvPKT_PKT0_S8_ifPKiSA_SA_iPKfiiiPfSD_PS3_PT2_iSC_SC_.kd
    .uniform_work_group_size: 1
    .uses_dynamic_stack: false
    .vgpr_count:     198
    .vgpr_spill_count: 0
    .wavefront_size: 32
    .workgroup_processor_mode: 1
  - .args:
      - .actual_access:  read_only
        .address_space:  global
        .offset:         0
        .size:           8
        .value_kind:     global_buffer
      - .actual_access:  read_only
        .address_space:  global
        .offset:         8
        .size:           8
        .value_kind:     global_buffer
      - .actual_access:  read_only
        .address_space:  global
        .offset:         16
        .size:           8
        .value_kind:     global_buffer
      - .offset:         24
        .size:           4
        .value_kind:     by_value
      - .offset:         28
        .size:           4
        .value_kind:     by_value
      - .actual_access:  read_only
        .address_space:  global
        .offset:         32
        .size:           8
        .value_kind:     global_buffer
      - .actual_access:  read_only
        .address_space:  global
        .offset:         40
        .size:           8
        .value_kind:     global_buffer
      - .actual_access:  read_only
        .address_space:  global
        .offset:         48
        .size:           8
        .value_kind:     global_buffer
      - .offset:         56
        .size:           4
        .value_kind:     by_value
      - .actual_access:  read_only
        .address_space:  global
        .offset:         64
        .size:           8
        .value_kind:     global_buffer
      - .offset:         72
        .size:           4
        .value_kind:     by_value
      - .offset:         76
        .size:           4
        .value_kind:     by_value
      - .offset:         80
        .size:           4
        .value_kind:     by_value
      - .actual_access:  write_only
        .address_space:  global
        .offset:         88
        .size:           8
        .value_kind:     global_buffer
      - .actual_access:  write_only
        .address_space:  global
        .offset:         96
        .size:           8
        .value_kind:     global_buffer
      - .actual_access:  write_only
        .address_space:  global
        .offset:         104
        .size:           8
        .value_kind:     global_buffer
      - .actual_access:  read_only
        .address_space:  global
        .offset:         112
        .size:           8
        .value_kind:     global_buffer
      - .offset:         120
        .size:           4
        .value_kind:     by_value
      - .address_space:  global
        .offset:         128
        .size:           8
        .value_kind:     global_buffer
      - .address_space:  global
        .offset:         136
        .size:           8
        .value_kind:     global_buffer
      - .offset:         144
        .size:           4
        .value_kind:     hidden_block_count_x
      - .offset:         148
        .size:           4
        .value_kind:     hidden_block_count_y
      - .offset:         152
        .size:           4
        .value_kind:     hidden_block_count_z
      - .offset:         156
        .size:           2
        .value_kind:     hidden_group_size_x
      - .offset:         158
        .size:           2
        .value_kind:     hidden_group_size_y
      - .offset:         160
        .size:           2
        .value_kind:     hidden_group_size_z
      - .offset:         162
        .size:           2
        .value_kind:     hidden_remainder_x
      - .offset:         164
        .size:           2
        .value_kind:     hidden_remainder_y
      - .offset:         166
        .size:           2
        .value_kind:     hidden_remainder_z
      - .offset:         184
        .size:           8
        .value_kind:     hidden_global_offset_x
      - .offset:         192
        .size:           8
        .value_kind:     hidden_global_offset_y
      - .offset:         200
        .size:           8
        .value_kind:     hidden_global_offset_z
      - .offset:         208
        .size:           2
        .value_kind:     hidden_grid_dims
    .group_segment_fixed_size: 17472
    .kernarg_segment_align: 8
    .kernarg_segment_size: 400
    .language:       OpenCL C
    .language_version:
      - 2
      - 0
    .max_flat_workgroup_size: 256
    .name:           _Z39paged_attention_ll4mi_QKV_mfma16_kernelIDF16_DF16_LN4vllm18Fp8KVCacheDataTypeE0EDF16_Li16ELi64ELi256ELb1ELi6EL8MFMAType0EEvPKT_PKT0_S8_ifPKiSA_SA_iPKfiiiPfSD_PS3_PT2_iSC_SC_
    .private_segment_fixed_size: 0
    .sgpr_count:     54
    .sgpr_spill_count: 0
    .symbol:         _Z39paged_attention_ll4mi_QKV_mfma16_kernelIDF16_DF16_LN4vllm18Fp8KVCacheDataTypeE0EDF16_Li16ELi64ELi256ELb1ELi6EL8MFMAType0EEvPKT_PKT0_S8_ifPKiSA_SA_iPKfiiiPfSD_PS3_PT2_iSC_SC_.kd
    .uniform_work_group_size: 1
    .uses_dynamic_stack: false
    .vgpr_count:     198
    .vgpr_spill_count: 0
    .wavefront_size: 32
    .workgroup_processor_mode: 1
  - .args:
      - .actual_access:  read_only
        .address_space:  global
        .offset:         0
        .size:           8
        .value_kind:     global_buffer
      - .actual_access:  read_only
        .address_space:  global
        .offset:         8
        .size:           8
        .value_kind:     global_buffer
      - .actual_access:  read_only
        .address_space:  global
        .offset:         16
        .size:           8
        .value_kind:     global_buffer
      - .offset:         24
        .size:           4
        .value_kind:     by_value
      - .offset:         28
        .size:           4
        .value_kind:     by_value
      - .actual_access:  read_only
        .address_space:  global
        .offset:         32
        .size:           8
        .value_kind:     global_buffer
      - .actual_access:  read_only
        .address_space:  global
        .offset:         40
        .size:           8
        .value_kind:     global_buffer
      - .actual_access:  read_only
        .address_space:  global
        .offset:         48
        .size:           8
        .value_kind:     global_buffer
      - .offset:         56
        .size:           4
        .value_kind:     by_value
      - .actual_access:  read_only
        .address_space:  global
        .offset:         64
        .size:           8
        .value_kind:     global_buffer
      - .offset:         72
        .size:           4
        .value_kind:     by_value
      - .offset:         76
        .size:           4
        .value_kind:     by_value
      - .offset:         80
        .size:           4
        .value_kind:     by_value
      - .actual_access:  write_only
        .address_space:  global
        .offset:         88
        .size:           8
        .value_kind:     global_buffer
      - .actual_access:  write_only
        .address_space:  global
        .offset:         96
        .size:           8
        .value_kind:     global_buffer
      - .actual_access:  write_only
        .address_space:  global
        .offset:         104
        .size:           8
        .value_kind:     global_buffer
      - .actual_access:  read_only
        .address_space:  global
        .offset:         112
        .size:           8
        .value_kind:     global_buffer
      - .offset:         120
        .size:           4
        .value_kind:     by_value
      - .address_space:  global
        .offset:         128
        .size:           8
        .value_kind:     global_buffer
      - .address_space:  global
        .offset:         136
        .size:           8
        .value_kind:     global_buffer
      - .offset:         144
        .size:           4
        .value_kind:     hidden_block_count_x
      - .offset:         148
        .size:           4
        .value_kind:     hidden_block_count_y
      - .offset:         152
        .size:           4
        .value_kind:     hidden_block_count_z
      - .offset:         156
        .size:           2
        .value_kind:     hidden_group_size_x
      - .offset:         158
        .size:           2
        .value_kind:     hidden_group_size_y
      - .offset:         160
        .size:           2
        .value_kind:     hidden_group_size_z
      - .offset:         162
        .size:           2
        .value_kind:     hidden_remainder_x
      - .offset:         164
        .size:           2
        .value_kind:     hidden_remainder_y
      - .offset:         166
        .size:           2
        .value_kind:     hidden_remainder_z
      - .offset:         184
        .size:           8
        .value_kind:     hidden_global_offset_x
      - .offset:         192
        .size:           8
        .value_kind:     hidden_global_offset_y
      - .offset:         200
        .size:           8
        .value_kind:     hidden_global_offset_z
      - .offset:         208
        .size:           2
        .value_kind:     hidden_grid_dims
    .group_segment_fixed_size: 17472
    .kernarg_segment_align: 8
    .kernarg_segment_size: 400
    .language:       OpenCL C
    .language_version:
      - 2
      - 0
    .max_flat_workgroup_size: 256
    .name:           _Z39paged_attention_ll4mi_QKV_mfma16_kernelIDF16_DF16_LN4vllm18Fp8KVCacheDataTypeE0EDF16_Li16ELi64ELi256ELb1ELi7EL8MFMAType0EEvPKT_PKT0_S8_ifPKiSA_SA_iPKfiiiPfSD_PS3_PT2_iSC_SC_
    .private_segment_fixed_size: 0
    .sgpr_count:     54
    .sgpr_spill_count: 0
    .symbol:         _Z39paged_attention_ll4mi_QKV_mfma16_kernelIDF16_DF16_LN4vllm18Fp8KVCacheDataTypeE0EDF16_Li16ELi64ELi256ELb1ELi7EL8MFMAType0EEvPKT_PKT0_S8_ifPKiSA_SA_iPKfiiiPfSD_PS3_PT2_iSC_SC_.kd
    .uniform_work_group_size: 1
    .uses_dynamic_stack: false
    .vgpr_count:     198
    .vgpr_spill_count: 0
    .wavefront_size: 32
    .workgroup_processor_mode: 1
  - .args:
      - .actual_access:  read_only
        .address_space:  global
        .offset:         0
        .size:           8
        .value_kind:     global_buffer
      - .actual_access:  read_only
        .address_space:  global
        .offset:         8
        .size:           8
        .value_kind:     global_buffer
      - .actual_access:  read_only
        .address_space:  global
        .offset:         16
        .size:           8
        .value_kind:     global_buffer
      - .offset:         24
        .size:           4
        .value_kind:     by_value
      - .offset:         28
        .size:           4
        .value_kind:     by_value
      - .actual_access:  read_only
        .address_space:  global
        .offset:         32
        .size:           8
        .value_kind:     global_buffer
      - .actual_access:  read_only
        .address_space:  global
        .offset:         40
        .size:           8
        .value_kind:     global_buffer
      - .actual_access:  read_only
        .address_space:  global
        .offset:         48
        .size:           8
        .value_kind:     global_buffer
      - .offset:         56
        .size:           4
        .value_kind:     by_value
      - .actual_access:  read_only
        .address_space:  global
        .offset:         64
        .size:           8
        .value_kind:     global_buffer
      - .offset:         72
        .size:           4
        .value_kind:     by_value
      - .offset:         76
        .size:           4
        .value_kind:     by_value
      - .offset:         80
        .size:           4
        .value_kind:     by_value
      - .actual_access:  write_only
        .address_space:  global
        .offset:         88
        .size:           8
        .value_kind:     global_buffer
      - .actual_access:  write_only
        .address_space:  global
        .offset:         96
        .size:           8
        .value_kind:     global_buffer
      - .actual_access:  write_only
        .address_space:  global
        .offset:         104
        .size:           8
        .value_kind:     global_buffer
      - .actual_access:  read_only
        .address_space:  global
        .offset:         112
        .size:           8
        .value_kind:     global_buffer
      - .offset:         120
        .size:           4
        .value_kind:     by_value
      - .address_space:  global
        .offset:         128
        .size:           8
        .value_kind:     global_buffer
      - .address_space:  global
        .offset:         136
        .size:           8
        .value_kind:     global_buffer
      - .offset:         144
        .size:           4
        .value_kind:     hidden_block_count_x
      - .offset:         148
        .size:           4
        .value_kind:     hidden_block_count_y
      - .offset:         152
        .size:           4
        .value_kind:     hidden_block_count_z
      - .offset:         156
        .size:           2
        .value_kind:     hidden_group_size_x
      - .offset:         158
        .size:           2
        .value_kind:     hidden_group_size_y
      - .offset:         160
        .size:           2
        .value_kind:     hidden_group_size_z
      - .offset:         162
        .size:           2
        .value_kind:     hidden_remainder_x
      - .offset:         164
        .size:           2
        .value_kind:     hidden_remainder_y
      - .offset:         166
        .size:           2
        .value_kind:     hidden_remainder_z
      - .offset:         184
        .size:           8
        .value_kind:     hidden_global_offset_x
      - .offset:         192
        .size:           8
        .value_kind:     hidden_global_offset_y
      - .offset:         200
        .size:           8
        .value_kind:     hidden_global_offset_z
      - .offset:         208
        .size:           2
        .value_kind:     hidden_grid_dims
    .group_segment_fixed_size: 17472
    .kernarg_segment_align: 8
    .kernarg_segment_size: 400
    .language:       OpenCL C
    .language_version:
      - 2
      - 0
    .max_flat_workgroup_size: 256
    .name:           _Z39paged_attention_ll4mi_QKV_mfma16_kernelIDF16_DF16_LN4vllm18Fp8KVCacheDataTypeE0EDF16_Li16ELi64ELi256ELb1ELi8EL8MFMAType0EEvPKT_PKT0_S8_ifPKiSA_SA_iPKfiiiPfSD_PS3_PT2_iSC_SC_
    .private_segment_fixed_size: 0
    .sgpr_count:     54
    .sgpr_spill_count: 0
    .symbol:         _Z39paged_attention_ll4mi_QKV_mfma16_kernelIDF16_DF16_LN4vllm18Fp8KVCacheDataTypeE0EDF16_Li16ELi64ELi256ELb1ELi8EL8MFMAType0EEvPKT_PKT0_S8_ifPKiSA_SA_iPKfiiiPfSD_PS3_PT2_iSC_SC_.kd
    .uniform_work_group_size: 1
    .uses_dynamic_stack: false
    .vgpr_count:     198
    .vgpr_spill_count: 0
    .wavefront_size: 32
    .workgroup_processor_mode: 1
  - .args:
      - .actual_access:  read_only
        .address_space:  global
        .offset:         0
        .size:           8
        .value_kind:     global_buffer
      - .actual_access:  read_only
        .address_space:  global
        .offset:         8
        .size:           8
        .value_kind:     global_buffer
      - .actual_access:  read_only
        .address_space:  global
        .offset:         16
        .size:           8
        .value_kind:     global_buffer
      - .offset:         24
        .size:           4
        .value_kind:     by_value
      - .offset:         28
        .size:           4
        .value_kind:     by_value
      - .actual_access:  read_only
        .address_space:  global
        .offset:         32
        .size:           8
        .value_kind:     global_buffer
      - .actual_access:  read_only
        .address_space:  global
        .offset:         40
        .size:           8
        .value_kind:     global_buffer
      - .actual_access:  read_only
        .address_space:  global
        .offset:         48
        .size:           8
        .value_kind:     global_buffer
      - .offset:         56
        .size:           4
        .value_kind:     by_value
      - .actual_access:  read_only
        .address_space:  global
        .offset:         64
        .size:           8
        .value_kind:     global_buffer
      - .offset:         72
        .size:           4
        .value_kind:     by_value
      - .offset:         76
        .size:           4
        .value_kind:     by_value
      - .offset:         80
        .size:           4
        .value_kind:     by_value
      - .actual_access:  write_only
        .address_space:  global
        .offset:         88
        .size:           8
        .value_kind:     global_buffer
      - .actual_access:  write_only
        .address_space:  global
        .offset:         96
        .size:           8
        .value_kind:     global_buffer
      - .actual_access:  write_only
        .address_space:  global
        .offset:         104
        .size:           8
        .value_kind:     global_buffer
      - .actual_access:  read_only
        .address_space:  global
        .offset:         112
        .size:           8
        .value_kind:     global_buffer
      - .offset:         120
        .size:           4
        .value_kind:     by_value
      - .address_space:  global
        .offset:         128
        .size:           8
        .value_kind:     global_buffer
      - .address_space:  global
        .offset:         136
        .size:           8
        .value_kind:     global_buffer
      - .offset:         144
        .size:           4
        .value_kind:     hidden_block_count_x
      - .offset:         148
        .size:           4
        .value_kind:     hidden_block_count_y
      - .offset:         152
        .size:           4
        .value_kind:     hidden_block_count_z
      - .offset:         156
        .size:           2
        .value_kind:     hidden_group_size_x
      - .offset:         158
        .size:           2
        .value_kind:     hidden_group_size_y
      - .offset:         160
        .size:           2
        .value_kind:     hidden_group_size_z
      - .offset:         162
        .size:           2
        .value_kind:     hidden_remainder_x
      - .offset:         164
        .size:           2
        .value_kind:     hidden_remainder_y
      - .offset:         166
        .size:           2
        .value_kind:     hidden_remainder_z
      - .offset:         184
        .size:           8
        .value_kind:     hidden_global_offset_x
      - .offset:         192
        .size:           8
        .value_kind:     hidden_global_offset_y
      - .offset:         200
        .size:           8
        .value_kind:     hidden_global_offset_z
      - .offset:         208
        .size:           2
        .value_kind:     hidden_grid_dims
    .group_segment_fixed_size: 17472
    .kernarg_segment_align: 8
    .kernarg_segment_size: 400
    .language:       OpenCL C
    .language_version:
      - 2
      - 0
    .max_flat_workgroup_size: 256
    .name:           _Z39paged_attention_ll4mi_QKV_mfma16_kernelIDF16_DF16_LN4vllm18Fp8KVCacheDataTypeE0EDF16_Li16ELi64ELi256ELb1ELi9EL8MFMAType0EEvPKT_PKT0_S8_ifPKiSA_SA_iPKfiiiPfSD_PS3_PT2_iSC_SC_
    .private_segment_fixed_size: 0
    .sgpr_count:     54
    .sgpr_spill_count: 0
    .symbol:         _Z39paged_attention_ll4mi_QKV_mfma16_kernelIDF16_DF16_LN4vllm18Fp8KVCacheDataTypeE0EDF16_Li16ELi64ELi256ELb1ELi9EL8MFMAType0EEvPKT_PKT0_S8_ifPKiSA_SA_iPKfiiiPfSD_PS3_PT2_iSC_SC_.kd
    .uniform_work_group_size: 1
    .uses_dynamic_stack: false
    .vgpr_count:     198
    .vgpr_spill_count: 0
    .wavefront_size: 32
    .workgroup_processor_mode: 1
  - .args:
      - .actual_access:  read_only
        .address_space:  global
        .offset:         0
        .size:           8
        .value_kind:     global_buffer
      - .actual_access:  read_only
        .address_space:  global
        .offset:         8
        .size:           8
        .value_kind:     global_buffer
      - .actual_access:  read_only
        .address_space:  global
        .offset:         16
        .size:           8
        .value_kind:     global_buffer
      - .offset:         24
        .size:           4
        .value_kind:     by_value
      - .offset:         28
        .size:           4
        .value_kind:     by_value
      - .actual_access:  read_only
        .address_space:  global
        .offset:         32
        .size:           8
        .value_kind:     global_buffer
      - .actual_access:  read_only
        .address_space:  global
        .offset:         40
        .size:           8
        .value_kind:     global_buffer
      - .actual_access:  read_only
        .address_space:  global
        .offset:         48
        .size:           8
        .value_kind:     global_buffer
      - .offset:         56
        .size:           4
        .value_kind:     by_value
      - .actual_access:  read_only
        .address_space:  global
        .offset:         64
        .size:           8
        .value_kind:     global_buffer
      - .offset:         72
        .size:           4
        .value_kind:     by_value
      - .offset:         76
        .size:           4
        .value_kind:     by_value
      - .offset:         80
        .size:           4
        .value_kind:     by_value
      - .actual_access:  write_only
        .address_space:  global
        .offset:         88
        .size:           8
        .value_kind:     global_buffer
      - .actual_access:  write_only
        .address_space:  global
        .offset:         96
        .size:           8
        .value_kind:     global_buffer
      - .actual_access:  write_only
        .address_space:  global
        .offset:         104
        .size:           8
        .value_kind:     global_buffer
      - .actual_access:  read_only
        .address_space:  global
        .offset:         112
        .size:           8
        .value_kind:     global_buffer
      - .offset:         120
        .size:           4
        .value_kind:     by_value
      - .address_space:  global
        .offset:         128
        .size:           8
        .value_kind:     global_buffer
      - .address_space:  global
        .offset:         136
        .size:           8
        .value_kind:     global_buffer
      - .offset:         144
        .size:           4
        .value_kind:     hidden_block_count_x
      - .offset:         148
        .size:           4
        .value_kind:     hidden_block_count_y
      - .offset:         152
        .size:           4
        .value_kind:     hidden_block_count_z
      - .offset:         156
        .size:           2
        .value_kind:     hidden_group_size_x
      - .offset:         158
        .size:           2
        .value_kind:     hidden_group_size_y
      - .offset:         160
        .size:           2
        .value_kind:     hidden_group_size_z
      - .offset:         162
        .size:           2
        .value_kind:     hidden_remainder_x
      - .offset:         164
        .size:           2
        .value_kind:     hidden_remainder_y
      - .offset:         166
        .size:           2
        .value_kind:     hidden_remainder_z
      - .offset:         184
        .size:           8
        .value_kind:     hidden_global_offset_x
      - .offset:         192
        .size:           8
        .value_kind:     hidden_global_offset_y
      - .offset:         200
        .size:           8
        .value_kind:     hidden_global_offset_z
      - .offset:         208
        .size:           2
        .value_kind:     hidden_grid_dims
    .group_segment_fixed_size: 17472
    .kernarg_segment_align: 8
    .kernarg_segment_size: 400
    .language:       OpenCL C
    .language_version:
      - 2
      - 0
    .max_flat_workgroup_size: 256
    .name:           _Z39paged_attention_ll4mi_QKV_mfma16_kernelIDF16_DF16_LN4vllm18Fp8KVCacheDataTypeE0EDF16_Li16ELi64ELi256ELb1ELi10EL8MFMAType0EEvPKT_PKT0_S8_ifPKiSA_SA_iPKfiiiPfSD_PS3_PT2_iSC_SC_
    .private_segment_fixed_size: 0
    .sgpr_count:     54
    .sgpr_spill_count: 0
    .symbol:         _Z39paged_attention_ll4mi_QKV_mfma16_kernelIDF16_DF16_LN4vllm18Fp8KVCacheDataTypeE0EDF16_Li16ELi64ELi256ELb1ELi10EL8MFMAType0EEvPKT_PKT0_S8_ifPKiSA_SA_iPKfiiiPfSD_PS3_PT2_iSC_SC_.kd
    .uniform_work_group_size: 1
    .uses_dynamic_stack: false
    .vgpr_count:     198
    .vgpr_spill_count: 0
    .wavefront_size: 32
    .workgroup_processor_mode: 1
  - .args:
      - .actual_access:  read_only
        .address_space:  global
        .offset:         0
        .size:           8
        .value_kind:     global_buffer
      - .actual_access:  read_only
        .address_space:  global
        .offset:         8
        .size:           8
        .value_kind:     global_buffer
      - .actual_access:  read_only
        .address_space:  global
        .offset:         16
        .size:           8
        .value_kind:     global_buffer
      - .offset:         24
        .size:           4
        .value_kind:     by_value
      - .offset:         28
        .size:           4
        .value_kind:     by_value
      - .actual_access:  read_only
        .address_space:  global
        .offset:         32
        .size:           8
        .value_kind:     global_buffer
      - .actual_access:  read_only
        .address_space:  global
        .offset:         40
        .size:           8
        .value_kind:     global_buffer
      - .actual_access:  read_only
        .address_space:  global
        .offset:         48
        .size:           8
        .value_kind:     global_buffer
      - .offset:         56
        .size:           4
        .value_kind:     by_value
      - .actual_access:  read_only
        .address_space:  global
        .offset:         64
        .size:           8
        .value_kind:     global_buffer
      - .offset:         72
        .size:           4
        .value_kind:     by_value
      - .offset:         76
        .size:           4
        .value_kind:     by_value
      - .offset:         80
        .size:           4
        .value_kind:     by_value
      - .actual_access:  write_only
        .address_space:  global
        .offset:         88
        .size:           8
        .value_kind:     global_buffer
      - .actual_access:  write_only
        .address_space:  global
        .offset:         96
        .size:           8
        .value_kind:     global_buffer
      - .actual_access:  write_only
        .address_space:  global
        .offset:         104
        .size:           8
        .value_kind:     global_buffer
      - .actual_access:  read_only
        .address_space:  global
        .offset:         112
        .size:           8
        .value_kind:     global_buffer
      - .offset:         120
        .size:           4
        .value_kind:     by_value
      - .address_space:  global
        .offset:         128
        .size:           8
        .value_kind:     global_buffer
      - .address_space:  global
        .offset:         136
        .size:           8
        .value_kind:     global_buffer
      - .offset:         144
        .size:           4
        .value_kind:     hidden_block_count_x
      - .offset:         148
        .size:           4
        .value_kind:     hidden_block_count_y
      - .offset:         152
        .size:           4
        .value_kind:     hidden_block_count_z
      - .offset:         156
        .size:           2
        .value_kind:     hidden_group_size_x
      - .offset:         158
        .size:           2
        .value_kind:     hidden_group_size_y
      - .offset:         160
        .size:           2
        .value_kind:     hidden_group_size_z
      - .offset:         162
        .size:           2
        .value_kind:     hidden_remainder_x
      - .offset:         164
        .size:           2
        .value_kind:     hidden_remainder_y
      - .offset:         166
        .size:           2
        .value_kind:     hidden_remainder_z
      - .offset:         184
        .size:           8
        .value_kind:     hidden_global_offset_x
      - .offset:         192
        .size:           8
        .value_kind:     hidden_global_offset_y
      - .offset:         200
        .size:           8
        .value_kind:     hidden_global_offset_z
      - .offset:         208
        .size:           2
        .value_kind:     hidden_grid_dims
    .group_segment_fixed_size: 17472
    .kernarg_segment_align: 8
    .kernarg_segment_size: 400
    .language:       OpenCL C
    .language_version:
      - 2
      - 0
    .max_flat_workgroup_size: 256
    .name:           _Z39paged_attention_ll4mi_QKV_mfma16_kernelIDF16_DF16_LN4vllm18Fp8KVCacheDataTypeE0EDF16_Li16ELi64ELi256ELb1ELi11EL8MFMAType0EEvPKT_PKT0_S8_ifPKiSA_SA_iPKfiiiPfSD_PS3_PT2_iSC_SC_
    .private_segment_fixed_size: 0
    .sgpr_count:     54
    .sgpr_spill_count: 0
    .symbol:         _Z39paged_attention_ll4mi_QKV_mfma16_kernelIDF16_DF16_LN4vllm18Fp8KVCacheDataTypeE0EDF16_Li16ELi64ELi256ELb1ELi11EL8MFMAType0EEvPKT_PKT0_S8_ifPKiSA_SA_iPKfiiiPfSD_PS3_PT2_iSC_SC_.kd
    .uniform_work_group_size: 1
    .uses_dynamic_stack: false
    .vgpr_count:     198
    .vgpr_spill_count: 0
    .wavefront_size: 32
    .workgroup_processor_mode: 1
  - .args:
      - .actual_access:  read_only
        .address_space:  global
        .offset:         0
        .size:           8
        .value_kind:     global_buffer
      - .actual_access:  read_only
        .address_space:  global
        .offset:         8
        .size:           8
        .value_kind:     global_buffer
      - .actual_access:  read_only
        .address_space:  global
        .offset:         16
        .size:           8
        .value_kind:     global_buffer
      - .offset:         24
        .size:           4
        .value_kind:     by_value
      - .offset:         28
        .size:           4
        .value_kind:     by_value
      - .actual_access:  read_only
        .address_space:  global
        .offset:         32
        .size:           8
        .value_kind:     global_buffer
      - .actual_access:  read_only
        .address_space:  global
        .offset:         40
        .size:           8
        .value_kind:     global_buffer
      - .actual_access:  read_only
        .address_space:  global
        .offset:         48
        .size:           8
        .value_kind:     global_buffer
      - .offset:         56
        .size:           4
        .value_kind:     by_value
      - .actual_access:  read_only
        .address_space:  global
        .offset:         64
        .size:           8
        .value_kind:     global_buffer
      - .offset:         72
        .size:           4
        .value_kind:     by_value
      - .offset:         76
        .size:           4
        .value_kind:     by_value
      - .offset:         80
        .size:           4
        .value_kind:     by_value
      - .actual_access:  write_only
        .address_space:  global
        .offset:         88
        .size:           8
        .value_kind:     global_buffer
      - .actual_access:  write_only
        .address_space:  global
        .offset:         96
        .size:           8
        .value_kind:     global_buffer
      - .actual_access:  write_only
        .address_space:  global
        .offset:         104
        .size:           8
        .value_kind:     global_buffer
      - .actual_access:  read_only
        .address_space:  global
        .offset:         112
        .size:           8
        .value_kind:     global_buffer
      - .offset:         120
        .size:           4
        .value_kind:     by_value
      - .address_space:  global
        .offset:         128
        .size:           8
        .value_kind:     global_buffer
      - .address_space:  global
        .offset:         136
        .size:           8
        .value_kind:     global_buffer
      - .offset:         144
        .size:           4
        .value_kind:     hidden_block_count_x
      - .offset:         148
        .size:           4
        .value_kind:     hidden_block_count_y
      - .offset:         152
        .size:           4
        .value_kind:     hidden_block_count_z
      - .offset:         156
        .size:           2
        .value_kind:     hidden_group_size_x
      - .offset:         158
        .size:           2
        .value_kind:     hidden_group_size_y
      - .offset:         160
        .size:           2
        .value_kind:     hidden_group_size_z
      - .offset:         162
        .size:           2
        .value_kind:     hidden_remainder_x
      - .offset:         164
        .size:           2
        .value_kind:     hidden_remainder_y
      - .offset:         166
        .size:           2
        .value_kind:     hidden_remainder_z
      - .offset:         184
        .size:           8
        .value_kind:     hidden_global_offset_x
      - .offset:         192
        .size:           8
        .value_kind:     hidden_global_offset_y
      - .offset:         200
        .size:           8
        .value_kind:     hidden_global_offset_z
      - .offset:         208
        .size:           2
        .value_kind:     hidden_grid_dims
    .group_segment_fixed_size: 17472
    .kernarg_segment_align: 8
    .kernarg_segment_size: 400
    .language:       OpenCL C
    .language_version:
      - 2
      - 0
    .max_flat_workgroup_size: 256
    .name:           _Z39paged_attention_ll4mi_QKV_mfma16_kernelIDF16_DF16_LN4vllm18Fp8KVCacheDataTypeE0EDF16_Li16ELi64ELi256ELb1ELi12EL8MFMAType0EEvPKT_PKT0_S8_ifPKiSA_SA_iPKfiiiPfSD_PS3_PT2_iSC_SC_
    .private_segment_fixed_size: 0
    .sgpr_count:     54
    .sgpr_spill_count: 0
    .symbol:         _Z39paged_attention_ll4mi_QKV_mfma16_kernelIDF16_DF16_LN4vllm18Fp8KVCacheDataTypeE0EDF16_Li16ELi64ELi256ELb1ELi12EL8MFMAType0EEvPKT_PKT0_S8_ifPKiSA_SA_iPKfiiiPfSD_PS3_PT2_iSC_SC_.kd
    .uniform_work_group_size: 1
    .uses_dynamic_stack: false
    .vgpr_count:     198
    .vgpr_spill_count: 0
    .wavefront_size: 32
    .workgroup_processor_mode: 1
  - .args:
      - .actual_access:  read_only
        .address_space:  global
        .offset:         0
        .size:           8
        .value_kind:     global_buffer
      - .actual_access:  read_only
        .address_space:  global
        .offset:         8
        .size:           8
        .value_kind:     global_buffer
      - .actual_access:  read_only
        .address_space:  global
        .offset:         16
        .size:           8
        .value_kind:     global_buffer
      - .offset:         24
        .size:           4
        .value_kind:     by_value
      - .offset:         28
        .size:           4
        .value_kind:     by_value
      - .actual_access:  read_only
        .address_space:  global
        .offset:         32
        .size:           8
        .value_kind:     global_buffer
      - .actual_access:  read_only
        .address_space:  global
        .offset:         40
        .size:           8
        .value_kind:     global_buffer
      - .actual_access:  read_only
        .address_space:  global
        .offset:         48
        .size:           8
        .value_kind:     global_buffer
      - .offset:         56
        .size:           4
        .value_kind:     by_value
      - .actual_access:  read_only
        .address_space:  global
        .offset:         64
        .size:           8
        .value_kind:     global_buffer
      - .offset:         72
        .size:           4
        .value_kind:     by_value
      - .offset:         76
        .size:           4
        .value_kind:     by_value
      - .offset:         80
        .size:           4
        .value_kind:     by_value
      - .actual_access:  write_only
        .address_space:  global
        .offset:         88
        .size:           8
        .value_kind:     global_buffer
      - .actual_access:  write_only
        .address_space:  global
        .offset:         96
        .size:           8
        .value_kind:     global_buffer
      - .actual_access:  write_only
        .address_space:  global
        .offset:         104
        .size:           8
        .value_kind:     global_buffer
      - .actual_access:  read_only
        .address_space:  global
        .offset:         112
        .size:           8
        .value_kind:     global_buffer
      - .offset:         120
        .size:           4
        .value_kind:     by_value
      - .address_space:  global
        .offset:         128
        .size:           8
        .value_kind:     global_buffer
      - .address_space:  global
        .offset:         136
        .size:           8
        .value_kind:     global_buffer
      - .offset:         144
        .size:           4
        .value_kind:     hidden_block_count_x
      - .offset:         148
        .size:           4
        .value_kind:     hidden_block_count_y
      - .offset:         152
        .size:           4
        .value_kind:     hidden_block_count_z
      - .offset:         156
        .size:           2
        .value_kind:     hidden_group_size_x
      - .offset:         158
        .size:           2
        .value_kind:     hidden_group_size_y
      - .offset:         160
        .size:           2
        .value_kind:     hidden_group_size_z
      - .offset:         162
        .size:           2
        .value_kind:     hidden_remainder_x
      - .offset:         164
        .size:           2
        .value_kind:     hidden_remainder_y
      - .offset:         166
        .size:           2
        .value_kind:     hidden_remainder_z
      - .offset:         184
        .size:           8
        .value_kind:     hidden_global_offset_x
      - .offset:         192
        .size:           8
        .value_kind:     hidden_global_offset_y
      - .offset:         200
        .size:           8
        .value_kind:     hidden_global_offset_z
      - .offset:         208
        .size:           2
        .value_kind:     hidden_grid_dims
    .group_segment_fixed_size: 17472
    .kernarg_segment_align: 8
    .kernarg_segment_size: 400
    .language:       OpenCL C
    .language_version:
      - 2
      - 0
    .max_flat_workgroup_size: 256
    .name:           _Z39paged_attention_ll4mi_QKV_mfma16_kernelIDF16_DF16_LN4vllm18Fp8KVCacheDataTypeE0EDF16_Li16ELi64ELi256ELb1ELi13EL8MFMAType0EEvPKT_PKT0_S8_ifPKiSA_SA_iPKfiiiPfSD_PS3_PT2_iSC_SC_
    .private_segment_fixed_size: 0
    .sgpr_count:     54
    .sgpr_spill_count: 0
    .symbol:         _Z39paged_attention_ll4mi_QKV_mfma16_kernelIDF16_DF16_LN4vllm18Fp8KVCacheDataTypeE0EDF16_Li16ELi64ELi256ELb1ELi13EL8MFMAType0EEvPKT_PKT0_S8_ifPKiSA_SA_iPKfiiiPfSD_PS3_PT2_iSC_SC_.kd
    .uniform_work_group_size: 1
    .uses_dynamic_stack: false
    .vgpr_count:     198
    .vgpr_spill_count: 0
    .wavefront_size: 32
    .workgroup_processor_mode: 1
  - .args:
      - .actual_access:  read_only
        .address_space:  global
        .offset:         0
        .size:           8
        .value_kind:     global_buffer
      - .actual_access:  read_only
        .address_space:  global
        .offset:         8
        .size:           8
        .value_kind:     global_buffer
      - .actual_access:  read_only
        .address_space:  global
        .offset:         16
        .size:           8
        .value_kind:     global_buffer
      - .offset:         24
        .size:           4
        .value_kind:     by_value
      - .offset:         28
        .size:           4
        .value_kind:     by_value
      - .actual_access:  read_only
        .address_space:  global
        .offset:         32
        .size:           8
        .value_kind:     global_buffer
      - .actual_access:  read_only
        .address_space:  global
        .offset:         40
        .size:           8
        .value_kind:     global_buffer
      - .actual_access:  read_only
        .address_space:  global
        .offset:         48
        .size:           8
        .value_kind:     global_buffer
      - .offset:         56
        .size:           4
        .value_kind:     by_value
      - .actual_access:  read_only
        .address_space:  global
        .offset:         64
        .size:           8
        .value_kind:     global_buffer
      - .offset:         72
        .size:           4
        .value_kind:     by_value
      - .offset:         76
        .size:           4
        .value_kind:     by_value
      - .offset:         80
        .size:           4
        .value_kind:     by_value
      - .actual_access:  write_only
        .address_space:  global
        .offset:         88
        .size:           8
        .value_kind:     global_buffer
      - .actual_access:  write_only
        .address_space:  global
        .offset:         96
        .size:           8
        .value_kind:     global_buffer
      - .actual_access:  write_only
        .address_space:  global
        .offset:         104
        .size:           8
        .value_kind:     global_buffer
      - .actual_access:  read_only
        .address_space:  global
        .offset:         112
        .size:           8
        .value_kind:     global_buffer
      - .offset:         120
        .size:           4
        .value_kind:     by_value
      - .address_space:  global
        .offset:         128
        .size:           8
        .value_kind:     global_buffer
      - .address_space:  global
        .offset:         136
        .size:           8
        .value_kind:     global_buffer
      - .offset:         144
        .size:           4
        .value_kind:     hidden_block_count_x
      - .offset:         148
        .size:           4
        .value_kind:     hidden_block_count_y
      - .offset:         152
        .size:           4
        .value_kind:     hidden_block_count_z
      - .offset:         156
        .size:           2
        .value_kind:     hidden_group_size_x
      - .offset:         158
        .size:           2
        .value_kind:     hidden_group_size_y
      - .offset:         160
        .size:           2
        .value_kind:     hidden_group_size_z
      - .offset:         162
        .size:           2
        .value_kind:     hidden_remainder_x
      - .offset:         164
        .size:           2
        .value_kind:     hidden_remainder_y
      - .offset:         166
        .size:           2
        .value_kind:     hidden_remainder_z
      - .offset:         184
        .size:           8
        .value_kind:     hidden_global_offset_x
      - .offset:         192
        .size:           8
        .value_kind:     hidden_global_offset_y
      - .offset:         200
        .size:           8
        .value_kind:     hidden_global_offset_z
      - .offset:         208
        .size:           2
        .value_kind:     hidden_grid_dims
    .group_segment_fixed_size: 17472
    .kernarg_segment_align: 8
    .kernarg_segment_size: 400
    .language:       OpenCL C
    .language_version:
      - 2
      - 0
    .max_flat_workgroup_size: 256
    .name:           _Z39paged_attention_ll4mi_QKV_mfma16_kernelIDF16_DF16_LN4vllm18Fp8KVCacheDataTypeE0EDF16_Li16ELi64ELi256ELb1ELi14EL8MFMAType0EEvPKT_PKT0_S8_ifPKiSA_SA_iPKfiiiPfSD_PS3_PT2_iSC_SC_
    .private_segment_fixed_size: 0
    .sgpr_count:     54
    .sgpr_spill_count: 0
    .symbol:         _Z39paged_attention_ll4mi_QKV_mfma16_kernelIDF16_DF16_LN4vllm18Fp8KVCacheDataTypeE0EDF16_Li16ELi64ELi256ELb1ELi14EL8MFMAType0EEvPKT_PKT0_S8_ifPKiSA_SA_iPKfiiiPfSD_PS3_PT2_iSC_SC_.kd
    .uniform_work_group_size: 1
    .uses_dynamic_stack: false
    .vgpr_count:     198
    .vgpr_spill_count: 0
    .wavefront_size: 32
    .workgroup_processor_mode: 1
  - .args:
      - .actual_access:  read_only
        .address_space:  global
        .offset:         0
        .size:           8
        .value_kind:     global_buffer
      - .actual_access:  read_only
        .address_space:  global
        .offset:         8
        .size:           8
        .value_kind:     global_buffer
      - .actual_access:  read_only
        .address_space:  global
        .offset:         16
        .size:           8
        .value_kind:     global_buffer
      - .offset:         24
        .size:           4
        .value_kind:     by_value
      - .offset:         28
        .size:           4
        .value_kind:     by_value
      - .actual_access:  read_only
        .address_space:  global
        .offset:         32
        .size:           8
        .value_kind:     global_buffer
      - .actual_access:  read_only
        .address_space:  global
        .offset:         40
        .size:           8
        .value_kind:     global_buffer
      - .actual_access:  read_only
        .address_space:  global
        .offset:         48
        .size:           8
        .value_kind:     global_buffer
      - .offset:         56
        .size:           4
        .value_kind:     by_value
      - .actual_access:  read_only
        .address_space:  global
        .offset:         64
        .size:           8
        .value_kind:     global_buffer
      - .offset:         72
        .size:           4
        .value_kind:     by_value
      - .offset:         76
        .size:           4
        .value_kind:     by_value
      - .offset:         80
        .size:           4
        .value_kind:     by_value
      - .actual_access:  write_only
        .address_space:  global
        .offset:         88
        .size:           8
        .value_kind:     global_buffer
      - .actual_access:  write_only
        .address_space:  global
        .offset:         96
        .size:           8
        .value_kind:     global_buffer
      - .actual_access:  write_only
        .address_space:  global
        .offset:         104
        .size:           8
        .value_kind:     global_buffer
      - .actual_access:  read_only
        .address_space:  global
        .offset:         112
        .size:           8
        .value_kind:     global_buffer
      - .offset:         120
        .size:           4
        .value_kind:     by_value
      - .address_space:  global
        .offset:         128
        .size:           8
        .value_kind:     global_buffer
      - .address_space:  global
        .offset:         136
        .size:           8
        .value_kind:     global_buffer
      - .offset:         144
        .size:           4
        .value_kind:     hidden_block_count_x
      - .offset:         148
        .size:           4
        .value_kind:     hidden_block_count_y
      - .offset:         152
        .size:           4
        .value_kind:     hidden_block_count_z
      - .offset:         156
        .size:           2
        .value_kind:     hidden_group_size_x
      - .offset:         158
        .size:           2
        .value_kind:     hidden_group_size_y
      - .offset:         160
        .size:           2
        .value_kind:     hidden_group_size_z
      - .offset:         162
        .size:           2
        .value_kind:     hidden_remainder_x
      - .offset:         164
        .size:           2
        .value_kind:     hidden_remainder_y
      - .offset:         166
        .size:           2
        .value_kind:     hidden_remainder_z
      - .offset:         184
        .size:           8
        .value_kind:     hidden_global_offset_x
      - .offset:         192
        .size:           8
        .value_kind:     hidden_global_offset_y
      - .offset:         200
        .size:           8
        .value_kind:     hidden_global_offset_z
      - .offset:         208
        .size:           2
        .value_kind:     hidden_grid_dims
    .group_segment_fixed_size: 17472
    .kernarg_segment_align: 8
    .kernarg_segment_size: 400
    .language:       OpenCL C
    .language_version:
      - 2
      - 0
    .max_flat_workgroup_size: 256
    .name:           _Z39paged_attention_ll4mi_QKV_mfma16_kernelIDF16_DF16_LN4vllm18Fp8KVCacheDataTypeE0EDF16_Li16ELi64ELi256ELb1ELi15EL8MFMAType0EEvPKT_PKT0_S8_ifPKiSA_SA_iPKfiiiPfSD_PS3_PT2_iSC_SC_
    .private_segment_fixed_size: 0
    .sgpr_count:     54
    .sgpr_spill_count: 0
    .symbol:         _Z39paged_attention_ll4mi_QKV_mfma16_kernelIDF16_DF16_LN4vllm18Fp8KVCacheDataTypeE0EDF16_Li16ELi64ELi256ELb1ELi15EL8MFMAType0EEvPKT_PKT0_S8_ifPKiSA_SA_iPKfiiiPfSD_PS3_PT2_iSC_SC_.kd
    .uniform_work_group_size: 1
    .uses_dynamic_stack: false
    .vgpr_count:     198
    .vgpr_spill_count: 0
    .wavefront_size: 32
    .workgroup_processor_mode: 1
  - .args:
      - .actual_access:  read_only
        .address_space:  global
        .offset:         0
        .size:           8
        .value_kind:     global_buffer
      - .actual_access:  read_only
        .address_space:  global
        .offset:         8
        .size:           8
        .value_kind:     global_buffer
      - .actual_access:  read_only
        .address_space:  global
        .offset:         16
        .size:           8
        .value_kind:     global_buffer
      - .offset:         24
        .size:           4
        .value_kind:     by_value
      - .offset:         28
        .size:           4
        .value_kind:     by_value
      - .actual_access:  read_only
        .address_space:  global
        .offset:         32
        .size:           8
        .value_kind:     global_buffer
      - .actual_access:  read_only
        .address_space:  global
        .offset:         40
        .size:           8
        .value_kind:     global_buffer
      - .actual_access:  read_only
        .address_space:  global
        .offset:         48
        .size:           8
        .value_kind:     global_buffer
      - .offset:         56
        .size:           4
        .value_kind:     by_value
      - .actual_access:  read_only
        .address_space:  global
        .offset:         64
        .size:           8
        .value_kind:     global_buffer
      - .offset:         72
        .size:           4
        .value_kind:     by_value
      - .offset:         76
        .size:           4
        .value_kind:     by_value
      - .offset:         80
        .size:           4
        .value_kind:     by_value
      - .actual_access:  write_only
        .address_space:  global
        .offset:         88
        .size:           8
        .value_kind:     global_buffer
      - .actual_access:  write_only
        .address_space:  global
        .offset:         96
        .size:           8
        .value_kind:     global_buffer
      - .actual_access:  write_only
        .address_space:  global
        .offset:         104
        .size:           8
        .value_kind:     global_buffer
      - .actual_access:  read_only
        .address_space:  global
        .offset:         112
        .size:           8
        .value_kind:     global_buffer
      - .offset:         120
        .size:           4
        .value_kind:     by_value
      - .address_space:  global
        .offset:         128
        .size:           8
        .value_kind:     global_buffer
      - .address_space:  global
        .offset:         136
        .size:           8
        .value_kind:     global_buffer
      - .offset:         144
        .size:           4
        .value_kind:     hidden_block_count_x
      - .offset:         148
        .size:           4
        .value_kind:     hidden_block_count_y
      - .offset:         152
        .size:           4
        .value_kind:     hidden_block_count_z
      - .offset:         156
        .size:           2
        .value_kind:     hidden_group_size_x
      - .offset:         158
        .size:           2
        .value_kind:     hidden_group_size_y
      - .offset:         160
        .size:           2
        .value_kind:     hidden_group_size_z
      - .offset:         162
        .size:           2
        .value_kind:     hidden_remainder_x
      - .offset:         164
        .size:           2
        .value_kind:     hidden_remainder_y
      - .offset:         166
        .size:           2
        .value_kind:     hidden_remainder_z
      - .offset:         184
        .size:           8
        .value_kind:     hidden_global_offset_x
      - .offset:         192
        .size:           8
        .value_kind:     hidden_global_offset_y
      - .offset:         200
        .size:           8
        .value_kind:     hidden_global_offset_z
      - .offset:         208
        .size:           2
        .value_kind:     hidden_grid_dims
    .group_segment_fixed_size: 17472
    .kernarg_segment_align: 8
    .kernarg_segment_size: 400
    .language:       OpenCL C
    .language_version:
      - 2
      - 0
    .max_flat_workgroup_size: 256
    .name:           _Z39paged_attention_ll4mi_QKV_mfma16_kernelIDF16_DF16_LN4vllm18Fp8KVCacheDataTypeE0EDF16_Li16ELi64ELi256ELb1ELi16EL8MFMAType0EEvPKT_PKT0_S8_ifPKiSA_SA_iPKfiiiPfSD_PS3_PT2_iSC_SC_
    .private_segment_fixed_size: 0
    .sgpr_count:     54
    .sgpr_spill_count: 0
    .symbol:         _Z39paged_attention_ll4mi_QKV_mfma16_kernelIDF16_DF16_LN4vllm18Fp8KVCacheDataTypeE0EDF16_Li16ELi64ELi256ELb1ELi16EL8MFMAType0EEvPKT_PKT0_S8_ifPKiSA_SA_iPKfiiiPfSD_PS3_PT2_iSC_SC_.kd
    .uniform_work_group_size: 1
    .uses_dynamic_stack: false
    .vgpr_count:     198
    .vgpr_spill_count: 0
    .wavefront_size: 32
    .workgroup_processor_mode: 1
  - .args:
      - .actual_access:  write_only
        .address_space:  global
        .offset:         0
        .size:           8
        .value_kind:     global_buffer
      - .actual_access:  read_only
        .address_space:  global
        .offset:         8
        .size:           8
        .value_kind:     global_buffer
      - .actual_access:  read_only
        .address_space:  global
        .offset:         16
        .size:           8
        .value_kind:     global_buffer
      - .actual_access:  read_only
        .address_space:  global
        .offset:         24
        .size:           8
        .value_kind:     global_buffer
      - .actual_access:  read_only
        .address_space:  global
        .offset:         32
        .size:           8
        .value_kind:     global_buffer
      - .actual_access:  read_only
        .address_space:  global
        .offset:         40
        .size:           8
        .value_kind:     global_buffer
      - .offset:         48
        .size:           4
        .value_kind:     by_value
      - .actual_access:  read_only
        .address_space:  global
        .offset:         56
        .size:           8
        .value_kind:     global_buffer
      - .offset:         64
        .size:           4
        .value_kind:     hidden_block_count_x
      - .offset:         68
        .size:           4
        .value_kind:     hidden_block_count_y
      - .offset:         72
        .size:           4
        .value_kind:     hidden_block_count_z
      - .offset:         76
        .size:           2
        .value_kind:     hidden_group_size_x
      - .offset:         78
        .size:           2
        .value_kind:     hidden_group_size_y
      - .offset:         80
        .size:           2
        .value_kind:     hidden_group_size_z
      - .offset:         82
        .size:           2
        .value_kind:     hidden_remainder_x
      - .offset:         84
        .size:           2
        .value_kind:     hidden_remainder_y
      - .offset:         86
        .size:           2
        .value_kind:     hidden_remainder_z
      - .offset:         104
        .size:           8
        .value_kind:     hidden_global_offset_x
      - .offset:         112
        .size:           8
        .value_kind:     hidden_global_offset_y
      - .offset:         120
        .size:           8
        .value_kind:     hidden_global_offset_z
      - .offset:         128
        .size:           2
        .value_kind:     hidden_grid_dims
    .group_segment_fixed_size: 132
    .kernarg_segment_align: 8
    .kernarg_segment_size: 320
    .language:       OpenCL C
    .language_version:
      - 2
      - 0
    .max_flat_workgroup_size: 64
    .name:           _Z35paged_attention_ll4mi_reduce_kernelIDF16_DF16_Li64ELi64ELi256ELi1EEvPT0_PKfS3_PKT_PKiS8_iS3_
    .private_segment_fixed_size: 0
    .sgpr_count:     40
    .sgpr_spill_count: 0
    .symbol:         _Z35paged_attention_ll4mi_reduce_kernelIDF16_DF16_Li64ELi64ELi256ELi1EEvPT0_PKfS3_PKT_PKiS8_iS3_.kd
    .uniform_work_group_size: 1
    .uses_dynamic_stack: false
    .vgpr_count:     46
    .vgpr_spill_count: 0
    .wavefront_size: 32
    .workgroup_processor_mode: 1
  - .args:
      - .actual_access:  write_only
        .address_space:  global
        .offset:         0
        .size:           8
        .value_kind:     global_buffer
      - .actual_access:  read_only
        .address_space:  global
        .offset:         8
        .size:           8
        .value_kind:     global_buffer
      - .actual_access:  read_only
        .address_space:  global
        .offset:         16
        .size:           8
        .value_kind:     global_buffer
      - .actual_access:  read_only
        .address_space:  global
        .offset:         24
        .size:           8
        .value_kind:     global_buffer
      - .actual_access:  read_only
        .address_space:  global
        .offset:         32
        .size:           8
        .value_kind:     global_buffer
      - .actual_access:  read_only
        .address_space:  global
        .offset:         40
        .size:           8
        .value_kind:     global_buffer
      - .offset:         48
        .size:           4
        .value_kind:     by_value
      - .actual_access:  read_only
        .address_space:  global
        .offset:         56
        .size:           8
        .value_kind:     global_buffer
      - .offset:         64
        .size:           4
        .value_kind:     hidden_block_count_x
      - .offset:         68
        .size:           4
        .value_kind:     hidden_block_count_y
      - .offset:         72
        .size:           4
        .value_kind:     hidden_block_count_z
      - .offset:         76
        .size:           2
        .value_kind:     hidden_group_size_x
      - .offset:         78
        .size:           2
        .value_kind:     hidden_group_size_y
      - .offset:         80
        .size:           2
        .value_kind:     hidden_group_size_z
      - .offset:         82
        .size:           2
        .value_kind:     hidden_remainder_x
      - .offset:         84
        .size:           2
        .value_kind:     hidden_remainder_y
      - .offset:         86
        .size:           2
        .value_kind:     hidden_remainder_z
      - .offset:         104
        .size:           8
        .value_kind:     hidden_global_offset_x
      - .offset:         112
        .size:           8
        .value_kind:     hidden_global_offset_y
      - .offset:         120
        .size:           8
        .value_kind:     hidden_global_offset_z
      - .offset:         128
        .size:           2
        .value_kind:     hidden_grid_dims
    .group_segment_fixed_size: 260
    .kernarg_segment_align: 8
    .kernarg_segment_size: 320
    .language:       OpenCL C
    .language_version:
      - 2
      - 0
    .max_flat_workgroup_size: 64
    .name:           _Z35paged_attention_ll4mi_reduce_kernelIDF16_DF16_Li64ELi64ELi256ELi2EEvPT0_PKfS3_PKT_PKiS8_iS3_
    .private_segment_fixed_size: 0
    .sgpr_count:     54
    .sgpr_spill_count: 0
    .symbol:         _Z35paged_attention_ll4mi_reduce_kernelIDF16_DF16_Li64ELi64ELi256ELi2EEvPT0_PKfS3_PKT_PKiS8_iS3_.kd
    .uniform_work_group_size: 1
    .uses_dynamic_stack: false
    .vgpr_count:     48
    .vgpr_spill_count: 0
    .wavefront_size: 32
    .workgroup_processor_mode: 1
  - .args:
      - .actual_access:  write_only
        .address_space:  global
        .offset:         0
        .size:           8
        .value_kind:     global_buffer
      - .actual_access:  read_only
        .address_space:  global
        .offset:         8
        .size:           8
        .value_kind:     global_buffer
      - .actual_access:  read_only
        .address_space:  global
        .offset:         16
        .size:           8
        .value_kind:     global_buffer
      - .actual_access:  read_only
        .address_space:  global
        .offset:         24
        .size:           8
        .value_kind:     global_buffer
      - .actual_access:  read_only
        .address_space:  global
        .offset:         32
        .size:           8
        .value_kind:     global_buffer
      - .actual_access:  read_only
        .address_space:  global
        .offset:         40
        .size:           8
        .value_kind:     global_buffer
      - .offset:         48
        .size:           4
        .value_kind:     by_value
      - .actual_access:  read_only
        .address_space:  global
        .offset:         56
        .size:           8
        .value_kind:     global_buffer
      - .offset:         64
        .size:           4
        .value_kind:     hidden_block_count_x
      - .offset:         68
        .size:           4
        .value_kind:     hidden_block_count_y
      - .offset:         72
        .size:           4
        .value_kind:     hidden_block_count_z
      - .offset:         76
        .size:           2
        .value_kind:     hidden_group_size_x
      - .offset:         78
        .size:           2
        .value_kind:     hidden_group_size_y
      - .offset:         80
        .size:           2
        .value_kind:     hidden_group_size_z
      - .offset:         82
        .size:           2
        .value_kind:     hidden_remainder_x
      - .offset:         84
        .size:           2
        .value_kind:     hidden_remainder_y
      - .offset:         86
        .size:           2
        .value_kind:     hidden_remainder_z
      - .offset:         104
        .size:           8
        .value_kind:     hidden_global_offset_x
      - .offset:         112
        .size:           8
        .value_kind:     hidden_global_offset_y
      - .offset:         120
        .size:           8
        .value_kind:     hidden_global_offset_z
      - .offset:         128
        .size:           2
        .value_kind:     hidden_grid_dims
    .group_segment_fixed_size: 388
    .kernarg_segment_align: 8
    .kernarg_segment_size: 320
    .language:       OpenCL C
    .language_version:
      - 2
      - 0
    .max_flat_workgroup_size: 64
    .name:           _Z35paged_attention_ll4mi_reduce_kernelIDF16_DF16_Li64ELi64ELi256ELi3EEvPT0_PKfS3_PKT_PKiS8_iS3_
    .private_segment_fixed_size: 0
    .sgpr_count:     54
    .sgpr_spill_count: 0
    .symbol:         _Z35paged_attention_ll4mi_reduce_kernelIDF16_DF16_Li64ELi64ELi256ELi3EEvPT0_PKfS3_PKT_PKiS8_iS3_.kd
    .uniform_work_group_size: 1
    .uses_dynamic_stack: false
    .vgpr_count:     48
    .vgpr_spill_count: 0
    .wavefront_size: 32
    .workgroup_processor_mode: 1
  - .args:
      - .actual_access:  write_only
        .address_space:  global
        .offset:         0
        .size:           8
        .value_kind:     global_buffer
      - .actual_access:  read_only
        .address_space:  global
        .offset:         8
        .size:           8
        .value_kind:     global_buffer
      - .actual_access:  read_only
        .address_space:  global
        .offset:         16
        .size:           8
        .value_kind:     global_buffer
      - .actual_access:  read_only
        .address_space:  global
        .offset:         24
        .size:           8
        .value_kind:     global_buffer
      - .actual_access:  read_only
        .address_space:  global
        .offset:         32
        .size:           8
        .value_kind:     global_buffer
      - .actual_access:  read_only
        .address_space:  global
        .offset:         40
        .size:           8
        .value_kind:     global_buffer
      - .offset:         48
        .size:           4
        .value_kind:     by_value
      - .actual_access:  read_only
        .address_space:  global
        .offset:         56
        .size:           8
        .value_kind:     global_buffer
      - .offset:         64
        .size:           4
        .value_kind:     hidden_block_count_x
      - .offset:         68
        .size:           4
        .value_kind:     hidden_block_count_y
      - .offset:         72
        .size:           4
        .value_kind:     hidden_block_count_z
      - .offset:         76
        .size:           2
        .value_kind:     hidden_group_size_x
      - .offset:         78
        .size:           2
        .value_kind:     hidden_group_size_y
      - .offset:         80
        .size:           2
        .value_kind:     hidden_group_size_z
      - .offset:         82
        .size:           2
        .value_kind:     hidden_remainder_x
      - .offset:         84
        .size:           2
        .value_kind:     hidden_remainder_y
      - .offset:         86
        .size:           2
        .value_kind:     hidden_remainder_z
      - .offset:         104
        .size:           8
        .value_kind:     hidden_global_offset_x
      - .offset:         112
        .size:           8
        .value_kind:     hidden_global_offset_y
      - .offset:         120
        .size:           8
        .value_kind:     hidden_global_offset_z
      - .offset:         128
        .size:           2
        .value_kind:     hidden_grid_dims
    .group_segment_fixed_size: 516
    .kernarg_segment_align: 8
    .kernarg_segment_size: 320
    .language:       OpenCL C
    .language_version:
      - 2
      - 0
    .max_flat_workgroup_size: 64
    .name:           _Z35paged_attention_ll4mi_reduce_kernelIDF16_DF16_Li64ELi64ELi256ELi4EEvPT0_PKfS3_PKT_PKiS8_iS3_
    .private_segment_fixed_size: 0
    .sgpr_count:     54
    .sgpr_spill_count: 0
    .symbol:         _Z35paged_attention_ll4mi_reduce_kernelIDF16_DF16_Li64ELi64ELi256ELi4EEvPT0_PKfS3_PKT_PKiS8_iS3_.kd
    .uniform_work_group_size: 1
    .uses_dynamic_stack: false
    .vgpr_count:     48
    .vgpr_spill_count: 0
    .wavefront_size: 32
    .workgroup_processor_mode: 1
  - .args:
      - .actual_access:  write_only
        .address_space:  global
        .offset:         0
        .size:           8
        .value_kind:     global_buffer
      - .actual_access:  read_only
        .address_space:  global
        .offset:         8
        .size:           8
        .value_kind:     global_buffer
      - .actual_access:  read_only
        .address_space:  global
        .offset:         16
        .size:           8
        .value_kind:     global_buffer
      - .actual_access:  read_only
        .address_space:  global
        .offset:         24
        .size:           8
        .value_kind:     global_buffer
      - .actual_access:  read_only
        .address_space:  global
        .offset:         32
        .size:           8
        .value_kind:     global_buffer
      - .actual_access:  read_only
        .address_space:  global
        .offset:         40
        .size:           8
        .value_kind:     global_buffer
      - .offset:         48
        .size:           4
        .value_kind:     by_value
      - .actual_access:  read_only
        .address_space:  global
        .offset:         56
        .size:           8
        .value_kind:     global_buffer
      - .offset:         64
        .size:           4
        .value_kind:     hidden_block_count_x
      - .offset:         68
        .size:           4
        .value_kind:     hidden_block_count_y
      - .offset:         72
        .size:           4
        .value_kind:     hidden_block_count_z
      - .offset:         76
        .size:           2
        .value_kind:     hidden_group_size_x
      - .offset:         78
        .size:           2
        .value_kind:     hidden_group_size_y
      - .offset:         80
        .size:           2
        .value_kind:     hidden_group_size_z
      - .offset:         82
        .size:           2
        .value_kind:     hidden_remainder_x
      - .offset:         84
        .size:           2
        .value_kind:     hidden_remainder_y
      - .offset:         86
        .size:           2
        .value_kind:     hidden_remainder_z
      - .offset:         104
        .size:           8
        .value_kind:     hidden_global_offset_x
      - .offset:         112
        .size:           8
        .value_kind:     hidden_global_offset_y
      - .offset:         120
        .size:           8
        .value_kind:     hidden_global_offset_z
      - .offset:         128
        .size:           2
        .value_kind:     hidden_grid_dims
    .group_segment_fixed_size: 644
    .kernarg_segment_align: 8
    .kernarg_segment_size: 320
    .language:       OpenCL C
    .language_version:
      - 2
      - 0
    .max_flat_workgroup_size: 64
    .name:           _Z35paged_attention_ll4mi_reduce_kernelIDF16_DF16_Li64ELi64ELi256ELi5EEvPT0_PKfS3_PKT_PKiS8_iS3_
    .private_segment_fixed_size: 0
    .sgpr_count:     54
    .sgpr_spill_count: 0
    .symbol:         _Z35paged_attention_ll4mi_reduce_kernelIDF16_DF16_Li64ELi64ELi256ELi5EEvPT0_PKfS3_PKT_PKiS8_iS3_.kd
    .uniform_work_group_size: 1
    .uses_dynamic_stack: false
    .vgpr_count:     48
    .vgpr_spill_count: 0
    .wavefront_size: 32
    .workgroup_processor_mode: 1
  - .args:
      - .actual_access:  write_only
        .address_space:  global
        .offset:         0
        .size:           8
        .value_kind:     global_buffer
      - .actual_access:  read_only
        .address_space:  global
        .offset:         8
        .size:           8
        .value_kind:     global_buffer
      - .actual_access:  read_only
        .address_space:  global
        .offset:         16
        .size:           8
        .value_kind:     global_buffer
      - .actual_access:  read_only
        .address_space:  global
        .offset:         24
        .size:           8
        .value_kind:     global_buffer
      - .actual_access:  read_only
        .address_space:  global
        .offset:         32
        .size:           8
        .value_kind:     global_buffer
      - .actual_access:  read_only
        .address_space:  global
        .offset:         40
        .size:           8
        .value_kind:     global_buffer
      - .offset:         48
        .size:           4
        .value_kind:     by_value
      - .actual_access:  read_only
        .address_space:  global
        .offset:         56
        .size:           8
        .value_kind:     global_buffer
      - .offset:         64
        .size:           4
        .value_kind:     hidden_block_count_x
      - .offset:         68
        .size:           4
        .value_kind:     hidden_block_count_y
      - .offset:         72
        .size:           4
        .value_kind:     hidden_block_count_z
      - .offset:         76
        .size:           2
        .value_kind:     hidden_group_size_x
      - .offset:         78
        .size:           2
        .value_kind:     hidden_group_size_y
      - .offset:         80
        .size:           2
        .value_kind:     hidden_group_size_z
      - .offset:         82
        .size:           2
        .value_kind:     hidden_remainder_x
      - .offset:         84
        .size:           2
        .value_kind:     hidden_remainder_y
      - .offset:         86
        .size:           2
        .value_kind:     hidden_remainder_z
      - .offset:         104
        .size:           8
        .value_kind:     hidden_global_offset_x
      - .offset:         112
        .size:           8
        .value_kind:     hidden_global_offset_y
      - .offset:         120
        .size:           8
        .value_kind:     hidden_global_offset_z
      - .offset:         128
        .size:           2
        .value_kind:     hidden_grid_dims
    .group_segment_fixed_size: 772
    .kernarg_segment_align: 8
    .kernarg_segment_size: 320
    .language:       OpenCL C
    .language_version:
      - 2
      - 0
    .max_flat_workgroup_size: 64
    .name:           _Z35paged_attention_ll4mi_reduce_kernelIDF16_DF16_Li64ELi64ELi256ELi6EEvPT0_PKfS3_PKT_PKiS8_iS3_
    .private_segment_fixed_size: 0
    .sgpr_count:     54
    .sgpr_spill_count: 0
    .symbol:         _Z35paged_attention_ll4mi_reduce_kernelIDF16_DF16_Li64ELi64ELi256ELi6EEvPT0_PKfS3_PKT_PKiS8_iS3_.kd
    .uniform_work_group_size: 1
    .uses_dynamic_stack: false
    .vgpr_count:     48
    .vgpr_spill_count: 0
    .wavefront_size: 32
    .workgroup_processor_mode: 1
  - .args:
      - .actual_access:  write_only
        .address_space:  global
        .offset:         0
        .size:           8
        .value_kind:     global_buffer
      - .actual_access:  read_only
        .address_space:  global
        .offset:         8
        .size:           8
        .value_kind:     global_buffer
      - .actual_access:  read_only
        .address_space:  global
        .offset:         16
        .size:           8
        .value_kind:     global_buffer
      - .actual_access:  read_only
        .address_space:  global
        .offset:         24
        .size:           8
        .value_kind:     global_buffer
      - .actual_access:  read_only
        .address_space:  global
        .offset:         32
        .size:           8
        .value_kind:     global_buffer
      - .actual_access:  read_only
        .address_space:  global
        .offset:         40
        .size:           8
        .value_kind:     global_buffer
      - .offset:         48
        .size:           4
        .value_kind:     by_value
      - .actual_access:  read_only
        .address_space:  global
        .offset:         56
        .size:           8
        .value_kind:     global_buffer
      - .offset:         64
        .size:           4
        .value_kind:     hidden_block_count_x
      - .offset:         68
        .size:           4
        .value_kind:     hidden_block_count_y
      - .offset:         72
        .size:           4
        .value_kind:     hidden_block_count_z
      - .offset:         76
        .size:           2
        .value_kind:     hidden_group_size_x
      - .offset:         78
        .size:           2
        .value_kind:     hidden_group_size_y
      - .offset:         80
        .size:           2
        .value_kind:     hidden_group_size_z
      - .offset:         82
        .size:           2
        .value_kind:     hidden_remainder_x
      - .offset:         84
        .size:           2
        .value_kind:     hidden_remainder_y
      - .offset:         86
        .size:           2
        .value_kind:     hidden_remainder_z
      - .offset:         104
        .size:           8
        .value_kind:     hidden_global_offset_x
      - .offset:         112
        .size:           8
        .value_kind:     hidden_global_offset_y
      - .offset:         120
        .size:           8
        .value_kind:     hidden_global_offset_z
      - .offset:         128
        .size:           2
        .value_kind:     hidden_grid_dims
    .group_segment_fixed_size: 900
    .kernarg_segment_align: 8
    .kernarg_segment_size: 320
    .language:       OpenCL C
    .language_version:
      - 2
      - 0
    .max_flat_workgroup_size: 64
    .name:           _Z35paged_attention_ll4mi_reduce_kernelIDF16_DF16_Li64ELi64ELi256ELi7EEvPT0_PKfS3_PKT_PKiS8_iS3_
    .private_segment_fixed_size: 0
    .sgpr_count:     49
    .sgpr_spill_count: 0
    .symbol:         _Z35paged_attention_ll4mi_reduce_kernelIDF16_DF16_Li64ELi64ELi256ELi7EEvPT0_PKfS3_PKT_PKiS8_iS3_.kd
    .uniform_work_group_size: 1
    .uses_dynamic_stack: false
    .vgpr_count:     48
    .vgpr_spill_count: 0
    .wavefront_size: 32
    .workgroup_processor_mode: 1
  - .args:
      - .actual_access:  write_only
        .address_space:  global
        .offset:         0
        .size:           8
        .value_kind:     global_buffer
      - .actual_access:  read_only
        .address_space:  global
        .offset:         8
        .size:           8
        .value_kind:     global_buffer
      - .actual_access:  read_only
        .address_space:  global
        .offset:         16
        .size:           8
        .value_kind:     global_buffer
      - .actual_access:  read_only
        .address_space:  global
        .offset:         24
        .size:           8
        .value_kind:     global_buffer
      - .actual_access:  read_only
        .address_space:  global
        .offset:         32
        .size:           8
        .value_kind:     global_buffer
      - .actual_access:  read_only
        .address_space:  global
        .offset:         40
        .size:           8
        .value_kind:     global_buffer
      - .offset:         48
        .size:           4
        .value_kind:     by_value
      - .actual_access:  read_only
        .address_space:  global
        .offset:         56
        .size:           8
        .value_kind:     global_buffer
      - .offset:         64
        .size:           4
        .value_kind:     hidden_block_count_x
      - .offset:         68
        .size:           4
        .value_kind:     hidden_block_count_y
      - .offset:         72
        .size:           4
        .value_kind:     hidden_block_count_z
      - .offset:         76
        .size:           2
        .value_kind:     hidden_group_size_x
      - .offset:         78
        .size:           2
        .value_kind:     hidden_group_size_y
      - .offset:         80
        .size:           2
        .value_kind:     hidden_group_size_z
      - .offset:         82
        .size:           2
        .value_kind:     hidden_remainder_x
      - .offset:         84
        .size:           2
        .value_kind:     hidden_remainder_y
      - .offset:         86
        .size:           2
        .value_kind:     hidden_remainder_z
      - .offset:         104
        .size:           8
        .value_kind:     hidden_global_offset_x
      - .offset:         112
        .size:           8
        .value_kind:     hidden_global_offset_y
      - .offset:         120
        .size:           8
        .value_kind:     hidden_global_offset_z
      - .offset:         128
        .size:           2
        .value_kind:     hidden_grid_dims
    .group_segment_fixed_size: 1028
    .kernarg_segment_align: 8
    .kernarg_segment_size: 320
    .language:       OpenCL C
    .language_version:
      - 2
      - 0
    .max_flat_workgroup_size: 64
    .name:           _Z35paged_attention_ll4mi_reduce_kernelIDF16_DF16_Li64ELi64ELi256ELi8EEvPT0_PKfS3_PKT_PKiS8_iS3_
    .private_segment_fixed_size: 0
    .sgpr_count:     49
    .sgpr_spill_count: 0
    .symbol:         _Z35paged_attention_ll4mi_reduce_kernelIDF16_DF16_Li64ELi64ELi256ELi8EEvPT0_PKfS3_PKT_PKiS8_iS3_.kd
    .uniform_work_group_size: 1
    .uses_dynamic_stack: false
    .vgpr_count:     48
    .vgpr_spill_count: 0
    .wavefront_size: 32
    .workgroup_processor_mode: 1
  - .args:
      - .actual_access:  read_only
        .address_space:  global
        .offset:         0
        .size:           8
        .value_kind:     global_buffer
      - .actual_access:  read_only
        .address_space:  global
        .offset:         8
        .size:           8
        .value_kind:     global_buffer
      - .actual_access:  read_only
        .address_space:  global
        .offset:         16
        .size:           8
        .value_kind:     global_buffer
      - .offset:         24
        .size:           4
        .value_kind:     by_value
      - .offset:         28
        .size:           4
        .value_kind:     by_value
      - .actual_access:  read_only
        .address_space:  global
        .offset:         32
        .size:           8
        .value_kind:     global_buffer
      - .actual_access:  read_only
        .address_space:  global
        .offset:         40
        .size:           8
        .value_kind:     global_buffer
      - .actual_access:  read_only
        .address_space:  global
        .offset:         48
        .size:           8
        .value_kind:     global_buffer
      - .offset:         56
        .size:           4
        .value_kind:     by_value
      - .actual_access:  read_only
        .address_space:  global
        .offset:         64
        .size:           8
        .value_kind:     global_buffer
      - .offset:         72
        .size:           4
        .value_kind:     by_value
      - .offset:         76
        .size:           4
        .value_kind:     by_value
      - .offset:         80
        .size:           4
        .value_kind:     by_value
      - .actual_access:  write_only
        .address_space:  global
        .offset:         88
        .size:           8
        .value_kind:     global_buffer
      - .actual_access:  write_only
        .address_space:  global
        .offset:         96
        .size:           8
        .value_kind:     global_buffer
      - .actual_access:  write_only
        .address_space:  global
        .offset:         104
        .size:           8
        .value_kind:     global_buffer
      - .actual_access:  read_only
        .address_space:  global
        .offset:         112
        .size:           8
        .value_kind:     global_buffer
      - .offset:         120
        .size:           4
        .value_kind:     by_value
      - .address_space:  global
        .offset:         128
        .size:           8
        .value_kind:     global_buffer
      - .address_space:  global
        .offset:         136
        .size:           8
        .value_kind:     global_buffer
      - .offset:         144
        .size:           4
        .value_kind:     hidden_block_count_x
      - .offset:         148
        .size:           4
        .value_kind:     hidden_block_count_y
      - .offset:         152
        .size:           4
        .value_kind:     hidden_block_count_z
      - .offset:         156
        .size:           2
        .value_kind:     hidden_group_size_x
      - .offset:         158
        .size:           2
        .value_kind:     hidden_group_size_y
      - .offset:         160
        .size:           2
        .value_kind:     hidden_group_size_z
      - .offset:         162
        .size:           2
        .value_kind:     hidden_remainder_x
      - .offset:         164
        .size:           2
        .value_kind:     hidden_remainder_y
      - .offset:         166
        .size:           2
        .value_kind:     hidden_remainder_z
      - .offset:         184
        .size:           8
        .value_kind:     hidden_global_offset_x
      - .offset:         192
        .size:           8
        .value_kind:     hidden_global_offset_y
      - .offset:         200
        .size:           8
        .value_kind:     hidden_global_offset_z
      - .offset:         208
        .size:           2
        .value_kind:     hidden_grid_dims
    .group_segment_fixed_size: 17472
    .kernarg_segment_align: 8
    .kernarg_segment_size: 400
    .language:       OpenCL C
    .language_version:
      - 2
      - 0
    .max_flat_workgroup_size: 256
    .name:           _Z39paged_attention_ll4mi_QKV_mfma16_kernelIDF16_DF16_LN4vllm18Fp8KVCacheDataTypeE0EDF16_Li16ELi64ELi256ELb1ELi1EL8MFMAType0EEvPKT_PKT0_S8_ifPKiSA_SA_iPKfiiiPfSD_PS3_PT2_iSC_SC_
    .private_segment_fixed_size: 0
    .sgpr_count:     72
    .sgpr_spill_count: 0
    .symbol:         _Z39paged_attention_ll4mi_QKV_mfma16_kernelIDF16_DF16_LN4vllm18Fp8KVCacheDataTypeE0EDF16_Li16ELi64ELi256ELb1ELi1EL8MFMAType0EEvPKT_PKT0_S8_ifPKiSA_SA_iPKfiiiPfSD_PS3_PT2_iSC_SC_.kd
    .uniform_work_group_size: 1
    .uses_dynamic_stack: false
    .vgpr_count:     195
    .vgpr_spill_count: 0
    .wavefront_size: 32
    .workgroup_processor_mode: 1
  - .args:
      - .actual_access:  read_only
        .address_space:  global
        .offset:         0
        .size:           8
        .value_kind:     global_buffer
      - .actual_access:  read_only
        .address_space:  global
        .offset:         8
        .size:           8
        .value_kind:     global_buffer
      - .actual_access:  read_only
        .address_space:  global
        .offset:         16
        .size:           8
        .value_kind:     global_buffer
      - .offset:         24
        .size:           4
        .value_kind:     by_value
      - .offset:         28
        .size:           4
        .value_kind:     by_value
      - .actual_access:  read_only
        .address_space:  global
        .offset:         32
        .size:           8
        .value_kind:     global_buffer
      - .actual_access:  read_only
        .address_space:  global
        .offset:         40
        .size:           8
        .value_kind:     global_buffer
      - .actual_access:  read_only
        .address_space:  global
        .offset:         48
        .size:           8
        .value_kind:     global_buffer
      - .offset:         56
        .size:           4
        .value_kind:     by_value
      - .actual_access:  read_only
        .address_space:  global
        .offset:         64
        .size:           8
        .value_kind:     global_buffer
      - .offset:         72
        .size:           4
        .value_kind:     by_value
      - .offset:         76
        .size:           4
        .value_kind:     by_value
      - .offset:         80
        .size:           4
        .value_kind:     by_value
      - .actual_access:  write_only
        .address_space:  global
        .offset:         88
        .size:           8
        .value_kind:     global_buffer
      - .actual_access:  write_only
        .address_space:  global
        .offset:         96
        .size:           8
        .value_kind:     global_buffer
      - .actual_access:  write_only
        .address_space:  global
        .offset:         104
        .size:           8
        .value_kind:     global_buffer
      - .actual_access:  read_only
        .address_space:  global
        .offset:         112
        .size:           8
        .value_kind:     global_buffer
      - .offset:         120
        .size:           4
        .value_kind:     by_value
      - .address_space:  global
        .offset:         128
        .size:           8
        .value_kind:     global_buffer
      - .address_space:  global
        .offset:         136
        .size:           8
        .value_kind:     global_buffer
      - .offset:         144
        .size:           4
        .value_kind:     hidden_block_count_x
      - .offset:         148
        .size:           4
        .value_kind:     hidden_block_count_y
      - .offset:         152
        .size:           4
        .value_kind:     hidden_block_count_z
      - .offset:         156
        .size:           2
        .value_kind:     hidden_group_size_x
      - .offset:         158
        .size:           2
        .value_kind:     hidden_group_size_y
      - .offset:         160
        .size:           2
        .value_kind:     hidden_group_size_z
      - .offset:         162
        .size:           2
        .value_kind:     hidden_remainder_x
      - .offset:         164
        .size:           2
        .value_kind:     hidden_remainder_y
      - .offset:         166
        .size:           2
        .value_kind:     hidden_remainder_z
      - .offset:         184
        .size:           8
        .value_kind:     hidden_global_offset_x
      - .offset:         192
        .size:           8
        .value_kind:     hidden_global_offset_y
      - .offset:         200
        .size:           8
        .value_kind:     hidden_global_offset_z
      - .offset:         208
        .size:           2
        .value_kind:     hidden_grid_dims
    .group_segment_fixed_size: 17472
    .kernarg_segment_align: 8
    .kernarg_segment_size: 400
    .language:       OpenCL C
    .language_version:
      - 2
      - 0
    .max_flat_workgroup_size: 256
    .name:           _Z39paged_attention_ll4mi_QKV_mfma16_kernelIDF16_DF16_LN4vllm18Fp8KVCacheDataTypeE0EDF16_Li16ELi64ELi256ELb1ELi2EL8MFMAType0EEvPKT_PKT0_S8_ifPKiSA_SA_iPKfiiiPfSD_PS3_PT2_iSC_SC_
    .private_segment_fixed_size: 0
    .sgpr_count:     54
    .sgpr_spill_count: 0
    .symbol:         _Z39paged_attention_ll4mi_QKV_mfma16_kernelIDF16_DF16_LN4vllm18Fp8KVCacheDataTypeE0EDF16_Li16ELi64ELi256ELb1ELi2EL8MFMAType0EEvPKT_PKT0_S8_ifPKiSA_SA_iPKfiiiPfSD_PS3_PT2_iSC_SC_.kd
    .uniform_work_group_size: 1
    .uses_dynamic_stack: false
    .vgpr_count:     202
    .vgpr_spill_count: 0
    .wavefront_size: 32
    .workgroup_processor_mode: 1
  - .args:
      - .actual_access:  read_only
        .address_space:  global
        .offset:         0
        .size:           8
        .value_kind:     global_buffer
      - .actual_access:  read_only
        .address_space:  global
        .offset:         8
        .size:           8
        .value_kind:     global_buffer
      - .actual_access:  read_only
        .address_space:  global
        .offset:         16
        .size:           8
        .value_kind:     global_buffer
      - .offset:         24
        .size:           4
        .value_kind:     by_value
      - .offset:         28
        .size:           4
        .value_kind:     by_value
      - .actual_access:  read_only
        .address_space:  global
        .offset:         32
        .size:           8
        .value_kind:     global_buffer
      - .actual_access:  read_only
        .address_space:  global
        .offset:         40
        .size:           8
        .value_kind:     global_buffer
      - .actual_access:  read_only
        .address_space:  global
        .offset:         48
        .size:           8
        .value_kind:     global_buffer
      - .offset:         56
        .size:           4
        .value_kind:     by_value
      - .actual_access:  read_only
        .address_space:  global
        .offset:         64
        .size:           8
        .value_kind:     global_buffer
      - .offset:         72
        .size:           4
        .value_kind:     by_value
      - .offset:         76
        .size:           4
        .value_kind:     by_value
      - .offset:         80
        .size:           4
        .value_kind:     by_value
      - .actual_access:  write_only
        .address_space:  global
        .offset:         88
        .size:           8
        .value_kind:     global_buffer
      - .actual_access:  write_only
        .address_space:  global
        .offset:         96
        .size:           8
        .value_kind:     global_buffer
      - .actual_access:  write_only
        .address_space:  global
        .offset:         104
        .size:           8
        .value_kind:     global_buffer
      - .actual_access:  read_only
        .address_space:  global
        .offset:         112
        .size:           8
        .value_kind:     global_buffer
      - .offset:         120
        .size:           4
        .value_kind:     by_value
      - .address_space:  global
        .offset:         128
        .size:           8
        .value_kind:     global_buffer
      - .address_space:  global
        .offset:         136
        .size:           8
        .value_kind:     global_buffer
      - .offset:         144
        .size:           4
        .value_kind:     hidden_block_count_x
      - .offset:         148
        .size:           4
        .value_kind:     hidden_block_count_y
      - .offset:         152
        .size:           4
        .value_kind:     hidden_block_count_z
      - .offset:         156
        .size:           2
        .value_kind:     hidden_group_size_x
      - .offset:         158
        .size:           2
        .value_kind:     hidden_group_size_y
      - .offset:         160
        .size:           2
        .value_kind:     hidden_group_size_z
      - .offset:         162
        .size:           2
        .value_kind:     hidden_remainder_x
      - .offset:         164
        .size:           2
        .value_kind:     hidden_remainder_y
      - .offset:         166
        .size:           2
        .value_kind:     hidden_remainder_z
      - .offset:         184
        .size:           8
        .value_kind:     hidden_global_offset_x
      - .offset:         192
        .size:           8
        .value_kind:     hidden_global_offset_y
      - .offset:         200
        .size:           8
        .value_kind:     hidden_global_offset_z
      - .offset:         208
        .size:           2
        .value_kind:     hidden_grid_dims
    .group_segment_fixed_size: 17472
    .kernarg_segment_align: 8
    .kernarg_segment_size: 400
    .language:       OpenCL C
    .language_version:
      - 2
      - 0
    .max_flat_workgroup_size: 256
    .name:           _Z39paged_attention_ll4mi_QKV_mfma16_kernelIDF16_DF16_LN4vllm18Fp8KVCacheDataTypeE0EDF16_Li16ELi64ELi256ELb1ELi3EL8MFMAType0EEvPKT_PKT0_S8_ifPKiSA_SA_iPKfiiiPfSD_PS3_PT2_iSC_SC_
    .private_segment_fixed_size: 0
    .sgpr_count:     54
    .sgpr_spill_count: 0
    .symbol:         _Z39paged_attention_ll4mi_QKV_mfma16_kernelIDF16_DF16_LN4vllm18Fp8KVCacheDataTypeE0EDF16_Li16ELi64ELi256ELb1ELi3EL8MFMAType0EEvPKT_PKT0_S8_ifPKiSA_SA_iPKfiiiPfSD_PS3_PT2_iSC_SC_.kd
    .uniform_work_group_size: 1
    .uses_dynamic_stack: false
    .vgpr_count:     198
    .vgpr_spill_count: 0
    .wavefront_size: 32
    .workgroup_processor_mode: 1
  - .args:
      - .actual_access:  read_only
        .address_space:  global
        .offset:         0
        .size:           8
        .value_kind:     global_buffer
      - .actual_access:  read_only
        .address_space:  global
        .offset:         8
        .size:           8
        .value_kind:     global_buffer
      - .actual_access:  read_only
        .address_space:  global
        .offset:         16
        .size:           8
        .value_kind:     global_buffer
      - .offset:         24
        .size:           4
        .value_kind:     by_value
      - .offset:         28
        .size:           4
        .value_kind:     by_value
      - .actual_access:  read_only
        .address_space:  global
        .offset:         32
        .size:           8
        .value_kind:     global_buffer
      - .actual_access:  read_only
        .address_space:  global
        .offset:         40
        .size:           8
        .value_kind:     global_buffer
      - .actual_access:  read_only
        .address_space:  global
        .offset:         48
        .size:           8
        .value_kind:     global_buffer
      - .offset:         56
        .size:           4
        .value_kind:     by_value
      - .actual_access:  read_only
        .address_space:  global
        .offset:         64
        .size:           8
        .value_kind:     global_buffer
      - .offset:         72
        .size:           4
        .value_kind:     by_value
      - .offset:         76
        .size:           4
        .value_kind:     by_value
      - .offset:         80
        .size:           4
        .value_kind:     by_value
      - .actual_access:  write_only
        .address_space:  global
        .offset:         88
        .size:           8
        .value_kind:     global_buffer
      - .actual_access:  write_only
        .address_space:  global
        .offset:         96
        .size:           8
        .value_kind:     global_buffer
      - .actual_access:  write_only
        .address_space:  global
        .offset:         104
        .size:           8
        .value_kind:     global_buffer
      - .actual_access:  read_only
        .address_space:  global
        .offset:         112
        .size:           8
        .value_kind:     global_buffer
      - .offset:         120
        .size:           4
        .value_kind:     by_value
      - .address_space:  global
        .offset:         128
        .size:           8
        .value_kind:     global_buffer
      - .address_space:  global
        .offset:         136
        .size:           8
        .value_kind:     global_buffer
      - .offset:         144
        .size:           4
        .value_kind:     hidden_block_count_x
      - .offset:         148
        .size:           4
        .value_kind:     hidden_block_count_y
      - .offset:         152
        .size:           4
        .value_kind:     hidden_block_count_z
      - .offset:         156
        .size:           2
        .value_kind:     hidden_group_size_x
      - .offset:         158
        .size:           2
        .value_kind:     hidden_group_size_y
      - .offset:         160
        .size:           2
        .value_kind:     hidden_group_size_z
      - .offset:         162
        .size:           2
        .value_kind:     hidden_remainder_x
      - .offset:         164
        .size:           2
        .value_kind:     hidden_remainder_y
      - .offset:         166
        .size:           2
        .value_kind:     hidden_remainder_z
      - .offset:         184
        .size:           8
        .value_kind:     hidden_global_offset_x
      - .offset:         192
        .size:           8
        .value_kind:     hidden_global_offset_y
      - .offset:         200
        .size:           8
        .value_kind:     hidden_global_offset_z
      - .offset:         208
        .size:           2
        .value_kind:     hidden_grid_dims
    .group_segment_fixed_size: 17472
    .kernarg_segment_align: 8
    .kernarg_segment_size: 400
    .language:       OpenCL C
    .language_version:
      - 2
      - 0
    .max_flat_workgroup_size: 256
    .name:           _Z39paged_attention_ll4mi_QKV_mfma16_kernelIDF16_DF16_LN4vllm18Fp8KVCacheDataTypeE0EDF16_Li16ELi64ELi256ELb1ELi4EL8MFMAType0EEvPKT_PKT0_S8_ifPKiSA_SA_iPKfiiiPfSD_PS3_PT2_iSC_SC_
    .private_segment_fixed_size: 0
    .sgpr_count:     54
    .sgpr_spill_count: 0
    .symbol:         _Z39paged_attention_ll4mi_QKV_mfma16_kernelIDF16_DF16_LN4vllm18Fp8KVCacheDataTypeE0EDF16_Li16ELi64ELi256ELb1ELi4EL8MFMAType0EEvPKT_PKT0_S8_ifPKiSA_SA_iPKfiiiPfSD_PS3_PT2_iSC_SC_.kd
    .uniform_work_group_size: 1
    .uses_dynamic_stack: false
    .vgpr_count:     198
    .vgpr_spill_count: 0
    .wavefront_size: 32
    .workgroup_processor_mode: 1
  - .args:
      - .actual_access:  write_only
        .address_space:  global
        .offset:         0
        .size:           8
        .value_kind:     global_buffer
      - .actual_access:  read_only
        .address_space:  global
        .offset:         8
        .size:           8
        .value_kind:     global_buffer
      - .actual_access:  read_only
        .address_space:  global
        .offset:         16
        .size:           8
        .value_kind:     global_buffer
      - .actual_access:  read_only
        .address_space:  global
        .offset:         24
        .size:           8
        .value_kind:     global_buffer
      - .actual_access:  read_only
        .address_space:  global
        .offset:         32
        .size:           8
        .value_kind:     global_buffer
      - .actual_access:  read_only
        .address_space:  global
        .offset:         40
        .size:           8
        .value_kind:     global_buffer
      - .offset:         48
        .size:           4
        .value_kind:     by_value
      - .actual_access:  read_only
        .address_space:  global
        .offset:         56
        .size:           8
        .value_kind:     global_buffer
      - .offset:         64
        .size:           4
        .value_kind:     hidden_block_count_x
      - .offset:         68
        .size:           4
        .value_kind:     hidden_block_count_y
      - .offset:         72
        .size:           4
        .value_kind:     hidden_block_count_z
      - .offset:         76
        .size:           2
        .value_kind:     hidden_group_size_x
      - .offset:         78
        .size:           2
        .value_kind:     hidden_group_size_y
      - .offset:         80
        .size:           2
        .value_kind:     hidden_group_size_z
      - .offset:         82
        .size:           2
        .value_kind:     hidden_remainder_x
      - .offset:         84
        .size:           2
        .value_kind:     hidden_remainder_y
      - .offset:         86
        .size:           2
        .value_kind:     hidden_remainder_z
      - .offset:         104
        .size:           8
        .value_kind:     hidden_global_offset_x
      - .offset:         112
        .size:           8
        .value_kind:     hidden_global_offset_y
      - .offset:         120
        .size:           8
        .value_kind:     hidden_global_offset_z
      - .offset:         128
        .size:           2
        .value_kind:     hidden_grid_dims
    .group_segment_fixed_size: 1156
    .kernarg_segment_align: 8
    .kernarg_segment_size: 320
    .language:       OpenCL C
    .language_version:
      - 2
      - 0
    .max_flat_workgroup_size: 64
    .name:           _Z35paged_attention_ll4mi_reduce_kernelIDF16_DF16_Li64ELi64ELi256ELi9EEvPT0_PKfS3_PKT_PKiS8_iS3_
    .private_segment_fixed_size: 0
    .sgpr_count:     49
    .sgpr_spill_count: 0
    .symbol:         _Z35paged_attention_ll4mi_reduce_kernelIDF16_DF16_Li64ELi64ELi256ELi9EEvPT0_PKfS3_PKT_PKiS8_iS3_.kd
    .uniform_work_group_size: 1
    .uses_dynamic_stack: false
    .vgpr_count:     52
    .vgpr_spill_count: 0
    .wavefront_size: 32
    .workgroup_processor_mode: 1
  - .args:
      - .actual_access:  write_only
        .address_space:  global
        .offset:         0
        .size:           8
        .value_kind:     global_buffer
      - .actual_access:  read_only
        .address_space:  global
        .offset:         8
        .size:           8
        .value_kind:     global_buffer
      - .actual_access:  read_only
        .address_space:  global
        .offset:         16
        .size:           8
        .value_kind:     global_buffer
      - .actual_access:  read_only
        .address_space:  global
        .offset:         24
        .size:           8
        .value_kind:     global_buffer
      - .actual_access:  read_only
        .address_space:  global
        .offset:         32
        .size:           8
        .value_kind:     global_buffer
      - .actual_access:  read_only
        .address_space:  global
        .offset:         40
        .size:           8
        .value_kind:     global_buffer
      - .offset:         48
        .size:           4
        .value_kind:     by_value
      - .actual_access:  read_only
        .address_space:  global
        .offset:         56
        .size:           8
        .value_kind:     global_buffer
      - .offset:         64
        .size:           4
        .value_kind:     hidden_block_count_x
      - .offset:         68
        .size:           4
        .value_kind:     hidden_block_count_y
      - .offset:         72
        .size:           4
        .value_kind:     hidden_block_count_z
      - .offset:         76
        .size:           2
        .value_kind:     hidden_group_size_x
      - .offset:         78
        .size:           2
        .value_kind:     hidden_group_size_y
      - .offset:         80
        .size:           2
        .value_kind:     hidden_group_size_z
      - .offset:         82
        .size:           2
        .value_kind:     hidden_remainder_x
      - .offset:         84
        .size:           2
        .value_kind:     hidden_remainder_y
      - .offset:         86
        .size:           2
        .value_kind:     hidden_remainder_z
      - .offset:         104
        .size:           8
        .value_kind:     hidden_global_offset_x
      - .offset:         112
        .size:           8
        .value_kind:     hidden_global_offset_y
      - .offset:         120
        .size:           8
        .value_kind:     hidden_global_offset_z
      - .offset:         128
        .size:           2
        .value_kind:     hidden_grid_dims
    .group_segment_fixed_size: 1284
    .kernarg_segment_align: 8
    .kernarg_segment_size: 320
    .language:       OpenCL C
    .language_version:
      - 2
      - 0
    .max_flat_workgroup_size: 64
    .name:           _Z35paged_attention_ll4mi_reduce_kernelIDF16_DF16_Li64ELi64ELi256ELi10EEvPT0_PKfS3_PKT_PKiS8_iS3_
    .private_segment_fixed_size: 0
    .sgpr_count:     49
    .sgpr_spill_count: 0
    .symbol:         _Z35paged_attention_ll4mi_reduce_kernelIDF16_DF16_Li64ELi64ELi256ELi10EEvPT0_PKfS3_PKT_PKiS8_iS3_.kd
    .uniform_work_group_size: 1
    .uses_dynamic_stack: false
    .vgpr_count:     57
    .vgpr_spill_count: 0
    .wavefront_size: 32
    .workgroup_processor_mode: 1
  - .args:
      - .actual_access:  write_only
        .address_space:  global
        .offset:         0
        .size:           8
        .value_kind:     global_buffer
      - .actual_access:  read_only
        .address_space:  global
        .offset:         8
        .size:           8
        .value_kind:     global_buffer
      - .actual_access:  read_only
        .address_space:  global
        .offset:         16
        .size:           8
        .value_kind:     global_buffer
      - .actual_access:  read_only
        .address_space:  global
        .offset:         24
        .size:           8
        .value_kind:     global_buffer
      - .actual_access:  read_only
        .address_space:  global
        .offset:         32
        .size:           8
        .value_kind:     global_buffer
      - .actual_access:  read_only
        .address_space:  global
        .offset:         40
        .size:           8
        .value_kind:     global_buffer
      - .offset:         48
        .size:           4
        .value_kind:     by_value
      - .actual_access:  read_only
        .address_space:  global
        .offset:         56
        .size:           8
        .value_kind:     global_buffer
      - .offset:         64
        .size:           4
        .value_kind:     hidden_block_count_x
      - .offset:         68
        .size:           4
        .value_kind:     hidden_block_count_y
      - .offset:         72
        .size:           4
        .value_kind:     hidden_block_count_z
      - .offset:         76
        .size:           2
        .value_kind:     hidden_group_size_x
      - .offset:         78
        .size:           2
        .value_kind:     hidden_group_size_y
      - .offset:         80
        .size:           2
        .value_kind:     hidden_group_size_z
      - .offset:         82
        .size:           2
        .value_kind:     hidden_remainder_x
      - .offset:         84
        .size:           2
        .value_kind:     hidden_remainder_y
      - .offset:         86
        .size:           2
        .value_kind:     hidden_remainder_z
      - .offset:         104
        .size:           8
        .value_kind:     hidden_global_offset_x
      - .offset:         112
        .size:           8
        .value_kind:     hidden_global_offset_y
      - .offset:         120
        .size:           8
        .value_kind:     hidden_global_offset_z
      - .offset:         128
        .size:           2
        .value_kind:     hidden_grid_dims
    .group_segment_fixed_size: 1412
    .kernarg_segment_align: 8
    .kernarg_segment_size: 320
    .language:       OpenCL C
    .language_version:
      - 2
      - 0
    .max_flat_workgroup_size: 64
    .name:           _Z35paged_attention_ll4mi_reduce_kernelIDF16_DF16_Li64ELi64ELi256ELi11EEvPT0_PKfS3_PKT_PKiS8_iS3_
    .private_segment_fixed_size: 0
    .sgpr_count:     49
    .sgpr_spill_count: 0
    .symbol:         _Z35paged_attention_ll4mi_reduce_kernelIDF16_DF16_Li64ELi64ELi256ELi11EEvPT0_PKfS3_PKT_PKiS8_iS3_.kd
    .uniform_work_group_size: 1
    .uses_dynamic_stack: false
    .vgpr_count:     62
    .vgpr_spill_count: 0
    .wavefront_size: 32
    .workgroup_processor_mode: 1
  - .args:
      - .actual_access:  write_only
        .address_space:  global
        .offset:         0
        .size:           8
        .value_kind:     global_buffer
      - .actual_access:  read_only
        .address_space:  global
        .offset:         8
        .size:           8
        .value_kind:     global_buffer
      - .actual_access:  read_only
        .address_space:  global
        .offset:         16
        .size:           8
        .value_kind:     global_buffer
      - .actual_access:  read_only
        .address_space:  global
        .offset:         24
        .size:           8
        .value_kind:     global_buffer
      - .actual_access:  read_only
        .address_space:  global
        .offset:         32
        .size:           8
        .value_kind:     global_buffer
      - .actual_access:  read_only
        .address_space:  global
        .offset:         40
        .size:           8
        .value_kind:     global_buffer
      - .offset:         48
        .size:           4
        .value_kind:     by_value
      - .actual_access:  read_only
        .address_space:  global
        .offset:         56
        .size:           8
        .value_kind:     global_buffer
      - .offset:         64
        .size:           4
        .value_kind:     hidden_block_count_x
      - .offset:         68
        .size:           4
        .value_kind:     hidden_block_count_y
      - .offset:         72
        .size:           4
        .value_kind:     hidden_block_count_z
      - .offset:         76
        .size:           2
        .value_kind:     hidden_group_size_x
      - .offset:         78
        .size:           2
        .value_kind:     hidden_group_size_y
      - .offset:         80
        .size:           2
        .value_kind:     hidden_group_size_z
      - .offset:         82
        .size:           2
        .value_kind:     hidden_remainder_x
      - .offset:         84
        .size:           2
        .value_kind:     hidden_remainder_y
      - .offset:         86
        .size:           2
        .value_kind:     hidden_remainder_z
      - .offset:         104
        .size:           8
        .value_kind:     hidden_global_offset_x
      - .offset:         112
        .size:           8
        .value_kind:     hidden_global_offset_y
      - .offset:         120
        .size:           8
        .value_kind:     hidden_global_offset_z
      - .offset:         128
        .size:           2
        .value_kind:     hidden_grid_dims
    .group_segment_fixed_size: 1540
    .kernarg_segment_align: 8
    .kernarg_segment_size: 320
    .language:       OpenCL C
    .language_version:
      - 2
      - 0
    .max_flat_workgroup_size: 64
    .name:           _Z35paged_attention_ll4mi_reduce_kernelIDF16_DF16_Li64ELi64ELi256ELi12EEvPT0_PKfS3_PKT_PKiS8_iS3_
    .private_segment_fixed_size: 0
    .sgpr_count:     49
    .sgpr_spill_count: 0
    .symbol:         _Z35paged_attention_ll4mi_reduce_kernelIDF16_DF16_Li64ELi64ELi256ELi12EEvPT0_PKfS3_PKT_PKiS8_iS3_.kd
    .uniform_work_group_size: 1
    .uses_dynamic_stack: false
    .vgpr_count:     67
    .vgpr_spill_count: 0
    .wavefront_size: 32
    .workgroup_processor_mode: 1
  - .args:
      - .actual_access:  write_only
        .address_space:  global
        .offset:         0
        .size:           8
        .value_kind:     global_buffer
      - .actual_access:  read_only
        .address_space:  global
        .offset:         8
        .size:           8
        .value_kind:     global_buffer
      - .actual_access:  read_only
        .address_space:  global
        .offset:         16
        .size:           8
        .value_kind:     global_buffer
      - .actual_access:  read_only
        .address_space:  global
        .offset:         24
        .size:           8
        .value_kind:     global_buffer
      - .actual_access:  read_only
        .address_space:  global
        .offset:         32
        .size:           8
        .value_kind:     global_buffer
      - .actual_access:  read_only
        .address_space:  global
        .offset:         40
        .size:           8
        .value_kind:     global_buffer
      - .offset:         48
        .size:           4
        .value_kind:     by_value
      - .actual_access:  read_only
        .address_space:  global
        .offset:         56
        .size:           8
        .value_kind:     global_buffer
      - .offset:         64
        .size:           4
        .value_kind:     hidden_block_count_x
      - .offset:         68
        .size:           4
        .value_kind:     hidden_block_count_y
      - .offset:         72
        .size:           4
        .value_kind:     hidden_block_count_z
      - .offset:         76
        .size:           2
        .value_kind:     hidden_group_size_x
      - .offset:         78
        .size:           2
        .value_kind:     hidden_group_size_y
      - .offset:         80
        .size:           2
        .value_kind:     hidden_group_size_z
      - .offset:         82
        .size:           2
        .value_kind:     hidden_remainder_x
      - .offset:         84
        .size:           2
        .value_kind:     hidden_remainder_y
      - .offset:         86
        .size:           2
        .value_kind:     hidden_remainder_z
      - .offset:         104
        .size:           8
        .value_kind:     hidden_global_offset_x
      - .offset:         112
        .size:           8
        .value_kind:     hidden_global_offset_y
      - .offset:         120
        .size:           8
        .value_kind:     hidden_global_offset_z
      - .offset:         128
        .size:           2
        .value_kind:     hidden_grid_dims
    .group_segment_fixed_size: 1668
    .kernarg_segment_align: 8
    .kernarg_segment_size: 320
    .language:       OpenCL C
    .language_version:
      - 2
      - 0
    .max_flat_workgroup_size: 64
    .name:           _Z35paged_attention_ll4mi_reduce_kernelIDF16_DF16_Li64ELi64ELi256ELi13EEvPT0_PKfS3_PKT_PKiS8_iS3_
    .private_segment_fixed_size: 0
    .sgpr_count:     49
    .sgpr_spill_count: 0
    .symbol:         _Z35paged_attention_ll4mi_reduce_kernelIDF16_DF16_Li64ELi64ELi256ELi13EEvPT0_PKfS3_PKT_PKiS8_iS3_.kd
    .uniform_work_group_size: 1
    .uses_dynamic_stack: false
    .vgpr_count:     68
    .vgpr_spill_count: 0
    .wavefront_size: 32
    .workgroup_processor_mode: 1
  - .args:
      - .actual_access:  write_only
        .address_space:  global
        .offset:         0
        .size:           8
        .value_kind:     global_buffer
      - .actual_access:  read_only
        .address_space:  global
        .offset:         8
        .size:           8
        .value_kind:     global_buffer
      - .actual_access:  read_only
        .address_space:  global
        .offset:         16
        .size:           8
        .value_kind:     global_buffer
      - .actual_access:  read_only
        .address_space:  global
        .offset:         24
        .size:           8
        .value_kind:     global_buffer
      - .actual_access:  read_only
        .address_space:  global
        .offset:         32
        .size:           8
        .value_kind:     global_buffer
      - .actual_access:  read_only
        .address_space:  global
        .offset:         40
        .size:           8
        .value_kind:     global_buffer
      - .offset:         48
        .size:           4
        .value_kind:     by_value
      - .actual_access:  read_only
        .address_space:  global
        .offset:         56
        .size:           8
        .value_kind:     global_buffer
      - .offset:         64
        .size:           4
        .value_kind:     hidden_block_count_x
      - .offset:         68
        .size:           4
        .value_kind:     hidden_block_count_y
      - .offset:         72
        .size:           4
        .value_kind:     hidden_block_count_z
      - .offset:         76
        .size:           2
        .value_kind:     hidden_group_size_x
      - .offset:         78
        .size:           2
        .value_kind:     hidden_group_size_y
      - .offset:         80
        .size:           2
        .value_kind:     hidden_group_size_z
      - .offset:         82
        .size:           2
        .value_kind:     hidden_remainder_x
      - .offset:         84
        .size:           2
        .value_kind:     hidden_remainder_y
      - .offset:         86
        .size:           2
        .value_kind:     hidden_remainder_z
      - .offset:         104
        .size:           8
        .value_kind:     hidden_global_offset_x
      - .offset:         112
        .size:           8
        .value_kind:     hidden_global_offset_y
      - .offset:         120
        .size:           8
        .value_kind:     hidden_global_offset_z
      - .offset:         128
        .size:           2
        .value_kind:     hidden_grid_dims
    .group_segment_fixed_size: 1796
    .kernarg_segment_align: 8
    .kernarg_segment_size: 320
    .language:       OpenCL C
    .language_version:
      - 2
      - 0
    .max_flat_workgroup_size: 64
    .name:           _Z35paged_attention_ll4mi_reduce_kernelIDF16_DF16_Li64ELi64ELi256ELi14EEvPT0_PKfS3_PKT_PKiS8_iS3_
    .private_segment_fixed_size: 0
    .sgpr_count:     49
    .sgpr_spill_count: 0
    .symbol:         _Z35paged_attention_ll4mi_reduce_kernelIDF16_DF16_Li64ELi64ELi256ELi14EEvPT0_PKfS3_PKT_PKiS8_iS3_.kd
    .uniform_work_group_size: 1
    .uses_dynamic_stack: false
    .vgpr_count:     77
    .vgpr_spill_count: 0
    .wavefront_size: 32
    .workgroup_processor_mode: 1
  - .args:
      - .actual_access:  write_only
        .address_space:  global
        .offset:         0
        .size:           8
        .value_kind:     global_buffer
      - .actual_access:  read_only
        .address_space:  global
        .offset:         8
        .size:           8
        .value_kind:     global_buffer
      - .actual_access:  read_only
        .address_space:  global
        .offset:         16
        .size:           8
        .value_kind:     global_buffer
      - .actual_access:  read_only
        .address_space:  global
        .offset:         24
        .size:           8
        .value_kind:     global_buffer
      - .actual_access:  read_only
        .address_space:  global
        .offset:         32
        .size:           8
        .value_kind:     global_buffer
      - .actual_access:  read_only
        .address_space:  global
        .offset:         40
        .size:           8
        .value_kind:     global_buffer
      - .offset:         48
        .size:           4
        .value_kind:     by_value
      - .actual_access:  read_only
        .address_space:  global
        .offset:         56
        .size:           8
        .value_kind:     global_buffer
      - .offset:         64
        .size:           4
        .value_kind:     hidden_block_count_x
      - .offset:         68
        .size:           4
        .value_kind:     hidden_block_count_y
      - .offset:         72
        .size:           4
        .value_kind:     hidden_block_count_z
      - .offset:         76
        .size:           2
        .value_kind:     hidden_group_size_x
      - .offset:         78
        .size:           2
        .value_kind:     hidden_group_size_y
      - .offset:         80
        .size:           2
        .value_kind:     hidden_group_size_z
      - .offset:         82
        .size:           2
        .value_kind:     hidden_remainder_x
      - .offset:         84
        .size:           2
        .value_kind:     hidden_remainder_y
      - .offset:         86
        .size:           2
        .value_kind:     hidden_remainder_z
      - .offset:         104
        .size:           8
        .value_kind:     hidden_global_offset_x
      - .offset:         112
        .size:           8
        .value_kind:     hidden_global_offset_y
      - .offset:         120
        .size:           8
        .value_kind:     hidden_global_offset_z
      - .offset:         128
        .size:           2
        .value_kind:     hidden_grid_dims
    .group_segment_fixed_size: 1924
    .kernarg_segment_align: 8
    .kernarg_segment_size: 320
    .language:       OpenCL C
    .language_version:
      - 2
      - 0
    .max_flat_workgroup_size: 64
    .name:           _Z35paged_attention_ll4mi_reduce_kernelIDF16_DF16_Li64ELi64ELi256ELi15EEvPT0_PKfS3_PKT_PKiS8_iS3_
    .private_segment_fixed_size: 0
    .sgpr_count:     49
    .sgpr_spill_count: 0
    .symbol:         _Z35paged_attention_ll4mi_reduce_kernelIDF16_DF16_Li64ELi64ELi256ELi15EEvPT0_PKfS3_PKT_PKiS8_iS3_.kd
    .uniform_work_group_size: 1
    .uses_dynamic_stack: false
    .vgpr_count:     77
    .vgpr_spill_count: 0
    .wavefront_size: 32
    .workgroup_processor_mode: 1
  - .args:
      - .actual_access:  write_only
        .address_space:  global
        .offset:         0
        .size:           8
        .value_kind:     global_buffer
      - .actual_access:  read_only
        .address_space:  global
        .offset:         8
        .size:           8
        .value_kind:     global_buffer
      - .actual_access:  read_only
        .address_space:  global
        .offset:         16
        .size:           8
        .value_kind:     global_buffer
      - .actual_access:  read_only
        .address_space:  global
        .offset:         24
        .size:           8
        .value_kind:     global_buffer
      - .actual_access:  read_only
        .address_space:  global
        .offset:         32
        .size:           8
        .value_kind:     global_buffer
      - .actual_access:  read_only
        .address_space:  global
        .offset:         40
        .size:           8
        .value_kind:     global_buffer
      - .offset:         48
        .size:           4
        .value_kind:     by_value
      - .actual_access:  read_only
        .address_space:  global
        .offset:         56
        .size:           8
        .value_kind:     global_buffer
      - .offset:         64
        .size:           4
        .value_kind:     hidden_block_count_x
      - .offset:         68
        .size:           4
        .value_kind:     hidden_block_count_y
      - .offset:         72
        .size:           4
        .value_kind:     hidden_block_count_z
      - .offset:         76
        .size:           2
        .value_kind:     hidden_group_size_x
      - .offset:         78
        .size:           2
        .value_kind:     hidden_group_size_y
      - .offset:         80
        .size:           2
        .value_kind:     hidden_group_size_z
      - .offset:         82
        .size:           2
        .value_kind:     hidden_remainder_x
      - .offset:         84
        .size:           2
        .value_kind:     hidden_remainder_y
      - .offset:         86
        .size:           2
        .value_kind:     hidden_remainder_z
      - .offset:         104
        .size:           8
        .value_kind:     hidden_global_offset_x
      - .offset:         112
        .size:           8
        .value_kind:     hidden_global_offset_y
      - .offset:         120
        .size:           8
        .value_kind:     hidden_global_offset_z
      - .offset:         128
        .size:           2
        .value_kind:     hidden_grid_dims
    .group_segment_fixed_size: 2052
    .kernarg_segment_align: 8
    .kernarg_segment_size: 320
    .language:       OpenCL C
    .language_version:
      - 2
      - 0
    .max_flat_workgroup_size: 64
    .name:           _Z35paged_attention_ll4mi_reduce_kernelIDF16_DF16_Li64ELi64ELi256ELi16EEvPT0_PKfS3_PKT_PKiS8_iS3_
    .private_segment_fixed_size: 0
    .sgpr_count:     49
    .sgpr_spill_count: 0
    .symbol:         _Z35paged_attention_ll4mi_reduce_kernelIDF16_DF16_Li64ELi64ELi256ELi16EEvPT0_PKfS3_PKT_PKiS8_iS3_.kd
    .uniform_work_group_size: 1
    .uses_dynamic_stack: false
    .vgpr_count:     87
    .vgpr_spill_count: 0
    .wavefront_size: 32
    .workgroup_processor_mode: 1
  - .args:
      - .actual_access:  read_only
        .address_space:  global
        .offset:         0
        .size:           8
        .value_kind:     global_buffer
      - .actual_access:  read_only
        .address_space:  global
        .offset:         8
        .size:           8
        .value_kind:     global_buffer
      - .actual_access:  read_only
        .address_space:  global
        .offset:         16
        .size:           8
        .value_kind:     global_buffer
      - .offset:         24
        .size:           4
        .value_kind:     by_value
      - .offset:         28
        .size:           4
        .value_kind:     by_value
      - .actual_access:  read_only
        .address_space:  global
        .offset:         32
        .size:           8
        .value_kind:     global_buffer
      - .actual_access:  read_only
        .address_space:  global
        .offset:         40
        .size:           8
        .value_kind:     global_buffer
      - .actual_access:  read_only
        .address_space:  global
        .offset:         48
        .size:           8
        .value_kind:     global_buffer
      - .offset:         56
        .size:           4
        .value_kind:     by_value
      - .actual_access:  read_only
        .address_space:  global
        .offset:         64
        .size:           8
        .value_kind:     global_buffer
      - .offset:         72
        .size:           4
        .value_kind:     by_value
      - .offset:         76
        .size:           4
        .value_kind:     by_value
      - .offset:         80
        .size:           4
        .value_kind:     by_value
      - .actual_access:  read_only
        .address_space:  global
        .offset:         88
        .size:           8
        .value_kind:     global_buffer
      - .actual_access:  read_only
        .address_space:  global
        .offset:         96
        .size:           8
        .value_kind:     global_buffer
      - .actual_access:  read_only
        .address_space:  global
        .offset:         104
        .size:           8
        .value_kind:     global_buffer
      - .actual_access:  read_only
        .address_space:  global
        .offset:         112
        .size:           8
        .value_kind:     global_buffer
      - .offset:         120
        .size:           4
        .value_kind:     by_value
      - .address_space:  global
        .offset:         128
        .size:           8
        .value_kind:     global_buffer
      - .address_space:  global
        .offset:         136
        .size:           8
        .value_kind:     global_buffer
      - .offset:         144
        .size:           4
        .value_kind:     hidden_block_count_x
      - .offset:         148
        .size:           4
        .value_kind:     hidden_block_count_y
      - .offset:         152
        .size:           4
        .value_kind:     hidden_block_count_z
      - .offset:         156
        .size:           2
        .value_kind:     hidden_group_size_x
      - .offset:         158
        .size:           2
        .value_kind:     hidden_group_size_y
      - .offset:         160
        .size:           2
        .value_kind:     hidden_group_size_z
      - .offset:         162
        .size:           2
        .value_kind:     hidden_remainder_x
      - .offset:         164
        .size:           2
        .value_kind:     hidden_remainder_y
      - .offset:         166
        .size:           2
        .value_kind:     hidden_remainder_z
      - .offset:         184
        .size:           8
        .value_kind:     hidden_global_offset_x
      - .offset:         192
        .size:           8
        .value_kind:     hidden_global_offset_y
      - .offset:         200
        .size:           8
        .value_kind:     hidden_global_offset_z
      - .offset:         208
        .size:           2
        .value_kind:     hidden_grid_dims
      - .offset:         224
        .size:           8
        .value_kind:     hidden_hostcall_buffer
    .group_segment_fixed_size: 0
    .kernarg_segment_align: 8
    .kernarg_segment_size: 400
    .language:       OpenCL C
    .language_version:
      - 2
      - 0
    .max_flat_workgroup_size: 256
    .name:           _Z38paged_attention_ll4mi_QKV_mfma4_kernelIDF16_DF16_LN4vllm18Fp8KVCacheDataTypeE0EDF16_Li16ELi64ELi256ELb0ELi1EEvPKT_PKT0_S7_ifPKiS9_S9_iPKfiiiPfSC_PS2_PT2_iSB_SB_
    .private_segment_fixed_size: 64
    .sgpr_count:     36
    .sgpr_spill_count: 0
    .symbol:         _Z38paged_attention_ll4mi_QKV_mfma4_kernelIDF16_DF16_LN4vllm18Fp8KVCacheDataTypeE0EDF16_Li16ELi64ELi256ELb0ELi1EEvPKT_PKT0_S7_ifPKiS9_S9_iPKfiiiPfSC_PS2_PT2_iSB_SB_.kd
    .uniform_work_group_size: 1
    .uses_dynamic_stack: false
    .vgpr_count:     41
    .vgpr_spill_count: 0
    .wavefront_size: 32
    .workgroup_processor_mode: 1
  - .args:
      - .actual_access:  read_only
        .address_space:  global
        .offset:         0
        .size:           8
        .value_kind:     global_buffer
      - .actual_access:  read_only
        .address_space:  global
        .offset:         8
        .size:           8
        .value_kind:     global_buffer
      - .actual_access:  read_only
        .address_space:  global
        .offset:         16
        .size:           8
        .value_kind:     global_buffer
      - .offset:         24
        .size:           4
        .value_kind:     by_value
      - .offset:         28
        .size:           4
        .value_kind:     by_value
      - .actual_access:  read_only
        .address_space:  global
        .offset:         32
        .size:           8
        .value_kind:     global_buffer
      - .actual_access:  read_only
        .address_space:  global
        .offset:         40
        .size:           8
        .value_kind:     global_buffer
      - .actual_access:  read_only
        .address_space:  global
        .offset:         48
        .size:           8
        .value_kind:     global_buffer
      - .offset:         56
        .size:           4
        .value_kind:     by_value
      - .actual_access:  read_only
        .address_space:  global
        .offset:         64
        .size:           8
        .value_kind:     global_buffer
      - .offset:         72
        .size:           4
        .value_kind:     by_value
      - .offset:         76
        .size:           4
        .value_kind:     by_value
      - .offset:         80
        .size:           4
        .value_kind:     by_value
      - .actual_access:  read_only
        .address_space:  global
        .offset:         88
        .size:           8
        .value_kind:     global_buffer
      - .actual_access:  read_only
        .address_space:  global
        .offset:         96
        .size:           8
        .value_kind:     global_buffer
      - .actual_access:  read_only
        .address_space:  global
        .offset:         104
        .size:           8
        .value_kind:     global_buffer
      - .actual_access:  read_only
        .address_space:  global
        .offset:         112
        .size:           8
        .value_kind:     global_buffer
      - .offset:         120
        .size:           4
        .value_kind:     by_value
      - .address_space:  global
        .offset:         128
        .size:           8
        .value_kind:     global_buffer
      - .address_space:  global
        .offset:         136
        .size:           8
        .value_kind:     global_buffer
      - .offset:         144
        .size:           4
        .value_kind:     hidden_block_count_x
      - .offset:         148
        .size:           4
        .value_kind:     hidden_block_count_y
      - .offset:         152
        .size:           4
        .value_kind:     hidden_block_count_z
      - .offset:         156
        .size:           2
        .value_kind:     hidden_group_size_x
      - .offset:         158
        .size:           2
        .value_kind:     hidden_group_size_y
      - .offset:         160
        .size:           2
        .value_kind:     hidden_group_size_z
      - .offset:         162
        .size:           2
        .value_kind:     hidden_remainder_x
      - .offset:         164
        .size:           2
        .value_kind:     hidden_remainder_y
      - .offset:         166
        .size:           2
        .value_kind:     hidden_remainder_z
      - .offset:         184
        .size:           8
        .value_kind:     hidden_global_offset_x
      - .offset:         192
        .size:           8
        .value_kind:     hidden_global_offset_y
      - .offset:         200
        .size:           8
        .value_kind:     hidden_global_offset_z
      - .offset:         208
        .size:           2
        .value_kind:     hidden_grid_dims
      - .offset:         224
        .size:           8
        .value_kind:     hidden_hostcall_buffer
    .group_segment_fixed_size: 0
    .kernarg_segment_align: 8
    .kernarg_segment_size: 400
    .language:       OpenCL C
    .language_version:
      - 2
      - 0
    .max_flat_workgroup_size: 256
    .name:           _Z38paged_attention_ll4mi_QKV_mfma4_kernelIDF16_DF16_LN4vllm18Fp8KVCacheDataTypeE0EDF16_Li16ELi64ELi256ELb0ELi2EEvPKT_PKT0_S7_ifPKiS9_S9_iPKfiiiPfSC_PS2_PT2_iSB_SB_
    .private_segment_fixed_size: 64
    .sgpr_count:     36
    .sgpr_spill_count: 0
    .symbol:         _Z38paged_attention_ll4mi_QKV_mfma4_kernelIDF16_DF16_LN4vllm18Fp8KVCacheDataTypeE0EDF16_Li16ELi64ELi256ELb0ELi2EEvPKT_PKT0_S7_ifPKiS9_S9_iPKfiiiPfSC_PS2_PT2_iSB_SB_.kd
    .uniform_work_group_size: 1
    .uses_dynamic_stack: false
    .vgpr_count:     41
    .vgpr_spill_count: 0
    .wavefront_size: 32
    .workgroup_processor_mode: 1
  - .args:
      - .actual_access:  read_only
        .address_space:  global
        .offset:         0
        .size:           8
        .value_kind:     global_buffer
      - .actual_access:  read_only
        .address_space:  global
        .offset:         8
        .size:           8
        .value_kind:     global_buffer
      - .actual_access:  read_only
        .address_space:  global
        .offset:         16
        .size:           8
        .value_kind:     global_buffer
      - .offset:         24
        .size:           4
        .value_kind:     by_value
      - .offset:         28
        .size:           4
        .value_kind:     by_value
      - .actual_access:  read_only
        .address_space:  global
        .offset:         32
        .size:           8
        .value_kind:     global_buffer
      - .actual_access:  read_only
        .address_space:  global
        .offset:         40
        .size:           8
        .value_kind:     global_buffer
      - .actual_access:  read_only
        .address_space:  global
        .offset:         48
        .size:           8
        .value_kind:     global_buffer
      - .offset:         56
        .size:           4
        .value_kind:     by_value
      - .actual_access:  read_only
        .address_space:  global
        .offset:         64
        .size:           8
        .value_kind:     global_buffer
      - .offset:         72
        .size:           4
        .value_kind:     by_value
      - .offset:         76
        .size:           4
        .value_kind:     by_value
      - .offset:         80
        .size:           4
        .value_kind:     by_value
      - .actual_access:  read_only
        .address_space:  global
        .offset:         88
        .size:           8
        .value_kind:     global_buffer
      - .actual_access:  read_only
        .address_space:  global
        .offset:         96
        .size:           8
        .value_kind:     global_buffer
      - .actual_access:  read_only
        .address_space:  global
        .offset:         104
        .size:           8
        .value_kind:     global_buffer
      - .actual_access:  read_only
        .address_space:  global
        .offset:         112
        .size:           8
        .value_kind:     global_buffer
      - .offset:         120
        .size:           4
        .value_kind:     by_value
      - .address_space:  global
        .offset:         128
        .size:           8
        .value_kind:     global_buffer
      - .address_space:  global
        .offset:         136
        .size:           8
        .value_kind:     global_buffer
      - .offset:         144
        .size:           4
        .value_kind:     hidden_block_count_x
      - .offset:         148
        .size:           4
        .value_kind:     hidden_block_count_y
      - .offset:         152
        .size:           4
        .value_kind:     hidden_block_count_z
      - .offset:         156
        .size:           2
        .value_kind:     hidden_group_size_x
      - .offset:         158
        .size:           2
        .value_kind:     hidden_group_size_y
      - .offset:         160
        .size:           2
        .value_kind:     hidden_group_size_z
      - .offset:         162
        .size:           2
        .value_kind:     hidden_remainder_x
      - .offset:         164
        .size:           2
        .value_kind:     hidden_remainder_y
      - .offset:         166
        .size:           2
        .value_kind:     hidden_remainder_z
      - .offset:         184
        .size:           8
        .value_kind:     hidden_global_offset_x
      - .offset:         192
        .size:           8
        .value_kind:     hidden_global_offset_y
      - .offset:         200
        .size:           8
        .value_kind:     hidden_global_offset_z
      - .offset:         208
        .size:           2
        .value_kind:     hidden_grid_dims
      - .offset:         224
        .size:           8
        .value_kind:     hidden_hostcall_buffer
    .group_segment_fixed_size: 0
    .kernarg_segment_align: 8
    .kernarg_segment_size: 400
    .language:       OpenCL C
    .language_version:
      - 2
      - 0
    .max_flat_workgroup_size: 256
    .name:           _Z38paged_attention_ll4mi_QKV_mfma4_kernelIDF16_DF16_LN4vllm18Fp8KVCacheDataTypeE0EDF16_Li16ELi64ELi256ELb0ELi3EEvPKT_PKT0_S7_ifPKiS9_S9_iPKfiiiPfSC_PS2_PT2_iSB_SB_
    .private_segment_fixed_size: 64
    .sgpr_count:     36
    .sgpr_spill_count: 0
    .symbol:         _Z38paged_attention_ll4mi_QKV_mfma4_kernelIDF16_DF16_LN4vllm18Fp8KVCacheDataTypeE0EDF16_Li16ELi64ELi256ELb0ELi3EEvPKT_PKT0_S7_ifPKiS9_S9_iPKfiiiPfSC_PS2_PT2_iSB_SB_.kd
    .uniform_work_group_size: 1
    .uses_dynamic_stack: false
    .vgpr_count:     41
    .vgpr_spill_count: 0
    .wavefront_size: 32
    .workgroup_processor_mode: 1
  - .args:
      - .actual_access:  read_only
        .address_space:  global
        .offset:         0
        .size:           8
        .value_kind:     global_buffer
      - .actual_access:  read_only
        .address_space:  global
        .offset:         8
        .size:           8
        .value_kind:     global_buffer
      - .actual_access:  read_only
        .address_space:  global
        .offset:         16
        .size:           8
        .value_kind:     global_buffer
      - .offset:         24
        .size:           4
        .value_kind:     by_value
      - .offset:         28
        .size:           4
        .value_kind:     by_value
      - .actual_access:  read_only
        .address_space:  global
        .offset:         32
        .size:           8
        .value_kind:     global_buffer
      - .actual_access:  read_only
        .address_space:  global
        .offset:         40
        .size:           8
        .value_kind:     global_buffer
      - .actual_access:  read_only
        .address_space:  global
        .offset:         48
        .size:           8
        .value_kind:     global_buffer
      - .offset:         56
        .size:           4
        .value_kind:     by_value
      - .actual_access:  read_only
        .address_space:  global
        .offset:         64
        .size:           8
        .value_kind:     global_buffer
      - .offset:         72
        .size:           4
        .value_kind:     by_value
      - .offset:         76
        .size:           4
        .value_kind:     by_value
      - .offset:         80
        .size:           4
        .value_kind:     by_value
      - .actual_access:  read_only
        .address_space:  global
        .offset:         88
        .size:           8
        .value_kind:     global_buffer
      - .actual_access:  read_only
        .address_space:  global
        .offset:         96
        .size:           8
        .value_kind:     global_buffer
      - .actual_access:  read_only
        .address_space:  global
        .offset:         104
        .size:           8
        .value_kind:     global_buffer
      - .actual_access:  read_only
        .address_space:  global
        .offset:         112
        .size:           8
        .value_kind:     global_buffer
      - .offset:         120
        .size:           4
        .value_kind:     by_value
      - .address_space:  global
        .offset:         128
        .size:           8
        .value_kind:     global_buffer
      - .address_space:  global
        .offset:         136
        .size:           8
        .value_kind:     global_buffer
      - .offset:         144
        .size:           4
        .value_kind:     hidden_block_count_x
      - .offset:         148
        .size:           4
        .value_kind:     hidden_block_count_y
      - .offset:         152
        .size:           4
        .value_kind:     hidden_block_count_z
      - .offset:         156
        .size:           2
        .value_kind:     hidden_group_size_x
      - .offset:         158
        .size:           2
        .value_kind:     hidden_group_size_y
      - .offset:         160
        .size:           2
        .value_kind:     hidden_group_size_z
      - .offset:         162
        .size:           2
        .value_kind:     hidden_remainder_x
      - .offset:         164
        .size:           2
        .value_kind:     hidden_remainder_y
      - .offset:         166
        .size:           2
        .value_kind:     hidden_remainder_z
      - .offset:         184
        .size:           8
        .value_kind:     hidden_global_offset_x
      - .offset:         192
        .size:           8
        .value_kind:     hidden_global_offset_y
      - .offset:         200
        .size:           8
        .value_kind:     hidden_global_offset_z
      - .offset:         208
        .size:           2
        .value_kind:     hidden_grid_dims
      - .offset:         224
        .size:           8
        .value_kind:     hidden_hostcall_buffer
    .group_segment_fixed_size: 0
    .kernarg_segment_align: 8
    .kernarg_segment_size: 400
    .language:       OpenCL C
    .language_version:
      - 2
      - 0
    .max_flat_workgroup_size: 256
    .name:           _Z38paged_attention_ll4mi_QKV_mfma4_kernelIDF16_DF16_LN4vllm18Fp8KVCacheDataTypeE0EDF16_Li16ELi64ELi256ELb0ELi4EEvPKT_PKT0_S7_ifPKiS9_S9_iPKfiiiPfSC_PS2_PT2_iSB_SB_
    .private_segment_fixed_size: 64
    .sgpr_count:     36
    .sgpr_spill_count: 0
    .symbol:         _Z38paged_attention_ll4mi_QKV_mfma4_kernelIDF16_DF16_LN4vllm18Fp8KVCacheDataTypeE0EDF16_Li16ELi64ELi256ELb0ELi4EEvPKT_PKT0_S7_ifPKiS9_S9_iPKfiiiPfSC_PS2_PT2_iSB_SB_.kd
    .uniform_work_group_size: 1
    .uses_dynamic_stack: false
    .vgpr_count:     41
    .vgpr_spill_count: 0
    .wavefront_size: 32
    .workgroup_processor_mode: 1
  - .args:
      - .actual_access:  read_only
        .address_space:  global
        .offset:         0
        .size:           8
        .value_kind:     global_buffer
      - .actual_access:  read_only
        .address_space:  global
        .offset:         8
        .size:           8
        .value_kind:     global_buffer
      - .actual_access:  read_only
        .address_space:  global
        .offset:         16
        .size:           8
        .value_kind:     global_buffer
      - .offset:         24
        .size:           4
        .value_kind:     by_value
      - .offset:         28
        .size:           4
        .value_kind:     by_value
      - .actual_access:  read_only
        .address_space:  global
        .offset:         32
        .size:           8
        .value_kind:     global_buffer
      - .actual_access:  read_only
        .address_space:  global
        .offset:         40
        .size:           8
        .value_kind:     global_buffer
      - .actual_access:  read_only
        .address_space:  global
        .offset:         48
        .size:           8
        .value_kind:     global_buffer
      - .offset:         56
        .size:           4
        .value_kind:     by_value
      - .actual_access:  read_only
        .address_space:  global
        .offset:         64
        .size:           8
        .value_kind:     global_buffer
      - .offset:         72
        .size:           4
        .value_kind:     by_value
      - .offset:         76
        .size:           4
        .value_kind:     by_value
      - .offset:         80
        .size:           4
        .value_kind:     by_value
      - .actual_access:  write_only
        .address_space:  global
        .offset:         88
        .size:           8
        .value_kind:     global_buffer
      - .actual_access:  write_only
        .address_space:  global
        .offset:         96
        .size:           8
        .value_kind:     global_buffer
      - .actual_access:  write_only
        .address_space:  global
        .offset:         104
        .size:           8
        .value_kind:     global_buffer
      - .actual_access:  read_only
        .address_space:  global
        .offset:         112
        .size:           8
        .value_kind:     global_buffer
      - .offset:         120
        .size:           4
        .value_kind:     by_value
      - .address_space:  global
        .offset:         128
        .size:           8
        .value_kind:     global_buffer
      - .address_space:  global
        .offset:         136
        .size:           8
        .value_kind:     global_buffer
      - .offset:         144
        .size:           4
        .value_kind:     hidden_block_count_x
      - .offset:         148
        .size:           4
        .value_kind:     hidden_block_count_y
      - .offset:         152
        .size:           4
        .value_kind:     hidden_block_count_z
      - .offset:         156
        .size:           2
        .value_kind:     hidden_group_size_x
      - .offset:         158
        .size:           2
        .value_kind:     hidden_group_size_y
      - .offset:         160
        .size:           2
        .value_kind:     hidden_group_size_z
      - .offset:         162
        .size:           2
        .value_kind:     hidden_remainder_x
      - .offset:         164
        .size:           2
        .value_kind:     hidden_remainder_y
      - .offset:         166
        .size:           2
        .value_kind:     hidden_remainder_z
      - .offset:         184
        .size:           8
        .value_kind:     hidden_global_offset_x
      - .offset:         192
        .size:           8
        .value_kind:     hidden_global_offset_y
      - .offset:         200
        .size:           8
        .value_kind:     hidden_global_offset_z
      - .offset:         208
        .size:           2
        .value_kind:     hidden_grid_dims
    .group_segment_fixed_size: 17472
    .kernarg_segment_align: 8
    .kernarg_segment_size: 400
    .language:       OpenCL C
    .language_version:
      - 2
      - 0
    .max_flat_workgroup_size: 256
    .name:           _Z39paged_attention_ll4mi_QKV_mfma16_kernelIDF16_DF16_LN4vllm18Fp8KVCacheDataTypeE0EDF16_Li16ELi64ELi256ELb0ELi5EL8MFMAType0EEvPKT_PKT0_S8_ifPKiSA_SA_iPKfiiiPfSD_PS3_PT2_iSC_SC_
    .private_segment_fixed_size: 0
    .sgpr_count:     54
    .sgpr_spill_count: 0
    .symbol:         _Z39paged_attention_ll4mi_QKV_mfma16_kernelIDF16_DF16_LN4vllm18Fp8KVCacheDataTypeE0EDF16_Li16ELi64ELi256ELb0ELi5EL8MFMAType0EEvPKT_PKT0_S8_ifPKiSA_SA_iPKfiiiPfSD_PS3_PT2_iSC_SC_.kd
    .uniform_work_group_size: 1
    .uses_dynamic_stack: false
    .vgpr_count:     198
    .vgpr_spill_count: 0
    .wavefront_size: 32
    .workgroup_processor_mode: 1
  - .args:
      - .actual_access:  read_only
        .address_space:  global
        .offset:         0
        .size:           8
        .value_kind:     global_buffer
      - .actual_access:  read_only
        .address_space:  global
        .offset:         8
        .size:           8
        .value_kind:     global_buffer
      - .actual_access:  read_only
        .address_space:  global
        .offset:         16
        .size:           8
        .value_kind:     global_buffer
      - .offset:         24
        .size:           4
        .value_kind:     by_value
      - .offset:         28
        .size:           4
        .value_kind:     by_value
      - .actual_access:  read_only
        .address_space:  global
        .offset:         32
        .size:           8
        .value_kind:     global_buffer
      - .actual_access:  read_only
        .address_space:  global
        .offset:         40
        .size:           8
        .value_kind:     global_buffer
      - .actual_access:  read_only
        .address_space:  global
        .offset:         48
        .size:           8
        .value_kind:     global_buffer
      - .offset:         56
        .size:           4
        .value_kind:     by_value
      - .actual_access:  read_only
        .address_space:  global
        .offset:         64
        .size:           8
        .value_kind:     global_buffer
      - .offset:         72
        .size:           4
        .value_kind:     by_value
      - .offset:         76
        .size:           4
        .value_kind:     by_value
      - .offset:         80
        .size:           4
        .value_kind:     by_value
      - .actual_access:  write_only
        .address_space:  global
        .offset:         88
        .size:           8
        .value_kind:     global_buffer
      - .actual_access:  write_only
        .address_space:  global
        .offset:         96
        .size:           8
        .value_kind:     global_buffer
      - .actual_access:  write_only
        .address_space:  global
        .offset:         104
        .size:           8
        .value_kind:     global_buffer
      - .actual_access:  read_only
        .address_space:  global
        .offset:         112
        .size:           8
        .value_kind:     global_buffer
      - .offset:         120
        .size:           4
        .value_kind:     by_value
      - .address_space:  global
        .offset:         128
        .size:           8
        .value_kind:     global_buffer
      - .address_space:  global
        .offset:         136
        .size:           8
        .value_kind:     global_buffer
      - .offset:         144
        .size:           4
        .value_kind:     hidden_block_count_x
      - .offset:         148
        .size:           4
        .value_kind:     hidden_block_count_y
      - .offset:         152
        .size:           4
        .value_kind:     hidden_block_count_z
      - .offset:         156
        .size:           2
        .value_kind:     hidden_group_size_x
      - .offset:         158
        .size:           2
        .value_kind:     hidden_group_size_y
      - .offset:         160
        .size:           2
        .value_kind:     hidden_group_size_z
      - .offset:         162
        .size:           2
        .value_kind:     hidden_remainder_x
      - .offset:         164
        .size:           2
        .value_kind:     hidden_remainder_y
      - .offset:         166
        .size:           2
        .value_kind:     hidden_remainder_z
      - .offset:         184
        .size:           8
        .value_kind:     hidden_global_offset_x
      - .offset:         192
        .size:           8
        .value_kind:     hidden_global_offset_y
      - .offset:         200
        .size:           8
        .value_kind:     hidden_global_offset_z
      - .offset:         208
        .size:           2
        .value_kind:     hidden_grid_dims
    .group_segment_fixed_size: 17472
    .kernarg_segment_align: 8
    .kernarg_segment_size: 400
    .language:       OpenCL C
    .language_version:
      - 2
      - 0
    .max_flat_workgroup_size: 256
    .name:           _Z39paged_attention_ll4mi_QKV_mfma16_kernelIDF16_DF16_LN4vllm18Fp8KVCacheDataTypeE0EDF16_Li16ELi64ELi256ELb0ELi6EL8MFMAType0EEvPKT_PKT0_S8_ifPKiSA_SA_iPKfiiiPfSD_PS3_PT2_iSC_SC_
    .private_segment_fixed_size: 0
    .sgpr_count:     54
    .sgpr_spill_count: 0
    .symbol:         _Z39paged_attention_ll4mi_QKV_mfma16_kernelIDF16_DF16_LN4vllm18Fp8KVCacheDataTypeE0EDF16_Li16ELi64ELi256ELb0ELi6EL8MFMAType0EEvPKT_PKT0_S8_ifPKiSA_SA_iPKfiiiPfSD_PS3_PT2_iSC_SC_.kd
    .uniform_work_group_size: 1
    .uses_dynamic_stack: false
    .vgpr_count:     198
    .vgpr_spill_count: 0
    .wavefront_size: 32
    .workgroup_processor_mode: 1
  - .args:
      - .actual_access:  read_only
        .address_space:  global
        .offset:         0
        .size:           8
        .value_kind:     global_buffer
      - .actual_access:  read_only
        .address_space:  global
        .offset:         8
        .size:           8
        .value_kind:     global_buffer
      - .actual_access:  read_only
        .address_space:  global
        .offset:         16
        .size:           8
        .value_kind:     global_buffer
      - .offset:         24
        .size:           4
        .value_kind:     by_value
      - .offset:         28
        .size:           4
        .value_kind:     by_value
      - .actual_access:  read_only
        .address_space:  global
        .offset:         32
        .size:           8
        .value_kind:     global_buffer
      - .actual_access:  read_only
        .address_space:  global
        .offset:         40
        .size:           8
        .value_kind:     global_buffer
      - .actual_access:  read_only
        .address_space:  global
        .offset:         48
        .size:           8
        .value_kind:     global_buffer
      - .offset:         56
        .size:           4
        .value_kind:     by_value
      - .actual_access:  read_only
        .address_space:  global
        .offset:         64
        .size:           8
        .value_kind:     global_buffer
      - .offset:         72
        .size:           4
        .value_kind:     by_value
      - .offset:         76
        .size:           4
        .value_kind:     by_value
      - .offset:         80
        .size:           4
        .value_kind:     by_value
      - .actual_access:  write_only
        .address_space:  global
        .offset:         88
        .size:           8
        .value_kind:     global_buffer
      - .actual_access:  write_only
        .address_space:  global
        .offset:         96
        .size:           8
        .value_kind:     global_buffer
      - .actual_access:  write_only
        .address_space:  global
        .offset:         104
        .size:           8
        .value_kind:     global_buffer
      - .actual_access:  read_only
        .address_space:  global
        .offset:         112
        .size:           8
        .value_kind:     global_buffer
      - .offset:         120
        .size:           4
        .value_kind:     by_value
      - .address_space:  global
        .offset:         128
        .size:           8
        .value_kind:     global_buffer
      - .address_space:  global
        .offset:         136
        .size:           8
        .value_kind:     global_buffer
      - .offset:         144
        .size:           4
        .value_kind:     hidden_block_count_x
      - .offset:         148
        .size:           4
        .value_kind:     hidden_block_count_y
      - .offset:         152
        .size:           4
        .value_kind:     hidden_block_count_z
      - .offset:         156
        .size:           2
        .value_kind:     hidden_group_size_x
      - .offset:         158
        .size:           2
        .value_kind:     hidden_group_size_y
      - .offset:         160
        .size:           2
        .value_kind:     hidden_group_size_z
      - .offset:         162
        .size:           2
        .value_kind:     hidden_remainder_x
      - .offset:         164
        .size:           2
        .value_kind:     hidden_remainder_y
      - .offset:         166
        .size:           2
        .value_kind:     hidden_remainder_z
      - .offset:         184
        .size:           8
        .value_kind:     hidden_global_offset_x
      - .offset:         192
        .size:           8
        .value_kind:     hidden_global_offset_y
      - .offset:         200
        .size:           8
        .value_kind:     hidden_global_offset_z
      - .offset:         208
        .size:           2
        .value_kind:     hidden_grid_dims
    .group_segment_fixed_size: 17472
    .kernarg_segment_align: 8
    .kernarg_segment_size: 400
    .language:       OpenCL C
    .language_version:
      - 2
      - 0
    .max_flat_workgroup_size: 256
    .name:           _Z39paged_attention_ll4mi_QKV_mfma16_kernelIDF16_DF16_LN4vllm18Fp8KVCacheDataTypeE0EDF16_Li16ELi64ELi256ELb0ELi7EL8MFMAType0EEvPKT_PKT0_S8_ifPKiSA_SA_iPKfiiiPfSD_PS3_PT2_iSC_SC_
    .private_segment_fixed_size: 0
    .sgpr_count:     54
    .sgpr_spill_count: 0
    .symbol:         _Z39paged_attention_ll4mi_QKV_mfma16_kernelIDF16_DF16_LN4vllm18Fp8KVCacheDataTypeE0EDF16_Li16ELi64ELi256ELb0ELi7EL8MFMAType0EEvPKT_PKT0_S8_ifPKiSA_SA_iPKfiiiPfSD_PS3_PT2_iSC_SC_.kd
    .uniform_work_group_size: 1
    .uses_dynamic_stack: false
    .vgpr_count:     198
    .vgpr_spill_count: 0
    .wavefront_size: 32
    .workgroup_processor_mode: 1
  - .args:
      - .actual_access:  read_only
        .address_space:  global
        .offset:         0
        .size:           8
        .value_kind:     global_buffer
      - .actual_access:  read_only
        .address_space:  global
        .offset:         8
        .size:           8
        .value_kind:     global_buffer
      - .actual_access:  read_only
        .address_space:  global
        .offset:         16
        .size:           8
        .value_kind:     global_buffer
      - .offset:         24
        .size:           4
        .value_kind:     by_value
      - .offset:         28
        .size:           4
        .value_kind:     by_value
      - .actual_access:  read_only
        .address_space:  global
        .offset:         32
        .size:           8
        .value_kind:     global_buffer
      - .actual_access:  read_only
        .address_space:  global
        .offset:         40
        .size:           8
        .value_kind:     global_buffer
      - .actual_access:  read_only
        .address_space:  global
        .offset:         48
        .size:           8
        .value_kind:     global_buffer
      - .offset:         56
        .size:           4
        .value_kind:     by_value
      - .actual_access:  read_only
        .address_space:  global
        .offset:         64
        .size:           8
        .value_kind:     global_buffer
      - .offset:         72
        .size:           4
        .value_kind:     by_value
      - .offset:         76
        .size:           4
        .value_kind:     by_value
      - .offset:         80
        .size:           4
        .value_kind:     by_value
      - .actual_access:  write_only
        .address_space:  global
        .offset:         88
        .size:           8
        .value_kind:     global_buffer
      - .actual_access:  write_only
        .address_space:  global
        .offset:         96
        .size:           8
        .value_kind:     global_buffer
      - .actual_access:  write_only
        .address_space:  global
        .offset:         104
        .size:           8
        .value_kind:     global_buffer
      - .actual_access:  read_only
        .address_space:  global
        .offset:         112
        .size:           8
        .value_kind:     global_buffer
      - .offset:         120
        .size:           4
        .value_kind:     by_value
      - .address_space:  global
        .offset:         128
        .size:           8
        .value_kind:     global_buffer
      - .address_space:  global
        .offset:         136
        .size:           8
        .value_kind:     global_buffer
      - .offset:         144
        .size:           4
        .value_kind:     hidden_block_count_x
      - .offset:         148
        .size:           4
        .value_kind:     hidden_block_count_y
      - .offset:         152
        .size:           4
        .value_kind:     hidden_block_count_z
      - .offset:         156
        .size:           2
        .value_kind:     hidden_group_size_x
      - .offset:         158
        .size:           2
        .value_kind:     hidden_group_size_y
      - .offset:         160
        .size:           2
        .value_kind:     hidden_group_size_z
      - .offset:         162
        .size:           2
        .value_kind:     hidden_remainder_x
      - .offset:         164
        .size:           2
        .value_kind:     hidden_remainder_y
      - .offset:         166
        .size:           2
        .value_kind:     hidden_remainder_z
      - .offset:         184
        .size:           8
        .value_kind:     hidden_global_offset_x
      - .offset:         192
        .size:           8
        .value_kind:     hidden_global_offset_y
      - .offset:         200
        .size:           8
        .value_kind:     hidden_global_offset_z
      - .offset:         208
        .size:           2
        .value_kind:     hidden_grid_dims
    .group_segment_fixed_size: 17472
    .kernarg_segment_align: 8
    .kernarg_segment_size: 400
    .language:       OpenCL C
    .language_version:
      - 2
      - 0
    .max_flat_workgroup_size: 256
    .name:           _Z39paged_attention_ll4mi_QKV_mfma16_kernelIDF16_DF16_LN4vllm18Fp8KVCacheDataTypeE0EDF16_Li16ELi64ELi256ELb0ELi8EL8MFMAType0EEvPKT_PKT0_S8_ifPKiSA_SA_iPKfiiiPfSD_PS3_PT2_iSC_SC_
    .private_segment_fixed_size: 0
    .sgpr_count:     54
    .sgpr_spill_count: 0
    .symbol:         _Z39paged_attention_ll4mi_QKV_mfma16_kernelIDF16_DF16_LN4vllm18Fp8KVCacheDataTypeE0EDF16_Li16ELi64ELi256ELb0ELi8EL8MFMAType0EEvPKT_PKT0_S8_ifPKiSA_SA_iPKfiiiPfSD_PS3_PT2_iSC_SC_.kd
    .uniform_work_group_size: 1
    .uses_dynamic_stack: false
    .vgpr_count:     198
    .vgpr_spill_count: 0
    .wavefront_size: 32
    .workgroup_processor_mode: 1
  - .args:
      - .actual_access:  read_only
        .address_space:  global
        .offset:         0
        .size:           8
        .value_kind:     global_buffer
      - .actual_access:  read_only
        .address_space:  global
        .offset:         8
        .size:           8
        .value_kind:     global_buffer
      - .actual_access:  read_only
        .address_space:  global
        .offset:         16
        .size:           8
        .value_kind:     global_buffer
      - .offset:         24
        .size:           4
        .value_kind:     by_value
      - .offset:         28
        .size:           4
        .value_kind:     by_value
      - .actual_access:  read_only
        .address_space:  global
        .offset:         32
        .size:           8
        .value_kind:     global_buffer
      - .actual_access:  read_only
        .address_space:  global
        .offset:         40
        .size:           8
        .value_kind:     global_buffer
      - .actual_access:  read_only
        .address_space:  global
        .offset:         48
        .size:           8
        .value_kind:     global_buffer
      - .offset:         56
        .size:           4
        .value_kind:     by_value
      - .actual_access:  read_only
        .address_space:  global
        .offset:         64
        .size:           8
        .value_kind:     global_buffer
      - .offset:         72
        .size:           4
        .value_kind:     by_value
      - .offset:         76
        .size:           4
        .value_kind:     by_value
      - .offset:         80
        .size:           4
        .value_kind:     by_value
      - .actual_access:  write_only
        .address_space:  global
        .offset:         88
        .size:           8
        .value_kind:     global_buffer
      - .actual_access:  write_only
        .address_space:  global
        .offset:         96
        .size:           8
        .value_kind:     global_buffer
      - .actual_access:  write_only
        .address_space:  global
        .offset:         104
        .size:           8
        .value_kind:     global_buffer
      - .actual_access:  read_only
        .address_space:  global
        .offset:         112
        .size:           8
        .value_kind:     global_buffer
      - .offset:         120
        .size:           4
        .value_kind:     by_value
      - .address_space:  global
        .offset:         128
        .size:           8
        .value_kind:     global_buffer
      - .address_space:  global
        .offset:         136
        .size:           8
        .value_kind:     global_buffer
      - .offset:         144
        .size:           4
        .value_kind:     hidden_block_count_x
      - .offset:         148
        .size:           4
        .value_kind:     hidden_block_count_y
      - .offset:         152
        .size:           4
        .value_kind:     hidden_block_count_z
      - .offset:         156
        .size:           2
        .value_kind:     hidden_group_size_x
      - .offset:         158
        .size:           2
        .value_kind:     hidden_group_size_y
      - .offset:         160
        .size:           2
        .value_kind:     hidden_group_size_z
      - .offset:         162
        .size:           2
        .value_kind:     hidden_remainder_x
      - .offset:         164
        .size:           2
        .value_kind:     hidden_remainder_y
      - .offset:         166
        .size:           2
        .value_kind:     hidden_remainder_z
      - .offset:         184
        .size:           8
        .value_kind:     hidden_global_offset_x
      - .offset:         192
        .size:           8
        .value_kind:     hidden_global_offset_y
      - .offset:         200
        .size:           8
        .value_kind:     hidden_global_offset_z
      - .offset:         208
        .size:           2
        .value_kind:     hidden_grid_dims
    .group_segment_fixed_size: 17472
    .kernarg_segment_align: 8
    .kernarg_segment_size: 400
    .language:       OpenCL C
    .language_version:
      - 2
      - 0
    .max_flat_workgroup_size: 256
    .name:           _Z39paged_attention_ll4mi_QKV_mfma16_kernelIDF16_DF16_LN4vllm18Fp8KVCacheDataTypeE0EDF16_Li16ELi64ELi256ELb0ELi9EL8MFMAType0EEvPKT_PKT0_S8_ifPKiSA_SA_iPKfiiiPfSD_PS3_PT2_iSC_SC_
    .private_segment_fixed_size: 0
    .sgpr_count:     54
    .sgpr_spill_count: 0
    .symbol:         _Z39paged_attention_ll4mi_QKV_mfma16_kernelIDF16_DF16_LN4vllm18Fp8KVCacheDataTypeE0EDF16_Li16ELi64ELi256ELb0ELi9EL8MFMAType0EEvPKT_PKT0_S8_ifPKiSA_SA_iPKfiiiPfSD_PS3_PT2_iSC_SC_.kd
    .uniform_work_group_size: 1
    .uses_dynamic_stack: false
    .vgpr_count:     198
    .vgpr_spill_count: 0
    .wavefront_size: 32
    .workgroup_processor_mode: 1
  - .args:
      - .actual_access:  read_only
        .address_space:  global
        .offset:         0
        .size:           8
        .value_kind:     global_buffer
      - .actual_access:  read_only
        .address_space:  global
        .offset:         8
        .size:           8
        .value_kind:     global_buffer
      - .actual_access:  read_only
        .address_space:  global
        .offset:         16
        .size:           8
        .value_kind:     global_buffer
      - .offset:         24
        .size:           4
        .value_kind:     by_value
      - .offset:         28
        .size:           4
        .value_kind:     by_value
      - .actual_access:  read_only
        .address_space:  global
        .offset:         32
        .size:           8
        .value_kind:     global_buffer
      - .actual_access:  read_only
        .address_space:  global
        .offset:         40
        .size:           8
        .value_kind:     global_buffer
      - .actual_access:  read_only
        .address_space:  global
        .offset:         48
        .size:           8
        .value_kind:     global_buffer
      - .offset:         56
        .size:           4
        .value_kind:     by_value
      - .actual_access:  read_only
        .address_space:  global
        .offset:         64
        .size:           8
        .value_kind:     global_buffer
      - .offset:         72
        .size:           4
        .value_kind:     by_value
      - .offset:         76
        .size:           4
        .value_kind:     by_value
      - .offset:         80
        .size:           4
        .value_kind:     by_value
      - .actual_access:  write_only
        .address_space:  global
        .offset:         88
        .size:           8
        .value_kind:     global_buffer
      - .actual_access:  write_only
        .address_space:  global
        .offset:         96
        .size:           8
        .value_kind:     global_buffer
      - .actual_access:  write_only
        .address_space:  global
        .offset:         104
        .size:           8
        .value_kind:     global_buffer
      - .actual_access:  read_only
        .address_space:  global
        .offset:         112
        .size:           8
        .value_kind:     global_buffer
      - .offset:         120
        .size:           4
        .value_kind:     by_value
      - .address_space:  global
        .offset:         128
        .size:           8
        .value_kind:     global_buffer
      - .address_space:  global
        .offset:         136
        .size:           8
        .value_kind:     global_buffer
      - .offset:         144
        .size:           4
        .value_kind:     hidden_block_count_x
      - .offset:         148
        .size:           4
        .value_kind:     hidden_block_count_y
      - .offset:         152
        .size:           4
        .value_kind:     hidden_block_count_z
      - .offset:         156
        .size:           2
        .value_kind:     hidden_group_size_x
      - .offset:         158
        .size:           2
        .value_kind:     hidden_group_size_y
      - .offset:         160
        .size:           2
        .value_kind:     hidden_group_size_z
      - .offset:         162
        .size:           2
        .value_kind:     hidden_remainder_x
      - .offset:         164
        .size:           2
        .value_kind:     hidden_remainder_y
      - .offset:         166
        .size:           2
        .value_kind:     hidden_remainder_z
      - .offset:         184
        .size:           8
        .value_kind:     hidden_global_offset_x
      - .offset:         192
        .size:           8
        .value_kind:     hidden_global_offset_y
      - .offset:         200
        .size:           8
        .value_kind:     hidden_global_offset_z
      - .offset:         208
        .size:           2
        .value_kind:     hidden_grid_dims
    .group_segment_fixed_size: 17472
    .kernarg_segment_align: 8
    .kernarg_segment_size: 400
    .language:       OpenCL C
    .language_version:
      - 2
      - 0
    .max_flat_workgroup_size: 256
    .name:           _Z39paged_attention_ll4mi_QKV_mfma16_kernelIDF16_DF16_LN4vllm18Fp8KVCacheDataTypeE0EDF16_Li16ELi64ELi256ELb0ELi10EL8MFMAType0EEvPKT_PKT0_S8_ifPKiSA_SA_iPKfiiiPfSD_PS3_PT2_iSC_SC_
    .private_segment_fixed_size: 0
    .sgpr_count:     54
    .sgpr_spill_count: 0
    .symbol:         _Z39paged_attention_ll4mi_QKV_mfma16_kernelIDF16_DF16_LN4vllm18Fp8KVCacheDataTypeE0EDF16_Li16ELi64ELi256ELb0ELi10EL8MFMAType0EEvPKT_PKT0_S8_ifPKiSA_SA_iPKfiiiPfSD_PS3_PT2_iSC_SC_.kd
    .uniform_work_group_size: 1
    .uses_dynamic_stack: false
    .vgpr_count:     198
    .vgpr_spill_count: 0
    .wavefront_size: 32
    .workgroup_processor_mode: 1
  - .args:
      - .actual_access:  read_only
        .address_space:  global
        .offset:         0
        .size:           8
        .value_kind:     global_buffer
      - .actual_access:  read_only
        .address_space:  global
        .offset:         8
        .size:           8
        .value_kind:     global_buffer
      - .actual_access:  read_only
        .address_space:  global
        .offset:         16
        .size:           8
        .value_kind:     global_buffer
      - .offset:         24
        .size:           4
        .value_kind:     by_value
      - .offset:         28
        .size:           4
        .value_kind:     by_value
      - .actual_access:  read_only
        .address_space:  global
        .offset:         32
        .size:           8
        .value_kind:     global_buffer
      - .actual_access:  read_only
        .address_space:  global
        .offset:         40
        .size:           8
        .value_kind:     global_buffer
      - .actual_access:  read_only
        .address_space:  global
        .offset:         48
        .size:           8
        .value_kind:     global_buffer
      - .offset:         56
        .size:           4
        .value_kind:     by_value
      - .actual_access:  read_only
        .address_space:  global
        .offset:         64
        .size:           8
        .value_kind:     global_buffer
      - .offset:         72
        .size:           4
        .value_kind:     by_value
      - .offset:         76
        .size:           4
        .value_kind:     by_value
      - .offset:         80
        .size:           4
        .value_kind:     by_value
      - .actual_access:  write_only
        .address_space:  global
        .offset:         88
        .size:           8
        .value_kind:     global_buffer
      - .actual_access:  write_only
        .address_space:  global
        .offset:         96
        .size:           8
        .value_kind:     global_buffer
      - .actual_access:  write_only
        .address_space:  global
        .offset:         104
        .size:           8
        .value_kind:     global_buffer
      - .actual_access:  read_only
        .address_space:  global
        .offset:         112
        .size:           8
        .value_kind:     global_buffer
      - .offset:         120
        .size:           4
        .value_kind:     by_value
      - .address_space:  global
        .offset:         128
        .size:           8
        .value_kind:     global_buffer
      - .address_space:  global
        .offset:         136
        .size:           8
        .value_kind:     global_buffer
      - .offset:         144
        .size:           4
        .value_kind:     hidden_block_count_x
      - .offset:         148
        .size:           4
        .value_kind:     hidden_block_count_y
      - .offset:         152
        .size:           4
        .value_kind:     hidden_block_count_z
      - .offset:         156
        .size:           2
        .value_kind:     hidden_group_size_x
      - .offset:         158
        .size:           2
        .value_kind:     hidden_group_size_y
      - .offset:         160
        .size:           2
        .value_kind:     hidden_group_size_z
      - .offset:         162
        .size:           2
        .value_kind:     hidden_remainder_x
      - .offset:         164
        .size:           2
        .value_kind:     hidden_remainder_y
      - .offset:         166
        .size:           2
        .value_kind:     hidden_remainder_z
      - .offset:         184
        .size:           8
        .value_kind:     hidden_global_offset_x
      - .offset:         192
        .size:           8
        .value_kind:     hidden_global_offset_y
      - .offset:         200
        .size:           8
        .value_kind:     hidden_global_offset_z
      - .offset:         208
        .size:           2
        .value_kind:     hidden_grid_dims
    .group_segment_fixed_size: 17472
    .kernarg_segment_align: 8
    .kernarg_segment_size: 400
    .language:       OpenCL C
    .language_version:
      - 2
      - 0
    .max_flat_workgroup_size: 256
    .name:           _Z39paged_attention_ll4mi_QKV_mfma16_kernelIDF16_DF16_LN4vllm18Fp8KVCacheDataTypeE0EDF16_Li16ELi64ELi256ELb0ELi11EL8MFMAType0EEvPKT_PKT0_S8_ifPKiSA_SA_iPKfiiiPfSD_PS3_PT2_iSC_SC_
    .private_segment_fixed_size: 0
    .sgpr_count:     54
    .sgpr_spill_count: 0
    .symbol:         _Z39paged_attention_ll4mi_QKV_mfma16_kernelIDF16_DF16_LN4vllm18Fp8KVCacheDataTypeE0EDF16_Li16ELi64ELi256ELb0ELi11EL8MFMAType0EEvPKT_PKT0_S8_ifPKiSA_SA_iPKfiiiPfSD_PS3_PT2_iSC_SC_.kd
    .uniform_work_group_size: 1
    .uses_dynamic_stack: false
    .vgpr_count:     198
    .vgpr_spill_count: 0
    .wavefront_size: 32
    .workgroup_processor_mode: 1
  - .args:
      - .actual_access:  read_only
        .address_space:  global
        .offset:         0
        .size:           8
        .value_kind:     global_buffer
      - .actual_access:  read_only
        .address_space:  global
        .offset:         8
        .size:           8
        .value_kind:     global_buffer
      - .actual_access:  read_only
        .address_space:  global
        .offset:         16
        .size:           8
        .value_kind:     global_buffer
      - .offset:         24
        .size:           4
        .value_kind:     by_value
      - .offset:         28
        .size:           4
        .value_kind:     by_value
      - .actual_access:  read_only
        .address_space:  global
        .offset:         32
        .size:           8
        .value_kind:     global_buffer
      - .actual_access:  read_only
        .address_space:  global
        .offset:         40
        .size:           8
        .value_kind:     global_buffer
      - .actual_access:  read_only
        .address_space:  global
        .offset:         48
        .size:           8
        .value_kind:     global_buffer
      - .offset:         56
        .size:           4
        .value_kind:     by_value
      - .actual_access:  read_only
        .address_space:  global
        .offset:         64
        .size:           8
        .value_kind:     global_buffer
      - .offset:         72
        .size:           4
        .value_kind:     by_value
      - .offset:         76
        .size:           4
        .value_kind:     by_value
      - .offset:         80
        .size:           4
        .value_kind:     by_value
      - .actual_access:  write_only
        .address_space:  global
        .offset:         88
        .size:           8
        .value_kind:     global_buffer
      - .actual_access:  write_only
        .address_space:  global
        .offset:         96
        .size:           8
        .value_kind:     global_buffer
      - .actual_access:  write_only
        .address_space:  global
        .offset:         104
        .size:           8
        .value_kind:     global_buffer
      - .actual_access:  read_only
        .address_space:  global
        .offset:         112
        .size:           8
        .value_kind:     global_buffer
      - .offset:         120
        .size:           4
        .value_kind:     by_value
      - .address_space:  global
        .offset:         128
        .size:           8
        .value_kind:     global_buffer
      - .address_space:  global
        .offset:         136
        .size:           8
        .value_kind:     global_buffer
      - .offset:         144
        .size:           4
        .value_kind:     hidden_block_count_x
      - .offset:         148
        .size:           4
        .value_kind:     hidden_block_count_y
      - .offset:         152
        .size:           4
        .value_kind:     hidden_block_count_z
      - .offset:         156
        .size:           2
        .value_kind:     hidden_group_size_x
      - .offset:         158
        .size:           2
        .value_kind:     hidden_group_size_y
      - .offset:         160
        .size:           2
        .value_kind:     hidden_group_size_z
      - .offset:         162
        .size:           2
        .value_kind:     hidden_remainder_x
      - .offset:         164
        .size:           2
        .value_kind:     hidden_remainder_y
      - .offset:         166
        .size:           2
        .value_kind:     hidden_remainder_z
      - .offset:         184
        .size:           8
        .value_kind:     hidden_global_offset_x
      - .offset:         192
        .size:           8
        .value_kind:     hidden_global_offset_y
      - .offset:         200
        .size:           8
        .value_kind:     hidden_global_offset_z
      - .offset:         208
        .size:           2
        .value_kind:     hidden_grid_dims
    .group_segment_fixed_size: 17472
    .kernarg_segment_align: 8
    .kernarg_segment_size: 400
    .language:       OpenCL C
    .language_version:
      - 2
      - 0
    .max_flat_workgroup_size: 256
    .name:           _Z39paged_attention_ll4mi_QKV_mfma16_kernelIDF16_DF16_LN4vllm18Fp8KVCacheDataTypeE0EDF16_Li16ELi64ELi256ELb0ELi12EL8MFMAType0EEvPKT_PKT0_S8_ifPKiSA_SA_iPKfiiiPfSD_PS3_PT2_iSC_SC_
    .private_segment_fixed_size: 0
    .sgpr_count:     54
    .sgpr_spill_count: 0
    .symbol:         _Z39paged_attention_ll4mi_QKV_mfma16_kernelIDF16_DF16_LN4vllm18Fp8KVCacheDataTypeE0EDF16_Li16ELi64ELi256ELb0ELi12EL8MFMAType0EEvPKT_PKT0_S8_ifPKiSA_SA_iPKfiiiPfSD_PS3_PT2_iSC_SC_.kd
    .uniform_work_group_size: 1
    .uses_dynamic_stack: false
    .vgpr_count:     198
    .vgpr_spill_count: 0
    .wavefront_size: 32
    .workgroup_processor_mode: 1
  - .args:
      - .actual_access:  read_only
        .address_space:  global
        .offset:         0
        .size:           8
        .value_kind:     global_buffer
      - .actual_access:  read_only
        .address_space:  global
        .offset:         8
        .size:           8
        .value_kind:     global_buffer
      - .actual_access:  read_only
        .address_space:  global
        .offset:         16
        .size:           8
        .value_kind:     global_buffer
      - .offset:         24
        .size:           4
        .value_kind:     by_value
      - .offset:         28
        .size:           4
        .value_kind:     by_value
      - .actual_access:  read_only
        .address_space:  global
        .offset:         32
        .size:           8
        .value_kind:     global_buffer
      - .actual_access:  read_only
        .address_space:  global
        .offset:         40
        .size:           8
        .value_kind:     global_buffer
      - .actual_access:  read_only
        .address_space:  global
        .offset:         48
        .size:           8
        .value_kind:     global_buffer
      - .offset:         56
        .size:           4
        .value_kind:     by_value
      - .actual_access:  read_only
        .address_space:  global
        .offset:         64
        .size:           8
        .value_kind:     global_buffer
      - .offset:         72
        .size:           4
        .value_kind:     by_value
      - .offset:         76
        .size:           4
        .value_kind:     by_value
      - .offset:         80
        .size:           4
        .value_kind:     by_value
      - .actual_access:  write_only
        .address_space:  global
        .offset:         88
        .size:           8
        .value_kind:     global_buffer
      - .actual_access:  write_only
        .address_space:  global
        .offset:         96
        .size:           8
        .value_kind:     global_buffer
      - .actual_access:  write_only
        .address_space:  global
        .offset:         104
        .size:           8
        .value_kind:     global_buffer
      - .actual_access:  read_only
        .address_space:  global
        .offset:         112
        .size:           8
        .value_kind:     global_buffer
      - .offset:         120
        .size:           4
        .value_kind:     by_value
      - .address_space:  global
        .offset:         128
        .size:           8
        .value_kind:     global_buffer
      - .address_space:  global
        .offset:         136
        .size:           8
        .value_kind:     global_buffer
      - .offset:         144
        .size:           4
        .value_kind:     hidden_block_count_x
      - .offset:         148
        .size:           4
        .value_kind:     hidden_block_count_y
      - .offset:         152
        .size:           4
        .value_kind:     hidden_block_count_z
      - .offset:         156
        .size:           2
        .value_kind:     hidden_group_size_x
      - .offset:         158
        .size:           2
        .value_kind:     hidden_group_size_y
      - .offset:         160
        .size:           2
        .value_kind:     hidden_group_size_z
      - .offset:         162
        .size:           2
        .value_kind:     hidden_remainder_x
      - .offset:         164
        .size:           2
        .value_kind:     hidden_remainder_y
      - .offset:         166
        .size:           2
        .value_kind:     hidden_remainder_z
      - .offset:         184
        .size:           8
        .value_kind:     hidden_global_offset_x
      - .offset:         192
        .size:           8
        .value_kind:     hidden_global_offset_y
      - .offset:         200
        .size:           8
        .value_kind:     hidden_global_offset_z
      - .offset:         208
        .size:           2
        .value_kind:     hidden_grid_dims
    .group_segment_fixed_size: 17472
    .kernarg_segment_align: 8
    .kernarg_segment_size: 400
    .language:       OpenCL C
    .language_version:
      - 2
      - 0
    .max_flat_workgroup_size: 256
    .name:           _Z39paged_attention_ll4mi_QKV_mfma16_kernelIDF16_DF16_LN4vllm18Fp8KVCacheDataTypeE0EDF16_Li16ELi64ELi256ELb0ELi13EL8MFMAType0EEvPKT_PKT0_S8_ifPKiSA_SA_iPKfiiiPfSD_PS3_PT2_iSC_SC_
    .private_segment_fixed_size: 0
    .sgpr_count:     54
    .sgpr_spill_count: 0
    .symbol:         _Z39paged_attention_ll4mi_QKV_mfma16_kernelIDF16_DF16_LN4vllm18Fp8KVCacheDataTypeE0EDF16_Li16ELi64ELi256ELb0ELi13EL8MFMAType0EEvPKT_PKT0_S8_ifPKiSA_SA_iPKfiiiPfSD_PS3_PT2_iSC_SC_.kd
    .uniform_work_group_size: 1
    .uses_dynamic_stack: false
    .vgpr_count:     198
    .vgpr_spill_count: 0
    .wavefront_size: 32
    .workgroup_processor_mode: 1
  - .args:
      - .actual_access:  read_only
        .address_space:  global
        .offset:         0
        .size:           8
        .value_kind:     global_buffer
      - .actual_access:  read_only
        .address_space:  global
        .offset:         8
        .size:           8
        .value_kind:     global_buffer
      - .actual_access:  read_only
        .address_space:  global
        .offset:         16
        .size:           8
        .value_kind:     global_buffer
      - .offset:         24
        .size:           4
        .value_kind:     by_value
      - .offset:         28
        .size:           4
        .value_kind:     by_value
      - .actual_access:  read_only
        .address_space:  global
        .offset:         32
        .size:           8
        .value_kind:     global_buffer
      - .actual_access:  read_only
        .address_space:  global
        .offset:         40
        .size:           8
        .value_kind:     global_buffer
      - .actual_access:  read_only
        .address_space:  global
        .offset:         48
        .size:           8
        .value_kind:     global_buffer
      - .offset:         56
        .size:           4
        .value_kind:     by_value
      - .actual_access:  read_only
        .address_space:  global
        .offset:         64
        .size:           8
        .value_kind:     global_buffer
      - .offset:         72
        .size:           4
        .value_kind:     by_value
      - .offset:         76
        .size:           4
        .value_kind:     by_value
      - .offset:         80
        .size:           4
        .value_kind:     by_value
      - .actual_access:  write_only
        .address_space:  global
        .offset:         88
        .size:           8
        .value_kind:     global_buffer
      - .actual_access:  write_only
        .address_space:  global
        .offset:         96
        .size:           8
        .value_kind:     global_buffer
      - .actual_access:  write_only
        .address_space:  global
        .offset:         104
        .size:           8
        .value_kind:     global_buffer
      - .actual_access:  read_only
        .address_space:  global
        .offset:         112
        .size:           8
        .value_kind:     global_buffer
      - .offset:         120
        .size:           4
        .value_kind:     by_value
      - .address_space:  global
        .offset:         128
        .size:           8
        .value_kind:     global_buffer
      - .address_space:  global
        .offset:         136
        .size:           8
        .value_kind:     global_buffer
      - .offset:         144
        .size:           4
        .value_kind:     hidden_block_count_x
      - .offset:         148
        .size:           4
        .value_kind:     hidden_block_count_y
      - .offset:         152
        .size:           4
        .value_kind:     hidden_block_count_z
      - .offset:         156
        .size:           2
        .value_kind:     hidden_group_size_x
      - .offset:         158
        .size:           2
        .value_kind:     hidden_group_size_y
      - .offset:         160
        .size:           2
        .value_kind:     hidden_group_size_z
      - .offset:         162
        .size:           2
        .value_kind:     hidden_remainder_x
      - .offset:         164
        .size:           2
        .value_kind:     hidden_remainder_y
      - .offset:         166
        .size:           2
        .value_kind:     hidden_remainder_z
      - .offset:         184
        .size:           8
        .value_kind:     hidden_global_offset_x
      - .offset:         192
        .size:           8
        .value_kind:     hidden_global_offset_y
      - .offset:         200
        .size:           8
        .value_kind:     hidden_global_offset_z
      - .offset:         208
        .size:           2
        .value_kind:     hidden_grid_dims
    .group_segment_fixed_size: 17472
    .kernarg_segment_align: 8
    .kernarg_segment_size: 400
    .language:       OpenCL C
    .language_version:
      - 2
      - 0
    .max_flat_workgroup_size: 256
    .name:           _Z39paged_attention_ll4mi_QKV_mfma16_kernelIDF16_DF16_LN4vllm18Fp8KVCacheDataTypeE0EDF16_Li16ELi64ELi256ELb0ELi14EL8MFMAType0EEvPKT_PKT0_S8_ifPKiSA_SA_iPKfiiiPfSD_PS3_PT2_iSC_SC_
    .private_segment_fixed_size: 0
    .sgpr_count:     54
    .sgpr_spill_count: 0
    .symbol:         _Z39paged_attention_ll4mi_QKV_mfma16_kernelIDF16_DF16_LN4vllm18Fp8KVCacheDataTypeE0EDF16_Li16ELi64ELi256ELb0ELi14EL8MFMAType0EEvPKT_PKT0_S8_ifPKiSA_SA_iPKfiiiPfSD_PS3_PT2_iSC_SC_.kd
    .uniform_work_group_size: 1
    .uses_dynamic_stack: false
    .vgpr_count:     198
    .vgpr_spill_count: 0
    .wavefront_size: 32
    .workgroup_processor_mode: 1
  - .args:
      - .actual_access:  read_only
        .address_space:  global
        .offset:         0
        .size:           8
        .value_kind:     global_buffer
      - .actual_access:  read_only
        .address_space:  global
        .offset:         8
        .size:           8
        .value_kind:     global_buffer
      - .actual_access:  read_only
        .address_space:  global
        .offset:         16
        .size:           8
        .value_kind:     global_buffer
      - .offset:         24
        .size:           4
        .value_kind:     by_value
      - .offset:         28
        .size:           4
        .value_kind:     by_value
      - .actual_access:  read_only
        .address_space:  global
        .offset:         32
        .size:           8
        .value_kind:     global_buffer
      - .actual_access:  read_only
        .address_space:  global
        .offset:         40
        .size:           8
        .value_kind:     global_buffer
      - .actual_access:  read_only
        .address_space:  global
        .offset:         48
        .size:           8
        .value_kind:     global_buffer
      - .offset:         56
        .size:           4
        .value_kind:     by_value
      - .actual_access:  read_only
        .address_space:  global
        .offset:         64
        .size:           8
        .value_kind:     global_buffer
      - .offset:         72
        .size:           4
        .value_kind:     by_value
      - .offset:         76
        .size:           4
        .value_kind:     by_value
      - .offset:         80
        .size:           4
        .value_kind:     by_value
      - .actual_access:  write_only
        .address_space:  global
        .offset:         88
        .size:           8
        .value_kind:     global_buffer
      - .actual_access:  write_only
        .address_space:  global
        .offset:         96
        .size:           8
        .value_kind:     global_buffer
      - .actual_access:  write_only
        .address_space:  global
        .offset:         104
        .size:           8
        .value_kind:     global_buffer
      - .actual_access:  read_only
        .address_space:  global
        .offset:         112
        .size:           8
        .value_kind:     global_buffer
      - .offset:         120
        .size:           4
        .value_kind:     by_value
      - .address_space:  global
        .offset:         128
        .size:           8
        .value_kind:     global_buffer
      - .address_space:  global
        .offset:         136
        .size:           8
        .value_kind:     global_buffer
      - .offset:         144
        .size:           4
        .value_kind:     hidden_block_count_x
      - .offset:         148
        .size:           4
        .value_kind:     hidden_block_count_y
      - .offset:         152
        .size:           4
        .value_kind:     hidden_block_count_z
      - .offset:         156
        .size:           2
        .value_kind:     hidden_group_size_x
      - .offset:         158
        .size:           2
        .value_kind:     hidden_group_size_y
      - .offset:         160
        .size:           2
        .value_kind:     hidden_group_size_z
      - .offset:         162
        .size:           2
        .value_kind:     hidden_remainder_x
      - .offset:         164
        .size:           2
        .value_kind:     hidden_remainder_y
      - .offset:         166
        .size:           2
        .value_kind:     hidden_remainder_z
      - .offset:         184
        .size:           8
        .value_kind:     hidden_global_offset_x
      - .offset:         192
        .size:           8
        .value_kind:     hidden_global_offset_y
      - .offset:         200
        .size:           8
        .value_kind:     hidden_global_offset_z
      - .offset:         208
        .size:           2
        .value_kind:     hidden_grid_dims
    .group_segment_fixed_size: 17472
    .kernarg_segment_align: 8
    .kernarg_segment_size: 400
    .language:       OpenCL C
    .language_version:
      - 2
      - 0
    .max_flat_workgroup_size: 256
    .name:           _Z39paged_attention_ll4mi_QKV_mfma16_kernelIDF16_DF16_LN4vllm18Fp8KVCacheDataTypeE0EDF16_Li16ELi64ELi256ELb0ELi15EL8MFMAType0EEvPKT_PKT0_S8_ifPKiSA_SA_iPKfiiiPfSD_PS3_PT2_iSC_SC_
    .private_segment_fixed_size: 0
    .sgpr_count:     54
    .sgpr_spill_count: 0
    .symbol:         _Z39paged_attention_ll4mi_QKV_mfma16_kernelIDF16_DF16_LN4vllm18Fp8KVCacheDataTypeE0EDF16_Li16ELi64ELi256ELb0ELi15EL8MFMAType0EEvPKT_PKT0_S8_ifPKiSA_SA_iPKfiiiPfSD_PS3_PT2_iSC_SC_.kd
    .uniform_work_group_size: 1
    .uses_dynamic_stack: false
    .vgpr_count:     198
    .vgpr_spill_count: 0
    .wavefront_size: 32
    .workgroup_processor_mode: 1
  - .args:
      - .actual_access:  read_only
        .address_space:  global
        .offset:         0
        .size:           8
        .value_kind:     global_buffer
      - .actual_access:  read_only
        .address_space:  global
        .offset:         8
        .size:           8
        .value_kind:     global_buffer
      - .actual_access:  read_only
        .address_space:  global
        .offset:         16
        .size:           8
        .value_kind:     global_buffer
      - .offset:         24
        .size:           4
        .value_kind:     by_value
      - .offset:         28
        .size:           4
        .value_kind:     by_value
      - .actual_access:  read_only
        .address_space:  global
        .offset:         32
        .size:           8
        .value_kind:     global_buffer
      - .actual_access:  read_only
        .address_space:  global
        .offset:         40
        .size:           8
        .value_kind:     global_buffer
      - .actual_access:  read_only
        .address_space:  global
        .offset:         48
        .size:           8
        .value_kind:     global_buffer
      - .offset:         56
        .size:           4
        .value_kind:     by_value
      - .actual_access:  read_only
        .address_space:  global
        .offset:         64
        .size:           8
        .value_kind:     global_buffer
      - .offset:         72
        .size:           4
        .value_kind:     by_value
      - .offset:         76
        .size:           4
        .value_kind:     by_value
      - .offset:         80
        .size:           4
        .value_kind:     by_value
      - .actual_access:  write_only
        .address_space:  global
        .offset:         88
        .size:           8
        .value_kind:     global_buffer
      - .actual_access:  write_only
        .address_space:  global
        .offset:         96
        .size:           8
        .value_kind:     global_buffer
      - .actual_access:  write_only
        .address_space:  global
        .offset:         104
        .size:           8
        .value_kind:     global_buffer
      - .actual_access:  read_only
        .address_space:  global
        .offset:         112
        .size:           8
        .value_kind:     global_buffer
      - .offset:         120
        .size:           4
        .value_kind:     by_value
      - .address_space:  global
        .offset:         128
        .size:           8
        .value_kind:     global_buffer
      - .address_space:  global
        .offset:         136
        .size:           8
        .value_kind:     global_buffer
      - .offset:         144
        .size:           4
        .value_kind:     hidden_block_count_x
      - .offset:         148
        .size:           4
        .value_kind:     hidden_block_count_y
      - .offset:         152
        .size:           4
        .value_kind:     hidden_block_count_z
      - .offset:         156
        .size:           2
        .value_kind:     hidden_group_size_x
      - .offset:         158
        .size:           2
        .value_kind:     hidden_group_size_y
      - .offset:         160
        .size:           2
        .value_kind:     hidden_group_size_z
      - .offset:         162
        .size:           2
        .value_kind:     hidden_remainder_x
      - .offset:         164
        .size:           2
        .value_kind:     hidden_remainder_y
      - .offset:         166
        .size:           2
        .value_kind:     hidden_remainder_z
      - .offset:         184
        .size:           8
        .value_kind:     hidden_global_offset_x
      - .offset:         192
        .size:           8
        .value_kind:     hidden_global_offset_y
      - .offset:         200
        .size:           8
        .value_kind:     hidden_global_offset_z
      - .offset:         208
        .size:           2
        .value_kind:     hidden_grid_dims
    .group_segment_fixed_size: 17472
    .kernarg_segment_align: 8
    .kernarg_segment_size: 400
    .language:       OpenCL C
    .language_version:
      - 2
      - 0
    .max_flat_workgroup_size: 256
    .name:           _Z39paged_attention_ll4mi_QKV_mfma16_kernelIDF16_DF16_LN4vllm18Fp8KVCacheDataTypeE0EDF16_Li16ELi64ELi256ELb0ELi16EL8MFMAType0EEvPKT_PKT0_S8_ifPKiSA_SA_iPKfiiiPfSD_PS3_PT2_iSC_SC_
    .private_segment_fixed_size: 0
    .sgpr_count:     54
    .sgpr_spill_count: 0
    .symbol:         _Z39paged_attention_ll4mi_QKV_mfma16_kernelIDF16_DF16_LN4vllm18Fp8KVCacheDataTypeE0EDF16_Li16ELi64ELi256ELb0ELi16EL8MFMAType0EEvPKT_PKT0_S8_ifPKiSA_SA_iPKfiiiPfSD_PS3_PT2_iSC_SC_.kd
    .uniform_work_group_size: 1
    .uses_dynamic_stack: false
    .vgpr_count:     198
    .vgpr_spill_count: 0
    .wavefront_size: 32
    .workgroup_processor_mode: 1
  - .args:
      - .actual_access:  read_only
        .address_space:  global
        .offset:         0
        .size:           8
        .value_kind:     global_buffer
      - .actual_access:  read_only
        .address_space:  global
        .offset:         8
        .size:           8
        .value_kind:     global_buffer
      - .actual_access:  read_only
        .address_space:  global
        .offset:         16
        .size:           8
        .value_kind:     global_buffer
      - .offset:         24
        .size:           4
        .value_kind:     by_value
      - .offset:         28
        .size:           4
        .value_kind:     by_value
      - .actual_access:  read_only
        .address_space:  global
        .offset:         32
        .size:           8
        .value_kind:     global_buffer
      - .actual_access:  read_only
        .address_space:  global
        .offset:         40
        .size:           8
        .value_kind:     global_buffer
      - .actual_access:  read_only
        .address_space:  global
        .offset:         48
        .size:           8
        .value_kind:     global_buffer
      - .offset:         56
        .size:           4
        .value_kind:     by_value
      - .actual_access:  read_only
        .address_space:  global
        .offset:         64
        .size:           8
        .value_kind:     global_buffer
      - .offset:         72
        .size:           4
        .value_kind:     by_value
      - .offset:         76
        .size:           4
        .value_kind:     by_value
      - .offset:         80
        .size:           4
        .value_kind:     by_value
      - .actual_access:  write_only
        .address_space:  global
        .offset:         88
        .size:           8
        .value_kind:     global_buffer
      - .actual_access:  write_only
        .address_space:  global
        .offset:         96
        .size:           8
        .value_kind:     global_buffer
      - .actual_access:  write_only
        .address_space:  global
        .offset:         104
        .size:           8
        .value_kind:     global_buffer
      - .actual_access:  read_only
        .address_space:  global
        .offset:         112
        .size:           8
        .value_kind:     global_buffer
      - .offset:         120
        .size:           4
        .value_kind:     by_value
      - .address_space:  global
        .offset:         128
        .size:           8
        .value_kind:     global_buffer
      - .address_space:  global
        .offset:         136
        .size:           8
        .value_kind:     global_buffer
      - .offset:         144
        .size:           4
        .value_kind:     hidden_block_count_x
      - .offset:         148
        .size:           4
        .value_kind:     hidden_block_count_y
      - .offset:         152
        .size:           4
        .value_kind:     hidden_block_count_z
      - .offset:         156
        .size:           2
        .value_kind:     hidden_group_size_x
      - .offset:         158
        .size:           2
        .value_kind:     hidden_group_size_y
      - .offset:         160
        .size:           2
        .value_kind:     hidden_group_size_z
      - .offset:         162
        .size:           2
        .value_kind:     hidden_remainder_x
      - .offset:         164
        .size:           2
        .value_kind:     hidden_remainder_y
      - .offset:         166
        .size:           2
        .value_kind:     hidden_remainder_z
      - .offset:         184
        .size:           8
        .value_kind:     hidden_global_offset_x
      - .offset:         192
        .size:           8
        .value_kind:     hidden_global_offset_y
      - .offset:         200
        .size:           8
        .value_kind:     hidden_global_offset_z
      - .offset:         208
        .size:           2
        .value_kind:     hidden_grid_dims
    .group_segment_fixed_size: 17472
    .kernarg_segment_align: 8
    .kernarg_segment_size: 400
    .language:       OpenCL C
    .language_version:
      - 2
      - 0
    .max_flat_workgroup_size: 256
    .name:           _Z39paged_attention_ll4mi_QKV_mfma16_kernelIDF16_DF16_LN4vllm18Fp8KVCacheDataTypeE0EDF16_Li16ELi64ELi256ELb0ELi1EL8MFMAType0EEvPKT_PKT0_S8_ifPKiSA_SA_iPKfiiiPfSD_PS3_PT2_iSC_SC_
    .private_segment_fixed_size: 0
    .sgpr_count:     72
    .sgpr_spill_count: 0
    .symbol:         _Z39paged_attention_ll4mi_QKV_mfma16_kernelIDF16_DF16_LN4vllm18Fp8KVCacheDataTypeE0EDF16_Li16ELi64ELi256ELb0ELi1EL8MFMAType0EEvPKT_PKT0_S8_ifPKiSA_SA_iPKfiiiPfSD_PS3_PT2_iSC_SC_.kd
    .uniform_work_group_size: 1
    .uses_dynamic_stack: false
    .vgpr_count:     195
    .vgpr_spill_count: 0
    .wavefront_size: 32
    .workgroup_processor_mode: 1
  - .args:
      - .actual_access:  read_only
        .address_space:  global
        .offset:         0
        .size:           8
        .value_kind:     global_buffer
      - .actual_access:  read_only
        .address_space:  global
        .offset:         8
        .size:           8
        .value_kind:     global_buffer
      - .actual_access:  read_only
        .address_space:  global
        .offset:         16
        .size:           8
        .value_kind:     global_buffer
      - .offset:         24
        .size:           4
        .value_kind:     by_value
      - .offset:         28
        .size:           4
        .value_kind:     by_value
      - .actual_access:  read_only
        .address_space:  global
        .offset:         32
        .size:           8
        .value_kind:     global_buffer
      - .actual_access:  read_only
        .address_space:  global
        .offset:         40
        .size:           8
        .value_kind:     global_buffer
      - .actual_access:  read_only
        .address_space:  global
        .offset:         48
        .size:           8
        .value_kind:     global_buffer
      - .offset:         56
        .size:           4
        .value_kind:     by_value
      - .actual_access:  read_only
        .address_space:  global
        .offset:         64
        .size:           8
        .value_kind:     global_buffer
      - .offset:         72
        .size:           4
        .value_kind:     by_value
      - .offset:         76
        .size:           4
        .value_kind:     by_value
      - .offset:         80
        .size:           4
        .value_kind:     by_value
      - .actual_access:  write_only
        .address_space:  global
        .offset:         88
        .size:           8
        .value_kind:     global_buffer
      - .actual_access:  write_only
        .address_space:  global
        .offset:         96
        .size:           8
        .value_kind:     global_buffer
      - .actual_access:  write_only
        .address_space:  global
        .offset:         104
        .size:           8
        .value_kind:     global_buffer
      - .actual_access:  read_only
        .address_space:  global
        .offset:         112
        .size:           8
        .value_kind:     global_buffer
      - .offset:         120
        .size:           4
        .value_kind:     by_value
      - .address_space:  global
        .offset:         128
        .size:           8
        .value_kind:     global_buffer
      - .address_space:  global
        .offset:         136
        .size:           8
        .value_kind:     global_buffer
      - .offset:         144
        .size:           4
        .value_kind:     hidden_block_count_x
      - .offset:         148
        .size:           4
        .value_kind:     hidden_block_count_y
      - .offset:         152
        .size:           4
        .value_kind:     hidden_block_count_z
      - .offset:         156
        .size:           2
        .value_kind:     hidden_group_size_x
      - .offset:         158
        .size:           2
        .value_kind:     hidden_group_size_y
      - .offset:         160
        .size:           2
        .value_kind:     hidden_group_size_z
      - .offset:         162
        .size:           2
        .value_kind:     hidden_remainder_x
      - .offset:         164
        .size:           2
        .value_kind:     hidden_remainder_y
      - .offset:         166
        .size:           2
        .value_kind:     hidden_remainder_z
      - .offset:         184
        .size:           8
        .value_kind:     hidden_global_offset_x
      - .offset:         192
        .size:           8
        .value_kind:     hidden_global_offset_y
      - .offset:         200
        .size:           8
        .value_kind:     hidden_global_offset_z
      - .offset:         208
        .size:           2
        .value_kind:     hidden_grid_dims
    .group_segment_fixed_size: 17472
    .kernarg_segment_align: 8
    .kernarg_segment_size: 400
    .language:       OpenCL C
    .language_version:
      - 2
      - 0
    .max_flat_workgroup_size: 256
    .name:           _Z39paged_attention_ll4mi_QKV_mfma16_kernelIDF16_DF16_LN4vllm18Fp8KVCacheDataTypeE0EDF16_Li16ELi64ELi256ELb0ELi2EL8MFMAType0EEvPKT_PKT0_S8_ifPKiSA_SA_iPKfiiiPfSD_PS3_PT2_iSC_SC_
    .private_segment_fixed_size: 0
    .sgpr_count:     54
    .sgpr_spill_count: 0
    .symbol:         _Z39paged_attention_ll4mi_QKV_mfma16_kernelIDF16_DF16_LN4vllm18Fp8KVCacheDataTypeE0EDF16_Li16ELi64ELi256ELb0ELi2EL8MFMAType0EEvPKT_PKT0_S8_ifPKiSA_SA_iPKfiiiPfSD_PS3_PT2_iSC_SC_.kd
    .uniform_work_group_size: 1
    .uses_dynamic_stack: false
    .vgpr_count:     202
    .vgpr_spill_count: 0
    .wavefront_size: 32
    .workgroup_processor_mode: 1
  - .args:
      - .actual_access:  read_only
        .address_space:  global
        .offset:         0
        .size:           8
        .value_kind:     global_buffer
      - .actual_access:  read_only
        .address_space:  global
        .offset:         8
        .size:           8
        .value_kind:     global_buffer
      - .actual_access:  read_only
        .address_space:  global
        .offset:         16
        .size:           8
        .value_kind:     global_buffer
      - .offset:         24
        .size:           4
        .value_kind:     by_value
      - .offset:         28
        .size:           4
        .value_kind:     by_value
      - .actual_access:  read_only
        .address_space:  global
        .offset:         32
        .size:           8
        .value_kind:     global_buffer
      - .actual_access:  read_only
        .address_space:  global
        .offset:         40
        .size:           8
        .value_kind:     global_buffer
      - .actual_access:  read_only
        .address_space:  global
        .offset:         48
        .size:           8
        .value_kind:     global_buffer
      - .offset:         56
        .size:           4
        .value_kind:     by_value
      - .actual_access:  read_only
        .address_space:  global
        .offset:         64
        .size:           8
        .value_kind:     global_buffer
      - .offset:         72
        .size:           4
        .value_kind:     by_value
      - .offset:         76
        .size:           4
        .value_kind:     by_value
      - .offset:         80
        .size:           4
        .value_kind:     by_value
      - .actual_access:  write_only
        .address_space:  global
        .offset:         88
        .size:           8
        .value_kind:     global_buffer
      - .actual_access:  write_only
        .address_space:  global
        .offset:         96
        .size:           8
        .value_kind:     global_buffer
      - .actual_access:  write_only
        .address_space:  global
        .offset:         104
        .size:           8
        .value_kind:     global_buffer
      - .actual_access:  read_only
        .address_space:  global
        .offset:         112
        .size:           8
        .value_kind:     global_buffer
      - .offset:         120
        .size:           4
        .value_kind:     by_value
      - .address_space:  global
        .offset:         128
        .size:           8
        .value_kind:     global_buffer
      - .address_space:  global
        .offset:         136
        .size:           8
        .value_kind:     global_buffer
      - .offset:         144
        .size:           4
        .value_kind:     hidden_block_count_x
      - .offset:         148
        .size:           4
        .value_kind:     hidden_block_count_y
      - .offset:         152
        .size:           4
        .value_kind:     hidden_block_count_z
      - .offset:         156
        .size:           2
        .value_kind:     hidden_group_size_x
      - .offset:         158
        .size:           2
        .value_kind:     hidden_group_size_y
      - .offset:         160
        .size:           2
        .value_kind:     hidden_group_size_z
      - .offset:         162
        .size:           2
        .value_kind:     hidden_remainder_x
      - .offset:         164
        .size:           2
        .value_kind:     hidden_remainder_y
      - .offset:         166
        .size:           2
        .value_kind:     hidden_remainder_z
      - .offset:         184
        .size:           8
        .value_kind:     hidden_global_offset_x
      - .offset:         192
        .size:           8
        .value_kind:     hidden_global_offset_y
      - .offset:         200
        .size:           8
        .value_kind:     hidden_global_offset_z
      - .offset:         208
        .size:           2
        .value_kind:     hidden_grid_dims
    .group_segment_fixed_size: 17472
    .kernarg_segment_align: 8
    .kernarg_segment_size: 400
    .language:       OpenCL C
    .language_version:
      - 2
      - 0
    .max_flat_workgroup_size: 256
    .name:           _Z39paged_attention_ll4mi_QKV_mfma16_kernelIDF16_DF16_LN4vllm18Fp8KVCacheDataTypeE0EDF16_Li16ELi64ELi256ELb0ELi3EL8MFMAType0EEvPKT_PKT0_S8_ifPKiSA_SA_iPKfiiiPfSD_PS3_PT2_iSC_SC_
    .private_segment_fixed_size: 0
    .sgpr_count:     54
    .sgpr_spill_count: 0
    .symbol:         _Z39paged_attention_ll4mi_QKV_mfma16_kernelIDF16_DF16_LN4vllm18Fp8KVCacheDataTypeE0EDF16_Li16ELi64ELi256ELb0ELi3EL8MFMAType0EEvPKT_PKT0_S8_ifPKiSA_SA_iPKfiiiPfSD_PS3_PT2_iSC_SC_.kd
    .uniform_work_group_size: 1
    .uses_dynamic_stack: false
    .vgpr_count:     198
    .vgpr_spill_count: 0
    .wavefront_size: 32
    .workgroup_processor_mode: 1
  - .args:
      - .actual_access:  read_only
        .address_space:  global
        .offset:         0
        .size:           8
        .value_kind:     global_buffer
      - .actual_access:  read_only
        .address_space:  global
        .offset:         8
        .size:           8
        .value_kind:     global_buffer
      - .actual_access:  read_only
        .address_space:  global
        .offset:         16
        .size:           8
        .value_kind:     global_buffer
      - .offset:         24
        .size:           4
        .value_kind:     by_value
      - .offset:         28
        .size:           4
        .value_kind:     by_value
      - .actual_access:  read_only
        .address_space:  global
        .offset:         32
        .size:           8
        .value_kind:     global_buffer
      - .actual_access:  read_only
        .address_space:  global
        .offset:         40
        .size:           8
        .value_kind:     global_buffer
      - .actual_access:  read_only
        .address_space:  global
        .offset:         48
        .size:           8
        .value_kind:     global_buffer
      - .offset:         56
        .size:           4
        .value_kind:     by_value
      - .actual_access:  read_only
        .address_space:  global
        .offset:         64
        .size:           8
        .value_kind:     global_buffer
      - .offset:         72
        .size:           4
        .value_kind:     by_value
      - .offset:         76
        .size:           4
        .value_kind:     by_value
      - .offset:         80
        .size:           4
        .value_kind:     by_value
      - .actual_access:  write_only
        .address_space:  global
        .offset:         88
        .size:           8
        .value_kind:     global_buffer
      - .actual_access:  write_only
        .address_space:  global
        .offset:         96
        .size:           8
        .value_kind:     global_buffer
      - .actual_access:  write_only
        .address_space:  global
        .offset:         104
        .size:           8
        .value_kind:     global_buffer
      - .actual_access:  read_only
        .address_space:  global
        .offset:         112
        .size:           8
        .value_kind:     global_buffer
      - .offset:         120
        .size:           4
        .value_kind:     by_value
      - .address_space:  global
        .offset:         128
        .size:           8
        .value_kind:     global_buffer
      - .address_space:  global
        .offset:         136
        .size:           8
        .value_kind:     global_buffer
      - .offset:         144
        .size:           4
        .value_kind:     hidden_block_count_x
      - .offset:         148
        .size:           4
        .value_kind:     hidden_block_count_y
      - .offset:         152
        .size:           4
        .value_kind:     hidden_block_count_z
      - .offset:         156
        .size:           2
        .value_kind:     hidden_group_size_x
      - .offset:         158
        .size:           2
        .value_kind:     hidden_group_size_y
      - .offset:         160
        .size:           2
        .value_kind:     hidden_group_size_z
      - .offset:         162
        .size:           2
        .value_kind:     hidden_remainder_x
      - .offset:         164
        .size:           2
        .value_kind:     hidden_remainder_y
      - .offset:         166
        .size:           2
        .value_kind:     hidden_remainder_z
      - .offset:         184
        .size:           8
        .value_kind:     hidden_global_offset_x
      - .offset:         192
        .size:           8
        .value_kind:     hidden_global_offset_y
      - .offset:         200
        .size:           8
        .value_kind:     hidden_global_offset_z
      - .offset:         208
        .size:           2
        .value_kind:     hidden_grid_dims
    .group_segment_fixed_size: 17472
    .kernarg_segment_align: 8
    .kernarg_segment_size: 400
    .language:       OpenCL C
    .language_version:
      - 2
      - 0
    .max_flat_workgroup_size: 256
    .name:           _Z39paged_attention_ll4mi_QKV_mfma16_kernelIDF16_DF16_LN4vllm18Fp8KVCacheDataTypeE0EDF16_Li16ELi64ELi256ELb0ELi4EL8MFMAType0EEvPKT_PKT0_S8_ifPKiSA_SA_iPKfiiiPfSD_PS3_PT2_iSC_SC_
    .private_segment_fixed_size: 0
    .sgpr_count:     54
    .sgpr_spill_count: 0
    .symbol:         _Z39paged_attention_ll4mi_QKV_mfma16_kernelIDF16_DF16_LN4vllm18Fp8KVCacheDataTypeE0EDF16_Li16ELi64ELi256ELb0ELi4EL8MFMAType0EEvPKT_PKT0_S8_ifPKiSA_SA_iPKfiiiPfSD_PS3_PT2_iSC_SC_.kd
    .uniform_work_group_size: 1
    .uses_dynamic_stack: false
    .vgpr_count:     198
    .vgpr_spill_count: 0
    .wavefront_size: 32
    .workgroup_processor_mode: 1
  - .args:
      - .actual_access:  read_only
        .address_space:  global
        .offset:         0
        .size:           8
        .value_kind:     global_buffer
      - .actual_access:  read_only
        .address_space:  global
        .offset:         8
        .size:           8
        .value_kind:     global_buffer
      - .actual_access:  read_only
        .address_space:  global
        .offset:         16
        .size:           8
        .value_kind:     global_buffer
      - .offset:         24
        .size:           4
        .value_kind:     by_value
      - .offset:         28
        .size:           4
        .value_kind:     by_value
      - .actual_access:  read_only
        .address_space:  global
        .offset:         32
        .size:           8
        .value_kind:     global_buffer
      - .actual_access:  read_only
        .address_space:  global
        .offset:         40
        .size:           8
        .value_kind:     global_buffer
      - .actual_access:  read_only
        .address_space:  global
        .offset:         48
        .size:           8
        .value_kind:     global_buffer
      - .offset:         56
        .size:           4
        .value_kind:     by_value
      - .actual_access:  read_only
        .address_space:  global
        .offset:         64
        .size:           8
        .value_kind:     global_buffer
      - .offset:         72
        .size:           4
        .value_kind:     by_value
      - .offset:         76
        .size:           4
        .value_kind:     by_value
      - .offset:         80
        .size:           4
        .value_kind:     by_value
      - .actual_access:  read_only
        .address_space:  global
        .offset:         88
        .size:           8
        .value_kind:     global_buffer
      - .actual_access:  read_only
        .address_space:  global
        .offset:         96
        .size:           8
        .value_kind:     global_buffer
      - .actual_access:  read_only
        .address_space:  global
        .offset:         104
        .size:           8
        .value_kind:     global_buffer
      - .actual_access:  read_only
        .address_space:  global
        .offset:         112
        .size:           8
        .value_kind:     global_buffer
      - .offset:         120
        .size:           4
        .value_kind:     by_value
      - .address_space:  global
        .offset:         128
        .size:           8
        .value_kind:     global_buffer
      - .address_space:  global
        .offset:         136
        .size:           8
        .value_kind:     global_buffer
      - .offset:         144
        .size:           4
        .value_kind:     hidden_block_count_x
      - .offset:         148
        .size:           4
        .value_kind:     hidden_block_count_y
      - .offset:         152
        .size:           4
        .value_kind:     hidden_block_count_z
      - .offset:         156
        .size:           2
        .value_kind:     hidden_group_size_x
      - .offset:         158
        .size:           2
        .value_kind:     hidden_group_size_y
      - .offset:         160
        .size:           2
        .value_kind:     hidden_group_size_z
      - .offset:         162
        .size:           2
        .value_kind:     hidden_remainder_x
      - .offset:         164
        .size:           2
        .value_kind:     hidden_remainder_y
      - .offset:         166
        .size:           2
        .value_kind:     hidden_remainder_z
      - .offset:         184
        .size:           8
        .value_kind:     hidden_global_offset_x
      - .offset:         192
        .size:           8
        .value_kind:     hidden_global_offset_y
      - .offset:         200
        .size:           8
        .value_kind:     hidden_global_offset_z
      - .offset:         208
        .size:           2
        .value_kind:     hidden_grid_dims
      - .offset:         224
        .size:           8
        .value_kind:     hidden_hostcall_buffer
    .group_segment_fixed_size: 0
    .kernarg_segment_align: 8
    .kernarg_segment_size: 400
    .language:       OpenCL C
    .language_version:
      - 2
      - 0
    .max_flat_workgroup_size: 256
    .name:           _Z38paged_attention_ll4mi_QKV_mfma4_kernelIDF16_DF16_LN4vllm18Fp8KVCacheDataTypeE0EhLi32ELi64ELi256ELb1ELi1EEvPKT_PKT0_S7_ifPKiS9_S9_iPKfiiiPfSC_PS2_PT2_iSB_SB_
    .private_segment_fixed_size: 64
    .sgpr_count:     36
    .sgpr_spill_count: 0
    .symbol:         _Z38paged_attention_ll4mi_QKV_mfma4_kernelIDF16_DF16_LN4vllm18Fp8KVCacheDataTypeE0EhLi32ELi64ELi256ELb1ELi1EEvPKT_PKT0_S7_ifPKiS9_S9_iPKfiiiPfSC_PS2_PT2_iSB_SB_.kd
    .uniform_work_group_size: 1
    .uses_dynamic_stack: false
    .vgpr_count:     41
    .vgpr_spill_count: 0
    .wavefront_size: 32
    .workgroup_processor_mode: 1
  - .args:
      - .actual_access:  read_only
        .address_space:  global
        .offset:         0
        .size:           8
        .value_kind:     global_buffer
      - .actual_access:  read_only
        .address_space:  global
        .offset:         8
        .size:           8
        .value_kind:     global_buffer
      - .actual_access:  read_only
        .address_space:  global
        .offset:         16
        .size:           8
        .value_kind:     global_buffer
      - .offset:         24
        .size:           4
        .value_kind:     by_value
      - .offset:         28
        .size:           4
        .value_kind:     by_value
      - .actual_access:  read_only
        .address_space:  global
        .offset:         32
        .size:           8
        .value_kind:     global_buffer
      - .actual_access:  read_only
        .address_space:  global
        .offset:         40
        .size:           8
        .value_kind:     global_buffer
      - .actual_access:  read_only
        .address_space:  global
        .offset:         48
        .size:           8
        .value_kind:     global_buffer
      - .offset:         56
        .size:           4
        .value_kind:     by_value
      - .actual_access:  read_only
        .address_space:  global
        .offset:         64
        .size:           8
        .value_kind:     global_buffer
      - .offset:         72
        .size:           4
        .value_kind:     by_value
      - .offset:         76
        .size:           4
        .value_kind:     by_value
      - .offset:         80
        .size:           4
        .value_kind:     by_value
      - .actual_access:  read_only
        .address_space:  global
        .offset:         88
        .size:           8
        .value_kind:     global_buffer
      - .actual_access:  read_only
        .address_space:  global
        .offset:         96
        .size:           8
        .value_kind:     global_buffer
      - .actual_access:  read_only
        .address_space:  global
        .offset:         104
        .size:           8
        .value_kind:     global_buffer
      - .actual_access:  read_only
        .address_space:  global
        .offset:         112
        .size:           8
        .value_kind:     global_buffer
      - .offset:         120
        .size:           4
        .value_kind:     by_value
      - .address_space:  global
        .offset:         128
        .size:           8
        .value_kind:     global_buffer
      - .address_space:  global
        .offset:         136
        .size:           8
        .value_kind:     global_buffer
      - .offset:         144
        .size:           4
        .value_kind:     hidden_block_count_x
      - .offset:         148
        .size:           4
        .value_kind:     hidden_block_count_y
      - .offset:         152
        .size:           4
        .value_kind:     hidden_block_count_z
      - .offset:         156
        .size:           2
        .value_kind:     hidden_group_size_x
      - .offset:         158
        .size:           2
        .value_kind:     hidden_group_size_y
      - .offset:         160
        .size:           2
        .value_kind:     hidden_group_size_z
      - .offset:         162
        .size:           2
        .value_kind:     hidden_remainder_x
      - .offset:         164
        .size:           2
        .value_kind:     hidden_remainder_y
      - .offset:         166
        .size:           2
        .value_kind:     hidden_remainder_z
      - .offset:         184
        .size:           8
        .value_kind:     hidden_global_offset_x
      - .offset:         192
        .size:           8
        .value_kind:     hidden_global_offset_y
      - .offset:         200
        .size:           8
        .value_kind:     hidden_global_offset_z
      - .offset:         208
        .size:           2
        .value_kind:     hidden_grid_dims
      - .offset:         224
        .size:           8
        .value_kind:     hidden_hostcall_buffer
    .group_segment_fixed_size: 0
    .kernarg_segment_align: 8
    .kernarg_segment_size: 400
    .language:       OpenCL C
    .language_version:
      - 2
      - 0
    .max_flat_workgroup_size: 256
    .name:           _Z38paged_attention_ll4mi_QKV_mfma4_kernelIDF16_DF16_LN4vllm18Fp8KVCacheDataTypeE0EhLi32ELi64ELi256ELb1ELi2EEvPKT_PKT0_S7_ifPKiS9_S9_iPKfiiiPfSC_PS2_PT2_iSB_SB_
    .private_segment_fixed_size: 64
    .sgpr_count:     36
    .sgpr_spill_count: 0
    .symbol:         _Z38paged_attention_ll4mi_QKV_mfma4_kernelIDF16_DF16_LN4vllm18Fp8KVCacheDataTypeE0EhLi32ELi64ELi256ELb1ELi2EEvPKT_PKT0_S7_ifPKiS9_S9_iPKfiiiPfSC_PS2_PT2_iSB_SB_.kd
    .uniform_work_group_size: 1
    .uses_dynamic_stack: false
    .vgpr_count:     41
    .vgpr_spill_count: 0
    .wavefront_size: 32
    .workgroup_processor_mode: 1
  - .args:
      - .actual_access:  read_only
        .address_space:  global
        .offset:         0
        .size:           8
        .value_kind:     global_buffer
      - .actual_access:  read_only
        .address_space:  global
        .offset:         8
        .size:           8
        .value_kind:     global_buffer
      - .actual_access:  read_only
        .address_space:  global
        .offset:         16
        .size:           8
        .value_kind:     global_buffer
      - .offset:         24
        .size:           4
        .value_kind:     by_value
      - .offset:         28
        .size:           4
        .value_kind:     by_value
      - .actual_access:  read_only
        .address_space:  global
        .offset:         32
        .size:           8
        .value_kind:     global_buffer
      - .actual_access:  read_only
        .address_space:  global
        .offset:         40
        .size:           8
        .value_kind:     global_buffer
      - .actual_access:  read_only
        .address_space:  global
        .offset:         48
        .size:           8
        .value_kind:     global_buffer
      - .offset:         56
        .size:           4
        .value_kind:     by_value
      - .actual_access:  read_only
        .address_space:  global
        .offset:         64
        .size:           8
        .value_kind:     global_buffer
      - .offset:         72
        .size:           4
        .value_kind:     by_value
      - .offset:         76
        .size:           4
        .value_kind:     by_value
      - .offset:         80
        .size:           4
        .value_kind:     by_value
      - .actual_access:  read_only
        .address_space:  global
        .offset:         88
        .size:           8
        .value_kind:     global_buffer
      - .actual_access:  read_only
        .address_space:  global
        .offset:         96
        .size:           8
        .value_kind:     global_buffer
      - .actual_access:  read_only
        .address_space:  global
        .offset:         104
        .size:           8
        .value_kind:     global_buffer
      - .actual_access:  read_only
        .address_space:  global
        .offset:         112
        .size:           8
        .value_kind:     global_buffer
      - .offset:         120
        .size:           4
        .value_kind:     by_value
      - .address_space:  global
        .offset:         128
        .size:           8
        .value_kind:     global_buffer
      - .address_space:  global
        .offset:         136
        .size:           8
        .value_kind:     global_buffer
      - .offset:         144
        .size:           4
        .value_kind:     hidden_block_count_x
      - .offset:         148
        .size:           4
        .value_kind:     hidden_block_count_y
      - .offset:         152
        .size:           4
        .value_kind:     hidden_block_count_z
      - .offset:         156
        .size:           2
        .value_kind:     hidden_group_size_x
      - .offset:         158
        .size:           2
        .value_kind:     hidden_group_size_y
      - .offset:         160
        .size:           2
        .value_kind:     hidden_group_size_z
      - .offset:         162
        .size:           2
        .value_kind:     hidden_remainder_x
      - .offset:         164
        .size:           2
        .value_kind:     hidden_remainder_y
      - .offset:         166
        .size:           2
        .value_kind:     hidden_remainder_z
      - .offset:         184
        .size:           8
        .value_kind:     hidden_global_offset_x
      - .offset:         192
        .size:           8
        .value_kind:     hidden_global_offset_y
      - .offset:         200
        .size:           8
        .value_kind:     hidden_global_offset_z
      - .offset:         208
        .size:           2
        .value_kind:     hidden_grid_dims
      - .offset:         224
        .size:           8
        .value_kind:     hidden_hostcall_buffer
    .group_segment_fixed_size: 0
    .kernarg_segment_align: 8
    .kernarg_segment_size: 400
    .language:       OpenCL C
    .language_version:
      - 2
      - 0
    .max_flat_workgroup_size: 256
    .name:           _Z38paged_attention_ll4mi_QKV_mfma4_kernelIDF16_DF16_LN4vllm18Fp8KVCacheDataTypeE0EhLi32ELi64ELi256ELb1ELi3EEvPKT_PKT0_S7_ifPKiS9_S9_iPKfiiiPfSC_PS2_PT2_iSB_SB_
    .private_segment_fixed_size: 64
    .sgpr_count:     36
    .sgpr_spill_count: 0
    .symbol:         _Z38paged_attention_ll4mi_QKV_mfma4_kernelIDF16_DF16_LN4vllm18Fp8KVCacheDataTypeE0EhLi32ELi64ELi256ELb1ELi3EEvPKT_PKT0_S7_ifPKiS9_S9_iPKfiiiPfSC_PS2_PT2_iSB_SB_.kd
    .uniform_work_group_size: 1
    .uses_dynamic_stack: false
    .vgpr_count:     41
    .vgpr_spill_count: 0
    .wavefront_size: 32
    .workgroup_processor_mode: 1
  - .args:
      - .actual_access:  read_only
        .address_space:  global
        .offset:         0
        .size:           8
        .value_kind:     global_buffer
      - .actual_access:  read_only
        .address_space:  global
        .offset:         8
        .size:           8
        .value_kind:     global_buffer
      - .actual_access:  read_only
        .address_space:  global
        .offset:         16
        .size:           8
        .value_kind:     global_buffer
      - .offset:         24
        .size:           4
        .value_kind:     by_value
      - .offset:         28
        .size:           4
        .value_kind:     by_value
      - .actual_access:  read_only
        .address_space:  global
        .offset:         32
        .size:           8
        .value_kind:     global_buffer
      - .actual_access:  read_only
        .address_space:  global
        .offset:         40
        .size:           8
        .value_kind:     global_buffer
      - .actual_access:  read_only
        .address_space:  global
        .offset:         48
        .size:           8
        .value_kind:     global_buffer
      - .offset:         56
        .size:           4
        .value_kind:     by_value
      - .actual_access:  read_only
        .address_space:  global
        .offset:         64
        .size:           8
        .value_kind:     global_buffer
      - .offset:         72
        .size:           4
        .value_kind:     by_value
      - .offset:         76
        .size:           4
        .value_kind:     by_value
      - .offset:         80
        .size:           4
        .value_kind:     by_value
      - .actual_access:  read_only
        .address_space:  global
        .offset:         88
        .size:           8
        .value_kind:     global_buffer
      - .actual_access:  read_only
        .address_space:  global
        .offset:         96
        .size:           8
        .value_kind:     global_buffer
      - .actual_access:  read_only
        .address_space:  global
        .offset:         104
        .size:           8
        .value_kind:     global_buffer
      - .actual_access:  read_only
        .address_space:  global
        .offset:         112
        .size:           8
        .value_kind:     global_buffer
      - .offset:         120
        .size:           4
        .value_kind:     by_value
      - .address_space:  global
        .offset:         128
        .size:           8
        .value_kind:     global_buffer
      - .address_space:  global
        .offset:         136
        .size:           8
        .value_kind:     global_buffer
      - .offset:         144
        .size:           4
        .value_kind:     hidden_block_count_x
      - .offset:         148
        .size:           4
        .value_kind:     hidden_block_count_y
      - .offset:         152
        .size:           4
        .value_kind:     hidden_block_count_z
      - .offset:         156
        .size:           2
        .value_kind:     hidden_group_size_x
      - .offset:         158
        .size:           2
        .value_kind:     hidden_group_size_y
      - .offset:         160
        .size:           2
        .value_kind:     hidden_group_size_z
      - .offset:         162
        .size:           2
        .value_kind:     hidden_remainder_x
      - .offset:         164
        .size:           2
        .value_kind:     hidden_remainder_y
      - .offset:         166
        .size:           2
        .value_kind:     hidden_remainder_z
      - .offset:         184
        .size:           8
        .value_kind:     hidden_global_offset_x
      - .offset:         192
        .size:           8
        .value_kind:     hidden_global_offset_y
      - .offset:         200
        .size:           8
        .value_kind:     hidden_global_offset_z
      - .offset:         208
        .size:           2
        .value_kind:     hidden_grid_dims
      - .offset:         224
        .size:           8
        .value_kind:     hidden_hostcall_buffer
    .group_segment_fixed_size: 0
    .kernarg_segment_align: 8
    .kernarg_segment_size: 400
    .language:       OpenCL C
    .language_version:
      - 2
      - 0
    .max_flat_workgroup_size: 256
    .name:           _Z38paged_attention_ll4mi_QKV_mfma4_kernelIDF16_DF16_LN4vllm18Fp8KVCacheDataTypeE0EhLi32ELi64ELi256ELb1ELi4EEvPKT_PKT0_S7_ifPKiS9_S9_iPKfiiiPfSC_PS2_PT2_iSB_SB_
    .private_segment_fixed_size: 64
    .sgpr_count:     36
    .sgpr_spill_count: 0
    .symbol:         _Z38paged_attention_ll4mi_QKV_mfma4_kernelIDF16_DF16_LN4vllm18Fp8KVCacheDataTypeE0EhLi32ELi64ELi256ELb1ELi4EEvPKT_PKT0_S7_ifPKiS9_S9_iPKfiiiPfSC_PS2_PT2_iSB_SB_.kd
    .uniform_work_group_size: 1
    .uses_dynamic_stack: false
    .vgpr_count:     41
    .vgpr_spill_count: 0
    .wavefront_size: 32
    .workgroup_processor_mode: 1
  - .args:
      - .actual_access:  read_only
        .address_space:  global
        .offset:         0
        .size:           8
        .value_kind:     global_buffer
      - .actual_access:  read_only
        .address_space:  global
        .offset:         8
        .size:           8
        .value_kind:     global_buffer
      - .actual_access:  read_only
        .address_space:  global
        .offset:         16
        .size:           8
        .value_kind:     global_buffer
      - .offset:         24
        .size:           4
        .value_kind:     by_value
      - .offset:         28
        .size:           4
        .value_kind:     by_value
      - .actual_access:  read_only
        .address_space:  global
        .offset:         32
        .size:           8
        .value_kind:     global_buffer
      - .actual_access:  read_only
        .address_space:  global
        .offset:         40
        .size:           8
        .value_kind:     global_buffer
      - .actual_access:  read_only
        .address_space:  global
        .offset:         48
        .size:           8
        .value_kind:     global_buffer
      - .offset:         56
        .size:           4
        .value_kind:     by_value
      - .actual_access:  read_only
        .address_space:  global
        .offset:         64
        .size:           8
        .value_kind:     global_buffer
      - .offset:         72
        .size:           4
        .value_kind:     by_value
      - .offset:         76
        .size:           4
        .value_kind:     by_value
      - .offset:         80
        .size:           4
        .value_kind:     by_value
      - .actual_access:  write_only
        .address_space:  global
        .offset:         88
        .size:           8
        .value_kind:     global_buffer
      - .actual_access:  write_only
        .address_space:  global
        .offset:         96
        .size:           8
        .value_kind:     global_buffer
      - .actual_access:  write_only
        .address_space:  global
        .offset:         104
        .size:           8
        .value_kind:     global_buffer
      - .actual_access:  read_only
        .address_space:  global
        .offset:         112
        .size:           8
        .value_kind:     global_buffer
      - .offset:         120
        .size:           4
        .value_kind:     by_value
      - .address_space:  global
        .offset:         128
        .size:           8
        .value_kind:     global_buffer
      - .address_space:  global
        .offset:         136
        .size:           8
        .value_kind:     global_buffer
      - .offset:         144
        .size:           4
        .value_kind:     hidden_block_count_x
      - .offset:         148
        .size:           4
        .value_kind:     hidden_block_count_y
      - .offset:         152
        .size:           4
        .value_kind:     hidden_block_count_z
      - .offset:         156
        .size:           2
        .value_kind:     hidden_group_size_x
      - .offset:         158
        .size:           2
        .value_kind:     hidden_group_size_y
      - .offset:         160
        .size:           2
        .value_kind:     hidden_group_size_z
      - .offset:         162
        .size:           2
        .value_kind:     hidden_remainder_x
      - .offset:         164
        .size:           2
        .value_kind:     hidden_remainder_y
      - .offset:         166
        .size:           2
        .value_kind:     hidden_remainder_z
      - .offset:         184
        .size:           8
        .value_kind:     hidden_global_offset_x
      - .offset:         192
        .size:           8
        .value_kind:     hidden_global_offset_y
      - .offset:         200
        .size:           8
        .value_kind:     hidden_global_offset_z
      - .offset:         208
        .size:           2
        .value_kind:     hidden_grid_dims
    .group_segment_fixed_size: 17472
    .kernarg_segment_align: 8
    .kernarg_segment_size: 400
    .language:       OpenCL C
    .language_version:
      - 2
      - 0
    .max_flat_workgroup_size: 256
    .name:           _Z39paged_attention_ll4mi_QKV_mfma16_kernelIDF16_DF16_LN4vllm18Fp8KVCacheDataTypeE0EhLi32ELi64ELi256ELb1ELi5EL8MFMAType0EEvPKT_PKT0_S8_ifPKiSA_SA_iPKfiiiPfSD_PS3_PT2_iSC_SC_
    .private_segment_fixed_size: 0
    .sgpr_count:     41
    .sgpr_spill_count: 0
    .symbol:         _Z39paged_attention_ll4mi_QKV_mfma16_kernelIDF16_DF16_LN4vllm18Fp8KVCacheDataTypeE0EhLi32ELi64ELi256ELb1ELi5EL8MFMAType0EEvPKT_PKT0_S8_ifPKiSA_SA_iPKfiiiPfSD_PS3_PT2_iSC_SC_.kd
    .uniform_work_group_size: 1
    .uses_dynamic_stack: false
    .vgpr_count:     154
    .vgpr_spill_count: 0
    .wavefront_size: 32
    .workgroup_processor_mode: 1
  - .args:
      - .actual_access:  read_only
        .address_space:  global
        .offset:         0
        .size:           8
        .value_kind:     global_buffer
      - .actual_access:  read_only
        .address_space:  global
        .offset:         8
        .size:           8
        .value_kind:     global_buffer
      - .actual_access:  read_only
        .address_space:  global
        .offset:         16
        .size:           8
        .value_kind:     global_buffer
      - .offset:         24
        .size:           4
        .value_kind:     by_value
      - .offset:         28
        .size:           4
        .value_kind:     by_value
      - .actual_access:  read_only
        .address_space:  global
        .offset:         32
        .size:           8
        .value_kind:     global_buffer
      - .actual_access:  read_only
        .address_space:  global
        .offset:         40
        .size:           8
        .value_kind:     global_buffer
      - .actual_access:  read_only
        .address_space:  global
        .offset:         48
        .size:           8
        .value_kind:     global_buffer
      - .offset:         56
        .size:           4
        .value_kind:     by_value
      - .actual_access:  read_only
        .address_space:  global
        .offset:         64
        .size:           8
        .value_kind:     global_buffer
      - .offset:         72
        .size:           4
        .value_kind:     by_value
      - .offset:         76
        .size:           4
        .value_kind:     by_value
      - .offset:         80
        .size:           4
        .value_kind:     by_value
      - .actual_access:  write_only
        .address_space:  global
        .offset:         88
        .size:           8
        .value_kind:     global_buffer
      - .actual_access:  write_only
        .address_space:  global
        .offset:         96
        .size:           8
        .value_kind:     global_buffer
      - .actual_access:  write_only
        .address_space:  global
        .offset:         104
        .size:           8
        .value_kind:     global_buffer
      - .actual_access:  read_only
        .address_space:  global
        .offset:         112
        .size:           8
        .value_kind:     global_buffer
      - .offset:         120
        .size:           4
        .value_kind:     by_value
      - .address_space:  global
        .offset:         128
        .size:           8
        .value_kind:     global_buffer
      - .address_space:  global
        .offset:         136
        .size:           8
        .value_kind:     global_buffer
      - .offset:         144
        .size:           4
        .value_kind:     hidden_block_count_x
      - .offset:         148
        .size:           4
        .value_kind:     hidden_block_count_y
      - .offset:         152
        .size:           4
        .value_kind:     hidden_block_count_z
      - .offset:         156
        .size:           2
        .value_kind:     hidden_group_size_x
      - .offset:         158
        .size:           2
        .value_kind:     hidden_group_size_y
      - .offset:         160
        .size:           2
        .value_kind:     hidden_group_size_z
      - .offset:         162
        .size:           2
        .value_kind:     hidden_remainder_x
      - .offset:         164
        .size:           2
        .value_kind:     hidden_remainder_y
      - .offset:         166
        .size:           2
        .value_kind:     hidden_remainder_z
      - .offset:         184
        .size:           8
        .value_kind:     hidden_global_offset_x
      - .offset:         192
        .size:           8
        .value_kind:     hidden_global_offset_y
      - .offset:         200
        .size:           8
        .value_kind:     hidden_global_offset_z
      - .offset:         208
        .size:           2
        .value_kind:     hidden_grid_dims
    .group_segment_fixed_size: 17472
    .kernarg_segment_align: 8
    .kernarg_segment_size: 400
    .language:       OpenCL C
    .language_version:
      - 2
      - 0
    .max_flat_workgroup_size: 256
    .name:           _Z39paged_attention_ll4mi_QKV_mfma16_kernelIDF16_DF16_LN4vllm18Fp8KVCacheDataTypeE0EhLi32ELi64ELi256ELb1ELi6EL8MFMAType0EEvPKT_PKT0_S8_ifPKiSA_SA_iPKfiiiPfSD_PS3_PT2_iSC_SC_
    .private_segment_fixed_size: 0
    .sgpr_count:     41
    .sgpr_spill_count: 0
    .symbol:         _Z39paged_attention_ll4mi_QKV_mfma16_kernelIDF16_DF16_LN4vllm18Fp8KVCacheDataTypeE0EhLi32ELi64ELi256ELb1ELi6EL8MFMAType0EEvPKT_PKT0_S8_ifPKiSA_SA_iPKfiiiPfSD_PS3_PT2_iSC_SC_.kd
    .uniform_work_group_size: 1
    .uses_dynamic_stack: false
    .vgpr_count:     154
    .vgpr_spill_count: 0
    .wavefront_size: 32
    .workgroup_processor_mode: 1
  - .args:
      - .actual_access:  read_only
        .address_space:  global
        .offset:         0
        .size:           8
        .value_kind:     global_buffer
      - .actual_access:  read_only
        .address_space:  global
        .offset:         8
        .size:           8
        .value_kind:     global_buffer
      - .actual_access:  read_only
        .address_space:  global
        .offset:         16
        .size:           8
        .value_kind:     global_buffer
      - .offset:         24
        .size:           4
        .value_kind:     by_value
      - .offset:         28
        .size:           4
        .value_kind:     by_value
      - .actual_access:  read_only
        .address_space:  global
        .offset:         32
        .size:           8
        .value_kind:     global_buffer
      - .actual_access:  read_only
        .address_space:  global
        .offset:         40
        .size:           8
        .value_kind:     global_buffer
      - .actual_access:  read_only
        .address_space:  global
        .offset:         48
        .size:           8
        .value_kind:     global_buffer
      - .offset:         56
        .size:           4
        .value_kind:     by_value
      - .actual_access:  read_only
        .address_space:  global
        .offset:         64
        .size:           8
        .value_kind:     global_buffer
      - .offset:         72
        .size:           4
        .value_kind:     by_value
      - .offset:         76
        .size:           4
        .value_kind:     by_value
      - .offset:         80
        .size:           4
        .value_kind:     by_value
      - .actual_access:  write_only
        .address_space:  global
        .offset:         88
        .size:           8
        .value_kind:     global_buffer
      - .actual_access:  write_only
        .address_space:  global
        .offset:         96
        .size:           8
        .value_kind:     global_buffer
      - .actual_access:  write_only
        .address_space:  global
        .offset:         104
        .size:           8
        .value_kind:     global_buffer
      - .actual_access:  read_only
        .address_space:  global
        .offset:         112
        .size:           8
        .value_kind:     global_buffer
      - .offset:         120
        .size:           4
        .value_kind:     by_value
      - .address_space:  global
        .offset:         128
        .size:           8
        .value_kind:     global_buffer
      - .address_space:  global
        .offset:         136
        .size:           8
        .value_kind:     global_buffer
      - .offset:         144
        .size:           4
        .value_kind:     hidden_block_count_x
      - .offset:         148
        .size:           4
        .value_kind:     hidden_block_count_y
      - .offset:         152
        .size:           4
        .value_kind:     hidden_block_count_z
      - .offset:         156
        .size:           2
        .value_kind:     hidden_group_size_x
      - .offset:         158
        .size:           2
        .value_kind:     hidden_group_size_y
      - .offset:         160
        .size:           2
        .value_kind:     hidden_group_size_z
      - .offset:         162
        .size:           2
        .value_kind:     hidden_remainder_x
      - .offset:         164
        .size:           2
        .value_kind:     hidden_remainder_y
      - .offset:         166
        .size:           2
        .value_kind:     hidden_remainder_z
      - .offset:         184
        .size:           8
        .value_kind:     hidden_global_offset_x
      - .offset:         192
        .size:           8
        .value_kind:     hidden_global_offset_y
      - .offset:         200
        .size:           8
        .value_kind:     hidden_global_offset_z
      - .offset:         208
        .size:           2
        .value_kind:     hidden_grid_dims
    .group_segment_fixed_size: 17472
    .kernarg_segment_align: 8
    .kernarg_segment_size: 400
    .language:       OpenCL C
    .language_version:
      - 2
      - 0
    .max_flat_workgroup_size: 256
    .name:           _Z39paged_attention_ll4mi_QKV_mfma16_kernelIDF16_DF16_LN4vllm18Fp8KVCacheDataTypeE0EhLi32ELi64ELi256ELb1ELi7EL8MFMAType0EEvPKT_PKT0_S8_ifPKiSA_SA_iPKfiiiPfSD_PS3_PT2_iSC_SC_
    .private_segment_fixed_size: 0
    .sgpr_count:     41
    .sgpr_spill_count: 0
    .symbol:         _Z39paged_attention_ll4mi_QKV_mfma16_kernelIDF16_DF16_LN4vllm18Fp8KVCacheDataTypeE0EhLi32ELi64ELi256ELb1ELi7EL8MFMAType0EEvPKT_PKT0_S8_ifPKiSA_SA_iPKfiiiPfSD_PS3_PT2_iSC_SC_.kd
    .uniform_work_group_size: 1
    .uses_dynamic_stack: false
    .vgpr_count:     154
    .vgpr_spill_count: 0
    .wavefront_size: 32
    .workgroup_processor_mode: 1
  - .args:
      - .actual_access:  read_only
        .address_space:  global
        .offset:         0
        .size:           8
        .value_kind:     global_buffer
      - .actual_access:  read_only
        .address_space:  global
        .offset:         8
        .size:           8
        .value_kind:     global_buffer
      - .actual_access:  read_only
        .address_space:  global
        .offset:         16
        .size:           8
        .value_kind:     global_buffer
      - .offset:         24
        .size:           4
        .value_kind:     by_value
      - .offset:         28
        .size:           4
        .value_kind:     by_value
      - .actual_access:  read_only
        .address_space:  global
        .offset:         32
        .size:           8
        .value_kind:     global_buffer
      - .actual_access:  read_only
        .address_space:  global
        .offset:         40
        .size:           8
        .value_kind:     global_buffer
      - .actual_access:  read_only
        .address_space:  global
        .offset:         48
        .size:           8
        .value_kind:     global_buffer
      - .offset:         56
        .size:           4
        .value_kind:     by_value
      - .actual_access:  read_only
        .address_space:  global
        .offset:         64
        .size:           8
        .value_kind:     global_buffer
      - .offset:         72
        .size:           4
        .value_kind:     by_value
      - .offset:         76
        .size:           4
        .value_kind:     by_value
      - .offset:         80
        .size:           4
        .value_kind:     by_value
      - .actual_access:  write_only
        .address_space:  global
        .offset:         88
        .size:           8
        .value_kind:     global_buffer
      - .actual_access:  write_only
        .address_space:  global
        .offset:         96
        .size:           8
        .value_kind:     global_buffer
      - .actual_access:  write_only
        .address_space:  global
        .offset:         104
        .size:           8
        .value_kind:     global_buffer
      - .actual_access:  read_only
        .address_space:  global
        .offset:         112
        .size:           8
        .value_kind:     global_buffer
      - .offset:         120
        .size:           4
        .value_kind:     by_value
      - .address_space:  global
        .offset:         128
        .size:           8
        .value_kind:     global_buffer
      - .address_space:  global
        .offset:         136
        .size:           8
        .value_kind:     global_buffer
      - .offset:         144
        .size:           4
        .value_kind:     hidden_block_count_x
      - .offset:         148
        .size:           4
        .value_kind:     hidden_block_count_y
      - .offset:         152
        .size:           4
        .value_kind:     hidden_block_count_z
      - .offset:         156
        .size:           2
        .value_kind:     hidden_group_size_x
      - .offset:         158
        .size:           2
        .value_kind:     hidden_group_size_y
      - .offset:         160
        .size:           2
        .value_kind:     hidden_group_size_z
      - .offset:         162
        .size:           2
        .value_kind:     hidden_remainder_x
      - .offset:         164
        .size:           2
        .value_kind:     hidden_remainder_y
      - .offset:         166
        .size:           2
        .value_kind:     hidden_remainder_z
      - .offset:         184
        .size:           8
        .value_kind:     hidden_global_offset_x
      - .offset:         192
        .size:           8
        .value_kind:     hidden_global_offset_y
      - .offset:         200
        .size:           8
        .value_kind:     hidden_global_offset_z
      - .offset:         208
        .size:           2
        .value_kind:     hidden_grid_dims
    .group_segment_fixed_size: 17472
    .kernarg_segment_align: 8
    .kernarg_segment_size: 400
    .language:       OpenCL C
    .language_version:
      - 2
      - 0
    .max_flat_workgroup_size: 256
    .name:           _Z39paged_attention_ll4mi_QKV_mfma16_kernelIDF16_DF16_LN4vllm18Fp8KVCacheDataTypeE0EhLi32ELi64ELi256ELb1ELi8EL8MFMAType0EEvPKT_PKT0_S8_ifPKiSA_SA_iPKfiiiPfSD_PS3_PT2_iSC_SC_
    .private_segment_fixed_size: 0
    .sgpr_count:     41
    .sgpr_spill_count: 0
    .symbol:         _Z39paged_attention_ll4mi_QKV_mfma16_kernelIDF16_DF16_LN4vllm18Fp8KVCacheDataTypeE0EhLi32ELi64ELi256ELb1ELi8EL8MFMAType0EEvPKT_PKT0_S8_ifPKiSA_SA_iPKfiiiPfSD_PS3_PT2_iSC_SC_.kd
    .uniform_work_group_size: 1
    .uses_dynamic_stack: false
    .vgpr_count:     154
    .vgpr_spill_count: 0
    .wavefront_size: 32
    .workgroup_processor_mode: 1
  - .args:
      - .actual_access:  read_only
        .address_space:  global
        .offset:         0
        .size:           8
        .value_kind:     global_buffer
      - .actual_access:  read_only
        .address_space:  global
        .offset:         8
        .size:           8
        .value_kind:     global_buffer
      - .actual_access:  read_only
        .address_space:  global
        .offset:         16
        .size:           8
        .value_kind:     global_buffer
      - .offset:         24
        .size:           4
        .value_kind:     by_value
      - .offset:         28
        .size:           4
        .value_kind:     by_value
      - .actual_access:  read_only
        .address_space:  global
        .offset:         32
        .size:           8
        .value_kind:     global_buffer
      - .actual_access:  read_only
        .address_space:  global
        .offset:         40
        .size:           8
        .value_kind:     global_buffer
      - .actual_access:  read_only
        .address_space:  global
        .offset:         48
        .size:           8
        .value_kind:     global_buffer
      - .offset:         56
        .size:           4
        .value_kind:     by_value
      - .actual_access:  read_only
        .address_space:  global
        .offset:         64
        .size:           8
        .value_kind:     global_buffer
      - .offset:         72
        .size:           4
        .value_kind:     by_value
      - .offset:         76
        .size:           4
        .value_kind:     by_value
      - .offset:         80
        .size:           4
        .value_kind:     by_value
      - .actual_access:  write_only
        .address_space:  global
        .offset:         88
        .size:           8
        .value_kind:     global_buffer
      - .actual_access:  write_only
        .address_space:  global
        .offset:         96
        .size:           8
        .value_kind:     global_buffer
      - .actual_access:  write_only
        .address_space:  global
        .offset:         104
        .size:           8
        .value_kind:     global_buffer
      - .actual_access:  read_only
        .address_space:  global
        .offset:         112
        .size:           8
        .value_kind:     global_buffer
      - .offset:         120
        .size:           4
        .value_kind:     by_value
      - .address_space:  global
        .offset:         128
        .size:           8
        .value_kind:     global_buffer
      - .address_space:  global
        .offset:         136
        .size:           8
        .value_kind:     global_buffer
      - .offset:         144
        .size:           4
        .value_kind:     hidden_block_count_x
      - .offset:         148
        .size:           4
        .value_kind:     hidden_block_count_y
      - .offset:         152
        .size:           4
        .value_kind:     hidden_block_count_z
      - .offset:         156
        .size:           2
        .value_kind:     hidden_group_size_x
      - .offset:         158
        .size:           2
        .value_kind:     hidden_group_size_y
      - .offset:         160
        .size:           2
        .value_kind:     hidden_group_size_z
      - .offset:         162
        .size:           2
        .value_kind:     hidden_remainder_x
      - .offset:         164
        .size:           2
        .value_kind:     hidden_remainder_y
      - .offset:         166
        .size:           2
        .value_kind:     hidden_remainder_z
      - .offset:         184
        .size:           8
        .value_kind:     hidden_global_offset_x
      - .offset:         192
        .size:           8
        .value_kind:     hidden_global_offset_y
      - .offset:         200
        .size:           8
        .value_kind:     hidden_global_offset_z
      - .offset:         208
        .size:           2
        .value_kind:     hidden_grid_dims
    .group_segment_fixed_size: 17472
    .kernarg_segment_align: 8
    .kernarg_segment_size: 400
    .language:       OpenCL C
    .language_version:
      - 2
      - 0
    .max_flat_workgroup_size: 256
    .name:           _Z39paged_attention_ll4mi_QKV_mfma16_kernelIDF16_DF16_LN4vllm18Fp8KVCacheDataTypeE0EhLi32ELi64ELi256ELb1ELi9EL8MFMAType0EEvPKT_PKT0_S8_ifPKiSA_SA_iPKfiiiPfSD_PS3_PT2_iSC_SC_
    .private_segment_fixed_size: 0
    .sgpr_count:     41
    .sgpr_spill_count: 0
    .symbol:         _Z39paged_attention_ll4mi_QKV_mfma16_kernelIDF16_DF16_LN4vllm18Fp8KVCacheDataTypeE0EhLi32ELi64ELi256ELb1ELi9EL8MFMAType0EEvPKT_PKT0_S8_ifPKiSA_SA_iPKfiiiPfSD_PS3_PT2_iSC_SC_.kd
    .uniform_work_group_size: 1
    .uses_dynamic_stack: false
    .vgpr_count:     154
    .vgpr_spill_count: 0
    .wavefront_size: 32
    .workgroup_processor_mode: 1
  - .args:
      - .actual_access:  read_only
        .address_space:  global
        .offset:         0
        .size:           8
        .value_kind:     global_buffer
      - .actual_access:  read_only
        .address_space:  global
        .offset:         8
        .size:           8
        .value_kind:     global_buffer
      - .actual_access:  read_only
        .address_space:  global
        .offset:         16
        .size:           8
        .value_kind:     global_buffer
      - .offset:         24
        .size:           4
        .value_kind:     by_value
      - .offset:         28
        .size:           4
        .value_kind:     by_value
      - .actual_access:  read_only
        .address_space:  global
        .offset:         32
        .size:           8
        .value_kind:     global_buffer
      - .actual_access:  read_only
        .address_space:  global
        .offset:         40
        .size:           8
        .value_kind:     global_buffer
      - .actual_access:  read_only
        .address_space:  global
        .offset:         48
        .size:           8
        .value_kind:     global_buffer
      - .offset:         56
        .size:           4
        .value_kind:     by_value
      - .actual_access:  read_only
        .address_space:  global
        .offset:         64
        .size:           8
        .value_kind:     global_buffer
      - .offset:         72
        .size:           4
        .value_kind:     by_value
      - .offset:         76
        .size:           4
        .value_kind:     by_value
      - .offset:         80
        .size:           4
        .value_kind:     by_value
      - .actual_access:  write_only
        .address_space:  global
        .offset:         88
        .size:           8
        .value_kind:     global_buffer
      - .actual_access:  write_only
        .address_space:  global
        .offset:         96
        .size:           8
        .value_kind:     global_buffer
      - .actual_access:  write_only
        .address_space:  global
        .offset:         104
        .size:           8
        .value_kind:     global_buffer
      - .actual_access:  read_only
        .address_space:  global
        .offset:         112
        .size:           8
        .value_kind:     global_buffer
      - .offset:         120
        .size:           4
        .value_kind:     by_value
      - .address_space:  global
        .offset:         128
        .size:           8
        .value_kind:     global_buffer
      - .address_space:  global
        .offset:         136
        .size:           8
        .value_kind:     global_buffer
      - .offset:         144
        .size:           4
        .value_kind:     hidden_block_count_x
      - .offset:         148
        .size:           4
        .value_kind:     hidden_block_count_y
      - .offset:         152
        .size:           4
        .value_kind:     hidden_block_count_z
      - .offset:         156
        .size:           2
        .value_kind:     hidden_group_size_x
      - .offset:         158
        .size:           2
        .value_kind:     hidden_group_size_y
      - .offset:         160
        .size:           2
        .value_kind:     hidden_group_size_z
      - .offset:         162
        .size:           2
        .value_kind:     hidden_remainder_x
      - .offset:         164
        .size:           2
        .value_kind:     hidden_remainder_y
      - .offset:         166
        .size:           2
        .value_kind:     hidden_remainder_z
      - .offset:         184
        .size:           8
        .value_kind:     hidden_global_offset_x
      - .offset:         192
        .size:           8
        .value_kind:     hidden_global_offset_y
      - .offset:         200
        .size:           8
        .value_kind:     hidden_global_offset_z
      - .offset:         208
        .size:           2
        .value_kind:     hidden_grid_dims
    .group_segment_fixed_size: 17472
    .kernarg_segment_align: 8
    .kernarg_segment_size: 400
    .language:       OpenCL C
    .language_version:
      - 2
      - 0
    .max_flat_workgroup_size: 256
    .name:           _Z39paged_attention_ll4mi_QKV_mfma16_kernelIDF16_DF16_LN4vllm18Fp8KVCacheDataTypeE0EhLi32ELi64ELi256ELb1ELi10EL8MFMAType0EEvPKT_PKT0_S8_ifPKiSA_SA_iPKfiiiPfSD_PS3_PT2_iSC_SC_
    .private_segment_fixed_size: 0
    .sgpr_count:     41
    .sgpr_spill_count: 0
    .symbol:         _Z39paged_attention_ll4mi_QKV_mfma16_kernelIDF16_DF16_LN4vllm18Fp8KVCacheDataTypeE0EhLi32ELi64ELi256ELb1ELi10EL8MFMAType0EEvPKT_PKT0_S8_ifPKiSA_SA_iPKfiiiPfSD_PS3_PT2_iSC_SC_.kd
    .uniform_work_group_size: 1
    .uses_dynamic_stack: false
    .vgpr_count:     154
    .vgpr_spill_count: 0
    .wavefront_size: 32
    .workgroup_processor_mode: 1
  - .args:
      - .actual_access:  read_only
        .address_space:  global
        .offset:         0
        .size:           8
        .value_kind:     global_buffer
      - .actual_access:  read_only
        .address_space:  global
        .offset:         8
        .size:           8
        .value_kind:     global_buffer
      - .actual_access:  read_only
        .address_space:  global
        .offset:         16
        .size:           8
        .value_kind:     global_buffer
      - .offset:         24
        .size:           4
        .value_kind:     by_value
      - .offset:         28
        .size:           4
        .value_kind:     by_value
      - .actual_access:  read_only
        .address_space:  global
        .offset:         32
        .size:           8
        .value_kind:     global_buffer
      - .actual_access:  read_only
        .address_space:  global
        .offset:         40
        .size:           8
        .value_kind:     global_buffer
      - .actual_access:  read_only
        .address_space:  global
        .offset:         48
        .size:           8
        .value_kind:     global_buffer
      - .offset:         56
        .size:           4
        .value_kind:     by_value
      - .actual_access:  read_only
        .address_space:  global
        .offset:         64
        .size:           8
        .value_kind:     global_buffer
      - .offset:         72
        .size:           4
        .value_kind:     by_value
      - .offset:         76
        .size:           4
        .value_kind:     by_value
      - .offset:         80
        .size:           4
        .value_kind:     by_value
      - .actual_access:  write_only
        .address_space:  global
        .offset:         88
        .size:           8
        .value_kind:     global_buffer
      - .actual_access:  write_only
        .address_space:  global
        .offset:         96
        .size:           8
        .value_kind:     global_buffer
      - .actual_access:  write_only
        .address_space:  global
        .offset:         104
        .size:           8
        .value_kind:     global_buffer
      - .actual_access:  read_only
        .address_space:  global
        .offset:         112
        .size:           8
        .value_kind:     global_buffer
      - .offset:         120
        .size:           4
        .value_kind:     by_value
      - .address_space:  global
        .offset:         128
        .size:           8
        .value_kind:     global_buffer
      - .address_space:  global
        .offset:         136
        .size:           8
        .value_kind:     global_buffer
      - .offset:         144
        .size:           4
        .value_kind:     hidden_block_count_x
      - .offset:         148
        .size:           4
        .value_kind:     hidden_block_count_y
      - .offset:         152
        .size:           4
        .value_kind:     hidden_block_count_z
      - .offset:         156
        .size:           2
        .value_kind:     hidden_group_size_x
      - .offset:         158
        .size:           2
        .value_kind:     hidden_group_size_y
      - .offset:         160
        .size:           2
        .value_kind:     hidden_group_size_z
      - .offset:         162
        .size:           2
        .value_kind:     hidden_remainder_x
      - .offset:         164
        .size:           2
        .value_kind:     hidden_remainder_y
      - .offset:         166
        .size:           2
        .value_kind:     hidden_remainder_z
      - .offset:         184
        .size:           8
        .value_kind:     hidden_global_offset_x
      - .offset:         192
        .size:           8
        .value_kind:     hidden_global_offset_y
      - .offset:         200
        .size:           8
        .value_kind:     hidden_global_offset_z
      - .offset:         208
        .size:           2
        .value_kind:     hidden_grid_dims
    .group_segment_fixed_size: 17472
    .kernarg_segment_align: 8
    .kernarg_segment_size: 400
    .language:       OpenCL C
    .language_version:
      - 2
      - 0
    .max_flat_workgroup_size: 256
    .name:           _Z39paged_attention_ll4mi_QKV_mfma16_kernelIDF16_DF16_LN4vllm18Fp8KVCacheDataTypeE0EhLi32ELi64ELi256ELb1ELi11EL8MFMAType0EEvPKT_PKT0_S8_ifPKiSA_SA_iPKfiiiPfSD_PS3_PT2_iSC_SC_
    .private_segment_fixed_size: 0
    .sgpr_count:     41
    .sgpr_spill_count: 0
    .symbol:         _Z39paged_attention_ll4mi_QKV_mfma16_kernelIDF16_DF16_LN4vllm18Fp8KVCacheDataTypeE0EhLi32ELi64ELi256ELb1ELi11EL8MFMAType0EEvPKT_PKT0_S8_ifPKiSA_SA_iPKfiiiPfSD_PS3_PT2_iSC_SC_.kd
    .uniform_work_group_size: 1
    .uses_dynamic_stack: false
    .vgpr_count:     154
    .vgpr_spill_count: 0
    .wavefront_size: 32
    .workgroup_processor_mode: 1
  - .args:
      - .actual_access:  read_only
        .address_space:  global
        .offset:         0
        .size:           8
        .value_kind:     global_buffer
      - .actual_access:  read_only
        .address_space:  global
        .offset:         8
        .size:           8
        .value_kind:     global_buffer
      - .actual_access:  read_only
        .address_space:  global
        .offset:         16
        .size:           8
        .value_kind:     global_buffer
      - .offset:         24
        .size:           4
        .value_kind:     by_value
      - .offset:         28
        .size:           4
        .value_kind:     by_value
      - .actual_access:  read_only
        .address_space:  global
        .offset:         32
        .size:           8
        .value_kind:     global_buffer
      - .actual_access:  read_only
        .address_space:  global
        .offset:         40
        .size:           8
        .value_kind:     global_buffer
      - .actual_access:  read_only
        .address_space:  global
        .offset:         48
        .size:           8
        .value_kind:     global_buffer
      - .offset:         56
        .size:           4
        .value_kind:     by_value
      - .actual_access:  read_only
        .address_space:  global
        .offset:         64
        .size:           8
        .value_kind:     global_buffer
      - .offset:         72
        .size:           4
        .value_kind:     by_value
      - .offset:         76
        .size:           4
        .value_kind:     by_value
      - .offset:         80
        .size:           4
        .value_kind:     by_value
      - .actual_access:  write_only
        .address_space:  global
        .offset:         88
        .size:           8
        .value_kind:     global_buffer
      - .actual_access:  write_only
        .address_space:  global
        .offset:         96
        .size:           8
        .value_kind:     global_buffer
      - .actual_access:  write_only
        .address_space:  global
        .offset:         104
        .size:           8
        .value_kind:     global_buffer
      - .actual_access:  read_only
        .address_space:  global
        .offset:         112
        .size:           8
        .value_kind:     global_buffer
      - .offset:         120
        .size:           4
        .value_kind:     by_value
      - .address_space:  global
        .offset:         128
        .size:           8
        .value_kind:     global_buffer
      - .address_space:  global
        .offset:         136
        .size:           8
        .value_kind:     global_buffer
      - .offset:         144
        .size:           4
        .value_kind:     hidden_block_count_x
      - .offset:         148
        .size:           4
        .value_kind:     hidden_block_count_y
      - .offset:         152
        .size:           4
        .value_kind:     hidden_block_count_z
      - .offset:         156
        .size:           2
        .value_kind:     hidden_group_size_x
      - .offset:         158
        .size:           2
        .value_kind:     hidden_group_size_y
      - .offset:         160
        .size:           2
        .value_kind:     hidden_group_size_z
      - .offset:         162
        .size:           2
        .value_kind:     hidden_remainder_x
      - .offset:         164
        .size:           2
        .value_kind:     hidden_remainder_y
      - .offset:         166
        .size:           2
        .value_kind:     hidden_remainder_z
      - .offset:         184
        .size:           8
        .value_kind:     hidden_global_offset_x
      - .offset:         192
        .size:           8
        .value_kind:     hidden_global_offset_y
      - .offset:         200
        .size:           8
        .value_kind:     hidden_global_offset_z
      - .offset:         208
        .size:           2
        .value_kind:     hidden_grid_dims
    .group_segment_fixed_size: 17472
    .kernarg_segment_align: 8
    .kernarg_segment_size: 400
    .language:       OpenCL C
    .language_version:
      - 2
      - 0
    .max_flat_workgroup_size: 256
    .name:           _Z39paged_attention_ll4mi_QKV_mfma16_kernelIDF16_DF16_LN4vllm18Fp8KVCacheDataTypeE0EhLi32ELi64ELi256ELb1ELi12EL8MFMAType0EEvPKT_PKT0_S8_ifPKiSA_SA_iPKfiiiPfSD_PS3_PT2_iSC_SC_
    .private_segment_fixed_size: 0
    .sgpr_count:     41
    .sgpr_spill_count: 0
    .symbol:         _Z39paged_attention_ll4mi_QKV_mfma16_kernelIDF16_DF16_LN4vllm18Fp8KVCacheDataTypeE0EhLi32ELi64ELi256ELb1ELi12EL8MFMAType0EEvPKT_PKT0_S8_ifPKiSA_SA_iPKfiiiPfSD_PS3_PT2_iSC_SC_.kd
    .uniform_work_group_size: 1
    .uses_dynamic_stack: false
    .vgpr_count:     154
    .vgpr_spill_count: 0
    .wavefront_size: 32
    .workgroup_processor_mode: 1
  - .args:
      - .actual_access:  read_only
        .address_space:  global
        .offset:         0
        .size:           8
        .value_kind:     global_buffer
      - .actual_access:  read_only
        .address_space:  global
        .offset:         8
        .size:           8
        .value_kind:     global_buffer
      - .actual_access:  read_only
        .address_space:  global
        .offset:         16
        .size:           8
        .value_kind:     global_buffer
      - .offset:         24
        .size:           4
        .value_kind:     by_value
      - .offset:         28
        .size:           4
        .value_kind:     by_value
      - .actual_access:  read_only
        .address_space:  global
        .offset:         32
        .size:           8
        .value_kind:     global_buffer
      - .actual_access:  read_only
        .address_space:  global
        .offset:         40
        .size:           8
        .value_kind:     global_buffer
      - .actual_access:  read_only
        .address_space:  global
        .offset:         48
        .size:           8
        .value_kind:     global_buffer
      - .offset:         56
        .size:           4
        .value_kind:     by_value
      - .actual_access:  read_only
        .address_space:  global
        .offset:         64
        .size:           8
        .value_kind:     global_buffer
      - .offset:         72
        .size:           4
        .value_kind:     by_value
      - .offset:         76
        .size:           4
        .value_kind:     by_value
      - .offset:         80
        .size:           4
        .value_kind:     by_value
      - .actual_access:  write_only
        .address_space:  global
        .offset:         88
        .size:           8
        .value_kind:     global_buffer
      - .actual_access:  write_only
        .address_space:  global
        .offset:         96
        .size:           8
        .value_kind:     global_buffer
      - .actual_access:  write_only
        .address_space:  global
        .offset:         104
        .size:           8
        .value_kind:     global_buffer
      - .actual_access:  read_only
        .address_space:  global
        .offset:         112
        .size:           8
        .value_kind:     global_buffer
      - .offset:         120
        .size:           4
        .value_kind:     by_value
      - .address_space:  global
        .offset:         128
        .size:           8
        .value_kind:     global_buffer
      - .address_space:  global
        .offset:         136
        .size:           8
        .value_kind:     global_buffer
      - .offset:         144
        .size:           4
        .value_kind:     hidden_block_count_x
      - .offset:         148
        .size:           4
        .value_kind:     hidden_block_count_y
      - .offset:         152
        .size:           4
        .value_kind:     hidden_block_count_z
      - .offset:         156
        .size:           2
        .value_kind:     hidden_group_size_x
      - .offset:         158
        .size:           2
        .value_kind:     hidden_group_size_y
      - .offset:         160
        .size:           2
        .value_kind:     hidden_group_size_z
      - .offset:         162
        .size:           2
        .value_kind:     hidden_remainder_x
      - .offset:         164
        .size:           2
        .value_kind:     hidden_remainder_y
      - .offset:         166
        .size:           2
        .value_kind:     hidden_remainder_z
      - .offset:         184
        .size:           8
        .value_kind:     hidden_global_offset_x
      - .offset:         192
        .size:           8
        .value_kind:     hidden_global_offset_y
      - .offset:         200
        .size:           8
        .value_kind:     hidden_global_offset_z
      - .offset:         208
        .size:           2
        .value_kind:     hidden_grid_dims
    .group_segment_fixed_size: 17472
    .kernarg_segment_align: 8
    .kernarg_segment_size: 400
    .language:       OpenCL C
    .language_version:
      - 2
      - 0
    .max_flat_workgroup_size: 256
    .name:           _Z39paged_attention_ll4mi_QKV_mfma16_kernelIDF16_DF16_LN4vllm18Fp8KVCacheDataTypeE0EhLi32ELi64ELi256ELb1ELi13EL8MFMAType0EEvPKT_PKT0_S8_ifPKiSA_SA_iPKfiiiPfSD_PS3_PT2_iSC_SC_
    .private_segment_fixed_size: 0
    .sgpr_count:     41
    .sgpr_spill_count: 0
    .symbol:         _Z39paged_attention_ll4mi_QKV_mfma16_kernelIDF16_DF16_LN4vllm18Fp8KVCacheDataTypeE0EhLi32ELi64ELi256ELb1ELi13EL8MFMAType0EEvPKT_PKT0_S8_ifPKiSA_SA_iPKfiiiPfSD_PS3_PT2_iSC_SC_.kd
    .uniform_work_group_size: 1
    .uses_dynamic_stack: false
    .vgpr_count:     154
    .vgpr_spill_count: 0
    .wavefront_size: 32
    .workgroup_processor_mode: 1
  - .args:
      - .actual_access:  read_only
        .address_space:  global
        .offset:         0
        .size:           8
        .value_kind:     global_buffer
      - .actual_access:  read_only
        .address_space:  global
        .offset:         8
        .size:           8
        .value_kind:     global_buffer
      - .actual_access:  read_only
        .address_space:  global
        .offset:         16
        .size:           8
        .value_kind:     global_buffer
      - .offset:         24
        .size:           4
        .value_kind:     by_value
      - .offset:         28
        .size:           4
        .value_kind:     by_value
      - .actual_access:  read_only
        .address_space:  global
        .offset:         32
        .size:           8
        .value_kind:     global_buffer
      - .actual_access:  read_only
        .address_space:  global
        .offset:         40
        .size:           8
        .value_kind:     global_buffer
      - .actual_access:  read_only
        .address_space:  global
        .offset:         48
        .size:           8
        .value_kind:     global_buffer
      - .offset:         56
        .size:           4
        .value_kind:     by_value
      - .actual_access:  read_only
        .address_space:  global
        .offset:         64
        .size:           8
        .value_kind:     global_buffer
      - .offset:         72
        .size:           4
        .value_kind:     by_value
      - .offset:         76
        .size:           4
        .value_kind:     by_value
      - .offset:         80
        .size:           4
        .value_kind:     by_value
      - .actual_access:  write_only
        .address_space:  global
        .offset:         88
        .size:           8
        .value_kind:     global_buffer
      - .actual_access:  write_only
        .address_space:  global
        .offset:         96
        .size:           8
        .value_kind:     global_buffer
      - .actual_access:  write_only
        .address_space:  global
        .offset:         104
        .size:           8
        .value_kind:     global_buffer
      - .actual_access:  read_only
        .address_space:  global
        .offset:         112
        .size:           8
        .value_kind:     global_buffer
      - .offset:         120
        .size:           4
        .value_kind:     by_value
      - .address_space:  global
        .offset:         128
        .size:           8
        .value_kind:     global_buffer
      - .address_space:  global
        .offset:         136
        .size:           8
        .value_kind:     global_buffer
      - .offset:         144
        .size:           4
        .value_kind:     hidden_block_count_x
      - .offset:         148
        .size:           4
        .value_kind:     hidden_block_count_y
      - .offset:         152
        .size:           4
        .value_kind:     hidden_block_count_z
      - .offset:         156
        .size:           2
        .value_kind:     hidden_group_size_x
      - .offset:         158
        .size:           2
        .value_kind:     hidden_group_size_y
      - .offset:         160
        .size:           2
        .value_kind:     hidden_group_size_z
      - .offset:         162
        .size:           2
        .value_kind:     hidden_remainder_x
      - .offset:         164
        .size:           2
        .value_kind:     hidden_remainder_y
      - .offset:         166
        .size:           2
        .value_kind:     hidden_remainder_z
      - .offset:         184
        .size:           8
        .value_kind:     hidden_global_offset_x
      - .offset:         192
        .size:           8
        .value_kind:     hidden_global_offset_y
      - .offset:         200
        .size:           8
        .value_kind:     hidden_global_offset_z
      - .offset:         208
        .size:           2
        .value_kind:     hidden_grid_dims
    .group_segment_fixed_size: 17472
    .kernarg_segment_align: 8
    .kernarg_segment_size: 400
    .language:       OpenCL C
    .language_version:
      - 2
      - 0
    .max_flat_workgroup_size: 256
    .name:           _Z39paged_attention_ll4mi_QKV_mfma16_kernelIDF16_DF16_LN4vllm18Fp8KVCacheDataTypeE0EhLi32ELi64ELi256ELb1ELi14EL8MFMAType0EEvPKT_PKT0_S8_ifPKiSA_SA_iPKfiiiPfSD_PS3_PT2_iSC_SC_
    .private_segment_fixed_size: 0
    .sgpr_count:     41
    .sgpr_spill_count: 0
    .symbol:         _Z39paged_attention_ll4mi_QKV_mfma16_kernelIDF16_DF16_LN4vllm18Fp8KVCacheDataTypeE0EhLi32ELi64ELi256ELb1ELi14EL8MFMAType0EEvPKT_PKT0_S8_ifPKiSA_SA_iPKfiiiPfSD_PS3_PT2_iSC_SC_.kd
    .uniform_work_group_size: 1
    .uses_dynamic_stack: false
    .vgpr_count:     154
    .vgpr_spill_count: 0
    .wavefront_size: 32
    .workgroup_processor_mode: 1
  - .args:
      - .actual_access:  read_only
        .address_space:  global
        .offset:         0
        .size:           8
        .value_kind:     global_buffer
      - .actual_access:  read_only
        .address_space:  global
        .offset:         8
        .size:           8
        .value_kind:     global_buffer
      - .actual_access:  read_only
        .address_space:  global
        .offset:         16
        .size:           8
        .value_kind:     global_buffer
      - .offset:         24
        .size:           4
        .value_kind:     by_value
      - .offset:         28
        .size:           4
        .value_kind:     by_value
      - .actual_access:  read_only
        .address_space:  global
        .offset:         32
        .size:           8
        .value_kind:     global_buffer
      - .actual_access:  read_only
        .address_space:  global
        .offset:         40
        .size:           8
        .value_kind:     global_buffer
      - .actual_access:  read_only
        .address_space:  global
        .offset:         48
        .size:           8
        .value_kind:     global_buffer
      - .offset:         56
        .size:           4
        .value_kind:     by_value
      - .actual_access:  read_only
        .address_space:  global
        .offset:         64
        .size:           8
        .value_kind:     global_buffer
      - .offset:         72
        .size:           4
        .value_kind:     by_value
      - .offset:         76
        .size:           4
        .value_kind:     by_value
      - .offset:         80
        .size:           4
        .value_kind:     by_value
      - .actual_access:  write_only
        .address_space:  global
        .offset:         88
        .size:           8
        .value_kind:     global_buffer
      - .actual_access:  write_only
        .address_space:  global
        .offset:         96
        .size:           8
        .value_kind:     global_buffer
      - .actual_access:  write_only
        .address_space:  global
        .offset:         104
        .size:           8
        .value_kind:     global_buffer
      - .actual_access:  read_only
        .address_space:  global
        .offset:         112
        .size:           8
        .value_kind:     global_buffer
      - .offset:         120
        .size:           4
        .value_kind:     by_value
      - .address_space:  global
        .offset:         128
        .size:           8
        .value_kind:     global_buffer
      - .address_space:  global
        .offset:         136
        .size:           8
        .value_kind:     global_buffer
      - .offset:         144
        .size:           4
        .value_kind:     hidden_block_count_x
      - .offset:         148
        .size:           4
        .value_kind:     hidden_block_count_y
      - .offset:         152
        .size:           4
        .value_kind:     hidden_block_count_z
      - .offset:         156
        .size:           2
        .value_kind:     hidden_group_size_x
      - .offset:         158
        .size:           2
        .value_kind:     hidden_group_size_y
      - .offset:         160
        .size:           2
        .value_kind:     hidden_group_size_z
      - .offset:         162
        .size:           2
        .value_kind:     hidden_remainder_x
      - .offset:         164
        .size:           2
        .value_kind:     hidden_remainder_y
      - .offset:         166
        .size:           2
        .value_kind:     hidden_remainder_z
      - .offset:         184
        .size:           8
        .value_kind:     hidden_global_offset_x
      - .offset:         192
        .size:           8
        .value_kind:     hidden_global_offset_y
      - .offset:         200
        .size:           8
        .value_kind:     hidden_global_offset_z
      - .offset:         208
        .size:           2
        .value_kind:     hidden_grid_dims
    .group_segment_fixed_size: 17472
    .kernarg_segment_align: 8
    .kernarg_segment_size: 400
    .language:       OpenCL C
    .language_version:
      - 2
      - 0
    .max_flat_workgroup_size: 256
    .name:           _Z39paged_attention_ll4mi_QKV_mfma16_kernelIDF16_DF16_LN4vllm18Fp8KVCacheDataTypeE0EhLi32ELi64ELi256ELb1ELi15EL8MFMAType0EEvPKT_PKT0_S8_ifPKiSA_SA_iPKfiiiPfSD_PS3_PT2_iSC_SC_
    .private_segment_fixed_size: 0
    .sgpr_count:     41
    .sgpr_spill_count: 0
    .symbol:         _Z39paged_attention_ll4mi_QKV_mfma16_kernelIDF16_DF16_LN4vllm18Fp8KVCacheDataTypeE0EhLi32ELi64ELi256ELb1ELi15EL8MFMAType0EEvPKT_PKT0_S8_ifPKiSA_SA_iPKfiiiPfSD_PS3_PT2_iSC_SC_.kd
    .uniform_work_group_size: 1
    .uses_dynamic_stack: false
    .vgpr_count:     154
    .vgpr_spill_count: 0
    .wavefront_size: 32
    .workgroup_processor_mode: 1
  - .args:
      - .actual_access:  read_only
        .address_space:  global
        .offset:         0
        .size:           8
        .value_kind:     global_buffer
      - .actual_access:  read_only
        .address_space:  global
        .offset:         8
        .size:           8
        .value_kind:     global_buffer
      - .actual_access:  read_only
        .address_space:  global
        .offset:         16
        .size:           8
        .value_kind:     global_buffer
      - .offset:         24
        .size:           4
        .value_kind:     by_value
      - .offset:         28
        .size:           4
        .value_kind:     by_value
      - .actual_access:  read_only
        .address_space:  global
        .offset:         32
        .size:           8
        .value_kind:     global_buffer
      - .actual_access:  read_only
        .address_space:  global
        .offset:         40
        .size:           8
        .value_kind:     global_buffer
      - .actual_access:  read_only
        .address_space:  global
        .offset:         48
        .size:           8
        .value_kind:     global_buffer
      - .offset:         56
        .size:           4
        .value_kind:     by_value
      - .actual_access:  read_only
        .address_space:  global
        .offset:         64
        .size:           8
        .value_kind:     global_buffer
      - .offset:         72
        .size:           4
        .value_kind:     by_value
      - .offset:         76
        .size:           4
        .value_kind:     by_value
      - .offset:         80
        .size:           4
        .value_kind:     by_value
      - .actual_access:  write_only
        .address_space:  global
        .offset:         88
        .size:           8
        .value_kind:     global_buffer
      - .actual_access:  write_only
        .address_space:  global
        .offset:         96
        .size:           8
        .value_kind:     global_buffer
      - .actual_access:  write_only
        .address_space:  global
        .offset:         104
        .size:           8
        .value_kind:     global_buffer
      - .actual_access:  read_only
        .address_space:  global
        .offset:         112
        .size:           8
        .value_kind:     global_buffer
      - .offset:         120
        .size:           4
        .value_kind:     by_value
      - .address_space:  global
        .offset:         128
        .size:           8
        .value_kind:     global_buffer
      - .address_space:  global
        .offset:         136
        .size:           8
        .value_kind:     global_buffer
      - .offset:         144
        .size:           4
        .value_kind:     hidden_block_count_x
      - .offset:         148
        .size:           4
        .value_kind:     hidden_block_count_y
      - .offset:         152
        .size:           4
        .value_kind:     hidden_block_count_z
      - .offset:         156
        .size:           2
        .value_kind:     hidden_group_size_x
      - .offset:         158
        .size:           2
        .value_kind:     hidden_group_size_y
      - .offset:         160
        .size:           2
        .value_kind:     hidden_group_size_z
      - .offset:         162
        .size:           2
        .value_kind:     hidden_remainder_x
      - .offset:         164
        .size:           2
        .value_kind:     hidden_remainder_y
      - .offset:         166
        .size:           2
        .value_kind:     hidden_remainder_z
      - .offset:         184
        .size:           8
        .value_kind:     hidden_global_offset_x
      - .offset:         192
        .size:           8
        .value_kind:     hidden_global_offset_y
      - .offset:         200
        .size:           8
        .value_kind:     hidden_global_offset_z
      - .offset:         208
        .size:           2
        .value_kind:     hidden_grid_dims
    .group_segment_fixed_size: 17472
    .kernarg_segment_align: 8
    .kernarg_segment_size: 400
    .language:       OpenCL C
    .language_version:
      - 2
      - 0
    .max_flat_workgroup_size: 256
    .name:           _Z39paged_attention_ll4mi_QKV_mfma16_kernelIDF16_DF16_LN4vllm18Fp8KVCacheDataTypeE0EhLi32ELi64ELi256ELb1ELi16EL8MFMAType0EEvPKT_PKT0_S8_ifPKiSA_SA_iPKfiiiPfSD_PS3_PT2_iSC_SC_
    .private_segment_fixed_size: 0
    .sgpr_count:     41
    .sgpr_spill_count: 0
    .symbol:         _Z39paged_attention_ll4mi_QKV_mfma16_kernelIDF16_DF16_LN4vllm18Fp8KVCacheDataTypeE0EhLi32ELi64ELi256ELb1ELi16EL8MFMAType0EEvPKT_PKT0_S8_ifPKiSA_SA_iPKfiiiPfSD_PS3_PT2_iSC_SC_.kd
    .uniform_work_group_size: 1
    .uses_dynamic_stack: false
    .vgpr_count:     149
    .vgpr_spill_count: 0
    .wavefront_size: 32
    .workgroup_processor_mode: 1
  - .args:
      - .actual_access:  read_only
        .address_space:  global
        .offset:         0
        .size:           8
        .value_kind:     global_buffer
      - .actual_access:  read_only
        .address_space:  global
        .offset:         8
        .size:           8
        .value_kind:     global_buffer
      - .actual_access:  read_only
        .address_space:  global
        .offset:         16
        .size:           8
        .value_kind:     global_buffer
      - .offset:         24
        .size:           4
        .value_kind:     by_value
      - .offset:         28
        .size:           4
        .value_kind:     by_value
      - .actual_access:  read_only
        .address_space:  global
        .offset:         32
        .size:           8
        .value_kind:     global_buffer
      - .actual_access:  read_only
        .address_space:  global
        .offset:         40
        .size:           8
        .value_kind:     global_buffer
      - .actual_access:  read_only
        .address_space:  global
        .offset:         48
        .size:           8
        .value_kind:     global_buffer
      - .offset:         56
        .size:           4
        .value_kind:     by_value
      - .actual_access:  read_only
        .address_space:  global
        .offset:         64
        .size:           8
        .value_kind:     global_buffer
      - .offset:         72
        .size:           4
        .value_kind:     by_value
      - .offset:         76
        .size:           4
        .value_kind:     by_value
      - .offset:         80
        .size:           4
        .value_kind:     by_value
      - .actual_access:  write_only
        .address_space:  global
        .offset:         88
        .size:           8
        .value_kind:     global_buffer
      - .actual_access:  write_only
        .address_space:  global
        .offset:         96
        .size:           8
        .value_kind:     global_buffer
      - .actual_access:  write_only
        .address_space:  global
        .offset:         104
        .size:           8
        .value_kind:     global_buffer
      - .actual_access:  read_only
        .address_space:  global
        .offset:         112
        .size:           8
        .value_kind:     global_buffer
      - .offset:         120
        .size:           4
        .value_kind:     by_value
      - .address_space:  global
        .offset:         128
        .size:           8
        .value_kind:     global_buffer
      - .address_space:  global
        .offset:         136
        .size:           8
        .value_kind:     global_buffer
      - .offset:         144
        .size:           4
        .value_kind:     hidden_block_count_x
      - .offset:         148
        .size:           4
        .value_kind:     hidden_block_count_y
      - .offset:         152
        .size:           4
        .value_kind:     hidden_block_count_z
      - .offset:         156
        .size:           2
        .value_kind:     hidden_group_size_x
      - .offset:         158
        .size:           2
        .value_kind:     hidden_group_size_y
      - .offset:         160
        .size:           2
        .value_kind:     hidden_group_size_z
      - .offset:         162
        .size:           2
        .value_kind:     hidden_remainder_x
      - .offset:         164
        .size:           2
        .value_kind:     hidden_remainder_y
      - .offset:         166
        .size:           2
        .value_kind:     hidden_remainder_z
      - .offset:         184
        .size:           8
        .value_kind:     hidden_global_offset_x
      - .offset:         192
        .size:           8
        .value_kind:     hidden_global_offset_y
      - .offset:         200
        .size:           8
        .value_kind:     hidden_global_offset_z
      - .offset:         208
        .size:           2
        .value_kind:     hidden_grid_dims
    .group_segment_fixed_size: 17472
    .kernarg_segment_align: 8
    .kernarg_segment_size: 400
    .language:       OpenCL C
    .language_version:
      - 2
      - 0
    .max_flat_workgroup_size: 256
    .name:           _Z39paged_attention_ll4mi_QKV_mfma16_kernelIDF16_DF16_LN4vllm18Fp8KVCacheDataTypeE0EhLi32ELi64ELi256ELb1ELi1EL8MFMAType0EEvPKT_PKT0_S8_ifPKiSA_SA_iPKfiiiPfSD_PS3_PT2_iSC_SC_
    .private_segment_fixed_size: 0
    .sgpr_count:     71
    .sgpr_spill_count: 0
    .symbol:         _Z39paged_attention_ll4mi_QKV_mfma16_kernelIDF16_DF16_LN4vllm18Fp8KVCacheDataTypeE0EhLi32ELi64ELi256ELb1ELi1EL8MFMAType0EEvPKT_PKT0_S8_ifPKiSA_SA_iPKfiiiPfSD_PS3_PT2_iSC_SC_.kd
    .uniform_work_group_size: 1
    .uses_dynamic_stack: false
    .vgpr_count:     146
    .vgpr_spill_count: 0
    .wavefront_size: 32
    .workgroup_processor_mode: 1
  - .args:
      - .actual_access:  read_only
        .address_space:  global
        .offset:         0
        .size:           8
        .value_kind:     global_buffer
      - .actual_access:  read_only
        .address_space:  global
        .offset:         8
        .size:           8
        .value_kind:     global_buffer
      - .actual_access:  read_only
        .address_space:  global
        .offset:         16
        .size:           8
        .value_kind:     global_buffer
      - .offset:         24
        .size:           4
        .value_kind:     by_value
      - .offset:         28
        .size:           4
        .value_kind:     by_value
      - .actual_access:  read_only
        .address_space:  global
        .offset:         32
        .size:           8
        .value_kind:     global_buffer
      - .actual_access:  read_only
        .address_space:  global
        .offset:         40
        .size:           8
        .value_kind:     global_buffer
      - .actual_access:  read_only
        .address_space:  global
        .offset:         48
        .size:           8
        .value_kind:     global_buffer
      - .offset:         56
        .size:           4
        .value_kind:     by_value
      - .actual_access:  read_only
        .address_space:  global
        .offset:         64
        .size:           8
        .value_kind:     global_buffer
      - .offset:         72
        .size:           4
        .value_kind:     by_value
      - .offset:         76
        .size:           4
        .value_kind:     by_value
      - .offset:         80
        .size:           4
        .value_kind:     by_value
      - .actual_access:  write_only
        .address_space:  global
        .offset:         88
        .size:           8
        .value_kind:     global_buffer
      - .actual_access:  write_only
        .address_space:  global
        .offset:         96
        .size:           8
        .value_kind:     global_buffer
      - .actual_access:  write_only
        .address_space:  global
        .offset:         104
        .size:           8
        .value_kind:     global_buffer
      - .actual_access:  read_only
        .address_space:  global
        .offset:         112
        .size:           8
        .value_kind:     global_buffer
      - .offset:         120
        .size:           4
        .value_kind:     by_value
      - .address_space:  global
        .offset:         128
        .size:           8
        .value_kind:     global_buffer
      - .address_space:  global
        .offset:         136
        .size:           8
        .value_kind:     global_buffer
      - .offset:         144
        .size:           4
        .value_kind:     hidden_block_count_x
      - .offset:         148
        .size:           4
        .value_kind:     hidden_block_count_y
      - .offset:         152
        .size:           4
        .value_kind:     hidden_block_count_z
      - .offset:         156
        .size:           2
        .value_kind:     hidden_group_size_x
      - .offset:         158
        .size:           2
        .value_kind:     hidden_group_size_y
      - .offset:         160
        .size:           2
        .value_kind:     hidden_group_size_z
      - .offset:         162
        .size:           2
        .value_kind:     hidden_remainder_x
      - .offset:         164
        .size:           2
        .value_kind:     hidden_remainder_y
      - .offset:         166
        .size:           2
        .value_kind:     hidden_remainder_z
      - .offset:         184
        .size:           8
        .value_kind:     hidden_global_offset_x
      - .offset:         192
        .size:           8
        .value_kind:     hidden_global_offset_y
      - .offset:         200
        .size:           8
        .value_kind:     hidden_global_offset_z
      - .offset:         208
        .size:           2
        .value_kind:     hidden_grid_dims
    .group_segment_fixed_size: 17472
    .kernarg_segment_align: 8
    .kernarg_segment_size: 400
    .language:       OpenCL C
    .language_version:
      - 2
      - 0
    .max_flat_workgroup_size: 256
    .name:           _Z39paged_attention_ll4mi_QKV_mfma16_kernelIDF16_DF16_LN4vllm18Fp8KVCacheDataTypeE0EhLi32ELi64ELi256ELb1ELi2EL8MFMAType0EEvPKT_PKT0_S8_ifPKiSA_SA_iPKfiiiPfSD_PS3_PT2_iSC_SC_
    .private_segment_fixed_size: 0
    .sgpr_count:     42
    .sgpr_spill_count: 0
    .symbol:         _Z39paged_attention_ll4mi_QKV_mfma16_kernelIDF16_DF16_LN4vllm18Fp8KVCacheDataTypeE0EhLi32ELi64ELi256ELb1ELi2EL8MFMAType0EEvPKT_PKT0_S8_ifPKiSA_SA_iPKfiiiPfSD_PS3_PT2_iSC_SC_.kd
    .uniform_work_group_size: 1
    .uses_dynamic_stack: false
    .vgpr_count:     156
    .vgpr_spill_count: 0
    .wavefront_size: 32
    .workgroup_processor_mode: 1
  - .args:
      - .actual_access:  read_only
        .address_space:  global
        .offset:         0
        .size:           8
        .value_kind:     global_buffer
      - .actual_access:  read_only
        .address_space:  global
        .offset:         8
        .size:           8
        .value_kind:     global_buffer
      - .actual_access:  read_only
        .address_space:  global
        .offset:         16
        .size:           8
        .value_kind:     global_buffer
      - .offset:         24
        .size:           4
        .value_kind:     by_value
      - .offset:         28
        .size:           4
        .value_kind:     by_value
      - .actual_access:  read_only
        .address_space:  global
        .offset:         32
        .size:           8
        .value_kind:     global_buffer
      - .actual_access:  read_only
        .address_space:  global
        .offset:         40
        .size:           8
        .value_kind:     global_buffer
      - .actual_access:  read_only
        .address_space:  global
        .offset:         48
        .size:           8
        .value_kind:     global_buffer
      - .offset:         56
        .size:           4
        .value_kind:     by_value
      - .actual_access:  read_only
        .address_space:  global
        .offset:         64
        .size:           8
        .value_kind:     global_buffer
      - .offset:         72
        .size:           4
        .value_kind:     by_value
      - .offset:         76
        .size:           4
        .value_kind:     by_value
      - .offset:         80
        .size:           4
        .value_kind:     by_value
      - .actual_access:  write_only
        .address_space:  global
        .offset:         88
        .size:           8
        .value_kind:     global_buffer
      - .actual_access:  write_only
        .address_space:  global
        .offset:         96
        .size:           8
        .value_kind:     global_buffer
      - .actual_access:  write_only
        .address_space:  global
        .offset:         104
        .size:           8
        .value_kind:     global_buffer
      - .actual_access:  read_only
        .address_space:  global
        .offset:         112
        .size:           8
        .value_kind:     global_buffer
      - .offset:         120
        .size:           4
        .value_kind:     by_value
      - .address_space:  global
        .offset:         128
        .size:           8
        .value_kind:     global_buffer
      - .address_space:  global
        .offset:         136
        .size:           8
        .value_kind:     global_buffer
      - .offset:         144
        .size:           4
        .value_kind:     hidden_block_count_x
      - .offset:         148
        .size:           4
        .value_kind:     hidden_block_count_y
      - .offset:         152
        .size:           4
        .value_kind:     hidden_block_count_z
      - .offset:         156
        .size:           2
        .value_kind:     hidden_group_size_x
      - .offset:         158
        .size:           2
        .value_kind:     hidden_group_size_y
      - .offset:         160
        .size:           2
        .value_kind:     hidden_group_size_z
      - .offset:         162
        .size:           2
        .value_kind:     hidden_remainder_x
      - .offset:         164
        .size:           2
        .value_kind:     hidden_remainder_y
      - .offset:         166
        .size:           2
        .value_kind:     hidden_remainder_z
      - .offset:         184
        .size:           8
        .value_kind:     hidden_global_offset_x
      - .offset:         192
        .size:           8
        .value_kind:     hidden_global_offset_y
      - .offset:         200
        .size:           8
        .value_kind:     hidden_global_offset_z
      - .offset:         208
        .size:           2
        .value_kind:     hidden_grid_dims
    .group_segment_fixed_size: 17472
    .kernarg_segment_align: 8
    .kernarg_segment_size: 400
    .language:       OpenCL C
    .language_version:
      - 2
      - 0
    .max_flat_workgroup_size: 256
    .name:           _Z39paged_attention_ll4mi_QKV_mfma16_kernelIDF16_DF16_LN4vllm18Fp8KVCacheDataTypeE0EhLi32ELi64ELi256ELb1ELi3EL8MFMAType0EEvPKT_PKT0_S8_ifPKiSA_SA_iPKfiiiPfSD_PS3_PT2_iSC_SC_
    .private_segment_fixed_size: 0
    .sgpr_count:     41
    .sgpr_spill_count: 0
    .symbol:         _Z39paged_attention_ll4mi_QKV_mfma16_kernelIDF16_DF16_LN4vllm18Fp8KVCacheDataTypeE0EhLi32ELi64ELi256ELb1ELi3EL8MFMAType0EEvPKT_PKT0_S8_ifPKiSA_SA_iPKfiiiPfSD_PS3_PT2_iSC_SC_.kd
    .uniform_work_group_size: 1
    .uses_dynamic_stack: false
    .vgpr_count:     154
    .vgpr_spill_count: 0
    .wavefront_size: 32
    .workgroup_processor_mode: 1
  - .args:
      - .actual_access:  read_only
        .address_space:  global
        .offset:         0
        .size:           8
        .value_kind:     global_buffer
      - .actual_access:  read_only
        .address_space:  global
        .offset:         8
        .size:           8
        .value_kind:     global_buffer
      - .actual_access:  read_only
        .address_space:  global
        .offset:         16
        .size:           8
        .value_kind:     global_buffer
      - .offset:         24
        .size:           4
        .value_kind:     by_value
      - .offset:         28
        .size:           4
        .value_kind:     by_value
      - .actual_access:  read_only
        .address_space:  global
        .offset:         32
        .size:           8
        .value_kind:     global_buffer
      - .actual_access:  read_only
        .address_space:  global
        .offset:         40
        .size:           8
        .value_kind:     global_buffer
      - .actual_access:  read_only
        .address_space:  global
        .offset:         48
        .size:           8
        .value_kind:     global_buffer
      - .offset:         56
        .size:           4
        .value_kind:     by_value
      - .actual_access:  read_only
        .address_space:  global
        .offset:         64
        .size:           8
        .value_kind:     global_buffer
      - .offset:         72
        .size:           4
        .value_kind:     by_value
      - .offset:         76
        .size:           4
        .value_kind:     by_value
      - .offset:         80
        .size:           4
        .value_kind:     by_value
      - .actual_access:  write_only
        .address_space:  global
        .offset:         88
        .size:           8
        .value_kind:     global_buffer
      - .actual_access:  write_only
        .address_space:  global
        .offset:         96
        .size:           8
        .value_kind:     global_buffer
      - .actual_access:  write_only
        .address_space:  global
        .offset:         104
        .size:           8
        .value_kind:     global_buffer
      - .actual_access:  read_only
        .address_space:  global
        .offset:         112
        .size:           8
        .value_kind:     global_buffer
      - .offset:         120
        .size:           4
        .value_kind:     by_value
      - .address_space:  global
        .offset:         128
        .size:           8
        .value_kind:     global_buffer
      - .address_space:  global
        .offset:         136
        .size:           8
        .value_kind:     global_buffer
      - .offset:         144
        .size:           4
        .value_kind:     hidden_block_count_x
      - .offset:         148
        .size:           4
        .value_kind:     hidden_block_count_y
      - .offset:         152
        .size:           4
        .value_kind:     hidden_block_count_z
      - .offset:         156
        .size:           2
        .value_kind:     hidden_group_size_x
      - .offset:         158
        .size:           2
        .value_kind:     hidden_group_size_y
      - .offset:         160
        .size:           2
        .value_kind:     hidden_group_size_z
      - .offset:         162
        .size:           2
        .value_kind:     hidden_remainder_x
      - .offset:         164
        .size:           2
        .value_kind:     hidden_remainder_y
      - .offset:         166
        .size:           2
        .value_kind:     hidden_remainder_z
      - .offset:         184
        .size:           8
        .value_kind:     hidden_global_offset_x
      - .offset:         192
        .size:           8
        .value_kind:     hidden_global_offset_y
      - .offset:         200
        .size:           8
        .value_kind:     hidden_global_offset_z
      - .offset:         208
        .size:           2
        .value_kind:     hidden_grid_dims
    .group_segment_fixed_size: 17472
    .kernarg_segment_align: 8
    .kernarg_segment_size: 400
    .language:       OpenCL C
    .language_version:
      - 2
      - 0
    .max_flat_workgroup_size: 256
    .name:           _Z39paged_attention_ll4mi_QKV_mfma16_kernelIDF16_DF16_LN4vllm18Fp8KVCacheDataTypeE0EhLi32ELi64ELi256ELb1ELi4EL8MFMAType0EEvPKT_PKT0_S8_ifPKiSA_SA_iPKfiiiPfSD_PS3_PT2_iSC_SC_
    .private_segment_fixed_size: 0
    .sgpr_count:     41
    .sgpr_spill_count: 0
    .symbol:         _Z39paged_attention_ll4mi_QKV_mfma16_kernelIDF16_DF16_LN4vllm18Fp8KVCacheDataTypeE0EhLi32ELi64ELi256ELb1ELi4EL8MFMAType0EEvPKT_PKT0_S8_ifPKiSA_SA_iPKfiiiPfSD_PS3_PT2_iSC_SC_.kd
    .uniform_work_group_size: 1
    .uses_dynamic_stack: false
    .vgpr_count:     154
    .vgpr_spill_count: 0
    .wavefront_size: 32
    .workgroup_processor_mode: 1
  - .args:
      - .actual_access:  read_only
        .address_space:  global
        .offset:         0
        .size:           8
        .value_kind:     global_buffer
      - .actual_access:  read_only
        .address_space:  global
        .offset:         8
        .size:           8
        .value_kind:     global_buffer
      - .actual_access:  read_only
        .address_space:  global
        .offset:         16
        .size:           8
        .value_kind:     global_buffer
      - .offset:         24
        .size:           4
        .value_kind:     by_value
      - .offset:         28
        .size:           4
        .value_kind:     by_value
      - .actual_access:  read_only
        .address_space:  global
        .offset:         32
        .size:           8
        .value_kind:     global_buffer
      - .actual_access:  read_only
        .address_space:  global
        .offset:         40
        .size:           8
        .value_kind:     global_buffer
      - .actual_access:  read_only
        .address_space:  global
        .offset:         48
        .size:           8
        .value_kind:     global_buffer
      - .offset:         56
        .size:           4
        .value_kind:     by_value
      - .actual_access:  read_only
        .address_space:  global
        .offset:         64
        .size:           8
        .value_kind:     global_buffer
      - .offset:         72
        .size:           4
        .value_kind:     by_value
      - .offset:         76
        .size:           4
        .value_kind:     by_value
      - .offset:         80
        .size:           4
        .value_kind:     by_value
      - .actual_access:  read_only
        .address_space:  global
        .offset:         88
        .size:           8
        .value_kind:     global_buffer
      - .actual_access:  read_only
        .address_space:  global
        .offset:         96
        .size:           8
        .value_kind:     global_buffer
      - .actual_access:  read_only
        .address_space:  global
        .offset:         104
        .size:           8
        .value_kind:     global_buffer
      - .actual_access:  read_only
        .address_space:  global
        .offset:         112
        .size:           8
        .value_kind:     global_buffer
      - .offset:         120
        .size:           4
        .value_kind:     by_value
      - .address_space:  global
        .offset:         128
        .size:           8
        .value_kind:     global_buffer
      - .address_space:  global
        .offset:         136
        .size:           8
        .value_kind:     global_buffer
      - .offset:         144
        .size:           4
        .value_kind:     hidden_block_count_x
      - .offset:         148
        .size:           4
        .value_kind:     hidden_block_count_y
      - .offset:         152
        .size:           4
        .value_kind:     hidden_block_count_z
      - .offset:         156
        .size:           2
        .value_kind:     hidden_group_size_x
      - .offset:         158
        .size:           2
        .value_kind:     hidden_group_size_y
      - .offset:         160
        .size:           2
        .value_kind:     hidden_group_size_z
      - .offset:         162
        .size:           2
        .value_kind:     hidden_remainder_x
      - .offset:         164
        .size:           2
        .value_kind:     hidden_remainder_y
      - .offset:         166
        .size:           2
        .value_kind:     hidden_remainder_z
      - .offset:         184
        .size:           8
        .value_kind:     hidden_global_offset_x
      - .offset:         192
        .size:           8
        .value_kind:     hidden_global_offset_y
      - .offset:         200
        .size:           8
        .value_kind:     hidden_global_offset_z
      - .offset:         208
        .size:           2
        .value_kind:     hidden_grid_dims
      - .offset:         224
        .size:           8
        .value_kind:     hidden_hostcall_buffer
    .group_segment_fixed_size: 0
    .kernarg_segment_align: 8
    .kernarg_segment_size: 400
    .language:       OpenCL C
    .language_version:
      - 2
      - 0
    .max_flat_workgroup_size: 256
    .name:           _Z38paged_attention_ll4mi_QKV_mfma4_kernelIDF16_DF16_LN4vllm18Fp8KVCacheDataTypeE0EhLi32ELi64ELi256ELb0ELi1EEvPKT_PKT0_S7_ifPKiS9_S9_iPKfiiiPfSC_PS2_PT2_iSB_SB_
    .private_segment_fixed_size: 64
    .sgpr_count:     36
    .sgpr_spill_count: 0
    .symbol:         _Z38paged_attention_ll4mi_QKV_mfma4_kernelIDF16_DF16_LN4vllm18Fp8KVCacheDataTypeE0EhLi32ELi64ELi256ELb0ELi1EEvPKT_PKT0_S7_ifPKiS9_S9_iPKfiiiPfSC_PS2_PT2_iSB_SB_.kd
    .uniform_work_group_size: 1
    .uses_dynamic_stack: false
    .vgpr_count:     41
    .vgpr_spill_count: 0
    .wavefront_size: 32
    .workgroup_processor_mode: 1
  - .args:
      - .actual_access:  read_only
        .address_space:  global
        .offset:         0
        .size:           8
        .value_kind:     global_buffer
      - .actual_access:  read_only
        .address_space:  global
        .offset:         8
        .size:           8
        .value_kind:     global_buffer
      - .actual_access:  read_only
        .address_space:  global
        .offset:         16
        .size:           8
        .value_kind:     global_buffer
      - .offset:         24
        .size:           4
        .value_kind:     by_value
      - .offset:         28
        .size:           4
        .value_kind:     by_value
      - .actual_access:  read_only
        .address_space:  global
        .offset:         32
        .size:           8
        .value_kind:     global_buffer
      - .actual_access:  read_only
        .address_space:  global
        .offset:         40
        .size:           8
        .value_kind:     global_buffer
      - .actual_access:  read_only
        .address_space:  global
        .offset:         48
        .size:           8
        .value_kind:     global_buffer
      - .offset:         56
        .size:           4
        .value_kind:     by_value
      - .actual_access:  read_only
        .address_space:  global
        .offset:         64
        .size:           8
        .value_kind:     global_buffer
      - .offset:         72
        .size:           4
        .value_kind:     by_value
      - .offset:         76
        .size:           4
        .value_kind:     by_value
      - .offset:         80
        .size:           4
        .value_kind:     by_value
      - .actual_access:  read_only
        .address_space:  global
        .offset:         88
        .size:           8
        .value_kind:     global_buffer
      - .actual_access:  read_only
        .address_space:  global
        .offset:         96
        .size:           8
        .value_kind:     global_buffer
      - .actual_access:  read_only
        .address_space:  global
        .offset:         104
        .size:           8
        .value_kind:     global_buffer
      - .actual_access:  read_only
        .address_space:  global
        .offset:         112
        .size:           8
        .value_kind:     global_buffer
      - .offset:         120
        .size:           4
        .value_kind:     by_value
      - .address_space:  global
        .offset:         128
        .size:           8
        .value_kind:     global_buffer
      - .address_space:  global
        .offset:         136
        .size:           8
        .value_kind:     global_buffer
      - .offset:         144
        .size:           4
        .value_kind:     hidden_block_count_x
      - .offset:         148
        .size:           4
        .value_kind:     hidden_block_count_y
      - .offset:         152
        .size:           4
        .value_kind:     hidden_block_count_z
      - .offset:         156
        .size:           2
        .value_kind:     hidden_group_size_x
      - .offset:         158
        .size:           2
        .value_kind:     hidden_group_size_y
      - .offset:         160
        .size:           2
        .value_kind:     hidden_group_size_z
      - .offset:         162
        .size:           2
        .value_kind:     hidden_remainder_x
      - .offset:         164
        .size:           2
        .value_kind:     hidden_remainder_y
      - .offset:         166
        .size:           2
        .value_kind:     hidden_remainder_z
      - .offset:         184
        .size:           8
        .value_kind:     hidden_global_offset_x
      - .offset:         192
        .size:           8
        .value_kind:     hidden_global_offset_y
      - .offset:         200
        .size:           8
        .value_kind:     hidden_global_offset_z
      - .offset:         208
        .size:           2
        .value_kind:     hidden_grid_dims
      - .offset:         224
        .size:           8
        .value_kind:     hidden_hostcall_buffer
    .group_segment_fixed_size: 0
    .kernarg_segment_align: 8
    .kernarg_segment_size: 400
    .language:       OpenCL C
    .language_version:
      - 2
      - 0
    .max_flat_workgroup_size: 256
    .name:           _Z38paged_attention_ll4mi_QKV_mfma4_kernelIDF16_DF16_LN4vllm18Fp8KVCacheDataTypeE0EhLi32ELi64ELi256ELb0ELi2EEvPKT_PKT0_S7_ifPKiS9_S9_iPKfiiiPfSC_PS2_PT2_iSB_SB_
    .private_segment_fixed_size: 64
    .sgpr_count:     36
    .sgpr_spill_count: 0
    .symbol:         _Z38paged_attention_ll4mi_QKV_mfma4_kernelIDF16_DF16_LN4vllm18Fp8KVCacheDataTypeE0EhLi32ELi64ELi256ELb0ELi2EEvPKT_PKT0_S7_ifPKiS9_S9_iPKfiiiPfSC_PS2_PT2_iSB_SB_.kd
    .uniform_work_group_size: 1
    .uses_dynamic_stack: false
    .vgpr_count:     41
    .vgpr_spill_count: 0
    .wavefront_size: 32
    .workgroup_processor_mode: 1
  - .args:
      - .actual_access:  read_only
        .address_space:  global
        .offset:         0
        .size:           8
        .value_kind:     global_buffer
      - .actual_access:  read_only
        .address_space:  global
        .offset:         8
        .size:           8
        .value_kind:     global_buffer
      - .actual_access:  read_only
        .address_space:  global
        .offset:         16
        .size:           8
        .value_kind:     global_buffer
      - .offset:         24
        .size:           4
        .value_kind:     by_value
      - .offset:         28
        .size:           4
        .value_kind:     by_value
      - .actual_access:  read_only
        .address_space:  global
        .offset:         32
        .size:           8
        .value_kind:     global_buffer
      - .actual_access:  read_only
        .address_space:  global
        .offset:         40
        .size:           8
        .value_kind:     global_buffer
      - .actual_access:  read_only
        .address_space:  global
        .offset:         48
        .size:           8
        .value_kind:     global_buffer
      - .offset:         56
        .size:           4
        .value_kind:     by_value
      - .actual_access:  read_only
        .address_space:  global
        .offset:         64
        .size:           8
        .value_kind:     global_buffer
      - .offset:         72
        .size:           4
        .value_kind:     by_value
      - .offset:         76
        .size:           4
        .value_kind:     by_value
      - .offset:         80
        .size:           4
        .value_kind:     by_value
      - .actual_access:  read_only
        .address_space:  global
        .offset:         88
        .size:           8
        .value_kind:     global_buffer
      - .actual_access:  read_only
        .address_space:  global
        .offset:         96
        .size:           8
        .value_kind:     global_buffer
      - .actual_access:  read_only
        .address_space:  global
        .offset:         104
        .size:           8
        .value_kind:     global_buffer
      - .actual_access:  read_only
        .address_space:  global
        .offset:         112
        .size:           8
        .value_kind:     global_buffer
      - .offset:         120
        .size:           4
        .value_kind:     by_value
      - .address_space:  global
        .offset:         128
        .size:           8
        .value_kind:     global_buffer
      - .address_space:  global
        .offset:         136
        .size:           8
        .value_kind:     global_buffer
      - .offset:         144
        .size:           4
        .value_kind:     hidden_block_count_x
      - .offset:         148
        .size:           4
        .value_kind:     hidden_block_count_y
      - .offset:         152
        .size:           4
        .value_kind:     hidden_block_count_z
      - .offset:         156
        .size:           2
        .value_kind:     hidden_group_size_x
      - .offset:         158
        .size:           2
        .value_kind:     hidden_group_size_y
      - .offset:         160
        .size:           2
        .value_kind:     hidden_group_size_z
      - .offset:         162
        .size:           2
        .value_kind:     hidden_remainder_x
      - .offset:         164
        .size:           2
        .value_kind:     hidden_remainder_y
      - .offset:         166
        .size:           2
        .value_kind:     hidden_remainder_z
      - .offset:         184
        .size:           8
        .value_kind:     hidden_global_offset_x
      - .offset:         192
        .size:           8
        .value_kind:     hidden_global_offset_y
      - .offset:         200
        .size:           8
        .value_kind:     hidden_global_offset_z
      - .offset:         208
        .size:           2
        .value_kind:     hidden_grid_dims
      - .offset:         224
        .size:           8
        .value_kind:     hidden_hostcall_buffer
    .group_segment_fixed_size: 0
    .kernarg_segment_align: 8
    .kernarg_segment_size: 400
    .language:       OpenCL C
    .language_version:
      - 2
      - 0
    .max_flat_workgroup_size: 256
    .name:           _Z38paged_attention_ll4mi_QKV_mfma4_kernelIDF16_DF16_LN4vllm18Fp8KVCacheDataTypeE0EhLi32ELi64ELi256ELb0ELi3EEvPKT_PKT0_S7_ifPKiS9_S9_iPKfiiiPfSC_PS2_PT2_iSB_SB_
    .private_segment_fixed_size: 64
    .sgpr_count:     36
    .sgpr_spill_count: 0
    .symbol:         _Z38paged_attention_ll4mi_QKV_mfma4_kernelIDF16_DF16_LN4vllm18Fp8KVCacheDataTypeE0EhLi32ELi64ELi256ELb0ELi3EEvPKT_PKT0_S7_ifPKiS9_S9_iPKfiiiPfSC_PS2_PT2_iSB_SB_.kd
    .uniform_work_group_size: 1
    .uses_dynamic_stack: false
    .vgpr_count:     41
    .vgpr_spill_count: 0
    .wavefront_size: 32
    .workgroup_processor_mode: 1
  - .args:
      - .actual_access:  read_only
        .address_space:  global
        .offset:         0
        .size:           8
        .value_kind:     global_buffer
      - .actual_access:  read_only
        .address_space:  global
        .offset:         8
        .size:           8
        .value_kind:     global_buffer
      - .actual_access:  read_only
        .address_space:  global
        .offset:         16
        .size:           8
        .value_kind:     global_buffer
      - .offset:         24
        .size:           4
        .value_kind:     by_value
      - .offset:         28
        .size:           4
        .value_kind:     by_value
      - .actual_access:  read_only
        .address_space:  global
        .offset:         32
        .size:           8
        .value_kind:     global_buffer
      - .actual_access:  read_only
        .address_space:  global
        .offset:         40
        .size:           8
        .value_kind:     global_buffer
      - .actual_access:  read_only
        .address_space:  global
        .offset:         48
        .size:           8
        .value_kind:     global_buffer
      - .offset:         56
        .size:           4
        .value_kind:     by_value
      - .actual_access:  read_only
        .address_space:  global
        .offset:         64
        .size:           8
        .value_kind:     global_buffer
      - .offset:         72
        .size:           4
        .value_kind:     by_value
      - .offset:         76
        .size:           4
        .value_kind:     by_value
      - .offset:         80
        .size:           4
        .value_kind:     by_value
      - .actual_access:  read_only
        .address_space:  global
        .offset:         88
        .size:           8
        .value_kind:     global_buffer
      - .actual_access:  read_only
        .address_space:  global
        .offset:         96
        .size:           8
        .value_kind:     global_buffer
      - .actual_access:  read_only
        .address_space:  global
        .offset:         104
        .size:           8
        .value_kind:     global_buffer
      - .actual_access:  read_only
        .address_space:  global
        .offset:         112
        .size:           8
        .value_kind:     global_buffer
      - .offset:         120
        .size:           4
        .value_kind:     by_value
      - .address_space:  global
        .offset:         128
        .size:           8
        .value_kind:     global_buffer
      - .address_space:  global
        .offset:         136
        .size:           8
        .value_kind:     global_buffer
      - .offset:         144
        .size:           4
        .value_kind:     hidden_block_count_x
      - .offset:         148
        .size:           4
        .value_kind:     hidden_block_count_y
      - .offset:         152
        .size:           4
        .value_kind:     hidden_block_count_z
      - .offset:         156
        .size:           2
        .value_kind:     hidden_group_size_x
      - .offset:         158
        .size:           2
        .value_kind:     hidden_group_size_y
      - .offset:         160
        .size:           2
        .value_kind:     hidden_group_size_z
      - .offset:         162
        .size:           2
        .value_kind:     hidden_remainder_x
      - .offset:         164
        .size:           2
        .value_kind:     hidden_remainder_y
      - .offset:         166
        .size:           2
        .value_kind:     hidden_remainder_z
      - .offset:         184
        .size:           8
        .value_kind:     hidden_global_offset_x
      - .offset:         192
        .size:           8
        .value_kind:     hidden_global_offset_y
      - .offset:         200
        .size:           8
        .value_kind:     hidden_global_offset_z
      - .offset:         208
        .size:           2
        .value_kind:     hidden_grid_dims
      - .offset:         224
        .size:           8
        .value_kind:     hidden_hostcall_buffer
    .group_segment_fixed_size: 0
    .kernarg_segment_align: 8
    .kernarg_segment_size: 400
    .language:       OpenCL C
    .language_version:
      - 2
      - 0
    .max_flat_workgroup_size: 256
    .name:           _Z38paged_attention_ll4mi_QKV_mfma4_kernelIDF16_DF16_LN4vllm18Fp8KVCacheDataTypeE0EhLi32ELi64ELi256ELb0ELi4EEvPKT_PKT0_S7_ifPKiS9_S9_iPKfiiiPfSC_PS2_PT2_iSB_SB_
    .private_segment_fixed_size: 64
    .sgpr_count:     36
    .sgpr_spill_count: 0
    .symbol:         _Z38paged_attention_ll4mi_QKV_mfma4_kernelIDF16_DF16_LN4vllm18Fp8KVCacheDataTypeE0EhLi32ELi64ELi256ELb0ELi4EEvPKT_PKT0_S7_ifPKiS9_S9_iPKfiiiPfSC_PS2_PT2_iSB_SB_.kd
    .uniform_work_group_size: 1
    .uses_dynamic_stack: false
    .vgpr_count:     41
    .vgpr_spill_count: 0
    .wavefront_size: 32
    .workgroup_processor_mode: 1
  - .args:
      - .actual_access:  read_only
        .address_space:  global
        .offset:         0
        .size:           8
        .value_kind:     global_buffer
      - .actual_access:  read_only
        .address_space:  global
        .offset:         8
        .size:           8
        .value_kind:     global_buffer
      - .actual_access:  read_only
        .address_space:  global
        .offset:         16
        .size:           8
        .value_kind:     global_buffer
      - .offset:         24
        .size:           4
        .value_kind:     by_value
      - .offset:         28
        .size:           4
        .value_kind:     by_value
      - .actual_access:  read_only
        .address_space:  global
        .offset:         32
        .size:           8
        .value_kind:     global_buffer
      - .actual_access:  read_only
        .address_space:  global
        .offset:         40
        .size:           8
        .value_kind:     global_buffer
      - .actual_access:  read_only
        .address_space:  global
        .offset:         48
        .size:           8
        .value_kind:     global_buffer
      - .offset:         56
        .size:           4
        .value_kind:     by_value
      - .actual_access:  read_only
        .address_space:  global
        .offset:         64
        .size:           8
        .value_kind:     global_buffer
      - .offset:         72
        .size:           4
        .value_kind:     by_value
      - .offset:         76
        .size:           4
        .value_kind:     by_value
      - .offset:         80
        .size:           4
        .value_kind:     by_value
      - .actual_access:  write_only
        .address_space:  global
        .offset:         88
        .size:           8
        .value_kind:     global_buffer
      - .actual_access:  write_only
        .address_space:  global
        .offset:         96
        .size:           8
        .value_kind:     global_buffer
      - .actual_access:  write_only
        .address_space:  global
        .offset:         104
        .size:           8
        .value_kind:     global_buffer
      - .actual_access:  read_only
        .address_space:  global
        .offset:         112
        .size:           8
        .value_kind:     global_buffer
      - .offset:         120
        .size:           4
        .value_kind:     by_value
      - .address_space:  global
        .offset:         128
        .size:           8
        .value_kind:     global_buffer
      - .address_space:  global
        .offset:         136
        .size:           8
        .value_kind:     global_buffer
      - .offset:         144
        .size:           4
        .value_kind:     hidden_block_count_x
      - .offset:         148
        .size:           4
        .value_kind:     hidden_block_count_y
      - .offset:         152
        .size:           4
        .value_kind:     hidden_block_count_z
      - .offset:         156
        .size:           2
        .value_kind:     hidden_group_size_x
      - .offset:         158
        .size:           2
        .value_kind:     hidden_group_size_y
      - .offset:         160
        .size:           2
        .value_kind:     hidden_group_size_z
      - .offset:         162
        .size:           2
        .value_kind:     hidden_remainder_x
      - .offset:         164
        .size:           2
        .value_kind:     hidden_remainder_y
      - .offset:         166
        .size:           2
        .value_kind:     hidden_remainder_z
      - .offset:         184
        .size:           8
        .value_kind:     hidden_global_offset_x
      - .offset:         192
        .size:           8
        .value_kind:     hidden_global_offset_y
      - .offset:         200
        .size:           8
        .value_kind:     hidden_global_offset_z
      - .offset:         208
        .size:           2
        .value_kind:     hidden_grid_dims
    .group_segment_fixed_size: 17472
    .kernarg_segment_align: 8
    .kernarg_segment_size: 400
    .language:       OpenCL C
    .language_version:
      - 2
      - 0
    .max_flat_workgroup_size: 256
    .name:           _Z39paged_attention_ll4mi_QKV_mfma16_kernelIDF16_DF16_LN4vllm18Fp8KVCacheDataTypeE0EhLi32ELi64ELi256ELb0ELi5EL8MFMAType0EEvPKT_PKT0_S8_ifPKiSA_SA_iPKfiiiPfSD_PS3_PT2_iSC_SC_
    .private_segment_fixed_size: 0
    .sgpr_count:     41
    .sgpr_spill_count: 0
    .symbol:         _Z39paged_attention_ll4mi_QKV_mfma16_kernelIDF16_DF16_LN4vllm18Fp8KVCacheDataTypeE0EhLi32ELi64ELi256ELb0ELi5EL8MFMAType0EEvPKT_PKT0_S8_ifPKiSA_SA_iPKfiiiPfSD_PS3_PT2_iSC_SC_.kd
    .uniform_work_group_size: 1
    .uses_dynamic_stack: false
    .vgpr_count:     154
    .vgpr_spill_count: 0
    .wavefront_size: 32
    .workgroup_processor_mode: 1
  - .args:
      - .actual_access:  read_only
        .address_space:  global
        .offset:         0
        .size:           8
        .value_kind:     global_buffer
      - .actual_access:  read_only
        .address_space:  global
        .offset:         8
        .size:           8
        .value_kind:     global_buffer
      - .actual_access:  read_only
        .address_space:  global
        .offset:         16
        .size:           8
        .value_kind:     global_buffer
      - .offset:         24
        .size:           4
        .value_kind:     by_value
      - .offset:         28
        .size:           4
        .value_kind:     by_value
      - .actual_access:  read_only
        .address_space:  global
        .offset:         32
        .size:           8
        .value_kind:     global_buffer
      - .actual_access:  read_only
        .address_space:  global
        .offset:         40
        .size:           8
        .value_kind:     global_buffer
      - .actual_access:  read_only
        .address_space:  global
        .offset:         48
        .size:           8
        .value_kind:     global_buffer
      - .offset:         56
        .size:           4
        .value_kind:     by_value
      - .actual_access:  read_only
        .address_space:  global
        .offset:         64
        .size:           8
        .value_kind:     global_buffer
      - .offset:         72
        .size:           4
        .value_kind:     by_value
      - .offset:         76
        .size:           4
        .value_kind:     by_value
      - .offset:         80
        .size:           4
        .value_kind:     by_value
      - .actual_access:  write_only
        .address_space:  global
        .offset:         88
        .size:           8
        .value_kind:     global_buffer
      - .actual_access:  write_only
        .address_space:  global
        .offset:         96
        .size:           8
        .value_kind:     global_buffer
      - .actual_access:  write_only
        .address_space:  global
        .offset:         104
        .size:           8
        .value_kind:     global_buffer
      - .actual_access:  read_only
        .address_space:  global
        .offset:         112
        .size:           8
        .value_kind:     global_buffer
      - .offset:         120
        .size:           4
        .value_kind:     by_value
      - .address_space:  global
        .offset:         128
        .size:           8
        .value_kind:     global_buffer
      - .address_space:  global
        .offset:         136
        .size:           8
        .value_kind:     global_buffer
      - .offset:         144
        .size:           4
        .value_kind:     hidden_block_count_x
      - .offset:         148
        .size:           4
        .value_kind:     hidden_block_count_y
      - .offset:         152
        .size:           4
        .value_kind:     hidden_block_count_z
      - .offset:         156
        .size:           2
        .value_kind:     hidden_group_size_x
      - .offset:         158
        .size:           2
        .value_kind:     hidden_group_size_y
      - .offset:         160
        .size:           2
        .value_kind:     hidden_group_size_z
      - .offset:         162
        .size:           2
        .value_kind:     hidden_remainder_x
      - .offset:         164
        .size:           2
        .value_kind:     hidden_remainder_y
      - .offset:         166
        .size:           2
        .value_kind:     hidden_remainder_z
      - .offset:         184
        .size:           8
        .value_kind:     hidden_global_offset_x
      - .offset:         192
        .size:           8
        .value_kind:     hidden_global_offset_y
      - .offset:         200
        .size:           8
        .value_kind:     hidden_global_offset_z
      - .offset:         208
        .size:           2
        .value_kind:     hidden_grid_dims
    .group_segment_fixed_size: 17472
    .kernarg_segment_align: 8
    .kernarg_segment_size: 400
    .language:       OpenCL C
    .language_version:
      - 2
      - 0
    .max_flat_workgroup_size: 256
    .name:           _Z39paged_attention_ll4mi_QKV_mfma16_kernelIDF16_DF16_LN4vllm18Fp8KVCacheDataTypeE0EhLi32ELi64ELi256ELb0ELi6EL8MFMAType0EEvPKT_PKT0_S8_ifPKiSA_SA_iPKfiiiPfSD_PS3_PT2_iSC_SC_
    .private_segment_fixed_size: 0
    .sgpr_count:     41
    .sgpr_spill_count: 0
    .symbol:         _Z39paged_attention_ll4mi_QKV_mfma16_kernelIDF16_DF16_LN4vllm18Fp8KVCacheDataTypeE0EhLi32ELi64ELi256ELb0ELi6EL8MFMAType0EEvPKT_PKT0_S8_ifPKiSA_SA_iPKfiiiPfSD_PS3_PT2_iSC_SC_.kd
    .uniform_work_group_size: 1
    .uses_dynamic_stack: false
    .vgpr_count:     154
    .vgpr_spill_count: 0
    .wavefront_size: 32
    .workgroup_processor_mode: 1
  - .args:
      - .actual_access:  read_only
        .address_space:  global
        .offset:         0
        .size:           8
        .value_kind:     global_buffer
      - .actual_access:  read_only
        .address_space:  global
        .offset:         8
        .size:           8
        .value_kind:     global_buffer
      - .actual_access:  read_only
        .address_space:  global
        .offset:         16
        .size:           8
        .value_kind:     global_buffer
      - .offset:         24
        .size:           4
        .value_kind:     by_value
      - .offset:         28
        .size:           4
        .value_kind:     by_value
      - .actual_access:  read_only
        .address_space:  global
        .offset:         32
        .size:           8
        .value_kind:     global_buffer
      - .actual_access:  read_only
        .address_space:  global
        .offset:         40
        .size:           8
        .value_kind:     global_buffer
      - .actual_access:  read_only
        .address_space:  global
        .offset:         48
        .size:           8
        .value_kind:     global_buffer
      - .offset:         56
        .size:           4
        .value_kind:     by_value
      - .actual_access:  read_only
        .address_space:  global
        .offset:         64
        .size:           8
        .value_kind:     global_buffer
      - .offset:         72
        .size:           4
        .value_kind:     by_value
      - .offset:         76
        .size:           4
        .value_kind:     by_value
      - .offset:         80
        .size:           4
        .value_kind:     by_value
      - .actual_access:  write_only
        .address_space:  global
        .offset:         88
        .size:           8
        .value_kind:     global_buffer
      - .actual_access:  write_only
        .address_space:  global
        .offset:         96
        .size:           8
        .value_kind:     global_buffer
      - .actual_access:  write_only
        .address_space:  global
        .offset:         104
        .size:           8
        .value_kind:     global_buffer
      - .actual_access:  read_only
        .address_space:  global
        .offset:         112
        .size:           8
        .value_kind:     global_buffer
      - .offset:         120
        .size:           4
        .value_kind:     by_value
      - .address_space:  global
        .offset:         128
        .size:           8
        .value_kind:     global_buffer
      - .address_space:  global
        .offset:         136
        .size:           8
        .value_kind:     global_buffer
      - .offset:         144
        .size:           4
        .value_kind:     hidden_block_count_x
      - .offset:         148
        .size:           4
        .value_kind:     hidden_block_count_y
      - .offset:         152
        .size:           4
        .value_kind:     hidden_block_count_z
      - .offset:         156
        .size:           2
        .value_kind:     hidden_group_size_x
      - .offset:         158
        .size:           2
        .value_kind:     hidden_group_size_y
      - .offset:         160
        .size:           2
        .value_kind:     hidden_group_size_z
      - .offset:         162
        .size:           2
        .value_kind:     hidden_remainder_x
      - .offset:         164
        .size:           2
        .value_kind:     hidden_remainder_y
      - .offset:         166
        .size:           2
        .value_kind:     hidden_remainder_z
      - .offset:         184
        .size:           8
        .value_kind:     hidden_global_offset_x
      - .offset:         192
        .size:           8
        .value_kind:     hidden_global_offset_y
      - .offset:         200
        .size:           8
        .value_kind:     hidden_global_offset_z
      - .offset:         208
        .size:           2
        .value_kind:     hidden_grid_dims
    .group_segment_fixed_size: 17472
    .kernarg_segment_align: 8
    .kernarg_segment_size: 400
    .language:       OpenCL C
    .language_version:
      - 2
      - 0
    .max_flat_workgroup_size: 256
    .name:           _Z39paged_attention_ll4mi_QKV_mfma16_kernelIDF16_DF16_LN4vllm18Fp8KVCacheDataTypeE0EhLi32ELi64ELi256ELb0ELi7EL8MFMAType0EEvPKT_PKT0_S8_ifPKiSA_SA_iPKfiiiPfSD_PS3_PT2_iSC_SC_
    .private_segment_fixed_size: 0
    .sgpr_count:     41
    .sgpr_spill_count: 0
    .symbol:         _Z39paged_attention_ll4mi_QKV_mfma16_kernelIDF16_DF16_LN4vllm18Fp8KVCacheDataTypeE0EhLi32ELi64ELi256ELb0ELi7EL8MFMAType0EEvPKT_PKT0_S8_ifPKiSA_SA_iPKfiiiPfSD_PS3_PT2_iSC_SC_.kd
    .uniform_work_group_size: 1
    .uses_dynamic_stack: false
    .vgpr_count:     154
    .vgpr_spill_count: 0
    .wavefront_size: 32
    .workgroup_processor_mode: 1
  - .args:
      - .actual_access:  read_only
        .address_space:  global
        .offset:         0
        .size:           8
        .value_kind:     global_buffer
      - .actual_access:  read_only
        .address_space:  global
        .offset:         8
        .size:           8
        .value_kind:     global_buffer
      - .actual_access:  read_only
        .address_space:  global
        .offset:         16
        .size:           8
        .value_kind:     global_buffer
      - .offset:         24
        .size:           4
        .value_kind:     by_value
      - .offset:         28
        .size:           4
        .value_kind:     by_value
      - .actual_access:  read_only
        .address_space:  global
        .offset:         32
        .size:           8
        .value_kind:     global_buffer
      - .actual_access:  read_only
        .address_space:  global
        .offset:         40
        .size:           8
        .value_kind:     global_buffer
      - .actual_access:  read_only
        .address_space:  global
        .offset:         48
        .size:           8
        .value_kind:     global_buffer
      - .offset:         56
        .size:           4
        .value_kind:     by_value
      - .actual_access:  read_only
        .address_space:  global
        .offset:         64
        .size:           8
        .value_kind:     global_buffer
      - .offset:         72
        .size:           4
        .value_kind:     by_value
      - .offset:         76
        .size:           4
        .value_kind:     by_value
      - .offset:         80
        .size:           4
        .value_kind:     by_value
      - .actual_access:  write_only
        .address_space:  global
        .offset:         88
        .size:           8
        .value_kind:     global_buffer
      - .actual_access:  write_only
        .address_space:  global
        .offset:         96
        .size:           8
        .value_kind:     global_buffer
      - .actual_access:  write_only
        .address_space:  global
        .offset:         104
        .size:           8
        .value_kind:     global_buffer
      - .actual_access:  read_only
        .address_space:  global
        .offset:         112
        .size:           8
        .value_kind:     global_buffer
      - .offset:         120
        .size:           4
        .value_kind:     by_value
      - .address_space:  global
        .offset:         128
        .size:           8
        .value_kind:     global_buffer
      - .address_space:  global
        .offset:         136
        .size:           8
        .value_kind:     global_buffer
      - .offset:         144
        .size:           4
        .value_kind:     hidden_block_count_x
      - .offset:         148
        .size:           4
        .value_kind:     hidden_block_count_y
      - .offset:         152
        .size:           4
        .value_kind:     hidden_block_count_z
      - .offset:         156
        .size:           2
        .value_kind:     hidden_group_size_x
      - .offset:         158
        .size:           2
        .value_kind:     hidden_group_size_y
      - .offset:         160
        .size:           2
        .value_kind:     hidden_group_size_z
      - .offset:         162
        .size:           2
        .value_kind:     hidden_remainder_x
      - .offset:         164
        .size:           2
        .value_kind:     hidden_remainder_y
      - .offset:         166
        .size:           2
        .value_kind:     hidden_remainder_z
      - .offset:         184
        .size:           8
        .value_kind:     hidden_global_offset_x
      - .offset:         192
        .size:           8
        .value_kind:     hidden_global_offset_y
      - .offset:         200
        .size:           8
        .value_kind:     hidden_global_offset_z
      - .offset:         208
        .size:           2
        .value_kind:     hidden_grid_dims
    .group_segment_fixed_size: 17472
    .kernarg_segment_align: 8
    .kernarg_segment_size: 400
    .language:       OpenCL C
    .language_version:
      - 2
      - 0
    .max_flat_workgroup_size: 256
    .name:           _Z39paged_attention_ll4mi_QKV_mfma16_kernelIDF16_DF16_LN4vllm18Fp8KVCacheDataTypeE0EhLi32ELi64ELi256ELb0ELi8EL8MFMAType0EEvPKT_PKT0_S8_ifPKiSA_SA_iPKfiiiPfSD_PS3_PT2_iSC_SC_
    .private_segment_fixed_size: 0
    .sgpr_count:     41
    .sgpr_spill_count: 0
    .symbol:         _Z39paged_attention_ll4mi_QKV_mfma16_kernelIDF16_DF16_LN4vllm18Fp8KVCacheDataTypeE0EhLi32ELi64ELi256ELb0ELi8EL8MFMAType0EEvPKT_PKT0_S8_ifPKiSA_SA_iPKfiiiPfSD_PS3_PT2_iSC_SC_.kd
    .uniform_work_group_size: 1
    .uses_dynamic_stack: false
    .vgpr_count:     154
    .vgpr_spill_count: 0
    .wavefront_size: 32
    .workgroup_processor_mode: 1
  - .args:
      - .actual_access:  read_only
        .address_space:  global
        .offset:         0
        .size:           8
        .value_kind:     global_buffer
      - .actual_access:  read_only
        .address_space:  global
        .offset:         8
        .size:           8
        .value_kind:     global_buffer
      - .actual_access:  read_only
        .address_space:  global
        .offset:         16
        .size:           8
        .value_kind:     global_buffer
      - .offset:         24
        .size:           4
        .value_kind:     by_value
      - .offset:         28
        .size:           4
        .value_kind:     by_value
      - .actual_access:  read_only
        .address_space:  global
        .offset:         32
        .size:           8
        .value_kind:     global_buffer
      - .actual_access:  read_only
        .address_space:  global
        .offset:         40
        .size:           8
        .value_kind:     global_buffer
      - .actual_access:  read_only
        .address_space:  global
        .offset:         48
        .size:           8
        .value_kind:     global_buffer
      - .offset:         56
        .size:           4
        .value_kind:     by_value
      - .actual_access:  read_only
        .address_space:  global
        .offset:         64
        .size:           8
        .value_kind:     global_buffer
      - .offset:         72
        .size:           4
        .value_kind:     by_value
      - .offset:         76
        .size:           4
        .value_kind:     by_value
      - .offset:         80
        .size:           4
        .value_kind:     by_value
      - .actual_access:  write_only
        .address_space:  global
        .offset:         88
        .size:           8
        .value_kind:     global_buffer
      - .actual_access:  write_only
        .address_space:  global
        .offset:         96
        .size:           8
        .value_kind:     global_buffer
      - .actual_access:  write_only
        .address_space:  global
        .offset:         104
        .size:           8
        .value_kind:     global_buffer
      - .actual_access:  read_only
        .address_space:  global
        .offset:         112
        .size:           8
        .value_kind:     global_buffer
      - .offset:         120
        .size:           4
        .value_kind:     by_value
      - .address_space:  global
        .offset:         128
        .size:           8
        .value_kind:     global_buffer
      - .address_space:  global
        .offset:         136
        .size:           8
        .value_kind:     global_buffer
      - .offset:         144
        .size:           4
        .value_kind:     hidden_block_count_x
      - .offset:         148
        .size:           4
        .value_kind:     hidden_block_count_y
      - .offset:         152
        .size:           4
        .value_kind:     hidden_block_count_z
      - .offset:         156
        .size:           2
        .value_kind:     hidden_group_size_x
      - .offset:         158
        .size:           2
        .value_kind:     hidden_group_size_y
      - .offset:         160
        .size:           2
        .value_kind:     hidden_group_size_z
      - .offset:         162
        .size:           2
        .value_kind:     hidden_remainder_x
      - .offset:         164
        .size:           2
        .value_kind:     hidden_remainder_y
      - .offset:         166
        .size:           2
        .value_kind:     hidden_remainder_z
      - .offset:         184
        .size:           8
        .value_kind:     hidden_global_offset_x
      - .offset:         192
        .size:           8
        .value_kind:     hidden_global_offset_y
      - .offset:         200
        .size:           8
        .value_kind:     hidden_global_offset_z
      - .offset:         208
        .size:           2
        .value_kind:     hidden_grid_dims
    .group_segment_fixed_size: 17472
    .kernarg_segment_align: 8
    .kernarg_segment_size: 400
    .language:       OpenCL C
    .language_version:
      - 2
      - 0
    .max_flat_workgroup_size: 256
    .name:           _Z39paged_attention_ll4mi_QKV_mfma16_kernelIDF16_DF16_LN4vllm18Fp8KVCacheDataTypeE0EhLi32ELi64ELi256ELb0ELi9EL8MFMAType0EEvPKT_PKT0_S8_ifPKiSA_SA_iPKfiiiPfSD_PS3_PT2_iSC_SC_
    .private_segment_fixed_size: 0
    .sgpr_count:     41
    .sgpr_spill_count: 0
    .symbol:         _Z39paged_attention_ll4mi_QKV_mfma16_kernelIDF16_DF16_LN4vllm18Fp8KVCacheDataTypeE0EhLi32ELi64ELi256ELb0ELi9EL8MFMAType0EEvPKT_PKT0_S8_ifPKiSA_SA_iPKfiiiPfSD_PS3_PT2_iSC_SC_.kd
    .uniform_work_group_size: 1
    .uses_dynamic_stack: false
    .vgpr_count:     154
    .vgpr_spill_count: 0
    .wavefront_size: 32
    .workgroup_processor_mode: 1
  - .args:
      - .actual_access:  read_only
        .address_space:  global
        .offset:         0
        .size:           8
        .value_kind:     global_buffer
      - .actual_access:  read_only
        .address_space:  global
        .offset:         8
        .size:           8
        .value_kind:     global_buffer
      - .actual_access:  read_only
        .address_space:  global
        .offset:         16
        .size:           8
        .value_kind:     global_buffer
      - .offset:         24
        .size:           4
        .value_kind:     by_value
      - .offset:         28
        .size:           4
        .value_kind:     by_value
      - .actual_access:  read_only
        .address_space:  global
        .offset:         32
        .size:           8
        .value_kind:     global_buffer
      - .actual_access:  read_only
        .address_space:  global
        .offset:         40
        .size:           8
        .value_kind:     global_buffer
      - .actual_access:  read_only
        .address_space:  global
        .offset:         48
        .size:           8
        .value_kind:     global_buffer
      - .offset:         56
        .size:           4
        .value_kind:     by_value
      - .actual_access:  read_only
        .address_space:  global
        .offset:         64
        .size:           8
        .value_kind:     global_buffer
      - .offset:         72
        .size:           4
        .value_kind:     by_value
      - .offset:         76
        .size:           4
        .value_kind:     by_value
      - .offset:         80
        .size:           4
        .value_kind:     by_value
      - .actual_access:  write_only
        .address_space:  global
        .offset:         88
        .size:           8
        .value_kind:     global_buffer
      - .actual_access:  write_only
        .address_space:  global
        .offset:         96
        .size:           8
        .value_kind:     global_buffer
      - .actual_access:  write_only
        .address_space:  global
        .offset:         104
        .size:           8
        .value_kind:     global_buffer
      - .actual_access:  read_only
        .address_space:  global
        .offset:         112
        .size:           8
        .value_kind:     global_buffer
      - .offset:         120
        .size:           4
        .value_kind:     by_value
      - .address_space:  global
        .offset:         128
        .size:           8
        .value_kind:     global_buffer
      - .address_space:  global
        .offset:         136
        .size:           8
        .value_kind:     global_buffer
      - .offset:         144
        .size:           4
        .value_kind:     hidden_block_count_x
      - .offset:         148
        .size:           4
        .value_kind:     hidden_block_count_y
      - .offset:         152
        .size:           4
        .value_kind:     hidden_block_count_z
      - .offset:         156
        .size:           2
        .value_kind:     hidden_group_size_x
      - .offset:         158
        .size:           2
        .value_kind:     hidden_group_size_y
      - .offset:         160
        .size:           2
        .value_kind:     hidden_group_size_z
      - .offset:         162
        .size:           2
        .value_kind:     hidden_remainder_x
      - .offset:         164
        .size:           2
        .value_kind:     hidden_remainder_y
      - .offset:         166
        .size:           2
        .value_kind:     hidden_remainder_z
      - .offset:         184
        .size:           8
        .value_kind:     hidden_global_offset_x
      - .offset:         192
        .size:           8
        .value_kind:     hidden_global_offset_y
      - .offset:         200
        .size:           8
        .value_kind:     hidden_global_offset_z
      - .offset:         208
        .size:           2
        .value_kind:     hidden_grid_dims
    .group_segment_fixed_size: 17472
    .kernarg_segment_align: 8
    .kernarg_segment_size: 400
    .language:       OpenCL C
    .language_version:
      - 2
      - 0
    .max_flat_workgroup_size: 256
    .name:           _Z39paged_attention_ll4mi_QKV_mfma16_kernelIDF16_DF16_LN4vllm18Fp8KVCacheDataTypeE0EhLi32ELi64ELi256ELb0ELi10EL8MFMAType0EEvPKT_PKT0_S8_ifPKiSA_SA_iPKfiiiPfSD_PS3_PT2_iSC_SC_
    .private_segment_fixed_size: 0
    .sgpr_count:     41
    .sgpr_spill_count: 0
    .symbol:         _Z39paged_attention_ll4mi_QKV_mfma16_kernelIDF16_DF16_LN4vllm18Fp8KVCacheDataTypeE0EhLi32ELi64ELi256ELb0ELi10EL8MFMAType0EEvPKT_PKT0_S8_ifPKiSA_SA_iPKfiiiPfSD_PS3_PT2_iSC_SC_.kd
    .uniform_work_group_size: 1
    .uses_dynamic_stack: false
    .vgpr_count:     154
    .vgpr_spill_count: 0
    .wavefront_size: 32
    .workgroup_processor_mode: 1
  - .args:
      - .actual_access:  read_only
        .address_space:  global
        .offset:         0
        .size:           8
        .value_kind:     global_buffer
      - .actual_access:  read_only
        .address_space:  global
        .offset:         8
        .size:           8
        .value_kind:     global_buffer
      - .actual_access:  read_only
        .address_space:  global
        .offset:         16
        .size:           8
        .value_kind:     global_buffer
      - .offset:         24
        .size:           4
        .value_kind:     by_value
      - .offset:         28
        .size:           4
        .value_kind:     by_value
      - .actual_access:  read_only
        .address_space:  global
        .offset:         32
        .size:           8
        .value_kind:     global_buffer
      - .actual_access:  read_only
        .address_space:  global
        .offset:         40
        .size:           8
        .value_kind:     global_buffer
      - .actual_access:  read_only
        .address_space:  global
        .offset:         48
        .size:           8
        .value_kind:     global_buffer
      - .offset:         56
        .size:           4
        .value_kind:     by_value
      - .actual_access:  read_only
        .address_space:  global
        .offset:         64
        .size:           8
        .value_kind:     global_buffer
      - .offset:         72
        .size:           4
        .value_kind:     by_value
      - .offset:         76
        .size:           4
        .value_kind:     by_value
      - .offset:         80
        .size:           4
        .value_kind:     by_value
      - .actual_access:  write_only
        .address_space:  global
        .offset:         88
        .size:           8
        .value_kind:     global_buffer
      - .actual_access:  write_only
        .address_space:  global
        .offset:         96
        .size:           8
        .value_kind:     global_buffer
      - .actual_access:  write_only
        .address_space:  global
        .offset:         104
        .size:           8
        .value_kind:     global_buffer
      - .actual_access:  read_only
        .address_space:  global
        .offset:         112
        .size:           8
        .value_kind:     global_buffer
      - .offset:         120
        .size:           4
        .value_kind:     by_value
      - .address_space:  global
        .offset:         128
        .size:           8
        .value_kind:     global_buffer
      - .address_space:  global
        .offset:         136
        .size:           8
        .value_kind:     global_buffer
      - .offset:         144
        .size:           4
        .value_kind:     hidden_block_count_x
      - .offset:         148
        .size:           4
        .value_kind:     hidden_block_count_y
      - .offset:         152
        .size:           4
        .value_kind:     hidden_block_count_z
      - .offset:         156
        .size:           2
        .value_kind:     hidden_group_size_x
      - .offset:         158
        .size:           2
        .value_kind:     hidden_group_size_y
      - .offset:         160
        .size:           2
        .value_kind:     hidden_group_size_z
      - .offset:         162
        .size:           2
        .value_kind:     hidden_remainder_x
      - .offset:         164
        .size:           2
        .value_kind:     hidden_remainder_y
      - .offset:         166
        .size:           2
        .value_kind:     hidden_remainder_z
      - .offset:         184
        .size:           8
        .value_kind:     hidden_global_offset_x
      - .offset:         192
        .size:           8
        .value_kind:     hidden_global_offset_y
      - .offset:         200
        .size:           8
        .value_kind:     hidden_global_offset_z
      - .offset:         208
        .size:           2
        .value_kind:     hidden_grid_dims
    .group_segment_fixed_size: 17472
    .kernarg_segment_align: 8
    .kernarg_segment_size: 400
    .language:       OpenCL C
    .language_version:
      - 2
      - 0
    .max_flat_workgroup_size: 256
    .name:           _Z39paged_attention_ll4mi_QKV_mfma16_kernelIDF16_DF16_LN4vllm18Fp8KVCacheDataTypeE0EhLi32ELi64ELi256ELb0ELi11EL8MFMAType0EEvPKT_PKT0_S8_ifPKiSA_SA_iPKfiiiPfSD_PS3_PT2_iSC_SC_
    .private_segment_fixed_size: 0
    .sgpr_count:     41
    .sgpr_spill_count: 0
    .symbol:         _Z39paged_attention_ll4mi_QKV_mfma16_kernelIDF16_DF16_LN4vllm18Fp8KVCacheDataTypeE0EhLi32ELi64ELi256ELb0ELi11EL8MFMAType0EEvPKT_PKT0_S8_ifPKiSA_SA_iPKfiiiPfSD_PS3_PT2_iSC_SC_.kd
    .uniform_work_group_size: 1
    .uses_dynamic_stack: false
    .vgpr_count:     154
    .vgpr_spill_count: 0
    .wavefront_size: 32
    .workgroup_processor_mode: 1
  - .args:
      - .actual_access:  read_only
        .address_space:  global
        .offset:         0
        .size:           8
        .value_kind:     global_buffer
      - .actual_access:  read_only
        .address_space:  global
        .offset:         8
        .size:           8
        .value_kind:     global_buffer
      - .actual_access:  read_only
        .address_space:  global
        .offset:         16
        .size:           8
        .value_kind:     global_buffer
      - .offset:         24
        .size:           4
        .value_kind:     by_value
      - .offset:         28
        .size:           4
        .value_kind:     by_value
      - .actual_access:  read_only
        .address_space:  global
        .offset:         32
        .size:           8
        .value_kind:     global_buffer
      - .actual_access:  read_only
        .address_space:  global
        .offset:         40
        .size:           8
        .value_kind:     global_buffer
      - .actual_access:  read_only
        .address_space:  global
        .offset:         48
        .size:           8
        .value_kind:     global_buffer
      - .offset:         56
        .size:           4
        .value_kind:     by_value
      - .actual_access:  read_only
        .address_space:  global
        .offset:         64
        .size:           8
        .value_kind:     global_buffer
      - .offset:         72
        .size:           4
        .value_kind:     by_value
      - .offset:         76
        .size:           4
        .value_kind:     by_value
      - .offset:         80
        .size:           4
        .value_kind:     by_value
      - .actual_access:  write_only
        .address_space:  global
        .offset:         88
        .size:           8
        .value_kind:     global_buffer
      - .actual_access:  write_only
        .address_space:  global
        .offset:         96
        .size:           8
        .value_kind:     global_buffer
      - .actual_access:  write_only
        .address_space:  global
        .offset:         104
        .size:           8
        .value_kind:     global_buffer
      - .actual_access:  read_only
        .address_space:  global
        .offset:         112
        .size:           8
        .value_kind:     global_buffer
      - .offset:         120
        .size:           4
        .value_kind:     by_value
      - .address_space:  global
        .offset:         128
        .size:           8
        .value_kind:     global_buffer
      - .address_space:  global
        .offset:         136
        .size:           8
        .value_kind:     global_buffer
      - .offset:         144
        .size:           4
        .value_kind:     hidden_block_count_x
      - .offset:         148
        .size:           4
        .value_kind:     hidden_block_count_y
      - .offset:         152
        .size:           4
        .value_kind:     hidden_block_count_z
      - .offset:         156
        .size:           2
        .value_kind:     hidden_group_size_x
      - .offset:         158
        .size:           2
        .value_kind:     hidden_group_size_y
      - .offset:         160
        .size:           2
        .value_kind:     hidden_group_size_z
      - .offset:         162
        .size:           2
        .value_kind:     hidden_remainder_x
      - .offset:         164
        .size:           2
        .value_kind:     hidden_remainder_y
      - .offset:         166
        .size:           2
        .value_kind:     hidden_remainder_z
      - .offset:         184
        .size:           8
        .value_kind:     hidden_global_offset_x
      - .offset:         192
        .size:           8
        .value_kind:     hidden_global_offset_y
      - .offset:         200
        .size:           8
        .value_kind:     hidden_global_offset_z
      - .offset:         208
        .size:           2
        .value_kind:     hidden_grid_dims
    .group_segment_fixed_size: 17472
    .kernarg_segment_align: 8
    .kernarg_segment_size: 400
    .language:       OpenCL C
    .language_version:
      - 2
      - 0
    .max_flat_workgroup_size: 256
    .name:           _Z39paged_attention_ll4mi_QKV_mfma16_kernelIDF16_DF16_LN4vllm18Fp8KVCacheDataTypeE0EhLi32ELi64ELi256ELb0ELi12EL8MFMAType0EEvPKT_PKT0_S8_ifPKiSA_SA_iPKfiiiPfSD_PS3_PT2_iSC_SC_
    .private_segment_fixed_size: 0
    .sgpr_count:     41
    .sgpr_spill_count: 0
    .symbol:         _Z39paged_attention_ll4mi_QKV_mfma16_kernelIDF16_DF16_LN4vllm18Fp8KVCacheDataTypeE0EhLi32ELi64ELi256ELb0ELi12EL8MFMAType0EEvPKT_PKT0_S8_ifPKiSA_SA_iPKfiiiPfSD_PS3_PT2_iSC_SC_.kd
    .uniform_work_group_size: 1
    .uses_dynamic_stack: false
    .vgpr_count:     154
    .vgpr_spill_count: 0
    .wavefront_size: 32
    .workgroup_processor_mode: 1
  - .args:
      - .actual_access:  read_only
        .address_space:  global
        .offset:         0
        .size:           8
        .value_kind:     global_buffer
      - .actual_access:  read_only
        .address_space:  global
        .offset:         8
        .size:           8
        .value_kind:     global_buffer
      - .actual_access:  read_only
        .address_space:  global
        .offset:         16
        .size:           8
        .value_kind:     global_buffer
      - .offset:         24
        .size:           4
        .value_kind:     by_value
      - .offset:         28
        .size:           4
        .value_kind:     by_value
      - .actual_access:  read_only
        .address_space:  global
        .offset:         32
        .size:           8
        .value_kind:     global_buffer
      - .actual_access:  read_only
        .address_space:  global
        .offset:         40
        .size:           8
        .value_kind:     global_buffer
      - .actual_access:  read_only
        .address_space:  global
        .offset:         48
        .size:           8
        .value_kind:     global_buffer
      - .offset:         56
        .size:           4
        .value_kind:     by_value
      - .actual_access:  read_only
        .address_space:  global
        .offset:         64
        .size:           8
        .value_kind:     global_buffer
      - .offset:         72
        .size:           4
        .value_kind:     by_value
      - .offset:         76
        .size:           4
        .value_kind:     by_value
      - .offset:         80
        .size:           4
        .value_kind:     by_value
      - .actual_access:  write_only
        .address_space:  global
        .offset:         88
        .size:           8
        .value_kind:     global_buffer
      - .actual_access:  write_only
        .address_space:  global
        .offset:         96
        .size:           8
        .value_kind:     global_buffer
      - .actual_access:  write_only
        .address_space:  global
        .offset:         104
        .size:           8
        .value_kind:     global_buffer
      - .actual_access:  read_only
        .address_space:  global
        .offset:         112
        .size:           8
        .value_kind:     global_buffer
      - .offset:         120
        .size:           4
        .value_kind:     by_value
      - .address_space:  global
        .offset:         128
        .size:           8
        .value_kind:     global_buffer
      - .address_space:  global
        .offset:         136
        .size:           8
        .value_kind:     global_buffer
      - .offset:         144
        .size:           4
        .value_kind:     hidden_block_count_x
      - .offset:         148
        .size:           4
        .value_kind:     hidden_block_count_y
      - .offset:         152
        .size:           4
        .value_kind:     hidden_block_count_z
      - .offset:         156
        .size:           2
        .value_kind:     hidden_group_size_x
      - .offset:         158
        .size:           2
        .value_kind:     hidden_group_size_y
      - .offset:         160
        .size:           2
        .value_kind:     hidden_group_size_z
      - .offset:         162
        .size:           2
        .value_kind:     hidden_remainder_x
      - .offset:         164
        .size:           2
        .value_kind:     hidden_remainder_y
      - .offset:         166
        .size:           2
        .value_kind:     hidden_remainder_z
      - .offset:         184
        .size:           8
        .value_kind:     hidden_global_offset_x
      - .offset:         192
        .size:           8
        .value_kind:     hidden_global_offset_y
      - .offset:         200
        .size:           8
        .value_kind:     hidden_global_offset_z
      - .offset:         208
        .size:           2
        .value_kind:     hidden_grid_dims
    .group_segment_fixed_size: 17472
    .kernarg_segment_align: 8
    .kernarg_segment_size: 400
    .language:       OpenCL C
    .language_version:
      - 2
      - 0
    .max_flat_workgroup_size: 256
    .name:           _Z39paged_attention_ll4mi_QKV_mfma16_kernelIDF16_DF16_LN4vllm18Fp8KVCacheDataTypeE0EhLi32ELi64ELi256ELb0ELi13EL8MFMAType0EEvPKT_PKT0_S8_ifPKiSA_SA_iPKfiiiPfSD_PS3_PT2_iSC_SC_
    .private_segment_fixed_size: 0
    .sgpr_count:     41
    .sgpr_spill_count: 0
    .symbol:         _Z39paged_attention_ll4mi_QKV_mfma16_kernelIDF16_DF16_LN4vllm18Fp8KVCacheDataTypeE0EhLi32ELi64ELi256ELb0ELi13EL8MFMAType0EEvPKT_PKT0_S8_ifPKiSA_SA_iPKfiiiPfSD_PS3_PT2_iSC_SC_.kd
    .uniform_work_group_size: 1
    .uses_dynamic_stack: false
    .vgpr_count:     154
    .vgpr_spill_count: 0
    .wavefront_size: 32
    .workgroup_processor_mode: 1
  - .args:
      - .actual_access:  read_only
        .address_space:  global
        .offset:         0
        .size:           8
        .value_kind:     global_buffer
      - .actual_access:  read_only
        .address_space:  global
        .offset:         8
        .size:           8
        .value_kind:     global_buffer
      - .actual_access:  read_only
        .address_space:  global
        .offset:         16
        .size:           8
        .value_kind:     global_buffer
      - .offset:         24
        .size:           4
        .value_kind:     by_value
      - .offset:         28
        .size:           4
        .value_kind:     by_value
      - .actual_access:  read_only
        .address_space:  global
        .offset:         32
        .size:           8
        .value_kind:     global_buffer
      - .actual_access:  read_only
        .address_space:  global
        .offset:         40
        .size:           8
        .value_kind:     global_buffer
      - .actual_access:  read_only
        .address_space:  global
        .offset:         48
        .size:           8
        .value_kind:     global_buffer
      - .offset:         56
        .size:           4
        .value_kind:     by_value
      - .actual_access:  read_only
        .address_space:  global
        .offset:         64
        .size:           8
        .value_kind:     global_buffer
      - .offset:         72
        .size:           4
        .value_kind:     by_value
      - .offset:         76
        .size:           4
        .value_kind:     by_value
      - .offset:         80
        .size:           4
        .value_kind:     by_value
      - .actual_access:  write_only
        .address_space:  global
        .offset:         88
        .size:           8
        .value_kind:     global_buffer
      - .actual_access:  write_only
        .address_space:  global
        .offset:         96
        .size:           8
        .value_kind:     global_buffer
      - .actual_access:  write_only
        .address_space:  global
        .offset:         104
        .size:           8
        .value_kind:     global_buffer
      - .actual_access:  read_only
        .address_space:  global
        .offset:         112
        .size:           8
        .value_kind:     global_buffer
      - .offset:         120
        .size:           4
        .value_kind:     by_value
      - .address_space:  global
        .offset:         128
        .size:           8
        .value_kind:     global_buffer
      - .address_space:  global
        .offset:         136
        .size:           8
        .value_kind:     global_buffer
      - .offset:         144
        .size:           4
        .value_kind:     hidden_block_count_x
      - .offset:         148
        .size:           4
        .value_kind:     hidden_block_count_y
      - .offset:         152
        .size:           4
        .value_kind:     hidden_block_count_z
      - .offset:         156
        .size:           2
        .value_kind:     hidden_group_size_x
      - .offset:         158
        .size:           2
        .value_kind:     hidden_group_size_y
      - .offset:         160
        .size:           2
        .value_kind:     hidden_group_size_z
      - .offset:         162
        .size:           2
        .value_kind:     hidden_remainder_x
      - .offset:         164
        .size:           2
        .value_kind:     hidden_remainder_y
      - .offset:         166
        .size:           2
        .value_kind:     hidden_remainder_z
      - .offset:         184
        .size:           8
        .value_kind:     hidden_global_offset_x
      - .offset:         192
        .size:           8
        .value_kind:     hidden_global_offset_y
      - .offset:         200
        .size:           8
        .value_kind:     hidden_global_offset_z
      - .offset:         208
        .size:           2
        .value_kind:     hidden_grid_dims
    .group_segment_fixed_size: 17472
    .kernarg_segment_align: 8
    .kernarg_segment_size: 400
    .language:       OpenCL C
    .language_version:
      - 2
      - 0
    .max_flat_workgroup_size: 256
    .name:           _Z39paged_attention_ll4mi_QKV_mfma16_kernelIDF16_DF16_LN4vllm18Fp8KVCacheDataTypeE0EhLi32ELi64ELi256ELb0ELi14EL8MFMAType0EEvPKT_PKT0_S8_ifPKiSA_SA_iPKfiiiPfSD_PS3_PT2_iSC_SC_
    .private_segment_fixed_size: 0
    .sgpr_count:     41
    .sgpr_spill_count: 0
    .symbol:         _Z39paged_attention_ll4mi_QKV_mfma16_kernelIDF16_DF16_LN4vllm18Fp8KVCacheDataTypeE0EhLi32ELi64ELi256ELb0ELi14EL8MFMAType0EEvPKT_PKT0_S8_ifPKiSA_SA_iPKfiiiPfSD_PS3_PT2_iSC_SC_.kd
    .uniform_work_group_size: 1
    .uses_dynamic_stack: false
    .vgpr_count:     154
    .vgpr_spill_count: 0
    .wavefront_size: 32
    .workgroup_processor_mode: 1
  - .args:
      - .actual_access:  read_only
        .address_space:  global
        .offset:         0
        .size:           8
        .value_kind:     global_buffer
      - .actual_access:  read_only
        .address_space:  global
        .offset:         8
        .size:           8
        .value_kind:     global_buffer
      - .actual_access:  read_only
        .address_space:  global
        .offset:         16
        .size:           8
        .value_kind:     global_buffer
      - .offset:         24
        .size:           4
        .value_kind:     by_value
      - .offset:         28
        .size:           4
        .value_kind:     by_value
      - .actual_access:  read_only
        .address_space:  global
        .offset:         32
        .size:           8
        .value_kind:     global_buffer
      - .actual_access:  read_only
        .address_space:  global
        .offset:         40
        .size:           8
        .value_kind:     global_buffer
      - .actual_access:  read_only
        .address_space:  global
        .offset:         48
        .size:           8
        .value_kind:     global_buffer
      - .offset:         56
        .size:           4
        .value_kind:     by_value
      - .actual_access:  read_only
        .address_space:  global
        .offset:         64
        .size:           8
        .value_kind:     global_buffer
      - .offset:         72
        .size:           4
        .value_kind:     by_value
      - .offset:         76
        .size:           4
        .value_kind:     by_value
      - .offset:         80
        .size:           4
        .value_kind:     by_value
      - .actual_access:  write_only
        .address_space:  global
        .offset:         88
        .size:           8
        .value_kind:     global_buffer
      - .actual_access:  write_only
        .address_space:  global
        .offset:         96
        .size:           8
        .value_kind:     global_buffer
      - .actual_access:  write_only
        .address_space:  global
        .offset:         104
        .size:           8
        .value_kind:     global_buffer
      - .actual_access:  read_only
        .address_space:  global
        .offset:         112
        .size:           8
        .value_kind:     global_buffer
      - .offset:         120
        .size:           4
        .value_kind:     by_value
      - .address_space:  global
        .offset:         128
        .size:           8
        .value_kind:     global_buffer
      - .address_space:  global
        .offset:         136
        .size:           8
        .value_kind:     global_buffer
      - .offset:         144
        .size:           4
        .value_kind:     hidden_block_count_x
      - .offset:         148
        .size:           4
        .value_kind:     hidden_block_count_y
      - .offset:         152
        .size:           4
        .value_kind:     hidden_block_count_z
      - .offset:         156
        .size:           2
        .value_kind:     hidden_group_size_x
      - .offset:         158
        .size:           2
        .value_kind:     hidden_group_size_y
      - .offset:         160
        .size:           2
        .value_kind:     hidden_group_size_z
      - .offset:         162
        .size:           2
        .value_kind:     hidden_remainder_x
      - .offset:         164
        .size:           2
        .value_kind:     hidden_remainder_y
      - .offset:         166
        .size:           2
        .value_kind:     hidden_remainder_z
      - .offset:         184
        .size:           8
        .value_kind:     hidden_global_offset_x
      - .offset:         192
        .size:           8
        .value_kind:     hidden_global_offset_y
      - .offset:         200
        .size:           8
        .value_kind:     hidden_global_offset_z
      - .offset:         208
        .size:           2
        .value_kind:     hidden_grid_dims
    .group_segment_fixed_size: 17472
    .kernarg_segment_align: 8
    .kernarg_segment_size: 400
    .language:       OpenCL C
    .language_version:
      - 2
      - 0
    .max_flat_workgroup_size: 256
    .name:           _Z39paged_attention_ll4mi_QKV_mfma16_kernelIDF16_DF16_LN4vllm18Fp8KVCacheDataTypeE0EhLi32ELi64ELi256ELb0ELi15EL8MFMAType0EEvPKT_PKT0_S8_ifPKiSA_SA_iPKfiiiPfSD_PS3_PT2_iSC_SC_
    .private_segment_fixed_size: 0
    .sgpr_count:     41
    .sgpr_spill_count: 0
    .symbol:         _Z39paged_attention_ll4mi_QKV_mfma16_kernelIDF16_DF16_LN4vllm18Fp8KVCacheDataTypeE0EhLi32ELi64ELi256ELb0ELi15EL8MFMAType0EEvPKT_PKT0_S8_ifPKiSA_SA_iPKfiiiPfSD_PS3_PT2_iSC_SC_.kd
    .uniform_work_group_size: 1
    .uses_dynamic_stack: false
    .vgpr_count:     154
    .vgpr_spill_count: 0
    .wavefront_size: 32
    .workgroup_processor_mode: 1
  - .args:
      - .actual_access:  read_only
        .address_space:  global
        .offset:         0
        .size:           8
        .value_kind:     global_buffer
      - .actual_access:  read_only
        .address_space:  global
        .offset:         8
        .size:           8
        .value_kind:     global_buffer
      - .actual_access:  read_only
        .address_space:  global
        .offset:         16
        .size:           8
        .value_kind:     global_buffer
      - .offset:         24
        .size:           4
        .value_kind:     by_value
      - .offset:         28
        .size:           4
        .value_kind:     by_value
      - .actual_access:  read_only
        .address_space:  global
        .offset:         32
        .size:           8
        .value_kind:     global_buffer
      - .actual_access:  read_only
        .address_space:  global
        .offset:         40
        .size:           8
        .value_kind:     global_buffer
      - .actual_access:  read_only
        .address_space:  global
        .offset:         48
        .size:           8
        .value_kind:     global_buffer
      - .offset:         56
        .size:           4
        .value_kind:     by_value
      - .actual_access:  read_only
        .address_space:  global
        .offset:         64
        .size:           8
        .value_kind:     global_buffer
      - .offset:         72
        .size:           4
        .value_kind:     by_value
      - .offset:         76
        .size:           4
        .value_kind:     by_value
      - .offset:         80
        .size:           4
        .value_kind:     by_value
      - .actual_access:  write_only
        .address_space:  global
        .offset:         88
        .size:           8
        .value_kind:     global_buffer
      - .actual_access:  write_only
        .address_space:  global
        .offset:         96
        .size:           8
        .value_kind:     global_buffer
      - .actual_access:  write_only
        .address_space:  global
        .offset:         104
        .size:           8
        .value_kind:     global_buffer
      - .actual_access:  read_only
        .address_space:  global
        .offset:         112
        .size:           8
        .value_kind:     global_buffer
      - .offset:         120
        .size:           4
        .value_kind:     by_value
      - .address_space:  global
        .offset:         128
        .size:           8
        .value_kind:     global_buffer
      - .address_space:  global
        .offset:         136
        .size:           8
        .value_kind:     global_buffer
      - .offset:         144
        .size:           4
        .value_kind:     hidden_block_count_x
      - .offset:         148
        .size:           4
        .value_kind:     hidden_block_count_y
      - .offset:         152
        .size:           4
        .value_kind:     hidden_block_count_z
      - .offset:         156
        .size:           2
        .value_kind:     hidden_group_size_x
      - .offset:         158
        .size:           2
        .value_kind:     hidden_group_size_y
      - .offset:         160
        .size:           2
        .value_kind:     hidden_group_size_z
      - .offset:         162
        .size:           2
        .value_kind:     hidden_remainder_x
      - .offset:         164
        .size:           2
        .value_kind:     hidden_remainder_y
      - .offset:         166
        .size:           2
        .value_kind:     hidden_remainder_z
      - .offset:         184
        .size:           8
        .value_kind:     hidden_global_offset_x
      - .offset:         192
        .size:           8
        .value_kind:     hidden_global_offset_y
      - .offset:         200
        .size:           8
        .value_kind:     hidden_global_offset_z
      - .offset:         208
        .size:           2
        .value_kind:     hidden_grid_dims
    .group_segment_fixed_size: 17472
    .kernarg_segment_align: 8
    .kernarg_segment_size: 400
    .language:       OpenCL C
    .language_version:
      - 2
      - 0
    .max_flat_workgroup_size: 256
    .name:           _Z39paged_attention_ll4mi_QKV_mfma16_kernelIDF16_DF16_LN4vllm18Fp8KVCacheDataTypeE0EhLi32ELi64ELi256ELb0ELi16EL8MFMAType0EEvPKT_PKT0_S8_ifPKiSA_SA_iPKfiiiPfSD_PS3_PT2_iSC_SC_
    .private_segment_fixed_size: 0
    .sgpr_count:     41
    .sgpr_spill_count: 0
    .symbol:         _Z39paged_attention_ll4mi_QKV_mfma16_kernelIDF16_DF16_LN4vllm18Fp8KVCacheDataTypeE0EhLi32ELi64ELi256ELb0ELi16EL8MFMAType0EEvPKT_PKT0_S8_ifPKiSA_SA_iPKfiiiPfSD_PS3_PT2_iSC_SC_.kd
    .uniform_work_group_size: 1
    .uses_dynamic_stack: false
    .vgpr_count:     149
    .vgpr_spill_count: 0
    .wavefront_size: 32
    .workgroup_processor_mode: 1
  - .args:
      - .actual_access:  read_only
        .address_space:  global
        .offset:         0
        .size:           8
        .value_kind:     global_buffer
      - .actual_access:  read_only
        .address_space:  global
        .offset:         8
        .size:           8
        .value_kind:     global_buffer
      - .actual_access:  read_only
        .address_space:  global
        .offset:         16
        .size:           8
        .value_kind:     global_buffer
      - .offset:         24
        .size:           4
        .value_kind:     by_value
      - .offset:         28
        .size:           4
        .value_kind:     by_value
      - .actual_access:  read_only
        .address_space:  global
        .offset:         32
        .size:           8
        .value_kind:     global_buffer
      - .actual_access:  read_only
        .address_space:  global
        .offset:         40
        .size:           8
        .value_kind:     global_buffer
      - .actual_access:  read_only
        .address_space:  global
        .offset:         48
        .size:           8
        .value_kind:     global_buffer
      - .offset:         56
        .size:           4
        .value_kind:     by_value
      - .actual_access:  read_only
        .address_space:  global
        .offset:         64
        .size:           8
        .value_kind:     global_buffer
      - .offset:         72
        .size:           4
        .value_kind:     by_value
      - .offset:         76
        .size:           4
        .value_kind:     by_value
      - .offset:         80
        .size:           4
        .value_kind:     by_value
      - .actual_access:  write_only
        .address_space:  global
        .offset:         88
        .size:           8
        .value_kind:     global_buffer
      - .actual_access:  write_only
        .address_space:  global
        .offset:         96
        .size:           8
        .value_kind:     global_buffer
      - .actual_access:  write_only
        .address_space:  global
        .offset:         104
        .size:           8
        .value_kind:     global_buffer
      - .actual_access:  read_only
        .address_space:  global
        .offset:         112
        .size:           8
        .value_kind:     global_buffer
      - .offset:         120
        .size:           4
        .value_kind:     by_value
      - .address_space:  global
        .offset:         128
        .size:           8
        .value_kind:     global_buffer
      - .address_space:  global
        .offset:         136
        .size:           8
        .value_kind:     global_buffer
      - .offset:         144
        .size:           4
        .value_kind:     hidden_block_count_x
      - .offset:         148
        .size:           4
        .value_kind:     hidden_block_count_y
      - .offset:         152
        .size:           4
        .value_kind:     hidden_block_count_z
      - .offset:         156
        .size:           2
        .value_kind:     hidden_group_size_x
      - .offset:         158
        .size:           2
        .value_kind:     hidden_group_size_y
      - .offset:         160
        .size:           2
        .value_kind:     hidden_group_size_z
      - .offset:         162
        .size:           2
        .value_kind:     hidden_remainder_x
      - .offset:         164
        .size:           2
        .value_kind:     hidden_remainder_y
      - .offset:         166
        .size:           2
        .value_kind:     hidden_remainder_z
      - .offset:         184
        .size:           8
        .value_kind:     hidden_global_offset_x
      - .offset:         192
        .size:           8
        .value_kind:     hidden_global_offset_y
      - .offset:         200
        .size:           8
        .value_kind:     hidden_global_offset_z
      - .offset:         208
        .size:           2
        .value_kind:     hidden_grid_dims
    .group_segment_fixed_size: 17472
    .kernarg_segment_align: 8
    .kernarg_segment_size: 400
    .language:       OpenCL C
    .language_version:
      - 2
      - 0
    .max_flat_workgroup_size: 256
    .name:           _Z39paged_attention_ll4mi_QKV_mfma16_kernelIDF16_DF16_LN4vllm18Fp8KVCacheDataTypeE0EhLi32ELi64ELi256ELb0ELi1EL8MFMAType0EEvPKT_PKT0_S8_ifPKiSA_SA_iPKfiiiPfSD_PS3_PT2_iSC_SC_
    .private_segment_fixed_size: 0
    .sgpr_count:     71
    .sgpr_spill_count: 0
    .symbol:         _Z39paged_attention_ll4mi_QKV_mfma16_kernelIDF16_DF16_LN4vllm18Fp8KVCacheDataTypeE0EhLi32ELi64ELi256ELb0ELi1EL8MFMAType0EEvPKT_PKT0_S8_ifPKiSA_SA_iPKfiiiPfSD_PS3_PT2_iSC_SC_.kd
    .uniform_work_group_size: 1
    .uses_dynamic_stack: false
    .vgpr_count:     146
    .vgpr_spill_count: 0
    .wavefront_size: 32
    .workgroup_processor_mode: 1
  - .args:
      - .actual_access:  read_only
        .address_space:  global
        .offset:         0
        .size:           8
        .value_kind:     global_buffer
      - .actual_access:  read_only
        .address_space:  global
        .offset:         8
        .size:           8
        .value_kind:     global_buffer
      - .actual_access:  read_only
        .address_space:  global
        .offset:         16
        .size:           8
        .value_kind:     global_buffer
      - .offset:         24
        .size:           4
        .value_kind:     by_value
      - .offset:         28
        .size:           4
        .value_kind:     by_value
      - .actual_access:  read_only
        .address_space:  global
        .offset:         32
        .size:           8
        .value_kind:     global_buffer
      - .actual_access:  read_only
        .address_space:  global
        .offset:         40
        .size:           8
        .value_kind:     global_buffer
      - .actual_access:  read_only
        .address_space:  global
        .offset:         48
        .size:           8
        .value_kind:     global_buffer
      - .offset:         56
        .size:           4
        .value_kind:     by_value
      - .actual_access:  read_only
        .address_space:  global
        .offset:         64
        .size:           8
        .value_kind:     global_buffer
      - .offset:         72
        .size:           4
        .value_kind:     by_value
      - .offset:         76
        .size:           4
        .value_kind:     by_value
      - .offset:         80
        .size:           4
        .value_kind:     by_value
      - .actual_access:  write_only
        .address_space:  global
        .offset:         88
        .size:           8
        .value_kind:     global_buffer
      - .actual_access:  write_only
        .address_space:  global
        .offset:         96
        .size:           8
        .value_kind:     global_buffer
      - .actual_access:  write_only
        .address_space:  global
        .offset:         104
        .size:           8
        .value_kind:     global_buffer
      - .actual_access:  read_only
        .address_space:  global
        .offset:         112
        .size:           8
        .value_kind:     global_buffer
      - .offset:         120
        .size:           4
        .value_kind:     by_value
      - .address_space:  global
        .offset:         128
        .size:           8
        .value_kind:     global_buffer
      - .address_space:  global
        .offset:         136
        .size:           8
        .value_kind:     global_buffer
      - .offset:         144
        .size:           4
        .value_kind:     hidden_block_count_x
      - .offset:         148
        .size:           4
        .value_kind:     hidden_block_count_y
      - .offset:         152
        .size:           4
        .value_kind:     hidden_block_count_z
      - .offset:         156
        .size:           2
        .value_kind:     hidden_group_size_x
      - .offset:         158
        .size:           2
        .value_kind:     hidden_group_size_y
      - .offset:         160
        .size:           2
        .value_kind:     hidden_group_size_z
      - .offset:         162
        .size:           2
        .value_kind:     hidden_remainder_x
      - .offset:         164
        .size:           2
        .value_kind:     hidden_remainder_y
      - .offset:         166
        .size:           2
        .value_kind:     hidden_remainder_z
      - .offset:         184
        .size:           8
        .value_kind:     hidden_global_offset_x
      - .offset:         192
        .size:           8
        .value_kind:     hidden_global_offset_y
      - .offset:         200
        .size:           8
        .value_kind:     hidden_global_offset_z
      - .offset:         208
        .size:           2
        .value_kind:     hidden_grid_dims
    .group_segment_fixed_size: 17472
    .kernarg_segment_align: 8
    .kernarg_segment_size: 400
    .language:       OpenCL C
    .language_version:
      - 2
      - 0
    .max_flat_workgroup_size: 256
    .name:           _Z39paged_attention_ll4mi_QKV_mfma16_kernelIDF16_DF16_LN4vllm18Fp8KVCacheDataTypeE0EhLi32ELi64ELi256ELb0ELi2EL8MFMAType0EEvPKT_PKT0_S8_ifPKiSA_SA_iPKfiiiPfSD_PS3_PT2_iSC_SC_
    .private_segment_fixed_size: 0
    .sgpr_count:     42
    .sgpr_spill_count: 0
    .symbol:         _Z39paged_attention_ll4mi_QKV_mfma16_kernelIDF16_DF16_LN4vllm18Fp8KVCacheDataTypeE0EhLi32ELi64ELi256ELb0ELi2EL8MFMAType0EEvPKT_PKT0_S8_ifPKiSA_SA_iPKfiiiPfSD_PS3_PT2_iSC_SC_.kd
    .uniform_work_group_size: 1
    .uses_dynamic_stack: false
    .vgpr_count:     156
    .vgpr_spill_count: 0
    .wavefront_size: 32
    .workgroup_processor_mode: 1
  - .args:
      - .actual_access:  read_only
        .address_space:  global
        .offset:         0
        .size:           8
        .value_kind:     global_buffer
      - .actual_access:  read_only
        .address_space:  global
        .offset:         8
        .size:           8
        .value_kind:     global_buffer
      - .actual_access:  read_only
        .address_space:  global
        .offset:         16
        .size:           8
        .value_kind:     global_buffer
      - .offset:         24
        .size:           4
        .value_kind:     by_value
      - .offset:         28
        .size:           4
        .value_kind:     by_value
      - .actual_access:  read_only
        .address_space:  global
        .offset:         32
        .size:           8
        .value_kind:     global_buffer
      - .actual_access:  read_only
        .address_space:  global
        .offset:         40
        .size:           8
        .value_kind:     global_buffer
      - .actual_access:  read_only
        .address_space:  global
        .offset:         48
        .size:           8
        .value_kind:     global_buffer
      - .offset:         56
        .size:           4
        .value_kind:     by_value
      - .actual_access:  read_only
        .address_space:  global
        .offset:         64
        .size:           8
        .value_kind:     global_buffer
      - .offset:         72
        .size:           4
        .value_kind:     by_value
      - .offset:         76
        .size:           4
        .value_kind:     by_value
      - .offset:         80
        .size:           4
        .value_kind:     by_value
      - .actual_access:  write_only
        .address_space:  global
        .offset:         88
        .size:           8
        .value_kind:     global_buffer
      - .actual_access:  write_only
        .address_space:  global
        .offset:         96
        .size:           8
        .value_kind:     global_buffer
      - .actual_access:  write_only
        .address_space:  global
        .offset:         104
        .size:           8
        .value_kind:     global_buffer
      - .actual_access:  read_only
        .address_space:  global
        .offset:         112
        .size:           8
        .value_kind:     global_buffer
      - .offset:         120
        .size:           4
        .value_kind:     by_value
      - .address_space:  global
        .offset:         128
        .size:           8
        .value_kind:     global_buffer
      - .address_space:  global
        .offset:         136
        .size:           8
        .value_kind:     global_buffer
      - .offset:         144
        .size:           4
        .value_kind:     hidden_block_count_x
      - .offset:         148
        .size:           4
        .value_kind:     hidden_block_count_y
      - .offset:         152
        .size:           4
        .value_kind:     hidden_block_count_z
      - .offset:         156
        .size:           2
        .value_kind:     hidden_group_size_x
      - .offset:         158
        .size:           2
        .value_kind:     hidden_group_size_y
      - .offset:         160
        .size:           2
        .value_kind:     hidden_group_size_z
      - .offset:         162
        .size:           2
        .value_kind:     hidden_remainder_x
      - .offset:         164
        .size:           2
        .value_kind:     hidden_remainder_y
      - .offset:         166
        .size:           2
        .value_kind:     hidden_remainder_z
      - .offset:         184
        .size:           8
        .value_kind:     hidden_global_offset_x
      - .offset:         192
        .size:           8
        .value_kind:     hidden_global_offset_y
      - .offset:         200
        .size:           8
        .value_kind:     hidden_global_offset_z
      - .offset:         208
        .size:           2
        .value_kind:     hidden_grid_dims
    .group_segment_fixed_size: 17472
    .kernarg_segment_align: 8
    .kernarg_segment_size: 400
    .language:       OpenCL C
    .language_version:
      - 2
      - 0
    .max_flat_workgroup_size: 256
    .name:           _Z39paged_attention_ll4mi_QKV_mfma16_kernelIDF16_DF16_LN4vllm18Fp8KVCacheDataTypeE0EhLi32ELi64ELi256ELb0ELi3EL8MFMAType0EEvPKT_PKT0_S8_ifPKiSA_SA_iPKfiiiPfSD_PS3_PT2_iSC_SC_
    .private_segment_fixed_size: 0
    .sgpr_count:     41
    .sgpr_spill_count: 0
    .symbol:         _Z39paged_attention_ll4mi_QKV_mfma16_kernelIDF16_DF16_LN4vllm18Fp8KVCacheDataTypeE0EhLi32ELi64ELi256ELb0ELi3EL8MFMAType0EEvPKT_PKT0_S8_ifPKiSA_SA_iPKfiiiPfSD_PS3_PT2_iSC_SC_.kd
    .uniform_work_group_size: 1
    .uses_dynamic_stack: false
    .vgpr_count:     154
    .vgpr_spill_count: 0
    .wavefront_size: 32
    .workgroup_processor_mode: 1
  - .args:
      - .actual_access:  read_only
        .address_space:  global
        .offset:         0
        .size:           8
        .value_kind:     global_buffer
      - .actual_access:  read_only
        .address_space:  global
        .offset:         8
        .size:           8
        .value_kind:     global_buffer
      - .actual_access:  read_only
        .address_space:  global
        .offset:         16
        .size:           8
        .value_kind:     global_buffer
      - .offset:         24
        .size:           4
        .value_kind:     by_value
      - .offset:         28
        .size:           4
        .value_kind:     by_value
      - .actual_access:  read_only
        .address_space:  global
        .offset:         32
        .size:           8
        .value_kind:     global_buffer
      - .actual_access:  read_only
        .address_space:  global
        .offset:         40
        .size:           8
        .value_kind:     global_buffer
      - .actual_access:  read_only
        .address_space:  global
        .offset:         48
        .size:           8
        .value_kind:     global_buffer
      - .offset:         56
        .size:           4
        .value_kind:     by_value
      - .actual_access:  read_only
        .address_space:  global
        .offset:         64
        .size:           8
        .value_kind:     global_buffer
      - .offset:         72
        .size:           4
        .value_kind:     by_value
      - .offset:         76
        .size:           4
        .value_kind:     by_value
      - .offset:         80
        .size:           4
        .value_kind:     by_value
      - .actual_access:  write_only
        .address_space:  global
        .offset:         88
        .size:           8
        .value_kind:     global_buffer
      - .actual_access:  write_only
        .address_space:  global
        .offset:         96
        .size:           8
        .value_kind:     global_buffer
      - .actual_access:  write_only
        .address_space:  global
        .offset:         104
        .size:           8
        .value_kind:     global_buffer
      - .actual_access:  read_only
        .address_space:  global
        .offset:         112
        .size:           8
        .value_kind:     global_buffer
      - .offset:         120
        .size:           4
        .value_kind:     by_value
      - .address_space:  global
        .offset:         128
        .size:           8
        .value_kind:     global_buffer
      - .address_space:  global
        .offset:         136
        .size:           8
        .value_kind:     global_buffer
      - .offset:         144
        .size:           4
        .value_kind:     hidden_block_count_x
      - .offset:         148
        .size:           4
        .value_kind:     hidden_block_count_y
      - .offset:         152
        .size:           4
        .value_kind:     hidden_block_count_z
      - .offset:         156
        .size:           2
        .value_kind:     hidden_group_size_x
      - .offset:         158
        .size:           2
        .value_kind:     hidden_group_size_y
      - .offset:         160
        .size:           2
        .value_kind:     hidden_group_size_z
      - .offset:         162
        .size:           2
        .value_kind:     hidden_remainder_x
      - .offset:         164
        .size:           2
        .value_kind:     hidden_remainder_y
      - .offset:         166
        .size:           2
        .value_kind:     hidden_remainder_z
      - .offset:         184
        .size:           8
        .value_kind:     hidden_global_offset_x
      - .offset:         192
        .size:           8
        .value_kind:     hidden_global_offset_y
      - .offset:         200
        .size:           8
        .value_kind:     hidden_global_offset_z
      - .offset:         208
        .size:           2
        .value_kind:     hidden_grid_dims
    .group_segment_fixed_size: 17472
    .kernarg_segment_align: 8
    .kernarg_segment_size: 400
    .language:       OpenCL C
    .language_version:
      - 2
      - 0
    .max_flat_workgroup_size: 256
    .name:           _Z39paged_attention_ll4mi_QKV_mfma16_kernelIDF16_DF16_LN4vllm18Fp8KVCacheDataTypeE0EhLi32ELi64ELi256ELb0ELi4EL8MFMAType0EEvPKT_PKT0_S8_ifPKiSA_SA_iPKfiiiPfSD_PS3_PT2_iSC_SC_
    .private_segment_fixed_size: 0
    .sgpr_count:     41
    .sgpr_spill_count: 0
    .symbol:         _Z39paged_attention_ll4mi_QKV_mfma16_kernelIDF16_DF16_LN4vllm18Fp8KVCacheDataTypeE0EhLi32ELi64ELi256ELb0ELi4EL8MFMAType0EEvPKT_PKT0_S8_ifPKiSA_SA_iPKfiiiPfSD_PS3_PT2_iSC_SC_.kd
    .uniform_work_group_size: 1
    .uses_dynamic_stack: false
    .vgpr_count:     154
    .vgpr_spill_count: 0
    .wavefront_size: 32
    .workgroup_processor_mode: 1
  - .args:
      - .actual_access:  read_only
        .address_space:  global
        .offset:         0
        .size:           8
        .value_kind:     global_buffer
      - .actual_access:  read_only
        .address_space:  global
        .offset:         8
        .size:           8
        .value_kind:     global_buffer
      - .actual_access:  read_only
        .address_space:  global
        .offset:         16
        .size:           8
        .value_kind:     global_buffer
      - .offset:         24
        .size:           4
        .value_kind:     by_value
      - .offset:         28
        .size:           4
        .value_kind:     by_value
      - .actual_access:  read_only
        .address_space:  global
        .offset:         32
        .size:           8
        .value_kind:     global_buffer
      - .actual_access:  read_only
        .address_space:  global
        .offset:         40
        .size:           8
        .value_kind:     global_buffer
      - .actual_access:  read_only
        .address_space:  global
        .offset:         48
        .size:           8
        .value_kind:     global_buffer
      - .offset:         56
        .size:           4
        .value_kind:     by_value
      - .actual_access:  read_only
        .address_space:  global
        .offset:         64
        .size:           8
        .value_kind:     global_buffer
      - .offset:         72
        .size:           4
        .value_kind:     by_value
      - .offset:         76
        .size:           4
        .value_kind:     by_value
      - .offset:         80
        .size:           4
        .value_kind:     by_value
      - .actual_access:  read_only
        .address_space:  global
        .offset:         88
        .size:           8
        .value_kind:     global_buffer
      - .actual_access:  read_only
        .address_space:  global
        .offset:         96
        .size:           8
        .value_kind:     global_buffer
      - .actual_access:  read_only
        .address_space:  global
        .offset:         104
        .size:           8
        .value_kind:     global_buffer
      - .actual_access:  read_only
        .address_space:  global
        .offset:         112
        .size:           8
        .value_kind:     global_buffer
      - .offset:         120
        .size:           4
        .value_kind:     by_value
      - .address_space:  global
        .offset:         128
        .size:           8
        .value_kind:     global_buffer
      - .address_space:  global
        .offset:         136
        .size:           8
        .value_kind:     global_buffer
      - .offset:         144
        .size:           4
        .value_kind:     hidden_block_count_x
      - .offset:         148
        .size:           4
        .value_kind:     hidden_block_count_y
      - .offset:         152
        .size:           4
        .value_kind:     hidden_block_count_z
      - .offset:         156
        .size:           2
        .value_kind:     hidden_group_size_x
      - .offset:         158
        .size:           2
        .value_kind:     hidden_group_size_y
      - .offset:         160
        .size:           2
        .value_kind:     hidden_group_size_z
      - .offset:         162
        .size:           2
        .value_kind:     hidden_remainder_x
      - .offset:         164
        .size:           2
        .value_kind:     hidden_remainder_y
      - .offset:         166
        .size:           2
        .value_kind:     hidden_remainder_z
      - .offset:         184
        .size:           8
        .value_kind:     hidden_global_offset_x
      - .offset:         192
        .size:           8
        .value_kind:     hidden_global_offset_y
      - .offset:         200
        .size:           8
        .value_kind:     hidden_global_offset_z
      - .offset:         208
        .size:           2
        .value_kind:     hidden_grid_dims
      - .offset:         224
        .size:           8
        .value_kind:     hidden_hostcall_buffer
    .group_segment_fixed_size: 0
    .kernarg_segment_align: 8
    .kernarg_segment_size: 400
    .language:       OpenCL C
    .language_version:
      - 2
      - 0
    .max_flat_workgroup_size: 256
    .name:           _Z38paged_attention_ll4mi_QKV_mfma4_kernelIDF16_DF16_LN4vllm18Fp8KVCacheDataTypeE0EDF16_Li32ELi64ELi256ELb1ELi1EEvPKT_PKT0_S7_ifPKiS9_S9_iPKfiiiPfSC_PS2_PT2_iSB_SB_
    .private_segment_fixed_size: 64
    .sgpr_count:     36
    .sgpr_spill_count: 0
    .symbol:         _Z38paged_attention_ll4mi_QKV_mfma4_kernelIDF16_DF16_LN4vllm18Fp8KVCacheDataTypeE0EDF16_Li32ELi64ELi256ELb1ELi1EEvPKT_PKT0_S7_ifPKiS9_S9_iPKfiiiPfSC_PS2_PT2_iSB_SB_.kd
    .uniform_work_group_size: 1
    .uses_dynamic_stack: false
    .vgpr_count:     41
    .vgpr_spill_count: 0
    .wavefront_size: 32
    .workgroup_processor_mode: 1
  - .args:
      - .actual_access:  read_only
        .address_space:  global
        .offset:         0
        .size:           8
        .value_kind:     global_buffer
      - .actual_access:  read_only
        .address_space:  global
        .offset:         8
        .size:           8
        .value_kind:     global_buffer
      - .actual_access:  read_only
        .address_space:  global
        .offset:         16
        .size:           8
        .value_kind:     global_buffer
      - .offset:         24
        .size:           4
        .value_kind:     by_value
      - .offset:         28
        .size:           4
        .value_kind:     by_value
      - .actual_access:  read_only
        .address_space:  global
        .offset:         32
        .size:           8
        .value_kind:     global_buffer
      - .actual_access:  read_only
        .address_space:  global
        .offset:         40
        .size:           8
        .value_kind:     global_buffer
      - .actual_access:  read_only
        .address_space:  global
        .offset:         48
        .size:           8
        .value_kind:     global_buffer
      - .offset:         56
        .size:           4
        .value_kind:     by_value
      - .actual_access:  read_only
        .address_space:  global
        .offset:         64
        .size:           8
        .value_kind:     global_buffer
      - .offset:         72
        .size:           4
        .value_kind:     by_value
      - .offset:         76
        .size:           4
        .value_kind:     by_value
      - .offset:         80
        .size:           4
        .value_kind:     by_value
      - .actual_access:  read_only
        .address_space:  global
        .offset:         88
        .size:           8
        .value_kind:     global_buffer
      - .actual_access:  read_only
        .address_space:  global
        .offset:         96
        .size:           8
        .value_kind:     global_buffer
      - .actual_access:  read_only
        .address_space:  global
        .offset:         104
        .size:           8
        .value_kind:     global_buffer
      - .actual_access:  read_only
        .address_space:  global
        .offset:         112
        .size:           8
        .value_kind:     global_buffer
      - .offset:         120
        .size:           4
        .value_kind:     by_value
      - .address_space:  global
        .offset:         128
        .size:           8
        .value_kind:     global_buffer
      - .address_space:  global
        .offset:         136
        .size:           8
        .value_kind:     global_buffer
      - .offset:         144
        .size:           4
        .value_kind:     hidden_block_count_x
      - .offset:         148
        .size:           4
        .value_kind:     hidden_block_count_y
      - .offset:         152
        .size:           4
        .value_kind:     hidden_block_count_z
      - .offset:         156
        .size:           2
        .value_kind:     hidden_group_size_x
      - .offset:         158
        .size:           2
        .value_kind:     hidden_group_size_y
      - .offset:         160
        .size:           2
        .value_kind:     hidden_group_size_z
      - .offset:         162
        .size:           2
        .value_kind:     hidden_remainder_x
      - .offset:         164
        .size:           2
        .value_kind:     hidden_remainder_y
      - .offset:         166
        .size:           2
        .value_kind:     hidden_remainder_z
      - .offset:         184
        .size:           8
        .value_kind:     hidden_global_offset_x
      - .offset:         192
        .size:           8
        .value_kind:     hidden_global_offset_y
      - .offset:         200
        .size:           8
        .value_kind:     hidden_global_offset_z
      - .offset:         208
        .size:           2
        .value_kind:     hidden_grid_dims
      - .offset:         224
        .size:           8
        .value_kind:     hidden_hostcall_buffer
    .group_segment_fixed_size: 0
    .kernarg_segment_align: 8
    .kernarg_segment_size: 400
    .language:       OpenCL C
    .language_version:
      - 2
      - 0
    .max_flat_workgroup_size: 256
    .name:           _Z38paged_attention_ll4mi_QKV_mfma4_kernelIDF16_DF16_LN4vllm18Fp8KVCacheDataTypeE0EDF16_Li32ELi64ELi256ELb1ELi2EEvPKT_PKT0_S7_ifPKiS9_S9_iPKfiiiPfSC_PS2_PT2_iSB_SB_
    .private_segment_fixed_size: 64
    .sgpr_count:     36
    .sgpr_spill_count: 0
    .symbol:         _Z38paged_attention_ll4mi_QKV_mfma4_kernelIDF16_DF16_LN4vllm18Fp8KVCacheDataTypeE0EDF16_Li32ELi64ELi256ELb1ELi2EEvPKT_PKT0_S7_ifPKiS9_S9_iPKfiiiPfSC_PS2_PT2_iSB_SB_.kd
    .uniform_work_group_size: 1
    .uses_dynamic_stack: false
    .vgpr_count:     41
    .vgpr_spill_count: 0
    .wavefront_size: 32
    .workgroup_processor_mode: 1
  - .args:
      - .actual_access:  read_only
        .address_space:  global
        .offset:         0
        .size:           8
        .value_kind:     global_buffer
      - .actual_access:  read_only
        .address_space:  global
        .offset:         8
        .size:           8
        .value_kind:     global_buffer
      - .actual_access:  read_only
        .address_space:  global
        .offset:         16
        .size:           8
        .value_kind:     global_buffer
      - .offset:         24
        .size:           4
        .value_kind:     by_value
      - .offset:         28
        .size:           4
        .value_kind:     by_value
      - .actual_access:  read_only
        .address_space:  global
        .offset:         32
        .size:           8
        .value_kind:     global_buffer
      - .actual_access:  read_only
        .address_space:  global
        .offset:         40
        .size:           8
        .value_kind:     global_buffer
      - .actual_access:  read_only
        .address_space:  global
        .offset:         48
        .size:           8
        .value_kind:     global_buffer
      - .offset:         56
        .size:           4
        .value_kind:     by_value
      - .actual_access:  read_only
        .address_space:  global
        .offset:         64
        .size:           8
        .value_kind:     global_buffer
      - .offset:         72
        .size:           4
        .value_kind:     by_value
      - .offset:         76
        .size:           4
        .value_kind:     by_value
      - .offset:         80
        .size:           4
        .value_kind:     by_value
      - .actual_access:  read_only
        .address_space:  global
        .offset:         88
        .size:           8
        .value_kind:     global_buffer
      - .actual_access:  read_only
        .address_space:  global
        .offset:         96
        .size:           8
        .value_kind:     global_buffer
      - .actual_access:  read_only
        .address_space:  global
        .offset:         104
        .size:           8
        .value_kind:     global_buffer
      - .actual_access:  read_only
        .address_space:  global
        .offset:         112
        .size:           8
        .value_kind:     global_buffer
      - .offset:         120
        .size:           4
        .value_kind:     by_value
      - .address_space:  global
        .offset:         128
        .size:           8
        .value_kind:     global_buffer
      - .address_space:  global
        .offset:         136
        .size:           8
        .value_kind:     global_buffer
      - .offset:         144
        .size:           4
        .value_kind:     hidden_block_count_x
      - .offset:         148
        .size:           4
        .value_kind:     hidden_block_count_y
      - .offset:         152
        .size:           4
        .value_kind:     hidden_block_count_z
      - .offset:         156
        .size:           2
        .value_kind:     hidden_group_size_x
      - .offset:         158
        .size:           2
        .value_kind:     hidden_group_size_y
      - .offset:         160
        .size:           2
        .value_kind:     hidden_group_size_z
      - .offset:         162
        .size:           2
        .value_kind:     hidden_remainder_x
      - .offset:         164
        .size:           2
        .value_kind:     hidden_remainder_y
      - .offset:         166
        .size:           2
        .value_kind:     hidden_remainder_z
      - .offset:         184
        .size:           8
        .value_kind:     hidden_global_offset_x
      - .offset:         192
        .size:           8
        .value_kind:     hidden_global_offset_y
      - .offset:         200
        .size:           8
        .value_kind:     hidden_global_offset_z
      - .offset:         208
        .size:           2
        .value_kind:     hidden_grid_dims
      - .offset:         224
        .size:           8
        .value_kind:     hidden_hostcall_buffer
    .group_segment_fixed_size: 0
    .kernarg_segment_align: 8
    .kernarg_segment_size: 400
    .language:       OpenCL C
    .language_version:
      - 2
      - 0
    .max_flat_workgroup_size: 256
    .name:           _Z38paged_attention_ll4mi_QKV_mfma4_kernelIDF16_DF16_LN4vllm18Fp8KVCacheDataTypeE0EDF16_Li32ELi64ELi256ELb1ELi3EEvPKT_PKT0_S7_ifPKiS9_S9_iPKfiiiPfSC_PS2_PT2_iSB_SB_
    .private_segment_fixed_size: 64
    .sgpr_count:     36
    .sgpr_spill_count: 0
    .symbol:         _Z38paged_attention_ll4mi_QKV_mfma4_kernelIDF16_DF16_LN4vllm18Fp8KVCacheDataTypeE0EDF16_Li32ELi64ELi256ELb1ELi3EEvPKT_PKT0_S7_ifPKiS9_S9_iPKfiiiPfSC_PS2_PT2_iSB_SB_.kd
    .uniform_work_group_size: 1
    .uses_dynamic_stack: false
    .vgpr_count:     41
    .vgpr_spill_count: 0
    .wavefront_size: 32
    .workgroup_processor_mode: 1
  - .args:
      - .actual_access:  read_only
        .address_space:  global
        .offset:         0
        .size:           8
        .value_kind:     global_buffer
      - .actual_access:  read_only
        .address_space:  global
        .offset:         8
        .size:           8
        .value_kind:     global_buffer
      - .actual_access:  read_only
        .address_space:  global
        .offset:         16
        .size:           8
        .value_kind:     global_buffer
      - .offset:         24
        .size:           4
        .value_kind:     by_value
      - .offset:         28
        .size:           4
        .value_kind:     by_value
      - .actual_access:  read_only
        .address_space:  global
        .offset:         32
        .size:           8
        .value_kind:     global_buffer
      - .actual_access:  read_only
        .address_space:  global
        .offset:         40
        .size:           8
        .value_kind:     global_buffer
      - .actual_access:  read_only
        .address_space:  global
        .offset:         48
        .size:           8
        .value_kind:     global_buffer
      - .offset:         56
        .size:           4
        .value_kind:     by_value
      - .actual_access:  read_only
        .address_space:  global
        .offset:         64
        .size:           8
        .value_kind:     global_buffer
      - .offset:         72
        .size:           4
        .value_kind:     by_value
      - .offset:         76
        .size:           4
        .value_kind:     by_value
      - .offset:         80
        .size:           4
        .value_kind:     by_value
      - .actual_access:  read_only
        .address_space:  global
        .offset:         88
        .size:           8
        .value_kind:     global_buffer
      - .actual_access:  read_only
        .address_space:  global
        .offset:         96
        .size:           8
        .value_kind:     global_buffer
      - .actual_access:  read_only
        .address_space:  global
        .offset:         104
        .size:           8
        .value_kind:     global_buffer
      - .actual_access:  read_only
        .address_space:  global
        .offset:         112
        .size:           8
        .value_kind:     global_buffer
      - .offset:         120
        .size:           4
        .value_kind:     by_value
      - .address_space:  global
        .offset:         128
        .size:           8
        .value_kind:     global_buffer
      - .address_space:  global
        .offset:         136
        .size:           8
        .value_kind:     global_buffer
      - .offset:         144
        .size:           4
        .value_kind:     hidden_block_count_x
      - .offset:         148
        .size:           4
        .value_kind:     hidden_block_count_y
      - .offset:         152
        .size:           4
        .value_kind:     hidden_block_count_z
      - .offset:         156
        .size:           2
        .value_kind:     hidden_group_size_x
      - .offset:         158
        .size:           2
        .value_kind:     hidden_group_size_y
      - .offset:         160
        .size:           2
        .value_kind:     hidden_group_size_z
      - .offset:         162
        .size:           2
        .value_kind:     hidden_remainder_x
      - .offset:         164
        .size:           2
        .value_kind:     hidden_remainder_y
      - .offset:         166
        .size:           2
        .value_kind:     hidden_remainder_z
      - .offset:         184
        .size:           8
        .value_kind:     hidden_global_offset_x
      - .offset:         192
        .size:           8
        .value_kind:     hidden_global_offset_y
      - .offset:         200
        .size:           8
        .value_kind:     hidden_global_offset_z
      - .offset:         208
        .size:           2
        .value_kind:     hidden_grid_dims
      - .offset:         224
        .size:           8
        .value_kind:     hidden_hostcall_buffer
    .group_segment_fixed_size: 0
    .kernarg_segment_align: 8
    .kernarg_segment_size: 400
    .language:       OpenCL C
    .language_version:
      - 2
      - 0
    .max_flat_workgroup_size: 256
    .name:           _Z38paged_attention_ll4mi_QKV_mfma4_kernelIDF16_DF16_LN4vllm18Fp8KVCacheDataTypeE0EDF16_Li32ELi64ELi256ELb1ELi4EEvPKT_PKT0_S7_ifPKiS9_S9_iPKfiiiPfSC_PS2_PT2_iSB_SB_
    .private_segment_fixed_size: 64
    .sgpr_count:     36
    .sgpr_spill_count: 0
    .symbol:         _Z38paged_attention_ll4mi_QKV_mfma4_kernelIDF16_DF16_LN4vllm18Fp8KVCacheDataTypeE0EDF16_Li32ELi64ELi256ELb1ELi4EEvPKT_PKT0_S7_ifPKiS9_S9_iPKfiiiPfSC_PS2_PT2_iSB_SB_.kd
    .uniform_work_group_size: 1
    .uses_dynamic_stack: false
    .vgpr_count:     41
    .vgpr_spill_count: 0
    .wavefront_size: 32
    .workgroup_processor_mode: 1
  - .args:
      - .actual_access:  read_only
        .address_space:  global
        .offset:         0
        .size:           8
        .value_kind:     global_buffer
      - .actual_access:  read_only
        .address_space:  global
        .offset:         8
        .size:           8
        .value_kind:     global_buffer
      - .actual_access:  read_only
        .address_space:  global
        .offset:         16
        .size:           8
        .value_kind:     global_buffer
      - .offset:         24
        .size:           4
        .value_kind:     by_value
      - .offset:         28
        .size:           4
        .value_kind:     by_value
      - .actual_access:  read_only
        .address_space:  global
        .offset:         32
        .size:           8
        .value_kind:     global_buffer
      - .actual_access:  read_only
        .address_space:  global
        .offset:         40
        .size:           8
        .value_kind:     global_buffer
      - .actual_access:  read_only
        .address_space:  global
        .offset:         48
        .size:           8
        .value_kind:     global_buffer
      - .offset:         56
        .size:           4
        .value_kind:     by_value
      - .actual_access:  read_only
        .address_space:  global
        .offset:         64
        .size:           8
        .value_kind:     global_buffer
      - .offset:         72
        .size:           4
        .value_kind:     by_value
      - .offset:         76
        .size:           4
        .value_kind:     by_value
      - .offset:         80
        .size:           4
        .value_kind:     by_value
      - .actual_access:  write_only
        .address_space:  global
        .offset:         88
        .size:           8
        .value_kind:     global_buffer
      - .actual_access:  write_only
        .address_space:  global
        .offset:         96
        .size:           8
        .value_kind:     global_buffer
      - .actual_access:  write_only
        .address_space:  global
        .offset:         104
        .size:           8
        .value_kind:     global_buffer
      - .actual_access:  read_only
        .address_space:  global
        .offset:         112
        .size:           8
        .value_kind:     global_buffer
      - .offset:         120
        .size:           4
        .value_kind:     by_value
      - .address_space:  global
        .offset:         128
        .size:           8
        .value_kind:     global_buffer
      - .address_space:  global
        .offset:         136
        .size:           8
        .value_kind:     global_buffer
      - .offset:         144
        .size:           4
        .value_kind:     hidden_block_count_x
      - .offset:         148
        .size:           4
        .value_kind:     hidden_block_count_y
      - .offset:         152
        .size:           4
        .value_kind:     hidden_block_count_z
      - .offset:         156
        .size:           2
        .value_kind:     hidden_group_size_x
      - .offset:         158
        .size:           2
        .value_kind:     hidden_group_size_y
      - .offset:         160
        .size:           2
        .value_kind:     hidden_group_size_z
      - .offset:         162
        .size:           2
        .value_kind:     hidden_remainder_x
      - .offset:         164
        .size:           2
        .value_kind:     hidden_remainder_y
      - .offset:         166
        .size:           2
        .value_kind:     hidden_remainder_z
      - .offset:         184
        .size:           8
        .value_kind:     hidden_global_offset_x
      - .offset:         192
        .size:           8
        .value_kind:     hidden_global_offset_y
      - .offset:         200
        .size:           8
        .value_kind:     hidden_global_offset_z
      - .offset:         208
        .size:           2
        .value_kind:     hidden_grid_dims
    .group_segment_fixed_size: 17472
    .kernarg_segment_align: 8
    .kernarg_segment_size: 400
    .language:       OpenCL C
    .language_version:
      - 2
      - 0
    .max_flat_workgroup_size: 256
    .name:           _Z39paged_attention_ll4mi_QKV_mfma16_kernelIDF16_DF16_LN4vllm18Fp8KVCacheDataTypeE0EDF16_Li32ELi64ELi256ELb1ELi5EL8MFMAType0EEvPKT_PKT0_S8_ifPKiSA_SA_iPKfiiiPfSD_PS3_PT2_iSC_SC_
    .private_segment_fixed_size: 0
    .sgpr_count:     41
    .sgpr_spill_count: 0
    .symbol:         _Z39paged_attention_ll4mi_QKV_mfma16_kernelIDF16_DF16_LN4vllm18Fp8KVCacheDataTypeE0EDF16_Li32ELi64ELi256ELb1ELi5EL8MFMAType0EEvPKT_PKT0_S8_ifPKiSA_SA_iPKfiiiPfSD_PS3_PT2_iSC_SC_.kd
    .uniform_work_group_size: 1
    .uses_dynamic_stack: false
    .vgpr_count:     154
    .vgpr_spill_count: 0
    .wavefront_size: 32
    .workgroup_processor_mode: 1
  - .args:
      - .actual_access:  read_only
        .address_space:  global
        .offset:         0
        .size:           8
        .value_kind:     global_buffer
      - .actual_access:  read_only
        .address_space:  global
        .offset:         8
        .size:           8
        .value_kind:     global_buffer
      - .actual_access:  read_only
        .address_space:  global
        .offset:         16
        .size:           8
        .value_kind:     global_buffer
      - .offset:         24
        .size:           4
        .value_kind:     by_value
      - .offset:         28
        .size:           4
        .value_kind:     by_value
      - .actual_access:  read_only
        .address_space:  global
        .offset:         32
        .size:           8
        .value_kind:     global_buffer
      - .actual_access:  read_only
        .address_space:  global
        .offset:         40
        .size:           8
        .value_kind:     global_buffer
      - .actual_access:  read_only
        .address_space:  global
        .offset:         48
        .size:           8
        .value_kind:     global_buffer
      - .offset:         56
        .size:           4
        .value_kind:     by_value
      - .actual_access:  read_only
        .address_space:  global
        .offset:         64
        .size:           8
        .value_kind:     global_buffer
      - .offset:         72
        .size:           4
        .value_kind:     by_value
      - .offset:         76
        .size:           4
        .value_kind:     by_value
      - .offset:         80
        .size:           4
        .value_kind:     by_value
      - .actual_access:  write_only
        .address_space:  global
        .offset:         88
        .size:           8
        .value_kind:     global_buffer
      - .actual_access:  write_only
        .address_space:  global
        .offset:         96
        .size:           8
        .value_kind:     global_buffer
      - .actual_access:  write_only
        .address_space:  global
        .offset:         104
        .size:           8
        .value_kind:     global_buffer
      - .actual_access:  read_only
        .address_space:  global
        .offset:         112
        .size:           8
        .value_kind:     global_buffer
      - .offset:         120
        .size:           4
        .value_kind:     by_value
      - .address_space:  global
        .offset:         128
        .size:           8
        .value_kind:     global_buffer
      - .address_space:  global
        .offset:         136
        .size:           8
        .value_kind:     global_buffer
      - .offset:         144
        .size:           4
        .value_kind:     hidden_block_count_x
      - .offset:         148
        .size:           4
        .value_kind:     hidden_block_count_y
      - .offset:         152
        .size:           4
        .value_kind:     hidden_block_count_z
      - .offset:         156
        .size:           2
        .value_kind:     hidden_group_size_x
      - .offset:         158
        .size:           2
        .value_kind:     hidden_group_size_y
      - .offset:         160
        .size:           2
        .value_kind:     hidden_group_size_z
      - .offset:         162
        .size:           2
        .value_kind:     hidden_remainder_x
      - .offset:         164
        .size:           2
        .value_kind:     hidden_remainder_y
      - .offset:         166
        .size:           2
        .value_kind:     hidden_remainder_z
      - .offset:         184
        .size:           8
        .value_kind:     hidden_global_offset_x
      - .offset:         192
        .size:           8
        .value_kind:     hidden_global_offset_y
      - .offset:         200
        .size:           8
        .value_kind:     hidden_global_offset_z
      - .offset:         208
        .size:           2
        .value_kind:     hidden_grid_dims
    .group_segment_fixed_size: 17472
    .kernarg_segment_align: 8
    .kernarg_segment_size: 400
    .language:       OpenCL C
    .language_version:
      - 2
      - 0
    .max_flat_workgroup_size: 256
    .name:           _Z39paged_attention_ll4mi_QKV_mfma16_kernelIDF16_DF16_LN4vllm18Fp8KVCacheDataTypeE0EDF16_Li32ELi64ELi256ELb1ELi6EL8MFMAType0EEvPKT_PKT0_S8_ifPKiSA_SA_iPKfiiiPfSD_PS3_PT2_iSC_SC_
    .private_segment_fixed_size: 0
    .sgpr_count:     41
    .sgpr_spill_count: 0
    .symbol:         _Z39paged_attention_ll4mi_QKV_mfma16_kernelIDF16_DF16_LN4vllm18Fp8KVCacheDataTypeE0EDF16_Li32ELi64ELi256ELb1ELi6EL8MFMAType0EEvPKT_PKT0_S8_ifPKiSA_SA_iPKfiiiPfSD_PS3_PT2_iSC_SC_.kd
    .uniform_work_group_size: 1
    .uses_dynamic_stack: false
    .vgpr_count:     154
    .vgpr_spill_count: 0
    .wavefront_size: 32
    .workgroup_processor_mode: 1
  - .args:
      - .actual_access:  read_only
        .address_space:  global
        .offset:         0
        .size:           8
        .value_kind:     global_buffer
      - .actual_access:  read_only
        .address_space:  global
        .offset:         8
        .size:           8
        .value_kind:     global_buffer
      - .actual_access:  read_only
        .address_space:  global
        .offset:         16
        .size:           8
        .value_kind:     global_buffer
      - .offset:         24
        .size:           4
        .value_kind:     by_value
      - .offset:         28
        .size:           4
        .value_kind:     by_value
      - .actual_access:  read_only
        .address_space:  global
        .offset:         32
        .size:           8
        .value_kind:     global_buffer
      - .actual_access:  read_only
        .address_space:  global
        .offset:         40
        .size:           8
        .value_kind:     global_buffer
      - .actual_access:  read_only
        .address_space:  global
        .offset:         48
        .size:           8
        .value_kind:     global_buffer
      - .offset:         56
        .size:           4
        .value_kind:     by_value
      - .actual_access:  read_only
        .address_space:  global
        .offset:         64
        .size:           8
        .value_kind:     global_buffer
      - .offset:         72
        .size:           4
        .value_kind:     by_value
      - .offset:         76
        .size:           4
        .value_kind:     by_value
      - .offset:         80
        .size:           4
        .value_kind:     by_value
      - .actual_access:  write_only
        .address_space:  global
        .offset:         88
        .size:           8
        .value_kind:     global_buffer
      - .actual_access:  write_only
        .address_space:  global
        .offset:         96
        .size:           8
        .value_kind:     global_buffer
      - .actual_access:  write_only
        .address_space:  global
        .offset:         104
        .size:           8
        .value_kind:     global_buffer
      - .actual_access:  read_only
        .address_space:  global
        .offset:         112
        .size:           8
        .value_kind:     global_buffer
      - .offset:         120
        .size:           4
        .value_kind:     by_value
      - .address_space:  global
        .offset:         128
        .size:           8
        .value_kind:     global_buffer
      - .address_space:  global
        .offset:         136
        .size:           8
        .value_kind:     global_buffer
      - .offset:         144
        .size:           4
        .value_kind:     hidden_block_count_x
      - .offset:         148
        .size:           4
        .value_kind:     hidden_block_count_y
      - .offset:         152
        .size:           4
        .value_kind:     hidden_block_count_z
      - .offset:         156
        .size:           2
        .value_kind:     hidden_group_size_x
      - .offset:         158
        .size:           2
        .value_kind:     hidden_group_size_y
      - .offset:         160
        .size:           2
        .value_kind:     hidden_group_size_z
      - .offset:         162
        .size:           2
        .value_kind:     hidden_remainder_x
      - .offset:         164
        .size:           2
        .value_kind:     hidden_remainder_y
      - .offset:         166
        .size:           2
        .value_kind:     hidden_remainder_z
      - .offset:         184
        .size:           8
        .value_kind:     hidden_global_offset_x
      - .offset:         192
        .size:           8
        .value_kind:     hidden_global_offset_y
      - .offset:         200
        .size:           8
        .value_kind:     hidden_global_offset_z
      - .offset:         208
        .size:           2
        .value_kind:     hidden_grid_dims
    .group_segment_fixed_size: 17472
    .kernarg_segment_align: 8
    .kernarg_segment_size: 400
    .language:       OpenCL C
    .language_version:
      - 2
      - 0
    .max_flat_workgroup_size: 256
    .name:           _Z39paged_attention_ll4mi_QKV_mfma16_kernelIDF16_DF16_LN4vllm18Fp8KVCacheDataTypeE0EDF16_Li32ELi64ELi256ELb1ELi7EL8MFMAType0EEvPKT_PKT0_S8_ifPKiSA_SA_iPKfiiiPfSD_PS3_PT2_iSC_SC_
    .private_segment_fixed_size: 0
    .sgpr_count:     41
    .sgpr_spill_count: 0
    .symbol:         _Z39paged_attention_ll4mi_QKV_mfma16_kernelIDF16_DF16_LN4vllm18Fp8KVCacheDataTypeE0EDF16_Li32ELi64ELi256ELb1ELi7EL8MFMAType0EEvPKT_PKT0_S8_ifPKiSA_SA_iPKfiiiPfSD_PS3_PT2_iSC_SC_.kd
    .uniform_work_group_size: 1
    .uses_dynamic_stack: false
    .vgpr_count:     154
    .vgpr_spill_count: 0
    .wavefront_size: 32
    .workgroup_processor_mode: 1
  - .args:
      - .actual_access:  read_only
        .address_space:  global
        .offset:         0
        .size:           8
        .value_kind:     global_buffer
      - .actual_access:  read_only
        .address_space:  global
        .offset:         8
        .size:           8
        .value_kind:     global_buffer
      - .actual_access:  read_only
        .address_space:  global
        .offset:         16
        .size:           8
        .value_kind:     global_buffer
      - .offset:         24
        .size:           4
        .value_kind:     by_value
      - .offset:         28
        .size:           4
        .value_kind:     by_value
      - .actual_access:  read_only
        .address_space:  global
        .offset:         32
        .size:           8
        .value_kind:     global_buffer
      - .actual_access:  read_only
        .address_space:  global
        .offset:         40
        .size:           8
        .value_kind:     global_buffer
      - .actual_access:  read_only
        .address_space:  global
        .offset:         48
        .size:           8
        .value_kind:     global_buffer
      - .offset:         56
        .size:           4
        .value_kind:     by_value
      - .actual_access:  read_only
        .address_space:  global
        .offset:         64
        .size:           8
        .value_kind:     global_buffer
      - .offset:         72
        .size:           4
        .value_kind:     by_value
      - .offset:         76
        .size:           4
        .value_kind:     by_value
      - .offset:         80
        .size:           4
        .value_kind:     by_value
      - .actual_access:  write_only
        .address_space:  global
        .offset:         88
        .size:           8
        .value_kind:     global_buffer
      - .actual_access:  write_only
        .address_space:  global
        .offset:         96
        .size:           8
        .value_kind:     global_buffer
      - .actual_access:  write_only
        .address_space:  global
        .offset:         104
        .size:           8
        .value_kind:     global_buffer
      - .actual_access:  read_only
        .address_space:  global
        .offset:         112
        .size:           8
        .value_kind:     global_buffer
      - .offset:         120
        .size:           4
        .value_kind:     by_value
      - .address_space:  global
        .offset:         128
        .size:           8
        .value_kind:     global_buffer
      - .address_space:  global
        .offset:         136
        .size:           8
        .value_kind:     global_buffer
      - .offset:         144
        .size:           4
        .value_kind:     hidden_block_count_x
      - .offset:         148
        .size:           4
        .value_kind:     hidden_block_count_y
      - .offset:         152
        .size:           4
        .value_kind:     hidden_block_count_z
      - .offset:         156
        .size:           2
        .value_kind:     hidden_group_size_x
      - .offset:         158
        .size:           2
        .value_kind:     hidden_group_size_y
      - .offset:         160
        .size:           2
        .value_kind:     hidden_group_size_z
      - .offset:         162
        .size:           2
        .value_kind:     hidden_remainder_x
      - .offset:         164
        .size:           2
        .value_kind:     hidden_remainder_y
      - .offset:         166
        .size:           2
        .value_kind:     hidden_remainder_z
      - .offset:         184
        .size:           8
        .value_kind:     hidden_global_offset_x
      - .offset:         192
        .size:           8
        .value_kind:     hidden_global_offset_y
      - .offset:         200
        .size:           8
        .value_kind:     hidden_global_offset_z
      - .offset:         208
        .size:           2
        .value_kind:     hidden_grid_dims
    .group_segment_fixed_size: 17472
    .kernarg_segment_align: 8
    .kernarg_segment_size: 400
    .language:       OpenCL C
    .language_version:
      - 2
      - 0
    .max_flat_workgroup_size: 256
    .name:           _Z39paged_attention_ll4mi_QKV_mfma16_kernelIDF16_DF16_LN4vllm18Fp8KVCacheDataTypeE0EDF16_Li32ELi64ELi256ELb1ELi8EL8MFMAType0EEvPKT_PKT0_S8_ifPKiSA_SA_iPKfiiiPfSD_PS3_PT2_iSC_SC_
    .private_segment_fixed_size: 0
    .sgpr_count:     41
    .sgpr_spill_count: 0
    .symbol:         _Z39paged_attention_ll4mi_QKV_mfma16_kernelIDF16_DF16_LN4vllm18Fp8KVCacheDataTypeE0EDF16_Li32ELi64ELi256ELb1ELi8EL8MFMAType0EEvPKT_PKT0_S8_ifPKiSA_SA_iPKfiiiPfSD_PS3_PT2_iSC_SC_.kd
    .uniform_work_group_size: 1
    .uses_dynamic_stack: false
    .vgpr_count:     154
    .vgpr_spill_count: 0
    .wavefront_size: 32
    .workgroup_processor_mode: 1
  - .args:
      - .actual_access:  read_only
        .address_space:  global
        .offset:         0
        .size:           8
        .value_kind:     global_buffer
      - .actual_access:  read_only
        .address_space:  global
        .offset:         8
        .size:           8
        .value_kind:     global_buffer
      - .actual_access:  read_only
        .address_space:  global
        .offset:         16
        .size:           8
        .value_kind:     global_buffer
      - .offset:         24
        .size:           4
        .value_kind:     by_value
      - .offset:         28
        .size:           4
        .value_kind:     by_value
      - .actual_access:  read_only
        .address_space:  global
        .offset:         32
        .size:           8
        .value_kind:     global_buffer
      - .actual_access:  read_only
        .address_space:  global
        .offset:         40
        .size:           8
        .value_kind:     global_buffer
      - .actual_access:  read_only
        .address_space:  global
        .offset:         48
        .size:           8
        .value_kind:     global_buffer
      - .offset:         56
        .size:           4
        .value_kind:     by_value
      - .actual_access:  read_only
        .address_space:  global
        .offset:         64
        .size:           8
        .value_kind:     global_buffer
      - .offset:         72
        .size:           4
        .value_kind:     by_value
      - .offset:         76
        .size:           4
        .value_kind:     by_value
      - .offset:         80
        .size:           4
        .value_kind:     by_value
      - .actual_access:  write_only
        .address_space:  global
        .offset:         88
        .size:           8
        .value_kind:     global_buffer
      - .actual_access:  write_only
        .address_space:  global
        .offset:         96
        .size:           8
        .value_kind:     global_buffer
      - .actual_access:  write_only
        .address_space:  global
        .offset:         104
        .size:           8
        .value_kind:     global_buffer
      - .actual_access:  read_only
        .address_space:  global
        .offset:         112
        .size:           8
        .value_kind:     global_buffer
      - .offset:         120
        .size:           4
        .value_kind:     by_value
      - .address_space:  global
        .offset:         128
        .size:           8
        .value_kind:     global_buffer
      - .address_space:  global
        .offset:         136
        .size:           8
        .value_kind:     global_buffer
      - .offset:         144
        .size:           4
        .value_kind:     hidden_block_count_x
      - .offset:         148
        .size:           4
        .value_kind:     hidden_block_count_y
      - .offset:         152
        .size:           4
        .value_kind:     hidden_block_count_z
      - .offset:         156
        .size:           2
        .value_kind:     hidden_group_size_x
      - .offset:         158
        .size:           2
        .value_kind:     hidden_group_size_y
      - .offset:         160
        .size:           2
        .value_kind:     hidden_group_size_z
      - .offset:         162
        .size:           2
        .value_kind:     hidden_remainder_x
      - .offset:         164
        .size:           2
        .value_kind:     hidden_remainder_y
      - .offset:         166
        .size:           2
        .value_kind:     hidden_remainder_z
      - .offset:         184
        .size:           8
        .value_kind:     hidden_global_offset_x
      - .offset:         192
        .size:           8
        .value_kind:     hidden_global_offset_y
      - .offset:         200
        .size:           8
        .value_kind:     hidden_global_offset_z
      - .offset:         208
        .size:           2
        .value_kind:     hidden_grid_dims
    .group_segment_fixed_size: 17472
    .kernarg_segment_align: 8
    .kernarg_segment_size: 400
    .language:       OpenCL C
    .language_version:
      - 2
      - 0
    .max_flat_workgroup_size: 256
    .name:           _Z39paged_attention_ll4mi_QKV_mfma16_kernelIDF16_DF16_LN4vllm18Fp8KVCacheDataTypeE0EDF16_Li32ELi64ELi256ELb1ELi9EL8MFMAType0EEvPKT_PKT0_S8_ifPKiSA_SA_iPKfiiiPfSD_PS3_PT2_iSC_SC_
    .private_segment_fixed_size: 0
    .sgpr_count:     41
    .sgpr_spill_count: 0
    .symbol:         _Z39paged_attention_ll4mi_QKV_mfma16_kernelIDF16_DF16_LN4vllm18Fp8KVCacheDataTypeE0EDF16_Li32ELi64ELi256ELb1ELi9EL8MFMAType0EEvPKT_PKT0_S8_ifPKiSA_SA_iPKfiiiPfSD_PS3_PT2_iSC_SC_.kd
    .uniform_work_group_size: 1
    .uses_dynamic_stack: false
    .vgpr_count:     154
    .vgpr_spill_count: 0
    .wavefront_size: 32
    .workgroup_processor_mode: 1
  - .args:
      - .actual_access:  read_only
        .address_space:  global
        .offset:         0
        .size:           8
        .value_kind:     global_buffer
      - .actual_access:  read_only
        .address_space:  global
        .offset:         8
        .size:           8
        .value_kind:     global_buffer
      - .actual_access:  read_only
        .address_space:  global
        .offset:         16
        .size:           8
        .value_kind:     global_buffer
      - .offset:         24
        .size:           4
        .value_kind:     by_value
      - .offset:         28
        .size:           4
        .value_kind:     by_value
      - .actual_access:  read_only
        .address_space:  global
        .offset:         32
        .size:           8
        .value_kind:     global_buffer
      - .actual_access:  read_only
        .address_space:  global
        .offset:         40
        .size:           8
        .value_kind:     global_buffer
      - .actual_access:  read_only
        .address_space:  global
        .offset:         48
        .size:           8
        .value_kind:     global_buffer
      - .offset:         56
        .size:           4
        .value_kind:     by_value
      - .actual_access:  read_only
        .address_space:  global
        .offset:         64
        .size:           8
        .value_kind:     global_buffer
      - .offset:         72
        .size:           4
        .value_kind:     by_value
      - .offset:         76
        .size:           4
        .value_kind:     by_value
      - .offset:         80
        .size:           4
        .value_kind:     by_value
      - .actual_access:  write_only
        .address_space:  global
        .offset:         88
        .size:           8
        .value_kind:     global_buffer
      - .actual_access:  write_only
        .address_space:  global
        .offset:         96
        .size:           8
        .value_kind:     global_buffer
      - .actual_access:  write_only
        .address_space:  global
        .offset:         104
        .size:           8
        .value_kind:     global_buffer
      - .actual_access:  read_only
        .address_space:  global
        .offset:         112
        .size:           8
        .value_kind:     global_buffer
      - .offset:         120
        .size:           4
        .value_kind:     by_value
      - .address_space:  global
        .offset:         128
        .size:           8
        .value_kind:     global_buffer
      - .address_space:  global
        .offset:         136
        .size:           8
        .value_kind:     global_buffer
      - .offset:         144
        .size:           4
        .value_kind:     hidden_block_count_x
      - .offset:         148
        .size:           4
        .value_kind:     hidden_block_count_y
      - .offset:         152
        .size:           4
        .value_kind:     hidden_block_count_z
      - .offset:         156
        .size:           2
        .value_kind:     hidden_group_size_x
      - .offset:         158
        .size:           2
        .value_kind:     hidden_group_size_y
      - .offset:         160
        .size:           2
        .value_kind:     hidden_group_size_z
      - .offset:         162
        .size:           2
        .value_kind:     hidden_remainder_x
      - .offset:         164
        .size:           2
        .value_kind:     hidden_remainder_y
      - .offset:         166
        .size:           2
        .value_kind:     hidden_remainder_z
      - .offset:         184
        .size:           8
        .value_kind:     hidden_global_offset_x
      - .offset:         192
        .size:           8
        .value_kind:     hidden_global_offset_y
      - .offset:         200
        .size:           8
        .value_kind:     hidden_global_offset_z
      - .offset:         208
        .size:           2
        .value_kind:     hidden_grid_dims
    .group_segment_fixed_size: 17472
    .kernarg_segment_align: 8
    .kernarg_segment_size: 400
    .language:       OpenCL C
    .language_version:
      - 2
      - 0
    .max_flat_workgroup_size: 256
    .name:           _Z39paged_attention_ll4mi_QKV_mfma16_kernelIDF16_DF16_LN4vllm18Fp8KVCacheDataTypeE0EDF16_Li32ELi64ELi256ELb1ELi10EL8MFMAType0EEvPKT_PKT0_S8_ifPKiSA_SA_iPKfiiiPfSD_PS3_PT2_iSC_SC_
    .private_segment_fixed_size: 0
    .sgpr_count:     41
    .sgpr_spill_count: 0
    .symbol:         _Z39paged_attention_ll4mi_QKV_mfma16_kernelIDF16_DF16_LN4vllm18Fp8KVCacheDataTypeE0EDF16_Li32ELi64ELi256ELb1ELi10EL8MFMAType0EEvPKT_PKT0_S8_ifPKiSA_SA_iPKfiiiPfSD_PS3_PT2_iSC_SC_.kd
    .uniform_work_group_size: 1
    .uses_dynamic_stack: false
    .vgpr_count:     154
    .vgpr_spill_count: 0
    .wavefront_size: 32
    .workgroup_processor_mode: 1
  - .args:
      - .actual_access:  read_only
        .address_space:  global
        .offset:         0
        .size:           8
        .value_kind:     global_buffer
      - .actual_access:  read_only
        .address_space:  global
        .offset:         8
        .size:           8
        .value_kind:     global_buffer
      - .actual_access:  read_only
        .address_space:  global
        .offset:         16
        .size:           8
        .value_kind:     global_buffer
      - .offset:         24
        .size:           4
        .value_kind:     by_value
      - .offset:         28
        .size:           4
        .value_kind:     by_value
      - .actual_access:  read_only
        .address_space:  global
        .offset:         32
        .size:           8
        .value_kind:     global_buffer
      - .actual_access:  read_only
        .address_space:  global
        .offset:         40
        .size:           8
        .value_kind:     global_buffer
      - .actual_access:  read_only
        .address_space:  global
        .offset:         48
        .size:           8
        .value_kind:     global_buffer
      - .offset:         56
        .size:           4
        .value_kind:     by_value
      - .actual_access:  read_only
        .address_space:  global
        .offset:         64
        .size:           8
        .value_kind:     global_buffer
      - .offset:         72
        .size:           4
        .value_kind:     by_value
      - .offset:         76
        .size:           4
        .value_kind:     by_value
      - .offset:         80
        .size:           4
        .value_kind:     by_value
      - .actual_access:  write_only
        .address_space:  global
        .offset:         88
        .size:           8
        .value_kind:     global_buffer
      - .actual_access:  write_only
        .address_space:  global
        .offset:         96
        .size:           8
        .value_kind:     global_buffer
      - .actual_access:  write_only
        .address_space:  global
        .offset:         104
        .size:           8
        .value_kind:     global_buffer
      - .actual_access:  read_only
        .address_space:  global
        .offset:         112
        .size:           8
        .value_kind:     global_buffer
      - .offset:         120
        .size:           4
        .value_kind:     by_value
      - .address_space:  global
        .offset:         128
        .size:           8
        .value_kind:     global_buffer
      - .address_space:  global
        .offset:         136
        .size:           8
        .value_kind:     global_buffer
      - .offset:         144
        .size:           4
        .value_kind:     hidden_block_count_x
      - .offset:         148
        .size:           4
        .value_kind:     hidden_block_count_y
      - .offset:         152
        .size:           4
        .value_kind:     hidden_block_count_z
      - .offset:         156
        .size:           2
        .value_kind:     hidden_group_size_x
      - .offset:         158
        .size:           2
        .value_kind:     hidden_group_size_y
      - .offset:         160
        .size:           2
        .value_kind:     hidden_group_size_z
      - .offset:         162
        .size:           2
        .value_kind:     hidden_remainder_x
      - .offset:         164
        .size:           2
        .value_kind:     hidden_remainder_y
      - .offset:         166
        .size:           2
        .value_kind:     hidden_remainder_z
      - .offset:         184
        .size:           8
        .value_kind:     hidden_global_offset_x
      - .offset:         192
        .size:           8
        .value_kind:     hidden_global_offset_y
      - .offset:         200
        .size:           8
        .value_kind:     hidden_global_offset_z
      - .offset:         208
        .size:           2
        .value_kind:     hidden_grid_dims
    .group_segment_fixed_size: 17472
    .kernarg_segment_align: 8
    .kernarg_segment_size: 400
    .language:       OpenCL C
    .language_version:
      - 2
      - 0
    .max_flat_workgroup_size: 256
    .name:           _Z39paged_attention_ll4mi_QKV_mfma16_kernelIDF16_DF16_LN4vllm18Fp8KVCacheDataTypeE0EDF16_Li32ELi64ELi256ELb1ELi11EL8MFMAType0EEvPKT_PKT0_S8_ifPKiSA_SA_iPKfiiiPfSD_PS3_PT2_iSC_SC_
    .private_segment_fixed_size: 0
    .sgpr_count:     41
    .sgpr_spill_count: 0
    .symbol:         _Z39paged_attention_ll4mi_QKV_mfma16_kernelIDF16_DF16_LN4vllm18Fp8KVCacheDataTypeE0EDF16_Li32ELi64ELi256ELb1ELi11EL8MFMAType0EEvPKT_PKT0_S8_ifPKiSA_SA_iPKfiiiPfSD_PS3_PT2_iSC_SC_.kd
    .uniform_work_group_size: 1
    .uses_dynamic_stack: false
    .vgpr_count:     154
    .vgpr_spill_count: 0
    .wavefront_size: 32
    .workgroup_processor_mode: 1
  - .args:
      - .actual_access:  read_only
        .address_space:  global
        .offset:         0
        .size:           8
        .value_kind:     global_buffer
      - .actual_access:  read_only
        .address_space:  global
        .offset:         8
        .size:           8
        .value_kind:     global_buffer
      - .actual_access:  read_only
        .address_space:  global
        .offset:         16
        .size:           8
        .value_kind:     global_buffer
      - .offset:         24
        .size:           4
        .value_kind:     by_value
      - .offset:         28
        .size:           4
        .value_kind:     by_value
      - .actual_access:  read_only
        .address_space:  global
        .offset:         32
        .size:           8
        .value_kind:     global_buffer
      - .actual_access:  read_only
        .address_space:  global
        .offset:         40
        .size:           8
        .value_kind:     global_buffer
      - .actual_access:  read_only
        .address_space:  global
        .offset:         48
        .size:           8
        .value_kind:     global_buffer
      - .offset:         56
        .size:           4
        .value_kind:     by_value
      - .actual_access:  read_only
        .address_space:  global
        .offset:         64
        .size:           8
        .value_kind:     global_buffer
      - .offset:         72
        .size:           4
        .value_kind:     by_value
      - .offset:         76
        .size:           4
        .value_kind:     by_value
      - .offset:         80
        .size:           4
        .value_kind:     by_value
      - .actual_access:  write_only
        .address_space:  global
        .offset:         88
        .size:           8
        .value_kind:     global_buffer
      - .actual_access:  write_only
        .address_space:  global
        .offset:         96
        .size:           8
        .value_kind:     global_buffer
      - .actual_access:  write_only
        .address_space:  global
        .offset:         104
        .size:           8
        .value_kind:     global_buffer
      - .actual_access:  read_only
        .address_space:  global
        .offset:         112
        .size:           8
        .value_kind:     global_buffer
      - .offset:         120
        .size:           4
        .value_kind:     by_value
      - .address_space:  global
        .offset:         128
        .size:           8
        .value_kind:     global_buffer
      - .address_space:  global
        .offset:         136
        .size:           8
        .value_kind:     global_buffer
      - .offset:         144
        .size:           4
        .value_kind:     hidden_block_count_x
      - .offset:         148
        .size:           4
        .value_kind:     hidden_block_count_y
      - .offset:         152
        .size:           4
        .value_kind:     hidden_block_count_z
      - .offset:         156
        .size:           2
        .value_kind:     hidden_group_size_x
      - .offset:         158
        .size:           2
        .value_kind:     hidden_group_size_y
      - .offset:         160
        .size:           2
        .value_kind:     hidden_group_size_z
      - .offset:         162
        .size:           2
        .value_kind:     hidden_remainder_x
      - .offset:         164
        .size:           2
        .value_kind:     hidden_remainder_y
      - .offset:         166
        .size:           2
        .value_kind:     hidden_remainder_z
      - .offset:         184
        .size:           8
        .value_kind:     hidden_global_offset_x
      - .offset:         192
        .size:           8
        .value_kind:     hidden_global_offset_y
      - .offset:         200
        .size:           8
        .value_kind:     hidden_global_offset_z
      - .offset:         208
        .size:           2
        .value_kind:     hidden_grid_dims
    .group_segment_fixed_size: 17472
    .kernarg_segment_align: 8
    .kernarg_segment_size: 400
    .language:       OpenCL C
    .language_version:
      - 2
      - 0
    .max_flat_workgroup_size: 256
    .name:           _Z39paged_attention_ll4mi_QKV_mfma16_kernelIDF16_DF16_LN4vllm18Fp8KVCacheDataTypeE0EDF16_Li32ELi64ELi256ELb1ELi12EL8MFMAType0EEvPKT_PKT0_S8_ifPKiSA_SA_iPKfiiiPfSD_PS3_PT2_iSC_SC_
    .private_segment_fixed_size: 0
    .sgpr_count:     41
    .sgpr_spill_count: 0
    .symbol:         _Z39paged_attention_ll4mi_QKV_mfma16_kernelIDF16_DF16_LN4vllm18Fp8KVCacheDataTypeE0EDF16_Li32ELi64ELi256ELb1ELi12EL8MFMAType0EEvPKT_PKT0_S8_ifPKiSA_SA_iPKfiiiPfSD_PS3_PT2_iSC_SC_.kd
    .uniform_work_group_size: 1
    .uses_dynamic_stack: false
    .vgpr_count:     154
    .vgpr_spill_count: 0
    .wavefront_size: 32
    .workgroup_processor_mode: 1
  - .args:
      - .actual_access:  read_only
        .address_space:  global
        .offset:         0
        .size:           8
        .value_kind:     global_buffer
      - .actual_access:  read_only
        .address_space:  global
        .offset:         8
        .size:           8
        .value_kind:     global_buffer
      - .actual_access:  read_only
        .address_space:  global
        .offset:         16
        .size:           8
        .value_kind:     global_buffer
      - .offset:         24
        .size:           4
        .value_kind:     by_value
      - .offset:         28
        .size:           4
        .value_kind:     by_value
      - .actual_access:  read_only
        .address_space:  global
        .offset:         32
        .size:           8
        .value_kind:     global_buffer
      - .actual_access:  read_only
        .address_space:  global
        .offset:         40
        .size:           8
        .value_kind:     global_buffer
      - .actual_access:  read_only
        .address_space:  global
        .offset:         48
        .size:           8
        .value_kind:     global_buffer
      - .offset:         56
        .size:           4
        .value_kind:     by_value
      - .actual_access:  read_only
        .address_space:  global
        .offset:         64
        .size:           8
        .value_kind:     global_buffer
      - .offset:         72
        .size:           4
        .value_kind:     by_value
      - .offset:         76
        .size:           4
        .value_kind:     by_value
      - .offset:         80
        .size:           4
        .value_kind:     by_value
      - .actual_access:  write_only
        .address_space:  global
        .offset:         88
        .size:           8
        .value_kind:     global_buffer
      - .actual_access:  write_only
        .address_space:  global
        .offset:         96
        .size:           8
        .value_kind:     global_buffer
      - .actual_access:  write_only
        .address_space:  global
        .offset:         104
        .size:           8
        .value_kind:     global_buffer
      - .actual_access:  read_only
        .address_space:  global
        .offset:         112
        .size:           8
        .value_kind:     global_buffer
      - .offset:         120
        .size:           4
        .value_kind:     by_value
      - .address_space:  global
        .offset:         128
        .size:           8
        .value_kind:     global_buffer
      - .address_space:  global
        .offset:         136
        .size:           8
        .value_kind:     global_buffer
      - .offset:         144
        .size:           4
        .value_kind:     hidden_block_count_x
      - .offset:         148
        .size:           4
        .value_kind:     hidden_block_count_y
      - .offset:         152
        .size:           4
        .value_kind:     hidden_block_count_z
      - .offset:         156
        .size:           2
        .value_kind:     hidden_group_size_x
      - .offset:         158
        .size:           2
        .value_kind:     hidden_group_size_y
      - .offset:         160
        .size:           2
        .value_kind:     hidden_group_size_z
      - .offset:         162
        .size:           2
        .value_kind:     hidden_remainder_x
      - .offset:         164
        .size:           2
        .value_kind:     hidden_remainder_y
      - .offset:         166
        .size:           2
        .value_kind:     hidden_remainder_z
      - .offset:         184
        .size:           8
        .value_kind:     hidden_global_offset_x
      - .offset:         192
        .size:           8
        .value_kind:     hidden_global_offset_y
      - .offset:         200
        .size:           8
        .value_kind:     hidden_global_offset_z
      - .offset:         208
        .size:           2
        .value_kind:     hidden_grid_dims
    .group_segment_fixed_size: 17472
    .kernarg_segment_align: 8
    .kernarg_segment_size: 400
    .language:       OpenCL C
    .language_version:
      - 2
      - 0
    .max_flat_workgroup_size: 256
    .name:           _Z39paged_attention_ll4mi_QKV_mfma16_kernelIDF16_DF16_LN4vllm18Fp8KVCacheDataTypeE0EDF16_Li32ELi64ELi256ELb1ELi13EL8MFMAType0EEvPKT_PKT0_S8_ifPKiSA_SA_iPKfiiiPfSD_PS3_PT2_iSC_SC_
    .private_segment_fixed_size: 0
    .sgpr_count:     41
    .sgpr_spill_count: 0
    .symbol:         _Z39paged_attention_ll4mi_QKV_mfma16_kernelIDF16_DF16_LN4vllm18Fp8KVCacheDataTypeE0EDF16_Li32ELi64ELi256ELb1ELi13EL8MFMAType0EEvPKT_PKT0_S8_ifPKiSA_SA_iPKfiiiPfSD_PS3_PT2_iSC_SC_.kd
    .uniform_work_group_size: 1
    .uses_dynamic_stack: false
    .vgpr_count:     154
    .vgpr_spill_count: 0
    .wavefront_size: 32
    .workgroup_processor_mode: 1
  - .args:
      - .actual_access:  read_only
        .address_space:  global
        .offset:         0
        .size:           8
        .value_kind:     global_buffer
      - .actual_access:  read_only
        .address_space:  global
        .offset:         8
        .size:           8
        .value_kind:     global_buffer
      - .actual_access:  read_only
        .address_space:  global
        .offset:         16
        .size:           8
        .value_kind:     global_buffer
      - .offset:         24
        .size:           4
        .value_kind:     by_value
      - .offset:         28
        .size:           4
        .value_kind:     by_value
      - .actual_access:  read_only
        .address_space:  global
        .offset:         32
        .size:           8
        .value_kind:     global_buffer
      - .actual_access:  read_only
        .address_space:  global
        .offset:         40
        .size:           8
        .value_kind:     global_buffer
      - .actual_access:  read_only
        .address_space:  global
        .offset:         48
        .size:           8
        .value_kind:     global_buffer
      - .offset:         56
        .size:           4
        .value_kind:     by_value
      - .actual_access:  read_only
        .address_space:  global
        .offset:         64
        .size:           8
        .value_kind:     global_buffer
      - .offset:         72
        .size:           4
        .value_kind:     by_value
      - .offset:         76
        .size:           4
        .value_kind:     by_value
      - .offset:         80
        .size:           4
        .value_kind:     by_value
      - .actual_access:  write_only
        .address_space:  global
        .offset:         88
        .size:           8
        .value_kind:     global_buffer
      - .actual_access:  write_only
        .address_space:  global
        .offset:         96
        .size:           8
        .value_kind:     global_buffer
      - .actual_access:  write_only
        .address_space:  global
        .offset:         104
        .size:           8
        .value_kind:     global_buffer
      - .actual_access:  read_only
        .address_space:  global
        .offset:         112
        .size:           8
        .value_kind:     global_buffer
      - .offset:         120
        .size:           4
        .value_kind:     by_value
      - .address_space:  global
        .offset:         128
        .size:           8
        .value_kind:     global_buffer
      - .address_space:  global
        .offset:         136
        .size:           8
        .value_kind:     global_buffer
      - .offset:         144
        .size:           4
        .value_kind:     hidden_block_count_x
      - .offset:         148
        .size:           4
        .value_kind:     hidden_block_count_y
      - .offset:         152
        .size:           4
        .value_kind:     hidden_block_count_z
      - .offset:         156
        .size:           2
        .value_kind:     hidden_group_size_x
      - .offset:         158
        .size:           2
        .value_kind:     hidden_group_size_y
      - .offset:         160
        .size:           2
        .value_kind:     hidden_group_size_z
      - .offset:         162
        .size:           2
        .value_kind:     hidden_remainder_x
      - .offset:         164
        .size:           2
        .value_kind:     hidden_remainder_y
      - .offset:         166
        .size:           2
        .value_kind:     hidden_remainder_z
      - .offset:         184
        .size:           8
        .value_kind:     hidden_global_offset_x
      - .offset:         192
        .size:           8
        .value_kind:     hidden_global_offset_y
      - .offset:         200
        .size:           8
        .value_kind:     hidden_global_offset_z
      - .offset:         208
        .size:           2
        .value_kind:     hidden_grid_dims
    .group_segment_fixed_size: 17472
    .kernarg_segment_align: 8
    .kernarg_segment_size: 400
    .language:       OpenCL C
    .language_version:
      - 2
      - 0
    .max_flat_workgroup_size: 256
    .name:           _Z39paged_attention_ll4mi_QKV_mfma16_kernelIDF16_DF16_LN4vllm18Fp8KVCacheDataTypeE0EDF16_Li32ELi64ELi256ELb1ELi14EL8MFMAType0EEvPKT_PKT0_S8_ifPKiSA_SA_iPKfiiiPfSD_PS3_PT2_iSC_SC_
    .private_segment_fixed_size: 0
    .sgpr_count:     41
    .sgpr_spill_count: 0
    .symbol:         _Z39paged_attention_ll4mi_QKV_mfma16_kernelIDF16_DF16_LN4vllm18Fp8KVCacheDataTypeE0EDF16_Li32ELi64ELi256ELb1ELi14EL8MFMAType0EEvPKT_PKT0_S8_ifPKiSA_SA_iPKfiiiPfSD_PS3_PT2_iSC_SC_.kd
    .uniform_work_group_size: 1
    .uses_dynamic_stack: false
    .vgpr_count:     154
    .vgpr_spill_count: 0
    .wavefront_size: 32
    .workgroup_processor_mode: 1
  - .args:
      - .actual_access:  read_only
        .address_space:  global
        .offset:         0
        .size:           8
        .value_kind:     global_buffer
      - .actual_access:  read_only
        .address_space:  global
        .offset:         8
        .size:           8
        .value_kind:     global_buffer
      - .actual_access:  read_only
        .address_space:  global
        .offset:         16
        .size:           8
        .value_kind:     global_buffer
      - .offset:         24
        .size:           4
        .value_kind:     by_value
      - .offset:         28
        .size:           4
        .value_kind:     by_value
      - .actual_access:  read_only
        .address_space:  global
        .offset:         32
        .size:           8
        .value_kind:     global_buffer
      - .actual_access:  read_only
        .address_space:  global
        .offset:         40
        .size:           8
        .value_kind:     global_buffer
      - .actual_access:  read_only
        .address_space:  global
        .offset:         48
        .size:           8
        .value_kind:     global_buffer
      - .offset:         56
        .size:           4
        .value_kind:     by_value
      - .actual_access:  read_only
        .address_space:  global
        .offset:         64
        .size:           8
        .value_kind:     global_buffer
      - .offset:         72
        .size:           4
        .value_kind:     by_value
      - .offset:         76
        .size:           4
        .value_kind:     by_value
      - .offset:         80
        .size:           4
        .value_kind:     by_value
      - .actual_access:  write_only
        .address_space:  global
        .offset:         88
        .size:           8
        .value_kind:     global_buffer
      - .actual_access:  write_only
        .address_space:  global
        .offset:         96
        .size:           8
        .value_kind:     global_buffer
      - .actual_access:  write_only
        .address_space:  global
        .offset:         104
        .size:           8
        .value_kind:     global_buffer
      - .actual_access:  read_only
        .address_space:  global
        .offset:         112
        .size:           8
        .value_kind:     global_buffer
      - .offset:         120
        .size:           4
        .value_kind:     by_value
      - .address_space:  global
        .offset:         128
        .size:           8
        .value_kind:     global_buffer
      - .address_space:  global
        .offset:         136
        .size:           8
        .value_kind:     global_buffer
      - .offset:         144
        .size:           4
        .value_kind:     hidden_block_count_x
      - .offset:         148
        .size:           4
        .value_kind:     hidden_block_count_y
      - .offset:         152
        .size:           4
        .value_kind:     hidden_block_count_z
      - .offset:         156
        .size:           2
        .value_kind:     hidden_group_size_x
      - .offset:         158
        .size:           2
        .value_kind:     hidden_group_size_y
      - .offset:         160
        .size:           2
        .value_kind:     hidden_group_size_z
      - .offset:         162
        .size:           2
        .value_kind:     hidden_remainder_x
      - .offset:         164
        .size:           2
        .value_kind:     hidden_remainder_y
      - .offset:         166
        .size:           2
        .value_kind:     hidden_remainder_z
      - .offset:         184
        .size:           8
        .value_kind:     hidden_global_offset_x
      - .offset:         192
        .size:           8
        .value_kind:     hidden_global_offset_y
      - .offset:         200
        .size:           8
        .value_kind:     hidden_global_offset_z
      - .offset:         208
        .size:           2
        .value_kind:     hidden_grid_dims
    .group_segment_fixed_size: 17472
    .kernarg_segment_align: 8
    .kernarg_segment_size: 400
    .language:       OpenCL C
    .language_version:
      - 2
      - 0
    .max_flat_workgroup_size: 256
    .name:           _Z39paged_attention_ll4mi_QKV_mfma16_kernelIDF16_DF16_LN4vllm18Fp8KVCacheDataTypeE0EDF16_Li32ELi64ELi256ELb1ELi15EL8MFMAType0EEvPKT_PKT0_S8_ifPKiSA_SA_iPKfiiiPfSD_PS3_PT2_iSC_SC_
    .private_segment_fixed_size: 0
    .sgpr_count:     41
    .sgpr_spill_count: 0
    .symbol:         _Z39paged_attention_ll4mi_QKV_mfma16_kernelIDF16_DF16_LN4vllm18Fp8KVCacheDataTypeE0EDF16_Li32ELi64ELi256ELb1ELi15EL8MFMAType0EEvPKT_PKT0_S8_ifPKiSA_SA_iPKfiiiPfSD_PS3_PT2_iSC_SC_.kd
    .uniform_work_group_size: 1
    .uses_dynamic_stack: false
    .vgpr_count:     154
    .vgpr_spill_count: 0
    .wavefront_size: 32
    .workgroup_processor_mode: 1
  - .args:
      - .actual_access:  read_only
        .address_space:  global
        .offset:         0
        .size:           8
        .value_kind:     global_buffer
      - .actual_access:  read_only
        .address_space:  global
        .offset:         8
        .size:           8
        .value_kind:     global_buffer
      - .actual_access:  read_only
        .address_space:  global
        .offset:         16
        .size:           8
        .value_kind:     global_buffer
      - .offset:         24
        .size:           4
        .value_kind:     by_value
      - .offset:         28
        .size:           4
        .value_kind:     by_value
      - .actual_access:  read_only
        .address_space:  global
        .offset:         32
        .size:           8
        .value_kind:     global_buffer
      - .actual_access:  read_only
        .address_space:  global
        .offset:         40
        .size:           8
        .value_kind:     global_buffer
      - .actual_access:  read_only
        .address_space:  global
        .offset:         48
        .size:           8
        .value_kind:     global_buffer
      - .offset:         56
        .size:           4
        .value_kind:     by_value
      - .actual_access:  read_only
        .address_space:  global
        .offset:         64
        .size:           8
        .value_kind:     global_buffer
      - .offset:         72
        .size:           4
        .value_kind:     by_value
      - .offset:         76
        .size:           4
        .value_kind:     by_value
      - .offset:         80
        .size:           4
        .value_kind:     by_value
      - .actual_access:  write_only
        .address_space:  global
        .offset:         88
        .size:           8
        .value_kind:     global_buffer
      - .actual_access:  write_only
        .address_space:  global
        .offset:         96
        .size:           8
        .value_kind:     global_buffer
      - .actual_access:  write_only
        .address_space:  global
        .offset:         104
        .size:           8
        .value_kind:     global_buffer
      - .actual_access:  read_only
        .address_space:  global
        .offset:         112
        .size:           8
        .value_kind:     global_buffer
      - .offset:         120
        .size:           4
        .value_kind:     by_value
      - .address_space:  global
        .offset:         128
        .size:           8
        .value_kind:     global_buffer
      - .address_space:  global
        .offset:         136
        .size:           8
        .value_kind:     global_buffer
      - .offset:         144
        .size:           4
        .value_kind:     hidden_block_count_x
      - .offset:         148
        .size:           4
        .value_kind:     hidden_block_count_y
      - .offset:         152
        .size:           4
        .value_kind:     hidden_block_count_z
      - .offset:         156
        .size:           2
        .value_kind:     hidden_group_size_x
      - .offset:         158
        .size:           2
        .value_kind:     hidden_group_size_y
      - .offset:         160
        .size:           2
        .value_kind:     hidden_group_size_z
      - .offset:         162
        .size:           2
        .value_kind:     hidden_remainder_x
      - .offset:         164
        .size:           2
        .value_kind:     hidden_remainder_y
      - .offset:         166
        .size:           2
        .value_kind:     hidden_remainder_z
      - .offset:         184
        .size:           8
        .value_kind:     hidden_global_offset_x
      - .offset:         192
        .size:           8
        .value_kind:     hidden_global_offset_y
      - .offset:         200
        .size:           8
        .value_kind:     hidden_global_offset_z
      - .offset:         208
        .size:           2
        .value_kind:     hidden_grid_dims
    .group_segment_fixed_size: 17472
    .kernarg_segment_align: 8
    .kernarg_segment_size: 400
    .language:       OpenCL C
    .language_version:
      - 2
      - 0
    .max_flat_workgroup_size: 256
    .name:           _Z39paged_attention_ll4mi_QKV_mfma16_kernelIDF16_DF16_LN4vllm18Fp8KVCacheDataTypeE0EDF16_Li32ELi64ELi256ELb1ELi16EL8MFMAType0EEvPKT_PKT0_S8_ifPKiSA_SA_iPKfiiiPfSD_PS3_PT2_iSC_SC_
    .private_segment_fixed_size: 0
    .sgpr_count:     41
    .sgpr_spill_count: 0
    .symbol:         _Z39paged_attention_ll4mi_QKV_mfma16_kernelIDF16_DF16_LN4vllm18Fp8KVCacheDataTypeE0EDF16_Li32ELi64ELi256ELb1ELi16EL8MFMAType0EEvPKT_PKT0_S8_ifPKiSA_SA_iPKfiiiPfSD_PS3_PT2_iSC_SC_.kd
    .uniform_work_group_size: 1
    .uses_dynamic_stack: false
    .vgpr_count:     149
    .vgpr_spill_count: 0
    .wavefront_size: 32
    .workgroup_processor_mode: 1
  - .args:
      - .actual_access:  read_only
        .address_space:  global
        .offset:         0
        .size:           8
        .value_kind:     global_buffer
      - .actual_access:  read_only
        .address_space:  global
        .offset:         8
        .size:           8
        .value_kind:     global_buffer
      - .actual_access:  read_only
        .address_space:  global
        .offset:         16
        .size:           8
        .value_kind:     global_buffer
      - .offset:         24
        .size:           4
        .value_kind:     by_value
      - .offset:         28
        .size:           4
        .value_kind:     by_value
      - .actual_access:  read_only
        .address_space:  global
        .offset:         32
        .size:           8
        .value_kind:     global_buffer
      - .actual_access:  read_only
        .address_space:  global
        .offset:         40
        .size:           8
        .value_kind:     global_buffer
      - .actual_access:  read_only
        .address_space:  global
        .offset:         48
        .size:           8
        .value_kind:     global_buffer
      - .offset:         56
        .size:           4
        .value_kind:     by_value
      - .actual_access:  read_only
        .address_space:  global
        .offset:         64
        .size:           8
        .value_kind:     global_buffer
      - .offset:         72
        .size:           4
        .value_kind:     by_value
      - .offset:         76
        .size:           4
        .value_kind:     by_value
      - .offset:         80
        .size:           4
        .value_kind:     by_value
      - .actual_access:  write_only
        .address_space:  global
        .offset:         88
        .size:           8
        .value_kind:     global_buffer
      - .actual_access:  write_only
        .address_space:  global
        .offset:         96
        .size:           8
        .value_kind:     global_buffer
      - .actual_access:  write_only
        .address_space:  global
        .offset:         104
        .size:           8
        .value_kind:     global_buffer
      - .actual_access:  read_only
        .address_space:  global
        .offset:         112
        .size:           8
        .value_kind:     global_buffer
      - .offset:         120
        .size:           4
        .value_kind:     by_value
      - .address_space:  global
        .offset:         128
        .size:           8
        .value_kind:     global_buffer
      - .address_space:  global
        .offset:         136
        .size:           8
        .value_kind:     global_buffer
      - .offset:         144
        .size:           4
        .value_kind:     hidden_block_count_x
      - .offset:         148
        .size:           4
        .value_kind:     hidden_block_count_y
      - .offset:         152
        .size:           4
        .value_kind:     hidden_block_count_z
      - .offset:         156
        .size:           2
        .value_kind:     hidden_group_size_x
      - .offset:         158
        .size:           2
        .value_kind:     hidden_group_size_y
      - .offset:         160
        .size:           2
        .value_kind:     hidden_group_size_z
      - .offset:         162
        .size:           2
        .value_kind:     hidden_remainder_x
      - .offset:         164
        .size:           2
        .value_kind:     hidden_remainder_y
      - .offset:         166
        .size:           2
        .value_kind:     hidden_remainder_z
      - .offset:         184
        .size:           8
        .value_kind:     hidden_global_offset_x
      - .offset:         192
        .size:           8
        .value_kind:     hidden_global_offset_y
      - .offset:         200
        .size:           8
        .value_kind:     hidden_global_offset_z
      - .offset:         208
        .size:           2
        .value_kind:     hidden_grid_dims
    .group_segment_fixed_size: 17472
    .kernarg_segment_align: 8
    .kernarg_segment_size: 400
    .language:       OpenCL C
    .language_version:
      - 2
      - 0
    .max_flat_workgroup_size: 256
    .name:           _Z39paged_attention_ll4mi_QKV_mfma16_kernelIDF16_DF16_LN4vllm18Fp8KVCacheDataTypeE0EDF16_Li32ELi64ELi256ELb1ELi1EL8MFMAType0EEvPKT_PKT0_S8_ifPKiSA_SA_iPKfiiiPfSD_PS3_PT2_iSC_SC_
    .private_segment_fixed_size: 0
    .sgpr_count:     71
    .sgpr_spill_count: 0
    .symbol:         _Z39paged_attention_ll4mi_QKV_mfma16_kernelIDF16_DF16_LN4vllm18Fp8KVCacheDataTypeE0EDF16_Li32ELi64ELi256ELb1ELi1EL8MFMAType0EEvPKT_PKT0_S8_ifPKiSA_SA_iPKfiiiPfSD_PS3_PT2_iSC_SC_.kd
    .uniform_work_group_size: 1
    .uses_dynamic_stack: false
    .vgpr_count:     146
    .vgpr_spill_count: 0
    .wavefront_size: 32
    .workgroup_processor_mode: 1
  - .args:
      - .actual_access:  read_only
        .address_space:  global
        .offset:         0
        .size:           8
        .value_kind:     global_buffer
      - .actual_access:  read_only
        .address_space:  global
        .offset:         8
        .size:           8
        .value_kind:     global_buffer
      - .actual_access:  read_only
        .address_space:  global
        .offset:         16
        .size:           8
        .value_kind:     global_buffer
      - .offset:         24
        .size:           4
        .value_kind:     by_value
      - .offset:         28
        .size:           4
        .value_kind:     by_value
      - .actual_access:  read_only
        .address_space:  global
        .offset:         32
        .size:           8
        .value_kind:     global_buffer
      - .actual_access:  read_only
        .address_space:  global
        .offset:         40
        .size:           8
        .value_kind:     global_buffer
      - .actual_access:  read_only
        .address_space:  global
        .offset:         48
        .size:           8
        .value_kind:     global_buffer
      - .offset:         56
        .size:           4
        .value_kind:     by_value
      - .actual_access:  read_only
        .address_space:  global
        .offset:         64
        .size:           8
        .value_kind:     global_buffer
      - .offset:         72
        .size:           4
        .value_kind:     by_value
      - .offset:         76
        .size:           4
        .value_kind:     by_value
      - .offset:         80
        .size:           4
        .value_kind:     by_value
      - .actual_access:  write_only
        .address_space:  global
        .offset:         88
        .size:           8
        .value_kind:     global_buffer
      - .actual_access:  write_only
        .address_space:  global
        .offset:         96
        .size:           8
        .value_kind:     global_buffer
      - .actual_access:  write_only
        .address_space:  global
        .offset:         104
        .size:           8
        .value_kind:     global_buffer
      - .actual_access:  read_only
        .address_space:  global
        .offset:         112
        .size:           8
        .value_kind:     global_buffer
      - .offset:         120
        .size:           4
        .value_kind:     by_value
      - .address_space:  global
        .offset:         128
        .size:           8
        .value_kind:     global_buffer
      - .address_space:  global
        .offset:         136
        .size:           8
        .value_kind:     global_buffer
      - .offset:         144
        .size:           4
        .value_kind:     hidden_block_count_x
      - .offset:         148
        .size:           4
        .value_kind:     hidden_block_count_y
      - .offset:         152
        .size:           4
        .value_kind:     hidden_block_count_z
      - .offset:         156
        .size:           2
        .value_kind:     hidden_group_size_x
      - .offset:         158
        .size:           2
        .value_kind:     hidden_group_size_y
      - .offset:         160
        .size:           2
        .value_kind:     hidden_group_size_z
      - .offset:         162
        .size:           2
        .value_kind:     hidden_remainder_x
      - .offset:         164
        .size:           2
        .value_kind:     hidden_remainder_y
      - .offset:         166
        .size:           2
        .value_kind:     hidden_remainder_z
      - .offset:         184
        .size:           8
        .value_kind:     hidden_global_offset_x
      - .offset:         192
        .size:           8
        .value_kind:     hidden_global_offset_y
      - .offset:         200
        .size:           8
        .value_kind:     hidden_global_offset_z
      - .offset:         208
        .size:           2
        .value_kind:     hidden_grid_dims
    .group_segment_fixed_size: 17472
    .kernarg_segment_align: 8
    .kernarg_segment_size: 400
    .language:       OpenCL C
    .language_version:
      - 2
      - 0
    .max_flat_workgroup_size: 256
    .name:           _Z39paged_attention_ll4mi_QKV_mfma16_kernelIDF16_DF16_LN4vllm18Fp8KVCacheDataTypeE0EDF16_Li32ELi64ELi256ELb1ELi2EL8MFMAType0EEvPKT_PKT0_S8_ifPKiSA_SA_iPKfiiiPfSD_PS3_PT2_iSC_SC_
    .private_segment_fixed_size: 0
    .sgpr_count:     42
    .sgpr_spill_count: 0
    .symbol:         _Z39paged_attention_ll4mi_QKV_mfma16_kernelIDF16_DF16_LN4vllm18Fp8KVCacheDataTypeE0EDF16_Li32ELi64ELi256ELb1ELi2EL8MFMAType0EEvPKT_PKT0_S8_ifPKiSA_SA_iPKfiiiPfSD_PS3_PT2_iSC_SC_.kd
    .uniform_work_group_size: 1
    .uses_dynamic_stack: false
    .vgpr_count:     156
    .vgpr_spill_count: 0
    .wavefront_size: 32
    .workgroup_processor_mode: 1
  - .args:
      - .actual_access:  read_only
        .address_space:  global
        .offset:         0
        .size:           8
        .value_kind:     global_buffer
      - .actual_access:  read_only
        .address_space:  global
        .offset:         8
        .size:           8
        .value_kind:     global_buffer
      - .actual_access:  read_only
        .address_space:  global
        .offset:         16
        .size:           8
        .value_kind:     global_buffer
      - .offset:         24
        .size:           4
        .value_kind:     by_value
      - .offset:         28
        .size:           4
        .value_kind:     by_value
      - .actual_access:  read_only
        .address_space:  global
        .offset:         32
        .size:           8
        .value_kind:     global_buffer
      - .actual_access:  read_only
        .address_space:  global
        .offset:         40
        .size:           8
        .value_kind:     global_buffer
      - .actual_access:  read_only
        .address_space:  global
        .offset:         48
        .size:           8
        .value_kind:     global_buffer
      - .offset:         56
        .size:           4
        .value_kind:     by_value
      - .actual_access:  read_only
        .address_space:  global
        .offset:         64
        .size:           8
        .value_kind:     global_buffer
      - .offset:         72
        .size:           4
        .value_kind:     by_value
      - .offset:         76
        .size:           4
        .value_kind:     by_value
      - .offset:         80
        .size:           4
        .value_kind:     by_value
      - .actual_access:  write_only
        .address_space:  global
        .offset:         88
        .size:           8
        .value_kind:     global_buffer
      - .actual_access:  write_only
        .address_space:  global
        .offset:         96
        .size:           8
        .value_kind:     global_buffer
      - .actual_access:  write_only
        .address_space:  global
        .offset:         104
        .size:           8
        .value_kind:     global_buffer
      - .actual_access:  read_only
        .address_space:  global
        .offset:         112
        .size:           8
        .value_kind:     global_buffer
      - .offset:         120
        .size:           4
        .value_kind:     by_value
      - .address_space:  global
        .offset:         128
        .size:           8
        .value_kind:     global_buffer
      - .address_space:  global
        .offset:         136
        .size:           8
        .value_kind:     global_buffer
      - .offset:         144
        .size:           4
        .value_kind:     hidden_block_count_x
      - .offset:         148
        .size:           4
        .value_kind:     hidden_block_count_y
      - .offset:         152
        .size:           4
        .value_kind:     hidden_block_count_z
      - .offset:         156
        .size:           2
        .value_kind:     hidden_group_size_x
      - .offset:         158
        .size:           2
        .value_kind:     hidden_group_size_y
      - .offset:         160
        .size:           2
        .value_kind:     hidden_group_size_z
      - .offset:         162
        .size:           2
        .value_kind:     hidden_remainder_x
      - .offset:         164
        .size:           2
        .value_kind:     hidden_remainder_y
      - .offset:         166
        .size:           2
        .value_kind:     hidden_remainder_z
      - .offset:         184
        .size:           8
        .value_kind:     hidden_global_offset_x
      - .offset:         192
        .size:           8
        .value_kind:     hidden_global_offset_y
      - .offset:         200
        .size:           8
        .value_kind:     hidden_global_offset_z
      - .offset:         208
        .size:           2
        .value_kind:     hidden_grid_dims
    .group_segment_fixed_size: 17472
    .kernarg_segment_align: 8
    .kernarg_segment_size: 400
    .language:       OpenCL C
    .language_version:
      - 2
      - 0
    .max_flat_workgroup_size: 256
    .name:           _Z39paged_attention_ll4mi_QKV_mfma16_kernelIDF16_DF16_LN4vllm18Fp8KVCacheDataTypeE0EDF16_Li32ELi64ELi256ELb1ELi3EL8MFMAType0EEvPKT_PKT0_S8_ifPKiSA_SA_iPKfiiiPfSD_PS3_PT2_iSC_SC_
    .private_segment_fixed_size: 0
    .sgpr_count:     41
    .sgpr_spill_count: 0
    .symbol:         _Z39paged_attention_ll4mi_QKV_mfma16_kernelIDF16_DF16_LN4vllm18Fp8KVCacheDataTypeE0EDF16_Li32ELi64ELi256ELb1ELi3EL8MFMAType0EEvPKT_PKT0_S8_ifPKiSA_SA_iPKfiiiPfSD_PS3_PT2_iSC_SC_.kd
    .uniform_work_group_size: 1
    .uses_dynamic_stack: false
    .vgpr_count:     154
    .vgpr_spill_count: 0
    .wavefront_size: 32
    .workgroup_processor_mode: 1
  - .args:
      - .actual_access:  read_only
        .address_space:  global
        .offset:         0
        .size:           8
        .value_kind:     global_buffer
      - .actual_access:  read_only
        .address_space:  global
        .offset:         8
        .size:           8
        .value_kind:     global_buffer
      - .actual_access:  read_only
        .address_space:  global
        .offset:         16
        .size:           8
        .value_kind:     global_buffer
      - .offset:         24
        .size:           4
        .value_kind:     by_value
      - .offset:         28
        .size:           4
        .value_kind:     by_value
      - .actual_access:  read_only
        .address_space:  global
        .offset:         32
        .size:           8
        .value_kind:     global_buffer
      - .actual_access:  read_only
        .address_space:  global
        .offset:         40
        .size:           8
        .value_kind:     global_buffer
      - .actual_access:  read_only
        .address_space:  global
        .offset:         48
        .size:           8
        .value_kind:     global_buffer
      - .offset:         56
        .size:           4
        .value_kind:     by_value
      - .actual_access:  read_only
        .address_space:  global
        .offset:         64
        .size:           8
        .value_kind:     global_buffer
      - .offset:         72
        .size:           4
        .value_kind:     by_value
      - .offset:         76
        .size:           4
        .value_kind:     by_value
      - .offset:         80
        .size:           4
        .value_kind:     by_value
      - .actual_access:  write_only
        .address_space:  global
        .offset:         88
        .size:           8
        .value_kind:     global_buffer
      - .actual_access:  write_only
        .address_space:  global
        .offset:         96
        .size:           8
        .value_kind:     global_buffer
      - .actual_access:  write_only
        .address_space:  global
        .offset:         104
        .size:           8
        .value_kind:     global_buffer
      - .actual_access:  read_only
        .address_space:  global
        .offset:         112
        .size:           8
        .value_kind:     global_buffer
      - .offset:         120
        .size:           4
        .value_kind:     by_value
      - .address_space:  global
        .offset:         128
        .size:           8
        .value_kind:     global_buffer
      - .address_space:  global
        .offset:         136
        .size:           8
        .value_kind:     global_buffer
      - .offset:         144
        .size:           4
        .value_kind:     hidden_block_count_x
      - .offset:         148
        .size:           4
        .value_kind:     hidden_block_count_y
      - .offset:         152
        .size:           4
        .value_kind:     hidden_block_count_z
      - .offset:         156
        .size:           2
        .value_kind:     hidden_group_size_x
      - .offset:         158
        .size:           2
        .value_kind:     hidden_group_size_y
      - .offset:         160
        .size:           2
        .value_kind:     hidden_group_size_z
      - .offset:         162
        .size:           2
        .value_kind:     hidden_remainder_x
      - .offset:         164
        .size:           2
        .value_kind:     hidden_remainder_y
      - .offset:         166
        .size:           2
        .value_kind:     hidden_remainder_z
      - .offset:         184
        .size:           8
        .value_kind:     hidden_global_offset_x
      - .offset:         192
        .size:           8
        .value_kind:     hidden_global_offset_y
      - .offset:         200
        .size:           8
        .value_kind:     hidden_global_offset_z
      - .offset:         208
        .size:           2
        .value_kind:     hidden_grid_dims
    .group_segment_fixed_size: 17472
    .kernarg_segment_align: 8
    .kernarg_segment_size: 400
    .language:       OpenCL C
    .language_version:
      - 2
      - 0
    .max_flat_workgroup_size: 256
    .name:           _Z39paged_attention_ll4mi_QKV_mfma16_kernelIDF16_DF16_LN4vllm18Fp8KVCacheDataTypeE0EDF16_Li32ELi64ELi256ELb1ELi4EL8MFMAType0EEvPKT_PKT0_S8_ifPKiSA_SA_iPKfiiiPfSD_PS3_PT2_iSC_SC_
    .private_segment_fixed_size: 0
    .sgpr_count:     41
    .sgpr_spill_count: 0
    .symbol:         _Z39paged_attention_ll4mi_QKV_mfma16_kernelIDF16_DF16_LN4vllm18Fp8KVCacheDataTypeE0EDF16_Li32ELi64ELi256ELb1ELi4EL8MFMAType0EEvPKT_PKT0_S8_ifPKiSA_SA_iPKfiiiPfSD_PS3_PT2_iSC_SC_.kd
    .uniform_work_group_size: 1
    .uses_dynamic_stack: false
    .vgpr_count:     154
    .vgpr_spill_count: 0
    .wavefront_size: 32
    .workgroup_processor_mode: 1
  - .args:
      - .actual_access:  read_only
        .address_space:  global
        .offset:         0
        .size:           8
        .value_kind:     global_buffer
      - .actual_access:  read_only
        .address_space:  global
        .offset:         8
        .size:           8
        .value_kind:     global_buffer
      - .actual_access:  read_only
        .address_space:  global
        .offset:         16
        .size:           8
        .value_kind:     global_buffer
      - .offset:         24
        .size:           4
        .value_kind:     by_value
      - .offset:         28
        .size:           4
        .value_kind:     by_value
      - .actual_access:  read_only
        .address_space:  global
        .offset:         32
        .size:           8
        .value_kind:     global_buffer
      - .actual_access:  read_only
        .address_space:  global
        .offset:         40
        .size:           8
        .value_kind:     global_buffer
      - .actual_access:  read_only
        .address_space:  global
        .offset:         48
        .size:           8
        .value_kind:     global_buffer
      - .offset:         56
        .size:           4
        .value_kind:     by_value
      - .actual_access:  read_only
        .address_space:  global
        .offset:         64
        .size:           8
        .value_kind:     global_buffer
      - .offset:         72
        .size:           4
        .value_kind:     by_value
      - .offset:         76
        .size:           4
        .value_kind:     by_value
      - .offset:         80
        .size:           4
        .value_kind:     by_value
      - .actual_access:  read_only
        .address_space:  global
        .offset:         88
        .size:           8
        .value_kind:     global_buffer
      - .actual_access:  read_only
        .address_space:  global
        .offset:         96
        .size:           8
        .value_kind:     global_buffer
      - .actual_access:  read_only
        .address_space:  global
        .offset:         104
        .size:           8
        .value_kind:     global_buffer
      - .actual_access:  read_only
        .address_space:  global
        .offset:         112
        .size:           8
        .value_kind:     global_buffer
      - .offset:         120
        .size:           4
        .value_kind:     by_value
      - .address_space:  global
        .offset:         128
        .size:           8
        .value_kind:     global_buffer
      - .address_space:  global
        .offset:         136
        .size:           8
        .value_kind:     global_buffer
      - .offset:         144
        .size:           4
        .value_kind:     hidden_block_count_x
      - .offset:         148
        .size:           4
        .value_kind:     hidden_block_count_y
      - .offset:         152
        .size:           4
        .value_kind:     hidden_block_count_z
      - .offset:         156
        .size:           2
        .value_kind:     hidden_group_size_x
      - .offset:         158
        .size:           2
        .value_kind:     hidden_group_size_y
      - .offset:         160
        .size:           2
        .value_kind:     hidden_group_size_z
      - .offset:         162
        .size:           2
        .value_kind:     hidden_remainder_x
      - .offset:         164
        .size:           2
        .value_kind:     hidden_remainder_y
      - .offset:         166
        .size:           2
        .value_kind:     hidden_remainder_z
      - .offset:         184
        .size:           8
        .value_kind:     hidden_global_offset_x
      - .offset:         192
        .size:           8
        .value_kind:     hidden_global_offset_y
      - .offset:         200
        .size:           8
        .value_kind:     hidden_global_offset_z
      - .offset:         208
        .size:           2
        .value_kind:     hidden_grid_dims
      - .offset:         224
        .size:           8
        .value_kind:     hidden_hostcall_buffer
    .group_segment_fixed_size: 0
    .kernarg_segment_align: 8
    .kernarg_segment_size: 400
    .language:       OpenCL C
    .language_version:
      - 2
      - 0
    .max_flat_workgroup_size: 256
    .name:           _Z38paged_attention_ll4mi_QKV_mfma4_kernelIDF16_DF16_LN4vllm18Fp8KVCacheDataTypeE0EDF16_Li32ELi64ELi256ELb0ELi1EEvPKT_PKT0_S7_ifPKiS9_S9_iPKfiiiPfSC_PS2_PT2_iSB_SB_
    .private_segment_fixed_size: 64
    .sgpr_count:     36
    .sgpr_spill_count: 0
    .symbol:         _Z38paged_attention_ll4mi_QKV_mfma4_kernelIDF16_DF16_LN4vllm18Fp8KVCacheDataTypeE0EDF16_Li32ELi64ELi256ELb0ELi1EEvPKT_PKT0_S7_ifPKiS9_S9_iPKfiiiPfSC_PS2_PT2_iSB_SB_.kd
    .uniform_work_group_size: 1
    .uses_dynamic_stack: false
    .vgpr_count:     41
    .vgpr_spill_count: 0
    .wavefront_size: 32
    .workgroup_processor_mode: 1
  - .args:
      - .actual_access:  read_only
        .address_space:  global
        .offset:         0
        .size:           8
        .value_kind:     global_buffer
      - .actual_access:  read_only
        .address_space:  global
        .offset:         8
        .size:           8
        .value_kind:     global_buffer
      - .actual_access:  read_only
        .address_space:  global
        .offset:         16
        .size:           8
        .value_kind:     global_buffer
      - .offset:         24
        .size:           4
        .value_kind:     by_value
      - .offset:         28
        .size:           4
        .value_kind:     by_value
      - .actual_access:  read_only
        .address_space:  global
        .offset:         32
        .size:           8
        .value_kind:     global_buffer
      - .actual_access:  read_only
        .address_space:  global
        .offset:         40
        .size:           8
        .value_kind:     global_buffer
      - .actual_access:  read_only
        .address_space:  global
        .offset:         48
        .size:           8
        .value_kind:     global_buffer
      - .offset:         56
        .size:           4
        .value_kind:     by_value
      - .actual_access:  read_only
        .address_space:  global
        .offset:         64
        .size:           8
        .value_kind:     global_buffer
      - .offset:         72
        .size:           4
        .value_kind:     by_value
      - .offset:         76
        .size:           4
        .value_kind:     by_value
      - .offset:         80
        .size:           4
        .value_kind:     by_value
      - .actual_access:  read_only
        .address_space:  global
        .offset:         88
        .size:           8
        .value_kind:     global_buffer
      - .actual_access:  read_only
        .address_space:  global
        .offset:         96
        .size:           8
        .value_kind:     global_buffer
      - .actual_access:  read_only
        .address_space:  global
        .offset:         104
        .size:           8
        .value_kind:     global_buffer
      - .actual_access:  read_only
        .address_space:  global
        .offset:         112
        .size:           8
        .value_kind:     global_buffer
      - .offset:         120
        .size:           4
        .value_kind:     by_value
      - .address_space:  global
        .offset:         128
        .size:           8
        .value_kind:     global_buffer
      - .address_space:  global
        .offset:         136
        .size:           8
        .value_kind:     global_buffer
      - .offset:         144
        .size:           4
        .value_kind:     hidden_block_count_x
      - .offset:         148
        .size:           4
        .value_kind:     hidden_block_count_y
      - .offset:         152
        .size:           4
        .value_kind:     hidden_block_count_z
      - .offset:         156
        .size:           2
        .value_kind:     hidden_group_size_x
      - .offset:         158
        .size:           2
        .value_kind:     hidden_group_size_y
      - .offset:         160
        .size:           2
        .value_kind:     hidden_group_size_z
      - .offset:         162
        .size:           2
        .value_kind:     hidden_remainder_x
      - .offset:         164
        .size:           2
        .value_kind:     hidden_remainder_y
      - .offset:         166
        .size:           2
        .value_kind:     hidden_remainder_z
      - .offset:         184
        .size:           8
        .value_kind:     hidden_global_offset_x
      - .offset:         192
        .size:           8
        .value_kind:     hidden_global_offset_y
      - .offset:         200
        .size:           8
        .value_kind:     hidden_global_offset_z
      - .offset:         208
        .size:           2
        .value_kind:     hidden_grid_dims
      - .offset:         224
        .size:           8
        .value_kind:     hidden_hostcall_buffer
    .group_segment_fixed_size: 0
    .kernarg_segment_align: 8
    .kernarg_segment_size: 400
    .language:       OpenCL C
    .language_version:
      - 2
      - 0
    .max_flat_workgroup_size: 256
    .name:           _Z38paged_attention_ll4mi_QKV_mfma4_kernelIDF16_DF16_LN4vllm18Fp8KVCacheDataTypeE0EDF16_Li32ELi64ELi256ELb0ELi2EEvPKT_PKT0_S7_ifPKiS9_S9_iPKfiiiPfSC_PS2_PT2_iSB_SB_
    .private_segment_fixed_size: 64
    .sgpr_count:     36
    .sgpr_spill_count: 0
    .symbol:         _Z38paged_attention_ll4mi_QKV_mfma4_kernelIDF16_DF16_LN4vllm18Fp8KVCacheDataTypeE0EDF16_Li32ELi64ELi256ELb0ELi2EEvPKT_PKT0_S7_ifPKiS9_S9_iPKfiiiPfSC_PS2_PT2_iSB_SB_.kd
    .uniform_work_group_size: 1
    .uses_dynamic_stack: false
    .vgpr_count:     41
    .vgpr_spill_count: 0
    .wavefront_size: 32
    .workgroup_processor_mode: 1
  - .args:
      - .actual_access:  read_only
        .address_space:  global
        .offset:         0
        .size:           8
        .value_kind:     global_buffer
      - .actual_access:  read_only
        .address_space:  global
        .offset:         8
        .size:           8
        .value_kind:     global_buffer
      - .actual_access:  read_only
        .address_space:  global
        .offset:         16
        .size:           8
        .value_kind:     global_buffer
      - .offset:         24
        .size:           4
        .value_kind:     by_value
      - .offset:         28
        .size:           4
        .value_kind:     by_value
      - .actual_access:  read_only
        .address_space:  global
        .offset:         32
        .size:           8
        .value_kind:     global_buffer
      - .actual_access:  read_only
        .address_space:  global
        .offset:         40
        .size:           8
        .value_kind:     global_buffer
      - .actual_access:  read_only
        .address_space:  global
        .offset:         48
        .size:           8
        .value_kind:     global_buffer
      - .offset:         56
        .size:           4
        .value_kind:     by_value
      - .actual_access:  read_only
        .address_space:  global
        .offset:         64
        .size:           8
        .value_kind:     global_buffer
      - .offset:         72
        .size:           4
        .value_kind:     by_value
      - .offset:         76
        .size:           4
        .value_kind:     by_value
      - .offset:         80
        .size:           4
        .value_kind:     by_value
      - .actual_access:  read_only
        .address_space:  global
        .offset:         88
        .size:           8
        .value_kind:     global_buffer
      - .actual_access:  read_only
        .address_space:  global
        .offset:         96
        .size:           8
        .value_kind:     global_buffer
      - .actual_access:  read_only
        .address_space:  global
        .offset:         104
        .size:           8
        .value_kind:     global_buffer
      - .actual_access:  read_only
        .address_space:  global
        .offset:         112
        .size:           8
        .value_kind:     global_buffer
      - .offset:         120
        .size:           4
        .value_kind:     by_value
      - .address_space:  global
        .offset:         128
        .size:           8
        .value_kind:     global_buffer
      - .address_space:  global
        .offset:         136
        .size:           8
        .value_kind:     global_buffer
      - .offset:         144
        .size:           4
        .value_kind:     hidden_block_count_x
      - .offset:         148
        .size:           4
        .value_kind:     hidden_block_count_y
      - .offset:         152
        .size:           4
        .value_kind:     hidden_block_count_z
      - .offset:         156
        .size:           2
        .value_kind:     hidden_group_size_x
      - .offset:         158
        .size:           2
        .value_kind:     hidden_group_size_y
      - .offset:         160
        .size:           2
        .value_kind:     hidden_group_size_z
      - .offset:         162
        .size:           2
        .value_kind:     hidden_remainder_x
      - .offset:         164
        .size:           2
        .value_kind:     hidden_remainder_y
      - .offset:         166
        .size:           2
        .value_kind:     hidden_remainder_z
      - .offset:         184
        .size:           8
        .value_kind:     hidden_global_offset_x
      - .offset:         192
        .size:           8
        .value_kind:     hidden_global_offset_y
      - .offset:         200
        .size:           8
        .value_kind:     hidden_global_offset_z
      - .offset:         208
        .size:           2
        .value_kind:     hidden_grid_dims
      - .offset:         224
        .size:           8
        .value_kind:     hidden_hostcall_buffer
    .group_segment_fixed_size: 0
    .kernarg_segment_align: 8
    .kernarg_segment_size: 400
    .language:       OpenCL C
    .language_version:
      - 2
      - 0
    .max_flat_workgroup_size: 256
    .name:           _Z38paged_attention_ll4mi_QKV_mfma4_kernelIDF16_DF16_LN4vllm18Fp8KVCacheDataTypeE0EDF16_Li32ELi64ELi256ELb0ELi3EEvPKT_PKT0_S7_ifPKiS9_S9_iPKfiiiPfSC_PS2_PT2_iSB_SB_
    .private_segment_fixed_size: 64
    .sgpr_count:     36
    .sgpr_spill_count: 0
    .symbol:         _Z38paged_attention_ll4mi_QKV_mfma4_kernelIDF16_DF16_LN4vllm18Fp8KVCacheDataTypeE0EDF16_Li32ELi64ELi256ELb0ELi3EEvPKT_PKT0_S7_ifPKiS9_S9_iPKfiiiPfSC_PS2_PT2_iSB_SB_.kd
    .uniform_work_group_size: 1
    .uses_dynamic_stack: false
    .vgpr_count:     41
    .vgpr_spill_count: 0
    .wavefront_size: 32
    .workgroup_processor_mode: 1
  - .args:
      - .actual_access:  read_only
        .address_space:  global
        .offset:         0
        .size:           8
        .value_kind:     global_buffer
      - .actual_access:  read_only
        .address_space:  global
        .offset:         8
        .size:           8
        .value_kind:     global_buffer
      - .actual_access:  read_only
        .address_space:  global
        .offset:         16
        .size:           8
        .value_kind:     global_buffer
      - .offset:         24
        .size:           4
        .value_kind:     by_value
      - .offset:         28
        .size:           4
        .value_kind:     by_value
      - .actual_access:  read_only
        .address_space:  global
        .offset:         32
        .size:           8
        .value_kind:     global_buffer
      - .actual_access:  read_only
        .address_space:  global
        .offset:         40
        .size:           8
        .value_kind:     global_buffer
      - .actual_access:  read_only
        .address_space:  global
        .offset:         48
        .size:           8
        .value_kind:     global_buffer
      - .offset:         56
        .size:           4
        .value_kind:     by_value
      - .actual_access:  read_only
        .address_space:  global
        .offset:         64
        .size:           8
        .value_kind:     global_buffer
      - .offset:         72
        .size:           4
        .value_kind:     by_value
      - .offset:         76
        .size:           4
        .value_kind:     by_value
      - .offset:         80
        .size:           4
        .value_kind:     by_value
      - .actual_access:  read_only
        .address_space:  global
        .offset:         88
        .size:           8
        .value_kind:     global_buffer
      - .actual_access:  read_only
        .address_space:  global
        .offset:         96
        .size:           8
        .value_kind:     global_buffer
      - .actual_access:  read_only
        .address_space:  global
        .offset:         104
        .size:           8
        .value_kind:     global_buffer
      - .actual_access:  read_only
        .address_space:  global
        .offset:         112
        .size:           8
        .value_kind:     global_buffer
      - .offset:         120
        .size:           4
        .value_kind:     by_value
      - .address_space:  global
        .offset:         128
        .size:           8
        .value_kind:     global_buffer
      - .address_space:  global
        .offset:         136
        .size:           8
        .value_kind:     global_buffer
      - .offset:         144
        .size:           4
        .value_kind:     hidden_block_count_x
      - .offset:         148
        .size:           4
        .value_kind:     hidden_block_count_y
      - .offset:         152
        .size:           4
        .value_kind:     hidden_block_count_z
      - .offset:         156
        .size:           2
        .value_kind:     hidden_group_size_x
      - .offset:         158
        .size:           2
        .value_kind:     hidden_group_size_y
      - .offset:         160
        .size:           2
        .value_kind:     hidden_group_size_z
      - .offset:         162
        .size:           2
        .value_kind:     hidden_remainder_x
      - .offset:         164
        .size:           2
        .value_kind:     hidden_remainder_y
      - .offset:         166
        .size:           2
        .value_kind:     hidden_remainder_z
      - .offset:         184
        .size:           8
        .value_kind:     hidden_global_offset_x
      - .offset:         192
        .size:           8
        .value_kind:     hidden_global_offset_y
      - .offset:         200
        .size:           8
        .value_kind:     hidden_global_offset_z
      - .offset:         208
        .size:           2
        .value_kind:     hidden_grid_dims
      - .offset:         224
        .size:           8
        .value_kind:     hidden_hostcall_buffer
    .group_segment_fixed_size: 0
    .kernarg_segment_align: 8
    .kernarg_segment_size: 400
    .language:       OpenCL C
    .language_version:
      - 2
      - 0
    .max_flat_workgroup_size: 256
    .name:           _Z38paged_attention_ll4mi_QKV_mfma4_kernelIDF16_DF16_LN4vllm18Fp8KVCacheDataTypeE0EDF16_Li32ELi64ELi256ELb0ELi4EEvPKT_PKT0_S7_ifPKiS9_S9_iPKfiiiPfSC_PS2_PT2_iSB_SB_
    .private_segment_fixed_size: 64
    .sgpr_count:     36
    .sgpr_spill_count: 0
    .symbol:         _Z38paged_attention_ll4mi_QKV_mfma4_kernelIDF16_DF16_LN4vllm18Fp8KVCacheDataTypeE0EDF16_Li32ELi64ELi256ELb0ELi4EEvPKT_PKT0_S7_ifPKiS9_S9_iPKfiiiPfSC_PS2_PT2_iSB_SB_.kd
    .uniform_work_group_size: 1
    .uses_dynamic_stack: false
    .vgpr_count:     41
    .vgpr_spill_count: 0
    .wavefront_size: 32
    .workgroup_processor_mode: 1
  - .args:
      - .actual_access:  read_only
        .address_space:  global
        .offset:         0
        .size:           8
        .value_kind:     global_buffer
      - .actual_access:  read_only
        .address_space:  global
        .offset:         8
        .size:           8
        .value_kind:     global_buffer
      - .actual_access:  read_only
        .address_space:  global
        .offset:         16
        .size:           8
        .value_kind:     global_buffer
      - .offset:         24
        .size:           4
        .value_kind:     by_value
      - .offset:         28
        .size:           4
        .value_kind:     by_value
      - .actual_access:  read_only
        .address_space:  global
        .offset:         32
        .size:           8
        .value_kind:     global_buffer
      - .actual_access:  read_only
        .address_space:  global
        .offset:         40
        .size:           8
        .value_kind:     global_buffer
      - .actual_access:  read_only
        .address_space:  global
        .offset:         48
        .size:           8
        .value_kind:     global_buffer
      - .offset:         56
        .size:           4
        .value_kind:     by_value
      - .actual_access:  read_only
        .address_space:  global
        .offset:         64
        .size:           8
        .value_kind:     global_buffer
      - .offset:         72
        .size:           4
        .value_kind:     by_value
      - .offset:         76
        .size:           4
        .value_kind:     by_value
      - .offset:         80
        .size:           4
        .value_kind:     by_value
      - .actual_access:  write_only
        .address_space:  global
        .offset:         88
        .size:           8
        .value_kind:     global_buffer
      - .actual_access:  write_only
        .address_space:  global
        .offset:         96
        .size:           8
        .value_kind:     global_buffer
      - .actual_access:  write_only
        .address_space:  global
        .offset:         104
        .size:           8
        .value_kind:     global_buffer
      - .actual_access:  read_only
        .address_space:  global
        .offset:         112
        .size:           8
        .value_kind:     global_buffer
      - .offset:         120
        .size:           4
        .value_kind:     by_value
      - .address_space:  global
        .offset:         128
        .size:           8
        .value_kind:     global_buffer
      - .address_space:  global
        .offset:         136
        .size:           8
        .value_kind:     global_buffer
      - .offset:         144
        .size:           4
        .value_kind:     hidden_block_count_x
      - .offset:         148
        .size:           4
        .value_kind:     hidden_block_count_y
      - .offset:         152
        .size:           4
        .value_kind:     hidden_block_count_z
      - .offset:         156
        .size:           2
        .value_kind:     hidden_group_size_x
      - .offset:         158
        .size:           2
        .value_kind:     hidden_group_size_y
      - .offset:         160
        .size:           2
        .value_kind:     hidden_group_size_z
      - .offset:         162
        .size:           2
        .value_kind:     hidden_remainder_x
      - .offset:         164
        .size:           2
        .value_kind:     hidden_remainder_y
      - .offset:         166
        .size:           2
        .value_kind:     hidden_remainder_z
      - .offset:         184
        .size:           8
        .value_kind:     hidden_global_offset_x
      - .offset:         192
        .size:           8
        .value_kind:     hidden_global_offset_y
      - .offset:         200
        .size:           8
        .value_kind:     hidden_global_offset_z
      - .offset:         208
        .size:           2
        .value_kind:     hidden_grid_dims
    .group_segment_fixed_size: 17472
    .kernarg_segment_align: 8
    .kernarg_segment_size: 400
    .language:       OpenCL C
    .language_version:
      - 2
      - 0
    .max_flat_workgroup_size: 256
    .name:           _Z39paged_attention_ll4mi_QKV_mfma16_kernelIDF16_DF16_LN4vllm18Fp8KVCacheDataTypeE0EDF16_Li32ELi64ELi256ELb0ELi5EL8MFMAType0EEvPKT_PKT0_S8_ifPKiSA_SA_iPKfiiiPfSD_PS3_PT2_iSC_SC_
    .private_segment_fixed_size: 0
    .sgpr_count:     41
    .sgpr_spill_count: 0
    .symbol:         _Z39paged_attention_ll4mi_QKV_mfma16_kernelIDF16_DF16_LN4vllm18Fp8KVCacheDataTypeE0EDF16_Li32ELi64ELi256ELb0ELi5EL8MFMAType0EEvPKT_PKT0_S8_ifPKiSA_SA_iPKfiiiPfSD_PS3_PT2_iSC_SC_.kd
    .uniform_work_group_size: 1
    .uses_dynamic_stack: false
    .vgpr_count:     154
    .vgpr_spill_count: 0
    .wavefront_size: 32
    .workgroup_processor_mode: 1
  - .args:
      - .actual_access:  read_only
        .address_space:  global
        .offset:         0
        .size:           8
        .value_kind:     global_buffer
      - .actual_access:  read_only
        .address_space:  global
        .offset:         8
        .size:           8
        .value_kind:     global_buffer
      - .actual_access:  read_only
        .address_space:  global
        .offset:         16
        .size:           8
        .value_kind:     global_buffer
      - .offset:         24
        .size:           4
        .value_kind:     by_value
      - .offset:         28
        .size:           4
        .value_kind:     by_value
      - .actual_access:  read_only
        .address_space:  global
        .offset:         32
        .size:           8
        .value_kind:     global_buffer
      - .actual_access:  read_only
        .address_space:  global
        .offset:         40
        .size:           8
        .value_kind:     global_buffer
      - .actual_access:  read_only
        .address_space:  global
        .offset:         48
        .size:           8
        .value_kind:     global_buffer
      - .offset:         56
        .size:           4
        .value_kind:     by_value
      - .actual_access:  read_only
        .address_space:  global
        .offset:         64
        .size:           8
        .value_kind:     global_buffer
      - .offset:         72
        .size:           4
        .value_kind:     by_value
      - .offset:         76
        .size:           4
        .value_kind:     by_value
      - .offset:         80
        .size:           4
        .value_kind:     by_value
      - .actual_access:  write_only
        .address_space:  global
        .offset:         88
        .size:           8
        .value_kind:     global_buffer
      - .actual_access:  write_only
        .address_space:  global
        .offset:         96
        .size:           8
        .value_kind:     global_buffer
      - .actual_access:  write_only
        .address_space:  global
        .offset:         104
        .size:           8
        .value_kind:     global_buffer
      - .actual_access:  read_only
        .address_space:  global
        .offset:         112
        .size:           8
        .value_kind:     global_buffer
      - .offset:         120
        .size:           4
        .value_kind:     by_value
      - .address_space:  global
        .offset:         128
        .size:           8
        .value_kind:     global_buffer
      - .address_space:  global
        .offset:         136
        .size:           8
        .value_kind:     global_buffer
      - .offset:         144
        .size:           4
        .value_kind:     hidden_block_count_x
      - .offset:         148
        .size:           4
        .value_kind:     hidden_block_count_y
      - .offset:         152
        .size:           4
        .value_kind:     hidden_block_count_z
      - .offset:         156
        .size:           2
        .value_kind:     hidden_group_size_x
      - .offset:         158
        .size:           2
        .value_kind:     hidden_group_size_y
      - .offset:         160
        .size:           2
        .value_kind:     hidden_group_size_z
      - .offset:         162
        .size:           2
        .value_kind:     hidden_remainder_x
      - .offset:         164
        .size:           2
        .value_kind:     hidden_remainder_y
      - .offset:         166
        .size:           2
        .value_kind:     hidden_remainder_z
      - .offset:         184
        .size:           8
        .value_kind:     hidden_global_offset_x
      - .offset:         192
        .size:           8
        .value_kind:     hidden_global_offset_y
      - .offset:         200
        .size:           8
        .value_kind:     hidden_global_offset_z
      - .offset:         208
        .size:           2
        .value_kind:     hidden_grid_dims
    .group_segment_fixed_size: 17472
    .kernarg_segment_align: 8
    .kernarg_segment_size: 400
    .language:       OpenCL C
    .language_version:
      - 2
      - 0
    .max_flat_workgroup_size: 256
    .name:           _Z39paged_attention_ll4mi_QKV_mfma16_kernelIDF16_DF16_LN4vllm18Fp8KVCacheDataTypeE0EDF16_Li32ELi64ELi256ELb0ELi6EL8MFMAType0EEvPKT_PKT0_S8_ifPKiSA_SA_iPKfiiiPfSD_PS3_PT2_iSC_SC_
    .private_segment_fixed_size: 0
    .sgpr_count:     41
    .sgpr_spill_count: 0
    .symbol:         _Z39paged_attention_ll4mi_QKV_mfma16_kernelIDF16_DF16_LN4vllm18Fp8KVCacheDataTypeE0EDF16_Li32ELi64ELi256ELb0ELi6EL8MFMAType0EEvPKT_PKT0_S8_ifPKiSA_SA_iPKfiiiPfSD_PS3_PT2_iSC_SC_.kd
    .uniform_work_group_size: 1
    .uses_dynamic_stack: false
    .vgpr_count:     154
    .vgpr_spill_count: 0
    .wavefront_size: 32
    .workgroup_processor_mode: 1
  - .args:
      - .actual_access:  read_only
        .address_space:  global
        .offset:         0
        .size:           8
        .value_kind:     global_buffer
      - .actual_access:  read_only
        .address_space:  global
        .offset:         8
        .size:           8
        .value_kind:     global_buffer
      - .actual_access:  read_only
        .address_space:  global
        .offset:         16
        .size:           8
        .value_kind:     global_buffer
      - .offset:         24
        .size:           4
        .value_kind:     by_value
      - .offset:         28
        .size:           4
        .value_kind:     by_value
      - .actual_access:  read_only
        .address_space:  global
        .offset:         32
        .size:           8
        .value_kind:     global_buffer
      - .actual_access:  read_only
        .address_space:  global
        .offset:         40
        .size:           8
        .value_kind:     global_buffer
      - .actual_access:  read_only
        .address_space:  global
        .offset:         48
        .size:           8
        .value_kind:     global_buffer
      - .offset:         56
        .size:           4
        .value_kind:     by_value
      - .actual_access:  read_only
        .address_space:  global
        .offset:         64
        .size:           8
        .value_kind:     global_buffer
      - .offset:         72
        .size:           4
        .value_kind:     by_value
      - .offset:         76
        .size:           4
        .value_kind:     by_value
      - .offset:         80
        .size:           4
        .value_kind:     by_value
      - .actual_access:  write_only
        .address_space:  global
        .offset:         88
        .size:           8
        .value_kind:     global_buffer
      - .actual_access:  write_only
        .address_space:  global
        .offset:         96
        .size:           8
        .value_kind:     global_buffer
      - .actual_access:  write_only
        .address_space:  global
        .offset:         104
        .size:           8
        .value_kind:     global_buffer
      - .actual_access:  read_only
        .address_space:  global
        .offset:         112
        .size:           8
        .value_kind:     global_buffer
      - .offset:         120
        .size:           4
        .value_kind:     by_value
      - .address_space:  global
        .offset:         128
        .size:           8
        .value_kind:     global_buffer
      - .address_space:  global
        .offset:         136
        .size:           8
        .value_kind:     global_buffer
      - .offset:         144
        .size:           4
        .value_kind:     hidden_block_count_x
      - .offset:         148
        .size:           4
        .value_kind:     hidden_block_count_y
      - .offset:         152
        .size:           4
        .value_kind:     hidden_block_count_z
      - .offset:         156
        .size:           2
        .value_kind:     hidden_group_size_x
      - .offset:         158
        .size:           2
        .value_kind:     hidden_group_size_y
      - .offset:         160
        .size:           2
        .value_kind:     hidden_group_size_z
      - .offset:         162
        .size:           2
        .value_kind:     hidden_remainder_x
      - .offset:         164
        .size:           2
        .value_kind:     hidden_remainder_y
      - .offset:         166
        .size:           2
        .value_kind:     hidden_remainder_z
      - .offset:         184
        .size:           8
        .value_kind:     hidden_global_offset_x
      - .offset:         192
        .size:           8
        .value_kind:     hidden_global_offset_y
      - .offset:         200
        .size:           8
        .value_kind:     hidden_global_offset_z
      - .offset:         208
        .size:           2
        .value_kind:     hidden_grid_dims
    .group_segment_fixed_size: 17472
    .kernarg_segment_align: 8
    .kernarg_segment_size: 400
    .language:       OpenCL C
    .language_version:
      - 2
      - 0
    .max_flat_workgroup_size: 256
    .name:           _Z39paged_attention_ll4mi_QKV_mfma16_kernelIDF16_DF16_LN4vllm18Fp8KVCacheDataTypeE0EDF16_Li32ELi64ELi256ELb0ELi7EL8MFMAType0EEvPKT_PKT0_S8_ifPKiSA_SA_iPKfiiiPfSD_PS3_PT2_iSC_SC_
    .private_segment_fixed_size: 0
    .sgpr_count:     41
    .sgpr_spill_count: 0
    .symbol:         _Z39paged_attention_ll4mi_QKV_mfma16_kernelIDF16_DF16_LN4vllm18Fp8KVCacheDataTypeE0EDF16_Li32ELi64ELi256ELb0ELi7EL8MFMAType0EEvPKT_PKT0_S8_ifPKiSA_SA_iPKfiiiPfSD_PS3_PT2_iSC_SC_.kd
    .uniform_work_group_size: 1
    .uses_dynamic_stack: false
    .vgpr_count:     154
    .vgpr_spill_count: 0
    .wavefront_size: 32
    .workgroup_processor_mode: 1
  - .args:
      - .actual_access:  read_only
        .address_space:  global
        .offset:         0
        .size:           8
        .value_kind:     global_buffer
      - .actual_access:  read_only
        .address_space:  global
        .offset:         8
        .size:           8
        .value_kind:     global_buffer
      - .actual_access:  read_only
        .address_space:  global
        .offset:         16
        .size:           8
        .value_kind:     global_buffer
      - .offset:         24
        .size:           4
        .value_kind:     by_value
      - .offset:         28
        .size:           4
        .value_kind:     by_value
      - .actual_access:  read_only
        .address_space:  global
        .offset:         32
        .size:           8
        .value_kind:     global_buffer
      - .actual_access:  read_only
        .address_space:  global
        .offset:         40
        .size:           8
        .value_kind:     global_buffer
      - .actual_access:  read_only
        .address_space:  global
        .offset:         48
        .size:           8
        .value_kind:     global_buffer
      - .offset:         56
        .size:           4
        .value_kind:     by_value
      - .actual_access:  read_only
        .address_space:  global
        .offset:         64
        .size:           8
        .value_kind:     global_buffer
      - .offset:         72
        .size:           4
        .value_kind:     by_value
      - .offset:         76
        .size:           4
        .value_kind:     by_value
      - .offset:         80
        .size:           4
        .value_kind:     by_value
      - .actual_access:  write_only
        .address_space:  global
        .offset:         88
        .size:           8
        .value_kind:     global_buffer
      - .actual_access:  write_only
        .address_space:  global
        .offset:         96
        .size:           8
        .value_kind:     global_buffer
      - .actual_access:  write_only
        .address_space:  global
        .offset:         104
        .size:           8
        .value_kind:     global_buffer
      - .actual_access:  read_only
        .address_space:  global
        .offset:         112
        .size:           8
        .value_kind:     global_buffer
      - .offset:         120
        .size:           4
        .value_kind:     by_value
      - .address_space:  global
        .offset:         128
        .size:           8
        .value_kind:     global_buffer
      - .address_space:  global
        .offset:         136
        .size:           8
        .value_kind:     global_buffer
      - .offset:         144
        .size:           4
        .value_kind:     hidden_block_count_x
      - .offset:         148
        .size:           4
        .value_kind:     hidden_block_count_y
      - .offset:         152
        .size:           4
        .value_kind:     hidden_block_count_z
      - .offset:         156
        .size:           2
        .value_kind:     hidden_group_size_x
      - .offset:         158
        .size:           2
        .value_kind:     hidden_group_size_y
      - .offset:         160
        .size:           2
        .value_kind:     hidden_group_size_z
      - .offset:         162
        .size:           2
        .value_kind:     hidden_remainder_x
      - .offset:         164
        .size:           2
        .value_kind:     hidden_remainder_y
      - .offset:         166
        .size:           2
        .value_kind:     hidden_remainder_z
      - .offset:         184
        .size:           8
        .value_kind:     hidden_global_offset_x
      - .offset:         192
        .size:           8
        .value_kind:     hidden_global_offset_y
      - .offset:         200
        .size:           8
        .value_kind:     hidden_global_offset_z
      - .offset:         208
        .size:           2
        .value_kind:     hidden_grid_dims
    .group_segment_fixed_size: 17472
    .kernarg_segment_align: 8
    .kernarg_segment_size: 400
    .language:       OpenCL C
    .language_version:
      - 2
      - 0
    .max_flat_workgroup_size: 256
    .name:           _Z39paged_attention_ll4mi_QKV_mfma16_kernelIDF16_DF16_LN4vllm18Fp8KVCacheDataTypeE0EDF16_Li32ELi64ELi256ELb0ELi8EL8MFMAType0EEvPKT_PKT0_S8_ifPKiSA_SA_iPKfiiiPfSD_PS3_PT2_iSC_SC_
    .private_segment_fixed_size: 0
    .sgpr_count:     41
    .sgpr_spill_count: 0
    .symbol:         _Z39paged_attention_ll4mi_QKV_mfma16_kernelIDF16_DF16_LN4vllm18Fp8KVCacheDataTypeE0EDF16_Li32ELi64ELi256ELb0ELi8EL8MFMAType0EEvPKT_PKT0_S8_ifPKiSA_SA_iPKfiiiPfSD_PS3_PT2_iSC_SC_.kd
    .uniform_work_group_size: 1
    .uses_dynamic_stack: false
    .vgpr_count:     154
    .vgpr_spill_count: 0
    .wavefront_size: 32
    .workgroup_processor_mode: 1
  - .args:
      - .actual_access:  read_only
        .address_space:  global
        .offset:         0
        .size:           8
        .value_kind:     global_buffer
      - .actual_access:  read_only
        .address_space:  global
        .offset:         8
        .size:           8
        .value_kind:     global_buffer
      - .actual_access:  read_only
        .address_space:  global
        .offset:         16
        .size:           8
        .value_kind:     global_buffer
      - .offset:         24
        .size:           4
        .value_kind:     by_value
      - .offset:         28
        .size:           4
        .value_kind:     by_value
      - .actual_access:  read_only
        .address_space:  global
        .offset:         32
        .size:           8
        .value_kind:     global_buffer
      - .actual_access:  read_only
        .address_space:  global
        .offset:         40
        .size:           8
        .value_kind:     global_buffer
      - .actual_access:  read_only
        .address_space:  global
        .offset:         48
        .size:           8
        .value_kind:     global_buffer
      - .offset:         56
        .size:           4
        .value_kind:     by_value
      - .actual_access:  read_only
        .address_space:  global
        .offset:         64
        .size:           8
        .value_kind:     global_buffer
      - .offset:         72
        .size:           4
        .value_kind:     by_value
      - .offset:         76
        .size:           4
        .value_kind:     by_value
      - .offset:         80
        .size:           4
        .value_kind:     by_value
      - .actual_access:  write_only
        .address_space:  global
        .offset:         88
        .size:           8
        .value_kind:     global_buffer
      - .actual_access:  write_only
        .address_space:  global
        .offset:         96
        .size:           8
        .value_kind:     global_buffer
      - .actual_access:  write_only
        .address_space:  global
        .offset:         104
        .size:           8
        .value_kind:     global_buffer
      - .actual_access:  read_only
        .address_space:  global
        .offset:         112
        .size:           8
        .value_kind:     global_buffer
      - .offset:         120
        .size:           4
        .value_kind:     by_value
      - .address_space:  global
        .offset:         128
        .size:           8
        .value_kind:     global_buffer
      - .address_space:  global
        .offset:         136
        .size:           8
        .value_kind:     global_buffer
      - .offset:         144
        .size:           4
        .value_kind:     hidden_block_count_x
      - .offset:         148
        .size:           4
        .value_kind:     hidden_block_count_y
      - .offset:         152
        .size:           4
        .value_kind:     hidden_block_count_z
      - .offset:         156
        .size:           2
        .value_kind:     hidden_group_size_x
      - .offset:         158
        .size:           2
        .value_kind:     hidden_group_size_y
      - .offset:         160
        .size:           2
        .value_kind:     hidden_group_size_z
      - .offset:         162
        .size:           2
        .value_kind:     hidden_remainder_x
      - .offset:         164
        .size:           2
        .value_kind:     hidden_remainder_y
      - .offset:         166
        .size:           2
        .value_kind:     hidden_remainder_z
      - .offset:         184
        .size:           8
        .value_kind:     hidden_global_offset_x
      - .offset:         192
        .size:           8
        .value_kind:     hidden_global_offset_y
      - .offset:         200
        .size:           8
        .value_kind:     hidden_global_offset_z
      - .offset:         208
        .size:           2
        .value_kind:     hidden_grid_dims
    .group_segment_fixed_size: 17472
    .kernarg_segment_align: 8
    .kernarg_segment_size: 400
    .language:       OpenCL C
    .language_version:
      - 2
      - 0
    .max_flat_workgroup_size: 256
    .name:           _Z39paged_attention_ll4mi_QKV_mfma16_kernelIDF16_DF16_LN4vllm18Fp8KVCacheDataTypeE0EDF16_Li32ELi64ELi256ELb0ELi9EL8MFMAType0EEvPKT_PKT0_S8_ifPKiSA_SA_iPKfiiiPfSD_PS3_PT2_iSC_SC_
    .private_segment_fixed_size: 0
    .sgpr_count:     41
    .sgpr_spill_count: 0
    .symbol:         _Z39paged_attention_ll4mi_QKV_mfma16_kernelIDF16_DF16_LN4vllm18Fp8KVCacheDataTypeE0EDF16_Li32ELi64ELi256ELb0ELi9EL8MFMAType0EEvPKT_PKT0_S8_ifPKiSA_SA_iPKfiiiPfSD_PS3_PT2_iSC_SC_.kd
    .uniform_work_group_size: 1
    .uses_dynamic_stack: false
    .vgpr_count:     154
    .vgpr_spill_count: 0
    .wavefront_size: 32
    .workgroup_processor_mode: 1
  - .args:
      - .actual_access:  read_only
        .address_space:  global
        .offset:         0
        .size:           8
        .value_kind:     global_buffer
      - .actual_access:  read_only
        .address_space:  global
        .offset:         8
        .size:           8
        .value_kind:     global_buffer
      - .actual_access:  read_only
        .address_space:  global
        .offset:         16
        .size:           8
        .value_kind:     global_buffer
      - .offset:         24
        .size:           4
        .value_kind:     by_value
      - .offset:         28
        .size:           4
        .value_kind:     by_value
      - .actual_access:  read_only
        .address_space:  global
        .offset:         32
        .size:           8
        .value_kind:     global_buffer
      - .actual_access:  read_only
        .address_space:  global
        .offset:         40
        .size:           8
        .value_kind:     global_buffer
      - .actual_access:  read_only
        .address_space:  global
        .offset:         48
        .size:           8
        .value_kind:     global_buffer
      - .offset:         56
        .size:           4
        .value_kind:     by_value
      - .actual_access:  read_only
        .address_space:  global
        .offset:         64
        .size:           8
        .value_kind:     global_buffer
      - .offset:         72
        .size:           4
        .value_kind:     by_value
      - .offset:         76
        .size:           4
        .value_kind:     by_value
      - .offset:         80
        .size:           4
        .value_kind:     by_value
      - .actual_access:  write_only
        .address_space:  global
        .offset:         88
        .size:           8
        .value_kind:     global_buffer
      - .actual_access:  write_only
        .address_space:  global
        .offset:         96
        .size:           8
        .value_kind:     global_buffer
      - .actual_access:  write_only
        .address_space:  global
        .offset:         104
        .size:           8
        .value_kind:     global_buffer
      - .actual_access:  read_only
        .address_space:  global
        .offset:         112
        .size:           8
        .value_kind:     global_buffer
      - .offset:         120
        .size:           4
        .value_kind:     by_value
      - .address_space:  global
        .offset:         128
        .size:           8
        .value_kind:     global_buffer
      - .address_space:  global
        .offset:         136
        .size:           8
        .value_kind:     global_buffer
      - .offset:         144
        .size:           4
        .value_kind:     hidden_block_count_x
      - .offset:         148
        .size:           4
        .value_kind:     hidden_block_count_y
      - .offset:         152
        .size:           4
        .value_kind:     hidden_block_count_z
      - .offset:         156
        .size:           2
        .value_kind:     hidden_group_size_x
      - .offset:         158
        .size:           2
        .value_kind:     hidden_group_size_y
      - .offset:         160
        .size:           2
        .value_kind:     hidden_group_size_z
      - .offset:         162
        .size:           2
        .value_kind:     hidden_remainder_x
      - .offset:         164
        .size:           2
        .value_kind:     hidden_remainder_y
      - .offset:         166
        .size:           2
        .value_kind:     hidden_remainder_z
      - .offset:         184
        .size:           8
        .value_kind:     hidden_global_offset_x
      - .offset:         192
        .size:           8
        .value_kind:     hidden_global_offset_y
      - .offset:         200
        .size:           8
        .value_kind:     hidden_global_offset_z
      - .offset:         208
        .size:           2
        .value_kind:     hidden_grid_dims
    .group_segment_fixed_size: 17472
    .kernarg_segment_align: 8
    .kernarg_segment_size: 400
    .language:       OpenCL C
    .language_version:
      - 2
      - 0
    .max_flat_workgroup_size: 256
    .name:           _Z39paged_attention_ll4mi_QKV_mfma16_kernelIDF16_DF16_LN4vllm18Fp8KVCacheDataTypeE0EDF16_Li32ELi64ELi256ELb0ELi10EL8MFMAType0EEvPKT_PKT0_S8_ifPKiSA_SA_iPKfiiiPfSD_PS3_PT2_iSC_SC_
    .private_segment_fixed_size: 0
    .sgpr_count:     41
    .sgpr_spill_count: 0
    .symbol:         _Z39paged_attention_ll4mi_QKV_mfma16_kernelIDF16_DF16_LN4vllm18Fp8KVCacheDataTypeE0EDF16_Li32ELi64ELi256ELb0ELi10EL8MFMAType0EEvPKT_PKT0_S8_ifPKiSA_SA_iPKfiiiPfSD_PS3_PT2_iSC_SC_.kd
    .uniform_work_group_size: 1
    .uses_dynamic_stack: false
    .vgpr_count:     154
    .vgpr_spill_count: 0
    .wavefront_size: 32
    .workgroup_processor_mode: 1
  - .args:
      - .actual_access:  read_only
        .address_space:  global
        .offset:         0
        .size:           8
        .value_kind:     global_buffer
      - .actual_access:  read_only
        .address_space:  global
        .offset:         8
        .size:           8
        .value_kind:     global_buffer
      - .actual_access:  read_only
        .address_space:  global
        .offset:         16
        .size:           8
        .value_kind:     global_buffer
      - .offset:         24
        .size:           4
        .value_kind:     by_value
      - .offset:         28
        .size:           4
        .value_kind:     by_value
      - .actual_access:  read_only
        .address_space:  global
        .offset:         32
        .size:           8
        .value_kind:     global_buffer
      - .actual_access:  read_only
        .address_space:  global
        .offset:         40
        .size:           8
        .value_kind:     global_buffer
      - .actual_access:  read_only
        .address_space:  global
        .offset:         48
        .size:           8
        .value_kind:     global_buffer
      - .offset:         56
        .size:           4
        .value_kind:     by_value
      - .actual_access:  read_only
        .address_space:  global
        .offset:         64
        .size:           8
        .value_kind:     global_buffer
      - .offset:         72
        .size:           4
        .value_kind:     by_value
      - .offset:         76
        .size:           4
        .value_kind:     by_value
      - .offset:         80
        .size:           4
        .value_kind:     by_value
      - .actual_access:  write_only
        .address_space:  global
        .offset:         88
        .size:           8
        .value_kind:     global_buffer
      - .actual_access:  write_only
        .address_space:  global
        .offset:         96
        .size:           8
        .value_kind:     global_buffer
      - .actual_access:  write_only
        .address_space:  global
        .offset:         104
        .size:           8
        .value_kind:     global_buffer
      - .actual_access:  read_only
        .address_space:  global
        .offset:         112
        .size:           8
        .value_kind:     global_buffer
      - .offset:         120
        .size:           4
        .value_kind:     by_value
      - .address_space:  global
        .offset:         128
        .size:           8
        .value_kind:     global_buffer
      - .address_space:  global
        .offset:         136
        .size:           8
        .value_kind:     global_buffer
      - .offset:         144
        .size:           4
        .value_kind:     hidden_block_count_x
      - .offset:         148
        .size:           4
        .value_kind:     hidden_block_count_y
      - .offset:         152
        .size:           4
        .value_kind:     hidden_block_count_z
      - .offset:         156
        .size:           2
        .value_kind:     hidden_group_size_x
      - .offset:         158
        .size:           2
        .value_kind:     hidden_group_size_y
      - .offset:         160
        .size:           2
        .value_kind:     hidden_group_size_z
      - .offset:         162
        .size:           2
        .value_kind:     hidden_remainder_x
      - .offset:         164
        .size:           2
        .value_kind:     hidden_remainder_y
      - .offset:         166
        .size:           2
        .value_kind:     hidden_remainder_z
      - .offset:         184
        .size:           8
        .value_kind:     hidden_global_offset_x
      - .offset:         192
        .size:           8
        .value_kind:     hidden_global_offset_y
      - .offset:         200
        .size:           8
        .value_kind:     hidden_global_offset_z
      - .offset:         208
        .size:           2
        .value_kind:     hidden_grid_dims
    .group_segment_fixed_size: 17472
    .kernarg_segment_align: 8
    .kernarg_segment_size: 400
    .language:       OpenCL C
    .language_version:
      - 2
      - 0
    .max_flat_workgroup_size: 256
    .name:           _Z39paged_attention_ll4mi_QKV_mfma16_kernelIDF16_DF16_LN4vllm18Fp8KVCacheDataTypeE0EDF16_Li32ELi64ELi256ELb0ELi11EL8MFMAType0EEvPKT_PKT0_S8_ifPKiSA_SA_iPKfiiiPfSD_PS3_PT2_iSC_SC_
    .private_segment_fixed_size: 0
    .sgpr_count:     41
    .sgpr_spill_count: 0
    .symbol:         _Z39paged_attention_ll4mi_QKV_mfma16_kernelIDF16_DF16_LN4vllm18Fp8KVCacheDataTypeE0EDF16_Li32ELi64ELi256ELb0ELi11EL8MFMAType0EEvPKT_PKT0_S8_ifPKiSA_SA_iPKfiiiPfSD_PS3_PT2_iSC_SC_.kd
    .uniform_work_group_size: 1
    .uses_dynamic_stack: false
    .vgpr_count:     154
    .vgpr_spill_count: 0
    .wavefront_size: 32
    .workgroup_processor_mode: 1
  - .args:
      - .actual_access:  read_only
        .address_space:  global
        .offset:         0
        .size:           8
        .value_kind:     global_buffer
      - .actual_access:  read_only
        .address_space:  global
        .offset:         8
        .size:           8
        .value_kind:     global_buffer
      - .actual_access:  read_only
        .address_space:  global
        .offset:         16
        .size:           8
        .value_kind:     global_buffer
      - .offset:         24
        .size:           4
        .value_kind:     by_value
      - .offset:         28
        .size:           4
        .value_kind:     by_value
      - .actual_access:  read_only
        .address_space:  global
        .offset:         32
        .size:           8
        .value_kind:     global_buffer
      - .actual_access:  read_only
        .address_space:  global
        .offset:         40
        .size:           8
        .value_kind:     global_buffer
      - .actual_access:  read_only
        .address_space:  global
        .offset:         48
        .size:           8
        .value_kind:     global_buffer
      - .offset:         56
        .size:           4
        .value_kind:     by_value
      - .actual_access:  read_only
        .address_space:  global
        .offset:         64
        .size:           8
        .value_kind:     global_buffer
      - .offset:         72
        .size:           4
        .value_kind:     by_value
      - .offset:         76
        .size:           4
        .value_kind:     by_value
      - .offset:         80
        .size:           4
        .value_kind:     by_value
      - .actual_access:  write_only
        .address_space:  global
        .offset:         88
        .size:           8
        .value_kind:     global_buffer
      - .actual_access:  write_only
        .address_space:  global
        .offset:         96
        .size:           8
        .value_kind:     global_buffer
      - .actual_access:  write_only
        .address_space:  global
        .offset:         104
        .size:           8
        .value_kind:     global_buffer
      - .actual_access:  read_only
        .address_space:  global
        .offset:         112
        .size:           8
        .value_kind:     global_buffer
      - .offset:         120
        .size:           4
        .value_kind:     by_value
      - .address_space:  global
        .offset:         128
        .size:           8
        .value_kind:     global_buffer
      - .address_space:  global
        .offset:         136
        .size:           8
        .value_kind:     global_buffer
      - .offset:         144
        .size:           4
        .value_kind:     hidden_block_count_x
      - .offset:         148
        .size:           4
        .value_kind:     hidden_block_count_y
      - .offset:         152
        .size:           4
        .value_kind:     hidden_block_count_z
      - .offset:         156
        .size:           2
        .value_kind:     hidden_group_size_x
      - .offset:         158
        .size:           2
        .value_kind:     hidden_group_size_y
      - .offset:         160
        .size:           2
        .value_kind:     hidden_group_size_z
      - .offset:         162
        .size:           2
        .value_kind:     hidden_remainder_x
      - .offset:         164
        .size:           2
        .value_kind:     hidden_remainder_y
      - .offset:         166
        .size:           2
        .value_kind:     hidden_remainder_z
      - .offset:         184
        .size:           8
        .value_kind:     hidden_global_offset_x
      - .offset:         192
        .size:           8
        .value_kind:     hidden_global_offset_y
      - .offset:         200
        .size:           8
        .value_kind:     hidden_global_offset_z
      - .offset:         208
        .size:           2
        .value_kind:     hidden_grid_dims
    .group_segment_fixed_size: 17472
    .kernarg_segment_align: 8
    .kernarg_segment_size: 400
    .language:       OpenCL C
    .language_version:
      - 2
      - 0
    .max_flat_workgroup_size: 256
    .name:           _Z39paged_attention_ll4mi_QKV_mfma16_kernelIDF16_DF16_LN4vllm18Fp8KVCacheDataTypeE0EDF16_Li32ELi64ELi256ELb0ELi12EL8MFMAType0EEvPKT_PKT0_S8_ifPKiSA_SA_iPKfiiiPfSD_PS3_PT2_iSC_SC_
    .private_segment_fixed_size: 0
    .sgpr_count:     41
    .sgpr_spill_count: 0
    .symbol:         _Z39paged_attention_ll4mi_QKV_mfma16_kernelIDF16_DF16_LN4vllm18Fp8KVCacheDataTypeE0EDF16_Li32ELi64ELi256ELb0ELi12EL8MFMAType0EEvPKT_PKT0_S8_ifPKiSA_SA_iPKfiiiPfSD_PS3_PT2_iSC_SC_.kd
    .uniform_work_group_size: 1
    .uses_dynamic_stack: false
    .vgpr_count:     154
    .vgpr_spill_count: 0
    .wavefront_size: 32
    .workgroup_processor_mode: 1
  - .args:
      - .actual_access:  read_only
        .address_space:  global
        .offset:         0
        .size:           8
        .value_kind:     global_buffer
      - .actual_access:  read_only
        .address_space:  global
        .offset:         8
        .size:           8
        .value_kind:     global_buffer
      - .actual_access:  read_only
        .address_space:  global
        .offset:         16
        .size:           8
        .value_kind:     global_buffer
      - .offset:         24
        .size:           4
        .value_kind:     by_value
      - .offset:         28
        .size:           4
        .value_kind:     by_value
      - .actual_access:  read_only
        .address_space:  global
        .offset:         32
        .size:           8
        .value_kind:     global_buffer
      - .actual_access:  read_only
        .address_space:  global
        .offset:         40
        .size:           8
        .value_kind:     global_buffer
      - .actual_access:  read_only
        .address_space:  global
        .offset:         48
        .size:           8
        .value_kind:     global_buffer
      - .offset:         56
        .size:           4
        .value_kind:     by_value
      - .actual_access:  read_only
        .address_space:  global
        .offset:         64
        .size:           8
        .value_kind:     global_buffer
      - .offset:         72
        .size:           4
        .value_kind:     by_value
      - .offset:         76
        .size:           4
        .value_kind:     by_value
      - .offset:         80
        .size:           4
        .value_kind:     by_value
      - .actual_access:  write_only
        .address_space:  global
        .offset:         88
        .size:           8
        .value_kind:     global_buffer
      - .actual_access:  write_only
        .address_space:  global
        .offset:         96
        .size:           8
        .value_kind:     global_buffer
      - .actual_access:  write_only
        .address_space:  global
        .offset:         104
        .size:           8
        .value_kind:     global_buffer
      - .actual_access:  read_only
        .address_space:  global
        .offset:         112
        .size:           8
        .value_kind:     global_buffer
      - .offset:         120
        .size:           4
        .value_kind:     by_value
      - .address_space:  global
        .offset:         128
        .size:           8
        .value_kind:     global_buffer
      - .address_space:  global
        .offset:         136
        .size:           8
        .value_kind:     global_buffer
      - .offset:         144
        .size:           4
        .value_kind:     hidden_block_count_x
      - .offset:         148
        .size:           4
        .value_kind:     hidden_block_count_y
      - .offset:         152
        .size:           4
        .value_kind:     hidden_block_count_z
      - .offset:         156
        .size:           2
        .value_kind:     hidden_group_size_x
      - .offset:         158
        .size:           2
        .value_kind:     hidden_group_size_y
      - .offset:         160
        .size:           2
        .value_kind:     hidden_group_size_z
      - .offset:         162
        .size:           2
        .value_kind:     hidden_remainder_x
      - .offset:         164
        .size:           2
        .value_kind:     hidden_remainder_y
      - .offset:         166
        .size:           2
        .value_kind:     hidden_remainder_z
      - .offset:         184
        .size:           8
        .value_kind:     hidden_global_offset_x
      - .offset:         192
        .size:           8
        .value_kind:     hidden_global_offset_y
      - .offset:         200
        .size:           8
        .value_kind:     hidden_global_offset_z
      - .offset:         208
        .size:           2
        .value_kind:     hidden_grid_dims
    .group_segment_fixed_size: 17472
    .kernarg_segment_align: 8
    .kernarg_segment_size: 400
    .language:       OpenCL C
    .language_version:
      - 2
      - 0
    .max_flat_workgroup_size: 256
    .name:           _Z39paged_attention_ll4mi_QKV_mfma16_kernelIDF16_DF16_LN4vllm18Fp8KVCacheDataTypeE0EDF16_Li32ELi64ELi256ELb0ELi13EL8MFMAType0EEvPKT_PKT0_S8_ifPKiSA_SA_iPKfiiiPfSD_PS3_PT2_iSC_SC_
    .private_segment_fixed_size: 0
    .sgpr_count:     41
    .sgpr_spill_count: 0
    .symbol:         _Z39paged_attention_ll4mi_QKV_mfma16_kernelIDF16_DF16_LN4vllm18Fp8KVCacheDataTypeE0EDF16_Li32ELi64ELi256ELb0ELi13EL8MFMAType0EEvPKT_PKT0_S8_ifPKiSA_SA_iPKfiiiPfSD_PS3_PT2_iSC_SC_.kd
    .uniform_work_group_size: 1
    .uses_dynamic_stack: false
    .vgpr_count:     154
    .vgpr_spill_count: 0
    .wavefront_size: 32
    .workgroup_processor_mode: 1
  - .args:
      - .actual_access:  read_only
        .address_space:  global
        .offset:         0
        .size:           8
        .value_kind:     global_buffer
      - .actual_access:  read_only
        .address_space:  global
        .offset:         8
        .size:           8
        .value_kind:     global_buffer
      - .actual_access:  read_only
        .address_space:  global
        .offset:         16
        .size:           8
        .value_kind:     global_buffer
      - .offset:         24
        .size:           4
        .value_kind:     by_value
      - .offset:         28
        .size:           4
        .value_kind:     by_value
      - .actual_access:  read_only
        .address_space:  global
        .offset:         32
        .size:           8
        .value_kind:     global_buffer
      - .actual_access:  read_only
        .address_space:  global
        .offset:         40
        .size:           8
        .value_kind:     global_buffer
      - .actual_access:  read_only
        .address_space:  global
        .offset:         48
        .size:           8
        .value_kind:     global_buffer
      - .offset:         56
        .size:           4
        .value_kind:     by_value
      - .actual_access:  read_only
        .address_space:  global
        .offset:         64
        .size:           8
        .value_kind:     global_buffer
      - .offset:         72
        .size:           4
        .value_kind:     by_value
      - .offset:         76
        .size:           4
        .value_kind:     by_value
      - .offset:         80
        .size:           4
        .value_kind:     by_value
      - .actual_access:  write_only
        .address_space:  global
        .offset:         88
        .size:           8
        .value_kind:     global_buffer
      - .actual_access:  write_only
        .address_space:  global
        .offset:         96
        .size:           8
        .value_kind:     global_buffer
      - .actual_access:  write_only
        .address_space:  global
        .offset:         104
        .size:           8
        .value_kind:     global_buffer
      - .actual_access:  read_only
        .address_space:  global
        .offset:         112
        .size:           8
        .value_kind:     global_buffer
      - .offset:         120
        .size:           4
        .value_kind:     by_value
      - .address_space:  global
        .offset:         128
        .size:           8
        .value_kind:     global_buffer
      - .address_space:  global
        .offset:         136
        .size:           8
        .value_kind:     global_buffer
      - .offset:         144
        .size:           4
        .value_kind:     hidden_block_count_x
      - .offset:         148
        .size:           4
        .value_kind:     hidden_block_count_y
      - .offset:         152
        .size:           4
        .value_kind:     hidden_block_count_z
      - .offset:         156
        .size:           2
        .value_kind:     hidden_group_size_x
      - .offset:         158
        .size:           2
        .value_kind:     hidden_group_size_y
      - .offset:         160
        .size:           2
        .value_kind:     hidden_group_size_z
      - .offset:         162
        .size:           2
        .value_kind:     hidden_remainder_x
      - .offset:         164
        .size:           2
        .value_kind:     hidden_remainder_y
      - .offset:         166
        .size:           2
        .value_kind:     hidden_remainder_z
      - .offset:         184
        .size:           8
        .value_kind:     hidden_global_offset_x
      - .offset:         192
        .size:           8
        .value_kind:     hidden_global_offset_y
      - .offset:         200
        .size:           8
        .value_kind:     hidden_global_offset_z
      - .offset:         208
        .size:           2
        .value_kind:     hidden_grid_dims
    .group_segment_fixed_size: 17472
    .kernarg_segment_align: 8
    .kernarg_segment_size: 400
    .language:       OpenCL C
    .language_version:
      - 2
      - 0
    .max_flat_workgroup_size: 256
    .name:           _Z39paged_attention_ll4mi_QKV_mfma16_kernelIDF16_DF16_LN4vllm18Fp8KVCacheDataTypeE0EDF16_Li32ELi64ELi256ELb0ELi14EL8MFMAType0EEvPKT_PKT0_S8_ifPKiSA_SA_iPKfiiiPfSD_PS3_PT2_iSC_SC_
    .private_segment_fixed_size: 0
    .sgpr_count:     41
    .sgpr_spill_count: 0
    .symbol:         _Z39paged_attention_ll4mi_QKV_mfma16_kernelIDF16_DF16_LN4vllm18Fp8KVCacheDataTypeE0EDF16_Li32ELi64ELi256ELb0ELi14EL8MFMAType0EEvPKT_PKT0_S8_ifPKiSA_SA_iPKfiiiPfSD_PS3_PT2_iSC_SC_.kd
    .uniform_work_group_size: 1
    .uses_dynamic_stack: false
    .vgpr_count:     154
    .vgpr_spill_count: 0
    .wavefront_size: 32
    .workgroup_processor_mode: 1
  - .args:
      - .actual_access:  read_only
        .address_space:  global
        .offset:         0
        .size:           8
        .value_kind:     global_buffer
      - .actual_access:  read_only
        .address_space:  global
        .offset:         8
        .size:           8
        .value_kind:     global_buffer
      - .actual_access:  read_only
        .address_space:  global
        .offset:         16
        .size:           8
        .value_kind:     global_buffer
      - .offset:         24
        .size:           4
        .value_kind:     by_value
      - .offset:         28
        .size:           4
        .value_kind:     by_value
      - .actual_access:  read_only
        .address_space:  global
        .offset:         32
        .size:           8
        .value_kind:     global_buffer
      - .actual_access:  read_only
        .address_space:  global
        .offset:         40
        .size:           8
        .value_kind:     global_buffer
      - .actual_access:  read_only
        .address_space:  global
        .offset:         48
        .size:           8
        .value_kind:     global_buffer
      - .offset:         56
        .size:           4
        .value_kind:     by_value
      - .actual_access:  read_only
        .address_space:  global
        .offset:         64
        .size:           8
        .value_kind:     global_buffer
      - .offset:         72
        .size:           4
        .value_kind:     by_value
      - .offset:         76
        .size:           4
        .value_kind:     by_value
      - .offset:         80
        .size:           4
        .value_kind:     by_value
      - .actual_access:  write_only
        .address_space:  global
        .offset:         88
        .size:           8
        .value_kind:     global_buffer
      - .actual_access:  write_only
        .address_space:  global
        .offset:         96
        .size:           8
        .value_kind:     global_buffer
      - .actual_access:  write_only
        .address_space:  global
        .offset:         104
        .size:           8
        .value_kind:     global_buffer
      - .actual_access:  read_only
        .address_space:  global
        .offset:         112
        .size:           8
        .value_kind:     global_buffer
      - .offset:         120
        .size:           4
        .value_kind:     by_value
      - .address_space:  global
        .offset:         128
        .size:           8
        .value_kind:     global_buffer
      - .address_space:  global
        .offset:         136
        .size:           8
        .value_kind:     global_buffer
      - .offset:         144
        .size:           4
        .value_kind:     hidden_block_count_x
      - .offset:         148
        .size:           4
        .value_kind:     hidden_block_count_y
      - .offset:         152
        .size:           4
        .value_kind:     hidden_block_count_z
      - .offset:         156
        .size:           2
        .value_kind:     hidden_group_size_x
      - .offset:         158
        .size:           2
        .value_kind:     hidden_group_size_y
      - .offset:         160
        .size:           2
        .value_kind:     hidden_group_size_z
      - .offset:         162
        .size:           2
        .value_kind:     hidden_remainder_x
      - .offset:         164
        .size:           2
        .value_kind:     hidden_remainder_y
      - .offset:         166
        .size:           2
        .value_kind:     hidden_remainder_z
      - .offset:         184
        .size:           8
        .value_kind:     hidden_global_offset_x
      - .offset:         192
        .size:           8
        .value_kind:     hidden_global_offset_y
      - .offset:         200
        .size:           8
        .value_kind:     hidden_global_offset_z
      - .offset:         208
        .size:           2
        .value_kind:     hidden_grid_dims
    .group_segment_fixed_size: 17472
    .kernarg_segment_align: 8
    .kernarg_segment_size: 400
    .language:       OpenCL C
    .language_version:
      - 2
      - 0
    .max_flat_workgroup_size: 256
    .name:           _Z39paged_attention_ll4mi_QKV_mfma16_kernelIDF16_DF16_LN4vllm18Fp8KVCacheDataTypeE0EDF16_Li32ELi64ELi256ELb0ELi15EL8MFMAType0EEvPKT_PKT0_S8_ifPKiSA_SA_iPKfiiiPfSD_PS3_PT2_iSC_SC_
    .private_segment_fixed_size: 0
    .sgpr_count:     41
    .sgpr_spill_count: 0
    .symbol:         _Z39paged_attention_ll4mi_QKV_mfma16_kernelIDF16_DF16_LN4vllm18Fp8KVCacheDataTypeE0EDF16_Li32ELi64ELi256ELb0ELi15EL8MFMAType0EEvPKT_PKT0_S8_ifPKiSA_SA_iPKfiiiPfSD_PS3_PT2_iSC_SC_.kd
    .uniform_work_group_size: 1
    .uses_dynamic_stack: false
    .vgpr_count:     154
    .vgpr_spill_count: 0
    .wavefront_size: 32
    .workgroup_processor_mode: 1
  - .args:
      - .actual_access:  read_only
        .address_space:  global
        .offset:         0
        .size:           8
        .value_kind:     global_buffer
      - .actual_access:  read_only
        .address_space:  global
        .offset:         8
        .size:           8
        .value_kind:     global_buffer
      - .actual_access:  read_only
        .address_space:  global
        .offset:         16
        .size:           8
        .value_kind:     global_buffer
      - .offset:         24
        .size:           4
        .value_kind:     by_value
      - .offset:         28
        .size:           4
        .value_kind:     by_value
      - .actual_access:  read_only
        .address_space:  global
        .offset:         32
        .size:           8
        .value_kind:     global_buffer
      - .actual_access:  read_only
        .address_space:  global
        .offset:         40
        .size:           8
        .value_kind:     global_buffer
      - .actual_access:  read_only
        .address_space:  global
        .offset:         48
        .size:           8
        .value_kind:     global_buffer
      - .offset:         56
        .size:           4
        .value_kind:     by_value
      - .actual_access:  read_only
        .address_space:  global
        .offset:         64
        .size:           8
        .value_kind:     global_buffer
      - .offset:         72
        .size:           4
        .value_kind:     by_value
      - .offset:         76
        .size:           4
        .value_kind:     by_value
      - .offset:         80
        .size:           4
        .value_kind:     by_value
      - .actual_access:  write_only
        .address_space:  global
        .offset:         88
        .size:           8
        .value_kind:     global_buffer
      - .actual_access:  write_only
        .address_space:  global
        .offset:         96
        .size:           8
        .value_kind:     global_buffer
      - .actual_access:  write_only
        .address_space:  global
        .offset:         104
        .size:           8
        .value_kind:     global_buffer
      - .actual_access:  read_only
        .address_space:  global
        .offset:         112
        .size:           8
        .value_kind:     global_buffer
      - .offset:         120
        .size:           4
        .value_kind:     by_value
      - .address_space:  global
        .offset:         128
        .size:           8
        .value_kind:     global_buffer
      - .address_space:  global
        .offset:         136
        .size:           8
        .value_kind:     global_buffer
      - .offset:         144
        .size:           4
        .value_kind:     hidden_block_count_x
      - .offset:         148
        .size:           4
        .value_kind:     hidden_block_count_y
      - .offset:         152
        .size:           4
        .value_kind:     hidden_block_count_z
      - .offset:         156
        .size:           2
        .value_kind:     hidden_group_size_x
      - .offset:         158
        .size:           2
        .value_kind:     hidden_group_size_y
      - .offset:         160
        .size:           2
        .value_kind:     hidden_group_size_z
      - .offset:         162
        .size:           2
        .value_kind:     hidden_remainder_x
      - .offset:         164
        .size:           2
        .value_kind:     hidden_remainder_y
      - .offset:         166
        .size:           2
        .value_kind:     hidden_remainder_z
      - .offset:         184
        .size:           8
        .value_kind:     hidden_global_offset_x
      - .offset:         192
        .size:           8
        .value_kind:     hidden_global_offset_y
      - .offset:         200
        .size:           8
        .value_kind:     hidden_global_offset_z
      - .offset:         208
        .size:           2
        .value_kind:     hidden_grid_dims
    .group_segment_fixed_size: 17472
    .kernarg_segment_align: 8
    .kernarg_segment_size: 400
    .language:       OpenCL C
    .language_version:
      - 2
      - 0
    .max_flat_workgroup_size: 256
    .name:           _Z39paged_attention_ll4mi_QKV_mfma16_kernelIDF16_DF16_LN4vllm18Fp8KVCacheDataTypeE0EDF16_Li32ELi64ELi256ELb0ELi16EL8MFMAType0EEvPKT_PKT0_S8_ifPKiSA_SA_iPKfiiiPfSD_PS3_PT2_iSC_SC_
    .private_segment_fixed_size: 0
    .sgpr_count:     41
    .sgpr_spill_count: 0
    .symbol:         _Z39paged_attention_ll4mi_QKV_mfma16_kernelIDF16_DF16_LN4vllm18Fp8KVCacheDataTypeE0EDF16_Li32ELi64ELi256ELb0ELi16EL8MFMAType0EEvPKT_PKT0_S8_ifPKiSA_SA_iPKfiiiPfSD_PS3_PT2_iSC_SC_.kd
    .uniform_work_group_size: 1
    .uses_dynamic_stack: false
    .vgpr_count:     149
    .vgpr_spill_count: 0
    .wavefront_size: 32
    .workgroup_processor_mode: 1
  - .args:
      - .actual_access:  read_only
        .address_space:  global
        .offset:         0
        .size:           8
        .value_kind:     global_buffer
      - .actual_access:  read_only
        .address_space:  global
        .offset:         8
        .size:           8
        .value_kind:     global_buffer
      - .actual_access:  read_only
        .address_space:  global
        .offset:         16
        .size:           8
        .value_kind:     global_buffer
      - .offset:         24
        .size:           4
        .value_kind:     by_value
      - .offset:         28
        .size:           4
        .value_kind:     by_value
      - .actual_access:  read_only
        .address_space:  global
        .offset:         32
        .size:           8
        .value_kind:     global_buffer
      - .actual_access:  read_only
        .address_space:  global
        .offset:         40
        .size:           8
        .value_kind:     global_buffer
      - .actual_access:  read_only
        .address_space:  global
        .offset:         48
        .size:           8
        .value_kind:     global_buffer
      - .offset:         56
        .size:           4
        .value_kind:     by_value
      - .actual_access:  read_only
        .address_space:  global
        .offset:         64
        .size:           8
        .value_kind:     global_buffer
      - .offset:         72
        .size:           4
        .value_kind:     by_value
      - .offset:         76
        .size:           4
        .value_kind:     by_value
      - .offset:         80
        .size:           4
        .value_kind:     by_value
      - .actual_access:  write_only
        .address_space:  global
        .offset:         88
        .size:           8
        .value_kind:     global_buffer
      - .actual_access:  write_only
        .address_space:  global
        .offset:         96
        .size:           8
        .value_kind:     global_buffer
      - .actual_access:  write_only
        .address_space:  global
        .offset:         104
        .size:           8
        .value_kind:     global_buffer
      - .actual_access:  read_only
        .address_space:  global
        .offset:         112
        .size:           8
        .value_kind:     global_buffer
      - .offset:         120
        .size:           4
        .value_kind:     by_value
      - .address_space:  global
        .offset:         128
        .size:           8
        .value_kind:     global_buffer
      - .address_space:  global
        .offset:         136
        .size:           8
        .value_kind:     global_buffer
      - .offset:         144
        .size:           4
        .value_kind:     hidden_block_count_x
      - .offset:         148
        .size:           4
        .value_kind:     hidden_block_count_y
      - .offset:         152
        .size:           4
        .value_kind:     hidden_block_count_z
      - .offset:         156
        .size:           2
        .value_kind:     hidden_group_size_x
      - .offset:         158
        .size:           2
        .value_kind:     hidden_group_size_y
      - .offset:         160
        .size:           2
        .value_kind:     hidden_group_size_z
      - .offset:         162
        .size:           2
        .value_kind:     hidden_remainder_x
      - .offset:         164
        .size:           2
        .value_kind:     hidden_remainder_y
      - .offset:         166
        .size:           2
        .value_kind:     hidden_remainder_z
      - .offset:         184
        .size:           8
        .value_kind:     hidden_global_offset_x
      - .offset:         192
        .size:           8
        .value_kind:     hidden_global_offset_y
      - .offset:         200
        .size:           8
        .value_kind:     hidden_global_offset_z
      - .offset:         208
        .size:           2
        .value_kind:     hidden_grid_dims
    .group_segment_fixed_size: 17472
    .kernarg_segment_align: 8
    .kernarg_segment_size: 400
    .language:       OpenCL C
    .language_version:
      - 2
      - 0
    .max_flat_workgroup_size: 256
    .name:           _Z39paged_attention_ll4mi_QKV_mfma16_kernelIDF16_DF16_LN4vllm18Fp8KVCacheDataTypeE0EDF16_Li32ELi64ELi256ELb0ELi1EL8MFMAType0EEvPKT_PKT0_S8_ifPKiSA_SA_iPKfiiiPfSD_PS3_PT2_iSC_SC_
    .private_segment_fixed_size: 0
    .sgpr_count:     71
    .sgpr_spill_count: 0
    .symbol:         _Z39paged_attention_ll4mi_QKV_mfma16_kernelIDF16_DF16_LN4vllm18Fp8KVCacheDataTypeE0EDF16_Li32ELi64ELi256ELb0ELi1EL8MFMAType0EEvPKT_PKT0_S8_ifPKiSA_SA_iPKfiiiPfSD_PS3_PT2_iSC_SC_.kd
    .uniform_work_group_size: 1
    .uses_dynamic_stack: false
    .vgpr_count:     146
    .vgpr_spill_count: 0
    .wavefront_size: 32
    .workgroup_processor_mode: 1
  - .args:
      - .actual_access:  read_only
        .address_space:  global
        .offset:         0
        .size:           8
        .value_kind:     global_buffer
      - .actual_access:  read_only
        .address_space:  global
        .offset:         8
        .size:           8
        .value_kind:     global_buffer
      - .actual_access:  read_only
        .address_space:  global
        .offset:         16
        .size:           8
        .value_kind:     global_buffer
      - .offset:         24
        .size:           4
        .value_kind:     by_value
      - .offset:         28
        .size:           4
        .value_kind:     by_value
      - .actual_access:  read_only
        .address_space:  global
        .offset:         32
        .size:           8
        .value_kind:     global_buffer
      - .actual_access:  read_only
        .address_space:  global
        .offset:         40
        .size:           8
        .value_kind:     global_buffer
      - .actual_access:  read_only
        .address_space:  global
        .offset:         48
        .size:           8
        .value_kind:     global_buffer
      - .offset:         56
        .size:           4
        .value_kind:     by_value
      - .actual_access:  read_only
        .address_space:  global
        .offset:         64
        .size:           8
        .value_kind:     global_buffer
      - .offset:         72
        .size:           4
        .value_kind:     by_value
      - .offset:         76
        .size:           4
        .value_kind:     by_value
      - .offset:         80
        .size:           4
        .value_kind:     by_value
      - .actual_access:  write_only
        .address_space:  global
        .offset:         88
        .size:           8
        .value_kind:     global_buffer
      - .actual_access:  write_only
        .address_space:  global
        .offset:         96
        .size:           8
        .value_kind:     global_buffer
      - .actual_access:  write_only
        .address_space:  global
        .offset:         104
        .size:           8
        .value_kind:     global_buffer
      - .actual_access:  read_only
        .address_space:  global
        .offset:         112
        .size:           8
        .value_kind:     global_buffer
      - .offset:         120
        .size:           4
        .value_kind:     by_value
      - .address_space:  global
        .offset:         128
        .size:           8
        .value_kind:     global_buffer
      - .address_space:  global
        .offset:         136
        .size:           8
        .value_kind:     global_buffer
      - .offset:         144
        .size:           4
        .value_kind:     hidden_block_count_x
      - .offset:         148
        .size:           4
        .value_kind:     hidden_block_count_y
      - .offset:         152
        .size:           4
        .value_kind:     hidden_block_count_z
      - .offset:         156
        .size:           2
        .value_kind:     hidden_group_size_x
      - .offset:         158
        .size:           2
        .value_kind:     hidden_group_size_y
      - .offset:         160
        .size:           2
        .value_kind:     hidden_group_size_z
      - .offset:         162
        .size:           2
        .value_kind:     hidden_remainder_x
      - .offset:         164
        .size:           2
        .value_kind:     hidden_remainder_y
      - .offset:         166
        .size:           2
        .value_kind:     hidden_remainder_z
      - .offset:         184
        .size:           8
        .value_kind:     hidden_global_offset_x
      - .offset:         192
        .size:           8
        .value_kind:     hidden_global_offset_y
      - .offset:         200
        .size:           8
        .value_kind:     hidden_global_offset_z
      - .offset:         208
        .size:           2
        .value_kind:     hidden_grid_dims
    .group_segment_fixed_size: 17472
    .kernarg_segment_align: 8
    .kernarg_segment_size: 400
    .language:       OpenCL C
    .language_version:
      - 2
      - 0
    .max_flat_workgroup_size: 256
    .name:           _Z39paged_attention_ll4mi_QKV_mfma16_kernelIDF16_DF16_LN4vllm18Fp8KVCacheDataTypeE0EDF16_Li32ELi64ELi256ELb0ELi2EL8MFMAType0EEvPKT_PKT0_S8_ifPKiSA_SA_iPKfiiiPfSD_PS3_PT2_iSC_SC_
    .private_segment_fixed_size: 0
    .sgpr_count:     42
    .sgpr_spill_count: 0
    .symbol:         _Z39paged_attention_ll4mi_QKV_mfma16_kernelIDF16_DF16_LN4vllm18Fp8KVCacheDataTypeE0EDF16_Li32ELi64ELi256ELb0ELi2EL8MFMAType0EEvPKT_PKT0_S8_ifPKiSA_SA_iPKfiiiPfSD_PS3_PT2_iSC_SC_.kd
    .uniform_work_group_size: 1
    .uses_dynamic_stack: false
    .vgpr_count:     156
    .vgpr_spill_count: 0
    .wavefront_size: 32
    .workgroup_processor_mode: 1
  - .args:
      - .actual_access:  read_only
        .address_space:  global
        .offset:         0
        .size:           8
        .value_kind:     global_buffer
      - .actual_access:  read_only
        .address_space:  global
        .offset:         8
        .size:           8
        .value_kind:     global_buffer
      - .actual_access:  read_only
        .address_space:  global
        .offset:         16
        .size:           8
        .value_kind:     global_buffer
      - .offset:         24
        .size:           4
        .value_kind:     by_value
      - .offset:         28
        .size:           4
        .value_kind:     by_value
      - .actual_access:  read_only
        .address_space:  global
        .offset:         32
        .size:           8
        .value_kind:     global_buffer
      - .actual_access:  read_only
        .address_space:  global
        .offset:         40
        .size:           8
        .value_kind:     global_buffer
      - .actual_access:  read_only
        .address_space:  global
        .offset:         48
        .size:           8
        .value_kind:     global_buffer
      - .offset:         56
        .size:           4
        .value_kind:     by_value
      - .actual_access:  read_only
        .address_space:  global
        .offset:         64
        .size:           8
        .value_kind:     global_buffer
      - .offset:         72
        .size:           4
        .value_kind:     by_value
      - .offset:         76
        .size:           4
        .value_kind:     by_value
      - .offset:         80
        .size:           4
        .value_kind:     by_value
      - .actual_access:  write_only
        .address_space:  global
        .offset:         88
        .size:           8
        .value_kind:     global_buffer
      - .actual_access:  write_only
        .address_space:  global
        .offset:         96
        .size:           8
        .value_kind:     global_buffer
      - .actual_access:  write_only
        .address_space:  global
        .offset:         104
        .size:           8
        .value_kind:     global_buffer
      - .actual_access:  read_only
        .address_space:  global
        .offset:         112
        .size:           8
        .value_kind:     global_buffer
      - .offset:         120
        .size:           4
        .value_kind:     by_value
      - .address_space:  global
        .offset:         128
        .size:           8
        .value_kind:     global_buffer
      - .address_space:  global
        .offset:         136
        .size:           8
        .value_kind:     global_buffer
      - .offset:         144
        .size:           4
        .value_kind:     hidden_block_count_x
      - .offset:         148
        .size:           4
        .value_kind:     hidden_block_count_y
      - .offset:         152
        .size:           4
        .value_kind:     hidden_block_count_z
      - .offset:         156
        .size:           2
        .value_kind:     hidden_group_size_x
      - .offset:         158
        .size:           2
        .value_kind:     hidden_group_size_y
      - .offset:         160
        .size:           2
        .value_kind:     hidden_group_size_z
      - .offset:         162
        .size:           2
        .value_kind:     hidden_remainder_x
      - .offset:         164
        .size:           2
        .value_kind:     hidden_remainder_y
      - .offset:         166
        .size:           2
        .value_kind:     hidden_remainder_z
      - .offset:         184
        .size:           8
        .value_kind:     hidden_global_offset_x
      - .offset:         192
        .size:           8
        .value_kind:     hidden_global_offset_y
      - .offset:         200
        .size:           8
        .value_kind:     hidden_global_offset_z
      - .offset:         208
        .size:           2
        .value_kind:     hidden_grid_dims
    .group_segment_fixed_size: 17472
    .kernarg_segment_align: 8
    .kernarg_segment_size: 400
    .language:       OpenCL C
    .language_version:
      - 2
      - 0
    .max_flat_workgroup_size: 256
    .name:           _Z39paged_attention_ll4mi_QKV_mfma16_kernelIDF16_DF16_LN4vllm18Fp8KVCacheDataTypeE0EDF16_Li32ELi64ELi256ELb0ELi3EL8MFMAType0EEvPKT_PKT0_S8_ifPKiSA_SA_iPKfiiiPfSD_PS3_PT2_iSC_SC_
    .private_segment_fixed_size: 0
    .sgpr_count:     41
    .sgpr_spill_count: 0
    .symbol:         _Z39paged_attention_ll4mi_QKV_mfma16_kernelIDF16_DF16_LN4vllm18Fp8KVCacheDataTypeE0EDF16_Li32ELi64ELi256ELb0ELi3EL8MFMAType0EEvPKT_PKT0_S8_ifPKiSA_SA_iPKfiiiPfSD_PS3_PT2_iSC_SC_.kd
    .uniform_work_group_size: 1
    .uses_dynamic_stack: false
    .vgpr_count:     154
    .vgpr_spill_count: 0
    .wavefront_size: 32
    .workgroup_processor_mode: 1
  - .args:
      - .actual_access:  read_only
        .address_space:  global
        .offset:         0
        .size:           8
        .value_kind:     global_buffer
      - .actual_access:  read_only
        .address_space:  global
        .offset:         8
        .size:           8
        .value_kind:     global_buffer
      - .actual_access:  read_only
        .address_space:  global
        .offset:         16
        .size:           8
        .value_kind:     global_buffer
      - .offset:         24
        .size:           4
        .value_kind:     by_value
      - .offset:         28
        .size:           4
        .value_kind:     by_value
      - .actual_access:  read_only
        .address_space:  global
        .offset:         32
        .size:           8
        .value_kind:     global_buffer
      - .actual_access:  read_only
        .address_space:  global
        .offset:         40
        .size:           8
        .value_kind:     global_buffer
      - .actual_access:  read_only
        .address_space:  global
        .offset:         48
        .size:           8
        .value_kind:     global_buffer
      - .offset:         56
        .size:           4
        .value_kind:     by_value
      - .actual_access:  read_only
        .address_space:  global
        .offset:         64
        .size:           8
        .value_kind:     global_buffer
      - .offset:         72
        .size:           4
        .value_kind:     by_value
      - .offset:         76
        .size:           4
        .value_kind:     by_value
      - .offset:         80
        .size:           4
        .value_kind:     by_value
      - .actual_access:  write_only
        .address_space:  global
        .offset:         88
        .size:           8
        .value_kind:     global_buffer
      - .actual_access:  write_only
        .address_space:  global
        .offset:         96
        .size:           8
        .value_kind:     global_buffer
      - .actual_access:  write_only
        .address_space:  global
        .offset:         104
        .size:           8
        .value_kind:     global_buffer
      - .actual_access:  read_only
        .address_space:  global
        .offset:         112
        .size:           8
        .value_kind:     global_buffer
      - .offset:         120
        .size:           4
        .value_kind:     by_value
      - .address_space:  global
        .offset:         128
        .size:           8
        .value_kind:     global_buffer
      - .address_space:  global
        .offset:         136
        .size:           8
        .value_kind:     global_buffer
      - .offset:         144
        .size:           4
        .value_kind:     hidden_block_count_x
      - .offset:         148
        .size:           4
        .value_kind:     hidden_block_count_y
      - .offset:         152
        .size:           4
        .value_kind:     hidden_block_count_z
      - .offset:         156
        .size:           2
        .value_kind:     hidden_group_size_x
      - .offset:         158
        .size:           2
        .value_kind:     hidden_group_size_y
      - .offset:         160
        .size:           2
        .value_kind:     hidden_group_size_z
      - .offset:         162
        .size:           2
        .value_kind:     hidden_remainder_x
      - .offset:         164
        .size:           2
        .value_kind:     hidden_remainder_y
      - .offset:         166
        .size:           2
        .value_kind:     hidden_remainder_z
      - .offset:         184
        .size:           8
        .value_kind:     hidden_global_offset_x
      - .offset:         192
        .size:           8
        .value_kind:     hidden_global_offset_y
      - .offset:         200
        .size:           8
        .value_kind:     hidden_global_offset_z
      - .offset:         208
        .size:           2
        .value_kind:     hidden_grid_dims
    .group_segment_fixed_size: 17472
    .kernarg_segment_align: 8
    .kernarg_segment_size: 400
    .language:       OpenCL C
    .language_version:
      - 2
      - 0
    .max_flat_workgroup_size: 256
    .name:           _Z39paged_attention_ll4mi_QKV_mfma16_kernelIDF16_DF16_LN4vllm18Fp8KVCacheDataTypeE0EDF16_Li32ELi64ELi256ELb0ELi4EL8MFMAType0EEvPKT_PKT0_S8_ifPKiSA_SA_iPKfiiiPfSD_PS3_PT2_iSC_SC_
    .private_segment_fixed_size: 0
    .sgpr_count:     41
    .sgpr_spill_count: 0
    .symbol:         _Z39paged_attention_ll4mi_QKV_mfma16_kernelIDF16_DF16_LN4vllm18Fp8KVCacheDataTypeE0EDF16_Li32ELi64ELi256ELb0ELi4EL8MFMAType0EEvPKT_PKT0_S8_ifPKiSA_SA_iPKfiiiPfSD_PS3_PT2_iSC_SC_.kd
    .uniform_work_group_size: 1
    .uses_dynamic_stack: false
    .vgpr_count:     154
    .vgpr_spill_count: 0
    .wavefront_size: 32
    .workgroup_processor_mode: 1
  - .args:
      - .actual_access:  read_only
        .address_space:  global
        .offset:         0
        .size:           8
        .value_kind:     global_buffer
      - .actual_access:  read_only
        .address_space:  global
        .offset:         8
        .size:           8
        .value_kind:     global_buffer
      - .actual_access:  read_only
        .address_space:  global
        .offset:         16
        .size:           8
        .value_kind:     global_buffer
      - .offset:         24
        .size:           4
        .value_kind:     by_value
      - .offset:         28
        .size:           4
        .value_kind:     by_value
      - .actual_access:  read_only
        .address_space:  global
        .offset:         32
        .size:           8
        .value_kind:     global_buffer
      - .actual_access:  read_only
        .address_space:  global
        .offset:         40
        .size:           8
        .value_kind:     global_buffer
      - .actual_access:  read_only
        .address_space:  global
        .offset:         48
        .size:           8
        .value_kind:     global_buffer
      - .offset:         56
        .size:           4
        .value_kind:     by_value
      - .actual_access:  read_only
        .address_space:  global
        .offset:         64
        .size:           8
        .value_kind:     global_buffer
      - .offset:         72
        .size:           4
        .value_kind:     by_value
      - .offset:         76
        .size:           4
        .value_kind:     by_value
      - .offset:         80
        .size:           4
        .value_kind:     by_value
      - .actual_access:  read_only
        .address_space:  global
        .offset:         88
        .size:           8
        .value_kind:     global_buffer
      - .actual_access:  read_only
        .address_space:  global
        .offset:         96
        .size:           8
        .value_kind:     global_buffer
      - .actual_access:  read_only
        .address_space:  global
        .offset:         104
        .size:           8
        .value_kind:     global_buffer
      - .actual_access:  read_only
        .address_space:  global
        .offset:         112
        .size:           8
        .value_kind:     global_buffer
      - .offset:         120
        .size:           4
        .value_kind:     by_value
      - .address_space:  global
        .offset:         128
        .size:           8
        .value_kind:     global_buffer
      - .address_space:  global
        .offset:         136
        .size:           8
        .value_kind:     global_buffer
      - .offset:         144
        .size:           4
        .value_kind:     hidden_block_count_x
      - .offset:         148
        .size:           4
        .value_kind:     hidden_block_count_y
      - .offset:         152
        .size:           4
        .value_kind:     hidden_block_count_z
      - .offset:         156
        .size:           2
        .value_kind:     hidden_group_size_x
      - .offset:         158
        .size:           2
        .value_kind:     hidden_group_size_y
      - .offset:         160
        .size:           2
        .value_kind:     hidden_group_size_z
      - .offset:         162
        .size:           2
        .value_kind:     hidden_remainder_x
      - .offset:         164
        .size:           2
        .value_kind:     hidden_remainder_y
      - .offset:         166
        .size:           2
        .value_kind:     hidden_remainder_z
      - .offset:         184
        .size:           8
        .value_kind:     hidden_global_offset_x
      - .offset:         192
        .size:           8
        .value_kind:     hidden_global_offset_y
      - .offset:         200
        .size:           8
        .value_kind:     hidden_global_offset_z
      - .offset:         208
        .size:           2
        .value_kind:     hidden_grid_dims
      - .offset:         224
        .size:           8
        .value_kind:     hidden_hostcall_buffer
    .group_segment_fixed_size: 0
    .kernarg_segment_align: 8
    .kernarg_segment_size: 400
    .language:       OpenCL C
    .language_version:
      - 2
      - 0
    .max_flat_workgroup_size: 256
    .name:           _Z38paged_attention_ll4mi_QKV_mfma4_kernelIDF16_DF16_LN4vllm18Fp8KVCacheDataTypeE0EhLi16ELi128ELi256ELb1ELi1EEvPKT_PKT0_S7_ifPKiS9_S9_iPKfiiiPfSC_PS2_PT2_iSB_SB_
    .private_segment_fixed_size: 64
    .sgpr_count:     36
    .sgpr_spill_count: 0
    .symbol:         _Z38paged_attention_ll4mi_QKV_mfma4_kernelIDF16_DF16_LN4vllm18Fp8KVCacheDataTypeE0EhLi16ELi128ELi256ELb1ELi1EEvPKT_PKT0_S7_ifPKiS9_S9_iPKfiiiPfSC_PS2_PT2_iSB_SB_.kd
    .uniform_work_group_size: 1
    .uses_dynamic_stack: false
    .vgpr_count:     41
    .vgpr_spill_count: 0
    .wavefront_size: 32
    .workgroup_processor_mode: 1
  - .args:
      - .actual_access:  read_only
        .address_space:  global
        .offset:         0
        .size:           8
        .value_kind:     global_buffer
      - .actual_access:  read_only
        .address_space:  global
        .offset:         8
        .size:           8
        .value_kind:     global_buffer
      - .actual_access:  read_only
        .address_space:  global
        .offset:         16
        .size:           8
        .value_kind:     global_buffer
      - .offset:         24
        .size:           4
        .value_kind:     by_value
      - .offset:         28
        .size:           4
        .value_kind:     by_value
      - .actual_access:  read_only
        .address_space:  global
        .offset:         32
        .size:           8
        .value_kind:     global_buffer
      - .actual_access:  read_only
        .address_space:  global
        .offset:         40
        .size:           8
        .value_kind:     global_buffer
      - .actual_access:  read_only
        .address_space:  global
        .offset:         48
        .size:           8
        .value_kind:     global_buffer
      - .offset:         56
        .size:           4
        .value_kind:     by_value
      - .actual_access:  read_only
        .address_space:  global
        .offset:         64
        .size:           8
        .value_kind:     global_buffer
      - .offset:         72
        .size:           4
        .value_kind:     by_value
      - .offset:         76
        .size:           4
        .value_kind:     by_value
      - .offset:         80
        .size:           4
        .value_kind:     by_value
      - .actual_access:  read_only
        .address_space:  global
        .offset:         88
        .size:           8
        .value_kind:     global_buffer
      - .actual_access:  read_only
        .address_space:  global
        .offset:         96
        .size:           8
        .value_kind:     global_buffer
      - .actual_access:  read_only
        .address_space:  global
        .offset:         104
        .size:           8
        .value_kind:     global_buffer
      - .actual_access:  read_only
        .address_space:  global
        .offset:         112
        .size:           8
        .value_kind:     global_buffer
      - .offset:         120
        .size:           4
        .value_kind:     by_value
      - .address_space:  global
        .offset:         128
        .size:           8
        .value_kind:     global_buffer
      - .address_space:  global
        .offset:         136
        .size:           8
        .value_kind:     global_buffer
      - .offset:         144
        .size:           4
        .value_kind:     hidden_block_count_x
      - .offset:         148
        .size:           4
        .value_kind:     hidden_block_count_y
      - .offset:         152
        .size:           4
        .value_kind:     hidden_block_count_z
      - .offset:         156
        .size:           2
        .value_kind:     hidden_group_size_x
      - .offset:         158
        .size:           2
        .value_kind:     hidden_group_size_y
      - .offset:         160
        .size:           2
        .value_kind:     hidden_group_size_z
      - .offset:         162
        .size:           2
        .value_kind:     hidden_remainder_x
      - .offset:         164
        .size:           2
        .value_kind:     hidden_remainder_y
      - .offset:         166
        .size:           2
        .value_kind:     hidden_remainder_z
      - .offset:         184
        .size:           8
        .value_kind:     hidden_global_offset_x
      - .offset:         192
        .size:           8
        .value_kind:     hidden_global_offset_y
      - .offset:         200
        .size:           8
        .value_kind:     hidden_global_offset_z
      - .offset:         208
        .size:           2
        .value_kind:     hidden_grid_dims
      - .offset:         224
        .size:           8
        .value_kind:     hidden_hostcall_buffer
    .group_segment_fixed_size: 0
    .kernarg_segment_align: 8
    .kernarg_segment_size: 400
    .language:       OpenCL C
    .language_version:
      - 2
      - 0
    .max_flat_workgroup_size: 256
    .name:           _Z38paged_attention_ll4mi_QKV_mfma4_kernelIDF16_DF16_LN4vllm18Fp8KVCacheDataTypeE0EhLi16ELi128ELi256ELb1ELi2EEvPKT_PKT0_S7_ifPKiS9_S9_iPKfiiiPfSC_PS2_PT2_iSB_SB_
    .private_segment_fixed_size: 64
    .sgpr_count:     36
    .sgpr_spill_count: 0
    .symbol:         _Z38paged_attention_ll4mi_QKV_mfma4_kernelIDF16_DF16_LN4vllm18Fp8KVCacheDataTypeE0EhLi16ELi128ELi256ELb1ELi2EEvPKT_PKT0_S7_ifPKiS9_S9_iPKfiiiPfSC_PS2_PT2_iSB_SB_.kd
    .uniform_work_group_size: 1
    .uses_dynamic_stack: false
    .vgpr_count:     41
    .vgpr_spill_count: 0
    .wavefront_size: 32
    .workgroup_processor_mode: 1
  - .args:
      - .actual_access:  read_only
        .address_space:  global
        .offset:         0
        .size:           8
        .value_kind:     global_buffer
      - .actual_access:  read_only
        .address_space:  global
        .offset:         8
        .size:           8
        .value_kind:     global_buffer
      - .actual_access:  read_only
        .address_space:  global
        .offset:         16
        .size:           8
        .value_kind:     global_buffer
      - .offset:         24
        .size:           4
        .value_kind:     by_value
      - .offset:         28
        .size:           4
        .value_kind:     by_value
      - .actual_access:  read_only
        .address_space:  global
        .offset:         32
        .size:           8
        .value_kind:     global_buffer
      - .actual_access:  read_only
        .address_space:  global
        .offset:         40
        .size:           8
        .value_kind:     global_buffer
      - .actual_access:  read_only
        .address_space:  global
        .offset:         48
        .size:           8
        .value_kind:     global_buffer
      - .offset:         56
        .size:           4
        .value_kind:     by_value
      - .actual_access:  read_only
        .address_space:  global
        .offset:         64
        .size:           8
        .value_kind:     global_buffer
      - .offset:         72
        .size:           4
        .value_kind:     by_value
      - .offset:         76
        .size:           4
        .value_kind:     by_value
      - .offset:         80
        .size:           4
        .value_kind:     by_value
      - .actual_access:  read_only
        .address_space:  global
        .offset:         88
        .size:           8
        .value_kind:     global_buffer
      - .actual_access:  read_only
        .address_space:  global
        .offset:         96
        .size:           8
        .value_kind:     global_buffer
      - .actual_access:  read_only
        .address_space:  global
        .offset:         104
        .size:           8
        .value_kind:     global_buffer
      - .actual_access:  read_only
        .address_space:  global
        .offset:         112
        .size:           8
        .value_kind:     global_buffer
      - .offset:         120
        .size:           4
        .value_kind:     by_value
      - .address_space:  global
        .offset:         128
        .size:           8
        .value_kind:     global_buffer
      - .address_space:  global
        .offset:         136
        .size:           8
        .value_kind:     global_buffer
      - .offset:         144
        .size:           4
        .value_kind:     hidden_block_count_x
      - .offset:         148
        .size:           4
        .value_kind:     hidden_block_count_y
      - .offset:         152
        .size:           4
        .value_kind:     hidden_block_count_z
      - .offset:         156
        .size:           2
        .value_kind:     hidden_group_size_x
      - .offset:         158
        .size:           2
        .value_kind:     hidden_group_size_y
      - .offset:         160
        .size:           2
        .value_kind:     hidden_group_size_z
      - .offset:         162
        .size:           2
        .value_kind:     hidden_remainder_x
      - .offset:         164
        .size:           2
        .value_kind:     hidden_remainder_y
      - .offset:         166
        .size:           2
        .value_kind:     hidden_remainder_z
      - .offset:         184
        .size:           8
        .value_kind:     hidden_global_offset_x
      - .offset:         192
        .size:           8
        .value_kind:     hidden_global_offset_y
      - .offset:         200
        .size:           8
        .value_kind:     hidden_global_offset_z
      - .offset:         208
        .size:           2
        .value_kind:     hidden_grid_dims
      - .offset:         224
        .size:           8
        .value_kind:     hidden_hostcall_buffer
    .group_segment_fixed_size: 0
    .kernarg_segment_align: 8
    .kernarg_segment_size: 400
    .language:       OpenCL C
    .language_version:
      - 2
      - 0
    .max_flat_workgroup_size: 256
    .name:           _Z38paged_attention_ll4mi_QKV_mfma4_kernelIDF16_DF16_LN4vllm18Fp8KVCacheDataTypeE0EhLi16ELi128ELi256ELb1ELi3EEvPKT_PKT0_S7_ifPKiS9_S9_iPKfiiiPfSC_PS2_PT2_iSB_SB_
    .private_segment_fixed_size: 64
    .sgpr_count:     36
    .sgpr_spill_count: 0
    .symbol:         _Z38paged_attention_ll4mi_QKV_mfma4_kernelIDF16_DF16_LN4vllm18Fp8KVCacheDataTypeE0EhLi16ELi128ELi256ELb1ELi3EEvPKT_PKT0_S7_ifPKiS9_S9_iPKfiiiPfSC_PS2_PT2_iSB_SB_.kd
    .uniform_work_group_size: 1
    .uses_dynamic_stack: false
    .vgpr_count:     41
    .vgpr_spill_count: 0
    .wavefront_size: 32
    .workgroup_processor_mode: 1
  - .args:
      - .actual_access:  read_only
        .address_space:  global
        .offset:         0
        .size:           8
        .value_kind:     global_buffer
      - .actual_access:  read_only
        .address_space:  global
        .offset:         8
        .size:           8
        .value_kind:     global_buffer
      - .actual_access:  read_only
        .address_space:  global
        .offset:         16
        .size:           8
        .value_kind:     global_buffer
      - .offset:         24
        .size:           4
        .value_kind:     by_value
      - .offset:         28
        .size:           4
        .value_kind:     by_value
      - .actual_access:  read_only
        .address_space:  global
        .offset:         32
        .size:           8
        .value_kind:     global_buffer
      - .actual_access:  read_only
        .address_space:  global
        .offset:         40
        .size:           8
        .value_kind:     global_buffer
      - .actual_access:  read_only
        .address_space:  global
        .offset:         48
        .size:           8
        .value_kind:     global_buffer
      - .offset:         56
        .size:           4
        .value_kind:     by_value
      - .actual_access:  read_only
        .address_space:  global
        .offset:         64
        .size:           8
        .value_kind:     global_buffer
      - .offset:         72
        .size:           4
        .value_kind:     by_value
      - .offset:         76
        .size:           4
        .value_kind:     by_value
      - .offset:         80
        .size:           4
        .value_kind:     by_value
      - .actual_access:  read_only
        .address_space:  global
        .offset:         88
        .size:           8
        .value_kind:     global_buffer
      - .actual_access:  read_only
        .address_space:  global
        .offset:         96
        .size:           8
        .value_kind:     global_buffer
      - .actual_access:  read_only
        .address_space:  global
        .offset:         104
        .size:           8
        .value_kind:     global_buffer
      - .actual_access:  read_only
        .address_space:  global
        .offset:         112
        .size:           8
        .value_kind:     global_buffer
      - .offset:         120
        .size:           4
        .value_kind:     by_value
      - .address_space:  global
        .offset:         128
        .size:           8
        .value_kind:     global_buffer
      - .address_space:  global
        .offset:         136
        .size:           8
        .value_kind:     global_buffer
      - .offset:         144
        .size:           4
        .value_kind:     hidden_block_count_x
      - .offset:         148
        .size:           4
        .value_kind:     hidden_block_count_y
      - .offset:         152
        .size:           4
        .value_kind:     hidden_block_count_z
      - .offset:         156
        .size:           2
        .value_kind:     hidden_group_size_x
      - .offset:         158
        .size:           2
        .value_kind:     hidden_group_size_y
      - .offset:         160
        .size:           2
        .value_kind:     hidden_group_size_z
      - .offset:         162
        .size:           2
        .value_kind:     hidden_remainder_x
      - .offset:         164
        .size:           2
        .value_kind:     hidden_remainder_y
      - .offset:         166
        .size:           2
        .value_kind:     hidden_remainder_z
      - .offset:         184
        .size:           8
        .value_kind:     hidden_global_offset_x
      - .offset:         192
        .size:           8
        .value_kind:     hidden_global_offset_y
      - .offset:         200
        .size:           8
        .value_kind:     hidden_global_offset_z
      - .offset:         208
        .size:           2
        .value_kind:     hidden_grid_dims
      - .offset:         224
        .size:           8
        .value_kind:     hidden_hostcall_buffer
    .group_segment_fixed_size: 0
    .kernarg_segment_align: 8
    .kernarg_segment_size: 400
    .language:       OpenCL C
    .language_version:
      - 2
      - 0
    .max_flat_workgroup_size: 256
    .name:           _Z38paged_attention_ll4mi_QKV_mfma4_kernelIDF16_DF16_LN4vllm18Fp8KVCacheDataTypeE0EhLi16ELi128ELi256ELb1ELi4EEvPKT_PKT0_S7_ifPKiS9_S9_iPKfiiiPfSC_PS2_PT2_iSB_SB_
    .private_segment_fixed_size: 64
    .sgpr_count:     36
    .sgpr_spill_count: 0
    .symbol:         _Z38paged_attention_ll4mi_QKV_mfma4_kernelIDF16_DF16_LN4vllm18Fp8KVCacheDataTypeE0EhLi16ELi128ELi256ELb1ELi4EEvPKT_PKT0_S7_ifPKiS9_S9_iPKfiiiPfSC_PS2_PT2_iSB_SB_.kd
    .uniform_work_group_size: 1
    .uses_dynamic_stack: false
    .vgpr_count:     41
    .vgpr_spill_count: 0
    .wavefront_size: 32
    .workgroup_processor_mode: 1
  - .args:
      - .actual_access:  read_only
        .address_space:  global
        .offset:         0
        .size:           8
        .value_kind:     global_buffer
      - .actual_access:  read_only
        .address_space:  global
        .offset:         8
        .size:           8
        .value_kind:     global_buffer
      - .actual_access:  read_only
        .address_space:  global
        .offset:         16
        .size:           8
        .value_kind:     global_buffer
      - .offset:         24
        .size:           4
        .value_kind:     by_value
      - .offset:         28
        .size:           4
        .value_kind:     by_value
      - .actual_access:  read_only
        .address_space:  global
        .offset:         32
        .size:           8
        .value_kind:     global_buffer
      - .actual_access:  read_only
        .address_space:  global
        .offset:         40
        .size:           8
        .value_kind:     global_buffer
      - .actual_access:  read_only
        .address_space:  global
        .offset:         48
        .size:           8
        .value_kind:     global_buffer
      - .offset:         56
        .size:           4
        .value_kind:     by_value
      - .actual_access:  read_only
        .address_space:  global
        .offset:         64
        .size:           8
        .value_kind:     global_buffer
      - .offset:         72
        .size:           4
        .value_kind:     by_value
      - .offset:         76
        .size:           4
        .value_kind:     by_value
      - .offset:         80
        .size:           4
        .value_kind:     by_value
      - .actual_access:  write_only
        .address_space:  global
        .offset:         88
        .size:           8
        .value_kind:     global_buffer
      - .actual_access:  write_only
        .address_space:  global
        .offset:         96
        .size:           8
        .value_kind:     global_buffer
      - .actual_access:  write_only
        .address_space:  global
        .offset:         104
        .size:           8
        .value_kind:     global_buffer
      - .actual_access:  read_only
        .address_space:  global
        .offset:         112
        .size:           8
        .value_kind:     global_buffer
      - .offset:         120
        .size:           4
        .value_kind:     by_value
      - .address_space:  global
        .offset:         128
        .size:           8
        .value_kind:     global_buffer
      - .address_space:  global
        .offset:         136
        .size:           8
        .value_kind:     global_buffer
      - .offset:         144
        .size:           4
        .value_kind:     hidden_block_count_x
      - .offset:         148
        .size:           4
        .value_kind:     hidden_block_count_y
      - .offset:         152
        .size:           4
        .value_kind:     hidden_block_count_z
      - .offset:         156
        .size:           2
        .value_kind:     hidden_group_size_x
      - .offset:         158
        .size:           2
        .value_kind:     hidden_group_size_y
      - .offset:         160
        .size:           2
        .value_kind:     hidden_group_size_z
      - .offset:         162
        .size:           2
        .value_kind:     hidden_remainder_x
      - .offset:         164
        .size:           2
        .value_kind:     hidden_remainder_y
      - .offset:         166
        .size:           2
        .value_kind:     hidden_remainder_z
      - .offset:         184
        .size:           8
        .value_kind:     hidden_global_offset_x
      - .offset:         192
        .size:           8
        .value_kind:     hidden_global_offset_y
      - .offset:         200
        .size:           8
        .value_kind:     hidden_global_offset_z
      - .offset:         208
        .size:           2
        .value_kind:     hidden_grid_dims
    .group_segment_fixed_size: 17472
    .kernarg_segment_align: 8
    .kernarg_segment_size: 400
    .language:       OpenCL C
    .language_version:
      - 2
      - 0
    .max_flat_workgroup_size: 256
    .name:           _Z39paged_attention_ll4mi_QKV_mfma16_kernelIDF16_DF16_LN4vllm18Fp8KVCacheDataTypeE0EhLi16ELi128ELi256ELb1ELi5EL8MFMAType0EEvPKT_PKT0_S8_ifPKiSA_SA_iPKfiiiPfSD_PS3_PT2_iSC_SC_
    .private_segment_fixed_size: 0
    .sgpr_count:     54
    .sgpr_spill_count: 0
    .symbol:         _Z39paged_attention_ll4mi_QKV_mfma16_kernelIDF16_DF16_LN4vllm18Fp8KVCacheDataTypeE0EhLi16ELi128ELi256ELb1ELi5EL8MFMAType0EEvPKT_PKT0_S8_ifPKiSA_SA_iPKfiiiPfSD_PS3_PT2_iSC_SC_.kd
    .uniform_work_group_size: 1
    .uses_dynamic_stack: false
    .vgpr_count:     218
    .vgpr_spill_count: 0
    .wavefront_size: 32
    .workgroup_processor_mode: 1
  - .args:
      - .actual_access:  read_only
        .address_space:  global
        .offset:         0
        .size:           8
        .value_kind:     global_buffer
      - .actual_access:  read_only
        .address_space:  global
        .offset:         8
        .size:           8
        .value_kind:     global_buffer
      - .actual_access:  read_only
        .address_space:  global
        .offset:         16
        .size:           8
        .value_kind:     global_buffer
      - .offset:         24
        .size:           4
        .value_kind:     by_value
      - .offset:         28
        .size:           4
        .value_kind:     by_value
      - .actual_access:  read_only
        .address_space:  global
        .offset:         32
        .size:           8
        .value_kind:     global_buffer
      - .actual_access:  read_only
        .address_space:  global
        .offset:         40
        .size:           8
        .value_kind:     global_buffer
      - .actual_access:  read_only
        .address_space:  global
        .offset:         48
        .size:           8
        .value_kind:     global_buffer
      - .offset:         56
        .size:           4
        .value_kind:     by_value
      - .actual_access:  read_only
        .address_space:  global
        .offset:         64
        .size:           8
        .value_kind:     global_buffer
      - .offset:         72
        .size:           4
        .value_kind:     by_value
      - .offset:         76
        .size:           4
        .value_kind:     by_value
      - .offset:         80
        .size:           4
        .value_kind:     by_value
      - .actual_access:  write_only
        .address_space:  global
        .offset:         88
        .size:           8
        .value_kind:     global_buffer
      - .actual_access:  write_only
        .address_space:  global
        .offset:         96
        .size:           8
        .value_kind:     global_buffer
      - .actual_access:  write_only
        .address_space:  global
        .offset:         104
        .size:           8
        .value_kind:     global_buffer
      - .actual_access:  read_only
        .address_space:  global
        .offset:         112
        .size:           8
        .value_kind:     global_buffer
      - .offset:         120
        .size:           4
        .value_kind:     by_value
      - .address_space:  global
        .offset:         128
        .size:           8
        .value_kind:     global_buffer
      - .address_space:  global
        .offset:         136
        .size:           8
        .value_kind:     global_buffer
      - .offset:         144
        .size:           4
        .value_kind:     hidden_block_count_x
      - .offset:         148
        .size:           4
        .value_kind:     hidden_block_count_y
      - .offset:         152
        .size:           4
        .value_kind:     hidden_block_count_z
      - .offset:         156
        .size:           2
        .value_kind:     hidden_group_size_x
      - .offset:         158
        .size:           2
        .value_kind:     hidden_group_size_y
      - .offset:         160
        .size:           2
        .value_kind:     hidden_group_size_z
      - .offset:         162
        .size:           2
        .value_kind:     hidden_remainder_x
      - .offset:         164
        .size:           2
        .value_kind:     hidden_remainder_y
      - .offset:         166
        .size:           2
        .value_kind:     hidden_remainder_z
      - .offset:         184
        .size:           8
        .value_kind:     hidden_global_offset_x
      - .offset:         192
        .size:           8
        .value_kind:     hidden_global_offset_y
      - .offset:         200
        .size:           8
        .value_kind:     hidden_global_offset_z
      - .offset:         208
        .size:           2
        .value_kind:     hidden_grid_dims
    .group_segment_fixed_size: 17472
    .kernarg_segment_align: 8
    .kernarg_segment_size: 400
    .language:       OpenCL C
    .language_version:
      - 2
      - 0
    .max_flat_workgroup_size: 256
    .name:           _Z39paged_attention_ll4mi_QKV_mfma16_kernelIDF16_DF16_LN4vllm18Fp8KVCacheDataTypeE0EhLi16ELi128ELi256ELb1ELi6EL8MFMAType0EEvPKT_PKT0_S8_ifPKiSA_SA_iPKfiiiPfSD_PS3_PT2_iSC_SC_
    .private_segment_fixed_size: 0
    .sgpr_count:     54
    .sgpr_spill_count: 0
    .symbol:         _Z39paged_attention_ll4mi_QKV_mfma16_kernelIDF16_DF16_LN4vllm18Fp8KVCacheDataTypeE0EhLi16ELi128ELi256ELb1ELi6EL8MFMAType0EEvPKT_PKT0_S8_ifPKiSA_SA_iPKfiiiPfSD_PS3_PT2_iSC_SC_.kd
    .uniform_work_group_size: 1
    .uses_dynamic_stack: false
    .vgpr_count:     218
    .vgpr_spill_count: 0
    .wavefront_size: 32
    .workgroup_processor_mode: 1
  - .args:
      - .actual_access:  read_only
        .address_space:  global
        .offset:         0
        .size:           8
        .value_kind:     global_buffer
      - .actual_access:  read_only
        .address_space:  global
        .offset:         8
        .size:           8
        .value_kind:     global_buffer
      - .actual_access:  read_only
        .address_space:  global
        .offset:         16
        .size:           8
        .value_kind:     global_buffer
      - .offset:         24
        .size:           4
        .value_kind:     by_value
      - .offset:         28
        .size:           4
        .value_kind:     by_value
      - .actual_access:  read_only
        .address_space:  global
        .offset:         32
        .size:           8
        .value_kind:     global_buffer
      - .actual_access:  read_only
        .address_space:  global
        .offset:         40
        .size:           8
        .value_kind:     global_buffer
      - .actual_access:  read_only
        .address_space:  global
        .offset:         48
        .size:           8
        .value_kind:     global_buffer
      - .offset:         56
        .size:           4
        .value_kind:     by_value
      - .actual_access:  read_only
        .address_space:  global
        .offset:         64
        .size:           8
        .value_kind:     global_buffer
      - .offset:         72
        .size:           4
        .value_kind:     by_value
      - .offset:         76
        .size:           4
        .value_kind:     by_value
      - .offset:         80
        .size:           4
        .value_kind:     by_value
      - .actual_access:  write_only
        .address_space:  global
        .offset:         88
        .size:           8
        .value_kind:     global_buffer
      - .actual_access:  write_only
        .address_space:  global
        .offset:         96
        .size:           8
        .value_kind:     global_buffer
      - .actual_access:  write_only
        .address_space:  global
        .offset:         104
        .size:           8
        .value_kind:     global_buffer
      - .actual_access:  read_only
        .address_space:  global
        .offset:         112
        .size:           8
        .value_kind:     global_buffer
      - .offset:         120
        .size:           4
        .value_kind:     by_value
      - .address_space:  global
        .offset:         128
        .size:           8
        .value_kind:     global_buffer
      - .address_space:  global
        .offset:         136
        .size:           8
        .value_kind:     global_buffer
      - .offset:         144
        .size:           4
        .value_kind:     hidden_block_count_x
      - .offset:         148
        .size:           4
        .value_kind:     hidden_block_count_y
      - .offset:         152
        .size:           4
        .value_kind:     hidden_block_count_z
      - .offset:         156
        .size:           2
        .value_kind:     hidden_group_size_x
      - .offset:         158
        .size:           2
        .value_kind:     hidden_group_size_y
      - .offset:         160
        .size:           2
        .value_kind:     hidden_group_size_z
      - .offset:         162
        .size:           2
        .value_kind:     hidden_remainder_x
      - .offset:         164
        .size:           2
        .value_kind:     hidden_remainder_y
      - .offset:         166
        .size:           2
        .value_kind:     hidden_remainder_z
      - .offset:         184
        .size:           8
        .value_kind:     hidden_global_offset_x
      - .offset:         192
        .size:           8
        .value_kind:     hidden_global_offset_y
      - .offset:         200
        .size:           8
        .value_kind:     hidden_global_offset_z
      - .offset:         208
        .size:           2
        .value_kind:     hidden_grid_dims
    .group_segment_fixed_size: 17472
    .kernarg_segment_align: 8
    .kernarg_segment_size: 400
    .language:       OpenCL C
    .language_version:
      - 2
      - 0
    .max_flat_workgroup_size: 256
    .name:           _Z39paged_attention_ll4mi_QKV_mfma16_kernelIDF16_DF16_LN4vllm18Fp8KVCacheDataTypeE0EhLi16ELi128ELi256ELb1ELi7EL8MFMAType0EEvPKT_PKT0_S8_ifPKiSA_SA_iPKfiiiPfSD_PS3_PT2_iSC_SC_
    .private_segment_fixed_size: 0
    .sgpr_count:     54
    .sgpr_spill_count: 0
    .symbol:         _Z39paged_attention_ll4mi_QKV_mfma16_kernelIDF16_DF16_LN4vllm18Fp8KVCacheDataTypeE0EhLi16ELi128ELi256ELb1ELi7EL8MFMAType0EEvPKT_PKT0_S8_ifPKiSA_SA_iPKfiiiPfSD_PS3_PT2_iSC_SC_.kd
    .uniform_work_group_size: 1
    .uses_dynamic_stack: false
    .vgpr_count:     218
    .vgpr_spill_count: 0
    .wavefront_size: 32
    .workgroup_processor_mode: 1
  - .args:
      - .actual_access:  read_only
        .address_space:  global
        .offset:         0
        .size:           8
        .value_kind:     global_buffer
      - .actual_access:  read_only
        .address_space:  global
        .offset:         8
        .size:           8
        .value_kind:     global_buffer
      - .actual_access:  read_only
        .address_space:  global
        .offset:         16
        .size:           8
        .value_kind:     global_buffer
      - .offset:         24
        .size:           4
        .value_kind:     by_value
      - .offset:         28
        .size:           4
        .value_kind:     by_value
      - .actual_access:  read_only
        .address_space:  global
        .offset:         32
        .size:           8
        .value_kind:     global_buffer
      - .actual_access:  read_only
        .address_space:  global
        .offset:         40
        .size:           8
        .value_kind:     global_buffer
      - .actual_access:  read_only
        .address_space:  global
        .offset:         48
        .size:           8
        .value_kind:     global_buffer
      - .offset:         56
        .size:           4
        .value_kind:     by_value
      - .actual_access:  read_only
        .address_space:  global
        .offset:         64
        .size:           8
        .value_kind:     global_buffer
      - .offset:         72
        .size:           4
        .value_kind:     by_value
      - .offset:         76
        .size:           4
        .value_kind:     by_value
      - .offset:         80
        .size:           4
        .value_kind:     by_value
      - .actual_access:  write_only
        .address_space:  global
        .offset:         88
        .size:           8
        .value_kind:     global_buffer
      - .actual_access:  write_only
        .address_space:  global
        .offset:         96
        .size:           8
        .value_kind:     global_buffer
      - .actual_access:  write_only
        .address_space:  global
        .offset:         104
        .size:           8
        .value_kind:     global_buffer
      - .actual_access:  read_only
        .address_space:  global
        .offset:         112
        .size:           8
        .value_kind:     global_buffer
      - .offset:         120
        .size:           4
        .value_kind:     by_value
      - .address_space:  global
        .offset:         128
        .size:           8
        .value_kind:     global_buffer
      - .address_space:  global
        .offset:         136
        .size:           8
        .value_kind:     global_buffer
      - .offset:         144
        .size:           4
        .value_kind:     hidden_block_count_x
      - .offset:         148
        .size:           4
        .value_kind:     hidden_block_count_y
      - .offset:         152
        .size:           4
        .value_kind:     hidden_block_count_z
      - .offset:         156
        .size:           2
        .value_kind:     hidden_group_size_x
      - .offset:         158
        .size:           2
        .value_kind:     hidden_group_size_y
      - .offset:         160
        .size:           2
        .value_kind:     hidden_group_size_z
      - .offset:         162
        .size:           2
        .value_kind:     hidden_remainder_x
      - .offset:         164
        .size:           2
        .value_kind:     hidden_remainder_y
      - .offset:         166
        .size:           2
        .value_kind:     hidden_remainder_z
      - .offset:         184
        .size:           8
        .value_kind:     hidden_global_offset_x
      - .offset:         192
        .size:           8
        .value_kind:     hidden_global_offset_y
      - .offset:         200
        .size:           8
        .value_kind:     hidden_global_offset_z
      - .offset:         208
        .size:           2
        .value_kind:     hidden_grid_dims
    .group_segment_fixed_size: 17472
    .kernarg_segment_align: 8
    .kernarg_segment_size: 400
    .language:       OpenCL C
    .language_version:
      - 2
      - 0
    .max_flat_workgroup_size: 256
    .name:           _Z39paged_attention_ll4mi_QKV_mfma16_kernelIDF16_DF16_LN4vllm18Fp8KVCacheDataTypeE0EhLi16ELi128ELi256ELb1ELi8EL8MFMAType0EEvPKT_PKT0_S8_ifPKiSA_SA_iPKfiiiPfSD_PS3_PT2_iSC_SC_
    .private_segment_fixed_size: 0
    .sgpr_count:     54
    .sgpr_spill_count: 0
    .symbol:         _Z39paged_attention_ll4mi_QKV_mfma16_kernelIDF16_DF16_LN4vllm18Fp8KVCacheDataTypeE0EhLi16ELi128ELi256ELb1ELi8EL8MFMAType0EEvPKT_PKT0_S8_ifPKiSA_SA_iPKfiiiPfSD_PS3_PT2_iSC_SC_.kd
    .uniform_work_group_size: 1
    .uses_dynamic_stack: false
    .vgpr_count:     218
    .vgpr_spill_count: 0
    .wavefront_size: 32
    .workgroup_processor_mode: 1
  - .args:
      - .actual_access:  read_only
        .address_space:  global
        .offset:         0
        .size:           8
        .value_kind:     global_buffer
      - .actual_access:  read_only
        .address_space:  global
        .offset:         8
        .size:           8
        .value_kind:     global_buffer
      - .actual_access:  read_only
        .address_space:  global
        .offset:         16
        .size:           8
        .value_kind:     global_buffer
      - .offset:         24
        .size:           4
        .value_kind:     by_value
      - .offset:         28
        .size:           4
        .value_kind:     by_value
      - .actual_access:  read_only
        .address_space:  global
        .offset:         32
        .size:           8
        .value_kind:     global_buffer
      - .actual_access:  read_only
        .address_space:  global
        .offset:         40
        .size:           8
        .value_kind:     global_buffer
      - .actual_access:  read_only
        .address_space:  global
        .offset:         48
        .size:           8
        .value_kind:     global_buffer
      - .offset:         56
        .size:           4
        .value_kind:     by_value
      - .actual_access:  read_only
        .address_space:  global
        .offset:         64
        .size:           8
        .value_kind:     global_buffer
      - .offset:         72
        .size:           4
        .value_kind:     by_value
      - .offset:         76
        .size:           4
        .value_kind:     by_value
      - .offset:         80
        .size:           4
        .value_kind:     by_value
      - .actual_access:  write_only
        .address_space:  global
        .offset:         88
        .size:           8
        .value_kind:     global_buffer
      - .actual_access:  write_only
        .address_space:  global
        .offset:         96
        .size:           8
        .value_kind:     global_buffer
      - .actual_access:  write_only
        .address_space:  global
        .offset:         104
        .size:           8
        .value_kind:     global_buffer
      - .actual_access:  read_only
        .address_space:  global
        .offset:         112
        .size:           8
        .value_kind:     global_buffer
      - .offset:         120
        .size:           4
        .value_kind:     by_value
      - .address_space:  global
        .offset:         128
        .size:           8
        .value_kind:     global_buffer
      - .address_space:  global
        .offset:         136
        .size:           8
        .value_kind:     global_buffer
      - .offset:         144
        .size:           4
        .value_kind:     hidden_block_count_x
      - .offset:         148
        .size:           4
        .value_kind:     hidden_block_count_y
      - .offset:         152
        .size:           4
        .value_kind:     hidden_block_count_z
      - .offset:         156
        .size:           2
        .value_kind:     hidden_group_size_x
      - .offset:         158
        .size:           2
        .value_kind:     hidden_group_size_y
      - .offset:         160
        .size:           2
        .value_kind:     hidden_group_size_z
      - .offset:         162
        .size:           2
        .value_kind:     hidden_remainder_x
      - .offset:         164
        .size:           2
        .value_kind:     hidden_remainder_y
      - .offset:         166
        .size:           2
        .value_kind:     hidden_remainder_z
      - .offset:         184
        .size:           8
        .value_kind:     hidden_global_offset_x
      - .offset:         192
        .size:           8
        .value_kind:     hidden_global_offset_y
      - .offset:         200
        .size:           8
        .value_kind:     hidden_global_offset_z
      - .offset:         208
        .size:           2
        .value_kind:     hidden_grid_dims
    .group_segment_fixed_size: 17472
    .kernarg_segment_align: 8
    .kernarg_segment_size: 400
    .language:       OpenCL C
    .language_version:
      - 2
      - 0
    .max_flat_workgroup_size: 256
    .name:           _Z39paged_attention_ll4mi_QKV_mfma16_kernelIDF16_DF16_LN4vllm18Fp8KVCacheDataTypeE0EhLi16ELi128ELi256ELb1ELi9EL8MFMAType0EEvPKT_PKT0_S8_ifPKiSA_SA_iPKfiiiPfSD_PS3_PT2_iSC_SC_
    .private_segment_fixed_size: 0
    .sgpr_count:     54
    .sgpr_spill_count: 0
    .symbol:         _Z39paged_attention_ll4mi_QKV_mfma16_kernelIDF16_DF16_LN4vllm18Fp8KVCacheDataTypeE0EhLi16ELi128ELi256ELb1ELi9EL8MFMAType0EEvPKT_PKT0_S8_ifPKiSA_SA_iPKfiiiPfSD_PS3_PT2_iSC_SC_.kd
    .uniform_work_group_size: 1
    .uses_dynamic_stack: false
    .vgpr_count:     218
    .vgpr_spill_count: 0
    .wavefront_size: 32
    .workgroup_processor_mode: 1
  - .args:
      - .actual_access:  read_only
        .address_space:  global
        .offset:         0
        .size:           8
        .value_kind:     global_buffer
      - .actual_access:  read_only
        .address_space:  global
        .offset:         8
        .size:           8
        .value_kind:     global_buffer
      - .actual_access:  read_only
        .address_space:  global
        .offset:         16
        .size:           8
        .value_kind:     global_buffer
      - .offset:         24
        .size:           4
        .value_kind:     by_value
      - .offset:         28
        .size:           4
        .value_kind:     by_value
      - .actual_access:  read_only
        .address_space:  global
        .offset:         32
        .size:           8
        .value_kind:     global_buffer
      - .actual_access:  read_only
        .address_space:  global
        .offset:         40
        .size:           8
        .value_kind:     global_buffer
      - .actual_access:  read_only
        .address_space:  global
        .offset:         48
        .size:           8
        .value_kind:     global_buffer
      - .offset:         56
        .size:           4
        .value_kind:     by_value
      - .actual_access:  read_only
        .address_space:  global
        .offset:         64
        .size:           8
        .value_kind:     global_buffer
      - .offset:         72
        .size:           4
        .value_kind:     by_value
      - .offset:         76
        .size:           4
        .value_kind:     by_value
      - .offset:         80
        .size:           4
        .value_kind:     by_value
      - .actual_access:  write_only
        .address_space:  global
        .offset:         88
        .size:           8
        .value_kind:     global_buffer
      - .actual_access:  write_only
        .address_space:  global
        .offset:         96
        .size:           8
        .value_kind:     global_buffer
      - .actual_access:  write_only
        .address_space:  global
        .offset:         104
        .size:           8
        .value_kind:     global_buffer
      - .actual_access:  read_only
        .address_space:  global
        .offset:         112
        .size:           8
        .value_kind:     global_buffer
      - .offset:         120
        .size:           4
        .value_kind:     by_value
      - .address_space:  global
        .offset:         128
        .size:           8
        .value_kind:     global_buffer
      - .address_space:  global
        .offset:         136
        .size:           8
        .value_kind:     global_buffer
      - .offset:         144
        .size:           4
        .value_kind:     hidden_block_count_x
      - .offset:         148
        .size:           4
        .value_kind:     hidden_block_count_y
      - .offset:         152
        .size:           4
        .value_kind:     hidden_block_count_z
      - .offset:         156
        .size:           2
        .value_kind:     hidden_group_size_x
      - .offset:         158
        .size:           2
        .value_kind:     hidden_group_size_y
      - .offset:         160
        .size:           2
        .value_kind:     hidden_group_size_z
      - .offset:         162
        .size:           2
        .value_kind:     hidden_remainder_x
      - .offset:         164
        .size:           2
        .value_kind:     hidden_remainder_y
      - .offset:         166
        .size:           2
        .value_kind:     hidden_remainder_z
      - .offset:         184
        .size:           8
        .value_kind:     hidden_global_offset_x
      - .offset:         192
        .size:           8
        .value_kind:     hidden_global_offset_y
      - .offset:         200
        .size:           8
        .value_kind:     hidden_global_offset_z
      - .offset:         208
        .size:           2
        .value_kind:     hidden_grid_dims
    .group_segment_fixed_size: 17472
    .kernarg_segment_align: 8
    .kernarg_segment_size: 400
    .language:       OpenCL C
    .language_version:
      - 2
      - 0
    .max_flat_workgroup_size: 256
    .name:           _Z39paged_attention_ll4mi_QKV_mfma16_kernelIDF16_DF16_LN4vllm18Fp8KVCacheDataTypeE0EhLi16ELi128ELi256ELb1ELi10EL8MFMAType0EEvPKT_PKT0_S8_ifPKiSA_SA_iPKfiiiPfSD_PS3_PT2_iSC_SC_
    .private_segment_fixed_size: 0
    .sgpr_count:     54
    .sgpr_spill_count: 0
    .symbol:         _Z39paged_attention_ll4mi_QKV_mfma16_kernelIDF16_DF16_LN4vllm18Fp8KVCacheDataTypeE0EhLi16ELi128ELi256ELb1ELi10EL8MFMAType0EEvPKT_PKT0_S8_ifPKiSA_SA_iPKfiiiPfSD_PS3_PT2_iSC_SC_.kd
    .uniform_work_group_size: 1
    .uses_dynamic_stack: false
    .vgpr_count:     218
    .vgpr_spill_count: 0
    .wavefront_size: 32
    .workgroup_processor_mode: 1
  - .args:
      - .actual_access:  read_only
        .address_space:  global
        .offset:         0
        .size:           8
        .value_kind:     global_buffer
      - .actual_access:  read_only
        .address_space:  global
        .offset:         8
        .size:           8
        .value_kind:     global_buffer
      - .actual_access:  read_only
        .address_space:  global
        .offset:         16
        .size:           8
        .value_kind:     global_buffer
      - .offset:         24
        .size:           4
        .value_kind:     by_value
      - .offset:         28
        .size:           4
        .value_kind:     by_value
      - .actual_access:  read_only
        .address_space:  global
        .offset:         32
        .size:           8
        .value_kind:     global_buffer
      - .actual_access:  read_only
        .address_space:  global
        .offset:         40
        .size:           8
        .value_kind:     global_buffer
      - .actual_access:  read_only
        .address_space:  global
        .offset:         48
        .size:           8
        .value_kind:     global_buffer
      - .offset:         56
        .size:           4
        .value_kind:     by_value
      - .actual_access:  read_only
        .address_space:  global
        .offset:         64
        .size:           8
        .value_kind:     global_buffer
      - .offset:         72
        .size:           4
        .value_kind:     by_value
      - .offset:         76
        .size:           4
        .value_kind:     by_value
      - .offset:         80
        .size:           4
        .value_kind:     by_value
      - .actual_access:  write_only
        .address_space:  global
        .offset:         88
        .size:           8
        .value_kind:     global_buffer
      - .actual_access:  write_only
        .address_space:  global
        .offset:         96
        .size:           8
        .value_kind:     global_buffer
      - .actual_access:  write_only
        .address_space:  global
        .offset:         104
        .size:           8
        .value_kind:     global_buffer
      - .actual_access:  read_only
        .address_space:  global
        .offset:         112
        .size:           8
        .value_kind:     global_buffer
      - .offset:         120
        .size:           4
        .value_kind:     by_value
      - .address_space:  global
        .offset:         128
        .size:           8
        .value_kind:     global_buffer
      - .address_space:  global
        .offset:         136
        .size:           8
        .value_kind:     global_buffer
      - .offset:         144
        .size:           4
        .value_kind:     hidden_block_count_x
      - .offset:         148
        .size:           4
        .value_kind:     hidden_block_count_y
      - .offset:         152
        .size:           4
        .value_kind:     hidden_block_count_z
      - .offset:         156
        .size:           2
        .value_kind:     hidden_group_size_x
      - .offset:         158
        .size:           2
        .value_kind:     hidden_group_size_y
      - .offset:         160
        .size:           2
        .value_kind:     hidden_group_size_z
      - .offset:         162
        .size:           2
        .value_kind:     hidden_remainder_x
      - .offset:         164
        .size:           2
        .value_kind:     hidden_remainder_y
      - .offset:         166
        .size:           2
        .value_kind:     hidden_remainder_z
      - .offset:         184
        .size:           8
        .value_kind:     hidden_global_offset_x
      - .offset:         192
        .size:           8
        .value_kind:     hidden_global_offset_y
      - .offset:         200
        .size:           8
        .value_kind:     hidden_global_offset_z
      - .offset:         208
        .size:           2
        .value_kind:     hidden_grid_dims
    .group_segment_fixed_size: 17472
    .kernarg_segment_align: 8
    .kernarg_segment_size: 400
    .language:       OpenCL C
    .language_version:
      - 2
      - 0
    .max_flat_workgroup_size: 256
    .name:           _Z39paged_attention_ll4mi_QKV_mfma16_kernelIDF16_DF16_LN4vllm18Fp8KVCacheDataTypeE0EhLi16ELi128ELi256ELb1ELi11EL8MFMAType0EEvPKT_PKT0_S8_ifPKiSA_SA_iPKfiiiPfSD_PS3_PT2_iSC_SC_
    .private_segment_fixed_size: 0
    .sgpr_count:     54
    .sgpr_spill_count: 0
    .symbol:         _Z39paged_attention_ll4mi_QKV_mfma16_kernelIDF16_DF16_LN4vllm18Fp8KVCacheDataTypeE0EhLi16ELi128ELi256ELb1ELi11EL8MFMAType0EEvPKT_PKT0_S8_ifPKiSA_SA_iPKfiiiPfSD_PS3_PT2_iSC_SC_.kd
    .uniform_work_group_size: 1
    .uses_dynamic_stack: false
    .vgpr_count:     218
    .vgpr_spill_count: 0
    .wavefront_size: 32
    .workgroup_processor_mode: 1
  - .args:
      - .actual_access:  read_only
        .address_space:  global
        .offset:         0
        .size:           8
        .value_kind:     global_buffer
      - .actual_access:  read_only
        .address_space:  global
        .offset:         8
        .size:           8
        .value_kind:     global_buffer
      - .actual_access:  read_only
        .address_space:  global
        .offset:         16
        .size:           8
        .value_kind:     global_buffer
      - .offset:         24
        .size:           4
        .value_kind:     by_value
      - .offset:         28
        .size:           4
        .value_kind:     by_value
      - .actual_access:  read_only
        .address_space:  global
        .offset:         32
        .size:           8
        .value_kind:     global_buffer
      - .actual_access:  read_only
        .address_space:  global
        .offset:         40
        .size:           8
        .value_kind:     global_buffer
      - .actual_access:  read_only
        .address_space:  global
        .offset:         48
        .size:           8
        .value_kind:     global_buffer
      - .offset:         56
        .size:           4
        .value_kind:     by_value
      - .actual_access:  read_only
        .address_space:  global
        .offset:         64
        .size:           8
        .value_kind:     global_buffer
      - .offset:         72
        .size:           4
        .value_kind:     by_value
      - .offset:         76
        .size:           4
        .value_kind:     by_value
      - .offset:         80
        .size:           4
        .value_kind:     by_value
      - .actual_access:  write_only
        .address_space:  global
        .offset:         88
        .size:           8
        .value_kind:     global_buffer
      - .actual_access:  write_only
        .address_space:  global
        .offset:         96
        .size:           8
        .value_kind:     global_buffer
      - .actual_access:  write_only
        .address_space:  global
        .offset:         104
        .size:           8
        .value_kind:     global_buffer
      - .actual_access:  read_only
        .address_space:  global
        .offset:         112
        .size:           8
        .value_kind:     global_buffer
      - .offset:         120
        .size:           4
        .value_kind:     by_value
      - .address_space:  global
        .offset:         128
        .size:           8
        .value_kind:     global_buffer
      - .address_space:  global
        .offset:         136
        .size:           8
        .value_kind:     global_buffer
      - .offset:         144
        .size:           4
        .value_kind:     hidden_block_count_x
      - .offset:         148
        .size:           4
        .value_kind:     hidden_block_count_y
      - .offset:         152
        .size:           4
        .value_kind:     hidden_block_count_z
      - .offset:         156
        .size:           2
        .value_kind:     hidden_group_size_x
      - .offset:         158
        .size:           2
        .value_kind:     hidden_group_size_y
      - .offset:         160
        .size:           2
        .value_kind:     hidden_group_size_z
      - .offset:         162
        .size:           2
        .value_kind:     hidden_remainder_x
      - .offset:         164
        .size:           2
        .value_kind:     hidden_remainder_y
      - .offset:         166
        .size:           2
        .value_kind:     hidden_remainder_z
      - .offset:         184
        .size:           8
        .value_kind:     hidden_global_offset_x
      - .offset:         192
        .size:           8
        .value_kind:     hidden_global_offset_y
      - .offset:         200
        .size:           8
        .value_kind:     hidden_global_offset_z
      - .offset:         208
        .size:           2
        .value_kind:     hidden_grid_dims
    .group_segment_fixed_size: 17472
    .kernarg_segment_align: 8
    .kernarg_segment_size: 400
    .language:       OpenCL C
    .language_version:
      - 2
      - 0
    .max_flat_workgroup_size: 256
    .name:           _Z39paged_attention_ll4mi_QKV_mfma16_kernelIDF16_DF16_LN4vllm18Fp8KVCacheDataTypeE0EhLi16ELi128ELi256ELb1ELi12EL8MFMAType0EEvPKT_PKT0_S8_ifPKiSA_SA_iPKfiiiPfSD_PS3_PT2_iSC_SC_
    .private_segment_fixed_size: 0
    .sgpr_count:     54
    .sgpr_spill_count: 0
    .symbol:         _Z39paged_attention_ll4mi_QKV_mfma16_kernelIDF16_DF16_LN4vllm18Fp8KVCacheDataTypeE0EhLi16ELi128ELi256ELb1ELi12EL8MFMAType0EEvPKT_PKT0_S8_ifPKiSA_SA_iPKfiiiPfSD_PS3_PT2_iSC_SC_.kd
    .uniform_work_group_size: 1
    .uses_dynamic_stack: false
    .vgpr_count:     218
    .vgpr_spill_count: 0
    .wavefront_size: 32
    .workgroup_processor_mode: 1
  - .args:
      - .actual_access:  read_only
        .address_space:  global
        .offset:         0
        .size:           8
        .value_kind:     global_buffer
      - .actual_access:  read_only
        .address_space:  global
        .offset:         8
        .size:           8
        .value_kind:     global_buffer
      - .actual_access:  read_only
        .address_space:  global
        .offset:         16
        .size:           8
        .value_kind:     global_buffer
      - .offset:         24
        .size:           4
        .value_kind:     by_value
      - .offset:         28
        .size:           4
        .value_kind:     by_value
      - .actual_access:  read_only
        .address_space:  global
        .offset:         32
        .size:           8
        .value_kind:     global_buffer
      - .actual_access:  read_only
        .address_space:  global
        .offset:         40
        .size:           8
        .value_kind:     global_buffer
      - .actual_access:  read_only
        .address_space:  global
        .offset:         48
        .size:           8
        .value_kind:     global_buffer
      - .offset:         56
        .size:           4
        .value_kind:     by_value
      - .actual_access:  read_only
        .address_space:  global
        .offset:         64
        .size:           8
        .value_kind:     global_buffer
      - .offset:         72
        .size:           4
        .value_kind:     by_value
      - .offset:         76
        .size:           4
        .value_kind:     by_value
      - .offset:         80
        .size:           4
        .value_kind:     by_value
      - .actual_access:  write_only
        .address_space:  global
        .offset:         88
        .size:           8
        .value_kind:     global_buffer
      - .actual_access:  write_only
        .address_space:  global
        .offset:         96
        .size:           8
        .value_kind:     global_buffer
      - .actual_access:  write_only
        .address_space:  global
        .offset:         104
        .size:           8
        .value_kind:     global_buffer
      - .actual_access:  read_only
        .address_space:  global
        .offset:         112
        .size:           8
        .value_kind:     global_buffer
      - .offset:         120
        .size:           4
        .value_kind:     by_value
      - .address_space:  global
        .offset:         128
        .size:           8
        .value_kind:     global_buffer
      - .address_space:  global
        .offset:         136
        .size:           8
        .value_kind:     global_buffer
      - .offset:         144
        .size:           4
        .value_kind:     hidden_block_count_x
      - .offset:         148
        .size:           4
        .value_kind:     hidden_block_count_y
      - .offset:         152
        .size:           4
        .value_kind:     hidden_block_count_z
      - .offset:         156
        .size:           2
        .value_kind:     hidden_group_size_x
      - .offset:         158
        .size:           2
        .value_kind:     hidden_group_size_y
      - .offset:         160
        .size:           2
        .value_kind:     hidden_group_size_z
      - .offset:         162
        .size:           2
        .value_kind:     hidden_remainder_x
      - .offset:         164
        .size:           2
        .value_kind:     hidden_remainder_y
      - .offset:         166
        .size:           2
        .value_kind:     hidden_remainder_z
      - .offset:         184
        .size:           8
        .value_kind:     hidden_global_offset_x
      - .offset:         192
        .size:           8
        .value_kind:     hidden_global_offset_y
      - .offset:         200
        .size:           8
        .value_kind:     hidden_global_offset_z
      - .offset:         208
        .size:           2
        .value_kind:     hidden_grid_dims
    .group_segment_fixed_size: 17472
    .kernarg_segment_align: 8
    .kernarg_segment_size: 400
    .language:       OpenCL C
    .language_version:
      - 2
      - 0
    .max_flat_workgroup_size: 256
    .name:           _Z39paged_attention_ll4mi_QKV_mfma16_kernelIDF16_DF16_LN4vllm18Fp8KVCacheDataTypeE0EhLi16ELi128ELi256ELb1ELi13EL8MFMAType0EEvPKT_PKT0_S8_ifPKiSA_SA_iPKfiiiPfSD_PS3_PT2_iSC_SC_
    .private_segment_fixed_size: 0
    .sgpr_count:     54
    .sgpr_spill_count: 0
    .symbol:         _Z39paged_attention_ll4mi_QKV_mfma16_kernelIDF16_DF16_LN4vllm18Fp8KVCacheDataTypeE0EhLi16ELi128ELi256ELb1ELi13EL8MFMAType0EEvPKT_PKT0_S8_ifPKiSA_SA_iPKfiiiPfSD_PS3_PT2_iSC_SC_.kd
    .uniform_work_group_size: 1
    .uses_dynamic_stack: false
    .vgpr_count:     218
    .vgpr_spill_count: 0
    .wavefront_size: 32
    .workgroup_processor_mode: 1
  - .args:
      - .actual_access:  read_only
        .address_space:  global
        .offset:         0
        .size:           8
        .value_kind:     global_buffer
      - .actual_access:  read_only
        .address_space:  global
        .offset:         8
        .size:           8
        .value_kind:     global_buffer
      - .actual_access:  read_only
        .address_space:  global
        .offset:         16
        .size:           8
        .value_kind:     global_buffer
      - .offset:         24
        .size:           4
        .value_kind:     by_value
      - .offset:         28
        .size:           4
        .value_kind:     by_value
      - .actual_access:  read_only
        .address_space:  global
        .offset:         32
        .size:           8
        .value_kind:     global_buffer
      - .actual_access:  read_only
        .address_space:  global
        .offset:         40
        .size:           8
        .value_kind:     global_buffer
      - .actual_access:  read_only
        .address_space:  global
        .offset:         48
        .size:           8
        .value_kind:     global_buffer
      - .offset:         56
        .size:           4
        .value_kind:     by_value
      - .actual_access:  read_only
        .address_space:  global
        .offset:         64
        .size:           8
        .value_kind:     global_buffer
      - .offset:         72
        .size:           4
        .value_kind:     by_value
      - .offset:         76
        .size:           4
        .value_kind:     by_value
      - .offset:         80
        .size:           4
        .value_kind:     by_value
      - .actual_access:  write_only
        .address_space:  global
        .offset:         88
        .size:           8
        .value_kind:     global_buffer
      - .actual_access:  write_only
        .address_space:  global
        .offset:         96
        .size:           8
        .value_kind:     global_buffer
      - .actual_access:  write_only
        .address_space:  global
        .offset:         104
        .size:           8
        .value_kind:     global_buffer
      - .actual_access:  read_only
        .address_space:  global
        .offset:         112
        .size:           8
        .value_kind:     global_buffer
      - .offset:         120
        .size:           4
        .value_kind:     by_value
      - .address_space:  global
        .offset:         128
        .size:           8
        .value_kind:     global_buffer
      - .address_space:  global
        .offset:         136
        .size:           8
        .value_kind:     global_buffer
      - .offset:         144
        .size:           4
        .value_kind:     hidden_block_count_x
      - .offset:         148
        .size:           4
        .value_kind:     hidden_block_count_y
      - .offset:         152
        .size:           4
        .value_kind:     hidden_block_count_z
      - .offset:         156
        .size:           2
        .value_kind:     hidden_group_size_x
      - .offset:         158
        .size:           2
        .value_kind:     hidden_group_size_y
      - .offset:         160
        .size:           2
        .value_kind:     hidden_group_size_z
      - .offset:         162
        .size:           2
        .value_kind:     hidden_remainder_x
      - .offset:         164
        .size:           2
        .value_kind:     hidden_remainder_y
      - .offset:         166
        .size:           2
        .value_kind:     hidden_remainder_z
      - .offset:         184
        .size:           8
        .value_kind:     hidden_global_offset_x
      - .offset:         192
        .size:           8
        .value_kind:     hidden_global_offset_y
      - .offset:         200
        .size:           8
        .value_kind:     hidden_global_offset_z
      - .offset:         208
        .size:           2
        .value_kind:     hidden_grid_dims
    .group_segment_fixed_size: 17472
    .kernarg_segment_align: 8
    .kernarg_segment_size: 400
    .language:       OpenCL C
    .language_version:
      - 2
      - 0
    .max_flat_workgroup_size: 256
    .name:           _Z39paged_attention_ll4mi_QKV_mfma16_kernelIDF16_DF16_LN4vllm18Fp8KVCacheDataTypeE0EhLi16ELi128ELi256ELb1ELi14EL8MFMAType0EEvPKT_PKT0_S8_ifPKiSA_SA_iPKfiiiPfSD_PS3_PT2_iSC_SC_
    .private_segment_fixed_size: 0
    .sgpr_count:     54
    .sgpr_spill_count: 0
    .symbol:         _Z39paged_attention_ll4mi_QKV_mfma16_kernelIDF16_DF16_LN4vllm18Fp8KVCacheDataTypeE0EhLi16ELi128ELi256ELb1ELi14EL8MFMAType0EEvPKT_PKT0_S8_ifPKiSA_SA_iPKfiiiPfSD_PS3_PT2_iSC_SC_.kd
    .uniform_work_group_size: 1
    .uses_dynamic_stack: false
    .vgpr_count:     218
    .vgpr_spill_count: 0
    .wavefront_size: 32
    .workgroup_processor_mode: 1
  - .args:
      - .actual_access:  read_only
        .address_space:  global
        .offset:         0
        .size:           8
        .value_kind:     global_buffer
      - .actual_access:  read_only
        .address_space:  global
        .offset:         8
        .size:           8
        .value_kind:     global_buffer
      - .actual_access:  read_only
        .address_space:  global
        .offset:         16
        .size:           8
        .value_kind:     global_buffer
      - .offset:         24
        .size:           4
        .value_kind:     by_value
      - .offset:         28
        .size:           4
        .value_kind:     by_value
      - .actual_access:  read_only
        .address_space:  global
        .offset:         32
        .size:           8
        .value_kind:     global_buffer
      - .actual_access:  read_only
        .address_space:  global
        .offset:         40
        .size:           8
        .value_kind:     global_buffer
      - .actual_access:  read_only
        .address_space:  global
        .offset:         48
        .size:           8
        .value_kind:     global_buffer
      - .offset:         56
        .size:           4
        .value_kind:     by_value
      - .actual_access:  read_only
        .address_space:  global
        .offset:         64
        .size:           8
        .value_kind:     global_buffer
      - .offset:         72
        .size:           4
        .value_kind:     by_value
      - .offset:         76
        .size:           4
        .value_kind:     by_value
      - .offset:         80
        .size:           4
        .value_kind:     by_value
      - .actual_access:  write_only
        .address_space:  global
        .offset:         88
        .size:           8
        .value_kind:     global_buffer
      - .actual_access:  write_only
        .address_space:  global
        .offset:         96
        .size:           8
        .value_kind:     global_buffer
      - .actual_access:  write_only
        .address_space:  global
        .offset:         104
        .size:           8
        .value_kind:     global_buffer
      - .actual_access:  read_only
        .address_space:  global
        .offset:         112
        .size:           8
        .value_kind:     global_buffer
      - .offset:         120
        .size:           4
        .value_kind:     by_value
      - .address_space:  global
        .offset:         128
        .size:           8
        .value_kind:     global_buffer
      - .address_space:  global
        .offset:         136
        .size:           8
        .value_kind:     global_buffer
      - .offset:         144
        .size:           4
        .value_kind:     hidden_block_count_x
      - .offset:         148
        .size:           4
        .value_kind:     hidden_block_count_y
      - .offset:         152
        .size:           4
        .value_kind:     hidden_block_count_z
      - .offset:         156
        .size:           2
        .value_kind:     hidden_group_size_x
      - .offset:         158
        .size:           2
        .value_kind:     hidden_group_size_y
      - .offset:         160
        .size:           2
        .value_kind:     hidden_group_size_z
      - .offset:         162
        .size:           2
        .value_kind:     hidden_remainder_x
      - .offset:         164
        .size:           2
        .value_kind:     hidden_remainder_y
      - .offset:         166
        .size:           2
        .value_kind:     hidden_remainder_z
      - .offset:         184
        .size:           8
        .value_kind:     hidden_global_offset_x
      - .offset:         192
        .size:           8
        .value_kind:     hidden_global_offset_y
      - .offset:         200
        .size:           8
        .value_kind:     hidden_global_offset_z
      - .offset:         208
        .size:           2
        .value_kind:     hidden_grid_dims
    .group_segment_fixed_size: 17472
    .kernarg_segment_align: 8
    .kernarg_segment_size: 400
    .language:       OpenCL C
    .language_version:
      - 2
      - 0
    .max_flat_workgroup_size: 256
    .name:           _Z39paged_attention_ll4mi_QKV_mfma16_kernelIDF16_DF16_LN4vllm18Fp8KVCacheDataTypeE0EhLi16ELi128ELi256ELb1ELi15EL8MFMAType0EEvPKT_PKT0_S8_ifPKiSA_SA_iPKfiiiPfSD_PS3_PT2_iSC_SC_
    .private_segment_fixed_size: 0
    .sgpr_count:     54
    .sgpr_spill_count: 0
    .symbol:         _Z39paged_attention_ll4mi_QKV_mfma16_kernelIDF16_DF16_LN4vllm18Fp8KVCacheDataTypeE0EhLi16ELi128ELi256ELb1ELi15EL8MFMAType0EEvPKT_PKT0_S8_ifPKiSA_SA_iPKfiiiPfSD_PS3_PT2_iSC_SC_.kd
    .uniform_work_group_size: 1
    .uses_dynamic_stack: false
    .vgpr_count:     218
    .vgpr_spill_count: 0
    .wavefront_size: 32
    .workgroup_processor_mode: 1
  - .args:
      - .actual_access:  read_only
        .address_space:  global
        .offset:         0
        .size:           8
        .value_kind:     global_buffer
      - .actual_access:  read_only
        .address_space:  global
        .offset:         8
        .size:           8
        .value_kind:     global_buffer
      - .actual_access:  read_only
        .address_space:  global
        .offset:         16
        .size:           8
        .value_kind:     global_buffer
      - .offset:         24
        .size:           4
        .value_kind:     by_value
      - .offset:         28
        .size:           4
        .value_kind:     by_value
      - .actual_access:  read_only
        .address_space:  global
        .offset:         32
        .size:           8
        .value_kind:     global_buffer
      - .actual_access:  read_only
        .address_space:  global
        .offset:         40
        .size:           8
        .value_kind:     global_buffer
      - .actual_access:  read_only
        .address_space:  global
        .offset:         48
        .size:           8
        .value_kind:     global_buffer
      - .offset:         56
        .size:           4
        .value_kind:     by_value
      - .actual_access:  read_only
        .address_space:  global
        .offset:         64
        .size:           8
        .value_kind:     global_buffer
      - .offset:         72
        .size:           4
        .value_kind:     by_value
      - .offset:         76
        .size:           4
        .value_kind:     by_value
      - .offset:         80
        .size:           4
        .value_kind:     by_value
      - .actual_access:  write_only
        .address_space:  global
        .offset:         88
        .size:           8
        .value_kind:     global_buffer
      - .actual_access:  write_only
        .address_space:  global
        .offset:         96
        .size:           8
        .value_kind:     global_buffer
      - .actual_access:  write_only
        .address_space:  global
        .offset:         104
        .size:           8
        .value_kind:     global_buffer
      - .actual_access:  read_only
        .address_space:  global
        .offset:         112
        .size:           8
        .value_kind:     global_buffer
      - .offset:         120
        .size:           4
        .value_kind:     by_value
      - .address_space:  global
        .offset:         128
        .size:           8
        .value_kind:     global_buffer
      - .address_space:  global
        .offset:         136
        .size:           8
        .value_kind:     global_buffer
      - .offset:         144
        .size:           4
        .value_kind:     hidden_block_count_x
      - .offset:         148
        .size:           4
        .value_kind:     hidden_block_count_y
      - .offset:         152
        .size:           4
        .value_kind:     hidden_block_count_z
      - .offset:         156
        .size:           2
        .value_kind:     hidden_group_size_x
      - .offset:         158
        .size:           2
        .value_kind:     hidden_group_size_y
      - .offset:         160
        .size:           2
        .value_kind:     hidden_group_size_z
      - .offset:         162
        .size:           2
        .value_kind:     hidden_remainder_x
      - .offset:         164
        .size:           2
        .value_kind:     hidden_remainder_y
      - .offset:         166
        .size:           2
        .value_kind:     hidden_remainder_z
      - .offset:         184
        .size:           8
        .value_kind:     hidden_global_offset_x
      - .offset:         192
        .size:           8
        .value_kind:     hidden_global_offset_y
      - .offset:         200
        .size:           8
        .value_kind:     hidden_global_offset_z
      - .offset:         208
        .size:           2
        .value_kind:     hidden_grid_dims
    .group_segment_fixed_size: 17472
    .kernarg_segment_align: 8
    .kernarg_segment_size: 400
    .language:       OpenCL C
    .language_version:
      - 2
      - 0
    .max_flat_workgroup_size: 256
    .name:           _Z39paged_attention_ll4mi_QKV_mfma16_kernelIDF16_DF16_LN4vllm18Fp8KVCacheDataTypeE0EhLi16ELi128ELi256ELb1ELi16EL8MFMAType0EEvPKT_PKT0_S8_ifPKiSA_SA_iPKfiiiPfSD_PS3_PT2_iSC_SC_
    .private_segment_fixed_size: 0
    .sgpr_count:     54
    .sgpr_spill_count: 0
    .symbol:         _Z39paged_attention_ll4mi_QKV_mfma16_kernelIDF16_DF16_LN4vllm18Fp8KVCacheDataTypeE0EhLi16ELi128ELi256ELb1ELi16EL8MFMAType0EEvPKT_PKT0_S8_ifPKiSA_SA_iPKfiiiPfSD_PS3_PT2_iSC_SC_.kd
    .uniform_work_group_size: 1
    .uses_dynamic_stack: false
    .vgpr_count:     218
    .vgpr_spill_count: 0
    .wavefront_size: 32
    .workgroup_processor_mode: 1
  - .args:
      - .actual_access:  write_only
        .address_space:  global
        .offset:         0
        .size:           8
        .value_kind:     global_buffer
      - .actual_access:  read_only
        .address_space:  global
        .offset:         8
        .size:           8
        .value_kind:     global_buffer
      - .actual_access:  read_only
        .address_space:  global
        .offset:         16
        .size:           8
        .value_kind:     global_buffer
      - .actual_access:  read_only
        .address_space:  global
        .offset:         24
        .size:           8
        .value_kind:     global_buffer
      - .actual_access:  read_only
        .address_space:  global
        .offset:         32
        .size:           8
        .value_kind:     global_buffer
      - .actual_access:  read_only
        .address_space:  global
        .offset:         40
        .size:           8
        .value_kind:     global_buffer
      - .offset:         48
        .size:           4
        .value_kind:     by_value
      - .actual_access:  read_only
        .address_space:  global
        .offset:         56
        .size:           8
        .value_kind:     global_buffer
      - .offset:         64
        .size:           4
        .value_kind:     hidden_block_count_x
      - .offset:         68
        .size:           4
        .value_kind:     hidden_block_count_y
      - .offset:         72
        .size:           4
        .value_kind:     hidden_block_count_z
      - .offset:         76
        .size:           2
        .value_kind:     hidden_group_size_x
      - .offset:         78
        .size:           2
        .value_kind:     hidden_group_size_y
      - .offset:         80
        .size:           2
        .value_kind:     hidden_group_size_z
      - .offset:         82
        .size:           2
        .value_kind:     hidden_remainder_x
      - .offset:         84
        .size:           2
        .value_kind:     hidden_remainder_y
      - .offset:         86
        .size:           2
        .value_kind:     hidden_remainder_z
      - .offset:         104
        .size:           8
        .value_kind:     hidden_global_offset_x
      - .offset:         112
        .size:           8
        .value_kind:     hidden_global_offset_y
      - .offset:         120
        .size:           8
        .value_kind:     hidden_global_offset_z
      - .offset:         128
        .size:           2
        .value_kind:     hidden_grid_dims
    .group_segment_fixed_size: 132
    .kernarg_segment_align: 8
    .kernarg_segment_size: 320
    .language:       OpenCL C
    .language_version:
      - 2
      - 0
    .max_flat_workgroup_size: 128
    .name:           _Z35paged_attention_ll4mi_reduce_kernelIDF16_hLi128ELi128ELi256ELi1EEvPT0_PKfS3_PKT_PKiS8_iS3_
    .private_segment_fixed_size: 0
    .sgpr_count:     40
    .sgpr_spill_count: 0
    .symbol:         _Z35paged_attention_ll4mi_reduce_kernelIDF16_hLi128ELi128ELi256ELi1EEvPT0_PKfS3_PKT_PKiS8_iS3_.kd
    .uniform_work_group_size: 1
    .uses_dynamic_stack: false
    .vgpr_count:     47
    .vgpr_spill_count: 0
    .wavefront_size: 32
    .workgroup_processor_mode: 1
  - .args:
      - .actual_access:  write_only
        .address_space:  global
        .offset:         0
        .size:           8
        .value_kind:     global_buffer
      - .actual_access:  read_only
        .address_space:  global
        .offset:         8
        .size:           8
        .value_kind:     global_buffer
      - .actual_access:  read_only
        .address_space:  global
        .offset:         16
        .size:           8
        .value_kind:     global_buffer
      - .actual_access:  read_only
        .address_space:  global
        .offset:         24
        .size:           8
        .value_kind:     global_buffer
      - .actual_access:  read_only
        .address_space:  global
        .offset:         32
        .size:           8
        .value_kind:     global_buffer
      - .actual_access:  read_only
        .address_space:  global
        .offset:         40
        .size:           8
        .value_kind:     global_buffer
      - .offset:         48
        .size:           4
        .value_kind:     by_value
      - .actual_access:  read_only
        .address_space:  global
        .offset:         56
        .size:           8
        .value_kind:     global_buffer
      - .offset:         64
        .size:           4
        .value_kind:     hidden_block_count_x
      - .offset:         68
        .size:           4
        .value_kind:     hidden_block_count_y
      - .offset:         72
        .size:           4
        .value_kind:     hidden_block_count_z
      - .offset:         76
        .size:           2
        .value_kind:     hidden_group_size_x
      - .offset:         78
        .size:           2
        .value_kind:     hidden_group_size_y
      - .offset:         80
        .size:           2
        .value_kind:     hidden_group_size_z
      - .offset:         82
        .size:           2
        .value_kind:     hidden_remainder_x
      - .offset:         84
        .size:           2
        .value_kind:     hidden_remainder_y
      - .offset:         86
        .size:           2
        .value_kind:     hidden_remainder_z
      - .offset:         104
        .size:           8
        .value_kind:     hidden_global_offset_x
      - .offset:         112
        .size:           8
        .value_kind:     hidden_global_offset_y
      - .offset:         120
        .size:           8
        .value_kind:     hidden_global_offset_z
      - .offset:         128
        .size:           2
        .value_kind:     hidden_grid_dims
    .group_segment_fixed_size: 260
    .kernarg_segment_align: 8
    .kernarg_segment_size: 320
    .language:       OpenCL C
    .language_version:
      - 2
      - 0
    .max_flat_workgroup_size: 128
    .name:           _Z35paged_attention_ll4mi_reduce_kernelIDF16_hLi128ELi128ELi256ELi2EEvPT0_PKfS3_PKT_PKiS8_iS3_
    .private_segment_fixed_size: 0
    .sgpr_count:     54
    .sgpr_spill_count: 0
    .symbol:         _Z35paged_attention_ll4mi_reduce_kernelIDF16_hLi128ELi128ELi256ELi2EEvPT0_PKfS3_PKT_PKiS8_iS3_.kd
    .uniform_work_group_size: 1
    .uses_dynamic_stack: false
    .vgpr_count:     48
    .vgpr_spill_count: 0
    .wavefront_size: 32
    .workgroup_processor_mode: 1
  - .args:
      - .actual_access:  write_only
        .address_space:  global
        .offset:         0
        .size:           8
        .value_kind:     global_buffer
      - .actual_access:  read_only
        .address_space:  global
        .offset:         8
        .size:           8
        .value_kind:     global_buffer
      - .actual_access:  read_only
        .address_space:  global
        .offset:         16
        .size:           8
        .value_kind:     global_buffer
      - .actual_access:  read_only
        .address_space:  global
        .offset:         24
        .size:           8
        .value_kind:     global_buffer
      - .actual_access:  read_only
        .address_space:  global
        .offset:         32
        .size:           8
        .value_kind:     global_buffer
      - .actual_access:  read_only
        .address_space:  global
        .offset:         40
        .size:           8
        .value_kind:     global_buffer
      - .offset:         48
        .size:           4
        .value_kind:     by_value
      - .actual_access:  read_only
        .address_space:  global
        .offset:         56
        .size:           8
        .value_kind:     global_buffer
      - .offset:         64
        .size:           4
        .value_kind:     hidden_block_count_x
      - .offset:         68
        .size:           4
        .value_kind:     hidden_block_count_y
      - .offset:         72
        .size:           4
        .value_kind:     hidden_block_count_z
      - .offset:         76
        .size:           2
        .value_kind:     hidden_group_size_x
      - .offset:         78
        .size:           2
        .value_kind:     hidden_group_size_y
      - .offset:         80
        .size:           2
        .value_kind:     hidden_group_size_z
      - .offset:         82
        .size:           2
        .value_kind:     hidden_remainder_x
      - .offset:         84
        .size:           2
        .value_kind:     hidden_remainder_y
      - .offset:         86
        .size:           2
        .value_kind:     hidden_remainder_z
      - .offset:         104
        .size:           8
        .value_kind:     hidden_global_offset_x
      - .offset:         112
        .size:           8
        .value_kind:     hidden_global_offset_y
      - .offset:         120
        .size:           8
        .value_kind:     hidden_global_offset_z
      - .offset:         128
        .size:           2
        .value_kind:     hidden_grid_dims
    .group_segment_fixed_size: 388
    .kernarg_segment_align: 8
    .kernarg_segment_size: 320
    .language:       OpenCL C
    .language_version:
      - 2
      - 0
    .max_flat_workgroup_size: 128
    .name:           _Z35paged_attention_ll4mi_reduce_kernelIDF16_hLi128ELi128ELi256ELi3EEvPT0_PKfS3_PKT_PKiS8_iS3_
    .private_segment_fixed_size: 0
    .sgpr_count:     54
    .sgpr_spill_count: 0
    .symbol:         _Z35paged_attention_ll4mi_reduce_kernelIDF16_hLi128ELi128ELi256ELi3EEvPT0_PKfS3_PKT_PKiS8_iS3_.kd
    .uniform_work_group_size: 1
    .uses_dynamic_stack: false
    .vgpr_count:     48
    .vgpr_spill_count: 0
    .wavefront_size: 32
    .workgroup_processor_mode: 1
  - .args:
      - .actual_access:  write_only
        .address_space:  global
        .offset:         0
        .size:           8
        .value_kind:     global_buffer
      - .actual_access:  read_only
        .address_space:  global
        .offset:         8
        .size:           8
        .value_kind:     global_buffer
      - .actual_access:  read_only
        .address_space:  global
        .offset:         16
        .size:           8
        .value_kind:     global_buffer
      - .actual_access:  read_only
        .address_space:  global
        .offset:         24
        .size:           8
        .value_kind:     global_buffer
      - .actual_access:  read_only
        .address_space:  global
        .offset:         32
        .size:           8
        .value_kind:     global_buffer
      - .actual_access:  read_only
        .address_space:  global
        .offset:         40
        .size:           8
        .value_kind:     global_buffer
      - .offset:         48
        .size:           4
        .value_kind:     by_value
      - .actual_access:  read_only
        .address_space:  global
        .offset:         56
        .size:           8
        .value_kind:     global_buffer
      - .offset:         64
        .size:           4
        .value_kind:     hidden_block_count_x
      - .offset:         68
        .size:           4
        .value_kind:     hidden_block_count_y
      - .offset:         72
        .size:           4
        .value_kind:     hidden_block_count_z
      - .offset:         76
        .size:           2
        .value_kind:     hidden_group_size_x
      - .offset:         78
        .size:           2
        .value_kind:     hidden_group_size_y
      - .offset:         80
        .size:           2
        .value_kind:     hidden_group_size_z
      - .offset:         82
        .size:           2
        .value_kind:     hidden_remainder_x
      - .offset:         84
        .size:           2
        .value_kind:     hidden_remainder_y
      - .offset:         86
        .size:           2
        .value_kind:     hidden_remainder_z
      - .offset:         104
        .size:           8
        .value_kind:     hidden_global_offset_x
      - .offset:         112
        .size:           8
        .value_kind:     hidden_global_offset_y
      - .offset:         120
        .size:           8
        .value_kind:     hidden_global_offset_z
      - .offset:         128
        .size:           2
        .value_kind:     hidden_grid_dims
    .group_segment_fixed_size: 516
    .kernarg_segment_align: 8
    .kernarg_segment_size: 320
    .language:       OpenCL C
    .language_version:
      - 2
      - 0
    .max_flat_workgroup_size: 128
    .name:           _Z35paged_attention_ll4mi_reduce_kernelIDF16_hLi128ELi128ELi256ELi4EEvPT0_PKfS3_PKT_PKiS8_iS3_
    .private_segment_fixed_size: 0
    .sgpr_count:     54
    .sgpr_spill_count: 0
    .symbol:         _Z35paged_attention_ll4mi_reduce_kernelIDF16_hLi128ELi128ELi256ELi4EEvPT0_PKfS3_PKT_PKiS8_iS3_.kd
    .uniform_work_group_size: 1
    .uses_dynamic_stack: false
    .vgpr_count:     48
    .vgpr_spill_count: 0
    .wavefront_size: 32
    .workgroup_processor_mode: 1
  - .args:
      - .actual_access:  write_only
        .address_space:  global
        .offset:         0
        .size:           8
        .value_kind:     global_buffer
      - .actual_access:  read_only
        .address_space:  global
        .offset:         8
        .size:           8
        .value_kind:     global_buffer
      - .actual_access:  read_only
        .address_space:  global
        .offset:         16
        .size:           8
        .value_kind:     global_buffer
      - .actual_access:  read_only
        .address_space:  global
        .offset:         24
        .size:           8
        .value_kind:     global_buffer
      - .actual_access:  read_only
        .address_space:  global
        .offset:         32
        .size:           8
        .value_kind:     global_buffer
      - .actual_access:  read_only
        .address_space:  global
        .offset:         40
        .size:           8
        .value_kind:     global_buffer
      - .offset:         48
        .size:           4
        .value_kind:     by_value
      - .actual_access:  read_only
        .address_space:  global
        .offset:         56
        .size:           8
        .value_kind:     global_buffer
      - .offset:         64
        .size:           4
        .value_kind:     hidden_block_count_x
      - .offset:         68
        .size:           4
        .value_kind:     hidden_block_count_y
      - .offset:         72
        .size:           4
        .value_kind:     hidden_block_count_z
      - .offset:         76
        .size:           2
        .value_kind:     hidden_group_size_x
      - .offset:         78
        .size:           2
        .value_kind:     hidden_group_size_y
      - .offset:         80
        .size:           2
        .value_kind:     hidden_group_size_z
      - .offset:         82
        .size:           2
        .value_kind:     hidden_remainder_x
      - .offset:         84
        .size:           2
        .value_kind:     hidden_remainder_y
      - .offset:         86
        .size:           2
        .value_kind:     hidden_remainder_z
      - .offset:         104
        .size:           8
        .value_kind:     hidden_global_offset_x
      - .offset:         112
        .size:           8
        .value_kind:     hidden_global_offset_y
      - .offset:         120
        .size:           8
        .value_kind:     hidden_global_offset_z
      - .offset:         128
        .size:           2
        .value_kind:     hidden_grid_dims
    .group_segment_fixed_size: 644
    .kernarg_segment_align: 8
    .kernarg_segment_size: 320
    .language:       OpenCL C
    .language_version:
      - 2
      - 0
    .max_flat_workgroup_size: 128
    .name:           _Z35paged_attention_ll4mi_reduce_kernelIDF16_hLi128ELi128ELi256ELi5EEvPT0_PKfS3_PKT_PKiS8_iS3_
    .private_segment_fixed_size: 0
    .sgpr_count:     54
    .sgpr_spill_count: 0
    .symbol:         _Z35paged_attention_ll4mi_reduce_kernelIDF16_hLi128ELi128ELi256ELi5EEvPT0_PKfS3_PKT_PKiS8_iS3_.kd
    .uniform_work_group_size: 1
    .uses_dynamic_stack: false
    .vgpr_count:     48
    .vgpr_spill_count: 0
    .wavefront_size: 32
    .workgroup_processor_mode: 1
  - .args:
      - .actual_access:  write_only
        .address_space:  global
        .offset:         0
        .size:           8
        .value_kind:     global_buffer
      - .actual_access:  read_only
        .address_space:  global
        .offset:         8
        .size:           8
        .value_kind:     global_buffer
      - .actual_access:  read_only
        .address_space:  global
        .offset:         16
        .size:           8
        .value_kind:     global_buffer
      - .actual_access:  read_only
        .address_space:  global
        .offset:         24
        .size:           8
        .value_kind:     global_buffer
      - .actual_access:  read_only
        .address_space:  global
        .offset:         32
        .size:           8
        .value_kind:     global_buffer
      - .actual_access:  read_only
        .address_space:  global
        .offset:         40
        .size:           8
        .value_kind:     global_buffer
      - .offset:         48
        .size:           4
        .value_kind:     by_value
      - .actual_access:  read_only
        .address_space:  global
        .offset:         56
        .size:           8
        .value_kind:     global_buffer
      - .offset:         64
        .size:           4
        .value_kind:     hidden_block_count_x
      - .offset:         68
        .size:           4
        .value_kind:     hidden_block_count_y
      - .offset:         72
        .size:           4
        .value_kind:     hidden_block_count_z
      - .offset:         76
        .size:           2
        .value_kind:     hidden_group_size_x
      - .offset:         78
        .size:           2
        .value_kind:     hidden_group_size_y
      - .offset:         80
        .size:           2
        .value_kind:     hidden_group_size_z
      - .offset:         82
        .size:           2
        .value_kind:     hidden_remainder_x
      - .offset:         84
        .size:           2
        .value_kind:     hidden_remainder_y
      - .offset:         86
        .size:           2
        .value_kind:     hidden_remainder_z
      - .offset:         104
        .size:           8
        .value_kind:     hidden_global_offset_x
      - .offset:         112
        .size:           8
        .value_kind:     hidden_global_offset_y
      - .offset:         120
        .size:           8
        .value_kind:     hidden_global_offset_z
      - .offset:         128
        .size:           2
        .value_kind:     hidden_grid_dims
    .group_segment_fixed_size: 772
    .kernarg_segment_align: 8
    .kernarg_segment_size: 320
    .language:       OpenCL C
    .language_version:
      - 2
      - 0
    .max_flat_workgroup_size: 128
    .name:           _Z35paged_attention_ll4mi_reduce_kernelIDF16_hLi128ELi128ELi256ELi6EEvPT0_PKfS3_PKT_PKiS8_iS3_
    .private_segment_fixed_size: 0
    .sgpr_count:     54
    .sgpr_spill_count: 0
    .symbol:         _Z35paged_attention_ll4mi_reduce_kernelIDF16_hLi128ELi128ELi256ELi6EEvPT0_PKfS3_PKT_PKiS8_iS3_.kd
    .uniform_work_group_size: 1
    .uses_dynamic_stack: false
    .vgpr_count:     48
    .vgpr_spill_count: 0
    .wavefront_size: 32
    .workgroup_processor_mode: 1
  - .args:
      - .actual_access:  write_only
        .address_space:  global
        .offset:         0
        .size:           8
        .value_kind:     global_buffer
      - .actual_access:  read_only
        .address_space:  global
        .offset:         8
        .size:           8
        .value_kind:     global_buffer
      - .actual_access:  read_only
        .address_space:  global
        .offset:         16
        .size:           8
        .value_kind:     global_buffer
      - .actual_access:  read_only
        .address_space:  global
        .offset:         24
        .size:           8
        .value_kind:     global_buffer
      - .actual_access:  read_only
        .address_space:  global
        .offset:         32
        .size:           8
        .value_kind:     global_buffer
      - .actual_access:  read_only
        .address_space:  global
        .offset:         40
        .size:           8
        .value_kind:     global_buffer
      - .offset:         48
        .size:           4
        .value_kind:     by_value
      - .actual_access:  read_only
        .address_space:  global
        .offset:         56
        .size:           8
        .value_kind:     global_buffer
      - .offset:         64
        .size:           4
        .value_kind:     hidden_block_count_x
      - .offset:         68
        .size:           4
        .value_kind:     hidden_block_count_y
      - .offset:         72
        .size:           4
        .value_kind:     hidden_block_count_z
      - .offset:         76
        .size:           2
        .value_kind:     hidden_group_size_x
      - .offset:         78
        .size:           2
        .value_kind:     hidden_group_size_y
      - .offset:         80
        .size:           2
        .value_kind:     hidden_group_size_z
      - .offset:         82
        .size:           2
        .value_kind:     hidden_remainder_x
      - .offset:         84
        .size:           2
        .value_kind:     hidden_remainder_y
      - .offset:         86
        .size:           2
        .value_kind:     hidden_remainder_z
      - .offset:         104
        .size:           8
        .value_kind:     hidden_global_offset_x
      - .offset:         112
        .size:           8
        .value_kind:     hidden_global_offset_y
      - .offset:         120
        .size:           8
        .value_kind:     hidden_global_offset_z
      - .offset:         128
        .size:           2
        .value_kind:     hidden_grid_dims
    .group_segment_fixed_size: 900
    .kernarg_segment_align: 8
    .kernarg_segment_size: 320
    .language:       OpenCL C
    .language_version:
      - 2
      - 0
    .max_flat_workgroup_size: 128
    .name:           _Z35paged_attention_ll4mi_reduce_kernelIDF16_hLi128ELi128ELi256ELi7EEvPT0_PKfS3_PKT_PKiS8_iS3_
    .private_segment_fixed_size: 0
    .sgpr_count:     49
    .sgpr_spill_count: 0
    .symbol:         _Z35paged_attention_ll4mi_reduce_kernelIDF16_hLi128ELi128ELi256ELi7EEvPT0_PKfS3_PKT_PKiS8_iS3_.kd
    .uniform_work_group_size: 1
    .uses_dynamic_stack: false
    .vgpr_count:     48
    .vgpr_spill_count: 0
    .wavefront_size: 32
    .workgroup_processor_mode: 1
  - .args:
      - .actual_access:  write_only
        .address_space:  global
        .offset:         0
        .size:           8
        .value_kind:     global_buffer
      - .actual_access:  read_only
        .address_space:  global
        .offset:         8
        .size:           8
        .value_kind:     global_buffer
      - .actual_access:  read_only
        .address_space:  global
        .offset:         16
        .size:           8
        .value_kind:     global_buffer
      - .actual_access:  read_only
        .address_space:  global
        .offset:         24
        .size:           8
        .value_kind:     global_buffer
      - .actual_access:  read_only
        .address_space:  global
        .offset:         32
        .size:           8
        .value_kind:     global_buffer
      - .actual_access:  read_only
        .address_space:  global
        .offset:         40
        .size:           8
        .value_kind:     global_buffer
      - .offset:         48
        .size:           4
        .value_kind:     by_value
      - .actual_access:  read_only
        .address_space:  global
        .offset:         56
        .size:           8
        .value_kind:     global_buffer
      - .offset:         64
        .size:           4
        .value_kind:     hidden_block_count_x
      - .offset:         68
        .size:           4
        .value_kind:     hidden_block_count_y
      - .offset:         72
        .size:           4
        .value_kind:     hidden_block_count_z
      - .offset:         76
        .size:           2
        .value_kind:     hidden_group_size_x
      - .offset:         78
        .size:           2
        .value_kind:     hidden_group_size_y
      - .offset:         80
        .size:           2
        .value_kind:     hidden_group_size_z
      - .offset:         82
        .size:           2
        .value_kind:     hidden_remainder_x
      - .offset:         84
        .size:           2
        .value_kind:     hidden_remainder_y
      - .offset:         86
        .size:           2
        .value_kind:     hidden_remainder_z
      - .offset:         104
        .size:           8
        .value_kind:     hidden_global_offset_x
      - .offset:         112
        .size:           8
        .value_kind:     hidden_global_offset_y
      - .offset:         120
        .size:           8
        .value_kind:     hidden_global_offset_z
      - .offset:         128
        .size:           2
        .value_kind:     hidden_grid_dims
    .group_segment_fixed_size: 1028
    .kernarg_segment_align: 8
    .kernarg_segment_size: 320
    .language:       OpenCL C
    .language_version:
      - 2
      - 0
    .max_flat_workgroup_size: 128
    .name:           _Z35paged_attention_ll4mi_reduce_kernelIDF16_hLi128ELi128ELi256ELi8EEvPT0_PKfS3_PKT_PKiS8_iS3_
    .private_segment_fixed_size: 0
    .sgpr_count:     49
    .sgpr_spill_count: 0
    .symbol:         _Z35paged_attention_ll4mi_reduce_kernelIDF16_hLi128ELi128ELi256ELi8EEvPT0_PKfS3_PKT_PKiS8_iS3_.kd
    .uniform_work_group_size: 1
    .uses_dynamic_stack: false
    .vgpr_count:     48
    .vgpr_spill_count: 0
    .wavefront_size: 32
    .workgroup_processor_mode: 1
  - .args:
      - .actual_access:  read_only
        .address_space:  global
        .offset:         0
        .size:           8
        .value_kind:     global_buffer
      - .actual_access:  read_only
        .address_space:  global
        .offset:         8
        .size:           8
        .value_kind:     global_buffer
      - .actual_access:  read_only
        .address_space:  global
        .offset:         16
        .size:           8
        .value_kind:     global_buffer
      - .offset:         24
        .size:           4
        .value_kind:     by_value
      - .offset:         28
        .size:           4
        .value_kind:     by_value
      - .actual_access:  read_only
        .address_space:  global
        .offset:         32
        .size:           8
        .value_kind:     global_buffer
      - .actual_access:  read_only
        .address_space:  global
        .offset:         40
        .size:           8
        .value_kind:     global_buffer
      - .actual_access:  read_only
        .address_space:  global
        .offset:         48
        .size:           8
        .value_kind:     global_buffer
      - .offset:         56
        .size:           4
        .value_kind:     by_value
      - .actual_access:  read_only
        .address_space:  global
        .offset:         64
        .size:           8
        .value_kind:     global_buffer
      - .offset:         72
        .size:           4
        .value_kind:     by_value
      - .offset:         76
        .size:           4
        .value_kind:     by_value
      - .offset:         80
        .size:           4
        .value_kind:     by_value
      - .actual_access:  write_only
        .address_space:  global
        .offset:         88
        .size:           8
        .value_kind:     global_buffer
      - .actual_access:  write_only
        .address_space:  global
        .offset:         96
        .size:           8
        .value_kind:     global_buffer
      - .actual_access:  write_only
        .address_space:  global
        .offset:         104
        .size:           8
        .value_kind:     global_buffer
      - .actual_access:  read_only
        .address_space:  global
        .offset:         112
        .size:           8
        .value_kind:     global_buffer
      - .offset:         120
        .size:           4
        .value_kind:     by_value
      - .address_space:  global
        .offset:         128
        .size:           8
        .value_kind:     global_buffer
      - .address_space:  global
        .offset:         136
        .size:           8
        .value_kind:     global_buffer
      - .offset:         144
        .size:           4
        .value_kind:     hidden_block_count_x
      - .offset:         148
        .size:           4
        .value_kind:     hidden_block_count_y
      - .offset:         152
        .size:           4
        .value_kind:     hidden_block_count_z
      - .offset:         156
        .size:           2
        .value_kind:     hidden_group_size_x
      - .offset:         158
        .size:           2
        .value_kind:     hidden_group_size_y
      - .offset:         160
        .size:           2
        .value_kind:     hidden_group_size_z
      - .offset:         162
        .size:           2
        .value_kind:     hidden_remainder_x
      - .offset:         164
        .size:           2
        .value_kind:     hidden_remainder_y
      - .offset:         166
        .size:           2
        .value_kind:     hidden_remainder_z
      - .offset:         184
        .size:           8
        .value_kind:     hidden_global_offset_x
      - .offset:         192
        .size:           8
        .value_kind:     hidden_global_offset_y
      - .offset:         200
        .size:           8
        .value_kind:     hidden_global_offset_z
      - .offset:         208
        .size:           2
        .value_kind:     hidden_grid_dims
    .group_segment_fixed_size: 17472
    .kernarg_segment_align: 8
    .kernarg_segment_size: 400
    .language:       OpenCL C
    .language_version:
      - 2
      - 0
    .max_flat_workgroup_size: 256
    .name:           _Z39paged_attention_ll4mi_QKV_mfma16_kernelIDF16_DF16_LN4vllm18Fp8KVCacheDataTypeE0EhLi16ELi128ELi256ELb1ELi1EL8MFMAType0EEvPKT_PKT0_S8_ifPKiSA_SA_iPKfiiiPfSD_PS3_PT2_iSC_SC_
    .private_segment_fixed_size: 0
    .sgpr_count:     100
    .sgpr_spill_count: 0
    .symbol:         _Z39paged_attention_ll4mi_QKV_mfma16_kernelIDF16_DF16_LN4vllm18Fp8KVCacheDataTypeE0EhLi16ELi128ELi256ELb1ELi1EL8MFMAType0EEvPKT_PKT0_S8_ifPKiSA_SA_iPKfiiiPfSD_PS3_PT2_iSC_SC_.kd
    .uniform_work_group_size: 1
    .uses_dynamic_stack: false
    .vgpr_count:     227
    .vgpr_spill_count: 0
    .wavefront_size: 32
    .workgroup_processor_mode: 1
  - .args:
      - .actual_access:  read_only
        .address_space:  global
        .offset:         0
        .size:           8
        .value_kind:     global_buffer
      - .actual_access:  read_only
        .address_space:  global
        .offset:         8
        .size:           8
        .value_kind:     global_buffer
      - .actual_access:  read_only
        .address_space:  global
        .offset:         16
        .size:           8
        .value_kind:     global_buffer
      - .offset:         24
        .size:           4
        .value_kind:     by_value
      - .offset:         28
        .size:           4
        .value_kind:     by_value
      - .actual_access:  read_only
        .address_space:  global
        .offset:         32
        .size:           8
        .value_kind:     global_buffer
      - .actual_access:  read_only
        .address_space:  global
        .offset:         40
        .size:           8
        .value_kind:     global_buffer
      - .actual_access:  read_only
        .address_space:  global
        .offset:         48
        .size:           8
        .value_kind:     global_buffer
      - .offset:         56
        .size:           4
        .value_kind:     by_value
      - .actual_access:  read_only
        .address_space:  global
        .offset:         64
        .size:           8
        .value_kind:     global_buffer
      - .offset:         72
        .size:           4
        .value_kind:     by_value
      - .offset:         76
        .size:           4
        .value_kind:     by_value
      - .offset:         80
        .size:           4
        .value_kind:     by_value
      - .actual_access:  write_only
        .address_space:  global
        .offset:         88
        .size:           8
        .value_kind:     global_buffer
      - .actual_access:  write_only
        .address_space:  global
        .offset:         96
        .size:           8
        .value_kind:     global_buffer
      - .actual_access:  write_only
        .address_space:  global
        .offset:         104
        .size:           8
        .value_kind:     global_buffer
      - .actual_access:  read_only
        .address_space:  global
        .offset:         112
        .size:           8
        .value_kind:     global_buffer
      - .offset:         120
        .size:           4
        .value_kind:     by_value
      - .address_space:  global
        .offset:         128
        .size:           8
        .value_kind:     global_buffer
      - .address_space:  global
        .offset:         136
        .size:           8
        .value_kind:     global_buffer
      - .offset:         144
        .size:           4
        .value_kind:     hidden_block_count_x
      - .offset:         148
        .size:           4
        .value_kind:     hidden_block_count_y
      - .offset:         152
        .size:           4
        .value_kind:     hidden_block_count_z
      - .offset:         156
        .size:           2
        .value_kind:     hidden_group_size_x
      - .offset:         158
        .size:           2
        .value_kind:     hidden_group_size_y
      - .offset:         160
        .size:           2
        .value_kind:     hidden_group_size_z
      - .offset:         162
        .size:           2
        .value_kind:     hidden_remainder_x
      - .offset:         164
        .size:           2
        .value_kind:     hidden_remainder_y
      - .offset:         166
        .size:           2
        .value_kind:     hidden_remainder_z
      - .offset:         184
        .size:           8
        .value_kind:     hidden_global_offset_x
      - .offset:         192
        .size:           8
        .value_kind:     hidden_global_offset_y
      - .offset:         200
        .size:           8
        .value_kind:     hidden_global_offset_z
      - .offset:         208
        .size:           2
        .value_kind:     hidden_grid_dims
    .group_segment_fixed_size: 17472
    .kernarg_segment_align: 8
    .kernarg_segment_size: 400
    .language:       OpenCL C
    .language_version:
      - 2
      - 0
    .max_flat_workgroup_size: 256
    .name:           _Z39paged_attention_ll4mi_QKV_mfma16_kernelIDF16_DF16_LN4vllm18Fp8KVCacheDataTypeE0EhLi16ELi128ELi256ELb1ELi2EL8MFMAType0EEvPKT_PKT0_S8_ifPKiSA_SA_iPKfiiiPfSD_PS3_PT2_iSC_SC_
    .private_segment_fixed_size: 0
    .sgpr_count:     54
    .sgpr_spill_count: 0
    .symbol:         _Z39paged_attention_ll4mi_QKV_mfma16_kernelIDF16_DF16_LN4vllm18Fp8KVCacheDataTypeE0EhLi16ELi128ELi256ELb1ELi2EL8MFMAType0EEvPKT_PKT0_S8_ifPKiSA_SA_iPKfiiiPfSD_PS3_PT2_iSC_SC_.kd
    .uniform_work_group_size: 1
    .uses_dynamic_stack: false
    .vgpr_count:     230
    .vgpr_spill_count: 0
    .wavefront_size: 32
    .workgroup_processor_mode: 1
  - .args:
      - .actual_access:  read_only
        .address_space:  global
        .offset:         0
        .size:           8
        .value_kind:     global_buffer
      - .actual_access:  read_only
        .address_space:  global
        .offset:         8
        .size:           8
        .value_kind:     global_buffer
      - .actual_access:  read_only
        .address_space:  global
        .offset:         16
        .size:           8
        .value_kind:     global_buffer
      - .offset:         24
        .size:           4
        .value_kind:     by_value
      - .offset:         28
        .size:           4
        .value_kind:     by_value
      - .actual_access:  read_only
        .address_space:  global
        .offset:         32
        .size:           8
        .value_kind:     global_buffer
      - .actual_access:  read_only
        .address_space:  global
        .offset:         40
        .size:           8
        .value_kind:     global_buffer
      - .actual_access:  read_only
        .address_space:  global
        .offset:         48
        .size:           8
        .value_kind:     global_buffer
      - .offset:         56
        .size:           4
        .value_kind:     by_value
      - .actual_access:  read_only
        .address_space:  global
        .offset:         64
        .size:           8
        .value_kind:     global_buffer
      - .offset:         72
        .size:           4
        .value_kind:     by_value
      - .offset:         76
        .size:           4
        .value_kind:     by_value
      - .offset:         80
        .size:           4
        .value_kind:     by_value
      - .actual_access:  write_only
        .address_space:  global
        .offset:         88
        .size:           8
        .value_kind:     global_buffer
      - .actual_access:  write_only
        .address_space:  global
        .offset:         96
        .size:           8
        .value_kind:     global_buffer
      - .actual_access:  write_only
        .address_space:  global
        .offset:         104
        .size:           8
        .value_kind:     global_buffer
      - .actual_access:  read_only
        .address_space:  global
        .offset:         112
        .size:           8
        .value_kind:     global_buffer
      - .offset:         120
        .size:           4
        .value_kind:     by_value
      - .address_space:  global
        .offset:         128
        .size:           8
        .value_kind:     global_buffer
      - .address_space:  global
        .offset:         136
        .size:           8
        .value_kind:     global_buffer
      - .offset:         144
        .size:           4
        .value_kind:     hidden_block_count_x
      - .offset:         148
        .size:           4
        .value_kind:     hidden_block_count_y
      - .offset:         152
        .size:           4
        .value_kind:     hidden_block_count_z
      - .offset:         156
        .size:           2
        .value_kind:     hidden_group_size_x
      - .offset:         158
        .size:           2
        .value_kind:     hidden_group_size_y
      - .offset:         160
        .size:           2
        .value_kind:     hidden_group_size_z
      - .offset:         162
        .size:           2
        .value_kind:     hidden_remainder_x
      - .offset:         164
        .size:           2
        .value_kind:     hidden_remainder_y
      - .offset:         166
        .size:           2
        .value_kind:     hidden_remainder_z
      - .offset:         184
        .size:           8
        .value_kind:     hidden_global_offset_x
      - .offset:         192
        .size:           8
        .value_kind:     hidden_global_offset_y
      - .offset:         200
        .size:           8
        .value_kind:     hidden_global_offset_z
      - .offset:         208
        .size:           2
        .value_kind:     hidden_grid_dims
    .group_segment_fixed_size: 17472
    .kernarg_segment_align: 8
    .kernarg_segment_size: 400
    .language:       OpenCL C
    .language_version:
      - 2
      - 0
    .max_flat_workgroup_size: 256
    .name:           _Z39paged_attention_ll4mi_QKV_mfma16_kernelIDF16_DF16_LN4vllm18Fp8KVCacheDataTypeE0EhLi16ELi128ELi256ELb1ELi3EL8MFMAType0EEvPKT_PKT0_S8_ifPKiSA_SA_iPKfiiiPfSD_PS3_PT2_iSC_SC_
    .private_segment_fixed_size: 0
    .sgpr_count:     54
    .sgpr_spill_count: 0
    .symbol:         _Z39paged_attention_ll4mi_QKV_mfma16_kernelIDF16_DF16_LN4vllm18Fp8KVCacheDataTypeE0EhLi16ELi128ELi256ELb1ELi3EL8MFMAType0EEvPKT_PKT0_S8_ifPKiSA_SA_iPKfiiiPfSD_PS3_PT2_iSC_SC_.kd
    .uniform_work_group_size: 1
    .uses_dynamic_stack: false
    .vgpr_count:     218
    .vgpr_spill_count: 0
    .wavefront_size: 32
    .workgroup_processor_mode: 1
  - .args:
      - .actual_access:  read_only
        .address_space:  global
        .offset:         0
        .size:           8
        .value_kind:     global_buffer
      - .actual_access:  read_only
        .address_space:  global
        .offset:         8
        .size:           8
        .value_kind:     global_buffer
      - .actual_access:  read_only
        .address_space:  global
        .offset:         16
        .size:           8
        .value_kind:     global_buffer
      - .offset:         24
        .size:           4
        .value_kind:     by_value
      - .offset:         28
        .size:           4
        .value_kind:     by_value
      - .actual_access:  read_only
        .address_space:  global
        .offset:         32
        .size:           8
        .value_kind:     global_buffer
      - .actual_access:  read_only
        .address_space:  global
        .offset:         40
        .size:           8
        .value_kind:     global_buffer
      - .actual_access:  read_only
        .address_space:  global
        .offset:         48
        .size:           8
        .value_kind:     global_buffer
      - .offset:         56
        .size:           4
        .value_kind:     by_value
      - .actual_access:  read_only
        .address_space:  global
        .offset:         64
        .size:           8
        .value_kind:     global_buffer
      - .offset:         72
        .size:           4
        .value_kind:     by_value
      - .offset:         76
        .size:           4
        .value_kind:     by_value
      - .offset:         80
        .size:           4
        .value_kind:     by_value
      - .actual_access:  write_only
        .address_space:  global
        .offset:         88
        .size:           8
        .value_kind:     global_buffer
      - .actual_access:  write_only
        .address_space:  global
        .offset:         96
        .size:           8
        .value_kind:     global_buffer
      - .actual_access:  write_only
        .address_space:  global
        .offset:         104
        .size:           8
        .value_kind:     global_buffer
      - .actual_access:  read_only
        .address_space:  global
        .offset:         112
        .size:           8
        .value_kind:     global_buffer
      - .offset:         120
        .size:           4
        .value_kind:     by_value
      - .address_space:  global
        .offset:         128
        .size:           8
        .value_kind:     global_buffer
      - .address_space:  global
        .offset:         136
        .size:           8
        .value_kind:     global_buffer
      - .offset:         144
        .size:           4
        .value_kind:     hidden_block_count_x
      - .offset:         148
        .size:           4
        .value_kind:     hidden_block_count_y
      - .offset:         152
        .size:           4
        .value_kind:     hidden_block_count_z
      - .offset:         156
        .size:           2
        .value_kind:     hidden_group_size_x
      - .offset:         158
        .size:           2
        .value_kind:     hidden_group_size_y
      - .offset:         160
        .size:           2
        .value_kind:     hidden_group_size_z
      - .offset:         162
        .size:           2
        .value_kind:     hidden_remainder_x
      - .offset:         164
        .size:           2
        .value_kind:     hidden_remainder_y
      - .offset:         166
        .size:           2
        .value_kind:     hidden_remainder_z
      - .offset:         184
        .size:           8
        .value_kind:     hidden_global_offset_x
      - .offset:         192
        .size:           8
        .value_kind:     hidden_global_offset_y
      - .offset:         200
        .size:           8
        .value_kind:     hidden_global_offset_z
      - .offset:         208
        .size:           2
        .value_kind:     hidden_grid_dims
    .group_segment_fixed_size: 17472
    .kernarg_segment_align: 8
    .kernarg_segment_size: 400
    .language:       OpenCL C
    .language_version:
      - 2
      - 0
    .max_flat_workgroup_size: 256
    .name:           _Z39paged_attention_ll4mi_QKV_mfma16_kernelIDF16_DF16_LN4vllm18Fp8KVCacheDataTypeE0EhLi16ELi128ELi256ELb1ELi4EL8MFMAType0EEvPKT_PKT0_S8_ifPKiSA_SA_iPKfiiiPfSD_PS3_PT2_iSC_SC_
    .private_segment_fixed_size: 0
    .sgpr_count:     54
    .sgpr_spill_count: 0
    .symbol:         _Z39paged_attention_ll4mi_QKV_mfma16_kernelIDF16_DF16_LN4vllm18Fp8KVCacheDataTypeE0EhLi16ELi128ELi256ELb1ELi4EL8MFMAType0EEvPKT_PKT0_S8_ifPKiSA_SA_iPKfiiiPfSD_PS3_PT2_iSC_SC_.kd
    .uniform_work_group_size: 1
    .uses_dynamic_stack: false
    .vgpr_count:     218
    .vgpr_spill_count: 0
    .wavefront_size: 32
    .workgroup_processor_mode: 1
  - .args:
      - .actual_access:  write_only
        .address_space:  global
        .offset:         0
        .size:           8
        .value_kind:     global_buffer
      - .actual_access:  read_only
        .address_space:  global
        .offset:         8
        .size:           8
        .value_kind:     global_buffer
      - .actual_access:  read_only
        .address_space:  global
        .offset:         16
        .size:           8
        .value_kind:     global_buffer
      - .actual_access:  read_only
        .address_space:  global
        .offset:         24
        .size:           8
        .value_kind:     global_buffer
      - .actual_access:  read_only
        .address_space:  global
        .offset:         32
        .size:           8
        .value_kind:     global_buffer
      - .actual_access:  read_only
        .address_space:  global
        .offset:         40
        .size:           8
        .value_kind:     global_buffer
      - .offset:         48
        .size:           4
        .value_kind:     by_value
      - .actual_access:  read_only
        .address_space:  global
        .offset:         56
        .size:           8
        .value_kind:     global_buffer
      - .offset:         64
        .size:           4
        .value_kind:     hidden_block_count_x
      - .offset:         68
        .size:           4
        .value_kind:     hidden_block_count_y
      - .offset:         72
        .size:           4
        .value_kind:     hidden_block_count_z
      - .offset:         76
        .size:           2
        .value_kind:     hidden_group_size_x
      - .offset:         78
        .size:           2
        .value_kind:     hidden_group_size_y
      - .offset:         80
        .size:           2
        .value_kind:     hidden_group_size_z
      - .offset:         82
        .size:           2
        .value_kind:     hidden_remainder_x
      - .offset:         84
        .size:           2
        .value_kind:     hidden_remainder_y
      - .offset:         86
        .size:           2
        .value_kind:     hidden_remainder_z
      - .offset:         104
        .size:           8
        .value_kind:     hidden_global_offset_x
      - .offset:         112
        .size:           8
        .value_kind:     hidden_global_offset_y
      - .offset:         120
        .size:           8
        .value_kind:     hidden_global_offset_z
      - .offset:         128
        .size:           2
        .value_kind:     hidden_grid_dims
    .group_segment_fixed_size: 1156
    .kernarg_segment_align: 8
    .kernarg_segment_size: 320
    .language:       OpenCL C
    .language_version:
      - 2
      - 0
    .max_flat_workgroup_size: 128
    .name:           _Z35paged_attention_ll4mi_reduce_kernelIDF16_hLi128ELi128ELi256ELi9EEvPT0_PKfS3_PKT_PKiS8_iS3_
    .private_segment_fixed_size: 0
    .sgpr_count:     49
    .sgpr_spill_count: 0
    .symbol:         _Z35paged_attention_ll4mi_reduce_kernelIDF16_hLi128ELi128ELi256ELi9EEvPT0_PKfS3_PKT_PKiS8_iS3_.kd
    .uniform_work_group_size: 1
    .uses_dynamic_stack: false
    .vgpr_count:     52
    .vgpr_spill_count: 0
    .wavefront_size: 32
    .workgroup_processor_mode: 1
  - .args:
      - .actual_access:  write_only
        .address_space:  global
        .offset:         0
        .size:           8
        .value_kind:     global_buffer
      - .actual_access:  read_only
        .address_space:  global
        .offset:         8
        .size:           8
        .value_kind:     global_buffer
      - .actual_access:  read_only
        .address_space:  global
        .offset:         16
        .size:           8
        .value_kind:     global_buffer
      - .actual_access:  read_only
        .address_space:  global
        .offset:         24
        .size:           8
        .value_kind:     global_buffer
      - .actual_access:  read_only
        .address_space:  global
        .offset:         32
        .size:           8
        .value_kind:     global_buffer
      - .actual_access:  read_only
        .address_space:  global
        .offset:         40
        .size:           8
        .value_kind:     global_buffer
      - .offset:         48
        .size:           4
        .value_kind:     by_value
      - .actual_access:  read_only
        .address_space:  global
        .offset:         56
        .size:           8
        .value_kind:     global_buffer
      - .offset:         64
        .size:           4
        .value_kind:     hidden_block_count_x
      - .offset:         68
        .size:           4
        .value_kind:     hidden_block_count_y
      - .offset:         72
        .size:           4
        .value_kind:     hidden_block_count_z
      - .offset:         76
        .size:           2
        .value_kind:     hidden_group_size_x
      - .offset:         78
        .size:           2
        .value_kind:     hidden_group_size_y
      - .offset:         80
        .size:           2
        .value_kind:     hidden_group_size_z
      - .offset:         82
        .size:           2
        .value_kind:     hidden_remainder_x
      - .offset:         84
        .size:           2
        .value_kind:     hidden_remainder_y
      - .offset:         86
        .size:           2
        .value_kind:     hidden_remainder_z
      - .offset:         104
        .size:           8
        .value_kind:     hidden_global_offset_x
      - .offset:         112
        .size:           8
        .value_kind:     hidden_global_offset_y
      - .offset:         120
        .size:           8
        .value_kind:     hidden_global_offset_z
      - .offset:         128
        .size:           2
        .value_kind:     hidden_grid_dims
    .group_segment_fixed_size: 1284
    .kernarg_segment_align: 8
    .kernarg_segment_size: 320
    .language:       OpenCL C
    .language_version:
      - 2
      - 0
    .max_flat_workgroup_size: 128
    .name:           _Z35paged_attention_ll4mi_reduce_kernelIDF16_hLi128ELi128ELi256ELi10EEvPT0_PKfS3_PKT_PKiS8_iS3_
    .private_segment_fixed_size: 0
    .sgpr_count:     49
    .sgpr_spill_count: 0
    .symbol:         _Z35paged_attention_ll4mi_reduce_kernelIDF16_hLi128ELi128ELi256ELi10EEvPT0_PKfS3_PKT_PKiS8_iS3_.kd
    .uniform_work_group_size: 1
    .uses_dynamic_stack: false
    .vgpr_count:     57
    .vgpr_spill_count: 0
    .wavefront_size: 32
    .workgroup_processor_mode: 1
  - .args:
      - .actual_access:  write_only
        .address_space:  global
        .offset:         0
        .size:           8
        .value_kind:     global_buffer
      - .actual_access:  read_only
        .address_space:  global
        .offset:         8
        .size:           8
        .value_kind:     global_buffer
      - .actual_access:  read_only
        .address_space:  global
        .offset:         16
        .size:           8
        .value_kind:     global_buffer
      - .actual_access:  read_only
        .address_space:  global
        .offset:         24
        .size:           8
        .value_kind:     global_buffer
      - .actual_access:  read_only
        .address_space:  global
        .offset:         32
        .size:           8
        .value_kind:     global_buffer
      - .actual_access:  read_only
        .address_space:  global
        .offset:         40
        .size:           8
        .value_kind:     global_buffer
      - .offset:         48
        .size:           4
        .value_kind:     by_value
      - .actual_access:  read_only
        .address_space:  global
        .offset:         56
        .size:           8
        .value_kind:     global_buffer
      - .offset:         64
        .size:           4
        .value_kind:     hidden_block_count_x
      - .offset:         68
        .size:           4
        .value_kind:     hidden_block_count_y
      - .offset:         72
        .size:           4
        .value_kind:     hidden_block_count_z
      - .offset:         76
        .size:           2
        .value_kind:     hidden_group_size_x
      - .offset:         78
        .size:           2
        .value_kind:     hidden_group_size_y
      - .offset:         80
        .size:           2
        .value_kind:     hidden_group_size_z
      - .offset:         82
        .size:           2
        .value_kind:     hidden_remainder_x
      - .offset:         84
        .size:           2
        .value_kind:     hidden_remainder_y
      - .offset:         86
        .size:           2
        .value_kind:     hidden_remainder_z
      - .offset:         104
        .size:           8
        .value_kind:     hidden_global_offset_x
      - .offset:         112
        .size:           8
        .value_kind:     hidden_global_offset_y
      - .offset:         120
        .size:           8
        .value_kind:     hidden_global_offset_z
      - .offset:         128
        .size:           2
        .value_kind:     hidden_grid_dims
    .group_segment_fixed_size: 1412
    .kernarg_segment_align: 8
    .kernarg_segment_size: 320
    .language:       OpenCL C
    .language_version:
      - 2
      - 0
    .max_flat_workgroup_size: 128
    .name:           _Z35paged_attention_ll4mi_reduce_kernelIDF16_hLi128ELi128ELi256ELi11EEvPT0_PKfS3_PKT_PKiS8_iS3_
    .private_segment_fixed_size: 0
    .sgpr_count:     49
    .sgpr_spill_count: 0
    .symbol:         _Z35paged_attention_ll4mi_reduce_kernelIDF16_hLi128ELi128ELi256ELi11EEvPT0_PKfS3_PKT_PKiS8_iS3_.kd
    .uniform_work_group_size: 1
    .uses_dynamic_stack: false
    .vgpr_count:     62
    .vgpr_spill_count: 0
    .wavefront_size: 32
    .workgroup_processor_mode: 1
  - .args:
      - .actual_access:  write_only
        .address_space:  global
        .offset:         0
        .size:           8
        .value_kind:     global_buffer
      - .actual_access:  read_only
        .address_space:  global
        .offset:         8
        .size:           8
        .value_kind:     global_buffer
      - .actual_access:  read_only
        .address_space:  global
        .offset:         16
        .size:           8
        .value_kind:     global_buffer
      - .actual_access:  read_only
        .address_space:  global
        .offset:         24
        .size:           8
        .value_kind:     global_buffer
      - .actual_access:  read_only
        .address_space:  global
        .offset:         32
        .size:           8
        .value_kind:     global_buffer
      - .actual_access:  read_only
        .address_space:  global
        .offset:         40
        .size:           8
        .value_kind:     global_buffer
      - .offset:         48
        .size:           4
        .value_kind:     by_value
      - .actual_access:  read_only
        .address_space:  global
        .offset:         56
        .size:           8
        .value_kind:     global_buffer
      - .offset:         64
        .size:           4
        .value_kind:     hidden_block_count_x
      - .offset:         68
        .size:           4
        .value_kind:     hidden_block_count_y
      - .offset:         72
        .size:           4
        .value_kind:     hidden_block_count_z
      - .offset:         76
        .size:           2
        .value_kind:     hidden_group_size_x
      - .offset:         78
        .size:           2
        .value_kind:     hidden_group_size_y
      - .offset:         80
        .size:           2
        .value_kind:     hidden_group_size_z
      - .offset:         82
        .size:           2
        .value_kind:     hidden_remainder_x
      - .offset:         84
        .size:           2
        .value_kind:     hidden_remainder_y
      - .offset:         86
        .size:           2
        .value_kind:     hidden_remainder_z
      - .offset:         104
        .size:           8
        .value_kind:     hidden_global_offset_x
      - .offset:         112
        .size:           8
        .value_kind:     hidden_global_offset_y
      - .offset:         120
        .size:           8
        .value_kind:     hidden_global_offset_z
      - .offset:         128
        .size:           2
        .value_kind:     hidden_grid_dims
    .group_segment_fixed_size: 1540
    .kernarg_segment_align: 8
    .kernarg_segment_size: 320
    .language:       OpenCL C
    .language_version:
      - 2
      - 0
    .max_flat_workgroup_size: 128
    .name:           _Z35paged_attention_ll4mi_reduce_kernelIDF16_hLi128ELi128ELi256ELi12EEvPT0_PKfS3_PKT_PKiS8_iS3_
    .private_segment_fixed_size: 0
    .sgpr_count:     49
    .sgpr_spill_count: 0
    .symbol:         _Z35paged_attention_ll4mi_reduce_kernelIDF16_hLi128ELi128ELi256ELi12EEvPT0_PKfS3_PKT_PKiS8_iS3_.kd
    .uniform_work_group_size: 1
    .uses_dynamic_stack: false
    .vgpr_count:     67
    .vgpr_spill_count: 0
    .wavefront_size: 32
    .workgroup_processor_mode: 1
  - .args:
      - .actual_access:  write_only
        .address_space:  global
        .offset:         0
        .size:           8
        .value_kind:     global_buffer
      - .actual_access:  read_only
        .address_space:  global
        .offset:         8
        .size:           8
        .value_kind:     global_buffer
      - .actual_access:  read_only
        .address_space:  global
        .offset:         16
        .size:           8
        .value_kind:     global_buffer
      - .actual_access:  read_only
        .address_space:  global
        .offset:         24
        .size:           8
        .value_kind:     global_buffer
      - .actual_access:  read_only
        .address_space:  global
        .offset:         32
        .size:           8
        .value_kind:     global_buffer
      - .actual_access:  read_only
        .address_space:  global
        .offset:         40
        .size:           8
        .value_kind:     global_buffer
      - .offset:         48
        .size:           4
        .value_kind:     by_value
      - .actual_access:  read_only
        .address_space:  global
        .offset:         56
        .size:           8
        .value_kind:     global_buffer
      - .offset:         64
        .size:           4
        .value_kind:     hidden_block_count_x
      - .offset:         68
        .size:           4
        .value_kind:     hidden_block_count_y
      - .offset:         72
        .size:           4
        .value_kind:     hidden_block_count_z
      - .offset:         76
        .size:           2
        .value_kind:     hidden_group_size_x
      - .offset:         78
        .size:           2
        .value_kind:     hidden_group_size_y
      - .offset:         80
        .size:           2
        .value_kind:     hidden_group_size_z
      - .offset:         82
        .size:           2
        .value_kind:     hidden_remainder_x
      - .offset:         84
        .size:           2
        .value_kind:     hidden_remainder_y
      - .offset:         86
        .size:           2
        .value_kind:     hidden_remainder_z
      - .offset:         104
        .size:           8
        .value_kind:     hidden_global_offset_x
      - .offset:         112
        .size:           8
        .value_kind:     hidden_global_offset_y
      - .offset:         120
        .size:           8
        .value_kind:     hidden_global_offset_z
      - .offset:         128
        .size:           2
        .value_kind:     hidden_grid_dims
    .group_segment_fixed_size: 1668
    .kernarg_segment_align: 8
    .kernarg_segment_size: 320
    .language:       OpenCL C
    .language_version:
      - 2
      - 0
    .max_flat_workgroup_size: 128
    .name:           _Z35paged_attention_ll4mi_reduce_kernelIDF16_hLi128ELi128ELi256ELi13EEvPT0_PKfS3_PKT_PKiS8_iS3_
    .private_segment_fixed_size: 0
    .sgpr_count:     49
    .sgpr_spill_count: 0
    .symbol:         _Z35paged_attention_ll4mi_reduce_kernelIDF16_hLi128ELi128ELi256ELi13EEvPT0_PKfS3_PKT_PKiS8_iS3_.kd
    .uniform_work_group_size: 1
    .uses_dynamic_stack: false
    .vgpr_count:     68
    .vgpr_spill_count: 0
    .wavefront_size: 32
    .workgroup_processor_mode: 1
  - .args:
      - .actual_access:  write_only
        .address_space:  global
        .offset:         0
        .size:           8
        .value_kind:     global_buffer
      - .actual_access:  read_only
        .address_space:  global
        .offset:         8
        .size:           8
        .value_kind:     global_buffer
      - .actual_access:  read_only
        .address_space:  global
        .offset:         16
        .size:           8
        .value_kind:     global_buffer
      - .actual_access:  read_only
        .address_space:  global
        .offset:         24
        .size:           8
        .value_kind:     global_buffer
      - .actual_access:  read_only
        .address_space:  global
        .offset:         32
        .size:           8
        .value_kind:     global_buffer
      - .actual_access:  read_only
        .address_space:  global
        .offset:         40
        .size:           8
        .value_kind:     global_buffer
      - .offset:         48
        .size:           4
        .value_kind:     by_value
      - .actual_access:  read_only
        .address_space:  global
        .offset:         56
        .size:           8
        .value_kind:     global_buffer
      - .offset:         64
        .size:           4
        .value_kind:     hidden_block_count_x
      - .offset:         68
        .size:           4
        .value_kind:     hidden_block_count_y
      - .offset:         72
        .size:           4
        .value_kind:     hidden_block_count_z
      - .offset:         76
        .size:           2
        .value_kind:     hidden_group_size_x
      - .offset:         78
        .size:           2
        .value_kind:     hidden_group_size_y
      - .offset:         80
        .size:           2
        .value_kind:     hidden_group_size_z
      - .offset:         82
        .size:           2
        .value_kind:     hidden_remainder_x
      - .offset:         84
        .size:           2
        .value_kind:     hidden_remainder_y
      - .offset:         86
        .size:           2
        .value_kind:     hidden_remainder_z
      - .offset:         104
        .size:           8
        .value_kind:     hidden_global_offset_x
      - .offset:         112
        .size:           8
        .value_kind:     hidden_global_offset_y
      - .offset:         120
        .size:           8
        .value_kind:     hidden_global_offset_z
      - .offset:         128
        .size:           2
        .value_kind:     hidden_grid_dims
    .group_segment_fixed_size: 1796
    .kernarg_segment_align: 8
    .kernarg_segment_size: 320
    .language:       OpenCL C
    .language_version:
      - 2
      - 0
    .max_flat_workgroup_size: 128
    .name:           _Z35paged_attention_ll4mi_reduce_kernelIDF16_hLi128ELi128ELi256ELi14EEvPT0_PKfS3_PKT_PKiS8_iS3_
    .private_segment_fixed_size: 0
    .sgpr_count:     49
    .sgpr_spill_count: 0
    .symbol:         _Z35paged_attention_ll4mi_reduce_kernelIDF16_hLi128ELi128ELi256ELi14EEvPT0_PKfS3_PKT_PKiS8_iS3_.kd
    .uniform_work_group_size: 1
    .uses_dynamic_stack: false
    .vgpr_count:     77
    .vgpr_spill_count: 0
    .wavefront_size: 32
    .workgroup_processor_mode: 1
  - .args:
      - .actual_access:  write_only
        .address_space:  global
        .offset:         0
        .size:           8
        .value_kind:     global_buffer
      - .actual_access:  read_only
        .address_space:  global
        .offset:         8
        .size:           8
        .value_kind:     global_buffer
      - .actual_access:  read_only
        .address_space:  global
        .offset:         16
        .size:           8
        .value_kind:     global_buffer
      - .actual_access:  read_only
        .address_space:  global
        .offset:         24
        .size:           8
        .value_kind:     global_buffer
      - .actual_access:  read_only
        .address_space:  global
        .offset:         32
        .size:           8
        .value_kind:     global_buffer
      - .actual_access:  read_only
        .address_space:  global
        .offset:         40
        .size:           8
        .value_kind:     global_buffer
      - .offset:         48
        .size:           4
        .value_kind:     by_value
      - .actual_access:  read_only
        .address_space:  global
        .offset:         56
        .size:           8
        .value_kind:     global_buffer
      - .offset:         64
        .size:           4
        .value_kind:     hidden_block_count_x
      - .offset:         68
        .size:           4
        .value_kind:     hidden_block_count_y
      - .offset:         72
        .size:           4
        .value_kind:     hidden_block_count_z
      - .offset:         76
        .size:           2
        .value_kind:     hidden_group_size_x
      - .offset:         78
        .size:           2
        .value_kind:     hidden_group_size_y
      - .offset:         80
        .size:           2
        .value_kind:     hidden_group_size_z
      - .offset:         82
        .size:           2
        .value_kind:     hidden_remainder_x
      - .offset:         84
        .size:           2
        .value_kind:     hidden_remainder_y
      - .offset:         86
        .size:           2
        .value_kind:     hidden_remainder_z
      - .offset:         104
        .size:           8
        .value_kind:     hidden_global_offset_x
      - .offset:         112
        .size:           8
        .value_kind:     hidden_global_offset_y
      - .offset:         120
        .size:           8
        .value_kind:     hidden_global_offset_z
      - .offset:         128
        .size:           2
        .value_kind:     hidden_grid_dims
    .group_segment_fixed_size: 1924
    .kernarg_segment_align: 8
    .kernarg_segment_size: 320
    .language:       OpenCL C
    .language_version:
      - 2
      - 0
    .max_flat_workgroup_size: 128
    .name:           _Z35paged_attention_ll4mi_reduce_kernelIDF16_hLi128ELi128ELi256ELi15EEvPT0_PKfS3_PKT_PKiS8_iS3_
    .private_segment_fixed_size: 0
    .sgpr_count:     49
    .sgpr_spill_count: 0
    .symbol:         _Z35paged_attention_ll4mi_reduce_kernelIDF16_hLi128ELi128ELi256ELi15EEvPT0_PKfS3_PKT_PKiS8_iS3_.kd
    .uniform_work_group_size: 1
    .uses_dynamic_stack: false
    .vgpr_count:     77
    .vgpr_spill_count: 0
    .wavefront_size: 32
    .workgroup_processor_mode: 1
  - .args:
      - .actual_access:  write_only
        .address_space:  global
        .offset:         0
        .size:           8
        .value_kind:     global_buffer
      - .actual_access:  read_only
        .address_space:  global
        .offset:         8
        .size:           8
        .value_kind:     global_buffer
      - .actual_access:  read_only
        .address_space:  global
        .offset:         16
        .size:           8
        .value_kind:     global_buffer
      - .actual_access:  read_only
        .address_space:  global
        .offset:         24
        .size:           8
        .value_kind:     global_buffer
      - .actual_access:  read_only
        .address_space:  global
        .offset:         32
        .size:           8
        .value_kind:     global_buffer
      - .actual_access:  read_only
        .address_space:  global
        .offset:         40
        .size:           8
        .value_kind:     global_buffer
      - .offset:         48
        .size:           4
        .value_kind:     by_value
      - .actual_access:  read_only
        .address_space:  global
        .offset:         56
        .size:           8
        .value_kind:     global_buffer
      - .offset:         64
        .size:           4
        .value_kind:     hidden_block_count_x
      - .offset:         68
        .size:           4
        .value_kind:     hidden_block_count_y
      - .offset:         72
        .size:           4
        .value_kind:     hidden_block_count_z
      - .offset:         76
        .size:           2
        .value_kind:     hidden_group_size_x
      - .offset:         78
        .size:           2
        .value_kind:     hidden_group_size_y
      - .offset:         80
        .size:           2
        .value_kind:     hidden_group_size_z
      - .offset:         82
        .size:           2
        .value_kind:     hidden_remainder_x
      - .offset:         84
        .size:           2
        .value_kind:     hidden_remainder_y
      - .offset:         86
        .size:           2
        .value_kind:     hidden_remainder_z
      - .offset:         104
        .size:           8
        .value_kind:     hidden_global_offset_x
      - .offset:         112
        .size:           8
        .value_kind:     hidden_global_offset_y
      - .offset:         120
        .size:           8
        .value_kind:     hidden_global_offset_z
      - .offset:         128
        .size:           2
        .value_kind:     hidden_grid_dims
    .group_segment_fixed_size: 2052
    .kernarg_segment_align: 8
    .kernarg_segment_size: 320
    .language:       OpenCL C
    .language_version:
      - 2
      - 0
    .max_flat_workgroup_size: 128
    .name:           _Z35paged_attention_ll4mi_reduce_kernelIDF16_hLi128ELi128ELi256ELi16EEvPT0_PKfS3_PKT_PKiS8_iS3_
    .private_segment_fixed_size: 0
    .sgpr_count:     49
    .sgpr_spill_count: 0
    .symbol:         _Z35paged_attention_ll4mi_reduce_kernelIDF16_hLi128ELi128ELi256ELi16EEvPT0_PKfS3_PKT_PKiS8_iS3_.kd
    .uniform_work_group_size: 1
    .uses_dynamic_stack: false
    .vgpr_count:     87
    .vgpr_spill_count: 0
    .wavefront_size: 32
    .workgroup_processor_mode: 1
  - .args:
      - .actual_access:  read_only
        .address_space:  global
        .offset:         0
        .size:           8
        .value_kind:     global_buffer
      - .actual_access:  read_only
        .address_space:  global
        .offset:         8
        .size:           8
        .value_kind:     global_buffer
      - .actual_access:  read_only
        .address_space:  global
        .offset:         16
        .size:           8
        .value_kind:     global_buffer
      - .offset:         24
        .size:           4
        .value_kind:     by_value
      - .offset:         28
        .size:           4
        .value_kind:     by_value
      - .actual_access:  read_only
        .address_space:  global
        .offset:         32
        .size:           8
        .value_kind:     global_buffer
      - .actual_access:  read_only
        .address_space:  global
        .offset:         40
        .size:           8
        .value_kind:     global_buffer
      - .actual_access:  read_only
        .address_space:  global
        .offset:         48
        .size:           8
        .value_kind:     global_buffer
      - .offset:         56
        .size:           4
        .value_kind:     by_value
      - .actual_access:  read_only
        .address_space:  global
        .offset:         64
        .size:           8
        .value_kind:     global_buffer
      - .offset:         72
        .size:           4
        .value_kind:     by_value
      - .offset:         76
        .size:           4
        .value_kind:     by_value
      - .offset:         80
        .size:           4
        .value_kind:     by_value
      - .actual_access:  read_only
        .address_space:  global
        .offset:         88
        .size:           8
        .value_kind:     global_buffer
      - .actual_access:  read_only
        .address_space:  global
        .offset:         96
        .size:           8
        .value_kind:     global_buffer
      - .actual_access:  read_only
        .address_space:  global
        .offset:         104
        .size:           8
        .value_kind:     global_buffer
      - .actual_access:  read_only
        .address_space:  global
        .offset:         112
        .size:           8
        .value_kind:     global_buffer
      - .offset:         120
        .size:           4
        .value_kind:     by_value
      - .address_space:  global
        .offset:         128
        .size:           8
        .value_kind:     global_buffer
      - .address_space:  global
        .offset:         136
        .size:           8
        .value_kind:     global_buffer
      - .offset:         144
        .size:           4
        .value_kind:     hidden_block_count_x
      - .offset:         148
        .size:           4
        .value_kind:     hidden_block_count_y
      - .offset:         152
        .size:           4
        .value_kind:     hidden_block_count_z
      - .offset:         156
        .size:           2
        .value_kind:     hidden_group_size_x
      - .offset:         158
        .size:           2
        .value_kind:     hidden_group_size_y
      - .offset:         160
        .size:           2
        .value_kind:     hidden_group_size_z
      - .offset:         162
        .size:           2
        .value_kind:     hidden_remainder_x
      - .offset:         164
        .size:           2
        .value_kind:     hidden_remainder_y
      - .offset:         166
        .size:           2
        .value_kind:     hidden_remainder_z
      - .offset:         184
        .size:           8
        .value_kind:     hidden_global_offset_x
      - .offset:         192
        .size:           8
        .value_kind:     hidden_global_offset_y
      - .offset:         200
        .size:           8
        .value_kind:     hidden_global_offset_z
      - .offset:         208
        .size:           2
        .value_kind:     hidden_grid_dims
      - .offset:         224
        .size:           8
        .value_kind:     hidden_hostcall_buffer
    .group_segment_fixed_size: 0
    .kernarg_segment_align: 8
    .kernarg_segment_size: 400
    .language:       OpenCL C
    .language_version:
      - 2
      - 0
    .max_flat_workgroup_size: 256
    .name:           _Z38paged_attention_ll4mi_QKV_mfma4_kernelIDF16_DF16_LN4vllm18Fp8KVCacheDataTypeE0EhLi16ELi128ELi256ELb0ELi1EEvPKT_PKT0_S7_ifPKiS9_S9_iPKfiiiPfSC_PS2_PT2_iSB_SB_
    .private_segment_fixed_size: 64
    .sgpr_count:     36
    .sgpr_spill_count: 0
    .symbol:         _Z38paged_attention_ll4mi_QKV_mfma4_kernelIDF16_DF16_LN4vllm18Fp8KVCacheDataTypeE0EhLi16ELi128ELi256ELb0ELi1EEvPKT_PKT0_S7_ifPKiS9_S9_iPKfiiiPfSC_PS2_PT2_iSB_SB_.kd
    .uniform_work_group_size: 1
    .uses_dynamic_stack: false
    .vgpr_count:     41
    .vgpr_spill_count: 0
    .wavefront_size: 32
    .workgroup_processor_mode: 1
  - .args:
      - .actual_access:  read_only
        .address_space:  global
        .offset:         0
        .size:           8
        .value_kind:     global_buffer
      - .actual_access:  read_only
        .address_space:  global
        .offset:         8
        .size:           8
        .value_kind:     global_buffer
      - .actual_access:  read_only
        .address_space:  global
        .offset:         16
        .size:           8
        .value_kind:     global_buffer
      - .offset:         24
        .size:           4
        .value_kind:     by_value
      - .offset:         28
        .size:           4
        .value_kind:     by_value
      - .actual_access:  read_only
        .address_space:  global
        .offset:         32
        .size:           8
        .value_kind:     global_buffer
      - .actual_access:  read_only
        .address_space:  global
        .offset:         40
        .size:           8
        .value_kind:     global_buffer
      - .actual_access:  read_only
        .address_space:  global
        .offset:         48
        .size:           8
        .value_kind:     global_buffer
      - .offset:         56
        .size:           4
        .value_kind:     by_value
      - .actual_access:  read_only
        .address_space:  global
        .offset:         64
        .size:           8
        .value_kind:     global_buffer
      - .offset:         72
        .size:           4
        .value_kind:     by_value
      - .offset:         76
        .size:           4
        .value_kind:     by_value
      - .offset:         80
        .size:           4
        .value_kind:     by_value
      - .actual_access:  read_only
        .address_space:  global
        .offset:         88
        .size:           8
        .value_kind:     global_buffer
      - .actual_access:  read_only
        .address_space:  global
        .offset:         96
        .size:           8
        .value_kind:     global_buffer
      - .actual_access:  read_only
        .address_space:  global
        .offset:         104
        .size:           8
        .value_kind:     global_buffer
      - .actual_access:  read_only
        .address_space:  global
        .offset:         112
        .size:           8
        .value_kind:     global_buffer
      - .offset:         120
        .size:           4
        .value_kind:     by_value
      - .address_space:  global
        .offset:         128
        .size:           8
        .value_kind:     global_buffer
      - .address_space:  global
        .offset:         136
        .size:           8
        .value_kind:     global_buffer
      - .offset:         144
        .size:           4
        .value_kind:     hidden_block_count_x
      - .offset:         148
        .size:           4
        .value_kind:     hidden_block_count_y
      - .offset:         152
        .size:           4
        .value_kind:     hidden_block_count_z
      - .offset:         156
        .size:           2
        .value_kind:     hidden_group_size_x
      - .offset:         158
        .size:           2
        .value_kind:     hidden_group_size_y
      - .offset:         160
        .size:           2
        .value_kind:     hidden_group_size_z
      - .offset:         162
        .size:           2
        .value_kind:     hidden_remainder_x
      - .offset:         164
        .size:           2
        .value_kind:     hidden_remainder_y
      - .offset:         166
        .size:           2
        .value_kind:     hidden_remainder_z
      - .offset:         184
        .size:           8
        .value_kind:     hidden_global_offset_x
      - .offset:         192
        .size:           8
        .value_kind:     hidden_global_offset_y
      - .offset:         200
        .size:           8
        .value_kind:     hidden_global_offset_z
      - .offset:         208
        .size:           2
        .value_kind:     hidden_grid_dims
      - .offset:         224
        .size:           8
        .value_kind:     hidden_hostcall_buffer
    .group_segment_fixed_size: 0
    .kernarg_segment_align: 8
    .kernarg_segment_size: 400
    .language:       OpenCL C
    .language_version:
      - 2
      - 0
    .max_flat_workgroup_size: 256
    .name:           _Z38paged_attention_ll4mi_QKV_mfma4_kernelIDF16_DF16_LN4vllm18Fp8KVCacheDataTypeE0EhLi16ELi128ELi256ELb0ELi2EEvPKT_PKT0_S7_ifPKiS9_S9_iPKfiiiPfSC_PS2_PT2_iSB_SB_
    .private_segment_fixed_size: 64
    .sgpr_count:     36
    .sgpr_spill_count: 0
    .symbol:         _Z38paged_attention_ll4mi_QKV_mfma4_kernelIDF16_DF16_LN4vllm18Fp8KVCacheDataTypeE0EhLi16ELi128ELi256ELb0ELi2EEvPKT_PKT0_S7_ifPKiS9_S9_iPKfiiiPfSC_PS2_PT2_iSB_SB_.kd
    .uniform_work_group_size: 1
    .uses_dynamic_stack: false
    .vgpr_count:     41
    .vgpr_spill_count: 0
    .wavefront_size: 32
    .workgroup_processor_mode: 1
  - .args:
      - .actual_access:  read_only
        .address_space:  global
        .offset:         0
        .size:           8
        .value_kind:     global_buffer
      - .actual_access:  read_only
        .address_space:  global
        .offset:         8
        .size:           8
        .value_kind:     global_buffer
      - .actual_access:  read_only
        .address_space:  global
        .offset:         16
        .size:           8
        .value_kind:     global_buffer
      - .offset:         24
        .size:           4
        .value_kind:     by_value
      - .offset:         28
        .size:           4
        .value_kind:     by_value
      - .actual_access:  read_only
        .address_space:  global
        .offset:         32
        .size:           8
        .value_kind:     global_buffer
      - .actual_access:  read_only
        .address_space:  global
        .offset:         40
        .size:           8
        .value_kind:     global_buffer
      - .actual_access:  read_only
        .address_space:  global
        .offset:         48
        .size:           8
        .value_kind:     global_buffer
      - .offset:         56
        .size:           4
        .value_kind:     by_value
      - .actual_access:  read_only
        .address_space:  global
        .offset:         64
        .size:           8
        .value_kind:     global_buffer
      - .offset:         72
        .size:           4
        .value_kind:     by_value
      - .offset:         76
        .size:           4
        .value_kind:     by_value
      - .offset:         80
        .size:           4
        .value_kind:     by_value
      - .actual_access:  read_only
        .address_space:  global
        .offset:         88
        .size:           8
        .value_kind:     global_buffer
      - .actual_access:  read_only
        .address_space:  global
        .offset:         96
        .size:           8
        .value_kind:     global_buffer
      - .actual_access:  read_only
        .address_space:  global
        .offset:         104
        .size:           8
        .value_kind:     global_buffer
      - .actual_access:  read_only
        .address_space:  global
        .offset:         112
        .size:           8
        .value_kind:     global_buffer
      - .offset:         120
        .size:           4
        .value_kind:     by_value
      - .address_space:  global
        .offset:         128
        .size:           8
        .value_kind:     global_buffer
      - .address_space:  global
        .offset:         136
        .size:           8
        .value_kind:     global_buffer
      - .offset:         144
        .size:           4
        .value_kind:     hidden_block_count_x
      - .offset:         148
        .size:           4
        .value_kind:     hidden_block_count_y
      - .offset:         152
        .size:           4
        .value_kind:     hidden_block_count_z
      - .offset:         156
        .size:           2
        .value_kind:     hidden_group_size_x
      - .offset:         158
        .size:           2
        .value_kind:     hidden_group_size_y
      - .offset:         160
        .size:           2
        .value_kind:     hidden_group_size_z
      - .offset:         162
        .size:           2
        .value_kind:     hidden_remainder_x
      - .offset:         164
        .size:           2
        .value_kind:     hidden_remainder_y
      - .offset:         166
        .size:           2
        .value_kind:     hidden_remainder_z
      - .offset:         184
        .size:           8
        .value_kind:     hidden_global_offset_x
      - .offset:         192
        .size:           8
        .value_kind:     hidden_global_offset_y
      - .offset:         200
        .size:           8
        .value_kind:     hidden_global_offset_z
      - .offset:         208
        .size:           2
        .value_kind:     hidden_grid_dims
      - .offset:         224
        .size:           8
        .value_kind:     hidden_hostcall_buffer
    .group_segment_fixed_size: 0
    .kernarg_segment_align: 8
    .kernarg_segment_size: 400
    .language:       OpenCL C
    .language_version:
      - 2
      - 0
    .max_flat_workgroup_size: 256
    .name:           _Z38paged_attention_ll4mi_QKV_mfma4_kernelIDF16_DF16_LN4vllm18Fp8KVCacheDataTypeE0EhLi16ELi128ELi256ELb0ELi3EEvPKT_PKT0_S7_ifPKiS9_S9_iPKfiiiPfSC_PS2_PT2_iSB_SB_
    .private_segment_fixed_size: 64
    .sgpr_count:     36
    .sgpr_spill_count: 0
    .symbol:         _Z38paged_attention_ll4mi_QKV_mfma4_kernelIDF16_DF16_LN4vllm18Fp8KVCacheDataTypeE0EhLi16ELi128ELi256ELb0ELi3EEvPKT_PKT0_S7_ifPKiS9_S9_iPKfiiiPfSC_PS2_PT2_iSB_SB_.kd
    .uniform_work_group_size: 1
    .uses_dynamic_stack: false
    .vgpr_count:     41
    .vgpr_spill_count: 0
    .wavefront_size: 32
    .workgroup_processor_mode: 1
  - .args:
      - .actual_access:  read_only
        .address_space:  global
        .offset:         0
        .size:           8
        .value_kind:     global_buffer
      - .actual_access:  read_only
        .address_space:  global
        .offset:         8
        .size:           8
        .value_kind:     global_buffer
      - .actual_access:  read_only
        .address_space:  global
        .offset:         16
        .size:           8
        .value_kind:     global_buffer
      - .offset:         24
        .size:           4
        .value_kind:     by_value
      - .offset:         28
        .size:           4
        .value_kind:     by_value
      - .actual_access:  read_only
        .address_space:  global
        .offset:         32
        .size:           8
        .value_kind:     global_buffer
      - .actual_access:  read_only
        .address_space:  global
        .offset:         40
        .size:           8
        .value_kind:     global_buffer
      - .actual_access:  read_only
        .address_space:  global
        .offset:         48
        .size:           8
        .value_kind:     global_buffer
      - .offset:         56
        .size:           4
        .value_kind:     by_value
      - .actual_access:  read_only
        .address_space:  global
        .offset:         64
        .size:           8
        .value_kind:     global_buffer
      - .offset:         72
        .size:           4
        .value_kind:     by_value
      - .offset:         76
        .size:           4
        .value_kind:     by_value
      - .offset:         80
        .size:           4
        .value_kind:     by_value
      - .actual_access:  read_only
        .address_space:  global
        .offset:         88
        .size:           8
        .value_kind:     global_buffer
      - .actual_access:  read_only
        .address_space:  global
        .offset:         96
        .size:           8
        .value_kind:     global_buffer
      - .actual_access:  read_only
        .address_space:  global
        .offset:         104
        .size:           8
        .value_kind:     global_buffer
      - .actual_access:  read_only
        .address_space:  global
        .offset:         112
        .size:           8
        .value_kind:     global_buffer
      - .offset:         120
        .size:           4
        .value_kind:     by_value
      - .address_space:  global
        .offset:         128
        .size:           8
        .value_kind:     global_buffer
      - .address_space:  global
        .offset:         136
        .size:           8
        .value_kind:     global_buffer
      - .offset:         144
        .size:           4
        .value_kind:     hidden_block_count_x
      - .offset:         148
        .size:           4
        .value_kind:     hidden_block_count_y
      - .offset:         152
        .size:           4
        .value_kind:     hidden_block_count_z
      - .offset:         156
        .size:           2
        .value_kind:     hidden_group_size_x
      - .offset:         158
        .size:           2
        .value_kind:     hidden_group_size_y
      - .offset:         160
        .size:           2
        .value_kind:     hidden_group_size_z
      - .offset:         162
        .size:           2
        .value_kind:     hidden_remainder_x
      - .offset:         164
        .size:           2
        .value_kind:     hidden_remainder_y
      - .offset:         166
        .size:           2
        .value_kind:     hidden_remainder_z
      - .offset:         184
        .size:           8
        .value_kind:     hidden_global_offset_x
      - .offset:         192
        .size:           8
        .value_kind:     hidden_global_offset_y
      - .offset:         200
        .size:           8
        .value_kind:     hidden_global_offset_z
      - .offset:         208
        .size:           2
        .value_kind:     hidden_grid_dims
      - .offset:         224
        .size:           8
        .value_kind:     hidden_hostcall_buffer
    .group_segment_fixed_size: 0
    .kernarg_segment_align: 8
    .kernarg_segment_size: 400
    .language:       OpenCL C
    .language_version:
      - 2
      - 0
    .max_flat_workgroup_size: 256
    .name:           _Z38paged_attention_ll4mi_QKV_mfma4_kernelIDF16_DF16_LN4vllm18Fp8KVCacheDataTypeE0EhLi16ELi128ELi256ELb0ELi4EEvPKT_PKT0_S7_ifPKiS9_S9_iPKfiiiPfSC_PS2_PT2_iSB_SB_
    .private_segment_fixed_size: 64
    .sgpr_count:     36
    .sgpr_spill_count: 0
    .symbol:         _Z38paged_attention_ll4mi_QKV_mfma4_kernelIDF16_DF16_LN4vllm18Fp8KVCacheDataTypeE0EhLi16ELi128ELi256ELb0ELi4EEvPKT_PKT0_S7_ifPKiS9_S9_iPKfiiiPfSC_PS2_PT2_iSB_SB_.kd
    .uniform_work_group_size: 1
    .uses_dynamic_stack: false
    .vgpr_count:     41
    .vgpr_spill_count: 0
    .wavefront_size: 32
    .workgroup_processor_mode: 1
  - .args:
      - .actual_access:  read_only
        .address_space:  global
        .offset:         0
        .size:           8
        .value_kind:     global_buffer
      - .actual_access:  read_only
        .address_space:  global
        .offset:         8
        .size:           8
        .value_kind:     global_buffer
      - .actual_access:  read_only
        .address_space:  global
        .offset:         16
        .size:           8
        .value_kind:     global_buffer
      - .offset:         24
        .size:           4
        .value_kind:     by_value
      - .offset:         28
        .size:           4
        .value_kind:     by_value
      - .actual_access:  read_only
        .address_space:  global
        .offset:         32
        .size:           8
        .value_kind:     global_buffer
      - .actual_access:  read_only
        .address_space:  global
        .offset:         40
        .size:           8
        .value_kind:     global_buffer
      - .actual_access:  read_only
        .address_space:  global
        .offset:         48
        .size:           8
        .value_kind:     global_buffer
      - .offset:         56
        .size:           4
        .value_kind:     by_value
      - .actual_access:  read_only
        .address_space:  global
        .offset:         64
        .size:           8
        .value_kind:     global_buffer
      - .offset:         72
        .size:           4
        .value_kind:     by_value
      - .offset:         76
        .size:           4
        .value_kind:     by_value
      - .offset:         80
        .size:           4
        .value_kind:     by_value
      - .actual_access:  write_only
        .address_space:  global
        .offset:         88
        .size:           8
        .value_kind:     global_buffer
      - .actual_access:  write_only
        .address_space:  global
        .offset:         96
        .size:           8
        .value_kind:     global_buffer
      - .actual_access:  write_only
        .address_space:  global
        .offset:         104
        .size:           8
        .value_kind:     global_buffer
      - .actual_access:  read_only
        .address_space:  global
        .offset:         112
        .size:           8
        .value_kind:     global_buffer
      - .offset:         120
        .size:           4
        .value_kind:     by_value
      - .address_space:  global
        .offset:         128
        .size:           8
        .value_kind:     global_buffer
      - .address_space:  global
        .offset:         136
        .size:           8
        .value_kind:     global_buffer
      - .offset:         144
        .size:           4
        .value_kind:     hidden_block_count_x
      - .offset:         148
        .size:           4
        .value_kind:     hidden_block_count_y
      - .offset:         152
        .size:           4
        .value_kind:     hidden_block_count_z
      - .offset:         156
        .size:           2
        .value_kind:     hidden_group_size_x
      - .offset:         158
        .size:           2
        .value_kind:     hidden_group_size_y
      - .offset:         160
        .size:           2
        .value_kind:     hidden_group_size_z
      - .offset:         162
        .size:           2
        .value_kind:     hidden_remainder_x
      - .offset:         164
        .size:           2
        .value_kind:     hidden_remainder_y
      - .offset:         166
        .size:           2
        .value_kind:     hidden_remainder_z
      - .offset:         184
        .size:           8
        .value_kind:     hidden_global_offset_x
      - .offset:         192
        .size:           8
        .value_kind:     hidden_global_offset_y
      - .offset:         200
        .size:           8
        .value_kind:     hidden_global_offset_z
      - .offset:         208
        .size:           2
        .value_kind:     hidden_grid_dims
    .group_segment_fixed_size: 17472
    .kernarg_segment_align: 8
    .kernarg_segment_size: 400
    .language:       OpenCL C
    .language_version:
      - 2
      - 0
    .max_flat_workgroup_size: 256
    .name:           _Z39paged_attention_ll4mi_QKV_mfma16_kernelIDF16_DF16_LN4vllm18Fp8KVCacheDataTypeE0EhLi16ELi128ELi256ELb0ELi5EL8MFMAType0EEvPKT_PKT0_S8_ifPKiSA_SA_iPKfiiiPfSD_PS3_PT2_iSC_SC_
    .private_segment_fixed_size: 0
    .sgpr_count:     54
    .sgpr_spill_count: 0
    .symbol:         _Z39paged_attention_ll4mi_QKV_mfma16_kernelIDF16_DF16_LN4vllm18Fp8KVCacheDataTypeE0EhLi16ELi128ELi256ELb0ELi5EL8MFMAType0EEvPKT_PKT0_S8_ifPKiSA_SA_iPKfiiiPfSD_PS3_PT2_iSC_SC_.kd
    .uniform_work_group_size: 1
    .uses_dynamic_stack: false
    .vgpr_count:     218
    .vgpr_spill_count: 0
    .wavefront_size: 32
    .workgroup_processor_mode: 1
  - .args:
      - .actual_access:  read_only
        .address_space:  global
        .offset:         0
        .size:           8
        .value_kind:     global_buffer
      - .actual_access:  read_only
        .address_space:  global
        .offset:         8
        .size:           8
        .value_kind:     global_buffer
      - .actual_access:  read_only
        .address_space:  global
        .offset:         16
        .size:           8
        .value_kind:     global_buffer
      - .offset:         24
        .size:           4
        .value_kind:     by_value
      - .offset:         28
        .size:           4
        .value_kind:     by_value
      - .actual_access:  read_only
        .address_space:  global
        .offset:         32
        .size:           8
        .value_kind:     global_buffer
      - .actual_access:  read_only
        .address_space:  global
        .offset:         40
        .size:           8
        .value_kind:     global_buffer
      - .actual_access:  read_only
        .address_space:  global
        .offset:         48
        .size:           8
        .value_kind:     global_buffer
      - .offset:         56
        .size:           4
        .value_kind:     by_value
      - .actual_access:  read_only
        .address_space:  global
        .offset:         64
        .size:           8
        .value_kind:     global_buffer
      - .offset:         72
        .size:           4
        .value_kind:     by_value
      - .offset:         76
        .size:           4
        .value_kind:     by_value
      - .offset:         80
        .size:           4
        .value_kind:     by_value
      - .actual_access:  write_only
        .address_space:  global
        .offset:         88
        .size:           8
        .value_kind:     global_buffer
      - .actual_access:  write_only
        .address_space:  global
        .offset:         96
        .size:           8
        .value_kind:     global_buffer
      - .actual_access:  write_only
        .address_space:  global
        .offset:         104
        .size:           8
        .value_kind:     global_buffer
      - .actual_access:  read_only
        .address_space:  global
        .offset:         112
        .size:           8
        .value_kind:     global_buffer
      - .offset:         120
        .size:           4
        .value_kind:     by_value
      - .address_space:  global
        .offset:         128
        .size:           8
        .value_kind:     global_buffer
      - .address_space:  global
        .offset:         136
        .size:           8
        .value_kind:     global_buffer
      - .offset:         144
        .size:           4
        .value_kind:     hidden_block_count_x
      - .offset:         148
        .size:           4
        .value_kind:     hidden_block_count_y
      - .offset:         152
        .size:           4
        .value_kind:     hidden_block_count_z
      - .offset:         156
        .size:           2
        .value_kind:     hidden_group_size_x
      - .offset:         158
        .size:           2
        .value_kind:     hidden_group_size_y
      - .offset:         160
        .size:           2
        .value_kind:     hidden_group_size_z
      - .offset:         162
        .size:           2
        .value_kind:     hidden_remainder_x
      - .offset:         164
        .size:           2
        .value_kind:     hidden_remainder_y
      - .offset:         166
        .size:           2
        .value_kind:     hidden_remainder_z
      - .offset:         184
        .size:           8
        .value_kind:     hidden_global_offset_x
      - .offset:         192
        .size:           8
        .value_kind:     hidden_global_offset_y
      - .offset:         200
        .size:           8
        .value_kind:     hidden_global_offset_z
      - .offset:         208
        .size:           2
        .value_kind:     hidden_grid_dims
    .group_segment_fixed_size: 17472
    .kernarg_segment_align: 8
    .kernarg_segment_size: 400
    .language:       OpenCL C
    .language_version:
      - 2
      - 0
    .max_flat_workgroup_size: 256
    .name:           _Z39paged_attention_ll4mi_QKV_mfma16_kernelIDF16_DF16_LN4vllm18Fp8KVCacheDataTypeE0EhLi16ELi128ELi256ELb0ELi6EL8MFMAType0EEvPKT_PKT0_S8_ifPKiSA_SA_iPKfiiiPfSD_PS3_PT2_iSC_SC_
    .private_segment_fixed_size: 0
    .sgpr_count:     54
    .sgpr_spill_count: 0
    .symbol:         _Z39paged_attention_ll4mi_QKV_mfma16_kernelIDF16_DF16_LN4vllm18Fp8KVCacheDataTypeE0EhLi16ELi128ELi256ELb0ELi6EL8MFMAType0EEvPKT_PKT0_S8_ifPKiSA_SA_iPKfiiiPfSD_PS3_PT2_iSC_SC_.kd
    .uniform_work_group_size: 1
    .uses_dynamic_stack: false
    .vgpr_count:     218
    .vgpr_spill_count: 0
    .wavefront_size: 32
    .workgroup_processor_mode: 1
  - .args:
      - .actual_access:  read_only
        .address_space:  global
        .offset:         0
        .size:           8
        .value_kind:     global_buffer
      - .actual_access:  read_only
        .address_space:  global
        .offset:         8
        .size:           8
        .value_kind:     global_buffer
      - .actual_access:  read_only
        .address_space:  global
        .offset:         16
        .size:           8
        .value_kind:     global_buffer
      - .offset:         24
        .size:           4
        .value_kind:     by_value
      - .offset:         28
        .size:           4
        .value_kind:     by_value
      - .actual_access:  read_only
        .address_space:  global
        .offset:         32
        .size:           8
        .value_kind:     global_buffer
      - .actual_access:  read_only
        .address_space:  global
        .offset:         40
        .size:           8
        .value_kind:     global_buffer
      - .actual_access:  read_only
        .address_space:  global
        .offset:         48
        .size:           8
        .value_kind:     global_buffer
      - .offset:         56
        .size:           4
        .value_kind:     by_value
      - .actual_access:  read_only
        .address_space:  global
        .offset:         64
        .size:           8
        .value_kind:     global_buffer
      - .offset:         72
        .size:           4
        .value_kind:     by_value
      - .offset:         76
        .size:           4
        .value_kind:     by_value
      - .offset:         80
        .size:           4
        .value_kind:     by_value
      - .actual_access:  write_only
        .address_space:  global
        .offset:         88
        .size:           8
        .value_kind:     global_buffer
      - .actual_access:  write_only
        .address_space:  global
        .offset:         96
        .size:           8
        .value_kind:     global_buffer
      - .actual_access:  write_only
        .address_space:  global
        .offset:         104
        .size:           8
        .value_kind:     global_buffer
      - .actual_access:  read_only
        .address_space:  global
        .offset:         112
        .size:           8
        .value_kind:     global_buffer
      - .offset:         120
        .size:           4
        .value_kind:     by_value
      - .address_space:  global
        .offset:         128
        .size:           8
        .value_kind:     global_buffer
      - .address_space:  global
        .offset:         136
        .size:           8
        .value_kind:     global_buffer
      - .offset:         144
        .size:           4
        .value_kind:     hidden_block_count_x
      - .offset:         148
        .size:           4
        .value_kind:     hidden_block_count_y
      - .offset:         152
        .size:           4
        .value_kind:     hidden_block_count_z
      - .offset:         156
        .size:           2
        .value_kind:     hidden_group_size_x
      - .offset:         158
        .size:           2
        .value_kind:     hidden_group_size_y
      - .offset:         160
        .size:           2
        .value_kind:     hidden_group_size_z
      - .offset:         162
        .size:           2
        .value_kind:     hidden_remainder_x
      - .offset:         164
        .size:           2
        .value_kind:     hidden_remainder_y
      - .offset:         166
        .size:           2
        .value_kind:     hidden_remainder_z
      - .offset:         184
        .size:           8
        .value_kind:     hidden_global_offset_x
      - .offset:         192
        .size:           8
        .value_kind:     hidden_global_offset_y
      - .offset:         200
        .size:           8
        .value_kind:     hidden_global_offset_z
      - .offset:         208
        .size:           2
        .value_kind:     hidden_grid_dims
    .group_segment_fixed_size: 17472
    .kernarg_segment_align: 8
    .kernarg_segment_size: 400
    .language:       OpenCL C
    .language_version:
      - 2
      - 0
    .max_flat_workgroup_size: 256
    .name:           _Z39paged_attention_ll4mi_QKV_mfma16_kernelIDF16_DF16_LN4vllm18Fp8KVCacheDataTypeE0EhLi16ELi128ELi256ELb0ELi7EL8MFMAType0EEvPKT_PKT0_S8_ifPKiSA_SA_iPKfiiiPfSD_PS3_PT2_iSC_SC_
    .private_segment_fixed_size: 0
    .sgpr_count:     54
    .sgpr_spill_count: 0
    .symbol:         _Z39paged_attention_ll4mi_QKV_mfma16_kernelIDF16_DF16_LN4vllm18Fp8KVCacheDataTypeE0EhLi16ELi128ELi256ELb0ELi7EL8MFMAType0EEvPKT_PKT0_S8_ifPKiSA_SA_iPKfiiiPfSD_PS3_PT2_iSC_SC_.kd
    .uniform_work_group_size: 1
    .uses_dynamic_stack: false
    .vgpr_count:     218
    .vgpr_spill_count: 0
    .wavefront_size: 32
    .workgroup_processor_mode: 1
  - .args:
      - .actual_access:  read_only
        .address_space:  global
        .offset:         0
        .size:           8
        .value_kind:     global_buffer
      - .actual_access:  read_only
        .address_space:  global
        .offset:         8
        .size:           8
        .value_kind:     global_buffer
      - .actual_access:  read_only
        .address_space:  global
        .offset:         16
        .size:           8
        .value_kind:     global_buffer
      - .offset:         24
        .size:           4
        .value_kind:     by_value
      - .offset:         28
        .size:           4
        .value_kind:     by_value
      - .actual_access:  read_only
        .address_space:  global
        .offset:         32
        .size:           8
        .value_kind:     global_buffer
      - .actual_access:  read_only
        .address_space:  global
        .offset:         40
        .size:           8
        .value_kind:     global_buffer
      - .actual_access:  read_only
        .address_space:  global
        .offset:         48
        .size:           8
        .value_kind:     global_buffer
      - .offset:         56
        .size:           4
        .value_kind:     by_value
      - .actual_access:  read_only
        .address_space:  global
        .offset:         64
        .size:           8
        .value_kind:     global_buffer
      - .offset:         72
        .size:           4
        .value_kind:     by_value
      - .offset:         76
        .size:           4
        .value_kind:     by_value
      - .offset:         80
        .size:           4
        .value_kind:     by_value
      - .actual_access:  write_only
        .address_space:  global
        .offset:         88
        .size:           8
        .value_kind:     global_buffer
      - .actual_access:  write_only
        .address_space:  global
        .offset:         96
        .size:           8
        .value_kind:     global_buffer
      - .actual_access:  write_only
        .address_space:  global
        .offset:         104
        .size:           8
        .value_kind:     global_buffer
      - .actual_access:  read_only
        .address_space:  global
        .offset:         112
        .size:           8
        .value_kind:     global_buffer
      - .offset:         120
        .size:           4
        .value_kind:     by_value
      - .address_space:  global
        .offset:         128
        .size:           8
        .value_kind:     global_buffer
      - .address_space:  global
        .offset:         136
        .size:           8
        .value_kind:     global_buffer
      - .offset:         144
        .size:           4
        .value_kind:     hidden_block_count_x
      - .offset:         148
        .size:           4
        .value_kind:     hidden_block_count_y
      - .offset:         152
        .size:           4
        .value_kind:     hidden_block_count_z
      - .offset:         156
        .size:           2
        .value_kind:     hidden_group_size_x
      - .offset:         158
        .size:           2
        .value_kind:     hidden_group_size_y
      - .offset:         160
        .size:           2
        .value_kind:     hidden_group_size_z
      - .offset:         162
        .size:           2
        .value_kind:     hidden_remainder_x
      - .offset:         164
        .size:           2
        .value_kind:     hidden_remainder_y
      - .offset:         166
        .size:           2
        .value_kind:     hidden_remainder_z
      - .offset:         184
        .size:           8
        .value_kind:     hidden_global_offset_x
      - .offset:         192
        .size:           8
        .value_kind:     hidden_global_offset_y
      - .offset:         200
        .size:           8
        .value_kind:     hidden_global_offset_z
      - .offset:         208
        .size:           2
        .value_kind:     hidden_grid_dims
    .group_segment_fixed_size: 17472
    .kernarg_segment_align: 8
    .kernarg_segment_size: 400
    .language:       OpenCL C
    .language_version:
      - 2
      - 0
    .max_flat_workgroup_size: 256
    .name:           _Z39paged_attention_ll4mi_QKV_mfma16_kernelIDF16_DF16_LN4vllm18Fp8KVCacheDataTypeE0EhLi16ELi128ELi256ELb0ELi8EL8MFMAType0EEvPKT_PKT0_S8_ifPKiSA_SA_iPKfiiiPfSD_PS3_PT2_iSC_SC_
    .private_segment_fixed_size: 0
    .sgpr_count:     54
    .sgpr_spill_count: 0
    .symbol:         _Z39paged_attention_ll4mi_QKV_mfma16_kernelIDF16_DF16_LN4vllm18Fp8KVCacheDataTypeE0EhLi16ELi128ELi256ELb0ELi8EL8MFMAType0EEvPKT_PKT0_S8_ifPKiSA_SA_iPKfiiiPfSD_PS3_PT2_iSC_SC_.kd
    .uniform_work_group_size: 1
    .uses_dynamic_stack: false
    .vgpr_count:     218
    .vgpr_spill_count: 0
    .wavefront_size: 32
    .workgroup_processor_mode: 1
  - .args:
      - .actual_access:  read_only
        .address_space:  global
        .offset:         0
        .size:           8
        .value_kind:     global_buffer
      - .actual_access:  read_only
        .address_space:  global
        .offset:         8
        .size:           8
        .value_kind:     global_buffer
      - .actual_access:  read_only
        .address_space:  global
        .offset:         16
        .size:           8
        .value_kind:     global_buffer
      - .offset:         24
        .size:           4
        .value_kind:     by_value
      - .offset:         28
        .size:           4
        .value_kind:     by_value
      - .actual_access:  read_only
        .address_space:  global
        .offset:         32
        .size:           8
        .value_kind:     global_buffer
      - .actual_access:  read_only
        .address_space:  global
        .offset:         40
        .size:           8
        .value_kind:     global_buffer
      - .actual_access:  read_only
        .address_space:  global
        .offset:         48
        .size:           8
        .value_kind:     global_buffer
      - .offset:         56
        .size:           4
        .value_kind:     by_value
      - .actual_access:  read_only
        .address_space:  global
        .offset:         64
        .size:           8
        .value_kind:     global_buffer
      - .offset:         72
        .size:           4
        .value_kind:     by_value
      - .offset:         76
        .size:           4
        .value_kind:     by_value
      - .offset:         80
        .size:           4
        .value_kind:     by_value
      - .actual_access:  write_only
        .address_space:  global
        .offset:         88
        .size:           8
        .value_kind:     global_buffer
      - .actual_access:  write_only
        .address_space:  global
        .offset:         96
        .size:           8
        .value_kind:     global_buffer
      - .actual_access:  write_only
        .address_space:  global
        .offset:         104
        .size:           8
        .value_kind:     global_buffer
      - .actual_access:  read_only
        .address_space:  global
        .offset:         112
        .size:           8
        .value_kind:     global_buffer
      - .offset:         120
        .size:           4
        .value_kind:     by_value
      - .address_space:  global
        .offset:         128
        .size:           8
        .value_kind:     global_buffer
      - .address_space:  global
        .offset:         136
        .size:           8
        .value_kind:     global_buffer
      - .offset:         144
        .size:           4
        .value_kind:     hidden_block_count_x
      - .offset:         148
        .size:           4
        .value_kind:     hidden_block_count_y
      - .offset:         152
        .size:           4
        .value_kind:     hidden_block_count_z
      - .offset:         156
        .size:           2
        .value_kind:     hidden_group_size_x
      - .offset:         158
        .size:           2
        .value_kind:     hidden_group_size_y
      - .offset:         160
        .size:           2
        .value_kind:     hidden_group_size_z
      - .offset:         162
        .size:           2
        .value_kind:     hidden_remainder_x
      - .offset:         164
        .size:           2
        .value_kind:     hidden_remainder_y
      - .offset:         166
        .size:           2
        .value_kind:     hidden_remainder_z
      - .offset:         184
        .size:           8
        .value_kind:     hidden_global_offset_x
      - .offset:         192
        .size:           8
        .value_kind:     hidden_global_offset_y
      - .offset:         200
        .size:           8
        .value_kind:     hidden_global_offset_z
      - .offset:         208
        .size:           2
        .value_kind:     hidden_grid_dims
    .group_segment_fixed_size: 17472
    .kernarg_segment_align: 8
    .kernarg_segment_size: 400
    .language:       OpenCL C
    .language_version:
      - 2
      - 0
    .max_flat_workgroup_size: 256
    .name:           _Z39paged_attention_ll4mi_QKV_mfma16_kernelIDF16_DF16_LN4vllm18Fp8KVCacheDataTypeE0EhLi16ELi128ELi256ELb0ELi9EL8MFMAType0EEvPKT_PKT0_S8_ifPKiSA_SA_iPKfiiiPfSD_PS3_PT2_iSC_SC_
    .private_segment_fixed_size: 0
    .sgpr_count:     54
    .sgpr_spill_count: 0
    .symbol:         _Z39paged_attention_ll4mi_QKV_mfma16_kernelIDF16_DF16_LN4vllm18Fp8KVCacheDataTypeE0EhLi16ELi128ELi256ELb0ELi9EL8MFMAType0EEvPKT_PKT0_S8_ifPKiSA_SA_iPKfiiiPfSD_PS3_PT2_iSC_SC_.kd
    .uniform_work_group_size: 1
    .uses_dynamic_stack: false
    .vgpr_count:     218
    .vgpr_spill_count: 0
    .wavefront_size: 32
    .workgroup_processor_mode: 1
  - .args:
      - .actual_access:  read_only
        .address_space:  global
        .offset:         0
        .size:           8
        .value_kind:     global_buffer
      - .actual_access:  read_only
        .address_space:  global
        .offset:         8
        .size:           8
        .value_kind:     global_buffer
      - .actual_access:  read_only
        .address_space:  global
        .offset:         16
        .size:           8
        .value_kind:     global_buffer
      - .offset:         24
        .size:           4
        .value_kind:     by_value
      - .offset:         28
        .size:           4
        .value_kind:     by_value
      - .actual_access:  read_only
        .address_space:  global
        .offset:         32
        .size:           8
        .value_kind:     global_buffer
      - .actual_access:  read_only
        .address_space:  global
        .offset:         40
        .size:           8
        .value_kind:     global_buffer
      - .actual_access:  read_only
        .address_space:  global
        .offset:         48
        .size:           8
        .value_kind:     global_buffer
      - .offset:         56
        .size:           4
        .value_kind:     by_value
      - .actual_access:  read_only
        .address_space:  global
        .offset:         64
        .size:           8
        .value_kind:     global_buffer
      - .offset:         72
        .size:           4
        .value_kind:     by_value
      - .offset:         76
        .size:           4
        .value_kind:     by_value
      - .offset:         80
        .size:           4
        .value_kind:     by_value
      - .actual_access:  write_only
        .address_space:  global
        .offset:         88
        .size:           8
        .value_kind:     global_buffer
      - .actual_access:  write_only
        .address_space:  global
        .offset:         96
        .size:           8
        .value_kind:     global_buffer
      - .actual_access:  write_only
        .address_space:  global
        .offset:         104
        .size:           8
        .value_kind:     global_buffer
      - .actual_access:  read_only
        .address_space:  global
        .offset:         112
        .size:           8
        .value_kind:     global_buffer
      - .offset:         120
        .size:           4
        .value_kind:     by_value
      - .address_space:  global
        .offset:         128
        .size:           8
        .value_kind:     global_buffer
      - .address_space:  global
        .offset:         136
        .size:           8
        .value_kind:     global_buffer
      - .offset:         144
        .size:           4
        .value_kind:     hidden_block_count_x
      - .offset:         148
        .size:           4
        .value_kind:     hidden_block_count_y
      - .offset:         152
        .size:           4
        .value_kind:     hidden_block_count_z
      - .offset:         156
        .size:           2
        .value_kind:     hidden_group_size_x
      - .offset:         158
        .size:           2
        .value_kind:     hidden_group_size_y
      - .offset:         160
        .size:           2
        .value_kind:     hidden_group_size_z
      - .offset:         162
        .size:           2
        .value_kind:     hidden_remainder_x
      - .offset:         164
        .size:           2
        .value_kind:     hidden_remainder_y
      - .offset:         166
        .size:           2
        .value_kind:     hidden_remainder_z
      - .offset:         184
        .size:           8
        .value_kind:     hidden_global_offset_x
      - .offset:         192
        .size:           8
        .value_kind:     hidden_global_offset_y
      - .offset:         200
        .size:           8
        .value_kind:     hidden_global_offset_z
      - .offset:         208
        .size:           2
        .value_kind:     hidden_grid_dims
    .group_segment_fixed_size: 17472
    .kernarg_segment_align: 8
    .kernarg_segment_size: 400
    .language:       OpenCL C
    .language_version:
      - 2
      - 0
    .max_flat_workgroup_size: 256
    .name:           _Z39paged_attention_ll4mi_QKV_mfma16_kernelIDF16_DF16_LN4vllm18Fp8KVCacheDataTypeE0EhLi16ELi128ELi256ELb0ELi10EL8MFMAType0EEvPKT_PKT0_S8_ifPKiSA_SA_iPKfiiiPfSD_PS3_PT2_iSC_SC_
    .private_segment_fixed_size: 0
    .sgpr_count:     54
    .sgpr_spill_count: 0
    .symbol:         _Z39paged_attention_ll4mi_QKV_mfma16_kernelIDF16_DF16_LN4vllm18Fp8KVCacheDataTypeE0EhLi16ELi128ELi256ELb0ELi10EL8MFMAType0EEvPKT_PKT0_S8_ifPKiSA_SA_iPKfiiiPfSD_PS3_PT2_iSC_SC_.kd
    .uniform_work_group_size: 1
    .uses_dynamic_stack: false
    .vgpr_count:     218
    .vgpr_spill_count: 0
    .wavefront_size: 32
    .workgroup_processor_mode: 1
  - .args:
      - .actual_access:  read_only
        .address_space:  global
        .offset:         0
        .size:           8
        .value_kind:     global_buffer
      - .actual_access:  read_only
        .address_space:  global
        .offset:         8
        .size:           8
        .value_kind:     global_buffer
      - .actual_access:  read_only
        .address_space:  global
        .offset:         16
        .size:           8
        .value_kind:     global_buffer
      - .offset:         24
        .size:           4
        .value_kind:     by_value
      - .offset:         28
        .size:           4
        .value_kind:     by_value
      - .actual_access:  read_only
        .address_space:  global
        .offset:         32
        .size:           8
        .value_kind:     global_buffer
      - .actual_access:  read_only
        .address_space:  global
        .offset:         40
        .size:           8
        .value_kind:     global_buffer
      - .actual_access:  read_only
        .address_space:  global
        .offset:         48
        .size:           8
        .value_kind:     global_buffer
      - .offset:         56
        .size:           4
        .value_kind:     by_value
      - .actual_access:  read_only
        .address_space:  global
        .offset:         64
        .size:           8
        .value_kind:     global_buffer
      - .offset:         72
        .size:           4
        .value_kind:     by_value
      - .offset:         76
        .size:           4
        .value_kind:     by_value
      - .offset:         80
        .size:           4
        .value_kind:     by_value
      - .actual_access:  write_only
        .address_space:  global
        .offset:         88
        .size:           8
        .value_kind:     global_buffer
      - .actual_access:  write_only
        .address_space:  global
        .offset:         96
        .size:           8
        .value_kind:     global_buffer
      - .actual_access:  write_only
        .address_space:  global
        .offset:         104
        .size:           8
        .value_kind:     global_buffer
      - .actual_access:  read_only
        .address_space:  global
        .offset:         112
        .size:           8
        .value_kind:     global_buffer
      - .offset:         120
        .size:           4
        .value_kind:     by_value
      - .address_space:  global
        .offset:         128
        .size:           8
        .value_kind:     global_buffer
      - .address_space:  global
        .offset:         136
        .size:           8
        .value_kind:     global_buffer
      - .offset:         144
        .size:           4
        .value_kind:     hidden_block_count_x
      - .offset:         148
        .size:           4
        .value_kind:     hidden_block_count_y
      - .offset:         152
        .size:           4
        .value_kind:     hidden_block_count_z
      - .offset:         156
        .size:           2
        .value_kind:     hidden_group_size_x
      - .offset:         158
        .size:           2
        .value_kind:     hidden_group_size_y
      - .offset:         160
        .size:           2
        .value_kind:     hidden_group_size_z
      - .offset:         162
        .size:           2
        .value_kind:     hidden_remainder_x
      - .offset:         164
        .size:           2
        .value_kind:     hidden_remainder_y
      - .offset:         166
        .size:           2
        .value_kind:     hidden_remainder_z
      - .offset:         184
        .size:           8
        .value_kind:     hidden_global_offset_x
      - .offset:         192
        .size:           8
        .value_kind:     hidden_global_offset_y
      - .offset:         200
        .size:           8
        .value_kind:     hidden_global_offset_z
      - .offset:         208
        .size:           2
        .value_kind:     hidden_grid_dims
    .group_segment_fixed_size: 17472
    .kernarg_segment_align: 8
    .kernarg_segment_size: 400
    .language:       OpenCL C
    .language_version:
      - 2
      - 0
    .max_flat_workgroup_size: 256
    .name:           _Z39paged_attention_ll4mi_QKV_mfma16_kernelIDF16_DF16_LN4vllm18Fp8KVCacheDataTypeE0EhLi16ELi128ELi256ELb0ELi11EL8MFMAType0EEvPKT_PKT0_S8_ifPKiSA_SA_iPKfiiiPfSD_PS3_PT2_iSC_SC_
    .private_segment_fixed_size: 0
    .sgpr_count:     54
    .sgpr_spill_count: 0
    .symbol:         _Z39paged_attention_ll4mi_QKV_mfma16_kernelIDF16_DF16_LN4vllm18Fp8KVCacheDataTypeE0EhLi16ELi128ELi256ELb0ELi11EL8MFMAType0EEvPKT_PKT0_S8_ifPKiSA_SA_iPKfiiiPfSD_PS3_PT2_iSC_SC_.kd
    .uniform_work_group_size: 1
    .uses_dynamic_stack: false
    .vgpr_count:     218
    .vgpr_spill_count: 0
    .wavefront_size: 32
    .workgroup_processor_mode: 1
  - .args:
      - .actual_access:  read_only
        .address_space:  global
        .offset:         0
        .size:           8
        .value_kind:     global_buffer
      - .actual_access:  read_only
        .address_space:  global
        .offset:         8
        .size:           8
        .value_kind:     global_buffer
      - .actual_access:  read_only
        .address_space:  global
        .offset:         16
        .size:           8
        .value_kind:     global_buffer
      - .offset:         24
        .size:           4
        .value_kind:     by_value
      - .offset:         28
        .size:           4
        .value_kind:     by_value
      - .actual_access:  read_only
        .address_space:  global
        .offset:         32
        .size:           8
        .value_kind:     global_buffer
      - .actual_access:  read_only
        .address_space:  global
        .offset:         40
        .size:           8
        .value_kind:     global_buffer
      - .actual_access:  read_only
        .address_space:  global
        .offset:         48
        .size:           8
        .value_kind:     global_buffer
      - .offset:         56
        .size:           4
        .value_kind:     by_value
      - .actual_access:  read_only
        .address_space:  global
        .offset:         64
        .size:           8
        .value_kind:     global_buffer
      - .offset:         72
        .size:           4
        .value_kind:     by_value
      - .offset:         76
        .size:           4
        .value_kind:     by_value
      - .offset:         80
        .size:           4
        .value_kind:     by_value
      - .actual_access:  write_only
        .address_space:  global
        .offset:         88
        .size:           8
        .value_kind:     global_buffer
      - .actual_access:  write_only
        .address_space:  global
        .offset:         96
        .size:           8
        .value_kind:     global_buffer
      - .actual_access:  write_only
        .address_space:  global
        .offset:         104
        .size:           8
        .value_kind:     global_buffer
      - .actual_access:  read_only
        .address_space:  global
        .offset:         112
        .size:           8
        .value_kind:     global_buffer
      - .offset:         120
        .size:           4
        .value_kind:     by_value
      - .address_space:  global
        .offset:         128
        .size:           8
        .value_kind:     global_buffer
      - .address_space:  global
        .offset:         136
        .size:           8
        .value_kind:     global_buffer
      - .offset:         144
        .size:           4
        .value_kind:     hidden_block_count_x
      - .offset:         148
        .size:           4
        .value_kind:     hidden_block_count_y
      - .offset:         152
        .size:           4
        .value_kind:     hidden_block_count_z
      - .offset:         156
        .size:           2
        .value_kind:     hidden_group_size_x
      - .offset:         158
        .size:           2
        .value_kind:     hidden_group_size_y
      - .offset:         160
        .size:           2
        .value_kind:     hidden_group_size_z
      - .offset:         162
        .size:           2
        .value_kind:     hidden_remainder_x
      - .offset:         164
        .size:           2
        .value_kind:     hidden_remainder_y
      - .offset:         166
        .size:           2
        .value_kind:     hidden_remainder_z
      - .offset:         184
        .size:           8
        .value_kind:     hidden_global_offset_x
      - .offset:         192
        .size:           8
        .value_kind:     hidden_global_offset_y
      - .offset:         200
        .size:           8
        .value_kind:     hidden_global_offset_z
      - .offset:         208
        .size:           2
        .value_kind:     hidden_grid_dims
    .group_segment_fixed_size: 17472
    .kernarg_segment_align: 8
    .kernarg_segment_size: 400
    .language:       OpenCL C
    .language_version:
      - 2
      - 0
    .max_flat_workgroup_size: 256
    .name:           _Z39paged_attention_ll4mi_QKV_mfma16_kernelIDF16_DF16_LN4vllm18Fp8KVCacheDataTypeE0EhLi16ELi128ELi256ELb0ELi12EL8MFMAType0EEvPKT_PKT0_S8_ifPKiSA_SA_iPKfiiiPfSD_PS3_PT2_iSC_SC_
    .private_segment_fixed_size: 0
    .sgpr_count:     54
    .sgpr_spill_count: 0
    .symbol:         _Z39paged_attention_ll4mi_QKV_mfma16_kernelIDF16_DF16_LN4vllm18Fp8KVCacheDataTypeE0EhLi16ELi128ELi256ELb0ELi12EL8MFMAType0EEvPKT_PKT0_S8_ifPKiSA_SA_iPKfiiiPfSD_PS3_PT2_iSC_SC_.kd
    .uniform_work_group_size: 1
    .uses_dynamic_stack: false
    .vgpr_count:     218
    .vgpr_spill_count: 0
    .wavefront_size: 32
    .workgroup_processor_mode: 1
  - .args:
      - .actual_access:  read_only
        .address_space:  global
        .offset:         0
        .size:           8
        .value_kind:     global_buffer
      - .actual_access:  read_only
        .address_space:  global
        .offset:         8
        .size:           8
        .value_kind:     global_buffer
      - .actual_access:  read_only
        .address_space:  global
        .offset:         16
        .size:           8
        .value_kind:     global_buffer
      - .offset:         24
        .size:           4
        .value_kind:     by_value
      - .offset:         28
        .size:           4
        .value_kind:     by_value
      - .actual_access:  read_only
        .address_space:  global
        .offset:         32
        .size:           8
        .value_kind:     global_buffer
      - .actual_access:  read_only
        .address_space:  global
        .offset:         40
        .size:           8
        .value_kind:     global_buffer
      - .actual_access:  read_only
        .address_space:  global
        .offset:         48
        .size:           8
        .value_kind:     global_buffer
      - .offset:         56
        .size:           4
        .value_kind:     by_value
      - .actual_access:  read_only
        .address_space:  global
        .offset:         64
        .size:           8
        .value_kind:     global_buffer
      - .offset:         72
        .size:           4
        .value_kind:     by_value
      - .offset:         76
        .size:           4
        .value_kind:     by_value
      - .offset:         80
        .size:           4
        .value_kind:     by_value
      - .actual_access:  write_only
        .address_space:  global
        .offset:         88
        .size:           8
        .value_kind:     global_buffer
      - .actual_access:  write_only
        .address_space:  global
        .offset:         96
        .size:           8
        .value_kind:     global_buffer
      - .actual_access:  write_only
        .address_space:  global
        .offset:         104
        .size:           8
        .value_kind:     global_buffer
      - .actual_access:  read_only
        .address_space:  global
        .offset:         112
        .size:           8
        .value_kind:     global_buffer
      - .offset:         120
        .size:           4
        .value_kind:     by_value
      - .address_space:  global
        .offset:         128
        .size:           8
        .value_kind:     global_buffer
      - .address_space:  global
        .offset:         136
        .size:           8
        .value_kind:     global_buffer
      - .offset:         144
        .size:           4
        .value_kind:     hidden_block_count_x
      - .offset:         148
        .size:           4
        .value_kind:     hidden_block_count_y
      - .offset:         152
        .size:           4
        .value_kind:     hidden_block_count_z
      - .offset:         156
        .size:           2
        .value_kind:     hidden_group_size_x
      - .offset:         158
        .size:           2
        .value_kind:     hidden_group_size_y
      - .offset:         160
        .size:           2
        .value_kind:     hidden_group_size_z
      - .offset:         162
        .size:           2
        .value_kind:     hidden_remainder_x
      - .offset:         164
        .size:           2
        .value_kind:     hidden_remainder_y
      - .offset:         166
        .size:           2
        .value_kind:     hidden_remainder_z
      - .offset:         184
        .size:           8
        .value_kind:     hidden_global_offset_x
      - .offset:         192
        .size:           8
        .value_kind:     hidden_global_offset_y
      - .offset:         200
        .size:           8
        .value_kind:     hidden_global_offset_z
      - .offset:         208
        .size:           2
        .value_kind:     hidden_grid_dims
    .group_segment_fixed_size: 17472
    .kernarg_segment_align: 8
    .kernarg_segment_size: 400
    .language:       OpenCL C
    .language_version:
      - 2
      - 0
    .max_flat_workgroup_size: 256
    .name:           _Z39paged_attention_ll4mi_QKV_mfma16_kernelIDF16_DF16_LN4vllm18Fp8KVCacheDataTypeE0EhLi16ELi128ELi256ELb0ELi13EL8MFMAType0EEvPKT_PKT0_S8_ifPKiSA_SA_iPKfiiiPfSD_PS3_PT2_iSC_SC_
    .private_segment_fixed_size: 0
    .sgpr_count:     54
    .sgpr_spill_count: 0
    .symbol:         _Z39paged_attention_ll4mi_QKV_mfma16_kernelIDF16_DF16_LN4vllm18Fp8KVCacheDataTypeE0EhLi16ELi128ELi256ELb0ELi13EL8MFMAType0EEvPKT_PKT0_S8_ifPKiSA_SA_iPKfiiiPfSD_PS3_PT2_iSC_SC_.kd
    .uniform_work_group_size: 1
    .uses_dynamic_stack: false
    .vgpr_count:     218
    .vgpr_spill_count: 0
    .wavefront_size: 32
    .workgroup_processor_mode: 1
  - .args:
      - .actual_access:  read_only
        .address_space:  global
        .offset:         0
        .size:           8
        .value_kind:     global_buffer
      - .actual_access:  read_only
        .address_space:  global
        .offset:         8
        .size:           8
        .value_kind:     global_buffer
      - .actual_access:  read_only
        .address_space:  global
        .offset:         16
        .size:           8
        .value_kind:     global_buffer
      - .offset:         24
        .size:           4
        .value_kind:     by_value
      - .offset:         28
        .size:           4
        .value_kind:     by_value
      - .actual_access:  read_only
        .address_space:  global
        .offset:         32
        .size:           8
        .value_kind:     global_buffer
      - .actual_access:  read_only
        .address_space:  global
        .offset:         40
        .size:           8
        .value_kind:     global_buffer
      - .actual_access:  read_only
        .address_space:  global
        .offset:         48
        .size:           8
        .value_kind:     global_buffer
      - .offset:         56
        .size:           4
        .value_kind:     by_value
      - .actual_access:  read_only
        .address_space:  global
        .offset:         64
        .size:           8
        .value_kind:     global_buffer
      - .offset:         72
        .size:           4
        .value_kind:     by_value
      - .offset:         76
        .size:           4
        .value_kind:     by_value
      - .offset:         80
        .size:           4
        .value_kind:     by_value
      - .actual_access:  write_only
        .address_space:  global
        .offset:         88
        .size:           8
        .value_kind:     global_buffer
      - .actual_access:  write_only
        .address_space:  global
        .offset:         96
        .size:           8
        .value_kind:     global_buffer
      - .actual_access:  write_only
        .address_space:  global
        .offset:         104
        .size:           8
        .value_kind:     global_buffer
      - .actual_access:  read_only
        .address_space:  global
        .offset:         112
        .size:           8
        .value_kind:     global_buffer
      - .offset:         120
        .size:           4
        .value_kind:     by_value
      - .address_space:  global
        .offset:         128
        .size:           8
        .value_kind:     global_buffer
      - .address_space:  global
        .offset:         136
        .size:           8
        .value_kind:     global_buffer
      - .offset:         144
        .size:           4
        .value_kind:     hidden_block_count_x
      - .offset:         148
        .size:           4
        .value_kind:     hidden_block_count_y
      - .offset:         152
        .size:           4
        .value_kind:     hidden_block_count_z
      - .offset:         156
        .size:           2
        .value_kind:     hidden_group_size_x
      - .offset:         158
        .size:           2
        .value_kind:     hidden_group_size_y
      - .offset:         160
        .size:           2
        .value_kind:     hidden_group_size_z
      - .offset:         162
        .size:           2
        .value_kind:     hidden_remainder_x
      - .offset:         164
        .size:           2
        .value_kind:     hidden_remainder_y
      - .offset:         166
        .size:           2
        .value_kind:     hidden_remainder_z
      - .offset:         184
        .size:           8
        .value_kind:     hidden_global_offset_x
      - .offset:         192
        .size:           8
        .value_kind:     hidden_global_offset_y
      - .offset:         200
        .size:           8
        .value_kind:     hidden_global_offset_z
      - .offset:         208
        .size:           2
        .value_kind:     hidden_grid_dims
    .group_segment_fixed_size: 17472
    .kernarg_segment_align: 8
    .kernarg_segment_size: 400
    .language:       OpenCL C
    .language_version:
      - 2
      - 0
    .max_flat_workgroup_size: 256
    .name:           _Z39paged_attention_ll4mi_QKV_mfma16_kernelIDF16_DF16_LN4vllm18Fp8KVCacheDataTypeE0EhLi16ELi128ELi256ELb0ELi14EL8MFMAType0EEvPKT_PKT0_S8_ifPKiSA_SA_iPKfiiiPfSD_PS3_PT2_iSC_SC_
    .private_segment_fixed_size: 0
    .sgpr_count:     54
    .sgpr_spill_count: 0
    .symbol:         _Z39paged_attention_ll4mi_QKV_mfma16_kernelIDF16_DF16_LN4vllm18Fp8KVCacheDataTypeE0EhLi16ELi128ELi256ELb0ELi14EL8MFMAType0EEvPKT_PKT0_S8_ifPKiSA_SA_iPKfiiiPfSD_PS3_PT2_iSC_SC_.kd
    .uniform_work_group_size: 1
    .uses_dynamic_stack: false
    .vgpr_count:     218
    .vgpr_spill_count: 0
    .wavefront_size: 32
    .workgroup_processor_mode: 1
  - .args:
      - .actual_access:  read_only
        .address_space:  global
        .offset:         0
        .size:           8
        .value_kind:     global_buffer
      - .actual_access:  read_only
        .address_space:  global
        .offset:         8
        .size:           8
        .value_kind:     global_buffer
      - .actual_access:  read_only
        .address_space:  global
        .offset:         16
        .size:           8
        .value_kind:     global_buffer
      - .offset:         24
        .size:           4
        .value_kind:     by_value
      - .offset:         28
        .size:           4
        .value_kind:     by_value
      - .actual_access:  read_only
        .address_space:  global
        .offset:         32
        .size:           8
        .value_kind:     global_buffer
      - .actual_access:  read_only
        .address_space:  global
        .offset:         40
        .size:           8
        .value_kind:     global_buffer
      - .actual_access:  read_only
        .address_space:  global
        .offset:         48
        .size:           8
        .value_kind:     global_buffer
      - .offset:         56
        .size:           4
        .value_kind:     by_value
      - .actual_access:  read_only
        .address_space:  global
        .offset:         64
        .size:           8
        .value_kind:     global_buffer
      - .offset:         72
        .size:           4
        .value_kind:     by_value
      - .offset:         76
        .size:           4
        .value_kind:     by_value
      - .offset:         80
        .size:           4
        .value_kind:     by_value
      - .actual_access:  write_only
        .address_space:  global
        .offset:         88
        .size:           8
        .value_kind:     global_buffer
      - .actual_access:  write_only
        .address_space:  global
        .offset:         96
        .size:           8
        .value_kind:     global_buffer
      - .actual_access:  write_only
        .address_space:  global
        .offset:         104
        .size:           8
        .value_kind:     global_buffer
      - .actual_access:  read_only
        .address_space:  global
        .offset:         112
        .size:           8
        .value_kind:     global_buffer
      - .offset:         120
        .size:           4
        .value_kind:     by_value
      - .address_space:  global
        .offset:         128
        .size:           8
        .value_kind:     global_buffer
      - .address_space:  global
        .offset:         136
        .size:           8
        .value_kind:     global_buffer
      - .offset:         144
        .size:           4
        .value_kind:     hidden_block_count_x
      - .offset:         148
        .size:           4
        .value_kind:     hidden_block_count_y
      - .offset:         152
        .size:           4
        .value_kind:     hidden_block_count_z
      - .offset:         156
        .size:           2
        .value_kind:     hidden_group_size_x
      - .offset:         158
        .size:           2
        .value_kind:     hidden_group_size_y
      - .offset:         160
        .size:           2
        .value_kind:     hidden_group_size_z
      - .offset:         162
        .size:           2
        .value_kind:     hidden_remainder_x
      - .offset:         164
        .size:           2
        .value_kind:     hidden_remainder_y
      - .offset:         166
        .size:           2
        .value_kind:     hidden_remainder_z
      - .offset:         184
        .size:           8
        .value_kind:     hidden_global_offset_x
      - .offset:         192
        .size:           8
        .value_kind:     hidden_global_offset_y
      - .offset:         200
        .size:           8
        .value_kind:     hidden_global_offset_z
      - .offset:         208
        .size:           2
        .value_kind:     hidden_grid_dims
    .group_segment_fixed_size: 17472
    .kernarg_segment_align: 8
    .kernarg_segment_size: 400
    .language:       OpenCL C
    .language_version:
      - 2
      - 0
    .max_flat_workgroup_size: 256
    .name:           _Z39paged_attention_ll4mi_QKV_mfma16_kernelIDF16_DF16_LN4vllm18Fp8KVCacheDataTypeE0EhLi16ELi128ELi256ELb0ELi15EL8MFMAType0EEvPKT_PKT0_S8_ifPKiSA_SA_iPKfiiiPfSD_PS3_PT2_iSC_SC_
    .private_segment_fixed_size: 0
    .sgpr_count:     54
    .sgpr_spill_count: 0
    .symbol:         _Z39paged_attention_ll4mi_QKV_mfma16_kernelIDF16_DF16_LN4vllm18Fp8KVCacheDataTypeE0EhLi16ELi128ELi256ELb0ELi15EL8MFMAType0EEvPKT_PKT0_S8_ifPKiSA_SA_iPKfiiiPfSD_PS3_PT2_iSC_SC_.kd
    .uniform_work_group_size: 1
    .uses_dynamic_stack: false
    .vgpr_count:     218
    .vgpr_spill_count: 0
    .wavefront_size: 32
    .workgroup_processor_mode: 1
  - .args:
      - .actual_access:  read_only
        .address_space:  global
        .offset:         0
        .size:           8
        .value_kind:     global_buffer
      - .actual_access:  read_only
        .address_space:  global
        .offset:         8
        .size:           8
        .value_kind:     global_buffer
      - .actual_access:  read_only
        .address_space:  global
        .offset:         16
        .size:           8
        .value_kind:     global_buffer
      - .offset:         24
        .size:           4
        .value_kind:     by_value
      - .offset:         28
        .size:           4
        .value_kind:     by_value
      - .actual_access:  read_only
        .address_space:  global
        .offset:         32
        .size:           8
        .value_kind:     global_buffer
      - .actual_access:  read_only
        .address_space:  global
        .offset:         40
        .size:           8
        .value_kind:     global_buffer
      - .actual_access:  read_only
        .address_space:  global
        .offset:         48
        .size:           8
        .value_kind:     global_buffer
      - .offset:         56
        .size:           4
        .value_kind:     by_value
      - .actual_access:  read_only
        .address_space:  global
        .offset:         64
        .size:           8
        .value_kind:     global_buffer
      - .offset:         72
        .size:           4
        .value_kind:     by_value
      - .offset:         76
        .size:           4
        .value_kind:     by_value
      - .offset:         80
        .size:           4
        .value_kind:     by_value
      - .actual_access:  write_only
        .address_space:  global
        .offset:         88
        .size:           8
        .value_kind:     global_buffer
      - .actual_access:  write_only
        .address_space:  global
        .offset:         96
        .size:           8
        .value_kind:     global_buffer
      - .actual_access:  write_only
        .address_space:  global
        .offset:         104
        .size:           8
        .value_kind:     global_buffer
      - .actual_access:  read_only
        .address_space:  global
        .offset:         112
        .size:           8
        .value_kind:     global_buffer
      - .offset:         120
        .size:           4
        .value_kind:     by_value
      - .address_space:  global
        .offset:         128
        .size:           8
        .value_kind:     global_buffer
      - .address_space:  global
        .offset:         136
        .size:           8
        .value_kind:     global_buffer
      - .offset:         144
        .size:           4
        .value_kind:     hidden_block_count_x
      - .offset:         148
        .size:           4
        .value_kind:     hidden_block_count_y
      - .offset:         152
        .size:           4
        .value_kind:     hidden_block_count_z
      - .offset:         156
        .size:           2
        .value_kind:     hidden_group_size_x
      - .offset:         158
        .size:           2
        .value_kind:     hidden_group_size_y
      - .offset:         160
        .size:           2
        .value_kind:     hidden_group_size_z
      - .offset:         162
        .size:           2
        .value_kind:     hidden_remainder_x
      - .offset:         164
        .size:           2
        .value_kind:     hidden_remainder_y
      - .offset:         166
        .size:           2
        .value_kind:     hidden_remainder_z
      - .offset:         184
        .size:           8
        .value_kind:     hidden_global_offset_x
      - .offset:         192
        .size:           8
        .value_kind:     hidden_global_offset_y
      - .offset:         200
        .size:           8
        .value_kind:     hidden_global_offset_z
      - .offset:         208
        .size:           2
        .value_kind:     hidden_grid_dims
    .group_segment_fixed_size: 17472
    .kernarg_segment_align: 8
    .kernarg_segment_size: 400
    .language:       OpenCL C
    .language_version:
      - 2
      - 0
    .max_flat_workgroup_size: 256
    .name:           _Z39paged_attention_ll4mi_QKV_mfma16_kernelIDF16_DF16_LN4vllm18Fp8KVCacheDataTypeE0EhLi16ELi128ELi256ELb0ELi16EL8MFMAType0EEvPKT_PKT0_S8_ifPKiSA_SA_iPKfiiiPfSD_PS3_PT2_iSC_SC_
    .private_segment_fixed_size: 0
    .sgpr_count:     54
    .sgpr_spill_count: 0
    .symbol:         _Z39paged_attention_ll4mi_QKV_mfma16_kernelIDF16_DF16_LN4vllm18Fp8KVCacheDataTypeE0EhLi16ELi128ELi256ELb0ELi16EL8MFMAType0EEvPKT_PKT0_S8_ifPKiSA_SA_iPKfiiiPfSD_PS3_PT2_iSC_SC_.kd
    .uniform_work_group_size: 1
    .uses_dynamic_stack: false
    .vgpr_count:     218
    .vgpr_spill_count: 0
    .wavefront_size: 32
    .workgroup_processor_mode: 1
  - .args:
      - .actual_access:  read_only
        .address_space:  global
        .offset:         0
        .size:           8
        .value_kind:     global_buffer
      - .actual_access:  read_only
        .address_space:  global
        .offset:         8
        .size:           8
        .value_kind:     global_buffer
      - .actual_access:  read_only
        .address_space:  global
        .offset:         16
        .size:           8
        .value_kind:     global_buffer
      - .offset:         24
        .size:           4
        .value_kind:     by_value
      - .offset:         28
        .size:           4
        .value_kind:     by_value
      - .actual_access:  read_only
        .address_space:  global
        .offset:         32
        .size:           8
        .value_kind:     global_buffer
      - .actual_access:  read_only
        .address_space:  global
        .offset:         40
        .size:           8
        .value_kind:     global_buffer
      - .actual_access:  read_only
        .address_space:  global
        .offset:         48
        .size:           8
        .value_kind:     global_buffer
      - .offset:         56
        .size:           4
        .value_kind:     by_value
      - .actual_access:  read_only
        .address_space:  global
        .offset:         64
        .size:           8
        .value_kind:     global_buffer
      - .offset:         72
        .size:           4
        .value_kind:     by_value
      - .offset:         76
        .size:           4
        .value_kind:     by_value
      - .offset:         80
        .size:           4
        .value_kind:     by_value
      - .actual_access:  write_only
        .address_space:  global
        .offset:         88
        .size:           8
        .value_kind:     global_buffer
      - .actual_access:  write_only
        .address_space:  global
        .offset:         96
        .size:           8
        .value_kind:     global_buffer
      - .actual_access:  write_only
        .address_space:  global
        .offset:         104
        .size:           8
        .value_kind:     global_buffer
      - .actual_access:  read_only
        .address_space:  global
        .offset:         112
        .size:           8
        .value_kind:     global_buffer
      - .offset:         120
        .size:           4
        .value_kind:     by_value
      - .address_space:  global
        .offset:         128
        .size:           8
        .value_kind:     global_buffer
      - .address_space:  global
        .offset:         136
        .size:           8
        .value_kind:     global_buffer
      - .offset:         144
        .size:           4
        .value_kind:     hidden_block_count_x
      - .offset:         148
        .size:           4
        .value_kind:     hidden_block_count_y
      - .offset:         152
        .size:           4
        .value_kind:     hidden_block_count_z
      - .offset:         156
        .size:           2
        .value_kind:     hidden_group_size_x
      - .offset:         158
        .size:           2
        .value_kind:     hidden_group_size_y
      - .offset:         160
        .size:           2
        .value_kind:     hidden_group_size_z
      - .offset:         162
        .size:           2
        .value_kind:     hidden_remainder_x
      - .offset:         164
        .size:           2
        .value_kind:     hidden_remainder_y
      - .offset:         166
        .size:           2
        .value_kind:     hidden_remainder_z
      - .offset:         184
        .size:           8
        .value_kind:     hidden_global_offset_x
      - .offset:         192
        .size:           8
        .value_kind:     hidden_global_offset_y
      - .offset:         200
        .size:           8
        .value_kind:     hidden_global_offset_z
      - .offset:         208
        .size:           2
        .value_kind:     hidden_grid_dims
    .group_segment_fixed_size: 17472
    .kernarg_segment_align: 8
    .kernarg_segment_size: 400
    .language:       OpenCL C
    .language_version:
      - 2
      - 0
    .max_flat_workgroup_size: 256
    .name:           _Z39paged_attention_ll4mi_QKV_mfma16_kernelIDF16_DF16_LN4vllm18Fp8KVCacheDataTypeE0EhLi16ELi128ELi256ELb0ELi1EL8MFMAType0EEvPKT_PKT0_S8_ifPKiSA_SA_iPKfiiiPfSD_PS3_PT2_iSC_SC_
    .private_segment_fixed_size: 0
    .sgpr_count:     100
    .sgpr_spill_count: 0
    .symbol:         _Z39paged_attention_ll4mi_QKV_mfma16_kernelIDF16_DF16_LN4vllm18Fp8KVCacheDataTypeE0EhLi16ELi128ELi256ELb0ELi1EL8MFMAType0EEvPKT_PKT0_S8_ifPKiSA_SA_iPKfiiiPfSD_PS3_PT2_iSC_SC_.kd
    .uniform_work_group_size: 1
    .uses_dynamic_stack: false
    .vgpr_count:     227
    .vgpr_spill_count: 0
    .wavefront_size: 32
    .workgroup_processor_mode: 1
  - .args:
      - .actual_access:  read_only
        .address_space:  global
        .offset:         0
        .size:           8
        .value_kind:     global_buffer
      - .actual_access:  read_only
        .address_space:  global
        .offset:         8
        .size:           8
        .value_kind:     global_buffer
      - .actual_access:  read_only
        .address_space:  global
        .offset:         16
        .size:           8
        .value_kind:     global_buffer
      - .offset:         24
        .size:           4
        .value_kind:     by_value
      - .offset:         28
        .size:           4
        .value_kind:     by_value
      - .actual_access:  read_only
        .address_space:  global
        .offset:         32
        .size:           8
        .value_kind:     global_buffer
      - .actual_access:  read_only
        .address_space:  global
        .offset:         40
        .size:           8
        .value_kind:     global_buffer
      - .actual_access:  read_only
        .address_space:  global
        .offset:         48
        .size:           8
        .value_kind:     global_buffer
      - .offset:         56
        .size:           4
        .value_kind:     by_value
      - .actual_access:  read_only
        .address_space:  global
        .offset:         64
        .size:           8
        .value_kind:     global_buffer
      - .offset:         72
        .size:           4
        .value_kind:     by_value
      - .offset:         76
        .size:           4
        .value_kind:     by_value
      - .offset:         80
        .size:           4
        .value_kind:     by_value
      - .actual_access:  write_only
        .address_space:  global
        .offset:         88
        .size:           8
        .value_kind:     global_buffer
      - .actual_access:  write_only
        .address_space:  global
        .offset:         96
        .size:           8
        .value_kind:     global_buffer
      - .actual_access:  write_only
        .address_space:  global
        .offset:         104
        .size:           8
        .value_kind:     global_buffer
      - .actual_access:  read_only
        .address_space:  global
        .offset:         112
        .size:           8
        .value_kind:     global_buffer
      - .offset:         120
        .size:           4
        .value_kind:     by_value
      - .address_space:  global
        .offset:         128
        .size:           8
        .value_kind:     global_buffer
      - .address_space:  global
        .offset:         136
        .size:           8
        .value_kind:     global_buffer
      - .offset:         144
        .size:           4
        .value_kind:     hidden_block_count_x
      - .offset:         148
        .size:           4
        .value_kind:     hidden_block_count_y
      - .offset:         152
        .size:           4
        .value_kind:     hidden_block_count_z
      - .offset:         156
        .size:           2
        .value_kind:     hidden_group_size_x
      - .offset:         158
        .size:           2
        .value_kind:     hidden_group_size_y
      - .offset:         160
        .size:           2
        .value_kind:     hidden_group_size_z
      - .offset:         162
        .size:           2
        .value_kind:     hidden_remainder_x
      - .offset:         164
        .size:           2
        .value_kind:     hidden_remainder_y
      - .offset:         166
        .size:           2
        .value_kind:     hidden_remainder_z
      - .offset:         184
        .size:           8
        .value_kind:     hidden_global_offset_x
      - .offset:         192
        .size:           8
        .value_kind:     hidden_global_offset_y
      - .offset:         200
        .size:           8
        .value_kind:     hidden_global_offset_z
      - .offset:         208
        .size:           2
        .value_kind:     hidden_grid_dims
    .group_segment_fixed_size: 17472
    .kernarg_segment_align: 8
    .kernarg_segment_size: 400
    .language:       OpenCL C
    .language_version:
      - 2
      - 0
    .max_flat_workgroup_size: 256
    .name:           _Z39paged_attention_ll4mi_QKV_mfma16_kernelIDF16_DF16_LN4vllm18Fp8KVCacheDataTypeE0EhLi16ELi128ELi256ELb0ELi2EL8MFMAType0EEvPKT_PKT0_S8_ifPKiSA_SA_iPKfiiiPfSD_PS3_PT2_iSC_SC_
    .private_segment_fixed_size: 0
    .sgpr_count:     54
    .sgpr_spill_count: 0
    .symbol:         _Z39paged_attention_ll4mi_QKV_mfma16_kernelIDF16_DF16_LN4vllm18Fp8KVCacheDataTypeE0EhLi16ELi128ELi256ELb0ELi2EL8MFMAType0EEvPKT_PKT0_S8_ifPKiSA_SA_iPKfiiiPfSD_PS3_PT2_iSC_SC_.kd
    .uniform_work_group_size: 1
    .uses_dynamic_stack: false
    .vgpr_count:     230
    .vgpr_spill_count: 0
    .wavefront_size: 32
    .workgroup_processor_mode: 1
  - .args:
      - .actual_access:  read_only
        .address_space:  global
        .offset:         0
        .size:           8
        .value_kind:     global_buffer
      - .actual_access:  read_only
        .address_space:  global
        .offset:         8
        .size:           8
        .value_kind:     global_buffer
      - .actual_access:  read_only
        .address_space:  global
        .offset:         16
        .size:           8
        .value_kind:     global_buffer
      - .offset:         24
        .size:           4
        .value_kind:     by_value
      - .offset:         28
        .size:           4
        .value_kind:     by_value
      - .actual_access:  read_only
        .address_space:  global
        .offset:         32
        .size:           8
        .value_kind:     global_buffer
      - .actual_access:  read_only
        .address_space:  global
        .offset:         40
        .size:           8
        .value_kind:     global_buffer
      - .actual_access:  read_only
        .address_space:  global
        .offset:         48
        .size:           8
        .value_kind:     global_buffer
      - .offset:         56
        .size:           4
        .value_kind:     by_value
      - .actual_access:  read_only
        .address_space:  global
        .offset:         64
        .size:           8
        .value_kind:     global_buffer
      - .offset:         72
        .size:           4
        .value_kind:     by_value
      - .offset:         76
        .size:           4
        .value_kind:     by_value
      - .offset:         80
        .size:           4
        .value_kind:     by_value
      - .actual_access:  write_only
        .address_space:  global
        .offset:         88
        .size:           8
        .value_kind:     global_buffer
      - .actual_access:  write_only
        .address_space:  global
        .offset:         96
        .size:           8
        .value_kind:     global_buffer
      - .actual_access:  write_only
        .address_space:  global
        .offset:         104
        .size:           8
        .value_kind:     global_buffer
      - .actual_access:  read_only
        .address_space:  global
        .offset:         112
        .size:           8
        .value_kind:     global_buffer
      - .offset:         120
        .size:           4
        .value_kind:     by_value
      - .address_space:  global
        .offset:         128
        .size:           8
        .value_kind:     global_buffer
      - .address_space:  global
        .offset:         136
        .size:           8
        .value_kind:     global_buffer
      - .offset:         144
        .size:           4
        .value_kind:     hidden_block_count_x
      - .offset:         148
        .size:           4
        .value_kind:     hidden_block_count_y
      - .offset:         152
        .size:           4
        .value_kind:     hidden_block_count_z
      - .offset:         156
        .size:           2
        .value_kind:     hidden_group_size_x
      - .offset:         158
        .size:           2
        .value_kind:     hidden_group_size_y
      - .offset:         160
        .size:           2
        .value_kind:     hidden_group_size_z
      - .offset:         162
        .size:           2
        .value_kind:     hidden_remainder_x
      - .offset:         164
        .size:           2
        .value_kind:     hidden_remainder_y
      - .offset:         166
        .size:           2
        .value_kind:     hidden_remainder_z
      - .offset:         184
        .size:           8
        .value_kind:     hidden_global_offset_x
      - .offset:         192
        .size:           8
        .value_kind:     hidden_global_offset_y
      - .offset:         200
        .size:           8
        .value_kind:     hidden_global_offset_z
      - .offset:         208
        .size:           2
        .value_kind:     hidden_grid_dims
    .group_segment_fixed_size: 17472
    .kernarg_segment_align: 8
    .kernarg_segment_size: 400
    .language:       OpenCL C
    .language_version:
      - 2
      - 0
    .max_flat_workgroup_size: 256
    .name:           _Z39paged_attention_ll4mi_QKV_mfma16_kernelIDF16_DF16_LN4vllm18Fp8KVCacheDataTypeE0EhLi16ELi128ELi256ELb0ELi3EL8MFMAType0EEvPKT_PKT0_S8_ifPKiSA_SA_iPKfiiiPfSD_PS3_PT2_iSC_SC_
    .private_segment_fixed_size: 0
    .sgpr_count:     54
    .sgpr_spill_count: 0
    .symbol:         _Z39paged_attention_ll4mi_QKV_mfma16_kernelIDF16_DF16_LN4vllm18Fp8KVCacheDataTypeE0EhLi16ELi128ELi256ELb0ELi3EL8MFMAType0EEvPKT_PKT0_S8_ifPKiSA_SA_iPKfiiiPfSD_PS3_PT2_iSC_SC_.kd
    .uniform_work_group_size: 1
    .uses_dynamic_stack: false
    .vgpr_count:     218
    .vgpr_spill_count: 0
    .wavefront_size: 32
    .workgroup_processor_mode: 1
  - .args:
      - .actual_access:  read_only
        .address_space:  global
        .offset:         0
        .size:           8
        .value_kind:     global_buffer
      - .actual_access:  read_only
        .address_space:  global
        .offset:         8
        .size:           8
        .value_kind:     global_buffer
      - .actual_access:  read_only
        .address_space:  global
        .offset:         16
        .size:           8
        .value_kind:     global_buffer
      - .offset:         24
        .size:           4
        .value_kind:     by_value
      - .offset:         28
        .size:           4
        .value_kind:     by_value
      - .actual_access:  read_only
        .address_space:  global
        .offset:         32
        .size:           8
        .value_kind:     global_buffer
      - .actual_access:  read_only
        .address_space:  global
        .offset:         40
        .size:           8
        .value_kind:     global_buffer
      - .actual_access:  read_only
        .address_space:  global
        .offset:         48
        .size:           8
        .value_kind:     global_buffer
      - .offset:         56
        .size:           4
        .value_kind:     by_value
      - .actual_access:  read_only
        .address_space:  global
        .offset:         64
        .size:           8
        .value_kind:     global_buffer
      - .offset:         72
        .size:           4
        .value_kind:     by_value
      - .offset:         76
        .size:           4
        .value_kind:     by_value
      - .offset:         80
        .size:           4
        .value_kind:     by_value
      - .actual_access:  write_only
        .address_space:  global
        .offset:         88
        .size:           8
        .value_kind:     global_buffer
      - .actual_access:  write_only
        .address_space:  global
        .offset:         96
        .size:           8
        .value_kind:     global_buffer
      - .actual_access:  write_only
        .address_space:  global
        .offset:         104
        .size:           8
        .value_kind:     global_buffer
      - .actual_access:  read_only
        .address_space:  global
        .offset:         112
        .size:           8
        .value_kind:     global_buffer
      - .offset:         120
        .size:           4
        .value_kind:     by_value
      - .address_space:  global
        .offset:         128
        .size:           8
        .value_kind:     global_buffer
      - .address_space:  global
        .offset:         136
        .size:           8
        .value_kind:     global_buffer
      - .offset:         144
        .size:           4
        .value_kind:     hidden_block_count_x
      - .offset:         148
        .size:           4
        .value_kind:     hidden_block_count_y
      - .offset:         152
        .size:           4
        .value_kind:     hidden_block_count_z
      - .offset:         156
        .size:           2
        .value_kind:     hidden_group_size_x
      - .offset:         158
        .size:           2
        .value_kind:     hidden_group_size_y
      - .offset:         160
        .size:           2
        .value_kind:     hidden_group_size_z
      - .offset:         162
        .size:           2
        .value_kind:     hidden_remainder_x
      - .offset:         164
        .size:           2
        .value_kind:     hidden_remainder_y
      - .offset:         166
        .size:           2
        .value_kind:     hidden_remainder_z
      - .offset:         184
        .size:           8
        .value_kind:     hidden_global_offset_x
      - .offset:         192
        .size:           8
        .value_kind:     hidden_global_offset_y
      - .offset:         200
        .size:           8
        .value_kind:     hidden_global_offset_z
      - .offset:         208
        .size:           2
        .value_kind:     hidden_grid_dims
    .group_segment_fixed_size: 17472
    .kernarg_segment_align: 8
    .kernarg_segment_size: 400
    .language:       OpenCL C
    .language_version:
      - 2
      - 0
    .max_flat_workgroup_size: 256
    .name:           _Z39paged_attention_ll4mi_QKV_mfma16_kernelIDF16_DF16_LN4vllm18Fp8KVCacheDataTypeE0EhLi16ELi128ELi256ELb0ELi4EL8MFMAType0EEvPKT_PKT0_S8_ifPKiSA_SA_iPKfiiiPfSD_PS3_PT2_iSC_SC_
    .private_segment_fixed_size: 0
    .sgpr_count:     54
    .sgpr_spill_count: 0
    .symbol:         _Z39paged_attention_ll4mi_QKV_mfma16_kernelIDF16_DF16_LN4vllm18Fp8KVCacheDataTypeE0EhLi16ELi128ELi256ELb0ELi4EL8MFMAType0EEvPKT_PKT0_S8_ifPKiSA_SA_iPKfiiiPfSD_PS3_PT2_iSC_SC_.kd
    .uniform_work_group_size: 1
    .uses_dynamic_stack: false
    .vgpr_count:     218
    .vgpr_spill_count: 0
    .wavefront_size: 32
    .workgroup_processor_mode: 1
  - .args:
      - .actual_access:  read_only
        .address_space:  global
        .offset:         0
        .size:           8
        .value_kind:     global_buffer
      - .actual_access:  read_only
        .address_space:  global
        .offset:         8
        .size:           8
        .value_kind:     global_buffer
      - .actual_access:  read_only
        .address_space:  global
        .offset:         16
        .size:           8
        .value_kind:     global_buffer
      - .offset:         24
        .size:           4
        .value_kind:     by_value
      - .offset:         28
        .size:           4
        .value_kind:     by_value
      - .actual_access:  read_only
        .address_space:  global
        .offset:         32
        .size:           8
        .value_kind:     global_buffer
      - .actual_access:  read_only
        .address_space:  global
        .offset:         40
        .size:           8
        .value_kind:     global_buffer
      - .actual_access:  read_only
        .address_space:  global
        .offset:         48
        .size:           8
        .value_kind:     global_buffer
      - .offset:         56
        .size:           4
        .value_kind:     by_value
      - .actual_access:  read_only
        .address_space:  global
        .offset:         64
        .size:           8
        .value_kind:     global_buffer
      - .offset:         72
        .size:           4
        .value_kind:     by_value
      - .offset:         76
        .size:           4
        .value_kind:     by_value
      - .offset:         80
        .size:           4
        .value_kind:     by_value
      - .actual_access:  read_only
        .address_space:  global
        .offset:         88
        .size:           8
        .value_kind:     global_buffer
      - .actual_access:  read_only
        .address_space:  global
        .offset:         96
        .size:           8
        .value_kind:     global_buffer
      - .actual_access:  read_only
        .address_space:  global
        .offset:         104
        .size:           8
        .value_kind:     global_buffer
      - .actual_access:  read_only
        .address_space:  global
        .offset:         112
        .size:           8
        .value_kind:     global_buffer
      - .offset:         120
        .size:           4
        .value_kind:     by_value
      - .address_space:  global
        .offset:         128
        .size:           8
        .value_kind:     global_buffer
      - .address_space:  global
        .offset:         136
        .size:           8
        .value_kind:     global_buffer
      - .offset:         144
        .size:           4
        .value_kind:     hidden_block_count_x
      - .offset:         148
        .size:           4
        .value_kind:     hidden_block_count_y
      - .offset:         152
        .size:           4
        .value_kind:     hidden_block_count_z
      - .offset:         156
        .size:           2
        .value_kind:     hidden_group_size_x
      - .offset:         158
        .size:           2
        .value_kind:     hidden_group_size_y
      - .offset:         160
        .size:           2
        .value_kind:     hidden_group_size_z
      - .offset:         162
        .size:           2
        .value_kind:     hidden_remainder_x
      - .offset:         164
        .size:           2
        .value_kind:     hidden_remainder_y
      - .offset:         166
        .size:           2
        .value_kind:     hidden_remainder_z
      - .offset:         184
        .size:           8
        .value_kind:     hidden_global_offset_x
      - .offset:         192
        .size:           8
        .value_kind:     hidden_global_offset_y
      - .offset:         200
        .size:           8
        .value_kind:     hidden_global_offset_z
      - .offset:         208
        .size:           2
        .value_kind:     hidden_grid_dims
      - .offset:         224
        .size:           8
        .value_kind:     hidden_hostcall_buffer
    .group_segment_fixed_size: 0
    .kernarg_segment_align: 8
    .kernarg_segment_size: 400
    .language:       OpenCL C
    .language_version:
      - 2
      - 0
    .max_flat_workgroup_size: 256
    .name:           _Z38paged_attention_ll4mi_QKV_mfma4_kernelIDF16_DF16_LN4vllm18Fp8KVCacheDataTypeE0EDF16_Li16ELi128ELi256ELb1ELi1EEvPKT_PKT0_S7_ifPKiS9_S9_iPKfiiiPfSC_PS2_PT2_iSB_SB_
    .private_segment_fixed_size: 64
    .sgpr_count:     36
    .sgpr_spill_count: 0
    .symbol:         _Z38paged_attention_ll4mi_QKV_mfma4_kernelIDF16_DF16_LN4vllm18Fp8KVCacheDataTypeE0EDF16_Li16ELi128ELi256ELb1ELi1EEvPKT_PKT0_S7_ifPKiS9_S9_iPKfiiiPfSC_PS2_PT2_iSB_SB_.kd
    .uniform_work_group_size: 1
    .uses_dynamic_stack: false
    .vgpr_count:     41
    .vgpr_spill_count: 0
    .wavefront_size: 32
    .workgroup_processor_mode: 1
  - .args:
      - .actual_access:  read_only
        .address_space:  global
        .offset:         0
        .size:           8
        .value_kind:     global_buffer
      - .actual_access:  read_only
        .address_space:  global
        .offset:         8
        .size:           8
        .value_kind:     global_buffer
      - .actual_access:  read_only
        .address_space:  global
        .offset:         16
        .size:           8
        .value_kind:     global_buffer
      - .offset:         24
        .size:           4
        .value_kind:     by_value
      - .offset:         28
        .size:           4
        .value_kind:     by_value
      - .actual_access:  read_only
        .address_space:  global
        .offset:         32
        .size:           8
        .value_kind:     global_buffer
      - .actual_access:  read_only
        .address_space:  global
        .offset:         40
        .size:           8
        .value_kind:     global_buffer
      - .actual_access:  read_only
        .address_space:  global
        .offset:         48
        .size:           8
        .value_kind:     global_buffer
      - .offset:         56
        .size:           4
        .value_kind:     by_value
      - .actual_access:  read_only
        .address_space:  global
        .offset:         64
        .size:           8
        .value_kind:     global_buffer
      - .offset:         72
        .size:           4
        .value_kind:     by_value
      - .offset:         76
        .size:           4
        .value_kind:     by_value
      - .offset:         80
        .size:           4
        .value_kind:     by_value
      - .actual_access:  read_only
        .address_space:  global
        .offset:         88
        .size:           8
        .value_kind:     global_buffer
      - .actual_access:  read_only
        .address_space:  global
        .offset:         96
        .size:           8
        .value_kind:     global_buffer
      - .actual_access:  read_only
        .address_space:  global
        .offset:         104
        .size:           8
        .value_kind:     global_buffer
      - .actual_access:  read_only
        .address_space:  global
        .offset:         112
        .size:           8
        .value_kind:     global_buffer
      - .offset:         120
        .size:           4
        .value_kind:     by_value
      - .address_space:  global
        .offset:         128
        .size:           8
        .value_kind:     global_buffer
      - .address_space:  global
        .offset:         136
        .size:           8
        .value_kind:     global_buffer
      - .offset:         144
        .size:           4
        .value_kind:     hidden_block_count_x
      - .offset:         148
        .size:           4
        .value_kind:     hidden_block_count_y
      - .offset:         152
        .size:           4
        .value_kind:     hidden_block_count_z
      - .offset:         156
        .size:           2
        .value_kind:     hidden_group_size_x
      - .offset:         158
        .size:           2
        .value_kind:     hidden_group_size_y
      - .offset:         160
        .size:           2
        .value_kind:     hidden_group_size_z
      - .offset:         162
        .size:           2
        .value_kind:     hidden_remainder_x
      - .offset:         164
        .size:           2
        .value_kind:     hidden_remainder_y
      - .offset:         166
        .size:           2
        .value_kind:     hidden_remainder_z
      - .offset:         184
        .size:           8
        .value_kind:     hidden_global_offset_x
      - .offset:         192
        .size:           8
        .value_kind:     hidden_global_offset_y
      - .offset:         200
        .size:           8
        .value_kind:     hidden_global_offset_z
      - .offset:         208
        .size:           2
        .value_kind:     hidden_grid_dims
      - .offset:         224
        .size:           8
        .value_kind:     hidden_hostcall_buffer
    .group_segment_fixed_size: 0
    .kernarg_segment_align: 8
    .kernarg_segment_size: 400
    .language:       OpenCL C
    .language_version:
      - 2
      - 0
    .max_flat_workgroup_size: 256
    .name:           _Z38paged_attention_ll4mi_QKV_mfma4_kernelIDF16_DF16_LN4vllm18Fp8KVCacheDataTypeE0EDF16_Li16ELi128ELi256ELb1ELi2EEvPKT_PKT0_S7_ifPKiS9_S9_iPKfiiiPfSC_PS2_PT2_iSB_SB_
    .private_segment_fixed_size: 64
    .sgpr_count:     36
    .sgpr_spill_count: 0
    .symbol:         _Z38paged_attention_ll4mi_QKV_mfma4_kernelIDF16_DF16_LN4vllm18Fp8KVCacheDataTypeE0EDF16_Li16ELi128ELi256ELb1ELi2EEvPKT_PKT0_S7_ifPKiS9_S9_iPKfiiiPfSC_PS2_PT2_iSB_SB_.kd
    .uniform_work_group_size: 1
    .uses_dynamic_stack: false
    .vgpr_count:     41
    .vgpr_spill_count: 0
    .wavefront_size: 32
    .workgroup_processor_mode: 1
  - .args:
      - .actual_access:  read_only
        .address_space:  global
        .offset:         0
        .size:           8
        .value_kind:     global_buffer
      - .actual_access:  read_only
        .address_space:  global
        .offset:         8
        .size:           8
        .value_kind:     global_buffer
      - .actual_access:  read_only
        .address_space:  global
        .offset:         16
        .size:           8
        .value_kind:     global_buffer
      - .offset:         24
        .size:           4
        .value_kind:     by_value
      - .offset:         28
        .size:           4
        .value_kind:     by_value
      - .actual_access:  read_only
        .address_space:  global
        .offset:         32
        .size:           8
        .value_kind:     global_buffer
      - .actual_access:  read_only
        .address_space:  global
        .offset:         40
        .size:           8
        .value_kind:     global_buffer
      - .actual_access:  read_only
        .address_space:  global
        .offset:         48
        .size:           8
        .value_kind:     global_buffer
      - .offset:         56
        .size:           4
        .value_kind:     by_value
      - .actual_access:  read_only
        .address_space:  global
        .offset:         64
        .size:           8
        .value_kind:     global_buffer
      - .offset:         72
        .size:           4
        .value_kind:     by_value
      - .offset:         76
        .size:           4
        .value_kind:     by_value
      - .offset:         80
        .size:           4
        .value_kind:     by_value
      - .actual_access:  read_only
        .address_space:  global
        .offset:         88
        .size:           8
        .value_kind:     global_buffer
      - .actual_access:  read_only
        .address_space:  global
        .offset:         96
        .size:           8
        .value_kind:     global_buffer
      - .actual_access:  read_only
        .address_space:  global
        .offset:         104
        .size:           8
        .value_kind:     global_buffer
      - .actual_access:  read_only
        .address_space:  global
        .offset:         112
        .size:           8
        .value_kind:     global_buffer
      - .offset:         120
        .size:           4
        .value_kind:     by_value
      - .address_space:  global
        .offset:         128
        .size:           8
        .value_kind:     global_buffer
      - .address_space:  global
        .offset:         136
        .size:           8
        .value_kind:     global_buffer
      - .offset:         144
        .size:           4
        .value_kind:     hidden_block_count_x
      - .offset:         148
        .size:           4
        .value_kind:     hidden_block_count_y
      - .offset:         152
        .size:           4
        .value_kind:     hidden_block_count_z
      - .offset:         156
        .size:           2
        .value_kind:     hidden_group_size_x
      - .offset:         158
        .size:           2
        .value_kind:     hidden_group_size_y
      - .offset:         160
        .size:           2
        .value_kind:     hidden_group_size_z
      - .offset:         162
        .size:           2
        .value_kind:     hidden_remainder_x
      - .offset:         164
        .size:           2
        .value_kind:     hidden_remainder_y
      - .offset:         166
        .size:           2
        .value_kind:     hidden_remainder_z
      - .offset:         184
        .size:           8
        .value_kind:     hidden_global_offset_x
      - .offset:         192
        .size:           8
        .value_kind:     hidden_global_offset_y
      - .offset:         200
        .size:           8
        .value_kind:     hidden_global_offset_z
      - .offset:         208
        .size:           2
        .value_kind:     hidden_grid_dims
      - .offset:         224
        .size:           8
        .value_kind:     hidden_hostcall_buffer
    .group_segment_fixed_size: 0
    .kernarg_segment_align: 8
    .kernarg_segment_size: 400
    .language:       OpenCL C
    .language_version:
      - 2
      - 0
    .max_flat_workgroup_size: 256
    .name:           _Z38paged_attention_ll4mi_QKV_mfma4_kernelIDF16_DF16_LN4vllm18Fp8KVCacheDataTypeE0EDF16_Li16ELi128ELi256ELb1ELi3EEvPKT_PKT0_S7_ifPKiS9_S9_iPKfiiiPfSC_PS2_PT2_iSB_SB_
    .private_segment_fixed_size: 64
    .sgpr_count:     36
    .sgpr_spill_count: 0
    .symbol:         _Z38paged_attention_ll4mi_QKV_mfma4_kernelIDF16_DF16_LN4vllm18Fp8KVCacheDataTypeE0EDF16_Li16ELi128ELi256ELb1ELi3EEvPKT_PKT0_S7_ifPKiS9_S9_iPKfiiiPfSC_PS2_PT2_iSB_SB_.kd
    .uniform_work_group_size: 1
    .uses_dynamic_stack: false
    .vgpr_count:     41
    .vgpr_spill_count: 0
    .wavefront_size: 32
    .workgroup_processor_mode: 1
  - .args:
      - .actual_access:  read_only
        .address_space:  global
        .offset:         0
        .size:           8
        .value_kind:     global_buffer
      - .actual_access:  read_only
        .address_space:  global
        .offset:         8
        .size:           8
        .value_kind:     global_buffer
      - .actual_access:  read_only
        .address_space:  global
        .offset:         16
        .size:           8
        .value_kind:     global_buffer
      - .offset:         24
        .size:           4
        .value_kind:     by_value
      - .offset:         28
        .size:           4
        .value_kind:     by_value
      - .actual_access:  read_only
        .address_space:  global
        .offset:         32
        .size:           8
        .value_kind:     global_buffer
      - .actual_access:  read_only
        .address_space:  global
        .offset:         40
        .size:           8
        .value_kind:     global_buffer
      - .actual_access:  read_only
        .address_space:  global
        .offset:         48
        .size:           8
        .value_kind:     global_buffer
      - .offset:         56
        .size:           4
        .value_kind:     by_value
      - .actual_access:  read_only
        .address_space:  global
        .offset:         64
        .size:           8
        .value_kind:     global_buffer
      - .offset:         72
        .size:           4
        .value_kind:     by_value
      - .offset:         76
        .size:           4
        .value_kind:     by_value
      - .offset:         80
        .size:           4
        .value_kind:     by_value
      - .actual_access:  read_only
        .address_space:  global
        .offset:         88
        .size:           8
        .value_kind:     global_buffer
      - .actual_access:  read_only
        .address_space:  global
        .offset:         96
        .size:           8
        .value_kind:     global_buffer
      - .actual_access:  read_only
        .address_space:  global
        .offset:         104
        .size:           8
        .value_kind:     global_buffer
      - .actual_access:  read_only
        .address_space:  global
        .offset:         112
        .size:           8
        .value_kind:     global_buffer
      - .offset:         120
        .size:           4
        .value_kind:     by_value
      - .address_space:  global
        .offset:         128
        .size:           8
        .value_kind:     global_buffer
      - .address_space:  global
        .offset:         136
        .size:           8
        .value_kind:     global_buffer
      - .offset:         144
        .size:           4
        .value_kind:     hidden_block_count_x
      - .offset:         148
        .size:           4
        .value_kind:     hidden_block_count_y
      - .offset:         152
        .size:           4
        .value_kind:     hidden_block_count_z
      - .offset:         156
        .size:           2
        .value_kind:     hidden_group_size_x
      - .offset:         158
        .size:           2
        .value_kind:     hidden_group_size_y
      - .offset:         160
        .size:           2
        .value_kind:     hidden_group_size_z
      - .offset:         162
        .size:           2
        .value_kind:     hidden_remainder_x
      - .offset:         164
        .size:           2
        .value_kind:     hidden_remainder_y
      - .offset:         166
        .size:           2
        .value_kind:     hidden_remainder_z
      - .offset:         184
        .size:           8
        .value_kind:     hidden_global_offset_x
      - .offset:         192
        .size:           8
        .value_kind:     hidden_global_offset_y
      - .offset:         200
        .size:           8
        .value_kind:     hidden_global_offset_z
      - .offset:         208
        .size:           2
        .value_kind:     hidden_grid_dims
      - .offset:         224
        .size:           8
        .value_kind:     hidden_hostcall_buffer
    .group_segment_fixed_size: 0
    .kernarg_segment_align: 8
    .kernarg_segment_size: 400
    .language:       OpenCL C
    .language_version:
      - 2
      - 0
    .max_flat_workgroup_size: 256
    .name:           _Z38paged_attention_ll4mi_QKV_mfma4_kernelIDF16_DF16_LN4vllm18Fp8KVCacheDataTypeE0EDF16_Li16ELi128ELi256ELb1ELi4EEvPKT_PKT0_S7_ifPKiS9_S9_iPKfiiiPfSC_PS2_PT2_iSB_SB_
    .private_segment_fixed_size: 64
    .sgpr_count:     36
    .sgpr_spill_count: 0
    .symbol:         _Z38paged_attention_ll4mi_QKV_mfma4_kernelIDF16_DF16_LN4vllm18Fp8KVCacheDataTypeE0EDF16_Li16ELi128ELi256ELb1ELi4EEvPKT_PKT0_S7_ifPKiS9_S9_iPKfiiiPfSC_PS2_PT2_iSB_SB_.kd
    .uniform_work_group_size: 1
    .uses_dynamic_stack: false
    .vgpr_count:     41
    .vgpr_spill_count: 0
    .wavefront_size: 32
    .workgroup_processor_mode: 1
  - .args:
      - .actual_access:  read_only
        .address_space:  global
        .offset:         0
        .size:           8
        .value_kind:     global_buffer
      - .actual_access:  read_only
        .address_space:  global
        .offset:         8
        .size:           8
        .value_kind:     global_buffer
      - .actual_access:  read_only
        .address_space:  global
        .offset:         16
        .size:           8
        .value_kind:     global_buffer
      - .offset:         24
        .size:           4
        .value_kind:     by_value
      - .offset:         28
        .size:           4
        .value_kind:     by_value
      - .actual_access:  read_only
        .address_space:  global
        .offset:         32
        .size:           8
        .value_kind:     global_buffer
      - .actual_access:  read_only
        .address_space:  global
        .offset:         40
        .size:           8
        .value_kind:     global_buffer
      - .actual_access:  read_only
        .address_space:  global
        .offset:         48
        .size:           8
        .value_kind:     global_buffer
      - .offset:         56
        .size:           4
        .value_kind:     by_value
      - .actual_access:  read_only
        .address_space:  global
        .offset:         64
        .size:           8
        .value_kind:     global_buffer
      - .offset:         72
        .size:           4
        .value_kind:     by_value
      - .offset:         76
        .size:           4
        .value_kind:     by_value
      - .offset:         80
        .size:           4
        .value_kind:     by_value
      - .actual_access:  write_only
        .address_space:  global
        .offset:         88
        .size:           8
        .value_kind:     global_buffer
      - .actual_access:  write_only
        .address_space:  global
        .offset:         96
        .size:           8
        .value_kind:     global_buffer
      - .actual_access:  write_only
        .address_space:  global
        .offset:         104
        .size:           8
        .value_kind:     global_buffer
      - .actual_access:  read_only
        .address_space:  global
        .offset:         112
        .size:           8
        .value_kind:     global_buffer
      - .offset:         120
        .size:           4
        .value_kind:     by_value
      - .address_space:  global
        .offset:         128
        .size:           8
        .value_kind:     global_buffer
      - .address_space:  global
        .offset:         136
        .size:           8
        .value_kind:     global_buffer
      - .offset:         144
        .size:           4
        .value_kind:     hidden_block_count_x
      - .offset:         148
        .size:           4
        .value_kind:     hidden_block_count_y
      - .offset:         152
        .size:           4
        .value_kind:     hidden_block_count_z
      - .offset:         156
        .size:           2
        .value_kind:     hidden_group_size_x
      - .offset:         158
        .size:           2
        .value_kind:     hidden_group_size_y
      - .offset:         160
        .size:           2
        .value_kind:     hidden_group_size_z
      - .offset:         162
        .size:           2
        .value_kind:     hidden_remainder_x
      - .offset:         164
        .size:           2
        .value_kind:     hidden_remainder_y
      - .offset:         166
        .size:           2
        .value_kind:     hidden_remainder_z
      - .offset:         184
        .size:           8
        .value_kind:     hidden_global_offset_x
      - .offset:         192
        .size:           8
        .value_kind:     hidden_global_offset_y
      - .offset:         200
        .size:           8
        .value_kind:     hidden_global_offset_z
      - .offset:         208
        .size:           2
        .value_kind:     hidden_grid_dims
    .group_segment_fixed_size: 17472
    .kernarg_segment_align: 8
    .kernarg_segment_size: 400
    .language:       OpenCL C
    .language_version:
      - 2
      - 0
    .max_flat_workgroup_size: 256
    .name:           _Z39paged_attention_ll4mi_QKV_mfma16_kernelIDF16_DF16_LN4vllm18Fp8KVCacheDataTypeE0EDF16_Li16ELi128ELi256ELb1ELi5EL8MFMAType0EEvPKT_PKT0_S8_ifPKiSA_SA_iPKfiiiPfSD_PS3_PT2_iSC_SC_
    .private_segment_fixed_size: 0
    .sgpr_count:     54
    .sgpr_spill_count: 0
    .symbol:         _Z39paged_attention_ll4mi_QKV_mfma16_kernelIDF16_DF16_LN4vllm18Fp8KVCacheDataTypeE0EDF16_Li16ELi128ELi256ELb1ELi5EL8MFMAType0EEvPKT_PKT0_S8_ifPKiSA_SA_iPKfiiiPfSD_PS3_PT2_iSC_SC_.kd
    .uniform_work_group_size: 1
    .uses_dynamic_stack: false
    .vgpr_count:     218
    .vgpr_spill_count: 0
    .wavefront_size: 32
    .workgroup_processor_mode: 1
  - .args:
      - .actual_access:  read_only
        .address_space:  global
        .offset:         0
        .size:           8
        .value_kind:     global_buffer
      - .actual_access:  read_only
        .address_space:  global
        .offset:         8
        .size:           8
        .value_kind:     global_buffer
      - .actual_access:  read_only
        .address_space:  global
        .offset:         16
        .size:           8
        .value_kind:     global_buffer
      - .offset:         24
        .size:           4
        .value_kind:     by_value
      - .offset:         28
        .size:           4
        .value_kind:     by_value
      - .actual_access:  read_only
        .address_space:  global
        .offset:         32
        .size:           8
        .value_kind:     global_buffer
      - .actual_access:  read_only
        .address_space:  global
        .offset:         40
        .size:           8
        .value_kind:     global_buffer
      - .actual_access:  read_only
        .address_space:  global
        .offset:         48
        .size:           8
        .value_kind:     global_buffer
      - .offset:         56
        .size:           4
        .value_kind:     by_value
      - .actual_access:  read_only
        .address_space:  global
        .offset:         64
        .size:           8
        .value_kind:     global_buffer
      - .offset:         72
        .size:           4
        .value_kind:     by_value
      - .offset:         76
        .size:           4
        .value_kind:     by_value
      - .offset:         80
        .size:           4
        .value_kind:     by_value
      - .actual_access:  write_only
        .address_space:  global
        .offset:         88
        .size:           8
        .value_kind:     global_buffer
      - .actual_access:  write_only
        .address_space:  global
        .offset:         96
        .size:           8
        .value_kind:     global_buffer
      - .actual_access:  write_only
        .address_space:  global
        .offset:         104
        .size:           8
        .value_kind:     global_buffer
      - .actual_access:  read_only
        .address_space:  global
        .offset:         112
        .size:           8
        .value_kind:     global_buffer
      - .offset:         120
        .size:           4
        .value_kind:     by_value
      - .address_space:  global
        .offset:         128
        .size:           8
        .value_kind:     global_buffer
      - .address_space:  global
        .offset:         136
        .size:           8
        .value_kind:     global_buffer
      - .offset:         144
        .size:           4
        .value_kind:     hidden_block_count_x
      - .offset:         148
        .size:           4
        .value_kind:     hidden_block_count_y
      - .offset:         152
        .size:           4
        .value_kind:     hidden_block_count_z
      - .offset:         156
        .size:           2
        .value_kind:     hidden_group_size_x
      - .offset:         158
        .size:           2
        .value_kind:     hidden_group_size_y
      - .offset:         160
        .size:           2
        .value_kind:     hidden_group_size_z
      - .offset:         162
        .size:           2
        .value_kind:     hidden_remainder_x
      - .offset:         164
        .size:           2
        .value_kind:     hidden_remainder_y
      - .offset:         166
        .size:           2
        .value_kind:     hidden_remainder_z
      - .offset:         184
        .size:           8
        .value_kind:     hidden_global_offset_x
      - .offset:         192
        .size:           8
        .value_kind:     hidden_global_offset_y
      - .offset:         200
        .size:           8
        .value_kind:     hidden_global_offset_z
      - .offset:         208
        .size:           2
        .value_kind:     hidden_grid_dims
    .group_segment_fixed_size: 17472
    .kernarg_segment_align: 8
    .kernarg_segment_size: 400
    .language:       OpenCL C
    .language_version:
      - 2
      - 0
    .max_flat_workgroup_size: 256
    .name:           _Z39paged_attention_ll4mi_QKV_mfma16_kernelIDF16_DF16_LN4vllm18Fp8KVCacheDataTypeE0EDF16_Li16ELi128ELi256ELb1ELi6EL8MFMAType0EEvPKT_PKT0_S8_ifPKiSA_SA_iPKfiiiPfSD_PS3_PT2_iSC_SC_
    .private_segment_fixed_size: 0
    .sgpr_count:     54
    .sgpr_spill_count: 0
    .symbol:         _Z39paged_attention_ll4mi_QKV_mfma16_kernelIDF16_DF16_LN4vllm18Fp8KVCacheDataTypeE0EDF16_Li16ELi128ELi256ELb1ELi6EL8MFMAType0EEvPKT_PKT0_S8_ifPKiSA_SA_iPKfiiiPfSD_PS3_PT2_iSC_SC_.kd
    .uniform_work_group_size: 1
    .uses_dynamic_stack: false
    .vgpr_count:     218
    .vgpr_spill_count: 0
    .wavefront_size: 32
    .workgroup_processor_mode: 1
  - .args:
      - .actual_access:  read_only
        .address_space:  global
        .offset:         0
        .size:           8
        .value_kind:     global_buffer
      - .actual_access:  read_only
        .address_space:  global
        .offset:         8
        .size:           8
        .value_kind:     global_buffer
      - .actual_access:  read_only
        .address_space:  global
        .offset:         16
        .size:           8
        .value_kind:     global_buffer
      - .offset:         24
        .size:           4
        .value_kind:     by_value
      - .offset:         28
        .size:           4
        .value_kind:     by_value
      - .actual_access:  read_only
        .address_space:  global
        .offset:         32
        .size:           8
        .value_kind:     global_buffer
      - .actual_access:  read_only
        .address_space:  global
        .offset:         40
        .size:           8
        .value_kind:     global_buffer
      - .actual_access:  read_only
        .address_space:  global
        .offset:         48
        .size:           8
        .value_kind:     global_buffer
      - .offset:         56
        .size:           4
        .value_kind:     by_value
      - .actual_access:  read_only
        .address_space:  global
        .offset:         64
        .size:           8
        .value_kind:     global_buffer
      - .offset:         72
        .size:           4
        .value_kind:     by_value
      - .offset:         76
        .size:           4
        .value_kind:     by_value
      - .offset:         80
        .size:           4
        .value_kind:     by_value
      - .actual_access:  write_only
        .address_space:  global
        .offset:         88
        .size:           8
        .value_kind:     global_buffer
      - .actual_access:  write_only
        .address_space:  global
        .offset:         96
        .size:           8
        .value_kind:     global_buffer
      - .actual_access:  write_only
        .address_space:  global
        .offset:         104
        .size:           8
        .value_kind:     global_buffer
      - .actual_access:  read_only
        .address_space:  global
        .offset:         112
        .size:           8
        .value_kind:     global_buffer
      - .offset:         120
        .size:           4
        .value_kind:     by_value
      - .address_space:  global
        .offset:         128
        .size:           8
        .value_kind:     global_buffer
      - .address_space:  global
        .offset:         136
        .size:           8
        .value_kind:     global_buffer
      - .offset:         144
        .size:           4
        .value_kind:     hidden_block_count_x
      - .offset:         148
        .size:           4
        .value_kind:     hidden_block_count_y
      - .offset:         152
        .size:           4
        .value_kind:     hidden_block_count_z
      - .offset:         156
        .size:           2
        .value_kind:     hidden_group_size_x
      - .offset:         158
        .size:           2
        .value_kind:     hidden_group_size_y
      - .offset:         160
        .size:           2
        .value_kind:     hidden_group_size_z
      - .offset:         162
        .size:           2
        .value_kind:     hidden_remainder_x
      - .offset:         164
        .size:           2
        .value_kind:     hidden_remainder_y
      - .offset:         166
        .size:           2
        .value_kind:     hidden_remainder_z
      - .offset:         184
        .size:           8
        .value_kind:     hidden_global_offset_x
      - .offset:         192
        .size:           8
        .value_kind:     hidden_global_offset_y
      - .offset:         200
        .size:           8
        .value_kind:     hidden_global_offset_z
      - .offset:         208
        .size:           2
        .value_kind:     hidden_grid_dims
    .group_segment_fixed_size: 17472
    .kernarg_segment_align: 8
    .kernarg_segment_size: 400
    .language:       OpenCL C
    .language_version:
      - 2
      - 0
    .max_flat_workgroup_size: 256
    .name:           _Z39paged_attention_ll4mi_QKV_mfma16_kernelIDF16_DF16_LN4vllm18Fp8KVCacheDataTypeE0EDF16_Li16ELi128ELi256ELb1ELi7EL8MFMAType0EEvPKT_PKT0_S8_ifPKiSA_SA_iPKfiiiPfSD_PS3_PT2_iSC_SC_
    .private_segment_fixed_size: 0
    .sgpr_count:     54
    .sgpr_spill_count: 0
    .symbol:         _Z39paged_attention_ll4mi_QKV_mfma16_kernelIDF16_DF16_LN4vllm18Fp8KVCacheDataTypeE0EDF16_Li16ELi128ELi256ELb1ELi7EL8MFMAType0EEvPKT_PKT0_S8_ifPKiSA_SA_iPKfiiiPfSD_PS3_PT2_iSC_SC_.kd
    .uniform_work_group_size: 1
    .uses_dynamic_stack: false
    .vgpr_count:     218
    .vgpr_spill_count: 0
    .wavefront_size: 32
    .workgroup_processor_mode: 1
  - .args:
      - .actual_access:  read_only
        .address_space:  global
        .offset:         0
        .size:           8
        .value_kind:     global_buffer
      - .actual_access:  read_only
        .address_space:  global
        .offset:         8
        .size:           8
        .value_kind:     global_buffer
      - .actual_access:  read_only
        .address_space:  global
        .offset:         16
        .size:           8
        .value_kind:     global_buffer
      - .offset:         24
        .size:           4
        .value_kind:     by_value
      - .offset:         28
        .size:           4
        .value_kind:     by_value
      - .actual_access:  read_only
        .address_space:  global
        .offset:         32
        .size:           8
        .value_kind:     global_buffer
      - .actual_access:  read_only
        .address_space:  global
        .offset:         40
        .size:           8
        .value_kind:     global_buffer
      - .actual_access:  read_only
        .address_space:  global
        .offset:         48
        .size:           8
        .value_kind:     global_buffer
      - .offset:         56
        .size:           4
        .value_kind:     by_value
      - .actual_access:  read_only
        .address_space:  global
        .offset:         64
        .size:           8
        .value_kind:     global_buffer
      - .offset:         72
        .size:           4
        .value_kind:     by_value
      - .offset:         76
        .size:           4
        .value_kind:     by_value
      - .offset:         80
        .size:           4
        .value_kind:     by_value
      - .actual_access:  write_only
        .address_space:  global
        .offset:         88
        .size:           8
        .value_kind:     global_buffer
      - .actual_access:  write_only
        .address_space:  global
        .offset:         96
        .size:           8
        .value_kind:     global_buffer
      - .actual_access:  write_only
        .address_space:  global
        .offset:         104
        .size:           8
        .value_kind:     global_buffer
      - .actual_access:  read_only
        .address_space:  global
        .offset:         112
        .size:           8
        .value_kind:     global_buffer
      - .offset:         120
        .size:           4
        .value_kind:     by_value
      - .address_space:  global
        .offset:         128
        .size:           8
        .value_kind:     global_buffer
      - .address_space:  global
        .offset:         136
        .size:           8
        .value_kind:     global_buffer
      - .offset:         144
        .size:           4
        .value_kind:     hidden_block_count_x
      - .offset:         148
        .size:           4
        .value_kind:     hidden_block_count_y
      - .offset:         152
        .size:           4
        .value_kind:     hidden_block_count_z
      - .offset:         156
        .size:           2
        .value_kind:     hidden_group_size_x
      - .offset:         158
        .size:           2
        .value_kind:     hidden_group_size_y
      - .offset:         160
        .size:           2
        .value_kind:     hidden_group_size_z
      - .offset:         162
        .size:           2
        .value_kind:     hidden_remainder_x
      - .offset:         164
        .size:           2
        .value_kind:     hidden_remainder_y
      - .offset:         166
        .size:           2
        .value_kind:     hidden_remainder_z
      - .offset:         184
        .size:           8
        .value_kind:     hidden_global_offset_x
      - .offset:         192
        .size:           8
        .value_kind:     hidden_global_offset_y
      - .offset:         200
        .size:           8
        .value_kind:     hidden_global_offset_z
      - .offset:         208
        .size:           2
        .value_kind:     hidden_grid_dims
    .group_segment_fixed_size: 17472
    .kernarg_segment_align: 8
    .kernarg_segment_size: 400
    .language:       OpenCL C
    .language_version:
      - 2
      - 0
    .max_flat_workgroup_size: 256
    .name:           _Z39paged_attention_ll4mi_QKV_mfma16_kernelIDF16_DF16_LN4vllm18Fp8KVCacheDataTypeE0EDF16_Li16ELi128ELi256ELb1ELi8EL8MFMAType0EEvPKT_PKT0_S8_ifPKiSA_SA_iPKfiiiPfSD_PS3_PT2_iSC_SC_
    .private_segment_fixed_size: 0
    .sgpr_count:     54
    .sgpr_spill_count: 0
    .symbol:         _Z39paged_attention_ll4mi_QKV_mfma16_kernelIDF16_DF16_LN4vllm18Fp8KVCacheDataTypeE0EDF16_Li16ELi128ELi256ELb1ELi8EL8MFMAType0EEvPKT_PKT0_S8_ifPKiSA_SA_iPKfiiiPfSD_PS3_PT2_iSC_SC_.kd
    .uniform_work_group_size: 1
    .uses_dynamic_stack: false
    .vgpr_count:     218
    .vgpr_spill_count: 0
    .wavefront_size: 32
    .workgroup_processor_mode: 1
  - .args:
      - .actual_access:  read_only
        .address_space:  global
        .offset:         0
        .size:           8
        .value_kind:     global_buffer
      - .actual_access:  read_only
        .address_space:  global
        .offset:         8
        .size:           8
        .value_kind:     global_buffer
      - .actual_access:  read_only
        .address_space:  global
        .offset:         16
        .size:           8
        .value_kind:     global_buffer
      - .offset:         24
        .size:           4
        .value_kind:     by_value
      - .offset:         28
        .size:           4
        .value_kind:     by_value
      - .actual_access:  read_only
        .address_space:  global
        .offset:         32
        .size:           8
        .value_kind:     global_buffer
      - .actual_access:  read_only
        .address_space:  global
        .offset:         40
        .size:           8
        .value_kind:     global_buffer
      - .actual_access:  read_only
        .address_space:  global
        .offset:         48
        .size:           8
        .value_kind:     global_buffer
      - .offset:         56
        .size:           4
        .value_kind:     by_value
      - .actual_access:  read_only
        .address_space:  global
        .offset:         64
        .size:           8
        .value_kind:     global_buffer
      - .offset:         72
        .size:           4
        .value_kind:     by_value
      - .offset:         76
        .size:           4
        .value_kind:     by_value
      - .offset:         80
        .size:           4
        .value_kind:     by_value
      - .actual_access:  write_only
        .address_space:  global
        .offset:         88
        .size:           8
        .value_kind:     global_buffer
      - .actual_access:  write_only
        .address_space:  global
        .offset:         96
        .size:           8
        .value_kind:     global_buffer
      - .actual_access:  write_only
        .address_space:  global
        .offset:         104
        .size:           8
        .value_kind:     global_buffer
      - .actual_access:  read_only
        .address_space:  global
        .offset:         112
        .size:           8
        .value_kind:     global_buffer
      - .offset:         120
        .size:           4
        .value_kind:     by_value
      - .address_space:  global
        .offset:         128
        .size:           8
        .value_kind:     global_buffer
      - .address_space:  global
        .offset:         136
        .size:           8
        .value_kind:     global_buffer
      - .offset:         144
        .size:           4
        .value_kind:     hidden_block_count_x
      - .offset:         148
        .size:           4
        .value_kind:     hidden_block_count_y
      - .offset:         152
        .size:           4
        .value_kind:     hidden_block_count_z
      - .offset:         156
        .size:           2
        .value_kind:     hidden_group_size_x
      - .offset:         158
        .size:           2
        .value_kind:     hidden_group_size_y
      - .offset:         160
        .size:           2
        .value_kind:     hidden_group_size_z
      - .offset:         162
        .size:           2
        .value_kind:     hidden_remainder_x
      - .offset:         164
        .size:           2
        .value_kind:     hidden_remainder_y
      - .offset:         166
        .size:           2
        .value_kind:     hidden_remainder_z
      - .offset:         184
        .size:           8
        .value_kind:     hidden_global_offset_x
      - .offset:         192
        .size:           8
        .value_kind:     hidden_global_offset_y
      - .offset:         200
        .size:           8
        .value_kind:     hidden_global_offset_z
      - .offset:         208
        .size:           2
        .value_kind:     hidden_grid_dims
    .group_segment_fixed_size: 17472
    .kernarg_segment_align: 8
    .kernarg_segment_size: 400
    .language:       OpenCL C
    .language_version:
      - 2
      - 0
    .max_flat_workgroup_size: 256
    .name:           _Z39paged_attention_ll4mi_QKV_mfma16_kernelIDF16_DF16_LN4vllm18Fp8KVCacheDataTypeE0EDF16_Li16ELi128ELi256ELb1ELi9EL8MFMAType0EEvPKT_PKT0_S8_ifPKiSA_SA_iPKfiiiPfSD_PS3_PT2_iSC_SC_
    .private_segment_fixed_size: 0
    .sgpr_count:     54
    .sgpr_spill_count: 0
    .symbol:         _Z39paged_attention_ll4mi_QKV_mfma16_kernelIDF16_DF16_LN4vllm18Fp8KVCacheDataTypeE0EDF16_Li16ELi128ELi256ELb1ELi9EL8MFMAType0EEvPKT_PKT0_S8_ifPKiSA_SA_iPKfiiiPfSD_PS3_PT2_iSC_SC_.kd
    .uniform_work_group_size: 1
    .uses_dynamic_stack: false
    .vgpr_count:     218
    .vgpr_spill_count: 0
    .wavefront_size: 32
    .workgroup_processor_mode: 1
  - .args:
      - .actual_access:  read_only
        .address_space:  global
        .offset:         0
        .size:           8
        .value_kind:     global_buffer
      - .actual_access:  read_only
        .address_space:  global
        .offset:         8
        .size:           8
        .value_kind:     global_buffer
      - .actual_access:  read_only
        .address_space:  global
        .offset:         16
        .size:           8
        .value_kind:     global_buffer
      - .offset:         24
        .size:           4
        .value_kind:     by_value
      - .offset:         28
        .size:           4
        .value_kind:     by_value
      - .actual_access:  read_only
        .address_space:  global
        .offset:         32
        .size:           8
        .value_kind:     global_buffer
      - .actual_access:  read_only
        .address_space:  global
        .offset:         40
        .size:           8
        .value_kind:     global_buffer
      - .actual_access:  read_only
        .address_space:  global
        .offset:         48
        .size:           8
        .value_kind:     global_buffer
      - .offset:         56
        .size:           4
        .value_kind:     by_value
      - .actual_access:  read_only
        .address_space:  global
        .offset:         64
        .size:           8
        .value_kind:     global_buffer
      - .offset:         72
        .size:           4
        .value_kind:     by_value
      - .offset:         76
        .size:           4
        .value_kind:     by_value
      - .offset:         80
        .size:           4
        .value_kind:     by_value
      - .actual_access:  write_only
        .address_space:  global
        .offset:         88
        .size:           8
        .value_kind:     global_buffer
      - .actual_access:  write_only
        .address_space:  global
        .offset:         96
        .size:           8
        .value_kind:     global_buffer
      - .actual_access:  write_only
        .address_space:  global
        .offset:         104
        .size:           8
        .value_kind:     global_buffer
      - .actual_access:  read_only
        .address_space:  global
        .offset:         112
        .size:           8
        .value_kind:     global_buffer
      - .offset:         120
        .size:           4
        .value_kind:     by_value
      - .address_space:  global
        .offset:         128
        .size:           8
        .value_kind:     global_buffer
      - .address_space:  global
        .offset:         136
        .size:           8
        .value_kind:     global_buffer
      - .offset:         144
        .size:           4
        .value_kind:     hidden_block_count_x
      - .offset:         148
        .size:           4
        .value_kind:     hidden_block_count_y
      - .offset:         152
        .size:           4
        .value_kind:     hidden_block_count_z
      - .offset:         156
        .size:           2
        .value_kind:     hidden_group_size_x
      - .offset:         158
        .size:           2
        .value_kind:     hidden_group_size_y
      - .offset:         160
        .size:           2
        .value_kind:     hidden_group_size_z
      - .offset:         162
        .size:           2
        .value_kind:     hidden_remainder_x
      - .offset:         164
        .size:           2
        .value_kind:     hidden_remainder_y
      - .offset:         166
        .size:           2
        .value_kind:     hidden_remainder_z
      - .offset:         184
        .size:           8
        .value_kind:     hidden_global_offset_x
      - .offset:         192
        .size:           8
        .value_kind:     hidden_global_offset_y
      - .offset:         200
        .size:           8
        .value_kind:     hidden_global_offset_z
      - .offset:         208
        .size:           2
        .value_kind:     hidden_grid_dims
    .group_segment_fixed_size: 17472
    .kernarg_segment_align: 8
    .kernarg_segment_size: 400
    .language:       OpenCL C
    .language_version:
      - 2
      - 0
    .max_flat_workgroup_size: 256
    .name:           _Z39paged_attention_ll4mi_QKV_mfma16_kernelIDF16_DF16_LN4vllm18Fp8KVCacheDataTypeE0EDF16_Li16ELi128ELi256ELb1ELi10EL8MFMAType0EEvPKT_PKT0_S8_ifPKiSA_SA_iPKfiiiPfSD_PS3_PT2_iSC_SC_
    .private_segment_fixed_size: 0
    .sgpr_count:     54
    .sgpr_spill_count: 0
    .symbol:         _Z39paged_attention_ll4mi_QKV_mfma16_kernelIDF16_DF16_LN4vllm18Fp8KVCacheDataTypeE0EDF16_Li16ELi128ELi256ELb1ELi10EL8MFMAType0EEvPKT_PKT0_S8_ifPKiSA_SA_iPKfiiiPfSD_PS3_PT2_iSC_SC_.kd
    .uniform_work_group_size: 1
    .uses_dynamic_stack: false
    .vgpr_count:     218
    .vgpr_spill_count: 0
    .wavefront_size: 32
    .workgroup_processor_mode: 1
  - .args:
      - .actual_access:  read_only
        .address_space:  global
        .offset:         0
        .size:           8
        .value_kind:     global_buffer
      - .actual_access:  read_only
        .address_space:  global
        .offset:         8
        .size:           8
        .value_kind:     global_buffer
      - .actual_access:  read_only
        .address_space:  global
        .offset:         16
        .size:           8
        .value_kind:     global_buffer
      - .offset:         24
        .size:           4
        .value_kind:     by_value
      - .offset:         28
        .size:           4
        .value_kind:     by_value
      - .actual_access:  read_only
        .address_space:  global
        .offset:         32
        .size:           8
        .value_kind:     global_buffer
      - .actual_access:  read_only
        .address_space:  global
        .offset:         40
        .size:           8
        .value_kind:     global_buffer
      - .actual_access:  read_only
        .address_space:  global
        .offset:         48
        .size:           8
        .value_kind:     global_buffer
      - .offset:         56
        .size:           4
        .value_kind:     by_value
      - .actual_access:  read_only
        .address_space:  global
        .offset:         64
        .size:           8
        .value_kind:     global_buffer
      - .offset:         72
        .size:           4
        .value_kind:     by_value
      - .offset:         76
        .size:           4
        .value_kind:     by_value
      - .offset:         80
        .size:           4
        .value_kind:     by_value
      - .actual_access:  write_only
        .address_space:  global
        .offset:         88
        .size:           8
        .value_kind:     global_buffer
      - .actual_access:  write_only
        .address_space:  global
        .offset:         96
        .size:           8
        .value_kind:     global_buffer
      - .actual_access:  write_only
        .address_space:  global
        .offset:         104
        .size:           8
        .value_kind:     global_buffer
      - .actual_access:  read_only
        .address_space:  global
        .offset:         112
        .size:           8
        .value_kind:     global_buffer
      - .offset:         120
        .size:           4
        .value_kind:     by_value
      - .address_space:  global
        .offset:         128
        .size:           8
        .value_kind:     global_buffer
      - .address_space:  global
        .offset:         136
        .size:           8
        .value_kind:     global_buffer
      - .offset:         144
        .size:           4
        .value_kind:     hidden_block_count_x
      - .offset:         148
        .size:           4
        .value_kind:     hidden_block_count_y
      - .offset:         152
        .size:           4
        .value_kind:     hidden_block_count_z
      - .offset:         156
        .size:           2
        .value_kind:     hidden_group_size_x
      - .offset:         158
        .size:           2
        .value_kind:     hidden_group_size_y
      - .offset:         160
        .size:           2
        .value_kind:     hidden_group_size_z
      - .offset:         162
        .size:           2
        .value_kind:     hidden_remainder_x
      - .offset:         164
        .size:           2
        .value_kind:     hidden_remainder_y
      - .offset:         166
        .size:           2
        .value_kind:     hidden_remainder_z
      - .offset:         184
        .size:           8
        .value_kind:     hidden_global_offset_x
      - .offset:         192
        .size:           8
        .value_kind:     hidden_global_offset_y
      - .offset:         200
        .size:           8
        .value_kind:     hidden_global_offset_z
      - .offset:         208
        .size:           2
        .value_kind:     hidden_grid_dims
    .group_segment_fixed_size: 17472
    .kernarg_segment_align: 8
    .kernarg_segment_size: 400
    .language:       OpenCL C
    .language_version:
      - 2
      - 0
    .max_flat_workgroup_size: 256
    .name:           _Z39paged_attention_ll4mi_QKV_mfma16_kernelIDF16_DF16_LN4vllm18Fp8KVCacheDataTypeE0EDF16_Li16ELi128ELi256ELb1ELi11EL8MFMAType0EEvPKT_PKT0_S8_ifPKiSA_SA_iPKfiiiPfSD_PS3_PT2_iSC_SC_
    .private_segment_fixed_size: 0
    .sgpr_count:     54
    .sgpr_spill_count: 0
    .symbol:         _Z39paged_attention_ll4mi_QKV_mfma16_kernelIDF16_DF16_LN4vllm18Fp8KVCacheDataTypeE0EDF16_Li16ELi128ELi256ELb1ELi11EL8MFMAType0EEvPKT_PKT0_S8_ifPKiSA_SA_iPKfiiiPfSD_PS3_PT2_iSC_SC_.kd
    .uniform_work_group_size: 1
    .uses_dynamic_stack: false
    .vgpr_count:     218
    .vgpr_spill_count: 0
    .wavefront_size: 32
    .workgroup_processor_mode: 1
  - .args:
      - .actual_access:  read_only
        .address_space:  global
        .offset:         0
        .size:           8
        .value_kind:     global_buffer
      - .actual_access:  read_only
        .address_space:  global
        .offset:         8
        .size:           8
        .value_kind:     global_buffer
      - .actual_access:  read_only
        .address_space:  global
        .offset:         16
        .size:           8
        .value_kind:     global_buffer
      - .offset:         24
        .size:           4
        .value_kind:     by_value
      - .offset:         28
        .size:           4
        .value_kind:     by_value
      - .actual_access:  read_only
        .address_space:  global
        .offset:         32
        .size:           8
        .value_kind:     global_buffer
      - .actual_access:  read_only
        .address_space:  global
        .offset:         40
        .size:           8
        .value_kind:     global_buffer
      - .actual_access:  read_only
        .address_space:  global
        .offset:         48
        .size:           8
        .value_kind:     global_buffer
      - .offset:         56
        .size:           4
        .value_kind:     by_value
      - .actual_access:  read_only
        .address_space:  global
        .offset:         64
        .size:           8
        .value_kind:     global_buffer
      - .offset:         72
        .size:           4
        .value_kind:     by_value
      - .offset:         76
        .size:           4
        .value_kind:     by_value
      - .offset:         80
        .size:           4
        .value_kind:     by_value
      - .actual_access:  write_only
        .address_space:  global
        .offset:         88
        .size:           8
        .value_kind:     global_buffer
      - .actual_access:  write_only
        .address_space:  global
        .offset:         96
        .size:           8
        .value_kind:     global_buffer
      - .actual_access:  write_only
        .address_space:  global
        .offset:         104
        .size:           8
        .value_kind:     global_buffer
      - .actual_access:  read_only
        .address_space:  global
        .offset:         112
        .size:           8
        .value_kind:     global_buffer
      - .offset:         120
        .size:           4
        .value_kind:     by_value
      - .address_space:  global
        .offset:         128
        .size:           8
        .value_kind:     global_buffer
      - .address_space:  global
        .offset:         136
        .size:           8
        .value_kind:     global_buffer
      - .offset:         144
        .size:           4
        .value_kind:     hidden_block_count_x
      - .offset:         148
        .size:           4
        .value_kind:     hidden_block_count_y
      - .offset:         152
        .size:           4
        .value_kind:     hidden_block_count_z
      - .offset:         156
        .size:           2
        .value_kind:     hidden_group_size_x
      - .offset:         158
        .size:           2
        .value_kind:     hidden_group_size_y
      - .offset:         160
        .size:           2
        .value_kind:     hidden_group_size_z
      - .offset:         162
        .size:           2
        .value_kind:     hidden_remainder_x
      - .offset:         164
        .size:           2
        .value_kind:     hidden_remainder_y
      - .offset:         166
        .size:           2
        .value_kind:     hidden_remainder_z
      - .offset:         184
        .size:           8
        .value_kind:     hidden_global_offset_x
      - .offset:         192
        .size:           8
        .value_kind:     hidden_global_offset_y
      - .offset:         200
        .size:           8
        .value_kind:     hidden_global_offset_z
      - .offset:         208
        .size:           2
        .value_kind:     hidden_grid_dims
    .group_segment_fixed_size: 17472
    .kernarg_segment_align: 8
    .kernarg_segment_size: 400
    .language:       OpenCL C
    .language_version:
      - 2
      - 0
    .max_flat_workgroup_size: 256
    .name:           _Z39paged_attention_ll4mi_QKV_mfma16_kernelIDF16_DF16_LN4vllm18Fp8KVCacheDataTypeE0EDF16_Li16ELi128ELi256ELb1ELi12EL8MFMAType0EEvPKT_PKT0_S8_ifPKiSA_SA_iPKfiiiPfSD_PS3_PT2_iSC_SC_
    .private_segment_fixed_size: 0
    .sgpr_count:     54
    .sgpr_spill_count: 0
    .symbol:         _Z39paged_attention_ll4mi_QKV_mfma16_kernelIDF16_DF16_LN4vllm18Fp8KVCacheDataTypeE0EDF16_Li16ELi128ELi256ELb1ELi12EL8MFMAType0EEvPKT_PKT0_S8_ifPKiSA_SA_iPKfiiiPfSD_PS3_PT2_iSC_SC_.kd
    .uniform_work_group_size: 1
    .uses_dynamic_stack: false
    .vgpr_count:     218
    .vgpr_spill_count: 0
    .wavefront_size: 32
    .workgroup_processor_mode: 1
  - .args:
      - .actual_access:  read_only
        .address_space:  global
        .offset:         0
        .size:           8
        .value_kind:     global_buffer
      - .actual_access:  read_only
        .address_space:  global
        .offset:         8
        .size:           8
        .value_kind:     global_buffer
      - .actual_access:  read_only
        .address_space:  global
        .offset:         16
        .size:           8
        .value_kind:     global_buffer
      - .offset:         24
        .size:           4
        .value_kind:     by_value
      - .offset:         28
        .size:           4
        .value_kind:     by_value
      - .actual_access:  read_only
        .address_space:  global
        .offset:         32
        .size:           8
        .value_kind:     global_buffer
      - .actual_access:  read_only
        .address_space:  global
        .offset:         40
        .size:           8
        .value_kind:     global_buffer
      - .actual_access:  read_only
        .address_space:  global
        .offset:         48
        .size:           8
        .value_kind:     global_buffer
      - .offset:         56
        .size:           4
        .value_kind:     by_value
      - .actual_access:  read_only
        .address_space:  global
        .offset:         64
        .size:           8
        .value_kind:     global_buffer
      - .offset:         72
        .size:           4
        .value_kind:     by_value
      - .offset:         76
        .size:           4
        .value_kind:     by_value
      - .offset:         80
        .size:           4
        .value_kind:     by_value
      - .actual_access:  write_only
        .address_space:  global
        .offset:         88
        .size:           8
        .value_kind:     global_buffer
      - .actual_access:  write_only
        .address_space:  global
        .offset:         96
        .size:           8
        .value_kind:     global_buffer
      - .actual_access:  write_only
        .address_space:  global
        .offset:         104
        .size:           8
        .value_kind:     global_buffer
      - .actual_access:  read_only
        .address_space:  global
        .offset:         112
        .size:           8
        .value_kind:     global_buffer
      - .offset:         120
        .size:           4
        .value_kind:     by_value
      - .address_space:  global
        .offset:         128
        .size:           8
        .value_kind:     global_buffer
      - .address_space:  global
        .offset:         136
        .size:           8
        .value_kind:     global_buffer
      - .offset:         144
        .size:           4
        .value_kind:     hidden_block_count_x
      - .offset:         148
        .size:           4
        .value_kind:     hidden_block_count_y
      - .offset:         152
        .size:           4
        .value_kind:     hidden_block_count_z
      - .offset:         156
        .size:           2
        .value_kind:     hidden_group_size_x
      - .offset:         158
        .size:           2
        .value_kind:     hidden_group_size_y
      - .offset:         160
        .size:           2
        .value_kind:     hidden_group_size_z
      - .offset:         162
        .size:           2
        .value_kind:     hidden_remainder_x
      - .offset:         164
        .size:           2
        .value_kind:     hidden_remainder_y
      - .offset:         166
        .size:           2
        .value_kind:     hidden_remainder_z
      - .offset:         184
        .size:           8
        .value_kind:     hidden_global_offset_x
      - .offset:         192
        .size:           8
        .value_kind:     hidden_global_offset_y
      - .offset:         200
        .size:           8
        .value_kind:     hidden_global_offset_z
      - .offset:         208
        .size:           2
        .value_kind:     hidden_grid_dims
    .group_segment_fixed_size: 17472
    .kernarg_segment_align: 8
    .kernarg_segment_size: 400
    .language:       OpenCL C
    .language_version:
      - 2
      - 0
    .max_flat_workgroup_size: 256
    .name:           _Z39paged_attention_ll4mi_QKV_mfma16_kernelIDF16_DF16_LN4vllm18Fp8KVCacheDataTypeE0EDF16_Li16ELi128ELi256ELb1ELi13EL8MFMAType0EEvPKT_PKT0_S8_ifPKiSA_SA_iPKfiiiPfSD_PS3_PT2_iSC_SC_
    .private_segment_fixed_size: 0
    .sgpr_count:     54
    .sgpr_spill_count: 0
    .symbol:         _Z39paged_attention_ll4mi_QKV_mfma16_kernelIDF16_DF16_LN4vllm18Fp8KVCacheDataTypeE0EDF16_Li16ELi128ELi256ELb1ELi13EL8MFMAType0EEvPKT_PKT0_S8_ifPKiSA_SA_iPKfiiiPfSD_PS3_PT2_iSC_SC_.kd
    .uniform_work_group_size: 1
    .uses_dynamic_stack: false
    .vgpr_count:     218
    .vgpr_spill_count: 0
    .wavefront_size: 32
    .workgroup_processor_mode: 1
  - .args:
      - .actual_access:  read_only
        .address_space:  global
        .offset:         0
        .size:           8
        .value_kind:     global_buffer
      - .actual_access:  read_only
        .address_space:  global
        .offset:         8
        .size:           8
        .value_kind:     global_buffer
      - .actual_access:  read_only
        .address_space:  global
        .offset:         16
        .size:           8
        .value_kind:     global_buffer
      - .offset:         24
        .size:           4
        .value_kind:     by_value
      - .offset:         28
        .size:           4
        .value_kind:     by_value
      - .actual_access:  read_only
        .address_space:  global
        .offset:         32
        .size:           8
        .value_kind:     global_buffer
      - .actual_access:  read_only
        .address_space:  global
        .offset:         40
        .size:           8
        .value_kind:     global_buffer
      - .actual_access:  read_only
        .address_space:  global
        .offset:         48
        .size:           8
        .value_kind:     global_buffer
      - .offset:         56
        .size:           4
        .value_kind:     by_value
      - .actual_access:  read_only
        .address_space:  global
        .offset:         64
        .size:           8
        .value_kind:     global_buffer
      - .offset:         72
        .size:           4
        .value_kind:     by_value
      - .offset:         76
        .size:           4
        .value_kind:     by_value
      - .offset:         80
        .size:           4
        .value_kind:     by_value
      - .actual_access:  write_only
        .address_space:  global
        .offset:         88
        .size:           8
        .value_kind:     global_buffer
      - .actual_access:  write_only
        .address_space:  global
        .offset:         96
        .size:           8
        .value_kind:     global_buffer
      - .actual_access:  write_only
        .address_space:  global
        .offset:         104
        .size:           8
        .value_kind:     global_buffer
      - .actual_access:  read_only
        .address_space:  global
        .offset:         112
        .size:           8
        .value_kind:     global_buffer
      - .offset:         120
        .size:           4
        .value_kind:     by_value
      - .address_space:  global
        .offset:         128
        .size:           8
        .value_kind:     global_buffer
      - .address_space:  global
        .offset:         136
        .size:           8
        .value_kind:     global_buffer
      - .offset:         144
        .size:           4
        .value_kind:     hidden_block_count_x
      - .offset:         148
        .size:           4
        .value_kind:     hidden_block_count_y
      - .offset:         152
        .size:           4
        .value_kind:     hidden_block_count_z
      - .offset:         156
        .size:           2
        .value_kind:     hidden_group_size_x
      - .offset:         158
        .size:           2
        .value_kind:     hidden_group_size_y
      - .offset:         160
        .size:           2
        .value_kind:     hidden_group_size_z
      - .offset:         162
        .size:           2
        .value_kind:     hidden_remainder_x
      - .offset:         164
        .size:           2
        .value_kind:     hidden_remainder_y
      - .offset:         166
        .size:           2
        .value_kind:     hidden_remainder_z
      - .offset:         184
        .size:           8
        .value_kind:     hidden_global_offset_x
      - .offset:         192
        .size:           8
        .value_kind:     hidden_global_offset_y
      - .offset:         200
        .size:           8
        .value_kind:     hidden_global_offset_z
      - .offset:         208
        .size:           2
        .value_kind:     hidden_grid_dims
    .group_segment_fixed_size: 17472
    .kernarg_segment_align: 8
    .kernarg_segment_size: 400
    .language:       OpenCL C
    .language_version:
      - 2
      - 0
    .max_flat_workgroup_size: 256
    .name:           _Z39paged_attention_ll4mi_QKV_mfma16_kernelIDF16_DF16_LN4vllm18Fp8KVCacheDataTypeE0EDF16_Li16ELi128ELi256ELb1ELi14EL8MFMAType0EEvPKT_PKT0_S8_ifPKiSA_SA_iPKfiiiPfSD_PS3_PT2_iSC_SC_
    .private_segment_fixed_size: 0
    .sgpr_count:     54
    .sgpr_spill_count: 0
    .symbol:         _Z39paged_attention_ll4mi_QKV_mfma16_kernelIDF16_DF16_LN4vllm18Fp8KVCacheDataTypeE0EDF16_Li16ELi128ELi256ELb1ELi14EL8MFMAType0EEvPKT_PKT0_S8_ifPKiSA_SA_iPKfiiiPfSD_PS3_PT2_iSC_SC_.kd
    .uniform_work_group_size: 1
    .uses_dynamic_stack: false
    .vgpr_count:     218
    .vgpr_spill_count: 0
    .wavefront_size: 32
    .workgroup_processor_mode: 1
  - .args:
      - .actual_access:  read_only
        .address_space:  global
        .offset:         0
        .size:           8
        .value_kind:     global_buffer
      - .actual_access:  read_only
        .address_space:  global
        .offset:         8
        .size:           8
        .value_kind:     global_buffer
      - .actual_access:  read_only
        .address_space:  global
        .offset:         16
        .size:           8
        .value_kind:     global_buffer
      - .offset:         24
        .size:           4
        .value_kind:     by_value
      - .offset:         28
        .size:           4
        .value_kind:     by_value
      - .actual_access:  read_only
        .address_space:  global
        .offset:         32
        .size:           8
        .value_kind:     global_buffer
      - .actual_access:  read_only
        .address_space:  global
        .offset:         40
        .size:           8
        .value_kind:     global_buffer
      - .actual_access:  read_only
        .address_space:  global
        .offset:         48
        .size:           8
        .value_kind:     global_buffer
      - .offset:         56
        .size:           4
        .value_kind:     by_value
      - .actual_access:  read_only
        .address_space:  global
        .offset:         64
        .size:           8
        .value_kind:     global_buffer
      - .offset:         72
        .size:           4
        .value_kind:     by_value
      - .offset:         76
        .size:           4
        .value_kind:     by_value
      - .offset:         80
        .size:           4
        .value_kind:     by_value
      - .actual_access:  write_only
        .address_space:  global
        .offset:         88
        .size:           8
        .value_kind:     global_buffer
      - .actual_access:  write_only
        .address_space:  global
        .offset:         96
        .size:           8
        .value_kind:     global_buffer
      - .actual_access:  write_only
        .address_space:  global
        .offset:         104
        .size:           8
        .value_kind:     global_buffer
      - .actual_access:  read_only
        .address_space:  global
        .offset:         112
        .size:           8
        .value_kind:     global_buffer
      - .offset:         120
        .size:           4
        .value_kind:     by_value
      - .address_space:  global
        .offset:         128
        .size:           8
        .value_kind:     global_buffer
      - .address_space:  global
        .offset:         136
        .size:           8
        .value_kind:     global_buffer
      - .offset:         144
        .size:           4
        .value_kind:     hidden_block_count_x
      - .offset:         148
        .size:           4
        .value_kind:     hidden_block_count_y
      - .offset:         152
        .size:           4
        .value_kind:     hidden_block_count_z
      - .offset:         156
        .size:           2
        .value_kind:     hidden_group_size_x
      - .offset:         158
        .size:           2
        .value_kind:     hidden_group_size_y
      - .offset:         160
        .size:           2
        .value_kind:     hidden_group_size_z
      - .offset:         162
        .size:           2
        .value_kind:     hidden_remainder_x
      - .offset:         164
        .size:           2
        .value_kind:     hidden_remainder_y
      - .offset:         166
        .size:           2
        .value_kind:     hidden_remainder_z
      - .offset:         184
        .size:           8
        .value_kind:     hidden_global_offset_x
      - .offset:         192
        .size:           8
        .value_kind:     hidden_global_offset_y
      - .offset:         200
        .size:           8
        .value_kind:     hidden_global_offset_z
      - .offset:         208
        .size:           2
        .value_kind:     hidden_grid_dims
    .group_segment_fixed_size: 17472
    .kernarg_segment_align: 8
    .kernarg_segment_size: 400
    .language:       OpenCL C
    .language_version:
      - 2
      - 0
    .max_flat_workgroup_size: 256
    .name:           _Z39paged_attention_ll4mi_QKV_mfma16_kernelIDF16_DF16_LN4vllm18Fp8KVCacheDataTypeE0EDF16_Li16ELi128ELi256ELb1ELi15EL8MFMAType0EEvPKT_PKT0_S8_ifPKiSA_SA_iPKfiiiPfSD_PS3_PT2_iSC_SC_
    .private_segment_fixed_size: 0
    .sgpr_count:     54
    .sgpr_spill_count: 0
    .symbol:         _Z39paged_attention_ll4mi_QKV_mfma16_kernelIDF16_DF16_LN4vllm18Fp8KVCacheDataTypeE0EDF16_Li16ELi128ELi256ELb1ELi15EL8MFMAType0EEvPKT_PKT0_S8_ifPKiSA_SA_iPKfiiiPfSD_PS3_PT2_iSC_SC_.kd
    .uniform_work_group_size: 1
    .uses_dynamic_stack: false
    .vgpr_count:     218
    .vgpr_spill_count: 0
    .wavefront_size: 32
    .workgroup_processor_mode: 1
  - .args:
      - .actual_access:  read_only
        .address_space:  global
        .offset:         0
        .size:           8
        .value_kind:     global_buffer
      - .actual_access:  read_only
        .address_space:  global
        .offset:         8
        .size:           8
        .value_kind:     global_buffer
      - .actual_access:  read_only
        .address_space:  global
        .offset:         16
        .size:           8
        .value_kind:     global_buffer
      - .offset:         24
        .size:           4
        .value_kind:     by_value
      - .offset:         28
        .size:           4
        .value_kind:     by_value
      - .actual_access:  read_only
        .address_space:  global
        .offset:         32
        .size:           8
        .value_kind:     global_buffer
      - .actual_access:  read_only
        .address_space:  global
        .offset:         40
        .size:           8
        .value_kind:     global_buffer
      - .actual_access:  read_only
        .address_space:  global
        .offset:         48
        .size:           8
        .value_kind:     global_buffer
      - .offset:         56
        .size:           4
        .value_kind:     by_value
      - .actual_access:  read_only
        .address_space:  global
        .offset:         64
        .size:           8
        .value_kind:     global_buffer
      - .offset:         72
        .size:           4
        .value_kind:     by_value
      - .offset:         76
        .size:           4
        .value_kind:     by_value
      - .offset:         80
        .size:           4
        .value_kind:     by_value
      - .actual_access:  write_only
        .address_space:  global
        .offset:         88
        .size:           8
        .value_kind:     global_buffer
      - .actual_access:  write_only
        .address_space:  global
        .offset:         96
        .size:           8
        .value_kind:     global_buffer
      - .actual_access:  write_only
        .address_space:  global
        .offset:         104
        .size:           8
        .value_kind:     global_buffer
      - .actual_access:  read_only
        .address_space:  global
        .offset:         112
        .size:           8
        .value_kind:     global_buffer
      - .offset:         120
        .size:           4
        .value_kind:     by_value
      - .address_space:  global
        .offset:         128
        .size:           8
        .value_kind:     global_buffer
      - .address_space:  global
        .offset:         136
        .size:           8
        .value_kind:     global_buffer
      - .offset:         144
        .size:           4
        .value_kind:     hidden_block_count_x
      - .offset:         148
        .size:           4
        .value_kind:     hidden_block_count_y
      - .offset:         152
        .size:           4
        .value_kind:     hidden_block_count_z
      - .offset:         156
        .size:           2
        .value_kind:     hidden_group_size_x
      - .offset:         158
        .size:           2
        .value_kind:     hidden_group_size_y
      - .offset:         160
        .size:           2
        .value_kind:     hidden_group_size_z
      - .offset:         162
        .size:           2
        .value_kind:     hidden_remainder_x
      - .offset:         164
        .size:           2
        .value_kind:     hidden_remainder_y
      - .offset:         166
        .size:           2
        .value_kind:     hidden_remainder_z
      - .offset:         184
        .size:           8
        .value_kind:     hidden_global_offset_x
      - .offset:         192
        .size:           8
        .value_kind:     hidden_global_offset_y
      - .offset:         200
        .size:           8
        .value_kind:     hidden_global_offset_z
      - .offset:         208
        .size:           2
        .value_kind:     hidden_grid_dims
    .group_segment_fixed_size: 17472
    .kernarg_segment_align: 8
    .kernarg_segment_size: 400
    .language:       OpenCL C
    .language_version:
      - 2
      - 0
    .max_flat_workgroup_size: 256
    .name:           _Z39paged_attention_ll4mi_QKV_mfma16_kernelIDF16_DF16_LN4vllm18Fp8KVCacheDataTypeE0EDF16_Li16ELi128ELi256ELb1ELi16EL8MFMAType0EEvPKT_PKT0_S8_ifPKiSA_SA_iPKfiiiPfSD_PS3_PT2_iSC_SC_
    .private_segment_fixed_size: 0
    .sgpr_count:     54
    .sgpr_spill_count: 0
    .symbol:         _Z39paged_attention_ll4mi_QKV_mfma16_kernelIDF16_DF16_LN4vllm18Fp8KVCacheDataTypeE0EDF16_Li16ELi128ELi256ELb1ELi16EL8MFMAType0EEvPKT_PKT0_S8_ifPKiSA_SA_iPKfiiiPfSD_PS3_PT2_iSC_SC_.kd
    .uniform_work_group_size: 1
    .uses_dynamic_stack: false
    .vgpr_count:     218
    .vgpr_spill_count: 0
    .wavefront_size: 32
    .workgroup_processor_mode: 1
  - .args:
      - .actual_access:  write_only
        .address_space:  global
        .offset:         0
        .size:           8
        .value_kind:     global_buffer
      - .actual_access:  read_only
        .address_space:  global
        .offset:         8
        .size:           8
        .value_kind:     global_buffer
      - .actual_access:  read_only
        .address_space:  global
        .offset:         16
        .size:           8
        .value_kind:     global_buffer
      - .actual_access:  read_only
        .address_space:  global
        .offset:         24
        .size:           8
        .value_kind:     global_buffer
      - .actual_access:  read_only
        .address_space:  global
        .offset:         32
        .size:           8
        .value_kind:     global_buffer
      - .actual_access:  read_only
        .address_space:  global
        .offset:         40
        .size:           8
        .value_kind:     global_buffer
      - .offset:         48
        .size:           4
        .value_kind:     by_value
      - .actual_access:  read_only
        .address_space:  global
        .offset:         56
        .size:           8
        .value_kind:     global_buffer
      - .offset:         64
        .size:           4
        .value_kind:     hidden_block_count_x
      - .offset:         68
        .size:           4
        .value_kind:     hidden_block_count_y
      - .offset:         72
        .size:           4
        .value_kind:     hidden_block_count_z
      - .offset:         76
        .size:           2
        .value_kind:     hidden_group_size_x
      - .offset:         78
        .size:           2
        .value_kind:     hidden_group_size_y
      - .offset:         80
        .size:           2
        .value_kind:     hidden_group_size_z
      - .offset:         82
        .size:           2
        .value_kind:     hidden_remainder_x
      - .offset:         84
        .size:           2
        .value_kind:     hidden_remainder_y
      - .offset:         86
        .size:           2
        .value_kind:     hidden_remainder_z
      - .offset:         104
        .size:           8
        .value_kind:     hidden_global_offset_x
      - .offset:         112
        .size:           8
        .value_kind:     hidden_global_offset_y
      - .offset:         120
        .size:           8
        .value_kind:     hidden_global_offset_z
      - .offset:         128
        .size:           2
        .value_kind:     hidden_grid_dims
    .group_segment_fixed_size: 132
    .kernarg_segment_align: 8
    .kernarg_segment_size: 320
    .language:       OpenCL C
    .language_version:
      - 2
      - 0
    .max_flat_workgroup_size: 128
    .name:           _Z35paged_attention_ll4mi_reduce_kernelIDF16_DF16_Li128ELi128ELi256ELi1EEvPT0_PKfS3_PKT_PKiS8_iS3_
    .private_segment_fixed_size: 0
    .sgpr_count:     40
    .sgpr_spill_count: 0
    .symbol:         _Z35paged_attention_ll4mi_reduce_kernelIDF16_DF16_Li128ELi128ELi256ELi1EEvPT0_PKfS3_PKT_PKiS8_iS3_.kd
    .uniform_work_group_size: 1
    .uses_dynamic_stack: false
    .vgpr_count:     47
    .vgpr_spill_count: 0
    .wavefront_size: 32
    .workgroup_processor_mode: 1
  - .args:
      - .actual_access:  write_only
        .address_space:  global
        .offset:         0
        .size:           8
        .value_kind:     global_buffer
      - .actual_access:  read_only
        .address_space:  global
        .offset:         8
        .size:           8
        .value_kind:     global_buffer
      - .actual_access:  read_only
        .address_space:  global
        .offset:         16
        .size:           8
        .value_kind:     global_buffer
      - .actual_access:  read_only
        .address_space:  global
        .offset:         24
        .size:           8
        .value_kind:     global_buffer
      - .actual_access:  read_only
        .address_space:  global
        .offset:         32
        .size:           8
        .value_kind:     global_buffer
      - .actual_access:  read_only
        .address_space:  global
        .offset:         40
        .size:           8
        .value_kind:     global_buffer
      - .offset:         48
        .size:           4
        .value_kind:     by_value
      - .actual_access:  read_only
        .address_space:  global
        .offset:         56
        .size:           8
        .value_kind:     global_buffer
      - .offset:         64
        .size:           4
        .value_kind:     hidden_block_count_x
      - .offset:         68
        .size:           4
        .value_kind:     hidden_block_count_y
      - .offset:         72
        .size:           4
        .value_kind:     hidden_block_count_z
      - .offset:         76
        .size:           2
        .value_kind:     hidden_group_size_x
      - .offset:         78
        .size:           2
        .value_kind:     hidden_group_size_y
      - .offset:         80
        .size:           2
        .value_kind:     hidden_group_size_z
      - .offset:         82
        .size:           2
        .value_kind:     hidden_remainder_x
      - .offset:         84
        .size:           2
        .value_kind:     hidden_remainder_y
      - .offset:         86
        .size:           2
        .value_kind:     hidden_remainder_z
      - .offset:         104
        .size:           8
        .value_kind:     hidden_global_offset_x
      - .offset:         112
        .size:           8
        .value_kind:     hidden_global_offset_y
      - .offset:         120
        .size:           8
        .value_kind:     hidden_global_offset_z
      - .offset:         128
        .size:           2
        .value_kind:     hidden_grid_dims
    .group_segment_fixed_size: 260
    .kernarg_segment_align: 8
    .kernarg_segment_size: 320
    .language:       OpenCL C
    .language_version:
      - 2
      - 0
    .max_flat_workgroup_size: 128
    .name:           _Z35paged_attention_ll4mi_reduce_kernelIDF16_DF16_Li128ELi128ELi256ELi2EEvPT0_PKfS3_PKT_PKiS8_iS3_
    .private_segment_fixed_size: 0
    .sgpr_count:     54
    .sgpr_spill_count: 0
    .symbol:         _Z35paged_attention_ll4mi_reduce_kernelIDF16_DF16_Li128ELi128ELi256ELi2EEvPT0_PKfS3_PKT_PKiS8_iS3_.kd
    .uniform_work_group_size: 1
    .uses_dynamic_stack: false
    .vgpr_count:     48
    .vgpr_spill_count: 0
    .wavefront_size: 32
    .workgroup_processor_mode: 1
  - .args:
      - .actual_access:  write_only
        .address_space:  global
        .offset:         0
        .size:           8
        .value_kind:     global_buffer
      - .actual_access:  read_only
        .address_space:  global
        .offset:         8
        .size:           8
        .value_kind:     global_buffer
      - .actual_access:  read_only
        .address_space:  global
        .offset:         16
        .size:           8
        .value_kind:     global_buffer
      - .actual_access:  read_only
        .address_space:  global
        .offset:         24
        .size:           8
        .value_kind:     global_buffer
      - .actual_access:  read_only
        .address_space:  global
        .offset:         32
        .size:           8
        .value_kind:     global_buffer
      - .actual_access:  read_only
        .address_space:  global
        .offset:         40
        .size:           8
        .value_kind:     global_buffer
      - .offset:         48
        .size:           4
        .value_kind:     by_value
      - .actual_access:  read_only
        .address_space:  global
        .offset:         56
        .size:           8
        .value_kind:     global_buffer
      - .offset:         64
        .size:           4
        .value_kind:     hidden_block_count_x
      - .offset:         68
        .size:           4
        .value_kind:     hidden_block_count_y
      - .offset:         72
        .size:           4
        .value_kind:     hidden_block_count_z
      - .offset:         76
        .size:           2
        .value_kind:     hidden_group_size_x
      - .offset:         78
        .size:           2
        .value_kind:     hidden_group_size_y
      - .offset:         80
        .size:           2
        .value_kind:     hidden_group_size_z
      - .offset:         82
        .size:           2
        .value_kind:     hidden_remainder_x
      - .offset:         84
        .size:           2
        .value_kind:     hidden_remainder_y
      - .offset:         86
        .size:           2
        .value_kind:     hidden_remainder_z
      - .offset:         104
        .size:           8
        .value_kind:     hidden_global_offset_x
      - .offset:         112
        .size:           8
        .value_kind:     hidden_global_offset_y
      - .offset:         120
        .size:           8
        .value_kind:     hidden_global_offset_z
      - .offset:         128
        .size:           2
        .value_kind:     hidden_grid_dims
    .group_segment_fixed_size: 388
    .kernarg_segment_align: 8
    .kernarg_segment_size: 320
    .language:       OpenCL C
    .language_version:
      - 2
      - 0
    .max_flat_workgroup_size: 128
    .name:           _Z35paged_attention_ll4mi_reduce_kernelIDF16_DF16_Li128ELi128ELi256ELi3EEvPT0_PKfS3_PKT_PKiS8_iS3_
    .private_segment_fixed_size: 0
    .sgpr_count:     54
    .sgpr_spill_count: 0
    .symbol:         _Z35paged_attention_ll4mi_reduce_kernelIDF16_DF16_Li128ELi128ELi256ELi3EEvPT0_PKfS3_PKT_PKiS8_iS3_.kd
    .uniform_work_group_size: 1
    .uses_dynamic_stack: false
    .vgpr_count:     48
    .vgpr_spill_count: 0
    .wavefront_size: 32
    .workgroup_processor_mode: 1
  - .args:
      - .actual_access:  write_only
        .address_space:  global
        .offset:         0
        .size:           8
        .value_kind:     global_buffer
      - .actual_access:  read_only
        .address_space:  global
        .offset:         8
        .size:           8
        .value_kind:     global_buffer
      - .actual_access:  read_only
        .address_space:  global
        .offset:         16
        .size:           8
        .value_kind:     global_buffer
      - .actual_access:  read_only
        .address_space:  global
        .offset:         24
        .size:           8
        .value_kind:     global_buffer
      - .actual_access:  read_only
        .address_space:  global
        .offset:         32
        .size:           8
        .value_kind:     global_buffer
      - .actual_access:  read_only
        .address_space:  global
        .offset:         40
        .size:           8
        .value_kind:     global_buffer
      - .offset:         48
        .size:           4
        .value_kind:     by_value
      - .actual_access:  read_only
        .address_space:  global
        .offset:         56
        .size:           8
        .value_kind:     global_buffer
      - .offset:         64
        .size:           4
        .value_kind:     hidden_block_count_x
      - .offset:         68
        .size:           4
        .value_kind:     hidden_block_count_y
      - .offset:         72
        .size:           4
        .value_kind:     hidden_block_count_z
      - .offset:         76
        .size:           2
        .value_kind:     hidden_group_size_x
      - .offset:         78
        .size:           2
        .value_kind:     hidden_group_size_y
      - .offset:         80
        .size:           2
        .value_kind:     hidden_group_size_z
      - .offset:         82
        .size:           2
        .value_kind:     hidden_remainder_x
      - .offset:         84
        .size:           2
        .value_kind:     hidden_remainder_y
      - .offset:         86
        .size:           2
        .value_kind:     hidden_remainder_z
      - .offset:         104
        .size:           8
        .value_kind:     hidden_global_offset_x
      - .offset:         112
        .size:           8
        .value_kind:     hidden_global_offset_y
      - .offset:         120
        .size:           8
        .value_kind:     hidden_global_offset_z
      - .offset:         128
        .size:           2
        .value_kind:     hidden_grid_dims
    .group_segment_fixed_size: 516
    .kernarg_segment_align: 8
    .kernarg_segment_size: 320
    .language:       OpenCL C
    .language_version:
      - 2
      - 0
    .max_flat_workgroup_size: 128
    .name:           _Z35paged_attention_ll4mi_reduce_kernelIDF16_DF16_Li128ELi128ELi256ELi4EEvPT0_PKfS3_PKT_PKiS8_iS3_
    .private_segment_fixed_size: 0
    .sgpr_count:     54
    .sgpr_spill_count: 0
    .symbol:         _Z35paged_attention_ll4mi_reduce_kernelIDF16_DF16_Li128ELi128ELi256ELi4EEvPT0_PKfS3_PKT_PKiS8_iS3_.kd
    .uniform_work_group_size: 1
    .uses_dynamic_stack: false
    .vgpr_count:     48
    .vgpr_spill_count: 0
    .wavefront_size: 32
    .workgroup_processor_mode: 1
  - .args:
      - .actual_access:  write_only
        .address_space:  global
        .offset:         0
        .size:           8
        .value_kind:     global_buffer
      - .actual_access:  read_only
        .address_space:  global
        .offset:         8
        .size:           8
        .value_kind:     global_buffer
      - .actual_access:  read_only
        .address_space:  global
        .offset:         16
        .size:           8
        .value_kind:     global_buffer
      - .actual_access:  read_only
        .address_space:  global
        .offset:         24
        .size:           8
        .value_kind:     global_buffer
      - .actual_access:  read_only
        .address_space:  global
        .offset:         32
        .size:           8
        .value_kind:     global_buffer
      - .actual_access:  read_only
        .address_space:  global
        .offset:         40
        .size:           8
        .value_kind:     global_buffer
      - .offset:         48
        .size:           4
        .value_kind:     by_value
      - .actual_access:  read_only
        .address_space:  global
        .offset:         56
        .size:           8
        .value_kind:     global_buffer
      - .offset:         64
        .size:           4
        .value_kind:     hidden_block_count_x
      - .offset:         68
        .size:           4
        .value_kind:     hidden_block_count_y
      - .offset:         72
        .size:           4
        .value_kind:     hidden_block_count_z
      - .offset:         76
        .size:           2
        .value_kind:     hidden_group_size_x
      - .offset:         78
        .size:           2
        .value_kind:     hidden_group_size_y
      - .offset:         80
        .size:           2
        .value_kind:     hidden_group_size_z
      - .offset:         82
        .size:           2
        .value_kind:     hidden_remainder_x
      - .offset:         84
        .size:           2
        .value_kind:     hidden_remainder_y
      - .offset:         86
        .size:           2
        .value_kind:     hidden_remainder_z
      - .offset:         104
        .size:           8
        .value_kind:     hidden_global_offset_x
      - .offset:         112
        .size:           8
        .value_kind:     hidden_global_offset_y
      - .offset:         120
        .size:           8
        .value_kind:     hidden_global_offset_z
      - .offset:         128
        .size:           2
        .value_kind:     hidden_grid_dims
    .group_segment_fixed_size: 644
    .kernarg_segment_align: 8
    .kernarg_segment_size: 320
    .language:       OpenCL C
    .language_version:
      - 2
      - 0
    .max_flat_workgroup_size: 128
    .name:           _Z35paged_attention_ll4mi_reduce_kernelIDF16_DF16_Li128ELi128ELi256ELi5EEvPT0_PKfS3_PKT_PKiS8_iS3_
    .private_segment_fixed_size: 0
    .sgpr_count:     54
    .sgpr_spill_count: 0
    .symbol:         _Z35paged_attention_ll4mi_reduce_kernelIDF16_DF16_Li128ELi128ELi256ELi5EEvPT0_PKfS3_PKT_PKiS8_iS3_.kd
    .uniform_work_group_size: 1
    .uses_dynamic_stack: false
    .vgpr_count:     48
    .vgpr_spill_count: 0
    .wavefront_size: 32
    .workgroup_processor_mode: 1
  - .args:
      - .actual_access:  write_only
        .address_space:  global
        .offset:         0
        .size:           8
        .value_kind:     global_buffer
      - .actual_access:  read_only
        .address_space:  global
        .offset:         8
        .size:           8
        .value_kind:     global_buffer
      - .actual_access:  read_only
        .address_space:  global
        .offset:         16
        .size:           8
        .value_kind:     global_buffer
      - .actual_access:  read_only
        .address_space:  global
        .offset:         24
        .size:           8
        .value_kind:     global_buffer
      - .actual_access:  read_only
        .address_space:  global
        .offset:         32
        .size:           8
        .value_kind:     global_buffer
      - .actual_access:  read_only
        .address_space:  global
        .offset:         40
        .size:           8
        .value_kind:     global_buffer
      - .offset:         48
        .size:           4
        .value_kind:     by_value
      - .actual_access:  read_only
        .address_space:  global
        .offset:         56
        .size:           8
        .value_kind:     global_buffer
      - .offset:         64
        .size:           4
        .value_kind:     hidden_block_count_x
      - .offset:         68
        .size:           4
        .value_kind:     hidden_block_count_y
      - .offset:         72
        .size:           4
        .value_kind:     hidden_block_count_z
      - .offset:         76
        .size:           2
        .value_kind:     hidden_group_size_x
      - .offset:         78
        .size:           2
        .value_kind:     hidden_group_size_y
      - .offset:         80
        .size:           2
        .value_kind:     hidden_group_size_z
      - .offset:         82
        .size:           2
        .value_kind:     hidden_remainder_x
      - .offset:         84
        .size:           2
        .value_kind:     hidden_remainder_y
      - .offset:         86
        .size:           2
        .value_kind:     hidden_remainder_z
      - .offset:         104
        .size:           8
        .value_kind:     hidden_global_offset_x
      - .offset:         112
        .size:           8
        .value_kind:     hidden_global_offset_y
      - .offset:         120
        .size:           8
        .value_kind:     hidden_global_offset_z
      - .offset:         128
        .size:           2
        .value_kind:     hidden_grid_dims
    .group_segment_fixed_size: 772
    .kernarg_segment_align: 8
    .kernarg_segment_size: 320
    .language:       OpenCL C
    .language_version:
      - 2
      - 0
    .max_flat_workgroup_size: 128
    .name:           _Z35paged_attention_ll4mi_reduce_kernelIDF16_DF16_Li128ELi128ELi256ELi6EEvPT0_PKfS3_PKT_PKiS8_iS3_
    .private_segment_fixed_size: 0
    .sgpr_count:     54
    .sgpr_spill_count: 0
    .symbol:         _Z35paged_attention_ll4mi_reduce_kernelIDF16_DF16_Li128ELi128ELi256ELi6EEvPT0_PKfS3_PKT_PKiS8_iS3_.kd
    .uniform_work_group_size: 1
    .uses_dynamic_stack: false
    .vgpr_count:     48
    .vgpr_spill_count: 0
    .wavefront_size: 32
    .workgroup_processor_mode: 1
  - .args:
      - .actual_access:  write_only
        .address_space:  global
        .offset:         0
        .size:           8
        .value_kind:     global_buffer
      - .actual_access:  read_only
        .address_space:  global
        .offset:         8
        .size:           8
        .value_kind:     global_buffer
      - .actual_access:  read_only
        .address_space:  global
        .offset:         16
        .size:           8
        .value_kind:     global_buffer
      - .actual_access:  read_only
        .address_space:  global
        .offset:         24
        .size:           8
        .value_kind:     global_buffer
      - .actual_access:  read_only
        .address_space:  global
        .offset:         32
        .size:           8
        .value_kind:     global_buffer
      - .actual_access:  read_only
        .address_space:  global
        .offset:         40
        .size:           8
        .value_kind:     global_buffer
      - .offset:         48
        .size:           4
        .value_kind:     by_value
      - .actual_access:  read_only
        .address_space:  global
        .offset:         56
        .size:           8
        .value_kind:     global_buffer
      - .offset:         64
        .size:           4
        .value_kind:     hidden_block_count_x
      - .offset:         68
        .size:           4
        .value_kind:     hidden_block_count_y
      - .offset:         72
        .size:           4
        .value_kind:     hidden_block_count_z
      - .offset:         76
        .size:           2
        .value_kind:     hidden_group_size_x
      - .offset:         78
        .size:           2
        .value_kind:     hidden_group_size_y
      - .offset:         80
        .size:           2
        .value_kind:     hidden_group_size_z
      - .offset:         82
        .size:           2
        .value_kind:     hidden_remainder_x
      - .offset:         84
        .size:           2
        .value_kind:     hidden_remainder_y
      - .offset:         86
        .size:           2
        .value_kind:     hidden_remainder_z
      - .offset:         104
        .size:           8
        .value_kind:     hidden_global_offset_x
      - .offset:         112
        .size:           8
        .value_kind:     hidden_global_offset_y
      - .offset:         120
        .size:           8
        .value_kind:     hidden_global_offset_z
      - .offset:         128
        .size:           2
        .value_kind:     hidden_grid_dims
    .group_segment_fixed_size: 900
    .kernarg_segment_align: 8
    .kernarg_segment_size: 320
    .language:       OpenCL C
    .language_version:
      - 2
      - 0
    .max_flat_workgroup_size: 128
    .name:           _Z35paged_attention_ll4mi_reduce_kernelIDF16_DF16_Li128ELi128ELi256ELi7EEvPT0_PKfS3_PKT_PKiS8_iS3_
    .private_segment_fixed_size: 0
    .sgpr_count:     49
    .sgpr_spill_count: 0
    .symbol:         _Z35paged_attention_ll4mi_reduce_kernelIDF16_DF16_Li128ELi128ELi256ELi7EEvPT0_PKfS3_PKT_PKiS8_iS3_.kd
    .uniform_work_group_size: 1
    .uses_dynamic_stack: false
    .vgpr_count:     48
    .vgpr_spill_count: 0
    .wavefront_size: 32
    .workgroup_processor_mode: 1
  - .args:
      - .actual_access:  write_only
        .address_space:  global
        .offset:         0
        .size:           8
        .value_kind:     global_buffer
      - .actual_access:  read_only
        .address_space:  global
        .offset:         8
        .size:           8
        .value_kind:     global_buffer
      - .actual_access:  read_only
        .address_space:  global
        .offset:         16
        .size:           8
        .value_kind:     global_buffer
      - .actual_access:  read_only
        .address_space:  global
        .offset:         24
        .size:           8
        .value_kind:     global_buffer
      - .actual_access:  read_only
        .address_space:  global
        .offset:         32
        .size:           8
        .value_kind:     global_buffer
      - .actual_access:  read_only
        .address_space:  global
        .offset:         40
        .size:           8
        .value_kind:     global_buffer
      - .offset:         48
        .size:           4
        .value_kind:     by_value
      - .actual_access:  read_only
        .address_space:  global
        .offset:         56
        .size:           8
        .value_kind:     global_buffer
      - .offset:         64
        .size:           4
        .value_kind:     hidden_block_count_x
      - .offset:         68
        .size:           4
        .value_kind:     hidden_block_count_y
      - .offset:         72
        .size:           4
        .value_kind:     hidden_block_count_z
      - .offset:         76
        .size:           2
        .value_kind:     hidden_group_size_x
      - .offset:         78
        .size:           2
        .value_kind:     hidden_group_size_y
      - .offset:         80
        .size:           2
        .value_kind:     hidden_group_size_z
      - .offset:         82
        .size:           2
        .value_kind:     hidden_remainder_x
      - .offset:         84
        .size:           2
        .value_kind:     hidden_remainder_y
      - .offset:         86
        .size:           2
        .value_kind:     hidden_remainder_z
      - .offset:         104
        .size:           8
        .value_kind:     hidden_global_offset_x
      - .offset:         112
        .size:           8
        .value_kind:     hidden_global_offset_y
      - .offset:         120
        .size:           8
        .value_kind:     hidden_global_offset_z
      - .offset:         128
        .size:           2
        .value_kind:     hidden_grid_dims
    .group_segment_fixed_size: 1028
    .kernarg_segment_align: 8
    .kernarg_segment_size: 320
    .language:       OpenCL C
    .language_version:
      - 2
      - 0
    .max_flat_workgroup_size: 128
    .name:           _Z35paged_attention_ll4mi_reduce_kernelIDF16_DF16_Li128ELi128ELi256ELi8EEvPT0_PKfS3_PKT_PKiS8_iS3_
    .private_segment_fixed_size: 0
    .sgpr_count:     49
    .sgpr_spill_count: 0
    .symbol:         _Z35paged_attention_ll4mi_reduce_kernelIDF16_DF16_Li128ELi128ELi256ELi8EEvPT0_PKfS3_PKT_PKiS8_iS3_.kd
    .uniform_work_group_size: 1
    .uses_dynamic_stack: false
    .vgpr_count:     48
    .vgpr_spill_count: 0
    .wavefront_size: 32
    .workgroup_processor_mode: 1
  - .args:
      - .actual_access:  read_only
        .address_space:  global
        .offset:         0
        .size:           8
        .value_kind:     global_buffer
      - .actual_access:  read_only
        .address_space:  global
        .offset:         8
        .size:           8
        .value_kind:     global_buffer
      - .actual_access:  read_only
        .address_space:  global
        .offset:         16
        .size:           8
        .value_kind:     global_buffer
      - .offset:         24
        .size:           4
        .value_kind:     by_value
      - .offset:         28
        .size:           4
        .value_kind:     by_value
      - .actual_access:  read_only
        .address_space:  global
        .offset:         32
        .size:           8
        .value_kind:     global_buffer
      - .actual_access:  read_only
        .address_space:  global
        .offset:         40
        .size:           8
        .value_kind:     global_buffer
      - .actual_access:  read_only
        .address_space:  global
        .offset:         48
        .size:           8
        .value_kind:     global_buffer
      - .offset:         56
        .size:           4
        .value_kind:     by_value
      - .actual_access:  read_only
        .address_space:  global
        .offset:         64
        .size:           8
        .value_kind:     global_buffer
      - .offset:         72
        .size:           4
        .value_kind:     by_value
      - .offset:         76
        .size:           4
        .value_kind:     by_value
      - .offset:         80
        .size:           4
        .value_kind:     by_value
      - .actual_access:  write_only
        .address_space:  global
        .offset:         88
        .size:           8
        .value_kind:     global_buffer
      - .actual_access:  write_only
        .address_space:  global
        .offset:         96
        .size:           8
        .value_kind:     global_buffer
      - .actual_access:  write_only
        .address_space:  global
        .offset:         104
        .size:           8
        .value_kind:     global_buffer
      - .actual_access:  read_only
        .address_space:  global
        .offset:         112
        .size:           8
        .value_kind:     global_buffer
      - .offset:         120
        .size:           4
        .value_kind:     by_value
      - .address_space:  global
        .offset:         128
        .size:           8
        .value_kind:     global_buffer
      - .address_space:  global
        .offset:         136
        .size:           8
        .value_kind:     global_buffer
      - .offset:         144
        .size:           4
        .value_kind:     hidden_block_count_x
      - .offset:         148
        .size:           4
        .value_kind:     hidden_block_count_y
      - .offset:         152
        .size:           4
        .value_kind:     hidden_block_count_z
      - .offset:         156
        .size:           2
        .value_kind:     hidden_group_size_x
      - .offset:         158
        .size:           2
        .value_kind:     hidden_group_size_y
      - .offset:         160
        .size:           2
        .value_kind:     hidden_group_size_z
      - .offset:         162
        .size:           2
        .value_kind:     hidden_remainder_x
      - .offset:         164
        .size:           2
        .value_kind:     hidden_remainder_y
      - .offset:         166
        .size:           2
        .value_kind:     hidden_remainder_z
      - .offset:         184
        .size:           8
        .value_kind:     hidden_global_offset_x
      - .offset:         192
        .size:           8
        .value_kind:     hidden_global_offset_y
      - .offset:         200
        .size:           8
        .value_kind:     hidden_global_offset_z
      - .offset:         208
        .size:           2
        .value_kind:     hidden_grid_dims
    .group_segment_fixed_size: 17472
    .kernarg_segment_align: 8
    .kernarg_segment_size: 400
    .language:       OpenCL C
    .language_version:
      - 2
      - 0
    .max_flat_workgroup_size: 256
    .name:           _Z39paged_attention_ll4mi_QKV_mfma16_kernelIDF16_DF16_LN4vllm18Fp8KVCacheDataTypeE0EDF16_Li16ELi128ELi256ELb1ELi1EL8MFMAType0EEvPKT_PKT0_S8_ifPKiSA_SA_iPKfiiiPfSD_PS3_PT2_iSC_SC_
    .private_segment_fixed_size: 0
    .sgpr_count:     100
    .sgpr_spill_count: 0
    .symbol:         _Z39paged_attention_ll4mi_QKV_mfma16_kernelIDF16_DF16_LN4vllm18Fp8KVCacheDataTypeE0EDF16_Li16ELi128ELi256ELb1ELi1EL8MFMAType0EEvPKT_PKT0_S8_ifPKiSA_SA_iPKfiiiPfSD_PS3_PT2_iSC_SC_.kd
    .uniform_work_group_size: 1
    .uses_dynamic_stack: false
    .vgpr_count:     227
    .vgpr_spill_count: 0
    .wavefront_size: 32
    .workgroup_processor_mode: 1
  - .args:
      - .actual_access:  read_only
        .address_space:  global
        .offset:         0
        .size:           8
        .value_kind:     global_buffer
      - .actual_access:  read_only
        .address_space:  global
        .offset:         8
        .size:           8
        .value_kind:     global_buffer
      - .actual_access:  read_only
        .address_space:  global
        .offset:         16
        .size:           8
        .value_kind:     global_buffer
      - .offset:         24
        .size:           4
        .value_kind:     by_value
      - .offset:         28
        .size:           4
        .value_kind:     by_value
      - .actual_access:  read_only
        .address_space:  global
        .offset:         32
        .size:           8
        .value_kind:     global_buffer
      - .actual_access:  read_only
        .address_space:  global
        .offset:         40
        .size:           8
        .value_kind:     global_buffer
      - .actual_access:  read_only
        .address_space:  global
        .offset:         48
        .size:           8
        .value_kind:     global_buffer
      - .offset:         56
        .size:           4
        .value_kind:     by_value
      - .actual_access:  read_only
        .address_space:  global
        .offset:         64
        .size:           8
        .value_kind:     global_buffer
      - .offset:         72
        .size:           4
        .value_kind:     by_value
      - .offset:         76
        .size:           4
        .value_kind:     by_value
      - .offset:         80
        .size:           4
        .value_kind:     by_value
      - .actual_access:  write_only
        .address_space:  global
        .offset:         88
        .size:           8
        .value_kind:     global_buffer
      - .actual_access:  write_only
        .address_space:  global
        .offset:         96
        .size:           8
        .value_kind:     global_buffer
      - .actual_access:  write_only
        .address_space:  global
        .offset:         104
        .size:           8
        .value_kind:     global_buffer
      - .actual_access:  read_only
        .address_space:  global
        .offset:         112
        .size:           8
        .value_kind:     global_buffer
      - .offset:         120
        .size:           4
        .value_kind:     by_value
      - .address_space:  global
        .offset:         128
        .size:           8
        .value_kind:     global_buffer
      - .address_space:  global
        .offset:         136
        .size:           8
        .value_kind:     global_buffer
      - .offset:         144
        .size:           4
        .value_kind:     hidden_block_count_x
      - .offset:         148
        .size:           4
        .value_kind:     hidden_block_count_y
      - .offset:         152
        .size:           4
        .value_kind:     hidden_block_count_z
      - .offset:         156
        .size:           2
        .value_kind:     hidden_group_size_x
      - .offset:         158
        .size:           2
        .value_kind:     hidden_group_size_y
      - .offset:         160
        .size:           2
        .value_kind:     hidden_group_size_z
      - .offset:         162
        .size:           2
        .value_kind:     hidden_remainder_x
      - .offset:         164
        .size:           2
        .value_kind:     hidden_remainder_y
      - .offset:         166
        .size:           2
        .value_kind:     hidden_remainder_z
      - .offset:         184
        .size:           8
        .value_kind:     hidden_global_offset_x
      - .offset:         192
        .size:           8
        .value_kind:     hidden_global_offset_y
      - .offset:         200
        .size:           8
        .value_kind:     hidden_global_offset_z
      - .offset:         208
        .size:           2
        .value_kind:     hidden_grid_dims
    .group_segment_fixed_size: 17472
    .kernarg_segment_align: 8
    .kernarg_segment_size: 400
    .language:       OpenCL C
    .language_version:
      - 2
      - 0
    .max_flat_workgroup_size: 256
    .name:           _Z39paged_attention_ll4mi_QKV_mfma16_kernelIDF16_DF16_LN4vllm18Fp8KVCacheDataTypeE0EDF16_Li16ELi128ELi256ELb1ELi2EL8MFMAType0EEvPKT_PKT0_S8_ifPKiSA_SA_iPKfiiiPfSD_PS3_PT2_iSC_SC_
    .private_segment_fixed_size: 0
    .sgpr_count:     54
    .sgpr_spill_count: 0
    .symbol:         _Z39paged_attention_ll4mi_QKV_mfma16_kernelIDF16_DF16_LN4vllm18Fp8KVCacheDataTypeE0EDF16_Li16ELi128ELi256ELb1ELi2EL8MFMAType0EEvPKT_PKT0_S8_ifPKiSA_SA_iPKfiiiPfSD_PS3_PT2_iSC_SC_.kd
    .uniform_work_group_size: 1
    .uses_dynamic_stack: false
    .vgpr_count:     230
    .vgpr_spill_count: 0
    .wavefront_size: 32
    .workgroup_processor_mode: 1
  - .args:
      - .actual_access:  read_only
        .address_space:  global
        .offset:         0
        .size:           8
        .value_kind:     global_buffer
      - .actual_access:  read_only
        .address_space:  global
        .offset:         8
        .size:           8
        .value_kind:     global_buffer
      - .actual_access:  read_only
        .address_space:  global
        .offset:         16
        .size:           8
        .value_kind:     global_buffer
      - .offset:         24
        .size:           4
        .value_kind:     by_value
      - .offset:         28
        .size:           4
        .value_kind:     by_value
      - .actual_access:  read_only
        .address_space:  global
        .offset:         32
        .size:           8
        .value_kind:     global_buffer
      - .actual_access:  read_only
        .address_space:  global
        .offset:         40
        .size:           8
        .value_kind:     global_buffer
      - .actual_access:  read_only
        .address_space:  global
        .offset:         48
        .size:           8
        .value_kind:     global_buffer
      - .offset:         56
        .size:           4
        .value_kind:     by_value
      - .actual_access:  read_only
        .address_space:  global
        .offset:         64
        .size:           8
        .value_kind:     global_buffer
      - .offset:         72
        .size:           4
        .value_kind:     by_value
      - .offset:         76
        .size:           4
        .value_kind:     by_value
      - .offset:         80
        .size:           4
        .value_kind:     by_value
      - .actual_access:  write_only
        .address_space:  global
        .offset:         88
        .size:           8
        .value_kind:     global_buffer
      - .actual_access:  write_only
        .address_space:  global
        .offset:         96
        .size:           8
        .value_kind:     global_buffer
      - .actual_access:  write_only
        .address_space:  global
        .offset:         104
        .size:           8
        .value_kind:     global_buffer
      - .actual_access:  read_only
        .address_space:  global
        .offset:         112
        .size:           8
        .value_kind:     global_buffer
      - .offset:         120
        .size:           4
        .value_kind:     by_value
      - .address_space:  global
        .offset:         128
        .size:           8
        .value_kind:     global_buffer
      - .address_space:  global
        .offset:         136
        .size:           8
        .value_kind:     global_buffer
      - .offset:         144
        .size:           4
        .value_kind:     hidden_block_count_x
      - .offset:         148
        .size:           4
        .value_kind:     hidden_block_count_y
      - .offset:         152
        .size:           4
        .value_kind:     hidden_block_count_z
      - .offset:         156
        .size:           2
        .value_kind:     hidden_group_size_x
      - .offset:         158
        .size:           2
        .value_kind:     hidden_group_size_y
      - .offset:         160
        .size:           2
        .value_kind:     hidden_group_size_z
      - .offset:         162
        .size:           2
        .value_kind:     hidden_remainder_x
      - .offset:         164
        .size:           2
        .value_kind:     hidden_remainder_y
      - .offset:         166
        .size:           2
        .value_kind:     hidden_remainder_z
      - .offset:         184
        .size:           8
        .value_kind:     hidden_global_offset_x
      - .offset:         192
        .size:           8
        .value_kind:     hidden_global_offset_y
      - .offset:         200
        .size:           8
        .value_kind:     hidden_global_offset_z
      - .offset:         208
        .size:           2
        .value_kind:     hidden_grid_dims
    .group_segment_fixed_size: 17472
    .kernarg_segment_align: 8
    .kernarg_segment_size: 400
    .language:       OpenCL C
    .language_version:
      - 2
      - 0
    .max_flat_workgroup_size: 256
    .name:           _Z39paged_attention_ll4mi_QKV_mfma16_kernelIDF16_DF16_LN4vllm18Fp8KVCacheDataTypeE0EDF16_Li16ELi128ELi256ELb1ELi3EL8MFMAType0EEvPKT_PKT0_S8_ifPKiSA_SA_iPKfiiiPfSD_PS3_PT2_iSC_SC_
    .private_segment_fixed_size: 0
    .sgpr_count:     54
    .sgpr_spill_count: 0
    .symbol:         _Z39paged_attention_ll4mi_QKV_mfma16_kernelIDF16_DF16_LN4vllm18Fp8KVCacheDataTypeE0EDF16_Li16ELi128ELi256ELb1ELi3EL8MFMAType0EEvPKT_PKT0_S8_ifPKiSA_SA_iPKfiiiPfSD_PS3_PT2_iSC_SC_.kd
    .uniform_work_group_size: 1
    .uses_dynamic_stack: false
    .vgpr_count:     218
    .vgpr_spill_count: 0
    .wavefront_size: 32
    .workgroup_processor_mode: 1
  - .args:
      - .actual_access:  read_only
        .address_space:  global
        .offset:         0
        .size:           8
        .value_kind:     global_buffer
      - .actual_access:  read_only
        .address_space:  global
        .offset:         8
        .size:           8
        .value_kind:     global_buffer
      - .actual_access:  read_only
        .address_space:  global
        .offset:         16
        .size:           8
        .value_kind:     global_buffer
      - .offset:         24
        .size:           4
        .value_kind:     by_value
      - .offset:         28
        .size:           4
        .value_kind:     by_value
      - .actual_access:  read_only
        .address_space:  global
        .offset:         32
        .size:           8
        .value_kind:     global_buffer
      - .actual_access:  read_only
        .address_space:  global
        .offset:         40
        .size:           8
        .value_kind:     global_buffer
      - .actual_access:  read_only
        .address_space:  global
        .offset:         48
        .size:           8
        .value_kind:     global_buffer
      - .offset:         56
        .size:           4
        .value_kind:     by_value
      - .actual_access:  read_only
        .address_space:  global
        .offset:         64
        .size:           8
        .value_kind:     global_buffer
      - .offset:         72
        .size:           4
        .value_kind:     by_value
      - .offset:         76
        .size:           4
        .value_kind:     by_value
      - .offset:         80
        .size:           4
        .value_kind:     by_value
      - .actual_access:  write_only
        .address_space:  global
        .offset:         88
        .size:           8
        .value_kind:     global_buffer
      - .actual_access:  write_only
        .address_space:  global
        .offset:         96
        .size:           8
        .value_kind:     global_buffer
      - .actual_access:  write_only
        .address_space:  global
        .offset:         104
        .size:           8
        .value_kind:     global_buffer
      - .actual_access:  read_only
        .address_space:  global
        .offset:         112
        .size:           8
        .value_kind:     global_buffer
      - .offset:         120
        .size:           4
        .value_kind:     by_value
      - .address_space:  global
        .offset:         128
        .size:           8
        .value_kind:     global_buffer
      - .address_space:  global
        .offset:         136
        .size:           8
        .value_kind:     global_buffer
      - .offset:         144
        .size:           4
        .value_kind:     hidden_block_count_x
      - .offset:         148
        .size:           4
        .value_kind:     hidden_block_count_y
      - .offset:         152
        .size:           4
        .value_kind:     hidden_block_count_z
      - .offset:         156
        .size:           2
        .value_kind:     hidden_group_size_x
      - .offset:         158
        .size:           2
        .value_kind:     hidden_group_size_y
      - .offset:         160
        .size:           2
        .value_kind:     hidden_group_size_z
      - .offset:         162
        .size:           2
        .value_kind:     hidden_remainder_x
      - .offset:         164
        .size:           2
        .value_kind:     hidden_remainder_y
      - .offset:         166
        .size:           2
        .value_kind:     hidden_remainder_z
      - .offset:         184
        .size:           8
        .value_kind:     hidden_global_offset_x
      - .offset:         192
        .size:           8
        .value_kind:     hidden_global_offset_y
      - .offset:         200
        .size:           8
        .value_kind:     hidden_global_offset_z
      - .offset:         208
        .size:           2
        .value_kind:     hidden_grid_dims
    .group_segment_fixed_size: 17472
    .kernarg_segment_align: 8
    .kernarg_segment_size: 400
    .language:       OpenCL C
    .language_version:
      - 2
      - 0
    .max_flat_workgroup_size: 256
    .name:           _Z39paged_attention_ll4mi_QKV_mfma16_kernelIDF16_DF16_LN4vllm18Fp8KVCacheDataTypeE0EDF16_Li16ELi128ELi256ELb1ELi4EL8MFMAType0EEvPKT_PKT0_S8_ifPKiSA_SA_iPKfiiiPfSD_PS3_PT2_iSC_SC_
    .private_segment_fixed_size: 0
    .sgpr_count:     54
    .sgpr_spill_count: 0
    .symbol:         _Z39paged_attention_ll4mi_QKV_mfma16_kernelIDF16_DF16_LN4vllm18Fp8KVCacheDataTypeE0EDF16_Li16ELi128ELi256ELb1ELi4EL8MFMAType0EEvPKT_PKT0_S8_ifPKiSA_SA_iPKfiiiPfSD_PS3_PT2_iSC_SC_.kd
    .uniform_work_group_size: 1
    .uses_dynamic_stack: false
    .vgpr_count:     218
    .vgpr_spill_count: 0
    .wavefront_size: 32
    .workgroup_processor_mode: 1
  - .args:
      - .actual_access:  write_only
        .address_space:  global
        .offset:         0
        .size:           8
        .value_kind:     global_buffer
      - .actual_access:  read_only
        .address_space:  global
        .offset:         8
        .size:           8
        .value_kind:     global_buffer
      - .actual_access:  read_only
        .address_space:  global
        .offset:         16
        .size:           8
        .value_kind:     global_buffer
      - .actual_access:  read_only
        .address_space:  global
        .offset:         24
        .size:           8
        .value_kind:     global_buffer
      - .actual_access:  read_only
        .address_space:  global
        .offset:         32
        .size:           8
        .value_kind:     global_buffer
      - .actual_access:  read_only
        .address_space:  global
        .offset:         40
        .size:           8
        .value_kind:     global_buffer
      - .offset:         48
        .size:           4
        .value_kind:     by_value
      - .actual_access:  read_only
        .address_space:  global
        .offset:         56
        .size:           8
        .value_kind:     global_buffer
      - .offset:         64
        .size:           4
        .value_kind:     hidden_block_count_x
      - .offset:         68
        .size:           4
        .value_kind:     hidden_block_count_y
      - .offset:         72
        .size:           4
        .value_kind:     hidden_block_count_z
      - .offset:         76
        .size:           2
        .value_kind:     hidden_group_size_x
      - .offset:         78
        .size:           2
        .value_kind:     hidden_group_size_y
      - .offset:         80
        .size:           2
        .value_kind:     hidden_group_size_z
      - .offset:         82
        .size:           2
        .value_kind:     hidden_remainder_x
      - .offset:         84
        .size:           2
        .value_kind:     hidden_remainder_y
      - .offset:         86
        .size:           2
        .value_kind:     hidden_remainder_z
      - .offset:         104
        .size:           8
        .value_kind:     hidden_global_offset_x
      - .offset:         112
        .size:           8
        .value_kind:     hidden_global_offset_y
      - .offset:         120
        .size:           8
        .value_kind:     hidden_global_offset_z
      - .offset:         128
        .size:           2
        .value_kind:     hidden_grid_dims
    .group_segment_fixed_size: 1156
    .kernarg_segment_align: 8
    .kernarg_segment_size: 320
    .language:       OpenCL C
    .language_version:
      - 2
      - 0
    .max_flat_workgroup_size: 128
    .name:           _Z35paged_attention_ll4mi_reduce_kernelIDF16_DF16_Li128ELi128ELi256ELi9EEvPT0_PKfS3_PKT_PKiS8_iS3_
    .private_segment_fixed_size: 0
    .sgpr_count:     49
    .sgpr_spill_count: 0
    .symbol:         _Z35paged_attention_ll4mi_reduce_kernelIDF16_DF16_Li128ELi128ELi256ELi9EEvPT0_PKfS3_PKT_PKiS8_iS3_.kd
    .uniform_work_group_size: 1
    .uses_dynamic_stack: false
    .vgpr_count:     52
    .vgpr_spill_count: 0
    .wavefront_size: 32
    .workgroup_processor_mode: 1
  - .args:
      - .actual_access:  write_only
        .address_space:  global
        .offset:         0
        .size:           8
        .value_kind:     global_buffer
      - .actual_access:  read_only
        .address_space:  global
        .offset:         8
        .size:           8
        .value_kind:     global_buffer
      - .actual_access:  read_only
        .address_space:  global
        .offset:         16
        .size:           8
        .value_kind:     global_buffer
      - .actual_access:  read_only
        .address_space:  global
        .offset:         24
        .size:           8
        .value_kind:     global_buffer
      - .actual_access:  read_only
        .address_space:  global
        .offset:         32
        .size:           8
        .value_kind:     global_buffer
      - .actual_access:  read_only
        .address_space:  global
        .offset:         40
        .size:           8
        .value_kind:     global_buffer
      - .offset:         48
        .size:           4
        .value_kind:     by_value
      - .actual_access:  read_only
        .address_space:  global
        .offset:         56
        .size:           8
        .value_kind:     global_buffer
      - .offset:         64
        .size:           4
        .value_kind:     hidden_block_count_x
      - .offset:         68
        .size:           4
        .value_kind:     hidden_block_count_y
      - .offset:         72
        .size:           4
        .value_kind:     hidden_block_count_z
      - .offset:         76
        .size:           2
        .value_kind:     hidden_group_size_x
      - .offset:         78
        .size:           2
        .value_kind:     hidden_group_size_y
      - .offset:         80
        .size:           2
        .value_kind:     hidden_group_size_z
      - .offset:         82
        .size:           2
        .value_kind:     hidden_remainder_x
      - .offset:         84
        .size:           2
        .value_kind:     hidden_remainder_y
      - .offset:         86
        .size:           2
        .value_kind:     hidden_remainder_z
      - .offset:         104
        .size:           8
        .value_kind:     hidden_global_offset_x
      - .offset:         112
        .size:           8
        .value_kind:     hidden_global_offset_y
      - .offset:         120
        .size:           8
        .value_kind:     hidden_global_offset_z
      - .offset:         128
        .size:           2
        .value_kind:     hidden_grid_dims
    .group_segment_fixed_size: 1284
    .kernarg_segment_align: 8
    .kernarg_segment_size: 320
    .language:       OpenCL C
    .language_version:
      - 2
      - 0
    .max_flat_workgroup_size: 128
    .name:           _Z35paged_attention_ll4mi_reduce_kernelIDF16_DF16_Li128ELi128ELi256ELi10EEvPT0_PKfS3_PKT_PKiS8_iS3_
    .private_segment_fixed_size: 0
    .sgpr_count:     49
    .sgpr_spill_count: 0
    .symbol:         _Z35paged_attention_ll4mi_reduce_kernelIDF16_DF16_Li128ELi128ELi256ELi10EEvPT0_PKfS3_PKT_PKiS8_iS3_.kd
    .uniform_work_group_size: 1
    .uses_dynamic_stack: false
    .vgpr_count:     57
    .vgpr_spill_count: 0
    .wavefront_size: 32
    .workgroup_processor_mode: 1
  - .args:
      - .actual_access:  write_only
        .address_space:  global
        .offset:         0
        .size:           8
        .value_kind:     global_buffer
      - .actual_access:  read_only
        .address_space:  global
        .offset:         8
        .size:           8
        .value_kind:     global_buffer
      - .actual_access:  read_only
        .address_space:  global
        .offset:         16
        .size:           8
        .value_kind:     global_buffer
      - .actual_access:  read_only
        .address_space:  global
        .offset:         24
        .size:           8
        .value_kind:     global_buffer
      - .actual_access:  read_only
        .address_space:  global
        .offset:         32
        .size:           8
        .value_kind:     global_buffer
      - .actual_access:  read_only
        .address_space:  global
        .offset:         40
        .size:           8
        .value_kind:     global_buffer
      - .offset:         48
        .size:           4
        .value_kind:     by_value
      - .actual_access:  read_only
        .address_space:  global
        .offset:         56
        .size:           8
        .value_kind:     global_buffer
      - .offset:         64
        .size:           4
        .value_kind:     hidden_block_count_x
      - .offset:         68
        .size:           4
        .value_kind:     hidden_block_count_y
      - .offset:         72
        .size:           4
        .value_kind:     hidden_block_count_z
      - .offset:         76
        .size:           2
        .value_kind:     hidden_group_size_x
      - .offset:         78
        .size:           2
        .value_kind:     hidden_group_size_y
      - .offset:         80
        .size:           2
        .value_kind:     hidden_group_size_z
      - .offset:         82
        .size:           2
        .value_kind:     hidden_remainder_x
      - .offset:         84
        .size:           2
        .value_kind:     hidden_remainder_y
      - .offset:         86
        .size:           2
        .value_kind:     hidden_remainder_z
      - .offset:         104
        .size:           8
        .value_kind:     hidden_global_offset_x
      - .offset:         112
        .size:           8
        .value_kind:     hidden_global_offset_y
      - .offset:         120
        .size:           8
        .value_kind:     hidden_global_offset_z
      - .offset:         128
        .size:           2
        .value_kind:     hidden_grid_dims
    .group_segment_fixed_size: 1412
    .kernarg_segment_align: 8
    .kernarg_segment_size: 320
    .language:       OpenCL C
    .language_version:
      - 2
      - 0
    .max_flat_workgroup_size: 128
    .name:           _Z35paged_attention_ll4mi_reduce_kernelIDF16_DF16_Li128ELi128ELi256ELi11EEvPT0_PKfS3_PKT_PKiS8_iS3_
    .private_segment_fixed_size: 0
    .sgpr_count:     49
    .sgpr_spill_count: 0
    .symbol:         _Z35paged_attention_ll4mi_reduce_kernelIDF16_DF16_Li128ELi128ELi256ELi11EEvPT0_PKfS3_PKT_PKiS8_iS3_.kd
    .uniform_work_group_size: 1
    .uses_dynamic_stack: false
    .vgpr_count:     62
    .vgpr_spill_count: 0
    .wavefront_size: 32
    .workgroup_processor_mode: 1
  - .args:
      - .actual_access:  write_only
        .address_space:  global
        .offset:         0
        .size:           8
        .value_kind:     global_buffer
      - .actual_access:  read_only
        .address_space:  global
        .offset:         8
        .size:           8
        .value_kind:     global_buffer
      - .actual_access:  read_only
        .address_space:  global
        .offset:         16
        .size:           8
        .value_kind:     global_buffer
      - .actual_access:  read_only
        .address_space:  global
        .offset:         24
        .size:           8
        .value_kind:     global_buffer
      - .actual_access:  read_only
        .address_space:  global
        .offset:         32
        .size:           8
        .value_kind:     global_buffer
      - .actual_access:  read_only
        .address_space:  global
        .offset:         40
        .size:           8
        .value_kind:     global_buffer
      - .offset:         48
        .size:           4
        .value_kind:     by_value
      - .actual_access:  read_only
        .address_space:  global
        .offset:         56
        .size:           8
        .value_kind:     global_buffer
      - .offset:         64
        .size:           4
        .value_kind:     hidden_block_count_x
      - .offset:         68
        .size:           4
        .value_kind:     hidden_block_count_y
      - .offset:         72
        .size:           4
        .value_kind:     hidden_block_count_z
      - .offset:         76
        .size:           2
        .value_kind:     hidden_group_size_x
      - .offset:         78
        .size:           2
        .value_kind:     hidden_group_size_y
      - .offset:         80
        .size:           2
        .value_kind:     hidden_group_size_z
      - .offset:         82
        .size:           2
        .value_kind:     hidden_remainder_x
      - .offset:         84
        .size:           2
        .value_kind:     hidden_remainder_y
      - .offset:         86
        .size:           2
        .value_kind:     hidden_remainder_z
      - .offset:         104
        .size:           8
        .value_kind:     hidden_global_offset_x
      - .offset:         112
        .size:           8
        .value_kind:     hidden_global_offset_y
      - .offset:         120
        .size:           8
        .value_kind:     hidden_global_offset_z
      - .offset:         128
        .size:           2
        .value_kind:     hidden_grid_dims
    .group_segment_fixed_size: 1540
    .kernarg_segment_align: 8
    .kernarg_segment_size: 320
    .language:       OpenCL C
    .language_version:
      - 2
      - 0
    .max_flat_workgroup_size: 128
    .name:           _Z35paged_attention_ll4mi_reduce_kernelIDF16_DF16_Li128ELi128ELi256ELi12EEvPT0_PKfS3_PKT_PKiS8_iS3_
    .private_segment_fixed_size: 0
    .sgpr_count:     49
    .sgpr_spill_count: 0
    .symbol:         _Z35paged_attention_ll4mi_reduce_kernelIDF16_DF16_Li128ELi128ELi256ELi12EEvPT0_PKfS3_PKT_PKiS8_iS3_.kd
    .uniform_work_group_size: 1
    .uses_dynamic_stack: false
    .vgpr_count:     67
    .vgpr_spill_count: 0
    .wavefront_size: 32
    .workgroup_processor_mode: 1
  - .args:
      - .actual_access:  write_only
        .address_space:  global
        .offset:         0
        .size:           8
        .value_kind:     global_buffer
      - .actual_access:  read_only
        .address_space:  global
        .offset:         8
        .size:           8
        .value_kind:     global_buffer
      - .actual_access:  read_only
        .address_space:  global
        .offset:         16
        .size:           8
        .value_kind:     global_buffer
      - .actual_access:  read_only
        .address_space:  global
        .offset:         24
        .size:           8
        .value_kind:     global_buffer
      - .actual_access:  read_only
        .address_space:  global
        .offset:         32
        .size:           8
        .value_kind:     global_buffer
      - .actual_access:  read_only
        .address_space:  global
        .offset:         40
        .size:           8
        .value_kind:     global_buffer
      - .offset:         48
        .size:           4
        .value_kind:     by_value
      - .actual_access:  read_only
        .address_space:  global
        .offset:         56
        .size:           8
        .value_kind:     global_buffer
      - .offset:         64
        .size:           4
        .value_kind:     hidden_block_count_x
      - .offset:         68
        .size:           4
        .value_kind:     hidden_block_count_y
      - .offset:         72
        .size:           4
        .value_kind:     hidden_block_count_z
      - .offset:         76
        .size:           2
        .value_kind:     hidden_group_size_x
      - .offset:         78
        .size:           2
        .value_kind:     hidden_group_size_y
      - .offset:         80
        .size:           2
        .value_kind:     hidden_group_size_z
      - .offset:         82
        .size:           2
        .value_kind:     hidden_remainder_x
      - .offset:         84
        .size:           2
        .value_kind:     hidden_remainder_y
      - .offset:         86
        .size:           2
        .value_kind:     hidden_remainder_z
      - .offset:         104
        .size:           8
        .value_kind:     hidden_global_offset_x
      - .offset:         112
        .size:           8
        .value_kind:     hidden_global_offset_y
      - .offset:         120
        .size:           8
        .value_kind:     hidden_global_offset_z
      - .offset:         128
        .size:           2
        .value_kind:     hidden_grid_dims
    .group_segment_fixed_size: 1668
    .kernarg_segment_align: 8
    .kernarg_segment_size: 320
    .language:       OpenCL C
    .language_version:
      - 2
      - 0
    .max_flat_workgroup_size: 128
    .name:           _Z35paged_attention_ll4mi_reduce_kernelIDF16_DF16_Li128ELi128ELi256ELi13EEvPT0_PKfS3_PKT_PKiS8_iS3_
    .private_segment_fixed_size: 0
    .sgpr_count:     49
    .sgpr_spill_count: 0
    .symbol:         _Z35paged_attention_ll4mi_reduce_kernelIDF16_DF16_Li128ELi128ELi256ELi13EEvPT0_PKfS3_PKT_PKiS8_iS3_.kd
    .uniform_work_group_size: 1
    .uses_dynamic_stack: false
    .vgpr_count:     68
    .vgpr_spill_count: 0
    .wavefront_size: 32
    .workgroup_processor_mode: 1
  - .args:
      - .actual_access:  write_only
        .address_space:  global
        .offset:         0
        .size:           8
        .value_kind:     global_buffer
      - .actual_access:  read_only
        .address_space:  global
        .offset:         8
        .size:           8
        .value_kind:     global_buffer
      - .actual_access:  read_only
        .address_space:  global
        .offset:         16
        .size:           8
        .value_kind:     global_buffer
      - .actual_access:  read_only
        .address_space:  global
        .offset:         24
        .size:           8
        .value_kind:     global_buffer
      - .actual_access:  read_only
        .address_space:  global
        .offset:         32
        .size:           8
        .value_kind:     global_buffer
      - .actual_access:  read_only
        .address_space:  global
        .offset:         40
        .size:           8
        .value_kind:     global_buffer
      - .offset:         48
        .size:           4
        .value_kind:     by_value
      - .actual_access:  read_only
        .address_space:  global
        .offset:         56
        .size:           8
        .value_kind:     global_buffer
      - .offset:         64
        .size:           4
        .value_kind:     hidden_block_count_x
      - .offset:         68
        .size:           4
        .value_kind:     hidden_block_count_y
      - .offset:         72
        .size:           4
        .value_kind:     hidden_block_count_z
      - .offset:         76
        .size:           2
        .value_kind:     hidden_group_size_x
      - .offset:         78
        .size:           2
        .value_kind:     hidden_group_size_y
      - .offset:         80
        .size:           2
        .value_kind:     hidden_group_size_z
      - .offset:         82
        .size:           2
        .value_kind:     hidden_remainder_x
      - .offset:         84
        .size:           2
        .value_kind:     hidden_remainder_y
      - .offset:         86
        .size:           2
        .value_kind:     hidden_remainder_z
      - .offset:         104
        .size:           8
        .value_kind:     hidden_global_offset_x
      - .offset:         112
        .size:           8
        .value_kind:     hidden_global_offset_y
      - .offset:         120
        .size:           8
        .value_kind:     hidden_global_offset_z
      - .offset:         128
        .size:           2
        .value_kind:     hidden_grid_dims
    .group_segment_fixed_size: 1796
    .kernarg_segment_align: 8
    .kernarg_segment_size: 320
    .language:       OpenCL C
    .language_version:
      - 2
      - 0
    .max_flat_workgroup_size: 128
    .name:           _Z35paged_attention_ll4mi_reduce_kernelIDF16_DF16_Li128ELi128ELi256ELi14EEvPT0_PKfS3_PKT_PKiS8_iS3_
    .private_segment_fixed_size: 0
    .sgpr_count:     49
    .sgpr_spill_count: 0
    .symbol:         _Z35paged_attention_ll4mi_reduce_kernelIDF16_DF16_Li128ELi128ELi256ELi14EEvPT0_PKfS3_PKT_PKiS8_iS3_.kd
    .uniform_work_group_size: 1
    .uses_dynamic_stack: false
    .vgpr_count:     77
    .vgpr_spill_count: 0
    .wavefront_size: 32
    .workgroup_processor_mode: 1
  - .args:
      - .actual_access:  write_only
        .address_space:  global
        .offset:         0
        .size:           8
        .value_kind:     global_buffer
      - .actual_access:  read_only
        .address_space:  global
        .offset:         8
        .size:           8
        .value_kind:     global_buffer
      - .actual_access:  read_only
        .address_space:  global
        .offset:         16
        .size:           8
        .value_kind:     global_buffer
      - .actual_access:  read_only
        .address_space:  global
        .offset:         24
        .size:           8
        .value_kind:     global_buffer
      - .actual_access:  read_only
        .address_space:  global
        .offset:         32
        .size:           8
        .value_kind:     global_buffer
      - .actual_access:  read_only
        .address_space:  global
        .offset:         40
        .size:           8
        .value_kind:     global_buffer
      - .offset:         48
        .size:           4
        .value_kind:     by_value
      - .actual_access:  read_only
        .address_space:  global
        .offset:         56
        .size:           8
        .value_kind:     global_buffer
      - .offset:         64
        .size:           4
        .value_kind:     hidden_block_count_x
      - .offset:         68
        .size:           4
        .value_kind:     hidden_block_count_y
      - .offset:         72
        .size:           4
        .value_kind:     hidden_block_count_z
      - .offset:         76
        .size:           2
        .value_kind:     hidden_group_size_x
      - .offset:         78
        .size:           2
        .value_kind:     hidden_group_size_y
      - .offset:         80
        .size:           2
        .value_kind:     hidden_group_size_z
      - .offset:         82
        .size:           2
        .value_kind:     hidden_remainder_x
      - .offset:         84
        .size:           2
        .value_kind:     hidden_remainder_y
      - .offset:         86
        .size:           2
        .value_kind:     hidden_remainder_z
      - .offset:         104
        .size:           8
        .value_kind:     hidden_global_offset_x
      - .offset:         112
        .size:           8
        .value_kind:     hidden_global_offset_y
      - .offset:         120
        .size:           8
        .value_kind:     hidden_global_offset_z
      - .offset:         128
        .size:           2
        .value_kind:     hidden_grid_dims
    .group_segment_fixed_size: 1924
    .kernarg_segment_align: 8
    .kernarg_segment_size: 320
    .language:       OpenCL C
    .language_version:
      - 2
      - 0
    .max_flat_workgroup_size: 128
    .name:           _Z35paged_attention_ll4mi_reduce_kernelIDF16_DF16_Li128ELi128ELi256ELi15EEvPT0_PKfS3_PKT_PKiS8_iS3_
    .private_segment_fixed_size: 0
    .sgpr_count:     49
    .sgpr_spill_count: 0
    .symbol:         _Z35paged_attention_ll4mi_reduce_kernelIDF16_DF16_Li128ELi128ELi256ELi15EEvPT0_PKfS3_PKT_PKiS8_iS3_.kd
    .uniform_work_group_size: 1
    .uses_dynamic_stack: false
    .vgpr_count:     77
    .vgpr_spill_count: 0
    .wavefront_size: 32
    .workgroup_processor_mode: 1
  - .args:
      - .actual_access:  write_only
        .address_space:  global
        .offset:         0
        .size:           8
        .value_kind:     global_buffer
      - .actual_access:  read_only
        .address_space:  global
        .offset:         8
        .size:           8
        .value_kind:     global_buffer
      - .actual_access:  read_only
        .address_space:  global
        .offset:         16
        .size:           8
        .value_kind:     global_buffer
      - .actual_access:  read_only
        .address_space:  global
        .offset:         24
        .size:           8
        .value_kind:     global_buffer
      - .actual_access:  read_only
        .address_space:  global
        .offset:         32
        .size:           8
        .value_kind:     global_buffer
      - .actual_access:  read_only
        .address_space:  global
        .offset:         40
        .size:           8
        .value_kind:     global_buffer
      - .offset:         48
        .size:           4
        .value_kind:     by_value
      - .actual_access:  read_only
        .address_space:  global
        .offset:         56
        .size:           8
        .value_kind:     global_buffer
      - .offset:         64
        .size:           4
        .value_kind:     hidden_block_count_x
      - .offset:         68
        .size:           4
        .value_kind:     hidden_block_count_y
      - .offset:         72
        .size:           4
        .value_kind:     hidden_block_count_z
      - .offset:         76
        .size:           2
        .value_kind:     hidden_group_size_x
      - .offset:         78
        .size:           2
        .value_kind:     hidden_group_size_y
      - .offset:         80
        .size:           2
        .value_kind:     hidden_group_size_z
      - .offset:         82
        .size:           2
        .value_kind:     hidden_remainder_x
      - .offset:         84
        .size:           2
        .value_kind:     hidden_remainder_y
      - .offset:         86
        .size:           2
        .value_kind:     hidden_remainder_z
      - .offset:         104
        .size:           8
        .value_kind:     hidden_global_offset_x
      - .offset:         112
        .size:           8
        .value_kind:     hidden_global_offset_y
      - .offset:         120
        .size:           8
        .value_kind:     hidden_global_offset_z
      - .offset:         128
        .size:           2
        .value_kind:     hidden_grid_dims
    .group_segment_fixed_size: 2052
    .kernarg_segment_align: 8
    .kernarg_segment_size: 320
    .language:       OpenCL C
    .language_version:
      - 2
      - 0
    .max_flat_workgroup_size: 128
    .name:           _Z35paged_attention_ll4mi_reduce_kernelIDF16_DF16_Li128ELi128ELi256ELi16EEvPT0_PKfS3_PKT_PKiS8_iS3_
    .private_segment_fixed_size: 0
    .sgpr_count:     49
    .sgpr_spill_count: 0
    .symbol:         _Z35paged_attention_ll4mi_reduce_kernelIDF16_DF16_Li128ELi128ELi256ELi16EEvPT0_PKfS3_PKT_PKiS8_iS3_.kd
    .uniform_work_group_size: 1
    .uses_dynamic_stack: false
    .vgpr_count:     87
    .vgpr_spill_count: 0
    .wavefront_size: 32
    .workgroup_processor_mode: 1
  - .args:
      - .actual_access:  read_only
        .address_space:  global
        .offset:         0
        .size:           8
        .value_kind:     global_buffer
      - .actual_access:  read_only
        .address_space:  global
        .offset:         8
        .size:           8
        .value_kind:     global_buffer
      - .actual_access:  read_only
        .address_space:  global
        .offset:         16
        .size:           8
        .value_kind:     global_buffer
      - .offset:         24
        .size:           4
        .value_kind:     by_value
      - .offset:         28
        .size:           4
        .value_kind:     by_value
      - .actual_access:  read_only
        .address_space:  global
        .offset:         32
        .size:           8
        .value_kind:     global_buffer
      - .actual_access:  read_only
        .address_space:  global
        .offset:         40
        .size:           8
        .value_kind:     global_buffer
      - .actual_access:  read_only
        .address_space:  global
        .offset:         48
        .size:           8
        .value_kind:     global_buffer
      - .offset:         56
        .size:           4
        .value_kind:     by_value
      - .actual_access:  read_only
        .address_space:  global
        .offset:         64
        .size:           8
        .value_kind:     global_buffer
      - .offset:         72
        .size:           4
        .value_kind:     by_value
      - .offset:         76
        .size:           4
        .value_kind:     by_value
      - .offset:         80
        .size:           4
        .value_kind:     by_value
      - .actual_access:  read_only
        .address_space:  global
        .offset:         88
        .size:           8
        .value_kind:     global_buffer
      - .actual_access:  read_only
        .address_space:  global
        .offset:         96
        .size:           8
        .value_kind:     global_buffer
      - .actual_access:  read_only
        .address_space:  global
        .offset:         104
        .size:           8
        .value_kind:     global_buffer
      - .actual_access:  read_only
        .address_space:  global
        .offset:         112
        .size:           8
        .value_kind:     global_buffer
      - .offset:         120
        .size:           4
        .value_kind:     by_value
      - .address_space:  global
        .offset:         128
        .size:           8
        .value_kind:     global_buffer
      - .address_space:  global
        .offset:         136
        .size:           8
        .value_kind:     global_buffer
      - .offset:         144
        .size:           4
        .value_kind:     hidden_block_count_x
      - .offset:         148
        .size:           4
        .value_kind:     hidden_block_count_y
      - .offset:         152
        .size:           4
        .value_kind:     hidden_block_count_z
      - .offset:         156
        .size:           2
        .value_kind:     hidden_group_size_x
      - .offset:         158
        .size:           2
        .value_kind:     hidden_group_size_y
      - .offset:         160
        .size:           2
        .value_kind:     hidden_group_size_z
      - .offset:         162
        .size:           2
        .value_kind:     hidden_remainder_x
      - .offset:         164
        .size:           2
        .value_kind:     hidden_remainder_y
      - .offset:         166
        .size:           2
        .value_kind:     hidden_remainder_z
      - .offset:         184
        .size:           8
        .value_kind:     hidden_global_offset_x
      - .offset:         192
        .size:           8
        .value_kind:     hidden_global_offset_y
      - .offset:         200
        .size:           8
        .value_kind:     hidden_global_offset_z
      - .offset:         208
        .size:           2
        .value_kind:     hidden_grid_dims
      - .offset:         224
        .size:           8
        .value_kind:     hidden_hostcall_buffer
    .group_segment_fixed_size: 0
    .kernarg_segment_align: 8
    .kernarg_segment_size: 400
    .language:       OpenCL C
    .language_version:
      - 2
      - 0
    .max_flat_workgroup_size: 256
    .name:           _Z38paged_attention_ll4mi_QKV_mfma4_kernelIDF16_DF16_LN4vllm18Fp8KVCacheDataTypeE0EDF16_Li16ELi128ELi256ELb0ELi1EEvPKT_PKT0_S7_ifPKiS9_S9_iPKfiiiPfSC_PS2_PT2_iSB_SB_
    .private_segment_fixed_size: 64
    .sgpr_count:     36
    .sgpr_spill_count: 0
    .symbol:         _Z38paged_attention_ll4mi_QKV_mfma4_kernelIDF16_DF16_LN4vllm18Fp8KVCacheDataTypeE0EDF16_Li16ELi128ELi256ELb0ELi1EEvPKT_PKT0_S7_ifPKiS9_S9_iPKfiiiPfSC_PS2_PT2_iSB_SB_.kd
    .uniform_work_group_size: 1
    .uses_dynamic_stack: false
    .vgpr_count:     41
    .vgpr_spill_count: 0
    .wavefront_size: 32
    .workgroup_processor_mode: 1
  - .args:
      - .actual_access:  read_only
        .address_space:  global
        .offset:         0
        .size:           8
        .value_kind:     global_buffer
      - .actual_access:  read_only
        .address_space:  global
        .offset:         8
        .size:           8
        .value_kind:     global_buffer
      - .actual_access:  read_only
        .address_space:  global
        .offset:         16
        .size:           8
        .value_kind:     global_buffer
      - .offset:         24
        .size:           4
        .value_kind:     by_value
      - .offset:         28
        .size:           4
        .value_kind:     by_value
      - .actual_access:  read_only
        .address_space:  global
        .offset:         32
        .size:           8
        .value_kind:     global_buffer
      - .actual_access:  read_only
        .address_space:  global
        .offset:         40
        .size:           8
        .value_kind:     global_buffer
      - .actual_access:  read_only
        .address_space:  global
        .offset:         48
        .size:           8
        .value_kind:     global_buffer
      - .offset:         56
        .size:           4
        .value_kind:     by_value
      - .actual_access:  read_only
        .address_space:  global
        .offset:         64
        .size:           8
        .value_kind:     global_buffer
      - .offset:         72
        .size:           4
        .value_kind:     by_value
      - .offset:         76
        .size:           4
        .value_kind:     by_value
      - .offset:         80
        .size:           4
        .value_kind:     by_value
      - .actual_access:  read_only
        .address_space:  global
        .offset:         88
        .size:           8
        .value_kind:     global_buffer
      - .actual_access:  read_only
        .address_space:  global
        .offset:         96
        .size:           8
        .value_kind:     global_buffer
      - .actual_access:  read_only
        .address_space:  global
        .offset:         104
        .size:           8
        .value_kind:     global_buffer
      - .actual_access:  read_only
        .address_space:  global
        .offset:         112
        .size:           8
        .value_kind:     global_buffer
      - .offset:         120
        .size:           4
        .value_kind:     by_value
      - .address_space:  global
        .offset:         128
        .size:           8
        .value_kind:     global_buffer
      - .address_space:  global
        .offset:         136
        .size:           8
        .value_kind:     global_buffer
      - .offset:         144
        .size:           4
        .value_kind:     hidden_block_count_x
      - .offset:         148
        .size:           4
        .value_kind:     hidden_block_count_y
      - .offset:         152
        .size:           4
        .value_kind:     hidden_block_count_z
      - .offset:         156
        .size:           2
        .value_kind:     hidden_group_size_x
      - .offset:         158
        .size:           2
        .value_kind:     hidden_group_size_y
      - .offset:         160
        .size:           2
        .value_kind:     hidden_group_size_z
      - .offset:         162
        .size:           2
        .value_kind:     hidden_remainder_x
      - .offset:         164
        .size:           2
        .value_kind:     hidden_remainder_y
      - .offset:         166
        .size:           2
        .value_kind:     hidden_remainder_z
      - .offset:         184
        .size:           8
        .value_kind:     hidden_global_offset_x
      - .offset:         192
        .size:           8
        .value_kind:     hidden_global_offset_y
      - .offset:         200
        .size:           8
        .value_kind:     hidden_global_offset_z
      - .offset:         208
        .size:           2
        .value_kind:     hidden_grid_dims
      - .offset:         224
        .size:           8
        .value_kind:     hidden_hostcall_buffer
    .group_segment_fixed_size: 0
    .kernarg_segment_align: 8
    .kernarg_segment_size: 400
    .language:       OpenCL C
    .language_version:
      - 2
      - 0
    .max_flat_workgroup_size: 256
    .name:           _Z38paged_attention_ll4mi_QKV_mfma4_kernelIDF16_DF16_LN4vllm18Fp8KVCacheDataTypeE0EDF16_Li16ELi128ELi256ELb0ELi2EEvPKT_PKT0_S7_ifPKiS9_S9_iPKfiiiPfSC_PS2_PT2_iSB_SB_
    .private_segment_fixed_size: 64
    .sgpr_count:     36
    .sgpr_spill_count: 0
    .symbol:         _Z38paged_attention_ll4mi_QKV_mfma4_kernelIDF16_DF16_LN4vllm18Fp8KVCacheDataTypeE0EDF16_Li16ELi128ELi256ELb0ELi2EEvPKT_PKT0_S7_ifPKiS9_S9_iPKfiiiPfSC_PS2_PT2_iSB_SB_.kd
    .uniform_work_group_size: 1
    .uses_dynamic_stack: false
    .vgpr_count:     41
    .vgpr_spill_count: 0
    .wavefront_size: 32
    .workgroup_processor_mode: 1
  - .args:
      - .actual_access:  read_only
        .address_space:  global
        .offset:         0
        .size:           8
        .value_kind:     global_buffer
      - .actual_access:  read_only
        .address_space:  global
        .offset:         8
        .size:           8
        .value_kind:     global_buffer
      - .actual_access:  read_only
        .address_space:  global
        .offset:         16
        .size:           8
        .value_kind:     global_buffer
      - .offset:         24
        .size:           4
        .value_kind:     by_value
      - .offset:         28
        .size:           4
        .value_kind:     by_value
      - .actual_access:  read_only
        .address_space:  global
        .offset:         32
        .size:           8
        .value_kind:     global_buffer
      - .actual_access:  read_only
        .address_space:  global
        .offset:         40
        .size:           8
        .value_kind:     global_buffer
      - .actual_access:  read_only
        .address_space:  global
        .offset:         48
        .size:           8
        .value_kind:     global_buffer
      - .offset:         56
        .size:           4
        .value_kind:     by_value
      - .actual_access:  read_only
        .address_space:  global
        .offset:         64
        .size:           8
        .value_kind:     global_buffer
      - .offset:         72
        .size:           4
        .value_kind:     by_value
      - .offset:         76
        .size:           4
        .value_kind:     by_value
      - .offset:         80
        .size:           4
        .value_kind:     by_value
      - .actual_access:  read_only
        .address_space:  global
        .offset:         88
        .size:           8
        .value_kind:     global_buffer
      - .actual_access:  read_only
        .address_space:  global
        .offset:         96
        .size:           8
        .value_kind:     global_buffer
      - .actual_access:  read_only
        .address_space:  global
        .offset:         104
        .size:           8
        .value_kind:     global_buffer
      - .actual_access:  read_only
        .address_space:  global
        .offset:         112
        .size:           8
        .value_kind:     global_buffer
      - .offset:         120
        .size:           4
        .value_kind:     by_value
      - .address_space:  global
        .offset:         128
        .size:           8
        .value_kind:     global_buffer
      - .address_space:  global
        .offset:         136
        .size:           8
        .value_kind:     global_buffer
      - .offset:         144
        .size:           4
        .value_kind:     hidden_block_count_x
      - .offset:         148
        .size:           4
        .value_kind:     hidden_block_count_y
      - .offset:         152
        .size:           4
        .value_kind:     hidden_block_count_z
      - .offset:         156
        .size:           2
        .value_kind:     hidden_group_size_x
      - .offset:         158
        .size:           2
        .value_kind:     hidden_group_size_y
      - .offset:         160
        .size:           2
        .value_kind:     hidden_group_size_z
      - .offset:         162
        .size:           2
        .value_kind:     hidden_remainder_x
      - .offset:         164
        .size:           2
        .value_kind:     hidden_remainder_y
      - .offset:         166
        .size:           2
        .value_kind:     hidden_remainder_z
      - .offset:         184
        .size:           8
        .value_kind:     hidden_global_offset_x
      - .offset:         192
        .size:           8
        .value_kind:     hidden_global_offset_y
      - .offset:         200
        .size:           8
        .value_kind:     hidden_global_offset_z
      - .offset:         208
        .size:           2
        .value_kind:     hidden_grid_dims
      - .offset:         224
        .size:           8
        .value_kind:     hidden_hostcall_buffer
    .group_segment_fixed_size: 0
    .kernarg_segment_align: 8
    .kernarg_segment_size: 400
    .language:       OpenCL C
    .language_version:
      - 2
      - 0
    .max_flat_workgroup_size: 256
    .name:           _Z38paged_attention_ll4mi_QKV_mfma4_kernelIDF16_DF16_LN4vllm18Fp8KVCacheDataTypeE0EDF16_Li16ELi128ELi256ELb0ELi3EEvPKT_PKT0_S7_ifPKiS9_S9_iPKfiiiPfSC_PS2_PT2_iSB_SB_
    .private_segment_fixed_size: 64
    .sgpr_count:     36
    .sgpr_spill_count: 0
    .symbol:         _Z38paged_attention_ll4mi_QKV_mfma4_kernelIDF16_DF16_LN4vllm18Fp8KVCacheDataTypeE0EDF16_Li16ELi128ELi256ELb0ELi3EEvPKT_PKT0_S7_ifPKiS9_S9_iPKfiiiPfSC_PS2_PT2_iSB_SB_.kd
    .uniform_work_group_size: 1
    .uses_dynamic_stack: false
    .vgpr_count:     41
    .vgpr_spill_count: 0
    .wavefront_size: 32
    .workgroup_processor_mode: 1
  - .args:
      - .actual_access:  read_only
        .address_space:  global
        .offset:         0
        .size:           8
        .value_kind:     global_buffer
      - .actual_access:  read_only
        .address_space:  global
        .offset:         8
        .size:           8
        .value_kind:     global_buffer
      - .actual_access:  read_only
        .address_space:  global
        .offset:         16
        .size:           8
        .value_kind:     global_buffer
      - .offset:         24
        .size:           4
        .value_kind:     by_value
      - .offset:         28
        .size:           4
        .value_kind:     by_value
      - .actual_access:  read_only
        .address_space:  global
        .offset:         32
        .size:           8
        .value_kind:     global_buffer
      - .actual_access:  read_only
        .address_space:  global
        .offset:         40
        .size:           8
        .value_kind:     global_buffer
      - .actual_access:  read_only
        .address_space:  global
        .offset:         48
        .size:           8
        .value_kind:     global_buffer
      - .offset:         56
        .size:           4
        .value_kind:     by_value
      - .actual_access:  read_only
        .address_space:  global
        .offset:         64
        .size:           8
        .value_kind:     global_buffer
      - .offset:         72
        .size:           4
        .value_kind:     by_value
      - .offset:         76
        .size:           4
        .value_kind:     by_value
      - .offset:         80
        .size:           4
        .value_kind:     by_value
      - .actual_access:  read_only
        .address_space:  global
        .offset:         88
        .size:           8
        .value_kind:     global_buffer
      - .actual_access:  read_only
        .address_space:  global
        .offset:         96
        .size:           8
        .value_kind:     global_buffer
      - .actual_access:  read_only
        .address_space:  global
        .offset:         104
        .size:           8
        .value_kind:     global_buffer
      - .actual_access:  read_only
        .address_space:  global
        .offset:         112
        .size:           8
        .value_kind:     global_buffer
      - .offset:         120
        .size:           4
        .value_kind:     by_value
      - .address_space:  global
        .offset:         128
        .size:           8
        .value_kind:     global_buffer
      - .address_space:  global
        .offset:         136
        .size:           8
        .value_kind:     global_buffer
      - .offset:         144
        .size:           4
        .value_kind:     hidden_block_count_x
      - .offset:         148
        .size:           4
        .value_kind:     hidden_block_count_y
      - .offset:         152
        .size:           4
        .value_kind:     hidden_block_count_z
      - .offset:         156
        .size:           2
        .value_kind:     hidden_group_size_x
      - .offset:         158
        .size:           2
        .value_kind:     hidden_group_size_y
      - .offset:         160
        .size:           2
        .value_kind:     hidden_group_size_z
      - .offset:         162
        .size:           2
        .value_kind:     hidden_remainder_x
      - .offset:         164
        .size:           2
        .value_kind:     hidden_remainder_y
      - .offset:         166
        .size:           2
        .value_kind:     hidden_remainder_z
      - .offset:         184
        .size:           8
        .value_kind:     hidden_global_offset_x
      - .offset:         192
        .size:           8
        .value_kind:     hidden_global_offset_y
      - .offset:         200
        .size:           8
        .value_kind:     hidden_global_offset_z
      - .offset:         208
        .size:           2
        .value_kind:     hidden_grid_dims
      - .offset:         224
        .size:           8
        .value_kind:     hidden_hostcall_buffer
    .group_segment_fixed_size: 0
    .kernarg_segment_align: 8
    .kernarg_segment_size: 400
    .language:       OpenCL C
    .language_version:
      - 2
      - 0
    .max_flat_workgroup_size: 256
    .name:           _Z38paged_attention_ll4mi_QKV_mfma4_kernelIDF16_DF16_LN4vllm18Fp8KVCacheDataTypeE0EDF16_Li16ELi128ELi256ELb0ELi4EEvPKT_PKT0_S7_ifPKiS9_S9_iPKfiiiPfSC_PS2_PT2_iSB_SB_
    .private_segment_fixed_size: 64
    .sgpr_count:     36
    .sgpr_spill_count: 0
    .symbol:         _Z38paged_attention_ll4mi_QKV_mfma4_kernelIDF16_DF16_LN4vllm18Fp8KVCacheDataTypeE0EDF16_Li16ELi128ELi256ELb0ELi4EEvPKT_PKT0_S7_ifPKiS9_S9_iPKfiiiPfSC_PS2_PT2_iSB_SB_.kd
    .uniform_work_group_size: 1
    .uses_dynamic_stack: false
    .vgpr_count:     41
    .vgpr_spill_count: 0
    .wavefront_size: 32
    .workgroup_processor_mode: 1
  - .args:
      - .actual_access:  read_only
        .address_space:  global
        .offset:         0
        .size:           8
        .value_kind:     global_buffer
      - .actual_access:  read_only
        .address_space:  global
        .offset:         8
        .size:           8
        .value_kind:     global_buffer
      - .actual_access:  read_only
        .address_space:  global
        .offset:         16
        .size:           8
        .value_kind:     global_buffer
      - .offset:         24
        .size:           4
        .value_kind:     by_value
      - .offset:         28
        .size:           4
        .value_kind:     by_value
      - .actual_access:  read_only
        .address_space:  global
        .offset:         32
        .size:           8
        .value_kind:     global_buffer
      - .actual_access:  read_only
        .address_space:  global
        .offset:         40
        .size:           8
        .value_kind:     global_buffer
      - .actual_access:  read_only
        .address_space:  global
        .offset:         48
        .size:           8
        .value_kind:     global_buffer
      - .offset:         56
        .size:           4
        .value_kind:     by_value
      - .actual_access:  read_only
        .address_space:  global
        .offset:         64
        .size:           8
        .value_kind:     global_buffer
      - .offset:         72
        .size:           4
        .value_kind:     by_value
      - .offset:         76
        .size:           4
        .value_kind:     by_value
      - .offset:         80
        .size:           4
        .value_kind:     by_value
      - .actual_access:  write_only
        .address_space:  global
        .offset:         88
        .size:           8
        .value_kind:     global_buffer
      - .actual_access:  write_only
        .address_space:  global
        .offset:         96
        .size:           8
        .value_kind:     global_buffer
      - .actual_access:  write_only
        .address_space:  global
        .offset:         104
        .size:           8
        .value_kind:     global_buffer
      - .actual_access:  read_only
        .address_space:  global
        .offset:         112
        .size:           8
        .value_kind:     global_buffer
      - .offset:         120
        .size:           4
        .value_kind:     by_value
      - .address_space:  global
        .offset:         128
        .size:           8
        .value_kind:     global_buffer
      - .address_space:  global
        .offset:         136
        .size:           8
        .value_kind:     global_buffer
      - .offset:         144
        .size:           4
        .value_kind:     hidden_block_count_x
      - .offset:         148
        .size:           4
        .value_kind:     hidden_block_count_y
      - .offset:         152
        .size:           4
        .value_kind:     hidden_block_count_z
      - .offset:         156
        .size:           2
        .value_kind:     hidden_group_size_x
      - .offset:         158
        .size:           2
        .value_kind:     hidden_group_size_y
      - .offset:         160
        .size:           2
        .value_kind:     hidden_group_size_z
      - .offset:         162
        .size:           2
        .value_kind:     hidden_remainder_x
      - .offset:         164
        .size:           2
        .value_kind:     hidden_remainder_y
      - .offset:         166
        .size:           2
        .value_kind:     hidden_remainder_z
      - .offset:         184
        .size:           8
        .value_kind:     hidden_global_offset_x
      - .offset:         192
        .size:           8
        .value_kind:     hidden_global_offset_y
      - .offset:         200
        .size:           8
        .value_kind:     hidden_global_offset_z
      - .offset:         208
        .size:           2
        .value_kind:     hidden_grid_dims
    .group_segment_fixed_size: 17472
    .kernarg_segment_align: 8
    .kernarg_segment_size: 400
    .language:       OpenCL C
    .language_version:
      - 2
      - 0
    .max_flat_workgroup_size: 256
    .name:           _Z39paged_attention_ll4mi_QKV_mfma16_kernelIDF16_DF16_LN4vllm18Fp8KVCacheDataTypeE0EDF16_Li16ELi128ELi256ELb0ELi5EL8MFMAType0EEvPKT_PKT0_S8_ifPKiSA_SA_iPKfiiiPfSD_PS3_PT2_iSC_SC_
    .private_segment_fixed_size: 0
    .sgpr_count:     54
    .sgpr_spill_count: 0
    .symbol:         _Z39paged_attention_ll4mi_QKV_mfma16_kernelIDF16_DF16_LN4vllm18Fp8KVCacheDataTypeE0EDF16_Li16ELi128ELi256ELb0ELi5EL8MFMAType0EEvPKT_PKT0_S8_ifPKiSA_SA_iPKfiiiPfSD_PS3_PT2_iSC_SC_.kd
    .uniform_work_group_size: 1
    .uses_dynamic_stack: false
    .vgpr_count:     218
    .vgpr_spill_count: 0
    .wavefront_size: 32
    .workgroup_processor_mode: 1
  - .args:
      - .actual_access:  read_only
        .address_space:  global
        .offset:         0
        .size:           8
        .value_kind:     global_buffer
      - .actual_access:  read_only
        .address_space:  global
        .offset:         8
        .size:           8
        .value_kind:     global_buffer
      - .actual_access:  read_only
        .address_space:  global
        .offset:         16
        .size:           8
        .value_kind:     global_buffer
      - .offset:         24
        .size:           4
        .value_kind:     by_value
      - .offset:         28
        .size:           4
        .value_kind:     by_value
      - .actual_access:  read_only
        .address_space:  global
        .offset:         32
        .size:           8
        .value_kind:     global_buffer
      - .actual_access:  read_only
        .address_space:  global
        .offset:         40
        .size:           8
        .value_kind:     global_buffer
      - .actual_access:  read_only
        .address_space:  global
        .offset:         48
        .size:           8
        .value_kind:     global_buffer
      - .offset:         56
        .size:           4
        .value_kind:     by_value
      - .actual_access:  read_only
        .address_space:  global
        .offset:         64
        .size:           8
        .value_kind:     global_buffer
      - .offset:         72
        .size:           4
        .value_kind:     by_value
      - .offset:         76
        .size:           4
        .value_kind:     by_value
      - .offset:         80
        .size:           4
        .value_kind:     by_value
      - .actual_access:  write_only
        .address_space:  global
        .offset:         88
        .size:           8
        .value_kind:     global_buffer
      - .actual_access:  write_only
        .address_space:  global
        .offset:         96
        .size:           8
        .value_kind:     global_buffer
      - .actual_access:  write_only
        .address_space:  global
        .offset:         104
        .size:           8
        .value_kind:     global_buffer
      - .actual_access:  read_only
        .address_space:  global
        .offset:         112
        .size:           8
        .value_kind:     global_buffer
      - .offset:         120
        .size:           4
        .value_kind:     by_value
      - .address_space:  global
        .offset:         128
        .size:           8
        .value_kind:     global_buffer
      - .address_space:  global
        .offset:         136
        .size:           8
        .value_kind:     global_buffer
      - .offset:         144
        .size:           4
        .value_kind:     hidden_block_count_x
      - .offset:         148
        .size:           4
        .value_kind:     hidden_block_count_y
      - .offset:         152
        .size:           4
        .value_kind:     hidden_block_count_z
      - .offset:         156
        .size:           2
        .value_kind:     hidden_group_size_x
      - .offset:         158
        .size:           2
        .value_kind:     hidden_group_size_y
      - .offset:         160
        .size:           2
        .value_kind:     hidden_group_size_z
      - .offset:         162
        .size:           2
        .value_kind:     hidden_remainder_x
      - .offset:         164
        .size:           2
        .value_kind:     hidden_remainder_y
      - .offset:         166
        .size:           2
        .value_kind:     hidden_remainder_z
      - .offset:         184
        .size:           8
        .value_kind:     hidden_global_offset_x
      - .offset:         192
        .size:           8
        .value_kind:     hidden_global_offset_y
      - .offset:         200
        .size:           8
        .value_kind:     hidden_global_offset_z
      - .offset:         208
        .size:           2
        .value_kind:     hidden_grid_dims
    .group_segment_fixed_size: 17472
    .kernarg_segment_align: 8
    .kernarg_segment_size: 400
    .language:       OpenCL C
    .language_version:
      - 2
      - 0
    .max_flat_workgroup_size: 256
    .name:           _Z39paged_attention_ll4mi_QKV_mfma16_kernelIDF16_DF16_LN4vllm18Fp8KVCacheDataTypeE0EDF16_Li16ELi128ELi256ELb0ELi6EL8MFMAType0EEvPKT_PKT0_S8_ifPKiSA_SA_iPKfiiiPfSD_PS3_PT2_iSC_SC_
    .private_segment_fixed_size: 0
    .sgpr_count:     54
    .sgpr_spill_count: 0
    .symbol:         _Z39paged_attention_ll4mi_QKV_mfma16_kernelIDF16_DF16_LN4vllm18Fp8KVCacheDataTypeE0EDF16_Li16ELi128ELi256ELb0ELi6EL8MFMAType0EEvPKT_PKT0_S8_ifPKiSA_SA_iPKfiiiPfSD_PS3_PT2_iSC_SC_.kd
    .uniform_work_group_size: 1
    .uses_dynamic_stack: false
    .vgpr_count:     218
    .vgpr_spill_count: 0
    .wavefront_size: 32
    .workgroup_processor_mode: 1
  - .args:
      - .actual_access:  read_only
        .address_space:  global
        .offset:         0
        .size:           8
        .value_kind:     global_buffer
      - .actual_access:  read_only
        .address_space:  global
        .offset:         8
        .size:           8
        .value_kind:     global_buffer
      - .actual_access:  read_only
        .address_space:  global
        .offset:         16
        .size:           8
        .value_kind:     global_buffer
      - .offset:         24
        .size:           4
        .value_kind:     by_value
      - .offset:         28
        .size:           4
        .value_kind:     by_value
      - .actual_access:  read_only
        .address_space:  global
        .offset:         32
        .size:           8
        .value_kind:     global_buffer
      - .actual_access:  read_only
        .address_space:  global
        .offset:         40
        .size:           8
        .value_kind:     global_buffer
      - .actual_access:  read_only
        .address_space:  global
        .offset:         48
        .size:           8
        .value_kind:     global_buffer
      - .offset:         56
        .size:           4
        .value_kind:     by_value
      - .actual_access:  read_only
        .address_space:  global
        .offset:         64
        .size:           8
        .value_kind:     global_buffer
      - .offset:         72
        .size:           4
        .value_kind:     by_value
      - .offset:         76
        .size:           4
        .value_kind:     by_value
      - .offset:         80
        .size:           4
        .value_kind:     by_value
      - .actual_access:  write_only
        .address_space:  global
        .offset:         88
        .size:           8
        .value_kind:     global_buffer
      - .actual_access:  write_only
        .address_space:  global
        .offset:         96
        .size:           8
        .value_kind:     global_buffer
      - .actual_access:  write_only
        .address_space:  global
        .offset:         104
        .size:           8
        .value_kind:     global_buffer
      - .actual_access:  read_only
        .address_space:  global
        .offset:         112
        .size:           8
        .value_kind:     global_buffer
      - .offset:         120
        .size:           4
        .value_kind:     by_value
      - .address_space:  global
        .offset:         128
        .size:           8
        .value_kind:     global_buffer
      - .address_space:  global
        .offset:         136
        .size:           8
        .value_kind:     global_buffer
      - .offset:         144
        .size:           4
        .value_kind:     hidden_block_count_x
      - .offset:         148
        .size:           4
        .value_kind:     hidden_block_count_y
      - .offset:         152
        .size:           4
        .value_kind:     hidden_block_count_z
      - .offset:         156
        .size:           2
        .value_kind:     hidden_group_size_x
      - .offset:         158
        .size:           2
        .value_kind:     hidden_group_size_y
      - .offset:         160
        .size:           2
        .value_kind:     hidden_group_size_z
      - .offset:         162
        .size:           2
        .value_kind:     hidden_remainder_x
      - .offset:         164
        .size:           2
        .value_kind:     hidden_remainder_y
      - .offset:         166
        .size:           2
        .value_kind:     hidden_remainder_z
      - .offset:         184
        .size:           8
        .value_kind:     hidden_global_offset_x
      - .offset:         192
        .size:           8
        .value_kind:     hidden_global_offset_y
      - .offset:         200
        .size:           8
        .value_kind:     hidden_global_offset_z
      - .offset:         208
        .size:           2
        .value_kind:     hidden_grid_dims
    .group_segment_fixed_size: 17472
    .kernarg_segment_align: 8
    .kernarg_segment_size: 400
    .language:       OpenCL C
    .language_version:
      - 2
      - 0
    .max_flat_workgroup_size: 256
    .name:           _Z39paged_attention_ll4mi_QKV_mfma16_kernelIDF16_DF16_LN4vllm18Fp8KVCacheDataTypeE0EDF16_Li16ELi128ELi256ELb0ELi7EL8MFMAType0EEvPKT_PKT0_S8_ifPKiSA_SA_iPKfiiiPfSD_PS3_PT2_iSC_SC_
    .private_segment_fixed_size: 0
    .sgpr_count:     54
    .sgpr_spill_count: 0
    .symbol:         _Z39paged_attention_ll4mi_QKV_mfma16_kernelIDF16_DF16_LN4vllm18Fp8KVCacheDataTypeE0EDF16_Li16ELi128ELi256ELb0ELi7EL8MFMAType0EEvPKT_PKT0_S8_ifPKiSA_SA_iPKfiiiPfSD_PS3_PT2_iSC_SC_.kd
    .uniform_work_group_size: 1
    .uses_dynamic_stack: false
    .vgpr_count:     218
    .vgpr_spill_count: 0
    .wavefront_size: 32
    .workgroup_processor_mode: 1
  - .args:
      - .actual_access:  read_only
        .address_space:  global
        .offset:         0
        .size:           8
        .value_kind:     global_buffer
      - .actual_access:  read_only
        .address_space:  global
        .offset:         8
        .size:           8
        .value_kind:     global_buffer
      - .actual_access:  read_only
        .address_space:  global
        .offset:         16
        .size:           8
        .value_kind:     global_buffer
      - .offset:         24
        .size:           4
        .value_kind:     by_value
      - .offset:         28
        .size:           4
        .value_kind:     by_value
      - .actual_access:  read_only
        .address_space:  global
        .offset:         32
        .size:           8
        .value_kind:     global_buffer
      - .actual_access:  read_only
        .address_space:  global
        .offset:         40
        .size:           8
        .value_kind:     global_buffer
      - .actual_access:  read_only
        .address_space:  global
        .offset:         48
        .size:           8
        .value_kind:     global_buffer
      - .offset:         56
        .size:           4
        .value_kind:     by_value
      - .actual_access:  read_only
        .address_space:  global
        .offset:         64
        .size:           8
        .value_kind:     global_buffer
      - .offset:         72
        .size:           4
        .value_kind:     by_value
      - .offset:         76
        .size:           4
        .value_kind:     by_value
      - .offset:         80
        .size:           4
        .value_kind:     by_value
      - .actual_access:  write_only
        .address_space:  global
        .offset:         88
        .size:           8
        .value_kind:     global_buffer
      - .actual_access:  write_only
        .address_space:  global
        .offset:         96
        .size:           8
        .value_kind:     global_buffer
      - .actual_access:  write_only
        .address_space:  global
        .offset:         104
        .size:           8
        .value_kind:     global_buffer
      - .actual_access:  read_only
        .address_space:  global
        .offset:         112
        .size:           8
        .value_kind:     global_buffer
      - .offset:         120
        .size:           4
        .value_kind:     by_value
      - .address_space:  global
        .offset:         128
        .size:           8
        .value_kind:     global_buffer
      - .address_space:  global
        .offset:         136
        .size:           8
        .value_kind:     global_buffer
      - .offset:         144
        .size:           4
        .value_kind:     hidden_block_count_x
      - .offset:         148
        .size:           4
        .value_kind:     hidden_block_count_y
      - .offset:         152
        .size:           4
        .value_kind:     hidden_block_count_z
      - .offset:         156
        .size:           2
        .value_kind:     hidden_group_size_x
      - .offset:         158
        .size:           2
        .value_kind:     hidden_group_size_y
      - .offset:         160
        .size:           2
        .value_kind:     hidden_group_size_z
      - .offset:         162
        .size:           2
        .value_kind:     hidden_remainder_x
      - .offset:         164
        .size:           2
        .value_kind:     hidden_remainder_y
      - .offset:         166
        .size:           2
        .value_kind:     hidden_remainder_z
      - .offset:         184
        .size:           8
        .value_kind:     hidden_global_offset_x
      - .offset:         192
        .size:           8
        .value_kind:     hidden_global_offset_y
      - .offset:         200
        .size:           8
        .value_kind:     hidden_global_offset_z
      - .offset:         208
        .size:           2
        .value_kind:     hidden_grid_dims
    .group_segment_fixed_size: 17472
    .kernarg_segment_align: 8
    .kernarg_segment_size: 400
    .language:       OpenCL C
    .language_version:
      - 2
      - 0
    .max_flat_workgroup_size: 256
    .name:           _Z39paged_attention_ll4mi_QKV_mfma16_kernelIDF16_DF16_LN4vllm18Fp8KVCacheDataTypeE0EDF16_Li16ELi128ELi256ELb0ELi8EL8MFMAType0EEvPKT_PKT0_S8_ifPKiSA_SA_iPKfiiiPfSD_PS3_PT2_iSC_SC_
    .private_segment_fixed_size: 0
    .sgpr_count:     54
    .sgpr_spill_count: 0
    .symbol:         _Z39paged_attention_ll4mi_QKV_mfma16_kernelIDF16_DF16_LN4vllm18Fp8KVCacheDataTypeE0EDF16_Li16ELi128ELi256ELb0ELi8EL8MFMAType0EEvPKT_PKT0_S8_ifPKiSA_SA_iPKfiiiPfSD_PS3_PT2_iSC_SC_.kd
    .uniform_work_group_size: 1
    .uses_dynamic_stack: false
    .vgpr_count:     218
    .vgpr_spill_count: 0
    .wavefront_size: 32
    .workgroup_processor_mode: 1
  - .args:
      - .actual_access:  read_only
        .address_space:  global
        .offset:         0
        .size:           8
        .value_kind:     global_buffer
      - .actual_access:  read_only
        .address_space:  global
        .offset:         8
        .size:           8
        .value_kind:     global_buffer
      - .actual_access:  read_only
        .address_space:  global
        .offset:         16
        .size:           8
        .value_kind:     global_buffer
      - .offset:         24
        .size:           4
        .value_kind:     by_value
      - .offset:         28
        .size:           4
        .value_kind:     by_value
      - .actual_access:  read_only
        .address_space:  global
        .offset:         32
        .size:           8
        .value_kind:     global_buffer
      - .actual_access:  read_only
        .address_space:  global
        .offset:         40
        .size:           8
        .value_kind:     global_buffer
      - .actual_access:  read_only
        .address_space:  global
        .offset:         48
        .size:           8
        .value_kind:     global_buffer
      - .offset:         56
        .size:           4
        .value_kind:     by_value
      - .actual_access:  read_only
        .address_space:  global
        .offset:         64
        .size:           8
        .value_kind:     global_buffer
      - .offset:         72
        .size:           4
        .value_kind:     by_value
      - .offset:         76
        .size:           4
        .value_kind:     by_value
      - .offset:         80
        .size:           4
        .value_kind:     by_value
      - .actual_access:  write_only
        .address_space:  global
        .offset:         88
        .size:           8
        .value_kind:     global_buffer
      - .actual_access:  write_only
        .address_space:  global
        .offset:         96
        .size:           8
        .value_kind:     global_buffer
      - .actual_access:  write_only
        .address_space:  global
        .offset:         104
        .size:           8
        .value_kind:     global_buffer
      - .actual_access:  read_only
        .address_space:  global
        .offset:         112
        .size:           8
        .value_kind:     global_buffer
      - .offset:         120
        .size:           4
        .value_kind:     by_value
      - .address_space:  global
        .offset:         128
        .size:           8
        .value_kind:     global_buffer
      - .address_space:  global
        .offset:         136
        .size:           8
        .value_kind:     global_buffer
      - .offset:         144
        .size:           4
        .value_kind:     hidden_block_count_x
      - .offset:         148
        .size:           4
        .value_kind:     hidden_block_count_y
      - .offset:         152
        .size:           4
        .value_kind:     hidden_block_count_z
      - .offset:         156
        .size:           2
        .value_kind:     hidden_group_size_x
      - .offset:         158
        .size:           2
        .value_kind:     hidden_group_size_y
      - .offset:         160
        .size:           2
        .value_kind:     hidden_group_size_z
      - .offset:         162
        .size:           2
        .value_kind:     hidden_remainder_x
      - .offset:         164
        .size:           2
        .value_kind:     hidden_remainder_y
      - .offset:         166
        .size:           2
        .value_kind:     hidden_remainder_z
      - .offset:         184
        .size:           8
        .value_kind:     hidden_global_offset_x
      - .offset:         192
        .size:           8
        .value_kind:     hidden_global_offset_y
      - .offset:         200
        .size:           8
        .value_kind:     hidden_global_offset_z
      - .offset:         208
        .size:           2
        .value_kind:     hidden_grid_dims
    .group_segment_fixed_size: 17472
    .kernarg_segment_align: 8
    .kernarg_segment_size: 400
    .language:       OpenCL C
    .language_version:
      - 2
      - 0
    .max_flat_workgroup_size: 256
    .name:           _Z39paged_attention_ll4mi_QKV_mfma16_kernelIDF16_DF16_LN4vllm18Fp8KVCacheDataTypeE0EDF16_Li16ELi128ELi256ELb0ELi9EL8MFMAType0EEvPKT_PKT0_S8_ifPKiSA_SA_iPKfiiiPfSD_PS3_PT2_iSC_SC_
    .private_segment_fixed_size: 0
    .sgpr_count:     54
    .sgpr_spill_count: 0
    .symbol:         _Z39paged_attention_ll4mi_QKV_mfma16_kernelIDF16_DF16_LN4vllm18Fp8KVCacheDataTypeE0EDF16_Li16ELi128ELi256ELb0ELi9EL8MFMAType0EEvPKT_PKT0_S8_ifPKiSA_SA_iPKfiiiPfSD_PS3_PT2_iSC_SC_.kd
    .uniform_work_group_size: 1
    .uses_dynamic_stack: false
    .vgpr_count:     218
    .vgpr_spill_count: 0
    .wavefront_size: 32
    .workgroup_processor_mode: 1
  - .args:
      - .actual_access:  read_only
        .address_space:  global
        .offset:         0
        .size:           8
        .value_kind:     global_buffer
      - .actual_access:  read_only
        .address_space:  global
        .offset:         8
        .size:           8
        .value_kind:     global_buffer
      - .actual_access:  read_only
        .address_space:  global
        .offset:         16
        .size:           8
        .value_kind:     global_buffer
      - .offset:         24
        .size:           4
        .value_kind:     by_value
      - .offset:         28
        .size:           4
        .value_kind:     by_value
      - .actual_access:  read_only
        .address_space:  global
        .offset:         32
        .size:           8
        .value_kind:     global_buffer
      - .actual_access:  read_only
        .address_space:  global
        .offset:         40
        .size:           8
        .value_kind:     global_buffer
      - .actual_access:  read_only
        .address_space:  global
        .offset:         48
        .size:           8
        .value_kind:     global_buffer
      - .offset:         56
        .size:           4
        .value_kind:     by_value
      - .actual_access:  read_only
        .address_space:  global
        .offset:         64
        .size:           8
        .value_kind:     global_buffer
      - .offset:         72
        .size:           4
        .value_kind:     by_value
      - .offset:         76
        .size:           4
        .value_kind:     by_value
      - .offset:         80
        .size:           4
        .value_kind:     by_value
      - .actual_access:  write_only
        .address_space:  global
        .offset:         88
        .size:           8
        .value_kind:     global_buffer
      - .actual_access:  write_only
        .address_space:  global
        .offset:         96
        .size:           8
        .value_kind:     global_buffer
      - .actual_access:  write_only
        .address_space:  global
        .offset:         104
        .size:           8
        .value_kind:     global_buffer
      - .actual_access:  read_only
        .address_space:  global
        .offset:         112
        .size:           8
        .value_kind:     global_buffer
      - .offset:         120
        .size:           4
        .value_kind:     by_value
      - .address_space:  global
        .offset:         128
        .size:           8
        .value_kind:     global_buffer
      - .address_space:  global
        .offset:         136
        .size:           8
        .value_kind:     global_buffer
      - .offset:         144
        .size:           4
        .value_kind:     hidden_block_count_x
      - .offset:         148
        .size:           4
        .value_kind:     hidden_block_count_y
      - .offset:         152
        .size:           4
        .value_kind:     hidden_block_count_z
      - .offset:         156
        .size:           2
        .value_kind:     hidden_group_size_x
      - .offset:         158
        .size:           2
        .value_kind:     hidden_group_size_y
      - .offset:         160
        .size:           2
        .value_kind:     hidden_group_size_z
      - .offset:         162
        .size:           2
        .value_kind:     hidden_remainder_x
      - .offset:         164
        .size:           2
        .value_kind:     hidden_remainder_y
      - .offset:         166
        .size:           2
        .value_kind:     hidden_remainder_z
      - .offset:         184
        .size:           8
        .value_kind:     hidden_global_offset_x
      - .offset:         192
        .size:           8
        .value_kind:     hidden_global_offset_y
      - .offset:         200
        .size:           8
        .value_kind:     hidden_global_offset_z
      - .offset:         208
        .size:           2
        .value_kind:     hidden_grid_dims
    .group_segment_fixed_size: 17472
    .kernarg_segment_align: 8
    .kernarg_segment_size: 400
    .language:       OpenCL C
    .language_version:
      - 2
      - 0
    .max_flat_workgroup_size: 256
    .name:           _Z39paged_attention_ll4mi_QKV_mfma16_kernelIDF16_DF16_LN4vllm18Fp8KVCacheDataTypeE0EDF16_Li16ELi128ELi256ELb0ELi10EL8MFMAType0EEvPKT_PKT0_S8_ifPKiSA_SA_iPKfiiiPfSD_PS3_PT2_iSC_SC_
    .private_segment_fixed_size: 0
    .sgpr_count:     54
    .sgpr_spill_count: 0
    .symbol:         _Z39paged_attention_ll4mi_QKV_mfma16_kernelIDF16_DF16_LN4vllm18Fp8KVCacheDataTypeE0EDF16_Li16ELi128ELi256ELb0ELi10EL8MFMAType0EEvPKT_PKT0_S8_ifPKiSA_SA_iPKfiiiPfSD_PS3_PT2_iSC_SC_.kd
    .uniform_work_group_size: 1
    .uses_dynamic_stack: false
    .vgpr_count:     218
    .vgpr_spill_count: 0
    .wavefront_size: 32
    .workgroup_processor_mode: 1
  - .args:
      - .actual_access:  read_only
        .address_space:  global
        .offset:         0
        .size:           8
        .value_kind:     global_buffer
      - .actual_access:  read_only
        .address_space:  global
        .offset:         8
        .size:           8
        .value_kind:     global_buffer
      - .actual_access:  read_only
        .address_space:  global
        .offset:         16
        .size:           8
        .value_kind:     global_buffer
      - .offset:         24
        .size:           4
        .value_kind:     by_value
      - .offset:         28
        .size:           4
        .value_kind:     by_value
      - .actual_access:  read_only
        .address_space:  global
        .offset:         32
        .size:           8
        .value_kind:     global_buffer
      - .actual_access:  read_only
        .address_space:  global
        .offset:         40
        .size:           8
        .value_kind:     global_buffer
      - .actual_access:  read_only
        .address_space:  global
        .offset:         48
        .size:           8
        .value_kind:     global_buffer
      - .offset:         56
        .size:           4
        .value_kind:     by_value
      - .actual_access:  read_only
        .address_space:  global
        .offset:         64
        .size:           8
        .value_kind:     global_buffer
      - .offset:         72
        .size:           4
        .value_kind:     by_value
      - .offset:         76
        .size:           4
        .value_kind:     by_value
      - .offset:         80
        .size:           4
        .value_kind:     by_value
      - .actual_access:  write_only
        .address_space:  global
        .offset:         88
        .size:           8
        .value_kind:     global_buffer
      - .actual_access:  write_only
        .address_space:  global
        .offset:         96
        .size:           8
        .value_kind:     global_buffer
      - .actual_access:  write_only
        .address_space:  global
        .offset:         104
        .size:           8
        .value_kind:     global_buffer
      - .actual_access:  read_only
        .address_space:  global
        .offset:         112
        .size:           8
        .value_kind:     global_buffer
      - .offset:         120
        .size:           4
        .value_kind:     by_value
      - .address_space:  global
        .offset:         128
        .size:           8
        .value_kind:     global_buffer
      - .address_space:  global
        .offset:         136
        .size:           8
        .value_kind:     global_buffer
      - .offset:         144
        .size:           4
        .value_kind:     hidden_block_count_x
      - .offset:         148
        .size:           4
        .value_kind:     hidden_block_count_y
      - .offset:         152
        .size:           4
        .value_kind:     hidden_block_count_z
      - .offset:         156
        .size:           2
        .value_kind:     hidden_group_size_x
      - .offset:         158
        .size:           2
        .value_kind:     hidden_group_size_y
      - .offset:         160
        .size:           2
        .value_kind:     hidden_group_size_z
      - .offset:         162
        .size:           2
        .value_kind:     hidden_remainder_x
      - .offset:         164
        .size:           2
        .value_kind:     hidden_remainder_y
      - .offset:         166
        .size:           2
        .value_kind:     hidden_remainder_z
      - .offset:         184
        .size:           8
        .value_kind:     hidden_global_offset_x
      - .offset:         192
        .size:           8
        .value_kind:     hidden_global_offset_y
      - .offset:         200
        .size:           8
        .value_kind:     hidden_global_offset_z
      - .offset:         208
        .size:           2
        .value_kind:     hidden_grid_dims
    .group_segment_fixed_size: 17472
    .kernarg_segment_align: 8
    .kernarg_segment_size: 400
    .language:       OpenCL C
    .language_version:
      - 2
      - 0
    .max_flat_workgroup_size: 256
    .name:           _Z39paged_attention_ll4mi_QKV_mfma16_kernelIDF16_DF16_LN4vllm18Fp8KVCacheDataTypeE0EDF16_Li16ELi128ELi256ELb0ELi11EL8MFMAType0EEvPKT_PKT0_S8_ifPKiSA_SA_iPKfiiiPfSD_PS3_PT2_iSC_SC_
    .private_segment_fixed_size: 0
    .sgpr_count:     54
    .sgpr_spill_count: 0
    .symbol:         _Z39paged_attention_ll4mi_QKV_mfma16_kernelIDF16_DF16_LN4vllm18Fp8KVCacheDataTypeE0EDF16_Li16ELi128ELi256ELb0ELi11EL8MFMAType0EEvPKT_PKT0_S8_ifPKiSA_SA_iPKfiiiPfSD_PS3_PT2_iSC_SC_.kd
    .uniform_work_group_size: 1
    .uses_dynamic_stack: false
    .vgpr_count:     218
    .vgpr_spill_count: 0
    .wavefront_size: 32
    .workgroup_processor_mode: 1
  - .args:
      - .actual_access:  read_only
        .address_space:  global
        .offset:         0
        .size:           8
        .value_kind:     global_buffer
      - .actual_access:  read_only
        .address_space:  global
        .offset:         8
        .size:           8
        .value_kind:     global_buffer
      - .actual_access:  read_only
        .address_space:  global
        .offset:         16
        .size:           8
        .value_kind:     global_buffer
      - .offset:         24
        .size:           4
        .value_kind:     by_value
      - .offset:         28
        .size:           4
        .value_kind:     by_value
      - .actual_access:  read_only
        .address_space:  global
        .offset:         32
        .size:           8
        .value_kind:     global_buffer
      - .actual_access:  read_only
        .address_space:  global
        .offset:         40
        .size:           8
        .value_kind:     global_buffer
      - .actual_access:  read_only
        .address_space:  global
        .offset:         48
        .size:           8
        .value_kind:     global_buffer
      - .offset:         56
        .size:           4
        .value_kind:     by_value
      - .actual_access:  read_only
        .address_space:  global
        .offset:         64
        .size:           8
        .value_kind:     global_buffer
      - .offset:         72
        .size:           4
        .value_kind:     by_value
      - .offset:         76
        .size:           4
        .value_kind:     by_value
      - .offset:         80
        .size:           4
        .value_kind:     by_value
      - .actual_access:  write_only
        .address_space:  global
        .offset:         88
        .size:           8
        .value_kind:     global_buffer
      - .actual_access:  write_only
        .address_space:  global
        .offset:         96
        .size:           8
        .value_kind:     global_buffer
      - .actual_access:  write_only
        .address_space:  global
        .offset:         104
        .size:           8
        .value_kind:     global_buffer
      - .actual_access:  read_only
        .address_space:  global
        .offset:         112
        .size:           8
        .value_kind:     global_buffer
      - .offset:         120
        .size:           4
        .value_kind:     by_value
      - .address_space:  global
        .offset:         128
        .size:           8
        .value_kind:     global_buffer
      - .address_space:  global
        .offset:         136
        .size:           8
        .value_kind:     global_buffer
      - .offset:         144
        .size:           4
        .value_kind:     hidden_block_count_x
      - .offset:         148
        .size:           4
        .value_kind:     hidden_block_count_y
      - .offset:         152
        .size:           4
        .value_kind:     hidden_block_count_z
      - .offset:         156
        .size:           2
        .value_kind:     hidden_group_size_x
      - .offset:         158
        .size:           2
        .value_kind:     hidden_group_size_y
      - .offset:         160
        .size:           2
        .value_kind:     hidden_group_size_z
      - .offset:         162
        .size:           2
        .value_kind:     hidden_remainder_x
      - .offset:         164
        .size:           2
        .value_kind:     hidden_remainder_y
      - .offset:         166
        .size:           2
        .value_kind:     hidden_remainder_z
      - .offset:         184
        .size:           8
        .value_kind:     hidden_global_offset_x
      - .offset:         192
        .size:           8
        .value_kind:     hidden_global_offset_y
      - .offset:         200
        .size:           8
        .value_kind:     hidden_global_offset_z
      - .offset:         208
        .size:           2
        .value_kind:     hidden_grid_dims
    .group_segment_fixed_size: 17472
    .kernarg_segment_align: 8
    .kernarg_segment_size: 400
    .language:       OpenCL C
    .language_version:
      - 2
      - 0
    .max_flat_workgroup_size: 256
    .name:           _Z39paged_attention_ll4mi_QKV_mfma16_kernelIDF16_DF16_LN4vllm18Fp8KVCacheDataTypeE0EDF16_Li16ELi128ELi256ELb0ELi12EL8MFMAType0EEvPKT_PKT0_S8_ifPKiSA_SA_iPKfiiiPfSD_PS3_PT2_iSC_SC_
    .private_segment_fixed_size: 0
    .sgpr_count:     54
    .sgpr_spill_count: 0
    .symbol:         _Z39paged_attention_ll4mi_QKV_mfma16_kernelIDF16_DF16_LN4vllm18Fp8KVCacheDataTypeE0EDF16_Li16ELi128ELi256ELb0ELi12EL8MFMAType0EEvPKT_PKT0_S8_ifPKiSA_SA_iPKfiiiPfSD_PS3_PT2_iSC_SC_.kd
    .uniform_work_group_size: 1
    .uses_dynamic_stack: false
    .vgpr_count:     218
    .vgpr_spill_count: 0
    .wavefront_size: 32
    .workgroup_processor_mode: 1
  - .args:
      - .actual_access:  read_only
        .address_space:  global
        .offset:         0
        .size:           8
        .value_kind:     global_buffer
      - .actual_access:  read_only
        .address_space:  global
        .offset:         8
        .size:           8
        .value_kind:     global_buffer
      - .actual_access:  read_only
        .address_space:  global
        .offset:         16
        .size:           8
        .value_kind:     global_buffer
      - .offset:         24
        .size:           4
        .value_kind:     by_value
      - .offset:         28
        .size:           4
        .value_kind:     by_value
      - .actual_access:  read_only
        .address_space:  global
        .offset:         32
        .size:           8
        .value_kind:     global_buffer
      - .actual_access:  read_only
        .address_space:  global
        .offset:         40
        .size:           8
        .value_kind:     global_buffer
      - .actual_access:  read_only
        .address_space:  global
        .offset:         48
        .size:           8
        .value_kind:     global_buffer
      - .offset:         56
        .size:           4
        .value_kind:     by_value
      - .actual_access:  read_only
        .address_space:  global
        .offset:         64
        .size:           8
        .value_kind:     global_buffer
      - .offset:         72
        .size:           4
        .value_kind:     by_value
      - .offset:         76
        .size:           4
        .value_kind:     by_value
      - .offset:         80
        .size:           4
        .value_kind:     by_value
      - .actual_access:  write_only
        .address_space:  global
        .offset:         88
        .size:           8
        .value_kind:     global_buffer
      - .actual_access:  write_only
        .address_space:  global
        .offset:         96
        .size:           8
        .value_kind:     global_buffer
      - .actual_access:  write_only
        .address_space:  global
        .offset:         104
        .size:           8
        .value_kind:     global_buffer
      - .actual_access:  read_only
        .address_space:  global
        .offset:         112
        .size:           8
        .value_kind:     global_buffer
      - .offset:         120
        .size:           4
        .value_kind:     by_value
      - .address_space:  global
        .offset:         128
        .size:           8
        .value_kind:     global_buffer
      - .address_space:  global
        .offset:         136
        .size:           8
        .value_kind:     global_buffer
      - .offset:         144
        .size:           4
        .value_kind:     hidden_block_count_x
      - .offset:         148
        .size:           4
        .value_kind:     hidden_block_count_y
      - .offset:         152
        .size:           4
        .value_kind:     hidden_block_count_z
      - .offset:         156
        .size:           2
        .value_kind:     hidden_group_size_x
      - .offset:         158
        .size:           2
        .value_kind:     hidden_group_size_y
      - .offset:         160
        .size:           2
        .value_kind:     hidden_group_size_z
      - .offset:         162
        .size:           2
        .value_kind:     hidden_remainder_x
      - .offset:         164
        .size:           2
        .value_kind:     hidden_remainder_y
      - .offset:         166
        .size:           2
        .value_kind:     hidden_remainder_z
      - .offset:         184
        .size:           8
        .value_kind:     hidden_global_offset_x
      - .offset:         192
        .size:           8
        .value_kind:     hidden_global_offset_y
      - .offset:         200
        .size:           8
        .value_kind:     hidden_global_offset_z
      - .offset:         208
        .size:           2
        .value_kind:     hidden_grid_dims
    .group_segment_fixed_size: 17472
    .kernarg_segment_align: 8
    .kernarg_segment_size: 400
    .language:       OpenCL C
    .language_version:
      - 2
      - 0
    .max_flat_workgroup_size: 256
    .name:           _Z39paged_attention_ll4mi_QKV_mfma16_kernelIDF16_DF16_LN4vllm18Fp8KVCacheDataTypeE0EDF16_Li16ELi128ELi256ELb0ELi13EL8MFMAType0EEvPKT_PKT0_S8_ifPKiSA_SA_iPKfiiiPfSD_PS3_PT2_iSC_SC_
    .private_segment_fixed_size: 0
    .sgpr_count:     54
    .sgpr_spill_count: 0
    .symbol:         _Z39paged_attention_ll4mi_QKV_mfma16_kernelIDF16_DF16_LN4vllm18Fp8KVCacheDataTypeE0EDF16_Li16ELi128ELi256ELb0ELi13EL8MFMAType0EEvPKT_PKT0_S8_ifPKiSA_SA_iPKfiiiPfSD_PS3_PT2_iSC_SC_.kd
    .uniform_work_group_size: 1
    .uses_dynamic_stack: false
    .vgpr_count:     218
    .vgpr_spill_count: 0
    .wavefront_size: 32
    .workgroup_processor_mode: 1
  - .args:
      - .actual_access:  read_only
        .address_space:  global
        .offset:         0
        .size:           8
        .value_kind:     global_buffer
      - .actual_access:  read_only
        .address_space:  global
        .offset:         8
        .size:           8
        .value_kind:     global_buffer
      - .actual_access:  read_only
        .address_space:  global
        .offset:         16
        .size:           8
        .value_kind:     global_buffer
      - .offset:         24
        .size:           4
        .value_kind:     by_value
      - .offset:         28
        .size:           4
        .value_kind:     by_value
      - .actual_access:  read_only
        .address_space:  global
        .offset:         32
        .size:           8
        .value_kind:     global_buffer
      - .actual_access:  read_only
        .address_space:  global
        .offset:         40
        .size:           8
        .value_kind:     global_buffer
      - .actual_access:  read_only
        .address_space:  global
        .offset:         48
        .size:           8
        .value_kind:     global_buffer
      - .offset:         56
        .size:           4
        .value_kind:     by_value
      - .actual_access:  read_only
        .address_space:  global
        .offset:         64
        .size:           8
        .value_kind:     global_buffer
      - .offset:         72
        .size:           4
        .value_kind:     by_value
      - .offset:         76
        .size:           4
        .value_kind:     by_value
      - .offset:         80
        .size:           4
        .value_kind:     by_value
      - .actual_access:  write_only
        .address_space:  global
        .offset:         88
        .size:           8
        .value_kind:     global_buffer
      - .actual_access:  write_only
        .address_space:  global
        .offset:         96
        .size:           8
        .value_kind:     global_buffer
      - .actual_access:  write_only
        .address_space:  global
        .offset:         104
        .size:           8
        .value_kind:     global_buffer
      - .actual_access:  read_only
        .address_space:  global
        .offset:         112
        .size:           8
        .value_kind:     global_buffer
      - .offset:         120
        .size:           4
        .value_kind:     by_value
      - .address_space:  global
        .offset:         128
        .size:           8
        .value_kind:     global_buffer
      - .address_space:  global
        .offset:         136
        .size:           8
        .value_kind:     global_buffer
      - .offset:         144
        .size:           4
        .value_kind:     hidden_block_count_x
      - .offset:         148
        .size:           4
        .value_kind:     hidden_block_count_y
      - .offset:         152
        .size:           4
        .value_kind:     hidden_block_count_z
      - .offset:         156
        .size:           2
        .value_kind:     hidden_group_size_x
      - .offset:         158
        .size:           2
        .value_kind:     hidden_group_size_y
      - .offset:         160
        .size:           2
        .value_kind:     hidden_group_size_z
      - .offset:         162
        .size:           2
        .value_kind:     hidden_remainder_x
      - .offset:         164
        .size:           2
        .value_kind:     hidden_remainder_y
      - .offset:         166
        .size:           2
        .value_kind:     hidden_remainder_z
      - .offset:         184
        .size:           8
        .value_kind:     hidden_global_offset_x
      - .offset:         192
        .size:           8
        .value_kind:     hidden_global_offset_y
      - .offset:         200
        .size:           8
        .value_kind:     hidden_global_offset_z
      - .offset:         208
        .size:           2
        .value_kind:     hidden_grid_dims
    .group_segment_fixed_size: 17472
    .kernarg_segment_align: 8
    .kernarg_segment_size: 400
    .language:       OpenCL C
    .language_version:
      - 2
      - 0
    .max_flat_workgroup_size: 256
    .name:           _Z39paged_attention_ll4mi_QKV_mfma16_kernelIDF16_DF16_LN4vllm18Fp8KVCacheDataTypeE0EDF16_Li16ELi128ELi256ELb0ELi14EL8MFMAType0EEvPKT_PKT0_S8_ifPKiSA_SA_iPKfiiiPfSD_PS3_PT2_iSC_SC_
    .private_segment_fixed_size: 0
    .sgpr_count:     54
    .sgpr_spill_count: 0
    .symbol:         _Z39paged_attention_ll4mi_QKV_mfma16_kernelIDF16_DF16_LN4vllm18Fp8KVCacheDataTypeE0EDF16_Li16ELi128ELi256ELb0ELi14EL8MFMAType0EEvPKT_PKT0_S8_ifPKiSA_SA_iPKfiiiPfSD_PS3_PT2_iSC_SC_.kd
    .uniform_work_group_size: 1
    .uses_dynamic_stack: false
    .vgpr_count:     218
    .vgpr_spill_count: 0
    .wavefront_size: 32
    .workgroup_processor_mode: 1
  - .args:
      - .actual_access:  read_only
        .address_space:  global
        .offset:         0
        .size:           8
        .value_kind:     global_buffer
      - .actual_access:  read_only
        .address_space:  global
        .offset:         8
        .size:           8
        .value_kind:     global_buffer
      - .actual_access:  read_only
        .address_space:  global
        .offset:         16
        .size:           8
        .value_kind:     global_buffer
      - .offset:         24
        .size:           4
        .value_kind:     by_value
      - .offset:         28
        .size:           4
        .value_kind:     by_value
      - .actual_access:  read_only
        .address_space:  global
        .offset:         32
        .size:           8
        .value_kind:     global_buffer
      - .actual_access:  read_only
        .address_space:  global
        .offset:         40
        .size:           8
        .value_kind:     global_buffer
      - .actual_access:  read_only
        .address_space:  global
        .offset:         48
        .size:           8
        .value_kind:     global_buffer
      - .offset:         56
        .size:           4
        .value_kind:     by_value
      - .actual_access:  read_only
        .address_space:  global
        .offset:         64
        .size:           8
        .value_kind:     global_buffer
      - .offset:         72
        .size:           4
        .value_kind:     by_value
      - .offset:         76
        .size:           4
        .value_kind:     by_value
      - .offset:         80
        .size:           4
        .value_kind:     by_value
      - .actual_access:  write_only
        .address_space:  global
        .offset:         88
        .size:           8
        .value_kind:     global_buffer
      - .actual_access:  write_only
        .address_space:  global
        .offset:         96
        .size:           8
        .value_kind:     global_buffer
      - .actual_access:  write_only
        .address_space:  global
        .offset:         104
        .size:           8
        .value_kind:     global_buffer
      - .actual_access:  read_only
        .address_space:  global
        .offset:         112
        .size:           8
        .value_kind:     global_buffer
      - .offset:         120
        .size:           4
        .value_kind:     by_value
      - .address_space:  global
        .offset:         128
        .size:           8
        .value_kind:     global_buffer
      - .address_space:  global
        .offset:         136
        .size:           8
        .value_kind:     global_buffer
      - .offset:         144
        .size:           4
        .value_kind:     hidden_block_count_x
      - .offset:         148
        .size:           4
        .value_kind:     hidden_block_count_y
      - .offset:         152
        .size:           4
        .value_kind:     hidden_block_count_z
      - .offset:         156
        .size:           2
        .value_kind:     hidden_group_size_x
      - .offset:         158
        .size:           2
        .value_kind:     hidden_group_size_y
      - .offset:         160
        .size:           2
        .value_kind:     hidden_group_size_z
      - .offset:         162
        .size:           2
        .value_kind:     hidden_remainder_x
      - .offset:         164
        .size:           2
        .value_kind:     hidden_remainder_y
      - .offset:         166
        .size:           2
        .value_kind:     hidden_remainder_z
      - .offset:         184
        .size:           8
        .value_kind:     hidden_global_offset_x
      - .offset:         192
        .size:           8
        .value_kind:     hidden_global_offset_y
      - .offset:         200
        .size:           8
        .value_kind:     hidden_global_offset_z
      - .offset:         208
        .size:           2
        .value_kind:     hidden_grid_dims
    .group_segment_fixed_size: 17472
    .kernarg_segment_align: 8
    .kernarg_segment_size: 400
    .language:       OpenCL C
    .language_version:
      - 2
      - 0
    .max_flat_workgroup_size: 256
    .name:           _Z39paged_attention_ll4mi_QKV_mfma16_kernelIDF16_DF16_LN4vllm18Fp8KVCacheDataTypeE0EDF16_Li16ELi128ELi256ELb0ELi15EL8MFMAType0EEvPKT_PKT0_S8_ifPKiSA_SA_iPKfiiiPfSD_PS3_PT2_iSC_SC_
    .private_segment_fixed_size: 0
    .sgpr_count:     54
    .sgpr_spill_count: 0
    .symbol:         _Z39paged_attention_ll4mi_QKV_mfma16_kernelIDF16_DF16_LN4vllm18Fp8KVCacheDataTypeE0EDF16_Li16ELi128ELi256ELb0ELi15EL8MFMAType0EEvPKT_PKT0_S8_ifPKiSA_SA_iPKfiiiPfSD_PS3_PT2_iSC_SC_.kd
    .uniform_work_group_size: 1
    .uses_dynamic_stack: false
    .vgpr_count:     218
    .vgpr_spill_count: 0
    .wavefront_size: 32
    .workgroup_processor_mode: 1
  - .args:
      - .actual_access:  read_only
        .address_space:  global
        .offset:         0
        .size:           8
        .value_kind:     global_buffer
      - .actual_access:  read_only
        .address_space:  global
        .offset:         8
        .size:           8
        .value_kind:     global_buffer
      - .actual_access:  read_only
        .address_space:  global
        .offset:         16
        .size:           8
        .value_kind:     global_buffer
      - .offset:         24
        .size:           4
        .value_kind:     by_value
      - .offset:         28
        .size:           4
        .value_kind:     by_value
      - .actual_access:  read_only
        .address_space:  global
        .offset:         32
        .size:           8
        .value_kind:     global_buffer
      - .actual_access:  read_only
        .address_space:  global
        .offset:         40
        .size:           8
        .value_kind:     global_buffer
      - .actual_access:  read_only
        .address_space:  global
        .offset:         48
        .size:           8
        .value_kind:     global_buffer
      - .offset:         56
        .size:           4
        .value_kind:     by_value
      - .actual_access:  read_only
        .address_space:  global
        .offset:         64
        .size:           8
        .value_kind:     global_buffer
      - .offset:         72
        .size:           4
        .value_kind:     by_value
      - .offset:         76
        .size:           4
        .value_kind:     by_value
      - .offset:         80
        .size:           4
        .value_kind:     by_value
      - .actual_access:  write_only
        .address_space:  global
        .offset:         88
        .size:           8
        .value_kind:     global_buffer
      - .actual_access:  write_only
        .address_space:  global
        .offset:         96
        .size:           8
        .value_kind:     global_buffer
      - .actual_access:  write_only
        .address_space:  global
        .offset:         104
        .size:           8
        .value_kind:     global_buffer
      - .actual_access:  read_only
        .address_space:  global
        .offset:         112
        .size:           8
        .value_kind:     global_buffer
      - .offset:         120
        .size:           4
        .value_kind:     by_value
      - .address_space:  global
        .offset:         128
        .size:           8
        .value_kind:     global_buffer
      - .address_space:  global
        .offset:         136
        .size:           8
        .value_kind:     global_buffer
      - .offset:         144
        .size:           4
        .value_kind:     hidden_block_count_x
      - .offset:         148
        .size:           4
        .value_kind:     hidden_block_count_y
      - .offset:         152
        .size:           4
        .value_kind:     hidden_block_count_z
      - .offset:         156
        .size:           2
        .value_kind:     hidden_group_size_x
      - .offset:         158
        .size:           2
        .value_kind:     hidden_group_size_y
      - .offset:         160
        .size:           2
        .value_kind:     hidden_group_size_z
      - .offset:         162
        .size:           2
        .value_kind:     hidden_remainder_x
      - .offset:         164
        .size:           2
        .value_kind:     hidden_remainder_y
      - .offset:         166
        .size:           2
        .value_kind:     hidden_remainder_z
      - .offset:         184
        .size:           8
        .value_kind:     hidden_global_offset_x
      - .offset:         192
        .size:           8
        .value_kind:     hidden_global_offset_y
      - .offset:         200
        .size:           8
        .value_kind:     hidden_global_offset_z
      - .offset:         208
        .size:           2
        .value_kind:     hidden_grid_dims
    .group_segment_fixed_size: 17472
    .kernarg_segment_align: 8
    .kernarg_segment_size: 400
    .language:       OpenCL C
    .language_version:
      - 2
      - 0
    .max_flat_workgroup_size: 256
    .name:           _Z39paged_attention_ll4mi_QKV_mfma16_kernelIDF16_DF16_LN4vllm18Fp8KVCacheDataTypeE0EDF16_Li16ELi128ELi256ELb0ELi16EL8MFMAType0EEvPKT_PKT0_S8_ifPKiSA_SA_iPKfiiiPfSD_PS3_PT2_iSC_SC_
    .private_segment_fixed_size: 0
    .sgpr_count:     54
    .sgpr_spill_count: 0
    .symbol:         _Z39paged_attention_ll4mi_QKV_mfma16_kernelIDF16_DF16_LN4vllm18Fp8KVCacheDataTypeE0EDF16_Li16ELi128ELi256ELb0ELi16EL8MFMAType0EEvPKT_PKT0_S8_ifPKiSA_SA_iPKfiiiPfSD_PS3_PT2_iSC_SC_.kd
    .uniform_work_group_size: 1
    .uses_dynamic_stack: false
    .vgpr_count:     218
    .vgpr_spill_count: 0
    .wavefront_size: 32
    .workgroup_processor_mode: 1
  - .args:
      - .actual_access:  read_only
        .address_space:  global
        .offset:         0
        .size:           8
        .value_kind:     global_buffer
      - .actual_access:  read_only
        .address_space:  global
        .offset:         8
        .size:           8
        .value_kind:     global_buffer
      - .actual_access:  read_only
        .address_space:  global
        .offset:         16
        .size:           8
        .value_kind:     global_buffer
      - .offset:         24
        .size:           4
        .value_kind:     by_value
      - .offset:         28
        .size:           4
        .value_kind:     by_value
      - .actual_access:  read_only
        .address_space:  global
        .offset:         32
        .size:           8
        .value_kind:     global_buffer
      - .actual_access:  read_only
        .address_space:  global
        .offset:         40
        .size:           8
        .value_kind:     global_buffer
      - .actual_access:  read_only
        .address_space:  global
        .offset:         48
        .size:           8
        .value_kind:     global_buffer
      - .offset:         56
        .size:           4
        .value_kind:     by_value
      - .actual_access:  read_only
        .address_space:  global
        .offset:         64
        .size:           8
        .value_kind:     global_buffer
      - .offset:         72
        .size:           4
        .value_kind:     by_value
      - .offset:         76
        .size:           4
        .value_kind:     by_value
      - .offset:         80
        .size:           4
        .value_kind:     by_value
      - .actual_access:  write_only
        .address_space:  global
        .offset:         88
        .size:           8
        .value_kind:     global_buffer
      - .actual_access:  write_only
        .address_space:  global
        .offset:         96
        .size:           8
        .value_kind:     global_buffer
      - .actual_access:  write_only
        .address_space:  global
        .offset:         104
        .size:           8
        .value_kind:     global_buffer
      - .actual_access:  read_only
        .address_space:  global
        .offset:         112
        .size:           8
        .value_kind:     global_buffer
      - .offset:         120
        .size:           4
        .value_kind:     by_value
      - .address_space:  global
        .offset:         128
        .size:           8
        .value_kind:     global_buffer
      - .address_space:  global
        .offset:         136
        .size:           8
        .value_kind:     global_buffer
      - .offset:         144
        .size:           4
        .value_kind:     hidden_block_count_x
      - .offset:         148
        .size:           4
        .value_kind:     hidden_block_count_y
      - .offset:         152
        .size:           4
        .value_kind:     hidden_block_count_z
      - .offset:         156
        .size:           2
        .value_kind:     hidden_group_size_x
      - .offset:         158
        .size:           2
        .value_kind:     hidden_group_size_y
      - .offset:         160
        .size:           2
        .value_kind:     hidden_group_size_z
      - .offset:         162
        .size:           2
        .value_kind:     hidden_remainder_x
      - .offset:         164
        .size:           2
        .value_kind:     hidden_remainder_y
      - .offset:         166
        .size:           2
        .value_kind:     hidden_remainder_z
      - .offset:         184
        .size:           8
        .value_kind:     hidden_global_offset_x
      - .offset:         192
        .size:           8
        .value_kind:     hidden_global_offset_y
      - .offset:         200
        .size:           8
        .value_kind:     hidden_global_offset_z
      - .offset:         208
        .size:           2
        .value_kind:     hidden_grid_dims
    .group_segment_fixed_size: 17472
    .kernarg_segment_align: 8
    .kernarg_segment_size: 400
    .language:       OpenCL C
    .language_version:
      - 2
      - 0
    .max_flat_workgroup_size: 256
    .name:           _Z39paged_attention_ll4mi_QKV_mfma16_kernelIDF16_DF16_LN4vllm18Fp8KVCacheDataTypeE0EDF16_Li16ELi128ELi256ELb0ELi1EL8MFMAType0EEvPKT_PKT0_S8_ifPKiSA_SA_iPKfiiiPfSD_PS3_PT2_iSC_SC_
    .private_segment_fixed_size: 0
    .sgpr_count:     100
    .sgpr_spill_count: 0
    .symbol:         _Z39paged_attention_ll4mi_QKV_mfma16_kernelIDF16_DF16_LN4vllm18Fp8KVCacheDataTypeE0EDF16_Li16ELi128ELi256ELb0ELi1EL8MFMAType0EEvPKT_PKT0_S8_ifPKiSA_SA_iPKfiiiPfSD_PS3_PT2_iSC_SC_.kd
    .uniform_work_group_size: 1
    .uses_dynamic_stack: false
    .vgpr_count:     227
    .vgpr_spill_count: 0
    .wavefront_size: 32
    .workgroup_processor_mode: 1
  - .args:
      - .actual_access:  read_only
        .address_space:  global
        .offset:         0
        .size:           8
        .value_kind:     global_buffer
      - .actual_access:  read_only
        .address_space:  global
        .offset:         8
        .size:           8
        .value_kind:     global_buffer
      - .actual_access:  read_only
        .address_space:  global
        .offset:         16
        .size:           8
        .value_kind:     global_buffer
      - .offset:         24
        .size:           4
        .value_kind:     by_value
      - .offset:         28
        .size:           4
        .value_kind:     by_value
      - .actual_access:  read_only
        .address_space:  global
        .offset:         32
        .size:           8
        .value_kind:     global_buffer
      - .actual_access:  read_only
        .address_space:  global
        .offset:         40
        .size:           8
        .value_kind:     global_buffer
      - .actual_access:  read_only
        .address_space:  global
        .offset:         48
        .size:           8
        .value_kind:     global_buffer
      - .offset:         56
        .size:           4
        .value_kind:     by_value
      - .actual_access:  read_only
        .address_space:  global
        .offset:         64
        .size:           8
        .value_kind:     global_buffer
      - .offset:         72
        .size:           4
        .value_kind:     by_value
      - .offset:         76
        .size:           4
        .value_kind:     by_value
      - .offset:         80
        .size:           4
        .value_kind:     by_value
      - .actual_access:  write_only
        .address_space:  global
        .offset:         88
        .size:           8
        .value_kind:     global_buffer
      - .actual_access:  write_only
        .address_space:  global
        .offset:         96
        .size:           8
        .value_kind:     global_buffer
      - .actual_access:  write_only
        .address_space:  global
        .offset:         104
        .size:           8
        .value_kind:     global_buffer
      - .actual_access:  read_only
        .address_space:  global
        .offset:         112
        .size:           8
        .value_kind:     global_buffer
      - .offset:         120
        .size:           4
        .value_kind:     by_value
      - .address_space:  global
        .offset:         128
        .size:           8
        .value_kind:     global_buffer
      - .address_space:  global
        .offset:         136
        .size:           8
        .value_kind:     global_buffer
      - .offset:         144
        .size:           4
        .value_kind:     hidden_block_count_x
      - .offset:         148
        .size:           4
        .value_kind:     hidden_block_count_y
      - .offset:         152
        .size:           4
        .value_kind:     hidden_block_count_z
      - .offset:         156
        .size:           2
        .value_kind:     hidden_group_size_x
      - .offset:         158
        .size:           2
        .value_kind:     hidden_group_size_y
      - .offset:         160
        .size:           2
        .value_kind:     hidden_group_size_z
      - .offset:         162
        .size:           2
        .value_kind:     hidden_remainder_x
      - .offset:         164
        .size:           2
        .value_kind:     hidden_remainder_y
      - .offset:         166
        .size:           2
        .value_kind:     hidden_remainder_z
      - .offset:         184
        .size:           8
        .value_kind:     hidden_global_offset_x
      - .offset:         192
        .size:           8
        .value_kind:     hidden_global_offset_y
      - .offset:         200
        .size:           8
        .value_kind:     hidden_global_offset_z
      - .offset:         208
        .size:           2
        .value_kind:     hidden_grid_dims
    .group_segment_fixed_size: 17472
    .kernarg_segment_align: 8
    .kernarg_segment_size: 400
    .language:       OpenCL C
    .language_version:
      - 2
      - 0
    .max_flat_workgroup_size: 256
    .name:           _Z39paged_attention_ll4mi_QKV_mfma16_kernelIDF16_DF16_LN4vllm18Fp8KVCacheDataTypeE0EDF16_Li16ELi128ELi256ELb0ELi2EL8MFMAType0EEvPKT_PKT0_S8_ifPKiSA_SA_iPKfiiiPfSD_PS3_PT2_iSC_SC_
    .private_segment_fixed_size: 0
    .sgpr_count:     54
    .sgpr_spill_count: 0
    .symbol:         _Z39paged_attention_ll4mi_QKV_mfma16_kernelIDF16_DF16_LN4vllm18Fp8KVCacheDataTypeE0EDF16_Li16ELi128ELi256ELb0ELi2EL8MFMAType0EEvPKT_PKT0_S8_ifPKiSA_SA_iPKfiiiPfSD_PS3_PT2_iSC_SC_.kd
    .uniform_work_group_size: 1
    .uses_dynamic_stack: false
    .vgpr_count:     230
    .vgpr_spill_count: 0
    .wavefront_size: 32
    .workgroup_processor_mode: 1
  - .args:
      - .actual_access:  read_only
        .address_space:  global
        .offset:         0
        .size:           8
        .value_kind:     global_buffer
      - .actual_access:  read_only
        .address_space:  global
        .offset:         8
        .size:           8
        .value_kind:     global_buffer
      - .actual_access:  read_only
        .address_space:  global
        .offset:         16
        .size:           8
        .value_kind:     global_buffer
      - .offset:         24
        .size:           4
        .value_kind:     by_value
      - .offset:         28
        .size:           4
        .value_kind:     by_value
      - .actual_access:  read_only
        .address_space:  global
        .offset:         32
        .size:           8
        .value_kind:     global_buffer
      - .actual_access:  read_only
        .address_space:  global
        .offset:         40
        .size:           8
        .value_kind:     global_buffer
      - .actual_access:  read_only
        .address_space:  global
        .offset:         48
        .size:           8
        .value_kind:     global_buffer
      - .offset:         56
        .size:           4
        .value_kind:     by_value
      - .actual_access:  read_only
        .address_space:  global
        .offset:         64
        .size:           8
        .value_kind:     global_buffer
      - .offset:         72
        .size:           4
        .value_kind:     by_value
      - .offset:         76
        .size:           4
        .value_kind:     by_value
      - .offset:         80
        .size:           4
        .value_kind:     by_value
      - .actual_access:  write_only
        .address_space:  global
        .offset:         88
        .size:           8
        .value_kind:     global_buffer
      - .actual_access:  write_only
        .address_space:  global
        .offset:         96
        .size:           8
        .value_kind:     global_buffer
      - .actual_access:  write_only
        .address_space:  global
        .offset:         104
        .size:           8
        .value_kind:     global_buffer
      - .actual_access:  read_only
        .address_space:  global
        .offset:         112
        .size:           8
        .value_kind:     global_buffer
      - .offset:         120
        .size:           4
        .value_kind:     by_value
      - .address_space:  global
        .offset:         128
        .size:           8
        .value_kind:     global_buffer
      - .address_space:  global
        .offset:         136
        .size:           8
        .value_kind:     global_buffer
      - .offset:         144
        .size:           4
        .value_kind:     hidden_block_count_x
      - .offset:         148
        .size:           4
        .value_kind:     hidden_block_count_y
      - .offset:         152
        .size:           4
        .value_kind:     hidden_block_count_z
      - .offset:         156
        .size:           2
        .value_kind:     hidden_group_size_x
      - .offset:         158
        .size:           2
        .value_kind:     hidden_group_size_y
      - .offset:         160
        .size:           2
        .value_kind:     hidden_group_size_z
      - .offset:         162
        .size:           2
        .value_kind:     hidden_remainder_x
      - .offset:         164
        .size:           2
        .value_kind:     hidden_remainder_y
      - .offset:         166
        .size:           2
        .value_kind:     hidden_remainder_z
      - .offset:         184
        .size:           8
        .value_kind:     hidden_global_offset_x
      - .offset:         192
        .size:           8
        .value_kind:     hidden_global_offset_y
      - .offset:         200
        .size:           8
        .value_kind:     hidden_global_offset_z
      - .offset:         208
        .size:           2
        .value_kind:     hidden_grid_dims
    .group_segment_fixed_size: 17472
    .kernarg_segment_align: 8
    .kernarg_segment_size: 400
    .language:       OpenCL C
    .language_version:
      - 2
      - 0
    .max_flat_workgroup_size: 256
    .name:           _Z39paged_attention_ll4mi_QKV_mfma16_kernelIDF16_DF16_LN4vllm18Fp8KVCacheDataTypeE0EDF16_Li16ELi128ELi256ELb0ELi3EL8MFMAType0EEvPKT_PKT0_S8_ifPKiSA_SA_iPKfiiiPfSD_PS3_PT2_iSC_SC_
    .private_segment_fixed_size: 0
    .sgpr_count:     54
    .sgpr_spill_count: 0
    .symbol:         _Z39paged_attention_ll4mi_QKV_mfma16_kernelIDF16_DF16_LN4vllm18Fp8KVCacheDataTypeE0EDF16_Li16ELi128ELi256ELb0ELi3EL8MFMAType0EEvPKT_PKT0_S8_ifPKiSA_SA_iPKfiiiPfSD_PS3_PT2_iSC_SC_.kd
    .uniform_work_group_size: 1
    .uses_dynamic_stack: false
    .vgpr_count:     218
    .vgpr_spill_count: 0
    .wavefront_size: 32
    .workgroup_processor_mode: 1
  - .args:
      - .actual_access:  read_only
        .address_space:  global
        .offset:         0
        .size:           8
        .value_kind:     global_buffer
      - .actual_access:  read_only
        .address_space:  global
        .offset:         8
        .size:           8
        .value_kind:     global_buffer
      - .actual_access:  read_only
        .address_space:  global
        .offset:         16
        .size:           8
        .value_kind:     global_buffer
      - .offset:         24
        .size:           4
        .value_kind:     by_value
      - .offset:         28
        .size:           4
        .value_kind:     by_value
      - .actual_access:  read_only
        .address_space:  global
        .offset:         32
        .size:           8
        .value_kind:     global_buffer
      - .actual_access:  read_only
        .address_space:  global
        .offset:         40
        .size:           8
        .value_kind:     global_buffer
      - .actual_access:  read_only
        .address_space:  global
        .offset:         48
        .size:           8
        .value_kind:     global_buffer
      - .offset:         56
        .size:           4
        .value_kind:     by_value
      - .actual_access:  read_only
        .address_space:  global
        .offset:         64
        .size:           8
        .value_kind:     global_buffer
      - .offset:         72
        .size:           4
        .value_kind:     by_value
      - .offset:         76
        .size:           4
        .value_kind:     by_value
      - .offset:         80
        .size:           4
        .value_kind:     by_value
      - .actual_access:  write_only
        .address_space:  global
        .offset:         88
        .size:           8
        .value_kind:     global_buffer
      - .actual_access:  write_only
        .address_space:  global
        .offset:         96
        .size:           8
        .value_kind:     global_buffer
      - .actual_access:  write_only
        .address_space:  global
        .offset:         104
        .size:           8
        .value_kind:     global_buffer
      - .actual_access:  read_only
        .address_space:  global
        .offset:         112
        .size:           8
        .value_kind:     global_buffer
      - .offset:         120
        .size:           4
        .value_kind:     by_value
      - .address_space:  global
        .offset:         128
        .size:           8
        .value_kind:     global_buffer
      - .address_space:  global
        .offset:         136
        .size:           8
        .value_kind:     global_buffer
      - .offset:         144
        .size:           4
        .value_kind:     hidden_block_count_x
      - .offset:         148
        .size:           4
        .value_kind:     hidden_block_count_y
      - .offset:         152
        .size:           4
        .value_kind:     hidden_block_count_z
      - .offset:         156
        .size:           2
        .value_kind:     hidden_group_size_x
      - .offset:         158
        .size:           2
        .value_kind:     hidden_group_size_y
      - .offset:         160
        .size:           2
        .value_kind:     hidden_group_size_z
      - .offset:         162
        .size:           2
        .value_kind:     hidden_remainder_x
      - .offset:         164
        .size:           2
        .value_kind:     hidden_remainder_y
      - .offset:         166
        .size:           2
        .value_kind:     hidden_remainder_z
      - .offset:         184
        .size:           8
        .value_kind:     hidden_global_offset_x
      - .offset:         192
        .size:           8
        .value_kind:     hidden_global_offset_y
      - .offset:         200
        .size:           8
        .value_kind:     hidden_global_offset_z
      - .offset:         208
        .size:           2
        .value_kind:     hidden_grid_dims
    .group_segment_fixed_size: 17472
    .kernarg_segment_align: 8
    .kernarg_segment_size: 400
    .language:       OpenCL C
    .language_version:
      - 2
      - 0
    .max_flat_workgroup_size: 256
    .name:           _Z39paged_attention_ll4mi_QKV_mfma16_kernelIDF16_DF16_LN4vllm18Fp8KVCacheDataTypeE0EDF16_Li16ELi128ELi256ELb0ELi4EL8MFMAType0EEvPKT_PKT0_S8_ifPKiSA_SA_iPKfiiiPfSD_PS3_PT2_iSC_SC_
    .private_segment_fixed_size: 0
    .sgpr_count:     54
    .sgpr_spill_count: 0
    .symbol:         _Z39paged_attention_ll4mi_QKV_mfma16_kernelIDF16_DF16_LN4vllm18Fp8KVCacheDataTypeE0EDF16_Li16ELi128ELi256ELb0ELi4EL8MFMAType0EEvPKT_PKT0_S8_ifPKiSA_SA_iPKfiiiPfSD_PS3_PT2_iSC_SC_.kd
    .uniform_work_group_size: 1
    .uses_dynamic_stack: false
    .vgpr_count:     218
    .vgpr_spill_count: 0
    .wavefront_size: 32
    .workgroup_processor_mode: 1
  - .args:
      - .actual_access:  read_only
        .address_space:  global
        .offset:         0
        .size:           8
        .value_kind:     global_buffer
      - .actual_access:  read_only
        .address_space:  global
        .offset:         8
        .size:           8
        .value_kind:     global_buffer
      - .actual_access:  read_only
        .address_space:  global
        .offset:         16
        .size:           8
        .value_kind:     global_buffer
      - .offset:         24
        .size:           4
        .value_kind:     by_value
      - .offset:         28
        .size:           4
        .value_kind:     by_value
      - .actual_access:  read_only
        .address_space:  global
        .offset:         32
        .size:           8
        .value_kind:     global_buffer
      - .actual_access:  read_only
        .address_space:  global
        .offset:         40
        .size:           8
        .value_kind:     global_buffer
      - .actual_access:  read_only
        .address_space:  global
        .offset:         48
        .size:           8
        .value_kind:     global_buffer
      - .offset:         56
        .size:           4
        .value_kind:     by_value
      - .actual_access:  read_only
        .address_space:  global
        .offset:         64
        .size:           8
        .value_kind:     global_buffer
      - .offset:         72
        .size:           4
        .value_kind:     by_value
      - .offset:         76
        .size:           4
        .value_kind:     by_value
      - .offset:         80
        .size:           4
        .value_kind:     by_value
      - .actual_access:  read_only
        .address_space:  global
        .offset:         88
        .size:           8
        .value_kind:     global_buffer
      - .actual_access:  read_only
        .address_space:  global
        .offset:         96
        .size:           8
        .value_kind:     global_buffer
      - .actual_access:  read_only
        .address_space:  global
        .offset:         104
        .size:           8
        .value_kind:     global_buffer
      - .actual_access:  read_only
        .address_space:  global
        .offset:         112
        .size:           8
        .value_kind:     global_buffer
      - .offset:         120
        .size:           4
        .value_kind:     by_value
      - .address_space:  global
        .offset:         128
        .size:           8
        .value_kind:     global_buffer
      - .address_space:  global
        .offset:         136
        .size:           8
        .value_kind:     global_buffer
      - .offset:         144
        .size:           4
        .value_kind:     hidden_block_count_x
      - .offset:         148
        .size:           4
        .value_kind:     hidden_block_count_y
      - .offset:         152
        .size:           4
        .value_kind:     hidden_block_count_z
      - .offset:         156
        .size:           2
        .value_kind:     hidden_group_size_x
      - .offset:         158
        .size:           2
        .value_kind:     hidden_group_size_y
      - .offset:         160
        .size:           2
        .value_kind:     hidden_group_size_z
      - .offset:         162
        .size:           2
        .value_kind:     hidden_remainder_x
      - .offset:         164
        .size:           2
        .value_kind:     hidden_remainder_y
      - .offset:         166
        .size:           2
        .value_kind:     hidden_remainder_z
      - .offset:         184
        .size:           8
        .value_kind:     hidden_global_offset_x
      - .offset:         192
        .size:           8
        .value_kind:     hidden_global_offset_y
      - .offset:         200
        .size:           8
        .value_kind:     hidden_global_offset_z
      - .offset:         208
        .size:           2
        .value_kind:     hidden_grid_dims
      - .offset:         224
        .size:           8
        .value_kind:     hidden_hostcall_buffer
    .group_segment_fixed_size: 0
    .kernarg_segment_align: 8
    .kernarg_segment_size: 400
    .language:       OpenCL C
    .language_version:
      - 2
      - 0
    .max_flat_workgroup_size: 256
    .name:           _Z38paged_attention_ll4mi_QKV_mfma4_kernelIDF16_DF16_LN4vllm18Fp8KVCacheDataTypeE0EhLi32ELi128ELi256ELb1ELi1EEvPKT_PKT0_S7_ifPKiS9_S9_iPKfiiiPfSC_PS2_PT2_iSB_SB_
    .private_segment_fixed_size: 64
    .sgpr_count:     36
    .sgpr_spill_count: 0
    .symbol:         _Z38paged_attention_ll4mi_QKV_mfma4_kernelIDF16_DF16_LN4vllm18Fp8KVCacheDataTypeE0EhLi32ELi128ELi256ELb1ELi1EEvPKT_PKT0_S7_ifPKiS9_S9_iPKfiiiPfSC_PS2_PT2_iSB_SB_.kd
    .uniform_work_group_size: 1
    .uses_dynamic_stack: false
    .vgpr_count:     41
    .vgpr_spill_count: 0
    .wavefront_size: 32
    .workgroup_processor_mode: 1
  - .args:
      - .actual_access:  read_only
        .address_space:  global
        .offset:         0
        .size:           8
        .value_kind:     global_buffer
      - .actual_access:  read_only
        .address_space:  global
        .offset:         8
        .size:           8
        .value_kind:     global_buffer
      - .actual_access:  read_only
        .address_space:  global
        .offset:         16
        .size:           8
        .value_kind:     global_buffer
      - .offset:         24
        .size:           4
        .value_kind:     by_value
      - .offset:         28
        .size:           4
        .value_kind:     by_value
      - .actual_access:  read_only
        .address_space:  global
        .offset:         32
        .size:           8
        .value_kind:     global_buffer
      - .actual_access:  read_only
        .address_space:  global
        .offset:         40
        .size:           8
        .value_kind:     global_buffer
      - .actual_access:  read_only
        .address_space:  global
        .offset:         48
        .size:           8
        .value_kind:     global_buffer
      - .offset:         56
        .size:           4
        .value_kind:     by_value
      - .actual_access:  read_only
        .address_space:  global
        .offset:         64
        .size:           8
        .value_kind:     global_buffer
      - .offset:         72
        .size:           4
        .value_kind:     by_value
      - .offset:         76
        .size:           4
        .value_kind:     by_value
      - .offset:         80
        .size:           4
        .value_kind:     by_value
      - .actual_access:  read_only
        .address_space:  global
        .offset:         88
        .size:           8
        .value_kind:     global_buffer
      - .actual_access:  read_only
        .address_space:  global
        .offset:         96
        .size:           8
        .value_kind:     global_buffer
      - .actual_access:  read_only
        .address_space:  global
        .offset:         104
        .size:           8
        .value_kind:     global_buffer
      - .actual_access:  read_only
        .address_space:  global
        .offset:         112
        .size:           8
        .value_kind:     global_buffer
      - .offset:         120
        .size:           4
        .value_kind:     by_value
      - .address_space:  global
        .offset:         128
        .size:           8
        .value_kind:     global_buffer
      - .address_space:  global
        .offset:         136
        .size:           8
        .value_kind:     global_buffer
      - .offset:         144
        .size:           4
        .value_kind:     hidden_block_count_x
      - .offset:         148
        .size:           4
        .value_kind:     hidden_block_count_y
      - .offset:         152
        .size:           4
        .value_kind:     hidden_block_count_z
      - .offset:         156
        .size:           2
        .value_kind:     hidden_group_size_x
      - .offset:         158
        .size:           2
        .value_kind:     hidden_group_size_y
      - .offset:         160
        .size:           2
        .value_kind:     hidden_group_size_z
      - .offset:         162
        .size:           2
        .value_kind:     hidden_remainder_x
      - .offset:         164
        .size:           2
        .value_kind:     hidden_remainder_y
      - .offset:         166
        .size:           2
        .value_kind:     hidden_remainder_z
      - .offset:         184
        .size:           8
        .value_kind:     hidden_global_offset_x
      - .offset:         192
        .size:           8
        .value_kind:     hidden_global_offset_y
      - .offset:         200
        .size:           8
        .value_kind:     hidden_global_offset_z
      - .offset:         208
        .size:           2
        .value_kind:     hidden_grid_dims
      - .offset:         224
        .size:           8
        .value_kind:     hidden_hostcall_buffer
    .group_segment_fixed_size: 0
    .kernarg_segment_align: 8
    .kernarg_segment_size: 400
    .language:       OpenCL C
    .language_version:
      - 2
      - 0
    .max_flat_workgroup_size: 256
    .name:           _Z38paged_attention_ll4mi_QKV_mfma4_kernelIDF16_DF16_LN4vllm18Fp8KVCacheDataTypeE0EhLi32ELi128ELi256ELb1ELi2EEvPKT_PKT0_S7_ifPKiS9_S9_iPKfiiiPfSC_PS2_PT2_iSB_SB_
    .private_segment_fixed_size: 64
    .sgpr_count:     36
    .sgpr_spill_count: 0
    .symbol:         _Z38paged_attention_ll4mi_QKV_mfma4_kernelIDF16_DF16_LN4vllm18Fp8KVCacheDataTypeE0EhLi32ELi128ELi256ELb1ELi2EEvPKT_PKT0_S7_ifPKiS9_S9_iPKfiiiPfSC_PS2_PT2_iSB_SB_.kd
    .uniform_work_group_size: 1
    .uses_dynamic_stack: false
    .vgpr_count:     41
    .vgpr_spill_count: 0
    .wavefront_size: 32
    .workgroup_processor_mode: 1
  - .args:
      - .actual_access:  read_only
        .address_space:  global
        .offset:         0
        .size:           8
        .value_kind:     global_buffer
      - .actual_access:  read_only
        .address_space:  global
        .offset:         8
        .size:           8
        .value_kind:     global_buffer
      - .actual_access:  read_only
        .address_space:  global
        .offset:         16
        .size:           8
        .value_kind:     global_buffer
      - .offset:         24
        .size:           4
        .value_kind:     by_value
      - .offset:         28
        .size:           4
        .value_kind:     by_value
      - .actual_access:  read_only
        .address_space:  global
        .offset:         32
        .size:           8
        .value_kind:     global_buffer
      - .actual_access:  read_only
        .address_space:  global
        .offset:         40
        .size:           8
        .value_kind:     global_buffer
      - .actual_access:  read_only
        .address_space:  global
        .offset:         48
        .size:           8
        .value_kind:     global_buffer
      - .offset:         56
        .size:           4
        .value_kind:     by_value
      - .actual_access:  read_only
        .address_space:  global
        .offset:         64
        .size:           8
        .value_kind:     global_buffer
      - .offset:         72
        .size:           4
        .value_kind:     by_value
      - .offset:         76
        .size:           4
        .value_kind:     by_value
      - .offset:         80
        .size:           4
        .value_kind:     by_value
      - .actual_access:  read_only
        .address_space:  global
        .offset:         88
        .size:           8
        .value_kind:     global_buffer
      - .actual_access:  read_only
        .address_space:  global
        .offset:         96
        .size:           8
        .value_kind:     global_buffer
      - .actual_access:  read_only
        .address_space:  global
        .offset:         104
        .size:           8
        .value_kind:     global_buffer
      - .actual_access:  read_only
        .address_space:  global
        .offset:         112
        .size:           8
        .value_kind:     global_buffer
      - .offset:         120
        .size:           4
        .value_kind:     by_value
      - .address_space:  global
        .offset:         128
        .size:           8
        .value_kind:     global_buffer
      - .address_space:  global
        .offset:         136
        .size:           8
        .value_kind:     global_buffer
      - .offset:         144
        .size:           4
        .value_kind:     hidden_block_count_x
      - .offset:         148
        .size:           4
        .value_kind:     hidden_block_count_y
      - .offset:         152
        .size:           4
        .value_kind:     hidden_block_count_z
      - .offset:         156
        .size:           2
        .value_kind:     hidden_group_size_x
      - .offset:         158
        .size:           2
        .value_kind:     hidden_group_size_y
      - .offset:         160
        .size:           2
        .value_kind:     hidden_group_size_z
      - .offset:         162
        .size:           2
        .value_kind:     hidden_remainder_x
      - .offset:         164
        .size:           2
        .value_kind:     hidden_remainder_y
      - .offset:         166
        .size:           2
        .value_kind:     hidden_remainder_z
      - .offset:         184
        .size:           8
        .value_kind:     hidden_global_offset_x
      - .offset:         192
        .size:           8
        .value_kind:     hidden_global_offset_y
      - .offset:         200
        .size:           8
        .value_kind:     hidden_global_offset_z
      - .offset:         208
        .size:           2
        .value_kind:     hidden_grid_dims
      - .offset:         224
        .size:           8
        .value_kind:     hidden_hostcall_buffer
    .group_segment_fixed_size: 0
    .kernarg_segment_align: 8
    .kernarg_segment_size: 400
    .language:       OpenCL C
    .language_version:
      - 2
      - 0
    .max_flat_workgroup_size: 256
    .name:           _Z38paged_attention_ll4mi_QKV_mfma4_kernelIDF16_DF16_LN4vllm18Fp8KVCacheDataTypeE0EhLi32ELi128ELi256ELb1ELi3EEvPKT_PKT0_S7_ifPKiS9_S9_iPKfiiiPfSC_PS2_PT2_iSB_SB_
    .private_segment_fixed_size: 64
    .sgpr_count:     36
    .sgpr_spill_count: 0
    .symbol:         _Z38paged_attention_ll4mi_QKV_mfma4_kernelIDF16_DF16_LN4vllm18Fp8KVCacheDataTypeE0EhLi32ELi128ELi256ELb1ELi3EEvPKT_PKT0_S7_ifPKiS9_S9_iPKfiiiPfSC_PS2_PT2_iSB_SB_.kd
    .uniform_work_group_size: 1
    .uses_dynamic_stack: false
    .vgpr_count:     41
    .vgpr_spill_count: 0
    .wavefront_size: 32
    .workgroup_processor_mode: 1
  - .args:
      - .actual_access:  read_only
        .address_space:  global
        .offset:         0
        .size:           8
        .value_kind:     global_buffer
      - .actual_access:  read_only
        .address_space:  global
        .offset:         8
        .size:           8
        .value_kind:     global_buffer
      - .actual_access:  read_only
        .address_space:  global
        .offset:         16
        .size:           8
        .value_kind:     global_buffer
      - .offset:         24
        .size:           4
        .value_kind:     by_value
      - .offset:         28
        .size:           4
        .value_kind:     by_value
      - .actual_access:  read_only
        .address_space:  global
        .offset:         32
        .size:           8
        .value_kind:     global_buffer
      - .actual_access:  read_only
        .address_space:  global
        .offset:         40
        .size:           8
        .value_kind:     global_buffer
      - .actual_access:  read_only
        .address_space:  global
        .offset:         48
        .size:           8
        .value_kind:     global_buffer
      - .offset:         56
        .size:           4
        .value_kind:     by_value
      - .actual_access:  read_only
        .address_space:  global
        .offset:         64
        .size:           8
        .value_kind:     global_buffer
      - .offset:         72
        .size:           4
        .value_kind:     by_value
      - .offset:         76
        .size:           4
        .value_kind:     by_value
      - .offset:         80
        .size:           4
        .value_kind:     by_value
      - .actual_access:  read_only
        .address_space:  global
        .offset:         88
        .size:           8
        .value_kind:     global_buffer
      - .actual_access:  read_only
        .address_space:  global
        .offset:         96
        .size:           8
        .value_kind:     global_buffer
      - .actual_access:  read_only
        .address_space:  global
        .offset:         104
        .size:           8
        .value_kind:     global_buffer
      - .actual_access:  read_only
        .address_space:  global
        .offset:         112
        .size:           8
        .value_kind:     global_buffer
      - .offset:         120
        .size:           4
        .value_kind:     by_value
      - .address_space:  global
        .offset:         128
        .size:           8
        .value_kind:     global_buffer
      - .address_space:  global
        .offset:         136
        .size:           8
        .value_kind:     global_buffer
      - .offset:         144
        .size:           4
        .value_kind:     hidden_block_count_x
      - .offset:         148
        .size:           4
        .value_kind:     hidden_block_count_y
      - .offset:         152
        .size:           4
        .value_kind:     hidden_block_count_z
      - .offset:         156
        .size:           2
        .value_kind:     hidden_group_size_x
      - .offset:         158
        .size:           2
        .value_kind:     hidden_group_size_y
      - .offset:         160
        .size:           2
        .value_kind:     hidden_group_size_z
      - .offset:         162
        .size:           2
        .value_kind:     hidden_remainder_x
      - .offset:         164
        .size:           2
        .value_kind:     hidden_remainder_y
      - .offset:         166
        .size:           2
        .value_kind:     hidden_remainder_z
      - .offset:         184
        .size:           8
        .value_kind:     hidden_global_offset_x
      - .offset:         192
        .size:           8
        .value_kind:     hidden_global_offset_y
      - .offset:         200
        .size:           8
        .value_kind:     hidden_global_offset_z
      - .offset:         208
        .size:           2
        .value_kind:     hidden_grid_dims
      - .offset:         224
        .size:           8
        .value_kind:     hidden_hostcall_buffer
    .group_segment_fixed_size: 0
    .kernarg_segment_align: 8
    .kernarg_segment_size: 400
    .language:       OpenCL C
    .language_version:
      - 2
      - 0
    .max_flat_workgroup_size: 256
    .name:           _Z38paged_attention_ll4mi_QKV_mfma4_kernelIDF16_DF16_LN4vllm18Fp8KVCacheDataTypeE0EhLi32ELi128ELi256ELb1ELi4EEvPKT_PKT0_S7_ifPKiS9_S9_iPKfiiiPfSC_PS2_PT2_iSB_SB_
    .private_segment_fixed_size: 64
    .sgpr_count:     36
    .sgpr_spill_count: 0
    .symbol:         _Z38paged_attention_ll4mi_QKV_mfma4_kernelIDF16_DF16_LN4vllm18Fp8KVCacheDataTypeE0EhLi32ELi128ELi256ELb1ELi4EEvPKT_PKT0_S7_ifPKiS9_S9_iPKfiiiPfSC_PS2_PT2_iSB_SB_.kd
    .uniform_work_group_size: 1
    .uses_dynamic_stack: false
    .vgpr_count:     41
    .vgpr_spill_count: 0
    .wavefront_size: 32
    .workgroup_processor_mode: 1
  - .args:
      - .actual_access:  read_only
        .address_space:  global
        .offset:         0
        .size:           8
        .value_kind:     global_buffer
      - .actual_access:  read_only
        .address_space:  global
        .offset:         8
        .size:           8
        .value_kind:     global_buffer
      - .actual_access:  read_only
        .address_space:  global
        .offset:         16
        .size:           8
        .value_kind:     global_buffer
      - .offset:         24
        .size:           4
        .value_kind:     by_value
      - .offset:         28
        .size:           4
        .value_kind:     by_value
      - .actual_access:  read_only
        .address_space:  global
        .offset:         32
        .size:           8
        .value_kind:     global_buffer
      - .actual_access:  read_only
        .address_space:  global
        .offset:         40
        .size:           8
        .value_kind:     global_buffer
      - .actual_access:  read_only
        .address_space:  global
        .offset:         48
        .size:           8
        .value_kind:     global_buffer
      - .offset:         56
        .size:           4
        .value_kind:     by_value
      - .actual_access:  read_only
        .address_space:  global
        .offset:         64
        .size:           8
        .value_kind:     global_buffer
      - .offset:         72
        .size:           4
        .value_kind:     by_value
      - .offset:         76
        .size:           4
        .value_kind:     by_value
      - .offset:         80
        .size:           4
        .value_kind:     by_value
      - .actual_access:  write_only
        .address_space:  global
        .offset:         88
        .size:           8
        .value_kind:     global_buffer
      - .actual_access:  write_only
        .address_space:  global
        .offset:         96
        .size:           8
        .value_kind:     global_buffer
      - .actual_access:  write_only
        .address_space:  global
        .offset:         104
        .size:           8
        .value_kind:     global_buffer
      - .actual_access:  read_only
        .address_space:  global
        .offset:         112
        .size:           8
        .value_kind:     global_buffer
      - .offset:         120
        .size:           4
        .value_kind:     by_value
      - .address_space:  global
        .offset:         128
        .size:           8
        .value_kind:     global_buffer
      - .address_space:  global
        .offset:         136
        .size:           8
        .value_kind:     global_buffer
      - .offset:         144
        .size:           4
        .value_kind:     hidden_block_count_x
      - .offset:         148
        .size:           4
        .value_kind:     hidden_block_count_y
      - .offset:         152
        .size:           4
        .value_kind:     hidden_block_count_z
      - .offset:         156
        .size:           2
        .value_kind:     hidden_group_size_x
      - .offset:         158
        .size:           2
        .value_kind:     hidden_group_size_y
      - .offset:         160
        .size:           2
        .value_kind:     hidden_group_size_z
      - .offset:         162
        .size:           2
        .value_kind:     hidden_remainder_x
      - .offset:         164
        .size:           2
        .value_kind:     hidden_remainder_y
      - .offset:         166
        .size:           2
        .value_kind:     hidden_remainder_z
      - .offset:         184
        .size:           8
        .value_kind:     hidden_global_offset_x
      - .offset:         192
        .size:           8
        .value_kind:     hidden_global_offset_y
      - .offset:         200
        .size:           8
        .value_kind:     hidden_global_offset_z
      - .offset:         208
        .size:           2
        .value_kind:     hidden_grid_dims
    .group_segment_fixed_size: 17472
    .kernarg_segment_align: 8
    .kernarg_segment_size: 400
    .language:       OpenCL C
    .language_version:
      - 2
      - 0
    .max_flat_workgroup_size: 256
    .name:           _Z39paged_attention_ll4mi_QKV_mfma16_kernelIDF16_DF16_LN4vllm18Fp8KVCacheDataTypeE0EhLi32ELi128ELi256ELb1ELi5EL8MFMAType0EEvPKT_PKT0_S8_ifPKiSA_SA_iPKfiiiPfSD_PS3_PT2_iSC_SC_
    .private_segment_fixed_size: 0
    .sgpr_count:     41
    .sgpr_spill_count: 0
    .symbol:         _Z39paged_attention_ll4mi_QKV_mfma16_kernelIDF16_DF16_LN4vllm18Fp8KVCacheDataTypeE0EhLi32ELi128ELi256ELb1ELi5EL8MFMAType0EEvPKT_PKT0_S8_ifPKiSA_SA_iPKfiiiPfSD_PS3_PT2_iSC_SC_.kd
    .uniform_work_group_size: 1
    .uses_dynamic_stack: false
    .vgpr_count:     172
    .vgpr_spill_count: 0
    .wavefront_size: 32
    .workgroup_processor_mode: 1
  - .args:
      - .actual_access:  read_only
        .address_space:  global
        .offset:         0
        .size:           8
        .value_kind:     global_buffer
      - .actual_access:  read_only
        .address_space:  global
        .offset:         8
        .size:           8
        .value_kind:     global_buffer
      - .actual_access:  read_only
        .address_space:  global
        .offset:         16
        .size:           8
        .value_kind:     global_buffer
      - .offset:         24
        .size:           4
        .value_kind:     by_value
      - .offset:         28
        .size:           4
        .value_kind:     by_value
      - .actual_access:  read_only
        .address_space:  global
        .offset:         32
        .size:           8
        .value_kind:     global_buffer
      - .actual_access:  read_only
        .address_space:  global
        .offset:         40
        .size:           8
        .value_kind:     global_buffer
      - .actual_access:  read_only
        .address_space:  global
        .offset:         48
        .size:           8
        .value_kind:     global_buffer
      - .offset:         56
        .size:           4
        .value_kind:     by_value
      - .actual_access:  read_only
        .address_space:  global
        .offset:         64
        .size:           8
        .value_kind:     global_buffer
      - .offset:         72
        .size:           4
        .value_kind:     by_value
      - .offset:         76
        .size:           4
        .value_kind:     by_value
      - .offset:         80
        .size:           4
        .value_kind:     by_value
      - .actual_access:  write_only
        .address_space:  global
        .offset:         88
        .size:           8
        .value_kind:     global_buffer
      - .actual_access:  write_only
        .address_space:  global
        .offset:         96
        .size:           8
        .value_kind:     global_buffer
      - .actual_access:  write_only
        .address_space:  global
        .offset:         104
        .size:           8
        .value_kind:     global_buffer
      - .actual_access:  read_only
        .address_space:  global
        .offset:         112
        .size:           8
        .value_kind:     global_buffer
      - .offset:         120
        .size:           4
        .value_kind:     by_value
      - .address_space:  global
        .offset:         128
        .size:           8
        .value_kind:     global_buffer
      - .address_space:  global
        .offset:         136
        .size:           8
        .value_kind:     global_buffer
      - .offset:         144
        .size:           4
        .value_kind:     hidden_block_count_x
      - .offset:         148
        .size:           4
        .value_kind:     hidden_block_count_y
      - .offset:         152
        .size:           4
        .value_kind:     hidden_block_count_z
      - .offset:         156
        .size:           2
        .value_kind:     hidden_group_size_x
      - .offset:         158
        .size:           2
        .value_kind:     hidden_group_size_y
      - .offset:         160
        .size:           2
        .value_kind:     hidden_group_size_z
      - .offset:         162
        .size:           2
        .value_kind:     hidden_remainder_x
      - .offset:         164
        .size:           2
        .value_kind:     hidden_remainder_y
      - .offset:         166
        .size:           2
        .value_kind:     hidden_remainder_z
      - .offset:         184
        .size:           8
        .value_kind:     hidden_global_offset_x
      - .offset:         192
        .size:           8
        .value_kind:     hidden_global_offset_y
      - .offset:         200
        .size:           8
        .value_kind:     hidden_global_offset_z
      - .offset:         208
        .size:           2
        .value_kind:     hidden_grid_dims
    .group_segment_fixed_size: 17472
    .kernarg_segment_align: 8
    .kernarg_segment_size: 400
    .language:       OpenCL C
    .language_version:
      - 2
      - 0
    .max_flat_workgroup_size: 256
    .name:           _Z39paged_attention_ll4mi_QKV_mfma16_kernelIDF16_DF16_LN4vllm18Fp8KVCacheDataTypeE0EhLi32ELi128ELi256ELb1ELi6EL8MFMAType0EEvPKT_PKT0_S8_ifPKiSA_SA_iPKfiiiPfSD_PS3_PT2_iSC_SC_
    .private_segment_fixed_size: 0
    .sgpr_count:     40
    .sgpr_spill_count: 0
    .symbol:         _Z39paged_attention_ll4mi_QKV_mfma16_kernelIDF16_DF16_LN4vllm18Fp8KVCacheDataTypeE0EhLi32ELi128ELi256ELb1ELi6EL8MFMAType0EEvPKT_PKT0_S8_ifPKiSA_SA_iPKfiiiPfSD_PS3_PT2_iSC_SC_.kd
    .uniform_work_group_size: 1
    .uses_dynamic_stack: false
    .vgpr_count:     172
    .vgpr_spill_count: 0
    .wavefront_size: 32
    .workgroup_processor_mode: 1
  - .args:
      - .actual_access:  read_only
        .address_space:  global
        .offset:         0
        .size:           8
        .value_kind:     global_buffer
      - .actual_access:  read_only
        .address_space:  global
        .offset:         8
        .size:           8
        .value_kind:     global_buffer
      - .actual_access:  read_only
        .address_space:  global
        .offset:         16
        .size:           8
        .value_kind:     global_buffer
      - .offset:         24
        .size:           4
        .value_kind:     by_value
      - .offset:         28
        .size:           4
        .value_kind:     by_value
      - .actual_access:  read_only
        .address_space:  global
        .offset:         32
        .size:           8
        .value_kind:     global_buffer
      - .actual_access:  read_only
        .address_space:  global
        .offset:         40
        .size:           8
        .value_kind:     global_buffer
      - .actual_access:  read_only
        .address_space:  global
        .offset:         48
        .size:           8
        .value_kind:     global_buffer
      - .offset:         56
        .size:           4
        .value_kind:     by_value
      - .actual_access:  read_only
        .address_space:  global
        .offset:         64
        .size:           8
        .value_kind:     global_buffer
      - .offset:         72
        .size:           4
        .value_kind:     by_value
      - .offset:         76
        .size:           4
        .value_kind:     by_value
      - .offset:         80
        .size:           4
        .value_kind:     by_value
      - .actual_access:  write_only
        .address_space:  global
        .offset:         88
        .size:           8
        .value_kind:     global_buffer
      - .actual_access:  write_only
        .address_space:  global
        .offset:         96
        .size:           8
        .value_kind:     global_buffer
      - .actual_access:  write_only
        .address_space:  global
        .offset:         104
        .size:           8
        .value_kind:     global_buffer
      - .actual_access:  read_only
        .address_space:  global
        .offset:         112
        .size:           8
        .value_kind:     global_buffer
      - .offset:         120
        .size:           4
        .value_kind:     by_value
      - .address_space:  global
        .offset:         128
        .size:           8
        .value_kind:     global_buffer
      - .address_space:  global
        .offset:         136
        .size:           8
        .value_kind:     global_buffer
      - .offset:         144
        .size:           4
        .value_kind:     hidden_block_count_x
      - .offset:         148
        .size:           4
        .value_kind:     hidden_block_count_y
      - .offset:         152
        .size:           4
        .value_kind:     hidden_block_count_z
      - .offset:         156
        .size:           2
        .value_kind:     hidden_group_size_x
      - .offset:         158
        .size:           2
        .value_kind:     hidden_group_size_y
      - .offset:         160
        .size:           2
        .value_kind:     hidden_group_size_z
      - .offset:         162
        .size:           2
        .value_kind:     hidden_remainder_x
      - .offset:         164
        .size:           2
        .value_kind:     hidden_remainder_y
      - .offset:         166
        .size:           2
        .value_kind:     hidden_remainder_z
      - .offset:         184
        .size:           8
        .value_kind:     hidden_global_offset_x
      - .offset:         192
        .size:           8
        .value_kind:     hidden_global_offset_y
      - .offset:         200
        .size:           8
        .value_kind:     hidden_global_offset_z
      - .offset:         208
        .size:           2
        .value_kind:     hidden_grid_dims
    .group_segment_fixed_size: 17472
    .kernarg_segment_align: 8
    .kernarg_segment_size: 400
    .language:       OpenCL C
    .language_version:
      - 2
      - 0
    .max_flat_workgroup_size: 256
    .name:           _Z39paged_attention_ll4mi_QKV_mfma16_kernelIDF16_DF16_LN4vllm18Fp8KVCacheDataTypeE0EhLi32ELi128ELi256ELb1ELi7EL8MFMAType0EEvPKT_PKT0_S8_ifPKiSA_SA_iPKfiiiPfSD_PS3_PT2_iSC_SC_
    .private_segment_fixed_size: 0
    .sgpr_count:     41
    .sgpr_spill_count: 0
    .symbol:         _Z39paged_attention_ll4mi_QKV_mfma16_kernelIDF16_DF16_LN4vllm18Fp8KVCacheDataTypeE0EhLi32ELi128ELi256ELb1ELi7EL8MFMAType0EEvPKT_PKT0_S8_ifPKiSA_SA_iPKfiiiPfSD_PS3_PT2_iSC_SC_.kd
    .uniform_work_group_size: 1
    .uses_dynamic_stack: false
    .vgpr_count:     172
    .vgpr_spill_count: 0
    .wavefront_size: 32
    .workgroup_processor_mode: 1
  - .args:
      - .actual_access:  read_only
        .address_space:  global
        .offset:         0
        .size:           8
        .value_kind:     global_buffer
      - .actual_access:  read_only
        .address_space:  global
        .offset:         8
        .size:           8
        .value_kind:     global_buffer
      - .actual_access:  read_only
        .address_space:  global
        .offset:         16
        .size:           8
        .value_kind:     global_buffer
      - .offset:         24
        .size:           4
        .value_kind:     by_value
      - .offset:         28
        .size:           4
        .value_kind:     by_value
      - .actual_access:  read_only
        .address_space:  global
        .offset:         32
        .size:           8
        .value_kind:     global_buffer
      - .actual_access:  read_only
        .address_space:  global
        .offset:         40
        .size:           8
        .value_kind:     global_buffer
      - .actual_access:  read_only
        .address_space:  global
        .offset:         48
        .size:           8
        .value_kind:     global_buffer
      - .offset:         56
        .size:           4
        .value_kind:     by_value
      - .actual_access:  read_only
        .address_space:  global
        .offset:         64
        .size:           8
        .value_kind:     global_buffer
      - .offset:         72
        .size:           4
        .value_kind:     by_value
      - .offset:         76
        .size:           4
        .value_kind:     by_value
      - .offset:         80
        .size:           4
        .value_kind:     by_value
      - .actual_access:  write_only
        .address_space:  global
        .offset:         88
        .size:           8
        .value_kind:     global_buffer
      - .actual_access:  write_only
        .address_space:  global
        .offset:         96
        .size:           8
        .value_kind:     global_buffer
      - .actual_access:  write_only
        .address_space:  global
        .offset:         104
        .size:           8
        .value_kind:     global_buffer
      - .actual_access:  read_only
        .address_space:  global
        .offset:         112
        .size:           8
        .value_kind:     global_buffer
      - .offset:         120
        .size:           4
        .value_kind:     by_value
      - .address_space:  global
        .offset:         128
        .size:           8
        .value_kind:     global_buffer
      - .address_space:  global
        .offset:         136
        .size:           8
        .value_kind:     global_buffer
      - .offset:         144
        .size:           4
        .value_kind:     hidden_block_count_x
      - .offset:         148
        .size:           4
        .value_kind:     hidden_block_count_y
      - .offset:         152
        .size:           4
        .value_kind:     hidden_block_count_z
      - .offset:         156
        .size:           2
        .value_kind:     hidden_group_size_x
      - .offset:         158
        .size:           2
        .value_kind:     hidden_group_size_y
      - .offset:         160
        .size:           2
        .value_kind:     hidden_group_size_z
      - .offset:         162
        .size:           2
        .value_kind:     hidden_remainder_x
      - .offset:         164
        .size:           2
        .value_kind:     hidden_remainder_y
      - .offset:         166
        .size:           2
        .value_kind:     hidden_remainder_z
      - .offset:         184
        .size:           8
        .value_kind:     hidden_global_offset_x
      - .offset:         192
        .size:           8
        .value_kind:     hidden_global_offset_y
      - .offset:         200
        .size:           8
        .value_kind:     hidden_global_offset_z
      - .offset:         208
        .size:           2
        .value_kind:     hidden_grid_dims
    .group_segment_fixed_size: 17472
    .kernarg_segment_align: 8
    .kernarg_segment_size: 400
    .language:       OpenCL C
    .language_version:
      - 2
      - 0
    .max_flat_workgroup_size: 256
    .name:           _Z39paged_attention_ll4mi_QKV_mfma16_kernelIDF16_DF16_LN4vllm18Fp8KVCacheDataTypeE0EhLi32ELi128ELi256ELb1ELi8EL8MFMAType0EEvPKT_PKT0_S8_ifPKiSA_SA_iPKfiiiPfSD_PS3_PT2_iSC_SC_
    .private_segment_fixed_size: 0
    .sgpr_count:     40
    .sgpr_spill_count: 0
    .symbol:         _Z39paged_attention_ll4mi_QKV_mfma16_kernelIDF16_DF16_LN4vllm18Fp8KVCacheDataTypeE0EhLi32ELi128ELi256ELb1ELi8EL8MFMAType0EEvPKT_PKT0_S8_ifPKiSA_SA_iPKfiiiPfSD_PS3_PT2_iSC_SC_.kd
    .uniform_work_group_size: 1
    .uses_dynamic_stack: false
    .vgpr_count:     172
    .vgpr_spill_count: 0
    .wavefront_size: 32
    .workgroup_processor_mode: 1
  - .args:
      - .actual_access:  read_only
        .address_space:  global
        .offset:         0
        .size:           8
        .value_kind:     global_buffer
      - .actual_access:  read_only
        .address_space:  global
        .offset:         8
        .size:           8
        .value_kind:     global_buffer
      - .actual_access:  read_only
        .address_space:  global
        .offset:         16
        .size:           8
        .value_kind:     global_buffer
      - .offset:         24
        .size:           4
        .value_kind:     by_value
      - .offset:         28
        .size:           4
        .value_kind:     by_value
      - .actual_access:  read_only
        .address_space:  global
        .offset:         32
        .size:           8
        .value_kind:     global_buffer
      - .actual_access:  read_only
        .address_space:  global
        .offset:         40
        .size:           8
        .value_kind:     global_buffer
      - .actual_access:  read_only
        .address_space:  global
        .offset:         48
        .size:           8
        .value_kind:     global_buffer
      - .offset:         56
        .size:           4
        .value_kind:     by_value
      - .actual_access:  read_only
        .address_space:  global
        .offset:         64
        .size:           8
        .value_kind:     global_buffer
      - .offset:         72
        .size:           4
        .value_kind:     by_value
      - .offset:         76
        .size:           4
        .value_kind:     by_value
      - .offset:         80
        .size:           4
        .value_kind:     by_value
      - .actual_access:  write_only
        .address_space:  global
        .offset:         88
        .size:           8
        .value_kind:     global_buffer
      - .actual_access:  write_only
        .address_space:  global
        .offset:         96
        .size:           8
        .value_kind:     global_buffer
      - .actual_access:  write_only
        .address_space:  global
        .offset:         104
        .size:           8
        .value_kind:     global_buffer
      - .actual_access:  read_only
        .address_space:  global
        .offset:         112
        .size:           8
        .value_kind:     global_buffer
      - .offset:         120
        .size:           4
        .value_kind:     by_value
      - .address_space:  global
        .offset:         128
        .size:           8
        .value_kind:     global_buffer
      - .address_space:  global
        .offset:         136
        .size:           8
        .value_kind:     global_buffer
      - .offset:         144
        .size:           4
        .value_kind:     hidden_block_count_x
      - .offset:         148
        .size:           4
        .value_kind:     hidden_block_count_y
      - .offset:         152
        .size:           4
        .value_kind:     hidden_block_count_z
      - .offset:         156
        .size:           2
        .value_kind:     hidden_group_size_x
      - .offset:         158
        .size:           2
        .value_kind:     hidden_group_size_y
      - .offset:         160
        .size:           2
        .value_kind:     hidden_group_size_z
      - .offset:         162
        .size:           2
        .value_kind:     hidden_remainder_x
      - .offset:         164
        .size:           2
        .value_kind:     hidden_remainder_y
      - .offset:         166
        .size:           2
        .value_kind:     hidden_remainder_z
      - .offset:         184
        .size:           8
        .value_kind:     hidden_global_offset_x
      - .offset:         192
        .size:           8
        .value_kind:     hidden_global_offset_y
      - .offset:         200
        .size:           8
        .value_kind:     hidden_global_offset_z
      - .offset:         208
        .size:           2
        .value_kind:     hidden_grid_dims
    .group_segment_fixed_size: 17472
    .kernarg_segment_align: 8
    .kernarg_segment_size: 400
    .language:       OpenCL C
    .language_version:
      - 2
      - 0
    .max_flat_workgroup_size: 256
    .name:           _Z39paged_attention_ll4mi_QKV_mfma16_kernelIDF16_DF16_LN4vllm18Fp8KVCacheDataTypeE0EhLi32ELi128ELi256ELb1ELi9EL8MFMAType0EEvPKT_PKT0_S8_ifPKiSA_SA_iPKfiiiPfSD_PS3_PT2_iSC_SC_
    .private_segment_fixed_size: 0
    .sgpr_count:     41
    .sgpr_spill_count: 0
    .symbol:         _Z39paged_attention_ll4mi_QKV_mfma16_kernelIDF16_DF16_LN4vllm18Fp8KVCacheDataTypeE0EhLi32ELi128ELi256ELb1ELi9EL8MFMAType0EEvPKT_PKT0_S8_ifPKiSA_SA_iPKfiiiPfSD_PS3_PT2_iSC_SC_.kd
    .uniform_work_group_size: 1
    .uses_dynamic_stack: false
    .vgpr_count:     172
    .vgpr_spill_count: 0
    .wavefront_size: 32
    .workgroup_processor_mode: 1
  - .args:
      - .actual_access:  read_only
        .address_space:  global
        .offset:         0
        .size:           8
        .value_kind:     global_buffer
      - .actual_access:  read_only
        .address_space:  global
        .offset:         8
        .size:           8
        .value_kind:     global_buffer
      - .actual_access:  read_only
        .address_space:  global
        .offset:         16
        .size:           8
        .value_kind:     global_buffer
      - .offset:         24
        .size:           4
        .value_kind:     by_value
      - .offset:         28
        .size:           4
        .value_kind:     by_value
      - .actual_access:  read_only
        .address_space:  global
        .offset:         32
        .size:           8
        .value_kind:     global_buffer
      - .actual_access:  read_only
        .address_space:  global
        .offset:         40
        .size:           8
        .value_kind:     global_buffer
      - .actual_access:  read_only
        .address_space:  global
        .offset:         48
        .size:           8
        .value_kind:     global_buffer
      - .offset:         56
        .size:           4
        .value_kind:     by_value
      - .actual_access:  read_only
        .address_space:  global
        .offset:         64
        .size:           8
        .value_kind:     global_buffer
      - .offset:         72
        .size:           4
        .value_kind:     by_value
      - .offset:         76
        .size:           4
        .value_kind:     by_value
      - .offset:         80
        .size:           4
        .value_kind:     by_value
      - .actual_access:  write_only
        .address_space:  global
        .offset:         88
        .size:           8
        .value_kind:     global_buffer
      - .actual_access:  write_only
        .address_space:  global
        .offset:         96
        .size:           8
        .value_kind:     global_buffer
      - .actual_access:  write_only
        .address_space:  global
        .offset:         104
        .size:           8
        .value_kind:     global_buffer
      - .actual_access:  read_only
        .address_space:  global
        .offset:         112
        .size:           8
        .value_kind:     global_buffer
      - .offset:         120
        .size:           4
        .value_kind:     by_value
      - .address_space:  global
        .offset:         128
        .size:           8
        .value_kind:     global_buffer
      - .address_space:  global
        .offset:         136
        .size:           8
        .value_kind:     global_buffer
      - .offset:         144
        .size:           4
        .value_kind:     hidden_block_count_x
      - .offset:         148
        .size:           4
        .value_kind:     hidden_block_count_y
      - .offset:         152
        .size:           4
        .value_kind:     hidden_block_count_z
      - .offset:         156
        .size:           2
        .value_kind:     hidden_group_size_x
      - .offset:         158
        .size:           2
        .value_kind:     hidden_group_size_y
      - .offset:         160
        .size:           2
        .value_kind:     hidden_group_size_z
      - .offset:         162
        .size:           2
        .value_kind:     hidden_remainder_x
      - .offset:         164
        .size:           2
        .value_kind:     hidden_remainder_y
      - .offset:         166
        .size:           2
        .value_kind:     hidden_remainder_z
      - .offset:         184
        .size:           8
        .value_kind:     hidden_global_offset_x
      - .offset:         192
        .size:           8
        .value_kind:     hidden_global_offset_y
      - .offset:         200
        .size:           8
        .value_kind:     hidden_global_offset_z
      - .offset:         208
        .size:           2
        .value_kind:     hidden_grid_dims
    .group_segment_fixed_size: 17472
    .kernarg_segment_align: 8
    .kernarg_segment_size: 400
    .language:       OpenCL C
    .language_version:
      - 2
      - 0
    .max_flat_workgroup_size: 256
    .name:           _Z39paged_attention_ll4mi_QKV_mfma16_kernelIDF16_DF16_LN4vllm18Fp8KVCacheDataTypeE0EhLi32ELi128ELi256ELb1ELi10EL8MFMAType0EEvPKT_PKT0_S8_ifPKiSA_SA_iPKfiiiPfSD_PS3_PT2_iSC_SC_
    .private_segment_fixed_size: 0
    .sgpr_count:     40
    .sgpr_spill_count: 0
    .symbol:         _Z39paged_attention_ll4mi_QKV_mfma16_kernelIDF16_DF16_LN4vllm18Fp8KVCacheDataTypeE0EhLi32ELi128ELi256ELb1ELi10EL8MFMAType0EEvPKT_PKT0_S8_ifPKiSA_SA_iPKfiiiPfSD_PS3_PT2_iSC_SC_.kd
    .uniform_work_group_size: 1
    .uses_dynamic_stack: false
    .vgpr_count:     172
    .vgpr_spill_count: 0
    .wavefront_size: 32
    .workgroup_processor_mode: 1
  - .args:
      - .actual_access:  read_only
        .address_space:  global
        .offset:         0
        .size:           8
        .value_kind:     global_buffer
      - .actual_access:  read_only
        .address_space:  global
        .offset:         8
        .size:           8
        .value_kind:     global_buffer
      - .actual_access:  read_only
        .address_space:  global
        .offset:         16
        .size:           8
        .value_kind:     global_buffer
      - .offset:         24
        .size:           4
        .value_kind:     by_value
      - .offset:         28
        .size:           4
        .value_kind:     by_value
      - .actual_access:  read_only
        .address_space:  global
        .offset:         32
        .size:           8
        .value_kind:     global_buffer
      - .actual_access:  read_only
        .address_space:  global
        .offset:         40
        .size:           8
        .value_kind:     global_buffer
      - .actual_access:  read_only
        .address_space:  global
        .offset:         48
        .size:           8
        .value_kind:     global_buffer
      - .offset:         56
        .size:           4
        .value_kind:     by_value
      - .actual_access:  read_only
        .address_space:  global
        .offset:         64
        .size:           8
        .value_kind:     global_buffer
      - .offset:         72
        .size:           4
        .value_kind:     by_value
      - .offset:         76
        .size:           4
        .value_kind:     by_value
      - .offset:         80
        .size:           4
        .value_kind:     by_value
      - .actual_access:  write_only
        .address_space:  global
        .offset:         88
        .size:           8
        .value_kind:     global_buffer
      - .actual_access:  write_only
        .address_space:  global
        .offset:         96
        .size:           8
        .value_kind:     global_buffer
      - .actual_access:  write_only
        .address_space:  global
        .offset:         104
        .size:           8
        .value_kind:     global_buffer
      - .actual_access:  read_only
        .address_space:  global
        .offset:         112
        .size:           8
        .value_kind:     global_buffer
      - .offset:         120
        .size:           4
        .value_kind:     by_value
      - .address_space:  global
        .offset:         128
        .size:           8
        .value_kind:     global_buffer
      - .address_space:  global
        .offset:         136
        .size:           8
        .value_kind:     global_buffer
      - .offset:         144
        .size:           4
        .value_kind:     hidden_block_count_x
      - .offset:         148
        .size:           4
        .value_kind:     hidden_block_count_y
      - .offset:         152
        .size:           4
        .value_kind:     hidden_block_count_z
      - .offset:         156
        .size:           2
        .value_kind:     hidden_group_size_x
      - .offset:         158
        .size:           2
        .value_kind:     hidden_group_size_y
      - .offset:         160
        .size:           2
        .value_kind:     hidden_group_size_z
      - .offset:         162
        .size:           2
        .value_kind:     hidden_remainder_x
      - .offset:         164
        .size:           2
        .value_kind:     hidden_remainder_y
      - .offset:         166
        .size:           2
        .value_kind:     hidden_remainder_z
      - .offset:         184
        .size:           8
        .value_kind:     hidden_global_offset_x
      - .offset:         192
        .size:           8
        .value_kind:     hidden_global_offset_y
      - .offset:         200
        .size:           8
        .value_kind:     hidden_global_offset_z
      - .offset:         208
        .size:           2
        .value_kind:     hidden_grid_dims
    .group_segment_fixed_size: 17472
    .kernarg_segment_align: 8
    .kernarg_segment_size: 400
    .language:       OpenCL C
    .language_version:
      - 2
      - 0
    .max_flat_workgroup_size: 256
    .name:           _Z39paged_attention_ll4mi_QKV_mfma16_kernelIDF16_DF16_LN4vllm18Fp8KVCacheDataTypeE0EhLi32ELi128ELi256ELb1ELi11EL8MFMAType0EEvPKT_PKT0_S8_ifPKiSA_SA_iPKfiiiPfSD_PS3_PT2_iSC_SC_
    .private_segment_fixed_size: 0
    .sgpr_count:     41
    .sgpr_spill_count: 0
    .symbol:         _Z39paged_attention_ll4mi_QKV_mfma16_kernelIDF16_DF16_LN4vllm18Fp8KVCacheDataTypeE0EhLi32ELi128ELi256ELb1ELi11EL8MFMAType0EEvPKT_PKT0_S8_ifPKiSA_SA_iPKfiiiPfSD_PS3_PT2_iSC_SC_.kd
    .uniform_work_group_size: 1
    .uses_dynamic_stack: false
    .vgpr_count:     172
    .vgpr_spill_count: 0
    .wavefront_size: 32
    .workgroup_processor_mode: 1
  - .args:
      - .actual_access:  read_only
        .address_space:  global
        .offset:         0
        .size:           8
        .value_kind:     global_buffer
      - .actual_access:  read_only
        .address_space:  global
        .offset:         8
        .size:           8
        .value_kind:     global_buffer
      - .actual_access:  read_only
        .address_space:  global
        .offset:         16
        .size:           8
        .value_kind:     global_buffer
      - .offset:         24
        .size:           4
        .value_kind:     by_value
      - .offset:         28
        .size:           4
        .value_kind:     by_value
      - .actual_access:  read_only
        .address_space:  global
        .offset:         32
        .size:           8
        .value_kind:     global_buffer
      - .actual_access:  read_only
        .address_space:  global
        .offset:         40
        .size:           8
        .value_kind:     global_buffer
      - .actual_access:  read_only
        .address_space:  global
        .offset:         48
        .size:           8
        .value_kind:     global_buffer
      - .offset:         56
        .size:           4
        .value_kind:     by_value
      - .actual_access:  read_only
        .address_space:  global
        .offset:         64
        .size:           8
        .value_kind:     global_buffer
      - .offset:         72
        .size:           4
        .value_kind:     by_value
      - .offset:         76
        .size:           4
        .value_kind:     by_value
      - .offset:         80
        .size:           4
        .value_kind:     by_value
      - .actual_access:  write_only
        .address_space:  global
        .offset:         88
        .size:           8
        .value_kind:     global_buffer
      - .actual_access:  write_only
        .address_space:  global
        .offset:         96
        .size:           8
        .value_kind:     global_buffer
      - .actual_access:  write_only
        .address_space:  global
        .offset:         104
        .size:           8
        .value_kind:     global_buffer
      - .actual_access:  read_only
        .address_space:  global
        .offset:         112
        .size:           8
        .value_kind:     global_buffer
      - .offset:         120
        .size:           4
        .value_kind:     by_value
      - .address_space:  global
        .offset:         128
        .size:           8
        .value_kind:     global_buffer
      - .address_space:  global
        .offset:         136
        .size:           8
        .value_kind:     global_buffer
      - .offset:         144
        .size:           4
        .value_kind:     hidden_block_count_x
      - .offset:         148
        .size:           4
        .value_kind:     hidden_block_count_y
      - .offset:         152
        .size:           4
        .value_kind:     hidden_block_count_z
      - .offset:         156
        .size:           2
        .value_kind:     hidden_group_size_x
      - .offset:         158
        .size:           2
        .value_kind:     hidden_group_size_y
      - .offset:         160
        .size:           2
        .value_kind:     hidden_group_size_z
      - .offset:         162
        .size:           2
        .value_kind:     hidden_remainder_x
      - .offset:         164
        .size:           2
        .value_kind:     hidden_remainder_y
      - .offset:         166
        .size:           2
        .value_kind:     hidden_remainder_z
      - .offset:         184
        .size:           8
        .value_kind:     hidden_global_offset_x
      - .offset:         192
        .size:           8
        .value_kind:     hidden_global_offset_y
      - .offset:         200
        .size:           8
        .value_kind:     hidden_global_offset_z
      - .offset:         208
        .size:           2
        .value_kind:     hidden_grid_dims
    .group_segment_fixed_size: 17472
    .kernarg_segment_align: 8
    .kernarg_segment_size: 400
    .language:       OpenCL C
    .language_version:
      - 2
      - 0
    .max_flat_workgroup_size: 256
    .name:           _Z39paged_attention_ll4mi_QKV_mfma16_kernelIDF16_DF16_LN4vllm18Fp8KVCacheDataTypeE0EhLi32ELi128ELi256ELb1ELi12EL8MFMAType0EEvPKT_PKT0_S8_ifPKiSA_SA_iPKfiiiPfSD_PS3_PT2_iSC_SC_
    .private_segment_fixed_size: 0
    .sgpr_count:     40
    .sgpr_spill_count: 0
    .symbol:         _Z39paged_attention_ll4mi_QKV_mfma16_kernelIDF16_DF16_LN4vllm18Fp8KVCacheDataTypeE0EhLi32ELi128ELi256ELb1ELi12EL8MFMAType0EEvPKT_PKT0_S8_ifPKiSA_SA_iPKfiiiPfSD_PS3_PT2_iSC_SC_.kd
    .uniform_work_group_size: 1
    .uses_dynamic_stack: false
    .vgpr_count:     172
    .vgpr_spill_count: 0
    .wavefront_size: 32
    .workgroup_processor_mode: 1
  - .args:
      - .actual_access:  read_only
        .address_space:  global
        .offset:         0
        .size:           8
        .value_kind:     global_buffer
      - .actual_access:  read_only
        .address_space:  global
        .offset:         8
        .size:           8
        .value_kind:     global_buffer
      - .actual_access:  read_only
        .address_space:  global
        .offset:         16
        .size:           8
        .value_kind:     global_buffer
      - .offset:         24
        .size:           4
        .value_kind:     by_value
      - .offset:         28
        .size:           4
        .value_kind:     by_value
      - .actual_access:  read_only
        .address_space:  global
        .offset:         32
        .size:           8
        .value_kind:     global_buffer
      - .actual_access:  read_only
        .address_space:  global
        .offset:         40
        .size:           8
        .value_kind:     global_buffer
      - .actual_access:  read_only
        .address_space:  global
        .offset:         48
        .size:           8
        .value_kind:     global_buffer
      - .offset:         56
        .size:           4
        .value_kind:     by_value
      - .actual_access:  read_only
        .address_space:  global
        .offset:         64
        .size:           8
        .value_kind:     global_buffer
      - .offset:         72
        .size:           4
        .value_kind:     by_value
      - .offset:         76
        .size:           4
        .value_kind:     by_value
      - .offset:         80
        .size:           4
        .value_kind:     by_value
      - .actual_access:  write_only
        .address_space:  global
        .offset:         88
        .size:           8
        .value_kind:     global_buffer
      - .actual_access:  write_only
        .address_space:  global
        .offset:         96
        .size:           8
        .value_kind:     global_buffer
      - .actual_access:  write_only
        .address_space:  global
        .offset:         104
        .size:           8
        .value_kind:     global_buffer
      - .actual_access:  read_only
        .address_space:  global
        .offset:         112
        .size:           8
        .value_kind:     global_buffer
      - .offset:         120
        .size:           4
        .value_kind:     by_value
      - .address_space:  global
        .offset:         128
        .size:           8
        .value_kind:     global_buffer
      - .address_space:  global
        .offset:         136
        .size:           8
        .value_kind:     global_buffer
      - .offset:         144
        .size:           4
        .value_kind:     hidden_block_count_x
      - .offset:         148
        .size:           4
        .value_kind:     hidden_block_count_y
      - .offset:         152
        .size:           4
        .value_kind:     hidden_block_count_z
      - .offset:         156
        .size:           2
        .value_kind:     hidden_group_size_x
      - .offset:         158
        .size:           2
        .value_kind:     hidden_group_size_y
      - .offset:         160
        .size:           2
        .value_kind:     hidden_group_size_z
      - .offset:         162
        .size:           2
        .value_kind:     hidden_remainder_x
      - .offset:         164
        .size:           2
        .value_kind:     hidden_remainder_y
      - .offset:         166
        .size:           2
        .value_kind:     hidden_remainder_z
      - .offset:         184
        .size:           8
        .value_kind:     hidden_global_offset_x
      - .offset:         192
        .size:           8
        .value_kind:     hidden_global_offset_y
      - .offset:         200
        .size:           8
        .value_kind:     hidden_global_offset_z
      - .offset:         208
        .size:           2
        .value_kind:     hidden_grid_dims
    .group_segment_fixed_size: 17472
    .kernarg_segment_align: 8
    .kernarg_segment_size: 400
    .language:       OpenCL C
    .language_version:
      - 2
      - 0
    .max_flat_workgroup_size: 256
    .name:           _Z39paged_attention_ll4mi_QKV_mfma16_kernelIDF16_DF16_LN4vllm18Fp8KVCacheDataTypeE0EhLi32ELi128ELi256ELb1ELi13EL8MFMAType0EEvPKT_PKT0_S8_ifPKiSA_SA_iPKfiiiPfSD_PS3_PT2_iSC_SC_
    .private_segment_fixed_size: 0
    .sgpr_count:     41
    .sgpr_spill_count: 0
    .symbol:         _Z39paged_attention_ll4mi_QKV_mfma16_kernelIDF16_DF16_LN4vllm18Fp8KVCacheDataTypeE0EhLi32ELi128ELi256ELb1ELi13EL8MFMAType0EEvPKT_PKT0_S8_ifPKiSA_SA_iPKfiiiPfSD_PS3_PT2_iSC_SC_.kd
    .uniform_work_group_size: 1
    .uses_dynamic_stack: false
    .vgpr_count:     172
    .vgpr_spill_count: 0
    .wavefront_size: 32
    .workgroup_processor_mode: 1
  - .args:
      - .actual_access:  read_only
        .address_space:  global
        .offset:         0
        .size:           8
        .value_kind:     global_buffer
      - .actual_access:  read_only
        .address_space:  global
        .offset:         8
        .size:           8
        .value_kind:     global_buffer
      - .actual_access:  read_only
        .address_space:  global
        .offset:         16
        .size:           8
        .value_kind:     global_buffer
      - .offset:         24
        .size:           4
        .value_kind:     by_value
      - .offset:         28
        .size:           4
        .value_kind:     by_value
      - .actual_access:  read_only
        .address_space:  global
        .offset:         32
        .size:           8
        .value_kind:     global_buffer
      - .actual_access:  read_only
        .address_space:  global
        .offset:         40
        .size:           8
        .value_kind:     global_buffer
      - .actual_access:  read_only
        .address_space:  global
        .offset:         48
        .size:           8
        .value_kind:     global_buffer
      - .offset:         56
        .size:           4
        .value_kind:     by_value
      - .actual_access:  read_only
        .address_space:  global
        .offset:         64
        .size:           8
        .value_kind:     global_buffer
      - .offset:         72
        .size:           4
        .value_kind:     by_value
      - .offset:         76
        .size:           4
        .value_kind:     by_value
      - .offset:         80
        .size:           4
        .value_kind:     by_value
      - .actual_access:  write_only
        .address_space:  global
        .offset:         88
        .size:           8
        .value_kind:     global_buffer
      - .actual_access:  write_only
        .address_space:  global
        .offset:         96
        .size:           8
        .value_kind:     global_buffer
      - .actual_access:  write_only
        .address_space:  global
        .offset:         104
        .size:           8
        .value_kind:     global_buffer
      - .actual_access:  read_only
        .address_space:  global
        .offset:         112
        .size:           8
        .value_kind:     global_buffer
      - .offset:         120
        .size:           4
        .value_kind:     by_value
      - .address_space:  global
        .offset:         128
        .size:           8
        .value_kind:     global_buffer
      - .address_space:  global
        .offset:         136
        .size:           8
        .value_kind:     global_buffer
      - .offset:         144
        .size:           4
        .value_kind:     hidden_block_count_x
      - .offset:         148
        .size:           4
        .value_kind:     hidden_block_count_y
      - .offset:         152
        .size:           4
        .value_kind:     hidden_block_count_z
      - .offset:         156
        .size:           2
        .value_kind:     hidden_group_size_x
      - .offset:         158
        .size:           2
        .value_kind:     hidden_group_size_y
      - .offset:         160
        .size:           2
        .value_kind:     hidden_group_size_z
      - .offset:         162
        .size:           2
        .value_kind:     hidden_remainder_x
      - .offset:         164
        .size:           2
        .value_kind:     hidden_remainder_y
      - .offset:         166
        .size:           2
        .value_kind:     hidden_remainder_z
      - .offset:         184
        .size:           8
        .value_kind:     hidden_global_offset_x
      - .offset:         192
        .size:           8
        .value_kind:     hidden_global_offset_y
      - .offset:         200
        .size:           8
        .value_kind:     hidden_global_offset_z
      - .offset:         208
        .size:           2
        .value_kind:     hidden_grid_dims
    .group_segment_fixed_size: 17472
    .kernarg_segment_align: 8
    .kernarg_segment_size: 400
    .language:       OpenCL C
    .language_version:
      - 2
      - 0
    .max_flat_workgroup_size: 256
    .name:           _Z39paged_attention_ll4mi_QKV_mfma16_kernelIDF16_DF16_LN4vllm18Fp8KVCacheDataTypeE0EhLi32ELi128ELi256ELb1ELi14EL8MFMAType0EEvPKT_PKT0_S8_ifPKiSA_SA_iPKfiiiPfSD_PS3_PT2_iSC_SC_
    .private_segment_fixed_size: 0
    .sgpr_count:     40
    .sgpr_spill_count: 0
    .symbol:         _Z39paged_attention_ll4mi_QKV_mfma16_kernelIDF16_DF16_LN4vllm18Fp8KVCacheDataTypeE0EhLi32ELi128ELi256ELb1ELi14EL8MFMAType0EEvPKT_PKT0_S8_ifPKiSA_SA_iPKfiiiPfSD_PS3_PT2_iSC_SC_.kd
    .uniform_work_group_size: 1
    .uses_dynamic_stack: false
    .vgpr_count:     172
    .vgpr_spill_count: 0
    .wavefront_size: 32
    .workgroup_processor_mode: 1
  - .args:
      - .actual_access:  read_only
        .address_space:  global
        .offset:         0
        .size:           8
        .value_kind:     global_buffer
      - .actual_access:  read_only
        .address_space:  global
        .offset:         8
        .size:           8
        .value_kind:     global_buffer
      - .actual_access:  read_only
        .address_space:  global
        .offset:         16
        .size:           8
        .value_kind:     global_buffer
      - .offset:         24
        .size:           4
        .value_kind:     by_value
      - .offset:         28
        .size:           4
        .value_kind:     by_value
      - .actual_access:  read_only
        .address_space:  global
        .offset:         32
        .size:           8
        .value_kind:     global_buffer
      - .actual_access:  read_only
        .address_space:  global
        .offset:         40
        .size:           8
        .value_kind:     global_buffer
      - .actual_access:  read_only
        .address_space:  global
        .offset:         48
        .size:           8
        .value_kind:     global_buffer
      - .offset:         56
        .size:           4
        .value_kind:     by_value
      - .actual_access:  read_only
        .address_space:  global
        .offset:         64
        .size:           8
        .value_kind:     global_buffer
      - .offset:         72
        .size:           4
        .value_kind:     by_value
      - .offset:         76
        .size:           4
        .value_kind:     by_value
      - .offset:         80
        .size:           4
        .value_kind:     by_value
      - .actual_access:  write_only
        .address_space:  global
        .offset:         88
        .size:           8
        .value_kind:     global_buffer
      - .actual_access:  write_only
        .address_space:  global
        .offset:         96
        .size:           8
        .value_kind:     global_buffer
      - .actual_access:  write_only
        .address_space:  global
        .offset:         104
        .size:           8
        .value_kind:     global_buffer
      - .actual_access:  read_only
        .address_space:  global
        .offset:         112
        .size:           8
        .value_kind:     global_buffer
      - .offset:         120
        .size:           4
        .value_kind:     by_value
      - .address_space:  global
        .offset:         128
        .size:           8
        .value_kind:     global_buffer
      - .address_space:  global
        .offset:         136
        .size:           8
        .value_kind:     global_buffer
      - .offset:         144
        .size:           4
        .value_kind:     hidden_block_count_x
      - .offset:         148
        .size:           4
        .value_kind:     hidden_block_count_y
      - .offset:         152
        .size:           4
        .value_kind:     hidden_block_count_z
      - .offset:         156
        .size:           2
        .value_kind:     hidden_group_size_x
      - .offset:         158
        .size:           2
        .value_kind:     hidden_group_size_y
      - .offset:         160
        .size:           2
        .value_kind:     hidden_group_size_z
      - .offset:         162
        .size:           2
        .value_kind:     hidden_remainder_x
      - .offset:         164
        .size:           2
        .value_kind:     hidden_remainder_y
      - .offset:         166
        .size:           2
        .value_kind:     hidden_remainder_z
      - .offset:         184
        .size:           8
        .value_kind:     hidden_global_offset_x
      - .offset:         192
        .size:           8
        .value_kind:     hidden_global_offset_y
      - .offset:         200
        .size:           8
        .value_kind:     hidden_global_offset_z
      - .offset:         208
        .size:           2
        .value_kind:     hidden_grid_dims
    .group_segment_fixed_size: 17472
    .kernarg_segment_align: 8
    .kernarg_segment_size: 400
    .language:       OpenCL C
    .language_version:
      - 2
      - 0
    .max_flat_workgroup_size: 256
    .name:           _Z39paged_attention_ll4mi_QKV_mfma16_kernelIDF16_DF16_LN4vllm18Fp8KVCacheDataTypeE0EhLi32ELi128ELi256ELb1ELi15EL8MFMAType0EEvPKT_PKT0_S8_ifPKiSA_SA_iPKfiiiPfSD_PS3_PT2_iSC_SC_
    .private_segment_fixed_size: 0
    .sgpr_count:     41
    .sgpr_spill_count: 0
    .symbol:         _Z39paged_attention_ll4mi_QKV_mfma16_kernelIDF16_DF16_LN4vllm18Fp8KVCacheDataTypeE0EhLi32ELi128ELi256ELb1ELi15EL8MFMAType0EEvPKT_PKT0_S8_ifPKiSA_SA_iPKfiiiPfSD_PS3_PT2_iSC_SC_.kd
    .uniform_work_group_size: 1
    .uses_dynamic_stack: false
    .vgpr_count:     172
    .vgpr_spill_count: 0
    .wavefront_size: 32
    .workgroup_processor_mode: 1
  - .args:
      - .actual_access:  read_only
        .address_space:  global
        .offset:         0
        .size:           8
        .value_kind:     global_buffer
      - .actual_access:  read_only
        .address_space:  global
        .offset:         8
        .size:           8
        .value_kind:     global_buffer
      - .actual_access:  read_only
        .address_space:  global
        .offset:         16
        .size:           8
        .value_kind:     global_buffer
      - .offset:         24
        .size:           4
        .value_kind:     by_value
      - .offset:         28
        .size:           4
        .value_kind:     by_value
      - .actual_access:  read_only
        .address_space:  global
        .offset:         32
        .size:           8
        .value_kind:     global_buffer
      - .actual_access:  read_only
        .address_space:  global
        .offset:         40
        .size:           8
        .value_kind:     global_buffer
      - .actual_access:  read_only
        .address_space:  global
        .offset:         48
        .size:           8
        .value_kind:     global_buffer
      - .offset:         56
        .size:           4
        .value_kind:     by_value
      - .actual_access:  read_only
        .address_space:  global
        .offset:         64
        .size:           8
        .value_kind:     global_buffer
      - .offset:         72
        .size:           4
        .value_kind:     by_value
      - .offset:         76
        .size:           4
        .value_kind:     by_value
      - .offset:         80
        .size:           4
        .value_kind:     by_value
      - .actual_access:  write_only
        .address_space:  global
        .offset:         88
        .size:           8
        .value_kind:     global_buffer
      - .actual_access:  write_only
        .address_space:  global
        .offset:         96
        .size:           8
        .value_kind:     global_buffer
      - .actual_access:  write_only
        .address_space:  global
        .offset:         104
        .size:           8
        .value_kind:     global_buffer
      - .actual_access:  read_only
        .address_space:  global
        .offset:         112
        .size:           8
        .value_kind:     global_buffer
      - .offset:         120
        .size:           4
        .value_kind:     by_value
      - .address_space:  global
        .offset:         128
        .size:           8
        .value_kind:     global_buffer
      - .address_space:  global
        .offset:         136
        .size:           8
        .value_kind:     global_buffer
      - .offset:         144
        .size:           4
        .value_kind:     hidden_block_count_x
      - .offset:         148
        .size:           4
        .value_kind:     hidden_block_count_y
      - .offset:         152
        .size:           4
        .value_kind:     hidden_block_count_z
      - .offset:         156
        .size:           2
        .value_kind:     hidden_group_size_x
      - .offset:         158
        .size:           2
        .value_kind:     hidden_group_size_y
      - .offset:         160
        .size:           2
        .value_kind:     hidden_group_size_z
      - .offset:         162
        .size:           2
        .value_kind:     hidden_remainder_x
      - .offset:         164
        .size:           2
        .value_kind:     hidden_remainder_y
      - .offset:         166
        .size:           2
        .value_kind:     hidden_remainder_z
      - .offset:         184
        .size:           8
        .value_kind:     hidden_global_offset_x
      - .offset:         192
        .size:           8
        .value_kind:     hidden_global_offset_y
      - .offset:         200
        .size:           8
        .value_kind:     hidden_global_offset_z
      - .offset:         208
        .size:           2
        .value_kind:     hidden_grid_dims
    .group_segment_fixed_size: 17472
    .kernarg_segment_align: 8
    .kernarg_segment_size: 400
    .language:       OpenCL C
    .language_version:
      - 2
      - 0
    .max_flat_workgroup_size: 256
    .name:           _Z39paged_attention_ll4mi_QKV_mfma16_kernelIDF16_DF16_LN4vllm18Fp8KVCacheDataTypeE0EhLi32ELi128ELi256ELb1ELi16EL8MFMAType0EEvPKT_PKT0_S8_ifPKiSA_SA_iPKfiiiPfSD_PS3_PT2_iSC_SC_
    .private_segment_fixed_size: 0
    .sgpr_count:     40
    .sgpr_spill_count: 0
    .symbol:         _Z39paged_attention_ll4mi_QKV_mfma16_kernelIDF16_DF16_LN4vllm18Fp8KVCacheDataTypeE0EhLi32ELi128ELi256ELb1ELi16EL8MFMAType0EEvPKT_PKT0_S8_ifPKiSA_SA_iPKfiiiPfSD_PS3_PT2_iSC_SC_.kd
    .uniform_work_group_size: 1
    .uses_dynamic_stack: false
    .vgpr_count:     171
    .vgpr_spill_count: 0
    .wavefront_size: 32
    .workgroup_processor_mode: 1
  - .args:
      - .actual_access:  read_only
        .address_space:  global
        .offset:         0
        .size:           8
        .value_kind:     global_buffer
      - .actual_access:  read_only
        .address_space:  global
        .offset:         8
        .size:           8
        .value_kind:     global_buffer
      - .actual_access:  read_only
        .address_space:  global
        .offset:         16
        .size:           8
        .value_kind:     global_buffer
      - .offset:         24
        .size:           4
        .value_kind:     by_value
      - .offset:         28
        .size:           4
        .value_kind:     by_value
      - .actual_access:  read_only
        .address_space:  global
        .offset:         32
        .size:           8
        .value_kind:     global_buffer
      - .actual_access:  read_only
        .address_space:  global
        .offset:         40
        .size:           8
        .value_kind:     global_buffer
      - .actual_access:  read_only
        .address_space:  global
        .offset:         48
        .size:           8
        .value_kind:     global_buffer
      - .offset:         56
        .size:           4
        .value_kind:     by_value
      - .actual_access:  read_only
        .address_space:  global
        .offset:         64
        .size:           8
        .value_kind:     global_buffer
      - .offset:         72
        .size:           4
        .value_kind:     by_value
      - .offset:         76
        .size:           4
        .value_kind:     by_value
      - .offset:         80
        .size:           4
        .value_kind:     by_value
      - .actual_access:  write_only
        .address_space:  global
        .offset:         88
        .size:           8
        .value_kind:     global_buffer
      - .actual_access:  write_only
        .address_space:  global
        .offset:         96
        .size:           8
        .value_kind:     global_buffer
      - .actual_access:  write_only
        .address_space:  global
        .offset:         104
        .size:           8
        .value_kind:     global_buffer
      - .actual_access:  read_only
        .address_space:  global
        .offset:         112
        .size:           8
        .value_kind:     global_buffer
      - .offset:         120
        .size:           4
        .value_kind:     by_value
      - .address_space:  global
        .offset:         128
        .size:           8
        .value_kind:     global_buffer
      - .address_space:  global
        .offset:         136
        .size:           8
        .value_kind:     global_buffer
      - .offset:         144
        .size:           4
        .value_kind:     hidden_block_count_x
      - .offset:         148
        .size:           4
        .value_kind:     hidden_block_count_y
      - .offset:         152
        .size:           4
        .value_kind:     hidden_block_count_z
      - .offset:         156
        .size:           2
        .value_kind:     hidden_group_size_x
      - .offset:         158
        .size:           2
        .value_kind:     hidden_group_size_y
      - .offset:         160
        .size:           2
        .value_kind:     hidden_group_size_z
      - .offset:         162
        .size:           2
        .value_kind:     hidden_remainder_x
      - .offset:         164
        .size:           2
        .value_kind:     hidden_remainder_y
      - .offset:         166
        .size:           2
        .value_kind:     hidden_remainder_z
      - .offset:         184
        .size:           8
        .value_kind:     hidden_global_offset_x
      - .offset:         192
        .size:           8
        .value_kind:     hidden_global_offset_y
      - .offset:         200
        .size:           8
        .value_kind:     hidden_global_offset_z
      - .offset:         208
        .size:           2
        .value_kind:     hidden_grid_dims
    .group_segment_fixed_size: 17472
    .kernarg_segment_align: 8
    .kernarg_segment_size: 400
    .language:       OpenCL C
    .language_version:
      - 2
      - 0
    .max_flat_workgroup_size: 256
    .name:           _Z39paged_attention_ll4mi_QKV_mfma16_kernelIDF16_DF16_LN4vllm18Fp8KVCacheDataTypeE0EhLi32ELi128ELi256ELb1ELi1EL8MFMAType0EEvPKT_PKT0_S8_ifPKiSA_SA_iPKfiiiPfSD_PS3_PT2_iSC_SC_
    .private_segment_fixed_size: 0
    .sgpr_count:     98
    .sgpr_spill_count: 0
    .symbol:         _Z39paged_attention_ll4mi_QKV_mfma16_kernelIDF16_DF16_LN4vllm18Fp8KVCacheDataTypeE0EhLi32ELi128ELi256ELb1ELi1EL8MFMAType0EEvPKT_PKT0_S8_ifPKiSA_SA_iPKfiiiPfSD_PS3_PT2_iSC_SC_.kd
    .uniform_work_group_size: 1
    .uses_dynamic_stack: false
    .vgpr_count:     165
    .vgpr_spill_count: 0
    .wavefront_size: 32
    .workgroup_processor_mode: 1
  - .args:
      - .actual_access:  read_only
        .address_space:  global
        .offset:         0
        .size:           8
        .value_kind:     global_buffer
      - .actual_access:  read_only
        .address_space:  global
        .offset:         8
        .size:           8
        .value_kind:     global_buffer
      - .actual_access:  read_only
        .address_space:  global
        .offset:         16
        .size:           8
        .value_kind:     global_buffer
      - .offset:         24
        .size:           4
        .value_kind:     by_value
      - .offset:         28
        .size:           4
        .value_kind:     by_value
      - .actual_access:  read_only
        .address_space:  global
        .offset:         32
        .size:           8
        .value_kind:     global_buffer
      - .actual_access:  read_only
        .address_space:  global
        .offset:         40
        .size:           8
        .value_kind:     global_buffer
      - .actual_access:  read_only
        .address_space:  global
        .offset:         48
        .size:           8
        .value_kind:     global_buffer
      - .offset:         56
        .size:           4
        .value_kind:     by_value
      - .actual_access:  read_only
        .address_space:  global
        .offset:         64
        .size:           8
        .value_kind:     global_buffer
      - .offset:         72
        .size:           4
        .value_kind:     by_value
      - .offset:         76
        .size:           4
        .value_kind:     by_value
      - .offset:         80
        .size:           4
        .value_kind:     by_value
      - .actual_access:  write_only
        .address_space:  global
        .offset:         88
        .size:           8
        .value_kind:     global_buffer
      - .actual_access:  write_only
        .address_space:  global
        .offset:         96
        .size:           8
        .value_kind:     global_buffer
      - .actual_access:  write_only
        .address_space:  global
        .offset:         104
        .size:           8
        .value_kind:     global_buffer
      - .actual_access:  read_only
        .address_space:  global
        .offset:         112
        .size:           8
        .value_kind:     global_buffer
      - .offset:         120
        .size:           4
        .value_kind:     by_value
      - .address_space:  global
        .offset:         128
        .size:           8
        .value_kind:     global_buffer
      - .address_space:  global
        .offset:         136
        .size:           8
        .value_kind:     global_buffer
      - .offset:         144
        .size:           4
        .value_kind:     hidden_block_count_x
      - .offset:         148
        .size:           4
        .value_kind:     hidden_block_count_y
      - .offset:         152
        .size:           4
        .value_kind:     hidden_block_count_z
      - .offset:         156
        .size:           2
        .value_kind:     hidden_group_size_x
      - .offset:         158
        .size:           2
        .value_kind:     hidden_group_size_y
      - .offset:         160
        .size:           2
        .value_kind:     hidden_group_size_z
      - .offset:         162
        .size:           2
        .value_kind:     hidden_remainder_x
      - .offset:         164
        .size:           2
        .value_kind:     hidden_remainder_y
      - .offset:         166
        .size:           2
        .value_kind:     hidden_remainder_z
      - .offset:         184
        .size:           8
        .value_kind:     hidden_global_offset_x
      - .offset:         192
        .size:           8
        .value_kind:     hidden_global_offset_y
      - .offset:         200
        .size:           8
        .value_kind:     hidden_global_offset_z
      - .offset:         208
        .size:           2
        .value_kind:     hidden_grid_dims
    .group_segment_fixed_size: 17472
    .kernarg_segment_align: 8
    .kernarg_segment_size: 400
    .language:       OpenCL C
    .language_version:
      - 2
      - 0
    .max_flat_workgroup_size: 256
    .name:           _Z39paged_attention_ll4mi_QKV_mfma16_kernelIDF16_DF16_LN4vllm18Fp8KVCacheDataTypeE0EhLi32ELi128ELi256ELb1ELi2EL8MFMAType0EEvPKT_PKT0_S8_ifPKiSA_SA_iPKfiiiPfSD_PS3_PT2_iSC_SC_
    .private_segment_fixed_size: 0
    .sgpr_count:     41
    .sgpr_spill_count: 0
    .symbol:         _Z39paged_attention_ll4mi_QKV_mfma16_kernelIDF16_DF16_LN4vllm18Fp8KVCacheDataTypeE0EhLi32ELi128ELi256ELb1ELi2EL8MFMAType0EEvPKT_PKT0_S8_ifPKiSA_SA_iPKfiiiPfSD_PS3_PT2_iSC_SC_.kd
    .uniform_work_group_size: 1
    .uses_dynamic_stack: false
    .vgpr_count:     174
    .vgpr_spill_count: 0
    .wavefront_size: 32
    .workgroup_processor_mode: 1
  - .args:
      - .actual_access:  read_only
        .address_space:  global
        .offset:         0
        .size:           8
        .value_kind:     global_buffer
      - .actual_access:  read_only
        .address_space:  global
        .offset:         8
        .size:           8
        .value_kind:     global_buffer
      - .actual_access:  read_only
        .address_space:  global
        .offset:         16
        .size:           8
        .value_kind:     global_buffer
      - .offset:         24
        .size:           4
        .value_kind:     by_value
      - .offset:         28
        .size:           4
        .value_kind:     by_value
      - .actual_access:  read_only
        .address_space:  global
        .offset:         32
        .size:           8
        .value_kind:     global_buffer
      - .actual_access:  read_only
        .address_space:  global
        .offset:         40
        .size:           8
        .value_kind:     global_buffer
      - .actual_access:  read_only
        .address_space:  global
        .offset:         48
        .size:           8
        .value_kind:     global_buffer
      - .offset:         56
        .size:           4
        .value_kind:     by_value
      - .actual_access:  read_only
        .address_space:  global
        .offset:         64
        .size:           8
        .value_kind:     global_buffer
      - .offset:         72
        .size:           4
        .value_kind:     by_value
      - .offset:         76
        .size:           4
        .value_kind:     by_value
      - .offset:         80
        .size:           4
        .value_kind:     by_value
      - .actual_access:  write_only
        .address_space:  global
        .offset:         88
        .size:           8
        .value_kind:     global_buffer
      - .actual_access:  write_only
        .address_space:  global
        .offset:         96
        .size:           8
        .value_kind:     global_buffer
      - .actual_access:  write_only
        .address_space:  global
        .offset:         104
        .size:           8
        .value_kind:     global_buffer
      - .actual_access:  read_only
        .address_space:  global
        .offset:         112
        .size:           8
        .value_kind:     global_buffer
      - .offset:         120
        .size:           4
        .value_kind:     by_value
      - .address_space:  global
        .offset:         128
        .size:           8
        .value_kind:     global_buffer
      - .address_space:  global
        .offset:         136
        .size:           8
        .value_kind:     global_buffer
      - .offset:         144
        .size:           4
        .value_kind:     hidden_block_count_x
      - .offset:         148
        .size:           4
        .value_kind:     hidden_block_count_y
      - .offset:         152
        .size:           4
        .value_kind:     hidden_block_count_z
      - .offset:         156
        .size:           2
        .value_kind:     hidden_group_size_x
      - .offset:         158
        .size:           2
        .value_kind:     hidden_group_size_y
      - .offset:         160
        .size:           2
        .value_kind:     hidden_group_size_z
      - .offset:         162
        .size:           2
        .value_kind:     hidden_remainder_x
      - .offset:         164
        .size:           2
        .value_kind:     hidden_remainder_y
      - .offset:         166
        .size:           2
        .value_kind:     hidden_remainder_z
      - .offset:         184
        .size:           8
        .value_kind:     hidden_global_offset_x
      - .offset:         192
        .size:           8
        .value_kind:     hidden_global_offset_y
      - .offset:         200
        .size:           8
        .value_kind:     hidden_global_offset_z
      - .offset:         208
        .size:           2
        .value_kind:     hidden_grid_dims
    .group_segment_fixed_size: 17472
    .kernarg_segment_align: 8
    .kernarg_segment_size: 400
    .language:       OpenCL C
    .language_version:
      - 2
      - 0
    .max_flat_workgroup_size: 256
    .name:           _Z39paged_attention_ll4mi_QKV_mfma16_kernelIDF16_DF16_LN4vllm18Fp8KVCacheDataTypeE0EhLi32ELi128ELi256ELb1ELi3EL8MFMAType0EEvPKT_PKT0_S8_ifPKiSA_SA_iPKfiiiPfSD_PS3_PT2_iSC_SC_
    .private_segment_fixed_size: 0
    .sgpr_count:     41
    .sgpr_spill_count: 0
    .symbol:         _Z39paged_attention_ll4mi_QKV_mfma16_kernelIDF16_DF16_LN4vllm18Fp8KVCacheDataTypeE0EhLi32ELi128ELi256ELb1ELi3EL8MFMAType0EEvPKT_PKT0_S8_ifPKiSA_SA_iPKfiiiPfSD_PS3_PT2_iSC_SC_.kd
    .uniform_work_group_size: 1
    .uses_dynamic_stack: false
    .vgpr_count:     172
    .vgpr_spill_count: 0
    .wavefront_size: 32
    .workgroup_processor_mode: 1
  - .args:
      - .actual_access:  read_only
        .address_space:  global
        .offset:         0
        .size:           8
        .value_kind:     global_buffer
      - .actual_access:  read_only
        .address_space:  global
        .offset:         8
        .size:           8
        .value_kind:     global_buffer
      - .actual_access:  read_only
        .address_space:  global
        .offset:         16
        .size:           8
        .value_kind:     global_buffer
      - .offset:         24
        .size:           4
        .value_kind:     by_value
      - .offset:         28
        .size:           4
        .value_kind:     by_value
      - .actual_access:  read_only
        .address_space:  global
        .offset:         32
        .size:           8
        .value_kind:     global_buffer
      - .actual_access:  read_only
        .address_space:  global
        .offset:         40
        .size:           8
        .value_kind:     global_buffer
      - .actual_access:  read_only
        .address_space:  global
        .offset:         48
        .size:           8
        .value_kind:     global_buffer
      - .offset:         56
        .size:           4
        .value_kind:     by_value
      - .actual_access:  read_only
        .address_space:  global
        .offset:         64
        .size:           8
        .value_kind:     global_buffer
      - .offset:         72
        .size:           4
        .value_kind:     by_value
      - .offset:         76
        .size:           4
        .value_kind:     by_value
      - .offset:         80
        .size:           4
        .value_kind:     by_value
      - .actual_access:  write_only
        .address_space:  global
        .offset:         88
        .size:           8
        .value_kind:     global_buffer
      - .actual_access:  write_only
        .address_space:  global
        .offset:         96
        .size:           8
        .value_kind:     global_buffer
      - .actual_access:  write_only
        .address_space:  global
        .offset:         104
        .size:           8
        .value_kind:     global_buffer
      - .actual_access:  read_only
        .address_space:  global
        .offset:         112
        .size:           8
        .value_kind:     global_buffer
      - .offset:         120
        .size:           4
        .value_kind:     by_value
      - .address_space:  global
        .offset:         128
        .size:           8
        .value_kind:     global_buffer
      - .address_space:  global
        .offset:         136
        .size:           8
        .value_kind:     global_buffer
      - .offset:         144
        .size:           4
        .value_kind:     hidden_block_count_x
      - .offset:         148
        .size:           4
        .value_kind:     hidden_block_count_y
      - .offset:         152
        .size:           4
        .value_kind:     hidden_block_count_z
      - .offset:         156
        .size:           2
        .value_kind:     hidden_group_size_x
      - .offset:         158
        .size:           2
        .value_kind:     hidden_group_size_y
      - .offset:         160
        .size:           2
        .value_kind:     hidden_group_size_z
      - .offset:         162
        .size:           2
        .value_kind:     hidden_remainder_x
      - .offset:         164
        .size:           2
        .value_kind:     hidden_remainder_y
      - .offset:         166
        .size:           2
        .value_kind:     hidden_remainder_z
      - .offset:         184
        .size:           8
        .value_kind:     hidden_global_offset_x
      - .offset:         192
        .size:           8
        .value_kind:     hidden_global_offset_y
      - .offset:         200
        .size:           8
        .value_kind:     hidden_global_offset_z
      - .offset:         208
        .size:           2
        .value_kind:     hidden_grid_dims
    .group_segment_fixed_size: 17472
    .kernarg_segment_align: 8
    .kernarg_segment_size: 400
    .language:       OpenCL C
    .language_version:
      - 2
      - 0
    .max_flat_workgroup_size: 256
    .name:           _Z39paged_attention_ll4mi_QKV_mfma16_kernelIDF16_DF16_LN4vllm18Fp8KVCacheDataTypeE0EhLi32ELi128ELi256ELb1ELi4EL8MFMAType0EEvPKT_PKT0_S8_ifPKiSA_SA_iPKfiiiPfSD_PS3_PT2_iSC_SC_
    .private_segment_fixed_size: 0
    .sgpr_count:     40
    .sgpr_spill_count: 0
    .symbol:         _Z39paged_attention_ll4mi_QKV_mfma16_kernelIDF16_DF16_LN4vllm18Fp8KVCacheDataTypeE0EhLi32ELi128ELi256ELb1ELi4EL8MFMAType0EEvPKT_PKT0_S8_ifPKiSA_SA_iPKfiiiPfSD_PS3_PT2_iSC_SC_.kd
    .uniform_work_group_size: 1
    .uses_dynamic_stack: false
    .vgpr_count:     172
    .vgpr_spill_count: 0
    .wavefront_size: 32
    .workgroup_processor_mode: 1
  - .args:
      - .actual_access:  read_only
        .address_space:  global
        .offset:         0
        .size:           8
        .value_kind:     global_buffer
      - .actual_access:  read_only
        .address_space:  global
        .offset:         8
        .size:           8
        .value_kind:     global_buffer
      - .actual_access:  read_only
        .address_space:  global
        .offset:         16
        .size:           8
        .value_kind:     global_buffer
      - .offset:         24
        .size:           4
        .value_kind:     by_value
      - .offset:         28
        .size:           4
        .value_kind:     by_value
      - .actual_access:  read_only
        .address_space:  global
        .offset:         32
        .size:           8
        .value_kind:     global_buffer
      - .actual_access:  read_only
        .address_space:  global
        .offset:         40
        .size:           8
        .value_kind:     global_buffer
      - .actual_access:  read_only
        .address_space:  global
        .offset:         48
        .size:           8
        .value_kind:     global_buffer
      - .offset:         56
        .size:           4
        .value_kind:     by_value
      - .actual_access:  read_only
        .address_space:  global
        .offset:         64
        .size:           8
        .value_kind:     global_buffer
      - .offset:         72
        .size:           4
        .value_kind:     by_value
      - .offset:         76
        .size:           4
        .value_kind:     by_value
      - .offset:         80
        .size:           4
        .value_kind:     by_value
      - .actual_access:  read_only
        .address_space:  global
        .offset:         88
        .size:           8
        .value_kind:     global_buffer
      - .actual_access:  read_only
        .address_space:  global
        .offset:         96
        .size:           8
        .value_kind:     global_buffer
      - .actual_access:  read_only
        .address_space:  global
        .offset:         104
        .size:           8
        .value_kind:     global_buffer
      - .actual_access:  read_only
        .address_space:  global
        .offset:         112
        .size:           8
        .value_kind:     global_buffer
      - .offset:         120
        .size:           4
        .value_kind:     by_value
      - .address_space:  global
        .offset:         128
        .size:           8
        .value_kind:     global_buffer
      - .address_space:  global
        .offset:         136
        .size:           8
        .value_kind:     global_buffer
      - .offset:         144
        .size:           4
        .value_kind:     hidden_block_count_x
      - .offset:         148
        .size:           4
        .value_kind:     hidden_block_count_y
      - .offset:         152
        .size:           4
        .value_kind:     hidden_block_count_z
      - .offset:         156
        .size:           2
        .value_kind:     hidden_group_size_x
      - .offset:         158
        .size:           2
        .value_kind:     hidden_group_size_y
      - .offset:         160
        .size:           2
        .value_kind:     hidden_group_size_z
      - .offset:         162
        .size:           2
        .value_kind:     hidden_remainder_x
      - .offset:         164
        .size:           2
        .value_kind:     hidden_remainder_y
      - .offset:         166
        .size:           2
        .value_kind:     hidden_remainder_z
      - .offset:         184
        .size:           8
        .value_kind:     hidden_global_offset_x
      - .offset:         192
        .size:           8
        .value_kind:     hidden_global_offset_y
      - .offset:         200
        .size:           8
        .value_kind:     hidden_global_offset_z
      - .offset:         208
        .size:           2
        .value_kind:     hidden_grid_dims
      - .offset:         224
        .size:           8
        .value_kind:     hidden_hostcall_buffer
    .group_segment_fixed_size: 0
    .kernarg_segment_align: 8
    .kernarg_segment_size: 400
    .language:       OpenCL C
    .language_version:
      - 2
      - 0
    .max_flat_workgroup_size: 256
    .name:           _Z38paged_attention_ll4mi_QKV_mfma4_kernelIDF16_DF16_LN4vllm18Fp8KVCacheDataTypeE0EhLi32ELi128ELi256ELb0ELi1EEvPKT_PKT0_S7_ifPKiS9_S9_iPKfiiiPfSC_PS2_PT2_iSB_SB_
    .private_segment_fixed_size: 64
    .sgpr_count:     36
    .sgpr_spill_count: 0
    .symbol:         _Z38paged_attention_ll4mi_QKV_mfma4_kernelIDF16_DF16_LN4vllm18Fp8KVCacheDataTypeE0EhLi32ELi128ELi256ELb0ELi1EEvPKT_PKT0_S7_ifPKiS9_S9_iPKfiiiPfSC_PS2_PT2_iSB_SB_.kd
    .uniform_work_group_size: 1
    .uses_dynamic_stack: false
    .vgpr_count:     41
    .vgpr_spill_count: 0
    .wavefront_size: 32
    .workgroup_processor_mode: 1
  - .args:
      - .actual_access:  read_only
        .address_space:  global
        .offset:         0
        .size:           8
        .value_kind:     global_buffer
      - .actual_access:  read_only
        .address_space:  global
        .offset:         8
        .size:           8
        .value_kind:     global_buffer
      - .actual_access:  read_only
        .address_space:  global
        .offset:         16
        .size:           8
        .value_kind:     global_buffer
      - .offset:         24
        .size:           4
        .value_kind:     by_value
      - .offset:         28
        .size:           4
        .value_kind:     by_value
      - .actual_access:  read_only
        .address_space:  global
        .offset:         32
        .size:           8
        .value_kind:     global_buffer
      - .actual_access:  read_only
        .address_space:  global
        .offset:         40
        .size:           8
        .value_kind:     global_buffer
      - .actual_access:  read_only
        .address_space:  global
        .offset:         48
        .size:           8
        .value_kind:     global_buffer
      - .offset:         56
        .size:           4
        .value_kind:     by_value
      - .actual_access:  read_only
        .address_space:  global
        .offset:         64
        .size:           8
        .value_kind:     global_buffer
      - .offset:         72
        .size:           4
        .value_kind:     by_value
      - .offset:         76
        .size:           4
        .value_kind:     by_value
      - .offset:         80
        .size:           4
        .value_kind:     by_value
      - .actual_access:  read_only
        .address_space:  global
        .offset:         88
        .size:           8
        .value_kind:     global_buffer
      - .actual_access:  read_only
        .address_space:  global
        .offset:         96
        .size:           8
        .value_kind:     global_buffer
      - .actual_access:  read_only
        .address_space:  global
        .offset:         104
        .size:           8
        .value_kind:     global_buffer
      - .actual_access:  read_only
        .address_space:  global
        .offset:         112
        .size:           8
        .value_kind:     global_buffer
      - .offset:         120
        .size:           4
        .value_kind:     by_value
      - .address_space:  global
        .offset:         128
        .size:           8
        .value_kind:     global_buffer
      - .address_space:  global
        .offset:         136
        .size:           8
        .value_kind:     global_buffer
      - .offset:         144
        .size:           4
        .value_kind:     hidden_block_count_x
      - .offset:         148
        .size:           4
        .value_kind:     hidden_block_count_y
      - .offset:         152
        .size:           4
        .value_kind:     hidden_block_count_z
      - .offset:         156
        .size:           2
        .value_kind:     hidden_group_size_x
      - .offset:         158
        .size:           2
        .value_kind:     hidden_group_size_y
      - .offset:         160
        .size:           2
        .value_kind:     hidden_group_size_z
      - .offset:         162
        .size:           2
        .value_kind:     hidden_remainder_x
      - .offset:         164
        .size:           2
        .value_kind:     hidden_remainder_y
      - .offset:         166
        .size:           2
        .value_kind:     hidden_remainder_z
      - .offset:         184
        .size:           8
        .value_kind:     hidden_global_offset_x
      - .offset:         192
        .size:           8
        .value_kind:     hidden_global_offset_y
      - .offset:         200
        .size:           8
        .value_kind:     hidden_global_offset_z
      - .offset:         208
        .size:           2
        .value_kind:     hidden_grid_dims
      - .offset:         224
        .size:           8
        .value_kind:     hidden_hostcall_buffer
    .group_segment_fixed_size: 0
    .kernarg_segment_align: 8
    .kernarg_segment_size: 400
    .language:       OpenCL C
    .language_version:
      - 2
      - 0
    .max_flat_workgroup_size: 256
    .name:           _Z38paged_attention_ll4mi_QKV_mfma4_kernelIDF16_DF16_LN4vllm18Fp8KVCacheDataTypeE0EhLi32ELi128ELi256ELb0ELi2EEvPKT_PKT0_S7_ifPKiS9_S9_iPKfiiiPfSC_PS2_PT2_iSB_SB_
    .private_segment_fixed_size: 64
    .sgpr_count:     36
    .sgpr_spill_count: 0
    .symbol:         _Z38paged_attention_ll4mi_QKV_mfma4_kernelIDF16_DF16_LN4vllm18Fp8KVCacheDataTypeE0EhLi32ELi128ELi256ELb0ELi2EEvPKT_PKT0_S7_ifPKiS9_S9_iPKfiiiPfSC_PS2_PT2_iSB_SB_.kd
    .uniform_work_group_size: 1
    .uses_dynamic_stack: false
    .vgpr_count:     41
    .vgpr_spill_count: 0
    .wavefront_size: 32
    .workgroup_processor_mode: 1
  - .args:
      - .actual_access:  read_only
        .address_space:  global
        .offset:         0
        .size:           8
        .value_kind:     global_buffer
      - .actual_access:  read_only
        .address_space:  global
        .offset:         8
        .size:           8
        .value_kind:     global_buffer
      - .actual_access:  read_only
        .address_space:  global
        .offset:         16
        .size:           8
        .value_kind:     global_buffer
      - .offset:         24
        .size:           4
        .value_kind:     by_value
      - .offset:         28
        .size:           4
        .value_kind:     by_value
      - .actual_access:  read_only
        .address_space:  global
        .offset:         32
        .size:           8
        .value_kind:     global_buffer
      - .actual_access:  read_only
        .address_space:  global
        .offset:         40
        .size:           8
        .value_kind:     global_buffer
      - .actual_access:  read_only
        .address_space:  global
        .offset:         48
        .size:           8
        .value_kind:     global_buffer
      - .offset:         56
        .size:           4
        .value_kind:     by_value
      - .actual_access:  read_only
        .address_space:  global
        .offset:         64
        .size:           8
        .value_kind:     global_buffer
      - .offset:         72
        .size:           4
        .value_kind:     by_value
      - .offset:         76
        .size:           4
        .value_kind:     by_value
      - .offset:         80
        .size:           4
        .value_kind:     by_value
      - .actual_access:  read_only
        .address_space:  global
        .offset:         88
        .size:           8
        .value_kind:     global_buffer
      - .actual_access:  read_only
        .address_space:  global
        .offset:         96
        .size:           8
        .value_kind:     global_buffer
      - .actual_access:  read_only
        .address_space:  global
        .offset:         104
        .size:           8
        .value_kind:     global_buffer
      - .actual_access:  read_only
        .address_space:  global
        .offset:         112
        .size:           8
        .value_kind:     global_buffer
      - .offset:         120
        .size:           4
        .value_kind:     by_value
      - .address_space:  global
        .offset:         128
        .size:           8
        .value_kind:     global_buffer
      - .address_space:  global
        .offset:         136
        .size:           8
        .value_kind:     global_buffer
      - .offset:         144
        .size:           4
        .value_kind:     hidden_block_count_x
      - .offset:         148
        .size:           4
        .value_kind:     hidden_block_count_y
      - .offset:         152
        .size:           4
        .value_kind:     hidden_block_count_z
      - .offset:         156
        .size:           2
        .value_kind:     hidden_group_size_x
      - .offset:         158
        .size:           2
        .value_kind:     hidden_group_size_y
      - .offset:         160
        .size:           2
        .value_kind:     hidden_group_size_z
      - .offset:         162
        .size:           2
        .value_kind:     hidden_remainder_x
      - .offset:         164
        .size:           2
        .value_kind:     hidden_remainder_y
      - .offset:         166
        .size:           2
        .value_kind:     hidden_remainder_z
      - .offset:         184
        .size:           8
        .value_kind:     hidden_global_offset_x
      - .offset:         192
        .size:           8
        .value_kind:     hidden_global_offset_y
      - .offset:         200
        .size:           8
        .value_kind:     hidden_global_offset_z
      - .offset:         208
        .size:           2
        .value_kind:     hidden_grid_dims
      - .offset:         224
        .size:           8
        .value_kind:     hidden_hostcall_buffer
    .group_segment_fixed_size: 0
    .kernarg_segment_align: 8
    .kernarg_segment_size: 400
    .language:       OpenCL C
    .language_version:
      - 2
      - 0
    .max_flat_workgroup_size: 256
    .name:           _Z38paged_attention_ll4mi_QKV_mfma4_kernelIDF16_DF16_LN4vllm18Fp8KVCacheDataTypeE0EhLi32ELi128ELi256ELb0ELi3EEvPKT_PKT0_S7_ifPKiS9_S9_iPKfiiiPfSC_PS2_PT2_iSB_SB_
    .private_segment_fixed_size: 64
    .sgpr_count:     36
    .sgpr_spill_count: 0
    .symbol:         _Z38paged_attention_ll4mi_QKV_mfma4_kernelIDF16_DF16_LN4vllm18Fp8KVCacheDataTypeE0EhLi32ELi128ELi256ELb0ELi3EEvPKT_PKT0_S7_ifPKiS9_S9_iPKfiiiPfSC_PS2_PT2_iSB_SB_.kd
    .uniform_work_group_size: 1
    .uses_dynamic_stack: false
    .vgpr_count:     41
    .vgpr_spill_count: 0
    .wavefront_size: 32
    .workgroup_processor_mode: 1
  - .args:
      - .actual_access:  read_only
        .address_space:  global
        .offset:         0
        .size:           8
        .value_kind:     global_buffer
      - .actual_access:  read_only
        .address_space:  global
        .offset:         8
        .size:           8
        .value_kind:     global_buffer
      - .actual_access:  read_only
        .address_space:  global
        .offset:         16
        .size:           8
        .value_kind:     global_buffer
      - .offset:         24
        .size:           4
        .value_kind:     by_value
      - .offset:         28
        .size:           4
        .value_kind:     by_value
      - .actual_access:  read_only
        .address_space:  global
        .offset:         32
        .size:           8
        .value_kind:     global_buffer
      - .actual_access:  read_only
        .address_space:  global
        .offset:         40
        .size:           8
        .value_kind:     global_buffer
      - .actual_access:  read_only
        .address_space:  global
        .offset:         48
        .size:           8
        .value_kind:     global_buffer
      - .offset:         56
        .size:           4
        .value_kind:     by_value
      - .actual_access:  read_only
        .address_space:  global
        .offset:         64
        .size:           8
        .value_kind:     global_buffer
      - .offset:         72
        .size:           4
        .value_kind:     by_value
      - .offset:         76
        .size:           4
        .value_kind:     by_value
      - .offset:         80
        .size:           4
        .value_kind:     by_value
      - .actual_access:  read_only
        .address_space:  global
        .offset:         88
        .size:           8
        .value_kind:     global_buffer
      - .actual_access:  read_only
        .address_space:  global
        .offset:         96
        .size:           8
        .value_kind:     global_buffer
      - .actual_access:  read_only
        .address_space:  global
        .offset:         104
        .size:           8
        .value_kind:     global_buffer
      - .actual_access:  read_only
        .address_space:  global
        .offset:         112
        .size:           8
        .value_kind:     global_buffer
      - .offset:         120
        .size:           4
        .value_kind:     by_value
      - .address_space:  global
        .offset:         128
        .size:           8
        .value_kind:     global_buffer
      - .address_space:  global
        .offset:         136
        .size:           8
        .value_kind:     global_buffer
      - .offset:         144
        .size:           4
        .value_kind:     hidden_block_count_x
      - .offset:         148
        .size:           4
        .value_kind:     hidden_block_count_y
      - .offset:         152
        .size:           4
        .value_kind:     hidden_block_count_z
      - .offset:         156
        .size:           2
        .value_kind:     hidden_group_size_x
      - .offset:         158
        .size:           2
        .value_kind:     hidden_group_size_y
      - .offset:         160
        .size:           2
        .value_kind:     hidden_group_size_z
      - .offset:         162
        .size:           2
        .value_kind:     hidden_remainder_x
      - .offset:         164
        .size:           2
        .value_kind:     hidden_remainder_y
      - .offset:         166
        .size:           2
        .value_kind:     hidden_remainder_z
      - .offset:         184
        .size:           8
        .value_kind:     hidden_global_offset_x
      - .offset:         192
        .size:           8
        .value_kind:     hidden_global_offset_y
      - .offset:         200
        .size:           8
        .value_kind:     hidden_global_offset_z
      - .offset:         208
        .size:           2
        .value_kind:     hidden_grid_dims
      - .offset:         224
        .size:           8
        .value_kind:     hidden_hostcall_buffer
    .group_segment_fixed_size: 0
    .kernarg_segment_align: 8
    .kernarg_segment_size: 400
    .language:       OpenCL C
    .language_version:
      - 2
      - 0
    .max_flat_workgroup_size: 256
    .name:           _Z38paged_attention_ll4mi_QKV_mfma4_kernelIDF16_DF16_LN4vllm18Fp8KVCacheDataTypeE0EhLi32ELi128ELi256ELb0ELi4EEvPKT_PKT0_S7_ifPKiS9_S9_iPKfiiiPfSC_PS2_PT2_iSB_SB_
    .private_segment_fixed_size: 64
    .sgpr_count:     36
    .sgpr_spill_count: 0
    .symbol:         _Z38paged_attention_ll4mi_QKV_mfma4_kernelIDF16_DF16_LN4vllm18Fp8KVCacheDataTypeE0EhLi32ELi128ELi256ELb0ELi4EEvPKT_PKT0_S7_ifPKiS9_S9_iPKfiiiPfSC_PS2_PT2_iSB_SB_.kd
    .uniform_work_group_size: 1
    .uses_dynamic_stack: false
    .vgpr_count:     41
    .vgpr_spill_count: 0
    .wavefront_size: 32
    .workgroup_processor_mode: 1
  - .args:
      - .actual_access:  read_only
        .address_space:  global
        .offset:         0
        .size:           8
        .value_kind:     global_buffer
      - .actual_access:  read_only
        .address_space:  global
        .offset:         8
        .size:           8
        .value_kind:     global_buffer
      - .actual_access:  read_only
        .address_space:  global
        .offset:         16
        .size:           8
        .value_kind:     global_buffer
      - .offset:         24
        .size:           4
        .value_kind:     by_value
      - .offset:         28
        .size:           4
        .value_kind:     by_value
      - .actual_access:  read_only
        .address_space:  global
        .offset:         32
        .size:           8
        .value_kind:     global_buffer
      - .actual_access:  read_only
        .address_space:  global
        .offset:         40
        .size:           8
        .value_kind:     global_buffer
      - .actual_access:  read_only
        .address_space:  global
        .offset:         48
        .size:           8
        .value_kind:     global_buffer
      - .offset:         56
        .size:           4
        .value_kind:     by_value
      - .actual_access:  read_only
        .address_space:  global
        .offset:         64
        .size:           8
        .value_kind:     global_buffer
      - .offset:         72
        .size:           4
        .value_kind:     by_value
      - .offset:         76
        .size:           4
        .value_kind:     by_value
      - .offset:         80
        .size:           4
        .value_kind:     by_value
      - .actual_access:  write_only
        .address_space:  global
        .offset:         88
        .size:           8
        .value_kind:     global_buffer
      - .actual_access:  write_only
        .address_space:  global
        .offset:         96
        .size:           8
        .value_kind:     global_buffer
      - .actual_access:  write_only
        .address_space:  global
        .offset:         104
        .size:           8
        .value_kind:     global_buffer
      - .actual_access:  read_only
        .address_space:  global
        .offset:         112
        .size:           8
        .value_kind:     global_buffer
      - .offset:         120
        .size:           4
        .value_kind:     by_value
      - .address_space:  global
        .offset:         128
        .size:           8
        .value_kind:     global_buffer
      - .address_space:  global
        .offset:         136
        .size:           8
        .value_kind:     global_buffer
      - .offset:         144
        .size:           4
        .value_kind:     hidden_block_count_x
      - .offset:         148
        .size:           4
        .value_kind:     hidden_block_count_y
      - .offset:         152
        .size:           4
        .value_kind:     hidden_block_count_z
      - .offset:         156
        .size:           2
        .value_kind:     hidden_group_size_x
      - .offset:         158
        .size:           2
        .value_kind:     hidden_group_size_y
      - .offset:         160
        .size:           2
        .value_kind:     hidden_group_size_z
      - .offset:         162
        .size:           2
        .value_kind:     hidden_remainder_x
      - .offset:         164
        .size:           2
        .value_kind:     hidden_remainder_y
      - .offset:         166
        .size:           2
        .value_kind:     hidden_remainder_z
      - .offset:         184
        .size:           8
        .value_kind:     hidden_global_offset_x
      - .offset:         192
        .size:           8
        .value_kind:     hidden_global_offset_y
      - .offset:         200
        .size:           8
        .value_kind:     hidden_global_offset_z
      - .offset:         208
        .size:           2
        .value_kind:     hidden_grid_dims
    .group_segment_fixed_size: 17472
    .kernarg_segment_align: 8
    .kernarg_segment_size: 400
    .language:       OpenCL C
    .language_version:
      - 2
      - 0
    .max_flat_workgroup_size: 256
    .name:           _Z39paged_attention_ll4mi_QKV_mfma16_kernelIDF16_DF16_LN4vllm18Fp8KVCacheDataTypeE0EhLi32ELi128ELi256ELb0ELi5EL8MFMAType0EEvPKT_PKT0_S8_ifPKiSA_SA_iPKfiiiPfSD_PS3_PT2_iSC_SC_
    .private_segment_fixed_size: 0
    .sgpr_count:     41
    .sgpr_spill_count: 0
    .symbol:         _Z39paged_attention_ll4mi_QKV_mfma16_kernelIDF16_DF16_LN4vllm18Fp8KVCacheDataTypeE0EhLi32ELi128ELi256ELb0ELi5EL8MFMAType0EEvPKT_PKT0_S8_ifPKiSA_SA_iPKfiiiPfSD_PS3_PT2_iSC_SC_.kd
    .uniform_work_group_size: 1
    .uses_dynamic_stack: false
    .vgpr_count:     172
    .vgpr_spill_count: 0
    .wavefront_size: 32
    .workgroup_processor_mode: 1
  - .args:
      - .actual_access:  read_only
        .address_space:  global
        .offset:         0
        .size:           8
        .value_kind:     global_buffer
      - .actual_access:  read_only
        .address_space:  global
        .offset:         8
        .size:           8
        .value_kind:     global_buffer
      - .actual_access:  read_only
        .address_space:  global
        .offset:         16
        .size:           8
        .value_kind:     global_buffer
      - .offset:         24
        .size:           4
        .value_kind:     by_value
      - .offset:         28
        .size:           4
        .value_kind:     by_value
      - .actual_access:  read_only
        .address_space:  global
        .offset:         32
        .size:           8
        .value_kind:     global_buffer
      - .actual_access:  read_only
        .address_space:  global
        .offset:         40
        .size:           8
        .value_kind:     global_buffer
      - .actual_access:  read_only
        .address_space:  global
        .offset:         48
        .size:           8
        .value_kind:     global_buffer
      - .offset:         56
        .size:           4
        .value_kind:     by_value
      - .actual_access:  read_only
        .address_space:  global
        .offset:         64
        .size:           8
        .value_kind:     global_buffer
      - .offset:         72
        .size:           4
        .value_kind:     by_value
      - .offset:         76
        .size:           4
        .value_kind:     by_value
      - .offset:         80
        .size:           4
        .value_kind:     by_value
      - .actual_access:  write_only
        .address_space:  global
        .offset:         88
        .size:           8
        .value_kind:     global_buffer
      - .actual_access:  write_only
        .address_space:  global
        .offset:         96
        .size:           8
        .value_kind:     global_buffer
      - .actual_access:  write_only
        .address_space:  global
        .offset:         104
        .size:           8
        .value_kind:     global_buffer
      - .actual_access:  read_only
        .address_space:  global
        .offset:         112
        .size:           8
        .value_kind:     global_buffer
      - .offset:         120
        .size:           4
        .value_kind:     by_value
      - .address_space:  global
        .offset:         128
        .size:           8
        .value_kind:     global_buffer
      - .address_space:  global
        .offset:         136
        .size:           8
        .value_kind:     global_buffer
      - .offset:         144
        .size:           4
        .value_kind:     hidden_block_count_x
      - .offset:         148
        .size:           4
        .value_kind:     hidden_block_count_y
      - .offset:         152
        .size:           4
        .value_kind:     hidden_block_count_z
      - .offset:         156
        .size:           2
        .value_kind:     hidden_group_size_x
      - .offset:         158
        .size:           2
        .value_kind:     hidden_group_size_y
      - .offset:         160
        .size:           2
        .value_kind:     hidden_group_size_z
      - .offset:         162
        .size:           2
        .value_kind:     hidden_remainder_x
      - .offset:         164
        .size:           2
        .value_kind:     hidden_remainder_y
      - .offset:         166
        .size:           2
        .value_kind:     hidden_remainder_z
      - .offset:         184
        .size:           8
        .value_kind:     hidden_global_offset_x
      - .offset:         192
        .size:           8
        .value_kind:     hidden_global_offset_y
      - .offset:         200
        .size:           8
        .value_kind:     hidden_global_offset_z
      - .offset:         208
        .size:           2
        .value_kind:     hidden_grid_dims
    .group_segment_fixed_size: 17472
    .kernarg_segment_align: 8
    .kernarg_segment_size: 400
    .language:       OpenCL C
    .language_version:
      - 2
      - 0
    .max_flat_workgroup_size: 256
    .name:           _Z39paged_attention_ll4mi_QKV_mfma16_kernelIDF16_DF16_LN4vllm18Fp8KVCacheDataTypeE0EhLi32ELi128ELi256ELb0ELi6EL8MFMAType0EEvPKT_PKT0_S8_ifPKiSA_SA_iPKfiiiPfSD_PS3_PT2_iSC_SC_
    .private_segment_fixed_size: 0
    .sgpr_count:     40
    .sgpr_spill_count: 0
    .symbol:         _Z39paged_attention_ll4mi_QKV_mfma16_kernelIDF16_DF16_LN4vllm18Fp8KVCacheDataTypeE0EhLi32ELi128ELi256ELb0ELi6EL8MFMAType0EEvPKT_PKT0_S8_ifPKiSA_SA_iPKfiiiPfSD_PS3_PT2_iSC_SC_.kd
    .uniform_work_group_size: 1
    .uses_dynamic_stack: false
    .vgpr_count:     172
    .vgpr_spill_count: 0
    .wavefront_size: 32
    .workgroup_processor_mode: 1
  - .args:
      - .actual_access:  read_only
        .address_space:  global
        .offset:         0
        .size:           8
        .value_kind:     global_buffer
      - .actual_access:  read_only
        .address_space:  global
        .offset:         8
        .size:           8
        .value_kind:     global_buffer
      - .actual_access:  read_only
        .address_space:  global
        .offset:         16
        .size:           8
        .value_kind:     global_buffer
      - .offset:         24
        .size:           4
        .value_kind:     by_value
      - .offset:         28
        .size:           4
        .value_kind:     by_value
      - .actual_access:  read_only
        .address_space:  global
        .offset:         32
        .size:           8
        .value_kind:     global_buffer
      - .actual_access:  read_only
        .address_space:  global
        .offset:         40
        .size:           8
        .value_kind:     global_buffer
      - .actual_access:  read_only
        .address_space:  global
        .offset:         48
        .size:           8
        .value_kind:     global_buffer
      - .offset:         56
        .size:           4
        .value_kind:     by_value
      - .actual_access:  read_only
        .address_space:  global
        .offset:         64
        .size:           8
        .value_kind:     global_buffer
      - .offset:         72
        .size:           4
        .value_kind:     by_value
      - .offset:         76
        .size:           4
        .value_kind:     by_value
      - .offset:         80
        .size:           4
        .value_kind:     by_value
      - .actual_access:  write_only
        .address_space:  global
        .offset:         88
        .size:           8
        .value_kind:     global_buffer
      - .actual_access:  write_only
        .address_space:  global
        .offset:         96
        .size:           8
        .value_kind:     global_buffer
      - .actual_access:  write_only
        .address_space:  global
        .offset:         104
        .size:           8
        .value_kind:     global_buffer
      - .actual_access:  read_only
        .address_space:  global
        .offset:         112
        .size:           8
        .value_kind:     global_buffer
      - .offset:         120
        .size:           4
        .value_kind:     by_value
      - .address_space:  global
        .offset:         128
        .size:           8
        .value_kind:     global_buffer
      - .address_space:  global
        .offset:         136
        .size:           8
        .value_kind:     global_buffer
      - .offset:         144
        .size:           4
        .value_kind:     hidden_block_count_x
      - .offset:         148
        .size:           4
        .value_kind:     hidden_block_count_y
      - .offset:         152
        .size:           4
        .value_kind:     hidden_block_count_z
      - .offset:         156
        .size:           2
        .value_kind:     hidden_group_size_x
      - .offset:         158
        .size:           2
        .value_kind:     hidden_group_size_y
      - .offset:         160
        .size:           2
        .value_kind:     hidden_group_size_z
      - .offset:         162
        .size:           2
        .value_kind:     hidden_remainder_x
      - .offset:         164
        .size:           2
        .value_kind:     hidden_remainder_y
      - .offset:         166
        .size:           2
        .value_kind:     hidden_remainder_z
      - .offset:         184
        .size:           8
        .value_kind:     hidden_global_offset_x
      - .offset:         192
        .size:           8
        .value_kind:     hidden_global_offset_y
      - .offset:         200
        .size:           8
        .value_kind:     hidden_global_offset_z
      - .offset:         208
        .size:           2
        .value_kind:     hidden_grid_dims
    .group_segment_fixed_size: 17472
    .kernarg_segment_align: 8
    .kernarg_segment_size: 400
    .language:       OpenCL C
    .language_version:
      - 2
      - 0
    .max_flat_workgroup_size: 256
    .name:           _Z39paged_attention_ll4mi_QKV_mfma16_kernelIDF16_DF16_LN4vllm18Fp8KVCacheDataTypeE0EhLi32ELi128ELi256ELb0ELi7EL8MFMAType0EEvPKT_PKT0_S8_ifPKiSA_SA_iPKfiiiPfSD_PS3_PT2_iSC_SC_
    .private_segment_fixed_size: 0
    .sgpr_count:     41
    .sgpr_spill_count: 0
    .symbol:         _Z39paged_attention_ll4mi_QKV_mfma16_kernelIDF16_DF16_LN4vllm18Fp8KVCacheDataTypeE0EhLi32ELi128ELi256ELb0ELi7EL8MFMAType0EEvPKT_PKT0_S8_ifPKiSA_SA_iPKfiiiPfSD_PS3_PT2_iSC_SC_.kd
    .uniform_work_group_size: 1
    .uses_dynamic_stack: false
    .vgpr_count:     172
    .vgpr_spill_count: 0
    .wavefront_size: 32
    .workgroup_processor_mode: 1
  - .args:
      - .actual_access:  read_only
        .address_space:  global
        .offset:         0
        .size:           8
        .value_kind:     global_buffer
      - .actual_access:  read_only
        .address_space:  global
        .offset:         8
        .size:           8
        .value_kind:     global_buffer
      - .actual_access:  read_only
        .address_space:  global
        .offset:         16
        .size:           8
        .value_kind:     global_buffer
      - .offset:         24
        .size:           4
        .value_kind:     by_value
      - .offset:         28
        .size:           4
        .value_kind:     by_value
      - .actual_access:  read_only
        .address_space:  global
        .offset:         32
        .size:           8
        .value_kind:     global_buffer
      - .actual_access:  read_only
        .address_space:  global
        .offset:         40
        .size:           8
        .value_kind:     global_buffer
      - .actual_access:  read_only
        .address_space:  global
        .offset:         48
        .size:           8
        .value_kind:     global_buffer
      - .offset:         56
        .size:           4
        .value_kind:     by_value
      - .actual_access:  read_only
        .address_space:  global
        .offset:         64
        .size:           8
        .value_kind:     global_buffer
      - .offset:         72
        .size:           4
        .value_kind:     by_value
      - .offset:         76
        .size:           4
        .value_kind:     by_value
      - .offset:         80
        .size:           4
        .value_kind:     by_value
      - .actual_access:  write_only
        .address_space:  global
        .offset:         88
        .size:           8
        .value_kind:     global_buffer
      - .actual_access:  write_only
        .address_space:  global
        .offset:         96
        .size:           8
        .value_kind:     global_buffer
      - .actual_access:  write_only
        .address_space:  global
        .offset:         104
        .size:           8
        .value_kind:     global_buffer
      - .actual_access:  read_only
        .address_space:  global
        .offset:         112
        .size:           8
        .value_kind:     global_buffer
      - .offset:         120
        .size:           4
        .value_kind:     by_value
      - .address_space:  global
        .offset:         128
        .size:           8
        .value_kind:     global_buffer
      - .address_space:  global
        .offset:         136
        .size:           8
        .value_kind:     global_buffer
      - .offset:         144
        .size:           4
        .value_kind:     hidden_block_count_x
      - .offset:         148
        .size:           4
        .value_kind:     hidden_block_count_y
      - .offset:         152
        .size:           4
        .value_kind:     hidden_block_count_z
      - .offset:         156
        .size:           2
        .value_kind:     hidden_group_size_x
      - .offset:         158
        .size:           2
        .value_kind:     hidden_group_size_y
      - .offset:         160
        .size:           2
        .value_kind:     hidden_group_size_z
      - .offset:         162
        .size:           2
        .value_kind:     hidden_remainder_x
      - .offset:         164
        .size:           2
        .value_kind:     hidden_remainder_y
      - .offset:         166
        .size:           2
        .value_kind:     hidden_remainder_z
      - .offset:         184
        .size:           8
        .value_kind:     hidden_global_offset_x
      - .offset:         192
        .size:           8
        .value_kind:     hidden_global_offset_y
      - .offset:         200
        .size:           8
        .value_kind:     hidden_global_offset_z
      - .offset:         208
        .size:           2
        .value_kind:     hidden_grid_dims
    .group_segment_fixed_size: 17472
    .kernarg_segment_align: 8
    .kernarg_segment_size: 400
    .language:       OpenCL C
    .language_version:
      - 2
      - 0
    .max_flat_workgroup_size: 256
    .name:           _Z39paged_attention_ll4mi_QKV_mfma16_kernelIDF16_DF16_LN4vllm18Fp8KVCacheDataTypeE0EhLi32ELi128ELi256ELb0ELi8EL8MFMAType0EEvPKT_PKT0_S8_ifPKiSA_SA_iPKfiiiPfSD_PS3_PT2_iSC_SC_
    .private_segment_fixed_size: 0
    .sgpr_count:     40
    .sgpr_spill_count: 0
    .symbol:         _Z39paged_attention_ll4mi_QKV_mfma16_kernelIDF16_DF16_LN4vllm18Fp8KVCacheDataTypeE0EhLi32ELi128ELi256ELb0ELi8EL8MFMAType0EEvPKT_PKT0_S8_ifPKiSA_SA_iPKfiiiPfSD_PS3_PT2_iSC_SC_.kd
    .uniform_work_group_size: 1
    .uses_dynamic_stack: false
    .vgpr_count:     172
    .vgpr_spill_count: 0
    .wavefront_size: 32
    .workgroup_processor_mode: 1
  - .args:
      - .actual_access:  read_only
        .address_space:  global
        .offset:         0
        .size:           8
        .value_kind:     global_buffer
      - .actual_access:  read_only
        .address_space:  global
        .offset:         8
        .size:           8
        .value_kind:     global_buffer
      - .actual_access:  read_only
        .address_space:  global
        .offset:         16
        .size:           8
        .value_kind:     global_buffer
      - .offset:         24
        .size:           4
        .value_kind:     by_value
      - .offset:         28
        .size:           4
        .value_kind:     by_value
      - .actual_access:  read_only
        .address_space:  global
        .offset:         32
        .size:           8
        .value_kind:     global_buffer
      - .actual_access:  read_only
        .address_space:  global
        .offset:         40
        .size:           8
        .value_kind:     global_buffer
      - .actual_access:  read_only
        .address_space:  global
        .offset:         48
        .size:           8
        .value_kind:     global_buffer
      - .offset:         56
        .size:           4
        .value_kind:     by_value
      - .actual_access:  read_only
        .address_space:  global
        .offset:         64
        .size:           8
        .value_kind:     global_buffer
      - .offset:         72
        .size:           4
        .value_kind:     by_value
      - .offset:         76
        .size:           4
        .value_kind:     by_value
      - .offset:         80
        .size:           4
        .value_kind:     by_value
      - .actual_access:  write_only
        .address_space:  global
        .offset:         88
        .size:           8
        .value_kind:     global_buffer
      - .actual_access:  write_only
        .address_space:  global
        .offset:         96
        .size:           8
        .value_kind:     global_buffer
      - .actual_access:  write_only
        .address_space:  global
        .offset:         104
        .size:           8
        .value_kind:     global_buffer
      - .actual_access:  read_only
        .address_space:  global
        .offset:         112
        .size:           8
        .value_kind:     global_buffer
      - .offset:         120
        .size:           4
        .value_kind:     by_value
      - .address_space:  global
        .offset:         128
        .size:           8
        .value_kind:     global_buffer
      - .address_space:  global
        .offset:         136
        .size:           8
        .value_kind:     global_buffer
      - .offset:         144
        .size:           4
        .value_kind:     hidden_block_count_x
      - .offset:         148
        .size:           4
        .value_kind:     hidden_block_count_y
      - .offset:         152
        .size:           4
        .value_kind:     hidden_block_count_z
      - .offset:         156
        .size:           2
        .value_kind:     hidden_group_size_x
      - .offset:         158
        .size:           2
        .value_kind:     hidden_group_size_y
      - .offset:         160
        .size:           2
        .value_kind:     hidden_group_size_z
      - .offset:         162
        .size:           2
        .value_kind:     hidden_remainder_x
      - .offset:         164
        .size:           2
        .value_kind:     hidden_remainder_y
      - .offset:         166
        .size:           2
        .value_kind:     hidden_remainder_z
      - .offset:         184
        .size:           8
        .value_kind:     hidden_global_offset_x
      - .offset:         192
        .size:           8
        .value_kind:     hidden_global_offset_y
      - .offset:         200
        .size:           8
        .value_kind:     hidden_global_offset_z
      - .offset:         208
        .size:           2
        .value_kind:     hidden_grid_dims
    .group_segment_fixed_size: 17472
    .kernarg_segment_align: 8
    .kernarg_segment_size: 400
    .language:       OpenCL C
    .language_version:
      - 2
      - 0
    .max_flat_workgroup_size: 256
    .name:           _Z39paged_attention_ll4mi_QKV_mfma16_kernelIDF16_DF16_LN4vllm18Fp8KVCacheDataTypeE0EhLi32ELi128ELi256ELb0ELi9EL8MFMAType0EEvPKT_PKT0_S8_ifPKiSA_SA_iPKfiiiPfSD_PS3_PT2_iSC_SC_
    .private_segment_fixed_size: 0
    .sgpr_count:     41
    .sgpr_spill_count: 0
    .symbol:         _Z39paged_attention_ll4mi_QKV_mfma16_kernelIDF16_DF16_LN4vllm18Fp8KVCacheDataTypeE0EhLi32ELi128ELi256ELb0ELi9EL8MFMAType0EEvPKT_PKT0_S8_ifPKiSA_SA_iPKfiiiPfSD_PS3_PT2_iSC_SC_.kd
    .uniform_work_group_size: 1
    .uses_dynamic_stack: false
    .vgpr_count:     172
    .vgpr_spill_count: 0
    .wavefront_size: 32
    .workgroup_processor_mode: 1
  - .args:
      - .actual_access:  read_only
        .address_space:  global
        .offset:         0
        .size:           8
        .value_kind:     global_buffer
      - .actual_access:  read_only
        .address_space:  global
        .offset:         8
        .size:           8
        .value_kind:     global_buffer
      - .actual_access:  read_only
        .address_space:  global
        .offset:         16
        .size:           8
        .value_kind:     global_buffer
      - .offset:         24
        .size:           4
        .value_kind:     by_value
      - .offset:         28
        .size:           4
        .value_kind:     by_value
      - .actual_access:  read_only
        .address_space:  global
        .offset:         32
        .size:           8
        .value_kind:     global_buffer
      - .actual_access:  read_only
        .address_space:  global
        .offset:         40
        .size:           8
        .value_kind:     global_buffer
      - .actual_access:  read_only
        .address_space:  global
        .offset:         48
        .size:           8
        .value_kind:     global_buffer
      - .offset:         56
        .size:           4
        .value_kind:     by_value
      - .actual_access:  read_only
        .address_space:  global
        .offset:         64
        .size:           8
        .value_kind:     global_buffer
      - .offset:         72
        .size:           4
        .value_kind:     by_value
      - .offset:         76
        .size:           4
        .value_kind:     by_value
      - .offset:         80
        .size:           4
        .value_kind:     by_value
      - .actual_access:  write_only
        .address_space:  global
        .offset:         88
        .size:           8
        .value_kind:     global_buffer
      - .actual_access:  write_only
        .address_space:  global
        .offset:         96
        .size:           8
        .value_kind:     global_buffer
      - .actual_access:  write_only
        .address_space:  global
        .offset:         104
        .size:           8
        .value_kind:     global_buffer
      - .actual_access:  read_only
        .address_space:  global
        .offset:         112
        .size:           8
        .value_kind:     global_buffer
      - .offset:         120
        .size:           4
        .value_kind:     by_value
      - .address_space:  global
        .offset:         128
        .size:           8
        .value_kind:     global_buffer
      - .address_space:  global
        .offset:         136
        .size:           8
        .value_kind:     global_buffer
      - .offset:         144
        .size:           4
        .value_kind:     hidden_block_count_x
      - .offset:         148
        .size:           4
        .value_kind:     hidden_block_count_y
      - .offset:         152
        .size:           4
        .value_kind:     hidden_block_count_z
      - .offset:         156
        .size:           2
        .value_kind:     hidden_group_size_x
      - .offset:         158
        .size:           2
        .value_kind:     hidden_group_size_y
      - .offset:         160
        .size:           2
        .value_kind:     hidden_group_size_z
      - .offset:         162
        .size:           2
        .value_kind:     hidden_remainder_x
      - .offset:         164
        .size:           2
        .value_kind:     hidden_remainder_y
      - .offset:         166
        .size:           2
        .value_kind:     hidden_remainder_z
      - .offset:         184
        .size:           8
        .value_kind:     hidden_global_offset_x
      - .offset:         192
        .size:           8
        .value_kind:     hidden_global_offset_y
      - .offset:         200
        .size:           8
        .value_kind:     hidden_global_offset_z
      - .offset:         208
        .size:           2
        .value_kind:     hidden_grid_dims
    .group_segment_fixed_size: 17472
    .kernarg_segment_align: 8
    .kernarg_segment_size: 400
    .language:       OpenCL C
    .language_version:
      - 2
      - 0
    .max_flat_workgroup_size: 256
    .name:           _Z39paged_attention_ll4mi_QKV_mfma16_kernelIDF16_DF16_LN4vllm18Fp8KVCacheDataTypeE0EhLi32ELi128ELi256ELb0ELi10EL8MFMAType0EEvPKT_PKT0_S8_ifPKiSA_SA_iPKfiiiPfSD_PS3_PT2_iSC_SC_
    .private_segment_fixed_size: 0
    .sgpr_count:     40
    .sgpr_spill_count: 0
    .symbol:         _Z39paged_attention_ll4mi_QKV_mfma16_kernelIDF16_DF16_LN4vllm18Fp8KVCacheDataTypeE0EhLi32ELi128ELi256ELb0ELi10EL8MFMAType0EEvPKT_PKT0_S8_ifPKiSA_SA_iPKfiiiPfSD_PS3_PT2_iSC_SC_.kd
    .uniform_work_group_size: 1
    .uses_dynamic_stack: false
    .vgpr_count:     172
    .vgpr_spill_count: 0
    .wavefront_size: 32
    .workgroup_processor_mode: 1
  - .args:
      - .actual_access:  read_only
        .address_space:  global
        .offset:         0
        .size:           8
        .value_kind:     global_buffer
      - .actual_access:  read_only
        .address_space:  global
        .offset:         8
        .size:           8
        .value_kind:     global_buffer
      - .actual_access:  read_only
        .address_space:  global
        .offset:         16
        .size:           8
        .value_kind:     global_buffer
      - .offset:         24
        .size:           4
        .value_kind:     by_value
      - .offset:         28
        .size:           4
        .value_kind:     by_value
      - .actual_access:  read_only
        .address_space:  global
        .offset:         32
        .size:           8
        .value_kind:     global_buffer
      - .actual_access:  read_only
        .address_space:  global
        .offset:         40
        .size:           8
        .value_kind:     global_buffer
      - .actual_access:  read_only
        .address_space:  global
        .offset:         48
        .size:           8
        .value_kind:     global_buffer
      - .offset:         56
        .size:           4
        .value_kind:     by_value
      - .actual_access:  read_only
        .address_space:  global
        .offset:         64
        .size:           8
        .value_kind:     global_buffer
      - .offset:         72
        .size:           4
        .value_kind:     by_value
      - .offset:         76
        .size:           4
        .value_kind:     by_value
      - .offset:         80
        .size:           4
        .value_kind:     by_value
      - .actual_access:  write_only
        .address_space:  global
        .offset:         88
        .size:           8
        .value_kind:     global_buffer
      - .actual_access:  write_only
        .address_space:  global
        .offset:         96
        .size:           8
        .value_kind:     global_buffer
      - .actual_access:  write_only
        .address_space:  global
        .offset:         104
        .size:           8
        .value_kind:     global_buffer
      - .actual_access:  read_only
        .address_space:  global
        .offset:         112
        .size:           8
        .value_kind:     global_buffer
      - .offset:         120
        .size:           4
        .value_kind:     by_value
      - .address_space:  global
        .offset:         128
        .size:           8
        .value_kind:     global_buffer
      - .address_space:  global
        .offset:         136
        .size:           8
        .value_kind:     global_buffer
      - .offset:         144
        .size:           4
        .value_kind:     hidden_block_count_x
      - .offset:         148
        .size:           4
        .value_kind:     hidden_block_count_y
      - .offset:         152
        .size:           4
        .value_kind:     hidden_block_count_z
      - .offset:         156
        .size:           2
        .value_kind:     hidden_group_size_x
      - .offset:         158
        .size:           2
        .value_kind:     hidden_group_size_y
      - .offset:         160
        .size:           2
        .value_kind:     hidden_group_size_z
      - .offset:         162
        .size:           2
        .value_kind:     hidden_remainder_x
      - .offset:         164
        .size:           2
        .value_kind:     hidden_remainder_y
      - .offset:         166
        .size:           2
        .value_kind:     hidden_remainder_z
      - .offset:         184
        .size:           8
        .value_kind:     hidden_global_offset_x
      - .offset:         192
        .size:           8
        .value_kind:     hidden_global_offset_y
      - .offset:         200
        .size:           8
        .value_kind:     hidden_global_offset_z
      - .offset:         208
        .size:           2
        .value_kind:     hidden_grid_dims
    .group_segment_fixed_size: 17472
    .kernarg_segment_align: 8
    .kernarg_segment_size: 400
    .language:       OpenCL C
    .language_version:
      - 2
      - 0
    .max_flat_workgroup_size: 256
    .name:           _Z39paged_attention_ll4mi_QKV_mfma16_kernelIDF16_DF16_LN4vllm18Fp8KVCacheDataTypeE0EhLi32ELi128ELi256ELb0ELi11EL8MFMAType0EEvPKT_PKT0_S8_ifPKiSA_SA_iPKfiiiPfSD_PS3_PT2_iSC_SC_
    .private_segment_fixed_size: 0
    .sgpr_count:     41
    .sgpr_spill_count: 0
    .symbol:         _Z39paged_attention_ll4mi_QKV_mfma16_kernelIDF16_DF16_LN4vllm18Fp8KVCacheDataTypeE0EhLi32ELi128ELi256ELb0ELi11EL8MFMAType0EEvPKT_PKT0_S8_ifPKiSA_SA_iPKfiiiPfSD_PS3_PT2_iSC_SC_.kd
    .uniform_work_group_size: 1
    .uses_dynamic_stack: false
    .vgpr_count:     172
    .vgpr_spill_count: 0
    .wavefront_size: 32
    .workgroup_processor_mode: 1
  - .args:
      - .actual_access:  read_only
        .address_space:  global
        .offset:         0
        .size:           8
        .value_kind:     global_buffer
      - .actual_access:  read_only
        .address_space:  global
        .offset:         8
        .size:           8
        .value_kind:     global_buffer
      - .actual_access:  read_only
        .address_space:  global
        .offset:         16
        .size:           8
        .value_kind:     global_buffer
      - .offset:         24
        .size:           4
        .value_kind:     by_value
      - .offset:         28
        .size:           4
        .value_kind:     by_value
      - .actual_access:  read_only
        .address_space:  global
        .offset:         32
        .size:           8
        .value_kind:     global_buffer
      - .actual_access:  read_only
        .address_space:  global
        .offset:         40
        .size:           8
        .value_kind:     global_buffer
      - .actual_access:  read_only
        .address_space:  global
        .offset:         48
        .size:           8
        .value_kind:     global_buffer
      - .offset:         56
        .size:           4
        .value_kind:     by_value
      - .actual_access:  read_only
        .address_space:  global
        .offset:         64
        .size:           8
        .value_kind:     global_buffer
      - .offset:         72
        .size:           4
        .value_kind:     by_value
      - .offset:         76
        .size:           4
        .value_kind:     by_value
      - .offset:         80
        .size:           4
        .value_kind:     by_value
      - .actual_access:  write_only
        .address_space:  global
        .offset:         88
        .size:           8
        .value_kind:     global_buffer
      - .actual_access:  write_only
        .address_space:  global
        .offset:         96
        .size:           8
        .value_kind:     global_buffer
      - .actual_access:  write_only
        .address_space:  global
        .offset:         104
        .size:           8
        .value_kind:     global_buffer
      - .actual_access:  read_only
        .address_space:  global
        .offset:         112
        .size:           8
        .value_kind:     global_buffer
      - .offset:         120
        .size:           4
        .value_kind:     by_value
      - .address_space:  global
        .offset:         128
        .size:           8
        .value_kind:     global_buffer
      - .address_space:  global
        .offset:         136
        .size:           8
        .value_kind:     global_buffer
      - .offset:         144
        .size:           4
        .value_kind:     hidden_block_count_x
      - .offset:         148
        .size:           4
        .value_kind:     hidden_block_count_y
      - .offset:         152
        .size:           4
        .value_kind:     hidden_block_count_z
      - .offset:         156
        .size:           2
        .value_kind:     hidden_group_size_x
      - .offset:         158
        .size:           2
        .value_kind:     hidden_group_size_y
      - .offset:         160
        .size:           2
        .value_kind:     hidden_group_size_z
      - .offset:         162
        .size:           2
        .value_kind:     hidden_remainder_x
      - .offset:         164
        .size:           2
        .value_kind:     hidden_remainder_y
      - .offset:         166
        .size:           2
        .value_kind:     hidden_remainder_z
      - .offset:         184
        .size:           8
        .value_kind:     hidden_global_offset_x
      - .offset:         192
        .size:           8
        .value_kind:     hidden_global_offset_y
      - .offset:         200
        .size:           8
        .value_kind:     hidden_global_offset_z
      - .offset:         208
        .size:           2
        .value_kind:     hidden_grid_dims
    .group_segment_fixed_size: 17472
    .kernarg_segment_align: 8
    .kernarg_segment_size: 400
    .language:       OpenCL C
    .language_version:
      - 2
      - 0
    .max_flat_workgroup_size: 256
    .name:           _Z39paged_attention_ll4mi_QKV_mfma16_kernelIDF16_DF16_LN4vllm18Fp8KVCacheDataTypeE0EhLi32ELi128ELi256ELb0ELi12EL8MFMAType0EEvPKT_PKT0_S8_ifPKiSA_SA_iPKfiiiPfSD_PS3_PT2_iSC_SC_
    .private_segment_fixed_size: 0
    .sgpr_count:     40
    .sgpr_spill_count: 0
    .symbol:         _Z39paged_attention_ll4mi_QKV_mfma16_kernelIDF16_DF16_LN4vllm18Fp8KVCacheDataTypeE0EhLi32ELi128ELi256ELb0ELi12EL8MFMAType0EEvPKT_PKT0_S8_ifPKiSA_SA_iPKfiiiPfSD_PS3_PT2_iSC_SC_.kd
    .uniform_work_group_size: 1
    .uses_dynamic_stack: false
    .vgpr_count:     172
    .vgpr_spill_count: 0
    .wavefront_size: 32
    .workgroup_processor_mode: 1
  - .args:
      - .actual_access:  read_only
        .address_space:  global
        .offset:         0
        .size:           8
        .value_kind:     global_buffer
      - .actual_access:  read_only
        .address_space:  global
        .offset:         8
        .size:           8
        .value_kind:     global_buffer
      - .actual_access:  read_only
        .address_space:  global
        .offset:         16
        .size:           8
        .value_kind:     global_buffer
      - .offset:         24
        .size:           4
        .value_kind:     by_value
      - .offset:         28
        .size:           4
        .value_kind:     by_value
      - .actual_access:  read_only
        .address_space:  global
        .offset:         32
        .size:           8
        .value_kind:     global_buffer
      - .actual_access:  read_only
        .address_space:  global
        .offset:         40
        .size:           8
        .value_kind:     global_buffer
      - .actual_access:  read_only
        .address_space:  global
        .offset:         48
        .size:           8
        .value_kind:     global_buffer
      - .offset:         56
        .size:           4
        .value_kind:     by_value
      - .actual_access:  read_only
        .address_space:  global
        .offset:         64
        .size:           8
        .value_kind:     global_buffer
      - .offset:         72
        .size:           4
        .value_kind:     by_value
      - .offset:         76
        .size:           4
        .value_kind:     by_value
      - .offset:         80
        .size:           4
        .value_kind:     by_value
      - .actual_access:  write_only
        .address_space:  global
        .offset:         88
        .size:           8
        .value_kind:     global_buffer
      - .actual_access:  write_only
        .address_space:  global
        .offset:         96
        .size:           8
        .value_kind:     global_buffer
      - .actual_access:  write_only
        .address_space:  global
        .offset:         104
        .size:           8
        .value_kind:     global_buffer
      - .actual_access:  read_only
        .address_space:  global
        .offset:         112
        .size:           8
        .value_kind:     global_buffer
      - .offset:         120
        .size:           4
        .value_kind:     by_value
      - .address_space:  global
        .offset:         128
        .size:           8
        .value_kind:     global_buffer
      - .address_space:  global
        .offset:         136
        .size:           8
        .value_kind:     global_buffer
      - .offset:         144
        .size:           4
        .value_kind:     hidden_block_count_x
      - .offset:         148
        .size:           4
        .value_kind:     hidden_block_count_y
      - .offset:         152
        .size:           4
        .value_kind:     hidden_block_count_z
      - .offset:         156
        .size:           2
        .value_kind:     hidden_group_size_x
      - .offset:         158
        .size:           2
        .value_kind:     hidden_group_size_y
      - .offset:         160
        .size:           2
        .value_kind:     hidden_group_size_z
      - .offset:         162
        .size:           2
        .value_kind:     hidden_remainder_x
      - .offset:         164
        .size:           2
        .value_kind:     hidden_remainder_y
      - .offset:         166
        .size:           2
        .value_kind:     hidden_remainder_z
      - .offset:         184
        .size:           8
        .value_kind:     hidden_global_offset_x
      - .offset:         192
        .size:           8
        .value_kind:     hidden_global_offset_y
      - .offset:         200
        .size:           8
        .value_kind:     hidden_global_offset_z
      - .offset:         208
        .size:           2
        .value_kind:     hidden_grid_dims
    .group_segment_fixed_size: 17472
    .kernarg_segment_align: 8
    .kernarg_segment_size: 400
    .language:       OpenCL C
    .language_version:
      - 2
      - 0
    .max_flat_workgroup_size: 256
    .name:           _Z39paged_attention_ll4mi_QKV_mfma16_kernelIDF16_DF16_LN4vllm18Fp8KVCacheDataTypeE0EhLi32ELi128ELi256ELb0ELi13EL8MFMAType0EEvPKT_PKT0_S8_ifPKiSA_SA_iPKfiiiPfSD_PS3_PT2_iSC_SC_
    .private_segment_fixed_size: 0
    .sgpr_count:     41
    .sgpr_spill_count: 0
    .symbol:         _Z39paged_attention_ll4mi_QKV_mfma16_kernelIDF16_DF16_LN4vllm18Fp8KVCacheDataTypeE0EhLi32ELi128ELi256ELb0ELi13EL8MFMAType0EEvPKT_PKT0_S8_ifPKiSA_SA_iPKfiiiPfSD_PS3_PT2_iSC_SC_.kd
    .uniform_work_group_size: 1
    .uses_dynamic_stack: false
    .vgpr_count:     172
    .vgpr_spill_count: 0
    .wavefront_size: 32
    .workgroup_processor_mode: 1
  - .args:
      - .actual_access:  read_only
        .address_space:  global
        .offset:         0
        .size:           8
        .value_kind:     global_buffer
      - .actual_access:  read_only
        .address_space:  global
        .offset:         8
        .size:           8
        .value_kind:     global_buffer
      - .actual_access:  read_only
        .address_space:  global
        .offset:         16
        .size:           8
        .value_kind:     global_buffer
      - .offset:         24
        .size:           4
        .value_kind:     by_value
      - .offset:         28
        .size:           4
        .value_kind:     by_value
      - .actual_access:  read_only
        .address_space:  global
        .offset:         32
        .size:           8
        .value_kind:     global_buffer
      - .actual_access:  read_only
        .address_space:  global
        .offset:         40
        .size:           8
        .value_kind:     global_buffer
      - .actual_access:  read_only
        .address_space:  global
        .offset:         48
        .size:           8
        .value_kind:     global_buffer
      - .offset:         56
        .size:           4
        .value_kind:     by_value
      - .actual_access:  read_only
        .address_space:  global
        .offset:         64
        .size:           8
        .value_kind:     global_buffer
      - .offset:         72
        .size:           4
        .value_kind:     by_value
      - .offset:         76
        .size:           4
        .value_kind:     by_value
      - .offset:         80
        .size:           4
        .value_kind:     by_value
      - .actual_access:  write_only
        .address_space:  global
        .offset:         88
        .size:           8
        .value_kind:     global_buffer
      - .actual_access:  write_only
        .address_space:  global
        .offset:         96
        .size:           8
        .value_kind:     global_buffer
      - .actual_access:  write_only
        .address_space:  global
        .offset:         104
        .size:           8
        .value_kind:     global_buffer
      - .actual_access:  read_only
        .address_space:  global
        .offset:         112
        .size:           8
        .value_kind:     global_buffer
      - .offset:         120
        .size:           4
        .value_kind:     by_value
      - .address_space:  global
        .offset:         128
        .size:           8
        .value_kind:     global_buffer
      - .address_space:  global
        .offset:         136
        .size:           8
        .value_kind:     global_buffer
      - .offset:         144
        .size:           4
        .value_kind:     hidden_block_count_x
      - .offset:         148
        .size:           4
        .value_kind:     hidden_block_count_y
      - .offset:         152
        .size:           4
        .value_kind:     hidden_block_count_z
      - .offset:         156
        .size:           2
        .value_kind:     hidden_group_size_x
      - .offset:         158
        .size:           2
        .value_kind:     hidden_group_size_y
      - .offset:         160
        .size:           2
        .value_kind:     hidden_group_size_z
      - .offset:         162
        .size:           2
        .value_kind:     hidden_remainder_x
      - .offset:         164
        .size:           2
        .value_kind:     hidden_remainder_y
      - .offset:         166
        .size:           2
        .value_kind:     hidden_remainder_z
      - .offset:         184
        .size:           8
        .value_kind:     hidden_global_offset_x
      - .offset:         192
        .size:           8
        .value_kind:     hidden_global_offset_y
      - .offset:         200
        .size:           8
        .value_kind:     hidden_global_offset_z
      - .offset:         208
        .size:           2
        .value_kind:     hidden_grid_dims
    .group_segment_fixed_size: 17472
    .kernarg_segment_align: 8
    .kernarg_segment_size: 400
    .language:       OpenCL C
    .language_version:
      - 2
      - 0
    .max_flat_workgroup_size: 256
    .name:           _Z39paged_attention_ll4mi_QKV_mfma16_kernelIDF16_DF16_LN4vllm18Fp8KVCacheDataTypeE0EhLi32ELi128ELi256ELb0ELi14EL8MFMAType0EEvPKT_PKT0_S8_ifPKiSA_SA_iPKfiiiPfSD_PS3_PT2_iSC_SC_
    .private_segment_fixed_size: 0
    .sgpr_count:     40
    .sgpr_spill_count: 0
    .symbol:         _Z39paged_attention_ll4mi_QKV_mfma16_kernelIDF16_DF16_LN4vllm18Fp8KVCacheDataTypeE0EhLi32ELi128ELi256ELb0ELi14EL8MFMAType0EEvPKT_PKT0_S8_ifPKiSA_SA_iPKfiiiPfSD_PS3_PT2_iSC_SC_.kd
    .uniform_work_group_size: 1
    .uses_dynamic_stack: false
    .vgpr_count:     172
    .vgpr_spill_count: 0
    .wavefront_size: 32
    .workgroup_processor_mode: 1
  - .args:
      - .actual_access:  read_only
        .address_space:  global
        .offset:         0
        .size:           8
        .value_kind:     global_buffer
      - .actual_access:  read_only
        .address_space:  global
        .offset:         8
        .size:           8
        .value_kind:     global_buffer
      - .actual_access:  read_only
        .address_space:  global
        .offset:         16
        .size:           8
        .value_kind:     global_buffer
      - .offset:         24
        .size:           4
        .value_kind:     by_value
      - .offset:         28
        .size:           4
        .value_kind:     by_value
      - .actual_access:  read_only
        .address_space:  global
        .offset:         32
        .size:           8
        .value_kind:     global_buffer
      - .actual_access:  read_only
        .address_space:  global
        .offset:         40
        .size:           8
        .value_kind:     global_buffer
      - .actual_access:  read_only
        .address_space:  global
        .offset:         48
        .size:           8
        .value_kind:     global_buffer
      - .offset:         56
        .size:           4
        .value_kind:     by_value
      - .actual_access:  read_only
        .address_space:  global
        .offset:         64
        .size:           8
        .value_kind:     global_buffer
      - .offset:         72
        .size:           4
        .value_kind:     by_value
      - .offset:         76
        .size:           4
        .value_kind:     by_value
      - .offset:         80
        .size:           4
        .value_kind:     by_value
      - .actual_access:  write_only
        .address_space:  global
        .offset:         88
        .size:           8
        .value_kind:     global_buffer
      - .actual_access:  write_only
        .address_space:  global
        .offset:         96
        .size:           8
        .value_kind:     global_buffer
      - .actual_access:  write_only
        .address_space:  global
        .offset:         104
        .size:           8
        .value_kind:     global_buffer
      - .actual_access:  read_only
        .address_space:  global
        .offset:         112
        .size:           8
        .value_kind:     global_buffer
      - .offset:         120
        .size:           4
        .value_kind:     by_value
      - .address_space:  global
        .offset:         128
        .size:           8
        .value_kind:     global_buffer
      - .address_space:  global
        .offset:         136
        .size:           8
        .value_kind:     global_buffer
      - .offset:         144
        .size:           4
        .value_kind:     hidden_block_count_x
      - .offset:         148
        .size:           4
        .value_kind:     hidden_block_count_y
      - .offset:         152
        .size:           4
        .value_kind:     hidden_block_count_z
      - .offset:         156
        .size:           2
        .value_kind:     hidden_group_size_x
      - .offset:         158
        .size:           2
        .value_kind:     hidden_group_size_y
      - .offset:         160
        .size:           2
        .value_kind:     hidden_group_size_z
      - .offset:         162
        .size:           2
        .value_kind:     hidden_remainder_x
      - .offset:         164
        .size:           2
        .value_kind:     hidden_remainder_y
      - .offset:         166
        .size:           2
        .value_kind:     hidden_remainder_z
      - .offset:         184
        .size:           8
        .value_kind:     hidden_global_offset_x
      - .offset:         192
        .size:           8
        .value_kind:     hidden_global_offset_y
      - .offset:         200
        .size:           8
        .value_kind:     hidden_global_offset_z
      - .offset:         208
        .size:           2
        .value_kind:     hidden_grid_dims
    .group_segment_fixed_size: 17472
    .kernarg_segment_align: 8
    .kernarg_segment_size: 400
    .language:       OpenCL C
    .language_version:
      - 2
      - 0
    .max_flat_workgroup_size: 256
    .name:           _Z39paged_attention_ll4mi_QKV_mfma16_kernelIDF16_DF16_LN4vllm18Fp8KVCacheDataTypeE0EhLi32ELi128ELi256ELb0ELi15EL8MFMAType0EEvPKT_PKT0_S8_ifPKiSA_SA_iPKfiiiPfSD_PS3_PT2_iSC_SC_
    .private_segment_fixed_size: 0
    .sgpr_count:     41
    .sgpr_spill_count: 0
    .symbol:         _Z39paged_attention_ll4mi_QKV_mfma16_kernelIDF16_DF16_LN4vllm18Fp8KVCacheDataTypeE0EhLi32ELi128ELi256ELb0ELi15EL8MFMAType0EEvPKT_PKT0_S8_ifPKiSA_SA_iPKfiiiPfSD_PS3_PT2_iSC_SC_.kd
    .uniform_work_group_size: 1
    .uses_dynamic_stack: false
    .vgpr_count:     172
    .vgpr_spill_count: 0
    .wavefront_size: 32
    .workgroup_processor_mode: 1
  - .args:
      - .actual_access:  read_only
        .address_space:  global
        .offset:         0
        .size:           8
        .value_kind:     global_buffer
      - .actual_access:  read_only
        .address_space:  global
        .offset:         8
        .size:           8
        .value_kind:     global_buffer
      - .actual_access:  read_only
        .address_space:  global
        .offset:         16
        .size:           8
        .value_kind:     global_buffer
      - .offset:         24
        .size:           4
        .value_kind:     by_value
      - .offset:         28
        .size:           4
        .value_kind:     by_value
      - .actual_access:  read_only
        .address_space:  global
        .offset:         32
        .size:           8
        .value_kind:     global_buffer
      - .actual_access:  read_only
        .address_space:  global
        .offset:         40
        .size:           8
        .value_kind:     global_buffer
      - .actual_access:  read_only
        .address_space:  global
        .offset:         48
        .size:           8
        .value_kind:     global_buffer
      - .offset:         56
        .size:           4
        .value_kind:     by_value
      - .actual_access:  read_only
        .address_space:  global
        .offset:         64
        .size:           8
        .value_kind:     global_buffer
      - .offset:         72
        .size:           4
        .value_kind:     by_value
      - .offset:         76
        .size:           4
        .value_kind:     by_value
      - .offset:         80
        .size:           4
        .value_kind:     by_value
      - .actual_access:  write_only
        .address_space:  global
        .offset:         88
        .size:           8
        .value_kind:     global_buffer
      - .actual_access:  write_only
        .address_space:  global
        .offset:         96
        .size:           8
        .value_kind:     global_buffer
      - .actual_access:  write_only
        .address_space:  global
        .offset:         104
        .size:           8
        .value_kind:     global_buffer
      - .actual_access:  read_only
        .address_space:  global
        .offset:         112
        .size:           8
        .value_kind:     global_buffer
      - .offset:         120
        .size:           4
        .value_kind:     by_value
      - .address_space:  global
        .offset:         128
        .size:           8
        .value_kind:     global_buffer
      - .address_space:  global
        .offset:         136
        .size:           8
        .value_kind:     global_buffer
      - .offset:         144
        .size:           4
        .value_kind:     hidden_block_count_x
      - .offset:         148
        .size:           4
        .value_kind:     hidden_block_count_y
      - .offset:         152
        .size:           4
        .value_kind:     hidden_block_count_z
      - .offset:         156
        .size:           2
        .value_kind:     hidden_group_size_x
      - .offset:         158
        .size:           2
        .value_kind:     hidden_group_size_y
      - .offset:         160
        .size:           2
        .value_kind:     hidden_group_size_z
      - .offset:         162
        .size:           2
        .value_kind:     hidden_remainder_x
      - .offset:         164
        .size:           2
        .value_kind:     hidden_remainder_y
      - .offset:         166
        .size:           2
        .value_kind:     hidden_remainder_z
      - .offset:         184
        .size:           8
        .value_kind:     hidden_global_offset_x
      - .offset:         192
        .size:           8
        .value_kind:     hidden_global_offset_y
      - .offset:         200
        .size:           8
        .value_kind:     hidden_global_offset_z
      - .offset:         208
        .size:           2
        .value_kind:     hidden_grid_dims
    .group_segment_fixed_size: 17472
    .kernarg_segment_align: 8
    .kernarg_segment_size: 400
    .language:       OpenCL C
    .language_version:
      - 2
      - 0
    .max_flat_workgroup_size: 256
    .name:           _Z39paged_attention_ll4mi_QKV_mfma16_kernelIDF16_DF16_LN4vllm18Fp8KVCacheDataTypeE0EhLi32ELi128ELi256ELb0ELi16EL8MFMAType0EEvPKT_PKT0_S8_ifPKiSA_SA_iPKfiiiPfSD_PS3_PT2_iSC_SC_
    .private_segment_fixed_size: 0
    .sgpr_count:     40
    .sgpr_spill_count: 0
    .symbol:         _Z39paged_attention_ll4mi_QKV_mfma16_kernelIDF16_DF16_LN4vllm18Fp8KVCacheDataTypeE0EhLi32ELi128ELi256ELb0ELi16EL8MFMAType0EEvPKT_PKT0_S8_ifPKiSA_SA_iPKfiiiPfSD_PS3_PT2_iSC_SC_.kd
    .uniform_work_group_size: 1
    .uses_dynamic_stack: false
    .vgpr_count:     171
    .vgpr_spill_count: 0
    .wavefront_size: 32
    .workgroup_processor_mode: 1
  - .args:
      - .actual_access:  read_only
        .address_space:  global
        .offset:         0
        .size:           8
        .value_kind:     global_buffer
      - .actual_access:  read_only
        .address_space:  global
        .offset:         8
        .size:           8
        .value_kind:     global_buffer
      - .actual_access:  read_only
        .address_space:  global
        .offset:         16
        .size:           8
        .value_kind:     global_buffer
      - .offset:         24
        .size:           4
        .value_kind:     by_value
      - .offset:         28
        .size:           4
        .value_kind:     by_value
      - .actual_access:  read_only
        .address_space:  global
        .offset:         32
        .size:           8
        .value_kind:     global_buffer
      - .actual_access:  read_only
        .address_space:  global
        .offset:         40
        .size:           8
        .value_kind:     global_buffer
      - .actual_access:  read_only
        .address_space:  global
        .offset:         48
        .size:           8
        .value_kind:     global_buffer
      - .offset:         56
        .size:           4
        .value_kind:     by_value
      - .actual_access:  read_only
        .address_space:  global
        .offset:         64
        .size:           8
        .value_kind:     global_buffer
      - .offset:         72
        .size:           4
        .value_kind:     by_value
      - .offset:         76
        .size:           4
        .value_kind:     by_value
      - .offset:         80
        .size:           4
        .value_kind:     by_value
      - .actual_access:  write_only
        .address_space:  global
        .offset:         88
        .size:           8
        .value_kind:     global_buffer
      - .actual_access:  write_only
        .address_space:  global
        .offset:         96
        .size:           8
        .value_kind:     global_buffer
      - .actual_access:  write_only
        .address_space:  global
        .offset:         104
        .size:           8
        .value_kind:     global_buffer
      - .actual_access:  read_only
        .address_space:  global
        .offset:         112
        .size:           8
        .value_kind:     global_buffer
      - .offset:         120
        .size:           4
        .value_kind:     by_value
      - .address_space:  global
        .offset:         128
        .size:           8
        .value_kind:     global_buffer
      - .address_space:  global
        .offset:         136
        .size:           8
        .value_kind:     global_buffer
      - .offset:         144
        .size:           4
        .value_kind:     hidden_block_count_x
      - .offset:         148
        .size:           4
        .value_kind:     hidden_block_count_y
      - .offset:         152
        .size:           4
        .value_kind:     hidden_block_count_z
      - .offset:         156
        .size:           2
        .value_kind:     hidden_group_size_x
      - .offset:         158
        .size:           2
        .value_kind:     hidden_group_size_y
      - .offset:         160
        .size:           2
        .value_kind:     hidden_group_size_z
      - .offset:         162
        .size:           2
        .value_kind:     hidden_remainder_x
      - .offset:         164
        .size:           2
        .value_kind:     hidden_remainder_y
      - .offset:         166
        .size:           2
        .value_kind:     hidden_remainder_z
      - .offset:         184
        .size:           8
        .value_kind:     hidden_global_offset_x
      - .offset:         192
        .size:           8
        .value_kind:     hidden_global_offset_y
      - .offset:         200
        .size:           8
        .value_kind:     hidden_global_offset_z
      - .offset:         208
        .size:           2
        .value_kind:     hidden_grid_dims
    .group_segment_fixed_size: 17472
    .kernarg_segment_align: 8
    .kernarg_segment_size: 400
    .language:       OpenCL C
    .language_version:
      - 2
      - 0
    .max_flat_workgroup_size: 256
    .name:           _Z39paged_attention_ll4mi_QKV_mfma16_kernelIDF16_DF16_LN4vllm18Fp8KVCacheDataTypeE0EhLi32ELi128ELi256ELb0ELi1EL8MFMAType0EEvPKT_PKT0_S8_ifPKiSA_SA_iPKfiiiPfSD_PS3_PT2_iSC_SC_
    .private_segment_fixed_size: 0
    .sgpr_count:     98
    .sgpr_spill_count: 0
    .symbol:         _Z39paged_attention_ll4mi_QKV_mfma16_kernelIDF16_DF16_LN4vllm18Fp8KVCacheDataTypeE0EhLi32ELi128ELi256ELb0ELi1EL8MFMAType0EEvPKT_PKT0_S8_ifPKiSA_SA_iPKfiiiPfSD_PS3_PT2_iSC_SC_.kd
    .uniform_work_group_size: 1
    .uses_dynamic_stack: false
    .vgpr_count:     165
    .vgpr_spill_count: 0
    .wavefront_size: 32
    .workgroup_processor_mode: 1
  - .args:
      - .actual_access:  read_only
        .address_space:  global
        .offset:         0
        .size:           8
        .value_kind:     global_buffer
      - .actual_access:  read_only
        .address_space:  global
        .offset:         8
        .size:           8
        .value_kind:     global_buffer
      - .actual_access:  read_only
        .address_space:  global
        .offset:         16
        .size:           8
        .value_kind:     global_buffer
      - .offset:         24
        .size:           4
        .value_kind:     by_value
      - .offset:         28
        .size:           4
        .value_kind:     by_value
      - .actual_access:  read_only
        .address_space:  global
        .offset:         32
        .size:           8
        .value_kind:     global_buffer
      - .actual_access:  read_only
        .address_space:  global
        .offset:         40
        .size:           8
        .value_kind:     global_buffer
      - .actual_access:  read_only
        .address_space:  global
        .offset:         48
        .size:           8
        .value_kind:     global_buffer
      - .offset:         56
        .size:           4
        .value_kind:     by_value
      - .actual_access:  read_only
        .address_space:  global
        .offset:         64
        .size:           8
        .value_kind:     global_buffer
      - .offset:         72
        .size:           4
        .value_kind:     by_value
      - .offset:         76
        .size:           4
        .value_kind:     by_value
      - .offset:         80
        .size:           4
        .value_kind:     by_value
      - .actual_access:  write_only
        .address_space:  global
        .offset:         88
        .size:           8
        .value_kind:     global_buffer
      - .actual_access:  write_only
        .address_space:  global
        .offset:         96
        .size:           8
        .value_kind:     global_buffer
      - .actual_access:  write_only
        .address_space:  global
        .offset:         104
        .size:           8
        .value_kind:     global_buffer
      - .actual_access:  read_only
        .address_space:  global
        .offset:         112
        .size:           8
        .value_kind:     global_buffer
      - .offset:         120
        .size:           4
        .value_kind:     by_value
      - .address_space:  global
        .offset:         128
        .size:           8
        .value_kind:     global_buffer
      - .address_space:  global
        .offset:         136
        .size:           8
        .value_kind:     global_buffer
      - .offset:         144
        .size:           4
        .value_kind:     hidden_block_count_x
      - .offset:         148
        .size:           4
        .value_kind:     hidden_block_count_y
      - .offset:         152
        .size:           4
        .value_kind:     hidden_block_count_z
      - .offset:         156
        .size:           2
        .value_kind:     hidden_group_size_x
      - .offset:         158
        .size:           2
        .value_kind:     hidden_group_size_y
      - .offset:         160
        .size:           2
        .value_kind:     hidden_group_size_z
      - .offset:         162
        .size:           2
        .value_kind:     hidden_remainder_x
      - .offset:         164
        .size:           2
        .value_kind:     hidden_remainder_y
      - .offset:         166
        .size:           2
        .value_kind:     hidden_remainder_z
      - .offset:         184
        .size:           8
        .value_kind:     hidden_global_offset_x
      - .offset:         192
        .size:           8
        .value_kind:     hidden_global_offset_y
      - .offset:         200
        .size:           8
        .value_kind:     hidden_global_offset_z
      - .offset:         208
        .size:           2
        .value_kind:     hidden_grid_dims
    .group_segment_fixed_size: 17472
    .kernarg_segment_align: 8
    .kernarg_segment_size: 400
    .language:       OpenCL C
    .language_version:
      - 2
      - 0
    .max_flat_workgroup_size: 256
    .name:           _Z39paged_attention_ll4mi_QKV_mfma16_kernelIDF16_DF16_LN4vllm18Fp8KVCacheDataTypeE0EhLi32ELi128ELi256ELb0ELi2EL8MFMAType0EEvPKT_PKT0_S8_ifPKiSA_SA_iPKfiiiPfSD_PS3_PT2_iSC_SC_
    .private_segment_fixed_size: 0
    .sgpr_count:     41
    .sgpr_spill_count: 0
    .symbol:         _Z39paged_attention_ll4mi_QKV_mfma16_kernelIDF16_DF16_LN4vllm18Fp8KVCacheDataTypeE0EhLi32ELi128ELi256ELb0ELi2EL8MFMAType0EEvPKT_PKT0_S8_ifPKiSA_SA_iPKfiiiPfSD_PS3_PT2_iSC_SC_.kd
    .uniform_work_group_size: 1
    .uses_dynamic_stack: false
    .vgpr_count:     174
    .vgpr_spill_count: 0
    .wavefront_size: 32
    .workgroup_processor_mode: 1
  - .args:
      - .actual_access:  read_only
        .address_space:  global
        .offset:         0
        .size:           8
        .value_kind:     global_buffer
      - .actual_access:  read_only
        .address_space:  global
        .offset:         8
        .size:           8
        .value_kind:     global_buffer
      - .actual_access:  read_only
        .address_space:  global
        .offset:         16
        .size:           8
        .value_kind:     global_buffer
      - .offset:         24
        .size:           4
        .value_kind:     by_value
      - .offset:         28
        .size:           4
        .value_kind:     by_value
      - .actual_access:  read_only
        .address_space:  global
        .offset:         32
        .size:           8
        .value_kind:     global_buffer
      - .actual_access:  read_only
        .address_space:  global
        .offset:         40
        .size:           8
        .value_kind:     global_buffer
      - .actual_access:  read_only
        .address_space:  global
        .offset:         48
        .size:           8
        .value_kind:     global_buffer
      - .offset:         56
        .size:           4
        .value_kind:     by_value
      - .actual_access:  read_only
        .address_space:  global
        .offset:         64
        .size:           8
        .value_kind:     global_buffer
      - .offset:         72
        .size:           4
        .value_kind:     by_value
      - .offset:         76
        .size:           4
        .value_kind:     by_value
      - .offset:         80
        .size:           4
        .value_kind:     by_value
      - .actual_access:  write_only
        .address_space:  global
        .offset:         88
        .size:           8
        .value_kind:     global_buffer
      - .actual_access:  write_only
        .address_space:  global
        .offset:         96
        .size:           8
        .value_kind:     global_buffer
      - .actual_access:  write_only
        .address_space:  global
        .offset:         104
        .size:           8
        .value_kind:     global_buffer
      - .actual_access:  read_only
        .address_space:  global
        .offset:         112
        .size:           8
        .value_kind:     global_buffer
      - .offset:         120
        .size:           4
        .value_kind:     by_value
      - .address_space:  global
        .offset:         128
        .size:           8
        .value_kind:     global_buffer
      - .address_space:  global
        .offset:         136
        .size:           8
        .value_kind:     global_buffer
      - .offset:         144
        .size:           4
        .value_kind:     hidden_block_count_x
      - .offset:         148
        .size:           4
        .value_kind:     hidden_block_count_y
      - .offset:         152
        .size:           4
        .value_kind:     hidden_block_count_z
      - .offset:         156
        .size:           2
        .value_kind:     hidden_group_size_x
      - .offset:         158
        .size:           2
        .value_kind:     hidden_group_size_y
      - .offset:         160
        .size:           2
        .value_kind:     hidden_group_size_z
      - .offset:         162
        .size:           2
        .value_kind:     hidden_remainder_x
      - .offset:         164
        .size:           2
        .value_kind:     hidden_remainder_y
      - .offset:         166
        .size:           2
        .value_kind:     hidden_remainder_z
      - .offset:         184
        .size:           8
        .value_kind:     hidden_global_offset_x
      - .offset:         192
        .size:           8
        .value_kind:     hidden_global_offset_y
      - .offset:         200
        .size:           8
        .value_kind:     hidden_global_offset_z
      - .offset:         208
        .size:           2
        .value_kind:     hidden_grid_dims
    .group_segment_fixed_size: 17472
    .kernarg_segment_align: 8
    .kernarg_segment_size: 400
    .language:       OpenCL C
    .language_version:
      - 2
      - 0
    .max_flat_workgroup_size: 256
    .name:           _Z39paged_attention_ll4mi_QKV_mfma16_kernelIDF16_DF16_LN4vllm18Fp8KVCacheDataTypeE0EhLi32ELi128ELi256ELb0ELi3EL8MFMAType0EEvPKT_PKT0_S8_ifPKiSA_SA_iPKfiiiPfSD_PS3_PT2_iSC_SC_
    .private_segment_fixed_size: 0
    .sgpr_count:     41
    .sgpr_spill_count: 0
    .symbol:         _Z39paged_attention_ll4mi_QKV_mfma16_kernelIDF16_DF16_LN4vllm18Fp8KVCacheDataTypeE0EhLi32ELi128ELi256ELb0ELi3EL8MFMAType0EEvPKT_PKT0_S8_ifPKiSA_SA_iPKfiiiPfSD_PS3_PT2_iSC_SC_.kd
    .uniform_work_group_size: 1
    .uses_dynamic_stack: false
    .vgpr_count:     172
    .vgpr_spill_count: 0
    .wavefront_size: 32
    .workgroup_processor_mode: 1
  - .args:
      - .actual_access:  read_only
        .address_space:  global
        .offset:         0
        .size:           8
        .value_kind:     global_buffer
      - .actual_access:  read_only
        .address_space:  global
        .offset:         8
        .size:           8
        .value_kind:     global_buffer
      - .actual_access:  read_only
        .address_space:  global
        .offset:         16
        .size:           8
        .value_kind:     global_buffer
      - .offset:         24
        .size:           4
        .value_kind:     by_value
      - .offset:         28
        .size:           4
        .value_kind:     by_value
      - .actual_access:  read_only
        .address_space:  global
        .offset:         32
        .size:           8
        .value_kind:     global_buffer
      - .actual_access:  read_only
        .address_space:  global
        .offset:         40
        .size:           8
        .value_kind:     global_buffer
      - .actual_access:  read_only
        .address_space:  global
        .offset:         48
        .size:           8
        .value_kind:     global_buffer
      - .offset:         56
        .size:           4
        .value_kind:     by_value
      - .actual_access:  read_only
        .address_space:  global
        .offset:         64
        .size:           8
        .value_kind:     global_buffer
      - .offset:         72
        .size:           4
        .value_kind:     by_value
      - .offset:         76
        .size:           4
        .value_kind:     by_value
      - .offset:         80
        .size:           4
        .value_kind:     by_value
      - .actual_access:  write_only
        .address_space:  global
        .offset:         88
        .size:           8
        .value_kind:     global_buffer
      - .actual_access:  write_only
        .address_space:  global
        .offset:         96
        .size:           8
        .value_kind:     global_buffer
      - .actual_access:  write_only
        .address_space:  global
        .offset:         104
        .size:           8
        .value_kind:     global_buffer
      - .actual_access:  read_only
        .address_space:  global
        .offset:         112
        .size:           8
        .value_kind:     global_buffer
      - .offset:         120
        .size:           4
        .value_kind:     by_value
      - .address_space:  global
        .offset:         128
        .size:           8
        .value_kind:     global_buffer
      - .address_space:  global
        .offset:         136
        .size:           8
        .value_kind:     global_buffer
      - .offset:         144
        .size:           4
        .value_kind:     hidden_block_count_x
      - .offset:         148
        .size:           4
        .value_kind:     hidden_block_count_y
      - .offset:         152
        .size:           4
        .value_kind:     hidden_block_count_z
      - .offset:         156
        .size:           2
        .value_kind:     hidden_group_size_x
      - .offset:         158
        .size:           2
        .value_kind:     hidden_group_size_y
      - .offset:         160
        .size:           2
        .value_kind:     hidden_group_size_z
      - .offset:         162
        .size:           2
        .value_kind:     hidden_remainder_x
      - .offset:         164
        .size:           2
        .value_kind:     hidden_remainder_y
      - .offset:         166
        .size:           2
        .value_kind:     hidden_remainder_z
      - .offset:         184
        .size:           8
        .value_kind:     hidden_global_offset_x
      - .offset:         192
        .size:           8
        .value_kind:     hidden_global_offset_y
      - .offset:         200
        .size:           8
        .value_kind:     hidden_global_offset_z
      - .offset:         208
        .size:           2
        .value_kind:     hidden_grid_dims
    .group_segment_fixed_size: 17472
    .kernarg_segment_align: 8
    .kernarg_segment_size: 400
    .language:       OpenCL C
    .language_version:
      - 2
      - 0
    .max_flat_workgroup_size: 256
    .name:           _Z39paged_attention_ll4mi_QKV_mfma16_kernelIDF16_DF16_LN4vllm18Fp8KVCacheDataTypeE0EhLi32ELi128ELi256ELb0ELi4EL8MFMAType0EEvPKT_PKT0_S8_ifPKiSA_SA_iPKfiiiPfSD_PS3_PT2_iSC_SC_
    .private_segment_fixed_size: 0
    .sgpr_count:     40
    .sgpr_spill_count: 0
    .symbol:         _Z39paged_attention_ll4mi_QKV_mfma16_kernelIDF16_DF16_LN4vllm18Fp8KVCacheDataTypeE0EhLi32ELi128ELi256ELb0ELi4EL8MFMAType0EEvPKT_PKT0_S8_ifPKiSA_SA_iPKfiiiPfSD_PS3_PT2_iSC_SC_.kd
    .uniform_work_group_size: 1
    .uses_dynamic_stack: false
    .vgpr_count:     172
    .vgpr_spill_count: 0
    .wavefront_size: 32
    .workgroup_processor_mode: 1
  - .args:
      - .actual_access:  read_only
        .address_space:  global
        .offset:         0
        .size:           8
        .value_kind:     global_buffer
      - .actual_access:  read_only
        .address_space:  global
        .offset:         8
        .size:           8
        .value_kind:     global_buffer
      - .actual_access:  read_only
        .address_space:  global
        .offset:         16
        .size:           8
        .value_kind:     global_buffer
      - .offset:         24
        .size:           4
        .value_kind:     by_value
      - .offset:         28
        .size:           4
        .value_kind:     by_value
      - .actual_access:  read_only
        .address_space:  global
        .offset:         32
        .size:           8
        .value_kind:     global_buffer
      - .actual_access:  read_only
        .address_space:  global
        .offset:         40
        .size:           8
        .value_kind:     global_buffer
      - .actual_access:  read_only
        .address_space:  global
        .offset:         48
        .size:           8
        .value_kind:     global_buffer
      - .offset:         56
        .size:           4
        .value_kind:     by_value
      - .actual_access:  read_only
        .address_space:  global
        .offset:         64
        .size:           8
        .value_kind:     global_buffer
      - .offset:         72
        .size:           4
        .value_kind:     by_value
      - .offset:         76
        .size:           4
        .value_kind:     by_value
      - .offset:         80
        .size:           4
        .value_kind:     by_value
      - .actual_access:  read_only
        .address_space:  global
        .offset:         88
        .size:           8
        .value_kind:     global_buffer
      - .actual_access:  read_only
        .address_space:  global
        .offset:         96
        .size:           8
        .value_kind:     global_buffer
      - .actual_access:  read_only
        .address_space:  global
        .offset:         104
        .size:           8
        .value_kind:     global_buffer
      - .actual_access:  read_only
        .address_space:  global
        .offset:         112
        .size:           8
        .value_kind:     global_buffer
      - .offset:         120
        .size:           4
        .value_kind:     by_value
      - .address_space:  global
        .offset:         128
        .size:           8
        .value_kind:     global_buffer
      - .address_space:  global
        .offset:         136
        .size:           8
        .value_kind:     global_buffer
      - .offset:         144
        .size:           4
        .value_kind:     hidden_block_count_x
      - .offset:         148
        .size:           4
        .value_kind:     hidden_block_count_y
      - .offset:         152
        .size:           4
        .value_kind:     hidden_block_count_z
      - .offset:         156
        .size:           2
        .value_kind:     hidden_group_size_x
      - .offset:         158
        .size:           2
        .value_kind:     hidden_group_size_y
      - .offset:         160
        .size:           2
        .value_kind:     hidden_group_size_z
      - .offset:         162
        .size:           2
        .value_kind:     hidden_remainder_x
      - .offset:         164
        .size:           2
        .value_kind:     hidden_remainder_y
      - .offset:         166
        .size:           2
        .value_kind:     hidden_remainder_z
      - .offset:         184
        .size:           8
        .value_kind:     hidden_global_offset_x
      - .offset:         192
        .size:           8
        .value_kind:     hidden_global_offset_y
      - .offset:         200
        .size:           8
        .value_kind:     hidden_global_offset_z
      - .offset:         208
        .size:           2
        .value_kind:     hidden_grid_dims
      - .offset:         224
        .size:           8
        .value_kind:     hidden_hostcall_buffer
    .group_segment_fixed_size: 0
    .kernarg_segment_align: 8
    .kernarg_segment_size: 400
    .language:       OpenCL C
    .language_version:
      - 2
      - 0
    .max_flat_workgroup_size: 256
    .name:           _Z38paged_attention_ll4mi_QKV_mfma4_kernelIDF16_DF16_LN4vllm18Fp8KVCacheDataTypeE0EDF16_Li32ELi128ELi256ELb1ELi1EEvPKT_PKT0_S7_ifPKiS9_S9_iPKfiiiPfSC_PS2_PT2_iSB_SB_
    .private_segment_fixed_size: 64
    .sgpr_count:     36
    .sgpr_spill_count: 0
    .symbol:         _Z38paged_attention_ll4mi_QKV_mfma4_kernelIDF16_DF16_LN4vllm18Fp8KVCacheDataTypeE0EDF16_Li32ELi128ELi256ELb1ELi1EEvPKT_PKT0_S7_ifPKiS9_S9_iPKfiiiPfSC_PS2_PT2_iSB_SB_.kd
    .uniform_work_group_size: 1
    .uses_dynamic_stack: false
    .vgpr_count:     41
    .vgpr_spill_count: 0
    .wavefront_size: 32
    .workgroup_processor_mode: 1
  - .args:
      - .actual_access:  read_only
        .address_space:  global
        .offset:         0
        .size:           8
        .value_kind:     global_buffer
      - .actual_access:  read_only
        .address_space:  global
        .offset:         8
        .size:           8
        .value_kind:     global_buffer
      - .actual_access:  read_only
        .address_space:  global
        .offset:         16
        .size:           8
        .value_kind:     global_buffer
      - .offset:         24
        .size:           4
        .value_kind:     by_value
      - .offset:         28
        .size:           4
        .value_kind:     by_value
      - .actual_access:  read_only
        .address_space:  global
        .offset:         32
        .size:           8
        .value_kind:     global_buffer
      - .actual_access:  read_only
        .address_space:  global
        .offset:         40
        .size:           8
        .value_kind:     global_buffer
      - .actual_access:  read_only
        .address_space:  global
        .offset:         48
        .size:           8
        .value_kind:     global_buffer
      - .offset:         56
        .size:           4
        .value_kind:     by_value
      - .actual_access:  read_only
        .address_space:  global
        .offset:         64
        .size:           8
        .value_kind:     global_buffer
      - .offset:         72
        .size:           4
        .value_kind:     by_value
      - .offset:         76
        .size:           4
        .value_kind:     by_value
      - .offset:         80
        .size:           4
        .value_kind:     by_value
      - .actual_access:  read_only
        .address_space:  global
        .offset:         88
        .size:           8
        .value_kind:     global_buffer
      - .actual_access:  read_only
        .address_space:  global
        .offset:         96
        .size:           8
        .value_kind:     global_buffer
      - .actual_access:  read_only
        .address_space:  global
        .offset:         104
        .size:           8
        .value_kind:     global_buffer
      - .actual_access:  read_only
        .address_space:  global
        .offset:         112
        .size:           8
        .value_kind:     global_buffer
      - .offset:         120
        .size:           4
        .value_kind:     by_value
      - .address_space:  global
        .offset:         128
        .size:           8
        .value_kind:     global_buffer
      - .address_space:  global
        .offset:         136
        .size:           8
        .value_kind:     global_buffer
      - .offset:         144
        .size:           4
        .value_kind:     hidden_block_count_x
      - .offset:         148
        .size:           4
        .value_kind:     hidden_block_count_y
      - .offset:         152
        .size:           4
        .value_kind:     hidden_block_count_z
      - .offset:         156
        .size:           2
        .value_kind:     hidden_group_size_x
      - .offset:         158
        .size:           2
        .value_kind:     hidden_group_size_y
      - .offset:         160
        .size:           2
        .value_kind:     hidden_group_size_z
      - .offset:         162
        .size:           2
        .value_kind:     hidden_remainder_x
      - .offset:         164
        .size:           2
        .value_kind:     hidden_remainder_y
      - .offset:         166
        .size:           2
        .value_kind:     hidden_remainder_z
      - .offset:         184
        .size:           8
        .value_kind:     hidden_global_offset_x
      - .offset:         192
        .size:           8
        .value_kind:     hidden_global_offset_y
      - .offset:         200
        .size:           8
        .value_kind:     hidden_global_offset_z
      - .offset:         208
        .size:           2
        .value_kind:     hidden_grid_dims
      - .offset:         224
        .size:           8
        .value_kind:     hidden_hostcall_buffer
    .group_segment_fixed_size: 0
    .kernarg_segment_align: 8
    .kernarg_segment_size: 400
    .language:       OpenCL C
    .language_version:
      - 2
      - 0
    .max_flat_workgroup_size: 256
    .name:           _Z38paged_attention_ll4mi_QKV_mfma4_kernelIDF16_DF16_LN4vllm18Fp8KVCacheDataTypeE0EDF16_Li32ELi128ELi256ELb1ELi2EEvPKT_PKT0_S7_ifPKiS9_S9_iPKfiiiPfSC_PS2_PT2_iSB_SB_
    .private_segment_fixed_size: 64
    .sgpr_count:     36
    .sgpr_spill_count: 0
    .symbol:         _Z38paged_attention_ll4mi_QKV_mfma4_kernelIDF16_DF16_LN4vllm18Fp8KVCacheDataTypeE0EDF16_Li32ELi128ELi256ELb1ELi2EEvPKT_PKT0_S7_ifPKiS9_S9_iPKfiiiPfSC_PS2_PT2_iSB_SB_.kd
    .uniform_work_group_size: 1
    .uses_dynamic_stack: false
    .vgpr_count:     41
    .vgpr_spill_count: 0
    .wavefront_size: 32
    .workgroup_processor_mode: 1
  - .args:
      - .actual_access:  read_only
        .address_space:  global
        .offset:         0
        .size:           8
        .value_kind:     global_buffer
      - .actual_access:  read_only
        .address_space:  global
        .offset:         8
        .size:           8
        .value_kind:     global_buffer
      - .actual_access:  read_only
        .address_space:  global
        .offset:         16
        .size:           8
        .value_kind:     global_buffer
      - .offset:         24
        .size:           4
        .value_kind:     by_value
      - .offset:         28
        .size:           4
        .value_kind:     by_value
      - .actual_access:  read_only
        .address_space:  global
        .offset:         32
        .size:           8
        .value_kind:     global_buffer
      - .actual_access:  read_only
        .address_space:  global
        .offset:         40
        .size:           8
        .value_kind:     global_buffer
      - .actual_access:  read_only
        .address_space:  global
        .offset:         48
        .size:           8
        .value_kind:     global_buffer
      - .offset:         56
        .size:           4
        .value_kind:     by_value
      - .actual_access:  read_only
        .address_space:  global
        .offset:         64
        .size:           8
        .value_kind:     global_buffer
      - .offset:         72
        .size:           4
        .value_kind:     by_value
      - .offset:         76
        .size:           4
        .value_kind:     by_value
      - .offset:         80
        .size:           4
        .value_kind:     by_value
      - .actual_access:  read_only
        .address_space:  global
        .offset:         88
        .size:           8
        .value_kind:     global_buffer
      - .actual_access:  read_only
        .address_space:  global
        .offset:         96
        .size:           8
        .value_kind:     global_buffer
      - .actual_access:  read_only
        .address_space:  global
        .offset:         104
        .size:           8
        .value_kind:     global_buffer
      - .actual_access:  read_only
        .address_space:  global
        .offset:         112
        .size:           8
        .value_kind:     global_buffer
      - .offset:         120
        .size:           4
        .value_kind:     by_value
      - .address_space:  global
        .offset:         128
        .size:           8
        .value_kind:     global_buffer
      - .address_space:  global
        .offset:         136
        .size:           8
        .value_kind:     global_buffer
      - .offset:         144
        .size:           4
        .value_kind:     hidden_block_count_x
      - .offset:         148
        .size:           4
        .value_kind:     hidden_block_count_y
      - .offset:         152
        .size:           4
        .value_kind:     hidden_block_count_z
      - .offset:         156
        .size:           2
        .value_kind:     hidden_group_size_x
      - .offset:         158
        .size:           2
        .value_kind:     hidden_group_size_y
      - .offset:         160
        .size:           2
        .value_kind:     hidden_group_size_z
      - .offset:         162
        .size:           2
        .value_kind:     hidden_remainder_x
      - .offset:         164
        .size:           2
        .value_kind:     hidden_remainder_y
      - .offset:         166
        .size:           2
        .value_kind:     hidden_remainder_z
      - .offset:         184
        .size:           8
        .value_kind:     hidden_global_offset_x
      - .offset:         192
        .size:           8
        .value_kind:     hidden_global_offset_y
      - .offset:         200
        .size:           8
        .value_kind:     hidden_global_offset_z
      - .offset:         208
        .size:           2
        .value_kind:     hidden_grid_dims
      - .offset:         224
        .size:           8
        .value_kind:     hidden_hostcall_buffer
    .group_segment_fixed_size: 0
    .kernarg_segment_align: 8
    .kernarg_segment_size: 400
    .language:       OpenCL C
    .language_version:
      - 2
      - 0
    .max_flat_workgroup_size: 256
    .name:           _Z38paged_attention_ll4mi_QKV_mfma4_kernelIDF16_DF16_LN4vllm18Fp8KVCacheDataTypeE0EDF16_Li32ELi128ELi256ELb1ELi3EEvPKT_PKT0_S7_ifPKiS9_S9_iPKfiiiPfSC_PS2_PT2_iSB_SB_
    .private_segment_fixed_size: 64
    .sgpr_count:     36
    .sgpr_spill_count: 0
    .symbol:         _Z38paged_attention_ll4mi_QKV_mfma4_kernelIDF16_DF16_LN4vllm18Fp8KVCacheDataTypeE0EDF16_Li32ELi128ELi256ELb1ELi3EEvPKT_PKT0_S7_ifPKiS9_S9_iPKfiiiPfSC_PS2_PT2_iSB_SB_.kd
    .uniform_work_group_size: 1
    .uses_dynamic_stack: false
    .vgpr_count:     41
    .vgpr_spill_count: 0
    .wavefront_size: 32
    .workgroup_processor_mode: 1
  - .args:
      - .actual_access:  read_only
        .address_space:  global
        .offset:         0
        .size:           8
        .value_kind:     global_buffer
      - .actual_access:  read_only
        .address_space:  global
        .offset:         8
        .size:           8
        .value_kind:     global_buffer
      - .actual_access:  read_only
        .address_space:  global
        .offset:         16
        .size:           8
        .value_kind:     global_buffer
      - .offset:         24
        .size:           4
        .value_kind:     by_value
      - .offset:         28
        .size:           4
        .value_kind:     by_value
      - .actual_access:  read_only
        .address_space:  global
        .offset:         32
        .size:           8
        .value_kind:     global_buffer
      - .actual_access:  read_only
        .address_space:  global
        .offset:         40
        .size:           8
        .value_kind:     global_buffer
      - .actual_access:  read_only
        .address_space:  global
        .offset:         48
        .size:           8
        .value_kind:     global_buffer
      - .offset:         56
        .size:           4
        .value_kind:     by_value
      - .actual_access:  read_only
        .address_space:  global
        .offset:         64
        .size:           8
        .value_kind:     global_buffer
      - .offset:         72
        .size:           4
        .value_kind:     by_value
      - .offset:         76
        .size:           4
        .value_kind:     by_value
      - .offset:         80
        .size:           4
        .value_kind:     by_value
      - .actual_access:  read_only
        .address_space:  global
        .offset:         88
        .size:           8
        .value_kind:     global_buffer
      - .actual_access:  read_only
        .address_space:  global
        .offset:         96
        .size:           8
        .value_kind:     global_buffer
      - .actual_access:  read_only
        .address_space:  global
        .offset:         104
        .size:           8
        .value_kind:     global_buffer
      - .actual_access:  read_only
        .address_space:  global
        .offset:         112
        .size:           8
        .value_kind:     global_buffer
      - .offset:         120
        .size:           4
        .value_kind:     by_value
      - .address_space:  global
        .offset:         128
        .size:           8
        .value_kind:     global_buffer
      - .address_space:  global
        .offset:         136
        .size:           8
        .value_kind:     global_buffer
      - .offset:         144
        .size:           4
        .value_kind:     hidden_block_count_x
      - .offset:         148
        .size:           4
        .value_kind:     hidden_block_count_y
      - .offset:         152
        .size:           4
        .value_kind:     hidden_block_count_z
      - .offset:         156
        .size:           2
        .value_kind:     hidden_group_size_x
      - .offset:         158
        .size:           2
        .value_kind:     hidden_group_size_y
      - .offset:         160
        .size:           2
        .value_kind:     hidden_group_size_z
      - .offset:         162
        .size:           2
        .value_kind:     hidden_remainder_x
      - .offset:         164
        .size:           2
        .value_kind:     hidden_remainder_y
      - .offset:         166
        .size:           2
        .value_kind:     hidden_remainder_z
      - .offset:         184
        .size:           8
        .value_kind:     hidden_global_offset_x
      - .offset:         192
        .size:           8
        .value_kind:     hidden_global_offset_y
      - .offset:         200
        .size:           8
        .value_kind:     hidden_global_offset_z
      - .offset:         208
        .size:           2
        .value_kind:     hidden_grid_dims
      - .offset:         224
        .size:           8
        .value_kind:     hidden_hostcall_buffer
    .group_segment_fixed_size: 0
    .kernarg_segment_align: 8
    .kernarg_segment_size: 400
    .language:       OpenCL C
    .language_version:
      - 2
      - 0
    .max_flat_workgroup_size: 256
    .name:           _Z38paged_attention_ll4mi_QKV_mfma4_kernelIDF16_DF16_LN4vllm18Fp8KVCacheDataTypeE0EDF16_Li32ELi128ELi256ELb1ELi4EEvPKT_PKT0_S7_ifPKiS9_S9_iPKfiiiPfSC_PS2_PT2_iSB_SB_
    .private_segment_fixed_size: 64
    .sgpr_count:     36
    .sgpr_spill_count: 0
    .symbol:         _Z38paged_attention_ll4mi_QKV_mfma4_kernelIDF16_DF16_LN4vllm18Fp8KVCacheDataTypeE0EDF16_Li32ELi128ELi256ELb1ELi4EEvPKT_PKT0_S7_ifPKiS9_S9_iPKfiiiPfSC_PS2_PT2_iSB_SB_.kd
    .uniform_work_group_size: 1
    .uses_dynamic_stack: false
    .vgpr_count:     41
    .vgpr_spill_count: 0
    .wavefront_size: 32
    .workgroup_processor_mode: 1
  - .args:
      - .actual_access:  read_only
        .address_space:  global
        .offset:         0
        .size:           8
        .value_kind:     global_buffer
      - .actual_access:  read_only
        .address_space:  global
        .offset:         8
        .size:           8
        .value_kind:     global_buffer
      - .actual_access:  read_only
        .address_space:  global
        .offset:         16
        .size:           8
        .value_kind:     global_buffer
      - .offset:         24
        .size:           4
        .value_kind:     by_value
      - .offset:         28
        .size:           4
        .value_kind:     by_value
      - .actual_access:  read_only
        .address_space:  global
        .offset:         32
        .size:           8
        .value_kind:     global_buffer
      - .actual_access:  read_only
        .address_space:  global
        .offset:         40
        .size:           8
        .value_kind:     global_buffer
      - .actual_access:  read_only
        .address_space:  global
        .offset:         48
        .size:           8
        .value_kind:     global_buffer
      - .offset:         56
        .size:           4
        .value_kind:     by_value
      - .actual_access:  read_only
        .address_space:  global
        .offset:         64
        .size:           8
        .value_kind:     global_buffer
      - .offset:         72
        .size:           4
        .value_kind:     by_value
      - .offset:         76
        .size:           4
        .value_kind:     by_value
      - .offset:         80
        .size:           4
        .value_kind:     by_value
      - .actual_access:  write_only
        .address_space:  global
        .offset:         88
        .size:           8
        .value_kind:     global_buffer
      - .actual_access:  write_only
        .address_space:  global
        .offset:         96
        .size:           8
        .value_kind:     global_buffer
      - .actual_access:  write_only
        .address_space:  global
        .offset:         104
        .size:           8
        .value_kind:     global_buffer
      - .actual_access:  read_only
        .address_space:  global
        .offset:         112
        .size:           8
        .value_kind:     global_buffer
      - .offset:         120
        .size:           4
        .value_kind:     by_value
      - .address_space:  global
        .offset:         128
        .size:           8
        .value_kind:     global_buffer
      - .address_space:  global
        .offset:         136
        .size:           8
        .value_kind:     global_buffer
      - .offset:         144
        .size:           4
        .value_kind:     hidden_block_count_x
      - .offset:         148
        .size:           4
        .value_kind:     hidden_block_count_y
      - .offset:         152
        .size:           4
        .value_kind:     hidden_block_count_z
      - .offset:         156
        .size:           2
        .value_kind:     hidden_group_size_x
      - .offset:         158
        .size:           2
        .value_kind:     hidden_group_size_y
      - .offset:         160
        .size:           2
        .value_kind:     hidden_group_size_z
      - .offset:         162
        .size:           2
        .value_kind:     hidden_remainder_x
      - .offset:         164
        .size:           2
        .value_kind:     hidden_remainder_y
      - .offset:         166
        .size:           2
        .value_kind:     hidden_remainder_z
      - .offset:         184
        .size:           8
        .value_kind:     hidden_global_offset_x
      - .offset:         192
        .size:           8
        .value_kind:     hidden_global_offset_y
      - .offset:         200
        .size:           8
        .value_kind:     hidden_global_offset_z
      - .offset:         208
        .size:           2
        .value_kind:     hidden_grid_dims
    .group_segment_fixed_size: 17472
    .kernarg_segment_align: 8
    .kernarg_segment_size: 400
    .language:       OpenCL C
    .language_version:
      - 2
      - 0
    .max_flat_workgroup_size: 256
    .name:           _Z39paged_attention_ll4mi_QKV_mfma16_kernelIDF16_DF16_LN4vllm18Fp8KVCacheDataTypeE0EDF16_Li32ELi128ELi256ELb1ELi5EL8MFMAType0EEvPKT_PKT0_S8_ifPKiSA_SA_iPKfiiiPfSD_PS3_PT2_iSC_SC_
    .private_segment_fixed_size: 0
    .sgpr_count:     41
    .sgpr_spill_count: 0
    .symbol:         _Z39paged_attention_ll4mi_QKV_mfma16_kernelIDF16_DF16_LN4vllm18Fp8KVCacheDataTypeE0EDF16_Li32ELi128ELi256ELb1ELi5EL8MFMAType0EEvPKT_PKT0_S8_ifPKiSA_SA_iPKfiiiPfSD_PS3_PT2_iSC_SC_.kd
    .uniform_work_group_size: 1
    .uses_dynamic_stack: false
    .vgpr_count:     172
    .vgpr_spill_count: 0
    .wavefront_size: 32
    .workgroup_processor_mode: 1
  - .args:
      - .actual_access:  read_only
        .address_space:  global
        .offset:         0
        .size:           8
        .value_kind:     global_buffer
      - .actual_access:  read_only
        .address_space:  global
        .offset:         8
        .size:           8
        .value_kind:     global_buffer
      - .actual_access:  read_only
        .address_space:  global
        .offset:         16
        .size:           8
        .value_kind:     global_buffer
      - .offset:         24
        .size:           4
        .value_kind:     by_value
      - .offset:         28
        .size:           4
        .value_kind:     by_value
      - .actual_access:  read_only
        .address_space:  global
        .offset:         32
        .size:           8
        .value_kind:     global_buffer
      - .actual_access:  read_only
        .address_space:  global
        .offset:         40
        .size:           8
        .value_kind:     global_buffer
      - .actual_access:  read_only
        .address_space:  global
        .offset:         48
        .size:           8
        .value_kind:     global_buffer
      - .offset:         56
        .size:           4
        .value_kind:     by_value
      - .actual_access:  read_only
        .address_space:  global
        .offset:         64
        .size:           8
        .value_kind:     global_buffer
      - .offset:         72
        .size:           4
        .value_kind:     by_value
      - .offset:         76
        .size:           4
        .value_kind:     by_value
      - .offset:         80
        .size:           4
        .value_kind:     by_value
      - .actual_access:  write_only
        .address_space:  global
        .offset:         88
        .size:           8
        .value_kind:     global_buffer
      - .actual_access:  write_only
        .address_space:  global
        .offset:         96
        .size:           8
        .value_kind:     global_buffer
      - .actual_access:  write_only
        .address_space:  global
        .offset:         104
        .size:           8
        .value_kind:     global_buffer
      - .actual_access:  read_only
        .address_space:  global
        .offset:         112
        .size:           8
        .value_kind:     global_buffer
      - .offset:         120
        .size:           4
        .value_kind:     by_value
      - .address_space:  global
        .offset:         128
        .size:           8
        .value_kind:     global_buffer
      - .address_space:  global
        .offset:         136
        .size:           8
        .value_kind:     global_buffer
      - .offset:         144
        .size:           4
        .value_kind:     hidden_block_count_x
      - .offset:         148
        .size:           4
        .value_kind:     hidden_block_count_y
      - .offset:         152
        .size:           4
        .value_kind:     hidden_block_count_z
      - .offset:         156
        .size:           2
        .value_kind:     hidden_group_size_x
      - .offset:         158
        .size:           2
        .value_kind:     hidden_group_size_y
      - .offset:         160
        .size:           2
        .value_kind:     hidden_group_size_z
      - .offset:         162
        .size:           2
        .value_kind:     hidden_remainder_x
      - .offset:         164
        .size:           2
        .value_kind:     hidden_remainder_y
      - .offset:         166
        .size:           2
        .value_kind:     hidden_remainder_z
      - .offset:         184
        .size:           8
        .value_kind:     hidden_global_offset_x
      - .offset:         192
        .size:           8
        .value_kind:     hidden_global_offset_y
      - .offset:         200
        .size:           8
        .value_kind:     hidden_global_offset_z
      - .offset:         208
        .size:           2
        .value_kind:     hidden_grid_dims
    .group_segment_fixed_size: 17472
    .kernarg_segment_align: 8
    .kernarg_segment_size: 400
    .language:       OpenCL C
    .language_version:
      - 2
      - 0
    .max_flat_workgroup_size: 256
    .name:           _Z39paged_attention_ll4mi_QKV_mfma16_kernelIDF16_DF16_LN4vllm18Fp8KVCacheDataTypeE0EDF16_Li32ELi128ELi256ELb1ELi6EL8MFMAType0EEvPKT_PKT0_S8_ifPKiSA_SA_iPKfiiiPfSD_PS3_PT2_iSC_SC_
    .private_segment_fixed_size: 0
    .sgpr_count:     40
    .sgpr_spill_count: 0
    .symbol:         _Z39paged_attention_ll4mi_QKV_mfma16_kernelIDF16_DF16_LN4vllm18Fp8KVCacheDataTypeE0EDF16_Li32ELi128ELi256ELb1ELi6EL8MFMAType0EEvPKT_PKT0_S8_ifPKiSA_SA_iPKfiiiPfSD_PS3_PT2_iSC_SC_.kd
    .uniform_work_group_size: 1
    .uses_dynamic_stack: false
    .vgpr_count:     172
    .vgpr_spill_count: 0
    .wavefront_size: 32
    .workgroup_processor_mode: 1
  - .args:
      - .actual_access:  read_only
        .address_space:  global
        .offset:         0
        .size:           8
        .value_kind:     global_buffer
      - .actual_access:  read_only
        .address_space:  global
        .offset:         8
        .size:           8
        .value_kind:     global_buffer
      - .actual_access:  read_only
        .address_space:  global
        .offset:         16
        .size:           8
        .value_kind:     global_buffer
      - .offset:         24
        .size:           4
        .value_kind:     by_value
      - .offset:         28
        .size:           4
        .value_kind:     by_value
      - .actual_access:  read_only
        .address_space:  global
        .offset:         32
        .size:           8
        .value_kind:     global_buffer
      - .actual_access:  read_only
        .address_space:  global
        .offset:         40
        .size:           8
        .value_kind:     global_buffer
      - .actual_access:  read_only
        .address_space:  global
        .offset:         48
        .size:           8
        .value_kind:     global_buffer
      - .offset:         56
        .size:           4
        .value_kind:     by_value
      - .actual_access:  read_only
        .address_space:  global
        .offset:         64
        .size:           8
        .value_kind:     global_buffer
      - .offset:         72
        .size:           4
        .value_kind:     by_value
      - .offset:         76
        .size:           4
        .value_kind:     by_value
      - .offset:         80
        .size:           4
        .value_kind:     by_value
      - .actual_access:  write_only
        .address_space:  global
        .offset:         88
        .size:           8
        .value_kind:     global_buffer
      - .actual_access:  write_only
        .address_space:  global
        .offset:         96
        .size:           8
        .value_kind:     global_buffer
      - .actual_access:  write_only
        .address_space:  global
        .offset:         104
        .size:           8
        .value_kind:     global_buffer
      - .actual_access:  read_only
        .address_space:  global
        .offset:         112
        .size:           8
        .value_kind:     global_buffer
      - .offset:         120
        .size:           4
        .value_kind:     by_value
      - .address_space:  global
        .offset:         128
        .size:           8
        .value_kind:     global_buffer
      - .address_space:  global
        .offset:         136
        .size:           8
        .value_kind:     global_buffer
      - .offset:         144
        .size:           4
        .value_kind:     hidden_block_count_x
      - .offset:         148
        .size:           4
        .value_kind:     hidden_block_count_y
      - .offset:         152
        .size:           4
        .value_kind:     hidden_block_count_z
      - .offset:         156
        .size:           2
        .value_kind:     hidden_group_size_x
      - .offset:         158
        .size:           2
        .value_kind:     hidden_group_size_y
      - .offset:         160
        .size:           2
        .value_kind:     hidden_group_size_z
      - .offset:         162
        .size:           2
        .value_kind:     hidden_remainder_x
      - .offset:         164
        .size:           2
        .value_kind:     hidden_remainder_y
      - .offset:         166
        .size:           2
        .value_kind:     hidden_remainder_z
      - .offset:         184
        .size:           8
        .value_kind:     hidden_global_offset_x
      - .offset:         192
        .size:           8
        .value_kind:     hidden_global_offset_y
      - .offset:         200
        .size:           8
        .value_kind:     hidden_global_offset_z
      - .offset:         208
        .size:           2
        .value_kind:     hidden_grid_dims
    .group_segment_fixed_size: 17472
    .kernarg_segment_align: 8
    .kernarg_segment_size: 400
    .language:       OpenCL C
    .language_version:
      - 2
      - 0
    .max_flat_workgroup_size: 256
    .name:           _Z39paged_attention_ll4mi_QKV_mfma16_kernelIDF16_DF16_LN4vllm18Fp8KVCacheDataTypeE0EDF16_Li32ELi128ELi256ELb1ELi7EL8MFMAType0EEvPKT_PKT0_S8_ifPKiSA_SA_iPKfiiiPfSD_PS3_PT2_iSC_SC_
    .private_segment_fixed_size: 0
    .sgpr_count:     41
    .sgpr_spill_count: 0
    .symbol:         _Z39paged_attention_ll4mi_QKV_mfma16_kernelIDF16_DF16_LN4vllm18Fp8KVCacheDataTypeE0EDF16_Li32ELi128ELi256ELb1ELi7EL8MFMAType0EEvPKT_PKT0_S8_ifPKiSA_SA_iPKfiiiPfSD_PS3_PT2_iSC_SC_.kd
    .uniform_work_group_size: 1
    .uses_dynamic_stack: false
    .vgpr_count:     172
    .vgpr_spill_count: 0
    .wavefront_size: 32
    .workgroup_processor_mode: 1
  - .args:
      - .actual_access:  read_only
        .address_space:  global
        .offset:         0
        .size:           8
        .value_kind:     global_buffer
      - .actual_access:  read_only
        .address_space:  global
        .offset:         8
        .size:           8
        .value_kind:     global_buffer
      - .actual_access:  read_only
        .address_space:  global
        .offset:         16
        .size:           8
        .value_kind:     global_buffer
      - .offset:         24
        .size:           4
        .value_kind:     by_value
      - .offset:         28
        .size:           4
        .value_kind:     by_value
      - .actual_access:  read_only
        .address_space:  global
        .offset:         32
        .size:           8
        .value_kind:     global_buffer
      - .actual_access:  read_only
        .address_space:  global
        .offset:         40
        .size:           8
        .value_kind:     global_buffer
      - .actual_access:  read_only
        .address_space:  global
        .offset:         48
        .size:           8
        .value_kind:     global_buffer
      - .offset:         56
        .size:           4
        .value_kind:     by_value
      - .actual_access:  read_only
        .address_space:  global
        .offset:         64
        .size:           8
        .value_kind:     global_buffer
      - .offset:         72
        .size:           4
        .value_kind:     by_value
      - .offset:         76
        .size:           4
        .value_kind:     by_value
      - .offset:         80
        .size:           4
        .value_kind:     by_value
      - .actual_access:  write_only
        .address_space:  global
        .offset:         88
        .size:           8
        .value_kind:     global_buffer
      - .actual_access:  write_only
        .address_space:  global
        .offset:         96
        .size:           8
        .value_kind:     global_buffer
      - .actual_access:  write_only
        .address_space:  global
        .offset:         104
        .size:           8
        .value_kind:     global_buffer
      - .actual_access:  read_only
        .address_space:  global
        .offset:         112
        .size:           8
        .value_kind:     global_buffer
      - .offset:         120
        .size:           4
        .value_kind:     by_value
      - .address_space:  global
        .offset:         128
        .size:           8
        .value_kind:     global_buffer
      - .address_space:  global
        .offset:         136
        .size:           8
        .value_kind:     global_buffer
      - .offset:         144
        .size:           4
        .value_kind:     hidden_block_count_x
      - .offset:         148
        .size:           4
        .value_kind:     hidden_block_count_y
      - .offset:         152
        .size:           4
        .value_kind:     hidden_block_count_z
      - .offset:         156
        .size:           2
        .value_kind:     hidden_group_size_x
      - .offset:         158
        .size:           2
        .value_kind:     hidden_group_size_y
      - .offset:         160
        .size:           2
        .value_kind:     hidden_group_size_z
      - .offset:         162
        .size:           2
        .value_kind:     hidden_remainder_x
      - .offset:         164
        .size:           2
        .value_kind:     hidden_remainder_y
      - .offset:         166
        .size:           2
        .value_kind:     hidden_remainder_z
      - .offset:         184
        .size:           8
        .value_kind:     hidden_global_offset_x
      - .offset:         192
        .size:           8
        .value_kind:     hidden_global_offset_y
      - .offset:         200
        .size:           8
        .value_kind:     hidden_global_offset_z
      - .offset:         208
        .size:           2
        .value_kind:     hidden_grid_dims
    .group_segment_fixed_size: 17472
    .kernarg_segment_align: 8
    .kernarg_segment_size: 400
    .language:       OpenCL C
    .language_version:
      - 2
      - 0
    .max_flat_workgroup_size: 256
    .name:           _Z39paged_attention_ll4mi_QKV_mfma16_kernelIDF16_DF16_LN4vllm18Fp8KVCacheDataTypeE0EDF16_Li32ELi128ELi256ELb1ELi8EL8MFMAType0EEvPKT_PKT0_S8_ifPKiSA_SA_iPKfiiiPfSD_PS3_PT2_iSC_SC_
    .private_segment_fixed_size: 0
    .sgpr_count:     40
    .sgpr_spill_count: 0
    .symbol:         _Z39paged_attention_ll4mi_QKV_mfma16_kernelIDF16_DF16_LN4vllm18Fp8KVCacheDataTypeE0EDF16_Li32ELi128ELi256ELb1ELi8EL8MFMAType0EEvPKT_PKT0_S8_ifPKiSA_SA_iPKfiiiPfSD_PS3_PT2_iSC_SC_.kd
    .uniform_work_group_size: 1
    .uses_dynamic_stack: false
    .vgpr_count:     172
    .vgpr_spill_count: 0
    .wavefront_size: 32
    .workgroup_processor_mode: 1
  - .args:
      - .actual_access:  read_only
        .address_space:  global
        .offset:         0
        .size:           8
        .value_kind:     global_buffer
      - .actual_access:  read_only
        .address_space:  global
        .offset:         8
        .size:           8
        .value_kind:     global_buffer
      - .actual_access:  read_only
        .address_space:  global
        .offset:         16
        .size:           8
        .value_kind:     global_buffer
      - .offset:         24
        .size:           4
        .value_kind:     by_value
      - .offset:         28
        .size:           4
        .value_kind:     by_value
      - .actual_access:  read_only
        .address_space:  global
        .offset:         32
        .size:           8
        .value_kind:     global_buffer
      - .actual_access:  read_only
        .address_space:  global
        .offset:         40
        .size:           8
        .value_kind:     global_buffer
      - .actual_access:  read_only
        .address_space:  global
        .offset:         48
        .size:           8
        .value_kind:     global_buffer
      - .offset:         56
        .size:           4
        .value_kind:     by_value
      - .actual_access:  read_only
        .address_space:  global
        .offset:         64
        .size:           8
        .value_kind:     global_buffer
      - .offset:         72
        .size:           4
        .value_kind:     by_value
      - .offset:         76
        .size:           4
        .value_kind:     by_value
      - .offset:         80
        .size:           4
        .value_kind:     by_value
      - .actual_access:  write_only
        .address_space:  global
        .offset:         88
        .size:           8
        .value_kind:     global_buffer
      - .actual_access:  write_only
        .address_space:  global
        .offset:         96
        .size:           8
        .value_kind:     global_buffer
      - .actual_access:  write_only
        .address_space:  global
        .offset:         104
        .size:           8
        .value_kind:     global_buffer
      - .actual_access:  read_only
        .address_space:  global
        .offset:         112
        .size:           8
        .value_kind:     global_buffer
      - .offset:         120
        .size:           4
        .value_kind:     by_value
      - .address_space:  global
        .offset:         128
        .size:           8
        .value_kind:     global_buffer
      - .address_space:  global
        .offset:         136
        .size:           8
        .value_kind:     global_buffer
      - .offset:         144
        .size:           4
        .value_kind:     hidden_block_count_x
      - .offset:         148
        .size:           4
        .value_kind:     hidden_block_count_y
      - .offset:         152
        .size:           4
        .value_kind:     hidden_block_count_z
      - .offset:         156
        .size:           2
        .value_kind:     hidden_group_size_x
      - .offset:         158
        .size:           2
        .value_kind:     hidden_group_size_y
      - .offset:         160
        .size:           2
        .value_kind:     hidden_group_size_z
      - .offset:         162
        .size:           2
        .value_kind:     hidden_remainder_x
      - .offset:         164
        .size:           2
        .value_kind:     hidden_remainder_y
      - .offset:         166
        .size:           2
        .value_kind:     hidden_remainder_z
      - .offset:         184
        .size:           8
        .value_kind:     hidden_global_offset_x
      - .offset:         192
        .size:           8
        .value_kind:     hidden_global_offset_y
      - .offset:         200
        .size:           8
        .value_kind:     hidden_global_offset_z
      - .offset:         208
        .size:           2
        .value_kind:     hidden_grid_dims
    .group_segment_fixed_size: 17472
    .kernarg_segment_align: 8
    .kernarg_segment_size: 400
    .language:       OpenCL C
    .language_version:
      - 2
      - 0
    .max_flat_workgroup_size: 256
    .name:           _Z39paged_attention_ll4mi_QKV_mfma16_kernelIDF16_DF16_LN4vllm18Fp8KVCacheDataTypeE0EDF16_Li32ELi128ELi256ELb1ELi9EL8MFMAType0EEvPKT_PKT0_S8_ifPKiSA_SA_iPKfiiiPfSD_PS3_PT2_iSC_SC_
    .private_segment_fixed_size: 0
    .sgpr_count:     41
    .sgpr_spill_count: 0
    .symbol:         _Z39paged_attention_ll4mi_QKV_mfma16_kernelIDF16_DF16_LN4vllm18Fp8KVCacheDataTypeE0EDF16_Li32ELi128ELi256ELb1ELi9EL8MFMAType0EEvPKT_PKT0_S8_ifPKiSA_SA_iPKfiiiPfSD_PS3_PT2_iSC_SC_.kd
    .uniform_work_group_size: 1
    .uses_dynamic_stack: false
    .vgpr_count:     172
    .vgpr_spill_count: 0
    .wavefront_size: 32
    .workgroup_processor_mode: 1
  - .args:
      - .actual_access:  read_only
        .address_space:  global
        .offset:         0
        .size:           8
        .value_kind:     global_buffer
      - .actual_access:  read_only
        .address_space:  global
        .offset:         8
        .size:           8
        .value_kind:     global_buffer
      - .actual_access:  read_only
        .address_space:  global
        .offset:         16
        .size:           8
        .value_kind:     global_buffer
      - .offset:         24
        .size:           4
        .value_kind:     by_value
      - .offset:         28
        .size:           4
        .value_kind:     by_value
      - .actual_access:  read_only
        .address_space:  global
        .offset:         32
        .size:           8
        .value_kind:     global_buffer
      - .actual_access:  read_only
        .address_space:  global
        .offset:         40
        .size:           8
        .value_kind:     global_buffer
      - .actual_access:  read_only
        .address_space:  global
        .offset:         48
        .size:           8
        .value_kind:     global_buffer
      - .offset:         56
        .size:           4
        .value_kind:     by_value
      - .actual_access:  read_only
        .address_space:  global
        .offset:         64
        .size:           8
        .value_kind:     global_buffer
      - .offset:         72
        .size:           4
        .value_kind:     by_value
      - .offset:         76
        .size:           4
        .value_kind:     by_value
      - .offset:         80
        .size:           4
        .value_kind:     by_value
      - .actual_access:  write_only
        .address_space:  global
        .offset:         88
        .size:           8
        .value_kind:     global_buffer
      - .actual_access:  write_only
        .address_space:  global
        .offset:         96
        .size:           8
        .value_kind:     global_buffer
      - .actual_access:  write_only
        .address_space:  global
        .offset:         104
        .size:           8
        .value_kind:     global_buffer
      - .actual_access:  read_only
        .address_space:  global
        .offset:         112
        .size:           8
        .value_kind:     global_buffer
      - .offset:         120
        .size:           4
        .value_kind:     by_value
      - .address_space:  global
        .offset:         128
        .size:           8
        .value_kind:     global_buffer
      - .address_space:  global
        .offset:         136
        .size:           8
        .value_kind:     global_buffer
      - .offset:         144
        .size:           4
        .value_kind:     hidden_block_count_x
      - .offset:         148
        .size:           4
        .value_kind:     hidden_block_count_y
      - .offset:         152
        .size:           4
        .value_kind:     hidden_block_count_z
      - .offset:         156
        .size:           2
        .value_kind:     hidden_group_size_x
      - .offset:         158
        .size:           2
        .value_kind:     hidden_group_size_y
      - .offset:         160
        .size:           2
        .value_kind:     hidden_group_size_z
      - .offset:         162
        .size:           2
        .value_kind:     hidden_remainder_x
      - .offset:         164
        .size:           2
        .value_kind:     hidden_remainder_y
      - .offset:         166
        .size:           2
        .value_kind:     hidden_remainder_z
      - .offset:         184
        .size:           8
        .value_kind:     hidden_global_offset_x
      - .offset:         192
        .size:           8
        .value_kind:     hidden_global_offset_y
      - .offset:         200
        .size:           8
        .value_kind:     hidden_global_offset_z
      - .offset:         208
        .size:           2
        .value_kind:     hidden_grid_dims
    .group_segment_fixed_size: 17472
    .kernarg_segment_align: 8
    .kernarg_segment_size: 400
    .language:       OpenCL C
    .language_version:
      - 2
      - 0
    .max_flat_workgroup_size: 256
    .name:           _Z39paged_attention_ll4mi_QKV_mfma16_kernelIDF16_DF16_LN4vllm18Fp8KVCacheDataTypeE0EDF16_Li32ELi128ELi256ELb1ELi10EL8MFMAType0EEvPKT_PKT0_S8_ifPKiSA_SA_iPKfiiiPfSD_PS3_PT2_iSC_SC_
    .private_segment_fixed_size: 0
    .sgpr_count:     40
    .sgpr_spill_count: 0
    .symbol:         _Z39paged_attention_ll4mi_QKV_mfma16_kernelIDF16_DF16_LN4vllm18Fp8KVCacheDataTypeE0EDF16_Li32ELi128ELi256ELb1ELi10EL8MFMAType0EEvPKT_PKT0_S8_ifPKiSA_SA_iPKfiiiPfSD_PS3_PT2_iSC_SC_.kd
    .uniform_work_group_size: 1
    .uses_dynamic_stack: false
    .vgpr_count:     172
    .vgpr_spill_count: 0
    .wavefront_size: 32
    .workgroup_processor_mode: 1
  - .args:
      - .actual_access:  read_only
        .address_space:  global
        .offset:         0
        .size:           8
        .value_kind:     global_buffer
      - .actual_access:  read_only
        .address_space:  global
        .offset:         8
        .size:           8
        .value_kind:     global_buffer
      - .actual_access:  read_only
        .address_space:  global
        .offset:         16
        .size:           8
        .value_kind:     global_buffer
      - .offset:         24
        .size:           4
        .value_kind:     by_value
      - .offset:         28
        .size:           4
        .value_kind:     by_value
      - .actual_access:  read_only
        .address_space:  global
        .offset:         32
        .size:           8
        .value_kind:     global_buffer
      - .actual_access:  read_only
        .address_space:  global
        .offset:         40
        .size:           8
        .value_kind:     global_buffer
      - .actual_access:  read_only
        .address_space:  global
        .offset:         48
        .size:           8
        .value_kind:     global_buffer
      - .offset:         56
        .size:           4
        .value_kind:     by_value
      - .actual_access:  read_only
        .address_space:  global
        .offset:         64
        .size:           8
        .value_kind:     global_buffer
      - .offset:         72
        .size:           4
        .value_kind:     by_value
      - .offset:         76
        .size:           4
        .value_kind:     by_value
      - .offset:         80
        .size:           4
        .value_kind:     by_value
      - .actual_access:  write_only
        .address_space:  global
        .offset:         88
        .size:           8
        .value_kind:     global_buffer
      - .actual_access:  write_only
        .address_space:  global
        .offset:         96
        .size:           8
        .value_kind:     global_buffer
      - .actual_access:  write_only
        .address_space:  global
        .offset:         104
        .size:           8
        .value_kind:     global_buffer
      - .actual_access:  read_only
        .address_space:  global
        .offset:         112
        .size:           8
        .value_kind:     global_buffer
      - .offset:         120
        .size:           4
        .value_kind:     by_value
      - .address_space:  global
        .offset:         128
        .size:           8
        .value_kind:     global_buffer
      - .address_space:  global
        .offset:         136
        .size:           8
        .value_kind:     global_buffer
      - .offset:         144
        .size:           4
        .value_kind:     hidden_block_count_x
      - .offset:         148
        .size:           4
        .value_kind:     hidden_block_count_y
      - .offset:         152
        .size:           4
        .value_kind:     hidden_block_count_z
      - .offset:         156
        .size:           2
        .value_kind:     hidden_group_size_x
      - .offset:         158
        .size:           2
        .value_kind:     hidden_group_size_y
      - .offset:         160
        .size:           2
        .value_kind:     hidden_group_size_z
      - .offset:         162
        .size:           2
        .value_kind:     hidden_remainder_x
      - .offset:         164
        .size:           2
        .value_kind:     hidden_remainder_y
      - .offset:         166
        .size:           2
        .value_kind:     hidden_remainder_z
      - .offset:         184
        .size:           8
        .value_kind:     hidden_global_offset_x
      - .offset:         192
        .size:           8
        .value_kind:     hidden_global_offset_y
      - .offset:         200
        .size:           8
        .value_kind:     hidden_global_offset_z
      - .offset:         208
        .size:           2
        .value_kind:     hidden_grid_dims
    .group_segment_fixed_size: 17472
    .kernarg_segment_align: 8
    .kernarg_segment_size: 400
    .language:       OpenCL C
    .language_version:
      - 2
      - 0
    .max_flat_workgroup_size: 256
    .name:           _Z39paged_attention_ll4mi_QKV_mfma16_kernelIDF16_DF16_LN4vllm18Fp8KVCacheDataTypeE0EDF16_Li32ELi128ELi256ELb1ELi11EL8MFMAType0EEvPKT_PKT0_S8_ifPKiSA_SA_iPKfiiiPfSD_PS3_PT2_iSC_SC_
    .private_segment_fixed_size: 0
    .sgpr_count:     41
    .sgpr_spill_count: 0
    .symbol:         _Z39paged_attention_ll4mi_QKV_mfma16_kernelIDF16_DF16_LN4vllm18Fp8KVCacheDataTypeE0EDF16_Li32ELi128ELi256ELb1ELi11EL8MFMAType0EEvPKT_PKT0_S8_ifPKiSA_SA_iPKfiiiPfSD_PS3_PT2_iSC_SC_.kd
    .uniform_work_group_size: 1
    .uses_dynamic_stack: false
    .vgpr_count:     172
    .vgpr_spill_count: 0
    .wavefront_size: 32
    .workgroup_processor_mode: 1
  - .args:
      - .actual_access:  read_only
        .address_space:  global
        .offset:         0
        .size:           8
        .value_kind:     global_buffer
      - .actual_access:  read_only
        .address_space:  global
        .offset:         8
        .size:           8
        .value_kind:     global_buffer
      - .actual_access:  read_only
        .address_space:  global
        .offset:         16
        .size:           8
        .value_kind:     global_buffer
      - .offset:         24
        .size:           4
        .value_kind:     by_value
      - .offset:         28
        .size:           4
        .value_kind:     by_value
      - .actual_access:  read_only
        .address_space:  global
        .offset:         32
        .size:           8
        .value_kind:     global_buffer
      - .actual_access:  read_only
        .address_space:  global
        .offset:         40
        .size:           8
        .value_kind:     global_buffer
      - .actual_access:  read_only
        .address_space:  global
        .offset:         48
        .size:           8
        .value_kind:     global_buffer
      - .offset:         56
        .size:           4
        .value_kind:     by_value
      - .actual_access:  read_only
        .address_space:  global
        .offset:         64
        .size:           8
        .value_kind:     global_buffer
      - .offset:         72
        .size:           4
        .value_kind:     by_value
      - .offset:         76
        .size:           4
        .value_kind:     by_value
      - .offset:         80
        .size:           4
        .value_kind:     by_value
      - .actual_access:  write_only
        .address_space:  global
        .offset:         88
        .size:           8
        .value_kind:     global_buffer
      - .actual_access:  write_only
        .address_space:  global
        .offset:         96
        .size:           8
        .value_kind:     global_buffer
      - .actual_access:  write_only
        .address_space:  global
        .offset:         104
        .size:           8
        .value_kind:     global_buffer
      - .actual_access:  read_only
        .address_space:  global
        .offset:         112
        .size:           8
        .value_kind:     global_buffer
      - .offset:         120
        .size:           4
        .value_kind:     by_value
      - .address_space:  global
        .offset:         128
        .size:           8
        .value_kind:     global_buffer
      - .address_space:  global
        .offset:         136
        .size:           8
        .value_kind:     global_buffer
      - .offset:         144
        .size:           4
        .value_kind:     hidden_block_count_x
      - .offset:         148
        .size:           4
        .value_kind:     hidden_block_count_y
      - .offset:         152
        .size:           4
        .value_kind:     hidden_block_count_z
      - .offset:         156
        .size:           2
        .value_kind:     hidden_group_size_x
      - .offset:         158
        .size:           2
        .value_kind:     hidden_group_size_y
      - .offset:         160
        .size:           2
        .value_kind:     hidden_group_size_z
      - .offset:         162
        .size:           2
        .value_kind:     hidden_remainder_x
      - .offset:         164
        .size:           2
        .value_kind:     hidden_remainder_y
      - .offset:         166
        .size:           2
        .value_kind:     hidden_remainder_z
      - .offset:         184
        .size:           8
        .value_kind:     hidden_global_offset_x
      - .offset:         192
        .size:           8
        .value_kind:     hidden_global_offset_y
      - .offset:         200
        .size:           8
        .value_kind:     hidden_global_offset_z
      - .offset:         208
        .size:           2
        .value_kind:     hidden_grid_dims
    .group_segment_fixed_size: 17472
    .kernarg_segment_align: 8
    .kernarg_segment_size: 400
    .language:       OpenCL C
    .language_version:
      - 2
      - 0
    .max_flat_workgroup_size: 256
    .name:           _Z39paged_attention_ll4mi_QKV_mfma16_kernelIDF16_DF16_LN4vllm18Fp8KVCacheDataTypeE0EDF16_Li32ELi128ELi256ELb1ELi12EL8MFMAType0EEvPKT_PKT0_S8_ifPKiSA_SA_iPKfiiiPfSD_PS3_PT2_iSC_SC_
    .private_segment_fixed_size: 0
    .sgpr_count:     40
    .sgpr_spill_count: 0
    .symbol:         _Z39paged_attention_ll4mi_QKV_mfma16_kernelIDF16_DF16_LN4vllm18Fp8KVCacheDataTypeE0EDF16_Li32ELi128ELi256ELb1ELi12EL8MFMAType0EEvPKT_PKT0_S8_ifPKiSA_SA_iPKfiiiPfSD_PS3_PT2_iSC_SC_.kd
    .uniform_work_group_size: 1
    .uses_dynamic_stack: false
    .vgpr_count:     172
    .vgpr_spill_count: 0
    .wavefront_size: 32
    .workgroup_processor_mode: 1
  - .args:
      - .actual_access:  read_only
        .address_space:  global
        .offset:         0
        .size:           8
        .value_kind:     global_buffer
      - .actual_access:  read_only
        .address_space:  global
        .offset:         8
        .size:           8
        .value_kind:     global_buffer
      - .actual_access:  read_only
        .address_space:  global
        .offset:         16
        .size:           8
        .value_kind:     global_buffer
      - .offset:         24
        .size:           4
        .value_kind:     by_value
      - .offset:         28
        .size:           4
        .value_kind:     by_value
      - .actual_access:  read_only
        .address_space:  global
        .offset:         32
        .size:           8
        .value_kind:     global_buffer
      - .actual_access:  read_only
        .address_space:  global
        .offset:         40
        .size:           8
        .value_kind:     global_buffer
      - .actual_access:  read_only
        .address_space:  global
        .offset:         48
        .size:           8
        .value_kind:     global_buffer
      - .offset:         56
        .size:           4
        .value_kind:     by_value
      - .actual_access:  read_only
        .address_space:  global
        .offset:         64
        .size:           8
        .value_kind:     global_buffer
      - .offset:         72
        .size:           4
        .value_kind:     by_value
      - .offset:         76
        .size:           4
        .value_kind:     by_value
      - .offset:         80
        .size:           4
        .value_kind:     by_value
      - .actual_access:  write_only
        .address_space:  global
        .offset:         88
        .size:           8
        .value_kind:     global_buffer
      - .actual_access:  write_only
        .address_space:  global
        .offset:         96
        .size:           8
        .value_kind:     global_buffer
      - .actual_access:  write_only
        .address_space:  global
        .offset:         104
        .size:           8
        .value_kind:     global_buffer
      - .actual_access:  read_only
        .address_space:  global
        .offset:         112
        .size:           8
        .value_kind:     global_buffer
      - .offset:         120
        .size:           4
        .value_kind:     by_value
      - .address_space:  global
        .offset:         128
        .size:           8
        .value_kind:     global_buffer
      - .address_space:  global
        .offset:         136
        .size:           8
        .value_kind:     global_buffer
      - .offset:         144
        .size:           4
        .value_kind:     hidden_block_count_x
      - .offset:         148
        .size:           4
        .value_kind:     hidden_block_count_y
      - .offset:         152
        .size:           4
        .value_kind:     hidden_block_count_z
      - .offset:         156
        .size:           2
        .value_kind:     hidden_group_size_x
      - .offset:         158
        .size:           2
        .value_kind:     hidden_group_size_y
      - .offset:         160
        .size:           2
        .value_kind:     hidden_group_size_z
      - .offset:         162
        .size:           2
        .value_kind:     hidden_remainder_x
      - .offset:         164
        .size:           2
        .value_kind:     hidden_remainder_y
      - .offset:         166
        .size:           2
        .value_kind:     hidden_remainder_z
      - .offset:         184
        .size:           8
        .value_kind:     hidden_global_offset_x
      - .offset:         192
        .size:           8
        .value_kind:     hidden_global_offset_y
      - .offset:         200
        .size:           8
        .value_kind:     hidden_global_offset_z
      - .offset:         208
        .size:           2
        .value_kind:     hidden_grid_dims
    .group_segment_fixed_size: 17472
    .kernarg_segment_align: 8
    .kernarg_segment_size: 400
    .language:       OpenCL C
    .language_version:
      - 2
      - 0
    .max_flat_workgroup_size: 256
    .name:           _Z39paged_attention_ll4mi_QKV_mfma16_kernelIDF16_DF16_LN4vllm18Fp8KVCacheDataTypeE0EDF16_Li32ELi128ELi256ELb1ELi13EL8MFMAType0EEvPKT_PKT0_S8_ifPKiSA_SA_iPKfiiiPfSD_PS3_PT2_iSC_SC_
    .private_segment_fixed_size: 0
    .sgpr_count:     41
    .sgpr_spill_count: 0
    .symbol:         _Z39paged_attention_ll4mi_QKV_mfma16_kernelIDF16_DF16_LN4vllm18Fp8KVCacheDataTypeE0EDF16_Li32ELi128ELi256ELb1ELi13EL8MFMAType0EEvPKT_PKT0_S8_ifPKiSA_SA_iPKfiiiPfSD_PS3_PT2_iSC_SC_.kd
    .uniform_work_group_size: 1
    .uses_dynamic_stack: false
    .vgpr_count:     172
    .vgpr_spill_count: 0
    .wavefront_size: 32
    .workgroup_processor_mode: 1
  - .args:
      - .actual_access:  read_only
        .address_space:  global
        .offset:         0
        .size:           8
        .value_kind:     global_buffer
      - .actual_access:  read_only
        .address_space:  global
        .offset:         8
        .size:           8
        .value_kind:     global_buffer
      - .actual_access:  read_only
        .address_space:  global
        .offset:         16
        .size:           8
        .value_kind:     global_buffer
      - .offset:         24
        .size:           4
        .value_kind:     by_value
      - .offset:         28
        .size:           4
        .value_kind:     by_value
      - .actual_access:  read_only
        .address_space:  global
        .offset:         32
        .size:           8
        .value_kind:     global_buffer
      - .actual_access:  read_only
        .address_space:  global
        .offset:         40
        .size:           8
        .value_kind:     global_buffer
      - .actual_access:  read_only
        .address_space:  global
        .offset:         48
        .size:           8
        .value_kind:     global_buffer
      - .offset:         56
        .size:           4
        .value_kind:     by_value
      - .actual_access:  read_only
        .address_space:  global
        .offset:         64
        .size:           8
        .value_kind:     global_buffer
      - .offset:         72
        .size:           4
        .value_kind:     by_value
      - .offset:         76
        .size:           4
        .value_kind:     by_value
      - .offset:         80
        .size:           4
        .value_kind:     by_value
      - .actual_access:  write_only
        .address_space:  global
        .offset:         88
        .size:           8
        .value_kind:     global_buffer
      - .actual_access:  write_only
        .address_space:  global
        .offset:         96
        .size:           8
        .value_kind:     global_buffer
      - .actual_access:  write_only
        .address_space:  global
        .offset:         104
        .size:           8
        .value_kind:     global_buffer
      - .actual_access:  read_only
        .address_space:  global
        .offset:         112
        .size:           8
        .value_kind:     global_buffer
      - .offset:         120
        .size:           4
        .value_kind:     by_value
      - .address_space:  global
        .offset:         128
        .size:           8
        .value_kind:     global_buffer
      - .address_space:  global
        .offset:         136
        .size:           8
        .value_kind:     global_buffer
      - .offset:         144
        .size:           4
        .value_kind:     hidden_block_count_x
      - .offset:         148
        .size:           4
        .value_kind:     hidden_block_count_y
      - .offset:         152
        .size:           4
        .value_kind:     hidden_block_count_z
      - .offset:         156
        .size:           2
        .value_kind:     hidden_group_size_x
      - .offset:         158
        .size:           2
        .value_kind:     hidden_group_size_y
      - .offset:         160
        .size:           2
        .value_kind:     hidden_group_size_z
      - .offset:         162
        .size:           2
        .value_kind:     hidden_remainder_x
      - .offset:         164
        .size:           2
        .value_kind:     hidden_remainder_y
      - .offset:         166
        .size:           2
        .value_kind:     hidden_remainder_z
      - .offset:         184
        .size:           8
        .value_kind:     hidden_global_offset_x
      - .offset:         192
        .size:           8
        .value_kind:     hidden_global_offset_y
      - .offset:         200
        .size:           8
        .value_kind:     hidden_global_offset_z
      - .offset:         208
        .size:           2
        .value_kind:     hidden_grid_dims
    .group_segment_fixed_size: 17472
    .kernarg_segment_align: 8
    .kernarg_segment_size: 400
    .language:       OpenCL C
    .language_version:
      - 2
      - 0
    .max_flat_workgroup_size: 256
    .name:           _Z39paged_attention_ll4mi_QKV_mfma16_kernelIDF16_DF16_LN4vllm18Fp8KVCacheDataTypeE0EDF16_Li32ELi128ELi256ELb1ELi14EL8MFMAType0EEvPKT_PKT0_S8_ifPKiSA_SA_iPKfiiiPfSD_PS3_PT2_iSC_SC_
    .private_segment_fixed_size: 0
    .sgpr_count:     40
    .sgpr_spill_count: 0
    .symbol:         _Z39paged_attention_ll4mi_QKV_mfma16_kernelIDF16_DF16_LN4vllm18Fp8KVCacheDataTypeE0EDF16_Li32ELi128ELi256ELb1ELi14EL8MFMAType0EEvPKT_PKT0_S8_ifPKiSA_SA_iPKfiiiPfSD_PS3_PT2_iSC_SC_.kd
    .uniform_work_group_size: 1
    .uses_dynamic_stack: false
    .vgpr_count:     172
    .vgpr_spill_count: 0
    .wavefront_size: 32
    .workgroup_processor_mode: 1
  - .args:
      - .actual_access:  read_only
        .address_space:  global
        .offset:         0
        .size:           8
        .value_kind:     global_buffer
      - .actual_access:  read_only
        .address_space:  global
        .offset:         8
        .size:           8
        .value_kind:     global_buffer
      - .actual_access:  read_only
        .address_space:  global
        .offset:         16
        .size:           8
        .value_kind:     global_buffer
      - .offset:         24
        .size:           4
        .value_kind:     by_value
      - .offset:         28
        .size:           4
        .value_kind:     by_value
      - .actual_access:  read_only
        .address_space:  global
        .offset:         32
        .size:           8
        .value_kind:     global_buffer
      - .actual_access:  read_only
        .address_space:  global
        .offset:         40
        .size:           8
        .value_kind:     global_buffer
      - .actual_access:  read_only
        .address_space:  global
        .offset:         48
        .size:           8
        .value_kind:     global_buffer
      - .offset:         56
        .size:           4
        .value_kind:     by_value
      - .actual_access:  read_only
        .address_space:  global
        .offset:         64
        .size:           8
        .value_kind:     global_buffer
      - .offset:         72
        .size:           4
        .value_kind:     by_value
      - .offset:         76
        .size:           4
        .value_kind:     by_value
      - .offset:         80
        .size:           4
        .value_kind:     by_value
      - .actual_access:  write_only
        .address_space:  global
        .offset:         88
        .size:           8
        .value_kind:     global_buffer
      - .actual_access:  write_only
        .address_space:  global
        .offset:         96
        .size:           8
        .value_kind:     global_buffer
      - .actual_access:  write_only
        .address_space:  global
        .offset:         104
        .size:           8
        .value_kind:     global_buffer
      - .actual_access:  read_only
        .address_space:  global
        .offset:         112
        .size:           8
        .value_kind:     global_buffer
      - .offset:         120
        .size:           4
        .value_kind:     by_value
      - .address_space:  global
        .offset:         128
        .size:           8
        .value_kind:     global_buffer
      - .address_space:  global
        .offset:         136
        .size:           8
        .value_kind:     global_buffer
      - .offset:         144
        .size:           4
        .value_kind:     hidden_block_count_x
      - .offset:         148
        .size:           4
        .value_kind:     hidden_block_count_y
      - .offset:         152
        .size:           4
        .value_kind:     hidden_block_count_z
      - .offset:         156
        .size:           2
        .value_kind:     hidden_group_size_x
      - .offset:         158
        .size:           2
        .value_kind:     hidden_group_size_y
      - .offset:         160
        .size:           2
        .value_kind:     hidden_group_size_z
      - .offset:         162
        .size:           2
        .value_kind:     hidden_remainder_x
      - .offset:         164
        .size:           2
        .value_kind:     hidden_remainder_y
      - .offset:         166
        .size:           2
        .value_kind:     hidden_remainder_z
      - .offset:         184
        .size:           8
        .value_kind:     hidden_global_offset_x
      - .offset:         192
        .size:           8
        .value_kind:     hidden_global_offset_y
      - .offset:         200
        .size:           8
        .value_kind:     hidden_global_offset_z
      - .offset:         208
        .size:           2
        .value_kind:     hidden_grid_dims
    .group_segment_fixed_size: 17472
    .kernarg_segment_align: 8
    .kernarg_segment_size: 400
    .language:       OpenCL C
    .language_version:
      - 2
      - 0
    .max_flat_workgroup_size: 256
    .name:           _Z39paged_attention_ll4mi_QKV_mfma16_kernelIDF16_DF16_LN4vllm18Fp8KVCacheDataTypeE0EDF16_Li32ELi128ELi256ELb1ELi15EL8MFMAType0EEvPKT_PKT0_S8_ifPKiSA_SA_iPKfiiiPfSD_PS3_PT2_iSC_SC_
    .private_segment_fixed_size: 0
    .sgpr_count:     41
    .sgpr_spill_count: 0
    .symbol:         _Z39paged_attention_ll4mi_QKV_mfma16_kernelIDF16_DF16_LN4vllm18Fp8KVCacheDataTypeE0EDF16_Li32ELi128ELi256ELb1ELi15EL8MFMAType0EEvPKT_PKT0_S8_ifPKiSA_SA_iPKfiiiPfSD_PS3_PT2_iSC_SC_.kd
    .uniform_work_group_size: 1
    .uses_dynamic_stack: false
    .vgpr_count:     172
    .vgpr_spill_count: 0
    .wavefront_size: 32
    .workgroup_processor_mode: 1
  - .args:
      - .actual_access:  read_only
        .address_space:  global
        .offset:         0
        .size:           8
        .value_kind:     global_buffer
      - .actual_access:  read_only
        .address_space:  global
        .offset:         8
        .size:           8
        .value_kind:     global_buffer
      - .actual_access:  read_only
        .address_space:  global
        .offset:         16
        .size:           8
        .value_kind:     global_buffer
      - .offset:         24
        .size:           4
        .value_kind:     by_value
      - .offset:         28
        .size:           4
        .value_kind:     by_value
      - .actual_access:  read_only
        .address_space:  global
        .offset:         32
        .size:           8
        .value_kind:     global_buffer
      - .actual_access:  read_only
        .address_space:  global
        .offset:         40
        .size:           8
        .value_kind:     global_buffer
      - .actual_access:  read_only
        .address_space:  global
        .offset:         48
        .size:           8
        .value_kind:     global_buffer
      - .offset:         56
        .size:           4
        .value_kind:     by_value
      - .actual_access:  read_only
        .address_space:  global
        .offset:         64
        .size:           8
        .value_kind:     global_buffer
      - .offset:         72
        .size:           4
        .value_kind:     by_value
      - .offset:         76
        .size:           4
        .value_kind:     by_value
      - .offset:         80
        .size:           4
        .value_kind:     by_value
      - .actual_access:  write_only
        .address_space:  global
        .offset:         88
        .size:           8
        .value_kind:     global_buffer
      - .actual_access:  write_only
        .address_space:  global
        .offset:         96
        .size:           8
        .value_kind:     global_buffer
      - .actual_access:  write_only
        .address_space:  global
        .offset:         104
        .size:           8
        .value_kind:     global_buffer
      - .actual_access:  read_only
        .address_space:  global
        .offset:         112
        .size:           8
        .value_kind:     global_buffer
      - .offset:         120
        .size:           4
        .value_kind:     by_value
      - .address_space:  global
        .offset:         128
        .size:           8
        .value_kind:     global_buffer
      - .address_space:  global
        .offset:         136
        .size:           8
        .value_kind:     global_buffer
      - .offset:         144
        .size:           4
        .value_kind:     hidden_block_count_x
      - .offset:         148
        .size:           4
        .value_kind:     hidden_block_count_y
      - .offset:         152
        .size:           4
        .value_kind:     hidden_block_count_z
      - .offset:         156
        .size:           2
        .value_kind:     hidden_group_size_x
      - .offset:         158
        .size:           2
        .value_kind:     hidden_group_size_y
      - .offset:         160
        .size:           2
        .value_kind:     hidden_group_size_z
      - .offset:         162
        .size:           2
        .value_kind:     hidden_remainder_x
      - .offset:         164
        .size:           2
        .value_kind:     hidden_remainder_y
      - .offset:         166
        .size:           2
        .value_kind:     hidden_remainder_z
      - .offset:         184
        .size:           8
        .value_kind:     hidden_global_offset_x
      - .offset:         192
        .size:           8
        .value_kind:     hidden_global_offset_y
      - .offset:         200
        .size:           8
        .value_kind:     hidden_global_offset_z
      - .offset:         208
        .size:           2
        .value_kind:     hidden_grid_dims
    .group_segment_fixed_size: 17472
    .kernarg_segment_align: 8
    .kernarg_segment_size: 400
    .language:       OpenCL C
    .language_version:
      - 2
      - 0
    .max_flat_workgroup_size: 256
    .name:           _Z39paged_attention_ll4mi_QKV_mfma16_kernelIDF16_DF16_LN4vllm18Fp8KVCacheDataTypeE0EDF16_Li32ELi128ELi256ELb1ELi16EL8MFMAType0EEvPKT_PKT0_S8_ifPKiSA_SA_iPKfiiiPfSD_PS3_PT2_iSC_SC_
    .private_segment_fixed_size: 0
    .sgpr_count:     40
    .sgpr_spill_count: 0
    .symbol:         _Z39paged_attention_ll4mi_QKV_mfma16_kernelIDF16_DF16_LN4vllm18Fp8KVCacheDataTypeE0EDF16_Li32ELi128ELi256ELb1ELi16EL8MFMAType0EEvPKT_PKT0_S8_ifPKiSA_SA_iPKfiiiPfSD_PS3_PT2_iSC_SC_.kd
    .uniform_work_group_size: 1
    .uses_dynamic_stack: false
    .vgpr_count:     171
    .vgpr_spill_count: 0
    .wavefront_size: 32
    .workgroup_processor_mode: 1
  - .args:
      - .actual_access:  read_only
        .address_space:  global
        .offset:         0
        .size:           8
        .value_kind:     global_buffer
      - .actual_access:  read_only
        .address_space:  global
        .offset:         8
        .size:           8
        .value_kind:     global_buffer
      - .actual_access:  read_only
        .address_space:  global
        .offset:         16
        .size:           8
        .value_kind:     global_buffer
      - .offset:         24
        .size:           4
        .value_kind:     by_value
      - .offset:         28
        .size:           4
        .value_kind:     by_value
      - .actual_access:  read_only
        .address_space:  global
        .offset:         32
        .size:           8
        .value_kind:     global_buffer
      - .actual_access:  read_only
        .address_space:  global
        .offset:         40
        .size:           8
        .value_kind:     global_buffer
      - .actual_access:  read_only
        .address_space:  global
        .offset:         48
        .size:           8
        .value_kind:     global_buffer
      - .offset:         56
        .size:           4
        .value_kind:     by_value
      - .actual_access:  read_only
        .address_space:  global
        .offset:         64
        .size:           8
        .value_kind:     global_buffer
      - .offset:         72
        .size:           4
        .value_kind:     by_value
      - .offset:         76
        .size:           4
        .value_kind:     by_value
      - .offset:         80
        .size:           4
        .value_kind:     by_value
      - .actual_access:  write_only
        .address_space:  global
        .offset:         88
        .size:           8
        .value_kind:     global_buffer
      - .actual_access:  write_only
        .address_space:  global
        .offset:         96
        .size:           8
        .value_kind:     global_buffer
      - .actual_access:  write_only
        .address_space:  global
        .offset:         104
        .size:           8
        .value_kind:     global_buffer
      - .actual_access:  read_only
        .address_space:  global
        .offset:         112
        .size:           8
        .value_kind:     global_buffer
      - .offset:         120
        .size:           4
        .value_kind:     by_value
      - .address_space:  global
        .offset:         128
        .size:           8
        .value_kind:     global_buffer
      - .address_space:  global
        .offset:         136
        .size:           8
        .value_kind:     global_buffer
      - .offset:         144
        .size:           4
        .value_kind:     hidden_block_count_x
      - .offset:         148
        .size:           4
        .value_kind:     hidden_block_count_y
      - .offset:         152
        .size:           4
        .value_kind:     hidden_block_count_z
      - .offset:         156
        .size:           2
        .value_kind:     hidden_group_size_x
      - .offset:         158
        .size:           2
        .value_kind:     hidden_group_size_y
      - .offset:         160
        .size:           2
        .value_kind:     hidden_group_size_z
      - .offset:         162
        .size:           2
        .value_kind:     hidden_remainder_x
      - .offset:         164
        .size:           2
        .value_kind:     hidden_remainder_y
      - .offset:         166
        .size:           2
        .value_kind:     hidden_remainder_z
      - .offset:         184
        .size:           8
        .value_kind:     hidden_global_offset_x
      - .offset:         192
        .size:           8
        .value_kind:     hidden_global_offset_y
      - .offset:         200
        .size:           8
        .value_kind:     hidden_global_offset_z
      - .offset:         208
        .size:           2
        .value_kind:     hidden_grid_dims
    .group_segment_fixed_size: 17472
    .kernarg_segment_align: 8
    .kernarg_segment_size: 400
    .language:       OpenCL C
    .language_version:
      - 2
      - 0
    .max_flat_workgroup_size: 256
    .name:           _Z39paged_attention_ll4mi_QKV_mfma16_kernelIDF16_DF16_LN4vllm18Fp8KVCacheDataTypeE0EDF16_Li32ELi128ELi256ELb1ELi1EL8MFMAType0EEvPKT_PKT0_S8_ifPKiSA_SA_iPKfiiiPfSD_PS3_PT2_iSC_SC_
    .private_segment_fixed_size: 0
    .sgpr_count:     98
    .sgpr_spill_count: 0
    .symbol:         _Z39paged_attention_ll4mi_QKV_mfma16_kernelIDF16_DF16_LN4vllm18Fp8KVCacheDataTypeE0EDF16_Li32ELi128ELi256ELb1ELi1EL8MFMAType0EEvPKT_PKT0_S8_ifPKiSA_SA_iPKfiiiPfSD_PS3_PT2_iSC_SC_.kd
    .uniform_work_group_size: 1
    .uses_dynamic_stack: false
    .vgpr_count:     165
    .vgpr_spill_count: 0
    .wavefront_size: 32
    .workgroup_processor_mode: 1
  - .args:
      - .actual_access:  read_only
        .address_space:  global
        .offset:         0
        .size:           8
        .value_kind:     global_buffer
      - .actual_access:  read_only
        .address_space:  global
        .offset:         8
        .size:           8
        .value_kind:     global_buffer
      - .actual_access:  read_only
        .address_space:  global
        .offset:         16
        .size:           8
        .value_kind:     global_buffer
      - .offset:         24
        .size:           4
        .value_kind:     by_value
      - .offset:         28
        .size:           4
        .value_kind:     by_value
      - .actual_access:  read_only
        .address_space:  global
        .offset:         32
        .size:           8
        .value_kind:     global_buffer
      - .actual_access:  read_only
        .address_space:  global
        .offset:         40
        .size:           8
        .value_kind:     global_buffer
      - .actual_access:  read_only
        .address_space:  global
        .offset:         48
        .size:           8
        .value_kind:     global_buffer
      - .offset:         56
        .size:           4
        .value_kind:     by_value
      - .actual_access:  read_only
        .address_space:  global
        .offset:         64
        .size:           8
        .value_kind:     global_buffer
      - .offset:         72
        .size:           4
        .value_kind:     by_value
      - .offset:         76
        .size:           4
        .value_kind:     by_value
      - .offset:         80
        .size:           4
        .value_kind:     by_value
      - .actual_access:  write_only
        .address_space:  global
        .offset:         88
        .size:           8
        .value_kind:     global_buffer
      - .actual_access:  write_only
        .address_space:  global
        .offset:         96
        .size:           8
        .value_kind:     global_buffer
      - .actual_access:  write_only
        .address_space:  global
        .offset:         104
        .size:           8
        .value_kind:     global_buffer
      - .actual_access:  read_only
        .address_space:  global
        .offset:         112
        .size:           8
        .value_kind:     global_buffer
      - .offset:         120
        .size:           4
        .value_kind:     by_value
      - .address_space:  global
        .offset:         128
        .size:           8
        .value_kind:     global_buffer
      - .address_space:  global
        .offset:         136
        .size:           8
        .value_kind:     global_buffer
      - .offset:         144
        .size:           4
        .value_kind:     hidden_block_count_x
      - .offset:         148
        .size:           4
        .value_kind:     hidden_block_count_y
      - .offset:         152
        .size:           4
        .value_kind:     hidden_block_count_z
      - .offset:         156
        .size:           2
        .value_kind:     hidden_group_size_x
      - .offset:         158
        .size:           2
        .value_kind:     hidden_group_size_y
      - .offset:         160
        .size:           2
        .value_kind:     hidden_group_size_z
      - .offset:         162
        .size:           2
        .value_kind:     hidden_remainder_x
      - .offset:         164
        .size:           2
        .value_kind:     hidden_remainder_y
      - .offset:         166
        .size:           2
        .value_kind:     hidden_remainder_z
      - .offset:         184
        .size:           8
        .value_kind:     hidden_global_offset_x
      - .offset:         192
        .size:           8
        .value_kind:     hidden_global_offset_y
      - .offset:         200
        .size:           8
        .value_kind:     hidden_global_offset_z
      - .offset:         208
        .size:           2
        .value_kind:     hidden_grid_dims
    .group_segment_fixed_size: 17472
    .kernarg_segment_align: 8
    .kernarg_segment_size: 400
    .language:       OpenCL C
    .language_version:
      - 2
      - 0
    .max_flat_workgroup_size: 256
    .name:           _Z39paged_attention_ll4mi_QKV_mfma16_kernelIDF16_DF16_LN4vllm18Fp8KVCacheDataTypeE0EDF16_Li32ELi128ELi256ELb1ELi2EL8MFMAType0EEvPKT_PKT0_S8_ifPKiSA_SA_iPKfiiiPfSD_PS3_PT2_iSC_SC_
    .private_segment_fixed_size: 0
    .sgpr_count:     41
    .sgpr_spill_count: 0
    .symbol:         _Z39paged_attention_ll4mi_QKV_mfma16_kernelIDF16_DF16_LN4vllm18Fp8KVCacheDataTypeE0EDF16_Li32ELi128ELi256ELb1ELi2EL8MFMAType0EEvPKT_PKT0_S8_ifPKiSA_SA_iPKfiiiPfSD_PS3_PT2_iSC_SC_.kd
    .uniform_work_group_size: 1
    .uses_dynamic_stack: false
    .vgpr_count:     174
    .vgpr_spill_count: 0
    .wavefront_size: 32
    .workgroup_processor_mode: 1
  - .args:
      - .actual_access:  read_only
        .address_space:  global
        .offset:         0
        .size:           8
        .value_kind:     global_buffer
      - .actual_access:  read_only
        .address_space:  global
        .offset:         8
        .size:           8
        .value_kind:     global_buffer
      - .actual_access:  read_only
        .address_space:  global
        .offset:         16
        .size:           8
        .value_kind:     global_buffer
      - .offset:         24
        .size:           4
        .value_kind:     by_value
      - .offset:         28
        .size:           4
        .value_kind:     by_value
      - .actual_access:  read_only
        .address_space:  global
        .offset:         32
        .size:           8
        .value_kind:     global_buffer
      - .actual_access:  read_only
        .address_space:  global
        .offset:         40
        .size:           8
        .value_kind:     global_buffer
      - .actual_access:  read_only
        .address_space:  global
        .offset:         48
        .size:           8
        .value_kind:     global_buffer
      - .offset:         56
        .size:           4
        .value_kind:     by_value
      - .actual_access:  read_only
        .address_space:  global
        .offset:         64
        .size:           8
        .value_kind:     global_buffer
      - .offset:         72
        .size:           4
        .value_kind:     by_value
      - .offset:         76
        .size:           4
        .value_kind:     by_value
      - .offset:         80
        .size:           4
        .value_kind:     by_value
      - .actual_access:  write_only
        .address_space:  global
        .offset:         88
        .size:           8
        .value_kind:     global_buffer
      - .actual_access:  write_only
        .address_space:  global
        .offset:         96
        .size:           8
        .value_kind:     global_buffer
      - .actual_access:  write_only
        .address_space:  global
        .offset:         104
        .size:           8
        .value_kind:     global_buffer
      - .actual_access:  read_only
        .address_space:  global
        .offset:         112
        .size:           8
        .value_kind:     global_buffer
      - .offset:         120
        .size:           4
        .value_kind:     by_value
      - .address_space:  global
        .offset:         128
        .size:           8
        .value_kind:     global_buffer
      - .address_space:  global
        .offset:         136
        .size:           8
        .value_kind:     global_buffer
      - .offset:         144
        .size:           4
        .value_kind:     hidden_block_count_x
      - .offset:         148
        .size:           4
        .value_kind:     hidden_block_count_y
      - .offset:         152
        .size:           4
        .value_kind:     hidden_block_count_z
      - .offset:         156
        .size:           2
        .value_kind:     hidden_group_size_x
      - .offset:         158
        .size:           2
        .value_kind:     hidden_group_size_y
      - .offset:         160
        .size:           2
        .value_kind:     hidden_group_size_z
      - .offset:         162
        .size:           2
        .value_kind:     hidden_remainder_x
      - .offset:         164
        .size:           2
        .value_kind:     hidden_remainder_y
      - .offset:         166
        .size:           2
        .value_kind:     hidden_remainder_z
      - .offset:         184
        .size:           8
        .value_kind:     hidden_global_offset_x
      - .offset:         192
        .size:           8
        .value_kind:     hidden_global_offset_y
      - .offset:         200
        .size:           8
        .value_kind:     hidden_global_offset_z
      - .offset:         208
        .size:           2
        .value_kind:     hidden_grid_dims
    .group_segment_fixed_size: 17472
    .kernarg_segment_align: 8
    .kernarg_segment_size: 400
    .language:       OpenCL C
    .language_version:
      - 2
      - 0
    .max_flat_workgroup_size: 256
    .name:           _Z39paged_attention_ll4mi_QKV_mfma16_kernelIDF16_DF16_LN4vllm18Fp8KVCacheDataTypeE0EDF16_Li32ELi128ELi256ELb1ELi3EL8MFMAType0EEvPKT_PKT0_S8_ifPKiSA_SA_iPKfiiiPfSD_PS3_PT2_iSC_SC_
    .private_segment_fixed_size: 0
    .sgpr_count:     41
    .sgpr_spill_count: 0
    .symbol:         _Z39paged_attention_ll4mi_QKV_mfma16_kernelIDF16_DF16_LN4vllm18Fp8KVCacheDataTypeE0EDF16_Li32ELi128ELi256ELb1ELi3EL8MFMAType0EEvPKT_PKT0_S8_ifPKiSA_SA_iPKfiiiPfSD_PS3_PT2_iSC_SC_.kd
    .uniform_work_group_size: 1
    .uses_dynamic_stack: false
    .vgpr_count:     172
    .vgpr_spill_count: 0
    .wavefront_size: 32
    .workgroup_processor_mode: 1
  - .args:
      - .actual_access:  read_only
        .address_space:  global
        .offset:         0
        .size:           8
        .value_kind:     global_buffer
      - .actual_access:  read_only
        .address_space:  global
        .offset:         8
        .size:           8
        .value_kind:     global_buffer
      - .actual_access:  read_only
        .address_space:  global
        .offset:         16
        .size:           8
        .value_kind:     global_buffer
      - .offset:         24
        .size:           4
        .value_kind:     by_value
      - .offset:         28
        .size:           4
        .value_kind:     by_value
      - .actual_access:  read_only
        .address_space:  global
        .offset:         32
        .size:           8
        .value_kind:     global_buffer
      - .actual_access:  read_only
        .address_space:  global
        .offset:         40
        .size:           8
        .value_kind:     global_buffer
      - .actual_access:  read_only
        .address_space:  global
        .offset:         48
        .size:           8
        .value_kind:     global_buffer
      - .offset:         56
        .size:           4
        .value_kind:     by_value
      - .actual_access:  read_only
        .address_space:  global
        .offset:         64
        .size:           8
        .value_kind:     global_buffer
      - .offset:         72
        .size:           4
        .value_kind:     by_value
      - .offset:         76
        .size:           4
        .value_kind:     by_value
      - .offset:         80
        .size:           4
        .value_kind:     by_value
      - .actual_access:  write_only
        .address_space:  global
        .offset:         88
        .size:           8
        .value_kind:     global_buffer
      - .actual_access:  write_only
        .address_space:  global
        .offset:         96
        .size:           8
        .value_kind:     global_buffer
      - .actual_access:  write_only
        .address_space:  global
        .offset:         104
        .size:           8
        .value_kind:     global_buffer
      - .actual_access:  read_only
        .address_space:  global
        .offset:         112
        .size:           8
        .value_kind:     global_buffer
      - .offset:         120
        .size:           4
        .value_kind:     by_value
      - .address_space:  global
        .offset:         128
        .size:           8
        .value_kind:     global_buffer
      - .address_space:  global
        .offset:         136
        .size:           8
        .value_kind:     global_buffer
      - .offset:         144
        .size:           4
        .value_kind:     hidden_block_count_x
      - .offset:         148
        .size:           4
        .value_kind:     hidden_block_count_y
      - .offset:         152
        .size:           4
        .value_kind:     hidden_block_count_z
      - .offset:         156
        .size:           2
        .value_kind:     hidden_group_size_x
      - .offset:         158
        .size:           2
        .value_kind:     hidden_group_size_y
      - .offset:         160
        .size:           2
        .value_kind:     hidden_group_size_z
      - .offset:         162
        .size:           2
        .value_kind:     hidden_remainder_x
      - .offset:         164
        .size:           2
        .value_kind:     hidden_remainder_y
      - .offset:         166
        .size:           2
        .value_kind:     hidden_remainder_z
      - .offset:         184
        .size:           8
        .value_kind:     hidden_global_offset_x
      - .offset:         192
        .size:           8
        .value_kind:     hidden_global_offset_y
      - .offset:         200
        .size:           8
        .value_kind:     hidden_global_offset_z
      - .offset:         208
        .size:           2
        .value_kind:     hidden_grid_dims
    .group_segment_fixed_size: 17472
    .kernarg_segment_align: 8
    .kernarg_segment_size: 400
    .language:       OpenCL C
    .language_version:
      - 2
      - 0
    .max_flat_workgroup_size: 256
    .name:           _Z39paged_attention_ll4mi_QKV_mfma16_kernelIDF16_DF16_LN4vllm18Fp8KVCacheDataTypeE0EDF16_Li32ELi128ELi256ELb1ELi4EL8MFMAType0EEvPKT_PKT0_S8_ifPKiSA_SA_iPKfiiiPfSD_PS3_PT2_iSC_SC_
    .private_segment_fixed_size: 0
    .sgpr_count:     40
    .sgpr_spill_count: 0
    .symbol:         _Z39paged_attention_ll4mi_QKV_mfma16_kernelIDF16_DF16_LN4vllm18Fp8KVCacheDataTypeE0EDF16_Li32ELi128ELi256ELb1ELi4EL8MFMAType0EEvPKT_PKT0_S8_ifPKiSA_SA_iPKfiiiPfSD_PS3_PT2_iSC_SC_.kd
    .uniform_work_group_size: 1
    .uses_dynamic_stack: false
    .vgpr_count:     172
    .vgpr_spill_count: 0
    .wavefront_size: 32
    .workgroup_processor_mode: 1
  - .args:
      - .actual_access:  read_only
        .address_space:  global
        .offset:         0
        .size:           8
        .value_kind:     global_buffer
      - .actual_access:  read_only
        .address_space:  global
        .offset:         8
        .size:           8
        .value_kind:     global_buffer
      - .actual_access:  read_only
        .address_space:  global
        .offset:         16
        .size:           8
        .value_kind:     global_buffer
      - .offset:         24
        .size:           4
        .value_kind:     by_value
      - .offset:         28
        .size:           4
        .value_kind:     by_value
      - .actual_access:  read_only
        .address_space:  global
        .offset:         32
        .size:           8
        .value_kind:     global_buffer
      - .actual_access:  read_only
        .address_space:  global
        .offset:         40
        .size:           8
        .value_kind:     global_buffer
      - .actual_access:  read_only
        .address_space:  global
        .offset:         48
        .size:           8
        .value_kind:     global_buffer
      - .offset:         56
        .size:           4
        .value_kind:     by_value
      - .actual_access:  read_only
        .address_space:  global
        .offset:         64
        .size:           8
        .value_kind:     global_buffer
      - .offset:         72
        .size:           4
        .value_kind:     by_value
      - .offset:         76
        .size:           4
        .value_kind:     by_value
      - .offset:         80
        .size:           4
        .value_kind:     by_value
      - .actual_access:  read_only
        .address_space:  global
        .offset:         88
        .size:           8
        .value_kind:     global_buffer
      - .actual_access:  read_only
        .address_space:  global
        .offset:         96
        .size:           8
        .value_kind:     global_buffer
      - .actual_access:  read_only
        .address_space:  global
        .offset:         104
        .size:           8
        .value_kind:     global_buffer
      - .actual_access:  read_only
        .address_space:  global
        .offset:         112
        .size:           8
        .value_kind:     global_buffer
      - .offset:         120
        .size:           4
        .value_kind:     by_value
      - .address_space:  global
        .offset:         128
        .size:           8
        .value_kind:     global_buffer
      - .address_space:  global
        .offset:         136
        .size:           8
        .value_kind:     global_buffer
      - .offset:         144
        .size:           4
        .value_kind:     hidden_block_count_x
      - .offset:         148
        .size:           4
        .value_kind:     hidden_block_count_y
      - .offset:         152
        .size:           4
        .value_kind:     hidden_block_count_z
      - .offset:         156
        .size:           2
        .value_kind:     hidden_group_size_x
      - .offset:         158
        .size:           2
        .value_kind:     hidden_group_size_y
      - .offset:         160
        .size:           2
        .value_kind:     hidden_group_size_z
      - .offset:         162
        .size:           2
        .value_kind:     hidden_remainder_x
      - .offset:         164
        .size:           2
        .value_kind:     hidden_remainder_y
      - .offset:         166
        .size:           2
        .value_kind:     hidden_remainder_z
      - .offset:         184
        .size:           8
        .value_kind:     hidden_global_offset_x
      - .offset:         192
        .size:           8
        .value_kind:     hidden_global_offset_y
      - .offset:         200
        .size:           8
        .value_kind:     hidden_global_offset_z
      - .offset:         208
        .size:           2
        .value_kind:     hidden_grid_dims
      - .offset:         224
        .size:           8
        .value_kind:     hidden_hostcall_buffer
    .group_segment_fixed_size: 0
    .kernarg_segment_align: 8
    .kernarg_segment_size: 400
    .language:       OpenCL C
    .language_version:
      - 2
      - 0
    .max_flat_workgroup_size: 256
    .name:           _Z38paged_attention_ll4mi_QKV_mfma4_kernelIDF16_DF16_LN4vllm18Fp8KVCacheDataTypeE0EDF16_Li32ELi128ELi256ELb0ELi1EEvPKT_PKT0_S7_ifPKiS9_S9_iPKfiiiPfSC_PS2_PT2_iSB_SB_
    .private_segment_fixed_size: 64
    .sgpr_count:     36
    .sgpr_spill_count: 0
    .symbol:         _Z38paged_attention_ll4mi_QKV_mfma4_kernelIDF16_DF16_LN4vllm18Fp8KVCacheDataTypeE0EDF16_Li32ELi128ELi256ELb0ELi1EEvPKT_PKT0_S7_ifPKiS9_S9_iPKfiiiPfSC_PS2_PT2_iSB_SB_.kd
    .uniform_work_group_size: 1
    .uses_dynamic_stack: false
    .vgpr_count:     41
    .vgpr_spill_count: 0
    .wavefront_size: 32
    .workgroup_processor_mode: 1
  - .args:
      - .actual_access:  read_only
        .address_space:  global
        .offset:         0
        .size:           8
        .value_kind:     global_buffer
      - .actual_access:  read_only
        .address_space:  global
        .offset:         8
        .size:           8
        .value_kind:     global_buffer
      - .actual_access:  read_only
        .address_space:  global
        .offset:         16
        .size:           8
        .value_kind:     global_buffer
      - .offset:         24
        .size:           4
        .value_kind:     by_value
      - .offset:         28
        .size:           4
        .value_kind:     by_value
      - .actual_access:  read_only
        .address_space:  global
        .offset:         32
        .size:           8
        .value_kind:     global_buffer
      - .actual_access:  read_only
        .address_space:  global
        .offset:         40
        .size:           8
        .value_kind:     global_buffer
      - .actual_access:  read_only
        .address_space:  global
        .offset:         48
        .size:           8
        .value_kind:     global_buffer
      - .offset:         56
        .size:           4
        .value_kind:     by_value
      - .actual_access:  read_only
        .address_space:  global
        .offset:         64
        .size:           8
        .value_kind:     global_buffer
      - .offset:         72
        .size:           4
        .value_kind:     by_value
      - .offset:         76
        .size:           4
        .value_kind:     by_value
      - .offset:         80
        .size:           4
        .value_kind:     by_value
      - .actual_access:  read_only
        .address_space:  global
        .offset:         88
        .size:           8
        .value_kind:     global_buffer
      - .actual_access:  read_only
        .address_space:  global
        .offset:         96
        .size:           8
        .value_kind:     global_buffer
      - .actual_access:  read_only
        .address_space:  global
        .offset:         104
        .size:           8
        .value_kind:     global_buffer
      - .actual_access:  read_only
        .address_space:  global
        .offset:         112
        .size:           8
        .value_kind:     global_buffer
      - .offset:         120
        .size:           4
        .value_kind:     by_value
      - .address_space:  global
        .offset:         128
        .size:           8
        .value_kind:     global_buffer
      - .address_space:  global
        .offset:         136
        .size:           8
        .value_kind:     global_buffer
      - .offset:         144
        .size:           4
        .value_kind:     hidden_block_count_x
      - .offset:         148
        .size:           4
        .value_kind:     hidden_block_count_y
      - .offset:         152
        .size:           4
        .value_kind:     hidden_block_count_z
      - .offset:         156
        .size:           2
        .value_kind:     hidden_group_size_x
      - .offset:         158
        .size:           2
        .value_kind:     hidden_group_size_y
      - .offset:         160
        .size:           2
        .value_kind:     hidden_group_size_z
      - .offset:         162
        .size:           2
        .value_kind:     hidden_remainder_x
      - .offset:         164
        .size:           2
        .value_kind:     hidden_remainder_y
      - .offset:         166
        .size:           2
        .value_kind:     hidden_remainder_z
      - .offset:         184
        .size:           8
        .value_kind:     hidden_global_offset_x
      - .offset:         192
        .size:           8
        .value_kind:     hidden_global_offset_y
      - .offset:         200
        .size:           8
        .value_kind:     hidden_global_offset_z
      - .offset:         208
        .size:           2
        .value_kind:     hidden_grid_dims
      - .offset:         224
        .size:           8
        .value_kind:     hidden_hostcall_buffer
    .group_segment_fixed_size: 0
    .kernarg_segment_align: 8
    .kernarg_segment_size: 400
    .language:       OpenCL C
    .language_version:
      - 2
      - 0
    .max_flat_workgroup_size: 256
    .name:           _Z38paged_attention_ll4mi_QKV_mfma4_kernelIDF16_DF16_LN4vllm18Fp8KVCacheDataTypeE0EDF16_Li32ELi128ELi256ELb0ELi2EEvPKT_PKT0_S7_ifPKiS9_S9_iPKfiiiPfSC_PS2_PT2_iSB_SB_
    .private_segment_fixed_size: 64
    .sgpr_count:     36
    .sgpr_spill_count: 0
    .symbol:         _Z38paged_attention_ll4mi_QKV_mfma4_kernelIDF16_DF16_LN4vllm18Fp8KVCacheDataTypeE0EDF16_Li32ELi128ELi256ELb0ELi2EEvPKT_PKT0_S7_ifPKiS9_S9_iPKfiiiPfSC_PS2_PT2_iSB_SB_.kd
    .uniform_work_group_size: 1
    .uses_dynamic_stack: false
    .vgpr_count:     41
    .vgpr_spill_count: 0
    .wavefront_size: 32
    .workgroup_processor_mode: 1
  - .args:
      - .actual_access:  read_only
        .address_space:  global
        .offset:         0
        .size:           8
        .value_kind:     global_buffer
      - .actual_access:  read_only
        .address_space:  global
        .offset:         8
        .size:           8
        .value_kind:     global_buffer
      - .actual_access:  read_only
        .address_space:  global
        .offset:         16
        .size:           8
        .value_kind:     global_buffer
      - .offset:         24
        .size:           4
        .value_kind:     by_value
      - .offset:         28
        .size:           4
        .value_kind:     by_value
      - .actual_access:  read_only
        .address_space:  global
        .offset:         32
        .size:           8
        .value_kind:     global_buffer
      - .actual_access:  read_only
        .address_space:  global
        .offset:         40
        .size:           8
        .value_kind:     global_buffer
      - .actual_access:  read_only
        .address_space:  global
        .offset:         48
        .size:           8
        .value_kind:     global_buffer
      - .offset:         56
        .size:           4
        .value_kind:     by_value
      - .actual_access:  read_only
        .address_space:  global
        .offset:         64
        .size:           8
        .value_kind:     global_buffer
      - .offset:         72
        .size:           4
        .value_kind:     by_value
      - .offset:         76
        .size:           4
        .value_kind:     by_value
      - .offset:         80
        .size:           4
        .value_kind:     by_value
      - .actual_access:  read_only
        .address_space:  global
        .offset:         88
        .size:           8
        .value_kind:     global_buffer
      - .actual_access:  read_only
        .address_space:  global
        .offset:         96
        .size:           8
        .value_kind:     global_buffer
      - .actual_access:  read_only
        .address_space:  global
        .offset:         104
        .size:           8
        .value_kind:     global_buffer
      - .actual_access:  read_only
        .address_space:  global
        .offset:         112
        .size:           8
        .value_kind:     global_buffer
      - .offset:         120
        .size:           4
        .value_kind:     by_value
      - .address_space:  global
        .offset:         128
        .size:           8
        .value_kind:     global_buffer
      - .address_space:  global
        .offset:         136
        .size:           8
        .value_kind:     global_buffer
      - .offset:         144
        .size:           4
        .value_kind:     hidden_block_count_x
      - .offset:         148
        .size:           4
        .value_kind:     hidden_block_count_y
      - .offset:         152
        .size:           4
        .value_kind:     hidden_block_count_z
      - .offset:         156
        .size:           2
        .value_kind:     hidden_group_size_x
      - .offset:         158
        .size:           2
        .value_kind:     hidden_group_size_y
      - .offset:         160
        .size:           2
        .value_kind:     hidden_group_size_z
      - .offset:         162
        .size:           2
        .value_kind:     hidden_remainder_x
      - .offset:         164
        .size:           2
        .value_kind:     hidden_remainder_y
      - .offset:         166
        .size:           2
        .value_kind:     hidden_remainder_z
      - .offset:         184
        .size:           8
        .value_kind:     hidden_global_offset_x
      - .offset:         192
        .size:           8
        .value_kind:     hidden_global_offset_y
      - .offset:         200
        .size:           8
        .value_kind:     hidden_global_offset_z
      - .offset:         208
        .size:           2
        .value_kind:     hidden_grid_dims
      - .offset:         224
        .size:           8
        .value_kind:     hidden_hostcall_buffer
    .group_segment_fixed_size: 0
    .kernarg_segment_align: 8
    .kernarg_segment_size: 400
    .language:       OpenCL C
    .language_version:
      - 2
      - 0
    .max_flat_workgroup_size: 256
    .name:           _Z38paged_attention_ll4mi_QKV_mfma4_kernelIDF16_DF16_LN4vllm18Fp8KVCacheDataTypeE0EDF16_Li32ELi128ELi256ELb0ELi3EEvPKT_PKT0_S7_ifPKiS9_S9_iPKfiiiPfSC_PS2_PT2_iSB_SB_
    .private_segment_fixed_size: 64
    .sgpr_count:     36
    .sgpr_spill_count: 0
    .symbol:         _Z38paged_attention_ll4mi_QKV_mfma4_kernelIDF16_DF16_LN4vllm18Fp8KVCacheDataTypeE0EDF16_Li32ELi128ELi256ELb0ELi3EEvPKT_PKT0_S7_ifPKiS9_S9_iPKfiiiPfSC_PS2_PT2_iSB_SB_.kd
    .uniform_work_group_size: 1
    .uses_dynamic_stack: false
    .vgpr_count:     41
    .vgpr_spill_count: 0
    .wavefront_size: 32
    .workgroup_processor_mode: 1
  - .args:
      - .actual_access:  read_only
        .address_space:  global
        .offset:         0
        .size:           8
        .value_kind:     global_buffer
      - .actual_access:  read_only
        .address_space:  global
        .offset:         8
        .size:           8
        .value_kind:     global_buffer
      - .actual_access:  read_only
        .address_space:  global
        .offset:         16
        .size:           8
        .value_kind:     global_buffer
      - .offset:         24
        .size:           4
        .value_kind:     by_value
      - .offset:         28
        .size:           4
        .value_kind:     by_value
      - .actual_access:  read_only
        .address_space:  global
        .offset:         32
        .size:           8
        .value_kind:     global_buffer
      - .actual_access:  read_only
        .address_space:  global
        .offset:         40
        .size:           8
        .value_kind:     global_buffer
      - .actual_access:  read_only
        .address_space:  global
        .offset:         48
        .size:           8
        .value_kind:     global_buffer
      - .offset:         56
        .size:           4
        .value_kind:     by_value
      - .actual_access:  read_only
        .address_space:  global
        .offset:         64
        .size:           8
        .value_kind:     global_buffer
      - .offset:         72
        .size:           4
        .value_kind:     by_value
      - .offset:         76
        .size:           4
        .value_kind:     by_value
      - .offset:         80
        .size:           4
        .value_kind:     by_value
      - .actual_access:  read_only
        .address_space:  global
        .offset:         88
        .size:           8
        .value_kind:     global_buffer
      - .actual_access:  read_only
        .address_space:  global
        .offset:         96
        .size:           8
        .value_kind:     global_buffer
      - .actual_access:  read_only
        .address_space:  global
        .offset:         104
        .size:           8
        .value_kind:     global_buffer
      - .actual_access:  read_only
        .address_space:  global
        .offset:         112
        .size:           8
        .value_kind:     global_buffer
      - .offset:         120
        .size:           4
        .value_kind:     by_value
      - .address_space:  global
        .offset:         128
        .size:           8
        .value_kind:     global_buffer
      - .address_space:  global
        .offset:         136
        .size:           8
        .value_kind:     global_buffer
      - .offset:         144
        .size:           4
        .value_kind:     hidden_block_count_x
      - .offset:         148
        .size:           4
        .value_kind:     hidden_block_count_y
      - .offset:         152
        .size:           4
        .value_kind:     hidden_block_count_z
      - .offset:         156
        .size:           2
        .value_kind:     hidden_group_size_x
      - .offset:         158
        .size:           2
        .value_kind:     hidden_group_size_y
      - .offset:         160
        .size:           2
        .value_kind:     hidden_group_size_z
      - .offset:         162
        .size:           2
        .value_kind:     hidden_remainder_x
      - .offset:         164
        .size:           2
        .value_kind:     hidden_remainder_y
      - .offset:         166
        .size:           2
        .value_kind:     hidden_remainder_z
      - .offset:         184
        .size:           8
        .value_kind:     hidden_global_offset_x
      - .offset:         192
        .size:           8
        .value_kind:     hidden_global_offset_y
      - .offset:         200
        .size:           8
        .value_kind:     hidden_global_offset_z
      - .offset:         208
        .size:           2
        .value_kind:     hidden_grid_dims
      - .offset:         224
        .size:           8
        .value_kind:     hidden_hostcall_buffer
    .group_segment_fixed_size: 0
    .kernarg_segment_align: 8
    .kernarg_segment_size: 400
    .language:       OpenCL C
    .language_version:
      - 2
      - 0
    .max_flat_workgroup_size: 256
    .name:           _Z38paged_attention_ll4mi_QKV_mfma4_kernelIDF16_DF16_LN4vllm18Fp8KVCacheDataTypeE0EDF16_Li32ELi128ELi256ELb0ELi4EEvPKT_PKT0_S7_ifPKiS9_S9_iPKfiiiPfSC_PS2_PT2_iSB_SB_
    .private_segment_fixed_size: 64
    .sgpr_count:     36
    .sgpr_spill_count: 0
    .symbol:         _Z38paged_attention_ll4mi_QKV_mfma4_kernelIDF16_DF16_LN4vllm18Fp8KVCacheDataTypeE0EDF16_Li32ELi128ELi256ELb0ELi4EEvPKT_PKT0_S7_ifPKiS9_S9_iPKfiiiPfSC_PS2_PT2_iSB_SB_.kd
    .uniform_work_group_size: 1
    .uses_dynamic_stack: false
    .vgpr_count:     41
    .vgpr_spill_count: 0
    .wavefront_size: 32
    .workgroup_processor_mode: 1
  - .args:
      - .actual_access:  read_only
        .address_space:  global
        .offset:         0
        .size:           8
        .value_kind:     global_buffer
      - .actual_access:  read_only
        .address_space:  global
        .offset:         8
        .size:           8
        .value_kind:     global_buffer
      - .actual_access:  read_only
        .address_space:  global
        .offset:         16
        .size:           8
        .value_kind:     global_buffer
      - .offset:         24
        .size:           4
        .value_kind:     by_value
      - .offset:         28
        .size:           4
        .value_kind:     by_value
      - .actual_access:  read_only
        .address_space:  global
        .offset:         32
        .size:           8
        .value_kind:     global_buffer
      - .actual_access:  read_only
        .address_space:  global
        .offset:         40
        .size:           8
        .value_kind:     global_buffer
      - .actual_access:  read_only
        .address_space:  global
        .offset:         48
        .size:           8
        .value_kind:     global_buffer
      - .offset:         56
        .size:           4
        .value_kind:     by_value
      - .actual_access:  read_only
        .address_space:  global
        .offset:         64
        .size:           8
        .value_kind:     global_buffer
      - .offset:         72
        .size:           4
        .value_kind:     by_value
      - .offset:         76
        .size:           4
        .value_kind:     by_value
      - .offset:         80
        .size:           4
        .value_kind:     by_value
      - .actual_access:  write_only
        .address_space:  global
        .offset:         88
        .size:           8
        .value_kind:     global_buffer
      - .actual_access:  write_only
        .address_space:  global
        .offset:         96
        .size:           8
        .value_kind:     global_buffer
      - .actual_access:  write_only
        .address_space:  global
        .offset:         104
        .size:           8
        .value_kind:     global_buffer
      - .actual_access:  read_only
        .address_space:  global
        .offset:         112
        .size:           8
        .value_kind:     global_buffer
      - .offset:         120
        .size:           4
        .value_kind:     by_value
      - .address_space:  global
        .offset:         128
        .size:           8
        .value_kind:     global_buffer
      - .address_space:  global
        .offset:         136
        .size:           8
        .value_kind:     global_buffer
      - .offset:         144
        .size:           4
        .value_kind:     hidden_block_count_x
      - .offset:         148
        .size:           4
        .value_kind:     hidden_block_count_y
      - .offset:         152
        .size:           4
        .value_kind:     hidden_block_count_z
      - .offset:         156
        .size:           2
        .value_kind:     hidden_group_size_x
      - .offset:         158
        .size:           2
        .value_kind:     hidden_group_size_y
      - .offset:         160
        .size:           2
        .value_kind:     hidden_group_size_z
      - .offset:         162
        .size:           2
        .value_kind:     hidden_remainder_x
      - .offset:         164
        .size:           2
        .value_kind:     hidden_remainder_y
      - .offset:         166
        .size:           2
        .value_kind:     hidden_remainder_z
      - .offset:         184
        .size:           8
        .value_kind:     hidden_global_offset_x
      - .offset:         192
        .size:           8
        .value_kind:     hidden_global_offset_y
      - .offset:         200
        .size:           8
        .value_kind:     hidden_global_offset_z
      - .offset:         208
        .size:           2
        .value_kind:     hidden_grid_dims
    .group_segment_fixed_size: 17472
    .kernarg_segment_align: 8
    .kernarg_segment_size: 400
    .language:       OpenCL C
    .language_version:
      - 2
      - 0
    .max_flat_workgroup_size: 256
    .name:           _Z39paged_attention_ll4mi_QKV_mfma16_kernelIDF16_DF16_LN4vllm18Fp8KVCacheDataTypeE0EDF16_Li32ELi128ELi256ELb0ELi5EL8MFMAType0EEvPKT_PKT0_S8_ifPKiSA_SA_iPKfiiiPfSD_PS3_PT2_iSC_SC_
    .private_segment_fixed_size: 0
    .sgpr_count:     41
    .sgpr_spill_count: 0
    .symbol:         _Z39paged_attention_ll4mi_QKV_mfma16_kernelIDF16_DF16_LN4vllm18Fp8KVCacheDataTypeE0EDF16_Li32ELi128ELi256ELb0ELi5EL8MFMAType0EEvPKT_PKT0_S8_ifPKiSA_SA_iPKfiiiPfSD_PS3_PT2_iSC_SC_.kd
    .uniform_work_group_size: 1
    .uses_dynamic_stack: false
    .vgpr_count:     172
    .vgpr_spill_count: 0
    .wavefront_size: 32
    .workgroup_processor_mode: 1
  - .args:
      - .actual_access:  read_only
        .address_space:  global
        .offset:         0
        .size:           8
        .value_kind:     global_buffer
      - .actual_access:  read_only
        .address_space:  global
        .offset:         8
        .size:           8
        .value_kind:     global_buffer
      - .actual_access:  read_only
        .address_space:  global
        .offset:         16
        .size:           8
        .value_kind:     global_buffer
      - .offset:         24
        .size:           4
        .value_kind:     by_value
      - .offset:         28
        .size:           4
        .value_kind:     by_value
      - .actual_access:  read_only
        .address_space:  global
        .offset:         32
        .size:           8
        .value_kind:     global_buffer
      - .actual_access:  read_only
        .address_space:  global
        .offset:         40
        .size:           8
        .value_kind:     global_buffer
      - .actual_access:  read_only
        .address_space:  global
        .offset:         48
        .size:           8
        .value_kind:     global_buffer
      - .offset:         56
        .size:           4
        .value_kind:     by_value
      - .actual_access:  read_only
        .address_space:  global
        .offset:         64
        .size:           8
        .value_kind:     global_buffer
      - .offset:         72
        .size:           4
        .value_kind:     by_value
      - .offset:         76
        .size:           4
        .value_kind:     by_value
      - .offset:         80
        .size:           4
        .value_kind:     by_value
      - .actual_access:  write_only
        .address_space:  global
        .offset:         88
        .size:           8
        .value_kind:     global_buffer
      - .actual_access:  write_only
        .address_space:  global
        .offset:         96
        .size:           8
        .value_kind:     global_buffer
      - .actual_access:  write_only
        .address_space:  global
        .offset:         104
        .size:           8
        .value_kind:     global_buffer
      - .actual_access:  read_only
        .address_space:  global
        .offset:         112
        .size:           8
        .value_kind:     global_buffer
      - .offset:         120
        .size:           4
        .value_kind:     by_value
      - .address_space:  global
        .offset:         128
        .size:           8
        .value_kind:     global_buffer
      - .address_space:  global
        .offset:         136
        .size:           8
        .value_kind:     global_buffer
      - .offset:         144
        .size:           4
        .value_kind:     hidden_block_count_x
      - .offset:         148
        .size:           4
        .value_kind:     hidden_block_count_y
      - .offset:         152
        .size:           4
        .value_kind:     hidden_block_count_z
      - .offset:         156
        .size:           2
        .value_kind:     hidden_group_size_x
      - .offset:         158
        .size:           2
        .value_kind:     hidden_group_size_y
      - .offset:         160
        .size:           2
        .value_kind:     hidden_group_size_z
      - .offset:         162
        .size:           2
        .value_kind:     hidden_remainder_x
      - .offset:         164
        .size:           2
        .value_kind:     hidden_remainder_y
      - .offset:         166
        .size:           2
        .value_kind:     hidden_remainder_z
      - .offset:         184
        .size:           8
        .value_kind:     hidden_global_offset_x
      - .offset:         192
        .size:           8
        .value_kind:     hidden_global_offset_y
      - .offset:         200
        .size:           8
        .value_kind:     hidden_global_offset_z
      - .offset:         208
        .size:           2
        .value_kind:     hidden_grid_dims
    .group_segment_fixed_size: 17472
    .kernarg_segment_align: 8
    .kernarg_segment_size: 400
    .language:       OpenCL C
    .language_version:
      - 2
      - 0
    .max_flat_workgroup_size: 256
    .name:           _Z39paged_attention_ll4mi_QKV_mfma16_kernelIDF16_DF16_LN4vllm18Fp8KVCacheDataTypeE0EDF16_Li32ELi128ELi256ELb0ELi6EL8MFMAType0EEvPKT_PKT0_S8_ifPKiSA_SA_iPKfiiiPfSD_PS3_PT2_iSC_SC_
    .private_segment_fixed_size: 0
    .sgpr_count:     40
    .sgpr_spill_count: 0
    .symbol:         _Z39paged_attention_ll4mi_QKV_mfma16_kernelIDF16_DF16_LN4vllm18Fp8KVCacheDataTypeE0EDF16_Li32ELi128ELi256ELb0ELi6EL8MFMAType0EEvPKT_PKT0_S8_ifPKiSA_SA_iPKfiiiPfSD_PS3_PT2_iSC_SC_.kd
    .uniform_work_group_size: 1
    .uses_dynamic_stack: false
    .vgpr_count:     172
    .vgpr_spill_count: 0
    .wavefront_size: 32
    .workgroup_processor_mode: 1
  - .args:
      - .actual_access:  read_only
        .address_space:  global
        .offset:         0
        .size:           8
        .value_kind:     global_buffer
      - .actual_access:  read_only
        .address_space:  global
        .offset:         8
        .size:           8
        .value_kind:     global_buffer
      - .actual_access:  read_only
        .address_space:  global
        .offset:         16
        .size:           8
        .value_kind:     global_buffer
      - .offset:         24
        .size:           4
        .value_kind:     by_value
      - .offset:         28
        .size:           4
        .value_kind:     by_value
      - .actual_access:  read_only
        .address_space:  global
        .offset:         32
        .size:           8
        .value_kind:     global_buffer
      - .actual_access:  read_only
        .address_space:  global
        .offset:         40
        .size:           8
        .value_kind:     global_buffer
      - .actual_access:  read_only
        .address_space:  global
        .offset:         48
        .size:           8
        .value_kind:     global_buffer
      - .offset:         56
        .size:           4
        .value_kind:     by_value
      - .actual_access:  read_only
        .address_space:  global
        .offset:         64
        .size:           8
        .value_kind:     global_buffer
      - .offset:         72
        .size:           4
        .value_kind:     by_value
      - .offset:         76
        .size:           4
        .value_kind:     by_value
      - .offset:         80
        .size:           4
        .value_kind:     by_value
      - .actual_access:  write_only
        .address_space:  global
        .offset:         88
        .size:           8
        .value_kind:     global_buffer
      - .actual_access:  write_only
        .address_space:  global
        .offset:         96
        .size:           8
        .value_kind:     global_buffer
      - .actual_access:  write_only
        .address_space:  global
        .offset:         104
        .size:           8
        .value_kind:     global_buffer
      - .actual_access:  read_only
        .address_space:  global
        .offset:         112
        .size:           8
        .value_kind:     global_buffer
      - .offset:         120
        .size:           4
        .value_kind:     by_value
      - .address_space:  global
        .offset:         128
        .size:           8
        .value_kind:     global_buffer
      - .address_space:  global
        .offset:         136
        .size:           8
        .value_kind:     global_buffer
      - .offset:         144
        .size:           4
        .value_kind:     hidden_block_count_x
      - .offset:         148
        .size:           4
        .value_kind:     hidden_block_count_y
      - .offset:         152
        .size:           4
        .value_kind:     hidden_block_count_z
      - .offset:         156
        .size:           2
        .value_kind:     hidden_group_size_x
      - .offset:         158
        .size:           2
        .value_kind:     hidden_group_size_y
      - .offset:         160
        .size:           2
        .value_kind:     hidden_group_size_z
      - .offset:         162
        .size:           2
        .value_kind:     hidden_remainder_x
      - .offset:         164
        .size:           2
        .value_kind:     hidden_remainder_y
      - .offset:         166
        .size:           2
        .value_kind:     hidden_remainder_z
      - .offset:         184
        .size:           8
        .value_kind:     hidden_global_offset_x
      - .offset:         192
        .size:           8
        .value_kind:     hidden_global_offset_y
      - .offset:         200
        .size:           8
        .value_kind:     hidden_global_offset_z
      - .offset:         208
        .size:           2
        .value_kind:     hidden_grid_dims
    .group_segment_fixed_size: 17472
    .kernarg_segment_align: 8
    .kernarg_segment_size: 400
    .language:       OpenCL C
    .language_version:
      - 2
      - 0
    .max_flat_workgroup_size: 256
    .name:           _Z39paged_attention_ll4mi_QKV_mfma16_kernelIDF16_DF16_LN4vllm18Fp8KVCacheDataTypeE0EDF16_Li32ELi128ELi256ELb0ELi7EL8MFMAType0EEvPKT_PKT0_S8_ifPKiSA_SA_iPKfiiiPfSD_PS3_PT2_iSC_SC_
    .private_segment_fixed_size: 0
    .sgpr_count:     41
    .sgpr_spill_count: 0
    .symbol:         _Z39paged_attention_ll4mi_QKV_mfma16_kernelIDF16_DF16_LN4vllm18Fp8KVCacheDataTypeE0EDF16_Li32ELi128ELi256ELb0ELi7EL8MFMAType0EEvPKT_PKT0_S8_ifPKiSA_SA_iPKfiiiPfSD_PS3_PT2_iSC_SC_.kd
    .uniform_work_group_size: 1
    .uses_dynamic_stack: false
    .vgpr_count:     172
    .vgpr_spill_count: 0
    .wavefront_size: 32
    .workgroup_processor_mode: 1
  - .args:
      - .actual_access:  read_only
        .address_space:  global
        .offset:         0
        .size:           8
        .value_kind:     global_buffer
      - .actual_access:  read_only
        .address_space:  global
        .offset:         8
        .size:           8
        .value_kind:     global_buffer
      - .actual_access:  read_only
        .address_space:  global
        .offset:         16
        .size:           8
        .value_kind:     global_buffer
      - .offset:         24
        .size:           4
        .value_kind:     by_value
      - .offset:         28
        .size:           4
        .value_kind:     by_value
      - .actual_access:  read_only
        .address_space:  global
        .offset:         32
        .size:           8
        .value_kind:     global_buffer
      - .actual_access:  read_only
        .address_space:  global
        .offset:         40
        .size:           8
        .value_kind:     global_buffer
      - .actual_access:  read_only
        .address_space:  global
        .offset:         48
        .size:           8
        .value_kind:     global_buffer
      - .offset:         56
        .size:           4
        .value_kind:     by_value
      - .actual_access:  read_only
        .address_space:  global
        .offset:         64
        .size:           8
        .value_kind:     global_buffer
      - .offset:         72
        .size:           4
        .value_kind:     by_value
      - .offset:         76
        .size:           4
        .value_kind:     by_value
      - .offset:         80
        .size:           4
        .value_kind:     by_value
      - .actual_access:  write_only
        .address_space:  global
        .offset:         88
        .size:           8
        .value_kind:     global_buffer
      - .actual_access:  write_only
        .address_space:  global
        .offset:         96
        .size:           8
        .value_kind:     global_buffer
      - .actual_access:  write_only
        .address_space:  global
        .offset:         104
        .size:           8
        .value_kind:     global_buffer
      - .actual_access:  read_only
        .address_space:  global
        .offset:         112
        .size:           8
        .value_kind:     global_buffer
      - .offset:         120
        .size:           4
        .value_kind:     by_value
      - .address_space:  global
        .offset:         128
        .size:           8
        .value_kind:     global_buffer
      - .address_space:  global
        .offset:         136
        .size:           8
        .value_kind:     global_buffer
      - .offset:         144
        .size:           4
        .value_kind:     hidden_block_count_x
      - .offset:         148
        .size:           4
        .value_kind:     hidden_block_count_y
      - .offset:         152
        .size:           4
        .value_kind:     hidden_block_count_z
      - .offset:         156
        .size:           2
        .value_kind:     hidden_group_size_x
      - .offset:         158
        .size:           2
        .value_kind:     hidden_group_size_y
      - .offset:         160
        .size:           2
        .value_kind:     hidden_group_size_z
      - .offset:         162
        .size:           2
        .value_kind:     hidden_remainder_x
      - .offset:         164
        .size:           2
        .value_kind:     hidden_remainder_y
      - .offset:         166
        .size:           2
        .value_kind:     hidden_remainder_z
      - .offset:         184
        .size:           8
        .value_kind:     hidden_global_offset_x
      - .offset:         192
        .size:           8
        .value_kind:     hidden_global_offset_y
      - .offset:         200
        .size:           8
        .value_kind:     hidden_global_offset_z
      - .offset:         208
        .size:           2
        .value_kind:     hidden_grid_dims
    .group_segment_fixed_size: 17472
    .kernarg_segment_align: 8
    .kernarg_segment_size: 400
    .language:       OpenCL C
    .language_version:
      - 2
      - 0
    .max_flat_workgroup_size: 256
    .name:           _Z39paged_attention_ll4mi_QKV_mfma16_kernelIDF16_DF16_LN4vllm18Fp8KVCacheDataTypeE0EDF16_Li32ELi128ELi256ELb0ELi8EL8MFMAType0EEvPKT_PKT0_S8_ifPKiSA_SA_iPKfiiiPfSD_PS3_PT2_iSC_SC_
    .private_segment_fixed_size: 0
    .sgpr_count:     40
    .sgpr_spill_count: 0
    .symbol:         _Z39paged_attention_ll4mi_QKV_mfma16_kernelIDF16_DF16_LN4vllm18Fp8KVCacheDataTypeE0EDF16_Li32ELi128ELi256ELb0ELi8EL8MFMAType0EEvPKT_PKT0_S8_ifPKiSA_SA_iPKfiiiPfSD_PS3_PT2_iSC_SC_.kd
    .uniform_work_group_size: 1
    .uses_dynamic_stack: false
    .vgpr_count:     172
    .vgpr_spill_count: 0
    .wavefront_size: 32
    .workgroup_processor_mode: 1
  - .args:
      - .actual_access:  read_only
        .address_space:  global
        .offset:         0
        .size:           8
        .value_kind:     global_buffer
      - .actual_access:  read_only
        .address_space:  global
        .offset:         8
        .size:           8
        .value_kind:     global_buffer
      - .actual_access:  read_only
        .address_space:  global
        .offset:         16
        .size:           8
        .value_kind:     global_buffer
      - .offset:         24
        .size:           4
        .value_kind:     by_value
      - .offset:         28
        .size:           4
        .value_kind:     by_value
      - .actual_access:  read_only
        .address_space:  global
        .offset:         32
        .size:           8
        .value_kind:     global_buffer
      - .actual_access:  read_only
        .address_space:  global
        .offset:         40
        .size:           8
        .value_kind:     global_buffer
      - .actual_access:  read_only
        .address_space:  global
        .offset:         48
        .size:           8
        .value_kind:     global_buffer
      - .offset:         56
        .size:           4
        .value_kind:     by_value
      - .actual_access:  read_only
        .address_space:  global
        .offset:         64
        .size:           8
        .value_kind:     global_buffer
      - .offset:         72
        .size:           4
        .value_kind:     by_value
      - .offset:         76
        .size:           4
        .value_kind:     by_value
      - .offset:         80
        .size:           4
        .value_kind:     by_value
      - .actual_access:  write_only
        .address_space:  global
        .offset:         88
        .size:           8
        .value_kind:     global_buffer
      - .actual_access:  write_only
        .address_space:  global
        .offset:         96
        .size:           8
        .value_kind:     global_buffer
      - .actual_access:  write_only
        .address_space:  global
        .offset:         104
        .size:           8
        .value_kind:     global_buffer
      - .actual_access:  read_only
        .address_space:  global
        .offset:         112
        .size:           8
        .value_kind:     global_buffer
      - .offset:         120
        .size:           4
        .value_kind:     by_value
      - .address_space:  global
        .offset:         128
        .size:           8
        .value_kind:     global_buffer
      - .address_space:  global
        .offset:         136
        .size:           8
        .value_kind:     global_buffer
      - .offset:         144
        .size:           4
        .value_kind:     hidden_block_count_x
      - .offset:         148
        .size:           4
        .value_kind:     hidden_block_count_y
      - .offset:         152
        .size:           4
        .value_kind:     hidden_block_count_z
      - .offset:         156
        .size:           2
        .value_kind:     hidden_group_size_x
      - .offset:         158
        .size:           2
        .value_kind:     hidden_group_size_y
      - .offset:         160
        .size:           2
        .value_kind:     hidden_group_size_z
      - .offset:         162
        .size:           2
        .value_kind:     hidden_remainder_x
      - .offset:         164
        .size:           2
        .value_kind:     hidden_remainder_y
      - .offset:         166
        .size:           2
        .value_kind:     hidden_remainder_z
      - .offset:         184
        .size:           8
        .value_kind:     hidden_global_offset_x
      - .offset:         192
        .size:           8
        .value_kind:     hidden_global_offset_y
      - .offset:         200
        .size:           8
        .value_kind:     hidden_global_offset_z
      - .offset:         208
        .size:           2
        .value_kind:     hidden_grid_dims
    .group_segment_fixed_size: 17472
    .kernarg_segment_align: 8
    .kernarg_segment_size: 400
    .language:       OpenCL C
    .language_version:
      - 2
      - 0
    .max_flat_workgroup_size: 256
    .name:           _Z39paged_attention_ll4mi_QKV_mfma16_kernelIDF16_DF16_LN4vllm18Fp8KVCacheDataTypeE0EDF16_Li32ELi128ELi256ELb0ELi9EL8MFMAType0EEvPKT_PKT0_S8_ifPKiSA_SA_iPKfiiiPfSD_PS3_PT2_iSC_SC_
    .private_segment_fixed_size: 0
    .sgpr_count:     41
    .sgpr_spill_count: 0
    .symbol:         _Z39paged_attention_ll4mi_QKV_mfma16_kernelIDF16_DF16_LN4vllm18Fp8KVCacheDataTypeE0EDF16_Li32ELi128ELi256ELb0ELi9EL8MFMAType0EEvPKT_PKT0_S8_ifPKiSA_SA_iPKfiiiPfSD_PS3_PT2_iSC_SC_.kd
    .uniform_work_group_size: 1
    .uses_dynamic_stack: false
    .vgpr_count:     172
    .vgpr_spill_count: 0
    .wavefront_size: 32
    .workgroup_processor_mode: 1
  - .args:
      - .actual_access:  read_only
        .address_space:  global
        .offset:         0
        .size:           8
        .value_kind:     global_buffer
      - .actual_access:  read_only
        .address_space:  global
        .offset:         8
        .size:           8
        .value_kind:     global_buffer
      - .actual_access:  read_only
        .address_space:  global
        .offset:         16
        .size:           8
        .value_kind:     global_buffer
      - .offset:         24
        .size:           4
        .value_kind:     by_value
      - .offset:         28
        .size:           4
        .value_kind:     by_value
      - .actual_access:  read_only
        .address_space:  global
        .offset:         32
        .size:           8
        .value_kind:     global_buffer
      - .actual_access:  read_only
        .address_space:  global
        .offset:         40
        .size:           8
        .value_kind:     global_buffer
      - .actual_access:  read_only
        .address_space:  global
        .offset:         48
        .size:           8
        .value_kind:     global_buffer
      - .offset:         56
        .size:           4
        .value_kind:     by_value
      - .actual_access:  read_only
        .address_space:  global
        .offset:         64
        .size:           8
        .value_kind:     global_buffer
      - .offset:         72
        .size:           4
        .value_kind:     by_value
      - .offset:         76
        .size:           4
        .value_kind:     by_value
      - .offset:         80
        .size:           4
        .value_kind:     by_value
      - .actual_access:  write_only
        .address_space:  global
        .offset:         88
        .size:           8
        .value_kind:     global_buffer
      - .actual_access:  write_only
        .address_space:  global
        .offset:         96
        .size:           8
        .value_kind:     global_buffer
      - .actual_access:  write_only
        .address_space:  global
        .offset:         104
        .size:           8
        .value_kind:     global_buffer
      - .actual_access:  read_only
        .address_space:  global
        .offset:         112
        .size:           8
        .value_kind:     global_buffer
      - .offset:         120
        .size:           4
        .value_kind:     by_value
      - .address_space:  global
        .offset:         128
        .size:           8
        .value_kind:     global_buffer
      - .address_space:  global
        .offset:         136
        .size:           8
        .value_kind:     global_buffer
      - .offset:         144
        .size:           4
        .value_kind:     hidden_block_count_x
      - .offset:         148
        .size:           4
        .value_kind:     hidden_block_count_y
      - .offset:         152
        .size:           4
        .value_kind:     hidden_block_count_z
      - .offset:         156
        .size:           2
        .value_kind:     hidden_group_size_x
      - .offset:         158
        .size:           2
        .value_kind:     hidden_group_size_y
      - .offset:         160
        .size:           2
        .value_kind:     hidden_group_size_z
      - .offset:         162
        .size:           2
        .value_kind:     hidden_remainder_x
      - .offset:         164
        .size:           2
        .value_kind:     hidden_remainder_y
      - .offset:         166
        .size:           2
        .value_kind:     hidden_remainder_z
      - .offset:         184
        .size:           8
        .value_kind:     hidden_global_offset_x
      - .offset:         192
        .size:           8
        .value_kind:     hidden_global_offset_y
      - .offset:         200
        .size:           8
        .value_kind:     hidden_global_offset_z
      - .offset:         208
        .size:           2
        .value_kind:     hidden_grid_dims
    .group_segment_fixed_size: 17472
    .kernarg_segment_align: 8
    .kernarg_segment_size: 400
    .language:       OpenCL C
    .language_version:
      - 2
      - 0
    .max_flat_workgroup_size: 256
    .name:           _Z39paged_attention_ll4mi_QKV_mfma16_kernelIDF16_DF16_LN4vllm18Fp8KVCacheDataTypeE0EDF16_Li32ELi128ELi256ELb0ELi10EL8MFMAType0EEvPKT_PKT0_S8_ifPKiSA_SA_iPKfiiiPfSD_PS3_PT2_iSC_SC_
    .private_segment_fixed_size: 0
    .sgpr_count:     40
    .sgpr_spill_count: 0
    .symbol:         _Z39paged_attention_ll4mi_QKV_mfma16_kernelIDF16_DF16_LN4vllm18Fp8KVCacheDataTypeE0EDF16_Li32ELi128ELi256ELb0ELi10EL8MFMAType0EEvPKT_PKT0_S8_ifPKiSA_SA_iPKfiiiPfSD_PS3_PT2_iSC_SC_.kd
    .uniform_work_group_size: 1
    .uses_dynamic_stack: false
    .vgpr_count:     172
    .vgpr_spill_count: 0
    .wavefront_size: 32
    .workgroup_processor_mode: 1
  - .args:
      - .actual_access:  read_only
        .address_space:  global
        .offset:         0
        .size:           8
        .value_kind:     global_buffer
      - .actual_access:  read_only
        .address_space:  global
        .offset:         8
        .size:           8
        .value_kind:     global_buffer
      - .actual_access:  read_only
        .address_space:  global
        .offset:         16
        .size:           8
        .value_kind:     global_buffer
      - .offset:         24
        .size:           4
        .value_kind:     by_value
      - .offset:         28
        .size:           4
        .value_kind:     by_value
      - .actual_access:  read_only
        .address_space:  global
        .offset:         32
        .size:           8
        .value_kind:     global_buffer
      - .actual_access:  read_only
        .address_space:  global
        .offset:         40
        .size:           8
        .value_kind:     global_buffer
      - .actual_access:  read_only
        .address_space:  global
        .offset:         48
        .size:           8
        .value_kind:     global_buffer
      - .offset:         56
        .size:           4
        .value_kind:     by_value
      - .actual_access:  read_only
        .address_space:  global
        .offset:         64
        .size:           8
        .value_kind:     global_buffer
      - .offset:         72
        .size:           4
        .value_kind:     by_value
      - .offset:         76
        .size:           4
        .value_kind:     by_value
      - .offset:         80
        .size:           4
        .value_kind:     by_value
      - .actual_access:  write_only
        .address_space:  global
        .offset:         88
        .size:           8
        .value_kind:     global_buffer
      - .actual_access:  write_only
        .address_space:  global
        .offset:         96
        .size:           8
        .value_kind:     global_buffer
      - .actual_access:  write_only
        .address_space:  global
        .offset:         104
        .size:           8
        .value_kind:     global_buffer
      - .actual_access:  read_only
        .address_space:  global
        .offset:         112
        .size:           8
        .value_kind:     global_buffer
      - .offset:         120
        .size:           4
        .value_kind:     by_value
      - .address_space:  global
        .offset:         128
        .size:           8
        .value_kind:     global_buffer
      - .address_space:  global
        .offset:         136
        .size:           8
        .value_kind:     global_buffer
      - .offset:         144
        .size:           4
        .value_kind:     hidden_block_count_x
      - .offset:         148
        .size:           4
        .value_kind:     hidden_block_count_y
      - .offset:         152
        .size:           4
        .value_kind:     hidden_block_count_z
      - .offset:         156
        .size:           2
        .value_kind:     hidden_group_size_x
      - .offset:         158
        .size:           2
        .value_kind:     hidden_group_size_y
      - .offset:         160
        .size:           2
        .value_kind:     hidden_group_size_z
      - .offset:         162
        .size:           2
        .value_kind:     hidden_remainder_x
      - .offset:         164
        .size:           2
        .value_kind:     hidden_remainder_y
      - .offset:         166
        .size:           2
        .value_kind:     hidden_remainder_z
      - .offset:         184
        .size:           8
        .value_kind:     hidden_global_offset_x
      - .offset:         192
        .size:           8
        .value_kind:     hidden_global_offset_y
      - .offset:         200
        .size:           8
        .value_kind:     hidden_global_offset_z
      - .offset:         208
        .size:           2
        .value_kind:     hidden_grid_dims
    .group_segment_fixed_size: 17472
    .kernarg_segment_align: 8
    .kernarg_segment_size: 400
    .language:       OpenCL C
    .language_version:
      - 2
      - 0
    .max_flat_workgroup_size: 256
    .name:           _Z39paged_attention_ll4mi_QKV_mfma16_kernelIDF16_DF16_LN4vllm18Fp8KVCacheDataTypeE0EDF16_Li32ELi128ELi256ELb0ELi11EL8MFMAType0EEvPKT_PKT0_S8_ifPKiSA_SA_iPKfiiiPfSD_PS3_PT2_iSC_SC_
    .private_segment_fixed_size: 0
    .sgpr_count:     41
    .sgpr_spill_count: 0
    .symbol:         _Z39paged_attention_ll4mi_QKV_mfma16_kernelIDF16_DF16_LN4vllm18Fp8KVCacheDataTypeE0EDF16_Li32ELi128ELi256ELb0ELi11EL8MFMAType0EEvPKT_PKT0_S8_ifPKiSA_SA_iPKfiiiPfSD_PS3_PT2_iSC_SC_.kd
    .uniform_work_group_size: 1
    .uses_dynamic_stack: false
    .vgpr_count:     172
    .vgpr_spill_count: 0
    .wavefront_size: 32
    .workgroup_processor_mode: 1
  - .args:
      - .actual_access:  read_only
        .address_space:  global
        .offset:         0
        .size:           8
        .value_kind:     global_buffer
      - .actual_access:  read_only
        .address_space:  global
        .offset:         8
        .size:           8
        .value_kind:     global_buffer
      - .actual_access:  read_only
        .address_space:  global
        .offset:         16
        .size:           8
        .value_kind:     global_buffer
      - .offset:         24
        .size:           4
        .value_kind:     by_value
      - .offset:         28
        .size:           4
        .value_kind:     by_value
      - .actual_access:  read_only
        .address_space:  global
        .offset:         32
        .size:           8
        .value_kind:     global_buffer
      - .actual_access:  read_only
        .address_space:  global
        .offset:         40
        .size:           8
        .value_kind:     global_buffer
      - .actual_access:  read_only
        .address_space:  global
        .offset:         48
        .size:           8
        .value_kind:     global_buffer
      - .offset:         56
        .size:           4
        .value_kind:     by_value
      - .actual_access:  read_only
        .address_space:  global
        .offset:         64
        .size:           8
        .value_kind:     global_buffer
      - .offset:         72
        .size:           4
        .value_kind:     by_value
      - .offset:         76
        .size:           4
        .value_kind:     by_value
      - .offset:         80
        .size:           4
        .value_kind:     by_value
      - .actual_access:  write_only
        .address_space:  global
        .offset:         88
        .size:           8
        .value_kind:     global_buffer
      - .actual_access:  write_only
        .address_space:  global
        .offset:         96
        .size:           8
        .value_kind:     global_buffer
      - .actual_access:  write_only
        .address_space:  global
        .offset:         104
        .size:           8
        .value_kind:     global_buffer
      - .actual_access:  read_only
        .address_space:  global
        .offset:         112
        .size:           8
        .value_kind:     global_buffer
      - .offset:         120
        .size:           4
        .value_kind:     by_value
      - .address_space:  global
        .offset:         128
        .size:           8
        .value_kind:     global_buffer
      - .address_space:  global
        .offset:         136
        .size:           8
        .value_kind:     global_buffer
      - .offset:         144
        .size:           4
        .value_kind:     hidden_block_count_x
      - .offset:         148
        .size:           4
        .value_kind:     hidden_block_count_y
      - .offset:         152
        .size:           4
        .value_kind:     hidden_block_count_z
      - .offset:         156
        .size:           2
        .value_kind:     hidden_group_size_x
      - .offset:         158
        .size:           2
        .value_kind:     hidden_group_size_y
      - .offset:         160
        .size:           2
        .value_kind:     hidden_group_size_z
      - .offset:         162
        .size:           2
        .value_kind:     hidden_remainder_x
      - .offset:         164
        .size:           2
        .value_kind:     hidden_remainder_y
      - .offset:         166
        .size:           2
        .value_kind:     hidden_remainder_z
      - .offset:         184
        .size:           8
        .value_kind:     hidden_global_offset_x
      - .offset:         192
        .size:           8
        .value_kind:     hidden_global_offset_y
      - .offset:         200
        .size:           8
        .value_kind:     hidden_global_offset_z
      - .offset:         208
        .size:           2
        .value_kind:     hidden_grid_dims
    .group_segment_fixed_size: 17472
    .kernarg_segment_align: 8
    .kernarg_segment_size: 400
    .language:       OpenCL C
    .language_version:
      - 2
      - 0
    .max_flat_workgroup_size: 256
    .name:           _Z39paged_attention_ll4mi_QKV_mfma16_kernelIDF16_DF16_LN4vllm18Fp8KVCacheDataTypeE0EDF16_Li32ELi128ELi256ELb0ELi12EL8MFMAType0EEvPKT_PKT0_S8_ifPKiSA_SA_iPKfiiiPfSD_PS3_PT2_iSC_SC_
    .private_segment_fixed_size: 0
    .sgpr_count:     40
    .sgpr_spill_count: 0
    .symbol:         _Z39paged_attention_ll4mi_QKV_mfma16_kernelIDF16_DF16_LN4vllm18Fp8KVCacheDataTypeE0EDF16_Li32ELi128ELi256ELb0ELi12EL8MFMAType0EEvPKT_PKT0_S8_ifPKiSA_SA_iPKfiiiPfSD_PS3_PT2_iSC_SC_.kd
    .uniform_work_group_size: 1
    .uses_dynamic_stack: false
    .vgpr_count:     172
    .vgpr_spill_count: 0
    .wavefront_size: 32
    .workgroup_processor_mode: 1
  - .args:
      - .actual_access:  read_only
        .address_space:  global
        .offset:         0
        .size:           8
        .value_kind:     global_buffer
      - .actual_access:  read_only
        .address_space:  global
        .offset:         8
        .size:           8
        .value_kind:     global_buffer
      - .actual_access:  read_only
        .address_space:  global
        .offset:         16
        .size:           8
        .value_kind:     global_buffer
      - .offset:         24
        .size:           4
        .value_kind:     by_value
      - .offset:         28
        .size:           4
        .value_kind:     by_value
      - .actual_access:  read_only
        .address_space:  global
        .offset:         32
        .size:           8
        .value_kind:     global_buffer
      - .actual_access:  read_only
        .address_space:  global
        .offset:         40
        .size:           8
        .value_kind:     global_buffer
      - .actual_access:  read_only
        .address_space:  global
        .offset:         48
        .size:           8
        .value_kind:     global_buffer
      - .offset:         56
        .size:           4
        .value_kind:     by_value
      - .actual_access:  read_only
        .address_space:  global
        .offset:         64
        .size:           8
        .value_kind:     global_buffer
      - .offset:         72
        .size:           4
        .value_kind:     by_value
      - .offset:         76
        .size:           4
        .value_kind:     by_value
      - .offset:         80
        .size:           4
        .value_kind:     by_value
      - .actual_access:  write_only
        .address_space:  global
        .offset:         88
        .size:           8
        .value_kind:     global_buffer
      - .actual_access:  write_only
        .address_space:  global
        .offset:         96
        .size:           8
        .value_kind:     global_buffer
      - .actual_access:  write_only
        .address_space:  global
        .offset:         104
        .size:           8
        .value_kind:     global_buffer
      - .actual_access:  read_only
        .address_space:  global
        .offset:         112
        .size:           8
        .value_kind:     global_buffer
      - .offset:         120
        .size:           4
        .value_kind:     by_value
      - .address_space:  global
        .offset:         128
        .size:           8
        .value_kind:     global_buffer
      - .address_space:  global
        .offset:         136
        .size:           8
        .value_kind:     global_buffer
      - .offset:         144
        .size:           4
        .value_kind:     hidden_block_count_x
      - .offset:         148
        .size:           4
        .value_kind:     hidden_block_count_y
      - .offset:         152
        .size:           4
        .value_kind:     hidden_block_count_z
      - .offset:         156
        .size:           2
        .value_kind:     hidden_group_size_x
      - .offset:         158
        .size:           2
        .value_kind:     hidden_group_size_y
      - .offset:         160
        .size:           2
        .value_kind:     hidden_group_size_z
      - .offset:         162
        .size:           2
        .value_kind:     hidden_remainder_x
      - .offset:         164
        .size:           2
        .value_kind:     hidden_remainder_y
      - .offset:         166
        .size:           2
        .value_kind:     hidden_remainder_z
      - .offset:         184
        .size:           8
        .value_kind:     hidden_global_offset_x
      - .offset:         192
        .size:           8
        .value_kind:     hidden_global_offset_y
      - .offset:         200
        .size:           8
        .value_kind:     hidden_global_offset_z
      - .offset:         208
        .size:           2
        .value_kind:     hidden_grid_dims
    .group_segment_fixed_size: 17472
    .kernarg_segment_align: 8
    .kernarg_segment_size: 400
    .language:       OpenCL C
    .language_version:
      - 2
      - 0
    .max_flat_workgroup_size: 256
    .name:           _Z39paged_attention_ll4mi_QKV_mfma16_kernelIDF16_DF16_LN4vllm18Fp8KVCacheDataTypeE0EDF16_Li32ELi128ELi256ELb0ELi13EL8MFMAType0EEvPKT_PKT0_S8_ifPKiSA_SA_iPKfiiiPfSD_PS3_PT2_iSC_SC_
    .private_segment_fixed_size: 0
    .sgpr_count:     41
    .sgpr_spill_count: 0
    .symbol:         _Z39paged_attention_ll4mi_QKV_mfma16_kernelIDF16_DF16_LN4vllm18Fp8KVCacheDataTypeE0EDF16_Li32ELi128ELi256ELb0ELi13EL8MFMAType0EEvPKT_PKT0_S8_ifPKiSA_SA_iPKfiiiPfSD_PS3_PT2_iSC_SC_.kd
    .uniform_work_group_size: 1
    .uses_dynamic_stack: false
    .vgpr_count:     172
    .vgpr_spill_count: 0
    .wavefront_size: 32
    .workgroup_processor_mode: 1
  - .args:
      - .actual_access:  read_only
        .address_space:  global
        .offset:         0
        .size:           8
        .value_kind:     global_buffer
      - .actual_access:  read_only
        .address_space:  global
        .offset:         8
        .size:           8
        .value_kind:     global_buffer
      - .actual_access:  read_only
        .address_space:  global
        .offset:         16
        .size:           8
        .value_kind:     global_buffer
      - .offset:         24
        .size:           4
        .value_kind:     by_value
      - .offset:         28
        .size:           4
        .value_kind:     by_value
      - .actual_access:  read_only
        .address_space:  global
        .offset:         32
        .size:           8
        .value_kind:     global_buffer
      - .actual_access:  read_only
        .address_space:  global
        .offset:         40
        .size:           8
        .value_kind:     global_buffer
      - .actual_access:  read_only
        .address_space:  global
        .offset:         48
        .size:           8
        .value_kind:     global_buffer
      - .offset:         56
        .size:           4
        .value_kind:     by_value
      - .actual_access:  read_only
        .address_space:  global
        .offset:         64
        .size:           8
        .value_kind:     global_buffer
      - .offset:         72
        .size:           4
        .value_kind:     by_value
      - .offset:         76
        .size:           4
        .value_kind:     by_value
      - .offset:         80
        .size:           4
        .value_kind:     by_value
      - .actual_access:  write_only
        .address_space:  global
        .offset:         88
        .size:           8
        .value_kind:     global_buffer
      - .actual_access:  write_only
        .address_space:  global
        .offset:         96
        .size:           8
        .value_kind:     global_buffer
      - .actual_access:  write_only
        .address_space:  global
        .offset:         104
        .size:           8
        .value_kind:     global_buffer
      - .actual_access:  read_only
        .address_space:  global
        .offset:         112
        .size:           8
        .value_kind:     global_buffer
      - .offset:         120
        .size:           4
        .value_kind:     by_value
      - .address_space:  global
        .offset:         128
        .size:           8
        .value_kind:     global_buffer
      - .address_space:  global
        .offset:         136
        .size:           8
        .value_kind:     global_buffer
      - .offset:         144
        .size:           4
        .value_kind:     hidden_block_count_x
      - .offset:         148
        .size:           4
        .value_kind:     hidden_block_count_y
      - .offset:         152
        .size:           4
        .value_kind:     hidden_block_count_z
      - .offset:         156
        .size:           2
        .value_kind:     hidden_group_size_x
      - .offset:         158
        .size:           2
        .value_kind:     hidden_group_size_y
      - .offset:         160
        .size:           2
        .value_kind:     hidden_group_size_z
      - .offset:         162
        .size:           2
        .value_kind:     hidden_remainder_x
      - .offset:         164
        .size:           2
        .value_kind:     hidden_remainder_y
      - .offset:         166
        .size:           2
        .value_kind:     hidden_remainder_z
      - .offset:         184
        .size:           8
        .value_kind:     hidden_global_offset_x
      - .offset:         192
        .size:           8
        .value_kind:     hidden_global_offset_y
      - .offset:         200
        .size:           8
        .value_kind:     hidden_global_offset_z
      - .offset:         208
        .size:           2
        .value_kind:     hidden_grid_dims
    .group_segment_fixed_size: 17472
    .kernarg_segment_align: 8
    .kernarg_segment_size: 400
    .language:       OpenCL C
    .language_version:
      - 2
      - 0
    .max_flat_workgroup_size: 256
    .name:           _Z39paged_attention_ll4mi_QKV_mfma16_kernelIDF16_DF16_LN4vllm18Fp8KVCacheDataTypeE0EDF16_Li32ELi128ELi256ELb0ELi14EL8MFMAType0EEvPKT_PKT0_S8_ifPKiSA_SA_iPKfiiiPfSD_PS3_PT2_iSC_SC_
    .private_segment_fixed_size: 0
    .sgpr_count:     40
    .sgpr_spill_count: 0
    .symbol:         _Z39paged_attention_ll4mi_QKV_mfma16_kernelIDF16_DF16_LN4vllm18Fp8KVCacheDataTypeE0EDF16_Li32ELi128ELi256ELb0ELi14EL8MFMAType0EEvPKT_PKT0_S8_ifPKiSA_SA_iPKfiiiPfSD_PS3_PT2_iSC_SC_.kd
    .uniform_work_group_size: 1
    .uses_dynamic_stack: false
    .vgpr_count:     172
    .vgpr_spill_count: 0
    .wavefront_size: 32
    .workgroup_processor_mode: 1
  - .args:
      - .actual_access:  read_only
        .address_space:  global
        .offset:         0
        .size:           8
        .value_kind:     global_buffer
      - .actual_access:  read_only
        .address_space:  global
        .offset:         8
        .size:           8
        .value_kind:     global_buffer
      - .actual_access:  read_only
        .address_space:  global
        .offset:         16
        .size:           8
        .value_kind:     global_buffer
      - .offset:         24
        .size:           4
        .value_kind:     by_value
      - .offset:         28
        .size:           4
        .value_kind:     by_value
      - .actual_access:  read_only
        .address_space:  global
        .offset:         32
        .size:           8
        .value_kind:     global_buffer
      - .actual_access:  read_only
        .address_space:  global
        .offset:         40
        .size:           8
        .value_kind:     global_buffer
      - .actual_access:  read_only
        .address_space:  global
        .offset:         48
        .size:           8
        .value_kind:     global_buffer
      - .offset:         56
        .size:           4
        .value_kind:     by_value
      - .actual_access:  read_only
        .address_space:  global
        .offset:         64
        .size:           8
        .value_kind:     global_buffer
      - .offset:         72
        .size:           4
        .value_kind:     by_value
      - .offset:         76
        .size:           4
        .value_kind:     by_value
      - .offset:         80
        .size:           4
        .value_kind:     by_value
      - .actual_access:  write_only
        .address_space:  global
        .offset:         88
        .size:           8
        .value_kind:     global_buffer
      - .actual_access:  write_only
        .address_space:  global
        .offset:         96
        .size:           8
        .value_kind:     global_buffer
      - .actual_access:  write_only
        .address_space:  global
        .offset:         104
        .size:           8
        .value_kind:     global_buffer
      - .actual_access:  read_only
        .address_space:  global
        .offset:         112
        .size:           8
        .value_kind:     global_buffer
      - .offset:         120
        .size:           4
        .value_kind:     by_value
      - .address_space:  global
        .offset:         128
        .size:           8
        .value_kind:     global_buffer
      - .address_space:  global
        .offset:         136
        .size:           8
        .value_kind:     global_buffer
      - .offset:         144
        .size:           4
        .value_kind:     hidden_block_count_x
      - .offset:         148
        .size:           4
        .value_kind:     hidden_block_count_y
      - .offset:         152
        .size:           4
        .value_kind:     hidden_block_count_z
      - .offset:         156
        .size:           2
        .value_kind:     hidden_group_size_x
      - .offset:         158
        .size:           2
        .value_kind:     hidden_group_size_y
      - .offset:         160
        .size:           2
        .value_kind:     hidden_group_size_z
      - .offset:         162
        .size:           2
        .value_kind:     hidden_remainder_x
      - .offset:         164
        .size:           2
        .value_kind:     hidden_remainder_y
      - .offset:         166
        .size:           2
        .value_kind:     hidden_remainder_z
      - .offset:         184
        .size:           8
        .value_kind:     hidden_global_offset_x
      - .offset:         192
        .size:           8
        .value_kind:     hidden_global_offset_y
      - .offset:         200
        .size:           8
        .value_kind:     hidden_global_offset_z
      - .offset:         208
        .size:           2
        .value_kind:     hidden_grid_dims
    .group_segment_fixed_size: 17472
    .kernarg_segment_align: 8
    .kernarg_segment_size: 400
    .language:       OpenCL C
    .language_version:
      - 2
      - 0
    .max_flat_workgroup_size: 256
    .name:           _Z39paged_attention_ll4mi_QKV_mfma16_kernelIDF16_DF16_LN4vllm18Fp8KVCacheDataTypeE0EDF16_Li32ELi128ELi256ELb0ELi15EL8MFMAType0EEvPKT_PKT0_S8_ifPKiSA_SA_iPKfiiiPfSD_PS3_PT2_iSC_SC_
    .private_segment_fixed_size: 0
    .sgpr_count:     41
    .sgpr_spill_count: 0
    .symbol:         _Z39paged_attention_ll4mi_QKV_mfma16_kernelIDF16_DF16_LN4vllm18Fp8KVCacheDataTypeE0EDF16_Li32ELi128ELi256ELb0ELi15EL8MFMAType0EEvPKT_PKT0_S8_ifPKiSA_SA_iPKfiiiPfSD_PS3_PT2_iSC_SC_.kd
    .uniform_work_group_size: 1
    .uses_dynamic_stack: false
    .vgpr_count:     172
    .vgpr_spill_count: 0
    .wavefront_size: 32
    .workgroup_processor_mode: 1
  - .args:
      - .actual_access:  read_only
        .address_space:  global
        .offset:         0
        .size:           8
        .value_kind:     global_buffer
      - .actual_access:  read_only
        .address_space:  global
        .offset:         8
        .size:           8
        .value_kind:     global_buffer
      - .actual_access:  read_only
        .address_space:  global
        .offset:         16
        .size:           8
        .value_kind:     global_buffer
      - .offset:         24
        .size:           4
        .value_kind:     by_value
      - .offset:         28
        .size:           4
        .value_kind:     by_value
      - .actual_access:  read_only
        .address_space:  global
        .offset:         32
        .size:           8
        .value_kind:     global_buffer
      - .actual_access:  read_only
        .address_space:  global
        .offset:         40
        .size:           8
        .value_kind:     global_buffer
      - .actual_access:  read_only
        .address_space:  global
        .offset:         48
        .size:           8
        .value_kind:     global_buffer
      - .offset:         56
        .size:           4
        .value_kind:     by_value
      - .actual_access:  read_only
        .address_space:  global
        .offset:         64
        .size:           8
        .value_kind:     global_buffer
      - .offset:         72
        .size:           4
        .value_kind:     by_value
      - .offset:         76
        .size:           4
        .value_kind:     by_value
      - .offset:         80
        .size:           4
        .value_kind:     by_value
      - .actual_access:  write_only
        .address_space:  global
        .offset:         88
        .size:           8
        .value_kind:     global_buffer
      - .actual_access:  write_only
        .address_space:  global
        .offset:         96
        .size:           8
        .value_kind:     global_buffer
      - .actual_access:  write_only
        .address_space:  global
        .offset:         104
        .size:           8
        .value_kind:     global_buffer
      - .actual_access:  read_only
        .address_space:  global
        .offset:         112
        .size:           8
        .value_kind:     global_buffer
      - .offset:         120
        .size:           4
        .value_kind:     by_value
      - .address_space:  global
        .offset:         128
        .size:           8
        .value_kind:     global_buffer
      - .address_space:  global
        .offset:         136
        .size:           8
        .value_kind:     global_buffer
      - .offset:         144
        .size:           4
        .value_kind:     hidden_block_count_x
      - .offset:         148
        .size:           4
        .value_kind:     hidden_block_count_y
      - .offset:         152
        .size:           4
        .value_kind:     hidden_block_count_z
      - .offset:         156
        .size:           2
        .value_kind:     hidden_group_size_x
      - .offset:         158
        .size:           2
        .value_kind:     hidden_group_size_y
      - .offset:         160
        .size:           2
        .value_kind:     hidden_group_size_z
      - .offset:         162
        .size:           2
        .value_kind:     hidden_remainder_x
      - .offset:         164
        .size:           2
        .value_kind:     hidden_remainder_y
      - .offset:         166
        .size:           2
        .value_kind:     hidden_remainder_z
      - .offset:         184
        .size:           8
        .value_kind:     hidden_global_offset_x
      - .offset:         192
        .size:           8
        .value_kind:     hidden_global_offset_y
      - .offset:         200
        .size:           8
        .value_kind:     hidden_global_offset_z
      - .offset:         208
        .size:           2
        .value_kind:     hidden_grid_dims
    .group_segment_fixed_size: 17472
    .kernarg_segment_align: 8
    .kernarg_segment_size: 400
    .language:       OpenCL C
    .language_version:
      - 2
      - 0
    .max_flat_workgroup_size: 256
    .name:           _Z39paged_attention_ll4mi_QKV_mfma16_kernelIDF16_DF16_LN4vllm18Fp8KVCacheDataTypeE0EDF16_Li32ELi128ELi256ELb0ELi16EL8MFMAType0EEvPKT_PKT0_S8_ifPKiSA_SA_iPKfiiiPfSD_PS3_PT2_iSC_SC_
    .private_segment_fixed_size: 0
    .sgpr_count:     40
    .sgpr_spill_count: 0
    .symbol:         _Z39paged_attention_ll4mi_QKV_mfma16_kernelIDF16_DF16_LN4vllm18Fp8KVCacheDataTypeE0EDF16_Li32ELi128ELi256ELb0ELi16EL8MFMAType0EEvPKT_PKT0_S8_ifPKiSA_SA_iPKfiiiPfSD_PS3_PT2_iSC_SC_.kd
    .uniform_work_group_size: 1
    .uses_dynamic_stack: false
    .vgpr_count:     171
    .vgpr_spill_count: 0
    .wavefront_size: 32
    .workgroup_processor_mode: 1
  - .args:
      - .actual_access:  read_only
        .address_space:  global
        .offset:         0
        .size:           8
        .value_kind:     global_buffer
      - .actual_access:  read_only
        .address_space:  global
        .offset:         8
        .size:           8
        .value_kind:     global_buffer
      - .actual_access:  read_only
        .address_space:  global
        .offset:         16
        .size:           8
        .value_kind:     global_buffer
      - .offset:         24
        .size:           4
        .value_kind:     by_value
      - .offset:         28
        .size:           4
        .value_kind:     by_value
      - .actual_access:  read_only
        .address_space:  global
        .offset:         32
        .size:           8
        .value_kind:     global_buffer
      - .actual_access:  read_only
        .address_space:  global
        .offset:         40
        .size:           8
        .value_kind:     global_buffer
      - .actual_access:  read_only
        .address_space:  global
        .offset:         48
        .size:           8
        .value_kind:     global_buffer
      - .offset:         56
        .size:           4
        .value_kind:     by_value
      - .actual_access:  read_only
        .address_space:  global
        .offset:         64
        .size:           8
        .value_kind:     global_buffer
      - .offset:         72
        .size:           4
        .value_kind:     by_value
      - .offset:         76
        .size:           4
        .value_kind:     by_value
      - .offset:         80
        .size:           4
        .value_kind:     by_value
      - .actual_access:  write_only
        .address_space:  global
        .offset:         88
        .size:           8
        .value_kind:     global_buffer
      - .actual_access:  write_only
        .address_space:  global
        .offset:         96
        .size:           8
        .value_kind:     global_buffer
      - .actual_access:  write_only
        .address_space:  global
        .offset:         104
        .size:           8
        .value_kind:     global_buffer
      - .actual_access:  read_only
        .address_space:  global
        .offset:         112
        .size:           8
        .value_kind:     global_buffer
      - .offset:         120
        .size:           4
        .value_kind:     by_value
      - .address_space:  global
        .offset:         128
        .size:           8
        .value_kind:     global_buffer
      - .address_space:  global
        .offset:         136
        .size:           8
        .value_kind:     global_buffer
      - .offset:         144
        .size:           4
        .value_kind:     hidden_block_count_x
      - .offset:         148
        .size:           4
        .value_kind:     hidden_block_count_y
      - .offset:         152
        .size:           4
        .value_kind:     hidden_block_count_z
      - .offset:         156
        .size:           2
        .value_kind:     hidden_group_size_x
      - .offset:         158
        .size:           2
        .value_kind:     hidden_group_size_y
      - .offset:         160
        .size:           2
        .value_kind:     hidden_group_size_z
      - .offset:         162
        .size:           2
        .value_kind:     hidden_remainder_x
      - .offset:         164
        .size:           2
        .value_kind:     hidden_remainder_y
      - .offset:         166
        .size:           2
        .value_kind:     hidden_remainder_z
      - .offset:         184
        .size:           8
        .value_kind:     hidden_global_offset_x
      - .offset:         192
        .size:           8
        .value_kind:     hidden_global_offset_y
      - .offset:         200
        .size:           8
        .value_kind:     hidden_global_offset_z
      - .offset:         208
        .size:           2
        .value_kind:     hidden_grid_dims
    .group_segment_fixed_size: 17472
    .kernarg_segment_align: 8
    .kernarg_segment_size: 400
    .language:       OpenCL C
    .language_version:
      - 2
      - 0
    .max_flat_workgroup_size: 256
    .name:           _Z39paged_attention_ll4mi_QKV_mfma16_kernelIDF16_DF16_LN4vllm18Fp8KVCacheDataTypeE0EDF16_Li32ELi128ELi256ELb0ELi1EL8MFMAType0EEvPKT_PKT0_S8_ifPKiSA_SA_iPKfiiiPfSD_PS3_PT2_iSC_SC_
    .private_segment_fixed_size: 0
    .sgpr_count:     98
    .sgpr_spill_count: 0
    .symbol:         _Z39paged_attention_ll4mi_QKV_mfma16_kernelIDF16_DF16_LN4vllm18Fp8KVCacheDataTypeE0EDF16_Li32ELi128ELi256ELb0ELi1EL8MFMAType0EEvPKT_PKT0_S8_ifPKiSA_SA_iPKfiiiPfSD_PS3_PT2_iSC_SC_.kd
    .uniform_work_group_size: 1
    .uses_dynamic_stack: false
    .vgpr_count:     165
    .vgpr_spill_count: 0
    .wavefront_size: 32
    .workgroup_processor_mode: 1
  - .args:
      - .actual_access:  read_only
        .address_space:  global
        .offset:         0
        .size:           8
        .value_kind:     global_buffer
      - .actual_access:  read_only
        .address_space:  global
        .offset:         8
        .size:           8
        .value_kind:     global_buffer
      - .actual_access:  read_only
        .address_space:  global
        .offset:         16
        .size:           8
        .value_kind:     global_buffer
      - .offset:         24
        .size:           4
        .value_kind:     by_value
      - .offset:         28
        .size:           4
        .value_kind:     by_value
      - .actual_access:  read_only
        .address_space:  global
        .offset:         32
        .size:           8
        .value_kind:     global_buffer
      - .actual_access:  read_only
        .address_space:  global
        .offset:         40
        .size:           8
        .value_kind:     global_buffer
      - .actual_access:  read_only
        .address_space:  global
        .offset:         48
        .size:           8
        .value_kind:     global_buffer
      - .offset:         56
        .size:           4
        .value_kind:     by_value
      - .actual_access:  read_only
        .address_space:  global
        .offset:         64
        .size:           8
        .value_kind:     global_buffer
      - .offset:         72
        .size:           4
        .value_kind:     by_value
      - .offset:         76
        .size:           4
        .value_kind:     by_value
      - .offset:         80
        .size:           4
        .value_kind:     by_value
      - .actual_access:  write_only
        .address_space:  global
        .offset:         88
        .size:           8
        .value_kind:     global_buffer
      - .actual_access:  write_only
        .address_space:  global
        .offset:         96
        .size:           8
        .value_kind:     global_buffer
      - .actual_access:  write_only
        .address_space:  global
        .offset:         104
        .size:           8
        .value_kind:     global_buffer
      - .actual_access:  read_only
        .address_space:  global
        .offset:         112
        .size:           8
        .value_kind:     global_buffer
      - .offset:         120
        .size:           4
        .value_kind:     by_value
      - .address_space:  global
        .offset:         128
        .size:           8
        .value_kind:     global_buffer
      - .address_space:  global
        .offset:         136
        .size:           8
        .value_kind:     global_buffer
      - .offset:         144
        .size:           4
        .value_kind:     hidden_block_count_x
      - .offset:         148
        .size:           4
        .value_kind:     hidden_block_count_y
      - .offset:         152
        .size:           4
        .value_kind:     hidden_block_count_z
      - .offset:         156
        .size:           2
        .value_kind:     hidden_group_size_x
      - .offset:         158
        .size:           2
        .value_kind:     hidden_group_size_y
      - .offset:         160
        .size:           2
        .value_kind:     hidden_group_size_z
      - .offset:         162
        .size:           2
        .value_kind:     hidden_remainder_x
      - .offset:         164
        .size:           2
        .value_kind:     hidden_remainder_y
      - .offset:         166
        .size:           2
        .value_kind:     hidden_remainder_z
      - .offset:         184
        .size:           8
        .value_kind:     hidden_global_offset_x
      - .offset:         192
        .size:           8
        .value_kind:     hidden_global_offset_y
      - .offset:         200
        .size:           8
        .value_kind:     hidden_global_offset_z
      - .offset:         208
        .size:           2
        .value_kind:     hidden_grid_dims
    .group_segment_fixed_size: 17472
    .kernarg_segment_align: 8
    .kernarg_segment_size: 400
    .language:       OpenCL C
    .language_version:
      - 2
      - 0
    .max_flat_workgroup_size: 256
    .name:           _Z39paged_attention_ll4mi_QKV_mfma16_kernelIDF16_DF16_LN4vllm18Fp8KVCacheDataTypeE0EDF16_Li32ELi128ELi256ELb0ELi2EL8MFMAType0EEvPKT_PKT0_S8_ifPKiSA_SA_iPKfiiiPfSD_PS3_PT2_iSC_SC_
    .private_segment_fixed_size: 0
    .sgpr_count:     41
    .sgpr_spill_count: 0
    .symbol:         _Z39paged_attention_ll4mi_QKV_mfma16_kernelIDF16_DF16_LN4vllm18Fp8KVCacheDataTypeE0EDF16_Li32ELi128ELi256ELb0ELi2EL8MFMAType0EEvPKT_PKT0_S8_ifPKiSA_SA_iPKfiiiPfSD_PS3_PT2_iSC_SC_.kd
    .uniform_work_group_size: 1
    .uses_dynamic_stack: false
    .vgpr_count:     174
    .vgpr_spill_count: 0
    .wavefront_size: 32
    .workgroup_processor_mode: 1
  - .args:
      - .actual_access:  read_only
        .address_space:  global
        .offset:         0
        .size:           8
        .value_kind:     global_buffer
      - .actual_access:  read_only
        .address_space:  global
        .offset:         8
        .size:           8
        .value_kind:     global_buffer
      - .actual_access:  read_only
        .address_space:  global
        .offset:         16
        .size:           8
        .value_kind:     global_buffer
      - .offset:         24
        .size:           4
        .value_kind:     by_value
      - .offset:         28
        .size:           4
        .value_kind:     by_value
      - .actual_access:  read_only
        .address_space:  global
        .offset:         32
        .size:           8
        .value_kind:     global_buffer
      - .actual_access:  read_only
        .address_space:  global
        .offset:         40
        .size:           8
        .value_kind:     global_buffer
      - .actual_access:  read_only
        .address_space:  global
        .offset:         48
        .size:           8
        .value_kind:     global_buffer
      - .offset:         56
        .size:           4
        .value_kind:     by_value
      - .actual_access:  read_only
        .address_space:  global
        .offset:         64
        .size:           8
        .value_kind:     global_buffer
      - .offset:         72
        .size:           4
        .value_kind:     by_value
      - .offset:         76
        .size:           4
        .value_kind:     by_value
      - .offset:         80
        .size:           4
        .value_kind:     by_value
      - .actual_access:  write_only
        .address_space:  global
        .offset:         88
        .size:           8
        .value_kind:     global_buffer
      - .actual_access:  write_only
        .address_space:  global
        .offset:         96
        .size:           8
        .value_kind:     global_buffer
      - .actual_access:  write_only
        .address_space:  global
        .offset:         104
        .size:           8
        .value_kind:     global_buffer
      - .actual_access:  read_only
        .address_space:  global
        .offset:         112
        .size:           8
        .value_kind:     global_buffer
      - .offset:         120
        .size:           4
        .value_kind:     by_value
      - .address_space:  global
        .offset:         128
        .size:           8
        .value_kind:     global_buffer
      - .address_space:  global
        .offset:         136
        .size:           8
        .value_kind:     global_buffer
      - .offset:         144
        .size:           4
        .value_kind:     hidden_block_count_x
      - .offset:         148
        .size:           4
        .value_kind:     hidden_block_count_y
      - .offset:         152
        .size:           4
        .value_kind:     hidden_block_count_z
      - .offset:         156
        .size:           2
        .value_kind:     hidden_group_size_x
      - .offset:         158
        .size:           2
        .value_kind:     hidden_group_size_y
      - .offset:         160
        .size:           2
        .value_kind:     hidden_group_size_z
      - .offset:         162
        .size:           2
        .value_kind:     hidden_remainder_x
      - .offset:         164
        .size:           2
        .value_kind:     hidden_remainder_y
      - .offset:         166
        .size:           2
        .value_kind:     hidden_remainder_z
      - .offset:         184
        .size:           8
        .value_kind:     hidden_global_offset_x
      - .offset:         192
        .size:           8
        .value_kind:     hidden_global_offset_y
      - .offset:         200
        .size:           8
        .value_kind:     hidden_global_offset_z
      - .offset:         208
        .size:           2
        .value_kind:     hidden_grid_dims
    .group_segment_fixed_size: 17472
    .kernarg_segment_align: 8
    .kernarg_segment_size: 400
    .language:       OpenCL C
    .language_version:
      - 2
      - 0
    .max_flat_workgroup_size: 256
    .name:           _Z39paged_attention_ll4mi_QKV_mfma16_kernelIDF16_DF16_LN4vllm18Fp8KVCacheDataTypeE0EDF16_Li32ELi128ELi256ELb0ELi3EL8MFMAType0EEvPKT_PKT0_S8_ifPKiSA_SA_iPKfiiiPfSD_PS3_PT2_iSC_SC_
    .private_segment_fixed_size: 0
    .sgpr_count:     41
    .sgpr_spill_count: 0
    .symbol:         _Z39paged_attention_ll4mi_QKV_mfma16_kernelIDF16_DF16_LN4vllm18Fp8KVCacheDataTypeE0EDF16_Li32ELi128ELi256ELb0ELi3EL8MFMAType0EEvPKT_PKT0_S8_ifPKiSA_SA_iPKfiiiPfSD_PS3_PT2_iSC_SC_.kd
    .uniform_work_group_size: 1
    .uses_dynamic_stack: false
    .vgpr_count:     172
    .vgpr_spill_count: 0
    .wavefront_size: 32
    .workgroup_processor_mode: 1
  - .args:
      - .actual_access:  read_only
        .address_space:  global
        .offset:         0
        .size:           8
        .value_kind:     global_buffer
      - .actual_access:  read_only
        .address_space:  global
        .offset:         8
        .size:           8
        .value_kind:     global_buffer
      - .actual_access:  read_only
        .address_space:  global
        .offset:         16
        .size:           8
        .value_kind:     global_buffer
      - .offset:         24
        .size:           4
        .value_kind:     by_value
      - .offset:         28
        .size:           4
        .value_kind:     by_value
      - .actual_access:  read_only
        .address_space:  global
        .offset:         32
        .size:           8
        .value_kind:     global_buffer
      - .actual_access:  read_only
        .address_space:  global
        .offset:         40
        .size:           8
        .value_kind:     global_buffer
      - .actual_access:  read_only
        .address_space:  global
        .offset:         48
        .size:           8
        .value_kind:     global_buffer
      - .offset:         56
        .size:           4
        .value_kind:     by_value
      - .actual_access:  read_only
        .address_space:  global
        .offset:         64
        .size:           8
        .value_kind:     global_buffer
      - .offset:         72
        .size:           4
        .value_kind:     by_value
      - .offset:         76
        .size:           4
        .value_kind:     by_value
      - .offset:         80
        .size:           4
        .value_kind:     by_value
      - .actual_access:  write_only
        .address_space:  global
        .offset:         88
        .size:           8
        .value_kind:     global_buffer
      - .actual_access:  write_only
        .address_space:  global
        .offset:         96
        .size:           8
        .value_kind:     global_buffer
      - .actual_access:  write_only
        .address_space:  global
        .offset:         104
        .size:           8
        .value_kind:     global_buffer
      - .actual_access:  read_only
        .address_space:  global
        .offset:         112
        .size:           8
        .value_kind:     global_buffer
      - .offset:         120
        .size:           4
        .value_kind:     by_value
      - .address_space:  global
        .offset:         128
        .size:           8
        .value_kind:     global_buffer
      - .address_space:  global
        .offset:         136
        .size:           8
        .value_kind:     global_buffer
      - .offset:         144
        .size:           4
        .value_kind:     hidden_block_count_x
      - .offset:         148
        .size:           4
        .value_kind:     hidden_block_count_y
      - .offset:         152
        .size:           4
        .value_kind:     hidden_block_count_z
      - .offset:         156
        .size:           2
        .value_kind:     hidden_group_size_x
      - .offset:         158
        .size:           2
        .value_kind:     hidden_group_size_y
      - .offset:         160
        .size:           2
        .value_kind:     hidden_group_size_z
      - .offset:         162
        .size:           2
        .value_kind:     hidden_remainder_x
      - .offset:         164
        .size:           2
        .value_kind:     hidden_remainder_y
      - .offset:         166
        .size:           2
        .value_kind:     hidden_remainder_z
      - .offset:         184
        .size:           8
        .value_kind:     hidden_global_offset_x
      - .offset:         192
        .size:           8
        .value_kind:     hidden_global_offset_y
      - .offset:         200
        .size:           8
        .value_kind:     hidden_global_offset_z
      - .offset:         208
        .size:           2
        .value_kind:     hidden_grid_dims
    .group_segment_fixed_size: 17472
    .kernarg_segment_align: 8
    .kernarg_segment_size: 400
    .language:       OpenCL C
    .language_version:
      - 2
      - 0
    .max_flat_workgroup_size: 256
    .name:           _Z39paged_attention_ll4mi_QKV_mfma16_kernelIDF16_DF16_LN4vllm18Fp8KVCacheDataTypeE0EDF16_Li32ELi128ELi256ELb0ELi4EL8MFMAType0EEvPKT_PKT0_S8_ifPKiSA_SA_iPKfiiiPfSD_PS3_PT2_iSC_SC_
    .private_segment_fixed_size: 0
    .sgpr_count:     40
    .sgpr_spill_count: 0
    .symbol:         _Z39paged_attention_ll4mi_QKV_mfma16_kernelIDF16_DF16_LN4vllm18Fp8KVCacheDataTypeE0EDF16_Li32ELi128ELi256ELb0ELi4EL8MFMAType0EEvPKT_PKT0_S8_ifPKiSA_SA_iPKfiiiPfSD_PS3_PT2_iSC_SC_.kd
    .uniform_work_group_size: 1
    .uses_dynamic_stack: false
    .vgpr_count:     172
    .vgpr_spill_count: 0
    .wavefront_size: 32
    .workgroup_processor_mode: 1
  - .args:
      - .actual_access:  read_only
        .address_space:  global
        .offset:         0
        .size:           8
        .value_kind:     global_buffer
      - .actual_access:  read_only
        .address_space:  global
        .offset:         8
        .size:           8
        .value_kind:     global_buffer
      - .actual_access:  read_only
        .address_space:  global
        .offset:         16
        .size:           8
        .value_kind:     global_buffer
      - .offset:         24
        .size:           4
        .value_kind:     by_value
      - .offset:         28
        .size:           4
        .value_kind:     by_value
      - .actual_access:  read_only
        .address_space:  global
        .offset:         32
        .size:           8
        .value_kind:     global_buffer
      - .actual_access:  read_only
        .address_space:  global
        .offset:         40
        .size:           8
        .value_kind:     global_buffer
      - .actual_access:  read_only
        .address_space:  global
        .offset:         48
        .size:           8
        .value_kind:     global_buffer
      - .offset:         56
        .size:           4
        .value_kind:     by_value
      - .actual_access:  read_only
        .address_space:  global
        .offset:         64
        .size:           8
        .value_kind:     global_buffer
      - .offset:         72
        .size:           4
        .value_kind:     by_value
      - .offset:         76
        .size:           4
        .value_kind:     by_value
      - .offset:         80
        .size:           4
        .value_kind:     by_value
      - .actual_access:  read_only
        .address_space:  global
        .offset:         88
        .size:           8
        .value_kind:     global_buffer
      - .actual_access:  read_only
        .address_space:  global
        .offset:         96
        .size:           8
        .value_kind:     global_buffer
      - .actual_access:  read_only
        .address_space:  global
        .offset:         104
        .size:           8
        .value_kind:     global_buffer
      - .actual_access:  read_only
        .address_space:  global
        .offset:         112
        .size:           8
        .value_kind:     global_buffer
      - .offset:         120
        .size:           4
        .value_kind:     by_value
      - .address_space:  global
        .offset:         128
        .size:           8
        .value_kind:     global_buffer
      - .address_space:  global
        .offset:         136
        .size:           8
        .value_kind:     global_buffer
      - .offset:         144
        .size:           4
        .value_kind:     hidden_block_count_x
      - .offset:         148
        .size:           4
        .value_kind:     hidden_block_count_y
      - .offset:         152
        .size:           4
        .value_kind:     hidden_block_count_z
      - .offset:         156
        .size:           2
        .value_kind:     hidden_group_size_x
      - .offset:         158
        .size:           2
        .value_kind:     hidden_group_size_y
      - .offset:         160
        .size:           2
        .value_kind:     hidden_group_size_z
      - .offset:         162
        .size:           2
        .value_kind:     hidden_remainder_x
      - .offset:         164
        .size:           2
        .value_kind:     hidden_remainder_y
      - .offset:         166
        .size:           2
        .value_kind:     hidden_remainder_z
      - .offset:         184
        .size:           8
        .value_kind:     hidden_global_offset_x
      - .offset:         192
        .size:           8
        .value_kind:     hidden_global_offset_y
      - .offset:         200
        .size:           8
        .value_kind:     hidden_global_offset_z
      - .offset:         208
        .size:           2
        .value_kind:     hidden_grid_dims
      - .offset:         224
        .size:           8
        .value_kind:     hidden_hostcall_buffer
    .group_segment_fixed_size: 0
    .kernarg_segment_align: 8
    .kernarg_segment_size: 400
    .language:       OpenCL C
    .language_version:
      - 2
      - 0
    .max_flat_workgroup_size: 256
    .name:           _Z38paged_attention_ll4mi_QKV_mfma4_kernelI14__hip_bfloat16S0_LN4vllm18Fp8KVCacheDataTypeE0EhLi16ELi64ELi256ELb1ELi1EEvPKT_PKT0_S8_ifPKiSA_SA_iPKfiiiPfSD_PS3_PT2_iSC_SC_
    .private_segment_fixed_size: 64
    .sgpr_count:     36
    .sgpr_spill_count: 0
    .symbol:         _Z38paged_attention_ll4mi_QKV_mfma4_kernelI14__hip_bfloat16S0_LN4vllm18Fp8KVCacheDataTypeE0EhLi16ELi64ELi256ELb1ELi1EEvPKT_PKT0_S8_ifPKiSA_SA_iPKfiiiPfSD_PS3_PT2_iSC_SC_.kd
    .uniform_work_group_size: 1
    .uses_dynamic_stack: false
    .vgpr_count:     41
    .vgpr_spill_count: 0
    .wavefront_size: 32
    .workgroup_processor_mode: 1
  - .args:
      - .actual_access:  read_only
        .address_space:  global
        .offset:         0
        .size:           8
        .value_kind:     global_buffer
      - .actual_access:  read_only
        .address_space:  global
        .offset:         8
        .size:           8
        .value_kind:     global_buffer
      - .actual_access:  read_only
        .address_space:  global
        .offset:         16
        .size:           8
        .value_kind:     global_buffer
      - .offset:         24
        .size:           4
        .value_kind:     by_value
      - .offset:         28
        .size:           4
        .value_kind:     by_value
      - .actual_access:  read_only
        .address_space:  global
        .offset:         32
        .size:           8
        .value_kind:     global_buffer
      - .actual_access:  read_only
        .address_space:  global
        .offset:         40
        .size:           8
        .value_kind:     global_buffer
      - .actual_access:  read_only
        .address_space:  global
        .offset:         48
        .size:           8
        .value_kind:     global_buffer
      - .offset:         56
        .size:           4
        .value_kind:     by_value
      - .actual_access:  read_only
        .address_space:  global
        .offset:         64
        .size:           8
        .value_kind:     global_buffer
      - .offset:         72
        .size:           4
        .value_kind:     by_value
      - .offset:         76
        .size:           4
        .value_kind:     by_value
      - .offset:         80
        .size:           4
        .value_kind:     by_value
      - .actual_access:  read_only
        .address_space:  global
        .offset:         88
        .size:           8
        .value_kind:     global_buffer
      - .actual_access:  read_only
        .address_space:  global
        .offset:         96
        .size:           8
        .value_kind:     global_buffer
      - .actual_access:  read_only
        .address_space:  global
        .offset:         104
        .size:           8
        .value_kind:     global_buffer
      - .actual_access:  read_only
        .address_space:  global
        .offset:         112
        .size:           8
        .value_kind:     global_buffer
      - .offset:         120
        .size:           4
        .value_kind:     by_value
      - .address_space:  global
        .offset:         128
        .size:           8
        .value_kind:     global_buffer
      - .address_space:  global
        .offset:         136
        .size:           8
        .value_kind:     global_buffer
      - .offset:         144
        .size:           4
        .value_kind:     hidden_block_count_x
      - .offset:         148
        .size:           4
        .value_kind:     hidden_block_count_y
      - .offset:         152
        .size:           4
        .value_kind:     hidden_block_count_z
      - .offset:         156
        .size:           2
        .value_kind:     hidden_group_size_x
      - .offset:         158
        .size:           2
        .value_kind:     hidden_group_size_y
      - .offset:         160
        .size:           2
        .value_kind:     hidden_group_size_z
      - .offset:         162
        .size:           2
        .value_kind:     hidden_remainder_x
      - .offset:         164
        .size:           2
        .value_kind:     hidden_remainder_y
      - .offset:         166
        .size:           2
        .value_kind:     hidden_remainder_z
      - .offset:         184
        .size:           8
        .value_kind:     hidden_global_offset_x
      - .offset:         192
        .size:           8
        .value_kind:     hidden_global_offset_y
      - .offset:         200
        .size:           8
        .value_kind:     hidden_global_offset_z
      - .offset:         208
        .size:           2
        .value_kind:     hidden_grid_dims
      - .offset:         224
        .size:           8
        .value_kind:     hidden_hostcall_buffer
    .group_segment_fixed_size: 0
    .kernarg_segment_align: 8
    .kernarg_segment_size: 400
    .language:       OpenCL C
    .language_version:
      - 2
      - 0
    .max_flat_workgroup_size: 256
    .name:           _Z38paged_attention_ll4mi_QKV_mfma4_kernelI14__hip_bfloat16S0_LN4vllm18Fp8KVCacheDataTypeE0EhLi16ELi64ELi256ELb1ELi2EEvPKT_PKT0_S8_ifPKiSA_SA_iPKfiiiPfSD_PS3_PT2_iSC_SC_
    .private_segment_fixed_size: 64
    .sgpr_count:     36
    .sgpr_spill_count: 0
    .symbol:         _Z38paged_attention_ll4mi_QKV_mfma4_kernelI14__hip_bfloat16S0_LN4vllm18Fp8KVCacheDataTypeE0EhLi16ELi64ELi256ELb1ELi2EEvPKT_PKT0_S8_ifPKiSA_SA_iPKfiiiPfSD_PS3_PT2_iSC_SC_.kd
    .uniform_work_group_size: 1
    .uses_dynamic_stack: false
    .vgpr_count:     41
    .vgpr_spill_count: 0
    .wavefront_size: 32
    .workgroup_processor_mode: 1
  - .args:
      - .actual_access:  read_only
        .address_space:  global
        .offset:         0
        .size:           8
        .value_kind:     global_buffer
      - .actual_access:  read_only
        .address_space:  global
        .offset:         8
        .size:           8
        .value_kind:     global_buffer
      - .actual_access:  read_only
        .address_space:  global
        .offset:         16
        .size:           8
        .value_kind:     global_buffer
      - .offset:         24
        .size:           4
        .value_kind:     by_value
      - .offset:         28
        .size:           4
        .value_kind:     by_value
      - .actual_access:  read_only
        .address_space:  global
        .offset:         32
        .size:           8
        .value_kind:     global_buffer
      - .actual_access:  read_only
        .address_space:  global
        .offset:         40
        .size:           8
        .value_kind:     global_buffer
      - .actual_access:  read_only
        .address_space:  global
        .offset:         48
        .size:           8
        .value_kind:     global_buffer
      - .offset:         56
        .size:           4
        .value_kind:     by_value
      - .actual_access:  read_only
        .address_space:  global
        .offset:         64
        .size:           8
        .value_kind:     global_buffer
      - .offset:         72
        .size:           4
        .value_kind:     by_value
      - .offset:         76
        .size:           4
        .value_kind:     by_value
      - .offset:         80
        .size:           4
        .value_kind:     by_value
      - .actual_access:  read_only
        .address_space:  global
        .offset:         88
        .size:           8
        .value_kind:     global_buffer
      - .actual_access:  read_only
        .address_space:  global
        .offset:         96
        .size:           8
        .value_kind:     global_buffer
      - .actual_access:  read_only
        .address_space:  global
        .offset:         104
        .size:           8
        .value_kind:     global_buffer
      - .actual_access:  read_only
        .address_space:  global
        .offset:         112
        .size:           8
        .value_kind:     global_buffer
      - .offset:         120
        .size:           4
        .value_kind:     by_value
      - .address_space:  global
        .offset:         128
        .size:           8
        .value_kind:     global_buffer
      - .address_space:  global
        .offset:         136
        .size:           8
        .value_kind:     global_buffer
      - .offset:         144
        .size:           4
        .value_kind:     hidden_block_count_x
      - .offset:         148
        .size:           4
        .value_kind:     hidden_block_count_y
      - .offset:         152
        .size:           4
        .value_kind:     hidden_block_count_z
      - .offset:         156
        .size:           2
        .value_kind:     hidden_group_size_x
      - .offset:         158
        .size:           2
        .value_kind:     hidden_group_size_y
      - .offset:         160
        .size:           2
        .value_kind:     hidden_group_size_z
      - .offset:         162
        .size:           2
        .value_kind:     hidden_remainder_x
      - .offset:         164
        .size:           2
        .value_kind:     hidden_remainder_y
      - .offset:         166
        .size:           2
        .value_kind:     hidden_remainder_z
      - .offset:         184
        .size:           8
        .value_kind:     hidden_global_offset_x
      - .offset:         192
        .size:           8
        .value_kind:     hidden_global_offset_y
      - .offset:         200
        .size:           8
        .value_kind:     hidden_global_offset_z
      - .offset:         208
        .size:           2
        .value_kind:     hidden_grid_dims
      - .offset:         224
        .size:           8
        .value_kind:     hidden_hostcall_buffer
    .group_segment_fixed_size: 0
    .kernarg_segment_align: 8
    .kernarg_segment_size: 400
    .language:       OpenCL C
    .language_version:
      - 2
      - 0
    .max_flat_workgroup_size: 256
    .name:           _Z38paged_attention_ll4mi_QKV_mfma4_kernelI14__hip_bfloat16S0_LN4vllm18Fp8KVCacheDataTypeE0EhLi16ELi64ELi256ELb1ELi3EEvPKT_PKT0_S8_ifPKiSA_SA_iPKfiiiPfSD_PS3_PT2_iSC_SC_
    .private_segment_fixed_size: 64
    .sgpr_count:     36
    .sgpr_spill_count: 0
    .symbol:         _Z38paged_attention_ll4mi_QKV_mfma4_kernelI14__hip_bfloat16S0_LN4vllm18Fp8KVCacheDataTypeE0EhLi16ELi64ELi256ELb1ELi3EEvPKT_PKT0_S8_ifPKiSA_SA_iPKfiiiPfSD_PS3_PT2_iSC_SC_.kd
    .uniform_work_group_size: 1
    .uses_dynamic_stack: false
    .vgpr_count:     41
    .vgpr_spill_count: 0
    .wavefront_size: 32
    .workgroup_processor_mode: 1
  - .args:
      - .actual_access:  read_only
        .address_space:  global
        .offset:         0
        .size:           8
        .value_kind:     global_buffer
      - .actual_access:  read_only
        .address_space:  global
        .offset:         8
        .size:           8
        .value_kind:     global_buffer
      - .actual_access:  read_only
        .address_space:  global
        .offset:         16
        .size:           8
        .value_kind:     global_buffer
      - .offset:         24
        .size:           4
        .value_kind:     by_value
      - .offset:         28
        .size:           4
        .value_kind:     by_value
      - .actual_access:  read_only
        .address_space:  global
        .offset:         32
        .size:           8
        .value_kind:     global_buffer
      - .actual_access:  read_only
        .address_space:  global
        .offset:         40
        .size:           8
        .value_kind:     global_buffer
      - .actual_access:  read_only
        .address_space:  global
        .offset:         48
        .size:           8
        .value_kind:     global_buffer
      - .offset:         56
        .size:           4
        .value_kind:     by_value
      - .actual_access:  read_only
        .address_space:  global
        .offset:         64
        .size:           8
        .value_kind:     global_buffer
      - .offset:         72
        .size:           4
        .value_kind:     by_value
      - .offset:         76
        .size:           4
        .value_kind:     by_value
      - .offset:         80
        .size:           4
        .value_kind:     by_value
      - .actual_access:  read_only
        .address_space:  global
        .offset:         88
        .size:           8
        .value_kind:     global_buffer
      - .actual_access:  read_only
        .address_space:  global
        .offset:         96
        .size:           8
        .value_kind:     global_buffer
      - .actual_access:  read_only
        .address_space:  global
        .offset:         104
        .size:           8
        .value_kind:     global_buffer
      - .actual_access:  read_only
        .address_space:  global
        .offset:         112
        .size:           8
        .value_kind:     global_buffer
      - .offset:         120
        .size:           4
        .value_kind:     by_value
      - .address_space:  global
        .offset:         128
        .size:           8
        .value_kind:     global_buffer
      - .address_space:  global
        .offset:         136
        .size:           8
        .value_kind:     global_buffer
      - .offset:         144
        .size:           4
        .value_kind:     hidden_block_count_x
      - .offset:         148
        .size:           4
        .value_kind:     hidden_block_count_y
      - .offset:         152
        .size:           4
        .value_kind:     hidden_block_count_z
      - .offset:         156
        .size:           2
        .value_kind:     hidden_group_size_x
      - .offset:         158
        .size:           2
        .value_kind:     hidden_group_size_y
      - .offset:         160
        .size:           2
        .value_kind:     hidden_group_size_z
      - .offset:         162
        .size:           2
        .value_kind:     hidden_remainder_x
      - .offset:         164
        .size:           2
        .value_kind:     hidden_remainder_y
      - .offset:         166
        .size:           2
        .value_kind:     hidden_remainder_z
      - .offset:         184
        .size:           8
        .value_kind:     hidden_global_offset_x
      - .offset:         192
        .size:           8
        .value_kind:     hidden_global_offset_y
      - .offset:         200
        .size:           8
        .value_kind:     hidden_global_offset_z
      - .offset:         208
        .size:           2
        .value_kind:     hidden_grid_dims
      - .offset:         224
        .size:           8
        .value_kind:     hidden_hostcall_buffer
    .group_segment_fixed_size: 0
    .kernarg_segment_align: 8
    .kernarg_segment_size: 400
    .language:       OpenCL C
    .language_version:
      - 2
      - 0
    .max_flat_workgroup_size: 256
    .name:           _Z38paged_attention_ll4mi_QKV_mfma4_kernelI14__hip_bfloat16S0_LN4vllm18Fp8KVCacheDataTypeE0EhLi16ELi64ELi256ELb1ELi4EEvPKT_PKT0_S8_ifPKiSA_SA_iPKfiiiPfSD_PS3_PT2_iSC_SC_
    .private_segment_fixed_size: 64
    .sgpr_count:     36
    .sgpr_spill_count: 0
    .symbol:         _Z38paged_attention_ll4mi_QKV_mfma4_kernelI14__hip_bfloat16S0_LN4vllm18Fp8KVCacheDataTypeE0EhLi16ELi64ELi256ELb1ELi4EEvPKT_PKT0_S8_ifPKiSA_SA_iPKfiiiPfSD_PS3_PT2_iSC_SC_.kd
    .uniform_work_group_size: 1
    .uses_dynamic_stack: false
    .vgpr_count:     41
    .vgpr_spill_count: 0
    .wavefront_size: 32
    .workgroup_processor_mode: 1
  - .args:
      - .actual_access:  read_only
        .address_space:  global
        .offset:         0
        .size:           8
        .value_kind:     global_buffer
      - .actual_access:  read_only
        .address_space:  global
        .offset:         8
        .size:           8
        .value_kind:     global_buffer
      - .actual_access:  read_only
        .address_space:  global
        .offset:         16
        .size:           8
        .value_kind:     global_buffer
      - .offset:         24
        .size:           4
        .value_kind:     by_value
      - .offset:         28
        .size:           4
        .value_kind:     by_value
      - .actual_access:  read_only
        .address_space:  global
        .offset:         32
        .size:           8
        .value_kind:     global_buffer
      - .actual_access:  read_only
        .address_space:  global
        .offset:         40
        .size:           8
        .value_kind:     global_buffer
      - .actual_access:  read_only
        .address_space:  global
        .offset:         48
        .size:           8
        .value_kind:     global_buffer
      - .offset:         56
        .size:           4
        .value_kind:     by_value
      - .actual_access:  read_only
        .address_space:  global
        .offset:         64
        .size:           8
        .value_kind:     global_buffer
      - .offset:         72
        .size:           4
        .value_kind:     by_value
      - .offset:         76
        .size:           4
        .value_kind:     by_value
      - .offset:         80
        .size:           4
        .value_kind:     by_value
      - .actual_access:  write_only
        .address_space:  global
        .offset:         88
        .size:           8
        .value_kind:     global_buffer
      - .actual_access:  write_only
        .address_space:  global
        .offset:         96
        .size:           8
        .value_kind:     global_buffer
      - .actual_access:  write_only
        .address_space:  global
        .offset:         104
        .size:           8
        .value_kind:     global_buffer
      - .actual_access:  read_only
        .address_space:  global
        .offset:         112
        .size:           8
        .value_kind:     global_buffer
      - .offset:         120
        .size:           4
        .value_kind:     by_value
      - .address_space:  global
        .offset:         128
        .size:           8
        .value_kind:     global_buffer
      - .address_space:  global
        .offset:         136
        .size:           8
        .value_kind:     global_buffer
      - .offset:         144
        .size:           4
        .value_kind:     hidden_block_count_x
      - .offset:         148
        .size:           4
        .value_kind:     hidden_block_count_y
      - .offset:         152
        .size:           4
        .value_kind:     hidden_block_count_z
      - .offset:         156
        .size:           2
        .value_kind:     hidden_group_size_x
      - .offset:         158
        .size:           2
        .value_kind:     hidden_group_size_y
      - .offset:         160
        .size:           2
        .value_kind:     hidden_group_size_z
      - .offset:         162
        .size:           2
        .value_kind:     hidden_remainder_x
      - .offset:         164
        .size:           2
        .value_kind:     hidden_remainder_y
      - .offset:         166
        .size:           2
        .value_kind:     hidden_remainder_z
      - .offset:         184
        .size:           8
        .value_kind:     hidden_global_offset_x
      - .offset:         192
        .size:           8
        .value_kind:     hidden_global_offset_y
      - .offset:         200
        .size:           8
        .value_kind:     hidden_global_offset_z
      - .offset:         208
        .size:           2
        .value_kind:     hidden_grid_dims
    .group_segment_fixed_size: 17472
    .kernarg_segment_align: 8
    .kernarg_segment_size: 400
    .language:       OpenCL C
    .language_version:
      - 2
      - 0
    .max_flat_workgroup_size: 256
    .name:           _Z39paged_attention_ll4mi_QKV_mfma16_kernelI14__hip_bfloat16S0_LN4vllm18Fp8KVCacheDataTypeE0EhLi16ELi64ELi256ELb1ELi5EL8MFMAType0EEvPKT_PKT0_S9_ifPKiSB_SB_iPKfiiiPfSE_PS4_PT2_iSD_SD_
    .private_segment_fixed_size: 0
    .sgpr_count:     54
    .sgpr_spill_count: 0
    .symbol:         _Z39paged_attention_ll4mi_QKV_mfma16_kernelI14__hip_bfloat16S0_LN4vllm18Fp8KVCacheDataTypeE0EhLi16ELi64ELi256ELb1ELi5EL8MFMAType0EEvPKT_PKT0_S9_ifPKiSB_SB_iPKfiiiPfSE_PS4_PT2_iSD_SD_.kd
    .uniform_work_group_size: 1
    .uses_dynamic_stack: false
    .vgpr_count:     198
    .vgpr_spill_count: 0
    .wavefront_size: 32
    .workgroup_processor_mode: 1
  - .args:
      - .actual_access:  read_only
        .address_space:  global
        .offset:         0
        .size:           8
        .value_kind:     global_buffer
      - .actual_access:  read_only
        .address_space:  global
        .offset:         8
        .size:           8
        .value_kind:     global_buffer
      - .actual_access:  read_only
        .address_space:  global
        .offset:         16
        .size:           8
        .value_kind:     global_buffer
      - .offset:         24
        .size:           4
        .value_kind:     by_value
      - .offset:         28
        .size:           4
        .value_kind:     by_value
      - .actual_access:  read_only
        .address_space:  global
        .offset:         32
        .size:           8
        .value_kind:     global_buffer
      - .actual_access:  read_only
        .address_space:  global
        .offset:         40
        .size:           8
        .value_kind:     global_buffer
      - .actual_access:  read_only
        .address_space:  global
        .offset:         48
        .size:           8
        .value_kind:     global_buffer
      - .offset:         56
        .size:           4
        .value_kind:     by_value
      - .actual_access:  read_only
        .address_space:  global
        .offset:         64
        .size:           8
        .value_kind:     global_buffer
      - .offset:         72
        .size:           4
        .value_kind:     by_value
      - .offset:         76
        .size:           4
        .value_kind:     by_value
      - .offset:         80
        .size:           4
        .value_kind:     by_value
      - .actual_access:  write_only
        .address_space:  global
        .offset:         88
        .size:           8
        .value_kind:     global_buffer
      - .actual_access:  write_only
        .address_space:  global
        .offset:         96
        .size:           8
        .value_kind:     global_buffer
      - .actual_access:  write_only
        .address_space:  global
        .offset:         104
        .size:           8
        .value_kind:     global_buffer
      - .actual_access:  read_only
        .address_space:  global
        .offset:         112
        .size:           8
        .value_kind:     global_buffer
      - .offset:         120
        .size:           4
        .value_kind:     by_value
      - .address_space:  global
        .offset:         128
        .size:           8
        .value_kind:     global_buffer
      - .address_space:  global
        .offset:         136
        .size:           8
        .value_kind:     global_buffer
      - .offset:         144
        .size:           4
        .value_kind:     hidden_block_count_x
      - .offset:         148
        .size:           4
        .value_kind:     hidden_block_count_y
      - .offset:         152
        .size:           4
        .value_kind:     hidden_block_count_z
      - .offset:         156
        .size:           2
        .value_kind:     hidden_group_size_x
      - .offset:         158
        .size:           2
        .value_kind:     hidden_group_size_y
      - .offset:         160
        .size:           2
        .value_kind:     hidden_group_size_z
      - .offset:         162
        .size:           2
        .value_kind:     hidden_remainder_x
      - .offset:         164
        .size:           2
        .value_kind:     hidden_remainder_y
      - .offset:         166
        .size:           2
        .value_kind:     hidden_remainder_z
      - .offset:         184
        .size:           8
        .value_kind:     hidden_global_offset_x
      - .offset:         192
        .size:           8
        .value_kind:     hidden_global_offset_y
      - .offset:         200
        .size:           8
        .value_kind:     hidden_global_offset_z
      - .offset:         208
        .size:           2
        .value_kind:     hidden_grid_dims
    .group_segment_fixed_size: 17472
    .kernarg_segment_align: 8
    .kernarg_segment_size: 400
    .language:       OpenCL C
    .language_version:
      - 2
      - 0
    .max_flat_workgroup_size: 256
    .name:           _Z39paged_attention_ll4mi_QKV_mfma16_kernelI14__hip_bfloat16S0_LN4vllm18Fp8KVCacheDataTypeE0EhLi16ELi64ELi256ELb1ELi6EL8MFMAType0EEvPKT_PKT0_S9_ifPKiSB_SB_iPKfiiiPfSE_PS4_PT2_iSD_SD_
    .private_segment_fixed_size: 0
    .sgpr_count:     54
    .sgpr_spill_count: 0
    .symbol:         _Z39paged_attention_ll4mi_QKV_mfma16_kernelI14__hip_bfloat16S0_LN4vllm18Fp8KVCacheDataTypeE0EhLi16ELi64ELi256ELb1ELi6EL8MFMAType0EEvPKT_PKT0_S9_ifPKiSB_SB_iPKfiiiPfSE_PS4_PT2_iSD_SD_.kd
    .uniform_work_group_size: 1
    .uses_dynamic_stack: false
    .vgpr_count:     198
    .vgpr_spill_count: 0
    .wavefront_size: 32
    .workgroup_processor_mode: 1
  - .args:
      - .actual_access:  read_only
        .address_space:  global
        .offset:         0
        .size:           8
        .value_kind:     global_buffer
      - .actual_access:  read_only
        .address_space:  global
        .offset:         8
        .size:           8
        .value_kind:     global_buffer
      - .actual_access:  read_only
        .address_space:  global
        .offset:         16
        .size:           8
        .value_kind:     global_buffer
      - .offset:         24
        .size:           4
        .value_kind:     by_value
      - .offset:         28
        .size:           4
        .value_kind:     by_value
      - .actual_access:  read_only
        .address_space:  global
        .offset:         32
        .size:           8
        .value_kind:     global_buffer
      - .actual_access:  read_only
        .address_space:  global
        .offset:         40
        .size:           8
        .value_kind:     global_buffer
      - .actual_access:  read_only
        .address_space:  global
        .offset:         48
        .size:           8
        .value_kind:     global_buffer
      - .offset:         56
        .size:           4
        .value_kind:     by_value
      - .actual_access:  read_only
        .address_space:  global
        .offset:         64
        .size:           8
        .value_kind:     global_buffer
      - .offset:         72
        .size:           4
        .value_kind:     by_value
      - .offset:         76
        .size:           4
        .value_kind:     by_value
      - .offset:         80
        .size:           4
        .value_kind:     by_value
      - .actual_access:  write_only
        .address_space:  global
        .offset:         88
        .size:           8
        .value_kind:     global_buffer
      - .actual_access:  write_only
        .address_space:  global
        .offset:         96
        .size:           8
        .value_kind:     global_buffer
      - .actual_access:  write_only
        .address_space:  global
        .offset:         104
        .size:           8
        .value_kind:     global_buffer
      - .actual_access:  read_only
        .address_space:  global
        .offset:         112
        .size:           8
        .value_kind:     global_buffer
      - .offset:         120
        .size:           4
        .value_kind:     by_value
      - .address_space:  global
        .offset:         128
        .size:           8
        .value_kind:     global_buffer
      - .address_space:  global
        .offset:         136
        .size:           8
        .value_kind:     global_buffer
      - .offset:         144
        .size:           4
        .value_kind:     hidden_block_count_x
      - .offset:         148
        .size:           4
        .value_kind:     hidden_block_count_y
      - .offset:         152
        .size:           4
        .value_kind:     hidden_block_count_z
      - .offset:         156
        .size:           2
        .value_kind:     hidden_group_size_x
      - .offset:         158
        .size:           2
        .value_kind:     hidden_group_size_y
      - .offset:         160
        .size:           2
        .value_kind:     hidden_group_size_z
      - .offset:         162
        .size:           2
        .value_kind:     hidden_remainder_x
      - .offset:         164
        .size:           2
        .value_kind:     hidden_remainder_y
      - .offset:         166
        .size:           2
        .value_kind:     hidden_remainder_z
      - .offset:         184
        .size:           8
        .value_kind:     hidden_global_offset_x
      - .offset:         192
        .size:           8
        .value_kind:     hidden_global_offset_y
      - .offset:         200
        .size:           8
        .value_kind:     hidden_global_offset_z
      - .offset:         208
        .size:           2
        .value_kind:     hidden_grid_dims
    .group_segment_fixed_size: 17472
    .kernarg_segment_align: 8
    .kernarg_segment_size: 400
    .language:       OpenCL C
    .language_version:
      - 2
      - 0
    .max_flat_workgroup_size: 256
    .name:           _Z39paged_attention_ll4mi_QKV_mfma16_kernelI14__hip_bfloat16S0_LN4vllm18Fp8KVCacheDataTypeE0EhLi16ELi64ELi256ELb1ELi7EL8MFMAType0EEvPKT_PKT0_S9_ifPKiSB_SB_iPKfiiiPfSE_PS4_PT2_iSD_SD_
    .private_segment_fixed_size: 0
    .sgpr_count:     54
    .sgpr_spill_count: 0
    .symbol:         _Z39paged_attention_ll4mi_QKV_mfma16_kernelI14__hip_bfloat16S0_LN4vllm18Fp8KVCacheDataTypeE0EhLi16ELi64ELi256ELb1ELi7EL8MFMAType0EEvPKT_PKT0_S9_ifPKiSB_SB_iPKfiiiPfSE_PS4_PT2_iSD_SD_.kd
    .uniform_work_group_size: 1
    .uses_dynamic_stack: false
    .vgpr_count:     198
    .vgpr_spill_count: 0
    .wavefront_size: 32
    .workgroup_processor_mode: 1
  - .args:
      - .actual_access:  read_only
        .address_space:  global
        .offset:         0
        .size:           8
        .value_kind:     global_buffer
      - .actual_access:  read_only
        .address_space:  global
        .offset:         8
        .size:           8
        .value_kind:     global_buffer
      - .actual_access:  read_only
        .address_space:  global
        .offset:         16
        .size:           8
        .value_kind:     global_buffer
      - .offset:         24
        .size:           4
        .value_kind:     by_value
      - .offset:         28
        .size:           4
        .value_kind:     by_value
      - .actual_access:  read_only
        .address_space:  global
        .offset:         32
        .size:           8
        .value_kind:     global_buffer
      - .actual_access:  read_only
        .address_space:  global
        .offset:         40
        .size:           8
        .value_kind:     global_buffer
      - .actual_access:  read_only
        .address_space:  global
        .offset:         48
        .size:           8
        .value_kind:     global_buffer
      - .offset:         56
        .size:           4
        .value_kind:     by_value
      - .actual_access:  read_only
        .address_space:  global
        .offset:         64
        .size:           8
        .value_kind:     global_buffer
      - .offset:         72
        .size:           4
        .value_kind:     by_value
      - .offset:         76
        .size:           4
        .value_kind:     by_value
      - .offset:         80
        .size:           4
        .value_kind:     by_value
      - .actual_access:  write_only
        .address_space:  global
        .offset:         88
        .size:           8
        .value_kind:     global_buffer
      - .actual_access:  write_only
        .address_space:  global
        .offset:         96
        .size:           8
        .value_kind:     global_buffer
      - .actual_access:  write_only
        .address_space:  global
        .offset:         104
        .size:           8
        .value_kind:     global_buffer
      - .actual_access:  read_only
        .address_space:  global
        .offset:         112
        .size:           8
        .value_kind:     global_buffer
      - .offset:         120
        .size:           4
        .value_kind:     by_value
      - .address_space:  global
        .offset:         128
        .size:           8
        .value_kind:     global_buffer
      - .address_space:  global
        .offset:         136
        .size:           8
        .value_kind:     global_buffer
      - .offset:         144
        .size:           4
        .value_kind:     hidden_block_count_x
      - .offset:         148
        .size:           4
        .value_kind:     hidden_block_count_y
      - .offset:         152
        .size:           4
        .value_kind:     hidden_block_count_z
      - .offset:         156
        .size:           2
        .value_kind:     hidden_group_size_x
      - .offset:         158
        .size:           2
        .value_kind:     hidden_group_size_y
      - .offset:         160
        .size:           2
        .value_kind:     hidden_group_size_z
      - .offset:         162
        .size:           2
        .value_kind:     hidden_remainder_x
      - .offset:         164
        .size:           2
        .value_kind:     hidden_remainder_y
      - .offset:         166
        .size:           2
        .value_kind:     hidden_remainder_z
      - .offset:         184
        .size:           8
        .value_kind:     hidden_global_offset_x
      - .offset:         192
        .size:           8
        .value_kind:     hidden_global_offset_y
      - .offset:         200
        .size:           8
        .value_kind:     hidden_global_offset_z
      - .offset:         208
        .size:           2
        .value_kind:     hidden_grid_dims
    .group_segment_fixed_size: 17472
    .kernarg_segment_align: 8
    .kernarg_segment_size: 400
    .language:       OpenCL C
    .language_version:
      - 2
      - 0
    .max_flat_workgroup_size: 256
    .name:           _Z39paged_attention_ll4mi_QKV_mfma16_kernelI14__hip_bfloat16S0_LN4vllm18Fp8KVCacheDataTypeE0EhLi16ELi64ELi256ELb1ELi8EL8MFMAType0EEvPKT_PKT0_S9_ifPKiSB_SB_iPKfiiiPfSE_PS4_PT2_iSD_SD_
    .private_segment_fixed_size: 0
    .sgpr_count:     54
    .sgpr_spill_count: 0
    .symbol:         _Z39paged_attention_ll4mi_QKV_mfma16_kernelI14__hip_bfloat16S0_LN4vllm18Fp8KVCacheDataTypeE0EhLi16ELi64ELi256ELb1ELi8EL8MFMAType0EEvPKT_PKT0_S9_ifPKiSB_SB_iPKfiiiPfSE_PS4_PT2_iSD_SD_.kd
    .uniform_work_group_size: 1
    .uses_dynamic_stack: false
    .vgpr_count:     198
    .vgpr_spill_count: 0
    .wavefront_size: 32
    .workgroup_processor_mode: 1
  - .args:
      - .actual_access:  read_only
        .address_space:  global
        .offset:         0
        .size:           8
        .value_kind:     global_buffer
      - .actual_access:  read_only
        .address_space:  global
        .offset:         8
        .size:           8
        .value_kind:     global_buffer
      - .actual_access:  read_only
        .address_space:  global
        .offset:         16
        .size:           8
        .value_kind:     global_buffer
      - .offset:         24
        .size:           4
        .value_kind:     by_value
      - .offset:         28
        .size:           4
        .value_kind:     by_value
      - .actual_access:  read_only
        .address_space:  global
        .offset:         32
        .size:           8
        .value_kind:     global_buffer
      - .actual_access:  read_only
        .address_space:  global
        .offset:         40
        .size:           8
        .value_kind:     global_buffer
      - .actual_access:  read_only
        .address_space:  global
        .offset:         48
        .size:           8
        .value_kind:     global_buffer
      - .offset:         56
        .size:           4
        .value_kind:     by_value
      - .actual_access:  read_only
        .address_space:  global
        .offset:         64
        .size:           8
        .value_kind:     global_buffer
      - .offset:         72
        .size:           4
        .value_kind:     by_value
      - .offset:         76
        .size:           4
        .value_kind:     by_value
      - .offset:         80
        .size:           4
        .value_kind:     by_value
      - .actual_access:  write_only
        .address_space:  global
        .offset:         88
        .size:           8
        .value_kind:     global_buffer
      - .actual_access:  write_only
        .address_space:  global
        .offset:         96
        .size:           8
        .value_kind:     global_buffer
      - .actual_access:  write_only
        .address_space:  global
        .offset:         104
        .size:           8
        .value_kind:     global_buffer
      - .actual_access:  read_only
        .address_space:  global
        .offset:         112
        .size:           8
        .value_kind:     global_buffer
      - .offset:         120
        .size:           4
        .value_kind:     by_value
      - .address_space:  global
        .offset:         128
        .size:           8
        .value_kind:     global_buffer
      - .address_space:  global
        .offset:         136
        .size:           8
        .value_kind:     global_buffer
      - .offset:         144
        .size:           4
        .value_kind:     hidden_block_count_x
      - .offset:         148
        .size:           4
        .value_kind:     hidden_block_count_y
      - .offset:         152
        .size:           4
        .value_kind:     hidden_block_count_z
      - .offset:         156
        .size:           2
        .value_kind:     hidden_group_size_x
      - .offset:         158
        .size:           2
        .value_kind:     hidden_group_size_y
      - .offset:         160
        .size:           2
        .value_kind:     hidden_group_size_z
      - .offset:         162
        .size:           2
        .value_kind:     hidden_remainder_x
      - .offset:         164
        .size:           2
        .value_kind:     hidden_remainder_y
      - .offset:         166
        .size:           2
        .value_kind:     hidden_remainder_z
      - .offset:         184
        .size:           8
        .value_kind:     hidden_global_offset_x
      - .offset:         192
        .size:           8
        .value_kind:     hidden_global_offset_y
      - .offset:         200
        .size:           8
        .value_kind:     hidden_global_offset_z
      - .offset:         208
        .size:           2
        .value_kind:     hidden_grid_dims
    .group_segment_fixed_size: 17472
    .kernarg_segment_align: 8
    .kernarg_segment_size: 400
    .language:       OpenCL C
    .language_version:
      - 2
      - 0
    .max_flat_workgroup_size: 256
    .name:           _Z39paged_attention_ll4mi_QKV_mfma16_kernelI14__hip_bfloat16S0_LN4vllm18Fp8KVCacheDataTypeE0EhLi16ELi64ELi256ELb1ELi9EL8MFMAType0EEvPKT_PKT0_S9_ifPKiSB_SB_iPKfiiiPfSE_PS4_PT2_iSD_SD_
    .private_segment_fixed_size: 0
    .sgpr_count:     54
    .sgpr_spill_count: 0
    .symbol:         _Z39paged_attention_ll4mi_QKV_mfma16_kernelI14__hip_bfloat16S0_LN4vllm18Fp8KVCacheDataTypeE0EhLi16ELi64ELi256ELb1ELi9EL8MFMAType0EEvPKT_PKT0_S9_ifPKiSB_SB_iPKfiiiPfSE_PS4_PT2_iSD_SD_.kd
    .uniform_work_group_size: 1
    .uses_dynamic_stack: false
    .vgpr_count:     198
    .vgpr_spill_count: 0
    .wavefront_size: 32
    .workgroup_processor_mode: 1
  - .args:
      - .actual_access:  read_only
        .address_space:  global
        .offset:         0
        .size:           8
        .value_kind:     global_buffer
      - .actual_access:  read_only
        .address_space:  global
        .offset:         8
        .size:           8
        .value_kind:     global_buffer
      - .actual_access:  read_only
        .address_space:  global
        .offset:         16
        .size:           8
        .value_kind:     global_buffer
      - .offset:         24
        .size:           4
        .value_kind:     by_value
      - .offset:         28
        .size:           4
        .value_kind:     by_value
      - .actual_access:  read_only
        .address_space:  global
        .offset:         32
        .size:           8
        .value_kind:     global_buffer
      - .actual_access:  read_only
        .address_space:  global
        .offset:         40
        .size:           8
        .value_kind:     global_buffer
      - .actual_access:  read_only
        .address_space:  global
        .offset:         48
        .size:           8
        .value_kind:     global_buffer
      - .offset:         56
        .size:           4
        .value_kind:     by_value
      - .actual_access:  read_only
        .address_space:  global
        .offset:         64
        .size:           8
        .value_kind:     global_buffer
      - .offset:         72
        .size:           4
        .value_kind:     by_value
      - .offset:         76
        .size:           4
        .value_kind:     by_value
      - .offset:         80
        .size:           4
        .value_kind:     by_value
      - .actual_access:  write_only
        .address_space:  global
        .offset:         88
        .size:           8
        .value_kind:     global_buffer
      - .actual_access:  write_only
        .address_space:  global
        .offset:         96
        .size:           8
        .value_kind:     global_buffer
      - .actual_access:  write_only
        .address_space:  global
        .offset:         104
        .size:           8
        .value_kind:     global_buffer
      - .actual_access:  read_only
        .address_space:  global
        .offset:         112
        .size:           8
        .value_kind:     global_buffer
      - .offset:         120
        .size:           4
        .value_kind:     by_value
      - .address_space:  global
        .offset:         128
        .size:           8
        .value_kind:     global_buffer
      - .address_space:  global
        .offset:         136
        .size:           8
        .value_kind:     global_buffer
      - .offset:         144
        .size:           4
        .value_kind:     hidden_block_count_x
      - .offset:         148
        .size:           4
        .value_kind:     hidden_block_count_y
      - .offset:         152
        .size:           4
        .value_kind:     hidden_block_count_z
      - .offset:         156
        .size:           2
        .value_kind:     hidden_group_size_x
      - .offset:         158
        .size:           2
        .value_kind:     hidden_group_size_y
      - .offset:         160
        .size:           2
        .value_kind:     hidden_group_size_z
      - .offset:         162
        .size:           2
        .value_kind:     hidden_remainder_x
      - .offset:         164
        .size:           2
        .value_kind:     hidden_remainder_y
      - .offset:         166
        .size:           2
        .value_kind:     hidden_remainder_z
      - .offset:         184
        .size:           8
        .value_kind:     hidden_global_offset_x
      - .offset:         192
        .size:           8
        .value_kind:     hidden_global_offset_y
      - .offset:         200
        .size:           8
        .value_kind:     hidden_global_offset_z
      - .offset:         208
        .size:           2
        .value_kind:     hidden_grid_dims
    .group_segment_fixed_size: 17472
    .kernarg_segment_align: 8
    .kernarg_segment_size: 400
    .language:       OpenCL C
    .language_version:
      - 2
      - 0
    .max_flat_workgroup_size: 256
    .name:           _Z39paged_attention_ll4mi_QKV_mfma16_kernelI14__hip_bfloat16S0_LN4vllm18Fp8KVCacheDataTypeE0EhLi16ELi64ELi256ELb1ELi10EL8MFMAType0EEvPKT_PKT0_S9_ifPKiSB_SB_iPKfiiiPfSE_PS4_PT2_iSD_SD_
    .private_segment_fixed_size: 0
    .sgpr_count:     54
    .sgpr_spill_count: 0
    .symbol:         _Z39paged_attention_ll4mi_QKV_mfma16_kernelI14__hip_bfloat16S0_LN4vllm18Fp8KVCacheDataTypeE0EhLi16ELi64ELi256ELb1ELi10EL8MFMAType0EEvPKT_PKT0_S9_ifPKiSB_SB_iPKfiiiPfSE_PS4_PT2_iSD_SD_.kd
    .uniform_work_group_size: 1
    .uses_dynamic_stack: false
    .vgpr_count:     198
    .vgpr_spill_count: 0
    .wavefront_size: 32
    .workgroup_processor_mode: 1
  - .args:
      - .actual_access:  read_only
        .address_space:  global
        .offset:         0
        .size:           8
        .value_kind:     global_buffer
      - .actual_access:  read_only
        .address_space:  global
        .offset:         8
        .size:           8
        .value_kind:     global_buffer
      - .actual_access:  read_only
        .address_space:  global
        .offset:         16
        .size:           8
        .value_kind:     global_buffer
      - .offset:         24
        .size:           4
        .value_kind:     by_value
      - .offset:         28
        .size:           4
        .value_kind:     by_value
      - .actual_access:  read_only
        .address_space:  global
        .offset:         32
        .size:           8
        .value_kind:     global_buffer
      - .actual_access:  read_only
        .address_space:  global
        .offset:         40
        .size:           8
        .value_kind:     global_buffer
      - .actual_access:  read_only
        .address_space:  global
        .offset:         48
        .size:           8
        .value_kind:     global_buffer
      - .offset:         56
        .size:           4
        .value_kind:     by_value
      - .actual_access:  read_only
        .address_space:  global
        .offset:         64
        .size:           8
        .value_kind:     global_buffer
      - .offset:         72
        .size:           4
        .value_kind:     by_value
      - .offset:         76
        .size:           4
        .value_kind:     by_value
      - .offset:         80
        .size:           4
        .value_kind:     by_value
      - .actual_access:  write_only
        .address_space:  global
        .offset:         88
        .size:           8
        .value_kind:     global_buffer
      - .actual_access:  write_only
        .address_space:  global
        .offset:         96
        .size:           8
        .value_kind:     global_buffer
      - .actual_access:  write_only
        .address_space:  global
        .offset:         104
        .size:           8
        .value_kind:     global_buffer
      - .actual_access:  read_only
        .address_space:  global
        .offset:         112
        .size:           8
        .value_kind:     global_buffer
      - .offset:         120
        .size:           4
        .value_kind:     by_value
      - .address_space:  global
        .offset:         128
        .size:           8
        .value_kind:     global_buffer
      - .address_space:  global
        .offset:         136
        .size:           8
        .value_kind:     global_buffer
      - .offset:         144
        .size:           4
        .value_kind:     hidden_block_count_x
      - .offset:         148
        .size:           4
        .value_kind:     hidden_block_count_y
      - .offset:         152
        .size:           4
        .value_kind:     hidden_block_count_z
      - .offset:         156
        .size:           2
        .value_kind:     hidden_group_size_x
      - .offset:         158
        .size:           2
        .value_kind:     hidden_group_size_y
      - .offset:         160
        .size:           2
        .value_kind:     hidden_group_size_z
      - .offset:         162
        .size:           2
        .value_kind:     hidden_remainder_x
      - .offset:         164
        .size:           2
        .value_kind:     hidden_remainder_y
      - .offset:         166
        .size:           2
        .value_kind:     hidden_remainder_z
      - .offset:         184
        .size:           8
        .value_kind:     hidden_global_offset_x
      - .offset:         192
        .size:           8
        .value_kind:     hidden_global_offset_y
      - .offset:         200
        .size:           8
        .value_kind:     hidden_global_offset_z
      - .offset:         208
        .size:           2
        .value_kind:     hidden_grid_dims
    .group_segment_fixed_size: 17472
    .kernarg_segment_align: 8
    .kernarg_segment_size: 400
    .language:       OpenCL C
    .language_version:
      - 2
      - 0
    .max_flat_workgroup_size: 256
    .name:           _Z39paged_attention_ll4mi_QKV_mfma16_kernelI14__hip_bfloat16S0_LN4vllm18Fp8KVCacheDataTypeE0EhLi16ELi64ELi256ELb1ELi11EL8MFMAType0EEvPKT_PKT0_S9_ifPKiSB_SB_iPKfiiiPfSE_PS4_PT2_iSD_SD_
    .private_segment_fixed_size: 0
    .sgpr_count:     54
    .sgpr_spill_count: 0
    .symbol:         _Z39paged_attention_ll4mi_QKV_mfma16_kernelI14__hip_bfloat16S0_LN4vllm18Fp8KVCacheDataTypeE0EhLi16ELi64ELi256ELb1ELi11EL8MFMAType0EEvPKT_PKT0_S9_ifPKiSB_SB_iPKfiiiPfSE_PS4_PT2_iSD_SD_.kd
    .uniform_work_group_size: 1
    .uses_dynamic_stack: false
    .vgpr_count:     198
    .vgpr_spill_count: 0
    .wavefront_size: 32
    .workgroup_processor_mode: 1
  - .args:
      - .actual_access:  read_only
        .address_space:  global
        .offset:         0
        .size:           8
        .value_kind:     global_buffer
      - .actual_access:  read_only
        .address_space:  global
        .offset:         8
        .size:           8
        .value_kind:     global_buffer
      - .actual_access:  read_only
        .address_space:  global
        .offset:         16
        .size:           8
        .value_kind:     global_buffer
      - .offset:         24
        .size:           4
        .value_kind:     by_value
      - .offset:         28
        .size:           4
        .value_kind:     by_value
      - .actual_access:  read_only
        .address_space:  global
        .offset:         32
        .size:           8
        .value_kind:     global_buffer
      - .actual_access:  read_only
        .address_space:  global
        .offset:         40
        .size:           8
        .value_kind:     global_buffer
      - .actual_access:  read_only
        .address_space:  global
        .offset:         48
        .size:           8
        .value_kind:     global_buffer
      - .offset:         56
        .size:           4
        .value_kind:     by_value
      - .actual_access:  read_only
        .address_space:  global
        .offset:         64
        .size:           8
        .value_kind:     global_buffer
      - .offset:         72
        .size:           4
        .value_kind:     by_value
      - .offset:         76
        .size:           4
        .value_kind:     by_value
      - .offset:         80
        .size:           4
        .value_kind:     by_value
      - .actual_access:  write_only
        .address_space:  global
        .offset:         88
        .size:           8
        .value_kind:     global_buffer
      - .actual_access:  write_only
        .address_space:  global
        .offset:         96
        .size:           8
        .value_kind:     global_buffer
      - .actual_access:  write_only
        .address_space:  global
        .offset:         104
        .size:           8
        .value_kind:     global_buffer
      - .actual_access:  read_only
        .address_space:  global
        .offset:         112
        .size:           8
        .value_kind:     global_buffer
      - .offset:         120
        .size:           4
        .value_kind:     by_value
      - .address_space:  global
        .offset:         128
        .size:           8
        .value_kind:     global_buffer
      - .address_space:  global
        .offset:         136
        .size:           8
        .value_kind:     global_buffer
      - .offset:         144
        .size:           4
        .value_kind:     hidden_block_count_x
      - .offset:         148
        .size:           4
        .value_kind:     hidden_block_count_y
      - .offset:         152
        .size:           4
        .value_kind:     hidden_block_count_z
      - .offset:         156
        .size:           2
        .value_kind:     hidden_group_size_x
      - .offset:         158
        .size:           2
        .value_kind:     hidden_group_size_y
      - .offset:         160
        .size:           2
        .value_kind:     hidden_group_size_z
      - .offset:         162
        .size:           2
        .value_kind:     hidden_remainder_x
      - .offset:         164
        .size:           2
        .value_kind:     hidden_remainder_y
      - .offset:         166
        .size:           2
        .value_kind:     hidden_remainder_z
      - .offset:         184
        .size:           8
        .value_kind:     hidden_global_offset_x
      - .offset:         192
        .size:           8
        .value_kind:     hidden_global_offset_y
      - .offset:         200
        .size:           8
        .value_kind:     hidden_global_offset_z
      - .offset:         208
        .size:           2
        .value_kind:     hidden_grid_dims
    .group_segment_fixed_size: 17472
    .kernarg_segment_align: 8
    .kernarg_segment_size: 400
    .language:       OpenCL C
    .language_version:
      - 2
      - 0
    .max_flat_workgroup_size: 256
    .name:           _Z39paged_attention_ll4mi_QKV_mfma16_kernelI14__hip_bfloat16S0_LN4vllm18Fp8KVCacheDataTypeE0EhLi16ELi64ELi256ELb1ELi12EL8MFMAType0EEvPKT_PKT0_S9_ifPKiSB_SB_iPKfiiiPfSE_PS4_PT2_iSD_SD_
    .private_segment_fixed_size: 0
    .sgpr_count:     54
    .sgpr_spill_count: 0
    .symbol:         _Z39paged_attention_ll4mi_QKV_mfma16_kernelI14__hip_bfloat16S0_LN4vllm18Fp8KVCacheDataTypeE0EhLi16ELi64ELi256ELb1ELi12EL8MFMAType0EEvPKT_PKT0_S9_ifPKiSB_SB_iPKfiiiPfSE_PS4_PT2_iSD_SD_.kd
    .uniform_work_group_size: 1
    .uses_dynamic_stack: false
    .vgpr_count:     198
    .vgpr_spill_count: 0
    .wavefront_size: 32
    .workgroup_processor_mode: 1
  - .args:
      - .actual_access:  read_only
        .address_space:  global
        .offset:         0
        .size:           8
        .value_kind:     global_buffer
      - .actual_access:  read_only
        .address_space:  global
        .offset:         8
        .size:           8
        .value_kind:     global_buffer
      - .actual_access:  read_only
        .address_space:  global
        .offset:         16
        .size:           8
        .value_kind:     global_buffer
      - .offset:         24
        .size:           4
        .value_kind:     by_value
      - .offset:         28
        .size:           4
        .value_kind:     by_value
      - .actual_access:  read_only
        .address_space:  global
        .offset:         32
        .size:           8
        .value_kind:     global_buffer
      - .actual_access:  read_only
        .address_space:  global
        .offset:         40
        .size:           8
        .value_kind:     global_buffer
      - .actual_access:  read_only
        .address_space:  global
        .offset:         48
        .size:           8
        .value_kind:     global_buffer
      - .offset:         56
        .size:           4
        .value_kind:     by_value
      - .actual_access:  read_only
        .address_space:  global
        .offset:         64
        .size:           8
        .value_kind:     global_buffer
      - .offset:         72
        .size:           4
        .value_kind:     by_value
      - .offset:         76
        .size:           4
        .value_kind:     by_value
      - .offset:         80
        .size:           4
        .value_kind:     by_value
      - .actual_access:  write_only
        .address_space:  global
        .offset:         88
        .size:           8
        .value_kind:     global_buffer
      - .actual_access:  write_only
        .address_space:  global
        .offset:         96
        .size:           8
        .value_kind:     global_buffer
      - .actual_access:  write_only
        .address_space:  global
        .offset:         104
        .size:           8
        .value_kind:     global_buffer
      - .actual_access:  read_only
        .address_space:  global
        .offset:         112
        .size:           8
        .value_kind:     global_buffer
      - .offset:         120
        .size:           4
        .value_kind:     by_value
      - .address_space:  global
        .offset:         128
        .size:           8
        .value_kind:     global_buffer
      - .address_space:  global
        .offset:         136
        .size:           8
        .value_kind:     global_buffer
      - .offset:         144
        .size:           4
        .value_kind:     hidden_block_count_x
      - .offset:         148
        .size:           4
        .value_kind:     hidden_block_count_y
      - .offset:         152
        .size:           4
        .value_kind:     hidden_block_count_z
      - .offset:         156
        .size:           2
        .value_kind:     hidden_group_size_x
      - .offset:         158
        .size:           2
        .value_kind:     hidden_group_size_y
      - .offset:         160
        .size:           2
        .value_kind:     hidden_group_size_z
      - .offset:         162
        .size:           2
        .value_kind:     hidden_remainder_x
      - .offset:         164
        .size:           2
        .value_kind:     hidden_remainder_y
      - .offset:         166
        .size:           2
        .value_kind:     hidden_remainder_z
      - .offset:         184
        .size:           8
        .value_kind:     hidden_global_offset_x
      - .offset:         192
        .size:           8
        .value_kind:     hidden_global_offset_y
      - .offset:         200
        .size:           8
        .value_kind:     hidden_global_offset_z
      - .offset:         208
        .size:           2
        .value_kind:     hidden_grid_dims
    .group_segment_fixed_size: 17472
    .kernarg_segment_align: 8
    .kernarg_segment_size: 400
    .language:       OpenCL C
    .language_version:
      - 2
      - 0
    .max_flat_workgroup_size: 256
    .name:           _Z39paged_attention_ll4mi_QKV_mfma16_kernelI14__hip_bfloat16S0_LN4vllm18Fp8KVCacheDataTypeE0EhLi16ELi64ELi256ELb1ELi13EL8MFMAType0EEvPKT_PKT0_S9_ifPKiSB_SB_iPKfiiiPfSE_PS4_PT2_iSD_SD_
    .private_segment_fixed_size: 0
    .sgpr_count:     54
    .sgpr_spill_count: 0
    .symbol:         _Z39paged_attention_ll4mi_QKV_mfma16_kernelI14__hip_bfloat16S0_LN4vllm18Fp8KVCacheDataTypeE0EhLi16ELi64ELi256ELb1ELi13EL8MFMAType0EEvPKT_PKT0_S9_ifPKiSB_SB_iPKfiiiPfSE_PS4_PT2_iSD_SD_.kd
    .uniform_work_group_size: 1
    .uses_dynamic_stack: false
    .vgpr_count:     198
    .vgpr_spill_count: 0
    .wavefront_size: 32
    .workgroup_processor_mode: 1
  - .args:
      - .actual_access:  read_only
        .address_space:  global
        .offset:         0
        .size:           8
        .value_kind:     global_buffer
      - .actual_access:  read_only
        .address_space:  global
        .offset:         8
        .size:           8
        .value_kind:     global_buffer
      - .actual_access:  read_only
        .address_space:  global
        .offset:         16
        .size:           8
        .value_kind:     global_buffer
      - .offset:         24
        .size:           4
        .value_kind:     by_value
      - .offset:         28
        .size:           4
        .value_kind:     by_value
      - .actual_access:  read_only
        .address_space:  global
        .offset:         32
        .size:           8
        .value_kind:     global_buffer
      - .actual_access:  read_only
        .address_space:  global
        .offset:         40
        .size:           8
        .value_kind:     global_buffer
      - .actual_access:  read_only
        .address_space:  global
        .offset:         48
        .size:           8
        .value_kind:     global_buffer
      - .offset:         56
        .size:           4
        .value_kind:     by_value
      - .actual_access:  read_only
        .address_space:  global
        .offset:         64
        .size:           8
        .value_kind:     global_buffer
      - .offset:         72
        .size:           4
        .value_kind:     by_value
      - .offset:         76
        .size:           4
        .value_kind:     by_value
      - .offset:         80
        .size:           4
        .value_kind:     by_value
      - .actual_access:  write_only
        .address_space:  global
        .offset:         88
        .size:           8
        .value_kind:     global_buffer
      - .actual_access:  write_only
        .address_space:  global
        .offset:         96
        .size:           8
        .value_kind:     global_buffer
      - .actual_access:  write_only
        .address_space:  global
        .offset:         104
        .size:           8
        .value_kind:     global_buffer
      - .actual_access:  read_only
        .address_space:  global
        .offset:         112
        .size:           8
        .value_kind:     global_buffer
      - .offset:         120
        .size:           4
        .value_kind:     by_value
      - .address_space:  global
        .offset:         128
        .size:           8
        .value_kind:     global_buffer
      - .address_space:  global
        .offset:         136
        .size:           8
        .value_kind:     global_buffer
      - .offset:         144
        .size:           4
        .value_kind:     hidden_block_count_x
      - .offset:         148
        .size:           4
        .value_kind:     hidden_block_count_y
      - .offset:         152
        .size:           4
        .value_kind:     hidden_block_count_z
      - .offset:         156
        .size:           2
        .value_kind:     hidden_group_size_x
      - .offset:         158
        .size:           2
        .value_kind:     hidden_group_size_y
      - .offset:         160
        .size:           2
        .value_kind:     hidden_group_size_z
      - .offset:         162
        .size:           2
        .value_kind:     hidden_remainder_x
      - .offset:         164
        .size:           2
        .value_kind:     hidden_remainder_y
      - .offset:         166
        .size:           2
        .value_kind:     hidden_remainder_z
      - .offset:         184
        .size:           8
        .value_kind:     hidden_global_offset_x
      - .offset:         192
        .size:           8
        .value_kind:     hidden_global_offset_y
      - .offset:         200
        .size:           8
        .value_kind:     hidden_global_offset_z
      - .offset:         208
        .size:           2
        .value_kind:     hidden_grid_dims
    .group_segment_fixed_size: 17472
    .kernarg_segment_align: 8
    .kernarg_segment_size: 400
    .language:       OpenCL C
    .language_version:
      - 2
      - 0
    .max_flat_workgroup_size: 256
    .name:           _Z39paged_attention_ll4mi_QKV_mfma16_kernelI14__hip_bfloat16S0_LN4vllm18Fp8KVCacheDataTypeE0EhLi16ELi64ELi256ELb1ELi14EL8MFMAType0EEvPKT_PKT0_S9_ifPKiSB_SB_iPKfiiiPfSE_PS4_PT2_iSD_SD_
    .private_segment_fixed_size: 0
    .sgpr_count:     54
    .sgpr_spill_count: 0
    .symbol:         _Z39paged_attention_ll4mi_QKV_mfma16_kernelI14__hip_bfloat16S0_LN4vllm18Fp8KVCacheDataTypeE0EhLi16ELi64ELi256ELb1ELi14EL8MFMAType0EEvPKT_PKT0_S9_ifPKiSB_SB_iPKfiiiPfSE_PS4_PT2_iSD_SD_.kd
    .uniform_work_group_size: 1
    .uses_dynamic_stack: false
    .vgpr_count:     198
    .vgpr_spill_count: 0
    .wavefront_size: 32
    .workgroup_processor_mode: 1
  - .args:
      - .actual_access:  read_only
        .address_space:  global
        .offset:         0
        .size:           8
        .value_kind:     global_buffer
      - .actual_access:  read_only
        .address_space:  global
        .offset:         8
        .size:           8
        .value_kind:     global_buffer
      - .actual_access:  read_only
        .address_space:  global
        .offset:         16
        .size:           8
        .value_kind:     global_buffer
      - .offset:         24
        .size:           4
        .value_kind:     by_value
      - .offset:         28
        .size:           4
        .value_kind:     by_value
      - .actual_access:  read_only
        .address_space:  global
        .offset:         32
        .size:           8
        .value_kind:     global_buffer
      - .actual_access:  read_only
        .address_space:  global
        .offset:         40
        .size:           8
        .value_kind:     global_buffer
      - .actual_access:  read_only
        .address_space:  global
        .offset:         48
        .size:           8
        .value_kind:     global_buffer
      - .offset:         56
        .size:           4
        .value_kind:     by_value
      - .actual_access:  read_only
        .address_space:  global
        .offset:         64
        .size:           8
        .value_kind:     global_buffer
      - .offset:         72
        .size:           4
        .value_kind:     by_value
      - .offset:         76
        .size:           4
        .value_kind:     by_value
      - .offset:         80
        .size:           4
        .value_kind:     by_value
      - .actual_access:  write_only
        .address_space:  global
        .offset:         88
        .size:           8
        .value_kind:     global_buffer
      - .actual_access:  write_only
        .address_space:  global
        .offset:         96
        .size:           8
        .value_kind:     global_buffer
      - .actual_access:  write_only
        .address_space:  global
        .offset:         104
        .size:           8
        .value_kind:     global_buffer
      - .actual_access:  read_only
        .address_space:  global
        .offset:         112
        .size:           8
        .value_kind:     global_buffer
      - .offset:         120
        .size:           4
        .value_kind:     by_value
      - .address_space:  global
        .offset:         128
        .size:           8
        .value_kind:     global_buffer
      - .address_space:  global
        .offset:         136
        .size:           8
        .value_kind:     global_buffer
      - .offset:         144
        .size:           4
        .value_kind:     hidden_block_count_x
      - .offset:         148
        .size:           4
        .value_kind:     hidden_block_count_y
      - .offset:         152
        .size:           4
        .value_kind:     hidden_block_count_z
      - .offset:         156
        .size:           2
        .value_kind:     hidden_group_size_x
      - .offset:         158
        .size:           2
        .value_kind:     hidden_group_size_y
      - .offset:         160
        .size:           2
        .value_kind:     hidden_group_size_z
      - .offset:         162
        .size:           2
        .value_kind:     hidden_remainder_x
      - .offset:         164
        .size:           2
        .value_kind:     hidden_remainder_y
      - .offset:         166
        .size:           2
        .value_kind:     hidden_remainder_z
      - .offset:         184
        .size:           8
        .value_kind:     hidden_global_offset_x
      - .offset:         192
        .size:           8
        .value_kind:     hidden_global_offset_y
      - .offset:         200
        .size:           8
        .value_kind:     hidden_global_offset_z
      - .offset:         208
        .size:           2
        .value_kind:     hidden_grid_dims
    .group_segment_fixed_size: 17472
    .kernarg_segment_align: 8
    .kernarg_segment_size: 400
    .language:       OpenCL C
    .language_version:
      - 2
      - 0
    .max_flat_workgroup_size: 256
    .name:           _Z39paged_attention_ll4mi_QKV_mfma16_kernelI14__hip_bfloat16S0_LN4vllm18Fp8KVCacheDataTypeE0EhLi16ELi64ELi256ELb1ELi15EL8MFMAType0EEvPKT_PKT0_S9_ifPKiSB_SB_iPKfiiiPfSE_PS4_PT2_iSD_SD_
    .private_segment_fixed_size: 0
    .sgpr_count:     54
    .sgpr_spill_count: 0
    .symbol:         _Z39paged_attention_ll4mi_QKV_mfma16_kernelI14__hip_bfloat16S0_LN4vllm18Fp8KVCacheDataTypeE0EhLi16ELi64ELi256ELb1ELi15EL8MFMAType0EEvPKT_PKT0_S9_ifPKiSB_SB_iPKfiiiPfSE_PS4_PT2_iSD_SD_.kd
    .uniform_work_group_size: 1
    .uses_dynamic_stack: false
    .vgpr_count:     198
    .vgpr_spill_count: 0
    .wavefront_size: 32
    .workgroup_processor_mode: 1
  - .args:
      - .actual_access:  read_only
        .address_space:  global
        .offset:         0
        .size:           8
        .value_kind:     global_buffer
      - .actual_access:  read_only
        .address_space:  global
        .offset:         8
        .size:           8
        .value_kind:     global_buffer
      - .actual_access:  read_only
        .address_space:  global
        .offset:         16
        .size:           8
        .value_kind:     global_buffer
      - .offset:         24
        .size:           4
        .value_kind:     by_value
      - .offset:         28
        .size:           4
        .value_kind:     by_value
      - .actual_access:  read_only
        .address_space:  global
        .offset:         32
        .size:           8
        .value_kind:     global_buffer
      - .actual_access:  read_only
        .address_space:  global
        .offset:         40
        .size:           8
        .value_kind:     global_buffer
      - .actual_access:  read_only
        .address_space:  global
        .offset:         48
        .size:           8
        .value_kind:     global_buffer
      - .offset:         56
        .size:           4
        .value_kind:     by_value
      - .actual_access:  read_only
        .address_space:  global
        .offset:         64
        .size:           8
        .value_kind:     global_buffer
      - .offset:         72
        .size:           4
        .value_kind:     by_value
      - .offset:         76
        .size:           4
        .value_kind:     by_value
      - .offset:         80
        .size:           4
        .value_kind:     by_value
      - .actual_access:  write_only
        .address_space:  global
        .offset:         88
        .size:           8
        .value_kind:     global_buffer
      - .actual_access:  write_only
        .address_space:  global
        .offset:         96
        .size:           8
        .value_kind:     global_buffer
      - .actual_access:  write_only
        .address_space:  global
        .offset:         104
        .size:           8
        .value_kind:     global_buffer
      - .actual_access:  read_only
        .address_space:  global
        .offset:         112
        .size:           8
        .value_kind:     global_buffer
      - .offset:         120
        .size:           4
        .value_kind:     by_value
      - .address_space:  global
        .offset:         128
        .size:           8
        .value_kind:     global_buffer
      - .address_space:  global
        .offset:         136
        .size:           8
        .value_kind:     global_buffer
      - .offset:         144
        .size:           4
        .value_kind:     hidden_block_count_x
      - .offset:         148
        .size:           4
        .value_kind:     hidden_block_count_y
      - .offset:         152
        .size:           4
        .value_kind:     hidden_block_count_z
      - .offset:         156
        .size:           2
        .value_kind:     hidden_group_size_x
      - .offset:         158
        .size:           2
        .value_kind:     hidden_group_size_y
      - .offset:         160
        .size:           2
        .value_kind:     hidden_group_size_z
      - .offset:         162
        .size:           2
        .value_kind:     hidden_remainder_x
      - .offset:         164
        .size:           2
        .value_kind:     hidden_remainder_y
      - .offset:         166
        .size:           2
        .value_kind:     hidden_remainder_z
      - .offset:         184
        .size:           8
        .value_kind:     hidden_global_offset_x
      - .offset:         192
        .size:           8
        .value_kind:     hidden_global_offset_y
      - .offset:         200
        .size:           8
        .value_kind:     hidden_global_offset_z
      - .offset:         208
        .size:           2
        .value_kind:     hidden_grid_dims
    .group_segment_fixed_size: 17472
    .kernarg_segment_align: 8
    .kernarg_segment_size: 400
    .language:       OpenCL C
    .language_version:
      - 2
      - 0
    .max_flat_workgroup_size: 256
    .name:           _Z39paged_attention_ll4mi_QKV_mfma16_kernelI14__hip_bfloat16S0_LN4vllm18Fp8KVCacheDataTypeE0EhLi16ELi64ELi256ELb1ELi16EL8MFMAType0EEvPKT_PKT0_S9_ifPKiSB_SB_iPKfiiiPfSE_PS4_PT2_iSD_SD_
    .private_segment_fixed_size: 0
    .sgpr_count:     54
    .sgpr_spill_count: 0
    .symbol:         _Z39paged_attention_ll4mi_QKV_mfma16_kernelI14__hip_bfloat16S0_LN4vllm18Fp8KVCacheDataTypeE0EhLi16ELi64ELi256ELb1ELi16EL8MFMAType0EEvPKT_PKT0_S9_ifPKiSB_SB_iPKfiiiPfSE_PS4_PT2_iSD_SD_.kd
    .uniform_work_group_size: 1
    .uses_dynamic_stack: false
    .vgpr_count:     198
    .vgpr_spill_count: 0
    .wavefront_size: 32
    .workgroup_processor_mode: 1
  - .args:
      - .actual_access:  write_only
        .address_space:  global
        .offset:         0
        .size:           8
        .value_kind:     global_buffer
      - .actual_access:  read_only
        .address_space:  global
        .offset:         8
        .size:           8
        .value_kind:     global_buffer
      - .actual_access:  read_only
        .address_space:  global
        .offset:         16
        .size:           8
        .value_kind:     global_buffer
      - .actual_access:  read_only
        .address_space:  global
        .offset:         24
        .size:           8
        .value_kind:     global_buffer
      - .actual_access:  read_only
        .address_space:  global
        .offset:         32
        .size:           8
        .value_kind:     global_buffer
      - .actual_access:  read_only
        .address_space:  global
        .offset:         40
        .size:           8
        .value_kind:     global_buffer
      - .offset:         48
        .size:           4
        .value_kind:     by_value
      - .actual_access:  read_only
        .address_space:  global
        .offset:         56
        .size:           8
        .value_kind:     global_buffer
      - .offset:         64
        .size:           4
        .value_kind:     hidden_block_count_x
      - .offset:         68
        .size:           4
        .value_kind:     hidden_block_count_y
      - .offset:         72
        .size:           4
        .value_kind:     hidden_block_count_z
      - .offset:         76
        .size:           2
        .value_kind:     hidden_group_size_x
      - .offset:         78
        .size:           2
        .value_kind:     hidden_group_size_y
      - .offset:         80
        .size:           2
        .value_kind:     hidden_group_size_z
      - .offset:         82
        .size:           2
        .value_kind:     hidden_remainder_x
      - .offset:         84
        .size:           2
        .value_kind:     hidden_remainder_y
      - .offset:         86
        .size:           2
        .value_kind:     hidden_remainder_z
      - .offset:         104
        .size:           8
        .value_kind:     hidden_global_offset_x
      - .offset:         112
        .size:           8
        .value_kind:     hidden_global_offset_y
      - .offset:         120
        .size:           8
        .value_kind:     hidden_global_offset_z
      - .offset:         128
        .size:           2
        .value_kind:     hidden_grid_dims
    .group_segment_fixed_size: 132
    .kernarg_segment_align: 8
    .kernarg_segment_size: 320
    .language:       OpenCL C
    .language_version:
      - 2
      - 0
    .max_flat_workgroup_size: 64
    .name:           _Z35paged_attention_ll4mi_reduce_kernelI14__hip_bfloat16hLi64ELi64ELi256ELi1EEvPT0_PKfS4_PKT_PKiS9_iS4_
    .private_segment_fixed_size: 0
    .sgpr_count:     42
    .sgpr_spill_count: 0
    .symbol:         _Z35paged_attention_ll4mi_reduce_kernelI14__hip_bfloat16hLi64ELi64ELi256ELi1EEvPT0_PKfS4_PKT_PKiS9_iS4_.kd
    .uniform_work_group_size: 1
    .uses_dynamic_stack: false
    .vgpr_count:     49
    .vgpr_spill_count: 0
    .wavefront_size: 32
    .workgroup_processor_mode: 1
  - .args:
      - .actual_access:  write_only
        .address_space:  global
        .offset:         0
        .size:           8
        .value_kind:     global_buffer
      - .actual_access:  read_only
        .address_space:  global
        .offset:         8
        .size:           8
        .value_kind:     global_buffer
      - .actual_access:  read_only
        .address_space:  global
        .offset:         16
        .size:           8
        .value_kind:     global_buffer
      - .actual_access:  read_only
        .address_space:  global
        .offset:         24
        .size:           8
        .value_kind:     global_buffer
      - .actual_access:  read_only
        .address_space:  global
        .offset:         32
        .size:           8
        .value_kind:     global_buffer
      - .actual_access:  read_only
        .address_space:  global
        .offset:         40
        .size:           8
        .value_kind:     global_buffer
      - .offset:         48
        .size:           4
        .value_kind:     by_value
      - .actual_access:  read_only
        .address_space:  global
        .offset:         56
        .size:           8
        .value_kind:     global_buffer
      - .offset:         64
        .size:           4
        .value_kind:     hidden_block_count_x
      - .offset:         68
        .size:           4
        .value_kind:     hidden_block_count_y
      - .offset:         72
        .size:           4
        .value_kind:     hidden_block_count_z
      - .offset:         76
        .size:           2
        .value_kind:     hidden_group_size_x
      - .offset:         78
        .size:           2
        .value_kind:     hidden_group_size_y
      - .offset:         80
        .size:           2
        .value_kind:     hidden_group_size_z
      - .offset:         82
        .size:           2
        .value_kind:     hidden_remainder_x
      - .offset:         84
        .size:           2
        .value_kind:     hidden_remainder_y
      - .offset:         86
        .size:           2
        .value_kind:     hidden_remainder_z
      - .offset:         104
        .size:           8
        .value_kind:     hidden_global_offset_x
      - .offset:         112
        .size:           8
        .value_kind:     hidden_global_offset_y
      - .offset:         120
        .size:           8
        .value_kind:     hidden_global_offset_z
      - .offset:         128
        .size:           2
        .value_kind:     hidden_grid_dims
    .group_segment_fixed_size: 260
    .kernarg_segment_align: 8
    .kernarg_segment_size: 320
    .language:       OpenCL C
    .language_version:
      - 2
      - 0
    .max_flat_workgroup_size: 64
    .name:           _Z35paged_attention_ll4mi_reduce_kernelI14__hip_bfloat16hLi64ELi64ELi256ELi2EEvPT0_PKfS4_PKT_PKiS9_iS4_
    .private_segment_fixed_size: 0
    .sgpr_count:     56
    .sgpr_spill_count: 0
    .symbol:         _Z35paged_attention_ll4mi_reduce_kernelI14__hip_bfloat16hLi64ELi64ELi256ELi2EEvPT0_PKfS4_PKT_PKiS9_iS4_.kd
    .uniform_work_group_size: 1
    .uses_dynamic_stack: false
    .vgpr_count:     52
    .vgpr_spill_count: 0
    .wavefront_size: 32
    .workgroup_processor_mode: 1
  - .args:
      - .actual_access:  write_only
        .address_space:  global
        .offset:         0
        .size:           8
        .value_kind:     global_buffer
      - .actual_access:  read_only
        .address_space:  global
        .offset:         8
        .size:           8
        .value_kind:     global_buffer
      - .actual_access:  read_only
        .address_space:  global
        .offset:         16
        .size:           8
        .value_kind:     global_buffer
      - .actual_access:  read_only
        .address_space:  global
        .offset:         24
        .size:           8
        .value_kind:     global_buffer
      - .actual_access:  read_only
        .address_space:  global
        .offset:         32
        .size:           8
        .value_kind:     global_buffer
      - .actual_access:  read_only
        .address_space:  global
        .offset:         40
        .size:           8
        .value_kind:     global_buffer
      - .offset:         48
        .size:           4
        .value_kind:     by_value
      - .actual_access:  read_only
        .address_space:  global
        .offset:         56
        .size:           8
        .value_kind:     global_buffer
      - .offset:         64
        .size:           4
        .value_kind:     hidden_block_count_x
      - .offset:         68
        .size:           4
        .value_kind:     hidden_block_count_y
      - .offset:         72
        .size:           4
        .value_kind:     hidden_block_count_z
      - .offset:         76
        .size:           2
        .value_kind:     hidden_group_size_x
      - .offset:         78
        .size:           2
        .value_kind:     hidden_group_size_y
      - .offset:         80
        .size:           2
        .value_kind:     hidden_group_size_z
      - .offset:         82
        .size:           2
        .value_kind:     hidden_remainder_x
      - .offset:         84
        .size:           2
        .value_kind:     hidden_remainder_y
      - .offset:         86
        .size:           2
        .value_kind:     hidden_remainder_z
      - .offset:         104
        .size:           8
        .value_kind:     hidden_global_offset_x
      - .offset:         112
        .size:           8
        .value_kind:     hidden_global_offset_y
      - .offset:         120
        .size:           8
        .value_kind:     hidden_global_offset_z
      - .offset:         128
        .size:           2
        .value_kind:     hidden_grid_dims
    .group_segment_fixed_size: 388
    .kernarg_segment_align: 8
    .kernarg_segment_size: 320
    .language:       OpenCL C
    .language_version:
      - 2
      - 0
    .max_flat_workgroup_size: 64
    .name:           _Z35paged_attention_ll4mi_reduce_kernelI14__hip_bfloat16hLi64ELi64ELi256ELi3EEvPT0_PKfS4_PKT_PKiS9_iS4_
    .private_segment_fixed_size: 0
    .sgpr_count:     54
    .sgpr_spill_count: 0
    .symbol:         _Z35paged_attention_ll4mi_reduce_kernelI14__hip_bfloat16hLi64ELi64ELi256ELi3EEvPT0_PKfS4_PKT_PKiS9_iS4_.kd
    .uniform_work_group_size: 1
    .uses_dynamic_stack: false
    .vgpr_count:     52
    .vgpr_spill_count: 0
    .wavefront_size: 32
    .workgroup_processor_mode: 1
  - .args:
      - .actual_access:  write_only
        .address_space:  global
        .offset:         0
        .size:           8
        .value_kind:     global_buffer
      - .actual_access:  read_only
        .address_space:  global
        .offset:         8
        .size:           8
        .value_kind:     global_buffer
      - .actual_access:  read_only
        .address_space:  global
        .offset:         16
        .size:           8
        .value_kind:     global_buffer
      - .actual_access:  read_only
        .address_space:  global
        .offset:         24
        .size:           8
        .value_kind:     global_buffer
      - .actual_access:  read_only
        .address_space:  global
        .offset:         32
        .size:           8
        .value_kind:     global_buffer
      - .actual_access:  read_only
        .address_space:  global
        .offset:         40
        .size:           8
        .value_kind:     global_buffer
      - .offset:         48
        .size:           4
        .value_kind:     by_value
      - .actual_access:  read_only
        .address_space:  global
        .offset:         56
        .size:           8
        .value_kind:     global_buffer
      - .offset:         64
        .size:           4
        .value_kind:     hidden_block_count_x
      - .offset:         68
        .size:           4
        .value_kind:     hidden_block_count_y
      - .offset:         72
        .size:           4
        .value_kind:     hidden_block_count_z
      - .offset:         76
        .size:           2
        .value_kind:     hidden_group_size_x
      - .offset:         78
        .size:           2
        .value_kind:     hidden_group_size_y
      - .offset:         80
        .size:           2
        .value_kind:     hidden_group_size_z
      - .offset:         82
        .size:           2
        .value_kind:     hidden_remainder_x
      - .offset:         84
        .size:           2
        .value_kind:     hidden_remainder_y
      - .offset:         86
        .size:           2
        .value_kind:     hidden_remainder_z
      - .offset:         104
        .size:           8
        .value_kind:     hidden_global_offset_x
      - .offset:         112
        .size:           8
        .value_kind:     hidden_global_offset_y
      - .offset:         120
        .size:           8
        .value_kind:     hidden_global_offset_z
      - .offset:         128
        .size:           2
        .value_kind:     hidden_grid_dims
    .group_segment_fixed_size: 516
    .kernarg_segment_align: 8
    .kernarg_segment_size: 320
    .language:       OpenCL C
    .language_version:
      - 2
      - 0
    .max_flat_workgroup_size: 64
    .name:           _Z35paged_attention_ll4mi_reduce_kernelI14__hip_bfloat16hLi64ELi64ELi256ELi4EEvPT0_PKfS4_PKT_PKiS9_iS4_
    .private_segment_fixed_size: 0
    .sgpr_count:     54
    .sgpr_spill_count: 0
    .symbol:         _Z35paged_attention_ll4mi_reduce_kernelI14__hip_bfloat16hLi64ELi64ELi256ELi4EEvPT0_PKfS4_PKT_PKiS9_iS4_.kd
    .uniform_work_group_size: 1
    .uses_dynamic_stack: false
    .vgpr_count:     52
    .vgpr_spill_count: 0
    .wavefront_size: 32
    .workgroup_processor_mode: 1
  - .args:
      - .actual_access:  write_only
        .address_space:  global
        .offset:         0
        .size:           8
        .value_kind:     global_buffer
      - .actual_access:  read_only
        .address_space:  global
        .offset:         8
        .size:           8
        .value_kind:     global_buffer
      - .actual_access:  read_only
        .address_space:  global
        .offset:         16
        .size:           8
        .value_kind:     global_buffer
      - .actual_access:  read_only
        .address_space:  global
        .offset:         24
        .size:           8
        .value_kind:     global_buffer
      - .actual_access:  read_only
        .address_space:  global
        .offset:         32
        .size:           8
        .value_kind:     global_buffer
      - .actual_access:  read_only
        .address_space:  global
        .offset:         40
        .size:           8
        .value_kind:     global_buffer
      - .offset:         48
        .size:           4
        .value_kind:     by_value
      - .actual_access:  read_only
        .address_space:  global
        .offset:         56
        .size:           8
        .value_kind:     global_buffer
      - .offset:         64
        .size:           4
        .value_kind:     hidden_block_count_x
      - .offset:         68
        .size:           4
        .value_kind:     hidden_block_count_y
      - .offset:         72
        .size:           4
        .value_kind:     hidden_block_count_z
      - .offset:         76
        .size:           2
        .value_kind:     hidden_group_size_x
      - .offset:         78
        .size:           2
        .value_kind:     hidden_group_size_y
      - .offset:         80
        .size:           2
        .value_kind:     hidden_group_size_z
      - .offset:         82
        .size:           2
        .value_kind:     hidden_remainder_x
      - .offset:         84
        .size:           2
        .value_kind:     hidden_remainder_y
      - .offset:         86
        .size:           2
        .value_kind:     hidden_remainder_z
      - .offset:         104
        .size:           8
        .value_kind:     hidden_global_offset_x
      - .offset:         112
        .size:           8
        .value_kind:     hidden_global_offset_y
      - .offset:         120
        .size:           8
        .value_kind:     hidden_global_offset_z
      - .offset:         128
        .size:           2
        .value_kind:     hidden_grid_dims
    .group_segment_fixed_size: 644
    .kernarg_segment_align: 8
    .kernarg_segment_size: 320
    .language:       OpenCL C
    .language_version:
      - 2
      - 0
    .max_flat_workgroup_size: 64
    .name:           _Z35paged_attention_ll4mi_reduce_kernelI14__hip_bfloat16hLi64ELi64ELi256ELi5EEvPT0_PKfS4_PKT_PKiS9_iS4_
    .private_segment_fixed_size: 0
    .sgpr_count:     54
    .sgpr_spill_count: 0
    .symbol:         _Z35paged_attention_ll4mi_reduce_kernelI14__hip_bfloat16hLi64ELi64ELi256ELi5EEvPT0_PKfS4_PKT_PKiS9_iS4_.kd
    .uniform_work_group_size: 1
    .uses_dynamic_stack: false
    .vgpr_count:     52
    .vgpr_spill_count: 0
    .wavefront_size: 32
    .workgroup_processor_mode: 1
  - .args:
      - .actual_access:  write_only
        .address_space:  global
        .offset:         0
        .size:           8
        .value_kind:     global_buffer
      - .actual_access:  read_only
        .address_space:  global
        .offset:         8
        .size:           8
        .value_kind:     global_buffer
      - .actual_access:  read_only
        .address_space:  global
        .offset:         16
        .size:           8
        .value_kind:     global_buffer
      - .actual_access:  read_only
        .address_space:  global
        .offset:         24
        .size:           8
        .value_kind:     global_buffer
      - .actual_access:  read_only
        .address_space:  global
        .offset:         32
        .size:           8
        .value_kind:     global_buffer
      - .actual_access:  read_only
        .address_space:  global
        .offset:         40
        .size:           8
        .value_kind:     global_buffer
      - .offset:         48
        .size:           4
        .value_kind:     by_value
      - .actual_access:  read_only
        .address_space:  global
        .offset:         56
        .size:           8
        .value_kind:     global_buffer
      - .offset:         64
        .size:           4
        .value_kind:     hidden_block_count_x
      - .offset:         68
        .size:           4
        .value_kind:     hidden_block_count_y
      - .offset:         72
        .size:           4
        .value_kind:     hidden_block_count_z
      - .offset:         76
        .size:           2
        .value_kind:     hidden_group_size_x
      - .offset:         78
        .size:           2
        .value_kind:     hidden_group_size_y
      - .offset:         80
        .size:           2
        .value_kind:     hidden_group_size_z
      - .offset:         82
        .size:           2
        .value_kind:     hidden_remainder_x
      - .offset:         84
        .size:           2
        .value_kind:     hidden_remainder_y
      - .offset:         86
        .size:           2
        .value_kind:     hidden_remainder_z
      - .offset:         104
        .size:           8
        .value_kind:     hidden_global_offset_x
      - .offset:         112
        .size:           8
        .value_kind:     hidden_global_offset_y
      - .offset:         120
        .size:           8
        .value_kind:     hidden_global_offset_z
      - .offset:         128
        .size:           2
        .value_kind:     hidden_grid_dims
    .group_segment_fixed_size: 772
    .kernarg_segment_align: 8
    .kernarg_segment_size: 320
    .language:       OpenCL C
    .language_version:
      - 2
      - 0
    .max_flat_workgroup_size: 64
    .name:           _Z35paged_attention_ll4mi_reduce_kernelI14__hip_bfloat16hLi64ELi64ELi256ELi6EEvPT0_PKfS4_PKT_PKiS9_iS4_
    .private_segment_fixed_size: 0
    .sgpr_count:     51
    .sgpr_spill_count: 0
    .symbol:         _Z35paged_attention_ll4mi_reduce_kernelI14__hip_bfloat16hLi64ELi64ELi256ELi6EEvPT0_PKfS4_PKT_PKiS9_iS4_.kd
    .uniform_work_group_size: 1
    .uses_dynamic_stack: false
    .vgpr_count:     52
    .vgpr_spill_count: 0
    .wavefront_size: 32
    .workgroup_processor_mode: 1
  - .args:
      - .actual_access:  write_only
        .address_space:  global
        .offset:         0
        .size:           8
        .value_kind:     global_buffer
      - .actual_access:  read_only
        .address_space:  global
        .offset:         8
        .size:           8
        .value_kind:     global_buffer
      - .actual_access:  read_only
        .address_space:  global
        .offset:         16
        .size:           8
        .value_kind:     global_buffer
      - .actual_access:  read_only
        .address_space:  global
        .offset:         24
        .size:           8
        .value_kind:     global_buffer
      - .actual_access:  read_only
        .address_space:  global
        .offset:         32
        .size:           8
        .value_kind:     global_buffer
      - .actual_access:  read_only
        .address_space:  global
        .offset:         40
        .size:           8
        .value_kind:     global_buffer
      - .offset:         48
        .size:           4
        .value_kind:     by_value
      - .actual_access:  read_only
        .address_space:  global
        .offset:         56
        .size:           8
        .value_kind:     global_buffer
      - .offset:         64
        .size:           4
        .value_kind:     hidden_block_count_x
      - .offset:         68
        .size:           4
        .value_kind:     hidden_block_count_y
      - .offset:         72
        .size:           4
        .value_kind:     hidden_block_count_z
      - .offset:         76
        .size:           2
        .value_kind:     hidden_group_size_x
      - .offset:         78
        .size:           2
        .value_kind:     hidden_group_size_y
      - .offset:         80
        .size:           2
        .value_kind:     hidden_group_size_z
      - .offset:         82
        .size:           2
        .value_kind:     hidden_remainder_x
      - .offset:         84
        .size:           2
        .value_kind:     hidden_remainder_y
      - .offset:         86
        .size:           2
        .value_kind:     hidden_remainder_z
      - .offset:         104
        .size:           8
        .value_kind:     hidden_global_offset_x
      - .offset:         112
        .size:           8
        .value_kind:     hidden_global_offset_y
      - .offset:         120
        .size:           8
        .value_kind:     hidden_global_offset_z
      - .offset:         128
        .size:           2
        .value_kind:     hidden_grid_dims
    .group_segment_fixed_size: 900
    .kernarg_segment_align: 8
    .kernarg_segment_size: 320
    .language:       OpenCL C
    .language_version:
      - 2
      - 0
    .max_flat_workgroup_size: 64
    .name:           _Z35paged_attention_ll4mi_reduce_kernelI14__hip_bfloat16hLi64ELi64ELi256ELi7EEvPT0_PKfS4_PKT_PKiS9_iS4_
    .private_segment_fixed_size: 0
    .sgpr_count:     51
    .sgpr_spill_count: 0
    .symbol:         _Z35paged_attention_ll4mi_reduce_kernelI14__hip_bfloat16hLi64ELi64ELi256ELi7EEvPT0_PKfS4_PKT_PKiS9_iS4_.kd
    .uniform_work_group_size: 1
    .uses_dynamic_stack: false
    .vgpr_count:     52
    .vgpr_spill_count: 0
    .wavefront_size: 32
    .workgroup_processor_mode: 1
  - .args:
      - .actual_access:  write_only
        .address_space:  global
        .offset:         0
        .size:           8
        .value_kind:     global_buffer
      - .actual_access:  read_only
        .address_space:  global
        .offset:         8
        .size:           8
        .value_kind:     global_buffer
      - .actual_access:  read_only
        .address_space:  global
        .offset:         16
        .size:           8
        .value_kind:     global_buffer
      - .actual_access:  read_only
        .address_space:  global
        .offset:         24
        .size:           8
        .value_kind:     global_buffer
      - .actual_access:  read_only
        .address_space:  global
        .offset:         32
        .size:           8
        .value_kind:     global_buffer
      - .actual_access:  read_only
        .address_space:  global
        .offset:         40
        .size:           8
        .value_kind:     global_buffer
      - .offset:         48
        .size:           4
        .value_kind:     by_value
      - .actual_access:  read_only
        .address_space:  global
        .offset:         56
        .size:           8
        .value_kind:     global_buffer
      - .offset:         64
        .size:           4
        .value_kind:     hidden_block_count_x
      - .offset:         68
        .size:           4
        .value_kind:     hidden_block_count_y
      - .offset:         72
        .size:           4
        .value_kind:     hidden_block_count_z
      - .offset:         76
        .size:           2
        .value_kind:     hidden_group_size_x
      - .offset:         78
        .size:           2
        .value_kind:     hidden_group_size_y
      - .offset:         80
        .size:           2
        .value_kind:     hidden_group_size_z
      - .offset:         82
        .size:           2
        .value_kind:     hidden_remainder_x
      - .offset:         84
        .size:           2
        .value_kind:     hidden_remainder_y
      - .offset:         86
        .size:           2
        .value_kind:     hidden_remainder_z
      - .offset:         104
        .size:           8
        .value_kind:     hidden_global_offset_x
      - .offset:         112
        .size:           8
        .value_kind:     hidden_global_offset_y
      - .offset:         120
        .size:           8
        .value_kind:     hidden_global_offset_z
      - .offset:         128
        .size:           2
        .value_kind:     hidden_grid_dims
    .group_segment_fixed_size: 1028
    .kernarg_segment_align: 8
    .kernarg_segment_size: 320
    .language:       OpenCL C
    .language_version:
      - 2
      - 0
    .max_flat_workgroup_size: 64
    .name:           _Z35paged_attention_ll4mi_reduce_kernelI14__hip_bfloat16hLi64ELi64ELi256ELi8EEvPT0_PKfS4_PKT_PKiS9_iS4_
    .private_segment_fixed_size: 0
    .sgpr_count:     51
    .sgpr_spill_count: 0
    .symbol:         _Z35paged_attention_ll4mi_reduce_kernelI14__hip_bfloat16hLi64ELi64ELi256ELi8EEvPT0_PKfS4_PKT_PKiS9_iS4_.kd
    .uniform_work_group_size: 1
    .uses_dynamic_stack: false
    .vgpr_count:     52
    .vgpr_spill_count: 0
    .wavefront_size: 32
    .workgroup_processor_mode: 1
  - .args:
      - .actual_access:  read_only
        .address_space:  global
        .offset:         0
        .size:           8
        .value_kind:     global_buffer
      - .actual_access:  read_only
        .address_space:  global
        .offset:         8
        .size:           8
        .value_kind:     global_buffer
      - .actual_access:  read_only
        .address_space:  global
        .offset:         16
        .size:           8
        .value_kind:     global_buffer
      - .offset:         24
        .size:           4
        .value_kind:     by_value
      - .offset:         28
        .size:           4
        .value_kind:     by_value
      - .actual_access:  read_only
        .address_space:  global
        .offset:         32
        .size:           8
        .value_kind:     global_buffer
      - .actual_access:  read_only
        .address_space:  global
        .offset:         40
        .size:           8
        .value_kind:     global_buffer
      - .actual_access:  read_only
        .address_space:  global
        .offset:         48
        .size:           8
        .value_kind:     global_buffer
      - .offset:         56
        .size:           4
        .value_kind:     by_value
      - .actual_access:  read_only
        .address_space:  global
        .offset:         64
        .size:           8
        .value_kind:     global_buffer
      - .offset:         72
        .size:           4
        .value_kind:     by_value
      - .offset:         76
        .size:           4
        .value_kind:     by_value
      - .offset:         80
        .size:           4
        .value_kind:     by_value
      - .actual_access:  write_only
        .address_space:  global
        .offset:         88
        .size:           8
        .value_kind:     global_buffer
      - .actual_access:  write_only
        .address_space:  global
        .offset:         96
        .size:           8
        .value_kind:     global_buffer
      - .actual_access:  write_only
        .address_space:  global
        .offset:         104
        .size:           8
        .value_kind:     global_buffer
      - .actual_access:  read_only
        .address_space:  global
        .offset:         112
        .size:           8
        .value_kind:     global_buffer
      - .offset:         120
        .size:           4
        .value_kind:     by_value
      - .address_space:  global
        .offset:         128
        .size:           8
        .value_kind:     global_buffer
      - .address_space:  global
        .offset:         136
        .size:           8
        .value_kind:     global_buffer
      - .offset:         144
        .size:           4
        .value_kind:     hidden_block_count_x
      - .offset:         148
        .size:           4
        .value_kind:     hidden_block_count_y
      - .offset:         152
        .size:           4
        .value_kind:     hidden_block_count_z
      - .offset:         156
        .size:           2
        .value_kind:     hidden_group_size_x
      - .offset:         158
        .size:           2
        .value_kind:     hidden_group_size_y
      - .offset:         160
        .size:           2
        .value_kind:     hidden_group_size_z
      - .offset:         162
        .size:           2
        .value_kind:     hidden_remainder_x
      - .offset:         164
        .size:           2
        .value_kind:     hidden_remainder_y
      - .offset:         166
        .size:           2
        .value_kind:     hidden_remainder_z
      - .offset:         184
        .size:           8
        .value_kind:     hidden_global_offset_x
      - .offset:         192
        .size:           8
        .value_kind:     hidden_global_offset_y
      - .offset:         200
        .size:           8
        .value_kind:     hidden_global_offset_z
      - .offset:         208
        .size:           2
        .value_kind:     hidden_grid_dims
    .group_segment_fixed_size: 17472
    .kernarg_segment_align: 8
    .kernarg_segment_size: 400
    .language:       OpenCL C
    .language_version:
      - 2
      - 0
    .max_flat_workgroup_size: 256
    .name:           _Z39paged_attention_ll4mi_QKV_mfma16_kernelI14__hip_bfloat16S0_LN4vllm18Fp8KVCacheDataTypeE0EhLi16ELi64ELi256ELb1ELi1EL8MFMAType0EEvPKT_PKT0_S9_ifPKiSB_SB_iPKfiiiPfSE_PS4_PT2_iSD_SD_
    .private_segment_fixed_size: 0
    .sgpr_count:     69
    .sgpr_spill_count: 0
    .symbol:         _Z39paged_attention_ll4mi_QKV_mfma16_kernelI14__hip_bfloat16S0_LN4vllm18Fp8KVCacheDataTypeE0EhLi16ELi64ELi256ELb1ELi1EL8MFMAType0EEvPKT_PKT0_S9_ifPKiSB_SB_iPKfiiiPfSE_PS4_PT2_iSD_SD_.kd
    .uniform_work_group_size: 1
    .uses_dynamic_stack: false
    .vgpr_count:     193
    .vgpr_spill_count: 0
    .wavefront_size: 32
    .workgroup_processor_mode: 1
  - .args:
      - .actual_access:  read_only
        .address_space:  global
        .offset:         0
        .size:           8
        .value_kind:     global_buffer
      - .actual_access:  read_only
        .address_space:  global
        .offset:         8
        .size:           8
        .value_kind:     global_buffer
      - .actual_access:  read_only
        .address_space:  global
        .offset:         16
        .size:           8
        .value_kind:     global_buffer
      - .offset:         24
        .size:           4
        .value_kind:     by_value
      - .offset:         28
        .size:           4
        .value_kind:     by_value
      - .actual_access:  read_only
        .address_space:  global
        .offset:         32
        .size:           8
        .value_kind:     global_buffer
      - .actual_access:  read_only
        .address_space:  global
        .offset:         40
        .size:           8
        .value_kind:     global_buffer
      - .actual_access:  read_only
        .address_space:  global
        .offset:         48
        .size:           8
        .value_kind:     global_buffer
      - .offset:         56
        .size:           4
        .value_kind:     by_value
      - .actual_access:  read_only
        .address_space:  global
        .offset:         64
        .size:           8
        .value_kind:     global_buffer
      - .offset:         72
        .size:           4
        .value_kind:     by_value
      - .offset:         76
        .size:           4
        .value_kind:     by_value
      - .offset:         80
        .size:           4
        .value_kind:     by_value
      - .actual_access:  write_only
        .address_space:  global
        .offset:         88
        .size:           8
        .value_kind:     global_buffer
      - .actual_access:  write_only
        .address_space:  global
        .offset:         96
        .size:           8
        .value_kind:     global_buffer
      - .actual_access:  write_only
        .address_space:  global
        .offset:         104
        .size:           8
        .value_kind:     global_buffer
      - .actual_access:  read_only
        .address_space:  global
        .offset:         112
        .size:           8
        .value_kind:     global_buffer
      - .offset:         120
        .size:           4
        .value_kind:     by_value
      - .address_space:  global
        .offset:         128
        .size:           8
        .value_kind:     global_buffer
      - .address_space:  global
        .offset:         136
        .size:           8
        .value_kind:     global_buffer
      - .offset:         144
        .size:           4
        .value_kind:     hidden_block_count_x
      - .offset:         148
        .size:           4
        .value_kind:     hidden_block_count_y
      - .offset:         152
        .size:           4
        .value_kind:     hidden_block_count_z
      - .offset:         156
        .size:           2
        .value_kind:     hidden_group_size_x
      - .offset:         158
        .size:           2
        .value_kind:     hidden_group_size_y
      - .offset:         160
        .size:           2
        .value_kind:     hidden_group_size_z
      - .offset:         162
        .size:           2
        .value_kind:     hidden_remainder_x
      - .offset:         164
        .size:           2
        .value_kind:     hidden_remainder_y
      - .offset:         166
        .size:           2
        .value_kind:     hidden_remainder_z
      - .offset:         184
        .size:           8
        .value_kind:     hidden_global_offset_x
      - .offset:         192
        .size:           8
        .value_kind:     hidden_global_offset_y
      - .offset:         200
        .size:           8
        .value_kind:     hidden_global_offset_z
      - .offset:         208
        .size:           2
        .value_kind:     hidden_grid_dims
    .group_segment_fixed_size: 17472
    .kernarg_segment_align: 8
    .kernarg_segment_size: 400
    .language:       OpenCL C
    .language_version:
      - 2
      - 0
    .max_flat_workgroup_size: 256
    .name:           _Z39paged_attention_ll4mi_QKV_mfma16_kernelI14__hip_bfloat16S0_LN4vllm18Fp8KVCacheDataTypeE0EhLi16ELi64ELi256ELb1ELi2EL8MFMAType0EEvPKT_PKT0_S9_ifPKiSB_SB_iPKfiiiPfSE_PS4_PT2_iSD_SD_
    .private_segment_fixed_size: 0
    .sgpr_count:     54
    .sgpr_spill_count: 0
    .symbol:         _Z39paged_attention_ll4mi_QKV_mfma16_kernelI14__hip_bfloat16S0_LN4vllm18Fp8KVCacheDataTypeE0EhLi16ELi64ELi256ELb1ELi2EL8MFMAType0EEvPKT_PKT0_S9_ifPKiSB_SB_iPKfiiiPfSE_PS4_PT2_iSD_SD_.kd
    .uniform_work_group_size: 1
    .uses_dynamic_stack: false
    .vgpr_count:     202
    .vgpr_spill_count: 0
    .wavefront_size: 32
    .workgroup_processor_mode: 1
  - .args:
      - .actual_access:  read_only
        .address_space:  global
        .offset:         0
        .size:           8
        .value_kind:     global_buffer
      - .actual_access:  read_only
        .address_space:  global
        .offset:         8
        .size:           8
        .value_kind:     global_buffer
      - .actual_access:  read_only
        .address_space:  global
        .offset:         16
        .size:           8
        .value_kind:     global_buffer
      - .offset:         24
        .size:           4
        .value_kind:     by_value
      - .offset:         28
        .size:           4
        .value_kind:     by_value
      - .actual_access:  read_only
        .address_space:  global
        .offset:         32
        .size:           8
        .value_kind:     global_buffer
      - .actual_access:  read_only
        .address_space:  global
        .offset:         40
        .size:           8
        .value_kind:     global_buffer
      - .actual_access:  read_only
        .address_space:  global
        .offset:         48
        .size:           8
        .value_kind:     global_buffer
      - .offset:         56
        .size:           4
        .value_kind:     by_value
      - .actual_access:  read_only
        .address_space:  global
        .offset:         64
        .size:           8
        .value_kind:     global_buffer
      - .offset:         72
        .size:           4
        .value_kind:     by_value
      - .offset:         76
        .size:           4
        .value_kind:     by_value
      - .offset:         80
        .size:           4
        .value_kind:     by_value
      - .actual_access:  write_only
        .address_space:  global
        .offset:         88
        .size:           8
        .value_kind:     global_buffer
      - .actual_access:  write_only
        .address_space:  global
        .offset:         96
        .size:           8
        .value_kind:     global_buffer
      - .actual_access:  write_only
        .address_space:  global
        .offset:         104
        .size:           8
        .value_kind:     global_buffer
      - .actual_access:  read_only
        .address_space:  global
        .offset:         112
        .size:           8
        .value_kind:     global_buffer
      - .offset:         120
        .size:           4
        .value_kind:     by_value
      - .address_space:  global
        .offset:         128
        .size:           8
        .value_kind:     global_buffer
      - .address_space:  global
        .offset:         136
        .size:           8
        .value_kind:     global_buffer
      - .offset:         144
        .size:           4
        .value_kind:     hidden_block_count_x
      - .offset:         148
        .size:           4
        .value_kind:     hidden_block_count_y
      - .offset:         152
        .size:           4
        .value_kind:     hidden_block_count_z
      - .offset:         156
        .size:           2
        .value_kind:     hidden_group_size_x
      - .offset:         158
        .size:           2
        .value_kind:     hidden_group_size_y
      - .offset:         160
        .size:           2
        .value_kind:     hidden_group_size_z
      - .offset:         162
        .size:           2
        .value_kind:     hidden_remainder_x
      - .offset:         164
        .size:           2
        .value_kind:     hidden_remainder_y
      - .offset:         166
        .size:           2
        .value_kind:     hidden_remainder_z
      - .offset:         184
        .size:           8
        .value_kind:     hidden_global_offset_x
      - .offset:         192
        .size:           8
        .value_kind:     hidden_global_offset_y
      - .offset:         200
        .size:           8
        .value_kind:     hidden_global_offset_z
      - .offset:         208
        .size:           2
        .value_kind:     hidden_grid_dims
    .group_segment_fixed_size: 17472
    .kernarg_segment_align: 8
    .kernarg_segment_size: 400
    .language:       OpenCL C
    .language_version:
      - 2
      - 0
    .max_flat_workgroup_size: 256
    .name:           _Z39paged_attention_ll4mi_QKV_mfma16_kernelI14__hip_bfloat16S0_LN4vllm18Fp8KVCacheDataTypeE0EhLi16ELi64ELi256ELb1ELi3EL8MFMAType0EEvPKT_PKT0_S9_ifPKiSB_SB_iPKfiiiPfSE_PS4_PT2_iSD_SD_
    .private_segment_fixed_size: 0
    .sgpr_count:     54
    .sgpr_spill_count: 0
    .symbol:         _Z39paged_attention_ll4mi_QKV_mfma16_kernelI14__hip_bfloat16S0_LN4vllm18Fp8KVCacheDataTypeE0EhLi16ELi64ELi256ELb1ELi3EL8MFMAType0EEvPKT_PKT0_S9_ifPKiSB_SB_iPKfiiiPfSE_PS4_PT2_iSD_SD_.kd
    .uniform_work_group_size: 1
    .uses_dynamic_stack: false
    .vgpr_count:     198
    .vgpr_spill_count: 0
    .wavefront_size: 32
    .workgroup_processor_mode: 1
  - .args:
      - .actual_access:  read_only
        .address_space:  global
        .offset:         0
        .size:           8
        .value_kind:     global_buffer
      - .actual_access:  read_only
        .address_space:  global
        .offset:         8
        .size:           8
        .value_kind:     global_buffer
      - .actual_access:  read_only
        .address_space:  global
        .offset:         16
        .size:           8
        .value_kind:     global_buffer
      - .offset:         24
        .size:           4
        .value_kind:     by_value
      - .offset:         28
        .size:           4
        .value_kind:     by_value
      - .actual_access:  read_only
        .address_space:  global
        .offset:         32
        .size:           8
        .value_kind:     global_buffer
      - .actual_access:  read_only
        .address_space:  global
        .offset:         40
        .size:           8
        .value_kind:     global_buffer
      - .actual_access:  read_only
        .address_space:  global
        .offset:         48
        .size:           8
        .value_kind:     global_buffer
      - .offset:         56
        .size:           4
        .value_kind:     by_value
      - .actual_access:  read_only
        .address_space:  global
        .offset:         64
        .size:           8
        .value_kind:     global_buffer
      - .offset:         72
        .size:           4
        .value_kind:     by_value
      - .offset:         76
        .size:           4
        .value_kind:     by_value
      - .offset:         80
        .size:           4
        .value_kind:     by_value
      - .actual_access:  write_only
        .address_space:  global
        .offset:         88
        .size:           8
        .value_kind:     global_buffer
      - .actual_access:  write_only
        .address_space:  global
        .offset:         96
        .size:           8
        .value_kind:     global_buffer
      - .actual_access:  write_only
        .address_space:  global
        .offset:         104
        .size:           8
        .value_kind:     global_buffer
      - .actual_access:  read_only
        .address_space:  global
        .offset:         112
        .size:           8
        .value_kind:     global_buffer
      - .offset:         120
        .size:           4
        .value_kind:     by_value
      - .address_space:  global
        .offset:         128
        .size:           8
        .value_kind:     global_buffer
      - .address_space:  global
        .offset:         136
        .size:           8
        .value_kind:     global_buffer
      - .offset:         144
        .size:           4
        .value_kind:     hidden_block_count_x
      - .offset:         148
        .size:           4
        .value_kind:     hidden_block_count_y
      - .offset:         152
        .size:           4
        .value_kind:     hidden_block_count_z
      - .offset:         156
        .size:           2
        .value_kind:     hidden_group_size_x
      - .offset:         158
        .size:           2
        .value_kind:     hidden_group_size_y
      - .offset:         160
        .size:           2
        .value_kind:     hidden_group_size_z
      - .offset:         162
        .size:           2
        .value_kind:     hidden_remainder_x
      - .offset:         164
        .size:           2
        .value_kind:     hidden_remainder_y
      - .offset:         166
        .size:           2
        .value_kind:     hidden_remainder_z
      - .offset:         184
        .size:           8
        .value_kind:     hidden_global_offset_x
      - .offset:         192
        .size:           8
        .value_kind:     hidden_global_offset_y
      - .offset:         200
        .size:           8
        .value_kind:     hidden_global_offset_z
      - .offset:         208
        .size:           2
        .value_kind:     hidden_grid_dims
    .group_segment_fixed_size: 17472
    .kernarg_segment_align: 8
    .kernarg_segment_size: 400
    .language:       OpenCL C
    .language_version:
      - 2
      - 0
    .max_flat_workgroup_size: 256
    .name:           _Z39paged_attention_ll4mi_QKV_mfma16_kernelI14__hip_bfloat16S0_LN4vllm18Fp8KVCacheDataTypeE0EhLi16ELi64ELi256ELb1ELi4EL8MFMAType0EEvPKT_PKT0_S9_ifPKiSB_SB_iPKfiiiPfSE_PS4_PT2_iSD_SD_
    .private_segment_fixed_size: 0
    .sgpr_count:     54
    .sgpr_spill_count: 0
    .symbol:         _Z39paged_attention_ll4mi_QKV_mfma16_kernelI14__hip_bfloat16S0_LN4vllm18Fp8KVCacheDataTypeE0EhLi16ELi64ELi256ELb1ELi4EL8MFMAType0EEvPKT_PKT0_S9_ifPKiSB_SB_iPKfiiiPfSE_PS4_PT2_iSD_SD_.kd
    .uniform_work_group_size: 1
    .uses_dynamic_stack: false
    .vgpr_count:     198
    .vgpr_spill_count: 0
    .wavefront_size: 32
    .workgroup_processor_mode: 1
  - .args:
      - .actual_access:  write_only
        .address_space:  global
        .offset:         0
        .size:           8
        .value_kind:     global_buffer
      - .actual_access:  read_only
        .address_space:  global
        .offset:         8
        .size:           8
        .value_kind:     global_buffer
      - .actual_access:  read_only
        .address_space:  global
        .offset:         16
        .size:           8
        .value_kind:     global_buffer
      - .actual_access:  read_only
        .address_space:  global
        .offset:         24
        .size:           8
        .value_kind:     global_buffer
      - .actual_access:  read_only
        .address_space:  global
        .offset:         32
        .size:           8
        .value_kind:     global_buffer
      - .actual_access:  read_only
        .address_space:  global
        .offset:         40
        .size:           8
        .value_kind:     global_buffer
      - .offset:         48
        .size:           4
        .value_kind:     by_value
      - .actual_access:  read_only
        .address_space:  global
        .offset:         56
        .size:           8
        .value_kind:     global_buffer
      - .offset:         64
        .size:           4
        .value_kind:     hidden_block_count_x
      - .offset:         68
        .size:           4
        .value_kind:     hidden_block_count_y
      - .offset:         72
        .size:           4
        .value_kind:     hidden_block_count_z
      - .offset:         76
        .size:           2
        .value_kind:     hidden_group_size_x
      - .offset:         78
        .size:           2
        .value_kind:     hidden_group_size_y
      - .offset:         80
        .size:           2
        .value_kind:     hidden_group_size_z
      - .offset:         82
        .size:           2
        .value_kind:     hidden_remainder_x
      - .offset:         84
        .size:           2
        .value_kind:     hidden_remainder_y
      - .offset:         86
        .size:           2
        .value_kind:     hidden_remainder_z
      - .offset:         104
        .size:           8
        .value_kind:     hidden_global_offset_x
      - .offset:         112
        .size:           8
        .value_kind:     hidden_global_offset_y
      - .offset:         120
        .size:           8
        .value_kind:     hidden_global_offset_z
      - .offset:         128
        .size:           2
        .value_kind:     hidden_grid_dims
    .group_segment_fixed_size: 1156
    .kernarg_segment_align: 8
    .kernarg_segment_size: 320
    .language:       OpenCL C
    .language_version:
      - 2
      - 0
    .max_flat_workgroup_size: 64
    .name:           _Z35paged_attention_ll4mi_reduce_kernelI14__hip_bfloat16hLi64ELi64ELi256ELi9EEvPT0_PKfS4_PKT_PKiS9_iS4_
    .private_segment_fixed_size: 0
    .sgpr_count:     51
    .sgpr_spill_count: 0
    .symbol:         _Z35paged_attention_ll4mi_reduce_kernelI14__hip_bfloat16hLi64ELi64ELi256ELi9EEvPT0_PKfS4_PKT_PKiS9_iS4_.kd
    .uniform_work_group_size: 1
    .uses_dynamic_stack: false
    .vgpr_count:     52
    .vgpr_spill_count: 0
    .wavefront_size: 32
    .workgroup_processor_mode: 1
  - .args:
      - .actual_access:  write_only
        .address_space:  global
        .offset:         0
        .size:           8
        .value_kind:     global_buffer
      - .actual_access:  read_only
        .address_space:  global
        .offset:         8
        .size:           8
        .value_kind:     global_buffer
      - .actual_access:  read_only
        .address_space:  global
        .offset:         16
        .size:           8
        .value_kind:     global_buffer
      - .actual_access:  read_only
        .address_space:  global
        .offset:         24
        .size:           8
        .value_kind:     global_buffer
      - .actual_access:  read_only
        .address_space:  global
        .offset:         32
        .size:           8
        .value_kind:     global_buffer
      - .actual_access:  read_only
        .address_space:  global
        .offset:         40
        .size:           8
        .value_kind:     global_buffer
      - .offset:         48
        .size:           4
        .value_kind:     by_value
      - .actual_access:  read_only
        .address_space:  global
        .offset:         56
        .size:           8
        .value_kind:     global_buffer
      - .offset:         64
        .size:           4
        .value_kind:     hidden_block_count_x
      - .offset:         68
        .size:           4
        .value_kind:     hidden_block_count_y
      - .offset:         72
        .size:           4
        .value_kind:     hidden_block_count_z
      - .offset:         76
        .size:           2
        .value_kind:     hidden_group_size_x
      - .offset:         78
        .size:           2
        .value_kind:     hidden_group_size_y
      - .offset:         80
        .size:           2
        .value_kind:     hidden_group_size_z
      - .offset:         82
        .size:           2
        .value_kind:     hidden_remainder_x
      - .offset:         84
        .size:           2
        .value_kind:     hidden_remainder_y
      - .offset:         86
        .size:           2
        .value_kind:     hidden_remainder_z
      - .offset:         104
        .size:           8
        .value_kind:     hidden_global_offset_x
      - .offset:         112
        .size:           8
        .value_kind:     hidden_global_offset_y
      - .offset:         120
        .size:           8
        .value_kind:     hidden_global_offset_z
      - .offset:         128
        .size:           2
        .value_kind:     hidden_grid_dims
    .group_segment_fixed_size: 1284
    .kernarg_segment_align: 8
    .kernarg_segment_size: 320
    .language:       OpenCL C
    .language_version:
      - 2
      - 0
    .max_flat_workgroup_size: 64
    .name:           _Z35paged_attention_ll4mi_reduce_kernelI14__hip_bfloat16hLi64ELi64ELi256ELi10EEvPT0_PKfS4_PKT_PKiS9_iS4_
    .private_segment_fixed_size: 0
    .sgpr_count:     51
    .sgpr_spill_count: 0
    .symbol:         _Z35paged_attention_ll4mi_reduce_kernelI14__hip_bfloat16hLi64ELi64ELi256ELi10EEvPT0_PKfS4_PKT_PKiS9_iS4_.kd
    .uniform_work_group_size: 1
    .uses_dynamic_stack: false
    .vgpr_count:     57
    .vgpr_spill_count: 0
    .wavefront_size: 32
    .workgroup_processor_mode: 1
  - .args:
      - .actual_access:  write_only
        .address_space:  global
        .offset:         0
        .size:           8
        .value_kind:     global_buffer
      - .actual_access:  read_only
        .address_space:  global
        .offset:         8
        .size:           8
        .value_kind:     global_buffer
      - .actual_access:  read_only
        .address_space:  global
        .offset:         16
        .size:           8
        .value_kind:     global_buffer
      - .actual_access:  read_only
        .address_space:  global
        .offset:         24
        .size:           8
        .value_kind:     global_buffer
      - .actual_access:  read_only
        .address_space:  global
        .offset:         32
        .size:           8
        .value_kind:     global_buffer
      - .actual_access:  read_only
        .address_space:  global
        .offset:         40
        .size:           8
        .value_kind:     global_buffer
      - .offset:         48
        .size:           4
        .value_kind:     by_value
      - .actual_access:  read_only
        .address_space:  global
        .offset:         56
        .size:           8
        .value_kind:     global_buffer
      - .offset:         64
        .size:           4
        .value_kind:     hidden_block_count_x
      - .offset:         68
        .size:           4
        .value_kind:     hidden_block_count_y
      - .offset:         72
        .size:           4
        .value_kind:     hidden_block_count_z
      - .offset:         76
        .size:           2
        .value_kind:     hidden_group_size_x
      - .offset:         78
        .size:           2
        .value_kind:     hidden_group_size_y
      - .offset:         80
        .size:           2
        .value_kind:     hidden_group_size_z
      - .offset:         82
        .size:           2
        .value_kind:     hidden_remainder_x
      - .offset:         84
        .size:           2
        .value_kind:     hidden_remainder_y
      - .offset:         86
        .size:           2
        .value_kind:     hidden_remainder_z
      - .offset:         104
        .size:           8
        .value_kind:     hidden_global_offset_x
      - .offset:         112
        .size:           8
        .value_kind:     hidden_global_offset_y
      - .offset:         120
        .size:           8
        .value_kind:     hidden_global_offset_z
      - .offset:         128
        .size:           2
        .value_kind:     hidden_grid_dims
    .group_segment_fixed_size: 1412
    .kernarg_segment_align: 8
    .kernarg_segment_size: 320
    .language:       OpenCL C
    .language_version:
      - 2
      - 0
    .max_flat_workgroup_size: 64
    .name:           _Z35paged_attention_ll4mi_reduce_kernelI14__hip_bfloat16hLi64ELi64ELi256ELi11EEvPT0_PKfS4_PKT_PKiS9_iS4_
    .private_segment_fixed_size: 0
    .sgpr_count:     51
    .sgpr_spill_count: 0
    .symbol:         _Z35paged_attention_ll4mi_reduce_kernelI14__hip_bfloat16hLi64ELi64ELi256ELi11EEvPT0_PKfS4_PKT_PKiS9_iS4_.kd
    .uniform_work_group_size: 1
    .uses_dynamic_stack: false
    .vgpr_count:     62
    .vgpr_spill_count: 0
    .wavefront_size: 32
    .workgroup_processor_mode: 1
  - .args:
      - .actual_access:  write_only
        .address_space:  global
        .offset:         0
        .size:           8
        .value_kind:     global_buffer
      - .actual_access:  read_only
        .address_space:  global
        .offset:         8
        .size:           8
        .value_kind:     global_buffer
      - .actual_access:  read_only
        .address_space:  global
        .offset:         16
        .size:           8
        .value_kind:     global_buffer
      - .actual_access:  read_only
        .address_space:  global
        .offset:         24
        .size:           8
        .value_kind:     global_buffer
      - .actual_access:  read_only
        .address_space:  global
        .offset:         32
        .size:           8
        .value_kind:     global_buffer
      - .actual_access:  read_only
        .address_space:  global
        .offset:         40
        .size:           8
        .value_kind:     global_buffer
      - .offset:         48
        .size:           4
        .value_kind:     by_value
      - .actual_access:  read_only
        .address_space:  global
        .offset:         56
        .size:           8
        .value_kind:     global_buffer
      - .offset:         64
        .size:           4
        .value_kind:     hidden_block_count_x
      - .offset:         68
        .size:           4
        .value_kind:     hidden_block_count_y
      - .offset:         72
        .size:           4
        .value_kind:     hidden_block_count_z
      - .offset:         76
        .size:           2
        .value_kind:     hidden_group_size_x
      - .offset:         78
        .size:           2
        .value_kind:     hidden_group_size_y
      - .offset:         80
        .size:           2
        .value_kind:     hidden_group_size_z
      - .offset:         82
        .size:           2
        .value_kind:     hidden_remainder_x
      - .offset:         84
        .size:           2
        .value_kind:     hidden_remainder_y
      - .offset:         86
        .size:           2
        .value_kind:     hidden_remainder_z
      - .offset:         104
        .size:           8
        .value_kind:     hidden_global_offset_x
      - .offset:         112
        .size:           8
        .value_kind:     hidden_global_offset_y
      - .offset:         120
        .size:           8
        .value_kind:     hidden_global_offset_z
      - .offset:         128
        .size:           2
        .value_kind:     hidden_grid_dims
    .group_segment_fixed_size: 1540
    .kernarg_segment_align: 8
    .kernarg_segment_size: 320
    .language:       OpenCL C
    .language_version:
      - 2
      - 0
    .max_flat_workgroup_size: 64
    .name:           _Z35paged_attention_ll4mi_reduce_kernelI14__hip_bfloat16hLi64ELi64ELi256ELi12EEvPT0_PKfS4_PKT_PKiS9_iS4_
    .private_segment_fixed_size: 0
    .sgpr_count:     51
    .sgpr_spill_count: 0
    .symbol:         _Z35paged_attention_ll4mi_reduce_kernelI14__hip_bfloat16hLi64ELi64ELi256ELi12EEvPT0_PKfS4_PKT_PKiS9_iS4_.kd
    .uniform_work_group_size: 1
    .uses_dynamic_stack: false
    .vgpr_count:     67
    .vgpr_spill_count: 0
    .wavefront_size: 32
    .workgroup_processor_mode: 1
  - .args:
      - .actual_access:  write_only
        .address_space:  global
        .offset:         0
        .size:           8
        .value_kind:     global_buffer
      - .actual_access:  read_only
        .address_space:  global
        .offset:         8
        .size:           8
        .value_kind:     global_buffer
      - .actual_access:  read_only
        .address_space:  global
        .offset:         16
        .size:           8
        .value_kind:     global_buffer
      - .actual_access:  read_only
        .address_space:  global
        .offset:         24
        .size:           8
        .value_kind:     global_buffer
      - .actual_access:  read_only
        .address_space:  global
        .offset:         32
        .size:           8
        .value_kind:     global_buffer
      - .actual_access:  read_only
        .address_space:  global
        .offset:         40
        .size:           8
        .value_kind:     global_buffer
      - .offset:         48
        .size:           4
        .value_kind:     by_value
      - .actual_access:  read_only
        .address_space:  global
        .offset:         56
        .size:           8
        .value_kind:     global_buffer
      - .offset:         64
        .size:           4
        .value_kind:     hidden_block_count_x
      - .offset:         68
        .size:           4
        .value_kind:     hidden_block_count_y
      - .offset:         72
        .size:           4
        .value_kind:     hidden_block_count_z
      - .offset:         76
        .size:           2
        .value_kind:     hidden_group_size_x
      - .offset:         78
        .size:           2
        .value_kind:     hidden_group_size_y
      - .offset:         80
        .size:           2
        .value_kind:     hidden_group_size_z
      - .offset:         82
        .size:           2
        .value_kind:     hidden_remainder_x
      - .offset:         84
        .size:           2
        .value_kind:     hidden_remainder_y
      - .offset:         86
        .size:           2
        .value_kind:     hidden_remainder_z
      - .offset:         104
        .size:           8
        .value_kind:     hidden_global_offset_x
      - .offset:         112
        .size:           8
        .value_kind:     hidden_global_offset_y
      - .offset:         120
        .size:           8
        .value_kind:     hidden_global_offset_z
      - .offset:         128
        .size:           2
        .value_kind:     hidden_grid_dims
    .group_segment_fixed_size: 1668
    .kernarg_segment_align: 8
    .kernarg_segment_size: 320
    .language:       OpenCL C
    .language_version:
      - 2
      - 0
    .max_flat_workgroup_size: 64
    .name:           _Z35paged_attention_ll4mi_reduce_kernelI14__hip_bfloat16hLi64ELi64ELi256ELi13EEvPT0_PKfS4_PKT_PKiS9_iS4_
    .private_segment_fixed_size: 0
    .sgpr_count:     51
    .sgpr_spill_count: 0
    .symbol:         _Z35paged_attention_ll4mi_reduce_kernelI14__hip_bfloat16hLi64ELi64ELi256ELi13EEvPT0_PKfS4_PKT_PKiS9_iS4_.kd
    .uniform_work_group_size: 1
    .uses_dynamic_stack: false
    .vgpr_count:     68
    .vgpr_spill_count: 0
    .wavefront_size: 32
    .workgroup_processor_mode: 1
  - .args:
      - .actual_access:  write_only
        .address_space:  global
        .offset:         0
        .size:           8
        .value_kind:     global_buffer
      - .actual_access:  read_only
        .address_space:  global
        .offset:         8
        .size:           8
        .value_kind:     global_buffer
      - .actual_access:  read_only
        .address_space:  global
        .offset:         16
        .size:           8
        .value_kind:     global_buffer
      - .actual_access:  read_only
        .address_space:  global
        .offset:         24
        .size:           8
        .value_kind:     global_buffer
      - .actual_access:  read_only
        .address_space:  global
        .offset:         32
        .size:           8
        .value_kind:     global_buffer
      - .actual_access:  read_only
        .address_space:  global
        .offset:         40
        .size:           8
        .value_kind:     global_buffer
      - .offset:         48
        .size:           4
        .value_kind:     by_value
      - .actual_access:  read_only
        .address_space:  global
        .offset:         56
        .size:           8
        .value_kind:     global_buffer
      - .offset:         64
        .size:           4
        .value_kind:     hidden_block_count_x
      - .offset:         68
        .size:           4
        .value_kind:     hidden_block_count_y
      - .offset:         72
        .size:           4
        .value_kind:     hidden_block_count_z
      - .offset:         76
        .size:           2
        .value_kind:     hidden_group_size_x
      - .offset:         78
        .size:           2
        .value_kind:     hidden_group_size_y
      - .offset:         80
        .size:           2
        .value_kind:     hidden_group_size_z
      - .offset:         82
        .size:           2
        .value_kind:     hidden_remainder_x
      - .offset:         84
        .size:           2
        .value_kind:     hidden_remainder_y
      - .offset:         86
        .size:           2
        .value_kind:     hidden_remainder_z
      - .offset:         104
        .size:           8
        .value_kind:     hidden_global_offset_x
      - .offset:         112
        .size:           8
        .value_kind:     hidden_global_offset_y
      - .offset:         120
        .size:           8
        .value_kind:     hidden_global_offset_z
      - .offset:         128
        .size:           2
        .value_kind:     hidden_grid_dims
    .group_segment_fixed_size: 1796
    .kernarg_segment_align: 8
    .kernarg_segment_size: 320
    .language:       OpenCL C
    .language_version:
      - 2
      - 0
    .max_flat_workgroup_size: 64
    .name:           _Z35paged_attention_ll4mi_reduce_kernelI14__hip_bfloat16hLi64ELi64ELi256ELi14EEvPT0_PKfS4_PKT_PKiS9_iS4_
    .private_segment_fixed_size: 0
    .sgpr_count:     51
    .sgpr_spill_count: 0
    .symbol:         _Z35paged_attention_ll4mi_reduce_kernelI14__hip_bfloat16hLi64ELi64ELi256ELi14EEvPT0_PKfS4_PKT_PKiS9_iS4_.kd
    .uniform_work_group_size: 1
    .uses_dynamic_stack: false
    .vgpr_count:     77
    .vgpr_spill_count: 0
    .wavefront_size: 32
    .workgroup_processor_mode: 1
  - .args:
      - .actual_access:  write_only
        .address_space:  global
        .offset:         0
        .size:           8
        .value_kind:     global_buffer
      - .actual_access:  read_only
        .address_space:  global
        .offset:         8
        .size:           8
        .value_kind:     global_buffer
      - .actual_access:  read_only
        .address_space:  global
        .offset:         16
        .size:           8
        .value_kind:     global_buffer
      - .actual_access:  read_only
        .address_space:  global
        .offset:         24
        .size:           8
        .value_kind:     global_buffer
      - .actual_access:  read_only
        .address_space:  global
        .offset:         32
        .size:           8
        .value_kind:     global_buffer
      - .actual_access:  read_only
        .address_space:  global
        .offset:         40
        .size:           8
        .value_kind:     global_buffer
      - .offset:         48
        .size:           4
        .value_kind:     by_value
      - .actual_access:  read_only
        .address_space:  global
        .offset:         56
        .size:           8
        .value_kind:     global_buffer
      - .offset:         64
        .size:           4
        .value_kind:     hidden_block_count_x
      - .offset:         68
        .size:           4
        .value_kind:     hidden_block_count_y
      - .offset:         72
        .size:           4
        .value_kind:     hidden_block_count_z
      - .offset:         76
        .size:           2
        .value_kind:     hidden_group_size_x
      - .offset:         78
        .size:           2
        .value_kind:     hidden_group_size_y
      - .offset:         80
        .size:           2
        .value_kind:     hidden_group_size_z
      - .offset:         82
        .size:           2
        .value_kind:     hidden_remainder_x
      - .offset:         84
        .size:           2
        .value_kind:     hidden_remainder_y
      - .offset:         86
        .size:           2
        .value_kind:     hidden_remainder_z
      - .offset:         104
        .size:           8
        .value_kind:     hidden_global_offset_x
      - .offset:         112
        .size:           8
        .value_kind:     hidden_global_offset_y
      - .offset:         120
        .size:           8
        .value_kind:     hidden_global_offset_z
      - .offset:         128
        .size:           2
        .value_kind:     hidden_grid_dims
    .group_segment_fixed_size: 1924
    .kernarg_segment_align: 8
    .kernarg_segment_size: 320
    .language:       OpenCL C
    .language_version:
      - 2
      - 0
    .max_flat_workgroup_size: 64
    .name:           _Z35paged_attention_ll4mi_reduce_kernelI14__hip_bfloat16hLi64ELi64ELi256ELi15EEvPT0_PKfS4_PKT_PKiS9_iS4_
    .private_segment_fixed_size: 0
    .sgpr_count:     51
    .sgpr_spill_count: 0
    .symbol:         _Z35paged_attention_ll4mi_reduce_kernelI14__hip_bfloat16hLi64ELi64ELi256ELi15EEvPT0_PKfS4_PKT_PKiS9_iS4_.kd
    .uniform_work_group_size: 1
    .uses_dynamic_stack: false
    .vgpr_count:     77
    .vgpr_spill_count: 0
    .wavefront_size: 32
    .workgroup_processor_mode: 1
  - .args:
      - .actual_access:  write_only
        .address_space:  global
        .offset:         0
        .size:           8
        .value_kind:     global_buffer
      - .actual_access:  read_only
        .address_space:  global
        .offset:         8
        .size:           8
        .value_kind:     global_buffer
      - .actual_access:  read_only
        .address_space:  global
        .offset:         16
        .size:           8
        .value_kind:     global_buffer
      - .actual_access:  read_only
        .address_space:  global
        .offset:         24
        .size:           8
        .value_kind:     global_buffer
      - .actual_access:  read_only
        .address_space:  global
        .offset:         32
        .size:           8
        .value_kind:     global_buffer
      - .actual_access:  read_only
        .address_space:  global
        .offset:         40
        .size:           8
        .value_kind:     global_buffer
      - .offset:         48
        .size:           4
        .value_kind:     by_value
      - .actual_access:  read_only
        .address_space:  global
        .offset:         56
        .size:           8
        .value_kind:     global_buffer
      - .offset:         64
        .size:           4
        .value_kind:     hidden_block_count_x
      - .offset:         68
        .size:           4
        .value_kind:     hidden_block_count_y
      - .offset:         72
        .size:           4
        .value_kind:     hidden_block_count_z
      - .offset:         76
        .size:           2
        .value_kind:     hidden_group_size_x
      - .offset:         78
        .size:           2
        .value_kind:     hidden_group_size_y
      - .offset:         80
        .size:           2
        .value_kind:     hidden_group_size_z
      - .offset:         82
        .size:           2
        .value_kind:     hidden_remainder_x
      - .offset:         84
        .size:           2
        .value_kind:     hidden_remainder_y
      - .offset:         86
        .size:           2
        .value_kind:     hidden_remainder_z
      - .offset:         104
        .size:           8
        .value_kind:     hidden_global_offset_x
      - .offset:         112
        .size:           8
        .value_kind:     hidden_global_offset_y
      - .offset:         120
        .size:           8
        .value_kind:     hidden_global_offset_z
      - .offset:         128
        .size:           2
        .value_kind:     hidden_grid_dims
    .group_segment_fixed_size: 2052
    .kernarg_segment_align: 8
    .kernarg_segment_size: 320
    .language:       OpenCL C
    .language_version:
      - 2
      - 0
    .max_flat_workgroup_size: 64
    .name:           _Z35paged_attention_ll4mi_reduce_kernelI14__hip_bfloat16hLi64ELi64ELi256ELi16EEvPT0_PKfS4_PKT_PKiS9_iS4_
    .private_segment_fixed_size: 0
    .sgpr_count:     51
    .sgpr_spill_count: 0
    .symbol:         _Z35paged_attention_ll4mi_reduce_kernelI14__hip_bfloat16hLi64ELi64ELi256ELi16EEvPT0_PKfS4_PKT_PKiS9_iS4_.kd
    .uniform_work_group_size: 1
    .uses_dynamic_stack: false
    .vgpr_count:     87
    .vgpr_spill_count: 0
    .wavefront_size: 32
    .workgroup_processor_mode: 1
  - .args:
      - .actual_access:  read_only
        .address_space:  global
        .offset:         0
        .size:           8
        .value_kind:     global_buffer
      - .actual_access:  read_only
        .address_space:  global
        .offset:         8
        .size:           8
        .value_kind:     global_buffer
      - .actual_access:  read_only
        .address_space:  global
        .offset:         16
        .size:           8
        .value_kind:     global_buffer
      - .offset:         24
        .size:           4
        .value_kind:     by_value
      - .offset:         28
        .size:           4
        .value_kind:     by_value
      - .actual_access:  read_only
        .address_space:  global
        .offset:         32
        .size:           8
        .value_kind:     global_buffer
      - .actual_access:  read_only
        .address_space:  global
        .offset:         40
        .size:           8
        .value_kind:     global_buffer
      - .actual_access:  read_only
        .address_space:  global
        .offset:         48
        .size:           8
        .value_kind:     global_buffer
      - .offset:         56
        .size:           4
        .value_kind:     by_value
      - .actual_access:  read_only
        .address_space:  global
        .offset:         64
        .size:           8
        .value_kind:     global_buffer
      - .offset:         72
        .size:           4
        .value_kind:     by_value
      - .offset:         76
        .size:           4
        .value_kind:     by_value
      - .offset:         80
        .size:           4
        .value_kind:     by_value
      - .actual_access:  read_only
        .address_space:  global
        .offset:         88
        .size:           8
        .value_kind:     global_buffer
      - .actual_access:  read_only
        .address_space:  global
        .offset:         96
        .size:           8
        .value_kind:     global_buffer
      - .actual_access:  read_only
        .address_space:  global
        .offset:         104
        .size:           8
        .value_kind:     global_buffer
      - .actual_access:  read_only
        .address_space:  global
        .offset:         112
        .size:           8
        .value_kind:     global_buffer
      - .offset:         120
        .size:           4
        .value_kind:     by_value
      - .address_space:  global
        .offset:         128
        .size:           8
        .value_kind:     global_buffer
      - .address_space:  global
        .offset:         136
        .size:           8
        .value_kind:     global_buffer
      - .offset:         144
        .size:           4
        .value_kind:     hidden_block_count_x
      - .offset:         148
        .size:           4
        .value_kind:     hidden_block_count_y
      - .offset:         152
        .size:           4
        .value_kind:     hidden_block_count_z
      - .offset:         156
        .size:           2
        .value_kind:     hidden_group_size_x
      - .offset:         158
        .size:           2
        .value_kind:     hidden_group_size_y
      - .offset:         160
        .size:           2
        .value_kind:     hidden_group_size_z
      - .offset:         162
        .size:           2
        .value_kind:     hidden_remainder_x
      - .offset:         164
        .size:           2
        .value_kind:     hidden_remainder_y
      - .offset:         166
        .size:           2
        .value_kind:     hidden_remainder_z
      - .offset:         184
        .size:           8
        .value_kind:     hidden_global_offset_x
      - .offset:         192
        .size:           8
        .value_kind:     hidden_global_offset_y
      - .offset:         200
        .size:           8
        .value_kind:     hidden_global_offset_z
      - .offset:         208
        .size:           2
        .value_kind:     hidden_grid_dims
      - .offset:         224
        .size:           8
        .value_kind:     hidden_hostcall_buffer
    .group_segment_fixed_size: 0
    .kernarg_segment_align: 8
    .kernarg_segment_size: 400
    .language:       OpenCL C
    .language_version:
      - 2
      - 0
    .max_flat_workgroup_size: 256
    .name:           _Z38paged_attention_ll4mi_QKV_mfma4_kernelI14__hip_bfloat16S0_LN4vllm18Fp8KVCacheDataTypeE0EhLi16ELi64ELi256ELb0ELi1EEvPKT_PKT0_S8_ifPKiSA_SA_iPKfiiiPfSD_PS3_PT2_iSC_SC_
    .private_segment_fixed_size: 64
    .sgpr_count:     36
    .sgpr_spill_count: 0
    .symbol:         _Z38paged_attention_ll4mi_QKV_mfma4_kernelI14__hip_bfloat16S0_LN4vllm18Fp8KVCacheDataTypeE0EhLi16ELi64ELi256ELb0ELi1EEvPKT_PKT0_S8_ifPKiSA_SA_iPKfiiiPfSD_PS3_PT2_iSC_SC_.kd
    .uniform_work_group_size: 1
    .uses_dynamic_stack: false
    .vgpr_count:     41
    .vgpr_spill_count: 0
    .wavefront_size: 32
    .workgroup_processor_mode: 1
  - .args:
      - .actual_access:  read_only
        .address_space:  global
        .offset:         0
        .size:           8
        .value_kind:     global_buffer
      - .actual_access:  read_only
        .address_space:  global
        .offset:         8
        .size:           8
        .value_kind:     global_buffer
      - .actual_access:  read_only
        .address_space:  global
        .offset:         16
        .size:           8
        .value_kind:     global_buffer
      - .offset:         24
        .size:           4
        .value_kind:     by_value
      - .offset:         28
        .size:           4
        .value_kind:     by_value
      - .actual_access:  read_only
        .address_space:  global
        .offset:         32
        .size:           8
        .value_kind:     global_buffer
      - .actual_access:  read_only
        .address_space:  global
        .offset:         40
        .size:           8
        .value_kind:     global_buffer
      - .actual_access:  read_only
        .address_space:  global
        .offset:         48
        .size:           8
        .value_kind:     global_buffer
      - .offset:         56
        .size:           4
        .value_kind:     by_value
      - .actual_access:  read_only
        .address_space:  global
        .offset:         64
        .size:           8
        .value_kind:     global_buffer
      - .offset:         72
        .size:           4
        .value_kind:     by_value
      - .offset:         76
        .size:           4
        .value_kind:     by_value
      - .offset:         80
        .size:           4
        .value_kind:     by_value
      - .actual_access:  read_only
        .address_space:  global
        .offset:         88
        .size:           8
        .value_kind:     global_buffer
      - .actual_access:  read_only
        .address_space:  global
        .offset:         96
        .size:           8
        .value_kind:     global_buffer
      - .actual_access:  read_only
        .address_space:  global
        .offset:         104
        .size:           8
        .value_kind:     global_buffer
      - .actual_access:  read_only
        .address_space:  global
        .offset:         112
        .size:           8
        .value_kind:     global_buffer
      - .offset:         120
        .size:           4
        .value_kind:     by_value
      - .address_space:  global
        .offset:         128
        .size:           8
        .value_kind:     global_buffer
      - .address_space:  global
        .offset:         136
        .size:           8
        .value_kind:     global_buffer
      - .offset:         144
        .size:           4
        .value_kind:     hidden_block_count_x
      - .offset:         148
        .size:           4
        .value_kind:     hidden_block_count_y
      - .offset:         152
        .size:           4
        .value_kind:     hidden_block_count_z
      - .offset:         156
        .size:           2
        .value_kind:     hidden_group_size_x
      - .offset:         158
        .size:           2
        .value_kind:     hidden_group_size_y
      - .offset:         160
        .size:           2
        .value_kind:     hidden_group_size_z
      - .offset:         162
        .size:           2
        .value_kind:     hidden_remainder_x
      - .offset:         164
        .size:           2
        .value_kind:     hidden_remainder_y
      - .offset:         166
        .size:           2
        .value_kind:     hidden_remainder_z
      - .offset:         184
        .size:           8
        .value_kind:     hidden_global_offset_x
      - .offset:         192
        .size:           8
        .value_kind:     hidden_global_offset_y
      - .offset:         200
        .size:           8
        .value_kind:     hidden_global_offset_z
      - .offset:         208
        .size:           2
        .value_kind:     hidden_grid_dims
      - .offset:         224
        .size:           8
        .value_kind:     hidden_hostcall_buffer
    .group_segment_fixed_size: 0
    .kernarg_segment_align: 8
    .kernarg_segment_size: 400
    .language:       OpenCL C
    .language_version:
      - 2
      - 0
    .max_flat_workgroup_size: 256
    .name:           _Z38paged_attention_ll4mi_QKV_mfma4_kernelI14__hip_bfloat16S0_LN4vllm18Fp8KVCacheDataTypeE0EhLi16ELi64ELi256ELb0ELi2EEvPKT_PKT0_S8_ifPKiSA_SA_iPKfiiiPfSD_PS3_PT2_iSC_SC_
    .private_segment_fixed_size: 64
    .sgpr_count:     36
    .sgpr_spill_count: 0
    .symbol:         _Z38paged_attention_ll4mi_QKV_mfma4_kernelI14__hip_bfloat16S0_LN4vllm18Fp8KVCacheDataTypeE0EhLi16ELi64ELi256ELb0ELi2EEvPKT_PKT0_S8_ifPKiSA_SA_iPKfiiiPfSD_PS3_PT2_iSC_SC_.kd
    .uniform_work_group_size: 1
    .uses_dynamic_stack: false
    .vgpr_count:     41
    .vgpr_spill_count: 0
    .wavefront_size: 32
    .workgroup_processor_mode: 1
  - .args:
      - .actual_access:  read_only
        .address_space:  global
        .offset:         0
        .size:           8
        .value_kind:     global_buffer
      - .actual_access:  read_only
        .address_space:  global
        .offset:         8
        .size:           8
        .value_kind:     global_buffer
      - .actual_access:  read_only
        .address_space:  global
        .offset:         16
        .size:           8
        .value_kind:     global_buffer
      - .offset:         24
        .size:           4
        .value_kind:     by_value
      - .offset:         28
        .size:           4
        .value_kind:     by_value
      - .actual_access:  read_only
        .address_space:  global
        .offset:         32
        .size:           8
        .value_kind:     global_buffer
      - .actual_access:  read_only
        .address_space:  global
        .offset:         40
        .size:           8
        .value_kind:     global_buffer
      - .actual_access:  read_only
        .address_space:  global
        .offset:         48
        .size:           8
        .value_kind:     global_buffer
      - .offset:         56
        .size:           4
        .value_kind:     by_value
      - .actual_access:  read_only
        .address_space:  global
        .offset:         64
        .size:           8
        .value_kind:     global_buffer
      - .offset:         72
        .size:           4
        .value_kind:     by_value
      - .offset:         76
        .size:           4
        .value_kind:     by_value
      - .offset:         80
        .size:           4
        .value_kind:     by_value
      - .actual_access:  read_only
        .address_space:  global
        .offset:         88
        .size:           8
        .value_kind:     global_buffer
      - .actual_access:  read_only
        .address_space:  global
        .offset:         96
        .size:           8
        .value_kind:     global_buffer
      - .actual_access:  read_only
        .address_space:  global
        .offset:         104
        .size:           8
        .value_kind:     global_buffer
      - .actual_access:  read_only
        .address_space:  global
        .offset:         112
        .size:           8
        .value_kind:     global_buffer
      - .offset:         120
        .size:           4
        .value_kind:     by_value
      - .address_space:  global
        .offset:         128
        .size:           8
        .value_kind:     global_buffer
      - .address_space:  global
        .offset:         136
        .size:           8
        .value_kind:     global_buffer
      - .offset:         144
        .size:           4
        .value_kind:     hidden_block_count_x
      - .offset:         148
        .size:           4
        .value_kind:     hidden_block_count_y
      - .offset:         152
        .size:           4
        .value_kind:     hidden_block_count_z
      - .offset:         156
        .size:           2
        .value_kind:     hidden_group_size_x
      - .offset:         158
        .size:           2
        .value_kind:     hidden_group_size_y
      - .offset:         160
        .size:           2
        .value_kind:     hidden_group_size_z
      - .offset:         162
        .size:           2
        .value_kind:     hidden_remainder_x
      - .offset:         164
        .size:           2
        .value_kind:     hidden_remainder_y
      - .offset:         166
        .size:           2
        .value_kind:     hidden_remainder_z
      - .offset:         184
        .size:           8
        .value_kind:     hidden_global_offset_x
      - .offset:         192
        .size:           8
        .value_kind:     hidden_global_offset_y
      - .offset:         200
        .size:           8
        .value_kind:     hidden_global_offset_z
      - .offset:         208
        .size:           2
        .value_kind:     hidden_grid_dims
      - .offset:         224
        .size:           8
        .value_kind:     hidden_hostcall_buffer
    .group_segment_fixed_size: 0
    .kernarg_segment_align: 8
    .kernarg_segment_size: 400
    .language:       OpenCL C
    .language_version:
      - 2
      - 0
    .max_flat_workgroup_size: 256
    .name:           _Z38paged_attention_ll4mi_QKV_mfma4_kernelI14__hip_bfloat16S0_LN4vllm18Fp8KVCacheDataTypeE0EhLi16ELi64ELi256ELb0ELi3EEvPKT_PKT0_S8_ifPKiSA_SA_iPKfiiiPfSD_PS3_PT2_iSC_SC_
    .private_segment_fixed_size: 64
    .sgpr_count:     36
    .sgpr_spill_count: 0
    .symbol:         _Z38paged_attention_ll4mi_QKV_mfma4_kernelI14__hip_bfloat16S0_LN4vllm18Fp8KVCacheDataTypeE0EhLi16ELi64ELi256ELb0ELi3EEvPKT_PKT0_S8_ifPKiSA_SA_iPKfiiiPfSD_PS3_PT2_iSC_SC_.kd
    .uniform_work_group_size: 1
    .uses_dynamic_stack: false
    .vgpr_count:     41
    .vgpr_spill_count: 0
    .wavefront_size: 32
    .workgroup_processor_mode: 1
  - .args:
      - .actual_access:  read_only
        .address_space:  global
        .offset:         0
        .size:           8
        .value_kind:     global_buffer
      - .actual_access:  read_only
        .address_space:  global
        .offset:         8
        .size:           8
        .value_kind:     global_buffer
      - .actual_access:  read_only
        .address_space:  global
        .offset:         16
        .size:           8
        .value_kind:     global_buffer
      - .offset:         24
        .size:           4
        .value_kind:     by_value
      - .offset:         28
        .size:           4
        .value_kind:     by_value
      - .actual_access:  read_only
        .address_space:  global
        .offset:         32
        .size:           8
        .value_kind:     global_buffer
      - .actual_access:  read_only
        .address_space:  global
        .offset:         40
        .size:           8
        .value_kind:     global_buffer
      - .actual_access:  read_only
        .address_space:  global
        .offset:         48
        .size:           8
        .value_kind:     global_buffer
      - .offset:         56
        .size:           4
        .value_kind:     by_value
      - .actual_access:  read_only
        .address_space:  global
        .offset:         64
        .size:           8
        .value_kind:     global_buffer
      - .offset:         72
        .size:           4
        .value_kind:     by_value
      - .offset:         76
        .size:           4
        .value_kind:     by_value
      - .offset:         80
        .size:           4
        .value_kind:     by_value
      - .actual_access:  read_only
        .address_space:  global
        .offset:         88
        .size:           8
        .value_kind:     global_buffer
      - .actual_access:  read_only
        .address_space:  global
        .offset:         96
        .size:           8
        .value_kind:     global_buffer
      - .actual_access:  read_only
        .address_space:  global
        .offset:         104
        .size:           8
        .value_kind:     global_buffer
      - .actual_access:  read_only
        .address_space:  global
        .offset:         112
        .size:           8
        .value_kind:     global_buffer
      - .offset:         120
        .size:           4
        .value_kind:     by_value
      - .address_space:  global
        .offset:         128
        .size:           8
        .value_kind:     global_buffer
      - .address_space:  global
        .offset:         136
        .size:           8
        .value_kind:     global_buffer
      - .offset:         144
        .size:           4
        .value_kind:     hidden_block_count_x
      - .offset:         148
        .size:           4
        .value_kind:     hidden_block_count_y
      - .offset:         152
        .size:           4
        .value_kind:     hidden_block_count_z
      - .offset:         156
        .size:           2
        .value_kind:     hidden_group_size_x
      - .offset:         158
        .size:           2
        .value_kind:     hidden_group_size_y
      - .offset:         160
        .size:           2
        .value_kind:     hidden_group_size_z
      - .offset:         162
        .size:           2
        .value_kind:     hidden_remainder_x
      - .offset:         164
        .size:           2
        .value_kind:     hidden_remainder_y
      - .offset:         166
        .size:           2
        .value_kind:     hidden_remainder_z
      - .offset:         184
        .size:           8
        .value_kind:     hidden_global_offset_x
      - .offset:         192
        .size:           8
        .value_kind:     hidden_global_offset_y
      - .offset:         200
        .size:           8
        .value_kind:     hidden_global_offset_z
      - .offset:         208
        .size:           2
        .value_kind:     hidden_grid_dims
      - .offset:         224
        .size:           8
        .value_kind:     hidden_hostcall_buffer
    .group_segment_fixed_size: 0
    .kernarg_segment_align: 8
    .kernarg_segment_size: 400
    .language:       OpenCL C
    .language_version:
      - 2
      - 0
    .max_flat_workgroup_size: 256
    .name:           _Z38paged_attention_ll4mi_QKV_mfma4_kernelI14__hip_bfloat16S0_LN4vllm18Fp8KVCacheDataTypeE0EhLi16ELi64ELi256ELb0ELi4EEvPKT_PKT0_S8_ifPKiSA_SA_iPKfiiiPfSD_PS3_PT2_iSC_SC_
    .private_segment_fixed_size: 64
    .sgpr_count:     36
    .sgpr_spill_count: 0
    .symbol:         _Z38paged_attention_ll4mi_QKV_mfma4_kernelI14__hip_bfloat16S0_LN4vllm18Fp8KVCacheDataTypeE0EhLi16ELi64ELi256ELb0ELi4EEvPKT_PKT0_S8_ifPKiSA_SA_iPKfiiiPfSD_PS3_PT2_iSC_SC_.kd
    .uniform_work_group_size: 1
    .uses_dynamic_stack: false
    .vgpr_count:     41
    .vgpr_spill_count: 0
    .wavefront_size: 32
    .workgroup_processor_mode: 1
  - .args:
      - .actual_access:  read_only
        .address_space:  global
        .offset:         0
        .size:           8
        .value_kind:     global_buffer
      - .actual_access:  read_only
        .address_space:  global
        .offset:         8
        .size:           8
        .value_kind:     global_buffer
      - .actual_access:  read_only
        .address_space:  global
        .offset:         16
        .size:           8
        .value_kind:     global_buffer
      - .offset:         24
        .size:           4
        .value_kind:     by_value
      - .offset:         28
        .size:           4
        .value_kind:     by_value
      - .actual_access:  read_only
        .address_space:  global
        .offset:         32
        .size:           8
        .value_kind:     global_buffer
      - .actual_access:  read_only
        .address_space:  global
        .offset:         40
        .size:           8
        .value_kind:     global_buffer
      - .actual_access:  read_only
        .address_space:  global
        .offset:         48
        .size:           8
        .value_kind:     global_buffer
      - .offset:         56
        .size:           4
        .value_kind:     by_value
      - .actual_access:  read_only
        .address_space:  global
        .offset:         64
        .size:           8
        .value_kind:     global_buffer
      - .offset:         72
        .size:           4
        .value_kind:     by_value
      - .offset:         76
        .size:           4
        .value_kind:     by_value
      - .offset:         80
        .size:           4
        .value_kind:     by_value
      - .actual_access:  write_only
        .address_space:  global
        .offset:         88
        .size:           8
        .value_kind:     global_buffer
      - .actual_access:  write_only
        .address_space:  global
        .offset:         96
        .size:           8
        .value_kind:     global_buffer
      - .actual_access:  write_only
        .address_space:  global
        .offset:         104
        .size:           8
        .value_kind:     global_buffer
      - .actual_access:  read_only
        .address_space:  global
        .offset:         112
        .size:           8
        .value_kind:     global_buffer
      - .offset:         120
        .size:           4
        .value_kind:     by_value
      - .address_space:  global
        .offset:         128
        .size:           8
        .value_kind:     global_buffer
      - .address_space:  global
        .offset:         136
        .size:           8
        .value_kind:     global_buffer
      - .offset:         144
        .size:           4
        .value_kind:     hidden_block_count_x
      - .offset:         148
        .size:           4
        .value_kind:     hidden_block_count_y
      - .offset:         152
        .size:           4
        .value_kind:     hidden_block_count_z
      - .offset:         156
        .size:           2
        .value_kind:     hidden_group_size_x
      - .offset:         158
        .size:           2
        .value_kind:     hidden_group_size_y
      - .offset:         160
        .size:           2
        .value_kind:     hidden_group_size_z
      - .offset:         162
        .size:           2
        .value_kind:     hidden_remainder_x
      - .offset:         164
        .size:           2
        .value_kind:     hidden_remainder_y
      - .offset:         166
        .size:           2
        .value_kind:     hidden_remainder_z
      - .offset:         184
        .size:           8
        .value_kind:     hidden_global_offset_x
      - .offset:         192
        .size:           8
        .value_kind:     hidden_global_offset_y
      - .offset:         200
        .size:           8
        .value_kind:     hidden_global_offset_z
      - .offset:         208
        .size:           2
        .value_kind:     hidden_grid_dims
    .group_segment_fixed_size: 17472
    .kernarg_segment_align: 8
    .kernarg_segment_size: 400
    .language:       OpenCL C
    .language_version:
      - 2
      - 0
    .max_flat_workgroup_size: 256
    .name:           _Z39paged_attention_ll4mi_QKV_mfma16_kernelI14__hip_bfloat16S0_LN4vllm18Fp8KVCacheDataTypeE0EhLi16ELi64ELi256ELb0ELi5EL8MFMAType0EEvPKT_PKT0_S9_ifPKiSB_SB_iPKfiiiPfSE_PS4_PT2_iSD_SD_
    .private_segment_fixed_size: 0
    .sgpr_count:     54
    .sgpr_spill_count: 0
    .symbol:         _Z39paged_attention_ll4mi_QKV_mfma16_kernelI14__hip_bfloat16S0_LN4vllm18Fp8KVCacheDataTypeE0EhLi16ELi64ELi256ELb0ELi5EL8MFMAType0EEvPKT_PKT0_S9_ifPKiSB_SB_iPKfiiiPfSE_PS4_PT2_iSD_SD_.kd
    .uniform_work_group_size: 1
    .uses_dynamic_stack: false
    .vgpr_count:     198
    .vgpr_spill_count: 0
    .wavefront_size: 32
    .workgroup_processor_mode: 1
  - .args:
      - .actual_access:  read_only
        .address_space:  global
        .offset:         0
        .size:           8
        .value_kind:     global_buffer
      - .actual_access:  read_only
        .address_space:  global
        .offset:         8
        .size:           8
        .value_kind:     global_buffer
      - .actual_access:  read_only
        .address_space:  global
        .offset:         16
        .size:           8
        .value_kind:     global_buffer
      - .offset:         24
        .size:           4
        .value_kind:     by_value
      - .offset:         28
        .size:           4
        .value_kind:     by_value
      - .actual_access:  read_only
        .address_space:  global
        .offset:         32
        .size:           8
        .value_kind:     global_buffer
      - .actual_access:  read_only
        .address_space:  global
        .offset:         40
        .size:           8
        .value_kind:     global_buffer
      - .actual_access:  read_only
        .address_space:  global
        .offset:         48
        .size:           8
        .value_kind:     global_buffer
      - .offset:         56
        .size:           4
        .value_kind:     by_value
      - .actual_access:  read_only
        .address_space:  global
        .offset:         64
        .size:           8
        .value_kind:     global_buffer
      - .offset:         72
        .size:           4
        .value_kind:     by_value
      - .offset:         76
        .size:           4
        .value_kind:     by_value
      - .offset:         80
        .size:           4
        .value_kind:     by_value
      - .actual_access:  write_only
        .address_space:  global
        .offset:         88
        .size:           8
        .value_kind:     global_buffer
      - .actual_access:  write_only
        .address_space:  global
        .offset:         96
        .size:           8
        .value_kind:     global_buffer
      - .actual_access:  write_only
        .address_space:  global
        .offset:         104
        .size:           8
        .value_kind:     global_buffer
      - .actual_access:  read_only
        .address_space:  global
        .offset:         112
        .size:           8
        .value_kind:     global_buffer
      - .offset:         120
        .size:           4
        .value_kind:     by_value
      - .address_space:  global
        .offset:         128
        .size:           8
        .value_kind:     global_buffer
      - .address_space:  global
        .offset:         136
        .size:           8
        .value_kind:     global_buffer
      - .offset:         144
        .size:           4
        .value_kind:     hidden_block_count_x
      - .offset:         148
        .size:           4
        .value_kind:     hidden_block_count_y
      - .offset:         152
        .size:           4
        .value_kind:     hidden_block_count_z
      - .offset:         156
        .size:           2
        .value_kind:     hidden_group_size_x
      - .offset:         158
        .size:           2
        .value_kind:     hidden_group_size_y
      - .offset:         160
        .size:           2
        .value_kind:     hidden_group_size_z
      - .offset:         162
        .size:           2
        .value_kind:     hidden_remainder_x
      - .offset:         164
        .size:           2
        .value_kind:     hidden_remainder_y
      - .offset:         166
        .size:           2
        .value_kind:     hidden_remainder_z
      - .offset:         184
        .size:           8
        .value_kind:     hidden_global_offset_x
      - .offset:         192
        .size:           8
        .value_kind:     hidden_global_offset_y
      - .offset:         200
        .size:           8
        .value_kind:     hidden_global_offset_z
      - .offset:         208
        .size:           2
        .value_kind:     hidden_grid_dims
    .group_segment_fixed_size: 17472
    .kernarg_segment_align: 8
    .kernarg_segment_size: 400
    .language:       OpenCL C
    .language_version:
      - 2
      - 0
    .max_flat_workgroup_size: 256
    .name:           _Z39paged_attention_ll4mi_QKV_mfma16_kernelI14__hip_bfloat16S0_LN4vllm18Fp8KVCacheDataTypeE0EhLi16ELi64ELi256ELb0ELi6EL8MFMAType0EEvPKT_PKT0_S9_ifPKiSB_SB_iPKfiiiPfSE_PS4_PT2_iSD_SD_
    .private_segment_fixed_size: 0
    .sgpr_count:     54
    .sgpr_spill_count: 0
    .symbol:         _Z39paged_attention_ll4mi_QKV_mfma16_kernelI14__hip_bfloat16S0_LN4vllm18Fp8KVCacheDataTypeE0EhLi16ELi64ELi256ELb0ELi6EL8MFMAType0EEvPKT_PKT0_S9_ifPKiSB_SB_iPKfiiiPfSE_PS4_PT2_iSD_SD_.kd
    .uniform_work_group_size: 1
    .uses_dynamic_stack: false
    .vgpr_count:     198
    .vgpr_spill_count: 0
    .wavefront_size: 32
    .workgroup_processor_mode: 1
  - .args:
      - .actual_access:  read_only
        .address_space:  global
        .offset:         0
        .size:           8
        .value_kind:     global_buffer
      - .actual_access:  read_only
        .address_space:  global
        .offset:         8
        .size:           8
        .value_kind:     global_buffer
      - .actual_access:  read_only
        .address_space:  global
        .offset:         16
        .size:           8
        .value_kind:     global_buffer
      - .offset:         24
        .size:           4
        .value_kind:     by_value
      - .offset:         28
        .size:           4
        .value_kind:     by_value
      - .actual_access:  read_only
        .address_space:  global
        .offset:         32
        .size:           8
        .value_kind:     global_buffer
      - .actual_access:  read_only
        .address_space:  global
        .offset:         40
        .size:           8
        .value_kind:     global_buffer
      - .actual_access:  read_only
        .address_space:  global
        .offset:         48
        .size:           8
        .value_kind:     global_buffer
      - .offset:         56
        .size:           4
        .value_kind:     by_value
      - .actual_access:  read_only
        .address_space:  global
        .offset:         64
        .size:           8
        .value_kind:     global_buffer
      - .offset:         72
        .size:           4
        .value_kind:     by_value
      - .offset:         76
        .size:           4
        .value_kind:     by_value
      - .offset:         80
        .size:           4
        .value_kind:     by_value
      - .actual_access:  write_only
        .address_space:  global
        .offset:         88
        .size:           8
        .value_kind:     global_buffer
      - .actual_access:  write_only
        .address_space:  global
        .offset:         96
        .size:           8
        .value_kind:     global_buffer
      - .actual_access:  write_only
        .address_space:  global
        .offset:         104
        .size:           8
        .value_kind:     global_buffer
      - .actual_access:  read_only
        .address_space:  global
        .offset:         112
        .size:           8
        .value_kind:     global_buffer
      - .offset:         120
        .size:           4
        .value_kind:     by_value
      - .address_space:  global
        .offset:         128
        .size:           8
        .value_kind:     global_buffer
      - .address_space:  global
        .offset:         136
        .size:           8
        .value_kind:     global_buffer
      - .offset:         144
        .size:           4
        .value_kind:     hidden_block_count_x
      - .offset:         148
        .size:           4
        .value_kind:     hidden_block_count_y
      - .offset:         152
        .size:           4
        .value_kind:     hidden_block_count_z
      - .offset:         156
        .size:           2
        .value_kind:     hidden_group_size_x
      - .offset:         158
        .size:           2
        .value_kind:     hidden_group_size_y
      - .offset:         160
        .size:           2
        .value_kind:     hidden_group_size_z
      - .offset:         162
        .size:           2
        .value_kind:     hidden_remainder_x
      - .offset:         164
        .size:           2
        .value_kind:     hidden_remainder_y
      - .offset:         166
        .size:           2
        .value_kind:     hidden_remainder_z
      - .offset:         184
        .size:           8
        .value_kind:     hidden_global_offset_x
      - .offset:         192
        .size:           8
        .value_kind:     hidden_global_offset_y
      - .offset:         200
        .size:           8
        .value_kind:     hidden_global_offset_z
      - .offset:         208
        .size:           2
        .value_kind:     hidden_grid_dims
    .group_segment_fixed_size: 17472
    .kernarg_segment_align: 8
    .kernarg_segment_size: 400
    .language:       OpenCL C
    .language_version:
      - 2
      - 0
    .max_flat_workgroup_size: 256
    .name:           _Z39paged_attention_ll4mi_QKV_mfma16_kernelI14__hip_bfloat16S0_LN4vllm18Fp8KVCacheDataTypeE0EhLi16ELi64ELi256ELb0ELi7EL8MFMAType0EEvPKT_PKT0_S9_ifPKiSB_SB_iPKfiiiPfSE_PS4_PT2_iSD_SD_
    .private_segment_fixed_size: 0
    .sgpr_count:     54
    .sgpr_spill_count: 0
    .symbol:         _Z39paged_attention_ll4mi_QKV_mfma16_kernelI14__hip_bfloat16S0_LN4vllm18Fp8KVCacheDataTypeE0EhLi16ELi64ELi256ELb0ELi7EL8MFMAType0EEvPKT_PKT0_S9_ifPKiSB_SB_iPKfiiiPfSE_PS4_PT2_iSD_SD_.kd
    .uniform_work_group_size: 1
    .uses_dynamic_stack: false
    .vgpr_count:     198
    .vgpr_spill_count: 0
    .wavefront_size: 32
    .workgroup_processor_mode: 1
  - .args:
      - .actual_access:  read_only
        .address_space:  global
        .offset:         0
        .size:           8
        .value_kind:     global_buffer
      - .actual_access:  read_only
        .address_space:  global
        .offset:         8
        .size:           8
        .value_kind:     global_buffer
      - .actual_access:  read_only
        .address_space:  global
        .offset:         16
        .size:           8
        .value_kind:     global_buffer
      - .offset:         24
        .size:           4
        .value_kind:     by_value
      - .offset:         28
        .size:           4
        .value_kind:     by_value
      - .actual_access:  read_only
        .address_space:  global
        .offset:         32
        .size:           8
        .value_kind:     global_buffer
      - .actual_access:  read_only
        .address_space:  global
        .offset:         40
        .size:           8
        .value_kind:     global_buffer
      - .actual_access:  read_only
        .address_space:  global
        .offset:         48
        .size:           8
        .value_kind:     global_buffer
      - .offset:         56
        .size:           4
        .value_kind:     by_value
      - .actual_access:  read_only
        .address_space:  global
        .offset:         64
        .size:           8
        .value_kind:     global_buffer
      - .offset:         72
        .size:           4
        .value_kind:     by_value
      - .offset:         76
        .size:           4
        .value_kind:     by_value
      - .offset:         80
        .size:           4
        .value_kind:     by_value
      - .actual_access:  write_only
        .address_space:  global
        .offset:         88
        .size:           8
        .value_kind:     global_buffer
      - .actual_access:  write_only
        .address_space:  global
        .offset:         96
        .size:           8
        .value_kind:     global_buffer
      - .actual_access:  write_only
        .address_space:  global
        .offset:         104
        .size:           8
        .value_kind:     global_buffer
      - .actual_access:  read_only
        .address_space:  global
        .offset:         112
        .size:           8
        .value_kind:     global_buffer
      - .offset:         120
        .size:           4
        .value_kind:     by_value
      - .address_space:  global
        .offset:         128
        .size:           8
        .value_kind:     global_buffer
      - .address_space:  global
        .offset:         136
        .size:           8
        .value_kind:     global_buffer
      - .offset:         144
        .size:           4
        .value_kind:     hidden_block_count_x
      - .offset:         148
        .size:           4
        .value_kind:     hidden_block_count_y
      - .offset:         152
        .size:           4
        .value_kind:     hidden_block_count_z
      - .offset:         156
        .size:           2
        .value_kind:     hidden_group_size_x
      - .offset:         158
        .size:           2
        .value_kind:     hidden_group_size_y
      - .offset:         160
        .size:           2
        .value_kind:     hidden_group_size_z
      - .offset:         162
        .size:           2
        .value_kind:     hidden_remainder_x
      - .offset:         164
        .size:           2
        .value_kind:     hidden_remainder_y
      - .offset:         166
        .size:           2
        .value_kind:     hidden_remainder_z
      - .offset:         184
        .size:           8
        .value_kind:     hidden_global_offset_x
      - .offset:         192
        .size:           8
        .value_kind:     hidden_global_offset_y
      - .offset:         200
        .size:           8
        .value_kind:     hidden_global_offset_z
      - .offset:         208
        .size:           2
        .value_kind:     hidden_grid_dims
    .group_segment_fixed_size: 17472
    .kernarg_segment_align: 8
    .kernarg_segment_size: 400
    .language:       OpenCL C
    .language_version:
      - 2
      - 0
    .max_flat_workgroup_size: 256
    .name:           _Z39paged_attention_ll4mi_QKV_mfma16_kernelI14__hip_bfloat16S0_LN4vllm18Fp8KVCacheDataTypeE0EhLi16ELi64ELi256ELb0ELi8EL8MFMAType0EEvPKT_PKT0_S9_ifPKiSB_SB_iPKfiiiPfSE_PS4_PT2_iSD_SD_
    .private_segment_fixed_size: 0
    .sgpr_count:     54
    .sgpr_spill_count: 0
    .symbol:         _Z39paged_attention_ll4mi_QKV_mfma16_kernelI14__hip_bfloat16S0_LN4vllm18Fp8KVCacheDataTypeE0EhLi16ELi64ELi256ELb0ELi8EL8MFMAType0EEvPKT_PKT0_S9_ifPKiSB_SB_iPKfiiiPfSE_PS4_PT2_iSD_SD_.kd
    .uniform_work_group_size: 1
    .uses_dynamic_stack: false
    .vgpr_count:     198
    .vgpr_spill_count: 0
    .wavefront_size: 32
    .workgroup_processor_mode: 1
  - .args:
      - .actual_access:  read_only
        .address_space:  global
        .offset:         0
        .size:           8
        .value_kind:     global_buffer
      - .actual_access:  read_only
        .address_space:  global
        .offset:         8
        .size:           8
        .value_kind:     global_buffer
      - .actual_access:  read_only
        .address_space:  global
        .offset:         16
        .size:           8
        .value_kind:     global_buffer
      - .offset:         24
        .size:           4
        .value_kind:     by_value
      - .offset:         28
        .size:           4
        .value_kind:     by_value
      - .actual_access:  read_only
        .address_space:  global
        .offset:         32
        .size:           8
        .value_kind:     global_buffer
      - .actual_access:  read_only
        .address_space:  global
        .offset:         40
        .size:           8
        .value_kind:     global_buffer
      - .actual_access:  read_only
        .address_space:  global
        .offset:         48
        .size:           8
        .value_kind:     global_buffer
      - .offset:         56
        .size:           4
        .value_kind:     by_value
      - .actual_access:  read_only
        .address_space:  global
        .offset:         64
        .size:           8
        .value_kind:     global_buffer
      - .offset:         72
        .size:           4
        .value_kind:     by_value
      - .offset:         76
        .size:           4
        .value_kind:     by_value
      - .offset:         80
        .size:           4
        .value_kind:     by_value
      - .actual_access:  write_only
        .address_space:  global
        .offset:         88
        .size:           8
        .value_kind:     global_buffer
      - .actual_access:  write_only
        .address_space:  global
        .offset:         96
        .size:           8
        .value_kind:     global_buffer
      - .actual_access:  write_only
        .address_space:  global
        .offset:         104
        .size:           8
        .value_kind:     global_buffer
      - .actual_access:  read_only
        .address_space:  global
        .offset:         112
        .size:           8
        .value_kind:     global_buffer
      - .offset:         120
        .size:           4
        .value_kind:     by_value
      - .address_space:  global
        .offset:         128
        .size:           8
        .value_kind:     global_buffer
      - .address_space:  global
        .offset:         136
        .size:           8
        .value_kind:     global_buffer
      - .offset:         144
        .size:           4
        .value_kind:     hidden_block_count_x
      - .offset:         148
        .size:           4
        .value_kind:     hidden_block_count_y
      - .offset:         152
        .size:           4
        .value_kind:     hidden_block_count_z
      - .offset:         156
        .size:           2
        .value_kind:     hidden_group_size_x
      - .offset:         158
        .size:           2
        .value_kind:     hidden_group_size_y
      - .offset:         160
        .size:           2
        .value_kind:     hidden_group_size_z
      - .offset:         162
        .size:           2
        .value_kind:     hidden_remainder_x
      - .offset:         164
        .size:           2
        .value_kind:     hidden_remainder_y
      - .offset:         166
        .size:           2
        .value_kind:     hidden_remainder_z
      - .offset:         184
        .size:           8
        .value_kind:     hidden_global_offset_x
      - .offset:         192
        .size:           8
        .value_kind:     hidden_global_offset_y
      - .offset:         200
        .size:           8
        .value_kind:     hidden_global_offset_z
      - .offset:         208
        .size:           2
        .value_kind:     hidden_grid_dims
    .group_segment_fixed_size: 17472
    .kernarg_segment_align: 8
    .kernarg_segment_size: 400
    .language:       OpenCL C
    .language_version:
      - 2
      - 0
    .max_flat_workgroup_size: 256
    .name:           _Z39paged_attention_ll4mi_QKV_mfma16_kernelI14__hip_bfloat16S0_LN4vllm18Fp8KVCacheDataTypeE0EhLi16ELi64ELi256ELb0ELi9EL8MFMAType0EEvPKT_PKT0_S9_ifPKiSB_SB_iPKfiiiPfSE_PS4_PT2_iSD_SD_
    .private_segment_fixed_size: 0
    .sgpr_count:     54
    .sgpr_spill_count: 0
    .symbol:         _Z39paged_attention_ll4mi_QKV_mfma16_kernelI14__hip_bfloat16S0_LN4vllm18Fp8KVCacheDataTypeE0EhLi16ELi64ELi256ELb0ELi9EL8MFMAType0EEvPKT_PKT0_S9_ifPKiSB_SB_iPKfiiiPfSE_PS4_PT2_iSD_SD_.kd
    .uniform_work_group_size: 1
    .uses_dynamic_stack: false
    .vgpr_count:     198
    .vgpr_spill_count: 0
    .wavefront_size: 32
    .workgroup_processor_mode: 1
  - .args:
      - .actual_access:  read_only
        .address_space:  global
        .offset:         0
        .size:           8
        .value_kind:     global_buffer
      - .actual_access:  read_only
        .address_space:  global
        .offset:         8
        .size:           8
        .value_kind:     global_buffer
      - .actual_access:  read_only
        .address_space:  global
        .offset:         16
        .size:           8
        .value_kind:     global_buffer
      - .offset:         24
        .size:           4
        .value_kind:     by_value
      - .offset:         28
        .size:           4
        .value_kind:     by_value
      - .actual_access:  read_only
        .address_space:  global
        .offset:         32
        .size:           8
        .value_kind:     global_buffer
      - .actual_access:  read_only
        .address_space:  global
        .offset:         40
        .size:           8
        .value_kind:     global_buffer
      - .actual_access:  read_only
        .address_space:  global
        .offset:         48
        .size:           8
        .value_kind:     global_buffer
      - .offset:         56
        .size:           4
        .value_kind:     by_value
      - .actual_access:  read_only
        .address_space:  global
        .offset:         64
        .size:           8
        .value_kind:     global_buffer
      - .offset:         72
        .size:           4
        .value_kind:     by_value
      - .offset:         76
        .size:           4
        .value_kind:     by_value
      - .offset:         80
        .size:           4
        .value_kind:     by_value
      - .actual_access:  write_only
        .address_space:  global
        .offset:         88
        .size:           8
        .value_kind:     global_buffer
      - .actual_access:  write_only
        .address_space:  global
        .offset:         96
        .size:           8
        .value_kind:     global_buffer
      - .actual_access:  write_only
        .address_space:  global
        .offset:         104
        .size:           8
        .value_kind:     global_buffer
      - .actual_access:  read_only
        .address_space:  global
        .offset:         112
        .size:           8
        .value_kind:     global_buffer
      - .offset:         120
        .size:           4
        .value_kind:     by_value
      - .address_space:  global
        .offset:         128
        .size:           8
        .value_kind:     global_buffer
      - .address_space:  global
        .offset:         136
        .size:           8
        .value_kind:     global_buffer
      - .offset:         144
        .size:           4
        .value_kind:     hidden_block_count_x
      - .offset:         148
        .size:           4
        .value_kind:     hidden_block_count_y
      - .offset:         152
        .size:           4
        .value_kind:     hidden_block_count_z
      - .offset:         156
        .size:           2
        .value_kind:     hidden_group_size_x
      - .offset:         158
        .size:           2
        .value_kind:     hidden_group_size_y
      - .offset:         160
        .size:           2
        .value_kind:     hidden_group_size_z
      - .offset:         162
        .size:           2
        .value_kind:     hidden_remainder_x
      - .offset:         164
        .size:           2
        .value_kind:     hidden_remainder_y
      - .offset:         166
        .size:           2
        .value_kind:     hidden_remainder_z
      - .offset:         184
        .size:           8
        .value_kind:     hidden_global_offset_x
      - .offset:         192
        .size:           8
        .value_kind:     hidden_global_offset_y
      - .offset:         200
        .size:           8
        .value_kind:     hidden_global_offset_z
      - .offset:         208
        .size:           2
        .value_kind:     hidden_grid_dims
    .group_segment_fixed_size: 17472
    .kernarg_segment_align: 8
    .kernarg_segment_size: 400
    .language:       OpenCL C
    .language_version:
      - 2
      - 0
    .max_flat_workgroup_size: 256
    .name:           _Z39paged_attention_ll4mi_QKV_mfma16_kernelI14__hip_bfloat16S0_LN4vllm18Fp8KVCacheDataTypeE0EhLi16ELi64ELi256ELb0ELi10EL8MFMAType0EEvPKT_PKT0_S9_ifPKiSB_SB_iPKfiiiPfSE_PS4_PT2_iSD_SD_
    .private_segment_fixed_size: 0
    .sgpr_count:     54
    .sgpr_spill_count: 0
    .symbol:         _Z39paged_attention_ll4mi_QKV_mfma16_kernelI14__hip_bfloat16S0_LN4vllm18Fp8KVCacheDataTypeE0EhLi16ELi64ELi256ELb0ELi10EL8MFMAType0EEvPKT_PKT0_S9_ifPKiSB_SB_iPKfiiiPfSE_PS4_PT2_iSD_SD_.kd
    .uniform_work_group_size: 1
    .uses_dynamic_stack: false
    .vgpr_count:     198
    .vgpr_spill_count: 0
    .wavefront_size: 32
    .workgroup_processor_mode: 1
  - .args:
      - .actual_access:  read_only
        .address_space:  global
        .offset:         0
        .size:           8
        .value_kind:     global_buffer
      - .actual_access:  read_only
        .address_space:  global
        .offset:         8
        .size:           8
        .value_kind:     global_buffer
      - .actual_access:  read_only
        .address_space:  global
        .offset:         16
        .size:           8
        .value_kind:     global_buffer
      - .offset:         24
        .size:           4
        .value_kind:     by_value
      - .offset:         28
        .size:           4
        .value_kind:     by_value
      - .actual_access:  read_only
        .address_space:  global
        .offset:         32
        .size:           8
        .value_kind:     global_buffer
      - .actual_access:  read_only
        .address_space:  global
        .offset:         40
        .size:           8
        .value_kind:     global_buffer
      - .actual_access:  read_only
        .address_space:  global
        .offset:         48
        .size:           8
        .value_kind:     global_buffer
      - .offset:         56
        .size:           4
        .value_kind:     by_value
      - .actual_access:  read_only
        .address_space:  global
        .offset:         64
        .size:           8
        .value_kind:     global_buffer
      - .offset:         72
        .size:           4
        .value_kind:     by_value
      - .offset:         76
        .size:           4
        .value_kind:     by_value
      - .offset:         80
        .size:           4
        .value_kind:     by_value
      - .actual_access:  write_only
        .address_space:  global
        .offset:         88
        .size:           8
        .value_kind:     global_buffer
      - .actual_access:  write_only
        .address_space:  global
        .offset:         96
        .size:           8
        .value_kind:     global_buffer
      - .actual_access:  write_only
        .address_space:  global
        .offset:         104
        .size:           8
        .value_kind:     global_buffer
      - .actual_access:  read_only
        .address_space:  global
        .offset:         112
        .size:           8
        .value_kind:     global_buffer
      - .offset:         120
        .size:           4
        .value_kind:     by_value
      - .address_space:  global
        .offset:         128
        .size:           8
        .value_kind:     global_buffer
      - .address_space:  global
        .offset:         136
        .size:           8
        .value_kind:     global_buffer
      - .offset:         144
        .size:           4
        .value_kind:     hidden_block_count_x
      - .offset:         148
        .size:           4
        .value_kind:     hidden_block_count_y
      - .offset:         152
        .size:           4
        .value_kind:     hidden_block_count_z
      - .offset:         156
        .size:           2
        .value_kind:     hidden_group_size_x
      - .offset:         158
        .size:           2
        .value_kind:     hidden_group_size_y
      - .offset:         160
        .size:           2
        .value_kind:     hidden_group_size_z
      - .offset:         162
        .size:           2
        .value_kind:     hidden_remainder_x
      - .offset:         164
        .size:           2
        .value_kind:     hidden_remainder_y
      - .offset:         166
        .size:           2
        .value_kind:     hidden_remainder_z
      - .offset:         184
        .size:           8
        .value_kind:     hidden_global_offset_x
      - .offset:         192
        .size:           8
        .value_kind:     hidden_global_offset_y
      - .offset:         200
        .size:           8
        .value_kind:     hidden_global_offset_z
      - .offset:         208
        .size:           2
        .value_kind:     hidden_grid_dims
    .group_segment_fixed_size: 17472
    .kernarg_segment_align: 8
    .kernarg_segment_size: 400
    .language:       OpenCL C
    .language_version:
      - 2
      - 0
    .max_flat_workgroup_size: 256
    .name:           _Z39paged_attention_ll4mi_QKV_mfma16_kernelI14__hip_bfloat16S0_LN4vllm18Fp8KVCacheDataTypeE0EhLi16ELi64ELi256ELb0ELi11EL8MFMAType0EEvPKT_PKT0_S9_ifPKiSB_SB_iPKfiiiPfSE_PS4_PT2_iSD_SD_
    .private_segment_fixed_size: 0
    .sgpr_count:     54
    .sgpr_spill_count: 0
    .symbol:         _Z39paged_attention_ll4mi_QKV_mfma16_kernelI14__hip_bfloat16S0_LN4vllm18Fp8KVCacheDataTypeE0EhLi16ELi64ELi256ELb0ELi11EL8MFMAType0EEvPKT_PKT0_S9_ifPKiSB_SB_iPKfiiiPfSE_PS4_PT2_iSD_SD_.kd
    .uniform_work_group_size: 1
    .uses_dynamic_stack: false
    .vgpr_count:     198
    .vgpr_spill_count: 0
    .wavefront_size: 32
    .workgroup_processor_mode: 1
  - .args:
      - .actual_access:  read_only
        .address_space:  global
        .offset:         0
        .size:           8
        .value_kind:     global_buffer
      - .actual_access:  read_only
        .address_space:  global
        .offset:         8
        .size:           8
        .value_kind:     global_buffer
      - .actual_access:  read_only
        .address_space:  global
        .offset:         16
        .size:           8
        .value_kind:     global_buffer
      - .offset:         24
        .size:           4
        .value_kind:     by_value
      - .offset:         28
        .size:           4
        .value_kind:     by_value
      - .actual_access:  read_only
        .address_space:  global
        .offset:         32
        .size:           8
        .value_kind:     global_buffer
      - .actual_access:  read_only
        .address_space:  global
        .offset:         40
        .size:           8
        .value_kind:     global_buffer
      - .actual_access:  read_only
        .address_space:  global
        .offset:         48
        .size:           8
        .value_kind:     global_buffer
      - .offset:         56
        .size:           4
        .value_kind:     by_value
      - .actual_access:  read_only
        .address_space:  global
        .offset:         64
        .size:           8
        .value_kind:     global_buffer
      - .offset:         72
        .size:           4
        .value_kind:     by_value
      - .offset:         76
        .size:           4
        .value_kind:     by_value
      - .offset:         80
        .size:           4
        .value_kind:     by_value
      - .actual_access:  write_only
        .address_space:  global
        .offset:         88
        .size:           8
        .value_kind:     global_buffer
      - .actual_access:  write_only
        .address_space:  global
        .offset:         96
        .size:           8
        .value_kind:     global_buffer
      - .actual_access:  write_only
        .address_space:  global
        .offset:         104
        .size:           8
        .value_kind:     global_buffer
      - .actual_access:  read_only
        .address_space:  global
        .offset:         112
        .size:           8
        .value_kind:     global_buffer
      - .offset:         120
        .size:           4
        .value_kind:     by_value
      - .address_space:  global
        .offset:         128
        .size:           8
        .value_kind:     global_buffer
      - .address_space:  global
        .offset:         136
        .size:           8
        .value_kind:     global_buffer
      - .offset:         144
        .size:           4
        .value_kind:     hidden_block_count_x
      - .offset:         148
        .size:           4
        .value_kind:     hidden_block_count_y
      - .offset:         152
        .size:           4
        .value_kind:     hidden_block_count_z
      - .offset:         156
        .size:           2
        .value_kind:     hidden_group_size_x
      - .offset:         158
        .size:           2
        .value_kind:     hidden_group_size_y
      - .offset:         160
        .size:           2
        .value_kind:     hidden_group_size_z
      - .offset:         162
        .size:           2
        .value_kind:     hidden_remainder_x
      - .offset:         164
        .size:           2
        .value_kind:     hidden_remainder_y
      - .offset:         166
        .size:           2
        .value_kind:     hidden_remainder_z
      - .offset:         184
        .size:           8
        .value_kind:     hidden_global_offset_x
      - .offset:         192
        .size:           8
        .value_kind:     hidden_global_offset_y
      - .offset:         200
        .size:           8
        .value_kind:     hidden_global_offset_z
      - .offset:         208
        .size:           2
        .value_kind:     hidden_grid_dims
    .group_segment_fixed_size: 17472
    .kernarg_segment_align: 8
    .kernarg_segment_size: 400
    .language:       OpenCL C
    .language_version:
      - 2
      - 0
    .max_flat_workgroup_size: 256
    .name:           _Z39paged_attention_ll4mi_QKV_mfma16_kernelI14__hip_bfloat16S0_LN4vllm18Fp8KVCacheDataTypeE0EhLi16ELi64ELi256ELb0ELi12EL8MFMAType0EEvPKT_PKT0_S9_ifPKiSB_SB_iPKfiiiPfSE_PS4_PT2_iSD_SD_
    .private_segment_fixed_size: 0
    .sgpr_count:     54
    .sgpr_spill_count: 0
    .symbol:         _Z39paged_attention_ll4mi_QKV_mfma16_kernelI14__hip_bfloat16S0_LN4vllm18Fp8KVCacheDataTypeE0EhLi16ELi64ELi256ELb0ELi12EL8MFMAType0EEvPKT_PKT0_S9_ifPKiSB_SB_iPKfiiiPfSE_PS4_PT2_iSD_SD_.kd
    .uniform_work_group_size: 1
    .uses_dynamic_stack: false
    .vgpr_count:     198
    .vgpr_spill_count: 0
    .wavefront_size: 32
    .workgroup_processor_mode: 1
  - .args:
      - .actual_access:  read_only
        .address_space:  global
        .offset:         0
        .size:           8
        .value_kind:     global_buffer
      - .actual_access:  read_only
        .address_space:  global
        .offset:         8
        .size:           8
        .value_kind:     global_buffer
      - .actual_access:  read_only
        .address_space:  global
        .offset:         16
        .size:           8
        .value_kind:     global_buffer
      - .offset:         24
        .size:           4
        .value_kind:     by_value
      - .offset:         28
        .size:           4
        .value_kind:     by_value
      - .actual_access:  read_only
        .address_space:  global
        .offset:         32
        .size:           8
        .value_kind:     global_buffer
      - .actual_access:  read_only
        .address_space:  global
        .offset:         40
        .size:           8
        .value_kind:     global_buffer
      - .actual_access:  read_only
        .address_space:  global
        .offset:         48
        .size:           8
        .value_kind:     global_buffer
      - .offset:         56
        .size:           4
        .value_kind:     by_value
      - .actual_access:  read_only
        .address_space:  global
        .offset:         64
        .size:           8
        .value_kind:     global_buffer
      - .offset:         72
        .size:           4
        .value_kind:     by_value
      - .offset:         76
        .size:           4
        .value_kind:     by_value
      - .offset:         80
        .size:           4
        .value_kind:     by_value
      - .actual_access:  write_only
        .address_space:  global
        .offset:         88
        .size:           8
        .value_kind:     global_buffer
      - .actual_access:  write_only
        .address_space:  global
        .offset:         96
        .size:           8
        .value_kind:     global_buffer
      - .actual_access:  write_only
        .address_space:  global
        .offset:         104
        .size:           8
        .value_kind:     global_buffer
      - .actual_access:  read_only
        .address_space:  global
        .offset:         112
        .size:           8
        .value_kind:     global_buffer
      - .offset:         120
        .size:           4
        .value_kind:     by_value
      - .address_space:  global
        .offset:         128
        .size:           8
        .value_kind:     global_buffer
      - .address_space:  global
        .offset:         136
        .size:           8
        .value_kind:     global_buffer
      - .offset:         144
        .size:           4
        .value_kind:     hidden_block_count_x
      - .offset:         148
        .size:           4
        .value_kind:     hidden_block_count_y
      - .offset:         152
        .size:           4
        .value_kind:     hidden_block_count_z
      - .offset:         156
        .size:           2
        .value_kind:     hidden_group_size_x
      - .offset:         158
        .size:           2
        .value_kind:     hidden_group_size_y
      - .offset:         160
        .size:           2
        .value_kind:     hidden_group_size_z
      - .offset:         162
        .size:           2
        .value_kind:     hidden_remainder_x
      - .offset:         164
        .size:           2
        .value_kind:     hidden_remainder_y
      - .offset:         166
        .size:           2
        .value_kind:     hidden_remainder_z
      - .offset:         184
        .size:           8
        .value_kind:     hidden_global_offset_x
      - .offset:         192
        .size:           8
        .value_kind:     hidden_global_offset_y
      - .offset:         200
        .size:           8
        .value_kind:     hidden_global_offset_z
      - .offset:         208
        .size:           2
        .value_kind:     hidden_grid_dims
    .group_segment_fixed_size: 17472
    .kernarg_segment_align: 8
    .kernarg_segment_size: 400
    .language:       OpenCL C
    .language_version:
      - 2
      - 0
    .max_flat_workgroup_size: 256
    .name:           _Z39paged_attention_ll4mi_QKV_mfma16_kernelI14__hip_bfloat16S0_LN4vllm18Fp8KVCacheDataTypeE0EhLi16ELi64ELi256ELb0ELi13EL8MFMAType0EEvPKT_PKT0_S9_ifPKiSB_SB_iPKfiiiPfSE_PS4_PT2_iSD_SD_
    .private_segment_fixed_size: 0
    .sgpr_count:     54
    .sgpr_spill_count: 0
    .symbol:         _Z39paged_attention_ll4mi_QKV_mfma16_kernelI14__hip_bfloat16S0_LN4vllm18Fp8KVCacheDataTypeE0EhLi16ELi64ELi256ELb0ELi13EL8MFMAType0EEvPKT_PKT0_S9_ifPKiSB_SB_iPKfiiiPfSE_PS4_PT2_iSD_SD_.kd
    .uniform_work_group_size: 1
    .uses_dynamic_stack: false
    .vgpr_count:     198
    .vgpr_spill_count: 0
    .wavefront_size: 32
    .workgroup_processor_mode: 1
  - .args:
      - .actual_access:  read_only
        .address_space:  global
        .offset:         0
        .size:           8
        .value_kind:     global_buffer
      - .actual_access:  read_only
        .address_space:  global
        .offset:         8
        .size:           8
        .value_kind:     global_buffer
      - .actual_access:  read_only
        .address_space:  global
        .offset:         16
        .size:           8
        .value_kind:     global_buffer
      - .offset:         24
        .size:           4
        .value_kind:     by_value
      - .offset:         28
        .size:           4
        .value_kind:     by_value
      - .actual_access:  read_only
        .address_space:  global
        .offset:         32
        .size:           8
        .value_kind:     global_buffer
      - .actual_access:  read_only
        .address_space:  global
        .offset:         40
        .size:           8
        .value_kind:     global_buffer
      - .actual_access:  read_only
        .address_space:  global
        .offset:         48
        .size:           8
        .value_kind:     global_buffer
      - .offset:         56
        .size:           4
        .value_kind:     by_value
      - .actual_access:  read_only
        .address_space:  global
        .offset:         64
        .size:           8
        .value_kind:     global_buffer
      - .offset:         72
        .size:           4
        .value_kind:     by_value
      - .offset:         76
        .size:           4
        .value_kind:     by_value
      - .offset:         80
        .size:           4
        .value_kind:     by_value
      - .actual_access:  write_only
        .address_space:  global
        .offset:         88
        .size:           8
        .value_kind:     global_buffer
      - .actual_access:  write_only
        .address_space:  global
        .offset:         96
        .size:           8
        .value_kind:     global_buffer
      - .actual_access:  write_only
        .address_space:  global
        .offset:         104
        .size:           8
        .value_kind:     global_buffer
      - .actual_access:  read_only
        .address_space:  global
        .offset:         112
        .size:           8
        .value_kind:     global_buffer
      - .offset:         120
        .size:           4
        .value_kind:     by_value
      - .address_space:  global
        .offset:         128
        .size:           8
        .value_kind:     global_buffer
      - .address_space:  global
        .offset:         136
        .size:           8
        .value_kind:     global_buffer
      - .offset:         144
        .size:           4
        .value_kind:     hidden_block_count_x
      - .offset:         148
        .size:           4
        .value_kind:     hidden_block_count_y
      - .offset:         152
        .size:           4
        .value_kind:     hidden_block_count_z
      - .offset:         156
        .size:           2
        .value_kind:     hidden_group_size_x
      - .offset:         158
        .size:           2
        .value_kind:     hidden_group_size_y
      - .offset:         160
        .size:           2
        .value_kind:     hidden_group_size_z
      - .offset:         162
        .size:           2
        .value_kind:     hidden_remainder_x
      - .offset:         164
        .size:           2
        .value_kind:     hidden_remainder_y
      - .offset:         166
        .size:           2
        .value_kind:     hidden_remainder_z
      - .offset:         184
        .size:           8
        .value_kind:     hidden_global_offset_x
      - .offset:         192
        .size:           8
        .value_kind:     hidden_global_offset_y
      - .offset:         200
        .size:           8
        .value_kind:     hidden_global_offset_z
      - .offset:         208
        .size:           2
        .value_kind:     hidden_grid_dims
    .group_segment_fixed_size: 17472
    .kernarg_segment_align: 8
    .kernarg_segment_size: 400
    .language:       OpenCL C
    .language_version:
      - 2
      - 0
    .max_flat_workgroup_size: 256
    .name:           _Z39paged_attention_ll4mi_QKV_mfma16_kernelI14__hip_bfloat16S0_LN4vllm18Fp8KVCacheDataTypeE0EhLi16ELi64ELi256ELb0ELi14EL8MFMAType0EEvPKT_PKT0_S9_ifPKiSB_SB_iPKfiiiPfSE_PS4_PT2_iSD_SD_
    .private_segment_fixed_size: 0
    .sgpr_count:     54
    .sgpr_spill_count: 0
    .symbol:         _Z39paged_attention_ll4mi_QKV_mfma16_kernelI14__hip_bfloat16S0_LN4vllm18Fp8KVCacheDataTypeE0EhLi16ELi64ELi256ELb0ELi14EL8MFMAType0EEvPKT_PKT0_S9_ifPKiSB_SB_iPKfiiiPfSE_PS4_PT2_iSD_SD_.kd
    .uniform_work_group_size: 1
    .uses_dynamic_stack: false
    .vgpr_count:     198
    .vgpr_spill_count: 0
    .wavefront_size: 32
    .workgroup_processor_mode: 1
  - .args:
      - .actual_access:  read_only
        .address_space:  global
        .offset:         0
        .size:           8
        .value_kind:     global_buffer
      - .actual_access:  read_only
        .address_space:  global
        .offset:         8
        .size:           8
        .value_kind:     global_buffer
      - .actual_access:  read_only
        .address_space:  global
        .offset:         16
        .size:           8
        .value_kind:     global_buffer
      - .offset:         24
        .size:           4
        .value_kind:     by_value
      - .offset:         28
        .size:           4
        .value_kind:     by_value
      - .actual_access:  read_only
        .address_space:  global
        .offset:         32
        .size:           8
        .value_kind:     global_buffer
      - .actual_access:  read_only
        .address_space:  global
        .offset:         40
        .size:           8
        .value_kind:     global_buffer
      - .actual_access:  read_only
        .address_space:  global
        .offset:         48
        .size:           8
        .value_kind:     global_buffer
      - .offset:         56
        .size:           4
        .value_kind:     by_value
      - .actual_access:  read_only
        .address_space:  global
        .offset:         64
        .size:           8
        .value_kind:     global_buffer
      - .offset:         72
        .size:           4
        .value_kind:     by_value
      - .offset:         76
        .size:           4
        .value_kind:     by_value
      - .offset:         80
        .size:           4
        .value_kind:     by_value
      - .actual_access:  write_only
        .address_space:  global
        .offset:         88
        .size:           8
        .value_kind:     global_buffer
      - .actual_access:  write_only
        .address_space:  global
        .offset:         96
        .size:           8
        .value_kind:     global_buffer
      - .actual_access:  write_only
        .address_space:  global
        .offset:         104
        .size:           8
        .value_kind:     global_buffer
      - .actual_access:  read_only
        .address_space:  global
        .offset:         112
        .size:           8
        .value_kind:     global_buffer
      - .offset:         120
        .size:           4
        .value_kind:     by_value
      - .address_space:  global
        .offset:         128
        .size:           8
        .value_kind:     global_buffer
      - .address_space:  global
        .offset:         136
        .size:           8
        .value_kind:     global_buffer
      - .offset:         144
        .size:           4
        .value_kind:     hidden_block_count_x
      - .offset:         148
        .size:           4
        .value_kind:     hidden_block_count_y
      - .offset:         152
        .size:           4
        .value_kind:     hidden_block_count_z
      - .offset:         156
        .size:           2
        .value_kind:     hidden_group_size_x
      - .offset:         158
        .size:           2
        .value_kind:     hidden_group_size_y
      - .offset:         160
        .size:           2
        .value_kind:     hidden_group_size_z
      - .offset:         162
        .size:           2
        .value_kind:     hidden_remainder_x
      - .offset:         164
        .size:           2
        .value_kind:     hidden_remainder_y
      - .offset:         166
        .size:           2
        .value_kind:     hidden_remainder_z
      - .offset:         184
        .size:           8
        .value_kind:     hidden_global_offset_x
      - .offset:         192
        .size:           8
        .value_kind:     hidden_global_offset_y
      - .offset:         200
        .size:           8
        .value_kind:     hidden_global_offset_z
      - .offset:         208
        .size:           2
        .value_kind:     hidden_grid_dims
    .group_segment_fixed_size: 17472
    .kernarg_segment_align: 8
    .kernarg_segment_size: 400
    .language:       OpenCL C
    .language_version:
      - 2
      - 0
    .max_flat_workgroup_size: 256
    .name:           _Z39paged_attention_ll4mi_QKV_mfma16_kernelI14__hip_bfloat16S0_LN4vllm18Fp8KVCacheDataTypeE0EhLi16ELi64ELi256ELb0ELi15EL8MFMAType0EEvPKT_PKT0_S9_ifPKiSB_SB_iPKfiiiPfSE_PS4_PT2_iSD_SD_
    .private_segment_fixed_size: 0
    .sgpr_count:     54
    .sgpr_spill_count: 0
    .symbol:         _Z39paged_attention_ll4mi_QKV_mfma16_kernelI14__hip_bfloat16S0_LN4vllm18Fp8KVCacheDataTypeE0EhLi16ELi64ELi256ELb0ELi15EL8MFMAType0EEvPKT_PKT0_S9_ifPKiSB_SB_iPKfiiiPfSE_PS4_PT2_iSD_SD_.kd
    .uniform_work_group_size: 1
    .uses_dynamic_stack: false
    .vgpr_count:     198
    .vgpr_spill_count: 0
    .wavefront_size: 32
    .workgroup_processor_mode: 1
  - .args:
      - .actual_access:  read_only
        .address_space:  global
        .offset:         0
        .size:           8
        .value_kind:     global_buffer
      - .actual_access:  read_only
        .address_space:  global
        .offset:         8
        .size:           8
        .value_kind:     global_buffer
      - .actual_access:  read_only
        .address_space:  global
        .offset:         16
        .size:           8
        .value_kind:     global_buffer
      - .offset:         24
        .size:           4
        .value_kind:     by_value
      - .offset:         28
        .size:           4
        .value_kind:     by_value
      - .actual_access:  read_only
        .address_space:  global
        .offset:         32
        .size:           8
        .value_kind:     global_buffer
      - .actual_access:  read_only
        .address_space:  global
        .offset:         40
        .size:           8
        .value_kind:     global_buffer
      - .actual_access:  read_only
        .address_space:  global
        .offset:         48
        .size:           8
        .value_kind:     global_buffer
      - .offset:         56
        .size:           4
        .value_kind:     by_value
      - .actual_access:  read_only
        .address_space:  global
        .offset:         64
        .size:           8
        .value_kind:     global_buffer
      - .offset:         72
        .size:           4
        .value_kind:     by_value
      - .offset:         76
        .size:           4
        .value_kind:     by_value
      - .offset:         80
        .size:           4
        .value_kind:     by_value
      - .actual_access:  write_only
        .address_space:  global
        .offset:         88
        .size:           8
        .value_kind:     global_buffer
      - .actual_access:  write_only
        .address_space:  global
        .offset:         96
        .size:           8
        .value_kind:     global_buffer
      - .actual_access:  write_only
        .address_space:  global
        .offset:         104
        .size:           8
        .value_kind:     global_buffer
      - .actual_access:  read_only
        .address_space:  global
        .offset:         112
        .size:           8
        .value_kind:     global_buffer
      - .offset:         120
        .size:           4
        .value_kind:     by_value
      - .address_space:  global
        .offset:         128
        .size:           8
        .value_kind:     global_buffer
      - .address_space:  global
        .offset:         136
        .size:           8
        .value_kind:     global_buffer
      - .offset:         144
        .size:           4
        .value_kind:     hidden_block_count_x
      - .offset:         148
        .size:           4
        .value_kind:     hidden_block_count_y
      - .offset:         152
        .size:           4
        .value_kind:     hidden_block_count_z
      - .offset:         156
        .size:           2
        .value_kind:     hidden_group_size_x
      - .offset:         158
        .size:           2
        .value_kind:     hidden_group_size_y
      - .offset:         160
        .size:           2
        .value_kind:     hidden_group_size_z
      - .offset:         162
        .size:           2
        .value_kind:     hidden_remainder_x
      - .offset:         164
        .size:           2
        .value_kind:     hidden_remainder_y
      - .offset:         166
        .size:           2
        .value_kind:     hidden_remainder_z
      - .offset:         184
        .size:           8
        .value_kind:     hidden_global_offset_x
      - .offset:         192
        .size:           8
        .value_kind:     hidden_global_offset_y
      - .offset:         200
        .size:           8
        .value_kind:     hidden_global_offset_z
      - .offset:         208
        .size:           2
        .value_kind:     hidden_grid_dims
    .group_segment_fixed_size: 17472
    .kernarg_segment_align: 8
    .kernarg_segment_size: 400
    .language:       OpenCL C
    .language_version:
      - 2
      - 0
    .max_flat_workgroup_size: 256
    .name:           _Z39paged_attention_ll4mi_QKV_mfma16_kernelI14__hip_bfloat16S0_LN4vllm18Fp8KVCacheDataTypeE0EhLi16ELi64ELi256ELb0ELi16EL8MFMAType0EEvPKT_PKT0_S9_ifPKiSB_SB_iPKfiiiPfSE_PS4_PT2_iSD_SD_
    .private_segment_fixed_size: 0
    .sgpr_count:     54
    .sgpr_spill_count: 0
    .symbol:         _Z39paged_attention_ll4mi_QKV_mfma16_kernelI14__hip_bfloat16S0_LN4vllm18Fp8KVCacheDataTypeE0EhLi16ELi64ELi256ELb0ELi16EL8MFMAType0EEvPKT_PKT0_S9_ifPKiSB_SB_iPKfiiiPfSE_PS4_PT2_iSD_SD_.kd
    .uniform_work_group_size: 1
    .uses_dynamic_stack: false
    .vgpr_count:     198
    .vgpr_spill_count: 0
    .wavefront_size: 32
    .workgroup_processor_mode: 1
  - .args:
      - .actual_access:  read_only
        .address_space:  global
        .offset:         0
        .size:           8
        .value_kind:     global_buffer
      - .actual_access:  read_only
        .address_space:  global
        .offset:         8
        .size:           8
        .value_kind:     global_buffer
      - .actual_access:  read_only
        .address_space:  global
        .offset:         16
        .size:           8
        .value_kind:     global_buffer
      - .offset:         24
        .size:           4
        .value_kind:     by_value
      - .offset:         28
        .size:           4
        .value_kind:     by_value
      - .actual_access:  read_only
        .address_space:  global
        .offset:         32
        .size:           8
        .value_kind:     global_buffer
      - .actual_access:  read_only
        .address_space:  global
        .offset:         40
        .size:           8
        .value_kind:     global_buffer
      - .actual_access:  read_only
        .address_space:  global
        .offset:         48
        .size:           8
        .value_kind:     global_buffer
      - .offset:         56
        .size:           4
        .value_kind:     by_value
      - .actual_access:  read_only
        .address_space:  global
        .offset:         64
        .size:           8
        .value_kind:     global_buffer
      - .offset:         72
        .size:           4
        .value_kind:     by_value
      - .offset:         76
        .size:           4
        .value_kind:     by_value
      - .offset:         80
        .size:           4
        .value_kind:     by_value
      - .actual_access:  write_only
        .address_space:  global
        .offset:         88
        .size:           8
        .value_kind:     global_buffer
      - .actual_access:  write_only
        .address_space:  global
        .offset:         96
        .size:           8
        .value_kind:     global_buffer
      - .actual_access:  write_only
        .address_space:  global
        .offset:         104
        .size:           8
        .value_kind:     global_buffer
      - .actual_access:  read_only
        .address_space:  global
        .offset:         112
        .size:           8
        .value_kind:     global_buffer
      - .offset:         120
        .size:           4
        .value_kind:     by_value
      - .address_space:  global
        .offset:         128
        .size:           8
        .value_kind:     global_buffer
      - .address_space:  global
        .offset:         136
        .size:           8
        .value_kind:     global_buffer
      - .offset:         144
        .size:           4
        .value_kind:     hidden_block_count_x
      - .offset:         148
        .size:           4
        .value_kind:     hidden_block_count_y
      - .offset:         152
        .size:           4
        .value_kind:     hidden_block_count_z
      - .offset:         156
        .size:           2
        .value_kind:     hidden_group_size_x
      - .offset:         158
        .size:           2
        .value_kind:     hidden_group_size_y
      - .offset:         160
        .size:           2
        .value_kind:     hidden_group_size_z
      - .offset:         162
        .size:           2
        .value_kind:     hidden_remainder_x
      - .offset:         164
        .size:           2
        .value_kind:     hidden_remainder_y
      - .offset:         166
        .size:           2
        .value_kind:     hidden_remainder_z
      - .offset:         184
        .size:           8
        .value_kind:     hidden_global_offset_x
      - .offset:         192
        .size:           8
        .value_kind:     hidden_global_offset_y
      - .offset:         200
        .size:           8
        .value_kind:     hidden_global_offset_z
      - .offset:         208
        .size:           2
        .value_kind:     hidden_grid_dims
    .group_segment_fixed_size: 17472
    .kernarg_segment_align: 8
    .kernarg_segment_size: 400
    .language:       OpenCL C
    .language_version:
      - 2
      - 0
    .max_flat_workgroup_size: 256
    .name:           _Z39paged_attention_ll4mi_QKV_mfma16_kernelI14__hip_bfloat16S0_LN4vllm18Fp8KVCacheDataTypeE0EhLi16ELi64ELi256ELb0ELi1EL8MFMAType0EEvPKT_PKT0_S9_ifPKiSB_SB_iPKfiiiPfSE_PS4_PT2_iSD_SD_
    .private_segment_fixed_size: 0
    .sgpr_count:     69
    .sgpr_spill_count: 0
    .symbol:         _Z39paged_attention_ll4mi_QKV_mfma16_kernelI14__hip_bfloat16S0_LN4vllm18Fp8KVCacheDataTypeE0EhLi16ELi64ELi256ELb0ELi1EL8MFMAType0EEvPKT_PKT0_S9_ifPKiSB_SB_iPKfiiiPfSE_PS4_PT2_iSD_SD_.kd
    .uniform_work_group_size: 1
    .uses_dynamic_stack: false
    .vgpr_count:     193
    .vgpr_spill_count: 0
    .wavefront_size: 32
    .workgroup_processor_mode: 1
  - .args:
      - .actual_access:  read_only
        .address_space:  global
        .offset:         0
        .size:           8
        .value_kind:     global_buffer
      - .actual_access:  read_only
        .address_space:  global
        .offset:         8
        .size:           8
        .value_kind:     global_buffer
      - .actual_access:  read_only
        .address_space:  global
        .offset:         16
        .size:           8
        .value_kind:     global_buffer
      - .offset:         24
        .size:           4
        .value_kind:     by_value
      - .offset:         28
        .size:           4
        .value_kind:     by_value
      - .actual_access:  read_only
        .address_space:  global
        .offset:         32
        .size:           8
        .value_kind:     global_buffer
      - .actual_access:  read_only
        .address_space:  global
        .offset:         40
        .size:           8
        .value_kind:     global_buffer
      - .actual_access:  read_only
        .address_space:  global
        .offset:         48
        .size:           8
        .value_kind:     global_buffer
      - .offset:         56
        .size:           4
        .value_kind:     by_value
      - .actual_access:  read_only
        .address_space:  global
        .offset:         64
        .size:           8
        .value_kind:     global_buffer
      - .offset:         72
        .size:           4
        .value_kind:     by_value
      - .offset:         76
        .size:           4
        .value_kind:     by_value
      - .offset:         80
        .size:           4
        .value_kind:     by_value
      - .actual_access:  write_only
        .address_space:  global
        .offset:         88
        .size:           8
        .value_kind:     global_buffer
      - .actual_access:  write_only
        .address_space:  global
        .offset:         96
        .size:           8
        .value_kind:     global_buffer
      - .actual_access:  write_only
        .address_space:  global
        .offset:         104
        .size:           8
        .value_kind:     global_buffer
      - .actual_access:  read_only
        .address_space:  global
        .offset:         112
        .size:           8
        .value_kind:     global_buffer
      - .offset:         120
        .size:           4
        .value_kind:     by_value
      - .address_space:  global
        .offset:         128
        .size:           8
        .value_kind:     global_buffer
      - .address_space:  global
        .offset:         136
        .size:           8
        .value_kind:     global_buffer
      - .offset:         144
        .size:           4
        .value_kind:     hidden_block_count_x
      - .offset:         148
        .size:           4
        .value_kind:     hidden_block_count_y
      - .offset:         152
        .size:           4
        .value_kind:     hidden_block_count_z
      - .offset:         156
        .size:           2
        .value_kind:     hidden_group_size_x
      - .offset:         158
        .size:           2
        .value_kind:     hidden_group_size_y
      - .offset:         160
        .size:           2
        .value_kind:     hidden_group_size_z
      - .offset:         162
        .size:           2
        .value_kind:     hidden_remainder_x
      - .offset:         164
        .size:           2
        .value_kind:     hidden_remainder_y
      - .offset:         166
        .size:           2
        .value_kind:     hidden_remainder_z
      - .offset:         184
        .size:           8
        .value_kind:     hidden_global_offset_x
      - .offset:         192
        .size:           8
        .value_kind:     hidden_global_offset_y
      - .offset:         200
        .size:           8
        .value_kind:     hidden_global_offset_z
      - .offset:         208
        .size:           2
        .value_kind:     hidden_grid_dims
    .group_segment_fixed_size: 17472
    .kernarg_segment_align: 8
    .kernarg_segment_size: 400
    .language:       OpenCL C
    .language_version:
      - 2
      - 0
    .max_flat_workgroup_size: 256
    .name:           _Z39paged_attention_ll4mi_QKV_mfma16_kernelI14__hip_bfloat16S0_LN4vllm18Fp8KVCacheDataTypeE0EhLi16ELi64ELi256ELb0ELi2EL8MFMAType0EEvPKT_PKT0_S9_ifPKiSB_SB_iPKfiiiPfSE_PS4_PT2_iSD_SD_
    .private_segment_fixed_size: 0
    .sgpr_count:     54
    .sgpr_spill_count: 0
    .symbol:         _Z39paged_attention_ll4mi_QKV_mfma16_kernelI14__hip_bfloat16S0_LN4vllm18Fp8KVCacheDataTypeE0EhLi16ELi64ELi256ELb0ELi2EL8MFMAType0EEvPKT_PKT0_S9_ifPKiSB_SB_iPKfiiiPfSE_PS4_PT2_iSD_SD_.kd
    .uniform_work_group_size: 1
    .uses_dynamic_stack: false
    .vgpr_count:     202
    .vgpr_spill_count: 0
    .wavefront_size: 32
    .workgroup_processor_mode: 1
  - .args:
      - .actual_access:  read_only
        .address_space:  global
        .offset:         0
        .size:           8
        .value_kind:     global_buffer
      - .actual_access:  read_only
        .address_space:  global
        .offset:         8
        .size:           8
        .value_kind:     global_buffer
      - .actual_access:  read_only
        .address_space:  global
        .offset:         16
        .size:           8
        .value_kind:     global_buffer
      - .offset:         24
        .size:           4
        .value_kind:     by_value
      - .offset:         28
        .size:           4
        .value_kind:     by_value
      - .actual_access:  read_only
        .address_space:  global
        .offset:         32
        .size:           8
        .value_kind:     global_buffer
      - .actual_access:  read_only
        .address_space:  global
        .offset:         40
        .size:           8
        .value_kind:     global_buffer
      - .actual_access:  read_only
        .address_space:  global
        .offset:         48
        .size:           8
        .value_kind:     global_buffer
      - .offset:         56
        .size:           4
        .value_kind:     by_value
      - .actual_access:  read_only
        .address_space:  global
        .offset:         64
        .size:           8
        .value_kind:     global_buffer
      - .offset:         72
        .size:           4
        .value_kind:     by_value
      - .offset:         76
        .size:           4
        .value_kind:     by_value
      - .offset:         80
        .size:           4
        .value_kind:     by_value
      - .actual_access:  write_only
        .address_space:  global
        .offset:         88
        .size:           8
        .value_kind:     global_buffer
      - .actual_access:  write_only
        .address_space:  global
        .offset:         96
        .size:           8
        .value_kind:     global_buffer
      - .actual_access:  write_only
        .address_space:  global
        .offset:         104
        .size:           8
        .value_kind:     global_buffer
      - .actual_access:  read_only
        .address_space:  global
        .offset:         112
        .size:           8
        .value_kind:     global_buffer
      - .offset:         120
        .size:           4
        .value_kind:     by_value
      - .address_space:  global
        .offset:         128
        .size:           8
        .value_kind:     global_buffer
      - .address_space:  global
        .offset:         136
        .size:           8
        .value_kind:     global_buffer
      - .offset:         144
        .size:           4
        .value_kind:     hidden_block_count_x
      - .offset:         148
        .size:           4
        .value_kind:     hidden_block_count_y
      - .offset:         152
        .size:           4
        .value_kind:     hidden_block_count_z
      - .offset:         156
        .size:           2
        .value_kind:     hidden_group_size_x
      - .offset:         158
        .size:           2
        .value_kind:     hidden_group_size_y
      - .offset:         160
        .size:           2
        .value_kind:     hidden_group_size_z
      - .offset:         162
        .size:           2
        .value_kind:     hidden_remainder_x
      - .offset:         164
        .size:           2
        .value_kind:     hidden_remainder_y
      - .offset:         166
        .size:           2
        .value_kind:     hidden_remainder_z
      - .offset:         184
        .size:           8
        .value_kind:     hidden_global_offset_x
      - .offset:         192
        .size:           8
        .value_kind:     hidden_global_offset_y
      - .offset:         200
        .size:           8
        .value_kind:     hidden_global_offset_z
      - .offset:         208
        .size:           2
        .value_kind:     hidden_grid_dims
    .group_segment_fixed_size: 17472
    .kernarg_segment_align: 8
    .kernarg_segment_size: 400
    .language:       OpenCL C
    .language_version:
      - 2
      - 0
    .max_flat_workgroup_size: 256
    .name:           _Z39paged_attention_ll4mi_QKV_mfma16_kernelI14__hip_bfloat16S0_LN4vllm18Fp8KVCacheDataTypeE0EhLi16ELi64ELi256ELb0ELi3EL8MFMAType0EEvPKT_PKT0_S9_ifPKiSB_SB_iPKfiiiPfSE_PS4_PT2_iSD_SD_
    .private_segment_fixed_size: 0
    .sgpr_count:     54
    .sgpr_spill_count: 0
    .symbol:         _Z39paged_attention_ll4mi_QKV_mfma16_kernelI14__hip_bfloat16S0_LN4vllm18Fp8KVCacheDataTypeE0EhLi16ELi64ELi256ELb0ELi3EL8MFMAType0EEvPKT_PKT0_S9_ifPKiSB_SB_iPKfiiiPfSE_PS4_PT2_iSD_SD_.kd
    .uniform_work_group_size: 1
    .uses_dynamic_stack: false
    .vgpr_count:     198
    .vgpr_spill_count: 0
    .wavefront_size: 32
    .workgroup_processor_mode: 1
  - .args:
      - .actual_access:  read_only
        .address_space:  global
        .offset:         0
        .size:           8
        .value_kind:     global_buffer
      - .actual_access:  read_only
        .address_space:  global
        .offset:         8
        .size:           8
        .value_kind:     global_buffer
      - .actual_access:  read_only
        .address_space:  global
        .offset:         16
        .size:           8
        .value_kind:     global_buffer
      - .offset:         24
        .size:           4
        .value_kind:     by_value
      - .offset:         28
        .size:           4
        .value_kind:     by_value
      - .actual_access:  read_only
        .address_space:  global
        .offset:         32
        .size:           8
        .value_kind:     global_buffer
      - .actual_access:  read_only
        .address_space:  global
        .offset:         40
        .size:           8
        .value_kind:     global_buffer
      - .actual_access:  read_only
        .address_space:  global
        .offset:         48
        .size:           8
        .value_kind:     global_buffer
      - .offset:         56
        .size:           4
        .value_kind:     by_value
      - .actual_access:  read_only
        .address_space:  global
        .offset:         64
        .size:           8
        .value_kind:     global_buffer
      - .offset:         72
        .size:           4
        .value_kind:     by_value
      - .offset:         76
        .size:           4
        .value_kind:     by_value
      - .offset:         80
        .size:           4
        .value_kind:     by_value
      - .actual_access:  write_only
        .address_space:  global
        .offset:         88
        .size:           8
        .value_kind:     global_buffer
      - .actual_access:  write_only
        .address_space:  global
        .offset:         96
        .size:           8
        .value_kind:     global_buffer
      - .actual_access:  write_only
        .address_space:  global
        .offset:         104
        .size:           8
        .value_kind:     global_buffer
      - .actual_access:  read_only
        .address_space:  global
        .offset:         112
        .size:           8
        .value_kind:     global_buffer
      - .offset:         120
        .size:           4
        .value_kind:     by_value
      - .address_space:  global
        .offset:         128
        .size:           8
        .value_kind:     global_buffer
      - .address_space:  global
        .offset:         136
        .size:           8
        .value_kind:     global_buffer
      - .offset:         144
        .size:           4
        .value_kind:     hidden_block_count_x
      - .offset:         148
        .size:           4
        .value_kind:     hidden_block_count_y
      - .offset:         152
        .size:           4
        .value_kind:     hidden_block_count_z
      - .offset:         156
        .size:           2
        .value_kind:     hidden_group_size_x
      - .offset:         158
        .size:           2
        .value_kind:     hidden_group_size_y
      - .offset:         160
        .size:           2
        .value_kind:     hidden_group_size_z
      - .offset:         162
        .size:           2
        .value_kind:     hidden_remainder_x
      - .offset:         164
        .size:           2
        .value_kind:     hidden_remainder_y
      - .offset:         166
        .size:           2
        .value_kind:     hidden_remainder_z
      - .offset:         184
        .size:           8
        .value_kind:     hidden_global_offset_x
      - .offset:         192
        .size:           8
        .value_kind:     hidden_global_offset_y
      - .offset:         200
        .size:           8
        .value_kind:     hidden_global_offset_z
      - .offset:         208
        .size:           2
        .value_kind:     hidden_grid_dims
    .group_segment_fixed_size: 17472
    .kernarg_segment_align: 8
    .kernarg_segment_size: 400
    .language:       OpenCL C
    .language_version:
      - 2
      - 0
    .max_flat_workgroup_size: 256
    .name:           _Z39paged_attention_ll4mi_QKV_mfma16_kernelI14__hip_bfloat16S0_LN4vllm18Fp8KVCacheDataTypeE0EhLi16ELi64ELi256ELb0ELi4EL8MFMAType0EEvPKT_PKT0_S9_ifPKiSB_SB_iPKfiiiPfSE_PS4_PT2_iSD_SD_
    .private_segment_fixed_size: 0
    .sgpr_count:     54
    .sgpr_spill_count: 0
    .symbol:         _Z39paged_attention_ll4mi_QKV_mfma16_kernelI14__hip_bfloat16S0_LN4vllm18Fp8KVCacheDataTypeE0EhLi16ELi64ELi256ELb0ELi4EL8MFMAType0EEvPKT_PKT0_S9_ifPKiSB_SB_iPKfiiiPfSE_PS4_PT2_iSD_SD_.kd
    .uniform_work_group_size: 1
    .uses_dynamic_stack: false
    .vgpr_count:     198
    .vgpr_spill_count: 0
    .wavefront_size: 32
    .workgroup_processor_mode: 1
  - .args:
      - .actual_access:  read_only
        .address_space:  global
        .offset:         0
        .size:           8
        .value_kind:     global_buffer
      - .actual_access:  read_only
        .address_space:  global
        .offset:         8
        .size:           8
        .value_kind:     global_buffer
      - .actual_access:  read_only
        .address_space:  global
        .offset:         16
        .size:           8
        .value_kind:     global_buffer
      - .offset:         24
        .size:           4
        .value_kind:     by_value
      - .offset:         28
        .size:           4
        .value_kind:     by_value
      - .actual_access:  read_only
        .address_space:  global
        .offset:         32
        .size:           8
        .value_kind:     global_buffer
      - .actual_access:  read_only
        .address_space:  global
        .offset:         40
        .size:           8
        .value_kind:     global_buffer
      - .actual_access:  read_only
        .address_space:  global
        .offset:         48
        .size:           8
        .value_kind:     global_buffer
      - .offset:         56
        .size:           4
        .value_kind:     by_value
      - .actual_access:  read_only
        .address_space:  global
        .offset:         64
        .size:           8
        .value_kind:     global_buffer
      - .offset:         72
        .size:           4
        .value_kind:     by_value
      - .offset:         76
        .size:           4
        .value_kind:     by_value
      - .offset:         80
        .size:           4
        .value_kind:     by_value
      - .actual_access:  read_only
        .address_space:  global
        .offset:         88
        .size:           8
        .value_kind:     global_buffer
      - .actual_access:  read_only
        .address_space:  global
        .offset:         96
        .size:           8
        .value_kind:     global_buffer
      - .actual_access:  read_only
        .address_space:  global
        .offset:         104
        .size:           8
        .value_kind:     global_buffer
      - .actual_access:  read_only
        .address_space:  global
        .offset:         112
        .size:           8
        .value_kind:     global_buffer
      - .offset:         120
        .size:           4
        .value_kind:     by_value
      - .address_space:  global
        .offset:         128
        .size:           8
        .value_kind:     global_buffer
      - .address_space:  global
        .offset:         136
        .size:           8
        .value_kind:     global_buffer
      - .offset:         144
        .size:           4
        .value_kind:     hidden_block_count_x
      - .offset:         148
        .size:           4
        .value_kind:     hidden_block_count_y
      - .offset:         152
        .size:           4
        .value_kind:     hidden_block_count_z
      - .offset:         156
        .size:           2
        .value_kind:     hidden_group_size_x
      - .offset:         158
        .size:           2
        .value_kind:     hidden_group_size_y
      - .offset:         160
        .size:           2
        .value_kind:     hidden_group_size_z
      - .offset:         162
        .size:           2
        .value_kind:     hidden_remainder_x
      - .offset:         164
        .size:           2
        .value_kind:     hidden_remainder_y
      - .offset:         166
        .size:           2
        .value_kind:     hidden_remainder_z
      - .offset:         184
        .size:           8
        .value_kind:     hidden_global_offset_x
      - .offset:         192
        .size:           8
        .value_kind:     hidden_global_offset_y
      - .offset:         200
        .size:           8
        .value_kind:     hidden_global_offset_z
      - .offset:         208
        .size:           2
        .value_kind:     hidden_grid_dims
      - .offset:         224
        .size:           8
        .value_kind:     hidden_hostcall_buffer
    .group_segment_fixed_size: 0
    .kernarg_segment_align: 8
    .kernarg_segment_size: 400
    .language:       OpenCL C
    .language_version:
      - 2
      - 0
    .max_flat_workgroup_size: 256
    .name:           _Z38paged_attention_ll4mi_QKV_mfma4_kernelI14__hip_bfloat16S0_LN4vllm18Fp8KVCacheDataTypeE0ES0_Li16ELi64ELi256ELb1ELi1EEvPKT_PKT0_S8_ifPKiSA_SA_iPKfiiiPfSD_PS3_PT2_iSC_SC_
    .private_segment_fixed_size: 64
    .sgpr_count:     36
    .sgpr_spill_count: 0
    .symbol:         _Z38paged_attention_ll4mi_QKV_mfma4_kernelI14__hip_bfloat16S0_LN4vllm18Fp8KVCacheDataTypeE0ES0_Li16ELi64ELi256ELb1ELi1EEvPKT_PKT0_S8_ifPKiSA_SA_iPKfiiiPfSD_PS3_PT2_iSC_SC_.kd
    .uniform_work_group_size: 1
    .uses_dynamic_stack: false
    .vgpr_count:     41
    .vgpr_spill_count: 0
    .wavefront_size: 32
    .workgroup_processor_mode: 1
  - .args:
      - .actual_access:  read_only
        .address_space:  global
        .offset:         0
        .size:           8
        .value_kind:     global_buffer
      - .actual_access:  read_only
        .address_space:  global
        .offset:         8
        .size:           8
        .value_kind:     global_buffer
      - .actual_access:  read_only
        .address_space:  global
        .offset:         16
        .size:           8
        .value_kind:     global_buffer
      - .offset:         24
        .size:           4
        .value_kind:     by_value
      - .offset:         28
        .size:           4
        .value_kind:     by_value
      - .actual_access:  read_only
        .address_space:  global
        .offset:         32
        .size:           8
        .value_kind:     global_buffer
      - .actual_access:  read_only
        .address_space:  global
        .offset:         40
        .size:           8
        .value_kind:     global_buffer
      - .actual_access:  read_only
        .address_space:  global
        .offset:         48
        .size:           8
        .value_kind:     global_buffer
      - .offset:         56
        .size:           4
        .value_kind:     by_value
      - .actual_access:  read_only
        .address_space:  global
        .offset:         64
        .size:           8
        .value_kind:     global_buffer
      - .offset:         72
        .size:           4
        .value_kind:     by_value
      - .offset:         76
        .size:           4
        .value_kind:     by_value
      - .offset:         80
        .size:           4
        .value_kind:     by_value
      - .actual_access:  read_only
        .address_space:  global
        .offset:         88
        .size:           8
        .value_kind:     global_buffer
      - .actual_access:  read_only
        .address_space:  global
        .offset:         96
        .size:           8
        .value_kind:     global_buffer
      - .actual_access:  read_only
        .address_space:  global
        .offset:         104
        .size:           8
        .value_kind:     global_buffer
      - .actual_access:  read_only
        .address_space:  global
        .offset:         112
        .size:           8
        .value_kind:     global_buffer
      - .offset:         120
        .size:           4
        .value_kind:     by_value
      - .address_space:  global
        .offset:         128
        .size:           8
        .value_kind:     global_buffer
      - .address_space:  global
        .offset:         136
        .size:           8
        .value_kind:     global_buffer
      - .offset:         144
        .size:           4
        .value_kind:     hidden_block_count_x
      - .offset:         148
        .size:           4
        .value_kind:     hidden_block_count_y
      - .offset:         152
        .size:           4
        .value_kind:     hidden_block_count_z
      - .offset:         156
        .size:           2
        .value_kind:     hidden_group_size_x
      - .offset:         158
        .size:           2
        .value_kind:     hidden_group_size_y
      - .offset:         160
        .size:           2
        .value_kind:     hidden_group_size_z
      - .offset:         162
        .size:           2
        .value_kind:     hidden_remainder_x
      - .offset:         164
        .size:           2
        .value_kind:     hidden_remainder_y
      - .offset:         166
        .size:           2
        .value_kind:     hidden_remainder_z
      - .offset:         184
        .size:           8
        .value_kind:     hidden_global_offset_x
      - .offset:         192
        .size:           8
        .value_kind:     hidden_global_offset_y
      - .offset:         200
        .size:           8
        .value_kind:     hidden_global_offset_z
      - .offset:         208
        .size:           2
        .value_kind:     hidden_grid_dims
      - .offset:         224
        .size:           8
        .value_kind:     hidden_hostcall_buffer
    .group_segment_fixed_size: 0
    .kernarg_segment_align: 8
    .kernarg_segment_size: 400
    .language:       OpenCL C
    .language_version:
      - 2
      - 0
    .max_flat_workgroup_size: 256
    .name:           _Z38paged_attention_ll4mi_QKV_mfma4_kernelI14__hip_bfloat16S0_LN4vllm18Fp8KVCacheDataTypeE0ES0_Li16ELi64ELi256ELb1ELi2EEvPKT_PKT0_S8_ifPKiSA_SA_iPKfiiiPfSD_PS3_PT2_iSC_SC_
    .private_segment_fixed_size: 64
    .sgpr_count:     36
    .sgpr_spill_count: 0
    .symbol:         _Z38paged_attention_ll4mi_QKV_mfma4_kernelI14__hip_bfloat16S0_LN4vllm18Fp8KVCacheDataTypeE0ES0_Li16ELi64ELi256ELb1ELi2EEvPKT_PKT0_S8_ifPKiSA_SA_iPKfiiiPfSD_PS3_PT2_iSC_SC_.kd
    .uniform_work_group_size: 1
    .uses_dynamic_stack: false
    .vgpr_count:     41
    .vgpr_spill_count: 0
    .wavefront_size: 32
    .workgroup_processor_mode: 1
  - .args:
      - .actual_access:  read_only
        .address_space:  global
        .offset:         0
        .size:           8
        .value_kind:     global_buffer
      - .actual_access:  read_only
        .address_space:  global
        .offset:         8
        .size:           8
        .value_kind:     global_buffer
      - .actual_access:  read_only
        .address_space:  global
        .offset:         16
        .size:           8
        .value_kind:     global_buffer
      - .offset:         24
        .size:           4
        .value_kind:     by_value
      - .offset:         28
        .size:           4
        .value_kind:     by_value
      - .actual_access:  read_only
        .address_space:  global
        .offset:         32
        .size:           8
        .value_kind:     global_buffer
      - .actual_access:  read_only
        .address_space:  global
        .offset:         40
        .size:           8
        .value_kind:     global_buffer
      - .actual_access:  read_only
        .address_space:  global
        .offset:         48
        .size:           8
        .value_kind:     global_buffer
      - .offset:         56
        .size:           4
        .value_kind:     by_value
      - .actual_access:  read_only
        .address_space:  global
        .offset:         64
        .size:           8
        .value_kind:     global_buffer
      - .offset:         72
        .size:           4
        .value_kind:     by_value
      - .offset:         76
        .size:           4
        .value_kind:     by_value
      - .offset:         80
        .size:           4
        .value_kind:     by_value
      - .actual_access:  read_only
        .address_space:  global
        .offset:         88
        .size:           8
        .value_kind:     global_buffer
      - .actual_access:  read_only
        .address_space:  global
        .offset:         96
        .size:           8
        .value_kind:     global_buffer
      - .actual_access:  read_only
        .address_space:  global
        .offset:         104
        .size:           8
        .value_kind:     global_buffer
      - .actual_access:  read_only
        .address_space:  global
        .offset:         112
        .size:           8
        .value_kind:     global_buffer
      - .offset:         120
        .size:           4
        .value_kind:     by_value
      - .address_space:  global
        .offset:         128
        .size:           8
        .value_kind:     global_buffer
      - .address_space:  global
        .offset:         136
        .size:           8
        .value_kind:     global_buffer
      - .offset:         144
        .size:           4
        .value_kind:     hidden_block_count_x
      - .offset:         148
        .size:           4
        .value_kind:     hidden_block_count_y
      - .offset:         152
        .size:           4
        .value_kind:     hidden_block_count_z
      - .offset:         156
        .size:           2
        .value_kind:     hidden_group_size_x
      - .offset:         158
        .size:           2
        .value_kind:     hidden_group_size_y
      - .offset:         160
        .size:           2
        .value_kind:     hidden_group_size_z
      - .offset:         162
        .size:           2
        .value_kind:     hidden_remainder_x
      - .offset:         164
        .size:           2
        .value_kind:     hidden_remainder_y
      - .offset:         166
        .size:           2
        .value_kind:     hidden_remainder_z
      - .offset:         184
        .size:           8
        .value_kind:     hidden_global_offset_x
      - .offset:         192
        .size:           8
        .value_kind:     hidden_global_offset_y
      - .offset:         200
        .size:           8
        .value_kind:     hidden_global_offset_z
      - .offset:         208
        .size:           2
        .value_kind:     hidden_grid_dims
      - .offset:         224
        .size:           8
        .value_kind:     hidden_hostcall_buffer
    .group_segment_fixed_size: 0
    .kernarg_segment_align: 8
    .kernarg_segment_size: 400
    .language:       OpenCL C
    .language_version:
      - 2
      - 0
    .max_flat_workgroup_size: 256
    .name:           _Z38paged_attention_ll4mi_QKV_mfma4_kernelI14__hip_bfloat16S0_LN4vllm18Fp8KVCacheDataTypeE0ES0_Li16ELi64ELi256ELb1ELi3EEvPKT_PKT0_S8_ifPKiSA_SA_iPKfiiiPfSD_PS3_PT2_iSC_SC_
    .private_segment_fixed_size: 64
    .sgpr_count:     36
    .sgpr_spill_count: 0
    .symbol:         _Z38paged_attention_ll4mi_QKV_mfma4_kernelI14__hip_bfloat16S0_LN4vllm18Fp8KVCacheDataTypeE0ES0_Li16ELi64ELi256ELb1ELi3EEvPKT_PKT0_S8_ifPKiSA_SA_iPKfiiiPfSD_PS3_PT2_iSC_SC_.kd
    .uniform_work_group_size: 1
    .uses_dynamic_stack: false
    .vgpr_count:     41
    .vgpr_spill_count: 0
    .wavefront_size: 32
    .workgroup_processor_mode: 1
  - .args:
      - .actual_access:  read_only
        .address_space:  global
        .offset:         0
        .size:           8
        .value_kind:     global_buffer
      - .actual_access:  read_only
        .address_space:  global
        .offset:         8
        .size:           8
        .value_kind:     global_buffer
      - .actual_access:  read_only
        .address_space:  global
        .offset:         16
        .size:           8
        .value_kind:     global_buffer
      - .offset:         24
        .size:           4
        .value_kind:     by_value
      - .offset:         28
        .size:           4
        .value_kind:     by_value
      - .actual_access:  read_only
        .address_space:  global
        .offset:         32
        .size:           8
        .value_kind:     global_buffer
      - .actual_access:  read_only
        .address_space:  global
        .offset:         40
        .size:           8
        .value_kind:     global_buffer
      - .actual_access:  read_only
        .address_space:  global
        .offset:         48
        .size:           8
        .value_kind:     global_buffer
      - .offset:         56
        .size:           4
        .value_kind:     by_value
      - .actual_access:  read_only
        .address_space:  global
        .offset:         64
        .size:           8
        .value_kind:     global_buffer
      - .offset:         72
        .size:           4
        .value_kind:     by_value
      - .offset:         76
        .size:           4
        .value_kind:     by_value
      - .offset:         80
        .size:           4
        .value_kind:     by_value
      - .actual_access:  read_only
        .address_space:  global
        .offset:         88
        .size:           8
        .value_kind:     global_buffer
      - .actual_access:  read_only
        .address_space:  global
        .offset:         96
        .size:           8
        .value_kind:     global_buffer
      - .actual_access:  read_only
        .address_space:  global
        .offset:         104
        .size:           8
        .value_kind:     global_buffer
      - .actual_access:  read_only
        .address_space:  global
        .offset:         112
        .size:           8
        .value_kind:     global_buffer
      - .offset:         120
        .size:           4
        .value_kind:     by_value
      - .address_space:  global
        .offset:         128
        .size:           8
        .value_kind:     global_buffer
      - .address_space:  global
        .offset:         136
        .size:           8
        .value_kind:     global_buffer
      - .offset:         144
        .size:           4
        .value_kind:     hidden_block_count_x
      - .offset:         148
        .size:           4
        .value_kind:     hidden_block_count_y
      - .offset:         152
        .size:           4
        .value_kind:     hidden_block_count_z
      - .offset:         156
        .size:           2
        .value_kind:     hidden_group_size_x
      - .offset:         158
        .size:           2
        .value_kind:     hidden_group_size_y
      - .offset:         160
        .size:           2
        .value_kind:     hidden_group_size_z
      - .offset:         162
        .size:           2
        .value_kind:     hidden_remainder_x
      - .offset:         164
        .size:           2
        .value_kind:     hidden_remainder_y
      - .offset:         166
        .size:           2
        .value_kind:     hidden_remainder_z
      - .offset:         184
        .size:           8
        .value_kind:     hidden_global_offset_x
      - .offset:         192
        .size:           8
        .value_kind:     hidden_global_offset_y
      - .offset:         200
        .size:           8
        .value_kind:     hidden_global_offset_z
      - .offset:         208
        .size:           2
        .value_kind:     hidden_grid_dims
      - .offset:         224
        .size:           8
        .value_kind:     hidden_hostcall_buffer
    .group_segment_fixed_size: 0
    .kernarg_segment_align: 8
    .kernarg_segment_size: 400
    .language:       OpenCL C
    .language_version:
      - 2
      - 0
    .max_flat_workgroup_size: 256
    .name:           _Z38paged_attention_ll4mi_QKV_mfma4_kernelI14__hip_bfloat16S0_LN4vllm18Fp8KVCacheDataTypeE0ES0_Li16ELi64ELi256ELb1ELi4EEvPKT_PKT0_S8_ifPKiSA_SA_iPKfiiiPfSD_PS3_PT2_iSC_SC_
    .private_segment_fixed_size: 64
    .sgpr_count:     36
    .sgpr_spill_count: 0
    .symbol:         _Z38paged_attention_ll4mi_QKV_mfma4_kernelI14__hip_bfloat16S0_LN4vllm18Fp8KVCacheDataTypeE0ES0_Li16ELi64ELi256ELb1ELi4EEvPKT_PKT0_S8_ifPKiSA_SA_iPKfiiiPfSD_PS3_PT2_iSC_SC_.kd
    .uniform_work_group_size: 1
    .uses_dynamic_stack: false
    .vgpr_count:     41
    .vgpr_spill_count: 0
    .wavefront_size: 32
    .workgroup_processor_mode: 1
  - .args:
      - .actual_access:  read_only
        .address_space:  global
        .offset:         0
        .size:           8
        .value_kind:     global_buffer
      - .actual_access:  read_only
        .address_space:  global
        .offset:         8
        .size:           8
        .value_kind:     global_buffer
      - .actual_access:  read_only
        .address_space:  global
        .offset:         16
        .size:           8
        .value_kind:     global_buffer
      - .offset:         24
        .size:           4
        .value_kind:     by_value
      - .offset:         28
        .size:           4
        .value_kind:     by_value
      - .actual_access:  read_only
        .address_space:  global
        .offset:         32
        .size:           8
        .value_kind:     global_buffer
      - .actual_access:  read_only
        .address_space:  global
        .offset:         40
        .size:           8
        .value_kind:     global_buffer
      - .actual_access:  read_only
        .address_space:  global
        .offset:         48
        .size:           8
        .value_kind:     global_buffer
      - .offset:         56
        .size:           4
        .value_kind:     by_value
      - .actual_access:  read_only
        .address_space:  global
        .offset:         64
        .size:           8
        .value_kind:     global_buffer
      - .offset:         72
        .size:           4
        .value_kind:     by_value
      - .offset:         76
        .size:           4
        .value_kind:     by_value
      - .offset:         80
        .size:           4
        .value_kind:     by_value
      - .actual_access:  write_only
        .address_space:  global
        .offset:         88
        .size:           8
        .value_kind:     global_buffer
      - .actual_access:  write_only
        .address_space:  global
        .offset:         96
        .size:           8
        .value_kind:     global_buffer
      - .actual_access:  write_only
        .address_space:  global
        .offset:         104
        .size:           8
        .value_kind:     global_buffer
      - .actual_access:  read_only
        .address_space:  global
        .offset:         112
        .size:           8
        .value_kind:     global_buffer
      - .offset:         120
        .size:           4
        .value_kind:     by_value
      - .address_space:  global
        .offset:         128
        .size:           8
        .value_kind:     global_buffer
      - .address_space:  global
        .offset:         136
        .size:           8
        .value_kind:     global_buffer
      - .offset:         144
        .size:           4
        .value_kind:     hidden_block_count_x
      - .offset:         148
        .size:           4
        .value_kind:     hidden_block_count_y
      - .offset:         152
        .size:           4
        .value_kind:     hidden_block_count_z
      - .offset:         156
        .size:           2
        .value_kind:     hidden_group_size_x
      - .offset:         158
        .size:           2
        .value_kind:     hidden_group_size_y
      - .offset:         160
        .size:           2
        .value_kind:     hidden_group_size_z
      - .offset:         162
        .size:           2
        .value_kind:     hidden_remainder_x
      - .offset:         164
        .size:           2
        .value_kind:     hidden_remainder_y
      - .offset:         166
        .size:           2
        .value_kind:     hidden_remainder_z
      - .offset:         184
        .size:           8
        .value_kind:     hidden_global_offset_x
      - .offset:         192
        .size:           8
        .value_kind:     hidden_global_offset_y
      - .offset:         200
        .size:           8
        .value_kind:     hidden_global_offset_z
      - .offset:         208
        .size:           2
        .value_kind:     hidden_grid_dims
    .group_segment_fixed_size: 17472
    .kernarg_segment_align: 8
    .kernarg_segment_size: 400
    .language:       OpenCL C
    .language_version:
      - 2
      - 0
    .max_flat_workgroup_size: 256
    .name:           _Z39paged_attention_ll4mi_QKV_mfma16_kernelI14__hip_bfloat16S0_LN4vllm18Fp8KVCacheDataTypeE0ES0_Li16ELi64ELi256ELb1ELi5EL8MFMAType0EEvPKT_PKT0_S9_ifPKiSB_SB_iPKfiiiPfSE_PS4_PT2_iSD_SD_
    .private_segment_fixed_size: 0
    .sgpr_count:     54
    .sgpr_spill_count: 0
    .symbol:         _Z39paged_attention_ll4mi_QKV_mfma16_kernelI14__hip_bfloat16S0_LN4vllm18Fp8KVCacheDataTypeE0ES0_Li16ELi64ELi256ELb1ELi5EL8MFMAType0EEvPKT_PKT0_S9_ifPKiSB_SB_iPKfiiiPfSE_PS4_PT2_iSD_SD_.kd
    .uniform_work_group_size: 1
    .uses_dynamic_stack: false
    .vgpr_count:     198
    .vgpr_spill_count: 0
    .wavefront_size: 32
    .workgroup_processor_mode: 1
  - .args:
      - .actual_access:  read_only
        .address_space:  global
        .offset:         0
        .size:           8
        .value_kind:     global_buffer
      - .actual_access:  read_only
        .address_space:  global
        .offset:         8
        .size:           8
        .value_kind:     global_buffer
      - .actual_access:  read_only
        .address_space:  global
        .offset:         16
        .size:           8
        .value_kind:     global_buffer
      - .offset:         24
        .size:           4
        .value_kind:     by_value
      - .offset:         28
        .size:           4
        .value_kind:     by_value
      - .actual_access:  read_only
        .address_space:  global
        .offset:         32
        .size:           8
        .value_kind:     global_buffer
      - .actual_access:  read_only
        .address_space:  global
        .offset:         40
        .size:           8
        .value_kind:     global_buffer
      - .actual_access:  read_only
        .address_space:  global
        .offset:         48
        .size:           8
        .value_kind:     global_buffer
      - .offset:         56
        .size:           4
        .value_kind:     by_value
      - .actual_access:  read_only
        .address_space:  global
        .offset:         64
        .size:           8
        .value_kind:     global_buffer
      - .offset:         72
        .size:           4
        .value_kind:     by_value
      - .offset:         76
        .size:           4
        .value_kind:     by_value
      - .offset:         80
        .size:           4
        .value_kind:     by_value
      - .actual_access:  write_only
        .address_space:  global
        .offset:         88
        .size:           8
        .value_kind:     global_buffer
      - .actual_access:  write_only
        .address_space:  global
        .offset:         96
        .size:           8
        .value_kind:     global_buffer
      - .actual_access:  write_only
        .address_space:  global
        .offset:         104
        .size:           8
        .value_kind:     global_buffer
      - .actual_access:  read_only
        .address_space:  global
        .offset:         112
        .size:           8
        .value_kind:     global_buffer
      - .offset:         120
        .size:           4
        .value_kind:     by_value
      - .address_space:  global
        .offset:         128
        .size:           8
        .value_kind:     global_buffer
      - .address_space:  global
        .offset:         136
        .size:           8
        .value_kind:     global_buffer
      - .offset:         144
        .size:           4
        .value_kind:     hidden_block_count_x
      - .offset:         148
        .size:           4
        .value_kind:     hidden_block_count_y
      - .offset:         152
        .size:           4
        .value_kind:     hidden_block_count_z
      - .offset:         156
        .size:           2
        .value_kind:     hidden_group_size_x
      - .offset:         158
        .size:           2
        .value_kind:     hidden_group_size_y
      - .offset:         160
        .size:           2
        .value_kind:     hidden_group_size_z
      - .offset:         162
        .size:           2
        .value_kind:     hidden_remainder_x
      - .offset:         164
        .size:           2
        .value_kind:     hidden_remainder_y
      - .offset:         166
        .size:           2
        .value_kind:     hidden_remainder_z
      - .offset:         184
        .size:           8
        .value_kind:     hidden_global_offset_x
      - .offset:         192
        .size:           8
        .value_kind:     hidden_global_offset_y
      - .offset:         200
        .size:           8
        .value_kind:     hidden_global_offset_z
      - .offset:         208
        .size:           2
        .value_kind:     hidden_grid_dims
    .group_segment_fixed_size: 17472
    .kernarg_segment_align: 8
    .kernarg_segment_size: 400
    .language:       OpenCL C
    .language_version:
      - 2
      - 0
    .max_flat_workgroup_size: 256
    .name:           _Z39paged_attention_ll4mi_QKV_mfma16_kernelI14__hip_bfloat16S0_LN4vllm18Fp8KVCacheDataTypeE0ES0_Li16ELi64ELi256ELb1ELi6EL8MFMAType0EEvPKT_PKT0_S9_ifPKiSB_SB_iPKfiiiPfSE_PS4_PT2_iSD_SD_
    .private_segment_fixed_size: 0
    .sgpr_count:     54
    .sgpr_spill_count: 0
    .symbol:         _Z39paged_attention_ll4mi_QKV_mfma16_kernelI14__hip_bfloat16S0_LN4vllm18Fp8KVCacheDataTypeE0ES0_Li16ELi64ELi256ELb1ELi6EL8MFMAType0EEvPKT_PKT0_S9_ifPKiSB_SB_iPKfiiiPfSE_PS4_PT2_iSD_SD_.kd
    .uniform_work_group_size: 1
    .uses_dynamic_stack: false
    .vgpr_count:     198
    .vgpr_spill_count: 0
    .wavefront_size: 32
    .workgroup_processor_mode: 1
  - .args:
      - .actual_access:  read_only
        .address_space:  global
        .offset:         0
        .size:           8
        .value_kind:     global_buffer
      - .actual_access:  read_only
        .address_space:  global
        .offset:         8
        .size:           8
        .value_kind:     global_buffer
      - .actual_access:  read_only
        .address_space:  global
        .offset:         16
        .size:           8
        .value_kind:     global_buffer
      - .offset:         24
        .size:           4
        .value_kind:     by_value
      - .offset:         28
        .size:           4
        .value_kind:     by_value
      - .actual_access:  read_only
        .address_space:  global
        .offset:         32
        .size:           8
        .value_kind:     global_buffer
      - .actual_access:  read_only
        .address_space:  global
        .offset:         40
        .size:           8
        .value_kind:     global_buffer
      - .actual_access:  read_only
        .address_space:  global
        .offset:         48
        .size:           8
        .value_kind:     global_buffer
      - .offset:         56
        .size:           4
        .value_kind:     by_value
      - .actual_access:  read_only
        .address_space:  global
        .offset:         64
        .size:           8
        .value_kind:     global_buffer
      - .offset:         72
        .size:           4
        .value_kind:     by_value
      - .offset:         76
        .size:           4
        .value_kind:     by_value
      - .offset:         80
        .size:           4
        .value_kind:     by_value
      - .actual_access:  write_only
        .address_space:  global
        .offset:         88
        .size:           8
        .value_kind:     global_buffer
      - .actual_access:  write_only
        .address_space:  global
        .offset:         96
        .size:           8
        .value_kind:     global_buffer
      - .actual_access:  write_only
        .address_space:  global
        .offset:         104
        .size:           8
        .value_kind:     global_buffer
      - .actual_access:  read_only
        .address_space:  global
        .offset:         112
        .size:           8
        .value_kind:     global_buffer
      - .offset:         120
        .size:           4
        .value_kind:     by_value
      - .address_space:  global
        .offset:         128
        .size:           8
        .value_kind:     global_buffer
      - .address_space:  global
        .offset:         136
        .size:           8
        .value_kind:     global_buffer
      - .offset:         144
        .size:           4
        .value_kind:     hidden_block_count_x
      - .offset:         148
        .size:           4
        .value_kind:     hidden_block_count_y
      - .offset:         152
        .size:           4
        .value_kind:     hidden_block_count_z
      - .offset:         156
        .size:           2
        .value_kind:     hidden_group_size_x
      - .offset:         158
        .size:           2
        .value_kind:     hidden_group_size_y
      - .offset:         160
        .size:           2
        .value_kind:     hidden_group_size_z
      - .offset:         162
        .size:           2
        .value_kind:     hidden_remainder_x
      - .offset:         164
        .size:           2
        .value_kind:     hidden_remainder_y
      - .offset:         166
        .size:           2
        .value_kind:     hidden_remainder_z
      - .offset:         184
        .size:           8
        .value_kind:     hidden_global_offset_x
      - .offset:         192
        .size:           8
        .value_kind:     hidden_global_offset_y
      - .offset:         200
        .size:           8
        .value_kind:     hidden_global_offset_z
      - .offset:         208
        .size:           2
        .value_kind:     hidden_grid_dims
    .group_segment_fixed_size: 17472
    .kernarg_segment_align: 8
    .kernarg_segment_size: 400
    .language:       OpenCL C
    .language_version:
      - 2
      - 0
    .max_flat_workgroup_size: 256
    .name:           _Z39paged_attention_ll4mi_QKV_mfma16_kernelI14__hip_bfloat16S0_LN4vllm18Fp8KVCacheDataTypeE0ES0_Li16ELi64ELi256ELb1ELi7EL8MFMAType0EEvPKT_PKT0_S9_ifPKiSB_SB_iPKfiiiPfSE_PS4_PT2_iSD_SD_
    .private_segment_fixed_size: 0
    .sgpr_count:     54
    .sgpr_spill_count: 0
    .symbol:         _Z39paged_attention_ll4mi_QKV_mfma16_kernelI14__hip_bfloat16S0_LN4vllm18Fp8KVCacheDataTypeE0ES0_Li16ELi64ELi256ELb1ELi7EL8MFMAType0EEvPKT_PKT0_S9_ifPKiSB_SB_iPKfiiiPfSE_PS4_PT2_iSD_SD_.kd
    .uniform_work_group_size: 1
    .uses_dynamic_stack: false
    .vgpr_count:     198
    .vgpr_spill_count: 0
    .wavefront_size: 32
    .workgroup_processor_mode: 1
  - .args:
      - .actual_access:  read_only
        .address_space:  global
        .offset:         0
        .size:           8
        .value_kind:     global_buffer
      - .actual_access:  read_only
        .address_space:  global
        .offset:         8
        .size:           8
        .value_kind:     global_buffer
      - .actual_access:  read_only
        .address_space:  global
        .offset:         16
        .size:           8
        .value_kind:     global_buffer
      - .offset:         24
        .size:           4
        .value_kind:     by_value
      - .offset:         28
        .size:           4
        .value_kind:     by_value
      - .actual_access:  read_only
        .address_space:  global
        .offset:         32
        .size:           8
        .value_kind:     global_buffer
      - .actual_access:  read_only
        .address_space:  global
        .offset:         40
        .size:           8
        .value_kind:     global_buffer
      - .actual_access:  read_only
        .address_space:  global
        .offset:         48
        .size:           8
        .value_kind:     global_buffer
      - .offset:         56
        .size:           4
        .value_kind:     by_value
      - .actual_access:  read_only
        .address_space:  global
        .offset:         64
        .size:           8
        .value_kind:     global_buffer
      - .offset:         72
        .size:           4
        .value_kind:     by_value
      - .offset:         76
        .size:           4
        .value_kind:     by_value
      - .offset:         80
        .size:           4
        .value_kind:     by_value
      - .actual_access:  write_only
        .address_space:  global
        .offset:         88
        .size:           8
        .value_kind:     global_buffer
      - .actual_access:  write_only
        .address_space:  global
        .offset:         96
        .size:           8
        .value_kind:     global_buffer
      - .actual_access:  write_only
        .address_space:  global
        .offset:         104
        .size:           8
        .value_kind:     global_buffer
      - .actual_access:  read_only
        .address_space:  global
        .offset:         112
        .size:           8
        .value_kind:     global_buffer
      - .offset:         120
        .size:           4
        .value_kind:     by_value
      - .address_space:  global
        .offset:         128
        .size:           8
        .value_kind:     global_buffer
      - .address_space:  global
        .offset:         136
        .size:           8
        .value_kind:     global_buffer
      - .offset:         144
        .size:           4
        .value_kind:     hidden_block_count_x
      - .offset:         148
        .size:           4
        .value_kind:     hidden_block_count_y
      - .offset:         152
        .size:           4
        .value_kind:     hidden_block_count_z
      - .offset:         156
        .size:           2
        .value_kind:     hidden_group_size_x
      - .offset:         158
        .size:           2
        .value_kind:     hidden_group_size_y
      - .offset:         160
        .size:           2
        .value_kind:     hidden_group_size_z
      - .offset:         162
        .size:           2
        .value_kind:     hidden_remainder_x
      - .offset:         164
        .size:           2
        .value_kind:     hidden_remainder_y
      - .offset:         166
        .size:           2
        .value_kind:     hidden_remainder_z
      - .offset:         184
        .size:           8
        .value_kind:     hidden_global_offset_x
      - .offset:         192
        .size:           8
        .value_kind:     hidden_global_offset_y
      - .offset:         200
        .size:           8
        .value_kind:     hidden_global_offset_z
      - .offset:         208
        .size:           2
        .value_kind:     hidden_grid_dims
    .group_segment_fixed_size: 17472
    .kernarg_segment_align: 8
    .kernarg_segment_size: 400
    .language:       OpenCL C
    .language_version:
      - 2
      - 0
    .max_flat_workgroup_size: 256
    .name:           _Z39paged_attention_ll4mi_QKV_mfma16_kernelI14__hip_bfloat16S0_LN4vllm18Fp8KVCacheDataTypeE0ES0_Li16ELi64ELi256ELb1ELi8EL8MFMAType0EEvPKT_PKT0_S9_ifPKiSB_SB_iPKfiiiPfSE_PS4_PT2_iSD_SD_
    .private_segment_fixed_size: 0
    .sgpr_count:     54
    .sgpr_spill_count: 0
    .symbol:         _Z39paged_attention_ll4mi_QKV_mfma16_kernelI14__hip_bfloat16S0_LN4vllm18Fp8KVCacheDataTypeE0ES0_Li16ELi64ELi256ELb1ELi8EL8MFMAType0EEvPKT_PKT0_S9_ifPKiSB_SB_iPKfiiiPfSE_PS4_PT2_iSD_SD_.kd
    .uniform_work_group_size: 1
    .uses_dynamic_stack: false
    .vgpr_count:     198
    .vgpr_spill_count: 0
    .wavefront_size: 32
    .workgroup_processor_mode: 1
  - .args:
      - .actual_access:  read_only
        .address_space:  global
        .offset:         0
        .size:           8
        .value_kind:     global_buffer
      - .actual_access:  read_only
        .address_space:  global
        .offset:         8
        .size:           8
        .value_kind:     global_buffer
      - .actual_access:  read_only
        .address_space:  global
        .offset:         16
        .size:           8
        .value_kind:     global_buffer
      - .offset:         24
        .size:           4
        .value_kind:     by_value
      - .offset:         28
        .size:           4
        .value_kind:     by_value
      - .actual_access:  read_only
        .address_space:  global
        .offset:         32
        .size:           8
        .value_kind:     global_buffer
      - .actual_access:  read_only
        .address_space:  global
        .offset:         40
        .size:           8
        .value_kind:     global_buffer
      - .actual_access:  read_only
        .address_space:  global
        .offset:         48
        .size:           8
        .value_kind:     global_buffer
      - .offset:         56
        .size:           4
        .value_kind:     by_value
      - .actual_access:  read_only
        .address_space:  global
        .offset:         64
        .size:           8
        .value_kind:     global_buffer
      - .offset:         72
        .size:           4
        .value_kind:     by_value
      - .offset:         76
        .size:           4
        .value_kind:     by_value
      - .offset:         80
        .size:           4
        .value_kind:     by_value
      - .actual_access:  write_only
        .address_space:  global
        .offset:         88
        .size:           8
        .value_kind:     global_buffer
      - .actual_access:  write_only
        .address_space:  global
        .offset:         96
        .size:           8
        .value_kind:     global_buffer
      - .actual_access:  write_only
        .address_space:  global
        .offset:         104
        .size:           8
        .value_kind:     global_buffer
      - .actual_access:  read_only
        .address_space:  global
        .offset:         112
        .size:           8
        .value_kind:     global_buffer
      - .offset:         120
        .size:           4
        .value_kind:     by_value
      - .address_space:  global
        .offset:         128
        .size:           8
        .value_kind:     global_buffer
      - .address_space:  global
        .offset:         136
        .size:           8
        .value_kind:     global_buffer
      - .offset:         144
        .size:           4
        .value_kind:     hidden_block_count_x
      - .offset:         148
        .size:           4
        .value_kind:     hidden_block_count_y
      - .offset:         152
        .size:           4
        .value_kind:     hidden_block_count_z
      - .offset:         156
        .size:           2
        .value_kind:     hidden_group_size_x
      - .offset:         158
        .size:           2
        .value_kind:     hidden_group_size_y
      - .offset:         160
        .size:           2
        .value_kind:     hidden_group_size_z
      - .offset:         162
        .size:           2
        .value_kind:     hidden_remainder_x
      - .offset:         164
        .size:           2
        .value_kind:     hidden_remainder_y
      - .offset:         166
        .size:           2
        .value_kind:     hidden_remainder_z
      - .offset:         184
        .size:           8
        .value_kind:     hidden_global_offset_x
      - .offset:         192
        .size:           8
        .value_kind:     hidden_global_offset_y
      - .offset:         200
        .size:           8
        .value_kind:     hidden_global_offset_z
      - .offset:         208
        .size:           2
        .value_kind:     hidden_grid_dims
    .group_segment_fixed_size: 17472
    .kernarg_segment_align: 8
    .kernarg_segment_size: 400
    .language:       OpenCL C
    .language_version:
      - 2
      - 0
    .max_flat_workgroup_size: 256
    .name:           _Z39paged_attention_ll4mi_QKV_mfma16_kernelI14__hip_bfloat16S0_LN4vllm18Fp8KVCacheDataTypeE0ES0_Li16ELi64ELi256ELb1ELi9EL8MFMAType0EEvPKT_PKT0_S9_ifPKiSB_SB_iPKfiiiPfSE_PS4_PT2_iSD_SD_
    .private_segment_fixed_size: 0
    .sgpr_count:     54
    .sgpr_spill_count: 0
    .symbol:         _Z39paged_attention_ll4mi_QKV_mfma16_kernelI14__hip_bfloat16S0_LN4vllm18Fp8KVCacheDataTypeE0ES0_Li16ELi64ELi256ELb1ELi9EL8MFMAType0EEvPKT_PKT0_S9_ifPKiSB_SB_iPKfiiiPfSE_PS4_PT2_iSD_SD_.kd
    .uniform_work_group_size: 1
    .uses_dynamic_stack: false
    .vgpr_count:     198
    .vgpr_spill_count: 0
    .wavefront_size: 32
    .workgroup_processor_mode: 1
  - .args:
      - .actual_access:  read_only
        .address_space:  global
        .offset:         0
        .size:           8
        .value_kind:     global_buffer
      - .actual_access:  read_only
        .address_space:  global
        .offset:         8
        .size:           8
        .value_kind:     global_buffer
      - .actual_access:  read_only
        .address_space:  global
        .offset:         16
        .size:           8
        .value_kind:     global_buffer
      - .offset:         24
        .size:           4
        .value_kind:     by_value
      - .offset:         28
        .size:           4
        .value_kind:     by_value
      - .actual_access:  read_only
        .address_space:  global
        .offset:         32
        .size:           8
        .value_kind:     global_buffer
      - .actual_access:  read_only
        .address_space:  global
        .offset:         40
        .size:           8
        .value_kind:     global_buffer
      - .actual_access:  read_only
        .address_space:  global
        .offset:         48
        .size:           8
        .value_kind:     global_buffer
      - .offset:         56
        .size:           4
        .value_kind:     by_value
      - .actual_access:  read_only
        .address_space:  global
        .offset:         64
        .size:           8
        .value_kind:     global_buffer
      - .offset:         72
        .size:           4
        .value_kind:     by_value
      - .offset:         76
        .size:           4
        .value_kind:     by_value
      - .offset:         80
        .size:           4
        .value_kind:     by_value
      - .actual_access:  write_only
        .address_space:  global
        .offset:         88
        .size:           8
        .value_kind:     global_buffer
      - .actual_access:  write_only
        .address_space:  global
        .offset:         96
        .size:           8
        .value_kind:     global_buffer
      - .actual_access:  write_only
        .address_space:  global
        .offset:         104
        .size:           8
        .value_kind:     global_buffer
      - .actual_access:  read_only
        .address_space:  global
        .offset:         112
        .size:           8
        .value_kind:     global_buffer
      - .offset:         120
        .size:           4
        .value_kind:     by_value
      - .address_space:  global
        .offset:         128
        .size:           8
        .value_kind:     global_buffer
      - .address_space:  global
        .offset:         136
        .size:           8
        .value_kind:     global_buffer
      - .offset:         144
        .size:           4
        .value_kind:     hidden_block_count_x
      - .offset:         148
        .size:           4
        .value_kind:     hidden_block_count_y
      - .offset:         152
        .size:           4
        .value_kind:     hidden_block_count_z
      - .offset:         156
        .size:           2
        .value_kind:     hidden_group_size_x
      - .offset:         158
        .size:           2
        .value_kind:     hidden_group_size_y
      - .offset:         160
        .size:           2
        .value_kind:     hidden_group_size_z
      - .offset:         162
        .size:           2
        .value_kind:     hidden_remainder_x
      - .offset:         164
        .size:           2
        .value_kind:     hidden_remainder_y
      - .offset:         166
        .size:           2
        .value_kind:     hidden_remainder_z
      - .offset:         184
        .size:           8
        .value_kind:     hidden_global_offset_x
      - .offset:         192
        .size:           8
        .value_kind:     hidden_global_offset_y
      - .offset:         200
        .size:           8
        .value_kind:     hidden_global_offset_z
      - .offset:         208
        .size:           2
        .value_kind:     hidden_grid_dims
    .group_segment_fixed_size: 17472
    .kernarg_segment_align: 8
    .kernarg_segment_size: 400
    .language:       OpenCL C
    .language_version:
      - 2
      - 0
    .max_flat_workgroup_size: 256
    .name:           _Z39paged_attention_ll4mi_QKV_mfma16_kernelI14__hip_bfloat16S0_LN4vllm18Fp8KVCacheDataTypeE0ES0_Li16ELi64ELi256ELb1ELi10EL8MFMAType0EEvPKT_PKT0_S9_ifPKiSB_SB_iPKfiiiPfSE_PS4_PT2_iSD_SD_
    .private_segment_fixed_size: 0
    .sgpr_count:     54
    .sgpr_spill_count: 0
    .symbol:         _Z39paged_attention_ll4mi_QKV_mfma16_kernelI14__hip_bfloat16S0_LN4vllm18Fp8KVCacheDataTypeE0ES0_Li16ELi64ELi256ELb1ELi10EL8MFMAType0EEvPKT_PKT0_S9_ifPKiSB_SB_iPKfiiiPfSE_PS4_PT2_iSD_SD_.kd
    .uniform_work_group_size: 1
    .uses_dynamic_stack: false
    .vgpr_count:     198
    .vgpr_spill_count: 0
    .wavefront_size: 32
    .workgroup_processor_mode: 1
  - .args:
      - .actual_access:  read_only
        .address_space:  global
        .offset:         0
        .size:           8
        .value_kind:     global_buffer
      - .actual_access:  read_only
        .address_space:  global
        .offset:         8
        .size:           8
        .value_kind:     global_buffer
      - .actual_access:  read_only
        .address_space:  global
        .offset:         16
        .size:           8
        .value_kind:     global_buffer
      - .offset:         24
        .size:           4
        .value_kind:     by_value
      - .offset:         28
        .size:           4
        .value_kind:     by_value
      - .actual_access:  read_only
        .address_space:  global
        .offset:         32
        .size:           8
        .value_kind:     global_buffer
      - .actual_access:  read_only
        .address_space:  global
        .offset:         40
        .size:           8
        .value_kind:     global_buffer
      - .actual_access:  read_only
        .address_space:  global
        .offset:         48
        .size:           8
        .value_kind:     global_buffer
      - .offset:         56
        .size:           4
        .value_kind:     by_value
      - .actual_access:  read_only
        .address_space:  global
        .offset:         64
        .size:           8
        .value_kind:     global_buffer
      - .offset:         72
        .size:           4
        .value_kind:     by_value
      - .offset:         76
        .size:           4
        .value_kind:     by_value
      - .offset:         80
        .size:           4
        .value_kind:     by_value
      - .actual_access:  write_only
        .address_space:  global
        .offset:         88
        .size:           8
        .value_kind:     global_buffer
      - .actual_access:  write_only
        .address_space:  global
        .offset:         96
        .size:           8
        .value_kind:     global_buffer
      - .actual_access:  write_only
        .address_space:  global
        .offset:         104
        .size:           8
        .value_kind:     global_buffer
      - .actual_access:  read_only
        .address_space:  global
        .offset:         112
        .size:           8
        .value_kind:     global_buffer
      - .offset:         120
        .size:           4
        .value_kind:     by_value
      - .address_space:  global
        .offset:         128
        .size:           8
        .value_kind:     global_buffer
      - .address_space:  global
        .offset:         136
        .size:           8
        .value_kind:     global_buffer
      - .offset:         144
        .size:           4
        .value_kind:     hidden_block_count_x
      - .offset:         148
        .size:           4
        .value_kind:     hidden_block_count_y
      - .offset:         152
        .size:           4
        .value_kind:     hidden_block_count_z
      - .offset:         156
        .size:           2
        .value_kind:     hidden_group_size_x
      - .offset:         158
        .size:           2
        .value_kind:     hidden_group_size_y
      - .offset:         160
        .size:           2
        .value_kind:     hidden_group_size_z
      - .offset:         162
        .size:           2
        .value_kind:     hidden_remainder_x
      - .offset:         164
        .size:           2
        .value_kind:     hidden_remainder_y
      - .offset:         166
        .size:           2
        .value_kind:     hidden_remainder_z
      - .offset:         184
        .size:           8
        .value_kind:     hidden_global_offset_x
      - .offset:         192
        .size:           8
        .value_kind:     hidden_global_offset_y
      - .offset:         200
        .size:           8
        .value_kind:     hidden_global_offset_z
      - .offset:         208
        .size:           2
        .value_kind:     hidden_grid_dims
    .group_segment_fixed_size: 17472
    .kernarg_segment_align: 8
    .kernarg_segment_size: 400
    .language:       OpenCL C
    .language_version:
      - 2
      - 0
    .max_flat_workgroup_size: 256
    .name:           _Z39paged_attention_ll4mi_QKV_mfma16_kernelI14__hip_bfloat16S0_LN4vllm18Fp8KVCacheDataTypeE0ES0_Li16ELi64ELi256ELb1ELi11EL8MFMAType0EEvPKT_PKT0_S9_ifPKiSB_SB_iPKfiiiPfSE_PS4_PT2_iSD_SD_
    .private_segment_fixed_size: 0
    .sgpr_count:     54
    .sgpr_spill_count: 0
    .symbol:         _Z39paged_attention_ll4mi_QKV_mfma16_kernelI14__hip_bfloat16S0_LN4vllm18Fp8KVCacheDataTypeE0ES0_Li16ELi64ELi256ELb1ELi11EL8MFMAType0EEvPKT_PKT0_S9_ifPKiSB_SB_iPKfiiiPfSE_PS4_PT2_iSD_SD_.kd
    .uniform_work_group_size: 1
    .uses_dynamic_stack: false
    .vgpr_count:     198
    .vgpr_spill_count: 0
    .wavefront_size: 32
    .workgroup_processor_mode: 1
  - .args:
      - .actual_access:  read_only
        .address_space:  global
        .offset:         0
        .size:           8
        .value_kind:     global_buffer
      - .actual_access:  read_only
        .address_space:  global
        .offset:         8
        .size:           8
        .value_kind:     global_buffer
      - .actual_access:  read_only
        .address_space:  global
        .offset:         16
        .size:           8
        .value_kind:     global_buffer
      - .offset:         24
        .size:           4
        .value_kind:     by_value
      - .offset:         28
        .size:           4
        .value_kind:     by_value
      - .actual_access:  read_only
        .address_space:  global
        .offset:         32
        .size:           8
        .value_kind:     global_buffer
      - .actual_access:  read_only
        .address_space:  global
        .offset:         40
        .size:           8
        .value_kind:     global_buffer
      - .actual_access:  read_only
        .address_space:  global
        .offset:         48
        .size:           8
        .value_kind:     global_buffer
      - .offset:         56
        .size:           4
        .value_kind:     by_value
      - .actual_access:  read_only
        .address_space:  global
        .offset:         64
        .size:           8
        .value_kind:     global_buffer
      - .offset:         72
        .size:           4
        .value_kind:     by_value
      - .offset:         76
        .size:           4
        .value_kind:     by_value
      - .offset:         80
        .size:           4
        .value_kind:     by_value
      - .actual_access:  write_only
        .address_space:  global
        .offset:         88
        .size:           8
        .value_kind:     global_buffer
      - .actual_access:  write_only
        .address_space:  global
        .offset:         96
        .size:           8
        .value_kind:     global_buffer
      - .actual_access:  write_only
        .address_space:  global
        .offset:         104
        .size:           8
        .value_kind:     global_buffer
      - .actual_access:  read_only
        .address_space:  global
        .offset:         112
        .size:           8
        .value_kind:     global_buffer
      - .offset:         120
        .size:           4
        .value_kind:     by_value
      - .address_space:  global
        .offset:         128
        .size:           8
        .value_kind:     global_buffer
      - .address_space:  global
        .offset:         136
        .size:           8
        .value_kind:     global_buffer
      - .offset:         144
        .size:           4
        .value_kind:     hidden_block_count_x
      - .offset:         148
        .size:           4
        .value_kind:     hidden_block_count_y
      - .offset:         152
        .size:           4
        .value_kind:     hidden_block_count_z
      - .offset:         156
        .size:           2
        .value_kind:     hidden_group_size_x
      - .offset:         158
        .size:           2
        .value_kind:     hidden_group_size_y
      - .offset:         160
        .size:           2
        .value_kind:     hidden_group_size_z
      - .offset:         162
        .size:           2
        .value_kind:     hidden_remainder_x
      - .offset:         164
        .size:           2
        .value_kind:     hidden_remainder_y
      - .offset:         166
        .size:           2
        .value_kind:     hidden_remainder_z
      - .offset:         184
        .size:           8
        .value_kind:     hidden_global_offset_x
      - .offset:         192
        .size:           8
        .value_kind:     hidden_global_offset_y
      - .offset:         200
        .size:           8
        .value_kind:     hidden_global_offset_z
      - .offset:         208
        .size:           2
        .value_kind:     hidden_grid_dims
    .group_segment_fixed_size: 17472
    .kernarg_segment_align: 8
    .kernarg_segment_size: 400
    .language:       OpenCL C
    .language_version:
      - 2
      - 0
    .max_flat_workgroup_size: 256
    .name:           _Z39paged_attention_ll4mi_QKV_mfma16_kernelI14__hip_bfloat16S0_LN4vllm18Fp8KVCacheDataTypeE0ES0_Li16ELi64ELi256ELb1ELi12EL8MFMAType0EEvPKT_PKT0_S9_ifPKiSB_SB_iPKfiiiPfSE_PS4_PT2_iSD_SD_
    .private_segment_fixed_size: 0
    .sgpr_count:     54
    .sgpr_spill_count: 0
    .symbol:         _Z39paged_attention_ll4mi_QKV_mfma16_kernelI14__hip_bfloat16S0_LN4vllm18Fp8KVCacheDataTypeE0ES0_Li16ELi64ELi256ELb1ELi12EL8MFMAType0EEvPKT_PKT0_S9_ifPKiSB_SB_iPKfiiiPfSE_PS4_PT2_iSD_SD_.kd
    .uniform_work_group_size: 1
    .uses_dynamic_stack: false
    .vgpr_count:     198
    .vgpr_spill_count: 0
    .wavefront_size: 32
    .workgroup_processor_mode: 1
  - .args:
      - .actual_access:  read_only
        .address_space:  global
        .offset:         0
        .size:           8
        .value_kind:     global_buffer
      - .actual_access:  read_only
        .address_space:  global
        .offset:         8
        .size:           8
        .value_kind:     global_buffer
      - .actual_access:  read_only
        .address_space:  global
        .offset:         16
        .size:           8
        .value_kind:     global_buffer
      - .offset:         24
        .size:           4
        .value_kind:     by_value
      - .offset:         28
        .size:           4
        .value_kind:     by_value
      - .actual_access:  read_only
        .address_space:  global
        .offset:         32
        .size:           8
        .value_kind:     global_buffer
      - .actual_access:  read_only
        .address_space:  global
        .offset:         40
        .size:           8
        .value_kind:     global_buffer
      - .actual_access:  read_only
        .address_space:  global
        .offset:         48
        .size:           8
        .value_kind:     global_buffer
      - .offset:         56
        .size:           4
        .value_kind:     by_value
      - .actual_access:  read_only
        .address_space:  global
        .offset:         64
        .size:           8
        .value_kind:     global_buffer
      - .offset:         72
        .size:           4
        .value_kind:     by_value
      - .offset:         76
        .size:           4
        .value_kind:     by_value
      - .offset:         80
        .size:           4
        .value_kind:     by_value
      - .actual_access:  write_only
        .address_space:  global
        .offset:         88
        .size:           8
        .value_kind:     global_buffer
      - .actual_access:  write_only
        .address_space:  global
        .offset:         96
        .size:           8
        .value_kind:     global_buffer
      - .actual_access:  write_only
        .address_space:  global
        .offset:         104
        .size:           8
        .value_kind:     global_buffer
      - .actual_access:  read_only
        .address_space:  global
        .offset:         112
        .size:           8
        .value_kind:     global_buffer
      - .offset:         120
        .size:           4
        .value_kind:     by_value
      - .address_space:  global
        .offset:         128
        .size:           8
        .value_kind:     global_buffer
      - .address_space:  global
        .offset:         136
        .size:           8
        .value_kind:     global_buffer
      - .offset:         144
        .size:           4
        .value_kind:     hidden_block_count_x
      - .offset:         148
        .size:           4
        .value_kind:     hidden_block_count_y
      - .offset:         152
        .size:           4
        .value_kind:     hidden_block_count_z
      - .offset:         156
        .size:           2
        .value_kind:     hidden_group_size_x
      - .offset:         158
        .size:           2
        .value_kind:     hidden_group_size_y
      - .offset:         160
        .size:           2
        .value_kind:     hidden_group_size_z
      - .offset:         162
        .size:           2
        .value_kind:     hidden_remainder_x
      - .offset:         164
        .size:           2
        .value_kind:     hidden_remainder_y
      - .offset:         166
        .size:           2
        .value_kind:     hidden_remainder_z
      - .offset:         184
        .size:           8
        .value_kind:     hidden_global_offset_x
      - .offset:         192
        .size:           8
        .value_kind:     hidden_global_offset_y
      - .offset:         200
        .size:           8
        .value_kind:     hidden_global_offset_z
      - .offset:         208
        .size:           2
        .value_kind:     hidden_grid_dims
    .group_segment_fixed_size: 17472
    .kernarg_segment_align: 8
    .kernarg_segment_size: 400
    .language:       OpenCL C
    .language_version:
      - 2
      - 0
    .max_flat_workgroup_size: 256
    .name:           _Z39paged_attention_ll4mi_QKV_mfma16_kernelI14__hip_bfloat16S0_LN4vllm18Fp8KVCacheDataTypeE0ES0_Li16ELi64ELi256ELb1ELi13EL8MFMAType0EEvPKT_PKT0_S9_ifPKiSB_SB_iPKfiiiPfSE_PS4_PT2_iSD_SD_
    .private_segment_fixed_size: 0
    .sgpr_count:     54
    .sgpr_spill_count: 0
    .symbol:         _Z39paged_attention_ll4mi_QKV_mfma16_kernelI14__hip_bfloat16S0_LN4vllm18Fp8KVCacheDataTypeE0ES0_Li16ELi64ELi256ELb1ELi13EL8MFMAType0EEvPKT_PKT0_S9_ifPKiSB_SB_iPKfiiiPfSE_PS4_PT2_iSD_SD_.kd
    .uniform_work_group_size: 1
    .uses_dynamic_stack: false
    .vgpr_count:     198
    .vgpr_spill_count: 0
    .wavefront_size: 32
    .workgroup_processor_mode: 1
  - .args:
      - .actual_access:  read_only
        .address_space:  global
        .offset:         0
        .size:           8
        .value_kind:     global_buffer
      - .actual_access:  read_only
        .address_space:  global
        .offset:         8
        .size:           8
        .value_kind:     global_buffer
      - .actual_access:  read_only
        .address_space:  global
        .offset:         16
        .size:           8
        .value_kind:     global_buffer
      - .offset:         24
        .size:           4
        .value_kind:     by_value
      - .offset:         28
        .size:           4
        .value_kind:     by_value
      - .actual_access:  read_only
        .address_space:  global
        .offset:         32
        .size:           8
        .value_kind:     global_buffer
      - .actual_access:  read_only
        .address_space:  global
        .offset:         40
        .size:           8
        .value_kind:     global_buffer
      - .actual_access:  read_only
        .address_space:  global
        .offset:         48
        .size:           8
        .value_kind:     global_buffer
      - .offset:         56
        .size:           4
        .value_kind:     by_value
      - .actual_access:  read_only
        .address_space:  global
        .offset:         64
        .size:           8
        .value_kind:     global_buffer
      - .offset:         72
        .size:           4
        .value_kind:     by_value
      - .offset:         76
        .size:           4
        .value_kind:     by_value
      - .offset:         80
        .size:           4
        .value_kind:     by_value
      - .actual_access:  write_only
        .address_space:  global
        .offset:         88
        .size:           8
        .value_kind:     global_buffer
      - .actual_access:  write_only
        .address_space:  global
        .offset:         96
        .size:           8
        .value_kind:     global_buffer
      - .actual_access:  write_only
        .address_space:  global
        .offset:         104
        .size:           8
        .value_kind:     global_buffer
      - .actual_access:  read_only
        .address_space:  global
        .offset:         112
        .size:           8
        .value_kind:     global_buffer
      - .offset:         120
        .size:           4
        .value_kind:     by_value
      - .address_space:  global
        .offset:         128
        .size:           8
        .value_kind:     global_buffer
      - .address_space:  global
        .offset:         136
        .size:           8
        .value_kind:     global_buffer
      - .offset:         144
        .size:           4
        .value_kind:     hidden_block_count_x
      - .offset:         148
        .size:           4
        .value_kind:     hidden_block_count_y
      - .offset:         152
        .size:           4
        .value_kind:     hidden_block_count_z
      - .offset:         156
        .size:           2
        .value_kind:     hidden_group_size_x
      - .offset:         158
        .size:           2
        .value_kind:     hidden_group_size_y
      - .offset:         160
        .size:           2
        .value_kind:     hidden_group_size_z
      - .offset:         162
        .size:           2
        .value_kind:     hidden_remainder_x
      - .offset:         164
        .size:           2
        .value_kind:     hidden_remainder_y
      - .offset:         166
        .size:           2
        .value_kind:     hidden_remainder_z
      - .offset:         184
        .size:           8
        .value_kind:     hidden_global_offset_x
      - .offset:         192
        .size:           8
        .value_kind:     hidden_global_offset_y
      - .offset:         200
        .size:           8
        .value_kind:     hidden_global_offset_z
      - .offset:         208
        .size:           2
        .value_kind:     hidden_grid_dims
    .group_segment_fixed_size: 17472
    .kernarg_segment_align: 8
    .kernarg_segment_size: 400
    .language:       OpenCL C
    .language_version:
      - 2
      - 0
    .max_flat_workgroup_size: 256
    .name:           _Z39paged_attention_ll4mi_QKV_mfma16_kernelI14__hip_bfloat16S0_LN4vllm18Fp8KVCacheDataTypeE0ES0_Li16ELi64ELi256ELb1ELi14EL8MFMAType0EEvPKT_PKT0_S9_ifPKiSB_SB_iPKfiiiPfSE_PS4_PT2_iSD_SD_
    .private_segment_fixed_size: 0
    .sgpr_count:     54
    .sgpr_spill_count: 0
    .symbol:         _Z39paged_attention_ll4mi_QKV_mfma16_kernelI14__hip_bfloat16S0_LN4vllm18Fp8KVCacheDataTypeE0ES0_Li16ELi64ELi256ELb1ELi14EL8MFMAType0EEvPKT_PKT0_S9_ifPKiSB_SB_iPKfiiiPfSE_PS4_PT2_iSD_SD_.kd
    .uniform_work_group_size: 1
    .uses_dynamic_stack: false
    .vgpr_count:     198
    .vgpr_spill_count: 0
    .wavefront_size: 32
    .workgroup_processor_mode: 1
  - .args:
      - .actual_access:  read_only
        .address_space:  global
        .offset:         0
        .size:           8
        .value_kind:     global_buffer
      - .actual_access:  read_only
        .address_space:  global
        .offset:         8
        .size:           8
        .value_kind:     global_buffer
      - .actual_access:  read_only
        .address_space:  global
        .offset:         16
        .size:           8
        .value_kind:     global_buffer
      - .offset:         24
        .size:           4
        .value_kind:     by_value
      - .offset:         28
        .size:           4
        .value_kind:     by_value
      - .actual_access:  read_only
        .address_space:  global
        .offset:         32
        .size:           8
        .value_kind:     global_buffer
      - .actual_access:  read_only
        .address_space:  global
        .offset:         40
        .size:           8
        .value_kind:     global_buffer
      - .actual_access:  read_only
        .address_space:  global
        .offset:         48
        .size:           8
        .value_kind:     global_buffer
      - .offset:         56
        .size:           4
        .value_kind:     by_value
      - .actual_access:  read_only
        .address_space:  global
        .offset:         64
        .size:           8
        .value_kind:     global_buffer
      - .offset:         72
        .size:           4
        .value_kind:     by_value
      - .offset:         76
        .size:           4
        .value_kind:     by_value
      - .offset:         80
        .size:           4
        .value_kind:     by_value
      - .actual_access:  write_only
        .address_space:  global
        .offset:         88
        .size:           8
        .value_kind:     global_buffer
      - .actual_access:  write_only
        .address_space:  global
        .offset:         96
        .size:           8
        .value_kind:     global_buffer
      - .actual_access:  write_only
        .address_space:  global
        .offset:         104
        .size:           8
        .value_kind:     global_buffer
      - .actual_access:  read_only
        .address_space:  global
        .offset:         112
        .size:           8
        .value_kind:     global_buffer
      - .offset:         120
        .size:           4
        .value_kind:     by_value
      - .address_space:  global
        .offset:         128
        .size:           8
        .value_kind:     global_buffer
      - .address_space:  global
        .offset:         136
        .size:           8
        .value_kind:     global_buffer
      - .offset:         144
        .size:           4
        .value_kind:     hidden_block_count_x
      - .offset:         148
        .size:           4
        .value_kind:     hidden_block_count_y
      - .offset:         152
        .size:           4
        .value_kind:     hidden_block_count_z
      - .offset:         156
        .size:           2
        .value_kind:     hidden_group_size_x
      - .offset:         158
        .size:           2
        .value_kind:     hidden_group_size_y
      - .offset:         160
        .size:           2
        .value_kind:     hidden_group_size_z
      - .offset:         162
        .size:           2
        .value_kind:     hidden_remainder_x
      - .offset:         164
        .size:           2
        .value_kind:     hidden_remainder_y
      - .offset:         166
        .size:           2
        .value_kind:     hidden_remainder_z
      - .offset:         184
        .size:           8
        .value_kind:     hidden_global_offset_x
      - .offset:         192
        .size:           8
        .value_kind:     hidden_global_offset_y
      - .offset:         200
        .size:           8
        .value_kind:     hidden_global_offset_z
      - .offset:         208
        .size:           2
        .value_kind:     hidden_grid_dims
    .group_segment_fixed_size: 17472
    .kernarg_segment_align: 8
    .kernarg_segment_size: 400
    .language:       OpenCL C
    .language_version:
      - 2
      - 0
    .max_flat_workgroup_size: 256
    .name:           _Z39paged_attention_ll4mi_QKV_mfma16_kernelI14__hip_bfloat16S0_LN4vllm18Fp8KVCacheDataTypeE0ES0_Li16ELi64ELi256ELb1ELi15EL8MFMAType0EEvPKT_PKT0_S9_ifPKiSB_SB_iPKfiiiPfSE_PS4_PT2_iSD_SD_
    .private_segment_fixed_size: 0
    .sgpr_count:     54
    .sgpr_spill_count: 0
    .symbol:         _Z39paged_attention_ll4mi_QKV_mfma16_kernelI14__hip_bfloat16S0_LN4vllm18Fp8KVCacheDataTypeE0ES0_Li16ELi64ELi256ELb1ELi15EL8MFMAType0EEvPKT_PKT0_S9_ifPKiSB_SB_iPKfiiiPfSE_PS4_PT2_iSD_SD_.kd
    .uniform_work_group_size: 1
    .uses_dynamic_stack: false
    .vgpr_count:     198
    .vgpr_spill_count: 0
    .wavefront_size: 32
    .workgroup_processor_mode: 1
  - .args:
      - .actual_access:  read_only
        .address_space:  global
        .offset:         0
        .size:           8
        .value_kind:     global_buffer
      - .actual_access:  read_only
        .address_space:  global
        .offset:         8
        .size:           8
        .value_kind:     global_buffer
      - .actual_access:  read_only
        .address_space:  global
        .offset:         16
        .size:           8
        .value_kind:     global_buffer
      - .offset:         24
        .size:           4
        .value_kind:     by_value
      - .offset:         28
        .size:           4
        .value_kind:     by_value
      - .actual_access:  read_only
        .address_space:  global
        .offset:         32
        .size:           8
        .value_kind:     global_buffer
      - .actual_access:  read_only
        .address_space:  global
        .offset:         40
        .size:           8
        .value_kind:     global_buffer
      - .actual_access:  read_only
        .address_space:  global
        .offset:         48
        .size:           8
        .value_kind:     global_buffer
      - .offset:         56
        .size:           4
        .value_kind:     by_value
      - .actual_access:  read_only
        .address_space:  global
        .offset:         64
        .size:           8
        .value_kind:     global_buffer
      - .offset:         72
        .size:           4
        .value_kind:     by_value
      - .offset:         76
        .size:           4
        .value_kind:     by_value
      - .offset:         80
        .size:           4
        .value_kind:     by_value
      - .actual_access:  write_only
        .address_space:  global
        .offset:         88
        .size:           8
        .value_kind:     global_buffer
      - .actual_access:  write_only
        .address_space:  global
        .offset:         96
        .size:           8
        .value_kind:     global_buffer
      - .actual_access:  write_only
        .address_space:  global
        .offset:         104
        .size:           8
        .value_kind:     global_buffer
      - .actual_access:  read_only
        .address_space:  global
        .offset:         112
        .size:           8
        .value_kind:     global_buffer
      - .offset:         120
        .size:           4
        .value_kind:     by_value
      - .address_space:  global
        .offset:         128
        .size:           8
        .value_kind:     global_buffer
      - .address_space:  global
        .offset:         136
        .size:           8
        .value_kind:     global_buffer
      - .offset:         144
        .size:           4
        .value_kind:     hidden_block_count_x
      - .offset:         148
        .size:           4
        .value_kind:     hidden_block_count_y
      - .offset:         152
        .size:           4
        .value_kind:     hidden_block_count_z
      - .offset:         156
        .size:           2
        .value_kind:     hidden_group_size_x
      - .offset:         158
        .size:           2
        .value_kind:     hidden_group_size_y
      - .offset:         160
        .size:           2
        .value_kind:     hidden_group_size_z
      - .offset:         162
        .size:           2
        .value_kind:     hidden_remainder_x
      - .offset:         164
        .size:           2
        .value_kind:     hidden_remainder_y
      - .offset:         166
        .size:           2
        .value_kind:     hidden_remainder_z
      - .offset:         184
        .size:           8
        .value_kind:     hidden_global_offset_x
      - .offset:         192
        .size:           8
        .value_kind:     hidden_global_offset_y
      - .offset:         200
        .size:           8
        .value_kind:     hidden_global_offset_z
      - .offset:         208
        .size:           2
        .value_kind:     hidden_grid_dims
    .group_segment_fixed_size: 17472
    .kernarg_segment_align: 8
    .kernarg_segment_size: 400
    .language:       OpenCL C
    .language_version:
      - 2
      - 0
    .max_flat_workgroup_size: 256
    .name:           _Z39paged_attention_ll4mi_QKV_mfma16_kernelI14__hip_bfloat16S0_LN4vllm18Fp8KVCacheDataTypeE0ES0_Li16ELi64ELi256ELb1ELi16EL8MFMAType0EEvPKT_PKT0_S9_ifPKiSB_SB_iPKfiiiPfSE_PS4_PT2_iSD_SD_
    .private_segment_fixed_size: 0
    .sgpr_count:     54
    .sgpr_spill_count: 0
    .symbol:         _Z39paged_attention_ll4mi_QKV_mfma16_kernelI14__hip_bfloat16S0_LN4vllm18Fp8KVCacheDataTypeE0ES0_Li16ELi64ELi256ELb1ELi16EL8MFMAType0EEvPKT_PKT0_S9_ifPKiSB_SB_iPKfiiiPfSE_PS4_PT2_iSD_SD_.kd
    .uniform_work_group_size: 1
    .uses_dynamic_stack: false
    .vgpr_count:     198
    .vgpr_spill_count: 0
    .wavefront_size: 32
    .workgroup_processor_mode: 1
  - .args:
      - .actual_access:  write_only
        .address_space:  global
        .offset:         0
        .size:           8
        .value_kind:     global_buffer
      - .actual_access:  read_only
        .address_space:  global
        .offset:         8
        .size:           8
        .value_kind:     global_buffer
      - .actual_access:  read_only
        .address_space:  global
        .offset:         16
        .size:           8
        .value_kind:     global_buffer
      - .actual_access:  read_only
        .address_space:  global
        .offset:         24
        .size:           8
        .value_kind:     global_buffer
      - .actual_access:  read_only
        .address_space:  global
        .offset:         32
        .size:           8
        .value_kind:     global_buffer
      - .actual_access:  read_only
        .address_space:  global
        .offset:         40
        .size:           8
        .value_kind:     global_buffer
      - .offset:         48
        .size:           4
        .value_kind:     by_value
      - .actual_access:  read_only
        .address_space:  global
        .offset:         56
        .size:           8
        .value_kind:     global_buffer
      - .offset:         64
        .size:           4
        .value_kind:     hidden_block_count_x
      - .offset:         68
        .size:           4
        .value_kind:     hidden_block_count_y
      - .offset:         72
        .size:           4
        .value_kind:     hidden_block_count_z
      - .offset:         76
        .size:           2
        .value_kind:     hidden_group_size_x
      - .offset:         78
        .size:           2
        .value_kind:     hidden_group_size_y
      - .offset:         80
        .size:           2
        .value_kind:     hidden_group_size_z
      - .offset:         82
        .size:           2
        .value_kind:     hidden_remainder_x
      - .offset:         84
        .size:           2
        .value_kind:     hidden_remainder_y
      - .offset:         86
        .size:           2
        .value_kind:     hidden_remainder_z
      - .offset:         104
        .size:           8
        .value_kind:     hidden_global_offset_x
      - .offset:         112
        .size:           8
        .value_kind:     hidden_global_offset_y
      - .offset:         120
        .size:           8
        .value_kind:     hidden_global_offset_z
      - .offset:         128
        .size:           2
        .value_kind:     hidden_grid_dims
    .group_segment_fixed_size: 132
    .kernarg_segment_align: 8
    .kernarg_segment_size: 320
    .language:       OpenCL C
    .language_version:
      - 2
      - 0
    .max_flat_workgroup_size: 64
    .name:           _Z35paged_attention_ll4mi_reduce_kernelI14__hip_bfloat16S0_Li64ELi64ELi256ELi1EEvPT0_PKfS4_PKT_PKiS9_iS4_
    .private_segment_fixed_size: 0
    .sgpr_count:     42
    .sgpr_spill_count: 0
    .symbol:         _Z35paged_attention_ll4mi_reduce_kernelI14__hip_bfloat16S0_Li64ELi64ELi256ELi1EEvPT0_PKfS4_PKT_PKiS9_iS4_.kd
    .uniform_work_group_size: 1
    .uses_dynamic_stack: false
    .vgpr_count:     49
    .vgpr_spill_count: 0
    .wavefront_size: 32
    .workgroup_processor_mode: 1
  - .args:
      - .actual_access:  write_only
        .address_space:  global
        .offset:         0
        .size:           8
        .value_kind:     global_buffer
      - .actual_access:  read_only
        .address_space:  global
        .offset:         8
        .size:           8
        .value_kind:     global_buffer
      - .actual_access:  read_only
        .address_space:  global
        .offset:         16
        .size:           8
        .value_kind:     global_buffer
      - .actual_access:  read_only
        .address_space:  global
        .offset:         24
        .size:           8
        .value_kind:     global_buffer
      - .actual_access:  read_only
        .address_space:  global
        .offset:         32
        .size:           8
        .value_kind:     global_buffer
      - .actual_access:  read_only
        .address_space:  global
        .offset:         40
        .size:           8
        .value_kind:     global_buffer
      - .offset:         48
        .size:           4
        .value_kind:     by_value
      - .actual_access:  read_only
        .address_space:  global
        .offset:         56
        .size:           8
        .value_kind:     global_buffer
      - .offset:         64
        .size:           4
        .value_kind:     hidden_block_count_x
      - .offset:         68
        .size:           4
        .value_kind:     hidden_block_count_y
      - .offset:         72
        .size:           4
        .value_kind:     hidden_block_count_z
      - .offset:         76
        .size:           2
        .value_kind:     hidden_group_size_x
      - .offset:         78
        .size:           2
        .value_kind:     hidden_group_size_y
      - .offset:         80
        .size:           2
        .value_kind:     hidden_group_size_z
      - .offset:         82
        .size:           2
        .value_kind:     hidden_remainder_x
      - .offset:         84
        .size:           2
        .value_kind:     hidden_remainder_y
      - .offset:         86
        .size:           2
        .value_kind:     hidden_remainder_z
      - .offset:         104
        .size:           8
        .value_kind:     hidden_global_offset_x
      - .offset:         112
        .size:           8
        .value_kind:     hidden_global_offset_y
      - .offset:         120
        .size:           8
        .value_kind:     hidden_global_offset_z
      - .offset:         128
        .size:           2
        .value_kind:     hidden_grid_dims
    .group_segment_fixed_size: 260
    .kernarg_segment_align: 8
    .kernarg_segment_size: 320
    .language:       OpenCL C
    .language_version:
      - 2
      - 0
    .max_flat_workgroup_size: 64
    .name:           _Z35paged_attention_ll4mi_reduce_kernelI14__hip_bfloat16S0_Li64ELi64ELi256ELi2EEvPT0_PKfS4_PKT_PKiS9_iS4_
    .private_segment_fixed_size: 0
    .sgpr_count:     56
    .sgpr_spill_count: 0
    .symbol:         _Z35paged_attention_ll4mi_reduce_kernelI14__hip_bfloat16S0_Li64ELi64ELi256ELi2EEvPT0_PKfS4_PKT_PKiS9_iS4_.kd
    .uniform_work_group_size: 1
    .uses_dynamic_stack: false
    .vgpr_count:     52
    .vgpr_spill_count: 0
    .wavefront_size: 32
    .workgroup_processor_mode: 1
  - .args:
      - .actual_access:  write_only
        .address_space:  global
        .offset:         0
        .size:           8
        .value_kind:     global_buffer
      - .actual_access:  read_only
        .address_space:  global
        .offset:         8
        .size:           8
        .value_kind:     global_buffer
      - .actual_access:  read_only
        .address_space:  global
        .offset:         16
        .size:           8
        .value_kind:     global_buffer
      - .actual_access:  read_only
        .address_space:  global
        .offset:         24
        .size:           8
        .value_kind:     global_buffer
      - .actual_access:  read_only
        .address_space:  global
        .offset:         32
        .size:           8
        .value_kind:     global_buffer
      - .actual_access:  read_only
        .address_space:  global
        .offset:         40
        .size:           8
        .value_kind:     global_buffer
      - .offset:         48
        .size:           4
        .value_kind:     by_value
      - .actual_access:  read_only
        .address_space:  global
        .offset:         56
        .size:           8
        .value_kind:     global_buffer
      - .offset:         64
        .size:           4
        .value_kind:     hidden_block_count_x
      - .offset:         68
        .size:           4
        .value_kind:     hidden_block_count_y
      - .offset:         72
        .size:           4
        .value_kind:     hidden_block_count_z
      - .offset:         76
        .size:           2
        .value_kind:     hidden_group_size_x
      - .offset:         78
        .size:           2
        .value_kind:     hidden_group_size_y
      - .offset:         80
        .size:           2
        .value_kind:     hidden_group_size_z
      - .offset:         82
        .size:           2
        .value_kind:     hidden_remainder_x
      - .offset:         84
        .size:           2
        .value_kind:     hidden_remainder_y
      - .offset:         86
        .size:           2
        .value_kind:     hidden_remainder_z
      - .offset:         104
        .size:           8
        .value_kind:     hidden_global_offset_x
      - .offset:         112
        .size:           8
        .value_kind:     hidden_global_offset_y
      - .offset:         120
        .size:           8
        .value_kind:     hidden_global_offset_z
      - .offset:         128
        .size:           2
        .value_kind:     hidden_grid_dims
    .group_segment_fixed_size: 388
    .kernarg_segment_align: 8
    .kernarg_segment_size: 320
    .language:       OpenCL C
    .language_version:
      - 2
      - 0
    .max_flat_workgroup_size: 64
    .name:           _Z35paged_attention_ll4mi_reduce_kernelI14__hip_bfloat16S0_Li64ELi64ELi256ELi3EEvPT0_PKfS4_PKT_PKiS9_iS4_
    .private_segment_fixed_size: 0
    .sgpr_count:     54
    .sgpr_spill_count: 0
    .symbol:         _Z35paged_attention_ll4mi_reduce_kernelI14__hip_bfloat16S0_Li64ELi64ELi256ELi3EEvPT0_PKfS4_PKT_PKiS9_iS4_.kd
    .uniform_work_group_size: 1
    .uses_dynamic_stack: false
    .vgpr_count:     52
    .vgpr_spill_count: 0
    .wavefront_size: 32
    .workgroup_processor_mode: 1
  - .args:
      - .actual_access:  write_only
        .address_space:  global
        .offset:         0
        .size:           8
        .value_kind:     global_buffer
      - .actual_access:  read_only
        .address_space:  global
        .offset:         8
        .size:           8
        .value_kind:     global_buffer
      - .actual_access:  read_only
        .address_space:  global
        .offset:         16
        .size:           8
        .value_kind:     global_buffer
      - .actual_access:  read_only
        .address_space:  global
        .offset:         24
        .size:           8
        .value_kind:     global_buffer
      - .actual_access:  read_only
        .address_space:  global
        .offset:         32
        .size:           8
        .value_kind:     global_buffer
      - .actual_access:  read_only
        .address_space:  global
        .offset:         40
        .size:           8
        .value_kind:     global_buffer
      - .offset:         48
        .size:           4
        .value_kind:     by_value
      - .actual_access:  read_only
        .address_space:  global
        .offset:         56
        .size:           8
        .value_kind:     global_buffer
      - .offset:         64
        .size:           4
        .value_kind:     hidden_block_count_x
      - .offset:         68
        .size:           4
        .value_kind:     hidden_block_count_y
      - .offset:         72
        .size:           4
        .value_kind:     hidden_block_count_z
      - .offset:         76
        .size:           2
        .value_kind:     hidden_group_size_x
      - .offset:         78
        .size:           2
        .value_kind:     hidden_group_size_y
      - .offset:         80
        .size:           2
        .value_kind:     hidden_group_size_z
      - .offset:         82
        .size:           2
        .value_kind:     hidden_remainder_x
      - .offset:         84
        .size:           2
        .value_kind:     hidden_remainder_y
      - .offset:         86
        .size:           2
        .value_kind:     hidden_remainder_z
      - .offset:         104
        .size:           8
        .value_kind:     hidden_global_offset_x
      - .offset:         112
        .size:           8
        .value_kind:     hidden_global_offset_y
      - .offset:         120
        .size:           8
        .value_kind:     hidden_global_offset_z
      - .offset:         128
        .size:           2
        .value_kind:     hidden_grid_dims
    .group_segment_fixed_size: 516
    .kernarg_segment_align: 8
    .kernarg_segment_size: 320
    .language:       OpenCL C
    .language_version:
      - 2
      - 0
    .max_flat_workgroup_size: 64
    .name:           _Z35paged_attention_ll4mi_reduce_kernelI14__hip_bfloat16S0_Li64ELi64ELi256ELi4EEvPT0_PKfS4_PKT_PKiS9_iS4_
    .private_segment_fixed_size: 0
    .sgpr_count:     54
    .sgpr_spill_count: 0
    .symbol:         _Z35paged_attention_ll4mi_reduce_kernelI14__hip_bfloat16S0_Li64ELi64ELi256ELi4EEvPT0_PKfS4_PKT_PKiS9_iS4_.kd
    .uniform_work_group_size: 1
    .uses_dynamic_stack: false
    .vgpr_count:     52
    .vgpr_spill_count: 0
    .wavefront_size: 32
    .workgroup_processor_mode: 1
  - .args:
      - .actual_access:  write_only
        .address_space:  global
        .offset:         0
        .size:           8
        .value_kind:     global_buffer
      - .actual_access:  read_only
        .address_space:  global
        .offset:         8
        .size:           8
        .value_kind:     global_buffer
      - .actual_access:  read_only
        .address_space:  global
        .offset:         16
        .size:           8
        .value_kind:     global_buffer
      - .actual_access:  read_only
        .address_space:  global
        .offset:         24
        .size:           8
        .value_kind:     global_buffer
      - .actual_access:  read_only
        .address_space:  global
        .offset:         32
        .size:           8
        .value_kind:     global_buffer
      - .actual_access:  read_only
        .address_space:  global
        .offset:         40
        .size:           8
        .value_kind:     global_buffer
      - .offset:         48
        .size:           4
        .value_kind:     by_value
      - .actual_access:  read_only
        .address_space:  global
        .offset:         56
        .size:           8
        .value_kind:     global_buffer
      - .offset:         64
        .size:           4
        .value_kind:     hidden_block_count_x
      - .offset:         68
        .size:           4
        .value_kind:     hidden_block_count_y
      - .offset:         72
        .size:           4
        .value_kind:     hidden_block_count_z
      - .offset:         76
        .size:           2
        .value_kind:     hidden_group_size_x
      - .offset:         78
        .size:           2
        .value_kind:     hidden_group_size_y
      - .offset:         80
        .size:           2
        .value_kind:     hidden_group_size_z
      - .offset:         82
        .size:           2
        .value_kind:     hidden_remainder_x
      - .offset:         84
        .size:           2
        .value_kind:     hidden_remainder_y
      - .offset:         86
        .size:           2
        .value_kind:     hidden_remainder_z
      - .offset:         104
        .size:           8
        .value_kind:     hidden_global_offset_x
      - .offset:         112
        .size:           8
        .value_kind:     hidden_global_offset_y
      - .offset:         120
        .size:           8
        .value_kind:     hidden_global_offset_z
      - .offset:         128
        .size:           2
        .value_kind:     hidden_grid_dims
    .group_segment_fixed_size: 644
    .kernarg_segment_align: 8
    .kernarg_segment_size: 320
    .language:       OpenCL C
    .language_version:
      - 2
      - 0
    .max_flat_workgroup_size: 64
    .name:           _Z35paged_attention_ll4mi_reduce_kernelI14__hip_bfloat16S0_Li64ELi64ELi256ELi5EEvPT0_PKfS4_PKT_PKiS9_iS4_
    .private_segment_fixed_size: 0
    .sgpr_count:     54
    .sgpr_spill_count: 0
    .symbol:         _Z35paged_attention_ll4mi_reduce_kernelI14__hip_bfloat16S0_Li64ELi64ELi256ELi5EEvPT0_PKfS4_PKT_PKiS9_iS4_.kd
    .uniform_work_group_size: 1
    .uses_dynamic_stack: false
    .vgpr_count:     52
    .vgpr_spill_count: 0
    .wavefront_size: 32
    .workgroup_processor_mode: 1
  - .args:
      - .actual_access:  write_only
        .address_space:  global
        .offset:         0
        .size:           8
        .value_kind:     global_buffer
      - .actual_access:  read_only
        .address_space:  global
        .offset:         8
        .size:           8
        .value_kind:     global_buffer
      - .actual_access:  read_only
        .address_space:  global
        .offset:         16
        .size:           8
        .value_kind:     global_buffer
      - .actual_access:  read_only
        .address_space:  global
        .offset:         24
        .size:           8
        .value_kind:     global_buffer
      - .actual_access:  read_only
        .address_space:  global
        .offset:         32
        .size:           8
        .value_kind:     global_buffer
      - .actual_access:  read_only
        .address_space:  global
        .offset:         40
        .size:           8
        .value_kind:     global_buffer
      - .offset:         48
        .size:           4
        .value_kind:     by_value
      - .actual_access:  read_only
        .address_space:  global
        .offset:         56
        .size:           8
        .value_kind:     global_buffer
      - .offset:         64
        .size:           4
        .value_kind:     hidden_block_count_x
      - .offset:         68
        .size:           4
        .value_kind:     hidden_block_count_y
      - .offset:         72
        .size:           4
        .value_kind:     hidden_block_count_z
      - .offset:         76
        .size:           2
        .value_kind:     hidden_group_size_x
      - .offset:         78
        .size:           2
        .value_kind:     hidden_group_size_y
      - .offset:         80
        .size:           2
        .value_kind:     hidden_group_size_z
      - .offset:         82
        .size:           2
        .value_kind:     hidden_remainder_x
      - .offset:         84
        .size:           2
        .value_kind:     hidden_remainder_y
      - .offset:         86
        .size:           2
        .value_kind:     hidden_remainder_z
      - .offset:         104
        .size:           8
        .value_kind:     hidden_global_offset_x
      - .offset:         112
        .size:           8
        .value_kind:     hidden_global_offset_y
      - .offset:         120
        .size:           8
        .value_kind:     hidden_global_offset_z
      - .offset:         128
        .size:           2
        .value_kind:     hidden_grid_dims
    .group_segment_fixed_size: 772
    .kernarg_segment_align: 8
    .kernarg_segment_size: 320
    .language:       OpenCL C
    .language_version:
      - 2
      - 0
    .max_flat_workgroup_size: 64
    .name:           _Z35paged_attention_ll4mi_reduce_kernelI14__hip_bfloat16S0_Li64ELi64ELi256ELi6EEvPT0_PKfS4_PKT_PKiS9_iS4_
    .private_segment_fixed_size: 0
    .sgpr_count:     51
    .sgpr_spill_count: 0
    .symbol:         _Z35paged_attention_ll4mi_reduce_kernelI14__hip_bfloat16S0_Li64ELi64ELi256ELi6EEvPT0_PKfS4_PKT_PKiS9_iS4_.kd
    .uniform_work_group_size: 1
    .uses_dynamic_stack: false
    .vgpr_count:     52
    .vgpr_spill_count: 0
    .wavefront_size: 32
    .workgroup_processor_mode: 1
  - .args:
      - .actual_access:  write_only
        .address_space:  global
        .offset:         0
        .size:           8
        .value_kind:     global_buffer
      - .actual_access:  read_only
        .address_space:  global
        .offset:         8
        .size:           8
        .value_kind:     global_buffer
      - .actual_access:  read_only
        .address_space:  global
        .offset:         16
        .size:           8
        .value_kind:     global_buffer
      - .actual_access:  read_only
        .address_space:  global
        .offset:         24
        .size:           8
        .value_kind:     global_buffer
      - .actual_access:  read_only
        .address_space:  global
        .offset:         32
        .size:           8
        .value_kind:     global_buffer
      - .actual_access:  read_only
        .address_space:  global
        .offset:         40
        .size:           8
        .value_kind:     global_buffer
      - .offset:         48
        .size:           4
        .value_kind:     by_value
      - .actual_access:  read_only
        .address_space:  global
        .offset:         56
        .size:           8
        .value_kind:     global_buffer
      - .offset:         64
        .size:           4
        .value_kind:     hidden_block_count_x
      - .offset:         68
        .size:           4
        .value_kind:     hidden_block_count_y
      - .offset:         72
        .size:           4
        .value_kind:     hidden_block_count_z
      - .offset:         76
        .size:           2
        .value_kind:     hidden_group_size_x
      - .offset:         78
        .size:           2
        .value_kind:     hidden_group_size_y
      - .offset:         80
        .size:           2
        .value_kind:     hidden_group_size_z
      - .offset:         82
        .size:           2
        .value_kind:     hidden_remainder_x
      - .offset:         84
        .size:           2
        .value_kind:     hidden_remainder_y
      - .offset:         86
        .size:           2
        .value_kind:     hidden_remainder_z
      - .offset:         104
        .size:           8
        .value_kind:     hidden_global_offset_x
      - .offset:         112
        .size:           8
        .value_kind:     hidden_global_offset_y
      - .offset:         120
        .size:           8
        .value_kind:     hidden_global_offset_z
      - .offset:         128
        .size:           2
        .value_kind:     hidden_grid_dims
    .group_segment_fixed_size: 900
    .kernarg_segment_align: 8
    .kernarg_segment_size: 320
    .language:       OpenCL C
    .language_version:
      - 2
      - 0
    .max_flat_workgroup_size: 64
    .name:           _Z35paged_attention_ll4mi_reduce_kernelI14__hip_bfloat16S0_Li64ELi64ELi256ELi7EEvPT0_PKfS4_PKT_PKiS9_iS4_
    .private_segment_fixed_size: 0
    .sgpr_count:     51
    .sgpr_spill_count: 0
    .symbol:         _Z35paged_attention_ll4mi_reduce_kernelI14__hip_bfloat16S0_Li64ELi64ELi256ELi7EEvPT0_PKfS4_PKT_PKiS9_iS4_.kd
    .uniform_work_group_size: 1
    .uses_dynamic_stack: false
    .vgpr_count:     52
    .vgpr_spill_count: 0
    .wavefront_size: 32
    .workgroup_processor_mode: 1
  - .args:
      - .actual_access:  write_only
        .address_space:  global
        .offset:         0
        .size:           8
        .value_kind:     global_buffer
      - .actual_access:  read_only
        .address_space:  global
        .offset:         8
        .size:           8
        .value_kind:     global_buffer
      - .actual_access:  read_only
        .address_space:  global
        .offset:         16
        .size:           8
        .value_kind:     global_buffer
      - .actual_access:  read_only
        .address_space:  global
        .offset:         24
        .size:           8
        .value_kind:     global_buffer
      - .actual_access:  read_only
        .address_space:  global
        .offset:         32
        .size:           8
        .value_kind:     global_buffer
      - .actual_access:  read_only
        .address_space:  global
        .offset:         40
        .size:           8
        .value_kind:     global_buffer
      - .offset:         48
        .size:           4
        .value_kind:     by_value
      - .actual_access:  read_only
        .address_space:  global
        .offset:         56
        .size:           8
        .value_kind:     global_buffer
      - .offset:         64
        .size:           4
        .value_kind:     hidden_block_count_x
      - .offset:         68
        .size:           4
        .value_kind:     hidden_block_count_y
      - .offset:         72
        .size:           4
        .value_kind:     hidden_block_count_z
      - .offset:         76
        .size:           2
        .value_kind:     hidden_group_size_x
      - .offset:         78
        .size:           2
        .value_kind:     hidden_group_size_y
      - .offset:         80
        .size:           2
        .value_kind:     hidden_group_size_z
      - .offset:         82
        .size:           2
        .value_kind:     hidden_remainder_x
      - .offset:         84
        .size:           2
        .value_kind:     hidden_remainder_y
      - .offset:         86
        .size:           2
        .value_kind:     hidden_remainder_z
      - .offset:         104
        .size:           8
        .value_kind:     hidden_global_offset_x
      - .offset:         112
        .size:           8
        .value_kind:     hidden_global_offset_y
      - .offset:         120
        .size:           8
        .value_kind:     hidden_global_offset_z
      - .offset:         128
        .size:           2
        .value_kind:     hidden_grid_dims
    .group_segment_fixed_size: 1028
    .kernarg_segment_align: 8
    .kernarg_segment_size: 320
    .language:       OpenCL C
    .language_version:
      - 2
      - 0
    .max_flat_workgroup_size: 64
    .name:           _Z35paged_attention_ll4mi_reduce_kernelI14__hip_bfloat16S0_Li64ELi64ELi256ELi8EEvPT0_PKfS4_PKT_PKiS9_iS4_
    .private_segment_fixed_size: 0
    .sgpr_count:     51
    .sgpr_spill_count: 0
    .symbol:         _Z35paged_attention_ll4mi_reduce_kernelI14__hip_bfloat16S0_Li64ELi64ELi256ELi8EEvPT0_PKfS4_PKT_PKiS9_iS4_.kd
    .uniform_work_group_size: 1
    .uses_dynamic_stack: false
    .vgpr_count:     52
    .vgpr_spill_count: 0
    .wavefront_size: 32
    .workgroup_processor_mode: 1
  - .args:
      - .actual_access:  read_only
        .address_space:  global
        .offset:         0
        .size:           8
        .value_kind:     global_buffer
      - .actual_access:  read_only
        .address_space:  global
        .offset:         8
        .size:           8
        .value_kind:     global_buffer
      - .actual_access:  read_only
        .address_space:  global
        .offset:         16
        .size:           8
        .value_kind:     global_buffer
      - .offset:         24
        .size:           4
        .value_kind:     by_value
      - .offset:         28
        .size:           4
        .value_kind:     by_value
      - .actual_access:  read_only
        .address_space:  global
        .offset:         32
        .size:           8
        .value_kind:     global_buffer
      - .actual_access:  read_only
        .address_space:  global
        .offset:         40
        .size:           8
        .value_kind:     global_buffer
      - .actual_access:  read_only
        .address_space:  global
        .offset:         48
        .size:           8
        .value_kind:     global_buffer
      - .offset:         56
        .size:           4
        .value_kind:     by_value
      - .actual_access:  read_only
        .address_space:  global
        .offset:         64
        .size:           8
        .value_kind:     global_buffer
      - .offset:         72
        .size:           4
        .value_kind:     by_value
      - .offset:         76
        .size:           4
        .value_kind:     by_value
      - .offset:         80
        .size:           4
        .value_kind:     by_value
      - .actual_access:  write_only
        .address_space:  global
        .offset:         88
        .size:           8
        .value_kind:     global_buffer
      - .actual_access:  write_only
        .address_space:  global
        .offset:         96
        .size:           8
        .value_kind:     global_buffer
      - .actual_access:  write_only
        .address_space:  global
        .offset:         104
        .size:           8
        .value_kind:     global_buffer
      - .actual_access:  read_only
        .address_space:  global
        .offset:         112
        .size:           8
        .value_kind:     global_buffer
      - .offset:         120
        .size:           4
        .value_kind:     by_value
      - .address_space:  global
        .offset:         128
        .size:           8
        .value_kind:     global_buffer
      - .address_space:  global
        .offset:         136
        .size:           8
        .value_kind:     global_buffer
      - .offset:         144
        .size:           4
        .value_kind:     hidden_block_count_x
      - .offset:         148
        .size:           4
        .value_kind:     hidden_block_count_y
      - .offset:         152
        .size:           4
        .value_kind:     hidden_block_count_z
      - .offset:         156
        .size:           2
        .value_kind:     hidden_group_size_x
      - .offset:         158
        .size:           2
        .value_kind:     hidden_group_size_y
      - .offset:         160
        .size:           2
        .value_kind:     hidden_group_size_z
      - .offset:         162
        .size:           2
        .value_kind:     hidden_remainder_x
      - .offset:         164
        .size:           2
        .value_kind:     hidden_remainder_y
      - .offset:         166
        .size:           2
        .value_kind:     hidden_remainder_z
      - .offset:         184
        .size:           8
        .value_kind:     hidden_global_offset_x
      - .offset:         192
        .size:           8
        .value_kind:     hidden_global_offset_y
      - .offset:         200
        .size:           8
        .value_kind:     hidden_global_offset_z
      - .offset:         208
        .size:           2
        .value_kind:     hidden_grid_dims
    .group_segment_fixed_size: 17472
    .kernarg_segment_align: 8
    .kernarg_segment_size: 400
    .language:       OpenCL C
    .language_version:
      - 2
      - 0
    .max_flat_workgroup_size: 256
    .name:           _Z39paged_attention_ll4mi_QKV_mfma16_kernelI14__hip_bfloat16S0_LN4vllm18Fp8KVCacheDataTypeE0ES0_Li16ELi64ELi256ELb1ELi1EL8MFMAType0EEvPKT_PKT0_S9_ifPKiSB_SB_iPKfiiiPfSE_PS4_PT2_iSD_SD_
    .private_segment_fixed_size: 0
    .sgpr_count:     69
    .sgpr_spill_count: 0
    .symbol:         _Z39paged_attention_ll4mi_QKV_mfma16_kernelI14__hip_bfloat16S0_LN4vllm18Fp8KVCacheDataTypeE0ES0_Li16ELi64ELi256ELb1ELi1EL8MFMAType0EEvPKT_PKT0_S9_ifPKiSB_SB_iPKfiiiPfSE_PS4_PT2_iSD_SD_.kd
    .uniform_work_group_size: 1
    .uses_dynamic_stack: false
    .vgpr_count:     193
    .vgpr_spill_count: 0
    .wavefront_size: 32
    .workgroup_processor_mode: 1
  - .args:
      - .actual_access:  read_only
        .address_space:  global
        .offset:         0
        .size:           8
        .value_kind:     global_buffer
      - .actual_access:  read_only
        .address_space:  global
        .offset:         8
        .size:           8
        .value_kind:     global_buffer
      - .actual_access:  read_only
        .address_space:  global
        .offset:         16
        .size:           8
        .value_kind:     global_buffer
      - .offset:         24
        .size:           4
        .value_kind:     by_value
      - .offset:         28
        .size:           4
        .value_kind:     by_value
      - .actual_access:  read_only
        .address_space:  global
        .offset:         32
        .size:           8
        .value_kind:     global_buffer
      - .actual_access:  read_only
        .address_space:  global
        .offset:         40
        .size:           8
        .value_kind:     global_buffer
      - .actual_access:  read_only
        .address_space:  global
        .offset:         48
        .size:           8
        .value_kind:     global_buffer
      - .offset:         56
        .size:           4
        .value_kind:     by_value
      - .actual_access:  read_only
        .address_space:  global
        .offset:         64
        .size:           8
        .value_kind:     global_buffer
      - .offset:         72
        .size:           4
        .value_kind:     by_value
      - .offset:         76
        .size:           4
        .value_kind:     by_value
      - .offset:         80
        .size:           4
        .value_kind:     by_value
      - .actual_access:  write_only
        .address_space:  global
        .offset:         88
        .size:           8
        .value_kind:     global_buffer
      - .actual_access:  write_only
        .address_space:  global
        .offset:         96
        .size:           8
        .value_kind:     global_buffer
      - .actual_access:  write_only
        .address_space:  global
        .offset:         104
        .size:           8
        .value_kind:     global_buffer
      - .actual_access:  read_only
        .address_space:  global
        .offset:         112
        .size:           8
        .value_kind:     global_buffer
      - .offset:         120
        .size:           4
        .value_kind:     by_value
      - .address_space:  global
        .offset:         128
        .size:           8
        .value_kind:     global_buffer
      - .address_space:  global
        .offset:         136
        .size:           8
        .value_kind:     global_buffer
      - .offset:         144
        .size:           4
        .value_kind:     hidden_block_count_x
      - .offset:         148
        .size:           4
        .value_kind:     hidden_block_count_y
      - .offset:         152
        .size:           4
        .value_kind:     hidden_block_count_z
      - .offset:         156
        .size:           2
        .value_kind:     hidden_group_size_x
      - .offset:         158
        .size:           2
        .value_kind:     hidden_group_size_y
      - .offset:         160
        .size:           2
        .value_kind:     hidden_group_size_z
      - .offset:         162
        .size:           2
        .value_kind:     hidden_remainder_x
      - .offset:         164
        .size:           2
        .value_kind:     hidden_remainder_y
      - .offset:         166
        .size:           2
        .value_kind:     hidden_remainder_z
      - .offset:         184
        .size:           8
        .value_kind:     hidden_global_offset_x
      - .offset:         192
        .size:           8
        .value_kind:     hidden_global_offset_y
      - .offset:         200
        .size:           8
        .value_kind:     hidden_global_offset_z
      - .offset:         208
        .size:           2
        .value_kind:     hidden_grid_dims
    .group_segment_fixed_size: 17472
    .kernarg_segment_align: 8
    .kernarg_segment_size: 400
    .language:       OpenCL C
    .language_version:
      - 2
      - 0
    .max_flat_workgroup_size: 256
    .name:           _Z39paged_attention_ll4mi_QKV_mfma16_kernelI14__hip_bfloat16S0_LN4vllm18Fp8KVCacheDataTypeE0ES0_Li16ELi64ELi256ELb1ELi2EL8MFMAType0EEvPKT_PKT0_S9_ifPKiSB_SB_iPKfiiiPfSE_PS4_PT2_iSD_SD_
    .private_segment_fixed_size: 0
    .sgpr_count:     54
    .sgpr_spill_count: 0
    .symbol:         _Z39paged_attention_ll4mi_QKV_mfma16_kernelI14__hip_bfloat16S0_LN4vllm18Fp8KVCacheDataTypeE0ES0_Li16ELi64ELi256ELb1ELi2EL8MFMAType0EEvPKT_PKT0_S9_ifPKiSB_SB_iPKfiiiPfSE_PS4_PT2_iSD_SD_.kd
    .uniform_work_group_size: 1
    .uses_dynamic_stack: false
    .vgpr_count:     202
    .vgpr_spill_count: 0
    .wavefront_size: 32
    .workgroup_processor_mode: 1
  - .args:
      - .actual_access:  read_only
        .address_space:  global
        .offset:         0
        .size:           8
        .value_kind:     global_buffer
      - .actual_access:  read_only
        .address_space:  global
        .offset:         8
        .size:           8
        .value_kind:     global_buffer
      - .actual_access:  read_only
        .address_space:  global
        .offset:         16
        .size:           8
        .value_kind:     global_buffer
      - .offset:         24
        .size:           4
        .value_kind:     by_value
      - .offset:         28
        .size:           4
        .value_kind:     by_value
      - .actual_access:  read_only
        .address_space:  global
        .offset:         32
        .size:           8
        .value_kind:     global_buffer
      - .actual_access:  read_only
        .address_space:  global
        .offset:         40
        .size:           8
        .value_kind:     global_buffer
      - .actual_access:  read_only
        .address_space:  global
        .offset:         48
        .size:           8
        .value_kind:     global_buffer
      - .offset:         56
        .size:           4
        .value_kind:     by_value
      - .actual_access:  read_only
        .address_space:  global
        .offset:         64
        .size:           8
        .value_kind:     global_buffer
      - .offset:         72
        .size:           4
        .value_kind:     by_value
      - .offset:         76
        .size:           4
        .value_kind:     by_value
      - .offset:         80
        .size:           4
        .value_kind:     by_value
      - .actual_access:  write_only
        .address_space:  global
        .offset:         88
        .size:           8
        .value_kind:     global_buffer
      - .actual_access:  write_only
        .address_space:  global
        .offset:         96
        .size:           8
        .value_kind:     global_buffer
      - .actual_access:  write_only
        .address_space:  global
        .offset:         104
        .size:           8
        .value_kind:     global_buffer
      - .actual_access:  read_only
        .address_space:  global
        .offset:         112
        .size:           8
        .value_kind:     global_buffer
      - .offset:         120
        .size:           4
        .value_kind:     by_value
      - .address_space:  global
        .offset:         128
        .size:           8
        .value_kind:     global_buffer
      - .address_space:  global
        .offset:         136
        .size:           8
        .value_kind:     global_buffer
      - .offset:         144
        .size:           4
        .value_kind:     hidden_block_count_x
      - .offset:         148
        .size:           4
        .value_kind:     hidden_block_count_y
      - .offset:         152
        .size:           4
        .value_kind:     hidden_block_count_z
      - .offset:         156
        .size:           2
        .value_kind:     hidden_group_size_x
      - .offset:         158
        .size:           2
        .value_kind:     hidden_group_size_y
      - .offset:         160
        .size:           2
        .value_kind:     hidden_group_size_z
      - .offset:         162
        .size:           2
        .value_kind:     hidden_remainder_x
      - .offset:         164
        .size:           2
        .value_kind:     hidden_remainder_y
      - .offset:         166
        .size:           2
        .value_kind:     hidden_remainder_z
      - .offset:         184
        .size:           8
        .value_kind:     hidden_global_offset_x
      - .offset:         192
        .size:           8
        .value_kind:     hidden_global_offset_y
      - .offset:         200
        .size:           8
        .value_kind:     hidden_global_offset_z
      - .offset:         208
        .size:           2
        .value_kind:     hidden_grid_dims
    .group_segment_fixed_size: 17472
    .kernarg_segment_align: 8
    .kernarg_segment_size: 400
    .language:       OpenCL C
    .language_version:
      - 2
      - 0
    .max_flat_workgroup_size: 256
    .name:           _Z39paged_attention_ll4mi_QKV_mfma16_kernelI14__hip_bfloat16S0_LN4vllm18Fp8KVCacheDataTypeE0ES0_Li16ELi64ELi256ELb1ELi3EL8MFMAType0EEvPKT_PKT0_S9_ifPKiSB_SB_iPKfiiiPfSE_PS4_PT2_iSD_SD_
    .private_segment_fixed_size: 0
    .sgpr_count:     54
    .sgpr_spill_count: 0
    .symbol:         _Z39paged_attention_ll4mi_QKV_mfma16_kernelI14__hip_bfloat16S0_LN4vllm18Fp8KVCacheDataTypeE0ES0_Li16ELi64ELi256ELb1ELi3EL8MFMAType0EEvPKT_PKT0_S9_ifPKiSB_SB_iPKfiiiPfSE_PS4_PT2_iSD_SD_.kd
    .uniform_work_group_size: 1
    .uses_dynamic_stack: false
    .vgpr_count:     198
    .vgpr_spill_count: 0
    .wavefront_size: 32
    .workgroup_processor_mode: 1
  - .args:
      - .actual_access:  read_only
        .address_space:  global
        .offset:         0
        .size:           8
        .value_kind:     global_buffer
      - .actual_access:  read_only
        .address_space:  global
        .offset:         8
        .size:           8
        .value_kind:     global_buffer
      - .actual_access:  read_only
        .address_space:  global
        .offset:         16
        .size:           8
        .value_kind:     global_buffer
      - .offset:         24
        .size:           4
        .value_kind:     by_value
      - .offset:         28
        .size:           4
        .value_kind:     by_value
      - .actual_access:  read_only
        .address_space:  global
        .offset:         32
        .size:           8
        .value_kind:     global_buffer
      - .actual_access:  read_only
        .address_space:  global
        .offset:         40
        .size:           8
        .value_kind:     global_buffer
      - .actual_access:  read_only
        .address_space:  global
        .offset:         48
        .size:           8
        .value_kind:     global_buffer
      - .offset:         56
        .size:           4
        .value_kind:     by_value
      - .actual_access:  read_only
        .address_space:  global
        .offset:         64
        .size:           8
        .value_kind:     global_buffer
      - .offset:         72
        .size:           4
        .value_kind:     by_value
      - .offset:         76
        .size:           4
        .value_kind:     by_value
      - .offset:         80
        .size:           4
        .value_kind:     by_value
      - .actual_access:  write_only
        .address_space:  global
        .offset:         88
        .size:           8
        .value_kind:     global_buffer
      - .actual_access:  write_only
        .address_space:  global
        .offset:         96
        .size:           8
        .value_kind:     global_buffer
      - .actual_access:  write_only
        .address_space:  global
        .offset:         104
        .size:           8
        .value_kind:     global_buffer
      - .actual_access:  read_only
        .address_space:  global
        .offset:         112
        .size:           8
        .value_kind:     global_buffer
      - .offset:         120
        .size:           4
        .value_kind:     by_value
      - .address_space:  global
        .offset:         128
        .size:           8
        .value_kind:     global_buffer
      - .address_space:  global
        .offset:         136
        .size:           8
        .value_kind:     global_buffer
      - .offset:         144
        .size:           4
        .value_kind:     hidden_block_count_x
      - .offset:         148
        .size:           4
        .value_kind:     hidden_block_count_y
      - .offset:         152
        .size:           4
        .value_kind:     hidden_block_count_z
      - .offset:         156
        .size:           2
        .value_kind:     hidden_group_size_x
      - .offset:         158
        .size:           2
        .value_kind:     hidden_group_size_y
      - .offset:         160
        .size:           2
        .value_kind:     hidden_group_size_z
      - .offset:         162
        .size:           2
        .value_kind:     hidden_remainder_x
      - .offset:         164
        .size:           2
        .value_kind:     hidden_remainder_y
      - .offset:         166
        .size:           2
        .value_kind:     hidden_remainder_z
      - .offset:         184
        .size:           8
        .value_kind:     hidden_global_offset_x
      - .offset:         192
        .size:           8
        .value_kind:     hidden_global_offset_y
      - .offset:         200
        .size:           8
        .value_kind:     hidden_global_offset_z
      - .offset:         208
        .size:           2
        .value_kind:     hidden_grid_dims
    .group_segment_fixed_size: 17472
    .kernarg_segment_align: 8
    .kernarg_segment_size: 400
    .language:       OpenCL C
    .language_version:
      - 2
      - 0
    .max_flat_workgroup_size: 256
    .name:           _Z39paged_attention_ll4mi_QKV_mfma16_kernelI14__hip_bfloat16S0_LN4vllm18Fp8KVCacheDataTypeE0ES0_Li16ELi64ELi256ELb1ELi4EL8MFMAType0EEvPKT_PKT0_S9_ifPKiSB_SB_iPKfiiiPfSE_PS4_PT2_iSD_SD_
    .private_segment_fixed_size: 0
    .sgpr_count:     54
    .sgpr_spill_count: 0
    .symbol:         _Z39paged_attention_ll4mi_QKV_mfma16_kernelI14__hip_bfloat16S0_LN4vllm18Fp8KVCacheDataTypeE0ES0_Li16ELi64ELi256ELb1ELi4EL8MFMAType0EEvPKT_PKT0_S9_ifPKiSB_SB_iPKfiiiPfSE_PS4_PT2_iSD_SD_.kd
    .uniform_work_group_size: 1
    .uses_dynamic_stack: false
    .vgpr_count:     198
    .vgpr_spill_count: 0
    .wavefront_size: 32
    .workgroup_processor_mode: 1
  - .args:
      - .actual_access:  write_only
        .address_space:  global
        .offset:         0
        .size:           8
        .value_kind:     global_buffer
      - .actual_access:  read_only
        .address_space:  global
        .offset:         8
        .size:           8
        .value_kind:     global_buffer
      - .actual_access:  read_only
        .address_space:  global
        .offset:         16
        .size:           8
        .value_kind:     global_buffer
      - .actual_access:  read_only
        .address_space:  global
        .offset:         24
        .size:           8
        .value_kind:     global_buffer
      - .actual_access:  read_only
        .address_space:  global
        .offset:         32
        .size:           8
        .value_kind:     global_buffer
      - .actual_access:  read_only
        .address_space:  global
        .offset:         40
        .size:           8
        .value_kind:     global_buffer
      - .offset:         48
        .size:           4
        .value_kind:     by_value
      - .actual_access:  read_only
        .address_space:  global
        .offset:         56
        .size:           8
        .value_kind:     global_buffer
      - .offset:         64
        .size:           4
        .value_kind:     hidden_block_count_x
      - .offset:         68
        .size:           4
        .value_kind:     hidden_block_count_y
      - .offset:         72
        .size:           4
        .value_kind:     hidden_block_count_z
      - .offset:         76
        .size:           2
        .value_kind:     hidden_group_size_x
      - .offset:         78
        .size:           2
        .value_kind:     hidden_group_size_y
      - .offset:         80
        .size:           2
        .value_kind:     hidden_group_size_z
      - .offset:         82
        .size:           2
        .value_kind:     hidden_remainder_x
      - .offset:         84
        .size:           2
        .value_kind:     hidden_remainder_y
      - .offset:         86
        .size:           2
        .value_kind:     hidden_remainder_z
      - .offset:         104
        .size:           8
        .value_kind:     hidden_global_offset_x
      - .offset:         112
        .size:           8
        .value_kind:     hidden_global_offset_y
      - .offset:         120
        .size:           8
        .value_kind:     hidden_global_offset_z
      - .offset:         128
        .size:           2
        .value_kind:     hidden_grid_dims
    .group_segment_fixed_size: 1156
    .kernarg_segment_align: 8
    .kernarg_segment_size: 320
    .language:       OpenCL C
    .language_version:
      - 2
      - 0
    .max_flat_workgroup_size: 64
    .name:           _Z35paged_attention_ll4mi_reduce_kernelI14__hip_bfloat16S0_Li64ELi64ELi256ELi9EEvPT0_PKfS4_PKT_PKiS9_iS4_
    .private_segment_fixed_size: 0
    .sgpr_count:     51
    .sgpr_spill_count: 0
    .symbol:         _Z35paged_attention_ll4mi_reduce_kernelI14__hip_bfloat16S0_Li64ELi64ELi256ELi9EEvPT0_PKfS4_PKT_PKiS9_iS4_.kd
    .uniform_work_group_size: 1
    .uses_dynamic_stack: false
    .vgpr_count:     52
    .vgpr_spill_count: 0
    .wavefront_size: 32
    .workgroup_processor_mode: 1
  - .args:
      - .actual_access:  write_only
        .address_space:  global
        .offset:         0
        .size:           8
        .value_kind:     global_buffer
      - .actual_access:  read_only
        .address_space:  global
        .offset:         8
        .size:           8
        .value_kind:     global_buffer
      - .actual_access:  read_only
        .address_space:  global
        .offset:         16
        .size:           8
        .value_kind:     global_buffer
      - .actual_access:  read_only
        .address_space:  global
        .offset:         24
        .size:           8
        .value_kind:     global_buffer
      - .actual_access:  read_only
        .address_space:  global
        .offset:         32
        .size:           8
        .value_kind:     global_buffer
      - .actual_access:  read_only
        .address_space:  global
        .offset:         40
        .size:           8
        .value_kind:     global_buffer
      - .offset:         48
        .size:           4
        .value_kind:     by_value
      - .actual_access:  read_only
        .address_space:  global
        .offset:         56
        .size:           8
        .value_kind:     global_buffer
      - .offset:         64
        .size:           4
        .value_kind:     hidden_block_count_x
      - .offset:         68
        .size:           4
        .value_kind:     hidden_block_count_y
      - .offset:         72
        .size:           4
        .value_kind:     hidden_block_count_z
      - .offset:         76
        .size:           2
        .value_kind:     hidden_group_size_x
      - .offset:         78
        .size:           2
        .value_kind:     hidden_group_size_y
      - .offset:         80
        .size:           2
        .value_kind:     hidden_group_size_z
      - .offset:         82
        .size:           2
        .value_kind:     hidden_remainder_x
      - .offset:         84
        .size:           2
        .value_kind:     hidden_remainder_y
      - .offset:         86
        .size:           2
        .value_kind:     hidden_remainder_z
      - .offset:         104
        .size:           8
        .value_kind:     hidden_global_offset_x
      - .offset:         112
        .size:           8
        .value_kind:     hidden_global_offset_y
      - .offset:         120
        .size:           8
        .value_kind:     hidden_global_offset_z
      - .offset:         128
        .size:           2
        .value_kind:     hidden_grid_dims
    .group_segment_fixed_size: 1284
    .kernarg_segment_align: 8
    .kernarg_segment_size: 320
    .language:       OpenCL C
    .language_version:
      - 2
      - 0
    .max_flat_workgroup_size: 64
    .name:           _Z35paged_attention_ll4mi_reduce_kernelI14__hip_bfloat16S0_Li64ELi64ELi256ELi10EEvPT0_PKfS4_PKT_PKiS9_iS4_
    .private_segment_fixed_size: 0
    .sgpr_count:     51
    .sgpr_spill_count: 0
    .symbol:         _Z35paged_attention_ll4mi_reduce_kernelI14__hip_bfloat16S0_Li64ELi64ELi256ELi10EEvPT0_PKfS4_PKT_PKiS9_iS4_.kd
    .uniform_work_group_size: 1
    .uses_dynamic_stack: false
    .vgpr_count:     57
    .vgpr_spill_count: 0
    .wavefront_size: 32
    .workgroup_processor_mode: 1
  - .args:
      - .actual_access:  write_only
        .address_space:  global
        .offset:         0
        .size:           8
        .value_kind:     global_buffer
      - .actual_access:  read_only
        .address_space:  global
        .offset:         8
        .size:           8
        .value_kind:     global_buffer
      - .actual_access:  read_only
        .address_space:  global
        .offset:         16
        .size:           8
        .value_kind:     global_buffer
      - .actual_access:  read_only
        .address_space:  global
        .offset:         24
        .size:           8
        .value_kind:     global_buffer
      - .actual_access:  read_only
        .address_space:  global
        .offset:         32
        .size:           8
        .value_kind:     global_buffer
      - .actual_access:  read_only
        .address_space:  global
        .offset:         40
        .size:           8
        .value_kind:     global_buffer
      - .offset:         48
        .size:           4
        .value_kind:     by_value
      - .actual_access:  read_only
        .address_space:  global
        .offset:         56
        .size:           8
        .value_kind:     global_buffer
      - .offset:         64
        .size:           4
        .value_kind:     hidden_block_count_x
      - .offset:         68
        .size:           4
        .value_kind:     hidden_block_count_y
      - .offset:         72
        .size:           4
        .value_kind:     hidden_block_count_z
      - .offset:         76
        .size:           2
        .value_kind:     hidden_group_size_x
      - .offset:         78
        .size:           2
        .value_kind:     hidden_group_size_y
      - .offset:         80
        .size:           2
        .value_kind:     hidden_group_size_z
      - .offset:         82
        .size:           2
        .value_kind:     hidden_remainder_x
      - .offset:         84
        .size:           2
        .value_kind:     hidden_remainder_y
      - .offset:         86
        .size:           2
        .value_kind:     hidden_remainder_z
      - .offset:         104
        .size:           8
        .value_kind:     hidden_global_offset_x
      - .offset:         112
        .size:           8
        .value_kind:     hidden_global_offset_y
      - .offset:         120
        .size:           8
        .value_kind:     hidden_global_offset_z
      - .offset:         128
        .size:           2
        .value_kind:     hidden_grid_dims
    .group_segment_fixed_size: 1412
    .kernarg_segment_align: 8
    .kernarg_segment_size: 320
    .language:       OpenCL C
    .language_version:
      - 2
      - 0
    .max_flat_workgroup_size: 64
    .name:           _Z35paged_attention_ll4mi_reduce_kernelI14__hip_bfloat16S0_Li64ELi64ELi256ELi11EEvPT0_PKfS4_PKT_PKiS9_iS4_
    .private_segment_fixed_size: 0
    .sgpr_count:     51
    .sgpr_spill_count: 0
    .symbol:         _Z35paged_attention_ll4mi_reduce_kernelI14__hip_bfloat16S0_Li64ELi64ELi256ELi11EEvPT0_PKfS4_PKT_PKiS9_iS4_.kd
    .uniform_work_group_size: 1
    .uses_dynamic_stack: false
    .vgpr_count:     62
    .vgpr_spill_count: 0
    .wavefront_size: 32
    .workgroup_processor_mode: 1
  - .args:
      - .actual_access:  write_only
        .address_space:  global
        .offset:         0
        .size:           8
        .value_kind:     global_buffer
      - .actual_access:  read_only
        .address_space:  global
        .offset:         8
        .size:           8
        .value_kind:     global_buffer
      - .actual_access:  read_only
        .address_space:  global
        .offset:         16
        .size:           8
        .value_kind:     global_buffer
      - .actual_access:  read_only
        .address_space:  global
        .offset:         24
        .size:           8
        .value_kind:     global_buffer
      - .actual_access:  read_only
        .address_space:  global
        .offset:         32
        .size:           8
        .value_kind:     global_buffer
      - .actual_access:  read_only
        .address_space:  global
        .offset:         40
        .size:           8
        .value_kind:     global_buffer
      - .offset:         48
        .size:           4
        .value_kind:     by_value
      - .actual_access:  read_only
        .address_space:  global
        .offset:         56
        .size:           8
        .value_kind:     global_buffer
      - .offset:         64
        .size:           4
        .value_kind:     hidden_block_count_x
      - .offset:         68
        .size:           4
        .value_kind:     hidden_block_count_y
      - .offset:         72
        .size:           4
        .value_kind:     hidden_block_count_z
      - .offset:         76
        .size:           2
        .value_kind:     hidden_group_size_x
      - .offset:         78
        .size:           2
        .value_kind:     hidden_group_size_y
      - .offset:         80
        .size:           2
        .value_kind:     hidden_group_size_z
      - .offset:         82
        .size:           2
        .value_kind:     hidden_remainder_x
      - .offset:         84
        .size:           2
        .value_kind:     hidden_remainder_y
      - .offset:         86
        .size:           2
        .value_kind:     hidden_remainder_z
      - .offset:         104
        .size:           8
        .value_kind:     hidden_global_offset_x
      - .offset:         112
        .size:           8
        .value_kind:     hidden_global_offset_y
      - .offset:         120
        .size:           8
        .value_kind:     hidden_global_offset_z
      - .offset:         128
        .size:           2
        .value_kind:     hidden_grid_dims
    .group_segment_fixed_size: 1540
    .kernarg_segment_align: 8
    .kernarg_segment_size: 320
    .language:       OpenCL C
    .language_version:
      - 2
      - 0
    .max_flat_workgroup_size: 64
    .name:           _Z35paged_attention_ll4mi_reduce_kernelI14__hip_bfloat16S0_Li64ELi64ELi256ELi12EEvPT0_PKfS4_PKT_PKiS9_iS4_
    .private_segment_fixed_size: 0
    .sgpr_count:     51
    .sgpr_spill_count: 0
    .symbol:         _Z35paged_attention_ll4mi_reduce_kernelI14__hip_bfloat16S0_Li64ELi64ELi256ELi12EEvPT0_PKfS4_PKT_PKiS9_iS4_.kd
    .uniform_work_group_size: 1
    .uses_dynamic_stack: false
    .vgpr_count:     67
    .vgpr_spill_count: 0
    .wavefront_size: 32
    .workgroup_processor_mode: 1
  - .args:
      - .actual_access:  write_only
        .address_space:  global
        .offset:         0
        .size:           8
        .value_kind:     global_buffer
      - .actual_access:  read_only
        .address_space:  global
        .offset:         8
        .size:           8
        .value_kind:     global_buffer
      - .actual_access:  read_only
        .address_space:  global
        .offset:         16
        .size:           8
        .value_kind:     global_buffer
      - .actual_access:  read_only
        .address_space:  global
        .offset:         24
        .size:           8
        .value_kind:     global_buffer
      - .actual_access:  read_only
        .address_space:  global
        .offset:         32
        .size:           8
        .value_kind:     global_buffer
      - .actual_access:  read_only
        .address_space:  global
        .offset:         40
        .size:           8
        .value_kind:     global_buffer
      - .offset:         48
        .size:           4
        .value_kind:     by_value
      - .actual_access:  read_only
        .address_space:  global
        .offset:         56
        .size:           8
        .value_kind:     global_buffer
      - .offset:         64
        .size:           4
        .value_kind:     hidden_block_count_x
      - .offset:         68
        .size:           4
        .value_kind:     hidden_block_count_y
      - .offset:         72
        .size:           4
        .value_kind:     hidden_block_count_z
      - .offset:         76
        .size:           2
        .value_kind:     hidden_group_size_x
      - .offset:         78
        .size:           2
        .value_kind:     hidden_group_size_y
      - .offset:         80
        .size:           2
        .value_kind:     hidden_group_size_z
      - .offset:         82
        .size:           2
        .value_kind:     hidden_remainder_x
      - .offset:         84
        .size:           2
        .value_kind:     hidden_remainder_y
      - .offset:         86
        .size:           2
        .value_kind:     hidden_remainder_z
      - .offset:         104
        .size:           8
        .value_kind:     hidden_global_offset_x
      - .offset:         112
        .size:           8
        .value_kind:     hidden_global_offset_y
      - .offset:         120
        .size:           8
        .value_kind:     hidden_global_offset_z
      - .offset:         128
        .size:           2
        .value_kind:     hidden_grid_dims
    .group_segment_fixed_size: 1668
    .kernarg_segment_align: 8
    .kernarg_segment_size: 320
    .language:       OpenCL C
    .language_version:
      - 2
      - 0
    .max_flat_workgroup_size: 64
    .name:           _Z35paged_attention_ll4mi_reduce_kernelI14__hip_bfloat16S0_Li64ELi64ELi256ELi13EEvPT0_PKfS4_PKT_PKiS9_iS4_
    .private_segment_fixed_size: 0
    .sgpr_count:     51
    .sgpr_spill_count: 0
    .symbol:         _Z35paged_attention_ll4mi_reduce_kernelI14__hip_bfloat16S0_Li64ELi64ELi256ELi13EEvPT0_PKfS4_PKT_PKiS9_iS4_.kd
    .uniform_work_group_size: 1
    .uses_dynamic_stack: false
    .vgpr_count:     68
    .vgpr_spill_count: 0
    .wavefront_size: 32
    .workgroup_processor_mode: 1
  - .args:
      - .actual_access:  write_only
        .address_space:  global
        .offset:         0
        .size:           8
        .value_kind:     global_buffer
      - .actual_access:  read_only
        .address_space:  global
        .offset:         8
        .size:           8
        .value_kind:     global_buffer
      - .actual_access:  read_only
        .address_space:  global
        .offset:         16
        .size:           8
        .value_kind:     global_buffer
      - .actual_access:  read_only
        .address_space:  global
        .offset:         24
        .size:           8
        .value_kind:     global_buffer
      - .actual_access:  read_only
        .address_space:  global
        .offset:         32
        .size:           8
        .value_kind:     global_buffer
      - .actual_access:  read_only
        .address_space:  global
        .offset:         40
        .size:           8
        .value_kind:     global_buffer
      - .offset:         48
        .size:           4
        .value_kind:     by_value
      - .actual_access:  read_only
        .address_space:  global
        .offset:         56
        .size:           8
        .value_kind:     global_buffer
      - .offset:         64
        .size:           4
        .value_kind:     hidden_block_count_x
      - .offset:         68
        .size:           4
        .value_kind:     hidden_block_count_y
      - .offset:         72
        .size:           4
        .value_kind:     hidden_block_count_z
      - .offset:         76
        .size:           2
        .value_kind:     hidden_group_size_x
      - .offset:         78
        .size:           2
        .value_kind:     hidden_group_size_y
      - .offset:         80
        .size:           2
        .value_kind:     hidden_group_size_z
      - .offset:         82
        .size:           2
        .value_kind:     hidden_remainder_x
      - .offset:         84
        .size:           2
        .value_kind:     hidden_remainder_y
      - .offset:         86
        .size:           2
        .value_kind:     hidden_remainder_z
      - .offset:         104
        .size:           8
        .value_kind:     hidden_global_offset_x
      - .offset:         112
        .size:           8
        .value_kind:     hidden_global_offset_y
      - .offset:         120
        .size:           8
        .value_kind:     hidden_global_offset_z
      - .offset:         128
        .size:           2
        .value_kind:     hidden_grid_dims
    .group_segment_fixed_size: 1796
    .kernarg_segment_align: 8
    .kernarg_segment_size: 320
    .language:       OpenCL C
    .language_version:
      - 2
      - 0
    .max_flat_workgroup_size: 64
    .name:           _Z35paged_attention_ll4mi_reduce_kernelI14__hip_bfloat16S0_Li64ELi64ELi256ELi14EEvPT0_PKfS4_PKT_PKiS9_iS4_
    .private_segment_fixed_size: 0
    .sgpr_count:     51
    .sgpr_spill_count: 0
    .symbol:         _Z35paged_attention_ll4mi_reduce_kernelI14__hip_bfloat16S0_Li64ELi64ELi256ELi14EEvPT0_PKfS4_PKT_PKiS9_iS4_.kd
    .uniform_work_group_size: 1
    .uses_dynamic_stack: false
    .vgpr_count:     77
    .vgpr_spill_count: 0
    .wavefront_size: 32
    .workgroup_processor_mode: 1
  - .args:
      - .actual_access:  write_only
        .address_space:  global
        .offset:         0
        .size:           8
        .value_kind:     global_buffer
      - .actual_access:  read_only
        .address_space:  global
        .offset:         8
        .size:           8
        .value_kind:     global_buffer
      - .actual_access:  read_only
        .address_space:  global
        .offset:         16
        .size:           8
        .value_kind:     global_buffer
      - .actual_access:  read_only
        .address_space:  global
        .offset:         24
        .size:           8
        .value_kind:     global_buffer
      - .actual_access:  read_only
        .address_space:  global
        .offset:         32
        .size:           8
        .value_kind:     global_buffer
      - .actual_access:  read_only
        .address_space:  global
        .offset:         40
        .size:           8
        .value_kind:     global_buffer
      - .offset:         48
        .size:           4
        .value_kind:     by_value
      - .actual_access:  read_only
        .address_space:  global
        .offset:         56
        .size:           8
        .value_kind:     global_buffer
      - .offset:         64
        .size:           4
        .value_kind:     hidden_block_count_x
      - .offset:         68
        .size:           4
        .value_kind:     hidden_block_count_y
      - .offset:         72
        .size:           4
        .value_kind:     hidden_block_count_z
      - .offset:         76
        .size:           2
        .value_kind:     hidden_group_size_x
      - .offset:         78
        .size:           2
        .value_kind:     hidden_group_size_y
      - .offset:         80
        .size:           2
        .value_kind:     hidden_group_size_z
      - .offset:         82
        .size:           2
        .value_kind:     hidden_remainder_x
      - .offset:         84
        .size:           2
        .value_kind:     hidden_remainder_y
      - .offset:         86
        .size:           2
        .value_kind:     hidden_remainder_z
      - .offset:         104
        .size:           8
        .value_kind:     hidden_global_offset_x
      - .offset:         112
        .size:           8
        .value_kind:     hidden_global_offset_y
      - .offset:         120
        .size:           8
        .value_kind:     hidden_global_offset_z
      - .offset:         128
        .size:           2
        .value_kind:     hidden_grid_dims
    .group_segment_fixed_size: 1924
    .kernarg_segment_align: 8
    .kernarg_segment_size: 320
    .language:       OpenCL C
    .language_version:
      - 2
      - 0
    .max_flat_workgroup_size: 64
    .name:           _Z35paged_attention_ll4mi_reduce_kernelI14__hip_bfloat16S0_Li64ELi64ELi256ELi15EEvPT0_PKfS4_PKT_PKiS9_iS4_
    .private_segment_fixed_size: 0
    .sgpr_count:     51
    .sgpr_spill_count: 0
    .symbol:         _Z35paged_attention_ll4mi_reduce_kernelI14__hip_bfloat16S0_Li64ELi64ELi256ELi15EEvPT0_PKfS4_PKT_PKiS9_iS4_.kd
    .uniform_work_group_size: 1
    .uses_dynamic_stack: false
    .vgpr_count:     77
    .vgpr_spill_count: 0
    .wavefront_size: 32
    .workgroup_processor_mode: 1
  - .args:
      - .actual_access:  write_only
        .address_space:  global
        .offset:         0
        .size:           8
        .value_kind:     global_buffer
      - .actual_access:  read_only
        .address_space:  global
        .offset:         8
        .size:           8
        .value_kind:     global_buffer
      - .actual_access:  read_only
        .address_space:  global
        .offset:         16
        .size:           8
        .value_kind:     global_buffer
      - .actual_access:  read_only
        .address_space:  global
        .offset:         24
        .size:           8
        .value_kind:     global_buffer
      - .actual_access:  read_only
        .address_space:  global
        .offset:         32
        .size:           8
        .value_kind:     global_buffer
      - .actual_access:  read_only
        .address_space:  global
        .offset:         40
        .size:           8
        .value_kind:     global_buffer
      - .offset:         48
        .size:           4
        .value_kind:     by_value
      - .actual_access:  read_only
        .address_space:  global
        .offset:         56
        .size:           8
        .value_kind:     global_buffer
      - .offset:         64
        .size:           4
        .value_kind:     hidden_block_count_x
      - .offset:         68
        .size:           4
        .value_kind:     hidden_block_count_y
      - .offset:         72
        .size:           4
        .value_kind:     hidden_block_count_z
      - .offset:         76
        .size:           2
        .value_kind:     hidden_group_size_x
      - .offset:         78
        .size:           2
        .value_kind:     hidden_group_size_y
      - .offset:         80
        .size:           2
        .value_kind:     hidden_group_size_z
      - .offset:         82
        .size:           2
        .value_kind:     hidden_remainder_x
      - .offset:         84
        .size:           2
        .value_kind:     hidden_remainder_y
      - .offset:         86
        .size:           2
        .value_kind:     hidden_remainder_z
      - .offset:         104
        .size:           8
        .value_kind:     hidden_global_offset_x
      - .offset:         112
        .size:           8
        .value_kind:     hidden_global_offset_y
      - .offset:         120
        .size:           8
        .value_kind:     hidden_global_offset_z
      - .offset:         128
        .size:           2
        .value_kind:     hidden_grid_dims
    .group_segment_fixed_size: 2052
    .kernarg_segment_align: 8
    .kernarg_segment_size: 320
    .language:       OpenCL C
    .language_version:
      - 2
      - 0
    .max_flat_workgroup_size: 64
    .name:           _Z35paged_attention_ll4mi_reduce_kernelI14__hip_bfloat16S0_Li64ELi64ELi256ELi16EEvPT0_PKfS4_PKT_PKiS9_iS4_
    .private_segment_fixed_size: 0
    .sgpr_count:     51
    .sgpr_spill_count: 0
    .symbol:         _Z35paged_attention_ll4mi_reduce_kernelI14__hip_bfloat16S0_Li64ELi64ELi256ELi16EEvPT0_PKfS4_PKT_PKiS9_iS4_.kd
    .uniform_work_group_size: 1
    .uses_dynamic_stack: false
    .vgpr_count:     87
    .vgpr_spill_count: 0
    .wavefront_size: 32
    .workgroup_processor_mode: 1
  - .args:
      - .actual_access:  read_only
        .address_space:  global
        .offset:         0
        .size:           8
        .value_kind:     global_buffer
      - .actual_access:  read_only
        .address_space:  global
        .offset:         8
        .size:           8
        .value_kind:     global_buffer
      - .actual_access:  read_only
        .address_space:  global
        .offset:         16
        .size:           8
        .value_kind:     global_buffer
      - .offset:         24
        .size:           4
        .value_kind:     by_value
      - .offset:         28
        .size:           4
        .value_kind:     by_value
      - .actual_access:  read_only
        .address_space:  global
        .offset:         32
        .size:           8
        .value_kind:     global_buffer
      - .actual_access:  read_only
        .address_space:  global
        .offset:         40
        .size:           8
        .value_kind:     global_buffer
      - .actual_access:  read_only
        .address_space:  global
        .offset:         48
        .size:           8
        .value_kind:     global_buffer
      - .offset:         56
        .size:           4
        .value_kind:     by_value
      - .actual_access:  read_only
        .address_space:  global
        .offset:         64
        .size:           8
        .value_kind:     global_buffer
      - .offset:         72
        .size:           4
        .value_kind:     by_value
      - .offset:         76
        .size:           4
        .value_kind:     by_value
      - .offset:         80
        .size:           4
        .value_kind:     by_value
      - .actual_access:  read_only
        .address_space:  global
        .offset:         88
        .size:           8
        .value_kind:     global_buffer
      - .actual_access:  read_only
        .address_space:  global
        .offset:         96
        .size:           8
        .value_kind:     global_buffer
      - .actual_access:  read_only
        .address_space:  global
        .offset:         104
        .size:           8
        .value_kind:     global_buffer
      - .actual_access:  read_only
        .address_space:  global
        .offset:         112
        .size:           8
        .value_kind:     global_buffer
      - .offset:         120
        .size:           4
        .value_kind:     by_value
      - .address_space:  global
        .offset:         128
        .size:           8
        .value_kind:     global_buffer
      - .address_space:  global
        .offset:         136
        .size:           8
        .value_kind:     global_buffer
      - .offset:         144
        .size:           4
        .value_kind:     hidden_block_count_x
      - .offset:         148
        .size:           4
        .value_kind:     hidden_block_count_y
      - .offset:         152
        .size:           4
        .value_kind:     hidden_block_count_z
      - .offset:         156
        .size:           2
        .value_kind:     hidden_group_size_x
      - .offset:         158
        .size:           2
        .value_kind:     hidden_group_size_y
      - .offset:         160
        .size:           2
        .value_kind:     hidden_group_size_z
      - .offset:         162
        .size:           2
        .value_kind:     hidden_remainder_x
      - .offset:         164
        .size:           2
        .value_kind:     hidden_remainder_y
      - .offset:         166
        .size:           2
        .value_kind:     hidden_remainder_z
      - .offset:         184
        .size:           8
        .value_kind:     hidden_global_offset_x
      - .offset:         192
        .size:           8
        .value_kind:     hidden_global_offset_y
      - .offset:         200
        .size:           8
        .value_kind:     hidden_global_offset_z
      - .offset:         208
        .size:           2
        .value_kind:     hidden_grid_dims
      - .offset:         224
        .size:           8
        .value_kind:     hidden_hostcall_buffer
    .group_segment_fixed_size: 0
    .kernarg_segment_align: 8
    .kernarg_segment_size: 400
    .language:       OpenCL C
    .language_version:
      - 2
      - 0
    .max_flat_workgroup_size: 256
    .name:           _Z38paged_attention_ll4mi_QKV_mfma4_kernelI14__hip_bfloat16S0_LN4vllm18Fp8KVCacheDataTypeE0ES0_Li16ELi64ELi256ELb0ELi1EEvPKT_PKT0_S8_ifPKiSA_SA_iPKfiiiPfSD_PS3_PT2_iSC_SC_
    .private_segment_fixed_size: 64
    .sgpr_count:     36
    .sgpr_spill_count: 0
    .symbol:         _Z38paged_attention_ll4mi_QKV_mfma4_kernelI14__hip_bfloat16S0_LN4vllm18Fp8KVCacheDataTypeE0ES0_Li16ELi64ELi256ELb0ELi1EEvPKT_PKT0_S8_ifPKiSA_SA_iPKfiiiPfSD_PS3_PT2_iSC_SC_.kd
    .uniform_work_group_size: 1
    .uses_dynamic_stack: false
    .vgpr_count:     41
    .vgpr_spill_count: 0
    .wavefront_size: 32
    .workgroup_processor_mode: 1
  - .args:
      - .actual_access:  read_only
        .address_space:  global
        .offset:         0
        .size:           8
        .value_kind:     global_buffer
      - .actual_access:  read_only
        .address_space:  global
        .offset:         8
        .size:           8
        .value_kind:     global_buffer
      - .actual_access:  read_only
        .address_space:  global
        .offset:         16
        .size:           8
        .value_kind:     global_buffer
      - .offset:         24
        .size:           4
        .value_kind:     by_value
      - .offset:         28
        .size:           4
        .value_kind:     by_value
      - .actual_access:  read_only
        .address_space:  global
        .offset:         32
        .size:           8
        .value_kind:     global_buffer
      - .actual_access:  read_only
        .address_space:  global
        .offset:         40
        .size:           8
        .value_kind:     global_buffer
      - .actual_access:  read_only
        .address_space:  global
        .offset:         48
        .size:           8
        .value_kind:     global_buffer
      - .offset:         56
        .size:           4
        .value_kind:     by_value
      - .actual_access:  read_only
        .address_space:  global
        .offset:         64
        .size:           8
        .value_kind:     global_buffer
      - .offset:         72
        .size:           4
        .value_kind:     by_value
      - .offset:         76
        .size:           4
        .value_kind:     by_value
      - .offset:         80
        .size:           4
        .value_kind:     by_value
      - .actual_access:  read_only
        .address_space:  global
        .offset:         88
        .size:           8
        .value_kind:     global_buffer
      - .actual_access:  read_only
        .address_space:  global
        .offset:         96
        .size:           8
        .value_kind:     global_buffer
      - .actual_access:  read_only
        .address_space:  global
        .offset:         104
        .size:           8
        .value_kind:     global_buffer
      - .actual_access:  read_only
        .address_space:  global
        .offset:         112
        .size:           8
        .value_kind:     global_buffer
      - .offset:         120
        .size:           4
        .value_kind:     by_value
      - .address_space:  global
        .offset:         128
        .size:           8
        .value_kind:     global_buffer
      - .address_space:  global
        .offset:         136
        .size:           8
        .value_kind:     global_buffer
      - .offset:         144
        .size:           4
        .value_kind:     hidden_block_count_x
      - .offset:         148
        .size:           4
        .value_kind:     hidden_block_count_y
      - .offset:         152
        .size:           4
        .value_kind:     hidden_block_count_z
      - .offset:         156
        .size:           2
        .value_kind:     hidden_group_size_x
      - .offset:         158
        .size:           2
        .value_kind:     hidden_group_size_y
      - .offset:         160
        .size:           2
        .value_kind:     hidden_group_size_z
      - .offset:         162
        .size:           2
        .value_kind:     hidden_remainder_x
      - .offset:         164
        .size:           2
        .value_kind:     hidden_remainder_y
      - .offset:         166
        .size:           2
        .value_kind:     hidden_remainder_z
      - .offset:         184
        .size:           8
        .value_kind:     hidden_global_offset_x
      - .offset:         192
        .size:           8
        .value_kind:     hidden_global_offset_y
      - .offset:         200
        .size:           8
        .value_kind:     hidden_global_offset_z
      - .offset:         208
        .size:           2
        .value_kind:     hidden_grid_dims
      - .offset:         224
        .size:           8
        .value_kind:     hidden_hostcall_buffer
    .group_segment_fixed_size: 0
    .kernarg_segment_align: 8
    .kernarg_segment_size: 400
    .language:       OpenCL C
    .language_version:
      - 2
      - 0
    .max_flat_workgroup_size: 256
    .name:           _Z38paged_attention_ll4mi_QKV_mfma4_kernelI14__hip_bfloat16S0_LN4vllm18Fp8KVCacheDataTypeE0ES0_Li16ELi64ELi256ELb0ELi2EEvPKT_PKT0_S8_ifPKiSA_SA_iPKfiiiPfSD_PS3_PT2_iSC_SC_
    .private_segment_fixed_size: 64
    .sgpr_count:     36
    .sgpr_spill_count: 0
    .symbol:         _Z38paged_attention_ll4mi_QKV_mfma4_kernelI14__hip_bfloat16S0_LN4vllm18Fp8KVCacheDataTypeE0ES0_Li16ELi64ELi256ELb0ELi2EEvPKT_PKT0_S8_ifPKiSA_SA_iPKfiiiPfSD_PS3_PT2_iSC_SC_.kd
    .uniform_work_group_size: 1
    .uses_dynamic_stack: false
    .vgpr_count:     41
    .vgpr_spill_count: 0
    .wavefront_size: 32
    .workgroup_processor_mode: 1
  - .args:
      - .actual_access:  read_only
        .address_space:  global
        .offset:         0
        .size:           8
        .value_kind:     global_buffer
      - .actual_access:  read_only
        .address_space:  global
        .offset:         8
        .size:           8
        .value_kind:     global_buffer
      - .actual_access:  read_only
        .address_space:  global
        .offset:         16
        .size:           8
        .value_kind:     global_buffer
      - .offset:         24
        .size:           4
        .value_kind:     by_value
      - .offset:         28
        .size:           4
        .value_kind:     by_value
      - .actual_access:  read_only
        .address_space:  global
        .offset:         32
        .size:           8
        .value_kind:     global_buffer
      - .actual_access:  read_only
        .address_space:  global
        .offset:         40
        .size:           8
        .value_kind:     global_buffer
      - .actual_access:  read_only
        .address_space:  global
        .offset:         48
        .size:           8
        .value_kind:     global_buffer
      - .offset:         56
        .size:           4
        .value_kind:     by_value
      - .actual_access:  read_only
        .address_space:  global
        .offset:         64
        .size:           8
        .value_kind:     global_buffer
      - .offset:         72
        .size:           4
        .value_kind:     by_value
      - .offset:         76
        .size:           4
        .value_kind:     by_value
      - .offset:         80
        .size:           4
        .value_kind:     by_value
      - .actual_access:  read_only
        .address_space:  global
        .offset:         88
        .size:           8
        .value_kind:     global_buffer
      - .actual_access:  read_only
        .address_space:  global
        .offset:         96
        .size:           8
        .value_kind:     global_buffer
      - .actual_access:  read_only
        .address_space:  global
        .offset:         104
        .size:           8
        .value_kind:     global_buffer
      - .actual_access:  read_only
        .address_space:  global
        .offset:         112
        .size:           8
        .value_kind:     global_buffer
      - .offset:         120
        .size:           4
        .value_kind:     by_value
      - .address_space:  global
        .offset:         128
        .size:           8
        .value_kind:     global_buffer
      - .address_space:  global
        .offset:         136
        .size:           8
        .value_kind:     global_buffer
      - .offset:         144
        .size:           4
        .value_kind:     hidden_block_count_x
      - .offset:         148
        .size:           4
        .value_kind:     hidden_block_count_y
      - .offset:         152
        .size:           4
        .value_kind:     hidden_block_count_z
      - .offset:         156
        .size:           2
        .value_kind:     hidden_group_size_x
      - .offset:         158
        .size:           2
        .value_kind:     hidden_group_size_y
      - .offset:         160
        .size:           2
        .value_kind:     hidden_group_size_z
      - .offset:         162
        .size:           2
        .value_kind:     hidden_remainder_x
      - .offset:         164
        .size:           2
        .value_kind:     hidden_remainder_y
      - .offset:         166
        .size:           2
        .value_kind:     hidden_remainder_z
      - .offset:         184
        .size:           8
        .value_kind:     hidden_global_offset_x
      - .offset:         192
        .size:           8
        .value_kind:     hidden_global_offset_y
      - .offset:         200
        .size:           8
        .value_kind:     hidden_global_offset_z
      - .offset:         208
        .size:           2
        .value_kind:     hidden_grid_dims
      - .offset:         224
        .size:           8
        .value_kind:     hidden_hostcall_buffer
    .group_segment_fixed_size: 0
    .kernarg_segment_align: 8
    .kernarg_segment_size: 400
    .language:       OpenCL C
    .language_version:
      - 2
      - 0
    .max_flat_workgroup_size: 256
    .name:           _Z38paged_attention_ll4mi_QKV_mfma4_kernelI14__hip_bfloat16S0_LN4vllm18Fp8KVCacheDataTypeE0ES0_Li16ELi64ELi256ELb0ELi3EEvPKT_PKT0_S8_ifPKiSA_SA_iPKfiiiPfSD_PS3_PT2_iSC_SC_
    .private_segment_fixed_size: 64
    .sgpr_count:     36
    .sgpr_spill_count: 0
    .symbol:         _Z38paged_attention_ll4mi_QKV_mfma4_kernelI14__hip_bfloat16S0_LN4vllm18Fp8KVCacheDataTypeE0ES0_Li16ELi64ELi256ELb0ELi3EEvPKT_PKT0_S8_ifPKiSA_SA_iPKfiiiPfSD_PS3_PT2_iSC_SC_.kd
    .uniform_work_group_size: 1
    .uses_dynamic_stack: false
    .vgpr_count:     41
    .vgpr_spill_count: 0
    .wavefront_size: 32
    .workgroup_processor_mode: 1
  - .args:
      - .actual_access:  read_only
        .address_space:  global
        .offset:         0
        .size:           8
        .value_kind:     global_buffer
      - .actual_access:  read_only
        .address_space:  global
        .offset:         8
        .size:           8
        .value_kind:     global_buffer
      - .actual_access:  read_only
        .address_space:  global
        .offset:         16
        .size:           8
        .value_kind:     global_buffer
      - .offset:         24
        .size:           4
        .value_kind:     by_value
      - .offset:         28
        .size:           4
        .value_kind:     by_value
      - .actual_access:  read_only
        .address_space:  global
        .offset:         32
        .size:           8
        .value_kind:     global_buffer
      - .actual_access:  read_only
        .address_space:  global
        .offset:         40
        .size:           8
        .value_kind:     global_buffer
      - .actual_access:  read_only
        .address_space:  global
        .offset:         48
        .size:           8
        .value_kind:     global_buffer
      - .offset:         56
        .size:           4
        .value_kind:     by_value
      - .actual_access:  read_only
        .address_space:  global
        .offset:         64
        .size:           8
        .value_kind:     global_buffer
      - .offset:         72
        .size:           4
        .value_kind:     by_value
      - .offset:         76
        .size:           4
        .value_kind:     by_value
      - .offset:         80
        .size:           4
        .value_kind:     by_value
      - .actual_access:  read_only
        .address_space:  global
        .offset:         88
        .size:           8
        .value_kind:     global_buffer
      - .actual_access:  read_only
        .address_space:  global
        .offset:         96
        .size:           8
        .value_kind:     global_buffer
      - .actual_access:  read_only
        .address_space:  global
        .offset:         104
        .size:           8
        .value_kind:     global_buffer
      - .actual_access:  read_only
        .address_space:  global
        .offset:         112
        .size:           8
        .value_kind:     global_buffer
      - .offset:         120
        .size:           4
        .value_kind:     by_value
      - .address_space:  global
        .offset:         128
        .size:           8
        .value_kind:     global_buffer
      - .address_space:  global
        .offset:         136
        .size:           8
        .value_kind:     global_buffer
      - .offset:         144
        .size:           4
        .value_kind:     hidden_block_count_x
      - .offset:         148
        .size:           4
        .value_kind:     hidden_block_count_y
      - .offset:         152
        .size:           4
        .value_kind:     hidden_block_count_z
      - .offset:         156
        .size:           2
        .value_kind:     hidden_group_size_x
      - .offset:         158
        .size:           2
        .value_kind:     hidden_group_size_y
      - .offset:         160
        .size:           2
        .value_kind:     hidden_group_size_z
      - .offset:         162
        .size:           2
        .value_kind:     hidden_remainder_x
      - .offset:         164
        .size:           2
        .value_kind:     hidden_remainder_y
      - .offset:         166
        .size:           2
        .value_kind:     hidden_remainder_z
      - .offset:         184
        .size:           8
        .value_kind:     hidden_global_offset_x
      - .offset:         192
        .size:           8
        .value_kind:     hidden_global_offset_y
      - .offset:         200
        .size:           8
        .value_kind:     hidden_global_offset_z
      - .offset:         208
        .size:           2
        .value_kind:     hidden_grid_dims
      - .offset:         224
        .size:           8
        .value_kind:     hidden_hostcall_buffer
    .group_segment_fixed_size: 0
    .kernarg_segment_align: 8
    .kernarg_segment_size: 400
    .language:       OpenCL C
    .language_version:
      - 2
      - 0
    .max_flat_workgroup_size: 256
    .name:           _Z38paged_attention_ll4mi_QKV_mfma4_kernelI14__hip_bfloat16S0_LN4vllm18Fp8KVCacheDataTypeE0ES0_Li16ELi64ELi256ELb0ELi4EEvPKT_PKT0_S8_ifPKiSA_SA_iPKfiiiPfSD_PS3_PT2_iSC_SC_
    .private_segment_fixed_size: 64
    .sgpr_count:     36
    .sgpr_spill_count: 0
    .symbol:         _Z38paged_attention_ll4mi_QKV_mfma4_kernelI14__hip_bfloat16S0_LN4vllm18Fp8KVCacheDataTypeE0ES0_Li16ELi64ELi256ELb0ELi4EEvPKT_PKT0_S8_ifPKiSA_SA_iPKfiiiPfSD_PS3_PT2_iSC_SC_.kd
    .uniform_work_group_size: 1
    .uses_dynamic_stack: false
    .vgpr_count:     41
    .vgpr_spill_count: 0
    .wavefront_size: 32
    .workgroup_processor_mode: 1
  - .args:
      - .actual_access:  read_only
        .address_space:  global
        .offset:         0
        .size:           8
        .value_kind:     global_buffer
      - .actual_access:  read_only
        .address_space:  global
        .offset:         8
        .size:           8
        .value_kind:     global_buffer
      - .actual_access:  read_only
        .address_space:  global
        .offset:         16
        .size:           8
        .value_kind:     global_buffer
      - .offset:         24
        .size:           4
        .value_kind:     by_value
      - .offset:         28
        .size:           4
        .value_kind:     by_value
      - .actual_access:  read_only
        .address_space:  global
        .offset:         32
        .size:           8
        .value_kind:     global_buffer
      - .actual_access:  read_only
        .address_space:  global
        .offset:         40
        .size:           8
        .value_kind:     global_buffer
      - .actual_access:  read_only
        .address_space:  global
        .offset:         48
        .size:           8
        .value_kind:     global_buffer
      - .offset:         56
        .size:           4
        .value_kind:     by_value
      - .actual_access:  read_only
        .address_space:  global
        .offset:         64
        .size:           8
        .value_kind:     global_buffer
      - .offset:         72
        .size:           4
        .value_kind:     by_value
      - .offset:         76
        .size:           4
        .value_kind:     by_value
      - .offset:         80
        .size:           4
        .value_kind:     by_value
      - .actual_access:  write_only
        .address_space:  global
        .offset:         88
        .size:           8
        .value_kind:     global_buffer
      - .actual_access:  write_only
        .address_space:  global
        .offset:         96
        .size:           8
        .value_kind:     global_buffer
      - .actual_access:  write_only
        .address_space:  global
        .offset:         104
        .size:           8
        .value_kind:     global_buffer
      - .actual_access:  read_only
        .address_space:  global
        .offset:         112
        .size:           8
        .value_kind:     global_buffer
      - .offset:         120
        .size:           4
        .value_kind:     by_value
      - .address_space:  global
        .offset:         128
        .size:           8
        .value_kind:     global_buffer
      - .address_space:  global
        .offset:         136
        .size:           8
        .value_kind:     global_buffer
      - .offset:         144
        .size:           4
        .value_kind:     hidden_block_count_x
      - .offset:         148
        .size:           4
        .value_kind:     hidden_block_count_y
      - .offset:         152
        .size:           4
        .value_kind:     hidden_block_count_z
      - .offset:         156
        .size:           2
        .value_kind:     hidden_group_size_x
      - .offset:         158
        .size:           2
        .value_kind:     hidden_group_size_y
      - .offset:         160
        .size:           2
        .value_kind:     hidden_group_size_z
      - .offset:         162
        .size:           2
        .value_kind:     hidden_remainder_x
      - .offset:         164
        .size:           2
        .value_kind:     hidden_remainder_y
      - .offset:         166
        .size:           2
        .value_kind:     hidden_remainder_z
      - .offset:         184
        .size:           8
        .value_kind:     hidden_global_offset_x
      - .offset:         192
        .size:           8
        .value_kind:     hidden_global_offset_y
      - .offset:         200
        .size:           8
        .value_kind:     hidden_global_offset_z
      - .offset:         208
        .size:           2
        .value_kind:     hidden_grid_dims
    .group_segment_fixed_size: 17472
    .kernarg_segment_align: 8
    .kernarg_segment_size: 400
    .language:       OpenCL C
    .language_version:
      - 2
      - 0
    .max_flat_workgroup_size: 256
    .name:           _Z39paged_attention_ll4mi_QKV_mfma16_kernelI14__hip_bfloat16S0_LN4vllm18Fp8KVCacheDataTypeE0ES0_Li16ELi64ELi256ELb0ELi5EL8MFMAType0EEvPKT_PKT0_S9_ifPKiSB_SB_iPKfiiiPfSE_PS4_PT2_iSD_SD_
    .private_segment_fixed_size: 0
    .sgpr_count:     54
    .sgpr_spill_count: 0
    .symbol:         _Z39paged_attention_ll4mi_QKV_mfma16_kernelI14__hip_bfloat16S0_LN4vllm18Fp8KVCacheDataTypeE0ES0_Li16ELi64ELi256ELb0ELi5EL8MFMAType0EEvPKT_PKT0_S9_ifPKiSB_SB_iPKfiiiPfSE_PS4_PT2_iSD_SD_.kd
    .uniform_work_group_size: 1
    .uses_dynamic_stack: false
    .vgpr_count:     198
    .vgpr_spill_count: 0
    .wavefront_size: 32
    .workgroup_processor_mode: 1
  - .args:
      - .actual_access:  read_only
        .address_space:  global
        .offset:         0
        .size:           8
        .value_kind:     global_buffer
      - .actual_access:  read_only
        .address_space:  global
        .offset:         8
        .size:           8
        .value_kind:     global_buffer
      - .actual_access:  read_only
        .address_space:  global
        .offset:         16
        .size:           8
        .value_kind:     global_buffer
      - .offset:         24
        .size:           4
        .value_kind:     by_value
      - .offset:         28
        .size:           4
        .value_kind:     by_value
      - .actual_access:  read_only
        .address_space:  global
        .offset:         32
        .size:           8
        .value_kind:     global_buffer
      - .actual_access:  read_only
        .address_space:  global
        .offset:         40
        .size:           8
        .value_kind:     global_buffer
      - .actual_access:  read_only
        .address_space:  global
        .offset:         48
        .size:           8
        .value_kind:     global_buffer
      - .offset:         56
        .size:           4
        .value_kind:     by_value
      - .actual_access:  read_only
        .address_space:  global
        .offset:         64
        .size:           8
        .value_kind:     global_buffer
      - .offset:         72
        .size:           4
        .value_kind:     by_value
      - .offset:         76
        .size:           4
        .value_kind:     by_value
      - .offset:         80
        .size:           4
        .value_kind:     by_value
      - .actual_access:  write_only
        .address_space:  global
        .offset:         88
        .size:           8
        .value_kind:     global_buffer
      - .actual_access:  write_only
        .address_space:  global
        .offset:         96
        .size:           8
        .value_kind:     global_buffer
      - .actual_access:  write_only
        .address_space:  global
        .offset:         104
        .size:           8
        .value_kind:     global_buffer
      - .actual_access:  read_only
        .address_space:  global
        .offset:         112
        .size:           8
        .value_kind:     global_buffer
      - .offset:         120
        .size:           4
        .value_kind:     by_value
      - .address_space:  global
        .offset:         128
        .size:           8
        .value_kind:     global_buffer
      - .address_space:  global
        .offset:         136
        .size:           8
        .value_kind:     global_buffer
      - .offset:         144
        .size:           4
        .value_kind:     hidden_block_count_x
      - .offset:         148
        .size:           4
        .value_kind:     hidden_block_count_y
      - .offset:         152
        .size:           4
        .value_kind:     hidden_block_count_z
      - .offset:         156
        .size:           2
        .value_kind:     hidden_group_size_x
      - .offset:         158
        .size:           2
        .value_kind:     hidden_group_size_y
      - .offset:         160
        .size:           2
        .value_kind:     hidden_group_size_z
      - .offset:         162
        .size:           2
        .value_kind:     hidden_remainder_x
      - .offset:         164
        .size:           2
        .value_kind:     hidden_remainder_y
      - .offset:         166
        .size:           2
        .value_kind:     hidden_remainder_z
      - .offset:         184
        .size:           8
        .value_kind:     hidden_global_offset_x
      - .offset:         192
        .size:           8
        .value_kind:     hidden_global_offset_y
      - .offset:         200
        .size:           8
        .value_kind:     hidden_global_offset_z
      - .offset:         208
        .size:           2
        .value_kind:     hidden_grid_dims
    .group_segment_fixed_size: 17472
    .kernarg_segment_align: 8
    .kernarg_segment_size: 400
    .language:       OpenCL C
    .language_version:
      - 2
      - 0
    .max_flat_workgroup_size: 256
    .name:           _Z39paged_attention_ll4mi_QKV_mfma16_kernelI14__hip_bfloat16S0_LN4vllm18Fp8KVCacheDataTypeE0ES0_Li16ELi64ELi256ELb0ELi6EL8MFMAType0EEvPKT_PKT0_S9_ifPKiSB_SB_iPKfiiiPfSE_PS4_PT2_iSD_SD_
    .private_segment_fixed_size: 0
    .sgpr_count:     54
    .sgpr_spill_count: 0
    .symbol:         _Z39paged_attention_ll4mi_QKV_mfma16_kernelI14__hip_bfloat16S0_LN4vllm18Fp8KVCacheDataTypeE0ES0_Li16ELi64ELi256ELb0ELi6EL8MFMAType0EEvPKT_PKT0_S9_ifPKiSB_SB_iPKfiiiPfSE_PS4_PT2_iSD_SD_.kd
    .uniform_work_group_size: 1
    .uses_dynamic_stack: false
    .vgpr_count:     198
    .vgpr_spill_count: 0
    .wavefront_size: 32
    .workgroup_processor_mode: 1
  - .args:
      - .actual_access:  read_only
        .address_space:  global
        .offset:         0
        .size:           8
        .value_kind:     global_buffer
      - .actual_access:  read_only
        .address_space:  global
        .offset:         8
        .size:           8
        .value_kind:     global_buffer
      - .actual_access:  read_only
        .address_space:  global
        .offset:         16
        .size:           8
        .value_kind:     global_buffer
      - .offset:         24
        .size:           4
        .value_kind:     by_value
      - .offset:         28
        .size:           4
        .value_kind:     by_value
      - .actual_access:  read_only
        .address_space:  global
        .offset:         32
        .size:           8
        .value_kind:     global_buffer
      - .actual_access:  read_only
        .address_space:  global
        .offset:         40
        .size:           8
        .value_kind:     global_buffer
      - .actual_access:  read_only
        .address_space:  global
        .offset:         48
        .size:           8
        .value_kind:     global_buffer
      - .offset:         56
        .size:           4
        .value_kind:     by_value
      - .actual_access:  read_only
        .address_space:  global
        .offset:         64
        .size:           8
        .value_kind:     global_buffer
      - .offset:         72
        .size:           4
        .value_kind:     by_value
      - .offset:         76
        .size:           4
        .value_kind:     by_value
      - .offset:         80
        .size:           4
        .value_kind:     by_value
      - .actual_access:  write_only
        .address_space:  global
        .offset:         88
        .size:           8
        .value_kind:     global_buffer
      - .actual_access:  write_only
        .address_space:  global
        .offset:         96
        .size:           8
        .value_kind:     global_buffer
      - .actual_access:  write_only
        .address_space:  global
        .offset:         104
        .size:           8
        .value_kind:     global_buffer
      - .actual_access:  read_only
        .address_space:  global
        .offset:         112
        .size:           8
        .value_kind:     global_buffer
      - .offset:         120
        .size:           4
        .value_kind:     by_value
      - .address_space:  global
        .offset:         128
        .size:           8
        .value_kind:     global_buffer
      - .address_space:  global
        .offset:         136
        .size:           8
        .value_kind:     global_buffer
      - .offset:         144
        .size:           4
        .value_kind:     hidden_block_count_x
      - .offset:         148
        .size:           4
        .value_kind:     hidden_block_count_y
      - .offset:         152
        .size:           4
        .value_kind:     hidden_block_count_z
      - .offset:         156
        .size:           2
        .value_kind:     hidden_group_size_x
      - .offset:         158
        .size:           2
        .value_kind:     hidden_group_size_y
      - .offset:         160
        .size:           2
        .value_kind:     hidden_group_size_z
      - .offset:         162
        .size:           2
        .value_kind:     hidden_remainder_x
      - .offset:         164
        .size:           2
        .value_kind:     hidden_remainder_y
      - .offset:         166
        .size:           2
        .value_kind:     hidden_remainder_z
      - .offset:         184
        .size:           8
        .value_kind:     hidden_global_offset_x
      - .offset:         192
        .size:           8
        .value_kind:     hidden_global_offset_y
      - .offset:         200
        .size:           8
        .value_kind:     hidden_global_offset_z
      - .offset:         208
        .size:           2
        .value_kind:     hidden_grid_dims
    .group_segment_fixed_size: 17472
    .kernarg_segment_align: 8
    .kernarg_segment_size: 400
    .language:       OpenCL C
    .language_version:
      - 2
      - 0
    .max_flat_workgroup_size: 256
    .name:           _Z39paged_attention_ll4mi_QKV_mfma16_kernelI14__hip_bfloat16S0_LN4vllm18Fp8KVCacheDataTypeE0ES0_Li16ELi64ELi256ELb0ELi7EL8MFMAType0EEvPKT_PKT0_S9_ifPKiSB_SB_iPKfiiiPfSE_PS4_PT2_iSD_SD_
    .private_segment_fixed_size: 0
    .sgpr_count:     54
    .sgpr_spill_count: 0
    .symbol:         _Z39paged_attention_ll4mi_QKV_mfma16_kernelI14__hip_bfloat16S0_LN4vllm18Fp8KVCacheDataTypeE0ES0_Li16ELi64ELi256ELb0ELi7EL8MFMAType0EEvPKT_PKT0_S9_ifPKiSB_SB_iPKfiiiPfSE_PS4_PT2_iSD_SD_.kd
    .uniform_work_group_size: 1
    .uses_dynamic_stack: false
    .vgpr_count:     198
    .vgpr_spill_count: 0
    .wavefront_size: 32
    .workgroup_processor_mode: 1
  - .args:
      - .actual_access:  read_only
        .address_space:  global
        .offset:         0
        .size:           8
        .value_kind:     global_buffer
      - .actual_access:  read_only
        .address_space:  global
        .offset:         8
        .size:           8
        .value_kind:     global_buffer
      - .actual_access:  read_only
        .address_space:  global
        .offset:         16
        .size:           8
        .value_kind:     global_buffer
      - .offset:         24
        .size:           4
        .value_kind:     by_value
      - .offset:         28
        .size:           4
        .value_kind:     by_value
      - .actual_access:  read_only
        .address_space:  global
        .offset:         32
        .size:           8
        .value_kind:     global_buffer
      - .actual_access:  read_only
        .address_space:  global
        .offset:         40
        .size:           8
        .value_kind:     global_buffer
      - .actual_access:  read_only
        .address_space:  global
        .offset:         48
        .size:           8
        .value_kind:     global_buffer
      - .offset:         56
        .size:           4
        .value_kind:     by_value
      - .actual_access:  read_only
        .address_space:  global
        .offset:         64
        .size:           8
        .value_kind:     global_buffer
      - .offset:         72
        .size:           4
        .value_kind:     by_value
      - .offset:         76
        .size:           4
        .value_kind:     by_value
      - .offset:         80
        .size:           4
        .value_kind:     by_value
      - .actual_access:  write_only
        .address_space:  global
        .offset:         88
        .size:           8
        .value_kind:     global_buffer
      - .actual_access:  write_only
        .address_space:  global
        .offset:         96
        .size:           8
        .value_kind:     global_buffer
      - .actual_access:  write_only
        .address_space:  global
        .offset:         104
        .size:           8
        .value_kind:     global_buffer
      - .actual_access:  read_only
        .address_space:  global
        .offset:         112
        .size:           8
        .value_kind:     global_buffer
      - .offset:         120
        .size:           4
        .value_kind:     by_value
      - .address_space:  global
        .offset:         128
        .size:           8
        .value_kind:     global_buffer
      - .address_space:  global
        .offset:         136
        .size:           8
        .value_kind:     global_buffer
      - .offset:         144
        .size:           4
        .value_kind:     hidden_block_count_x
      - .offset:         148
        .size:           4
        .value_kind:     hidden_block_count_y
      - .offset:         152
        .size:           4
        .value_kind:     hidden_block_count_z
      - .offset:         156
        .size:           2
        .value_kind:     hidden_group_size_x
      - .offset:         158
        .size:           2
        .value_kind:     hidden_group_size_y
      - .offset:         160
        .size:           2
        .value_kind:     hidden_group_size_z
      - .offset:         162
        .size:           2
        .value_kind:     hidden_remainder_x
      - .offset:         164
        .size:           2
        .value_kind:     hidden_remainder_y
      - .offset:         166
        .size:           2
        .value_kind:     hidden_remainder_z
      - .offset:         184
        .size:           8
        .value_kind:     hidden_global_offset_x
      - .offset:         192
        .size:           8
        .value_kind:     hidden_global_offset_y
      - .offset:         200
        .size:           8
        .value_kind:     hidden_global_offset_z
      - .offset:         208
        .size:           2
        .value_kind:     hidden_grid_dims
    .group_segment_fixed_size: 17472
    .kernarg_segment_align: 8
    .kernarg_segment_size: 400
    .language:       OpenCL C
    .language_version:
      - 2
      - 0
    .max_flat_workgroup_size: 256
    .name:           _Z39paged_attention_ll4mi_QKV_mfma16_kernelI14__hip_bfloat16S0_LN4vllm18Fp8KVCacheDataTypeE0ES0_Li16ELi64ELi256ELb0ELi8EL8MFMAType0EEvPKT_PKT0_S9_ifPKiSB_SB_iPKfiiiPfSE_PS4_PT2_iSD_SD_
    .private_segment_fixed_size: 0
    .sgpr_count:     54
    .sgpr_spill_count: 0
    .symbol:         _Z39paged_attention_ll4mi_QKV_mfma16_kernelI14__hip_bfloat16S0_LN4vllm18Fp8KVCacheDataTypeE0ES0_Li16ELi64ELi256ELb0ELi8EL8MFMAType0EEvPKT_PKT0_S9_ifPKiSB_SB_iPKfiiiPfSE_PS4_PT2_iSD_SD_.kd
    .uniform_work_group_size: 1
    .uses_dynamic_stack: false
    .vgpr_count:     198
    .vgpr_spill_count: 0
    .wavefront_size: 32
    .workgroup_processor_mode: 1
  - .args:
      - .actual_access:  read_only
        .address_space:  global
        .offset:         0
        .size:           8
        .value_kind:     global_buffer
      - .actual_access:  read_only
        .address_space:  global
        .offset:         8
        .size:           8
        .value_kind:     global_buffer
      - .actual_access:  read_only
        .address_space:  global
        .offset:         16
        .size:           8
        .value_kind:     global_buffer
      - .offset:         24
        .size:           4
        .value_kind:     by_value
      - .offset:         28
        .size:           4
        .value_kind:     by_value
      - .actual_access:  read_only
        .address_space:  global
        .offset:         32
        .size:           8
        .value_kind:     global_buffer
      - .actual_access:  read_only
        .address_space:  global
        .offset:         40
        .size:           8
        .value_kind:     global_buffer
      - .actual_access:  read_only
        .address_space:  global
        .offset:         48
        .size:           8
        .value_kind:     global_buffer
      - .offset:         56
        .size:           4
        .value_kind:     by_value
      - .actual_access:  read_only
        .address_space:  global
        .offset:         64
        .size:           8
        .value_kind:     global_buffer
      - .offset:         72
        .size:           4
        .value_kind:     by_value
      - .offset:         76
        .size:           4
        .value_kind:     by_value
      - .offset:         80
        .size:           4
        .value_kind:     by_value
      - .actual_access:  write_only
        .address_space:  global
        .offset:         88
        .size:           8
        .value_kind:     global_buffer
      - .actual_access:  write_only
        .address_space:  global
        .offset:         96
        .size:           8
        .value_kind:     global_buffer
      - .actual_access:  write_only
        .address_space:  global
        .offset:         104
        .size:           8
        .value_kind:     global_buffer
      - .actual_access:  read_only
        .address_space:  global
        .offset:         112
        .size:           8
        .value_kind:     global_buffer
      - .offset:         120
        .size:           4
        .value_kind:     by_value
      - .address_space:  global
        .offset:         128
        .size:           8
        .value_kind:     global_buffer
      - .address_space:  global
        .offset:         136
        .size:           8
        .value_kind:     global_buffer
      - .offset:         144
        .size:           4
        .value_kind:     hidden_block_count_x
      - .offset:         148
        .size:           4
        .value_kind:     hidden_block_count_y
      - .offset:         152
        .size:           4
        .value_kind:     hidden_block_count_z
      - .offset:         156
        .size:           2
        .value_kind:     hidden_group_size_x
      - .offset:         158
        .size:           2
        .value_kind:     hidden_group_size_y
      - .offset:         160
        .size:           2
        .value_kind:     hidden_group_size_z
      - .offset:         162
        .size:           2
        .value_kind:     hidden_remainder_x
      - .offset:         164
        .size:           2
        .value_kind:     hidden_remainder_y
      - .offset:         166
        .size:           2
        .value_kind:     hidden_remainder_z
      - .offset:         184
        .size:           8
        .value_kind:     hidden_global_offset_x
      - .offset:         192
        .size:           8
        .value_kind:     hidden_global_offset_y
      - .offset:         200
        .size:           8
        .value_kind:     hidden_global_offset_z
      - .offset:         208
        .size:           2
        .value_kind:     hidden_grid_dims
    .group_segment_fixed_size: 17472
    .kernarg_segment_align: 8
    .kernarg_segment_size: 400
    .language:       OpenCL C
    .language_version:
      - 2
      - 0
    .max_flat_workgroup_size: 256
    .name:           _Z39paged_attention_ll4mi_QKV_mfma16_kernelI14__hip_bfloat16S0_LN4vllm18Fp8KVCacheDataTypeE0ES0_Li16ELi64ELi256ELb0ELi9EL8MFMAType0EEvPKT_PKT0_S9_ifPKiSB_SB_iPKfiiiPfSE_PS4_PT2_iSD_SD_
    .private_segment_fixed_size: 0
    .sgpr_count:     54
    .sgpr_spill_count: 0
    .symbol:         _Z39paged_attention_ll4mi_QKV_mfma16_kernelI14__hip_bfloat16S0_LN4vllm18Fp8KVCacheDataTypeE0ES0_Li16ELi64ELi256ELb0ELi9EL8MFMAType0EEvPKT_PKT0_S9_ifPKiSB_SB_iPKfiiiPfSE_PS4_PT2_iSD_SD_.kd
    .uniform_work_group_size: 1
    .uses_dynamic_stack: false
    .vgpr_count:     198
    .vgpr_spill_count: 0
    .wavefront_size: 32
    .workgroup_processor_mode: 1
  - .args:
      - .actual_access:  read_only
        .address_space:  global
        .offset:         0
        .size:           8
        .value_kind:     global_buffer
      - .actual_access:  read_only
        .address_space:  global
        .offset:         8
        .size:           8
        .value_kind:     global_buffer
      - .actual_access:  read_only
        .address_space:  global
        .offset:         16
        .size:           8
        .value_kind:     global_buffer
      - .offset:         24
        .size:           4
        .value_kind:     by_value
      - .offset:         28
        .size:           4
        .value_kind:     by_value
      - .actual_access:  read_only
        .address_space:  global
        .offset:         32
        .size:           8
        .value_kind:     global_buffer
      - .actual_access:  read_only
        .address_space:  global
        .offset:         40
        .size:           8
        .value_kind:     global_buffer
      - .actual_access:  read_only
        .address_space:  global
        .offset:         48
        .size:           8
        .value_kind:     global_buffer
      - .offset:         56
        .size:           4
        .value_kind:     by_value
      - .actual_access:  read_only
        .address_space:  global
        .offset:         64
        .size:           8
        .value_kind:     global_buffer
      - .offset:         72
        .size:           4
        .value_kind:     by_value
      - .offset:         76
        .size:           4
        .value_kind:     by_value
      - .offset:         80
        .size:           4
        .value_kind:     by_value
      - .actual_access:  write_only
        .address_space:  global
        .offset:         88
        .size:           8
        .value_kind:     global_buffer
      - .actual_access:  write_only
        .address_space:  global
        .offset:         96
        .size:           8
        .value_kind:     global_buffer
      - .actual_access:  write_only
        .address_space:  global
        .offset:         104
        .size:           8
        .value_kind:     global_buffer
      - .actual_access:  read_only
        .address_space:  global
        .offset:         112
        .size:           8
        .value_kind:     global_buffer
      - .offset:         120
        .size:           4
        .value_kind:     by_value
      - .address_space:  global
        .offset:         128
        .size:           8
        .value_kind:     global_buffer
      - .address_space:  global
        .offset:         136
        .size:           8
        .value_kind:     global_buffer
      - .offset:         144
        .size:           4
        .value_kind:     hidden_block_count_x
      - .offset:         148
        .size:           4
        .value_kind:     hidden_block_count_y
      - .offset:         152
        .size:           4
        .value_kind:     hidden_block_count_z
      - .offset:         156
        .size:           2
        .value_kind:     hidden_group_size_x
      - .offset:         158
        .size:           2
        .value_kind:     hidden_group_size_y
      - .offset:         160
        .size:           2
        .value_kind:     hidden_group_size_z
      - .offset:         162
        .size:           2
        .value_kind:     hidden_remainder_x
      - .offset:         164
        .size:           2
        .value_kind:     hidden_remainder_y
      - .offset:         166
        .size:           2
        .value_kind:     hidden_remainder_z
      - .offset:         184
        .size:           8
        .value_kind:     hidden_global_offset_x
      - .offset:         192
        .size:           8
        .value_kind:     hidden_global_offset_y
      - .offset:         200
        .size:           8
        .value_kind:     hidden_global_offset_z
      - .offset:         208
        .size:           2
        .value_kind:     hidden_grid_dims
    .group_segment_fixed_size: 17472
    .kernarg_segment_align: 8
    .kernarg_segment_size: 400
    .language:       OpenCL C
    .language_version:
      - 2
      - 0
    .max_flat_workgroup_size: 256
    .name:           _Z39paged_attention_ll4mi_QKV_mfma16_kernelI14__hip_bfloat16S0_LN4vllm18Fp8KVCacheDataTypeE0ES0_Li16ELi64ELi256ELb0ELi10EL8MFMAType0EEvPKT_PKT0_S9_ifPKiSB_SB_iPKfiiiPfSE_PS4_PT2_iSD_SD_
    .private_segment_fixed_size: 0
    .sgpr_count:     54
    .sgpr_spill_count: 0
    .symbol:         _Z39paged_attention_ll4mi_QKV_mfma16_kernelI14__hip_bfloat16S0_LN4vllm18Fp8KVCacheDataTypeE0ES0_Li16ELi64ELi256ELb0ELi10EL8MFMAType0EEvPKT_PKT0_S9_ifPKiSB_SB_iPKfiiiPfSE_PS4_PT2_iSD_SD_.kd
    .uniform_work_group_size: 1
    .uses_dynamic_stack: false
    .vgpr_count:     198
    .vgpr_spill_count: 0
    .wavefront_size: 32
    .workgroup_processor_mode: 1
  - .args:
      - .actual_access:  read_only
        .address_space:  global
        .offset:         0
        .size:           8
        .value_kind:     global_buffer
      - .actual_access:  read_only
        .address_space:  global
        .offset:         8
        .size:           8
        .value_kind:     global_buffer
      - .actual_access:  read_only
        .address_space:  global
        .offset:         16
        .size:           8
        .value_kind:     global_buffer
      - .offset:         24
        .size:           4
        .value_kind:     by_value
      - .offset:         28
        .size:           4
        .value_kind:     by_value
      - .actual_access:  read_only
        .address_space:  global
        .offset:         32
        .size:           8
        .value_kind:     global_buffer
      - .actual_access:  read_only
        .address_space:  global
        .offset:         40
        .size:           8
        .value_kind:     global_buffer
      - .actual_access:  read_only
        .address_space:  global
        .offset:         48
        .size:           8
        .value_kind:     global_buffer
      - .offset:         56
        .size:           4
        .value_kind:     by_value
      - .actual_access:  read_only
        .address_space:  global
        .offset:         64
        .size:           8
        .value_kind:     global_buffer
      - .offset:         72
        .size:           4
        .value_kind:     by_value
      - .offset:         76
        .size:           4
        .value_kind:     by_value
      - .offset:         80
        .size:           4
        .value_kind:     by_value
      - .actual_access:  write_only
        .address_space:  global
        .offset:         88
        .size:           8
        .value_kind:     global_buffer
      - .actual_access:  write_only
        .address_space:  global
        .offset:         96
        .size:           8
        .value_kind:     global_buffer
      - .actual_access:  write_only
        .address_space:  global
        .offset:         104
        .size:           8
        .value_kind:     global_buffer
      - .actual_access:  read_only
        .address_space:  global
        .offset:         112
        .size:           8
        .value_kind:     global_buffer
      - .offset:         120
        .size:           4
        .value_kind:     by_value
      - .address_space:  global
        .offset:         128
        .size:           8
        .value_kind:     global_buffer
      - .address_space:  global
        .offset:         136
        .size:           8
        .value_kind:     global_buffer
      - .offset:         144
        .size:           4
        .value_kind:     hidden_block_count_x
      - .offset:         148
        .size:           4
        .value_kind:     hidden_block_count_y
      - .offset:         152
        .size:           4
        .value_kind:     hidden_block_count_z
      - .offset:         156
        .size:           2
        .value_kind:     hidden_group_size_x
      - .offset:         158
        .size:           2
        .value_kind:     hidden_group_size_y
      - .offset:         160
        .size:           2
        .value_kind:     hidden_group_size_z
      - .offset:         162
        .size:           2
        .value_kind:     hidden_remainder_x
      - .offset:         164
        .size:           2
        .value_kind:     hidden_remainder_y
      - .offset:         166
        .size:           2
        .value_kind:     hidden_remainder_z
      - .offset:         184
        .size:           8
        .value_kind:     hidden_global_offset_x
      - .offset:         192
        .size:           8
        .value_kind:     hidden_global_offset_y
      - .offset:         200
        .size:           8
        .value_kind:     hidden_global_offset_z
      - .offset:         208
        .size:           2
        .value_kind:     hidden_grid_dims
    .group_segment_fixed_size: 17472
    .kernarg_segment_align: 8
    .kernarg_segment_size: 400
    .language:       OpenCL C
    .language_version:
      - 2
      - 0
    .max_flat_workgroup_size: 256
    .name:           _Z39paged_attention_ll4mi_QKV_mfma16_kernelI14__hip_bfloat16S0_LN4vllm18Fp8KVCacheDataTypeE0ES0_Li16ELi64ELi256ELb0ELi11EL8MFMAType0EEvPKT_PKT0_S9_ifPKiSB_SB_iPKfiiiPfSE_PS4_PT2_iSD_SD_
    .private_segment_fixed_size: 0
    .sgpr_count:     54
    .sgpr_spill_count: 0
    .symbol:         _Z39paged_attention_ll4mi_QKV_mfma16_kernelI14__hip_bfloat16S0_LN4vllm18Fp8KVCacheDataTypeE0ES0_Li16ELi64ELi256ELb0ELi11EL8MFMAType0EEvPKT_PKT0_S9_ifPKiSB_SB_iPKfiiiPfSE_PS4_PT2_iSD_SD_.kd
    .uniform_work_group_size: 1
    .uses_dynamic_stack: false
    .vgpr_count:     198
    .vgpr_spill_count: 0
    .wavefront_size: 32
    .workgroup_processor_mode: 1
  - .args:
      - .actual_access:  read_only
        .address_space:  global
        .offset:         0
        .size:           8
        .value_kind:     global_buffer
      - .actual_access:  read_only
        .address_space:  global
        .offset:         8
        .size:           8
        .value_kind:     global_buffer
      - .actual_access:  read_only
        .address_space:  global
        .offset:         16
        .size:           8
        .value_kind:     global_buffer
      - .offset:         24
        .size:           4
        .value_kind:     by_value
      - .offset:         28
        .size:           4
        .value_kind:     by_value
      - .actual_access:  read_only
        .address_space:  global
        .offset:         32
        .size:           8
        .value_kind:     global_buffer
      - .actual_access:  read_only
        .address_space:  global
        .offset:         40
        .size:           8
        .value_kind:     global_buffer
      - .actual_access:  read_only
        .address_space:  global
        .offset:         48
        .size:           8
        .value_kind:     global_buffer
      - .offset:         56
        .size:           4
        .value_kind:     by_value
      - .actual_access:  read_only
        .address_space:  global
        .offset:         64
        .size:           8
        .value_kind:     global_buffer
      - .offset:         72
        .size:           4
        .value_kind:     by_value
      - .offset:         76
        .size:           4
        .value_kind:     by_value
      - .offset:         80
        .size:           4
        .value_kind:     by_value
      - .actual_access:  write_only
        .address_space:  global
        .offset:         88
        .size:           8
        .value_kind:     global_buffer
      - .actual_access:  write_only
        .address_space:  global
        .offset:         96
        .size:           8
        .value_kind:     global_buffer
      - .actual_access:  write_only
        .address_space:  global
        .offset:         104
        .size:           8
        .value_kind:     global_buffer
      - .actual_access:  read_only
        .address_space:  global
        .offset:         112
        .size:           8
        .value_kind:     global_buffer
      - .offset:         120
        .size:           4
        .value_kind:     by_value
      - .address_space:  global
        .offset:         128
        .size:           8
        .value_kind:     global_buffer
      - .address_space:  global
        .offset:         136
        .size:           8
        .value_kind:     global_buffer
      - .offset:         144
        .size:           4
        .value_kind:     hidden_block_count_x
      - .offset:         148
        .size:           4
        .value_kind:     hidden_block_count_y
      - .offset:         152
        .size:           4
        .value_kind:     hidden_block_count_z
      - .offset:         156
        .size:           2
        .value_kind:     hidden_group_size_x
      - .offset:         158
        .size:           2
        .value_kind:     hidden_group_size_y
      - .offset:         160
        .size:           2
        .value_kind:     hidden_group_size_z
      - .offset:         162
        .size:           2
        .value_kind:     hidden_remainder_x
      - .offset:         164
        .size:           2
        .value_kind:     hidden_remainder_y
      - .offset:         166
        .size:           2
        .value_kind:     hidden_remainder_z
      - .offset:         184
        .size:           8
        .value_kind:     hidden_global_offset_x
      - .offset:         192
        .size:           8
        .value_kind:     hidden_global_offset_y
      - .offset:         200
        .size:           8
        .value_kind:     hidden_global_offset_z
      - .offset:         208
        .size:           2
        .value_kind:     hidden_grid_dims
    .group_segment_fixed_size: 17472
    .kernarg_segment_align: 8
    .kernarg_segment_size: 400
    .language:       OpenCL C
    .language_version:
      - 2
      - 0
    .max_flat_workgroup_size: 256
    .name:           _Z39paged_attention_ll4mi_QKV_mfma16_kernelI14__hip_bfloat16S0_LN4vllm18Fp8KVCacheDataTypeE0ES0_Li16ELi64ELi256ELb0ELi12EL8MFMAType0EEvPKT_PKT0_S9_ifPKiSB_SB_iPKfiiiPfSE_PS4_PT2_iSD_SD_
    .private_segment_fixed_size: 0
    .sgpr_count:     54
    .sgpr_spill_count: 0
    .symbol:         _Z39paged_attention_ll4mi_QKV_mfma16_kernelI14__hip_bfloat16S0_LN4vllm18Fp8KVCacheDataTypeE0ES0_Li16ELi64ELi256ELb0ELi12EL8MFMAType0EEvPKT_PKT0_S9_ifPKiSB_SB_iPKfiiiPfSE_PS4_PT2_iSD_SD_.kd
    .uniform_work_group_size: 1
    .uses_dynamic_stack: false
    .vgpr_count:     198
    .vgpr_spill_count: 0
    .wavefront_size: 32
    .workgroup_processor_mode: 1
  - .args:
      - .actual_access:  read_only
        .address_space:  global
        .offset:         0
        .size:           8
        .value_kind:     global_buffer
      - .actual_access:  read_only
        .address_space:  global
        .offset:         8
        .size:           8
        .value_kind:     global_buffer
      - .actual_access:  read_only
        .address_space:  global
        .offset:         16
        .size:           8
        .value_kind:     global_buffer
      - .offset:         24
        .size:           4
        .value_kind:     by_value
      - .offset:         28
        .size:           4
        .value_kind:     by_value
      - .actual_access:  read_only
        .address_space:  global
        .offset:         32
        .size:           8
        .value_kind:     global_buffer
      - .actual_access:  read_only
        .address_space:  global
        .offset:         40
        .size:           8
        .value_kind:     global_buffer
      - .actual_access:  read_only
        .address_space:  global
        .offset:         48
        .size:           8
        .value_kind:     global_buffer
      - .offset:         56
        .size:           4
        .value_kind:     by_value
      - .actual_access:  read_only
        .address_space:  global
        .offset:         64
        .size:           8
        .value_kind:     global_buffer
      - .offset:         72
        .size:           4
        .value_kind:     by_value
      - .offset:         76
        .size:           4
        .value_kind:     by_value
      - .offset:         80
        .size:           4
        .value_kind:     by_value
      - .actual_access:  write_only
        .address_space:  global
        .offset:         88
        .size:           8
        .value_kind:     global_buffer
      - .actual_access:  write_only
        .address_space:  global
        .offset:         96
        .size:           8
        .value_kind:     global_buffer
      - .actual_access:  write_only
        .address_space:  global
        .offset:         104
        .size:           8
        .value_kind:     global_buffer
      - .actual_access:  read_only
        .address_space:  global
        .offset:         112
        .size:           8
        .value_kind:     global_buffer
      - .offset:         120
        .size:           4
        .value_kind:     by_value
      - .address_space:  global
        .offset:         128
        .size:           8
        .value_kind:     global_buffer
      - .address_space:  global
        .offset:         136
        .size:           8
        .value_kind:     global_buffer
      - .offset:         144
        .size:           4
        .value_kind:     hidden_block_count_x
      - .offset:         148
        .size:           4
        .value_kind:     hidden_block_count_y
      - .offset:         152
        .size:           4
        .value_kind:     hidden_block_count_z
      - .offset:         156
        .size:           2
        .value_kind:     hidden_group_size_x
      - .offset:         158
        .size:           2
        .value_kind:     hidden_group_size_y
      - .offset:         160
        .size:           2
        .value_kind:     hidden_group_size_z
      - .offset:         162
        .size:           2
        .value_kind:     hidden_remainder_x
      - .offset:         164
        .size:           2
        .value_kind:     hidden_remainder_y
      - .offset:         166
        .size:           2
        .value_kind:     hidden_remainder_z
      - .offset:         184
        .size:           8
        .value_kind:     hidden_global_offset_x
      - .offset:         192
        .size:           8
        .value_kind:     hidden_global_offset_y
      - .offset:         200
        .size:           8
        .value_kind:     hidden_global_offset_z
      - .offset:         208
        .size:           2
        .value_kind:     hidden_grid_dims
    .group_segment_fixed_size: 17472
    .kernarg_segment_align: 8
    .kernarg_segment_size: 400
    .language:       OpenCL C
    .language_version:
      - 2
      - 0
    .max_flat_workgroup_size: 256
    .name:           _Z39paged_attention_ll4mi_QKV_mfma16_kernelI14__hip_bfloat16S0_LN4vllm18Fp8KVCacheDataTypeE0ES0_Li16ELi64ELi256ELb0ELi13EL8MFMAType0EEvPKT_PKT0_S9_ifPKiSB_SB_iPKfiiiPfSE_PS4_PT2_iSD_SD_
    .private_segment_fixed_size: 0
    .sgpr_count:     54
    .sgpr_spill_count: 0
    .symbol:         _Z39paged_attention_ll4mi_QKV_mfma16_kernelI14__hip_bfloat16S0_LN4vllm18Fp8KVCacheDataTypeE0ES0_Li16ELi64ELi256ELb0ELi13EL8MFMAType0EEvPKT_PKT0_S9_ifPKiSB_SB_iPKfiiiPfSE_PS4_PT2_iSD_SD_.kd
    .uniform_work_group_size: 1
    .uses_dynamic_stack: false
    .vgpr_count:     198
    .vgpr_spill_count: 0
    .wavefront_size: 32
    .workgroup_processor_mode: 1
  - .args:
      - .actual_access:  read_only
        .address_space:  global
        .offset:         0
        .size:           8
        .value_kind:     global_buffer
      - .actual_access:  read_only
        .address_space:  global
        .offset:         8
        .size:           8
        .value_kind:     global_buffer
      - .actual_access:  read_only
        .address_space:  global
        .offset:         16
        .size:           8
        .value_kind:     global_buffer
      - .offset:         24
        .size:           4
        .value_kind:     by_value
      - .offset:         28
        .size:           4
        .value_kind:     by_value
      - .actual_access:  read_only
        .address_space:  global
        .offset:         32
        .size:           8
        .value_kind:     global_buffer
      - .actual_access:  read_only
        .address_space:  global
        .offset:         40
        .size:           8
        .value_kind:     global_buffer
      - .actual_access:  read_only
        .address_space:  global
        .offset:         48
        .size:           8
        .value_kind:     global_buffer
      - .offset:         56
        .size:           4
        .value_kind:     by_value
      - .actual_access:  read_only
        .address_space:  global
        .offset:         64
        .size:           8
        .value_kind:     global_buffer
      - .offset:         72
        .size:           4
        .value_kind:     by_value
      - .offset:         76
        .size:           4
        .value_kind:     by_value
      - .offset:         80
        .size:           4
        .value_kind:     by_value
      - .actual_access:  write_only
        .address_space:  global
        .offset:         88
        .size:           8
        .value_kind:     global_buffer
      - .actual_access:  write_only
        .address_space:  global
        .offset:         96
        .size:           8
        .value_kind:     global_buffer
      - .actual_access:  write_only
        .address_space:  global
        .offset:         104
        .size:           8
        .value_kind:     global_buffer
      - .actual_access:  read_only
        .address_space:  global
        .offset:         112
        .size:           8
        .value_kind:     global_buffer
      - .offset:         120
        .size:           4
        .value_kind:     by_value
      - .address_space:  global
        .offset:         128
        .size:           8
        .value_kind:     global_buffer
      - .address_space:  global
        .offset:         136
        .size:           8
        .value_kind:     global_buffer
      - .offset:         144
        .size:           4
        .value_kind:     hidden_block_count_x
      - .offset:         148
        .size:           4
        .value_kind:     hidden_block_count_y
      - .offset:         152
        .size:           4
        .value_kind:     hidden_block_count_z
      - .offset:         156
        .size:           2
        .value_kind:     hidden_group_size_x
      - .offset:         158
        .size:           2
        .value_kind:     hidden_group_size_y
      - .offset:         160
        .size:           2
        .value_kind:     hidden_group_size_z
      - .offset:         162
        .size:           2
        .value_kind:     hidden_remainder_x
      - .offset:         164
        .size:           2
        .value_kind:     hidden_remainder_y
      - .offset:         166
        .size:           2
        .value_kind:     hidden_remainder_z
      - .offset:         184
        .size:           8
        .value_kind:     hidden_global_offset_x
      - .offset:         192
        .size:           8
        .value_kind:     hidden_global_offset_y
      - .offset:         200
        .size:           8
        .value_kind:     hidden_global_offset_z
      - .offset:         208
        .size:           2
        .value_kind:     hidden_grid_dims
    .group_segment_fixed_size: 17472
    .kernarg_segment_align: 8
    .kernarg_segment_size: 400
    .language:       OpenCL C
    .language_version:
      - 2
      - 0
    .max_flat_workgroup_size: 256
    .name:           _Z39paged_attention_ll4mi_QKV_mfma16_kernelI14__hip_bfloat16S0_LN4vllm18Fp8KVCacheDataTypeE0ES0_Li16ELi64ELi256ELb0ELi14EL8MFMAType0EEvPKT_PKT0_S9_ifPKiSB_SB_iPKfiiiPfSE_PS4_PT2_iSD_SD_
    .private_segment_fixed_size: 0
    .sgpr_count:     54
    .sgpr_spill_count: 0
    .symbol:         _Z39paged_attention_ll4mi_QKV_mfma16_kernelI14__hip_bfloat16S0_LN4vllm18Fp8KVCacheDataTypeE0ES0_Li16ELi64ELi256ELb0ELi14EL8MFMAType0EEvPKT_PKT0_S9_ifPKiSB_SB_iPKfiiiPfSE_PS4_PT2_iSD_SD_.kd
    .uniform_work_group_size: 1
    .uses_dynamic_stack: false
    .vgpr_count:     198
    .vgpr_spill_count: 0
    .wavefront_size: 32
    .workgroup_processor_mode: 1
  - .args:
      - .actual_access:  read_only
        .address_space:  global
        .offset:         0
        .size:           8
        .value_kind:     global_buffer
      - .actual_access:  read_only
        .address_space:  global
        .offset:         8
        .size:           8
        .value_kind:     global_buffer
      - .actual_access:  read_only
        .address_space:  global
        .offset:         16
        .size:           8
        .value_kind:     global_buffer
      - .offset:         24
        .size:           4
        .value_kind:     by_value
      - .offset:         28
        .size:           4
        .value_kind:     by_value
      - .actual_access:  read_only
        .address_space:  global
        .offset:         32
        .size:           8
        .value_kind:     global_buffer
      - .actual_access:  read_only
        .address_space:  global
        .offset:         40
        .size:           8
        .value_kind:     global_buffer
      - .actual_access:  read_only
        .address_space:  global
        .offset:         48
        .size:           8
        .value_kind:     global_buffer
      - .offset:         56
        .size:           4
        .value_kind:     by_value
      - .actual_access:  read_only
        .address_space:  global
        .offset:         64
        .size:           8
        .value_kind:     global_buffer
      - .offset:         72
        .size:           4
        .value_kind:     by_value
      - .offset:         76
        .size:           4
        .value_kind:     by_value
      - .offset:         80
        .size:           4
        .value_kind:     by_value
      - .actual_access:  write_only
        .address_space:  global
        .offset:         88
        .size:           8
        .value_kind:     global_buffer
      - .actual_access:  write_only
        .address_space:  global
        .offset:         96
        .size:           8
        .value_kind:     global_buffer
      - .actual_access:  write_only
        .address_space:  global
        .offset:         104
        .size:           8
        .value_kind:     global_buffer
      - .actual_access:  read_only
        .address_space:  global
        .offset:         112
        .size:           8
        .value_kind:     global_buffer
      - .offset:         120
        .size:           4
        .value_kind:     by_value
      - .address_space:  global
        .offset:         128
        .size:           8
        .value_kind:     global_buffer
      - .address_space:  global
        .offset:         136
        .size:           8
        .value_kind:     global_buffer
      - .offset:         144
        .size:           4
        .value_kind:     hidden_block_count_x
      - .offset:         148
        .size:           4
        .value_kind:     hidden_block_count_y
      - .offset:         152
        .size:           4
        .value_kind:     hidden_block_count_z
      - .offset:         156
        .size:           2
        .value_kind:     hidden_group_size_x
      - .offset:         158
        .size:           2
        .value_kind:     hidden_group_size_y
      - .offset:         160
        .size:           2
        .value_kind:     hidden_group_size_z
      - .offset:         162
        .size:           2
        .value_kind:     hidden_remainder_x
      - .offset:         164
        .size:           2
        .value_kind:     hidden_remainder_y
      - .offset:         166
        .size:           2
        .value_kind:     hidden_remainder_z
      - .offset:         184
        .size:           8
        .value_kind:     hidden_global_offset_x
      - .offset:         192
        .size:           8
        .value_kind:     hidden_global_offset_y
      - .offset:         200
        .size:           8
        .value_kind:     hidden_global_offset_z
      - .offset:         208
        .size:           2
        .value_kind:     hidden_grid_dims
    .group_segment_fixed_size: 17472
    .kernarg_segment_align: 8
    .kernarg_segment_size: 400
    .language:       OpenCL C
    .language_version:
      - 2
      - 0
    .max_flat_workgroup_size: 256
    .name:           _Z39paged_attention_ll4mi_QKV_mfma16_kernelI14__hip_bfloat16S0_LN4vllm18Fp8KVCacheDataTypeE0ES0_Li16ELi64ELi256ELb0ELi15EL8MFMAType0EEvPKT_PKT0_S9_ifPKiSB_SB_iPKfiiiPfSE_PS4_PT2_iSD_SD_
    .private_segment_fixed_size: 0
    .sgpr_count:     54
    .sgpr_spill_count: 0
    .symbol:         _Z39paged_attention_ll4mi_QKV_mfma16_kernelI14__hip_bfloat16S0_LN4vllm18Fp8KVCacheDataTypeE0ES0_Li16ELi64ELi256ELb0ELi15EL8MFMAType0EEvPKT_PKT0_S9_ifPKiSB_SB_iPKfiiiPfSE_PS4_PT2_iSD_SD_.kd
    .uniform_work_group_size: 1
    .uses_dynamic_stack: false
    .vgpr_count:     198
    .vgpr_spill_count: 0
    .wavefront_size: 32
    .workgroup_processor_mode: 1
  - .args:
      - .actual_access:  read_only
        .address_space:  global
        .offset:         0
        .size:           8
        .value_kind:     global_buffer
      - .actual_access:  read_only
        .address_space:  global
        .offset:         8
        .size:           8
        .value_kind:     global_buffer
      - .actual_access:  read_only
        .address_space:  global
        .offset:         16
        .size:           8
        .value_kind:     global_buffer
      - .offset:         24
        .size:           4
        .value_kind:     by_value
      - .offset:         28
        .size:           4
        .value_kind:     by_value
      - .actual_access:  read_only
        .address_space:  global
        .offset:         32
        .size:           8
        .value_kind:     global_buffer
      - .actual_access:  read_only
        .address_space:  global
        .offset:         40
        .size:           8
        .value_kind:     global_buffer
      - .actual_access:  read_only
        .address_space:  global
        .offset:         48
        .size:           8
        .value_kind:     global_buffer
      - .offset:         56
        .size:           4
        .value_kind:     by_value
      - .actual_access:  read_only
        .address_space:  global
        .offset:         64
        .size:           8
        .value_kind:     global_buffer
      - .offset:         72
        .size:           4
        .value_kind:     by_value
      - .offset:         76
        .size:           4
        .value_kind:     by_value
      - .offset:         80
        .size:           4
        .value_kind:     by_value
      - .actual_access:  write_only
        .address_space:  global
        .offset:         88
        .size:           8
        .value_kind:     global_buffer
      - .actual_access:  write_only
        .address_space:  global
        .offset:         96
        .size:           8
        .value_kind:     global_buffer
      - .actual_access:  write_only
        .address_space:  global
        .offset:         104
        .size:           8
        .value_kind:     global_buffer
      - .actual_access:  read_only
        .address_space:  global
        .offset:         112
        .size:           8
        .value_kind:     global_buffer
      - .offset:         120
        .size:           4
        .value_kind:     by_value
      - .address_space:  global
        .offset:         128
        .size:           8
        .value_kind:     global_buffer
      - .address_space:  global
        .offset:         136
        .size:           8
        .value_kind:     global_buffer
      - .offset:         144
        .size:           4
        .value_kind:     hidden_block_count_x
      - .offset:         148
        .size:           4
        .value_kind:     hidden_block_count_y
      - .offset:         152
        .size:           4
        .value_kind:     hidden_block_count_z
      - .offset:         156
        .size:           2
        .value_kind:     hidden_group_size_x
      - .offset:         158
        .size:           2
        .value_kind:     hidden_group_size_y
      - .offset:         160
        .size:           2
        .value_kind:     hidden_group_size_z
      - .offset:         162
        .size:           2
        .value_kind:     hidden_remainder_x
      - .offset:         164
        .size:           2
        .value_kind:     hidden_remainder_y
      - .offset:         166
        .size:           2
        .value_kind:     hidden_remainder_z
      - .offset:         184
        .size:           8
        .value_kind:     hidden_global_offset_x
      - .offset:         192
        .size:           8
        .value_kind:     hidden_global_offset_y
      - .offset:         200
        .size:           8
        .value_kind:     hidden_global_offset_z
      - .offset:         208
        .size:           2
        .value_kind:     hidden_grid_dims
    .group_segment_fixed_size: 17472
    .kernarg_segment_align: 8
    .kernarg_segment_size: 400
    .language:       OpenCL C
    .language_version:
      - 2
      - 0
    .max_flat_workgroup_size: 256
    .name:           _Z39paged_attention_ll4mi_QKV_mfma16_kernelI14__hip_bfloat16S0_LN4vllm18Fp8KVCacheDataTypeE0ES0_Li16ELi64ELi256ELb0ELi16EL8MFMAType0EEvPKT_PKT0_S9_ifPKiSB_SB_iPKfiiiPfSE_PS4_PT2_iSD_SD_
    .private_segment_fixed_size: 0
    .sgpr_count:     54
    .sgpr_spill_count: 0
    .symbol:         _Z39paged_attention_ll4mi_QKV_mfma16_kernelI14__hip_bfloat16S0_LN4vllm18Fp8KVCacheDataTypeE0ES0_Li16ELi64ELi256ELb0ELi16EL8MFMAType0EEvPKT_PKT0_S9_ifPKiSB_SB_iPKfiiiPfSE_PS4_PT2_iSD_SD_.kd
    .uniform_work_group_size: 1
    .uses_dynamic_stack: false
    .vgpr_count:     198
    .vgpr_spill_count: 0
    .wavefront_size: 32
    .workgroup_processor_mode: 1
  - .args:
      - .actual_access:  read_only
        .address_space:  global
        .offset:         0
        .size:           8
        .value_kind:     global_buffer
      - .actual_access:  read_only
        .address_space:  global
        .offset:         8
        .size:           8
        .value_kind:     global_buffer
      - .actual_access:  read_only
        .address_space:  global
        .offset:         16
        .size:           8
        .value_kind:     global_buffer
      - .offset:         24
        .size:           4
        .value_kind:     by_value
      - .offset:         28
        .size:           4
        .value_kind:     by_value
      - .actual_access:  read_only
        .address_space:  global
        .offset:         32
        .size:           8
        .value_kind:     global_buffer
      - .actual_access:  read_only
        .address_space:  global
        .offset:         40
        .size:           8
        .value_kind:     global_buffer
      - .actual_access:  read_only
        .address_space:  global
        .offset:         48
        .size:           8
        .value_kind:     global_buffer
      - .offset:         56
        .size:           4
        .value_kind:     by_value
      - .actual_access:  read_only
        .address_space:  global
        .offset:         64
        .size:           8
        .value_kind:     global_buffer
      - .offset:         72
        .size:           4
        .value_kind:     by_value
      - .offset:         76
        .size:           4
        .value_kind:     by_value
      - .offset:         80
        .size:           4
        .value_kind:     by_value
      - .actual_access:  write_only
        .address_space:  global
        .offset:         88
        .size:           8
        .value_kind:     global_buffer
      - .actual_access:  write_only
        .address_space:  global
        .offset:         96
        .size:           8
        .value_kind:     global_buffer
      - .actual_access:  write_only
        .address_space:  global
        .offset:         104
        .size:           8
        .value_kind:     global_buffer
      - .actual_access:  read_only
        .address_space:  global
        .offset:         112
        .size:           8
        .value_kind:     global_buffer
      - .offset:         120
        .size:           4
        .value_kind:     by_value
      - .address_space:  global
        .offset:         128
        .size:           8
        .value_kind:     global_buffer
      - .address_space:  global
        .offset:         136
        .size:           8
        .value_kind:     global_buffer
      - .offset:         144
        .size:           4
        .value_kind:     hidden_block_count_x
      - .offset:         148
        .size:           4
        .value_kind:     hidden_block_count_y
      - .offset:         152
        .size:           4
        .value_kind:     hidden_block_count_z
      - .offset:         156
        .size:           2
        .value_kind:     hidden_group_size_x
      - .offset:         158
        .size:           2
        .value_kind:     hidden_group_size_y
      - .offset:         160
        .size:           2
        .value_kind:     hidden_group_size_z
      - .offset:         162
        .size:           2
        .value_kind:     hidden_remainder_x
      - .offset:         164
        .size:           2
        .value_kind:     hidden_remainder_y
      - .offset:         166
        .size:           2
        .value_kind:     hidden_remainder_z
      - .offset:         184
        .size:           8
        .value_kind:     hidden_global_offset_x
      - .offset:         192
        .size:           8
        .value_kind:     hidden_global_offset_y
      - .offset:         200
        .size:           8
        .value_kind:     hidden_global_offset_z
      - .offset:         208
        .size:           2
        .value_kind:     hidden_grid_dims
    .group_segment_fixed_size: 17472
    .kernarg_segment_align: 8
    .kernarg_segment_size: 400
    .language:       OpenCL C
    .language_version:
      - 2
      - 0
    .max_flat_workgroup_size: 256
    .name:           _Z39paged_attention_ll4mi_QKV_mfma16_kernelI14__hip_bfloat16S0_LN4vllm18Fp8KVCacheDataTypeE0ES0_Li16ELi64ELi256ELb0ELi1EL8MFMAType0EEvPKT_PKT0_S9_ifPKiSB_SB_iPKfiiiPfSE_PS4_PT2_iSD_SD_
    .private_segment_fixed_size: 0
    .sgpr_count:     69
    .sgpr_spill_count: 0
    .symbol:         _Z39paged_attention_ll4mi_QKV_mfma16_kernelI14__hip_bfloat16S0_LN4vllm18Fp8KVCacheDataTypeE0ES0_Li16ELi64ELi256ELb0ELi1EL8MFMAType0EEvPKT_PKT0_S9_ifPKiSB_SB_iPKfiiiPfSE_PS4_PT2_iSD_SD_.kd
    .uniform_work_group_size: 1
    .uses_dynamic_stack: false
    .vgpr_count:     193
    .vgpr_spill_count: 0
    .wavefront_size: 32
    .workgroup_processor_mode: 1
  - .args:
      - .actual_access:  read_only
        .address_space:  global
        .offset:         0
        .size:           8
        .value_kind:     global_buffer
      - .actual_access:  read_only
        .address_space:  global
        .offset:         8
        .size:           8
        .value_kind:     global_buffer
      - .actual_access:  read_only
        .address_space:  global
        .offset:         16
        .size:           8
        .value_kind:     global_buffer
      - .offset:         24
        .size:           4
        .value_kind:     by_value
      - .offset:         28
        .size:           4
        .value_kind:     by_value
      - .actual_access:  read_only
        .address_space:  global
        .offset:         32
        .size:           8
        .value_kind:     global_buffer
      - .actual_access:  read_only
        .address_space:  global
        .offset:         40
        .size:           8
        .value_kind:     global_buffer
      - .actual_access:  read_only
        .address_space:  global
        .offset:         48
        .size:           8
        .value_kind:     global_buffer
      - .offset:         56
        .size:           4
        .value_kind:     by_value
      - .actual_access:  read_only
        .address_space:  global
        .offset:         64
        .size:           8
        .value_kind:     global_buffer
      - .offset:         72
        .size:           4
        .value_kind:     by_value
      - .offset:         76
        .size:           4
        .value_kind:     by_value
      - .offset:         80
        .size:           4
        .value_kind:     by_value
      - .actual_access:  write_only
        .address_space:  global
        .offset:         88
        .size:           8
        .value_kind:     global_buffer
      - .actual_access:  write_only
        .address_space:  global
        .offset:         96
        .size:           8
        .value_kind:     global_buffer
      - .actual_access:  write_only
        .address_space:  global
        .offset:         104
        .size:           8
        .value_kind:     global_buffer
      - .actual_access:  read_only
        .address_space:  global
        .offset:         112
        .size:           8
        .value_kind:     global_buffer
      - .offset:         120
        .size:           4
        .value_kind:     by_value
      - .address_space:  global
        .offset:         128
        .size:           8
        .value_kind:     global_buffer
      - .address_space:  global
        .offset:         136
        .size:           8
        .value_kind:     global_buffer
      - .offset:         144
        .size:           4
        .value_kind:     hidden_block_count_x
      - .offset:         148
        .size:           4
        .value_kind:     hidden_block_count_y
      - .offset:         152
        .size:           4
        .value_kind:     hidden_block_count_z
      - .offset:         156
        .size:           2
        .value_kind:     hidden_group_size_x
      - .offset:         158
        .size:           2
        .value_kind:     hidden_group_size_y
      - .offset:         160
        .size:           2
        .value_kind:     hidden_group_size_z
      - .offset:         162
        .size:           2
        .value_kind:     hidden_remainder_x
      - .offset:         164
        .size:           2
        .value_kind:     hidden_remainder_y
      - .offset:         166
        .size:           2
        .value_kind:     hidden_remainder_z
      - .offset:         184
        .size:           8
        .value_kind:     hidden_global_offset_x
      - .offset:         192
        .size:           8
        .value_kind:     hidden_global_offset_y
      - .offset:         200
        .size:           8
        .value_kind:     hidden_global_offset_z
      - .offset:         208
        .size:           2
        .value_kind:     hidden_grid_dims
    .group_segment_fixed_size: 17472
    .kernarg_segment_align: 8
    .kernarg_segment_size: 400
    .language:       OpenCL C
    .language_version:
      - 2
      - 0
    .max_flat_workgroup_size: 256
    .name:           _Z39paged_attention_ll4mi_QKV_mfma16_kernelI14__hip_bfloat16S0_LN4vllm18Fp8KVCacheDataTypeE0ES0_Li16ELi64ELi256ELb0ELi2EL8MFMAType0EEvPKT_PKT0_S9_ifPKiSB_SB_iPKfiiiPfSE_PS4_PT2_iSD_SD_
    .private_segment_fixed_size: 0
    .sgpr_count:     54
    .sgpr_spill_count: 0
    .symbol:         _Z39paged_attention_ll4mi_QKV_mfma16_kernelI14__hip_bfloat16S0_LN4vllm18Fp8KVCacheDataTypeE0ES0_Li16ELi64ELi256ELb0ELi2EL8MFMAType0EEvPKT_PKT0_S9_ifPKiSB_SB_iPKfiiiPfSE_PS4_PT2_iSD_SD_.kd
    .uniform_work_group_size: 1
    .uses_dynamic_stack: false
    .vgpr_count:     202
    .vgpr_spill_count: 0
    .wavefront_size: 32
    .workgroup_processor_mode: 1
  - .args:
      - .actual_access:  read_only
        .address_space:  global
        .offset:         0
        .size:           8
        .value_kind:     global_buffer
      - .actual_access:  read_only
        .address_space:  global
        .offset:         8
        .size:           8
        .value_kind:     global_buffer
      - .actual_access:  read_only
        .address_space:  global
        .offset:         16
        .size:           8
        .value_kind:     global_buffer
      - .offset:         24
        .size:           4
        .value_kind:     by_value
      - .offset:         28
        .size:           4
        .value_kind:     by_value
      - .actual_access:  read_only
        .address_space:  global
        .offset:         32
        .size:           8
        .value_kind:     global_buffer
      - .actual_access:  read_only
        .address_space:  global
        .offset:         40
        .size:           8
        .value_kind:     global_buffer
      - .actual_access:  read_only
        .address_space:  global
        .offset:         48
        .size:           8
        .value_kind:     global_buffer
      - .offset:         56
        .size:           4
        .value_kind:     by_value
      - .actual_access:  read_only
        .address_space:  global
        .offset:         64
        .size:           8
        .value_kind:     global_buffer
      - .offset:         72
        .size:           4
        .value_kind:     by_value
      - .offset:         76
        .size:           4
        .value_kind:     by_value
      - .offset:         80
        .size:           4
        .value_kind:     by_value
      - .actual_access:  write_only
        .address_space:  global
        .offset:         88
        .size:           8
        .value_kind:     global_buffer
      - .actual_access:  write_only
        .address_space:  global
        .offset:         96
        .size:           8
        .value_kind:     global_buffer
      - .actual_access:  write_only
        .address_space:  global
        .offset:         104
        .size:           8
        .value_kind:     global_buffer
      - .actual_access:  read_only
        .address_space:  global
        .offset:         112
        .size:           8
        .value_kind:     global_buffer
      - .offset:         120
        .size:           4
        .value_kind:     by_value
      - .address_space:  global
        .offset:         128
        .size:           8
        .value_kind:     global_buffer
      - .address_space:  global
        .offset:         136
        .size:           8
        .value_kind:     global_buffer
      - .offset:         144
        .size:           4
        .value_kind:     hidden_block_count_x
      - .offset:         148
        .size:           4
        .value_kind:     hidden_block_count_y
      - .offset:         152
        .size:           4
        .value_kind:     hidden_block_count_z
      - .offset:         156
        .size:           2
        .value_kind:     hidden_group_size_x
      - .offset:         158
        .size:           2
        .value_kind:     hidden_group_size_y
      - .offset:         160
        .size:           2
        .value_kind:     hidden_group_size_z
      - .offset:         162
        .size:           2
        .value_kind:     hidden_remainder_x
      - .offset:         164
        .size:           2
        .value_kind:     hidden_remainder_y
      - .offset:         166
        .size:           2
        .value_kind:     hidden_remainder_z
      - .offset:         184
        .size:           8
        .value_kind:     hidden_global_offset_x
      - .offset:         192
        .size:           8
        .value_kind:     hidden_global_offset_y
      - .offset:         200
        .size:           8
        .value_kind:     hidden_global_offset_z
      - .offset:         208
        .size:           2
        .value_kind:     hidden_grid_dims
    .group_segment_fixed_size: 17472
    .kernarg_segment_align: 8
    .kernarg_segment_size: 400
    .language:       OpenCL C
    .language_version:
      - 2
      - 0
    .max_flat_workgroup_size: 256
    .name:           _Z39paged_attention_ll4mi_QKV_mfma16_kernelI14__hip_bfloat16S0_LN4vllm18Fp8KVCacheDataTypeE0ES0_Li16ELi64ELi256ELb0ELi3EL8MFMAType0EEvPKT_PKT0_S9_ifPKiSB_SB_iPKfiiiPfSE_PS4_PT2_iSD_SD_
    .private_segment_fixed_size: 0
    .sgpr_count:     54
    .sgpr_spill_count: 0
    .symbol:         _Z39paged_attention_ll4mi_QKV_mfma16_kernelI14__hip_bfloat16S0_LN4vllm18Fp8KVCacheDataTypeE0ES0_Li16ELi64ELi256ELb0ELi3EL8MFMAType0EEvPKT_PKT0_S9_ifPKiSB_SB_iPKfiiiPfSE_PS4_PT2_iSD_SD_.kd
    .uniform_work_group_size: 1
    .uses_dynamic_stack: false
    .vgpr_count:     198
    .vgpr_spill_count: 0
    .wavefront_size: 32
    .workgroup_processor_mode: 1
  - .args:
      - .actual_access:  read_only
        .address_space:  global
        .offset:         0
        .size:           8
        .value_kind:     global_buffer
      - .actual_access:  read_only
        .address_space:  global
        .offset:         8
        .size:           8
        .value_kind:     global_buffer
      - .actual_access:  read_only
        .address_space:  global
        .offset:         16
        .size:           8
        .value_kind:     global_buffer
      - .offset:         24
        .size:           4
        .value_kind:     by_value
      - .offset:         28
        .size:           4
        .value_kind:     by_value
      - .actual_access:  read_only
        .address_space:  global
        .offset:         32
        .size:           8
        .value_kind:     global_buffer
      - .actual_access:  read_only
        .address_space:  global
        .offset:         40
        .size:           8
        .value_kind:     global_buffer
      - .actual_access:  read_only
        .address_space:  global
        .offset:         48
        .size:           8
        .value_kind:     global_buffer
      - .offset:         56
        .size:           4
        .value_kind:     by_value
      - .actual_access:  read_only
        .address_space:  global
        .offset:         64
        .size:           8
        .value_kind:     global_buffer
      - .offset:         72
        .size:           4
        .value_kind:     by_value
      - .offset:         76
        .size:           4
        .value_kind:     by_value
      - .offset:         80
        .size:           4
        .value_kind:     by_value
      - .actual_access:  write_only
        .address_space:  global
        .offset:         88
        .size:           8
        .value_kind:     global_buffer
      - .actual_access:  write_only
        .address_space:  global
        .offset:         96
        .size:           8
        .value_kind:     global_buffer
      - .actual_access:  write_only
        .address_space:  global
        .offset:         104
        .size:           8
        .value_kind:     global_buffer
      - .actual_access:  read_only
        .address_space:  global
        .offset:         112
        .size:           8
        .value_kind:     global_buffer
      - .offset:         120
        .size:           4
        .value_kind:     by_value
      - .address_space:  global
        .offset:         128
        .size:           8
        .value_kind:     global_buffer
      - .address_space:  global
        .offset:         136
        .size:           8
        .value_kind:     global_buffer
      - .offset:         144
        .size:           4
        .value_kind:     hidden_block_count_x
      - .offset:         148
        .size:           4
        .value_kind:     hidden_block_count_y
      - .offset:         152
        .size:           4
        .value_kind:     hidden_block_count_z
      - .offset:         156
        .size:           2
        .value_kind:     hidden_group_size_x
      - .offset:         158
        .size:           2
        .value_kind:     hidden_group_size_y
      - .offset:         160
        .size:           2
        .value_kind:     hidden_group_size_z
      - .offset:         162
        .size:           2
        .value_kind:     hidden_remainder_x
      - .offset:         164
        .size:           2
        .value_kind:     hidden_remainder_y
      - .offset:         166
        .size:           2
        .value_kind:     hidden_remainder_z
      - .offset:         184
        .size:           8
        .value_kind:     hidden_global_offset_x
      - .offset:         192
        .size:           8
        .value_kind:     hidden_global_offset_y
      - .offset:         200
        .size:           8
        .value_kind:     hidden_global_offset_z
      - .offset:         208
        .size:           2
        .value_kind:     hidden_grid_dims
    .group_segment_fixed_size: 17472
    .kernarg_segment_align: 8
    .kernarg_segment_size: 400
    .language:       OpenCL C
    .language_version:
      - 2
      - 0
    .max_flat_workgroup_size: 256
    .name:           _Z39paged_attention_ll4mi_QKV_mfma16_kernelI14__hip_bfloat16S0_LN4vllm18Fp8KVCacheDataTypeE0ES0_Li16ELi64ELi256ELb0ELi4EL8MFMAType0EEvPKT_PKT0_S9_ifPKiSB_SB_iPKfiiiPfSE_PS4_PT2_iSD_SD_
    .private_segment_fixed_size: 0
    .sgpr_count:     54
    .sgpr_spill_count: 0
    .symbol:         _Z39paged_attention_ll4mi_QKV_mfma16_kernelI14__hip_bfloat16S0_LN4vllm18Fp8KVCacheDataTypeE0ES0_Li16ELi64ELi256ELb0ELi4EL8MFMAType0EEvPKT_PKT0_S9_ifPKiSB_SB_iPKfiiiPfSE_PS4_PT2_iSD_SD_.kd
    .uniform_work_group_size: 1
    .uses_dynamic_stack: false
    .vgpr_count:     198
    .vgpr_spill_count: 0
    .wavefront_size: 32
    .workgroup_processor_mode: 1
  - .args:
      - .actual_access:  read_only
        .address_space:  global
        .offset:         0
        .size:           8
        .value_kind:     global_buffer
      - .actual_access:  read_only
        .address_space:  global
        .offset:         8
        .size:           8
        .value_kind:     global_buffer
      - .actual_access:  read_only
        .address_space:  global
        .offset:         16
        .size:           8
        .value_kind:     global_buffer
      - .offset:         24
        .size:           4
        .value_kind:     by_value
      - .offset:         28
        .size:           4
        .value_kind:     by_value
      - .actual_access:  read_only
        .address_space:  global
        .offset:         32
        .size:           8
        .value_kind:     global_buffer
      - .actual_access:  read_only
        .address_space:  global
        .offset:         40
        .size:           8
        .value_kind:     global_buffer
      - .actual_access:  read_only
        .address_space:  global
        .offset:         48
        .size:           8
        .value_kind:     global_buffer
      - .offset:         56
        .size:           4
        .value_kind:     by_value
      - .actual_access:  read_only
        .address_space:  global
        .offset:         64
        .size:           8
        .value_kind:     global_buffer
      - .offset:         72
        .size:           4
        .value_kind:     by_value
      - .offset:         76
        .size:           4
        .value_kind:     by_value
      - .offset:         80
        .size:           4
        .value_kind:     by_value
      - .actual_access:  read_only
        .address_space:  global
        .offset:         88
        .size:           8
        .value_kind:     global_buffer
      - .actual_access:  read_only
        .address_space:  global
        .offset:         96
        .size:           8
        .value_kind:     global_buffer
      - .actual_access:  read_only
        .address_space:  global
        .offset:         104
        .size:           8
        .value_kind:     global_buffer
      - .actual_access:  read_only
        .address_space:  global
        .offset:         112
        .size:           8
        .value_kind:     global_buffer
      - .offset:         120
        .size:           4
        .value_kind:     by_value
      - .address_space:  global
        .offset:         128
        .size:           8
        .value_kind:     global_buffer
      - .address_space:  global
        .offset:         136
        .size:           8
        .value_kind:     global_buffer
      - .offset:         144
        .size:           4
        .value_kind:     hidden_block_count_x
      - .offset:         148
        .size:           4
        .value_kind:     hidden_block_count_y
      - .offset:         152
        .size:           4
        .value_kind:     hidden_block_count_z
      - .offset:         156
        .size:           2
        .value_kind:     hidden_group_size_x
      - .offset:         158
        .size:           2
        .value_kind:     hidden_group_size_y
      - .offset:         160
        .size:           2
        .value_kind:     hidden_group_size_z
      - .offset:         162
        .size:           2
        .value_kind:     hidden_remainder_x
      - .offset:         164
        .size:           2
        .value_kind:     hidden_remainder_y
      - .offset:         166
        .size:           2
        .value_kind:     hidden_remainder_z
      - .offset:         184
        .size:           8
        .value_kind:     hidden_global_offset_x
      - .offset:         192
        .size:           8
        .value_kind:     hidden_global_offset_y
      - .offset:         200
        .size:           8
        .value_kind:     hidden_global_offset_z
      - .offset:         208
        .size:           2
        .value_kind:     hidden_grid_dims
      - .offset:         224
        .size:           8
        .value_kind:     hidden_hostcall_buffer
    .group_segment_fixed_size: 0
    .kernarg_segment_align: 8
    .kernarg_segment_size: 400
    .language:       OpenCL C
    .language_version:
      - 2
      - 0
    .max_flat_workgroup_size: 256
    .name:           _Z38paged_attention_ll4mi_QKV_mfma4_kernelI14__hip_bfloat16S0_LN4vllm18Fp8KVCacheDataTypeE0EhLi32ELi64ELi256ELb1ELi1EEvPKT_PKT0_S8_ifPKiSA_SA_iPKfiiiPfSD_PS3_PT2_iSC_SC_
    .private_segment_fixed_size: 64
    .sgpr_count:     36
    .sgpr_spill_count: 0
    .symbol:         _Z38paged_attention_ll4mi_QKV_mfma4_kernelI14__hip_bfloat16S0_LN4vllm18Fp8KVCacheDataTypeE0EhLi32ELi64ELi256ELb1ELi1EEvPKT_PKT0_S8_ifPKiSA_SA_iPKfiiiPfSD_PS3_PT2_iSC_SC_.kd
    .uniform_work_group_size: 1
    .uses_dynamic_stack: false
    .vgpr_count:     41
    .vgpr_spill_count: 0
    .wavefront_size: 32
    .workgroup_processor_mode: 1
  - .args:
      - .actual_access:  read_only
        .address_space:  global
        .offset:         0
        .size:           8
        .value_kind:     global_buffer
      - .actual_access:  read_only
        .address_space:  global
        .offset:         8
        .size:           8
        .value_kind:     global_buffer
      - .actual_access:  read_only
        .address_space:  global
        .offset:         16
        .size:           8
        .value_kind:     global_buffer
      - .offset:         24
        .size:           4
        .value_kind:     by_value
      - .offset:         28
        .size:           4
        .value_kind:     by_value
      - .actual_access:  read_only
        .address_space:  global
        .offset:         32
        .size:           8
        .value_kind:     global_buffer
      - .actual_access:  read_only
        .address_space:  global
        .offset:         40
        .size:           8
        .value_kind:     global_buffer
      - .actual_access:  read_only
        .address_space:  global
        .offset:         48
        .size:           8
        .value_kind:     global_buffer
      - .offset:         56
        .size:           4
        .value_kind:     by_value
      - .actual_access:  read_only
        .address_space:  global
        .offset:         64
        .size:           8
        .value_kind:     global_buffer
      - .offset:         72
        .size:           4
        .value_kind:     by_value
      - .offset:         76
        .size:           4
        .value_kind:     by_value
      - .offset:         80
        .size:           4
        .value_kind:     by_value
      - .actual_access:  read_only
        .address_space:  global
        .offset:         88
        .size:           8
        .value_kind:     global_buffer
      - .actual_access:  read_only
        .address_space:  global
        .offset:         96
        .size:           8
        .value_kind:     global_buffer
      - .actual_access:  read_only
        .address_space:  global
        .offset:         104
        .size:           8
        .value_kind:     global_buffer
      - .actual_access:  read_only
        .address_space:  global
        .offset:         112
        .size:           8
        .value_kind:     global_buffer
      - .offset:         120
        .size:           4
        .value_kind:     by_value
      - .address_space:  global
        .offset:         128
        .size:           8
        .value_kind:     global_buffer
      - .address_space:  global
        .offset:         136
        .size:           8
        .value_kind:     global_buffer
      - .offset:         144
        .size:           4
        .value_kind:     hidden_block_count_x
      - .offset:         148
        .size:           4
        .value_kind:     hidden_block_count_y
      - .offset:         152
        .size:           4
        .value_kind:     hidden_block_count_z
      - .offset:         156
        .size:           2
        .value_kind:     hidden_group_size_x
      - .offset:         158
        .size:           2
        .value_kind:     hidden_group_size_y
      - .offset:         160
        .size:           2
        .value_kind:     hidden_group_size_z
      - .offset:         162
        .size:           2
        .value_kind:     hidden_remainder_x
      - .offset:         164
        .size:           2
        .value_kind:     hidden_remainder_y
      - .offset:         166
        .size:           2
        .value_kind:     hidden_remainder_z
      - .offset:         184
        .size:           8
        .value_kind:     hidden_global_offset_x
      - .offset:         192
        .size:           8
        .value_kind:     hidden_global_offset_y
      - .offset:         200
        .size:           8
        .value_kind:     hidden_global_offset_z
      - .offset:         208
        .size:           2
        .value_kind:     hidden_grid_dims
      - .offset:         224
        .size:           8
        .value_kind:     hidden_hostcall_buffer
    .group_segment_fixed_size: 0
    .kernarg_segment_align: 8
    .kernarg_segment_size: 400
    .language:       OpenCL C
    .language_version:
      - 2
      - 0
    .max_flat_workgroup_size: 256
    .name:           _Z38paged_attention_ll4mi_QKV_mfma4_kernelI14__hip_bfloat16S0_LN4vllm18Fp8KVCacheDataTypeE0EhLi32ELi64ELi256ELb1ELi2EEvPKT_PKT0_S8_ifPKiSA_SA_iPKfiiiPfSD_PS3_PT2_iSC_SC_
    .private_segment_fixed_size: 64
    .sgpr_count:     36
    .sgpr_spill_count: 0
    .symbol:         _Z38paged_attention_ll4mi_QKV_mfma4_kernelI14__hip_bfloat16S0_LN4vllm18Fp8KVCacheDataTypeE0EhLi32ELi64ELi256ELb1ELi2EEvPKT_PKT0_S8_ifPKiSA_SA_iPKfiiiPfSD_PS3_PT2_iSC_SC_.kd
    .uniform_work_group_size: 1
    .uses_dynamic_stack: false
    .vgpr_count:     41
    .vgpr_spill_count: 0
    .wavefront_size: 32
    .workgroup_processor_mode: 1
  - .args:
      - .actual_access:  read_only
        .address_space:  global
        .offset:         0
        .size:           8
        .value_kind:     global_buffer
      - .actual_access:  read_only
        .address_space:  global
        .offset:         8
        .size:           8
        .value_kind:     global_buffer
      - .actual_access:  read_only
        .address_space:  global
        .offset:         16
        .size:           8
        .value_kind:     global_buffer
      - .offset:         24
        .size:           4
        .value_kind:     by_value
      - .offset:         28
        .size:           4
        .value_kind:     by_value
      - .actual_access:  read_only
        .address_space:  global
        .offset:         32
        .size:           8
        .value_kind:     global_buffer
      - .actual_access:  read_only
        .address_space:  global
        .offset:         40
        .size:           8
        .value_kind:     global_buffer
      - .actual_access:  read_only
        .address_space:  global
        .offset:         48
        .size:           8
        .value_kind:     global_buffer
      - .offset:         56
        .size:           4
        .value_kind:     by_value
      - .actual_access:  read_only
        .address_space:  global
        .offset:         64
        .size:           8
        .value_kind:     global_buffer
      - .offset:         72
        .size:           4
        .value_kind:     by_value
      - .offset:         76
        .size:           4
        .value_kind:     by_value
      - .offset:         80
        .size:           4
        .value_kind:     by_value
      - .actual_access:  read_only
        .address_space:  global
        .offset:         88
        .size:           8
        .value_kind:     global_buffer
      - .actual_access:  read_only
        .address_space:  global
        .offset:         96
        .size:           8
        .value_kind:     global_buffer
      - .actual_access:  read_only
        .address_space:  global
        .offset:         104
        .size:           8
        .value_kind:     global_buffer
      - .actual_access:  read_only
        .address_space:  global
        .offset:         112
        .size:           8
        .value_kind:     global_buffer
      - .offset:         120
        .size:           4
        .value_kind:     by_value
      - .address_space:  global
        .offset:         128
        .size:           8
        .value_kind:     global_buffer
      - .address_space:  global
        .offset:         136
        .size:           8
        .value_kind:     global_buffer
      - .offset:         144
        .size:           4
        .value_kind:     hidden_block_count_x
      - .offset:         148
        .size:           4
        .value_kind:     hidden_block_count_y
      - .offset:         152
        .size:           4
        .value_kind:     hidden_block_count_z
      - .offset:         156
        .size:           2
        .value_kind:     hidden_group_size_x
      - .offset:         158
        .size:           2
        .value_kind:     hidden_group_size_y
      - .offset:         160
        .size:           2
        .value_kind:     hidden_group_size_z
      - .offset:         162
        .size:           2
        .value_kind:     hidden_remainder_x
      - .offset:         164
        .size:           2
        .value_kind:     hidden_remainder_y
      - .offset:         166
        .size:           2
        .value_kind:     hidden_remainder_z
      - .offset:         184
        .size:           8
        .value_kind:     hidden_global_offset_x
      - .offset:         192
        .size:           8
        .value_kind:     hidden_global_offset_y
      - .offset:         200
        .size:           8
        .value_kind:     hidden_global_offset_z
      - .offset:         208
        .size:           2
        .value_kind:     hidden_grid_dims
      - .offset:         224
        .size:           8
        .value_kind:     hidden_hostcall_buffer
    .group_segment_fixed_size: 0
    .kernarg_segment_align: 8
    .kernarg_segment_size: 400
    .language:       OpenCL C
    .language_version:
      - 2
      - 0
    .max_flat_workgroup_size: 256
    .name:           _Z38paged_attention_ll4mi_QKV_mfma4_kernelI14__hip_bfloat16S0_LN4vllm18Fp8KVCacheDataTypeE0EhLi32ELi64ELi256ELb1ELi3EEvPKT_PKT0_S8_ifPKiSA_SA_iPKfiiiPfSD_PS3_PT2_iSC_SC_
    .private_segment_fixed_size: 64
    .sgpr_count:     36
    .sgpr_spill_count: 0
    .symbol:         _Z38paged_attention_ll4mi_QKV_mfma4_kernelI14__hip_bfloat16S0_LN4vllm18Fp8KVCacheDataTypeE0EhLi32ELi64ELi256ELb1ELi3EEvPKT_PKT0_S8_ifPKiSA_SA_iPKfiiiPfSD_PS3_PT2_iSC_SC_.kd
    .uniform_work_group_size: 1
    .uses_dynamic_stack: false
    .vgpr_count:     41
    .vgpr_spill_count: 0
    .wavefront_size: 32
    .workgroup_processor_mode: 1
  - .args:
      - .actual_access:  read_only
        .address_space:  global
        .offset:         0
        .size:           8
        .value_kind:     global_buffer
      - .actual_access:  read_only
        .address_space:  global
        .offset:         8
        .size:           8
        .value_kind:     global_buffer
      - .actual_access:  read_only
        .address_space:  global
        .offset:         16
        .size:           8
        .value_kind:     global_buffer
      - .offset:         24
        .size:           4
        .value_kind:     by_value
      - .offset:         28
        .size:           4
        .value_kind:     by_value
      - .actual_access:  read_only
        .address_space:  global
        .offset:         32
        .size:           8
        .value_kind:     global_buffer
      - .actual_access:  read_only
        .address_space:  global
        .offset:         40
        .size:           8
        .value_kind:     global_buffer
      - .actual_access:  read_only
        .address_space:  global
        .offset:         48
        .size:           8
        .value_kind:     global_buffer
      - .offset:         56
        .size:           4
        .value_kind:     by_value
      - .actual_access:  read_only
        .address_space:  global
        .offset:         64
        .size:           8
        .value_kind:     global_buffer
      - .offset:         72
        .size:           4
        .value_kind:     by_value
      - .offset:         76
        .size:           4
        .value_kind:     by_value
      - .offset:         80
        .size:           4
        .value_kind:     by_value
      - .actual_access:  read_only
        .address_space:  global
        .offset:         88
        .size:           8
        .value_kind:     global_buffer
      - .actual_access:  read_only
        .address_space:  global
        .offset:         96
        .size:           8
        .value_kind:     global_buffer
      - .actual_access:  read_only
        .address_space:  global
        .offset:         104
        .size:           8
        .value_kind:     global_buffer
      - .actual_access:  read_only
        .address_space:  global
        .offset:         112
        .size:           8
        .value_kind:     global_buffer
      - .offset:         120
        .size:           4
        .value_kind:     by_value
      - .address_space:  global
        .offset:         128
        .size:           8
        .value_kind:     global_buffer
      - .address_space:  global
        .offset:         136
        .size:           8
        .value_kind:     global_buffer
      - .offset:         144
        .size:           4
        .value_kind:     hidden_block_count_x
      - .offset:         148
        .size:           4
        .value_kind:     hidden_block_count_y
      - .offset:         152
        .size:           4
        .value_kind:     hidden_block_count_z
      - .offset:         156
        .size:           2
        .value_kind:     hidden_group_size_x
      - .offset:         158
        .size:           2
        .value_kind:     hidden_group_size_y
      - .offset:         160
        .size:           2
        .value_kind:     hidden_group_size_z
      - .offset:         162
        .size:           2
        .value_kind:     hidden_remainder_x
      - .offset:         164
        .size:           2
        .value_kind:     hidden_remainder_y
      - .offset:         166
        .size:           2
        .value_kind:     hidden_remainder_z
      - .offset:         184
        .size:           8
        .value_kind:     hidden_global_offset_x
      - .offset:         192
        .size:           8
        .value_kind:     hidden_global_offset_y
      - .offset:         200
        .size:           8
        .value_kind:     hidden_global_offset_z
      - .offset:         208
        .size:           2
        .value_kind:     hidden_grid_dims
      - .offset:         224
        .size:           8
        .value_kind:     hidden_hostcall_buffer
    .group_segment_fixed_size: 0
    .kernarg_segment_align: 8
    .kernarg_segment_size: 400
    .language:       OpenCL C
    .language_version:
      - 2
      - 0
    .max_flat_workgroup_size: 256
    .name:           _Z38paged_attention_ll4mi_QKV_mfma4_kernelI14__hip_bfloat16S0_LN4vllm18Fp8KVCacheDataTypeE0EhLi32ELi64ELi256ELb1ELi4EEvPKT_PKT0_S8_ifPKiSA_SA_iPKfiiiPfSD_PS3_PT2_iSC_SC_
    .private_segment_fixed_size: 64
    .sgpr_count:     36
    .sgpr_spill_count: 0
    .symbol:         _Z38paged_attention_ll4mi_QKV_mfma4_kernelI14__hip_bfloat16S0_LN4vllm18Fp8KVCacheDataTypeE0EhLi32ELi64ELi256ELb1ELi4EEvPKT_PKT0_S8_ifPKiSA_SA_iPKfiiiPfSD_PS3_PT2_iSC_SC_.kd
    .uniform_work_group_size: 1
    .uses_dynamic_stack: false
    .vgpr_count:     41
    .vgpr_spill_count: 0
    .wavefront_size: 32
    .workgroup_processor_mode: 1
  - .args:
      - .actual_access:  read_only
        .address_space:  global
        .offset:         0
        .size:           8
        .value_kind:     global_buffer
      - .actual_access:  read_only
        .address_space:  global
        .offset:         8
        .size:           8
        .value_kind:     global_buffer
      - .actual_access:  read_only
        .address_space:  global
        .offset:         16
        .size:           8
        .value_kind:     global_buffer
      - .offset:         24
        .size:           4
        .value_kind:     by_value
      - .offset:         28
        .size:           4
        .value_kind:     by_value
      - .actual_access:  read_only
        .address_space:  global
        .offset:         32
        .size:           8
        .value_kind:     global_buffer
      - .actual_access:  read_only
        .address_space:  global
        .offset:         40
        .size:           8
        .value_kind:     global_buffer
      - .actual_access:  read_only
        .address_space:  global
        .offset:         48
        .size:           8
        .value_kind:     global_buffer
      - .offset:         56
        .size:           4
        .value_kind:     by_value
      - .actual_access:  read_only
        .address_space:  global
        .offset:         64
        .size:           8
        .value_kind:     global_buffer
      - .offset:         72
        .size:           4
        .value_kind:     by_value
      - .offset:         76
        .size:           4
        .value_kind:     by_value
      - .offset:         80
        .size:           4
        .value_kind:     by_value
      - .actual_access:  write_only
        .address_space:  global
        .offset:         88
        .size:           8
        .value_kind:     global_buffer
      - .actual_access:  write_only
        .address_space:  global
        .offset:         96
        .size:           8
        .value_kind:     global_buffer
      - .actual_access:  write_only
        .address_space:  global
        .offset:         104
        .size:           8
        .value_kind:     global_buffer
      - .actual_access:  read_only
        .address_space:  global
        .offset:         112
        .size:           8
        .value_kind:     global_buffer
      - .offset:         120
        .size:           4
        .value_kind:     by_value
      - .address_space:  global
        .offset:         128
        .size:           8
        .value_kind:     global_buffer
      - .address_space:  global
        .offset:         136
        .size:           8
        .value_kind:     global_buffer
      - .offset:         144
        .size:           4
        .value_kind:     hidden_block_count_x
      - .offset:         148
        .size:           4
        .value_kind:     hidden_block_count_y
      - .offset:         152
        .size:           4
        .value_kind:     hidden_block_count_z
      - .offset:         156
        .size:           2
        .value_kind:     hidden_group_size_x
      - .offset:         158
        .size:           2
        .value_kind:     hidden_group_size_y
      - .offset:         160
        .size:           2
        .value_kind:     hidden_group_size_z
      - .offset:         162
        .size:           2
        .value_kind:     hidden_remainder_x
      - .offset:         164
        .size:           2
        .value_kind:     hidden_remainder_y
      - .offset:         166
        .size:           2
        .value_kind:     hidden_remainder_z
      - .offset:         184
        .size:           8
        .value_kind:     hidden_global_offset_x
      - .offset:         192
        .size:           8
        .value_kind:     hidden_global_offset_y
      - .offset:         200
        .size:           8
        .value_kind:     hidden_global_offset_z
      - .offset:         208
        .size:           2
        .value_kind:     hidden_grid_dims
    .group_segment_fixed_size: 17472
    .kernarg_segment_align: 8
    .kernarg_segment_size: 400
    .language:       OpenCL C
    .language_version:
      - 2
      - 0
    .max_flat_workgroup_size: 256
    .name:           _Z39paged_attention_ll4mi_QKV_mfma16_kernelI14__hip_bfloat16S0_LN4vllm18Fp8KVCacheDataTypeE0EhLi32ELi64ELi256ELb1ELi5EL8MFMAType0EEvPKT_PKT0_S9_ifPKiSB_SB_iPKfiiiPfSE_PS4_PT2_iSD_SD_
    .private_segment_fixed_size: 0
    .sgpr_count:     41
    .sgpr_spill_count: 0
    .symbol:         _Z39paged_attention_ll4mi_QKV_mfma16_kernelI14__hip_bfloat16S0_LN4vllm18Fp8KVCacheDataTypeE0EhLi32ELi64ELi256ELb1ELi5EL8MFMAType0EEvPKT_PKT0_S9_ifPKiSB_SB_iPKfiiiPfSE_PS4_PT2_iSD_SD_.kd
    .uniform_work_group_size: 1
    .uses_dynamic_stack: false
    .vgpr_count:     142
    .vgpr_spill_count: 0
    .wavefront_size: 32
    .workgroup_processor_mode: 1
  - .args:
      - .actual_access:  read_only
        .address_space:  global
        .offset:         0
        .size:           8
        .value_kind:     global_buffer
      - .actual_access:  read_only
        .address_space:  global
        .offset:         8
        .size:           8
        .value_kind:     global_buffer
      - .actual_access:  read_only
        .address_space:  global
        .offset:         16
        .size:           8
        .value_kind:     global_buffer
      - .offset:         24
        .size:           4
        .value_kind:     by_value
      - .offset:         28
        .size:           4
        .value_kind:     by_value
      - .actual_access:  read_only
        .address_space:  global
        .offset:         32
        .size:           8
        .value_kind:     global_buffer
      - .actual_access:  read_only
        .address_space:  global
        .offset:         40
        .size:           8
        .value_kind:     global_buffer
      - .actual_access:  read_only
        .address_space:  global
        .offset:         48
        .size:           8
        .value_kind:     global_buffer
      - .offset:         56
        .size:           4
        .value_kind:     by_value
      - .actual_access:  read_only
        .address_space:  global
        .offset:         64
        .size:           8
        .value_kind:     global_buffer
      - .offset:         72
        .size:           4
        .value_kind:     by_value
      - .offset:         76
        .size:           4
        .value_kind:     by_value
      - .offset:         80
        .size:           4
        .value_kind:     by_value
      - .actual_access:  write_only
        .address_space:  global
        .offset:         88
        .size:           8
        .value_kind:     global_buffer
      - .actual_access:  write_only
        .address_space:  global
        .offset:         96
        .size:           8
        .value_kind:     global_buffer
      - .actual_access:  write_only
        .address_space:  global
        .offset:         104
        .size:           8
        .value_kind:     global_buffer
      - .actual_access:  read_only
        .address_space:  global
        .offset:         112
        .size:           8
        .value_kind:     global_buffer
      - .offset:         120
        .size:           4
        .value_kind:     by_value
      - .address_space:  global
        .offset:         128
        .size:           8
        .value_kind:     global_buffer
      - .address_space:  global
        .offset:         136
        .size:           8
        .value_kind:     global_buffer
      - .offset:         144
        .size:           4
        .value_kind:     hidden_block_count_x
      - .offset:         148
        .size:           4
        .value_kind:     hidden_block_count_y
      - .offset:         152
        .size:           4
        .value_kind:     hidden_block_count_z
      - .offset:         156
        .size:           2
        .value_kind:     hidden_group_size_x
      - .offset:         158
        .size:           2
        .value_kind:     hidden_group_size_y
      - .offset:         160
        .size:           2
        .value_kind:     hidden_group_size_z
      - .offset:         162
        .size:           2
        .value_kind:     hidden_remainder_x
      - .offset:         164
        .size:           2
        .value_kind:     hidden_remainder_y
      - .offset:         166
        .size:           2
        .value_kind:     hidden_remainder_z
      - .offset:         184
        .size:           8
        .value_kind:     hidden_global_offset_x
      - .offset:         192
        .size:           8
        .value_kind:     hidden_global_offset_y
      - .offset:         200
        .size:           8
        .value_kind:     hidden_global_offset_z
      - .offset:         208
        .size:           2
        .value_kind:     hidden_grid_dims
    .group_segment_fixed_size: 17472
    .kernarg_segment_align: 8
    .kernarg_segment_size: 400
    .language:       OpenCL C
    .language_version:
      - 2
      - 0
    .max_flat_workgroup_size: 256
    .name:           _Z39paged_attention_ll4mi_QKV_mfma16_kernelI14__hip_bfloat16S0_LN4vllm18Fp8KVCacheDataTypeE0EhLi32ELi64ELi256ELb1ELi6EL8MFMAType0EEvPKT_PKT0_S9_ifPKiSB_SB_iPKfiiiPfSE_PS4_PT2_iSD_SD_
    .private_segment_fixed_size: 0
    .sgpr_count:     40
    .sgpr_spill_count: 0
    .symbol:         _Z39paged_attention_ll4mi_QKV_mfma16_kernelI14__hip_bfloat16S0_LN4vllm18Fp8KVCacheDataTypeE0EhLi32ELi64ELi256ELb1ELi6EL8MFMAType0EEvPKT_PKT0_S9_ifPKiSB_SB_iPKfiiiPfSE_PS4_PT2_iSD_SD_.kd
    .uniform_work_group_size: 1
    .uses_dynamic_stack: false
    .vgpr_count:     142
    .vgpr_spill_count: 0
    .wavefront_size: 32
    .workgroup_processor_mode: 1
  - .args:
      - .actual_access:  read_only
        .address_space:  global
        .offset:         0
        .size:           8
        .value_kind:     global_buffer
      - .actual_access:  read_only
        .address_space:  global
        .offset:         8
        .size:           8
        .value_kind:     global_buffer
      - .actual_access:  read_only
        .address_space:  global
        .offset:         16
        .size:           8
        .value_kind:     global_buffer
      - .offset:         24
        .size:           4
        .value_kind:     by_value
      - .offset:         28
        .size:           4
        .value_kind:     by_value
      - .actual_access:  read_only
        .address_space:  global
        .offset:         32
        .size:           8
        .value_kind:     global_buffer
      - .actual_access:  read_only
        .address_space:  global
        .offset:         40
        .size:           8
        .value_kind:     global_buffer
      - .actual_access:  read_only
        .address_space:  global
        .offset:         48
        .size:           8
        .value_kind:     global_buffer
      - .offset:         56
        .size:           4
        .value_kind:     by_value
      - .actual_access:  read_only
        .address_space:  global
        .offset:         64
        .size:           8
        .value_kind:     global_buffer
      - .offset:         72
        .size:           4
        .value_kind:     by_value
      - .offset:         76
        .size:           4
        .value_kind:     by_value
      - .offset:         80
        .size:           4
        .value_kind:     by_value
      - .actual_access:  write_only
        .address_space:  global
        .offset:         88
        .size:           8
        .value_kind:     global_buffer
      - .actual_access:  write_only
        .address_space:  global
        .offset:         96
        .size:           8
        .value_kind:     global_buffer
      - .actual_access:  write_only
        .address_space:  global
        .offset:         104
        .size:           8
        .value_kind:     global_buffer
      - .actual_access:  read_only
        .address_space:  global
        .offset:         112
        .size:           8
        .value_kind:     global_buffer
      - .offset:         120
        .size:           4
        .value_kind:     by_value
      - .address_space:  global
        .offset:         128
        .size:           8
        .value_kind:     global_buffer
      - .address_space:  global
        .offset:         136
        .size:           8
        .value_kind:     global_buffer
      - .offset:         144
        .size:           4
        .value_kind:     hidden_block_count_x
      - .offset:         148
        .size:           4
        .value_kind:     hidden_block_count_y
      - .offset:         152
        .size:           4
        .value_kind:     hidden_block_count_z
      - .offset:         156
        .size:           2
        .value_kind:     hidden_group_size_x
      - .offset:         158
        .size:           2
        .value_kind:     hidden_group_size_y
      - .offset:         160
        .size:           2
        .value_kind:     hidden_group_size_z
      - .offset:         162
        .size:           2
        .value_kind:     hidden_remainder_x
      - .offset:         164
        .size:           2
        .value_kind:     hidden_remainder_y
      - .offset:         166
        .size:           2
        .value_kind:     hidden_remainder_z
      - .offset:         184
        .size:           8
        .value_kind:     hidden_global_offset_x
      - .offset:         192
        .size:           8
        .value_kind:     hidden_global_offset_y
      - .offset:         200
        .size:           8
        .value_kind:     hidden_global_offset_z
      - .offset:         208
        .size:           2
        .value_kind:     hidden_grid_dims
    .group_segment_fixed_size: 17472
    .kernarg_segment_align: 8
    .kernarg_segment_size: 400
    .language:       OpenCL C
    .language_version:
      - 2
      - 0
    .max_flat_workgroup_size: 256
    .name:           _Z39paged_attention_ll4mi_QKV_mfma16_kernelI14__hip_bfloat16S0_LN4vllm18Fp8KVCacheDataTypeE0EhLi32ELi64ELi256ELb1ELi7EL8MFMAType0EEvPKT_PKT0_S9_ifPKiSB_SB_iPKfiiiPfSE_PS4_PT2_iSD_SD_
    .private_segment_fixed_size: 0
    .sgpr_count:     41
    .sgpr_spill_count: 0
    .symbol:         _Z39paged_attention_ll4mi_QKV_mfma16_kernelI14__hip_bfloat16S0_LN4vllm18Fp8KVCacheDataTypeE0EhLi32ELi64ELi256ELb1ELi7EL8MFMAType0EEvPKT_PKT0_S9_ifPKiSB_SB_iPKfiiiPfSE_PS4_PT2_iSD_SD_.kd
    .uniform_work_group_size: 1
    .uses_dynamic_stack: false
    .vgpr_count:     142
    .vgpr_spill_count: 0
    .wavefront_size: 32
    .workgroup_processor_mode: 1
  - .args:
      - .actual_access:  read_only
        .address_space:  global
        .offset:         0
        .size:           8
        .value_kind:     global_buffer
      - .actual_access:  read_only
        .address_space:  global
        .offset:         8
        .size:           8
        .value_kind:     global_buffer
      - .actual_access:  read_only
        .address_space:  global
        .offset:         16
        .size:           8
        .value_kind:     global_buffer
      - .offset:         24
        .size:           4
        .value_kind:     by_value
      - .offset:         28
        .size:           4
        .value_kind:     by_value
      - .actual_access:  read_only
        .address_space:  global
        .offset:         32
        .size:           8
        .value_kind:     global_buffer
      - .actual_access:  read_only
        .address_space:  global
        .offset:         40
        .size:           8
        .value_kind:     global_buffer
      - .actual_access:  read_only
        .address_space:  global
        .offset:         48
        .size:           8
        .value_kind:     global_buffer
      - .offset:         56
        .size:           4
        .value_kind:     by_value
      - .actual_access:  read_only
        .address_space:  global
        .offset:         64
        .size:           8
        .value_kind:     global_buffer
      - .offset:         72
        .size:           4
        .value_kind:     by_value
      - .offset:         76
        .size:           4
        .value_kind:     by_value
      - .offset:         80
        .size:           4
        .value_kind:     by_value
      - .actual_access:  write_only
        .address_space:  global
        .offset:         88
        .size:           8
        .value_kind:     global_buffer
      - .actual_access:  write_only
        .address_space:  global
        .offset:         96
        .size:           8
        .value_kind:     global_buffer
      - .actual_access:  write_only
        .address_space:  global
        .offset:         104
        .size:           8
        .value_kind:     global_buffer
      - .actual_access:  read_only
        .address_space:  global
        .offset:         112
        .size:           8
        .value_kind:     global_buffer
      - .offset:         120
        .size:           4
        .value_kind:     by_value
      - .address_space:  global
        .offset:         128
        .size:           8
        .value_kind:     global_buffer
      - .address_space:  global
        .offset:         136
        .size:           8
        .value_kind:     global_buffer
      - .offset:         144
        .size:           4
        .value_kind:     hidden_block_count_x
      - .offset:         148
        .size:           4
        .value_kind:     hidden_block_count_y
      - .offset:         152
        .size:           4
        .value_kind:     hidden_block_count_z
      - .offset:         156
        .size:           2
        .value_kind:     hidden_group_size_x
      - .offset:         158
        .size:           2
        .value_kind:     hidden_group_size_y
      - .offset:         160
        .size:           2
        .value_kind:     hidden_group_size_z
      - .offset:         162
        .size:           2
        .value_kind:     hidden_remainder_x
      - .offset:         164
        .size:           2
        .value_kind:     hidden_remainder_y
      - .offset:         166
        .size:           2
        .value_kind:     hidden_remainder_z
      - .offset:         184
        .size:           8
        .value_kind:     hidden_global_offset_x
      - .offset:         192
        .size:           8
        .value_kind:     hidden_global_offset_y
      - .offset:         200
        .size:           8
        .value_kind:     hidden_global_offset_z
      - .offset:         208
        .size:           2
        .value_kind:     hidden_grid_dims
    .group_segment_fixed_size: 17472
    .kernarg_segment_align: 8
    .kernarg_segment_size: 400
    .language:       OpenCL C
    .language_version:
      - 2
      - 0
    .max_flat_workgroup_size: 256
    .name:           _Z39paged_attention_ll4mi_QKV_mfma16_kernelI14__hip_bfloat16S0_LN4vllm18Fp8KVCacheDataTypeE0EhLi32ELi64ELi256ELb1ELi8EL8MFMAType0EEvPKT_PKT0_S9_ifPKiSB_SB_iPKfiiiPfSE_PS4_PT2_iSD_SD_
    .private_segment_fixed_size: 0
    .sgpr_count:     40
    .sgpr_spill_count: 0
    .symbol:         _Z39paged_attention_ll4mi_QKV_mfma16_kernelI14__hip_bfloat16S0_LN4vllm18Fp8KVCacheDataTypeE0EhLi32ELi64ELi256ELb1ELi8EL8MFMAType0EEvPKT_PKT0_S9_ifPKiSB_SB_iPKfiiiPfSE_PS4_PT2_iSD_SD_.kd
    .uniform_work_group_size: 1
    .uses_dynamic_stack: false
    .vgpr_count:     142
    .vgpr_spill_count: 0
    .wavefront_size: 32
    .workgroup_processor_mode: 1
  - .args:
      - .actual_access:  read_only
        .address_space:  global
        .offset:         0
        .size:           8
        .value_kind:     global_buffer
      - .actual_access:  read_only
        .address_space:  global
        .offset:         8
        .size:           8
        .value_kind:     global_buffer
      - .actual_access:  read_only
        .address_space:  global
        .offset:         16
        .size:           8
        .value_kind:     global_buffer
      - .offset:         24
        .size:           4
        .value_kind:     by_value
      - .offset:         28
        .size:           4
        .value_kind:     by_value
      - .actual_access:  read_only
        .address_space:  global
        .offset:         32
        .size:           8
        .value_kind:     global_buffer
      - .actual_access:  read_only
        .address_space:  global
        .offset:         40
        .size:           8
        .value_kind:     global_buffer
      - .actual_access:  read_only
        .address_space:  global
        .offset:         48
        .size:           8
        .value_kind:     global_buffer
      - .offset:         56
        .size:           4
        .value_kind:     by_value
      - .actual_access:  read_only
        .address_space:  global
        .offset:         64
        .size:           8
        .value_kind:     global_buffer
      - .offset:         72
        .size:           4
        .value_kind:     by_value
      - .offset:         76
        .size:           4
        .value_kind:     by_value
      - .offset:         80
        .size:           4
        .value_kind:     by_value
      - .actual_access:  write_only
        .address_space:  global
        .offset:         88
        .size:           8
        .value_kind:     global_buffer
      - .actual_access:  write_only
        .address_space:  global
        .offset:         96
        .size:           8
        .value_kind:     global_buffer
      - .actual_access:  write_only
        .address_space:  global
        .offset:         104
        .size:           8
        .value_kind:     global_buffer
      - .actual_access:  read_only
        .address_space:  global
        .offset:         112
        .size:           8
        .value_kind:     global_buffer
      - .offset:         120
        .size:           4
        .value_kind:     by_value
      - .address_space:  global
        .offset:         128
        .size:           8
        .value_kind:     global_buffer
      - .address_space:  global
        .offset:         136
        .size:           8
        .value_kind:     global_buffer
      - .offset:         144
        .size:           4
        .value_kind:     hidden_block_count_x
      - .offset:         148
        .size:           4
        .value_kind:     hidden_block_count_y
      - .offset:         152
        .size:           4
        .value_kind:     hidden_block_count_z
      - .offset:         156
        .size:           2
        .value_kind:     hidden_group_size_x
      - .offset:         158
        .size:           2
        .value_kind:     hidden_group_size_y
      - .offset:         160
        .size:           2
        .value_kind:     hidden_group_size_z
      - .offset:         162
        .size:           2
        .value_kind:     hidden_remainder_x
      - .offset:         164
        .size:           2
        .value_kind:     hidden_remainder_y
      - .offset:         166
        .size:           2
        .value_kind:     hidden_remainder_z
      - .offset:         184
        .size:           8
        .value_kind:     hidden_global_offset_x
      - .offset:         192
        .size:           8
        .value_kind:     hidden_global_offset_y
      - .offset:         200
        .size:           8
        .value_kind:     hidden_global_offset_z
      - .offset:         208
        .size:           2
        .value_kind:     hidden_grid_dims
    .group_segment_fixed_size: 17472
    .kernarg_segment_align: 8
    .kernarg_segment_size: 400
    .language:       OpenCL C
    .language_version:
      - 2
      - 0
    .max_flat_workgroup_size: 256
    .name:           _Z39paged_attention_ll4mi_QKV_mfma16_kernelI14__hip_bfloat16S0_LN4vllm18Fp8KVCacheDataTypeE0EhLi32ELi64ELi256ELb1ELi9EL8MFMAType0EEvPKT_PKT0_S9_ifPKiSB_SB_iPKfiiiPfSE_PS4_PT2_iSD_SD_
    .private_segment_fixed_size: 0
    .sgpr_count:     41
    .sgpr_spill_count: 0
    .symbol:         _Z39paged_attention_ll4mi_QKV_mfma16_kernelI14__hip_bfloat16S0_LN4vllm18Fp8KVCacheDataTypeE0EhLi32ELi64ELi256ELb1ELi9EL8MFMAType0EEvPKT_PKT0_S9_ifPKiSB_SB_iPKfiiiPfSE_PS4_PT2_iSD_SD_.kd
    .uniform_work_group_size: 1
    .uses_dynamic_stack: false
    .vgpr_count:     142
    .vgpr_spill_count: 0
    .wavefront_size: 32
    .workgroup_processor_mode: 1
  - .args:
      - .actual_access:  read_only
        .address_space:  global
        .offset:         0
        .size:           8
        .value_kind:     global_buffer
      - .actual_access:  read_only
        .address_space:  global
        .offset:         8
        .size:           8
        .value_kind:     global_buffer
      - .actual_access:  read_only
        .address_space:  global
        .offset:         16
        .size:           8
        .value_kind:     global_buffer
      - .offset:         24
        .size:           4
        .value_kind:     by_value
      - .offset:         28
        .size:           4
        .value_kind:     by_value
      - .actual_access:  read_only
        .address_space:  global
        .offset:         32
        .size:           8
        .value_kind:     global_buffer
      - .actual_access:  read_only
        .address_space:  global
        .offset:         40
        .size:           8
        .value_kind:     global_buffer
      - .actual_access:  read_only
        .address_space:  global
        .offset:         48
        .size:           8
        .value_kind:     global_buffer
      - .offset:         56
        .size:           4
        .value_kind:     by_value
      - .actual_access:  read_only
        .address_space:  global
        .offset:         64
        .size:           8
        .value_kind:     global_buffer
      - .offset:         72
        .size:           4
        .value_kind:     by_value
      - .offset:         76
        .size:           4
        .value_kind:     by_value
      - .offset:         80
        .size:           4
        .value_kind:     by_value
      - .actual_access:  write_only
        .address_space:  global
        .offset:         88
        .size:           8
        .value_kind:     global_buffer
      - .actual_access:  write_only
        .address_space:  global
        .offset:         96
        .size:           8
        .value_kind:     global_buffer
      - .actual_access:  write_only
        .address_space:  global
        .offset:         104
        .size:           8
        .value_kind:     global_buffer
      - .actual_access:  read_only
        .address_space:  global
        .offset:         112
        .size:           8
        .value_kind:     global_buffer
      - .offset:         120
        .size:           4
        .value_kind:     by_value
      - .address_space:  global
        .offset:         128
        .size:           8
        .value_kind:     global_buffer
      - .address_space:  global
        .offset:         136
        .size:           8
        .value_kind:     global_buffer
      - .offset:         144
        .size:           4
        .value_kind:     hidden_block_count_x
      - .offset:         148
        .size:           4
        .value_kind:     hidden_block_count_y
      - .offset:         152
        .size:           4
        .value_kind:     hidden_block_count_z
      - .offset:         156
        .size:           2
        .value_kind:     hidden_group_size_x
      - .offset:         158
        .size:           2
        .value_kind:     hidden_group_size_y
      - .offset:         160
        .size:           2
        .value_kind:     hidden_group_size_z
      - .offset:         162
        .size:           2
        .value_kind:     hidden_remainder_x
      - .offset:         164
        .size:           2
        .value_kind:     hidden_remainder_y
      - .offset:         166
        .size:           2
        .value_kind:     hidden_remainder_z
      - .offset:         184
        .size:           8
        .value_kind:     hidden_global_offset_x
      - .offset:         192
        .size:           8
        .value_kind:     hidden_global_offset_y
      - .offset:         200
        .size:           8
        .value_kind:     hidden_global_offset_z
      - .offset:         208
        .size:           2
        .value_kind:     hidden_grid_dims
    .group_segment_fixed_size: 17472
    .kernarg_segment_align: 8
    .kernarg_segment_size: 400
    .language:       OpenCL C
    .language_version:
      - 2
      - 0
    .max_flat_workgroup_size: 256
    .name:           _Z39paged_attention_ll4mi_QKV_mfma16_kernelI14__hip_bfloat16S0_LN4vllm18Fp8KVCacheDataTypeE0EhLi32ELi64ELi256ELb1ELi10EL8MFMAType0EEvPKT_PKT0_S9_ifPKiSB_SB_iPKfiiiPfSE_PS4_PT2_iSD_SD_
    .private_segment_fixed_size: 0
    .sgpr_count:     40
    .sgpr_spill_count: 0
    .symbol:         _Z39paged_attention_ll4mi_QKV_mfma16_kernelI14__hip_bfloat16S0_LN4vllm18Fp8KVCacheDataTypeE0EhLi32ELi64ELi256ELb1ELi10EL8MFMAType0EEvPKT_PKT0_S9_ifPKiSB_SB_iPKfiiiPfSE_PS4_PT2_iSD_SD_.kd
    .uniform_work_group_size: 1
    .uses_dynamic_stack: false
    .vgpr_count:     142
    .vgpr_spill_count: 0
    .wavefront_size: 32
    .workgroup_processor_mode: 1
  - .args:
      - .actual_access:  read_only
        .address_space:  global
        .offset:         0
        .size:           8
        .value_kind:     global_buffer
      - .actual_access:  read_only
        .address_space:  global
        .offset:         8
        .size:           8
        .value_kind:     global_buffer
      - .actual_access:  read_only
        .address_space:  global
        .offset:         16
        .size:           8
        .value_kind:     global_buffer
      - .offset:         24
        .size:           4
        .value_kind:     by_value
      - .offset:         28
        .size:           4
        .value_kind:     by_value
      - .actual_access:  read_only
        .address_space:  global
        .offset:         32
        .size:           8
        .value_kind:     global_buffer
      - .actual_access:  read_only
        .address_space:  global
        .offset:         40
        .size:           8
        .value_kind:     global_buffer
      - .actual_access:  read_only
        .address_space:  global
        .offset:         48
        .size:           8
        .value_kind:     global_buffer
      - .offset:         56
        .size:           4
        .value_kind:     by_value
      - .actual_access:  read_only
        .address_space:  global
        .offset:         64
        .size:           8
        .value_kind:     global_buffer
      - .offset:         72
        .size:           4
        .value_kind:     by_value
      - .offset:         76
        .size:           4
        .value_kind:     by_value
      - .offset:         80
        .size:           4
        .value_kind:     by_value
      - .actual_access:  write_only
        .address_space:  global
        .offset:         88
        .size:           8
        .value_kind:     global_buffer
      - .actual_access:  write_only
        .address_space:  global
        .offset:         96
        .size:           8
        .value_kind:     global_buffer
      - .actual_access:  write_only
        .address_space:  global
        .offset:         104
        .size:           8
        .value_kind:     global_buffer
      - .actual_access:  read_only
        .address_space:  global
        .offset:         112
        .size:           8
        .value_kind:     global_buffer
      - .offset:         120
        .size:           4
        .value_kind:     by_value
      - .address_space:  global
        .offset:         128
        .size:           8
        .value_kind:     global_buffer
      - .address_space:  global
        .offset:         136
        .size:           8
        .value_kind:     global_buffer
      - .offset:         144
        .size:           4
        .value_kind:     hidden_block_count_x
      - .offset:         148
        .size:           4
        .value_kind:     hidden_block_count_y
      - .offset:         152
        .size:           4
        .value_kind:     hidden_block_count_z
      - .offset:         156
        .size:           2
        .value_kind:     hidden_group_size_x
      - .offset:         158
        .size:           2
        .value_kind:     hidden_group_size_y
      - .offset:         160
        .size:           2
        .value_kind:     hidden_group_size_z
      - .offset:         162
        .size:           2
        .value_kind:     hidden_remainder_x
      - .offset:         164
        .size:           2
        .value_kind:     hidden_remainder_y
      - .offset:         166
        .size:           2
        .value_kind:     hidden_remainder_z
      - .offset:         184
        .size:           8
        .value_kind:     hidden_global_offset_x
      - .offset:         192
        .size:           8
        .value_kind:     hidden_global_offset_y
      - .offset:         200
        .size:           8
        .value_kind:     hidden_global_offset_z
      - .offset:         208
        .size:           2
        .value_kind:     hidden_grid_dims
    .group_segment_fixed_size: 17472
    .kernarg_segment_align: 8
    .kernarg_segment_size: 400
    .language:       OpenCL C
    .language_version:
      - 2
      - 0
    .max_flat_workgroup_size: 256
    .name:           _Z39paged_attention_ll4mi_QKV_mfma16_kernelI14__hip_bfloat16S0_LN4vllm18Fp8KVCacheDataTypeE0EhLi32ELi64ELi256ELb1ELi11EL8MFMAType0EEvPKT_PKT0_S9_ifPKiSB_SB_iPKfiiiPfSE_PS4_PT2_iSD_SD_
    .private_segment_fixed_size: 0
    .sgpr_count:     41
    .sgpr_spill_count: 0
    .symbol:         _Z39paged_attention_ll4mi_QKV_mfma16_kernelI14__hip_bfloat16S0_LN4vllm18Fp8KVCacheDataTypeE0EhLi32ELi64ELi256ELb1ELi11EL8MFMAType0EEvPKT_PKT0_S9_ifPKiSB_SB_iPKfiiiPfSE_PS4_PT2_iSD_SD_.kd
    .uniform_work_group_size: 1
    .uses_dynamic_stack: false
    .vgpr_count:     142
    .vgpr_spill_count: 0
    .wavefront_size: 32
    .workgroup_processor_mode: 1
  - .args:
      - .actual_access:  read_only
        .address_space:  global
        .offset:         0
        .size:           8
        .value_kind:     global_buffer
      - .actual_access:  read_only
        .address_space:  global
        .offset:         8
        .size:           8
        .value_kind:     global_buffer
      - .actual_access:  read_only
        .address_space:  global
        .offset:         16
        .size:           8
        .value_kind:     global_buffer
      - .offset:         24
        .size:           4
        .value_kind:     by_value
      - .offset:         28
        .size:           4
        .value_kind:     by_value
      - .actual_access:  read_only
        .address_space:  global
        .offset:         32
        .size:           8
        .value_kind:     global_buffer
      - .actual_access:  read_only
        .address_space:  global
        .offset:         40
        .size:           8
        .value_kind:     global_buffer
      - .actual_access:  read_only
        .address_space:  global
        .offset:         48
        .size:           8
        .value_kind:     global_buffer
      - .offset:         56
        .size:           4
        .value_kind:     by_value
      - .actual_access:  read_only
        .address_space:  global
        .offset:         64
        .size:           8
        .value_kind:     global_buffer
      - .offset:         72
        .size:           4
        .value_kind:     by_value
      - .offset:         76
        .size:           4
        .value_kind:     by_value
      - .offset:         80
        .size:           4
        .value_kind:     by_value
      - .actual_access:  write_only
        .address_space:  global
        .offset:         88
        .size:           8
        .value_kind:     global_buffer
      - .actual_access:  write_only
        .address_space:  global
        .offset:         96
        .size:           8
        .value_kind:     global_buffer
      - .actual_access:  write_only
        .address_space:  global
        .offset:         104
        .size:           8
        .value_kind:     global_buffer
      - .actual_access:  read_only
        .address_space:  global
        .offset:         112
        .size:           8
        .value_kind:     global_buffer
      - .offset:         120
        .size:           4
        .value_kind:     by_value
      - .address_space:  global
        .offset:         128
        .size:           8
        .value_kind:     global_buffer
      - .address_space:  global
        .offset:         136
        .size:           8
        .value_kind:     global_buffer
      - .offset:         144
        .size:           4
        .value_kind:     hidden_block_count_x
      - .offset:         148
        .size:           4
        .value_kind:     hidden_block_count_y
      - .offset:         152
        .size:           4
        .value_kind:     hidden_block_count_z
      - .offset:         156
        .size:           2
        .value_kind:     hidden_group_size_x
      - .offset:         158
        .size:           2
        .value_kind:     hidden_group_size_y
      - .offset:         160
        .size:           2
        .value_kind:     hidden_group_size_z
      - .offset:         162
        .size:           2
        .value_kind:     hidden_remainder_x
      - .offset:         164
        .size:           2
        .value_kind:     hidden_remainder_y
      - .offset:         166
        .size:           2
        .value_kind:     hidden_remainder_z
      - .offset:         184
        .size:           8
        .value_kind:     hidden_global_offset_x
      - .offset:         192
        .size:           8
        .value_kind:     hidden_global_offset_y
      - .offset:         200
        .size:           8
        .value_kind:     hidden_global_offset_z
      - .offset:         208
        .size:           2
        .value_kind:     hidden_grid_dims
    .group_segment_fixed_size: 17472
    .kernarg_segment_align: 8
    .kernarg_segment_size: 400
    .language:       OpenCL C
    .language_version:
      - 2
      - 0
    .max_flat_workgroup_size: 256
    .name:           _Z39paged_attention_ll4mi_QKV_mfma16_kernelI14__hip_bfloat16S0_LN4vllm18Fp8KVCacheDataTypeE0EhLi32ELi64ELi256ELb1ELi12EL8MFMAType0EEvPKT_PKT0_S9_ifPKiSB_SB_iPKfiiiPfSE_PS4_PT2_iSD_SD_
    .private_segment_fixed_size: 0
    .sgpr_count:     40
    .sgpr_spill_count: 0
    .symbol:         _Z39paged_attention_ll4mi_QKV_mfma16_kernelI14__hip_bfloat16S0_LN4vllm18Fp8KVCacheDataTypeE0EhLi32ELi64ELi256ELb1ELi12EL8MFMAType0EEvPKT_PKT0_S9_ifPKiSB_SB_iPKfiiiPfSE_PS4_PT2_iSD_SD_.kd
    .uniform_work_group_size: 1
    .uses_dynamic_stack: false
    .vgpr_count:     142
    .vgpr_spill_count: 0
    .wavefront_size: 32
    .workgroup_processor_mode: 1
  - .args:
      - .actual_access:  read_only
        .address_space:  global
        .offset:         0
        .size:           8
        .value_kind:     global_buffer
      - .actual_access:  read_only
        .address_space:  global
        .offset:         8
        .size:           8
        .value_kind:     global_buffer
      - .actual_access:  read_only
        .address_space:  global
        .offset:         16
        .size:           8
        .value_kind:     global_buffer
      - .offset:         24
        .size:           4
        .value_kind:     by_value
      - .offset:         28
        .size:           4
        .value_kind:     by_value
      - .actual_access:  read_only
        .address_space:  global
        .offset:         32
        .size:           8
        .value_kind:     global_buffer
      - .actual_access:  read_only
        .address_space:  global
        .offset:         40
        .size:           8
        .value_kind:     global_buffer
      - .actual_access:  read_only
        .address_space:  global
        .offset:         48
        .size:           8
        .value_kind:     global_buffer
      - .offset:         56
        .size:           4
        .value_kind:     by_value
      - .actual_access:  read_only
        .address_space:  global
        .offset:         64
        .size:           8
        .value_kind:     global_buffer
      - .offset:         72
        .size:           4
        .value_kind:     by_value
      - .offset:         76
        .size:           4
        .value_kind:     by_value
      - .offset:         80
        .size:           4
        .value_kind:     by_value
      - .actual_access:  write_only
        .address_space:  global
        .offset:         88
        .size:           8
        .value_kind:     global_buffer
      - .actual_access:  write_only
        .address_space:  global
        .offset:         96
        .size:           8
        .value_kind:     global_buffer
      - .actual_access:  write_only
        .address_space:  global
        .offset:         104
        .size:           8
        .value_kind:     global_buffer
      - .actual_access:  read_only
        .address_space:  global
        .offset:         112
        .size:           8
        .value_kind:     global_buffer
      - .offset:         120
        .size:           4
        .value_kind:     by_value
      - .address_space:  global
        .offset:         128
        .size:           8
        .value_kind:     global_buffer
      - .address_space:  global
        .offset:         136
        .size:           8
        .value_kind:     global_buffer
      - .offset:         144
        .size:           4
        .value_kind:     hidden_block_count_x
      - .offset:         148
        .size:           4
        .value_kind:     hidden_block_count_y
      - .offset:         152
        .size:           4
        .value_kind:     hidden_block_count_z
      - .offset:         156
        .size:           2
        .value_kind:     hidden_group_size_x
      - .offset:         158
        .size:           2
        .value_kind:     hidden_group_size_y
      - .offset:         160
        .size:           2
        .value_kind:     hidden_group_size_z
      - .offset:         162
        .size:           2
        .value_kind:     hidden_remainder_x
      - .offset:         164
        .size:           2
        .value_kind:     hidden_remainder_y
      - .offset:         166
        .size:           2
        .value_kind:     hidden_remainder_z
      - .offset:         184
        .size:           8
        .value_kind:     hidden_global_offset_x
      - .offset:         192
        .size:           8
        .value_kind:     hidden_global_offset_y
      - .offset:         200
        .size:           8
        .value_kind:     hidden_global_offset_z
      - .offset:         208
        .size:           2
        .value_kind:     hidden_grid_dims
    .group_segment_fixed_size: 17472
    .kernarg_segment_align: 8
    .kernarg_segment_size: 400
    .language:       OpenCL C
    .language_version:
      - 2
      - 0
    .max_flat_workgroup_size: 256
    .name:           _Z39paged_attention_ll4mi_QKV_mfma16_kernelI14__hip_bfloat16S0_LN4vllm18Fp8KVCacheDataTypeE0EhLi32ELi64ELi256ELb1ELi13EL8MFMAType0EEvPKT_PKT0_S9_ifPKiSB_SB_iPKfiiiPfSE_PS4_PT2_iSD_SD_
    .private_segment_fixed_size: 0
    .sgpr_count:     41
    .sgpr_spill_count: 0
    .symbol:         _Z39paged_attention_ll4mi_QKV_mfma16_kernelI14__hip_bfloat16S0_LN4vllm18Fp8KVCacheDataTypeE0EhLi32ELi64ELi256ELb1ELi13EL8MFMAType0EEvPKT_PKT0_S9_ifPKiSB_SB_iPKfiiiPfSE_PS4_PT2_iSD_SD_.kd
    .uniform_work_group_size: 1
    .uses_dynamic_stack: false
    .vgpr_count:     142
    .vgpr_spill_count: 0
    .wavefront_size: 32
    .workgroup_processor_mode: 1
  - .args:
      - .actual_access:  read_only
        .address_space:  global
        .offset:         0
        .size:           8
        .value_kind:     global_buffer
      - .actual_access:  read_only
        .address_space:  global
        .offset:         8
        .size:           8
        .value_kind:     global_buffer
      - .actual_access:  read_only
        .address_space:  global
        .offset:         16
        .size:           8
        .value_kind:     global_buffer
      - .offset:         24
        .size:           4
        .value_kind:     by_value
      - .offset:         28
        .size:           4
        .value_kind:     by_value
      - .actual_access:  read_only
        .address_space:  global
        .offset:         32
        .size:           8
        .value_kind:     global_buffer
      - .actual_access:  read_only
        .address_space:  global
        .offset:         40
        .size:           8
        .value_kind:     global_buffer
      - .actual_access:  read_only
        .address_space:  global
        .offset:         48
        .size:           8
        .value_kind:     global_buffer
      - .offset:         56
        .size:           4
        .value_kind:     by_value
      - .actual_access:  read_only
        .address_space:  global
        .offset:         64
        .size:           8
        .value_kind:     global_buffer
      - .offset:         72
        .size:           4
        .value_kind:     by_value
      - .offset:         76
        .size:           4
        .value_kind:     by_value
      - .offset:         80
        .size:           4
        .value_kind:     by_value
      - .actual_access:  write_only
        .address_space:  global
        .offset:         88
        .size:           8
        .value_kind:     global_buffer
      - .actual_access:  write_only
        .address_space:  global
        .offset:         96
        .size:           8
        .value_kind:     global_buffer
      - .actual_access:  write_only
        .address_space:  global
        .offset:         104
        .size:           8
        .value_kind:     global_buffer
      - .actual_access:  read_only
        .address_space:  global
        .offset:         112
        .size:           8
        .value_kind:     global_buffer
      - .offset:         120
        .size:           4
        .value_kind:     by_value
      - .address_space:  global
        .offset:         128
        .size:           8
        .value_kind:     global_buffer
      - .address_space:  global
        .offset:         136
        .size:           8
        .value_kind:     global_buffer
      - .offset:         144
        .size:           4
        .value_kind:     hidden_block_count_x
      - .offset:         148
        .size:           4
        .value_kind:     hidden_block_count_y
      - .offset:         152
        .size:           4
        .value_kind:     hidden_block_count_z
      - .offset:         156
        .size:           2
        .value_kind:     hidden_group_size_x
      - .offset:         158
        .size:           2
        .value_kind:     hidden_group_size_y
      - .offset:         160
        .size:           2
        .value_kind:     hidden_group_size_z
      - .offset:         162
        .size:           2
        .value_kind:     hidden_remainder_x
      - .offset:         164
        .size:           2
        .value_kind:     hidden_remainder_y
      - .offset:         166
        .size:           2
        .value_kind:     hidden_remainder_z
      - .offset:         184
        .size:           8
        .value_kind:     hidden_global_offset_x
      - .offset:         192
        .size:           8
        .value_kind:     hidden_global_offset_y
      - .offset:         200
        .size:           8
        .value_kind:     hidden_global_offset_z
      - .offset:         208
        .size:           2
        .value_kind:     hidden_grid_dims
    .group_segment_fixed_size: 17472
    .kernarg_segment_align: 8
    .kernarg_segment_size: 400
    .language:       OpenCL C
    .language_version:
      - 2
      - 0
    .max_flat_workgroup_size: 256
    .name:           _Z39paged_attention_ll4mi_QKV_mfma16_kernelI14__hip_bfloat16S0_LN4vllm18Fp8KVCacheDataTypeE0EhLi32ELi64ELi256ELb1ELi14EL8MFMAType0EEvPKT_PKT0_S9_ifPKiSB_SB_iPKfiiiPfSE_PS4_PT2_iSD_SD_
    .private_segment_fixed_size: 0
    .sgpr_count:     40
    .sgpr_spill_count: 0
    .symbol:         _Z39paged_attention_ll4mi_QKV_mfma16_kernelI14__hip_bfloat16S0_LN4vllm18Fp8KVCacheDataTypeE0EhLi32ELi64ELi256ELb1ELi14EL8MFMAType0EEvPKT_PKT0_S9_ifPKiSB_SB_iPKfiiiPfSE_PS4_PT2_iSD_SD_.kd
    .uniform_work_group_size: 1
    .uses_dynamic_stack: false
    .vgpr_count:     142
    .vgpr_spill_count: 0
    .wavefront_size: 32
    .workgroup_processor_mode: 1
  - .args:
      - .actual_access:  read_only
        .address_space:  global
        .offset:         0
        .size:           8
        .value_kind:     global_buffer
      - .actual_access:  read_only
        .address_space:  global
        .offset:         8
        .size:           8
        .value_kind:     global_buffer
      - .actual_access:  read_only
        .address_space:  global
        .offset:         16
        .size:           8
        .value_kind:     global_buffer
      - .offset:         24
        .size:           4
        .value_kind:     by_value
      - .offset:         28
        .size:           4
        .value_kind:     by_value
      - .actual_access:  read_only
        .address_space:  global
        .offset:         32
        .size:           8
        .value_kind:     global_buffer
      - .actual_access:  read_only
        .address_space:  global
        .offset:         40
        .size:           8
        .value_kind:     global_buffer
      - .actual_access:  read_only
        .address_space:  global
        .offset:         48
        .size:           8
        .value_kind:     global_buffer
      - .offset:         56
        .size:           4
        .value_kind:     by_value
      - .actual_access:  read_only
        .address_space:  global
        .offset:         64
        .size:           8
        .value_kind:     global_buffer
      - .offset:         72
        .size:           4
        .value_kind:     by_value
      - .offset:         76
        .size:           4
        .value_kind:     by_value
      - .offset:         80
        .size:           4
        .value_kind:     by_value
      - .actual_access:  write_only
        .address_space:  global
        .offset:         88
        .size:           8
        .value_kind:     global_buffer
      - .actual_access:  write_only
        .address_space:  global
        .offset:         96
        .size:           8
        .value_kind:     global_buffer
      - .actual_access:  write_only
        .address_space:  global
        .offset:         104
        .size:           8
        .value_kind:     global_buffer
      - .actual_access:  read_only
        .address_space:  global
        .offset:         112
        .size:           8
        .value_kind:     global_buffer
      - .offset:         120
        .size:           4
        .value_kind:     by_value
      - .address_space:  global
        .offset:         128
        .size:           8
        .value_kind:     global_buffer
      - .address_space:  global
        .offset:         136
        .size:           8
        .value_kind:     global_buffer
      - .offset:         144
        .size:           4
        .value_kind:     hidden_block_count_x
      - .offset:         148
        .size:           4
        .value_kind:     hidden_block_count_y
      - .offset:         152
        .size:           4
        .value_kind:     hidden_block_count_z
      - .offset:         156
        .size:           2
        .value_kind:     hidden_group_size_x
      - .offset:         158
        .size:           2
        .value_kind:     hidden_group_size_y
      - .offset:         160
        .size:           2
        .value_kind:     hidden_group_size_z
      - .offset:         162
        .size:           2
        .value_kind:     hidden_remainder_x
      - .offset:         164
        .size:           2
        .value_kind:     hidden_remainder_y
      - .offset:         166
        .size:           2
        .value_kind:     hidden_remainder_z
      - .offset:         184
        .size:           8
        .value_kind:     hidden_global_offset_x
      - .offset:         192
        .size:           8
        .value_kind:     hidden_global_offset_y
      - .offset:         200
        .size:           8
        .value_kind:     hidden_global_offset_z
      - .offset:         208
        .size:           2
        .value_kind:     hidden_grid_dims
    .group_segment_fixed_size: 17472
    .kernarg_segment_align: 8
    .kernarg_segment_size: 400
    .language:       OpenCL C
    .language_version:
      - 2
      - 0
    .max_flat_workgroup_size: 256
    .name:           _Z39paged_attention_ll4mi_QKV_mfma16_kernelI14__hip_bfloat16S0_LN4vllm18Fp8KVCacheDataTypeE0EhLi32ELi64ELi256ELb1ELi15EL8MFMAType0EEvPKT_PKT0_S9_ifPKiSB_SB_iPKfiiiPfSE_PS4_PT2_iSD_SD_
    .private_segment_fixed_size: 0
    .sgpr_count:     41
    .sgpr_spill_count: 0
    .symbol:         _Z39paged_attention_ll4mi_QKV_mfma16_kernelI14__hip_bfloat16S0_LN4vllm18Fp8KVCacheDataTypeE0EhLi32ELi64ELi256ELb1ELi15EL8MFMAType0EEvPKT_PKT0_S9_ifPKiSB_SB_iPKfiiiPfSE_PS4_PT2_iSD_SD_.kd
    .uniform_work_group_size: 1
    .uses_dynamic_stack: false
    .vgpr_count:     142
    .vgpr_spill_count: 0
    .wavefront_size: 32
    .workgroup_processor_mode: 1
  - .args:
      - .actual_access:  read_only
        .address_space:  global
        .offset:         0
        .size:           8
        .value_kind:     global_buffer
      - .actual_access:  read_only
        .address_space:  global
        .offset:         8
        .size:           8
        .value_kind:     global_buffer
      - .actual_access:  read_only
        .address_space:  global
        .offset:         16
        .size:           8
        .value_kind:     global_buffer
      - .offset:         24
        .size:           4
        .value_kind:     by_value
      - .offset:         28
        .size:           4
        .value_kind:     by_value
      - .actual_access:  read_only
        .address_space:  global
        .offset:         32
        .size:           8
        .value_kind:     global_buffer
      - .actual_access:  read_only
        .address_space:  global
        .offset:         40
        .size:           8
        .value_kind:     global_buffer
      - .actual_access:  read_only
        .address_space:  global
        .offset:         48
        .size:           8
        .value_kind:     global_buffer
      - .offset:         56
        .size:           4
        .value_kind:     by_value
      - .actual_access:  read_only
        .address_space:  global
        .offset:         64
        .size:           8
        .value_kind:     global_buffer
      - .offset:         72
        .size:           4
        .value_kind:     by_value
      - .offset:         76
        .size:           4
        .value_kind:     by_value
      - .offset:         80
        .size:           4
        .value_kind:     by_value
      - .actual_access:  write_only
        .address_space:  global
        .offset:         88
        .size:           8
        .value_kind:     global_buffer
      - .actual_access:  write_only
        .address_space:  global
        .offset:         96
        .size:           8
        .value_kind:     global_buffer
      - .actual_access:  write_only
        .address_space:  global
        .offset:         104
        .size:           8
        .value_kind:     global_buffer
      - .actual_access:  read_only
        .address_space:  global
        .offset:         112
        .size:           8
        .value_kind:     global_buffer
      - .offset:         120
        .size:           4
        .value_kind:     by_value
      - .address_space:  global
        .offset:         128
        .size:           8
        .value_kind:     global_buffer
      - .address_space:  global
        .offset:         136
        .size:           8
        .value_kind:     global_buffer
      - .offset:         144
        .size:           4
        .value_kind:     hidden_block_count_x
      - .offset:         148
        .size:           4
        .value_kind:     hidden_block_count_y
      - .offset:         152
        .size:           4
        .value_kind:     hidden_block_count_z
      - .offset:         156
        .size:           2
        .value_kind:     hidden_group_size_x
      - .offset:         158
        .size:           2
        .value_kind:     hidden_group_size_y
      - .offset:         160
        .size:           2
        .value_kind:     hidden_group_size_z
      - .offset:         162
        .size:           2
        .value_kind:     hidden_remainder_x
      - .offset:         164
        .size:           2
        .value_kind:     hidden_remainder_y
      - .offset:         166
        .size:           2
        .value_kind:     hidden_remainder_z
      - .offset:         184
        .size:           8
        .value_kind:     hidden_global_offset_x
      - .offset:         192
        .size:           8
        .value_kind:     hidden_global_offset_y
      - .offset:         200
        .size:           8
        .value_kind:     hidden_global_offset_z
      - .offset:         208
        .size:           2
        .value_kind:     hidden_grid_dims
    .group_segment_fixed_size: 17472
    .kernarg_segment_align: 8
    .kernarg_segment_size: 400
    .language:       OpenCL C
    .language_version:
      - 2
      - 0
    .max_flat_workgroup_size: 256
    .name:           _Z39paged_attention_ll4mi_QKV_mfma16_kernelI14__hip_bfloat16S0_LN4vllm18Fp8KVCacheDataTypeE0EhLi32ELi64ELi256ELb1ELi16EL8MFMAType0EEvPKT_PKT0_S9_ifPKiSB_SB_iPKfiiiPfSE_PS4_PT2_iSD_SD_
    .private_segment_fixed_size: 0
    .sgpr_count:     40
    .sgpr_spill_count: 0
    .symbol:         _Z39paged_attention_ll4mi_QKV_mfma16_kernelI14__hip_bfloat16S0_LN4vllm18Fp8KVCacheDataTypeE0EhLi32ELi64ELi256ELb1ELi16EL8MFMAType0EEvPKT_PKT0_S9_ifPKiSB_SB_iPKfiiiPfSE_PS4_PT2_iSD_SD_.kd
    .uniform_work_group_size: 1
    .uses_dynamic_stack: false
    .vgpr_count:     142
    .vgpr_spill_count: 0
    .wavefront_size: 32
    .workgroup_processor_mode: 1
  - .args:
      - .actual_access:  read_only
        .address_space:  global
        .offset:         0
        .size:           8
        .value_kind:     global_buffer
      - .actual_access:  read_only
        .address_space:  global
        .offset:         8
        .size:           8
        .value_kind:     global_buffer
      - .actual_access:  read_only
        .address_space:  global
        .offset:         16
        .size:           8
        .value_kind:     global_buffer
      - .offset:         24
        .size:           4
        .value_kind:     by_value
      - .offset:         28
        .size:           4
        .value_kind:     by_value
      - .actual_access:  read_only
        .address_space:  global
        .offset:         32
        .size:           8
        .value_kind:     global_buffer
      - .actual_access:  read_only
        .address_space:  global
        .offset:         40
        .size:           8
        .value_kind:     global_buffer
      - .actual_access:  read_only
        .address_space:  global
        .offset:         48
        .size:           8
        .value_kind:     global_buffer
      - .offset:         56
        .size:           4
        .value_kind:     by_value
      - .actual_access:  read_only
        .address_space:  global
        .offset:         64
        .size:           8
        .value_kind:     global_buffer
      - .offset:         72
        .size:           4
        .value_kind:     by_value
      - .offset:         76
        .size:           4
        .value_kind:     by_value
      - .offset:         80
        .size:           4
        .value_kind:     by_value
      - .actual_access:  write_only
        .address_space:  global
        .offset:         88
        .size:           8
        .value_kind:     global_buffer
      - .actual_access:  write_only
        .address_space:  global
        .offset:         96
        .size:           8
        .value_kind:     global_buffer
      - .actual_access:  write_only
        .address_space:  global
        .offset:         104
        .size:           8
        .value_kind:     global_buffer
      - .actual_access:  read_only
        .address_space:  global
        .offset:         112
        .size:           8
        .value_kind:     global_buffer
      - .offset:         120
        .size:           4
        .value_kind:     by_value
      - .address_space:  global
        .offset:         128
        .size:           8
        .value_kind:     global_buffer
      - .address_space:  global
        .offset:         136
        .size:           8
        .value_kind:     global_buffer
      - .offset:         144
        .size:           4
        .value_kind:     hidden_block_count_x
      - .offset:         148
        .size:           4
        .value_kind:     hidden_block_count_y
      - .offset:         152
        .size:           4
        .value_kind:     hidden_block_count_z
      - .offset:         156
        .size:           2
        .value_kind:     hidden_group_size_x
      - .offset:         158
        .size:           2
        .value_kind:     hidden_group_size_y
      - .offset:         160
        .size:           2
        .value_kind:     hidden_group_size_z
      - .offset:         162
        .size:           2
        .value_kind:     hidden_remainder_x
      - .offset:         164
        .size:           2
        .value_kind:     hidden_remainder_y
      - .offset:         166
        .size:           2
        .value_kind:     hidden_remainder_z
      - .offset:         184
        .size:           8
        .value_kind:     hidden_global_offset_x
      - .offset:         192
        .size:           8
        .value_kind:     hidden_global_offset_y
      - .offset:         200
        .size:           8
        .value_kind:     hidden_global_offset_z
      - .offset:         208
        .size:           2
        .value_kind:     hidden_grid_dims
    .group_segment_fixed_size: 17472
    .kernarg_segment_align: 8
    .kernarg_segment_size: 400
    .language:       OpenCL C
    .language_version:
      - 2
      - 0
    .max_flat_workgroup_size: 256
    .name:           _Z39paged_attention_ll4mi_QKV_mfma16_kernelI14__hip_bfloat16S0_LN4vllm18Fp8KVCacheDataTypeE0EhLi32ELi64ELi256ELb1ELi1EL8MFMAType0EEvPKT_PKT0_S9_ifPKiSB_SB_iPKfiiiPfSE_PS4_PT2_iSD_SD_
    .private_segment_fixed_size: 0
    .sgpr_count:     71
    .sgpr_spill_count: 0
    .symbol:         _Z39paged_attention_ll4mi_QKV_mfma16_kernelI14__hip_bfloat16S0_LN4vllm18Fp8KVCacheDataTypeE0EhLi32ELi64ELi256ELb1ELi1EL8MFMAType0EEvPKT_PKT0_S9_ifPKiSB_SB_iPKfiiiPfSE_PS4_PT2_iSD_SD_.kd
    .uniform_work_group_size: 1
    .uses_dynamic_stack: false
    .vgpr_count:     138
    .vgpr_spill_count: 0
    .wavefront_size: 32
    .workgroup_processor_mode: 1
  - .args:
      - .actual_access:  read_only
        .address_space:  global
        .offset:         0
        .size:           8
        .value_kind:     global_buffer
      - .actual_access:  read_only
        .address_space:  global
        .offset:         8
        .size:           8
        .value_kind:     global_buffer
      - .actual_access:  read_only
        .address_space:  global
        .offset:         16
        .size:           8
        .value_kind:     global_buffer
      - .offset:         24
        .size:           4
        .value_kind:     by_value
      - .offset:         28
        .size:           4
        .value_kind:     by_value
      - .actual_access:  read_only
        .address_space:  global
        .offset:         32
        .size:           8
        .value_kind:     global_buffer
      - .actual_access:  read_only
        .address_space:  global
        .offset:         40
        .size:           8
        .value_kind:     global_buffer
      - .actual_access:  read_only
        .address_space:  global
        .offset:         48
        .size:           8
        .value_kind:     global_buffer
      - .offset:         56
        .size:           4
        .value_kind:     by_value
      - .actual_access:  read_only
        .address_space:  global
        .offset:         64
        .size:           8
        .value_kind:     global_buffer
      - .offset:         72
        .size:           4
        .value_kind:     by_value
      - .offset:         76
        .size:           4
        .value_kind:     by_value
      - .offset:         80
        .size:           4
        .value_kind:     by_value
      - .actual_access:  write_only
        .address_space:  global
        .offset:         88
        .size:           8
        .value_kind:     global_buffer
      - .actual_access:  write_only
        .address_space:  global
        .offset:         96
        .size:           8
        .value_kind:     global_buffer
      - .actual_access:  write_only
        .address_space:  global
        .offset:         104
        .size:           8
        .value_kind:     global_buffer
      - .actual_access:  read_only
        .address_space:  global
        .offset:         112
        .size:           8
        .value_kind:     global_buffer
      - .offset:         120
        .size:           4
        .value_kind:     by_value
      - .address_space:  global
        .offset:         128
        .size:           8
        .value_kind:     global_buffer
      - .address_space:  global
        .offset:         136
        .size:           8
        .value_kind:     global_buffer
      - .offset:         144
        .size:           4
        .value_kind:     hidden_block_count_x
      - .offset:         148
        .size:           4
        .value_kind:     hidden_block_count_y
      - .offset:         152
        .size:           4
        .value_kind:     hidden_block_count_z
      - .offset:         156
        .size:           2
        .value_kind:     hidden_group_size_x
      - .offset:         158
        .size:           2
        .value_kind:     hidden_group_size_y
      - .offset:         160
        .size:           2
        .value_kind:     hidden_group_size_z
      - .offset:         162
        .size:           2
        .value_kind:     hidden_remainder_x
      - .offset:         164
        .size:           2
        .value_kind:     hidden_remainder_y
      - .offset:         166
        .size:           2
        .value_kind:     hidden_remainder_z
      - .offset:         184
        .size:           8
        .value_kind:     hidden_global_offset_x
      - .offset:         192
        .size:           8
        .value_kind:     hidden_global_offset_y
      - .offset:         200
        .size:           8
        .value_kind:     hidden_global_offset_z
      - .offset:         208
        .size:           2
        .value_kind:     hidden_grid_dims
    .group_segment_fixed_size: 17472
    .kernarg_segment_align: 8
    .kernarg_segment_size: 400
    .language:       OpenCL C
    .language_version:
      - 2
      - 0
    .max_flat_workgroup_size: 256
    .name:           _Z39paged_attention_ll4mi_QKV_mfma16_kernelI14__hip_bfloat16S0_LN4vllm18Fp8KVCacheDataTypeE0EhLi32ELi64ELi256ELb1ELi2EL8MFMAType0EEvPKT_PKT0_S9_ifPKiSB_SB_iPKfiiiPfSE_PS4_PT2_iSD_SD_
    .private_segment_fixed_size: 0
    .sgpr_count:     41
    .sgpr_spill_count: 0
    .symbol:         _Z39paged_attention_ll4mi_QKV_mfma16_kernelI14__hip_bfloat16S0_LN4vllm18Fp8KVCacheDataTypeE0EhLi32ELi64ELi256ELb1ELi2EL8MFMAType0EEvPKT_PKT0_S9_ifPKiSB_SB_iPKfiiiPfSE_PS4_PT2_iSD_SD_.kd
    .uniform_work_group_size: 1
    .uses_dynamic_stack: false
    .vgpr_count:     144
    .vgpr_spill_count: 0
    .wavefront_size: 32
    .workgroup_processor_mode: 1
  - .args:
      - .actual_access:  read_only
        .address_space:  global
        .offset:         0
        .size:           8
        .value_kind:     global_buffer
      - .actual_access:  read_only
        .address_space:  global
        .offset:         8
        .size:           8
        .value_kind:     global_buffer
      - .actual_access:  read_only
        .address_space:  global
        .offset:         16
        .size:           8
        .value_kind:     global_buffer
      - .offset:         24
        .size:           4
        .value_kind:     by_value
      - .offset:         28
        .size:           4
        .value_kind:     by_value
      - .actual_access:  read_only
        .address_space:  global
        .offset:         32
        .size:           8
        .value_kind:     global_buffer
      - .actual_access:  read_only
        .address_space:  global
        .offset:         40
        .size:           8
        .value_kind:     global_buffer
      - .actual_access:  read_only
        .address_space:  global
        .offset:         48
        .size:           8
        .value_kind:     global_buffer
      - .offset:         56
        .size:           4
        .value_kind:     by_value
      - .actual_access:  read_only
        .address_space:  global
        .offset:         64
        .size:           8
        .value_kind:     global_buffer
      - .offset:         72
        .size:           4
        .value_kind:     by_value
      - .offset:         76
        .size:           4
        .value_kind:     by_value
      - .offset:         80
        .size:           4
        .value_kind:     by_value
      - .actual_access:  write_only
        .address_space:  global
        .offset:         88
        .size:           8
        .value_kind:     global_buffer
      - .actual_access:  write_only
        .address_space:  global
        .offset:         96
        .size:           8
        .value_kind:     global_buffer
      - .actual_access:  write_only
        .address_space:  global
        .offset:         104
        .size:           8
        .value_kind:     global_buffer
      - .actual_access:  read_only
        .address_space:  global
        .offset:         112
        .size:           8
        .value_kind:     global_buffer
      - .offset:         120
        .size:           4
        .value_kind:     by_value
      - .address_space:  global
        .offset:         128
        .size:           8
        .value_kind:     global_buffer
      - .address_space:  global
        .offset:         136
        .size:           8
        .value_kind:     global_buffer
      - .offset:         144
        .size:           4
        .value_kind:     hidden_block_count_x
      - .offset:         148
        .size:           4
        .value_kind:     hidden_block_count_y
      - .offset:         152
        .size:           4
        .value_kind:     hidden_block_count_z
      - .offset:         156
        .size:           2
        .value_kind:     hidden_group_size_x
      - .offset:         158
        .size:           2
        .value_kind:     hidden_group_size_y
      - .offset:         160
        .size:           2
        .value_kind:     hidden_group_size_z
      - .offset:         162
        .size:           2
        .value_kind:     hidden_remainder_x
      - .offset:         164
        .size:           2
        .value_kind:     hidden_remainder_y
      - .offset:         166
        .size:           2
        .value_kind:     hidden_remainder_z
      - .offset:         184
        .size:           8
        .value_kind:     hidden_global_offset_x
      - .offset:         192
        .size:           8
        .value_kind:     hidden_global_offset_y
      - .offset:         200
        .size:           8
        .value_kind:     hidden_global_offset_z
      - .offset:         208
        .size:           2
        .value_kind:     hidden_grid_dims
    .group_segment_fixed_size: 17472
    .kernarg_segment_align: 8
    .kernarg_segment_size: 400
    .language:       OpenCL C
    .language_version:
      - 2
      - 0
    .max_flat_workgroup_size: 256
    .name:           _Z39paged_attention_ll4mi_QKV_mfma16_kernelI14__hip_bfloat16S0_LN4vllm18Fp8KVCacheDataTypeE0EhLi32ELi64ELi256ELb1ELi3EL8MFMAType0EEvPKT_PKT0_S9_ifPKiSB_SB_iPKfiiiPfSE_PS4_PT2_iSD_SD_
    .private_segment_fixed_size: 0
    .sgpr_count:     41
    .sgpr_spill_count: 0
    .symbol:         _Z39paged_attention_ll4mi_QKV_mfma16_kernelI14__hip_bfloat16S0_LN4vllm18Fp8KVCacheDataTypeE0EhLi32ELi64ELi256ELb1ELi3EL8MFMAType0EEvPKT_PKT0_S9_ifPKiSB_SB_iPKfiiiPfSE_PS4_PT2_iSD_SD_.kd
    .uniform_work_group_size: 1
    .uses_dynamic_stack: false
    .vgpr_count:     142
    .vgpr_spill_count: 0
    .wavefront_size: 32
    .workgroup_processor_mode: 1
  - .args:
      - .actual_access:  read_only
        .address_space:  global
        .offset:         0
        .size:           8
        .value_kind:     global_buffer
      - .actual_access:  read_only
        .address_space:  global
        .offset:         8
        .size:           8
        .value_kind:     global_buffer
      - .actual_access:  read_only
        .address_space:  global
        .offset:         16
        .size:           8
        .value_kind:     global_buffer
      - .offset:         24
        .size:           4
        .value_kind:     by_value
      - .offset:         28
        .size:           4
        .value_kind:     by_value
      - .actual_access:  read_only
        .address_space:  global
        .offset:         32
        .size:           8
        .value_kind:     global_buffer
      - .actual_access:  read_only
        .address_space:  global
        .offset:         40
        .size:           8
        .value_kind:     global_buffer
      - .actual_access:  read_only
        .address_space:  global
        .offset:         48
        .size:           8
        .value_kind:     global_buffer
      - .offset:         56
        .size:           4
        .value_kind:     by_value
      - .actual_access:  read_only
        .address_space:  global
        .offset:         64
        .size:           8
        .value_kind:     global_buffer
      - .offset:         72
        .size:           4
        .value_kind:     by_value
      - .offset:         76
        .size:           4
        .value_kind:     by_value
      - .offset:         80
        .size:           4
        .value_kind:     by_value
      - .actual_access:  write_only
        .address_space:  global
        .offset:         88
        .size:           8
        .value_kind:     global_buffer
      - .actual_access:  write_only
        .address_space:  global
        .offset:         96
        .size:           8
        .value_kind:     global_buffer
      - .actual_access:  write_only
        .address_space:  global
        .offset:         104
        .size:           8
        .value_kind:     global_buffer
      - .actual_access:  read_only
        .address_space:  global
        .offset:         112
        .size:           8
        .value_kind:     global_buffer
      - .offset:         120
        .size:           4
        .value_kind:     by_value
      - .address_space:  global
        .offset:         128
        .size:           8
        .value_kind:     global_buffer
      - .address_space:  global
        .offset:         136
        .size:           8
        .value_kind:     global_buffer
      - .offset:         144
        .size:           4
        .value_kind:     hidden_block_count_x
      - .offset:         148
        .size:           4
        .value_kind:     hidden_block_count_y
      - .offset:         152
        .size:           4
        .value_kind:     hidden_block_count_z
      - .offset:         156
        .size:           2
        .value_kind:     hidden_group_size_x
      - .offset:         158
        .size:           2
        .value_kind:     hidden_group_size_y
      - .offset:         160
        .size:           2
        .value_kind:     hidden_group_size_z
      - .offset:         162
        .size:           2
        .value_kind:     hidden_remainder_x
      - .offset:         164
        .size:           2
        .value_kind:     hidden_remainder_y
      - .offset:         166
        .size:           2
        .value_kind:     hidden_remainder_z
      - .offset:         184
        .size:           8
        .value_kind:     hidden_global_offset_x
      - .offset:         192
        .size:           8
        .value_kind:     hidden_global_offset_y
      - .offset:         200
        .size:           8
        .value_kind:     hidden_global_offset_z
      - .offset:         208
        .size:           2
        .value_kind:     hidden_grid_dims
    .group_segment_fixed_size: 17472
    .kernarg_segment_align: 8
    .kernarg_segment_size: 400
    .language:       OpenCL C
    .language_version:
      - 2
      - 0
    .max_flat_workgroup_size: 256
    .name:           _Z39paged_attention_ll4mi_QKV_mfma16_kernelI14__hip_bfloat16S0_LN4vllm18Fp8KVCacheDataTypeE0EhLi32ELi64ELi256ELb1ELi4EL8MFMAType0EEvPKT_PKT0_S9_ifPKiSB_SB_iPKfiiiPfSE_PS4_PT2_iSD_SD_
    .private_segment_fixed_size: 0
    .sgpr_count:     40
    .sgpr_spill_count: 0
    .symbol:         _Z39paged_attention_ll4mi_QKV_mfma16_kernelI14__hip_bfloat16S0_LN4vllm18Fp8KVCacheDataTypeE0EhLi32ELi64ELi256ELb1ELi4EL8MFMAType0EEvPKT_PKT0_S9_ifPKiSB_SB_iPKfiiiPfSE_PS4_PT2_iSD_SD_.kd
    .uniform_work_group_size: 1
    .uses_dynamic_stack: false
    .vgpr_count:     142
    .vgpr_spill_count: 0
    .wavefront_size: 32
    .workgroup_processor_mode: 1
  - .args:
      - .actual_access:  read_only
        .address_space:  global
        .offset:         0
        .size:           8
        .value_kind:     global_buffer
      - .actual_access:  read_only
        .address_space:  global
        .offset:         8
        .size:           8
        .value_kind:     global_buffer
      - .actual_access:  read_only
        .address_space:  global
        .offset:         16
        .size:           8
        .value_kind:     global_buffer
      - .offset:         24
        .size:           4
        .value_kind:     by_value
      - .offset:         28
        .size:           4
        .value_kind:     by_value
      - .actual_access:  read_only
        .address_space:  global
        .offset:         32
        .size:           8
        .value_kind:     global_buffer
      - .actual_access:  read_only
        .address_space:  global
        .offset:         40
        .size:           8
        .value_kind:     global_buffer
      - .actual_access:  read_only
        .address_space:  global
        .offset:         48
        .size:           8
        .value_kind:     global_buffer
      - .offset:         56
        .size:           4
        .value_kind:     by_value
      - .actual_access:  read_only
        .address_space:  global
        .offset:         64
        .size:           8
        .value_kind:     global_buffer
      - .offset:         72
        .size:           4
        .value_kind:     by_value
      - .offset:         76
        .size:           4
        .value_kind:     by_value
      - .offset:         80
        .size:           4
        .value_kind:     by_value
      - .actual_access:  read_only
        .address_space:  global
        .offset:         88
        .size:           8
        .value_kind:     global_buffer
      - .actual_access:  read_only
        .address_space:  global
        .offset:         96
        .size:           8
        .value_kind:     global_buffer
      - .actual_access:  read_only
        .address_space:  global
        .offset:         104
        .size:           8
        .value_kind:     global_buffer
      - .actual_access:  read_only
        .address_space:  global
        .offset:         112
        .size:           8
        .value_kind:     global_buffer
      - .offset:         120
        .size:           4
        .value_kind:     by_value
      - .address_space:  global
        .offset:         128
        .size:           8
        .value_kind:     global_buffer
      - .address_space:  global
        .offset:         136
        .size:           8
        .value_kind:     global_buffer
      - .offset:         144
        .size:           4
        .value_kind:     hidden_block_count_x
      - .offset:         148
        .size:           4
        .value_kind:     hidden_block_count_y
      - .offset:         152
        .size:           4
        .value_kind:     hidden_block_count_z
      - .offset:         156
        .size:           2
        .value_kind:     hidden_group_size_x
      - .offset:         158
        .size:           2
        .value_kind:     hidden_group_size_y
      - .offset:         160
        .size:           2
        .value_kind:     hidden_group_size_z
      - .offset:         162
        .size:           2
        .value_kind:     hidden_remainder_x
      - .offset:         164
        .size:           2
        .value_kind:     hidden_remainder_y
      - .offset:         166
        .size:           2
        .value_kind:     hidden_remainder_z
      - .offset:         184
        .size:           8
        .value_kind:     hidden_global_offset_x
      - .offset:         192
        .size:           8
        .value_kind:     hidden_global_offset_y
      - .offset:         200
        .size:           8
        .value_kind:     hidden_global_offset_z
      - .offset:         208
        .size:           2
        .value_kind:     hidden_grid_dims
      - .offset:         224
        .size:           8
        .value_kind:     hidden_hostcall_buffer
    .group_segment_fixed_size: 0
    .kernarg_segment_align: 8
    .kernarg_segment_size: 400
    .language:       OpenCL C
    .language_version:
      - 2
      - 0
    .max_flat_workgroup_size: 256
    .name:           _Z38paged_attention_ll4mi_QKV_mfma4_kernelI14__hip_bfloat16S0_LN4vllm18Fp8KVCacheDataTypeE0EhLi32ELi64ELi256ELb0ELi1EEvPKT_PKT0_S8_ifPKiSA_SA_iPKfiiiPfSD_PS3_PT2_iSC_SC_
    .private_segment_fixed_size: 64
    .sgpr_count:     36
    .sgpr_spill_count: 0
    .symbol:         _Z38paged_attention_ll4mi_QKV_mfma4_kernelI14__hip_bfloat16S0_LN4vllm18Fp8KVCacheDataTypeE0EhLi32ELi64ELi256ELb0ELi1EEvPKT_PKT0_S8_ifPKiSA_SA_iPKfiiiPfSD_PS3_PT2_iSC_SC_.kd
    .uniform_work_group_size: 1
    .uses_dynamic_stack: false
    .vgpr_count:     41
    .vgpr_spill_count: 0
    .wavefront_size: 32
    .workgroup_processor_mode: 1
  - .args:
      - .actual_access:  read_only
        .address_space:  global
        .offset:         0
        .size:           8
        .value_kind:     global_buffer
      - .actual_access:  read_only
        .address_space:  global
        .offset:         8
        .size:           8
        .value_kind:     global_buffer
      - .actual_access:  read_only
        .address_space:  global
        .offset:         16
        .size:           8
        .value_kind:     global_buffer
      - .offset:         24
        .size:           4
        .value_kind:     by_value
      - .offset:         28
        .size:           4
        .value_kind:     by_value
      - .actual_access:  read_only
        .address_space:  global
        .offset:         32
        .size:           8
        .value_kind:     global_buffer
      - .actual_access:  read_only
        .address_space:  global
        .offset:         40
        .size:           8
        .value_kind:     global_buffer
      - .actual_access:  read_only
        .address_space:  global
        .offset:         48
        .size:           8
        .value_kind:     global_buffer
      - .offset:         56
        .size:           4
        .value_kind:     by_value
      - .actual_access:  read_only
        .address_space:  global
        .offset:         64
        .size:           8
        .value_kind:     global_buffer
      - .offset:         72
        .size:           4
        .value_kind:     by_value
      - .offset:         76
        .size:           4
        .value_kind:     by_value
      - .offset:         80
        .size:           4
        .value_kind:     by_value
      - .actual_access:  read_only
        .address_space:  global
        .offset:         88
        .size:           8
        .value_kind:     global_buffer
      - .actual_access:  read_only
        .address_space:  global
        .offset:         96
        .size:           8
        .value_kind:     global_buffer
      - .actual_access:  read_only
        .address_space:  global
        .offset:         104
        .size:           8
        .value_kind:     global_buffer
      - .actual_access:  read_only
        .address_space:  global
        .offset:         112
        .size:           8
        .value_kind:     global_buffer
      - .offset:         120
        .size:           4
        .value_kind:     by_value
      - .address_space:  global
        .offset:         128
        .size:           8
        .value_kind:     global_buffer
      - .address_space:  global
        .offset:         136
        .size:           8
        .value_kind:     global_buffer
      - .offset:         144
        .size:           4
        .value_kind:     hidden_block_count_x
      - .offset:         148
        .size:           4
        .value_kind:     hidden_block_count_y
      - .offset:         152
        .size:           4
        .value_kind:     hidden_block_count_z
      - .offset:         156
        .size:           2
        .value_kind:     hidden_group_size_x
      - .offset:         158
        .size:           2
        .value_kind:     hidden_group_size_y
      - .offset:         160
        .size:           2
        .value_kind:     hidden_group_size_z
      - .offset:         162
        .size:           2
        .value_kind:     hidden_remainder_x
      - .offset:         164
        .size:           2
        .value_kind:     hidden_remainder_y
      - .offset:         166
        .size:           2
        .value_kind:     hidden_remainder_z
      - .offset:         184
        .size:           8
        .value_kind:     hidden_global_offset_x
      - .offset:         192
        .size:           8
        .value_kind:     hidden_global_offset_y
      - .offset:         200
        .size:           8
        .value_kind:     hidden_global_offset_z
      - .offset:         208
        .size:           2
        .value_kind:     hidden_grid_dims
      - .offset:         224
        .size:           8
        .value_kind:     hidden_hostcall_buffer
    .group_segment_fixed_size: 0
    .kernarg_segment_align: 8
    .kernarg_segment_size: 400
    .language:       OpenCL C
    .language_version:
      - 2
      - 0
    .max_flat_workgroup_size: 256
    .name:           _Z38paged_attention_ll4mi_QKV_mfma4_kernelI14__hip_bfloat16S0_LN4vllm18Fp8KVCacheDataTypeE0EhLi32ELi64ELi256ELb0ELi2EEvPKT_PKT0_S8_ifPKiSA_SA_iPKfiiiPfSD_PS3_PT2_iSC_SC_
    .private_segment_fixed_size: 64
    .sgpr_count:     36
    .sgpr_spill_count: 0
    .symbol:         _Z38paged_attention_ll4mi_QKV_mfma4_kernelI14__hip_bfloat16S0_LN4vllm18Fp8KVCacheDataTypeE0EhLi32ELi64ELi256ELb0ELi2EEvPKT_PKT0_S8_ifPKiSA_SA_iPKfiiiPfSD_PS3_PT2_iSC_SC_.kd
    .uniform_work_group_size: 1
    .uses_dynamic_stack: false
    .vgpr_count:     41
    .vgpr_spill_count: 0
    .wavefront_size: 32
    .workgroup_processor_mode: 1
  - .args:
      - .actual_access:  read_only
        .address_space:  global
        .offset:         0
        .size:           8
        .value_kind:     global_buffer
      - .actual_access:  read_only
        .address_space:  global
        .offset:         8
        .size:           8
        .value_kind:     global_buffer
      - .actual_access:  read_only
        .address_space:  global
        .offset:         16
        .size:           8
        .value_kind:     global_buffer
      - .offset:         24
        .size:           4
        .value_kind:     by_value
      - .offset:         28
        .size:           4
        .value_kind:     by_value
      - .actual_access:  read_only
        .address_space:  global
        .offset:         32
        .size:           8
        .value_kind:     global_buffer
      - .actual_access:  read_only
        .address_space:  global
        .offset:         40
        .size:           8
        .value_kind:     global_buffer
      - .actual_access:  read_only
        .address_space:  global
        .offset:         48
        .size:           8
        .value_kind:     global_buffer
      - .offset:         56
        .size:           4
        .value_kind:     by_value
      - .actual_access:  read_only
        .address_space:  global
        .offset:         64
        .size:           8
        .value_kind:     global_buffer
      - .offset:         72
        .size:           4
        .value_kind:     by_value
      - .offset:         76
        .size:           4
        .value_kind:     by_value
      - .offset:         80
        .size:           4
        .value_kind:     by_value
      - .actual_access:  read_only
        .address_space:  global
        .offset:         88
        .size:           8
        .value_kind:     global_buffer
      - .actual_access:  read_only
        .address_space:  global
        .offset:         96
        .size:           8
        .value_kind:     global_buffer
      - .actual_access:  read_only
        .address_space:  global
        .offset:         104
        .size:           8
        .value_kind:     global_buffer
      - .actual_access:  read_only
        .address_space:  global
        .offset:         112
        .size:           8
        .value_kind:     global_buffer
      - .offset:         120
        .size:           4
        .value_kind:     by_value
      - .address_space:  global
        .offset:         128
        .size:           8
        .value_kind:     global_buffer
      - .address_space:  global
        .offset:         136
        .size:           8
        .value_kind:     global_buffer
      - .offset:         144
        .size:           4
        .value_kind:     hidden_block_count_x
      - .offset:         148
        .size:           4
        .value_kind:     hidden_block_count_y
      - .offset:         152
        .size:           4
        .value_kind:     hidden_block_count_z
      - .offset:         156
        .size:           2
        .value_kind:     hidden_group_size_x
      - .offset:         158
        .size:           2
        .value_kind:     hidden_group_size_y
      - .offset:         160
        .size:           2
        .value_kind:     hidden_group_size_z
      - .offset:         162
        .size:           2
        .value_kind:     hidden_remainder_x
      - .offset:         164
        .size:           2
        .value_kind:     hidden_remainder_y
      - .offset:         166
        .size:           2
        .value_kind:     hidden_remainder_z
      - .offset:         184
        .size:           8
        .value_kind:     hidden_global_offset_x
      - .offset:         192
        .size:           8
        .value_kind:     hidden_global_offset_y
      - .offset:         200
        .size:           8
        .value_kind:     hidden_global_offset_z
      - .offset:         208
        .size:           2
        .value_kind:     hidden_grid_dims
      - .offset:         224
        .size:           8
        .value_kind:     hidden_hostcall_buffer
    .group_segment_fixed_size: 0
    .kernarg_segment_align: 8
    .kernarg_segment_size: 400
    .language:       OpenCL C
    .language_version:
      - 2
      - 0
    .max_flat_workgroup_size: 256
    .name:           _Z38paged_attention_ll4mi_QKV_mfma4_kernelI14__hip_bfloat16S0_LN4vllm18Fp8KVCacheDataTypeE0EhLi32ELi64ELi256ELb0ELi3EEvPKT_PKT0_S8_ifPKiSA_SA_iPKfiiiPfSD_PS3_PT2_iSC_SC_
    .private_segment_fixed_size: 64
    .sgpr_count:     36
    .sgpr_spill_count: 0
    .symbol:         _Z38paged_attention_ll4mi_QKV_mfma4_kernelI14__hip_bfloat16S0_LN4vllm18Fp8KVCacheDataTypeE0EhLi32ELi64ELi256ELb0ELi3EEvPKT_PKT0_S8_ifPKiSA_SA_iPKfiiiPfSD_PS3_PT2_iSC_SC_.kd
    .uniform_work_group_size: 1
    .uses_dynamic_stack: false
    .vgpr_count:     41
    .vgpr_spill_count: 0
    .wavefront_size: 32
    .workgroup_processor_mode: 1
  - .args:
      - .actual_access:  read_only
        .address_space:  global
        .offset:         0
        .size:           8
        .value_kind:     global_buffer
      - .actual_access:  read_only
        .address_space:  global
        .offset:         8
        .size:           8
        .value_kind:     global_buffer
      - .actual_access:  read_only
        .address_space:  global
        .offset:         16
        .size:           8
        .value_kind:     global_buffer
      - .offset:         24
        .size:           4
        .value_kind:     by_value
      - .offset:         28
        .size:           4
        .value_kind:     by_value
      - .actual_access:  read_only
        .address_space:  global
        .offset:         32
        .size:           8
        .value_kind:     global_buffer
      - .actual_access:  read_only
        .address_space:  global
        .offset:         40
        .size:           8
        .value_kind:     global_buffer
      - .actual_access:  read_only
        .address_space:  global
        .offset:         48
        .size:           8
        .value_kind:     global_buffer
      - .offset:         56
        .size:           4
        .value_kind:     by_value
      - .actual_access:  read_only
        .address_space:  global
        .offset:         64
        .size:           8
        .value_kind:     global_buffer
      - .offset:         72
        .size:           4
        .value_kind:     by_value
      - .offset:         76
        .size:           4
        .value_kind:     by_value
      - .offset:         80
        .size:           4
        .value_kind:     by_value
      - .actual_access:  read_only
        .address_space:  global
        .offset:         88
        .size:           8
        .value_kind:     global_buffer
      - .actual_access:  read_only
        .address_space:  global
        .offset:         96
        .size:           8
        .value_kind:     global_buffer
      - .actual_access:  read_only
        .address_space:  global
        .offset:         104
        .size:           8
        .value_kind:     global_buffer
      - .actual_access:  read_only
        .address_space:  global
        .offset:         112
        .size:           8
        .value_kind:     global_buffer
      - .offset:         120
        .size:           4
        .value_kind:     by_value
      - .address_space:  global
        .offset:         128
        .size:           8
        .value_kind:     global_buffer
      - .address_space:  global
        .offset:         136
        .size:           8
        .value_kind:     global_buffer
      - .offset:         144
        .size:           4
        .value_kind:     hidden_block_count_x
      - .offset:         148
        .size:           4
        .value_kind:     hidden_block_count_y
      - .offset:         152
        .size:           4
        .value_kind:     hidden_block_count_z
      - .offset:         156
        .size:           2
        .value_kind:     hidden_group_size_x
      - .offset:         158
        .size:           2
        .value_kind:     hidden_group_size_y
      - .offset:         160
        .size:           2
        .value_kind:     hidden_group_size_z
      - .offset:         162
        .size:           2
        .value_kind:     hidden_remainder_x
      - .offset:         164
        .size:           2
        .value_kind:     hidden_remainder_y
      - .offset:         166
        .size:           2
        .value_kind:     hidden_remainder_z
      - .offset:         184
        .size:           8
        .value_kind:     hidden_global_offset_x
      - .offset:         192
        .size:           8
        .value_kind:     hidden_global_offset_y
      - .offset:         200
        .size:           8
        .value_kind:     hidden_global_offset_z
      - .offset:         208
        .size:           2
        .value_kind:     hidden_grid_dims
      - .offset:         224
        .size:           8
        .value_kind:     hidden_hostcall_buffer
    .group_segment_fixed_size: 0
    .kernarg_segment_align: 8
    .kernarg_segment_size: 400
    .language:       OpenCL C
    .language_version:
      - 2
      - 0
    .max_flat_workgroup_size: 256
    .name:           _Z38paged_attention_ll4mi_QKV_mfma4_kernelI14__hip_bfloat16S0_LN4vllm18Fp8KVCacheDataTypeE0EhLi32ELi64ELi256ELb0ELi4EEvPKT_PKT0_S8_ifPKiSA_SA_iPKfiiiPfSD_PS3_PT2_iSC_SC_
    .private_segment_fixed_size: 64
    .sgpr_count:     36
    .sgpr_spill_count: 0
    .symbol:         _Z38paged_attention_ll4mi_QKV_mfma4_kernelI14__hip_bfloat16S0_LN4vllm18Fp8KVCacheDataTypeE0EhLi32ELi64ELi256ELb0ELi4EEvPKT_PKT0_S8_ifPKiSA_SA_iPKfiiiPfSD_PS3_PT2_iSC_SC_.kd
    .uniform_work_group_size: 1
    .uses_dynamic_stack: false
    .vgpr_count:     41
    .vgpr_spill_count: 0
    .wavefront_size: 32
    .workgroup_processor_mode: 1
  - .args:
      - .actual_access:  read_only
        .address_space:  global
        .offset:         0
        .size:           8
        .value_kind:     global_buffer
      - .actual_access:  read_only
        .address_space:  global
        .offset:         8
        .size:           8
        .value_kind:     global_buffer
      - .actual_access:  read_only
        .address_space:  global
        .offset:         16
        .size:           8
        .value_kind:     global_buffer
      - .offset:         24
        .size:           4
        .value_kind:     by_value
      - .offset:         28
        .size:           4
        .value_kind:     by_value
      - .actual_access:  read_only
        .address_space:  global
        .offset:         32
        .size:           8
        .value_kind:     global_buffer
      - .actual_access:  read_only
        .address_space:  global
        .offset:         40
        .size:           8
        .value_kind:     global_buffer
      - .actual_access:  read_only
        .address_space:  global
        .offset:         48
        .size:           8
        .value_kind:     global_buffer
      - .offset:         56
        .size:           4
        .value_kind:     by_value
      - .actual_access:  read_only
        .address_space:  global
        .offset:         64
        .size:           8
        .value_kind:     global_buffer
      - .offset:         72
        .size:           4
        .value_kind:     by_value
      - .offset:         76
        .size:           4
        .value_kind:     by_value
      - .offset:         80
        .size:           4
        .value_kind:     by_value
      - .actual_access:  write_only
        .address_space:  global
        .offset:         88
        .size:           8
        .value_kind:     global_buffer
      - .actual_access:  write_only
        .address_space:  global
        .offset:         96
        .size:           8
        .value_kind:     global_buffer
      - .actual_access:  write_only
        .address_space:  global
        .offset:         104
        .size:           8
        .value_kind:     global_buffer
      - .actual_access:  read_only
        .address_space:  global
        .offset:         112
        .size:           8
        .value_kind:     global_buffer
      - .offset:         120
        .size:           4
        .value_kind:     by_value
      - .address_space:  global
        .offset:         128
        .size:           8
        .value_kind:     global_buffer
      - .address_space:  global
        .offset:         136
        .size:           8
        .value_kind:     global_buffer
      - .offset:         144
        .size:           4
        .value_kind:     hidden_block_count_x
      - .offset:         148
        .size:           4
        .value_kind:     hidden_block_count_y
      - .offset:         152
        .size:           4
        .value_kind:     hidden_block_count_z
      - .offset:         156
        .size:           2
        .value_kind:     hidden_group_size_x
      - .offset:         158
        .size:           2
        .value_kind:     hidden_group_size_y
      - .offset:         160
        .size:           2
        .value_kind:     hidden_group_size_z
      - .offset:         162
        .size:           2
        .value_kind:     hidden_remainder_x
      - .offset:         164
        .size:           2
        .value_kind:     hidden_remainder_y
      - .offset:         166
        .size:           2
        .value_kind:     hidden_remainder_z
      - .offset:         184
        .size:           8
        .value_kind:     hidden_global_offset_x
      - .offset:         192
        .size:           8
        .value_kind:     hidden_global_offset_y
      - .offset:         200
        .size:           8
        .value_kind:     hidden_global_offset_z
      - .offset:         208
        .size:           2
        .value_kind:     hidden_grid_dims
    .group_segment_fixed_size: 17472
    .kernarg_segment_align: 8
    .kernarg_segment_size: 400
    .language:       OpenCL C
    .language_version:
      - 2
      - 0
    .max_flat_workgroup_size: 256
    .name:           _Z39paged_attention_ll4mi_QKV_mfma16_kernelI14__hip_bfloat16S0_LN4vllm18Fp8KVCacheDataTypeE0EhLi32ELi64ELi256ELb0ELi5EL8MFMAType0EEvPKT_PKT0_S9_ifPKiSB_SB_iPKfiiiPfSE_PS4_PT2_iSD_SD_
    .private_segment_fixed_size: 0
    .sgpr_count:     41
    .sgpr_spill_count: 0
    .symbol:         _Z39paged_attention_ll4mi_QKV_mfma16_kernelI14__hip_bfloat16S0_LN4vllm18Fp8KVCacheDataTypeE0EhLi32ELi64ELi256ELb0ELi5EL8MFMAType0EEvPKT_PKT0_S9_ifPKiSB_SB_iPKfiiiPfSE_PS4_PT2_iSD_SD_.kd
    .uniform_work_group_size: 1
    .uses_dynamic_stack: false
    .vgpr_count:     142
    .vgpr_spill_count: 0
    .wavefront_size: 32
    .workgroup_processor_mode: 1
  - .args:
      - .actual_access:  read_only
        .address_space:  global
        .offset:         0
        .size:           8
        .value_kind:     global_buffer
      - .actual_access:  read_only
        .address_space:  global
        .offset:         8
        .size:           8
        .value_kind:     global_buffer
      - .actual_access:  read_only
        .address_space:  global
        .offset:         16
        .size:           8
        .value_kind:     global_buffer
      - .offset:         24
        .size:           4
        .value_kind:     by_value
      - .offset:         28
        .size:           4
        .value_kind:     by_value
      - .actual_access:  read_only
        .address_space:  global
        .offset:         32
        .size:           8
        .value_kind:     global_buffer
      - .actual_access:  read_only
        .address_space:  global
        .offset:         40
        .size:           8
        .value_kind:     global_buffer
      - .actual_access:  read_only
        .address_space:  global
        .offset:         48
        .size:           8
        .value_kind:     global_buffer
      - .offset:         56
        .size:           4
        .value_kind:     by_value
      - .actual_access:  read_only
        .address_space:  global
        .offset:         64
        .size:           8
        .value_kind:     global_buffer
      - .offset:         72
        .size:           4
        .value_kind:     by_value
      - .offset:         76
        .size:           4
        .value_kind:     by_value
      - .offset:         80
        .size:           4
        .value_kind:     by_value
      - .actual_access:  write_only
        .address_space:  global
        .offset:         88
        .size:           8
        .value_kind:     global_buffer
      - .actual_access:  write_only
        .address_space:  global
        .offset:         96
        .size:           8
        .value_kind:     global_buffer
      - .actual_access:  write_only
        .address_space:  global
        .offset:         104
        .size:           8
        .value_kind:     global_buffer
      - .actual_access:  read_only
        .address_space:  global
        .offset:         112
        .size:           8
        .value_kind:     global_buffer
      - .offset:         120
        .size:           4
        .value_kind:     by_value
      - .address_space:  global
        .offset:         128
        .size:           8
        .value_kind:     global_buffer
      - .address_space:  global
        .offset:         136
        .size:           8
        .value_kind:     global_buffer
      - .offset:         144
        .size:           4
        .value_kind:     hidden_block_count_x
      - .offset:         148
        .size:           4
        .value_kind:     hidden_block_count_y
      - .offset:         152
        .size:           4
        .value_kind:     hidden_block_count_z
      - .offset:         156
        .size:           2
        .value_kind:     hidden_group_size_x
      - .offset:         158
        .size:           2
        .value_kind:     hidden_group_size_y
      - .offset:         160
        .size:           2
        .value_kind:     hidden_group_size_z
      - .offset:         162
        .size:           2
        .value_kind:     hidden_remainder_x
      - .offset:         164
        .size:           2
        .value_kind:     hidden_remainder_y
      - .offset:         166
        .size:           2
        .value_kind:     hidden_remainder_z
      - .offset:         184
        .size:           8
        .value_kind:     hidden_global_offset_x
      - .offset:         192
        .size:           8
        .value_kind:     hidden_global_offset_y
      - .offset:         200
        .size:           8
        .value_kind:     hidden_global_offset_z
      - .offset:         208
        .size:           2
        .value_kind:     hidden_grid_dims
    .group_segment_fixed_size: 17472
    .kernarg_segment_align: 8
    .kernarg_segment_size: 400
    .language:       OpenCL C
    .language_version:
      - 2
      - 0
    .max_flat_workgroup_size: 256
    .name:           _Z39paged_attention_ll4mi_QKV_mfma16_kernelI14__hip_bfloat16S0_LN4vllm18Fp8KVCacheDataTypeE0EhLi32ELi64ELi256ELb0ELi6EL8MFMAType0EEvPKT_PKT0_S9_ifPKiSB_SB_iPKfiiiPfSE_PS4_PT2_iSD_SD_
    .private_segment_fixed_size: 0
    .sgpr_count:     40
    .sgpr_spill_count: 0
    .symbol:         _Z39paged_attention_ll4mi_QKV_mfma16_kernelI14__hip_bfloat16S0_LN4vllm18Fp8KVCacheDataTypeE0EhLi32ELi64ELi256ELb0ELi6EL8MFMAType0EEvPKT_PKT0_S9_ifPKiSB_SB_iPKfiiiPfSE_PS4_PT2_iSD_SD_.kd
    .uniform_work_group_size: 1
    .uses_dynamic_stack: false
    .vgpr_count:     142
    .vgpr_spill_count: 0
    .wavefront_size: 32
    .workgroup_processor_mode: 1
  - .args:
      - .actual_access:  read_only
        .address_space:  global
        .offset:         0
        .size:           8
        .value_kind:     global_buffer
      - .actual_access:  read_only
        .address_space:  global
        .offset:         8
        .size:           8
        .value_kind:     global_buffer
      - .actual_access:  read_only
        .address_space:  global
        .offset:         16
        .size:           8
        .value_kind:     global_buffer
      - .offset:         24
        .size:           4
        .value_kind:     by_value
      - .offset:         28
        .size:           4
        .value_kind:     by_value
      - .actual_access:  read_only
        .address_space:  global
        .offset:         32
        .size:           8
        .value_kind:     global_buffer
      - .actual_access:  read_only
        .address_space:  global
        .offset:         40
        .size:           8
        .value_kind:     global_buffer
      - .actual_access:  read_only
        .address_space:  global
        .offset:         48
        .size:           8
        .value_kind:     global_buffer
      - .offset:         56
        .size:           4
        .value_kind:     by_value
      - .actual_access:  read_only
        .address_space:  global
        .offset:         64
        .size:           8
        .value_kind:     global_buffer
      - .offset:         72
        .size:           4
        .value_kind:     by_value
      - .offset:         76
        .size:           4
        .value_kind:     by_value
      - .offset:         80
        .size:           4
        .value_kind:     by_value
      - .actual_access:  write_only
        .address_space:  global
        .offset:         88
        .size:           8
        .value_kind:     global_buffer
      - .actual_access:  write_only
        .address_space:  global
        .offset:         96
        .size:           8
        .value_kind:     global_buffer
      - .actual_access:  write_only
        .address_space:  global
        .offset:         104
        .size:           8
        .value_kind:     global_buffer
      - .actual_access:  read_only
        .address_space:  global
        .offset:         112
        .size:           8
        .value_kind:     global_buffer
      - .offset:         120
        .size:           4
        .value_kind:     by_value
      - .address_space:  global
        .offset:         128
        .size:           8
        .value_kind:     global_buffer
      - .address_space:  global
        .offset:         136
        .size:           8
        .value_kind:     global_buffer
      - .offset:         144
        .size:           4
        .value_kind:     hidden_block_count_x
      - .offset:         148
        .size:           4
        .value_kind:     hidden_block_count_y
      - .offset:         152
        .size:           4
        .value_kind:     hidden_block_count_z
      - .offset:         156
        .size:           2
        .value_kind:     hidden_group_size_x
      - .offset:         158
        .size:           2
        .value_kind:     hidden_group_size_y
      - .offset:         160
        .size:           2
        .value_kind:     hidden_group_size_z
      - .offset:         162
        .size:           2
        .value_kind:     hidden_remainder_x
      - .offset:         164
        .size:           2
        .value_kind:     hidden_remainder_y
      - .offset:         166
        .size:           2
        .value_kind:     hidden_remainder_z
      - .offset:         184
        .size:           8
        .value_kind:     hidden_global_offset_x
      - .offset:         192
        .size:           8
        .value_kind:     hidden_global_offset_y
      - .offset:         200
        .size:           8
        .value_kind:     hidden_global_offset_z
      - .offset:         208
        .size:           2
        .value_kind:     hidden_grid_dims
    .group_segment_fixed_size: 17472
    .kernarg_segment_align: 8
    .kernarg_segment_size: 400
    .language:       OpenCL C
    .language_version:
      - 2
      - 0
    .max_flat_workgroup_size: 256
    .name:           _Z39paged_attention_ll4mi_QKV_mfma16_kernelI14__hip_bfloat16S0_LN4vllm18Fp8KVCacheDataTypeE0EhLi32ELi64ELi256ELb0ELi7EL8MFMAType0EEvPKT_PKT0_S9_ifPKiSB_SB_iPKfiiiPfSE_PS4_PT2_iSD_SD_
    .private_segment_fixed_size: 0
    .sgpr_count:     41
    .sgpr_spill_count: 0
    .symbol:         _Z39paged_attention_ll4mi_QKV_mfma16_kernelI14__hip_bfloat16S0_LN4vllm18Fp8KVCacheDataTypeE0EhLi32ELi64ELi256ELb0ELi7EL8MFMAType0EEvPKT_PKT0_S9_ifPKiSB_SB_iPKfiiiPfSE_PS4_PT2_iSD_SD_.kd
    .uniform_work_group_size: 1
    .uses_dynamic_stack: false
    .vgpr_count:     142
    .vgpr_spill_count: 0
    .wavefront_size: 32
    .workgroup_processor_mode: 1
  - .args:
      - .actual_access:  read_only
        .address_space:  global
        .offset:         0
        .size:           8
        .value_kind:     global_buffer
      - .actual_access:  read_only
        .address_space:  global
        .offset:         8
        .size:           8
        .value_kind:     global_buffer
      - .actual_access:  read_only
        .address_space:  global
        .offset:         16
        .size:           8
        .value_kind:     global_buffer
      - .offset:         24
        .size:           4
        .value_kind:     by_value
      - .offset:         28
        .size:           4
        .value_kind:     by_value
      - .actual_access:  read_only
        .address_space:  global
        .offset:         32
        .size:           8
        .value_kind:     global_buffer
      - .actual_access:  read_only
        .address_space:  global
        .offset:         40
        .size:           8
        .value_kind:     global_buffer
      - .actual_access:  read_only
        .address_space:  global
        .offset:         48
        .size:           8
        .value_kind:     global_buffer
      - .offset:         56
        .size:           4
        .value_kind:     by_value
      - .actual_access:  read_only
        .address_space:  global
        .offset:         64
        .size:           8
        .value_kind:     global_buffer
      - .offset:         72
        .size:           4
        .value_kind:     by_value
      - .offset:         76
        .size:           4
        .value_kind:     by_value
      - .offset:         80
        .size:           4
        .value_kind:     by_value
      - .actual_access:  write_only
        .address_space:  global
        .offset:         88
        .size:           8
        .value_kind:     global_buffer
      - .actual_access:  write_only
        .address_space:  global
        .offset:         96
        .size:           8
        .value_kind:     global_buffer
      - .actual_access:  write_only
        .address_space:  global
        .offset:         104
        .size:           8
        .value_kind:     global_buffer
      - .actual_access:  read_only
        .address_space:  global
        .offset:         112
        .size:           8
        .value_kind:     global_buffer
      - .offset:         120
        .size:           4
        .value_kind:     by_value
      - .address_space:  global
        .offset:         128
        .size:           8
        .value_kind:     global_buffer
      - .address_space:  global
        .offset:         136
        .size:           8
        .value_kind:     global_buffer
      - .offset:         144
        .size:           4
        .value_kind:     hidden_block_count_x
      - .offset:         148
        .size:           4
        .value_kind:     hidden_block_count_y
      - .offset:         152
        .size:           4
        .value_kind:     hidden_block_count_z
      - .offset:         156
        .size:           2
        .value_kind:     hidden_group_size_x
      - .offset:         158
        .size:           2
        .value_kind:     hidden_group_size_y
      - .offset:         160
        .size:           2
        .value_kind:     hidden_group_size_z
      - .offset:         162
        .size:           2
        .value_kind:     hidden_remainder_x
      - .offset:         164
        .size:           2
        .value_kind:     hidden_remainder_y
      - .offset:         166
        .size:           2
        .value_kind:     hidden_remainder_z
      - .offset:         184
        .size:           8
        .value_kind:     hidden_global_offset_x
      - .offset:         192
        .size:           8
        .value_kind:     hidden_global_offset_y
      - .offset:         200
        .size:           8
        .value_kind:     hidden_global_offset_z
      - .offset:         208
        .size:           2
        .value_kind:     hidden_grid_dims
    .group_segment_fixed_size: 17472
    .kernarg_segment_align: 8
    .kernarg_segment_size: 400
    .language:       OpenCL C
    .language_version:
      - 2
      - 0
    .max_flat_workgroup_size: 256
    .name:           _Z39paged_attention_ll4mi_QKV_mfma16_kernelI14__hip_bfloat16S0_LN4vllm18Fp8KVCacheDataTypeE0EhLi32ELi64ELi256ELb0ELi8EL8MFMAType0EEvPKT_PKT0_S9_ifPKiSB_SB_iPKfiiiPfSE_PS4_PT2_iSD_SD_
    .private_segment_fixed_size: 0
    .sgpr_count:     40
    .sgpr_spill_count: 0
    .symbol:         _Z39paged_attention_ll4mi_QKV_mfma16_kernelI14__hip_bfloat16S0_LN4vllm18Fp8KVCacheDataTypeE0EhLi32ELi64ELi256ELb0ELi8EL8MFMAType0EEvPKT_PKT0_S9_ifPKiSB_SB_iPKfiiiPfSE_PS4_PT2_iSD_SD_.kd
    .uniform_work_group_size: 1
    .uses_dynamic_stack: false
    .vgpr_count:     142
    .vgpr_spill_count: 0
    .wavefront_size: 32
    .workgroup_processor_mode: 1
  - .args:
      - .actual_access:  read_only
        .address_space:  global
        .offset:         0
        .size:           8
        .value_kind:     global_buffer
      - .actual_access:  read_only
        .address_space:  global
        .offset:         8
        .size:           8
        .value_kind:     global_buffer
      - .actual_access:  read_only
        .address_space:  global
        .offset:         16
        .size:           8
        .value_kind:     global_buffer
      - .offset:         24
        .size:           4
        .value_kind:     by_value
      - .offset:         28
        .size:           4
        .value_kind:     by_value
      - .actual_access:  read_only
        .address_space:  global
        .offset:         32
        .size:           8
        .value_kind:     global_buffer
      - .actual_access:  read_only
        .address_space:  global
        .offset:         40
        .size:           8
        .value_kind:     global_buffer
      - .actual_access:  read_only
        .address_space:  global
        .offset:         48
        .size:           8
        .value_kind:     global_buffer
      - .offset:         56
        .size:           4
        .value_kind:     by_value
      - .actual_access:  read_only
        .address_space:  global
        .offset:         64
        .size:           8
        .value_kind:     global_buffer
      - .offset:         72
        .size:           4
        .value_kind:     by_value
      - .offset:         76
        .size:           4
        .value_kind:     by_value
      - .offset:         80
        .size:           4
        .value_kind:     by_value
      - .actual_access:  write_only
        .address_space:  global
        .offset:         88
        .size:           8
        .value_kind:     global_buffer
      - .actual_access:  write_only
        .address_space:  global
        .offset:         96
        .size:           8
        .value_kind:     global_buffer
      - .actual_access:  write_only
        .address_space:  global
        .offset:         104
        .size:           8
        .value_kind:     global_buffer
      - .actual_access:  read_only
        .address_space:  global
        .offset:         112
        .size:           8
        .value_kind:     global_buffer
      - .offset:         120
        .size:           4
        .value_kind:     by_value
      - .address_space:  global
        .offset:         128
        .size:           8
        .value_kind:     global_buffer
      - .address_space:  global
        .offset:         136
        .size:           8
        .value_kind:     global_buffer
      - .offset:         144
        .size:           4
        .value_kind:     hidden_block_count_x
      - .offset:         148
        .size:           4
        .value_kind:     hidden_block_count_y
      - .offset:         152
        .size:           4
        .value_kind:     hidden_block_count_z
      - .offset:         156
        .size:           2
        .value_kind:     hidden_group_size_x
      - .offset:         158
        .size:           2
        .value_kind:     hidden_group_size_y
      - .offset:         160
        .size:           2
        .value_kind:     hidden_group_size_z
      - .offset:         162
        .size:           2
        .value_kind:     hidden_remainder_x
      - .offset:         164
        .size:           2
        .value_kind:     hidden_remainder_y
      - .offset:         166
        .size:           2
        .value_kind:     hidden_remainder_z
      - .offset:         184
        .size:           8
        .value_kind:     hidden_global_offset_x
      - .offset:         192
        .size:           8
        .value_kind:     hidden_global_offset_y
      - .offset:         200
        .size:           8
        .value_kind:     hidden_global_offset_z
      - .offset:         208
        .size:           2
        .value_kind:     hidden_grid_dims
    .group_segment_fixed_size: 17472
    .kernarg_segment_align: 8
    .kernarg_segment_size: 400
    .language:       OpenCL C
    .language_version:
      - 2
      - 0
    .max_flat_workgroup_size: 256
    .name:           _Z39paged_attention_ll4mi_QKV_mfma16_kernelI14__hip_bfloat16S0_LN4vllm18Fp8KVCacheDataTypeE0EhLi32ELi64ELi256ELb0ELi9EL8MFMAType0EEvPKT_PKT0_S9_ifPKiSB_SB_iPKfiiiPfSE_PS4_PT2_iSD_SD_
    .private_segment_fixed_size: 0
    .sgpr_count:     41
    .sgpr_spill_count: 0
    .symbol:         _Z39paged_attention_ll4mi_QKV_mfma16_kernelI14__hip_bfloat16S0_LN4vllm18Fp8KVCacheDataTypeE0EhLi32ELi64ELi256ELb0ELi9EL8MFMAType0EEvPKT_PKT0_S9_ifPKiSB_SB_iPKfiiiPfSE_PS4_PT2_iSD_SD_.kd
    .uniform_work_group_size: 1
    .uses_dynamic_stack: false
    .vgpr_count:     142
    .vgpr_spill_count: 0
    .wavefront_size: 32
    .workgroup_processor_mode: 1
  - .args:
      - .actual_access:  read_only
        .address_space:  global
        .offset:         0
        .size:           8
        .value_kind:     global_buffer
      - .actual_access:  read_only
        .address_space:  global
        .offset:         8
        .size:           8
        .value_kind:     global_buffer
      - .actual_access:  read_only
        .address_space:  global
        .offset:         16
        .size:           8
        .value_kind:     global_buffer
      - .offset:         24
        .size:           4
        .value_kind:     by_value
      - .offset:         28
        .size:           4
        .value_kind:     by_value
      - .actual_access:  read_only
        .address_space:  global
        .offset:         32
        .size:           8
        .value_kind:     global_buffer
      - .actual_access:  read_only
        .address_space:  global
        .offset:         40
        .size:           8
        .value_kind:     global_buffer
      - .actual_access:  read_only
        .address_space:  global
        .offset:         48
        .size:           8
        .value_kind:     global_buffer
      - .offset:         56
        .size:           4
        .value_kind:     by_value
      - .actual_access:  read_only
        .address_space:  global
        .offset:         64
        .size:           8
        .value_kind:     global_buffer
      - .offset:         72
        .size:           4
        .value_kind:     by_value
      - .offset:         76
        .size:           4
        .value_kind:     by_value
      - .offset:         80
        .size:           4
        .value_kind:     by_value
      - .actual_access:  write_only
        .address_space:  global
        .offset:         88
        .size:           8
        .value_kind:     global_buffer
      - .actual_access:  write_only
        .address_space:  global
        .offset:         96
        .size:           8
        .value_kind:     global_buffer
      - .actual_access:  write_only
        .address_space:  global
        .offset:         104
        .size:           8
        .value_kind:     global_buffer
      - .actual_access:  read_only
        .address_space:  global
        .offset:         112
        .size:           8
        .value_kind:     global_buffer
      - .offset:         120
        .size:           4
        .value_kind:     by_value
      - .address_space:  global
        .offset:         128
        .size:           8
        .value_kind:     global_buffer
      - .address_space:  global
        .offset:         136
        .size:           8
        .value_kind:     global_buffer
      - .offset:         144
        .size:           4
        .value_kind:     hidden_block_count_x
      - .offset:         148
        .size:           4
        .value_kind:     hidden_block_count_y
      - .offset:         152
        .size:           4
        .value_kind:     hidden_block_count_z
      - .offset:         156
        .size:           2
        .value_kind:     hidden_group_size_x
      - .offset:         158
        .size:           2
        .value_kind:     hidden_group_size_y
      - .offset:         160
        .size:           2
        .value_kind:     hidden_group_size_z
      - .offset:         162
        .size:           2
        .value_kind:     hidden_remainder_x
      - .offset:         164
        .size:           2
        .value_kind:     hidden_remainder_y
      - .offset:         166
        .size:           2
        .value_kind:     hidden_remainder_z
      - .offset:         184
        .size:           8
        .value_kind:     hidden_global_offset_x
      - .offset:         192
        .size:           8
        .value_kind:     hidden_global_offset_y
      - .offset:         200
        .size:           8
        .value_kind:     hidden_global_offset_z
      - .offset:         208
        .size:           2
        .value_kind:     hidden_grid_dims
    .group_segment_fixed_size: 17472
    .kernarg_segment_align: 8
    .kernarg_segment_size: 400
    .language:       OpenCL C
    .language_version:
      - 2
      - 0
    .max_flat_workgroup_size: 256
    .name:           _Z39paged_attention_ll4mi_QKV_mfma16_kernelI14__hip_bfloat16S0_LN4vllm18Fp8KVCacheDataTypeE0EhLi32ELi64ELi256ELb0ELi10EL8MFMAType0EEvPKT_PKT0_S9_ifPKiSB_SB_iPKfiiiPfSE_PS4_PT2_iSD_SD_
    .private_segment_fixed_size: 0
    .sgpr_count:     40
    .sgpr_spill_count: 0
    .symbol:         _Z39paged_attention_ll4mi_QKV_mfma16_kernelI14__hip_bfloat16S0_LN4vllm18Fp8KVCacheDataTypeE0EhLi32ELi64ELi256ELb0ELi10EL8MFMAType0EEvPKT_PKT0_S9_ifPKiSB_SB_iPKfiiiPfSE_PS4_PT2_iSD_SD_.kd
    .uniform_work_group_size: 1
    .uses_dynamic_stack: false
    .vgpr_count:     142
    .vgpr_spill_count: 0
    .wavefront_size: 32
    .workgroup_processor_mode: 1
  - .args:
      - .actual_access:  read_only
        .address_space:  global
        .offset:         0
        .size:           8
        .value_kind:     global_buffer
      - .actual_access:  read_only
        .address_space:  global
        .offset:         8
        .size:           8
        .value_kind:     global_buffer
      - .actual_access:  read_only
        .address_space:  global
        .offset:         16
        .size:           8
        .value_kind:     global_buffer
      - .offset:         24
        .size:           4
        .value_kind:     by_value
      - .offset:         28
        .size:           4
        .value_kind:     by_value
      - .actual_access:  read_only
        .address_space:  global
        .offset:         32
        .size:           8
        .value_kind:     global_buffer
      - .actual_access:  read_only
        .address_space:  global
        .offset:         40
        .size:           8
        .value_kind:     global_buffer
      - .actual_access:  read_only
        .address_space:  global
        .offset:         48
        .size:           8
        .value_kind:     global_buffer
      - .offset:         56
        .size:           4
        .value_kind:     by_value
      - .actual_access:  read_only
        .address_space:  global
        .offset:         64
        .size:           8
        .value_kind:     global_buffer
      - .offset:         72
        .size:           4
        .value_kind:     by_value
      - .offset:         76
        .size:           4
        .value_kind:     by_value
      - .offset:         80
        .size:           4
        .value_kind:     by_value
      - .actual_access:  write_only
        .address_space:  global
        .offset:         88
        .size:           8
        .value_kind:     global_buffer
      - .actual_access:  write_only
        .address_space:  global
        .offset:         96
        .size:           8
        .value_kind:     global_buffer
      - .actual_access:  write_only
        .address_space:  global
        .offset:         104
        .size:           8
        .value_kind:     global_buffer
      - .actual_access:  read_only
        .address_space:  global
        .offset:         112
        .size:           8
        .value_kind:     global_buffer
      - .offset:         120
        .size:           4
        .value_kind:     by_value
      - .address_space:  global
        .offset:         128
        .size:           8
        .value_kind:     global_buffer
      - .address_space:  global
        .offset:         136
        .size:           8
        .value_kind:     global_buffer
      - .offset:         144
        .size:           4
        .value_kind:     hidden_block_count_x
      - .offset:         148
        .size:           4
        .value_kind:     hidden_block_count_y
      - .offset:         152
        .size:           4
        .value_kind:     hidden_block_count_z
      - .offset:         156
        .size:           2
        .value_kind:     hidden_group_size_x
      - .offset:         158
        .size:           2
        .value_kind:     hidden_group_size_y
      - .offset:         160
        .size:           2
        .value_kind:     hidden_group_size_z
      - .offset:         162
        .size:           2
        .value_kind:     hidden_remainder_x
      - .offset:         164
        .size:           2
        .value_kind:     hidden_remainder_y
      - .offset:         166
        .size:           2
        .value_kind:     hidden_remainder_z
      - .offset:         184
        .size:           8
        .value_kind:     hidden_global_offset_x
      - .offset:         192
        .size:           8
        .value_kind:     hidden_global_offset_y
      - .offset:         200
        .size:           8
        .value_kind:     hidden_global_offset_z
      - .offset:         208
        .size:           2
        .value_kind:     hidden_grid_dims
    .group_segment_fixed_size: 17472
    .kernarg_segment_align: 8
    .kernarg_segment_size: 400
    .language:       OpenCL C
    .language_version:
      - 2
      - 0
    .max_flat_workgroup_size: 256
    .name:           _Z39paged_attention_ll4mi_QKV_mfma16_kernelI14__hip_bfloat16S0_LN4vllm18Fp8KVCacheDataTypeE0EhLi32ELi64ELi256ELb0ELi11EL8MFMAType0EEvPKT_PKT0_S9_ifPKiSB_SB_iPKfiiiPfSE_PS4_PT2_iSD_SD_
    .private_segment_fixed_size: 0
    .sgpr_count:     41
    .sgpr_spill_count: 0
    .symbol:         _Z39paged_attention_ll4mi_QKV_mfma16_kernelI14__hip_bfloat16S0_LN4vllm18Fp8KVCacheDataTypeE0EhLi32ELi64ELi256ELb0ELi11EL8MFMAType0EEvPKT_PKT0_S9_ifPKiSB_SB_iPKfiiiPfSE_PS4_PT2_iSD_SD_.kd
    .uniform_work_group_size: 1
    .uses_dynamic_stack: false
    .vgpr_count:     142
    .vgpr_spill_count: 0
    .wavefront_size: 32
    .workgroup_processor_mode: 1
  - .args:
      - .actual_access:  read_only
        .address_space:  global
        .offset:         0
        .size:           8
        .value_kind:     global_buffer
      - .actual_access:  read_only
        .address_space:  global
        .offset:         8
        .size:           8
        .value_kind:     global_buffer
      - .actual_access:  read_only
        .address_space:  global
        .offset:         16
        .size:           8
        .value_kind:     global_buffer
      - .offset:         24
        .size:           4
        .value_kind:     by_value
      - .offset:         28
        .size:           4
        .value_kind:     by_value
      - .actual_access:  read_only
        .address_space:  global
        .offset:         32
        .size:           8
        .value_kind:     global_buffer
      - .actual_access:  read_only
        .address_space:  global
        .offset:         40
        .size:           8
        .value_kind:     global_buffer
      - .actual_access:  read_only
        .address_space:  global
        .offset:         48
        .size:           8
        .value_kind:     global_buffer
      - .offset:         56
        .size:           4
        .value_kind:     by_value
      - .actual_access:  read_only
        .address_space:  global
        .offset:         64
        .size:           8
        .value_kind:     global_buffer
      - .offset:         72
        .size:           4
        .value_kind:     by_value
      - .offset:         76
        .size:           4
        .value_kind:     by_value
      - .offset:         80
        .size:           4
        .value_kind:     by_value
      - .actual_access:  write_only
        .address_space:  global
        .offset:         88
        .size:           8
        .value_kind:     global_buffer
      - .actual_access:  write_only
        .address_space:  global
        .offset:         96
        .size:           8
        .value_kind:     global_buffer
      - .actual_access:  write_only
        .address_space:  global
        .offset:         104
        .size:           8
        .value_kind:     global_buffer
      - .actual_access:  read_only
        .address_space:  global
        .offset:         112
        .size:           8
        .value_kind:     global_buffer
      - .offset:         120
        .size:           4
        .value_kind:     by_value
      - .address_space:  global
        .offset:         128
        .size:           8
        .value_kind:     global_buffer
      - .address_space:  global
        .offset:         136
        .size:           8
        .value_kind:     global_buffer
      - .offset:         144
        .size:           4
        .value_kind:     hidden_block_count_x
      - .offset:         148
        .size:           4
        .value_kind:     hidden_block_count_y
      - .offset:         152
        .size:           4
        .value_kind:     hidden_block_count_z
      - .offset:         156
        .size:           2
        .value_kind:     hidden_group_size_x
      - .offset:         158
        .size:           2
        .value_kind:     hidden_group_size_y
      - .offset:         160
        .size:           2
        .value_kind:     hidden_group_size_z
      - .offset:         162
        .size:           2
        .value_kind:     hidden_remainder_x
      - .offset:         164
        .size:           2
        .value_kind:     hidden_remainder_y
      - .offset:         166
        .size:           2
        .value_kind:     hidden_remainder_z
      - .offset:         184
        .size:           8
        .value_kind:     hidden_global_offset_x
      - .offset:         192
        .size:           8
        .value_kind:     hidden_global_offset_y
      - .offset:         200
        .size:           8
        .value_kind:     hidden_global_offset_z
      - .offset:         208
        .size:           2
        .value_kind:     hidden_grid_dims
    .group_segment_fixed_size: 17472
    .kernarg_segment_align: 8
    .kernarg_segment_size: 400
    .language:       OpenCL C
    .language_version:
      - 2
      - 0
    .max_flat_workgroup_size: 256
    .name:           _Z39paged_attention_ll4mi_QKV_mfma16_kernelI14__hip_bfloat16S0_LN4vllm18Fp8KVCacheDataTypeE0EhLi32ELi64ELi256ELb0ELi12EL8MFMAType0EEvPKT_PKT0_S9_ifPKiSB_SB_iPKfiiiPfSE_PS4_PT2_iSD_SD_
    .private_segment_fixed_size: 0
    .sgpr_count:     40
    .sgpr_spill_count: 0
    .symbol:         _Z39paged_attention_ll4mi_QKV_mfma16_kernelI14__hip_bfloat16S0_LN4vllm18Fp8KVCacheDataTypeE0EhLi32ELi64ELi256ELb0ELi12EL8MFMAType0EEvPKT_PKT0_S9_ifPKiSB_SB_iPKfiiiPfSE_PS4_PT2_iSD_SD_.kd
    .uniform_work_group_size: 1
    .uses_dynamic_stack: false
    .vgpr_count:     142
    .vgpr_spill_count: 0
    .wavefront_size: 32
    .workgroup_processor_mode: 1
  - .args:
      - .actual_access:  read_only
        .address_space:  global
        .offset:         0
        .size:           8
        .value_kind:     global_buffer
      - .actual_access:  read_only
        .address_space:  global
        .offset:         8
        .size:           8
        .value_kind:     global_buffer
      - .actual_access:  read_only
        .address_space:  global
        .offset:         16
        .size:           8
        .value_kind:     global_buffer
      - .offset:         24
        .size:           4
        .value_kind:     by_value
      - .offset:         28
        .size:           4
        .value_kind:     by_value
      - .actual_access:  read_only
        .address_space:  global
        .offset:         32
        .size:           8
        .value_kind:     global_buffer
      - .actual_access:  read_only
        .address_space:  global
        .offset:         40
        .size:           8
        .value_kind:     global_buffer
      - .actual_access:  read_only
        .address_space:  global
        .offset:         48
        .size:           8
        .value_kind:     global_buffer
      - .offset:         56
        .size:           4
        .value_kind:     by_value
      - .actual_access:  read_only
        .address_space:  global
        .offset:         64
        .size:           8
        .value_kind:     global_buffer
      - .offset:         72
        .size:           4
        .value_kind:     by_value
      - .offset:         76
        .size:           4
        .value_kind:     by_value
      - .offset:         80
        .size:           4
        .value_kind:     by_value
      - .actual_access:  write_only
        .address_space:  global
        .offset:         88
        .size:           8
        .value_kind:     global_buffer
      - .actual_access:  write_only
        .address_space:  global
        .offset:         96
        .size:           8
        .value_kind:     global_buffer
      - .actual_access:  write_only
        .address_space:  global
        .offset:         104
        .size:           8
        .value_kind:     global_buffer
      - .actual_access:  read_only
        .address_space:  global
        .offset:         112
        .size:           8
        .value_kind:     global_buffer
      - .offset:         120
        .size:           4
        .value_kind:     by_value
      - .address_space:  global
        .offset:         128
        .size:           8
        .value_kind:     global_buffer
      - .address_space:  global
        .offset:         136
        .size:           8
        .value_kind:     global_buffer
      - .offset:         144
        .size:           4
        .value_kind:     hidden_block_count_x
      - .offset:         148
        .size:           4
        .value_kind:     hidden_block_count_y
      - .offset:         152
        .size:           4
        .value_kind:     hidden_block_count_z
      - .offset:         156
        .size:           2
        .value_kind:     hidden_group_size_x
      - .offset:         158
        .size:           2
        .value_kind:     hidden_group_size_y
      - .offset:         160
        .size:           2
        .value_kind:     hidden_group_size_z
      - .offset:         162
        .size:           2
        .value_kind:     hidden_remainder_x
      - .offset:         164
        .size:           2
        .value_kind:     hidden_remainder_y
      - .offset:         166
        .size:           2
        .value_kind:     hidden_remainder_z
      - .offset:         184
        .size:           8
        .value_kind:     hidden_global_offset_x
      - .offset:         192
        .size:           8
        .value_kind:     hidden_global_offset_y
      - .offset:         200
        .size:           8
        .value_kind:     hidden_global_offset_z
      - .offset:         208
        .size:           2
        .value_kind:     hidden_grid_dims
    .group_segment_fixed_size: 17472
    .kernarg_segment_align: 8
    .kernarg_segment_size: 400
    .language:       OpenCL C
    .language_version:
      - 2
      - 0
    .max_flat_workgroup_size: 256
    .name:           _Z39paged_attention_ll4mi_QKV_mfma16_kernelI14__hip_bfloat16S0_LN4vllm18Fp8KVCacheDataTypeE0EhLi32ELi64ELi256ELb0ELi13EL8MFMAType0EEvPKT_PKT0_S9_ifPKiSB_SB_iPKfiiiPfSE_PS4_PT2_iSD_SD_
    .private_segment_fixed_size: 0
    .sgpr_count:     41
    .sgpr_spill_count: 0
    .symbol:         _Z39paged_attention_ll4mi_QKV_mfma16_kernelI14__hip_bfloat16S0_LN4vllm18Fp8KVCacheDataTypeE0EhLi32ELi64ELi256ELb0ELi13EL8MFMAType0EEvPKT_PKT0_S9_ifPKiSB_SB_iPKfiiiPfSE_PS4_PT2_iSD_SD_.kd
    .uniform_work_group_size: 1
    .uses_dynamic_stack: false
    .vgpr_count:     142
    .vgpr_spill_count: 0
    .wavefront_size: 32
    .workgroup_processor_mode: 1
  - .args:
      - .actual_access:  read_only
        .address_space:  global
        .offset:         0
        .size:           8
        .value_kind:     global_buffer
      - .actual_access:  read_only
        .address_space:  global
        .offset:         8
        .size:           8
        .value_kind:     global_buffer
      - .actual_access:  read_only
        .address_space:  global
        .offset:         16
        .size:           8
        .value_kind:     global_buffer
      - .offset:         24
        .size:           4
        .value_kind:     by_value
      - .offset:         28
        .size:           4
        .value_kind:     by_value
      - .actual_access:  read_only
        .address_space:  global
        .offset:         32
        .size:           8
        .value_kind:     global_buffer
      - .actual_access:  read_only
        .address_space:  global
        .offset:         40
        .size:           8
        .value_kind:     global_buffer
      - .actual_access:  read_only
        .address_space:  global
        .offset:         48
        .size:           8
        .value_kind:     global_buffer
      - .offset:         56
        .size:           4
        .value_kind:     by_value
      - .actual_access:  read_only
        .address_space:  global
        .offset:         64
        .size:           8
        .value_kind:     global_buffer
      - .offset:         72
        .size:           4
        .value_kind:     by_value
      - .offset:         76
        .size:           4
        .value_kind:     by_value
      - .offset:         80
        .size:           4
        .value_kind:     by_value
      - .actual_access:  write_only
        .address_space:  global
        .offset:         88
        .size:           8
        .value_kind:     global_buffer
      - .actual_access:  write_only
        .address_space:  global
        .offset:         96
        .size:           8
        .value_kind:     global_buffer
      - .actual_access:  write_only
        .address_space:  global
        .offset:         104
        .size:           8
        .value_kind:     global_buffer
      - .actual_access:  read_only
        .address_space:  global
        .offset:         112
        .size:           8
        .value_kind:     global_buffer
      - .offset:         120
        .size:           4
        .value_kind:     by_value
      - .address_space:  global
        .offset:         128
        .size:           8
        .value_kind:     global_buffer
      - .address_space:  global
        .offset:         136
        .size:           8
        .value_kind:     global_buffer
      - .offset:         144
        .size:           4
        .value_kind:     hidden_block_count_x
      - .offset:         148
        .size:           4
        .value_kind:     hidden_block_count_y
      - .offset:         152
        .size:           4
        .value_kind:     hidden_block_count_z
      - .offset:         156
        .size:           2
        .value_kind:     hidden_group_size_x
      - .offset:         158
        .size:           2
        .value_kind:     hidden_group_size_y
      - .offset:         160
        .size:           2
        .value_kind:     hidden_group_size_z
      - .offset:         162
        .size:           2
        .value_kind:     hidden_remainder_x
      - .offset:         164
        .size:           2
        .value_kind:     hidden_remainder_y
      - .offset:         166
        .size:           2
        .value_kind:     hidden_remainder_z
      - .offset:         184
        .size:           8
        .value_kind:     hidden_global_offset_x
      - .offset:         192
        .size:           8
        .value_kind:     hidden_global_offset_y
      - .offset:         200
        .size:           8
        .value_kind:     hidden_global_offset_z
      - .offset:         208
        .size:           2
        .value_kind:     hidden_grid_dims
    .group_segment_fixed_size: 17472
    .kernarg_segment_align: 8
    .kernarg_segment_size: 400
    .language:       OpenCL C
    .language_version:
      - 2
      - 0
    .max_flat_workgroup_size: 256
    .name:           _Z39paged_attention_ll4mi_QKV_mfma16_kernelI14__hip_bfloat16S0_LN4vllm18Fp8KVCacheDataTypeE0EhLi32ELi64ELi256ELb0ELi14EL8MFMAType0EEvPKT_PKT0_S9_ifPKiSB_SB_iPKfiiiPfSE_PS4_PT2_iSD_SD_
    .private_segment_fixed_size: 0
    .sgpr_count:     40
    .sgpr_spill_count: 0
    .symbol:         _Z39paged_attention_ll4mi_QKV_mfma16_kernelI14__hip_bfloat16S0_LN4vllm18Fp8KVCacheDataTypeE0EhLi32ELi64ELi256ELb0ELi14EL8MFMAType0EEvPKT_PKT0_S9_ifPKiSB_SB_iPKfiiiPfSE_PS4_PT2_iSD_SD_.kd
    .uniform_work_group_size: 1
    .uses_dynamic_stack: false
    .vgpr_count:     142
    .vgpr_spill_count: 0
    .wavefront_size: 32
    .workgroup_processor_mode: 1
  - .args:
      - .actual_access:  read_only
        .address_space:  global
        .offset:         0
        .size:           8
        .value_kind:     global_buffer
      - .actual_access:  read_only
        .address_space:  global
        .offset:         8
        .size:           8
        .value_kind:     global_buffer
      - .actual_access:  read_only
        .address_space:  global
        .offset:         16
        .size:           8
        .value_kind:     global_buffer
      - .offset:         24
        .size:           4
        .value_kind:     by_value
      - .offset:         28
        .size:           4
        .value_kind:     by_value
      - .actual_access:  read_only
        .address_space:  global
        .offset:         32
        .size:           8
        .value_kind:     global_buffer
      - .actual_access:  read_only
        .address_space:  global
        .offset:         40
        .size:           8
        .value_kind:     global_buffer
      - .actual_access:  read_only
        .address_space:  global
        .offset:         48
        .size:           8
        .value_kind:     global_buffer
      - .offset:         56
        .size:           4
        .value_kind:     by_value
      - .actual_access:  read_only
        .address_space:  global
        .offset:         64
        .size:           8
        .value_kind:     global_buffer
      - .offset:         72
        .size:           4
        .value_kind:     by_value
      - .offset:         76
        .size:           4
        .value_kind:     by_value
      - .offset:         80
        .size:           4
        .value_kind:     by_value
      - .actual_access:  write_only
        .address_space:  global
        .offset:         88
        .size:           8
        .value_kind:     global_buffer
      - .actual_access:  write_only
        .address_space:  global
        .offset:         96
        .size:           8
        .value_kind:     global_buffer
      - .actual_access:  write_only
        .address_space:  global
        .offset:         104
        .size:           8
        .value_kind:     global_buffer
      - .actual_access:  read_only
        .address_space:  global
        .offset:         112
        .size:           8
        .value_kind:     global_buffer
      - .offset:         120
        .size:           4
        .value_kind:     by_value
      - .address_space:  global
        .offset:         128
        .size:           8
        .value_kind:     global_buffer
      - .address_space:  global
        .offset:         136
        .size:           8
        .value_kind:     global_buffer
      - .offset:         144
        .size:           4
        .value_kind:     hidden_block_count_x
      - .offset:         148
        .size:           4
        .value_kind:     hidden_block_count_y
      - .offset:         152
        .size:           4
        .value_kind:     hidden_block_count_z
      - .offset:         156
        .size:           2
        .value_kind:     hidden_group_size_x
      - .offset:         158
        .size:           2
        .value_kind:     hidden_group_size_y
      - .offset:         160
        .size:           2
        .value_kind:     hidden_group_size_z
      - .offset:         162
        .size:           2
        .value_kind:     hidden_remainder_x
      - .offset:         164
        .size:           2
        .value_kind:     hidden_remainder_y
      - .offset:         166
        .size:           2
        .value_kind:     hidden_remainder_z
      - .offset:         184
        .size:           8
        .value_kind:     hidden_global_offset_x
      - .offset:         192
        .size:           8
        .value_kind:     hidden_global_offset_y
      - .offset:         200
        .size:           8
        .value_kind:     hidden_global_offset_z
      - .offset:         208
        .size:           2
        .value_kind:     hidden_grid_dims
    .group_segment_fixed_size: 17472
    .kernarg_segment_align: 8
    .kernarg_segment_size: 400
    .language:       OpenCL C
    .language_version:
      - 2
      - 0
    .max_flat_workgroup_size: 256
    .name:           _Z39paged_attention_ll4mi_QKV_mfma16_kernelI14__hip_bfloat16S0_LN4vllm18Fp8KVCacheDataTypeE0EhLi32ELi64ELi256ELb0ELi15EL8MFMAType0EEvPKT_PKT0_S9_ifPKiSB_SB_iPKfiiiPfSE_PS4_PT2_iSD_SD_
    .private_segment_fixed_size: 0
    .sgpr_count:     41
    .sgpr_spill_count: 0
    .symbol:         _Z39paged_attention_ll4mi_QKV_mfma16_kernelI14__hip_bfloat16S0_LN4vllm18Fp8KVCacheDataTypeE0EhLi32ELi64ELi256ELb0ELi15EL8MFMAType0EEvPKT_PKT0_S9_ifPKiSB_SB_iPKfiiiPfSE_PS4_PT2_iSD_SD_.kd
    .uniform_work_group_size: 1
    .uses_dynamic_stack: false
    .vgpr_count:     142
    .vgpr_spill_count: 0
    .wavefront_size: 32
    .workgroup_processor_mode: 1
  - .args:
      - .actual_access:  read_only
        .address_space:  global
        .offset:         0
        .size:           8
        .value_kind:     global_buffer
      - .actual_access:  read_only
        .address_space:  global
        .offset:         8
        .size:           8
        .value_kind:     global_buffer
      - .actual_access:  read_only
        .address_space:  global
        .offset:         16
        .size:           8
        .value_kind:     global_buffer
      - .offset:         24
        .size:           4
        .value_kind:     by_value
      - .offset:         28
        .size:           4
        .value_kind:     by_value
      - .actual_access:  read_only
        .address_space:  global
        .offset:         32
        .size:           8
        .value_kind:     global_buffer
      - .actual_access:  read_only
        .address_space:  global
        .offset:         40
        .size:           8
        .value_kind:     global_buffer
      - .actual_access:  read_only
        .address_space:  global
        .offset:         48
        .size:           8
        .value_kind:     global_buffer
      - .offset:         56
        .size:           4
        .value_kind:     by_value
      - .actual_access:  read_only
        .address_space:  global
        .offset:         64
        .size:           8
        .value_kind:     global_buffer
      - .offset:         72
        .size:           4
        .value_kind:     by_value
      - .offset:         76
        .size:           4
        .value_kind:     by_value
      - .offset:         80
        .size:           4
        .value_kind:     by_value
      - .actual_access:  write_only
        .address_space:  global
        .offset:         88
        .size:           8
        .value_kind:     global_buffer
      - .actual_access:  write_only
        .address_space:  global
        .offset:         96
        .size:           8
        .value_kind:     global_buffer
      - .actual_access:  write_only
        .address_space:  global
        .offset:         104
        .size:           8
        .value_kind:     global_buffer
      - .actual_access:  read_only
        .address_space:  global
        .offset:         112
        .size:           8
        .value_kind:     global_buffer
      - .offset:         120
        .size:           4
        .value_kind:     by_value
      - .address_space:  global
        .offset:         128
        .size:           8
        .value_kind:     global_buffer
      - .address_space:  global
        .offset:         136
        .size:           8
        .value_kind:     global_buffer
      - .offset:         144
        .size:           4
        .value_kind:     hidden_block_count_x
      - .offset:         148
        .size:           4
        .value_kind:     hidden_block_count_y
      - .offset:         152
        .size:           4
        .value_kind:     hidden_block_count_z
      - .offset:         156
        .size:           2
        .value_kind:     hidden_group_size_x
      - .offset:         158
        .size:           2
        .value_kind:     hidden_group_size_y
      - .offset:         160
        .size:           2
        .value_kind:     hidden_group_size_z
      - .offset:         162
        .size:           2
        .value_kind:     hidden_remainder_x
      - .offset:         164
        .size:           2
        .value_kind:     hidden_remainder_y
      - .offset:         166
        .size:           2
        .value_kind:     hidden_remainder_z
      - .offset:         184
        .size:           8
        .value_kind:     hidden_global_offset_x
      - .offset:         192
        .size:           8
        .value_kind:     hidden_global_offset_y
      - .offset:         200
        .size:           8
        .value_kind:     hidden_global_offset_z
      - .offset:         208
        .size:           2
        .value_kind:     hidden_grid_dims
    .group_segment_fixed_size: 17472
    .kernarg_segment_align: 8
    .kernarg_segment_size: 400
    .language:       OpenCL C
    .language_version:
      - 2
      - 0
    .max_flat_workgroup_size: 256
    .name:           _Z39paged_attention_ll4mi_QKV_mfma16_kernelI14__hip_bfloat16S0_LN4vllm18Fp8KVCacheDataTypeE0EhLi32ELi64ELi256ELb0ELi16EL8MFMAType0EEvPKT_PKT0_S9_ifPKiSB_SB_iPKfiiiPfSE_PS4_PT2_iSD_SD_
    .private_segment_fixed_size: 0
    .sgpr_count:     40
    .sgpr_spill_count: 0
    .symbol:         _Z39paged_attention_ll4mi_QKV_mfma16_kernelI14__hip_bfloat16S0_LN4vllm18Fp8KVCacheDataTypeE0EhLi32ELi64ELi256ELb0ELi16EL8MFMAType0EEvPKT_PKT0_S9_ifPKiSB_SB_iPKfiiiPfSE_PS4_PT2_iSD_SD_.kd
    .uniform_work_group_size: 1
    .uses_dynamic_stack: false
    .vgpr_count:     142
    .vgpr_spill_count: 0
    .wavefront_size: 32
    .workgroup_processor_mode: 1
  - .args:
      - .actual_access:  read_only
        .address_space:  global
        .offset:         0
        .size:           8
        .value_kind:     global_buffer
      - .actual_access:  read_only
        .address_space:  global
        .offset:         8
        .size:           8
        .value_kind:     global_buffer
      - .actual_access:  read_only
        .address_space:  global
        .offset:         16
        .size:           8
        .value_kind:     global_buffer
      - .offset:         24
        .size:           4
        .value_kind:     by_value
      - .offset:         28
        .size:           4
        .value_kind:     by_value
      - .actual_access:  read_only
        .address_space:  global
        .offset:         32
        .size:           8
        .value_kind:     global_buffer
      - .actual_access:  read_only
        .address_space:  global
        .offset:         40
        .size:           8
        .value_kind:     global_buffer
      - .actual_access:  read_only
        .address_space:  global
        .offset:         48
        .size:           8
        .value_kind:     global_buffer
      - .offset:         56
        .size:           4
        .value_kind:     by_value
      - .actual_access:  read_only
        .address_space:  global
        .offset:         64
        .size:           8
        .value_kind:     global_buffer
      - .offset:         72
        .size:           4
        .value_kind:     by_value
      - .offset:         76
        .size:           4
        .value_kind:     by_value
      - .offset:         80
        .size:           4
        .value_kind:     by_value
      - .actual_access:  write_only
        .address_space:  global
        .offset:         88
        .size:           8
        .value_kind:     global_buffer
      - .actual_access:  write_only
        .address_space:  global
        .offset:         96
        .size:           8
        .value_kind:     global_buffer
      - .actual_access:  write_only
        .address_space:  global
        .offset:         104
        .size:           8
        .value_kind:     global_buffer
      - .actual_access:  read_only
        .address_space:  global
        .offset:         112
        .size:           8
        .value_kind:     global_buffer
      - .offset:         120
        .size:           4
        .value_kind:     by_value
      - .address_space:  global
        .offset:         128
        .size:           8
        .value_kind:     global_buffer
      - .address_space:  global
        .offset:         136
        .size:           8
        .value_kind:     global_buffer
      - .offset:         144
        .size:           4
        .value_kind:     hidden_block_count_x
      - .offset:         148
        .size:           4
        .value_kind:     hidden_block_count_y
      - .offset:         152
        .size:           4
        .value_kind:     hidden_block_count_z
      - .offset:         156
        .size:           2
        .value_kind:     hidden_group_size_x
      - .offset:         158
        .size:           2
        .value_kind:     hidden_group_size_y
      - .offset:         160
        .size:           2
        .value_kind:     hidden_group_size_z
      - .offset:         162
        .size:           2
        .value_kind:     hidden_remainder_x
      - .offset:         164
        .size:           2
        .value_kind:     hidden_remainder_y
      - .offset:         166
        .size:           2
        .value_kind:     hidden_remainder_z
      - .offset:         184
        .size:           8
        .value_kind:     hidden_global_offset_x
      - .offset:         192
        .size:           8
        .value_kind:     hidden_global_offset_y
      - .offset:         200
        .size:           8
        .value_kind:     hidden_global_offset_z
      - .offset:         208
        .size:           2
        .value_kind:     hidden_grid_dims
    .group_segment_fixed_size: 17472
    .kernarg_segment_align: 8
    .kernarg_segment_size: 400
    .language:       OpenCL C
    .language_version:
      - 2
      - 0
    .max_flat_workgroup_size: 256
    .name:           _Z39paged_attention_ll4mi_QKV_mfma16_kernelI14__hip_bfloat16S0_LN4vllm18Fp8KVCacheDataTypeE0EhLi32ELi64ELi256ELb0ELi1EL8MFMAType0EEvPKT_PKT0_S9_ifPKiSB_SB_iPKfiiiPfSE_PS4_PT2_iSD_SD_
    .private_segment_fixed_size: 0
    .sgpr_count:     71
    .sgpr_spill_count: 0
    .symbol:         _Z39paged_attention_ll4mi_QKV_mfma16_kernelI14__hip_bfloat16S0_LN4vllm18Fp8KVCacheDataTypeE0EhLi32ELi64ELi256ELb0ELi1EL8MFMAType0EEvPKT_PKT0_S9_ifPKiSB_SB_iPKfiiiPfSE_PS4_PT2_iSD_SD_.kd
    .uniform_work_group_size: 1
    .uses_dynamic_stack: false
    .vgpr_count:     138
    .vgpr_spill_count: 0
    .wavefront_size: 32
    .workgroup_processor_mode: 1
  - .args:
      - .actual_access:  read_only
        .address_space:  global
        .offset:         0
        .size:           8
        .value_kind:     global_buffer
      - .actual_access:  read_only
        .address_space:  global
        .offset:         8
        .size:           8
        .value_kind:     global_buffer
      - .actual_access:  read_only
        .address_space:  global
        .offset:         16
        .size:           8
        .value_kind:     global_buffer
      - .offset:         24
        .size:           4
        .value_kind:     by_value
      - .offset:         28
        .size:           4
        .value_kind:     by_value
      - .actual_access:  read_only
        .address_space:  global
        .offset:         32
        .size:           8
        .value_kind:     global_buffer
      - .actual_access:  read_only
        .address_space:  global
        .offset:         40
        .size:           8
        .value_kind:     global_buffer
      - .actual_access:  read_only
        .address_space:  global
        .offset:         48
        .size:           8
        .value_kind:     global_buffer
      - .offset:         56
        .size:           4
        .value_kind:     by_value
      - .actual_access:  read_only
        .address_space:  global
        .offset:         64
        .size:           8
        .value_kind:     global_buffer
      - .offset:         72
        .size:           4
        .value_kind:     by_value
      - .offset:         76
        .size:           4
        .value_kind:     by_value
      - .offset:         80
        .size:           4
        .value_kind:     by_value
      - .actual_access:  write_only
        .address_space:  global
        .offset:         88
        .size:           8
        .value_kind:     global_buffer
      - .actual_access:  write_only
        .address_space:  global
        .offset:         96
        .size:           8
        .value_kind:     global_buffer
      - .actual_access:  write_only
        .address_space:  global
        .offset:         104
        .size:           8
        .value_kind:     global_buffer
      - .actual_access:  read_only
        .address_space:  global
        .offset:         112
        .size:           8
        .value_kind:     global_buffer
      - .offset:         120
        .size:           4
        .value_kind:     by_value
      - .address_space:  global
        .offset:         128
        .size:           8
        .value_kind:     global_buffer
      - .address_space:  global
        .offset:         136
        .size:           8
        .value_kind:     global_buffer
      - .offset:         144
        .size:           4
        .value_kind:     hidden_block_count_x
      - .offset:         148
        .size:           4
        .value_kind:     hidden_block_count_y
      - .offset:         152
        .size:           4
        .value_kind:     hidden_block_count_z
      - .offset:         156
        .size:           2
        .value_kind:     hidden_group_size_x
      - .offset:         158
        .size:           2
        .value_kind:     hidden_group_size_y
      - .offset:         160
        .size:           2
        .value_kind:     hidden_group_size_z
      - .offset:         162
        .size:           2
        .value_kind:     hidden_remainder_x
      - .offset:         164
        .size:           2
        .value_kind:     hidden_remainder_y
      - .offset:         166
        .size:           2
        .value_kind:     hidden_remainder_z
      - .offset:         184
        .size:           8
        .value_kind:     hidden_global_offset_x
      - .offset:         192
        .size:           8
        .value_kind:     hidden_global_offset_y
      - .offset:         200
        .size:           8
        .value_kind:     hidden_global_offset_z
      - .offset:         208
        .size:           2
        .value_kind:     hidden_grid_dims
    .group_segment_fixed_size: 17472
    .kernarg_segment_align: 8
    .kernarg_segment_size: 400
    .language:       OpenCL C
    .language_version:
      - 2
      - 0
    .max_flat_workgroup_size: 256
    .name:           _Z39paged_attention_ll4mi_QKV_mfma16_kernelI14__hip_bfloat16S0_LN4vllm18Fp8KVCacheDataTypeE0EhLi32ELi64ELi256ELb0ELi2EL8MFMAType0EEvPKT_PKT0_S9_ifPKiSB_SB_iPKfiiiPfSE_PS4_PT2_iSD_SD_
    .private_segment_fixed_size: 0
    .sgpr_count:     41
    .sgpr_spill_count: 0
    .symbol:         _Z39paged_attention_ll4mi_QKV_mfma16_kernelI14__hip_bfloat16S0_LN4vllm18Fp8KVCacheDataTypeE0EhLi32ELi64ELi256ELb0ELi2EL8MFMAType0EEvPKT_PKT0_S9_ifPKiSB_SB_iPKfiiiPfSE_PS4_PT2_iSD_SD_.kd
    .uniform_work_group_size: 1
    .uses_dynamic_stack: false
    .vgpr_count:     144
    .vgpr_spill_count: 0
    .wavefront_size: 32
    .workgroup_processor_mode: 1
  - .args:
      - .actual_access:  read_only
        .address_space:  global
        .offset:         0
        .size:           8
        .value_kind:     global_buffer
      - .actual_access:  read_only
        .address_space:  global
        .offset:         8
        .size:           8
        .value_kind:     global_buffer
      - .actual_access:  read_only
        .address_space:  global
        .offset:         16
        .size:           8
        .value_kind:     global_buffer
      - .offset:         24
        .size:           4
        .value_kind:     by_value
      - .offset:         28
        .size:           4
        .value_kind:     by_value
      - .actual_access:  read_only
        .address_space:  global
        .offset:         32
        .size:           8
        .value_kind:     global_buffer
      - .actual_access:  read_only
        .address_space:  global
        .offset:         40
        .size:           8
        .value_kind:     global_buffer
      - .actual_access:  read_only
        .address_space:  global
        .offset:         48
        .size:           8
        .value_kind:     global_buffer
      - .offset:         56
        .size:           4
        .value_kind:     by_value
      - .actual_access:  read_only
        .address_space:  global
        .offset:         64
        .size:           8
        .value_kind:     global_buffer
      - .offset:         72
        .size:           4
        .value_kind:     by_value
      - .offset:         76
        .size:           4
        .value_kind:     by_value
      - .offset:         80
        .size:           4
        .value_kind:     by_value
      - .actual_access:  write_only
        .address_space:  global
        .offset:         88
        .size:           8
        .value_kind:     global_buffer
      - .actual_access:  write_only
        .address_space:  global
        .offset:         96
        .size:           8
        .value_kind:     global_buffer
      - .actual_access:  write_only
        .address_space:  global
        .offset:         104
        .size:           8
        .value_kind:     global_buffer
      - .actual_access:  read_only
        .address_space:  global
        .offset:         112
        .size:           8
        .value_kind:     global_buffer
      - .offset:         120
        .size:           4
        .value_kind:     by_value
      - .address_space:  global
        .offset:         128
        .size:           8
        .value_kind:     global_buffer
      - .address_space:  global
        .offset:         136
        .size:           8
        .value_kind:     global_buffer
      - .offset:         144
        .size:           4
        .value_kind:     hidden_block_count_x
      - .offset:         148
        .size:           4
        .value_kind:     hidden_block_count_y
      - .offset:         152
        .size:           4
        .value_kind:     hidden_block_count_z
      - .offset:         156
        .size:           2
        .value_kind:     hidden_group_size_x
      - .offset:         158
        .size:           2
        .value_kind:     hidden_group_size_y
      - .offset:         160
        .size:           2
        .value_kind:     hidden_group_size_z
      - .offset:         162
        .size:           2
        .value_kind:     hidden_remainder_x
      - .offset:         164
        .size:           2
        .value_kind:     hidden_remainder_y
      - .offset:         166
        .size:           2
        .value_kind:     hidden_remainder_z
      - .offset:         184
        .size:           8
        .value_kind:     hidden_global_offset_x
      - .offset:         192
        .size:           8
        .value_kind:     hidden_global_offset_y
      - .offset:         200
        .size:           8
        .value_kind:     hidden_global_offset_z
      - .offset:         208
        .size:           2
        .value_kind:     hidden_grid_dims
    .group_segment_fixed_size: 17472
    .kernarg_segment_align: 8
    .kernarg_segment_size: 400
    .language:       OpenCL C
    .language_version:
      - 2
      - 0
    .max_flat_workgroup_size: 256
    .name:           _Z39paged_attention_ll4mi_QKV_mfma16_kernelI14__hip_bfloat16S0_LN4vllm18Fp8KVCacheDataTypeE0EhLi32ELi64ELi256ELb0ELi3EL8MFMAType0EEvPKT_PKT0_S9_ifPKiSB_SB_iPKfiiiPfSE_PS4_PT2_iSD_SD_
    .private_segment_fixed_size: 0
    .sgpr_count:     41
    .sgpr_spill_count: 0
    .symbol:         _Z39paged_attention_ll4mi_QKV_mfma16_kernelI14__hip_bfloat16S0_LN4vllm18Fp8KVCacheDataTypeE0EhLi32ELi64ELi256ELb0ELi3EL8MFMAType0EEvPKT_PKT0_S9_ifPKiSB_SB_iPKfiiiPfSE_PS4_PT2_iSD_SD_.kd
    .uniform_work_group_size: 1
    .uses_dynamic_stack: false
    .vgpr_count:     142
    .vgpr_spill_count: 0
    .wavefront_size: 32
    .workgroup_processor_mode: 1
  - .args:
      - .actual_access:  read_only
        .address_space:  global
        .offset:         0
        .size:           8
        .value_kind:     global_buffer
      - .actual_access:  read_only
        .address_space:  global
        .offset:         8
        .size:           8
        .value_kind:     global_buffer
      - .actual_access:  read_only
        .address_space:  global
        .offset:         16
        .size:           8
        .value_kind:     global_buffer
      - .offset:         24
        .size:           4
        .value_kind:     by_value
      - .offset:         28
        .size:           4
        .value_kind:     by_value
      - .actual_access:  read_only
        .address_space:  global
        .offset:         32
        .size:           8
        .value_kind:     global_buffer
      - .actual_access:  read_only
        .address_space:  global
        .offset:         40
        .size:           8
        .value_kind:     global_buffer
      - .actual_access:  read_only
        .address_space:  global
        .offset:         48
        .size:           8
        .value_kind:     global_buffer
      - .offset:         56
        .size:           4
        .value_kind:     by_value
      - .actual_access:  read_only
        .address_space:  global
        .offset:         64
        .size:           8
        .value_kind:     global_buffer
      - .offset:         72
        .size:           4
        .value_kind:     by_value
      - .offset:         76
        .size:           4
        .value_kind:     by_value
      - .offset:         80
        .size:           4
        .value_kind:     by_value
      - .actual_access:  write_only
        .address_space:  global
        .offset:         88
        .size:           8
        .value_kind:     global_buffer
      - .actual_access:  write_only
        .address_space:  global
        .offset:         96
        .size:           8
        .value_kind:     global_buffer
      - .actual_access:  write_only
        .address_space:  global
        .offset:         104
        .size:           8
        .value_kind:     global_buffer
      - .actual_access:  read_only
        .address_space:  global
        .offset:         112
        .size:           8
        .value_kind:     global_buffer
      - .offset:         120
        .size:           4
        .value_kind:     by_value
      - .address_space:  global
        .offset:         128
        .size:           8
        .value_kind:     global_buffer
      - .address_space:  global
        .offset:         136
        .size:           8
        .value_kind:     global_buffer
      - .offset:         144
        .size:           4
        .value_kind:     hidden_block_count_x
      - .offset:         148
        .size:           4
        .value_kind:     hidden_block_count_y
      - .offset:         152
        .size:           4
        .value_kind:     hidden_block_count_z
      - .offset:         156
        .size:           2
        .value_kind:     hidden_group_size_x
      - .offset:         158
        .size:           2
        .value_kind:     hidden_group_size_y
      - .offset:         160
        .size:           2
        .value_kind:     hidden_group_size_z
      - .offset:         162
        .size:           2
        .value_kind:     hidden_remainder_x
      - .offset:         164
        .size:           2
        .value_kind:     hidden_remainder_y
      - .offset:         166
        .size:           2
        .value_kind:     hidden_remainder_z
      - .offset:         184
        .size:           8
        .value_kind:     hidden_global_offset_x
      - .offset:         192
        .size:           8
        .value_kind:     hidden_global_offset_y
      - .offset:         200
        .size:           8
        .value_kind:     hidden_global_offset_z
      - .offset:         208
        .size:           2
        .value_kind:     hidden_grid_dims
    .group_segment_fixed_size: 17472
    .kernarg_segment_align: 8
    .kernarg_segment_size: 400
    .language:       OpenCL C
    .language_version:
      - 2
      - 0
    .max_flat_workgroup_size: 256
    .name:           _Z39paged_attention_ll4mi_QKV_mfma16_kernelI14__hip_bfloat16S0_LN4vllm18Fp8KVCacheDataTypeE0EhLi32ELi64ELi256ELb0ELi4EL8MFMAType0EEvPKT_PKT0_S9_ifPKiSB_SB_iPKfiiiPfSE_PS4_PT2_iSD_SD_
    .private_segment_fixed_size: 0
    .sgpr_count:     40
    .sgpr_spill_count: 0
    .symbol:         _Z39paged_attention_ll4mi_QKV_mfma16_kernelI14__hip_bfloat16S0_LN4vllm18Fp8KVCacheDataTypeE0EhLi32ELi64ELi256ELb0ELi4EL8MFMAType0EEvPKT_PKT0_S9_ifPKiSB_SB_iPKfiiiPfSE_PS4_PT2_iSD_SD_.kd
    .uniform_work_group_size: 1
    .uses_dynamic_stack: false
    .vgpr_count:     142
    .vgpr_spill_count: 0
    .wavefront_size: 32
    .workgroup_processor_mode: 1
  - .args:
      - .actual_access:  read_only
        .address_space:  global
        .offset:         0
        .size:           8
        .value_kind:     global_buffer
      - .actual_access:  read_only
        .address_space:  global
        .offset:         8
        .size:           8
        .value_kind:     global_buffer
      - .actual_access:  read_only
        .address_space:  global
        .offset:         16
        .size:           8
        .value_kind:     global_buffer
      - .offset:         24
        .size:           4
        .value_kind:     by_value
      - .offset:         28
        .size:           4
        .value_kind:     by_value
      - .actual_access:  read_only
        .address_space:  global
        .offset:         32
        .size:           8
        .value_kind:     global_buffer
      - .actual_access:  read_only
        .address_space:  global
        .offset:         40
        .size:           8
        .value_kind:     global_buffer
      - .actual_access:  read_only
        .address_space:  global
        .offset:         48
        .size:           8
        .value_kind:     global_buffer
      - .offset:         56
        .size:           4
        .value_kind:     by_value
      - .actual_access:  read_only
        .address_space:  global
        .offset:         64
        .size:           8
        .value_kind:     global_buffer
      - .offset:         72
        .size:           4
        .value_kind:     by_value
      - .offset:         76
        .size:           4
        .value_kind:     by_value
      - .offset:         80
        .size:           4
        .value_kind:     by_value
      - .actual_access:  read_only
        .address_space:  global
        .offset:         88
        .size:           8
        .value_kind:     global_buffer
      - .actual_access:  read_only
        .address_space:  global
        .offset:         96
        .size:           8
        .value_kind:     global_buffer
      - .actual_access:  read_only
        .address_space:  global
        .offset:         104
        .size:           8
        .value_kind:     global_buffer
      - .actual_access:  read_only
        .address_space:  global
        .offset:         112
        .size:           8
        .value_kind:     global_buffer
      - .offset:         120
        .size:           4
        .value_kind:     by_value
      - .address_space:  global
        .offset:         128
        .size:           8
        .value_kind:     global_buffer
      - .address_space:  global
        .offset:         136
        .size:           8
        .value_kind:     global_buffer
      - .offset:         144
        .size:           4
        .value_kind:     hidden_block_count_x
      - .offset:         148
        .size:           4
        .value_kind:     hidden_block_count_y
      - .offset:         152
        .size:           4
        .value_kind:     hidden_block_count_z
      - .offset:         156
        .size:           2
        .value_kind:     hidden_group_size_x
      - .offset:         158
        .size:           2
        .value_kind:     hidden_group_size_y
      - .offset:         160
        .size:           2
        .value_kind:     hidden_group_size_z
      - .offset:         162
        .size:           2
        .value_kind:     hidden_remainder_x
      - .offset:         164
        .size:           2
        .value_kind:     hidden_remainder_y
      - .offset:         166
        .size:           2
        .value_kind:     hidden_remainder_z
      - .offset:         184
        .size:           8
        .value_kind:     hidden_global_offset_x
      - .offset:         192
        .size:           8
        .value_kind:     hidden_global_offset_y
      - .offset:         200
        .size:           8
        .value_kind:     hidden_global_offset_z
      - .offset:         208
        .size:           2
        .value_kind:     hidden_grid_dims
      - .offset:         224
        .size:           8
        .value_kind:     hidden_hostcall_buffer
    .group_segment_fixed_size: 0
    .kernarg_segment_align: 8
    .kernarg_segment_size: 400
    .language:       OpenCL C
    .language_version:
      - 2
      - 0
    .max_flat_workgroup_size: 256
    .name:           _Z38paged_attention_ll4mi_QKV_mfma4_kernelI14__hip_bfloat16S0_LN4vllm18Fp8KVCacheDataTypeE0ES0_Li32ELi64ELi256ELb1ELi1EEvPKT_PKT0_S8_ifPKiSA_SA_iPKfiiiPfSD_PS3_PT2_iSC_SC_
    .private_segment_fixed_size: 64
    .sgpr_count:     36
    .sgpr_spill_count: 0
    .symbol:         _Z38paged_attention_ll4mi_QKV_mfma4_kernelI14__hip_bfloat16S0_LN4vllm18Fp8KVCacheDataTypeE0ES0_Li32ELi64ELi256ELb1ELi1EEvPKT_PKT0_S8_ifPKiSA_SA_iPKfiiiPfSD_PS3_PT2_iSC_SC_.kd
    .uniform_work_group_size: 1
    .uses_dynamic_stack: false
    .vgpr_count:     41
    .vgpr_spill_count: 0
    .wavefront_size: 32
    .workgroup_processor_mode: 1
  - .args:
      - .actual_access:  read_only
        .address_space:  global
        .offset:         0
        .size:           8
        .value_kind:     global_buffer
      - .actual_access:  read_only
        .address_space:  global
        .offset:         8
        .size:           8
        .value_kind:     global_buffer
      - .actual_access:  read_only
        .address_space:  global
        .offset:         16
        .size:           8
        .value_kind:     global_buffer
      - .offset:         24
        .size:           4
        .value_kind:     by_value
      - .offset:         28
        .size:           4
        .value_kind:     by_value
      - .actual_access:  read_only
        .address_space:  global
        .offset:         32
        .size:           8
        .value_kind:     global_buffer
      - .actual_access:  read_only
        .address_space:  global
        .offset:         40
        .size:           8
        .value_kind:     global_buffer
      - .actual_access:  read_only
        .address_space:  global
        .offset:         48
        .size:           8
        .value_kind:     global_buffer
      - .offset:         56
        .size:           4
        .value_kind:     by_value
      - .actual_access:  read_only
        .address_space:  global
        .offset:         64
        .size:           8
        .value_kind:     global_buffer
      - .offset:         72
        .size:           4
        .value_kind:     by_value
      - .offset:         76
        .size:           4
        .value_kind:     by_value
      - .offset:         80
        .size:           4
        .value_kind:     by_value
      - .actual_access:  read_only
        .address_space:  global
        .offset:         88
        .size:           8
        .value_kind:     global_buffer
      - .actual_access:  read_only
        .address_space:  global
        .offset:         96
        .size:           8
        .value_kind:     global_buffer
      - .actual_access:  read_only
        .address_space:  global
        .offset:         104
        .size:           8
        .value_kind:     global_buffer
      - .actual_access:  read_only
        .address_space:  global
        .offset:         112
        .size:           8
        .value_kind:     global_buffer
      - .offset:         120
        .size:           4
        .value_kind:     by_value
      - .address_space:  global
        .offset:         128
        .size:           8
        .value_kind:     global_buffer
      - .address_space:  global
        .offset:         136
        .size:           8
        .value_kind:     global_buffer
      - .offset:         144
        .size:           4
        .value_kind:     hidden_block_count_x
      - .offset:         148
        .size:           4
        .value_kind:     hidden_block_count_y
      - .offset:         152
        .size:           4
        .value_kind:     hidden_block_count_z
      - .offset:         156
        .size:           2
        .value_kind:     hidden_group_size_x
      - .offset:         158
        .size:           2
        .value_kind:     hidden_group_size_y
      - .offset:         160
        .size:           2
        .value_kind:     hidden_group_size_z
      - .offset:         162
        .size:           2
        .value_kind:     hidden_remainder_x
      - .offset:         164
        .size:           2
        .value_kind:     hidden_remainder_y
      - .offset:         166
        .size:           2
        .value_kind:     hidden_remainder_z
      - .offset:         184
        .size:           8
        .value_kind:     hidden_global_offset_x
      - .offset:         192
        .size:           8
        .value_kind:     hidden_global_offset_y
      - .offset:         200
        .size:           8
        .value_kind:     hidden_global_offset_z
      - .offset:         208
        .size:           2
        .value_kind:     hidden_grid_dims
      - .offset:         224
        .size:           8
        .value_kind:     hidden_hostcall_buffer
    .group_segment_fixed_size: 0
    .kernarg_segment_align: 8
    .kernarg_segment_size: 400
    .language:       OpenCL C
    .language_version:
      - 2
      - 0
    .max_flat_workgroup_size: 256
    .name:           _Z38paged_attention_ll4mi_QKV_mfma4_kernelI14__hip_bfloat16S0_LN4vllm18Fp8KVCacheDataTypeE0ES0_Li32ELi64ELi256ELb1ELi2EEvPKT_PKT0_S8_ifPKiSA_SA_iPKfiiiPfSD_PS3_PT2_iSC_SC_
    .private_segment_fixed_size: 64
    .sgpr_count:     36
    .sgpr_spill_count: 0
    .symbol:         _Z38paged_attention_ll4mi_QKV_mfma4_kernelI14__hip_bfloat16S0_LN4vllm18Fp8KVCacheDataTypeE0ES0_Li32ELi64ELi256ELb1ELi2EEvPKT_PKT0_S8_ifPKiSA_SA_iPKfiiiPfSD_PS3_PT2_iSC_SC_.kd
    .uniform_work_group_size: 1
    .uses_dynamic_stack: false
    .vgpr_count:     41
    .vgpr_spill_count: 0
    .wavefront_size: 32
    .workgroup_processor_mode: 1
  - .args:
      - .actual_access:  read_only
        .address_space:  global
        .offset:         0
        .size:           8
        .value_kind:     global_buffer
      - .actual_access:  read_only
        .address_space:  global
        .offset:         8
        .size:           8
        .value_kind:     global_buffer
      - .actual_access:  read_only
        .address_space:  global
        .offset:         16
        .size:           8
        .value_kind:     global_buffer
      - .offset:         24
        .size:           4
        .value_kind:     by_value
      - .offset:         28
        .size:           4
        .value_kind:     by_value
      - .actual_access:  read_only
        .address_space:  global
        .offset:         32
        .size:           8
        .value_kind:     global_buffer
      - .actual_access:  read_only
        .address_space:  global
        .offset:         40
        .size:           8
        .value_kind:     global_buffer
      - .actual_access:  read_only
        .address_space:  global
        .offset:         48
        .size:           8
        .value_kind:     global_buffer
      - .offset:         56
        .size:           4
        .value_kind:     by_value
      - .actual_access:  read_only
        .address_space:  global
        .offset:         64
        .size:           8
        .value_kind:     global_buffer
      - .offset:         72
        .size:           4
        .value_kind:     by_value
      - .offset:         76
        .size:           4
        .value_kind:     by_value
      - .offset:         80
        .size:           4
        .value_kind:     by_value
      - .actual_access:  read_only
        .address_space:  global
        .offset:         88
        .size:           8
        .value_kind:     global_buffer
      - .actual_access:  read_only
        .address_space:  global
        .offset:         96
        .size:           8
        .value_kind:     global_buffer
      - .actual_access:  read_only
        .address_space:  global
        .offset:         104
        .size:           8
        .value_kind:     global_buffer
      - .actual_access:  read_only
        .address_space:  global
        .offset:         112
        .size:           8
        .value_kind:     global_buffer
      - .offset:         120
        .size:           4
        .value_kind:     by_value
      - .address_space:  global
        .offset:         128
        .size:           8
        .value_kind:     global_buffer
      - .address_space:  global
        .offset:         136
        .size:           8
        .value_kind:     global_buffer
      - .offset:         144
        .size:           4
        .value_kind:     hidden_block_count_x
      - .offset:         148
        .size:           4
        .value_kind:     hidden_block_count_y
      - .offset:         152
        .size:           4
        .value_kind:     hidden_block_count_z
      - .offset:         156
        .size:           2
        .value_kind:     hidden_group_size_x
      - .offset:         158
        .size:           2
        .value_kind:     hidden_group_size_y
      - .offset:         160
        .size:           2
        .value_kind:     hidden_group_size_z
      - .offset:         162
        .size:           2
        .value_kind:     hidden_remainder_x
      - .offset:         164
        .size:           2
        .value_kind:     hidden_remainder_y
      - .offset:         166
        .size:           2
        .value_kind:     hidden_remainder_z
      - .offset:         184
        .size:           8
        .value_kind:     hidden_global_offset_x
      - .offset:         192
        .size:           8
        .value_kind:     hidden_global_offset_y
      - .offset:         200
        .size:           8
        .value_kind:     hidden_global_offset_z
      - .offset:         208
        .size:           2
        .value_kind:     hidden_grid_dims
      - .offset:         224
        .size:           8
        .value_kind:     hidden_hostcall_buffer
    .group_segment_fixed_size: 0
    .kernarg_segment_align: 8
    .kernarg_segment_size: 400
    .language:       OpenCL C
    .language_version:
      - 2
      - 0
    .max_flat_workgroup_size: 256
    .name:           _Z38paged_attention_ll4mi_QKV_mfma4_kernelI14__hip_bfloat16S0_LN4vllm18Fp8KVCacheDataTypeE0ES0_Li32ELi64ELi256ELb1ELi3EEvPKT_PKT0_S8_ifPKiSA_SA_iPKfiiiPfSD_PS3_PT2_iSC_SC_
    .private_segment_fixed_size: 64
    .sgpr_count:     36
    .sgpr_spill_count: 0
    .symbol:         _Z38paged_attention_ll4mi_QKV_mfma4_kernelI14__hip_bfloat16S0_LN4vllm18Fp8KVCacheDataTypeE0ES0_Li32ELi64ELi256ELb1ELi3EEvPKT_PKT0_S8_ifPKiSA_SA_iPKfiiiPfSD_PS3_PT2_iSC_SC_.kd
    .uniform_work_group_size: 1
    .uses_dynamic_stack: false
    .vgpr_count:     41
    .vgpr_spill_count: 0
    .wavefront_size: 32
    .workgroup_processor_mode: 1
  - .args:
      - .actual_access:  read_only
        .address_space:  global
        .offset:         0
        .size:           8
        .value_kind:     global_buffer
      - .actual_access:  read_only
        .address_space:  global
        .offset:         8
        .size:           8
        .value_kind:     global_buffer
      - .actual_access:  read_only
        .address_space:  global
        .offset:         16
        .size:           8
        .value_kind:     global_buffer
      - .offset:         24
        .size:           4
        .value_kind:     by_value
      - .offset:         28
        .size:           4
        .value_kind:     by_value
      - .actual_access:  read_only
        .address_space:  global
        .offset:         32
        .size:           8
        .value_kind:     global_buffer
      - .actual_access:  read_only
        .address_space:  global
        .offset:         40
        .size:           8
        .value_kind:     global_buffer
      - .actual_access:  read_only
        .address_space:  global
        .offset:         48
        .size:           8
        .value_kind:     global_buffer
      - .offset:         56
        .size:           4
        .value_kind:     by_value
      - .actual_access:  read_only
        .address_space:  global
        .offset:         64
        .size:           8
        .value_kind:     global_buffer
      - .offset:         72
        .size:           4
        .value_kind:     by_value
      - .offset:         76
        .size:           4
        .value_kind:     by_value
      - .offset:         80
        .size:           4
        .value_kind:     by_value
      - .actual_access:  read_only
        .address_space:  global
        .offset:         88
        .size:           8
        .value_kind:     global_buffer
      - .actual_access:  read_only
        .address_space:  global
        .offset:         96
        .size:           8
        .value_kind:     global_buffer
      - .actual_access:  read_only
        .address_space:  global
        .offset:         104
        .size:           8
        .value_kind:     global_buffer
      - .actual_access:  read_only
        .address_space:  global
        .offset:         112
        .size:           8
        .value_kind:     global_buffer
      - .offset:         120
        .size:           4
        .value_kind:     by_value
      - .address_space:  global
        .offset:         128
        .size:           8
        .value_kind:     global_buffer
      - .address_space:  global
        .offset:         136
        .size:           8
        .value_kind:     global_buffer
      - .offset:         144
        .size:           4
        .value_kind:     hidden_block_count_x
      - .offset:         148
        .size:           4
        .value_kind:     hidden_block_count_y
      - .offset:         152
        .size:           4
        .value_kind:     hidden_block_count_z
      - .offset:         156
        .size:           2
        .value_kind:     hidden_group_size_x
      - .offset:         158
        .size:           2
        .value_kind:     hidden_group_size_y
      - .offset:         160
        .size:           2
        .value_kind:     hidden_group_size_z
      - .offset:         162
        .size:           2
        .value_kind:     hidden_remainder_x
      - .offset:         164
        .size:           2
        .value_kind:     hidden_remainder_y
      - .offset:         166
        .size:           2
        .value_kind:     hidden_remainder_z
      - .offset:         184
        .size:           8
        .value_kind:     hidden_global_offset_x
      - .offset:         192
        .size:           8
        .value_kind:     hidden_global_offset_y
      - .offset:         200
        .size:           8
        .value_kind:     hidden_global_offset_z
      - .offset:         208
        .size:           2
        .value_kind:     hidden_grid_dims
      - .offset:         224
        .size:           8
        .value_kind:     hidden_hostcall_buffer
    .group_segment_fixed_size: 0
    .kernarg_segment_align: 8
    .kernarg_segment_size: 400
    .language:       OpenCL C
    .language_version:
      - 2
      - 0
    .max_flat_workgroup_size: 256
    .name:           _Z38paged_attention_ll4mi_QKV_mfma4_kernelI14__hip_bfloat16S0_LN4vllm18Fp8KVCacheDataTypeE0ES0_Li32ELi64ELi256ELb1ELi4EEvPKT_PKT0_S8_ifPKiSA_SA_iPKfiiiPfSD_PS3_PT2_iSC_SC_
    .private_segment_fixed_size: 64
    .sgpr_count:     36
    .sgpr_spill_count: 0
    .symbol:         _Z38paged_attention_ll4mi_QKV_mfma4_kernelI14__hip_bfloat16S0_LN4vllm18Fp8KVCacheDataTypeE0ES0_Li32ELi64ELi256ELb1ELi4EEvPKT_PKT0_S8_ifPKiSA_SA_iPKfiiiPfSD_PS3_PT2_iSC_SC_.kd
    .uniform_work_group_size: 1
    .uses_dynamic_stack: false
    .vgpr_count:     41
    .vgpr_spill_count: 0
    .wavefront_size: 32
    .workgroup_processor_mode: 1
  - .args:
      - .actual_access:  read_only
        .address_space:  global
        .offset:         0
        .size:           8
        .value_kind:     global_buffer
      - .actual_access:  read_only
        .address_space:  global
        .offset:         8
        .size:           8
        .value_kind:     global_buffer
      - .actual_access:  read_only
        .address_space:  global
        .offset:         16
        .size:           8
        .value_kind:     global_buffer
      - .offset:         24
        .size:           4
        .value_kind:     by_value
      - .offset:         28
        .size:           4
        .value_kind:     by_value
      - .actual_access:  read_only
        .address_space:  global
        .offset:         32
        .size:           8
        .value_kind:     global_buffer
      - .actual_access:  read_only
        .address_space:  global
        .offset:         40
        .size:           8
        .value_kind:     global_buffer
      - .actual_access:  read_only
        .address_space:  global
        .offset:         48
        .size:           8
        .value_kind:     global_buffer
      - .offset:         56
        .size:           4
        .value_kind:     by_value
      - .actual_access:  read_only
        .address_space:  global
        .offset:         64
        .size:           8
        .value_kind:     global_buffer
      - .offset:         72
        .size:           4
        .value_kind:     by_value
      - .offset:         76
        .size:           4
        .value_kind:     by_value
      - .offset:         80
        .size:           4
        .value_kind:     by_value
      - .actual_access:  write_only
        .address_space:  global
        .offset:         88
        .size:           8
        .value_kind:     global_buffer
      - .actual_access:  write_only
        .address_space:  global
        .offset:         96
        .size:           8
        .value_kind:     global_buffer
      - .actual_access:  write_only
        .address_space:  global
        .offset:         104
        .size:           8
        .value_kind:     global_buffer
      - .actual_access:  read_only
        .address_space:  global
        .offset:         112
        .size:           8
        .value_kind:     global_buffer
      - .offset:         120
        .size:           4
        .value_kind:     by_value
      - .address_space:  global
        .offset:         128
        .size:           8
        .value_kind:     global_buffer
      - .address_space:  global
        .offset:         136
        .size:           8
        .value_kind:     global_buffer
      - .offset:         144
        .size:           4
        .value_kind:     hidden_block_count_x
      - .offset:         148
        .size:           4
        .value_kind:     hidden_block_count_y
      - .offset:         152
        .size:           4
        .value_kind:     hidden_block_count_z
      - .offset:         156
        .size:           2
        .value_kind:     hidden_group_size_x
      - .offset:         158
        .size:           2
        .value_kind:     hidden_group_size_y
      - .offset:         160
        .size:           2
        .value_kind:     hidden_group_size_z
      - .offset:         162
        .size:           2
        .value_kind:     hidden_remainder_x
      - .offset:         164
        .size:           2
        .value_kind:     hidden_remainder_y
      - .offset:         166
        .size:           2
        .value_kind:     hidden_remainder_z
      - .offset:         184
        .size:           8
        .value_kind:     hidden_global_offset_x
      - .offset:         192
        .size:           8
        .value_kind:     hidden_global_offset_y
      - .offset:         200
        .size:           8
        .value_kind:     hidden_global_offset_z
      - .offset:         208
        .size:           2
        .value_kind:     hidden_grid_dims
    .group_segment_fixed_size: 17472
    .kernarg_segment_align: 8
    .kernarg_segment_size: 400
    .language:       OpenCL C
    .language_version:
      - 2
      - 0
    .max_flat_workgroup_size: 256
    .name:           _Z39paged_attention_ll4mi_QKV_mfma16_kernelI14__hip_bfloat16S0_LN4vllm18Fp8KVCacheDataTypeE0ES0_Li32ELi64ELi256ELb1ELi5EL8MFMAType0EEvPKT_PKT0_S9_ifPKiSB_SB_iPKfiiiPfSE_PS4_PT2_iSD_SD_
    .private_segment_fixed_size: 0
    .sgpr_count:     41
    .sgpr_spill_count: 0
    .symbol:         _Z39paged_attention_ll4mi_QKV_mfma16_kernelI14__hip_bfloat16S0_LN4vllm18Fp8KVCacheDataTypeE0ES0_Li32ELi64ELi256ELb1ELi5EL8MFMAType0EEvPKT_PKT0_S9_ifPKiSB_SB_iPKfiiiPfSE_PS4_PT2_iSD_SD_.kd
    .uniform_work_group_size: 1
    .uses_dynamic_stack: false
    .vgpr_count:     142
    .vgpr_spill_count: 0
    .wavefront_size: 32
    .workgroup_processor_mode: 1
  - .args:
      - .actual_access:  read_only
        .address_space:  global
        .offset:         0
        .size:           8
        .value_kind:     global_buffer
      - .actual_access:  read_only
        .address_space:  global
        .offset:         8
        .size:           8
        .value_kind:     global_buffer
      - .actual_access:  read_only
        .address_space:  global
        .offset:         16
        .size:           8
        .value_kind:     global_buffer
      - .offset:         24
        .size:           4
        .value_kind:     by_value
      - .offset:         28
        .size:           4
        .value_kind:     by_value
      - .actual_access:  read_only
        .address_space:  global
        .offset:         32
        .size:           8
        .value_kind:     global_buffer
      - .actual_access:  read_only
        .address_space:  global
        .offset:         40
        .size:           8
        .value_kind:     global_buffer
      - .actual_access:  read_only
        .address_space:  global
        .offset:         48
        .size:           8
        .value_kind:     global_buffer
      - .offset:         56
        .size:           4
        .value_kind:     by_value
      - .actual_access:  read_only
        .address_space:  global
        .offset:         64
        .size:           8
        .value_kind:     global_buffer
      - .offset:         72
        .size:           4
        .value_kind:     by_value
      - .offset:         76
        .size:           4
        .value_kind:     by_value
      - .offset:         80
        .size:           4
        .value_kind:     by_value
      - .actual_access:  write_only
        .address_space:  global
        .offset:         88
        .size:           8
        .value_kind:     global_buffer
      - .actual_access:  write_only
        .address_space:  global
        .offset:         96
        .size:           8
        .value_kind:     global_buffer
      - .actual_access:  write_only
        .address_space:  global
        .offset:         104
        .size:           8
        .value_kind:     global_buffer
      - .actual_access:  read_only
        .address_space:  global
        .offset:         112
        .size:           8
        .value_kind:     global_buffer
      - .offset:         120
        .size:           4
        .value_kind:     by_value
      - .address_space:  global
        .offset:         128
        .size:           8
        .value_kind:     global_buffer
      - .address_space:  global
        .offset:         136
        .size:           8
        .value_kind:     global_buffer
      - .offset:         144
        .size:           4
        .value_kind:     hidden_block_count_x
      - .offset:         148
        .size:           4
        .value_kind:     hidden_block_count_y
      - .offset:         152
        .size:           4
        .value_kind:     hidden_block_count_z
      - .offset:         156
        .size:           2
        .value_kind:     hidden_group_size_x
      - .offset:         158
        .size:           2
        .value_kind:     hidden_group_size_y
      - .offset:         160
        .size:           2
        .value_kind:     hidden_group_size_z
      - .offset:         162
        .size:           2
        .value_kind:     hidden_remainder_x
      - .offset:         164
        .size:           2
        .value_kind:     hidden_remainder_y
      - .offset:         166
        .size:           2
        .value_kind:     hidden_remainder_z
      - .offset:         184
        .size:           8
        .value_kind:     hidden_global_offset_x
      - .offset:         192
        .size:           8
        .value_kind:     hidden_global_offset_y
      - .offset:         200
        .size:           8
        .value_kind:     hidden_global_offset_z
      - .offset:         208
        .size:           2
        .value_kind:     hidden_grid_dims
    .group_segment_fixed_size: 17472
    .kernarg_segment_align: 8
    .kernarg_segment_size: 400
    .language:       OpenCL C
    .language_version:
      - 2
      - 0
    .max_flat_workgroup_size: 256
    .name:           _Z39paged_attention_ll4mi_QKV_mfma16_kernelI14__hip_bfloat16S0_LN4vllm18Fp8KVCacheDataTypeE0ES0_Li32ELi64ELi256ELb1ELi6EL8MFMAType0EEvPKT_PKT0_S9_ifPKiSB_SB_iPKfiiiPfSE_PS4_PT2_iSD_SD_
    .private_segment_fixed_size: 0
    .sgpr_count:     40
    .sgpr_spill_count: 0
    .symbol:         _Z39paged_attention_ll4mi_QKV_mfma16_kernelI14__hip_bfloat16S0_LN4vllm18Fp8KVCacheDataTypeE0ES0_Li32ELi64ELi256ELb1ELi6EL8MFMAType0EEvPKT_PKT0_S9_ifPKiSB_SB_iPKfiiiPfSE_PS4_PT2_iSD_SD_.kd
    .uniform_work_group_size: 1
    .uses_dynamic_stack: false
    .vgpr_count:     142
    .vgpr_spill_count: 0
    .wavefront_size: 32
    .workgroup_processor_mode: 1
  - .args:
      - .actual_access:  read_only
        .address_space:  global
        .offset:         0
        .size:           8
        .value_kind:     global_buffer
      - .actual_access:  read_only
        .address_space:  global
        .offset:         8
        .size:           8
        .value_kind:     global_buffer
      - .actual_access:  read_only
        .address_space:  global
        .offset:         16
        .size:           8
        .value_kind:     global_buffer
      - .offset:         24
        .size:           4
        .value_kind:     by_value
      - .offset:         28
        .size:           4
        .value_kind:     by_value
      - .actual_access:  read_only
        .address_space:  global
        .offset:         32
        .size:           8
        .value_kind:     global_buffer
      - .actual_access:  read_only
        .address_space:  global
        .offset:         40
        .size:           8
        .value_kind:     global_buffer
      - .actual_access:  read_only
        .address_space:  global
        .offset:         48
        .size:           8
        .value_kind:     global_buffer
      - .offset:         56
        .size:           4
        .value_kind:     by_value
      - .actual_access:  read_only
        .address_space:  global
        .offset:         64
        .size:           8
        .value_kind:     global_buffer
      - .offset:         72
        .size:           4
        .value_kind:     by_value
      - .offset:         76
        .size:           4
        .value_kind:     by_value
      - .offset:         80
        .size:           4
        .value_kind:     by_value
      - .actual_access:  write_only
        .address_space:  global
        .offset:         88
        .size:           8
        .value_kind:     global_buffer
      - .actual_access:  write_only
        .address_space:  global
        .offset:         96
        .size:           8
        .value_kind:     global_buffer
      - .actual_access:  write_only
        .address_space:  global
        .offset:         104
        .size:           8
        .value_kind:     global_buffer
      - .actual_access:  read_only
        .address_space:  global
        .offset:         112
        .size:           8
        .value_kind:     global_buffer
      - .offset:         120
        .size:           4
        .value_kind:     by_value
      - .address_space:  global
        .offset:         128
        .size:           8
        .value_kind:     global_buffer
      - .address_space:  global
        .offset:         136
        .size:           8
        .value_kind:     global_buffer
      - .offset:         144
        .size:           4
        .value_kind:     hidden_block_count_x
      - .offset:         148
        .size:           4
        .value_kind:     hidden_block_count_y
      - .offset:         152
        .size:           4
        .value_kind:     hidden_block_count_z
      - .offset:         156
        .size:           2
        .value_kind:     hidden_group_size_x
      - .offset:         158
        .size:           2
        .value_kind:     hidden_group_size_y
      - .offset:         160
        .size:           2
        .value_kind:     hidden_group_size_z
      - .offset:         162
        .size:           2
        .value_kind:     hidden_remainder_x
      - .offset:         164
        .size:           2
        .value_kind:     hidden_remainder_y
      - .offset:         166
        .size:           2
        .value_kind:     hidden_remainder_z
      - .offset:         184
        .size:           8
        .value_kind:     hidden_global_offset_x
      - .offset:         192
        .size:           8
        .value_kind:     hidden_global_offset_y
      - .offset:         200
        .size:           8
        .value_kind:     hidden_global_offset_z
      - .offset:         208
        .size:           2
        .value_kind:     hidden_grid_dims
    .group_segment_fixed_size: 17472
    .kernarg_segment_align: 8
    .kernarg_segment_size: 400
    .language:       OpenCL C
    .language_version:
      - 2
      - 0
    .max_flat_workgroup_size: 256
    .name:           _Z39paged_attention_ll4mi_QKV_mfma16_kernelI14__hip_bfloat16S0_LN4vllm18Fp8KVCacheDataTypeE0ES0_Li32ELi64ELi256ELb1ELi7EL8MFMAType0EEvPKT_PKT0_S9_ifPKiSB_SB_iPKfiiiPfSE_PS4_PT2_iSD_SD_
    .private_segment_fixed_size: 0
    .sgpr_count:     41
    .sgpr_spill_count: 0
    .symbol:         _Z39paged_attention_ll4mi_QKV_mfma16_kernelI14__hip_bfloat16S0_LN4vllm18Fp8KVCacheDataTypeE0ES0_Li32ELi64ELi256ELb1ELi7EL8MFMAType0EEvPKT_PKT0_S9_ifPKiSB_SB_iPKfiiiPfSE_PS4_PT2_iSD_SD_.kd
    .uniform_work_group_size: 1
    .uses_dynamic_stack: false
    .vgpr_count:     142
    .vgpr_spill_count: 0
    .wavefront_size: 32
    .workgroup_processor_mode: 1
  - .args:
      - .actual_access:  read_only
        .address_space:  global
        .offset:         0
        .size:           8
        .value_kind:     global_buffer
      - .actual_access:  read_only
        .address_space:  global
        .offset:         8
        .size:           8
        .value_kind:     global_buffer
      - .actual_access:  read_only
        .address_space:  global
        .offset:         16
        .size:           8
        .value_kind:     global_buffer
      - .offset:         24
        .size:           4
        .value_kind:     by_value
      - .offset:         28
        .size:           4
        .value_kind:     by_value
      - .actual_access:  read_only
        .address_space:  global
        .offset:         32
        .size:           8
        .value_kind:     global_buffer
      - .actual_access:  read_only
        .address_space:  global
        .offset:         40
        .size:           8
        .value_kind:     global_buffer
      - .actual_access:  read_only
        .address_space:  global
        .offset:         48
        .size:           8
        .value_kind:     global_buffer
      - .offset:         56
        .size:           4
        .value_kind:     by_value
      - .actual_access:  read_only
        .address_space:  global
        .offset:         64
        .size:           8
        .value_kind:     global_buffer
      - .offset:         72
        .size:           4
        .value_kind:     by_value
      - .offset:         76
        .size:           4
        .value_kind:     by_value
      - .offset:         80
        .size:           4
        .value_kind:     by_value
      - .actual_access:  write_only
        .address_space:  global
        .offset:         88
        .size:           8
        .value_kind:     global_buffer
      - .actual_access:  write_only
        .address_space:  global
        .offset:         96
        .size:           8
        .value_kind:     global_buffer
      - .actual_access:  write_only
        .address_space:  global
        .offset:         104
        .size:           8
        .value_kind:     global_buffer
      - .actual_access:  read_only
        .address_space:  global
        .offset:         112
        .size:           8
        .value_kind:     global_buffer
      - .offset:         120
        .size:           4
        .value_kind:     by_value
      - .address_space:  global
        .offset:         128
        .size:           8
        .value_kind:     global_buffer
      - .address_space:  global
        .offset:         136
        .size:           8
        .value_kind:     global_buffer
      - .offset:         144
        .size:           4
        .value_kind:     hidden_block_count_x
      - .offset:         148
        .size:           4
        .value_kind:     hidden_block_count_y
      - .offset:         152
        .size:           4
        .value_kind:     hidden_block_count_z
      - .offset:         156
        .size:           2
        .value_kind:     hidden_group_size_x
      - .offset:         158
        .size:           2
        .value_kind:     hidden_group_size_y
      - .offset:         160
        .size:           2
        .value_kind:     hidden_group_size_z
      - .offset:         162
        .size:           2
        .value_kind:     hidden_remainder_x
      - .offset:         164
        .size:           2
        .value_kind:     hidden_remainder_y
      - .offset:         166
        .size:           2
        .value_kind:     hidden_remainder_z
      - .offset:         184
        .size:           8
        .value_kind:     hidden_global_offset_x
      - .offset:         192
        .size:           8
        .value_kind:     hidden_global_offset_y
      - .offset:         200
        .size:           8
        .value_kind:     hidden_global_offset_z
      - .offset:         208
        .size:           2
        .value_kind:     hidden_grid_dims
    .group_segment_fixed_size: 17472
    .kernarg_segment_align: 8
    .kernarg_segment_size: 400
    .language:       OpenCL C
    .language_version:
      - 2
      - 0
    .max_flat_workgroup_size: 256
    .name:           _Z39paged_attention_ll4mi_QKV_mfma16_kernelI14__hip_bfloat16S0_LN4vllm18Fp8KVCacheDataTypeE0ES0_Li32ELi64ELi256ELb1ELi8EL8MFMAType0EEvPKT_PKT0_S9_ifPKiSB_SB_iPKfiiiPfSE_PS4_PT2_iSD_SD_
    .private_segment_fixed_size: 0
    .sgpr_count:     40
    .sgpr_spill_count: 0
    .symbol:         _Z39paged_attention_ll4mi_QKV_mfma16_kernelI14__hip_bfloat16S0_LN4vllm18Fp8KVCacheDataTypeE0ES0_Li32ELi64ELi256ELb1ELi8EL8MFMAType0EEvPKT_PKT0_S9_ifPKiSB_SB_iPKfiiiPfSE_PS4_PT2_iSD_SD_.kd
    .uniform_work_group_size: 1
    .uses_dynamic_stack: false
    .vgpr_count:     142
    .vgpr_spill_count: 0
    .wavefront_size: 32
    .workgroup_processor_mode: 1
  - .args:
      - .actual_access:  read_only
        .address_space:  global
        .offset:         0
        .size:           8
        .value_kind:     global_buffer
      - .actual_access:  read_only
        .address_space:  global
        .offset:         8
        .size:           8
        .value_kind:     global_buffer
      - .actual_access:  read_only
        .address_space:  global
        .offset:         16
        .size:           8
        .value_kind:     global_buffer
      - .offset:         24
        .size:           4
        .value_kind:     by_value
      - .offset:         28
        .size:           4
        .value_kind:     by_value
      - .actual_access:  read_only
        .address_space:  global
        .offset:         32
        .size:           8
        .value_kind:     global_buffer
      - .actual_access:  read_only
        .address_space:  global
        .offset:         40
        .size:           8
        .value_kind:     global_buffer
      - .actual_access:  read_only
        .address_space:  global
        .offset:         48
        .size:           8
        .value_kind:     global_buffer
      - .offset:         56
        .size:           4
        .value_kind:     by_value
      - .actual_access:  read_only
        .address_space:  global
        .offset:         64
        .size:           8
        .value_kind:     global_buffer
      - .offset:         72
        .size:           4
        .value_kind:     by_value
      - .offset:         76
        .size:           4
        .value_kind:     by_value
      - .offset:         80
        .size:           4
        .value_kind:     by_value
      - .actual_access:  write_only
        .address_space:  global
        .offset:         88
        .size:           8
        .value_kind:     global_buffer
      - .actual_access:  write_only
        .address_space:  global
        .offset:         96
        .size:           8
        .value_kind:     global_buffer
      - .actual_access:  write_only
        .address_space:  global
        .offset:         104
        .size:           8
        .value_kind:     global_buffer
      - .actual_access:  read_only
        .address_space:  global
        .offset:         112
        .size:           8
        .value_kind:     global_buffer
      - .offset:         120
        .size:           4
        .value_kind:     by_value
      - .address_space:  global
        .offset:         128
        .size:           8
        .value_kind:     global_buffer
      - .address_space:  global
        .offset:         136
        .size:           8
        .value_kind:     global_buffer
      - .offset:         144
        .size:           4
        .value_kind:     hidden_block_count_x
      - .offset:         148
        .size:           4
        .value_kind:     hidden_block_count_y
      - .offset:         152
        .size:           4
        .value_kind:     hidden_block_count_z
      - .offset:         156
        .size:           2
        .value_kind:     hidden_group_size_x
      - .offset:         158
        .size:           2
        .value_kind:     hidden_group_size_y
      - .offset:         160
        .size:           2
        .value_kind:     hidden_group_size_z
      - .offset:         162
        .size:           2
        .value_kind:     hidden_remainder_x
      - .offset:         164
        .size:           2
        .value_kind:     hidden_remainder_y
      - .offset:         166
        .size:           2
        .value_kind:     hidden_remainder_z
      - .offset:         184
        .size:           8
        .value_kind:     hidden_global_offset_x
      - .offset:         192
        .size:           8
        .value_kind:     hidden_global_offset_y
      - .offset:         200
        .size:           8
        .value_kind:     hidden_global_offset_z
      - .offset:         208
        .size:           2
        .value_kind:     hidden_grid_dims
    .group_segment_fixed_size: 17472
    .kernarg_segment_align: 8
    .kernarg_segment_size: 400
    .language:       OpenCL C
    .language_version:
      - 2
      - 0
    .max_flat_workgroup_size: 256
    .name:           _Z39paged_attention_ll4mi_QKV_mfma16_kernelI14__hip_bfloat16S0_LN4vllm18Fp8KVCacheDataTypeE0ES0_Li32ELi64ELi256ELb1ELi9EL8MFMAType0EEvPKT_PKT0_S9_ifPKiSB_SB_iPKfiiiPfSE_PS4_PT2_iSD_SD_
    .private_segment_fixed_size: 0
    .sgpr_count:     41
    .sgpr_spill_count: 0
    .symbol:         _Z39paged_attention_ll4mi_QKV_mfma16_kernelI14__hip_bfloat16S0_LN4vllm18Fp8KVCacheDataTypeE0ES0_Li32ELi64ELi256ELb1ELi9EL8MFMAType0EEvPKT_PKT0_S9_ifPKiSB_SB_iPKfiiiPfSE_PS4_PT2_iSD_SD_.kd
    .uniform_work_group_size: 1
    .uses_dynamic_stack: false
    .vgpr_count:     142
    .vgpr_spill_count: 0
    .wavefront_size: 32
    .workgroup_processor_mode: 1
  - .args:
      - .actual_access:  read_only
        .address_space:  global
        .offset:         0
        .size:           8
        .value_kind:     global_buffer
      - .actual_access:  read_only
        .address_space:  global
        .offset:         8
        .size:           8
        .value_kind:     global_buffer
      - .actual_access:  read_only
        .address_space:  global
        .offset:         16
        .size:           8
        .value_kind:     global_buffer
      - .offset:         24
        .size:           4
        .value_kind:     by_value
      - .offset:         28
        .size:           4
        .value_kind:     by_value
      - .actual_access:  read_only
        .address_space:  global
        .offset:         32
        .size:           8
        .value_kind:     global_buffer
      - .actual_access:  read_only
        .address_space:  global
        .offset:         40
        .size:           8
        .value_kind:     global_buffer
      - .actual_access:  read_only
        .address_space:  global
        .offset:         48
        .size:           8
        .value_kind:     global_buffer
      - .offset:         56
        .size:           4
        .value_kind:     by_value
      - .actual_access:  read_only
        .address_space:  global
        .offset:         64
        .size:           8
        .value_kind:     global_buffer
      - .offset:         72
        .size:           4
        .value_kind:     by_value
      - .offset:         76
        .size:           4
        .value_kind:     by_value
      - .offset:         80
        .size:           4
        .value_kind:     by_value
      - .actual_access:  write_only
        .address_space:  global
        .offset:         88
        .size:           8
        .value_kind:     global_buffer
      - .actual_access:  write_only
        .address_space:  global
        .offset:         96
        .size:           8
        .value_kind:     global_buffer
      - .actual_access:  write_only
        .address_space:  global
        .offset:         104
        .size:           8
        .value_kind:     global_buffer
      - .actual_access:  read_only
        .address_space:  global
        .offset:         112
        .size:           8
        .value_kind:     global_buffer
      - .offset:         120
        .size:           4
        .value_kind:     by_value
      - .address_space:  global
        .offset:         128
        .size:           8
        .value_kind:     global_buffer
      - .address_space:  global
        .offset:         136
        .size:           8
        .value_kind:     global_buffer
      - .offset:         144
        .size:           4
        .value_kind:     hidden_block_count_x
      - .offset:         148
        .size:           4
        .value_kind:     hidden_block_count_y
      - .offset:         152
        .size:           4
        .value_kind:     hidden_block_count_z
      - .offset:         156
        .size:           2
        .value_kind:     hidden_group_size_x
      - .offset:         158
        .size:           2
        .value_kind:     hidden_group_size_y
      - .offset:         160
        .size:           2
        .value_kind:     hidden_group_size_z
      - .offset:         162
        .size:           2
        .value_kind:     hidden_remainder_x
      - .offset:         164
        .size:           2
        .value_kind:     hidden_remainder_y
      - .offset:         166
        .size:           2
        .value_kind:     hidden_remainder_z
      - .offset:         184
        .size:           8
        .value_kind:     hidden_global_offset_x
      - .offset:         192
        .size:           8
        .value_kind:     hidden_global_offset_y
      - .offset:         200
        .size:           8
        .value_kind:     hidden_global_offset_z
      - .offset:         208
        .size:           2
        .value_kind:     hidden_grid_dims
    .group_segment_fixed_size: 17472
    .kernarg_segment_align: 8
    .kernarg_segment_size: 400
    .language:       OpenCL C
    .language_version:
      - 2
      - 0
    .max_flat_workgroup_size: 256
    .name:           _Z39paged_attention_ll4mi_QKV_mfma16_kernelI14__hip_bfloat16S0_LN4vllm18Fp8KVCacheDataTypeE0ES0_Li32ELi64ELi256ELb1ELi10EL8MFMAType0EEvPKT_PKT0_S9_ifPKiSB_SB_iPKfiiiPfSE_PS4_PT2_iSD_SD_
    .private_segment_fixed_size: 0
    .sgpr_count:     40
    .sgpr_spill_count: 0
    .symbol:         _Z39paged_attention_ll4mi_QKV_mfma16_kernelI14__hip_bfloat16S0_LN4vllm18Fp8KVCacheDataTypeE0ES0_Li32ELi64ELi256ELb1ELi10EL8MFMAType0EEvPKT_PKT0_S9_ifPKiSB_SB_iPKfiiiPfSE_PS4_PT2_iSD_SD_.kd
    .uniform_work_group_size: 1
    .uses_dynamic_stack: false
    .vgpr_count:     142
    .vgpr_spill_count: 0
    .wavefront_size: 32
    .workgroup_processor_mode: 1
  - .args:
      - .actual_access:  read_only
        .address_space:  global
        .offset:         0
        .size:           8
        .value_kind:     global_buffer
      - .actual_access:  read_only
        .address_space:  global
        .offset:         8
        .size:           8
        .value_kind:     global_buffer
      - .actual_access:  read_only
        .address_space:  global
        .offset:         16
        .size:           8
        .value_kind:     global_buffer
      - .offset:         24
        .size:           4
        .value_kind:     by_value
      - .offset:         28
        .size:           4
        .value_kind:     by_value
      - .actual_access:  read_only
        .address_space:  global
        .offset:         32
        .size:           8
        .value_kind:     global_buffer
      - .actual_access:  read_only
        .address_space:  global
        .offset:         40
        .size:           8
        .value_kind:     global_buffer
      - .actual_access:  read_only
        .address_space:  global
        .offset:         48
        .size:           8
        .value_kind:     global_buffer
      - .offset:         56
        .size:           4
        .value_kind:     by_value
      - .actual_access:  read_only
        .address_space:  global
        .offset:         64
        .size:           8
        .value_kind:     global_buffer
      - .offset:         72
        .size:           4
        .value_kind:     by_value
      - .offset:         76
        .size:           4
        .value_kind:     by_value
      - .offset:         80
        .size:           4
        .value_kind:     by_value
      - .actual_access:  write_only
        .address_space:  global
        .offset:         88
        .size:           8
        .value_kind:     global_buffer
      - .actual_access:  write_only
        .address_space:  global
        .offset:         96
        .size:           8
        .value_kind:     global_buffer
      - .actual_access:  write_only
        .address_space:  global
        .offset:         104
        .size:           8
        .value_kind:     global_buffer
      - .actual_access:  read_only
        .address_space:  global
        .offset:         112
        .size:           8
        .value_kind:     global_buffer
      - .offset:         120
        .size:           4
        .value_kind:     by_value
      - .address_space:  global
        .offset:         128
        .size:           8
        .value_kind:     global_buffer
      - .address_space:  global
        .offset:         136
        .size:           8
        .value_kind:     global_buffer
      - .offset:         144
        .size:           4
        .value_kind:     hidden_block_count_x
      - .offset:         148
        .size:           4
        .value_kind:     hidden_block_count_y
      - .offset:         152
        .size:           4
        .value_kind:     hidden_block_count_z
      - .offset:         156
        .size:           2
        .value_kind:     hidden_group_size_x
      - .offset:         158
        .size:           2
        .value_kind:     hidden_group_size_y
      - .offset:         160
        .size:           2
        .value_kind:     hidden_group_size_z
      - .offset:         162
        .size:           2
        .value_kind:     hidden_remainder_x
      - .offset:         164
        .size:           2
        .value_kind:     hidden_remainder_y
      - .offset:         166
        .size:           2
        .value_kind:     hidden_remainder_z
      - .offset:         184
        .size:           8
        .value_kind:     hidden_global_offset_x
      - .offset:         192
        .size:           8
        .value_kind:     hidden_global_offset_y
      - .offset:         200
        .size:           8
        .value_kind:     hidden_global_offset_z
      - .offset:         208
        .size:           2
        .value_kind:     hidden_grid_dims
    .group_segment_fixed_size: 17472
    .kernarg_segment_align: 8
    .kernarg_segment_size: 400
    .language:       OpenCL C
    .language_version:
      - 2
      - 0
    .max_flat_workgroup_size: 256
    .name:           _Z39paged_attention_ll4mi_QKV_mfma16_kernelI14__hip_bfloat16S0_LN4vllm18Fp8KVCacheDataTypeE0ES0_Li32ELi64ELi256ELb1ELi11EL8MFMAType0EEvPKT_PKT0_S9_ifPKiSB_SB_iPKfiiiPfSE_PS4_PT2_iSD_SD_
    .private_segment_fixed_size: 0
    .sgpr_count:     41
    .sgpr_spill_count: 0
    .symbol:         _Z39paged_attention_ll4mi_QKV_mfma16_kernelI14__hip_bfloat16S0_LN4vllm18Fp8KVCacheDataTypeE0ES0_Li32ELi64ELi256ELb1ELi11EL8MFMAType0EEvPKT_PKT0_S9_ifPKiSB_SB_iPKfiiiPfSE_PS4_PT2_iSD_SD_.kd
    .uniform_work_group_size: 1
    .uses_dynamic_stack: false
    .vgpr_count:     142
    .vgpr_spill_count: 0
    .wavefront_size: 32
    .workgroup_processor_mode: 1
  - .args:
      - .actual_access:  read_only
        .address_space:  global
        .offset:         0
        .size:           8
        .value_kind:     global_buffer
      - .actual_access:  read_only
        .address_space:  global
        .offset:         8
        .size:           8
        .value_kind:     global_buffer
      - .actual_access:  read_only
        .address_space:  global
        .offset:         16
        .size:           8
        .value_kind:     global_buffer
      - .offset:         24
        .size:           4
        .value_kind:     by_value
      - .offset:         28
        .size:           4
        .value_kind:     by_value
      - .actual_access:  read_only
        .address_space:  global
        .offset:         32
        .size:           8
        .value_kind:     global_buffer
      - .actual_access:  read_only
        .address_space:  global
        .offset:         40
        .size:           8
        .value_kind:     global_buffer
      - .actual_access:  read_only
        .address_space:  global
        .offset:         48
        .size:           8
        .value_kind:     global_buffer
      - .offset:         56
        .size:           4
        .value_kind:     by_value
      - .actual_access:  read_only
        .address_space:  global
        .offset:         64
        .size:           8
        .value_kind:     global_buffer
      - .offset:         72
        .size:           4
        .value_kind:     by_value
      - .offset:         76
        .size:           4
        .value_kind:     by_value
      - .offset:         80
        .size:           4
        .value_kind:     by_value
      - .actual_access:  write_only
        .address_space:  global
        .offset:         88
        .size:           8
        .value_kind:     global_buffer
      - .actual_access:  write_only
        .address_space:  global
        .offset:         96
        .size:           8
        .value_kind:     global_buffer
      - .actual_access:  write_only
        .address_space:  global
        .offset:         104
        .size:           8
        .value_kind:     global_buffer
      - .actual_access:  read_only
        .address_space:  global
        .offset:         112
        .size:           8
        .value_kind:     global_buffer
      - .offset:         120
        .size:           4
        .value_kind:     by_value
      - .address_space:  global
        .offset:         128
        .size:           8
        .value_kind:     global_buffer
      - .address_space:  global
        .offset:         136
        .size:           8
        .value_kind:     global_buffer
      - .offset:         144
        .size:           4
        .value_kind:     hidden_block_count_x
      - .offset:         148
        .size:           4
        .value_kind:     hidden_block_count_y
      - .offset:         152
        .size:           4
        .value_kind:     hidden_block_count_z
      - .offset:         156
        .size:           2
        .value_kind:     hidden_group_size_x
      - .offset:         158
        .size:           2
        .value_kind:     hidden_group_size_y
      - .offset:         160
        .size:           2
        .value_kind:     hidden_group_size_z
      - .offset:         162
        .size:           2
        .value_kind:     hidden_remainder_x
      - .offset:         164
        .size:           2
        .value_kind:     hidden_remainder_y
      - .offset:         166
        .size:           2
        .value_kind:     hidden_remainder_z
      - .offset:         184
        .size:           8
        .value_kind:     hidden_global_offset_x
      - .offset:         192
        .size:           8
        .value_kind:     hidden_global_offset_y
      - .offset:         200
        .size:           8
        .value_kind:     hidden_global_offset_z
      - .offset:         208
        .size:           2
        .value_kind:     hidden_grid_dims
    .group_segment_fixed_size: 17472
    .kernarg_segment_align: 8
    .kernarg_segment_size: 400
    .language:       OpenCL C
    .language_version:
      - 2
      - 0
    .max_flat_workgroup_size: 256
    .name:           _Z39paged_attention_ll4mi_QKV_mfma16_kernelI14__hip_bfloat16S0_LN4vllm18Fp8KVCacheDataTypeE0ES0_Li32ELi64ELi256ELb1ELi12EL8MFMAType0EEvPKT_PKT0_S9_ifPKiSB_SB_iPKfiiiPfSE_PS4_PT2_iSD_SD_
    .private_segment_fixed_size: 0
    .sgpr_count:     40
    .sgpr_spill_count: 0
    .symbol:         _Z39paged_attention_ll4mi_QKV_mfma16_kernelI14__hip_bfloat16S0_LN4vllm18Fp8KVCacheDataTypeE0ES0_Li32ELi64ELi256ELb1ELi12EL8MFMAType0EEvPKT_PKT0_S9_ifPKiSB_SB_iPKfiiiPfSE_PS4_PT2_iSD_SD_.kd
    .uniform_work_group_size: 1
    .uses_dynamic_stack: false
    .vgpr_count:     142
    .vgpr_spill_count: 0
    .wavefront_size: 32
    .workgroup_processor_mode: 1
  - .args:
      - .actual_access:  read_only
        .address_space:  global
        .offset:         0
        .size:           8
        .value_kind:     global_buffer
      - .actual_access:  read_only
        .address_space:  global
        .offset:         8
        .size:           8
        .value_kind:     global_buffer
      - .actual_access:  read_only
        .address_space:  global
        .offset:         16
        .size:           8
        .value_kind:     global_buffer
      - .offset:         24
        .size:           4
        .value_kind:     by_value
      - .offset:         28
        .size:           4
        .value_kind:     by_value
      - .actual_access:  read_only
        .address_space:  global
        .offset:         32
        .size:           8
        .value_kind:     global_buffer
      - .actual_access:  read_only
        .address_space:  global
        .offset:         40
        .size:           8
        .value_kind:     global_buffer
      - .actual_access:  read_only
        .address_space:  global
        .offset:         48
        .size:           8
        .value_kind:     global_buffer
      - .offset:         56
        .size:           4
        .value_kind:     by_value
      - .actual_access:  read_only
        .address_space:  global
        .offset:         64
        .size:           8
        .value_kind:     global_buffer
      - .offset:         72
        .size:           4
        .value_kind:     by_value
      - .offset:         76
        .size:           4
        .value_kind:     by_value
      - .offset:         80
        .size:           4
        .value_kind:     by_value
      - .actual_access:  write_only
        .address_space:  global
        .offset:         88
        .size:           8
        .value_kind:     global_buffer
      - .actual_access:  write_only
        .address_space:  global
        .offset:         96
        .size:           8
        .value_kind:     global_buffer
      - .actual_access:  write_only
        .address_space:  global
        .offset:         104
        .size:           8
        .value_kind:     global_buffer
      - .actual_access:  read_only
        .address_space:  global
        .offset:         112
        .size:           8
        .value_kind:     global_buffer
      - .offset:         120
        .size:           4
        .value_kind:     by_value
      - .address_space:  global
        .offset:         128
        .size:           8
        .value_kind:     global_buffer
      - .address_space:  global
        .offset:         136
        .size:           8
        .value_kind:     global_buffer
      - .offset:         144
        .size:           4
        .value_kind:     hidden_block_count_x
      - .offset:         148
        .size:           4
        .value_kind:     hidden_block_count_y
      - .offset:         152
        .size:           4
        .value_kind:     hidden_block_count_z
      - .offset:         156
        .size:           2
        .value_kind:     hidden_group_size_x
      - .offset:         158
        .size:           2
        .value_kind:     hidden_group_size_y
      - .offset:         160
        .size:           2
        .value_kind:     hidden_group_size_z
      - .offset:         162
        .size:           2
        .value_kind:     hidden_remainder_x
      - .offset:         164
        .size:           2
        .value_kind:     hidden_remainder_y
      - .offset:         166
        .size:           2
        .value_kind:     hidden_remainder_z
      - .offset:         184
        .size:           8
        .value_kind:     hidden_global_offset_x
      - .offset:         192
        .size:           8
        .value_kind:     hidden_global_offset_y
      - .offset:         200
        .size:           8
        .value_kind:     hidden_global_offset_z
      - .offset:         208
        .size:           2
        .value_kind:     hidden_grid_dims
    .group_segment_fixed_size: 17472
    .kernarg_segment_align: 8
    .kernarg_segment_size: 400
    .language:       OpenCL C
    .language_version:
      - 2
      - 0
    .max_flat_workgroup_size: 256
    .name:           _Z39paged_attention_ll4mi_QKV_mfma16_kernelI14__hip_bfloat16S0_LN4vllm18Fp8KVCacheDataTypeE0ES0_Li32ELi64ELi256ELb1ELi13EL8MFMAType0EEvPKT_PKT0_S9_ifPKiSB_SB_iPKfiiiPfSE_PS4_PT2_iSD_SD_
    .private_segment_fixed_size: 0
    .sgpr_count:     41
    .sgpr_spill_count: 0
    .symbol:         _Z39paged_attention_ll4mi_QKV_mfma16_kernelI14__hip_bfloat16S0_LN4vllm18Fp8KVCacheDataTypeE0ES0_Li32ELi64ELi256ELb1ELi13EL8MFMAType0EEvPKT_PKT0_S9_ifPKiSB_SB_iPKfiiiPfSE_PS4_PT2_iSD_SD_.kd
    .uniform_work_group_size: 1
    .uses_dynamic_stack: false
    .vgpr_count:     142
    .vgpr_spill_count: 0
    .wavefront_size: 32
    .workgroup_processor_mode: 1
  - .args:
      - .actual_access:  read_only
        .address_space:  global
        .offset:         0
        .size:           8
        .value_kind:     global_buffer
      - .actual_access:  read_only
        .address_space:  global
        .offset:         8
        .size:           8
        .value_kind:     global_buffer
      - .actual_access:  read_only
        .address_space:  global
        .offset:         16
        .size:           8
        .value_kind:     global_buffer
      - .offset:         24
        .size:           4
        .value_kind:     by_value
      - .offset:         28
        .size:           4
        .value_kind:     by_value
      - .actual_access:  read_only
        .address_space:  global
        .offset:         32
        .size:           8
        .value_kind:     global_buffer
      - .actual_access:  read_only
        .address_space:  global
        .offset:         40
        .size:           8
        .value_kind:     global_buffer
      - .actual_access:  read_only
        .address_space:  global
        .offset:         48
        .size:           8
        .value_kind:     global_buffer
      - .offset:         56
        .size:           4
        .value_kind:     by_value
      - .actual_access:  read_only
        .address_space:  global
        .offset:         64
        .size:           8
        .value_kind:     global_buffer
      - .offset:         72
        .size:           4
        .value_kind:     by_value
      - .offset:         76
        .size:           4
        .value_kind:     by_value
      - .offset:         80
        .size:           4
        .value_kind:     by_value
      - .actual_access:  write_only
        .address_space:  global
        .offset:         88
        .size:           8
        .value_kind:     global_buffer
      - .actual_access:  write_only
        .address_space:  global
        .offset:         96
        .size:           8
        .value_kind:     global_buffer
      - .actual_access:  write_only
        .address_space:  global
        .offset:         104
        .size:           8
        .value_kind:     global_buffer
      - .actual_access:  read_only
        .address_space:  global
        .offset:         112
        .size:           8
        .value_kind:     global_buffer
      - .offset:         120
        .size:           4
        .value_kind:     by_value
      - .address_space:  global
        .offset:         128
        .size:           8
        .value_kind:     global_buffer
      - .address_space:  global
        .offset:         136
        .size:           8
        .value_kind:     global_buffer
      - .offset:         144
        .size:           4
        .value_kind:     hidden_block_count_x
      - .offset:         148
        .size:           4
        .value_kind:     hidden_block_count_y
      - .offset:         152
        .size:           4
        .value_kind:     hidden_block_count_z
      - .offset:         156
        .size:           2
        .value_kind:     hidden_group_size_x
      - .offset:         158
        .size:           2
        .value_kind:     hidden_group_size_y
      - .offset:         160
        .size:           2
        .value_kind:     hidden_group_size_z
      - .offset:         162
        .size:           2
        .value_kind:     hidden_remainder_x
      - .offset:         164
        .size:           2
        .value_kind:     hidden_remainder_y
      - .offset:         166
        .size:           2
        .value_kind:     hidden_remainder_z
      - .offset:         184
        .size:           8
        .value_kind:     hidden_global_offset_x
      - .offset:         192
        .size:           8
        .value_kind:     hidden_global_offset_y
      - .offset:         200
        .size:           8
        .value_kind:     hidden_global_offset_z
      - .offset:         208
        .size:           2
        .value_kind:     hidden_grid_dims
    .group_segment_fixed_size: 17472
    .kernarg_segment_align: 8
    .kernarg_segment_size: 400
    .language:       OpenCL C
    .language_version:
      - 2
      - 0
    .max_flat_workgroup_size: 256
    .name:           _Z39paged_attention_ll4mi_QKV_mfma16_kernelI14__hip_bfloat16S0_LN4vllm18Fp8KVCacheDataTypeE0ES0_Li32ELi64ELi256ELb1ELi14EL8MFMAType0EEvPKT_PKT0_S9_ifPKiSB_SB_iPKfiiiPfSE_PS4_PT2_iSD_SD_
    .private_segment_fixed_size: 0
    .sgpr_count:     40
    .sgpr_spill_count: 0
    .symbol:         _Z39paged_attention_ll4mi_QKV_mfma16_kernelI14__hip_bfloat16S0_LN4vllm18Fp8KVCacheDataTypeE0ES0_Li32ELi64ELi256ELb1ELi14EL8MFMAType0EEvPKT_PKT0_S9_ifPKiSB_SB_iPKfiiiPfSE_PS4_PT2_iSD_SD_.kd
    .uniform_work_group_size: 1
    .uses_dynamic_stack: false
    .vgpr_count:     142
    .vgpr_spill_count: 0
    .wavefront_size: 32
    .workgroup_processor_mode: 1
  - .args:
      - .actual_access:  read_only
        .address_space:  global
        .offset:         0
        .size:           8
        .value_kind:     global_buffer
      - .actual_access:  read_only
        .address_space:  global
        .offset:         8
        .size:           8
        .value_kind:     global_buffer
      - .actual_access:  read_only
        .address_space:  global
        .offset:         16
        .size:           8
        .value_kind:     global_buffer
      - .offset:         24
        .size:           4
        .value_kind:     by_value
      - .offset:         28
        .size:           4
        .value_kind:     by_value
      - .actual_access:  read_only
        .address_space:  global
        .offset:         32
        .size:           8
        .value_kind:     global_buffer
      - .actual_access:  read_only
        .address_space:  global
        .offset:         40
        .size:           8
        .value_kind:     global_buffer
      - .actual_access:  read_only
        .address_space:  global
        .offset:         48
        .size:           8
        .value_kind:     global_buffer
      - .offset:         56
        .size:           4
        .value_kind:     by_value
      - .actual_access:  read_only
        .address_space:  global
        .offset:         64
        .size:           8
        .value_kind:     global_buffer
      - .offset:         72
        .size:           4
        .value_kind:     by_value
      - .offset:         76
        .size:           4
        .value_kind:     by_value
      - .offset:         80
        .size:           4
        .value_kind:     by_value
      - .actual_access:  write_only
        .address_space:  global
        .offset:         88
        .size:           8
        .value_kind:     global_buffer
      - .actual_access:  write_only
        .address_space:  global
        .offset:         96
        .size:           8
        .value_kind:     global_buffer
      - .actual_access:  write_only
        .address_space:  global
        .offset:         104
        .size:           8
        .value_kind:     global_buffer
      - .actual_access:  read_only
        .address_space:  global
        .offset:         112
        .size:           8
        .value_kind:     global_buffer
      - .offset:         120
        .size:           4
        .value_kind:     by_value
      - .address_space:  global
        .offset:         128
        .size:           8
        .value_kind:     global_buffer
      - .address_space:  global
        .offset:         136
        .size:           8
        .value_kind:     global_buffer
      - .offset:         144
        .size:           4
        .value_kind:     hidden_block_count_x
      - .offset:         148
        .size:           4
        .value_kind:     hidden_block_count_y
      - .offset:         152
        .size:           4
        .value_kind:     hidden_block_count_z
      - .offset:         156
        .size:           2
        .value_kind:     hidden_group_size_x
      - .offset:         158
        .size:           2
        .value_kind:     hidden_group_size_y
      - .offset:         160
        .size:           2
        .value_kind:     hidden_group_size_z
      - .offset:         162
        .size:           2
        .value_kind:     hidden_remainder_x
      - .offset:         164
        .size:           2
        .value_kind:     hidden_remainder_y
      - .offset:         166
        .size:           2
        .value_kind:     hidden_remainder_z
      - .offset:         184
        .size:           8
        .value_kind:     hidden_global_offset_x
      - .offset:         192
        .size:           8
        .value_kind:     hidden_global_offset_y
      - .offset:         200
        .size:           8
        .value_kind:     hidden_global_offset_z
      - .offset:         208
        .size:           2
        .value_kind:     hidden_grid_dims
    .group_segment_fixed_size: 17472
    .kernarg_segment_align: 8
    .kernarg_segment_size: 400
    .language:       OpenCL C
    .language_version:
      - 2
      - 0
    .max_flat_workgroup_size: 256
    .name:           _Z39paged_attention_ll4mi_QKV_mfma16_kernelI14__hip_bfloat16S0_LN4vllm18Fp8KVCacheDataTypeE0ES0_Li32ELi64ELi256ELb1ELi15EL8MFMAType0EEvPKT_PKT0_S9_ifPKiSB_SB_iPKfiiiPfSE_PS4_PT2_iSD_SD_
    .private_segment_fixed_size: 0
    .sgpr_count:     41
    .sgpr_spill_count: 0
    .symbol:         _Z39paged_attention_ll4mi_QKV_mfma16_kernelI14__hip_bfloat16S0_LN4vllm18Fp8KVCacheDataTypeE0ES0_Li32ELi64ELi256ELb1ELi15EL8MFMAType0EEvPKT_PKT0_S9_ifPKiSB_SB_iPKfiiiPfSE_PS4_PT2_iSD_SD_.kd
    .uniform_work_group_size: 1
    .uses_dynamic_stack: false
    .vgpr_count:     142
    .vgpr_spill_count: 0
    .wavefront_size: 32
    .workgroup_processor_mode: 1
  - .args:
      - .actual_access:  read_only
        .address_space:  global
        .offset:         0
        .size:           8
        .value_kind:     global_buffer
      - .actual_access:  read_only
        .address_space:  global
        .offset:         8
        .size:           8
        .value_kind:     global_buffer
      - .actual_access:  read_only
        .address_space:  global
        .offset:         16
        .size:           8
        .value_kind:     global_buffer
      - .offset:         24
        .size:           4
        .value_kind:     by_value
      - .offset:         28
        .size:           4
        .value_kind:     by_value
      - .actual_access:  read_only
        .address_space:  global
        .offset:         32
        .size:           8
        .value_kind:     global_buffer
      - .actual_access:  read_only
        .address_space:  global
        .offset:         40
        .size:           8
        .value_kind:     global_buffer
      - .actual_access:  read_only
        .address_space:  global
        .offset:         48
        .size:           8
        .value_kind:     global_buffer
      - .offset:         56
        .size:           4
        .value_kind:     by_value
      - .actual_access:  read_only
        .address_space:  global
        .offset:         64
        .size:           8
        .value_kind:     global_buffer
      - .offset:         72
        .size:           4
        .value_kind:     by_value
      - .offset:         76
        .size:           4
        .value_kind:     by_value
      - .offset:         80
        .size:           4
        .value_kind:     by_value
      - .actual_access:  write_only
        .address_space:  global
        .offset:         88
        .size:           8
        .value_kind:     global_buffer
      - .actual_access:  write_only
        .address_space:  global
        .offset:         96
        .size:           8
        .value_kind:     global_buffer
      - .actual_access:  write_only
        .address_space:  global
        .offset:         104
        .size:           8
        .value_kind:     global_buffer
      - .actual_access:  read_only
        .address_space:  global
        .offset:         112
        .size:           8
        .value_kind:     global_buffer
      - .offset:         120
        .size:           4
        .value_kind:     by_value
      - .address_space:  global
        .offset:         128
        .size:           8
        .value_kind:     global_buffer
      - .address_space:  global
        .offset:         136
        .size:           8
        .value_kind:     global_buffer
      - .offset:         144
        .size:           4
        .value_kind:     hidden_block_count_x
      - .offset:         148
        .size:           4
        .value_kind:     hidden_block_count_y
      - .offset:         152
        .size:           4
        .value_kind:     hidden_block_count_z
      - .offset:         156
        .size:           2
        .value_kind:     hidden_group_size_x
      - .offset:         158
        .size:           2
        .value_kind:     hidden_group_size_y
      - .offset:         160
        .size:           2
        .value_kind:     hidden_group_size_z
      - .offset:         162
        .size:           2
        .value_kind:     hidden_remainder_x
      - .offset:         164
        .size:           2
        .value_kind:     hidden_remainder_y
      - .offset:         166
        .size:           2
        .value_kind:     hidden_remainder_z
      - .offset:         184
        .size:           8
        .value_kind:     hidden_global_offset_x
      - .offset:         192
        .size:           8
        .value_kind:     hidden_global_offset_y
      - .offset:         200
        .size:           8
        .value_kind:     hidden_global_offset_z
      - .offset:         208
        .size:           2
        .value_kind:     hidden_grid_dims
    .group_segment_fixed_size: 17472
    .kernarg_segment_align: 8
    .kernarg_segment_size: 400
    .language:       OpenCL C
    .language_version:
      - 2
      - 0
    .max_flat_workgroup_size: 256
    .name:           _Z39paged_attention_ll4mi_QKV_mfma16_kernelI14__hip_bfloat16S0_LN4vllm18Fp8KVCacheDataTypeE0ES0_Li32ELi64ELi256ELb1ELi16EL8MFMAType0EEvPKT_PKT0_S9_ifPKiSB_SB_iPKfiiiPfSE_PS4_PT2_iSD_SD_
    .private_segment_fixed_size: 0
    .sgpr_count:     40
    .sgpr_spill_count: 0
    .symbol:         _Z39paged_attention_ll4mi_QKV_mfma16_kernelI14__hip_bfloat16S0_LN4vllm18Fp8KVCacheDataTypeE0ES0_Li32ELi64ELi256ELb1ELi16EL8MFMAType0EEvPKT_PKT0_S9_ifPKiSB_SB_iPKfiiiPfSE_PS4_PT2_iSD_SD_.kd
    .uniform_work_group_size: 1
    .uses_dynamic_stack: false
    .vgpr_count:     142
    .vgpr_spill_count: 0
    .wavefront_size: 32
    .workgroup_processor_mode: 1
  - .args:
      - .actual_access:  read_only
        .address_space:  global
        .offset:         0
        .size:           8
        .value_kind:     global_buffer
      - .actual_access:  read_only
        .address_space:  global
        .offset:         8
        .size:           8
        .value_kind:     global_buffer
      - .actual_access:  read_only
        .address_space:  global
        .offset:         16
        .size:           8
        .value_kind:     global_buffer
      - .offset:         24
        .size:           4
        .value_kind:     by_value
      - .offset:         28
        .size:           4
        .value_kind:     by_value
      - .actual_access:  read_only
        .address_space:  global
        .offset:         32
        .size:           8
        .value_kind:     global_buffer
      - .actual_access:  read_only
        .address_space:  global
        .offset:         40
        .size:           8
        .value_kind:     global_buffer
      - .actual_access:  read_only
        .address_space:  global
        .offset:         48
        .size:           8
        .value_kind:     global_buffer
      - .offset:         56
        .size:           4
        .value_kind:     by_value
      - .actual_access:  read_only
        .address_space:  global
        .offset:         64
        .size:           8
        .value_kind:     global_buffer
      - .offset:         72
        .size:           4
        .value_kind:     by_value
      - .offset:         76
        .size:           4
        .value_kind:     by_value
      - .offset:         80
        .size:           4
        .value_kind:     by_value
      - .actual_access:  write_only
        .address_space:  global
        .offset:         88
        .size:           8
        .value_kind:     global_buffer
      - .actual_access:  write_only
        .address_space:  global
        .offset:         96
        .size:           8
        .value_kind:     global_buffer
      - .actual_access:  write_only
        .address_space:  global
        .offset:         104
        .size:           8
        .value_kind:     global_buffer
      - .actual_access:  read_only
        .address_space:  global
        .offset:         112
        .size:           8
        .value_kind:     global_buffer
      - .offset:         120
        .size:           4
        .value_kind:     by_value
      - .address_space:  global
        .offset:         128
        .size:           8
        .value_kind:     global_buffer
      - .address_space:  global
        .offset:         136
        .size:           8
        .value_kind:     global_buffer
      - .offset:         144
        .size:           4
        .value_kind:     hidden_block_count_x
      - .offset:         148
        .size:           4
        .value_kind:     hidden_block_count_y
      - .offset:         152
        .size:           4
        .value_kind:     hidden_block_count_z
      - .offset:         156
        .size:           2
        .value_kind:     hidden_group_size_x
      - .offset:         158
        .size:           2
        .value_kind:     hidden_group_size_y
      - .offset:         160
        .size:           2
        .value_kind:     hidden_group_size_z
      - .offset:         162
        .size:           2
        .value_kind:     hidden_remainder_x
      - .offset:         164
        .size:           2
        .value_kind:     hidden_remainder_y
      - .offset:         166
        .size:           2
        .value_kind:     hidden_remainder_z
      - .offset:         184
        .size:           8
        .value_kind:     hidden_global_offset_x
      - .offset:         192
        .size:           8
        .value_kind:     hidden_global_offset_y
      - .offset:         200
        .size:           8
        .value_kind:     hidden_global_offset_z
      - .offset:         208
        .size:           2
        .value_kind:     hidden_grid_dims
    .group_segment_fixed_size: 17472
    .kernarg_segment_align: 8
    .kernarg_segment_size: 400
    .language:       OpenCL C
    .language_version:
      - 2
      - 0
    .max_flat_workgroup_size: 256
    .name:           _Z39paged_attention_ll4mi_QKV_mfma16_kernelI14__hip_bfloat16S0_LN4vllm18Fp8KVCacheDataTypeE0ES0_Li32ELi64ELi256ELb1ELi1EL8MFMAType0EEvPKT_PKT0_S9_ifPKiSB_SB_iPKfiiiPfSE_PS4_PT2_iSD_SD_
    .private_segment_fixed_size: 0
    .sgpr_count:     71
    .sgpr_spill_count: 0
    .symbol:         _Z39paged_attention_ll4mi_QKV_mfma16_kernelI14__hip_bfloat16S0_LN4vllm18Fp8KVCacheDataTypeE0ES0_Li32ELi64ELi256ELb1ELi1EL8MFMAType0EEvPKT_PKT0_S9_ifPKiSB_SB_iPKfiiiPfSE_PS4_PT2_iSD_SD_.kd
    .uniform_work_group_size: 1
    .uses_dynamic_stack: false
    .vgpr_count:     138
    .vgpr_spill_count: 0
    .wavefront_size: 32
    .workgroup_processor_mode: 1
  - .args:
      - .actual_access:  read_only
        .address_space:  global
        .offset:         0
        .size:           8
        .value_kind:     global_buffer
      - .actual_access:  read_only
        .address_space:  global
        .offset:         8
        .size:           8
        .value_kind:     global_buffer
      - .actual_access:  read_only
        .address_space:  global
        .offset:         16
        .size:           8
        .value_kind:     global_buffer
      - .offset:         24
        .size:           4
        .value_kind:     by_value
      - .offset:         28
        .size:           4
        .value_kind:     by_value
      - .actual_access:  read_only
        .address_space:  global
        .offset:         32
        .size:           8
        .value_kind:     global_buffer
      - .actual_access:  read_only
        .address_space:  global
        .offset:         40
        .size:           8
        .value_kind:     global_buffer
      - .actual_access:  read_only
        .address_space:  global
        .offset:         48
        .size:           8
        .value_kind:     global_buffer
      - .offset:         56
        .size:           4
        .value_kind:     by_value
      - .actual_access:  read_only
        .address_space:  global
        .offset:         64
        .size:           8
        .value_kind:     global_buffer
      - .offset:         72
        .size:           4
        .value_kind:     by_value
      - .offset:         76
        .size:           4
        .value_kind:     by_value
      - .offset:         80
        .size:           4
        .value_kind:     by_value
      - .actual_access:  write_only
        .address_space:  global
        .offset:         88
        .size:           8
        .value_kind:     global_buffer
      - .actual_access:  write_only
        .address_space:  global
        .offset:         96
        .size:           8
        .value_kind:     global_buffer
      - .actual_access:  write_only
        .address_space:  global
        .offset:         104
        .size:           8
        .value_kind:     global_buffer
      - .actual_access:  read_only
        .address_space:  global
        .offset:         112
        .size:           8
        .value_kind:     global_buffer
      - .offset:         120
        .size:           4
        .value_kind:     by_value
      - .address_space:  global
        .offset:         128
        .size:           8
        .value_kind:     global_buffer
      - .address_space:  global
        .offset:         136
        .size:           8
        .value_kind:     global_buffer
      - .offset:         144
        .size:           4
        .value_kind:     hidden_block_count_x
      - .offset:         148
        .size:           4
        .value_kind:     hidden_block_count_y
      - .offset:         152
        .size:           4
        .value_kind:     hidden_block_count_z
      - .offset:         156
        .size:           2
        .value_kind:     hidden_group_size_x
      - .offset:         158
        .size:           2
        .value_kind:     hidden_group_size_y
      - .offset:         160
        .size:           2
        .value_kind:     hidden_group_size_z
      - .offset:         162
        .size:           2
        .value_kind:     hidden_remainder_x
      - .offset:         164
        .size:           2
        .value_kind:     hidden_remainder_y
      - .offset:         166
        .size:           2
        .value_kind:     hidden_remainder_z
      - .offset:         184
        .size:           8
        .value_kind:     hidden_global_offset_x
      - .offset:         192
        .size:           8
        .value_kind:     hidden_global_offset_y
      - .offset:         200
        .size:           8
        .value_kind:     hidden_global_offset_z
      - .offset:         208
        .size:           2
        .value_kind:     hidden_grid_dims
    .group_segment_fixed_size: 17472
    .kernarg_segment_align: 8
    .kernarg_segment_size: 400
    .language:       OpenCL C
    .language_version:
      - 2
      - 0
    .max_flat_workgroup_size: 256
    .name:           _Z39paged_attention_ll4mi_QKV_mfma16_kernelI14__hip_bfloat16S0_LN4vllm18Fp8KVCacheDataTypeE0ES0_Li32ELi64ELi256ELb1ELi2EL8MFMAType0EEvPKT_PKT0_S9_ifPKiSB_SB_iPKfiiiPfSE_PS4_PT2_iSD_SD_
    .private_segment_fixed_size: 0
    .sgpr_count:     41
    .sgpr_spill_count: 0
    .symbol:         _Z39paged_attention_ll4mi_QKV_mfma16_kernelI14__hip_bfloat16S0_LN4vllm18Fp8KVCacheDataTypeE0ES0_Li32ELi64ELi256ELb1ELi2EL8MFMAType0EEvPKT_PKT0_S9_ifPKiSB_SB_iPKfiiiPfSE_PS4_PT2_iSD_SD_.kd
    .uniform_work_group_size: 1
    .uses_dynamic_stack: false
    .vgpr_count:     144
    .vgpr_spill_count: 0
    .wavefront_size: 32
    .workgroup_processor_mode: 1
  - .args:
      - .actual_access:  read_only
        .address_space:  global
        .offset:         0
        .size:           8
        .value_kind:     global_buffer
      - .actual_access:  read_only
        .address_space:  global
        .offset:         8
        .size:           8
        .value_kind:     global_buffer
      - .actual_access:  read_only
        .address_space:  global
        .offset:         16
        .size:           8
        .value_kind:     global_buffer
      - .offset:         24
        .size:           4
        .value_kind:     by_value
      - .offset:         28
        .size:           4
        .value_kind:     by_value
      - .actual_access:  read_only
        .address_space:  global
        .offset:         32
        .size:           8
        .value_kind:     global_buffer
      - .actual_access:  read_only
        .address_space:  global
        .offset:         40
        .size:           8
        .value_kind:     global_buffer
      - .actual_access:  read_only
        .address_space:  global
        .offset:         48
        .size:           8
        .value_kind:     global_buffer
      - .offset:         56
        .size:           4
        .value_kind:     by_value
      - .actual_access:  read_only
        .address_space:  global
        .offset:         64
        .size:           8
        .value_kind:     global_buffer
      - .offset:         72
        .size:           4
        .value_kind:     by_value
      - .offset:         76
        .size:           4
        .value_kind:     by_value
      - .offset:         80
        .size:           4
        .value_kind:     by_value
      - .actual_access:  write_only
        .address_space:  global
        .offset:         88
        .size:           8
        .value_kind:     global_buffer
      - .actual_access:  write_only
        .address_space:  global
        .offset:         96
        .size:           8
        .value_kind:     global_buffer
      - .actual_access:  write_only
        .address_space:  global
        .offset:         104
        .size:           8
        .value_kind:     global_buffer
      - .actual_access:  read_only
        .address_space:  global
        .offset:         112
        .size:           8
        .value_kind:     global_buffer
      - .offset:         120
        .size:           4
        .value_kind:     by_value
      - .address_space:  global
        .offset:         128
        .size:           8
        .value_kind:     global_buffer
      - .address_space:  global
        .offset:         136
        .size:           8
        .value_kind:     global_buffer
      - .offset:         144
        .size:           4
        .value_kind:     hidden_block_count_x
      - .offset:         148
        .size:           4
        .value_kind:     hidden_block_count_y
      - .offset:         152
        .size:           4
        .value_kind:     hidden_block_count_z
      - .offset:         156
        .size:           2
        .value_kind:     hidden_group_size_x
      - .offset:         158
        .size:           2
        .value_kind:     hidden_group_size_y
      - .offset:         160
        .size:           2
        .value_kind:     hidden_group_size_z
      - .offset:         162
        .size:           2
        .value_kind:     hidden_remainder_x
      - .offset:         164
        .size:           2
        .value_kind:     hidden_remainder_y
      - .offset:         166
        .size:           2
        .value_kind:     hidden_remainder_z
      - .offset:         184
        .size:           8
        .value_kind:     hidden_global_offset_x
      - .offset:         192
        .size:           8
        .value_kind:     hidden_global_offset_y
      - .offset:         200
        .size:           8
        .value_kind:     hidden_global_offset_z
      - .offset:         208
        .size:           2
        .value_kind:     hidden_grid_dims
    .group_segment_fixed_size: 17472
    .kernarg_segment_align: 8
    .kernarg_segment_size: 400
    .language:       OpenCL C
    .language_version:
      - 2
      - 0
    .max_flat_workgroup_size: 256
    .name:           _Z39paged_attention_ll4mi_QKV_mfma16_kernelI14__hip_bfloat16S0_LN4vllm18Fp8KVCacheDataTypeE0ES0_Li32ELi64ELi256ELb1ELi3EL8MFMAType0EEvPKT_PKT0_S9_ifPKiSB_SB_iPKfiiiPfSE_PS4_PT2_iSD_SD_
    .private_segment_fixed_size: 0
    .sgpr_count:     41
    .sgpr_spill_count: 0
    .symbol:         _Z39paged_attention_ll4mi_QKV_mfma16_kernelI14__hip_bfloat16S0_LN4vllm18Fp8KVCacheDataTypeE0ES0_Li32ELi64ELi256ELb1ELi3EL8MFMAType0EEvPKT_PKT0_S9_ifPKiSB_SB_iPKfiiiPfSE_PS4_PT2_iSD_SD_.kd
    .uniform_work_group_size: 1
    .uses_dynamic_stack: false
    .vgpr_count:     142
    .vgpr_spill_count: 0
    .wavefront_size: 32
    .workgroup_processor_mode: 1
  - .args:
      - .actual_access:  read_only
        .address_space:  global
        .offset:         0
        .size:           8
        .value_kind:     global_buffer
      - .actual_access:  read_only
        .address_space:  global
        .offset:         8
        .size:           8
        .value_kind:     global_buffer
      - .actual_access:  read_only
        .address_space:  global
        .offset:         16
        .size:           8
        .value_kind:     global_buffer
      - .offset:         24
        .size:           4
        .value_kind:     by_value
      - .offset:         28
        .size:           4
        .value_kind:     by_value
      - .actual_access:  read_only
        .address_space:  global
        .offset:         32
        .size:           8
        .value_kind:     global_buffer
      - .actual_access:  read_only
        .address_space:  global
        .offset:         40
        .size:           8
        .value_kind:     global_buffer
      - .actual_access:  read_only
        .address_space:  global
        .offset:         48
        .size:           8
        .value_kind:     global_buffer
      - .offset:         56
        .size:           4
        .value_kind:     by_value
      - .actual_access:  read_only
        .address_space:  global
        .offset:         64
        .size:           8
        .value_kind:     global_buffer
      - .offset:         72
        .size:           4
        .value_kind:     by_value
      - .offset:         76
        .size:           4
        .value_kind:     by_value
      - .offset:         80
        .size:           4
        .value_kind:     by_value
      - .actual_access:  write_only
        .address_space:  global
        .offset:         88
        .size:           8
        .value_kind:     global_buffer
      - .actual_access:  write_only
        .address_space:  global
        .offset:         96
        .size:           8
        .value_kind:     global_buffer
      - .actual_access:  write_only
        .address_space:  global
        .offset:         104
        .size:           8
        .value_kind:     global_buffer
      - .actual_access:  read_only
        .address_space:  global
        .offset:         112
        .size:           8
        .value_kind:     global_buffer
      - .offset:         120
        .size:           4
        .value_kind:     by_value
      - .address_space:  global
        .offset:         128
        .size:           8
        .value_kind:     global_buffer
      - .address_space:  global
        .offset:         136
        .size:           8
        .value_kind:     global_buffer
      - .offset:         144
        .size:           4
        .value_kind:     hidden_block_count_x
      - .offset:         148
        .size:           4
        .value_kind:     hidden_block_count_y
      - .offset:         152
        .size:           4
        .value_kind:     hidden_block_count_z
      - .offset:         156
        .size:           2
        .value_kind:     hidden_group_size_x
      - .offset:         158
        .size:           2
        .value_kind:     hidden_group_size_y
      - .offset:         160
        .size:           2
        .value_kind:     hidden_group_size_z
      - .offset:         162
        .size:           2
        .value_kind:     hidden_remainder_x
      - .offset:         164
        .size:           2
        .value_kind:     hidden_remainder_y
      - .offset:         166
        .size:           2
        .value_kind:     hidden_remainder_z
      - .offset:         184
        .size:           8
        .value_kind:     hidden_global_offset_x
      - .offset:         192
        .size:           8
        .value_kind:     hidden_global_offset_y
      - .offset:         200
        .size:           8
        .value_kind:     hidden_global_offset_z
      - .offset:         208
        .size:           2
        .value_kind:     hidden_grid_dims
    .group_segment_fixed_size: 17472
    .kernarg_segment_align: 8
    .kernarg_segment_size: 400
    .language:       OpenCL C
    .language_version:
      - 2
      - 0
    .max_flat_workgroup_size: 256
    .name:           _Z39paged_attention_ll4mi_QKV_mfma16_kernelI14__hip_bfloat16S0_LN4vllm18Fp8KVCacheDataTypeE0ES0_Li32ELi64ELi256ELb1ELi4EL8MFMAType0EEvPKT_PKT0_S9_ifPKiSB_SB_iPKfiiiPfSE_PS4_PT2_iSD_SD_
    .private_segment_fixed_size: 0
    .sgpr_count:     40
    .sgpr_spill_count: 0
    .symbol:         _Z39paged_attention_ll4mi_QKV_mfma16_kernelI14__hip_bfloat16S0_LN4vllm18Fp8KVCacheDataTypeE0ES0_Li32ELi64ELi256ELb1ELi4EL8MFMAType0EEvPKT_PKT0_S9_ifPKiSB_SB_iPKfiiiPfSE_PS4_PT2_iSD_SD_.kd
    .uniform_work_group_size: 1
    .uses_dynamic_stack: false
    .vgpr_count:     142
    .vgpr_spill_count: 0
    .wavefront_size: 32
    .workgroup_processor_mode: 1
  - .args:
      - .actual_access:  read_only
        .address_space:  global
        .offset:         0
        .size:           8
        .value_kind:     global_buffer
      - .actual_access:  read_only
        .address_space:  global
        .offset:         8
        .size:           8
        .value_kind:     global_buffer
      - .actual_access:  read_only
        .address_space:  global
        .offset:         16
        .size:           8
        .value_kind:     global_buffer
      - .offset:         24
        .size:           4
        .value_kind:     by_value
      - .offset:         28
        .size:           4
        .value_kind:     by_value
      - .actual_access:  read_only
        .address_space:  global
        .offset:         32
        .size:           8
        .value_kind:     global_buffer
      - .actual_access:  read_only
        .address_space:  global
        .offset:         40
        .size:           8
        .value_kind:     global_buffer
      - .actual_access:  read_only
        .address_space:  global
        .offset:         48
        .size:           8
        .value_kind:     global_buffer
      - .offset:         56
        .size:           4
        .value_kind:     by_value
      - .actual_access:  read_only
        .address_space:  global
        .offset:         64
        .size:           8
        .value_kind:     global_buffer
      - .offset:         72
        .size:           4
        .value_kind:     by_value
      - .offset:         76
        .size:           4
        .value_kind:     by_value
      - .offset:         80
        .size:           4
        .value_kind:     by_value
      - .actual_access:  read_only
        .address_space:  global
        .offset:         88
        .size:           8
        .value_kind:     global_buffer
      - .actual_access:  read_only
        .address_space:  global
        .offset:         96
        .size:           8
        .value_kind:     global_buffer
      - .actual_access:  read_only
        .address_space:  global
        .offset:         104
        .size:           8
        .value_kind:     global_buffer
      - .actual_access:  read_only
        .address_space:  global
        .offset:         112
        .size:           8
        .value_kind:     global_buffer
      - .offset:         120
        .size:           4
        .value_kind:     by_value
      - .address_space:  global
        .offset:         128
        .size:           8
        .value_kind:     global_buffer
      - .address_space:  global
        .offset:         136
        .size:           8
        .value_kind:     global_buffer
      - .offset:         144
        .size:           4
        .value_kind:     hidden_block_count_x
      - .offset:         148
        .size:           4
        .value_kind:     hidden_block_count_y
      - .offset:         152
        .size:           4
        .value_kind:     hidden_block_count_z
      - .offset:         156
        .size:           2
        .value_kind:     hidden_group_size_x
      - .offset:         158
        .size:           2
        .value_kind:     hidden_group_size_y
      - .offset:         160
        .size:           2
        .value_kind:     hidden_group_size_z
      - .offset:         162
        .size:           2
        .value_kind:     hidden_remainder_x
      - .offset:         164
        .size:           2
        .value_kind:     hidden_remainder_y
      - .offset:         166
        .size:           2
        .value_kind:     hidden_remainder_z
      - .offset:         184
        .size:           8
        .value_kind:     hidden_global_offset_x
      - .offset:         192
        .size:           8
        .value_kind:     hidden_global_offset_y
      - .offset:         200
        .size:           8
        .value_kind:     hidden_global_offset_z
      - .offset:         208
        .size:           2
        .value_kind:     hidden_grid_dims
      - .offset:         224
        .size:           8
        .value_kind:     hidden_hostcall_buffer
    .group_segment_fixed_size: 0
    .kernarg_segment_align: 8
    .kernarg_segment_size: 400
    .language:       OpenCL C
    .language_version:
      - 2
      - 0
    .max_flat_workgroup_size: 256
    .name:           _Z38paged_attention_ll4mi_QKV_mfma4_kernelI14__hip_bfloat16S0_LN4vllm18Fp8KVCacheDataTypeE0ES0_Li32ELi64ELi256ELb0ELi1EEvPKT_PKT0_S8_ifPKiSA_SA_iPKfiiiPfSD_PS3_PT2_iSC_SC_
    .private_segment_fixed_size: 64
    .sgpr_count:     36
    .sgpr_spill_count: 0
    .symbol:         _Z38paged_attention_ll4mi_QKV_mfma4_kernelI14__hip_bfloat16S0_LN4vllm18Fp8KVCacheDataTypeE0ES0_Li32ELi64ELi256ELb0ELi1EEvPKT_PKT0_S8_ifPKiSA_SA_iPKfiiiPfSD_PS3_PT2_iSC_SC_.kd
    .uniform_work_group_size: 1
    .uses_dynamic_stack: false
    .vgpr_count:     41
    .vgpr_spill_count: 0
    .wavefront_size: 32
    .workgroup_processor_mode: 1
  - .args:
      - .actual_access:  read_only
        .address_space:  global
        .offset:         0
        .size:           8
        .value_kind:     global_buffer
      - .actual_access:  read_only
        .address_space:  global
        .offset:         8
        .size:           8
        .value_kind:     global_buffer
      - .actual_access:  read_only
        .address_space:  global
        .offset:         16
        .size:           8
        .value_kind:     global_buffer
      - .offset:         24
        .size:           4
        .value_kind:     by_value
      - .offset:         28
        .size:           4
        .value_kind:     by_value
      - .actual_access:  read_only
        .address_space:  global
        .offset:         32
        .size:           8
        .value_kind:     global_buffer
      - .actual_access:  read_only
        .address_space:  global
        .offset:         40
        .size:           8
        .value_kind:     global_buffer
      - .actual_access:  read_only
        .address_space:  global
        .offset:         48
        .size:           8
        .value_kind:     global_buffer
      - .offset:         56
        .size:           4
        .value_kind:     by_value
      - .actual_access:  read_only
        .address_space:  global
        .offset:         64
        .size:           8
        .value_kind:     global_buffer
      - .offset:         72
        .size:           4
        .value_kind:     by_value
      - .offset:         76
        .size:           4
        .value_kind:     by_value
      - .offset:         80
        .size:           4
        .value_kind:     by_value
      - .actual_access:  read_only
        .address_space:  global
        .offset:         88
        .size:           8
        .value_kind:     global_buffer
      - .actual_access:  read_only
        .address_space:  global
        .offset:         96
        .size:           8
        .value_kind:     global_buffer
      - .actual_access:  read_only
        .address_space:  global
        .offset:         104
        .size:           8
        .value_kind:     global_buffer
      - .actual_access:  read_only
        .address_space:  global
        .offset:         112
        .size:           8
        .value_kind:     global_buffer
      - .offset:         120
        .size:           4
        .value_kind:     by_value
      - .address_space:  global
        .offset:         128
        .size:           8
        .value_kind:     global_buffer
      - .address_space:  global
        .offset:         136
        .size:           8
        .value_kind:     global_buffer
      - .offset:         144
        .size:           4
        .value_kind:     hidden_block_count_x
      - .offset:         148
        .size:           4
        .value_kind:     hidden_block_count_y
      - .offset:         152
        .size:           4
        .value_kind:     hidden_block_count_z
      - .offset:         156
        .size:           2
        .value_kind:     hidden_group_size_x
      - .offset:         158
        .size:           2
        .value_kind:     hidden_group_size_y
      - .offset:         160
        .size:           2
        .value_kind:     hidden_group_size_z
      - .offset:         162
        .size:           2
        .value_kind:     hidden_remainder_x
      - .offset:         164
        .size:           2
        .value_kind:     hidden_remainder_y
      - .offset:         166
        .size:           2
        .value_kind:     hidden_remainder_z
      - .offset:         184
        .size:           8
        .value_kind:     hidden_global_offset_x
      - .offset:         192
        .size:           8
        .value_kind:     hidden_global_offset_y
      - .offset:         200
        .size:           8
        .value_kind:     hidden_global_offset_z
      - .offset:         208
        .size:           2
        .value_kind:     hidden_grid_dims
      - .offset:         224
        .size:           8
        .value_kind:     hidden_hostcall_buffer
    .group_segment_fixed_size: 0
    .kernarg_segment_align: 8
    .kernarg_segment_size: 400
    .language:       OpenCL C
    .language_version:
      - 2
      - 0
    .max_flat_workgroup_size: 256
    .name:           _Z38paged_attention_ll4mi_QKV_mfma4_kernelI14__hip_bfloat16S0_LN4vllm18Fp8KVCacheDataTypeE0ES0_Li32ELi64ELi256ELb0ELi2EEvPKT_PKT0_S8_ifPKiSA_SA_iPKfiiiPfSD_PS3_PT2_iSC_SC_
    .private_segment_fixed_size: 64
    .sgpr_count:     36
    .sgpr_spill_count: 0
    .symbol:         _Z38paged_attention_ll4mi_QKV_mfma4_kernelI14__hip_bfloat16S0_LN4vllm18Fp8KVCacheDataTypeE0ES0_Li32ELi64ELi256ELb0ELi2EEvPKT_PKT0_S8_ifPKiSA_SA_iPKfiiiPfSD_PS3_PT2_iSC_SC_.kd
    .uniform_work_group_size: 1
    .uses_dynamic_stack: false
    .vgpr_count:     41
    .vgpr_spill_count: 0
    .wavefront_size: 32
    .workgroup_processor_mode: 1
  - .args:
      - .actual_access:  read_only
        .address_space:  global
        .offset:         0
        .size:           8
        .value_kind:     global_buffer
      - .actual_access:  read_only
        .address_space:  global
        .offset:         8
        .size:           8
        .value_kind:     global_buffer
      - .actual_access:  read_only
        .address_space:  global
        .offset:         16
        .size:           8
        .value_kind:     global_buffer
      - .offset:         24
        .size:           4
        .value_kind:     by_value
      - .offset:         28
        .size:           4
        .value_kind:     by_value
      - .actual_access:  read_only
        .address_space:  global
        .offset:         32
        .size:           8
        .value_kind:     global_buffer
      - .actual_access:  read_only
        .address_space:  global
        .offset:         40
        .size:           8
        .value_kind:     global_buffer
      - .actual_access:  read_only
        .address_space:  global
        .offset:         48
        .size:           8
        .value_kind:     global_buffer
      - .offset:         56
        .size:           4
        .value_kind:     by_value
      - .actual_access:  read_only
        .address_space:  global
        .offset:         64
        .size:           8
        .value_kind:     global_buffer
      - .offset:         72
        .size:           4
        .value_kind:     by_value
      - .offset:         76
        .size:           4
        .value_kind:     by_value
      - .offset:         80
        .size:           4
        .value_kind:     by_value
      - .actual_access:  read_only
        .address_space:  global
        .offset:         88
        .size:           8
        .value_kind:     global_buffer
      - .actual_access:  read_only
        .address_space:  global
        .offset:         96
        .size:           8
        .value_kind:     global_buffer
      - .actual_access:  read_only
        .address_space:  global
        .offset:         104
        .size:           8
        .value_kind:     global_buffer
      - .actual_access:  read_only
        .address_space:  global
        .offset:         112
        .size:           8
        .value_kind:     global_buffer
      - .offset:         120
        .size:           4
        .value_kind:     by_value
      - .address_space:  global
        .offset:         128
        .size:           8
        .value_kind:     global_buffer
      - .address_space:  global
        .offset:         136
        .size:           8
        .value_kind:     global_buffer
      - .offset:         144
        .size:           4
        .value_kind:     hidden_block_count_x
      - .offset:         148
        .size:           4
        .value_kind:     hidden_block_count_y
      - .offset:         152
        .size:           4
        .value_kind:     hidden_block_count_z
      - .offset:         156
        .size:           2
        .value_kind:     hidden_group_size_x
      - .offset:         158
        .size:           2
        .value_kind:     hidden_group_size_y
      - .offset:         160
        .size:           2
        .value_kind:     hidden_group_size_z
      - .offset:         162
        .size:           2
        .value_kind:     hidden_remainder_x
      - .offset:         164
        .size:           2
        .value_kind:     hidden_remainder_y
      - .offset:         166
        .size:           2
        .value_kind:     hidden_remainder_z
      - .offset:         184
        .size:           8
        .value_kind:     hidden_global_offset_x
      - .offset:         192
        .size:           8
        .value_kind:     hidden_global_offset_y
      - .offset:         200
        .size:           8
        .value_kind:     hidden_global_offset_z
      - .offset:         208
        .size:           2
        .value_kind:     hidden_grid_dims
      - .offset:         224
        .size:           8
        .value_kind:     hidden_hostcall_buffer
    .group_segment_fixed_size: 0
    .kernarg_segment_align: 8
    .kernarg_segment_size: 400
    .language:       OpenCL C
    .language_version:
      - 2
      - 0
    .max_flat_workgroup_size: 256
    .name:           _Z38paged_attention_ll4mi_QKV_mfma4_kernelI14__hip_bfloat16S0_LN4vllm18Fp8KVCacheDataTypeE0ES0_Li32ELi64ELi256ELb0ELi3EEvPKT_PKT0_S8_ifPKiSA_SA_iPKfiiiPfSD_PS3_PT2_iSC_SC_
    .private_segment_fixed_size: 64
    .sgpr_count:     36
    .sgpr_spill_count: 0
    .symbol:         _Z38paged_attention_ll4mi_QKV_mfma4_kernelI14__hip_bfloat16S0_LN4vllm18Fp8KVCacheDataTypeE0ES0_Li32ELi64ELi256ELb0ELi3EEvPKT_PKT0_S8_ifPKiSA_SA_iPKfiiiPfSD_PS3_PT2_iSC_SC_.kd
    .uniform_work_group_size: 1
    .uses_dynamic_stack: false
    .vgpr_count:     41
    .vgpr_spill_count: 0
    .wavefront_size: 32
    .workgroup_processor_mode: 1
  - .args:
      - .actual_access:  read_only
        .address_space:  global
        .offset:         0
        .size:           8
        .value_kind:     global_buffer
      - .actual_access:  read_only
        .address_space:  global
        .offset:         8
        .size:           8
        .value_kind:     global_buffer
      - .actual_access:  read_only
        .address_space:  global
        .offset:         16
        .size:           8
        .value_kind:     global_buffer
      - .offset:         24
        .size:           4
        .value_kind:     by_value
      - .offset:         28
        .size:           4
        .value_kind:     by_value
      - .actual_access:  read_only
        .address_space:  global
        .offset:         32
        .size:           8
        .value_kind:     global_buffer
      - .actual_access:  read_only
        .address_space:  global
        .offset:         40
        .size:           8
        .value_kind:     global_buffer
      - .actual_access:  read_only
        .address_space:  global
        .offset:         48
        .size:           8
        .value_kind:     global_buffer
      - .offset:         56
        .size:           4
        .value_kind:     by_value
      - .actual_access:  read_only
        .address_space:  global
        .offset:         64
        .size:           8
        .value_kind:     global_buffer
      - .offset:         72
        .size:           4
        .value_kind:     by_value
      - .offset:         76
        .size:           4
        .value_kind:     by_value
      - .offset:         80
        .size:           4
        .value_kind:     by_value
      - .actual_access:  read_only
        .address_space:  global
        .offset:         88
        .size:           8
        .value_kind:     global_buffer
      - .actual_access:  read_only
        .address_space:  global
        .offset:         96
        .size:           8
        .value_kind:     global_buffer
      - .actual_access:  read_only
        .address_space:  global
        .offset:         104
        .size:           8
        .value_kind:     global_buffer
      - .actual_access:  read_only
        .address_space:  global
        .offset:         112
        .size:           8
        .value_kind:     global_buffer
      - .offset:         120
        .size:           4
        .value_kind:     by_value
      - .address_space:  global
        .offset:         128
        .size:           8
        .value_kind:     global_buffer
      - .address_space:  global
        .offset:         136
        .size:           8
        .value_kind:     global_buffer
      - .offset:         144
        .size:           4
        .value_kind:     hidden_block_count_x
      - .offset:         148
        .size:           4
        .value_kind:     hidden_block_count_y
      - .offset:         152
        .size:           4
        .value_kind:     hidden_block_count_z
      - .offset:         156
        .size:           2
        .value_kind:     hidden_group_size_x
      - .offset:         158
        .size:           2
        .value_kind:     hidden_group_size_y
      - .offset:         160
        .size:           2
        .value_kind:     hidden_group_size_z
      - .offset:         162
        .size:           2
        .value_kind:     hidden_remainder_x
      - .offset:         164
        .size:           2
        .value_kind:     hidden_remainder_y
      - .offset:         166
        .size:           2
        .value_kind:     hidden_remainder_z
      - .offset:         184
        .size:           8
        .value_kind:     hidden_global_offset_x
      - .offset:         192
        .size:           8
        .value_kind:     hidden_global_offset_y
      - .offset:         200
        .size:           8
        .value_kind:     hidden_global_offset_z
      - .offset:         208
        .size:           2
        .value_kind:     hidden_grid_dims
      - .offset:         224
        .size:           8
        .value_kind:     hidden_hostcall_buffer
    .group_segment_fixed_size: 0
    .kernarg_segment_align: 8
    .kernarg_segment_size: 400
    .language:       OpenCL C
    .language_version:
      - 2
      - 0
    .max_flat_workgroup_size: 256
    .name:           _Z38paged_attention_ll4mi_QKV_mfma4_kernelI14__hip_bfloat16S0_LN4vllm18Fp8KVCacheDataTypeE0ES0_Li32ELi64ELi256ELb0ELi4EEvPKT_PKT0_S8_ifPKiSA_SA_iPKfiiiPfSD_PS3_PT2_iSC_SC_
    .private_segment_fixed_size: 64
    .sgpr_count:     36
    .sgpr_spill_count: 0
    .symbol:         _Z38paged_attention_ll4mi_QKV_mfma4_kernelI14__hip_bfloat16S0_LN4vllm18Fp8KVCacheDataTypeE0ES0_Li32ELi64ELi256ELb0ELi4EEvPKT_PKT0_S8_ifPKiSA_SA_iPKfiiiPfSD_PS3_PT2_iSC_SC_.kd
    .uniform_work_group_size: 1
    .uses_dynamic_stack: false
    .vgpr_count:     41
    .vgpr_spill_count: 0
    .wavefront_size: 32
    .workgroup_processor_mode: 1
  - .args:
      - .actual_access:  read_only
        .address_space:  global
        .offset:         0
        .size:           8
        .value_kind:     global_buffer
      - .actual_access:  read_only
        .address_space:  global
        .offset:         8
        .size:           8
        .value_kind:     global_buffer
      - .actual_access:  read_only
        .address_space:  global
        .offset:         16
        .size:           8
        .value_kind:     global_buffer
      - .offset:         24
        .size:           4
        .value_kind:     by_value
      - .offset:         28
        .size:           4
        .value_kind:     by_value
      - .actual_access:  read_only
        .address_space:  global
        .offset:         32
        .size:           8
        .value_kind:     global_buffer
      - .actual_access:  read_only
        .address_space:  global
        .offset:         40
        .size:           8
        .value_kind:     global_buffer
      - .actual_access:  read_only
        .address_space:  global
        .offset:         48
        .size:           8
        .value_kind:     global_buffer
      - .offset:         56
        .size:           4
        .value_kind:     by_value
      - .actual_access:  read_only
        .address_space:  global
        .offset:         64
        .size:           8
        .value_kind:     global_buffer
      - .offset:         72
        .size:           4
        .value_kind:     by_value
      - .offset:         76
        .size:           4
        .value_kind:     by_value
      - .offset:         80
        .size:           4
        .value_kind:     by_value
      - .actual_access:  write_only
        .address_space:  global
        .offset:         88
        .size:           8
        .value_kind:     global_buffer
      - .actual_access:  write_only
        .address_space:  global
        .offset:         96
        .size:           8
        .value_kind:     global_buffer
      - .actual_access:  write_only
        .address_space:  global
        .offset:         104
        .size:           8
        .value_kind:     global_buffer
      - .actual_access:  read_only
        .address_space:  global
        .offset:         112
        .size:           8
        .value_kind:     global_buffer
      - .offset:         120
        .size:           4
        .value_kind:     by_value
      - .address_space:  global
        .offset:         128
        .size:           8
        .value_kind:     global_buffer
      - .address_space:  global
        .offset:         136
        .size:           8
        .value_kind:     global_buffer
      - .offset:         144
        .size:           4
        .value_kind:     hidden_block_count_x
      - .offset:         148
        .size:           4
        .value_kind:     hidden_block_count_y
      - .offset:         152
        .size:           4
        .value_kind:     hidden_block_count_z
      - .offset:         156
        .size:           2
        .value_kind:     hidden_group_size_x
      - .offset:         158
        .size:           2
        .value_kind:     hidden_group_size_y
      - .offset:         160
        .size:           2
        .value_kind:     hidden_group_size_z
      - .offset:         162
        .size:           2
        .value_kind:     hidden_remainder_x
      - .offset:         164
        .size:           2
        .value_kind:     hidden_remainder_y
      - .offset:         166
        .size:           2
        .value_kind:     hidden_remainder_z
      - .offset:         184
        .size:           8
        .value_kind:     hidden_global_offset_x
      - .offset:         192
        .size:           8
        .value_kind:     hidden_global_offset_y
      - .offset:         200
        .size:           8
        .value_kind:     hidden_global_offset_z
      - .offset:         208
        .size:           2
        .value_kind:     hidden_grid_dims
    .group_segment_fixed_size: 17472
    .kernarg_segment_align: 8
    .kernarg_segment_size: 400
    .language:       OpenCL C
    .language_version:
      - 2
      - 0
    .max_flat_workgroup_size: 256
    .name:           _Z39paged_attention_ll4mi_QKV_mfma16_kernelI14__hip_bfloat16S0_LN4vllm18Fp8KVCacheDataTypeE0ES0_Li32ELi64ELi256ELb0ELi5EL8MFMAType0EEvPKT_PKT0_S9_ifPKiSB_SB_iPKfiiiPfSE_PS4_PT2_iSD_SD_
    .private_segment_fixed_size: 0
    .sgpr_count:     41
    .sgpr_spill_count: 0
    .symbol:         _Z39paged_attention_ll4mi_QKV_mfma16_kernelI14__hip_bfloat16S0_LN4vllm18Fp8KVCacheDataTypeE0ES0_Li32ELi64ELi256ELb0ELi5EL8MFMAType0EEvPKT_PKT0_S9_ifPKiSB_SB_iPKfiiiPfSE_PS4_PT2_iSD_SD_.kd
    .uniform_work_group_size: 1
    .uses_dynamic_stack: false
    .vgpr_count:     142
    .vgpr_spill_count: 0
    .wavefront_size: 32
    .workgroup_processor_mode: 1
  - .args:
      - .actual_access:  read_only
        .address_space:  global
        .offset:         0
        .size:           8
        .value_kind:     global_buffer
      - .actual_access:  read_only
        .address_space:  global
        .offset:         8
        .size:           8
        .value_kind:     global_buffer
      - .actual_access:  read_only
        .address_space:  global
        .offset:         16
        .size:           8
        .value_kind:     global_buffer
      - .offset:         24
        .size:           4
        .value_kind:     by_value
      - .offset:         28
        .size:           4
        .value_kind:     by_value
      - .actual_access:  read_only
        .address_space:  global
        .offset:         32
        .size:           8
        .value_kind:     global_buffer
      - .actual_access:  read_only
        .address_space:  global
        .offset:         40
        .size:           8
        .value_kind:     global_buffer
      - .actual_access:  read_only
        .address_space:  global
        .offset:         48
        .size:           8
        .value_kind:     global_buffer
      - .offset:         56
        .size:           4
        .value_kind:     by_value
      - .actual_access:  read_only
        .address_space:  global
        .offset:         64
        .size:           8
        .value_kind:     global_buffer
      - .offset:         72
        .size:           4
        .value_kind:     by_value
      - .offset:         76
        .size:           4
        .value_kind:     by_value
      - .offset:         80
        .size:           4
        .value_kind:     by_value
      - .actual_access:  write_only
        .address_space:  global
        .offset:         88
        .size:           8
        .value_kind:     global_buffer
      - .actual_access:  write_only
        .address_space:  global
        .offset:         96
        .size:           8
        .value_kind:     global_buffer
      - .actual_access:  write_only
        .address_space:  global
        .offset:         104
        .size:           8
        .value_kind:     global_buffer
      - .actual_access:  read_only
        .address_space:  global
        .offset:         112
        .size:           8
        .value_kind:     global_buffer
      - .offset:         120
        .size:           4
        .value_kind:     by_value
      - .address_space:  global
        .offset:         128
        .size:           8
        .value_kind:     global_buffer
      - .address_space:  global
        .offset:         136
        .size:           8
        .value_kind:     global_buffer
      - .offset:         144
        .size:           4
        .value_kind:     hidden_block_count_x
      - .offset:         148
        .size:           4
        .value_kind:     hidden_block_count_y
      - .offset:         152
        .size:           4
        .value_kind:     hidden_block_count_z
      - .offset:         156
        .size:           2
        .value_kind:     hidden_group_size_x
      - .offset:         158
        .size:           2
        .value_kind:     hidden_group_size_y
      - .offset:         160
        .size:           2
        .value_kind:     hidden_group_size_z
      - .offset:         162
        .size:           2
        .value_kind:     hidden_remainder_x
      - .offset:         164
        .size:           2
        .value_kind:     hidden_remainder_y
      - .offset:         166
        .size:           2
        .value_kind:     hidden_remainder_z
      - .offset:         184
        .size:           8
        .value_kind:     hidden_global_offset_x
      - .offset:         192
        .size:           8
        .value_kind:     hidden_global_offset_y
      - .offset:         200
        .size:           8
        .value_kind:     hidden_global_offset_z
      - .offset:         208
        .size:           2
        .value_kind:     hidden_grid_dims
    .group_segment_fixed_size: 17472
    .kernarg_segment_align: 8
    .kernarg_segment_size: 400
    .language:       OpenCL C
    .language_version:
      - 2
      - 0
    .max_flat_workgroup_size: 256
    .name:           _Z39paged_attention_ll4mi_QKV_mfma16_kernelI14__hip_bfloat16S0_LN4vllm18Fp8KVCacheDataTypeE0ES0_Li32ELi64ELi256ELb0ELi6EL8MFMAType0EEvPKT_PKT0_S9_ifPKiSB_SB_iPKfiiiPfSE_PS4_PT2_iSD_SD_
    .private_segment_fixed_size: 0
    .sgpr_count:     40
    .sgpr_spill_count: 0
    .symbol:         _Z39paged_attention_ll4mi_QKV_mfma16_kernelI14__hip_bfloat16S0_LN4vllm18Fp8KVCacheDataTypeE0ES0_Li32ELi64ELi256ELb0ELi6EL8MFMAType0EEvPKT_PKT0_S9_ifPKiSB_SB_iPKfiiiPfSE_PS4_PT2_iSD_SD_.kd
    .uniform_work_group_size: 1
    .uses_dynamic_stack: false
    .vgpr_count:     142
    .vgpr_spill_count: 0
    .wavefront_size: 32
    .workgroup_processor_mode: 1
  - .args:
      - .actual_access:  read_only
        .address_space:  global
        .offset:         0
        .size:           8
        .value_kind:     global_buffer
      - .actual_access:  read_only
        .address_space:  global
        .offset:         8
        .size:           8
        .value_kind:     global_buffer
      - .actual_access:  read_only
        .address_space:  global
        .offset:         16
        .size:           8
        .value_kind:     global_buffer
      - .offset:         24
        .size:           4
        .value_kind:     by_value
      - .offset:         28
        .size:           4
        .value_kind:     by_value
      - .actual_access:  read_only
        .address_space:  global
        .offset:         32
        .size:           8
        .value_kind:     global_buffer
      - .actual_access:  read_only
        .address_space:  global
        .offset:         40
        .size:           8
        .value_kind:     global_buffer
      - .actual_access:  read_only
        .address_space:  global
        .offset:         48
        .size:           8
        .value_kind:     global_buffer
      - .offset:         56
        .size:           4
        .value_kind:     by_value
      - .actual_access:  read_only
        .address_space:  global
        .offset:         64
        .size:           8
        .value_kind:     global_buffer
      - .offset:         72
        .size:           4
        .value_kind:     by_value
      - .offset:         76
        .size:           4
        .value_kind:     by_value
      - .offset:         80
        .size:           4
        .value_kind:     by_value
      - .actual_access:  write_only
        .address_space:  global
        .offset:         88
        .size:           8
        .value_kind:     global_buffer
      - .actual_access:  write_only
        .address_space:  global
        .offset:         96
        .size:           8
        .value_kind:     global_buffer
      - .actual_access:  write_only
        .address_space:  global
        .offset:         104
        .size:           8
        .value_kind:     global_buffer
      - .actual_access:  read_only
        .address_space:  global
        .offset:         112
        .size:           8
        .value_kind:     global_buffer
      - .offset:         120
        .size:           4
        .value_kind:     by_value
      - .address_space:  global
        .offset:         128
        .size:           8
        .value_kind:     global_buffer
      - .address_space:  global
        .offset:         136
        .size:           8
        .value_kind:     global_buffer
      - .offset:         144
        .size:           4
        .value_kind:     hidden_block_count_x
      - .offset:         148
        .size:           4
        .value_kind:     hidden_block_count_y
      - .offset:         152
        .size:           4
        .value_kind:     hidden_block_count_z
      - .offset:         156
        .size:           2
        .value_kind:     hidden_group_size_x
      - .offset:         158
        .size:           2
        .value_kind:     hidden_group_size_y
      - .offset:         160
        .size:           2
        .value_kind:     hidden_group_size_z
      - .offset:         162
        .size:           2
        .value_kind:     hidden_remainder_x
      - .offset:         164
        .size:           2
        .value_kind:     hidden_remainder_y
      - .offset:         166
        .size:           2
        .value_kind:     hidden_remainder_z
      - .offset:         184
        .size:           8
        .value_kind:     hidden_global_offset_x
      - .offset:         192
        .size:           8
        .value_kind:     hidden_global_offset_y
      - .offset:         200
        .size:           8
        .value_kind:     hidden_global_offset_z
      - .offset:         208
        .size:           2
        .value_kind:     hidden_grid_dims
    .group_segment_fixed_size: 17472
    .kernarg_segment_align: 8
    .kernarg_segment_size: 400
    .language:       OpenCL C
    .language_version:
      - 2
      - 0
    .max_flat_workgroup_size: 256
    .name:           _Z39paged_attention_ll4mi_QKV_mfma16_kernelI14__hip_bfloat16S0_LN4vllm18Fp8KVCacheDataTypeE0ES0_Li32ELi64ELi256ELb0ELi7EL8MFMAType0EEvPKT_PKT0_S9_ifPKiSB_SB_iPKfiiiPfSE_PS4_PT2_iSD_SD_
    .private_segment_fixed_size: 0
    .sgpr_count:     41
    .sgpr_spill_count: 0
    .symbol:         _Z39paged_attention_ll4mi_QKV_mfma16_kernelI14__hip_bfloat16S0_LN4vllm18Fp8KVCacheDataTypeE0ES0_Li32ELi64ELi256ELb0ELi7EL8MFMAType0EEvPKT_PKT0_S9_ifPKiSB_SB_iPKfiiiPfSE_PS4_PT2_iSD_SD_.kd
    .uniform_work_group_size: 1
    .uses_dynamic_stack: false
    .vgpr_count:     142
    .vgpr_spill_count: 0
    .wavefront_size: 32
    .workgroup_processor_mode: 1
  - .args:
      - .actual_access:  read_only
        .address_space:  global
        .offset:         0
        .size:           8
        .value_kind:     global_buffer
      - .actual_access:  read_only
        .address_space:  global
        .offset:         8
        .size:           8
        .value_kind:     global_buffer
      - .actual_access:  read_only
        .address_space:  global
        .offset:         16
        .size:           8
        .value_kind:     global_buffer
      - .offset:         24
        .size:           4
        .value_kind:     by_value
      - .offset:         28
        .size:           4
        .value_kind:     by_value
      - .actual_access:  read_only
        .address_space:  global
        .offset:         32
        .size:           8
        .value_kind:     global_buffer
      - .actual_access:  read_only
        .address_space:  global
        .offset:         40
        .size:           8
        .value_kind:     global_buffer
      - .actual_access:  read_only
        .address_space:  global
        .offset:         48
        .size:           8
        .value_kind:     global_buffer
      - .offset:         56
        .size:           4
        .value_kind:     by_value
      - .actual_access:  read_only
        .address_space:  global
        .offset:         64
        .size:           8
        .value_kind:     global_buffer
      - .offset:         72
        .size:           4
        .value_kind:     by_value
      - .offset:         76
        .size:           4
        .value_kind:     by_value
      - .offset:         80
        .size:           4
        .value_kind:     by_value
      - .actual_access:  write_only
        .address_space:  global
        .offset:         88
        .size:           8
        .value_kind:     global_buffer
      - .actual_access:  write_only
        .address_space:  global
        .offset:         96
        .size:           8
        .value_kind:     global_buffer
      - .actual_access:  write_only
        .address_space:  global
        .offset:         104
        .size:           8
        .value_kind:     global_buffer
      - .actual_access:  read_only
        .address_space:  global
        .offset:         112
        .size:           8
        .value_kind:     global_buffer
      - .offset:         120
        .size:           4
        .value_kind:     by_value
      - .address_space:  global
        .offset:         128
        .size:           8
        .value_kind:     global_buffer
      - .address_space:  global
        .offset:         136
        .size:           8
        .value_kind:     global_buffer
      - .offset:         144
        .size:           4
        .value_kind:     hidden_block_count_x
      - .offset:         148
        .size:           4
        .value_kind:     hidden_block_count_y
      - .offset:         152
        .size:           4
        .value_kind:     hidden_block_count_z
      - .offset:         156
        .size:           2
        .value_kind:     hidden_group_size_x
      - .offset:         158
        .size:           2
        .value_kind:     hidden_group_size_y
      - .offset:         160
        .size:           2
        .value_kind:     hidden_group_size_z
      - .offset:         162
        .size:           2
        .value_kind:     hidden_remainder_x
      - .offset:         164
        .size:           2
        .value_kind:     hidden_remainder_y
      - .offset:         166
        .size:           2
        .value_kind:     hidden_remainder_z
      - .offset:         184
        .size:           8
        .value_kind:     hidden_global_offset_x
      - .offset:         192
        .size:           8
        .value_kind:     hidden_global_offset_y
      - .offset:         200
        .size:           8
        .value_kind:     hidden_global_offset_z
      - .offset:         208
        .size:           2
        .value_kind:     hidden_grid_dims
    .group_segment_fixed_size: 17472
    .kernarg_segment_align: 8
    .kernarg_segment_size: 400
    .language:       OpenCL C
    .language_version:
      - 2
      - 0
    .max_flat_workgroup_size: 256
    .name:           _Z39paged_attention_ll4mi_QKV_mfma16_kernelI14__hip_bfloat16S0_LN4vllm18Fp8KVCacheDataTypeE0ES0_Li32ELi64ELi256ELb0ELi8EL8MFMAType0EEvPKT_PKT0_S9_ifPKiSB_SB_iPKfiiiPfSE_PS4_PT2_iSD_SD_
    .private_segment_fixed_size: 0
    .sgpr_count:     40
    .sgpr_spill_count: 0
    .symbol:         _Z39paged_attention_ll4mi_QKV_mfma16_kernelI14__hip_bfloat16S0_LN4vllm18Fp8KVCacheDataTypeE0ES0_Li32ELi64ELi256ELb0ELi8EL8MFMAType0EEvPKT_PKT0_S9_ifPKiSB_SB_iPKfiiiPfSE_PS4_PT2_iSD_SD_.kd
    .uniform_work_group_size: 1
    .uses_dynamic_stack: false
    .vgpr_count:     142
    .vgpr_spill_count: 0
    .wavefront_size: 32
    .workgroup_processor_mode: 1
  - .args:
      - .actual_access:  read_only
        .address_space:  global
        .offset:         0
        .size:           8
        .value_kind:     global_buffer
      - .actual_access:  read_only
        .address_space:  global
        .offset:         8
        .size:           8
        .value_kind:     global_buffer
      - .actual_access:  read_only
        .address_space:  global
        .offset:         16
        .size:           8
        .value_kind:     global_buffer
      - .offset:         24
        .size:           4
        .value_kind:     by_value
      - .offset:         28
        .size:           4
        .value_kind:     by_value
      - .actual_access:  read_only
        .address_space:  global
        .offset:         32
        .size:           8
        .value_kind:     global_buffer
      - .actual_access:  read_only
        .address_space:  global
        .offset:         40
        .size:           8
        .value_kind:     global_buffer
      - .actual_access:  read_only
        .address_space:  global
        .offset:         48
        .size:           8
        .value_kind:     global_buffer
      - .offset:         56
        .size:           4
        .value_kind:     by_value
      - .actual_access:  read_only
        .address_space:  global
        .offset:         64
        .size:           8
        .value_kind:     global_buffer
      - .offset:         72
        .size:           4
        .value_kind:     by_value
      - .offset:         76
        .size:           4
        .value_kind:     by_value
      - .offset:         80
        .size:           4
        .value_kind:     by_value
      - .actual_access:  write_only
        .address_space:  global
        .offset:         88
        .size:           8
        .value_kind:     global_buffer
      - .actual_access:  write_only
        .address_space:  global
        .offset:         96
        .size:           8
        .value_kind:     global_buffer
      - .actual_access:  write_only
        .address_space:  global
        .offset:         104
        .size:           8
        .value_kind:     global_buffer
      - .actual_access:  read_only
        .address_space:  global
        .offset:         112
        .size:           8
        .value_kind:     global_buffer
      - .offset:         120
        .size:           4
        .value_kind:     by_value
      - .address_space:  global
        .offset:         128
        .size:           8
        .value_kind:     global_buffer
      - .address_space:  global
        .offset:         136
        .size:           8
        .value_kind:     global_buffer
      - .offset:         144
        .size:           4
        .value_kind:     hidden_block_count_x
      - .offset:         148
        .size:           4
        .value_kind:     hidden_block_count_y
      - .offset:         152
        .size:           4
        .value_kind:     hidden_block_count_z
      - .offset:         156
        .size:           2
        .value_kind:     hidden_group_size_x
      - .offset:         158
        .size:           2
        .value_kind:     hidden_group_size_y
      - .offset:         160
        .size:           2
        .value_kind:     hidden_group_size_z
      - .offset:         162
        .size:           2
        .value_kind:     hidden_remainder_x
      - .offset:         164
        .size:           2
        .value_kind:     hidden_remainder_y
      - .offset:         166
        .size:           2
        .value_kind:     hidden_remainder_z
      - .offset:         184
        .size:           8
        .value_kind:     hidden_global_offset_x
      - .offset:         192
        .size:           8
        .value_kind:     hidden_global_offset_y
      - .offset:         200
        .size:           8
        .value_kind:     hidden_global_offset_z
      - .offset:         208
        .size:           2
        .value_kind:     hidden_grid_dims
    .group_segment_fixed_size: 17472
    .kernarg_segment_align: 8
    .kernarg_segment_size: 400
    .language:       OpenCL C
    .language_version:
      - 2
      - 0
    .max_flat_workgroup_size: 256
    .name:           _Z39paged_attention_ll4mi_QKV_mfma16_kernelI14__hip_bfloat16S0_LN4vllm18Fp8KVCacheDataTypeE0ES0_Li32ELi64ELi256ELb0ELi9EL8MFMAType0EEvPKT_PKT0_S9_ifPKiSB_SB_iPKfiiiPfSE_PS4_PT2_iSD_SD_
    .private_segment_fixed_size: 0
    .sgpr_count:     41
    .sgpr_spill_count: 0
    .symbol:         _Z39paged_attention_ll4mi_QKV_mfma16_kernelI14__hip_bfloat16S0_LN4vllm18Fp8KVCacheDataTypeE0ES0_Li32ELi64ELi256ELb0ELi9EL8MFMAType0EEvPKT_PKT0_S9_ifPKiSB_SB_iPKfiiiPfSE_PS4_PT2_iSD_SD_.kd
    .uniform_work_group_size: 1
    .uses_dynamic_stack: false
    .vgpr_count:     142
    .vgpr_spill_count: 0
    .wavefront_size: 32
    .workgroup_processor_mode: 1
  - .args:
      - .actual_access:  read_only
        .address_space:  global
        .offset:         0
        .size:           8
        .value_kind:     global_buffer
      - .actual_access:  read_only
        .address_space:  global
        .offset:         8
        .size:           8
        .value_kind:     global_buffer
      - .actual_access:  read_only
        .address_space:  global
        .offset:         16
        .size:           8
        .value_kind:     global_buffer
      - .offset:         24
        .size:           4
        .value_kind:     by_value
      - .offset:         28
        .size:           4
        .value_kind:     by_value
      - .actual_access:  read_only
        .address_space:  global
        .offset:         32
        .size:           8
        .value_kind:     global_buffer
      - .actual_access:  read_only
        .address_space:  global
        .offset:         40
        .size:           8
        .value_kind:     global_buffer
      - .actual_access:  read_only
        .address_space:  global
        .offset:         48
        .size:           8
        .value_kind:     global_buffer
      - .offset:         56
        .size:           4
        .value_kind:     by_value
      - .actual_access:  read_only
        .address_space:  global
        .offset:         64
        .size:           8
        .value_kind:     global_buffer
      - .offset:         72
        .size:           4
        .value_kind:     by_value
      - .offset:         76
        .size:           4
        .value_kind:     by_value
      - .offset:         80
        .size:           4
        .value_kind:     by_value
      - .actual_access:  write_only
        .address_space:  global
        .offset:         88
        .size:           8
        .value_kind:     global_buffer
      - .actual_access:  write_only
        .address_space:  global
        .offset:         96
        .size:           8
        .value_kind:     global_buffer
      - .actual_access:  write_only
        .address_space:  global
        .offset:         104
        .size:           8
        .value_kind:     global_buffer
      - .actual_access:  read_only
        .address_space:  global
        .offset:         112
        .size:           8
        .value_kind:     global_buffer
      - .offset:         120
        .size:           4
        .value_kind:     by_value
      - .address_space:  global
        .offset:         128
        .size:           8
        .value_kind:     global_buffer
      - .address_space:  global
        .offset:         136
        .size:           8
        .value_kind:     global_buffer
      - .offset:         144
        .size:           4
        .value_kind:     hidden_block_count_x
      - .offset:         148
        .size:           4
        .value_kind:     hidden_block_count_y
      - .offset:         152
        .size:           4
        .value_kind:     hidden_block_count_z
      - .offset:         156
        .size:           2
        .value_kind:     hidden_group_size_x
      - .offset:         158
        .size:           2
        .value_kind:     hidden_group_size_y
      - .offset:         160
        .size:           2
        .value_kind:     hidden_group_size_z
      - .offset:         162
        .size:           2
        .value_kind:     hidden_remainder_x
      - .offset:         164
        .size:           2
        .value_kind:     hidden_remainder_y
      - .offset:         166
        .size:           2
        .value_kind:     hidden_remainder_z
      - .offset:         184
        .size:           8
        .value_kind:     hidden_global_offset_x
      - .offset:         192
        .size:           8
        .value_kind:     hidden_global_offset_y
      - .offset:         200
        .size:           8
        .value_kind:     hidden_global_offset_z
      - .offset:         208
        .size:           2
        .value_kind:     hidden_grid_dims
    .group_segment_fixed_size: 17472
    .kernarg_segment_align: 8
    .kernarg_segment_size: 400
    .language:       OpenCL C
    .language_version:
      - 2
      - 0
    .max_flat_workgroup_size: 256
    .name:           _Z39paged_attention_ll4mi_QKV_mfma16_kernelI14__hip_bfloat16S0_LN4vllm18Fp8KVCacheDataTypeE0ES0_Li32ELi64ELi256ELb0ELi10EL8MFMAType0EEvPKT_PKT0_S9_ifPKiSB_SB_iPKfiiiPfSE_PS4_PT2_iSD_SD_
    .private_segment_fixed_size: 0
    .sgpr_count:     40
    .sgpr_spill_count: 0
    .symbol:         _Z39paged_attention_ll4mi_QKV_mfma16_kernelI14__hip_bfloat16S0_LN4vllm18Fp8KVCacheDataTypeE0ES0_Li32ELi64ELi256ELb0ELi10EL8MFMAType0EEvPKT_PKT0_S9_ifPKiSB_SB_iPKfiiiPfSE_PS4_PT2_iSD_SD_.kd
    .uniform_work_group_size: 1
    .uses_dynamic_stack: false
    .vgpr_count:     142
    .vgpr_spill_count: 0
    .wavefront_size: 32
    .workgroup_processor_mode: 1
  - .args:
      - .actual_access:  read_only
        .address_space:  global
        .offset:         0
        .size:           8
        .value_kind:     global_buffer
      - .actual_access:  read_only
        .address_space:  global
        .offset:         8
        .size:           8
        .value_kind:     global_buffer
      - .actual_access:  read_only
        .address_space:  global
        .offset:         16
        .size:           8
        .value_kind:     global_buffer
      - .offset:         24
        .size:           4
        .value_kind:     by_value
      - .offset:         28
        .size:           4
        .value_kind:     by_value
      - .actual_access:  read_only
        .address_space:  global
        .offset:         32
        .size:           8
        .value_kind:     global_buffer
      - .actual_access:  read_only
        .address_space:  global
        .offset:         40
        .size:           8
        .value_kind:     global_buffer
      - .actual_access:  read_only
        .address_space:  global
        .offset:         48
        .size:           8
        .value_kind:     global_buffer
      - .offset:         56
        .size:           4
        .value_kind:     by_value
      - .actual_access:  read_only
        .address_space:  global
        .offset:         64
        .size:           8
        .value_kind:     global_buffer
      - .offset:         72
        .size:           4
        .value_kind:     by_value
      - .offset:         76
        .size:           4
        .value_kind:     by_value
      - .offset:         80
        .size:           4
        .value_kind:     by_value
      - .actual_access:  write_only
        .address_space:  global
        .offset:         88
        .size:           8
        .value_kind:     global_buffer
      - .actual_access:  write_only
        .address_space:  global
        .offset:         96
        .size:           8
        .value_kind:     global_buffer
      - .actual_access:  write_only
        .address_space:  global
        .offset:         104
        .size:           8
        .value_kind:     global_buffer
      - .actual_access:  read_only
        .address_space:  global
        .offset:         112
        .size:           8
        .value_kind:     global_buffer
      - .offset:         120
        .size:           4
        .value_kind:     by_value
      - .address_space:  global
        .offset:         128
        .size:           8
        .value_kind:     global_buffer
      - .address_space:  global
        .offset:         136
        .size:           8
        .value_kind:     global_buffer
      - .offset:         144
        .size:           4
        .value_kind:     hidden_block_count_x
      - .offset:         148
        .size:           4
        .value_kind:     hidden_block_count_y
      - .offset:         152
        .size:           4
        .value_kind:     hidden_block_count_z
      - .offset:         156
        .size:           2
        .value_kind:     hidden_group_size_x
      - .offset:         158
        .size:           2
        .value_kind:     hidden_group_size_y
      - .offset:         160
        .size:           2
        .value_kind:     hidden_group_size_z
      - .offset:         162
        .size:           2
        .value_kind:     hidden_remainder_x
      - .offset:         164
        .size:           2
        .value_kind:     hidden_remainder_y
      - .offset:         166
        .size:           2
        .value_kind:     hidden_remainder_z
      - .offset:         184
        .size:           8
        .value_kind:     hidden_global_offset_x
      - .offset:         192
        .size:           8
        .value_kind:     hidden_global_offset_y
      - .offset:         200
        .size:           8
        .value_kind:     hidden_global_offset_z
      - .offset:         208
        .size:           2
        .value_kind:     hidden_grid_dims
    .group_segment_fixed_size: 17472
    .kernarg_segment_align: 8
    .kernarg_segment_size: 400
    .language:       OpenCL C
    .language_version:
      - 2
      - 0
    .max_flat_workgroup_size: 256
    .name:           _Z39paged_attention_ll4mi_QKV_mfma16_kernelI14__hip_bfloat16S0_LN4vllm18Fp8KVCacheDataTypeE0ES0_Li32ELi64ELi256ELb0ELi11EL8MFMAType0EEvPKT_PKT0_S9_ifPKiSB_SB_iPKfiiiPfSE_PS4_PT2_iSD_SD_
    .private_segment_fixed_size: 0
    .sgpr_count:     41
    .sgpr_spill_count: 0
    .symbol:         _Z39paged_attention_ll4mi_QKV_mfma16_kernelI14__hip_bfloat16S0_LN4vllm18Fp8KVCacheDataTypeE0ES0_Li32ELi64ELi256ELb0ELi11EL8MFMAType0EEvPKT_PKT0_S9_ifPKiSB_SB_iPKfiiiPfSE_PS4_PT2_iSD_SD_.kd
    .uniform_work_group_size: 1
    .uses_dynamic_stack: false
    .vgpr_count:     142
    .vgpr_spill_count: 0
    .wavefront_size: 32
    .workgroup_processor_mode: 1
  - .args:
      - .actual_access:  read_only
        .address_space:  global
        .offset:         0
        .size:           8
        .value_kind:     global_buffer
      - .actual_access:  read_only
        .address_space:  global
        .offset:         8
        .size:           8
        .value_kind:     global_buffer
      - .actual_access:  read_only
        .address_space:  global
        .offset:         16
        .size:           8
        .value_kind:     global_buffer
      - .offset:         24
        .size:           4
        .value_kind:     by_value
      - .offset:         28
        .size:           4
        .value_kind:     by_value
      - .actual_access:  read_only
        .address_space:  global
        .offset:         32
        .size:           8
        .value_kind:     global_buffer
      - .actual_access:  read_only
        .address_space:  global
        .offset:         40
        .size:           8
        .value_kind:     global_buffer
      - .actual_access:  read_only
        .address_space:  global
        .offset:         48
        .size:           8
        .value_kind:     global_buffer
      - .offset:         56
        .size:           4
        .value_kind:     by_value
      - .actual_access:  read_only
        .address_space:  global
        .offset:         64
        .size:           8
        .value_kind:     global_buffer
      - .offset:         72
        .size:           4
        .value_kind:     by_value
      - .offset:         76
        .size:           4
        .value_kind:     by_value
      - .offset:         80
        .size:           4
        .value_kind:     by_value
      - .actual_access:  write_only
        .address_space:  global
        .offset:         88
        .size:           8
        .value_kind:     global_buffer
      - .actual_access:  write_only
        .address_space:  global
        .offset:         96
        .size:           8
        .value_kind:     global_buffer
      - .actual_access:  write_only
        .address_space:  global
        .offset:         104
        .size:           8
        .value_kind:     global_buffer
      - .actual_access:  read_only
        .address_space:  global
        .offset:         112
        .size:           8
        .value_kind:     global_buffer
      - .offset:         120
        .size:           4
        .value_kind:     by_value
      - .address_space:  global
        .offset:         128
        .size:           8
        .value_kind:     global_buffer
      - .address_space:  global
        .offset:         136
        .size:           8
        .value_kind:     global_buffer
      - .offset:         144
        .size:           4
        .value_kind:     hidden_block_count_x
      - .offset:         148
        .size:           4
        .value_kind:     hidden_block_count_y
      - .offset:         152
        .size:           4
        .value_kind:     hidden_block_count_z
      - .offset:         156
        .size:           2
        .value_kind:     hidden_group_size_x
      - .offset:         158
        .size:           2
        .value_kind:     hidden_group_size_y
      - .offset:         160
        .size:           2
        .value_kind:     hidden_group_size_z
      - .offset:         162
        .size:           2
        .value_kind:     hidden_remainder_x
      - .offset:         164
        .size:           2
        .value_kind:     hidden_remainder_y
      - .offset:         166
        .size:           2
        .value_kind:     hidden_remainder_z
      - .offset:         184
        .size:           8
        .value_kind:     hidden_global_offset_x
      - .offset:         192
        .size:           8
        .value_kind:     hidden_global_offset_y
      - .offset:         200
        .size:           8
        .value_kind:     hidden_global_offset_z
      - .offset:         208
        .size:           2
        .value_kind:     hidden_grid_dims
    .group_segment_fixed_size: 17472
    .kernarg_segment_align: 8
    .kernarg_segment_size: 400
    .language:       OpenCL C
    .language_version:
      - 2
      - 0
    .max_flat_workgroup_size: 256
    .name:           _Z39paged_attention_ll4mi_QKV_mfma16_kernelI14__hip_bfloat16S0_LN4vllm18Fp8KVCacheDataTypeE0ES0_Li32ELi64ELi256ELb0ELi12EL8MFMAType0EEvPKT_PKT0_S9_ifPKiSB_SB_iPKfiiiPfSE_PS4_PT2_iSD_SD_
    .private_segment_fixed_size: 0
    .sgpr_count:     40
    .sgpr_spill_count: 0
    .symbol:         _Z39paged_attention_ll4mi_QKV_mfma16_kernelI14__hip_bfloat16S0_LN4vllm18Fp8KVCacheDataTypeE0ES0_Li32ELi64ELi256ELb0ELi12EL8MFMAType0EEvPKT_PKT0_S9_ifPKiSB_SB_iPKfiiiPfSE_PS4_PT2_iSD_SD_.kd
    .uniform_work_group_size: 1
    .uses_dynamic_stack: false
    .vgpr_count:     142
    .vgpr_spill_count: 0
    .wavefront_size: 32
    .workgroup_processor_mode: 1
  - .args:
      - .actual_access:  read_only
        .address_space:  global
        .offset:         0
        .size:           8
        .value_kind:     global_buffer
      - .actual_access:  read_only
        .address_space:  global
        .offset:         8
        .size:           8
        .value_kind:     global_buffer
      - .actual_access:  read_only
        .address_space:  global
        .offset:         16
        .size:           8
        .value_kind:     global_buffer
      - .offset:         24
        .size:           4
        .value_kind:     by_value
      - .offset:         28
        .size:           4
        .value_kind:     by_value
      - .actual_access:  read_only
        .address_space:  global
        .offset:         32
        .size:           8
        .value_kind:     global_buffer
      - .actual_access:  read_only
        .address_space:  global
        .offset:         40
        .size:           8
        .value_kind:     global_buffer
      - .actual_access:  read_only
        .address_space:  global
        .offset:         48
        .size:           8
        .value_kind:     global_buffer
      - .offset:         56
        .size:           4
        .value_kind:     by_value
      - .actual_access:  read_only
        .address_space:  global
        .offset:         64
        .size:           8
        .value_kind:     global_buffer
      - .offset:         72
        .size:           4
        .value_kind:     by_value
      - .offset:         76
        .size:           4
        .value_kind:     by_value
      - .offset:         80
        .size:           4
        .value_kind:     by_value
      - .actual_access:  write_only
        .address_space:  global
        .offset:         88
        .size:           8
        .value_kind:     global_buffer
      - .actual_access:  write_only
        .address_space:  global
        .offset:         96
        .size:           8
        .value_kind:     global_buffer
      - .actual_access:  write_only
        .address_space:  global
        .offset:         104
        .size:           8
        .value_kind:     global_buffer
      - .actual_access:  read_only
        .address_space:  global
        .offset:         112
        .size:           8
        .value_kind:     global_buffer
      - .offset:         120
        .size:           4
        .value_kind:     by_value
      - .address_space:  global
        .offset:         128
        .size:           8
        .value_kind:     global_buffer
      - .address_space:  global
        .offset:         136
        .size:           8
        .value_kind:     global_buffer
      - .offset:         144
        .size:           4
        .value_kind:     hidden_block_count_x
      - .offset:         148
        .size:           4
        .value_kind:     hidden_block_count_y
      - .offset:         152
        .size:           4
        .value_kind:     hidden_block_count_z
      - .offset:         156
        .size:           2
        .value_kind:     hidden_group_size_x
      - .offset:         158
        .size:           2
        .value_kind:     hidden_group_size_y
      - .offset:         160
        .size:           2
        .value_kind:     hidden_group_size_z
      - .offset:         162
        .size:           2
        .value_kind:     hidden_remainder_x
      - .offset:         164
        .size:           2
        .value_kind:     hidden_remainder_y
      - .offset:         166
        .size:           2
        .value_kind:     hidden_remainder_z
      - .offset:         184
        .size:           8
        .value_kind:     hidden_global_offset_x
      - .offset:         192
        .size:           8
        .value_kind:     hidden_global_offset_y
      - .offset:         200
        .size:           8
        .value_kind:     hidden_global_offset_z
      - .offset:         208
        .size:           2
        .value_kind:     hidden_grid_dims
    .group_segment_fixed_size: 17472
    .kernarg_segment_align: 8
    .kernarg_segment_size: 400
    .language:       OpenCL C
    .language_version:
      - 2
      - 0
    .max_flat_workgroup_size: 256
    .name:           _Z39paged_attention_ll4mi_QKV_mfma16_kernelI14__hip_bfloat16S0_LN4vllm18Fp8KVCacheDataTypeE0ES0_Li32ELi64ELi256ELb0ELi13EL8MFMAType0EEvPKT_PKT0_S9_ifPKiSB_SB_iPKfiiiPfSE_PS4_PT2_iSD_SD_
    .private_segment_fixed_size: 0
    .sgpr_count:     41
    .sgpr_spill_count: 0
    .symbol:         _Z39paged_attention_ll4mi_QKV_mfma16_kernelI14__hip_bfloat16S0_LN4vllm18Fp8KVCacheDataTypeE0ES0_Li32ELi64ELi256ELb0ELi13EL8MFMAType0EEvPKT_PKT0_S9_ifPKiSB_SB_iPKfiiiPfSE_PS4_PT2_iSD_SD_.kd
    .uniform_work_group_size: 1
    .uses_dynamic_stack: false
    .vgpr_count:     142
    .vgpr_spill_count: 0
    .wavefront_size: 32
    .workgroup_processor_mode: 1
  - .args:
      - .actual_access:  read_only
        .address_space:  global
        .offset:         0
        .size:           8
        .value_kind:     global_buffer
      - .actual_access:  read_only
        .address_space:  global
        .offset:         8
        .size:           8
        .value_kind:     global_buffer
      - .actual_access:  read_only
        .address_space:  global
        .offset:         16
        .size:           8
        .value_kind:     global_buffer
      - .offset:         24
        .size:           4
        .value_kind:     by_value
      - .offset:         28
        .size:           4
        .value_kind:     by_value
      - .actual_access:  read_only
        .address_space:  global
        .offset:         32
        .size:           8
        .value_kind:     global_buffer
      - .actual_access:  read_only
        .address_space:  global
        .offset:         40
        .size:           8
        .value_kind:     global_buffer
      - .actual_access:  read_only
        .address_space:  global
        .offset:         48
        .size:           8
        .value_kind:     global_buffer
      - .offset:         56
        .size:           4
        .value_kind:     by_value
      - .actual_access:  read_only
        .address_space:  global
        .offset:         64
        .size:           8
        .value_kind:     global_buffer
      - .offset:         72
        .size:           4
        .value_kind:     by_value
      - .offset:         76
        .size:           4
        .value_kind:     by_value
      - .offset:         80
        .size:           4
        .value_kind:     by_value
      - .actual_access:  write_only
        .address_space:  global
        .offset:         88
        .size:           8
        .value_kind:     global_buffer
      - .actual_access:  write_only
        .address_space:  global
        .offset:         96
        .size:           8
        .value_kind:     global_buffer
      - .actual_access:  write_only
        .address_space:  global
        .offset:         104
        .size:           8
        .value_kind:     global_buffer
      - .actual_access:  read_only
        .address_space:  global
        .offset:         112
        .size:           8
        .value_kind:     global_buffer
      - .offset:         120
        .size:           4
        .value_kind:     by_value
      - .address_space:  global
        .offset:         128
        .size:           8
        .value_kind:     global_buffer
      - .address_space:  global
        .offset:         136
        .size:           8
        .value_kind:     global_buffer
      - .offset:         144
        .size:           4
        .value_kind:     hidden_block_count_x
      - .offset:         148
        .size:           4
        .value_kind:     hidden_block_count_y
      - .offset:         152
        .size:           4
        .value_kind:     hidden_block_count_z
      - .offset:         156
        .size:           2
        .value_kind:     hidden_group_size_x
      - .offset:         158
        .size:           2
        .value_kind:     hidden_group_size_y
      - .offset:         160
        .size:           2
        .value_kind:     hidden_group_size_z
      - .offset:         162
        .size:           2
        .value_kind:     hidden_remainder_x
      - .offset:         164
        .size:           2
        .value_kind:     hidden_remainder_y
      - .offset:         166
        .size:           2
        .value_kind:     hidden_remainder_z
      - .offset:         184
        .size:           8
        .value_kind:     hidden_global_offset_x
      - .offset:         192
        .size:           8
        .value_kind:     hidden_global_offset_y
      - .offset:         200
        .size:           8
        .value_kind:     hidden_global_offset_z
      - .offset:         208
        .size:           2
        .value_kind:     hidden_grid_dims
    .group_segment_fixed_size: 17472
    .kernarg_segment_align: 8
    .kernarg_segment_size: 400
    .language:       OpenCL C
    .language_version:
      - 2
      - 0
    .max_flat_workgroup_size: 256
    .name:           _Z39paged_attention_ll4mi_QKV_mfma16_kernelI14__hip_bfloat16S0_LN4vllm18Fp8KVCacheDataTypeE0ES0_Li32ELi64ELi256ELb0ELi14EL8MFMAType0EEvPKT_PKT0_S9_ifPKiSB_SB_iPKfiiiPfSE_PS4_PT2_iSD_SD_
    .private_segment_fixed_size: 0
    .sgpr_count:     40
    .sgpr_spill_count: 0
    .symbol:         _Z39paged_attention_ll4mi_QKV_mfma16_kernelI14__hip_bfloat16S0_LN4vllm18Fp8KVCacheDataTypeE0ES0_Li32ELi64ELi256ELb0ELi14EL8MFMAType0EEvPKT_PKT0_S9_ifPKiSB_SB_iPKfiiiPfSE_PS4_PT2_iSD_SD_.kd
    .uniform_work_group_size: 1
    .uses_dynamic_stack: false
    .vgpr_count:     142
    .vgpr_spill_count: 0
    .wavefront_size: 32
    .workgroup_processor_mode: 1
  - .args:
      - .actual_access:  read_only
        .address_space:  global
        .offset:         0
        .size:           8
        .value_kind:     global_buffer
      - .actual_access:  read_only
        .address_space:  global
        .offset:         8
        .size:           8
        .value_kind:     global_buffer
      - .actual_access:  read_only
        .address_space:  global
        .offset:         16
        .size:           8
        .value_kind:     global_buffer
      - .offset:         24
        .size:           4
        .value_kind:     by_value
      - .offset:         28
        .size:           4
        .value_kind:     by_value
      - .actual_access:  read_only
        .address_space:  global
        .offset:         32
        .size:           8
        .value_kind:     global_buffer
      - .actual_access:  read_only
        .address_space:  global
        .offset:         40
        .size:           8
        .value_kind:     global_buffer
      - .actual_access:  read_only
        .address_space:  global
        .offset:         48
        .size:           8
        .value_kind:     global_buffer
      - .offset:         56
        .size:           4
        .value_kind:     by_value
      - .actual_access:  read_only
        .address_space:  global
        .offset:         64
        .size:           8
        .value_kind:     global_buffer
      - .offset:         72
        .size:           4
        .value_kind:     by_value
      - .offset:         76
        .size:           4
        .value_kind:     by_value
      - .offset:         80
        .size:           4
        .value_kind:     by_value
      - .actual_access:  write_only
        .address_space:  global
        .offset:         88
        .size:           8
        .value_kind:     global_buffer
      - .actual_access:  write_only
        .address_space:  global
        .offset:         96
        .size:           8
        .value_kind:     global_buffer
      - .actual_access:  write_only
        .address_space:  global
        .offset:         104
        .size:           8
        .value_kind:     global_buffer
      - .actual_access:  read_only
        .address_space:  global
        .offset:         112
        .size:           8
        .value_kind:     global_buffer
      - .offset:         120
        .size:           4
        .value_kind:     by_value
      - .address_space:  global
        .offset:         128
        .size:           8
        .value_kind:     global_buffer
      - .address_space:  global
        .offset:         136
        .size:           8
        .value_kind:     global_buffer
      - .offset:         144
        .size:           4
        .value_kind:     hidden_block_count_x
      - .offset:         148
        .size:           4
        .value_kind:     hidden_block_count_y
      - .offset:         152
        .size:           4
        .value_kind:     hidden_block_count_z
      - .offset:         156
        .size:           2
        .value_kind:     hidden_group_size_x
      - .offset:         158
        .size:           2
        .value_kind:     hidden_group_size_y
      - .offset:         160
        .size:           2
        .value_kind:     hidden_group_size_z
      - .offset:         162
        .size:           2
        .value_kind:     hidden_remainder_x
      - .offset:         164
        .size:           2
        .value_kind:     hidden_remainder_y
      - .offset:         166
        .size:           2
        .value_kind:     hidden_remainder_z
      - .offset:         184
        .size:           8
        .value_kind:     hidden_global_offset_x
      - .offset:         192
        .size:           8
        .value_kind:     hidden_global_offset_y
      - .offset:         200
        .size:           8
        .value_kind:     hidden_global_offset_z
      - .offset:         208
        .size:           2
        .value_kind:     hidden_grid_dims
    .group_segment_fixed_size: 17472
    .kernarg_segment_align: 8
    .kernarg_segment_size: 400
    .language:       OpenCL C
    .language_version:
      - 2
      - 0
    .max_flat_workgroup_size: 256
    .name:           _Z39paged_attention_ll4mi_QKV_mfma16_kernelI14__hip_bfloat16S0_LN4vllm18Fp8KVCacheDataTypeE0ES0_Li32ELi64ELi256ELb0ELi15EL8MFMAType0EEvPKT_PKT0_S9_ifPKiSB_SB_iPKfiiiPfSE_PS4_PT2_iSD_SD_
    .private_segment_fixed_size: 0
    .sgpr_count:     41
    .sgpr_spill_count: 0
    .symbol:         _Z39paged_attention_ll4mi_QKV_mfma16_kernelI14__hip_bfloat16S0_LN4vllm18Fp8KVCacheDataTypeE0ES0_Li32ELi64ELi256ELb0ELi15EL8MFMAType0EEvPKT_PKT0_S9_ifPKiSB_SB_iPKfiiiPfSE_PS4_PT2_iSD_SD_.kd
    .uniform_work_group_size: 1
    .uses_dynamic_stack: false
    .vgpr_count:     142
    .vgpr_spill_count: 0
    .wavefront_size: 32
    .workgroup_processor_mode: 1
  - .args:
      - .actual_access:  read_only
        .address_space:  global
        .offset:         0
        .size:           8
        .value_kind:     global_buffer
      - .actual_access:  read_only
        .address_space:  global
        .offset:         8
        .size:           8
        .value_kind:     global_buffer
      - .actual_access:  read_only
        .address_space:  global
        .offset:         16
        .size:           8
        .value_kind:     global_buffer
      - .offset:         24
        .size:           4
        .value_kind:     by_value
      - .offset:         28
        .size:           4
        .value_kind:     by_value
      - .actual_access:  read_only
        .address_space:  global
        .offset:         32
        .size:           8
        .value_kind:     global_buffer
      - .actual_access:  read_only
        .address_space:  global
        .offset:         40
        .size:           8
        .value_kind:     global_buffer
      - .actual_access:  read_only
        .address_space:  global
        .offset:         48
        .size:           8
        .value_kind:     global_buffer
      - .offset:         56
        .size:           4
        .value_kind:     by_value
      - .actual_access:  read_only
        .address_space:  global
        .offset:         64
        .size:           8
        .value_kind:     global_buffer
      - .offset:         72
        .size:           4
        .value_kind:     by_value
      - .offset:         76
        .size:           4
        .value_kind:     by_value
      - .offset:         80
        .size:           4
        .value_kind:     by_value
      - .actual_access:  write_only
        .address_space:  global
        .offset:         88
        .size:           8
        .value_kind:     global_buffer
      - .actual_access:  write_only
        .address_space:  global
        .offset:         96
        .size:           8
        .value_kind:     global_buffer
      - .actual_access:  write_only
        .address_space:  global
        .offset:         104
        .size:           8
        .value_kind:     global_buffer
      - .actual_access:  read_only
        .address_space:  global
        .offset:         112
        .size:           8
        .value_kind:     global_buffer
      - .offset:         120
        .size:           4
        .value_kind:     by_value
      - .address_space:  global
        .offset:         128
        .size:           8
        .value_kind:     global_buffer
      - .address_space:  global
        .offset:         136
        .size:           8
        .value_kind:     global_buffer
      - .offset:         144
        .size:           4
        .value_kind:     hidden_block_count_x
      - .offset:         148
        .size:           4
        .value_kind:     hidden_block_count_y
      - .offset:         152
        .size:           4
        .value_kind:     hidden_block_count_z
      - .offset:         156
        .size:           2
        .value_kind:     hidden_group_size_x
      - .offset:         158
        .size:           2
        .value_kind:     hidden_group_size_y
      - .offset:         160
        .size:           2
        .value_kind:     hidden_group_size_z
      - .offset:         162
        .size:           2
        .value_kind:     hidden_remainder_x
      - .offset:         164
        .size:           2
        .value_kind:     hidden_remainder_y
      - .offset:         166
        .size:           2
        .value_kind:     hidden_remainder_z
      - .offset:         184
        .size:           8
        .value_kind:     hidden_global_offset_x
      - .offset:         192
        .size:           8
        .value_kind:     hidden_global_offset_y
      - .offset:         200
        .size:           8
        .value_kind:     hidden_global_offset_z
      - .offset:         208
        .size:           2
        .value_kind:     hidden_grid_dims
    .group_segment_fixed_size: 17472
    .kernarg_segment_align: 8
    .kernarg_segment_size: 400
    .language:       OpenCL C
    .language_version:
      - 2
      - 0
    .max_flat_workgroup_size: 256
    .name:           _Z39paged_attention_ll4mi_QKV_mfma16_kernelI14__hip_bfloat16S0_LN4vllm18Fp8KVCacheDataTypeE0ES0_Li32ELi64ELi256ELb0ELi16EL8MFMAType0EEvPKT_PKT0_S9_ifPKiSB_SB_iPKfiiiPfSE_PS4_PT2_iSD_SD_
    .private_segment_fixed_size: 0
    .sgpr_count:     40
    .sgpr_spill_count: 0
    .symbol:         _Z39paged_attention_ll4mi_QKV_mfma16_kernelI14__hip_bfloat16S0_LN4vllm18Fp8KVCacheDataTypeE0ES0_Li32ELi64ELi256ELb0ELi16EL8MFMAType0EEvPKT_PKT0_S9_ifPKiSB_SB_iPKfiiiPfSE_PS4_PT2_iSD_SD_.kd
    .uniform_work_group_size: 1
    .uses_dynamic_stack: false
    .vgpr_count:     142
    .vgpr_spill_count: 0
    .wavefront_size: 32
    .workgroup_processor_mode: 1
  - .args:
      - .actual_access:  read_only
        .address_space:  global
        .offset:         0
        .size:           8
        .value_kind:     global_buffer
      - .actual_access:  read_only
        .address_space:  global
        .offset:         8
        .size:           8
        .value_kind:     global_buffer
      - .actual_access:  read_only
        .address_space:  global
        .offset:         16
        .size:           8
        .value_kind:     global_buffer
      - .offset:         24
        .size:           4
        .value_kind:     by_value
      - .offset:         28
        .size:           4
        .value_kind:     by_value
      - .actual_access:  read_only
        .address_space:  global
        .offset:         32
        .size:           8
        .value_kind:     global_buffer
      - .actual_access:  read_only
        .address_space:  global
        .offset:         40
        .size:           8
        .value_kind:     global_buffer
      - .actual_access:  read_only
        .address_space:  global
        .offset:         48
        .size:           8
        .value_kind:     global_buffer
      - .offset:         56
        .size:           4
        .value_kind:     by_value
      - .actual_access:  read_only
        .address_space:  global
        .offset:         64
        .size:           8
        .value_kind:     global_buffer
      - .offset:         72
        .size:           4
        .value_kind:     by_value
      - .offset:         76
        .size:           4
        .value_kind:     by_value
      - .offset:         80
        .size:           4
        .value_kind:     by_value
      - .actual_access:  write_only
        .address_space:  global
        .offset:         88
        .size:           8
        .value_kind:     global_buffer
      - .actual_access:  write_only
        .address_space:  global
        .offset:         96
        .size:           8
        .value_kind:     global_buffer
      - .actual_access:  write_only
        .address_space:  global
        .offset:         104
        .size:           8
        .value_kind:     global_buffer
      - .actual_access:  read_only
        .address_space:  global
        .offset:         112
        .size:           8
        .value_kind:     global_buffer
      - .offset:         120
        .size:           4
        .value_kind:     by_value
      - .address_space:  global
        .offset:         128
        .size:           8
        .value_kind:     global_buffer
      - .address_space:  global
        .offset:         136
        .size:           8
        .value_kind:     global_buffer
      - .offset:         144
        .size:           4
        .value_kind:     hidden_block_count_x
      - .offset:         148
        .size:           4
        .value_kind:     hidden_block_count_y
      - .offset:         152
        .size:           4
        .value_kind:     hidden_block_count_z
      - .offset:         156
        .size:           2
        .value_kind:     hidden_group_size_x
      - .offset:         158
        .size:           2
        .value_kind:     hidden_group_size_y
      - .offset:         160
        .size:           2
        .value_kind:     hidden_group_size_z
      - .offset:         162
        .size:           2
        .value_kind:     hidden_remainder_x
      - .offset:         164
        .size:           2
        .value_kind:     hidden_remainder_y
      - .offset:         166
        .size:           2
        .value_kind:     hidden_remainder_z
      - .offset:         184
        .size:           8
        .value_kind:     hidden_global_offset_x
      - .offset:         192
        .size:           8
        .value_kind:     hidden_global_offset_y
      - .offset:         200
        .size:           8
        .value_kind:     hidden_global_offset_z
      - .offset:         208
        .size:           2
        .value_kind:     hidden_grid_dims
    .group_segment_fixed_size: 17472
    .kernarg_segment_align: 8
    .kernarg_segment_size: 400
    .language:       OpenCL C
    .language_version:
      - 2
      - 0
    .max_flat_workgroup_size: 256
    .name:           _Z39paged_attention_ll4mi_QKV_mfma16_kernelI14__hip_bfloat16S0_LN4vllm18Fp8KVCacheDataTypeE0ES0_Li32ELi64ELi256ELb0ELi1EL8MFMAType0EEvPKT_PKT0_S9_ifPKiSB_SB_iPKfiiiPfSE_PS4_PT2_iSD_SD_
    .private_segment_fixed_size: 0
    .sgpr_count:     71
    .sgpr_spill_count: 0
    .symbol:         _Z39paged_attention_ll4mi_QKV_mfma16_kernelI14__hip_bfloat16S0_LN4vllm18Fp8KVCacheDataTypeE0ES0_Li32ELi64ELi256ELb0ELi1EL8MFMAType0EEvPKT_PKT0_S9_ifPKiSB_SB_iPKfiiiPfSE_PS4_PT2_iSD_SD_.kd
    .uniform_work_group_size: 1
    .uses_dynamic_stack: false
    .vgpr_count:     138
    .vgpr_spill_count: 0
    .wavefront_size: 32
    .workgroup_processor_mode: 1
  - .args:
      - .actual_access:  read_only
        .address_space:  global
        .offset:         0
        .size:           8
        .value_kind:     global_buffer
      - .actual_access:  read_only
        .address_space:  global
        .offset:         8
        .size:           8
        .value_kind:     global_buffer
      - .actual_access:  read_only
        .address_space:  global
        .offset:         16
        .size:           8
        .value_kind:     global_buffer
      - .offset:         24
        .size:           4
        .value_kind:     by_value
      - .offset:         28
        .size:           4
        .value_kind:     by_value
      - .actual_access:  read_only
        .address_space:  global
        .offset:         32
        .size:           8
        .value_kind:     global_buffer
      - .actual_access:  read_only
        .address_space:  global
        .offset:         40
        .size:           8
        .value_kind:     global_buffer
      - .actual_access:  read_only
        .address_space:  global
        .offset:         48
        .size:           8
        .value_kind:     global_buffer
      - .offset:         56
        .size:           4
        .value_kind:     by_value
      - .actual_access:  read_only
        .address_space:  global
        .offset:         64
        .size:           8
        .value_kind:     global_buffer
      - .offset:         72
        .size:           4
        .value_kind:     by_value
      - .offset:         76
        .size:           4
        .value_kind:     by_value
      - .offset:         80
        .size:           4
        .value_kind:     by_value
      - .actual_access:  write_only
        .address_space:  global
        .offset:         88
        .size:           8
        .value_kind:     global_buffer
      - .actual_access:  write_only
        .address_space:  global
        .offset:         96
        .size:           8
        .value_kind:     global_buffer
      - .actual_access:  write_only
        .address_space:  global
        .offset:         104
        .size:           8
        .value_kind:     global_buffer
      - .actual_access:  read_only
        .address_space:  global
        .offset:         112
        .size:           8
        .value_kind:     global_buffer
      - .offset:         120
        .size:           4
        .value_kind:     by_value
      - .address_space:  global
        .offset:         128
        .size:           8
        .value_kind:     global_buffer
      - .address_space:  global
        .offset:         136
        .size:           8
        .value_kind:     global_buffer
      - .offset:         144
        .size:           4
        .value_kind:     hidden_block_count_x
      - .offset:         148
        .size:           4
        .value_kind:     hidden_block_count_y
      - .offset:         152
        .size:           4
        .value_kind:     hidden_block_count_z
      - .offset:         156
        .size:           2
        .value_kind:     hidden_group_size_x
      - .offset:         158
        .size:           2
        .value_kind:     hidden_group_size_y
      - .offset:         160
        .size:           2
        .value_kind:     hidden_group_size_z
      - .offset:         162
        .size:           2
        .value_kind:     hidden_remainder_x
      - .offset:         164
        .size:           2
        .value_kind:     hidden_remainder_y
      - .offset:         166
        .size:           2
        .value_kind:     hidden_remainder_z
      - .offset:         184
        .size:           8
        .value_kind:     hidden_global_offset_x
      - .offset:         192
        .size:           8
        .value_kind:     hidden_global_offset_y
      - .offset:         200
        .size:           8
        .value_kind:     hidden_global_offset_z
      - .offset:         208
        .size:           2
        .value_kind:     hidden_grid_dims
    .group_segment_fixed_size: 17472
    .kernarg_segment_align: 8
    .kernarg_segment_size: 400
    .language:       OpenCL C
    .language_version:
      - 2
      - 0
    .max_flat_workgroup_size: 256
    .name:           _Z39paged_attention_ll4mi_QKV_mfma16_kernelI14__hip_bfloat16S0_LN4vllm18Fp8KVCacheDataTypeE0ES0_Li32ELi64ELi256ELb0ELi2EL8MFMAType0EEvPKT_PKT0_S9_ifPKiSB_SB_iPKfiiiPfSE_PS4_PT2_iSD_SD_
    .private_segment_fixed_size: 0
    .sgpr_count:     41
    .sgpr_spill_count: 0
    .symbol:         _Z39paged_attention_ll4mi_QKV_mfma16_kernelI14__hip_bfloat16S0_LN4vllm18Fp8KVCacheDataTypeE0ES0_Li32ELi64ELi256ELb0ELi2EL8MFMAType0EEvPKT_PKT0_S9_ifPKiSB_SB_iPKfiiiPfSE_PS4_PT2_iSD_SD_.kd
    .uniform_work_group_size: 1
    .uses_dynamic_stack: false
    .vgpr_count:     144
    .vgpr_spill_count: 0
    .wavefront_size: 32
    .workgroup_processor_mode: 1
  - .args:
      - .actual_access:  read_only
        .address_space:  global
        .offset:         0
        .size:           8
        .value_kind:     global_buffer
      - .actual_access:  read_only
        .address_space:  global
        .offset:         8
        .size:           8
        .value_kind:     global_buffer
      - .actual_access:  read_only
        .address_space:  global
        .offset:         16
        .size:           8
        .value_kind:     global_buffer
      - .offset:         24
        .size:           4
        .value_kind:     by_value
      - .offset:         28
        .size:           4
        .value_kind:     by_value
      - .actual_access:  read_only
        .address_space:  global
        .offset:         32
        .size:           8
        .value_kind:     global_buffer
      - .actual_access:  read_only
        .address_space:  global
        .offset:         40
        .size:           8
        .value_kind:     global_buffer
      - .actual_access:  read_only
        .address_space:  global
        .offset:         48
        .size:           8
        .value_kind:     global_buffer
      - .offset:         56
        .size:           4
        .value_kind:     by_value
      - .actual_access:  read_only
        .address_space:  global
        .offset:         64
        .size:           8
        .value_kind:     global_buffer
      - .offset:         72
        .size:           4
        .value_kind:     by_value
      - .offset:         76
        .size:           4
        .value_kind:     by_value
      - .offset:         80
        .size:           4
        .value_kind:     by_value
      - .actual_access:  write_only
        .address_space:  global
        .offset:         88
        .size:           8
        .value_kind:     global_buffer
      - .actual_access:  write_only
        .address_space:  global
        .offset:         96
        .size:           8
        .value_kind:     global_buffer
      - .actual_access:  write_only
        .address_space:  global
        .offset:         104
        .size:           8
        .value_kind:     global_buffer
      - .actual_access:  read_only
        .address_space:  global
        .offset:         112
        .size:           8
        .value_kind:     global_buffer
      - .offset:         120
        .size:           4
        .value_kind:     by_value
      - .address_space:  global
        .offset:         128
        .size:           8
        .value_kind:     global_buffer
      - .address_space:  global
        .offset:         136
        .size:           8
        .value_kind:     global_buffer
      - .offset:         144
        .size:           4
        .value_kind:     hidden_block_count_x
      - .offset:         148
        .size:           4
        .value_kind:     hidden_block_count_y
      - .offset:         152
        .size:           4
        .value_kind:     hidden_block_count_z
      - .offset:         156
        .size:           2
        .value_kind:     hidden_group_size_x
      - .offset:         158
        .size:           2
        .value_kind:     hidden_group_size_y
      - .offset:         160
        .size:           2
        .value_kind:     hidden_group_size_z
      - .offset:         162
        .size:           2
        .value_kind:     hidden_remainder_x
      - .offset:         164
        .size:           2
        .value_kind:     hidden_remainder_y
      - .offset:         166
        .size:           2
        .value_kind:     hidden_remainder_z
      - .offset:         184
        .size:           8
        .value_kind:     hidden_global_offset_x
      - .offset:         192
        .size:           8
        .value_kind:     hidden_global_offset_y
      - .offset:         200
        .size:           8
        .value_kind:     hidden_global_offset_z
      - .offset:         208
        .size:           2
        .value_kind:     hidden_grid_dims
    .group_segment_fixed_size: 17472
    .kernarg_segment_align: 8
    .kernarg_segment_size: 400
    .language:       OpenCL C
    .language_version:
      - 2
      - 0
    .max_flat_workgroup_size: 256
    .name:           _Z39paged_attention_ll4mi_QKV_mfma16_kernelI14__hip_bfloat16S0_LN4vllm18Fp8KVCacheDataTypeE0ES0_Li32ELi64ELi256ELb0ELi3EL8MFMAType0EEvPKT_PKT0_S9_ifPKiSB_SB_iPKfiiiPfSE_PS4_PT2_iSD_SD_
    .private_segment_fixed_size: 0
    .sgpr_count:     41
    .sgpr_spill_count: 0
    .symbol:         _Z39paged_attention_ll4mi_QKV_mfma16_kernelI14__hip_bfloat16S0_LN4vllm18Fp8KVCacheDataTypeE0ES0_Li32ELi64ELi256ELb0ELi3EL8MFMAType0EEvPKT_PKT0_S9_ifPKiSB_SB_iPKfiiiPfSE_PS4_PT2_iSD_SD_.kd
    .uniform_work_group_size: 1
    .uses_dynamic_stack: false
    .vgpr_count:     142
    .vgpr_spill_count: 0
    .wavefront_size: 32
    .workgroup_processor_mode: 1
  - .args:
      - .actual_access:  read_only
        .address_space:  global
        .offset:         0
        .size:           8
        .value_kind:     global_buffer
      - .actual_access:  read_only
        .address_space:  global
        .offset:         8
        .size:           8
        .value_kind:     global_buffer
      - .actual_access:  read_only
        .address_space:  global
        .offset:         16
        .size:           8
        .value_kind:     global_buffer
      - .offset:         24
        .size:           4
        .value_kind:     by_value
      - .offset:         28
        .size:           4
        .value_kind:     by_value
      - .actual_access:  read_only
        .address_space:  global
        .offset:         32
        .size:           8
        .value_kind:     global_buffer
      - .actual_access:  read_only
        .address_space:  global
        .offset:         40
        .size:           8
        .value_kind:     global_buffer
      - .actual_access:  read_only
        .address_space:  global
        .offset:         48
        .size:           8
        .value_kind:     global_buffer
      - .offset:         56
        .size:           4
        .value_kind:     by_value
      - .actual_access:  read_only
        .address_space:  global
        .offset:         64
        .size:           8
        .value_kind:     global_buffer
      - .offset:         72
        .size:           4
        .value_kind:     by_value
      - .offset:         76
        .size:           4
        .value_kind:     by_value
      - .offset:         80
        .size:           4
        .value_kind:     by_value
      - .actual_access:  write_only
        .address_space:  global
        .offset:         88
        .size:           8
        .value_kind:     global_buffer
      - .actual_access:  write_only
        .address_space:  global
        .offset:         96
        .size:           8
        .value_kind:     global_buffer
      - .actual_access:  write_only
        .address_space:  global
        .offset:         104
        .size:           8
        .value_kind:     global_buffer
      - .actual_access:  read_only
        .address_space:  global
        .offset:         112
        .size:           8
        .value_kind:     global_buffer
      - .offset:         120
        .size:           4
        .value_kind:     by_value
      - .address_space:  global
        .offset:         128
        .size:           8
        .value_kind:     global_buffer
      - .address_space:  global
        .offset:         136
        .size:           8
        .value_kind:     global_buffer
      - .offset:         144
        .size:           4
        .value_kind:     hidden_block_count_x
      - .offset:         148
        .size:           4
        .value_kind:     hidden_block_count_y
      - .offset:         152
        .size:           4
        .value_kind:     hidden_block_count_z
      - .offset:         156
        .size:           2
        .value_kind:     hidden_group_size_x
      - .offset:         158
        .size:           2
        .value_kind:     hidden_group_size_y
      - .offset:         160
        .size:           2
        .value_kind:     hidden_group_size_z
      - .offset:         162
        .size:           2
        .value_kind:     hidden_remainder_x
      - .offset:         164
        .size:           2
        .value_kind:     hidden_remainder_y
      - .offset:         166
        .size:           2
        .value_kind:     hidden_remainder_z
      - .offset:         184
        .size:           8
        .value_kind:     hidden_global_offset_x
      - .offset:         192
        .size:           8
        .value_kind:     hidden_global_offset_y
      - .offset:         200
        .size:           8
        .value_kind:     hidden_global_offset_z
      - .offset:         208
        .size:           2
        .value_kind:     hidden_grid_dims
    .group_segment_fixed_size: 17472
    .kernarg_segment_align: 8
    .kernarg_segment_size: 400
    .language:       OpenCL C
    .language_version:
      - 2
      - 0
    .max_flat_workgroup_size: 256
    .name:           _Z39paged_attention_ll4mi_QKV_mfma16_kernelI14__hip_bfloat16S0_LN4vllm18Fp8KVCacheDataTypeE0ES0_Li32ELi64ELi256ELb0ELi4EL8MFMAType0EEvPKT_PKT0_S9_ifPKiSB_SB_iPKfiiiPfSE_PS4_PT2_iSD_SD_
    .private_segment_fixed_size: 0
    .sgpr_count:     40
    .sgpr_spill_count: 0
    .symbol:         _Z39paged_attention_ll4mi_QKV_mfma16_kernelI14__hip_bfloat16S0_LN4vllm18Fp8KVCacheDataTypeE0ES0_Li32ELi64ELi256ELb0ELi4EL8MFMAType0EEvPKT_PKT0_S9_ifPKiSB_SB_iPKfiiiPfSE_PS4_PT2_iSD_SD_.kd
    .uniform_work_group_size: 1
    .uses_dynamic_stack: false
    .vgpr_count:     142
    .vgpr_spill_count: 0
    .wavefront_size: 32
    .workgroup_processor_mode: 1
  - .args:
      - .actual_access:  read_only
        .address_space:  global
        .offset:         0
        .size:           8
        .value_kind:     global_buffer
      - .actual_access:  read_only
        .address_space:  global
        .offset:         8
        .size:           8
        .value_kind:     global_buffer
      - .actual_access:  read_only
        .address_space:  global
        .offset:         16
        .size:           8
        .value_kind:     global_buffer
      - .offset:         24
        .size:           4
        .value_kind:     by_value
      - .offset:         28
        .size:           4
        .value_kind:     by_value
      - .actual_access:  read_only
        .address_space:  global
        .offset:         32
        .size:           8
        .value_kind:     global_buffer
      - .actual_access:  read_only
        .address_space:  global
        .offset:         40
        .size:           8
        .value_kind:     global_buffer
      - .actual_access:  read_only
        .address_space:  global
        .offset:         48
        .size:           8
        .value_kind:     global_buffer
      - .offset:         56
        .size:           4
        .value_kind:     by_value
      - .actual_access:  read_only
        .address_space:  global
        .offset:         64
        .size:           8
        .value_kind:     global_buffer
      - .offset:         72
        .size:           4
        .value_kind:     by_value
      - .offset:         76
        .size:           4
        .value_kind:     by_value
      - .offset:         80
        .size:           4
        .value_kind:     by_value
      - .actual_access:  read_only
        .address_space:  global
        .offset:         88
        .size:           8
        .value_kind:     global_buffer
      - .actual_access:  read_only
        .address_space:  global
        .offset:         96
        .size:           8
        .value_kind:     global_buffer
      - .actual_access:  read_only
        .address_space:  global
        .offset:         104
        .size:           8
        .value_kind:     global_buffer
      - .actual_access:  read_only
        .address_space:  global
        .offset:         112
        .size:           8
        .value_kind:     global_buffer
      - .offset:         120
        .size:           4
        .value_kind:     by_value
      - .address_space:  global
        .offset:         128
        .size:           8
        .value_kind:     global_buffer
      - .address_space:  global
        .offset:         136
        .size:           8
        .value_kind:     global_buffer
      - .offset:         144
        .size:           4
        .value_kind:     hidden_block_count_x
      - .offset:         148
        .size:           4
        .value_kind:     hidden_block_count_y
      - .offset:         152
        .size:           4
        .value_kind:     hidden_block_count_z
      - .offset:         156
        .size:           2
        .value_kind:     hidden_group_size_x
      - .offset:         158
        .size:           2
        .value_kind:     hidden_group_size_y
      - .offset:         160
        .size:           2
        .value_kind:     hidden_group_size_z
      - .offset:         162
        .size:           2
        .value_kind:     hidden_remainder_x
      - .offset:         164
        .size:           2
        .value_kind:     hidden_remainder_y
      - .offset:         166
        .size:           2
        .value_kind:     hidden_remainder_z
      - .offset:         184
        .size:           8
        .value_kind:     hidden_global_offset_x
      - .offset:         192
        .size:           8
        .value_kind:     hidden_global_offset_y
      - .offset:         200
        .size:           8
        .value_kind:     hidden_global_offset_z
      - .offset:         208
        .size:           2
        .value_kind:     hidden_grid_dims
      - .offset:         224
        .size:           8
        .value_kind:     hidden_hostcall_buffer
    .group_segment_fixed_size: 0
    .kernarg_segment_align: 8
    .kernarg_segment_size: 400
    .language:       OpenCL C
    .language_version:
      - 2
      - 0
    .max_flat_workgroup_size: 256
    .name:           _Z38paged_attention_ll4mi_QKV_mfma4_kernelI14__hip_bfloat16S0_LN4vllm18Fp8KVCacheDataTypeE0EhLi16ELi128ELi256ELb1ELi1EEvPKT_PKT0_S8_ifPKiSA_SA_iPKfiiiPfSD_PS3_PT2_iSC_SC_
    .private_segment_fixed_size: 64
    .sgpr_count:     36
    .sgpr_spill_count: 0
    .symbol:         _Z38paged_attention_ll4mi_QKV_mfma4_kernelI14__hip_bfloat16S0_LN4vllm18Fp8KVCacheDataTypeE0EhLi16ELi128ELi256ELb1ELi1EEvPKT_PKT0_S8_ifPKiSA_SA_iPKfiiiPfSD_PS3_PT2_iSC_SC_.kd
    .uniform_work_group_size: 1
    .uses_dynamic_stack: false
    .vgpr_count:     41
    .vgpr_spill_count: 0
    .wavefront_size: 32
    .workgroup_processor_mode: 1
  - .args:
      - .actual_access:  read_only
        .address_space:  global
        .offset:         0
        .size:           8
        .value_kind:     global_buffer
      - .actual_access:  read_only
        .address_space:  global
        .offset:         8
        .size:           8
        .value_kind:     global_buffer
      - .actual_access:  read_only
        .address_space:  global
        .offset:         16
        .size:           8
        .value_kind:     global_buffer
      - .offset:         24
        .size:           4
        .value_kind:     by_value
      - .offset:         28
        .size:           4
        .value_kind:     by_value
      - .actual_access:  read_only
        .address_space:  global
        .offset:         32
        .size:           8
        .value_kind:     global_buffer
      - .actual_access:  read_only
        .address_space:  global
        .offset:         40
        .size:           8
        .value_kind:     global_buffer
      - .actual_access:  read_only
        .address_space:  global
        .offset:         48
        .size:           8
        .value_kind:     global_buffer
      - .offset:         56
        .size:           4
        .value_kind:     by_value
      - .actual_access:  read_only
        .address_space:  global
        .offset:         64
        .size:           8
        .value_kind:     global_buffer
      - .offset:         72
        .size:           4
        .value_kind:     by_value
      - .offset:         76
        .size:           4
        .value_kind:     by_value
      - .offset:         80
        .size:           4
        .value_kind:     by_value
      - .actual_access:  read_only
        .address_space:  global
        .offset:         88
        .size:           8
        .value_kind:     global_buffer
      - .actual_access:  read_only
        .address_space:  global
        .offset:         96
        .size:           8
        .value_kind:     global_buffer
      - .actual_access:  read_only
        .address_space:  global
        .offset:         104
        .size:           8
        .value_kind:     global_buffer
      - .actual_access:  read_only
        .address_space:  global
        .offset:         112
        .size:           8
        .value_kind:     global_buffer
      - .offset:         120
        .size:           4
        .value_kind:     by_value
      - .address_space:  global
        .offset:         128
        .size:           8
        .value_kind:     global_buffer
      - .address_space:  global
        .offset:         136
        .size:           8
        .value_kind:     global_buffer
      - .offset:         144
        .size:           4
        .value_kind:     hidden_block_count_x
      - .offset:         148
        .size:           4
        .value_kind:     hidden_block_count_y
      - .offset:         152
        .size:           4
        .value_kind:     hidden_block_count_z
      - .offset:         156
        .size:           2
        .value_kind:     hidden_group_size_x
      - .offset:         158
        .size:           2
        .value_kind:     hidden_group_size_y
      - .offset:         160
        .size:           2
        .value_kind:     hidden_group_size_z
      - .offset:         162
        .size:           2
        .value_kind:     hidden_remainder_x
      - .offset:         164
        .size:           2
        .value_kind:     hidden_remainder_y
      - .offset:         166
        .size:           2
        .value_kind:     hidden_remainder_z
      - .offset:         184
        .size:           8
        .value_kind:     hidden_global_offset_x
      - .offset:         192
        .size:           8
        .value_kind:     hidden_global_offset_y
      - .offset:         200
        .size:           8
        .value_kind:     hidden_global_offset_z
      - .offset:         208
        .size:           2
        .value_kind:     hidden_grid_dims
      - .offset:         224
        .size:           8
        .value_kind:     hidden_hostcall_buffer
    .group_segment_fixed_size: 0
    .kernarg_segment_align: 8
    .kernarg_segment_size: 400
    .language:       OpenCL C
    .language_version:
      - 2
      - 0
    .max_flat_workgroup_size: 256
    .name:           _Z38paged_attention_ll4mi_QKV_mfma4_kernelI14__hip_bfloat16S0_LN4vllm18Fp8KVCacheDataTypeE0EhLi16ELi128ELi256ELb1ELi2EEvPKT_PKT0_S8_ifPKiSA_SA_iPKfiiiPfSD_PS3_PT2_iSC_SC_
    .private_segment_fixed_size: 64
    .sgpr_count:     36
    .sgpr_spill_count: 0
    .symbol:         _Z38paged_attention_ll4mi_QKV_mfma4_kernelI14__hip_bfloat16S0_LN4vllm18Fp8KVCacheDataTypeE0EhLi16ELi128ELi256ELb1ELi2EEvPKT_PKT0_S8_ifPKiSA_SA_iPKfiiiPfSD_PS3_PT2_iSC_SC_.kd
    .uniform_work_group_size: 1
    .uses_dynamic_stack: false
    .vgpr_count:     41
    .vgpr_spill_count: 0
    .wavefront_size: 32
    .workgroup_processor_mode: 1
  - .args:
      - .actual_access:  read_only
        .address_space:  global
        .offset:         0
        .size:           8
        .value_kind:     global_buffer
      - .actual_access:  read_only
        .address_space:  global
        .offset:         8
        .size:           8
        .value_kind:     global_buffer
      - .actual_access:  read_only
        .address_space:  global
        .offset:         16
        .size:           8
        .value_kind:     global_buffer
      - .offset:         24
        .size:           4
        .value_kind:     by_value
      - .offset:         28
        .size:           4
        .value_kind:     by_value
      - .actual_access:  read_only
        .address_space:  global
        .offset:         32
        .size:           8
        .value_kind:     global_buffer
      - .actual_access:  read_only
        .address_space:  global
        .offset:         40
        .size:           8
        .value_kind:     global_buffer
      - .actual_access:  read_only
        .address_space:  global
        .offset:         48
        .size:           8
        .value_kind:     global_buffer
      - .offset:         56
        .size:           4
        .value_kind:     by_value
      - .actual_access:  read_only
        .address_space:  global
        .offset:         64
        .size:           8
        .value_kind:     global_buffer
      - .offset:         72
        .size:           4
        .value_kind:     by_value
      - .offset:         76
        .size:           4
        .value_kind:     by_value
      - .offset:         80
        .size:           4
        .value_kind:     by_value
      - .actual_access:  read_only
        .address_space:  global
        .offset:         88
        .size:           8
        .value_kind:     global_buffer
      - .actual_access:  read_only
        .address_space:  global
        .offset:         96
        .size:           8
        .value_kind:     global_buffer
      - .actual_access:  read_only
        .address_space:  global
        .offset:         104
        .size:           8
        .value_kind:     global_buffer
      - .actual_access:  read_only
        .address_space:  global
        .offset:         112
        .size:           8
        .value_kind:     global_buffer
      - .offset:         120
        .size:           4
        .value_kind:     by_value
      - .address_space:  global
        .offset:         128
        .size:           8
        .value_kind:     global_buffer
      - .address_space:  global
        .offset:         136
        .size:           8
        .value_kind:     global_buffer
      - .offset:         144
        .size:           4
        .value_kind:     hidden_block_count_x
      - .offset:         148
        .size:           4
        .value_kind:     hidden_block_count_y
      - .offset:         152
        .size:           4
        .value_kind:     hidden_block_count_z
      - .offset:         156
        .size:           2
        .value_kind:     hidden_group_size_x
      - .offset:         158
        .size:           2
        .value_kind:     hidden_group_size_y
      - .offset:         160
        .size:           2
        .value_kind:     hidden_group_size_z
      - .offset:         162
        .size:           2
        .value_kind:     hidden_remainder_x
      - .offset:         164
        .size:           2
        .value_kind:     hidden_remainder_y
      - .offset:         166
        .size:           2
        .value_kind:     hidden_remainder_z
      - .offset:         184
        .size:           8
        .value_kind:     hidden_global_offset_x
      - .offset:         192
        .size:           8
        .value_kind:     hidden_global_offset_y
      - .offset:         200
        .size:           8
        .value_kind:     hidden_global_offset_z
      - .offset:         208
        .size:           2
        .value_kind:     hidden_grid_dims
      - .offset:         224
        .size:           8
        .value_kind:     hidden_hostcall_buffer
    .group_segment_fixed_size: 0
    .kernarg_segment_align: 8
    .kernarg_segment_size: 400
    .language:       OpenCL C
    .language_version:
      - 2
      - 0
    .max_flat_workgroup_size: 256
    .name:           _Z38paged_attention_ll4mi_QKV_mfma4_kernelI14__hip_bfloat16S0_LN4vllm18Fp8KVCacheDataTypeE0EhLi16ELi128ELi256ELb1ELi3EEvPKT_PKT0_S8_ifPKiSA_SA_iPKfiiiPfSD_PS3_PT2_iSC_SC_
    .private_segment_fixed_size: 64
    .sgpr_count:     36
    .sgpr_spill_count: 0
    .symbol:         _Z38paged_attention_ll4mi_QKV_mfma4_kernelI14__hip_bfloat16S0_LN4vllm18Fp8KVCacheDataTypeE0EhLi16ELi128ELi256ELb1ELi3EEvPKT_PKT0_S8_ifPKiSA_SA_iPKfiiiPfSD_PS3_PT2_iSC_SC_.kd
    .uniform_work_group_size: 1
    .uses_dynamic_stack: false
    .vgpr_count:     41
    .vgpr_spill_count: 0
    .wavefront_size: 32
    .workgroup_processor_mode: 1
  - .args:
      - .actual_access:  read_only
        .address_space:  global
        .offset:         0
        .size:           8
        .value_kind:     global_buffer
      - .actual_access:  read_only
        .address_space:  global
        .offset:         8
        .size:           8
        .value_kind:     global_buffer
      - .actual_access:  read_only
        .address_space:  global
        .offset:         16
        .size:           8
        .value_kind:     global_buffer
      - .offset:         24
        .size:           4
        .value_kind:     by_value
      - .offset:         28
        .size:           4
        .value_kind:     by_value
      - .actual_access:  read_only
        .address_space:  global
        .offset:         32
        .size:           8
        .value_kind:     global_buffer
      - .actual_access:  read_only
        .address_space:  global
        .offset:         40
        .size:           8
        .value_kind:     global_buffer
      - .actual_access:  read_only
        .address_space:  global
        .offset:         48
        .size:           8
        .value_kind:     global_buffer
      - .offset:         56
        .size:           4
        .value_kind:     by_value
      - .actual_access:  read_only
        .address_space:  global
        .offset:         64
        .size:           8
        .value_kind:     global_buffer
      - .offset:         72
        .size:           4
        .value_kind:     by_value
      - .offset:         76
        .size:           4
        .value_kind:     by_value
      - .offset:         80
        .size:           4
        .value_kind:     by_value
      - .actual_access:  read_only
        .address_space:  global
        .offset:         88
        .size:           8
        .value_kind:     global_buffer
      - .actual_access:  read_only
        .address_space:  global
        .offset:         96
        .size:           8
        .value_kind:     global_buffer
      - .actual_access:  read_only
        .address_space:  global
        .offset:         104
        .size:           8
        .value_kind:     global_buffer
      - .actual_access:  read_only
        .address_space:  global
        .offset:         112
        .size:           8
        .value_kind:     global_buffer
      - .offset:         120
        .size:           4
        .value_kind:     by_value
      - .address_space:  global
        .offset:         128
        .size:           8
        .value_kind:     global_buffer
      - .address_space:  global
        .offset:         136
        .size:           8
        .value_kind:     global_buffer
      - .offset:         144
        .size:           4
        .value_kind:     hidden_block_count_x
      - .offset:         148
        .size:           4
        .value_kind:     hidden_block_count_y
      - .offset:         152
        .size:           4
        .value_kind:     hidden_block_count_z
      - .offset:         156
        .size:           2
        .value_kind:     hidden_group_size_x
      - .offset:         158
        .size:           2
        .value_kind:     hidden_group_size_y
      - .offset:         160
        .size:           2
        .value_kind:     hidden_group_size_z
      - .offset:         162
        .size:           2
        .value_kind:     hidden_remainder_x
      - .offset:         164
        .size:           2
        .value_kind:     hidden_remainder_y
      - .offset:         166
        .size:           2
        .value_kind:     hidden_remainder_z
      - .offset:         184
        .size:           8
        .value_kind:     hidden_global_offset_x
      - .offset:         192
        .size:           8
        .value_kind:     hidden_global_offset_y
      - .offset:         200
        .size:           8
        .value_kind:     hidden_global_offset_z
      - .offset:         208
        .size:           2
        .value_kind:     hidden_grid_dims
      - .offset:         224
        .size:           8
        .value_kind:     hidden_hostcall_buffer
    .group_segment_fixed_size: 0
    .kernarg_segment_align: 8
    .kernarg_segment_size: 400
    .language:       OpenCL C
    .language_version:
      - 2
      - 0
    .max_flat_workgroup_size: 256
    .name:           _Z38paged_attention_ll4mi_QKV_mfma4_kernelI14__hip_bfloat16S0_LN4vllm18Fp8KVCacheDataTypeE0EhLi16ELi128ELi256ELb1ELi4EEvPKT_PKT0_S8_ifPKiSA_SA_iPKfiiiPfSD_PS3_PT2_iSC_SC_
    .private_segment_fixed_size: 64
    .sgpr_count:     36
    .sgpr_spill_count: 0
    .symbol:         _Z38paged_attention_ll4mi_QKV_mfma4_kernelI14__hip_bfloat16S0_LN4vllm18Fp8KVCacheDataTypeE0EhLi16ELi128ELi256ELb1ELi4EEvPKT_PKT0_S8_ifPKiSA_SA_iPKfiiiPfSD_PS3_PT2_iSC_SC_.kd
    .uniform_work_group_size: 1
    .uses_dynamic_stack: false
    .vgpr_count:     41
    .vgpr_spill_count: 0
    .wavefront_size: 32
    .workgroup_processor_mode: 1
  - .args:
      - .actual_access:  read_only
        .address_space:  global
        .offset:         0
        .size:           8
        .value_kind:     global_buffer
      - .actual_access:  read_only
        .address_space:  global
        .offset:         8
        .size:           8
        .value_kind:     global_buffer
      - .actual_access:  read_only
        .address_space:  global
        .offset:         16
        .size:           8
        .value_kind:     global_buffer
      - .offset:         24
        .size:           4
        .value_kind:     by_value
      - .offset:         28
        .size:           4
        .value_kind:     by_value
      - .actual_access:  read_only
        .address_space:  global
        .offset:         32
        .size:           8
        .value_kind:     global_buffer
      - .actual_access:  read_only
        .address_space:  global
        .offset:         40
        .size:           8
        .value_kind:     global_buffer
      - .actual_access:  read_only
        .address_space:  global
        .offset:         48
        .size:           8
        .value_kind:     global_buffer
      - .offset:         56
        .size:           4
        .value_kind:     by_value
      - .actual_access:  read_only
        .address_space:  global
        .offset:         64
        .size:           8
        .value_kind:     global_buffer
      - .offset:         72
        .size:           4
        .value_kind:     by_value
      - .offset:         76
        .size:           4
        .value_kind:     by_value
      - .offset:         80
        .size:           4
        .value_kind:     by_value
      - .actual_access:  write_only
        .address_space:  global
        .offset:         88
        .size:           8
        .value_kind:     global_buffer
      - .actual_access:  write_only
        .address_space:  global
        .offset:         96
        .size:           8
        .value_kind:     global_buffer
      - .actual_access:  write_only
        .address_space:  global
        .offset:         104
        .size:           8
        .value_kind:     global_buffer
      - .actual_access:  read_only
        .address_space:  global
        .offset:         112
        .size:           8
        .value_kind:     global_buffer
      - .offset:         120
        .size:           4
        .value_kind:     by_value
      - .address_space:  global
        .offset:         128
        .size:           8
        .value_kind:     global_buffer
      - .address_space:  global
        .offset:         136
        .size:           8
        .value_kind:     global_buffer
      - .offset:         144
        .size:           4
        .value_kind:     hidden_block_count_x
      - .offset:         148
        .size:           4
        .value_kind:     hidden_block_count_y
      - .offset:         152
        .size:           4
        .value_kind:     hidden_block_count_z
      - .offset:         156
        .size:           2
        .value_kind:     hidden_group_size_x
      - .offset:         158
        .size:           2
        .value_kind:     hidden_group_size_y
      - .offset:         160
        .size:           2
        .value_kind:     hidden_group_size_z
      - .offset:         162
        .size:           2
        .value_kind:     hidden_remainder_x
      - .offset:         164
        .size:           2
        .value_kind:     hidden_remainder_y
      - .offset:         166
        .size:           2
        .value_kind:     hidden_remainder_z
      - .offset:         184
        .size:           8
        .value_kind:     hidden_global_offset_x
      - .offset:         192
        .size:           8
        .value_kind:     hidden_global_offset_y
      - .offset:         200
        .size:           8
        .value_kind:     hidden_global_offset_z
      - .offset:         208
        .size:           2
        .value_kind:     hidden_grid_dims
    .group_segment_fixed_size: 17472
    .kernarg_segment_align: 8
    .kernarg_segment_size: 400
    .language:       OpenCL C
    .language_version:
      - 2
      - 0
    .max_flat_workgroup_size: 256
    .name:           _Z39paged_attention_ll4mi_QKV_mfma16_kernelI14__hip_bfloat16S0_LN4vllm18Fp8KVCacheDataTypeE0EhLi16ELi128ELi256ELb1ELi5EL8MFMAType0EEvPKT_PKT0_S9_ifPKiSB_SB_iPKfiiiPfSE_PS4_PT2_iSD_SD_
    .private_segment_fixed_size: 0
    .sgpr_count:     52
    .sgpr_spill_count: 0
    .symbol:         _Z39paged_attention_ll4mi_QKV_mfma16_kernelI14__hip_bfloat16S0_LN4vllm18Fp8KVCacheDataTypeE0EhLi16ELi128ELi256ELb1ELi5EL8MFMAType0EEvPKT_PKT0_S9_ifPKiSB_SB_iPKfiiiPfSE_PS4_PT2_iSD_SD_.kd
    .uniform_work_group_size: 1
    .uses_dynamic_stack: false
    .vgpr_count:     218
    .vgpr_spill_count: 0
    .wavefront_size: 32
    .workgroup_processor_mode: 1
  - .args:
      - .actual_access:  read_only
        .address_space:  global
        .offset:         0
        .size:           8
        .value_kind:     global_buffer
      - .actual_access:  read_only
        .address_space:  global
        .offset:         8
        .size:           8
        .value_kind:     global_buffer
      - .actual_access:  read_only
        .address_space:  global
        .offset:         16
        .size:           8
        .value_kind:     global_buffer
      - .offset:         24
        .size:           4
        .value_kind:     by_value
      - .offset:         28
        .size:           4
        .value_kind:     by_value
      - .actual_access:  read_only
        .address_space:  global
        .offset:         32
        .size:           8
        .value_kind:     global_buffer
      - .actual_access:  read_only
        .address_space:  global
        .offset:         40
        .size:           8
        .value_kind:     global_buffer
      - .actual_access:  read_only
        .address_space:  global
        .offset:         48
        .size:           8
        .value_kind:     global_buffer
      - .offset:         56
        .size:           4
        .value_kind:     by_value
      - .actual_access:  read_only
        .address_space:  global
        .offset:         64
        .size:           8
        .value_kind:     global_buffer
      - .offset:         72
        .size:           4
        .value_kind:     by_value
      - .offset:         76
        .size:           4
        .value_kind:     by_value
      - .offset:         80
        .size:           4
        .value_kind:     by_value
      - .actual_access:  write_only
        .address_space:  global
        .offset:         88
        .size:           8
        .value_kind:     global_buffer
      - .actual_access:  write_only
        .address_space:  global
        .offset:         96
        .size:           8
        .value_kind:     global_buffer
      - .actual_access:  write_only
        .address_space:  global
        .offset:         104
        .size:           8
        .value_kind:     global_buffer
      - .actual_access:  read_only
        .address_space:  global
        .offset:         112
        .size:           8
        .value_kind:     global_buffer
      - .offset:         120
        .size:           4
        .value_kind:     by_value
      - .address_space:  global
        .offset:         128
        .size:           8
        .value_kind:     global_buffer
      - .address_space:  global
        .offset:         136
        .size:           8
        .value_kind:     global_buffer
      - .offset:         144
        .size:           4
        .value_kind:     hidden_block_count_x
      - .offset:         148
        .size:           4
        .value_kind:     hidden_block_count_y
      - .offset:         152
        .size:           4
        .value_kind:     hidden_block_count_z
      - .offset:         156
        .size:           2
        .value_kind:     hidden_group_size_x
      - .offset:         158
        .size:           2
        .value_kind:     hidden_group_size_y
      - .offset:         160
        .size:           2
        .value_kind:     hidden_group_size_z
      - .offset:         162
        .size:           2
        .value_kind:     hidden_remainder_x
      - .offset:         164
        .size:           2
        .value_kind:     hidden_remainder_y
      - .offset:         166
        .size:           2
        .value_kind:     hidden_remainder_z
      - .offset:         184
        .size:           8
        .value_kind:     hidden_global_offset_x
      - .offset:         192
        .size:           8
        .value_kind:     hidden_global_offset_y
      - .offset:         200
        .size:           8
        .value_kind:     hidden_global_offset_z
      - .offset:         208
        .size:           2
        .value_kind:     hidden_grid_dims
    .group_segment_fixed_size: 17472
    .kernarg_segment_align: 8
    .kernarg_segment_size: 400
    .language:       OpenCL C
    .language_version:
      - 2
      - 0
    .max_flat_workgroup_size: 256
    .name:           _Z39paged_attention_ll4mi_QKV_mfma16_kernelI14__hip_bfloat16S0_LN4vllm18Fp8KVCacheDataTypeE0EhLi16ELi128ELi256ELb1ELi6EL8MFMAType0EEvPKT_PKT0_S9_ifPKiSB_SB_iPKfiiiPfSE_PS4_PT2_iSD_SD_
    .private_segment_fixed_size: 0
    .sgpr_count:     52
    .sgpr_spill_count: 0
    .symbol:         _Z39paged_attention_ll4mi_QKV_mfma16_kernelI14__hip_bfloat16S0_LN4vllm18Fp8KVCacheDataTypeE0EhLi16ELi128ELi256ELb1ELi6EL8MFMAType0EEvPKT_PKT0_S9_ifPKiSB_SB_iPKfiiiPfSE_PS4_PT2_iSD_SD_.kd
    .uniform_work_group_size: 1
    .uses_dynamic_stack: false
    .vgpr_count:     218
    .vgpr_spill_count: 0
    .wavefront_size: 32
    .workgroup_processor_mode: 1
  - .args:
      - .actual_access:  read_only
        .address_space:  global
        .offset:         0
        .size:           8
        .value_kind:     global_buffer
      - .actual_access:  read_only
        .address_space:  global
        .offset:         8
        .size:           8
        .value_kind:     global_buffer
      - .actual_access:  read_only
        .address_space:  global
        .offset:         16
        .size:           8
        .value_kind:     global_buffer
      - .offset:         24
        .size:           4
        .value_kind:     by_value
      - .offset:         28
        .size:           4
        .value_kind:     by_value
      - .actual_access:  read_only
        .address_space:  global
        .offset:         32
        .size:           8
        .value_kind:     global_buffer
      - .actual_access:  read_only
        .address_space:  global
        .offset:         40
        .size:           8
        .value_kind:     global_buffer
      - .actual_access:  read_only
        .address_space:  global
        .offset:         48
        .size:           8
        .value_kind:     global_buffer
      - .offset:         56
        .size:           4
        .value_kind:     by_value
      - .actual_access:  read_only
        .address_space:  global
        .offset:         64
        .size:           8
        .value_kind:     global_buffer
      - .offset:         72
        .size:           4
        .value_kind:     by_value
      - .offset:         76
        .size:           4
        .value_kind:     by_value
      - .offset:         80
        .size:           4
        .value_kind:     by_value
      - .actual_access:  write_only
        .address_space:  global
        .offset:         88
        .size:           8
        .value_kind:     global_buffer
      - .actual_access:  write_only
        .address_space:  global
        .offset:         96
        .size:           8
        .value_kind:     global_buffer
      - .actual_access:  write_only
        .address_space:  global
        .offset:         104
        .size:           8
        .value_kind:     global_buffer
      - .actual_access:  read_only
        .address_space:  global
        .offset:         112
        .size:           8
        .value_kind:     global_buffer
      - .offset:         120
        .size:           4
        .value_kind:     by_value
      - .address_space:  global
        .offset:         128
        .size:           8
        .value_kind:     global_buffer
      - .address_space:  global
        .offset:         136
        .size:           8
        .value_kind:     global_buffer
      - .offset:         144
        .size:           4
        .value_kind:     hidden_block_count_x
      - .offset:         148
        .size:           4
        .value_kind:     hidden_block_count_y
      - .offset:         152
        .size:           4
        .value_kind:     hidden_block_count_z
      - .offset:         156
        .size:           2
        .value_kind:     hidden_group_size_x
      - .offset:         158
        .size:           2
        .value_kind:     hidden_group_size_y
      - .offset:         160
        .size:           2
        .value_kind:     hidden_group_size_z
      - .offset:         162
        .size:           2
        .value_kind:     hidden_remainder_x
      - .offset:         164
        .size:           2
        .value_kind:     hidden_remainder_y
      - .offset:         166
        .size:           2
        .value_kind:     hidden_remainder_z
      - .offset:         184
        .size:           8
        .value_kind:     hidden_global_offset_x
      - .offset:         192
        .size:           8
        .value_kind:     hidden_global_offset_y
      - .offset:         200
        .size:           8
        .value_kind:     hidden_global_offset_z
      - .offset:         208
        .size:           2
        .value_kind:     hidden_grid_dims
    .group_segment_fixed_size: 17472
    .kernarg_segment_align: 8
    .kernarg_segment_size: 400
    .language:       OpenCL C
    .language_version:
      - 2
      - 0
    .max_flat_workgroup_size: 256
    .name:           _Z39paged_attention_ll4mi_QKV_mfma16_kernelI14__hip_bfloat16S0_LN4vllm18Fp8KVCacheDataTypeE0EhLi16ELi128ELi256ELb1ELi7EL8MFMAType0EEvPKT_PKT0_S9_ifPKiSB_SB_iPKfiiiPfSE_PS4_PT2_iSD_SD_
    .private_segment_fixed_size: 0
    .sgpr_count:     52
    .sgpr_spill_count: 0
    .symbol:         _Z39paged_attention_ll4mi_QKV_mfma16_kernelI14__hip_bfloat16S0_LN4vllm18Fp8KVCacheDataTypeE0EhLi16ELi128ELi256ELb1ELi7EL8MFMAType0EEvPKT_PKT0_S9_ifPKiSB_SB_iPKfiiiPfSE_PS4_PT2_iSD_SD_.kd
    .uniform_work_group_size: 1
    .uses_dynamic_stack: false
    .vgpr_count:     218
    .vgpr_spill_count: 0
    .wavefront_size: 32
    .workgroup_processor_mode: 1
  - .args:
      - .actual_access:  read_only
        .address_space:  global
        .offset:         0
        .size:           8
        .value_kind:     global_buffer
      - .actual_access:  read_only
        .address_space:  global
        .offset:         8
        .size:           8
        .value_kind:     global_buffer
      - .actual_access:  read_only
        .address_space:  global
        .offset:         16
        .size:           8
        .value_kind:     global_buffer
      - .offset:         24
        .size:           4
        .value_kind:     by_value
      - .offset:         28
        .size:           4
        .value_kind:     by_value
      - .actual_access:  read_only
        .address_space:  global
        .offset:         32
        .size:           8
        .value_kind:     global_buffer
      - .actual_access:  read_only
        .address_space:  global
        .offset:         40
        .size:           8
        .value_kind:     global_buffer
      - .actual_access:  read_only
        .address_space:  global
        .offset:         48
        .size:           8
        .value_kind:     global_buffer
      - .offset:         56
        .size:           4
        .value_kind:     by_value
      - .actual_access:  read_only
        .address_space:  global
        .offset:         64
        .size:           8
        .value_kind:     global_buffer
      - .offset:         72
        .size:           4
        .value_kind:     by_value
      - .offset:         76
        .size:           4
        .value_kind:     by_value
      - .offset:         80
        .size:           4
        .value_kind:     by_value
      - .actual_access:  write_only
        .address_space:  global
        .offset:         88
        .size:           8
        .value_kind:     global_buffer
      - .actual_access:  write_only
        .address_space:  global
        .offset:         96
        .size:           8
        .value_kind:     global_buffer
      - .actual_access:  write_only
        .address_space:  global
        .offset:         104
        .size:           8
        .value_kind:     global_buffer
      - .actual_access:  read_only
        .address_space:  global
        .offset:         112
        .size:           8
        .value_kind:     global_buffer
      - .offset:         120
        .size:           4
        .value_kind:     by_value
      - .address_space:  global
        .offset:         128
        .size:           8
        .value_kind:     global_buffer
      - .address_space:  global
        .offset:         136
        .size:           8
        .value_kind:     global_buffer
      - .offset:         144
        .size:           4
        .value_kind:     hidden_block_count_x
      - .offset:         148
        .size:           4
        .value_kind:     hidden_block_count_y
      - .offset:         152
        .size:           4
        .value_kind:     hidden_block_count_z
      - .offset:         156
        .size:           2
        .value_kind:     hidden_group_size_x
      - .offset:         158
        .size:           2
        .value_kind:     hidden_group_size_y
      - .offset:         160
        .size:           2
        .value_kind:     hidden_group_size_z
      - .offset:         162
        .size:           2
        .value_kind:     hidden_remainder_x
      - .offset:         164
        .size:           2
        .value_kind:     hidden_remainder_y
      - .offset:         166
        .size:           2
        .value_kind:     hidden_remainder_z
      - .offset:         184
        .size:           8
        .value_kind:     hidden_global_offset_x
      - .offset:         192
        .size:           8
        .value_kind:     hidden_global_offset_y
      - .offset:         200
        .size:           8
        .value_kind:     hidden_global_offset_z
      - .offset:         208
        .size:           2
        .value_kind:     hidden_grid_dims
    .group_segment_fixed_size: 17472
    .kernarg_segment_align: 8
    .kernarg_segment_size: 400
    .language:       OpenCL C
    .language_version:
      - 2
      - 0
    .max_flat_workgroup_size: 256
    .name:           _Z39paged_attention_ll4mi_QKV_mfma16_kernelI14__hip_bfloat16S0_LN4vllm18Fp8KVCacheDataTypeE0EhLi16ELi128ELi256ELb1ELi8EL8MFMAType0EEvPKT_PKT0_S9_ifPKiSB_SB_iPKfiiiPfSE_PS4_PT2_iSD_SD_
    .private_segment_fixed_size: 0
    .sgpr_count:     52
    .sgpr_spill_count: 0
    .symbol:         _Z39paged_attention_ll4mi_QKV_mfma16_kernelI14__hip_bfloat16S0_LN4vllm18Fp8KVCacheDataTypeE0EhLi16ELi128ELi256ELb1ELi8EL8MFMAType0EEvPKT_PKT0_S9_ifPKiSB_SB_iPKfiiiPfSE_PS4_PT2_iSD_SD_.kd
    .uniform_work_group_size: 1
    .uses_dynamic_stack: false
    .vgpr_count:     218
    .vgpr_spill_count: 0
    .wavefront_size: 32
    .workgroup_processor_mode: 1
  - .args:
      - .actual_access:  read_only
        .address_space:  global
        .offset:         0
        .size:           8
        .value_kind:     global_buffer
      - .actual_access:  read_only
        .address_space:  global
        .offset:         8
        .size:           8
        .value_kind:     global_buffer
      - .actual_access:  read_only
        .address_space:  global
        .offset:         16
        .size:           8
        .value_kind:     global_buffer
      - .offset:         24
        .size:           4
        .value_kind:     by_value
      - .offset:         28
        .size:           4
        .value_kind:     by_value
      - .actual_access:  read_only
        .address_space:  global
        .offset:         32
        .size:           8
        .value_kind:     global_buffer
      - .actual_access:  read_only
        .address_space:  global
        .offset:         40
        .size:           8
        .value_kind:     global_buffer
      - .actual_access:  read_only
        .address_space:  global
        .offset:         48
        .size:           8
        .value_kind:     global_buffer
      - .offset:         56
        .size:           4
        .value_kind:     by_value
      - .actual_access:  read_only
        .address_space:  global
        .offset:         64
        .size:           8
        .value_kind:     global_buffer
      - .offset:         72
        .size:           4
        .value_kind:     by_value
      - .offset:         76
        .size:           4
        .value_kind:     by_value
      - .offset:         80
        .size:           4
        .value_kind:     by_value
      - .actual_access:  write_only
        .address_space:  global
        .offset:         88
        .size:           8
        .value_kind:     global_buffer
      - .actual_access:  write_only
        .address_space:  global
        .offset:         96
        .size:           8
        .value_kind:     global_buffer
      - .actual_access:  write_only
        .address_space:  global
        .offset:         104
        .size:           8
        .value_kind:     global_buffer
      - .actual_access:  read_only
        .address_space:  global
        .offset:         112
        .size:           8
        .value_kind:     global_buffer
      - .offset:         120
        .size:           4
        .value_kind:     by_value
      - .address_space:  global
        .offset:         128
        .size:           8
        .value_kind:     global_buffer
      - .address_space:  global
        .offset:         136
        .size:           8
        .value_kind:     global_buffer
      - .offset:         144
        .size:           4
        .value_kind:     hidden_block_count_x
      - .offset:         148
        .size:           4
        .value_kind:     hidden_block_count_y
      - .offset:         152
        .size:           4
        .value_kind:     hidden_block_count_z
      - .offset:         156
        .size:           2
        .value_kind:     hidden_group_size_x
      - .offset:         158
        .size:           2
        .value_kind:     hidden_group_size_y
      - .offset:         160
        .size:           2
        .value_kind:     hidden_group_size_z
      - .offset:         162
        .size:           2
        .value_kind:     hidden_remainder_x
      - .offset:         164
        .size:           2
        .value_kind:     hidden_remainder_y
      - .offset:         166
        .size:           2
        .value_kind:     hidden_remainder_z
      - .offset:         184
        .size:           8
        .value_kind:     hidden_global_offset_x
      - .offset:         192
        .size:           8
        .value_kind:     hidden_global_offset_y
      - .offset:         200
        .size:           8
        .value_kind:     hidden_global_offset_z
      - .offset:         208
        .size:           2
        .value_kind:     hidden_grid_dims
    .group_segment_fixed_size: 17472
    .kernarg_segment_align: 8
    .kernarg_segment_size: 400
    .language:       OpenCL C
    .language_version:
      - 2
      - 0
    .max_flat_workgroup_size: 256
    .name:           _Z39paged_attention_ll4mi_QKV_mfma16_kernelI14__hip_bfloat16S0_LN4vllm18Fp8KVCacheDataTypeE0EhLi16ELi128ELi256ELb1ELi9EL8MFMAType0EEvPKT_PKT0_S9_ifPKiSB_SB_iPKfiiiPfSE_PS4_PT2_iSD_SD_
    .private_segment_fixed_size: 0
    .sgpr_count:     52
    .sgpr_spill_count: 0
    .symbol:         _Z39paged_attention_ll4mi_QKV_mfma16_kernelI14__hip_bfloat16S0_LN4vllm18Fp8KVCacheDataTypeE0EhLi16ELi128ELi256ELb1ELi9EL8MFMAType0EEvPKT_PKT0_S9_ifPKiSB_SB_iPKfiiiPfSE_PS4_PT2_iSD_SD_.kd
    .uniform_work_group_size: 1
    .uses_dynamic_stack: false
    .vgpr_count:     218
    .vgpr_spill_count: 0
    .wavefront_size: 32
    .workgroup_processor_mode: 1
  - .args:
      - .actual_access:  read_only
        .address_space:  global
        .offset:         0
        .size:           8
        .value_kind:     global_buffer
      - .actual_access:  read_only
        .address_space:  global
        .offset:         8
        .size:           8
        .value_kind:     global_buffer
      - .actual_access:  read_only
        .address_space:  global
        .offset:         16
        .size:           8
        .value_kind:     global_buffer
      - .offset:         24
        .size:           4
        .value_kind:     by_value
      - .offset:         28
        .size:           4
        .value_kind:     by_value
      - .actual_access:  read_only
        .address_space:  global
        .offset:         32
        .size:           8
        .value_kind:     global_buffer
      - .actual_access:  read_only
        .address_space:  global
        .offset:         40
        .size:           8
        .value_kind:     global_buffer
      - .actual_access:  read_only
        .address_space:  global
        .offset:         48
        .size:           8
        .value_kind:     global_buffer
      - .offset:         56
        .size:           4
        .value_kind:     by_value
      - .actual_access:  read_only
        .address_space:  global
        .offset:         64
        .size:           8
        .value_kind:     global_buffer
      - .offset:         72
        .size:           4
        .value_kind:     by_value
      - .offset:         76
        .size:           4
        .value_kind:     by_value
      - .offset:         80
        .size:           4
        .value_kind:     by_value
      - .actual_access:  write_only
        .address_space:  global
        .offset:         88
        .size:           8
        .value_kind:     global_buffer
      - .actual_access:  write_only
        .address_space:  global
        .offset:         96
        .size:           8
        .value_kind:     global_buffer
      - .actual_access:  write_only
        .address_space:  global
        .offset:         104
        .size:           8
        .value_kind:     global_buffer
      - .actual_access:  read_only
        .address_space:  global
        .offset:         112
        .size:           8
        .value_kind:     global_buffer
      - .offset:         120
        .size:           4
        .value_kind:     by_value
      - .address_space:  global
        .offset:         128
        .size:           8
        .value_kind:     global_buffer
      - .address_space:  global
        .offset:         136
        .size:           8
        .value_kind:     global_buffer
      - .offset:         144
        .size:           4
        .value_kind:     hidden_block_count_x
      - .offset:         148
        .size:           4
        .value_kind:     hidden_block_count_y
      - .offset:         152
        .size:           4
        .value_kind:     hidden_block_count_z
      - .offset:         156
        .size:           2
        .value_kind:     hidden_group_size_x
      - .offset:         158
        .size:           2
        .value_kind:     hidden_group_size_y
      - .offset:         160
        .size:           2
        .value_kind:     hidden_group_size_z
      - .offset:         162
        .size:           2
        .value_kind:     hidden_remainder_x
      - .offset:         164
        .size:           2
        .value_kind:     hidden_remainder_y
      - .offset:         166
        .size:           2
        .value_kind:     hidden_remainder_z
      - .offset:         184
        .size:           8
        .value_kind:     hidden_global_offset_x
      - .offset:         192
        .size:           8
        .value_kind:     hidden_global_offset_y
      - .offset:         200
        .size:           8
        .value_kind:     hidden_global_offset_z
      - .offset:         208
        .size:           2
        .value_kind:     hidden_grid_dims
    .group_segment_fixed_size: 17472
    .kernarg_segment_align: 8
    .kernarg_segment_size: 400
    .language:       OpenCL C
    .language_version:
      - 2
      - 0
    .max_flat_workgroup_size: 256
    .name:           _Z39paged_attention_ll4mi_QKV_mfma16_kernelI14__hip_bfloat16S0_LN4vllm18Fp8KVCacheDataTypeE0EhLi16ELi128ELi256ELb1ELi10EL8MFMAType0EEvPKT_PKT0_S9_ifPKiSB_SB_iPKfiiiPfSE_PS4_PT2_iSD_SD_
    .private_segment_fixed_size: 0
    .sgpr_count:     52
    .sgpr_spill_count: 0
    .symbol:         _Z39paged_attention_ll4mi_QKV_mfma16_kernelI14__hip_bfloat16S0_LN4vllm18Fp8KVCacheDataTypeE0EhLi16ELi128ELi256ELb1ELi10EL8MFMAType0EEvPKT_PKT0_S9_ifPKiSB_SB_iPKfiiiPfSE_PS4_PT2_iSD_SD_.kd
    .uniform_work_group_size: 1
    .uses_dynamic_stack: false
    .vgpr_count:     218
    .vgpr_spill_count: 0
    .wavefront_size: 32
    .workgroup_processor_mode: 1
  - .args:
      - .actual_access:  read_only
        .address_space:  global
        .offset:         0
        .size:           8
        .value_kind:     global_buffer
      - .actual_access:  read_only
        .address_space:  global
        .offset:         8
        .size:           8
        .value_kind:     global_buffer
      - .actual_access:  read_only
        .address_space:  global
        .offset:         16
        .size:           8
        .value_kind:     global_buffer
      - .offset:         24
        .size:           4
        .value_kind:     by_value
      - .offset:         28
        .size:           4
        .value_kind:     by_value
      - .actual_access:  read_only
        .address_space:  global
        .offset:         32
        .size:           8
        .value_kind:     global_buffer
      - .actual_access:  read_only
        .address_space:  global
        .offset:         40
        .size:           8
        .value_kind:     global_buffer
      - .actual_access:  read_only
        .address_space:  global
        .offset:         48
        .size:           8
        .value_kind:     global_buffer
      - .offset:         56
        .size:           4
        .value_kind:     by_value
      - .actual_access:  read_only
        .address_space:  global
        .offset:         64
        .size:           8
        .value_kind:     global_buffer
      - .offset:         72
        .size:           4
        .value_kind:     by_value
      - .offset:         76
        .size:           4
        .value_kind:     by_value
      - .offset:         80
        .size:           4
        .value_kind:     by_value
      - .actual_access:  write_only
        .address_space:  global
        .offset:         88
        .size:           8
        .value_kind:     global_buffer
      - .actual_access:  write_only
        .address_space:  global
        .offset:         96
        .size:           8
        .value_kind:     global_buffer
      - .actual_access:  write_only
        .address_space:  global
        .offset:         104
        .size:           8
        .value_kind:     global_buffer
      - .actual_access:  read_only
        .address_space:  global
        .offset:         112
        .size:           8
        .value_kind:     global_buffer
      - .offset:         120
        .size:           4
        .value_kind:     by_value
      - .address_space:  global
        .offset:         128
        .size:           8
        .value_kind:     global_buffer
      - .address_space:  global
        .offset:         136
        .size:           8
        .value_kind:     global_buffer
      - .offset:         144
        .size:           4
        .value_kind:     hidden_block_count_x
      - .offset:         148
        .size:           4
        .value_kind:     hidden_block_count_y
      - .offset:         152
        .size:           4
        .value_kind:     hidden_block_count_z
      - .offset:         156
        .size:           2
        .value_kind:     hidden_group_size_x
      - .offset:         158
        .size:           2
        .value_kind:     hidden_group_size_y
      - .offset:         160
        .size:           2
        .value_kind:     hidden_group_size_z
      - .offset:         162
        .size:           2
        .value_kind:     hidden_remainder_x
      - .offset:         164
        .size:           2
        .value_kind:     hidden_remainder_y
      - .offset:         166
        .size:           2
        .value_kind:     hidden_remainder_z
      - .offset:         184
        .size:           8
        .value_kind:     hidden_global_offset_x
      - .offset:         192
        .size:           8
        .value_kind:     hidden_global_offset_y
      - .offset:         200
        .size:           8
        .value_kind:     hidden_global_offset_z
      - .offset:         208
        .size:           2
        .value_kind:     hidden_grid_dims
    .group_segment_fixed_size: 17472
    .kernarg_segment_align: 8
    .kernarg_segment_size: 400
    .language:       OpenCL C
    .language_version:
      - 2
      - 0
    .max_flat_workgroup_size: 256
    .name:           _Z39paged_attention_ll4mi_QKV_mfma16_kernelI14__hip_bfloat16S0_LN4vllm18Fp8KVCacheDataTypeE0EhLi16ELi128ELi256ELb1ELi11EL8MFMAType0EEvPKT_PKT0_S9_ifPKiSB_SB_iPKfiiiPfSE_PS4_PT2_iSD_SD_
    .private_segment_fixed_size: 0
    .sgpr_count:     52
    .sgpr_spill_count: 0
    .symbol:         _Z39paged_attention_ll4mi_QKV_mfma16_kernelI14__hip_bfloat16S0_LN4vllm18Fp8KVCacheDataTypeE0EhLi16ELi128ELi256ELb1ELi11EL8MFMAType0EEvPKT_PKT0_S9_ifPKiSB_SB_iPKfiiiPfSE_PS4_PT2_iSD_SD_.kd
    .uniform_work_group_size: 1
    .uses_dynamic_stack: false
    .vgpr_count:     218
    .vgpr_spill_count: 0
    .wavefront_size: 32
    .workgroup_processor_mode: 1
  - .args:
      - .actual_access:  read_only
        .address_space:  global
        .offset:         0
        .size:           8
        .value_kind:     global_buffer
      - .actual_access:  read_only
        .address_space:  global
        .offset:         8
        .size:           8
        .value_kind:     global_buffer
      - .actual_access:  read_only
        .address_space:  global
        .offset:         16
        .size:           8
        .value_kind:     global_buffer
      - .offset:         24
        .size:           4
        .value_kind:     by_value
      - .offset:         28
        .size:           4
        .value_kind:     by_value
      - .actual_access:  read_only
        .address_space:  global
        .offset:         32
        .size:           8
        .value_kind:     global_buffer
      - .actual_access:  read_only
        .address_space:  global
        .offset:         40
        .size:           8
        .value_kind:     global_buffer
      - .actual_access:  read_only
        .address_space:  global
        .offset:         48
        .size:           8
        .value_kind:     global_buffer
      - .offset:         56
        .size:           4
        .value_kind:     by_value
      - .actual_access:  read_only
        .address_space:  global
        .offset:         64
        .size:           8
        .value_kind:     global_buffer
      - .offset:         72
        .size:           4
        .value_kind:     by_value
      - .offset:         76
        .size:           4
        .value_kind:     by_value
      - .offset:         80
        .size:           4
        .value_kind:     by_value
      - .actual_access:  write_only
        .address_space:  global
        .offset:         88
        .size:           8
        .value_kind:     global_buffer
      - .actual_access:  write_only
        .address_space:  global
        .offset:         96
        .size:           8
        .value_kind:     global_buffer
      - .actual_access:  write_only
        .address_space:  global
        .offset:         104
        .size:           8
        .value_kind:     global_buffer
      - .actual_access:  read_only
        .address_space:  global
        .offset:         112
        .size:           8
        .value_kind:     global_buffer
      - .offset:         120
        .size:           4
        .value_kind:     by_value
      - .address_space:  global
        .offset:         128
        .size:           8
        .value_kind:     global_buffer
      - .address_space:  global
        .offset:         136
        .size:           8
        .value_kind:     global_buffer
      - .offset:         144
        .size:           4
        .value_kind:     hidden_block_count_x
      - .offset:         148
        .size:           4
        .value_kind:     hidden_block_count_y
      - .offset:         152
        .size:           4
        .value_kind:     hidden_block_count_z
      - .offset:         156
        .size:           2
        .value_kind:     hidden_group_size_x
      - .offset:         158
        .size:           2
        .value_kind:     hidden_group_size_y
      - .offset:         160
        .size:           2
        .value_kind:     hidden_group_size_z
      - .offset:         162
        .size:           2
        .value_kind:     hidden_remainder_x
      - .offset:         164
        .size:           2
        .value_kind:     hidden_remainder_y
      - .offset:         166
        .size:           2
        .value_kind:     hidden_remainder_z
      - .offset:         184
        .size:           8
        .value_kind:     hidden_global_offset_x
      - .offset:         192
        .size:           8
        .value_kind:     hidden_global_offset_y
      - .offset:         200
        .size:           8
        .value_kind:     hidden_global_offset_z
      - .offset:         208
        .size:           2
        .value_kind:     hidden_grid_dims
    .group_segment_fixed_size: 17472
    .kernarg_segment_align: 8
    .kernarg_segment_size: 400
    .language:       OpenCL C
    .language_version:
      - 2
      - 0
    .max_flat_workgroup_size: 256
    .name:           _Z39paged_attention_ll4mi_QKV_mfma16_kernelI14__hip_bfloat16S0_LN4vllm18Fp8KVCacheDataTypeE0EhLi16ELi128ELi256ELb1ELi12EL8MFMAType0EEvPKT_PKT0_S9_ifPKiSB_SB_iPKfiiiPfSE_PS4_PT2_iSD_SD_
    .private_segment_fixed_size: 0
    .sgpr_count:     52
    .sgpr_spill_count: 0
    .symbol:         _Z39paged_attention_ll4mi_QKV_mfma16_kernelI14__hip_bfloat16S0_LN4vllm18Fp8KVCacheDataTypeE0EhLi16ELi128ELi256ELb1ELi12EL8MFMAType0EEvPKT_PKT0_S9_ifPKiSB_SB_iPKfiiiPfSE_PS4_PT2_iSD_SD_.kd
    .uniform_work_group_size: 1
    .uses_dynamic_stack: false
    .vgpr_count:     218
    .vgpr_spill_count: 0
    .wavefront_size: 32
    .workgroup_processor_mode: 1
  - .args:
      - .actual_access:  read_only
        .address_space:  global
        .offset:         0
        .size:           8
        .value_kind:     global_buffer
      - .actual_access:  read_only
        .address_space:  global
        .offset:         8
        .size:           8
        .value_kind:     global_buffer
      - .actual_access:  read_only
        .address_space:  global
        .offset:         16
        .size:           8
        .value_kind:     global_buffer
      - .offset:         24
        .size:           4
        .value_kind:     by_value
      - .offset:         28
        .size:           4
        .value_kind:     by_value
      - .actual_access:  read_only
        .address_space:  global
        .offset:         32
        .size:           8
        .value_kind:     global_buffer
      - .actual_access:  read_only
        .address_space:  global
        .offset:         40
        .size:           8
        .value_kind:     global_buffer
      - .actual_access:  read_only
        .address_space:  global
        .offset:         48
        .size:           8
        .value_kind:     global_buffer
      - .offset:         56
        .size:           4
        .value_kind:     by_value
      - .actual_access:  read_only
        .address_space:  global
        .offset:         64
        .size:           8
        .value_kind:     global_buffer
      - .offset:         72
        .size:           4
        .value_kind:     by_value
      - .offset:         76
        .size:           4
        .value_kind:     by_value
      - .offset:         80
        .size:           4
        .value_kind:     by_value
      - .actual_access:  write_only
        .address_space:  global
        .offset:         88
        .size:           8
        .value_kind:     global_buffer
      - .actual_access:  write_only
        .address_space:  global
        .offset:         96
        .size:           8
        .value_kind:     global_buffer
      - .actual_access:  write_only
        .address_space:  global
        .offset:         104
        .size:           8
        .value_kind:     global_buffer
      - .actual_access:  read_only
        .address_space:  global
        .offset:         112
        .size:           8
        .value_kind:     global_buffer
      - .offset:         120
        .size:           4
        .value_kind:     by_value
      - .address_space:  global
        .offset:         128
        .size:           8
        .value_kind:     global_buffer
      - .address_space:  global
        .offset:         136
        .size:           8
        .value_kind:     global_buffer
      - .offset:         144
        .size:           4
        .value_kind:     hidden_block_count_x
      - .offset:         148
        .size:           4
        .value_kind:     hidden_block_count_y
      - .offset:         152
        .size:           4
        .value_kind:     hidden_block_count_z
      - .offset:         156
        .size:           2
        .value_kind:     hidden_group_size_x
      - .offset:         158
        .size:           2
        .value_kind:     hidden_group_size_y
      - .offset:         160
        .size:           2
        .value_kind:     hidden_group_size_z
      - .offset:         162
        .size:           2
        .value_kind:     hidden_remainder_x
      - .offset:         164
        .size:           2
        .value_kind:     hidden_remainder_y
      - .offset:         166
        .size:           2
        .value_kind:     hidden_remainder_z
      - .offset:         184
        .size:           8
        .value_kind:     hidden_global_offset_x
      - .offset:         192
        .size:           8
        .value_kind:     hidden_global_offset_y
      - .offset:         200
        .size:           8
        .value_kind:     hidden_global_offset_z
      - .offset:         208
        .size:           2
        .value_kind:     hidden_grid_dims
    .group_segment_fixed_size: 17472
    .kernarg_segment_align: 8
    .kernarg_segment_size: 400
    .language:       OpenCL C
    .language_version:
      - 2
      - 0
    .max_flat_workgroup_size: 256
    .name:           _Z39paged_attention_ll4mi_QKV_mfma16_kernelI14__hip_bfloat16S0_LN4vllm18Fp8KVCacheDataTypeE0EhLi16ELi128ELi256ELb1ELi13EL8MFMAType0EEvPKT_PKT0_S9_ifPKiSB_SB_iPKfiiiPfSE_PS4_PT2_iSD_SD_
    .private_segment_fixed_size: 0
    .sgpr_count:     52
    .sgpr_spill_count: 0
    .symbol:         _Z39paged_attention_ll4mi_QKV_mfma16_kernelI14__hip_bfloat16S0_LN4vllm18Fp8KVCacheDataTypeE0EhLi16ELi128ELi256ELb1ELi13EL8MFMAType0EEvPKT_PKT0_S9_ifPKiSB_SB_iPKfiiiPfSE_PS4_PT2_iSD_SD_.kd
    .uniform_work_group_size: 1
    .uses_dynamic_stack: false
    .vgpr_count:     218
    .vgpr_spill_count: 0
    .wavefront_size: 32
    .workgroup_processor_mode: 1
  - .args:
      - .actual_access:  read_only
        .address_space:  global
        .offset:         0
        .size:           8
        .value_kind:     global_buffer
      - .actual_access:  read_only
        .address_space:  global
        .offset:         8
        .size:           8
        .value_kind:     global_buffer
      - .actual_access:  read_only
        .address_space:  global
        .offset:         16
        .size:           8
        .value_kind:     global_buffer
      - .offset:         24
        .size:           4
        .value_kind:     by_value
      - .offset:         28
        .size:           4
        .value_kind:     by_value
      - .actual_access:  read_only
        .address_space:  global
        .offset:         32
        .size:           8
        .value_kind:     global_buffer
      - .actual_access:  read_only
        .address_space:  global
        .offset:         40
        .size:           8
        .value_kind:     global_buffer
      - .actual_access:  read_only
        .address_space:  global
        .offset:         48
        .size:           8
        .value_kind:     global_buffer
      - .offset:         56
        .size:           4
        .value_kind:     by_value
      - .actual_access:  read_only
        .address_space:  global
        .offset:         64
        .size:           8
        .value_kind:     global_buffer
      - .offset:         72
        .size:           4
        .value_kind:     by_value
      - .offset:         76
        .size:           4
        .value_kind:     by_value
      - .offset:         80
        .size:           4
        .value_kind:     by_value
      - .actual_access:  write_only
        .address_space:  global
        .offset:         88
        .size:           8
        .value_kind:     global_buffer
      - .actual_access:  write_only
        .address_space:  global
        .offset:         96
        .size:           8
        .value_kind:     global_buffer
      - .actual_access:  write_only
        .address_space:  global
        .offset:         104
        .size:           8
        .value_kind:     global_buffer
      - .actual_access:  read_only
        .address_space:  global
        .offset:         112
        .size:           8
        .value_kind:     global_buffer
      - .offset:         120
        .size:           4
        .value_kind:     by_value
      - .address_space:  global
        .offset:         128
        .size:           8
        .value_kind:     global_buffer
      - .address_space:  global
        .offset:         136
        .size:           8
        .value_kind:     global_buffer
      - .offset:         144
        .size:           4
        .value_kind:     hidden_block_count_x
      - .offset:         148
        .size:           4
        .value_kind:     hidden_block_count_y
      - .offset:         152
        .size:           4
        .value_kind:     hidden_block_count_z
      - .offset:         156
        .size:           2
        .value_kind:     hidden_group_size_x
      - .offset:         158
        .size:           2
        .value_kind:     hidden_group_size_y
      - .offset:         160
        .size:           2
        .value_kind:     hidden_group_size_z
      - .offset:         162
        .size:           2
        .value_kind:     hidden_remainder_x
      - .offset:         164
        .size:           2
        .value_kind:     hidden_remainder_y
      - .offset:         166
        .size:           2
        .value_kind:     hidden_remainder_z
      - .offset:         184
        .size:           8
        .value_kind:     hidden_global_offset_x
      - .offset:         192
        .size:           8
        .value_kind:     hidden_global_offset_y
      - .offset:         200
        .size:           8
        .value_kind:     hidden_global_offset_z
      - .offset:         208
        .size:           2
        .value_kind:     hidden_grid_dims
    .group_segment_fixed_size: 17472
    .kernarg_segment_align: 8
    .kernarg_segment_size: 400
    .language:       OpenCL C
    .language_version:
      - 2
      - 0
    .max_flat_workgroup_size: 256
    .name:           _Z39paged_attention_ll4mi_QKV_mfma16_kernelI14__hip_bfloat16S0_LN4vllm18Fp8KVCacheDataTypeE0EhLi16ELi128ELi256ELb1ELi14EL8MFMAType0EEvPKT_PKT0_S9_ifPKiSB_SB_iPKfiiiPfSE_PS4_PT2_iSD_SD_
    .private_segment_fixed_size: 0
    .sgpr_count:     52
    .sgpr_spill_count: 0
    .symbol:         _Z39paged_attention_ll4mi_QKV_mfma16_kernelI14__hip_bfloat16S0_LN4vllm18Fp8KVCacheDataTypeE0EhLi16ELi128ELi256ELb1ELi14EL8MFMAType0EEvPKT_PKT0_S9_ifPKiSB_SB_iPKfiiiPfSE_PS4_PT2_iSD_SD_.kd
    .uniform_work_group_size: 1
    .uses_dynamic_stack: false
    .vgpr_count:     218
    .vgpr_spill_count: 0
    .wavefront_size: 32
    .workgroup_processor_mode: 1
  - .args:
      - .actual_access:  read_only
        .address_space:  global
        .offset:         0
        .size:           8
        .value_kind:     global_buffer
      - .actual_access:  read_only
        .address_space:  global
        .offset:         8
        .size:           8
        .value_kind:     global_buffer
      - .actual_access:  read_only
        .address_space:  global
        .offset:         16
        .size:           8
        .value_kind:     global_buffer
      - .offset:         24
        .size:           4
        .value_kind:     by_value
      - .offset:         28
        .size:           4
        .value_kind:     by_value
      - .actual_access:  read_only
        .address_space:  global
        .offset:         32
        .size:           8
        .value_kind:     global_buffer
      - .actual_access:  read_only
        .address_space:  global
        .offset:         40
        .size:           8
        .value_kind:     global_buffer
      - .actual_access:  read_only
        .address_space:  global
        .offset:         48
        .size:           8
        .value_kind:     global_buffer
      - .offset:         56
        .size:           4
        .value_kind:     by_value
      - .actual_access:  read_only
        .address_space:  global
        .offset:         64
        .size:           8
        .value_kind:     global_buffer
      - .offset:         72
        .size:           4
        .value_kind:     by_value
      - .offset:         76
        .size:           4
        .value_kind:     by_value
      - .offset:         80
        .size:           4
        .value_kind:     by_value
      - .actual_access:  write_only
        .address_space:  global
        .offset:         88
        .size:           8
        .value_kind:     global_buffer
      - .actual_access:  write_only
        .address_space:  global
        .offset:         96
        .size:           8
        .value_kind:     global_buffer
      - .actual_access:  write_only
        .address_space:  global
        .offset:         104
        .size:           8
        .value_kind:     global_buffer
      - .actual_access:  read_only
        .address_space:  global
        .offset:         112
        .size:           8
        .value_kind:     global_buffer
      - .offset:         120
        .size:           4
        .value_kind:     by_value
      - .address_space:  global
        .offset:         128
        .size:           8
        .value_kind:     global_buffer
      - .address_space:  global
        .offset:         136
        .size:           8
        .value_kind:     global_buffer
      - .offset:         144
        .size:           4
        .value_kind:     hidden_block_count_x
      - .offset:         148
        .size:           4
        .value_kind:     hidden_block_count_y
      - .offset:         152
        .size:           4
        .value_kind:     hidden_block_count_z
      - .offset:         156
        .size:           2
        .value_kind:     hidden_group_size_x
      - .offset:         158
        .size:           2
        .value_kind:     hidden_group_size_y
      - .offset:         160
        .size:           2
        .value_kind:     hidden_group_size_z
      - .offset:         162
        .size:           2
        .value_kind:     hidden_remainder_x
      - .offset:         164
        .size:           2
        .value_kind:     hidden_remainder_y
      - .offset:         166
        .size:           2
        .value_kind:     hidden_remainder_z
      - .offset:         184
        .size:           8
        .value_kind:     hidden_global_offset_x
      - .offset:         192
        .size:           8
        .value_kind:     hidden_global_offset_y
      - .offset:         200
        .size:           8
        .value_kind:     hidden_global_offset_z
      - .offset:         208
        .size:           2
        .value_kind:     hidden_grid_dims
    .group_segment_fixed_size: 17472
    .kernarg_segment_align: 8
    .kernarg_segment_size: 400
    .language:       OpenCL C
    .language_version:
      - 2
      - 0
    .max_flat_workgroup_size: 256
    .name:           _Z39paged_attention_ll4mi_QKV_mfma16_kernelI14__hip_bfloat16S0_LN4vllm18Fp8KVCacheDataTypeE0EhLi16ELi128ELi256ELb1ELi15EL8MFMAType0EEvPKT_PKT0_S9_ifPKiSB_SB_iPKfiiiPfSE_PS4_PT2_iSD_SD_
    .private_segment_fixed_size: 0
    .sgpr_count:     52
    .sgpr_spill_count: 0
    .symbol:         _Z39paged_attention_ll4mi_QKV_mfma16_kernelI14__hip_bfloat16S0_LN4vllm18Fp8KVCacheDataTypeE0EhLi16ELi128ELi256ELb1ELi15EL8MFMAType0EEvPKT_PKT0_S9_ifPKiSB_SB_iPKfiiiPfSE_PS4_PT2_iSD_SD_.kd
    .uniform_work_group_size: 1
    .uses_dynamic_stack: false
    .vgpr_count:     218
    .vgpr_spill_count: 0
    .wavefront_size: 32
    .workgroup_processor_mode: 1
  - .args:
      - .actual_access:  read_only
        .address_space:  global
        .offset:         0
        .size:           8
        .value_kind:     global_buffer
      - .actual_access:  read_only
        .address_space:  global
        .offset:         8
        .size:           8
        .value_kind:     global_buffer
      - .actual_access:  read_only
        .address_space:  global
        .offset:         16
        .size:           8
        .value_kind:     global_buffer
      - .offset:         24
        .size:           4
        .value_kind:     by_value
      - .offset:         28
        .size:           4
        .value_kind:     by_value
      - .actual_access:  read_only
        .address_space:  global
        .offset:         32
        .size:           8
        .value_kind:     global_buffer
      - .actual_access:  read_only
        .address_space:  global
        .offset:         40
        .size:           8
        .value_kind:     global_buffer
      - .actual_access:  read_only
        .address_space:  global
        .offset:         48
        .size:           8
        .value_kind:     global_buffer
      - .offset:         56
        .size:           4
        .value_kind:     by_value
      - .actual_access:  read_only
        .address_space:  global
        .offset:         64
        .size:           8
        .value_kind:     global_buffer
      - .offset:         72
        .size:           4
        .value_kind:     by_value
      - .offset:         76
        .size:           4
        .value_kind:     by_value
      - .offset:         80
        .size:           4
        .value_kind:     by_value
      - .actual_access:  write_only
        .address_space:  global
        .offset:         88
        .size:           8
        .value_kind:     global_buffer
      - .actual_access:  write_only
        .address_space:  global
        .offset:         96
        .size:           8
        .value_kind:     global_buffer
      - .actual_access:  write_only
        .address_space:  global
        .offset:         104
        .size:           8
        .value_kind:     global_buffer
      - .actual_access:  read_only
        .address_space:  global
        .offset:         112
        .size:           8
        .value_kind:     global_buffer
      - .offset:         120
        .size:           4
        .value_kind:     by_value
      - .address_space:  global
        .offset:         128
        .size:           8
        .value_kind:     global_buffer
      - .address_space:  global
        .offset:         136
        .size:           8
        .value_kind:     global_buffer
      - .offset:         144
        .size:           4
        .value_kind:     hidden_block_count_x
      - .offset:         148
        .size:           4
        .value_kind:     hidden_block_count_y
      - .offset:         152
        .size:           4
        .value_kind:     hidden_block_count_z
      - .offset:         156
        .size:           2
        .value_kind:     hidden_group_size_x
      - .offset:         158
        .size:           2
        .value_kind:     hidden_group_size_y
      - .offset:         160
        .size:           2
        .value_kind:     hidden_group_size_z
      - .offset:         162
        .size:           2
        .value_kind:     hidden_remainder_x
      - .offset:         164
        .size:           2
        .value_kind:     hidden_remainder_y
      - .offset:         166
        .size:           2
        .value_kind:     hidden_remainder_z
      - .offset:         184
        .size:           8
        .value_kind:     hidden_global_offset_x
      - .offset:         192
        .size:           8
        .value_kind:     hidden_global_offset_y
      - .offset:         200
        .size:           8
        .value_kind:     hidden_global_offset_z
      - .offset:         208
        .size:           2
        .value_kind:     hidden_grid_dims
    .group_segment_fixed_size: 17472
    .kernarg_segment_align: 8
    .kernarg_segment_size: 400
    .language:       OpenCL C
    .language_version:
      - 2
      - 0
    .max_flat_workgroup_size: 256
    .name:           _Z39paged_attention_ll4mi_QKV_mfma16_kernelI14__hip_bfloat16S0_LN4vllm18Fp8KVCacheDataTypeE0EhLi16ELi128ELi256ELb1ELi16EL8MFMAType0EEvPKT_PKT0_S9_ifPKiSB_SB_iPKfiiiPfSE_PS4_PT2_iSD_SD_
    .private_segment_fixed_size: 0
    .sgpr_count:     52
    .sgpr_spill_count: 0
    .symbol:         _Z39paged_attention_ll4mi_QKV_mfma16_kernelI14__hip_bfloat16S0_LN4vllm18Fp8KVCacheDataTypeE0EhLi16ELi128ELi256ELb1ELi16EL8MFMAType0EEvPKT_PKT0_S9_ifPKiSB_SB_iPKfiiiPfSE_PS4_PT2_iSD_SD_.kd
    .uniform_work_group_size: 1
    .uses_dynamic_stack: false
    .vgpr_count:     218
    .vgpr_spill_count: 0
    .wavefront_size: 32
    .workgroup_processor_mode: 1
  - .args:
      - .actual_access:  write_only
        .address_space:  global
        .offset:         0
        .size:           8
        .value_kind:     global_buffer
      - .actual_access:  read_only
        .address_space:  global
        .offset:         8
        .size:           8
        .value_kind:     global_buffer
      - .actual_access:  read_only
        .address_space:  global
        .offset:         16
        .size:           8
        .value_kind:     global_buffer
      - .actual_access:  read_only
        .address_space:  global
        .offset:         24
        .size:           8
        .value_kind:     global_buffer
      - .actual_access:  read_only
        .address_space:  global
        .offset:         32
        .size:           8
        .value_kind:     global_buffer
      - .actual_access:  read_only
        .address_space:  global
        .offset:         40
        .size:           8
        .value_kind:     global_buffer
      - .offset:         48
        .size:           4
        .value_kind:     by_value
      - .actual_access:  read_only
        .address_space:  global
        .offset:         56
        .size:           8
        .value_kind:     global_buffer
      - .offset:         64
        .size:           4
        .value_kind:     hidden_block_count_x
      - .offset:         68
        .size:           4
        .value_kind:     hidden_block_count_y
      - .offset:         72
        .size:           4
        .value_kind:     hidden_block_count_z
      - .offset:         76
        .size:           2
        .value_kind:     hidden_group_size_x
      - .offset:         78
        .size:           2
        .value_kind:     hidden_group_size_y
      - .offset:         80
        .size:           2
        .value_kind:     hidden_group_size_z
      - .offset:         82
        .size:           2
        .value_kind:     hidden_remainder_x
      - .offset:         84
        .size:           2
        .value_kind:     hidden_remainder_y
      - .offset:         86
        .size:           2
        .value_kind:     hidden_remainder_z
      - .offset:         104
        .size:           8
        .value_kind:     hidden_global_offset_x
      - .offset:         112
        .size:           8
        .value_kind:     hidden_global_offset_y
      - .offset:         120
        .size:           8
        .value_kind:     hidden_global_offset_z
      - .offset:         128
        .size:           2
        .value_kind:     hidden_grid_dims
    .group_segment_fixed_size: 132
    .kernarg_segment_align: 8
    .kernarg_segment_size: 320
    .language:       OpenCL C
    .language_version:
      - 2
      - 0
    .max_flat_workgroup_size: 128
    .name:           _Z35paged_attention_ll4mi_reduce_kernelI14__hip_bfloat16hLi128ELi128ELi256ELi1EEvPT0_PKfS4_PKT_PKiS9_iS4_
    .private_segment_fixed_size: 0
    .sgpr_count:     42
    .sgpr_spill_count: 0
    .symbol:         _Z35paged_attention_ll4mi_reduce_kernelI14__hip_bfloat16hLi128ELi128ELi256ELi1EEvPT0_PKfS4_PKT_PKiS9_iS4_.kd
    .uniform_work_group_size: 1
    .uses_dynamic_stack: false
    .vgpr_count:     50
    .vgpr_spill_count: 0
    .wavefront_size: 32
    .workgroup_processor_mode: 1
  - .args:
      - .actual_access:  write_only
        .address_space:  global
        .offset:         0
        .size:           8
        .value_kind:     global_buffer
      - .actual_access:  read_only
        .address_space:  global
        .offset:         8
        .size:           8
        .value_kind:     global_buffer
      - .actual_access:  read_only
        .address_space:  global
        .offset:         16
        .size:           8
        .value_kind:     global_buffer
      - .actual_access:  read_only
        .address_space:  global
        .offset:         24
        .size:           8
        .value_kind:     global_buffer
      - .actual_access:  read_only
        .address_space:  global
        .offset:         32
        .size:           8
        .value_kind:     global_buffer
      - .actual_access:  read_only
        .address_space:  global
        .offset:         40
        .size:           8
        .value_kind:     global_buffer
      - .offset:         48
        .size:           4
        .value_kind:     by_value
      - .actual_access:  read_only
        .address_space:  global
        .offset:         56
        .size:           8
        .value_kind:     global_buffer
      - .offset:         64
        .size:           4
        .value_kind:     hidden_block_count_x
      - .offset:         68
        .size:           4
        .value_kind:     hidden_block_count_y
      - .offset:         72
        .size:           4
        .value_kind:     hidden_block_count_z
      - .offset:         76
        .size:           2
        .value_kind:     hidden_group_size_x
      - .offset:         78
        .size:           2
        .value_kind:     hidden_group_size_y
      - .offset:         80
        .size:           2
        .value_kind:     hidden_group_size_z
      - .offset:         82
        .size:           2
        .value_kind:     hidden_remainder_x
      - .offset:         84
        .size:           2
        .value_kind:     hidden_remainder_y
      - .offset:         86
        .size:           2
        .value_kind:     hidden_remainder_z
      - .offset:         104
        .size:           8
        .value_kind:     hidden_global_offset_x
      - .offset:         112
        .size:           8
        .value_kind:     hidden_global_offset_y
      - .offset:         120
        .size:           8
        .value_kind:     hidden_global_offset_z
      - .offset:         128
        .size:           2
        .value_kind:     hidden_grid_dims
    .group_segment_fixed_size: 260
    .kernarg_segment_align: 8
    .kernarg_segment_size: 320
    .language:       OpenCL C
    .language_version:
      - 2
      - 0
    .max_flat_workgroup_size: 128
    .name:           _Z35paged_attention_ll4mi_reduce_kernelI14__hip_bfloat16hLi128ELi128ELi256ELi2EEvPT0_PKfS4_PKT_PKiS9_iS4_
    .private_segment_fixed_size: 0
    .sgpr_count:     56
    .sgpr_spill_count: 0
    .symbol:         _Z35paged_attention_ll4mi_reduce_kernelI14__hip_bfloat16hLi128ELi128ELi256ELi2EEvPT0_PKfS4_PKT_PKiS9_iS4_.kd
    .uniform_work_group_size: 1
    .uses_dynamic_stack: false
    .vgpr_count:     52
    .vgpr_spill_count: 0
    .wavefront_size: 32
    .workgroup_processor_mode: 1
  - .args:
      - .actual_access:  write_only
        .address_space:  global
        .offset:         0
        .size:           8
        .value_kind:     global_buffer
      - .actual_access:  read_only
        .address_space:  global
        .offset:         8
        .size:           8
        .value_kind:     global_buffer
      - .actual_access:  read_only
        .address_space:  global
        .offset:         16
        .size:           8
        .value_kind:     global_buffer
      - .actual_access:  read_only
        .address_space:  global
        .offset:         24
        .size:           8
        .value_kind:     global_buffer
      - .actual_access:  read_only
        .address_space:  global
        .offset:         32
        .size:           8
        .value_kind:     global_buffer
      - .actual_access:  read_only
        .address_space:  global
        .offset:         40
        .size:           8
        .value_kind:     global_buffer
      - .offset:         48
        .size:           4
        .value_kind:     by_value
      - .actual_access:  read_only
        .address_space:  global
        .offset:         56
        .size:           8
        .value_kind:     global_buffer
      - .offset:         64
        .size:           4
        .value_kind:     hidden_block_count_x
      - .offset:         68
        .size:           4
        .value_kind:     hidden_block_count_y
      - .offset:         72
        .size:           4
        .value_kind:     hidden_block_count_z
      - .offset:         76
        .size:           2
        .value_kind:     hidden_group_size_x
      - .offset:         78
        .size:           2
        .value_kind:     hidden_group_size_y
      - .offset:         80
        .size:           2
        .value_kind:     hidden_group_size_z
      - .offset:         82
        .size:           2
        .value_kind:     hidden_remainder_x
      - .offset:         84
        .size:           2
        .value_kind:     hidden_remainder_y
      - .offset:         86
        .size:           2
        .value_kind:     hidden_remainder_z
      - .offset:         104
        .size:           8
        .value_kind:     hidden_global_offset_x
      - .offset:         112
        .size:           8
        .value_kind:     hidden_global_offset_y
      - .offset:         120
        .size:           8
        .value_kind:     hidden_global_offset_z
      - .offset:         128
        .size:           2
        .value_kind:     hidden_grid_dims
    .group_segment_fixed_size: 388
    .kernarg_segment_align: 8
    .kernarg_segment_size: 320
    .language:       OpenCL C
    .language_version:
      - 2
      - 0
    .max_flat_workgroup_size: 128
    .name:           _Z35paged_attention_ll4mi_reduce_kernelI14__hip_bfloat16hLi128ELi128ELi256ELi3EEvPT0_PKfS4_PKT_PKiS9_iS4_
    .private_segment_fixed_size: 0
    .sgpr_count:     54
    .sgpr_spill_count: 0
    .symbol:         _Z35paged_attention_ll4mi_reduce_kernelI14__hip_bfloat16hLi128ELi128ELi256ELi3EEvPT0_PKfS4_PKT_PKiS9_iS4_.kd
    .uniform_work_group_size: 1
    .uses_dynamic_stack: false
    .vgpr_count:     52
    .vgpr_spill_count: 0
    .wavefront_size: 32
    .workgroup_processor_mode: 1
  - .args:
      - .actual_access:  write_only
        .address_space:  global
        .offset:         0
        .size:           8
        .value_kind:     global_buffer
      - .actual_access:  read_only
        .address_space:  global
        .offset:         8
        .size:           8
        .value_kind:     global_buffer
      - .actual_access:  read_only
        .address_space:  global
        .offset:         16
        .size:           8
        .value_kind:     global_buffer
      - .actual_access:  read_only
        .address_space:  global
        .offset:         24
        .size:           8
        .value_kind:     global_buffer
      - .actual_access:  read_only
        .address_space:  global
        .offset:         32
        .size:           8
        .value_kind:     global_buffer
      - .actual_access:  read_only
        .address_space:  global
        .offset:         40
        .size:           8
        .value_kind:     global_buffer
      - .offset:         48
        .size:           4
        .value_kind:     by_value
      - .actual_access:  read_only
        .address_space:  global
        .offset:         56
        .size:           8
        .value_kind:     global_buffer
      - .offset:         64
        .size:           4
        .value_kind:     hidden_block_count_x
      - .offset:         68
        .size:           4
        .value_kind:     hidden_block_count_y
      - .offset:         72
        .size:           4
        .value_kind:     hidden_block_count_z
      - .offset:         76
        .size:           2
        .value_kind:     hidden_group_size_x
      - .offset:         78
        .size:           2
        .value_kind:     hidden_group_size_y
      - .offset:         80
        .size:           2
        .value_kind:     hidden_group_size_z
      - .offset:         82
        .size:           2
        .value_kind:     hidden_remainder_x
      - .offset:         84
        .size:           2
        .value_kind:     hidden_remainder_y
      - .offset:         86
        .size:           2
        .value_kind:     hidden_remainder_z
      - .offset:         104
        .size:           8
        .value_kind:     hidden_global_offset_x
      - .offset:         112
        .size:           8
        .value_kind:     hidden_global_offset_y
      - .offset:         120
        .size:           8
        .value_kind:     hidden_global_offset_z
      - .offset:         128
        .size:           2
        .value_kind:     hidden_grid_dims
    .group_segment_fixed_size: 516
    .kernarg_segment_align: 8
    .kernarg_segment_size: 320
    .language:       OpenCL C
    .language_version:
      - 2
      - 0
    .max_flat_workgroup_size: 128
    .name:           _Z35paged_attention_ll4mi_reduce_kernelI14__hip_bfloat16hLi128ELi128ELi256ELi4EEvPT0_PKfS4_PKT_PKiS9_iS4_
    .private_segment_fixed_size: 0
    .sgpr_count:     54
    .sgpr_spill_count: 0
    .symbol:         _Z35paged_attention_ll4mi_reduce_kernelI14__hip_bfloat16hLi128ELi128ELi256ELi4EEvPT0_PKfS4_PKT_PKiS9_iS4_.kd
    .uniform_work_group_size: 1
    .uses_dynamic_stack: false
    .vgpr_count:     52
    .vgpr_spill_count: 0
    .wavefront_size: 32
    .workgroup_processor_mode: 1
  - .args:
      - .actual_access:  write_only
        .address_space:  global
        .offset:         0
        .size:           8
        .value_kind:     global_buffer
      - .actual_access:  read_only
        .address_space:  global
        .offset:         8
        .size:           8
        .value_kind:     global_buffer
      - .actual_access:  read_only
        .address_space:  global
        .offset:         16
        .size:           8
        .value_kind:     global_buffer
      - .actual_access:  read_only
        .address_space:  global
        .offset:         24
        .size:           8
        .value_kind:     global_buffer
      - .actual_access:  read_only
        .address_space:  global
        .offset:         32
        .size:           8
        .value_kind:     global_buffer
      - .actual_access:  read_only
        .address_space:  global
        .offset:         40
        .size:           8
        .value_kind:     global_buffer
      - .offset:         48
        .size:           4
        .value_kind:     by_value
      - .actual_access:  read_only
        .address_space:  global
        .offset:         56
        .size:           8
        .value_kind:     global_buffer
      - .offset:         64
        .size:           4
        .value_kind:     hidden_block_count_x
      - .offset:         68
        .size:           4
        .value_kind:     hidden_block_count_y
      - .offset:         72
        .size:           4
        .value_kind:     hidden_block_count_z
      - .offset:         76
        .size:           2
        .value_kind:     hidden_group_size_x
      - .offset:         78
        .size:           2
        .value_kind:     hidden_group_size_y
      - .offset:         80
        .size:           2
        .value_kind:     hidden_group_size_z
      - .offset:         82
        .size:           2
        .value_kind:     hidden_remainder_x
      - .offset:         84
        .size:           2
        .value_kind:     hidden_remainder_y
      - .offset:         86
        .size:           2
        .value_kind:     hidden_remainder_z
      - .offset:         104
        .size:           8
        .value_kind:     hidden_global_offset_x
      - .offset:         112
        .size:           8
        .value_kind:     hidden_global_offset_y
      - .offset:         120
        .size:           8
        .value_kind:     hidden_global_offset_z
      - .offset:         128
        .size:           2
        .value_kind:     hidden_grid_dims
    .group_segment_fixed_size: 644
    .kernarg_segment_align: 8
    .kernarg_segment_size: 320
    .language:       OpenCL C
    .language_version:
      - 2
      - 0
    .max_flat_workgroup_size: 128
    .name:           _Z35paged_attention_ll4mi_reduce_kernelI14__hip_bfloat16hLi128ELi128ELi256ELi5EEvPT0_PKfS4_PKT_PKiS9_iS4_
    .private_segment_fixed_size: 0
    .sgpr_count:     54
    .sgpr_spill_count: 0
    .symbol:         _Z35paged_attention_ll4mi_reduce_kernelI14__hip_bfloat16hLi128ELi128ELi256ELi5EEvPT0_PKfS4_PKT_PKiS9_iS4_.kd
    .uniform_work_group_size: 1
    .uses_dynamic_stack: false
    .vgpr_count:     52
    .vgpr_spill_count: 0
    .wavefront_size: 32
    .workgroup_processor_mode: 1
  - .args:
      - .actual_access:  write_only
        .address_space:  global
        .offset:         0
        .size:           8
        .value_kind:     global_buffer
      - .actual_access:  read_only
        .address_space:  global
        .offset:         8
        .size:           8
        .value_kind:     global_buffer
      - .actual_access:  read_only
        .address_space:  global
        .offset:         16
        .size:           8
        .value_kind:     global_buffer
      - .actual_access:  read_only
        .address_space:  global
        .offset:         24
        .size:           8
        .value_kind:     global_buffer
      - .actual_access:  read_only
        .address_space:  global
        .offset:         32
        .size:           8
        .value_kind:     global_buffer
      - .actual_access:  read_only
        .address_space:  global
        .offset:         40
        .size:           8
        .value_kind:     global_buffer
      - .offset:         48
        .size:           4
        .value_kind:     by_value
      - .actual_access:  read_only
        .address_space:  global
        .offset:         56
        .size:           8
        .value_kind:     global_buffer
      - .offset:         64
        .size:           4
        .value_kind:     hidden_block_count_x
      - .offset:         68
        .size:           4
        .value_kind:     hidden_block_count_y
      - .offset:         72
        .size:           4
        .value_kind:     hidden_block_count_z
      - .offset:         76
        .size:           2
        .value_kind:     hidden_group_size_x
      - .offset:         78
        .size:           2
        .value_kind:     hidden_group_size_y
      - .offset:         80
        .size:           2
        .value_kind:     hidden_group_size_z
      - .offset:         82
        .size:           2
        .value_kind:     hidden_remainder_x
      - .offset:         84
        .size:           2
        .value_kind:     hidden_remainder_y
      - .offset:         86
        .size:           2
        .value_kind:     hidden_remainder_z
      - .offset:         104
        .size:           8
        .value_kind:     hidden_global_offset_x
      - .offset:         112
        .size:           8
        .value_kind:     hidden_global_offset_y
      - .offset:         120
        .size:           8
        .value_kind:     hidden_global_offset_z
      - .offset:         128
        .size:           2
        .value_kind:     hidden_grid_dims
    .group_segment_fixed_size: 772
    .kernarg_segment_align: 8
    .kernarg_segment_size: 320
    .language:       OpenCL C
    .language_version:
      - 2
      - 0
    .max_flat_workgroup_size: 128
    .name:           _Z35paged_attention_ll4mi_reduce_kernelI14__hip_bfloat16hLi128ELi128ELi256ELi6EEvPT0_PKfS4_PKT_PKiS9_iS4_
    .private_segment_fixed_size: 0
    .sgpr_count:     51
    .sgpr_spill_count: 0
    .symbol:         _Z35paged_attention_ll4mi_reduce_kernelI14__hip_bfloat16hLi128ELi128ELi256ELi6EEvPT0_PKfS4_PKT_PKiS9_iS4_.kd
    .uniform_work_group_size: 1
    .uses_dynamic_stack: false
    .vgpr_count:     52
    .vgpr_spill_count: 0
    .wavefront_size: 32
    .workgroup_processor_mode: 1
  - .args:
      - .actual_access:  write_only
        .address_space:  global
        .offset:         0
        .size:           8
        .value_kind:     global_buffer
      - .actual_access:  read_only
        .address_space:  global
        .offset:         8
        .size:           8
        .value_kind:     global_buffer
      - .actual_access:  read_only
        .address_space:  global
        .offset:         16
        .size:           8
        .value_kind:     global_buffer
      - .actual_access:  read_only
        .address_space:  global
        .offset:         24
        .size:           8
        .value_kind:     global_buffer
      - .actual_access:  read_only
        .address_space:  global
        .offset:         32
        .size:           8
        .value_kind:     global_buffer
      - .actual_access:  read_only
        .address_space:  global
        .offset:         40
        .size:           8
        .value_kind:     global_buffer
      - .offset:         48
        .size:           4
        .value_kind:     by_value
      - .actual_access:  read_only
        .address_space:  global
        .offset:         56
        .size:           8
        .value_kind:     global_buffer
      - .offset:         64
        .size:           4
        .value_kind:     hidden_block_count_x
      - .offset:         68
        .size:           4
        .value_kind:     hidden_block_count_y
      - .offset:         72
        .size:           4
        .value_kind:     hidden_block_count_z
      - .offset:         76
        .size:           2
        .value_kind:     hidden_group_size_x
      - .offset:         78
        .size:           2
        .value_kind:     hidden_group_size_y
      - .offset:         80
        .size:           2
        .value_kind:     hidden_group_size_z
      - .offset:         82
        .size:           2
        .value_kind:     hidden_remainder_x
      - .offset:         84
        .size:           2
        .value_kind:     hidden_remainder_y
      - .offset:         86
        .size:           2
        .value_kind:     hidden_remainder_z
      - .offset:         104
        .size:           8
        .value_kind:     hidden_global_offset_x
      - .offset:         112
        .size:           8
        .value_kind:     hidden_global_offset_y
      - .offset:         120
        .size:           8
        .value_kind:     hidden_global_offset_z
      - .offset:         128
        .size:           2
        .value_kind:     hidden_grid_dims
    .group_segment_fixed_size: 900
    .kernarg_segment_align: 8
    .kernarg_segment_size: 320
    .language:       OpenCL C
    .language_version:
      - 2
      - 0
    .max_flat_workgroup_size: 128
    .name:           _Z35paged_attention_ll4mi_reduce_kernelI14__hip_bfloat16hLi128ELi128ELi256ELi7EEvPT0_PKfS4_PKT_PKiS9_iS4_
    .private_segment_fixed_size: 0
    .sgpr_count:     51
    .sgpr_spill_count: 0
    .symbol:         _Z35paged_attention_ll4mi_reduce_kernelI14__hip_bfloat16hLi128ELi128ELi256ELi7EEvPT0_PKfS4_PKT_PKiS9_iS4_.kd
    .uniform_work_group_size: 1
    .uses_dynamic_stack: false
    .vgpr_count:     52
    .vgpr_spill_count: 0
    .wavefront_size: 32
    .workgroup_processor_mode: 1
  - .args:
      - .actual_access:  write_only
        .address_space:  global
        .offset:         0
        .size:           8
        .value_kind:     global_buffer
      - .actual_access:  read_only
        .address_space:  global
        .offset:         8
        .size:           8
        .value_kind:     global_buffer
      - .actual_access:  read_only
        .address_space:  global
        .offset:         16
        .size:           8
        .value_kind:     global_buffer
      - .actual_access:  read_only
        .address_space:  global
        .offset:         24
        .size:           8
        .value_kind:     global_buffer
      - .actual_access:  read_only
        .address_space:  global
        .offset:         32
        .size:           8
        .value_kind:     global_buffer
      - .actual_access:  read_only
        .address_space:  global
        .offset:         40
        .size:           8
        .value_kind:     global_buffer
      - .offset:         48
        .size:           4
        .value_kind:     by_value
      - .actual_access:  read_only
        .address_space:  global
        .offset:         56
        .size:           8
        .value_kind:     global_buffer
      - .offset:         64
        .size:           4
        .value_kind:     hidden_block_count_x
      - .offset:         68
        .size:           4
        .value_kind:     hidden_block_count_y
      - .offset:         72
        .size:           4
        .value_kind:     hidden_block_count_z
      - .offset:         76
        .size:           2
        .value_kind:     hidden_group_size_x
      - .offset:         78
        .size:           2
        .value_kind:     hidden_group_size_y
      - .offset:         80
        .size:           2
        .value_kind:     hidden_group_size_z
      - .offset:         82
        .size:           2
        .value_kind:     hidden_remainder_x
      - .offset:         84
        .size:           2
        .value_kind:     hidden_remainder_y
      - .offset:         86
        .size:           2
        .value_kind:     hidden_remainder_z
      - .offset:         104
        .size:           8
        .value_kind:     hidden_global_offset_x
      - .offset:         112
        .size:           8
        .value_kind:     hidden_global_offset_y
      - .offset:         120
        .size:           8
        .value_kind:     hidden_global_offset_z
      - .offset:         128
        .size:           2
        .value_kind:     hidden_grid_dims
    .group_segment_fixed_size: 1028
    .kernarg_segment_align: 8
    .kernarg_segment_size: 320
    .language:       OpenCL C
    .language_version:
      - 2
      - 0
    .max_flat_workgroup_size: 128
    .name:           _Z35paged_attention_ll4mi_reduce_kernelI14__hip_bfloat16hLi128ELi128ELi256ELi8EEvPT0_PKfS4_PKT_PKiS9_iS4_
    .private_segment_fixed_size: 0
    .sgpr_count:     51
    .sgpr_spill_count: 0
    .symbol:         _Z35paged_attention_ll4mi_reduce_kernelI14__hip_bfloat16hLi128ELi128ELi256ELi8EEvPT0_PKfS4_PKT_PKiS9_iS4_.kd
    .uniform_work_group_size: 1
    .uses_dynamic_stack: false
    .vgpr_count:     52
    .vgpr_spill_count: 0
    .wavefront_size: 32
    .workgroup_processor_mode: 1
  - .args:
      - .actual_access:  read_only
        .address_space:  global
        .offset:         0
        .size:           8
        .value_kind:     global_buffer
      - .actual_access:  read_only
        .address_space:  global
        .offset:         8
        .size:           8
        .value_kind:     global_buffer
      - .actual_access:  read_only
        .address_space:  global
        .offset:         16
        .size:           8
        .value_kind:     global_buffer
      - .offset:         24
        .size:           4
        .value_kind:     by_value
      - .offset:         28
        .size:           4
        .value_kind:     by_value
      - .actual_access:  read_only
        .address_space:  global
        .offset:         32
        .size:           8
        .value_kind:     global_buffer
      - .actual_access:  read_only
        .address_space:  global
        .offset:         40
        .size:           8
        .value_kind:     global_buffer
      - .actual_access:  read_only
        .address_space:  global
        .offset:         48
        .size:           8
        .value_kind:     global_buffer
      - .offset:         56
        .size:           4
        .value_kind:     by_value
      - .actual_access:  read_only
        .address_space:  global
        .offset:         64
        .size:           8
        .value_kind:     global_buffer
      - .offset:         72
        .size:           4
        .value_kind:     by_value
      - .offset:         76
        .size:           4
        .value_kind:     by_value
      - .offset:         80
        .size:           4
        .value_kind:     by_value
      - .actual_access:  write_only
        .address_space:  global
        .offset:         88
        .size:           8
        .value_kind:     global_buffer
      - .actual_access:  write_only
        .address_space:  global
        .offset:         96
        .size:           8
        .value_kind:     global_buffer
      - .actual_access:  write_only
        .address_space:  global
        .offset:         104
        .size:           8
        .value_kind:     global_buffer
      - .actual_access:  read_only
        .address_space:  global
        .offset:         112
        .size:           8
        .value_kind:     global_buffer
      - .offset:         120
        .size:           4
        .value_kind:     by_value
      - .address_space:  global
        .offset:         128
        .size:           8
        .value_kind:     global_buffer
      - .address_space:  global
        .offset:         136
        .size:           8
        .value_kind:     global_buffer
      - .offset:         144
        .size:           4
        .value_kind:     hidden_block_count_x
      - .offset:         148
        .size:           4
        .value_kind:     hidden_block_count_y
      - .offset:         152
        .size:           4
        .value_kind:     hidden_block_count_z
      - .offset:         156
        .size:           2
        .value_kind:     hidden_group_size_x
      - .offset:         158
        .size:           2
        .value_kind:     hidden_group_size_y
      - .offset:         160
        .size:           2
        .value_kind:     hidden_group_size_z
      - .offset:         162
        .size:           2
        .value_kind:     hidden_remainder_x
      - .offset:         164
        .size:           2
        .value_kind:     hidden_remainder_y
      - .offset:         166
        .size:           2
        .value_kind:     hidden_remainder_z
      - .offset:         184
        .size:           8
        .value_kind:     hidden_global_offset_x
      - .offset:         192
        .size:           8
        .value_kind:     hidden_global_offset_y
      - .offset:         200
        .size:           8
        .value_kind:     hidden_global_offset_z
      - .offset:         208
        .size:           2
        .value_kind:     hidden_grid_dims
    .group_segment_fixed_size: 17472
    .kernarg_segment_align: 8
    .kernarg_segment_size: 400
    .language:       OpenCL C
    .language_version:
      - 2
      - 0
    .max_flat_workgroup_size: 256
    .name:           _Z39paged_attention_ll4mi_QKV_mfma16_kernelI14__hip_bfloat16S0_LN4vllm18Fp8KVCacheDataTypeE0EhLi16ELi128ELi256ELb1ELi1EL8MFMAType0EEvPKT_PKT0_S9_ifPKiSB_SB_iPKfiiiPfSE_PS4_PT2_iSD_SD_
    .private_segment_fixed_size: 0
    .sgpr_count:     100
    .sgpr_spill_count: 0
    .symbol:         _Z39paged_attention_ll4mi_QKV_mfma16_kernelI14__hip_bfloat16S0_LN4vllm18Fp8KVCacheDataTypeE0EhLi16ELi128ELi256ELb1ELi1EL8MFMAType0EEvPKT_PKT0_S9_ifPKiSB_SB_iPKfiiiPfSE_PS4_PT2_iSD_SD_.kd
    .uniform_work_group_size: 1
    .uses_dynamic_stack: false
    .vgpr_count:     201
    .vgpr_spill_count: 0
    .wavefront_size: 32
    .workgroup_processor_mode: 1
  - .args:
      - .actual_access:  read_only
        .address_space:  global
        .offset:         0
        .size:           8
        .value_kind:     global_buffer
      - .actual_access:  read_only
        .address_space:  global
        .offset:         8
        .size:           8
        .value_kind:     global_buffer
      - .actual_access:  read_only
        .address_space:  global
        .offset:         16
        .size:           8
        .value_kind:     global_buffer
      - .offset:         24
        .size:           4
        .value_kind:     by_value
      - .offset:         28
        .size:           4
        .value_kind:     by_value
      - .actual_access:  read_only
        .address_space:  global
        .offset:         32
        .size:           8
        .value_kind:     global_buffer
      - .actual_access:  read_only
        .address_space:  global
        .offset:         40
        .size:           8
        .value_kind:     global_buffer
      - .actual_access:  read_only
        .address_space:  global
        .offset:         48
        .size:           8
        .value_kind:     global_buffer
      - .offset:         56
        .size:           4
        .value_kind:     by_value
      - .actual_access:  read_only
        .address_space:  global
        .offset:         64
        .size:           8
        .value_kind:     global_buffer
      - .offset:         72
        .size:           4
        .value_kind:     by_value
      - .offset:         76
        .size:           4
        .value_kind:     by_value
      - .offset:         80
        .size:           4
        .value_kind:     by_value
      - .actual_access:  write_only
        .address_space:  global
        .offset:         88
        .size:           8
        .value_kind:     global_buffer
      - .actual_access:  write_only
        .address_space:  global
        .offset:         96
        .size:           8
        .value_kind:     global_buffer
      - .actual_access:  write_only
        .address_space:  global
        .offset:         104
        .size:           8
        .value_kind:     global_buffer
      - .actual_access:  read_only
        .address_space:  global
        .offset:         112
        .size:           8
        .value_kind:     global_buffer
      - .offset:         120
        .size:           4
        .value_kind:     by_value
      - .address_space:  global
        .offset:         128
        .size:           8
        .value_kind:     global_buffer
      - .address_space:  global
        .offset:         136
        .size:           8
        .value_kind:     global_buffer
      - .offset:         144
        .size:           4
        .value_kind:     hidden_block_count_x
      - .offset:         148
        .size:           4
        .value_kind:     hidden_block_count_y
      - .offset:         152
        .size:           4
        .value_kind:     hidden_block_count_z
      - .offset:         156
        .size:           2
        .value_kind:     hidden_group_size_x
      - .offset:         158
        .size:           2
        .value_kind:     hidden_group_size_y
      - .offset:         160
        .size:           2
        .value_kind:     hidden_group_size_z
      - .offset:         162
        .size:           2
        .value_kind:     hidden_remainder_x
      - .offset:         164
        .size:           2
        .value_kind:     hidden_remainder_y
      - .offset:         166
        .size:           2
        .value_kind:     hidden_remainder_z
      - .offset:         184
        .size:           8
        .value_kind:     hidden_global_offset_x
      - .offset:         192
        .size:           8
        .value_kind:     hidden_global_offset_y
      - .offset:         200
        .size:           8
        .value_kind:     hidden_global_offset_z
      - .offset:         208
        .size:           2
        .value_kind:     hidden_grid_dims
    .group_segment_fixed_size: 17472
    .kernarg_segment_align: 8
    .kernarg_segment_size: 400
    .language:       OpenCL C
    .language_version:
      - 2
      - 0
    .max_flat_workgroup_size: 256
    .name:           _Z39paged_attention_ll4mi_QKV_mfma16_kernelI14__hip_bfloat16S0_LN4vllm18Fp8KVCacheDataTypeE0EhLi16ELi128ELi256ELb1ELi2EL8MFMAType0EEvPKT_PKT0_S9_ifPKiSB_SB_iPKfiiiPfSE_PS4_PT2_iSD_SD_
    .private_segment_fixed_size: 0
    .sgpr_count:     54
    .sgpr_spill_count: 0
    .symbol:         _Z39paged_attention_ll4mi_QKV_mfma16_kernelI14__hip_bfloat16S0_LN4vllm18Fp8KVCacheDataTypeE0EhLi16ELi128ELi256ELb1ELi2EL8MFMAType0EEvPKT_PKT0_S9_ifPKiSB_SB_iPKfiiiPfSE_PS4_PT2_iSD_SD_.kd
    .uniform_work_group_size: 1
    .uses_dynamic_stack: false
    .vgpr_count:     230
    .vgpr_spill_count: 0
    .wavefront_size: 32
    .workgroup_processor_mode: 1
  - .args:
      - .actual_access:  read_only
        .address_space:  global
        .offset:         0
        .size:           8
        .value_kind:     global_buffer
      - .actual_access:  read_only
        .address_space:  global
        .offset:         8
        .size:           8
        .value_kind:     global_buffer
      - .actual_access:  read_only
        .address_space:  global
        .offset:         16
        .size:           8
        .value_kind:     global_buffer
      - .offset:         24
        .size:           4
        .value_kind:     by_value
      - .offset:         28
        .size:           4
        .value_kind:     by_value
      - .actual_access:  read_only
        .address_space:  global
        .offset:         32
        .size:           8
        .value_kind:     global_buffer
      - .actual_access:  read_only
        .address_space:  global
        .offset:         40
        .size:           8
        .value_kind:     global_buffer
      - .actual_access:  read_only
        .address_space:  global
        .offset:         48
        .size:           8
        .value_kind:     global_buffer
      - .offset:         56
        .size:           4
        .value_kind:     by_value
      - .actual_access:  read_only
        .address_space:  global
        .offset:         64
        .size:           8
        .value_kind:     global_buffer
      - .offset:         72
        .size:           4
        .value_kind:     by_value
      - .offset:         76
        .size:           4
        .value_kind:     by_value
      - .offset:         80
        .size:           4
        .value_kind:     by_value
      - .actual_access:  write_only
        .address_space:  global
        .offset:         88
        .size:           8
        .value_kind:     global_buffer
      - .actual_access:  write_only
        .address_space:  global
        .offset:         96
        .size:           8
        .value_kind:     global_buffer
      - .actual_access:  write_only
        .address_space:  global
        .offset:         104
        .size:           8
        .value_kind:     global_buffer
      - .actual_access:  read_only
        .address_space:  global
        .offset:         112
        .size:           8
        .value_kind:     global_buffer
      - .offset:         120
        .size:           4
        .value_kind:     by_value
      - .address_space:  global
        .offset:         128
        .size:           8
        .value_kind:     global_buffer
      - .address_space:  global
        .offset:         136
        .size:           8
        .value_kind:     global_buffer
      - .offset:         144
        .size:           4
        .value_kind:     hidden_block_count_x
      - .offset:         148
        .size:           4
        .value_kind:     hidden_block_count_y
      - .offset:         152
        .size:           4
        .value_kind:     hidden_block_count_z
      - .offset:         156
        .size:           2
        .value_kind:     hidden_group_size_x
      - .offset:         158
        .size:           2
        .value_kind:     hidden_group_size_y
      - .offset:         160
        .size:           2
        .value_kind:     hidden_group_size_z
      - .offset:         162
        .size:           2
        .value_kind:     hidden_remainder_x
      - .offset:         164
        .size:           2
        .value_kind:     hidden_remainder_y
      - .offset:         166
        .size:           2
        .value_kind:     hidden_remainder_z
      - .offset:         184
        .size:           8
        .value_kind:     hidden_global_offset_x
      - .offset:         192
        .size:           8
        .value_kind:     hidden_global_offset_y
      - .offset:         200
        .size:           8
        .value_kind:     hidden_global_offset_z
      - .offset:         208
        .size:           2
        .value_kind:     hidden_grid_dims
    .group_segment_fixed_size: 17472
    .kernarg_segment_align: 8
    .kernarg_segment_size: 400
    .language:       OpenCL C
    .language_version:
      - 2
      - 0
    .max_flat_workgroup_size: 256
    .name:           _Z39paged_attention_ll4mi_QKV_mfma16_kernelI14__hip_bfloat16S0_LN4vllm18Fp8KVCacheDataTypeE0EhLi16ELi128ELi256ELb1ELi3EL8MFMAType0EEvPKT_PKT0_S9_ifPKiSB_SB_iPKfiiiPfSE_PS4_PT2_iSD_SD_
    .private_segment_fixed_size: 0
    .sgpr_count:     52
    .sgpr_spill_count: 0
    .symbol:         _Z39paged_attention_ll4mi_QKV_mfma16_kernelI14__hip_bfloat16S0_LN4vllm18Fp8KVCacheDataTypeE0EhLi16ELi128ELi256ELb1ELi3EL8MFMAType0EEvPKT_PKT0_S9_ifPKiSB_SB_iPKfiiiPfSE_PS4_PT2_iSD_SD_.kd
    .uniform_work_group_size: 1
    .uses_dynamic_stack: false
    .vgpr_count:     218
    .vgpr_spill_count: 0
    .wavefront_size: 32
    .workgroup_processor_mode: 1
  - .args:
      - .actual_access:  read_only
        .address_space:  global
        .offset:         0
        .size:           8
        .value_kind:     global_buffer
      - .actual_access:  read_only
        .address_space:  global
        .offset:         8
        .size:           8
        .value_kind:     global_buffer
      - .actual_access:  read_only
        .address_space:  global
        .offset:         16
        .size:           8
        .value_kind:     global_buffer
      - .offset:         24
        .size:           4
        .value_kind:     by_value
      - .offset:         28
        .size:           4
        .value_kind:     by_value
      - .actual_access:  read_only
        .address_space:  global
        .offset:         32
        .size:           8
        .value_kind:     global_buffer
      - .actual_access:  read_only
        .address_space:  global
        .offset:         40
        .size:           8
        .value_kind:     global_buffer
      - .actual_access:  read_only
        .address_space:  global
        .offset:         48
        .size:           8
        .value_kind:     global_buffer
      - .offset:         56
        .size:           4
        .value_kind:     by_value
      - .actual_access:  read_only
        .address_space:  global
        .offset:         64
        .size:           8
        .value_kind:     global_buffer
      - .offset:         72
        .size:           4
        .value_kind:     by_value
      - .offset:         76
        .size:           4
        .value_kind:     by_value
      - .offset:         80
        .size:           4
        .value_kind:     by_value
      - .actual_access:  write_only
        .address_space:  global
        .offset:         88
        .size:           8
        .value_kind:     global_buffer
      - .actual_access:  write_only
        .address_space:  global
        .offset:         96
        .size:           8
        .value_kind:     global_buffer
      - .actual_access:  write_only
        .address_space:  global
        .offset:         104
        .size:           8
        .value_kind:     global_buffer
      - .actual_access:  read_only
        .address_space:  global
        .offset:         112
        .size:           8
        .value_kind:     global_buffer
      - .offset:         120
        .size:           4
        .value_kind:     by_value
      - .address_space:  global
        .offset:         128
        .size:           8
        .value_kind:     global_buffer
      - .address_space:  global
        .offset:         136
        .size:           8
        .value_kind:     global_buffer
      - .offset:         144
        .size:           4
        .value_kind:     hidden_block_count_x
      - .offset:         148
        .size:           4
        .value_kind:     hidden_block_count_y
      - .offset:         152
        .size:           4
        .value_kind:     hidden_block_count_z
      - .offset:         156
        .size:           2
        .value_kind:     hidden_group_size_x
      - .offset:         158
        .size:           2
        .value_kind:     hidden_group_size_y
      - .offset:         160
        .size:           2
        .value_kind:     hidden_group_size_z
      - .offset:         162
        .size:           2
        .value_kind:     hidden_remainder_x
      - .offset:         164
        .size:           2
        .value_kind:     hidden_remainder_y
      - .offset:         166
        .size:           2
        .value_kind:     hidden_remainder_z
      - .offset:         184
        .size:           8
        .value_kind:     hidden_global_offset_x
      - .offset:         192
        .size:           8
        .value_kind:     hidden_global_offset_y
      - .offset:         200
        .size:           8
        .value_kind:     hidden_global_offset_z
      - .offset:         208
        .size:           2
        .value_kind:     hidden_grid_dims
    .group_segment_fixed_size: 17472
    .kernarg_segment_align: 8
    .kernarg_segment_size: 400
    .language:       OpenCL C
    .language_version:
      - 2
      - 0
    .max_flat_workgroup_size: 256
    .name:           _Z39paged_attention_ll4mi_QKV_mfma16_kernelI14__hip_bfloat16S0_LN4vllm18Fp8KVCacheDataTypeE0EhLi16ELi128ELi256ELb1ELi4EL8MFMAType0EEvPKT_PKT0_S9_ifPKiSB_SB_iPKfiiiPfSE_PS4_PT2_iSD_SD_
    .private_segment_fixed_size: 0
    .sgpr_count:     52
    .sgpr_spill_count: 0
    .symbol:         _Z39paged_attention_ll4mi_QKV_mfma16_kernelI14__hip_bfloat16S0_LN4vllm18Fp8KVCacheDataTypeE0EhLi16ELi128ELi256ELb1ELi4EL8MFMAType0EEvPKT_PKT0_S9_ifPKiSB_SB_iPKfiiiPfSE_PS4_PT2_iSD_SD_.kd
    .uniform_work_group_size: 1
    .uses_dynamic_stack: false
    .vgpr_count:     218
    .vgpr_spill_count: 0
    .wavefront_size: 32
    .workgroup_processor_mode: 1
  - .args:
      - .actual_access:  write_only
        .address_space:  global
        .offset:         0
        .size:           8
        .value_kind:     global_buffer
      - .actual_access:  read_only
        .address_space:  global
        .offset:         8
        .size:           8
        .value_kind:     global_buffer
      - .actual_access:  read_only
        .address_space:  global
        .offset:         16
        .size:           8
        .value_kind:     global_buffer
      - .actual_access:  read_only
        .address_space:  global
        .offset:         24
        .size:           8
        .value_kind:     global_buffer
      - .actual_access:  read_only
        .address_space:  global
        .offset:         32
        .size:           8
        .value_kind:     global_buffer
      - .actual_access:  read_only
        .address_space:  global
        .offset:         40
        .size:           8
        .value_kind:     global_buffer
      - .offset:         48
        .size:           4
        .value_kind:     by_value
      - .actual_access:  read_only
        .address_space:  global
        .offset:         56
        .size:           8
        .value_kind:     global_buffer
      - .offset:         64
        .size:           4
        .value_kind:     hidden_block_count_x
      - .offset:         68
        .size:           4
        .value_kind:     hidden_block_count_y
      - .offset:         72
        .size:           4
        .value_kind:     hidden_block_count_z
      - .offset:         76
        .size:           2
        .value_kind:     hidden_group_size_x
      - .offset:         78
        .size:           2
        .value_kind:     hidden_group_size_y
      - .offset:         80
        .size:           2
        .value_kind:     hidden_group_size_z
      - .offset:         82
        .size:           2
        .value_kind:     hidden_remainder_x
      - .offset:         84
        .size:           2
        .value_kind:     hidden_remainder_y
      - .offset:         86
        .size:           2
        .value_kind:     hidden_remainder_z
      - .offset:         104
        .size:           8
        .value_kind:     hidden_global_offset_x
      - .offset:         112
        .size:           8
        .value_kind:     hidden_global_offset_y
      - .offset:         120
        .size:           8
        .value_kind:     hidden_global_offset_z
      - .offset:         128
        .size:           2
        .value_kind:     hidden_grid_dims
    .group_segment_fixed_size: 1156
    .kernarg_segment_align: 8
    .kernarg_segment_size: 320
    .language:       OpenCL C
    .language_version:
      - 2
      - 0
    .max_flat_workgroup_size: 128
    .name:           _Z35paged_attention_ll4mi_reduce_kernelI14__hip_bfloat16hLi128ELi128ELi256ELi9EEvPT0_PKfS4_PKT_PKiS9_iS4_
    .private_segment_fixed_size: 0
    .sgpr_count:     51
    .sgpr_spill_count: 0
    .symbol:         _Z35paged_attention_ll4mi_reduce_kernelI14__hip_bfloat16hLi128ELi128ELi256ELi9EEvPT0_PKfS4_PKT_PKiS9_iS4_.kd
    .uniform_work_group_size: 1
    .uses_dynamic_stack: false
    .vgpr_count:     52
    .vgpr_spill_count: 0
    .wavefront_size: 32
    .workgroup_processor_mode: 1
  - .args:
      - .actual_access:  write_only
        .address_space:  global
        .offset:         0
        .size:           8
        .value_kind:     global_buffer
      - .actual_access:  read_only
        .address_space:  global
        .offset:         8
        .size:           8
        .value_kind:     global_buffer
      - .actual_access:  read_only
        .address_space:  global
        .offset:         16
        .size:           8
        .value_kind:     global_buffer
      - .actual_access:  read_only
        .address_space:  global
        .offset:         24
        .size:           8
        .value_kind:     global_buffer
      - .actual_access:  read_only
        .address_space:  global
        .offset:         32
        .size:           8
        .value_kind:     global_buffer
      - .actual_access:  read_only
        .address_space:  global
        .offset:         40
        .size:           8
        .value_kind:     global_buffer
      - .offset:         48
        .size:           4
        .value_kind:     by_value
      - .actual_access:  read_only
        .address_space:  global
        .offset:         56
        .size:           8
        .value_kind:     global_buffer
      - .offset:         64
        .size:           4
        .value_kind:     hidden_block_count_x
      - .offset:         68
        .size:           4
        .value_kind:     hidden_block_count_y
      - .offset:         72
        .size:           4
        .value_kind:     hidden_block_count_z
      - .offset:         76
        .size:           2
        .value_kind:     hidden_group_size_x
      - .offset:         78
        .size:           2
        .value_kind:     hidden_group_size_y
      - .offset:         80
        .size:           2
        .value_kind:     hidden_group_size_z
      - .offset:         82
        .size:           2
        .value_kind:     hidden_remainder_x
      - .offset:         84
        .size:           2
        .value_kind:     hidden_remainder_y
      - .offset:         86
        .size:           2
        .value_kind:     hidden_remainder_z
      - .offset:         104
        .size:           8
        .value_kind:     hidden_global_offset_x
      - .offset:         112
        .size:           8
        .value_kind:     hidden_global_offset_y
      - .offset:         120
        .size:           8
        .value_kind:     hidden_global_offset_z
      - .offset:         128
        .size:           2
        .value_kind:     hidden_grid_dims
    .group_segment_fixed_size: 1284
    .kernarg_segment_align: 8
    .kernarg_segment_size: 320
    .language:       OpenCL C
    .language_version:
      - 2
      - 0
    .max_flat_workgroup_size: 128
    .name:           _Z35paged_attention_ll4mi_reduce_kernelI14__hip_bfloat16hLi128ELi128ELi256ELi10EEvPT0_PKfS4_PKT_PKiS9_iS4_
    .private_segment_fixed_size: 0
    .sgpr_count:     51
    .sgpr_spill_count: 0
    .symbol:         _Z35paged_attention_ll4mi_reduce_kernelI14__hip_bfloat16hLi128ELi128ELi256ELi10EEvPT0_PKfS4_PKT_PKiS9_iS4_.kd
    .uniform_work_group_size: 1
    .uses_dynamic_stack: false
    .vgpr_count:     57
    .vgpr_spill_count: 0
    .wavefront_size: 32
    .workgroup_processor_mode: 1
  - .args:
      - .actual_access:  write_only
        .address_space:  global
        .offset:         0
        .size:           8
        .value_kind:     global_buffer
      - .actual_access:  read_only
        .address_space:  global
        .offset:         8
        .size:           8
        .value_kind:     global_buffer
      - .actual_access:  read_only
        .address_space:  global
        .offset:         16
        .size:           8
        .value_kind:     global_buffer
      - .actual_access:  read_only
        .address_space:  global
        .offset:         24
        .size:           8
        .value_kind:     global_buffer
      - .actual_access:  read_only
        .address_space:  global
        .offset:         32
        .size:           8
        .value_kind:     global_buffer
      - .actual_access:  read_only
        .address_space:  global
        .offset:         40
        .size:           8
        .value_kind:     global_buffer
      - .offset:         48
        .size:           4
        .value_kind:     by_value
      - .actual_access:  read_only
        .address_space:  global
        .offset:         56
        .size:           8
        .value_kind:     global_buffer
      - .offset:         64
        .size:           4
        .value_kind:     hidden_block_count_x
      - .offset:         68
        .size:           4
        .value_kind:     hidden_block_count_y
      - .offset:         72
        .size:           4
        .value_kind:     hidden_block_count_z
      - .offset:         76
        .size:           2
        .value_kind:     hidden_group_size_x
      - .offset:         78
        .size:           2
        .value_kind:     hidden_group_size_y
      - .offset:         80
        .size:           2
        .value_kind:     hidden_group_size_z
      - .offset:         82
        .size:           2
        .value_kind:     hidden_remainder_x
      - .offset:         84
        .size:           2
        .value_kind:     hidden_remainder_y
      - .offset:         86
        .size:           2
        .value_kind:     hidden_remainder_z
      - .offset:         104
        .size:           8
        .value_kind:     hidden_global_offset_x
      - .offset:         112
        .size:           8
        .value_kind:     hidden_global_offset_y
      - .offset:         120
        .size:           8
        .value_kind:     hidden_global_offset_z
      - .offset:         128
        .size:           2
        .value_kind:     hidden_grid_dims
    .group_segment_fixed_size: 1412
    .kernarg_segment_align: 8
    .kernarg_segment_size: 320
    .language:       OpenCL C
    .language_version:
      - 2
      - 0
    .max_flat_workgroup_size: 128
    .name:           _Z35paged_attention_ll4mi_reduce_kernelI14__hip_bfloat16hLi128ELi128ELi256ELi11EEvPT0_PKfS4_PKT_PKiS9_iS4_
    .private_segment_fixed_size: 0
    .sgpr_count:     51
    .sgpr_spill_count: 0
    .symbol:         _Z35paged_attention_ll4mi_reduce_kernelI14__hip_bfloat16hLi128ELi128ELi256ELi11EEvPT0_PKfS4_PKT_PKiS9_iS4_.kd
    .uniform_work_group_size: 1
    .uses_dynamic_stack: false
    .vgpr_count:     62
    .vgpr_spill_count: 0
    .wavefront_size: 32
    .workgroup_processor_mode: 1
  - .args:
      - .actual_access:  write_only
        .address_space:  global
        .offset:         0
        .size:           8
        .value_kind:     global_buffer
      - .actual_access:  read_only
        .address_space:  global
        .offset:         8
        .size:           8
        .value_kind:     global_buffer
      - .actual_access:  read_only
        .address_space:  global
        .offset:         16
        .size:           8
        .value_kind:     global_buffer
      - .actual_access:  read_only
        .address_space:  global
        .offset:         24
        .size:           8
        .value_kind:     global_buffer
      - .actual_access:  read_only
        .address_space:  global
        .offset:         32
        .size:           8
        .value_kind:     global_buffer
      - .actual_access:  read_only
        .address_space:  global
        .offset:         40
        .size:           8
        .value_kind:     global_buffer
      - .offset:         48
        .size:           4
        .value_kind:     by_value
      - .actual_access:  read_only
        .address_space:  global
        .offset:         56
        .size:           8
        .value_kind:     global_buffer
      - .offset:         64
        .size:           4
        .value_kind:     hidden_block_count_x
      - .offset:         68
        .size:           4
        .value_kind:     hidden_block_count_y
      - .offset:         72
        .size:           4
        .value_kind:     hidden_block_count_z
      - .offset:         76
        .size:           2
        .value_kind:     hidden_group_size_x
      - .offset:         78
        .size:           2
        .value_kind:     hidden_group_size_y
      - .offset:         80
        .size:           2
        .value_kind:     hidden_group_size_z
      - .offset:         82
        .size:           2
        .value_kind:     hidden_remainder_x
      - .offset:         84
        .size:           2
        .value_kind:     hidden_remainder_y
      - .offset:         86
        .size:           2
        .value_kind:     hidden_remainder_z
      - .offset:         104
        .size:           8
        .value_kind:     hidden_global_offset_x
      - .offset:         112
        .size:           8
        .value_kind:     hidden_global_offset_y
      - .offset:         120
        .size:           8
        .value_kind:     hidden_global_offset_z
      - .offset:         128
        .size:           2
        .value_kind:     hidden_grid_dims
    .group_segment_fixed_size: 1540
    .kernarg_segment_align: 8
    .kernarg_segment_size: 320
    .language:       OpenCL C
    .language_version:
      - 2
      - 0
    .max_flat_workgroup_size: 128
    .name:           _Z35paged_attention_ll4mi_reduce_kernelI14__hip_bfloat16hLi128ELi128ELi256ELi12EEvPT0_PKfS4_PKT_PKiS9_iS4_
    .private_segment_fixed_size: 0
    .sgpr_count:     51
    .sgpr_spill_count: 0
    .symbol:         _Z35paged_attention_ll4mi_reduce_kernelI14__hip_bfloat16hLi128ELi128ELi256ELi12EEvPT0_PKfS4_PKT_PKiS9_iS4_.kd
    .uniform_work_group_size: 1
    .uses_dynamic_stack: false
    .vgpr_count:     67
    .vgpr_spill_count: 0
    .wavefront_size: 32
    .workgroup_processor_mode: 1
  - .args:
      - .actual_access:  write_only
        .address_space:  global
        .offset:         0
        .size:           8
        .value_kind:     global_buffer
      - .actual_access:  read_only
        .address_space:  global
        .offset:         8
        .size:           8
        .value_kind:     global_buffer
      - .actual_access:  read_only
        .address_space:  global
        .offset:         16
        .size:           8
        .value_kind:     global_buffer
      - .actual_access:  read_only
        .address_space:  global
        .offset:         24
        .size:           8
        .value_kind:     global_buffer
      - .actual_access:  read_only
        .address_space:  global
        .offset:         32
        .size:           8
        .value_kind:     global_buffer
      - .actual_access:  read_only
        .address_space:  global
        .offset:         40
        .size:           8
        .value_kind:     global_buffer
      - .offset:         48
        .size:           4
        .value_kind:     by_value
      - .actual_access:  read_only
        .address_space:  global
        .offset:         56
        .size:           8
        .value_kind:     global_buffer
      - .offset:         64
        .size:           4
        .value_kind:     hidden_block_count_x
      - .offset:         68
        .size:           4
        .value_kind:     hidden_block_count_y
      - .offset:         72
        .size:           4
        .value_kind:     hidden_block_count_z
      - .offset:         76
        .size:           2
        .value_kind:     hidden_group_size_x
      - .offset:         78
        .size:           2
        .value_kind:     hidden_group_size_y
      - .offset:         80
        .size:           2
        .value_kind:     hidden_group_size_z
      - .offset:         82
        .size:           2
        .value_kind:     hidden_remainder_x
      - .offset:         84
        .size:           2
        .value_kind:     hidden_remainder_y
      - .offset:         86
        .size:           2
        .value_kind:     hidden_remainder_z
      - .offset:         104
        .size:           8
        .value_kind:     hidden_global_offset_x
      - .offset:         112
        .size:           8
        .value_kind:     hidden_global_offset_y
      - .offset:         120
        .size:           8
        .value_kind:     hidden_global_offset_z
      - .offset:         128
        .size:           2
        .value_kind:     hidden_grid_dims
    .group_segment_fixed_size: 1668
    .kernarg_segment_align: 8
    .kernarg_segment_size: 320
    .language:       OpenCL C
    .language_version:
      - 2
      - 0
    .max_flat_workgroup_size: 128
    .name:           _Z35paged_attention_ll4mi_reduce_kernelI14__hip_bfloat16hLi128ELi128ELi256ELi13EEvPT0_PKfS4_PKT_PKiS9_iS4_
    .private_segment_fixed_size: 0
    .sgpr_count:     51
    .sgpr_spill_count: 0
    .symbol:         _Z35paged_attention_ll4mi_reduce_kernelI14__hip_bfloat16hLi128ELi128ELi256ELi13EEvPT0_PKfS4_PKT_PKiS9_iS4_.kd
    .uniform_work_group_size: 1
    .uses_dynamic_stack: false
    .vgpr_count:     68
    .vgpr_spill_count: 0
    .wavefront_size: 32
    .workgroup_processor_mode: 1
  - .args:
      - .actual_access:  write_only
        .address_space:  global
        .offset:         0
        .size:           8
        .value_kind:     global_buffer
      - .actual_access:  read_only
        .address_space:  global
        .offset:         8
        .size:           8
        .value_kind:     global_buffer
      - .actual_access:  read_only
        .address_space:  global
        .offset:         16
        .size:           8
        .value_kind:     global_buffer
      - .actual_access:  read_only
        .address_space:  global
        .offset:         24
        .size:           8
        .value_kind:     global_buffer
      - .actual_access:  read_only
        .address_space:  global
        .offset:         32
        .size:           8
        .value_kind:     global_buffer
      - .actual_access:  read_only
        .address_space:  global
        .offset:         40
        .size:           8
        .value_kind:     global_buffer
      - .offset:         48
        .size:           4
        .value_kind:     by_value
      - .actual_access:  read_only
        .address_space:  global
        .offset:         56
        .size:           8
        .value_kind:     global_buffer
      - .offset:         64
        .size:           4
        .value_kind:     hidden_block_count_x
      - .offset:         68
        .size:           4
        .value_kind:     hidden_block_count_y
      - .offset:         72
        .size:           4
        .value_kind:     hidden_block_count_z
      - .offset:         76
        .size:           2
        .value_kind:     hidden_group_size_x
      - .offset:         78
        .size:           2
        .value_kind:     hidden_group_size_y
      - .offset:         80
        .size:           2
        .value_kind:     hidden_group_size_z
      - .offset:         82
        .size:           2
        .value_kind:     hidden_remainder_x
      - .offset:         84
        .size:           2
        .value_kind:     hidden_remainder_y
      - .offset:         86
        .size:           2
        .value_kind:     hidden_remainder_z
      - .offset:         104
        .size:           8
        .value_kind:     hidden_global_offset_x
      - .offset:         112
        .size:           8
        .value_kind:     hidden_global_offset_y
      - .offset:         120
        .size:           8
        .value_kind:     hidden_global_offset_z
      - .offset:         128
        .size:           2
        .value_kind:     hidden_grid_dims
    .group_segment_fixed_size: 1796
    .kernarg_segment_align: 8
    .kernarg_segment_size: 320
    .language:       OpenCL C
    .language_version:
      - 2
      - 0
    .max_flat_workgroup_size: 128
    .name:           _Z35paged_attention_ll4mi_reduce_kernelI14__hip_bfloat16hLi128ELi128ELi256ELi14EEvPT0_PKfS4_PKT_PKiS9_iS4_
    .private_segment_fixed_size: 0
    .sgpr_count:     51
    .sgpr_spill_count: 0
    .symbol:         _Z35paged_attention_ll4mi_reduce_kernelI14__hip_bfloat16hLi128ELi128ELi256ELi14EEvPT0_PKfS4_PKT_PKiS9_iS4_.kd
    .uniform_work_group_size: 1
    .uses_dynamic_stack: false
    .vgpr_count:     77
    .vgpr_spill_count: 0
    .wavefront_size: 32
    .workgroup_processor_mode: 1
  - .args:
      - .actual_access:  write_only
        .address_space:  global
        .offset:         0
        .size:           8
        .value_kind:     global_buffer
      - .actual_access:  read_only
        .address_space:  global
        .offset:         8
        .size:           8
        .value_kind:     global_buffer
      - .actual_access:  read_only
        .address_space:  global
        .offset:         16
        .size:           8
        .value_kind:     global_buffer
      - .actual_access:  read_only
        .address_space:  global
        .offset:         24
        .size:           8
        .value_kind:     global_buffer
      - .actual_access:  read_only
        .address_space:  global
        .offset:         32
        .size:           8
        .value_kind:     global_buffer
      - .actual_access:  read_only
        .address_space:  global
        .offset:         40
        .size:           8
        .value_kind:     global_buffer
      - .offset:         48
        .size:           4
        .value_kind:     by_value
      - .actual_access:  read_only
        .address_space:  global
        .offset:         56
        .size:           8
        .value_kind:     global_buffer
      - .offset:         64
        .size:           4
        .value_kind:     hidden_block_count_x
      - .offset:         68
        .size:           4
        .value_kind:     hidden_block_count_y
      - .offset:         72
        .size:           4
        .value_kind:     hidden_block_count_z
      - .offset:         76
        .size:           2
        .value_kind:     hidden_group_size_x
      - .offset:         78
        .size:           2
        .value_kind:     hidden_group_size_y
      - .offset:         80
        .size:           2
        .value_kind:     hidden_group_size_z
      - .offset:         82
        .size:           2
        .value_kind:     hidden_remainder_x
      - .offset:         84
        .size:           2
        .value_kind:     hidden_remainder_y
      - .offset:         86
        .size:           2
        .value_kind:     hidden_remainder_z
      - .offset:         104
        .size:           8
        .value_kind:     hidden_global_offset_x
      - .offset:         112
        .size:           8
        .value_kind:     hidden_global_offset_y
      - .offset:         120
        .size:           8
        .value_kind:     hidden_global_offset_z
      - .offset:         128
        .size:           2
        .value_kind:     hidden_grid_dims
    .group_segment_fixed_size: 1924
    .kernarg_segment_align: 8
    .kernarg_segment_size: 320
    .language:       OpenCL C
    .language_version:
      - 2
      - 0
    .max_flat_workgroup_size: 128
    .name:           _Z35paged_attention_ll4mi_reduce_kernelI14__hip_bfloat16hLi128ELi128ELi256ELi15EEvPT0_PKfS4_PKT_PKiS9_iS4_
    .private_segment_fixed_size: 0
    .sgpr_count:     51
    .sgpr_spill_count: 0
    .symbol:         _Z35paged_attention_ll4mi_reduce_kernelI14__hip_bfloat16hLi128ELi128ELi256ELi15EEvPT0_PKfS4_PKT_PKiS9_iS4_.kd
    .uniform_work_group_size: 1
    .uses_dynamic_stack: false
    .vgpr_count:     77
    .vgpr_spill_count: 0
    .wavefront_size: 32
    .workgroup_processor_mode: 1
  - .args:
      - .actual_access:  write_only
        .address_space:  global
        .offset:         0
        .size:           8
        .value_kind:     global_buffer
      - .actual_access:  read_only
        .address_space:  global
        .offset:         8
        .size:           8
        .value_kind:     global_buffer
      - .actual_access:  read_only
        .address_space:  global
        .offset:         16
        .size:           8
        .value_kind:     global_buffer
      - .actual_access:  read_only
        .address_space:  global
        .offset:         24
        .size:           8
        .value_kind:     global_buffer
      - .actual_access:  read_only
        .address_space:  global
        .offset:         32
        .size:           8
        .value_kind:     global_buffer
      - .actual_access:  read_only
        .address_space:  global
        .offset:         40
        .size:           8
        .value_kind:     global_buffer
      - .offset:         48
        .size:           4
        .value_kind:     by_value
      - .actual_access:  read_only
        .address_space:  global
        .offset:         56
        .size:           8
        .value_kind:     global_buffer
      - .offset:         64
        .size:           4
        .value_kind:     hidden_block_count_x
      - .offset:         68
        .size:           4
        .value_kind:     hidden_block_count_y
      - .offset:         72
        .size:           4
        .value_kind:     hidden_block_count_z
      - .offset:         76
        .size:           2
        .value_kind:     hidden_group_size_x
      - .offset:         78
        .size:           2
        .value_kind:     hidden_group_size_y
      - .offset:         80
        .size:           2
        .value_kind:     hidden_group_size_z
      - .offset:         82
        .size:           2
        .value_kind:     hidden_remainder_x
      - .offset:         84
        .size:           2
        .value_kind:     hidden_remainder_y
      - .offset:         86
        .size:           2
        .value_kind:     hidden_remainder_z
      - .offset:         104
        .size:           8
        .value_kind:     hidden_global_offset_x
      - .offset:         112
        .size:           8
        .value_kind:     hidden_global_offset_y
      - .offset:         120
        .size:           8
        .value_kind:     hidden_global_offset_z
      - .offset:         128
        .size:           2
        .value_kind:     hidden_grid_dims
    .group_segment_fixed_size: 2052
    .kernarg_segment_align: 8
    .kernarg_segment_size: 320
    .language:       OpenCL C
    .language_version:
      - 2
      - 0
    .max_flat_workgroup_size: 128
    .name:           _Z35paged_attention_ll4mi_reduce_kernelI14__hip_bfloat16hLi128ELi128ELi256ELi16EEvPT0_PKfS4_PKT_PKiS9_iS4_
    .private_segment_fixed_size: 0
    .sgpr_count:     51
    .sgpr_spill_count: 0
    .symbol:         _Z35paged_attention_ll4mi_reduce_kernelI14__hip_bfloat16hLi128ELi128ELi256ELi16EEvPT0_PKfS4_PKT_PKiS9_iS4_.kd
    .uniform_work_group_size: 1
    .uses_dynamic_stack: false
    .vgpr_count:     87
    .vgpr_spill_count: 0
    .wavefront_size: 32
    .workgroup_processor_mode: 1
  - .args:
      - .actual_access:  read_only
        .address_space:  global
        .offset:         0
        .size:           8
        .value_kind:     global_buffer
      - .actual_access:  read_only
        .address_space:  global
        .offset:         8
        .size:           8
        .value_kind:     global_buffer
      - .actual_access:  read_only
        .address_space:  global
        .offset:         16
        .size:           8
        .value_kind:     global_buffer
      - .offset:         24
        .size:           4
        .value_kind:     by_value
      - .offset:         28
        .size:           4
        .value_kind:     by_value
      - .actual_access:  read_only
        .address_space:  global
        .offset:         32
        .size:           8
        .value_kind:     global_buffer
      - .actual_access:  read_only
        .address_space:  global
        .offset:         40
        .size:           8
        .value_kind:     global_buffer
      - .actual_access:  read_only
        .address_space:  global
        .offset:         48
        .size:           8
        .value_kind:     global_buffer
      - .offset:         56
        .size:           4
        .value_kind:     by_value
      - .actual_access:  read_only
        .address_space:  global
        .offset:         64
        .size:           8
        .value_kind:     global_buffer
      - .offset:         72
        .size:           4
        .value_kind:     by_value
      - .offset:         76
        .size:           4
        .value_kind:     by_value
      - .offset:         80
        .size:           4
        .value_kind:     by_value
      - .actual_access:  read_only
        .address_space:  global
        .offset:         88
        .size:           8
        .value_kind:     global_buffer
      - .actual_access:  read_only
        .address_space:  global
        .offset:         96
        .size:           8
        .value_kind:     global_buffer
      - .actual_access:  read_only
        .address_space:  global
        .offset:         104
        .size:           8
        .value_kind:     global_buffer
      - .actual_access:  read_only
        .address_space:  global
        .offset:         112
        .size:           8
        .value_kind:     global_buffer
      - .offset:         120
        .size:           4
        .value_kind:     by_value
      - .address_space:  global
        .offset:         128
        .size:           8
        .value_kind:     global_buffer
      - .address_space:  global
        .offset:         136
        .size:           8
        .value_kind:     global_buffer
      - .offset:         144
        .size:           4
        .value_kind:     hidden_block_count_x
      - .offset:         148
        .size:           4
        .value_kind:     hidden_block_count_y
      - .offset:         152
        .size:           4
        .value_kind:     hidden_block_count_z
      - .offset:         156
        .size:           2
        .value_kind:     hidden_group_size_x
      - .offset:         158
        .size:           2
        .value_kind:     hidden_group_size_y
      - .offset:         160
        .size:           2
        .value_kind:     hidden_group_size_z
      - .offset:         162
        .size:           2
        .value_kind:     hidden_remainder_x
      - .offset:         164
        .size:           2
        .value_kind:     hidden_remainder_y
      - .offset:         166
        .size:           2
        .value_kind:     hidden_remainder_z
      - .offset:         184
        .size:           8
        .value_kind:     hidden_global_offset_x
      - .offset:         192
        .size:           8
        .value_kind:     hidden_global_offset_y
      - .offset:         200
        .size:           8
        .value_kind:     hidden_global_offset_z
      - .offset:         208
        .size:           2
        .value_kind:     hidden_grid_dims
      - .offset:         224
        .size:           8
        .value_kind:     hidden_hostcall_buffer
    .group_segment_fixed_size: 0
    .kernarg_segment_align: 8
    .kernarg_segment_size: 400
    .language:       OpenCL C
    .language_version:
      - 2
      - 0
    .max_flat_workgroup_size: 256
    .name:           _Z38paged_attention_ll4mi_QKV_mfma4_kernelI14__hip_bfloat16S0_LN4vllm18Fp8KVCacheDataTypeE0EhLi16ELi128ELi256ELb0ELi1EEvPKT_PKT0_S8_ifPKiSA_SA_iPKfiiiPfSD_PS3_PT2_iSC_SC_
    .private_segment_fixed_size: 64
    .sgpr_count:     36
    .sgpr_spill_count: 0
    .symbol:         _Z38paged_attention_ll4mi_QKV_mfma4_kernelI14__hip_bfloat16S0_LN4vllm18Fp8KVCacheDataTypeE0EhLi16ELi128ELi256ELb0ELi1EEvPKT_PKT0_S8_ifPKiSA_SA_iPKfiiiPfSD_PS3_PT2_iSC_SC_.kd
    .uniform_work_group_size: 1
    .uses_dynamic_stack: false
    .vgpr_count:     41
    .vgpr_spill_count: 0
    .wavefront_size: 32
    .workgroup_processor_mode: 1
  - .args:
      - .actual_access:  read_only
        .address_space:  global
        .offset:         0
        .size:           8
        .value_kind:     global_buffer
      - .actual_access:  read_only
        .address_space:  global
        .offset:         8
        .size:           8
        .value_kind:     global_buffer
      - .actual_access:  read_only
        .address_space:  global
        .offset:         16
        .size:           8
        .value_kind:     global_buffer
      - .offset:         24
        .size:           4
        .value_kind:     by_value
      - .offset:         28
        .size:           4
        .value_kind:     by_value
      - .actual_access:  read_only
        .address_space:  global
        .offset:         32
        .size:           8
        .value_kind:     global_buffer
      - .actual_access:  read_only
        .address_space:  global
        .offset:         40
        .size:           8
        .value_kind:     global_buffer
      - .actual_access:  read_only
        .address_space:  global
        .offset:         48
        .size:           8
        .value_kind:     global_buffer
      - .offset:         56
        .size:           4
        .value_kind:     by_value
      - .actual_access:  read_only
        .address_space:  global
        .offset:         64
        .size:           8
        .value_kind:     global_buffer
      - .offset:         72
        .size:           4
        .value_kind:     by_value
      - .offset:         76
        .size:           4
        .value_kind:     by_value
      - .offset:         80
        .size:           4
        .value_kind:     by_value
      - .actual_access:  read_only
        .address_space:  global
        .offset:         88
        .size:           8
        .value_kind:     global_buffer
      - .actual_access:  read_only
        .address_space:  global
        .offset:         96
        .size:           8
        .value_kind:     global_buffer
      - .actual_access:  read_only
        .address_space:  global
        .offset:         104
        .size:           8
        .value_kind:     global_buffer
      - .actual_access:  read_only
        .address_space:  global
        .offset:         112
        .size:           8
        .value_kind:     global_buffer
      - .offset:         120
        .size:           4
        .value_kind:     by_value
      - .address_space:  global
        .offset:         128
        .size:           8
        .value_kind:     global_buffer
      - .address_space:  global
        .offset:         136
        .size:           8
        .value_kind:     global_buffer
      - .offset:         144
        .size:           4
        .value_kind:     hidden_block_count_x
      - .offset:         148
        .size:           4
        .value_kind:     hidden_block_count_y
      - .offset:         152
        .size:           4
        .value_kind:     hidden_block_count_z
      - .offset:         156
        .size:           2
        .value_kind:     hidden_group_size_x
      - .offset:         158
        .size:           2
        .value_kind:     hidden_group_size_y
      - .offset:         160
        .size:           2
        .value_kind:     hidden_group_size_z
      - .offset:         162
        .size:           2
        .value_kind:     hidden_remainder_x
      - .offset:         164
        .size:           2
        .value_kind:     hidden_remainder_y
      - .offset:         166
        .size:           2
        .value_kind:     hidden_remainder_z
      - .offset:         184
        .size:           8
        .value_kind:     hidden_global_offset_x
      - .offset:         192
        .size:           8
        .value_kind:     hidden_global_offset_y
      - .offset:         200
        .size:           8
        .value_kind:     hidden_global_offset_z
      - .offset:         208
        .size:           2
        .value_kind:     hidden_grid_dims
      - .offset:         224
        .size:           8
        .value_kind:     hidden_hostcall_buffer
    .group_segment_fixed_size: 0
    .kernarg_segment_align: 8
    .kernarg_segment_size: 400
    .language:       OpenCL C
    .language_version:
      - 2
      - 0
    .max_flat_workgroup_size: 256
    .name:           _Z38paged_attention_ll4mi_QKV_mfma4_kernelI14__hip_bfloat16S0_LN4vllm18Fp8KVCacheDataTypeE0EhLi16ELi128ELi256ELb0ELi2EEvPKT_PKT0_S8_ifPKiSA_SA_iPKfiiiPfSD_PS3_PT2_iSC_SC_
    .private_segment_fixed_size: 64
    .sgpr_count:     36
    .sgpr_spill_count: 0
    .symbol:         _Z38paged_attention_ll4mi_QKV_mfma4_kernelI14__hip_bfloat16S0_LN4vllm18Fp8KVCacheDataTypeE0EhLi16ELi128ELi256ELb0ELi2EEvPKT_PKT0_S8_ifPKiSA_SA_iPKfiiiPfSD_PS3_PT2_iSC_SC_.kd
    .uniform_work_group_size: 1
    .uses_dynamic_stack: false
    .vgpr_count:     41
    .vgpr_spill_count: 0
    .wavefront_size: 32
    .workgroup_processor_mode: 1
  - .args:
      - .actual_access:  read_only
        .address_space:  global
        .offset:         0
        .size:           8
        .value_kind:     global_buffer
      - .actual_access:  read_only
        .address_space:  global
        .offset:         8
        .size:           8
        .value_kind:     global_buffer
      - .actual_access:  read_only
        .address_space:  global
        .offset:         16
        .size:           8
        .value_kind:     global_buffer
      - .offset:         24
        .size:           4
        .value_kind:     by_value
      - .offset:         28
        .size:           4
        .value_kind:     by_value
      - .actual_access:  read_only
        .address_space:  global
        .offset:         32
        .size:           8
        .value_kind:     global_buffer
      - .actual_access:  read_only
        .address_space:  global
        .offset:         40
        .size:           8
        .value_kind:     global_buffer
      - .actual_access:  read_only
        .address_space:  global
        .offset:         48
        .size:           8
        .value_kind:     global_buffer
      - .offset:         56
        .size:           4
        .value_kind:     by_value
      - .actual_access:  read_only
        .address_space:  global
        .offset:         64
        .size:           8
        .value_kind:     global_buffer
      - .offset:         72
        .size:           4
        .value_kind:     by_value
      - .offset:         76
        .size:           4
        .value_kind:     by_value
      - .offset:         80
        .size:           4
        .value_kind:     by_value
      - .actual_access:  read_only
        .address_space:  global
        .offset:         88
        .size:           8
        .value_kind:     global_buffer
      - .actual_access:  read_only
        .address_space:  global
        .offset:         96
        .size:           8
        .value_kind:     global_buffer
      - .actual_access:  read_only
        .address_space:  global
        .offset:         104
        .size:           8
        .value_kind:     global_buffer
      - .actual_access:  read_only
        .address_space:  global
        .offset:         112
        .size:           8
        .value_kind:     global_buffer
      - .offset:         120
        .size:           4
        .value_kind:     by_value
      - .address_space:  global
        .offset:         128
        .size:           8
        .value_kind:     global_buffer
      - .address_space:  global
        .offset:         136
        .size:           8
        .value_kind:     global_buffer
      - .offset:         144
        .size:           4
        .value_kind:     hidden_block_count_x
      - .offset:         148
        .size:           4
        .value_kind:     hidden_block_count_y
      - .offset:         152
        .size:           4
        .value_kind:     hidden_block_count_z
      - .offset:         156
        .size:           2
        .value_kind:     hidden_group_size_x
      - .offset:         158
        .size:           2
        .value_kind:     hidden_group_size_y
      - .offset:         160
        .size:           2
        .value_kind:     hidden_group_size_z
      - .offset:         162
        .size:           2
        .value_kind:     hidden_remainder_x
      - .offset:         164
        .size:           2
        .value_kind:     hidden_remainder_y
      - .offset:         166
        .size:           2
        .value_kind:     hidden_remainder_z
      - .offset:         184
        .size:           8
        .value_kind:     hidden_global_offset_x
      - .offset:         192
        .size:           8
        .value_kind:     hidden_global_offset_y
      - .offset:         200
        .size:           8
        .value_kind:     hidden_global_offset_z
      - .offset:         208
        .size:           2
        .value_kind:     hidden_grid_dims
      - .offset:         224
        .size:           8
        .value_kind:     hidden_hostcall_buffer
    .group_segment_fixed_size: 0
    .kernarg_segment_align: 8
    .kernarg_segment_size: 400
    .language:       OpenCL C
    .language_version:
      - 2
      - 0
    .max_flat_workgroup_size: 256
    .name:           _Z38paged_attention_ll4mi_QKV_mfma4_kernelI14__hip_bfloat16S0_LN4vllm18Fp8KVCacheDataTypeE0EhLi16ELi128ELi256ELb0ELi3EEvPKT_PKT0_S8_ifPKiSA_SA_iPKfiiiPfSD_PS3_PT2_iSC_SC_
    .private_segment_fixed_size: 64
    .sgpr_count:     36
    .sgpr_spill_count: 0
    .symbol:         _Z38paged_attention_ll4mi_QKV_mfma4_kernelI14__hip_bfloat16S0_LN4vllm18Fp8KVCacheDataTypeE0EhLi16ELi128ELi256ELb0ELi3EEvPKT_PKT0_S8_ifPKiSA_SA_iPKfiiiPfSD_PS3_PT2_iSC_SC_.kd
    .uniform_work_group_size: 1
    .uses_dynamic_stack: false
    .vgpr_count:     41
    .vgpr_spill_count: 0
    .wavefront_size: 32
    .workgroup_processor_mode: 1
  - .args:
      - .actual_access:  read_only
        .address_space:  global
        .offset:         0
        .size:           8
        .value_kind:     global_buffer
      - .actual_access:  read_only
        .address_space:  global
        .offset:         8
        .size:           8
        .value_kind:     global_buffer
      - .actual_access:  read_only
        .address_space:  global
        .offset:         16
        .size:           8
        .value_kind:     global_buffer
      - .offset:         24
        .size:           4
        .value_kind:     by_value
      - .offset:         28
        .size:           4
        .value_kind:     by_value
      - .actual_access:  read_only
        .address_space:  global
        .offset:         32
        .size:           8
        .value_kind:     global_buffer
      - .actual_access:  read_only
        .address_space:  global
        .offset:         40
        .size:           8
        .value_kind:     global_buffer
      - .actual_access:  read_only
        .address_space:  global
        .offset:         48
        .size:           8
        .value_kind:     global_buffer
      - .offset:         56
        .size:           4
        .value_kind:     by_value
      - .actual_access:  read_only
        .address_space:  global
        .offset:         64
        .size:           8
        .value_kind:     global_buffer
      - .offset:         72
        .size:           4
        .value_kind:     by_value
      - .offset:         76
        .size:           4
        .value_kind:     by_value
      - .offset:         80
        .size:           4
        .value_kind:     by_value
      - .actual_access:  read_only
        .address_space:  global
        .offset:         88
        .size:           8
        .value_kind:     global_buffer
      - .actual_access:  read_only
        .address_space:  global
        .offset:         96
        .size:           8
        .value_kind:     global_buffer
      - .actual_access:  read_only
        .address_space:  global
        .offset:         104
        .size:           8
        .value_kind:     global_buffer
      - .actual_access:  read_only
        .address_space:  global
        .offset:         112
        .size:           8
        .value_kind:     global_buffer
      - .offset:         120
        .size:           4
        .value_kind:     by_value
      - .address_space:  global
        .offset:         128
        .size:           8
        .value_kind:     global_buffer
      - .address_space:  global
        .offset:         136
        .size:           8
        .value_kind:     global_buffer
      - .offset:         144
        .size:           4
        .value_kind:     hidden_block_count_x
      - .offset:         148
        .size:           4
        .value_kind:     hidden_block_count_y
      - .offset:         152
        .size:           4
        .value_kind:     hidden_block_count_z
      - .offset:         156
        .size:           2
        .value_kind:     hidden_group_size_x
      - .offset:         158
        .size:           2
        .value_kind:     hidden_group_size_y
      - .offset:         160
        .size:           2
        .value_kind:     hidden_group_size_z
      - .offset:         162
        .size:           2
        .value_kind:     hidden_remainder_x
      - .offset:         164
        .size:           2
        .value_kind:     hidden_remainder_y
      - .offset:         166
        .size:           2
        .value_kind:     hidden_remainder_z
      - .offset:         184
        .size:           8
        .value_kind:     hidden_global_offset_x
      - .offset:         192
        .size:           8
        .value_kind:     hidden_global_offset_y
      - .offset:         200
        .size:           8
        .value_kind:     hidden_global_offset_z
      - .offset:         208
        .size:           2
        .value_kind:     hidden_grid_dims
      - .offset:         224
        .size:           8
        .value_kind:     hidden_hostcall_buffer
    .group_segment_fixed_size: 0
    .kernarg_segment_align: 8
    .kernarg_segment_size: 400
    .language:       OpenCL C
    .language_version:
      - 2
      - 0
    .max_flat_workgroup_size: 256
    .name:           _Z38paged_attention_ll4mi_QKV_mfma4_kernelI14__hip_bfloat16S0_LN4vllm18Fp8KVCacheDataTypeE0EhLi16ELi128ELi256ELb0ELi4EEvPKT_PKT0_S8_ifPKiSA_SA_iPKfiiiPfSD_PS3_PT2_iSC_SC_
    .private_segment_fixed_size: 64
    .sgpr_count:     36
    .sgpr_spill_count: 0
    .symbol:         _Z38paged_attention_ll4mi_QKV_mfma4_kernelI14__hip_bfloat16S0_LN4vllm18Fp8KVCacheDataTypeE0EhLi16ELi128ELi256ELb0ELi4EEvPKT_PKT0_S8_ifPKiSA_SA_iPKfiiiPfSD_PS3_PT2_iSC_SC_.kd
    .uniform_work_group_size: 1
    .uses_dynamic_stack: false
    .vgpr_count:     41
    .vgpr_spill_count: 0
    .wavefront_size: 32
    .workgroup_processor_mode: 1
  - .args:
      - .actual_access:  read_only
        .address_space:  global
        .offset:         0
        .size:           8
        .value_kind:     global_buffer
      - .actual_access:  read_only
        .address_space:  global
        .offset:         8
        .size:           8
        .value_kind:     global_buffer
      - .actual_access:  read_only
        .address_space:  global
        .offset:         16
        .size:           8
        .value_kind:     global_buffer
      - .offset:         24
        .size:           4
        .value_kind:     by_value
      - .offset:         28
        .size:           4
        .value_kind:     by_value
      - .actual_access:  read_only
        .address_space:  global
        .offset:         32
        .size:           8
        .value_kind:     global_buffer
      - .actual_access:  read_only
        .address_space:  global
        .offset:         40
        .size:           8
        .value_kind:     global_buffer
      - .actual_access:  read_only
        .address_space:  global
        .offset:         48
        .size:           8
        .value_kind:     global_buffer
      - .offset:         56
        .size:           4
        .value_kind:     by_value
      - .actual_access:  read_only
        .address_space:  global
        .offset:         64
        .size:           8
        .value_kind:     global_buffer
      - .offset:         72
        .size:           4
        .value_kind:     by_value
      - .offset:         76
        .size:           4
        .value_kind:     by_value
      - .offset:         80
        .size:           4
        .value_kind:     by_value
      - .actual_access:  write_only
        .address_space:  global
        .offset:         88
        .size:           8
        .value_kind:     global_buffer
      - .actual_access:  write_only
        .address_space:  global
        .offset:         96
        .size:           8
        .value_kind:     global_buffer
      - .actual_access:  write_only
        .address_space:  global
        .offset:         104
        .size:           8
        .value_kind:     global_buffer
      - .actual_access:  read_only
        .address_space:  global
        .offset:         112
        .size:           8
        .value_kind:     global_buffer
      - .offset:         120
        .size:           4
        .value_kind:     by_value
      - .address_space:  global
        .offset:         128
        .size:           8
        .value_kind:     global_buffer
      - .address_space:  global
        .offset:         136
        .size:           8
        .value_kind:     global_buffer
      - .offset:         144
        .size:           4
        .value_kind:     hidden_block_count_x
      - .offset:         148
        .size:           4
        .value_kind:     hidden_block_count_y
      - .offset:         152
        .size:           4
        .value_kind:     hidden_block_count_z
      - .offset:         156
        .size:           2
        .value_kind:     hidden_group_size_x
      - .offset:         158
        .size:           2
        .value_kind:     hidden_group_size_y
      - .offset:         160
        .size:           2
        .value_kind:     hidden_group_size_z
      - .offset:         162
        .size:           2
        .value_kind:     hidden_remainder_x
      - .offset:         164
        .size:           2
        .value_kind:     hidden_remainder_y
      - .offset:         166
        .size:           2
        .value_kind:     hidden_remainder_z
      - .offset:         184
        .size:           8
        .value_kind:     hidden_global_offset_x
      - .offset:         192
        .size:           8
        .value_kind:     hidden_global_offset_y
      - .offset:         200
        .size:           8
        .value_kind:     hidden_global_offset_z
      - .offset:         208
        .size:           2
        .value_kind:     hidden_grid_dims
    .group_segment_fixed_size: 17472
    .kernarg_segment_align: 8
    .kernarg_segment_size: 400
    .language:       OpenCL C
    .language_version:
      - 2
      - 0
    .max_flat_workgroup_size: 256
    .name:           _Z39paged_attention_ll4mi_QKV_mfma16_kernelI14__hip_bfloat16S0_LN4vllm18Fp8KVCacheDataTypeE0EhLi16ELi128ELi256ELb0ELi5EL8MFMAType0EEvPKT_PKT0_S9_ifPKiSB_SB_iPKfiiiPfSE_PS4_PT2_iSD_SD_
    .private_segment_fixed_size: 0
    .sgpr_count:     52
    .sgpr_spill_count: 0
    .symbol:         _Z39paged_attention_ll4mi_QKV_mfma16_kernelI14__hip_bfloat16S0_LN4vllm18Fp8KVCacheDataTypeE0EhLi16ELi128ELi256ELb0ELi5EL8MFMAType0EEvPKT_PKT0_S9_ifPKiSB_SB_iPKfiiiPfSE_PS4_PT2_iSD_SD_.kd
    .uniform_work_group_size: 1
    .uses_dynamic_stack: false
    .vgpr_count:     218
    .vgpr_spill_count: 0
    .wavefront_size: 32
    .workgroup_processor_mode: 1
  - .args:
      - .actual_access:  read_only
        .address_space:  global
        .offset:         0
        .size:           8
        .value_kind:     global_buffer
      - .actual_access:  read_only
        .address_space:  global
        .offset:         8
        .size:           8
        .value_kind:     global_buffer
      - .actual_access:  read_only
        .address_space:  global
        .offset:         16
        .size:           8
        .value_kind:     global_buffer
      - .offset:         24
        .size:           4
        .value_kind:     by_value
      - .offset:         28
        .size:           4
        .value_kind:     by_value
      - .actual_access:  read_only
        .address_space:  global
        .offset:         32
        .size:           8
        .value_kind:     global_buffer
      - .actual_access:  read_only
        .address_space:  global
        .offset:         40
        .size:           8
        .value_kind:     global_buffer
      - .actual_access:  read_only
        .address_space:  global
        .offset:         48
        .size:           8
        .value_kind:     global_buffer
      - .offset:         56
        .size:           4
        .value_kind:     by_value
      - .actual_access:  read_only
        .address_space:  global
        .offset:         64
        .size:           8
        .value_kind:     global_buffer
      - .offset:         72
        .size:           4
        .value_kind:     by_value
      - .offset:         76
        .size:           4
        .value_kind:     by_value
      - .offset:         80
        .size:           4
        .value_kind:     by_value
      - .actual_access:  write_only
        .address_space:  global
        .offset:         88
        .size:           8
        .value_kind:     global_buffer
      - .actual_access:  write_only
        .address_space:  global
        .offset:         96
        .size:           8
        .value_kind:     global_buffer
      - .actual_access:  write_only
        .address_space:  global
        .offset:         104
        .size:           8
        .value_kind:     global_buffer
      - .actual_access:  read_only
        .address_space:  global
        .offset:         112
        .size:           8
        .value_kind:     global_buffer
      - .offset:         120
        .size:           4
        .value_kind:     by_value
      - .address_space:  global
        .offset:         128
        .size:           8
        .value_kind:     global_buffer
      - .address_space:  global
        .offset:         136
        .size:           8
        .value_kind:     global_buffer
      - .offset:         144
        .size:           4
        .value_kind:     hidden_block_count_x
      - .offset:         148
        .size:           4
        .value_kind:     hidden_block_count_y
      - .offset:         152
        .size:           4
        .value_kind:     hidden_block_count_z
      - .offset:         156
        .size:           2
        .value_kind:     hidden_group_size_x
      - .offset:         158
        .size:           2
        .value_kind:     hidden_group_size_y
      - .offset:         160
        .size:           2
        .value_kind:     hidden_group_size_z
      - .offset:         162
        .size:           2
        .value_kind:     hidden_remainder_x
      - .offset:         164
        .size:           2
        .value_kind:     hidden_remainder_y
      - .offset:         166
        .size:           2
        .value_kind:     hidden_remainder_z
      - .offset:         184
        .size:           8
        .value_kind:     hidden_global_offset_x
      - .offset:         192
        .size:           8
        .value_kind:     hidden_global_offset_y
      - .offset:         200
        .size:           8
        .value_kind:     hidden_global_offset_z
      - .offset:         208
        .size:           2
        .value_kind:     hidden_grid_dims
    .group_segment_fixed_size: 17472
    .kernarg_segment_align: 8
    .kernarg_segment_size: 400
    .language:       OpenCL C
    .language_version:
      - 2
      - 0
    .max_flat_workgroup_size: 256
    .name:           _Z39paged_attention_ll4mi_QKV_mfma16_kernelI14__hip_bfloat16S0_LN4vllm18Fp8KVCacheDataTypeE0EhLi16ELi128ELi256ELb0ELi6EL8MFMAType0EEvPKT_PKT0_S9_ifPKiSB_SB_iPKfiiiPfSE_PS4_PT2_iSD_SD_
    .private_segment_fixed_size: 0
    .sgpr_count:     52
    .sgpr_spill_count: 0
    .symbol:         _Z39paged_attention_ll4mi_QKV_mfma16_kernelI14__hip_bfloat16S0_LN4vllm18Fp8KVCacheDataTypeE0EhLi16ELi128ELi256ELb0ELi6EL8MFMAType0EEvPKT_PKT0_S9_ifPKiSB_SB_iPKfiiiPfSE_PS4_PT2_iSD_SD_.kd
    .uniform_work_group_size: 1
    .uses_dynamic_stack: false
    .vgpr_count:     218
    .vgpr_spill_count: 0
    .wavefront_size: 32
    .workgroup_processor_mode: 1
  - .args:
      - .actual_access:  read_only
        .address_space:  global
        .offset:         0
        .size:           8
        .value_kind:     global_buffer
      - .actual_access:  read_only
        .address_space:  global
        .offset:         8
        .size:           8
        .value_kind:     global_buffer
      - .actual_access:  read_only
        .address_space:  global
        .offset:         16
        .size:           8
        .value_kind:     global_buffer
      - .offset:         24
        .size:           4
        .value_kind:     by_value
      - .offset:         28
        .size:           4
        .value_kind:     by_value
      - .actual_access:  read_only
        .address_space:  global
        .offset:         32
        .size:           8
        .value_kind:     global_buffer
      - .actual_access:  read_only
        .address_space:  global
        .offset:         40
        .size:           8
        .value_kind:     global_buffer
      - .actual_access:  read_only
        .address_space:  global
        .offset:         48
        .size:           8
        .value_kind:     global_buffer
      - .offset:         56
        .size:           4
        .value_kind:     by_value
      - .actual_access:  read_only
        .address_space:  global
        .offset:         64
        .size:           8
        .value_kind:     global_buffer
      - .offset:         72
        .size:           4
        .value_kind:     by_value
      - .offset:         76
        .size:           4
        .value_kind:     by_value
      - .offset:         80
        .size:           4
        .value_kind:     by_value
      - .actual_access:  write_only
        .address_space:  global
        .offset:         88
        .size:           8
        .value_kind:     global_buffer
      - .actual_access:  write_only
        .address_space:  global
        .offset:         96
        .size:           8
        .value_kind:     global_buffer
      - .actual_access:  write_only
        .address_space:  global
        .offset:         104
        .size:           8
        .value_kind:     global_buffer
      - .actual_access:  read_only
        .address_space:  global
        .offset:         112
        .size:           8
        .value_kind:     global_buffer
      - .offset:         120
        .size:           4
        .value_kind:     by_value
      - .address_space:  global
        .offset:         128
        .size:           8
        .value_kind:     global_buffer
      - .address_space:  global
        .offset:         136
        .size:           8
        .value_kind:     global_buffer
      - .offset:         144
        .size:           4
        .value_kind:     hidden_block_count_x
      - .offset:         148
        .size:           4
        .value_kind:     hidden_block_count_y
      - .offset:         152
        .size:           4
        .value_kind:     hidden_block_count_z
      - .offset:         156
        .size:           2
        .value_kind:     hidden_group_size_x
      - .offset:         158
        .size:           2
        .value_kind:     hidden_group_size_y
      - .offset:         160
        .size:           2
        .value_kind:     hidden_group_size_z
      - .offset:         162
        .size:           2
        .value_kind:     hidden_remainder_x
      - .offset:         164
        .size:           2
        .value_kind:     hidden_remainder_y
      - .offset:         166
        .size:           2
        .value_kind:     hidden_remainder_z
      - .offset:         184
        .size:           8
        .value_kind:     hidden_global_offset_x
      - .offset:         192
        .size:           8
        .value_kind:     hidden_global_offset_y
      - .offset:         200
        .size:           8
        .value_kind:     hidden_global_offset_z
      - .offset:         208
        .size:           2
        .value_kind:     hidden_grid_dims
    .group_segment_fixed_size: 17472
    .kernarg_segment_align: 8
    .kernarg_segment_size: 400
    .language:       OpenCL C
    .language_version:
      - 2
      - 0
    .max_flat_workgroup_size: 256
    .name:           _Z39paged_attention_ll4mi_QKV_mfma16_kernelI14__hip_bfloat16S0_LN4vllm18Fp8KVCacheDataTypeE0EhLi16ELi128ELi256ELb0ELi7EL8MFMAType0EEvPKT_PKT0_S9_ifPKiSB_SB_iPKfiiiPfSE_PS4_PT2_iSD_SD_
    .private_segment_fixed_size: 0
    .sgpr_count:     52
    .sgpr_spill_count: 0
    .symbol:         _Z39paged_attention_ll4mi_QKV_mfma16_kernelI14__hip_bfloat16S0_LN4vllm18Fp8KVCacheDataTypeE0EhLi16ELi128ELi256ELb0ELi7EL8MFMAType0EEvPKT_PKT0_S9_ifPKiSB_SB_iPKfiiiPfSE_PS4_PT2_iSD_SD_.kd
    .uniform_work_group_size: 1
    .uses_dynamic_stack: false
    .vgpr_count:     218
    .vgpr_spill_count: 0
    .wavefront_size: 32
    .workgroup_processor_mode: 1
  - .args:
      - .actual_access:  read_only
        .address_space:  global
        .offset:         0
        .size:           8
        .value_kind:     global_buffer
      - .actual_access:  read_only
        .address_space:  global
        .offset:         8
        .size:           8
        .value_kind:     global_buffer
      - .actual_access:  read_only
        .address_space:  global
        .offset:         16
        .size:           8
        .value_kind:     global_buffer
      - .offset:         24
        .size:           4
        .value_kind:     by_value
      - .offset:         28
        .size:           4
        .value_kind:     by_value
      - .actual_access:  read_only
        .address_space:  global
        .offset:         32
        .size:           8
        .value_kind:     global_buffer
      - .actual_access:  read_only
        .address_space:  global
        .offset:         40
        .size:           8
        .value_kind:     global_buffer
      - .actual_access:  read_only
        .address_space:  global
        .offset:         48
        .size:           8
        .value_kind:     global_buffer
      - .offset:         56
        .size:           4
        .value_kind:     by_value
      - .actual_access:  read_only
        .address_space:  global
        .offset:         64
        .size:           8
        .value_kind:     global_buffer
      - .offset:         72
        .size:           4
        .value_kind:     by_value
      - .offset:         76
        .size:           4
        .value_kind:     by_value
      - .offset:         80
        .size:           4
        .value_kind:     by_value
      - .actual_access:  write_only
        .address_space:  global
        .offset:         88
        .size:           8
        .value_kind:     global_buffer
      - .actual_access:  write_only
        .address_space:  global
        .offset:         96
        .size:           8
        .value_kind:     global_buffer
      - .actual_access:  write_only
        .address_space:  global
        .offset:         104
        .size:           8
        .value_kind:     global_buffer
      - .actual_access:  read_only
        .address_space:  global
        .offset:         112
        .size:           8
        .value_kind:     global_buffer
      - .offset:         120
        .size:           4
        .value_kind:     by_value
      - .address_space:  global
        .offset:         128
        .size:           8
        .value_kind:     global_buffer
      - .address_space:  global
        .offset:         136
        .size:           8
        .value_kind:     global_buffer
      - .offset:         144
        .size:           4
        .value_kind:     hidden_block_count_x
      - .offset:         148
        .size:           4
        .value_kind:     hidden_block_count_y
      - .offset:         152
        .size:           4
        .value_kind:     hidden_block_count_z
      - .offset:         156
        .size:           2
        .value_kind:     hidden_group_size_x
      - .offset:         158
        .size:           2
        .value_kind:     hidden_group_size_y
      - .offset:         160
        .size:           2
        .value_kind:     hidden_group_size_z
      - .offset:         162
        .size:           2
        .value_kind:     hidden_remainder_x
      - .offset:         164
        .size:           2
        .value_kind:     hidden_remainder_y
      - .offset:         166
        .size:           2
        .value_kind:     hidden_remainder_z
      - .offset:         184
        .size:           8
        .value_kind:     hidden_global_offset_x
      - .offset:         192
        .size:           8
        .value_kind:     hidden_global_offset_y
      - .offset:         200
        .size:           8
        .value_kind:     hidden_global_offset_z
      - .offset:         208
        .size:           2
        .value_kind:     hidden_grid_dims
    .group_segment_fixed_size: 17472
    .kernarg_segment_align: 8
    .kernarg_segment_size: 400
    .language:       OpenCL C
    .language_version:
      - 2
      - 0
    .max_flat_workgroup_size: 256
    .name:           _Z39paged_attention_ll4mi_QKV_mfma16_kernelI14__hip_bfloat16S0_LN4vllm18Fp8KVCacheDataTypeE0EhLi16ELi128ELi256ELb0ELi8EL8MFMAType0EEvPKT_PKT0_S9_ifPKiSB_SB_iPKfiiiPfSE_PS4_PT2_iSD_SD_
    .private_segment_fixed_size: 0
    .sgpr_count:     52
    .sgpr_spill_count: 0
    .symbol:         _Z39paged_attention_ll4mi_QKV_mfma16_kernelI14__hip_bfloat16S0_LN4vllm18Fp8KVCacheDataTypeE0EhLi16ELi128ELi256ELb0ELi8EL8MFMAType0EEvPKT_PKT0_S9_ifPKiSB_SB_iPKfiiiPfSE_PS4_PT2_iSD_SD_.kd
    .uniform_work_group_size: 1
    .uses_dynamic_stack: false
    .vgpr_count:     218
    .vgpr_spill_count: 0
    .wavefront_size: 32
    .workgroup_processor_mode: 1
  - .args:
      - .actual_access:  read_only
        .address_space:  global
        .offset:         0
        .size:           8
        .value_kind:     global_buffer
      - .actual_access:  read_only
        .address_space:  global
        .offset:         8
        .size:           8
        .value_kind:     global_buffer
      - .actual_access:  read_only
        .address_space:  global
        .offset:         16
        .size:           8
        .value_kind:     global_buffer
      - .offset:         24
        .size:           4
        .value_kind:     by_value
      - .offset:         28
        .size:           4
        .value_kind:     by_value
      - .actual_access:  read_only
        .address_space:  global
        .offset:         32
        .size:           8
        .value_kind:     global_buffer
      - .actual_access:  read_only
        .address_space:  global
        .offset:         40
        .size:           8
        .value_kind:     global_buffer
      - .actual_access:  read_only
        .address_space:  global
        .offset:         48
        .size:           8
        .value_kind:     global_buffer
      - .offset:         56
        .size:           4
        .value_kind:     by_value
      - .actual_access:  read_only
        .address_space:  global
        .offset:         64
        .size:           8
        .value_kind:     global_buffer
      - .offset:         72
        .size:           4
        .value_kind:     by_value
      - .offset:         76
        .size:           4
        .value_kind:     by_value
      - .offset:         80
        .size:           4
        .value_kind:     by_value
      - .actual_access:  write_only
        .address_space:  global
        .offset:         88
        .size:           8
        .value_kind:     global_buffer
      - .actual_access:  write_only
        .address_space:  global
        .offset:         96
        .size:           8
        .value_kind:     global_buffer
      - .actual_access:  write_only
        .address_space:  global
        .offset:         104
        .size:           8
        .value_kind:     global_buffer
      - .actual_access:  read_only
        .address_space:  global
        .offset:         112
        .size:           8
        .value_kind:     global_buffer
      - .offset:         120
        .size:           4
        .value_kind:     by_value
      - .address_space:  global
        .offset:         128
        .size:           8
        .value_kind:     global_buffer
      - .address_space:  global
        .offset:         136
        .size:           8
        .value_kind:     global_buffer
      - .offset:         144
        .size:           4
        .value_kind:     hidden_block_count_x
      - .offset:         148
        .size:           4
        .value_kind:     hidden_block_count_y
      - .offset:         152
        .size:           4
        .value_kind:     hidden_block_count_z
      - .offset:         156
        .size:           2
        .value_kind:     hidden_group_size_x
      - .offset:         158
        .size:           2
        .value_kind:     hidden_group_size_y
      - .offset:         160
        .size:           2
        .value_kind:     hidden_group_size_z
      - .offset:         162
        .size:           2
        .value_kind:     hidden_remainder_x
      - .offset:         164
        .size:           2
        .value_kind:     hidden_remainder_y
      - .offset:         166
        .size:           2
        .value_kind:     hidden_remainder_z
      - .offset:         184
        .size:           8
        .value_kind:     hidden_global_offset_x
      - .offset:         192
        .size:           8
        .value_kind:     hidden_global_offset_y
      - .offset:         200
        .size:           8
        .value_kind:     hidden_global_offset_z
      - .offset:         208
        .size:           2
        .value_kind:     hidden_grid_dims
    .group_segment_fixed_size: 17472
    .kernarg_segment_align: 8
    .kernarg_segment_size: 400
    .language:       OpenCL C
    .language_version:
      - 2
      - 0
    .max_flat_workgroup_size: 256
    .name:           _Z39paged_attention_ll4mi_QKV_mfma16_kernelI14__hip_bfloat16S0_LN4vllm18Fp8KVCacheDataTypeE0EhLi16ELi128ELi256ELb0ELi9EL8MFMAType0EEvPKT_PKT0_S9_ifPKiSB_SB_iPKfiiiPfSE_PS4_PT2_iSD_SD_
    .private_segment_fixed_size: 0
    .sgpr_count:     52
    .sgpr_spill_count: 0
    .symbol:         _Z39paged_attention_ll4mi_QKV_mfma16_kernelI14__hip_bfloat16S0_LN4vllm18Fp8KVCacheDataTypeE0EhLi16ELi128ELi256ELb0ELi9EL8MFMAType0EEvPKT_PKT0_S9_ifPKiSB_SB_iPKfiiiPfSE_PS4_PT2_iSD_SD_.kd
    .uniform_work_group_size: 1
    .uses_dynamic_stack: false
    .vgpr_count:     218
    .vgpr_spill_count: 0
    .wavefront_size: 32
    .workgroup_processor_mode: 1
  - .args:
      - .actual_access:  read_only
        .address_space:  global
        .offset:         0
        .size:           8
        .value_kind:     global_buffer
      - .actual_access:  read_only
        .address_space:  global
        .offset:         8
        .size:           8
        .value_kind:     global_buffer
      - .actual_access:  read_only
        .address_space:  global
        .offset:         16
        .size:           8
        .value_kind:     global_buffer
      - .offset:         24
        .size:           4
        .value_kind:     by_value
      - .offset:         28
        .size:           4
        .value_kind:     by_value
      - .actual_access:  read_only
        .address_space:  global
        .offset:         32
        .size:           8
        .value_kind:     global_buffer
      - .actual_access:  read_only
        .address_space:  global
        .offset:         40
        .size:           8
        .value_kind:     global_buffer
      - .actual_access:  read_only
        .address_space:  global
        .offset:         48
        .size:           8
        .value_kind:     global_buffer
      - .offset:         56
        .size:           4
        .value_kind:     by_value
      - .actual_access:  read_only
        .address_space:  global
        .offset:         64
        .size:           8
        .value_kind:     global_buffer
      - .offset:         72
        .size:           4
        .value_kind:     by_value
      - .offset:         76
        .size:           4
        .value_kind:     by_value
      - .offset:         80
        .size:           4
        .value_kind:     by_value
      - .actual_access:  write_only
        .address_space:  global
        .offset:         88
        .size:           8
        .value_kind:     global_buffer
      - .actual_access:  write_only
        .address_space:  global
        .offset:         96
        .size:           8
        .value_kind:     global_buffer
      - .actual_access:  write_only
        .address_space:  global
        .offset:         104
        .size:           8
        .value_kind:     global_buffer
      - .actual_access:  read_only
        .address_space:  global
        .offset:         112
        .size:           8
        .value_kind:     global_buffer
      - .offset:         120
        .size:           4
        .value_kind:     by_value
      - .address_space:  global
        .offset:         128
        .size:           8
        .value_kind:     global_buffer
      - .address_space:  global
        .offset:         136
        .size:           8
        .value_kind:     global_buffer
      - .offset:         144
        .size:           4
        .value_kind:     hidden_block_count_x
      - .offset:         148
        .size:           4
        .value_kind:     hidden_block_count_y
      - .offset:         152
        .size:           4
        .value_kind:     hidden_block_count_z
      - .offset:         156
        .size:           2
        .value_kind:     hidden_group_size_x
      - .offset:         158
        .size:           2
        .value_kind:     hidden_group_size_y
      - .offset:         160
        .size:           2
        .value_kind:     hidden_group_size_z
      - .offset:         162
        .size:           2
        .value_kind:     hidden_remainder_x
      - .offset:         164
        .size:           2
        .value_kind:     hidden_remainder_y
      - .offset:         166
        .size:           2
        .value_kind:     hidden_remainder_z
      - .offset:         184
        .size:           8
        .value_kind:     hidden_global_offset_x
      - .offset:         192
        .size:           8
        .value_kind:     hidden_global_offset_y
      - .offset:         200
        .size:           8
        .value_kind:     hidden_global_offset_z
      - .offset:         208
        .size:           2
        .value_kind:     hidden_grid_dims
    .group_segment_fixed_size: 17472
    .kernarg_segment_align: 8
    .kernarg_segment_size: 400
    .language:       OpenCL C
    .language_version:
      - 2
      - 0
    .max_flat_workgroup_size: 256
    .name:           _Z39paged_attention_ll4mi_QKV_mfma16_kernelI14__hip_bfloat16S0_LN4vllm18Fp8KVCacheDataTypeE0EhLi16ELi128ELi256ELb0ELi10EL8MFMAType0EEvPKT_PKT0_S9_ifPKiSB_SB_iPKfiiiPfSE_PS4_PT2_iSD_SD_
    .private_segment_fixed_size: 0
    .sgpr_count:     52
    .sgpr_spill_count: 0
    .symbol:         _Z39paged_attention_ll4mi_QKV_mfma16_kernelI14__hip_bfloat16S0_LN4vllm18Fp8KVCacheDataTypeE0EhLi16ELi128ELi256ELb0ELi10EL8MFMAType0EEvPKT_PKT0_S9_ifPKiSB_SB_iPKfiiiPfSE_PS4_PT2_iSD_SD_.kd
    .uniform_work_group_size: 1
    .uses_dynamic_stack: false
    .vgpr_count:     218
    .vgpr_spill_count: 0
    .wavefront_size: 32
    .workgroup_processor_mode: 1
  - .args:
      - .actual_access:  read_only
        .address_space:  global
        .offset:         0
        .size:           8
        .value_kind:     global_buffer
      - .actual_access:  read_only
        .address_space:  global
        .offset:         8
        .size:           8
        .value_kind:     global_buffer
      - .actual_access:  read_only
        .address_space:  global
        .offset:         16
        .size:           8
        .value_kind:     global_buffer
      - .offset:         24
        .size:           4
        .value_kind:     by_value
      - .offset:         28
        .size:           4
        .value_kind:     by_value
      - .actual_access:  read_only
        .address_space:  global
        .offset:         32
        .size:           8
        .value_kind:     global_buffer
      - .actual_access:  read_only
        .address_space:  global
        .offset:         40
        .size:           8
        .value_kind:     global_buffer
      - .actual_access:  read_only
        .address_space:  global
        .offset:         48
        .size:           8
        .value_kind:     global_buffer
      - .offset:         56
        .size:           4
        .value_kind:     by_value
      - .actual_access:  read_only
        .address_space:  global
        .offset:         64
        .size:           8
        .value_kind:     global_buffer
      - .offset:         72
        .size:           4
        .value_kind:     by_value
      - .offset:         76
        .size:           4
        .value_kind:     by_value
      - .offset:         80
        .size:           4
        .value_kind:     by_value
      - .actual_access:  write_only
        .address_space:  global
        .offset:         88
        .size:           8
        .value_kind:     global_buffer
      - .actual_access:  write_only
        .address_space:  global
        .offset:         96
        .size:           8
        .value_kind:     global_buffer
      - .actual_access:  write_only
        .address_space:  global
        .offset:         104
        .size:           8
        .value_kind:     global_buffer
      - .actual_access:  read_only
        .address_space:  global
        .offset:         112
        .size:           8
        .value_kind:     global_buffer
      - .offset:         120
        .size:           4
        .value_kind:     by_value
      - .address_space:  global
        .offset:         128
        .size:           8
        .value_kind:     global_buffer
      - .address_space:  global
        .offset:         136
        .size:           8
        .value_kind:     global_buffer
      - .offset:         144
        .size:           4
        .value_kind:     hidden_block_count_x
      - .offset:         148
        .size:           4
        .value_kind:     hidden_block_count_y
      - .offset:         152
        .size:           4
        .value_kind:     hidden_block_count_z
      - .offset:         156
        .size:           2
        .value_kind:     hidden_group_size_x
      - .offset:         158
        .size:           2
        .value_kind:     hidden_group_size_y
      - .offset:         160
        .size:           2
        .value_kind:     hidden_group_size_z
      - .offset:         162
        .size:           2
        .value_kind:     hidden_remainder_x
      - .offset:         164
        .size:           2
        .value_kind:     hidden_remainder_y
      - .offset:         166
        .size:           2
        .value_kind:     hidden_remainder_z
      - .offset:         184
        .size:           8
        .value_kind:     hidden_global_offset_x
      - .offset:         192
        .size:           8
        .value_kind:     hidden_global_offset_y
      - .offset:         200
        .size:           8
        .value_kind:     hidden_global_offset_z
      - .offset:         208
        .size:           2
        .value_kind:     hidden_grid_dims
    .group_segment_fixed_size: 17472
    .kernarg_segment_align: 8
    .kernarg_segment_size: 400
    .language:       OpenCL C
    .language_version:
      - 2
      - 0
    .max_flat_workgroup_size: 256
    .name:           _Z39paged_attention_ll4mi_QKV_mfma16_kernelI14__hip_bfloat16S0_LN4vllm18Fp8KVCacheDataTypeE0EhLi16ELi128ELi256ELb0ELi11EL8MFMAType0EEvPKT_PKT0_S9_ifPKiSB_SB_iPKfiiiPfSE_PS4_PT2_iSD_SD_
    .private_segment_fixed_size: 0
    .sgpr_count:     52
    .sgpr_spill_count: 0
    .symbol:         _Z39paged_attention_ll4mi_QKV_mfma16_kernelI14__hip_bfloat16S0_LN4vllm18Fp8KVCacheDataTypeE0EhLi16ELi128ELi256ELb0ELi11EL8MFMAType0EEvPKT_PKT0_S9_ifPKiSB_SB_iPKfiiiPfSE_PS4_PT2_iSD_SD_.kd
    .uniform_work_group_size: 1
    .uses_dynamic_stack: false
    .vgpr_count:     218
    .vgpr_spill_count: 0
    .wavefront_size: 32
    .workgroup_processor_mode: 1
  - .args:
      - .actual_access:  read_only
        .address_space:  global
        .offset:         0
        .size:           8
        .value_kind:     global_buffer
      - .actual_access:  read_only
        .address_space:  global
        .offset:         8
        .size:           8
        .value_kind:     global_buffer
      - .actual_access:  read_only
        .address_space:  global
        .offset:         16
        .size:           8
        .value_kind:     global_buffer
      - .offset:         24
        .size:           4
        .value_kind:     by_value
      - .offset:         28
        .size:           4
        .value_kind:     by_value
      - .actual_access:  read_only
        .address_space:  global
        .offset:         32
        .size:           8
        .value_kind:     global_buffer
      - .actual_access:  read_only
        .address_space:  global
        .offset:         40
        .size:           8
        .value_kind:     global_buffer
      - .actual_access:  read_only
        .address_space:  global
        .offset:         48
        .size:           8
        .value_kind:     global_buffer
      - .offset:         56
        .size:           4
        .value_kind:     by_value
      - .actual_access:  read_only
        .address_space:  global
        .offset:         64
        .size:           8
        .value_kind:     global_buffer
      - .offset:         72
        .size:           4
        .value_kind:     by_value
      - .offset:         76
        .size:           4
        .value_kind:     by_value
      - .offset:         80
        .size:           4
        .value_kind:     by_value
      - .actual_access:  write_only
        .address_space:  global
        .offset:         88
        .size:           8
        .value_kind:     global_buffer
      - .actual_access:  write_only
        .address_space:  global
        .offset:         96
        .size:           8
        .value_kind:     global_buffer
      - .actual_access:  write_only
        .address_space:  global
        .offset:         104
        .size:           8
        .value_kind:     global_buffer
      - .actual_access:  read_only
        .address_space:  global
        .offset:         112
        .size:           8
        .value_kind:     global_buffer
      - .offset:         120
        .size:           4
        .value_kind:     by_value
      - .address_space:  global
        .offset:         128
        .size:           8
        .value_kind:     global_buffer
      - .address_space:  global
        .offset:         136
        .size:           8
        .value_kind:     global_buffer
      - .offset:         144
        .size:           4
        .value_kind:     hidden_block_count_x
      - .offset:         148
        .size:           4
        .value_kind:     hidden_block_count_y
      - .offset:         152
        .size:           4
        .value_kind:     hidden_block_count_z
      - .offset:         156
        .size:           2
        .value_kind:     hidden_group_size_x
      - .offset:         158
        .size:           2
        .value_kind:     hidden_group_size_y
      - .offset:         160
        .size:           2
        .value_kind:     hidden_group_size_z
      - .offset:         162
        .size:           2
        .value_kind:     hidden_remainder_x
      - .offset:         164
        .size:           2
        .value_kind:     hidden_remainder_y
      - .offset:         166
        .size:           2
        .value_kind:     hidden_remainder_z
      - .offset:         184
        .size:           8
        .value_kind:     hidden_global_offset_x
      - .offset:         192
        .size:           8
        .value_kind:     hidden_global_offset_y
      - .offset:         200
        .size:           8
        .value_kind:     hidden_global_offset_z
      - .offset:         208
        .size:           2
        .value_kind:     hidden_grid_dims
    .group_segment_fixed_size: 17472
    .kernarg_segment_align: 8
    .kernarg_segment_size: 400
    .language:       OpenCL C
    .language_version:
      - 2
      - 0
    .max_flat_workgroup_size: 256
    .name:           _Z39paged_attention_ll4mi_QKV_mfma16_kernelI14__hip_bfloat16S0_LN4vllm18Fp8KVCacheDataTypeE0EhLi16ELi128ELi256ELb0ELi12EL8MFMAType0EEvPKT_PKT0_S9_ifPKiSB_SB_iPKfiiiPfSE_PS4_PT2_iSD_SD_
    .private_segment_fixed_size: 0
    .sgpr_count:     52
    .sgpr_spill_count: 0
    .symbol:         _Z39paged_attention_ll4mi_QKV_mfma16_kernelI14__hip_bfloat16S0_LN4vllm18Fp8KVCacheDataTypeE0EhLi16ELi128ELi256ELb0ELi12EL8MFMAType0EEvPKT_PKT0_S9_ifPKiSB_SB_iPKfiiiPfSE_PS4_PT2_iSD_SD_.kd
    .uniform_work_group_size: 1
    .uses_dynamic_stack: false
    .vgpr_count:     218
    .vgpr_spill_count: 0
    .wavefront_size: 32
    .workgroup_processor_mode: 1
  - .args:
      - .actual_access:  read_only
        .address_space:  global
        .offset:         0
        .size:           8
        .value_kind:     global_buffer
      - .actual_access:  read_only
        .address_space:  global
        .offset:         8
        .size:           8
        .value_kind:     global_buffer
      - .actual_access:  read_only
        .address_space:  global
        .offset:         16
        .size:           8
        .value_kind:     global_buffer
      - .offset:         24
        .size:           4
        .value_kind:     by_value
      - .offset:         28
        .size:           4
        .value_kind:     by_value
      - .actual_access:  read_only
        .address_space:  global
        .offset:         32
        .size:           8
        .value_kind:     global_buffer
      - .actual_access:  read_only
        .address_space:  global
        .offset:         40
        .size:           8
        .value_kind:     global_buffer
      - .actual_access:  read_only
        .address_space:  global
        .offset:         48
        .size:           8
        .value_kind:     global_buffer
      - .offset:         56
        .size:           4
        .value_kind:     by_value
      - .actual_access:  read_only
        .address_space:  global
        .offset:         64
        .size:           8
        .value_kind:     global_buffer
      - .offset:         72
        .size:           4
        .value_kind:     by_value
      - .offset:         76
        .size:           4
        .value_kind:     by_value
      - .offset:         80
        .size:           4
        .value_kind:     by_value
      - .actual_access:  write_only
        .address_space:  global
        .offset:         88
        .size:           8
        .value_kind:     global_buffer
      - .actual_access:  write_only
        .address_space:  global
        .offset:         96
        .size:           8
        .value_kind:     global_buffer
      - .actual_access:  write_only
        .address_space:  global
        .offset:         104
        .size:           8
        .value_kind:     global_buffer
      - .actual_access:  read_only
        .address_space:  global
        .offset:         112
        .size:           8
        .value_kind:     global_buffer
      - .offset:         120
        .size:           4
        .value_kind:     by_value
      - .address_space:  global
        .offset:         128
        .size:           8
        .value_kind:     global_buffer
      - .address_space:  global
        .offset:         136
        .size:           8
        .value_kind:     global_buffer
      - .offset:         144
        .size:           4
        .value_kind:     hidden_block_count_x
      - .offset:         148
        .size:           4
        .value_kind:     hidden_block_count_y
      - .offset:         152
        .size:           4
        .value_kind:     hidden_block_count_z
      - .offset:         156
        .size:           2
        .value_kind:     hidden_group_size_x
      - .offset:         158
        .size:           2
        .value_kind:     hidden_group_size_y
      - .offset:         160
        .size:           2
        .value_kind:     hidden_group_size_z
      - .offset:         162
        .size:           2
        .value_kind:     hidden_remainder_x
      - .offset:         164
        .size:           2
        .value_kind:     hidden_remainder_y
      - .offset:         166
        .size:           2
        .value_kind:     hidden_remainder_z
      - .offset:         184
        .size:           8
        .value_kind:     hidden_global_offset_x
      - .offset:         192
        .size:           8
        .value_kind:     hidden_global_offset_y
      - .offset:         200
        .size:           8
        .value_kind:     hidden_global_offset_z
      - .offset:         208
        .size:           2
        .value_kind:     hidden_grid_dims
    .group_segment_fixed_size: 17472
    .kernarg_segment_align: 8
    .kernarg_segment_size: 400
    .language:       OpenCL C
    .language_version:
      - 2
      - 0
    .max_flat_workgroup_size: 256
    .name:           _Z39paged_attention_ll4mi_QKV_mfma16_kernelI14__hip_bfloat16S0_LN4vllm18Fp8KVCacheDataTypeE0EhLi16ELi128ELi256ELb0ELi13EL8MFMAType0EEvPKT_PKT0_S9_ifPKiSB_SB_iPKfiiiPfSE_PS4_PT2_iSD_SD_
    .private_segment_fixed_size: 0
    .sgpr_count:     52
    .sgpr_spill_count: 0
    .symbol:         _Z39paged_attention_ll4mi_QKV_mfma16_kernelI14__hip_bfloat16S0_LN4vllm18Fp8KVCacheDataTypeE0EhLi16ELi128ELi256ELb0ELi13EL8MFMAType0EEvPKT_PKT0_S9_ifPKiSB_SB_iPKfiiiPfSE_PS4_PT2_iSD_SD_.kd
    .uniform_work_group_size: 1
    .uses_dynamic_stack: false
    .vgpr_count:     218
    .vgpr_spill_count: 0
    .wavefront_size: 32
    .workgroup_processor_mode: 1
  - .args:
      - .actual_access:  read_only
        .address_space:  global
        .offset:         0
        .size:           8
        .value_kind:     global_buffer
      - .actual_access:  read_only
        .address_space:  global
        .offset:         8
        .size:           8
        .value_kind:     global_buffer
      - .actual_access:  read_only
        .address_space:  global
        .offset:         16
        .size:           8
        .value_kind:     global_buffer
      - .offset:         24
        .size:           4
        .value_kind:     by_value
      - .offset:         28
        .size:           4
        .value_kind:     by_value
      - .actual_access:  read_only
        .address_space:  global
        .offset:         32
        .size:           8
        .value_kind:     global_buffer
      - .actual_access:  read_only
        .address_space:  global
        .offset:         40
        .size:           8
        .value_kind:     global_buffer
      - .actual_access:  read_only
        .address_space:  global
        .offset:         48
        .size:           8
        .value_kind:     global_buffer
      - .offset:         56
        .size:           4
        .value_kind:     by_value
      - .actual_access:  read_only
        .address_space:  global
        .offset:         64
        .size:           8
        .value_kind:     global_buffer
      - .offset:         72
        .size:           4
        .value_kind:     by_value
      - .offset:         76
        .size:           4
        .value_kind:     by_value
      - .offset:         80
        .size:           4
        .value_kind:     by_value
      - .actual_access:  write_only
        .address_space:  global
        .offset:         88
        .size:           8
        .value_kind:     global_buffer
      - .actual_access:  write_only
        .address_space:  global
        .offset:         96
        .size:           8
        .value_kind:     global_buffer
      - .actual_access:  write_only
        .address_space:  global
        .offset:         104
        .size:           8
        .value_kind:     global_buffer
      - .actual_access:  read_only
        .address_space:  global
        .offset:         112
        .size:           8
        .value_kind:     global_buffer
      - .offset:         120
        .size:           4
        .value_kind:     by_value
      - .address_space:  global
        .offset:         128
        .size:           8
        .value_kind:     global_buffer
      - .address_space:  global
        .offset:         136
        .size:           8
        .value_kind:     global_buffer
      - .offset:         144
        .size:           4
        .value_kind:     hidden_block_count_x
      - .offset:         148
        .size:           4
        .value_kind:     hidden_block_count_y
      - .offset:         152
        .size:           4
        .value_kind:     hidden_block_count_z
      - .offset:         156
        .size:           2
        .value_kind:     hidden_group_size_x
      - .offset:         158
        .size:           2
        .value_kind:     hidden_group_size_y
      - .offset:         160
        .size:           2
        .value_kind:     hidden_group_size_z
      - .offset:         162
        .size:           2
        .value_kind:     hidden_remainder_x
      - .offset:         164
        .size:           2
        .value_kind:     hidden_remainder_y
      - .offset:         166
        .size:           2
        .value_kind:     hidden_remainder_z
      - .offset:         184
        .size:           8
        .value_kind:     hidden_global_offset_x
      - .offset:         192
        .size:           8
        .value_kind:     hidden_global_offset_y
      - .offset:         200
        .size:           8
        .value_kind:     hidden_global_offset_z
      - .offset:         208
        .size:           2
        .value_kind:     hidden_grid_dims
    .group_segment_fixed_size: 17472
    .kernarg_segment_align: 8
    .kernarg_segment_size: 400
    .language:       OpenCL C
    .language_version:
      - 2
      - 0
    .max_flat_workgroup_size: 256
    .name:           _Z39paged_attention_ll4mi_QKV_mfma16_kernelI14__hip_bfloat16S0_LN4vllm18Fp8KVCacheDataTypeE0EhLi16ELi128ELi256ELb0ELi14EL8MFMAType0EEvPKT_PKT0_S9_ifPKiSB_SB_iPKfiiiPfSE_PS4_PT2_iSD_SD_
    .private_segment_fixed_size: 0
    .sgpr_count:     52
    .sgpr_spill_count: 0
    .symbol:         _Z39paged_attention_ll4mi_QKV_mfma16_kernelI14__hip_bfloat16S0_LN4vllm18Fp8KVCacheDataTypeE0EhLi16ELi128ELi256ELb0ELi14EL8MFMAType0EEvPKT_PKT0_S9_ifPKiSB_SB_iPKfiiiPfSE_PS4_PT2_iSD_SD_.kd
    .uniform_work_group_size: 1
    .uses_dynamic_stack: false
    .vgpr_count:     218
    .vgpr_spill_count: 0
    .wavefront_size: 32
    .workgroup_processor_mode: 1
  - .args:
      - .actual_access:  read_only
        .address_space:  global
        .offset:         0
        .size:           8
        .value_kind:     global_buffer
      - .actual_access:  read_only
        .address_space:  global
        .offset:         8
        .size:           8
        .value_kind:     global_buffer
      - .actual_access:  read_only
        .address_space:  global
        .offset:         16
        .size:           8
        .value_kind:     global_buffer
      - .offset:         24
        .size:           4
        .value_kind:     by_value
      - .offset:         28
        .size:           4
        .value_kind:     by_value
      - .actual_access:  read_only
        .address_space:  global
        .offset:         32
        .size:           8
        .value_kind:     global_buffer
      - .actual_access:  read_only
        .address_space:  global
        .offset:         40
        .size:           8
        .value_kind:     global_buffer
      - .actual_access:  read_only
        .address_space:  global
        .offset:         48
        .size:           8
        .value_kind:     global_buffer
      - .offset:         56
        .size:           4
        .value_kind:     by_value
      - .actual_access:  read_only
        .address_space:  global
        .offset:         64
        .size:           8
        .value_kind:     global_buffer
      - .offset:         72
        .size:           4
        .value_kind:     by_value
      - .offset:         76
        .size:           4
        .value_kind:     by_value
      - .offset:         80
        .size:           4
        .value_kind:     by_value
      - .actual_access:  write_only
        .address_space:  global
        .offset:         88
        .size:           8
        .value_kind:     global_buffer
      - .actual_access:  write_only
        .address_space:  global
        .offset:         96
        .size:           8
        .value_kind:     global_buffer
      - .actual_access:  write_only
        .address_space:  global
        .offset:         104
        .size:           8
        .value_kind:     global_buffer
      - .actual_access:  read_only
        .address_space:  global
        .offset:         112
        .size:           8
        .value_kind:     global_buffer
      - .offset:         120
        .size:           4
        .value_kind:     by_value
      - .address_space:  global
        .offset:         128
        .size:           8
        .value_kind:     global_buffer
      - .address_space:  global
        .offset:         136
        .size:           8
        .value_kind:     global_buffer
      - .offset:         144
        .size:           4
        .value_kind:     hidden_block_count_x
      - .offset:         148
        .size:           4
        .value_kind:     hidden_block_count_y
      - .offset:         152
        .size:           4
        .value_kind:     hidden_block_count_z
      - .offset:         156
        .size:           2
        .value_kind:     hidden_group_size_x
      - .offset:         158
        .size:           2
        .value_kind:     hidden_group_size_y
      - .offset:         160
        .size:           2
        .value_kind:     hidden_group_size_z
      - .offset:         162
        .size:           2
        .value_kind:     hidden_remainder_x
      - .offset:         164
        .size:           2
        .value_kind:     hidden_remainder_y
      - .offset:         166
        .size:           2
        .value_kind:     hidden_remainder_z
      - .offset:         184
        .size:           8
        .value_kind:     hidden_global_offset_x
      - .offset:         192
        .size:           8
        .value_kind:     hidden_global_offset_y
      - .offset:         200
        .size:           8
        .value_kind:     hidden_global_offset_z
      - .offset:         208
        .size:           2
        .value_kind:     hidden_grid_dims
    .group_segment_fixed_size: 17472
    .kernarg_segment_align: 8
    .kernarg_segment_size: 400
    .language:       OpenCL C
    .language_version:
      - 2
      - 0
    .max_flat_workgroup_size: 256
    .name:           _Z39paged_attention_ll4mi_QKV_mfma16_kernelI14__hip_bfloat16S0_LN4vllm18Fp8KVCacheDataTypeE0EhLi16ELi128ELi256ELb0ELi15EL8MFMAType0EEvPKT_PKT0_S9_ifPKiSB_SB_iPKfiiiPfSE_PS4_PT2_iSD_SD_
    .private_segment_fixed_size: 0
    .sgpr_count:     52
    .sgpr_spill_count: 0
    .symbol:         _Z39paged_attention_ll4mi_QKV_mfma16_kernelI14__hip_bfloat16S0_LN4vllm18Fp8KVCacheDataTypeE0EhLi16ELi128ELi256ELb0ELi15EL8MFMAType0EEvPKT_PKT0_S9_ifPKiSB_SB_iPKfiiiPfSE_PS4_PT2_iSD_SD_.kd
    .uniform_work_group_size: 1
    .uses_dynamic_stack: false
    .vgpr_count:     218
    .vgpr_spill_count: 0
    .wavefront_size: 32
    .workgroup_processor_mode: 1
  - .args:
      - .actual_access:  read_only
        .address_space:  global
        .offset:         0
        .size:           8
        .value_kind:     global_buffer
      - .actual_access:  read_only
        .address_space:  global
        .offset:         8
        .size:           8
        .value_kind:     global_buffer
      - .actual_access:  read_only
        .address_space:  global
        .offset:         16
        .size:           8
        .value_kind:     global_buffer
      - .offset:         24
        .size:           4
        .value_kind:     by_value
      - .offset:         28
        .size:           4
        .value_kind:     by_value
      - .actual_access:  read_only
        .address_space:  global
        .offset:         32
        .size:           8
        .value_kind:     global_buffer
      - .actual_access:  read_only
        .address_space:  global
        .offset:         40
        .size:           8
        .value_kind:     global_buffer
      - .actual_access:  read_only
        .address_space:  global
        .offset:         48
        .size:           8
        .value_kind:     global_buffer
      - .offset:         56
        .size:           4
        .value_kind:     by_value
      - .actual_access:  read_only
        .address_space:  global
        .offset:         64
        .size:           8
        .value_kind:     global_buffer
      - .offset:         72
        .size:           4
        .value_kind:     by_value
      - .offset:         76
        .size:           4
        .value_kind:     by_value
      - .offset:         80
        .size:           4
        .value_kind:     by_value
      - .actual_access:  write_only
        .address_space:  global
        .offset:         88
        .size:           8
        .value_kind:     global_buffer
      - .actual_access:  write_only
        .address_space:  global
        .offset:         96
        .size:           8
        .value_kind:     global_buffer
      - .actual_access:  write_only
        .address_space:  global
        .offset:         104
        .size:           8
        .value_kind:     global_buffer
      - .actual_access:  read_only
        .address_space:  global
        .offset:         112
        .size:           8
        .value_kind:     global_buffer
      - .offset:         120
        .size:           4
        .value_kind:     by_value
      - .address_space:  global
        .offset:         128
        .size:           8
        .value_kind:     global_buffer
      - .address_space:  global
        .offset:         136
        .size:           8
        .value_kind:     global_buffer
      - .offset:         144
        .size:           4
        .value_kind:     hidden_block_count_x
      - .offset:         148
        .size:           4
        .value_kind:     hidden_block_count_y
      - .offset:         152
        .size:           4
        .value_kind:     hidden_block_count_z
      - .offset:         156
        .size:           2
        .value_kind:     hidden_group_size_x
      - .offset:         158
        .size:           2
        .value_kind:     hidden_group_size_y
      - .offset:         160
        .size:           2
        .value_kind:     hidden_group_size_z
      - .offset:         162
        .size:           2
        .value_kind:     hidden_remainder_x
      - .offset:         164
        .size:           2
        .value_kind:     hidden_remainder_y
      - .offset:         166
        .size:           2
        .value_kind:     hidden_remainder_z
      - .offset:         184
        .size:           8
        .value_kind:     hidden_global_offset_x
      - .offset:         192
        .size:           8
        .value_kind:     hidden_global_offset_y
      - .offset:         200
        .size:           8
        .value_kind:     hidden_global_offset_z
      - .offset:         208
        .size:           2
        .value_kind:     hidden_grid_dims
    .group_segment_fixed_size: 17472
    .kernarg_segment_align: 8
    .kernarg_segment_size: 400
    .language:       OpenCL C
    .language_version:
      - 2
      - 0
    .max_flat_workgroup_size: 256
    .name:           _Z39paged_attention_ll4mi_QKV_mfma16_kernelI14__hip_bfloat16S0_LN4vllm18Fp8KVCacheDataTypeE0EhLi16ELi128ELi256ELb0ELi16EL8MFMAType0EEvPKT_PKT0_S9_ifPKiSB_SB_iPKfiiiPfSE_PS4_PT2_iSD_SD_
    .private_segment_fixed_size: 0
    .sgpr_count:     52
    .sgpr_spill_count: 0
    .symbol:         _Z39paged_attention_ll4mi_QKV_mfma16_kernelI14__hip_bfloat16S0_LN4vllm18Fp8KVCacheDataTypeE0EhLi16ELi128ELi256ELb0ELi16EL8MFMAType0EEvPKT_PKT0_S9_ifPKiSB_SB_iPKfiiiPfSE_PS4_PT2_iSD_SD_.kd
    .uniform_work_group_size: 1
    .uses_dynamic_stack: false
    .vgpr_count:     218
    .vgpr_spill_count: 0
    .wavefront_size: 32
    .workgroup_processor_mode: 1
  - .args:
      - .actual_access:  read_only
        .address_space:  global
        .offset:         0
        .size:           8
        .value_kind:     global_buffer
      - .actual_access:  read_only
        .address_space:  global
        .offset:         8
        .size:           8
        .value_kind:     global_buffer
      - .actual_access:  read_only
        .address_space:  global
        .offset:         16
        .size:           8
        .value_kind:     global_buffer
      - .offset:         24
        .size:           4
        .value_kind:     by_value
      - .offset:         28
        .size:           4
        .value_kind:     by_value
      - .actual_access:  read_only
        .address_space:  global
        .offset:         32
        .size:           8
        .value_kind:     global_buffer
      - .actual_access:  read_only
        .address_space:  global
        .offset:         40
        .size:           8
        .value_kind:     global_buffer
      - .actual_access:  read_only
        .address_space:  global
        .offset:         48
        .size:           8
        .value_kind:     global_buffer
      - .offset:         56
        .size:           4
        .value_kind:     by_value
      - .actual_access:  read_only
        .address_space:  global
        .offset:         64
        .size:           8
        .value_kind:     global_buffer
      - .offset:         72
        .size:           4
        .value_kind:     by_value
      - .offset:         76
        .size:           4
        .value_kind:     by_value
      - .offset:         80
        .size:           4
        .value_kind:     by_value
      - .actual_access:  write_only
        .address_space:  global
        .offset:         88
        .size:           8
        .value_kind:     global_buffer
      - .actual_access:  write_only
        .address_space:  global
        .offset:         96
        .size:           8
        .value_kind:     global_buffer
      - .actual_access:  write_only
        .address_space:  global
        .offset:         104
        .size:           8
        .value_kind:     global_buffer
      - .actual_access:  read_only
        .address_space:  global
        .offset:         112
        .size:           8
        .value_kind:     global_buffer
      - .offset:         120
        .size:           4
        .value_kind:     by_value
      - .address_space:  global
        .offset:         128
        .size:           8
        .value_kind:     global_buffer
      - .address_space:  global
        .offset:         136
        .size:           8
        .value_kind:     global_buffer
      - .offset:         144
        .size:           4
        .value_kind:     hidden_block_count_x
      - .offset:         148
        .size:           4
        .value_kind:     hidden_block_count_y
      - .offset:         152
        .size:           4
        .value_kind:     hidden_block_count_z
      - .offset:         156
        .size:           2
        .value_kind:     hidden_group_size_x
      - .offset:         158
        .size:           2
        .value_kind:     hidden_group_size_y
      - .offset:         160
        .size:           2
        .value_kind:     hidden_group_size_z
      - .offset:         162
        .size:           2
        .value_kind:     hidden_remainder_x
      - .offset:         164
        .size:           2
        .value_kind:     hidden_remainder_y
      - .offset:         166
        .size:           2
        .value_kind:     hidden_remainder_z
      - .offset:         184
        .size:           8
        .value_kind:     hidden_global_offset_x
      - .offset:         192
        .size:           8
        .value_kind:     hidden_global_offset_y
      - .offset:         200
        .size:           8
        .value_kind:     hidden_global_offset_z
      - .offset:         208
        .size:           2
        .value_kind:     hidden_grid_dims
    .group_segment_fixed_size: 17472
    .kernarg_segment_align: 8
    .kernarg_segment_size: 400
    .language:       OpenCL C
    .language_version:
      - 2
      - 0
    .max_flat_workgroup_size: 256
    .name:           _Z39paged_attention_ll4mi_QKV_mfma16_kernelI14__hip_bfloat16S0_LN4vllm18Fp8KVCacheDataTypeE0EhLi16ELi128ELi256ELb0ELi1EL8MFMAType0EEvPKT_PKT0_S9_ifPKiSB_SB_iPKfiiiPfSE_PS4_PT2_iSD_SD_
    .private_segment_fixed_size: 0
    .sgpr_count:     100
    .sgpr_spill_count: 0
    .symbol:         _Z39paged_attention_ll4mi_QKV_mfma16_kernelI14__hip_bfloat16S0_LN4vllm18Fp8KVCacheDataTypeE0EhLi16ELi128ELi256ELb0ELi1EL8MFMAType0EEvPKT_PKT0_S9_ifPKiSB_SB_iPKfiiiPfSE_PS4_PT2_iSD_SD_.kd
    .uniform_work_group_size: 1
    .uses_dynamic_stack: false
    .vgpr_count:     201
    .vgpr_spill_count: 0
    .wavefront_size: 32
    .workgroup_processor_mode: 1
  - .args:
      - .actual_access:  read_only
        .address_space:  global
        .offset:         0
        .size:           8
        .value_kind:     global_buffer
      - .actual_access:  read_only
        .address_space:  global
        .offset:         8
        .size:           8
        .value_kind:     global_buffer
      - .actual_access:  read_only
        .address_space:  global
        .offset:         16
        .size:           8
        .value_kind:     global_buffer
      - .offset:         24
        .size:           4
        .value_kind:     by_value
      - .offset:         28
        .size:           4
        .value_kind:     by_value
      - .actual_access:  read_only
        .address_space:  global
        .offset:         32
        .size:           8
        .value_kind:     global_buffer
      - .actual_access:  read_only
        .address_space:  global
        .offset:         40
        .size:           8
        .value_kind:     global_buffer
      - .actual_access:  read_only
        .address_space:  global
        .offset:         48
        .size:           8
        .value_kind:     global_buffer
      - .offset:         56
        .size:           4
        .value_kind:     by_value
      - .actual_access:  read_only
        .address_space:  global
        .offset:         64
        .size:           8
        .value_kind:     global_buffer
      - .offset:         72
        .size:           4
        .value_kind:     by_value
      - .offset:         76
        .size:           4
        .value_kind:     by_value
      - .offset:         80
        .size:           4
        .value_kind:     by_value
      - .actual_access:  write_only
        .address_space:  global
        .offset:         88
        .size:           8
        .value_kind:     global_buffer
      - .actual_access:  write_only
        .address_space:  global
        .offset:         96
        .size:           8
        .value_kind:     global_buffer
      - .actual_access:  write_only
        .address_space:  global
        .offset:         104
        .size:           8
        .value_kind:     global_buffer
      - .actual_access:  read_only
        .address_space:  global
        .offset:         112
        .size:           8
        .value_kind:     global_buffer
      - .offset:         120
        .size:           4
        .value_kind:     by_value
      - .address_space:  global
        .offset:         128
        .size:           8
        .value_kind:     global_buffer
      - .address_space:  global
        .offset:         136
        .size:           8
        .value_kind:     global_buffer
      - .offset:         144
        .size:           4
        .value_kind:     hidden_block_count_x
      - .offset:         148
        .size:           4
        .value_kind:     hidden_block_count_y
      - .offset:         152
        .size:           4
        .value_kind:     hidden_block_count_z
      - .offset:         156
        .size:           2
        .value_kind:     hidden_group_size_x
      - .offset:         158
        .size:           2
        .value_kind:     hidden_group_size_y
      - .offset:         160
        .size:           2
        .value_kind:     hidden_group_size_z
      - .offset:         162
        .size:           2
        .value_kind:     hidden_remainder_x
      - .offset:         164
        .size:           2
        .value_kind:     hidden_remainder_y
      - .offset:         166
        .size:           2
        .value_kind:     hidden_remainder_z
      - .offset:         184
        .size:           8
        .value_kind:     hidden_global_offset_x
      - .offset:         192
        .size:           8
        .value_kind:     hidden_global_offset_y
      - .offset:         200
        .size:           8
        .value_kind:     hidden_global_offset_z
      - .offset:         208
        .size:           2
        .value_kind:     hidden_grid_dims
    .group_segment_fixed_size: 17472
    .kernarg_segment_align: 8
    .kernarg_segment_size: 400
    .language:       OpenCL C
    .language_version:
      - 2
      - 0
    .max_flat_workgroup_size: 256
    .name:           _Z39paged_attention_ll4mi_QKV_mfma16_kernelI14__hip_bfloat16S0_LN4vllm18Fp8KVCacheDataTypeE0EhLi16ELi128ELi256ELb0ELi2EL8MFMAType0EEvPKT_PKT0_S9_ifPKiSB_SB_iPKfiiiPfSE_PS4_PT2_iSD_SD_
    .private_segment_fixed_size: 0
    .sgpr_count:     54
    .sgpr_spill_count: 0
    .symbol:         _Z39paged_attention_ll4mi_QKV_mfma16_kernelI14__hip_bfloat16S0_LN4vllm18Fp8KVCacheDataTypeE0EhLi16ELi128ELi256ELb0ELi2EL8MFMAType0EEvPKT_PKT0_S9_ifPKiSB_SB_iPKfiiiPfSE_PS4_PT2_iSD_SD_.kd
    .uniform_work_group_size: 1
    .uses_dynamic_stack: false
    .vgpr_count:     230
    .vgpr_spill_count: 0
    .wavefront_size: 32
    .workgroup_processor_mode: 1
  - .args:
      - .actual_access:  read_only
        .address_space:  global
        .offset:         0
        .size:           8
        .value_kind:     global_buffer
      - .actual_access:  read_only
        .address_space:  global
        .offset:         8
        .size:           8
        .value_kind:     global_buffer
      - .actual_access:  read_only
        .address_space:  global
        .offset:         16
        .size:           8
        .value_kind:     global_buffer
      - .offset:         24
        .size:           4
        .value_kind:     by_value
      - .offset:         28
        .size:           4
        .value_kind:     by_value
      - .actual_access:  read_only
        .address_space:  global
        .offset:         32
        .size:           8
        .value_kind:     global_buffer
      - .actual_access:  read_only
        .address_space:  global
        .offset:         40
        .size:           8
        .value_kind:     global_buffer
      - .actual_access:  read_only
        .address_space:  global
        .offset:         48
        .size:           8
        .value_kind:     global_buffer
      - .offset:         56
        .size:           4
        .value_kind:     by_value
      - .actual_access:  read_only
        .address_space:  global
        .offset:         64
        .size:           8
        .value_kind:     global_buffer
      - .offset:         72
        .size:           4
        .value_kind:     by_value
      - .offset:         76
        .size:           4
        .value_kind:     by_value
      - .offset:         80
        .size:           4
        .value_kind:     by_value
      - .actual_access:  write_only
        .address_space:  global
        .offset:         88
        .size:           8
        .value_kind:     global_buffer
      - .actual_access:  write_only
        .address_space:  global
        .offset:         96
        .size:           8
        .value_kind:     global_buffer
      - .actual_access:  write_only
        .address_space:  global
        .offset:         104
        .size:           8
        .value_kind:     global_buffer
      - .actual_access:  read_only
        .address_space:  global
        .offset:         112
        .size:           8
        .value_kind:     global_buffer
      - .offset:         120
        .size:           4
        .value_kind:     by_value
      - .address_space:  global
        .offset:         128
        .size:           8
        .value_kind:     global_buffer
      - .address_space:  global
        .offset:         136
        .size:           8
        .value_kind:     global_buffer
      - .offset:         144
        .size:           4
        .value_kind:     hidden_block_count_x
      - .offset:         148
        .size:           4
        .value_kind:     hidden_block_count_y
      - .offset:         152
        .size:           4
        .value_kind:     hidden_block_count_z
      - .offset:         156
        .size:           2
        .value_kind:     hidden_group_size_x
      - .offset:         158
        .size:           2
        .value_kind:     hidden_group_size_y
      - .offset:         160
        .size:           2
        .value_kind:     hidden_group_size_z
      - .offset:         162
        .size:           2
        .value_kind:     hidden_remainder_x
      - .offset:         164
        .size:           2
        .value_kind:     hidden_remainder_y
      - .offset:         166
        .size:           2
        .value_kind:     hidden_remainder_z
      - .offset:         184
        .size:           8
        .value_kind:     hidden_global_offset_x
      - .offset:         192
        .size:           8
        .value_kind:     hidden_global_offset_y
      - .offset:         200
        .size:           8
        .value_kind:     hidden_global_offset_z
      - .offset:         208
        .size:           2
        .value_kind:     hidden_grid_dims
    .group_segment_fixed_size: 17472
    .kernarg_segment_align: 8
    .kernarg_segment_size: 400
    .language:       OpenCL C
    .language_version:
      - 2
      - 0
    .max_flat_workgroup_size: 256
    .name:           _Z39paged_attention_ll4mi_QKV_mfma16_kernelI14__hip_bfloat16S0_LN4vllm18Fp8KVCacheDataTypeE0EhLi16ELi128ELi256ELb0ELi3EL8MFMAType0EEvPKT_PKT0_S9_ifPKiSB_SB_iPKfiiiPfSE_PS4_PT2_iSD_SD_
    .private_segment_fixed_size: 0
    .sgpr_count:     52
    .sgpr_spill_count: 0
    .symbol:         _Z39paged_attention_ll4mi_QKV_mfma16_kernelI14__hip_bfloat16S0_LN4vllm18Fp8KVCacheDataTypeE0EhLi16ELi128ELi256ELb0ELi3EL8MFMAType0EEvPKT_PKT0_S9_ifPKiSB_SB_iPKfiiiPfSE_PS4_PT2_iSD_SD_.kd
    .uniform_work_group_size: 1
    .uses_dynamic_stack: false
    .vgpr_count:     218
    .vgpr_spill_count: 0
    .wavefront_size: 32
    .workgroup_processor_mode: 1
  - .args:
      - .actual_access:  read_only
        .address_space:  global
        .offset:         0
        .size:           8
        .value_kind:     global_buffer
      - .actual_access:  read_only
        .address_space:  global
        .offset:         8
        .size:           8
        .value_kind:     global_buffer
      - .actual_access:  read_only
        .address_space:  global
        .offset:         16
        .size:           8
        .value_kind:     global_buffer
      - .offset:         24
        .size:           4
        .value_kind:     by_value
      - .offset:         28
        .size:           4
        .value_kind:     by_value
      - .actual_access:  read_only
        .address_space:  global
        .offset:         32
        .size:           8
        .value_kind:     global_buffer
      - .actual_access:  read_only
        .address_space:  global
        .offset:         40
        .size:           8
        .value_kind:     global_buffer
      - .actual_access:  read_only
        .address_space:  global
        .offset:         48
        .size:           8
        .value_kind:     global_buffer
      - .offset:         56
        .size:           4
        .value_kind:     by_value
      - .actual_access:  read_only
        .address_space:  global
        .offset:         64
        .size:           8
        .value_kind:     global_buffer
      - .offset:         72
        .size:           4
        .value_kind:     by_value
      - .offset:         76
        .size:           4
        .value_kind:     by_value
      - .offset:         80
        .size:           4
        .value_kind:     by_value
      - .actual_access:  write_only
        .address_space:  global
        .offset:         88
        .size:           8
        .value_kind:     global_buffer
      - .actual_access:  write_only
        .address_space:  global
        .offset:         96
        .size:           8
        .value_kind:     global_buffer
      - .actual_access:  write_only
        .address_space:  global
        .offset:         104
        .size:           8
        .value_kind:     global_buffer
      - .actual_access:  read_only
        .address_space:  global
        .offset:         112
        .size:           8
        .value_kind:     global_buffer
      - .offset:         120
        .size:           4
        .value_kind:     by_value
      - .address_space:  global
        .offset:         128
        .size:           8
        .value_kind:     global_buffer
      - .address_space:  global
        .offset:         136
        .size:           8
        .value_kind:     global_buffer
      - .offset:         144
        .size:           4
        .value_kind:     hidden_block_count_x
      - .offset:         148
        .size:           4
        .value_kind:     hidden_block_count_y
      - .offset:         152
        .size:           4
        .value_kind:     hidden_block_count_z
      - .offset:         156
        .size:           2
        .value_kind:     hidden_group_size_x
      - .offset:         158
        .size:           2
        .value_kind:     hidden_group_size_y
      - .offset:         160
        .size:           2
        .value_kind:     hidden_group_size_z
      - .offset:         162
        .size:           2
        .value_kind:     hidden_remainder_x
      - .offset:         164
        .size:           2
        .value_kind:     hidden_remainder_y
      - .offset:         166
        .size:           2
        .value_kind:     hidden_remainder_z
      - .offset:         184
        .size:           8
        .value_kind:     hidden_global_offset_x
      - .offset:         192
        .size:           8
        .value_kind:     hidden_global_offset_y
      - .offset:         200
        .size:           8
        .value_kind:     hidden_global_offset_z
      - .offset:         208
        .size:           2
        .value_kind:     hidden_grid_dims
    .group_segment_fixed_size: 17472
    .kernarg_segment_align: 8
    .kernarg_segment_size: 400
    .language:       OpenCL C
    .language_version:
      - 2
      - 0
    .max_flat_workgroup_size: 256
    .name:           _Z39paged_attention_ll4mi_QKV_mfma16_kernelI14__hip_bfloat16S0_LN4vllm18Fp8KVCacheDataTypeE0EhLi16ELi128ELi256ELb0ELi4EL8MFMAType0EEvPKT_PKT0_S9_ifPKiSB_SB_iPKfiiiPfSE_PS4_PT2_iSD_SD_
    .private_segment_fixed_size: 0
    .sgpr_count:     52
    .sgpr_spill_count: 0
    .symbol:         _Z39paged_attention_ll4mi_QKV_mfma16_kernelI14__hip_bfloat16S0_LN4vllm18Fp8KVCacheDataTypeE0EhLi16ELi128ELi256ELb0ELi4EL8MFMAType0EEvPKT_PKT0_S9_ifPKiSB_SB_iPKfiiiPfSE_PS4_PT2_iSD_SD_.kd
    .uniform_work_group_size: 1
    .uses_dynamic_stack: false
    .vgpr_count:     218
    .vgpr_spill_count: 0
    .wavefront_size: 32
    .workgroup_processor_mode: 1
  - .args:
      - .actual_access:  read_only
        .address_space:  global
        .offset:         0
        .size:           8
        .value_kind:     global_buffer
      - .actual_access:  read_only
        .address_space:  global
        .offset:         8
        .size:           8
        .value_kind:     global_buffer
      - .actual_access:  read_only
        .address_space:  global
        .offset:         16
        .size:           8
        .value_kind:     global_buffer
      - .offset:         24
        .size:           4
        .value_kind:     by_value
      - .offset:         28
        .size:           4
        .value_kind:     by_value
      - .actual_access:  read_only
        .address_space:  global
        .offset:         32
        .size:           8
        .value_kind:     global_buffer
      - .actual_access:  read_only
        .address_space:  global
        .offset:         40
        .size:           8
        .value_kind:     global_buffer
      - .actual_access:  read_only
        .address_space:  global
        .offset:         48
        .size:           8
        .value_kind:     global_buffer
      - .offset:         56
        .size:           4
        .value_kind:     by_value
      - .actual_access:  read_only
        .address_space:  global
        .offset:         64
        .size:           8
        .value_kind:     global_buffer
      - .offset:         72
        .size:           4
        .value_kind:     by_value
      - .offset:         76
        .size:           4
        .value_kind:     by_value
      - .offset:         80
        .size:           4
        .value_kind:     by_value
      - .actual_access:  read_only
        .address_space:  global
        .offset:         88
        .size:           8
        .value_kind:     global_buffer
      - .actual_access:  read_only
        .address_space:  global
        .offset:         96
        .size:           8
        .value_kind:     global_buffer
      - .actual_access:  read_only
        .address_space:  global
        .offset:         104
        .size:           8
        .value_kind:     global_buffer
      - .actual_access:  read_only
        .address_space:  global
        .offset:         112
        .size:           8
        .value_kind:     global_buffer
      - .offset:         120
        .size:           4
        .value_kind:     by_value
      - .address_space:  global
        .offset:         128
        .size:           8
        .value_kind:     global_buffer
      - .address_space:  global
        .offset:         136
        .size:           8
        .value_kind:     global_buffer
      - .offset:         144
        .size:           4
        .value_kind:     hidden_block_count_x
      - .offset:         148
        .size:           4
        .value_kind:     hidden_block_count_y
      - .offset:         152
        .size:           4
        .value_kind:     hidden_block_count_z
      - .offset:         156
        .size:           2
        .value_kind:     hidden_group_size_x
      - .offset:         158
        .size:           2
        .value_kind:     hidden_group_size_y
      - .offset:         160
        .size:           2
        .value_kind:     hidden_group_size_z
      - .offset:         162
        .size:           2
        .value_kind:     hidden_remainder_x
      - .offset:         164
        .size:           2
        .value_kind:     hidden_remainder_y
      - .offset:         166
        .size:           2
        .value_kind:     hidden_remainder_z
      - .offset:         184
        .size:           8
        .value_kind:     hidden_global_offset_x
      - .offset:         192
        .size:           8
        .value_kind:     hidden_global_offset_y
      - .offset:         200
        .size:           8
        .value_kind:     hidden_global_offset_z
      - .offset:         208
        .size:           2
        .value_kind:     hidden_grid_dims
      - .offset:         224
        .size:           8
        .value_kind:     hidden_hostcall_buffer
    .group_segment_fixed_size: 0
    .kernarg_segment_align: 8
    .kernarg_segment_size: 400
    .language:       OpenCL C
    .language_version:
      - 2
      - 0
    .max_flat_workgroup_size: 256
    .name:           _Z38paged_attention_ll4mi_QKV_mfma4_kernelI14__hip_bfloat16S0_LN4vllm18Fp8KVCacheDataTypeE0ES0_Li16ELi128ELi256ELb1ELi1EEvPKT_PKT0_S8_ifPKiSA_SA_iPKfiiiPfSD_PS3_PT2_iSC_SC_
    .private_segment_fixed_size: 64
    .sgpr_count:     36
    .sgpr_spill_count: 0
    .symbol:         _Z38paged_attention_ll4mi_QKV_mfma4_kernelI14__hip_bfloat16S0_LN4vllm18Fp8KVCacheDataTypeE0ES0_Li16ELi128ELi256ELb1ELi1EEvPKT_PKT0_S8_ifPKiSA_SA_iPKfiiiPfSD_PS3_PT2_iSC_SC_.kd
    .uniform_work_group_size: 1
    .uses_dynamic_stack: false
    .vgpr_count:     41
    .vgpr_spill_count: 0
    .wavefront_size: 32
    .workgroup_processor_mode: 1
  - .args:
      - .actual_access:  read_only
        .address_space:  global
        .offset:         0
        .size:           8
        .value_kind:     global_buffer
      - .actual_access:  read_only
        .address_space:  global
        .offset:         8
        .size:           8
        .value_kind:     global_buffer
      - .actual_access:  read_only
        .address_space:  global
        .offset:         16
        .size:           8
        .value_kind:     global_buffer
      - .offset:         24
        .size:           4
        .value_kind:     by_value
      - .offset:         28
        .size:           4
        .value_kind:     by_value
      - .actual_access:  read_only
        .address_space:  global
        .offset:         32
        .size:           8
        .value_kind:     global_buffer
      - .actual_access:  read_only
        .address_space:  global
        .offset:         40
        .size:           8
        .value_kind:     global_buffer
      - .actual_access:  read_only
        .address_space:  global
        .offset:         48
        .size:           8
        .value_kind:     global_buffer
      - .offset:         56
        .size:           4
        .value_kind:     by_value
      - .actual_access:  read_only
        .address_space:  global
        .offset:         64
        .size:           8
        .value_kind:     global_buffer
      - .offset:         72
        .size:           4
        .value_kind:     by_value
      - .offset:         76
        .size:           4
        .value_kind:     by_value
      - .offset:         80
        .size:           4
        .value_kind:     by_value
      - .actual_access:  read_only
        .address_space:  global
        .offset:         88
        .size:           8
        .value_kind:     global_buffer
      - .actual_access:  read_only
        .address_space:  global
        .offset:         96
        .size:           8
        .value_kind:     global_buffer
      - .actual_access:  read_only
        .address_space:  global
        .offset:         104
        .size:           8
        .value_kind:     global_buffer
      - .actual_access:  read_only
        .address_space:  global
        .offset:         112
        .size:           8
        .value_kind:     global_buffer
      - .offset:         120
        .size:           4
        .value_kind:     by_value
      - .address_space:  global
        .offset:         128
        .size:           8
        .value_kind:     global_buffer
      - .address_space:  global
        .offset:         136
        .size:           8
        .value_kind:     global_buffer
      - .offset:         144
        .size:           4
        .value_kind:     hidden_block_count_x
      - .offset:         148
        .size:           4
        .value_kind:     hidden_block_count_y
      - .offset:         152
        .size:           4
        .value_kind:     hidden_block_count_z
      - .offset:         156
        .size:           2
        .value_kind:     hidden_group_size_x
      - .offset:         158
        .size:           2
        .value_kind:     hidden_group_size_y
      - .offset:         160
        .size:           2
        .value_kind:     hidden_group_size_z
      - .offset:         162
        .size:           2
        .value_kind:     hidden_remainder_x
      - .offset:         164
        .size:           2
        .value_kind:     hidden_remainder_y
      - .offset:         166
        .size:           2
        .value_kind:     hidden_remainder_z
      - .offset:         184
        .size:           8
        .value_kind:     hidden_global_offset_x
      - .offset:         192
        .size:           8
        .value_kind:     hidden_global_offset_y
      - .offset:         200
        .size:           8
        .value_kind:     hidden_global_offset_z
      - .offset:         208
        .size:           2
        .value_kind:     hidden_grid_dims
      - .offset:         224
        .size:           8
        .value_kind:     hidden_hostcall_buffer
    .group_segment_fixed_size: 0
    .kernarg_segment_align: 8
    .kernarg_segment_size: 400
    .language:       OpenCL C
    .language_version:
      - 2
      - 0
    .max_flat_workgroup_size: 256
    .name:           _Z38paged_attention_ll4mi_QKV_mfma4_kernelI14__hip_bfloat16S0_LN4vllm18Fp8KVCacheDataTypeE0ES0_Li16ELi128ELi256ELb1ELi2EEvPKT_PKT0_S8_ifPKiSA_SA_iPKfiiiPfSD_PS3_PT2_iSC_SC_
    .private_segment_fixed_size: 64
    .sgpr_count:     36
    .sgpr_spill_count: 0
    .symbol:         _Z38paged_attention_ll4mi_QKV_mfma4_kernelI14__hip_bfloat16S0_LN4vllm18Fp8KVCacheDataTypeE0ES0_Li16ELi128ELi256ELb1ELi2EEvPKT_PKT0_S8_ifPKiSA_SA_iPKfiiiPfSD_PS3_PT2_iSC_SC_.kd
    .uniform_work_group_size: 1
    .uses_dynamic_stack: false
    .vgpr_count:     41
    .vgpr_spill_count: 0
    .wavefront_size: 32
    .workgroup_processor_mode: 1
  - .args:
      - .actual_access:  read_only
        .address_space:  global
        .offset:         0
        .size:           8
        .value_kind:     global_buffer
      - .actual_access:  read_only
        .address_space:  global
        .offset:         8
        .size:           8
        .value_kind:     global_buffer
      - .actual_access:  read_only
        .address_space:  global
        .offset:         16
        .size:           8
        .value_kind:     global_buffer
      - .offset:         24
        .size:           4
        .value_kind:     by_value
      - .offset:         28
        .size:           4
        .value_kind:     by_value
      - .actual_access:  read_only
        .address_space:  global
        .offset:         32
        .size:           8
        .value_kind:     global_buffer
      - .actual_access:  read_only
        .address_space:  global
        .offset:         40
        .size:           8
        .value_kind:     global_buffer
      - .actual_access:  read_only
        .address_space:  global
        .offset:         48
        .size:           8
        .value_kind:     global_buffer
      - .offset:         56
        .size:           4
        .value_kind:     by_value
      - .actual_access:  read_only
        .address_space:  global
        .offset:         64
        .size:           8
        .value_kind:     global_buffer
      - .offset:         72
        .size:           4
        .value_kind:     by_value
      - .offset:         76
        .size:           4
        .value_kind:     by_value
      - .offset:         80
        .size:           4
        .value_kind:     by_value
      - .actual_access:  read_only
        .address_space:  global
        .offset:         88
        .size:           8
        .value_kind:     global_buffer
      - .actual_access:  read_only
        .address_space:  global
        .offset:         96
        .size:           8
        .value_kind:     global_buffer
      - .actual_access:  read_only
        .address_space:  global
        .offset:         104
        .size:           8
        .value_kind:     global_buffer
      - .actual_access:  read_only
        .address_space:  global
        .offset:         112
        .size:           8
        .value_kind:     global_buffer
      - .offset:         120
        .size:           4
        .value_kind:     by_value
      - .address_space:  global
        .offset:         128
        .size:           8
        .value_kind:     global_buffer
      - .address_space:  global
        .offset:         136
        .size:           8
        .value_kind:     global_buffer
      - .offset:         144
        .size:           4
        .value_kind:     hidden_block_count_x
      - .offset:         148
        .size:           4
        .value_kind:     hidden_block_count_y
      - .offset:         152
        .size:           4
        .value_kind:     hidden_block_count_z
      - .offset:         156
        .size:           2
        .value_kind:     hidden_group_size_x
      - .offset:         158
        .size:           2
        .value_kind:     hidden_group_size_y
      - .offset:         160
        .size:           2
        .value_kind:     hidden_group_size_z
      - .offset:         162
        .size:           2
        .value_kind:     hidden_remainder_x
      - .offset:         164
        .size:           2
        .value_kind:     hidden_remainder_y
      - .offset:         166
        .size:           2
        .value_kind:     hidden_remainder_z
      - .offset:         184
        .size:           8
        .value_kind:     hidden_global_offset_x
      - .offset:         192
        .size:           8
        .value_kind:     hidden_global_offset_y
      - .offset:         200
        .size:           8
        .value_kind:     hidden_global_offset_z
      - .offset:         208
        .size:           2
        .value_kind:     hidden_grid_dims
      - .offset:         224
        .size:           8
        .value_kind:     hidden_hostcall_buffer
    .group_segment_fixed_size: 0
    .kernarg_segment_align: 8
    .kernarg_segment_size: 400
    .language:       OpenCL C
    .language_version:
      - 2
      - 0
    .max_flat_workgroup_size: 256
    .name:           _Z38paged_attention_ll4mi_QKV_mfma4_kernelI14__hip_bfloat16S0_LN4vllm18Fp8KVCacheDataTypeE0ES0_Li16ELi128ELi256ELb1ELi3EEvPKT_PKT0_S8_ifPKiSA_SA_iPKfiiiPfSD_PS3_PT2_iSC_SC_
    .private_segment_fixed_size: 64
    .sgpr_count:     36
    .sgpr_spill_count: 0
    .symbol:         _Z38paged_attention_ll4mi_QKV_mfma4_kernelI14__hip_bfloat16S0_LN4vllm18Fp8KVCacheDataTypeE0ES0_Li16ELi128ELi256ELb1ELi3EEvPKT_PKT0_S8_ifPKiSA_SA_iPKfiiiPfSD_PS3_PT2_iSC_SC_.kd
    .uniform_work_group_size: 1
    .uses_dynamic_stack: false
    .vgpr_count:     41
    .vgpr_spill_count: 0
    .wavefront_size: 32
    .workgroup_processor_mode: 1
  - .args:
      - .actual_access:  read_only
        .address_space:  global
        .offset:         0
        .size:           8
        .value_kind:     global_buffer
      - .actual_access:  read_only
        .address_space:  global
        .offset:         8
        .size:           8
        .value_kind:     global_buffer
      - .actual_access:  read_only
        .address_space:  global
        .offset:         16
        .size:           8
        .value_kind:     global_buffer
      - .offset:         24
        .size:           4
        .value_kind:     by_value
      - .offset:         28
        .size:           4
        .value_kind:     by_value
      - .actual_access:  read_only
        .address_space:  global
        .offset:         32
        .size:           8
        .value_kind:     global_buffer
      - .actual_access:  read_only
        .address_space:  global
        .offset:         40
        .size:           8
        .value_kind:     global_buffer
      - .actual_access:  read_only
        .address_space:  global
        .offset:         48
        .size:           8
        .value_kind:     global_buffer
      - .offset:         56
        .size:           4
        .value_kind:     by_value
      - .actual_access:  read_only
        .address_space:  global
        .offset:         64
        .size:           8
        .value_kind:     global_buffer
      - .offset:         72
        .size:           4
        .value_kind:     by_value
      - .offset:         76
        .size:           4
        .value_kind:     by_value
      - .offset:         80
        .size:           4
        .value_kind:     by_value
      - .actual_access:  read_only
        .address_space:  global
        .offset:         88
        .size:           8
        .value_kind:     global_buffer
      - .actual_access:  read_only
        .address_space:  global
        .offset:         96
        .size:           8
        .value_kind:     global_buffer
      - .actual_access:  read_only
        .address_space:  global
        .offset:         104
        .size:           8
        .value_kind:     global_buffer
      - .actual_access:  read_only
        .address_space:  global
        .offset:         112
        .size:           8
        .value_kind:     global_buffer
      - .offset:         120
        .size:           4
        .value_kind:     by_value
      - .address_space:  global
        .offset:         128
        .size:           8
        .value_kind:     global_buffer
      - .address_space:  global
        .offset:         136
        .size:           8
        .value_kind:     global_buffer
      - .offset:         144
        .size:           4
        .value_kind:     hidden_block_count_x
      - .offset:         148
        .size:           4
        .value_kind:     hidden_block_count_y
      - .offset:         152
        .size:           4
        .value_kind:     hidden_block_count_z
      - .offset:         156
        .size:           2
        .value_kind:     hidden_group_size_x
      - .offset:         158
        .size:           2
        .value_kind:     hidden_group_size_y
      - .offset:         160
        .size:           2
        .value_kind:     hidden_group_size_z
      - .offset:         162
        .size:           2
        .value_kind:     hidden_remainder_x
      - .offset:         164
        .size:           2
        .value_kind:     hidden_remainder_y
      - .offset:         166
        .size:           2
        .value_kind:     hidden_remainder_z
      - .offset:         184
        .size:           8
        .value_kind:     hidden_global_offset_x
      - .offset:         192
        .size:           8
        .value_kind:     hidden_global_offset_y
      - .offset:         200
        .size:           8
        .value_kind:     hidden_global_offset_z
      - .offset:         208
        .size:           2
        .value_kind:     hidden_grid_dims
      - .offset:         224
        .size:           8
        .value_kind:     hidden_hostcall_buffer
    .group_segment_fixed_size: 0
    .kernarg_segment_align: 8
    .kernarg_segment_size: 400
    .language:       OpenCL C
    .language_version:
      - 2
      - 0
    .max_flat_workgroup_size: 256
    .name:           _Z38paged_attention_ll4mi_QKV_mfma4_kernelI14__hip_bfloat16S0_LN4vllm18Fp8KVCacheDataTypeE0ES0_Li16ELi128ELi256ELb1ELi4EEvPKT_PKT0_S8_ifPKiSA_SA_iPKfiiiPfSD_PS3_PT2_iSC_SC_
    .private_segment_fixed_size: 64
    .sgpr_count:     36
    .sgpr_spill_count: 0
    .symbol:         _Z38paged_attention_ll4mi_QKV_mfma4_kernelI14__hip_bfloat16S0_LN4vllm18Fp8KVCacheDataTypeE0ES0_Li16ELi128ELi256ELb1ELi4EEvPKT_PKT0_S8_ifPKiSA_SA_iPKfiiiPfSD_PS3_PT2_iSC_SC_.kd
    .uniform_work_group_size: 1
    .uses_dynamic_stack: false
    .vgpr_count:     41
    .vgpr_spill_count: 0
    .wavefront_size: 32
    .workgroup_processor_mode: 1
  - .args:
      - .actual_access:  read_only
        .address_space:  global
        .offset:         0
        .size:           8
        .value_kind:     global_buffer
      - .actual_access:  read_only
        .address_space:  global
        .offset:         8
        .size:           8
        .value_kind:     global_buffer
      - .actual_access:  read_only
        .address_space:  global
        .offset:         16
        .size:           8
        .value_kind:     global_buffer
      - .offset:         24
        .size:           4
        .value_kind:     by_value
      - .offset:         28
        .size:           4
        .value_kind:     by_value
      - .actual_access:  read_only
        .address_space:  global
        .offset:         32
        .size:           8
        .value_kind:     global_buffer
      - .actual_access:  read_only
        .address_space:  global
        .offset:         40
        .size:           8
        .value_kind:     global_buffer
      - .actual_access:  read_only
        .address_space:  global
        .offset:         48
        .size:           8
        .value_kind:     global_buffer
      - .offset:         56
        .size:           4
        .value_kind:     by_value
      - .actual_access:  read_only
        .address_space:  global
        .offset:         64
        .size:           8
        .value_kind:     global_buffer
      - .offset:         72
        .size:           4
        .value_kind:     by_value
      - .offset:         76
        .size:           4
        .value_kind:     by_value
      - .offset:         80
        .size:           4
        .value_kind:     by_value
      - .actual_access:  write_only
        .address_space:  global
        .offset:         88
        .size:           8
        .value_kind:     global_buffer
      - .actual_access:  write_only
        .address_space:  global
        .offset:         96
        .size:           8
        .value_kind:     global_buffer
      - .actual_access:  write_only
        .address_space:  global
        .offset:         104
        .size:           8
        .value_kind:     global_buffer
      - .actual_access:  read_only
        .address_space:  global
        .offset:         112
        .size:           8
        .value_kind:     global_buffer
      - .offset:         120
        .size:           4
        .value_kind:     by_value
      - .address_space:  global
        .offset:         128
        .size:           8
        .value_kind:     global_buffer
      - .address_space:  global
        .offset:         136
        .size:           8
        .value_kind:     global_buffer
      - .offset:         144
        .size:           4
        .value_kind:     hidden_block_count_x
      - .offset:         148
        .size:           4
        .value_kind:     hidden_block_count_y
      - .offset:         152
        .size:           4
        .value_kind:     hidden_block_count_z
      - .offset:         156
        .size:           2
        .value_kind:     hidden_group_size_x
      - .offset:         158
        .size:           2
        .value_kind:     hidden_group_size_y
      - .offset:         160
        .size:           2
        .value_kind:     hidden_group_size_z
      - .offset:         162
        .size:           2
        .value_kind:     hidden_remainder_x
      - .offset:         164
        .size:           2
        .value_kind:     hidden_remainder_y
      - .offset:         166
        .size:           2
        .value_kind:     hidden_remainder_z
      - .offset:         184
        .size:           8
        .value_kind:     hidden_global_offset_x
      - .offset:         192
        .size:           8
        .value_kind:     hidden_global_offset_y
      - .offset:         200
        .size:           8
        .value_kind:     hidden_global_offset_z
      - .offset:         208
        .size:           2
        .value_kind:     hidden_grid_dims
    .group_segment_fixed_size: 17472
    .kernarg_segment_align: 8
    .kernarg_segment_size: 400
    .language:       OpenCL C
    .language_version:
      - 2
      - 0
    .max_flat_workgroup_size: 256
    .name:           _Z39paged_attention_ll4mi_QKV_mfma16_kernelI14__hip_bfloat16S0_LN4vllm18Fp8KVCacheDataTypeE0ES0_Li16ELi128ELi256ELb1ELi5EL8MFMAType0EEvPKT_PKT0_S9_ifPKiSB_SB_iPKfiiiPfSE_PS4_PT2_iSD_SD_
    .private_segment_fixed_size: 0
    .sgpr_count:     52
    .sgpr_spill_count: 0
    .symbol:         _Z39paged_attention_ll4mi_QKV_mfma16_kernelI14__hip_bfloat16S0_LN4vllm18Fp8KVCacheDataTypeE0ES0_Li16ELi128ELi256ELb1ELi5EL8MFMAType0EEvPKT_PKT0_S9_ifPKiSB_SB_iPKfiiiPfSE_PS4_PT2_iSD_SD_.kd
    .uniform_work_group_size: 1
    .uses_dynamic_stack: false
    .vgpr_count:     218
    .vgpr_spill_count: 0
    .wavefront_size: 32
    .workgroup_processor_mode: 1
  - .args:
      - .actual_access:  read_only
        .address_space:  global
        .offset:         0
        .size:           8
        .value_kind:     global_buffer
      - .actual_access:  read_only
        .address_space:  global
        .offset:         8
        .size:           8
        .value_kind:     global_buffer
      - .actual_access:  read_only
        .address_space:  global
        .offset:         16
        .size:           8
        .value_kind:     global_buffer
      - .offset:         24
        .size:           4
        .value_kind:     by_value
      - .offset:         28
        .size:           4
        .value_kind:     by_value
      - .actual_access:  read_only
        .address_space:  global
        .offset:         32
        .size:           8
        .value_kind:     global_buffer
      - .actual_access:  read_only
        .address_space:  global
        .offset:         40
        .size:           8
        .value_kind:     global_buffer
      - .actual_access:  read_only
        .address_space:  global
        .offset:         48
        .size:           8
        .value_kind:     global_buffer
      - .offset:         56
        .size:           4
        .value_kind:     by_value
      - .actual_access:  read_only
        .address_space:  global
        .offset:         64
        .size:           8
        .value_kind:     global_buffer
      - .offset:         72
        .size:           4
        .value_kind:     by_value
      - .offset:         76
        .size:           4
        .value_kind:     by_value
      - .offset:         80
        .size:           4
        .value_kind:     by_value
      - .actual_access:  write_only
        .address_space:  global
        .offset:         88
        .size:           8
        .value_kind:     global_buffer
      - .actual_access:  write_only
        .address_space:  global
        .offset:         96
        .size:           8
        .value_kind:     global_buffer
      - .actual_access:  write_only
        .address_space:  global
        .offset:         104
        .size:           8
        .value_kind:     global_buffer
      - .actual_access:  read_only
        .address_space:  global
        .offset:         112
        .size:           8
        .value_kind:     global_buffer
      - .offset:         120
        .size:           4
        .value_kind:     by_value
      - .address_space:  global
        .offset:         128
        .size:           8
        .value_kind:     global_buffer
      - .address_space:  global
        .offset:         136
        .size:           8
        .value_kind:     global_buffer
      - .offset:         144
        .size:           4
        .value_kind:     hidden_block_count_x
      - .offset:         148
        .size:           4
        .value_kind:     hidden_block_count_y
      - .offset:         152
        .size:           4
        .value_kind:     hidden_block_count_z
      - .offset:         156
        .size:           2
        .value_kind:     hidden_group_size_x
      - .offset:         158
        .size:           2
        .value_kind:     hidden_group_size_y
      - .offset:         160
        .size:           2
        .value_kind:     hidden_group_size_z
      - .offset:         162
        .size:           2
        .value_kind:     hidden_remainder_x
      - .offset:         164
        .size:           2
        .value_kind:     hidden_remainder_y
      - .offset:         166
        .size:           2
        .value_kind:     hidden_remainder_z
      - .offset:         184
        .size:           8
        .value_kind:     hidden_global_offset_x
      - .offset:         192
        .size:           8
        .value_kind:     hidden_global_offset_y
      - .offset:         200
        .size:           8
        .value_kind:     hidden_global_offset_z
      - .offset:         208
        .size:           2
        .value_kind:     hidden_grid_dims
    .group_segment_fixed_size: 17472
    .kernarg_segment_align: 8
    .kernarg_segment_size: 400
    .language:       OpenCL C
    .language_version:
      - 2
      - 0
    .max_flat_workgroup_size: 256
    .name:           _Z39paged_attention_ll4mi_QKV_mfma16_kernelI14__hip_bfloat16S0_LN4vllm18Fp8KVCacheDataTypeE0ES0_Li16ELi128ELi256ELb1ELi6EL8MFMAType0EEvPKT_PKT0_S9_ifPKiSB_SB_iPKfiiiPfSE_PS4_PT2_iSD_SD_
    .private_segment_fixed_size: 0
    .sgpr_count:     52
    .sgpr_spill_count: 0
    .symbol:         _Z39paged_attention_ll4mi_QKV_mfma16_kernelI14__hip_bfloat16S0_LN4vllm18Fp8KVCacheDataTypeE0ES0_Li16ELi128ELi256ELb1ELi6EL8MFMAType0EEvPKT_PKT0_S9_ifPKiSB_SB_iPKfiiiPfSE_PS4_PT2_iSD_SD_.kd
    .uniform_work_group_size: 1
    .uses_dynamic_stack: false
    .vgpr_count:     218
    .vgpr_spill_count: 0
    .wavefront_size: 32
    .workgroup_processor_mode: 1
  - .args:
      - .actual_access:  read_only
        .address_space:  global
        .offset:         0
        .size:           8
        .value_kind:     global_buffer
      - .actual_access:  read_only
        .address_space:  global
        .offset:         8
        .size:           8
        .value_kind:     global_buffer
      - .actual_access:  read_only
        .address_space:  global
        .offset:         16
        .size:           8
        .value_kind:     global_buffer
      - .offset:         24
        .size:           4
        .value_kind:     by_value
      - .offset:         28
        .size:           4
        .value_kind:     by_value
      - .actual_access:  read_only
        .address_space:  global
        .offset:         32
        .size:           8
        .value_kind:     global_buffer
      - .actual_access:  read_only
        .address_space:  global
        .offset:         40
        .size:           8
        .value_kind:     global_buffer
      - .actual_access:  read_only
        .address_space:  global
        .offset:         48
        .size:           8
        .value_kind:     global_buffer
      - .offset:         56
        .size:           4
        .value_kind:     by_value
      - .actual_access:  read_only
        .address_space:  global
        .offset:         64
        .size:           8
        .value_kind:     global_buffer
      - .offset:         72
        .size:           4
        .value_kind:     by_value
      - .offset:         76
        .size:           4
        .value_kind:     by_value
      - .offset:         80
        .size:           4
        .value_kind:     by_value
      - .actual_access:  write_only
        .address_space:  global
        .offset:         88
        .size:           8
        .value_kind:     global_buffer
      - .actual_access:  write_only
        .address_space:  global
        .offset:         96
        .size:           8
        .value_kind:     global_buffer
      - .actual_access:  write_only
        .address_space:  global
        .offset:         104
        .size:           8
        .value_kind:     global_buffer
      - .actual_access:  read_only
        .address_space:  global
        .offset:         112
        .size:           8
        .value_kind:     global_buffer
      - .offset:         120
        .size:           4
        .value_kind:     by_value
      - .address_space:  global
        .offset:         128
        .size:           8
        .value_kind:     global_buffer
      - .address_space:  global
        .offset:         136
        .size:           8
        .value_kind:     global_buffer
      - .offset:         144
        .size:           4
        .value_kind:     hidden_block_count_x
      - .offset:         148
        .size:           4
        .value_kind:     hidden_block_count_y
      - .offset:         152
        .size:           4
        .value_kind:     hidden_block_count_z
      - .offset:         156
        .size:           2
        .value_kind:     hidden_group_size_x
      - .offset:         158
        .size:           2
        .value_kind:     hidden_group_size_y
      - .offset:         160
        .size:           2
        .value_kind:     hidden_group_size_z
      - .offset:         162
        .size:           2
        .value_kind:     hidden_remainder_x
      - .offset:         164
        .size:           2
        .value_kind:     hidden_remainder_y
      - .offset:         166
        .size:           2
        .value_kind:     hidden_remainder_z
      - .offset:         184
        .size:           8
        .value_kind:     hidden_global_offset_x
      - .offset:         192
        .size:           8
        .value_kind:     hidden_global_offset_y
      - .offset:         200
        .size:           8
        .value_kind:     hidden_global_offset_z
      - .offset:         208
        .size:           2
        .value_kind:     hidden_grid_dims
    .group_segment_fixed_size: 17472
    .kernarg_segment_align: 8
    .kernarg_segment_size: 400
    .language:       OpenCL C
    .language_version:
      - 2
      - 0
    .max_flat_workgroup_size: 256
    .name:           _Z39paged_attention_ll4mi_QKV_mfma16_kernelI14__hip_bfloat16S0_LN4vllm18Fp8KVCacheDataTypeE0ES0_Li16ELi128ELi256ELb1ELi7EL8MFMAType0EEvPKT_PKT0_S9_ifPKiSB_SB_iPKfiiiPfSE_PS4_PT2_iSD_SD_
    .private_segment_fixed_size: 0
    .sgpr_count:     52
    .sgpr_spill_count: 0
    .symbol:         _Z39paged_attention_ll4mi_QKV_mfma16_kernelI14__hip_bfloat16S0_LN4vllm18Fp8KVCacheDataTypeE0ES0_Li16ELi128ELi256ELb1ELi7EL8MFMAType0EEvPKT_PKT0_S9_ifPKiSB_SB_iPKfiiiPfSE_PS4_PT2_iSD_SD_.kd
    .uniform_work_group_size: 1
    .uses_dynamic_stack: false
    .vgpr_count:     218
    .vgpr_spill_count: 0
    .wavefront_size: 32
    .workgroup_processor_mode: 1
  - .args:
      - .actual_access:  read_only
        .address_space:  global
        .offset:         0
        .size:           8
        .value_kind:     global_buffer
      - .actual_access:  read_only
        .address_space:  global
        .offset:         8
        .size:           8
        .value_kind:     global_buffer
      - .actual_access:  read_only
        .address_space:  global
        .offset:         16
        .size:           8
        .value_kind:     global_buffer
      - .offset:         24
        .size:           4
        .value_kind:     by_value
      - .offset:         28
        .size:           4
        .value_kind:     by_value
      - .actual_access:  read_only
        .address_space:  global
        .offset:         32
        .size:           8
        .value_kind:     global_buffer
      - .actual_access:  read_only
        .address_space:  global
        .offset:         40
        .size:           8
        .value_kind:     global_buffer
      - .actual_access:  read_only
        .address_space:  global
        .offset:         48
        .size:           8
        .value_kind:     global_buffer
      - .offset:         56
        .size:           4
        .value_kind:     by_value
      - .actual_access:  read_only
        .address_space:  global
        .offset:         64
        .size:           8
        .value_kind:     global_buffer
      - .offset:         72
        .size:           4
        .value_kind:     by_value
      - .offset:         76
        .size:           4
        .value_kind:     by_value
      - .offset:         80
        .size:           4
        .value_kind:     by_value
      - .actual_access:  write_only
        .address_space:  global
        .offset:         88
        .size:           8
        .value_kind:     global_buffer
      - .actual_access:  write_only
        .address_space:  global
        .offset:         96
        .size:           8
        .value_kind:     global_buffer
      - .actual_access:  write_only
        .address_space:  global
        .offset:         104
        .size:           8
        .value_kind:     global_buffer
      - .actual_access:  read_only
        .address_space:  global
        .offset:         112
        .size:           8
        .value_kind:     global_buffer
      - .offset:         120
        .size:           4
        .value_kind:     by_value
      - .address_space:  global
        .offset:         128
        .size:           8
        .value_kind:     global_buffer
      - .address_space:  global
        .offset:         136
        .size:           8
        .value_kind:     global_buffer
      - .offset:         144
        .size:           4
        .value_kind:     hidden_block_count_x
      - .offset:         148
        .size:           4
        .value_kind:     hidden_block_count_y
      - .offset:         152
        .size:           4
        .value_kind:     hidden_block_count_z
      - .offset:         156
        .size:           2
        .value_kind:     hidden_group_size_x
      - .offset:         158
        .size:           2
        .value_kind:     hidden_group_size_y
      - .offset:         160
        .size:           2
        .value_kind:     hidden_group_size_z
      - .offset:         162
        .size:           2
        .value_kind:     hidden_remainder_x
      - .offset:         164
        .size:           2
        .value_kind:     hidden_remainder_y
      - .offset:         166
        .size:           2
        .value_kind:     hidden_remainder_z
      - .offset:         184
        .size:           8
        .value_kind:     hidden_global_offset_x
      - .offset:         192
        .size:           8
        .value_kind:     hidden_global_offset_y
      - .offset:         200
        .size:           8
        .value_kind:     hidden_global_offset_z
      - .offset:         208
        .size:           2
        .value_kind:     hidden_grid_dims
    .group_segment_fixed_size: 17472
    .kernarg_segment_align: 8
    .kernarg_segment_size: 400
    .language:       OpenCL C
    .language_version:
      - 2
      - 0
    .max_flat_workgroup_size: 256
    .name:           _Z39paged_attention_ll4mi_QKV_mfma16_kernelI14__hip_bfloat16S0_LN4vllm18Fp8KVCacheDataTypeE0ES0_Li16ELi128ELi256ELb1ELi8EL8MFMAType0EEvPKT_PKT0_S9_ifPKiSB_SB_iPKfiiiPfSE_PS4_PT2_iSD_SD_
    .private_segment_fixed_size: 0
    .sgpr_count:     52
    .sgpr_spill_count: 0
    .symbol:         _Z39paged_attention_ll4mi_QKV_mfma16_kernelI14__hip_bfloat16S0_LN4vllm18Fp8KVCacheDataTypeE0ES0_Li16ELi128ELi256ELb1ELi8EL8MFMAType0EEvPKT_PKT0_S9_ifPKiSB_SB_iPKfiiiPfSE_PS4_PT2_iSD_SD_.kd
    .uniform_work_group_size: 1
    .uses_dynamic_stack: false
    .vgpr_count:     218
    .vgpr_spill_count: 0
    .wavefront_size: 32
    .workgroup_processor_mode: 1
  - .args:
      - .actual_access:  read_only
        .address_space:  global
        .offset:         0
        .size:           8
        .value_kind:     global_buffer
      - .actual_access:  read_only
        .address_space:  global
        .offset:         8
        .size:           8
        .value_kind:     global_buffer
      - .actual_access:  read_only
        .address_space:  global
        .offset:         16
        .size:           8
        .value_kind:     global_buffer
      - .offset:         24
        .size:           4
        .value_kind:     by_value
      - .offset:         28
        .size:           4
        .value_kind:     by_value
      - .actual_access:  read_only
        .address_space:  global
        .offset:         32
        .size:           8
        .value_kind:     global_buffer
      - .actual_access:  read_only
        .address_space:  global
        .offset:         40
        .size:           8
        .value_kind:     global_buffer
      - .actual_access:  read_only
        .address_space:  global
        .offset:         48
        .size:           8
        .value_kind:     global_buffer
      - .offset:         56
        .size:           4
        .value_kind:     by_value
      - .actual_access:  read_only
        .address_space:  global
        .offset:         64
        .size:           8
        .value_kind:     global_buffer
      - .offset:         72
        .size:           4
        .value_kind:     by_value
      - .offset:         76
        .size:           4
        .value_kind:     by_value
      - .offset:         80
        .size:           4
        .value_kind:     by_value
      - .actual_access:  write_only
        .address_space:  global
        .offset:         88
        .size:           8
        .value_kind:     global_buffer
      - .actual_access:  write_only
        .address_space:  global
        .offset:         96
        .size:           8
        .value_kind:     global_buffer
      - .actual_access:  write_only
        .address_space:  global
        .offset:         104
        .size:           8
        .value_kind:     global_buffer
      - .actual_access:  read_only
        .address_space:  global
        .offset:         112
        .size:           8
        .value_kind:     global_buffer
      - .offset:         120
        .size:           4
        .value_kind:     by_value
      - .address_space:  global
        .offset:         128
        .size:           8
        .value_kind:     global_buffer
      - .address_space:  global
        .offset:         136
        .size:           8
        .value_kind:     global_buffer
      - .offset:         144
        .size:           4
        .value_kind:     hidden_block_count_x
      - .offset:         148
        .size:           4
        .value_kind:     hidden_block_count_y
      - .offset:         152
        .size:           4
        .value_kind:     hidden_block_count_z
      - .offset:         156
        .size:           2
        .value_kind:     hidden_group_size_x
      - .offset:         158
        .size:           2
        .value_kind:     hidden_group_size_y
      - .offset:         160
        .size:           2
        .value_kind:     hidden_group_size_z
      - .offset:         162
        .size:           2
        .value_kind:     hidden_remainder_x
      - .offset:         164
        .size:           2
        .value_kind:     hidden_remainder_y
      - .offset:         166
        .size:           2
        .value_kind:     hidden_remainder_z
      - .offset:         184
        .size:           8
        .value_kind:     hidden_global_offset_x
      - .offset:         192
        .size:           8
        .value_kind:     hidden_global_offset_y
      - .offset:         200
        .size:           8
        .value_kind:     hidden_global_offset_z
      - .offset:         208
        .size:           2
        .value_kind:     hidden_grid_dims
    .group_segment_fixed_size: 17472
    .kernarg_segment_align: 8
    .kernarg_segment_size: 400
    .language:       OpenCL C
    .language_version:
      - 2
      - 0
    .max_flat_workgroup_size: 256
    .name:           _Z39paged_attention_ll4mi_QKV_mfma16_kernelI14__hip_bfloat16S0_LN4vllm18Fp8KVCacheDataTypeE0ES0_Li16ELi128ELi256ELb1ELi9EL8MFMAType0EEvPKT_PKT0_S9_ifPKiSB_SB_iPKfiiiPfSE_PS4_PT2_iSD_SD_
    .private_segment_fixed_size: 0
    .sgpr_count:     52
    .sgpr_spill_count: 0
    .symbol:         _Z39paged_attention_ll4mi_QKV_mfma16_kernelI14__hip_bfloat16S0_LN4vllm18Fp8KVCacheDataTypeE0ES0_Li16ELi128ELi256ELb1ELi9EL8MFMAType0EEvPKT_PKT0_S9_ifPKiSB_SB_iPKfiiiPfSE_PS4_PT2_iSD_SD_.kd
    .uniform_work_group_size: 1
    .uses_dynamic_stack: false
    .vgpr_count:     218
    .vgpr_spill_count: 0
    .wavefront_size: 32
    .workgroup_processor_mode: 1
  - .args:
      - .actual_access:  read_only
        .address_space:  global
        .offset:         0
        .size:           8
        .value_kind:     global_buffer
      - .actual_access:  read_only
        .address_space:  global
        .offset:         8
        .size:           8
        .value_kind:     global_buffer
      - .actual_access:  read_only
        .address_space:  global
        .offset:         16
        .size:           8
        .value_kind:     global_buffer
      - .offset:         24
        .size:           4
        .value_kind:     by_value
      - .offset:         28
        .size:           4
        .value_kind:     by_value
      - .actual_access:  read_only
        .address_space:  global
        .offset:         32
        .size:           8
        .value_kind:     global_buffer
      - .actual_access:  read_only
        .address_space:  global
        .offset:         40
        .size:           8
        .value_kind:     global_buffer
      - .actual_access:  read_only
        .address_space:  global
        .offset:         48
        .size:           8
        .value_kind:     global_buffer
      - .offset:         56
        .size:           4
        .value_kind:     by_value
      - .actual_access:  read_only
        .address_space:  global
        .offset:         64
        .size:           8
        .value_kind:     global_buffer
      - .offset:         72
        .size:           4
        .value_kind:     by_value
      - .offset:         76
        .size:           4
        .value_kind:     by_value
      - .offset:         80
        .size:           4
        .value_kind:     by_value
      - .actual_access:  write_only
        .address_space:  global
        .offset:         88
        .size:           8
        .value_kind:     global_buffer
      - .actual_access:  write_only
        .address_space:  global
        .offset:         96
        .size:           8
        .value_kind:     global_buffer
      - .actual_access:  write_only
        .address_space:  global
        .offset:         104
        .size:           8
        .value_kind:     global_buffer
      - .actual_access:  read_only
        .address_space:  global
        .offset:         112
        .size:           8
        .value_kind:     global_buffer
      - .offset:         120
        .size:           4
        .value_kind:     by_value
      - .address_space:  global
        .offset:         128
        .size:           8
        .value_kind:     global_buffer
      - .address_space:  global
        .offset:         136
        .size:           8
        .value_kind:     global_buffer
      - .offset:         144
        .size:           4
        .value_kind:     hidden_block_count_x
      - .offset:         148
        .size:           4
        .value_kind:     hidden_block_count_y
      - .offset:         152
        .size:           4
        .value_kind:     hidden_block_count_z
      - .offset:         156
        .size:           2
        .value_kind:     hidden_group_size_x
      - .offset:         158
        .size:           2
        .value_kind:     hidden_group_size_y
      - .offset:         160
        .size:           2
        .value_kind:     hidden_group_size_z
      - .offset:         162
        .size:           2
        .value_kind:     hidden_remainder_x
      - .offset:         164
        .size:           2
        .value_kind:     hidden_remainder_y
      - .offset:         166
        .size:           2
        .value_kind:     hidden_remainder_z
      - .offset:         184
        .size:           8
        .value_kind:     hidden_global_offset_x
      - .offset:         192
        .size:           8
        .value_kind:     hidden_global_offset_y
      - .offset:         200
        .size:           8
        .value_kind:     hidden_global_offset_z
      - .offset:         208
        .size:           2
        .value_kind:     hidden_grid_dims
    .group_segment_fixed_size: 17472
    .kernarg_segment_align: 8
    .kernarg_segment_size: 400
    .language:       OpenCL C
    .language_version:
      - 2
      - 0
    .max_flat_workgroup_size: 256
    .name:           _Z39paged_attention_ll4mi_QKV_mfma16_kernelI14__hip_bfloat16S0_LN4vllm18Fp8KVCacheDataTypeE0ES0_Li16ELi128ELi256ELb1ELi10EL8MFMAType0EEvPKT_PKT0_S9_ifPKiSB_SB_iPKfiiiPfSE_PS4_PT2_iSD_SD_
    .private_segment_fixed_size: 0
    .sgpr_count:     52
    .sgpr_spill_count: 0
    .symbol:         _Z39paged_attention_ll4mi_QKV_mfma16_kernelI14__hip_bfloat16S0_LN4vllm18Fp8KVCacheDataTypeE0ES0_Li16ELi128ELi256ELb1ELi10EL8MFMAType0EEvPKT_PKT0_S9_ifPKiSB_SB_iPKfiiiPfSE_PS4_PT2_iSD_SD_.kd
    .uniform_work_group_size: 1
    .uses_dynamic_stack: false
    .vgpr_count:     218
    .vgpr_spill_count: 0
    .wavefront_size: 32
    .workgroup_processor_mode: 1
  - .args:
      - .actual_access:  read_only
        .address_space:  global
        .offset:         0
        .size:           8
        .value_kind:     global_buffer
      - .actual_access:  read_only
        .address_space:  global
        .offset:         8
        .size:           8
        .value_kind:     global_buffer
      - .actual_access:  read_only
        .address_space:  global
        .offset:         16
        .size:           8
        .value_kind:     global_buffer
      - .offset:         24
        .size:           4
        .value_kind:     by_value
      - .offset:         28
        .size:           4
        .value_kind:     by_value
      - .actual_access:  read_only
        .address_space:  global
        .offset:         32
        .size:           8
        .value_kind:     global_buffer
      - .actual_access:  read_only
        .address_space:  global
        .offset:         40
        .size:           8
        .value_kind:     global_buffer
      - .actual_access:  read_only
        .address_space:  global
        .offset:         48
        .size:           8
        .value_kind:     global_buffer
      - .offset:         56
        .size:           4
        .value_kind:     by_value
      - .actual_access:  read_only
        .address_space:  global
        .offset:         64
        .size:           8
        .value_kind:     global_buffer
      - .offset:         72
        .size:           4
        .value_kind:     by_value
      - .offset:         76
        .size:           4
        .value_kind:     by_value
      - .offset:         80
        .size:           4
        .value_kind:     by_value
      - .actual_access:  write_only
        .address_space:  global
        .offset:         88
        .size:           8
        .value_kind:     global_buffer
      - .actual_access:  write_only
        .address_space:  global
        .offset:         96
        .size:           8
        .value_kind:     global_buffer
      - .actual_access:  write_only
        .address_space:  global
        .offset:         104
        .size:           8
        .value_kind:     global_buffer
      - .actual_access:  read_only
        .address_space:  global
        .offset:         112
        .size:           8
        .value_kind:     global_buffer
      - .offset:         120
        .size:           4
        .value_kind:     by_value
      - .address_space:  global
        .offset:         128
        .size:           8
        .value_kind:     global_buffer
      - .address_space:  global
        .offset:         136
        .size:           8
        .value_kind:     global_buffer
      - .offset:         144
        .size:           4
        .value_kind:     hidden_block_count_x
      - .offset:         148
        .size:           4
        .value_kind:     hidden_block_count_y
      - .offset:         152
        .size:           4
        .value_kind:     hidden_block_count_z
      - .offset:         156
        .size:           2
        .value_kind:     hidden_group_size_x
      - .offset:         158
        .size:           2
        .value_kind:     hidden_group_size_y
      - .offset:         160
        .size:           2
        .value_kind:     hidden_group_size_z
      - .offset:         162
        .size:           2
        .value_kind:     hidden_remainder_x
      - .offset:         164
        .size:           2
        .value_kind:     hidden_remainder_y
      - .offset:         166
        .size:           2
        .value_kind:     hidden_remainder_z
      - .offset:         184
        .size:           8
        .value_kind:     hidden_global_offset_x
      - .offset:         192
        .size:           8
        .value_kind:     hidden_global_offset_y
      - .offset:         200
        .size:           8
        .value_kind:     hidden_global_offset_z
      - .offset:         208
        .size:           2
        .value_kind:     hidden_grid_dims
    .group_segment_fixed_size: 17472
    .kernarg_segment_align: 8
    .kernarg_segment_size: 400
    .language:       OpenCL C
    .language_version:
      - 2
      - 0
    .max_flat_workgroup_size: 256
    .name:           _Z39paged_attention_ll4mi_QKV_mfma16_kernelI14__hip_bfloat16S0_LN4vllm18Fp8KVCacheDataTypeE0ES0_Li16ELi128ELi256ELb1ELi11EL8MFMAType0EEvPKT_PKT0_S9_ifPKiSB_SB_iPKfiiiPfSE_PS4_PT2_iSD_SD_
    .private_segment_fixed_size: 0
    .sgpr_count:     52
    .sgpr_spill_count: 0
    .symbol:         _Z39paged_attention_ll4mi_QKV_mfma16_kernelI14__hip_bfloat16S0_LN4vllm18Fp8KVCacheDataTypeE0ES0_Li16ELi128ELi256ELb1ELi11EL8MFMAType0EEvPKT_PKT0_S9_ifPKiSB_SB_iPKfiiiPfSE_PS4_PT2_iSD_SD_.kd
    .uniform_work_group_size: 1
    .uses_dynamic_stack: false
    .vgpr_count:     218
    .vgpr_spill_count: 0
    .wavefront_size: 32
    .workgroup_processor_mode: 1
  - .args:
      - .actual_access:  read_only
        .address_space:  global
        .offset:         0
        .size:           8
        .value_kind:     global_buffer
      - .actual_access:  read_only
        .address_space:  global
        .offset:         8
        .size:           8
        .value_kind:     global_buffer
      - .actual_access:  read_only
        .address_space:  global
        .offset:         16
        .size:           8
        .value_kind:     global_buffer
      - .offset:         24
        .size:           4
        .value_kind:     by_value
      - .offset:         28
        .size:           4
        .value_kind:     by_value
      - .actual_access:  read_only
        .address_space:  global
        .offset:         32
        .size:           8
        .value_kind:     global_buffer
      - .actual_access:  read_only
        .address_space:  global
        .offset:         40
        .size:           8
        .value_kind:     global_buffer
      - .actual_access:  read_only
        .address_space:  global
        .offset:         48
        .size:           8
        .value_kind:     global_buffer
      - .offset:         56
        .size:           4
        .value_kind:     by_value
      - .actual_access:  read_only
        .address_space:  global
        .offset:         64
        .size:           8
        .value_kind:     global_buffer
      - .offset:         72
        .size:           4
        .value_kind:     by_value
      - .offset:         76
        .size:           4
        .value_kind:     by_value
      - .offset:         80
        .size:           4
        .value_kind:     by_value
      - .actual_access:  write_only
        .address_space:  global
        .offset:         88
        .size:           8
        .value_kind:     global_buffer
      - .actual_access:  write_only
        .address_space:  global
        .offset:         96
        .size:           8
        .value_kind:     global_buffer
      - .actual_access:  write_only
        .address_space:  global
        .offset:         104
        .size:           8
        .value_kind:     global_buffer
      - .actual_access:  read_only
        .address_space:  global
        .offset:         112
        .size:           8
        .value_kind:     global_buffer
      - .offset:         120
        .size:           4
        .value_kind:     by_value
      - .address_space:  global
        .offset:         128
        .size:           8
        .value_kind:     global_buffer
      - .address_space:  global
        .offset:         136
        .size:           8
        .value_kind:     global_buffer
      - .offset:         144
        .size:           4
        .value_kind:     hidden_block_count_x
      - .offset:         148
        .size:           4
        .value_kind:     hidden_block_count_y
      - .offset:         152
        .size:           4
        .value_kind:     hidden_block_count_z
      - .offset:         156
        .size:           2
        .value_kind:     hidden_group_size_x
      - .offset:         158
        .size:           2
        .value_kind:     hidden_group_size_y
      - .offset:         160
        .size:           2
        .value_kind:     hidden_group_size_z
      - .offset:         162
        .size:           2
        .value_kind:     hidden_remainder_x
      - .offset:         164
        .size:           2
        .value_kind:     hidden_remainder_y
      - .offset:         166
        .size:           2
        .value_kind:     hidden_remainder_z
      - .offset:         184
        .size:           8
        .value_kind:     hidden_global_offset_x
      - .offset:         192
        .size:           8
        .value_kind:     hidden_global_offset_y
      - .offset:         200
        .size:           8
        .value_kind:     hidden_global_offset_z
      - .offset:         208
        .size:           2
        .value_kind:     hidden_grid_dims
    .group_segment_fixed_size: 17472
    .kernarg_segment_align: 8
    .kernarg_segment_size: 400
    .language:       OpenCL C
    .language_version:
      - 2
      - 0
    .max_flat_workgroup_size: 256
    .name:           _Z39paged_attention_ll4mi_QKV_mfma16_kernelI14__hip_bfloat16S0_LN4vllm18Fp8KVCacheDataTypeE0ES0_Li16ELi128ELi256ELb1ELi12EL8MFMAType0EEvPKT_PKT0_S9_ifPKiSB_SB_iPKfiiiPfSE_PS4_PT2_iSD_SD_
    .private_segment_fixed_size: 0
    .sgpr_count:     52
    .sgpr_spill_count: 0
    .symbol:         _Z39paged_attention_ll4mi_QKV_mfma16_kernelI14__hip_bfloat16S0_LN4vllm18Fp8KVCacheDataTypeE0ES0_Li16ELi128ELi256ELb1ELi12EL8MFMAType0EEvPKT_PKT0_S9_ifPKiSB_SB_iPKfiiiPfSE_PS4_PT2_iSD_SD_.kd
    .uniform_work_group_size: 1
    .uses_dynamic_stack: false
    .vgpr_count:     218
    .vgpr_spill_count: 0
    .wavefront_size: 32
    .workgroup_processor_mode: 1
  - .args:
      - .actual_access:  read_only
        .address_space:  global
        .offset:         0
        .size:           8
        .value_kind:     global_buffer
      - .actual_access:  read_only
        .address_space:  global
        .offset:         8
        .size:           8
        .value_kind:     global_buffer
      - .actual_access:  read_only
        .address_space:  global
        .offset:         16
        .size:           8
        .value_kind:     global_buffer
      - .offset:         24
        .size:           4
        .value_kind:     by_value
      - .offset:         28
        .size:           4
        .value_kind:     by_value
      - .actual_access:  read_only
        .address_space:  global
        .offset:         32
        .size:           8
        .value_kind:     global_buffer
      - .actual_access:  read_only
        .address_space:  global
        .offset:         40
        .size:           8
        .value_kind:     global_buffer
      - .actual_access:  read_only
        .address_space:  global
        .offset:         48
        .size:           8
        .value_kind:     global_buffer
      - .offset:         56
        .size:           4
        .value_kind:     by_value
      - .actual_access:  read_only
        .address_space:  global
        .offset:         64
        .size:           8
        .value_kind:     global_buffer
      - .offset:         72
        .size:           4
        .value_kind:     by_value
      - .offset:         76
        .size:           4
        .value_kind:     by_value
      - .offset:         80
        .size:           4
        .value_kind:     by_value
      - .actual_access:  write_only
        .address_space:  global
        .offset:         88
        .size:           8
        .value_kind:     global_buffer
      - .actual_access:  write_only
        .address_space:  global
        .offset:         96
        .size:           8
        .value_kind:     global_buffer
      - .actual_access:  write_only
        .address_space:  global
        .offset:         104
        .size:           8
        .value_kind:     global_buffer
      - .actual_access:  read_only
        .address_space:  global
        .offset:         112
        .size:           8
        .value_kind:     global_buffer
      - .offset:         120
        .size:           4
        .value_kind:     by_value
      - .address_space:  global
        .offset:         128
        .size:           8
        .value_kind:     global_buffer
      - .address_space:  global
        .offset:         136
        .size:           8
        .value_kind:     global_buffer
      - .offset:         144
        .size:           4
        .value_kind:     hidden_block_count_x
      - .offset:         148
        .size:           4
        .value_kind:     hidden_block_count_y
      - .offset:         152
        .size:           4
        .value_kind:     hidden_block_count_z
      - .offset:         156
        .size:           2
        .value_kind:     hidden_group_size_x
      - .offset:         158
        .size:           2
        .value_kind:     hidden_group_size_y
      - .offset:         160
        .size:           2
        .value_kind:     hidden_group_size_z
      - .offset:         162
        .size:           2
        .value_kind:     hidden_remainder_x
      - .offset:         164
        .size:           2
        .value_kind:     hidden_remainder_y
      - .offset:         166
        .size:           2
        .value_kind:     hidden_remainder_z
      - .offset:         184
        .size:           8
        .value_kind:     hidden_global_offset_x
      - .offset:         192
        .size:           8
        .value_kind:     hidden_global_offset_y
      - .offset:         200
        .size:           8
        .value_kind:     hidden_global_offset_z
      - .offset:         208
        .size:           2
        .value_kind:     hidden_grid_dims
    .group_segment_fixed_size: 17472
    .kernarg_segment_align: 8
    .kernarg_segment_size: 400
    .language:       OpenCL C
    .language_version:
      - 2
      - 0
    .max_flat_workgroup_size: 256
    .name:           _Z39paged_attention_ll4mi_QKV_mfma16_kernelI14__hip_bfloat16S0_LN4vllm18Fp8KVCacheDataTypeE0ES0_Li16ELi128ELi256ELb1ELi13EL8MFMAType0EEvPKT_PKT0_S9_ifPKiSB_SB_iPKfiiiPfSE_PS4_PT2_iSD_SD_
    .private_segment_fixed_size: 0
    .sgpr_count:     52
    .sgpr_spill_count: 0
    .symbol:         _Z39paged_attention_ll4mi_QKV_mfma16_kernelI14__hip_bfloat16S0_LN4vllm18Fp8KVCacheDataTypeE0ES0_Li16ELi128ELi256ELb1ELi13EL8MFMAType0EEvPKT_PKT0_S9_ifPKiSB_SB_iPKfiiiPfSE_PS4_PT2_iSD_SD_.kd
    .uniform_work_group_size: 1
    .uses_dynamic_stack: false
    .vgpr_count:     218
    .vgpr_spill_count: 0
    .wavefront_size: 32
    .workgroup_processor_mode: 1
  - .args:
      - .actual_access:  read_only
        .address_space:  global
        .offset:         0
        .size:           8
        .value_kind:     global_buffer
      - .actual_access:  read_only
        .address_space:  global
        .offset:         8
        .size:           8
        .value_kind:     global_buffer
      - .actual_access:  read_only
        .address_space:  global
        .offset:         16
        .size:           8
        .value_kind:     global_buffer
      - .offset:         24
        .size:           4
        .value_kind:     by_value
      - .offset:         28
        .size:           4
        .value_kind:     by_value
      - .actual_access:  read_only
        .address_space:  global
        .offset:         32
        .size:           8
        .value_kind:     global_buffer
      - .actual_access:  read_only
        .address_space:  global
        .offset:         40
        .size:           8
        .value_kind:     global_buffer
      - .actual_access:  read_only
        .address_space:  global
        .offset:         48
        .size:           8
        .value_kind:     global_buffer
      - .offset:         56
        .size:           4
        .value_kind:     by_value
      - .actual_access:  read_only
        .address_space:  global
        .offset:         64
        .size:           8
        .value_kind:     global_buffer
      - .offset:         72
        .size:           4
        .value_kind:     by_value
      - .offset:         76
        .size:           4
        .value_kind:     by_value
      - .offset:         80
        .size:           4
        .value_kind:     by_value
      - .actual_access:  write_only
        .address_space:  global
        .offset:         88
        .size:           8
        .value_kind:     global_buffer
      - .actual_access:  write_only
        .address_space:  global
        .offset:         96
        .size:           8
        .value_kind:     global_buffer
      - .actual_access:  write_only
        .address_space:  global
        .offset:         104
        .size:           8
        .value_kind:     global_buffer
      - .actual_access:  read_only
        .address_space:  global
        .offset:         112
        .size:           8
        .value_kind:     global_buffer
      - .offset:         120
        .size:           4
        .value_kind:     by_value
      - .address_space:  global
        .offset:         128
        .size:           8
        .value_kind:     global_buffer
      - .address_space:  global
        .offset:         136
        .size:           8
        .value_kind:     global_buffer
      - .offset:         144
        .size:           4
        .value_kind:     hidden_block_count_x
      - .offset:         148
        .size:           4
        .value_kind:     hidden_block_count_y
      - .offset:         152
        .size:           4
        .value_kind:     hidden_block_count_z
      - .offset:         156
        .size:           2
        .value_kind:     hidden_group_size_x
      - .offset:         158
        .size:           2
        .value_kind:     hidden_group_size_y
      - .offset:         160
        .size:           2
        .value_kind:     hidden_group_size_z
      - .offset:         162
        .size:           2
        .value_kind:     hidden_remainder_x
      - .offset:         164
        .size:           2
        .value_kind:     hidden_remainder_y
      - .offset:         166
        .size:           2
        .value_kind:     hidden_remainder_z
      - .offset:         184
        .size:           8
        .value_kind:     hidden_global_offset_x
      - .offset:         192
        .size:           8
        .value_kind:     hidden_global_offset_y
      - .offset:         200
        .size:           8
        .value_kind:     hidden_global_offset_z
      - .offset:         208
        .size:           2
        .value_kind:     hidden_grid_dims
    .group_segment_fixed_size: 17472
    .kernarg_segment_align: 8
    .kernarg_segment_size: 400
    .language:       OpenCL C
    .language_version:
      - 2
      - 0
    .max_flat_workgroup_size: 256
    .name:           _Z39paged_attention_ll4mi_QKV_mfma16_kernelI14__hip_bfloat16S0_LN4vllm18Fp8KVCacheDataTypeE0ES0_Li16ELi128ELi256ELb1ELi14EL8MFMAType0EEvPKT_PKT0_S9_ifPKiSB_SB_iPKfiiiPfSE_PS4_PT2_iSD_SD_
    .private_segment_fixed_size: 0
    .sgpr_count:     52
    .sgpr_spill_count: 0
    .symbol:         _Z39paged_attention_ll4mi_QKV_mfma16_kernelI14__hip_bfloat16S0_LN4vllm18Fp8KVCacheDataTypeE0ES0_Li16ELi128ELi256ELb1ELi14EL8MFMAType0EEvPKT_PKT0_S9_ifPKiSB_SB_iPKfiiiPfSE_PS4_PT2_iSD_SD_.kd
    .uniform_work_group_size: 1
    .uses_dynamic_stack: false
    .vgpr_count:     218
    .vgpr_spill_count: 0
    .wavefront_size: 32
    .workgroup_processor_mode: 1
  - .args:
      - .actual_access:  read_only
        .address_space:  global
        .offset:         0
        .size:           8
        .value_kind:     global_buffer
      - .actual_access:  read_only
        .address_space:  global
        .offset:         8
        .size:           8
        .value_kind:     global_buffer
      - .actual_access:  read_only
        .address_space:  global
        .offset:         16
        .size:           8
        .value_kind:     global_buffer
      - .offset:         24
        .size:           4
        .value_kind:     by_value
      - .offset:         28
        .size:           4
        .value_kind:     by_value
      - .actual_access:  read_only
        .address_space:  global
        .offset:         32
        .size:           8
        .value_kind:     global_buffer
      - .actual_access:  read_only
        .address_space:  global
        .offset:         40
        .size:           8
        .value_kind:     global_buffer
      - .actual_access:  read_only
        .address_space:  global
        .offset:         48
        .size:           8
        .value_kind:     global_buffer
      - .offset:         56
        .size:           4
        .value_kind:     by_value
      - .actual_access:  read_only
        .address_space:  global
        .offset:         64
        .size:           8
        .value_kind:     global_buffer
      - .offset:         72
        .size:           4
        .value_kind:     by_value
      - .offset:         76
        .size:           4
        .value_kind:     by_value
      - .offset:         80
        .size:           4
        .value_kind:     by_value
      - .actual_access:  write_only
        .address_space:  global
        .offset:         88
        .size:           8
        .value_kind:     global_buffer
      - .actual_access:  write_only
        .address_space:  global
        .offset:         96
        .size:           8
        .value_kind:     global_buffer
      - .actual_access:  write_only
        .address_space:  global
        .offset:         104
        .size:           8
        .value_kind:     global_buffer
      - .actual_access:  read_only
        .address_space:  global
        .offset:         112
        .size:           8
        .value_kind:     global_buffer
      - .offset:         120
        .size:           4
        .value_kind:     by_value
      - .address_space:  global
        .offset:         128
        .size:           8
        .value_kind:     global_buffer
      - .address_space:  global
        .offset:         136
        .size:           8
        .value_kind:     global_buffer
      - .offset:         144
        .size:           4
        .value_kind:     hidden_block_count_x
      - .offset:         148
        .size:           4
        .value_kind:     hidden_block_count_y
      - .offset:         152
        .size:           4
        .value_kind:     hidden_block_count_z
      - .offset:         156
        .size:           2
        .value_kind:     hidden_group_size_x
      - .offset:         158
        .size:           2
        .value_kind:     hidden_group_size_y
      - .offset:         160
        .size:           2
        .value_kind:     hidden_group_size_z
      - .offset:         162
        .size:           2
        .value_kind:     hidden_remainder_x
      - .offset:         164
        .size:           2
        .value_kind:     hidden_remainder_y
      - .offset:         166
        .size:           2
        .value_kind:     hidden_remainder_z
      - .offset:         184
        .size:           8
        .value_kind:     hidden_global_offset_x
      - .offset:         192
        .size:           8
        .value_kind:     hidden_global_offset_y
      - .offset:         200
        .size:           8
        .value_kind:     hidden_global_offset_z
      - .offset:         208
        .size:           2
        .value_kind:     hidden_grid_dims
    .group_segment_fixed_size: 17472
    .kernarg_segment_align: 8
    .kernarg_segment_size: 400
    .language:       OpenCL C
    .language_version:
      - 2
      - 0
    .max_flat_workgroup_size: 256
    .name:           _Z39paged_attention_ll4mi_QKV_mfma16_kernelI14__hip_bfloat16S0_LN4vllm18Fp8KVCacheDataTypeE0ES0_Li16ELi128ELi256ELb1ELi15EL8MFMAType0EEvPKT_PKT0_S9_ifPKiSB_SB_iPKfiiiPfSE_PS4_PT2_iSD_SD_
    .private_segment_fixed_size: 0
    .sgpr_count:     52
    .sgpr_spill_count: 0
    .symbol:         _Z39paged_attention_ll4mi_QKV_mfma16_kernelI14__hip_bfloat16S0_LN4vllm18Fp8KVCacheDataTypeE0ES0_Li16ELi128ELi256ELb1ELi15EL8MFMAType0EEvPKT_PKT0_S9_ifPKiSB_SB_iPKfiiiPfSE_PS4_PT2_iSD_SD_.kd
    .uniform_work_group_size: 1
    .uses_dynamic_stack: false
    .vgpr_count:     218
    .vgpr_spill_count: 0
    .wavefront_size: 32
    .workgroup_processor_mode: 1
  - .args:
      - .actual_access:  read_only
        .address_space:  global
        .offset:         0
        .size:           8
        .value_kind:     global_buffer
      - .actual_access:  read_only
        .address_space:  global
        .offset:         8
        .size:           8
        .value_kind:     global_buffer
      - .actual_access:  read_only
        .address_space:  global
        .offset:         16
        .size:           8
        .value_kind:     global_buffer
      - .offset:         24
        .size:           4
        .value_kind:     by_value
      - .offset:         28
        .size:           4
        .value_kind:     by_value
      - .actual_access:  read_only
        .address_space:  global
        .offset:         32
        .size:           8
        .value_kind:     global_buffer
      - .actual_access:  read_only
        .address_space:  global
        .offset:         40
        .size:           8
        .value_kind:     global_buffer
      - .actual_access:  read_only
        .address_space:  global
        .offset:         48
        .size:           8
        .value_kind:     global_buffer
      - .offset:         56
        .size:           4
        .value_kind:     by_value
      - .actual_access:  read_only
        .address_space:  global
        .offset:         64
        .size:           8
        .value_kind:     global_buffer
      - .offset:         72
        .size:           4
        .value_kind:     by_value
      - .offset:         76
        .size:           4
        .value_kind:     by_value
      - .offset:         80
        .size:           4
        .value_kind:     by_value
      - .actual_access:  write_only
        .address_space:  global
        .offset:         88
        .size:           8
        .value_kind:     global_buffer
      - .actual_access:  write_only
        .address_space:  global
        .offset:         96
        .size:           8
        .value_kind:     global_buffer
      - .actual_access:  write_only
        .address_space:  global
        .offset:         104
        .size:           8
        .value_kind:     global_buffer
      - .actual_access:  read_only
        .address_space:  global
        .offset:         112
        .size:           8
        .value_kind:     global_buffer
      - .offset:         120
        .size:           4
        .value_kind:     by_value
      - .address_space:  global
        .offset:         128
        .size:           8
        .value_kind:     global_buffer
      - .address_space:  global
        .offset:         136
        .size:           8
        .value_kind:     global_buffer
      - .offset:         144
        .size:           4
        .value_kind:     hidden_block_count_x
      - .offset:         148
        .size:           4
        .value_kind:     hidden_block_count_y
      - .offset:         152
        .size:           4
        .value_kind:     hidden_block_count_z
      - .offset:         156
        .size:           2
        .value_kind:     hidden_group_size_x
      - .offset:         158
        .size:           2
        .value_kind:     hidden_group_size_y
      - .offset:         160
        .size:           2
        .value_kind:     hidden_group_size_z
      - .offset:         162
        .size:           2
        .value_kind:     hidden_remainder_x
      - .offset:         164
        .size:           2
        .value_kind:     hidden_remainder_y
      - .offset:         166
        .size:           2
        .value_kind:     hidden_remainder_z
      - .offset:         184
        .size:           8
        .value_kind:     hidden_global_offset_x
      - .offset:         192
        .size:           8
        .value_kind:     hidden_global_offset_y
      - .offset:         200
        .size:           8
        .value_kind:     hidden_global_offset_z
      - .offset:         208
        .size:           2
        .value_kind:     hidden_grid_dims
    .group_segment_fixed_size: 17472
    .kernarg_segment_align: 8
    .kernarg_segment_size: 400
    .language:       OpenCL C
    .language_version:
      - 2
      - 0
    .max_flat_workgroup_size: 256
    .name:           _Z39paged_attention_ll4mi_QKV_mfma16_kernelI14__hip_bfloat16S0_LN4vllm18Fp8KVCacheDataTypeE0ES0_Li16ELi128ELi256ELb1ELi16EL8MFMAType0EEvPKT_PKT0_S9_ifPKiSB_SB_iPKfiiiPfSE_PS4_PT2_iSD_SD_
    .private_segment_fixed_size: 0
    .sgpr_count:     52
    .sgpr_spill_count: 0
    .symbol:         _Z39paged_attention_ll4mi_QKV_mfma16_kernelI14__hip_bfloat16S0_LN4vllm18Fp8KVCacheDataTypeE0ES0_Li16ELi128ELi256ELb1ELi16EL8MFMAType0EEvPKT_PKT0_S9_ifPKiSB_SB_iPKfiiiPfSE_PS4_PT2_iSD_SD_.kd
    .uniform_work_group_size: 1
    .uses_dynamic_stack: false
    .vgpr_count:     218
    .vgpr_spill_count: 0
    .wavefront_size: 32
    .workgroup_processor_mode: 1
  - .args:
      - .actual_access:  write_only
        .address_space:  global
        .offset:         0
        .size:           8
        .value_kind:     global_buffer
      - .actual_access:  read_only
        .address_space:  global
        .offset:         8
        .size:           8
        .value_kind:     global_buffer
      - .actual_access:  read_only
        .address_space:  global
        .offset:         16
        .size:           8
        .value_kind:     global_buffer
      - .actual_access:  read_only
        .address_space:  global
        .offset:         24
        .size:           8
        .value_kind:     global_buffer
      - .actual_access:  read_only
        .address_space:  global
        .offset:         32
        .size:           8
        .value_kind:     global_buffer
      - .actual_access:  read_only
        .address_space:  global
        .offset:         40
        .size:           8
        .value_kind:     global_buffer
      - .offset:         48
        .size:           4
        .value_kind:     by_value
      - .actual_access:  read_only
        .address_space:  global
        .offset:         56
        .size:           8
        .value_kind:     global_buffer
      - .offset:         64
        .size:           4
        .value_kind:     hidden_block_count_x
      - .offset:         68
        .size:           4
        .value_kind:     hidden_block_count_y
      - .offset:         72
        .size:           4
        .value_kind:     hidden_block_count_z
      - .offset:         76
        .size:           2
        .value_kind:     hidden_group_size_x
      - .offset:         78
        .size:           2
        .value_kind:     hidden_group_size_y
      - .offset:         80
        .size:           2
        .value_kind:     hidden_group_size_z
      - .offset:         82
        .size:           2
        .value_kind:     hidden_remainder_x
      - .offset:         84
        .size:           2
        .value_kind:     hidden_remainder_y
      - .offset:         86
        .size:           2
        .value_kind:     hidden_remainder_z
      - .offset:         104
        .size:           8
        .value_kind:     hidden_global_offset_x
      - .offset:         112
        .size:           8
        .value_kind:     hidden_global_offset_y
      - .offset:         120
        .size:           8
        .value_kind:     hidden_global_offset_z
      - .offset:         128
        .size:           2
        .value_kind:     hidden_grid_dims
    .group_segment_fixed_size: 132
    .kernarg_segment_align: 8
    .kernarg_segment_size: 320
    .language:       OpenCL C
    .language_version:
      - 2
      - 0
    .max_flat_workgroup_size: 128
    .name:           _Z35paged_attention_ll4mi_reduce_kernelI14__hip_bfloat16S0_Li128ELi128ELi256ELi1EEvPT0_PKfS4_PKT_PKiS9_iS4_
    .private_segment_fixed_size: 0
    .sgpr_count:     42
    .sgpr_spill_count: 0
    .symbol:         _Z35paged_attention_ll4mi_reduce_kernelI14__hip_bfloat16S0_Li128ELi128ELi256ELi1EEvPT0_PKfS4_PKT_PKiS9_iS4_.kd
    .uniform_work_group_size: 1
    .uses_dynamic_stack: false
    .vgpr_count:     50
    .vgpr_spill_count: 0
    .wavefront_size: 32
    .workgroup_processor_mode: 1
  - .args:
      - .actual_access:  write_only
        .address_space:  global
        .offset:         0
        .size:           8
        .value_kind:     global_buffer
      - .actual_access:  read_only
        .address_space:  global
        .offset:         8
        .size:           8
        .value_kind:     global_buffer
      - .actual_access:  read_only
        .address_space:  global
        .offset:         16
        .size:           8
        .value_kind:     global_buffer
      - .actual_access:  read_only
        .address_space:  global
        .offset:         24
        .size:           8
        .value_kind:     global_buffer
      - .actual_access:  read_only
        .address_space:  global
        .offset:         32
        .size:           8
        .value_kind:     global_buffer
      - .actual_access:  read_only
        .address_space:  global
        .offset:         40
        .size:           8
        .value_kind:     global_buffer
      - .offset:         48
        .size:           4
        .value_kind:     by_value
      - .actual_access:  read_only
        .address_space:  global
        .offset:         56
        .size:           8
        .value_kind:     global_buffer
      - .offset:         64
        .size:           4
        .value_kind:     hidden_block_count_x
      - .offset:         68
        .size:           4
        .value_kind:     hidden_block_count_y
      - .offset:         72
        .size:           4
        .value_kind:     hidden_block_count_z
      - .offset:         76
        .size:           2
        .value_kind:     hidden_group_size_x
      - .offset:         78
        .size:           2
        .value_kind:     hidden_group_size_y
      - .offset:         80
        .size:           2
        .value_kind:     hidden_group_size_z
      - .offset:         82
        .size:           2
        .value_kind:     hidden_remainder_x
      - .offset:         84
        .size:           2
        .value_kind:     hidden_remainder_y
      - .offset:         86
        .size:           2
        .value_kind:     hidden_remainder_z
      - .offset:         104
        .size:           8
        .value_kind:     hidden_global_offset_x
      - .offset:         112
        .size:           8
        .value_kind:     hidden_global_offset_y
      - .offset:         120
        .size:           8
        .value_kind:     hidden_global_offset_z
      - .offset:         128
        .size:           2
        .value_kind:     hidden_grid_dims
    .group_segment_fixed_size: 260
    .kernarg_segment_align: 8
    .kernarg_segment_size: 320
    .language:       OpenCL C
    .language_version:
      - 2
      - 0
    .max_flat_workgroup_size: 128
    .name:           _Z35paged_attention_ll4mi_reduce_kernelI14__hip_bfloat16S0_Li128ELi128ELi256ELi2EEvPT0_PKfS4_PKT_PKiS9_iS4_
    .private_segment_fixed_size: 0
    .sgpr_count:     56
    .sgpr_spill_count: 0
    .symbol:         _Z35paged_attention_ll4mi_reduce_kernelI14__hip_bfloat16S0_Li128ELi128ELi256ELi2EEvPT0_PKfS4_PKT_PKiS9_iS4_.kd
    .uniform_work_group_size: 1
    .uses_dynamic_stack: false
    .vgpr_count:     52
    .vgpr_spill_count: 0
    .wavefront_size: 32
    .workgroup_processor_mode: 1
  - .args:
      - .actual_access:  write_only
        .address_space:  global
        .offset:         0
        .size:           8
        .value_kind:     global_buffer
      - .actual_access:  read_only
        .address_space:  global
        .offset:         8
        .size:           8
        .value_kind:     global_buffer
      - .actual_access:  read_only
        .address_space:  global
        .offset:         16
        .size:           8
        .value_kind:     global_buffer
      - .actual_access:  read_only
        .address_space:  global
        .offset:         24
        .size:           8
        .value_kind:     global_buffer
      - .actual_access:  read_only
        .address_space:  global
        .offset:         32
        .size:           8
        .value_kind:     global_buffer
      - .actual_access:  read_only
        .address_space:  global
        .offset:         40
        .size:           8
        .value_kind:     global_buffer
      - .offset:         48
        .size:           4
        .value_kind:     by_value
      - .actual_access:  read_only
        .address_space:  global
        .offset:         56
        .size:           8
        .value_kind:     global_buffer
      - .offset:         64
        .size:           4
        .value_kind:     hidden_block_count_x
      - .offset:         68
        .size:           4
        .value_kind:     hidden_block_count_y
      - .offset:         72
        .size:           4
        .value_kind:     hidden_block_count_z
      - .offset:         76
        .size:           2
        .value_kind:     hidden_group_size_x
      - .offset:         78
        .size:           2
        .value_kind:     hidden_group_size_y
      - .offset:         80
        .size:           2
        .value_kind:     hidden_group_size_z
      - .offset:         82
        .size:           2
        .value_kind:     hidden_remainder_x
      - .offset:         84
        .size:           2
        .value_kind:     hidden_remainder_y
      - .offset:         86
        .size:           2
        .value_kind:     hidden_remainder_z
      - .offset:         104
        .size:           8
        .value_kind:     hidden_global_offset_x
      - .offset:         112
        .size:           8
        .value_kind:     hidden_global_offset_y
      - .offset:         120
        .size:           8
        .value_kind:     hidden_global_offset_z
      - .offset:         128
        .size:           2
        .value_kind:     hidden_grid_dims
    .group_segment_fixed_size: 388
    .kernarg_segment_align: 8
    .kernarg_segment_size: 320
    .language:       OpenCL C
    .language_version:
      - 2
      - 0
    .max_flat_workgroup_size: 128
    .name:           _Z35paged_attention_ll4mi_reduce_kernelI14__hip_bfloat16S0_Li128ELi128ELi256ELi3EEvPT0_PKfS4_PKT_PKiS9_iS4_
    .private_segment_fixed_size: 0
    .sgpr_count:     54
    .sgpr_spill_count: 0
    .symbol:         _Z35paged_attention_ll4mi_reduce_kernelI14__hip_bfloat16S0_Li128ELi128ELi256ELi3EEvPT0_PKfS4_PKT_PKiS9_iS4_.kd
    .uniform_work_group_size: 1
    .uses_dynamic_stack: false
    .vgpr_count:     52
    .vgpr_spill_count: 0
    .wavefront_size: 32
    .workgroup_processor_mode: 1
  - .args:
      - .actual_access:  write_only
        .address_space:  global
        .offset:         0
        .size:           8
        .value_kind:     global_buffer
      - .actual_access:  read_only
        .address_space:  global
        .offset:         8
        .size:           8
        .value_kind:     global_buffer
      - .actual_access:  read_only
        .address_space:  global
        .offset:         16
        .size:           8
        .value_kind:     global_buffer
      - .actual_access:  read_only
        .address_space:  global
        .offset:         24
        .size:           8
        .value_kind:     global_buffer
      - .actual_access:  read_only
        .address_space:  global
        .offset:         32
        .size:           8
        .value_kind:     global_buffer
      - .actual_access:  read_only
        .address_space:  global
        .offset:         40
        .size:           8
        .value_kind:     global_buffer
      - .offset:         48
        .size:           4
        .value_kind:     by_value
      - .actual_access:  read_only
        .address_space:  global
        .offset:         56
        .size:           8
        .value_kind:     global_buffer
      - .offset:         64
        .size:           4
        .value_kind:     hidden_block_count_x
      - .offset:         68
        .size:           4
        .value_kind:     hidden_block_count_y
      - .offset:         72
        .size:           4
        .value_kind:     hidden_block_count_z
      - .offset:         76
        .size:           2
        .value_kind:     hidden_group_size_x
      - .offset:         78
        .size:           2
        .value_kind:     hidden_group_size_y
      - .offset:         80
        .size:           2
        .value_kind:     hidden_group_size_z
      - .offset:         82
        .size:           2
        .value_kind:     hidden_remainder_x
      - .offset:         84
        .size:           2
        .value_kind:     hidden_remainder_y
      - .offset:         86
        .size:           2
        .value_kind:     hidden_remainder_z
      - .offset:         104
        .size:           8
        .value_kind:     hidden_global_offset_x
      - .offset:         112
        .size:           8
        .value_kind:     hidden_global_offset_y
      - .offset:         120
        .size:           8
        .value_kind:     hidden_global_offset_z
      - .offset:         128
        .size:           2
        .value_kind:     hidden_grid_dims
    .group_segment_fixed_size: 516
    .kernarg_segment_align: 8
    .kernarg_segment_size: 320
    .language:       OpenCL C
    .language_version:
      - 2
      - 0
    .max_flat_workgroup_size: 128
    .name:           _Z35paged_attention_ll4mi_reduce_kernelI14__hip_bfloat16S0_Li128ELi128ELi256ELi4EEvPT0_PKfS4_PKT_PKiS9_iS4_
    .private_segment_fixed_size: 0
    .sgpr_count:     54
    .sgpr_spill_count: 0
    .symbol:         _Z35paged_attention_ll4mi_reduce_kernelI14__hip_bfloat16S0_Li128ELi128ELi256ELi4EEvPT0_PKfS4_PKT_PKiS9_iS4_.kd
    .uniform_work_group_size: 1
    .uses_dynamic_stack: false
    .vgpr_count:     52
    .vgpr_spill_count: 0
    .wavefront_size: 32
    .workgroup_processor_mode: 1
  - .args:
      - .actual_access:  write_only
        .address_space:  global
        .offset:         0
        .size:           8
        .value_kind:     global_buffer
      - .actual_access:  read_only
        .address_space:  global
        .offset:         8
        .size:           8
        .value_kind:     global_buffer
      - .actual_access:  read_only
        .address_space:  global
        .offset:         16
        .size:           8
        .value_kind:     global_buffer
      - .actual_access:  read_only
        .address_space:  global
        .offset:         24
        .size:           8
        .value_kind:     global_buffer
      - .actual_access:  read_only
        .address_space:  global
        .offset:         32
        .size:           8
        .value_kind:     global_buffer
      - .actual_access:  read_only
        .address_space:  global
        .offset:         40
        .size:           8
        .value_kind:     global_buffer
      - .offset:         48
        .size:           4
        .value_kind:     by_value
      - .actual_access:  read_only
        .address_space:  global
        .offset:         56
        .size:           8
        .value_kind:     global_buffer
      - .offset:         64
        .size:           4
        .value_kind:     hidden_block_count_x
      - .offset:         68
        .size:           4
        .value_kind:     hidden_block_count_y
      - .offset:         72
        .size:           4
        .value_kind:     hidden_block_count_z
      - .offset:         76
        .size:           2
        .value_kind:     hidden_group_size_x
      - .offset:         78
        .size:           2
        .value_kind:     hidden_group_size_y
      - .offset:         80
        .size:           2
        .value_kind:     hidden_group_size_z
      - .offset:         82
        .size:           2
        .value_kind:     hidden_remainder_x
      - .offset:         84
        .size:           2
        .value_kind:     hidden_remainder_y
      - .offset:         86
        .size:           2
        .value_kind:     hidden_remainder_z
      - .offset:         104
        .size:           8
        .value_kind:     hidden_global_offset_x
      - .offset:         112
        .size:           8
        .value_kind:     hidden_global_offset_y
      - .offset:         120
        .size:           8
        .value_kind:     hidden_global_offset_z
      - .offset:         128
        .size:           2
        .value_kind:     hidden_grid_dims
    .group_segment_fixed_size: 644
    .kernarg_segment_align: 8
    .kernarg_segment_size: 320
    .language:       OpenCL C
    .language_version:
      - 2
      - 0
    .max_flat_workgroup_size: 128
    .name:           _Z35paged_attention_ll4mi_reduce_kernelI14__hip_bfloat16S0_Li128ELi128ELi256ELi5EEvPT0_PKfS4_PKT_PKiS9_iS4_
    .private_segment_fixed_size: 0
    .sgpr_count:     54
    .sgpr_spill_count: 0
    .symbol:         _Z35paged_attention_ll4mi_reduce_kernelI14__hip_bfloat16S0_Li128ELi128ELi256ELi5EEvPT0_PKfS4_PKT_PKiS9_iS4_.kd
    .uniform_work_group_size: 1
    .uses_dynamic_stack: false
    .vgpr_count:     52
    .vgpr_spill_count: 0
    .wavefront_size: 32
    .workgroup_processor_mode: 1
  - .args:
      - .actual_access:  write_only
        .address_space:  global
        .offset:         0
        .size:           8
        .value_kind:     global_buffer
      - .actual_access:  read_only
        .address_space:  global
        .offset:         8
        .size:           8
        .value_kind:     global_buffer
      - .actual_access:  read_only
        .address_space:  global
        .offset:         16
        .size:           8
        .value_kind:     global_buffer
      - .actual_access:  read_only
        .address_space:  global
        .offset:         24
        .size:           8
        .value_kind:     global_buffer
      - .actual_access:  read_only
        .address_space:  global
        .offset:         32
        .size:           8
        .value_kind:     global_buffer
      - .actual_access:  read_only
        .address_space:  global
        .offset:         40
        .size:           8
        .value_kind:     global_buffer
      - .offset:         48
        .size:           4
        .value_kind:     by_value
      - .actual_access:  read_only
        .address_space:  global
        .offset:         56
        .size:           8
        .value_kind:     global_buffer
      - .offset:         64
        .size:           4
        .value_kind:     hidden_block_count_x
      - .offset:         68
        .size:           4
        .value_kind:     hidden_block_count_y
      - .offset:         72
        .size:           4
        .value_kind:     hidden_block_count_z
      - .offset:         76
        .size:           2
        .value_kind:     hidden_group_size_x
      - .offset:         78
        .size:           2
        .value_kind:     hidden_group_size_y
      - .offset:         80
        .size:           2
        .value_kind:     hidden_group_size_z
      - .offset:         82
        .size:           2
        .value_kind:     hidden_remainder_x
      - .offset:         84
        .size:           2
        .value_kind:     hidden_remainder_y
      - .offset:         86
        .size:           2
        .value_kind:     hidden_remainder_z
      - .offset:         104
        .size:           8
        .value_kind:     hidden_global_offset_x
      - .offset:         112
        .size:           8
        .value_kind:     hidden_global_offset_y
      - .offset:         120
        .size:           8
        .value_kind:     hidden_global_offset_z
      - .offset:         128
        .size:           2
        .value_kind:     hidden_grid_dims
    .group_segment_fixed_size: 772
    .kernarg_segment_align: 8
    .kernarg_segment_size: 320
    .language:       OpenCL C
    .language_version:
      - 2
      - 0
    .max_flat_workgroup_size: 128
    .name:           _Z35paged_attention_ll4mi_reduce_kernelI14__hip_bfloat16S0_Li128ELi128ELi256ELi6EEvPT0_PKfS4_PKT_PKiS9_iS4_
    .private_segment_fixed_size: 0
    .sgpr_count:     51
    .sgpr_spill_count: 0
    .symbol:         _Z35paged_attention_ll4mi_reduce_kernelI14__hip_bfloat16S0_Li128ELi128ELi256ELi6EEvPT0_PKfS4_PKT_PKiS9_iS4_.kd
    .uniform_work_group_size: 1
    .uses_dynamic_stack: false
    .vgpr_count:     52
    .vgpr_spill_count: 0
    .wavefront_size: 32
    .workgroup_processor_mode: 1
  - .args:
      - .actual_access:  write_only
        .address_space:  global
        .offset:         0
        .size:           8
        .value_kind:     global_buffer
      - .actual_access:  read_only
        .address_space:  global
        .offset:         8
        .size:           8
        .value_kind:     global_buffer
      - .actual_access:  read_only
        .address_space:  global
        .offset:         16
        .size:           8
        .value_kind:     global_buffer
      - .actual_access:  read_only
        .address_space:  global
        .offset:         24
        .size:           8
        .value_kind:     global_buffer
      - .actual_access:  read_only
        .address_space:  global
        .offset:         32
        .size:           8
        .value_kind:     global_buffer
      - .actual_access:  read_only
        .address_space:  global
        .offset:         40
        .size:           8
        .value_kind:     global_buffer
      - .offset:         48
        .size:           4
        .value_kind:     by_value
      - .actual_access:  read_only
        .address_space:  global
        .offset:         56
        .size:           8
        .value_kind:     global_buffer
      - .offset:         64
        .size:           4
        .value_kind:     hidden_block_count_x
      - .offset:         68
        .size:           4
        .value_kind:     hidden_block_count_y
      - .offset:         72
        .size:           4
        .value_kind:     hidden_block_count_z
      - .offset:         76
        .size:           2
        .value_kind:     hidden_group_size_x
      - .offset:         78
        .size:           2
        .value_kind:     hidden_group_size_y
      - .offset:         80
        .size:           2
        .value_kind:     hidden_group_size_z
      - .offset:         82
        .size:           2
        .value_kind:     hidden_remainder_x
      - .offset:         84
        .size:           2
        .value_kind:     hidden_remainder_y
      - .offset:         86
        .size:           2
        .value_kind:     hidden_remainder_z
      - .offset:         104
        .size:           8
        .value_kind:     hidden_global_offset_x
      - .offset:         112
        .size:           8
        .value_kind:     hidden_global_offset_y
      - .offset:         120
        .size:           8
        .value_kind:     hidden_global_offset_z
      - .offset:         128
        .size:           2
        .value_kind:     hidden_grid_dims
    .group_segment_fixed_size: 900
    .kernarg_segment_align: 8
    .kernarg_segment_size: 320
    .language:       OpenCL C
    .language_version:
      - 2
      - 0
    .max_flat_workgroup_size: 128
    .name:           _Z35paged_attention_ll4mi_reduce_kernelI14__hip_bfloat16S0_Li128ELi128ELi256ELi7EEvPT0_PKfS4_PKT_PKiS9_iS4_
    .private_segment_fixed_size: 0
    .sgpr_count:     51
    .sgpr_spill_count: 0
    .symbol:         _Z35paged_attention_ll4mi_reduce_kernelI14__hip_bfloat16S0_Li128ELi128ELi256ELi7EEvPT0_PKfS4_PKT_PKiS9_iS4_.kd
    .uniform_work_group_size: 1
    .uses_dynamic_stack: false
    .vgpr_count:     52
    .vgpr_spill_count: 0
    .wavefront_size: 32
    .workgroup_processor_mode: 1
  - .args:
      - .actual_access:  write_only
        .address_space:  global
        .offset:         0
        .size:           8
        .value_kind:     global_buffer
      - .actual_access:  read_only
        .address_space:  global
        .offset:         8
        .size:           8
        .value_kind:     global_buffer
      - .actual_access:  read_only
        .address_space:  global
        .offset:         16
        .size:           8
        .value_kind:     global_buffer
      - .actual_access:  read_only
        .address_space:  global
        .offset:         24
        .size:           8
        .value_kind:     global_buffer
      - .actual_access:  read_only
        .address_space:  global
        .offset:         32
        .size:           8
        .value_kind:     global_buffer
      - .actual_access:  read_only
        .address_space:  global
        .offset:         40
        .size:           8
        .value_kind:     global_buffer
      - .offset:         48
        .size:           4
        .value_kind:     by_value
      - .actual_access:  read_only
        .address_space:  global
        .offset:         56
        .size:           8
        .value_kind:     global_buffer
      - .offset:         64
        .size:           4
        .value_kind:     hidden_block_count_x
      - .offset:         68
        .size:           4
        .value_kind:     hidden_block_count_y
      - .offset:         72
        .size:           4
        .value_kind:     hidden_block_count_z
      - .offset:         76
        .size:           2
        .value_kind:     hidden_group_size_x
      - .offset:         78
        .size:           2
        .value_kind:     hidden_group_size_y
      - .offset:         80
        .size:           2
        .value_kind:     hidden_group_size_z
      - .offset:         82
        .size:           2
        .value_kind:     hidden_remainder_x
      - .offset:         84
        .size:           2
        .value_kind:     hidden_remainder_y
      - .offset:         86
        .size:           2
        .value_kind:     hidden_remainder_z
      - .offset:         104
        .size:           8
        .value_kind:     hidden_global_offset_x
      - .offset:         112
        .size:           8
        .value_kind:     hidden_global_offset_y
      - .offset:         120
        .size:           8
        .value_kind:     hidden_global_offset_z
      - .offset:         128
        .size:           2
        .value_kind:     hidden_grid_dims
    .group_segment_fixed_size: 1028
    .kernarg_segment_align: 8
    .kernarg_segment_size: 320
    .language:       OpenCL C
    .language_version:
      - 2
      - 0
    .max_flat_workgroup_size: 128
    .name:           _Z35paged_attention_ll4mi_reduce_kernelI14__hip_bfloat16S0_Li128ELi128ELi256ELi8EEvPT0_PKfS4_PKT_PKiS9_iS4_
    .private_segment_fixed_size: 0
    .sgpr_count:     51
    .sgpr_spill_count: 0
    .symbol:         _Z35paged_attention_ll4mi_reduce_kernelI14__hip_bfloat16S0_Li128ELi128ELi256ELi8EEvPT0_PKfS4_PKT_PKiS9_iS4_.kd
    .uniform_work_group_size: 1
    .uses_dynamic_stack: false
    .vgpr_count:     52
    .vgpr_spill_count: 0
    .wavefront_size: 32
    .workgroup_processor_mode: 1
  - .args:
      - .actual_access:  read_only
        .address_space:  global
        .offset:         0
        .size:           8
        .value_kind:     global_buffer
      - .actual_access:  read_only
        .address_space:  global
        .offset:         8
        .size:           8
        .value_kind:     global_buffer
      - .actual_access:  read_only
        .address_space:  global
        .offset:         16
        .size:           8
        .value_kind:     global_buffer
      - .offset:         24
        .size:           4
        .value_kind:     by_value
      - .offset:         28
        .size:           4
        .value_kind:     by_value
      - .actual_access:  read_only
        .address_space:  global
        .offset:         32
        .size:           8
        .value_kind:     global_buffer
      - .actual_access:  read_only
        .address_space:  global
        .offset:         40
        .size:           8
        .value_kind:     global_buffer
      - .actual_access:  read_only
        .address_space:  global
        .offset:         48
        .size:           8
        .value_kind:     global_buffer
      - .offset:         56
        .size:           4
        .value_kind:     by_value
      - .actual_access:  read_only
        .address_space:  global
        .offset:         64
        .size:           8
        .value_kind:     global_buffer
      - .offset:         72
        .size:           4
        .value_kind:     by_value
      - .offset:         76
        .size:           4
        .value_kind:     by_value
      - .offset:         80
        .size:           4
        .value_kind:     by_value
      - .actual_access:  write_only
        .address_space:  global
        .offset:         88
        .size:           8
        .value_kind:     global_buffer
      - .actual_access:  write_only
        .address_space:  global
        .offset:         96
        .size:           8
        .value_kind:     global_buffer
      - .actual_access:  write_only
        .address_space:  global
        .offset:         104
        .size:           8
        .value_kind:     global_buffer
      - .actual_access:  read_only
        .address_space:  global
        .offset:         112
        .size:           8
        .value_kind:     global_buffer
      - .offset:         120
        .size:           4
        .value_kind:     by_value
      - .address_space:  global
        .offset:         128
        .size:           8
        .value_kind:     global_buffer
      - .address_space:  global
        .offset:         136
        .size:           8
        .value_kind:     global_buffer
      - .offset:         144
        .size:           4
        .value_kind:     hidden_block_count_x
      - .offset:         148
        .size:           4
        .value_kind:     hidden_block_count_y
      - .offset:         152
        .size:           4
        .value_kind:     hidden_block_count_z
      - .offset:         156
        .size:           2
        .value_kind:     hidden_group_size_x
      - .offset:         158
        .size:           2
        .value_kind:     hidden_group_size_y
      - .offset:         160
        .size:           2
        .value_kind:     hidden_group_size_z
      - .offset:         162
        .size:           2
        .value_kind:     hidden_remainder_x
      - .offset:         164
        .size:           2
        .value_kind:     hidden_remainder_y
      - .offset:         166
        .size:           2
        .value_kind:     hidden_remainder_z
      - .offset:         184
        .size:           8
        .value_kind:     hidden_global_offset_x
      - .offset:         192
        .size:           8
        .value_kind:     hidden_global_offset_y
      - .offset:         200
        .size:           8
        .value_kind:     hidden_global_offset_z
      - .offset:         208
        .size:           2
        .value_kind:     hidden_grid_dims
    .group_segment_fixed_size: 17472
    .kernarg_segment_align: 8
    .kernarg_segment_size: 400
    .language:       OpenCL C
    .language_version:
      - 2
      - 0
    .max_flat_workgroup_size: 256
    .name:           _Z39paged_attention_ll4mi_QKV_mfma16_kernelI14__hip_bfloat16S0_LN4vllm18Fp8KVCacheDataTypeE0ES0_Li16ELi128ELi256ELb1ELi1EL8MFMAType0EEvPKT_PKT0_S9_ifPKiSB_SB_iPKfiiiPfSE_PS4_PT2_iSD_SD_
    .private_segment_fixed_size: 0
    .sgpr_count:     100
    .sgpr_spill_count: 0
    .symbol:         _Z39paged_attention_ll4mi_QKV_mfma16_kernelI14__hip_bfloat16S0_LN4vllm18Fp8KVCacheDataTypeE0ES0_Li16ELi128ELi256ELb1ELi1EL8MFMAType0EEvPKT_PKT0_S9_ifPKiSB_SB_iPKfiiiPfSE_PS4_PT2_iSD_SD_.kd
    .uniform_work_group_size: 1
    .uses_dynamic_stack: false
    .vgpr_count:     201
    .vgpr_spill_count: 0
    .wavefront_size: 32
    .workgroup_processor_mode: 1
  - .args:
      - .actual_access:  read_only
        .address_space:  global
        .offset:         0
        .size:           8
        .value_kind:     global_buffer
      - .actual_access:  read_only
        .address_space:  global
        .offset:         8
        .size:           8
        .value_kind:     global_buffer
      - .actual_access:  read_only
        .address_space:  global
        .offset:         16
        .size:           8
        .value_kind:     global_buffer
      - .offset:         24
        .size:           4
        .value_kind:     by_value
      - .offset:         28
        .size:           4
        .value_kind:     by_value
      - .actual_access:  read_only
        .address_space:  global
        .offset:         32
        .size:           8
        .value_kind:     global_buffer
      - .actual_access:  read_only
        .address_space:  global
        .offset:         40
        .size:           8
        .value_kind:     global_buffer
      - .actual_access:  read_only
        .address_space:  global
        .offset:         48
        .size:           8
        .value_kind:     global_buffer
      - .offset:         56
        .size:           4
        .value_kind:     by_value
      - .actual_access:  read_only
        .address_space:  global
        .offset:         64
        .size:           8
        .value_kind:     global_buffer
      - .offset:         72
        .size:           4
        .value_kind:     by_value
      - .offset:         76
        .size:           4
        .value_kind:     by_value
      - .offset:         80
        .size:           4
        .value_kind:     by_value
      - .actual_access:  write_only
        .address_space:  global
        .offset:         88
        .size:           8
        .value_kind:     global_buffer
      - .actual_access:  write_only
        .address_space:  global
        .offset:         96
        .size:           8
        .value_kind:     global_buffer
      - .actual_access:  write_only
        .address_space:  global
        .offset:         104
        .size:           8
        .value_kind:     global_buffer
      - .actual_access:  read_only
        .address_space:  global
        .offset:         112
        .size:           8
        .value_kind:     global_buffer
      - .offset:         120
        .size:           4
        .value_kind:     by_value
      - .address_space:  global
        .offset:         128
        .size:           8
        .value_kind:     global_buffer
      - .address_space:  global
        .offset:         136
        .size:           8
        .value_kind:     global_buffer
      - .offset:         144
        .size:           4
        .value_kind:     hidden_block_count_x
      - .offset:         148
        .size:           4
        .value_kind:     hidden_block_count_y
      - .offset:         152
        .size:           4
        .value_kind:     hidden_block_count_z
      - .offset:         156
        .size:           2
        .value_kind:     hidden_group_size_x
      - .offset:         158
        .size:           2
        .value_kind:     hidden_group_size_y
      - .offset:         160
        .size:           2
        .value_kind:     hidden_group_size_z
      - .offset:         162
        .size:           2
        .value_kind:     hidden_remainder_x
      - .offset:         164
        .size:           2
        .value_kind:     hidden_remainder_y
      - .offset:         166
        .size:           2
        .value_kind:     hidden_remainder_z
      - .offset:         184
        .size:           8
        .value_kind:     hidden_global_offset_x
      - .offset:         192
        .size:           8
        .value_kind:     hidden_global_offset_y
      - .offset:         200
        .size:           8
        .value_kind:     hidden_global_offset_z
      - .offset:         208
        .size:           2
        .value_kind:     hidden_grid_dims
    .group_segment_fixed_size: 17472
    .kernarg_segment_align: 8
    .kernarg_segment_size: 400
    .language:       OpenCL C
    .language_version:
      - 2
      - 0
    .max_flat_workgroup_size: 256
    .name:           _Z39paged_attention_ll4mi_QKV_mfma16_kernelI14__hip_bfloat16S0_LN4vllm18Fp8KVCacheDataTypeE0ES0_Li16ELi128ELi256ELb1ELi2EL8MFMAType0EEvPKT_PKT0_S9_ifPKiSB_SB_iPKfiiiPfSE_PS4_PT2_iSD_SD_
    .private_segment_fixed_size: 0
    .sgpr_count:     54
    .sgpr_spill_count: 0
    .symbol:         _Z39paged_attention_ll4mi_QKV_mfma16_kernelI14__hip_bfloat16S0_LN4vllm18Fp8KVCacheDataTypeE0ES0_Li16ELi128ELi256ELb1ELi2EL8MFMAType0EEvPKT_PKT0_S9_ifPKiSB_SB_iPKfiiiPfSE_PS4_PT2_iSD_SD_.kd
    .uniform_work_group_size: 1
    .uses_dynamic_stack: false
    .vgpr_count:     230
    .vgpr_spill_count: 0
    .wavefront_size: 32
    .workgroup_processor_mode: 1
  - .args:
      - .actual_access:  read_only
        .address_space:  global
        .offset:         0
        .size:           8
        .value_kind:     global_buffer
      - .actual_access:  read_only
        .address_space:  global
        .offset:         8
        .size:           8
        .value_kind:     global_buffer
      - .actual_access:  read_only
        .address_space:  global
        .offset:         16
        .size:           8
        .value_kind:     global_buffer
      - .offset:         24
        .size:           4
        .value_kind:     by_value
      - .offset:         28
        .size:           4
        .value_kind:     by_value
      - .actual_access:  read_only
        .address_space:  global
        .offset:         32
        .size:           8
        .value_kind:     global_buffer
      - .actual_access:  read_only
        .address_space:  global
        .offset:         40
        .size:           8
        .value_kind:     global_buffer
      - .actual_access:  read_only
        .address_space:  global
        .offset:         48
        .size:           8
        .value_kind:     global_buffer
      - .offset:         56
        .size:           4
        .value_kind:     by_value
      - .actual_access:  read_only
        .address_space:  global
        .offset:         64
        .size:           8
        .value_kind:     global_buffer
      - .offset:         72
        .size:           4
        .value_kind:     by_value
      - .offset:         76
        .size:           4
        .value_kind:     by_value
      - .offset:         80
        .size:           4
        .value_kind:     by_value
      - .actual_access:  write_only
        .address_space:  global
        .offset:         88
        .size:           8
        .value_kind:     global_buffer
      - .actual_access:  write_only
        .address_space:  global
        .offset:         96
        .size:           8
        .value_kind:     global_buffer
      - .actual_access:  write_only
        .address_space:  global
        .offset:         104
        .size:           8
        .value_kind:     global_buffer
      - .actual_access:  read_only
        .address_space:  global
        .offset:         112
        .size:           8
        .value_kind:     global_buffer
      - .offset:         120
        .size:           4
        .value_kind:     by_value
      - .address_space:  global
        .offset:         128
        .size:           8
        .value_kind:     global_buffer
      - .address_space:  global
        .offset:         136
        .size:           8
        .value_kind:     global_buffer
      - .offset:         144
        .size:           4
        .value_kind:     hidden_block_count_x
      - .offset:         148
        .size:           4
        .value_kind:     hidden_block_count_y
      - .offset:         152
        .size:           4
        .value_kind:     hidden_block_count_z
      - .offset:         156
        .size:           2
        .value_kind:     hidden_group_size_x
      - .offset:         158
        .size:           2
        .value_kind:     hidden_group_size_y
      - .offset:         160
        .size:           2
        .value_kind:     hidden_group_size_z
      - .offset:         162
        .size:           2
        .value_kind:     hidden_remainder_x
      - .offset:         164
        .size:           2
        .value_kind:     hidden_remainder_y
      - .offset:         166
        .size:           2
        .value_kind:     hidden_remainder_z
      - .offset:         184
        .size:           8
        .value_kind:     hidden_global_offset_x
      - .offset:         192
        .size:           8
        .value_kind:     hidden_global_offset_y
      - .offset:         200
        .size:           8
        .value_kind:     hidden_global_offset_z
      - .offset:         208
        .size:           2
        .value_kind:     hidden_grid_dims
    .group_segment_fixed_size: 17472
    .kernarg_segment_align: 8
    .kernarg_segment_size: 400
    .language:       OpenCL C
    .language_version:
      - 2
      - 0
    .max_flat_workgroup_size: 256
    .name:           _Z39paged_attention_ll4mi_QKV_mfma16_kernelI14__hip_bfloat16S0_LN4vllm18Fp8KVCacheDataTypeE0ES0_Li16ELi128ELi256ELb1ELi3EL8MFMAType0EEvPKT_PKT0_S9_ifPKiSB_SB_iPKfiiiPfSE_PS4_PT2_iSD_SD_
    .private_segment_fixed_size: 0
    .sgpr_count:     52
    .sgpr_spill_count: 0
    .symbol:         _Z39paged_attention_ll4mi_QKV_mfma16_kernelI14__hip_bfloat16S0_LN4vllm18Fp8KVCacheDataTypeE0ES0_Li16ELi128ELi256ELb1ELi3EL8MFMAType0EEvPKT_PKT0_S9_ifPKiSB_SB_iPKfiiiPfSE_PS4_PT2_iSD_SD_.kd
    .uniform_work_group_size: 1
    .uses_dynamic_stack: false
    .vgpr_count:     218
    .vgpr_spill_count: 0
    .wavefront_size: 32
    .workgroup_processor_mode: 1
  - .args:
      - .actual_access:  read_only
        .address_space:  global
        .offset:         0
        .size:           8
        .value_kind:     global_buffer
      - .actual_access:  read_only
        .address_space:  global
        .offset:         8
        .size:           8
        .value_kind:     global_buffer
      - .actual_access:  read_only
        .address_space:  global
        .offset:         16
        .size:           8
        .value_kind:     global_buffer
      - .offset:         24
        .size:           4
        .value_kind:     by_value
      - .offset:         28
        .size:           4
        .value_kind:     by_value
      - .actual_access:  read_only
        .address_space:  global
        .offset:         32
        .size:           8
        .value_kind:     global_buffer
      - .actual_access:  read_only
        .address_space:  global
        .offset:         40
        .size:           8
        .value_kind:     global_buffer
      - .actual_access:  read_only
        .address_space:  global
        .offset:         48
        .size:           8
        .value_kind:     global_buffer
      - .offset:         56
        .size:           4
        .value_kind:     by_value
      - .actual_access:  read_only
        .address_space:  global
        .offset:         64
        .size:           8
        .value_kind:     global_buffer
      - .offset:         72
        .size:           4
        .value_kind:     by_value
      - .offset:         76
        .size:           4
        .value_kind:     by_value
      - .offset:         80
        .size:           4
        .value_kind:     by_value
      - .actual_access:  write_only
        .address_space:  global
        .offset:         88
        .size:           8
        .value_kind:     global_buffer
      - .actual_access:  write_only
        .address_space:  global
        .offset:         96
        .size:           8
        .value_kind:     global_buffer
      - .actual_access:  write_only
        .address_space:  global
        .offset:         104
        .size:           8
        .value_kind:     global_buffer
      - .actual_access:  read_only
        .address_space:  global
        .offset:         112
        .size:           8
        .value_kind:     global_buffer
      - .offset:         120
        .size:           4
        .value_kind:     by_value
      - .address_space:  global
        .offset:         128
        .size:           8
        .value_kind:     global_buffer
      - .address_space:  global
        .offset:         136
        .size:           8
        .value_kind:     global_buffer
      - .offset:         144
        .size:           4
        .value_kind:     hidden_block_count_x
      - .offset:         148
        .size:           4
        .value_kind:     hidden_block_count_y
      - .offset:         152
        .size:           4
        .value_kind:     hidden_block_count_z
      - .offset:         156
        .size:           2
        .value_kind:     hidden_group_size_x
      - .offset:         158
        .size:           2
        .value_kind:     hidden_group_size_y
      - .offset:         160
        .size:           2
        .value_kind:     hidden_group_size_z
      - .offset:         162
        .size:           2
        .value_kind:     hidden_remainder_x
      - .offset:         164
        .size:           2
        .value_kind:     hidden_remainder_y
      - .offset:         166
        .size:           2
        .value_kind:     hidden_remainder_z
      - .offset:         184
        .size:           8
        .value_kind:     hidden_global_offset_x
      - .offset:         192
        .size:           8
        .value_kind:     hidden_global_offset_y
      - .offset:         200
        .size:           8
        .value_kind:     hidden_global_offset_z
      - .offset:         208
        .size:           2
        .value_kind:     hidden_grid_dims
    .group_segment_fixed_size: 17472
    .kernarg_segment_align: 8
    .kernarg_segment_size: 400
    .language:       OpenCL C
    .language_version:
      - 2
      - 0
    .max_flat_workgroup_size: 256
    .name:           _Z39paged_attention_ll4mi_QKV_mfma16_kernelI14__hip_bfloat16S0_LN4vllm18Fp8KVCacheDataTypeE0ES0_Li16ELi128ELi256ELb1ELi4EL8MFMAType0EEvPKT_PKT0_S9_ifPKiSB_SB_iPKfiiiPfSE_PS4_PT2_iSD_SD_
    .private_segment_fixed_size: 0
    .sgpr_count:     52
    .sgpr_spill_count: 0
    .symbol:         _Z39paged_attention_ll4mi_QKV_mfma16_kernelI14__hip_bfloat16S0_LN4vllm18Fp8KVCacheDataTypeE0ES0_Li16ELi128ELi256ELb1ELi4EL8MFMAType0EEvPKT_PKT0_S9_ifPKiSB_SB_iPKfiiiPfSE_PS4_PT2_iSD_SD_.kd
    .uniform_work_group_size: 1
    .uses_dynamic_stack: false
    .vgpr_count:     218
    .vgpr_spill_count: 0
    .wavefront_size: 32
    .workgroup_processor_mode: 1
  - .args:
      - .actual_access:  write_only
        .address_space:  global
        .offset:         0
        .size:           8
        .value_kind:     global_buffer
      - .actual_access:  read_only
        .address_space:  global
        .offset:         8
        .size:           8
        .value_kind:     global_buffer
      - .actual_access:  read_only
        .address_space:  global
        .offset:         16
        .size:           8
        .value_kind:     global_buffer
      - .actual_access:  read_only
        .address_space:  global
        .offset:         24
        .size:           8
        .value_kind:     global_buffer
      - .actual_access:  read_only
        .address_space:  global
        .offset:         32
        .size:           8
        .value_kind:     global_buffer
      - .actual_access:  read_only
        .address_space:  global
        .offset:         40
        .size:           8
        .value_kind:     global_buffer
      - .offset:         48
        .size:           4
        .value_kind:     by_value
      - .actual_access:  read_only
        .address_space:  global
        .offset:         56
        .size:           8
        .value_kind:     global_buffer
      - .offset:         64
        .size:           4
        .value_kind:     hidden_block_count_x
      - .offset:         68
        .size:           4
        .value_kind:     hidden_block_count_y
      - .offset:         72
        .size:           4
        .value_kind:     hidden_block_count_z
      - .offset:         76
        .size:           2
        .value_kind:     hidden_group_size_x
      - .offset:         78
        .size:           2
        .value_kind:     hidden_group_size_y
      - .offset:         80
        .size:           2
        .value_kind:     hidden_group_size_z
      - .offset:         82
        .size:           2
        .value_kind:     hidden_remainder_x
      - .offset:         84
        .size:           2
        .value_kind:     hidden_remainder_y
      - .offset:         86
        .size:           2
        .value_kind:     hidden_remainder_z
      - .offset:         104
        .size:           8
        .value_kind:     hidden_global_offset_x
      - .offset:         112
        .size:           8
        .value_kind:     hidden_global_offset_y
      - .offset:         120
        .size:           8
        .value_kind:     hidden_global_offset_z
      - .offset:         128
        .size:           2
        .value_kind:     hidden_grid_dims
    .group_segment_fixed_size: 1156
    .kernarg_segment_align: 8
    .kernarg_segment_size: 320
    .language:       OpenCL C
    .language_version:
      - 2
      - 0
    .max_flat_workgroup_size: 128
    .name:           _Z35paged_attention_ll4mi_reduce_kernelI14__hip_bfloat16S0_Li128ELi128ELi256ELi9EEvPT0_PKfS4_PKT_PKiS9_iS4_
    .private_segment_fixed_size: 0
    .sgpr_count:     51
    .sgpr_spill_count: 0
    .symbol:         _Z35paged_attention_ll4mi_reduce_kernelI14__hip_bfloat16S0_Li128ELi128ELi256ELi9EEvPT0_PKfS4_PKT_PKiS9_iS4_.kd
    .uniform_work_group_size: 1
    .uses_dynamic_stack: false
    .vgpr_count:     52
    .vgpr_spill_count: 0
    .wavefront_size: 32
    .workgroup_processor_mode: 1
  - .args:
      - .actual_access:  write_only
        .address_space:  global
        .offset:         0
        .size:           8
        .value_kind:     global_buffer
      - .actual_access:  read_only
        .address_space:  global
        .offset:         8
        .size:           8
        .value_kind:     global_buffer
      - .actual_access:  read_only
        .address_space:  global
        .offset:         16
        .size:           8
        .value_kind:     global_buffer
      - .actual_access:  read_only
        .address_space:  global
        .offset:         24
        .size:           8
        .value_kind:     global_buffer
      - .actual_access:  read_only
        .address_space:  global
        .offset:         32
        .size:           8
        .value_kind:     global_buffer
      - .actual_access:  read_only
        .address_space:  global
        .offset:         40
        .size:           8
        .value_kind:     global_buffer
      - .offset:         48
        .size:           4
        .value_kind:     by_value
      - .actual_access:  read_only
        .address_space:  global
        .offset:         56
        .size:           8
        .value_kind:     global_buffer
      - .offset:         64
        .size:           4
        .value_kind:     hidden_block_count_x
      - .offset:         68
        .size:           4
        .value_kind:     hidden_block_count_y
      - .offset:         72
        .size:           4
        .value_kind:     hidden_block_count_z
      - .offset:         76
        .size:           2
        .value_kind:     hidden_group_size_x
      - .offset:         78
        .size:           2
        .value_kind:     hidden_group_size_y
      - .offset:         80
        .size:           2
        .value_kind:     hidden_group_size_z
      - .offset:         82
        .size:           2
        .value_kind:     hidden_remainder_x
      - .offset:         84
        .size:           2
        .value_kind:     hidden_remainder_y
      - .offset:         86
        .size:           2
        .value_kind:     hidden_remainder_z
      - .offset:         104
        .size:           8
        .value_kind:     hidden_global_offset_x
      - .offset:         112
        .size:           8
        .value_kind:     hidden_global_offset_y
      - .offset:         120
        .size:           8
        .value_kind:     hidden_global_offset_z
      - .offset:         128
        .size:           2
        .value_kind:     hidden_grid_dims
    .group_segment_fixed_size: 1284
    .kernarg_segment_align: 8
    .kernarg_segment_size: 320
    .language:       OpenCL C
    .language_version:
      - 2
      - 0
    .max_flat_workgroup_size: 128
    .name:           _Z35paged_attention_ll4mi_reduce_kernelI14__hip_bfloat16S0_Li128ELi128ELi256ELi10EEvPT0_PKfS4_PKT_PKiS9_iS4_
    .private_segment_fixed_size: 0
    .sgpr_count:     51
    .sgpr_spill_count: 0
    .symbol:         _Z35paged_attention_ll4mi_reduce_kernelI14__hip_bfloat16S0_Li128ELi128ELi256ELi10EEvPT0_PKfS4_PKT_PKiS9_iS4_.kd
    .uniform_work_group_size: 1
    .uses_dynamic_stack: false
    .vgpr_count:     57
    .vgpr_spill_count: 0
    .wavefront_size: 32
    .workgroup_processor_mode: 1
  - .args:
      - .actual_access:  write_only
        .address_space:  global
        .offset:         0
        .size:           8
        .value_kind:     global_buffer
      - .actual_access:  read_only
        .address_space:  global
        .offset:         8
        .size:           8
        .value_kind:     global_buffer
      - .actual_access:  read_only
        .address_space:  global
        .offset:         16
        .size:           8
        .value_kind:     global_buffer
      - .actual_access:  read_only
        .address_space:  global
        .offset:         24
        .size:           8
        .value_kind:     global_buffer
      - .actual_access:  read_only
        .address_space:  global
        .offset:         32
        .size:           8
        .value_kind:     global_buffer
      - .actual_access:  read_only
        .address_space:  global
        .offset:         40
        .size:           8
        .value_kind:     global_buffer
      - .offset:         48
        .size:           4
        .value_kind:     by_value
      - .actual_access:  read_only
        .address_space:  global
        .offset:         56
        .size:           8
        .value_kind:     global_buffer
      - .offset:         64
        .size:           4
        .value_kind:     hidden_block_count_x
      - .offset:         68
        .size:           4
        .value_kind:     hidden_block_count_y
      - .offset:         72
        .size:           4
        .value_kind:     hidden_block_count_z
      - .offset:         76
        .size:           2
        .value_kind:     hidden_group_size_x
      - .offset:         78
        .size:           2
        .value_kind:     hidden_group_size_y
      - .offset:         80
        .size:           2
        .value_kind:     hidden_group_size_z
      - .offset:         82
        .size:           2
        .value_kind:     hidden_remainder_x
      - .offset:         84
        .size:           2
        .value_kind:     hidden_remainder_y
      - .offset:         86
        .size:           2
        .value_kind:     hidden_remainder_z
      - .offset:         104
        .size:           8
        .value_kind:     hidden_global_offset_x
      - .offset:         112
        .size:           8
        .value_kind:     hidden_global_offset_y
      - .offset:         120
        .size:           8
        .value_kind:     hidden_global_offset_z
      - .offset:         128
        .size:           2
        .value_kind:     hidden_grid_dims
    .group_segment_fixed_size: 1412
    .kernarg_segment_align: 8
    .kernarg_segment_size: 320
    .language:       OpenCL C
    .language_version:
      - 2
      - 0
    .max_flat_workgroup_size: 128
    .name:           _Z35paged_attention_ll4mi_reduce_kernelI14__hip_bfloat16S0_Li128ELi128ELi256ELi11EEvPT0_PKfS4_PKT_PKiS9_iS4_
    .private_segment_fixed_size: 0
    .sgpr_count:     51
    .sgpr_spill_count: 0
    .symbol:         _Z35paged_attention_ll4mi_reduce_kernelI14__hip_bfloat16S0_Li128ELi128ELi256ELi11EEvPT0_PKfS4_PKT_PKiS9_iS4_.kd
    .uniform_work_group_size: 1
    .uses_dynamic_stack: false
    .vgpr_count:     62
    .vgpr_spill_count: 0
    .wavefront_size: 32
    .workgroup_processor_mode: 1
  - .args:
      - .actual_access:  write_only
        .address_space:  global
        .offset:         0
        .size:           8
        .value_kind:     global_buffer
      - .actual_access:  read_only
        .address_space:  global
        .offset:         8
        .size:           8
        .value_kind:     global_buffer
      - .actual_access:  read_only
        .address_space:  global
        .offset:         16
        .size:           8
        .value_kind:     global_buffer
      - .actual_access:  read_only
        .address_space:  global
        .offset:         24
        .size:           8
        .value_kind:     global_buffer
      - .actual_access:  read_only
        .address_space:  global
        .offset:         32
        .size:           8
        .value_kind:     global_buffer
      - .actual_access:  read_only
        .address_space:  global
        .offset:         40
        .size:           8
        .value_kind:     global_buffer
      - .offset:         48
        .size:           4
        .value_kind:     by_value
      - .actual_access:  read_only
        .address_space:  global
        .offset:         56
        .size:           8
        .value_kind:     global_buffer
      - .offset:         64
        .size:           4
        .value_kind:     hidden_block_count_x
      - .offset:         68
        .size:           4
        .value_kind:     hidden_block_count_y
      - .offset:         72
        .size:           4
        .value_kind:     hidden_block_count_z
      - .offset:         76
        .size:           2
        .value_kind:     hidden_group_size_x
      - .offset:         78
        .size:           2
        .value_kind:     hidden_group_size_y
      - .offset:         80
        .size:           2
        .value_kind:     hidden_group_size_z
      - .offset:         82
        .size:           2
        .value_kind:     hidden_remainder_x
      - .offset:         84
        .size:           2
        .value_kind:     hidden_remainder_y
      - .offset:         86
        .size:           2
        .value_kind:     hidden_remainder_z
      - .offset:         104
        .size:           8
        .value_kind:     hidden_global_offset_x
      - .offset:         112
        .size:           8
        .value_kind:     hidden_global_offset_y
      - .offset:         120
        .size:           8
        .value_kind:     hidden_global_offset_z
      - .offset:         128
        .size:           2
        .value_kind:     hidden_grid_dims
    .group_segment_fixed_size: 1540
    .kernarg_segment_align: 8
    .kernarg_segment_size: 320
    .language:       OpenCL C
    .language_version:
      - 2
      - 0
    .max_flat_workgroup_size: 128
    .name:           _Z35paged_attention_ll4mi_reduce_kernelI14__hip_bfloat16S0_Li128ELi128ELi256ELi12EEvPT0_PKfS4_PKT_PKiS9_iS4_
    .private_segment_fixed_size: 0
    .sgpr_count:     51
    .sgpr_spill_count: 0
    .symbol:         _Z35paged_attention_ll4mi_reduce_kernelI14__hip_bfloat16S0_Li128ELi128ELi256ELi12EEvPT0_PKfS4_PKT_PKiS9_iS4_.kd
    .uniform_work_group_size: 1
    .uses_dynamic_stack: false
    .vgpr_count:     67
    .vgpr_spill_count: 0
    .wavefront_size: 32
    .workgroup_processor_mode: 1
  - .args:
      - .actual_access:  write_only
        .address_space:  global
        .offset:         0
        .size:           8
        .value_kind:     global_buffer
      - .actual_access:  read_only
        .address_space:  global
        .offset:         8
        .size:           8
        .value_kind:     global_buffer
      - .actual_access:  read_only
        .address_space:  global
        .offset:         16
        .size:           8
        .value_kind:     global_buffer
      - .actual_access:  read_only
        .address_space:  global
        .offset:         24
        .size:           8
        .value_kind:     global_buffer
      - .actual_access:  read_only
        .address_space:  global
        .offset:         32
        .size:           8
        .value_kind:     global_buffer
      - .actual_access:  read_only
        .address_space:  global
        .offset:         40
        .size:           8
        .value_kind:     global_buffer
      - .offset:         48
        .size:           4
        .value_kind:     by_value
      - .actual_access:  read_only
        .address_space:  global
        .offset:         56
        .size:           8
        .value_kind:     global_buffer
      - .offset:         64
        .size:           4
        .value_kind:     hidden_block_count_x
      - .offset:         68
        .size:           4
        .value_kind:     hidden_block_count_y
      - .offset:         72
        .size:           4
        .value_kind:     hidden_block_count_z
      - .offset:         76
        .size:           2
        .value_kind:     hidden_group_size_x
      - .offset:         78
        .size:           2
        .value_kind:     hidden_group_size_y
      - .offset:         80
        .size:           2
        .value_kind:     hidden_group_size_z
      - .offset:         82
        .size:           2
        .value_kind:     hidden_remainder_x
      - .offset:         84
        .size:           2
        .value_kind:     hidden_remainder_y
      - .offset:         86
        .size:           2
        .value_kind:     hidden_remainder_z
      - .offset:         104
        .size:           8
        .value_kind:     hidden_global_offset_x
      - .offset:         112
        .size:           8
        .value_kind:     hidden_global_offset_y
      - .offset:         120
        .size:           8
        .value_kind:     hidden_global_offset_z
      - .offset:         128
        .size:           2
        .value_kind:     hidden_grid_dims
    .group_segment_fixed_size: 1668
    .kernarg_segment_align: 8
    .kernarg_segment_size: 320
    .language:       OpenCL C
    .language_version:
      - 2
      - 0
    .max_flat_workgroup_size: 128
    .name:           _Z35paged_attention_ll4mi_reduce_kernelI14__hip_bfloat16S0_Li128ELi128ELi256ELi13EEvPT0_PKfS4_PKT_PKiS9_iS4_
    .private_segment_fixed_size: 0
    .sgpr_count:     51
    .sgpr_spill_count: 0
    .symbol:         _Z35paged_attention_ll4mi_reduce_kernelI14__hip_bfloat16S0_Li128ELi128ELi256ELi13EEvPT0_PKfS4_PKT_PKiS9_iS4_.kd
    .uniform_work_group_size: 1
    .uses_dynamic_stack: false
    .vgpr_count:     68
    .vgpr_spill_count: 0
    .wavefront_size: 32
    .workgroup_processor_mode: 1
  - .args:
      - .actual_access:  write_only
        .address_space:  global
        .offset:         0
        .size:           8
        .value_kind:     global_buffer
      - .actual_access:  read_only
        .address_space:  global
        .offset:         8
        .size:           8
        .value_kind:     global_buffer
      - .actual_access:  read_only
        .address_space:  global
        .offset:         16
        .size:           8
        .value_kind:     global_buffer
      - .actual_access:  read_only
        .address_space:  global
        .offset:         24
        .size:           8
        .value_kind:     global_buffer
      - .actual_access:  read_only
        .address_space:  global
        .offset:         32
        .size:           8
        .value_kind:     global_buffer
      - .actual_access:  read_only
        .address_space:  global
        .offset:         40
        .size:           8
        .value_kind:     global_buffer
      - .offset:         48
        .size:           4
        .value_kind:     by_value
      - .actual_access:  read_only
        .address_space:  global
        .offset:         56
        .size:           8
        .value_kind:     global_buffer
      - .offset:         64
        .size:           4
        .value_kind:     hidden_block_count_x
      - .offset:         68
        .size:           4
        .value_kind:     hidden_block_count_y
      - .offset:         72
        .size:           4
        .value_kind:     hidden_block_count_z
      - .offset:         76
        .size:           2
        .value_kind:     hidden_group_size_x
      - .offset:         78
        .size:           2
        .value_kind:     hidden_group_size_y
      - .offset:         80
        .size:           2
        .value_kind:     hidden_group_size_z
      - .offset:         82
        .size:           2
        .value_kind:     hidden_remainder_x
      - .offset:         84
        .size:           2
        .value_kind:     hidden_remainder_y
      - .offset:         86
        .size:           2
        .value_kind:     hidden_remainder_z
      - .offset:         104
        .size:           8
        .value_kind:     hidden_global_offset_x
      - .offset:         112
        .size:           8
        .value_kind:     hidden_global_offset_y
      - .offset:         120
        .size:           8
        .value_kind:     hidden_global_offset_z
      - .offset:         128
        .size:           2
        .value_kind:     hidden_grid_dims
    .group_segment_fixed_size: 1796
    .kernarg_segment_align: 8
    .kernarg_segment_size: 320
    .language:       OpenCL C
    .language_version:
      - 2
      - 0
    .max_flat_workgroup_size: 128
    .name:           _Z35paged_attention_ll4mi_reduce_kernelI14__hip_bfloat16S0_Li128ELi128ELi256ELi14EEvPT0_PKfS4_PKT_PKiS9_iS4_
    .private_segment_fixed_size: 0
    .sgpr_count:     51
    .sgpr_spill_count: 0
    .symbol:         _Z35paged_attention_ll4mi_reduce_kernelI14__hip_bfloat16S0_Li128ELi128ELi256ELi14EEvPT0_PKfS4_PKT_PKiS9_iS4_.kd
    .uniform_work_group_size: 1
    .uses_dynamic_stack: false
    .vgpr_count:     77
    .vgpr_spill_count: 0
    .wavefront_size: 32
    .workgroup_processor_mode: 1
  - .args:
      - .actual_access:  write_only
        .address_space:  global
        .offset:         0
        .size:           8
        .value_kind:     global_buffer
      - .actual_access:  read_only
        .address_space:  global
        .offset:         8
        .size:           8
        .value_kind:     global_buffer
      - .actual_access:  read_only
        .address_space:  global
        .offset:         16
        .size:           8
        .value_kind:     global_buffer
      - .actual_access:  read_only
        .address_space:  global
        .offset:         24
        .size:           8
        .value_kind:     global_buffer
      - .actual_access:  read_only
        .address_space:  global
        .offset:         32
        .size:           8
        .value_kind:     global_buffer
      - .actual_access:  read_only
        .address_space:  global
        .offset:         40
        .size:           8
        .value_kind:     global_buffer
      - .offset:         48
        .size:           4
        .value_kind:     by_value
      - .actual_access:  read_only
        .address_space:  global
        .offset:         56
        .size:           8
        .value_kind:     global_buffer
      - .offset:         64
        .size:           4
        .value_kind:     hidden_block_count_x
      - .offset:         68
        .size:           4
        .value_kind:     hidden_block_count_y
      - .offset:         72
        .size:           4
        .value_kind:     hidden_block_count_z
      - .offset:         76
        .size:           2
        .value_kind:     hidden_group_size_x
      - .offset:         78
        .size:           2
        .value_kind:     hidden_group_size_y
      - .offset:         80
        .size:           2
        .value_kind:     hidden_group_size_z
      - .offset:         82
        .size:           2
        .value_kind:     hidden_remainder_x
      - .offset:         84
        .size:           2
        .value_kind:     hidden_remainder_y
      - .offset:         86
        .size:           2
        .value_kind:     hidden_remainder_z
      - .offset:         104
        .size:           8
        .value_kind:     hidden_global_offset_x
      - .offset:         112
        .size:           8
        .value_kind:     hidden_global_offset_y
      - .offset:         120
        .size:           8
        .value_kind:     hidden_global_offset_z
      - .offset:         128
        .size:           2
        .value_kind:     hidden_grid_dims
    .group_segment_fixed_size: 1924
    .kernarg_segment_align: 8
    .kernarg_segment_size: 320
    .language:       OpenCL C
    .language_version:
      - 2
      - 0
    .max_flat_workgroup_size: 128
    .name:           _Z35paged_attention_ll4mi_reduce_kernelI14__hip_bfloat16S0_Li128ELi128ELi256ELi15EEvPT0_PKfS4_PKT_PKiS9_iS4_
    .private_segment_fixed_size: 0
    .sgpr_count:     51
    .sgpr_spill_count: 0
    .symbol:         _Z35paged_attention_ll4mi_reduce_kernelI14__hip_bfloat16S0_Li128ELi128ELi256ELi15EEvPT0_PKfS4_PKT_PKiS9_iS4_.kd
    .uniform_work_group_size: 1
    .uses_dynamic_stack: false
    .vgpr_count:     77
    .vgpr_spill_count: 0
    .wavefront_size: 32
    .workgroup_processor_mode: 1
  - .args:
      - .actual_access:  write_only
        .address_space:  global
        .offset:         0
        .size:           8
        .value_kind:     global_buffer
      - .actual_access:  read_only
        .address_space:  global
        .offset:         8
        .size:           8
        .value_kind:     global_buffer
      - .actual_access:  read_only
        .address_space:  global
        .offset:         16
        .size:           8
        .value_kind:     global_buffer
      - .actual_access:  read_only
        .address_space:  global
        .offset:         24
        .size:           8
        .value_kind:     global_buffer
      - .actual_access:  read_only
        .address_space:  global
        .offset:         32
        .size:           8
        .value_kind:     global_buffer
      - .actual_access:  read_only
        .address_space:  global
        .offset:         40
        .size:           8
        .value_kind:     global_buffer
      - .offset:         48
        .size:           4
        .value_kind:     by_value
      - .actual_access:  read_only
        .address_space:  global
        .offset:         56
        .size:           8
        .value_kind:     global_buffer
      - .offset:         64
        .size:           4
        .value_kind:     hidden_block_count_x
      - .offset:         68
        .size:           4
        .value_kind:     hidden_block_count_y
      - .offset:         72
        .size:           4
        .value_kind:     hidden_block_count_z
      - .offset:         76
        .size:           2
        .value_kind:     hidden_group_size_x
      - .offset:         78
        .size:           2
        .value_kind:     hidden_group_size_y
      - .offset:         80
        .size:           2
        .value_kind:     hidden_group_size_z
      - .offset:         82
        .size:           2
        .value_kind:     hidden_remainder_x
      - .offset:         84
        .size:           2
        .value_kind:     hidden_remainder_y
      - .offset:         86
        .size:           2
        .value_kind:     hidden_remainder_z
      - .offset:         104
        .size:           8
        .value_kind:     hidden_global_offset_x
      - .offset:         112
        .size:           8
        .value_kind:     hidden_global_offset_y
      - .offset:         120
        .size:           8
        .value_kind:     hidden_global_offset_z
      - .offset:         128
        .size:           2
        .value_kind:     hidden_grid_dims
    .group_segment_fixed_size: 2052
    .kernarg_segment_align: 8
    .kernarg_segment_size: 320
    .language:       OpenCL C
    .language_version:
      - 2
      - 0
    .max_flat_workgroup_size: 128
    .name:           _Z35paged_attention_ll4mi_reduce_kernelI14__hip_bfloat16S0_Li128ELi128ELi256ELi16EEvPT0_PKfS4_PKT_PKiS9_iS4_
    .private_segment_fixed_size: 0
    .sgpr_count:     51
    .sgpr_spill_count: 0
    .symbol:         _Z35paged_attention_ll4mi_reduce_kernelI14__hip_bfloat16S0_Li128ELi128ELi256ELi16EEvPT0_PKfS4_PKT_PKiS9_iS4_.kd
    .uniform_work_group_size: 1
    .uses_dynamic_stack: false
    .vgpr_count:     87
    .vgpr_spill_count: 0
    .wavefront_size: 32
    .workgroup_processor_mode: 1
  - .args:
      - .actual_access:  read_only
        .address_space:  global
        .offset:         0
        .size:           8
        .value_kind:     global_buffer
      - .actual_access:  read_only
        .address_space:  global
        .offset:         8
        .size:           8
        .value_kind:     global_buffer
      - .actual_access:  read_only
        .address_space:  global
        .offset:         16
        .size:           8
        .value_kind:     global_buffer
      - .offset:         24
        .size:           4
        .value_kind:     by_value
      - .offset:         28
        .size:           4
        .value_kind:     by_value
      - .actual_access:  read_only
        .address_space:  global
        .offset:         32
        .size:           8
        .value_kind:     global_buffer
      - .actual_access:  read_only
        .address_space:  global
        .offset:         40
        .size:           8
        .value_kind:     global_buffer
      - .actual_access:  read_only
        .address_space:  global
        .offset:         48
        .size:           8
        .value_kind:     global_buffer
      - .offset:         56
        .size:           4
        .value_kind:     by_value
      - .actual_access:  read_only
        .address_space:  global
        .offset:         64
        .size:           8
        .value_kind:     global_buffer
      - .offset:         72
        .size:           4
        .value_kind:     by_value
      - .offset:         76
        .size:           4
        .value_kind:     by_value
      - .offset:         80
        .size:           4
        .value_kind:     by_value
      - .actual_access:  read_only
        .address_space:  global
        .offset:         88
        .size:           8
        .value_kind:     global_buffer
      - .actual_access:  read_only
        .address_space:  global
        .offset:         96
        .size:           8
        .value_kind:     global_buffer
      - .actual_access:  read_only
        .address_space:  global
        .offset:         104
        .size:           8
        .value_kind:     global_buffer
      - .actual_access:  read_only
        .address_space:  global
        .offset:         112
        .size:           8
        .value_kind:     global_buffer
      - .offset:         120
        .size:           4
        .value_kind:     by_value
      - .address_space:  global
        .offset:         128
        .size:           8
        .value_kind:     global_buffer
      - .address_space:  global
        .offset:         136
        .size:           8
        .value_kind:     global_buffer
      - .offset:         144
        .size:           4
        .value_kind:     hidden_block_count_x
      - .offset:         148
        .size:           4
        .value_kind:     hidden_block_count_y
      - .offset:         152
        .size:           4
        .value_kind:     hidden_block_count_z
      - .offset:         156
        .size:           2
        .value_kind:     hidden_group_size_x
      - .offset:         158
        .size:           2
        .value_kind:     hidden_group_size_y
      - .offset:         160
        .size:           2
        .value_kind:     hidden_group_size_z
      - .offset:         162
        .size:           2
        .value_kind:     hidden_remainder_x
      - .offset:         164
        .size:           2
        .value_kind:     hidden_remainder_y
      - .offset:         166
        .size:           2
        .value_kind:     hidden_remainder_z
      - .offset:         184
        .size:           8
        .value_kind:     hidden_global_offset_x
      - .offset:         192
        .size:           8
        .value_kind:     hidden_global_offset_y
      - .offset:         200
        .size:           8
        .value_kind:     hidden_global_offset_z
      - .offset:         208
        .size:           2
        .value_kind:     hidden_grid_dims
      - .offset:         224
        .size:           8
        .value_kind:     hidden_hostcall_buffer
    .group_segment_fixed_size: 0
    .kernarg_segment_align: 8
    .kernarg_segment_size: 400
    .language:       OpenCL C
    .language_version:
      - 2
      - 0
    .max_flat_workgroup_size: 256
    .name:           _Z38paged_attention_ll4mi_QKV_mfma4_kernelI14__hip_bfloat16S0_LN4vllm18Fp8KVCacheDataTypeE0ES0_Li16ELi128ELi256ELb0ELi1EEvPKT_PKT0_S8_ifPKiSA_SA_iPKfiiiPfSD_PS3_PT2_iSC_SC_
    .private_segment_fixed_size: 64
    .sgpr_count:     36
    .sgpr_spill_count: 0
    .symbol:         _Z38paged_attention_ll4mi_QKV_mfma4_kernelI14__hip_bfloat16S0_LN4vllm18Fp8KVCacheDataTypeE0ES0_Li16ELi128ELi256ELb0ELi1EEvPKT_PKT0_S8_ifPKiSA_SA_iPKfiiiPfSD_PS3_PT2_iSC_SC_.kd
    .uniform_work_group_size: 1
    .uses_dynamic_stack: false
    .vgpr_count:     41
    .vgpr_spill_count: 0
    .wavefront_size: 32
    .workgroup_processor_mode: 1
  - .args:
      - .actual_access:  read_only
        .address_space:  global
        .offset:         0
        .size:           8
        .value_kind:     global_buffer
      - .actual_access:  read_only
        .address_space:  global
        .offset:         8
        .size:           8
        .value_kind:     global_buffer
      - .actual_access:  read_only
        .address_space:  global
        .offset:         16
        .size:           8
        .value_kind:     global_buffer
      - .offset:         24
        .size:           4
        .value_kind:     by_value
      - .offset:         28
        .size:           4
        .value_kind:     by_value
      - .actual_access:  read_only
        .address_space:  global
        .offset:         32
        .size:           8
        .value_kind:     global_buffer
      - .actual_access:  read_only
        .address_space:  global
        .offset:         40
        .size:           8
        .value_kind:     global_buffer
      - .actual_access:  read_only
        .address_space:  global
        .offset:         48
        .size:           8
        .value_kind:     global_buffer
      - .offset:         56
        .size:           4
        .value_kind:     by_value
      - .actual_access:  read_only
        .address_space:  global
        .offset:         64
        .size:           8
        .value_kind:     global_buffer
      - .offset:         72
        .size:           4
        .value_kind:     by_value
      - .offset:         76
        .size:           4
        .value_kind:     by_value
      - .offset:         80
        .size:           4
        .value_kind:     by_value
      - .actual_access:  read_only
        .address_space:  global
        .offset:         88
        .size:           8
        .value_kind:     global_buffer
      - .actual_access:  read_only
        .address_space:  global
        .offset:         96
        .size:           8
        .value_kind:     global_buffer
      - .actual_access:  read_only
        .address_space:  global
        .offset:         104
        .size:           8
        .value_kind:     global_buffer
      - .actual_access:  read_only
        .address_space:  global
        .offset:         112
        .size:           8
        .value_kind:     global_buffer
      - .offset:         120
        .size:           4
        .value_kind:     by_value
      - .address_space:  global
        .offset:         128
        .size:           8
        .value_kind:     global_buffer
      - .address_space:  global
        .offset:         136
        .size:           8
        .value_kind:     global_buffer
      - .offset:         144
        .size:           4
        .value_kind:     hidden_block_count_x
      - .offset:         148
        .size:           4
        .value_kind:     hidden_block_count_y
      - .offset:         152
        .size:           4
        .value_kind:     hidden_block_count_z
      - .offset:         156
        .size:           2
        .value_kind:     hidden_group_size_x
      - .offset:         158
        .size:           2
        .value_kind:     hidden_group_size_y
      - .offset:         160
        .size:           2
        .value_kind:     hidden_group_size_z
      - .offset:         162
        .size:           2
        .value_kind:     hidden_remainder_x
      - .offset:         164
        .size:           2
        .value_kind:     hidden_remainder_y
      - .offset:         166
        .size:           2
        .value_kind:     hidden_remainder_z
      - .offset:         184
        .size:           8
        .value_kind:     hidden_global_offset_x
      - .offset:         192
        .size:           8
        .value_kind:     hidden_global_offset_y
      - .offset:         200
        .size:           8
        .value_kind:     hidden_global_offset_z
      - .offset:         208
        .size:           2
        .value_kind:     hidden_grid_dims
      - .offset:         224
        .size:           8
        .value_kind:     hidden_hostcall_buffer
    .group_segment_fixed_size: 0
    .kernarg_segment_align: 8
    .kernarg_segment_size: 400
    .language:       OpenCL C
    .language_version:
      - 2
      - 0
    .max_flat_workgroup_size: 256
    .name:           _Z38paged_attention_ll4mi_QKV_mfma4_kernelI14__hip_bfloat16S0_LN4vllm18Fp8KVCacheDataTypeE0ES0_Li16ELi128ELi256ELb0ELi2EEvPKT_PKT0_S8_ifPKiSA_SA_iPKfiiiPfSD_PS3_PT2_iSC_SC_
    .private_segment_fixed_size: 64
    .sgpr_count:     36
    .sgpr_spill_count: 0
    .symbol:         _Z38paged_attention_ll4mi_QKV_mfma4_kernelI14__hip_bfloat16S0_LN4vllm18Fp8KVCacheDataTypeE0ES0_Li16ELi128ELi256ELb0ELi2EEvPKT_PKT0_S8_ifPKiSA_SA_iPKfiiiPfSD_PS3_PT2_iSC_SC_.kd
    .uniform_work_group_size: 1
    .uses_dynamic_stack: false
    .vgpr_count:     41
    .vgpr_spill_count: 0
    .wavefront_size: 32
    .workgroup_processor_mode: 1
  - .args:
      - .actual_access:  read_only
        .address_space:  global
        .offset:         0
        .size:           8
        .value_kind:     global_buffer
      - .actual_access:  read_only
        .address_space:  global
        .offset:         8
        .size:           8
        .value_kind:     global_buffer
      - .actual_access:  read_only
        .address_space:  global
        .offset:         16
        .size:           8
        .value_kind:     global_buffer
      - .offset:         24
        .size:           4
        .value_kind:     by_value
      - .offset:         28
        .size:           4
        .value_kind:     by_value
      - .actual_access:  read_only
        .address_space:  global
        .offset:         32
        .size:           8
        .value_kind:     global_buffer
      - .actual_access:  read_only
        .address_space:  global
        .offset:         40
        .size:           8
        .value_kind:     global_buffer
      - .actual_access:  read_only
        .address_space:  global
        .offset:         48
        .size:           8
        .value_kind:     global_buffer
      - .offset:         56
        .size:           4
        .value_kind:     by_value
      - .actual_access:  read_only
        .address_space:  global
        .offset:         64
        .size:           8
        .value_kind:     global_buffer
      - .offset:         72
        .size:           4
        .value_kind:     by_value
      - .offset:         76
        .size:           4
        .value_kind:     by_value
      - .offset:         80
        .size:           4
        .value_kind:     by_value
      - .actual_access:  read_only
        .address_space:  global
        .offset:         88
        .size:           8
        .value_kind:     global_buffer
      - .actual_access:  read_only
        .address_space:  global
        .offset:         96
        .size:           8
        .value_kind:     global_buffer
      - .actual_access:  read_only
        .address_space:  global
        .offset:         104
        .size:           8
        .value_kind:     global_buffer
      - .actual_access:  read_only
        .address_space:  global
        .offset:         112
        .size:           8
        .value_kind:     global_buffer
      - .offset:         120
        .size:           4
        .value_kind:     by_value
      - .address_space:  global
        .offset:         128
        .size:           8
        .value_kind:     global_buffer
      - .address_space:  global
        .offset:         136
        .size:           8
        .value_kind:     global_buffer
      - .offset:         144
        .size:           4
        .value_kind:     hidden_block_count_x
      - .offset:         148
        .size:           4
        .value_kind:     hidden_block_count_y
      - .offset:         152
        .size:           4
        .value_kind:     hidden_block_count_z
      - .offset:         156
        .size:           2
        .value_kind:     hidden_group_size_x
      - .offset:         158
        .size:           2
        .value_kind:     hidden_group_size_y
      - .offset:         160
        .size:           2
        .value_kind:     hidden_group_size_z
      - .offset:         162
        .size:           2
        .value_kind:     hidden_remainder_x
      - .offset:         164
        .size:           2
        .value_kind:     hidden_remainder_y
      - .offset:         166
        .size:           2
        .value_kind:     hidden_remainder_z
      - .offset:         184
        .size:           8
        .value_kind:     hidden_global_offset_x
      - .offset:         192
        .size:           8
        .value_kind:     hidden_global_offset_y
      - .offset:         200
        .size:           8
        .value_kind:     hidden_global_offset_z
      - .offset:         208
        .size:           2
        .value_kind:     hidden_grid_dims
      - .offset:         224
        .size:           8
        .value_kind:     hidden_hostcall_buffer
    .group_segment_fixed_size: 0
    .kernarg_segment_align: 8
    .kernarg_segment_size: 400
    .language:       OpenCL C
    .language_version:
      - 2
      - 0
    .max_flat_workgroup_size: 256
    .name:           _Z38paged_attention_ll4mi_QKV_mfma4_kernelI14__hip_bfloat16S0_LN4vllm18Fp8KVCacheDataTypeE0ES0_Li16ELi128ELi256ELb0ELi3EEvPKT_PKT0_S8_ifPKiSA_SA_iPKfiiiPfSD_PS3_PT2_iSC_SC_
    .private_segment_fixed_size: 64
    .sgpr_count:     36
    .sgpr_spill_count: 0
    .symbol:         _Z38paged_attention_ll4mi_QKV_mfma4_kernelI14__hip_bfloat16S0_LN4vllm18Fp8KVCacheDataTypeE0ES0_Li16ELi128ELi256ELb0ELi3EEvPKT_PKT0_S8_ifPKiSA_SA_iPKfiiiPfSD_PS3_PT2_iSC_SC_.kd
    .uniform_work_group_size: 1
    .uses_dynamic_stack: false
    .vgpr_count:     41
    .vgpr_spill_count: 0
    .wavefront_size: 32
    .workgroup_processor_mode: 1
  - .args:
      - .actual_access:  read_only
        .address_space:  global
        .offset:         0
        .size:           8
        .value_kind:     global_buffer
      - .actual_access:  read_only
        .address_space:  global
        .offset:         8
        .size:           8
        .value_kind:     global_buffer
      - .actual_access:  read_only
        .address_space:  global
        .offset:         16
        .size:           8
        .value_kind:     global_buffer
      - .offset:         24
        .size:           4
        .value_kind:     by_value
      - .offset:         28
        .size:           4
        .value_kind:     by_value
      - .actual_access:  read_only
        .address_space:  global
        .offset:         32
        .size:           8
        .value_kind:     global_buffer
      - .actual_access:  read_only
        .address_space:  global
        .offset:         40
        .size:           8
        .value_kind:     global_buffer
      - .actual_access:  read_only
        .address_space:  global
        .offset:         48
        .size:           8
        .value_kind:     global_buffer
      - .offset:         56
        .size:           4
        .value_kind:     by_value
      - .actual_access:  read_only
        .address_space:  global
        .offset:         64
        .size:           8
        .value_kind:     global_buffer
      - .offset:         72
        .size:           4
        .value_kind:     by_value
      - .offset:         76
        .size:           4
        .value_kind:     by_value
      - .offset:         80
        .size:           4
        .value_kind:     by_value
      - .actual_access:  read_only
        .address_space:  global
        .offset:         88
        .size:           8
        .value_kind:     global_buffer
      - .actual_access:  read_only
        .address_space:  global
        .offset:         96
        .size:           8
        .value_kind:     global_buffer
      - .actual_access:  read_only
        .address_space:  global
        .offset:         104
        .size:           8
        .value_kind:     global_buffer
      - .actual_access:  read_only
        .address_space:  global
        .offset:         112
        .size:           8
        .value_kind:     global_buffer
      - .offset:         120
        .size:           4
        .value_kind:     by_value
      - .address_space:  global
        .offset:         128
        .size:           8
        .value_kind:     global_buffer
      - .address_space:  global
        .offset:         136
        .size:           8
        .value_kind:     global_buffer
      - .offset:         144
        .size:           4
        .value_kind:     hidden_block_count_x
      - .offset:         148
        .size:           4
        .value_kind:     hidden_block_count_y
      - .offset:         152
        .size:           4
        .value_kind:     hidden_block_count_z
      - .offset:         156
        .size:           2
        .value_kind:     hidden_group_size_x
      - .offset:         158
        .size:           2
        .value_kind:     hidden_group_size_y
      - .offset:         160
        .size:           2
        .value_kind:     hidden_group_size_z
      - .offset:         162
        .size:           2
        .value_kind:     hidden_remainder_x
      - .offset:         164
        .size:           2
        .value_kind:     hidden_remainder_y
      - .offset:         166
        .size:           2
        .value_kind:     hidden_remainder_z
      - .offset:         184
        .size:           8
        .value_kind:     hidden_global_offset_x
      - .offset:         192
        .size:           8
        .value_kind:     hidden_global_offset_y
      - .offset:         200
        .size:           8
        .value_kind:     hidden_global_offset_z
      - .offset:         208
        .size:           2
        .value_kind:     hidden_grid_dims
      - .offset:         224
        .size:           8
        .value_kind:     hidden_hostcall_buffer
    .group_segment_fixed_size: 0
    .kernarg_segment_align: 8
    .kernarg_segment_size: 400
    .language:       OpenCL C
    .language_version:
      - 2
      - 0
    .max_flat_workgroup_size: 256
    .name:           _Z38paged_attention_ll4mi_QKV_mfma4_kernelI14__hip_bfloat16S0_LN4vllm18Fp8KVCacheDataTypeE0ES0_Li16ELi128ELi256ELb0ELi4EEvPKT_PKT0_S8_ifPKiSA_SA_iPKfiiiPfSD_PS3_PT2_iSC_SC_
    .private_segment_fixed_size: 64
    .sgpr_count:     36
    .sgpr_spill_count: 0
    .symbol:         _Z38paged_attention_ll4mi_QKV_mfma4_kernelI14__hip_bfloat16S0_LN4vllm18Fp8KVCacheDataTypeE0ES0_Li16ELi128ELi256ELb0ELi4EEvPKT_PKT0_S8_ifPKiSA_SA_iPKfiiiPfSD_PS3_PT2_iSC_SC_.kd
    .uniform_work_group_size: 1
    .uses_dynamic_stack: false
    .vgpr_count:     41
    .vgpr_spill_count: 0
    .wavefront_size: 32
    .workgroup_processor_mode: 1
  - .args:
      - .actual_access:  read_only
        .address_space:  global
        .offset:         0
        .size:           8
        .value_kind:     global_buffer
      - .actual_access:  read_only
        .address_space:  global
        .offset:         8
        .size:           8
        .value_kind:     global_buffer
      - .actual_access:  read_only
        .address_space:  global
        .offset:         16
        .size:           8
        .value_kind:     global_buffer
      - .offset:         24
        .size:           4
        .value_kind:     by_value
      - .offset:         28
        .size:           4
        .value_kind:     by_value
      - .actual_access:  read_only
        .address_space:  global
        .offset:         32
        .size:           8
        .value_kind:     global_buffer
      - .actual_access:  read_only
        .address_space:  global
        .offset:         40
        .size:           8
        .value_kind:     global_buffer
      - .actual_access:  read_only
        .address_space:  global
        .offset:         48
        .size:           8
        .value_kind:     global_buffer
      - .offset:         56
        .size:           4
        .value_kind:     by_value
      - .actual_access:  read_only
        .address_space:  global
        .offset:         64
        .size:           8
        .value_kind:     global_buffer
      - .offset:         72
        .size:           4
        .value_kind:     by_value
      - .offset:         76
        .size:           4
        .value_kind:     by_value
      - .offset:         80
        .size:           4
        .value_kind:     by_value
      - .actual_access:  write_only
        .address_space:  global
        .offset:         88
        .size:           8
        .value_kind:     global_buffer
      - .actual_access:  write_only
        .address_space:  global
        .offset:         96
        .size:           8
        .value_kind:     global_buffer
      - .actual_access:  write_only
        .address_space:  global
        .offset:         104
        .size:           8
        .value_kind:     global_buffer
      - .actual_access:  read_only
        .address_space:  global
        .offset:         112
        .size:           8
        .value_kind:     global_buffer
      - .offset:         120
        .size:           4
        .value_kind:     by_value
      - .address_space:  global
        .offset:         128
        .size:           8
        .value_kind:     global_buffer
      - .address_space:  global
        .offset:         136
        .size:           8
        .value_kind:     global_buffer
      - .offset:         144
        .size:           4
        .value_kind:     hidden_block_count_x
      - .offset:         148
        .size:           4
        .value_kind:     hidden_block_count_y
      - .offset:         152
        .size:           4
        .value_kind:     hidden_block_count_z
      - .offset:         156
        .size:           2
        .value_kind:     hidden_group_size_x
      - .offset:         158
        .size:           2
        .value_kind:     hidden_group_size_y
      - .offset:         160
        .size:           2
        .value_kind:     hidden_group_size_z
      - .offset:         162
        .size:           2
        .value_kind:     hidden_remainder_x
      - .offset:         164
        .size:           2
        .value_kind:     hidden_remainder_y
      - .offset:         166
        .size:           2
        .value_kind:     hidden_remainder_z
      - .offset:         184
        .size:           8
        .value_kind:     hidden_global_offset_x
      - .offset:         192
        .size:           8
        .value_kind:     hidden_global_offset_y
      - .offset:         200
        .size:           8
        .value_kind:     hidden_global_offset_z
      - .offset:         208
        .size:           2
        .value_kind:     hidden_grid_dims
    .group_segment_fixed_size: 17472
    .kernarg_segment_align: 8
    .kernarg_segment_size: 400
    .language:       OpenCL C
    .language_version:
      - 2
      - 0
    .max_flat_workgroup_size: 256
    .name:           _Z39paged_attention_ll4mi_QKV_mfma16_kernelI14__hip_bfloat16S0_LN4vllm18Fp8KVCacheDataTypeE0ES0_Li16ELi128ELi256ELb0ELi5EL8MFMAType0EEvPKT_PKT0_S9_ifPKiSB_SB_iPKfiiiPfSE_PS4_PT2_iSD_SD_
    .private_segment_fixed_size: 0
    .sgpr_count:     52
    .sgpr_spill_count: 0
    .symbol:         _Z39paged_attention_ll4mi_QKV_mfma16_kernelI14__hip_bfloat16S0_LN4vllm18Fp8KVCacheDataTypeE0ES0_Li16ELi128ELi256ELb0ELi5EL8MFMAType0EEvPKT_PKT0_S9_ifPKiSB_SB_iPKfiiiPfSE_PS4_PT2_iSD_SD_.kd
    .uniform_work_group_size: 1
    .uses_dynamic_stack: false
    .vgpr_count:     218
    .vgpr_spill_count: 0
    .wavefront_size: 32
    .workgroup_processor_mode: 1
  - .args:
      - .actual_access:  read_only
        .address_space:  global
        .offset:         0
        .size:           8
        .value_kind:     global_buffer
      - .actual_access:  read_only
        .address_space:  global
        .offset:         8
        .size:           8
        .value_kind:     global_buffer
      - .actual_access:  read_only
        .address_space:  global
        .offset:         16
        .size:           8
        .value_kind:     global_buffer
      - .offset:         24
        .size:           4
        .value_kind:     by_value
      - .offset:         28
        .size:           4
        .value_kind:     by_value
      - .actual_access:  read_only
        .address_space:  global
        .offset:         32
        .size:           8
        .value_kind:     global_buffer
      - .actual_access:  read_only
        .address_space:  global
        .offset:         40
        .size:           8
        .value_kind:     global_buffer
      - .actual_access:  read_only
        .address_space:  global
        .offset:         48
        .size:           8
        .value_kind:     global_buffer
      - .offset:         56
        .size:           4
        .value_kind:     by_value
      - .actual_access:  read_only
        .address_space:  global
        .offset:         64
        .size:           8
        .value_kind:     global_buffer
      - .offset:         72
        .size:           4
        .value_kind:     by_value
      - .offset:         76
        .size:           4
        .value_kind:     by_value
      - .offset:         80
        .size:           4
        .value_kind:     by_value
      - .actual_access:  write_only
        .address_space:  global
        .offset:         88
        .size:           8
        .value_kind:     global_buffer
      - .actual_access:  write_only
        .address_space:  global
        .offset:         96
        .size:           8
        .value_kind:     global_buffer
      - .actual_access:  write_only
        .address_space:  global
        .offset:         104
        .size:           8
        .value_kind:     global_buffer
      - .actual_access:  read_only
        .address_space:  global
        .offset:         112
        .size:           8
        .value_kind:     global_buffer
      - .offset:         120
        .size:           4
        .value_kind:     by_value
      - .address_space:  global
        .offset:         128
        .size:           8
        .value_kind:     global_buffer
      - .address_space:  global
        .offset:         136
        .size:           8
        .value_kind:     global_buffer
      - .offset:         144
        .size:           4
        .value_kind:     hidden_block_count_x
      - .offset:         148
        .size:           4
        .value_kind:     hidden_block_count_y
      - .offset:         152
        .size:           4
        .value_kind:     hidden_block_count_z
      - .offset:         156
        .size:           2
        .value_kind:     hidden_group_size_x
      - .offset:         158
        .size:           2
        .value_kind:     hidden_group_size_y
      - .offset:         160
        .size:           2
        .value_kind:     hidden_group_size_z
      - .offset:         162
        .size:           2
        .value_kind:     hidden_remainder_x
      - .offset:         164
        .size:           2
        .value_kind:     hidden_remainder_y
      - .offset:         166
        .size:           2
        .value_kind:     hidden_remainder_z
      - .offset:         184
        .size:           8
        .value_kind:     hidden_global_offset_x
      - .offset:         192
        .size:           8
        .value_kind:     hidden_global_offset_y
      - .offset:         200
        .size:           8
        .value_kind:     hidden_global_offset_z
      - .offset:         208
        .size:           2
        .value_kind:     hidden_grid_dims
    .group_segment_fixed_size: 17472
    .kernarg_segment_align: 8
    .kernarg_segment_size: 400
    .language:       OpenCL C
    .language_version:
      - 2
      - 0
    .max_flat_workgroup_size: 256
    .name:           _Z39paged_attention_ll4mi_QKV_mfma16_kernelI14__hip_bfloat16S0_LN4vllm18Fp8KVCacheDataTypeE0ES0_Li16ELi128ELi256ELb0ELi6EL8MFMAType0EEvPKT_PKT0_S9_ifPKiSB_SB_iPKfiiiPfSE_PS4_PT2_iSD_SD_
    .private_segment_fixed_size: 0
    .sgpr_count:     52
    .sgpr_spill_count: 0
    .symbol:         _Z39paged_attention_ll4mi_QKV_mfma16_kernelI14__hip_bfloat16S0_LN4vllm18Fp8KVCacheDataTypeE0ES0_Li16ELi128ELi256ELb0ELi6EL8MFMAType0EEvPKT_PKT0_S9_ifPKiSB_SB_iPKfiiiPfSE_PS4_PT2_iSD_SD_.kd
    .uniform_work_group_size: 1
    .uses_dynamic_stack: false
    .vgpr_count:     218
    .vgpr_spill_count: 0
    .wavefront_size: 32
    .workgroup_processor_mode: 1
  - .args:
      - .actual_access:  read_only
        .address_space:  global
        .offset:         0
        .size:           8
        .value_kind:     global_buffer
      - .actual_access:  read_only
        .address_space:  global
        .offset:         8
        .size:           8
        .value_kind:     global_buffer
      - .actual_access:  read_only
        .address_space:  global
        .offset:         16
        .size:           8
        .value_kind:     global_buffer
      - .offset:         24
        .size:           4
        .value_kind:     by_value
      - .offset:         28
        .size:           4
        .value_kind:     by_value
      - .actual_access:  read_only
        .address_space:  global
        .offset:         32
        .size:           8
        .value_kind:     global_buffer
      - .actual_access:  read_only
        .address_space:  global
        .offset:         40
        .size:           8
        .value_kind:     global_buffer
      - .actual_access:  read_only
        .address_space:  global
        .offset:         48
        .size:           8
        .value_kind:     global_buffer
      - .offset:         56
        .size:           4
        .value_kind:     by_value
      - .actual_access:  read_only
        .address_space:  global
        .offset:         64
        .size:           8
        .value_kind:     global_buffer
      - .offset:         72
        .size:           4
        .value_kind:     by_value
      - .offset:         76
        .size:           4
        .value_kind:     by_value
      - .offset:         80
        .size:           4
        .value_kind:     by_value
      - .actual_access:  write_only
        .address_space:  global
        .offset:         88
        .size:           8
        .value_kind:     global_buffer
      - .actual_access:  write_only
        .address_space:  global
        .offset:         96
        .size:           8
        .value_kind:     global_buffer
      - .actual_access:  write_only
        .address_space:  global
        .offset:         104
        .size:           8
        .value_kind:     global_buffer
      - .actual_access:  read_only
        .address_space:  global
        .offset:         112
        .size:           8
        .value_kind:     global_buffer
      - .offset:         120
        .size:           4
        .value_kind:     by_value
      - .address_space:  global
        .offset:         128
        .size:           8
        .value_kind:     global_buffer
      - .address_space:  global
        .offset:         136
        .size:           8
        .value_kind:     global_buffer
      - .offset:         144
        .size:           4
        .value_kind:     hidden_block_count_x
      - .offset:         148
        .size:           4
        .value_kind:     hidden_block_count_y
      - .offset:         152
        .size:           4
        .value_kind:     hidden_block_count_z
      - .offset:         156
        .size:           2
        .value_kind:     hidden_group_size_x
      - .offset:         158
        .size:           2
        .value_kind:     hidden_group_size_y
      - .offset:         160
        .size:           2
        .value_kind:     hidden_group_size_z
      - .offset:         162
        .size:           2
        .value_kind:     hidden_remainder_x
      - .offset:         164
        .size:           2
        .value_kind:     hidden_remainder_y
      - .offset:         166
        .size:           2
        .value_kind:     hidden_remainder_z
      - .offset:         184
        .size:           8
        .value_kind:     hidden_global_offset_x
      - .offset:         192
        .size:           8
        .value_kind:     hidden_global_offset_y
      - .offset:         200
        .size:           8
        .value_kind:     hidden_global_offset_z
      - .offset:         208
        .size:           2
        .value_kind:     hidden_grid_dims
    .group_segment_fixed_size: 17472
    .kernarg_segment_align: 8
    .kernarg_segment_size: 400
    .language:       OpenCL C
    .language_version:
      - 2
      - 0
    .max_flat_workgroup_size: 256
    .name:           _Z39paged_attention_ll4mi_QKV_mfma16_kernelI14__hip_bfloat16S0_LN4vllm18Fp8KVCacheDataTypeE0ES0_Li16ELi128ELi256ELb0ELi7EL8MFMAType0EEvPKT_PKT0_S9_ifPKiSB_SB_iPKfiiiPfSE_PS4_PT2_iSD_SD_
    .private_segment_fixed_size: 0
    .sgpr_count:     52
    .sgpr_spill_count: 0
    .symbol:         _Z39paged_attention_ll4mi_QKV_mfma16_kernelI14__hip_bfloat16S0_LN4vllm18Fp8KVCacheDataTypeE0ES0_Li16ELi128ELi256ELb0ELi7EL8MFMAType0EEvPKT_PKT0_S9_ifPKiSB_SB_iPKfiiiPfSE_PS4_PT2_iSD_SD_.kd
    .uniform_work_group_size: 1
    .uses_dynamic_stack: false
    .vgpr_count:     218
    .vgpr_spill_count: 0
    .wavefront_size: 32
    .workgroup_processor_mode: 1
  - .args:
      - .actual_access:  read_only
        .address_space:  global
        .offset:         0
        .size:           8
        .value_kind:     global_buffer
      - .actual_access:  read_only
        .address_space:  global
        .offset:         8
        .size:           8
        .value_kind:     global_buffer
      - .actual_access:  read_only
        .address_space:  global
        .offset:         16
        .size:           8
        .value_kind:     global_buffer
      - .offset:         24
        .size:           4
        .value_kind:     by_value
      - .offset:         28
        .size:           4
        .value_kind:     by_value
      - .actual_access:  read_only
        .address_space:  global
        .offset:         32
        .size:           8
        .value_kind:     global_buffer
      - .actual_access:  read_only
        .address_space:  global
        .offset:         40
        .size:           8
        .value_kind:     global_buffer
      - .actual_access:  read_only
        .address_space:  global
        .offset:         48
        .size:           8
        .value_kind:     global_buffer
      - .offset:         56
        .size:           4
        .value_kind:     by_value
      - .actual_access:  read_only
        .address_space:  global
        .offset:         64
        .size:           8
        .value_kind:     global_buffer
      - .offset:         72
        .size:           4
        .value_kind:     by_value
      - .offset:         76
        .size:           4
        .value_kind:     by_value
      - .offset:         80
        .size:           4
        .value_kind:     by_value
      - .actual_access:  write_only
        .address_space:  global
        .offset:         88
        .size:           8
        .value_kind:     global_buffer
      - .actual_access:  write_only
        .address_space:  global
        .offset:         96
        .size:           8
        .value_kind:     global_buffer
      - .actual_access:  write_only
        .address_space:  global
        .offset:         104
        .size:           8
        .value_kind:     global_buffer
      - .actual_access:  read_only
        .address_space:  global
        .offset:         112
        .size:           8
        .value_kind:     global_buffer
      - .offset:         120
        .size:           4
        .value_kind:     by_value
      - .address_space:  global
        .offset:         128
        .size:           8
        .value_kind:     global_buffer
      - .address_space:  global
        .offset:         136
        .size:           8
        .value_kind:     global_buffer
      - .offset:         144
        .size:           4
        .value_kind:     hidden_block_count_x
      - .offset:         148
        .size:           4
        .value_kind:     hidden_block_count_y
      - .offset:         152
        .size:           4
        .value_kind:     hidden_block_count_z
      - .offset:         156
        .size:           2
        .value_kind:     hidden_group_size_x
      - .offset:         158
        .size:           2
        .value_kind:     hidden_group_size_y
      - .offset:         160
        .size:           2
        .value_kind:     hidden_group_size_z
      - .offset:         162
        .size:           2
        .value_kind:     hidden_remainder_x
      - .offset:         164
        .size:           2
        .value_kind:     hidden_remainder_y
      - .offset:         166
        .size:           2
        .value_kind:     hidden_remainder_z
      - .offset:         184
        .size:           8
        .value_kind:     hidden_global_offset_x
      - .offset:         192
        .size:           8
        .value_kind:     hidden_global_offset_y
      - .offset:         200
        .size:           8
        .value_kind:     hidden_global_offset_z
      - .offset:         208
        .size:           2
        .value_kind:     hidden_grid_dims
    .group_segment_fixed_size: 17472
    .kernarg_segment_align: 8
    .kernarg_segment_size: 400
    .language:       OpenCL C
    .language_version:
      - 2
      - 0
    .max_flat_workgroup_size: 256
    .name:           _Z39paged_attention_ll4mi_QKV_mfma16_kernelI14__hip_bfloat16S0_LN4vllm18Fp8KVCacheDataTypeE0ES0_Li16ELi128ELi256ELb0ELi8EL8MFMAType0EEvPKT_PKT0_S9_ifPKiSB_SB_iPKfiiiPfSE_PS4_PT2_iSD_SD_
    .private_segment_fixed_size: 0
    .sgpr_count:     52
    .sgpr_spill_count: 0
    .symbol:         _Z39paged_attention_ll4mi_QKV_mfma16_kernelI14__hip_bfloat16S0_LN4vllm18Fp8KVCacheDataTypeE0ES0_Li16ELi128ELi256ELb0ELi8EL8MFMAType0EEvPKT_PKT0_S9_ifPKiSB_SB_iPKfiiiPfSE_PS4_PT2_iSD_SD_.kd
    .uniform_work_group_size: 1
    .uses_dynamic_stack: false
    .vgpr_count:     218
    .vgpr_spill_count: 0
    .wavefront_size: 32
    .workgroup_processor_mode: 1
  - .args:
      - .actual_access:  read_only
        .address_space:  global
        .offset:         0
        .size:           8
        .value_kind:     global_buffer
      - .actual_access:  read_only
        .address_space:  global
        .offset:         8
        .size:           8
        .value_kind:     global_buffer
      - .actual_access:  read_only
        .address_space:  global
        .offset:         16
        .size:           8
        .value_kind:     global_buffer
      - .offset:         24
        .size:           4
        .value_kind:     by_value
      - .offset:         28
        .size:           4
        .value_kind:     by_value
      - .actual_access:  read_only
        .address_space:  global
        .offset:         32
        .size:           8
        .value_kind:     global_buffer
      - .actual_access:  read_only
        .address_space:  global
        .offset:         40
        .size:           8
        .value_kind:     global_buffer
      - .actual_access:  read_only
        .address_space:  global
        .offset:         48
        .size:           8
        .value_kind:     global_buffer
      - .offset:         56
        .size:           4
        .value_kind:     by_value
      - .actual_access:  read_only
        .address_space:  global
        .offset:         64
        .size:           8
        .value_kind:     global_buffer
      - .offset:         72
        .size:           4
        .value_kind:     by_value
      - .offset:         76
        .size:           4
        .value_kind:     by_value
      - .offset:         80
        .size:           4
        .value_kind:     by_value
      - .actual_access:  write_only
        .address_space:  global
        .offset:         88
        .size:           8
        .value_kind:     global_buffer
      - .actual_access:  write_only
        .address_space:  global
        .offset:         96
        .size:           8
        .value_kind:     global_buffer
      - .actual_access:  write_only
        .address_space:  global
        .offset:         104
        .size:           8
        .value_kind:     global_buffer
      - .actual_access:  read_only
        .address_space:  global
        .offset:         112
        .size:           8
        .value_kind:     global_buffer
      - .offset:         120
        .size:           4
        .value_kind:     by_value
      - .address_space:  global
        .offset:         128
        .size:           8
        .value_kind:     global_buffer
      - .address_space:  global
        .offset:         136
        .size:           8
        .value_kind:     global_buffer
      - .offset:         144
        .size:           4
        .value_kind:     hidden_block_count_x
      - .offset:         148
        .size:           4
        .value_kind:     hidden_block_count_y
      - .offset:         152
        .size:           4
        .value_kind:     hidden_block_count_z
      - .offset:         156
        .size:           2
        .value_kind:     hidden_group_size_x
      - .offset:         158
        .size:           2
        .value_kind:     hidden_group_size_y
      - .offset:         160
        .size:           2
        .value_kind:     hidden_group_size_z
      - .offset:         162
        .size:           2
        .value_kind:     hidden_remainder_x
      - .offset:         164
        .size:           2
        .value_kind:     hidden_remainder_y
      - .offset:         166
        .size:           2
        .value_kind:     hidden_remainder_z
      - .offset:         184
        .size:           8
        .value_kind:     hidden_global_offset_x
      - .offset:         192
        .size:           8
        .value_kind:     hidden_global_offset_y
      - .offset:         200
        .size:           8
        .value_kind:     hidden_global_offset_z
      - .offset:         208
        .size:           2
        .value_kind:     hidden_grid_dims
    .group_segment_fixed_size: 17472
    .kernarg_segment_align: 8
    .kernarg_segment_size: 400
    .language:       OpenCL C
    .language_version:
      - 2
      - 0
    .max_flat_workgroup_size: 256
    .name:           _Z39paged_attention_ll4mi_QKV_mfma16_kernelI14__hip_bfloat16S0_LN4vllm18Fp8KVCacheDataTypeE0ES0_Li16ELi128ELi256ELb0ELi9EL8MFMAType0EEvPKT_PKT0_S9_ifPKiSB_SB_iPKfiiiPfSE_PS4_PT2_iSD_SD_
    .private_segment_fixed_size: 0
    .sgpr_count:     52
    .sgpr_spill_count: 0
    .symbol:         _Z39paged_attention_ll4mi_QKV_mfma16_kernelI14__hip_bfloat16S0_LN4vllm18Fp8KVCacheDataTypeE0ES0_Li16ELi128ELi256ELb0ELi9EL8MFMAType0EEvPKT_PKT0_S9_ifPKiSB_SB_iPKfiiiPfSE_PS4_PT2_iSD_SD_.kd
    .uniform_work_group_size: 1
    .uses_dynamic_stack: false
    .vgpr_count:     218
    .vgpr_spill_count: 0
    .wavefront_size: 32
    .workgroup_processor_mode: 1
  - .args:
      - .actual_access:  read_only
        .address_space:  global
        .offset:         0
        .size:           8
        .value_kind:     global_buffer
      - .actual_access:  read_only
        .address_space:  global
        .offset:         8
        .size:           8
        .value_kind:     global_buffer
      - .actual_access:  read_only
        .address_space:  global
        .offset:         16
        .size:           8
        .value_kind:     global_buffer
      - .offset:         24
        .size:           4
        .value_kind:     by_value
      - .offset:         28
        .size:           4
        .value_kind:     by_value
      - .actual_access:  read_only
        .address_space:  global
        .offset:         32
        .size:           8
        .value_kind:     global_buffer
      - .actual_access:  read_only
        .address_space:  global
        .offset:         40
        .size:           8
        .value_kind:     global_buffer
      - .actual_access:  read_only
        .address_space:  global
        .offset:         48
        .size:           8
        .value_kind:     global_buffer
      - .offset:         56
        .size:           4
        .value_kind:     by_value
      - .actual_access:  read_only
        .address_space:  global
        .offset:         64
        .size:           8
        .value_kind:     global_buffer
      - .offset:         72
        .size:           4
        .value_kind:     by_value
      - .offset:         76
        .size:           4
        .value_kind:     by_value
      - .offset:         80
        .size:           4
        .value_kind:     by_value
      - .actual_access:  write_only
        .address_space:  global
        .offset:         88
        .size:           8
        .value_kind:     global_buffer
      - .actual_access:  write_only
        .address_space:  global
        .offset:         96
        .size:           8
        .value_kind:     global_buffer
      - .actual_access:  write_only
        .address_space:  global
        .offset:         104
        .size:           8
        .value_kind:     global_buffer
      - .actual_access:  read_only
        .address_space:  global
        .offset:         112
        .size:           8
        .value_kind:     global_buffer
      - .offset:         120
        .size:           4
        .value_kind:     by_value
      - .address_space:  global
        .offset:         128
        .size:           8
        .value_kind:     global_buffer
      - .address_space:  global
        .offset:         136
        .size:           8
        .value_kind:     global_buffer
      - .offset:         144
        .size:           4
        .value_kind:     hidden_block_count_x
      - .offset:         148
        .size:           4
        .value_kind:     hidden_block_count_y
      - .offset:         152
        .size:           4
        .value_kind:     hidden_block_count_z
      - .offset:         156
        .size:           2
        .value_kind:     hidden_group_size_x
      - .offset:         158
        .size:           2
        .value_kind:     hidden_group_size_y
      - .offset:         160
        .size:           2
        .value_kind:     hidden_group_size_z
      - .offset:         162
        .size:           2
        .value_kind:     hidden_remainder_x
      - .offset:         164
        .size:           2
        .value_kind:     hidden_remainder_y
      - .offset:         166
        .size:           2
        .value_kind:     hidden_remainder_z
      - .offset:         184
        .size:           8
        .value_kind:     hidden_global_offset_x
      - .offset:         192
        .size:           8
        .value_kind:     hidden_global_offset_y
      - .offset:         200
        .size:           8
        .value_kind:     hidden_global_offset_z
      - .offset:         208
        .size:           2
        .value_kind:     hidden_grid_dims
    .group_segment_fixed_size: 17472
    .kernarg_segment_align: 8
    .kernarg_segment_size: 400
    .language:       OpenCL C
    .language_version:
      - 2
      - 0
    .max_flat_workgroup_size: 256
    .name:           _Z39paged_attention_ll4mi_QKV_mfma16_kernelI14__hip_bfloat16S0_LN4vllm18Fp8KVCacheDataTypeE0ES0_Li16ELi128ELi256ELb0ELi10EL8MFMAType0EEvPKT_PKT0_S9_ifPKiSB_SB_iPKfiiiPfSE_PS4_PT2_iSD_SD_
    .private_segment_fixed_size: 0
    .sgpr_count:     52
    .sgpr_spill_count: 0
    .symbol:         _Z39paged_attention_ll4mi_QKV_mfma16_kernelI14__hip_bfloat16S0_LN4vllm18Fp8KVCacheDataTypeE0ES0_Li16ELi128ELi256ELb0ELi10EL8MFMAType0EEvPKT_PKT0_S9_ifPKiSB_SB_iPKfiiiPfSE_PS4_PT2_iSD_SD_.kd
    .uniform_work_group_size: 1
    .uses_dynamic_stack: false
    .vgpr_count:     218
    .vgpr_spill_count: 0
    .wavefront_size: 32
    .workgroup_processor_mode: 1
  - .args:
      - .actual_access:  read_only
        .address_space:  global
        .offset:         0
        .size:           8
        .value_kind:     global_buffer
      - .actual_access:  read_only
        .address_space:  global
        .offset:         8
        .size:           8
        .value_kind:     global_buffer
      - .actual_access:  read_only
        .address_space:  global
        .offset:         16
        .size:           8
        .value_kind:     global_buffer
      - .offset:         24
        .size:           4
        .value_kind:     by_value
      - .offset:         28
        .size:           4
        .value_kind:     by_value
      - .actual_access:  read_only
        .address_space:  global
        .offset:         32
        .size:           8
        .value_kind:     global_buffer
      - .actual_access:  read_only
        .address_space:  global
        .offset:         40
        .size:           8
        .value_kind:     global_buffer
      - .actual_access:  read_only
        .address_space:  global
        .offset:         48
        .size:           8
        .value_kind:     global_buffer
      - .offset:         56
        .size:           4
        .value_kind:     by_value
      - .actual_access:  read_only
        .address_space:  global
        .offset:         64
        .size:           8
        .value_kind:     global_buffer
      - .offset:         72
        .size:           4
        .value_kind:     by_value
      - .offset:         76
        .size:           4
        .value_kind:     by_value
      - .offset:         80
        .size:           4
        .value_kind:     by_value
      - .actual_access:  write_only
        .address_space:  global
        .offset:         88
        .size:           8
        .value_kind:     global_buffer
      - .actual_access:  write_only
        .address_space:  global
        .offset:         96
        .size:           8
        .value_kind:     global_buffer
      - .actual_access:  write_only
        .address_space:  global
        .offset:         104
        .size:           8
        .value_kind:     global_buffer
      - .actual_access:  read_only
        .address_space:  global
        .offset:         112
        .size:           8
        .value_kind:     global_buffer
      - .offset:         120
        .size:           4
        .value_kind:     by_value
      - .address_space:  global
        .offset:         128
        .size:           8
        .value_kind:     global_buffer
      - .address_space:  global
        .offset:         136
        .size:           8
        .value_kind:     global_buffer
      - .offset:         144
        .size:           4
        .value_kind:     hidden_block_count_x
      - .offset:         148
        .size:           4
        .value_kind:     hidden_block_count_y
      - .offset:         152
        .size:           4
        .value_kind:     hidden_block_count_z
      - .offset:         156
        .size:           2
        .value_kind:     hidden_group_size_x
      - .offset:         158
        .size:           2
        .value_kind:     hidden_group_size_y
      - .offset:         160
        .size:           2
        .value_kind:     hidden_group_size_z
      - .offset:         162
        .size:           2
        .value_kind:     hidden_remainder_x
      - .offset:         164
        .size:           2
        .value_kind:     hidden_remainder_y
      - .offset:         166
        .size:           2
        .value_kind:     hidden_remainder_z
      - .offset:         184
        .size:           8
        .value_kind:     hidden_global_offset_x
      - .offset:         192
        .size:           8
        .value_kind:     hidden_global_offset_y
      - .offset:         200
        .size:           8
        .value_kind:     hidden_global_offset_z
      - .offset:         208
        .size:           2
        .value_kind:     hidden_grid_dims
    .group_segment_fixed_size: 17472
    .kernarg_segment_align: 8
    .kernarg_segment_size: 400
    .language:       OpenCL C
    .language_version:
      - 2
      - 0
    .max_flat_workgroup_size: 256
    .name:           _Z39paged_attention_ll4mi_QKV_mfma16_kernelI14__hip_bfloat16S0_LN4vllm18Fp8KVCacheDataTypeE0ES0_Li16ELi128ELi256ELb0ELi11EL8MFMAType0EEvPKT_PKT0_S9_ifPKiSB_SB_iPKfiiiPfSE_PS4_PT2_iSD_SD_
    .private_segment_fixed_size: 0
    .sgpr_count:     52
    .sgpr_spill_count: 0
    .symbol:         _Z39paged_attention_ll4mi_QKV_mfma16_kernelI14__hip_bfloat16S0_LN4vllm18Fp8KVCacheDataTypeE0ES0_Li16ELi128ELi256ELb0ELi11EL8MFMAType0EEvPKT_PKT0_S9_ifPKiSB_SB_iPKfiiiPfSE_PS4_PT2_iSD_SD_.kd
    .uniform_work_group_size: 1
    .uses_dynamic_stack: false
    .vgpr_count:     218
    .vgpr_spill_count: 0
    .wavefront_size: 32
    .workgroup_processor_mode: 1
  - .args:
      - .actual_access:  read_only
        .address_space:  global
        .offset:         0
        .size:           8
        .value_kind:     global_buffer
      - .actual_access:  read_only
        .address_space:  global
        .offset:         8
        .size:           8
        .value_kind:     global_buffer
      - .actual_access:  read_only
        .address_space:  global
        .offset:         16
        .size:           8
        .value_kind:     global_buffer
      - .offset:         24
        .size:           4
        .value_kind:     by_value
      - .offset:         28
        .size:           4
        .value_kind:     by_value
      - .actual_access:  read_only
        .address_space:  global
        .offset:         32
        .size:           8
        .value_kind:     global_buffer
      - .actual_access:  read_only
        .address_space:  global
        .offset:         40
        .size:           8
        .value_kind:     global_buffer
      - .actual_access:  read_only
        .address_space:  global
        .offset:         48
        .size:           8
        .value_kind:     global_buffer
      - .offset:         56
        .size:           4
        .value_kind:     by_value
      - .actual_access:  read_only
        .address_space:  global
        .offset:         64
        .size:           8
        .value_kind:     global_buffer
      - .offset:         72
        .size:           4
        .value_kind:     by_value
      - .offset:         76
        .size:           4
        .value_kind:     by_value
      - .offset:         80
        .size:           4
        .value_kind:     by_value
      - .actual_access:  write_only
        .address_space:  global
        .offset:         88
        .size:           8
        .value_kind:     global_buffer
      - .actual_access:  write_only
        .address_space:  global
        .offset:         96
        .size:           8
        .value_kind:     global_buffer
      - .actual_access:  write_only
        .address_space:  global
        .offset:         104
        .size:           8
        .value_kind:     global_buffer
      - .actual_access:  read_only
        .address_space:  global
        .offset:         112
        .size:           8
        .value_kind:     global_buffer
      - .offset:         120
        .size:           4
        .value_kind:     by_value
      - .address_space:  global
        .offset:         128
        .size:           8
        .value_kind:     global_buffer
      - .address_space:  global
        .offset:         136
        .size:           8
        .value_kind:     global_buffer
      - .offset:         144
        .size:           4
        .value_kind:     hidden_block_count_x
      - .offset:         148
        .size:           4
        .value_kind:     hidden_block_count_y
      - .offset:         152
        .size:           4
        .value_kind:     hidden_block_count_z
      - .offset:         156
        .size:           2
        .value_kind:     hidden_group_size_x
      - .offset:         158
        .size:           2
        .value_kind:     hidden_group_size_y
      - .offset:         160
        .size:           2
        .value_kind:     hidden_group_size_z
      - .offset:         162
        .size:           2
        .value_kind:     hidden_remainder_x
      - .offset:         164
        .size:           2
        .value_kind:     hidden_remainder_y
      - .offset:         166
        .size:           2
        .value_kind:     hidden_remainder_z
      - .offset:         184
        .size:           8
        .value_kind:     hidden_global_offset_x
      - .offset:         192
        .size:           8
        .value_kind:     hidden_global_offset_y
      - .offset:         200
        .size:           8
        .value_kind:     hidden_global_offset_z
      - .offset:         208
        .size:           2
        .value_kind:     hidden_grid_dims
    .group_segment_fixed_size: 17472
    .kernarg_segment_align: 8
    .kernarg_segment_size: 400
    .language:       OpenCL C
    .language_version:
      - 2
      - 0
    .max_flat_workgroup_size: 256
    .name:           _Z39paged_attention_ll4mi_QKV_mfma16_kernelI14__hip_bfloat16S0_LN4vllm18Fp8KVCacheDataTypeE0ES0_Li16ELi128ELi256ELb0ELi12EL8MFMAType0EEvPKT_PKT0_S9_ifPKiSB_SB_iPKfiiiPfSE_PS4_PT2_iSD_SD_
    .private_segment_fixed_size: 0
    .sgpr_count:     52
    .sgpr_spill_count: 0
    .symbol:         _Z39paged_attention_ll4mi_QKV_mfma16_kernelI14__hip_bfloat16S0_LN4vllm18Fp8KVCacheDataTypeE0ES0_Li16ELi128ELi256ELb0ELi12EL8MFMAType0EEvPKT_PKT0_S9_ifPKiSB_SB_iPKfiiiPfSE_PS4_PT2_iSD_SD_.kd
    .uniform_work_group_size: 1
    .uses_dynamic_stack: false
    .vgpr_count:     218
    .vgpr_spill_count: 0
    .wavefront_size: 32
    .workgroup_processor_mode: 1
  - .args:
      - .actual_access:  read_only
        .address_space:  global
        .offset:         0
        .size:           8
        .value_kind:     global_buffer
      - .actual_access:  read_only
        .address_space:  global
        .offset:         8
        .size:           8
        .value_kind:     global_buffer
      - .actual_access:  read_only
        .address_space:  global
        .offset:         16
        .size:           8
        .value_kind:     global_buffer
      - .offset:         24
        .size:           4
        .value_kind:     by_value
      - .offset:         28
        .size:           4
        .value_kind:     by_value
      - .actual_access:  read_only
        .address_space:  global
        .offset:         32
        .size:           8
        .value_kind:     global_buffer
      - .actual_access:  read_only
        .address_space:  global
        .offset:         40
        .size:           8
        .value_kind:     global_buffer
      - .actual_access:  read_only
        .address_space:  global
        .offset:         48
        .size:           8
        .value_kind:     global_buffer
      - .offset:         56
        .size:           4
        .value_kind:     by_value
      - .actual_access:  read_only
        .address_space:  global
        .offset:         64
        .size:           8
        .value_kind:     global_buffer
      - .offset:         72
        .size:           4
        .value_kind:     by_value
      - .offset:         76
        .size:           4
        .value_kind:     by_value
      - .offset:         80
        .size:           4
        .value_kind:     by_value
      - .actual_access:  write_only
        .address_space:  global
        .offset:         88
        .size:           8
        .value_kind:     global_buffer
      - .actual_access:  write_only
        .address_space:  global
        .offset:         96
        .size:           8
        .value_kind:     global_buffer
      - .actual_access:  write_only
        .address_space:  global
        .offset:         104
        .size:           8
        .value_kind:     global_buffer
      - .actual_access:  read_only
        .address_space:  global
        .offset:         112
        .size:           8
        .value_kind:     global_buffer
      - .offset:         120
        .size:           4
        .value_kind:     by_value
      - .address_space:  global
        .offset:         128
        .size:           8
        .value_kind:     global_buffer
      - .address_space:  global
        .offset:         136
        .size:           8
        .value_kind:     global_buffer
      - .offset:         144
        .size:           4
        .value_kind:     hidden_block_count_x
      - .offset:         148
        .size:           4
        .value_kind:     hidden_block_count_y
      - .offset:         152
        .size:           4
        .value_kind:     hidden_block_count_z
      - .offset:         156
        .size:           2
        .value_kind:     hidden_group_size_x
      - .offset:         158
        .size:           2
        .value_kind:     hidden_group_size_y
      - .offset:         160
        .size:           2
        .value_kind:     hidden_group_size_z
      - .offset:         162
        .size:           2
        .value_kind:     hidden_remainder_x
      - .offset:         164
        .size:           2
        .value_kind:     hidden_remainder_y
      - .offset:         166
        .size:           2
        .value_kind:     hidden_remainder_z
      - .offset:         184
        .size:           8
        .value_kind:     hidden_global_offset_x
      - .offset:         192
        .size:           8
        .value_kind:     hidden_global_offset_y
      - .offset:         200
        .size:           8
        .value_kind:     hidden_global_offset_z
      - .offset:         208
        .size:           2
        .value_kind:     hidden_grid_dims
    .group_segment_fixed_size: 17472
    .kernarg_segment_align: 8
    .kernarg_segment_size: 400
    .language:       OpenCL C
    .language_version:
      - 2
      - 0
    .max_flat_workgroup_size: 256
    .name:           _Z39paged_attention_ll4mi_QKV_mfma16_kernelI14__hip_bfloat16S0_LN4vllm18Fp8KVCacheDataTypeE0ES0_Li16ELi128ELi256ELb0ELi13EL8MFMAType0EEvPKT_PKT0_S9_ifPKiSB_SB_iPKfiiiPfSE_PS4_PT2_iSD_SD_
    .private_segment_fixed_size: 0
    .sgpr_count:     52
    .sgpr_spill_count: 0
    .symbol:         _Z39paged_attention_ll4mi_QKV_mfma16_kernelI14__hip_bfloat16S0_LN4vllm18Fp8KVCacheDataTypeE0ES0_Li16ELi128ELi256ELb0ELi13EL8MFMAType0EEvPKT_PKT0_S9_ifPKiSB_SB_iPKfiiiPfSE_PS4_PT2_iSD_SD_.kd
    .uniform_work_group_size: 1
    .uses_dynamic_stack: false
    .vgpr_count:     218
    .vgpr_spill_count: 0
    .wavefront_size: 32
    .workgroup_processor_mode: 1
  - .args:
      - .actual_access:  read_only
        .address_space:  global
        .offset:         0
        .size:           8
        .value_kind:     global_buffer
      - .actual_access:  read_only
        .address_space:  global
        .offset:         8
        .size:           8
        .value_kind:     global_buffer
      - .actual_access:  read_only
        .address_space:  global
        .offset:         16
        .size:           8
        .value_kind:     global_buffer
      - .offset:         24
        .size:           4
        .value_kind:     by_value
      - .offset:         28
        .size:           4
        .value_kind:     by_value
      - .actual_access:  read_only
        .address_space:  global
        .offset:         32
        .size:           8
        .value_kind:     global_buffer
      - .actual_access:  read_only
        .address_space:  global
        .offset:         40
        .size:           8
        .value_kind:     global_buffer
      - .actual_access:  read_only
        .address_space:  global
        .offset:         48
        .size:           8
        .value_kind:     global_buffer
      - .offset:         56
        .size:           4
        .value_kind:     by_value
      - .actual_access:  read_only
        .address_space:  global
        .offset:         64
        .size:           8
        .value_kind:     global_buffer
      - .offset:         72
        .size:           4
        .value_kind:     by_value
      - .offset:         76
        .size:           4
        .value_kind:     by_value
      - .offset:         80
        .size:           4
        .value_kind:     by_value
      - .actual_access:  write_only
        .address_space:  global
        .offset:         88
        .size:           8
        .value_kind:     global_buffer
      - .actual_access:  write_only
        .address_space:  global
        .offset:         96
        .size:           8
        .value_kind:     global_buffer
      - .actual_access:  write_only
        .address_space:  global
        .offset:         104
        .size:           8
        .value_kind:     global_buffer
      - .actual_access:  read_only
        .address_space:  global
        .offset:         112
        .size:           8
        .value_kind:     global_buffer
      - .offset:         120
        .size:           4
        .value_kind:     by_value
      - .address_space:  global
        .offset:         128
        .size:           8
        .value_kind:     global_buffer
      - .address_space:  global
        .offset:         136
        .size:           8
        .value_kind:     global_buffer
      - .offset:         144
        .size:           4
        .value_kind:     hidden_block_count_x
      - .offset:         148
        .size:           4
        .value_kind:     hidden_block_count_y
      - .offset:         152
        .size:           4
        .value_kind:     hidden_block_count_z
      - .offset:         156
        .size:           2
        .value_kind:     hidden_group_size_x
      - .offset:         158
        .size:           2
        .value_kind:     hidden_group_size_y
      - .offset:         160
        .size:           2
        .value_kind:     hidden_group_size_z
      - .offset:         162
        .size:           2
        .value_kind:     hidden_remainder_x
      - .offset:         164
        .size:           2
        .value_kind:     hidden_remainder_y
      - .offset:         166
        .size:           2
        .value_kind:     hidden_remainder_z
      - .offset:         184
        .size:           8
        .value_kind:     hidden_global_offset_x
      - .offset:         192
        .size:           8
        .value_kind:     hidden_global_offset_y
      - .offset:         200
        .size:           8
        .value_kind:     hidden_global_offset_z
      - .offset:         208
        .size:           2
        .value_kind:     hidden_grid_dims
    .group_segment_fixed_size: 17472
    .kernarg_segment_align: 8
    .kernarg_segment_size: 400
    .language:       OpenCL C
    .language_version:
      - 2
      - 0
    .max_flat_workgroup_size: 256
    .name:           _Z39paged_attention_ll4mi_QKV_mfma16_kernelI14__hip_bfloat16S0_LN4vllm18Fp8KVCacheDataTypeE0ES0_Li16ELi128ELi256ELb0ELi14EL8MFMAType0EEvPKT_PKT0_S9_ifPKiSB_SB_iPKfiiiPfSE_PS4_PT2_iSD_SD_
    .private_segment_fixed_size: 0
    .sgpr_count:     52
    .sgpr_spill_count: 0
    .symbol:         _Z39paged_attention_ll4mi_QKV_mfma16_kernelI14__hip_bfloat16S0_LN4vllm18Fp8KVCacheDataTypeE0ES0_Li16ELi128ELi256ELb0ELi14EL8MFMAType0EEvPKT_PKT0_S9_ifPKiSB_SB_iPKfiiiPfSE_PS4_PT2_iSD_SD_.kd
    .uniform_work_group_size: 1
    .uses_dynamic_stack: false
    .vgpr_count:     218
    .vgpr_spill_count: 0
    .wavefront_size: 32
    .workgroup_processor_mode: 1
  - .args:
      - .actual_access:  read_only
        .address_space:  global
        .offset:         0
        .size:           8
        .value_kind:     global_buffer
      - .actual_access:  read_only
        .address_space:  global
        .offset:         8
        .size:           8
        .value_kind:     global_buffer
      - .actual_access:  read_only
        .address_space:  global
        .offset:         16
        .size:           8
        .value_kind:     global_buffer
      - .offset:         24
        .size:           4
        .value_kind:     by_value
      - .offset:         28
        .size:           4
        .value_kind:     by_value
      - .actual_access:  read_only
        .address_space:  global
        .offset:         32
        .size:           8
        .value_kind:     global_buffer
      - .actual_access:  read_only
        .address_space:  global
        .offset:         40
        .size:           8
        .value_kind:     global_buffer
      - .actual_access:  read_only
        .address_space:  global
        .offset:         48
        .size:           8
        .value_kind:     global_buffer
      - .offset:         56
        .size:           4
        .value_kind:     by_value
      - .actual_access:  read_only
        .address_space:  global
        .offset:         64
        .size:           8
        .value_kind:     global_buffer
      - .offset:         72
        .size:           4
        .value_kind:     by_value
      - .offset:         76
        .size:           4
        .value_kind:     by_value
      - .offset:         80
        .size:           4
        .value_kind:     by_value
      - .actual_access:  write_only
        .address_space:  global
        .offset:         88
        .size:           8
        .value_kind:     global_buffer
      - .actual_access:  write_only
        .address_space:  global
        .offset:         96
        .size:           8
        .value_kind:     global_buffer
      - .actual_access:  write_only
        .address_space:  global
        .offset:         104
        .size:           8
        .value_kind:     global_buffer
      - .actual_access:  read_only
        .address_space:  global
        .offset:         112
        .size:           8
        .value_kind:     global_buffer
      - .offset:         120
        .size:           4
        .value_kind:     by_value
      - .address_space:  global
        .offset:         128
        .size:           8
        .value_kind:     global_buffer
      - .address_space:  global
        .offset:         136
        .size:           8
        .value_kind:     global_buffer
      - .offset:         144
        .size:           4
        .value_kind:     hidden_block_count_x
      - .offset:         148
        .size:           4
        .value_kind:     hidden_block_count_y
      - .offset:         152
        .size:           4
        .value_kind:     hidden_block_count_z
      - .offset:         156
        .size:           2
        .value_kind:     hidden_group_size_x
      - .offset:         158
        .size:           2
        .value_kind:     hidden_group_size_y
      - .offset:         160
        .size:           2
        .value_kind:     hidden_group_size_z
      - .offset:         162
        .size:           2
        .value_kind:     hidden_remainder_x
      - .offset:         164
        .size:           2
        .value_kind:     hidden_remainder_y
      - .offset:         166
        .size:           2
        .value_kind:     hidden_remainder_z
      - .offset:         184
        .size:           8
        .value_kind:     hidden_global_offset_x
      - .offset:         192
        .size:           8
        .value_kind:     hidden_global_offset_y
      - .offset:         200
        .size:           8
        .value_kind:     hidden_global_offset_z
      - .offset:         208
        .size:           2
        .value_kind:     hidden_grid_dims
    .group_segment_fixed_size: 17472
    .kernarg_segment_align: 8
    .kernarg_segment_size: 400
    .language:       OpenCL C
    .language_version:
      - 2
      - 0
    .max_flat_workgroup_size: 256
    .name:           _Z39paged_attention_ll4mi_QKV_mfma16_kernelI14__hip_bfloat16S0_LN4vllm18Fp8KVCacheDataTypeE0ES0_Li16ELi128ELi256ELb0ELi15EL8MFMAType0EEvPKT_PKT0_S9_ifPKiSB_SB_iPKfiiiPfSE_PS4_PT2_iSD_SD_
    .private_segment_fixed_size: 0
    .sgpr_count:     52
    .sgpr_spill_count: 0
    .symbol:         _Z39paged_attention_ll4mi_QKV_mfma16_kernelI14__hip_bfloat16S0_LN4vllm18Fp8KVCacheDataTypeE0ES0_Li16ELi128ELi256ELb0ELi15EL8MFMAType0EEvPKT_PKT0_S9_ifPKiSB_SB_iPKfiiiPfSE_PS4_PT2_iSD_SD_.kd
    .uniform_work_group_size: 1
    .uses_dynamic_stack: false
    .vgpr_count:     218
    .vgpr_spill_count: 0
    .wavefront_size: 32
    .workgroup_processor_mode: 1
  - .args:
      - .actual_access:  read_only
        .address_space:  global
        .offset:         0
        .size:           8
        .value_kind:     global_buffer
      - .actual_access:  read_only
        .address_space:  global
        .offset:         8
        .size:           8
        .value_kind:     global_buffer
      - .actual_access:  read_only
        .address_space:  global
        .offset:         16
        .size:           8
        .value_kind:     global_buffer
      - .offset:         24
        .size:           4
        .value_kind:     by_value
      - .offset:         28
        .size:           4
        .value_kind:     by_value
      - .actual_access:  read_only
        .address_space:  global
        .offset:         32
        .size:           8
        .value_kind:     global_buffer
      - .actual_access:  read_only
        .address_space:  global
        .offset:         40
        .size:           8
        .value_kind:     global_buffer
      - .actual_access:  read_only
        .address_space:  global
        .offset:         48
        .size:           8
        .value_kind:     global_buffer
      - .offset:         56
        .size:           4
        .value_kind:     by_value
      - .actual_access:  read_only
        .address_space:  global
        .offset:         64
        .size:           8
        .value_kind:     global_buffer
      - .offset:         72
        .size:           4
        .value_kind:     by_value
      - .offset:         76
        .size:           4
        .value_kind:     by_value
      - .offset:         80
        .size:           4
        .value_kind:     by_value
      - .actual_access:  write_only
        .address_space:  global
        .offset:         88
        .size:           8
        .value_kind:     global_buffer
      - .actual_access:  write_only
        .address_space:  global
        .offset:         96
        .size:           8
        .value_kind:     global_buffer
      - .actual_access:  write_only
        .address_space:  global
        .offset:         104
        .size:           8
        .value_kind:     global_buffer
      - .actual_access:  read_only
        .address_space:  global
        .offset:         112
        .size:           8
        .value_kind:     global_buffer
      - .offset:         120
        .size:           4
        .value_kind:     by_value
      - .address_space:  global
        .offset:         128
        .size:           8
        .value_kind:     global_buffer
      - .address_space:  global
        .offset:         136
        .size:           8
        .value_kind:     global_buffer
      - .offset:         144
        .size:           4
        .value_kind:     hidden_block_count_x
      - .offset:         148
        .size:           4
        .value_kind:     hidden_block_count_y
      - .offset:         152
        .size:           4
        .value_kind:     hidden_block_count_z
      - .offset:         156
        .size:           2
        .value_kind:     hidden_group_size_x
      - .offset:         158
        .size:           2
        .value_kind:     hidden_group_size_y
      - .offset:         160
        .size:           2
        .value_kind:     hidden_group_size_z
      - .offset:         162
        .size:           2
        .value_kind:     hidden_remainder_x
      - .offset:         164
        .size:           2
        .value_kind:     hidden_remainder_y
      - .offset:         166
        .size:           2
        .value_kind:     hidden_remainder_z
      - .offset:         184
        .size:           8
        .value_kind:     hidden_global_offset_x
      - .offset:         192
        .size:           8
        .value_kind:     hidden_global_offset_y
      - .offset:         200
        .size:           8
        .value_kind:     hidden_global_offset_z
      - .offset:         208
        .size:           2
        .value_kind:     hidden_grid_dims
    .group_segment_fixed_size: 17472
    .kernarg_segment_align: 8
    .kernarg_segment_size: 400
    .language:       OpenCL C
    .language_version:
      - 2
      - 0
    .max_flat_workgroup_size: 256
    .name:           _Z39paged_attention_ll4mi_QKV_mfma16_kernelI14__hip_bfloat16S0_LN4vllm18Fp8KVCacheDataTypeE0ES0_Li16ELi128ELi256ELb0ELi16EL8MFMAType0EEvPKT_PKT0_S9_ifPKiSB_SB_iPKfiiiPfSE_PS4_PT2_iSD_SD_
    .private_segment_fixed_size: 0
    .sgpr_count:     52
    .sgpr_spill_count: 0
    .symbol:         _Z39paged_attention_ll4mi_QKV_mfma16_kernelI14__hip_bfloat16S0_LN4vllm18Fp8KVCacheDataTypeE0ES0_Li16ELi128ELi256ELb0ELi16EL8MFMAType0EEvPKT_PKT0_S9_ifPKiSB_SB_iPKfiiiPfSE_PS4_PT2_iSD_SD_.kd
    .uniform_work_group_size: 1
    .uses_dynamic_stack: false
    .vgpr_count:     218
    .vgpr_spill_count: 0
    .wavefront_size: 32
    .workgroup_processor_mode: 1
  - .args:
      - .actual_access:  read_only
        .address_space:  global
        .offset:         0
        .size:           8
        .value_kind:     global_buffer
      - .actual_access:  read_only
        .address_space:  global
        .offset:         8
        .size:           8
        .value_kind:     global_buffer
      - .actual_access:  read_only
        .address_space:  global
        .offset:         16
        .size:           8
        .value_kind:     global_buffer
      - .offset:         24
        .size:           4
        .value_kind:     by_value
      - .offset:         28
        .size:           4
        .value_kind:     by_value
      - .actual_access:  read_only
        .address_space:  global
        .offset:         32
        .size:           8
        .value_kind:     global_buffer
      - .actual_access:  read_only
        .address_space:  global
        .offset:         40
        .size:           8
        .value_kind:     global_buffer
      - .actual_access:  read_only
        .address_space:  global
        .offset:         48
        .size:           8
        .value_kind:     global_buffer
      - .offset:         56
        .size:           4
        .value_kind:     by_value
      - .actual_access:  read_only
        .address_space:  global
        .offset:         64
        .size:           8
        .value_kind:     global_buffer
      - .offset:         72
        .size:           4
        .value_kind:     by_value
      - .offset:         76
        .size:           4
        .value_kind:     by_value
      - .offset:         80
        .size:           4
        .value_kind:     by_value
      - .actual_access:  write_only
        .address_space:  global
        .offset:         88
        .size:           8
        .value_kind:     global_buffer
      - .actual_access:  write_only
        .address_space:  global
        .offset:         96
        .size:           8
        .value_kind:     global_buffer
      - .actual_access:  write_only
        .address_space:  global
        .offset:         104
        .size:           8
        .value_kind:     global_buffer
      - .actual_access:  read_only
        .address_space:  global
        .offset:         112
        .size:           8
        .value_kind:     global_buffer
      - .offset:         120
        .size:           4
        .value_kind:     by_value
      - .address_space:  global
        .offset:         128
        .size:           8
        .value_kind:     global_buffer
      - .address_space:  global
        .offset:         136
        .size:           8
        .value_kind:     global_buffer
      - .offset:         144
        .size:           4
        .value_kind:     hidden_block_count_x
      - .offset:         148
        .size:           4
        .value_kind:     hidden_block_count_y
      - .offset:         152
        .size:           4
        .value_kind:     hidden_block_count_z
      - .offset:         156
        .size:           2
        .value_kind:     hidden_group_size_x
      - .offset:         158
        .size:           2
        .value_kind:     hidden_group_size_y
      - .offset:         160
        .size:           2
        .value_kind:     hidden_group_size_z
      - .offset:         162
        .size:           2
        .value_kind:     hidden_remainder_x
      - .offset:         164
        .size:           2
        .value_kind:     hidden_remainder_y
      - .offset:         166
        .size:           2
        .value_kind:     hidden_remainder_z
      - .offset:         184
        .size:           8
        .value_kind:     hidden_global_offset_x
      - .offset:         192
        .size:           8
        .value_kind:     hidden_global_offset_y
      - .offset:         200
        .size:           8
        .value_kind:     hidden_global_offset_z
      - .offset:         208
        .size:           2
        .value_kind:     hidden_grid_dims
    .group_segment_fixed_size: 17472
    .kernarg_segment_align: 8
    .kernarg_segment_size: 400
    .language:       OpenCL C
    .language_version:
      - 2
      - 0
    .max_flat_workgroup_size: 256
    .name:           _Z39paged_attention_ll4mi_QKV_mfma16_kernelI14__hip_bfloat16S0_LN4vllm18Fp8KVCacheDataTypeE0ES0_Li16ELi128ELi256ELb0ELi1EL8MFMAType0EEvPKT_PKT0_S9_ifPKiSB_SB_iPKfiiiPfSE_PS4_PT2_iSD_SD_
    .private_segment_fixed_size: 0
    .sgpr_count:     100
    .sgpr_spill_count: 0
    .symbol:         _Z39paged_attention_ll4mi_QKV_mfma16_kernelI14__hip_bfloat16S0_LN4vllm18Fp8KVCacheDataTypeE0ES0_Li16ELi128ELi256ELb0ELi1EL8MFMAType0EEvPKT_PKT0_S9_ifPKiSB_SB_iPKfiiiPfSE_PS4_PT2_iSD_SD_.kd
    .uniform_work_group_size: 1
    .uses_dynamic_stack: false
    .vgpr_count:     201
    .vgpr_spill_count: 0
    .wavefront_size: 32
    .workgroup_processor_mode: 1
  - .args:
      - .actual_access:  read_only
        .address_space:  global
        .offset:         0
        .size:           8
        .value_kind:     global_buffer
      - .actual_access:  read_only
        .address_space:  global
        .offset:         8
        .size:           8
        .value_kind:     global_buffer
      - .actual_access:  read_only
        .address_space:  global
        .offset:         16
        .size:           8
        .value_kind:     global_buffer
      - .offset:         24
        .size:           4
        .value_kind:     by_value
      - .offset:         28
        .size:           4
        .value_kind:     by_value
      - .actual_access:  read_only
        .address_space:  global
        .offset:         32
        .size:           8
        .value_kind:     global_buffer
      - .actual_access:  read_only
        .address_space:  global
        .offset:         40
        .size:           8
        .value_kind:     global_buffer
      - .actual_access:  read_only
        .address_space:  global
        .offset:         48
        .size:           8
        .value_kind:     global_buffer
      - .offset:         56
        .size:           4
        .value_kind:     by_value
      - .actual_access:  read_only
        .address_space:  global
        .offset:         64
        .size:           8
        .value_kind:     global_buffer
      - .offset:         72
        .size:           4
        .value_kind:     by_value
      - .offset:         76
        .size:           4
        .value_kind:     by_value
      - .offset:         80
        .size:           4
        .value_kind:     by_value
      - .actual_access:  write_only
        .address_space:  global
        .offset:         88
        .size:           8
        .value_kind:     global_buffer
      - .actual_access:  write_only
        .address_space:  global
        .offset:         96
        .size:           8
        .value_kind:     global_buffer
      - .actual_access:  write_only
        .address_space:  global
        .offset:         104
        .size:           8
        .value_kind:     global_buffer
      - .actual_access:  read_only
        .address_space:  global
        .offset:         112
        .size:           8
        .value_kind:     global_buffer
      - .offset:         120
        .size:           4
        .value_kind:     by_value
      - .address_space:  global
        .offset:         128
        .size:           8
        .value_kind:     global_buffer
      - .address_space:  global
        .offset:         136
        .size:           8
        .value_kind:     global_buffer
      - .offset:         144
        .size:           4
        .value_kind:     hidden_block_count_x
      - .offset:         148
        .size:           4
        .value_kind:     hidden_block_count_y
      - .offset:         152
        .size:           4
        .value_kind:     hidden_block_count_z
      - .offset:         156
        .size:           2
        .value_kind:     hidden_group_size_x
      - .offset:         158
        .size:           2
        .value_kind:     hidden_group_size_y
      - .offset:         160
        .size:           2
        .value_kind:     hidden_group_size_z
      - .offset:         162
        .size:           2
        .value_kind:     hidden_remainder_x
      - .offset:         164
        .size:           2
        .value_kind:     hidden_remainder_y
      - .offset:         166
        .size:           2
        .value_kind:     hidden_remainder_z
      - .offset:         184
        .size:           8
        .value_kind:     hidden_global_offset_x
      - .offset:         192
        .size:           8
        .value_kind:     hidden_global_offset_y
      - .offset:         200
        .size:           8
        .value_kind:     hidden_global_offset_z
      - .offset:         208
        .size:           2
        .value_kind:     hidden_grid_dims
    .group_segment_fixed_size: 17472
    .kernarg_segment_align: 8
    .kernarg_segment_size: 400
    .language:       OpenCL C
    .language_version:
      - 2
      - 0
    .max_flat_workgroup_size: 256
    .name:           _Z39paged_attention_ll4mi_QKV_mfma16_kernelI14__hip_bfloat16S0_LN4vllm18Fp8KVCacheDataTypeE0ES0_Li16ELi128ELi256ELb0ELi2EL8MFMAType0EEvPKT_PKT0_S9_ifPKiSB_SB_iPKfiiiPfSE_PS4_PT2_iSD_SD_
    .private_segment_fixed_size: 0
    .sgpr_count:     54
    .sgpr_spill_count: 0
    .symbol:         _Z39paged_attention_ll4mi_QKV_mfma16_kernelI14__hip_bfloat16S0_LN4vllm18Fp8KVCacheDataTypeE0ES0_Li16ELi128ELi256ELb0ELi2EL8MFMAType0EEvPKT_PKT0_S9_ifPKiSB_SB_iPKfiiiPfSE_PS4_PT2_iSD_SD_.kd
    .uniform_work_group_size: 1
    .uses_dynamic_stack: false
    .vgpr_count:     230
    .vgpr_spill_count: 0
    .wavefront_size: 32
    .workgroup_processor_mode: 1
  - .args:
      - .actual_access:  read_only
        .address_space:  global
        .offset:         0
        .size:           8
        .value_kind:     global_buffer
      - .actual_access:  read_only
        .address_space:  global
        .offset:         8
        .size:           8
        .value_kind:     global_buffer
      - .actual_access:  read_only
        .address_space:  global
        .offset:         16
        .size:           8
        .value_kind:     global_buffer
      - .offset:         24
        .size:           4
        .value_kind:     by_value
      - .offset:         28
        .size:           4
        .value_kind:     by_value
      - .actual_access:  read_only
        .address_space:  global
        .offset:         32
        .size:           8
        .value_kind:     global_buffer
      - .actual_access:  read_only
        .address_space:  global
        .offset:         40
        .size:           8
        .value_kind:     global_buffer
      - .actual_access:  read_only
        .address_space:  global
        .offset:         48
        .size:           8
        .value_kind:     global_buffer
      - .offset:         56
        .size:           4
        .value_kind:     by_value
      - .actual_access:  read_only
        .address_space:  global
        .offset:         64
        .size:           8
        .value_kind:     global_buffer
      - .offset:         72
        .size:           4
        .value_kind:     by_value
      - .offset:         76
        .size:           4
        .value_kind:     by_value
      - .offset:         80
        .size:           4
        .value_kind:     by_value
      - .actual_access:  write_only
        .address_space:  global
        .offset:         88
        .size:           8
        .value_kind:     global_buffer
      - .actual_access:  write_only
        .address_space:  global
        .offset:         96
        .size:           8
        .value_kind:     global_buffer
      - .actual_access:  write_only
        .address_space:  global
        .offset:         104
        .size:           8
        .value_kind:     global_buffer
      - .actual_access:  read_only
        .address_space:  global
        .offset:         112
        .size:           8
        .value_kind:     global_buffer
      - .offset:         120
        .size:           4
        .value_kind:     by_value
      - .address_space:  global
        .offset:         128
        .size:           8
        .value_kind:     global_buffer
      - .address_space:  global
        .offset:         136
        .size:           8
        .value_kind:     global_buffer
      - .offset:         144
        .size:           4
        .value_kind:     hidden_block_count_x
      - .offset:         148
        .size:           4
        .value_kind:     hidden_block_count_y
      - .offset:         152
        .size:           4
        .value_kind:     hidden_block_count_z
      - .offset:         156
        .size:           2
        .value_kind:     hidden_group_size_x
      - .offset:         158
        .size:           2
        .value_kind:     hidden_group_size_y
      - .offset:         160
        .size:           2
        .value_kind:     hidden_group_size_z
      - .offset:         162
        .size:           2
        .value_kind:     hidden_remainder_x
      - .offset:         164
        .size:           2
        .value_kind:     hidden_remainder_y
      - .offset:         166
        .size:           2
        .value_kind:     hidden_remainder_z
      - .offset:         184
        .size:           8
        .value_kind:     hidden_global_offset_x
      - .offset:         192
        .size:           8
        .value_kind:     hidden_global_offset_y
      - .offset:         200
        .size:           8
        .value_kind:     hidden_global_offset_z
      - .offset:         208
        .size:           2
        .value_kind:     hidden_grid_dims
    .group_segment_fixed_size: 17472
    .kernarg_segment_align: 8
    .kernarg_segment_size: 400
    .language:       OpenCL C
    .language_version:
      - 2
      - 0
    .max_flat_workgroup_size: 256
    .name:           _Z39paged_attention_ll4mi_QKV_mfma16_kernelI14__hip_bfloat16S0_LN4vllm18Fp8KVCacheDataTypeE0ES0_Li16ELi128ELi256ELb0ELi3EL8MFMAType0EEvPKT_PKT0_S9_ifPKiSB_SB_iPKfiiiPfSE_PS4_PT2_iSD_SD_
    .private_segment_fixed_size: 0
    .sgpr_count:     52
    .sgpr_spill_count: 0
    .symbol:         _Z39paged_attention_ll4mi_QKV_mfma16_kernelI14__hip_bfloat16S0_LN4vllm18Fp8KVCacheDataTypeE0ES0_Li16ELi128ELi256ELb0ELi3EL8MFMAType0EEvPKT_PKT0_S9_ifPKiSB_SB_iPKfiiiPfSE_PS4_PT2_iSD_SD_.kd
    .uniform_work_group_size: 1
    .uses_dynamic_stack: false
    .vgpr_count:     218
    .vgpr_spill_count: 0
    .wavefront_size: 32
    .workgroup_processor_mode: 1
  - .args:
      - .actual_access:  read_only
        .address_space:  global
        .offset:         0
        .size:           8
        .value_kind:     global_buffer
      - .actual_access:  read_only
        .address_space:  global
        .offset:         8
        .size:           8
        .value_kind:     global_buffer
      - .actual_access:  read_only
        .address_space:  global
        .offset:         16
        .size:           8
        .value_kind:     global_buffer
      - .offset:         24
        .size:           4
        .value_kind:     by_value
      - .offset:         28
        .size:           4
        .value_kind:     by_value
      - .actual_access:  read_only
        .address_space:  global
        .offset:         32
        .size:           8
        .value_kind:     global_buffer
      - .actual_access:  read_only
        .address_space:  global
        .offset:         40
        .size:           8
        .value_kind:     global_buffer
      - .actual_access:  read_only
        .address_space:  global
        .offset:         48
        .size:           8
        .value_kind:     global_buffer
      - .offset:         56
        .size:           4
        .value_kind:     by_value
      - .actual_access:  read_only
        .address_space:  global
        .offset:         64
        .size:           8
        .value_kind:     global_buffer
      - .offset:         72
        .size:           4
        .value_kind:     by_value
      - .offset:         76
        .size:           4
        .value_kind:     by_value
      - .offset:         80
        .size:           4
        .value_kind:     by_value
      - .actual_access:  write_only
        .address_space:  global
        .offset:         88
        .size:           8
        .value_kind:     global_buffer
      - .actual_access:  write_only
        .address_space:  global
        .offset:         96
        .size:           8
        .value_kind:     global_buffer
      - .actual_access:  write_only
        .address_space:  global
        .offset:         104
        .size:           8
        .value_kind:     global_buffer
      - .actual_access:  read_only
        .address_space:  global
        .offset:         112
        .size:           8
        .value_kind:     global_buffer
      - .offset:         120
        .size:           4
        .value_kind:     by_value
      - .address_space:  global
        .offset:         128
        .size:           8
        .value_kind:     global_buffer
      - .address_space:  global
        .offset:         136
        .size:           8
        .value_kind:     global_buffer
      - .offset:         144
        .size:           4
        .value_kind:     hidden_block_count_x
      - .offset:         148
        .size:           4
        .value_kind:     hidden_block_count_y
      - .offset:         152
        .size:           4
        .value_kind:     hidden_block_count_z
      - .offset:         156
        .size:           2
        .value_kind:     hidden_group_size_x
      - .offset:         158
        .size:           2
        .value_kind:     hidden_group_size_y
      - .offset:         160
        .size:           2
        .value_kind:     hidden_group_size_z
      - .offset:         162
        .size:           2
        .value_kind:     hidden_remainder_x
      - .offset:         164
        .size:           2
        .value_kind:     hidden_remainder_y
      - .offset:         166
        .size:           2
        .value_kind:     hidden_remainder_z
      - .offset:         184
        .size:           8
        .value_kind:     hidden_global_offset_x
      - .offset:         192
        .size:           8
        .value_kind:     hidden_global_offset_y
      - .offset:         200
        .size:           8
        .value_kind:     hidden_global_offset_z
      - .offset:         208
        .size:           2
        .value_kind:     hidden_grid_dims
    .group_segment_fixed_size: 17472
    .kernarg_segment_align: 8
    .kernarg_segment_size: 400
    .language:       OpenCL C
    .language_version:
      - 2
      - 0
    .max_flat_workgroup_size: 256
    .name:           _Z39paged_attention_ll4mi_QKV_mfma16_kernelI14__hip_bfloat16S0_LN4vllm18Fp8KVCacheDataTypeE0ES0_Li16ELi128ELi256ELb0ELi4EL8MFMAType0EEvPKT_PKT0_S9_ifPKiSB_SB_iPKfiiiPfSE_PS4_PT2_iSD_SD_
    .private_segment_fixed_size: 0
    .sgpr_count:     52
    .sgpr_spill_count: 0
    .symbol:         _Z39paged_attention_ll4mi_QKV_mfma16_kernelI14__hip_bfloat16S0_LN4vllm18Fp8KVCacheDataTypeE0ES0_Li16ELi128ELi256ELb0ELi4EL8MFMAType0EEvPKT_PKT0_S9_ifPKiSB_SB_iPKfiiiPfSE_PS4_PT2_iSD_SD_.kd
    .uniform_work_group_size: 1
    .uses_dynamic_stack: false
    .vgpr_count:     218
    .vgpr_spill_count: 0
    .wavefront_size: 32
    .workgroup_processor_mode: 1
  - .args:
      - .actual_access:  read_only
        .address_space:  global
        .offset:         0
        .size:           8
        .value_kind:     global_buffer
      - .actual_access:  read_only
        .address_space:  global
        .offset:         8
        .size:           8
        .value_kind:     global_buffer
      - .actual_access:  read_only
        .address_space:  global
        .offset:         16
        .size:           8
        .value_kind:     global_buffer
      - .offset:         24
        .size:           4
        .value_kind:     by_value
      - .offset:         28
        .size:           4
        .value_kind:     by_value
      - .actual_access:  read_only
        .address_space:  global
        .offset:         32
        .size:           8
        .value_kind:     global_buffer
      - .actual_access:  read_only
        .address_space:  global
        .offset:         40
        .size:           8
        .value_kind:     global_buffer
      - .actual_access:  read_only
        .address_space:  global
        .offset:         48
        .size:           8
        .value_kind:     global_buffer
      - .offset:         56
        .size:           4
        .value_kind:     by_value
      - .actual_access:  read_only
        .address_space:  global
        .offset:         64
        .size:           8
        .value_kind:     global_buffer
      - .offset:         72
        .size:           4
        .value_kind:     by_value
      - .offset:         76
        .size:           4
        .value_kind:     by_value
      - .offset:         80
        .size:           4
        .value_kind:     by_value
      - .actual_access:  read_only
        .address_space:  global
        .offset:         88
        .size:           8
        .value_kind:     global_buffer
      - .actual_access:  read_only
        .address_space:  global
        .offset:         96
        .size:           8
        .value_kind:     global_buffer
      - .actual_access:  read_only
        .address_space:  global
        .offset:         104
        .size:           8
        .value_kind:     global_buffer
      - .actual_access:  read_only
        .address_space:  global
        .offset:         112
        .size:           8
        .value_kind:     global_buffer
      - .offset:         120
        .size:           4
        .value_kind:     by_value
      - .address_space:  global
        .offset:         128
        .size:           8
        .value_kind:     global_buffer
      - .address_space:  global
        .offset:         136
        .size:           8
        .value_kind:     global_buffer
      - .offset:         144
        .size:           4
        .value_kind:     hidden_block_count_x
      - .offset:         148
        .size:           4
        .value_kind:     hidden_block_count_y
      - .offset:         152
        .size:           4
        .value_kind:     hidden_block_count_z
      - .offset:         156
        .size:           2
        .value_kind:     hidden_group_size_x
      - .offset:         158
        .size:           2
        .value_kind:     hidden_group_size_y
      - .offset:         160
        .size:           2
        .value_kind:     hidden_group_size_z
      - .offset:         162
        .size:           2
        .value_kind:     hidden_remainder_x
      - .offset:         164
        .size:           2
        .value_kind:     hidden_remainder_y
      - .offset:         166
        .size:           2
        .value_kind:     hidden_remainder_z
      - .offset:         184
        .size:           8
        .value_kind:     hidden_global_offset_x
      - .offset:         192
        .size:           8
        .value_kind:     hidden_global_offset_y
      - .offset:         200
        .size:           8
        .value_kind:     hidden_global_offset_z
      - .offset:         208
        .size:           2
        .value_kind:     hidden_grid_dims
      - .offset:         224
        .size:           8
        .value_kind:     hidden_hostcall_buffer
    .group_segment_fixed_size: 0
    .kernarg_segment_align: 8
    .kernarg_segment_size: 400
    .language:       OpenCL C
    .language_version:
      - 2
      - 0
    .max_flat_workgroup_size: 256
    .name:           _Z38paged_attention_ll4mi_QKV_mfma4_kernelI14__hip_bfloat16S0_LN4vllm18Fp8KVCacheDataTypeE0EhLi32ELi128ELi256ELb1ELi1EEvPKT_PKT0_S8_ifPKiSA_SA_iPKfiiiPfSD_PS3_PT2_iSC_SC_
    .private_segment_fixed_size: 64
    .sgpr_count:     36
    .sgpr_spill_count: 0
    .symbol:         _Z38paged_attention_ll4mi_QKV_mfma4_kernelI14__hip_bfloat16S0_LN4vllm18Fp8KVCacheDataTypeE0EhLi32ELi128ELi256ELb1ELi1EEvPKT_PKT0_S8_ifPKiSA_SA_iPKfiiiPfSD_PS3_PT2_iSC_SC_.kd
    .uniform_work_group_size: 1
    .uses_dynamic_stack: false
    .vgpr_count:     41
    .vgpr_spill_count: 0
    .wavefront_size: 32
    .workgroup_processor_mode: 1
  - .args:
      - .actual_access:  read_only
        .address_space:  global
        .offset:         0
        .size:           8
        .value_kind:     global_buffer
      - .actual_access:  read_only
        .address_space:  global
        .offset:         8
        .size:           8
        .value_kind:     global_buffer
      - .actual_access:  read_only
        .address_space:  global
        .offset:         16
        .size:           8
        .value_kind:     global_buffer
      - .offset:         24
        .size:           4
        .value_kind:     by_value
      - .offset:         28
        .size:           4
        .value_kind:     by_value
      - .actual_access:  read_only
        .address_space:  global
        .offset:         32
        .size:           8
        .value_kind:     global_buffer
      - .actual_access:  read_only
        .address_space:  global
        .offset:         40
        .size:           8
        .value_kind:     global_buffer
      - .actual_access:  read_only
        .address_space:  global
        .offset:         48
        .size:           8
        .value_kind:     global_buffer
      - .offset:         56
        .size:           4
        .value_kind:     by_value
      - .actual_access:  read_only
        .address_space:  global
        .offset:         64
        .size:           8
        .value_kind:     global_buffer
      - .offset:         72
        .size:           4
        .value_kind:     by_value
      - .offset:         76
        .size:           4
        .value_kind:     by_value
      - .offset:         80
        .size:           4
        .value_kind:     by_value
      - .actual_access:  read_only
        .address_space:  global
        .offset:         88
        .size:           8
        .value_kind:     global_buffer
      - .actual_access:  read_only
        .address_space:  global
        .offset:         96
        .size:           8
        .value_kind:     global_buffer
      - .actual_access:  read_only
        .address_space:  global
        .offset:         104
        .size:           8
        .value_kind:     global_buffer
      - .actual_access:  read_only
        .address_space:  global
        .offset:         112
        .size:           8
        .value_kind:     global_buffer
      - .offset:         120
        .size:           4
        .value_kind:     by_value
      - .address_space:  global
        .offset:         128
        .size:           8
        .value_kind:     global_buffer
      - .address_space:  global
        .offset:         136
        .size:           8
        .value_kind:     global_buffer
      - .offset:         144
        .size:           4
        .value_kind:     hidden_block_count_x
      - .offset:         148
        .size:           4
        .value_kind:     hidden_block_count_y
      - .offset:         152
        .size:           4
        .value_kind:     hidden_block_count_z
      - .offset:         156
        .size:           2
        .value_kind:     hidden_group_size_x
      - .offset:         158
        .size:           2
        .value_kind:     hidden_group_size_y
      - .offset:         160
        .size:           2
        .value_kind:     hidden_group_size_z
      - .offset:         162
        .size:           2
        .value_kind:     hidden_remainder_x
      - .offset:         164
        .size:           2
        .value_kind:     hidden_remainder_y
      - .offset:         166
        .size:           2
        .value_kind:     hidden_remainder_z
      - .offset:         184
        .size:           8
        .value_kind:     hidden_global_offset_x
      - .offset:         192
        .size:           8
        .value_kind:     hidden_global_offset_y
      - .offset:         200
        .size:           8
        .value_kind:     hidden_global_offset_z
      - .offset:         208
        .size:           2
        .value_kind:     hidden_grid_dims
      - .offset:         224
        .size:           8
        .value_kind:     hidden_hostcall_buffer
    .group_segment_fixed_size: 0
    .kernarg_segment_align: 8
    .kernarg_segment_size: 400
    .language:       OpenCL C
    .language_version:
      - 2
      - 0
    .max_flat_workgroup_size: 256
    .name:           _Z38paged_attention_ll4mi_QKV_mfma4_kernelI14__hip_bfloat16S0_LN4vllm18Fp8KVCacheDataTypeE0EhLi32ELi128ELi256ELb1ELi2EEvPKT_PKT0_S8_ifPKiSA_SA_iPKfiiiPfSD_PS3_PT2_iSC_SC_
    .private_segment_fixed_size: 64
    .sgpr_count:     36
    .sgpr_spill_count: 0
    .symbol:         _Z38paged_attention_ll4mi_QKV_mfma4_kernelI14__hip_bfloat16S0_LN4vllm18Fp8KVCacheDataTypeE0EhLi32ELi128ELi256ELb1ELi2EEvPKT_PKT0_S8_ifPKiSA_SA_iPKfiiiPfSD_PS3_PT2_iSC_SC_.kd
    .uniform_work_group_size: 1
    .uses_dynamic_stack: false
    .vgpr_count:     41
    .vgpr_spill_count: 0
    .wavefront_size: 32
    .workgroup_processor_mode: 1
  - .args:
      - .actual_access:  read_only
        .address_space:  global
        .offset:         0
        .size:           8
        .value_kind:     global_buffer
      - .actual_access:  read_only
        .address_space:  global
        .offset:         8
        .size:           8
        .value_kind:     global_buffer
      - .actual_access:  read_only
        .address_space:  global
        .offset:         16
        .size:           8
        .value_kind:     global_buffer
      - .offset:         24
        .size:           4
        .value_kind:     by_value
      - .offset:         28
        .size:           4
        .value_kind:     by_value
      - .actual_access:  read_only
        .address_space:  global
        .offset:         32
        .size:           8
        .value_kind:     global_buffer
      - .actual_access:  read_only
        .address_space:  global
        .offset:         40
        .size:           8
        .value_kind:     global_buffer
      - .actual_access:  read_only
        .address_space:  global
        .offset:         48
        .size:           8
        .value_kind:     global_buffer
      - .offset:         56
        .size:           4
        .value_kind:     by_value
      - .actual_access:  read_only
        .address_space:  global
        .offset:         64
        .size:           8
        .value_kind:     global_buffer
      - .offset:         72
        .size:           4
        .value_kind:     by_value
      - .offset:         76
        .size:           4
        .value_kind:     by_value
      - .offset:         80
        .size:           4
        .value_kind:     by_value
      - .actual_access:  read_only
        .address_space:  global
        .offset:         88
        .size:           8
        .value_kind:     global_buffer
      - .actual_access:  read_only
        .address_space:  global
        .offset:         96
        .size:           8
        .value_kind:     global_buffer
      - .actual_access:  read_only
        .address_space:  global
        .offset:         104
        .size:           8
        .value_kind:     global_buffer
      - .actual_access:  read_only
        .address_space:  global
        .offset:         112
        .size:           8
        .value_kind:     global_buffer
      - .offset:         120
        .size:           4
        .value_kind:     by_value
      - .address_space:  global
        .offset:         128
        .size:           8
        .value_kind:     global_buffer
      - .address_space:  global
        .offset:         136
        .size:           8
        .value_kind:     global_buffer
      - .offset:         144
        .size:           4
        .value_kind:     hidden_block_count_x
      - .offset:         148
        .size:           4
        .value_kind:     hidden_block_count_y
      - .offset:         152
        .size:           4
        .value_kind:     hidden_block_count_z
      - .offset:         156
        .size:           2
        .value_kind:     hidden_group_size_x
      - .offset:         158
        .size:           2
        .value_kind:     hidden_group_size_y
      - .offset:         160
        .size:           2
        .value_kind:     hidden_group_size_z
      - .offset:         162
        .size:           2
        .value_kind:     hidden_remainder_x
      - .offset:         164
        .size:           2
        .value_kind:     hidden_remainder_y
      - .offset:         166
        .size:           2
        .value_kind:     hidden_remainder_z
      - .offset:         184
        .size:           8
        .value_kind:     hidden_global_offset_x
      - .offset:         192
        .size:           8
        .value_kind:     hidden_global_offset_y
      - .offset:         200
        .size:           8
        .value_kind:     hidden_global_offset_z
      - .offset:         208
        .size:           2
        .value_kind:     hidden_grid_dims
      - .offset:         224
        .size:           8
        .value_kind:     hidden_hostcall_buffer
    .group_segment_fixed_size: 0
    .kernarg_segment_align: 8
    .kernarg_segment_size: 400
    .language:       OpenCL C
    .language_version:
      - 2
      - 0
    .max_flat_workgroup_size: 256
    .name:           _Z38paged_attention_ll4mi_QKV_mfma4_kernelI14__hip_bfloat16S0_LN4vllm18Fp8KVCacheDataTypeE0EhLi32ELi128ELi256ELb1ELi3EEvPKT_PKT0_S8_ifPKiSA_SA_iPKfiiiPfSD_PS3_PT2_iSC_SC_
    .private_segment_fixed_size: 64
    .sgpr_count:     36
    .sgpr_spill_count: 0
    .symbol:         _Z38paged_attention_ll4mi_QKV_mfma4_kernelI14__hip_bfloat16S0_LN4vllm18Fp8KVCacheDataTypeE0EhLi32ELi128ELi256ELb1ELi3EEvPKT_PKT0_S8_ifPKiSA_SA_iPKfiiiPfSD_PS3_PT2_iSC_SC_.kd
    .uniform_work_group_size: 1
    .uses_dynamic_stack: false
    .vgpr_count:     41
    .vgpr_spill_count: 0
    .wavefront_size: 32
    .workgroup_processor_mode: 1
  - .args:
      - .actual_access:  read_only
        .address_space:  global
        .offset:         0
        .size:           8
        .value_kind:     global_buffer
      - .actual_access:  read_only
        .address_space:  global
        .offset:         8
        .size:           8
        .value_kind:     global_buffer
      - .actual_access:  read_only
        .address_space:  global
        .offset:         16
        .size:           8
        .value_kind:     global_buffer
      - .offset:         24
        .size:           4
        .value_kind:     by_value
      - .offset:         28
        .size:           4
        .value_kind:     by_value
      - .actual_access:  read_only
        .address_space:  global
        .offset:         32
        .size:           8
        .value_kind:     global_buffer
      - .actual_access:  read_only
        .address_space:  global
        .offset:         40
        .size:           8
        .value_kind:     global_buffer
      - .actual_access:  read_only
        .address_space:  global
        .offset:         48
        .size:           8
        .value_kind:     global_buffer
      - .offset:         56
        .size:           4
        .value_kind:     by_value
      - .actual_access:  read_only
        .address_space:  global
        .offset:         64
        .size:           8
        .value_kind:     global_buffer
      - .offset:         72
        .size:           4
        .value_kind:     by_value
      - .offset:         76
        .size:           4
        .value_kind:     by_value
      - .offset:         80
        .size:           4
        .value_kind:     by_value
      - .actual_access:  read_only
        .address_space:  global
        .offset:         88
        .size:           8
        .value_kind:     global_buffer
      - .actual_access:  read_only
        .address_space:  global
        .offset:         96
        .size:           8
        .value_kind:     global_buffer
      - .actual_access:  read_only
        .address_space:  global
        .offset:         104
        .size:           8
        .value_kind:     global_buffer
      - .actual_access:  read_only
        .address_space:  global
        .offset:         112
        .size:           8
        .value_kind:     global_buffer
      - .offset:         120
        .size:           4
        .value_kind:     by_value
      - .address_space:  global
        .offset:         128
        .size:           8
        .value_kind:     global_buffer
      - .address_space:  global
        .offset:         136
        .size:           8
        .value_kind:     global_buffer
      - .offset:         144
        .size:           4
        .value_kind:     hidden_block_count_x
      - .offset:         148
        .size:           4
        .value_kind:     hidden_block_count_y
      - .offset:         152
        .size:           4
        .value_kind:     hidden_block_count_z
      - .offset:         156
        .size:           2
        .value_kind:     hidden_group_size_x
      - .offset:         158
        .size:           2
        .value_kind:     hidden_group_size_y
      - .offset:         160
        .size:           2
        .value_kind:     hidden_group_size_z
      - .offset:         162
        .size:           2
        .value_kind:     hidden_remainder_x
      - .offset:         164
        .size:           2
        .value_kind:     hidden_remainder_y
      - .offset:         166
        .size:           2
        .value_kind:     hidden_remainder_z
      - .offset:         184
        .size:           8
        .value_kind:     hidden_global_offset_x
      - .offset:         192
        .size:           8
        .value_kind:     hidden_global_offset_y
      - .offset:         200
        .size:           8
        .value_kind:     hidden_global_offset_z
      - .offset:         208
        .size:           2
        .value_kind:     hidden_grid_dims
      - .offset:         224
        .size:           8
        .value_kind:     hidden_hostcall_buffer
    .group_segment_fixed_size: 0
    .kernarg_segment_align: 8
    .kernarg_segment_size: 400
    .language:       OpenCL C
    .language_version:
      - 2
      - 0
    .max_flat_workgroup_size: 256
    .name:           _Z38paged_attention_ll4mi_QKV_mfma4_kernelI14__hip_bfloat16S0_LN4vllm18Fp8KVCacheDataTypeE0EhLi32ELi128ELi256ELb1ELi4EEvPKT_PKT0_S8_ifPKiSA_SA_iPKfiiiPfSD_PS3_PT2_iSC_SC_
    .private_segment_fixed_size: 64
    .sgpr_count:     36
    .sgpr_spill_count: 0
    .symbol:         _Z38paged_attention_ll4mi_QKV_mfma4_kernelI14__hip_bfloat16S0_LN4vllm18Fp8KVCacheDataTypeE0EhLi32ELi128ELi256ELb1ELi4EEvPKT_PKT0_S8_ifPKiSA_SA_iPKfiiiPfSD_PS3_PT2_iSC_SC_.kd
    .uniform_work_group_size: 1
    .uses_dynamic_stack: false
    .vgpr_count:     41
    .vgpr_spill_count: 0
    .wavefront_size: 32
    .workgroup_processor_mode: 1
  - .args:
      - .actual_access:  read_only
        .address_space:  global
        .offset:         0
        .size:           8
        .value_kind:     global_buffer
      - .actual_access:  read_only
        .address_space:  global
        .offset:         8
        .size:           8
        .value_kind:     global_buffer
      - .actual_access:  read_only
        .address_space:  global
        .offset:         16
        .size:           8
        .value_kind:     global_buffer
      - .offset:         24
        .size:           4
        .value_kind:     by_value
      - .offset:         28
        .size:           4
        .value_kind:     by_value
      - .actual_access:  read_only
        .address_space:  global
        .offset:         32
        .size:           8
        .value_kind:     global_buffer
      - .actual_access:  read_only
        .address_space:  global
        .offset:         40
        .size:           8
        .value_kind:     global_buffer
      - .actual_access:  read_only
        .address_space:  global
        .offset:         48
        .size:           8
        .value_kind:     global_buffer
      - .offset:         56
        .size:           4
        .value_kind:     by_value
      - .actual_access:  read_only
        .address_space:  global
        .offset:         64
        .size:           8
        .value_kind:     global_buffer
      - .offset:         72
        .size:           4
        .value_kind:     by_value
      - .offset:         76
        .size:           4
        .value_kind:     by_value
      - .offset:         80
        .size:           4
        .value_kind:     by_value
      - .actual_access:  write_only
        .address_space:  global
        .offset:         88
        .size:           8
        .value_kind:     global_buffer
      - .actual_access:  write_only
        .address_space:  global
        .offset:         96
        .size:           8
        .value_kind:     global_buffer
      - .actual_access:  write_only
        .address_space:  global
        .offset:         104
        .size:           8
        .value_kind:     global_buffer
      - .actual_access:  read_only
        .address_space:  global
        .offset:         112
        .size:           8
        .value_kind:     global_buffer
      - .offset:         120
        .size:           4
        .value_kind:     by_value
      - .address_space:  global
        .offset:         128
        .size:           8
        .value_kind:     global_buffer
      - .address_space:  global
        .offset:         136
        .size:           8
        .value_kind:     global_buffer
      - .offset:         144
        .size:           4
        .value_kind:     hidden_block_count_x
      - .offset:         148
        .size:           4
        .value_kind:     hidden_block_count_y
      - .offset:         152
        .size:           4
        .value_kind:     hidden_block_count_z
      - .offset:         156
        .size:           2
        .value_kind:     hidden_group_size_x
      - .offset:         158
        .size:           2
        .value_kind:     hidden_group_size_y
      - .offset:         160
        .size:           2
        .value_kind:     hidden_group_size_z
      - .offset:         162
        .size:           2
        .value_kind:     hidden_remainder_x
      - .offset:         164
        .size:           2
        .value_kind:     hidden_remainder_y
      - .offset:         166
        .size:           2
        .value_kind:     hidden_remainder_z
      - .offset:         184
        .size:           8
        .value_kind:     hidden_global_offset_x
      - .offset:         192
        .size:           8
        .value_kind:     hidden_global_offset_y
      - .offset:         200
        .size:           8
        .value_kind:     hidden_global_offset_z
      - .offset:         208
        .size:           2
        .value_kind:     hidden_grid_dims
    .group_segment_fixed_size: 17472
    .kernarg_segment_align: 8
    .kernarg_segment_size: 400
    .language:       OpenCL C
    .language_version:
      - 2
      - 0
    .max_flat_workgroup_size: 256
    .name:           _Z39paged_attention_ll4mi_QKV_mfma16_kernelI14__hip_bfloat16S0_LN4vllm18Fp8KVCacheDataTypeE0EhLi32ELi128ELi256ELb1ELi5EL8MFMAType0EEvPKT_PKT0_S9_ifPKiSB_SB_iPKfiiiPfSE_PS4_PT2_iSD_SD_
    .private_segment_fixed_size: 0
    .sgpr_count:     39
    .sgpr_spill_count: 0
    .symbol:         _Z39paged_attention_ll4mi_QKV_mfma16_kernelI14__hip_bfloat16S0_LN4vllm18Fp8KVCacheDataTypeE0EhLi32ELi128ELi256ELb1ELi5EL8MFMAType0EEvPKT_PKT0_S9_ifPKiSB_SB_iPKfiiiPfSE_PS4_PT2_iSD_SD_.kd
    .uniform_work_group_size: 1
    .uses_dynamic_stack: false
    .vgpr_count:     157
    .vgpr_spill_count: 0
    .wavefront_size: 32
    .workgroup_processor_mode: 1
  - .args:
      - .actual_access:  read_only
        .address_space:  global
        .offset:         0
        .size:           8
        .value_kind:     global_buffer
      - .actual_access:  read_only
        .address_space:  global
        .offset:         8
        .size:           8
        .value_kind:     global_buffer
      - .actual_access:  read_only
        .address_space:  global
        .offset:         16
        .size:           8
        .value_kind:     global_buffer
      - .offset:         24
        .size:           4
        .value_kind:     by_value
      - .offset:         28
        .size:           4
        .value_kind:     by_value
      - .actual_access:  read_only
        .address_space:  global
        .offset:         32
        .size:           8
        .value_kind:     global_buffer
      - .actual_access:  read_only
        .address_space:  global
        .offset:         40
        .size:           8
        .value_kind:     global_buffer
      - .actual_access:  read_only
        .address_space:  global
        .offset:         48
        .size:           8
        .value_kind:     global_buffer
      - .offset:         56
        .size:           4
        .value_kind:     by_value
      - .actual_access:  read_only
        .address_space:  global
        .offset:         64
        .size:           8
        .value_kind:     global_buffer
      - .offset:         72
        .size:           4
        .value_kind:     by_value
      - .offset:         76
        .size:           4
        .value_kind:     by_value
      - .offset:         80
        .size:           4
        .value_kind:     by_value
      - .actual_access:  write_only
        .address_space:  global
        .offset:         88
        .size:           8
        .value_kind:     global_buffer
      - .actual_access:  write_only
        .address_space:  global
        .offset:         96
        .size:           8
        .value_kind:     global_buffer
      - .actual_access:  write_only
        .address_space:  global
        .offset:         104
        .size:           8
        .value_kind:     global_buffer
      - .actual_access:  read_only
        .address_space:  global
        .offset:         112
        .size:           8
        .value_kind:     global_buffer
      - .offset:         120
        .size:           4
        .value_kind:     by_value
      - .address_space:  global
        .offset:         128
        .size:           8
        .value_kind:     global_buffer
      - .address_space:  global
        .offset:         136
        .size:           8
        .value_kind:     global_buffer
      - .offset:         144
        .size:           4
        .value_kind:     hidden_block_count_x
      - .offset:         148
        .size:           4
        .value_kind:     hidden_block_count_y
      - .offset:         152
        .size:           4
        .value_kind:     hidden_block_count_z
      - .offset:         156
        .size:           2
        .value_kind:     hidden_group_size_x
      - .offset:         158
        .size:           2
        .value_kind:     hidden_group_size_y
      - .offset:         160
        .size:           2
        .value_kind:     hidden_group_size_z
      - .offset:         162
        .size:           2
        .value_kind:     hidden_remainder_x
      - .offset:         164
        .size:           2
        .value_kind:     hidden_remainder_y
      - .offset:         166
        .size:           2
        .value_kind:     hidden_remainder_z
      - .offset:         184
        .size:           8
        .value_kind:     hidden_global_offset_x
      - .offset:         192
        .size:           8
        .value_kind:     hidden_global_offset_y
      - .offset:         200
        .size:           8
        .value_kind:     hidden_global_offset_z
      - .offset:         208
        .size:           2
        .value_kind:     hidden_grid_dims
    .group_segment_fixed_size: 17472
    .kernarg_segment_align: 8
    .kernarg_segment_size: 400
    .language:       OpenCL C
    .language_version:
      - 2
      - 0
    .max_flat_workgroup_size: 256
    .name:           _Z39paged_attention_ll4mi_QKV_mfma16_kernelI14__hip_bfloat16S0_LN4vllm18Fp8KVCacheDataTypeE0EhLi32ELi128ELi256ELb1ELi6EL8MFMAType0EEvPKT_PKT0_S9_ifPKiSB_SB_iPKfiiiPfSE_PS4_PT2_iSD_SD_
    .private_segment_fixed_size: 0
    .sgpr_count:     40
    .sgpr_spill_count: 0
    .symbol:         _Z39paged_attention_ll4mi_QKV_mfma16_kernelI14__hip_bfloat16S0_LN4vllm18Fp8KVCacheDataTypeE0EhLi32ELi128ELi256ELb1ELi6EL8MFMAType0EEvPKT_PKT0_S9_ifPKiSB_SB_iPKfiiiPfSE_PS4_PT2_iSD_SD_.kd
    .uniform_work_group_size: 1
    .uses_dynamic_stack: false
    .vgpr_count:     157
    .vgpr_spill_count: 0
    .wavefront_size: 32
    .workgroup_processor_mode: 1
  - .args:
      - .actual_access:  read_only
        .address_space:  global
        .offset:         0
        .size:           8
        .value_kind:     global_buffer
      - .actual_access:  read_only
        .address_space:  global
        .offset:         8
        .size:           8
        .value_kind:     global_buffer
      - .actual_access:  read_only
        .address_space:  global
        .offset:         16
        .size:           8
        .value_kind:     global_buffer
      - .offset:         24
        .size:           4
        .value_kind:     by_value
      - .offset:         28
        .size:           4
        .value_kind:     by_value
      - .actual_access:  read_only
        .address_space:  global
        .offset:         32
        .size:           8
        .value_kind:     global_buffer
      - .actual_access:  read_only
        .address_space:  global
        .offset:         40
        .size:           8
        .value_kind:     global_buffer
      - .actual_access:  read_only
        .address_space:  global
        .offset:         48
        .size:           8
        .value_kind:     global_buffer
      - .offset:         56
        .size:           4
        .value_kind:     by_value
      - .actual_access:  read_only
        .address_space:  global
        .offset:         64
        .size:           8
        .value_kind:     global_buffer
      - .offset:         72
        .size:           4
        .value_kind:     by_value
      - .offset:         76
        .size:           4
        .value_kind:     by_value
      - .offset:         80
        .size:           4
        .value_kind:     by_value
      - .actual_access:  write_only
        .address_space:  global
        .offset:         88
        .size:           8
        .value_kind:     global_buffer
      - .actual_access:  write_only
        .address_space:  global
        .offset:         96
        .size:           8
        .value_kind:     global_buffer
      - .actual_access:  write_only
        .address_space:  global
        .offset:         104
        .size:           8
        .value_kind:     global_buffer
      - .actual_access:  read_only
        .address_space:  global
        .offset:         112
        .size:           8
        .value_kind:     global_buffer
      - .offset:         120
        .size:           4
        .value_kind:     by_value
      - .address_space:  global
        .offset:         128
        .size:           8
        .value_kind:     global_buffer
      - .address_space:  global
        .offset:         136
        .size:           8
        .value_kind:     global_buffer
      - .offset:         144
        .size:           4
        .value_kind:     hidden_block_count_x
      - .offset:         148
        .size:           4
        .value_kind:     hidden_block_count_y
      - .offset:         152
        .size:           4
        .value_kind:     hidden_block_count_z
      - .offset:         156
        .size:           2
        .value_kind:     hidden_group_size_x
      - .offset:         158
        .size:           2
        .value_kind:     hidden_group_size_y
      - .offset:         160
        .size:           2
        .value_kind:     hidden_group_size_z
      - .offset:         162
        .size:           2
        .value_kind:     hidden_remainder_x
      - .offset:         164
        .size:           2
        .value_kind:     hidden_remainder_y
      - .offset:         166
        .size:           2
        .value_kind:     hidden_remainder_z
      - .offset:         184
        .size:           8
        .value_kind:     hidden_global_offset_x
      - .offset:         192
        .size:           8
        .value_kind:     hidden_global_offset_y
      - .offset:         200
        .size:           8
        .value_kind:     hidden_global_offset_z
      - .offset:         208
        .size:           2
        .value_kind:     hidden_grid_dims
    .group_segment_fixed_size: 17472
    .kernarg_segment_align: 8
    .kernarg_segment_size: 400
    .language:       OpenCL C
    .language_version:
      - 2
      - 0
    .max_flat_workgroup_size: 256
    .name:           _Z39paged_attention_ll4mi_QKV_mfma16_kernelI14__hip_bfloat16S0_LN4vllm18Fp8KVCacheDataTypeE0EhLi32ELi128ELi256ELb1ELi7EL8MFMAType0EEvPKT_PKT0_S9_ifPKiSB_SB_iPKfiiiPfSE_PS4_PT2_iSD_SD_
    .private_segment_fixed_size: 0
    .sgpr_count:     39
    .sgpr_spill_count: 0
    .symbol:         _Z39paged_attention_ll4mi_QKV_mfma16_kernelI14__hip_bfloat16S0_LN4vllm18Fp8KVCacheDataTypeE0EhLi32ELi128ELi256ELb1ELi7EL8MFMAType0EEvPKT_PKT0_S9_ifPKiSB_SB_iPKfiiiPfSE_PS4_PT2_iSD_SD_.kd
    .uniform_work_group_size: 1
    .uses_dynamic_stack: false
    .vgpr_count:     157
    .vgpr_spill_count: 0
    .wavefront_size: 32
    .workgroup_processor_mode: 1
  - .args:
      - .actual_access:  read_only
        .address_space:  global
        .offset:         0
        .size:           8
        .value_kind:     global_buffer
      - .actual_access:  read_only
        .address_space:  global
        .offset:         8
        .size:           8
        .value_kind:     global_buffer
      - .actual_access:  read_only
        .address_space:  global
        .offset:         16
        .size:           8
        .value_kind:     global_buffer
      - .offset:         24
        .size:           4
        .value_kind:     by_value
      - .offset:         28
        .size:           4
        .value_kind:     by_value
      - .actual_access:  read_only
        .address_space:  global
        .offset:         32
        .size:           8
        .value_kind:     global_buffer
      - .actual_access:  read_only
        .address_space:  global
        .offset:         40
        .size:           8
        .value_kind:     global_buffer
      - .actual_access:  read_only
        .address_space:  global
        .offset:         48
        .size:           8
        .value_kind:     global_buffer
      - .offset:         56
        .size:           4
        .value_kind:     by_value
      - .actual_access:  read_only
        .address_space:  global
        .offset:         64
        .size:           8
        .value_kind:     global_buffer
      - .offset:         72
        .size:           4
        .value_kind:     by_value
      - .offset:         76
        .size:           4
        .value_kind:     by_value
      - .offset:         80
        .size:           4
        .value_kind:     by_value
      - .actual_access:  write_only
        .address_space:  global
        .offset:         88
        .size:           8
        .value_kind:     global_buffer
      - .actual_access:  write_only
        .address_space:  global
        .offset:         96
        .size:           8
        .value_kind:     global_buffer
      - .actual_access:  write_only
        .address_space:  global
        .offset:         104
        .size:           8
        .value_kind:     global_buffer
      - .actual_access:  read_only
        .address_space:  global
        .offset:         112
        .size:           8
        .value_kind:     global_buffer
      - .offset:         120
        .size:           4
        .value_kind:     by_value
      - .address_space:  global
        .offset:         128
        .size:           8
        .value_kind:     global_buffer
      - .address_space:  global
        .offset:         136
        .size:           8
        .value_kind:     global_buffer
      - .offset:         144
        .size:           4
        .value_kind:     hidden_block_count_x
      - .offset:         148
        .size:           4
        .value_kind:     hidden_block_count_y
      - .offset:         152
        .size:           4
        .value_kind:     hidden_block_count_z
      - .offset:         156
        .size:           2
        .value_kind:     hidden_group_size_x
      - .offset:         158
        .size:           2
        .value_kind:     hidden_group_size_y
      - .offset:         160
        .size:           2
        .value_kind:     hidden_group_size_z
      - .offset:         162
        .size:           2
        .value_kind:     hidden_remainder_x
      - .offset:         164
        .size:           2
        .value_kind:     hidden_remainder_y
      - .offset:         166
        .size:           2
        .value_kind:     hidden_remainder_z
      - .offset:         184
        .size:           8
        .value_kind:     hidden_global_offset_x
      - .offset:         192
        .size:           8
        .value_kind:     hidden_global_offset_y
      - .offset:         200
        .size:           8
        .value_kind:     hidden_global_offset_z
      - .offset:         208
        .size:           2
        .value_kind:     hidden_grid_dims
    .group_segment_fixed_size: 17472
    .kernarg_segment_align: 8
    .kernarg_segment_size: 400
    .language:       OpenCL C
    .language_version:
      - 2
      - 0
    .max_flat_workgroup_size: 256
    .name:           _Z39paged_attention_ll4mi_QKV_mfma16_kernelI14__hip_bfloat16S0_LN4vllm18Fp8KVCacheDataTypeE0EhLi32ELi128ELi256ELb1ELi8EL8MFMAType0EEvPKT_PKT0_S9_ifPKiSB_SB_iPKfiiiPfSE_PS4_PT2_iSD_SD_
    .private_segment_fixed_size: 0
    .sgpr_count:     42
    .sgpr_spill_count: 0
    .symbol:         _Z39paged_attention_ll4mi_QKV_mfma16_kernelI14__hip_bfloat16S0_LN4vllm18Fp8KVCacheDataTypeE0EhLi32ELi128ELi256ELb1ELi8EL8MFMAType0EEvPKT_PKT0_S9_ifPKiSB_SB_iPKfiiiPfSE_PS4_PT2_iSD_SD_.kd
    .uniform_work_group_size: 1
    .uses_dynamic_stack: false
    .vgpr_count:     157
    .vgpr_spill_count: 0
    .wavefront_size: 32
    .workgroup_processor_mode: 1
  - .args:
      - .actual_access:  read_only
        .address_space:  global
        .offset:         0
        .size:           8
        .value_kind:     global_buffer
      - .actual_access:  read_only
        .address_space:  global
        .offset:         8
        .size:           8
        .value_kind:     global_buffer
      - .actual_access:  read_only
        .address_space:  global
        .offset:         16
        .size:           8
        .value_kind:     global_buffer
      - .offset:         24
        .size:           4
        .value_kind:     by_value
      - .offset:         28
        .size:           4
        .value_kind:     by_value
      - .actual_access:  read_only
        .address_space:  global
        .offset:         32
        .size:           8
        .value_kind:     global_buffer
      - .actual_access:  read_only
        .address_space:  global
        .offset:         40
        .size:           8
        .value_kind:     global_buffer
      - .actual_access:  read_only
        .address_space:  global
        .offset:         48
        .size:           8
        .value_kind:     global_buffer
      - .offset:         56
        .size:           4
        .value_kind:     by_value
      - .actual_access:  read_only
        .address_space:  global
        .offset:         64
        .size:           8
        .value_kind:     global_buffer
      - .offset:         72
        .size:           4
        .value_kind:     by_value
      - .offset:         76
        .size:           4
        .value_kind:     by_value
      - .offset:         80
        .size:           4
        .value_kind:     by_value
      - .actual_access:  write_only
        .address_space:  global
        .offset:         88
        .size:           8
        .value_kind:     global_buffer
      - .actual_access:  write_only
        .address_space:  global
        .offset:         96
        .size:           8
        .value_kind:     global_buffer
      - .actual_access:  write_only
        .address_space:  global
        .offset:         104
        .size:           8
        .value_kind:     global_buffer
      - .actual_access:  read_only
        .address_space:  global
        .offset:         112
        .size:           8
        .value_kind:     global_buffer
      - .offset:         120
        .size:           4
        .value_kind:     by_value
      - .address_space:  global
        .offset:         128
        .size:           8
        .value_kind:     global_buffer
      - .address_space:  global
        .offset:         136
        .size:           8
        .value_kind:     global_buffer
      - .offset:         144
        .size:           4
        .value_kind:     hidden_block_count_x
      - .offset:         148
        .size:           4
        .value_kind:     hidden_block_count_y
      - .offset:         152
        .size:           4
        .value_kind:     hidden_block_count_z
      - .offset:         156
        .size:           2
        .value_kind:     hidden_group_size_x
      - .offset:         158
        .size:           2
        .value_kind:     hidden_group_size_y
      - .offset:         160
        .size:           2
        .value_kind:     hidden_group_size_z
      - .offset:         162
        .size:           2
        .value_kind:     hidden_remainder_x
      - .offset:         164
        .size:           2
        .value_kind:     hidden_remainder_y
      - .offset:         166
        .size:           2
        .value_kind:     hidden_remainder_z
      - .offset:         184
        .size:           8
        .value_kind:     hidden_global_offset_x
      - .offset:         192
        .size:           8
        .value_kind:     hidden_global_offset_y
      - .offset:         200
        .size:           8
        .value_kind:     hidden_global_offset_z
      - .offset:         208
        .size:           2
        .value_kind:     hidden_grid_dims
    .group_segment_fixed_size: 17472
    .kernarg_segment_align: 8
    .kernarg_segment_size: 400
    .language:       OpenCL C
    .language_version:
      - 2
      - 0
    .max_flat_workgroup_size: 256
    .name:           _Z39paged_attention_ll4mi_QKV_mfma16_kernelI14__hip_bfloat16S0_LN4vllm18Fp8KVCacheDataTypeE0EhLi32ELi128ELi256ELb1ELi9EL8MFMAType0EEvPKT_PKT0_S9_ifPKiSB_SB_iPKfiiiPfSE_PS4_PT2_iSD_SD_
    .private_segment_fixed_size: 0
    .sgpr_count:     40
    .sgpr_spill_count: 0
    .symbol:         _Z39paged_attention_ll4mi_QKV_mfma16_kernelI14__hip_bfloat16S0_LN4vllm18Fp8KVCacheDataTypeE0EhLi32ELi128ELi256ELb1ELi9EL8MFMAType0EEvPKT_PKT0_S9_ifPKiSB_SB_iPKfiiiPfSE_PS4_PT2_iSD_SD_.kd
    .uniform_work_group_size: 1
    .uses_dynamic_stack: false
    .vgpr_count:     157
    .vgpr_spill_count: 0
    .wavefront_size: 32
    .workgroup_processor_mode: 1
  - .args:
      - .actual_access:  read_only
        .address_space:  global
        .offset:         0
        .size:           8
        .value_kind:     global_buffer
      - .actual_access:  read_only
        .address_space:  global
        .offset:         8
        .size:           8
        .value_kind:     global_buffer
      - .actual_access:  read_only
        .address_space:  global
        .offset:         16
        .size:           8
        .value_kind:     global_buffer
      - .offset:         24
        .size:           4
        .value_kind:     by_value
      - .offset:         28
        .size:           4
        .value_kind:     by_value
      - .actual_access:  read_only
        .address_space:  global
        .offset:         32
        .size:           8
        .value_kind:     global_buffer
      - .actual_access:  read_only
        .address_space:  global
        .offset:         40
        .size:           8
        .value_kind:     global_buffer
      - .actual_access:  read_only
        .address_space:  global
        .offset:         48
        .size:           8
        .value_kind:     global_buffer
      - .offset:         56
        .size:           4
        .value_kind:     by_value
      - .actual_access:  read_only
        .address_space:  global
        .offset:         64
        .size:           8
        .value_kind:     global_buffer
      - .offset:         72
        .size:           4
        .value_kind:     by_value
      - .offset:         76
        .size:           4
        .value_kind:     by_value
      - .offset:         80
        .size:           4
        .value_kind:     by_value
      - .actual_access:  write_only
        .address_space:  global
        .offset:         88
        .size:           8
        .value_kind:     global_buffer
      - .actual_access:  write_only
        .address_space:  global
        .offset:         96
        .size:           8
        .value_kind:     global_buffer
      - .actual_access:  write_only
        .address_space:  global
        .offset:         104
        .size:           8
        .value_kind:     global_buffer
      - .actual_access:  read_only
        .address_space:  global
        .offset:         112
        .size:           8
        .value_kind:     global_buffer
      - .offset:         120
        .size:           4
        .value_kind:     by_value
      - .address_space:  global
        .offset:         128
        .size:           8
        .value_kind:     global_buffer
      - .address_space:  global
        .offset:         136
        .size:           8
        .value_kind:     global_buffer
      - .offset:         144
        .size:           4
        .value_kind:     hidden_block_count_x
      - .offset:         148
        .size:           4
        .value_kind:     hidden_block_count_y
      - .offset:         152
        .size:           4
        .value_kind:     hidden_block_count_z
      - .offset:         156
        .size:           2
        .value_kind:     hidden_group_size_x
      - .offset:         158
        .size:           2
        .value_kind:     hidden_group_size_y
      - .offset:         160
        .size:           2
        .value_kind:     hidden_group_size_z
      - .offset:         162
        .size:           2
        .value_kind:     hidden_remainder_x
      - .offset:         164
        .size:           2
        .value_kind:     hidden_remainder_y
      - .offset:         166
        .size:           2
        .value_kind:     hidden_remainder_z
      - .offset:         184
        .size:           8
        .value_kind:     hidden_global_offset_x
      - .offset:         192
        .size:           8
        .value_kind:     hidden_global_offset_y
      - .offset:         200
        .size:           8
        .value_kind:     hidden_global_offset_z
      - .offset:         208
        .size:           2
        .value_kind:     hidden_grid_dims
    .group_segment_fixed_size: 17472
    .kernarg_segment_align: 8
    .kernarg_segment_size: 400
    .language:       OpenCL C
    .language_version:
      - 2
      - 0
    .max_flat_workgroup_size: 256
    .name:           _Z39paged_attention_ll4mi_QKV_mfma16_kernelI14__hip_bfloat16S0_LN4vllm18Fp8KVCacheDataTypeE0EhLi32ELi128ELi256ELb1ELi10EL8MFMAType0EEvPKT_PKT0_S9_ifPKiSB_SB_iPKfiiiPfSE_PS4_PT2_iSD_SD_
    .private_segment_fixed_size: 0
    .sgpr_count:     42
    .sgpr_spill_count: 0
    .symbol:         _Z39paged_attention_ll4mi_QKV_mfma16_kernelI14__hip_bfloat16S0_LN4vllm18Fp8KVCacheDataTypeE0EhLi32ELi128ELi256ELb1ELi10EL8MFMAType0EEvPKT_PKT0_S9_ifPKiSB_SB_iPKfiiiPfSE_PS4_PT2_iSD_SD_.kd
    .uniform_work_group_size: 1
    .uses_dynamic_stack: false
    .vgpr_count:     157
    .vgpr_spill_count: 0
    .wavefront_size: 32
    .workgroup_processor_mode: 1
  - .args:
      - .actual_access:  read_only
        .address_space:  global
        .offset:         0
        .size:           8
        .value_kind:     global_buffer
      - .actual_access:  read_only
        .address_space:  global
        .offset:         8
        .size:           8
        .value_kind:     global_buffer
      - .actual_access:  read_only
        .address_space:  global
        .offset:         16
        .size:           8
        .value_kind:     global_buffer
      - .offset:         24
        .size:           4
        .value_kind:     by_value
      - .offset:         28
        .size:           4
        .value_kind:     by_value
      - .actual_access:  read_only
        .address_space:  global
        .offset:         32
        .size:           8
        .value_kind:     global_buffer
      - .actual_access:  read_only
        .address_space:  global
        .offset:         40
        .size:           8
        .value_kind:     global_buffer
      - .actual_access:  read_only
        .address_space:  global
        .offset:         48
        .size:           8
        .value_kind:     global_buffer
      - .offset:         56
        .size:           4
        .value_kind:     by_value
      - .actual_access:  read_only
        .address_space:  global
        .offset:         64
        .size:           8
        .value_kind:     global_buffer
      - .offset:         72
        .size:           4
        .value_kind:     by_value
      - .offset:         76
        .size:           4
        .value_kind:     by_value
      - .offset:         80
        .size:           4
        .value_kind:     by_value
      - .actual_access:  write_only
        .address_space:  global
        .offset:         88
        .size:           8
        .value_kind:     global_buffer
      - .actual_access:  write_only
        .address_space:  global
        .offset:         96
        .size:           8
        .value_kind:     global_buffer
      - .actual_access:  write_only
        .address_space:  global
        .offset:         104
        .size:           8
        .value_kind:     global_buffer
      - .actual_access:  read_only
        .address_space:  global
        .offset:         112
        .size:           8
        .value_kind:     global_buffer
      - .offset:         120
        .size:           4
        .value_kind:     by_value
      - .address_space:  global
        .offset:         128
        .size:           8
        .value_kind:     global_buffer
      - .address_space:  global
        .offset:         136
        .size:           8
        .value_kind:     global_buffer
      - .offset:         144
        .size:           4
        .value_kind:     hidden_block_count_x
      - .offset:         148
        .size:           4
        .value_kind:     hidden_block_count_y
      - .offset:         152
        .size:           4
        .value_kind:     hidden_block_count_z
      - .offset:         156
        .size:           2
        .value_kind:     hidden_group_size_x
      - .offset:         158
        .size:           2
        .value_kind:     hidden_group_size_y
      - .offset:         160
        .size:           2
        .value_kind:     hidden_group_size_z
      - .offset:         162
        .size:           2
        .value_kind:     hidden_remainder_x
      - .offset:         164
        .size:           2
        .value_kind:     hidden_remainder_y
      - .offset:         166
        .size:           2
        .value_kind:     hidden_remainder_z
      - .offset:         184
        .size:           8
        .value_kind:     hidden_global_offset_x
      - .offset:         192
        .size:           8
        .value_kind:     hidden_global_offset_y
      - .offset:         200
        .size:           8
        .value_kind:     hidden_global_offset_z
      - .offset:         208
        .size:           2
        .value_kind:     hidden_grid_dims
    .group_segment_fixed_size: 17472
    .kernarg_segment_align: 8
    .kernarg_segment_size: 400
    .language:       OpenCL C
    .language_version:
      - 2
      - 0
    .max_flat_workgroup_size: 256
    .name:           _Z39paged_attention_ll4mi_QKV_mfma16_kernelI14__hip_bfloat16S0_LN4vllm18Fp8KVCacheDataTypeE0EhLi32ELi128ELi256ELb1ELi11EL8MFMAType0EEvPKT_PKT0_S9_ifPKiSB_SB_iPKfiiiPfSE_PS4_PT2_iSD_SD_
    .private_segment_fixed_size: 0
    .sgpr_count:     40
    .sgpr_spill_count: 0
    .symbol:         _Z39paged_attention_ll4mi_QKV_mfma16_kernelI14__hip_bfloat16S0_LN4vllm18Fp8KVCacheDataTypeE0EhLi32ELi128ELi256ELb1ELi11EL8MFMAType0EEvPKT_PKT0_S9_ifPKiSB_SB_iPKfiiiPfSE_PS4_PT2_iSD_SD_.kd
    .uniform_work_group_size: 1
    .uses_dynamic_stack: false
    .vgpr_count:     157
    .vgpr_spill_count: 0
    .wavefront_size: 32
    .workgroup_processor_mode: 1
  - .args:
      - .actual_access:  read_only
        .address_space:  global
        .offset:         0
        .size:           8
        .value_kind:     global_buffer
      - .actual_access:  read_only
        .address_space:  global
        .offset:         8
        .size:           8
        .value_kind:     global_buffer
      - .actual_access:  read_only
        .address_space:  global
        .offset:         16
        .size:           8
        .value_kind:     global_buffer
      - .offset:         24
        .size:           4
        .value_kind:     by_value
      - .offset:         28
        .size:           4
        .value_kind:     by_value
      - .actual_access:  read_only
        .address_space:  global
        .offset:         32
        .size:           8
        .value_kind:     global_buffer
      - .actual_access:  read_only
        .address_space:  global
        .offset:         40
        .size:           8
        .value_kind:     global_buffer
      - .actual_access:  read_only
        .address_space:  global
        .offset:         48
        .size:           8
        .value_kind:     global_buffer
      - .offset:         56
        .size:           4
        .value_kind:     by_value
      - .actual_access:  read_only
        .address_space:  global
        .offset:         64
        .size:           8
        .value_kind:     global_buffer
      - .offset:         72
        .size:           4
        .value_kind:     by_value
      - .offset:         76
        .size:           4
        .value_kind:     by_value
      - .offset:         80
        .size:           4
        .value_kind:     by_value
      - .actual_access:  write_only
        .address_space:  global
        .offset:         88
        .size:           8
        .value_kind:     global_buffer
      - .actual_access:  write_only
        .address_space:  global
        .offset:         96
        .size:           8
        .value_kind:     global_buffer
      - .actual_access:  write_only
        .address_space:  global
        .offset:         104
        .size:           8
        .value_kind:     global_buffer
      - .actual_access:  read_only
        .address_space:  global
        .offset:         112
        .size:           8
        .value_kind:     global_buffer
      - .offset:         120
        .size:           4
        .value_kind:     by_value
      - .address_space:  global
        .offset:         128
        .size:           8
        .value_kind:     global_buffer
      - .address_space:  global
        .offset:         136
        .size:           8
        .value_kind:     global_buffer
      - .offset:         144
        .size:           4
        .value_kind:     hidden_block_count_x
      - .offset:         148
        .size:           4
        .value_kind:     hidden_block_count_y
      - .offset:         152
        .size:           4
        .value_kind:     hidden_block_count_z
      - .offset:         156
        .size:           2
        .value_kind:     hidden_group_size_x
      - .offset:         158
        .size:           2
        .value_kind:     hidden_group_size_y
      - .offset:         160
        .size:           2
        .value_kind:     hidden_group_size_z
      - .offset:         162
        .size:           2
        .value_kind:     hidden_remainder_x
      - .offset:         164
        .size:           2
        .value_kind:     hidden_remainder_y
      - .offset:         166
        .size:           2
        .value_kind:     hidden_remainder_z
      - .offset:         184
        .size:           8
        .value_kind:     hidden_global_offset_x
      - .offset:         192
        .size:           8
        .value_kind:     hidden_global_offset_y
      - .offset:         200
        .size:           8
        .value_kind:     hidden_global_offset_z
      - .offset:         208
        .size:           2
        .value_kind:     hidden_grid_dims
    .group_segment_fixed_size: 17472
    .kernarg_segment_align: 8
    .kernarg_segment_size: 400
    .language:       OpenCL C
    .language_version:
      - 2
      - 0
    .max_flat_workgroup_size: 256
    .name:           _Z39paged_attention_ll4mi_QKV_mfma16_kernelI14__hip_bfloat16S0_LN4vllm18Fp8KVCacheDataTypeE0EhLi32ELi128ELi256ELb1ELi12EL8MFMAType0EEvPKT_PKT0_S9_ifPKiSB_SB_iPKfiiiPfSE_PS4_PT2_iSD_SD_
    .private_segment_fixed_size: 0
    .sgpr_count:     42
    .sgpr_spill_count: 0
    .symbol:         _Z39paged_attention_ll4mi_QKV_mfma16_kernelI14__hip_bfloat16S0_LN4vllm18Fp8KVCacheDataTypeE0EhLi32ELi128ELi256ELb1ELi12EL8MFMAType0EEvPKT_PKT0_S9_ifPKiSB_SB_iPKfiiiPfSE_PS4_PT2_iSD_SD_.kd
    .uniform_work_group_size: 1
    .uses_dynamic_stack: false
    .vgpr_count:     157
    .vgpr_spill_count: 0
    .wavefront_size: 32
    .workgroup_processor_mode: 1
  - .args:
      - .actual_access:  read_only
        .address_space:  global
        .offset:         0
        .size:           8
        .value_kind:     global_buffer
      - .actual_access:  read_only
        .address_space:  global
        .offset:         8
        .size:           8
        .value_kind:     global_buffer
      - .actual_access:  read_only
        .address_space:  global
        .offset:         16
        .size:           8
        .value_kind:     global_buffer
      - .offset:         24
        .size:           4
        .value_kind:     by_value
      - .offset:         28
        .size:           4
        .value_kind:     by_value
      - .actual_access:  read_only
        .address_space:  global
        .offset:         32
        .size:           8
        .value_kind:     global_buffer
      - .actual_access:  read_only
        .address_space:  global
        .offset:         40
        .size:           8
        .value_kind:     global_buffer
      - .actual_access:  read_only
        .address_space:  global
        .offset:         48
        .size:           8
        .value_kind:     global_buffer
      - .offset:         56
        .size:           4
        .value_kind:     by_value
      - .actual_access:  read_only
        .address_space:  global
        .offset:         64
        .size:           8
        .value_kind:     global_buffer
      - .offset:         72
        .size:           4
        .value_kind:     by_value
      - .offset:         76
        .size:           4
        .value_kind:     by_value
      - .offset:         80
        .size:           4
        .value_kind:     by_value
      - .actual_access:  write_only
        .address_space:  global
        .offset:         88
        .size:           8
        .value_kind:     global_buffer
      - .actual_access:  write_only
        .address_space:  global
        .offset:         96
        .size:           8
        .value_kind:     global_buffer
      - .actual_access:  write_only
        .address_space:  global
        .offset:         104
        .size:           8
        .value_kind:     global_buffer
      - .actual_access:  read_only
        .address_space:  global
        .offset:         112
        .size:           8
        .value_kind:     global_buffer
      - .offset:         120
        .size:           4
        .value_kind:     by_value
      - .address_space:  global
        .offset:         128
        .size:           8
        .value_kind:     global_buffer
      - .address_space:  global
        .offset:         136
        .size:           8
        .value_kind:     global_buffer
      - .offset:         144
        .size:           4
        .value_kind:     hidden_block_count_x
      - .offset:         148
        .size:           4
        .value_kind:     hidden_block_count_y
      - .offset:         152
        .size:           4
        .value_kind:     hidden_block_count_z
      - .offset:         156
        .size:           2
        .value_kind:     hidden_group_size_x
      - .offset:         158
        .size:           2
        .value_kind:     hidden_group_size_y
      - .offset:         160
        .size:           2
        .value_kind:     hidden_group_size_z
      - .offset:         162
        .size:           2
        .value_kind:     hidden_remainder_x
      - .offset:         164
        .size:           2
        .value_kind:     hidden_remainder_y
      - .offset:         166
        .size:           2
        .value_kind:     hidden_remainder_z
      - .offset:         184
        .size:           8
        .value_kind:     hidden_global_offset_x
      - .offset:         192
        .size:           8
        .value_kind:     hidden_global_offset_y
      - .offset:         200
        .size:           8
        .value_kind:     hidden_global_offset_z
      - .offset:         208
        .size:           2
        .value_kind:     hidden_grid_dims
    .group_segment_fixed_size: 17472
    .kernarg_segment_align: 8
    .kernarg_segment_size: 400
    .language:       OpenCL C
    .language_version:
      - 2
      - 0
    .max_flat_workgroup_size: 256
    .name:           _Z39paged_attention_ll4mi_QKV_mfma16_kernelI14__hip_bfloat16S0_LN4vllm18Fp8KVCacheDataTypeE0EhLi32ELi128ELi256ELb1ELi13EL8MFMAType0EEvPKT_PKT0_S9_ifPKiSB_SB_iPKfiiiPfSE_PS4_PT2_iSD_SD_
    .private_segment_fixed_size: 0
    .sgpr_count:     40
    .sgpr_spill_count: 0
    .symbol:         _Z39paged_attention_ll4mi_QKV_mfma16_kernelI14__hip_bfloat16S0_LN4vllm18Fp8KVCacheDataTypeE0EhLi32ELi128ELi256ELb1ELi13EL8MFMAType0EEvPKT_PKT0_S9_ifPKiSB_SB_iPKfiiiPfSE_PS4_PT2_iSD_SD_.kd
    .uniform_work_group_size: 1
    .uses_dynamic_stack: false
    .vgpr_count:     157
    .vgpr_spill_count: 0
    .wavefront_size: 32
    .workgroup_processor_mode: 1
  - .args:
      - .actual_access:  read_only
        .address_space:  global
        .offset:         0
        .size:           8
        .value_kind:     global_buffer
      - .actual_access:  read_only
        .address_space:  global
        .offset:         8
        .size:           8
        .value_kind:     global_buffer
      - .actual_access:  read_only
        .address_space:  global
        .offset:         16
        .size:           8
        .value_kind:     global_buffer
      - .offset:         24
        .size:           4
        .value_kind:     by_value
      - .offset:         28
        .size:           4
        .value_kind:     by_value
      - .actual_access:  read_only
        .address_space:  global
        .offset:         32
        .size:           8
        .value_kind:     global_buffer
      - .actual_access:  read_only
        .address_space:  global
        .offset:         40
        .size:           8
        .value_kind:     global_buffer
      - .actual_access:  read_only
        .address_space:  global
        .offset:         48
        .size:           8
        .value_kind:     global_buffer
      - .offset:         56
        .size:           4
        .value_kind:     by_value
      - .actual_access:  read_only
        .address_space:  global
        .offset:         64
        .size:           8
        .value_kind:     global_buffer
      - .offset:         72
        .size:           4
        .value_kind:     by_value
      - .offset:         76
        .size:           4
        .value_kind:     by_value
      - .offset:         80
        .size:           4
        .value_kind:     by_value
      - .actual_access:  write_only
        .address_space:  global
        .offset:         88
        .size:           8
        .value_kind:     global_buffer
      - .actual_access:  write_only
        .address_space:  global
        .offset:         96
        .size:           8
        .value_kind:     global_buffer
      - .actual_access:  write_only
        .address_space:  global
        .offset:         104
        .size:           8
        .value_kind:     global_buffer
      - .actual_access:  read_only
        .address_space:  global
        .offset:         112
        .size:           8
        .value_kind:     global_buffer
      - .offset:         120
        .size:           4
        .value_kind:     by_value
      - .address_space:  global
        .offset:         128
        .size:           8
        .value_kind:     global_buffer
      - .address_space:  global
        .offset:         136
        .size:           8
        .value_kind:     global_buffer
      - .offset:         144
        .size:           4
        .value_kind:     hidden_block_count_x
      - .offset:         148
        .size:           4
        .value_kind:     hidden_block_count_y
      - .offset:         152
        .size:           4
        .value_kind:     hidden_block_count_z
      - .offset:         156
        .size:           2
        .value_kind:     hidden_group_size_x
      - .offset:         158
        .size:           2
        .value_kind:     hidden_group_size_y
      - .offset:         160
        .size:           2
        .value_kind:     hidden_group_size_z
      - .offset:         162
        .size:           2
        .value_kind:     hidden_remainder_x
      - .offset:         164
        .size:           2
        .value_kind:     hidden_remainder_y
      - .offset:         166
        .size:           2
        .value_kind:     hidden_remainder_z
      - .offset:         184
        .size:           8
        .value_kind:     hidden_global_offset_x
      - .offset:         192
        .size:           8
        .value_kind:     hidden_global_offset_y
      - .offset:         200
        .size:           8
        .value_kind:     hidden_global_offset_z
      - .offset:         208
        .size:           2
        .value_kind:     hidden_grid_dims
    .group_segment_fixed_size: 17472
    .kernarg_segment_align: 8
    .kernarg_segment_size: 400
    .language:       OpenCL C
    .language_version:
      - 2
      - 0
    .max_flat_workgroup_size: 256
    .name:           _Z39paged_attention_ll4mi_QKV_mfma16_kernelI14__hip_bfloat16S0_LN4vllm18Fp8KVCacheDataTypeE0EhLi32ELi128ELi256ELb1ELi14EL8MFMAType0EEvPKT_PKT0_S9_ifPKiSB_SB_iPKfiiiPfSE_PS4_PT2_iSD_SD_
    .private_segment_fixed_size: 0
    .sgpr_count:     42
    .sgpr_spill_count: 0
    .symbol:         _Z39paged_attention_ll4mi_QKV_mfma16_kernelI14__hip_bfloat16S0_LN4vllm18Fp8KVCacheDataTypeE0EhLi32ELi128ELi256ELb1ELi14EL8MFMAType0EEvPKT_PKT0_S9_ifPKiSB_SB_iPKfiiiPfSE_PS4_PT2_iSD_SD_.kd
    .uniform_work_group_size: 1
    .uses_dynamic_stack: false
    .vgpr_count:     157
    .vgpr_spill_count: 0
    .wavefront_size: 32
    .workgroup_processor_mode: 1
  - .args:
      - .actual_access:  read_only
        .address_space:  global
        .offset:         0
        .size:           8
        .value_kind:     global_buffer
      - .actual_access:  read_only
        .address_space:  global
        .offset:         8
        .size:           8
        .value_kind:     global_buffer
      - .actual_access:  read_only
        .address_space:  global
        .offset:         16
        .size:           8
        .value_kind:     global_buffer
      - .offset:         24
        .size:           4
        .value_kind:     by_value
      - .offset:         28
        .size:           4
        .value_kind:     by_value
      - .actual_access:  read_only
        .address_space:  global
        .offset:         32
        .size:           8
        .value_kind:     global_buffer
      - .actual_access:  read_only
        .address_space:  global
        .offset:         40
        .size:           8
        .value_kind:     global_buffer
      - .actual_access:  read_only
        .address_space:  global
        .offset:         48
        .size:           8
        .value_kind:     global_buffer
      - .offset:         56
        .size:           4
        .value_kind:     by_value
      - .actual_access:  read_only
        .address_space:  global
        .offset:         64
        .size:           8
        .value_kind:     global_buffer
      - .offset:         72
        .size:           4
        .value_kind:     by_value
      - .offset:         76
        .size:           4
        .value_kind:     by_value
      - .offset:         80
        .size:           4
        .value_kind:     by_value
      - .actual_access:  write_only
        .address_space:  global
        .offset:         88
        .size:           8
        .value_kind:     global_buffer
      - .actual_access:  write_only
        .address_space:  global
        .offset:         96
        .size:           8
        .value_kind:     global_buffer
      - .actual_access:  write_only
        .address_space:  global
        .offset:         104
        .size:           8
        .value_kind:     global_buffer
      - .actual_access:  read_only
        .address_space:  global
        .offset:         112
        .size:           8
        .value_kind:     global_buffer
      - .offset:         120
        .size:           4
        .value_kind:     by_value
      - .address_space:  global
        .offset:         128
        .size:           8
        .value_kind:     global_buffer
      - .address_space:  global
        .offset:         136
        .size:           8
        .value_kind:     global_buffer
      - .offset:         144
        .size:           4
        .value_kind:     hidden_block_count_x
      - .offset:         148
        .size:           4
        .value_kind:     hidden_block_count_y
      - .offset:         152
        .size:           4
        .value_kind:     hidden_block_count_z
      - .offset:         156
        .size:           2
        .value_kind:     hidden_group_size_x
      - .offset:         158
        .size:           2
        .value_kind:     hidden_group_size_y
      - .offset:         160
        .size:           2
        .value_kind:     hidden_group_size_z
      - .offset:         162
        .size:           2
        .value_kind:     hidden_remainder_x
      - .offset:         164
        .size:           2
        .value_kind:     hidden_remainder_y
      - .offset:         166
        .size:           2
        .value_kind:     hidden_remainder_z
      - .offset:         184
        .size:           8
        .value_kind:     hidden_global_offset_x
      - .offset:         192
        .size:           8
        .value_kind:     hidden_global_offset_y
      - .offset:         200
        .size:           8
        .value_kind:     hidden_global_offset_z
      - .offset:         208
        .size:           2
        .value_kind:     hidden_grid_dims
    .group_segment_fixed_size: 17472
    .kernarg_segment_align: 8
    .kernarg_segment_size: 400
    .language:       OpenCL C
    .language_version:
      - 2
      - 0
    .max_flat_workgroup_size: 256
    .name:           _Z39paged_attention_ll4mi_QKV_mfma16_kernelI14__hip_bfloat16S0_LN4vllm18Fp8KVCacheDataTypeE0EhLi32ELi128ELi256ELb1ELi15EL8MFMAType0EEvPKT_PKT0_S9_ifPKiSB_SB_iPKfiiiPfSE_PS4_PT2_iSD_SD_
    .private_segment_fixed_size: 0
    .sgpr_count:     40
    .sgpr_spill_count: 0
    .symbol:         _Z39paged_attention_ll4mi_QKV_mfma16_kernelI14__hip_bfloat16S0_LN4vllm18Fp8KVCacheDataTypeE0EhLi32ELi128ELi256ELb1ELi15EL8MFMAType0EEvPKT_PKT0_S9_ifPKiSB_SB_iPKfiiiPfSE_PS4_PT2_iSD_SD_.kd
    .uniform_work_group_size: 1
    .uses_dynamic_stack: false
    .vgpr_count:     157
    .vgpr_spill_count: 0
    .wavefront_size: 32
    .workgroup_processor_mode: 1
  - .args:
      - .actual_access:  read_only
        .address_space:  global
        .offset:         0
        .size:           8
        .value_kind:     global_buffer
      - .actual_access:  read_only
        .address_space:  global
        .offset:         8
        .size:           8
        .value_kind:     global_buffer
      - .actual_access:  read_only
        .address_space:  global
        .offset:         16
        .size:           8
        .value_kind:     global_buffer
      - .offset:         24
        .size:           4
        .value_kind:     by_value
      - .offset:         28
        .size:           4
        .value_kind:     by_value
      - .actual_access:  read_only
        .address_space:  global
        .offset:         32
        .size:           8
        .value_kind:     global_buffer
      - .actual_access:  read_only
        .address_space:  global
        .offset:         40
        .size:           8
        .value_kind:     global_buffer
      - .actual_access:  read_only
        .address_space:  global
        .offset:         48
        .size:           8
        .value_kind:     global_buffer
      - .offset:         56
        .size:           4
        .value_kind:     by_value
      - .actual_access:  read_only
        .address_space:  global
        .offset:         64
        .size:           8
        .value_kind:     global_buffer
      - .offset:         72
        .size:           4
        .value_kind:     by_value
      - .offset:         76
        .size:           4
        .value_kind:     by_value
      - .offset:         80
        .size:           4
        .value_kind:     by_value
      - .actual_access:  write_only
        .address_space:  global
        .offset:         88
        .size:           8
        .value_kind:     global_buffer
      - .actual_access:  write_only
        .address_space:  global
        .offset:         96
        .size:           8
        .value_kind:     global_buffer
      - .actual_access:  write_only
        .address_space:  global
        .offset:         104
        .size:           8
        .value_kind:     global_buffer
      - .actual_access:  read_only
        .address_space:  global
        .offset:         112
        .size:           8
        .value_kind:     global_buffer
      - .offset:         120
        .size:           4
        .value_kind:     by_value
      - .address_space:  global
        .offset:         128
        .size:           8
        .value_kind:     global_buffer
      - .address_space:  global
        .offset:         136
        .size:           8
        .value_kind:     global_buffer
      - .offset:         144
        .size:           4
        .value_kind:     hidden_block_count_x
      - .offset:         148
        .size:           4
        .value_kind:     hidden_block_count_y
      - .offset:         152
        .size:           4
        .value_kind:     hidden_block_count_z
      - .offset:         156
        .size:           2
        .value_kind:     hidden_group_size_x
      - .offset:         158
        .size:           2
        .value_kind:     hidden_group_size_y
      - .offset:         160
        .size:           2
        .value_kind:     hidden_group_size_z
      - .offset:         162
        .size:           2
        .value_kind:     hidden_remainder_x
      - .offset:         164
        .size:           2
        .value_kind:     hidden_remainder_y
      - .offset:         166
        .size:           2
        .value_kind:     hidden_remainder_z
      - .offset:         184
        .size:           8
        .value_kind:     hidden_global_offset_x
      - .offset:         192
        .size:           8
        .value_kind:     hidden_global_offset_y
      - .offset:         200
        .size:           8
        .value_kind:     hidden_global_offset_z
      - .offset:         208
        .size:           2
        .value_kind:     hidden_grid_dims
    .group_segment_fixed_size: 17472
    .kernarg_segment_align: 8
    .kernarg_segment_size: 400
    .language:       OpenCL C
    .language_version:
      - 2
      - 0
    .max_flat_workgroup_size: 256
    .name:           _Z39paged_attention_ll4mi_QKV_mfma16_kernelI14__hip_bfloat16S0_LN4vllm18Fp8KVCacheDataTypeE0EhLi32ELi128ELi256ELb1ELi16EL8MFMAType0EEvPKT_PKT0_S9_ifPKiSB_SB_iPKfiiiPfSE_PS4_PT2_iSD_SD_
    .private_segment_fixed_size: 0
    .sgpr_count:     40
    .sgpr_spill_count: 0
    .symbol:         _Z39paged_attention_ll4mi_QKV_mfma16_kernelI14__hip_bfloat16S0_LN4vllm18Fp8KVCacheDataTypeE0EhLi32ELi128ELi256ELb1ELi16EL8MFMAType0EEvPKT_PKT0_S9_ifPKiSB_SB_iPKfiiiPfSE_PS4_PT2_iSD_SD_.kd
    .uniform_work_group_size: 1
    .uses_dynamic_stack: false
    .vgpr_count:     150
    .vgpr_spill_count: 0
    .wavefront_size: 32
    .workgroup_processor_mode: 1
  - .args:
      - .actual_access:  read_only
        .address_space:  global
        .offset:         0
        .size:           8
        .value_kind:     global_buffer
      - .actual_access:  read_only
        .address_space:  global
        .offset:         8
        .size:           8
        .value_kind:     global_buffer
      - .actual_access:  read_only
        .address_space:  global
        .offset:         16
        .size:           8
        .value_kind:     global_buffer
      - .offset:         24
        .size:           4
        .value_kind:     by_value
      - .offset:         28
        .size:           4
        .value_kind:     by_value
      - .actual_access:  read_only
        .address_space:  global
        .offset:         32
        .size:           8
        .value_kind:     global_buffer
      - .actual_access:  read_only
        .address_space:  global
        .offset:         40
        .size:           8
        .value_kind:     global_buffer
      - .actual_access:  read_only
        .address_space:  global
        .offset:         48
        .size:           8
        .value_kind:     global_buffer
      - .offset:         56
        .size:           4
        .value_kind:     by_value
      - .actual_access:  read_only
        .address_space:  global
        .offset:         64
        .size:           8
        .value_kind:     global_buffer
      - .offset:         72
        .size:           4
        .value_kind:     by_value
      - .offset:         76
        .size:           4
        .value_kind:     by_value
      - .offset:         80
        .size:           4
        .value_kind:     by_value
      - .actual_access:  write_only
        .address_space:  global
        .offset:         88
        .size:           8
        .value_kind:     global_buffer
      - .actual_access:  write_only
        .address_space:  global
        .offset:         96
        .size:           8
        .value_kind:     global_buffer
      - .actual_access:  write_only
        .address_space:  global
        .offset:         104
        .size:           8
        .value_kind:     global_buffer
      - .actual_access:  read_only
        .address_space:  global
        .offset:         112
        .size:           8
        .value_kind:     global_buffer
      - .offset:         120
        .size:           4
        .value_kind:     by_value
      - .address_space:  global
        .offset:         128
        .size:           8
        .value_kind:     global_buffer
      - .address_space:  global
        .offset:         136
        .size:           8
        .value_kind:     global_buffer
      - .offset:         144
        .size:           4
        .value_kind:     hidden_block_count_x
      - .offset:         148
        .size:           4
        .value_kind:     hidden_block_count_y
      - .offset:         152
        .size:           4
        .value_kind:     hidden_block_count_z
      - .offset:         156
        .size:           2
        .value_kind:     hidden_group_size_x
      - .offset:         158
        .size:           2
        .value_kind:     hidden_group_size_y
      - .offset:         160
        .size:           2
        .value_kind:     hidden_group_size_z
      - .offset:         162
        .size:           2
        .value_kind:     hidden_remainder_x
      - .offset:         164
        .size:           2
        .value_kind:     hidden_remainder_y
      - .offset:         166
        .size:           2
        .value_kind:     hidden_remainder_z
      - .offset:         184
        .size:           8
        .value_kind:     hidden_global_offset_x
      - .offset:         192
        .size:           8
        .value_kind:     hidden_global_offset_y
      - .offset:         200
        .size:           8
        .value_kind:     hidden_global_offset_z
      - .offset:         208
        .size:           2
        .value_kind:     hidden_grid_dims
    .group_segment_fixed_size: 17472
    .kernarg_segment_align: 8
    .kernarg_segment_size: 400
    .language:       OpenCL C
    .language_version:
      - 2
      - 0
    .max_flat_workgroup_size: 256
    .name:           _Z39paged_attention_ll4mi_QKV_mfma16_kernelI14__hip_bfloat16S0_LN4vllm18Fp8KVCacheDataTypeE0EhLi32ELi128ELi256ELb1ELi1EL8MFMAType0EEvPKT_PKT0_S9_ifPKiSB_SB_iPKfiiiPfSE_PS4_PT2_iSD_SD_
    .private_segment_fixed_size: 0
    .sgpr_count:     99
    .sgpr_spill_count: 0
    .symbol:         _Z39paged_attention_ll4mi_QKV_mfma16_kernelI14__hip_bfloat16S0_LN4vllm18Fp8KVCacheDataTypeE0EhLi32ELi128ELi256ELb1ELi1EL8MFMAType0EEvPKT_PKT0_S9_ifPKiSB_SB_iPKfiiiPfSE_PS4_PT2_iSD_SD_.kd
    .uniform_work_group_size: 1
    .uses_dynamic_stack: false
    .vgpr_count:     144
    .vgpr_spill_count: 0
    .wavefront_size: 32
    .workgroup_processor_mode: 1
  - .args:
      - .actual_access:  read_only
        .address_space:  global
        .offset:         0
        .size:           8
        .value_kind:     global_buffer
      - .actual_access:  read_only
        .address_space:  global
        .offset:         8
        .size:           8
        .value_kind:     global_buffer
      - .actual_access:  read_only
        .address_space:  global
        .offset:         16
        .size:           8
        .value_kind:     global_buffer
      - .offset:         24
        .size:           4
        .value_kind:     by_value
      - .offset:         28
        .size:           4
        .value_kind:     by_value
      - .actual_access:  read_only
        .address_space:  global
        .offset:         32
        .size:           8
        .value_kind:     global_buffer
      - .actual_access:  read_only
        .address_space:  global
        .offset:         40
        .size:           8
        .value_kind:     global_buffer
      - .actual_access:  read_only
        .address_space:  global
        .offset:         48
        .size:           8
        .value_kind:     global_buffer
      - .offset:         56
        .size:           4
        .value_kind:     by_value
      - .actual_access:  read_only
        .address_space:  global
        .offset:         64
        .size:           8
        .value_kind:     global_buffer
      - .offset:         72
        .size:           4
        .value_kind:     by_value
      - .offset:         76
        .size:           4
        .value_kind:     by_value
      - .offset:         80
        .size:           4
        .value_kind:     by_value
      - .actual_access:  write_only
        .address_space:  global
        .offset:         88
        .size:           8
        .value_kind:     global_buffer
      - .actual_access:  write_only
        .address_space:  global
        .offset:         96
        .size:           8
        .value_kind:     global_buffer
      - .actual_access:  write_only
        .address_space:  global
        .offset:         104
        .size:           8
        .value_kind:     global_buffer
      - .actual_access:  read_only
        .address_space:  global
        .offset:         112
        .size:           8
        .value_kind:     global_buffer
      - .offset:         120
        .size:           4
        .value_kind:     by_value
      - .address_space:  global
        .offset:         128
        .size:           8
        .value_kind:     global_buffer
      - .address_space:  global
        .offset:         136
        .size:           8
        .value_kind:     global_buffer
      - .offset:         144
        .size:           4
        .value_kind:     hidden_block_count_x
      - .offset:         148
        .size:           4
        .value_kind:     hidden_block_count_y
      - .offset:         152
        .size:           4
        .value_kind:     hidden_block_count_z
      - .offset:         156
        .size:           2
        .value_kind:     hidden_group_size_x
      - .offset:         158
        .size:           2
        .value_kind:     hidden_group_size_y
      - .offset:         160
        .size:           2
        .value_kind:     hidden_group_size_z
      - .offset:         162
        .size:           2
        .value_kind:     hidden_remainder_x
      - .offset:         164
        .size:           2
        .value_kind:     hidden_remainder_y
      - .offset:         166
        .size:           2
        .value_kind:     hidden_remainder_z
      - .offset:         184
        .size:           8
        .value_kind:     hidden_global_offset_x
      - .offset:         192
        .size:           8
        .value_kind:     hidden_global_offset_y
      - .offset:         200
        .size:           8
        .value_kind:     hidden_global_offset_z
      - .offset:         208
        .size:           2
        .value_kind:     hidden_grid_dims
    .group_segment_fixed_size: 17472
    .kernarg_segment_align: 8
    .kernarg_segment_size: 400
    .language:       OpenCL C
    .language_version:
      - 2
      - 0
    .max_flat_workgroup_size: 256
    .name:           _Z39paged_attention_ll4mi_QKV_mfma16_kernelI14__hip_bfloat16S0_LN4vllm18Fp8KVCacheDataTypeE0EhLi32ELi128ELi256ELb1ELi2EL8MFMAType0EEvPKT_PKT0_S9_ifPKiSB_SB_iPKfiiiPfSE_PS4_PT2_iSD_SD_
    .private_segment_fixed_size: 0
    .sgpr_count:     40
    .sgpr_spill_count: 0
    .symbol:         _Z39paged_attention_ll4mi_QKV_mfma16_kernelI14__hip_bfloat16S0_LN4vllm18Fp8KVCacheDataTypeE0EhLi32ELi128ELi256ELb1ELi2EL8MFMAType0EEvPKT_PKT0_S9_ifPKiSB_SB_iPKfiiiPfSE_PS4_PT2_iSD_SD_.kd
    .uniform_work_group_size: 1
    .uses_dynamic_stack: false
    .vgpr_count:     145
    .vgpr_spill_count: 0
    .wavefront_size: 32
    .workgroup_processor_mode: 1
  - .args:
      - .actual_access:  read_only
        .address_space:  global
        .offset:         0
        .size:           8
        .value_kind:     global_buffer
      - .actual_access:  read_only
        .address_space:  global
        .offset:         8
        .size:           8
        .value_kind:     global_buffer
      - .actual_access:  read_only
        .address_space:  global
        .offset:         16
        .size:           8
        .value_kind:     global_buffer
      - .offset:         24
        .size:           4
        .value_kind:     by_value
      - .offset:         28
        .size:           4
        .value_kind:     by_value
      - .actual_access:  read_only
        .address_space:  global
        .offset:         32
        .size:           8
        .value_kind:     global_buffer
      - .actual_access:  read_only
        .address_space:  global
        .offset:         40
        .size:           8
        .value_kind:     global_buffer
      - .actual_access:  read_only
        .address_space:  global
        .offset:         48
        .size:           8
        .value_kind:     global_buffer
      - .offset:         56
        .size:           4
        .value_kind:     by_value
      - .actual_access:  read_only
        .address_space:  global
        .offset:         64
        .size:           8
        .value_kind:     global_buffer
      - .offset:         72
        .size:           4
        .value_kind:     by_value
      - .offset:         76
        .size:           4
        .value_kind:     by_value
      - .offset:         80
        .size:           4
        .value_kind:     by_value
      - .actual_access:  write_only
        .address_space:  global
        .offset:         88
        .size:           8
        .value_kind:     global_buffer
      - .actual_access:  write_only
        .address_space:  global
        .offset:         96
        .size:           8
        .value_kind:     global_buffer
      - .actual_access:  write_only
        .address_space:  global
        .offset:         104
        .size:           8
        .value_kind:     global_buffer
      - .actual_access:  read_only
        .address_space:  global
        .offset:         112
        .size:           8
        .value_kind:     global_buffer
      - .offset:         120
        .size:           4
        .value_kind:     by_value
      - .address_space:  global
        .offset:         128
        .size:           8
        .value_kind:     global_buffer
      - .address_space:  global
        .offset:         136
        .size:           8
        .value_kind:     global_buffer
      - .offset:         144
        .size:           4
        .value_kind:     hidden_block_count_x
      - .offset:         148
        .size:           4
        .value_kind:     hidden_block_count_y
      - .offset:         152
        .size:           4
        .value_kind:     hidden_block_count_z
      - .offset:         156
        .size:           2
        .value_kind:     hidden_group_size_x
      - .offset:         158
        .size:           2
        .value_kind:     hidden_group_size_y
      - .offset:         160
        .size:           2
        .value_kind:     hidden_group_size_z
      - .offset:         162
        .size:           2
        .value_kind:     hidden_remainder_x
      - .offset:         164
        .size:           2
        .value_kind:     hidden_remainder_y
      - .offset:         166
        .size:           2
        .value_kind:     hidden_remainder_z
      - .offset:         184
        .size:           8
        .value_kind:     hidden_global_offset_x
      - .offset:         192
        .size:           8
        .value_kind:     hidden_global_offset_y
      - .offset:         200
        .size:           8
        .value_kind:     hidden_global_offset_z
      - .offset:         208
        .size:           2
        .value_kind:     hidden_grid_dims
    .group_segment_fixed_size: 17472
    .kernarg_segment_align: 8
    .kernarg_segment_size: 400
    .language:       OpenCL C
    .language_version:
      - 2
      - 0
    .max_flat_workgroup_size: 256
    .name:           _Z39paged_attention_ll4mi_QKV_mfma16_kernelI14__hip_bfloat16S0_LN4vllm18Fp8KVCacheDataTypeE0EhLi32ELi128ELi256ELb1ELi3EL8MFMAType0EEvPKT_PKT0_S9_ifPKiSB_SB_iPKfiiiPfSE_PS4_PT2_iSD_SD_
    .private_segment_fixed_size: 0
    .sgpr_count:     39
    .sgpr_spill_count: 0
    .symbol:         _Z39paged_attention_ll4mi_QKV_mfma16_kernelI14__hip_bfloat16S0_LN4vllm18Fp8KVCacheDataTypeE0EhLi32ELi128ELi256ELb1ELi3EL8MFMAType0EEvPKT_PKT0_S9_ifPKiSB_SB_iPKfiiiPfSE_PS4_PT2_iSD_SD_.kd
    .uniform_work_group_size: 1
    .uses_dynamic_stack: false
    .vgpr_count:     157
    .vgpr_spill_count: 0
    .wavefront_size: 32
    .workgroup_processor_mode: 1
  - .args:
      - .actual_access:  read_only
        .address_space:  global
        .offset:         0
        .size:           8
        .value_kind:     global_buffer
      - .actual_access:  read_only
        .address_space:  global
        .offset:         8
        .size:           8
        .value_kind:     global_buffer
      - .actual_access:  read_only
        .address_space:  global
        .offset:         16
        .size:           8
        .value_kind:     global_buffer
      - .offset:         24
        .size:           4
        .value_kind:     by_value
      - .offset:         28
        .size:           4
        .value_kind:     by_value
      - .actual_access:  read_only
        .address_space:  global
        .offset:         32
        .size:           8
        .value_kind:     global_buffer
      - .actual_access:  read_only
        .address_space:  global
        .offset:         40
        .size:           8
        .value_kind:     global_buffer
      - .actual_access:  read_only
        .address_space:  global
        .offset:         48
        .size:           8
        .value_kind:     global_buffer
      - .offset:         56
        .size:           4
        .value_kind:     by_value
      - .actual_access:  read_only
        .address_space:  global
        .offset:         64
        .size:           8
        .value_kind:     global_buffer
      - .offset:         72
        .size:           4
        .value_kind:     by_value
      - .offset:         76
        .size:           4
        .value_kind:     by_value
      - .offset:         80
        .size:           4
        .value_kind:     by_value
      - .actual_access:  write_only
        .address_space:  global
        .offset:         88
        .size:           8
        .value_kind:     global_buffer
      - .actual_access:  write_only
        .address_space:  global
        .offset:         96
        .size:           8
        .value_kind:     global_buffer
      - .actual_access:  write_only
        .address_space:  global
        .offset:         104
        .size:           8
        .value_kind:     global_buffer
      - .actual_access:  read_only
        .address_space:  global
        .offset:         112
        .size:           8
        .value_kind:     global_buffer
      - .offset:         120
        .size:           4
        .value_kind:     by_value
      - .address_space:  global
        .offset:         128
        .size:           8
        .value_kind:     global_buffer
      - .address_space:  global
        .offset:         136
        .size:           8
        .value_kind:     global_buffer
      - .offset:         144
        .size:           4
        .value_kind:     hidden_block_count_x
      - .offset:         148
        .size:           4
        .value_kind:     hidden_block_count_y
      - .offset:         152
        .size:           4
        .value_kind:     hidden_block_count_z
      - .offset:         156
        .size:           2
        .value_kind:     hidden_group_size_x
      - .offset:         158
        .size:           2
        .value_kind:     hidden_group_size_y
      - .offset:         160
        .size:           2
        .value_kind:     hidden_group_size_z
      - .offset:         162
        .size:           2
        .value_kind:     hidden_remainder_x
      - .offset:         164
        .size:           2
        .value_kind:     hidden_remainder_y
      - .offset:         166
        .size:           2
        .value_kind:     hidden_remainder_z
      - .offset:         184
        .size:           8
        .value_kind:     hidden_global_offset_x
      - .offset:         192
        .size:           8
        .value_kind:     hidden_global_offset_y
      - .offset:         200
        .size:           8
        .value_kind:     hidden_global_offset_z
      - .offset:         208
        .size:           2
        .value_kind:     hidden_grid_dims
    .group_segment_fixed_size: 17472
    .kernarg_segment_align: 8
    .kernarg_segment_size: 400
    .language:       OpenCL C
    .language_version:
      - 2
      - 0
    .max_flat_workgroup_size: 256
    .name:           _Z39paged_attention_ll4mi_QKV_mfma16_kernelI14__hip_bfloat16S0_LN4vllm18Fp8KVCacheDataTypeE0EhLi32ELi128ELi256ELb1ELi4EL8MFMAType0EEvPKT_PKT0_S9_ifPKiSB_SB_iPKfiiiPfSE_PS4_PT2_iSD_SD_
    .private_segment_fixed_size: 0
    .sgpr_count:     42
    .sgpr_spill_count: 0
    .symbol:         _Z39paged_attention_ll4mi_QKV_mfma16_kernelI14__hip_bfloat16S0_LN4vllm18Fp8KVCacheDataTypeE0EhLi32ELi128ELi256ELb1ELi4EL8MFMAType0EEvPKT_PKT0_S9_ifPKiSB_SB_iPKfiiiPfSE_PS4_PT2_iSD_SD_.kd
    .uniform_work_group_size: 1
    .uses_dynamic_stack: false
    .vgpr_count:     157
    .vgpr_spill_count: 0
    .wavefront_size: 32
    .workgroup_processor_mode: 1
  - .args:
      - .actual_access:  read_only
        .address_space:  global
        .offset:         0
        .size:           8
        .value_kind:     global_buffer
      - .actual_access:  read_only
        .address_space:  global
        .offset:         8
        .size:           8
        .value_kind:     global_buffer
      - .actual_access:  read_only
        .address_space:  global
        .offset:         16
        .size:           8
        .value_kind:     global_buffer
      - .offset:         24
        .size:           4
        .value_kind:     by_value
      - .offset:         28
        .size:           4
        .value_kind:     by_value
      - .actual_access:  read_only
        .address_space:  global
        .offset:         32
        .size:           8
        .value_kind:     global_buffer
      - .actual_access:  read_only
        .address_space:  global
        .offset:         40
        .size:           8
        .value_kind:     global_buffer
      - .actual_access:  read_only
        .address_space:  global
        .offset:         48
        .size:           8
        .value_kind:     global_buffer
      - .offset:         56
        .size:           4
        .value_kind:     by_value
      - .actual_access:  read_only
        .address_space:  global
        .offset:         64
        .size:           8
        .value_kind:     global_buffer
      - .offset:         72
        .size:           4
        .value_kind:     by_value
      - .offset:         76
        .size:           4
        .value_kind:     by_value
      - .offset:         80
        .size:           4
        .value_kind:     by_value
      - .actual_access:  read_only
        .address_space:  global
        .offset:         88
        .size:           8
        .value_kind:     global_buffer
      - .actual_access:  read_only
        .address_space:  global
        .offset:         96
        .size:           8
        .value_kind:     global_buffer
      - .actual_access:  read_only
        .address_space:  global
        .offset:         104
        .size:           8
        .value_kind:     global_buffer
      - .actual_access:  read_only
        .address_space:  global
        .offset:         112
        .size:           8
        .value_kind:     global_buffer
      - .offset:         120
        .size:           4
        .value_kind:     by_value
      - .address_space:  global
        .offset:         128
        .size:           8
        .value_kind:     global_buffer
      - .address_space:  global
        .offset:         136
        .size:           8
        .value_kind:     global_buffer
      - .offset:         144
        .size:           4
        .value_kind:     hidden_block_count_x
      - .offset:         148
        .size:           4
        .value_kind:     hidden_block_count_y
      - .offset:         152
        .size:           4
        .value_kind:     hidden_block_count_z
      - .offset:         156
        .size:           2
        .value_kind:     hidden_group_size_x
      - .offset:         158
        .size:           2
        .value_kind:     hidden_group_size_y
      - .offset:         160
        .size:           2
        .value_kind:     hidden_group_size_z
      - .offset:         162
        .size:           2
        .value_kind:     hidden_remainder_x
      - .offset:         164
        .size:           2
        .value_kind:     hidden_remainder_y
      - .offset:         166
        .size:           2
        .value_kind:     hidden_remainder_z
      - .offset:         184
        .size:           8
        .value_kind:     hidden_global_offset_x
      - .offset:         192
        .size:           8
        .value_kind:     hidden_global_offset_y
      - .offset:         200
        .size:           8
        .value_kind:     hidden_global_offset_z
      - .offset:         208
        .size:           2
        .value_kind:     hidden_grid_dims
      - .offset:         224
        .size:           8
        .value_kind:     hidden_hostcall_buffer
    .group_segment_fixed_size: 0
    .kernarg_segment_align: 8
    .kernarg_segment_size: 400
    .language:       OpenCL C
    .language_version:
      - 2
      - 0
    .max_flat_workgroup_size: 256
    .name:           _Z38paged_attention_ll4mi_QKV_mfma4_kernelI14__hip_bfloat16S0_LN4vllm18Fp8KVCacheDataTypeE0EhLi32ELi128ELi256ELb0ELi1EEvPKT_PKT0_S8_ifPKiSA_SA_iPKfiiiPfSD_PS3_PT2_iSC_SC_
    .private_segment_fixed_size: 64
    .sgpr_count:     36
    .sgpr_spill_count: 0
    .symbol:         _Z38paged_attention_ll4mi_QKV_mfma4_kernelI14__hip_bfloat16S0_LN4vllm18Fp8KVCacheDataTypeE0EhLi32ELi128ELi256ELb0ELi1EEvPKT_PKT0_S8_ifPKiSA_SA_iPKfiiiPfSD_PS3_PT2_iSC_SC_.kd
    .uniform_work_group_size: 1
    .uses_dynamic_stack: false
    .vgpr_count:     41
    .vgpr_spill_count: 0
    .wavefront_size: 32
    .workgroup_processor_mode: 1
  - .args:
      - .actual_access:  read_only
        .address_space:  global
        .offset:         0
        .size:           8
        .value_kind:     global_buffer
      - .actual_access:  read_only
        .address_space:  global
        .offset:         8
        .size:           8
        .value_kind:     global_buffer
      - .actual_access:  read_only
        .address_space:  global
        .offset:         16
        .size:           8
        .value_kind:     global_buffer
      - .offset:         24
        .size:           4
        .value_kind:     by_value
      - .offset:         28
        .size:           4
        .value_kind:     by_value
      - .actual_access:  read_only
        .address_space:  global
        .offset:         32
        .size:           8
        .value_kind:     global_buffer
      - .actual_access:  read_only
        .address_space:  global
        .offset:         40
        .size:           8
        .value_kind:     global_buffer
      - .actual_access:  read_only
        .address_space:  global
        .offset:         48
        .size:           8
        .value_kind:     global_buffer
      - .offset:         56
        .size:           4
        .value_kind:     by_value
      - .actual_access:  read_only
        .address_space:  global
        .offset:         64
        .size:           8
        .value_kind:     global_buffer
      - .offset:         72
        .size:           4
        .value_kind:     by_value
      - .offset:         76
        .size:           4
        .value_kind:     by_value
      - .offset:         80
        .size:           4
        .value_kind:     by_value
      - .actual_access:  read_only
        .address_space:  global
        .offset:         88
        .size:           8
        .value_kind:     global_buffer
      - .actual_access:  read_only
        .address_space:  global
        .offset:         96
        .size:           8
        .value_kind:     global_buffer
      - .actual_access:  read_only
        .address_space:  global
        .offset:         104
        .size:           8
        .value_kind:     global_buffer
      - .actual_access:  read_only
        .address_space:  global
        .offset:         112
        .size:           8
        .value_kind:     global_buffer
      - .offset:         120
        .size:           4
        .value_kind:     by_value
      - .address_space:  global
        .offset:         128
        .size:           8
        .value_kind:     global_buffer
      - .address_space:  global
        .offset:         136
        .size:           8
        .value_kind:     global_buffer
      - .offset:         144
        .size:           4
        .value_kind:     hidden_block_count_x
      - .offset:         148
        .size:           4
        .value_kind:     hidden_block_count_y
      - .offset:         152
        .size:           4
        .value_kind:     hidden_block_count_z
      - .offset:         156
        .size:           2
        .value_kind:     hidden_group_size_x
      - .offset:         158
        .size:           2
        .value_kind:     hidden_group_size_y
      - .offset:         160
        .size:           2
        .value_kind:     hidden_group_size_z
      - .offset:         162
        .size:           2
        .value_kind:     hidden_remainder_x
      - .offset:         164
        .size:           2
        .value_kind:     hidden_remainder_y
      - .offset:         166
        .size:           2
        .value_kind:     hidden_remainder_z
      - .offset:         184
        .size:           8
        .value_kind:     hidden_global_offset_x
      - .offset:         192
        .size:           8
        .value_kind:     hidden_global_offset_y
      - .offset:         200
        .size:           8
        .value_kind:     hidden_global_offset_z
      - .offset:         208
        .size:           2
        .value_kind:     hidden_grid_dims
      - .offset:         224
        .size:           8
        .value_kind:     hidden_hostcall_buffer
    .group_segment_fixed_size: 0
    .kernarg_segment_align: 8
    .kernarg_segment_size: 400
    .language:       OpenCL C
    .language_version:
      - 2
      - 0
    .max_flat_workgroup_size: 256
    .name:           _Z38paged_attention_ll4mi_QKV_mfma4_kernelI14__hip_bfloat16S0_LN4vllm18Fp8KVCacheDataTypeE0EhLi32ELi128ELi256ELb0ELi2EEvPKT_PKT0_S8_ifPKiSA_SA_iPKfiiiPfSD_PS3_PT2_iSC_SC_
    .private_segment_fixed_size: 64
    .sgpr_count:     36
    .sgpr_spill_count: 0
    .symbol:         _Z38paged_attention_ll4mi_QKV_mfma4_kernelI14__hip_bfloat16S0_LN4vllm18Fp8KVCacheDataTypeE0EhLi32ELi128ELi256ELb0ELi2EEvPKT_PKT0_S8_ifPKiSA_SA_iPKfiiiPfSD_PS3_PT2_iSC_SC_.kd
    .uniform_work_group_size: 1
    .uses_dynamic_stack: false
    .vgpr_count:     41
    .vgpr_spill_count: 0
    .wavefront_size: 32
    .workgroup_processor_mode: 1
  - .args:
      - .actual_access:  read_only
        .address_space:  global
        .offset:         0
        .size:           8
        .value_kind:     global_buffer
      - .actual_access:  read_only
        .address_space:  global
        .offset:         8
        .size:           8
        .value_kind:     global_buffer
      - .actual_access:  read_only
        .address_space:  global
        .offset:         16
        .size:           8
        .value_kind:     global_buffer
      - .offset:         24
        .size:           4
        .value_kind:     by_value
      - .offset:         28
        .size:           4
        .value_kind:     by_value
      - .actual_access:  read_only
        .address_space:  global
        .offset:         32
        .size:           8
        .value_kind:     global_buffer
      - .actual_access:  read_only
        .address_space:  global
        .offset:         40
        .size:           8
        .value_kind:     global_buffer
      - .actual_access:  read_only
        .address_space:  global
        .offset:         48
        .size:           8
        .value_kind:     global_buffer
      - .offset:         56
        .size:           4
        .value_kind:     by_value
      - .actual_access:  read_only
        .address_space:  global
        .offset:         64
        .size:           8
        .value_kind:     global_buffer
      - .offset:         72
        .size:           4
        .value_kind:     by_value
      - .offset:         76
        .size:           4
        .value_kind:     by_value
      - .offset:         80
        .size:           4
        .value_kind:     by_value
      - .actual_access:  read_only
        .address_space:  global
        .offset:         88
        .size:           8
        .value_kind:     global_buffer
      - .actual_access:  read_only
        .address_space:  global
        .offset:         96
        .size:           8
        .value_kind:     global_buffer
      - .actual_access:  read_only
        .address_space:  global
        .offset:         104
        .size:           8
        .value_kind:     global_buffer
      - .actual_access:  read_only
        .address_space:  global
        .offset:         112
        .size:           8
        .value_kind:     global_buffer
      - .offset:         120
        .size:           4
        .value_kind:     by_value
      - .address_space:  global
        .offset:         128
        .size:           8
        .value_kind:     global_buffer
      - .address_space:  global
        .offset:         136
        .size:           8
        .value_kind:     global_buffer
      - .offset:         144
        .size:           4
        .value_kind:     hidden_block_count_x
      - .offset:         148
        .size:           4
        .value_kind:     hidden_block_count_y
      - .offset:         152
        .size:           4
        .value_kind:     hidden_block_count_z
      - .offset:         156
        .size:           2
        .value_kind:     hidden_group_size_x
      - .offset:         158
        .size:           2
        .value_kind:     hidden_group_size_y
      - .offset:         160
        .size:           2
        .value_kind:     hidden_group_size_z
      - .offset:         162
        .size:           2
        .value_kind:     hidden_remainder_x
      - .offset:         164
        .size:           2
        .value_kind:     hidden_remainder_y
      - .offset:         166
        .size:           2
        .value_kind:     hidden_remainder_z
      - .offset:         184
        .size:           8
        .value_kind:     hidden_global_offset_x
      - .offset:         192
        .size:           8
        .value_kind:     hidden_global_offset_y
      - .offset:         200
        .size:           8
        .value_kind:     hidden_global_offset_z
      - .offset:         208
        .size:           2
        .value_kind:     hidden_grid_dims
      - .offset:         224
        .size:           8
        .value_kind:     hidden_hostcall_buffer
    .group_segment_fixed_size: 0
    .kernarg_segment_align: 8
    .kernarg_segment_size: 400
    .language:       OpenCL C
    .language_version:
      - 2
      - 0
    .max_flat_workgroup_size: 256
    .name:           _Z38paged_attention_ll4mi_QKV_mfma4_kernelI14__hip_bfloat16S0_LN4vllm18Fp8KVCacheDataTypeE0EhLi32ELi128ELi256ELb0ELi3EEvPKT_PKT0_S8_ifPKiSA_SA_iPKfiiiPfSD_PS3_PT2_iSC_SC_
    .private_segment_fixed_size: 64
    .sgpr_count:     36
    .sgpr_spill_count: 0
    .symbol:         _Z38paged_attention_ll4mi_QKV_mfma4_kernelI14__hip_bfloat16S0_LN4vllm18Fp8KVCacheDataTypeE0EhLi32ELi128ELi256ELb0ELi3EEvPKT_PKT0_S8_ifPKiSA_SA_iPKfiiiPfSD_PS3_PT2_iSC_SC_.kd
    .uniform_work_group_size: 1
    .uses_dynamic_stack: false
    .vgpr_count:     41
    .vgpr_spill_count: 0
    .wavefront_size: 32
    .workgroup_processor_mode: 1
  - .args:
      - .actual_access:  read_only
        .address_space:  global
        .offset:         0
        .size:           8
        .value_kind:     global_buffer
      - .actual_access:  read_only
        .address_space:  global
        .offset:         8
        .size:           8
        .value_kind:     global_buffer
      - .actual_access:  read_only
        .address_space:  global
        .offset:         16
        .size:           8
        .value_kind:     global_buffer
      - .offset:         24
        .size:           4
        .value_kind:     by_value
      - .offset:         28
        .size:           4
        .value_kind:     by_value
      - .actual_access:  read_only
        .address_space:  global
        .offset:         32
        .size:           8
        .value_kind:     global_buffer
      - .actual_access:  read_only
        .address_space:  global
        .offset:         40
        .size:           8
        .value_kind:     global_buffer
      - .actual_access:  read_only
        .address_space:  global
        .offset:         48
        .size:           8
        .value_kind:     global_buffer
      - .offset:         56
        .size:           4
        .value_kind:     by_value
      - .actual_access:  read_only
        .address_space:  global
        .offset:         64
        .size:           8
        .value_kind:     global_buffer
      - .offset:         72
        .size:           4
        .value_kind:     by_value
      - .offset:         76
        .size:           4
        .value_kind:     by_value
      - .offset:         80
        .size:           4
        .value_kind:     by_value
      - .actual_access:  read_only
        .address_space:  global
        .offset:         88
        .size:           8
        .value_kind:     global_buffer
      - .actual_access:  read_only
        .address_space:  global
        .offset:         96
        .size:           8
        .value_kind:     global_buffer
      - .actual_access:  read_only
        .address_space:  global
        .offset:         104
        .size:           8
        .value_kind:     global_buffer
      - .actual_access:  read_only
        .address_space:  global
        .offset:         112
        .size:           8
        .value_kind:     global_buffer
      - .offset:         120
        .size:           4
        .value_kind:     by_value
      - .address_space:  global
        .offset:         128
        .size:           8
        .value_kind:     global_buffer
      - .address_space:  global
        .offset:         136
        .size:           8
        .value_kind:     global_buffer
      - .offset:         144
        .size:           4
        .value_kind:     hidden_block_count_x
      - .offset:         148
        .size:           4
        .value_kind:     hidden_block_count_y
      - .offset:         152
        .size:           4
        .value_kind:     hidden_block_count_z
      - .offset:         156
        .size:           2
        .value_kind:     hidden_group_size_x
      - .offset:         158
        .size:           2
        .value_kind:     hidden_group_size_y
      - .offset:         160
        .size:           2
        .value_kind:     hidden_group_size_z
      - .offset:         162
        .size:           2
        .value_kind:     hidden_remainder_x
      - .offset:         164
        .size:           2
        .value_kind:     hidden_remainder_y
      - .offset:         166
        .size:           2
        .value_kind:     hidden_remainder_z
      - .offset:         184
        .size:           8
        .value_kind:     hidden_global_offset_x
      - .offset:         192
        .size:           8
        .value_kind:     hidden_global_offset_y
      - .offset:         200
        .size:           8
        .value_kind:     hidden_global_offset_z
      - .offset:         208
        .size:           2
        .value_kind:     hidden_grid_dims
      - .offset:         224
        .size:           8
        .value_kind:     hidden_hostcall_buffer
    .group_segment_fixed_size: 0
    .kernarg_segment_align: 8
    .kernarg_segment_size: 400
    .language:       OpenCL C
    .language_version:
      - 2
      - 0
    .max_flat_workgroup_size: 256
    .name:           _Z38paged_attention_ll4mi_QKV_mfma4_kernelI14__hip_bfloat16S0_LN4vllm18Fp8KVCacheDataTypeE0EhLi32ELi128ELi256ELb0ELi4EEvPKT_PKT0_S8_ifPKiSA_SA_iPKfiiiPfSD_PS3_PT2_iSC_SC_
    .private_segment_fixed_size: 64
    .sgpr_count:     36
    .sgpr_spill_count: 0
    .symbol:         _Z38paged_attention_ll4mi_QKV_mfma4_kernelI14__hip_bfloat16S0_LN4vllm18Fp8KVCacheDataTypeE0EhLi32ELi128ELi256ELb0ELi4EEvPKT_PKT0_S8_ifPKiSA_SA_iPKfiiiPfSD_PS3_PT2_iSC_SC_.kd
    .uniform_work_group_size: 1
    .uses_dynamic_stack: false
    .vgpr_count:     41
    .vgpr_spill_count: 0
    .wavefront_size: 32
    .workgroup_processor_mode: 1
  - .args:
      - .actual_access:  read_only
        .address_space:  global
        .offset:         0
        .size:           8
        .value_kind:     global_buffer
      - .actual_access:  read_only
        .address_space:  global
        .offset:         8
        .size:           8
        .value_kind:     global_buffer
      - .actual_access:  read_only
        .address_space:  global
        .offset:         16
        .size:           8
        .value_kind:     global_buffer
      - .offset:         24
        .size:           4
        .value_kind:     by_value
      - .offset:         28
        .size:           4
        .value_kind:     by_value
      - .actual_access:  read_only
        .address_space:  global
        .offset:         32
        .size:           8
        .value_kind:     global_buffer
      - .actual_access:  read_only
        .address_space:  global
        .offset:         40
        .size:           8
        .value_kind:     global_buffer
      - .actual_access:  read_only
        .address_space:  global
        .offset:         48
        .size:           8
        .value_kind:     global_buffer
      - .offset:         56
        .size:           4
        .value_kind:     by_value
      - .actual_access:  read_only
        .address_space:  global
        .offset:         64
        .size:           8
        .value_kind:     global_buffer
      - .offset:         72
        .size:           4
        .value_kind:     by_value
      - .offset:         76
        .size:           4
        .value_kind:     by_value
      - .offset:         80
        .size:           4
        .value_kind:     by_value
      - .actual_access:  write_only
        .address_space:  global
        .offset:         88
        .size:           8
        .value_kind:     global_buffer
      - .actual_access:  write_only
        .address_space:  global
        .offset:         96
        .size:           8
        .value_kind:     global_buffer
      - .actual_access:  write_only
        .address_space:  global
        .offset:         104
        .size:           8
        .value_kind:     global_buffer
      - .actual_access:  read_only
        .address_space:  global
        .offset:         112
        .size:           8
        .value_kind:     global_buffer
      - .offset:         120
        .size:           4
        .value_kind:     by_value
      - .address_space:  global
        .offset:         128
        .size:           8
        .value_kind:     global_buffer
      - .address_space:  global
        .offset:         136
        .size:           8
        .value_kind:     global_buffer
      - .offset:         144
        .size:           4
        .value_kind:     hidden_block_count_x
      - .offset:         148
        .size:           4
        .value_kind:     hidden_block_count_y
      - .offset:         152
        .size:           4
        .value_kind:     hidden_block_count_z
      - .offset:         156
        .size:           2
        .value_kind:     hidden_group_size_x
      - .offset:         158
        .size:           2
        .value_kind:     hidden_group_size_y
      - .offset:         160
        .size:           2
        .value_kind:     hidden_group_size_z
      - .offset:         162
        .size:           2
        .value_kind:     hidden_remainder_x
      - .offset:         164
        .size:           2
        .value_kind:     hidden_remainder_y
      - .offset:         166
        .size:           2
        .value_kind:     hidden_remainder_z
      - .offset:         184
        .size:           8
        .value_kind:     hidden_global_offset_x
      - .offset:         192
        .size:           8
        .value_kind:     hidden_global_offset_y
      - .offset:         200
        .size:           8
        .value_kind:     hidden_global_offset_z
      - .offset:         208
        .size:           2
        .value_kind:     hidden_grid_dims
    .group_segment_fixed_size: 17472
    .kernarg_segment_align: 8
    .kernarg_segment_size: 400
    .language:       OpenCL C
    .language_version:
      - 2
      - 0
    .max_flat_workgroup_size: 256
    .name:           _Z39paged_attention_ll4mi_QKV_mfma16_kernelI14__hip_bfloat16S0_LN4vllm18Fp8KVCacheDataTypeE0EhLi32ELi128ELi256ELb0ELi5EL8MFMAType0EEvPKT_PKT0_S9_ifPKiSB_SB_iPKfiiiPfSE_PS4_PT2_iSD_SD_
    .private_segment_fixed_size: 0
    .sgpr_count:     39
    .sgpr_spill_count: 0
    .symbol:         _Z39paged_attention_ll4mi_QKV_mfma16_kernelI14__hip_bfloat16S0_LN4vllm18Fp8KVCacheDataTypeE0EhLi32ELi128ELi256ELb0ELi5EL8MFMAType0EEvPKT_PKT0_S9_ifPKiSB_SB_iPKfiiiPfSE_PS4_PT2_iSD_SD_.kd
    .uniform_work_group_size: 1
    .uses_dynamic_stack: false
    .vgpr_count:     157
    .vgpr_spill_count: 0
    .wavefront_size: 32
    .workgroup_processor_mode: 1
  - .args:
      - .actual_access:  read_only
        .address_space:  global
        .offset:         0
        .size:           8
        .value_kind:     global_buffer
      - .actual_access:  read_only
        .address_space:  global
        .offset:         8
        .size:           8
        .value_kind:     global_buffer
      - .actual_access:  read_only
        .address_space:  global
        .offset:         16
        .size:           8
        .value_kind:     global_buffer
      - .offset:         24
        .size:           4
        .value_kind:     by_value
      - .offset:         28
        .size:           4
        .value_kind:     by_value
      - .actual_access:  read_only
        .address_space:  global
        .offset:         32
        .size:           8
        .value_kind:     global_buffer
      - .actual_access:  read_only
        .address_space:  global
        .offset:         40
        .size:           8
        .value_kind:     global_buffer
      - .actual_access:  read_only
        .address_space:  global
        .offset:         48
        .size:           8
        .value_kind:     global_buffer
      - .offset:         56
        .size:           4
        .value_kind:     by_value
      - .actual_access:  read_only
        .address_space:  global
        .offset:         64
        .size:           8
        .value_kind:     global_buffer
      - .offset:         72
        .size:           4
        .value_kind:     by_value
      - .offset:         76
        .size:           4
        .value_kind:     by_value
      - .offset:         80
        .size:           4
        .value_kind:     by_value
      - .actual_access:  write_only
        .address_space:  global
        .offset:         88
        .size:           8
        .value_kind:     global_buffer
      - .actual_access:  write_only
        .address_space:  global
        .offset:         96
        .size:           8
        .value_kind:     global_buffer
      - .actual_access:  write_only
        .address_space:  global
        .offset:         104
        .size:           8
        .value_kind:     global_buffer
      - .actual_access:  read_only
        .address_space:  global
        .offset:         112
        .size:           8
        .value_kind:     global_buffer
      - .offset:         120
        .size:           4
        .value_kind:     by_value
      - .address_space:  global
        .offset:         128
        .size:           8
        .value_kind:     global_buffer
      - .address_space:  global
        .offset:         136
        .size:           8
        .value_kind:     global_buffer
      - .offset:         144
        .size:           4
        .value_kind:     hidden_block_count_x
      - .offset:         148
        .size:           4
        .value_kind:     hidden_block_count_y
      - .offset:         152
        .size:           4
        .value_kind:     hidden_block_count_z
      - .offset:         156
        .size:           2
        .value_kind:     hidden_group_size_x
      - .offset:         158
        .size:           2
        .value_kind:     hidden_group_size_y
      - .offset:         160
        .size:           2
        .value_kind:     hidden_group_size_z
      - .offset:         162
        .size:           2
        .value_kind:     hidden_remainder_x
      - .offset:         164
        .size:           2
        .value_kind:     hidden_remainder_y
      - .offset:         166
        .size:           2
        .value_kind:     hidden_remainder_z
      - .offset:         184
        .size:           8
        .value_kind:     hidden_global_offset_x
      - .offset:         192
        .size:           8
        .value_kind:     hidden_global_offset_y
      - .offset:         200
        .size:           8
        .value_kind:     hidden_global_offset_z
      - .offset:         208
        .size:           2
        .value_kind:     hidden_grid_dims
    .group_segment_fixed_size: 17472
    .kernarg_segment_align: 8
    .kernarg_segment_size: 400
    .language:       OpenCL C
    .language_version:
      - 2
      - 0
    .max_flat_workgroup_size: 256
    .name:           _Z39paged_attention_ll4mi_QKV_mfma16_kernelI14__hip_bfloat16S0_LN4vllm18Fp8KVCacheDataTypeE0EhLi32ELi128ELi256ELb0ELi6EL8MFMAType0EEvPKT_PKT0_S9_ifPKiSB_SB_iPKfiiiPfSE_PS4_PT2_iSD_SD_
    .private_segment_fixed_size: 0
    .sgpr_count:     40
    .sgpr_spill_count: 0
    .symbol:         _Z39paged_attention_ll4mi_QKV_mfma16_kernelI14__hip_bfloat16S0_LN4vllm18Fp8KVCacheDataTypeE0EhLi32ELi128ELi256ELb0ELi6EL8MFMAType0EEvPKT_PKT0_S9_ifPKiSB_SB_iPKfiiiPfSE_PS4_PT2_iSD_SD_.kd
    .uniform_work_group_size: 1
    .uses_dynamic_stack: false
    .vgpr_count:     157
    .vgpr_spill_count: 0
    .wavefront_size: 32
    .workgroup_processor_mode: 1
  - .args:
      - .actual_access:  read_only
        .address_space:  global
        .offset:         0
        .size:           8
        .value_kind:     global_buffer
      - .actual_access:  read_only
        .address_space:  global
        .offset:         8
        .size:           8
        .value_kind:     global_buffer
      - .actual_access:  read_only
        .address_space:  global
        .offset:         16
        .size:           8
        .value_kind:     global_buffer
      - .offset:         24
        .size:           4
        .value_kind:     by_value
      - .offset:         28
        .size:           4
        .value_kind:     by_value
      - .actual_access:  read_only
        .address_space:  global
        .offset:         32
        .size:           8
        .value_kind:     global_buffer
      - .actual_access:  read_only
        .address_space:  global
        .offset:         40
        .size:           8
        .value_kind:     global_buffer
      - .actual_access:  read_only
        .address_space:  global
        .offset:         48
        .size:           8
        .value_kind:     global_buffer
      - .offset:         56
        .size:           4
        .value_kind:     by_value
      - .actual_access:  read_only
        .address_space:  global
        .offset:         64
        .size:           8
        .value_kind:     global_buffer
      - .offset:         72
        .size:           4
        .value_kind:     by_value
      - .offset:         76
        .size:           4
        .value_kind:     by_value
      - .offset:         80
        .size:           4
        .value_kind:     by_value
      - .actual_access:  write_only
        .address_space:  global
        .offset:         88
        .size:           8
        .value_kind:     global_buffer
      - .actual_access:  write_only
        .address_space:  global
        .offset:         96
        .size:           8
        .value_kind:     global_buffer
      - .actual_access:  write_only
        .address_space:  global
        .offset:         104
        .size:           8
        .value_kind:     global_buffer
      - .actual_access:  read_only
        .address_space:  global
        .offset:         112
        .size:           8
        .value_kind:     global_buffer
      - .offset:         120
        .size:           4
        .value_kind:     by_value
      - .address_space:  global
        .offset:         128
        .size:           8
        .value_kind:     global_buffer
      - .address_space:  global
        .offset:         136
        .size:           8
        .value_kind:     global_buffer
      - .offset:         144
        .size:           4
        .value_kind:     hidden_block_count_x
      - .offset:         148
        .size:           4
        .value_kind:     hidden_block_count_y
      - .offset:         152
        .size:           4
        .value_kind:     hidden_block_count_z
      - .offset:         156
        .size:           2
        .value_kind:     hidden_group_size_x
      - .offset:         158
        .size:           2
        .value_kind:     hidden_group_size_y
      - .offset:         160
        .size:           2
        .value_kind:     hidden_group_size_z
      - .offset:         162
        .size:           2
        .value_kind:     hidden_remainder_x
      - .offset:         164
        .size:           2
        .value_kind:     hidden_remainder_y
      - .offset:         166
        .size:           2
        .value_kind:     hidden_remainder_z
      - .offset:         184
        .size:           8
        .value_kind:     hidden_global_offset_x
      - .offset:         192
        .size:           8
        .value_kind:     hidden_global_offset_y
      - .offset:         200
        .size:           8
        .value_kind:     hidden_global_offset_z
      - .offset:         208
        .size:           2
        .value_kind:     hidden_grid_dims
    .group_segment_fixed_size: 17472
    .kernarg_segment_align: 8
    .kernarg_segment_size: 400
    .language:       OpenCL C
    .language_version:
      - 2
      - 0
    .max_flat_workgroup_size: 256
    .name:           _Z39paged_attention_ll4mi_QKV_mfma16_kernelI14__hip_bfloat16S0_LN4vllm18Fp8KVCacheDataTypeE0EhLi32ELi128ELi256ELb0ELi7EL8MFMAType0EEvPKT_PKT0_S9_ifPKiSB_SB_iPKfiiiPfSE_PS4_PT2_iSD_SD_
    .private_segment_fixed_size: 0
    .sgpr_count:     39
    .sgpr_spill_count: 0
    .symbol:         _Z39paged_attention_ll4mi_QKV_mfma16_kernelI14__hip_bfloat16S0_LN4vllm18Fp8KVCacheDataTypeE0EhLi32ELi128ELi256ELb0ELi7EL8MFMAType0EEvPKT_PKT0_S9_ifPKiSB_SB_iPKfiiiPfSE_PS4_PT2_iSD_SD_.kd
    .uniform_work_group_size: 1
    .uses_dynamic_stack: false
    .vgpr_count:     157
    .vgpr_spill_count: 0
    .wavefront_size: 32
    .workgroup_processor_mode: 1
  - .args:
      - .actual_access:  read_only
        .address_space:  global
        .offset:         0
        .size:           8
        .value_kind:     global_buffer
      - .actual_access:  read_only
        .address_space:  global
        .offset:         8
        .size:           8
        .value_kind:     global_buffer
      - .actual_access:  read_only
        .address_space:  global
        .offset:         16
        .size:           8
        .value_kind:     global_buffer
      - .offset:         24
        .size:           4
        .value_kind:     by_value
      - .offset:         28
        .size:           4
        .value_kind:     by_value
      - .actual_access:  read_only
        .address_space:  global
        .offset:         32
        .size:           8
        .value_kind:     global_buffer
      - .actual_access:  read_only
        .address_space:  global
        .offset:         40
        .size:           8
        .value_kind:     global_buffer
      - .actual_access:  read_only
        .address_space:  global
        .offset:         48
        .size:           8
        .value_kind:     global_buffer
      - .offset:         56
        .size:           4
        .value_kind:     by_value
      - .actual_access:  read_only
        .address_space:  global
        .offset:         64
        .size:           8
        .value_kind:     global_buffer
      - .offset:         72
        .size:           4
        .value_kind:     by_value
      - .offset:         76
        .size:           4
        .value_kind:     by_value
      - .offset:         80
        .size:           4
        .value_kind:     by_value
      - .actual_access:  write_only
        .address_space:  global
        .offset:         88
        .size:           8
        .value_kind:     global_buffer
      - .actual_access:  write_only
        .address_space:  global
        .offset:         96
        .size:           8
        .value_kind:     global_buffer
      - .actual_access:  write_only
        .address_space:  global
        .offset:         104
        .size:           8
        .value_kind:     global_buffer
      - .actual_access:  read_only
        .address_space:  global
        .offset:         112
        .size:           8
        .value_kind:     global_buffer
      - .offset:         120
        .size:           4
        .value_kind:     by_value
      - .address_space:  global
        .offset:         128
        .size:           8
        .value_kind:     global_buffer
      - .address_space:  global
        .offset:         136
        .size:           8
        .value_kind:     global_buffer
      - .offset:         144
        .size:           4
        .value_kind:     hidden_block_count_x
      - .offset:         148
        .size:           4
        .value_kind:     hidden_block_count_y
      - .offset:         152
        .size:           4
        .value_kind:     hidden_block_count_z
      - .offset:         156
        .size:           2
        .value_kind:     hidden_group_size_x
      - .offset:         158
        .size:           2
        .value_kind:     hidden_group_size_y
      - .offset:         160
        .size:           2
        .value_kind:     hidden_group_size_z
      - .offset:         162
        .size:           2
        .value_kind:     hidden_remainder_x
      - .offset:         164
        .size:           2
        .value_kind:     hidden_remainder_y
      - .offset:         166
        .size:           2
        .value_kind:     hidden_remainder_z
      - .offset:         184
        .size:           8
        .value_kind:     hidden_global_offset_x
      - .offset:         192
        .size:           8
        .value_kind:     hidden_global_offset_y
      - .offset:         200
        .size:           8
        .value_kind:     hidden_global_offset_z
      - .offset:         208
        .size:           2
        .value_kind:     hidden_grid_dims
    .group_segment_fixed_size: 17472
    .kernarg_segment_align: 8
    .kernarg_segment_size: 400
    .language:       OpenCL C
    .language_version:
      - 2
      - 0
    .max_flat_workgroup_size: 256
    .name:           _Z39paged_attention_ll4mi_QKV_mfma16_kernelI14__hip_bfloat16S0_LN4vllm18Fp8KVCacheDataTypeE0EhLi32ELi128ELi256ELb0ELi8EL8MFMAType0EEvPKT_PKT0_S9_ifPKiSB_SB_iPKfiiiPfSE_PS4_PT2_iSD_SD_
    .private_segment_fixed_size: 0
    .sgpr_count:     42
    .sgpr_spill_count: 0
    .symbol:         _Z39paged_attention_ll4mi_QKV_mfma16_kernelI14__hip_bfloat16S0_LN4vllm18Fp8KVCacheDataTypeE0EhLi32ELi128ELi256ELb0ELi8EL8MFMAType0EEvPKT_PKT0_S9_ifPKiSB_SB_iPKfiiiPfSE_PS4_PT2_iSD_SD_.kd
    .uniform_work_group_size: 1
    .uses_dynamic_stack: false
    .vgpr_count:     157
    .vgpr_spill_count: 0
    .wavefront_size: 32
    .workgroup_processor_mode: 1
  - .args:
      - .actual_access:  read_only
        .address_space:  global
        .offset:         0
        .size:           8
        .value_kind:     global_buffer
      - .actual_access:  read_only
        .address_space:  global
        .offset:         8
        .size:           8
        .value_kind:     global_buffer
      - .actual_access:  read_only
        .address_space:  global
        .offset:         16
        .size:           8
        .value_kind:     global_buffer
      - .offset:         24
        .size:           4
        .value_kind:     by_value
      - .offset:         28
        .size:           4
        .value_kind:     by_value
      - .actual_access:  read_only
        .address_space:  global
        .offset:         32
        .size:           8
        .value_kind:     global_buffer
      - .actual_access:  read_only
        .address_space:  global
        .offset:         40
        .size:           8
        .value_kind:     global_buffer
      - .actual_access:  read_only
        .address_space:  global
        .offset:         48
        .size:           8
        .value_kind:     global_buffer
      - .offset:         56
        .size:           4
        .value_kind:     by_value
      - .actual_access:  read_only
        .address_space:  global
        .offset:         64
        .size:           8
        .value_kind:     global_buffer
      - .offset:         72
        .size:           4
        .value_kind:     by_value
      - .offset:         76
        .size:           4
        .value_kind:     by_value
      - .offset:         80
        .size:           4
        .value_kind:     by_value
      - .actual_access:  write_only
        .address_space:  global
        .offset:         88
        .size:           8
        .value_kind:     global_buffer
      - .actual_access:  write_only
        .address_space:  global
        .offset:         96
        .size:           8
        .value_kind:     global_buffer
      - .actual_access:  write_only
        .address_space:  global
        .offset:         104
        .size:           8
        .value_kind:     global_buffer
      - .actual_access:  read_only
        .address_space:  global
        .offset:         112
        .size:           8
        .value_kind:     global_buffer
      - .offset:         120
        .size:           4
        .value_kind:     by_value
      - .address_space:  global
        .offset:         128
        .size:           8
        .value_kind:     global_buffer
      - .address_space:  global
        .offset:         136
        .size:           8
        .value_kind:     global_buffer
      - .offset:         144
        .size:           4
        .value_kind:     hidden_block_count_x
      - .offset:         148
        .size:           4
        .value_kind:     hidden_block_count_y
      - .offset:         152
        .size:           4
        .value_kind:     hidden_block_count_z
      - .offset:         156
        .size:           2
        .value_kind:     hidden_group_size_x
      - .offset:         158
        .size:           2
        .value_kind:     hidden_group_size_y
      - .offset:         160
        .size:           2
        .value_kind:     hidden_group_size_z
      - .offset:         162
        .size:           2
        .value_kind:     hidden_remainder_x
      - .offset:         164
        .size:           2
        .value_kind:     hidden_remainder_y
      - .offset:         166
        .size:           2
        .value_kind:     hidden_remainder_z
      - .offset:         184
        .size:           8
        .value_kind:     hidden_global_offset_x
      - .offset:         192
        .size:           8
        .value_kind:     hidden_global_offset_y
      - .offset:         200
        .size:           8
        .value_kind:     hidden_global_offset_z
      - .offset:         208
        .size:           2
        .value_kind:     hidden_grid_dims
    .group_segment_fixed_size: 17472
    .kernarg_segment_align: 8
    .kernarg_segment_size: 400
    .language:       OpenCL C
    .language_version:
      - 2
      - 0
    .max_flat_workgroup_size: 256
    .name:           _Z39paged_attention_ll4mi_QKV_mfma16_kernelI14__hip_bfloat16S0_LN4vllm18Fp8KVCacheDataTypeE0EhLi32ELi128ELi256ELb0ELi9EL8MFMAType0EEvPKT_PKT0_S9_ifPKiSB_SB_iPKfiiiPfSE_PS4_PT2_iSD_SD_
    .private_segment_fixed_size: 0
    .sgpr_count:     40
    .sgpr_spill_count: 0
    .symbol:         _Z39paged_attention_ll4mi_QKV_mfma16_kernelI14__hip_bfloat16S0_LN4vllm18Fp8KVCacheDataTypeE0EhLi32ELi128ELi256ELb0ELi9EL8MFMAType0EEvPKT_PKT0_S9_ifPKiSB_SB_iPKfiiiPfSE_PS4_PT2_iSD_SD_.kd
    .uniform_work_group_size: 1
    .uses_dynamic_stack: false
    .vgpr_count:     157
    .vgpr_spill_count: 0
    .wavefront_size: 32
    .workgroup_processor_mode: 1
  - .args:
      - .actual_access:  read_only
        .address_space:  global
        .offset:         0
        .size:           8
        .value_kind:     global_buffer
      - .actual_access:  read_only
        .address_space:  global
        .offset:         8
        .size:           8
        .value_kind:     global_buffer
      - .actual_access:  read_only
        .address_space:  global
        .offset:         16
        .size:           8
        .value_kind:     global_buffer
      - .offset:         24
        .size:           4
        .value_kind:     by_value
      - .offset:         28
        .size:           4
        .value_kind:     by_value
      - .actual_access:  read_only
        .address_space:  global
        .offset:         32
        .size:           8
        .value_kind:     global_buffer
      - .actual_access:  read_only
        .address_space:  global
        .offset:         40
        .size:           8
        .value_kind:     global_buffer
      - .actual_access:  read_only
        .address_space:  global
        .offset:         48
        .size:           8
        .value_kind:     global_buffer
      - .offset:         56
        .size:           4
        .value_kind:     by_value
      - .actual_access:  read_only
        .address_space:  global
        .offset:         64
        .size:           8
        .value_kind:     global_buffer
      - .offset:         72
        .size:           4
        .value_kind:     by_value
      - .offset:         76
        .size:           4
        .value_kind:     by_value
      - .offset:         80
        .size:           4
        .value_kind:     by_value
      - .actual_access:  write_only
        .address_space:  global
        .offset:         88
        .size:           8
        .value_kind:     global_buffer
      - .actual_access:  write_only
        .address_space:  global
        .offset:         96
        .size:           8
        .value_kind:     global_buffer
      - .actual_access:  write_only
        .address_space:  global
        .offset:         104
        .size:           8
        .value_kind:     global_buffer
      - .actual_access:  read_only
        .address_space:  global
        .offset:         112
        .size:           8
        .value_kind:     global_buffer
      - .offset:         120
        .size:           4
        .value_kind:     by_value
      - .address_space:  global
        .offset:         128
        .size:           8
        .value_kind:     global_buffer
      - .address_space:  global
        .offset:         136
        .size:           8
        .value_kind:     global_buffer
      - .offset:         144
        .size:           4
        .value_kind:     hidden_block_count_x
      - .offset:         148
        .size:           4
        .value_kind:     hidden_block_count_y
      - .offset:         152
        .size:           4
        .value_kind:     hidden_block_count_z
      - .offset:         156
        .size:           2
        .value_kind:     hidden_group_size_x
      - .offset:         158
        .size:           2
        .value_kind:     hidden_group_size_y
      - .offset:         160
        .size:           2
        .value_kind:     hidden_group_size_z
      - .offset:         162
        .size:           2
        .value_kind:     hidden_remainder_x
      - .offset:         164
        .size:           2
        .value_kind:     hidden_remainder_y
      - .offset:         166
        .size:           2
        .value_kind:     hidden_remainder_z
      - .offset:         184
        .size:           8
        .value_kind:     hidden_global_offset_x
      - .offset:         192
        .size:           8
        .value_kind:     hidden_global_offset_y
      - .offset:         200
        .size:           8
        .value_kind:     hidden_global_offset_z
      - .offset:         208
        .size:           2
        .value_kind:     hidden_grid_dims
    .group_segment_fixed_size: 17472
    .kernarg_segment_align: 8
    .kernarg_segment_size: 400
    .language:       OpenCL C
    .language_version:
      - 2
      - 0
    .max_flat_workgroup_size: 256
    .name:           _Z39paged_attention_ll4mi_QKV_mfma16_kernelI14__hip_bfloat16S0_LN4vllm18Fp8KVCacheDataTypeE0EhLi32ELi128ELi256ELb0ELi10EL8MFMAType0EEvPKT_PKT0_S9_ifPKiSB_SB_iPKfiiiPfSE_PS4_PT2_iSD_SD_
    .private_segment_fixed_size: 0
    .sgpr_count:     42
    .sgpr_spill_count: 0
    .symbol:         _Z39paged_attention_ll4mi_QKV_mfma16_kernelI14__hip_bfloat16S0_LN4vllm18Fp8KVCacheDataTypeE0EhLi32ELi128ELi256ELb0ELi10EL8MFMAType0EEvPKT_PKT0_S9_ifPKiSB_SB_iPKfiiiPfSE_PS4_PT2_iSD_SD_.kd
    .uniform_work_group_size: 1
    .uses_dynamic_stack: false
    .vgpr_count:     157
    .vgpr_spill_count: 0
    .wavefront_size: 32
    .workgroup_processor_mode: 1
  - .args:
      - .actual_access:  read_only
        .address_space:  global
        .offset:         0
        .size:           8
        .value_kind:     global_buffer
      - .actual_access:  read_only
        .address_space:  global
        .offset:         8
        .size:           8
        .value_kind:     global_buffer
      - .actual_access:  read_only
        .address_space:  global
        .offset:         16
        .size:           8
        .value_kind:     global_buffer
      - .offset:         24
        .size:           4
        .value_kind:     by_value
      - .offset:         28
        .size:           4
        .value_kind:     by_value
      - .actual_access:  read_only
        .address_space:  global
        .offset:         32
        .size:           8
        .value_kind:     global_buffer
      - .actual_access:  read_only
        .address_space:  global
        .offset:         40
        .size:           8
        .value_kind:     global_buffer
      - .actual_access:  read_only
        .address_space:  global
        .offset:         48
        .size:           8
        .value_kind:     global_buffer
      - .offset:         56
        .size:           4
        .value_kind:     by_value
      - .actual_access:  read_only
        .address_space:  global
        .offset:         64
        .size:           8
        .value_kind:     global_buffer
      - .offset:         72
        .size:           4
        .value_kind:     by_value
      - .offset:         76
        .size:           4
        .value_kind:     by_value
      - .offset:         80
        .size:           4
        .value_kind:     by_value
      - .actual_access:  write_only
        .address_space:  global
        .offset:         88
        .size:           8
        .value_kind:     global_buffer
      - .actual_access:  write_only
        .address_space:  global
        .offset:         96
        .size:           8
        .value_kind:     global_buffer
      - .actual_access:  write_only
        .address_space:  global
        .offset:         104
        .size:           8
        .value_kind:     global_buffer
      - .actual_access:  read_only
        .address_space:  global
        .offset:         112
        .size:           8
        .value_kind:     global_buffer
      - .offset:         120
        .size:           4
        .value_kind:     by_value
      - .address_space:  global
        .offset:         128
        .size:           8
        .value_kind:     global_buffer
      - .address_space:  global
        .offset:         136
        .size:           8
        .value_kind:     global_buffer
      - .offset:         144
        .size:           4
        .value_kind:     hidden_block_count_x
      - .offset:         148
        .size:           4
        .value_kind:     hidden_block_count_y
      - .offset:         152
        .size:           4
        .value_kind:     hidden_block_count_z
      - .offset:         156
        .size:           2
        .value_kind:     hidden_group_size_x
      - .offset:         158
        .size:           2
        .value_kind:     hidden_group_size_y
      - .offset:         160
        .size:           2
        .value_kind:     hidden_group_size_z
      - .offset:         162
        .size:           2
        .value_kind:     hidden_remainder_x
      - .offset:         164
        .size:           2
        .value_kind:     hidden_remainder_y
      - .offset:         166
        .size:           2
        .value_kind:     hidden_remainder_z
      - .offset:         184
        .size:           8
        .value_kind:     hidden_global_offset_x
      - .offset:         192
        .size:           8
        .value_kind:     hidden_global_offset_y
      - .offset:         200
        .size:           8
        .value_kind:     hidden_global_offset_z
      - .offset:         208
        .size:           2
        .value_kind:     hidden_grid_dims
    .group_segment_fixed_size: 17472
    .kernarg_segment_align: 8
    .kernarg_segment_size: 400
    .language:       OpenCL C
    .language_version:
      - 2
      - 0
    .max_flat_workgroup_size: 256
    .name:           _Z39paged_attention_ll4mi_QKV_mfma16_kernelI14__hip_bfloat16S0_LN4vllm18Fp8KVCacheDataTypeE0EhLi32ELi128ELi256ELb0ELi11EL8MFMAType0EEvPKT_PKT0_S9_ifPKiSB_SB_iPKfiiiPfSE_PS4_PT2_iSD_SD_
    .private_segment_fixed_size: 0
    .sgpr_count:     40
    .sgpr_spill_count: 0
    .symbol:         _Z39paged_attention_ll4mi_QKV_mfma16_kernelI14__hip_bfloat16S0_LN4vllm18Fp8KVCacheDataTypeE0EhLi32ELi128ELi256ELb0ELi11EL8MFMAType0EEvPKT_PKT0_S9_ifPKiSB_SB_iPKfiiiPfSE_PS4_PT2_iSD_SD_.kd
    .uniform_work_group_size: 1
    .uses_dynamic_stack: false
    .vgpr_count:     157
    .vgpr_spill_count: 0
    .wavefront_size: 32
    .workgroup_processor_mode: 1
  - .args:
      - .actual_access:  read_only
        .address_space:  global
        .offset:         0
        .size:           8
        .value_kind:     global_buffer
      - .actual_access:  read_only
        .address_space:  global
        .offset:         8
        .size:           8
        .value_kind:     global_buffer
      - .actual_access:  read_only
        .address_space:  global
        .offset:         16
        .size:           8
        .value_kind:     global_buffer
      - .offset:         24
        .size:           4
        .value_kind:     by_value
      - .offset:         28
        .size:           4
        .value_kind:     by_value
      - .actual_access:  read_only
        .address_space:  global
        .offset:         32
        .size:           8
        .value_kind:     global_buffer
      - .actual_access:  read_only
        .address_space:  global
        .offset:         40
        .size:           8
        .value_kind:     global_buffer
      - .actual_access:  read_only
        .address_space:  global
        .offset:         48
        .size:           8
        .value_kind:     global_buffer
      - .offset:         56
        .size:           4
        .value_kind:     by_value
      - .actual_access:  read_only
        .address_space:  global
        .offset:         64
        .size:           8
        .value_kind:     global_buffer
      - .offset:         72
        .size:           4
        .value_kind:     by_value
      - .offset:         76
        .size:           4
        .value_kind:     by_value
      - .offset:         80
        .size:           4
        .value_kind:     by_value
      - .actual_access:  write_only
        .address_space:  global
        .offset:         88
        .size:           8
        .value_kind:     global_buffer
      - .actual_access:  write_only
        .address_space:  global
        .offset:         96
        .size:           8
        .value_kind:     global_buffer
      - .actual_access:  write_only
        .address_space:  global
        .offset:         104
        .size:           8
        .value_kind:     global_buffer
      - .actual_access:  read_only
        .address_space:  global
        .offset:         112
        .size:           8
        .value_kind:     global_buffer
      - .offset:         120
        .size:           4
        .value_kind:     by_value
      - .address_space:  global
        .offset:         128
        .size:           8
        .value_kind:     global_buffer
      - .address_space:  global
        .offset:         136
        .size:           8
        .value_kind:     global_buffer
      - .offset:         144
        .size:           4
        .value_kind:     hidden_block_count_x
      - .offset:         148
        .size:           4
        .value_kind:     hidden_block_count_y
      - .offset:         152
        .size:           4
        .value_kind:     hidden_block_count_z
      - .offset:         156
        .size:           2
        .value_kind:     hidden_group_size_x
      - .offset:         158
        .size:           2
        .value_kind:     hidden_group_size_y
      - .offset:         160
        .size:           2
        .value_kind:     hidden_group_size_z
      - .offset:         162
        .size:           2
        .value_kind:     hidden_remainder_x
      - .offset:         164
        .size:           2
        .value_kind:     hidden_remainder_y
      - .offset:         166
        .size:           2
        .value_kind:     hidden_remainder_z
      - .offset:         184
        .size:           8
        .value_kind:     hidden_global_offset_x
      - .offset:         192
        .size:           8
        .value_kind:     hidden_global_offset_y
      - .offset:         200
        .size:           8
        .value_kind:     hidden_global_offset_z
      - .offset:         208
        .size:           2
        .value_kind:     hidden_grid_dims
    .group_segment_fixed_size: 17472
    .kernarg_segment_align: 8
    .kernarg_segment_size: 400
    .language:       OpenCL C
    .language_version:
      - 2
      - 0
    .max_flat_workgroup_size: 256
    .name:           _Z39paged_attention_ll4mi_QKV_mfma16_kernelI14__hip_bfloat16S0_LN4vllm18Fp8KVCacheDataTypeE0EhLi32ELi128ELi256ELb0ELi12EL8MFMAType0EEvPKT_PKT0_S9_ifPKiSB_SB_iPKfiiiPfSE_PS4_PT2_iSD_SD_
    .private_segment_fixed_size: 0
    .sgpr_count:     42
    .sgpr_spill_count: 0
    .symbol:         _Z39paged_attention_ll4mi_QKV_mfma16_kernelI14__hip_bfloat16S0_LN4vllm18Fp8KVCacheDataTypeE0EhLi32ELi128ELi256ELb0ELi12EL8MFMAType0EEvPKT_PKT0_S9_ifPKiSB_SB_iPKfiiiPfSE_PS4_PT2_iSD_SD_.kd
    .uniform_work_group_size: 1
    .uses_dynamic_stack: false
    .vgpr_count:     157
    .vgpr_spill_count: 0
    .wavefront_size: 32
    .workgroup_processor_mode: 1
  - .args:
      - .actual_access:  read_only
        .address_space:  global
        .offset:         0
        .size:           8
        .value_kind:     global_buffer
      - .actual_access:  read_only
        .address_space:  global
        .offset:         8
        .size:           8
        .value_kind:     global_buffer
      - .actual_access:  read_only
        .address_space:  global
        .offset:         16
        .size:           8
        .value_kind:     global_buffer
      - .offset:         24
        .size:           4
        .value_kind:     by_value
      - .offset:         28
        .size:           4
        .value_kind:     by_value
      - .actual_access:  read_only
        .address_space:  global
        .offset:         32
        .size:           8
        .value_kind:     global_buffer
      - .actual_access:  read_only
        .address_space:  global
        .offset:         40
        .size:           8
        .value_kind:     global_buffer
      - .actual_access:  read_only
        .address_space:  global
        .offset:         48
        .size:           8
        .value_kind:     global_buffer
      - .offset:         56
        .size:           4
        .value_kind:     by_value
      - .actual_access:  read_only
        .address_space:  global
        .offset:         64
        .size:           8
        .value_kind:     global_buffer
      - .offset:         72
        .size:           4
        .value_kind:     by_value
      - .offset:         76
        .size:           4
        .value_kind:     by_value
      - .offset:         80
        .size:           4
        .value_kind:     by_value
      - .actual_access:  write_only
        .address_space:  global
        .offset:         88
        .size:           8
        .value_kind:     global_buffer
      - .actual_access:  write_only
        .address_space:  global
        .offset:         96
        .size:           8
        .value_kind:     global_buffer
      - .actual_access:  write_only
        .address_space:  global
        .offset:         104
        .size:           8
        .value_kind:     global_buffer
      - .actual_access:  read_only
        .address_space:  global
        .offset:         112
        .size:           8
        .value_kind:     global_buffer
      - .offset:         120
        .size:           4
        .value_kind:     by_value
      - .address_space:  global
        .offset:         128
        .size:           8
        .value_kind:     global_buffer
      - .address_space:  global
        .offset:         136
        .size:           8
        .value_kind:     global_buffer
      - .offset:         144
        .size:           4
        .value_kind:     hidden_block_count_x
      - .offset:         148
        .size:           4
        .value_kind:     hidden_block_count_y
      - .offset:         152
        .size:           4
        .value_kind:     hidden_block_count_z
      - .offset:         156
        .size:           2
        .value_kind:     hidden_group_size_x
      - .offset:         158
        .size:           2
        .value_kind:     hidden_group_size_y
      - .offset:         160
        .size:           2
        .value_kind:     hidden_group_size_z
      - .offset:         162
        .size:           2
        .value_kind:     hidden_remainder_x
      - .offset:         164
        .size:           2
        .value_kind:     hidden_remainder_y
      - .offset:         166
        .size:           2
        .value_kind:     hidden_remainder_z
      - .offset:         184
        .size:           8
        .value_kind:     hidden_global_offset_x
      - .offset:         192
        .size:           8
        .value_kind:     hidden_global_offset_y
      - .offset:         200
        .size:           8
        .value_kind:     hidden_global_offset_z
      - .offset:         208
        .size:           2
        .value_kind:     hidden_grid_dims
    .group_segment_fixed_size: 17472
    .kernarg_segment_align: 8
    .kernarg_segment_size: 400
    .language:       OpenCL C
    .language_version:
      - 2
      - 0
    .max_flat_workgroup_size: 256
    .name:           _Z39paged_attention_ll4mi_QKV_mfma16_kernelI14__hip_bfloat16S0_LN4vllm18Fp8KVCacheDataTypeE0EhLi32ELi128ELi256ELb0ELi13EL8MFMAType0EEvPKT_PKT0_S9_ifPKiSB_SB_iPKfiiiPfSE_PS4_PT2_iSD_SD_
    .private_segment_fixed_size: 0
    .sgpr_count:     40
    .sgpr_spill_count: 0
    .symbol:         _Z39paged_attention_ll4mi_QKV_mfma16_kernelI14__hip_bfloat16S0_LN4vllm18Fp8KVCacheDataTypeE0EhLi32ELi128ELi256ELb0ELi13EL8MFMAType0EEvPKT_PKT0_S9_ifPKiSB_SB_iPKfiiiPfSE_PS4_PT2_iSD_SD_.kd
    .uniform_work_group_size: 1
    .uses_dynamic_stack: false
    .vgpr_count:     157
    .vgpr_spill_count: 0
    .wavefront_size: 32
    .workgroup_processor_mode: 1
  - .args:
      - .actual_access:  read_only
        .address_space:  global
        .offset:         0
        .size:           8
        .value_kind:     global_buffer
      - .actual_access:  read_only
        .address_space:  global
        .offset:         8
        .size:           8
        .value_kind:     global_buffer
      - .actual_access:  read_only
        .address_space:  global
        .offset:         16
        .size:           8
        .value_kind:     global_buffer
      - .offset:         24
        .size:           4
        .value_kind:     by_value
      - .offset:         28
        .size:           4
        .value_kind:     by_value
      - .actual_access:  read_only
        .address_space:  global
        .offset:         32
        .size:           8
        .value_kind:     global_buffer
      - .actual_access:  read_only
        .address_space:  global
        .offset:         40
        .size:           8
        .value_kind:     global_buffer
      - .actual_access:  read_only
        .address_space:  global
        .offset:         48
        .size:           8
        .value_kind:     global_buffer
      - .offset:         56
        .size:           4
        .value_kind:     by_value
      - .actual_access:  read_only
        .address_space:  global
        .offset:         64
        .size:           8
        .value_kind:     global_buffer
      - .offset:         72
        .size:           4
        .value_kind:     by_value
      - .offset:         76
        .size:           4
        .value_kind:     by_value
      - .offset:         80
        .size:           4
        .value_kind:     by_value
      - .actual_access:  write_only
        .address_space:  global
        .offset:         88
        .size:           8
        .value_kind:     global_buffer
      - .actual_access:  write_only
        .address_space:  global
        .offset:         96
        .size:           8
        .value_kind:     global_buffer
      - .actual_access:  write_only
        .address_space:  global
        .offset:         104
        .size:           8
        .value_kind:     global_buffer
      - .actual_access:  read_only
        .address_space:  global
        .offset:         112
        .size:           8
        .value_kind:     global_buffer
      - .offset:         120
        .size:           4
        .value_kind:     by_value
      - .address_space:  global
        .offset:         128
        .size:           8
        .value_kind:     global_buffer
      - .address_space:  global
        .offset:         136
        .size:           8
        .value_kind:     global_buffer
      - .offset:         144
        .size:           4
        .value_kind:     hidden_block_count_x
      - .offset:         148
        .size:           4
        .value_kind:     hidden_block_count_y
      - .offset:         152
        .size:           4
        .value_kind:     hidden_block_count_z
      - .offset:         156
        .size:           2
        .value_kind:     hidden_group_size_x
      - .offset:         158
        .size:           2
        .value_kind:     hidden_group_size_y
      - .offset:         160
        .size:           2
        .value_kind:     hidden_group_size_z
      - .offset:         162
        .size:           2
        .value_kind:     hidden_remainder_x
      - .offset:         164
        .size:           2
        .value_kind:     hidden_remainder_y
      - .offset:         166
        .size:           2
        .value_kind:     hidden_remainder_z
      - .offset:         184
        .size:           8
        .value_kind:     hidden_global_offset_x
      - .offset:         192
        .size:           8
        .value_kind:     hidden_global_offset_y
      - .offset:         200
        .size:           8
        .value_kind:     hidden_global_offset_z
      - .offset:         208
        .size:           2
        .value_kind:     hidden_grid_dims
    .group_segment_fixed_size: 17472
    .kernarg_segment_align: 8
    .kernarg_segment_size: 400
    .language:       OpenCL C
    .language_version:
      - 2
      - 0
    .max_flat_workgroup_size: 256
    .name:           _Z39paged_attention_ll4mi_QKV_mfma16_kernelI14__hip_bfloat16S0_LN4vllm18Fp8KVCacheDataTypeE0EhLi32ELi128ELi256ELb0ELi14EL8MFMAType0EEvPKT_PKT0_S9_ifPKiSB_SB_iPKfiiiPfSE_PS4_PT2_iSD_SD_
    .private_segment_fixed_size: 0
    .sgpr_count:     42
    .sgpr_spill_count: 0
    .symbol:         _Z39paged_attention_ll4mi_QKV_mfma16_kernelI14__hip_bfloat16S0_LN4vllm18Fp8KVCacheDataTypeE0EhLi32ELi128ELi256ELb0ELi14EL8MFMAType0EEvPKT_PKT0_S9_ifPKiSB_SB_iPKfiiiPfSE_PS4_PT2_iSD_SD_.kd
    .uniform_work_group_size: 1
    .uses_dynamic_stack: false
    .vgpr_count:     157
    .vgpr_spill_count: 0
    .wavefront_size: 32
    .workgroup_processor_mode: 1
  - .args:
      - .actual_access:  read_only
        .address_space:  global
        .offset:         0
        .size:           8
        .value_kind:     global_buffer
      - .actual_access:  read_only
        .address_space:  global
        .offset:         8
        .size:           8
        .value_kind:     global_buffer
      - .actual_access:  read_only
        .address_space:  global
        .offset:         16
        .size:           8
        .value_kind:     global_buffer
      - .offset:         24
        .size:           4
        .value_kind:     by_value
      - .offset:         28
        .size:           4
        .value_kind:     by_value
      - .actual_access:  read_only
        .address_space:  global
        .offset:         32
        .size:           8
        .value_kind:     global_buffer
      - .actual_access:  read_only
        .address_space:  global
        .offset:         40
        .size:           8
        .value_kind:     global_buffer
      - .actual_access:  read_only
        .address_space:  global
        .offset:         48
        .size:           8
        .value_kind:     global_buffer
      - .offset:         56
        .size:           4
        .value_kind:     by_value
      - .actual_access:  read_only
        .address_space:  global
        .offset:         64
        .size:           8
        .value_kind:     global_buffer
      - .offset:         72
        .size:           4
        .value_kind:     by_value
      - .offset:         76
        .size:           4
        .value_kind:     by_value
      - .offset:         80
        .size:           4
        .value_kind:     by_value
      - .actual_access:  write_only
        .address_space:  global
        .offset:         88
        .size:           8
        .value_kind:     global_buffer
      - .actual_access:  write_only
        .address_space:  global
        .offset:         96
        .size:           8
        .value_kind:     global_buffer
      - .actual_access:  write_only
        .address_space:  global
        .offset:         104
        .size:           8
        .value_kind:     global_buffer
      - .actual_access:  read_only
        .address_space:  global
        .offset:         112
        .size:           8
        .value_kind:     global_buffer
      - .offset:         120
        .size:           4
        .value_kind:     by_value
      - .address_space:  global
        .offset:         128
        .size:           8
        .value_kind:     global_buffer
      - .address_space:  global
        .offset:         136
        .size:           8
        .value_kind:     global_buffer
      - .offset:         144
        .size:           4
        .value_kind:     hidden_block_count_x
      - .offset:         148
        .size:           4
        .value_kind:     hidden_block_count_y
      - .offset:         152
        .size:           4
        .value_kind:     hidden_block_count_z
      - .offset:         156
        .size:           2
        .value_kind:     hidden_group_size_x
      - .offset:         158
        .size:           2
        .value_kind:     hidden_group_size_y
      - .offset:         160
        .size:           2
        .value_kind:     hidden_group_size_z
      - .offset:         162
        .size:           2
        .value_kind:     hidden_remainder_x
      - .offset:         164
        .size:           2
        .value_kind:     hidden_remainder_y
      - .offset:         166
        .size:           2
        .value_kind:     hidden_remainder_z
      - .offset:         184
        .size:           8
        .value_kind:     hidden_global_offset_x
      - .offset:         192
        .size:           8
        .value_kind:     hidden_global_offset_y
      - .offset:         200
        .size:           8
        .value_kind:     hidden_global_offset_z
      - .offset:         208
        .size:           2
        .value_kind:     hidden_grid_dims
    .group_segment_fixed_size: 17472
    .kernarg_segment_align: 8
    .kernarg_segment_size: 400
    .language:       OpenCL C
    .language_version:
      - 2
      - 0
    .max_flat_workgroup_size: 256
    .name:           _Z39paged_attention_ll4mi_QKV_mfma16_kernelI14__hip_bfloat16S0_LN4vllm18Fp8KVCacheDataTypeE0EhLi32ELi128ELi256ELb0ELi15EL8MFMAType0EEvPKT_PKT0_S9_ifPKiSB_SB_iPKfiiiPfSE_PS4_PT2_iSD_SD_
    .private_segment_fixed_size: 0
    .sgpr_count:     40
    .sgpr_spill_count: 0
    .symbol:         _Z39paged_attention_ll4mi_QKV_mfma16_kernelI14__hip_bfloat16S0_LN4vllm18Fp8KVCacheDataTypeE0EhLi32ELi128ELi256ELb0ELi15EL8MFMAType0EEvPKT_PKT0_S9_ifPKiSB_SB_iPKfiiiPfSE_PS4_PT2_iSD_SD_.kd
    .uniform_work_group_size: 1
    .uses_dynamic_stack: false
    .vgpr_count:     157
    .vgpr_spill_count: 0
    .wavefront_size: 32
    .workgroup_processor_mode: 1
  - .args:
      - .actual_access:  read_only
        .address_space:  global
        .offset:         0
        .size:           8
        .value_kind:     global_buffer
      - .actual_access:  read_only
        .address_space:  global
        .offset:         8
        .size:           8
        .value_kind:     global_buffer
      - .actual_access:  read_only
        .address_space:  global
        .offset:         16
        .size:           8
        .value_kind:     global_buffer
      - .offset:         24
        .size:           4
        .value_kind:     by_value
      - .offset:         28
        .size:           4
        .value_kind:     by_value
      - .actual_access:  read_only
        .address_space:  global
        .offset:         32
        .size:           8
        .value_kind:     global_buffer
      - .actual_access:  read_only
        .address_space:  global
        .offset:         40
        .size:           8
        .value_kind:     global_buffer
      - .actual_access:  read_only
        .address_space:  global
        .offset:         48
        .size:           8
        .value_kind:     global_buffer
      - .offset:         56
        .size:           4
        .value_kind:     by_value
      - .actual_access:  read_only
        .address_space:  global
        .offset:         64
        .size:           8
        .value_kind:     global_buffer
      - .offset:         72
        .size:           4
        .value_kind:     by_value
      - .offset:         76
        .size:           4
        .value_kind:     by_value
      - .offset:         80
        .size:           4
        .value_kind:     by_value
      - .actual_access:  write_only
        .address_space:  global
        .offset:         88
        .size:           8
        .value_kind:     global_buffer
      - .actual_access:  write_only
        .address_space:  global
        .offset:         96
        .size:           8
        .value_kind:     global_buffer
      - .actual_access:  write_only
        .address_space:  global
        .offset:         104
        .size:           8
        .value_kind:     global_buffer
      - .actual_access:  read_only
        .address_space:  global
        .offset:         112
        .size:           8
        .value_kind:     global_buffer
      - .offset:         120
        .size:           4
        .value_kind:     by_value
      - .address_space:  global
        .offset:         128
        .size:           8
        .value_kind:     global_buffer
      - .address_space:  global
        .offset:         136
        .size:           8
        .value_kind:     global_buffer
      - .offset:         144
        .size:           4
        .value_kind:     hidden_block_count_x
      - .offset:         148
        .size:           4
        .value_kind:     hidden_block_count_y
      - .offset:         152
        .size:           4
        .value_kind:     hidden_block_count_z
      - .offset:         156
        .size:           2
        .value_kind:     hidden_group_size_x
      - .offset:         158
        .size:           2
        .value_kind:     hidden_group_size_y
      - .offset:         160
        .size:           2
        .value_kind:     hidden_group_size_z
      - .offset:         162
        .size:           2
        .value_kind:     hidden_remainder_x
      - .offset:         164
        .size:           2
        .value_kind:     hidden_remainder_y
      - .offset:         166
        .size:           2
        .value_kind:     hidden_remainder_z
      - .offset:         184
        .size:           8
        .value_kind:     hidden_global_offset_x
      - .offset:         192
        .size:           8
        .value_kind:     hidden_global_offset_y
      - .offset:         200
        .size:           8
        .value_kind:     hidden_global_offset_z
      - .offset:         208
        .size:           2
        .value_kind:     hidden_grid_dims
    .group_segment_fixed_size: 17472
    .kernarg_segment_align: 8
    .kernarg_segment_size: 400
    .language:       OpenCL C
    .language_version:
      - 2
      - 0
    .max_flat_workgroup_size: 256
    .name:           _Z39paged_attention_ll4mi_QKV_mfma16_kernelI14__hip_bfloat16S0_LN4vllm18Fp8KVCacheDataTypeE0EhLi32ELi128ELi256ELb0ELi16EL8MFMAType0EEvPKT_PKT0_S9_ifPKiSB_SB_iPKfiiiPfSE_PS4_PT2_iSD_SD_
    .private_segment_fixed_size: 0
    .sgpr_count:     40
    .sgpr_spill_count: 0
    .symbol:         _Z39paged_attention_ll4mi_QKV_mfma16_kernelI14__hip_bfloat16S0_LN4vllm18Fp8KVCacheDataTypeE0EhLi32ELi128ELi256ELb0ELi16EL8MFMAType0EEvPKT_PKT0_S9_ifPKiSB_SB_iPKfiiiPfSE_PS4_PT2_iSD_SD_.kd
    .uniform_work_group_size: 1
    .uses_dynamic_stack: false
    .vgpr_count:     150
    .vgpr_spill_count: 0
    .wavefront_size: 32
    .workgroup_processor_mode: 1
  - .args:
      - .actual_access:  read_only
        .address_space:  global
        .offset:         0
        .size:           8
        .value_kind:     global_buffer
      - .actual_access:  read_only
        .address_space:  global
        .offset:         8
        .size:           8
        .value_kind:     global_buffer
      - .actual_access:  read_only
        .address_space:  global
        .offset:         16
        .size:           8
        .value_kind:     global_buffer
      - .offset:         24
        .size:           4
        .value_kind:     by_value
      - .offset:         28
        .size:           4
        .value_kind:     by_value
      - .actual_access:  read_only
        .address_space:  global
        .offset:         32
        .size:           8
        .value_kind:     global_buffer
      - .actual_access:  read_only
        .address_space:  global
        .offset:         40
        .size:           8
        .value_kind:     global_buffer
      - .actual_access:  read_only
        .address_space:  global
        .offset:         48
        .size:           8
        .value_kind:     global_buffer
      - .offset:         56
        .size:           4
        .value_kind:     by_value
      - .actual_access:  read_only
        .address_space:  global
        .offset:         64
        .size:           8
        .value_kind:     global_buffer
      - .offset:         72
        .size:           4
        .value_kind:     by_value
      - .offset:         76
        .size:           4
        .value_kind:     by_value
      - .offset:         80
        .size:           4
        .value_kind:     by_value
      - .actual_access:  write_only
        .address_space:  global
        .offset:         88
        .size:           8
        .value_kind:     global_buffer
      - .actual_access:  write_only
        .address_space:  global
        .offset:         96
        .size:           8
        .value_kind:     global_buffer
      - .actual_access:  write_only
        .address_space:  global
        .offset:         104
        .size:           8
        .value_kind:     global_buffer
      - .actual_access:  read_only
        .address_space:  global
        .offset:         112
        .size:           8
        .value_kind:     global_buffer
      - .offset:         120
        .size:           4
        .value_kind:     by_value
      - .address_space:  global
        .offset:         128
        .size:           8
        .value_kind:     global_buffer
      - .address_space:  global
        .offset:         136
        .size:           8
        .value_kind:     global_buffer
      - .offset:         144
        .size:           4
        .value_kind:     hidden_block_count_x
      - .offset:         148
        .size:           4
        .value_kind:     hidden_block_count_y
      - .offset:         152
        .size:           4
        .value_kind:     hidden_block_count_z
      - .offset:         156
        .size:           2
        .value_kind:     hidden_group_size_x
      - .offset:         158
        .size:           2
        .value_kind:     hidden_group_size_y
      - .offset:         160
        .size:           2
        .value_kind:     hidden_group_size_z
      - .offset:         162
        .size:           2
        .value_kind:     hidden_remainder_x
      - .offset:         164
        .size:           2
        .value_kind:     hidden_remainder_y
      - .offset:         166
        .size:           2
        .value_kind:     hidden_remainder_z
      - .offset:         184
        .size:           8
        .value_kind:     hidden_global_offset_x
      - .offset:         192
        .size:           8
        .value_kind:     hidden_global_offset_y
      - .offset:         200
        .size:           8
        .value_kind:     hidden_global_offset_z
      - .offset:         208
        .size:           2
        .value_kind:     hidden_grid_dims
    .group_segment_fixed_size: 17472
    .kernarg_segment_align: 8
    .kernarg_segment_size: 400
    .language:       OpenCL C
    .language_version:
      - 2
      - 0
    .max_flat_workgroup_size: 256
    .name:           _Z39paged_attention_ll4mi_QKV_mfma16_kernelI14__hip_bfloat16S0_LN4vllm18Fp8KVCacheDataTypeE0EhLi32ELi128ELi256ELb0ELi1EL8MFMAType0EEvPKT_PKT0_S9_ifPKiSB_SB_iPKfiiiPfSE_PS4_PT2_iSD_SD_
    .private_segment_fixed_size: 0
    .sgpr_count:     99
    .sgpr_spill_count: 0
    .symbol:         _Z39paged_attention_ll4mi_QKV_mfma16_kernelI14__hip_bfloat16S0_LN4vllm18Fp8KVCacheDataTypeE0EhLi32ELi128ELi256ELb0ELi1EL8MFMAType0EEvPKT_PKT0_S9_ifPKiSB_SB_iPKfiiiPfSE_PS4_PT2_iSD_SD_.kd
    .uniform_work_group_size: 1
    .uses_dynamic_stack: false
    .vgpr_count:     144
    .vgpr_spill_count: 0
    .wavefront_size: 32
    .workgroup_processor_mode: 1
  - .args:
      - .actual_access:  read_only
        .address_space:  global
        .offset:         0
        .size:           8
        .value_kind:     global_buffer
      - .actual_access:  read_only
        .address_space:  global
        .offset:         8
        .size:           8
        .value_kind:     global_buffer
      - .actual_access:  read_only
        .address_space:  global
        .offset:         16
        .size:           8
        .value_kind:     global_buffer
      - .offset:         24
        .size:           4
        .value_kind:     by_value
      - .offset:         28
        .size:           4
        .value_kind:     by_value
      - .actual_access:  read_only
        .address_space:  global
        .offset:         32
        .size:           8
        .value_kind:     global_buffer
      - .actual_access:  read_only
        .address_space:  global
        .offset:         40
        .size:           8
        .value_kind:     global_buffer
      - .actual_access:  read_only
        .address_space:  global
        .offset:         48
        .size:           8
        .value_kind:     global_buffer
      - .offset:         56
        .size:           4
        .value_kind:     by_value
      - .actual_access:  read_only
        .address_space:  global
        .offset:         64
        .size:           8
        .value_kind:     global_buffer
      - .offset:         72
        .size:           4
        .value_kind:     by_value
      - .offset:         76
        .size:           4
        .value_kind:     by_value
      - .offset:         80
        .size:           4
        .value_kind:     by_value
      - .actual_access:  write_only
        .address_space:  global
        .offset:         88
        .size:           8
        .value_kind:     global_buffer
      - .actual_access:  write_only
        .address_space:  global
        .offset:         96
        .size:           8
        .value_kind:     global_buffer
      - .actual_access:  write_only
        .address_space:  global
        .offset:         104
        .size:           8
        .value_kind:     global_buffer
      - .actual_access:  read_only
        .address_space:  global
        .offset:         112
        .size:           8
        .value_kind:     global_buffer
      - .offset:         120
        .size:           4
        .value_kind:     by_value
      - .address_space:  global
        .offset:         128
        .size:           8
        .value_kind:     global_buffer
      - .address_space:  global
        .offset:         136
        .size:           8
        .value_kind:     global_buffer
      - .offset:         144
        .size:           4
        .value_kind:     hidden_block_count_x
      - .offset:         148
        .size:           4
        .value_kind:     hidden_block_count_y
      - .offset:         152
        .size:           4
        .value_kind:     hidden_block_count_z
      - .offset:         156
        .size:           2
        .value_kind:     hidden_group_size_x
      - .offset:         158
        .size:           2
        .value_kind:     hidden_group_size_y
      - .offset:         160
        .size:           2
        .value_kind:     hidden_group_size_z
      - .offset:         162
        .size:           2
        .value_kind:     hidden_remainder_x
      - .offset:         164
        .size:           2
        .value_kind:     hidden_remainder_y
      - .offset:         166
        .size:           2
        .value_kind:     hidden_remainder_z
      - .offset:         184
        .size:           8
        .value_kind:     hidden_global_offset_x
      - .offset:         192
        .size:           8
        .value_kind:     hidden_global_offset_y
      - .offset:         200
        .size:           8
        .value_kind:     hidden_global_offset_z
      - .offset:         208
        .size:           2
        .value_kind:     hidden_grid_dims
    .group_segment_fixed_size: 17472
    .kernarg_segment_align: 8
    .kernarg_segment_size: 400
    .language:       OpenCL C
    .language_version:
      - 2
      - 0
    .max_flat_workgroup_size: 256
    .name:           _Z39paged_attention_ll4mi_QKV_mfma16_kernelI14__hip_bfloat16S0_LN4vllm18Fp8KVCacheDataTypeE0EhLi32ELi128ELi256ELb0ELi2EL8MFMAType0EEvPKT_PKT0_S9_ifPKiSB_SB_iPKfiiiPfSE_PS4_PT2_iSD_SD_
    .private_segment_fixed_size: 0
    .sgpr_count:     40
    .sgpr_spill_count: 0
    .symbol:         _Z39paged_attention_ll4mi_QKV_mfma16_kernelI14__hip_bfloat16S0_LN4vllm18Fp8KVCacheDataTypeE0EhLi32ELi128ELi256ELb0ELi2EL8MFMAType0EEvPKT_PKT0_S9_ifPKiSB_SB_iPKfiiiPfSE_PS4_PT2_iSD_SD_.kd
    .uniform_work_group_size: 1
    .uses_dynamic_stack: false
    .vgpr_count:     145
    .vgpr_spill_count: 0
    .wavefront_size: 32
    .workgroup_processor_mode: 1
  - .args:
      - .actual_access:  read_only
        .address_space:  global
        .offset:         0
        .size:           8
        .value_kind:     global_buffer
      - .actual_access:  read_only
        .address_space:  global
        .offset:         8
        .size:           8
        .value_kind:     global_buffer
      - .actual_access:  read_only
        .address_space:  global
        .offset:         16
        .size:           8
        .value_kind:     global_buffer
      - .offset:         24
        .size:           4
        .value_kind:     by_value
      - .offset:         28
        .size:           4
        .value_kind:     by_value
      - .actual_access:  read_only
        .address_space:  global
        .offset:         32
        .size:           8
        .value_kind:     global_buffer
      - .actual_access:  read_only
        .address_space:  global
        .offset:         40
        .size:           8
        .value_kind:     global_buffer
      - .actual_access:  read_only
        .address_space:  global
        .offset:         48
        .size:           8
        .value_kind:     global_buffer
      - .offset:         56
        .size:           4
        .value_kind:     by_value
      - .actual_access:  read_only
        .address_space:  global
        .offset:         64
        .size:           8
        .value_kind:     global_buffer
      - .offset:         72
        .size:           4
        .value_kind:     by_value
      - .offset:         76
        .size:           4
        .value_kind:     by_value
      - .offset:         80
        .size:           4
        .value_kind:     by_value
      - .actual_access:  write_only
        .address_space:  global
        .offset:         88
        .size:           8
        .value_kind:     global_buffer
      - .actual_access:  write_only
        .address_space:  global
        .offset:         96
        .size:           8
        .value_kind:     global_buffer
      - .actual_access:  write_only
        .address_space:  global
        .offset:         104
        .size:           8
        .value_kind:     global_buffer
      - .actual_access:  read_only
        .address_space:  global
        .offset:         112
        .size:           8
        .value_kind:     global_buffer
      - .offset:         120
        .size:           4
        .value_kind:     by_value
      - .address_space:  global
        .offset:         128
        .size:           8
        .value_kind:     global_buffer
      - .address_space:  global
        .offset:         136
        .size:           8
        .value_kind:     global_buffer
      - .offset:         144
        .size:           4
        .value_kind:     hidden_block_count_x
      - .offset:         148
        .size:           4
        .value_kind:     hidden_block_count_y
      - .offset:         152
        .size:           4
        .value_kind:     hidden_block_count_z
      - .offset:         156
        .size:           2
        .value_kind:     hidden_group_size_x
      - .offset:         158
        .size:           2
        .value_kind:     hidden_group_size_y
      - .offset:         160
        .size:           2
        .value_kind:     hidden_group_size_z
      - .offset:         162
        .size:           2
        .value_kind:     hidden_remainder_x
      - .offset:         164
        .size:           2
        .value_kind:     hidden_remainder_y
      - .offset:         166
        .size:           2
        .value_kind:     hidden_remainder_z
      - .offset:         184
        .size:           8
        .value_kind:     hidden_global_offset_x
      - .offset:         192
        .size:           8
        .value_kind:     hidden_global_offset_y
      - .offset:         200
        .size:           8
        .value_kind:     hidden_global_offset_z
      - .offset:         208
        .size:           2
        .value_kind:     hidden_grid_dims
    .group_segment_fixed_size: 17472
    .kernarg_segment_align: 8
    .kernarg_segment_size: 400
    .language:       OpenCL C
    .language_version:
      - 2
      - 0
    .max_flat_workgroup_size: 256
    .name:           _Z39paged_attention_ll4mi_QKV_mfma16_kernelI14__hip_bfloat16S0_LN4vllm18Fp8KVCacheDataTypeE0EhLi32ELi128ELi256ELb0ELi3EL8MFMAType0EEvPKT_PKT0_S9_ifPKiSB_SB_iPKfiiiPfSE_PS4_PT2_iSD_SD_
    .private_segment_fixed_size: 0
    .sgpr_count:     39
    .sgpr_spill_count: 0
    .symbol:         _Z39paged_attention_ll4mi_QKV_mfma16_kernelI14__hip_bfloat16S0_LN4vllm18Fp8KVCacheDataTypeE0EhLi32ELi128ELi256ELb0ELi3EL8MFMAType0EEvPKT_PKT0_S9_ifPKiSB_SB_iPKfiiiPfSE_PS4_PT2_iSD_SD_.kd
    .uniform_work_group_size: 1
    .uses_dynamic_stack: false
    .vgpr_count:     157
    .vgpr_spill_count: 0
    .wavefront_size: 32
    .workgroup_processor_mode: 1
  - .args:
      - .actual_access:  read_only
        .address_space:  global
        .offset:         0
        .size:           8
        .value_kind:     global_buffer
      - .actual_access:  read_only
        .address_space:  global
        .offset:         8
        .size:           8
        .value_kind:     global_buffer
      - .actual_access:  read_only
        .address_space:  global
        .offset:         16
        .size:           8
        .value_kind:     global_buffer
      - .offset:         24
        .size:           4
        .value_kind:     by_value
      - .offset:         28
        .size:           4
        .value_kind:     by_value
      - .actual_access:  read_only
        .address_space:  global
        .offset:         32
        .size:           8
        .value_kind:     global_buffer
      - .actual_access:  read_only
        .address_space:  global
        .offset:         40
        .size:           8
        .value_kind:     global_buffer
      - .actual_access:  read_only
        .address_space:  global
        .offset:         48
        .size:           8
        .value_kind:     global_buffer
      - .offset:         56
        .size:           4
        .value_kind:     by_value
      - .actual_access:  read_only
        .address_space:  global
        .offset:         64
        .size:           8
        .value_kind:     global_buffer
      - .offset:         72
        .size:           4
        .value_kind:     by_value
      - .offset:         76
        .size:           4
        .value_kind:     by_value
      - .offset:         80
        .size:           4
        .value_kind:     by_value
      - .actual_access:  write_only
        .address_space:  global
        .offset:         88
        .size:           8
        .value_kind:     global_buffer
      - .actual_access:  write_only
        .address_space:  global
        .offset:         96
        .size:           8
        .value_kind:     global_buffer
      - .actual_access:  write_only
        .address_space:  global
        .offset:         104
        .size:           8
        .value_kind:     global_buffer
      - .actual_access:  read_only
        .address_space:  global
        .offset:         112
        .size:           8
        .value_kind:     global_buffer
      - .offset:         120
        .size:           4
        .value_kind:     by_value
      - .address_space:  global
        .offset:         128
        .size:           8
        .value_kind:     global_buffer
      - .address_space:  global
        .offset:         136
        .size:           8
        .value_kind:     global_buffer
      - .offset:         144
        .size:           4
        .value_kind:     hidden_block_count_x
      - .offset:         148
        .size:           4
        .value_kind:     hidden_block_count_y
      - .offset:         152
        .size:           4
        .value_kind:     hidden_block_count_z
      - .offset:         156
        .size:           2
        .value_kind:     hidden_group_size_x
      - .offset:         158
        .size:           2
        .value_kind:     hidden_group_size_y
      - .offset:         160
        .size:           2
        .value_kind:     hidden_group_size_z
      - .offset:         162
        .size:           2
        .value_kind:     hidden_remainder_x
      - .offset:         164
        .size:           2
        .value_kind:     hidden_remainder_y
      - .offset:         166
        .size:           2
        .value_kind:     hidden_remainder_z
      - .offset:         184
        .size:           8
        .value_kind:     hidden_global_offset_x
      - .offset:         192
        .size:           8
        .value_kind:     hidden_global_offset_y
      - .offset:         200
        .size:           8
        .value_kind:     hidden_global_offset_z
      - .offset:         208
        .size:           2
        .value_kind:     hidden_grid_dims
    .group_segment_fixed_size: 17472
    .kernarg_segment_align: 8
    .kernarg_segment_size: 400
    .language:       OpenCL C
    .language_version:
      - 2
      - 0
    .max_flat_workgroup_size: 256
    .name:           _Z39paged_attention_ll4mi_QKV_mfma16_kernelI14__hip_bfloat16S0_LN4vllm18Fp8KVCacheDataTypeE0EhLi32ELi128ELi256ELb0ELi4EL8MFMAType0EEvPKT_PKT0_S9_ifPKiSB_SB_iPKfiiiPfSE_PS4_PT2_iSD_SD_
    .private_segment_fixed_size: 0
    .sgpr_count:     42
    .sgpr_spill_count: 0
    .symbol:         _Z39paged_attention_ll4mi_QKV_mfma16_kernelI14__hip_bfloat16S0_LN4vllm18Fp8KVCacheDataTypeE0EhLi32ELi128ELi256ELb0ELi4EL8MFMAType0EEvPKT_PKT0_S9_ifPKiSB_SB_iPKfiiiPfSE_PS4_PT2_iSD_SD_.kd
    .uniform_work_group_size: 1
    .uses_dynamic_stack: false
    .vgpr_count:     157
    .vgpr_spill_count: 0
    .wavefront_size: 32
    .workgroup_processor_mode: 1
  - .args:
      - .actual_access:  read_only
        .address_space:  global
        .offset:         0
        .size:           8
        .value_kind:     global_buffer
      - .actual_access:  read_only
        .address_space:  global
        .offset:         8
        .size:           8
        .value_kind:     global_buffer
      - .actual_access:  read_only
        .address_space:  global
        .offset:         16
        .size:           8
        .value_kind:     global_buffer
      - .offset:         24
        .size:           4
        .value_kind:     by_value
      - .offset:         28
        .size:           4
        .value_kind:     by_value
      - .actual_access:  read_only
        .address_space:  global
        .offset:         32
        .size:           8
        .value_kind:     global_buffer
      - .actual_access:  read_only
        .address_space:  global
        .offset:         40
        .size:           8
        .value_kind:     global_buffer
      - .actual_access:  read_only
        .address_space:  global
        .offset:         48
        .size:           8
        .value_kind:     global_buffer
      - .offset:         56
        .size:           4
        .value_kind:     by_value
      - .actual_access:  read_only
        .address_space:  global
        .offset:         64
        .size:           8
        .value_kind:     global_buffer
      - .offset:         72
        .size:           4
        .value_kind:     by_value
      - .offset:         76
        .size:           4
        .value_kind:     by_value
      - .offset:         80
        .size:           4
        .value_kind:     by_value
      - .actual_access:  read_only
        .address_space:  global
        .offset:         88
        .size:           8
        .value_kind:     global_buffer
      - .actual_access:  read_only
        .address_space:  global
        .offset:         96
        .size:           8
        .value_kind:     global_buffer
      - .actual_access:  read_only
        .address_space:  global
        .offset:         104
        .size:           8
        .value_kind:     global_buffer
      - .actual_access:  read_only
        .address_space:  global
        .offset:         112
        .size:           8
        .value_kind:     global_buffer
      - .offset:         120
        .size:           4
        .value_kind:     by_value
      - .address_space:  global
        .offset:         128
        .size:           8
        .value_kind:     global_buffer
      - .address_space:  global
        .offset:         136
        .size:           8
        .value_kind:     global_buffer
      - .offset:         144
        .size:           4
        .value_kind:     hidden_block_count_x
      - .offset:         148
        .size:           4
        .value_kind:     hidden_block_count_y
      - .offset:         152
        .size:           4
        .value_kind:     hidden_block_count_z
      - .offset:         156
        .size:           2
        .value_kind:     hidden_group_size_x
      - .offset:         158
        .size:           2
        .value_kind:     hidden_group_size_y
      - .offset:         160
        .size:           2
        .value_kind:     hidden_group_size_z
      - .offset:         162
        .size:           2
        .value_kind:     hidden_remainder_x
      - .offset:         164
        .size:           2
        .value_kind:     hidden_remainder_y
      - .offset:         166
        .size:           2
        .value_kind:     hidden_remainder_z
      - .offset:         184
        .size:           8
        .value_kind:     hidden_global_offset_x
      - .offset:         192
        .size:           8
        .value_kind:     hidden_global_offset_y
      - .offset:         200
        .size:           8
        .value_kind:     hidden_global_offset_z
      - .offset:         208
        .size:           2
        .value_kind:     hidden_grid_dims
      - .offset:         224
        .size:           8
        .value_kind:     hidden_hostcall_buffer
    .group_segment_fixed_size: 0
    .kernarg_segment_align: 8
    .kernarg_segment_size: 400
    .language:       OpenCL C
    .language_version:
      - 2
      - 0
    .max_flat_workgroup_size: 256
    .name:           _Z38paged_attention_ll4mi_QKV_mfma4_kernelI14__hip_bfloat16S0_LN4vllm18Fp8KVCacheDataTypeE0ES0_Li32ELi128ELi256ELb1ELi1EEvPKT_PKT0_S8_ifPKiSA_SA_iPKfiiiPfSD_PS3_PT2_iSC_SC_
    .private_segment_fixed_size: 64
    .sgpr_count:     36
    .sgpr_spill_count: 0
    .symbol:         _Z38paged_attention_ll4mi_QKV_mfma4_kernelI14__hip_bfloat16S0_LN4vllm18Fp8KVCacheDataTypeE0ES0_Li32ELi128ELi256ELb1ELi1EEvPKT_PKT0_S8_ifPKiSA_SA_iPKfiiiPfSD_PS3_PT2_iSC_SC_.kd
    .uniform_work_group_size: 1
    .uses_dynamic_stack: false
    .vgpr_count:     41
    .vgpr_spill_count: 0
    .wavefront_size: 32
    .workgroup_processor_mode: 1
  - .args:
      - .actual_access:  read_only
        .address_space:  global
        .offset:         0
        .size:           8
        .value_kind:     global_buffer
      - .actual_access:  read_only
        .address_space:  global
        .offset:         8
        .size:           8
        .value_kind:     global_buffer
      - .actual_access:  read_only
        .address_space:  global
        .offset:         16
        .size:           8
        .value_kind:     global_buffer
      - .offset:         24
        .size:           4
        .value_kind:     by_value
      - .offset:         28
        .size:           4
        .value_kind:     by_value
      - .actual_access:  read_only
        .address_space:  global
        .offset:         32
        .size:           8
        .value_kind:     global_buffer
      - .actual_access:  read_only
        .address_space:  global
        .offset:         40
        .size:           8
        .value_kind:     global_buffer
      - .actual_access:  read_only
        .address_space:  global
        .offset:         48
        .size:           8
        .value_kind:     global_buffer
      - .offset:         56
        .size:           4
        .value_kind:     by_value
      - .actual_access:  read_only
        .address_space:  global
        .offset:         64
        .size:           8
        .value_kind:     global_buffer
      - .offset:         72
        .size:           4
        .value_kind:     by_value
      - .offset:         76
        .size:           4
        .value_kind:     by_value
      - .offset:         80
        .size:           4
        .value_kind:     by_value
      - .actual_access:  read_only
        .address_space:  global
        .offset:         88
        .size:           8
        .value_kind:     global_buffer
      - .actual_access:  read_only
        .address_space:  global
        .offset:         96
        .size:           8
        .value_kind:     global_buffer
      - .actual_access:  read_only
        .address_space:  global
        .offset:         104
        .size:           8
        .value_kind:     global_buffer
      - .actual_access:  read_only
        .address_space:  global
        .offset:         112
        .size:           8
        .value_kind:     global_buffer
      - .offset:         120
        .size:           4
        .value_kind:     by_value
      - .address_space:  global
        .offset:         128
        .size:           8
        .value_kind:     global_buffer
      - .address_space:  global
        .offset:         136
        .size:           8
        .value_kind:     global_buffer
      - .offset:         144
        .size:           4
        .value_kind:     hidden_block_count_x
      - .offset:         148
        .size:           4
        .value_kind:     hidden_block_count_y
      - .offset:         152
        .size:           4
        .value_kind:     hidden_block_count_z
      - .offset:         156
        .size:           2
        .value_kind:     hidden_group_size_x
      - .offset:         158
        .size:           2
        .value_kind:     hidden_group_size_y
      - .offset:         160
        .size:           2
        .value_kind:     hidden_group_size_z
      - .offset:         162
        .size:           2
        .value_kind:     hidden_remainder_x
      - .offset:         164
        .size:           2
        .value_kind:     hidden_remainder_y
      - .offset:         166
        .size:           2
        .value_kind:     hidden_remainder_z
      - .offset:         184
        .size:           8
        .value_kind:     hidden_global_offset_x
      - .offset:         192
        .size:           8
        .value_kind:     hidden_global_offset_y
      - .offset:         200
        .size:           8
        .value_kind:     hidden_global_offset_z
      - .offset:         208
        .size:           2
        .value_kind:     hidden_grid_dims
      - .offset:         224
        .size:           8
        .value_kind:     hidden_hostcall_buffer
    .group_segment_fixed_size: 0
    .kernarg_segment_align: 8
    .kernarg_segment_size: 400
    .language:       OpenCL C
    .language_version:
      - 2
      - 0
    .max_flat_workgroup_size: 256
    .name:           _Z38paged_attention_ll4mi_QKV_mfma4_kernelI14__hip_bfloat16S0_LN4vllm18Fp8KVCacheDataTypeE0ES0_Li32ELi128ELi256ELb1ELi2EEvPKT_PKT0_S8_ifPKiSA_SA_iPKfiiiPfSD_PS3_PT2_iSC_SC_
    .private_segment_fixed_size: 64
    .sgpr_count:     36
    .sgpr_spill_count: 0
    .symbol:         _Z38paged_attention_ll4mi_QKV_mfma4_kernelI14__hip_bfloat16S0_LN4vllm18Fp8KVCacheDataTypeE0ES0_Li32ELi128ELi256ELb1ELi2EEvPKT_PKT0_S8_ifPKiSA_SA_iPKfiiiPfSD_PS3_PT2_iSC_SC_.kd
    .uniform_work_group_size: 1
    .uses_dynamic_stack: false
    .vgpr_count:     41
    .vgpr_spill_count: 0
    .wavefront_size: 32
    .workgroup_processor_mode: 1
  - .args:
      - .actual_access:  read_only
        .address_space:  global
        .offset:         0
        .size:           8
        .value_kind:     global_buffer
      - .actual_access:  read_only
        .address_space:  global
        .offset:         8
        .size:           8
        .value_kind:     global_buffer
      - .actual_access:  read_only
        .address_space:  global
        .offset:         16
        .size:           8
        .value_kind:     global_buffer
      - .offset:         24
        .size:           4
        .value_kind:     by_value
      - .offset:         28
        .size:           4
        .value_kind:     by_value
      - .actual_access:  read_only
        .address_space:  global
        .offset:         32
        .size:           8
        .value_kind:     global_buffer
      - .actual_access:  read_only
        .address_space:  global
        .offset:         40
        .size:           8
        .value_kind:     global_buffer
      - .actual_access:  read_only
        .address_space:  global
        .offset:         48
        .size:           8
        .value_kind:     global_buffer
      - .offset:         56
        .size:           4
        .value_kind:     by_value
      - .actual_access:  read_only
        .address_space:  global
        .offset:         64
        .size:           8
        .value_kind:     global_buffer
      - .offset:         72
        .size:           4
        .value_kind:     by_value
      - .offset:         76
        .size:           4
        .value_kind:     by_value
      - .offset:         80
        .size:           4
        .value_kind:     by_value
      - .actual_access:  read_only
        .address_space:  global
        .offset:         88
        .size:           8
        .value_kind:     global_buffer
      - .actual_access:  read_only
        .address_space:  global
        .offset:         96
        .size:           8
        .value_kind:     global_buffer
      - .actual_access:  read_only
        .address_space:  global
        .offset:         104
        .size:           8
        .value_kind:     global_buffer
      - .actual_access:  read_only
        .address_space:  global
        .offset:         112
        .size:           8
        .value_kind:     global_buffer
      - .offset:         120
        .size:           4
        .value_kind:     by_value
      - .address_space:  global
        .offset:         128
        .size:           8
        .value_kind:     global_buffer
      - .address_space:  global
        .offset:         136
        .size:           8
        .value_kind:     global_buffer
      - .offset:         144
        .size:           4
        .value_kind:     hidden_block_count_x
      - .offset:         148
        .size:           4
        .value_kind:     hidden_block_count_y
      - .offset:         152
        .size:           4
        .value_kind:     hidden_block_count_z
      - .offset:         156
        .size:           2
        .value_kind:     hidden_group_size_x
      - .offset:         158
        .size:           2
        .value_kind:     hidden_group_size_y
      - .offset:         160
        .size:           2
        .value_kind:     hidden_group_size_z
      - .offset:         162
        .size:           2
        .value_kind:     hidden_remainder_x
      - .offset:         164
        .size:           2
        .value_kind:     hidden_remainder_y
      - .offset:         166
        .size:           2
        .value_kind:     hidden_remainder_z
      - .offset:         184
        .size:           8
        .value_kind:     hidden_global_offset_x
      - .offset:         192
        .size:           8
        .value_kind:     hidden_global_offset_y
      - .offset:         200
        .size:           8
        .value_kind:     hidden_global_offset_z
      - .offset:         208
        .size:           2
        .value_kind:     hidden_grid_dims
      - .offset:         224
        .size:           8
        .value_kind:     hidden_hostcall_buffer
    .group_segment_fixed_size: 0
    .kernarg_segment_align: 8
    .kernarg_segment_size: 400
    .language:       OpenCL C
    .language_version:
      - 2
      - 0
    .max_flat_workgroup_size: 256
    .name:           _Z38paged_attention_ll4mi_QKV_mfma4_kernelI14__hip_bfloat16S0_LN4vllm18Fp8KVCacheDataTypeE0ES0_Li32ELi128ELi256ELb1ELi3EEvPKT_PKT0_S8_ifPKiSA_SA_iPKfiiiPfSD_PS3_PT2_iSC_SC_
    .private_segment_fixed_size: 64
    .sgpr_count:     36
    .sgpr_spill_count: 0
    .symbol:         _Z38paged_attention_ll4mi_QKV_mfma4_kernelI14__hip_bfloat16S0_LN4vllm18Fp8KVCacheDataTypeE0ES0_Li32ELi128ELi256ELb1ELi3EEvPKT_PKT0_S8_ifPKiSA_SA_iPKfiiiPfSD_PS3_PT2_iSC_SC_.kd
    .uniform_work_group_size: 1
    .uses_dynamic_stack: false
    .vgpr_count:     41
    .vgpr_spill_count: 0
    .wavefront_size: 32
    .workgroup_processor_mode: 1
  - .args:
      - .actual_access:  read_only
        .address_space:  global
        .offset:         0
        .size:           8
        .value_kind:     global_buffer
      - .actual_access:  read_only
        .address_space:  global
        .offset:         8
        .size:           8
        .value_kind:     global_buffer
      - .actual_access:  read_only
        .address_space:  global
        .offset:         16
        .size:           8
        .value_kind:     global_buffer
      - .offset:         24
        .size:           4
        .value_kind:     by_value
      - .offset:         28
        .size:           4
        .value_kind:     by_value
      - .actual_access:  read_only
        .address_space:  global
        .offset:         32
        .size:           8
        .value_kind:     global_buffer
      - .actual_access:  read_only
        .address_space:  global
        .offset:         40
        .size:           8
        .value_kind:     global_buffer
      - .actual_access:  read_only
        .address_space:  global
        .offset:         48
        .size:           8
        .value_kind:     global_buffer
      - .offset:         56
        .size:           4
        .value_kind:     by_value
      - .actual_access:  read_only
        .address_space:  global
        .offset:         64
        .size:           8
        .value_kind:     global_buffer
      - .offset:         72
        .size:           4
        .value_kind:     by_value
      - .offset:         76
        .size:           4
        .value_kind:     by_value
      - .offset:         80
        .size:           4
        .value_kind:     by_value
      - .actual_access:  read_only
        .address_space:  global
        .offset:         88
        .size:           8
        .value_kind:     global_buffer
      - .actual_access:  read_only
        .address_space:  global
        .offset:         96
        .size:           8
        .value_kind:     global_buffer
      - .actual_access:  read_only
        .address_space:  global
        .offset:         104
        .size:           8
        .value_kind:     global_buffer
      - .actual_access:  read_only
        .address_space:  global
        .offset:         112
        .size:           8
        .value_kind:     global_buffer
      - .offset:         120
        .size:           4
        .value_kind:     by_value
      - .address_space:  global
        .offset:         128
        .size:           8
        .value_kind:     global_buffer
      - .address_space:  global
        .offset:         136
        .size:           8
        .value_kind:     global_buffer
      - .offset:         144
        .size:           4
        .value_kind:     hidden_block_count_x
      - .offset:         148
        .size:           4
        .value_kind:     hidden_block_count_y
      - .offset:         152
        .size:           4
        .value_kind:     hidden_block_count_z
      - .offset:         156
        .size:           2
        .value_kind:     hidden_group_size_x
      - .offset:         158
        .size:           2
        .value_kind:     hidden_group_size_y
      - .offset:         160
        .size:           2
        .value_kind:     hidden_group_size_z
      - .offset:         162
        .size:           2
        .value_kind:     hidden_remainder_x
      - .offset:         164
        .size:           2
        .value_kind:     hidden_remainder_y
      - .offset:         166
        .size:           2
        .value_kind:     hidden_remainder_z
      - .offset:         184
        .size:           8
        .value_kind:     hidden_global_offset_x
      - .offset:         192
        .size:           8
        .value_kind:     hidden_global_offset_y
      - .offset:         200
        .size:           8
        .value_kind:     hidden_global_offset_z
      - .offset:         208
        .size:           2
        .value_kind:     hidden_grid_dims
      - .offset:         224
        .size:           8
        .value_kind:     hidden_hostcall_buffer
    .group_segment_fixed_size: 0
    .kernarg_segment_align: 8
    .kernarg_segment_size: 400
    .language:       OpenCL C
    .language_version:
      - 2
      - 0
    .max_flat_workgroup_size: 256
    .name:           _Z38paged_attention_ll4mi_QKV_mfma4_kernelI14__hip_bfloat16S0_LN4vllm18Fp8KVCacheDataTypeE0ES0_Li32ELi128ELi256ELb1ELi4EEvPKT_PKT0_S8_ifPKiSA_SA_iPKfiiiPfSD_PS3_PT2_iSC_SC_
    .private_segment_fixed_size: 64
    .sgpr_count:     36
    .sgpr_spill_count: 0
    .symbol:         _Z38paged_attention_ll4mi_QKV_mfma4_kernelI14__hip_bfloat16S0_LN4vllm18Fp8KVCacheDataTypeE0ES0_Li32ELi128ELi256ELb1ELi4EEvPKT_PKT0_S8_ifPKiSA_SA_iPKfiiiPfSD_PS3_PT2_iSC_SC_.kd
    .uniform_work_group_size: 1
    .uses_dynamic_stack: false
    .vgpr_count:     41
    .vgpr_spill_count: 0
    .wavefront_size: 32
    .workgroup_processor_mode: 1
  - .args:
      - .actual_access:  read_only
        .address_space:  global
        .offset:         0
        .size:           8
        .value_kind:     global_buffer
      - .actual_access:  read_only
        .address_space:  global
        .offset:         8
        .size:           8
        .value_kind:     global_buffer
      - .actual_access:  read_only
        .address_space:  global
        .offset:         16
        .size:           8
        .value_kind:     global_buffer
      - .offset:         24
        .size:           4
        .value_kind:     by_value
      - .offset:         28
        .size:           4
        .value_kind:     by_value
      - .actual_access:  read_only
        .address_space:  global
        .offset:         32
        .size:           8
        .value_kind:     global_buffer
      - .actual_access:  read_only
        .address_space:  global
        .offset:         40
        .size:           8
        .value_kind:     global_buffer
      - .actual_access:  read_only
        .address_space:  global
        .offset:         48
        .size:           8
        .value_kind:     global_buffer
      - .offset:         56
        .size:           4
        .value_kind:     by_value
      - .actual_access:  read_only
        .address_space:  global
        .offset:         64
        .size:           8
        .value_kind:     global_buffer
      - .offset:         72
        .size:           4
        .value_kind:     by_value
      - .offset:         76
        .size:           4
        .value_kind:     by_value
      - .offset:         80
        .size:           4
        .value_kind:     by_value
      - .actual_access:  write_only
        .address_space:  global
        .offset:         88
        .size:           8
        .value_kind:     global_buffer
      - .actual_access:  write_only
        .address_space:  global
        .offset:         96
        .size:           8
        .value_kind:     global_buffer
      - .actual_access:  write_only
        .address_space:  global
        .offset:         104
        .size:           8
        .value_kind:     global_buffer
      - .actual_access:  read_only
        .address_space:  global
        .offset:         112
        .size:           8
        .value_kind:     global_buffer
      - .offset:         120
        .size:           4
        .value_kind:     by_value
      - .address_space:  global
        .offset:         128
        .size:           8
        .value_kind:     global_buffer
      - .address_space:  global
        .offset:         136
        .size:           8
        .value_kind:     global_buffer
      - .offset:         144
        .size:           4
        .value_kind:     hidden_block_count_x
      - .offset:         148
        .size:           4
        .value_kind:     hidden_block_count_y
      - .offset:         152
        .size:           4
        .value_kind:     hidden_block_count_z
      - .offset:         156
        .size:           2
        .value_kind:     hidden_group_size_x
      - .offset:         158
        .size:           2
        .value_kind:     hidden_group_size_y
      - .offset:         160
        .size:           2
        .value_kind:     hidden_group_size_z
      - .offset:         162
        .size:           2
        .value_kind:     hidden_remainder_x
      - .offset:         164
        .size:           2
        .value_kind:     hidden_remainder_y
      - .offset:         166
        .size:           2
        .value_kind:     hidden_remainder_z
      - .offset:         184
        .size:           8
        .value_kind:     hidden_global_offset_x
      - .offset:         192
        .size:           8
        .value_kind:     hidden_global_offset_y
      - .offset:         200
        .size:           8
        .value_kind:     hidden_global_offset_z
      - .offset:         208
        .size:           2
        .value_kind:     hidden_grid_dims
    .group_segment_fixed_size: 17472
    .kernarg_segment_align: 8
    .kernarg_segment_size: 400
    .language:       OpenCL C
    .language_version:
      - 2
      - 0
    .max_flat_workgroup_size: 256
    .name:           _Z39paged_attention_ll4mi_QKV_mfma16_kernelI14__hip_bfloat16S0_LN4vllm18Fp8KVCacheDataTypeE0ES0_Li32ELi128ELi256ELb1ELi5EL8MFMAType0EEvPKT_PKT0_S9_ifPKiSB_SB_iPKfiiiPfSE_PS4_PT2_iSD_SD_
    .private_segment_fixed_size: 0
    .sgpr_count:     39
    .sgpr_spill_count: 0
    .symbol:         _Z39paged_attention_ll4mi_QKV_mfma16_kernelI14__hip_bfloat16S0_LN4vllm18Fp8KVCacheDataTypeE0ES0_Li32ELi128ELi256ELb1ELi5EL8MFMAType0EEvPKT_PKT0_S9_ifPKiSB_SB_iPKfiiiPfSE_PS4_PT2_iSD_SD_.kd
    .uniform_work_group_size: 1
    .uses_dynamic_stack: false
    .vgpr_count:     157
    .vgpr_spill_count: 0
    .wavefront_size: 32
    .workgroup_processor_mode: 1
  - .args:
      - .actual_access:  read_only
        .address_space:  global
        .offset:         0
        .size:           8
        .value_kind:     global_buffer
      - .actual_access:  read_only
        .address_space:  global
        .offset:         8
        .size:           8
        .value_kind:     global_buffer
      - .actual_access:  read_only
        .address_space:  global
        .offset:         16
        .size:           8
        .value_kind:     global_buffer
      - .offset:         24
        .size:           4
        .value_kind:     by_value
      - .offset:         28
        .size:           4
        .value_kind:     by_value
      - .actual_access:  read_only
        .address_space:  global
        .offset:         32
        .size:           8
        .value_kind:     global_buffer
      - .actual_access:  read_only
        .address_space:  global
        .offset:         40
        .size:           8
        .value_kind:     global_buffer
      - .actual_access:  read_only
        .address_space:  global
        .offset:         48
        .size:           8
        .value_kind:     global_buffer
      - .offset:         56
        .size:           4
        .value_kind:     by_value
      - .actual_access:  read_only
        .address_space:  global
        .offset:         64
        .size:           8
        .value_kind:     global_buffer
      - .offset:         72
        .size:           4
        .value_kind:     by_value
      - .offset:         76
        .size:           4
        .value_kind:     by_value
      - .offset:         80
        .size:           4
        .value_kind:     by_value
      - .actual_access:  write_only
        .address_space:  global
        .offset:         88
        .size:           8
        .value_kind:     global_buffer
      - .actual_access:  write_only
        .address_space:  global
        .offset:         96
        .size:           8
        .value_kind:     global_buffer
      - .actual_access:  write_only
        .address_space:  global
        .offset:         104
        .size:           8
        .value_kind:     global_buffer
      - .actual_access:  read_only
        .address_space:  global
        .offset:         112
        .size:           8
        .value_kind:     global_buffer
      - .offset:         120
        .size:           4
        .value_kind:     by_value
      - .address_space:  global
        .offset:         128
        .size:           8
        .value_kind:     global_buffer
      - .address_space:  global
        .offset:         136
        .size:           8
        .value_kind:     global_buffer
      - .offset:         144
        .size:           4
        .value_kind:     hidden_block_count_x
      - .offset:         148
        .size:           4
        .value_kind:     hidden_block_count_y
      - .offset:         152
        .size:           4
        .value_kind:     hidden_block_count_z
      - .offset:         156
        .size:           2
        .value_kind:     hidden_group_size_x
      - .offset:         158
        .size:           2
        .value_kind:     hidden_group_size_y
      - .offset:         160
        .size:           2
        .value_kind:     hidden_group_size_z
      - .offset:         162
        .size:           2
        .value_kind:     hidden_remainder_x
      - .offset:         164
        .size:           2
        .value_kind:     hidden_remainder_y
      - .offset:         166
        .size:           2
        .value_kind:     hidden_remainder_z
      - .offset:         184
        .size:           8
        .value_kind:     hidden_global_offset_x
      - .offset:         192
        .size:           8
        .value_kind:     hidden_global_offset_y
      - .offset:         200
        .size:           8
        .value_kind:     hidden_global_offset_z
      - .offset:         208
        .size:           2
        .value_kind:     hidden_grid_dims
    .group_segment_fixed_size: 17472
    .kernarg_segment_align: 8
    .kernarg_segment_size: 400
    .language:       OpenCL C
    .language_version:
      - 2
      - 0
    .max_flat_workgroup_size: 256
    .name:           _Z39paged_attention_ll4mi_QKV_mfma16_kernelI14__hip_bfloat16S0_LN4vllm18Fp8KVCacheDataTypeE0ES0_Li32ELi128ELi256ELb1ELi6EL8MFMAType0EEvPKT_PKT0_S9_ifPKiSB_SB_iPKfiiiPfSE_PS4_PT2_iSD_SD_
    .private_segment_fixed_size: 0
    .sgpr_count:     40
    .sgpr_spill_count: 0
    .symbol:         _Z39paged_attention_ll4mi_QKV_mfma16_kernelI14__hip_bfloat16S0_LN4vllm18Fp8KVCacheDataTypeE0ES0_Li32ELi128ELi256ELb1ELi6EL8MFMAType0EEvPKT_PKT0_S9_ifPKiSB_SB_iPKfiiiPfSE_PS4_PT2_iSD_SD_.kd
    .uniform_work_group_size: 1
    .uses_dynamic_stack: false
    .vgpr_count:     157
    .vgpr_spill_count: 0
    .wavefront_size: 32
    .workgroup_processor_mode: 1
  - .args:
      - .actual_access:  read_only
        .address_space:  global
        .offset:         0
        .size:           8
        .value_kind:     global_buffer
      - .actual_access:  read_only
        .address_space:  global
        .offset:         8
        .size:           8
        .value_kind:     global_buffer
      - .actual_access:  read_only
        .address_space:  global
        .offset:         16
        .size:           8
        .value_kind:     global_buffer
      - .offset:         24
        .size:           4
        .value_kind:     by_value
      - .offset:         28
        .size:           4
        .value_kind:     by_value
      - .actual_access:  read_only
        .address_space:  global
        .offset:         32
        .size:           8
        .value_kind:     global_buffer
      - .actual_access:  read_only
        .address_space:  global
        .offset:         40
        .size:           8
        .value_kind:     global_buffer
      - .actual_access:  read_only
        .address_space:  global
        .offset:         48
        .size:           8
        .value_kind:     global_buffer
      - .offset:         56
        .size:           4
        .value_kind:     by_value
      - .actual_access:  read_only
        .address_space:  global
        .offset:         64
        .size:           8
        .value_kind:     global_buffer
      - .offset:         72
        .size:           4
        .value_kind:     by_value
      - .offset:         76
        .size:           4
        .value_kind:     by_value
      - .offset:         80
        .size:           4
        .value_kind:     by_value
      - .actual_access:  write_only
        .address_space:  global
        .offset:         88
        .size:           8
        .value_kind:     global_buffer
      - .actual_access:  write_only
        .address_space:  global
        .offset:         96
        .size:           8
        .value_kind:     global_buffer
      - .actual_access:  write_only
        .address_space:  global
        .offset:         104
        .size:           8
        .value_kind:     global_buffer
      - .actual_access:  read_only
        .address_space:  global
        .offset:         112
        .size:           8
        .value_kind:     global_buffer
      - .offset:         120
        .size:           4
        .value_kind:     by_value
      - .address_space:  global
        .offset:         128
        .size:           8
        .value_kind:     global_buffer
      - .address_space:  global
        .offset:         136
        .size:           8
        .value_kind:     global_buffer
      - .offset:         144
        .size:           4
        .value_kind:     hidden_block_count_x
      - .offset:         148
        .size:           4
        .value_kind:     hidden_block_count_y
      - .offset:         152
        .size:           4
        .value_kind:     hidden_block_count_z
      - .offset:         156
        .size:           2
        .value_kind:     hidden_group_size_x
      - .offset:         158
        .size:           2
        .value_kind:     hidden_group_size_y
      - .offset:         160
        .size:           2
        .value_kind:     hidden_group_size_z
      - .offset:         162
        .size:           2
        .value_kind:     hidden_remainder_x
      - .offset:         164
        .size:           2
        .value_kind:     hidden_remainder_y
      - .offset:         166
        .size:           2
        .value_kind:     hidden_remainder_z
      - .offset:         184
        .size:           8
        .value_kind:     hidden_global_offset_x
      - .offset:         192
        .size:           8
        .value_kind:     hidden_global_offset_y
      - .offset:         200
        .size:           8
        .value_kind:     hidden_global_offset_z
      - .offset:         208
        .size:           2
        .value_kind:     hidden_grid_dims
    .group_segment_fixed_size: 17472
    .kernarg_segment_align: 8
    .kernarg_segment_size: 400
    .language:       OpenCL C
    .language_version:
      - 2
      - 0
    .max_flat_workgroup_size: 256
    .name:           _Z39paged_attention_ll4mi_QKV_mfma16_kernelI14__hip_bfloat16S0_LN4vllm18Fp8KVCacheDataTypeE0ES0_Li32ELi128ELi256ELb1ELi7EL8MFMAType0EEvPKT_PKT0_S9_ifPKiSB_SB_iPKfiiiPfSE_PS4_PT2_iSD_SD_
    .private_segment_fixed_size: 0
    .sgpr_count:     39
    .sgpr_spill_count: 0
    .symbol:         _Z39paged_attention_ll4mi_QKV_mfma16_kernelI14__hip_bfloat16S0_LN4vllm18Fp8KVCacheDataTypeE0ES0_Li32ELi128ELi256ELb1ELi7EL8MFMAType0EEvPKT_PKT0_S9_ifPKiSB_SB_iPKfiiiPfSE_PS4_PT2_iSD_SD_.kd
    .uniform_work_group_size: 1
    .uses_dynamic_stack: false
    .vgpr_count:     157
    .vgpr_spill_count: 0
    .wavefront_size: 32
    .workgroup_processor_mode: 1
  - .args:
      - .actual_access:  read_only
        .address_space:  global
        .offset:         0
        .size:           8
        .value_kind:     global_buffer
      - .actual_access:  read_only
        .address_space:  global
        .offset:         8
        .size:           8
        .value_kind:     global_buffer
      - .actual_access:  read_only
        .address_space:  global
        .offset:         16
        .size:           8
        .value_kind:     global_buffer
      - .offset:         24
        .size:           4
        .value_kind:     by_value
      - .offset:         28
        .size:           4
        .value_kind:     by_value
      - .actual_access:  read_only
        .address_space:  global
        .offset:         32
        .size:           8
        .value_kind:     global_buffer
      - .actual_access:  read_only
        .address_space:  global
        .offset:         40
        .size:           8
        .value_kind:     global_buffer
      - .actual_access:  read_only
        .address_space:  global
        .offset:         48
        .size:           8
        .value_kind:     global_buffer
      - .offset:         56
        .size:           4
        .value_kind:     by_value
      - .actual_access:  read_only
        .address_space:  global
        .offset:         64
        .size:           8
        .value_kind:     global_buffer
      - .offset:         72
        .size:           4
        .value_kind:     by_value
      - .offset:         76
        .size:           4
        .value_kind:     by_value
      - .offset:         80
        .size:           4
        .value_kind:     by_value
      - .actual_access:  write_only
        .address_space:  global
        .offset:         88
        .size:           8
        .value_kind:     global_buffer
      - .actual_access:  write_only
        .address_space:  global
        .offset:         96
        .size:           8
        .value_kind:     global_buffer
      - .actual_access:  write_only
        .address_space:  global
        .offset:         104
        .size:           8
        .value_kind:     global_buffer
      - .actual_access:  read_only
        .address_space:  global
        .offset:         112
        .size:           8
        .value_kind:     global_buffer
      - .offset:         120
        .size:           4
        .value_kind:     by_value
      - .address_space:  global
        .offset:         128
        .size:           8
        .value_kind:     global_buffer
      - .address_space:  global
        .offset:         136
        .size:           8
        .value_kind:     global_buffer
      - .offset:         144
        .size:           4
        .value_kind:     hidden_block_count_x
      - .offset:         148
        .size:           4
        .value_kind:     hidden_block_count_y
      - .offset:         152
        .size:           4
        .value_kind:     hidden_block_count_z
      - .offset:         156
        .size:           2
        .value_kind:     hidden_group_size_x
      - .offset:         158
        .size:           2
        .value_kind:     hidden_group_size_y
      - .offset:         160
        .size:           2
        .value_kind:     hidden_group_size_z
      - .offset:         162
        .size:           2
        .value_kind:     hidden_remainder_x
      - .offset:         164
        .size:           2
        .value_kind:     hidden_remainder_y
      - .offset:         166
        .size:           2
        .value_kind:     hidden_remainder_z
      - .offset:         184
        .size:           8
        .value_kind:     hidden_global_offset_x
      - .offset:         192
        .size:           8
        .value_kind:     hidden_global_offset_y
      - .offset:         200
        .size:           8
        .value_kind:     hidden_global_offset_z
      - .offset:         208
        .size:           2
        .value_kind:     hidden_grid_dims
    .group_segment_fixed_size: 17472
    .kernarg_segment_align: 8
    .kernarg_segment_size: 400
    .language:       OpenCL C
    .language_version:
      - 2
      - 0
    .max_flat_workgroup_size: 256
    .name:           _Z39paged_attention_ll4mi_QKV_mfma16_kernelI14__hip_bfloat16S0_LN4vllm18Fp8KVCacheDataTypeE0ES0_Li32ELi128ELi256ELb1ELi8EL8MFMAType0EEvPKT_PKT0_S9_ifPKiSB_SB_iPKfiiiPfSE_PS4_PT2_iSD_SD_
    .private_segment_fixed_size: 0
    .sgpr_count:     42
    .sgpr_spill_count: 0
    .symbol:         _Z39paged_attention_ll4mi_QKV_mfma16_kernelI14__hip_bfloat16S0_LN4vllm18Fp8KVCacheDataTypeE0ES0_Li32ELi128ELi256ELb1ELi8EL8MFMAType0EEvPKT_PKT0_S9_ifPKiSB_SB_iPKfiiiPfSE_PS4_PT2_iSD_SD_.kd
    .uniform_work_group_size: 1
    .uses_dynamic_stack: false
    .vgpr_count:     157
    .vgpr_spill_count: 0
    .wavefront_size: 32
    .workgroup_processor_mode: 1
  - .args:
      - .actual_access:  read_only
        .address_space:  global
        .offset:         0
        .size:           8
        .value_kind:     global_buffer
      - .actual_access:  read_only
        .address_space:  global
        .offset:         8
        .size:           8
        .value_kind:     global_buffer
      - .actual_access:  read_only
        .address_space:  global
        .offset:         16
        .size:           8
        .value_kind:     global_buffer
      - .offset:         24
        .size:           4
        .value_kind:     by_value
      - .offset:         28
        .size:           4
        .value_kind:     by_value
      - .actual_access:  read_only
        .address_space:  global
        .offset:         32
        .size:           8
        .value_kind:     global_buffer
      - .actual_access:  read_only
        .address_space:  global
        .offset:         40
        .size:           8
        .value_kind:     global_buffer
      - .actual_access:  read_only
        .address_space:  global
        .offset:         48
        .size:           8
        .value_kind:     global_buffer
      - .offset:         56
        .size:           4
        .value_kind:     by_value
      - .actual_access:  read_only
        .address_space:  global
        .offset:         64
        .size:           8
        .value_kind:     global_buffer
      - .offset:         72
        .size:           4
        .value_kind:     by_value
      - .offset:         76
        .size:           4
        .value_kind:     by_value
      - .offset:         80
        .size:           4
        .value_kind:     by_value
      - .actual_access:  write_only
        .address_space:  global
        .offset:         88
        .size:           8
        .value_kind:     global_buffer
      - .actual_access:  write_only
        .address_space:  global
        .offset:         96
        .size:           8
        .value_kind:     global_buffer
      - .actual_access:  write_only
        .address_space:  global
        .offset:         104
        .size:           8
        .value_kind:     global_buffer
      - .actual_access:  read_only
        .address_space:  global
        .offset:         112
        .size:           8
        .value_kind:     global_buffer
      - .offset:         120
        .size:           4
        .value_kind:     by_value
      - .address_space:  global
        .offset:         128
        .size:           8
        .value_kind:     global_buffer
      - .address_space:  global
        .offset:         136
        .size:           8
        .value_kind:     global_buffer
      - .offset:         144
        .size:           4
        .value_kind:     hidden_block_count_x
      - .offset:         148
        .size:           4
        .value_kind:     hidden_block_count_y
      - .offset:         152
        .size:           4
        .value_kind:     hidden_block_count_z
      - .offset:         156
        .size:           2
        .value_kind:     hidden_group_size_x
      - .offset:         158
        .size:           2
        .value_kind:     hidden_group_size_y
      - .offset:         160
        .size:           2
        .value_kind:     hidden_group_size_z
      - .offset:         162
        .size:           2
        .value_kind:     hidden_remainder_x
      - .offset:         164
        .size:           2
        .value_kind:     hidden_remainder_y
      - .offset:         166
        .size:           2
        .value_kind:     hidden_remainder_z
      - .offset:         184
        .size:           8
        .value_kind:     hidden_global_offset_x
      - .offset:         192
        .size:           8
        .value_kind:     hidden_global_offset_y
      - .offset:         200
        .size:           8
        .value_kind:     hidden_global_offset_z
      - .offset:         208
        .size:           2
        .value_kind:     hidden_grid_dims
    .group_segment_fixed_size: 17472
    .kernarg_segment_align: 8
    .kernarg_segment_size: 400
    .language:       OpenCL C
    .language_version:
      - 2
      - 0
    .max_flat_workgroup_size: 256
    .name:           _Z39paged_attention_ll4mi_QKV_mfma16_kernelI14__hip_bfloat16S0_LN4vllm18Fp8KVCacheDataTypeE0ES0_Li32ELi128ELi256ELb1ELi9EL8MFMAType0EEvPKT_PKT0_S9_ifPKiSB_SB_iPKfiiiPfSE_PS4_PT2_iSD_SD_
    .private_segment_fixed_size: 0
    .sgpr_count:     40
    .sgpr_spill_count: 0
    .symbol:         _Z39paged_attention_ll4mi_QKV_mfma16_kernelI14__hip_bfloat16S0_LN4vllm18Fp8KVCacheDataTypeE0ES0_Li32ELi128ELi256ELb1ELi9EL8MFMAType0EEvPKT_PKT0_S9_ifPKiSB_SB_iPKfiiiPfSE_PS4_PT2_iSD_SD_.kd
    .uniform_work_group_size: 1
    .uses_dynamic_stack: false
    .vgpr_count:     157
    .vgpr_spill_count: 0
    .wavefront_size: 32
    .workgroup_processor_mode: 1
  - .args:
      - .actual_access:  read_only
        .address_space:  global
        .offset:         0
        .size:           8
        .value_kind:     global_buffer
      - .actual_access:  read_only
        .address_space:  global
        .offset:         8
        .size:           8
        .value_kind:     global_buffer
      - .actual_access:  read_only
        .address_space:  global
        .offset:         16
        .size:           8
        .value_kind:     global_buffer
      - .offset:         24
        .size:           4
        .value_kind:     by_value
      - .offset:         28
        .size:           4
        .value_kind:     by_value
      - .actual_access:  read_only
        .address_space:  global
        .offset:         32
        .size:           8
        .value_kind:     global_buffer
      - .actual_access:  read_only
        .address_space:  global
        .offset:         40
        .size:           8
        .value_kind:     global_buffer
      - .actual_access:  read_only
        .address_space:  global
        .offset:         48
        .size:           8
        .value_kind:     global_buffer
      - .offset:         56
        .size:           4
        .value_kind:     by_value
      - .actual_access:  read_only
        .address_space:  global
        .offset:         64
        .size:           8
        .value_kind:     global_buffer
      - .offset:         72
        .size:           4
        .value_kind:     by_value
      - .offset:         76
        .size:           4
        .value_kind:     by_value
      - .offset:         80
        .size:           4
        .value_kind:     by_value
      - .actual_access:  write_only
        .address_space:  global
        .offset:         88
        .size:           8
        .value_kind:     global_buffer
      - .actual_access:  write_only
        .address_space:  global
        .offset:         96
        .size:           8
        .value_kind:     global_buffer
      - .actual_access:  write_only
        .address_space:  global
        .offset:         104
        .size:           8
        .value_kind:     global_buffer
      - .actual_access:  read_only
        .address_space:  global
        .offset:         112
        .size:           8
        .value_kind:     global_buffer
      - .offset:         120
        .size:           4
        .value_kind:     by_value
      - .address_space:  global
        .offset:         128
        .size:           8
        .value_kind:     global_buffer
      - .address_space:  global
        .offset:         136
        .size:           8
        .value_kind:     global_buffer
      - .offset:         144
        .size:           4
        .value_kind:     hidden_block_count_x
      - .offset:         148
        .size:           4
        .value_kind:     hidden_block_count_y
      - .offset:         152
        .size:           4
        .value_kind:     hidden_block_count_z
      - .offset:         156
        .size:           2
        .value_kind:     hidden_group_size_x
      - .offset:         158
        .size:           2
        .value_kind:     hidden_group_size_y
      - .offset:         160
        .size:           2
        .value_kind:     hidden_group_size_z
      - .offset:         162
        .size:           2
        .value_kind:     hidden_remainder_x
      - .offset:         164
        .size:           2
        .value_kind:     hidden_remainder_y
      - .offset:         166
        .size:           2
        .value_kind:     hidden_remainder_z
      - .offset:         184
        .size:           8
        .value_kind:     hidden_global_offset_x
      - .offset:         192
        .size:           8
        .value_kind:     hidden_global_offset_y
      - .offset:         200
        .size:           8
        .value_kind:     hidden_global_offset_z
      - .offset:         208
        .size:           2
        .value_kind:     hidden_grid_dims
    .group_segment_fixed_size: 17472
    .kernarg_segment_align: 8
    .kernarg_segment_size: 400
    .language:       OpenCL C
    .language_version:
      - 2
      - 0
    .max_flat_workgroup_size: 256
    .name:           _Z39paged_attention_ll4mi_QKV_mfma16_kernelI14__hip_bfloat16S0_LN4vllm18Fp8KVCacheDataTypeE0ES0_Li32ELi128ELi256ELb1ELi10EL8MFMAType0EEvPKT_PKT0_S9_ifPKiSB_SB_iPKfiiiPfSE_PS4_PT2_iSD_SD_
    .private_segment_fixed_size: 0
    .sgpr_count:     42
    .sgpr_spill_count: 0
    .symbol:         _Z39paged_attention_ll4mi_QKV_mfma16_kernelI14__hip_bfloat16S0_LN4vllm18Fp8KVCacheDataTypeE0ES0_Li32ELi128ELi256ELb1ELi10EL8MFMAType0EEvPKT_PKT0_S9_ifPKiSB_SB_iPKfiiiPfSE_PS4_PT2_iSD_SD_.kd
    .uniform_work_group_size: 1
    .uses_dynamic_stack: false
    .vgpr_count:     157
    .vgpr_spill_count: 0
    .wavefront_size: 32
    .workgroup_processor_mode: 1
  - .args:
      - .actual_access:  read_only
        .address_space:  global
        .offset:         0
        .size:           8
        .value_kind:     global_buffer
      - .actual_access:  read_only
        .address_space:  global
        .offset:         8
        .size:           8
        .value_kind:     global_buffer
      - .actual_access:  read_only
        .address_space:  global
        .offset:         16
        .size:           8
        .value_kind:     global_buffer
      - .offset:         24
        .size:           4
        .value_kind:     by_value
      - .offset:         28
        .size:           4
        .value_kind:     by_value
      - .actual_access:  read_only
        .address_space:  global
        .offset:         32
        .size:           8
        .value_kind:     global_buffer
      - .actual_access:  read_only
        .address_space:  global
        .offset:         40
        .size:           8
        .value_kind:     global_buffer
      - .actual_access:  read_only
        .address_space:  global
        .offset:         48
        .size:           8
        .value_kind:     global_buffer
      - .offset:         56
        .size:           4
        .value_kind:     by_value
      - .actual_access:  read_only
        .address_space:  global
        .offset:         64
        .size:           8
        .value_kind:     global_buffer
      - .offset:         72
        .size:           4
        .value_kind:     by_value
      - .offset:         76
        .size:           4
        .value_kind:     by_value
      - .offset:         80
        .size:           4
        .value_kind:     by_value
      - .actual_access:  write_only
        .address_space:  global
        .offset:         88
        .size:           8
        .value_kind:     global_buffer
      - .actual_access:  write_only
        .address_space:  global
        .offset:         96
        .size:           8
        .value_kind:     global_buffer
      - .actual_access:  write_only
        .address_space:  global
        .offset:         104
        .size:           8
        .value_kind:     global_buffer
      - .actual_access:  read_only
        .address_space:  global
        .offset:         112
        .size:           8
        .value_kind:     global_buffer
      - .offset:         120
        .size:           4
        .value_kind:     by_value
      - .address_space:  global
        .offset:         128
        .size:           8
        .value_kind:     global_buffer
      - .address_space:  global
        .offset:         136
        .size:           8
        .value_kind:     global_buffer
      - .offset:         144
        .size:           4
        .value_kind:     hidden_block_count_x
      - .offset:         148
        .size:           4
        .value_kind:     hidden_block_count_y
      - .offset:         152
        .size:           4
        .value_kind:     hidden_block_count_z
      - .offset:         156
        .size:           2
        .value_kind:     hidden_group_size_x
      - .offset:         158
        .size:           2
        .value_kind:     hidden_group_size_y
      - .offset:         160
        .size:           2
        .value_kind:     hidden_group_size_z
      - .offset:         162
        .size:           2
        .value_kind:     hidden_remainder_x
      - .offset:         164
        .size:           2
        .value_kind:     hidden_remainder_y
      - .offset:         166
        .size:           2
        .value_kind:     hidden_remainder_z
      - .offset:         184
        .size:           8
        .value_kind:     hidden_global_offset_x
      - .offset:         192
        .size:           8
        .value_kind:     hidden_global_offset_y
      - .offset:         200
        .size:           8
        .value_kind:     hidden_global_offset_z
      - .offset:         208
        .size:           2
        .value_kind:     hidden_grid_dims
    .group_segment_fixed_size: 17472
    .kernarg_segment_align: 8
    .kernarg_segment_size: 400
    .language:       OpenCL C
    .language_version:
      - 2
      - 0
    .max_flat_workgroup_size: 256
    .name:           _Z39paged_attention_ll4mi_QKV_mfma16_kernelI14__hip_bfloat16S0_LN4vllm18Fp8KVCacheDataTypeE0ES0_Li32ELi128ELi256ELb1ELi11EL8MFMAType0EEvPKT_PKT0_S9_ifPKiSB_SB_iPKfiiiPfSE_PS4_PT2_iSD_SD_
    .private_segment_fixed_size: 0
    .sgpr_count:     40
    .sgpr_spill_count: 0
    .symbol:         _Z39paged_attention_ll4mi_QKV_mfma16_kernelI14__hip_bfloat16S0_LN4vllm18Fp8KVCacheDataTypeE0ES0_Li32ELi128ELi256ELb1ELi11EL8MFMAType0EEvPKT_PKT0_S9_ifPKiSB_SB_iPKfiiiPfSE_PS4_PT2_iSD_SD_.kd
    .uniform_work_group_size: 1
    .uses_dynamic_stack: false
    .vgpr_count:     157
    .vgpr_spill_count: 0
    .wavefront_size: 32
    .workgroup_processor_mode: 1
  - .args:
      - .actual_access:  read_only
        .address_space:  global
        .offset:         0
        .size:           8
        .value_kind:     global_buffer
      - .actual_access:  read_only
        .address_space:  global
        .offset:         8
        .size:           8
        .value_kind:     global_buffer
      - .actual_access:  read_only
        .address_space:  global
        .offset:         16
        .size:           8
        .value_kind:     global_buffer
      - .offset:         24
        .size:           4
        .value_kind:     by_value
      - .offset:         28
        .size:           4
        .value_kind:     by_value
      - .actual_access:  read_only
        .address_space:  global
        .offset:         32
        .size:           8
        .value_kind:     global_buffer
      - .actual_access:  read_only
        .address_space:  global
        .offset:         40
        .size:           8
        .value_kind:     global_buffer
      - .actual_access:  read_only
        .address_space:  global
        .offset:         48
        .size:           8
        .value_kind:     global_buffer
      - .offset:         56
        .size:           4
        .value_kind:     by_value
      - .actual_access:  read_only
        .address_space:  global
        .offset:         64
        .size:           8
        .value_kind:     global_buffer
      - .offset:         72
        .size:           4
        .value_kind:     by_value
      - .offset:         76
        .size:           4
        .value_kind:     by_value
      - .offset:         80
        .size:           4
        .value_kind:     by_value
      - .actual_access:  write_only
        .address_space:  global
        .offset:         88
        .size:           8
        .value_kind:     global_buffer
      - .actual_access:  write_only
        .address_space:  global
        .offset:         96
        .size:           8
        .value_kind:     global_buffer
      - .actual_access:  write_only
        .address_space:  global
        .offset:         104
        .size:           8
        .value_kind:     global_buffer
      - .actual_access:  read_only
        .address_space:  global
        .offset:         112
        .size:           8
        .value_kind:     global_buffer
      - .offset:         120
        .size:           4
        .value_kind:     by_value
      - .address_space:  global
        .offset:         128
        .size:           8
        .value_kind:     global_buffer
      - .address_space:  global
        .offset:         136
        .size:           8
        .value_kind:     global_buffer
      - .offset:         144
        .size:           4
        .value_kind:     hidden_block_count_x
      - .offset:         148
        .size:           4
        .value_kind:     hidden_block_count_y
      - .offset:         152
        .size:           4
        .value_kind:     hidden_block_count_z
      - .offset:         156
        .size:           2
        .value_kind:     hidden_group_size_x
      - .offset:         158
        .size:           2
        .value_kind:     hidden_group_size_y
      - .offset:         160
        .size:           2
        .value_kind:     hidden_group_size_z
      - .offset:         162
        .size:           2
        .value_kind:     hidden_remainder_x
      - .offset:         164
        .size:           2
        .value_kind:     hidden_remainder_y
      - .offset:         166
        .size:           2
        .value_kind:     hidden_remainder_z
      - .offset:         184
        .size:           8
        .value_kind:     hidden_global_offset_x
      - .offset:         192
        .size:           8
        .value_kind:     hidden_global_offset_y
      - .offset:         200
        .size:           8
        .value_kind:     hidden_global_offset_z
      - .offset:         208
        .size:           2
        .value_kind:     hidden_grid_dims
    .group_segment_fixed_size: 17472
    .kernarg_segment_align: 8
    .kernarg_segment_size: 400
    .language:       OpenCL C
    .language_version:
      - 2
      - 0
    .max_flat_workgroup_size: 256
    .name:           _Z39paged_attention_ll4mi_QKV_mfma16_kernelI14__hip_bfloat16S0_LN4vllm18Fp8KVCacheDataTypeE0ES0_Li32ELi128ELi256ELb1ELi12EL8MFMAType0EEvPKT_PKT0_S9_ifPKiSB_SB_iPKfiiiPfSE_PS4_PT2_iSD_SD_
    .private_segment_fixed_size: 0
    .sgpr_count:     42
    .sgpr_spill_count: 0
    .symbol:         _Z39paged_attention_ll4mi_QKV_mfma16_kernelI14__hip_bfloat16S0_LN4vllm18Fp8KVCacheDataTypeE0ES0_Li32ELi128ELi256ELb1ELi12EL8MFMAType0EEvPKT_PKT0_S9_ifPKiSB_SB_iPKfiiiPfSE_PS4_PT2_iSD_SD_.kd
    .uniform_work_group_size: 1
    .uses_dynamic_stack: false
    .vgpr_count:     157
    .vgpr_spill_count: 0
    .wavefront_size: 32
    .workgroup_processor_mode: 1
  - .args:
      - .actual_access:  read_only
        .address_space:  global
        .offset:         0
        .size:           8
        .value_kind:     global_buffer
      - .actual_access:  read_only
        .address_space:  global
        .offset:         8
        .size:           8
        .value_kind:     global_buffer
      - .actual_access:  read_only
        .address_space:  global
        .offset:         16
        .size:           8
        .value_kind:     global_buffer
      - .offset:         24
        .size:           4
        .value_kind:     by_value
      - .offset:         28
        .size:           4
        .value_kind:     by_value
      - .actual_access:  read_only
        .address_space:  global
        .offset:         32
        .size:           8
        .value_kind:     global_buffer
      - .actual_access:  read_only
        .address_space:  global
        .offset:         40
        .size:           8
        .value_kind:     global_buffer
      - .actual_access:  read_only
        .address_space:  global
        .offset:         48
        .size:           8
        .value_kind:     global_buffer
      - .offset:         56
        .size:           4
        .value_kind:     by_value
      - .actual_access:  read_only
        .address_space:  global
        .offset:         64
        .size:           8
        .value_kind:     global_buffer
      - .offset:         72
        .size:           4
        .value_kind:     by_value
      - .offset:         76
        .size:           4
        .value_kind:     by_value
      - .offset:         80
        .size:           4
        .value_kind:     by_value
      - .actual_access:  write_only
        .address_space:  global
        .offset:         88
        .size:           8
        .value_kind:     global_buffer
      - .actual_access:  write_only
        .address_space:  global
        .offset:         96
        .size:           8
        .value_kind:     global_buffer
      - .actual_access:  write_only
        .address_space:  global
        .offset:         104
        .size:           8
        .value_kind:     global_buffer
      - .actual_access:  read_only
        .address_space:  global
        .offset:         112
        .size:           8
        .value_kind:     global_buffer
      - .offset:         120
        .size:           4
        .value_kind:     by_value
      - .address_space:  global
        .offset:         128
        .size:           8
        .value_kind:     global_buffer
      - .address_space:  global
        .offset:         136
        .size:           8
        .value_kind:     global_buffer
      - .offset:         144
        .size:           4
        .value_kind:     hidden_block_count_x
      - .offset:         148
        .size:           4
        .value_kind:     hidden_block_count_y
      - .offset:         152
        .size:           4
        .value_kind:     hidden_block_count_z
      - .offset:         156
        .size:           2
        .value_kind:     hidden_group_size_x
      - .offset:         158
        .size:           2
        .value_kind:     hidden_group_size_y
      - .offset:         160
        .size:           2
        .value_kind:     hidden_group_size_z
      - .offset:         162
        .size:           2
        .value_kind:     hidden_remainder_x
      - .offset:         164
        .size:           2
        .value_kind:     hidden_remainder_y
      - .offset:         166
        .size:           2
        .value_kind:     hidden_remainder_z
      - .offset:         184
        .size:           8
        .value_kind:     hidden_global_offset_x
      - .offset:         192
        .size:           8
        .value_kind:     hidden_global_offset_y
      - .offset:         200
        .size:           8
        .value_kind:     hidden_global_offset_z
      - .offset:         208
        .size:           2
        .value_kind:     hidden_grid_dims
    .group_segment_fixed_size: 17472
    .kernarg_segment_align: 8
    .kernarg_segment_size: 400
    .language:       OpenCL C
    .language_version:
      - 2
      - 0
    .max_flat_workgroup_size: 256
    .name:           _Z39paged_attention_ll4mi_QKV_mfma16_kernelI14__hip_bfloat16S0_LN4vllm18Fp8KVCacheDataTypeE0ES0_Li32ELi128ELi256ELb1ELi13EL8MFMAType0EEvPKT_PKT0_S9_ifPKiSB_SB_iPKfiiiPfSE_PS4_PT2_iSD_SD_
    .private_segment_fixed_size: 0
    .sgpr_count:     40
    .sgpr_spill_count: 0
    .symbol:         _Z39paged_attention_ll4mi_QKV_mfma16_kernelI14__hip_bfloat16S0_LN4vllm18Fp8KVCacheDataTypeE0ES0_Li32ELi128ELi256ELb1ELi13EL8MFMAType0EEvPKT_PKT0_S9_ifPKiSB_SB_iPKfiiiPfSE_PS4_PT2_iSD_SD_.kd
    .uniform_work_group_size: 1
    .uses_dynamic_stack: false
    .vgpr_count:     157
    .vgpr_spill_count: 0
    .wavefront_size: 32
    .workgroup_processor_mode: 1
  - .args:
      - .actual_access:  read_only
        .address_space:  global
        .offset:         0
        .size:           8
        .value_kind:     global_buffer
      - .actual_access:  read_only
        .address_space:  global
        .offset:         8
        .size:           8
        .value_kind:     global_buffer
      - .actual_access:  read_only
        .address_space:  global
        .offset:         16
        .size:           8
        .value_kind:     global_buffer
      - .offset:         24
        .size:           4
        .value_kind:     by_value
      - .offset:         28
        .size:           4
        .value_kind:     by_value
      - .actual_access:  read_only
        .address_space:  global
        .offset:         32
        .size:           8
        .value_kind:     global_buffer
      - .actual_access:  read_only
        .address_space:  global
        .offset:         40
        .size:           8
        .value_kind:     global_buffer
      - .actual_access:  read_only
        .address_space:  global
        .offset:         48
        .size:           8
        .value_kind:     global_buffer
      - .offset:         56
        .size:           4
        .value_kind:     by_value
      - .actual_access:  read_only
        .address_space:  global
        .offset:         64
        .size:           8
        .value_kind:     global_buffer
      - .offset:         72
        .size:           4
        .value_kind:     by_value
      - .offset:         76
        .size:           4
        .value_kind:     by_value
      - .offset:         80
        .size:           4
        .value_kind:     by_value
      - .actual_access:  write_only
        .address_space:  global
        .offset:         88
        .size:           8
        .value_kind:     global_buffer
      - .actual_access:  write_only
        .address_space:  global
        .offset:         96
        .size:           8
        .value_kind:     global_buffer
      - .actual_access:  write_only
        .address_space:  global
        .offset:         104
        .size:           8
        .value_kind:     global_buffer
      - .actual_access:  read_only
        .address_space:  global
        .offset:         112
        .size:           8
        .value_kind:     global_buffer
      - .offset:         120
        .size:           4
        .value_kind:     by_value
      - .address_space:  global
        .offset:         128
        .size:           8
        .value_kind:     global_buffer
      - .address_space:  global
        .offset:         136
        .size:           8
        .value_kind:     global_buffer
      - .offset:         144
        .size:           4
        .value_kind:     hidden_block_count_x
      - .offset:         148
        .size:           4
        .value_kind:     hidden_block_count_y
      - .offset:         152
        .size:           4
        .value_kind:     hidden_block_count_z
      - .offset:         156
        .size:           2
        .value_kind:     hidden_group_size_x
      - .offset:         158
        .size:           2
        .value_kind:     hidden_group_size_y
      - .offset:         160
        .size:           2
        .value_kind:     hidden_group_size_z
      - .offset:         162
        .size:           2
        .value_kind:     hidden_remainder_x
      - .offset:         164
        .size:           2
        .value_kind:     hidden_remainder_y
      - .offset:         166
        .size:           2
        .value_kind:     hidden_remainder_z
      - .offset:         184
        .size:           8
        .value_kind:     hidden_global_offset_x
      - .offset:         192
        .size:           8
        .value_kind:     hidden_global_offset_y
      - .offset:         200
        .size:           8
        .value_kind:     hidden_global_offset_z
      - .offset:         208
        .size:           2
        .value_kind:     hidden_grid_dims
    .group_segment_fixed_size: 17472
    .kernarg_segment_align: 8
    .kernarg_segment_size: 400
    .language:       OpenCL C
    .language_version:
      - 2
      - 0
    .max_flat_workgroup_size: 256
    .name:           _Z39paged_attention_ll4mi_QKV_mfma16_kernelI14__hip_bfloat16S0_LN4vllm18Fp8KVCacheDataTypeE0ES0_Li32ELi128ELi256ELb1ELi14EL8MFMAType0EEvPKT_PKT0_S9_ifPKiSB_SB_iPKfiiiPfSE_PS4_PT2_iSD_SD_
    .private_segment_fixed_size: 0
    .sgpr_count:     42
    .sgpr_spill_count: 0
    .symbol:         _Z39paged_attention_ll4mi_QKV_mfma16_kernelI14__hip_bfloat16S0_LN4vllm18Fp8KVCacheDataTypeE0ES0_Li32ELi128ELi256ELb1ELi14EL8MFMAType0EEvPKT_PKT0_S9_ifPKiSB_SB_iPKfiiiPfSE_PS4_PT2_iSD_SD_.kd
    .uniform_work_group_size: 1
    .uses_dynamic_stack: false
    .vgpr_count:     157
    .vgpr_spill_count: 0
    .wavefront_size: 32
    .workgroup_processor_mode: 1
  - .args:
      - .actual_access:  read_only
        .address_space:  global
        .offset:         0
        .size:           8
        .value_kind:     global_buffer
      - .actual_access:  read_only
        .address_space:  global
        .offset:         8
        .size:           8
        .value_kind:     global_buffer
      - .actual_access:  read_only
        .address_space:  global
        .offset:         16
        .size:           8
        .value_kind:     global_buffer
      - .offset:         24
        .size:           4
        .value_kind:     by_value
      - .offset:         28
        .size:           4
        .value_kind:     by_value
      - .actual_access:  read_only
        .address_space:  global
        .offset:         32
        .size:           8
        .value_kind:     global_buffer
      - .actual_access:  read_only
        .address_space:  global
        .offset:         40
        .size:           8
        .value_kind:     global_buffer
      - .actual_access:  read_only
        .address_space:  global
        .offset:         48
        .size:           8
        .value_kind:     global_buffer
      - .offset:         56
        .size:           4
        .value_kind:     by_value
      - .actual_access:  read_only
        .address_space:  global
        .offset:         64
        .size:           8
        .value_kind:     global_buffer
      - .offset:         72
        .size:           4
        .value_kind:     by_value
      - .offset:         76
        .size:           4
        .value_kind:     by_value
      - .offset:         80
        .size:           4
        .value_kind:     by_value
      - .actual_access:  write_only
        .address_space:  global
        .offset:         88
        .size:           8
        .value_kind:     global_buffer
      - .actual_access:  write_only
        .address_space:  global
        .offset:         96
        .size:           8
        .value_kind:     global_buffer
      - .actual_access:  write_only
        .address_space:  global
        .offset:         104
        .size:           8
        .value_kind:     global_buffer
      - .actual_access:  read_only
        .address_space:  global
        .offset:         112
        .size:           8
        .value_kind:     global_buffer
      - .offset:         120
        .size:           4
        .value_kind:     by_value
      - .address_space:  global
        .offset:         128
        .size:           8
        .value_kind:     global_buffer
      - .address_space:  global
        .offset:         136
        .size:           8
        .value_kind:     global_buffer
      - .offset:         144
        .size:           4
        .value_kind:     hidden_block_count_x
      - .offset:         148
        .size:           4
        .value_kind:     hidden_block_count_y
      - .offset:         152
        .size:           4
        .value_kind:     hidden_block_count_z
      - .offset:         156
        .size:           2
        .value_kind:     hidden_group_size_x
      - .offset:         158
        .size:           2
        .value_kind:     hidden_group_size_y
      - .offset:         160
        .size:           2
        .value_kind:     hidden_group_size_z
      - .offset:         162
        .size:           2
        .value_kind:     hidden_remainder_x
      - .offset:         164
        .size:           2
        .value_kind:     hidden_remainder_y
      - .offset:         166
        .size:           2
        .value_kind:     hidden_remainder_z
      - .offset:         184
        .size:           8
        .value_kind:     hidden_global_offset_x
      - .offset:         192
        .size:           8
        .value_kind:     hidden_global_offset_y
      - .offset:         200
        .size:           8
        .value_kind:     hidden_global_offset_z
      - .offset:         208
        .size:           2
        .value_kind:     hidden_grid_dims
    .group_segment_fixed_size: 17472
    .kernarg_segment_align: 8
    .kernarg_segment_size: 400
    .language:       OpenCL C
    .language_version:
      - 2
      - 0
    .max_flat_workgroup_size: 256
    .name:           _Z39paged_attention_ll4mi_QKV_mfma16_kernelI14__hip_bfloat16S0_LN4vllm18Fp8KVCacheDataTypeE0ES0_Li32ELi128ELi256ELb1ELi15EL8MFMAType0EEvPKT_PKT0_S9_ifPKiSB_SB_iPKfiiiPfSE_PS4_PT2_iSD_SD_
    .private_segment_fixed_size: 0
    .sgpr_count:     40
    .sgpr_spill_count: 0
    .symbol:         _Z39paged_attention_ll4mi_QKV_mfma16_kernelI14__hip_bfloat16S0_LN4vllm18Fp8KVCacheDataTypeE0ES0_Li32ELi128ELi256ELb1ELi15EL8MFMAType0EEvPKT_PKT0_S9_ifPKiSB_SB_iPKfiiiPfSE_PS4_PT2_iSD_SD_.kd
    .uniform_work_group_size: 1
    .uses_dynamic_stack: false
    .vgpr_count:     157
    .vgpr_spill_count: 0
    .wavefront_size: 32
    .workgroup_processor_mode: 1
  - .args:
      - .actual_access:  read_only
        .address_space:  global
        .offset:         0
        .size:           8
        .value_kind:     global_buffer
      - .actual_access:  read_only
        .address_space:  global
        .offset:         8
        .size:           8
        .value_kind:     global_buffer
      - .actual_access:  read_only
        .address_space:  global
        .offset:         16
        .size:           8
        .value_kind:     global_buffer
      - .offset:         24
        .size:           4
        .value_kind:     by_value
      - .offset:         28
        .size:           4
        .value_kind:     by_value
      - .actual_access:  read_only
        .address_space:  global
        .offset:         32
        .size:           8
        .value_kind:     global_buffer
      - .actual_access:  read_only
        .address_space:  global
        .offset:         40
        .size:           8
        .value_kind:     global_buffer
      - .actual_access:  read_only
        .address_space:  global
        .offset:         48
        .size:           8
        .value_kind:     global_buffer
      - .offset:         56
        .size:           4
        .value_kind:     by_value
      - .actual_access:  read_only
        .address_space:  global
        .offset:         64
        .size:           8
        .value_kind:     global_buffer
      - .offset:         72
        .size:           4
        .value_kind:     by_value
      - .offset:         76
        .size:           4
        .value_kind:     by_value
      - .offset:         80
        .size:           4
        .value_kind:     by_value
      - .actual_access:  write_only
        .address_space:  global
        .offset:         88
        .size:           8
        .value_kind:     global_buffer
      - .actual_access:  write_only
        .address_space:  global
        .offset:         96
        .size:           8
        .value_kind:     global_buffer
      - .actual_access:  write_only
        .address_space:  global
        .offset:         104
        .size:           8
        .value_kind:     global_buffer
      - .actual_access:  read_only
        .address_space:  global
        .offset:         112
        .size:           8
        .value_kind:     global_buffer
      - .offset:         120
        .size:           4
        .value_kind:     by_value
      - .address_space:  global
        .offset:         128
        .size:           8
        .value_kind:     global_buffer
      - .address_space:  global
        .offset:         136
        .size:           8
        .value_kind:     global_buffer
      - .offset:         144
        .size:           4
        .value_kind:     hidden_block_count_x
      - .offset:         148
        .size:           4
        .value_kind:     hidden_block_count_y
      - .offset:         152
        .size:           4
        .value_kind:     hidden_block_count_z
      - .offset:         156
        .size:           2
        .value_kind:     hidden_group_size_x
      - .offset:         158
        .size:           2
        .value_kind:     hidden_group_size_y
      - .offset:         160
        .size:           2
        .value_kind:     hidden_group_size_z
      - .offset:         162
        .size:           2
        .value_kind:     hidden_remainder_x
      - .offset:         164
        .size:           2
        .value_kind:     hidden_remainder_y
      - .offset:         166
        .size:           2
        .value_kind:     hidden_remainder_z
      - .offset:         184
        .size:           8
        .value_kind:     hidden_global_offset_x
      - .offset:         192
        .size:           8
        .value_kind:     hidden_global_offset_y
      - .offset:         200
        .size:           8
        .value_kind:     hidden_global_offset_z
      - .offset:         208
        .size:           2
        .value_kind:     hidden_grid_dims
    .group_segment_fixed_size: 17472
    .kernarg_segment_align: 8
    .kernarg_segment_size: 400
    .language:       OpenCL C
    .language_version:
      - 2
      - 0
    .max_flat_workgroup_size: 256
    .name:           _Z39paged_attention_ll4mi_QKV_mfma16_kernelI14__hip_bfloat16S0_LN4vllm18Fp8KVCacheDataTypeE0ES0_Li32ELi128ELi256ELb1ELi16EL8MFMAType0EEvPKT_PKT0_S9_ifPKiSB_SB_iPKfiiiPfSE_PS4_PT2_iSD_SD_
    .private_segment_fixed_size: 0
    .sgpr_count:     40
    .sgpr_spill_count: 0
    .symbol:         _Z39paged_attention_ll4mi_QKV_mfma16_kernelI14__hip_bfloat16S0_LN4vllm18Fp8KVCacheDataTypeE0ES0_Li32ELi128ELi256ELb1ELi16EL8MFMAType0EEvPKT_PKT0_S9_ifPKiSB_SB_iPKfiiiPfSE_PS4_PT2_iSD_SD_.kd
    .uniform_work_group_size: 1
    .uses_dynamic_stack: false
    .vgpr_count:     150
    .vgpr_spill_count: 0
    .wavefront_size: 32
    .workgroup_processor_mode: 1
  - .args:
      - .actual_access:  read_only
        .address_space:  global
        .offset:         0
        .size:           8
        .value_kind:     global_buffer
      - .actual_access:  read_only
        .address_space:  global
        .offset:         8
        .size:           8
        .value_kind:     global_buffer
      - .actual_access:  read_only
        .address_space:  global
        .offset:         16
        .size:           8
        .value_kind:     global_buffer
      - .offset:         24
        .size:           4
        .value_kind:     by_value
      - .offset:         28
        .size:           4
        .value_kind:     by_value
      - .actual_access:  read_only
        .address_space:  global
        .offset:         32
        .size:           8
        .value_kind:     global_buffer
      - .actual_access:  read_only
        .address_space:  global
        .offset:         40
        .size:           8
        .value_kind:     global_buffer
      - .actual_access:  read_only
        .address_space:  global
        .offset:         48
        .size:           8
        .value_kind:     global_buffer
      - .offset:         56
        .size:           4
        .value_kind:     by_value
      - .actual_access:  read_only
        .address_space:  global
        .offset:         64
        .size:           8
        .value_kind:     global_buffer
      - .offset:         72
        .size:           4
        .value_kind:     by_value
      - .offset:         76
        .size:           4
        .value_kind:     by_value
      - .offset:         80
        .size:           4
        .value_kind:     by_value
      - .actual_access:  write_only
        .address_space:  global
        .offset:         88
        .size:           8
        .value_kind:     global_buffer
      - .actual_access:  write_only
        .address_space:  global
        .offset:         96
        .size:           8
        .value_kind:     global_buffer
      - .actual_access:  write_only
        .address_space:  global
        .offset:         104
        .size:           8
        .value_kind:     global_buffer
      - .actual_access:  read_only
        .address_space:  global
        .offset:         112
        .size:           8
        .value_kind:     global_buffer
      - .offset:         120
        .size:           4
        .value_kind:     by_value
      - .address_space:  global
        .offset:         128
        .size:           8
        .value_kind:     global_buffer
      - .address_space:  global
        .offset:         136
        .size:           8
        .value_kind:     global_buffer
      - .offset:         144
        .size:           4
        .value_kind:     hidden_block_count_x
      - .offset:         148
        .size:           4
        .value_kind:     hidden_block_count_y
      - .offset:         152
        .size:           4
        .value_kind:     hidden_block_count_z
      - .offset:         156
        .size:           2
        .value_kind:     hidden_group_size_x
      - .offset:         158
        .size:           2
        .value_kind:     hidden_group_size_y
      - .offset:         160
        .size:           2
        .value_kind:     hidden_group_size_z
      - .offset:         162
        .size:           2
        .value_kind:     hidden_remainder_x
      - .offset:         164
        .size:           2
        .value_kind:     hidden_remainder_y
      - .offset:         166
        .size:           2
        .value_kind:     hidden_remainder_z
      - .offset:         184
        .size:           8
        .value_kind:     hidden_global_offset_x
      - .offset:         192
        .size:           8
        .value_kind:     hidden_global_offset_y
      - .offset:         200
        .size:           8
        .value_kind:     hidden_global_offset_z
      - .offset:         208
        .size:           2
        .value_kind:     hidden_grid_dims
    .group_segment_fixed_size: 17472
    .kernarg_segment_align: 8
    .kernarg_segment_size: 400
    .language:       OpenCL C
    .language_version:
      - 2
      - 0
    .max_flat_workgroup_size: 256
    .name:           _Z39paged_attention_ll4mi_QKV_mfma16_kernelI14__hip_bfloat16S0_LN4vllm18Fp8KVCacheDataTypeE0ES0_Li32ELi128ELi256ELb1ELi1EL8MFMAType0EEvPKT_PKT0_S9_ifPKiSB_SB_iPKfiiiPfSE_PS4_PT2_iSD_SD_
    .private_segment_fixed_size: 0
    .sgpr_count:     99
    .sgpr_spill_count: 0
    .symbol:         _Z39paged_attention_ll4mi_QKV_mfma16_kernelI14__hip_bfloat16S0_LN4vllm18Fp8KVCacheDataTypeE0ES0_Li32ELi128ELi256ELb1ELi1EL8MFMAType0EEvPKT_PKT0_S9_ifPKiSB_SB_iPKfiiiPfSE_PS4_PT2_iSD_SD_.kd
    .uniform_work_group_size: 1
    .uses_dynamic_stack: false
    .vgpr_count:     144
    .vgpr_spill_count: 0
    .wavefront_size: 32
    .workgroup_processor_mode: 1
  - .args:
      - .actual_access:  read_only
        .address_space:  global
        .offset:         0
        .size:           8
        .value_kind:     global_buffer
      - .actual_access:  read_only
        .address_space:  global
        .offset:         8
        .size:           8
        .value_kind:     global_buffer
      - .actual_access:  read_only
        .address_space:  global
        .offset:         16
        .size:           8
        .value_kind:     global_buffer
      - .offset:         24
        .size:           4
        .value_kind:     by_value
      - .offset:         28
        .size:           4
        .value_kind:     by_value
      - .actual_access:  read_only
        .address_space:  global
        .offset:         32
        .size:           8
        .value_kind:     global_buffer
      - .actual_access:  read_only
        .address_space:  global
        .offset:         40
        .size:           8
        .value_kind:     global_buffer
      - .actual_access:  read_only
        .address_space:  global
        .offset:         48
        .size:           8
        .value_kind:     global_buffer
      - .offset:         56
        .size:           4
        .value_kind:     by_value
      - .actual_access:  read_only
        .address_space:  global
        .offset:         64
        .size:           8
        .value_kind:     global_buffer
      - .offset:         72
        .size:           4
        .value_kind:     by_value
      - .offset:         76
        .size:           4
        .value_kind:     by_value
      - .offset:         80
        .size:           4
        .value_kind:     by_value
      - .actual_access:  write_only
        .address_space:  global
        .offset:         88
        .size:           8
        .value_kind:     global_buffer
      - .actual_access:  write_only
        .address_space:  global
        .offset:         96
        .size:           8
        .value_kind:     global_buffer
      - .actual_access:  write_only
        .address_space:  global
        .offset:         104
        .size:           8
        .value_kind:     global_buffer
      - .actual_access:  read_only
        .address_space:  global
        .offset:         112
        .size:           8
        .value_kind:     global_buffer
      - .offset:         120
        .size:           4
        .value_kind:     by_value
      - .address_space:  global
        .offset:         128
        .size:           8
        .value_kind:     global_buffer
      - .address_space:  global
        .offset:         136
        .size:           8
        .value_kind:     global_buffer
      - .offset:         144
        .size:           4
        .value_kind:     hidden_block_count_x
      - .offset:         148
        .size:           4
        .value_kind:     hidden_block_count_y
      - .offset:         152
        .size:           4
        .value_kind:     hidden_block_count_z
      - .offset:         156
        .size:           2
        .value_kind:     hidden_group_size_x
      - .offset:         158
        .size:           2
        .value_kind:     hidden_group_size_y
      - .offset:         160
        .size:           2
        .value_kind:     hidden_group_size_z
      - .offset:         162
        .size:           2
        .value_kind:     hidden_remainder_x
      - .offset:         164
        .size:           2
        .value_kind:     hidden_remainder_y
      - .offset:         166
        .size:           2
        .value_kind:     hidden_remainder_z
      - .offset:         184
        .size:           8
        .value_kind:     hidden_global_offset_x
      - .offset:         192
        .size:           8
        .value_kind:     hidden_global_offset_y
      - .offset:         200
        .size:           8
        .value_kind:     hidden_global_offset_z
      - .offset:         208
        .size:           2
        .value_kind:     hidden_grid_dims
    .group_segment_fixed_size: 17472
    .kernarg_segment_align: 8
    .kernarg_segment_size: 400
    .language:       OpenCL C
    .language_version:
      - 2
      - 0
    .max_flat_workgroup_size: 256
    .name:           _Z39paged_attention_ll4mi_QKV_mfma16_kernelI14__hip_bfloat16S0_LN4vllm18Fp8KVCacheDataTypeE0ES0_Li32ELi128ELi256ELb1ELi2EL8MFMAType0EEvPKT_PKT0_S9_ifPKiSB_SB_iPKfiiiPfSE_PS4_PT2_iSD_SD_
    .private_segment_fixed_size: 0
    .sgpr_count:     40
    .sgpr_spill_count: 0
    .symbol:         _Z39paged_attention_ll4mi_QKV_mfma16_kernelI14__hip_bfloat16S0_LN4vllm18Fp8KVCacheDataTypeE0ES0_Li32ELi128ELi256ELb1ELi2EL8MFMAType0EEvPKT_PKT0_S9_ifPKiSB_SB_iPKfiiiPfSE_PS4_PT2_iSD_SD_.kd
    .uniform_work_group_size: 1
    .uses_dynamic_stack: false
    .vgpr_count:     145
    .vgpr_spill_count: 0
    .wavefront_size: 32
    .workgroup_processor_mode: 1
  - .args:
      - .actual_access:  read_only
        .address_space:  global
        .offset:         0
        .size:           8
        .value_kind:     global_buffer
      - .actual_access:  read_only
        .address_space:  global
        .offset:         8
        .size:           8
        .value_kind:     global_buffer
      - .actual_access:  read_only
        .address_space:  global
        .offset:         16
        .size:           8
        .value_kind:     global_buffer
      - .offset:         24
        .size:           4
        .value_kind:     by_value
      - .offset:         28
        .size:           4
        .value_kind:     by_value
      - .actual_access:  read_only
        .address_space:  global
        .offset:         32
        .size:           8
        .value_kind:     global_buffer
      - .actual_access:  read_only
        .address_space:  global
        .offset:         40
        .size:           8
        .value_kind:     global_buffer
      - .actual_access:  read_only
        .address_space:  global
        .offset:         48
        .size:           8
        .value_kind:     global_buffer
      - .offset:         56
        .size:           4
        .value_kind:     by_value
      - .actual_access:  read_only
        .address_space:  global
        .offset:         64
        .size:           8
        .value_kind:     global_buffer
      - .offset:         72
        .size:           4
        .value_kind:     by_value
      - .offset:         76
        .size:           4
        .value_kind:     by_value
      - .offset:         80
        .size:           4
        .value_kind:     by_value
      - .actual_access:  write_only
        .address_space:  global
        .offset:         88
        .size:           8
        .value_kind:     global_buffer
      - .actual_access:  write_only
        .address_space:  global
        .offset:         96
        .size:           8
        .value_kind:     global_buffer
      - .actual_access:  write_only
        .address_space:  global
        .offset:         104
        .size:           8
        .value_kind:     global_buffer
      - .actual_access:  read_only
        .address_space:  global
        .offset:         112
        .size:           8
        .value_kind:     global_buffer
      - .offset:         120
        .size:           4
        .value_kind:     by_value
      - .address_space:  global
        .offset:         128
        .size:           8
        .value_kind:     global_buffer
      - .address_space:  global
        .offset:         136
        .size:           8
        .value_kind:     global_buffer
      - .offset:         144
        .size:           4
        .value_kind:     hidden_block_count_x
      - .offset:         148
        .size:           4
        .value_kind:     hidden_block_count_y
      - .offset:         152
        .size:           4
        .value_kind:     hidden_block_count_z
      - .offset:         156
        .size:           2
        .value_kind:     hidden_group_size_x
      - .offset:         158
        .size:           2
        .value_kind:     hidden_group_size_y
      - .offset:         160
        .size:           2
        .value_kind:     hidden_group_size_z
      - .offset:         162
        .size:           2
        .value_kind:     hidden_remainder_x
      - .offset:         164
        .size:           2
        .value_kind:     hidden_remainder_y
      - .offset:         166
        .size:           2
        .value_kind:     hidden_remainder_z
      - .offset:         184
        .size:           8
        .value_kind:     hidden_global_offset_x
      - .offset:         192
        .size:           8
        .value_kind:     hidden_global_offset_y
      - .offset:         200
        .size:           8
        .value_kind:     hidden_global_offset_z
      - .offset:         208
        .size:           2
        .value_kind:     hidden_grid_dims
    .group_segment_fixed_size: 17472
    .kernarg_segment_align: 8
    .kernarg_segment_size: 400
    .language:       OpenCL C
    .language_version:
      - 2
      - 0
    .max_flat_workgroup_size: 256
    .name:           _Z39paged_attention_ll4mi_QKV_mfma16_kernelI14__hip_bfloat16S0_LN4vllm18Fp8KVCacheDataTypeE0ES0_Li32ELi128ELi256ELb1ELi3EL8MFMAType0EEvPKT_PKT0_S9_ifPKiSB_SB_iPKfiiiPfSE_PS4_PT2_iSD_SD_
    .private_segment_fixed_size: 0
    .sgpr_count:     39
    .sgpr_spill_count: 0
    .symbol:         _Z39paged_attention_ll4mi_QKV_mfma16_kernelI14__hip_bfloat16S0_LN4vllm18Fp8KVCacheDataTypeE0ES0_Li32ELi128ELi256ELb1ELi3EL8MFMAType0EEvPKT_PKT0_S9_ifPKiSB_SB_iPKfiiiPfSE_PS4_PT2_iSD_SD_.kd
    .uniform_work_group_size: 1
    .uses_dynamic_stack: false
    .vgpr_count:     157
    .vgpr_spill_count: 0
    .wavefront_size: 32
    .workgroup_processor_mode: 1
  - .args:
      - .actual_access:  read_only
        .address_space:  global
        .offset:         0
        .size:           8
        .value_kind:     global_buffer
      - .actual_access:  read_only
        .address_space:  global
        .offset:         8
        .size:           8
        .value_kind:     global_buffer
      - .actual_access:  read_only
        .address_space:  global
        .offset:         16
        .size:           8
        .value_kind:     global_buffer
      - .offset:         24
        .size:           4
        .value_kind:     by_value
      - .offset:         28
        .size:           4
        .value_kind:     by_value
      - .actual_access:  read_only
        .address_space:  global
        .offset:         32
        .size:           8
        .value_kind:     global_buffer
      - .actual_access:  read_only
        .address_space:  global
        .offset:         40
        .size:           8
        .value_kind:     global_buffer
      - .actual_access:  read_only
        .address_space:  global
        .offset:         48
        .size:           8
        .value_kind:     global_buffer
      - .offset:         56
        .size:           4
        .value_kind:     by_value
      - .actual_access:  read_only
        .address_space:  global
        .offset:         64
        .size:           8
        .value_kind:     global_buffer
      - .offset:         72
        .size:           4
        .value_kind:     by_value
      - .offset:         76
        .size:           4
        .value_kind:     by_value
      - .offset:         80
        .size:           4
        .value_kind:     by_value
      - .actual_access:  write_only
        .address_space:  global
        .offset:         88
        .size:           8
        .value_kind:     global_buffer
      - .actual_access:  write_only
        .address_space:  global
        .offset:         96
        .size:           8
        .value_kind:     global_buffer
      - .actual_access:  write_only
        .address_space:  global
        .offset:         104
        .size:           8
        .value_kind:     global_buffer
      - .actual_access:  read_only
        .address_space:  global
        .offset:         112
        .size:           8
        .value_kind:     global_buffer
      - .offset:         120
        .size:           4
        .value_kind:     by_value
      - .address_space:  global
        .offset:         128
        .size:           8
        .value_kind:     global_buffer
      - .address_space:  global
        .offset:         136
        .size:           8
        .value_kind:     global_buffer
      - .offset:         144
        .size:           4
        .value_kind:     hidden_block_count_x
      - .offset:         148
        .size:           4
        .value_kind:     hidden_block_count_y
      - .offset:         152
        .size:           4
        .value_kind:     hidden_block_count_z
      - .offset:         156
        .size:           2
        .value_kind:     hidden_group_size_x
      - .offset:         158
        .size:           2
        .value_kind:     hidden_group_size_y
      - .offset:         160
        .size:           2
        .value_kind:     hidden_group_size_z
      - .offset:         162
        .size:           2
        .value_kind:     hidden_remainder_x
      - .offset:         164
        .size:           2
        .value_kind:     hidden_remainder_y
      - .offset:         166
        .size:           2
        .value_kind:     hidden_remainder_z
      - .offset:         184
        .size:           8
        .value_kind:     hidden_global_offset_x
      - .offset:         192
        .size:           8
        .value_kind:     hidden_global_offset_y
      - .offset:         200
        .size:           8
        .value_kind:     hidden_global_offset_z
      - .offset:         208
        .size:           2
        .value_kind:     hidden_grid_dims
    .group_segment_fixed_size: 17472
    .kernarg_segment_align: 8
    .kernarg_segment_size: 400
    .language:       OpenCL C
    .language_version:
      - 2
      - 0
    .max_flat_workgroup_size: 256
    .name:           _Z39paged_attention_ll4mi_QKV_mfma16_kernelI14__hip_bfloat16S0_LN4vllm18Fp8KVCacheDataTypeE0ES0_Li32ELi128ELi256ELb1ELi4EL8MFMAType0EEvPKT_PKT0_S9_ifPKiSB_SB_iPKfiiiPfSE_PS4_PT2_iSD_SD_
    .private_segment_fixed_size: 0
    .sgpr_count:     42
    .sgpr_spill_count: 0
    .symbol:         _Z39paged_attention_ll4mi_QKV_mfma16_kernelI14__hip_bfloat16S0_LN4vllm18Fp8KVCacheDataTypeE0ES0_Li32ELi128ELi256ELb1ELi4EL8MFMAType0EEvPKT_PKT0_S9_ifPKiSB_SB_iPKfiiiPfSE_PS4_PT2_iSD_SD_.kd
    .uniform_work_group_size: 1
    .uses_dynamic_stack: false
    .vgpr_count:     157
    .vgpr_spill_count: 0
    .wavefront_size: 32
    .workgroup_processor_mode: 1
  - .args:
      - .actual_access:  read_only
        .address_space:  global
        .offset:         0
        .size:           8
        .value_kind:     global_buffer
      - .actual_access:  read_only
        .address_space:  global
        .offset:         8
        .size:           8
        .value_kind:     global_buffer
      - .actual_access:  read_only
        .address_space:  global
        .offset:         16
        .size:           8
        .value_kind:     global_buffer
      - .offset:         24
        .size:           4
        .value_kind:     by_value
      - .offset:         28
        .size:           4
        .value_kind:     by_value
      - .actual_access:  read_only
        .address_space:  global
        .offset:         32
        .size:           8
        .value_kind:     global_buffer
      - .actual_access:  read_only
        .address_space:  global
        .offset:         40
        .size:           8
        .value_kind:     global_buffer
      - .actual_access:  read_only
        .address_space:  global
        .offset:         48
        .size:           8
        .value_kind:     global_buffer
      - .offset:         56
        .size:           4
        .value_kind:     by_value
      - .actual_access:  read_only
        .address_space:  global
        .offset:         64
        .size:           8
        .value_kind:     global_buffer
      - .offset:         72
        .size:           4
        .value_kind:     by_value
      - .offset:         76
        .size:           4
        .value_kind:     by_value
      - .offset:         80
        .size:           4
        .value_kind:     by_value
      - .actual_access:  read_only
        .address_space:  global
        .offset:         88
        .size:           8
        .value_kind:     global_buffer
      - .actual_access:  read_only
        .address_space:  global
        .offset:         96
        .size:           8
        .value_kind:     global_buffer
      - .actual_access:  read_only
        .address_space:  global
        .offset:         104
        .size:           8
        .value_kind:     global_buffer
      - .actual_access:  read_only
        .address_space:  global
        .offset:         112
        .size:           8
        .value_kind:     global_buffer
      - .offset:         120
        .size:           4
        .value_kind:     by_value
      - .address_space:  global
        .offset:         128
        .size:           8
        .value_kind:     global_buffer
      - .address_space:  global
        .offset:         136
        .size:           8
        .value_kind:     global_buffer
      - .offset:         144
        .size:           4
        .value_kind:     hidden_block_count_x
      - .offset:         148
        .size:           4
        .value_kind:     hidden_block_count_y
      - .offset:         152
        .size:           4
        .value_kind:     hidden_block_count_z
      - .offset:         156
        .size:           2
        .value_kind:     hidden_group_size_x
      - .offset:         158
        .size:           2
        .value_kind:     hidden_group_size_y
      - .offset:         160
        .size:           2
        .value_kind:     hidden_group_size_z
      - .offset:         162
        .size:           2
        .value_kind:     hidden_remainder_x
      - .offset:         164
        .size:           2
        .value_kind:     hidden_remainder_y
      - .offset:         166
        .size:           2
        .value_kind:     hidden_remainder_z
      - .offset:         184
        .size:           8
        .value_kind:     hidden_global_offset_x
      - .offset:         192
        .size:           8
        .value_kind:     hidden_global_offset_y
      - .offset:         200
        .size:           8
        .value_kind:     hidden_global_offset_z
      - .offset:         208
        .size:           2
        .value_kind:     hidden_grid_dims
      - .offset:         224
        .size:           8
        .value_kind:     hidden_hostcall_buffer
    .group_segment_fixed_size: 0
    .kernarg_segment_align: 8
    .kernarg_segment_size: 400
    .language:       OpenCL C
    .language_version:
      - 2
      - 0
    .max_flat_workgroup_size: 256
    .name:           _Z38paged_attention_ll4mi_QKV_mfma4_kernelI14__hip_bfloat16S0_LN4vllm18Fp8KVCacheDataTypeE0ES0_Li32ELi128ELi256ELb0ELi1EEvPKT_PKT0_S8_ifPKiSA_SA_iPKfiiiPfSD_PS3_PT2_iSC_SC_
    .private_segment_fixed_size: 64
    .sgpr_count:     36
    .sgpr_spill_count: 0
    .symbol:         _Z38paged_attention_ll4mi_QKV_mfma4_kernelI14__hip_bfloat16S0_LN4vllm18Fp8KVCacheDataTypeE0ES0_Li32ELi128ELi256ELb0ELi1EEvPKT_PKT0_S8_ifPKiSA_SA_iPKfiiiPfSD_PS3_PT2_iSC_SC_.kd
    .uniform_work_group_size: 1
    .uses_dynamic_stack: false
    .vgpr_count:     41
    .vgpr_spill_count: 0
    .wavefront_size: 32
    .workgroup_processor_mode: 1
  - .args:
      - .actual_access:  read_only
        .address_space:  global
        .offset:         0
        .size:           8
        .value_kind:     global_buffer
      - .actual_access:  read_only
        .address_space:  global
        .offset:         8
        .size:           8
        .value_kind:     global_buffer
      - .actual_access:  read_only
        .address_space:  global
        .offset:         16
        .size:           8
        .value_kind:     global_buffer
      - .offset:         24
        .size:           4
        .value_kind:     by_value
      - .offset:         28
        .size:           4
        .value_kind:     by_value
      - .actual_access:  read_only
        .address_space:  global
        .offset:         32
        .size:           8
        .value_kind:     global_buffer
      - .actual_access:  read_only
        .address_space:  global
        .offset:         40
        .size:           8
        .value_kind:     global_buffer
      - .actual_access:  read_only
        .address_space:  global
        .offset:         48
        .size:           8
        .value_kind:     global_buffer
      - .offset:         56
        .size:           4
        .value_kind:     by_value
      - .actual_access:  read_only
        .address_space:  global
        .offset:         64
        .size:           8
        .value_kind:     global_buffer
      - .offset:         72
        .size:           4
        .value_kind:     by_value
      - .offset:         76
        .size:           4
        .value_kind:     by_value
      - .offset:         80
        .size:           4
        .value_kind:     by_value
      - .actual_access:  read_only
        .address_space:  global
        .offset:         88
        .size:           8
        .value_kind:     global_buffer
      - .actual_access:  read_only
        .address_space:  global
        .offset:         96
        .size:           8
        .value_kind:     global_buffer
      - .actual_access:  read_only
        .address_space:  global
        .offset:         104
        .size:           8
        .value_kind:     global_buffer
      - .actual_access:  read_only
        .address_space:  global
        .offset:         112
        .size:           8
        .value_kind:     global_buffer
      - .offset:         120
        .size:           4
        .value_kind:     by_value
      - .address_space:  global
        .offset:         128
        .size:           8
        .value_kind:     global_buffer
      - .address_space:  global
        .offset:         136
        .size:           8
        .value_kind:     global_buffer
      - .offset:         144
        .size:           4
        .value_kind:     hidden_block_count_x
      - .offset:         148
        .size:           4
        .value_kind:     hidden_block_count_y
      - .offset:         152
        .size:           4
        .value_kind:     hidden_block_count_z
      - .offset:         156
        .size:           2
        .value_kind:     hidden_group_size_x
      - .offset:         158
        .size:           2
        .value_kind:     hidden_group_size_y
      - .offset:         160
        .size:           2
        .value_kind:     hidden_group_size_z
      - .offset:         162
        .size:           2
        .value_kind:     hidden_remainder_x
      - .offset:         164
        .size:           2
        .value_kind:     hidden_remainder_y
      - .offset:         166
        .size:           2
        .value_kind:     hidden_remainder_z
      - .offset:         184
        .size:           8
        .value_kind:     hidden_global_offset_x
      - .offset:         192
        .size:           8
        .value_kind:     hidden_global_offset_y
      - .offset:         200
        .size:           8
        .value_kind:     hidden_global_offset_z
      - .offset:         208
        .size:           2
        .value_kind:     hidden_grid_dims
      - .offset:         224
        .size:           8
        .value_kind:     hidden_hostcall_buffer
    .group_segment_fixed_size: 0
    .kernarg_segment_align: 8
    .kernarg_segment_size: 400
    .language:       OpenCL C
    .language_version:
      - 2
      - 0
    .max_flat_workgroup_size: 256
    .name:           _Z38paged_attention_ll4mi_QKV_mfma4_kernelI14__hip_bfloat16S0_LN4vllm18Fp8KVCacheDataTypeE0ES0_Li32ELi128ELi256ELb0ELi2EEvPKT_PKT0_S8_ifPKiSA_SA_iPKfiiiPfSD_PS3_PT2_iSC_SC_
    .private_segment_fixed_size: 64
    .sgpr_count:     36
    .sgpr_spill_count: 0
    .symbol:         _Z38paged_attention_ll4mi_QKV_mfma4_kernelI14__hip_bfloat16S0_LN4vllm18Fp8KVCacheDataTypeE0ES0_Li32ELi128ELi256ELb0ELi2EEvPKT_PKT0_S8_ifPKiSA_SA_iPKfiiiPfSD_PS3_PT2_iSC_SC_.kd
    .uniform_work_group_size: 1
    .uses_dynamic_stack: false
    .vgpr_count:     41
    .vgpr_spill_count: 0
    .wavefront_size: 32
    .workgroup_processor_mode: 1
  - .args:
      - .actual_access:  read_only
        .address_space:  global
        .offset:         0
        .size:           8
        .value_kind:     global_buffer
      - .actual_access:  read_only
        .address_space:  global
        .offset:         8
        .size:           8
        .value_kind:     global_buffer
      - .actual_access:  read_only
        .address_space:  global
        .offset:         16
        .size:           8
        .value_kind:     global_buffer
      - .offset:         24
        .size:           4
        .value_kind:     by_value
      - .offset:         28
        .size:           4
        .value_kind:     by_value
      - .actual_access:  read_only
        .address_space:  global
        .offset:         32
        .size:           8
        .value_kind:     global_buffer
      - .actual_access:  read_only
        .address_space:  global
        .offset:         40
        .size:           8
        .value_kind:     global_buffer
      - .actual_access:  read_only
        .address_space:  global
        .offset:         48
        .size:           8
        .value_kind:     global_buffer
      - .offset:         56
        .size:           4
        .value_kind:     by_value
      - .actual_access:  read_only
        .address_space:  global
        .offset:         64
        .size:           8
        .value_kind:     global_buffer
      - .offset:         72
        .size:           4
        .value_kind:     by_value
      - .offset:         76
        .size:           4
        .value_kind:     by_value
      - .offset:         80
        .size:           4
        .value_kind:     by_value
      - .actual_access:  read_only
        .address_space:  global
        .offset:         88
        .size:           8
        .value_kind:     global_buffer
      - .actual_access:  read_only
        .address_space:  global
        .offset:         96
        .size:           8
        .value_kind:     global_buffer
      - .actual_access:  read_only
        .address_space:  global
        .offset:         104
        .size:           8
        .value_kind:     global_buffer
      - .actual_access:  read_only
        .address_space:  global
        .offset:         112
        .size:           8
        .value_kind:     global_buffer
      - .offset:         120
        .size:           4
        .value_kind:     by_value
      - .address_space:  global
        .offset:         128
        .size:           8
        .value_kind:     global_buffer
      - .address_space:  global
        .offset:         136
        .size:           8
        .value_kind:     global_buffer
      - .offset:         144
        .size:           4
        .value_kind:     hidden_block_count_x
      - .offset:         148
        .size:           4
        .value_kind:     hidden_block_count_y
      - .offset:         152
        .size:           4
        .value_kind:     hidden_block_count_z
      - .offset:         156
        .size:           2
        .value_kind:     hidden_group_size_x
      - .offset:         158
        .size:           2
        .value_kind:     hidden_group_size_y
      - .offset:         160
        .size:           2
        .value_kind:     hidden_group_size_z
      - .offset:         162
        .size:           2
        .value_kind:     hidden_remainder_x
      - .offset:         164
        .size:           2
        .value_kind:     hidden_remainder_y
      - .offset:         166
        .size:           2
        .value_kind:     hidden_remainder_z
      - .offset:         184
        .size:           8
        .value_kind:     hidden_global_offset_x
      - .offset:         192
        .size:           8
        .value_kind:     hidden_global_offset_y
      - .offset:         200
        .size:           8
        .value_kind:     hidden_global_offset_z
      - .offset:         208
        .size:           2
        .value_kind:     hidden_grid_dims
      - .offset:         224
        .size:           8
        .value_kind:     hidden_hostcall_buffer
    .group_segment_fixed_size: 0
    .kernarg_segment_align: 8
    .kernarg_segment_size: 400
    .language:       OpenCL C
    .language_version:
      - 2
      - 0
    .max_flat_workgroup_size: 256
    .name:           _Z38paged_attention_ll4mi_QKV_mfma4_kernelI14__hip_bfloat16S0_LN4vllm18Fp8KVCacheDataTypeE0ES0_Li32ELi128ELi256ELb0ELi3EEvPKT_PKT0_S8_ifPKiSA_SA_iPKfiiiPfSD_PS3_PT2_iSC_SC_
    .private_segment_fixed_size: 64
    .sgpr_count:     36
    .sgpr_spill_count: 0
    .symbol:         _Z38paged_attention_ll4mi_QKV_mfma4_kernelI14__hip_bfloat16S0_LN4vllm18Fp8KVCacheDataTypeE0ES0_Li32ELi128ELi256ELb0ELi3EEvPKT_PKT0_S8_ifPKiSA_SA_iPKfiiiPfSD_PS3_PT2_iSC_SC_.kd
    .uniform_work_group_size: 1
    .uses_dynamic_stack: false
    .vgpr_count:     41
    .vgpr_spill_count: 0
    .wavefront_size: 32
    .workgroup_processor_mode: 1
  - .args:
      - .actual_access:  read_only
        .address_space:  global
        .offset:         0
        .size:           8
        .value_kind:     global_buffer
      - .actual_access:  read_only
        .address_space:  global
        .offset:         8
        .size:           8
        .value_kind:     global_buffer
      - .actual_access:  read_only
        .address_space:  global
        .offset:         16
        .size:           8
        .value_kind:     global_buffer
      - .offset:         24
        .size:           4
        .value_kind:     by_value
      - .offset:         28
        .size:           4
        .value_kind:     by_value
      - .actual_access:  read_only
        .address_space:  global
        .offset:         32
        .size:           8
        .value_kind:     global_buffer
      - .actual_access:  read_only
        .address_space:  global
        .offset:         40
        .size:           8
        .value_kind:     global_buffer
      - .actual_access:  read_only
        .address_space:  global
        .offset:         48
        .size:           8
        .value_kind:     global_buffer
      - .offset:         56
        .size:           4
        .value_kind:     by_value
      - .actual_access:  read_only
        .address_space:  global
        .offset:         64
        .size:           8
        .value_kind:     global_buffer
      - .offset:         72
        .size:           4
        .value_kind:     by_value
      - .offset:         76
        .size:           4
        .value_kind:     by_value
      - .offset:         80
        .size:           4
        .value_kind:     by_value
      - .actual_access:  read_only
        .address_space:  global
        .offset:         88
        .size:           8
        .value_kind:     global_buffer
      - .actual_access:  read_only
        .address_space:  global
        .offset:         96
        .size:           8
        .value_kind:     global_buffer
      - .actual_access:  read_only
        .address_space:  global
        .offset:         104
        .size:           8
        .value_kind:     global_buffer
      - .actual_access:  read_only
        .address_space:  global
        .offset:         112
        .size:           8
        .value_kind:     global_buffer
      - .offset:         120
        .size:           4
        .value_kind:     by_value
      - .address_space:  global
        .offset:         128
        .size:           8
        .value_kind:     global_buffer
      - .address_space:  global
        .offset:         136
        .size:           8
        .value_kind:     global_buffer
      - .offset:         144
        .size:           4
        .value_kind:     hidden_block_count_x
      - .offset:         148
        .size:           4
        .value_kind:     hidden_block_count_y
      - .offset:         152
        .size:           4
        .value_kind:     hidden_block_count_z
      - .offset:         156
        .size:           2
        .value_kind:     hidden_group_size_x
      - .offset:         158
        .size:           2
        .value_kind:     hidden_group_size_y
      - .offset:         160
        .size:           2
        .value_kind:     hidden_group_size_z
      - .offset:         162
        .size:           2
        .value_kind:     hidden_remainder_x
      - .offset:         164
        .size:           2
        .value_kind:     hidden_remainder_y
      - .offset:         166
        .size:           2
        .value_kind:     hidden_remainder_z
      - .offset:         184
        .size:           8
        .value_kind:     hidden_global_offset_x
      - .offset:         192
        .size:           8
        .value_kind:     hidden_global_offset_y
      - .offset:         200
        .size:           8
        .value_kind:     hidden_global_offset_z
      - .offset:         208
        .size:           2
        .value_kind:     hidden_grid_dims
      - .offset:         224
        .size:           8
        .value_kind:     hidden_hostcall_buffer
    .group_segment_fixed_size: 0
    .kernarg_segment_align: 8
    .kernarg_segment_size: 400
    .language:       OpenCL C
    .language_version:
      - 2
      - 0
    .max_flat_workgroup_size: 256
    .name:           _Z38paged_attention_ll4mi_QKV_mfma4_kernelI14__hip_bfloat16S0_LN4vllm18Fp8KVCacheDataTypeE0ES0_Li32ELi128ELi256ELb0ELi4EEvPKT_PKT0_S8_ifPKiSA_SA_iPKfiiiPfSD_PS3_PT2_iSC_SC_
    .private_segment_fixed_size: 64
    .sgpr_count:     36
    .sgpr_spill_count: 0
    .symbol:         _Z38paged_attention_ll4mi_QKV_mfma4_kernelI14__hip_bfloat16S0_LN4vllm18Fp8KVCacheDataTypeE0ES0_Li32ELi128ELi256ELb0ELi4EEvPKT_PKT0_S8_ifPKiSA_SA_iPKfiiiPfSD_PS3_PT2_iSC_SC_.kd
    .uniform_work_group_size: 1
    .uses_dynamic_stack: false
    .vgpr_count:     41
    .vgpr_spill_count: 0
    .wavefront_size: 32
    .workgroup_processor_mode: 1
  - .args:
      - .actual_access:  read_only
        .address_space:  global
        .offset:         0
        .size:           8
        .value_kind:     global_buffer
      - .actual_access:  read_only
        .address_space:  global
        .offset:         8
        .size:           8
        .value_kind:     global_buffer
      - .actual_access:  read_only
        .address_space:  global
        .offset:         16
        .size:           8
        .value_kind:     global_buffer
      - .offset:         24
        .size:           4
        .value_kind:     by_value
      - .offset:         28
        .size:           4
        .value_kind:     by_value
      - .actual_access:  read_only
        .address_space:  global
        .offset:         32
        .size:           8
        .value_kind:     global_buffer
      - .actual_access:  read_only
        .address_space:  global
        .offset:         40
        .size:           8
        .value_kind:     global_buffer
      - .actual_access:  read_only
        .address_space:  global
        .offset:         48
        .size:           8
        .value_kind:     global_buffer
      - .offset:         56
        .size:           4
        .value_kind:     by_value
      - .actual_access:  read_only
        .address_space:  global
        .offset:         64
        .size:           8
        .value_kind:     global_buffer
      - .offset:         72
        .size:           4
        .value_kind:     by_value
      - .offset:         76
        .size:           4
        .value_kind:     by_value
      - .offset:         80
        .size:           4
        .value_kind:     by_value
      - .actual_access:  write_only
        .address_space:  global
        .offset:         88
        .size:           8
        .value_kind:     global_buffer
      - .actual_access:  write_only
        .address_space:  global
        .offset:         96
        .size:           8
        .value_kind:     global_buffer
      - .actual_access:  write_only
        .address_space:  global
        .offset:         104
        .size:           8
        .value_kind:     global_buffer
      - .actual_access:  read_only
        .address_space:  global
        .offset:         112
        .size:           8
        .value_kind:     global_buffer
      - .offset:         120
        .size:           4
        .value_kind:     by_value
      - .address_space:  global
        .offset:         128
        .size:           8
        .value_kind:     global_buffer
      - .address_space:  global
        .offset:         136
        .size:           8
        .value_kind:     global_buffer
      - .offset:         144
        .size:           4
        .value_kind:     hidden_block_count_x
      - .offset:         148
        .size:           4
        .value_kind:     hidden_block_count_y
      - .offset:         152
        .size:           4
        .value_kind:     hidden_block_count_z
      - .offset:         156
        .size:           2
        .value_kind:     hidden_group_size_x
      - .offset:         158
        .size:           2
        .value_kind:     hidden_group_size_y
      - .offset:         160
        .size:           2
        .value_kind:     hidden_group_size_z
      - .offset:         162
        .size:           2
        .value_kind:     hidden_remainder_x
      - .offset:         164
        .size:           2
        .value_kind:     hidden_remainder_y
      - .offset:         166
        .size:           2
        .value_kind:     hidden_remainder_z
      - .offset:         184
        .size:           8
        .value_kind:     hidden_global_offset_x
      - .offset:         192
        .size:           8
        .value_kind:     hidden_global_offset_y
      - .offset:         200
        .size:           8
        .value_kind:     hidden_global_offset_z
      - .offset:         208
        .size:           2
        .value_kind:     hidden_grid_dims
    .group_segment_fixed_size: 17472
    .kernarg_segment_align: 8
    .kernarg_segment_size: 400
    .language:       OpenCL C
    .language_version:
      - 2
      - 0
    .max_flat_workgroup_size: 256
    .name:           _Z39paged_attention_ll4mi_QKV_mfma16_kernelI14__hip_bfloat16S0_LN4vllm18Fp8KVCacheDataTypeE0ES0_Li32ELi128ELi256ELb0ELi5EL8MFMAType0EEvPKT_PKT0_S9_ifPKiSB_SB_iPKfiiiPfSE_PS4_PT2_iSD_SD_
    .private_segment_fixed_size: 0
    .sgpr_count:     39
    .sgpr_spill_count: 0
    .symbol:         _Z39paged_attention_ll4mi_QKV_mfma16_kernelI14__hip_bfloat16S0_LN4vllm18Fp8KVCacheDataTypeE0ES0_Li32ELi128ELi256ELb0ELi5EL8MFMAType0EEvPKT_PKT0_S9_ifPKiSB_SB_iPKfiiiPfSE_PS4_PT2_iSD_SD_.kd
    .uniform_work_group_size: 1
    .uses_dynamic_stack: false
    .vgpr_count:     157
    .vgpr_spill_count: 0
    .wavefront_size: 32
    .workgroup_processor_mode: 1
  - .args:
      - .actual_access:  read_only
        .address_space:  global
        .offset:         0
        .size:           8
        .value_kind:     global_buffer
      - .actual_access:  read_only
        .address_space:  global
        .offset:         8
        .size:           8
        .value_kind:     global_buffer
      - .actual_access:  read_only
        .address_space:  global
        .offset:         16
        .size:           8
        .value_kind:     global_buffer
      - .offset:         24
        .size:           4
        .value_kind:     by_value
      - .offset:         28
        .size:           4
        .value_kind:     by_value
      - .actual_access:  read_only
        .address_space:  global
        .offset:         32
        .size:           8
        .value_kind:     global_buffer
      - .actual_access:  read_only
        .address_space:  global
        .offset:         40
        .size:           8
        .value_kind:     global_buffer
      - .actual_access:  read_only
        .address_space:  global
        .offset:         48
        .size:           8
        .value_kind:     global_buffer
      - .offset:         56
        .size:           4
        .value_kind:     by_value
      - .actual_access:  read_only
        .address_space:  global
        .offset:         64
        .size:           8
        .value_kind:     global_buffer
      - .offset:         72
        .size:           4
        .value_kind:     by_value
      - .offset:         76
        .size:           4
        .value_kind:     by_value
      - .offset:         80
        .size:           4
        .value_kind:     by_value
      - .actual_access:  write_only
        .address_space:  global
        .offset:         88
        .size:           8
        .value_kind:     global_buffer
      - .actual_access:  write_only
        .address_space:  global
        .offset:         96
        .size:           8
        .value_kind:     global_buffer
      - .actual_access:  write_only
        .address_space:  global
        .offset:         104
        .size:           8
        .value_kind:     global_buffer
      - .actual_access:  read_only
        .address_space:  global
        .offset:         112
        .size:           8
        .value_kind:     global_buffer
      - .offset:         120
        .size:           4
        .value_kind:     by_value
      - .address_space:  global
        .offset:         128
        .size:           8
        .value_kind:     global_buffer
      - .address_space:  global
        .offset:         136
        .size:           8
        .value_kind:     global_buffer
      - .offset:         144
        .size:           4
        .value_kind:     hidden_block_count_x
      - .offset:         148
        .size:           4
        .value_kind:     hidden_block_count_y
      - .offset:         152
        .size:           4
        .value_kind:     hidden_block_count_z
      - .offset:         156
        .size:           2
        .value_kind:     hidden_group_size_x
      - .offset:         158
        .size:           2
        .value_kind:     hidden_group_size_y
      - .offset:         160
        .size:           2
        .value_kind:     hidden_group_size_z
      - .offset:         162
        .size:           2
        .value_kind:     hidden_remainder_x
      - .offset:         164
        .size:           2
        .value_kind:     hidden_remainder_y
      - .offset:         166
        .size:           2
        .value_kind:     hidden_remainder_z
      - .offset:         184
        .size:           8
        .value_kind:     hidden_global_offset_x
      - .offset:         192
        .size:           8
        .value_kind:     hidden_global_offset_y
      - .offset:         200
        .size:           8
        .value_kind:     hidden_global_offset_z
      - .offset:         208
        .size:           2
        .value_kind:     hidden_grid_dims
    .group_segment_fixed_size: 17472
    .kernarg_segment_align: 8
    .kernarg_segment_size: 400
    .language:       OpenCL C
    .language_version:
      - 2
      - 0
    .max_flat_workgroup_size: 256
    .name:           _Z39paged_attention_ll4mi_QKV_mfma16_kernelI14__hip_bfloat16S0_LN4vllm18Fp8KVCacheDataTypeE0ES0_Li32ELi128ELi256ELb0ELi6EL8MFMAType0EEvPKT_PKT0_S9_ifPKiSB_SB_iPKfiiiPfSE_PS4_PT2_iSD_SD_
    .private_segment_fixed_size: 0
    .sgpr_count:     40
    .sgpr_spill_count: 0
    .symbol:         _Z39paged_attention_ll4mi_QKV_mfma16_kernelI14__hip_bfloat16S0_LN4vllm18Fp8KVCacheDataTypeE0ES0_Li32ELi128ELi256ELb0ELi6EL8MFMAType0EEvPKT_PKT0_S9_ifPKiSB_SB_iPKfiiiPfSE_PS4_PT2_iSD_SD_.kd
    .uniform_work_group_size: 1
    .uses_dynamic_stack: false
    .vgpr_count:     157
    .vgpr_spill_count: 0
    .wavefront_size: 32
    .workgroup_processor_mode: 1
  - .args:
      - .actual_access:  read_only
        .address_space:  global
        .offset:         0
        .size:           8
        .value_kind:     global_buffer
      - .actual_access:  read_only
        .address_space:  global
        .offset:         8
        .size:           8
        .value_kind:     global_buffer
      - .actual_access:  read_only
        .address_space:  global
        .offset:         16
        .size:           8
        .value_kind:     global_buffer
      - .offset:         24
        .size:           4
        .value_kind:     by_value
      - .offset:         28
        .size:           4
        .value_kind:     by_value
      - .actual_access:  read_only
        .address_space:  global
        .offset:         32
        .size:           8
        .value_kind:     global_buffer
      - .actual_access:  read_only
        .address_space:  global
        .offset:         40
        .size:           8
        .value_kind:     global_buffer
      - .actual_access:  read_only
        .address_space:  global
        .offset:         48
        .size:           8
        .value_kind:     global_buffer
      - .offset:         56
        .size:           4
        .value_kind:     by_value
      - .actual_access:  read_only
        .address_space:  global
        .offset:         64
        .size:           8
        .value_kind:     global_buffer
      - .offset:         72
        .size:           4
        .value_kind:     by_value
      - .offset:         76
        .size:           4
        .value_kind:     by_value
      - .offset:         80
        .size:           4
        .value_kind:     by_value
      - .actual_access:  write_only
        .address_space:  global
        .offset:         88
        .size:           8
        .value_kind:     global_buffer
      - .actual_access:  write_only
        .address_space:  global
        .offset:         96
        .size:           8
        .value_kind:     global_buffer
      - .actual_access:  write_only
        .address_space:  global
        .offset:         104
        .size:           8
        .value_kind:     global_buffer
      - .actual_access:  read_only
        .address_space:  global
        .offset:         112
        .size:           8
        .value_kind:     global_buffer
      - .offset:         120
        .size:           4
        .value_kind:     by_value
      - .address_space:  global
        .offset:         128
        .size:           8
        .value_kind:     global_buffer
      - .address_space:  global
        .offset:         136
        .size:           8
        .value_kind:     global_buffer
      - .offset:         144
        .size:           4
        .value_kind:     hidden_block_count_x
      - .offset:         148
        .size:           4
        .value_kind:     hidden_block_count_y
      - .offset:         152
        .size:           4
        .value_kind:     hidden_block_count_z
      - .offset:         156
        .size:           2
        .value_kind:     hidden_group_size_x
      - .offset:         158
        .size:           2
        .value_kind:     hidden_group_size_y
      - .offset:         160
        .size:           2
        .value_kind:     hidden_group_size_z
      - .offset:         162
        .size:           2
        .value_kind:     hidden_remainder_x
      - .offset:         164
        .size:           2
        .value_kind:     hidden_remainder_y
      - .offset:         166
        .size:           2
        .value_kind:     hidden_remainder_z
      - .offset:         184
        .size:           8
        .value_kind:     hidden_global_offset_x
      - .offset:         192
        .size:           8
        .value_kind:     hidden_global_offset_y
      - .offset:         200
        .size:           8
        .value_kind:     hidden_global_offset_z
      - .offset:         208
        .size:           2
        .value_kind:     hidden_grid_dims
    .group_segment_fixed_size: 17472
    .kernarg_segment_align: 8
    .kernarg_segment_size: 400
    .language:       OpenCL C
    .language_version:
      - 2
      - 0
    .max_flat_workgroup_size: 256
    .name:           _Z39paged_attention_ll4mi_QKV_mfma16_kernelI14__hip_bfloat16S0_LN4vllm18Fp8KVCacheDataTypeE0ES0_Li32ELi128ELi256ELb0ELi7EL8MFMAType0EEvPKT_PKT0_S9_ifPKiSB_SB_iPKfiiiPfSE_PS4_PT2_iSD_SD_
    .private_segment_fixed_size: 0
    .sgpr_count:     39
    .sgpr_spill_count: 0
    .symbol:         _Z39paged_attention_ll4mi_QKV_mfma16_kernelI14__hip_bfloat16S0_LN4vllm18Fp8KVCacheDataTypeE0ES0_Li32ELi128ELi256ELb0ELi7EL8MFMAType0EEvPKT_PKT0_S9_ifPKiSB_SB_iPKfiiiPfSE_PS4_PT2_iSD_SD_.kd
    .uniform_work_group_size: 1
    .uses_dynamic_stack: false
    .vgpr_count:     157
    .vgpr_spill_count: 0
    .wavefront_size: 32
    .workgroup_processor_mode: 1
  - .args:
      - .actual_access:  read_only
        .address_space:  global
        .offset:         0
        .size:           8
        .value_kind:     global_buffer
      - .actual_access:  read_only
        .address_space:  global
        .offset:         8
        .size:           8
        .value_kind:     global_buffer
      - .actual_access:  read_only
        .address_space:  global
        .offset:         16
        .size:           8
        .value_kind:     global_buffer
      - .offset:         24
        .size:           4
        .value_kind:     by_value
      - .offset:         28
        .size:           4
        .value_kind:     by_value
      - .actual_access:  read_only
        .address_space:  global
        .offset:         32
        .size:           8
        .value_kind:     global_buffer
      - .actual_access:  read_only
        .address_space:  global
        .offset:         40
        .size:           8
        .value_kind:     global_buffer
      - .actual_access:  read_only
        .address_space:  global
        .offset:         48
        .size:           8
        .value_kind:     global_buffer
      - .offset:         56
        .size:           4
        .value_kind:     by_value
      - .actual_access:  read_only
        .address_space:  global
        .offset:         64
        .size:           8
        .value_kind:     global_buffer
      - .offset:         72
        .size:           4
        .value_kind:     by_value
      - .offset:         76
        .size:           4
        .value_kind:     by_value
      - .offset:         80
        .size:           4
        .value_kind:     by_value
      - .actual_access:  write_only
        .address_space:  global
        .offset:         88
        .size:           8
        .value_kind:     global_buffer
      - .actual_access:  write_only
        .address_space:  global
        .offset:         96
        .size:           8
        .value_kind:     global_buffer
      - .actual_access:  write_only
        .address_space:  global
        .offset:         104
        .size:           8
        .value_kind:     global_buffer
      - .actual_access:  read_only
        .address_space:  global
        .offset:         112
        .size:           8
        .value_kind:     global_buffer
      - .offset:         120
        .size:           4
        .value_kind:     by_value
      - .address_space:  global
        .offset:         128
        .size:           8
        .value_kind:     global_buffer
      - .address_space:  global
        .offset:         136
        .size:           8
        .value_kind:     global_buffer
      - .offset:         144
        .size:           4
        .value_kind:     hidden_block_count_x
      - .offset:         148
        .size:           4
        .value_kind:     hidden_block_count_y
      - .offset:         152
        .size:           4
        .value_kind:     hidden_block_count_z
      - .offset:         156
        .size:           2
        .value_kind:     hidden_group_size_x
      - .offset:         158
        .size:           2
        .value_kind:     hidden_group_size_y
      - .offset:         160
        .size:           2
        .value_kind:     hidden_group_size_z
      - .offset:         162
        .size:           2
        .value_kind:     hidden_remainder_x
      - .offset:         164
        .size:           2
        .value_kind:     hidden_remainder_y
      - .offset:         166
        .size:           2
        .value_kind:     hidden_remainder_z
      - .offset:         184
        .size:           8
        .value_kind:     hidden_global_offset_x
      - .offset:         192
        .size:           8
        .value_kind:     hidden_global_offset_y
      - .offset:         200
        .size:           8
        .value_kind:     hidden_global_offset_z
      - .offset:         208
        .size:           2
        .value_kind:     hidden_grid_dims
    .group_segment_fixed_size: 17472
    .kernarg_segment_align: 8
    .kernarg_segment_size: 400
    .language:       OpenCL C
    .language_version:
      - 2
      - 0
    .max_flat_workgroup_size: 256
    .name:           _Z39paged_attention_ll4mi_QKV_mfma16_kernelI14__hip_bfloat16S0_LN4vllm18Fp8KVCacheDataTypeE0ES0_Li32ELi128ELi256ELb0ELi8EL8MFMAType0EEvPKT_PKT0_S9_ifPKiSB_SB_iPKfiiiPfSE_PS4_PT2_iSD_SD_
    .private_segment_fixed_size: 0
    .sgpr_count:     42
    .sgpr_spill_count: 0
    .symbol:         _Z39paged_attention_ll4mi_QKV_mfma16_kernelI14__hip_bfloat16S0_LN4vllm18Fp8KVCacheDataTypeE0ES0_Li32ELi128ELi256ELb0ELi8EL8MFMAType0EEvPKT_PKT0_S9_ifPKiSB_SB_iPKfiiiPfSE_PS4_PT2_iSD_SD_.kd
    .uniform_work_group_size: 1
    .uses_dynamic_stack: false
    .vgpr_count:     157
    .vgpr_spill_count: 0
    .wavefront_size: 32
    .workgroup_processor_mode: 1
  - .args:
      - .actual_access:  read_only
        .address_space:  global
        .offset:         0
        .size:           8
        .value_kind:     global_buffer
      - .actual_access:  read_only
        .address_space:  global
        .offset:         8
        .size:           8
        .value_kind:     global_buffer
      - .actual_access:  read_only
        .address_space:  global
        .offset:         16
        .size:           8
        .value_kind:     global_buffer
      - .offset:         24
        .size:           4
        .value_kind:     by_value
      - .offset:         28
        .size:           4
        .value_kind:     by_value
      - .actual_access:  read_only
        .address_space:  global
        .offset:         32
        .size:           8
        .value_kind:     global_buffer
      - .actual_access:  read_only
        .address_space:  global
        .offset:         40
        .size:           8
        .value_kind:     global_buffer
      - .actual_access:  read_only
        .address_space:  global
        .offset:         48
        .size:           8
        .value_kind:     global_buffer
      - .offset:         56
        .size:           4
        .value_kind:     by_value
      - .actual_access:  read_only
        .address_space:  global
        .offset:         64
        .size:           8
        .value_kind:     global_buffer
      - .offset:         72
        .size:           4
        .value_kind:     by_value
      - .offset:         76
        .size:           4
        .value_kind:     by_value
      - .offset:         80
        .size:           4
        .value_kind:     by_value
      - .actual_access:  write_only
        .address_space:  global
        .offset:         88
        .size:           8
        .value_kind:     global_buffer
      - .actual_access:  write_only
        .address_space:  global
        .offset:         96
        .size:           8
        .value_kind:     global_buffer
      - .actual_access:  write_only
        .address_space:  global
        .offset:         104
        .size:           8
        .value_kind:     global_buffer
      - .actual_access:  read_only
        .address_space:  global
        .offset:         112
        .size:           8
        .value_kind:     global_buffer
      - .offset:         120
        .size:           4
        .value_kind:     by_value
      - .address_space:  global
        .offset:         128
        .size:           8
        .value_kind:     global_buffer
      - .address_space:  global
        .offset:         136
        .size:           8
        .value_kind:     global_buffer
      - .offset:         144
        .size:           4
        .value_kind:     hidden_block_count_x
      - .offset:         148
        .size:           4
        .value_kind:     hidden_block_count_y
      - .offset:         152
        .size:           4
        .value_kind:     hidden_block_count_z
      - .offset:         156
        .size:           2
        .value_kind:     hidden_group_size_x
      - .offset:         158
        .size:           2
        .value_kind:     hidden_group_size_y
      - .offset:         160
        .size:           2
        .value_kind:     hidden_group_size_z
      - .offset:         162
        .size:           2
        .value_kind:     hidden_remainder_x
      - .offset:         164
        .size:           2
        .value_kind:     hidden_remainder_y
      - .offset:         166
        .size:           2
        .value_kind:     hidden_remainder_z
      - .offset:         184
        .size:           8
        .value_kind:     hidden_global_offset_x
      - .offset:         192
        .size:           8
        .value_kind:     hidden_global_offset_y
      - .offset:         200
        .size:           8
        .value_kind:     hidden_global_offset_z
      - .offset:         208
        .size:           2
        .value_kind:     hidden_grid_dims
    .group_segment_fixed_size: 17472
    .kernarg_segment_align: 8
    .kernarg_segment_size: 400
    .language:       OpenCL C
    .language_version:
      - 2
      - 0
    .max_flat_workgroup_size: 256
    .name:           _Z39paged_attention_ll4mi_QKV_mfma16_kernelI14__hip_bfloat16S0_LN4vllm18Fp8KVCacheDataTypeE0ES0_Li32ELi128ELi256ELb0ELi9EL8MFMAType0EEvPKT_PKT0_S9_ifPKiSB_SB_iPKfiiiPfSE_PS4_PT2_iSD_SD_
    .private_segment_fixed_size: 0
    .sgpr_count:     40
    .sgpr_spill_count: 0
    .symbol:         _Z39paged_attention_ll4mi_QKV_mfma16_kernelI14__hip_bfloat16S0_LN4vllm18Fp8KVCacheDataTypeE0ES0_Li32ELi128ELi256ELb0ELi9EL8MFMAType0EEvPKT_PKT0_S9_ifPKiSB_SB_iPKfiiiPfSE_PS4_PT2_iSD_SD_.kd
    .uniform_work_group_size: 1
    .uses_dynamic_stack: false
    .vgpr_count:     157
    .vgpr_spill_count: 0
    .wavefront_size: 32
    .workgroup_processor_mode: 1
  - .args:
      - .actual_access:  read_only
        .address_space:  global
        .offset:         0
        .size:           8
        .value_kind:     global_buffer
      - .actual_access:  read_only
        .address_space:  global
        .offset:         8
        .size:           8
        .value_kind:     global_buffer
      - .actual_access:  read_only
        .address_space:  global
        .offset:         16
        .size:           8
        .value_kind:     global_buffer
      - .offset:         24
        .size:           4
        .value_kind:     by_value
      - .offset:         28
        .size:           4
        .value_kind:     by_value
      - .actual_access:  read_only
        .address_space:  global
        .offset:         32
        .size:           8
        .value_kind:     global_buffer
      - .actual_access:  read_only
        .address_space:  global
        .offset:         40
        .size:           8
        .value_kind:     global_buffer
      - .actual_access:  read_only
        .address_space:  global
        .offset:         48
        .size:           8
        .value_kind:     global_buffer
      - .offset:         56
        .size:           4
        .value_kind:     by_value
      - .actual_access:  read_only
        .address_space:  global
        .offset:         64
        .size:           8
        .value_kind:     global_buffer
      - .offset:         72
        .size:           4
        .value_kind:     by_value
      - .offset:         76
        .size:           4
        .value_kind:     by_value
      - .offset:         80
        .size:           4
        .value_kind:     by_value
      - .actual_access:  write_only
        .address_space:  global
        .offset:         88
        .size:           8
        .value_kind:     global_buffer
      - .actual_access:  write_only
        .address_space:  global
        .offset:         96
        .size:           8
        .value_kind:     global_buffer
      - .actual_access:  write_only
        .address_space:  global
        .offset:         104
        .size:           8
        .value_kind:     global_buffer
      - .actual_access:  read_only
        .address_space:  global
        .offset:         112
        .size:           8
        .value_kind:     global_buffer
      - .offset:         120
        .size:           4
        .value_kind:     by_value
      - .address_space:  global
        .offset:         128
        .size:           8
        .value_kind:     global_buffer
      - .address_space:  global
        .offset:         136
        .size:           8
        .value_kind:     global_buffer
      - .offset:         144
        .size:           4
        .value_kind:     hidden_block_count_x
      - .offset:         148
        .size:           4
        .value_kind:     hidden_block_count_y
      - .offset:         152
        .size:           4
        .value_kind:     hidden_block_count_z
      - .offset:         156
        .size:           2
        .value_kind:     hidden_group_size_x
      - .offset:         158
        .size:           2
        .value_kind:     hidden_group_size_y
      - .offset:         160
        .size:           2
        .value_kind:     hidden_group_size_z
      - .offset:         162
        .size:           2
        .value_kind:     hidden_remainder_x
      - .offset:         164
        .size:           2
        .value_kind:     hidden_remainder_y
      - .offset:         166
        .size:           2
        .value_kind:     hidden_remainder_z
      - .offset:         184
        .size:           8
        .value_kind:     hidden_global_offset_x
      - .offset:         192
        .size:           8
        .value_kind:     hidden_global_offset_y
      - .offset:         200
        .size:           8
        .value_kind:     hidden_global_offset_z
      - .offset:         208
        .size:           2
        .value_kind:     hidden_grid_dims
    .group_segment_fixed_size: 17472
    .kernarg_segment_align: 8
    .kernarg_segment_size: 400
    .language:       OpenCL C
    .language_version:
      - 2
      - 0
    .max_flat_workgroup_size: 256
    .name:           _Z39paged_attention_ll4mi_QKV_mfma16_kernelI14__hip_bfloat16S0_LN4vllm18Fp8KVCacheDataTypeE0ES0_Li32ELi128ELi256ELb0ELi10EL8MFMAType0EEvPKT_PKT0_S9_ifPKiSB_SB_iPKfiiiPfSE_PS4_PT2_iSD_SD_
    .private_segment_fixed_size: 0
    .sgpr_count:     42
    .sgpr_spill_count: 0
    .symbol:         _Z39paged_attention_ll4mi_QKV_mfma16_kernelI14__hip_bfloat16S0_LN4vllm18Fp8KVCacheDataTypeE0ES0_Li32ELi128ELi256ELb0ELi10EL8MFMAType0EEvPKT_PKT0_S9_ifPKiSB_SB_iPKfiiiPfSE_PS4_PT2_iSD_SD_.kd
    .uniform_work_group_size: 1
    .uses_dynamic_stack: false
    .vgpr_count:     157
    .vgpr_spill_count: 0
    .wavefront_size: 32
    .workgroup_processor_mode: 1
  - .args:
      - .actual_access:  read_only
        .address_space:  global
        .offset:         0
        .size:           8
        .value_kind:     global_buffer
      - .actual_access:  read_only
        .address_space:  global
        .offset:         8
        .size:           8
        .value_kind:     global_buffer
      - .actual_access:  read_only
        .address_space:  global
        .offset:         16
        .size:           8
        .value_kind:     global_buffer
      - .offset:         24
        .size:           4
        .value_kind:     by_value
      - .offset:         28
        .size:           4
        .value_kind:     by_value
      - .actual_access:  read_only
        .address_space:  global
        .offset:         32
        .size:           8
        .value_kind:     global_buffer
      - .actual_access:  read_only
        .address_space:  global
        .offset:         40
        .size:           8
        .value_kind:     global_buffer
      - .actual_access:  read_only
        .address_space:  global
        .offset:         48
        .size:           8
        .value_kind:     global_buffer
      - .offset:         56
        .size:           4
        .value_kind:     by_value
      - .actual_access:  read_only
        .address_space:  global
        .offset:         64
        .size:           8
        .value_kind:     global_buffer
      - .offset:         72
        .size:           4
        .value_kind:     by_value
      - .offset:         76
        .size:           4
        .value_kind:     by_value
      - .offset:         80
        .size:           4
        .value_kind:     by_value
      - .actual_access:  write_only
        .address_space:  global
        .offset:         88
        .size:           8
        .value_kind:     global_buffer
      - .actual_access:  write_only
        .address_space:  global
        .offset:         96
        .size:           8
        .value_kind:     global_buffer
      - .actual_access:  write_only
        .address_space:  global
        .offset:         104
        .size:           8
        .value_kind:     global_buffer
      - .actual_access:  read_only
        .address_space:  global
        .offset:         112
        .size:           8
        .value_kind:     global_buffer
      - .offset:         120
        .size:           4
        .value_kind:     by_value
      - .address_space:  global
        .offset:         128
        .size:           8
        .value_kind:     global_buffer
      - .address_space:  global
        .offset:         136
        .size:           8
        .value_kind:     global_buffer
      - .offset:         144
        .size:           4
        .value_kind:     hidden_block_count_x
      - .offset:         148
        .size:           4
        .value_kind:     hidden_block_count_y
      - .offset:         152
        .size:           4
        .value_kind:     hidden_block_count_z
      - .offset:         156
        .size:           2
        .value_kind:     hidden_group_size_x
      - .offset:         158
        .size:           2
        .value_kind:     hidden_group_size_y
      - .offset:         160
        .size:           2
        .value_kind:     hidden_group_size_z
      - .offset:         162
        .size:           2
        .value_kind:     hidden_remainder_x
      - .offset:         164
        .size:           2
        .value_kind:     hidden_remainder_y
      - .offset:         166
        .size:           2
        .value_kind:     hidden_remainder_z
      - .offset:         184
        .size:           8
        .value_kind:     hidden_global_offset_x
      - .offset:         192
        .size:           8
        .value_kind:     hidden_global_offset_y
      - .offset:         200
        .size:           8
        .value_kind:     hidden_global_offset_z
      - .offset:         208
        .size:           2
        .value_kind:     hidden_grid_dims
    .group_segment_fixed_size: 17472
    .kernarg_segment_align: 8
    .kernarg_segment_size: 400
    .language:       OpenCL C
    .language_version:
      - 2
      - 0
    .max_flat_workgroup_size: 256
    .name:           _Z39paged_attention_ll4mi_QKV_mfma16_kernelI14__hip_bfloat16S0_LN4vllm18Fp8KVCacheDataTypeE0ES0_Li32ELi128ELi256ELb0ELi11EL8MFMAType0EEvPKT_PKT0_S9_ifPKiSB_SB_iPKfiiiPfSE_PS4_PT2_iSD_SD_
    .private_segment_fixed_size: 0
    .sgpr_count:     40
    .sgpr_spill_count: 0
    .symbol:         _Z39paged_attention_ll4mi_QKV_mfma16_kernelI14__hip_bfloat16S0_LN4vllm18Fp8KVCacheDataTypeE0ES0_Li32ELi128ELi256ELb0ELi11EL8MFMAType0EEvPKT_PKT0_S9_ifPKiSB_SB_iPKfiiiPfSE_PS4_PT2_iSD_SD_.kd
    .uniform_work_group_size: 1
    .uses_dynamic_stack: false
    .vgpr_count:     157
    .vgpr_spill_count: 0
    .wavefront_size: 32
    .workgroup_processor_mode: 1
  - .args:
      - .actual_access:  read_only
        .address_space:  global
        .offset:         0
        .size:           8
        .value_kind:     global_buffer
      - .actual_access:  read_only
        .address_space:  global
        .offset:         8
        .size:           8
        .value_kind:     global_buffer
      - .actual_access:  read_only
        .address_space:  global
        .offset:         16
        .size:           8
        .value_kind:     global_buffer
      - .offset:         24
        .size:           4
        .value_kind:     by_value
      - .offset:         28
        .size:           4
        .value_kind:     by_value
      - .actual_access:  read_only
        .address_space:  global
        .offset:         32
        .size:           8
        .value_kind:     global_buffer
      - .actual_access:  read_only
        .address_space:  global
        .offset:         40
        .size:           8
        .value_kind:     global_buffer
      - .actual_access:  read_only
        .address_space:  global
        .offset:         48
        .size:           8
        .value_kind:     global_buffer
      - .offset:         56
        .size:           4
        .value_kind:     by_value
      - .actual_access:  read_only
        .address_space:  global
        .offset:         64
        .size:           8
        .value_kind:     global_buffer
      - .offset:         72
        .size:           4
        .value_kind:     by_value
      - .offset:         76
        .size:           4
        .value_kind:     by_value
      - .offset:         80
        .size:           4
        .value_kind:     by_value
      - .actual_access:  write_only
        .address_space:  global
        .offset:         88
        .size:           8
        .value_kind:     global_buffer
      - .actual_access:  write_only
        .address_space:  global
        .offset:         96
        .size:           8
        .value_kind:     global_buffer
      - .actual_access:  write_only
        .address_space:  global
        .offset:         104
        .size:           8
        .value_kind:     global_buffer
      - .actual_access:  read_only
        .address_space:  global
        .offset:         112
        .size:           8
        .value_kind:     global_buffer
      - .offset:         120
        .size:           4
        .value_kind:     by_value
      - .address_space:  global
        .offset:         128
        .size:           8
        .value_kind:     global_buffer
      - .address_space:  global
        .offset:         136
        .size:           8
        .value_kind:     global_buffer
      - .offset:         144
        .size:           4
        .value_kind:     hidden_block_count_x
      - .offset:         148
        .size:           4
        .value_kind:     hidden_block_count_y
      - .offset:         152
        .size:           4
        .value_kind:     hidden_block_count_z
      - .offset:         156
        .size:           2
        .value_kind:     hidden_group_size_x
      - .offset:         158
        .size:           2
        .value_kind:     hidden_group_size_y
      - .offset:         160
        .size:           2
        .value_kind:     hidden_group_size_z
      - .offset:         162
        .size:           2
        .value_kind:     hidden_remainder_x
      - .offset:         164
        .size:           2
        .value_kind:     hidden_remainder_y
      - .offset:         166
        .size:           2
        .value_kind:     hidden_remainder_z
      - .offset:         184
        .size:           8
        .value_kind:     hidden_global_offset_x
      - .offset:         192
        .size:           8
        .value_kind:     hidden_global_offset_y
      - .offset:         200
        .size:           8
        .value_kind:     hidden_global_offset_z
      - .offset:         208
        .size:           2
        .value_kind:     hidden_grid_dims
    .group_segment_fixed_size: 17472
    .kernarg_segment_align: 8
    .kernarg_segment_size: 400
    .language:       OpenCL C
    .language_version:
      - 2
      - 0
    .max_flat_workgroup_size: 256
    .name:           _Z39paged_attention_ll4mi_QKV_mfma16_kernelI14__hip_bfloat16S0_LN4vllm18Fp8KVCacheDataTypeE0ES0_Li32ELi128ELi256ELb0ELi12EL8MFMAType0EEvPKT_PKT0_S9_ifPKiSB_SB_iPKfiiiPfSE_PS4_PT2_iSD_SD_
    .private_segment_fixed_size: 0
    .sgpr_count:     42
    .sgpr_spill_count: 0
    .symbol:         _Z39paged_attention_ll4mi_QKV_mfma16_kernelI14__hip_bfloat16S0_LN4vllm18Fp8KVCacheDataTypeE0ES0_Li32ELi128ELi256ELb0ELi12EL8MFMAType0EEvPKT_PKT0_S9_ifPKiSB_SB_iPKfiiiPfSE_PS4_PT2_iSD_SD_.kd
    .uniform_work_group_size: 1
    .uses_dynamic_stack: false
    .vgpr_count:     157
    .vgpr_spill_count: 0
    .wavefront_size: 32
    .workgroup_processor_mode: 1
  - .args:
      - .actual_access:  read_only
        .address_space:  global
        .offset:         0
        .size:           8
        .value_kind:     global_buffer
      - .actual_access:  read_only
        .address_space:  global
        .offset:         8
        .size:           8
        .value_kind:     global_buffer
      - .actual_access:  read_only
        .address_space:  global
        .offset:         16
        .size:           8
        .value_kind:     global_buffer
      - .offset:         24
        .size:           4
        .value_kind:     by_value
      - .offset:         28
        .size:           4
        .value_kind:     by_value
      - .actual_access:  read_only
        .address_space:  global
        .offset:         32
        .size:           8
        .value_kind:     global_buffer
      - .actual_access:  read_only
        .address_space:  global
        .offset:         40
        .size:           8
        .value_kind:     global_buffer
      - .actual_access:  read_only
        .address_space:  global
        .offset:         48
        .size:           8
        .value_kind:     global_buffer
      - .offset:         56
        .size:           4
        .value_kind:     by_value
      - .actual_access:  read_only
        .address_space:  global
        .offset:         64
        .size:           8
        .value_kind:     global_buffer
      - .offset:         72
        .size:           4
        .value_kind:     by_value
      - .offset:         76
        .size:           4
        .value_kind:     by_value
      - .offset:         80
        .size:           4
        .value_kind:     by_value
      - .actual_access:  write_only
        .address_space:  global
        .offset:         88
        .size:           8
        .value_kind:     global_buffer
      - .actual_access:  write_only
        .address_space:  global
        .offset:         96
        .size:           8
        .value_kind:     global_buffer
      - .actual_access:  write_only
        .address_space:  global
        .offset:         104
        .size:           8
        .value_kind:     global_buffer
      - .actual_access:  read_only
        .address_space:  global
        .offset:         112
        .size:           8
        .value_kind:     global_buffer
      - .offset:         120
        .size:           4
        .value_kind:     by_value
      - .address_space:  global
        .offset:         128
        .size:           8
        .value_kind:     global_buffer
      - .address_space:  global
        .offset:         136
        .size:           8
        .value_kind:     global_buffer
      - .offset:         144
        .size:           4
        .value_kind:     hidden_block_count_x
      - .offset:         148
        .size:           4
        .value_kind:     hidden_block_count_y
      - .offset:         152
        .size:           4
        .value_kind:     hidden_block_count_z
      - .offset:         156
        .size:           2
        .value_kind:     hidden_group_size_x
      - .offset:         158
        .size:           2
        .value_kind:     hidden_group_size_y
      - .offset:         160
        .size:           2
        .value_kind:     hidden_group_size_z
      - .offset:         162
        .size:           2
        .value_kind:     hidden_remainder_x
      - .offset:         164
        .size:           2
        .value_kind:     hidden_remainder_y
      - .offset:         166
        .size:           2
        .value_kind:     hidden_remainder_z
      - .offset:         184
        .size:           8
        .value_kind:     hidden_global_offset_x
      - .offset:         192
        .size:           8
        .value_kind:     hidden_global_offset_y
      - .offset:         200
        .size:           8
        .value_kind:     hidden_global_offset_z
      - .offset:         208
        .size:           2
        .value_kind:     hidden_grid_dims
    .group_segment_fixed_size: 17472
    .kernarg_segment_align: 8
    .kernarg_segment_size: 400
    .language:       OpenCL C
    .language_version:
      - 2
      - 0
    .max_flat_workgroup_size: 256
    .name:           _Z39paged_attention_ll4mi_QKV_mfma16_kernelI14__hip_bfloat16S0_LN4vllm18Fp8KVCacheDataTypeE0ES0_Li32ELi128ELi256ELb0ELi13EL8MFMAType0EEvPKT_PKT0_S9_ifPKiSB_SB_iPKfiiiPfSE_PS4_PT2_iSD_SD_
    .private_segment_fixed_size: 0
    .sgpr_count:     40
    .sgpr_spill_count: 0
    .symbol:         _Z39paged_attention_ll4mi_QKV_mfma16_kernelI14__hip_bfloat16S0_LN4vllm18Fp8KVCacheDataTypeE0ES0_Li32ELi128ELi256ELb0ELi13EL8MFMAType0EEvPKT_PKT0_S9_ifPKiSB_SB_iPKfiiiPfSE_PS4_PT2_iSD_SD_.kd
    .uniform_work_group_size: 1
    .uses_dynamic_stack: false
    .vgpr_count:     157
    .vgpr_spill_count: 0
    .wavefront_size: 32
    .workgroup_processor_mode: 1
  - .args:
      - .actual_access:  read_only
        .address_space:  global
        .offset:         0
        .size:           8
        .value_kind:     global_buffer
      - .actual_access:  read_only
        .address_space:  global
        .offset:         8
        .size:           8
        .value_kind:     global_buffer
      - .actual_access:  read_only
        .address_space:  global
        .offset:         16
        .size:           8
        .value_kind:     global_buffer
      - .offset:         24
        .size:           4
        .value_kind:     by_value
      - .offset:         28
        .size:           4
        .value_kind:     by_value
      - .actual_access:  read_only
        .address_space:  global
        .offset:         32
        .size:           8
        .value_kind:     global_buffer
      - .actual_access:  read_only
        .address_space:  global
        .offset:         40
        .size:           8
        .value_kind:     global_buffer
      - .actual_access:  read_only
        .address_space:  global
        .offset:         48
        .size:           8
        .value_kind:     global_buffer
      - .offset:         56
        .size:           4
        .value_kind:     by_value
      - .actual_access:  read_only
        .address_space:  global
        .offset:         64
        .size:           8
        .value_kind:     global_buffer
      - .offset:         72
        .size:           4
        .value_kind:     by_value
      - .offset:         76
        .size:           4
        .value_kind:     by_value
      - .offset:         80
        .size:           4
        .value_kind:     by_value
      - .actual_access:  write_only
        .address_space:  global
        .offset:         88
        .size:           8
        .value_kind:     global_buffer
      - .actual_access:  write_only
        .address_space:  global
        .offset:         96
        .size:           8
        .value_kind:     global_buffer
      - .actual_access:  write_only
        .address_space:  global
        .offset:         104
        .size:           8
        .value_kind:     global_buffer
      - .actual_access:  read_only
        .address_space:  global
        .offset:         112
        .size:           8
        .value_kind:     global_buffer
      - .offset:         120
        .size:           4
        .value_kind:     by_value
      - .address_space:  global
        .offset:         128
        .size:           8
        .value_kind:     global_buffer
      - .address_space:  global
        .offset:         136
        .size:           8
        .value_kind:     global_buffer
      - .offset:         144
        .size:           4
        .value_kind:     hidden_block_count_x
      - .offset:         148
        .size:           4
        .value_kind:     hidden_block_count_y
      - .offset:         152
        .size:           4
        .value_kind:     hidden_block_count_z
      - .offset:         156
        .size:           2
        .value_kind:     hidden_group_size_x
      - .offset:         158
        .size:           2
        .value_kind:     hidden_group_size_y
      - .offset:         160
        .size:           2
        .value_kind:     hidden_group_size_z
      - .offset:         162
        .size:           2
        .value_kind:     hidden_remainder_x
      - .offset:         164
        .size:           2
        .value_kind:     hidden_remainder_y
      - .offset:         166
        .size:           2
        .value_kind:     hidden_remainder_z
      - .offset:         184
        .size:           8
        .value_kind:     hidden_global_offset_x
      - .offset:         192
        .size:           8
        .value_kind:     hidden_global_offset_y
      - .offset:         200
        .size:           8
        .value_kind:     hidden_global_offset_z
      - .offset:         208
        .size:           2
        .value_kind:     hidden_grid_dims
    .group_segment_fixed_size: 17472
    .kernarg_segment_align: 8
    .kernarg_segment_size: 400
    .language:       OpenCL C
    .language_version:
      - 2
      - 0
    .max_flat_workgroup_size: 256
    .name:           _Z39paged_attention_ll4mi_QKV_mfma16_kernelI14__hip_bfloat16S0_LN4vllm18Fp8KVCacheDataTypeE0ES0_Li32ELi128ELi256ELb0ELi14EL8MFMAType0EEvPKT_PKT0_S9_ifPKiSB_SB_iPKfiiiPfSE_PS4_PT2_iSD_SD_
    .private_segment_fixed_size: 0
    .sgpr_count:     42
    .sgpr_spill_count: 0
    .symbol:         _Z39paged_attention_ll4mi_QKV_mfma16_kernelI14__hip_bfloat16S0_LN4vllm18Fp8KVCacheDataTypeE0ES0_Li32ELi128ELi256ELb0ELi14EL8MFMAType0EEvPKT_PKT0_S9_ifPKiSB_SB_iPKfiiiPfSE_PS4_PT2_iSD_SD_.kd
    .uniform_work_group_size: 1
    .uses_dynamic_stack: false
    .vgpr_count:     157
    .vgpr_spill_count: 0
    .wavefront_size: 32
    .workgroup_processor_mode: 1
  - .args:
      - .actual_access:  read_only
        .address_space:  global
        .offset:         0
        .size:           8
        .value_kind:     global_buffer
      - .actual_access:  read_only
        .address_space:  global
        .offset:         8
        .size:           8
        .value_kind:     global_buffer
      - .actual_access:  read_only
        .address_space:  global
        .offset:         16
        .size:           8
        .value_kind:     global_buffer
      - .offset:         24
        .size:           4
        .value_kind:     by_value
      - .offset:         28
        .size:           4
        .value_kind:     by_value
      - .actual_access:  read_only
        .address_space:  global
        .offset:         32
        .size:           8
        .value_kind:     global_buffer
      - .actual_access:  read_only
        .address_space:  global
        .offset:         40
        .size:           8
        .value_kind:     global_buffer
      - .actual_access:  read_only
        .address_space:  global
        .offset:         48
        .size:           8
        .value_kind:     global_buffer
      - .offset:         56
        .size:           4
        .value_kind:     by_value
      - .actual_access:  read_only
        .address_space:  global
        .offset:         64
        .size:           8
        .value_kind:     global_buffer
      - .offset:         72
        .size:           4
        .value_kind:     by_value
      - .offset:         76
        .size:           4
        .value_kind:     by_value
      - .offset:         80
        .size:           4
        .value_kind:     by_value
      - .actual_access:  write_only
        .address_space:  global
        .offset:         88
        .size:           8
        .value_kind:     global_buffer
      - .actual_access:  write_only
        .address_space:  global
        .offset:         96
        .size:           8
        .value_kind:     global_buffer
      - .actual_access:  write_only
        .address_space:  global
        .offset:         104
        .size:           8
        .value_kind:     global_buffer
      - .actual_access:  read_only
        .address_space:  global
        .offset:         112
        .size:           8
        .value_kind:     global_buffer
      - .offset:         120
        .size:           4
        .value_kind:     by_value
      - .address_space:  global
        .offset:         128
        .size:           8
        .value_kind:     global_buffer
      - .address_space:  global
        .offset:         136
        .size:           8
        .value_kind:     global_buffer
      - .offset:         144
        .size:           4
        .value_kind:     hidden_block_count_x
      - .offset:         148
        .size:           4
        .value_kind:     hidden_block_count_y
      - .offset:         152
        .size:           4
        .value_kind:     hidden_block_count_z
      - .offset:         156
        .size:           2
        .value_kind:     hidden_group_size_x
      - .offset:         158
        .size:           2
        .value_kind:     hidden_group_size_y
      - .offset:         160
        .size:           2
        .value_kind:     hidden_group_size_z
      - .offset:         162
        .size:           2
        .value_kind:     hidden_remainder_x
      - .offset:         164
        .size:           2
        .value_kind:     hidden_remainder_y
      - .offset:         166
        .size:           2
        .value_kind:     hidden_remainder_z
      - .offset:         184
        .size:           8
        .value_kind:     hidden_global_offset_x
      - .offset:         192
        .size:           8
        .value_kind:     hidden_global_offset_y
      - .offset:         200
        .size:           8
        .value_kind:     hidden_global_offset_z
      - .offset:         208
        .size:           2
        .value_kind:     hidden_grid_dims
    .group_segment_fixed_size: 17472
    .kernarg_segment_align: 8
    .kernarg_segment_size: 400
    .language:       OpenCL C
    .language_version:
      - 2
      - 0
    .max_flat_workgroup_size: 256
    .name:           _Z39paged_attention_ll4mi_QKV_mfma16_kernelI14__hip_bfloat16S0_LN4vllm18Fp8KVCacheDataTypeE0ES0_Li32ELi128ELi256ELb0ELi15EL8MFMAType0EEvPKT_PKT0_S9_ifPKiSB_SB_iPKfiiiPfSE_PS4_PT2_iSD_SD_
    .private_segment_fixed_size: 0
    .sgpr_count:     40
    .sgpr_spill_count: 0
    .symbol:         _Z39paged_attention_ll4mi_QKV_mfma16_kernelI14__hip_bfloat16S0_LN4vllm18Fp8KVCacheDataTypeE0ES0_Li32ELi128ELi256ELb0ELi15EL8MFMAType0EEvPKT_PKT0_S9_ifPKiSB_SB_iPKfiiiPfSE_PS4_PT2_iSD_SD_.kd
    .uniform_work_group_size: 1
    .uses_dynamic_stack: false
    .vgpr_count:     157
    .vgpr_spill_count: 0
    .wavefront_size: 32
    .workgroup_processor_mode: 1
  - .args:
      - .actual_access:  read_only
        .address_space:  global
        .offset:         0
        .size:           8
        .value_kind:     global_buffer
      - .actual_access:  read_only
        .address_space:  global
        .offset:         8
        .size:           8
        .value_kind:     global_buffer
      - .actual_access:  read_only
        .address_space:  global
        .offset:         16
        .size:           8
        .value_kind:     global_buffer
      - .offset:         24
        .size:           4
        .value_kind:     by_value
      - .offset:         28
        .size:           4
        .value_kind:     by_value
      - .actual_access:  read_only
        .address_space:  global
        .offset:         32
        .size:           8
        .value_kind:     global_buffer
      - .actual_access:  read_only
        .address_space:  global
        .offset:         40
        .size:           8
        .value_kind:     global_buffer
      - .actual_access:  read_only
        .address_space:  global
        .offset:         48
        .size:           8
        .value_kind:     global_buffer
      - .offset:         56
        .size:           4
        .value_kind:     by_value
      - .actual_access:  read_only
        .address_space:  global
        .offset:         64
        .size:           8
        .value_kind:     global_buffer
      - .offset:         72
        .size:           4
        .value_kind:     by_value
      - .offset:         76
        .size:           4
        .value_kind:     by_value
      - .offset:         80
        .size:           4
        .value_kind:     by_value
      - .actual_access:  write_only
        .address_space:  global
        .offset:         88
        .size:           8
        .value_kind:     global_buffer
      - .actual_access:  write_only
        .address_space:  global
        .offset:         96
        .size:           8
        .value_kind:     global_buffer
      - .actual_access:  write_only
        .address_space:  global
        .offset:         104
        .size:           8
        .value_kind:     global_buffer
      - .actual_access:  read_only
        .address_space:  global
        .offset:         112
        .size:           8
        .value_kind:     global_buffer
      - .offset:         120
        .size:           4
        .value_kind:     by_value
      - .address_space:  global
        .offset:         128
        .size:           8
        .value_kind:     global_buffer
      - .address_space:  global
        .offset:         136
        .size:           8
        .value_kind:     global_buffer
      - .offset:         144
        .size:           4
        .value_kind:     hidden_block_count_x
      - .offset:         148
        .size:           4
        .value_kind:     hidden_block_count_y
      - .offset:         152
        .size:           4
        .value_kind:     hidden_block_count_z
      - .offset:         156
        .size:           2
        .value_kind:     hidden_group_size_x
      - .offset:         158
        .size:           2
        .value_kind:     hidden_group_size_y
      - .offset:         160
        .size:           2
        .value_kind:     hidden_group_size_z
      - .offset:         162
        .size:           2
        .value_kind:     hidden_remainder_x
      - .offset:         164
        .size:           2
        .value_kind:     hidden_remainder_y
      - .offset:         166
        .size:           2
        .value_kind:     hidden_remainder_z
      - .offset:         184
        .size:           8
        .value_kind:     hidden_global_offset_x
      - .offset:         192
        .size:           8
        .value_kind:     hidden_global_offset_y
      - .offset:         200
        .size:           8
        .value_kind:     hidden_global_offset_z
      - .offset:         208
        .size:           2
        .value_kind:     hidden_grid_dims
    .group_segment_fixed_size: 17472
    .kernarg_segment_align: 8
    .kernarg_segment_size: 400
    .language:       OpenCL C
    .language_version:
      - 2
      - 0
    .max_flat_workgroup_size: 256
    .name:           _Z39paged_attention_ll4mi_QKV_mfma16_kernelI14__hip_bfloat16S0_LN4vllm18Fp8KVCacheDataTypeE0ES0_Li32ELi128ELi256ELb0ELi16EL8MFMAType0EEvPKT_PKT0_S9_ifPKiSB_SB_iPKfiiiPfSE_PS4_PT2_iSD_SD_
    .private_segment_fixed_size: 0
    .sgpr_count:     40
    .sgpr_spill_count: 0
    .symbol:         _Z39paged_attention_ll4mi_QKV_mfma16_kernelI14__hip_bfloat16S0_LN4vllm18Fp8KVCacheDataTypeE0ES0_Li32ELi128ELi256ELb0ELi16EL8MFMAType0EEvPKT_PKT0_S9_ifPKiSB_SB_iPKfiiiPfSE_PS4_PT2_iSD_SD_.kd
    .uniform_work_group_size: 1
    .uses_dynamic_stack: false
    .vgpr_count:     150
    .vgpr_spill_count: 0
    .wavefront_size: 32
    .workgroup_processor_mode: 1
  - .args:
      - .actual_access:  read_only
        .address_space:  global
        .offset:         0
        .size:           8
        .value_kind:     global_buffer
      - .actual_access:  read_only
        .address_space:  global
        .offset:         8
        .size:           8
        .value_kind:     global_buffer
      - .actual_access:  read_only
        .address_space:  global
        .offset:         16
        .size:           8
        .value_kind:     global_buffer
      - .offset:         24
        .size:           4
        .value_kind:     by_value
      - .offset:         28
        .size:           4
        .value_kind:     by_value
      - .actual_access:  read_only
        .address_space:  global
        .offset:         32
        .size:           8
        .value_kind:     global_buffer
      - .actual_access:  read_only
        .address_space:  global
        .offset:         40
        .size:           8
        .value_kind:     global_buffer
      - .actual_access:  read_only
        .address_space:  global
        .offset:         48
        .size:           8
        .value_kind:     global_buffer
      - .offset:         56
        .size:           4
        .value_kind:     by_value
      - .actual_access:  read_only
        .address_space:  global
        .offset:         64
        .size:           8
        .value_kind:     global_buffer
      - .offset:         72
        .size:           4
        .value_kind:     by_value
      - .offset:         76
        .size:           4
        .value_kind:     by_value
      - .offset:         80
        .size:           4
        .value_kind:     by_value
      - .actual_access:  write_only
        .address_space:  global
        .offset:         88
        .size:           8
        .value_kind:     global_buffer
      - .actual_access:  write_only
        .address_space:  global
        .offset:         96
        .size:           8
        .value_kind:     global_buffer
      - .actual_access:  write_only
        .address_space:  global
        .offset:         104
        .size:           8
        .value_kind:     global_buffer
      - .actual_access:  read_only
        .address_space:  global
        .offset:         112
        .size:           8
        .value_kind:     global_buffer
      - .offset:         120
        .size:           4
        .value_kind:     by_value
      - .address_space:  global
        .offset:         128
        .size:           8
        .value_kind:     global_buffer
      - .address_space:  global
        .offset:         136
        .size:           8
        .value_kind:     global_buffer
      - .offset:         144
        .size:           4
        .value_kind:     hidden_block_count_x
      - .offset:         148
        .size:           4
        .value_kind:     hidden_block_count_y
      - .offset:         152
        .size:           4
        .value_kind:     hidden_block_count_z
      - .offset:         156
        .size:           2
        .value_kind:     hidden_group_size_x
      - .offset:         158
        .size:           2
        .value_kind:     hidden_group_size_y
      - .offset:         160
        .size:           2
        .value_kind:     hidden_group_size_z
      - .offset:         162
        .size:           2
        .value_kind:     hidden_remainder_x
      - .offset:         164
        .size:           2
        .value_kind:     hidden_remainder_y
      - .offset:         166
        .size:           2
        .value_kind:     hidden_remainder_z
      - .offset:         184
        .size:           8
        .value_kind:     hidden_global_offset_x
      - .offset:         192
        .size:           8
        .value_kind:     hidden_global_offset_y
      - .offset:         200
        .size:           8
        .value_kind:     hidden_global_offset_z
      - .offset:         208
        .size:           2
        .value_kind:     hidden_grid_dims
    .group_segment_fixed_size: 17472
    .kernarg_segment_align: 8
    .kernarg_segment_size: 400
    .language:       OpenCL C
    .language_version:
      - 2
      - 0
    .max_flat_workgroup_size: 256
    .name:           _Z39paged_attention_ll4mi_QKV_mfma16_kernelI14__hip_bfloat16S0_LN4vllm18Fp8KVCacheDataTypeE0ES0_Li32ELi128ELi256ELb0ELi1EL8MFMAType0EEvPKT_PKT0_S9_ifPKiSB_SB_iPKfiiiPfSE_PS4_PT2_iSD_SD_
    .private_segment_fixed_size: 0
    .sgpr_count:     99
    .sgpr_spill_count: 0
    .symbol:         _Z39paged_attention_ll4mi_QKV_mfma16_kernelI14__hip_bfloat16S0_LN4vllm18Fp8KVCacheDataTypeE0ES0_Li32ELi128ELi256ELb0ELi1EL8MFMAType0EEvPKT_PKT0_S9_ifPKiSB_SB_iPKfiiiPfSE_PS4_PT2_iSD_SD_.kd
    .uniform_work_group_size: 1
    .uses_dynamic_stack: false
    .vgpr_count:     144
    .vgpr_spill_count: 0
    .wavefront_size: 32
    .workgroup_processor_mode: 1
  - .args:
      - .actual_access:  read_only
        .address_space:  global
        .offset:         0
        .size:           8
        .value_kind:     global_buffer
      - .actual_access:  read_only
        .address_space:  global
        .offset:         8
        .size:           8
        .value_kind:     global_buffer
      - .actual_access:  read_only
        .address_space:  global
        .offset:         16
        .size:           8
        .value_kind:     global_buffer
      - .offset:         24
        .size:           4
        .value_kind:     by_value
      - .offset:         28
        .size:           4
        .value_kind:     by_value
      - .actual_access:  read_only
        .address_space:  global
        .offset:         32
        .size:           8
        .value_kind:     global_buffer
      - .actual_access:  read_only
        .address_space:  global
        .offset:         40
        .size:           8
        .value_kind:     global_buffer
      - .actual_access:  read_only
        .address_space:  global
        .offset:         48
        .size:           8
        .value_kind:     global_buffer
      - .offset:         56
        .size:           4
        .value_kind:     by_value
      - .actual_access:  read_only
        .address_space:  global
        .offset:         64
        .size:           8
        .value_kind:     global_buffer
      - .offset:         72
        .size:           4
        .value_kind:     by_value
      - .offset:         76
        .size:           4
        .value_kind:     by_value
      - .offset:         80
        .size:           4
        .value_kind:     by_value
      - .actual_access:  write_only
        .address_space:  global
        .offset:         88
        .size:           8
        .value_kind:     global_buffer
      - .actual_access:  write_only
        .address_space:  global
        .offset:         96
        .size:           8
        .value_kind:     global_buffer
      - .actual_access:  write_only
        .address_space:  global
        .offset:         104
        .size:           8
        .value_kind:     global_buffer
      - .actual_access:  read_only
        .address_space:  global
        .offset:         112
        .size:           8
        .value_kind:     global_buffer
      - .offset:         120
        .size:           4
        .value_kind:     by_value
      - .address_space:  global
        .offset:         128
        .size:           8
        .value_kind:     global_buffer
      - .address_space:  global
        .offset:         136
        .size:           8
        .value_kind:     global_buffer
      - .offset:         144
        .size:           4
        .value_kind:     hidden_block_count_x
      - .offset:         148
        .size:           4
        .value_kind:     hidden_block_count_y
      - .offset:         152
        .size:           4
        .value_kind:     hidden_block_count_z
      - .offset:         156
        .size:           2
        .value_kind:     hidden_group_size_x
      - .offset:         158
        .size:           2
        .value_kind:     hidden_group_size_y
      - .offset:         160
        .size:           2
        .value_kind:     hidden_group_size_z
      - .offset:         162
        .size:           2
        .value_kind:     hidden_remainder_x
      - .offset:         164
        .size:           2
        .value_kind:     hidden_remainder_y
      - .offset:         166
        .size:           2
        .value_kind:     hidden_remainder_z
      - .offset:         184
        .size:           8
        .value_kind:     hidden_global_offset_x
      - .offset:         192
        .size:           8
        .value_kind:     hidden_global_offset_y
      - .offset:         200
        .size:           8
        .value_kind:     hidden_global_offset_z
      - .offset:         208
        .size:           2
        .value_kind:     hidden_grid_dims
    .group_segment_fixed_size: 17472
    .kernarg_segment_align: 8
    .kernarg_segment_size: 400
    .language:       OpenCL C
    .language_version:
      - 2
      - 0
    .max_flat_workgroup_size: 256
    .name:           _Z39paged_attention_ll4mi_QKV_mfma16_kernelI14__hip_bfloat16S0_LN4vllm18Fp8KVCacheDataTypeE0ES0_Li32ELi128ELi256ELb0ELi2EL8MFMAType0EEvPKT_PKT0_S9_ifPKiSB_SB_iPKfiiiPfSE_PS4_PT2_iSD_SD_
    .private_segment_fixed_size: 0
    .sgpr_count:     40
    .sgpr_spill_count: 0
    .symbol:         _Z39paged_attention_ll4mi_QKV_mfma16_kernelI14__hip_bfloat16S0_LN4vllm18Fp8KVCacheDataTypeE0ES0_Li32ELi128ELi256ELb0ELi2EL8MFMAType0EEvPKT_PKT0_S9_ifPKiSB_SB_iPKfiiiPfSE_PS4_PT2_iSD_SD_.kd
    .uniform_work_group_size: 1
    .uses_dynamic_stack: false
    .vgpr_count:     145
    .vgpr_spill_count: 0
    .wavefront_size: 32
    .workgroup_processor_mode: 1
  - .args:
      - .actual_access:  read_only
        .address_space:  global
        .offset:         0
        .size:           8
        .value_kind:     global_buffer
      - .actual_access:  read_only
        .address_space:  global
        .offset:         8
        .size:           8
        .value_kind:     global_buffer
      - .actual_access:  read_only
        .address_space:  global
        .offset:         16
        .size:           8
        .value_kind:     global_buffer
      - .offset:         24
        .size:           4
        .value_kind:     by_value
      - .offset:         28
        .size:           4
        .value_kind:     by_value
      - .actual_access:  read_only
        .address_space:  global
        .offset:         32
        .size:           8
        .value_kind:     global_buffer
      - .actual_access:  read_only
        .address_space:  global
        .offset:         40
        .size:           8
        .value_kind:     global_buffer
      - .actual_access:  read_only
        .address_space:  global
        .offset:         48
        .size:           8
        .value_kind:     global_buffer
      - .offset:         56
        .size:           4
        .value_kind:     by_value
      - .actual_access:  read_only
        .address_space:  global
        .offset:         64
        .size:           8
        .value_kind:     global_buffer
      - .offset:         72
        .size:           4
        .value_kind:     by_value
      - .offset:         76
        .size:           4
        .value_kind:     by_value
      - .offset:         80
        .size:           4
        .value_kind:     by_value
      - .actual_access:  write_only
        .address_space:  global
        .offset:         88
        .size:           8
        .value_kind:     global_buffer
      - .actual_access:  write_only
        .address_space:  global
        .offset:         96
        .size:           8
        .value_kind:     global_buffer
      - .actual_access:  write_only
        .address_space:  global
        .offset:         104
        .size:           8
        .value_kind:     global_buffer
      - .actual_access:  read_only
        .address_space:  global
        .offset:         112
        .size:           8
        .value_kind:     global_buffer
      - .offset:         120
        .size:           4
        .value_kind:     by_value
      - .address_space:  global
        .offset:         128
        .size:           8
        .value_kind:     global_buffer
      - .address_space:  global
        .offset:         136
        .size:           8
        .value_kind:     global_buffer
      - .offset:         144
        .size:           4
        .value_kind:     hidden_block_count_x
      - .offset:         148
        .size:           4
        .value_kind:     hidden_block_count_y
      - .offset:         152
        .size:           4
        .value_kind:     hidden_block_count_z
      - .offset:         156
        .size:           2
        .value_kind:     hidden_group_size_x
      - .offset:         158
        .size:           2
        .value_kind:     hidden_group_size_y
      - .offset:         160
        .size:           2
        .value_kind:     hidden_group_size_z
      - .offset:         162
        .size:           2
        .value_kind:     hidden_remainder_x
      - .offset:         164
        .size:           2
        .value_kind:     hidden_remainder_y
      - .offset:         166
        .size:           2
        .value_kind:     hidden_remainder_z
      - .offset:         184
        .size:           8
        .value_kind:     hidden_global_offset_x
      - .offset:         192
        .size:           8
        .value_kind:     hidden_global_offset_y
      - .offset:         200
        .size:           8
        .value_kind:     hidden_global_offset_z
      - .offset:         208
        .size:           2
        .value_kind:     hidden_grid_dims
    .group_segment_fixed_size: 17472
    .kernarg_segment_align: 8
    .kernarg_segment_size: 400
    .language:       OpenCL C
    .language_version:
      - 2
      - 0
    .max_flat_workgroup_size: 256
    .name:           _Z39paged_attention_ll4mi_QKV_mfma16_kernelI14__hip_bfloat16S0_LN4vllm18Fp8KVCacheDataTypeE0ES0_Li32ELi128ELi256ELb0ELi3EL8MFMAType0EEvPKT_PKT0_S9_ifPKiSB_SB_iPKfiiiPfSE_PS4_PT2_iSD_SD_
    .private_segment_fixed_size: 0
    .sgpr_count:     39
    .sgpr_spill_count: 0
    .symbol:         _Z39paged_attention_ll4mi_QKV_mfma16_kernelI14__hip_bfloat16S0_LN4vllm18Fp8KVCacheDataTypeE0ES0_Li32ELi128ELi256ELb0ELi3EL8MFMAType0EEvPKT_PKT0_S9_ifPKiSB_SB_iPKfiiiPfSE_PS4_PT2_iSD_SD_.kd
    .uniform_work_group_size: 1
    .uses_dynamic_stack: false
    .vgpr_count:     157
    .vgpr_spill_count: 0
    .wavefront_size: 32
    .workgroup_processor_mode: 1
  - .args:
      - .actual_access:  read_only
        .address_space:  global
        .offset:         0
        .size:           8
        .value_kind:     global_buffer
      - .actual_access:  read_only
        .address_space:  global
        .offset:         8
        .size:           8
        .value_kind:     global_buffer
      - .actual_access:  read_only
        .address_space:  global
        .offset:         16
        .size:           8
        .value_kind:     global_buffer
      - .offset:         24
        .size:           4
        .value_kind:     by_value
      - .offset:         28
        .size:           4
        .value_kind:     by_value
      - .actual_access:  read_only
        .address_space:  global
        .offset:         32
        .size:           8
        .value_kind:     global_buffer
      - .actual_access:  read_only
        .address_space:  global
        .offset:         40
        .size:           8
        .value_kind:     global_buffer
      - .actual_access:  read_only
        .address_space:  global
        .offset:         48
        .size:           8
        .value_kind:     global_buffer
      - .offset:         56
        .size:           4
        .value_kind:     by_value
      - .actual_access:  read_only
        .address_space:  global
        .offset:         64
        .size:           8
        .value_kind:     global_buffer
      - .offset:         72
        .size:           4
        .value_kind:     by_value
      - .offset:         76
        .size:           4
        .value_kind:     by_value
      - .offset:         80
        .size:           4
        .value_kind:     by_value
      - .actual_access:  write_only
        .address_space:  global
        .offset:         88
        .size:           8
        .value_kind:     global_buffer
      - .actual_access:  write_only
        .address_space:  global
        .offset:         96
        .size:           8
        .value_kind:     global_buffer
      - .actual_access:  write_only
        .address_space:  global
        .offset:         104
        .size:           8
        .value_kind:     global_buffer
      - .actual_access:  read_only
        .address_space:  global
        .offset:         112
        .size:           8
        .value_kind:     global_buffer
      - .offset:         120
        .size:           4
        .value_kind:     by_value
      - .address_space:  global
        .offset:         128
        .size:           8
        .value_kind:     global_buffer
      - .address_space:  global
        .offset:         136
        .size:           8
        .value_kind:     global_buffer
      - .offset:         144
        .size:           4
        .value_kind:     hidden_block_count_x
      - .offset:         148
        .size:           4
        .value_kind:     hidden_block_count_y
      - .offset:         152
        .size:           4
        .value_kind:     hidden_block_count_z
      - .offset:         156
        .size:           2
        .value_kind:     hidden_group_size_x
      - .offset:         158
        .size:           2
        .value_kind:     hidden_group_size_y
      - .offset:         160
        .size:           2
        .value_kind:     hidden_group_size_z
      - .offset:         162
        .size:           2
        .value_kind:     hidden_remainder_x
      - .offset:         164
        .size:           2
        .value_kind:     hidden_remainder_y
      - .offset:         166
        .size:           2
        .value_kind:     hidden_remainder_z
      - .offset:         184
        .size:           8
        .value_kind:     hidden_global_offset_x
      - .offset:         192
        .size:           8
        .value_kind:     hidden_global_offset_y
      - .offset:         200
        .size:           8
        .value_kind:     hidden_global_offset_z
      - .offset:         208
        .size:           2
        .value_kind:     hidden_grid_dims
    .group_segment_fixed_size: 17472
    .kernarg_segment_align: 8
    .kernarg_segment_size: 400
    .language:       OpenCL C
    .language_version:
      - 2
      - 0
    .max_flat_workgroup_size: 256
    .name:           _Z39paged_attention_ll4mi_QKV_mfma16_kernelI14__hip_bfloat16S0_LN4vllm18Fp8KVCacheDataTypeE0ES0_Li32ELi128ELi256ELb0ELi4EL8MFMAType0EEvPKT_PKT0_S9_ifPKiSB_SB_iPKfiiiPfSE_PS4_PT2_iSD_SD_
    .private_segment_fixed_size: 0
    .sgpr_count:     42
    .sgpr_spill_count: 0
    .symbol:         _Z39paged_attention_ll4mi_QKV_mfma16_kernelI14__hip_bfloat16S0_LN4vllm18Fp8KVCacheDataTypeE0ES0_Li32ELi128ELi256ELb0ELi4EL8MFMAType0EEvPKT_PKT0_S9_ifPKiSB_SB_iPKfiiiPfSE_PS4_PT2_iSD_SD_.kd
    .uniform_work_group_size: 1
    .uses_dynamic_stack: false
    .vgpr_count:     157
    .vgpr_spill_count: 0
    .wavefront_size: 32
    .workgroup_processor_mode: 1
  - .args:
      - .actual_access:  read_only
        .address_space:  global
        .offset:         0
        .size:           8
        .value_kind:     global_buffer
      - .actual_access:  read_only
        .address_space:  global
        .offset:         8
        .size:           8
        .value_kind:     global_buffer
      - .actual_access:  read_only
        .address_space:  global
        .offset:         16
        .size:           8
        .value_kind:     global_buffer
      - .offset:         24
        .size:           4
        .value_kind:     by_value
      - .offset:         28
        .size:           4
        .value_kind:     by_value
      - .actual_access:  read_only
        .address_space:  global
        .offset:         32
        .size:           8
        .value_kind:     global_buffer
      - .actual_access:  read_only
        .address_space:  global
        .offset:         40
        .size:           8
        .value_kind:     global_buffer
      - .actual_access:  read_only
        .address_space:  global
        .offset:         48
        .size:           8
        .value_kind:     global_buffer
      - .offset:         56
        .size:           4
        .value_kind:     by_value
      - .actual_access:  read_only
        .address_space:  global
        .offset:         64
        .size:           8
        .value_kind:     global_buffer
      - .offset:         72
        .size:           4
        .value_kind:     by_value
      - .offset:         76
        .size:           4
        .value_kind:     by_value
      - .offset:         80
        .size:           4
        .value_kind:     by_value
      - .actual_access:  read_only
        .address_space:  global
        .offset:         88
        .size:           8
        .value_kind:     global_buffer
      - .actual_access:  read_only
        .address_space:  global
        .offset:         96
        .size:           8
        .value_kind:     global_buffer
      - .actual_access:  read_only
        .address_space:  global
        .offset:         104
        .size:           8
        .value_kind:     global_buffer
      - .actual_access:  read_only
        .address_space:  global
        .offset:         112
        .size:           8
        .value_kind:     global_buffer
      - .offset:         120
        .size:           4
        .value_kind:     by_value
      - .address_space:  global
        .offset:         128
        .size:           8
        .value_kind:     global_buffer
      - .address_space:  global
        .offset:         136
        .size:           8
        .value_kind:     global_buffer
      - .offset:         144
        .size:           4
        .value_kind:     hidden_block_count_x
      - .offset:         148
        .size:           4
        .value_kind:     hidden_block_count_y
      - .offset:         152
        .size:           4
        .value_kind:     hidden_block_count_z
      - .offset:         156
        .size:           2
        .value_kind:     hidden_group_size_x
      - .offset:         158
        .size:           2
        .value_kind:     hidden_group_size_y
      - .offset:         160
        .size:           2
        .value_kind:     hidden_group_size_z
      - .offset:         162
        .size:           2
        .value_kind:     hidden_remainder_x
      - .offset:         164
        .size:           2
        .value_kind:     hidden_remainder_y
      - .offset:         166
        .size:           2
        .value_kind:     hidden_remainder_z
      - .offset:         184
        .size:           8
        .value_kind:     hidden_global_offset_x
      - .offset:         192
        .size:           8
        .value_kind:     hidden_global_offset_y
      - .offset:         200
        .size:           8
        .value_kind:     hidden_global_offset_z
      - .offset:         208
        .size:           2
        .value_kind:     hidden_grid_dims
      - .offset:         224
        .size:           8
        .value_kind:     hidden_hostcall_buffer
    .group_segment_fixed_size: 0
    .kernarg_segment_align: 8
    .kernarg_segment_size: 400
    .language:       OpenCL C
    .language_version:
      - 2
      - 0
    .max_flat_workgroup_size: 256
    .name:           _Z38paged_attention_ll4mi_QKV_mfma4_kernelIDF16_hLN4vllm18Fp8KVCacheDataTypeE1EhLi16ELi64ELi256ELb1ELi1EEvPKT_PKT0_S7_ifPKiS9_S9_iPKfiiiPfSC_PS2_PT2_iSB_SB_
    .private_segment_fixed_size: 64
    .sgpr_count:     36
    .sgpr_spill_count: 0
    .symbol:         _Z38paged_attention_ll4mi_QKV_mfma4_kernelIDF16_hLN4vllm18Fp8KVCacheDataTypeE1EhLi16ELi64ELi256ELb1ELi1EEvPKT_PKT0_S7_ifPKiS9_S9_iPKfiiiPfSC_PS2_PT2_iSB_SB_.kd
    .uniform_work_group_size: 1
    .uses_dynamic_stack: false
    .vgpr_count:     41
    .vgpr_spill_count: 0
    .wavefront_size: 32
    .workgroup_processor_mode: 1
  - .args:
      - .actual_access:  read_only
        .address_space:  global
        .offset:         0
        .size:           8
        .value_kind:     global_buffer
      - .actual_access:  read_only
        .address_space:  global
        .offset:         8
        .size:           8
        .value_kind:     global_buffer
      - .actual_access:  read_only
        .address_space:  global
        .offset:         16
        .size:           8
        .value_kind:     global_buffer
      - .offset:         24
        .size:           4
        .value_kind:     by_value
      - .offset:         28
        .size:           4
        .value_kind:     by_value
      - .actual_access:  read_only
        .address_space:  global
        .offset:         32
        .size:           8
        .value_kind:     global_buffer
      - .actual_access:  read_only
        .address_space:  global
        .offset:         40
        .size:           8
        .value_kind:     global_buffer
      - .actual_access:  read_only
        .address_space:  global
        .offset:         48
        .size:           8
        .value_kind:     global_buffer
      - .offset:         56
        .size:           4
        .value_kind:     by_value
      - .actual_access:  read_only
        .address_space:  global
        .offset:         64
        .size:           8
        .value_kind:     global_buffer
      - .offset:         72
        .size:           4
        .value_kind:     by_value
      - .offset:         76
        .size:           4
        .value_kind:     by_value
      - .offset:         80
        .size:           4
        .value_kind:     by_value
      - .actual_access:  read_only
        .address_space:  global
        .offset:         88
        .size:           8
        .value_kind:     global_buffer
      - .actual_access:  read_only
        .address_space:  global
        .offset:         96
        .size:           8
        .value_kind:     global_buffer
      - .actual_access:  read_only
        .address_space:  global
        .offset:         104
        .size:           8
        .value_kind:     global_buffer
      - .actual_access:  read_only
        .address_space:  global
        .offset:         112
        .size:           8
        .value_kind:     global_buffer
      - .offset:         120
        .size:           4
        .value_kind:     by_value
      - .address_space:  global
        .offset:         128
        .size:           8
        .value_kind:     global_buffer
      - .address_space:  global
        .offset:         136
        .size:           8
        .value_kind:     global_buffer
      - .offset:         144
        .size:           4
        .value_kind:     hidden_block_count_x
      - .offset:         148
        .size:           4
        .value_kind:     hidden_block_count_y
      - .offset:         152
        .size:           4
        .value_kind:     hidden_block_count_z
      - .offset:         156
        .size:           2
        .value_kind:     hidden_group_size_x
      - .offset:         158
        .size:           2
        .value_kind:     hidden_group_size_y
      - .offset:         160
        .size:           2
        .value_kind:     hidden_group_size_z
      - .offset:         162
        .size:           2
        .value_kind:     hidden_remainder_x
      - .offset:         164
        .size:           2
        .value_kind:     hidden_remainder_y
      - .offset:         166
        .size:           2
        .value_kind:     hidden_remainder_z
      - .offset:         184
        .size:           8
        .value_kind:     hidden_global_offset_x
      - .offset:         192
        .size:           8
        .value_kind:     hidden_global_offset_y
      - .offset:         200
        .size:           8
        .value_kind:     hidden_global_offset_z
      - .offset:         208
        .size:           2
        .value_kind:     hidden_grid_dims
      - .offset:         224
        .size:           8
        .value_kind:     hidden_hostcall_buffer
    .group_segment_fixed_size: 0
    .kernarg_segment_align: 8
    .kernarg_segment_size: 400
    .language:       OpenCL C
    .language_version:
      - 2
      - 0
    .max_flat_workgroup_size: 256
    .name:           _Z38paged_attention_ll4mi_QKV_mfma4_kernelIDF16_hLN4vllm18Fp8KVCacheDataTypeE1EhLi16ELi64ELi256ELb1ELi2EEvPKT_PKT0_S7_ifPKiS9_S9_iPKfiiiPfSC_PS2_PT2_iSB_SB_
    .private_segment_fixed_size: 64
    .sgpr_count:     36
    .sgpr_spill_count: 0
    .symbol:         _Z38paged_attention_ll4mi_QKV_mfma4_kernelIDF16_hLN4vllm18Fp8KVCacheDataTypeE1EhLi16ELi64ELi256ELb1ELi2EEvPKT_PKT0_S7_ifPKiS9_S9_iPKfiiiPfSC_PS2_PT2_iSB_SB_.kd
    .uniform_work_group_size: 1
    .uses_dynamic_stack: false
    .vgpr_count:     41
    .vgpr_spill_count: 0
    .wavefront_size: 32
    .workgroup_processor_mode: 1
  - .args:
      - .actual_access:  read_only
        .address_space:  global
        .offset:         0
        .size:           8
        .value_kind:     global_buffer
      - .actual_access:  read_only
        .address_space:  global
        .offset:         8
        .size:           8
        .value_kind:     global_buffer
      - .actual_access:  read_only
        .address_space:  global
        .offset:         16
        .size:           8
        .value_kind:     global_buffer
      - .offset:         24
        .size:           4
        .value_kind:     by_value
      - .offset:         28
        .size:           4
        .value_kind:     by_value
      - .actual_access:  read_only
        .address_space:  global
        .offset:         32
        .size:           8
        .value_kind:     global_buffer
      - .actual_access:  read_only
        .address_space:  global
        .offset:         40
        .size:           8
        .value_kind:     global_buffer
      - .actual_access:  read_only
        .address_space:  global
        .offset:         48
        .size:           8
        .value_kind:     global_buffer
      - .offset:         56
        .size:           4
        .value_kind:     by_value
      - .actual_access:  read_only
        .address_space:  global
        .offset:         64
        .size:           8
        .value_kind:     global_buffer
      - .offset:         72
        .size:           4
        .value_kind:     by_value
      - .offset:         76
        .size:           4
        .value_kind:     by_value
      - .offset:         80
        .size:           4
        .value_kind:     by_value
      - .actual_access:  read_only
        .address_space:  global
        .offset:         88
        .size:           8
        .value_kind:     global_buffer
      - .actual_access:  read_only
        .address_space:  global
        .offset:         96
        .size:           8
        .value_kind:     global_buffer
      - .actual_access:  read_only
        .address_space:  global
        .offset:         104
        .size:           8
        .value_kind:     global_buffer
      - .actual_access:  read_only
        .address_space:  global
        .offset:         112
        .size:           8
        .value_kind:     global_buffer
      - .offset:         120
        .size:           4
        .value_kind:     by_value
      - .address_space:  global
        .offset:         128
        .size:           8
        .value_kind:     global_buffer
      - .address_space:  global
        .offset:         136
        .size:           8
        .value_kind:     global_buffer
      - .offset:         144
        .size:           4
        .value_kind:     hidden_block_count_x
      - .offset:         148
        .size:           4
        .value_kind:     hidden_block_count_y
      - .offset:         152
        .size:           4
        .value_kind:     hidden_block_count_z
      - .offset:         156
        .size:           2
        .value_kind:     hidden_group_size_x
      - .offset:         158
        .size:           2
        .value_kind:     hidden_group_size_y
      - .offset:         160
        .size:           2
        .value_kind:     hidden_group_size_z
      - .offset:         162
        .size:           2
        .value_kind:     hidden_remainder_x
      - .offset:         164
        .size:           2
        .value_kind:     hidden_remainder_y
      - .offset:         166
        .size:           2
        .value_kind:     hidden_remainder_z
      - .offset:         184
        .size:           8
        .value_kind:     hidden_global_offset_x
      - .offset:         192
        .size:           8
        .value_kind:     hidden_global_offset_y
      - .offset:         200
        .size:           8
        .value_kind:     hidden_global_offset_z
      - .offset:         208
        .size:           2
        .value_kind:     hidden_grid_dims
      - .offset:         224
        .size:           8
        .value_kind:     hidden_hostcall_buffer
    .group_segment_fixed_size: 0
    .kernarg_segment_align: 8
    .kernarg_segment_size: 400
    .language:       OpenCL C
    .language_version:
      - 2
      - 0
    .max_flat_workgroup_size: 256
    .name:           _Z38paged_attention_ll4mi_QKV_mfma4_kernelIDF16_hLN4vllm18Fp8KVCacheDataTypeE1EhLi16ELi64ELi256ELb1ELi3EEvPKT_PKT0_S7_ifPKiS9_S9_iPKfiiiPfSC_PS2_PT2_iSB_SB_
    .private_segment_fixed_size: 64
    .sgpr_count:     36
    .sgpr_spill_count: 0
    .symbol:         _Z38paged_attention_ll4mi_QKV_mfma4_kernelIDF16_hLN4vllm18Fp8KVCacheDataTypeE1EhLi16ELi64ELi256ELb1ELi3EEvPKT_PKT0_S7_ifPKiS9_S9_iPKfiiiPfSC_PS2_PT2_iSB_SB_.kd
    .uniform_work_group_size: 1
    .uses_dynamic_stack: false
    .vgpr_count:     41
    .vgpr_spill_count: 0
    .wavefront_size: 32
    .workgroup_processor_mode: 1
  - .args:
      - .actual_access:  read_only
        .address_space:  global
        .offset:         0
        .size:           8
        .value_kind:     global_buffer
      - .actual_access:  read_only
        .address_space:  global
        .offset:         8
        .size:           8
        .value_kind:     global_buffer
      - .actual_access:  read_only
        .address_space:  global
        .offset:         16
        .size:           8
        .value_kind:     global_buffer
      - .offset:         24
        .size:           4
        .value_kind:     by_value
      - .offset:         28
        .size:           4
        .value_kind:     by_value
      - .actual_access:  read_only
        .address_space:  global
        .offset:         32
        .size:           8
        .value_kind:     global_buffer
      - .actual_access:  read_only
        .address_space:  global
        .offset:         40
        .size:           8
        .value_kind:     global_buffer
      - .actual_access:  read_only
        .address_space:  global
        .offset:         48
        .size:           8
        .value_kind:     global_buffer
      - .offset:         56
        .size:           4
        .value_kind:     by_value
      - .actual_access:  read_only
        .address_space:  global
        .offset:         64
        .size:           8
        .value_kind:     global_buffer
      - .offset:         72
        .size:           4
        .value_kind:     by_value
      - .offset:         76
        .size:           4
        .value_kind:     by_value
      - .offset:         80
        .size:           4
        .value_kind:     by_value
      - .actual_access:  read_only
        .address_space:  global
        .offset:         88
        .size:           8
        .value_kind:     global_buffer
      - .actual_access:  read_only
        .address_space:  global
        .offset:         96
        .size:           8
        .value_kind:     global_buffer
      - .actual_access:  read_only
        .address_space:  global
        .offset:         104
        .size:           8
        .value_kind:     global_buffer
      - .actual_access:  read_only
        .address_space:  global
        .offset:         112
        .size:           8
        .value_kind:     global_buffer
      - .offset:         120
        .size:           4
        .value_kind:     by_value
      - .address_space:  global
        .offset:         128
        .size:           8
        .value_kind:     global_buffer
      - .address_space:  global
        .offset:         136
        .size:           8
        .value_kind:     global_buffer
      - .offset:         144
        .size:           4
        .value_kind:     hidden_block_count_x
      - .offset:         148
        .size:           4
        .value_kind:     hidden_block_count_y
      - .offset:         152
        .size:           4
        .value_kind:     hidden_block_count_z
      - .offset:         156
        .size:           2
        .value_kind:     hidden_group_size_x
      - .offset:         158
        .size:           2
        .value_kind:     hidden_group_size_y
      - .offset:         160
        .size:           2
        .value_kind:     hidden_group_size_z
      - .offset:         162
        .size:           2
        .value_kind:     hidden_remainder_x
      - .offset:         164
        .size:           2
        .value_kind:     hidden_remainder_y
      - .offset:         166
        .size:           2
        .value_kind:     hidden_remainder_z
      - .offset:         184
        .size:           8
        .value_kind:     hidden_global_offset_x
      - .offset:         192
        .size:           8
        .value_kind:     hidden_global_offset_y
      - .offset:         200
        .size:           8
        .value_kind:     hidden_global_offset_z
      - .offset:         208
        .size:           2
        .value_kind:     hidden_grid_dims
      - .offset:         224
        .size:           8
        .value_kind:     hidden_hostcall_buffer
    .group_segment_fixed_size: 0
    .kernarg_segment_align: 8
    .kernarg_segment_size: 400
    .language:       OpenCL C
    .language_version:
      - 2
      - 0
    .max_flat_workgroup_size: 256
    .name:           _Z38paged_attention_ll4mi_QKV_mfma4_kernelIDF16_hLN4vllm18Fp8KVCacheDataTypeE1EhLi16ELi64ELi256ELb1ELi4EEvPKT_PKT0_S7_ifPKiS9_S9_iPKfiiiPfSC_PS2_PT2_iSB_SB_
    .private_segment_fixed_size: 64
    .sgpr_count:     36
    .sgpr_spill_count: 0
    .symbol:         _Z38paged_attention_ll4mi_QKV_mfma4_kernelIDF16_hLN4vllm18Fp8KVCacheDataTypeE1EhLi16ELi64ELi256ELb1ELi4EEvPKT_PKT0_S7_ifPKiS9_S9_iPKfiiiPfSC_PS2_PT2_iSB_SB_.kd
    .uniform_work_group_size: 1
    .uses_dynamic_stack: false
    .vgpr_count:     41
    .vgpr_spill_count: 0
    .wavefront_size: 32
    .workgroup_processor_mode: 1
  - .args:
      - .actual_access:  read_only
        .address_space:  global
        .offset:         0
        .size:           8
        .value_kind:     global_buffer
      - .actual_access:  read_only
        .address_space:  global
        .offset:         8
        .size:           8
        .value_kind:     global_buffer
      - .actual_access:  read_only
        .address_space:  global
        .offset:         16
        .size:           8
        .value_kind:     global_buffer
      - .offset:         24
        .size:           4
        .value_kind:     by_value
      - .offset:         28
        .size:           4
        .value_kind:     by_value
      - .actual_access:  read_only
        .address_space:  global
        .offset:         32
        .size:           8
        .value_kind:     global_buffer
      - .actual_access:  read_only
        .address_space:  global
        .offset:         40
        .size:           8
        .value_kind:     global_buffer
      - .actual_access:  read_only
        .address_space:  global
        .offset:         48
        .size:           8
        .value_kind:     global_buffer
      - .offset:         56
        .size:           4
        .value_kind:     by_value
      - .actual_access:  read_only
        .address_space:  global
        .offset:         64
        .size:           8
        .value_kind:     global_buffer
      - .offset:         72
        .size:           4
        .value_kind:     by_value
      - .offset:         76
        .size:           4
        .value_kind:     by_value
      - .offset:         80
        .size:           4
        .value_kind:     by_value
      - .actual_access:  write_only
        .address_space:  global
        .offset:         88
        .size:           8
        .value_kind:     global_buffer
      - .actual_access:  write_only
        .address_space:  global
        .offset:         96
        .size:           8
        .value_kind:     global_buffer
      - .actual_access:  write_only
        .address_space:  global
        .offset:         104
        .size:           8
        .value_kind:     global_buffer
      - .actual_access:  read_only
        .address_space:  global
        .offset:         112
        .size:           8
        .value_kind:     global_buffer
      - .offset:         120
        .size:           4
        .value_kind:     by_value
      - .address_space:  global
        .offset:         128
        .size:           8
        .value_kind:     global_buffer
      - .address_space:  global
        .offset:         136
        .size:           8
        .value_kind:     global_buffer
      - .offset:         144
        .size:           4
        .value_kind:     hidden_block_count_x
      - .offset:         148
        .size:           4
        .value_kind:     hidden_block_count_y
      - .offset:         152
        .size:           4
        .value_kind:     hidden_block_count_z
      - .offset:         156
        .size:           2
        .value_kind:     hidden_group_size_x
      - .offset:         158
        .size:           2
        .value_kind:     hidden_group_size_y
      - .offset:         160
        .size:           2
        .value_kind:     hidden_group_size_z
      - .offset:         162
        .size:           2
        .value_kind:     hidden_remainder_x
      - .offset:         164
        .size:           2
        .value_kind:     hidden_remainder_y
      - .offset:         166
        .size:           2
        .value_kind:     hidden_remainder_z
      - .offset:         184
        .size:           8
        .value_kind:     hidden_global_offset_x
      - .offset:         192
        .size:           8
        .value_kind:     hidden_global_offset_y
      - .offset:         200
        .size:           8
        .value_kind:     hidden_global_offset_z
      - .offset:         208
        .size:           2
        .value_kind:     hidden_grid_dims
    .group_segment_fixed_size: 17472
    .kernarg_segment_align: 8
    .kernarg_segment_size: 400
    .language:       OpenCL C
    .language_version:
      - 2
      - 0
    .max_flat_workgroup_size: 256
    .name:           _Z39paged_attention_ll4mi_QKV_mfma16_kernelIDF16_hLN4vllm18Fp8KVCacheDataTypeE1EhLi16ELi64ELi256ELb1ELi5EL8MFMAType1EEvPKT_PKT0_S8_ifPKiSA_SA_iPKfiiiPfSD_PS3_PT2_iSC_SC_
    .private_segment_fixed_size: 0
    .sgpr_count:     39
    .sgpr_spill_count: 0
    .symbol:         _Z39paged_attention_ll4mi_QKV_mfma16_kernelIDF16_hLN4vllm18Fp8KVCacheDataTypeE1EhLi16ELi64ELi256ELb1ELi5EL8MFMAType1EEvPKT_PKT0_S8_ifPKiSA_SA_iPKfiiiPfSD_PS3_PT2_iSC_SC_.kd
    .uniform_work_group_size: 1
    .uses_dynamic_stack: false
    .vgpr_count:     146
    .vgpr_spill_count: 0
    .wavefront_size: 32
    .workgroup_processor_mode: 1
  - .args:
      - .actual_access:  read_only
        .address_space:  global
        .offset:         0
        .size:           8
        .value_kind:     global_buffer
      - .actual_access:  read_only
        .address_space:  global
        .offset:         8
        .size:           8
        .value_kind:     global_buffer
      - .actual_access:  read_only
        .address_space:  global
        .offset:         16
        .size:           8
        .value_kind:     global_buffer
      - .offset:         24
        .size:           4
        .value_kind:     by_value
      - .offset:         28
        .size:           4
        .value_kind:     by_value
      - .actual_access:  read_only
        .address_space:  global
        .offset:         32
        .size:           8
        .value_kind:     global_buffer
      - .actual_access:  read_only
        .address_space:  global
        .offset:         40
        .size:           8
        .value_kind:     global_buffer
      - .actual_access:  read_only
        .address_space:  global
        .offset:         48
        .size:           8
        .value_kind:     global_buffer
      - .offset:         56
        .size:           4
        .value_kind:     by_value
      - .actual_access:  read_only
        .address_space:  global
        .offset:         64
        .size:           8
        .value_kind:     global_buffer
      - .offset:         72
        .size:           4
        .value_kind:     by_value
      - .offset:         76
        .size:           4
        .value_kind:     by_value
      - .offset:         80
        .size:           4
        .value_kind:     by_value
      - .actual_access:  write_only
        .address_space:  global
        .offset:         88
        .size:           8
        .value_kind:     global_buffer
      - .actual_access:  write_only
        .address_space:  global
        .offset:         96
        .size:           8
        .value_kind:     global_buffer
      - .actual_access:  write_only
        .address_space:  global
        .offset:         104
        .size:           8
        .value_kind:     global_buffer
      - .actual_access:  read_only
        .address_space:  global
        .offset:         112
        .size:           8
        .value_kind:     global_buffer
      - .offset:         120
        .size:           4
        .value_kind:     by_value
      - .address_space:  global
        .offset:         128
        .size:           8
        .value_kind:     global_buffer
      - .address_space:  global
        .offset:         136
        .size:           8
        .value_kind:     global_buffer
      - .offset:         144
        .size:           4
        .value_kind:     hidden_block_count_x
      - .offset:         148
        .size:           4
        .value_kind:     hidden_block_count_y
      - .offset:         152
        .size:           4
        .value_kind:     hidden_block_count_z
      - .offset:         156
        .size:           2
        .value_kind:     hidden_group_size_x
      - .offset:         158
        .size:           2
        .value_kind:     hidden_group_size_y
      - .offset:         160
        .size:           2
        .value_kind:     hidden_group_size_z
      - .offset:         162
        .size:           2
        .value_kind:     hidden_remainder_x
      - .offset:         164
        .size:           2
        .value_kind:     hidden_remainder_y
      - .offset:         166
        .size:           2
        .value_kind:     hidden_remainder_z
      - .offset:         184
        .size:           8
        .value_kind:     hidden_global_offset_x
      - .offset:         192
        .size:           8
        .value_kind:     hidden_global_offset_y
      - .offset:         200
        .size:           8
        .value_kind:     hidden_global_offset_z
      - .offset:         208
        .size:           2
        .value_kind:     hidden_grid_dims
    .group_segment_fixed_size: 17472
    .kernarg_segment_align: 8
    .kernarg_segment_size: 400
    .language:       OpenCL C
    .language_version:
      - 2
      - 0
    .max_flat_workgroup_size: 256
    .name:           _Z39paged_attention_ll4mi_QKV_mfma16_kernelIDF16_hLN4vllm18Fp8KVCacheDataTypeE1EhLi16ELi64ELi256ELb1ELi6EL8MFMAType1EEvPKT_PKT0_S8_ifPKiSA_SA_iPKfiiiPfSD_PS3_PT2_iSC_SC_
    .private_segment_fixed_size: 0
    .sgpr_count:     38
    .sgpr_spill_count: 0
    .symbol:         _Z39paged_attention_ll4mi_QKV_mfma16_kernelIDF16_hLN4vllm18Fp8KVCacheDataTypeE1EhLi16ELi64ELi256ELb1ELi6EL8MFMAType1EEvPKT_PKT0_S8_ifPKiSA_SA_iPKfiiiPfSD_PS3_PT2_iSC_SC_.kd
    .uniform_work_group_size: 1
    .uses_dynamic_stack: false
    .vgpr_count:     146
    .vgpr_spill_count: 0
    .wavefront_size: 32
    .workgroup_processor_mode: 1
  - .args:
      - .actual_access:  read_only
        .address_space:  global
        .offset:         0
        .size:           8
        .value_kind:     global_buffer
      - .actual_access:  read_only
        .address_space:  global
        .offset:         8
        .size:           8
        .value_kind:     global_buffer
      - .actual_access:  read_only
        .address_space:  global
        .offset:         16
        .size:           8
        .value_kind:     global_buffer
      - .offset:         24
        .size:           4
        .value_kind:     by_value
      - .offset:         28
        .size:           4
        .value_kind:     by_value
      - .actual_access:  read_only
        .address_space:  global
        .offset:         32
        .size:           8
        .value_kind:     global_buffer
      - .actual_access:  read_only
        .address_space:  global
        .offset:         40
        .size:           8
        .value_kind:     global_buffer
      - .actual_access:  read_only
        .address_space:  global
        .offset:         48
        .size:           8
        .value_kind:     global_buffer
      - .offset:         56
        .size:           4
        .value_kind:     by_value
      - .actual_access:  read_only
        .address_space:  global
        .offset:         64
        .size:           8
        .value_kind:     global_buffer
      - .offset:         72
        .size:           4
        .value_kind:     by_value
      - .offset:         76
        .size:           4
        .value_kind:     by_value
      - .offset:         80
        .size:           4
        .value_kind:     by_value
      - .actual_access:  write_only
        .address_space:  global
        .offset:         88
        .size:           8
        .value_kind:     global_buffer
      - .actual_access:  write_only
        .address_space:  global
        .offset:         96
        .size:           8
        .value_kind:     global_buffer
      - .actual_access:  write_only
        .address_space:  global
        .offset:         104
        .size:           8
        .value_kind:     global_buffer
      - .actual_access:  read_only
        .address_space:  global
        .offset:         112
        .size:           8
        .value_kind:     global_buffer
      - .offset:         120
        .size:           4
        .value_kind:     by_value
      - .address_space:  global
        .offset:         128
        .size:           8
        .value_kind:     global_buffer
      - .address_space:  global
        .offset:         136
        .size:           8
        .value_kind:     global_buffer
      - .offset:         144
        .size:           4
        .value_kind:     hidden_block_count_x
      - .offset:         148
        .size:           4
        .value_kind:     hidden_block_count_y
      - .offset:         152
        .size:           4
        .value_kind:     hidden_block_count_z
      - .offset:         156
        .size:           2
        .value_kind:     hidden_group_size_x
      - .offset:         158
        .size:           2
        .value_kind:     hidden_group_size_y
      - .offset:         160
        .size:           2
        .value_kind:     hidden_group_size_z
      - .offset:         162
        .size:           2
        .value_kind:     hidden_remainder_x
      - .offset:         164
        .size:           2
        .value_kind:     hidden_remainder_y
      - .offset:         166
        .size:           2
        .value_kind:     hidden_remainder_z
      - .offset:         184
        .size:           8
        .value_kind:     hidden_global_offset_x
      - .offset:         192
        .size:           8
        .value_kind:     hidden_global_offset_y
      - .offset:         200
        .size:           8
        .value_kind:     hidden_global_offset_z
      - .offset:         208
        .size:           2
        .value_kind:     hidden_grid_dims
    .group_segment_fixed_size: 17472
    .kernarg_segment_align: 8
    .kernarg_segment_size: 400
    .language:       OpenCL C
    .language_version:
      - 2
      - 0
    .max_flat_workgroup_size: 256
    .name:           _Z39paged_attention_ll4mi_QKV_mfma16_kernelIDF16_hLN4vllm18Fp8KVCacheDataTypeE1EhLi16ELi64ELi256ELb1ELi7EL8MFMAType1EEvPKT_PKT0_S8_ifPKiSA_SA_iPKfiiiPfSD_PS3_PT2_iSC_SC_
    .private_segment_fixed_size: 0
    .sgpr_count:     39
    .sgpr_spill_count: 0
    .symbol:         _Z39paged_attention_ll4mi_QKV_mfma16_kernelIDF16_hLN4vllm18Fp8KVCacheDataTypeE1EhLi16ELi64ELi256ELb1ELi7EL8MFMAType1EEvPKT_PKT0_S8_ifPKiSA_SA_iPKfiiiPfSD_PS3_PT2_iSC_SC_.kd
    .uniform_work_group_size: 1
    .uses_dynamic_stack: false
    .vgpr_count:     146
    .vgpr_spill_count: 0
    .wavefront_size: 32
    .workgroup_processor_mode: 1
  - .args:
      - .actual_access:  read_only
        .address_space:  global
        .offset:         0
        .size:           8
        .value_kind:     global_buffer
      - .actual_access:  read_only
        .address_space:  global
        .offset:         8
        .size:           8
        .value_kind:     global_buffer
      - .actual_access:  read_only
        .address_space:  global
        .offset:         16
        .size:           8
        .value_kind:     global_buffer
      - .offset:         24
        .size:           4
        .value_kind:     by_value
      - .offset:         28
        .size:           4
        .value_kind:     by_value
      - .actual_access:  read_only
        .address_space:  global
        .offset:         32
        .size:           8
        .value_kind:     global_buffer
      - .actual_access:  read_only
        .address_space:  global
        .offset:         40
        .size:           8
        .value_kind:     global_buffer
      - .actual_access:  read_only
        .address_space:  global
        .offset:         48
        .size:           8
        .value_kind:     global_buffer
      - .offset:         56
        .size:           4
        .value_kind:     by_value
      - .actual_access:  read_only
        .address_space:  global
        .offset:         64
        .size:           8
        .value_kind:     global_buffer
      - .offset:         72
        .size:           4
        .value_kind:     by_value
      - .offset:         76
        .size:           4
        .value_kind:     by_value
      - .offset:         80
        .size:           4
        .value_kind:     by_value
      - .actual_access:  write_only
        .address_space:  global
        .offset:         88
        .size:           8
        .value_kind:     global_buffer
      - .actual_access:  write_only
        .address_space:  global
        .offset:         96
        .size:           8
        .value_kind:     global_buffer
      - .actual_access:  write_only
        .address_space:  global
        .offset:         104
        .size:           8
        .value_kind:     global_buffer
      - .actual_access:  read_only
        .address_space:  global
        .offset:         112
        .size:           8
        .value_kind:     global_buffer
      - .offset:         120
        .size:           4
        .value_kind:     by_value
      - .address_space:  global
        .offset:         128
        .size:           8
        .value_kind:     global_buffer
      - .address_space:  global
        .offset:         136
        .size:           8
        .value_kind:     global_buffer
      - .offset:         144
        .size:           4
        .value_kind:     hidden_block_count_x
      - .offset:         148
        .size:           4
        .value_kind:     hidden_block_count_y
      - .offset:         152
        .size:           4
        .value_kind:     hidden_block_count_z
      - .offset:         156
        .size:           2
        .value_kind:     hidden_group_size_x
      - .offset:         158
        .size:           2
        .value_kind:     hidden_group_size_y
      - .offset:         160
        .size:           2
        .value_kind:     hidden_group_size_z
      - .offset:         162
        .size:           2
        .value_kind:     hidden_remainder_x
      - .offset:         164
        .size:           2
        .value_kind:     hidden_remainder_y
      - .offset:         166
        .size:           2
        .value_kind:     hidden_remainder_z
      - .offset:         184
        .size:           8
        .value_kind:     hidden_global_offset_x
      - .offset:         192
        .size:           8
        .value_kind:     hidden_global_offset_y
      - .offset:         200
        .size:           8
        .value_kind:     hidden_global_offset_z
      - .offset:         208
        .size:           2
        .value_kind:     hidden_grid_dims
    .group_segment_fixed_size: 17472
    .kernarg_segment_align: 8
    .kernarg_segment_size: 400
    .language:       OpenCL C
    .language_version:
      - 2
      - 0
    .max_flat_workgroup_size: 256
    .name:           _Z39paged_attention_ll4mi_QKV_mfma16_kernelIDF16_hLN4vllm18Fp8KVCacheDataTypeE1EhLi16ELi64ELi256ELb1ELi8EL8MFMAType1EEvPKT_PKT0_S8_ifPKiSA_SA_iPKfiiiPfSD_PS3_PT2_iSC_SC_
    .private_segment_fixed_size: 0
    .sgpr_count:     42
    .sgpr_spill_count: 0
    .symbol:         _Z39paged_attention_ll4mi_QKV_mfma16_kernelIDF16_hLN4vllm18Fp8KVCacheDataTypeE1EhLi16ELi64ELi256ELb1ELi8EL8MFMAType1EEvPKT_PKT0_S8_ifPKiSA_SA_iPKfiiiPfSD_PS3_PT2_iSC_SC_.kd
    .uniform_work_group_size: 1
    .uses_dynamic_stack: false
    .vgpr_count:     123
    .vgpr_spill_count: 0
    .wavefront_size: 32
    .workgroup_processor_mode: 1
  - .args:
      - .actual_access:  read_only
        .address_space:  global
        .offset:         0
        .size:           8
        .value_kind:     global_buffer
      - .actual_access:  read_only
        .address_space:  global
        .offset:         8
        .size:           8
        .value_kind:     global_buffer
      - .actual_access:  read_only
        .address_space:  global
        .offset:         16
        .size:           8
        .value_kind:     global_buffer
      - .offset:         24
        .size:           4
        .value_kind:     by_value
      - .offset:         28
        .size:           4
        .value_kind:     by_value
      - .actual_access:  read_only
        .address_space:  global
        .offset:         32
        .size:           8
        .value_kind:     global_buffer
      - .actual_access:  read_only
        .address_space:  global
        .offset:         40
        .size:           8
        .value_kind:     global_buffer
      - .actual_access:  read_only
        .address_space:  global
        .offset:         48
        .size:           8
        .value_kind:     global_buffer
      - .offset:         56
        .size:           4
        .value_kind:     by_value
      - .actual_access:  read_only
        .address_space:  global
        .offset:         64
        .size:           8
        .value_kind:     global_buffer
      - .offset:         72
        .size:           4
        .value_kind:     by_value
      - .offset:         76
        .size:           4
        .value_kind:     by_value
      - .offset:         80
        .size:           4
        .value_kind:     by_value
      - .actual_access:  write_only
        .address_space:  global
        .offset:         88
        .size:           8
        .value_kind:     global_buffer
      - .actual_access:  write_only
        .address_space:  global
        .offset:         96
        .size:           8
        .value_kind:     global_buffer
      - .actual_access:  write_only
        .address_space:  global
        .offset:         104
        .size:           8
        .value_kind:     global_buffer
      - .actual_access:  read_only
        .address_space:  global
        .offset:         112
        .size:           8
        .value_kind:     global_buffer
      - .offset:         120
        .size:           4
        .value_kind:     by_value
      - .address_space:  global
        .offset:         128
        .size:           8
        .value_kind:     global_buffer
      - .address_space:  global
        .offset:         136
        .size:           8
        .value_kind:     global_buffer
      - .offset:         144
        .size:           4
        .value_kind:     hidden_block_count_x
      - .offset:         148
        .size:           4
        .value_kind:     hidden_block_count_y
      - .offset:         152
        .size:           4
        .value_kind:     hidden_block_count_z
      - .offset:         156
        .size:           2
        .value_kind:     hidden_group_size_x
      - .offset:         158
        .size:           2
        .value_kind:     hidden_group_size_y
      - .offset:         160
        .size:           2
        .value_kind:     hidden_group_size_z
      - .offset:         162
        .size:           2
        .value_kind:     hidden_remainder_x
      - .offset:         164
        .size:           2
        .value_kind:     hidden_remainder_y
      - .offset:         166
        .size:           2
        .value_kind:     hidden_remainder_z
      - .offset:         184
        .size:           8
        .value_kind:     hidden_global_offset_x
      - .offset:         192
        .size:           8
        .value_kind:     hidden_global_offset_y
      - .offset:         200
        .size:           8
        .value_kind:     hidden_global_offset_z
      - .offset:         208
        .size:           2
        .value_kind:     hidden_grid_dims
    .group_segment_fixed_size: 17472
    .kernarg_segment_align: 8
    .kernarg_segment_size: 400
    .language:       OpenCL C
    .language_version:
      - 2
      - 0
    .max_flat_workgroup_size: 256
    .name:           _Z39paged_attention_ll4mi_QKV_mfma16_kernelIDF16_hLN4vllm18Fp8KVCacheDataTypeE1EhLi16ELi64ELi256ELb1ELi9EL8MFMAType1EEvPKT_PKT0_S8_ifPKiSA_SA_iPKfiiiPfSD_PS3_PT2_iSC_SC_
    .private_segment_fixed_size: 0
    .sgpr_count:     39
    .sgpr_spill_count: 0
    .symbol:         _Z39paged_attention_ll4mi_QKV_mfma16_kernelIDF16_hLN4vllm18Fp8KVCacheDataTypeE1EhLi16ELi64ELi256ELb1ELi9EL8MFMAType1EEvPKT_PKT0_S8_ifPKiSA_SA_iPKfiiiPfSD_PS3_PT2_iSC_SC_.kd
    .uniform_work_group_size: 1
    .uses_dynamic_stack: false
    .vgpr_count:     146
    .vgpr_spill_count: 0
    .wavefront_size: 32
    .workgroup_processor_mode: 1
  - .args:
      - .actual_access:  read_only
        .address_space:  global
        .offset:         0
        .size:           8
        .value_kind:     global_buffer
      - .actual_access:  read_only
        .address_space:  global
        .offset:         8
        .size:           8
        .value_kind:     global_buffer
      - .actual_access:  read_only
        .address_space:  global
        .offset:         16
        .size:           8
        .value_kind:     global_buffer
      - .offset:         24
        .size:           4
        .value_kind:     by_value
      - .offset:         28
        .size:           4
        .value_kind:     by_value
      - .actual_access:  read_only
        .address_space:  global
        .offset:         32
        .size:           8
        .value_kind:     global_buffer
      - .actual_access:  read_only
        .address_space:  global
        .offset:         40
        .size:           8
        .value_kind:     global_buffer
      - .actual_access:  read_only
        .address_space:  global
        .offset:         48
        .size:           8
        .value_kind:     global_buffer
      - .offset:         56
        .size:           4
        .value_kind:     by_value
      - .actual_access:  read_only
        .address_space:  global
        .offset:         64
        .size:           8
        .value_kind:     global_buffer
      - .offset:         72
        .size:           4
        .value_kind:     by_value
      - .offset:         76
        .size:           4
        .value_kind:     by_value
      - .offset:         80
        .size:           4
        .value_kind:     by_value
      - .actual_access:  write_only
        .address_space:  global
        .offset:         88
        .size:           8
        .value_kind:     global_buffer
      - .actual_access:  write_only
        .address_space:  global
        .offset:         96
        .size:           8
        .value_kind:     global_buffer
      - .actual_access:  write_only
        .address_space:  global
        .offset:         104
        .size:           8
        .value_kind:     global_buffer
      - .actual_access:  read_only
        .address_space:  global
        .offset:         112
        .size:           8
        .value_kind:     global_buffer
      - .offset:         120
        .size:           4
        .value_kind:     by_value
      - .address_space:  global
        .offset:         128
        .size:           8
        .value_kind:     global_buffer
      - .address_space:  global
        .offset:         136
        .size:           8
        .value_kind:     global_buffer
      - .offset:         144
        .size:           4
        .value_kind:     hidden_block_count_x
      - .offset:         148
        .size:           4
        .value_kind:     hidden_block_count_y
      - .offset:         152
        .size:           4
        .value_kind:     hidden_block_count_z
      - .offset:         156
        .size:           2
        .value_kind:     hidden_group_size_x
      - .offset:         158
        .size:           2
        .value_kind:     hidden_group_size_y
      - .offset:         160
        .size:           2
        .value_kind:     hidden_group_size_z
      - .offset:         162
        .size:           2
        .value_kind:     hidden_remainder_x
      - .offset:         164
        .size:           2
        .value_kind:     hidden_remainder_y
      - .offset:         166
        .size:           2
        .value_kind:     hidden_remainder_z
      - .offset:         184
        .size:           8
        .value_kind:     hidden_global_offset_x
      - .offset:         192
        .size:           8
        .value_kind:     hidden_global_offset_y
      - .offset:         200
        .size:           8
        .value_kind:     hidden_global_offset_z
      - .offset:         208
        .size:           2
        .value_kind:     hidden_grid_dims
    .group_segment_fixed_size: 17472
    .kernarg_segment_align: 8
    .kernarg_segment_size: 400
    .language:       OpenCL C
    .language_version:
      - 2
      - 0
    .max_flat_workgroup_size: 256
    .name:           _Z39paged_attention_ll4mi_QKV_mfma16_kernelIDF16_hLN4vllm18Fp8KVCacheDataTypeE1EhLi16ELi64ELi256ELb1ELi10EL8MFMAType1EEvPKT_PKT0_S8_ifPKiSA_SA_iPKfiiiPfSD_PS3_PT2_iSC_SC_
    .private_segment_fixed_size: 0
    .sgpr_count:     38
    .sgpr_spill_count: 0
    .symbol:         _Z39paged_attention_ll4mi_QKV_mfma16_kernelIDF16_hLN4vllm18Fp8KVCacheDataTypeE1EhLi16ELi64ELi256ELb1ELi10EL8MFMAType1EEvPKT_PKT0_S8_ifPKiSA_SA_iPKfiiiPfSD_PS3_PT2_iSC_SC_.kd
    .uniform_work_group_size: 1
    .uses_dynamic_stack: false
    .vgpr_count:     146
    .vgpr_spill_count: 0
    .wavefront_size: 32
    .workgroup_processor_mode: 1
  - .args:
      - .actual_access:  read_only
        .address_space:  global
        .offset:         0
        .size:           8
        .value_kind:     global_buffer
      - .actual_access:  read_only
        .address_space:  global
        .offset:         8
        .size:           8
        .value_kind:     global_buffer
      - .actual_access:  read_only
        .address_space:  global
        .offset:         16
        .size:           8
        .value_kind:     global_buffer
      - .offset:         24
        .size:           4
        .value_kind:     by_value
      - .offset:         28
        .size:           4
        .value_kind:     by_value
      - .actual_access:  read_only
        .address_space:  global
        .offset:         32
        .size:           8
        .value_kind:     global_buffer
      - .actual_access:  read_only
        .address_space:  global
        .offset:         40
        .size:           8
        .value_kind:     global_buffer
      - .actual_access:  read_only
        .address_space:  global
        .offset:         48
        .size:           8
        .value_kind:     global_buffer
      - .offset:         56
        .size:           4
        .value_kind:     by_value
      - .actual_access:  read_only
        .address_space:  global
        .offset:         64
        .size:           8
        .value_kind:     global_buffer
      - .offset:         72
        .size:           4
        .value_kind:     by_value
      - .offset:         76
        .size:           4
        .value_kind:     by_value
      - .offset:         80
        .size:           4
        .value_kind:     by_value
      - .actual_access:  write_only
        .address_space:  global
        .offset:         88
        .size:           8
        .value_kind:     global_buffer
      - .actual_access:  write_only
        .address_space:  global
        .offset:         96
        .size:           8
        .value_kind:     global_buffer
      - .actual_access:  write_only
        .address_space:  global
        .offset:         104
        .size:           8
        .value_kind:     global_buffer
      - .actual_access:  read_only
        .address_space:  global
        .offset:         112
        .size:           8
        .value_kind:     global_buffer
      - .offset:         120
        .size:           4
        .value_kind:     by_value
      - .address_space:  global
        .offset:         128
        .size:           8
        .value_kind:     global_buffer
      - .address_space:  global
        .offset:         136
        .size:           8
        .value_kind:     global_buffer
      - .offset:         144
        .size:           4
        .value_kind:     hidden_block_count_x
      - .offset:         148
        .size:           4
        .value_kind:     hidden_block_count_y
      - .offset:         152
        .size:           4
        .value_kind:     hidden_block_count_z
      - .offset:         156
        .size:           2
        .value_kind:     hidden_group_size_x
      - .offset:         158
        .size:           2
        .value_kind:     hidden_group_size_y
      - .offset:         160
        .size:           2
        .value_kind:     hidden_group_size_z
      - .offset:         162
        .size:           2
        .value_kind:     hidden_remainder_x
      - .offset:         164
        .size:           2
        .value_kind:     hidden_remainder_y
      - .offset:         166
        .size:           2
        .value_kind:     hidden_remainder_z
      - .offset:         184
        .size:           8
        .value_kind:     hidden_global_offset_x
      - .offset:         192
        .size:           8
        .value_kind:     hidden_global_offset_y
      - .offset:         200
        .size:           8
        .value_kind:     hidden_global_offset_z
      - .offset:         208
        .size:           2
        .value_kind:     hidden_grid_dims
    .group_segment_fixed_size: 17472
    .kernarg_segment_align: 8
    .kernarg_segment_size: 400
    .language:       OpenCL C
    .language_version:
      - 2
      - 0
    .max_flat_workgroup_size: 256
    .name:           _Z39paged_attention_ll4mi_QKV_mfma16_kernelIDF16_hLN4vllm18Fp8KVCacheDataTypeE1EhLi16ELi64ELi256ELb1ELi11EL8MFMAType1EEvPKT_PKT0_S8_ifPKiSA_SA_iPKfiiiPfSD_PS3_PT2_iSC_SC_
    .private_segment_fixed_size: 0
    .sgpr_count:     39
    .sgpr_spill_count: 0
    .symbol:         _Z39paged_attention_ll4mi_QKV_mfma16_kernelIDF16_hLN4vllm18Fp8KVCacheDataTypeE1EhLi16ELi64ELi256ELb1ELi11EL8MFMAType1EEvPKT_PKT0_S8_ifPKiSA_SA_iPKfiiiPfSD_PS3_PT2_iSC_SC_.kd
    .uniform_work_group_size: 1
    .uses_dynamic_stack: false
    .vgpr_count:     146
    .vgpr_spill_count: 0
    .wavefront_size: 32
    .workgroup_processor_mode: 1
  - .args:
      - .actual_access:  read_only
        .address_space:  global
        .offset:         0
        .size:           8
        .value_kind:     global_buffer
      - .actual_access:  read_only
        .address_space:  global
        .offset:         8
        .size:           8
        .value_kind:     global_buffer
      - .actual_access:  read_only
        .address_space:  global
        .offset:         16
        .size:           8
        .value_kind:     global_buffer
      - .offset:         24
        .size:           4
        .value_kind:     by_value
      - .offset:         28
        .size:           4
        .value_kind:     by_value
      - .actual_access:  read_only
        .address_space:  global
        .offset:         32
        .size:           8
        .value_kind:     global_buffer
      - .actual_access:  read_only
        .address_space:  global
        .offset:         40
        .size:           8
        .value_kind:     global_buffer
      - .actual_access:  read_only
        .address_space:  global
        .offset:         48
        .size:           8
        .value_kind:     global_buffer
      - .offset:         56
        .size:           4
        .value_kind:     by_value
      - .actual_access:  read_only
        .address_space:  global
        .offset:         64
        .size:           8
        .value_kind:     global_buffer
      - .offset:         72
        .size:           4
        .value_kind:     by_value
      - .offset:         76
        .size:           4
        .value_kind:     by_value
      - .offset:         80
        .size:           4
        .value_kind:     by_value
      - .actual_access:  write_only
        .address_space:  global
        .offset:         88
        .size:           8
        .value_kind:     global_buffer
      - .actual_access:  write_only
        .address_space:  global
        .offset:         96
        .size:           8
        .value_kind:     global_buffer
      - .actual_access:  write_only
        .address_space:  global
        .offset:         104
        .size:           8
        .value_kind:     global_buffer
      - .actual_access:  read_only
        .address_space:  global
        .offset:         112
        .size:           8
        .value_kind:     global_buffer
      - .offset:         120
        .size:           4
        .value_kind:     by_value
      - .address_space:  global
        .offset:         128
        .size:           8
        .value_kind:     global_buffer
      - .address_space:  global
        .offset:         136
        .size:           8
        .value_kind:     global_buffer
      - .offset:         144
        .size:           4
        .value_kind:     hidden_block_count_x
      - .offset:         148
        .size:           4
        .value_kind:     hidden_block_count_y
      - .offset:         152
        .size:           4
        .value_kind:     hidden_block_count_z
      - .offset:         156
        .size:           2
        .value_kind:     hidden_group_size_x
      - .offset:         158
        .size:           2
        .value_kind:     hidden_group_size_y
      - .offset:         160
        .size:           2
        .value_kind:     hidden_group_size_z
      - .offset:         162
        .size:           2
        .value_kind:     hidden_remainder_x
      - .offset:         164
        .size:           2
        .value_kind:     hidden_remainder_y
      - .offset:         166
        .size:           2
        .value_kind:     hidden_remainder_z
      - .offset:         184
        .size:           8
        .value_kind:     hidden_global_offset_x
      - .offset:         192
        .size:           8
        .value_kind:     hidden_global_offset_y
      - .offset:         200
        .size:           8
        .value_kind:     hidden_global_offset_z
      - .offset:         208
        .size:           2
        .value_kind:     hidden_grid_dims
    .group_segment_fixed_size: 17472
    .kernarg_segment_align: 8
    .kernarg_segment_size: 400
    .language:       OpenCL C
    .language_version:
      - 2
      - 0
    .max_flat_workgroup_size: 256
    .name:           _Z39paged_attention_ll4mi_QKV_mfma16_kernelIDF16_hLN4vllm18Fp8KVCacheDataTypeE1EhLi16ELi64ELi256ELb1ELi12EL8MFMAType1EEvPKT_PKT0_S8_ifPKiSA_SA_iPKfiiiPfSD_PS3_PT2_iSC_SC_
    .private_segment_fixed_size: 0
    .sgpr_count:     38
    .sgpr_spill_count: 0
    .symbol:         _Z39paged_attention_ll4mi_QKV_mfma16_kernelIDF16_hLN4vllm18Fp8KVCacheDataTypeE1EhLi16ELi64ELi256ELb1ELi12EL8MFMAType1EEvPKT_PKT0_S8_ifPKiSA_SA_iPKfiiiPfSD_PS3_PT2_iSC_SC_.kd
    .uniform_work_group_size: 1
    .uses_dynamic_stack: false
    .vgpr_count:     146
    .vgpr_spill_count: 0
    .wavefront_size: 32
    .workgroup_processor_mode: 1
  - .args:
      - .actual_access:  read_only
        .address_space:  global
        .offset:         0
        .size:           8
        .value_kind:     global_buffer
      - .actual_access:  read_only
        .address_space:  global
        .offset:         8
        .size:           8
        .value_kind:     global_buffer
      - .actual_access:  read_only
        .address_space:  global
        .offset:         16
        .size:           8
        .value_kind:     global_buffer
      - .offset:         24
        .size:           4
        .value_kind:     by_value
      - .offset:         28
        .size:           4
        .value_kind:     by_value
      - .actual_access:  read_only
        .address_space:  global
        .offset:         32
        .size:           8
        .value_kind:     global_buffer
      - .actual_access:  read_only
        .address_space:  global
        .offset:         40
        .size:           8
        .value_kind:     global_buffer
      - .actual_access:  read_only
        .address_space:  global
        .offset:         48
        .size:           8
        .value_kind:     global_buffer
      - .offset:         56
        .size:           4
        .value_kind:     by_value
      - .actual_access:  read_only
        .address_space:  global
        .offset:         64
        .size:           8
        .value_kind:     global_buffer
      - .offset:         72
        .size:           4
        .value_kind:     by_value
      - .offset:         76
        .size:           4
        .value_kind:     by_value
      - .offset:         80
        .size:           4
        .value_kind:     by_value
      - .actual_access:  write_only
        .address_space:  global
        .offset:         88
        .size:           8
        .value_kind:     global_buffer
      - .actual_access:  write_only
        .address_space:  global
        .offset:         96
        .size:           8
        .value_kind:     global_buffer
      - .actual_access:  write_only
        .address_space:  global
        .offset:         104
        .size:           8
        .value_kind:     global_buffer
      - .actual_access:  read_only
        .address_space:  global
        .offset:         112
        .size:           8
        .value_kind:     global_buffer
      - .offset:         120
        .size:           4
        .value_kind:     by_value
      - .address_space:  global
        .offset:         128
        .size:           8
        .value_kind:     global_buffer
      - .address_space:  global
        .offset:         136
        .size:           8
        .value_kind:     global_buffer
      - .offset:         144
        .size:           4
        .value_kind:     hidden_block_count_x
      - .offset:         148
        .size:           4
        .value_kind:     hidden_block_count_y
      - .offset:         152
        .size:           4
        .value_kind:     hidden_block_count_z
      - .offset:         156
        .size:           2
        .value_kind:     hidden_group_size_x
      - .offset:         158
        .size:           2
        .value_kind:     hidden_group_size_y
      - .offset:         160
        .size:           2
        .value_kind:     hidden_group_size_z
      - .offset:         162
        .size:           2
        .value_kind:     hidden_remainder_x
      - .offset:         164
        .size:           2
        .value_kind:     hidden_remainder_y
      - .offset:         166
        .size:           2
        .value_kind:     hidden_remainder_z
      - .offset:         184
        .size:           8
        .value_kind:     hidden_global_offset_x
      - .offset:         192
        .size:           8
        .value_kind:     hidden_global_offset_y
      - .offset:         200
        .size:           8
        .value_kind:     hidden_global_offset_z
      - .offset:         208
        .size:           2
        .value_kind:     hidden_grid_dims
    .group_segment_fixed_size: 17472
    .kernarg_segment_align: 8
    .kernarg_segment_size: 400
    .language:       OpenCL C
    .language_version:
      - 2
      - 0
    .max_flat_workgroup_size: 256
    .name:           _Z39paged_attention_ll4mi_QKV_mfma16_kernelIDF16_hLN4vllm18Fp8KVCacheDataTypeE1EhLi16ELi64ELi256ELb1ELi13EL8MFMAType1EEvPKT_PKT0_S8_ifPKiSA_SA_iPKfiiiPfSD_PS3_PT2_iSC_SC_
    .private_segment_fixed_size: 0
    .sgpr_count:     39
    .sgpr_spill_count: 0
    .symbol:         _Z39paged_attention_ll4mi_QKV_mfma16_kernelIDF16_hLN4vllm18Fp8KVCacheDataTypeE1EhLi16ELi64ELi256ELb1ELi13EL8MFMAType1EEvPKT_PKT0_S8_ifPKiSA_SA_iPKfiiiPfSD_PS3_PT2_iSC_SC_.kd
    .uniform_work_group_size: 1
    .uses_dynamic_stack: false
    .vgpr_count:     146
    .vgpr_spill_count: 0
    .wavefront_size: 32
    .workgroup_processor_mode: 1
  - .args:
      - .actual_access:  read_only
        .address_space:  global
        .offset:         0
        .size:           8
        .value_kind:     global_buffer
      - .actual_access:  read_only
        .address_space:  global
        .offset:         8
        .size:           8
        .value_kind:     global_buffer
      - .actual_access:  read_only
        .address_space:  global
        .offset:         16
        .size:           8
        .value_kind:     global_buffer
      - .offset:         24
        .size:           4
        .value_kind:     by_value
      - .offset:         28
        .size:           4
        .value_kind:     by_value
      - .actual_access:  read_only
        .address_space:  global
        .offset:         32
        .size:           8
        .value_kind:     global_buffer
      - .actual_access:  read_only
        .address_space:  global
        .offset:         40
        .size:           8
        .value_kind:     global_buffer
      - .actual_access:  read_only
        .address_space:  global
        .offset:         48
        .size:           8
        .value_kind:     global_buffer
      - .offset:         56
        .size:           4
        .value_kind:     by_value
      - .actual_access:  read_only
        .address_space:  global
        .offset:         64
        .size:           8
        .value_kind:     global_buffer
      - .offset:         72
        .size:           4
        .value_kind:     by_value
      - .offset:         76
        .size:           4
        .value_kind:     by_value
      - .offset:         80
        .size:           4
        .value_kind:     by_value
      - .actual_access:  write_only
        .address_space:  global
        .offset:         88
        .size:           8
        .value_kind:     global_buffer
      - .actual_access:  write_only
        .address_space:  global
        .offset:         96
        .size:           8
        .value_kind:     global_buffer
      - .actual_access:  write_only
        .address_space:  global
        .offset:         104
        .size:           8
        .value_kind:     global_buffer
      - .actual_access:  read_only
        .address_space:  global
        .offset:         112
        .size:           8
        .value_kind:     global_buffer
      - .offset:         120
        .size:           4
        .value_kind:     by_value
      - .address_space:  global
        .offset:         128
        .size:           8
        .value_kind:     global_buffer
      - .address_space:  global
        .offset:         136
        .size:           8
        .value_kind:     global_buffer
      - .offset:         144
        .size:           4
        .value_kind:     hidden_block_count_x
      - .offset:         148
        .size:           4
        .value_kind:     hidden_block_count_y
      - .offset:         152
        .size:           4
        .value_kind:     hidden_block_count_z
      - .offset:         156
        .size:           2
        .value_kind:     hidden_group_size_x
      - .offset:         158
        .size:           2
        .value_kind:     hidden_group_size_y
      - .offset:         160
        .size:           2
        .value_kind:     hidden_group_size_z
      - .offset:         162
        .size:           2
        .value_kind:     hidden_remainder_x
      - .offset:         164
        .size:           2
        .value_kind:     hidden_remainder_y
      - .offset:         166
        .size:           2
        .value_kind:     hidden_remainder_z
      - .offset:         184
        .size:           8
        .value_kind:     hidden_global_offset_x
      - .offset:         192
        .size:           8
        .value_kind:     hidden_global_offset_y
      - .offset:         200
        .size:           8
        .value_kind:     hidden_global_offset_z
      - .offset:         208
        .size:           2
        .value_kind:     hidden_grid_dims
    .group_segment_fixed_size: 17472
    .kernarg_segment_align: 8
    .kernarg_segment_size: 400
    .language:       OpenCL C
    .language_version:
      - 2
      - 0
    .max_flat_workgroup_size: 256
    .name:           _Z39paged_attention_ll4mi_QKV_mfma16_kernelIDF16_hLN4vllm18Fp8KVCacheDataTypeE1EhLi16ELi64ELi256ELb1ELi14EL8MFMAType1EEvPKT_PKT0_S8_ifPKiSA_SA_iPKfiiiPfSD_PS3_PT2_iSC_SC_
    .private_segment_fixed_size: 0
    .sgpr_count:     38
    .sgpr_spill_count: 0
    .symbol:         _Z39paged_attention_ll4mi_QKV_mfma16_kernelIDF16_hLN4vllm18Fp8KVCacheDataTypeE1EhLi16ELi64ELi256ELb1ELi14EL8MFMAType1EEvPKT_PKT0_S8_ifPKiSA_SA_iPKfiiiPfSD_PS3_PT2_iSC_SC_.kd
    .uniform_work_group_size: 1
    .uses_dynamic_stack: false
    .vgpr_count:     146
    .vgpr_spill_count: 0
    .wavefront_size: 32
    .workgroup_processor_mode: 1
  - .args:
      - .actual_access:  read_only
        .address_space:  global
        .offset:         0
        .size:           8
        .value_kind:     global_buffer
      - .actual_access:  read_only
        .address_space:  global
        .offset:         8
        .size:           8
        .value_kind:     global_buffer
      - .actual_access:  read_only
        .address_space:  global
        .offset:         16
        .size:           8
        .value_kind:     global_buffer
      - .offset:         24
        .size:           4
        .value_kind:     by_value
      - .offset:         28
        .size:           4
        .value_kind:     by_value
      - .actual_access:  read_only
        .address_space:  global
        .offset:         32
        .size:           8
        .value_kind:     global_buffer
      - .actual_access:  read_only
        .address_space:  global
        .offset:         40
        .size:           8
        .value_kind:     global_buffer
      - .actual_access:  read_only
        .address_space:  global
        .offset:         48
        .size:           8
        .value_kind:     global_buffer
      - .offset:         56
        .size:           4
        .value_kind:     by_value
      - .actual_access:  read_only
        .address_space:  global
        .offset:         64
        .size:           8
        .value_kind:     global_buffer
      - .offset:         72
        .size:           4
        .value_kind:     by_value
      - .offset:         76
        .size:           4
        .value_kind:     by_value
      - .offset:         80
        .size:           4
        .value_kind:     by_value
      - .actual_access:  write_only
        .address_space:  global
        .offset:         88
        .size:           8
        .value_kind:     global_buffer
      - .actual_access:  write_only
        .address_space:  global
        .offset:         96
        .size:           8
        .value_kind:     global_buffer
      - .actual_access:  write_only
        .address_space:  global
        .offset:         104
        .size:           8
        .value_kind:     global_buffer
      - .actual_access:  read_only
        .address_space:  global
        .offset:         112
        .size:           8
        .value_kind:     global_buffer
      - .offset:         120
        .size:           4
        .value_kind:     by_value
      - .address_space:  global
        .offset:         128
        .size:           8
        .value_kind:     global_buffer
      - .address_space:  global
        .offset:         136
        .size:           8
        .value_kind:     global_buffer
      - .offset:         144
        .size:           4
        .value_kind:     hidden_block_count_x
      - .offset:         148
        .size:           4
        .value_kind:     hidden_block_count_y
      - .offset:         152
        .size:           4
        .value_kind:     hidden_block_count_z
      - .offset:         156
        .size:           2
        .value_kind:     hidden_group_size_x
      - .offset:         158
        .size:           2
        .value_kind:     hidden_group_size_y
      - .offset:         160
        .size:           2
        .value_kind:     hidden_group_size_z
      - .offset:         162
        .size:           2
        .value_kind:     hidden_remainder_x
      - .offset:         164
        .size:           2
        .value_kind:     hidden_remainder_y
      - .offset:         166
        .size:           2
        .value_kind:     hidden_remainder_z
      - .offset:         184
        .size:           8
        .value_kind:     hidden_global_offset_x
      - .offset:         192
        .size:           8
        .value_kind:     hidden_global_offset_y
      - .offset:         200
        .size:           8
        .value_kind:     hidden_global_offset_z
      - .offset:         208
        .size:           2
        .value_kind:     hidden_grid_dims
    .group_segment_fixed_size: 17472
    .kernarg_segment_align: 8
    .kernarg_segment_size: 400
    .language:       OpenCL C
    .language_version:
      - 2
      - 0
    .max_flat_workgroup_size: 256
    .name:           _Z39paged_attention_ll4mi_QKV_mfma16_kernelIDF16_hLN4vllm18Fp8KVCacheDataTypeE1EhLi16ELi64ELi256ELb1ELi15EL8MFMAType1EEvPKT_PKT0_S8_ifPKiSA_SA_iPKfiiiPfSD_PS3_PT2_iSC_SC_
    .private_segment_fixed_size: 0
    .sgpr_count:     39
    .sgpr_spill_count: 0
    .symbol:         _Z39paged_attention_ll4mi_QKV_mfma16_kernelIDF16_hLN4vllm18Fp8KVCacheDataTypeE1EhLi16ELi64ELi256ELb1ELi15EL8MFMAType1EEvPKT_PKT0_S8_ifPKiSA_SA_iPKfiiiPfSD_PS3_PT2_iSC_SC_.kd
    .uniform_work_group_size: 1
    .uses_dynamic_stack: false
    .vgpr_count:     146
    .vgpr_spill_count: 0
    .wavefront_size: 32
    .workgroup_processor_mode: 1
  - .args:
      - .actual_access:  read_only
        .address_space:  global
        .offset:         0
        .size:           8
        .value_kind:     global_buffer
      - .actual_access:  read_only
        .address_space:  global
        .offset:         8
        .size:           8
        .value_kind:     global_buffer
      - .actual_access:  read_only
        .address_space:  global
        .offset:         16
        .size:           8
        .value_kind:     global_buffer
      - .offset:         24
        .size:           4
        .value_kind:     by_value
      - .offset:         28
        .size:           4
        .value_kind:     by_value
      - .actual_access:  read_only
        .address_space:  global
        .offset:         32
        .size:           8
        .value_kind:     global_buffer
      - .actual_access:  read_only
        .address_space:  global
        .offset:         40
        .size:           8
        .value_kind:     global_buffer
      - .actual_access:  read_only
        .address_space:  global
        .offset:         48
        .size:           8
        .value_kind:     global_buffer
      - .offset:         56
        .size:           4
        .value_kind:     by_value
      - .actual_access:  read_only
        .address_space:  global
        .offset:         64
        .size:           8
        .value_kind:     global_buffer
      - .offset:         72
        .size:           4
        .value_kind:     by_value
      - .offset:         76
        .size:           4
        .value_kind:     by_value
      - .offset:         80
        .size:           4
        .value_kind:     by_value
      - .actual_access:  write_only
        .address_space:  global
        .offset:         88
        .size:           8
        .value_kind:     global_buffer
      - .actual_access:  write_only
        .address_space:  global
        .offset:         96
        .size:           8
        .value_kind:     global_buffer
      - .actual_access:  write_only
        .address_space:  global
        .offset:         104
        .size:           8
        .value_kind:     global_buffer
      - .actual_access:  read_only
        .address_space:  global
        .offset:         112
        .size:           8
        .value_kind:     global_buffer
      - .offset:         120
        .size:           4
        .value_kind:     by_value
      - .address_space:  global
        .offset:         128
        .size:           8
        .value_kind:     global_buffer
      - .address_space:  global
        .offset:         136
        .size:           8
        .value_kind:     global_buffer
      - .offset:         144
        .size:           4
        .value_kind:     hidden_block_count_x
      - .offset:         148
        .size:           4
        .value_kind:     hidden_block_count_y
      - .offset:         152
        .size:           4
        .value_kind:     hidden_block_count_z
      - .offset:         156
        .size:           2
        .value_kind:     hidden_group_size_x
      - .offset:         158
        .size:           2
        .value_kind:     hidden_group_size_y
      - .offset:         160
        .size:           2
        .value_kind:     hidden_group_size_z
      - .offset:         162
        .size:           2
        .value_kind:     hidden_remainder_x
      - .offset:         164
        .size:           2
        .value_kind:     hidden_remainder_y
      - .offset:         166
        .size:           2
        .value_kind:     hidden_remainder_z
      - .offset:         184
        .size:           8
        .value_kind:     hidden_global_offset_x
      - .offset:         192
        .size:           8
        .value_kind:     hidden_global_offset_y
      - .offset:         200
        .size:           8
        .value_kind:     hidden_global_offset_z
      - .offset:         208
        .size:           2
        .value_kind:     hidden_grid_dims
    .group_segment_fixed_size: 17472
    .kernarg_segment_align: 8
    .kernarg_segment_size: 400
    .language:       OpenCL C
    .language_version:
      - 2
      - 0
    .max_flat_workgroup_size: 256
    .name:           _Z39paged_attention_ll4mi_QKV_mfma16_kernelIDF16_hLN4vllm18Fp8KVCacheDataTypeE1EhLi16ELi64ELi256ELb1ELi16EL8MFMAType1EEvPKT_PKT0_S8_ifPKiSA_SA_iPKfiiiPfSD_PS3_PT2_iSC_SC_
    .private_segment_fixed_size: 0
    .sgpr_count:     42
    .sgpr_spill_count: 0
    .symbol:         _Z39paged_attention_ll4mi_QKV_mfma16_kernelIDF16_hLN4vllm18Fp8KVCacheDataTypeE1EhLi16ELi64ELi256ELb1ELi16EL8MFMAType1EEvPKT_PKT0_S8_ifPKiSA_SA_iPKfiiiPfSD_PS3_PT2_iSC_SC_.kd
    .uniform_work_group_size: 1
    .uses_dynamic_stack: false
    .vgpr_count:     123
    .vgpr_spill_count: 0
    .wavefront_size: 32
    .workgroup_processor_mode: 1
  - .args:
      - .actual_access:  read_only
        .address_space:  global
        .offset:         0
        .size:           8
        .value_kind:     global_buffer
      - .actual_access:  read_only
        .address_space:  global
        .offset:         8
        .size:           8
        .value_kind:     global_buffer
      - .actual_access:  read_only
        .address_space:  global
        .offset:         16
        .size:           8
        .value_kind:     global_buffer
      - .offset:         24
        .size:           4
        .value_kind:     by_value
      - .offset:         28
        .size:           4
        .value_kind:     by_value
      - .actual_access:  read_only
        .address_space:  global
        .offset:         32
        .size:           8
        .value_kind:     global_buffer
      - .actual_access:  read_only
        .address_space:  global
        .offset:         40
        .size:           8
        .value_kind:     global_buffer
      - .actual_access:  read_only
        .address_space:  global
        .offset:         48
        .size:           8
        .value_kind:     global_buffer
      - .offset:         56
        .size:           4
        .value_kind:     by_value
      - .actual_access:  read_only
        .address_space:  global
        .offset:         64
        .size:           8
        .value_kind:     global_buffer
      - .offset:         72
        .size:           4
        .value_kind:     by_value
      - .offset:         76
        .size:           4
        .value_kind:     by_value
      - .offset:         80
        .size:           4
        .value_kind:     by_value
      - .actual_access:  write_only
        .address_space:  global
        .offset:         88
        .size:           8
        .value_kind:     global_buffer
      - .actual_access:  write_only
        .address_space:  global
        .offset:         96
        .size:           8
        .value_kind:     global_buffer
      - .actual_access:  write_only
        .address_space:  global
        .offset:         104
        .size:           8
        .value_kind:     global_buffer
      - .actual_access:  read_only
        .address_space:  global
        .offset:         112
        .size:           8
        .value_kind:     global_buffer
      - .offset:         120
        .size:           4
        .value_kind:     by_value
      - .address_space:  global
        .offset:         128
        .size:           8
        .value_kind:     global_buffer
      - .address_space:  global
        .offset:         136
        .size:           8
        .value_kind:     global_buffer
      - .offset:         144
        .size:           4
        .value_kind:     hidden_block_count_x
      - .offset:         148
        .size:           4
        .value_kind:     hidden_block_count_y
      - .offset:         152
        .size:           4
        .value_kind:     hidden_block_count_z
      - .offset:         156
        .size:           2
        .value_kind:     hidden_group_size_x
      - .offset:         158
        .size:           2
        .value_kind:     hidden_group_size_y
      - .offset:         160
        .size:           2
        .value_kind:     hidden_group_size_z
      - .offset:         162
        .size:           2
        .value_kind:     hidden_remainder_x
      - .offset:         164
        .size:           2
        .value_kind:     hidden_remainder_y
      - .offset:         166
        .size:           2
        .value_kind:     hidden_remainder_z
      - .offset:         184
        .size:           8
        .value_kind:     hidden_global_offset_x
      - .offset:         192
        .size:           8
        .value_kind:     hidden_global_offset_y
      - .offset:         200
        .size:           8
        .value_kind:     hidden_global_offset_z
      - .offset:         208
        .size:           2
        .value_kind:     hidden_grid_dims
    .group_segment_fixed_size: 17472
    .kernarg_segment_align: 8
    .kernarg_segment_size: 400
    .language:       OpenCL C
    .language_version:
      - 2
      - 0
    .max_flat_workgroup_size: 256
    .name:           _Z39paged_attention_ll4mi_QKV_mfma16_kernelIDF16_hLN4vllm18Fp8KVCacheDataTypeE1EhLi16ELi64ELi256ELb1ELi1EL8MFMAType1EEvPKT_PKT0_S8_ifPKiSA_SA_iPKfiiiPfSD_PS3_PT2_iSC_SC_
    .private_segment_fixed_size: 0
    .sgpr_count:     50
    .sgpr_spill_count: 0
    .symbol:         _Z39paged_attention_ll4mi_QKV_mfma16_kernelIDF16_hLN4vllm18Fp8KVCacheDataTypeE1EhLi16ELi64ELi256ELb1ELi1EL8MFMAType1EEvPKT_PKT0_S8_ifPKiSA_SA_iPKfiiiPfSD_PS3_PT2_iSC_SC_.kd
    .uniform_work_group_size: 1
    .uses_dynamic_stack: false
    .vgpr_count:     144
    .vgpr_spill_count: 0
    .wavefront_size: 32
    .workgroup_processor_mode: 1
  - .args:
      - .actual_access:  read_only
        .address_space:  global
        .offset:         0
        .size:           8
        .value_kind:     global_buffer
      - .actual_access:  read_only
        .address_space:  global
        .offset:         8
        .size:           8
        .value_kind:     global_buffer
      - .actual_access:  read_only
        .address_space:  global
        .offset:         16
        .size:           8
        .value_kind:     global_buffer
      - .offset:         24
        .size:           4
        .value_kind:     by_value
      - .offset:         28
        .size:           4
        .value_kind:     by_value
      - .actual_access:  read_only
        .address_space:  global
        .offset:         32
        .size:           8
        .value_kind:     global_buffer
      - .actual_access:  read_only
        .address_space:  global
        .offset:         40
        .size:           8
        .value_kind:     global_buffer
      - .actual_access:  read_only
        .address_space:  global
        .offset:         48
        .size:           8
        .value_kind:     global_buffer
      - .offset:         56
        .size:           4
        .value_kind:     by_value
      - .actual_access:  read_only
        .address_space:  global
        .offset:         64
        .size:           8
        .value_kind:     global_buffer
      - .offset:         72
        .size:           4
        .value_kind:     by_value
      - .offset:         76
        .size:           4
        .value_kind:     by_value
      - .offset:         80
        .size:           4
        .value_kind:     by_value
      - .actual_access:  write_only
        .address_space:  global
        .offset:         88
        .size:           8
        .value_kind:     global_buffer
      - .actual_access:  write_only
        .address_space:  global
        .offset:         96
        .size:           8
        .value_kind:     global_buffer
      - .actual_access:  write_only
        .address_space:  global
        .offset:         104
        .size:           8
        .value_kind:     global_buffer
      - .actual_access:  read_only
        .address_space:  global
        .offset:         112
        .size:           8
        .value_kind:     global_buffer
      - .offset:         120
        .size:           4
        .value_kind:     by_value
      - .address_space:  global
        .offset:         128
        .size:           8
        .value_kind:     global_buffer
      - .address_space:  global
        .offset:         136
        .size:           8
        .value_kind:     global_buffer
      - .offset:         144
        .size:           4
        .value_kind:     hidden_block_count_x
      - .offset:         148
        .size:           4
        .value_kind:     hidden_block_count_y
      - .offset:         152
        .size:           4
        .value_kind:     hidden_block_count_z
      - .offset:         156
        .size:           2
        .value_kind:     hidden_group_size_x
      - .offset:         158
        .size:           2
        .value_kind:     hidden_group_size_y
      - .offset:         160
        .size:           2
        .value_kind:     hidden_group_size_z
      - .offset:         162
        .size:           2
        .value_kind:     hidden_remainder_x
      - .offset:         164
        .size:           2
        .value_kind:     hidden_remainder_y
      - .offset:         166
        .size:           2
        .value_kind:     hidden_remainder_z
      - .offset:         184
        .size:           8
        .value_kind:     hidden_global_offset_x
      - .offset:         192
        .size:           8
        .value_kind:     hidden_global_offset_y
      - .offset:         200
        .size:           8
        .value_kind:     hidden_global_offset_z
      - .offset:         208
        .size:           2
        .value_kind:     hidden_grid_dims
    .group_segment_fixed_size: 17472
    .kernarg_segment_align: 8
    .kernarg_segment_size: 400
    .language:       OpenCL C
    .language_version:
      - 2
      - 0
    .max_flat_workgroup_size: 256
    .name:           _Z39paged_attention_ll4mi_QKV_mfma16_kernelIDF16_hLN4vllm18Fp8KVCacheDataTypeE1EhLi16ELi64ELi256ELb1ELi2EL8MFMAType1EEvPKT_PKT0_S8_ifPKiSA_SA_iPKfiiiPfSD_PS3_PT2_iSC_SC_
    .private_segment_fixed_size: 0
    .sgpr_count:     38
    .sgpr_spill_count: 0
    .symbol:         _Z39paged_attention_ll4mi_QKV_mfma16_kernelIDF16_hLN4vllm18Fp8KVCacheDataTypeE1EhLi16ELi64ELi256ELb1ELi2EL8MFMAType1EEvPKT_PKT0_S8_ifPKiSA_SA_iPKfiiiPfSD_PS3_PT2_iSC_SC_.kd
    .uniform_work_group_size: 1
    .uses_dynamic_stack: false
    .vgpr_count:     148
    .vgpr_spill_count: 0
    .wavefront_size: 32
    .workgroup_processor_mode: 1
  - .args:
      - .actual_access:  read_only
        .address_space:  global
        .offset:         0
        .size:           8
        .value_kind:     global_buffer
      - .actual_access:  read_only
        .address_space:  global
        .offset:         8
        .size:           8
        .value_kind:     global_buffer
      - .actual_access:  read_only
        .address_space:  global
        .offset:         16
        .size:           8
        .value_kind:     global_buffer
      - .offset:         24
        .size:           4
        .value_kind:     by_value
      - .offset:         28
        .size:           4
        .value_kind:     by_value
      - .actual_access:  read_only
        .address_space:  global
        .offset:         32
        .size:           8
        .value_kind:     global_buffer
      - .actual_access:  read_only
        .address_space:  global
        .offset:         40
        .size:           8
        .value_kind:     global_buffer
      - .actual_access:  read_only
        .address_space:  global
        .offset:         48
        .size:           8
        .value_kind:     global_buffer
      - .offset:         56
        .size:           4
        .value_kind:     by_value
      - .actual_access:  read_only
        .address_space:  global
        .offset:         64
        .size:           8
        .value_kind:     global_buffer
      - .offset:         72
        .size:           4
        .value_kind:     by_value
      - .offset:         76
        .size:           4
        .value_kind:     by_value
      - .offset:         80
        .size:           4
        .value_kind:     by_value
      - .actual_access:  write_only
        .address_space:  global
        .offset:         88
        .size:           8
        .value_kind:     global_buffer
      - .actual_access:  write_only
        .address_space:  global
        .offset:         96
        .size:           8
        .value_kind:     global_buffer
      - .actual_access:  write_only
        .address_space:  global
        .offset:         104
        .size:           8
        .value_kind:     global_buffer
      - .actual_access:  read_only
        .address_space:  global
        .offset:         112
        .size:           8
        .value_kind:     global_buffer
      - .offset:         120
        .size:           4
        .value_kind:     by_value
      - .address_space:  global
        .offset:         128
        .size:           8
        .value_kind:     global_buffer
      - .address_space:  global
        .offset:         136
        .size:           8
        .value_kind:     global_buffer
      - .offset:         144
        .size:           4
        .value_kind:     hidden_block_count_x
      - .offset:         148
        .size:           4
        .value_kind:     hidden_block_count_y
      - .offset:         152
        .size:           4
        .value_kind:     hidden_block_count_z
      - .offset:         156
        .size:           2
        .value_kind:     hidden_group_size_x
      - .offset:         158
        .size:           2
        .value_kind:     hidden_group_size_y
      - .offset:         160
        .size:           2
        .value_kind:     hidden_group_size_z
      - .offset:         162
        .size:           2
        .value_kind:     hidden_remainder_x
      - .offset:         164
        .size:           2
        .value_kind:     hidden_remainder_y
      - .offset:         166
        .size:           2
        .value_kind:     hidden_remainder_z
      - .offset:         184
        .size:           8
        .value_kind:     hidden_global_offset_x
      - .offset:         192
        .size:           8
        .value_kind:     hidden_global_offset_y
      - .offset:         200
        .size:           8
        .value_kind:     hidden_global_offset_z
      - .offset:         208
        .size:           2
        .value_kind:     hidden_grid_dims
    .group_segment_fixed_size: 17472
    .kernarg_segment_align: 8
    .kernarg_segment_size: 400
    .language:       OpenCL C
    .language_version:
      - 2
      - 0
    .max_flat_workgroup_size: 256
    .name:           _Z39paged_attention_ll4mi_QKV_mfma16_kernelIDF16_hLN4vllm18Fp8KVCacheDataTypeE1EhLi16ELi64ELi256ELb1ELi3EL8MFMAType1EEvPKT_PKT0_S8_ifPKiSA_SA_iPKfiiiPfSD_PS3_PT2_iSC_SC_
    .private_segment_fixed_size: 0
    .sgpr_count:     39
    .sgpr_spill_count: 0
    .symbol:         _Z39paged_attention_ll4mi_QKV_mfma16_kernelIDF16_hLN4vllm18Fp8KVCacheDataTypeE1EhLi16ELi64ELi256ELb1ELi3EL8MFMAType1EEvPKT_PKT0_S8_ifPKiSA_SA_iPKfiiiPfSD_PS3_PT2_iSC_SC_.kd
    .uniform_work_group_size: 1
    .uses_dynamic_stack: false
    .vgpr_count:     146
    .vgpr_spill_count: 0
    .wavefront_size: 32
    .workgroup_processor_mode: 1
  - .args:
      - .actual_access:  read_only
        .address_space:  global
        .offset:         0
        .size:           8
        .value_kind:     global_buffer
      - .actual_access:  read_only
        .address_space:  global
        .offset:         8
        .size:           8
        .value_kind:     global_buffer
      - .actual_access:  read_only
        .address_space:  global
        .offset:         16
        .size:           8
        .value_kind:     global_buffer
      - .offset:         24
        .size:           4
        .value_kind:     by_value
      - .offset:         28
        .size:           4
        .value_kind:     by_value
      - .actual_access:  read_only
        .address_space:  global
        .offset:         32
        .size:           8
        .value_kind:     global_buffer
      - .actual_access:  read_only
        .address_space:  global
        .offset:         40
        .size:           8
        .value_kind:     global_buffer
      - .actual_access:  read_only
        .address_space:  global
        .offset:         48
        .size:           8
        .value_kind:     global_buffer
      - .offset:         56
        .size:           4
        .value_kind:     by_value
      - .actual_access:  read_only
        .address_space:  global
        .offset:         64
        .size:           8
        .value_kind:     global_buffer
      - .offset:         72
        .size:           4
        .value_kind:     by_value
      - .offset:         76
        .size:           4
        .value_kind:     by_value
      - .offset:         80
        .size:           4
        .value_kind:     by_value
      - .actual_access:  write_only
        .address_space:  global
        .offset:         88
        .size:           8
        .value_kind:     global_buffer
      - .actual_access:  write_only
        .address_space:  global
        .offset:         96
        .size:           8
        .value_kind:     global_buffer
      - .actual_access:  write_only
        .address_space:  global
        .offset:         104
        .size:           8
        .value_kind:     global_buffer
      - .actual_access:  read_only
        .address_space:  global
        .offset:         112
        .size:           8
        .value_kind:     global_buffer
      - .offset:         120
        .size:           4
        .value_kind:     by_value
      - .address_space:  global
        .offset:         128
        .size:           8
        .value_kind:     global_buffer
      - .address_space:  global
        .offset:         136
        .size:           8
        .value_kind:     global_buffer
      - .offset:         144
        .size:           4
        .value_kind:     hidden_block_count_x
      - .offset:         148
        .size:           4
        .value_kind:     hidden_block_count_y
      - .offset:         152
        .size:           4
        .value_kind:     hidden_block_count_z
      - .offset:         156
        .size:           2
        .value_kind:     hidden_group_size_x
      - .offset:         158
        .size:           2
        .value_kind:     hidden_group_size_y
      - .offset:         160
        .size:           2
        .value_kind:     hidden_group_size_z
      - .offset:         162
        .size:           2
        .value_kind:     hidden_remainder_x
      - .offset:         164
        .size:           2
        .value_kind:     hidden_remainder_y
      - .offset:         166
        .size:           2
        .value_kind:     hidden_remainder_z
      - .offset:         184
        .size:           8
        .value_kind:     hidden_global_offset_x
      - .offset:         192
        .size:           8
        .value_kind:     hidden_global_offset_y
      - .offset:         200
        .size:           8
        .value_kind:     hidden_global_offset_z
      - .offset:         208
        .size:           2
        .value_kind:     hidden_grid_dims
    .group_segment_fixed_size: 17472
    .kernarg_segment_align: 8
    .kernarg_segment_size: 400
    .language:       OpenCL C
    .language_version:
      - 2
      - 0
    .max_flat_workgroup_size: 256
    .name:           _Z39paged_attention_ll4mi_QKV_mfma16_kernelIDF16_hLN4vllm18Fp8KVCacheDataTypeE1EhLi16ELi64ELi256ELb1ELi4EL8MFMAType1EEvPKT_PKT0_S8_ifPKiSA_SA_iPKfiiiPfSD_PS3_PT2_iSC_SC_
    .private_segment_fixed_size: 0
    .sgpr_count:     42
    .sgpr_spill_count: 0
    .symbol:         _Z39paged_attention_ll4mi_QKV_mfma16_kernelIDF16_hLN4vllm18Fp8KVCacheDataTypeE1EhLi16ELi64ELi256ELb1ELi4EL8MFMAType1EEvPKT_PKT0_S8_ifPKiSA_SA_iPKfiiiPfSD_PS3_PT2_iSC_SC_.kd
    .uniform_work_group_size: 1
    .uses_dynamic_stack: false
    .vgpr_count:     123
    .vgpr_spill_count: 0
    .wavefront_size: 32
    .workgroup_processor_mode: 1
  - .args:
      - .actual_access:  read_only
        .address_space:  global
        .offset:         0
        .size:           8
        .value_kind:     global_buffer
      - .actual_access:  read_only
        .address_space:  global
        .offset:         8
        .size:           8
        .value_kind:     global_buffer
      - .actual_access:  read_only
        .address_space:  global
        .offset:         16
        .size:           8
        .value_kind:     global_buffer
      - .offset:         24
        .size:           4
        .value_kind:     by_value
      - .offset:         28
        .size:           4
        .value_kind:     by_value
      - .actual_access:  read_only
        .address_space:  global
        .offset:         32
        .size:           8
        .value_kind:     global_buffer
      - .actual_access:  read_only
        .address_space:  global
        .offset:         40
        .size:           8
        .value_kind:     global_buffer
      - .actual_access:  read_only
        .address_space:  global
        .offset:         48
        .size:           8
        .value_kind:     global_buffer
      - .offset:         56
        .size:           4
        .value_kind:     by_value
      - .actual_access:  read_only
        .address_space:  global
        .offset:         64
        .size:           8
        .value_kind:     global_buffer
      - .offset:         72
        .size:           4
        .value_kind:     by_value
      - .offset:         76
        .size:           4
        .value_kind:     by_value
      - .offset:         80
        .size:           4
        .value_kind:     by_value
      - .actual_access:  read_only
        .address_space:  global
        .offset:         88
        .size:           8
        .value_kind:     global_buffer
      - .actual_access:  read_only
        .address_space:  global
        .offset:         96
        .size:           8
        .value_kind:     global_buffer
      - .actual_access:  read_only
        .address_space:  global
        .offset:         104
        .size:           8
        .value_kind:     global_buffer
      - .actual_access:  read_only
        .address_space:  global
        .offset:         112
        .size:           8
        .value_kind:     global_buffer
      - .offset:         120
        .size:           4
        .value_kind:     by_value
      - .address_space:  global
        .offset:         128
        .size:           8
        .value_kind:     global_buffer
      - .address_space:  global
        .offset:         136
        .size:           8
        .value_kind:     global_buffer
      - .offset:         144
        .size:           4
        .value_kind:     hidden_block_count_x
      - .offset:         148
        .size:           4
        .value_kind:     hidden_block_count_y
      - .offset:         152
        .size:           4
        .value_kind:     hidden_block_count_z
      - .offset:         156
        .size:           2
        .value_kind:     hidden_group_size_x
      - .offset:         158
        .size:           2
        .value_kind:     hidden_group_size_y
      - .offset:         160
        .size:           2
        .value_kind:     hidden_group_size_z
      - .offset:         162
        .size:           2
        .value_kind:     hidden_remainder_x
      - .offset:         164
        .size:           2
        .value_kind:     hidden_remainder_y
      - .offset:         166
        .size:           2
        .value_kind:     hidden_remainder_z
      - .offset:         184
        .size:           8
        .value_kind:     hidden_global_offset_x
      - .offset:         192
        .size:           8
        .value_kind:     hidden_global_offset_y
      - .offset:         200
        .size:           8
        .value_kind:     hidden_global_offset_z
      - .offset:         208
        .size:           2
        .value_kind:     hidden_grid_dims
      - .offset:         224
        .size:           8
        .value_kind:     hidden_hostcall_buffer
    .group_segment_fixed_size: 0
    .kernarg_segment_align: 8
    .kernarg_segment_size: 400
    .language:       OpenCL C
    .language_version:
      - 2
      - 0
    .max_flat_workgroup_size: 256
    .name:           _Z38paged_attention_ll4mi_QKV_mfma4_kernelIDF16_hLN4vllm18Fp8KVCacheDataTypeE1EhLi16ELi64ELi256ELb0ELi1EEvPKT_PKT0_S7_ifPKiS9_S9_iPKfiiiPfSC_PS2_PT2_iSB_SB_
    .private_segment_fixed_size: 64
    .sgpr_count:     36
    .sgpr_spill_count: 0
    .symbol:         _Z38paged_attention_ll4mi_QKV_mfma4_kernelIDF16_hLN4vllm18Fp8KVCacheDataTypeE1EhLi16ELi64ELi256ELb0ELi1EEvPKT_PKT0_S7_ifPKiS9_S9_iPKfiiiPfSC_PS2_PT2_iSB_SB_.kd
    .uniform_work_group_size: 1
    .uses_dynamic_stack: false
    .vgpr_count:     41
    .vgpr_spill_count: 0
    .wavefront_size: 32
    .workgroup_processor_mode: 1
  - .args:
      - .actual_access:  read_only
        .address_space:  global
        .offset:         0
        .size:           8
        .value_kind:     global_buffer
      - .actual_access:  read_only
        .address_space:  global
        .offset:         8
        .size:           8
        .value_kind:     global_buffer
      - .actual_access:  read_only
        .address_space:  global
        .offset:         16
        .size:           8
        .value_kind:     global_buffer
      - .offset:         24
        .size:           4
        .value_kind:     by_value
      - .offset:         28
        .size:           4
        .value_kind:     by_value
      - .actual_access:  read_only
        .address_space:  global
        .offset:         32
        .size:           8
        .value_kind:     global_buffer
      - .actual_access:  read_only
        .address_space:  global
        .offset:         40
        .size:           8
        .value_kind:     global_buffer
      - .actual_access:  read_only
        .address_space:  global
        .offset:         48
        .size:           8
        .value_kind:     global_buffer
      - .offset:         56
        .size:           4
        .value_kind:     by_value
      - .actual_access:  read_only
        .address_space:  global
        .offset:         64
        .size:           8
        .value_kind:     global_buffer
      - .offset:         72
        .size:           4
        .value_kind:     by_value
      - .offset:         76
        .size:           4
        .value_kind:     by_value
      - .offset:         80
        .size:           4
        .value_kind:     by_value
      - .actual_access:  read_only
        .address_space:  global
        .offset:         88
        .size:           8
        .value_kind:     global_buffer
      - .actual_access:  read_only
        .address_space:  global
        .offset:         96
        .size:           8
        .value_kind:     global_buffer
      - .actual_access:  read_only
        .address_space:  global
        .offset:         104
        .size:           8
        .value_kind:     global_buffer
      - .actual_access:  read_only
        .address_space:  global
        .offset:         112
        .size:           8
        .value_kind:     global_buffer
      - .offset:         120
        .size:           4
        .value_kind:     by_value
      - .address_space:  global
        .offset:         128
        .size:           8
        .value_kind:     global_buffer
      - .address_space:  global
        .offset:         136
        .size:           8
        .value_kind:     global_buffer
      - .offset:         144
        .size:           4
        .value_kind:     hidden_block_count_x
      - .offset:         148
        .size:           4
        .value_kind:     hidden_block_count_y
      - .offset:         152
        .size:           4
        .value_kind:     hidden_block_count_z
      - .offset:         156
        .size:           2
        .value_kind:     hidden_group_size_x
      - .offset:         158
        .size:           2
        .value_kind:     hidden_group_size_y
      - .offset:         160
        .size:           2
        .value_kind:     hidden_group_size_z
      - .offset:         162
        .size:           2
        .value_kind:     hidden_remainder_x
      - .offset:         164
        .size:           2
        .value_kind:     hidden_remainder_y
      - .offset:         166
        .size:           2
        .value_kind:     hidden_remainder_z
      - .offset:         184
        .size:           8
        .value_kind:     hidden_global_offset_x
      - .offset:         192
        .size:           8
        .value_kind:     hidden_global_offset_y
      - .offset:         200
        .size:           8
        .value_kind:     hidden_global_offset_z
      - .offset:         208
        .size:           2
        .value_kind:     hidden_grid_dims
      - .offset:         224
        .size:           8
        .value_kind:     hidden_hostcall_buffer
    .group_segment_fixed_size: 0
    .kernarg_segment_align: 8
    .kernarg_segment_size: 400
    .language:       OpenCL C
    .language_version:
      - 2
      - 0
    .max_flat_workgroup_size: 256
    .name:           _Z38paged_attention_ll4mi_QKV_mfma4_kernelIDF16_hLN4vllm18Fp8KVCacheDataTypeE1EhLi16ELi64ELi256ELb0ELi2EEvPKT_PKT0_S7_ifPKiS9_S9_iPKfiiiPfSC_PS2_PT2_iSB_SB_
    .private_segment_fixed_size: 64
    .sgpr_count:     36
    .sgpr_spill_count: 0
    .symbol:         _Z38paged_attention_ll4mi_QKV_mfma4_kernelIDF16_hLN4vllm18Fp8KVCacheDataTypeE1EhLi16ELi64ELi256ELb0ELi2EEvPKT_PKT0_S7_ifPKiS9_S9_iPKfiiiPfSC_PS2_PT2_iSB_SB_.kd
    .uniform_work_group_size: 1
    .uses_dynamic_stack: false
    .vgpr_count:     41
    .vgpr_spill_count: 0
    .wavefront_size: 32
    .workgroup_processor_mode: 1
  - .args:
      - .actual_access:  read_only
        .address_space:  global
        .offset:         0
        .size:           8
        .value_kind:     global_buffer
      - .actual_access:  read_only
        .address_space:  global
        .offset:         8
        .size:           8
        .value_kind:     global_buffer
      - .actual_access:  read_only
        .address_space:  global
        .offset:         16
        .size:           8
        .value_kind:     global_buffer
      - .offset:         24
        .size:           4
        .value_kind:     by_value
      - .offset:         28
        .size:           4
        .value_kind:     by_value
      - .actual_access:  read_only
        .address_space:  global
        .offset:         32
        .size:           8
        .value_kind:     global_buffer
      - .actual_access:  read_only
        .address_space:  global
        .offset:         40
        .size:           8
        .value_kind:     global_buffer
      - .actual_access:  read_only
        .address_space:  global
        .offset:         48
        .size:           8
        .value_kind:     global_buffer
      - .offset:         56
        .size:           4
        .value_kind:     by_value
      - .actual_access:  read_only
        .address_space:  global
        .offset:         64
        .size:           8
        .value_kind:     global_buffer
      - .offset:         72
        .size:           4
        .value_kind:     by_value
      - .offset:         76
        .size:           4
        .value_kind:     by_value
      - .offset:         80
        .size:           4
        .value_kind:     by_value
      - .actual_access:  read_only
        .address_space:  global
        .offset:         88
        .size:           8
        .value_kind:     global_buffer
      - .actual_access:  read_only
        .address_space:  global
        .offset:         96
        .size:           8
        .value_kind:     global_buffer
      - .actual_access:  read_only
        .address_space:  global
        .offset:         104
        .size:           8
        .value_kind:     global_buffer
      - .actual_access:  read_only
        .address_space:  global
        .offset:         112
        .size:           8
        .value_kind:     global_buffer
      - .offset:         120
        .size:           4
        .value_kind:     by_value
      - .address_space:  global
        .offset:         128
        .size:           8
        .value_kind:     global_buffer
      - .address_space:  global
        .offset:         136
        .size:           8
        .value_kind:     global_buffer
      - .offset:         144
        .size:           4
        .value_kind:     hidden_block_count_x
      - .offset:         148
        .size:           4
        .value_kind:     hidden_block_count_y
      - .offset:         152
        .size:           4
        .value_kind:     hidden_block_count_z
      - .offset:         156
        .size:           2
        .value_kind:     hidden_group_size_x
      - .offset:         158
        .size:           2
        .value_kind:     hidden_group_size_y
      - .offset:         160
        .size:           2
        .value_kind:     hidden_group_size_z
      - .offset:         162
        .size:           2
        .value_kind:     hidden_remainder_x
      - .offset:         164
        .size:           2
        .value_kind:     hidden_remainder_y
      - .offset:         166
        .size:           2
        .value_kind:     hidden_remainder_z
      - .offset:         184
        .size:           8
        .value_kind:     hidden_global_offset_x
      - .offset:         192
        .size:           8
        .value_kind:     hidden_global_offset_y
      - .offset:         200
        .size:           8
        .value_kind:     hidden_global_offset_z
      - .offset:         208
        .size:           2
        .value_kind:     hidden_grid_dims
      - .offset:         224
        .size:           8
        .value_kind:     hidden_hostcall_buffer
    .group_segment_fixed_size: 0
    .kernarg_segment_align: 8
    .kernarg_segment_size: 400
    .language:       OpenCL C
    .language_version:
      - 2
      - 0
    .max_flat_workgroup_size: 256
    .name:           _Z38paged_attention_ll4mi_QKV_mfma4_kernelIDF16_hLN4vllm18Fp8KVCacheDataTypeE1EhLi16ELi64ELi256ELb0ELi3EEvPKT_PKT0_S7_ifPKiS9_S9_iPKfiiiPfSC_PS2_PT2_iSB_SB_
    .private_segment_fixed_size: 64
    .sgpr_count:     36
    .sgpr_spill_count: 0
    .symbol:         _Z38paged_attention_ll4mi_QKV_mfma4_kernelIDF16_hLN4vllm18Fp8KVCacheDataTypeE1EhLi16ELi64ELi256ELb0ELi3EEvPKT_PKT0_S7_ifPKiS9_S9_iPKfiiiPfSC_PS2_PT2_iSB_SB_.kd
    .uniform_work_group_size: 1
    .uses_dynamic_stack: false
    .vgpr_count:     41
    .vgpr_spill_count: 0
    .wavefront_size: 32
    .workgroup_processor_mode: 1
  - .args:
      - .actual_access:  read_only
        .address_space:  global
        .offset:         0
        .size:           8
        .value_kind:     global_buffer
      - .actual_access:  read_only
        .address_space:  global
        .offset:         8
        .size:           8
        .value_kind:     global_buffer
      - .actual_access:  read_only
        .address_space:  global
        .offset:         16
        .size:           8
        .value_kind:     global_buffer
      - .offset:         24
        .size:           4
        .value_kind:     by_value
      - .offset:         28
        .size:           4
        .value_kind:     by_value
      - .actual_access:  read_only
        .address_space:  global
        .offset:         32
        .size:           8
        .value_kind:     global_buffer
      - .actual_access:  read_only
        .address_space:  global
        .offset:         40
        .size:           8
        .value_kind:     global_buffer
      - .actual_access:  read_only
        .address_space:  global
        .offset:         48
        .size:           8
        .value_kind:     global_buffer
      - .offset:         56
        .size:           4
        .value_kind:     by_value
      - .actual_access:  read_only
        .address_space:  global
        .offset:         64
        .size:           8
        .value_kind:     global_buffer
      - .offset:         72
        .size:           4
        .value_kind:     by_value
      - .offset:         76
        .size:           4
        .value_kind:     by_value
      - .offset:         80
        .size:           4
        .value_kind:     by_value
      - .actual_access:  read_only
        .address_space:  global
        .offset:         88
        .size:           8
        .value_kind:     global_buffer
      - .actual_access:  read_only
        .address_space:  global
        .offset:         96
        .size:           8
        .value_kind:     global_buffer
      - .actual_access:  read_only
        .address_space:  global
        .offset:         104
        .size:           8
        .value_kind:     global_buffer
      - .actual_access:  read_only
        .address_space:  global
        .offset:         112
        .size:           8
        .value_kind:     global_buffer
      - .offset:         120
        .size:           4
        .value_kind:     by_value
      - .address_space:  global
        .offset:         128
        .size:           8
        .value_kind:     global_buffer
      - .address_space:  global
        .offset:         136
        .size:           8
        .value_kind:     global_buffer
      - .offset:         144
        .size:           4
        .value_kind:     hidden_block_count_x
      - .offset:         148
        .size:           4
        .value_kind:     hidden_block_count_y
      - .offset:         152
        .size:           4
        .value_kind:     hidden_block_count_z
      - .offset:         156
        .size:           2
        .value_kind:     hidden_group_size_x
      - .offset:         158
        .size:           2
        .value_kind:     hidden_group_size_y
      - .offset:         160
        .size:           2
        .value_kind:     hidden_group_size_z
      - .offset:         162
        .size:           2
        .value_kind:     hidden_remainder_x
      - .offset:         164
        .size:           2
        .value_kind:     hidden_remainder_y
      - .offset:         166
        .size:           2
        .value_kind:     hidden_remainder_z
      - .offset:         184
        .size:           8
        .value_kind:     hidden_global_offset_x
      - .offset:         192
        .size:           8
        .value_kind:     hidden_global_offset_y
      - .offset:         200
        .size:           8
        .value_kind:     hidden_global_offset_z
      - .offset:         208
        .size:           2
        .value_kind:     hidden_grid_dims
      - .offset:         224
        .size:           8
        .value_kind:     hidden_hostcall_buffer
    .group_segment_fixed_size: 0
    .kernarg_segment_align: 8
    .kernarg_segment_size: 400
    .language:       OpenCL C
    .language_version:
      - 2
      - 0
    .max_flat_workgroup_size: 256
    .name:           _Z38paged_attention_ll4mi_QKV_mfma4_kernelIDF16_hLN4vllm18Fp8KVCacheDataTypeE1EhLi16ELi64ELi256ELb0ELi4EEvPKT_PKT0_S7_ifPKiS9_S9_iPKfiiiPfSC_PS2_PT2_iSB_SB_
    .private_segment_fixed_size: 64
    .sgpr_count:     36
    .sgpr_spill_count: 0
    .symbol:         _Z38paged_attention_ll4mi_QKV_mfma4_kernelIDF16_hLN4vllm18Fp8KVCacheDataTypeE1EhLi16ELi64ELi256ELb0ELi4EEvPKT_PKT0_S7_ifPKiS9_S9_iPKfiiiPfSC_PS2_PT2_iSB_SB_.kd
    .uniform_work_group_size: 1
    .uses_dynamic_stack: false
    .vgpr_count:     41
    .vgpr_spill_count: 0
    .wavefront_size: 32
    .workgroup_processor_mode: 1
  - .args:
      - .actual_access:  read_only
        .address_space:  global
        .offset:         0
        .size:           8
        .value_kind:     global_buffer
      - .actual_access:  read_only
        .address_space:  global
        .offset:         8
        .size:           8
        .value_kind:     global_buffer
      - .actual_access:  read_only
        .address_space:  global
        .offset:         16
        .size:           8
        .value_kind:     global_buffer
      - .offset:         24
        .size:           4
        .value_kind:     by_value
      - .offset:         28
        .size:           4
        .value_kind:     by_value
      - .actual_access:  read_only
        .address_space:  global
        .offset:         32
        .size:           8
        .value_kind:     global_buffer
      - .actual_access:  read_only
        .address_space:  global
        .offset:         40
        .size:           8
        .value_kind:     global_buffer
      - .actual_access:  read_only
        .address_space:  global
        .offset:         48
        .size:           8
        .value_kind:     global_buffer
      - .offset:         56
        .size:           4
        .value_kind:     by_value
      - .actual_access:  read_only
        .address_space:  global
        .offset:         64
        .size:           8
        .value_kind:     global_buffer
      - .offset:         72
        .size:           4
        .value_kind:     by_value
      - .offset:         76
        .size:           4
        .value_kind:     by_value
      - .offset:         80
        .size:           4
        .value_kind:     by_value
      - .actual_access:  write_only
        .address_space:  global
        .offset:         88
        .size:           8
        .value_kind:     global_buffer
      - .actual_access:  write_only
        .address_space:  global
        .offset:         96
        .size:           8
        .value_kind:     global_buffer
      - .actual_access:  write_only
        .address_space:  global
        .offset:         104
        .size:           8
        .value_kind:     global_buffer
      - .actual_access:  read_only
        .address_space:  global
        .offset:         112
        .size:           8
        .value_kind:     global_buffer
      - .offset:         120
        .size:           4
        .value_kind:     by_value
      - .address_space:  global
        .offset:         128
        .size:           8
        .value_kind:     global_buffer
      - .address_space:  global
        .offset:         136
        .size:           8
        .value_kind:     global_buffer
      - .offset:         144
        .size:           4
        .value_kind:     hidden_block_count_x
      - .offset:         148
        .size:           4
        .value_kind:     hidden_block_count_y
      - .offset:         152
        .size:           4
        .value_kind:     hidden_block_count_z
      - .offset:         156
        .size:           2
        .value_kind:     hidden_group_size_x
      - .offset:         158
        .size:           2
        .value_kind:     hidden_group_size_y
      - .offset:         160
        .size:           2
        .value_kind:     hidden_group_size_z
      - .offset:         162
        .size:           2
        .value_kind:     hidden_remainder_x
      - .offset:         164
        .size:           2
        .value_kind:     hidden_remainder_y
      - .offset:         166
        .size:           2
        .value_kind:     hidden_remainder_z
      - .offset:         184
        .size:           8
        .value_kind:     hidden_global_offset_x
      - .offset:         192
        .size:           8
        .value_kind:     hidden_global_offset_y
      - .offset:         200
        .size:           8
        .value_kind:     hidden_global_offset_z
      - .offset:         208
        .size:           2
        .value_kind:     hidden_grid_dims
    .group_segment_fixed_size: 17472
    .kernarg_segment_align: 8
    .kernarg_segment_size: 400
    .language:       OpenCL C
    .language_version:
      - 2
      - 0
    .max_flat_workgroup_size: 256
    .name:           _Z39paged_attention_ll4mi_QKV_mfma16_kernelIDF16_hLN4vllm18Fp8KVCacheDataTypeE1EhLi16ELi64ELi256ELb0ELi5EL8MFMAType1EEvPKT_PKT0_S8_ifPKiSA_SA_iPKfiiiPfSD_PS3_PT2_iSC_SC_
    .private_segment_fixed_size: 0
    .sgpr_count:     39
    .sgpr_spill_count: 0
    .symbol:         _Z39paged_attention_ll4mi_QKV_mfma16_kernelIDF16_hLN4vllm18Fp8KVCacheDataTypeE1EhLi16ELi64ELi256ELb0ELi5EL8MFMAType1EEvPKT_PKT0_S8_ifPKiSA_SA_iPKfiiiPfSD_PS3_PT2_iSC_SC_.kd
    .uniform_work_group_size: 1
    .uses_dynamic_stack: false
    .vgpr_count:     146
    .vgpr_spill_count: 0
    .wavefront_size: 32
    .workgroup_processor_mode: 1
  - .args:
      - .actual_access:  read_only
        .address_space:  global
        .offset:         0
        .size:           8
        .value_kind:     global_buffer
      - .actual_access:  read_only
        .address_space:  global
        .offset:         8
        .size:           8
        .value_kind:     global_buffer
      - .actual_access:  read_only
        .address_space:  global
        .offset:         16
        .size:           8
        .value_kind:     global_buffer
      - .offset:         24
        .size:           4
        .value_kind:     by_value
      - .offset:         28
        .size:           4
        .value_kind:     by_value
      - .actual_access:  read_only
        .address_space:  global
        .offset:         32
        .size:           8
        .value_kind:     global_buffer
      - .actual_access:  read_only
        .address_space:  global
        .offset:         40
        .size:           8
        .value_kind:     global_buffer
      - .actual_access:  read_only
        .address_space:  global
        .offset:         48
        .size:           8
        .value_kind:     global_buffer
      - .offset:         56
        .size:           4
        .value_kind:     by_value
      - .actual_access:  read_only
        .address_space:  global
        .offset:         64
        .size:           8
        .value_kind:     global_buffer
      - .offset:         72
        .size:           4
        .value_kind:     by_value
      - .offset:         76
        .size:           4
        .value_kind:     by_value
      - .offset:         80
        .size:           4
        .value_kind:     by_value
      - .actual_access:  write_only
        .address_space:  global
        .offset:         88
        .size:           8
        .value_kind:     global_buffer
      - .actual_access:  write_only
        .address_space:  global
        .offset:         96
        .size:           8
        .value_kind:     global_buffer
      - .actual_access:  write_only
        .address_space:  global
        .offset:         104
        .size:           8
        .value_kind:     global_buffer
      - .actual_access:  read_only
        .address_space:  global
        .offset:         112
        .size:           8
        .value_kind:     global_buffer
      - .offset:         120
        .size:           4
        .value_kind:     by_value
      - .address_space:  global
        .offset:         128
        .size:           8
        .value_kind:     global_buffer
      - .address_space:  global
        .offset:         136
        .size:           8
        .value_kind:     global_buffer
      - .offset:         144
        .size:           4
        .value_kind:     hidden_block_count_x
      - .offset:         148
        .size:           4
        .value_kind:     hidden_block_count_y
      - .offset:         152
        .size:           4
        .value_kind:     hidden_block_count_z
      - .offset:         156
        .size:           2
        .value_kind:     hidden_group_size_x
      - .offset:         158
        .size:           2
        .value_kind:     hidden_group_size_y
      - .offset:         160
        .size:           2
        .value_kind:     hidden_group_size_z
      - .offset:         162
        .size:           2
        .value_kind:     hidden_remainder_x
      - .offset:         164
        .size:           2
        .value_kind:     hidden_remainder_y
      - .offset:         166
        .size:           2
        .value_kind:     hidden_remainder_z
      - .offset:         184
        .size:           8
        .value_kind:     hidden_global_offset_x
      - .offset:         192
        .size:           8
        .value_kind:     hidden_global_offset_y
      - .offset:         200
        .size:           8
        .value_kind:     hidden_global_offset_z
      - .offset:         208
        .size:           2
        .value_kind:     hidden_grid_dims
    .group_segment_fixed_size: 17472
    .kernarg_segment_align: 8
    .kernarg_segment_size: 400
    .language:       OpenCL C
    .language_version:
      - 2
      - 0
    .max_flat_workgroup_size: 256
    .name:           _Z39paged_attention_ll4mi_QKV_mfma16_kernelIDF16_hLN4vllm18Fp8KVCacheDataTypeE1EhLi16ELi64ELi256ELb0ELi6EL8MFMAType1EEvPKT_PKT0_S8_ifPKiSA_SA_iPKfiiiPfSD_PS3_PT2_iSC_SC_
    .private_segment_fixed_size: 0
    .sgpr_count:     38
    .sgpr_spill_count: 0
    .symbol:         _Z39paged_attention_ll4mi_QKV_mfma16_kernelIDF16_hLN4vllm18Fp8KVCacheDataTypeE1EhLi16ELi64ELi256ELb0ELi6EL8MFMAType1EEvPKT_PKT0_S8_ifPKiSA_SA_iPKfiiiPfSD_PS3_PT2_iSC_SC_.kd
    .uniform_work_group_size: 1
    .uses_dynamic_stack: false
    .vgpr_count:     146
    .vgpr_spill_count: 0
    .wavefront_size: 32
    .workgroup_processor_mode: 1
  - .args:
      - .actual_access:  read_only
        .address_space:  global
        .offset:         0
        .size:           8
        .value_kind:     global_buffer
      - .actual_access:  read_only
        .address_space:  global
        .offset:         8
        .size:           8
        .value_kind:     global_buffer
      - .actual_access:  read_only
        .address_space:  global
        .offset:         16
        .size:           8
        .value_kind:     global_buffer
      - .offset:         24
        .size:           4
        .value_kind:     by_value
      - .offset:         28
        .size:           4
        .value_kind:     by_value
      - .actual_access:  read_only
        .address_space:  global
        .offset:         32
        .size:           8
        .value_kind:     global_buffer
      - .actual_access:  read_only
        .address_space:  global
        .offset:         40
        .size:           8
        .value_kind:     global_buffer
      - .actual_access:  read_only
        .address_space:  global
        .offset:         48
        .size:           8
        .value_kind:     global_buffer
      - .offset:         56
        .size:           4
        .value_kind:     by_value
      - .actual_access:  read_only
        .address_space:  global
        .offset:         64
        .size:           8
        .value_kind:     global_buffer
      - .offset:         72
        .size:           4
        .value_kind:     by_value
      - .offset:         76
        .size:           4
        .value_kind:     by_value
      - .offset:         80
        .size:           4
        .value_kind:     by_value
      - .actual_access:  write_only
        .address_space:  global
        .offset:         88
        .size:           8
        .value_kind:     global_buffer
      - .actual_access:  write_only
        .address_space:  global
        .offset:         96
        .size:           8
        .value_kind:     global_buffer
      - .actual_access:  write_only
        .address_space:  global
        .offset:         104
        .size:           8
        .value_kind:     global_buffer
      - .actual_access:  read_only
        .address_space:  global
        .offset:         112
        .size:           8
        .value_kind:     global_buffer
      - .offset:         120
        .size:           4
        .value_kind:     by_value
      - .address_space:  global
        .offset:         128
        .size:           8
        .value_kind:     global_buffer
      - .address_space:  global
        .offset:         136
        .size:           8
        .value_kind:     global_buffer
      - .offset:         144
        .size:           4
        .value_kind:     hidden_block_count_x
      - .offset:         148
        .size:           4
        .value_kind:     hidden_block_count_y
      - .offset:         152
        .size:           4
        .value_kind:     hidden_block_count_z
      - .offset:         156
        .size:           2
        .value_kind:     hidden_group_size_x
      - .offset:         158
        .size:           2
        .value_kind:     hidden_group_size_y
      - .offset:         160
        .size:           2
        .value_kind:     hidden_group_size_z
      - .offset:         162
        .size:           2
        .value_kind:     hidden_remainder_x
      - .offset:         164
        .size:           2
        .value_kind:     hidden_remainder_y
      - .offset:         166
        .size:           2
        .value_kind:     hidden_remainder_z
      - .offset:         184
        .size:           8
        .value_kind:     hidden_global_offset_x
      - .offset:         192
        .size:           8
        .value_kind:     hidden_global_offset_y
      - .offset:         200
        .size:           8
        .value_kind:     hidden_global_offset_z
      - .offset:         208
        .size:           2
        .value_kind:     hidden_grid_dims
    .group_segment_fixed_size: 17472
    .kernarg_segment_align: 8
    .kernarg_segment_size: 400
    .language:       OpenCL C
    .language_version:
      - 2
      - 0
    .max_flat_workgroup_size: 256
    .name:           _Z39paged_attention_ll4mi_QKV_mfma16_kernelIDF16_hLN4vllm18Fp8KVCacheDataTypeE1EhLi16ELi64ELi256ELb0ELi7EL8MFMAType1EEvPKT_PKT0_S8_ifPKiSA_SA_iPKfiiiPfSD_PS3_PT2_iSC_SC_
    .private_segment_fixed_size: 0
    .sgpr_count:     39
    .sgpr_spill_count: 0
    .symbol:         _Z39paged_attention_ll4mi_QKV_mfma16_kernelIDF16_hLN4vllm18Fp8KVCacheDataTypeE1EhLi16ELi64ELi256ELb0ELi7EL8MFMAType1EEvPKT_PKT0_S8_ifPKiSA_SA_iPKfiiiPfSD_PS3_PT2_iSC_SC_.kd
    .uniform_work_group_size: 1
    .uses_dynamic_stack: false
    .vgpr_count:     146
    .vgpr_spill_count: 0
    .wavefront_size: 32
    .workgroup_processor_mode: 1
  - .args:
      - .actual_access:  read_only
        .address_space:  global
        .offset:         0
        .size:           8
        .value_kind:     global_buffer
      - .actual_access:  read_only
        .address_space:  global
        .offset:         8
        .size:           8
        .value_kind:     global_buffer
      - .actual_access:  read_only
        .address_space:  global
        .offset:         16
        .size:           8
        .value_kind:     global_buffer
      - .offset:         24
        .size:           4
        .value_kind:     by_value
      - .offset:         28
        .size:           4
        .value_kind:     by_value
      - .actual_access:  read_only
        .address_space:  global
        .offset:         32
        .size:           8
        .value_kind:     global_buffer
      - .actual_access:  read_only
        .address_space:  global
        .offset:         40
        .size:           8
        .value_kind:     global_buffer
      - .actual_access:  read_only
        .address_space:  global
        .offset:         48
        .size:           8
        .value_kind:     global_buffer
      - .offset:         56
        .size:           4
        .value_kind:     by_value
      - .actual_access:  read_only
        .address_space:  global
        .offset:         64
        .size:           8
        .value_kind:     global_buffer
      - .offset:         72
        .size:           4
        .value_kind:     by_value
      - .offset:         76
        .size:           4
        .value_kind:     by_value
      - .offset:         80
        .size:           4
        .value_kind:     by_value
      - .actual_access:  write_only
        .address_space:  global
        .offset:         88
        .size:           8
        .value_kind:     global_buffer
      - .actual_access:  write_only
        .address_space:  global
        .offset:         96
        .size:           8
        .value_kind:     global_buffer
      - .actual_access:  write_only
        .address_space:  global
        .offset:         104
        .size:           8
        .value_kind:     global_buffer
      - .actual_access:  read_only
        .address_space:  global
        .offset:         112
        .size:           8
        .value_kind:     global_buffer
      - .offset:         120
        .size:           4
        .value_kind:     by_value
      - .address_space:  global
        .offset:         128
        .size:           8
        .value_kind:     global_buffer
      - .address_space:  global
        .offset:         136
        .size:           8
        .value_kind:     global_buffer
      - .offset:         144
        .size:           4
        .value_kind:     hidden_block_count_x
      - .offset:         148
        .size:           4
        .value_kind:     hidden_block_count_y
      - .offset:         152
        .size:           4
        .value_kind:     hidden_block_count_z
      - .offset:         156
        .size:           2
        .value_kind:     hidden_group_size_x
      - .offset:         158
        .size:           2
        .value_kind:     hidden_group_size_y
      - .offset:         160
        .size:           2
        .value_kind:     hidden_group_size_z
      - .offset:         162
        .size:           2
        .value_kind:     hidden_remainder_x
      - .offset:         164
        .size:           2
        .value_kind:     hidden_remainder_y
      - .offset:         166
        .size:           2
        .value_kind:     hidden_remainder_z
      - .offset:         184
        .size:           8
        .value_kind:     hidden_global_offset_x
      - .offset:         192
        .size:           8
        .value_kind:     hidden_global_offset_y
      - .offset:         200
        .size:           8
        .value_kind:     hidden_global_offset_z
      - .offset:         208
        .size:           2
        .value_kind:     hidden_grid_dims
    .group_segment_fixed_size: 17472
    .kernarg_segment_align: 8
    .kernarg_segment_size: 400
    .language:       OpenCL C
    .language_version:
      - 2
      - 0
    .max_flat_workgroup_size: 256
    .name:           _Z39paged_attention_ll4mi_QKV_mfma16_kernelIDF16_hLN4vllm18Fp8KVCacheDataTypeE1EhLi16ELi64ELi256ELb0ELi8EL8MFMAType1EEvPKT_PKT0_S8_ifPKiSA_SA_iPKfiiiPfSD_PS3_PT2_iSC_SC_
    .private_segment_fixed_size: 0
    .sgpr_count:     42
    .sgpr_spill_count: 0
    .symbol:         _Z39paged_attention_ll4mi_QKV_mfma16_kernelIDF16_hLN4vllm18Fp8KVCacheDataTypeE1EhLi16ELi64ELi256ELb0ELi8EL8MFMAType1EEvPKT_PKT0_S8_ifPKiSA_SA_iPKfiiiPfSD_PS3_PT2_iSC_SC_.kd
    .uniform_work_group_size: 1
    .uses_dynamic_stack: false
    .vgpr_count:     123
    .vgpr_spill_count: 0
    .wavefront_size: 32
    .workgroup_processor_mode: 1
  - .args:
      - .actual_access:  read_only
        .address_space:  global
        .offset:         0
        .size:           8
        .value_kind:     global_buffer
      - .actual_access:  read_only
        .address_space:  global
        .offset:         8
        .size:           8
        .value_kind:     global_buffer
      - .actual_access:  read_only
        .address_space:  global
        .offset:         16
        .size:           8
        .value_kind:     global_buffer
      - .offset:         24
        .size:           4
        .value_kind:     by_value
      - .offset:         28
        .size:           4
        .value_kind:     by_value
      - .actual_access:  read_only
        .address_space:  global
        .offset:         32
        .size:           8
        .value_kind:     global_buffer
      - .actual_access:  read_only
        .address_space:  global
        .offset:         40
        .size:           8
        .value_kind:     global_buffer
      - .actual_access:  read_only
        .address_space:  global
        .offset:         48
        .size:           8
        .value_kind:     global_buffer
      - .offset:         56
        .size:           4
        .value_kind:     by_value
      - .actual_access:  read_only
        .address_space:  global
        .offset:         64
        .size:           8
        .value_kind:     global_buffer
      - .offset:         72
        .size:           4
        .value_kind:     by_value
      - .offset:         76
        .size:           4
        .value_kind:     by_value
      - .offset:         80
        .size:           4
        .value_kind:     by_value
      - .actual_access:  write_only
        .address_space:  global
        .offset:         88
        .size:           8
        .value_kind:     global_buffer
      - .actual_access:  write_only
        .address_space:  global
        .offset:         96
        .size:           8
        .value_kind:     global_buffer
      - .actual_access:  write_only
        .address_space:  global
        .offset:         104
        .size:           8
        .value_kind:     global_buffer
      - .actual_access:  read_only
        .address_space:  global
        .offset:         112
        .size:           8
        .value_kind:     global_buffer
      - .offset:         120
        .size:           4
        .value_kind:     by_value
      - .address_space:  global
        .offset:         128
        .size:           8
        .value_kind:     global_buffer
      - .address_space:  global
        .offset:         136
        .size:           8
        .value_kind:     global_buffer
      - .offset:         144
        .size:           4
        .value_kind:     hidden_block_count_x
      - .offset:         148
        .size:           4
        .value_kind:     hidden_block_count_y
      - .offset:         152
        .size:           4
        .value_kind:     hidden_block_count_z
      - .offset:         156
        .size:           2
        .value_kind:     hidden_group_size_x
      - .offset:         158
        .size:           2
        .value_kind:     hidden_group_size_y
      - .offset:         160
        .size:           2
        .value_kind:     hidden_group_size_z
      - .offset:         162
        .size:           2
        .value_kind:     hidden_remainder_x
      - .offset:         164
        .size:           2
        .value_kind:     hidden_remainder_y
      - .offset:         166
        .size:           2
        .value_kind:     hidden_remainder_z
      - .offset:         184
        .size:           8
        .value_kind:     hidden_global_offset_x
      - .offset:         192
        .size:           8
        .value_kind:     hidden_global_offset_y
      - .offset:         200
        .size:           8
        .value_kind:     hidden_global_offset_z
      - .offset:         208
        .size:           2
        .value_kind:     hidden_grid_dims
    .group_segment_fixed_size: 17472
    .kernarg_segment_align: 8
    .kernarg_segment_size: 400
    .language:       OpenCL C
    .language_version:
      - 2
      - 0
    .max_flat_workgroup_size: 256
    .name:           _Z39paged_attention_ll4mi_QKV_mfma16_kernelIDF16_hLN4vllm18Fp8KVCacheDataTypeE1EhLi16ELi64ELi256ELb0ELi9EL8MFMAType1EEvPKT_PKT0_S8_ifPKiSA_SA_iPKfiiiPfSD_PS3_PT2_iSC_SC_
    .private_segment_fixed_size: 0
    .sgpr_count:     39
    .sgpr_spill_count: 0
    .symbol:         _Z39paged_attention_ll4mi_QKV_mfma16_kernelIDF16_hLN4vllm18Fp8KVCacheDataTypeE1EhLi16ELi64ELi256ELb0ELi9EL8MFMAType1EEvPKT_PKT0_S8_ifPKiSA_SA_iPKfiiiPfSD_PS3_PT2_iSC_SC_.kd
    .uniform_work_group_size: 1
    .uses_dynamic_stack: false
    .vgpr_count:     146
    .vgpr_spill_count: 0
    .wavefront_size: 32
    .workgroup_processor_mode: 1
  - .args:
      - .actual_access:  read_only
        .address_space:  global
        .offset:         0
        .size:           8
        .value_kind:     global_buffer
      - .actual_access:  read_only
        .address_space:  global
        .offset:         8
        .size:           8
        .value_kind:     global_buffer
      - .actual_access:  read_only
        .address_space:  global
        .offset:         16
        .size:           8
        .value_kind:     global_buffer
      - .offset:         24
        .size:           4
        .value_kind:     by_value
      - .offset:         28
        .size:           4
        .value_kind:     by_value
      - .actual_access:  read_only
        .address_space:  global
        .offset:         32
        .size:           8
        .value_kind:     global_buffer
      - .actual_access:  read_only
        .address_space:  global
        .offset:         40
        .size:           8
        .value_kind:     global_buffer
      - .actual_access:  read_only
        .address_space:  global
        .offset:         48
        .size:           8
        .value_kind:     global_buffer
      - .offset:         56
        .size:           4
        .value_kind:     by_value
      - .actual_access:  read_only
        .address_space:  global
        .offset:         64
        .size:           8
        .value_kind:     global_buffer
      - .offset:         72
        .size:           4
        .value_kind:     by_value
      - .offset:         76
        .size:           4
        .value_kind:     by_value
      - .offset:         80
        .size:           4
        .value_kind:     by_value
      - .actual_access:  write_only
        .address_space:  global
        .offset:         88
        .size:           8
        .value_kind:     global_buffer
      - .actual_access:  write_only
        .address_space:  global
        .offset:         96
        .size:           8
        .value_kind:     global_buffer
      - .actual_access:  write_only
        .address_space:  global
        .offset:         104
        .size:           8
        .value_kind:     global_buffer
      - .actual_access:  read_only
        .address_space:  global
        .offset:         112
        .size:           8
        .value_kind:     global_buffer
      - .offset:         120
        .size:           4
        .value_kind:     by_value
      - .address_space:  global
        .offset:         128
        .size:           8
        .value_kind:     global_buffer
      - .address_space:  global
        .offset:         136
        .size:           8
        .value_kind:     global_buffer
      - .offset:         144
        .size:           4
        .value_kind:     hidden_block_count_x
      - .offset:         148
        .size:           4
        .value_kind:     hidden_block_count_y
      - .offset:         152
        .size:           4
        .value_kind:     hidden_block_count_z
      - .offset:         156
        .size:           2
        .value_kind:     hidden_group_size_x
      - .offset:         158
        .size:           2
        .value_kind:     hidden_group_size_y
      - .offset:         160
        .size:           2
        .value_kind:     hidden_group_size_z
      - .offset:         162
        .size:           2
        .value_kind:     hidden_remainder_x
      - .offset:         164
        .size:           2
        .value_kind:     hidden_remainder_y
      - .offset:         166
        .size:           2
        .value_kind:     hidden_remainder_z
      - .offset:         184
        .size:           8
        .value_kind:     hidden_global_offset_x
      - .offset:         192
        .size:           8
        .value_kind:     hidden_global_offset_y
      - .offset:         200
        .size:           8
        .value_kind:     hidden_global_offset_z
      - .offset:         208
        .size:           2
        .value_kind:     hidden_grid_dims
    .group_segment_fixed_size: 17472
    .kernarg_segment_align: 8
    .kernarg_segment_size: 400
    .language:       OpenCL C
    .language_version:
      - 2
      - 0
    .max_flat_workgroup_size: 256
    .name:           _Z39paged_attention_ll4mi_QKV_mfma16_kernelIDF16_hLN4vllm18Fp8KVCacheDataTypeE1EhLi16ELi64ELi256ELb0ELi10EL8MFMAType1EEvPKT_PKT0_S8_ifPKiSA_SA_iPKfiiiPfSD_PS3_PT2_iSC_SC_
    .private_segment_fixed_size: 0
    .sgpr_count:     38
    .sgpr_spill_count: 0
    .symbol:         _Z39paged_attention_ll4mi_QKV_mfma16_kernelIDF16_hLN4vllm18Fp8KVCacheDataTypeE1EhLi16ELi64ELi256ELb0ELi10EL8MFMAType1EEvPKT_PKT0_S8_ifPKiSA_SA_iPKfiiiPfSD_PS3_PT2_iSC_SC_.kd
    .uniform_work_group_size: 1
    .uses_dynamic_stack: false
    .vgpr_count:     146
    .vgpr_spill_count: 0
    .wavefront_size: 32
    .workgroup_processor_mode: 1
  - .args:
      - .actual_access:  read_only
        .address_space:  global
        .offset:         0
        .size:           8
        .value_kind:     global_buffer
      - .actual_access:  read_only
        .address_space:  global
        .offset:         8
        .size:           8
        .value_kind:     global_buffer
      - .actual_access:  read_only
        .address_space:  global
        .offset:         16
        .size:           8
        .value_kind:     global_buffer
      - .offset:         24
        .size:           4
        .value_kind:     by_value
      - .offset:         28
        .size:           4
        .value_kind:     by_value
      - .actual_access:  read_only
        .address_space:  global
        .offset:         32
        .size:           8
        .value_kind:     global_buffer
      - .actual_access:  read_only
        .address_space:  global
        .offset:         40
        .size:           8
        .value_kind:     global_buffer
      - .actual_access:  read_only
        .address_space:  global
        .offset:         48
        .size:           8
        .value_kind:     global_buffer
      - .offset:         56
        .size:           4
        .value_kind:     by_value
      - .actual_access:  read_only
        .address_space:  global
        .offset:         64
        .size:           8
        .value_kind:     global_buffer
      - .offset:         72
        .size:           4
        .value_kind:     by_value
      - .offset:         76
        .size:           4
        .value_kind:     by_value
      - .offset:         80
        .size:           4
        .value_kind:     by_value
      - .actual_access:  write_only
        .address_space:  global
        .offset:         88
        .size:           8
        .value_kind:     global_buffer
      - .actual_access:  write_only
        .address_space:  global
        .offset:         96
        .size:           8
        .value_kind:     global_buffer
      - .actual_access:  write_only
        .address_space:  global
        .offset:         104
        .size:           8
        .value_kind:     global_buffer
      - .actual_access:  read_only
        .address_space:  global
        .offset:         112
        .size:           8
        .value_kind:     global_buffer
      - .offset:         120
        .size:           4
        .value_kind:     by_value
      - .address_space:  global
        .offset:         128
        .size:           8
        .value_kind:     global_buffer
      - .address_space:  global
        .offset:         136
        .size:           8
        .value_kind:     global_buffer
      - .offset:         144
        .size:           4
        .value_kind:     hidden_block_count_x
      - .offset:         148
        .size:           4
        .value_kind:     hidden_block_count_y
      - .offset:         152
        .size:           4
        .value_kind:     hidden_block_count_z
      - .offset:         156
        .size:           2
        .value_kind:     hidden_group_size_x
      - .offset:         158
        .size:           2
        .value_kind:     hidden_group_size_y
      - .offset:         160
        .size:           2
        .value_kind:     hidden_group_size_z
      - .offset:         162
        .size:           2
        .value_kind:     hidden_remainder_x
      - .offset:         164
        .size:           2
        .value_kind:     hidden_remainder_y
      - .offset:         166
        .size:           2
        .value_kind:     hidden_remainder_z
      - .offset:         184
        .size:           8
        .value_kind:     hidden_global_offset_x
      - .offset:         192
        .size:           8
        .value_kind:     hidden_global_offset_y
      - .offset:         200
        .size:           8
        .value_kind:     hidden_global_offset_z
      - .offset:         208
        .size:           2
        .value_kind:     hidden_grid_dims
    .group_segment_fixed_size: 17472
    .kernarg_segment_align: 8
    .kernarg_segment_size: 400
    .language:       OpenCL C
    .language_version:
      - 2
      - 0
    .max_flat_workgroup_size: 256
    .name:           _Z39paged_attention_ll4mi_QKV_mfma16_kernelIDF16_hLN4vllm18Fp8KVCacheDataTypeE1EhLi16ELi64ELi256ELb0ELi11EL8MFMAType1EEvPKT_PKT0_S8_ifPKiSA_SA_iPKfiiiPfSD_PS3_PT2_iSC_SC_
    .private_segment_fixed_size: 0
    .sgpr_count:     39
    .sgpr_spill_count: 0
    .symbol:         _Z39paged_attention_ll4mi_QKV_mfma16_kernelIDF16_hLN4vllm18Fp8KVCacheDataTypeE1EhLi16ELi64ELi256ELb0ELi11EL8MFMAType1EEvPKT_PKT0_S8_ifPKiSA_SA_iPKfiiiPfSD_PS3_PT2_iSC_SC_.kd
    .uniform_work_group_size: 1
    .uses_dynamic_stack: false
    .vgpr_count:     146
    .vgpr_spill_count: 0
    .wavefront_size: 32
    .workgroup_processor_mode: 1
  - .args:
      - .actual_access:  read_only
        .address_space:  global
        .offset:         0
        .size:           8
        .value_kind:     global_buffer
      - .actual_access:  read_only
        .address_space:  global
        .offset:         8
        .size:           8
        .value_kind:     global_buffer
      - .actual_access:  read_only
        .address_space:  global
        .offset:         16
        .size:           8
        .value_kind:     global_buffer
      - .offset:         24
        .size:           4
        .value_kind:     by_value
      - .offset:         28
        .size:           4
        .value_kind:     by_value
      - .actual_access:  read_only
        .address_space:  global
        .offset:         32
        .size:           8
        .value_kind:     global_buffer
      - .actual_access:  read_only
        .address_space:  global
        .offset:         40
        .size:           8
        .value_kind:     global_buffer
      - .actual_access:  read_only
        .address_space:  global
        .offset:         48
        .size:           8
        .value_kind:     global_buffer
      - .offset:         56
        .size:           4
        .value_kind:     by_value
      - .actual_access:  read_only
        .address_space:  global
        .offset:         64
        .size:           8
        .value_kind:     global_buffer
      - .offset:         72
        .size:           4
        .value_kind:     by_value
      - .offset:         76
        .size:           4
        .value_kind:     by_value
      - .offset:         80
        .size:           4
        .value_kind:     by_value
      - .actual_access:  write_only
        .address_space:  global
        .offset:         88
        .size:           8
        .value_kind:     global_buffer
      - .actual_access:  write_only
        .address_space:  global
        .offset:         96
        .size:           8
        .value_kind:     global_buffer
      - .actual_access:  write_only
        .address_space:  global
        .offset:         104
        .size:           8
        .value_kind:     global_buffer
      - .actual_access:  read_only
        .address_space:  global
        .offset:         112
        .size:           8
        .value_kind:     global_buffer
      - .offset:         120
        .size:           4
        .value_kind:     by_value
      - .address_space:  global
        .offset:         128
        .size:           8
        .value_kind:     global_buffer
      - .address_space:  global
        .offset:         136
        .size:           8
        .value_kind:     global_buffer
      - .offset:         144
        .size:           4
        .value_kind:     hidden_block_count_x
      - .offset:         148
        .size:           4
        .value_kind:     hidden_block_count_y
      - .offset:         152
        .size:           4
        .value_kind:     hidden_block_count_z
      - .offset:         156
        .size:           2
        .value_kind:     hidden_group_size_x
      - .offset:         158
        .size:           2
        .value_kind:     hidden_group_size_y
      - .offset:         160
        .size:           2
        .value_kind:     hidden_group_size_z
      - .offset:         162
        .size:           2
        .value_kind:     hidden_remainder_x
      - .offset:         164
        .size:           2
        .value_kind:     hidden_remainder_y
      - .offset:         166
        .size:           2
        .value_kind:     hidden_remainder_z
      - .offset:         184
        .size:           8
        .value_kind:     hidden_global_offset_x
      - .offset:         192
        .size:           8
        .value_kind:     hidden_global_offset_y
      - .offset:         200
        .size:           8
        .value_kind:     hidden_global_offset_z
      - .offset:         208
        .size:           2
        .value_kind:     hidden_grid_dims
    .group_segment_fixed_size: 17472
    .kernarg_segment_align: 8
    .kernarg_segment_size: 400
    .language:       OpenCL C
    .language_version:
      - 2
      - 0
    .max_flat_workgroup_size: 256
    .name:           _Z39paged_attention_ll4mi_QKV_mfma16_kernelIDF16_hLN4vllm18Fp8KVCacheDataTypeE1EhLi16ELi64ELi256ELb0ELi12EL8MFMAType1EEvPKT_PKT0_S8_ifPKiSA_SA_iPKfiiiPfSD_PS3_PT2_iSC_SC_
    .private_segment_fixed_size: 0
    .sgpr_count:     38
    .sgpr_spill_count: 0
    .symbol:         _Z39paged_attention_ll4mi_QKV_mfma16_kernelIDF16_hLN4vllm18Fp8KVCacheDataTypeE1EhLi16ELi64ELi256ELb0ELi12EL8MFMAType1EEvPKT_PKT0_S8_ifPKiSA_SA_iPKfiiiPfSD_PS3_PT2_iSC_SC_.kd
    .uniform_work_group_size: 1
    .uses_dynamic_stack: false
    .vgpr_count:     146
    .vgpr_spill_count: 0
    .wavefront_size: 32
    .workgroup_processor_mode: 1
  - .args:
      - .actual_access:  read_only
        .address_space:  global
        .offset:         0
        .size:           8
        .value_kind:     global_buffer
      - .actual_access:  read_only
        .address_space:  global
        .offset:         8
        .size:           8
        .value_kind:     global_buffer
      - .actual_access:  read_only
        .address_space:  global
        .offset:         16
        .size:           8
        .value_kind:     global_buffer
      - .offset:         24
        .size:           4
        .value_kind:     by_value
      - .offset:         28
        .size:           4
        .value_kind:     by_value
      - .actual_access:  read_only
        .address_space:  global
        .offset:         32
        .size:           8
        .value_kind:     global_buffer
      - .actual_access:  read_only
        .address_space:  global
        .offset:         40
        .size:           8
        .value_kind:     global_buffer
      - .actual_access:  read_only
        .address_space:  global
        .offset:         48
        .size:           8
        .value_kind:     global_buffer
      - .offset:         56
        .size:           4
        .value_kind:     by_value
      - .actual_access:  read_only
        .address_space:  global
        .offset:         64
        .size:           8
        .value_kind:     global_buffer
      - .offset:         72
        .size:           4
        .value_kind:     by_value
      - .offset:         76
        .size:           4
        .value_kind:     by_value
      - .offset:         80
        .size:           4
        .value_kind:     by_value
      - .actual_access:  write_only
        .address_space:  global
        .offset:         88
        .size:           8
        .value_kind:     global_buffer
      - .actual_access:  write_only
        .address_space:  global
        .offset:         96
        .size:           8
        .value_kind:     global_buffer
      - .actual_access:  write_only
        .address_space:  global
        .offset:         104
        .size:           8
        .value_kind:     global_buffer
      - .actual_access:  read_only
        .address_space:  global
        .offset:         112
        .size:           8
        .value_kind:     global_buffer
      - .offset:         120
        .size:           4
        .value_kind:     by_value
      - .address_space:  global
        .offset:         128
        .size:           8
        .value_kind:     global_buffer
      - .address_space:  global
        .offset:         136
        .size:           8
        .value_kind:     global_buffer
      - .offset:         144
        .size:           4
        .value_kind:     hidden_block_count_x
      - .offset:         148
        .size:           4
        .value_kind:     hidden_block_count_y
      - .offset:         152
        .size:           4
        .value_kind:     hidden_block_count_z
      - .offset:         156
        .size:           2
        .value_kind:     hidden_group_size_x
      - .offset:         158
        .size:           2
        .value_kind:     hidden_group_size_y
      - .offset:         160
        .size:           2
        .value_kind:     hidden_group_size_z
      - .offset:         162
        .size:           2
        .value_kind:     hidden_remainder_x
      - .offset:         164
        .size:           2
        .value_kind:     hidden_remainder_y
      - .offset:         166
        .size:           2
        .value_kind:     hidden_remainder_z
      - .offset:         184
        .size:           8
        .value_kind:     hidden_global_offset_x
      - .offset:         192
        .size:           8
        .value_kind:     hidden_global_offset_y
      - .offset:         200
        .size:           8
        .value_kind:     hidden_global_offset_z
      - .offset:         208
        .size:           2
        .value_kind:     hidden_grid_dims
    .group_segment_fixed_size: 17472
    .kernarg_segment_align: 8
    .kernarg_segment_size: 400
    .language:       OpenCL C
    .language_version:
      - 2
      - 0
    .max_flat_workgroup_size: 256
    .name:           _Z39paged_attention_ll4mi_QKV_mfma16_kernelIDF16_hLN4vllm18Fp8KVCacheDataTypeE1EhLi16ELi64ELi256ELb0ELi13EL8MFMAType1EEvPKT_PKT0_S8_ifPKiSA_SA_iPKfiiiPfSD_PS3_PT2_iSC_SC_
    .private_segment_fixed_size: 0
    .sgpr_count:     39
    .sgpr_spill_count: 0
    .symbol:         _Z39paged_attention_ll4mi_QKV_mfma16_kernelIDF16_hLN4vllm18Fp8KVCacheDataTypeE1EhLi16ELi64ELi256ELb0ELi13EL8MFMAType1EEvPKT_PKT0_S8_ifPKiSA_SA_iPKfiiiPfSD_PS3_PT2_iSC_SC_.kd
    .uniform_work_group_size: 1
    .uses_dynamic_stack: false
    .vgpr_count:     146
    .vgpr_spill_count: 0
    .wavefront_size: 32
    .workgroup_processor_mode: 1
  - .args:
      - .actual_access:  read_only
        .address_space:  global
        .offset:         0
        .size:           8
        .value_kind:     global_buffer
      - .actual_access:  read_only
        .address_space:  global
        .offset:         8
        .size:           8
        .value_kind:     global_buffer
      - .actual_access:  read_only
        .address_space:  global
        .offset:         16
        .size:           8
        .value_kind:     global_buffer
      - .offset:         24
        .size:           4
        .value_kind:     by_value
      - .offset:         28
        .size:           4
        .value_kind:     by_value
      - .actual_access:  read_only
        .address_space:  global
        .offset:         32
        .size:           8
        .value_kind:     global_buffer
      - .actual_access:  read_only
        .address_space:  global
        .offset:         40
        .size:           8
        .value_kind:     global_buffer
      - .actual_access:  read_only
        .address_space:  global
        .offset:         48
        .size:           8
        .value_kind:     global_buffer
      - .offset:         56
        .size:           4
        .value_kind:     by_value
      - .actual_access:  read_only
        .address_space:  global
        .offset:         64
        .size:           8
        .value_kind:     global_buffer
      - .offset:         72
        .size:           4
        .value_kind:     by_value
      - .offset:         76
        .size:           4
        .value_kind:     by_value
      - .offset:         80
        .size:           4
        .value_kind:     by_value
      - .actual_access:  write_only
        .address_space:  global
        .offset:         88
        .size:           8
        .value_kind:     global_buffer
      - .actual_access:  write_only
        .address_space:  global
        .offset:         96
        .size:           8
        .value_kind:     global_buffer
      - .actual_access:  write_only
        .address_space:  global
        .offset:         104
        .size:           8
        .value_kind:     global_buffer
      - .actual_access:  read_only
        .address_space:  global
        .offset:         112
        .size:           8
        .value_kind:     global_buffer
      - .offset:         120
        .size:           4
        .value_kind:     by_value
      - .address_space:  global
        .offset:         128
        .size:           8
        .value_kind:     global_buffer
      - .address_space:  global
        .offset:         136
        .size:           8
        .value_kind:     global_buffer
      - .offset:         144
        .size:           4
        .value_kind:     hidden_block_count_x
      - .offset:         148
        .size:           4
        .value_kind:     hidden_block_count_y
      - .offset:         152
        .size:           4
        .value_kind:     hidden_block_count_z
      - .offset:         156
        .size:           2
        .value_kind:     hidden_group_size_x
      - .offset:         158
        .size:           2
        .value_kind:     hidden_group_size_y
      - .offset:         160
        .size:           2
        .value_kind:     hidden_group_size_z
      - .offset:         162
        .size:           2
        .value_kind:     hidden_remainder_x
      - .offset:         164
        .size:           2
        .value_kind:     hidden_remainder_y
      - .offset:         166
        .size:           2
        .value_kind:     hidden_remainder_z
      - .offset:         184
        .size:           8
        .value_kind:     hidden_global_offset_x
      - .offset:         192
        .size:           8
        .value_kind:     hidden_global_offset_y
      - .offset:         200
        .size:           8
        .value_kind:     hidden_global_offset_z
      - .offset:         208
        .size:           2
        .value_kind:     hidden_grid_dims
    .group_segment_fixed_size: 17472
    .kernarg_segment_align: 8
    .kernarg_segment_size: 400
    .language:       OpenCL C
    .language_version:
      - 2
      - 0
    .max_flat_workgroup_size: 256
    .name:           _Z39paged_attention_ll4mi_QKV_mfma16_kernelIDF16_hLN4vllm18Fp8KVCacheDataTypeE1EhLi16ELi64ELi256ELb0ELi14EL8MFMAType1EEvPKT_PKT0_S8_ifPKiSA_SA_iPKfiiiPfSD_PS3_PT2_iSC_SC_
    .private_segment_fixed_size: 0
    .sgpr_count:     38
    .sgpr_spill_count: 0
    .symbol:         _Z39paged_attention_ll4mi_QKV_mfma16_kernelIDF16_hLN4vllm18Fp8KVCacheDataTypeE1EhLi16ELi64ELi256ELb0ELi14EL8MFMAType1EEvPKT_PKT0_S8_ifPKiSA_SA_iPKfiiiPfSD_PS3_PT2_iSC_SC_.kd
    .uniform_work_group_size: 1
    .uses_dynamic_stack: false
    .vgpr_count:     146
    .vgpr_spill_count: 0
    .wavefront_size: 32
    .workgroup_processor_mode: 1
  - .args:
      - .actual_access:  read_only
        .address_space:  global
        .offset:         0
        .size:           8
        .value_kind:     global_buffer
      - .actual_access:  read_only
        .address_space:  global
        .offset:         8
        .size:           8
        .value_kind:     global_buffer
      - .actual_access:  read_only
        .address_space:  global
        .offset:         16
        .size:           8
        .value_kind:     global_buffer
      - .offset:         24
        .size:           4
        .value_kind:     by_value
      - .offset:         28
        .size:           4
        .value_kind:     by_value
      - .actual_access:  read_only
        .address_space:  global
        .offset:         32
        .size:           8
        .value_kind:     global_buffer
      - .actual_access:  read_only
        .address_space:  global
        .offset:         40
        .size:           8
        .value_kind:     global_buffer
      - .actual_access:  read_only
        .address_space:  global
        .offset:         48
        .size:           8
        .value_kind:     global_buffer
      - .offset:         56
        .size:           4
        .value_kind:     by_value
      - .actual_access:  read_only
        .address_space:  global
        .offset:         64
        .size:           8
        .value_kind:     global_buffer
      - .offset:         72
        .size:           4
        .value_kind:     by_value
      - .offset:         76
        .size:           4
        .value_kind:     by_value
      - .offset:         80
        .size:           4
        .value_kind:     by_value
      - .actual_access:  write_only
        .address_space:  global
        .offset:         88
        .size:           8
        .value_kind:     global_buffer
      - .actual_access:  write_only
        .address_space:  global
        .offset:         96
        .size:           8
        .value_kind:     global_buffer
      - .actual_access:  write_only
        .address_space:  global
        .offset:         104
        .size:           8
        .value_kind:     global_buffer
      - .actual_access:  read_only
        .address_space:  global
        .offset:         112
        .size:           8
        .value_kind:     global_buffer
      - .offset:         120
        .size:           4
        .value_kind:     by_value
      - .address_space:  global
        .offset:         128
        .size:           8
        .value_kind:     global_buffer
      - .address_space:  global
        .offset:         136
        .size:           8
        .value_kind:     global_buffer
      - .offset:         144
        .size:           4
        .value_kind:     hidden_block_count_x
      - .offset:         148
        .size:           4
        .value_kind:     hidden_block_count_y
      - .offset:         152
        .size:           4
        .value_kind:     hidden_block_count_z
      - .offset:         156
        .size:           2
        .value_kind:     hidden_group_size_x
      - .offset:         158
        .size:           2
        .value_kind:     hidden_group_size_y
      - .offset:         160
        .size:           2
        .value_kind:     hidden_group_size_z
      - .offset:         162
        .size:           2
        .value_kind:     hidden_remainder_x
      - .offset:         164
        .size:           2
        .value_kind:     hidden_remainder_y
      - .offset:         166
        .size:           2
        .value_kind:     hidden_remainder_z
      - .offset:         184
        .size:           8
        .value_kind:     hidden_global_offset_x
      - .offset:         192
        .size:           8
        .value_kind:     hidden_global_offset_y
      - .offset:         200
        .size:           8
        .value_kind:     hidden_global_offset_z
      - .offset:         208
        .size:           2
        .value_kind:     hidden_grid_dims
    .group_segment_fixed_size: 17472
    .kernarg_segment_align: 8
    .kernarg_segment_size: 400
    .language:       OpenCL C
    .language_version:
      - 2
      - 0
    .max_flat_workgroup_size: 256
    .name:           _Z39paged_attention_ll4mi_QKV_mfma16_kernelIDF16_hLN4vllm18Fp8KVCacheDataTypeE1EhLi16ELi64ELi256ELb0ELi15EL8MFMAType1EEvPKT_PKT0_S8_ifPKiSA_SA_iPKfiiiPfSD_PS3_PT2_iSC_SC_
    .private_segment_fixed_size: 0
    .sgpr_count:     39
    .sgpr_spill_count: 0
    .symbol:         _Z39paged_attention_ll4mi_QKV_mfma16_kernelIDF16_hLN4vllm18Fp8KVCacheDataTypeE1EhLi16ELi64ELi256ELb0ELi15EL8MFMAType1EEvPKT_PKT0_S8_ifPKiSA_SA_iPKfiiiPfSD_PS3_PT2_iSC_SC_.kd
    .uniform_work_group_size: 1
    .uses_dynamic_stack: false
    .vgpr_count:     146
    .vgpr_spill_count: 0
    .wavefront_size: 32
    .workgroup_processor_mode: 1
  - .args:
      - .actual_access:  read_only
        .address_space:  global
        .offset:         0
        .size:           8
        .value_kind:     global_buffer
      - .actual_access:  read_only
        .address_space:  global
        .offset:         8
        .size:           8
        .value_kind:     global_buffer
      - .actual_access:  read_only
        .address_space:  global
        .offset:         16
        .size:           8
        .value_kind:     global_buffer
      - .offset:         24
        .size:           4
        .value_kind:     by_value
      - .offset:         28
        .size:           4
        .value_kind:     by_value
      - .actual_access:  read_only
        .address_space:  global
        .offset:         32
        .size:           8
        .value_kind:     global_buffer
      - .actual_access:  read_only
        .address_space:  global
        .offset:         40
        .size:           8
        .value_kind:     global_buffer
      - .actual_access:  read_only
        .address_space:  global
        .offset:         48
        .size:           8
        .value_kind:     global_buffer
      - .offset:         56
        .size:           4
        .value_kind:     by_value
      - .actual_access:  read_only
        .address_space:  global
        .offset:         64
        .size:           8
        .value_kind:     global_buffer
      - .offset:         72
        .size:           4
        .value_kind:     by_value
      - .offset:         76
        .size:           4
        .value_kind:     by_value
      - .offset:         80
        .size:           4
        .value_kind:     by_value
      - .actual_access:  write_only
        .address_space:  global
        .offset:         88
        .size:           8
        .value_kind:     global_buffer
      - .actual_access:  write_only
        .address_space:  global
        .offset:         96
        .size:           8
        .value_kind:     global_buffer
      - .actual_access:  write_only
        .address_space:  global
        .offset:         104
        .size:           8
        .value_kind:     global_buffer
      - .actual_access:  read_only
        .address_space:  global
        .offset:         112
        .size:           8
        .value_kind:     global_buffer
      - .offset:         120
        .size:           4
        .value_kind:     by_value
      - .address_space:  global
        .offset:         128
        .size:           8
        .value_kind:     global_buffer
      - .address_space:  global
        .offset:         136
        .size:           8
        .value_kind:     global_buffer
      - .offset:         144
        .size:           4
        .value_kind:     hidden_block_count_x
      - .offset:         148
        .size:           4
        .value_kind:     hidden_block_count_y
      - .offset:         152
        .size:           4
        .value_kind:     hidden_block_count_z
      - .offset:         156
        .size:           2
        .value_kind:     hidden_group_size_x
      - .offset:         158
        .size:           2
        .value_kind:     hidden_group_size_y
      - .offset:         160
        .size:           2
        .value_kind:     hidden_group_size_z
      - .offset:         162
        .size:           2
        .value_kind:     hidden_remainder_x
      - .offset:         164
        .size:           2
        .value_kind:     hidden_remainder_y
      - .offset:         166
        .size:           2
        .value_kind:     hidden_remainder_z
      - .offset:         184
        .size:           8
        .value_kind:     hidden_global_offset_x
      - .offset:         192
        .size:           8
        .value_kind:     hidden_global_offset_y
      - .offset:         200
        .size:           8
        .value_kind:     hidden_global_offset_z
      - .offset:         208
        .size:           2
        .value_kind:     hidden_grid_dims
    .group_segment_fixed_size: 17472
    .kernarg_segment_align: 8
    .kernarg_segment_size: 400
    .language:       OpenCL C
    .language_version:
      - 2
      - 0
    .max_flat_workgroup_size: 256
    .name:           _Z39paged_attention_ll4mi_QKV_mfma16_kernelIDF16_hLN4vllm18Fp8KVCacheDataTypeE1EhLi16ELi64ELi256ELb0ELi16EL8MFMAType1EEvPKT_PKT0_S8_ifPKiSA_SA_iPKfiiiPfSD_PS3_PT2_iSC_SC_
    .private_segment_fixed_size: 0
    .sgpr_count:     42
    .sgpr_spill_count: 0
    .symbol:         _Z39paged_attention_ll4mi_QKV_mfma16_kernelIDF16_hLN4vllm18Fp8KVCacheDataTypeE1EhLi16ELi64ELi256ELb0ELi16EL8MFMAType1EEvPKT_PKT0_S8_ifPKiSA_SA_iPKfiiiPfSD_PS3_PT2_iSC_SC_.kd
    .uniform_work_group_size: 1
    .uses_dynamic_stack: false
    .vgpr_count:     123
    .vgpr_spill_count: 0
    .wavefront_size: 32
    .workgroup_processor_mode: 1
  - .args:
      - .actual_access:  read_only
        .address_space:  global
        .offset:         0
        .size:           8
        .value_kind:     global_buffer
      - .actual_access:  read_only
        .address_space:  global
        .offset:         8
        .size:           8
        .value_kind:     global_buffer
      - .actual_access:  read_only
        .address_space:  global
        .offset:         16
        .size:           8
        .value_kind:     global_buffer
      - .offset:         24
        .size:           4
        .value_kind:     by_value
      - .offset:         28
        .size:           4
        .value_kind:     by_value
      - .actual_access:  read_only
        .address_space:  global
        .offset:         32
        .size:           8
        .value_kind:     global_buffer
      - .actual_access:  read_only
        .address_space:  global
        .offset:         40
        .size:           8
        .value_kind:     global_buffer
      - .actual_access:  read_only
        .address_space:  global
        .offset:         48
        .size:           8
        .value_kind:     global_buffer
      - .offset:         56
        .size:           4
        .value_kind:     by_value
      - .actual_access:  read_only
        .address_space:  global
        .offset:         64
        .size:           8
        .value_kind:     global_buffer
      - .offset:         72
        .size:           4
        .value_kind:     by_value
      - .offset:         76
        .size:           4
        .value_kind:     by_value
      - .offset:         80
        .size:           4
        .value_kind:     by_value
      - .actual_access:  write_only
        .address_space:  global
        .offset:         88
        .size:           8
        .value_kind:     global_buffer
      - .actual_access:  write_only
        .address_space:  global
        .offset:         96
        .size:           8
        .value_kind:     global_buffer
      - .actual_access:  write_only
        .address_space:  global
        .offset:         104
        .size:           8
        .value_kind:     global_buffer
      - .actual_access:  read_only
        .address_space:  global
        .offset:         112
        .size:           8
        .value_kind:     global_buffer
      - .offset:         120
        .size:           4
        .value_kind:     by_value
      - .address_space:  global
        .offset:         128
        .size:           8
        .value_kind:     global_buffer
      - .address_space:  global
        .offset:         136
        .size:           8
        .value_kind:     global_buffer
      - .offset:         144
        .size:           4
        .value_kind:     hidden_block_count_x
      - .offset:         148
        .size:           4
        .value_kind:     hidden_block_count_y
      - .offset:         152
        .size:           4
        .value_kind:     hidden_block_count_z
      - .offset:         156
        .size:           2
        .value_kind:     hidden_group_size_x
      - .offset:         158
        .size:           2
        .value_kind:     hidden_group_size_y
      - .offset:         160
        .size:           2
        .value_kind:     hidden_group_size_z
      - .offset:         162
        .size:           2
        .value_kind:     hidden_remainder_x
      - .offset:         164
        .size:           2
        .value_kind:     hidden_remainder_y
      - .offset:         166
        .size:           2
        .value_kind:     hidden_remainder_z
      - .offset:         184
        .size:           8
        .value_kind:     hidden_global_offset_x
      - .offset:         192
        .size:           8
        .value_kind:     hidden_global_offset_y
      - .offset:         200
        .size:           8
        .value_kind:     hidden_global_offset_z
      - .offset:         208
        .size:           2
        .value_kind:     hidden_grid_dims
    .group_segment_fixed_size: 17472
    .kernarg_segment_align: 8
    .kernarg_segment_size: 400
    .language:       OpenCL C
    .language_version:
      - 2
      - 0
    .max_flat_workgroup_size: 256
    .name:           _Z39paged_attention_ll4mi_QKV_mfma16_kernelIDF16_hLN4vllm18Fp8KVCacheDataTypeE1EhLi16ELi64ELi256ELb0ELi1EL8MFMAType1EEvPKT_PKT0_S8_ifPKiSA_SA_iPKfiiiPfSD_PS3_PT2_iSC_SC_
    .private_segment_fixed_size: 0
    .sgpr_count:     50
    .sgpr_spill_count: 0
    .symbol:         _Z39paged_attention_ll4mi_QKV_mfma16_kernelIDF16_hLN4vllm18Fp8KVCacheDataTypeE1EhLi16ELi64ELi256ELb0ELi1EL8MFMAType1EEvPKT_PKT0_S8_ifPKiSA_SA_iPKfiiiPfSD_PS3_PT2_iSC_SC_.kd
    .uniform_work_group_size: 1
    .uses_dynamic_stack: false
    .vgpr_count:     144
    .vgpr_spill_count: 0
    .wavefront_size: 32
    .workgroup_processor_mode: 1
  - .args:
      - .actual_access:  read_only
        .address_space:  global
        .offset:         0
        .size:           8
        .value_kind:     global_buffer
      - .actual_access:  read_only
        .address_space:  global
        .offset:         8
        .size:           8
        .value_kind:     global_buffer
      - .actual_access:  read_only
        .address_space:  global
        .offset:         16
        .size:           8
        .value_kind:     global_buffer
      - .offset:         24
        .size:           4
        .value_kind:     by_value
      - .offset:         28
        .size:           4
        .value_kind:     by_value
      - .actual_access:  read_only
        .address_space:  global
        .offset:         32
        .size:           8
        .value_kind:     global_buffer
      - .actual_access:  read_only
        .address_space:  global
        .offset:         40
        .size:           8
        .value_kind:     global_buffer
      - .actual_access:  read_only
        .address_space:  global
        .offset:         48
        .size:           8
        .value_kind:     global_buffer
      - .offset:         56
        .size:           4
        .value_kind:     by_value
      - .actual_access:  read_only
        .address_space:  global
        .offset:         64
        .size:           8
        .value_kind:     global_buffer
      - .offset:         72
        .size:           4
        .value_kind:     by_value
      - .offset:         76
        .size:           4
        .value_kind:     by_value
      - .offset:         80
        .size:           4
        .value_kind:     by_value
      - .actual_access:  write_only
        .address_space:  global
        .offset:         88
        .size:           8
        .value_kind:     global_buffer
      - .actual_access:  write_only
        .address_space:  global
        .offset:         96
        .size:           8
        .value_kind:     global_buffer
      - .actual_access:  write_only
        .address_space:  global
        .offset:         104
        .size:           8
        .value_kind:     global_buffer
      - .actual_access:  read_only
        .address_space:  global
        .offset:         112
        .size:           8
        .value_kind:     global_buffer
      - .offset:         120
        .size:           4
        .value_kind:     by_value
      - .address_space:  global
        .offset:         128
        .size:           8
        .value_kind:     global_buffer
      - .address_space:  global
        .offset:         136
        .size:           8
        .value_kind:     global_buffer
      - .offset:         144
        .size:           4
        .value_kind:     hidden_block_count_x
      - .offset:         148
        .size:           4
        .value_kind:     hidden_block_count_y
      - .offset:         152
        .size:           4
        .value_kind:     hidden_block_count_z
      - .offset:         156
        .size:           2
        .value_kind:     hidden_group_size_x
      - .offset:         158
        .size:           2
        .value_kind:     hidden_group_size_y
      - .offset:         160
        .size:           2
        .value_kind:     hidden_group_size_z
      - .offset:         162
        .size:           2
        .value_kind:     hidden_remainder_x
      - .offset:         164
        .size:           2
        .value_kind:     hidden_remainder_y
      - .offset:         166
        .size:           2
        .value_kind:     hidden_remainder_z
      - .offset:         184
        .size:           8
        .value_kind:     hidden_global_offset_x
      - .offset:         192
        .size:           8
        .value_kind:     hidden_global_offset_y
      - .offset:         200
        .size:           8
        .value_kind:     hidden_global_offset_z
      - .offset:         208
        .size:           2
        .value_kind:     hidden_grid_dims
    .group_segment_fixed_size: 17472
    .kernarg_segment_align: 8
    .kernarg_segment_size: 400
    .language:       OpenCL C
    .language_version:
      - 2
      - 0
    .max_flat_workgroup_size: 256
    .name:           _Z39paged_attention_ll4mi_QKV_mfma16_kernelIDF16_hLN4vllm18Fp8KVCacheDataTypeE1EhLi16ELi64ELi256ELb0ELi2EL8MFMAType1EEvPKT_PKT0_S8_ifPKiSA_SA_iPKfiiiPfSD_PS3_PT2_iSC_SC_
    .private_segment_fixed_size: 0
    .sgpr_count:     38
    .sgpr_spill_count: 0
    .symbol:         _Z39paged_attention_ll4mi_QKV_mfma16_kernelIDF16_hLN4vllm18Fp8KVCacheDataTypeE1EhLi16ELi64ELi256ELb0ELi2EL8MFMAType1EEvPKT_PKT0_S8_ifPKiSA_SA_iPKfiiiPfSD_PS3_PT2_iSC_SC_.kd
    .uniform_work_group_size: 1
    .uses_dynamic_stack: false
    .vgpr_count:     148
    .vgpr_spill_count: 0
    .wavefront_size: 32
    .workgroup_processor_mode: 1
  - .args:
      - .actual_access:  read_only
        .address_space:  global
        .offset:         0
        .size:           8
        .value_kind:     global_buffer
      - .actual_access:  read_only
        .address_space:  global
        .offset:         8
        .size:           8
        .value_kind:     global_buffer
      - .actual_access:  read_only
        .address_space:  global
        .offset:         16
        .size:           8
        .value_kind:     global_buffer
      - .offset:         24
        .size:           4
        .value_kind:     by_value
      - .offset:         28
        .size:           4
        .value_kind:     by_value
      - .actual_access:  read_only
        .address_space:  global
        .offset:         32
        .size:           8
        .value_kind:     global_buffer
      - .actual_access:  read_only
        .address_space:  global
        .offset:         40
        .size:           8
        .value_kind:     global_buffer
      - .actual_access:  read_only
        .address_space:  global
        .offset:         48
        .size:           8
        .value_kind:     global_buffer
      - .offset:         56
        .size:           4
        .value_kind:     by_value
      - .actual_access:  read_only
        .address_space:  global
        .offset:         64
        .size:           8
        .value_kind:     global_buffer
      - .offset:         72
        .size:           4
        .value_kind:     by_value
      - .offset:         76
        .size:           4
        .value_kind:     by_value
      - .offset:         80
        .size:           4
        .value_kind:     by_value
      - .actual_access:  write_only
        .address_space:  global
        .offset:         88
        .size:           8
        .value_kind:     global_buffer
      - .actual_access:  write_only
        .address_space:  global
        .offset:         96
        .size:           8
        .value_kind:     global_buffer
      - .actual_access:  write_only
        .address_space:  global
        .offset:         104
        .size:           8
        .value_kind:     global_buffer
      - .actual_access:  read_only
        .address_space:  global
        .offset:         112
        .size:           8
        .value_kind:     global_buffer
      - .offset:         120
        .size:           4
        .value_kind:     by_value
      - .address_space:  global
        .offset:         128
        .size:           8
        .value_kind:     global_buffer
      - .address_space:  global
        .offset:         136
        .size:           8
        .value_kind:     global_buffer
      - .offset:         144
        .size:           4
        .value_kind:     hidden_block_count_x
      - .offset:         148
        .size:           4
        .value_kind:     hidden_block_count_y
      - .offset:         152
        .size:           4
        .value_kind:     hidden_block_count_z
      - .offset:         156
        .size:           2
        .value_kind:     hidden_group_size_x
      - .offset:         158
        .size:           2
        .value_kind:     hidden_group_size_y
      - .offset:         160
        .size:           2
        .value_kind:     hidden_group_size_z
      - .offset:         162
        .size:           2
        .value_kind:     hidden_remainder_x
      - .offset:         164
        .size:           2
        .value_kind:     hidden_remainder_y
      - .offset:         166
        .size:           2
        .value_kind:     hidden_remainder_z
      - .offset:         184
        .size:           8
        .value_kind:     hidden_global_offset_x
      - .offset:         192
        .size:           8
        .value_kind:     hidden_global_offset_y
      - .offset:         200
        .size:           8
        .value_kind:     hidden_global_offset_z
      - .offset:         208
        .size:           2
        .value_kind:     hidden_grid_dims
    .group_segment_fixed_size: 17472
    .kernarg_segment_align: 8
    .kernarg_segment_size: 400
    .language:       OpenCL C
    .language_version:
      - 2
      - 0
    .max_flat_workgroup_size: 256
    .name:           _Z39paged_attention_ll4mi_QKV_mfma16_kernelIDF16_hLN4vllm18Fp8KVCacheDataTypeE1EhLi16ELi64ELi256ELb0ELi3EL8MFMAType1EEvPKT_PKT0_S8_ifPKiSA_SA_iPKfiiiPfSD_PS3_PT2_iSC_SC_
    .private_segment_fixed_size: 0
    .sgpr_count:     39
    .sgpr_spill_count: 0
    .symbol:         _Z39paged_attention_ll4mi_QKV_mfma16_kernelIDF16_hLN4vllm18Fp8KVCacheDataTypeE1EhLi16ELi64ELi256ELb0ELi3EL8MFMAType1EEvPKT_PKT0_S8_ifPKiSA_SA_iPKfiiiPfSD_PS3_PT2_iSC_SC_.kd
    .uniform_work_group_size: 1
    .uses_dynamic_stack: false
    .vgpr_count:     146
    .vgpr_spill_count: 0
    .wavefront_size: 32
    .workgroup_processor_mode: 1
  - .args:
      - .actual_access:  read_only
        .address_space:  global
        .offset:         0
        .size:           8
        .value_kind:     global_buffer
      - .actual_access:  read_only
        .address_space:  global
        .offset:         8
        .size:           8
        .value_kind:     global_buffer
      - .actual_access:  read_only
        .address_space:  global
        .offset:         16
        .size:           8
        .value_kind:     global_buffer
      - .offset:         24
        .size:           4
        .value_kind:     by_value
      - .offset:         28
        .size:           4
        .value_kind:     by_value
      - .actual_access:  read_only
        .address_space:  global
        .offset:         32
        .size:           8
        .value_kind:     global_buffer
      - .actual_access:  read_only
        .address_space:  global
        .offset:         40
        .size:           8
        .value_kind:     global_buffer
      - .actual_access:  read_only
        .address_space:  global
        .offset:         48
        .size:           8
        .value_kind:     global_buffer
      - .offset:         56
        .size:           4
        .value_kind:     by_value
      - .actual_access:  read_only
        .address_space:  global
        .offset:         64
        .size:           8
        .value_kind:     global_buffer
      - .offset:         72
        .size:           4
        .value_kind:     by_value
      - .offset:         76
        .size:           4
        .value_kind:     by_value
      - .offset:         80
        .size:           4
        .value_kind:     by_value
      - .actual_access:  write_only
        .address_space:  global
        .offset:         88
        .size:           8
        .value_kind:     global_buffer
      - .actual_access:  write_only
        .address_space:  global
        .offset:         96
        .size:           8
        .value_kind:     global_buffer
      - .actual_access:  write_only
        .address_space:  global
        .offset:         104
        .size:           8
        .value_kind:     global_buffer
      - .actual_access:  read_only
        .address_space:  global
        .offset:         112
        .size:           8
        .value_kind:     global_buffer
      - .offset:         120
        .size:           4
        .value_kind:     by_value
      - .address_space:  global
        .offset:         128
        .size:           8
        .value_kind:     global_buffer
      - .address_space:  global
        .offset:         136
        .size:           8
        .value_kind:     global_buffer
      - .offset:         144
        .size:           4
        .value_kind:     hidden_block_count_x
      - .offset:         148
        .size:           4
        .value_kind:     hidden_block_count_y
      - .offset:         152
        .size:           4
        .value_kind:     hidden_block_count_z
      - .offset:         156
        .size:           2
        .value_kind:     hidden_group_size_x
      - .offset:         158
        .size:           2
        .value_kind:     hidden_group_size_y
      - .offset:         160
        .size:           2
        .value_kind:     hidden_group_size_z
      - .offset:         162
        .size:           2
        .value_kind:     hidden_remainder_x
      - .offset:         164
        .size:           2
        .value_kind:     hidden_remainder_y
      - .offset:         166
        .size:           2
        .value_kind:     hidden_remainder_z
      - .offset:         184
        .size:           8
        .value_kind:     hidden_global_offset_x
      - .offset:         192
        .size:           8
        .value_kind:     hidden_global_offset_y
      - .offset:         200
        .size:           8
        .value_kind:     hidden_global_offset_z
      - .offset:         208
        .size:           2
        .value_kind:     hidden_grid_dims
    .group_segment_fixed_size: 17472
    .kernarg_segment_align: 8
    .kernarg_segment_size: 400
    .language:       OpenCL C
    .language_version:
      - 2
      - 0
    .max_flat_workgroup_size: 256
    .name:           _Z39paged_attention_ll4mi_QKV_mfma16_kernelIDF16_hLN4vllm18Fp8KVCacheDataTypeE1EhLi16ELi64ELi256ELb0ELi4EL8MFMAType1EEvPKT_PKT0_S8_ifPKiSA_SA_iPKfiiiPfSD_PS3_PT2_iSC_SC_
    .private_segment_fixed_size: 0
    .sgpr_count:     42
    .sgpr_spill_count: 0
    .symbol:         _Z39paged_attention_ll4mi_QKV_mfma16_kernelIDF16_hLN4vllm18Fp8KVCacheDataTypeE1EhLi16ELi64ELi256ELb0ELi4EL8MFMAType1EEvPKT_PKT0_S8_ifPKiSA_SA_iPKfiiiPfSD_PS3_PT2_iSC_SC_.kd
    .uniform_work_group_size: 1
    .uses_dynamic_stack: false
    .vgpr_count:     123
    .vgpr_spill_count: 0
    .wavefront_size: 32
    .workgroup_processor_mode: 1
  - .args:
      - .actual_access:  read_only
        .address_space:  global
        .offset:         0
        .size:           8
        .value_kind:     global_buffer
      - .actual_access:  read_only
        .address_space:  global
        .offset:         8
        .size:           8
        .value_kind:     global_buffer
      - .actual_access:  read_only
        .address_space:  global
        .offset:         16
        .size:           8
        .value_kind:     global_buffer
      - .offset:         24
        .size:           4
        .value_kind:     by_value
      - .offset:         28
        .size:           4
        .value_kind:     by_value
      - .actual_access:  read_only
        .address_space:  global
        .offset:         32
        .size:           8
        .value_kind:     global_buffer
      - .actual_access:  read_only
        .address_space:  global
        .offset:         40
        .size:           8
        .value_kind:     global_buffer
      - .actual_access:  read_only
        .address_space:  global
        .offset:         48
        .size:           8
        .value_kind:     global_buffer
      - .offset:         56
        .size:           4
        .value_kind:     by_value
      - .actual_access:  read_only
        .address_space:  global
        .offset:         64
        .size:           8
        .value_kind:     global_buffer
      - .offset:         72
        .size:           4
        .value_kind:     by_value
      - .offset:         76
        .size:           4
        .value_kind:     by_value
      - .offset:         80
        .size:           4
        .value_kind:     by_value
      - .actual_access:  read_only
        .address_space:  global
        .offset:         88
        .size:           8
        .value_kind:     global_buffer
      - .actual_access:  read_only
        .address_space:  global
        .offset:         96
        .size:           8
        .value_kind:     global_buffer
      - .actual_access:  read_only
        .address_space:  global
        .offset:         104
        .size:           8
        .value_kind:     global_buffer
      - .actual_access:  read_only
        .address_space:  global
        .offset:         112
        .size:           8
        .value_kind:     global_buffer
      - .offset:         120
        .size:           4
        .value_kind:     by_value
      - .address_space:  global
        .offset:         128
        .size:           8
        .value_kind:     global_buffer
      - .address_space:  global
        .offset:         136
        .size:           8
        .value_kind:     global_buffer
      - .offset:         144
        .size:           4
        .value_kind:     hidden_block_count_x
      - .offset:         148
        .size:           4
        .value_kind:     hidden_block_count_y
      - .offset:         152
        .size:           4
        .value_kind:     hidden_block_count_z
      - .offset:         156
        .size:           2
        .value_kind:     hidden_group_size_x
      - .offset:         158
        .size:           2
        .value_kind:     hidden_group_size_y
      - .offset:         160
        .size:           2
        .value_kind:     hidden_group_size_z
      - .offset:         162
        .size:           2
        .value_kind:     hidden_remainder_x
      - .offset:         164
        .size:           2
        .value_kind:     hidden_remainder_y
      - .offset:         166
        .size:           2
        .value_kind:     hidden_remainder_z
      - .offset:         184
        .size:           8
        .value_kind:     hidden_global_offset_x
      - .offset:         192
        .size:           8
        .value_kind:     hidden_global_offset_y
      - .offset:         200
        .size:           8
        .value_kind:     hidden_global_offset_z
      - .offset:         208
        .size:           2
        .value_kind:     hidden_grid_dims
      - .offset:         224
        .size:           8
        .value_kind:     hidden_hostcall_buffer
    .group_segment_fixed_size: 0
    .kernarg_segment_align: 8
    .kernarg_segment_size: 400
    .language:       OpenCL C
    .language_version:
      - 2
      - 0
    .max_flat_workgroup_size: 256
    .name:           _Z38paged_attention_ll4mi_QKV_mfma4_kernelIDF16_hLN4vllm18Fp8KVCacheDataTypeE1EDF16_Li16ELi64ELi256ELb1ELi1EEvPKT_PKT0_S7_ifPKiS9_S9_iPKfiiiPfSC_PS2_PT2_iSB_SB_
    .private_segment_fixed_size: 64
    .sgpr_count:     36
    .sgpr_spill_count: 0
    .symbol:         _Z38paged_attention_ll4mi_QKV_mfma4_kernelIDF16_hLN4vllm18Fp8KVCacheDataTypeE1EDF16_Li16ELi64ELi256ELb1ELi1EEvPKT_PKT0_S7_ifPKiS9_S9_iPKfiiiPfSC_PS2_PT2_iSB_SB_.kd
    .uniform_work_group_size: 1
    .uses_dynamic_stack: false
    .vgpr_count:     41
    .vgpr_spill_count: 0
    .wavefront_size: 32
    .workgroup_processor_mode: 1
  - .args:
      - .actual_access:  read_only
        .address_space:  global
        .offset:         0
        .size:           8
        .value_kind:     global_buffer
      - .actual_access:  read_only
        .address_space:  global
        .offset:         8
        .size:           8
        .value_kind:     global_buffer
      - .actual_access:  read_only
        .address_space:  global
        .offset:         16
        .size:           8
        .value_kind:     global_buffer
      - .offset:         24
        .size:           4
        .value_kind:     by_value
      - .offset:         28
        .size:           4
        .value_kind:     by_value
      - .actual_access:  read_only
        .address_space:  global
        .offset:         32
        .size:           8
        .value_kind:     global_buffer
      - .actual_access:  read_only
        .address_space:  global
        .offset:         40
        .size:           8
        .value_kind:     global_buffer
      - .actual_access:  read_only
        .address_space:  global
        .offset:         48
        .size:           8
        .value_kind:     global_buffer
      - .offset:         56
        .size:           4
        .value_kind:     by_value
      - .actual_access:  read_only
        .address_space:  global
        .offset:         64
        .size:           8
        .value_kind:     global_buffer
      - .offset:         72
        .size:           4
        .value_kind:     by_value
      - .offset:         76
        .size:           4
        .value_kind:     by_value
      - .offset:         80
        .size:           4
        .value_kind:     by_value
      - .actual_access:  read_only
        .address_space:  global
        .offset:         88
        .size:           8
        .value_kind:     global_buffer
      - .actual_access:  read_only
        .address_space:  global
        .offset:         96
        .size:           8
        .value_kind:     global_buffer
      - .actual_access:  read_only
        .address_space:  global
        .offset:         104
        .size:           8
        .value_kind:     global_buffer
      - .actual_access:  read_only
        .address_space:  global
        .offset:         112
        .size:           8
        .value_kind:     global_buffer
      - .offset:         120
        .size:           4
        .value_kind:     by_value
      - .address_space:  global
        .offset:         128
        .size:           8
        .value_kind:     global_buffer
      - .address_space:  global
        .offset:         136
        .size:           8
        .value_kind:     global_buffer
      - .offset:         144
        .size:           4
        .value_kind:     hidden_block_count_x
      - .offset:         148
        .size:           4
        .value_kind:     hidden_block_count_y
      - .offset:         152
        .size:           4
        .value_kind:     hidden_block_count_z
      - .offset:         156
        .size:           2
        .value_kind:     hidden_group_size_x
      - .offset:         158
        .size:           2
        .value_kind:     hidden_group_size_y
      - .offset:         160
        .size:           2
        .value_kind:     hidden_group_size_z
      - .offset:         162
        .size:           2
        .value_kind:     hidden_remainder_x
      - .offset:         164
        .size:           2
        .value_kind:     hidden_remainder_y
      - .offset:         166
        .size:           2
        .value_kind:     hidden_remainder_z
      - .offset:         184
        .size:           8
        .value_kind:     hidden_global_offset_x
      - .offset:         192
        .size:           8
        .value_kind:     hidden_global_offset_y
      - .offset:         200
        .size:           8
        .value_kind:     hidden_global_offset_z
      - .offset:         208
        .size:           2
        .value_kind:     hidden_grid_dims
      - .offset:         224
        .size:           8
        .value_kind:     hidden_hostcall_buffer
    .group_segment_fixed_size: 0
    .kernarg_segment_align: 8
    .kernarg_segment_size: 400
    .language:       OpenCL C
    .language_version:
      - 2
      - 0
    .max_flat_workgroup_size: 256
    .name:           _Z38paged_attention_ll4mi_QKV_mfma4_kernelIDF16_hLN4vllm18Fp8KVCacheDataTypeE1EDF16_Li16ELi64ELi256ELb1ELi2EEvPKT_PKT0_S7_ifPKiS9_S9_iPKfiiiPfSC_PS2_PT2_iSB_SB_
    .private_segment_fixed_size: 64
    .sgpr_count:     36
    .sgpr_spill_count: 0
    .symbol:         _Z38paged_attention_ll4mi_QKV_mfma4_kernelIDF16_hLN4vllm18Fp8KVCacheDataTypeE1EDF16_Li16ELi64ELi256ELb1ELi2EEvPKT_PKT0_S7_ifPKiS9_S9_iPKfiiiPfSC_PS2_PT2_iSB_SB_.kd
    .uniform_work_group_size: 1
    .uses_dynamic_stack: false
    .vgpr_count:     41
    .vgpr_spill_count: 0
    .wavefront_size: 32
    .workgroup_processor_mode: 1
  - .args:
      - .actual_access:  read_only
        .address_space:  global
        .offset:         0
        .size:           8
        .value_kind:     global_buffer
      - .actual_access:  read_only
        .address_space:  global
        .offset:         8
        .size:           8
        .value_kind:     global_buffer
      - .actual_access:  read_only
        .address_space:  global
        .offset:         16
        .size:           8
        .value_kind:     global_buffer
      - .offset:         24
        .size:           4
        .value_kind:     by_value
      - .offset:         28
        .size:           4
        .value_kind:     by_value
      - .actual_access:  read_only
        .address_space:  global
        .offset:         32
        .size:           8
        .value_kind:     global_buffer
      - .actual_access:  read_only
        .address_space:  global
        .offset:         40
        .size:           8
        .value_kind:     global_buffer
      - .actual_access:  read_only
        .address_space:  global
        .offset:         48
        .size:           8
        .value_kind:     global_buffer
      - .offset:         56
        .size:           4
        .value_kind:     by_value
      - .actual_access:  read_only
        .address_space:  global
        .offset:         64
        .size:           8
        .value_kind:     global_buffer
      - .offset:         72
        .size:           4
        .value_kind:     by_value
      - .offset:         76
        .size:           4
        .value_kind:     by_value
      - .offset:         80
        .size:           4
        .value_kind:     by_value
      - .actual_access:  read_only
        .address_space:  global
        .offset:         88
        .size:           8
        .value_kind:     global_buffer
      - .actual_access:  read_only
        .address_space:  global
        .offset:         96
        .size:           8
        .value_kind:     global_buffer
      - .actual_access:  read_only
        .address_space:  global
        .offset:         104
        .size:           8
        .value_kind:     global_buffer
      - .actual_access:  read_only
        .address_space:  global
        .offset:         112
        .size:           8
        .value_kind:     global_buffer
      - .offset:         120
        .size:           4
        .value_kind:     by_value
      - .address_space:  global
        .offset:         128
        .size:           8
        .value_kind:     global_buffer
      - .address_space:  global
        .offset:         136
        .size:           8
        .value_kind:     global_buffer
      - .offset:         144
        .size:           4
        .value_kind:     hidden_block_count_x
      - .offset:         148
        .size:           4
        .value_kind:     hidden_block_count_y
      - .offset:         152
        .size:           4
        .value_kind:     hidden_block_count_z
      - .offset:         156
        .size:           2
        .value_kind:     hidden_group_size_x
      - .offset:         158
        .size:           2
        .value_kind:     hidden_group_size_y
      - .offset:         160
        .size:           2
        .value_kind:     hidden_group_size_z
      - .offset:         162
        .size:           2
        .value_kind:     hidden_remainder_x
      - .offset:         164
        .size:           2
        .value_kind:     hidden_remainder_y
      - .offset:         166
        .size:           2
        .value_kind:     hidden_remainder_z
      - .offset:         184
        .size:           8
        .value_kind:     hidden_global_offset_x
      - .offset:         192
        .size:           8
        .value_kind:     hidden_global_offset_y
      - .offset:         200
        .size:           8
        .value_kind:     hidden_global_offset_z
      - .offset:         208
        .size:           2
        .value_kind:     hidden_grid_dims
      - .offset:         224
        .size:           8
        .value_kind:     hidden_hostcall_buffer
    .group_segment_fixed_size: 0
    .kernarg_segment_align: 8
    .kernarg_segment_size: 400
    .language:       OpenCL C
    .language_version:
      - 2
      - 0
    .max_flat_workgroup_size: 256
    .name:           _Z38paged_attention_ll4mi_QKV_mfma4_kernelIDF16_hLN4vllm18Fp8KVCacheDataTypeE1EDF16_Li16ELi64ELi256ELb1ELi3EEvPKT_PKT0_S7_ifPKiS9_S9_iPKfiiiPfSC_PS2_PT2_iSB_SB_
    .private_segment_fixed_size: 64
    .sgpr_count:     36
    .sgpr_spill_count: 0
    .symbol:         _Z38paged_attention_ll4mi_QKV_mfma4_kernelIDF16_hLN4vllm18Fp8KVCacheDataTypeE1EDF16_Li16ELi64ELi256ELb1ELi3EEvPKT_PKT0_S7_ifPKiS9_S9_iPKfiiiPfSC_PS2_PT2_iSB_SB_.kd
    .uniform_work_group_size: 1
    .uses_dynamic_stack: false
    .vgpr_count:     41
    .vgpr_spill_count: 0
    .wavefront_size: 32
    .workgroup_processor_mode: 1
  - .args:
      - .actual_access:  read_only
        .address_space:  global
        .offset:         0
        .size:           8
        .value_kind:     global_buffer
      - .actual_access:  read_only
        .address_space:  global
        .offset:         8
        .size:           8
        .value_kind:     global_buffer
      - .actual_access:  read_only
        .address_space:  global
        .offset:         16
        .size:           8
        .value_kind:     global_buffer
      - .offset:         24
        .size:           4
        .value_kind:     by_value
      - .offset:         28
        .size:           4
        .value_kind:     by_value
      - .actual_access:  read_only
        .address_space:  global
        .offset:         32
        .size:           8
        .value_kind:     global_buffer
      - .actual_access:  read_only
        .address_space:  global
        .offset:         40
        .size:           8
        .value_kind:     global_buffer
      - .actual_access:  read_only
        .address_space:  global
        .offset:         48
        .size:           8
        .value_kind:     global_buffer
      - .offset:         56
        .size:           4
        .value_kind:     by_value
      - .actual_access:  read_only
        .address_space:  global
        .offset:         64
        .size:           8
        .value_kind:     global_buffer
      - .offset:         72
        .size:           4
        .value_kind:     by_value
      - .offset:         76
        .size:           4
        .value_kind:     by_value
      - .offset:         80
        .size:           4
        .value_kind:     by_value
      - .actual_access:  read_only
        .address_space:  global
        .offset:         88
        .size:           8
        .value_kind:     global_buffer
      - .actual_access:  read_only
        .address_space:  global
        .offset:         96
        .size:           8
        .value_kind:     global_buffer
      - .actual_access:  read_only
        .address_space:  global
        .offset:         104
        .size:           8
        .value_kind:     global_buffer
      - .actual_access:  read_only
        .address_space:  global
        .offset:         112
        .size:           8
        .value_kind:     global_buffer
      - .offset:         120
        .size:           4
        .value_kind:     by_value
      - .address_space:  global
        .offset:         128
        .size:           8
        .value_kind:     global_buffer
      - .address_space:  global
        .offset:         136
        .size:           8
        .value_kind:     global_buffer
      - .offset:         144
        .size:           4
        .value_kind:     hidden_block_count_x
      - .offset:         148
        .size:           4
        .value_kind:     hidden_block_count_y
      - .offset:         152
        .size:           4
        .value_kind:     hidden_block_count_z
      - .offset:         156
        .size:           2
        .value_kind:     hidden_group_size_x
      - .offset:         158
        .size:           2
        .value_kind:     hidden_group_size_y
      - .offset:         160
        .size:           2
        .value_kind:     hidden_group_size_z
      - .offset:         162
        .size:           2
        .value_kind:     hidden_remainder_x
      - .offset:         164
        .size:           2
        .value_kind:     hidden_remainder_y
      - .offset:         166
        .size:           2
        .value_kind:     hidden_remainder_z
      - .offset:         184
        .size:           8
        .value_kind:     hidden_global_offset_x
      - .offset:         192
        .size:           8
        .value_kind:     hidden_global_offset_y
      - .offset:         200
        .size:           8
        .value_kind:     hidden_global_offset_z
      - .offset:         208
        .size:           2
        .value_kind:     hidden_grid_dims
      - .offset:         224
        .size:           8
        .value_kind:     hidden_hostcall_buffer
    .group_segment_fixed_size: 0
    .kernarg_segment_align: 8
    .kernarg_segment_size: 400
    .language:       OpenCL C
    .language_version:
      - 2
      - 0
    .max_flat_workgroup_size: 256
    .name:           _Z38paged_attention_ll4mi_QKV_mfma4_kernelIDF16_hLN4vllm18Fp8KVCacheDataTypeE1EDF16_Li16ELi64ELi256ELb1ELi4EEvPKT_PKT0_S7_ifPKiS9_S9_iPKfiiiPfSC_PS2_PT2_iSB_SB_
    .private_segment_fixed_size: 64
    .sgpr_count:     36
    .sgpr_spill_count: 0
    .symbol:         _Z38paged_attention_ll4mi_QKV_mfma4_kernelIDF16_hLN4vllm18Fp8KVCacheDataTypeE1EDF16_Li16ELi64ELi256ELb1ELi4EEvPKT_PKT0_S7_ifPKiS9_S9_iPKfiiiPfSC_PS2_PT2_iSB_SB_.kd
    .uniform_work_group_size: 1
    .uses_dynamic_stack: false
    .vgpr_count:     41
    .vgpr_spill_count: 0
    .wavefront_size: 32
    .workgroup_processor_mode: 1
  - .args:
      - .actual_access:  read_only
        .address_space:  global
        .offset:         0
        .size:           8
        .value_kind:     global_buffer
      - .actual_access:  read_only
        .address_space:  global
        .offset:         8
        .size:           8
        .value_kind:     global_buffer
      - .actual_access:  read_only
        .address_space:  global
        .offset:         16
        .size:           8
        .value_kind:     global_buffer
      - .offset:         24
        .size:           4
        .value_kind:     by_value
      - .offset:         28
        .size:           4
        .value_kind:     by_value
      - .actual_access:  read_only
        .address_space:  global
        .offset:         32
        .size:           8
        .value_kind:     global_buffer
      - .actual_access:  read_only
        .address_space:  global
        .offset:         40
        .size:           8
        .value_kind:     global_buffer
      - .actual_access:  read_only
        .address_space:  global
        .offset:         48
        .size:           8
        .value_kind:     global_buffer
      - .offset:         56
        .size:           4
        .value_kind:     by_value
      - .actual_access:  read_only
        .address_space:  global
        .offset:         64
        .size:           8
        .value_kind:     global_buffer
      - .offset:         72
        .size:           4
        .value_kind:     by_value
      - .offset:         76
        .size:           4
        .value_kind:     by_value
      - .offset:         80
        .size:           4
        .value_kind:     by_value
      - .actual_access:  write_only
        .address_space:  global
        .offset:         88
        .size:           8
        .value_kind:     global_buffer
      - .actual_access:  write_only
        .address_space:  global
        .offset:         96
        .size:           8
        .value_kind:     global_buffer
      - .actual_access:  write_only
        .address_space:  global
        .offset:         104
        .size:           8
        .value_kind:     global_buffer
      - .actual_access:  read_only
        .address_space:  global
        .offset:         112
        .size:           8
        .value_kind:     global_buffer
      - .offset:         120
        .size:           4
        .value_kind:     by_value
      - .address_space:  global
        .offset:         128
        .size:           8
        .value_kind:     global_buffer
      - .address_space:  global
        .offset:         136
        .size:           8
        .value_kind:     global_buffer
      - .offset:         144
        .size:           4
        .value_kind:     hidden_block_count_x
      - .offset:         148
        .size:           4
        .value_kind:     hidden_block_count_y
      - .offset:         152
        .size:           4
        .value_kind:     hidden_block_count_z
      - .offset:         156
        .size:           2
        .value_kind:     hidden_group_size_x
      - .offset:         158
        .size:           2
        .value_kind:     hidden_group_size_y
      - .offset:         160
        .size:           2
        .value_kind:     hidden_group_size_z
      - .offset:         162
        .size:           2
        .value_kind:     hidden_remainder_x
      - .offset:         164
        .size:           2
        .value_kind:     hidden_remainder_y
      - .offset:         166
        .size:           2
        .value_kind:     hidden_remainder_z
      - .offset:         184
        .size:           8
        .value_kind:     hidden_global_offset_x
      - .offset:         192
        .size:           8
        .value_kind:     hidden_global_offset_y
      - .offset:         200
        .size:           8
        .value_kind:     hidden_global_offset_z
      - .offset:         208
        .size:           2
        .value_kind:     hidden_grid_dims
    .group_segment_fixed_size: 17472
    .kernarg_segment_align: 8
    .kernarg_segment_size: 400
    .language:       OpenCL C
    .language_version:
      - 2
      - 0
    .max_flat_workgroup_size: 256
    .name:           _Z39paged_attention_ll4mi_QKV_mfma16_kernelIDF16_hLN4vllm18Fp8KVCacheDataTypeE1EDF16_Li16ELi64ELi256ELb1ELi5EL8MFMAType1EEvPKT_PKT0_S8_ifPKiSA_SA_iPKfiiiPfSD_PS3_PT2_iSC_SC_
    .private_segment_fixed_size: 0
    .sgpr_count:     39
    .sgpr_spill_count: 0
    .symbol:         _Z39paged_attention_ll4mi_QKV_mfma16_kernelIDF16_hLN4vllm18Fp8KVCacheDataTypeE1EDF16_Li16ELi64ELi256ELb1ELi5EL8MFMAType1EEvPKT_PKT0_S8_ifPKiSA_SA_iPKfiiiPfSD_PS3_PT2_iSC_SC_.kd
    .uniform_work_group_size: 1
    .uses_dynamic_stack: false
    .vgpr_count:     146
    .vgpr_spill_count: 0
    .wavefront_size: 32
    .workgroup_processor_mode: 1
  - .args:
      - .actual_access:  read_only
        .address_space:  global
        .offset:         0
        .size:           8
        .value_kind:     global_buffer
      - .actual_access:  read_only
        .address_space:  global
        .offset:         8
        .size:           8
        .value_kind:     global_buffer
      - .actual_access:  read_only
        .address_space:  global
        .offset:         16
        .size:           8
        .value_kind:     global_buffer
      - .offset:         24
        .size:           4
        .value_kind:     by_value
      - .offset:         28
        .size:           4
        .value_kind:     by_value
      - .actual_access:  read_only
        .address_space:  global
        .offset:         32
        .size:           8
        .value_kind:     global_buffer
      - .actual_access:  read_only
        .address_space:  global
        .offset:         40
        .size:           8
        .value_kind:     global_buffer
      - .actual_access:  read_only
        .address_space:  global
        .offset:         48
        .size:           8
        .value_kind:     global_buffer
      - .offset:         56
        .size:           4
        .value_kind:     by_value
      - .actual_access:  read_only
        .address_space:  global
        .offset:         64
        .size:           8
        .value_kind:     global_buffer
      - .offset:         72
        .size:           4
        .value_kind:     by_value
      - .offset:         76
        .size:           4
        .value_kind:     by_value
      - .offset:         80
        .size:           4
        .value_kind:     by_value
      - .actual_access:  write_only
        .address_space:  global
        .offset:         88
        .size:           8
        .value_kind:     global_buffer
      - .actual_access:  write_only
        .address_space:  global
        .offset:         96
        .size:           8
        .value_kind:     global_buffer
      - .actual_access:  write_only
        .address_space:  global
        .offset:         104
        .size:           8
        .value_kind:     global_buffer
      - .actual_access:  read_only
        .address_space:  global
        .offset:         112
        .size:           8
        .value_kind:     global_buffer
      - .offset:         120
        .size:           4
        .value_kind:     by_value
      - .address_space:  global
        .offset:         128
        .size:           8
        .value_kind:     global_buffer
      - .address_space:  global
        .offset:         136
        .size:           8
        .value_kind:     global_buffer
      - .offset:         144
        .size:           4
        .value_kind:     hidden_block_count_x
      - .offset:         148
        .size:           4
        .value_kind:     hidden_block_count_y
      - .offset:         152
        .size:           4
        .value_kind:     hidden_block_count_z
      - .offset:         156
        .size:           2
        .value_kind:     hidden_group_size_x
      - .offset:         158
        .size:           2
        .value_kind:     hidden_group_size_y
      - .offset:         160
        .size:           2
        .value_kind:     hidden_group_size_z
      - .offset:         162
        .size:           2
        .value_kind:     hidden_remainder_x
      - .offset:         164
        .size:           2
        .value_kind:     hidden_remainder_y
      - .offset:         166
        .size:           2
        .value_kind:     hidden_remainder_z
      - .offset:         184
        .size:           8
        .value_kind:     hidden_global_offset_x
      - .offset:         192
        .size:           8
        .value_kind:     hidden_global_offset_y
      - .offset:         200
        .size:           8
        .value_kind:     hidden_global_offset_z
      - .offset:         208
        .size:           2
        .value_kind:     hidden_grid_dims
    .group_segment_fixed_size: 17472
    .kernarg_segment_align: 8
    .kernarg_segment_size: 400
    .language:       OpenCL C
    .language_version:
      - 2
      - 0
    .max_flat_workgroup_size: 256
    .name:           _Z39paged_attention_ll4mi_QKV_mfma16_kernelIDF16_hLN4vllm18Fp8KVCacheDataTypeE1EDF16_Li16ELi64ELi256ELb1ELi6EL8MFMAType1EEvPKT_PKT0_S8_ifPKiSA_SA_iPKfiiiPfSD_PS3_PT2_iSC_SC_
    .private_segment_fixed_size: 0
    .sgpr_count:     38
    .sgpr_spill_count: 0
    .symbol:         _Z39paged_attention_ll4mi_QKV_mfma16_kernelIDF16_hLN4vllm18Fp8KVCacheDataTypeE1EDF16_Li16ELi64ELi256ELb1ELi6EL8MFMAType1EEvPKT_PKT0_S8_ifPKiSA_SA_iPKfiiiPfSD_PS3_PT2_iSC_SC_.kd
    .uniform_work_group_size: 1
    .uses_dynamic_stack: false
    .vgpr_count:     146
    .vgpr_spill_count: 0
    .wavefront_size: 32
    .workgroup_processor_mode: 1
  - .args:
      - .actual_access:  read_only
        .address_space:  global
        .offset:         0
        .size:           8
        .value_kind:     global_buffer
      - .actual_access:  read_only
        .address_space:  global
        .offset:         8
        .size:           8
        .value_kind:     global_buffer
      - .actual_access:  read_only
        .address_space:  global
        .offset:         16
        .size:           8
        .value_kind:     global_buffer
      - .offset:         24
        .size:           4
        .value_kind:     by_value
      - .offset:         28
        .size:           4
        .value_kind:     by_value
      - .actual_access:  read_only
        .address_space:  global
        .offset:         32
        .size:           8
        .value_kind:     global_buffer
      - .actual_access:  read_only
        .address_space:  global
        .offset:         40
        .size:           8
        .value_kind:     global_buffer
      - .actual_access:  read_only
        .address_space:  global
        .offset:         48
        .size:           8
        .value_kind:     global_buffer
      - .offset:         56
        .size:           4
        .value_kind:     by_value
      - .actual_access:  read_only
        .address_space:  global
        .offset:         64
        .size:           8
        .value_kind:     global_buffer
      - .offset:         72
        .size:           4
        .value_kind:     by_value
      - .offset:         76
        .size:           4
        .value_kind:     by_value
      - .offset:         80
        .size:           4
        .value_kind:     by_value
      - .actual_access:  write_only
        .address_space:  global
        .offset:         88
        .size:           8
        .value_kind:     global_buffer
      - .actual_access:  write_only
        .address_space:  global
        .offset:         96
        .size:           8
        .value_kind:     global_buffer
      - .actual_access:  write_only
        .address_space:  global
        .offset:         104
        .size:           8
        .value_kind:     global_buffer
      - .actual_access:  read_only
        .address_space:  global
        .offset:         112
        .size:           8
        .value_kind:     global_buffer
      - .offset:         120
        .size:           4
        .value_kind:     by_value
      - .address_space:  global
        .offset:         128
        .size:           8
        .value_kind:     global_buffer
      - .address_space:  global
        .offset:         136
        .size:           8
        .value_kind:     global_buffer
      - .offset:         144
        .size:           4
        .value_kind:     hidden_block_count_x
      - .offset:         148
        .size:           4
        .value_kind:     hidden_block_count_y
      - .offset:         152
        .size:           4
        .value_kind:     hidden_block_count_z
      - .offset:         156
        .size:           2
        .value_kind:     hidden_group_size_x
      - .offset:         158
        .size:           2
        .value_kind:     hidden_group_size_y
      - .offset:         160
        .size:           2
        .value_kind:     hidden_group_size_z
      - .offset:         162
        .size:           2
        .value_kind:     hidden_remainder_x
      - .offset:         164
        .size:           2
        .value_kind:     hidden_remainder_y
      - .offset:         166
        .size:           2
        .value_kind:     hidden_remainder_z
      - .offset:         184
        .size:           8
        .value_kind:     hidden_global_offset_x
      - .offset:         192
        .size:           8
        .value_kind:     hidden_global_offset_y
      - .offset:         200
        .size:           8
        .value_kind:     hidden_global_offset_z
      - .offset:         208
        .size:           2
        .value_kind:     hidden_grid_dims
    .group_segment_fixed_size: 17472
    .kernarg_segment_align: 8
    .kernarg_segment_size: 400
    .language:       OpenCL C
    .language_version:
      - 2
      - 0
    .max_flat_workgroup_size: 256
    .name:           _Z39paged_attention_ll4mi_QKV_mfma16_kernelIDF16_hLN4vllm18Fp8KVCacheDataTypeE1EDF16_Li16ELi64ELi256ELb1ELi7EL8MFMAType1EEvPKT_PKT0_S8_ifPKiSA_SA_iPKfiiiPfSD_PS3_PT2_iSC_SC_
    .private_segment_fixed_size: 0
    .sgpr_count:     39
    .sgpr_spill_count: 0
    .symbol:         _Z39paged_attention_ll4mi_QKV_mfma16_kernelIDF16_hLN4vllm18Fp8KVCacheDataTypeE1EDF16_Li16ELi64ELi256ELb1ELi7EL8MFMAType1EEvPKT_PKT0_S8_ifPKiSA_SA_iPKfiiiPfSD_PS3_PT2_iSC_SC_.kd
    .uniform_work_group_size: 1
    .uses_dynamic_stack: false
    .vgpr_count:     146
    .vgpr_spill_count: 0
    .wavefront_size: 32
    .workgroup_processor_mode: 1
  - .args:
      - .actual_access:  read_only
        .address_space:  global
        .offset:         0
        .size:           8
        .value_kind:     global_buffer
      - .actual_access:  read_only
        .address_space:  global
        .offset:         8
        .size:           8
        .value_kind:     global_buffer
      - .actual_access:  read_only
        .address_space:  global
        .offset:         16
        .size:           8
        .value_kind:     global_buffer
      - .offset:         24
        .size:           4
        .value_kind:     by_value
      - .offset:         28
        .size:           4
        .value_kind:     by_value
      - .actual_access:  read_only
        .address_space:  global
        .offset:         32
        .size:           8
        .value_kind:     global_buffer
      - .actual_access:  read_only
        .address_space:  global
        .offset:         40
        .size:           8
        .value_kind:     global_buffer
      - .actual_access:  read_only
        .address_space:  global
        .offset:         48
        .size:           8
        .value_kind:     global_buffer
      - .offset:         56
        .size:           4
        .value_kind:     by_value
      - .actual_access:  read_only
        .address_space:  global
        .offset:         64
        .size:           8
        .value_kind:     global_buffer
      - .offset:         72
        .size:           4
        .value_kind:     by_value
      - .offset:         76
        .size:           4
        .value_kind:     by_value
      - .offset:         80
        .size:           4
        .value_kind:     by_value
      - .actual_access:  write_only
        .address_space:  global
        .offset:         88
        .size:           8
        .value_kind:     global_buffer
      - .actual_access:  write_only
        .address_space:  global
        .offset:         96
        .size:           8
        .value_kind:     global_buffer
      - .actual_access:  write_only
        .address_space:  global
        .offset:         104
        .size:           8
        .value_kind:     global_buffer
      - .actual_access:  read_only
        .address_space:  global
        .offset:         112
        .size:           8
        .value_kind:     global_buffer
      - .offset:         120
        .size:           4
        .value_kind:     by_value
      - .address_space:  global
        .offset:         128
        .size:           8
        .value_kind:     global_buffer
      - .address_space:  global
        .offset:         136
        .size:           8
        .value_kind:     global_buffer
      - .offset:         144
        .size:           4
        .value_kind:     hidden_block_count_x
      - .offset:         148
        .size:           4
        .value_kind:     hidden_block_count_y
      - .offset:         152
        .size:           4
        .value_kind:     hidden_block_count_z
      - .offset:         156
        .size:           2
        .value_kind:     hidden_group_size_x
      - .offset:         158
        .size:           2
        .value_kind:     hidden_group_size_y
      - .offset:         160
        .size:           2
        .value_kind:     hidden_group_size_z
      - .offset:         162
        .size:           2
        .value_kind:     hidden_remainder_x
      - .offset:         164
        .size:           2
        .value_kind:     hidden_remainder_y
      - .offset:         166
        .size:           2
        .value_kind:     hidden_remainder_z
      - .offset:         184
        .size:           8
        .value_kind:     hidden_global_offset_x
      - .offset:         192
        .size:           8
        .value_kind:     hidden_global_offset_y
      - .offset:         200
        .size:           8
        .value_kind:     hidden_global_offset_z
      - .offset:         208
        .size:           2
        .value_kind:     hidden_grid_dims
    .group_segment_fixed_size: 17472
    .kernarg_segment_align: 8
    .kernarg_segment_size: 400
    .language:       OpenCL C
    .language_version:
      - 2
      - 0
    .max_flat_workgroup_size: 256
    .name:           _Z39paged_attention_ll4mi_QKV_mfma16_kernelIDF16_hLN4vllm18Fp8KVCacheDataTypeE1EDF16_Li16ELi64ELi256ELb1ELi8EL8MFMAType1EEvPKT_PKT0_S8_ifPKiSA_SA_iPKfiiiPfSD_PS3_PT2_iSC_SC_
    .private_segment_fixed_size: 0
    .sgpr_count:     42
    .sgpr_spill_count: 0
    .symbol:         _Z39paged_attention_ll4mi_QKV_mfma16_kernelIDF16_hLN4vllm18Fp8KVCacheDataTypeE1EDF16_Li16ELi64ELi256ELb1ELi8EL8MFMAType1EEvPKT_PKT0_S8_ifPKiSA_SA_iPKfiiiPfSD_PS3_PT2_iSC_SC_.kd
    .uniform_work_group_size: 1
    .uses_dynamic_stack: false
    .vgpr_count:     123
    .vgpr_spill_count: 0
    .wavefront_size: 32
    .workgroup_processor_mode: 1
  - .args:
      - .actual_access:  read_only
        .address_space:  global
        .offset:         0
        .size:           8
        .value_kind:     global_buffer
      - .actual_access:  read_only
        .address_space:  global
        .offset:         8
        .size:           8
        .value_kind:     global_buffer
      - .actual_access:  read_only
        .address_space:  global
        .offset:         16
        .size:           8
        .value_kind:     global_buffer
      - .offset:         24
        .size:           4
        .value_kind:     by_value
      - .offset:         28
        .size:           4
        .value_kind:     by_value
      - .actual_access:  read_only
        .address_space:  global
        .offset:         32
        .size:           8
        .value_kind:     global_buffer
      - .actual_access:  read_only
        .address_space:  global
        .offset:         40
        .size:           8
        .value_kind:     global_buffer
      - .actual_access:  read_only
        .address_space:  global
        .offset:         48
        .size:           8
        .value_kind:     global_buffer
      - .offset:         56
        .size:           4
        .value_kind:     by_value
      - .actual_access:  read_only
        .address_space:  global
        .offset:         64
        .size:           8
        .value_kind:     global_buffer
      - .offset:         72
        .size:           4
        .value_kind:     by_value
      - .offset:         76
        .size:           4
        .value_kind:     by_value
      - .offset:         80
        .size:           4
        .value_kind:     by_value
      - .actual_access:  write_only
        .address_space:  global
        .offset:         88
        .size:           8
        .value_kind:     global_buffer
      - .actual_access:  write_only
        .address_space:  global
        .offset:         96
        .size:           8
        .value_kind:     global_buffer
      - .actual_access:  write_only
        .address_space:  global
        .offset:         104
        .size:           8
        .value_kind:     global_buffer
      - .actual_access:  read_only
        .address_space:  global
        .offset:         112
        .size:           8
        .value_kind:     global_buffer
      - .offset:         120
        .size:           4
        .value_kind:     by_value
      - .address_space:  global
        .offset:         128
        .size:           8
        .value_kind:     global_buffer
      - .address_space:  global
        .offset:         136
        .size:           8
        .value_kind:     global_buffer
      - .offset:         144
        .size:           4
        .value_kind:     hidden_block_count_x
      - .offset:         148
        .size:           4
        .value_kind:     hidden_block_count_y
      - .offset:         152
        .size:           4
        .value_kind:     hidden_block_count_z
      - .offset:         156
        .size:           2
        .value_kind:     hidden_group_size_x
      - .offset:         158
        .size:           2
        .value_kind:     hidden_group_size_y
      - .offset:         160
        .size:           2
        .value_kind:     hidden_group_size_z
      - .offset:         162
        .size:           2
        .value_kind:     hidden_remainder_x
      - .offset:         164
        .size:           2
        .value_kind:     hidden_remainder_y
      - .offset:         166
        .size:           2
        .value_kind:     hidden_remainder_z
      - .offset:         184
        .size:           8
        .value_kind:     hidden_global_offset_x
      - .offset:         192
        .size:           8
        .value_kind:     hidden_global_offset_y
      - .offset:         200
        .size:           8
        .value_kind:     hidden_global_offset_z
      - .offset:         208
        .size:           2
        .value_kind:     hidden_grid_dims
    .group_segment_fixed_size: 17472
    .kernarg_segment_align: 8
    .kernarg_segment_size: 400
    .language:       OpenCL C
    .language_version:
      - 2
      - 0
    .max_flat_workgroup_size: 256
    .name:           _Z39paged_attention_ll4mi_QKV_mfma16_kernelIDF16_hLN4vllm18Fp8KVCacheDataTypeE1EDF16_Li16ELi64ELi256ELb1ELi9EL8MFMAType1EEvPKT_PKT0_S8_ifPKiSA_SA_iPKfiiiPfSD_PS3_PT2_iSC_SC_
    .private_segment_fixed_size: 0
    .sgpr_count:     39
    .sgpr_spill_count: 0
    .symbol:         _Z39paged_attention_ll4mi_QKV_mfma16_kernelIDF16_hLN4vllm18Fp8KVCacheDataTypeE1EDF16_Li16ELi64ELi256ELb1ELi9EL8MFMAType1EEvPKT_PKT0_S8_ifPKiSA_SA_iPKfiiiPfSD_PS3_PT2_iSC_SC_.kd
    .uniform_work_group_size: 1
    .uses_dynamic_stack: false
    .vgpr_count:     146
    .vgpr_spill_count: 0
    .wavefront_size: 32
    .workgroup_processor_mode: 1
  - .args:
      - .actual_access:  read_only
        .address_space:  global
        .offset:         0
        .size:           8
        .value_kind:     global_buffer
      - .actual_access:  read_only
        .address_space:  global
        .offset:         8
        .size:           8
        .value_kind:     global_buffer
      - .actual_access:  read_only
        .address_space:  global
        .offset:         16
        .size:           8
        .value_kind:     global_buffer
      - .offset:         24
        .size:           4
        .value_kind:     by_value
      - .offset:         28
        .size:           4
        .value_kind:     by_value
      - .actual_access:  read_only
        .address_space:  global
        .offset:         32
        .size:           8
        .value_kind:     global_buffer
      - .actual_access:  read_only
        .address_space:  global
        .offset:         40
        .size:           8
        .value_kind:     global_buffer
      - .actual_access:  read_only
        .address_space:  global
        .offset:         48
        .size:           8
        .value_kind:     global_buffer
      - .offset:         56
        .size:           4
        .value_kind:     by_value
      - .actual_access:  read_only
        .address_space:  global
        .offset:         64
        .size:           8
        .value_kind:     global_buffer
      - .offset:         72
        .size:           4
        .value_kind:     by_value
      - .offset:         76
        .size:           4
        .value_kind:     by_value
      - .offset:         80
        .size:           4
        .value_kind:     by_value
      - .actual_access:  write_only
        .address_space:  global
        .offset:         88
        .size:           8
        .value_kind:     global_buffer
      - .actual_access:  write_only
        .address_space:  global
        .offset:         96
        .size:           8
        .value_kind:     global_buffer
      - .actual_access:  write_only
        .address_space:  global
        .offset:         104
        .size:           8
        .value_kind:     global_buffer
      - .actual_access:  read_only
        .address_space:  global
        .offset:         112
        .size:           8
        .value_kind:     global_buffer
      - .offset:         120
        .size:           4
        .value_kind:     by_value
      - .address_space:  global
        .offset:         128
        .size:           8
        .value_kind:     global_buffer
      - .address_space:  global
        .offset:         136
        .size:           8
        .value_kind:     global_buffer
      - .offset:         144
        .size:           4
        .value_kind:     hidden_block_count_x
      - .offset:         148
        .size:           4
        .value_kind:     hidden_block_count_y
      - .offset:         152
        .size:           4
        .value_kind:     hidden_block_count_z
      - .offset:         156
        .size:           2
        .value_kind:     hidden_group_size_x
      - .offset:         158
        .size:           2
        .value_kind:     hidden_group_size_y
      - .offset:         160
        .size:           2
        .value_kind:     hidden_group_size_z
      - .offset:         162
        .size:           2
        .value_kind:     hidden_remainder_x
      - .offset:         164
        .size:           2
        .value_kind:     hidden_remainder_y
      - .offset:         166
        .size:           2
        .value_kind:     hidden_remainder_z
      - .offset:         184
        .size:           8
        .value_kind:     hidden_global_offset_x
      - .offset:         192
        .size:           8
        .value_kind:     hidden_global_offset_y
      - .offset:         200
        .size:           8
        .value_kind:     hidden_global_offset_z
      - .offset:         208
        .size:           2
        .value_kind:     hidden_grid_dims
    .group_segment_fixed_size: 17472
    .kernarg_segment_align: 8
    .kernarg_segment_size: 400
    .language:       OpenCL C
    .language_version:
      - 2
      - 0
    .max_flat_workgroup_size: 256
    .name:           _Z39paged_attention_ll4mi_QKV_mfma16_kernelIDF16_hLN4vllm18Fp8KVCacheDataTypeE1EDF16_Li16ELi64ELi256ELb1ELi10EL8MFMAType1EEvPKT_PKT0_S8_ifPKiSA_SA_iPKfiiiPfSD_PS3_PT2_iSC_SC_
    .private_segment_fixed_size: 0
    .sgpr_count:     38
    .sgpr_spill_count: 0
    .symbol:         _Z39paged_attention_ll4mi_QKV_mfma16_kernelIDF16_hLN4vllm18Fp8KVCacheDataTypeE1EDF16_Li16ELi64ELi256ELb1ELi10EL8MFMAType1EEvPKT_PKT0_S8_ifPKiSA_SA_iPKfiiiPfSD_PS3_PT2_iSC_SC_.kd
    .uniform_work_group_size: 1
    .uses_dynamic_stack: false
    .vgpr_count:     146
    .vgpr_spill_count: 0
    .wavefront_size: 32
    .workgroup_processor_mode: 1
  - .args:
      - .actual_access:  read_only
        .address_space:  global
        .offset:         0
        .size:           8
        .value_kind:     global_buffer
      - .actual_access:  read_only
        .address_space:  global
        .offset:         8
        .size:           8
        .value_kind:     global_buffer
      - .actual_access:  read_only
        .address_space:  global
        .offset:         16
        .size:           8
        .value_kind:     global_buffer
      - .offset:         24
        .size:           4
        .value_kind:     by_value
      - .offset:         28
        .size:           4
        .value_kind:     by_value
      - .actual_access:  read_only
        .address_space:  global
        .offset:         32
        .size:           8
        .value_kind:     global_buffer
      - .actual_access:  read_only
        .address_space:  global
        .offset:         40
        .size:           8
        .value_kind:     global_buffer
      - .actual_access:  read_only
        .address_space:  global
        .offset:         48
        .size:           8
        .value_kind:     global_buffer
      - .offset:         56
        .size:           4
        .value_kind:     by_value
      - .actual_access:  read_only
        .address_space:  global
        .offset:         64
        .size:           8
        .value_kind:     global_buffer
      - .offset:         72
        .size:           4
        .value_kind:     by_value
      - .offset:         76
        .size:           4
        .value_kind:     by_value
      - .offset:         80
        .size:           4
        .value_kind:     by_value
      - .actual_access:  write_only
        .address_space:  global
        .offset:         88
        .size:           8
        .value_kind:     global_buffer
      - .actual_access:  write_only
        .address_space:  global
        .offset:         96
        .size:           8
        .value_kind:     global_buffer
      - .actual_access:  write_only
        .address_space:  global
        .offset:         104
        .size:           8
        .value_kind:     global_buffer
      - .actual_access:  read_only
        .address_space:  global
        .offset:         112
        .size:           8
        .value_kind:     global_buffer
      - .offset:         120
        .size:           4
        .value_kind:     by_value
      - .address_space:  global
        .offset:         128
        .size:           8
        .value_kind:     global_buffer
      - .address_space:  global
        .offset:         136
        .size:           8
        .value_kind:     global_buffer
      - .offset:         144
        .size:           4
        .value_kind:     hidden_block_count_x
      - .offset:         148
        .size:           4
        .value_kind:     hidden_block_count_y
      - .offset:         152
        .size:           4
        .value_kind:     hidden_block_count_z
      - .offset:         156
        .size:           2
        .value_kind:     hidden_group_size_x
      - .offset:         158
        .size:           2
        .value_kind:     hidden_group_size_y
      - .offset:         160
        .size:           2
        .value_kind:     hidden_group_size_z
      - .offset:         162
        .size:           2
        .value_kind:     hidden_remainder_x
      - .offset:         164
        .size:           2
        .value_kind:     hidden_remainder_y
      - .offset:         166
        .size:           2
        .value_kind:     hidden_remainder_z
      - .offset:         184
        .size:           8
        .value_kind:     hidden_global_offset_x
      - .offset:         192
        .size:           8
        .value_kind:     hidden_global_offset_y
      - .offset:         200
        .size:           8
        .value_kind:     hidden_global_offset_z
      - .offset:         208
        .size:           2
        .value_kind:     hidden_grid_dims
    .group_segment_fixed_size: 17472
    .kernarg_segment_align: 8
    .kernarg_segment_size: 400
    .language:       OpenCL C
    .language_version:
      - 2
      - 0
    .max_flat_workgroup_size: 256
    .name:           _Z39paged_attention_ll4mi_QKV_mfma16_kernelIDF16_hLN4vllm18Fp8KVCacheDataTypeE1EDF16_Li16ELi64ELi256ELb1ELi11EL8MFMAType1EEvPKT_PKT0_S8_ifPKiSA_SA_iPKfiiiPfSD_PS3_PT2_iSC_SC_
    .private_segment_fixed_size: 0
    .sgpr_count:     39
    .sgpr_spill_count: 0
    .symbol:         _Z39paged_attention_ll4mi_QKV_mfma16_kernelIDF16_hLN4vllm18Fp8KVCacheDataTypeE1EDF16_Li16ELi64ELi256ELb1ELi11EL8MFMAType1EEvPKT_PKT0_S8_ifPKiSA_SA_iPKfiiiPfSD_PS3_PT2_iSC_SC_.kd
    .uniform_work_group_size: 1
    .uses_dynamic_stack: false
    .vgpr_count:     146
    .vgpr_spill_count: 0
    .wavefront_size: 32
    .workgroup_processor_mode: 1
  - .args:
      - .actual_access:  read_only
        .address_space:  global
        .offset:         0
        .size:           8
        .value_kind:     global_buffer
      - .actual_access:  read_only
        .address_space:  global
        .offset:         8
        .size:           8
        .value_kind:     global_buffer
      - .actual_access:  read_only
        .address_space:  global
        .offset:         16
        .size:           8
        .value_kind:     global_buffer
      - .offset:         24
        .size:           4
        .value_kind:     by_value
      - .offset:         28
        .size:           4
        .value_kind:     by_value
      - .actual_access:  read_only
        .address_space:  global
        .offset:         32
        .size:           8
        .value_kind:     global_buffer
      - .actual_access:  read_only
        .address_space:  global
        .offset:         40
        .size:           8
        .value_kind:     global_buffer
      - .actual_access:  read_only
        .address_space:  global
        .offset:         48
        .size:           8
        .value_kind:     global_buffer
      - .offset:         56
        .size:           4
        .value_kind:     by_value
      - .actual_access:  read_only
        .address_space:  global
        .offset:         64
        .size:           8
        .value_kind:     global_buffer
      - .offset:         72
        .size:           4
        .value_kind:     by_value
      - .offset:         76
        .size:           4
        .value_kind:     by_value
      - .offset:         80
        .size:           4
        .value_kind:     by_value
      - .actual_access:  write_only
        .address_space:  global
        .offset:         88
        .size:           8
        .value_kind:     global_buffer
      - .actual_access:  write_only
        .address_space:  global
        .offset:         96
        .size:           8
        .value_kind:     global_buffer
      - .actual_access:  write_only
        .address_space:  global
        .offset:         104
        .size:           8
        .value_kind:     global_buffer
      - .actual_access:  read_only
        .address_space:  global
        .offset:         112
        .size:           8
        .value_kind:     global_buffer
      - .offset:         120
        .size:           4
        .value_kind:     by_value
      - .address_space:  global
        .offset:         128
        .size:           8
        .value_kind:     global_buffer
      - .address_space:  global
        .offset:         136
        .size:           8
        .value_kind:     global_buffer
      - .offset:         144
        .size:           4
        .value_kind:     hidden_block_count_x
      - .offset:         148
        .size:           4
        .value_kind:     hidden_block_count_y
      - .offset:         152
        .size:           4
        .value_kind:     hidden_block_count_z
      - .offset:         156
        .size:           2
        .value_kind:     hidden_group_size_x
      - .offset:         158
        .size:           2
        .value_kind:     hidden_group_size_y
      - .offset:         160
        .size:           2
        .value_kind:     hidden_group_size_z
      - .offset:         162
        .size:           2
        .value_kind:     hidden_remainder_x
      - .offset:         164
        .size:           2
        .value_kind:     hidden_remainder_y
      - .offset:         166
        .size:           2
        .value_kind:     hidden_remainder_z
      - .offset:         184
        .size:           8
        .value_kind:     hidden_global_offset_x
      - .offset:         192
        .size:           8
        .value_kind:     hidden_global_offset_y
      - .offset:         200
        .size:           8
        .value_kind:     hidden_global_offset_z
      - .offset:         208
        .size:           2
        .value_kind:     hidden_grid_dims
    .group_segment_fixed_size: 17472
    .kernarg_segment_align: 8
    .kernarg_segment_size: 400
    .language:       OpenCL C
    .language_version:
      - 2
      - 0
    .max_flat_workgroup_size: 256
    .name:           _Z39paged_attention_ll4mi_QKV_mfma16_kernelIDF16_hLN4vllm18Fp8KVCacheDataTypeE1EDF16_Li16ELi64ELi256ELb1ELi12EL8MFMAType1EEvPKT_PKT0_S8_ifPKiSA_SA_iPKfiiiPfSD_PS3_PT2_iSC_SC_
    .private_segment_fixed_size: 0
    .sgpr_count:     38
    .sgpr_spill_count: 0
    .symbol:         _Z39paged_attention_ll4mi_QKV_mfma16_kernelIDF16_hLN4vllm18Fp8KVCacheDataTypeE1EDF16_Li16ELi64ELi256ELb1ELi12EL8MFMAType1EEvPKT_PKT0_S8_ifPKiSA_SA_iPKfiiiPfSD_PS3_PT2_iSC_SC_.kd
    .uniform_work_group_size: 1
    .uses_dynamic_stack: false
    .vgpr_count:     146
    .vgpr_spill_count: 0
    .wavefront_size: 32
    .workgroup_processor_mode: 1
  - .args:
      - .actual_access:  read_only
        .address_space:  global
        .offset:         0
        .size:           8
        .value_kind:     global_buffer
      - .actual_access:  read_only
        .address_space:  global
        .offset:         8
        .size:           8
        .value_kind:     global_buffer
      - .actual_access:  read_only
        .address_space:  global
        .offset:         16
        .size:           8
        .value_kind:     global_buffer
      - .offset:         24
        .size:           4
        .value_kind:     by_value
      - .offset:         28
        .size:           4
        .value_kind:     by_value
      - .actual_access:  read_only
        .address_space:  global
        .offset:         32
        .size:           8
        .value_kind:     global_buffer
      - .actual_access:  read_only
        .address_space:  global
        .offset:         40
        .size:           8
        .value_kind:     global_buffer
      - .actual_access:  read_only
        .address_space:  global
        .offset:         48
        .size:           8
        .value_kind:     global_buffer
      - .offset:         56
        .size:           4
        .value_kind:     by_value
      - .actual_access:  read_only
        .address_space:  global
        .offset:         64
        .size:           8
        .value_kind:     global_buffer
      - .offset:         72
        .size:           4
        .value_kind:     by_value
      - .offset:         76
        .size:           4
        .value_kind:     by_value
      - .offset:         80
        .size:           4
        .value_kind:     by_value
      - .actual_access:  write_only
        .address_space:  global
        .offset:         88
        .size:           8
        .value_kind:     global_buffer
      - .actual_access:  write_only
        .address_space:  global
        .offset:         96
        .size:           8
        .value_kind:     global_buffer
      - .actual_access:  write_only
        .address_space:  global
        .offset:         104
        .size:           8
        .value_kind:     global_buffer
      - .actual_access:  read_only
        .address_space:  global
        .offset:         112
        .size:           8
        .value_kind:     global_buffer
      - .offset:         120
        .size:           4
        .value_kind:     by_value
      - .address_space:  global
        .offset:         128
        .size:           8
        .value_kind:     global_buffer
      - .address_space:  global
        .offset:         136
        .size:           8
        .value_kind:     global_buffer
      - .offset:         144
        .size:           4
        .value_kind:     hidden_block_count_x
      - .offset:         148
        .size:           4
        .value_kind:     hidden_block_count_y
      - .offset:         152
        .size:           4
        .value_kind:     hidden_block_count_z
      - .offset:         156
        .size:           2
        .value_kind:     hidden_group_size_x
      - .offset:         158
        .size:           2
        .value_kind:     hidden_group_size_y
      - .offset:         160
        .size:           2
        .value_kind:     hidden_group_size_z
      - .offset:         162
        .size:           2
        .value_kind:     hidden_remainder_x
      - .offset:         164
        .size:           2
        .value_kind:     hidden_remainder_y
      - .offset:         166
        .size:           2
        .value_kind:     hidden_remainder_z
      - .offset:         184
        .size:           8
        .value_kind:     hidden_global_offset_x
      - .offset:         192
        .size:           8
        .value_kind:     hidden_global_offset_y
      - .offset:         200
        .size:           8
        .value_kind:     hidden_global_offset_z
      - .offset:         208
        .size:           2
        .value_kind:     hidden_grid_dims
    .group_segment_fixed_size: 17472
    .kernarg_segment_align: 8
    .kernarg_segment_size: 400
    .language:       OpenCL C
    .language_version:
      - 2
      - 0
    .max_flat_workgroup_size: 256
    .name:           _Z39paged_attention_ll4mi_QKV_mfma16_kernelIDF16_hLN4vllm18Fp8KVCacheDataTypeE1EDF16_Li16ELi64ELi256ELb1ELi13EL8MFMAType1EEvPKT_PKT0_S8_ifPKiSA_SA_iPKfiiiPfSD_PS3_PT2_iSC_SC_
    .private_segment_fixed_size: 0
    .sgpr_count:     39
    .sgpr_spill_count: 0
    .symbol:         _Z39paged_attention_ll4mi_QKV_mfma16_kernelIDF16_hLN4vllm18Fp8KVCacheDataTypeE1EDF16_Li16ELi64ELi256ELb1ELi13EL8MFMAType1EEvPKT_PKT0_S8_ifPKiSA_SA_iPKfiiiPfSD_PS3_PT2_iSC_SC_.kd
    .uniform_work_group_size: 1
    .uses_dynamic_stack: false
    .vgpr_count:     146
    .vgpr_spill_count: 0
    .wavefront_size: 32
    .workgroup_processor_mode: 1
  - .args:
      - .actual_access:  read_only
        .address_space:  global
        .offset:         0
        .size:           8
        .value_kind:     global_buffer
      - .actual_access:  read_only
        .address_space:  global
        .offset:         8
        .size:           8
        .value_kind:     global_buffer
      - .actual_access:  read_only
        .address_space:  global
        .offset:         16
        .size:           8
        .value_kind:     global_buffer
      - .offset:         24
        .size:           4
        .value_kind:     by_value
      - .offset:         28
        .size:           4
        .value_kind:     by_value
      - .actual_access:  read_only
        .address_space:  global
        .offset:         32
        .size:           8
        .value_kind:     global_buffer
      - .actual_access:  read_only
        .address_space:  global
        .offset:         40
        .size:           8
        .value_kind:     global_buffer
      - .actual_access:  read_only
        .address_space:  global
        .offset:         48
        .size:           8
        .value_kind:     global_buffer
      - .offset:         56
        .size:           4
        .value_kind:     by_value
      - .actual_access:  read_only
        .address_space:  global
        .offset:         64
        .size:           8
        .value_kind:     global_buffer
      - .offset:         72
        .size:           4
        .value_kind:     by_value
      - .offset:         76
        .size:           4
        .value_kind:     by_value
      - .offset:         80
        .size:           4
        .value_kind:     by_value
      - .actual_access:  write_only
        .address_space:  global
        .offset:         88
        .size:           8
        .value_kind:     global_buffer
      - .actual_access:  write_only
        .address_space:  global
        .offset:         96
        .size:           8
        .value_kind:     global_buffer
      - .actual_access:  write_only
        .address_space:  global
        .offset:         104
        .size:           8
        .value_kind:     global_buffer
      - .actual_access:  read_only
        .address_space:  global
        .offset:         112
        .size:           8
        .value_kind:     global_buffer
      - .offset:         120
        .size:           4
        .value_kind:     by_value
      - .address_space:  global
        .offset:         128
        .size:           8
        .value_kind:     global_buffer
      - .address_space:  global
        .offset:         136
        .size:           8
        .value_kind:     global_buffer
      - .offset:         144
        .size:           4
        .value_kind:     hidden_block_count_x
      - .offset:         148
        .size:           4
        .value_kind:     hidden_block_count_y
      - .offset:         152
        .size:           4
        .value_kind:     hidden_block_count_z
      - .offset:         156
        .size:           2
        .value_kind:     hidden_group_size_x
      - .offset:         158
        .size:           2
        .value_kind:     hidden_group_size_y
      - .offset:         160
        .size:           2
        .value_kind:     hidden_group_size_z
      - .offset:         162
        .size:           2
        .value_kind:     hidden_remainder_x
      - .offset:         164
        .size:           2
        .value_kind:     hidden_remainder_y
      - .offset:         166
        .size:           2
        .value_kind:     hidden_remainder_z
      - .offset:         184
        .size:           8
        .value_kind:     hidden_global_offset_x
      - .offset:         192
        .size:           8
        .value_kind:     hidden_global_offset_y
      - .offset:         200
        .size:           8
        .value_kind:     hidden_global_offset_z
      - .offset:         208
        .size:           2
        .value_kind:     hidden_grid_dims
    .group_segment_fixed_size: 17472
    .kernarg_segment_align: 8
    .kernarg_segment_size: 400
    .language:       OpenCL C
    .language_version:
      - 2
      - 0
    .max_flat_workgroup_size: 256
    .name:           _Z39paged_attention_ll4mi_QKV_mfma16_kernelIDF16_hLN4vllm18Fp8KVCacheDataTypeE1EDF16_Li16ELi64ELi256ELb1ELi14EL8MFMAType1EEvPKT_PKT0_S8_ifPKiSA_SA_iPKfiiiPfSD_PS3_PT2_iSC_SC_
    .private_segment_fixed_size: 0
    .sgpr_count:     38
    .sgpr_spill_count: 0
    .symbol:         _Z39paged_attention_ll4mi_QKV_mfma16_kernelIDF16_hLN4vllm18Fp8KVCacheDataTypeE1EDF16_Li16ELi64ELi256ELb1ELi14EL8MFMAType1EEvPKT_PKT0_S8_ifPKiSA_SA_iPKfiiiPfSD_PS3_PT2_iSC_SC_.kd
    .uniform_work_group_size: 1
    .uses_dynamic_stack: false
    .vgpr_count:     146
    .vgpr_spill_count: 0
    .wavefront_size: 32
    .workgroup_processor_mode: 1
  - .args:
      - .actual_access:  read_only
        .address_space:  global
        .offset:         0
        .size:           8
        .value_kind:     global_buffer
      - .actual_access:  read_only
        .address_space:  global
        .offset:         8
        .size:           8
        .value_kind:     global_buffer
      - .actual_access:  read_only
        .address_space:  global
        .offset:         16
        .size:           8
        .value_kind:     global_buffer
      - .offset:         24
        .size:           4
        .value_kind:     by_value
      - .offset:         28
        .size:           4
        .value_kind:     by_value
      - .actual_access:  read_only
        .address_space:  global
        .offset:         32
        .size:           8
        .value_kind:     global_buffer
      - .actual_access:  read_only
        .address_space:  global
        .offset:         40
        .size:           8
        .value_kind:     global_buffer
      - .actual_access:  read_only
        .address_space:  global
        .offset:         48
        .size:           8
        .value_kind:     global_buffer
      - .offset:         56
        .size:           4
        .value_kind:     by_value
      - .actual_access:  read_only
        .address_space:  global
        .offset:         64
        .size:           8
        .value_kind:     global_buffer
      - .offset:         72
        .size:           4
        .value_kind:     by_value
      - .offset:         76
        .size:           4
        .value_kind:     by_value
      - .offset:         80
        .size:           4
        .value_kind:     by_value
      - .actual_access:  write_only
        .address_space:  global
        .offset:         88
        .size:           8
        .value_kind:     global_buffer
      - .actual_access:  write_only
        .address_space:  global
        .offset:         96
        .size:           8
        .value_kind:     global_buffer
      - .actual_access:  write_only
        .address_space:  global
        .offset:         104
        .size:           8
        .value_kind:     global_buffer
      - .actual_access:  read_only
        .address_space:  global
        .offset:         112
        .size:           8
        .value_kind:     global_buffer
      - .offset:         120
        .size:           4
        .value_kind:     by_value
      - .address_space:  global
        .offset:         128
        .size:           8
        .value_kind:     global_buffer
      - .address_space:  global
        .offset:         136
        .size:           8
        .value_kind:     global_buffer
      - .offset:         144
        .size:           4
        .value_kind:     hidden_block_count_x
      - .offset:         148
        .size:           4
        .value_kind:     hidden_block_count_y
      - .offset:         152
        .size:           4
        .value_kind:     hidden_block_count_z
      - .offset:         156
        .size:           2
        .value_kind:     hidden_group_size_x
      - .offset:         158
        .size:           2
        .value_kind:     hidden_group_size_y
      - .offset:         160
        .size:           2
        .value_kind:     hidden_group_size_z
      - .offset:         162
        .size:           2
        .value_kind:     hidden_remainder_x
      - .offset:         164
        .size:           2
        .value_kind:     hidden_remainder_y
      - .offset:         166
        .size:           2
        .value_kind:     hidden_remainder_z
      - .offset:         184
        .size:           8
        .value_kind:     hidden_global_offset_x
      - .offset:         192
        .size:           8
        .value_kind:     hidden_global_offset_y
      - .offset:         200
        .size:           8
        .value_kind:     hidden_global_offset_z
      - .offset:         208
        .size:           2
        .value_kind:     hidden_grid_dims
    .group_segment_fixed_size: 17472
    .kernarg_segment_align: 8
    .kernarg_segment_size: 400
    .language:       OpenCL C
    .language_version:
      - 2
      - 0
    .max_flat_workgroup_size: 256
    .name:           _Z39paged_attention_ll4mi_QKV_mfma16_kernelIDF16_hLN4vllm18Fp8KVCacheDataTypeE1EDF16_Li16ELi64ELi256ELb1ELi15EL8MFMAType1EEvPKT_PKT0_S8_ifPKiSA_SA_iPKfiiiPfSD_PS3_PT2_iSC_SC_
    .private_segment_fixed_size: 0
    .sgpr_count:     39
    .sgpr_spill_count: 0
    .symbol:         _Z39paged_attention_ll4mi_QKV_mfma16_kernelIDF16_hLN4vllm18Fp8KVCacheDataTypeE1EDF16_Li16ELi64ELi256ELb1ELi15EL8MFMAType1EEvPKT_PKT0_S8_ifPKiSA_SA_iPKfiiiPfSD_PS3_PT2_iSC_SC_.kd
    .uniform_work_group_size: 1
    .uses_dynamic_stack: false
    .vgpr_count:     146
    .vgpr_spill_count: 0
    .wavefront_size: 32
    .workgroup_processor_mode: 1
  - .args:
      - .actual_access:  read_only
        .address_space:  global
        .offset:         0
        .size:           8
        .value_kind:     global_buffer
      - .actual_access:  read_only
        .address_space:  global
        .offset:         8
        .size:           8
        .value_kind:     global_buffer
      - .actual_access:  read_only
        .address_space:  global
        .offset:         16
        .size:           8
        .value_kind:     global_buffer
      - .offset:         24
        .size:           4
        .value_kind:     by_value
      - .offset:         28
        .size:           4
        .value_kind:     by_value
      - .actual_access:  read_only
        .address_space:  global
        .offset:         32
        .size:           8
        .value_kind:     global_buffer
      - .actual_access:  read_only
        .address_space:  global
        .offset:         40
        .size:           8
        .value_kind:     global_buffer
      - .actual_access:  read_only
        .address_space:  global
        .offset:         48
        .size:           8
        .value_kind:     global_buffer
      - .offset:         56
        .size:           4
        .value_kind:     by_value
      - .actual_access:  read_only
        .address_space:  global
        .offset:         64
        .size:           8
        .value_kind:     global_buffer
      - .offset:         72
        .size:           4
        .value_kind:     by_value
      - .offset:         76
        .size:           4
        .value_kind:     by_value
      - .offset:         80
        .size:           4
        .value_kind:     by_value
      - .actual_access:  write_only
        .address_space:  global
        .offset:         88
        .size:           8
        .value_kind:     global_buffer
      - .actual_access:  write_only
        .address_space:  global
        .offset:         96
        .size:           8
        .value_kind:     global_buffer
      - .actual_access:  write_only
        .address_space:  global
        .offset:         104
        .size:           8
        .value_kind:     global_buffer
      - .actual_access:  read_only
        .address_space:  global
        .offset:         112
        .size:           8
        .value_kind:     global_buffer
      - .offset:         120
        .size:           4
        .value_kind:     by_value
      - .address_space:  global
        .offset:         128
        .size:           8
        .value_kind:     global_buffer
      - .address_space:  global
        .offset:         136
        .size:           8
        .value_kind:     global_buffer
      - .offset:         144
        .size:           4
        .value_kind:     hidden_block_count_x
      - .offset:         148
        .size:           4
        .value_kind:     hidden_block_count_y
      - .offset:         152
        .size:           4
        .value_kind:     hidden_block_count_z
      - .offset:         156
        .size:           2
        .value_kind:     hidden_group_size_x
      - .offset:         158
        .size:           2
        .value_kind:     hidden_group_size_y
      - .offset:         160
        .size:           2
        .value_kind:     hidden_group_size_z
      - .offset:         162
        .size:           2
        .value_kind:     hidden_remainder_x
      - .offset:         164
        .size:           2
        .value_kind:     hidden_remainder_y
      - .offset:         166
        .size:           2
        .value_kind:     hidden_remainder_z
      - .offset:         184
        .size:           8
        .value_kind:     hidden_global_offset_x
      - .offset:         192
        .size:           8
        .value_kind:     hidden_global_offset_y
      - .offset:         200
        .size:           8
        .value_kind:     hidden_global_offset_z
      - .offset:         208
        .size:           2
        .value_kind:     hidden_grid_dims
    .group_segment_fixed_size: 17472
    .kernarg_segment_align: 8
    .kernarg_segment_size: 400
    .language:       OpenCL C
    .language_version:
      - 2
      - 0
    .max_flat_workgroup_size: 256
    .name:           _Z39paged_attention_ll4mi_QKV_mfma16_kernelIDF16_hLN4vllm18Fp8KVCacheDataTypeE1EDF16_Li16ELi64ELi256ELb1ELi16EL8MFMAType1EEvPKT_PKT0_S8_ifPKiSA_SA_iPKfiiiPfSD_PS3_PT2_iSC_SC_
    .private_segment_fixed_size: 0
    .sgpr_count:     42
    .sgpr_spill_count: 0
    .symbol:         _Z39paged_attention_ll4mi_QKV_mfma16_kernelIDF16_hLN4vllm18Fp8KVCacheDataTypeE1EDF16_Li16ELi64ELi256ELb1ELi16EL8MFMAType1EEvPKT_PKT0_S8_ifPKiSA_SA_iPKfiiiPfSD_PS3_PT2_iSC_SC_.kd
    .uniform_work_group_size: 1
    .uses_dynamic_stack: false
    .vgpr_count:     123
    .vgpr_spill_count: 0
    .wavefront_size: 32
    .workgroup_processor_mode: 1
  - .args:
      - .actual_access:  read_only
        .address_space:  global
        .offset:         0
        .size:           8
        .value_kind:     global_buffer
      - .actual_access:  read_only
        .address_space:  global
        .offset:         8
        .size:           8
        .value_kind:     global_buffer
      - .actual_access:  read_only
        .address_space:  global
        .offset:         16
        .size:           8
        .value_kind:     global_buffer
      - .offset:         24
        .size:           4
        .value_kind:     by_value
      - .offset:         28
        .size:           4
        .value_kind:     by_value
      - .actual_access:  read_only
        .address_space:  global
        .offset:         32
        .size:           8
        .value_kind:     global_buffer
      - .actual_access:  read_only
        .address_space:  global
        .offset:         40
        .size:           8
        .value_kind:     global_buffer
      - .actual_access:  read_only
        .address_space:  global
        .offset:         48
        .size:           8
        .value_kind:     global_buffer
      - .offset:         56
        .size:           4
        .value_kind:     by_value
      - .actual_access:  read_only
        .address_space:  global
        .offset:         64
        .size:           8
        .value_kind:     global_buffer
      - .offset:         72
        .size:           4
        .value_kind:     by_value
      - .offset:         76
        .size:           4
        .value_kind:     by_value
      - .offset:         80
        .size:           4
        .value_kind:     by_value
      - .actual_access:  write_only
        .address_space:  global
        .offset:         88
        .size:           8
        .value_kind:     global_buffer
      - .actual_access:  write_only
        .address_space:  global
        .offset:         96
        .size:           8
        .value_kind:     global_buffer
      - .actual_access:  write_only
        .address_space:  global
        .offset:         104
        .size:           8
        .value_kind:     global_buffer
      - .actual_access:  read_only
        .address_space:  global
        .offset:         112
        .size:           8
        .value_kind:     global_buffer
      - .offset:         120
        .size:           4
        .value_kind:     by_value
      - .address_space:  global
        .offset:         128
        .size:           8
        .value_kind:     global_buffer
      - .address_space:  global
        .offset:         136
        .size:           8
        .value_kind:     global_buffer
      - .offset:         144
        .size:           4
        .value_kind:     hidden_block_count_x
      - .offset:         148
        .size:           4
        .value_kind:     hidden_block_count_y
      - .offset:         152
        .size:           4
        .value_kind:     hidden_block_count_z
      - .offset:         156
        .size:           2
        .value_kind:     hidden_group_size_x
      - .offset:         158
        .size:           2
        .value_kind:     hidden_group_size_y
      - .offset:         160
        .size:           2
        .value_kind:     hidden_group_size_z
      - .offset:         162
        .size:           2
        .value_kind:     hidden_remainder_x
      - .offset:         164
        .size:           2
        .value_kind:     hidden_remainder_y
      - .offset:         166
        .size:           2
        .value_kind:     hidden_remainder_z
      - .offset:         184
        .size:           8
        .value_kind:     hidden_global_offset_x
      - .offset:         192
        .size:           8
        .value_kind:     hidden_global_offset_y
      - .offset:         200
        .size:           8
        .value_kind:     hidden_global_offset_z
      - .offset:         208
        .size:           2
        .value_kind:     hidden_grid_dims
    .group_segment_fixed_size: 17472
    .kernarg_segment_align: 8
    .kernarg_segment_size: 400
    .language:       OpenCL C
    .language_version:
      - 2
      - 0
    .max_flat_workgroup_size: 256
    .name:           _Z39paged_attention_ll4mi_QKV_mfma16_kernelIDF16_hLN4vllm18Fp8KVCacheDataTypeE1EDF16_Li16ELi64ELi256ELb1ELi1EL8MFMAType1EEvPKT_PKT0_S8_ifPKiSA_SA_iPKfiiiPfSD_PS3_PT2_iSC_SC_
    .private_segment_fixed_size: 0
    .sgpr_count:     50
    .sgpr_spill_count: 0
    .symbol:         _Z39paged_attention_ll4mi_QKV_mfma16_kernelIDF16_hLN4vllm18Fp8KVCacheDataTypeE1EDF16_Li16ELi64ELi256ELb1ELi1EL8MFMAType1EEvPKT_PKT0_S8_ifPKiSA_SA_iPKfiiiPfSD_PS3_PT2_iSC_SC_.kd
    .uniform_work_group_size: 1
    .uses_dynamic_stack: false
    .vgpr_count:     144
    .vgpr_spill_count: 0
    .wavefront_size: 32
    .workgroup_processor_mode: 1
  - .args:
      - .actual_access:  read_only
        .address_space:  global
        .offset:         0
        .size:           8
        .value_kind:     global_buffer
      - .actual_access:  read_only
        .address_space:  global
        .offset:         8
        .size:           8
        .value_kind:     global_buffer
      - .actual_access:  read_only
        .address_space:  global
        .offset:         16
        .size:           8
        .value_kind:     global_buffer
      - .offset:         24
        .size:           4
        .value_kind:     by_value
      - .offset:         28
        .size:           4
        .value_kind:     by_value
      - .actual_access:  read_only
        .address_space:  global
        .offset:         32
        .size:           8
        .value_kind:     global_buffer
      - .actual_access:  read_only
        .address_space:  global
        .offset:         40
        .size:           8
        .value_kind:     global_buffer
      - .actual_access:  read_only
        .address_space:  global
        .offset:         48
        .size:           8
        .value_kind:     global_buffer
      - .offset:         56
        .size:           4
        .value_kind:     by_value
      - .actual_access:  read_only
        .address_space:  global
        .offset:         64
        .size:           8
        .value_kind:     global_buffer
      - .offset:         72
        .size:           4
        .value_kind:     by_value
      - .offset:         76
        .size:           4
        .value_kind:     by_value
      - .offset:         80
        .size:           4
        .value_kind:     by_value
      - .actual_access:  write_only
        .address_space:  global
        .offset:         88
        .size:           8
        .value_kind:     global_buffer
      - .actual_access:  write_only
        .address_space:  global
        .offset:         96
        .size:           8
        .value_kind:     global_buffer
      - .actual_access:  write_only
        .address_space:  global
        .offset:         104
        .size:           8
        .value_kind:     global_buffer
      - .actual_access:  read_only
        .address_space:  global
        .offset:         112
        .size:           8
        .value_kind:     global_buffer
      - .offset:         120
        .size:           4
        .value_kind:     by_value
      - .address_space:  global
        .offset:         128
        .size:           8
        .value_kind:     global_buffer
      - .address_space:  global
        .offset:         136
        .size:           8
        .value_kind:     global_buffer
      - .offset:         144
        .size:           4
        .value_kind:     hidden_block_count_x
      - .offset:         148
        .size:           4
        .value_kind:     hidden_block_count_y
      - .offset:         152
        .size:           4
        .value_kind:     hidden_block_count_z
      - .offset:         156
        .size:           2
        .value_kind:     hidden_group_size_x
      - .offset:         158
        .size:           2
        .value_kind:     hidden_group_size_y
      - .offset:         160
        .size:           2
        .value_kind:     hidden_group_size_z
      - .offset:         162
        .size:           2
        .value_kind:     hidden_remainder_x
      - .offset:         164
        .size:           2
        .value_kind:     hidden_remainder_y
      - .offset:         166
        .size:           2
        .value_kind:     hidden_remainder_z
      - .offset:         184
        .size:           8
        .value_kind:     hidden_global_offset_x
      - .offset:         192
        .size:           8
        .value_kind:     hidden_global_offset_y
      - .offset:         200
        .size:           8
        .value_kind:     hidden_global_offset_z
      - .offset:         208
        .size:           2
        .value_kind:     hidden_grid_dims
    .group_segment_fixed_size: 17472
    .kernarg_segment_align: 8
    .kernarg_segment_size: 400
    .language:       OpenCL C
    .language_version:
      - 2
      - 0
    .max_flat_workgroup_size: 256
    .name:           _Z39paged_attention_ll4mi_QKV_mfma16_kernelIDF16_hLN4vllm18Fp8KVCacheDataTypeE1EDF16_Li16ELi64ELi256ELb1ELi2EL8MFMAType1EEvPKT_PKT0_S8_ifPKiSA_SA_iPKfiiiPfSD_PS3_PT2_iSC_SC_
    .private_segment_fixed_size: 0
    .sgpr_count:     38
    .sgpr_spill_count: 0
    .symbol:         _Z39paged_attention_ll4mi_QKV_mfma16_kernelIDF16_hLN4vllm18Fp8KVCacheDataTypeE1EDF16_Li16ELi64ELi256ELb1ELi2EL8MFMAType1EEvPKT_PKT0_S8_ifPKiSA_SA_iPKfiiiPfSD_PS3_PT2_iSC_SC_.kd
    .uniform_work_group_size: 1
    .uses_dynamic_stack: false
    .vgpr_count:     148
    .vgpr_spill_count: 0
    .wavefront_size: 32
    .workgroup_processor_mode: 1
  - .args:
      - .actual_access:  read_only
        .address_space:  global
        .offset:         0
        .size:           8
        .value_kind:     global_buffer
      - .actual_access:  read_only
        .address_space:  global
        .offset:         8
        .size:           8
        .value_kind:     global_buffer
      - .actual_access:  read_only
        .address_space:  global
        .offset:         16
        .size:           8
        .value_kind:     global_buffer
      - .offset:         24
        .size:           4
        .value_kind:     by_value
      - .offset:         28
        .size:           4
        .value_kind:     by_value
      - .actual_access:  read_only
        .address_space:  global
        .offset:         32
        .size:           8
        .value_kind:     global_buffer
      - .actual_access:  read_only
        .address_space:  global
        .offset:         40
        .size:           8
        .value_kind:     global_buffer
      - .actual_access:  read_only
        .address_space:  global
        .offset:         48
        .size:           8
        .value_kind:     global_buffer
      - .offset:         56
        .size:           4
        .value_kind:     by_value
      - .actual_access:  read_only
        .address_space:  global
        .offset:         64
        .size:           8
        .value_kind:     global_buffer
      - .offset:         72
        .size:           4
        .value_kind:     by_value
      - .offset:         76
        .size:           4
        .value_kind:     by_value
      - .offset:         80
        .size:           4
        .value_kind:     by_value
      - .actual_access:  write_only
        .address_space:  global
        .offset:         88
        .size:           8
        .value_kind:     global_buffer
      - .actual_access:  write_only
        .address_space:  global
        .offset:         96
        .size:           8
        .value_kind:     global_buffer
      - .actual_access:  write_only
        .address_space:  global
        .offset:         104
        .size:           8
        .value_kind:     global_buffer
      - .actual_access:  read_only
        .address_space:  global
        .offset:         112
        .size:           8
        .value_kind:     global_buffer
      - .offset:         120
        .size:           4
        .value_kind:     by_value
      - .address_space:  global
        .offset:         128
        .size:           8
        .value_kind:     global_buffer
      - .address_space:  global
        .offset:         136
        .size:           8
        .value_kind:     global_buffer
      - .offset:         144
        .size:           4
        .value_kind:     hidden_block_count_x
      - .offset:         148
        .size:           4
        .value_kind:     hidden_block_count_y
      - .offset:         152
        .size:           4
        .value_kind:     hidden_block_count_z
      - .offset:         156
        .size:           2
        .value_kind:     hidden_group_size_x
      - .offset:         158
        .size:           2
        .value_kind:     hidden_group_size_y
      - .offset:         160
        .size:           2
        .value_kind:     hidden_group_size_z
      - .offset:         162
        .size:           2
        .value_kind:     hidden_remainder_x
      - .offset:         164
        .size:           2
        .value_kind:     hidden_remainder_y
      - .offset:         166
        .size:           2
        .value_kind:     hidden_remainder_z
      - .offset:         184
        .size:           8
        .value_kind:     hidden_global_offset_x
      - .offset:         192
        .size:           8
        .value_kind:     hidden_global_offset_y
      - .offset:         200
        .size:           8
        .value_kind:     hidden_global_offset_z
      - .offset:         208
        .size:           2
        .value_kind:     hidden_grid_dims
    .group_segment_fixed_size: 17472
    .kernarg_segment_align: 8
    .kernarg_segment_size: 400
    .language:       OpenCL C
    .language_version:
      - 2
      - 0
    .max_flat_workgroup_size: 256
    .name:           _Z39paged_attention_ll4mi_QKV_mfma16_kernelIDF16_hLN4vllm18Fp8KVCacheDataTypeE1EDF16_Li16ELi64ELi256ELb1ELi3EL8MFMAType1EEvPKT_PKT0_S8_ifPKiSA_SA_iPKfiiiPfSD_PS3_PT2_iSC_SC_
    .private_segment_fixed_size: 0
    .sgpr_count:     39
    .sgpr_spill_count: 0
    .symbol:         _Z39paged_attention_ll4mi_QKV_mfma16_kernelIDF16_hLN4vllm18Fp8KVCacheDataTypeE1EDF16_Li16ELi64ELi256ELb1ELi3EL8MFMAType1EEvPKT_PKT0_S8_ifPKiSA_SA_iPKfiiiPfSD_PS3_PT2_iSC_SC_.kd
    .uniform_work_group_size: 1
    .uses_dynamic_stack: false
    .vgpr_count:     146
    .vgpr_spill_count: 0
    .wavefront_size: 32
    .workgroup_processor_mode: 1
  - .args:
      - .actual_access:  read_only
        .address_space:  global
        .offset:         0
        .size:           8
        .value_kind:     global_buffer
      - .actual_access:  read_only
        .address_space:  global
        .offset:         8
        .size:           8
        .value_kind:     global_buffer
      - .actual_access:  read_only
        .address_space:  global
        .offset:         16
        .size:           8
        .value_kind:     global_buffer
      - .offset:         24
        .size:           4
        .value_kind:     by_value
      - .offset:         28
        .size:           4
        .value_kind:     by_value
      - .actual_access:  read_only
        .address_space:  global
        .offset:         32
        .size:           8
        .value_kind:     global_buffer
      - .actual_access:  read_only
        .address_space:  global
        .offset:         40
        .size:           8
        .value_kind:     global_buffer
      - .actual_access:  read_only
        .address_space:  global
        .offset:         48
        .size:           8
        .value_kind:     global_buffer
      - .offset:         56
        .size:           4
        .value_kind:     by_value
      - .actual_access:  read_only
        .address_space:  global
        .offset:         64
        .size:           8
        .value_kind:     global_buffer
      - .offset:         72
        .size:           4
        .value_kind:     by_value
      - .offset:         76
        .size:           4
        .value_kind:     by_value
      - .offset:         80
        .size:           4
        .value_kind:     by_value
      - .actual_access:  write_only
        .address_space:  global
        .offset:         88
        .size:           8
        .value_kind:     global_buffer
      - .actual_access:  write_only
        .address_space:  global
        .offset:         96
        .size:           8
        .value_kind:     global_buffer
      - .actual_access:  write_only
        .address_space:  global
        .offset:         104
        .size:           8
        .value_kind:     global_buffer
      - .actual_access:  read_only
        .address_space:  global
        .offset:         112
        .size:           8
        .value_kind:     global_buffer
      - .offset:         120
        .size:           4
        .value_kind:     by_value
      - .address_space:  global
        .offset:         128
        .size:           8
        .value_kind:     global_buffer
      - .address_space:  global
        .offset:         136
        .size:           8
        .value_kind:     global_buffer
      - .offset:         144
        .size:           4
        .value_kind:     hidden_block_count_x
      - .offset:         148
        .size:           4
        .value_kind:     hidden_block_count_y
      - .offset:         152
        .size:           4
        .value_kind:     hidden_block_count_z
      - .offset:         156
        .size:           2
        .value_kind:     hidden_group_size_x
      - .offset:         158
        .size:           2
        .value_kind:     hidden_group_size_y
      - .offset:         160
        .size:           2
        .value_kind:     hidden_group_size_z
      - .offset:         162
        .size:           2
        .value_kind:     hidden_remainder_x
      - .offset:         164
        .size:           2
        .value_kind:     hidden_remainder_y
      - .offset:         166
        .size:           2
        .value_kind:     hidden_remainder_z
      - .offset:         184
        .size:           8
        .value_kind:     hidden_global_offset_x
      - .offset:         192
        .size:           8
        .value_kind:     hidden_global_offset_y
      - .offset:         200
        .size:           8
        .value_kind:     hidden_global_offset_z
      - .offset:         208
        .size:           2
        .value_kind:     hidden_grid_dims
    .group_segment_fixed_size: 17472
    .kernarg_segment_align: 8
    .kernarg_segment_size: 400
    .language:       OpenCL C
    .language_version:
      - 2
      - 0
    .max_flat_workgroup_size: 256
    .name:           _Z39paged_attention_ll4mi_QKV_mfma16_kernelIDF16_hLN4vllm18Fp8KVCacheDataTypeE1EDF16_Li16ELi64ELi256ELb1ELi4EL8MFMAType1EEvPKT_PKT0_S8_ifPKiSA_SA_iPKfiiiPfSD_PS3_PT2_iSC_SC_
    .private_segment_fixed_size: 0
    .sgpr_count:     42
    .sgpr_spill_count: 0
    .symbol:         _Z39paged_attention_ll4mi_QKV_mfma16_kernelIDF16_hLN4vllm18Fp8KVCacheDataTypeE1EDF16_Li16ELi64ELi256ELb1ELi4EL8MFMAType1EEvPKT_PKT0_S8_ifPKiSA_SA_iPKfiiiPfSD_PS3_PT2_iSC_SC_.kd
    .uniform_work_group_size: 1
    .uses_dynamic_stack: false
    .vgpr_count:     123
    .vgpr_spill_count: 0
    .wavefront_size: 32
    .workgroup_processor_mode: 1
  - .args:
      - .actual_access:  read_only
        .address_space:  global
        .offset:         0
        .size:           8
        .value_kind:     global_buffer
      - .actual_access:  read_only
        .address_space:  global
        .offset:         8
        .size:           8
        .value_kind:     global_buffer
      - .actual_access:  read_only
        .address_space:  global
        .offset:         16
        .size:           8
        .value_kind:     global_buffer
      - .offset:         24
        .size:           4
        .value_kind:     by_value
      - .offset:         28
        .size:           4
        .value_kind:     by_value
      - .actual_access:  read_only
        .address_space:  global
        .offset:         32
        .size:           8
        .value_kind:     global_buffer
      - .actual_access:  read_only
        .address_space:  global
        .offset:         40
        .size:           8
        .value_kind:     global_buffer
      - .actual_access:  read_only
        .address_space:  global
        .offset:         48
        .size:           8
        .value_kind:     global_buffer
      - .offset:         56
        .size:           4
        .value_kind:     by_value
      - .actual_access:  read_only
        .address_space:  global
        .offset:         64
        .size:           8
        .value_kind:     global_buffer
      - .offset:         72
        .size:           4
        .value_kind:     by_value
      - .offset:         76
        .size:           4
        .value_kind:     by_value
      - .offset:         80
        .size:           4
        .value_kind:     by_value
      - .actual_access:  read_only
        .address_space:  global
        .offset:         88
        .size:           8
        .value_kind:     global_buffer
      - .actual_access:  read_only
        .address_space:  global
        .offset:         96
        .size:           8
        .value_kind:     global_buffer
      - .actual_access:  read_only
        .address_space:  global
        .offset:         104
        .size:           8
        .value_kind:     global_buffer
      - .actual_access:  read_only
        .address_space:  global
        .offset:         112
        .size:           8
        .value_kind:     global_buffer
      - .offset:         120
        .size:           4
        .value_kind:     by_value
      - .address_space:  global
        .offset:         128
        .size:           8
        .value_kind:     global_buffer
      - .address_space:  global
        .offset:         136
        .size:           8
        .value_kind:     global_buffer
      - .offset:         144
        .size:           4
        .value_kind:     hidden_block_count_x
      - .offset:         148
        .size:           4
        .value_kind:     hidden_block_count_y
      - .offset:         152
        .size:           4
        .value_kind:     hidden_block_count_z
      - .offset:         156
        .size:           2
        .value_kind:     hidden_group_size_x
      - .offset:         158
        .size:           2
        .value_kind:     hidden_group_size_y
      - .offset:         160
        .size:           2
        .value_kind:     hidden_group_size_z
      - .offset:         162
        .size:           2
        .value_kind:     hidden_remainder_x
      - .offset:         164
        .size:           2
        .value_kind:     hidden_remainder_y
      - .offset:         166
        .size:           2
        .value_kind:     hidden_remainder_z
      - .offset:         184
        .size:           8
        .value_kind:     hidden_global_offset_x
      - .offset:         192
        .size:           8
        .value_kind:     hidden_global_offset_y
      - .offset:         200
        .size:           8
        .value_kind:     hidden_global_offset_z
      - .offset:         208
        .size:           2
        .value_kind:     hidden_grid_dims
      - .offset:         224
        .size:           8
        .value_kind:     hidden_hostcall_buffer
    .group_segment_fixed_size: 0
    .kernarg_segment_align: 8
    .kernarg_segment_size: 400
    .language:       OpenCL C
    .language_version:
      - 2
      - 0
    .max_flat_workgroup_size: 256
    .name:           _Z38paged_attention_ll4mi_QKV_mfma4_kernelIDF16_hLN4vllm18Fp8KVCacheDataTypeE1EDF16_Li16ELi64ELi256ELb0ELi1EEvPKT_PKT0_S7_ifPKiS9_S9_iPKfiiiPfSC_PS2_PT2_iSB_SB_
    .private_segment_fixed_size: 64
    .sgpr_count:     36
    .sgpr_spill_count: 0
    .symbol:         _Z38paged_attention_ll4mi_QKV_mfma4_kernelIDF16_hLN4vllm18Fp8KVCacheDataTypeE1EDF16_Li16ELi64ELi256ELb0ELi1EEvPKT_PKT0_S7_ifPKiS9_S9_iPKfiiiPfSC_PS2_PT2_iSB_SB_.kd
    .uniform_work_group_size: 1
    .uses_dynamic_stack: false
    .vgpr_count:     41
    .vgpr_spill_count: 0
    .wavefront_size: 32
    .workgroup_processor_mode: 1
  - .args:
      - .actual_access:  read_only
        .address_space:  global
        .offset:         0
        .size:           8
        .value_kind:     global_buffer
      - .actual_access:  read_only
        .address_space:  global
        .offset:         8
        .size:           8
        .value_kind:     global_buffer
      - .actual_access:  read_only
        .address_space:  global
        .offset:         16
        .size:           8
        .value_kind:     global_buffer
      - .offset:         24
        .size:           4
        .value_kind:     by_value
      - .offset:         28
        .size:           4
        .value_kind:     by_value
      - .actual_access:  read_only
        .address_space:  global
        .offset:         32
        .size:           8
        .value_kind:     global_buffer
      - .actual_access:  read_only
        .address_space:  global
        .offset:         40
        .size:           8
        .value_kind:     global_buffer
      - .actual_access:  read_only
        .address_space:  global
        .offset:         48
        .size:           8
        .value_kind:     global_buffer
      - .offset:         56
        .size:           4
        .value_kind:     by_value
      - .actual_access:  read_only
        .address_space:  global
        .offset:         64
        .size:           8
        .value_kind:     global_buffer
      - .offset:         72
        .size:           4
        .value_kind:     by_value
      - .offset:         76
        .size:           4
        .value_kind:     by_value
      - .offset:         80
        .size:           4
        .value_kind:     by_value
      - .actual_access:  read_only
        .address_space:  global
        .offset:         88
        .size:           8
        .value_kind:     global_buffer
      - .actual_access:  read_only
        .address_space:  global
        .offset:         96
        .size:           8
        .value_kind:     global_buffer
      - .actual_access:  read_only
        .address_space:  global
        .offset:         104
        .size:           8
        .value_kind:     global_buffer
      - .actual_access:  read_only
        .address_space:  global
        .offset:         112
        .size:           8
        .value_kind:     global_buffer
      - .offset:         120
        .size:           4
        .value_kind:     by_value
      - .address_space:  global
        .offset:         128
        .size:           8
        .value_kind:     global_buffer
      - .address_space:  global
        .offset:         136
        .size:           8
        .value_kind:     global_buffer
      - .offset:         144
        .size:           4
        .value_kind:     hidden_block_count_x
      - .offset:         148
        .size:           4
        .value_kind:     hidden_block_count_y
      - .offset:         152
        .size:           4
        .value_kind:     hidden_block_count_z
      - .offset:         156
        .size:           2
        .value_kind:     hidden_group_size_x
      - .offset:         158
        .size:           2
        .value_kind:     hidden_group_size_y
      - .offset:         160
        .size:           2
        .value_kind:     hidden_group_size_z
      - .offset:         162
        .size:           2
        .value_kind:     hidden_remainder_x
      - .offset:         164
        .size:           2
        .value_kind:     hidden_remainder_y
      - .offset:         166
        .size:           2
        .value_kind:     hidden_remainder_z
      - .offset:         184
        .size:           8
        .value_kind:     hidden_global_offset_x
      - .offset:         192
        .size:           8
        .value_kind:     hidden_global_offset_y
      - .offset:         200
        .size:           8
        .value_kind:     hidden_global_offset_z
      - .offset:         208
        .size:           2
        .value_kind:     hidden_grid_dims
      - .offset:         224
        .size:           8
        .value_kind:     hidden_hostcall_buffer
    .group_segment_fixed_size: 0
    .kernarg_segment_align: 8
    .kernarg_segment_size: 400
    .language:       OpenCL C
    .language_version:
      - 2
      - 0
    .max_flat_workgroup_size: 256
    .name:           _Z38paged_attention_ll4mi_QKV_mfma4_kernelIDF16_hLN4vllm18Fp8KVCacheDataTypeE1EDF16_Li16ELi64ELi256ELb0ELi2EEvPKT_PKT0_S7_ifPKiS9_S9_iPKfiiiPfSC_PS2_PT2_iSB_SB_
    .private_segment_fixed_size: 64
    .sgpr_count:     36
    .sgpr_spill_count: 0
    .symbol:         _Z38paged_attention_ll4mi_QKV_mfma4_kernelIDF16_hLN4vllm18Fp8KVCacheDataTypeE1EDF16_Li16ELi64ELi256ELb0ELi2EEvPKT_PKT0_S7_ifPKiS9_S9_iPKfiiiPfSC_PS2_PT2_iSB_SB_.kd
    .uniform_work_group_size: 1
    .uses_dynamic_stack: false
    .vgpr_count:     41
    .vgpr_spill_count: 0
    .wavefront_size: 32
    .workgroup_processor_mode: 1
  - .args:
      - .actual_access:  read_only
        .address_space:  global
        .offset:         0
        .size:           8
        .value_kind:     global_buffer
      - .actual_access:  read_only
        .address_space:  global
        .offset:         8
        .size:           8
        .value_kind:     global_buffer
      - .actual_access:  read_only
        .address_space:  global
        .offset:         16
        .size:           8
        .value_kind:     global_buffer
      - .offset:         24
        .size:           4
        .value_kind:     by_value
      - .offset:         28
        .size:           4
        .value_kind:     by_value
      - .actual_access:  read_only
        .address_space:  global
        .offset:         32
        .size:           8
        .value_kind:     global_buffer
      - .actual_access:  read_only
        .address_space:  global
        .offset:         40
        .size:           8
        .value_kind:     global_buffer
      - .actual_access:  read_only
        .address_space:  global
        .offset:         48
        .size:           8
        .value_kind:     global_buffer
      - .offset:         56
        .size:           4
        .value_kind:     by_value
      - .actual_access:  read_only
        .address_space:  global
        .offset:         64
        .size:           8
        .value_kind:     global_buffer
      - .offset:         72
        .size:           4
        .value_kind:     by_value
      - .offset:         76
        .size:           4
        .value_kind:     by_value
      - .offset:         80
        .size:           4
        .value_kind:     by_value
      - .actual_access:  read_only
        .address_space:  global
        .offset:         88
        .size:           8
        .value_kind:     global_buffer
      - .actual_access:  read_only
        .address_space:  global
        .offset:         96
        .size:           8
        .value_kind:     global_buffer
      - .actual_access:  read_only
        .address_space:  global
        .offset:         104
        .size:           8
        .value_kind:     global_buffer
      - .actual_access:  read_only
        .address_space:  global
        .offset:         112
        .size:           8
        .value_kind:     global_buffer
      - .offset:         120
        .size:           4
        .value_kind:     by_value
      - .address_space:  global
        .offset:         128
        .size:           8
        .value_kind:     global_buffer
      - .address_space:  global
        .offset:         136
        .size:           8
        .value_kind:     global_buffer
      - .offset:         144
        .size:           4
        .value_kind:     hidden_block_count_x
      - .offset:         148
        .size:           4
        .value_kind:     hidden_block_count_y
      - .offset:         152
        .size:           4
        .value_kind:     hidden_block_count_z
      - .offset:         156
        .size:           2
        .value_kind:     hidden_group_size_x
      - .offset:         158
        .size:           2
        .value_kind:     hidden_group_size_y
      - .offset:         160
        .size:           2
        .value_kind:     hidden_group_size_z
      - .offset:         162
        .size:           2
        .value_kind:     hidden_remainder_x
      - .offset:         164
        .size:           2
        .value_kind:     hidden_remainder_y
      - .offset:         166
        .size:           2
        .value_kind:     hidden_remainder_z
      - .offset:         184
        .size:           8
        .value_kind:     hidden_global_offset_x
      - .offset:         192
        .size:           8
        .value_kind:     hidden_global_offset_y
      - .offset:         200
        .size:           8
        .value_kind:     hidden_global_offset_z
      - .offset:         208
        .size:           2
        .value_kind:     hidden_grid_dims
      - .offset:         224
        .size:           8
        .value_kind:     hidden_hostcall_buffer
    .group_segment_fixed_size: 0
    .kernarg_segment_align: 8
    .kernarg_segment_size: 400
    .language:       OpenCL C
    .language_version:
      - 2
      - 0
    .max_flat_workgroup_size: 256
    .name:           _Z38paged_attention_ll4mi_QKV_mfma4_kernelIDF16_hLN4vllm18Fp8KVCacheDataTypeE1EDF16_Li16ELi64ELi256ELb0ELi3EEvPKT_PKT0_S7_ifPKiS9_S9_iPKfiiiPfSC_PS2_PT2_iSB_SB_
    .private_segment_fixed_size: 64
    .sgpr_count:     36
    .sgpr_spill_count: 0
    .symbol:         _Z38paged_attention_ll4mi_QKV_mfma4_kernelIDF16_hLN4vllm18Fp8KVCacheDataTypeE1EDF16_Li16ELi64ELi256ELb0ELi3EEvPKT_PKT0_S7_ifPKiS9_S9_iPKfiiiPfSC_PS2_PT2_iSB_SB_.kd
    .uniform_work_group_size: 1
    .uses_dynamic_stack: false
    .vgpr_count:     41
    .vgpr_spill_count: 0
    .wavefront_size: 32
    .workgroup_processor_mode: 1
  - .args:
      - .actual_access:  read_only
        .address_space:  global
        .offset:         0
        .size:           8
        .value_kind:     global_buffer
      - .actual_access:  read_only
        .address_space:  global
        .offset:         8
        .size:           8
        .value_kind:     global_buffer
      - .actual_access:  read_only
        .address_space:  global
        .offset:         16
        .size:           8
        .value_kind:     global_buffer
      - .offset:         24
        .size:           4
        .value_kind:     by_value
      - .offset:         28
        .size:           4
        .value_kind:     by_value
      - .actual_access:  read_only
        .address_space:  global
        .offset:         32
        .size:           8
        .value_kind:     global_buffer
      - .actual_access:  read_only
        .address_space:  global
        .offset:         40
        .size:           8
        .value_kind:     global_buffer
      - .actual_access:  read_only
        .address_space:  global
        .offset:         48
        .size:           8
        .value_kind:     global_buffer
      - .offset:         56
        .size:           4
        .value_kind:     by_value
      - .actual_access:  read_only
        .address_space:  global
        .offset:         64
        .size:           8
        .value_kind:     global_buffer
      - .offset:         72
        .size:           4
        .value_kind:     by_value
      - .offset:         76
        .size:           4
        .value_kind:     by_value
      - .offset:         80
        .size:           4
        .value_kind:     by_value
      - .actual_access:  read_only
        .address_space:  global
        .offset:         88
        .size:           8
        .value_kind:     global_buffer
      - .actual_access:  read_only
        .address_space:  global
        .offset:         96
        .size:           8
        .value_kind:     global_buffer
      - .actual_access:  read_only
        .address_space:  global
        .offset:         104
        .size:           8
        .value_kind:     global_buffer
      - .actual_access:  read_only
        .address_space:  global
        .offset:         112
        .size:           8
        .value_kind:     global_buffer
      - .offset:         120
        .size:           4
        .value_kind:     by_value
      - .address_space:  global
        .offset:         128
        .size:           8
        .value_kind:     global_buffer
      - .address_space:  global
        .offset:         136
        .size:           8
        .value_kind:     global_buffer
      - .offset:         144
        .size:           4
        .value_kind:     hidden_block_count_x
      - .offset:         148
        .size:           4
        .value_kind:     hidden_block_count_y
      - .offset:         152
        .size:           4
        .value_kind:     hidden_block_count_z
      - .offset:         156
        .size:           2
        .value_kind:     hidden_group_size_x
      - .offset:         158
        .size:           2
        .value_kind:     hidden_group_size_y
      - .offset:         160
        .size:           2
        .value_kind:     hidden_group_size_z
      - .offset:         162
        .size:           2
        .value_kind:     hidden_remainder_x
      - .offset:         164
        .size:           2
        .value_kind:     hidden_remainder_y
      - .offset:         166
        .size:           2
        .value_kind:     hidden_remainder_z
      - .offset:         184
        .size:           8
        .value_kind:     hidden_global_offset_x
      - .offset:         192
        .size:           8
        .value_kind:     hidden_global_offset_y
      - .offset:         200
        .size:           8
        .value_kind:     hidden_global_offset_z
      - .offset:         208
        .size:           2
        .value_kind:     hidden_grid_dims
      - .offset:         224
        .size:           8
        .value_kind:     hidden_hostcall_buffer
    .group_segment_fixed_size: 0
    .kernarg_segment_align: 8
    .kernarg_segment_size: 400
    .language:       OpenCL C
    .language_version:
      - 2
      - 0
    .max_flat_workgroup_size: 256
    .name:           _Z38paged_attention_ll4mi_QKV_mfma4_kernelIDF16_hLN4vllm18Fp8KVCacheDataTypeE1EDF16_Li16ELi64ELi256ELb0ELi4EEvPKT_PKT0_S7_ifPKiS9_S9_iPKfiiiPfSC_PS2_PT2_iSB_SB_
    .private_segment_fixed_size: 64
    .sgpr_count:     36
    .sgpr_spill_count: 0
    .symbol:         _Z38paged_attention_ll4mi_QKV_mfma4_kernelIDF16_hLN4vllm18Fp8KVCacheDataTypeE1EDF16_Li16ELi64ELi256ELb0ELi4EEvPKT_PKT0_S7_ifPKiS9_S9_iPKfiiiPfSC_PS2_PT2_iSB_SB_.kd
    .uniform_work_group_size: 1
    .uses_dynamic_stack: false
    .vgpr_count:     41
    .vgpr_spill_count: 0
    .wavefront_size: 32
    .workgroup_processor_mode: 1
  - .args:
      - .actual_access:  read_only
        .address_space:  global
        .offset:         0
        .size:           8
        .value_kind:     global_buffer
      - .actual_access:  read_only
        .address_space:  global
        .offset:         8
        .size:           8
        .value_kind:     global_buffer
      - .actual_access:  read_only
        .address_space:  global
        .offset:         16
        .size:           8
        .value_kind:     global_buffer
      - .offset:         24
        .size:           4
        .value_kind:     by_value
      - .offset:         28
        .size:           4
        .value_kind:     by_value
      - .actual_access:  read_only
        .address_space:  global
        .offset:         32
        .size:           8
        .value_kind:     global_buffer
      - .actual_access:  read_only
        .address_space:  global
        .offset:         40
        .size:           8
        .value_kind:     global_buffer
      - .actual_access:  read_only
        .address_space:  global
        .offset:         48
        .size:           8
        .value_kind:     global_buffer
      - .offset:         56
        .size:           4
        .value_kind:     by_value
      - .actual_access:  read_only
        .address_space:  global
        .offset:         64
        .size:           8
        .value_kind:     global_buffer
      - .offset:         72
        .size:           4
        .value_kind:     by_value
      - .offset:         76
        .size:           4
        .value_kind:     by_value
      - .offset:         80
        .size:           4
        .value_kind:     by_value
      - .actual_access:  write_only
        .address_space:  global
        .offset:         88
        .size:           8
        .value_kind:     global_buffer
      - .actual_access:  write_only
        .address_space:  global
        .offset:         96
        .size:           8
        .value_kind:     global_buffer
      - .actual_access:  write_only
        .address_space:  global
        .offset:         104
        .size:           8
        .value_kind:     global_buffer
      - .actual_access:  read_only
        .address_space:  global
        .offset:         112
        .size:           8
        .value_kind:     global_buffer
      - .offset:         120
        .size:           4
        .value_kind:     by_value
      - .address_space:  global
        .offset:         128
        .size:           8
        .value_kind:     global_buffer
      - .address_space:  global
        .offset:         136
        .size:           8
        .value_kind:     global_buffer
      - .offset:         144
        .size:           4
        .value_kind:     hidden_block_count_x
      - .offset:         148
        .size:           4
        .value_kind:     hidden_block_count_y
      - .offset:         152
        .size:           4
        .value_kind:     hidden_block_count_z
      - .offset:         156
        .size:           2
        .value_kind:     hidden_group_size_x
      - .offset:         158
        .size:           2
        .value_kind:     hidden_group_size_y
      - .offset:         160
        .size:           2
        .value_kind:     hidden_group_size_z
      - .offset:         162
        .size:           2
        .value_kind:     hidden_remainder_x
      - .offset:         164
        .size:           2
        .value_kind:     hidden_remainder_y
      - .offset:         166
        .size:           2
        .value_kind:     hidden_remainder_z
      - .offset:         184
        .size:           8
        .value_kind:     hidden_global_offset_x
      - .offset:         192
        .size:           8
        .value_kind:     hidden_global_offset_y
      - .offset:         200
        .size:           8
        .value_kind:     hidden_global_offset_z
      - .offset:         208
        .size:           2
        .value_kind:     hidden_grid_dims
    .group_segment_fixed_size: 17472
    .kernarg_segment_align: 8
    .kernarg_segment_size: 400
    .language:       OpenCL C
    .language_version:
      - 2
      - 0
    .max_flat_workgroup_size: 256
    .name:           _Z39paged_attention_ll4mi_QKV_mfma16_kernelIDF16_hLN4vllm18Fp8KVCacheDataTypeE1EDF16_Li16ELi64ELi256ELb0ELi5EL8MFMAType1EEvPKT_PKT0_S8_ifPKiSA_SA_iPKfiiiPfSD_PS3_PT2_iSC_SC_
    .private_segment_fixed_size: 0
    .sgpr_count:     39
    .sgpr_spill_count: 0
    .symbol:         _Z39paged_attention_ll4mi_QKV_mfma16_kernelIDF16_hLN4vllm18Fp8KVCacheDataTypeE1EDF16_Li16ELi64ELi256ELb0ELi5EL8MFMAType1EEvPKT_PKT0_S8_ifPKiSA_SA_iPKfiiiPfSD_PS3_PT2_iSC_SC_.kd
    .uniform_work_group_size: 1
    .uses_dynamic_stack: false
    .vgpr_count:     146
    .vgpr_spill_count: 0
    .wavefront_size: 32
    .workgroup_processor_mode: 1
  - .args:
      - .actual_access:  read_only
        .address_space:  global
        .offset:         0
        .size:           8
        .value_kind:     global_buffer
      - .actual_access:  read_only
        .address_space:  global
        .offset:         8
        .size:           8
        .value_kind:     global_buffer
      - .actual_access:  read_only
        .address_space:  global
        .offset:         16
        .size:           8
        .value_kind:     global_buffer
      - .offset:         24
        .size:           4
        .value_kind:     by_value
      - .offset:         28
        .size:           4
        .value_kind:     by_value
      - .actual_access:  read_only
        .address_space:  global
        .offset:         32
        .size:           8
        .value_kind:     global_buffer
      - .actual_access:  read_only
        .address_space:  global
        .offset:         40
        .size:           8
        .value_kind:     global_buffer
      - .actual_access:  read_only
        .address_space:  global
        .offset:         48
        .size:           8
        .value_kind:     global_buffer
      - .offset:         56
        .size:           4
        .value_kind:     by_value
      - .actual_access:  read_only
        .address_space:  global
        .offset:         64
        .size:           8
        .value_kind:     global_buffer
      - .offset:         72
        .size:           4
        .value_kind:     by_value
      - .offset:         76
        .size:           4
        .value_kind:     by_value
      - .offset:         80
        .size:           4
        .value_kind:     by_value
      - .actual_access:  write_only
        .address_space:  global
        .offset:         88
        .size:           8
        .value_kind:     global_buffer
      - .actual_access:  write_only
        .address_space:  global
        .offset:         96
        .size:           8
        .value_kind:     global_buffer
      - .actual_access:  write_only
        .address_space:  global
        .offset:         104
        .size:           8
        .value_kind:     global_buffer
      - .actual_access:  read_only
        .address_space:  global
        .offset:         112
        .size:           8
        .value_kind:     global_buffer
      - .offset:         120
        .size:           4
        .value_kind:     by_value
      - .address_space:  global
        .offset:         128
        .size:           8
        .value_kind:     global_buffer
      - .address_space:  global
        .offset:         136
        .size:           8
        .value_kind:     global_buffer
      - .offset:         144
        .size:           4
        .value_kind:     hidden_block_count_x
      - .offset:         148
        .size:           4
        .value_kind:     hidden_block_count_y
      - .offset:         152
        .size:           4
        .value_kind:     hidden_block_count_z
      - .offset:         156
        .size:           2
        .value_kind:     hidden_group_size_x
      - .offset:         158
        .size:           2
        .value_kind:     hidden_group_size_y
      - .offset:         160
        .size:           2
        .value_kind:     hidden_group_size_z
      - .offset:         162
        .size:           2
        .value_kind:     hidden_remainder_x
      - .offset:         164
        .size:           2
        .value_kind:     hidden_remainder_y
      - .offset:         166
        .size:           2
        .value_kind:     hidden_remainder_z
      - .offset:         184
        .size:           8
        .value_kind:     hidden_global_offset_x
      - .offset:         192
        .size:           8
        .value_kind:     hidden_global_offset_y
      - .offset:         200
        .size:           8
        .value_kind:     hidden_global_offset_z
      - .offset:         208
        .size:           2
        .value_kind:     hidden_grid_dims
    .group_segment_fixed_size: 17472
    .kernarg_segment_align: 8
    .kernarg_segment_size: 400
    .language:       OpenCL C
    .language_version:
      - 2
      - 0
    .max_flat_workgroup_size: 256
    .name:           _Z39paged_attention_ll4mi_QKV_mfma16_kernelIDF16_hLN4vllm18Fp8KVCacheDataTypeE1EDF16_Li16ELi64ELi256ELb0ELi6EL8MFMAType1EEvPKT_PKT0_S8_ifPKiSA_SA_iPKfiiiPfSD_PS3_PT2_iSC_SC_
    .private_segment_fixed_size: 0
    .sgpr_count:     38
    .sgpr_spill_count: 0
    .symbol:         _Z39paged_attention_ll4mi_QKV_mfma16_kernelIDF16_hLN4vllm18Fp8KVCacheDataTypeE1EDF16_Li16ELi64ELi256ELb0ELi6EL8MFMAType1EEvPKT_PKT0_S8_ifPKiSA_SA_iPKfiiiPfSD_PS3_PT2_iSC_SC_.kd
    .uniform_work_group_size: 1
    .uses_dynamic_stack: false
    .vgpr_count:     146
    .vgpr_spill_count: 0
    .wavefront_size: 32
    .workgroup_processor_mode: 1
  - .args:
      - .actual_access:  read_only
        .address_space:  global
        .offset:         0
        .size:           8
        .value_kind:     global_buffer
      - .actual_access:  read_only
        .address_space:  global
        .offset:         8
        .size:           8
        .value_kind:     global_buffer
      - .actual_access:  read_only
        .address_space:  global
        .offset:         16
        .size:           8
        .value_kind:     global_buffer
      - .offset:         24
        .size:           4
        .value_kind:     by_value
      - .offset:         28
        .size:           4
        .value_kind:     by_value
      - .actual_access:  read_only
        .address_space:  global
        .offset:         32
        .size:           8
        .value_kind:     global_buffer
      - .actual_access:  read_only
        .address_space:  global
        .offset:         40
        .size:           8
        .value_kind:     global_buffer
      - .actual_access:  read_only
        .address_space:  global
        .offset:         48
        .size:           8
        .value_kind:     global_buffer
      - .offset:         56
        .size:           4
        .value_kind:     by_value
      - .actual_access:  read_only
        .address_space:  global
        .offset:         64
        .size:           8
        .value_kind:     global_buffer
      - .offset:         72
        .size:           4
        .value_kind:     by_value
      - .offset:         76
        .size:           4
        .value_kind:     by_value
      - .offset:         80
        .size:           4
        .value_kind:     by_value
      - .actual_access:  write_only
        .address_space:  global
        .offset:         88
        .size:           8
        .value_kind:     global_buffer
      - .actual_access:  write_only
        .address_space:  global
        .offset:         96
        .size:           8
        .value_kind:     global_buffer
      - .actual_access:  write_only
        .address_space:  global
        .offset:         104
        .size:           8
        .value_kind:     global_buffer
      - .actual_access:  read_only
        .address_space:  global
        .offset:         112
        .size:           8
        .value_kind:     global_buffer
      - .offset:         120
        .size:           4
        .value_kind:     by_value
      - .address_space:  global
        .offset:         128
        .size:           8
        .value_kind:     global_buffer
      - .address_space:  global
        .offset:         136
        .size:           8
        .value_kind:     global_buffer
      - .offset:         144
        .size:           4
        .value_kind:     hidden_block_count_x
      - .offset:         148
        .size:           4
        .value_kind:     hidden_block_count_y
      - .offset:         152
        .size:           4
        .value_kind:     hidden_block_count_z
      - .offset:         156
        .size:           2
        .value_kind:     hidden_group_size_x
      - .offset:         158
        .size:           2
        .value_kind:     hidden_group_size_y
      - .offset:         160
        .size:           2
        .value_kind:     hidden_group_size_z
      - .offset:         162
        .size:           2
        .value_kind:     hidden_remainder_x
      - .offset:         164
        .size:           2
        .value_kind:     hidden_remainder_y
      - .offset:         166
        .size:           2
        .value_kind:     hidden_remainder_z
      - .offset:         184
        .size:           8
        .value_kind:     hidden_global_offset_x
      - .offset:         192
        .size:           8
        .value_kind:     hidden_global_offset_y
      - .offset:         200
        .size:           8
        .value_kind:     hidden_global_offset_z
      - .offset:         208
        .size:           2
        .value_kind:     hidden_grid_dims
    .group_segment_fixed_size: 17472
    .kernarg_segment_align: 8
    .kernarg_segment_size: 400
    .language:       OpenCL C
    .language_version:
      - 2
      - 0
    .max_flat_workgroup_size: 256
    .name:           _Z39paged_attention_ll4mi_QKV_mfma16_kernelIDF16_hLN4vllm18Fp8KVCacheDataTypeE1EDF16_Li16ELi64ELi256ELb0ELi7EL8MFMAType1EEvPKT_PKT0_S8_ifPKiSA_SA_iPKfiiiPfSD_PS3_PT2_iSC_SC_
    .private_segment_fixed_size: 0
    .sgpr_count:     39
    .sgpr_spill_count: 0
    .symbol:         _Z39paged_attention_ll4mi_QKV_mfma16_kernelIDF16_hLN4vllm18Fp8KVCacheDataTypeE1EDF16_Li16ELi64ELi256ELb0ELi7EL8MFMAType1EEvPKT_PKT0_S8_ifPKiSA_SA_iPKfiiiPfSD_PS3_PT2_iSC_SC_.kd
    .uniform_work_group_size: 1
    .uses_dynamic_stack: false
    .vgpr_count:     146
    .vgpr_spill_count: 0
    .wavefront_size: 32
    .workgroup_processor_mode: 1
  - .args:
      - .actual_access:  read_only
        .address_space:  global
        .offset:         0
        .size:           8
        .value_kind:     global_buffer
      - .actual_access:  read_only
        .address_space:  global
        .offset:         8
        .size:           8
        .value_kind:     global_buffer
      - .actual_access:  read_only
        .address_space:  global
        .offset:         16
        .size:           8
        .value_kind:     global_buffer
      - .offset:         24
        .size:           4
        .value_kind:     by_value
      - .offset:         28
        .size:           4
        .value_kind:     by_value
      - .actual_access:  read_only
        .address_space:  global
        .offset:         32
        .size:           8
        .value_kind:     global_buffer
      - .actual_access:  read_only
        .address_space:  global
        .offset:         40
        .size:           8
        .value_kind:     global_buffer
      - .actual_access:  read_only
        .address_space:  global
        .offset:         48
        .size:           8
        .value_kind:     global_buffer
      - .offset:         56
        .size:           4
        .value_kind:     by_value
      - .actual_access:  read_only
        .address_space:  global
        .offset:         64
        .size:           8
        .value_kind:     global_buffer
      - .offset:         72
        .size:           4
        .value_kind:     by_value
      - .offset:         76
        .size:           4
        .value_kind:     by_value
      - .offset:         80
        .size:           4
        .value_kind:     by_value
      - .actual_access:  write_only
        .address_space:  global
        .offset:         88
        .size:           8
        .value_kind:     global_buffer
      - .actual_access:  write_only
        .address_space:  global
        .offset:         96
        .size:           8
        .value_kind:     global_buffer
      - .actual_access:  write_only
        .address_space:  global
        .offset:         104
        .size:           8
        .value_kind:     global_buffer
      - .actual_access:  read_only
        .address_space:  global
        .offset:         112
        .size:           8
        .value_kind:     global_buffer
      - .offset:         120
        .size:           4
        .value_kind:     by_value
      - .address_space:  global
        .offset:         128
        .size:           8
        .value_kind:     global_buffer
      - .address_space:  global
        .offset:         136
        .size:           8
        .value_kind:     global_buffer
      - .offset:         144
        .size:           4
        .value_kind:     hidden_block_count_x
      - .offset:         148
        .size:           4
        .value_kind:     hidden_block_count_y
      - .offset:         152
        .size:           4
        .value_kind:     hidden_block_count_z
      - .offset:         156
        .size:           2
        .value_kind:     hidden_group_size_x
      - .offset:         158
        .size:           2
        .value_kind:     hidden_group_size_y
      - .offset:         160
        .size:           2
        .value_kind:     hidden_group_size_z
      - .offset:         162
        .size:           2
        .value_kind:     hidden_remainder_x
      - .offset:         164
        .size:           2
        .value_kind:     hidden_remainder_y
      - .offset:         166
        .size:           2
        .value_kind:     hidden_remainder_z
      - .offset:         184
        .size:           8
        .value_kind:     hidden_global_offset_x
      - .offset:         192
        .size:           8
        .value_kind:     hidden_global_offset_y
      - .offset:         200
        .size:           8
        .value_kind:     hidden_global_offset_z
      - .offset:         208
        .size:           2
        .value_kind:     hidden_grid_dims
    .group_segment_fixed_size: 17472
    .kernarg_segment_align: 8
    .kernarg_segment_size: 400
    .language:       OpenCL C
    .language_version:
      - 2
      - 0
    .max_flat_workgroup_size: 256
    .name:           _Z39paged_attention_ll4mi_QKV_mfma16_kernelIDF16_hLN4vllm18Fp8KVCacheDataTypeE1EDF16_Li16ELi64ELi256ELb0ELi8EL8MFMAType1EEvPKT_PKT0_S8_ifPKiSA_SA_iPKfiiiPfSD_PS3_PT2_iSC_SC_
    .private_segment_fixed_size: 0
    .sgpr_count:     42
    .sgpr_spill_count: 0
    .symbol:         _Z39paged_attention_ll4mi_QKV_mfma16_kernelIDF16_hLN4vllm18Fp8KVCacheDataTypeE1EDF16_Li16ELi64ELi256ELb0ELi8EL8MFMAType1EEvPKT_PKT0_S8_ifPKiSA_SA_iPKfiiiPfSD_PS3_PT2_iSC_SC_.kd
    .uniform_work_group_size: 1
    .uses_dynamic_stack: false
    .vgpr_count:     123
    .vgpr_spill_count: 0
    .wavefront_size: 32
    .workgroup_processor_mode: 1
  - .args:
      - .actual_access:  read_only
        .address_space:  global
        .offset:         0
        .size:           8
        .value_kind:     global_buffer
      - .actual_access:  read_only
        .address_space:  global
        .offset:         8
        .size:           8
        .value_kind:     global_buffer
      - .actual_access:  read_only
        .address_space:  global
        .offset:         16
        .size:           8
        .value_kind:     global_buffer
      - .offset:         24
        .size:           4
        .value_kind:     by_value
      - .offset:         28
        .size:           4
        .value_kind:     by_value
      - .actual_access:  read_only
        .address_space:  global
        .offset:         32
        .size:           8
        .value_kind:     global_buffer
      - .actual_access:  read_only
        .address_space:  global
        .offset:         40
        .size:           8
        .value_kind:     global_buffer
      - .actual_access:  read_only
        .address_space:  global
        .offset:         48
        .size:           8
        .value_kind:     global_buffer
      - .offset:         56
        .size:           4
        .value_kind:     by_value
      - .actual_access:  read_only
        .address_space:  global
        .offset:         64
        .size:           8
        .value_kind:     global_buffer
      - .offset:         72
        .size:           4
        .value_kind:     by_value
      - .offset:         76
        .size:           4
        .value_kind:     by_value
      - .offset:         80
        .size:           4
        .value_kind:     by_value
      - .actual_access:  write_only
        .address_space:  global
        .offset:         88
        .size:           8
        .value_kind:     global_buffer
      - .actual_access:  write_only
        .address_space:  global
        .offset:         96
        .size:           8
        .value_kind:     global_buffer
      - .actual_access:  write_only
        .address_space:  global
        .offset:         104
        .size:           8
        .value_kind:     global_buffer
      - .actual_access:  read_only
        .address_space:  global
        .offset:         112
        .size:           8
        .value_kind:     global_buffer
      - .offset:         120
        .size:           4
        .value_kind:     by_value
      - .address_space:  global
        .offset:         128
        .size:           8
        .value_kind:     global_buffer
      - .address_space:  global
        .offset:         136
        .size:           8
        .value_kind:     global_buffer
      - .offset:         144
        .size:           4
        .value_kind:     hidden_block_count_x
      - .offset:         148
        .size:           4
        .value_kind:     hidden_block_count_y
      - .offset:         152
        .size:           4
        .value_kind:     hidden_block_count_z
      - .offset:         156
        .size:           2
        .value_kind:     hidden_group_size_x
      - .offset:         158
        .size:           2
        .value_kind:     hidden_group_size_y
      - .offset:         160
        .size:           2
        .value_kind:     hidden_group_size_z
      - .offset:         162
        .size:           2
        .value_kind:     hidden_remainder_x
      - .offset:         164
        .size:           2
        .value_kind:     hidden_remainder_y
      - .offset:         166
        .size:           2
        .value_kind:     hidden_remainder_z
      - .offset:         184
        .size:           8
        .value_kind:     hidden_global_offset_x
      - .offset:         192
        .size:           8
        .value_kind:     hidden_global_offset_y
      - .offset:         200
        .size:           8
        .value_kind:     hidden_global_offset_z
      - .offset:         208
        .size:           2
        .value_kind:     hidden_grid_dims
    .group_segment_fixed_size: 17472
    .kernarg_segment_align: 8
    .kernarg_segment_size: 400
    .language:       OpenCL C
    .language_version:
      - 2
      - 0
    .max_flat_workgroup_size: 256
    .name:           _Z39paged_attention_ll4mi_QKV_mfma16_kernelIDF16_hLN4vllm18Fp8KVCacheDataTypeE1EDF16_Li16ELi64ELi256ELb0ELi9EL8MFMAType1EEvPKT_PKT0_S8_ifPKiSA_SA_iPKfiiiPfSD_PS3_PT2_iSC_SC_
    .private_segment_fixed_size: 0
    .sgpr_count:     39
    .sgpr_spill_count: 0
    .symbol:         _Z39paged_attention_ll4mi_QKV_mfma16_kernelIDF16_hLN4vllm18Fp8KVCacheDataTypeE1EDF16_Li16ELi64ELi256ELb0ELi9EL8MFMAType1EEvPKT_PKT0_S8_ifPKiSA_SA_iPKfiiiPfSD_PS3_PT2_iSC_SC_.kd
    .uniform_work_group_size: 1
    .uses_dynamic_stack: false
    .vgpr_count:     146
    .vgpr_spill_count: 0
    .wavefront_size: 32
    .workgroup_processor_mode: 1
  - .args:
      - .actual_access:  read_only
        .address_space:  global
        .offset:         0
        .size:           8
        .value_kind:     global_buffer
      - .actual_access:  read_only
        .address_space:  global
        .offset:         8
        .size:           8
        .value_kind:     global_buffer
      - .actual_access:  read_only
        .address_space:  global
        .offset:         16
        .size:           8
        .value_kind:     global_buffer
      - .offset:         24
        .size:           4
        .value_kind:     by_value
      - .offset:         28
        .size:           4
        .value_kind:     by_value
      - .actual_access:  read_only
        .address_space:  global
        .offset:         32
        .size:           8
        .value_kind:     global_buffer
      - .actual_access:  read_only
        .address_space:  global
        .offset:         40
        .size:           8
        .value_kind:     global_buffer
      - .actual_access:  read_only
        .address_space:  global
        .offset:         48
        .size:           8
        .value_kind:     global_buffer
      - .offset:         56
        .size:           4
        .value_kind:     by_value
      - .actual_access:  read_only
        .address_space:  global
        .offset:         64
        .size:           8
        .value_kind:     global_buffer
      - .offset:         72
        .size:           4
        .value_kind:     by_value
      - .offset:         76
        .size:           4
        .value_kind:     by_value
      - .offset:         80
        .size:           4
        .value_kind:     by_value
      - .actual_access:  write_only
        .address_space:  global
        .offset:         88
        .size:           8
        .value_kind:     global_buffer
      - .actual_access:  write_only
        .address_space:  global
        .offset:         96
        .size:           8
        .value_kind:     global_buffer
      - .actual_access:  write_only
        .address_space:  global
        .offset:         104
        .size:           8
        .value_kind:     global_buffer
      - .actual_access:  read_only
        .address_space:  global
        .offset:         112
        .size:           8
        .value_kind:     global_buffer
      - .offset:         120
        .size:           4
        .value_kind:     by_value
      - .address_space:  global
        .offset:         128
        .size:           8
        .value_kind:     global_buffer
      - .address_space:  global
        .offset:         136
        .size:           8
        .value_kind:     global_buffer
      - .offset:         144
        .size:           4
        .value_kind:     hidden_block_count_x
      - .offset:         148
        .size:           4
        .value_kind:     hidden_block_count_y
      - .offset:         152
        .size:           4
        .value_kind:     hidden_block_count_z
      - .offset:         156
        .size:           2
        .value_kind:     hidden_group_size_x
      - .offset:         158
        .size:           2
        .value_kind:     hidden_group_size_y
      - .offset:         160
        .size:           2
        .value_kind:     hidden_group_size_z
      - .offset:         162
        .size:           2
        .value_kind:     hidden_remainder_x
      - .offset:         164
        .size:           2
        .value_kind:     hidden_remainder_y
      - .offset:         166
        .size:           2
        .value_kind:     hidden_remainder_z
      - .offset:         184
        .size:           8
        .value_kind:     hidden_global_offset_x
      - .offset:         192
        .size:           8
        .value_kind:     hidden_global_offset_y
      - .offset:         200
        .size:           8
        .value_kind:     hidden_global_offset_z
      - .offset:         208
        .size:           2
        .value_kind:     hidden_grid_dims
    .group_segment_fixed_size: 17472
    .kernarg_segment_align: 8
    .kernarg_segment_size: 400
    .language:       OpenCL C
    .language_version:
      - 2
      - 0
    .max_flat_workgroup_size: 256
    .name:           _Z39paged_attention_ll4mi_QKV_mfma16_kernelIDF16_hLN4vllm18Fp8KVCacheDataTypeE1EDF16_Li16ELi64ELi256ELb0ELi10EL8MFMAType1EEvPKT_PKT0_S8_ifPKiSA_SA_iPKfiiiPfSD_PS3_PT2_iSC_SC_
    .private_segment_fixed_size: 0
    .sgpr_count:     38
    .sgpr_spill_count: 0
    .symbol:         _Z39paged_attention_ll4mi_QKV_mfma16_kernelIDF16_hLN4vllm18Fp8KVCacheDataTypeE1EDF16_Li16ELi64ELi256ELb0ELi10EL8MFMAType1EEvPKT_PKT0_S8_ifPKiSA_SA_iPKfiiiPfSD_PS3_PT2_iSC_SC_.kd
    .uniform_work_group_size: 1
    .uses_dynamic_stack: false
    .vgpr_count:     146
    .vgpr_spill_count: 0
    .wavefront_size: 32
    .workgroup_processor_mode: 1
  - .args:
      - .actual_access:  read_only
        .address_space:  global
        .offset:         0
        .size:           8
        .value_kind:     global_buffer
      - .actual_access:  read_only
        .address_space:  global
        .offset:         8
        .size:           8
        .value_kind:     global_buffer
      - .actual_access:  read_only
        .address_space:  global
        .offset:         16
        .size:           8
        .value_kind:     global_buffer
      - .offset:         24
        .size:           4
        .value_kind:     by_value
      - .offset:         28
        .size:           4
        .value_kind:     by_value
      - .actual_access:  read_only
        .address_space:  global
        .offset:         32
        .size:           8
        .value_kind:     global_buffer
      - .actual_access:  read_only
        .address_space:  global
        .offset:         40
        .size:           8
        .value_kind:     global_buffer
      - .actual_access:  read_only
        .address_space:  global
        .offset:         48
        .size:           8
        .value_kind:     global_buffer
      - .offset:         56
        .size:           4
        .value_kind:     by_value
      - .actual_access:  read_only
        .address_space:  global
        .offset:         64
        .size:           8
        .value_kind:     global_buffer
      - .offset:         72
        .size:           4
        .value_kind:     by_value
      - .offset:         76
        .size:           4
        .value_kind:     by_value
      - .offset:         80
        .size:           4
        .value_kind:     by_value
      - .actual_access:  write_only
        .address_space:  global
        .offset:         88
        .size:           8
        .value_kind:     global_buffer
      - .actual_access:  write_only
        .address_space:  global
        .offset:         96
        .size:           8
        .value_kind:     global_buffer
      - .actual_access:  write_only
        .address_space:  global
        .offset:         104
        .size:           8
        .value_kind:     global_buffer
      - .actual_access:  read_only
        .address_space:  global
        .offset:         112
        .size:           8
        .value_kind:     global_buffer
      - .offset:         120
        .size:           4
        .value_kind:     by_value
      - .address_space:  global
        .offset:         128
        .size:           8
        .value_kind:     global_buffer
      - .address_space:  global
        .offset:         136
        .size:           8
        .value_kind:     global_buffer
      - .offset:         144
        .size:           4
        .value_kind:     hidden_block_count_x
      - .offset:         148
        .size:           4
        .value_kind:     hidden_block_count_y
      - .offset:         152
        .size:           4
        .value_kind:     hidden_block_count_z
      - .offset:         156
        .size:           2
        .value_kind:     hidden_group_size_x
      - .offset:         158
        .size:           2
        .value_kind:     hidden_group_size_y
      - .offset:         160
        .size:           2
        .value_kind:     hidden_group_size_z
      - .offset:         162
        .size:           2
        .value_kind:     hidden_remainder_x
      - .offset:         164
        .size:           2
        .value_kind:     hidden_remainder_y
      - .offset:         166
        .size:           2
        .value_kind:     hidden_remainder_z
      - .offset:         184
        .size:           8
        .value_kind:     hidden_global_offset_x
      - .offset:         192
        .size:           8
        .value_kind:     hidden_global_offset_y
      - .offset:         200
        .size:           8
        .value_kind:     hidden_global_offset_z
      - .offset:         208
        .size:           2
        .value_kind:     hidden_grid_dims
    .group_segment_fixed_size: 17472
    .kernarg_segment_align: 8
    .kernarg_segment_size: 400
    .language:       OpenCL C
    .language_version:
      - 2
      - 0
    .max_flat_workgroup_size: 256
    .name:           _Z39paged_attention_ll4mi_QKV_mfma16_kernelIDF16_hLN4vllm18Fp8KVCacheDataTypeE1EDF16_Li16ELi64ELi256ELb0ELi11EL8MFMAType1EEvPKT_PKT0_S8_ifPKiSA_SA_iPKfiiiPfSD_PS3_PT2_iSC_SC_
    .private_segment_fixed_size: 0
    .sgpr_count:     39
    .sgpr_spill_count: 0
    .symbol:         _Z39paged_attention_ll4mi_QKV_mfma16_kernelIDF16_hLN4vllm18Fp8KVCacheDataTypeE1EDF16_Li16ELi64ELi256ELb0ELi11EL8MFMAType1EEvPKT_PKT0_S8_ifPKiSA_SA_iPKfiiiPfSD_PS3_PT2_iSC_SC_.kd
    .uniform_work_group_size: 1
    .uses_dynamic_stack: false
    .vgpr_count:     146
    .vgpr_spill_count: 0
    .wavefront_size: 32
    .workgroup_processor_mode: 1
  - .args:
      - .actual_access:  read_only
        .address_space:  global
        .offset:         0
        .size:           8
        .value_kind:     global_buffer
      - .actual_access:  read_only
        .address_space:  global
        .offset:         8
        .size:           8
        .value_kind:     global_buffer
      - .actual_access:  read_only
        .address_space:  global
        .offset:         16
        .size:           8
        .value_kind:     global_buffer
      - .offset:         24
        .size:           4
        .value_kind:     by_value
      - .offset:         28
        .size:           4
        .value_kind:     by_value
      - .actual_access:  read_only
        .address_space:  global
        .offset:         32
        .size:           8
        .value_kind:     global_buffer
      - .actual_access:  read_only
        .address_space:  global
        .offset:         40
        .size:           8
        .value_kind:     global_buffer
      - .actual_access:  read_only
        .address_space:  global
        .offset:         48
        .size:           8
        .value_kind:     global_buffer
      - .offset:         56
        .size:           4
        .value_kind:     by_value
      - .actual_access:  read_only
        .address_space:  global
        .offset:         64
        .size:           8
        .value_kind:     global_buffer
      - .offset:         72
        .size:           4
        .value_kind:     by_value
      - .offset:         76
        .size:           4
        .value_kind:     by_value
      - .offset:         80
        .size:           4
        .value_kind:     by_value
      - .actual_access:  write_only
        .address_space:  global
        .offset:         88
        .size:           8
        .value_kind:     global_buffer
      - .actual_access:  write_only
        .address_space:  global
        .offset:         96
        .size:           8
        .value_kind:     global_buffer
      - .actual_access:  write_only
        .address_space:  global
        .offset:         104
        .size:           8
        .value_kind:     global_buffer
      - .actual_access:  read_only
        .address_space:  global
        .offset:         112
        .size:           8
        .value_kind:     global_buffer
      - .offset:         120
        .size:           4
        .value_kind:     by_value
      - .address_space:  global
        .offset:         128
        .size:           8
        .value_kind:     global_buffer
      - .address_space:  global
        .offset:         136
        .size:           8
        .value_kind:     global_buffer
      - .offset:         144
        .size:           4
        .value_kind:     hidden_block_count_x
      - .offset:         148
        .size:           4
        .value_kind:     hidden_block_count_y
      - .offset:         152
        .size:           4
        .value_kind:     hidden_block_count_z
      - .offset:         156
        .size:           2
        .value_kind:     hidden_group_size_x
      - .offset:         158
        .size:           2
        .value_kind:     hidden_group_size_y
      - .offset:         160
        .size:           2
        .value_kind:     hidden_group_size_z
      - .offset:         162
        .size:           2
        .value_kind:     hidden_remainder_x
      - .offset:         164
        .size:           2
        .value_kind:     hidden_remainder_y
      - .offset:         166
        .size:           2
        .value_kind:     hidden_remainder_z
      - .offset:         184
        .size:           8
        .value_kind:     hidden_global_offset_x
      - .offset:         192
        .size:           8
        .value_kind:     hidden_global_offset_y
      - .offset:         200
        .size:           8
        .value_kind:     hidden_global_offset_z
      - .offset:         208
        .size:           2
        .value_kind:     hidden_grid_dims
    .group_segment_fixed_size: 17472
    .kernarg_segment_align: 8
    .kernarg_segment_size: 400
    .language:       OpenCL C
    .language_version:
      - 2
      - 0
    .max_flat_workgroup_size: 256
    .name:           _Z39paged_attention_ll4mi_QKV_mfma16_kernelIDF16_hLN4vllm18Fp8KVCacheDataTypeE1EDF16_Li16ELi64ELi256ELb0ELi12EL8MFMAType1EEvPKT_PKT0_S8_ifPKiSA_SA_iPKfiiiPfSD_PS3_PT2_iSC_SC_
    .private_segment_fixed_size: 0
    .sgpr_count:     38
    .sgpr_spill_count: 0
    .symbol:         _Z39paged_attention_ll4mi_QKV_mfma16_kernelIDF16_hLN4vllm18Fp8KVCacheDataTypeE1EDF16_Li16ELi64ELi256ELb0ELi12EL8MFMAType1EEvPKT_PKT0_S8_ifPKiSA_SA_iPKfiiiPfSD_PS3_PT2_iSC_SC_.kd
    .uniform_work_group_size: 1
    .uses_dynamic_stack: false
    .vgpr_count:     146
    .vgpr_spill_count: 0
    .wavefront_size: 32
    .workgroup_processor_mode: 1
  - .args:
      - .actual_access:  read_only
        .address_space:  global
        .offset:         0
        .size:           8
        .value_kind:     global_buffer
      - .actual_access:  read_only
        .address_space:  global
        .offset:         8
        .size:           8
        .value_kind:     global_buffer
      - .actual_access:  read_only
        .address_space:  global
        .offset:         16
        .size:           8
        .value_kind:     global_buffer
      - .offset:         24
        .size:           4
        .value_kind:     by_value
      - .offset:         28
        .size:           4
        .value_kind:     by_value
      - .actual_access:  read_only
        .address_space:  global
        .offset:         32
        .size:           8
        .value_kind:     global_buffer
      - .actual_access:  read_only
        .address_space:  global
        .offset:         40
        .size:           8
        .value_kind:     global_buffer
      - .actual_access:  read_only
        .address_space:  global
        .offset:         48
        .size:           8
        .value_kind:     global_buffer
      - .offset:         56
        .size:           4
        .value_kind:     by_value
      - .actual_access:  read_only
        .address_space:  global
        .offset:         64
        .size:           8
        .value_kind:     global_buffer
      - .offset:         72
        .size:           4
        .value_kind:     by_value
      - .offset:         76
        .size:           4
        .value_kind:     by_value
      - .offset:         80
        .size:           4
        .value_kind:     by_value
      - .actual_access:  write_only
        .address_space:  global
        .offset:         88
        .size:           8
        .value_kind:     global_buffer
      - .actual_access:  write_only
        .address_space:  global
        .offset:         96
        .size:           8
        .value_kind:     global_buffer
      - .actual_access:  write_only
        .address_space:  global
        .offset:         104
        .size:           8
        .value_kind:     global_buffer
      - .actual_access:  read_only
        .address_space:  global
        .offset:         112
        .size:           8
        .value_kind:     global_buffer
      - .offset:         120
        .size:           4
        .value_kind:     by_value
      - .address_space:  global
        .offset:         128
        .size:           8
        .value_kind:     global_buffer
      - .address_space:  global
        .offset:         136
        .size:           8
        .value_kind:     global_buffer
      - .offset:         144
        .size:           4
        .value_kind:     hidden_block_count_x
      - .offset:         148
        .size:           4
        .value_kind:     hidden_block_count_y
      - .offset:         152
        .size:           4
        .value_kind:     hidden_block_count_z
      - .offset:         156
        .size:           2
        .value_kind:     hidden_group_size_x
      - .offset:         158
        .size:           2
        .value_kind:     hidden_group_size_y
      - .offset:         160
        .size:           2
        .value_kind:     hidden_group_size_z
      - .offset:         162
        .size:           2
        .value_kind:     hidden_remainder_x
      - .offset:         164
        .size:           2
        .value_kind:     hidden_remainder_y
      - .offset:         166
        .size:           2
        .value_kind:     hidden_remainder_z
      - .offset:         184
        .size:           8
        .value_kind:     hidden_global_offset_x
      - .offset:         192
        .size:           8
        .value_kind:     hidden_global_offset_y
      - .offset:         200
        .size:           8
        .value_kind:     hidden_global_offset_z
      - .offset:         208
        .size:           2
        .value_kind:     hidden_grid_dims
    .group_segment_fixed_size: 17472
    .kernarg_segment_align: 8
    .kernarg_segment_size: 400
    .language:       OpenCL C
    .language_version:
      - 2
      - 0
    .max_flat_workgroup_size: 256
    .name:           _Z39paged_attention_ll4mi_QKV_mfma16_kernelIDF16_hLN4vllm18Fp8KVCacheDataTypeE1EDF16_Li16ELi64ELi256ELb0ELi13EL8MFMAType1EEvPKT_PKT0_S8_ifPKiSA_SA_iPKfiiiPfSD_PS3_PT2_iSC_SC_
    .private_segment_fixed_size: 0
    .sgpr_count:     39
    .sgpr_spill_count: 0
    .symbol:         _Z39paged_attention_ll4mi_QKV_mfma16_kernelIDF16_hLN4vllm18Fp8KVCacheDataTypeE1EDF16_Li16ELi64ELi256ELb0ELi13EL8MFMAType1EEvPKT_PKT0_S8_ifPKiSA_SA_iPKfiiiPfSD_PS3_PT2_iSC_SC_.kd
    .uniform_work_group_size: 1
    .uses_dynamic_stack: false
    .vgpr_count:     146
    .vgpr_spill_count: 0
    .wavefront_size: 32
    .workgroup_processor_mode: 1
  - .args:
      - .actual_access:  read_only
        .address_space:  global
        .offset:         0
        .size:           8
        .value_kind:     global_buffer
      - .actual_access:  read_only
        .address_space:  global
        .offset:         8
        .size:           8
        .value_kind:     global_buffer
      - .actual_access:  read_only
        .address_space:  global
        .offset:         16
        .size:           8
        .value_kind:     global_buffer
      - .offset:         24
        .size:           4
        .value_kind:     by_value
      - .offset:         28
        .size:           4
        .value_kind:     by_value
      - .actual_access:  read_only
        .address_space:  global
        .offset:         32
        .size:           8
        .value_kind:     global_buffer
      - .actual_access:  read_only
        .address_space:  global
        .offset:         40
        .size:           8
        .value_kind:     global_buffer
      - .actual_access:  read_only
        .address_space:  global
        .offset:         48
        .size:           8
        .value_kind:     global_buffer
      - .offset:         56
        .size:           4
        .value_kind:     by_value
      - .actual_access:  read_only
        .address_space:  global
        .offset:         64
        .size:           8
        .value_kind:     global_buffer
      - .offset:         72
        .size:           4
        .value_kind:     by_value
      - .offset:         76
        .size:           4
        .value_kind:     by_value
      - .offset:         80
        .size:           4
        .value_kind:     by_value
      - .actual_access:  write_only
        .address_space:  global
        .offset:         88
        .size:           8
        .value_kind:     global_buffer
      - .actual_access:  write_only
        .address_space:  global
        .offset:         96
        .size:           8
        .value_kind:     global_buffer
      - .actual_access:  write_only
        .address_space:  global
        .offset:         104
        .size:           8
        .value_kind:     global_buffer
      - .actual_access:  read_only
        .address_space:  global
        .offset:         112
        .size:           8
        .value_kind:     global_buffer
      - .offset:         120
        .size:           4
        .value_kind:     by_value
      - .address_space:  global
        .offset:         128
        .size:           8
        .value_kind:     global_buffer
      - .address_space:  global
        .offset:         136
        .size:           8
        .value_kind:     global_buffer
      - .offset:         144
        .size:           4
        .value_kind:     hidden_block_count_x
      - .offset:         148
        .size:           4
        .value_kind:     hidden_block_count_y
      - .offset:         152
        .size:           4
        .value_kind:     hidden_block_count_z
      - .offset:         156
        .size:           2
        .value_kind:     hidden_group_size_x
      - .offset:         158
        .size:           2
        .value_kind:     hidden_group_size_y
      - .offset:         160
        .size:           2
        .value_kind:     hidden_group_size_z
      - .offset:         162
        .size:           2
        .value_kind:     hidden_remainder_x
      - .offset:         164
        .size:           2
        .value_kind:     hidden_remainder_y
      - .offset:         166
        .size:           2
        .value_kind:     hidden_remainder_z
      - .offset:         184
        .size:           8
        .value_kind:     hidden_global_offset_x
      - .offset:         192
        .size:           8
        .value_kind:     hidden_global_offset_y
      - .offset:         200
        .size:           8
        .value_kind:     hidden_global_offset_z
      - .offset:         208
        .size:           2
        .value_kind:     hidden_grid_dims
    .group_segment_fixed_size: 17472
    .kernarg_segment_align: 8
    .kernarg_segment_size: 400
    .language:       OpenCL C
    .language_version:
      - 2
      - 0
    .max_flat_workgroup_size: 256
    .name:           _Z39paged_attention_ll4mi_QKV_mfma16_kernelIDF16_hLN4vllm18Fp8KVCacheDataTypeE1EDF16_Li16ELi64ELi256ELb0ELi14EL8MFMAType1EEvPKT_PKT0_S8_ifPKiSA_SA_iPKfiiiPfSD_PS3_PT2_iSC_SC_
    .private_segment_fixed_size: 0
    .sgpr_count:     38
    .sgpr_spill_count: 0
    .symbol:         _Z39paged_attention_ll4mi_QKV_mfma16_kernelIDF16_hLN4vllm18Fp8KVCacheDataTypeE1EDF16_Li16ELi64ELi256ELb0ELi14EL8MFMAType1EEvPKT_PKT0_S8_ifPKiSA_SA_iPKfiiiPfSD_PS3_PT2_iSC_SC_.kd
    .uniform_work_group_size: 1
    .uses_dynamic_stack: false
    .vgpr_count:     146
    .vgpr_spill_count: 0
    .wavefront_size: 32
    .workgroup_processor_mode: 1
  - .args:
      - .actual_access:  read_only
        .address_space:  global
        .offset:         0
        .size:           8
        .value_kind:     global_buffer
      - .actual_access:  read_only
        .address_space:  global
        .offset:         8
        .size:           8
        .value_kind:     global_buffer
      - .actual_access:  read_only
        .address_space:  global
        .offset:         16
        .size:           8
        .value_kind:     global_buffer
      - .offset:         24
        .size:           4
        .value_kind:     by_value
      - .offset:         28
        .size:           4
        .value_kind:     by_value
      - .actual_access:  read_only
        .address_space:  global
        .offset:         32
        .size:           8
        .value_kind:     global_buffer
      - .actual_access:  read_only
        .address_space:  global
        .offset:         40
        .size:           8
        .value_kind:     global_buffer
      - .actual_access:  read_only
        .address_space:  global
        .offset:         48
        .size:           8
        .value_kind:     global_buffer
      - .offset:         56
        .size:           4
        .value_kind:     by_value
      - .actual_access:  read_only
        .address_space:  global
        .offset:         64
        .size:           8
        .value_kind:     global_buffer
      - .offset:         72
        .size:           4
        .value_kind:     by_value
      - .offset:         76
        .size:           4
        .value_kind:     by_value
      - .offset:         80
        .size:           4
        .value_kind:     by_value
      - .actual_access:  write_only
        .address_space:  global
        .offset:         88
        .size:           8
        .value_kind:     global_buffer
      - .actual_access:  write_only
        .address_space:  global
        .offset:         96
        .size:           8
        .value_kind:     global_buffer
      - .actual_access:  write_only
        .address_space:  global
        .offset:         104
        .size:           8
        .value_kind:     global_buffer
      - .actual_access:  read_only
        .address_space:  global
        .offset:         112
        .size:           8
        .value_kind:     global_buffer
      - .offset:         120
        .size:           4
        .value_kind:     by_value
      - .address_space:  global
        .offset:         128
        .size:           8
        .value_kind:     global_buffer
      - .address_space:  global
        .offset:         136
        .size:           8
        .value_kind:     global_buffer
      - .offset:         144
        .size:           4
        .value_kind:     hidden_block_count_x
      - .offset:         148
        .size:           4
        .value_kind:     hidden_block_count_y
      - .offset:         152
        .size:           4
        .value_kind:     hidden_block_count_z
      - .offset:         156
        .size:           2
        .value_kind:     hidden_group_size_x
      - .offset:         158
        .size:           2
        .value_kind:     hidden_group_size_y
      - .offset:         160
        .size:           2
        .value_kind:     hidden_group_size_z
      - .offset:         162
        .size:           2
        .value_kind:     hidden_remainder_x
      - .offset:         164
        .size:           2
        .value_kind:     hidden_remainder_y
      - .offset:         166
        .size:           2
        .value_kind:     hidden_remainder_z
      - .offset:         184
        .size:           8
        .value_kind:     hidden_global_offset_x
      - .offset:         192
        .size:           8
        .value_kind:     hidden_global_offset_y
      - .offset:         200
        .size:           8
        .value_kind:     hidden_global_offset_z
      - .offset:         208
        .size:           2
        .value_kind:     hidden_grid_dims
    .group_segment_fixed_size: 17472
    .kernarg_segment_align: 8
    .kernarg_segment_size: 400
    .language:       OpenCL C
    .language_version:
      - 2
      - 0
    .max_flat_workgroup_size: 256
    .name:           _Z39paged_attention_ll4mi_QKV_mfma16_kernelIDF16_hLN4vllm18Fp8KVCacheDataTypeE1EDF16_Li16ELi64ELi256ELb0ELi15EL8MFMAType1EEvPKT_PKT0_S8_ifPKiSA_SA_iPKfiiiPfSD_PS3_PT2_iSC_SC_
    .private_segment_fixed_size: 0
    .sgpr_count:     39
    .sgpr_spill_count: 0
    .symbol:         _Z39paged_attention_ll4mi_QKV_mfma16_kernelIDF16_hLN4vllm18Fp8KVCacheDataTypeE1EDF16_Li16ELi64ELi256ELb0ELi15EL8MFMAType1EEvPKT_PKT0_S8_ifPKiSA_SA_iPKfiiiPfSD_PS3_PT2_iSC_SC_.kd
    .uniform_work_group_size: 1
    .uses_dynamic_stack: false
    .vgpr_count:     146
    .vgpr_spill_count: 0
    .wavefront_size: 32
    .workgroup_processor_mode: 1
  - .args:
      - .actual_access:  read_only
        .address_space:  global
        .offset:         0
        .size:           8
        .value_kind:     global_buffer
      - .actual_access:  read_only
        .address_space:  global
        .offset:         8
        .size:           8
        .value_kind:     global_buffer
      - .actual_access:  read_only
        .address_space:  global
        .offset:         16
        .size:           8
        .value_kind:     global_buffer
      - .offset:         24
        .size:           4
        .value_kind:     by_value
      - .offset:         28
        .size:           4
        .value_kind:     by_value
      - .actual_access:  read_only
        .address_space:  global
        .offset:         32
        .size:           8
        .value_kind:     global_buffer
      - .actual_access:  read_only
        .address_space:  global
        .offset:         40
        .size:           8
        .value_kind:     global_buffer
      - .actual_access:  read_only
        .address_space:  global
        .offset:         48
        .size:           8
        .value_kind:     global_buffer
      - .offset:         56
        .size:           4
        .value_kind:     by_value
      - .actual_access:  read_only
        .address_space:  global
        .offset:         64
        .size:           8
        .value_kind:     global_buffer
      - .offset:         72
        .size:           4
        .value_kind:     by_value
      - .offset:         76
        .size:           4
        .value_kind:     by_value
      - .offset:         80
        .size:           4
        .value_kind:     by_value
      - .actual_access:  write_only
        .address_space:  global
        .offset:         88
        .size:           8
        .value_kind:     global_buffer
      - .actual_access:  write_only
        .address_space:  global
        .offset:         96
        .size:           8
        .value_kind:     global_buffer
      - .actual_access:  write_only
        .address_space:  global
        .offset:         104
        .size:           8
        .value_kind:     global_buffer
      - .actual_access:  read_only
        .address_space:  global
        .offset:         112
        .size:           8
        .value_kind:     global_buffer
      - .offset:         120
        .size:           4
        .value_kind:     by_value
      - .address_space:  global
        .offset:         128
        .size:           8
        .value_kind:     global_buffer
      - .address_space:  global
        .offset:         136
        .size:           8
        .value_kind:     global_buffer
      - .offset:         144
        .size:           4
        .value_kind:     hidden_block_count_x
      - .offset:         148
        .size:           4
        .value_kind:     hidden_block_count_y
      - .offset:         152
        .size:           4
        .value_kind:     hidden_block_count_z
      - .offset:         156
        .size:           2
        .value_kind:     hidden_group_size_x
      - .offset:         158
        .size:           2
        .value_kind:     hidden_group_size_y
      - .offset:         160
        .size:           2
        .value_kind:     hidden_group_size_z
      - .offset:         162
        .size:           2
        .value_kind:     hidden_remainder_x
      - .offset:         164
        .size:           2
        .value_kind:     hidden_remainder_y
      - .offset:         166
        .size:           2
        .value_kind:     hidden_remainder_z
      - .offset:         184
        .size:           8
        .value_kind:     hidden_global_offset_x
      - .offset:         192
        .size:           8
        .value_kind:     hidden_global_offset_y
      - .offset:         200
        .size:           8
        .value_kind:     hidden_global_offset_z
      - .offset:         208
        .size:           2
        .value_kind:     hidden_grid_dims
    .group_segment_fixed_size: 17472
    .kernarg_segment_align: 8
    .kernarg_segment_size: 400
    .language:       OpenCL C
    .language_version:
      - 2
      - 0
    .max_flat_workgroup_size: 256
    .name:           _Z39paged_attention_ll4mi_QKV_mfma16_kernelIDF16_hLN4vllm18Fp8KVCacheDataTypeE1EDF16_Li16ELi64ELi256ELb0ELi16EL8MFMAType1EEvPKT_PKT0_S8_ifPKiSA_SA_iPKfiiiPfSD_PS3_PT2_iSC_SC_
    .private_segment_fixed_size: 0
    .sgpr_count:     42
    .sgpr_spill_count: 0
    .symbol:         _Z39paged_attention_ll4mi_QKV_mfma16_kernelIDF16_hLN4vllm18Fp8KVCacheDataTypeE1EDF16_Li16ELi64ELi256ELb0ELi16EL8MFMAType1EEvPKT_PKT0_S8_ifPKiSA_SA_iPKfiiiPfSD_PS3_PT2_iSC_SC_.kd
    .uniform_work_group_size: 1
    .uses_dynamic_stack: false
    .vgpr_count:     123
    .vgpr_spill_count: 0
    .wavefront_size: 32
    .workgroup_processor_mode: 1
  - .args:
      - .actual_access:  read_only
        .address_space:  global
        .offset:         0
        .size:           8
        .value_kind:     global_buffer
      - .actual_access:  read_only
        .address_space:  global
        .offset:         8
        .size:           8
        .value_kind:     global_buffer
      - .actual_access:  read_only
        .address_space:  global
        .offset:         16
        .size:           8
        .value_kind:     global_buffer
      - .offset:         24
        .size:           4
        .value_kind:     by_value
      - .offset:         28
        .size:           4
        .value_kind:     by_value
      - .actual_access:  read_only
        .address_space:  global
        .offset:         32
        .size:           8
        .value_kind:     global_buffer
      - .actual_access:  read_only
        .address_space:  global
        .offset:         40
        .size:           8
        .value_kind:     global_buffer
      - .actual_access:  read_only
        .address_space:  global
        .offset:         48
        .size:           8
        .value_kind:     global_buffer
      - .offset:         56
        .size:           4
        .value_kind:     by_value
      - .actual_access:  read_only
        .address_space:  global
        .offset:         64
        .size:           8
        .value_kind:     global_buffer
      - .offset:         72
        .size:           4
        .value_kind:     by_value
      - .offset:         76
        .size:           4
        .value_kind:     by_value
      - .offset:         80
        .size:           4
        .value_kind:     by_value
      - .actual_access:  write_only
        .address_space:  global
        .offset:         88
        .size:           8
        .value_kind:     global_buffer
      - .actual_access:  write_only
        .address_space:  global
        .offset:         96
        .size:           8
        .value_kind:     global_buffer
      - .actual_access:  write_only
        .address_space:  global
        .offset:         104
        .size:           8
        .value_kind:     global_buffer
      - .actual_access:  read_only
        .address_space:  global
        .offset:         112
        .size:           8
        .value_kind:     global_buffer
      - .offset:         120
        .size:           4
        .value_kind:     by_value
      - .address_space:  global
        .offset:         128
        .size:           8
        .value_kind:     global_buffer
      - .address_space:  global
        .offset:         136
        .size:           8
        .value_kind:     global_buffer
      - .offset:         144
        .size:           4
        .value_kind:     hidden_block_count_x
      - .offset:         148
        .size:           4
        .value_kind:     hidden_block_count_y
      - .offset:         152
        .size:           4
        .value_kind:     hidden_block_count_z
      - .offset:         156
        .size:           2
        .value_kind:     hidden_group_size_x
      - .offset:         158
        .size:           2
        .value_kind:     hidden_group_size_y
      - .offset:         160
        .size:           2
        .value_kind:     hidden_group_size_z
      - .offset:         162
        .size:           2
        .value_kind:     hidden_remainder_x
      - .offset:         164
        .size:           2
        .value_kind:     hidden_remainder_y
      - .offset:         166
        .size:           2
        .value_kind:     hidden_remainder_z
      - .offset:         184
        .size:           8
        .value_kind:     hidden_global_offset_x
      - .offset:         192
        .size:           8
        .value_kind:     hidden_global_offset_y
      - .offset:         200
        .size:           8
        .value_kind:     hidden_global_offset_z
      - .offset:         208
        .size:           2
        .value_kind:     hidden_grid_dims
    .group_segment_fixed_size: 17472
    .kernarg_segment_align: 8
    .kernarg_segment_size: 400
    .language:       OpenCL C
    .language_version:
      - 2
      - 0
    .max_flat_workgroup_size: 256
    .name:           _Z39paged_attention_ll4mi_QKV_mfma16_kernelIDF16_hLN4vllm18Fp8KVCacheDataTypeE1EDF16_Li16ELi64ELi256ELb0ELi1EL8MFMAType1EEvPKT_PKT0_S8_ifPKiSA_SA_iPKfiiiPfSD_PS3_PT2_iSC_SC_
    .private_segment_fixed_size: 0
    .sgpr_count:     50
    .sgpr_spill_count: 0
    .symbol:         _Z39paged_attention_ll4mi_QKV_mfma16_kernelIDF16_hLN4vllm18Fp8KVCacheDataTypeE1EDF16_Li16ELi64ELi256ELb0ELi1EL8MFMAType1EEvPKT_PKT0_S8_ifPKiSA_SA_iPKfiiiPfSD_PS3_PT2_iSC_SC_.kd
    .uniform_work_group_size: 1
    .uses_dynamic_stack: false
    .vgpr_count:     144
    .vgpr_spill_count: 0
    .wavefront_size: 32
    .workgroup_processor_mode: 1
  - .args:
      - .actual_access:  read_only
        .address_space:  global
        .offset:         0
        .size:           8
        .value_kind:     global_buffer
      - .actual_access:  read_only
        .address_space:  global
        .offset:         8
        .size:           8
        .value_kind:     global_buffer
      - .actual_access:  read_only
        .address_space:  global
        .offset:         16
        .size:           8
        .value_kind:     global_buffer
      - .offset:         24
        .size:           4
        .value_kind:     by_value
      - .offset:         28
        .size:           4
        .value_kind:     by_value
      - .actual_access:  read_only
        .address_space:  global
        .offset:         32
        .size:           8
        .value_kind:     global_buffer
      - .actual_access:  read_only
        .address_space:  global
        .offset:         40
        .size:           8
        .value_kind:     global_buffer
      - .actual_access:  read_only
        .address_space:  global
        .offset:         48
        .size:           8
        .value_kind:     global_buffer
      - .offset:         56
        .size:           4
        .value_kind:     by_value
      - .actual_access:  read_only
        .address_space:  global
        .offset:         64
        .size:           8
        .value_kind:     global_buffer
      - .offset:         72
        .size:           4
        .value_kind:     by_value
      - .offset:         76
        .size:           4
        .value_kind:     by_value
      - .offset:         80
        .size:           4
        .value_kind:     by_value
      - .actual_access:  write_only
        .address_space:  global
        .offset:         88
        .size:           8
        .value_kind:     global_buffer
      - .actual_access:  write_only
        .address_space:  global
        .offset:         96
        .size:           8
        .value_kind:     global_buffer
      - .actual_access:  write_only
        .address_space:  global
        .offset:         104
        .size:           8
        .value_kind:     global_buffer
      - .actual_access:  read_only
        .address_space:  global
        .offset:         112
        .size:           8
        .value_kind:     global_buffer
      - .offset:         120
        .size:           4
        .value_kind:     by_value
      - .address_space:  global
        .offset:         128
        .size:           8
        .value_kind:     global_buffer
      - .address_space:  global
        .offset:         136
        .size:           8
        .value_kind:     global_buffer
      - .offset:         144
        .size:           4
        .value_kind:     hidden_block_count_x
      - .offset:         148
        .size:           4
        .value_kind:     hidden_block_count_y
      - .offset:         152
        .size:           4
        .value_kind:     hidden_block_count_z
      - .offset:         156
        .size:           2
        .value_kind:     hidden_group_size_x
      - .offset:         158
        .size:           2
        .value_kind:     hidden_group_size_y
      - .offset:         160
        .size:           2
        .value_kind:     hidden_group_size_z
      - .offset:         162
        .size:           2
        .value_kind:     hidden_remainder_x
      - .offset:         164
        .size:           2
        .value_kind:     hidden_remainder_y
      - .offset:         166
        .size:           2
        .value_kind:     hidden_remainder_z
      - .offset:         184
        .size:           8
        .value_kind:     hidden_global_offset_x
      - .offset:         192
        .size:           8
        .value_kind:     hidden_global_offset_y
      - .offset:         200
        .size:           8
        .value_kind:     hidden_global_offset_z
      - .offset:         208
        .size:           2
        .value_kind:     hidden_grid_dims
    .group_segment_fixed_size: 17472
    .kernarg_segment_align: 8
    .kernarg_segment_size: 400
    .language:       OpenCL C
    .language_version:
      - 2
      - 0
    .max_flat_workgroup_size: 256
    .name:           _Z39paged_attention_ll4mi_QKV_mfma16_kernelIDF16_hLN4vllm18Fp8KVCacheDataTypeE1EDF16_Li16ELi64ELi256ELb0ELi2EL8MFMAType1EEvPKT_PKT0_S8_ifPKiSA_SA_iPKfiiiPfSD_PS3_PT2_iSC_SC_
    .private_segment_fixed_size: 0
    .sgpr_count:     38
    .sgpr_spill_count: 0
    .symbol:         _Z39paged_attention_ll4mi_QKV_mfma16_kernelIDF16_hLN4vllm18Fp8KVCacheDataTypeE1EDF16_Li16ELi64ELi256ELb0ELi2EL8MFMAType1EEvPKT_PKT0_S8_ifPKiSA_SA_iPKfiiiPfSD_PS3_PT2_iSC_SC_.kd
    .uniform_work_group_size: 1
    .uses_dynamic_stack: false
    .vgpr_count:     148
    .vgpr_spill_count: 0
    .wavefront_size: 32
    .workgroup_processor_mode: 1
  - .args:
      - .actual_access:  read_only
        .address_space:  global
        .offset:         0
        .size:           8
        .value_kind:     global_buffer
      - .actual_access:  read_only
        .address_space:  global
        .offset:         8
        .size:           8
        .value_kind:     global_buffer
      - .actual_access:  read_only
        .address_space:  global
        .offset:         16
        .size:           8
        .value_kind:     global_buffer
      - .offset:         24
        .size:           4
        .value_kind:     by_value
      - .offset:         28
        .size:           4
        .value_kind:     by_value
      - .actual_access:  read_only
        .address_space:  global
        .offset:         32
        .size:           8
        .value_kind:     global_buffer
      - .actual_access:  read_only
        .address_space:  global
        .offset:         40
        .size:           8
        .value_kind:     global_buffer
      - .actual_access:  read_only
        .address_space:  global
        .offset:         48
        .size:           8
        .value_kind:     global_buffer
      - .offset:         56
        .size:           4
        .value_kind:     by_value
      - .actual_access:  read_only
        .address_space:  global
        .offset:         64
        .size:           8
        .value_kind:     global_buffer
      - .offset:         72
        .size:           4
        .value_kind:     by_value
      - .offset:         76
        .size:           4
        .value_kind:     by_value
      - .offset:         80
        .size:           4
        .value_kind:     by_value
      - .actual_access:  write_only
        .address_space:  global
        .offset:         88
        .size:           8
        .value_kind:     global_buffer
      - .actual_access:  write_only
        .address_space:  global
        .offset:         96
        .size:           8
        .value_kind:     global_buffer
      - .actual_access:  write_only
        .address_space:  global
        .offset:         104
        .size:           8
        .value_kind:     global_buffer
      - .actual_access:  read_only
        .address_space:  global
        .offset:         112
        .size:           8
        .value_kind:     global_buffer
      - .offset:         120
        .size:           4
        .value_kind:     by_value
      - .address_space:  global
        .offset:         128
        .size:           8
        .value_kind:     global_buffer
      - .address_space:  global
        .offset:         136
        .size:           8
        .value_kind:     global_buffer
      - .offset:         144
        .size:           4
        .value_kind:     hidden_block_count_x
      - .offset:         148
        .size:           4
        .value_kind:     hidden_block_count_y
      - .offset:         152
        .size:           4
        .value_kind:     hidden_block_count_z
      - .offset:         156
        .size:           2
        .value_kind:     hidden_group_size_x
      - .offset:         158
        .size:           2
        .value_kind:     hidden_group_size_y
      - .offset:         160
        .size:           2
        .value_kind:     hidden_group_size_z
      - .offset:         162
        .size:           2
        .value_kind:     hidden_remainder_x
      - .offset:         164
        .size:           2
        .value_kind:     hidden_remainder_y
      - .offset:         166
        .size:           2
        .value_kind:     hidden_remainder_z
      - .offset:         184
        .size:           8
        .value_kind:     hidden_global_offset_x
      - .offset:         192
        .size:           8
        .value_kind:     hidden_global_offset_y
      - .offset:         200
        .size:           8
        .value_kind:     hidden_global_offset_z
      - .offset:         208
        .size:           2
        .value_kind:     hidden_grid_dims
    .group_segment_fixed_size: 17472
    .kernarg_segment_align: 8
    .kernarg_segment_size: 400
    .language:       OpenCL C
    .language_version:
      - 2
      - 0
    .max_flat_workgroup_size: 256
    .name:           _Z39paged_attention_ll4mi_QKV_mfma16_kernelIDF16_hLN4vllm18Fp8KVCacheDataTypeE1EDF16_Li16ELi64ELi256ELb0ELi3EL8MFMAType1EEvPKT_PKT0_S8_ifPKiSA_SA_iPKfiiiPfSD_PS3_PT2_iSC_SC_
    .private_segment_fixed_size: 0
    .sgpr_count:     39
    .sgpr_spill_count: 0
    .symbol:         _Z39paged_attention_ll4mi_QKV_mfma16_kernelIDF16_hLN4vllm18Fp8KVCacheDataTypeE1EDF16_Li16ELi64ELi256ELb0ELi3EL8MFMAType1EEvPKT_PKT0_S8_ifPKiSA_SA_iPKfiiiPfSD_PS3_PT2_iSC_SC_.kd
    .uniform_work_group_size: 1
    .uses_dynamic_stack: false
    .vgpr_count:     146
    .vgpr_spill_count: 0
    .wavefront_size: 32
    .workgroup_processor_mode: 1
  - .args:
      - .actual_access:  read_only
        .address_space:  global
        .offset:         0
        .size:           8
        .value_kind:     global_buffer
      - .actual_access:  read_only
        .address_space:  global
        .offset:         8
        .size:           8
        .value_kind:     global_buffer
      - .actual_access:  read_only
        .address_space:  global
        .offset:         16
        .size:           8
        .value_kind:     global_buffer
      - .offset:         24
        .size:           4
        .value_kind:     by_value
      - .offset:         28
        .size:           4
        .value_kind:     by_value
      - .actual_access:  read_only
        .address_space:  global
        .offset:         32
        .size:           8
        .value_kind:     global_buffer
      - .actual_access:  read_only
        .address_space:  global
        .offset:         40
        .size:           8
        .value_kind:     global_buffer
      - .actual_access:  read_only
        .address_space:  global
        .offset:         48
        .size:           8
        .value_kind:     global_buffer
      - .offset:         56
        .size:           4
        .value_kind:     by_value
      - .actual_access:  read_only
        .address_space:  global
        .offset:         64
        .size:           8
        .value_kind:     global_buffer
      - .offset:         72
        .size:           4
        .value_kind:     by_value
      - .offset:         76
        .size:           4
        .value_kind:     by_value
      - .offset:         80
        .size:           4
        .value_kind:     by_value
      - .actual_access:  write_only
        .address_space:  global
        .offset:         88
        .size:           8
        .value_kind:     global_buffer
      - .actual_access:  write_only
        .address_space:  global
        .offset:         96
        .size:           8
        .value_kind:     global_buffer
      - .actual_access:  write_only
        .address_space:  global
        .offset:         104
        .size:           8
        .value_kind:     global_buffer
      - .actual_access:  read_only
        .address_space:  global
        .offset:         112
        .size:           8
        .value_kind:     global_buffer
      - .offset:         120
        .size:           4
        .value_kind:     by_value
      - .address_space:  global
        .offset:         128
        .size:           8
        .value_kind:     global_buffer
      - .address_space:  global
        .offset:         136
        .size:           8
        .value_kind:     global_buffer
      - .offset:         144
        .size:           4
        .value_kind:     hidden_block_count_x
      - .offset:         148
        .size:           4
        .value_kind:     hidden_block_count_y
      - .offset:         152
        .size:           4
        .value_kind:     hidden_block_count_z
      - .offset:         156
        .size:           2
        .value_kind:     hidden_group_size_x
      - .offset:         158
        .size:           2
        .value_kind:     hidden_group_size_y
      - .offset:         160
        .size:           2
        .value_kind:     hidden_group_size_z
      - .offset:         162
        .size:           2
        .value_kind:     hidden_remainder_x
      - .offset:         164
        .size:           2
        .value_kind:     hidden_remainder_y
      - .offset:         166
        .size:           2
        .value_kind:     hidden_remainder_z
      - .offset:         184
        .size:           8
        .value_kind:     hidden_global_offset_x
      - .offset:         192
        .size:           8
        .value_kind:     hidden_global_offset_y
      - .offset:         200
        .size:           8
        .value_kind:     hidden_global_offset_z
      - .offset:         208
        .size:           2
        .value_kind:     hidden_grid_dims
    .group_segment_fixed_size: 17472
    .kernarg_segment_align: 8
    .kernarg_segment_size: 400
    .language:       OpenCL C
    .language_version:
      - 2
      - 0
    .max_flat_workgroup_size: 256
    .name:           _Z39paged_attention_ll4mi_QKV_mfma16_kernelIDF16_hLN4vllm18Fp8KVCacheDataTypeE1EDF16_Li16ELi64ELi256ELb0ELi4EL8MFMAType1EEvPKT_PKT0_S8_ifPKiSA_SA_iPKfiiiPfSD_PS3_PT2_iSC_SC_
    .private_segment_fixed_size: 0
    .sgpr_count:     42
    .sgpr_spill_count: 0
    .symbol:         _Z39paged_attention_ll4mi_QKV_mfma16_kernelIDF16_hLN4vllm18Fp8KVCacheDataTypeE1EDF16_Li16ELi64ELi256ELb0ELi4EL8MFMAType1EEvPKT_PKT0_S8_ifPKiSA_SA_iPKfiiiPfSD_PS3_PT2_iSC_SC_.kd
    .uniform_work_group_size: 1
    .uses_dynamic_stack: false
    .vgpr_count:     123
    .vgpr_spill_count: 0
    .wavefront_size: 32
    .workgroup_processor_mode: 1
  - .args:
      - .actual_access:  read_only
        .address_space:  global
        .offset:         0
        .size:           8
        .value_kind:     global_buffer
      - .actual_access:  read_only
        .address_space:  global
        .offset:         8
        .size:           8
        .value_kind:     global_buffer
      - .actual_access:  read_only
        .address_space:  global
        .offset:         16
        .size:           8
        .value_kind:     global_buffer
      - .offset:         24
        .size:           4
        .value_kind:     by_value
      - .offset:         28
        .size:           4
        .value_kind:     by_value
      - .actual_access:  read_only
        .address_space:  global
        .offset:         32
        .size:           8
        .value_kind:     global_buffer
      - .actual_access:  read_only
        .address_space:  global
        .offset:         40
        .size:           8
        .value_kind:     global_buffer
      - .actual_access:  read_only
        .address_space:  global
        .offset:         48
        .size:           8
        .value_kind:     global_buffer
      - .offset:         56
        .size:           4
        .value_kind:     by_value
      - .actual_access:  read_only
        .address_space:  global
        .offset:         64
        .size:           8
        .value_kind:     global_buffer
      - .offset:         72
        .size:           4
        .value_kind:     by_value
      - .offset:         76
        .size:           4
        .value_kind:     by_value
      - .offset:         80
        .size:           4
        .value_kind:     by_value
      - .actual_access:  read_only
        .address_space:  global
        .offset:         88
        .size:           8
        .value_kind:     global_buffer
      - .actual_access:  read_only
        .address_space:  global
        .offset:         96
        .size:           8
        .value_kind:     global_buffer
      - .actual_access:  read_only
        .address_space:  global
        .offset:         104
        .size:           8
        .value_kind:     global_buffer
      - .actual_access:  read_only
        .address_space:  global
        .offset:         112
        .size:           8
        .value_kind:     global_buffer
      - .offset:         120
        .size:           4
        .value_kind:     by_value
      - .address_space:  global
        .offset:         128
        .size:           8
        .value_kind:     global_buffer
      - .address_space:  global
        .offset:         136
        .size:           8
        .value_kind:     global_buffer
      - .offset:         144
        .size:           4
        .value_kind:     hidden_block_count_x
      - .offset:         148
        .size:           4
        .value_kind:     hidden_block_count_y
      - .offset:         152
        .size:           4
        .value_kind:     hidden_block_count_z
      - .offset:         156
        .size:           2
        .value_kind:     hidden_group_size_x
      - .offset:         158
        .size:           2
        .value_kind:     hidden_group_size_y
      - .offset:         160
        .size:           2
        .value_kind:     hidden_group_size_z
      - .offset:         162
        .size:           2
        .value_kind:     hidden_remainder_x
      - .offset:         164
        .size:           2
        .value_kind:     hidden_remainder_y
      - .offset:         166
        .size:           2
        .value_kind:     hidden_remainder_z
      - .offset:         184
        .size:           8
        .value_kind:     hidden_global_offset_x
      - .offset:         192
        .size:           8
        .value_kind:     hidden_global_offset_y
      - .offset:         200
        .size:           8
        .value_kind:     hidden_global_offset_z
      - .offset:         208
        .size:           2
        .value_kind:     hidden_grid_dims
      - .offset:         224
        .size:           8
        .value_kind:     hidden_hostcall_buffer
    .group_segment_fixed_size: 0
    .kernarg_segment_align: 8
    .kernarg_segment_size: 400
    .language:       OpenCL C
    .language_version:
      - 2
      - 0
    .max_flat_workgroup_size: 256
    .name:           _Z38paged_attention_ll4mi_QKV_mfma4_kernelIDF16_hLN4vllm18Fp8KVCacheDataTypeE1EhLi32ELi64ELi256ELb1ELi1EEvPKT_PKT0_S7_ifPKiS9_S9_iPKfiiiPfSC_PS2_PT2_iSB_SB_
    .private_segment_fixed_size: 64
    .sgpr_count:     36
    .sgpr_spill_count: 0
    .symbol:         _Z38paged_attention_ll4mi_QKV_mfma4_kernelIDF16_hLN4vllm18Fp8KVCacheDataTypeE1EhLi32ELi64ELi256ELb1ELi1EEvPKT_PKT0_S7_ifPKiS9_S9_iPKfiiiPfSC_PS2_PT2_iSB_SB_.kd
    .uniform_work_group_size: 1
    .uses_dynamic_stack: false
    .vgpr_count:     41
    .vgpr_spill_count: 0
    .wavefront_size: 32
    .workgroup_processor_mode: 1
  - .args:
      - .actual_access:  read_only
        .address_space:  global
        .offset:         0
        .size:           8
        .value_kind:     global_buffer
      - .actual_access:  read_only
        .address_space:  global
        .offset:         8
        .size:           8
        .value_kind:     global_buffer
      - .actual_access:  read_only
        .address_space:  global
        .offset:         16
        .size:           8
        .value_kind:     global_buffer
      - .offset:         24
        .size:           4
        .value_kind:     by_value
      - .offset:         28
        .size:           4
        .value_kind:     by_value
      - .actual_access:  read_only
        .address_space:  global
        .offset:         32
        .size:           8
        .value_kind:     global_buffer
      - .actual_access:  read_only
        .address_space:  global
        .offset:         40
        .size:           8
        .value_kind:     global_buffer
      - .actual_access:  read_only
        .address_space:  global
        .offset:         48
        .size:           8
        .value_kind:     global_buffer
      - .offset:         56
        .size:           4
        .value_kind:     by_value
      - .actual_access:  read_only
        .address_space:  global
        .offset:         64
        .size:           8
        .value_kind:     global_buffer
      - .offset:         72
        .size:           4
        .value_kind:     by_value
      - .offset:         76
        .size:           4
        .value_kind:     by_value
      - .offset:         80
        .size:           4
        .value_kind:     by_value
      - .actual_access:  read_only
        .address_space:  global
        .offset:         88
        .size:           8
        .value_kind:     global_buffer
      - .actual_access:  read_only
        .address_space:  global
        .offset:         96
        .size:           8
        .value_kind:     global_buffer
      - .actual_access:  read_only
        .address_space:  global
        .offset:         104
        .size:           8
        .value_kind:     global_buffer
      - .actual_access:  read_only
        .address_space:  global
        .offset:         112
        .size:           8
        .value_kind:     global_buffer
      - .offset:         120
        .size:           4
        .value_kind:     by_value
      - .address_space:  global
        .offset:         128
        .size:           8
        .value_kind:     global_buffer
      - .address_space:  global
        .offset:         136
        .size:           8
        .value_kind:     global_buffer
      - .offset:         144
        .size:           4
        .value_kind:     hidden_block_count_x
      - .offset:         148
        .size:           4
        .value_kind:     hidden_block_count_y
      - .offset:         152
        .size:           4
        .value_kind:     hidden_block_count_z
      - .offset:         156
        .size:           2
        .value_kind:     hidden_group_size_x
      - .offset:         158
        .size:           2
        .value_kind:     hidden_group_size_y
      - .offset:         160
        .size:           2
        .value_kind:     hidden_group_size_z
      - .offset:         162
        .size:           2
        .value_kind:     hidden_remainder_x
      - .offset:         164
        .size:           2
        .value_kind:     hidden_remainder_y
      - .offset:         166
        .size:           2
        .value_kind:     hidden_remainder_z
      - .offset:         184
        .size:           8
        .value_kind:     hidden_global_offset_x
      - .offset:         192
        .size:           8
        .value_kind:     hidden_global_offset_y
      - .offset:         200
        .size:           8
        .value_kind:     hidden_global_offset_z
      - .offset:         208
        .size:           2
        .value_kind:     hidden_grid_dims
      - .offset:         224
        .size:           8
        .value_kind:     hidden_hostcall_buffer
    .group_segment_fixed_size: 0
    .kernarg_segment_align: 8
    .kernarg_segment_size: 400
    .language:       OpenCL C
    .language_version:
      - 2
      - 0
    .max_flat_workgroup_size: 256
    .name:           _Z38paged_attention_ll4mi_QKV_mfma4_kernelIDF16_hLN4vllm18Fp8KVCacheDataTypeE1EhLi32ELi64ELi256ELb1ELi2EEvPKT_PKT0_S7_ifPKiS9_S9_iPKfiiiPfSC_PS2_PT2_iSB_SB_
    .private_segment_fixed_size: 64
    .sgpr_count:     36
    .sgpr_spill_count: 0
    .symbol:         _Z38paged_attention_ll4mi_QKV_mfma4_kernelIDF16_hLN4vllm18Fp8KVCacheDataTypeE1EhLi32ELi64ELi256ELb1ELi2EEvPKT_PKT0_S7_ifPKiS9_S9_iPKfiiiPfSC_PS2_PT2_iSB_SB_.kd
    .uniform_work_group_size: 1
    .uses_dynamic_stack: false
    .vgpr_count:     41
    .vgpr_spill_count: 0
    .wavefront_size: 32
    .workgroup_processor_mode: 1
  - .args:
      - .actual_access:  read_only
        .address_space:  global
        .offset:         0
        .size:           8
        .value_kind:     global_buffer
      - .actual_access:  read_only
        .address_space:  global
        .offset:         8
        .size:           8
        .value_kind:     global_buffer
      - .actual_access:  read_only
        .address_space:  global
        .offset:         16
        .size:           8
        .value_kind:     global_buffer
      - .offset:         24
        .size:           4
        .value_kind:     by_value
      - .offset:         28
        .size:           4
        .value_kind:     by_value
      - .actual_access:  read_only
        .address_space:  global
        .offset:         32
        .size:           8
        .value_kind:     global_buffer
      - .actual_access:  read_only
        .address_space:  global
        .offset:         40
        .size:           8
        .value_kind:     global_buffer
      - .actual_access:  read_only
        .address_space:  global
        .offset:         48
        .size:           8
        .value_kind:     global_buffer
      - .offset:         56
        .size:           4
        .value_kind:     by_value
      - .actual_access:  read_only
        .address_space:  global
        .offset:         64
        .size:           8
        .value_kind:     global_buffer
      - .offset:         72
        .size:           4
        .value_kind:     by_value
      - .offset:         76
        .size:           4
        .value_kind:     by_value
      - .offset:         80
        .size:           4
        .value_kind:     by_value
      - .actual_access:  read_only
        .address_space:  global
        .offset:         88
        .size:           8
        .value_kind:     global_buffer
      - .actual_access:  read_only
        .address_space:  global
        .offset:         96
        .size:           8
        .value_kind:     global_buffer
      - .actual_access:  read_only
        .address_space:  global
        .offset:         104
        .size:           8
        .value_kind:     global_buffer
      - .actual_access:  read_only
        .address_space:  global
        .offset:         112
        .size:           8
        .value_kind:     global_buffer
      - .offset:         120
        .size:           4
        .value_kind:     by_value
      - .address_space:  global
        .offset:         128
        .size:           8
        .value_kind:     global_buffer
      - .address_space:  global
        .offset:         136
        .size:           8
        .value_kind:     global_buffer
      - .offset:         144
        .size:           4
        .value_kind:     hidden_block_count_x
      - .offset:         148
        .size:           4
        .value_kind:     hidden_block_count_y
      - .offset:         152
        .size:           4
        .value_kind:     hidden_block_count_z
      - .offset:         156
        .size:           2
        .value_kind:     hidden_group_size_x
      - .offset:         158
        .size:           2
        .value_kind:     hidden_group_size_y
      - .offset:         160
        .size:           2
        .value_kind:     hidden_group_size_z
      - .offset:         162
        .size:           2
        .value_kind:     hidden_remainder_x
      - .offset:         164
        .size:           2
        .value_kind:     hidden_remainder_y
      - .offset:         166
        .size:           2
        .value_kind:     hidden_remainder_z
      - .offset:         184
        .size:           8
        .value_kind:     hidden_global_offset_x
      - .offset:         192
        .size:           8
        .value_kind:     hidden_global_offset_y
      - .offset:         200
        .size:           8
        .value_kind:     hidden_global_offset_z
      - .offset:         208
        .size:           2
        .value_kind:     hidden_grid_dims
      - .offset:         224
        .size:           8
        .value_kind:     hidden_hostcall_buffer
    .group_segment_fixed_size: 0
    .kernarg_segment_align: 8
    .kernarg_segment_size: 400
    .language:       OpenCL C
    .language_version:
      - 2
      - 0
    .max_flat_workgroup_size: 256
    .name:           _Z38paged_attention_ll4mi_QKV_mfma4_kernelIDF16_hLN4vllm18Fp8KVCacheDataTypeE1EhLi32ELi64ELi256ELb1ELi3EEvPKT_PKT0_S7_ifPKiS9_S9_iPKfiiiPfSC_PS2_PT2_iSB_SB_
    .private_segment_fixed_size: 64
    .sgpr_count:     36
    .sgpr_spill_count: 0
    .symbol:         _Z38paged_attention_ll4mi_QKV_mfma4_kernelIDF16_hLN4vllm18Fp8KVCacheDataTypeE1EhLi32ELi64ELi256ELb1ELi3EEvPKT_PKT0_S7_ifPKiS9_S9_iPKfiiiPfSC_PS2_PT2_iSB_SB_.kd
    .uniform_work_group_size: 1
    .uses_dynamic_stack: false
    .vgpr_count:     41
    .vgpr_spill_count: 0
    .wavefront_size: 32
    .workgroup_processor_mode: 1
  - .args:
      - .actual_access:  read_only
        .address_space:  global
        .offset:         0
        .size:           8
        .value_kind:     global_buffer
      - .actual_access:  read_only
        .address_space:  global
        .offset:         8
        .size:           8
        .value_kind:     global_buffer
      - .actual_access:  read_only
        .address_space:  global
        .offset:         16
        .size:           8
        .value_kind:     global_buffer
      - .offset:         24
        .size:           4
        .value_kind:     by_value
      - .offset:         28
        .size:           4
        .value_kind:     by_value
      - .actual_access:  read_only
        .address_space:  global
        .offset:         32
        .size:           8
        .value_kind:     global_buffer
      - .actual_access:  read_only
        .address_space:  global
        .offset:         40
        .size:           8
        .value_kind:     global_buffer
      - .actual_access:  read_only
        .address_space:  global
        .offset:         48
        .size:           8
        .value_kind:     global_buffer
      - .offset:         56
        .size:           4
        .value_kind:     by_value
      - .actual_access:  read_only
        .address_space:  global
        .offset:         64
        .size:           8
        .value_kind:     global_buffer
      - .offset:         72
        .size:           4
        .value_kind:     by_value
      - .offset:         76
        .size:           4
        .value_kind:     by_value
      - .offset:         80
        .size:           4
        .value_kind:     by_value
      - .actual_access:  read_only
        .address_space:  global
        .offset:         88
        .size:           8
        .value_kind:     global_buffer
      - .actual_access:  read_only
        .address_space:  global
        .offset:         96
        .size:           8
        .value_kind:     global_buffer
      - .actual_access:  read_only
        .address_space:  global
        .offset:         104
        .size:           8
        .value_kind:     global_buffer
      - .actual_access:  read_only
        .address_space:  global
        .offset:         112
        .size:           8
        .value_kind:     global_buffer
      - .offset:         120
        .size:           4
        .value_kind:     by_value
      - .address_space:  global
        .offset:         128
        .size:           8
        .value_kind:     global_buffer
      - .address_space:  global
        .offset:         136
        .size:           8
        .value_kind:     global_buffer
      - .offset:         144
        .size:           4
        .value_kind:     hidden_block_count_x
      - .offset:         148
        .size:           4
        .value_kind:     hidden_block_count_y
      - .offset:         152
        .size:           4
        .value_kind:     hidden_block_count_z
      - .offset:         156
        .size:           2
        .value_kind:     hidden_group_size_x
      - .offset:         158
        .size:           2
        .value_kind:     hidden_group_size_y
      - .offset:         160
        .size:           2
        .value_kind:     hidden_group_size_z
      - .offset:         162
        .size:           2
        .value_kind:     hidden_remainder_x
      - .offset:         164
        .size:           2
        .value_kind:     hidden_remainder_y
      - .offset:         166
        .size:           2
        .value_kind:     hidden_remainder_z
      - .offset:         184
        .size:           8
        .value_kind:     hidden_global_offset_x
      - .offset:         192
        .size:           8
        .value_kind:     hidden_global_offset_y
      - .offset:         200
        .size:           8
        .value_kind:     hidden_global_offset_z
      - .offset:         208
        .size:           2
        .value_kind:     hidden_grid_dims
      - .offset:         224
        .size:           8
        .value_kind:     hidden_hostcall_buffer
    .group_segment_fixed_size: 0
    .kernarg_segment_align: 8
    .kernarg_segment_size: 400
    .language:       OpenCL C
    .language_version:
      - 2
      - 0
    .max_flat_workgroup_size: 256
    .name:           _Z38paged_attention_ll4mi_QKV_mfma4_kernelIDF16_hLN4vllm18Fp8KVCacheDataTypeE1EhLi32ELi64ELi256ELb1ELi4EEvPKT_PKT0_S7_ifPKiS9_S9_iPKfiiiPfSC_PS2_PT2_iSB_SB_
    .private_segment_fixed_size: 64
    .sgpr_count:     36
    .sgpr_spill_count: 0
    .symbol:         _Z38paged_attention_ll4mi_QKV_mfma4_kernelIDF16_hLN4vllm18Fp8KVCacheDataTypeE1EhLi32ELi64ELi256ELb1ELi4EEvPKT_PKT0_S7_ifPKiS9_S9_iPKfiiiPfSC_PS2_PT2_iSB_SB_.kd
    .uniform_work_group_size: 1
    .uses_dynamic_stack: false
    .vgpr_count:     41
    .vgpr_spill_count: 0
    .wavefront_size: 32
    .workgroup_processor_mode: 1
  - .args:
      - .actual_access:  read_only
        .address_space:  global
        .offset:         0
        .size:           8
        .value_kind:     global_buffer
      - .actual_access:  read_only
        .address_space:  global
        .offset:         8
        .size:           8
        .value_kind:     global_buffer
      - .actual_access:  read_only
        .address_space:  global
        .offset:         16
        .size:           8
        .value_kind:     global_buffer
      - .offset:         24
        .size:           4
        .value_kind:     by_value
      - .offset:         28
        .size:           4
        .value_kind:     by_value
      - .actual_access:  read_only
        .address_space:  global
        .offset:         32
        .size:           8
        .value_kind:     global_buffer
      - .actual_access:  read_only
        .address_space:  global
        .offset:         40
        .size:           8
        .value_kind:     global_buffer
      - .actual_access:  read_only
        .address_space:  global
        .offset:         48
        .size:           8
        .value_kind:     global_buffer
      - .offset:         56
        .size:           4
        .value_kind:     by_value
      - .actual_access:  read_only
        .address_space:  global
        .offset:         64
        .size:           8
        .value_kind:     global_buffer
      - .offset:         72
        .size:           4
        .value_kind:     by_value
      - .offset:         76
        .size:           4
        .value_kind:     by_value
      - .offset:         80
        .size:           4
        .value_kind:     by_value
      - .actual_access:  write_only
        .address_space:  global
        .offset:         88
        .size:           8
        .value_kind:     global_buffer
      - .actual_access:  write_only
        .address_space:  global
        .offset:         96
        .size:           8
        .value_kind:     global_buffer
      - .actual_access:  write_only
        .address_space:  global
        .offset:         104
        .size:           8
        .value_kind:     global_buffer
      - .actual_access:  read_only
        .address_space:  global
        .offset:         112
        .size:           8
        .value_kind:     global_buffer
      - .offset:         120
        .size:           4
        .value_kind:     by_value
      - .address_space:  global
        .offset:         128
        .size:           8
        .value_kind:     global_buffer
      - .address_space:  global
        .offset:         136
        .size:           8
        .value_kind:     global_buffer
      - .offset:         144
        .size:           4
        .value_kind:     hidden_block_count_x
      - .offset:         148
        .size:           4
        .value_kind:     hidden_block_count_y
      - .offset:         152
        .size:           4
        .value_kind:     hidden_block_count_z
      - .offset:         156
        .size:           2
        .value_kind:     hidden_group_size_x
      - .offset:         158
        .size:           2
        .value_kind:     hidden_group_size_y
      - .offset:         160
        .size:           2
        .value_kind:     hidden_group_size_z
      - .offset:         162
        .size:           2
        .value_kind:     hidden_remainder_x
      - .offset:         164
        .size:           2
        .value_kind:     hidden_remainder_y
      - .offset:         166
        .size:           2
        .value_kind:     hidden_remainder_z
      - .offset:         184
        .size:           8
        .value_kind:     hidden_global_offset_x
      - .offset:         192
        .size:           8
        .value_kind:     hidden_global_offset_y
      - .offset:         200
        .size:           8
        .value_kind:     hidden_global_offset_z
      - .offset:         208
        .size:           2
        .value_kind:     hidden_grid_dims
    .group_segment_fixed_size: 17472
    .kernarg_segment_align: 8
    .kernarg_segment_size: 400
    .language:       OpenCL C
    .language_version:
      - 2
      - 0
    .max_flat_workgroup_size: 256
    .name:           _Z39paged_attention_ll4mi_QKV_mfma16_kernelIDF16_hLN4vllm18Fp8KVCacheDataTypeE1EhLi32ELi64ELi256ELb1ELi5EL8MFMAType1EEvPKT_PKT0_S8_ifPKiSA_SA_iPKfiiiPfSD_PS3_PT2_iSC_SC_
    .private_segment_fixed_size: 0
    .sgpr_count:     39
    .sgpr_spill_count: 0
    .symbol:         _Z39paged_attention_ll4mi_QKV_mfma16_kernelIDF16_hLN4vllm18Fp8KVCacheDataTypeE1EhLi32ELi64ELi256ELb1ELi5EL8MFMAType1EEvPKT_PKT0_S8_ifPKiSA_SA_iPKfiiiPfSD_PS3_PT2_iSC_SC_.kd
    .uniform_work_group_size: 1
    .uses_dynamic_stack: false
    .vgpr_count:     146
    .vgpr_spill_count: 0
    .wavefront_size: 32
    .workgroup_processor_mode: 1
  - .args:
      - .actual_access:  read_only
        .address_space:  global
        .offset:         0
        .size:           8
        .value_kind:     global_buffer
      - .actual_access:  read_only
        .address_space:  global
        .offset:         8
        .size:           8
        .value_kind:     global_buffer
      - .actual_access:  read_only
        .address_space:  global
        .offset:         16
        .size:           8
        .value_kind:     global_buffer
      - .offset:         24
        .size:           4
        .value_kind:     by_value
      - .offset:         28
        .size:           4
        .value_kind:     by_value
      - .actual_access:  read_only
        .address_space:  global
        .offset:         32
        .size:           8
        .value_kind:     global_buffer
      - .actual_access:  read_only
        .address_space:  global
        .offset:         40
        .size:           8
        .value_kind:     global_buffer
      - .actual_access:  read_only
        .address_space:  global
        .offset:         48
        .size:           8
        .value_kind:     global_buffer
      - .offset:         56
        .size:           4
        .value_kind:     by_value
      - .actual_access:  read_only
        .address_space:  global
        .offset:         64
        .size:           8
        .value_kind:     global_buffer
      - .offset:         72
        .size:           4
        .value_kind:     by_value
      - .offset:         76
        .size:           4
        .value_kind:     by_value
      - .offset:         80
        .size:           4
        .value_kind:     by_value
      - .actual_access:  write_only
        .address_space:  global
        .offset:         88
        .size:           8
        .value_kind:     global_buffer
      - .actual_access:  write_only
        .address_space:  global
        .offset:         96
        .size:           8
        .value_kind:     global_buffer
      - .actual_access:  write_only
        .address_space:  global
        .offset:         104
        .size:           8
        .value_kind:     global_buffer
      - .actual_access:  read_only
        .address_space:  global
        .offset:         112
        .size:           8
        .value_kind:     global_buffer
      - .offset:         120
        .size:           4
        .value_kind:     by_value
      - .address_space:  global
        .offset:         128
        .size:           8
        .value_kind:     global_buffer
      - .address_space:  global
        .offset:         136
        .size:           8
        .value_kind:     global_buffer
      - .offset:         144
        .size:           4
        .value_kind:     hidden_block_count_x
      - .offset:         148
        .size:           4
        .value_kind:     hidden_block_count_y
      - .offset:         152
        .size:           4
        .value_kind:     hidden_block_count_z
      - .offset:         156
        .size:           2
        .value_kind:     hidden_group_size_x
      - .offset:         158
        .size:           2
        .value_kind:     hidden_group_size_y
      - .offset:         160
        .size:           2
        .value_kind:     hidden_group_size_z
      - .offset:         162
        .size:           2
        .value_kind:     hidden_remainder_x
      - .offset:         164
        .size:           2
        .value_kind:     hidden_remainder_y
      - .offset:         166
        .size:           2
        .value_kind:     hidden_remainder_z
      - .offset:         184
        .size:           8
        .value_kind:     hidden_global_offset_x
      - .offset:         192
        .size:           8
        .value_kind:     hidden_global_offset_y
      - .offset:         200
        .size:           8
        .value_kind:     hidden_global_offset_z
      - .offset:         208
        .size:           2
        .value_kind:     hidden_grid_dims
    .group_segment_fixed_size: 17472
    .kernarg_segment_align: 8
    .kernarg_segment_size: 400
    .language:       OpenCL C
    .language_version:
      - 2
      - 0
    .max_flat_workgroup_size: 256
    .name:           _Z39paged_attention_ll4mi_QKV_mfma16_kernelIDF16_hLN4vllm18Fp8KVCacheDataTypeE1EhLi32ELi64ELi256ELb1ELi6EL8MFMAType1EEvPKT_PKT0_S8_ifPKiSA_SA_iPKfiiiPfSD_PS3_PT2_iSC_SC_
    .private_segment_fixed_size: 0
    .sgpr_count:     40
    .sgpr_spill_count: 0
    .symbol:         _Z39paged_attention_ll4mi_QKV_mfma16_kernelIDF16_hLN4vllm18Fp8KVCacheDataTypeE1EhLi32ELi64ELi256ELb1ELi6EL8MFMAType1EEvPKT_PKT0_S8_ifPKiSA_SA_iPKfiiiPfSD_PS3_PT2_iSC_SC_.kd
    .uniform_work_group_size: 1
    .uses_dynamic_stack: false
    .vgpr_count:     146
    .vgpr_spill_count: 0
    .wavefront_size: 32
    .workgroup_processor_mode: 1
  - .args:
      - .actual_access:  read_only
        .address_space:  global
        .offset:         0
        .size:           8
        .value_kind:     global_buffer
      - .actual_access:  read_only
        .address_space:  global
        .offset:         8
        .size:           8
        .value_kind:     global_buffer
      - .actual_access:  read_only
        .address_space:  global
        .offset:         16
        .size:           8
        .value_kind:     global_buffer
      - .offset:         24
        .size:           4
        .value_kind:     by_value
      - .offset:         28
        .size:           4
        .value_kind:     by_value
      - .actual_access:  read_only
        .address_space:  global
        .offset:         32
        .size:           8
        .value_kind:     global_buffer
      - .actual_access:  read_only
        .address_space:  global
        .offset:         40
        .size:           8
        .value_kind:     global_buffer
      - .actual_access:  read_only
        .address_space:  global
        .offset:         48
        .size:           8
        .value_kind:     global_buffer
      - .offset:         56
        .size:           4
        .value_kind:     by_value
      - .actual_access:  read_only
        .address_space:  global
        .offset:         64
        .size:           8
        .value_kind:     global_buffer
      - .offset:         72
        .size:           4
        .value_kind:     by_value
      - .offset:         76
        .size:           4
        .value_kind:     by_value
      - .offset:         80
        .size:           4
        .value_kind:     by_value
      - .actual_access:  write_only
        .address_space:  global
        .offset:         88
        .size:           8
        .value_kind:     global_buffer
      - .actual_access:  write_only
        .address_space:  global
        .offset:         96
        .size:           8
        .value_kind:     global_buffer
      - .actual_access:  write_only
        .address_space:  global
        .offset:         104
        .size:           8
        .value_kind:     global_buffer
      - .actual_access:  read_only
        .address_space:  global
        .offset:         112
        .size:           8
        .value_kind:     global_buffer
      - .offset:         120
        .size:           4
        .value_kind:     by_value
      - .address_space:  global
        .offset:         128
        .size:           8
        .value_kind:     global_buffer
      - .address_space:  global
        .offset:         136
        .size:           8
        .value_kind:     global_buffer
      - .offset:         144
        .size:           4
        .value_kind:     hidden_block_count_x
      - .offset:         148
        .size:           4
        .value_kind:     hidden_block_count_y
      - .offset:         152
        .size:           4
        .value_kind:     hidden_block_count_z
      - .offset:         156
        .size:           2
        .value_kind:     hidden_group_size_x
      - .offset:         158
        .size:           2
        .value_kind:     hidden_group_size_y
      - .offset:         160
        .size:           2
        .value_kind:     hidden_group_size_z
      - .offset:         162
        .size:           2
        .value_kind:     hidden_remainder_x
      - .offset:         164
        .size:           2
        .value_kind:     hidden_remainder_y
      - .offset:         166
        .size:           2
        .value_kind:     hidden_remainder_z
      - .offset:         184
        .size:           8
        .value_kind:     hidden_global_offset_x
      - .offset:         192
        .size:           8
        .value_kind:     hidden_global_offset_y
      - .offset:         200
        .size:           8
        .value_kind:     hidden_global_offset_z
      - .offset:         208
        .size:           2
        .value_kind:     hidden_grid_dims
    .group_segment_fixed_size: 17472
    .kernarg_segment_align: 8
    .kernarg_segment_size: 400
    .language:       OpenCL C
    .language_version:
      - 2
      - 0
    .max_flat_workgroup_size: 256
    .name:           _Z39paged_attention_ll4mi_QKV_mfma16_kernelIDF16_hLN4vllm18Fp8KVCacheDataTypeE1EhLi32ELi64ELi256ELb1ELi7EL8MFMAType1EEvPKT_PKT0_S8_ifPKiSA_SA_iPKfiiiPfSD_PS3_PT2_iSC_SC_
    .private_segment_fixed_size: 0
    .sgpr_count:     39
    .sgpr_spill_count: 0
    .symbol:         _Z39paged_attention_ll4mi_QKV_mfma16_kernelIDF16_hLN4vllm18Fp8KVCacheDataTypeE1EhLi32ELi64ELi256ELb1ELi7EL8MFMAType1EEvPKT_PKT0_S8_ifPKiSA_SA_iPKfiiiPfSD_PS3_PT2_iSC_SC_.kd
    .uniform_work_group_size: 1
    .uses_dynamic_stack: false
    .vgpr_count:     146
    .vgpr_spill_count: 0
    .wavefront_size: 32
    .workgroup_processor_mode: 1
  - .args:
      - .actual_access:  read_only
        .address_space:  global
        .offset:         0
        .size:           8
        .value_kind:     global_buffer
      - .actual_access:  read_only
        .address_space:  global
        .offset:         8
        .size:           8
        .value_kind:     global_buffer
      - .actual_access:  read_only
        .address_space:  global
        .offset:         16
        .size:           8
        .value_kind:     global_buffer
      - .offset:         24
        .size:           4
        .value_kind:     by_value
      - .offset:         28
        .size:           4
        .value_kind:     by_value
      - .actual_access:  read_only
        .address_space:  global
        .offset:         32
        .size:           8
        .value_kind:     global_buffer
      - .actual_access:  read_only
        .address_space:  global
        .offset:         40
        .size:           8
        .value_kind:     global_buffer
      - .actual_access:  read_only
        .address_space:  global
        .offset:         48
        .size:           8
        .value_kind:     global_buffer
      - .offset:         56
        .size:           4
        .value_kind:     by_value
      - .actual_access:  read_only
        .address_space:  global
        .offset:         64
        .size:           8
        .value_kind:     global_buffer
      - .offset:         72
        .size:           4
        .value_kind:     by_value
      - .offset:         76
        .size:           4
        .value_kind:     by_value
      - .offset:         80
        .size:           4
        .value_kind:     by_value
      - .actual_access:  write_only
        .address_space:  global
        .offset:         88
        .size:           8
        .value_kind:     global_buffer
      - .actual_access:  write_only
        .address_space:  global
        .offset:         96
        .size:           8
        .value_kind:     global_buffer
      - .actual_access:  write_only
        .address_space:  global
        .offset:         104
        .size:           8
        .value_kind:     global_buffer
      - .actual_access:  read_only
        .address_space:  global
        .offset:         112
        .size:           8
        .value_kind:     global_buffer
      - .offset:         120
        .size:           4
        .value_kind:     by_value
      - .address_space:  global
        .offset:         128
        .size:           8
        .value_kind:     global_buffer
      - .address_space:  global
        .offset:         136
        .size:           8
        .value_kind:     global_buffer
      - .offset:         144
        .size:           4
        .value_kind:     hidden_block_count_x
      - .offset:         148
        .size:           4
        .value_kind:     hidden_block_count_y
      - .offset:         152
        .size:           4
        .value_kind:     hidden_block_count_z
      - .offset:         156
        .size:           2
        .value_kind:     hidden_group_size_x
      - .offset:         158
        .size:           2
        .value_kind:     hidden_group_size_y
      - .offset:         160
        .size:           2
        .value_kind:     hidden_group_size_z
      - .offset:         162
        .size:           2
        .value_kind:     hidden_remainder_x
      - .offset:         164
        .size:           2
        .value_kind:     hidden_remainder_y
      - .offset:         166
        .size:           2
        .value_kind:     hidden_remainder_z
      - .offset:         184
        .size:           8
        .value_kind:     hidden_global_offset_x
      - .offset:         192
        .size:           8
        .value_kind:     hidden_global_offset_y
      - .offset:         200
        .size:           8
        .value_kind:     hidden_global_offset_z
      - .offset:         208
        .size:           2
        .value_kind:     hidden_grid_dims
    .group_segment_fixed_size: 17472
    .kernarg_segment_align: 8
    .kernarg_segment_size: 400
    .language:       OpenCL C
    .language_version:
      - 2
      - 0
    .max_flat_workgroup_size: 256
    .name:           _Z39paged_attention_ll4mi_QKV_mfma16_kernelIDF16_hLN4vllm18Fp8KVCacheDataTypeE1EhLi32ELi64ELi256ELb1ELi8EL8MFMAType1EEvPKT_PKT0_S8_ifPKiSA_SA_iPKfiiiPfSD_PS3_PT2_iSC_SC_
    .private_segment_fixed_size: 0
    .sgpr_count:     44
    .sgpr_spill_count: 0
    .symbol:         _Z39paged_attention_ll4mi_QKV_mfma16_kernelIDF16_hLN4vllm18Fp8KVCacheDataTypeE1EhLi32ELi64ELi256ELb1ELi8EL8MFMAType1EEvPKT_PKT0_S8_ifPKiSA_SA_iPKfiiiPfSD_PS3_PT2_iSC_SC_.kd
    .uniform_work_group_size: 1
    .uses_dynamic_stack: false
    .vgpr_count:     123
    .vgpr_spill_count: 0
    .wavefront_size: 32
    .workgroup_processor_mode: 1
  - .args:
      - .actual_access:  read_only
        .address_space:  global
        .offset:         0
        .size:           8
        .value_kind:     global_buffer
      - .actual_access:  read_only
        .address_space:  global
        .offset:         8
        .size:           8
        .value_kind:     global_buffer
      - .actual_access:  read_only
        .address_space:  global
        .offset:         16
        .size:           8
        .value_kind:     global_buffer
      - .offset:         24
        .size:           4
        .value_kind:     by_value
      - .offset:         28
        .size:           4
        .value_kind:     by_value
      - .actual_access:  read_only
        .address_space:  global
        .offset:         32
        .size:           8
        .value_kind:     global_buffer
      - .actual_access:  read_only
        .address_space:  global
        .offset:         40
        .size:           8
        .value_kind:     global_buffer
      - .actual_access:  read_only
        .address_space:  global
        .offset:         48
        .size:           8
        .value_kind:     global_buffer
      - .offset:         56
        .size:           4
        .value_kind:     by_value
      - .actual_access:  read_only
        .address_space:  global
        .offset:         64
        .size:           8
        .value_kind:     global_buffer
      - .offset:         72
        .size:           4
        .value_kind:     by_value
      - .offset:         76
        .size:           4
        .value_kind:     by_value
      - .offset:         80
        .size:           4
        .value_kind:     by_value
      - .actual_access:  write_only
        .address_space:  global
        .offset:         88
        .size:           8
        .value_kind:     global_buffer
      - .actual_access:  write_only
        .address_space:  global
        .offset:         96
        .size:           8
        .value_kind:     global_buffer
      - .actual_access:  write_only
        .address_space:  global
        .offset:         104
        .size:           8
        .value_kind:     global_buffer
      - .actual_access:  read_only
        .address_space:  global
        .offset:         112
        .size:           8
        .value_kind:     global_buffer
      - .offset:         120
        .size:           4
        .value_kind:     by_value
      - .address_space:  global
        .offset:         128
        .size:           8
        .value_kind:     global_buffer
      - .address_space:  global
        .offset:         136
        .size:           8
        .value_kind:     global_buffer
      - .offset:         144
        .size:           4
        .value_kind:     hidden_block_count_x
      - .offset:         148
        .size:           4
        .value_kind:     hidden_block_count_y
      - .offset:         152
        .size:           4
        .value_kind:     hidden_block_count_z
      - .offset:         156
        .size:           2
        .value_kind:     hidden_group_size_x
      - .offset:         158
        .size:           2
        .value_kind:     hidden_group_size_y
      - .offset:         160
        .size:           2
        .value_kind:     hidden_group_size_z
      - .offset:         162
        .size:           2
        .value_kind:     hidden_remainder_x
      - .offset:         164
        .size:           2
        .value_kind:     hidden_remainder_y
      - .offset:         166
        .size:           2
        .value_kind:     hidden_remainder_z
      - .offset:         184
        .size:           8
        .value_kind:     hidden_global_offset_x
      - .offset:         192
        .size:           8
        .value_kind:     hidden_global_offset_y
      - .offset:         200
        .size:           8
        .value_kind:     hidden_global_offset_z
      - .offset:         208
        .size:           2
        .value_kind:     hidden_grid_dims
    .group_segment_fixed_size: 17472
    .kernarg_segment_align: 8
    .kernarg_segment_size: 400
    .language:       OpenCL C
    .language_version:
      - 2
      - 0
    .max_flat_workgroup_size: 256
    .name:           _Z39paged_attention_ll4mi_QKV_mfma16_kernelIDF16_hLN4vllm18Fp8KVCacheDataTypeE1EhLi32ELi64ELi256ELb1ELi9EL8MFMAType1EEvPKT_PKT0_S8_ifPKiSA_SA_iPKfiiiPfSD_PS3_PT2_iSC_SC_
    .private_segment_fixed_size: 0
    .sgpr_count:     39
    .sgpr_spill_count: 0
    .symbol:         _Z39paged_attention_ll4mi_QKV_mfma16_kernelIDF16_hLN4vllm18Fp8KVCacheDataTypeE1EhLi32ELi64ELi256ELb1ELi9EL8MFMAType1EEvPKT_PKT0_S8_ifPKiSA_SA_iPKfiiiPfSD_PS3_PT2_iSC_SC_.kd
    .uniform_work_group_size: 1
    .uses_dynamic_stack: false
    .vgpr_count:     146
    .vgpr_spill_count: 0
    .wavefront_size: 32
    .workgroup_processor_mode: 1
  - .args:
      - .actual_access:  read_only
        .address_space:  global
        .offset:         0
        .size:           8
        .value_kind:     global_buffer
      - .actual_access:  read_only
        .address_space:  global
        .offset:         8
        .size:           8
        .value_kind:     global_buffer
      - .actual_access:  read_only
        .address_space:  global
        .offset:         16
        .size:           8
        .value_kind:     global_buffer
      - .offset:         24
        .size:           4
        .value_kind:     by_value
      - .offset:         28
        .size:           4
        .value_kind:     by_value
      - .actual_access:  read_only
        .address_space:  global
        .offset:         32
        .size:           8
        .value_kind:     global_buffer
      - .actual_access:  read_only
        .address_space:  global
        .offset:         40
        .size:           8
        .value_kind:     global_buffer
      - .actual_access:  read_only
        .address_space:  global
        .offset:         48
        .size:           8
        .value_kind:     global_buffer
      - .offset:         56
        .size:           4
        .value_kind:     by_value
      - .actual_access:  read_only
        .address_space:  global
        .offset:         64
        .size:           8
        .value_kind:     global_buffer
      - .offset:         72
        .size:           4
        .value_kind:     by_value
      - .offset:         76
        .size:           4
        .value_kind:     by_value
      - .offset:         80
        .size:           4
        .value_kind:     by_value
      - .actual_access:  write_only
        .address_space:  global
        .offset:         88
        .size:           8
        .value_kind:     global_buffer
      - .actual_access:  write_only
        .address_space:  global
        .offset:         96
        .size:           8
        .value_kind:     global_buffer
      - .actual_access:  write_only
        .address_space:  global
        .offset:         104
        .size:           8
        .value_kind:     global_buffer
      - .actual_access:  read_only
        .address_space:  global
        .offset:         112
        .size:           8
        .value_kind:     global_buffer
      - .offset:         120
        .size:           4
        .value_kind:     by_value
      - .address_space:  global
        .offset:         128
        .size:           8
        .value_kind:     global_buffer
      - .address_space:  global
        .offset:         136
        .size:           8
        .value_kind:     global_buffer
      - .offset:         144
        .size:           4
        .value_kind:     hidden_block_count_x
      - .offset:         148
        .size:           4
        .value_kind:     hidden_block_count_y
      - .offset:         152
        .size:           4
        .value_kind:     hidden_block_count_z
      - .offset:         156
        .size:           2
        .value_kind:     hidden_group_size_x
      - .offset:         158
        .size:           2
        .value_kind:     hidden_group_size_y
      - .offset:         160
        .size:           2
        .value_kind:     hidden_group_size_z
      - .offset:         162
        .size:           2
        .value_kind:     hidden_remainder_x
      - .offset:         164
        .size:           2
        .value_kind:     hidden_remainder_y
      - .offset:         166
        .size:           2
        .value_kind:     hidden_remainder_z
      - .offset:         184
        .size:           8
        .value_kind:     hidden_global_offset_x
      - .offset:         192
        .size:           8
        .value_kind:     hidden_global_offset_y
      - .offset:         200
        .size:           8
        .value_kind:     hidden_global_offset_z
      - .offset:         208
        .size:           2
        .value_kind:     hidden_grid_dims
    .group_segment_fixed_size: 17472
    .kernarg_segment_align: 8
    .kernarg_segment_size: 400
    .language:       OpenCL C
    .language_version:
      - 2
      - 0
    .max_flat_workgroup_size: 256
    .name:           _Z39paged_attention_ll4mi_QKV_mfma16_kernelIDF16_hLN4vllm18Fp8KVCacheDataTypeE1EhLi32ELi64ELi256ELb1ELi10EL8MFMAType1EEvPKT_PKT0_S8_ifPKiSA_SA_iPKfiiiPfSD_PS3_PT2_iSC_SC_
    .private_segment_fixed_size: 0
    .sgpr_count:     40
    .sgpr_spill_count: 0
    .symbol:         _Z39paged_attention_ll4mi_QKV_mfma16_kernelIDF16_hLN4vllm18Fp8KVCacheDataTypeE1EhLi32ELi64ELi256ELb1ELi10EL8MFMAType1EEvPKT_PKT0_S8_ifPKiSA_SA_iPKfiiiPfSD_PS3_PT2_iSC_SC_.kd
    .uniform_work_group_size: 1
    .uses_dynamic_stack: false
    .vgpr_count:     146
    .vgpr_spill_count: 0
    .wavefront_size: 32
    .workgroup_processor_mode: 1
  - .args:
      - .actual_access:  read_only
        .address_space:  global
        .offset:         0
        .size:           8
        .value_kind:     global_buffer
      - .actual_access:  read_only
        .address_space:  global
        .offset:         8
        .size:           8
        .value_kind:     global_buffer
      - .actual_access:  read_only
        .address_space:  global
        .offset:         16
        .size:           8
        .value_kind:     global_buffer
      - .offset:         24
        .size:           4
        .value_kind:     by_value
      - .offset:         28
        .size:           4
        .value_kind:     by_value
      - .actual_access:  read_only
        .address_space:  global
        .offset:         32
        .size:           8
        .value_kind:     global_buffer
      - .actual_access:  read_only
        .address_space:  global
        .offset:         40
        .size:           8
        .value_kind:     global_buffer
      - .actual_access:  read_only
        .address_space:  global
        .offset:         48
        .size:           8
        .value_kind:     global_buffer
      - .offset:         56
        .size:           4
        .value_kind:     by_value
      - .actual_access:  read_only
        .address_space:  global
        .offset:         64
        .size:           8
        .value_kind:     global_buffer
      - .offset:         72
        .size:           4
        .value_kind:     by_value
      - .offset:         76
        .size:           4
        .value_kind:     by_value
      - .offset:         80
        .size:           4
        .value_kind:     by_value
      - .actual_access:  write_only
        .address_space:  global
        .offset:         88
        .size:           8
        .value_kind:     global_buffer
      - .actual_access:  write_only
        .address_space:  global
        .offset:         96
        .size:           8
        .value_kind:     global_buffer
      - .actual_access:  write_only
        .address_space:  global
        .offset:         104
        .size:           8
        .value_kind:     global_buffer
      - .actual_access:  read_only
        .address_space:  global
        .offset:         112
        .size:           8
        .value_kind:     global_buffer
      - .offset:         120
        .size:           4
        .value_kind:     by_value
      - .address_space:  global
        .offset:         128
        .size:           8
        .value_kind:     global_buffer
      - .address_space:  global
        .offset:         136
        .size:           8
        .value_kind:     global_buffer
      - .offset:         144
        .size:           4
        .value_kind:     hidden_block_count_x
      - .offset:         148
        .size:           4
        .value_kind:     hidden_block_count_y
      - .offset:         152
        .size:           4
        .value_kind:     hidden_block_count_z
      - .offset:         156
        .size:           2
        .value_kind:     hidden_group_size_x
      - .offset:         158
        .size:           2
        .value_kind:     hidden_group_size_y
      - .offset:         160
        .size:           2
        .value_kind:     hidden_group_size_z
      - .offset:         162
        .size:           2
        .value_kind:     hidden_remainder_x
      - .offset:         164
        .size:           2
        .value_kind:     hidden_remainder_y
      - .offset:         166
        .size:           2
        .value_kind:     hidden_remainder_z
      - .offset:         184
        .size:           8
        .value_kind:     hidden_global_offset_x
      - .offset:         192
        .size:           8
        .value_kind:     hidden_global_offset_y
      - .offset:         200
        .size:           8
        .value_kind:     hidden_global_offset_z
      - .offset:         208
        .size:           2
        .value_kind:     hidden_grid_dims
    .group_segment_fixed_size: 17472
    .kernarg_segment_align: 8
    .kernarg_segment_size: 400
    .language:       OpenCL C
    .language_version:
      - 2
      - 0
    .max_flat_workgroup_size: 256
    .name:           _Z39paged_attention_ll4mi_QKV_mfma16_kernelIDF16_hLN4vllm18Fp8KVCacheDataTypeE1EhLi32ELi64ELi256ELb1ELi11EL8MFMAType1EEvPKT_PKT0_S8_ifPKiSA_SA_iPKfiiiPfSD_PS3_PT2_iSC_SC_
    .private_segment_fixed_size: 0
    .sgpr_count:     39
    .sgpr_spill_count: 0
    .symbol:         _Z39paged_attention_ll4mi_QKV_mfma16_kernelIDF16_hLN4vllm18Fp8KVCacheDataTypeE1EhLi32ELi64ELi256ELb1ELi11EL8MFMAType1EEvPKT_PKT0_S8_ifPKiSA_SA_iPKfiiiPfSD_PS3_PT2_iSC_SC_.kd
    .uniform_work_group_size: 1
    .uses_dynamic_stack: false
    .vgpr_count:     146
    .vgpr_spill_count: 0
    .wavefront_size: 32
    .workgroup_processor_mode: 1
  - .args:
      - .actual_access:  read_only
        .address_space:  global
        .offset:         0
        .size:           8
        .value_kind:     global_buffer
      - .actual_access:  read_only
        .address_space:  global
        .offset:         8
        .size:           8
        .value_kind:     global_buffer
      - .actual_access:  read_only
        .address_space:  global
        .offset:         16
        .size:           8
        .value_kind:     global_buffer
      - .offset:         24
        .size:           4
        .value_kind:     by_value
      - .offset:         28
        .size:           4
        .value_kind:     by_value
      - .actual_access:  read_only
        .address_space:  global
        .offset:         32
        .size:           8
        .value_kind:     global_buffer
      - .actual_access:  read_only
        .address_space:  global
        .offset:         40
        .size:           8
        .value_kind:     global_buffer
      - .actual_access:  read_only
        .address_space:  global
        .offset:         48
        .size:           8
        .value_kind:     global_buffer
      - .offset:         56
        .size:           4
        .value_kind:     by_value
      - .actual_access:  read_only
        .address_space:  global
        .offset:         64
        .size:           8
        .value_kind:     global_buffer
      - .offset:         72
        .size:           4
        .value_kind:     by_value
      - .offset:         76
        .size:           4
        .value_kind:     by_value
      - .offset:         80
        .size:           4
        .value_kind:     by_value
      - .actual_access:  write_only
        .address_space:  global
        .offset:         88
        .size:           8
        .value_kind:     global_buffer
      - .actual_access:  write_only
        .address_space:  global
        .offset:         96
        .size:           8
        .value_kind:     global_buffer
      - .actual_access:  write_only
        .address_space:  global
        .offset:         104
        .size:           8
        .value_kind:     global_buffer
      - .actual_access:  read_only
        .address_space:  global
        .offset:         112
        .size:           8
        .value_kind:     global_buffer
      - .offset:         120
        .size:           4
        .value_kind:     by_value
      - .address_space:  global
        .offset:         128
        .size:           8
        .value_kind:     global_buffer
      - .address_space:  global
        .offset:         136
        .size:           8
        .value_kind:     global_buffer
      - .offset:         144
        .size:           4
        .value_kind:     hidden_block_count_x
      - .offset:         148
        .size:           4
        .value_kind:     hidden_block_count_y
      - .offset:         152
        .size:           4
        .value_kind:     hidden_block_count_z
      - .offset:         156
        .size:           2
        .value_kind:     hidden_group_size_x
      - .offset:         158
        .size:           2
        .value_kind:     hidden_group_size_y
      - .offset:         160
        .size:           2
        .value_kind:     hidden_group_size_z
      - .offset:         162
        .size:           2
        .value_kind:     hidden_remainder_x
      - .offset:         164
        .size:           2
        .value_kind:     hidden_remainder_y
      - .offset:         166
        .size:           2
        .value_kind:     hidden_remainder_z
      - .offset:         184
        .size:           8
        .value_kind:     hidden_global_offset_x
      - .offset:         192
        .size:           8
        .value_kind:     hidden_global_offset_y
      - .offset:         200
        .size:           8
        .value_kind:     hidden_global_offset_z
      - .offset:         208
        .size:           2
        .value_kind:     hidden_grid_dims
    .group_segment_fixed_size: 17472
    .kernarg_segment_align: 8
    .kernarg_segment_size: 400
    .language:       OpenCL C
    .language_version:
      - 2
      - 0
    .max_flat_workgroup_size: 256
    .name:           _Z39paged_attention_ll4mi_QKV_mfma16_kernelIDF16_hLN4vllm18Fp8KVCacheDataTypeE1EhLi32ELi64ELi256ELb1ELi12EL8MFMAType1EEvPKT_PKT0_S8_ifPKiSA_SA_iPKfiiiPfSD_PS3_PT2_iSC_SC_
    .private_segment_fixed_size: 0
    .sgpr_count:     40
    .sgpr_spill_count: 0
    .symbol:         _Z39paged_attention_ll4mi_QKV_mfma16_kernelIDF16_hLN4vllm18Fp8KVCacheDataTypeE1EhLi32ELi64ELi256ELb1ELi12EL8MFMAType1EEvPKT_PKT0_S8_ifPKiSA_SA_iPKfiiiPfSD_PS3_PT2_iSC_SC_.kd
    .uniform_work_group_size: 1
    .uses_dynamic_stack: false
    .vgpr_count:     146
    .vgpr_spill_count: 0
    .wavefront_size: 32
    .workgroup_processor_mode: 1
  - .args:
      - .actual_access:  read_only
        .address_space:  global
        .offset:         0
        .size:           8
        .value_kind:     global_buffer
      - .actual_access:  read_only
        .address_space:  global
        .offset:         8
        .size:           8
        .value_kind:     global_buffer
      - .actual_access:  read_only
        .address_space:  global
        .offset:         16
        .size:           8
        .value_kind:     global_buffer
      - .offset:         24
        .size:           4
        .value_kind:     by_value
      - .offset:         28
        .size:           4
        .value_kind:     by_value
      - .actual_access:  read_only
        .address_space:  global
        .offset:         32
        .size:           8
        .value_kind:     global_buffer
      - .actual_access:  read_only
        .address_space:  global
        .offset:         40
        .size:           8
        .value_kind:     global_buffer
      - .actual_access:  read_only
        .address_space:  global
        .offset:         48
        .size:           8
        .value_kind:     global_buffer
      - .offset:         56
        .size:           4
        .value_kind:     by_value
      - .actual_access:  read_only
        .address_space:  global
        .offset:         64
        .size:           8
        .value_kind:     global_buffer
      - .offset:         72
        .size:           4
        .value_kind:     by_value
      - .offset:         76
        .size:           4
        .value_kind:     by_value
      - .offset:         80
        .size:           4
        .value_kind:     by_value
      - .actual_access:  write_only
        .address_space:  global
        .offset:         88
        .size:           8
        .value_kind:     global_buffer
      - .actual_access:  write_only
        .address_space:  global
        .offset:         96
        .size:           8
        .value_kind:     global_buffer
      - .actual_access:  write_only
        .address_space:  global
        .offset:         104
        .size:           8
        .value_kind:     global_buffer
      - .actual_access:  read_only
        .address_space:  global
        .offset:         112
        .size:           8
        .value_kind:     global_buffer
      - .offset:         120
        .size:           4
        .value_kind:     by_value
      - .address_space:  global
        .offset:         128
        .size:           8
        .value_kind:     global_buffer
      - .address_space:  global
        .offset:         136
        .size:           8
        .value_kind:     global_buffer
      - .offset:         144
        .size:           4
        .value_kind:     hidden_block_count_x
      - .offset:         148
        .size:           4
        .value_kind:     hidden_block_count_y
      - .offset:         152
        .size:           4
        .value_kind:     hidden_block_count_z
      - .offset:         156
        .size:           2
        .value_kind:     hidden_group_size_x
      - .offset:         158
        .size:           2
        .value_kind:     hidden_group_size_y
      - .offset:         160
        .size:           2
        .value_kind:     hidden_group_size_z
      - .offset:         162
        .size:           2
        .value_kind:     hidden_remainder_x
      - .offset:         164
        .size:           2
        .value_kind:     hidden_remainder_y
      - .offset:         166
        .size:           2
        .value_kind:     hidden_remainder_z
      - .offset:         184
        .size:           8
        .value_kind:     hidden_global_offset_x
      - .offset:         192
        .size:           8
        .value_kind:     hidden_global_offset_y
      - .offset:         200
        .size:           8
        .value_kind:     hidden_global_offset_z
      - .offset:         208
        .size:           2
        .value_kind:     hidden_grid_dims
    .group_segment_fixed_size: 17472
    .kernarg_segment_align: 8
    .kernarg_segment_size: 400
    .language:       OpenCL C
    .language_version:
      - 2
      - 0
    .max_flat_workgroup_size: 256
    .name:           _Z39paged_attention_ll4mi_QKV_mfma16_kernelIDF16_hLN4vllm18Fp8KVCacheDataTypeE1EhLi32ELi64ELi256ELb1ELi13EL8MFMAType1EEvPKT_PKT0_S8_ifPKiSA_SA_iPKfiiiPfSD_PS3_PT2_iSC_SC_
    .private_segment_fixed_size: 0
    .sgpr_count:     39
    .sgpr_spill_count: 0
    .symbol:         _Z39paged_attention_ll4mi_QKV_mfma16_kernelIDF16_hLN4vllm18Fp8KVCacheDataTypeE1EhLi32ELi64ELi256ELb1ELi13EL8MFMAType1EEvPKT_PKT0_S8_ifPKiSA_SA_iPKfiiiPfSD_PS3_PT2_iSC_SC_.kd
    .uniform_work_group_size: 1
    .uses_dynamic_stack: false
    .vgpr_count:     146
    .vgpr_spill_count: 0
    .wavefront_size: 32
    .workgroup_processor_mode: 1
  - .args:
      - .actual_access:  read_only
        .address_space:  global
        .offset:         0
        .size:           8
        .value_kind:     global_buffer
      - .actual_access:  read_only
        .address_space:  global
        .offset:         8
        .size:           8
        .value_kind:     global_buffer
      - .actual_access:  read_only
        .address_space:  global
        .offset:         16
        .size:           8
        .value_kind:     global_buffer
      - .offset:         24
        .size:           4
        .value_kind:     by_value
      - .offset:         28
        .size:           4
        .value_kind:     by_value
      - .actual_access:  read_only
        .address_space:  global
        .offset:         32
        .size:           8
        .value_kind:     global_buffer
      - .actual_access:  read_only
        .address_space:  global
        .offset:         40
        .size:           8
        .value_kind:     global_buffer
      - .actual_access:  read_only
        .address_space:  global
        .offset:         48
        .size:           8
        .value_kind:     global_buffer
      - .offset:         56
        .size:           4
        .value_kind:     by_value
      - .actual_access:  read_only
        .address_space:  global
        .offset:         64
        .size:           8
        .value_kind:     global_buffer
      - .offset:         72
        .size:           4
        .value_kind:     by_value
      - .offset:         76
        .size:           4
        .value_kind:     by_value
      - .offset:         80
        .size:           4
        .value_kind:     by_value
      - .actual_access:  write_only
        .address_space:  global
        .offset:         88
        .size:           8
        .value_kind:     global_buffer
      - .actual_access:  write_only
        .address_space:  global
        .offset:         96
        .size:           8
        .value_kind:     global_buffer
      - .actual_access:  write_only
        .address_space:  global
        .offset:         104
        .size:           8
        .value_kind:     global_buffer
      - .actual_access:  read_only
        .address_space:  global
        .offset:         112
        .size:           8
        .value_kind:     global_buffer
      - .offset:         120
        .size:           4
        .value_kind:     by_value
      - .address_space:  global
        .offset:         128
        .size:           8
        .value_kind:     global_buffer
      - .address_space:  global
        .offset:         136
        .size:           8
        .value_kind:     global_buffer
      - .offset:         144
        .size:           4
        .value_kind:     hidden_block_count_x
      - .offset:         148
        .size:           4
        .value_kind:     hidden_block_count_y
      - .offset:         152
        .size:           4
        .value_kind:     hidden_block_count_z
      - .offset:         156
        .size:           2
        .value_kind:     hidden_group_size_x
      - .offset:         158
        .size:           2
        .value_kind:     hidden_group_size_y
      - .offset:         160
        .size:           2
        .value_kind:     hidden_group_size_z
      - .offset:         162
        .size:           2
        .value_kind:     hidden_remainder_x
      - .offset:         164
        .size:           2
        .value_kind:     hidden_remainder_y
      - .offset:         166
        .size:           2
        .value_kind:     hidden_remainder_z
      - .offset:         184
        .size:           8
        .value_kind:     hidden_global_offset_x
      - .offset:         192
        .size:           8
        .value_kind:     hidden_global_offset_y
      - .offset:         200
        .size:           8
        .value_kind:     hidden_global_offset_z
      - .offset:         208
        .size:           2
        .value_kind:     hidden_grid_dims
    .group_segment_fixed_size: 17472
    .kernarg_segment_align: 8
    .kernarg_segment_size: 400
    .language:       OpenCL C
    .language_version:
      - 2
      - 0
    .max_flat_workgroup_size: 256
    .name:           _Z39paged_attention_ll4mi_QKV_mfma16_kernelIDF16_hLN4vllm18Fp8KVCacheDataTypeE1EhLi32ELi64ELi256ELb1ELi14EL8MFMAType1EEvPKT_PKT0_S8_ifPKiSA_SA_iPKfiiiPfSD_PS3_PT2_iSC_SC_
    .private_segment_fixed_size: 0
    .sgpr_count:     40
    .sgpr_spill_count: 0
    .symbol:         _Z39paged_attention_ll4mi_QKV_mfma16_kernelIDF16_hLN4vllm18Fp8KVCacheDataTypeE1EhLi32ELi64ELi256ELb1ELi14EL8MFMAType1EEvPKT_PKT0_S8_ifPKiSA_SA_iPKfiiiPfSD_PS3_PT2_iSC_SC_.kd
    .uniform_work_group_size: 1
    .uses_dynamic_stack: false
    .vgpr_count:     146
    .vgpr_spill_count: 0
    .wavefront_size: 32
    .workgroup_processor_mode: 1
  - .args:
      - .actual_access:  read_only
        .address_space:  global
        .offset:         0
        .size:           8
        .value_kind:     global_buffer
      - .actual_access:  read_only
        .address_space:  global
        .offset:         8
        .size:           8
        .value_kind:     global_buffer
      - .actual_access:  read_only
        .address_space:  global
        .offset:         16
        .size:           8
        .value_kind:     global_buffer
      - .offset:         24
        .size:           4
        .value_kind:     by_value
      - .offset:         28
        .size:           4
        .value_kind:     by_value
      - .actual_access:  read_only
        .address_space:  global
        .offset:         32
        .size:           8
        .value_kind:     global_buffer
      - .actual_access:  read_only
        .address_space:  global
        .offset:         40
        .size:           8
        .value_kind:     global_buffer
      - .actual_access:  read_only
        .address_space:  global
        .offset:         48
        .size:           8
        .value_kind:     global_buffer
      - .offset:         56
        .size:           4
        .value_kind:     by_value
      - .actual_access:  read_only
        .address_space:  global
        .offset:         64
        .size:           8
        .value_kind:     global_buffer
      - .offset:         72
        .size:           4
        .value_kind:     by_value
      - .offset:         76
        .size:           4
        .value_kind:     by_value
      - .offset:         80
        .size:           4
        .value_kind:     by_value
      - .actual_access:  write_only
        .address_space:  global
        .offset:         88
        .size:           8
        .value_kind:     global_buffer
      - .actual_access:  write_only
        .address_space:  global
        .offset:         96
        .size:           8
        .value_kind:     global_buffer
      - .actual_access:  write_only
        .address_space:  global
        .offset:         104
        .size:           8
        .value_kind:     global_buffer
      - .actual_access:  read_only
        .address_space:  global
        .offset:         112
        .size:           8
        .value_kind:     global_buffer
      - .offset:         120
        .size:           4
        .value_kind:     by_value
      - .address_space:  global
        .offset:         128
        .size:           8
        .value_kind:     global_buffer
      - .address_space:  global
        .offset:         136
        .size:           8
        .value_kind:     global_buffer
      - .offset:         144
        .size:           4
        .value_kind:     hidden_block_count_x
      - .offset:         148
        .size:           4
        .value_kind:     hidden_block_count_y
      - .offset:         152
        .size:           4
        .value_kind:     hidden_block_count_z
      - .offset:         156
        .size:           2
        .value_kind:     hidden_group_size_x
      - .offset:         158
        .size:           2
        .value_kind:     hidden_group_size_y
      - .offset:         160
        .size:           2
        .value_kind:     hidden_group_size_z
      - .offset:         162
        .size:           2
        .value_kind:     hidden_remainder_x
      - .offset:         164
        .size:           2
        .value_kind:     hidden_remainder_y
      - .offset:         166
        .size:           2
        .value_kind:     hidden_remainder_z
      - .offset:         184
        .size:           8
        .value_kind:     hidden_global_offset_x
      - .offset:         192
        .size:           8
        .value_kind:     hidden_global_offset_y
      - .offset:         200
        .size:           8
        .value_kind:     hidden_global_offset_z
      - .offset:         208
        .size:           2
        .value_kind:     hidden_grid_dims
    .group_segment_fixed_size: 17472
    .kernarg_segment_align: 8
    .kernarg_segment_size: 400
    .language:       OpenCL C
    .language_version:
      - 2
      - 0
    .max_flat_workgroup_size: 256
    .name:           _Z39paged_attention_ll4mi_QKV_mfma16_kernelIDF16_hLN4vllm18Fp8KVCacheDataTypeE1EhLi32ELi64ELi256ELb1ELi15EL8MFMAType1EEvPKT_PKT0_S8_ifPKiSA_SA_iPKfiiiPfSD_PS3_PT2_iSC_SC_
    .private_segment_fixed_size: 0
    .sgpr_count:     39
    .sgpr_spill_count: 0
    .symbol:         _Z39paged_attention_ll4mi_QKV_mfma16_kernelIDF16_hLN4vllm18Fp8KVCacheDataTypeE1EhLi32ELi64ELi256ELb1ELi15EL8MFMAType1EEvPKT_PKT0_S8_ifPKiSA_SA_iPKfiiiPfSD_PS3_PT2_iSC_SC_.kd
    .uniform_work_group_size: 1
    .uses_dynamic_stack: false
    .vgpr_count:     146
    .vgpr_spill_count: 0
    .wavefront_size: 32
    .workgroup_processor_mode: 1
  - .args:
      - .actual_access:  read_only
        .address_space:  global
        .offset:         0
        .size:           8
        .value_kind:     global_buffer
      - .actual_access:  read_only
        .address_space:  global
        .offset:         8
        .size:           8
        .value_kind:     global_buffer
      - .actual_access:  read_only
        .address_space:  global
        .offset:         16
        .size:           8
        .value_kind:     global_buffer
      - .offset:         24
        .size:           4
        .value_kind:     by_value
      - .offset:         28
        .size:           4
        .value_kind:     by_value
      - .actual_access:  read_only
        .address_space:  global
        .offset:         32
        .size:           8
        .value_kind:     global_buffer
      - .actual_access:  read_only
        .address_space:  global
        .offset:         40
        .size:           8
        .value_kind:     global_buffer
      - .actual_access:  read_only
        .address_space:  global
        .offset:         48
        .size:           8
        .value_kind:     global_buffer
      - .offset:         56
        .size:           4
        .value_kind:     by_value
      - .actual_access:  read_only
        .address_space:  global
        .offset:         64
        .size:           8
        .value_kind:     global_buffer
      - .offset:         72
        .size:           4
        .value_kind:     by_value
      - .offset:         76
        .size:           4
        .value_kind:     by_value
      - .offset:         80
        .size:           4
        .value_kind:     by_value
      - .actual_access:  write_only
        .address_space:  global
        .offset:         88
        .size:           8
        .value_kind:     global_buffer
      - .actual_access:  write_only
        .address_space:  global
        .offset:         96
        .size:           8
        .value_kind:     global_buffer
      - .actual_access:  write_only
        .address_space:  global
        .offset:         104
        .size:           8
        .value_kind:     global_buffer
      - .actual_access:  read_only
        .address_space:  global
        .offset:         112
        .size:           8
        .value_kind:     global_buffer
      - .offset:         120
        .size:           4
        .value_kind:     by_value
      - .address_space:  global
        .offset:         128
        .size:           8
        .value_kind:     global_buffer
      - .address_space:  global
        .offset:         136
        .size:           8
        .value_kind:     global_buffer
      - .offset:         144
        .size:           4
        .value_kind:     hidden_block_count_x
      - .offset:         148
        .size:           4
        .value_kind:     hidden_block_count_y
      - .offset:         152
        .size:           4
        .value_kind:     hidden_block_count_z
      - .offset:         156
        .size:           2
        .value_kind:     hidden_group_size_x
      - .offset:         158
        .size:           2
        .value_kind:     hidden_group_size_y
      - .offset:         160
        .size:           2
        .value_kind:     hidden_group_size_z
      - .offset:         162
        .size:           2
        .value_kind:     hidden_remainder_x
      - .offset:         164
        .size:           2
        .value_kind:     hidden_remainder_y
      - .offset:         166
        .size:           2
        .value_kind:     hidden_remainder_z
      - .offset:         184
        .size:           8
        .value_kind:     hidden_global_offset_x
      - .offset:         192
        .size:           8
        .value_kind:     hidden_global_offset_y
      - .offset:         200
        .size:           8
        .value_kind:     hidden_global_offset_z
      - .offset:         208
        .size:           2
        .value_kind:     hidden_grid_dims
    .group_segment_fixed_size: 17472
    .kernarg_segment_align: 8
    .kernarg_segment_size: 400
    .language:       OpenCL C
    .language_version:
      - 2
      - 0
    .max_flat_workgroup_size: 256
    .name:           _Z39paged_attention_ll4mi_QKV_mfma16_kernelIDF16_hLN4vllm18Fp8KVCacheDataTypeE1EhLi32ELi64ELi256ELb1ELi16EL8MFMAType1EEvPKT_PKT0_S8_ifPKiSA_SA_iPKfiiiPfSD_PS3_PT2_iSC_SC_
    .private_segment_fixed_size: 0
    .sgpr_count:     44
    .sgpr_spill_count: 0
    .symbol:         _Z39paged_attention_ll4mi_QKV_mfma16_kernelIDF16_hLN4vllm18Fp8KVCacheDataTypeE1EhLi32ELi64ELi256ELb1ELi16EL8MFMAType1EEvPKT_PKT0_S8_ifPKiSA_SA_iPKfiiiPfSD_PS3_PT2_iSC_SC_.kd
    .uniform_work_group_size: 1
    .uses_dynamic_stack: false
    .vgpr_count:     123
    .vgpr_spill_count: 0
    .wavefront_size: 32
    .workgroup_processor_mode: 1
  - .args:
      - .actual_access:  read_only
        .address_space:  global
        .offset:         0
        .size:           8
        .value_kind:     global_buffer
      - .actual_access:  read_only
        .address_space:  global
        .offset:         8
        .size:           8
        .value_kind:     global_buffer
      - .actual_access:  read_only
        .address_space:  global
        .offset:         16
        .size:           8
        .value_kind:     global_buffer
      - .offset:         24
        .size:           4
        .value_kind:     by_value
      - .offset:         28
        .size:           4
        .value_kind:     by_value
      - .actual_access:  read_only
        .address_space:  global
        .offset:         32
        .size:           8
        .value_kind:     global_buffer
      - .actual_access:  read_only
        .address_space:  global
        .offset:         40
        .size:           8
        .value_kind:     global_buffer
      - .actual_access:  read_only
        .address_space:  global
        .offset:         48
        .size:           8
        .value_kind:     global_buffer
      - .offset:         56
        .size:           4
        .value_kind:     by_value
      - .actual_access:  read_only
        .address_space:  global
        .offset:         64
        .size:           8
        .value_kind:     global_buffer
      - .offset:         72
        .size:           4
        .value_kind:     by_value
      - .offset:         76
        .size:           4
        .value_kind:     by_value
      - .offset:         80
        .size:           4
        .value_kind:     by_value
      - .actual_access:  write_only
        .address_space:  global
        .offset:         88
        .size:           8
        .value_kind:     global_buffer
      - .actual_access:  write_only
        .address_space:  global
        .offset:         96
        .size:           8
        .value_kind:     global_buffer
      - .actual_access:  write_only
        .address_space:  global
        .offset:         104
        .size:           8
        .value_kind:     global_buffer
      - .actual_access:  read_only
        .address_space:  global
        .offset:         112
        .size:           8
        .value_kind:     global_buffer
      - .offset:         120
        .size:           4
        .value_kind:     by_value
      - .address_space:  global
        .offset:         128
        .size:           8
        .value_kind:     global_buffer
      - .address_space:  global
        .offset:         136
        .size:           8
        .value_kind:     global_buffer
      - .offset:         144
        .size:           4
        .value_kind:     hidden_block_count_x
      - .offset:         148
        .size:           4
        .value_kind:     hidden_block_count_y
      - .offset:         152
        .size:           4
        .value_kind:     hidden_block_count_z
      - .offset:         156
        .size:           2
        .value_kind:     hidden_group_size_x
      - .offset:         158
        .size:           2
        .value_kind:     hidden_group_size_y
      - .offset:         160
        .size:           2
        .value_kind:     hidden_group_size_z
      - .offset:         162
        .size:           2
        .value_kind:     hidden_remainder_x
      - .offset:         164
        .size:           2
        .value_kind:     hidden_remainder_y
      - .offset:         166
        .size:           2
        .value_kind:     hidden_remainder_z
      - .offset:         184
        .size:           8
        .value_kind:     hidden_global_offset_x
      - .offset:         192
        .size:           8
        .value_kind:     hidden_global_offset_y
      - .offset:         200
        .size:           8
        .value_kind:     hidden_global_offset_z
      - .offset:         208
        .size:           2
        .value_kind:     hidden_grid_dims
    .group_segment_fixed_size: 17472
    .kernarg_segment_align: 8
    .kernarg_segment_size: 400
    .language:       OpenCL C
    .language_version:
      - 2
      - 0
    .max_flat_workgroup_size: 256
    .name:           _Z39paged_attention_ll4mi_QKV_mfma16_kernelIDF16_hLN4vllm18Fp8KVCacheDataTypeE1EhLi32ELi64ELi256ELb1ELi1EL8MFMAType1EEvPKT_PKT0_S8_ifPKiSA_SA_iPKfiiiPfSD_PS3_PT2_iSC_SC_
    .private_segment_fixed_size: 0
    .sgpr_count:     52
    .sgpr_spill_count: 0
    .symbol:         _Z39paged_attention_ll4mi_QKV_mfma16_kernelIDF16_hLN4vllm18Fp8KVCacheDataTypeE1EhLi32ELi64ELi256ELb1ELi1EL8MFMAType1EEvPKT_PKT0_S8_ifPKiSA_SA_iPKfiiiPfSD_PS3_PT2_iSC_SC_.kd
    .uniform_work_group_size: 1
    .uses_dynamic_stack: false
    .vgpr_count:     144
    .vgpr_spill_count: 0
    .wavefront_size: 32
    .workgroup_processor_mode: 1
  - .args:
      - .actual_access:  read_only
        .address_space:  global
        .offset:         0
        .size:           8
        .value_kind:     global_buffer
      - .actual_access:  read_only
        .address_space:  global
        .offset:         8
        .size:           8
        .value_kind:     global_buffer
      - .actual_access:  read_only
        .address_space:  global
        .offset:         16
        .size:           8
        .value_kind:     global_buffer
      - .offset:         24
        .size:           4
        .value_kind:     by_value
      - .offset:         28
        .size:           4
        .value_kind:     by_value
      - .actual_access:  read_only
        .address_space:  global
        .offset:         32
        .size:           8
        .value_kind:     global_buffer
      - .actual_access:  read_only
        .address_space:  global
        .offset:         40
        .size:           8
        .value_kind:     global_buffer
      - .actual_access:  read_only
        .address_space:  global
        .offset:         48
        .size:           8
        .value_kind:     global_buffer
      - .offset:         56
        .size:           4
        .value_kind:     by_value
      - .actual_access:  read_only
        .address_space:  global
        .offset:         64
        .size:           8
        .value_kind:     global_buffer
      - .offset:         72
        .size:           4
        .value_kind:     by_value
      - .offset:         76
        .size:           4
        .value_kind:     by_value
      - .offset:         80
        .size:           4
        .value_kind:     by_value
      - .actual_access:  write_only
        .address_space:  global
        .offset:         88
        .size:           8
        .value_kind:     global_buffer
      - .actual_access:  write_only
        .address_space:  global
        .offset:         96
        .size:           8
        .value_kind:     global_buffer
      - .actual_access:  write_only
        .address_space:  global
        .offset:         104
        .size:           8
        .value_kind:     global_buffer
      - .actual_access:  read_only
        .address_space:  global
        .offset:         112
        .size:           8
        .value_kind:     global_buffer
      - .offset:         120
        .size:           4
        .value_kind:     by_value
      - .address_space:  global
        .offset:         128
        .size:           8
        .value_kind:     global_buffer
      - .address_space:  global
        .offset:         136
        .size:           8
        .value_kind:     global_buffer
      - .offset:         144
        .size:           4
        .value_kind:     hidden_block_count_x
      - .offset:         148
        .size:           4
        .value_kind:     hidden_block_count_y
      - .offset:         152
        .size:           4
        .value_kind:     hidden_block_count_z
      - .offset:         156
        .size:           2
        .value_kind:     hidden_group_size_x
      - .offset:         158
        .size:           2
        .value_kind:     hidden_group_size_y
      - .offset:         160
        .size:           2
        .value_kind:     hidden_group_size_z
      - .offset:         162
        .size:           2
        .value_kind:     hidden_remainder_x
      - .offset:         164
        .size:           2
        .value_kind:     hidden_remainder_y
      - .offset:         166
        .size:           2
        .value_kind:     hidden_remainder_z
      - .offset:         184
        .size:           8
        .value_kind:     hidden_global_offset_x
      - .offset:         192
        .size:           8
        .value_kind:     hidden_global_offset_y
      - .offset:         200
        .size:           8
        .value_kind:     hidden_global_offset_z
      - .offset:         208
        .size:           2
        .value_kind:     hidden_grid_dims
    .group_segment_fixed_size: 17472
    .kernarg_segment_align: 8
    .kernarg_segment_size: 400
    .language:       OpenCL C
    .language_version:
      - 2
      - 0
    .max_flat_workgroup_size: 256
    .name:           _Z39paged_attention_ll4mi_QKV_mfma16_kernelIDF16_hLN4vllm18Fp8KVCacheDataTypeE1EhLi32ELi64ELi256ELb1ELi2EL8MFMAType1EEvPKT_PKT0_S8_ifPKiSA_SA_iPKfiiiPfSD_PS3_PT2_iSC_SC_
    .private_segment_fixed_size: 0
    .sgpr_count:     40
    .sgpr_spill_count: 0
    .symbol:         _Z39paged_attention_ll4mi_QKV_mfma16_kernelIDF16_hLN4vllm18Fp8KVCacheDataTypeE1EhLi32ELi64ELi256ELb1ELi2EL8MFMAType1EEvPKT_PKT0_S8_ifPKiSA_SA_iPKfiiiPfSD_PS3_PT2_iSC_SC_.kd
    .uniform_work_group_size: 1
    .uses_dynamic_stack: false
    .vgpr_count:     148
    .vgpr_spill_count: 0
    .wavefront_size: 32
    .workgroup_processor_mode: 1
  - .args:
      - .actual_access:  read_only
        .address_space:  global
        .offset:         0
        .size:           8
        .value_kind:     global_buffer
      - .actual_access:  read_only
        .address_space:  global
        .offset:         8
        .size:           8
        .value_kind:     global_buffer
      - .actual_access:  read_only
        .address_space:  global
        .offset:         16
        .size:           8
        .value_kind:     global_buffer
      - .offset:         24
        .size:           4
        .value_kind:     by_value
      - .offset:         28
        .size:           4
        .value_kind:     by_value
      - .actual_access:  read_only
        .address_space:  global
        .offset:         32
        .size:           8
        .value_kind:     global_buffer
      - .actual_access:  read_only
        .address_space:  global
        .offset:         40
        .size:           8
        .value_kind:     global_buffer
      - .actual_access:  read_only
        .address_space:  global
        .offset:         48
        .size:           8
        .value_kind:     global_buffer
      - .offset:         56
        .size:           4
        .value_kind:     by_value
      - .actual_access:  read_only
        .address_space:  global
        .offset:         64
        .size:           8
        .value_kind:     global_buffer
      - .offset:         72
        .size:           4
        .value_kind:     by_value
      - .offset:         76
        .size:           4
        .value_kind:     by_value
      - .offset:         80
        .size:           4
        .value_kind:     by_value
      - .actual_access:  write_only
        .address_space:  global
        .offset:         88
        .size:           8
        .value_kind:     global_buffer
      - .actual_access:  write_only
        .address_space:  global
        .offset:         96
        .size:           8
        .value_kind:     global_buffer
      - .actual_access:  write_only
        .address_space:  global
        .offset:         104
        .size:           8
        .value_kind:     global_buffer
      - .actual_access:  read_only
        .address_space:  global
        .offset:         112
        .size:           8
        .value_kind:     global_buffer
      - .offset:         120
        .size:           4
        .value_kind:     by_value
      - .address_space:  global
        .offset:         128
        .size:           8
        .value_kind:     global_buffer
      - .address_space:  global
        .offset:         136
        .size:           8
        .value_kind:     global_buffer
      - .offset:         144
        .size:           4
        .value_kind:     hidden_block_count_x
      - .offset:         148
        .size:           4
        .value_kind:     hidden_block_count_y
      - .offset:         152
        .size:           4
        .value_kind:     hidden_block_count_z
      - .offset:         156
        .size:           2
        .value_kind:     hidden_group_size_x
      - .offset:         158
        .size:           2
        .value_kind:     hidden_group_size_y
      - .offset:         160
        .size:           2
        .value_kind:     hidden_group_size_z
      - .offset:         162
        .size:           2
        .value_kind:     hidden_remainder_x
      - .offset:         164
        .size:           2
        .value_kind:     hidden_remainder_y
      - .offset:         166
        .size:           2
        .value_kind:     hidden_remainder_z
      - .offset:         184
        .size:           8
        .value_kind:     hidden_global_offset_x
      - .offset:         192
        .size:           8
        .value_kind:     hidden_global_offset_y
      - .offset:         200
        .size:           8
        .value_kind:     hidden_global_offset_z
      - .offset:         208
        .size:           2
        .value_kind:     hidden_grid_dims
    .group_segment_fixed_size: 17472
    .kernarg_segment_align: 8
    .kernarg_segment_size: 400
    .language:       OpenCL C
    .language_version:
      - 2
      - 0
    .max_flat_workgroup_size: 256
    .name:           _Z39paged_attention_ll4mi_QKV_mfma16_kernelIDF16_hLN4vllm18Fp8KVCacheDataTypeE1EhLi32ELi64ELi256ELb1ELi3EL8MFMAType1EEvPKT_PKT0_S8_ifPKiSA_SA_iPKfiiiPfSD_PS3_PT2_iSC_SC_
    .private_segment_fixed_size: 0
    .sgpr_count:     39
    .sgpr_spill_count: 0
    .symbol:         _Z39paged_attention_ll4mi_QKV_mfma16_kernelIDF16_hLN4vllm18Fp8KVCacheDataTypeE1EhLi32ELi64ELi256ELb1ELi3EL8MFMAType1EEvPKT_PKT0_S8_ifPKiSA_SA_iPKfiiiPfSD_PS3_PT2_iSC_SC_.kd
    .uniform_work_group_size: 1
    .uses_dynamic_stack: false
    .vgpr_count:     146
    .vgpr_spill_count: 0
    .wavefront_size: 32
    .workgroup_processor_mode: 1
  - .args:
      - .actual_access:  read_only
        .address_space:  global
        .offset:         0
        .size:           8
        .value_kind:     global_buffer
      - .actual_access:  read_only
        .address_space:  global
        .offset:         8
        .size:           8
        .value_kind:     global_buffer
      - .actual_access:  read_only
        .address_space:  global
        .offset:         16
        .size:           8
        .value_kind:     global_buffer
      - .offset:         24
        .size:           4
        .value_kind:     by_value
      - .offset:         28
        .size:           4
        .value_kind:     by_value
      - .actual_access:  read_only
        .address_space:  global
        .offset:         32
        .size:           8
        .value_kind:     global_buffer
      - .actual_access:  read_only
        .address_space:  global
        .offset:         40
        .size:           8
        .value_kind:     global_buffer
      - .actual_access:  read_only
        .address_space:  global
        .offset:         48
        .size:           8
        .value_kind:     global_buffer
      - .offset:         56
        .size:           4
        .value_kind:     by_value
      - .actual_access:  read_only
        .address_space:  global
        .offset:         64
        .size:           8
        .value_kind:     global_buffer
      - .offset:         72
        .size:           4
        .value_kind:     by_value
      - .offset:         76
        .size:           4
        .value_kind:     by_value
      - .offset:         80
        .size:           4
        .value_kind:     by_value
      - .actual_access:  write_only
        .address_space:  global
        .offset:         88
        .size:           8
        .value_kind:     global_buffer
      - .actual_access:  write_only
        .address_space:  global
        .offset:         96
        .size:           8
        .value_kind:     global_buffer
      - .actual_access:  write_only
        .address_space:  global
        .offset:         104
        .size:           8
        .value_kind:     global_buffer
      - .actual_access:  read_only
        .address_space:  global
        .offset:         112
        .size:           8
        .value_kind:     global_buffer
      - .offset:         120
        .size:           4
        .value_kind:     by_value
      - .address_space:  global
        .offset:         128
        .size:           8
        .value_kind:     global_buffer
      - .address_space:  global
        .offset:         136
        .size:           8
        .value_kind:     global_buffer
      - .offset:         144
        .size:           4
        .value_kind:     hidden_block_count_x
      - .offset:         148
        .size:           4
        .value_kind:     hidden_block_count_y
      - .offset:         152
        .size:           4
        .value_kind:     hidden_block_count_z
      - .offset:         156
        .size:           2
        .value_kind:     hidden_group_size_x
      - .offset:         158
        .size:           2
        .value_kind:     hidden_group_size_y
      - .offset:         160
        .size:           2
        .value_kind:     hidden_group_size_z
      - .offset:         162
        .size:           2
        .value_kind:     hidden_remainder_x
      - .offset:         164
        .size:           2
        .value_kind:     hidden_remainder_y
      - .offset:         166
        .size:           2
        .value_kind:     hidden_remainder_z
      - .offset:         184
        .size:           8
        .value_kind:     hidden_global_offset_x
      - .offset:         192
        .size:           8
        .value_kind:     hidden_global_offset_y
      - .offset:         200
        .size:           8
        .value_kind:     hidden_global_offset_z
      - .offset:         208
        .size:           2
        .value_kind:     hidden_grid_dims
    .group_segment_fixed_size: 17472
    .kernarg_segment_align: 8
    .kernarg_segment_size: 400
    .language:       OpenCL C
    .language_version:
      - 2
      - 0
    .max_flat_workgroup_size: 256
    .name:           _Z39paged_attention_ll4mi_QKV_mfma16_kernelIDF16_hLN4vllm18Fp8KVCacheDataTypeE1EhLi32ELi64ELi256ELb1ELi4EL8MFMAType1EEvPKT_PKT0_S8_ifPKiSA_SA_iPKfiiiPfSD_PS3_PT2_iSC_SC_
    .private_segment_fixed_size: 0
    .sgpr_count:     44
    .sgpr_spill_count: 0
    .symbol:         _Z39paged_attention_ll4mi_QKV_mfma16_kernelIDF16_hLN4vllm18Fp8KVCacheDataTypeE1EhLi32ELi64ELi256ELb1ELi4EL8MFMAType1EEvPKT_PKT0_S8_ifPKiSA_SA_iPKfiiiPfSD_PS3_PT2_iSC_SC_.kd
    .uniform_work_group_size: 1
    .uses_dynamic_stack: false
    .vgpr_count:     123
    .vgpr_spill_count: 0
    .wavefront_size: 32
    .workgroup_processor_mode: 1
  - .args:
      - .actual_access:  read_only
        .address_space:  global
        .offset:         0
        .size:           8
        .value_kind:     global_buffer
      - .actual_access:  read_only
        .address_space:  global
        .offset:         8
        .size:           8
        .value_kind:     global_buffer
      - .actual_access:  read_only
        .address_space:  global
        .offset:         16
        .size:           8
        .value_kind:     global_buffer
      - .offset:         24
        .size:           4
        .value_kind:     by_value
      - .offset:         28
        .size:           4
        .value_kind:     by_value
      - .actual_access:  read_only
        .address_space:  global
        .offset:         32
        .size:           8
        .value_kind:     global_buffer
      - .actual_access:  read_only
        .address_space:  global
        .offset:         40
        .size:           8
        .value_kind:     global_buffer
      - .actual_access:  read_only
        .address_space:  global
        .offset:         48
        .size:           8
        .value_kind:     global_buffer
      - .offset:         56
        .size:           4
        .value_kind:     by_value
      - .actual_access:  read_only
        .address_space:  global
        .offset:         64
        .size:           8
        .value_kind:     global_buffer
      - .offset:         72
        .size:           4
        .value_kind:     by_value
      - .offset:         76
        .size:           4
        .value_kind:     by_value
      - .offset:         80
        .size:           4
        .value_kind:     by_value
      - .actual_access:  read_only
        .address_space:  global
        .offset:         88
        .size:           8
        .value_kind:     global_buffer
      - .actual_access:  read_only
        .address_space:  global
        .offset:         96
        .size:           8
        .value_kind:     global_buffer
      - .actual_access:  read_only
        .address_space:  global
        .offset:         104
        .size:           8
        .value_kind:     global_buffer
      - .actual_access:  read_only
        .address_space:  global
        .offset:         112
        .size:           8
        .value_kind:     global_buffer
      - .offset:         120
        .size:           4
        .value_kind:     by_value
      - .address_space:  global
        .offset:         128
        .size:           8
        .value_kind:     global_buffer
      - .address_space:  global
        .offset:         136
        .size:           8
        .value_kind:     global_buffer
      - .offset:         144
        .size:           4
        .value_kind:     hidden_block_count_x
      - .offset:         148
        .size:           4
        .value_kind:     hidden_block_count_y
      - .offset:         152
        .size:           4
        .value_kind:     hidden_block_count_z
      - .offset:         156
        .size:           2
        .value_kind:     hidden_group_size_x
      - .offset:         158
        .size:           2
        .value_kind:     hidden_group_size_y
      - .offset:         160
        .size:           2
        .value_kind:     hidden_group_size_z
      - .offset:         162
        .size:           2
        .value_kind:     hidden_remainder_x
      - .offset:         164
        .size:           2
        .value_kind:     hidden_remainder_y
      - .offset:         166
        .size:           2
        .value_kind:     hidden_remainder_z
      - .offset:         184
        .size:           8
        .value_kind:     hidden_global_offset_x
      - .offset:         192
        .size:           8
        .value_kind:     hidden_global_offset_y
      - .offset:         200
        .size:           8
        .value_kind:     hidden_global_offset_z
      - .offset:         208
        .size:           2
        .value_kind:     hidden_grid_dims
      - .offset:         224
        .size:           8
        .value_kind:     hidden_hostcall_buffer
    .group_segment_fixed_size: 0
    .kernarg_segment_align: 8
    .kernarg_segment_size: 400
    .language:       OpenCL C
    .language_version:
      - 2
      - 0
    .max_flat_workgroup_size: 256
    .name:           _Z38paged_attention_ll4mi_QKV_mfma4_kernelIDF16_hLN4vllm18Fp8KVCacheDataTypeE1EhLi32ELi64ELi256ELb0ELi1EEvPKT_PKT0_S7_ifPKiS9_S9_iPKfiiiPfSC_PS2_PT2_iSB_SB_
    .private_segment_fixed_size: 64
    .sgpr_count:     36
    .sgpr_spill_count: 0
    .symbol:         _Z38paged_attention_ll4mi_QKV_mfma4_kernelIDF16_hLN4vllm18Fp8KVCacheDataTypeE1EhLi32ELi64ELi256ELb0ELi1EEvPKT_PKT0_S7_ifPKiS9_S9_iPKfiiiPfSC_PS2_PT2_iSB_SB_.kd
    .uniform_work_group_size: 1
    .uses_dynamic_stack: false
    .vgpr_count:     41
    .vgpr_spill_count: 0
    .wavefront_size: 32
    .workgroup_processor_mode: 1
  - .args:
      - .actual_access:  read_only
        .address_space:  global
        .offset:         0
        .size:           8
        .value_kind:     global_buffer
      - .actual_access:  read_only
        .address_space:  global
        .offset:         8
        .size:           8
        .value_kind:     global_buffer
      - .actual_access:  read_only
        .address_space:  global
        .offset:         16
        .size:           8
        .value_kind:     global_buffer
      - .offset:         24
        .size:           4
        .value_kind:     by_value
      - .offset:         28
        .size:           4
        .value_kind:     by_value
      - .actual_access:  read_only
        .address_space:  global
        .offset:         32
        .size:           8
        .value_kind:     global_buffer
      - .actual_access:  read_only
        .address_space:  global
        .offset:         40
        .size:           8
        .value_kind:     global_buffer
      - .actual_access:  read_only
        .address_space:  global
        .offset:         48
        .size:           8
        .value_kind:     global_buffer
      - .offset:         56
        .size:           4
        .value_kind:     by_value
      - .actual_access:  read_only
        .address_space:  global
        .offset:         64
        .size:           8
        .value_kind:     global_buffer
      - .offset:         72
        .size:           4
        .value_kind:     by_value
      - .offset:         76
        .size:           4
        .value_kind:     by_value
      - .offset:         80
        .size:           4
        .value_kind:     by_value
      - .actual_access:  read_only
        .address_space:  global
        .offset:         88
        .size:           8
        .value_kind:     global_buffer
      - .actual_access:  read_only
        .address_space:  global
        .offset:         96
        .size:           8
        .value_kind:     global_buffer
      - .actual_access:  read_only
        .address_space:  global
        .offset:         104
        .size:           8
        .value_kind:     global_buffer
      - .actual_access:  read_only
        .address_space:  global
        .offset:         112
        .size:           8
        .value_kind:     global_buffer
      - .offset:         120
        .size:           4
        .value_kind:     by_value
      - .address_space:  global
        .offset:         128
        .size:           8
        .value_kind:     global_buffer
      - .address_space:  global
        .offset:         136
        .size:           8
        .value_kind:     global_buffer
      - .offset:         144
        .size:           4
        .value_kind:     hidden_block_count_x
      - .offset:         148
        .size:           4
        .value_kind:     hidden_block_count_y
      - .offset:         152
        .size:           4
        .value_kind:     hidden_block_count_z
      - .offset:         156
        .size:           2
        .value_kind:     hidden_group_size_x
      - .offset:         158
        .size:           2
        .value_kind:     hidden_group_size_y
      - .offset:         160
        .size:           2
        .value_kind:     hidden_group_size_z
      - .offset:         162
        .size:           2
        .value_kind:     hidden_remainder_x
      - .offset:         164
        .size:           2
        .value_kind:     hidden_remainder_y
      - .offset:         166
        .size:           2
        .value_kind:     hidden_remainder_z
      - .offset:         184
        .size:           8
        .value_kind:     hidden_global_offset_x
      - .offset:         192
        .size:           8
        .value_kind:     hidden_global_offset_y
      - .offset:         200
        .size:           8
        .value_kind:     hidden_global_offset_z
      - .offset:         208
        .size:           2
        .value_kind:     hidden_grid_dims
      - .offset:         224
        .size:           8
        .value_kind:     hidden_hostcall_buffer
    .group_segment_fixed_size: 0
    .kernarg_segment_align: 8
    .kernarg_segment_size: 400
    .language:       OpenCL C
    .language_version:
      - 2
      - 0
    .max_flat_workgroup_size: 256
    .name:           _Z38paged_attention_ll4mi_QKV_mfma4_kernelIDF16_hLN4vllm18Fp8KVCacheDataTypeE1EhLi32ELi64ELi256ELb0ELi2EEvPKT_PKT0_S7_ifPKiS9_S9_iPKfiiiPfSC_PS2_PT2_iSB_SB_
    .private_segment_fixed_size: 64
    .sgpr_count:     36
    .sgpr_spill_count: 0
    .symbol:         _Z38paged_attention_ll4mi_QKV_mfma4_kernelIDF16_hLN4vllm18Fp8KVCacheDataTypeE1EhLi32ELi64ELi256ELb0ELi2EEvPKT_PKT0_S7_ifPKiS9_S9_iPKfiiiPfSC_PS2_PT2_iSB_SB_.kd
    .uniform_work_group_size: 1
    .uses_dynamic_stack: false
    .vgpr_count:     41
    .vgpr_spill_count: 0
    .wavefront_size: 32
    .workgroup_processor_mode: 1
  - .args:
      - .actual_access:  read_only
        .address_space:  global
        .offset:         0
        .size:           8
        .value_kind:     global_buffer
      - .actual_access:  read_only
        .address_space:  global
        .offset:         8
        .size:           8
        .value_kind:     global_buffer
      - .actual_access:  read_only
        .address_space:  global
        .offset:         16
        .size:           8
        .value_kind:     global_buffer
      - .offset:         24
        .size:           4
        .value_kind:     by_value
      - .offset:         28
        .size:           4
        .value_kind:     by_value
      - .actual_access:  read_only
        .address_space:  global
        .offset:         32
        .size:           8
        .value_kind:     global_buffer
      - .actual_access:  read_only
        .address_space:  global
        .offset:         40
        .size:           8
        .value_kind:     global_buffer
      - .actual_access:  read_only
        .address_space:  global
        .offset:         48
        .size:           8
        .value_kind:     global_buffer
      - .offset:         56
        .size:           4
        .value_kind:     by_value
      - .actual_access:  read_only
        .address_space:  global
        .offset:         64
        .size:           8
        .value_kind:     global_buffer
      - .offset:         72
        .size:           4
        .value_kind:     by_value
      - .offset:         76
        .size:           4
        .value_kind:     by_value
      - .offset:         80
        .size:           4
        .value_kind:     by_value
      - .actual_access:  read_only
        .address_space:  global
        .offset:         88
        .size:           8
        .value_kind:     global_buffer
      - .actual_access:  read_only
        .address_space:  global
        .offset:         96
        .size:           8
        .value_kind:     global_buffer
      - .actual_access:  read_only
        .address_space:  global
        .offset:         104
        .size:           8
        .value_kind:     global_buffer
      - .actual_access:  read_only
        .address_space:  global
        .offset:         112
        .size:           8
        .value_kind:     global_buffer
      - .offset:         120
        .size:           4
        .value_kind:     by_value
      - .address_space:  global
        .offset:         128
        .size:           8
        .value_kind:     global_buffer
      - .address_space:  global
        .offset:         136
        .size:           8
        .value_kind:     global_buffer
      - .offset:         144
        .size:           4
        .value_kind:     hidden_block_count_x
      - .offset:         148
        .size:           4
        .value_kind:     hidden_block_count_y
      - .offset:         152
        .size:           4
        .value_kind:     hidden_block_count_z
      - .offset:         156
        .size:           2
        .value_kind:     hidden_group_size_x
      - .offset:         158
        .size:           2
        .value_kind:     hidden_group_size_y
      - .offset:         160
        .size:           2
        .value_kind:     hidden_group_size_z
      - .offset:         162
        .size:           2
        .value_kind:     hidden_remainder_x
      - .offset:         164
        .size:           2
        .value_kind:     hidden_remainder_y
      - .offset:         166
        .size:           2
        .value_kind:     hidden_remainder_z
      - .offset:         184
        .size:           8
        .value_kind:     hidden_global_offset_x
      - .offset:         192
        .size:           8
        .value_kind:     hidden_global_offset_y
      - .offset:         200
        .size:           8
        .value_kind:     hidden_global_offset_z
      - .offset:         208
        .size:           2
        .value_kind:     hidden_grid_dims
      - .offset:         224
        .size:           8
        .value_kind:     hidden_hostcall_buffer
    .group_segment_fixed_size: 0
    .kernarg_segment_align: 8
    .kernarg_segment_size: 400
    .language:       OpenCL C
    .language_version:
      - 2
      - 0
    .max_flat_workgroup_size: 256
    .name:           _Z38paged_attention_ll4mi_QKV_mfma4_kernelIDF16_hLN4vllm18Fp8KVCacheDataTypeE1EhLi32ELi64ELi256ELb0ELi3EEvPKT_PKT0_S7_ifPKiS9_S9_iPKfiiiPfSC_PS2_PT2_iSB_SB_
    .private_segment_fixed_size: 64
    .sgpr_count:     36
    .sgpr_spill_count: 0
    .symbol:         _Z38paged_attention_ll4mi_QKV_mfma4_kernelIDF16_hLN4vllm18Fp8KVCacheDataTypeE1EhLi32ELi64ELi256ELb0ELi3EEvPKT_PKT0_S7_ifPKiS9_S9_iPKfiiiPfSC_PS2_PT2_iSB_SB_.kd
    .uniform_work_group_size: 1
    .uses_dynamic_stack: false
    .vgpr_count:     41
    .vgpr_spill_count: 0
    .wavefront_size: 32
    .workgroup_processor_mode: 1
  - .args:
      - .actual_access:  read_only
        .address_space:  global
        .offset:         0
        .size:           8
        .value_kind:     global_buffer
      - .actual_access:  read_only
        .address_space:  global
        .offset:         8
        .size:           8
        .value_kind:     global_buffer
      - .actual_access:  read_only
        .address_space:  global
        .offset:         16
        .size:           8
        .value_kind:     global_buffer
      - .offset:         24
        .size:           4
        .value_kind:     by_value
      - .offset:         28
        .size:           4
        .value_kind:     by_value
      - .actual_access:  read_only
        .address_space:  global
        .offset:         32
        .size:           8
        .value_kind:     global_buffer
      - .actual_access:  read_only
        .address_space:  global
        .offset:         40
        .size:           8
        .value_kind:     global_buffer
      - .actual_access:  read_only
        .address_space:  global
        .offset:         48
        .size:           8
        .value_kind:     global_buffer
      - .offset:         56
        .size:           4
        .value_kind:     by_value
      - .actual_access:  read_only
        .address_space:  global
        .offset:         64
        .size:           8
        .value_kind:     global_buffer
      - .offset:         72
        .size:           4
        .value_kind:     by_value
      - .offset:         76
        .size:           4
        .value_kind:     by_value
      - .offset:         80
        .size:           4
        .value_kind:     by_value
      - .actual_access:  read_only
        .address_space:  global
        .offset:         88
        .size:           8
        .value_kind:     global_buffer
      - .actual_access:  read_only
        .address_space:  global
        .offset:         96
        .size:           8
        .value_kind:     global_buffer
      - .actual_access:  read_only
        .address_space:  global
        .offset:         104
        .size:           8
        .value_kind:     global_buffer
      - .actual_access:  read_only
        .address_space:  global
        .offset:         112
        .size:           8
        .value_kind:     global_buffer
      - .offset:         120
        .size:           4
        .value_kind:     by_value
      - .address_space:  global
        .offset:         128
        .size:           8
        .value_kind:     global_buffer
      - .address_space:  global
        .offset:         136
        .size:           8
        .value_kind:     global_buffer
      - .offset:         144
        .size:           4
        .value_kind:     hidden_block_count_x
      - .offset:         148
        .size:           4
        .value_kind:     hidden_block_count_y
      - .offset:         152
        .size:           4
        .value_kind:     hidden_block_count_z
      - .offset:         156
        .size:           2
        .value_kind:     hidden_group_size_x
      - .offset:         158
        .size:           2
        .value_kind:     hidden_group_size_y
      - .offset:         160
        .size:           2
        .value_kind:     hidden_group_size_z
      - .offset:         162
        .size:           2
        .value_kind:     hidden_remainder_x
      - .offset:         164
        .size:           2
        .value_kind:     hidden_remainder_y
      - .offset:         166
        .size:           2
        .value_kind:     hidden_remainder_z
      - .offset:         184
        .size:           8
        .value_kind:     hidden_global_offset_x
      - .offset:         192
        .size:           8
        .value_kind:     hidden_global_offset_y
      - .offset:         200
        .size:           8
        .value_kind:     hidden_global_offset_z
      - .offset:         208
        .size:           2
        .value_kind:     hidden_grid_dims
      - .offset:         224
        .size:           8
        .value_kind:     hidden_hostcall_buffer
    .group_segment_fixed_size: 0
    .kernarg_segment_align: 8
    .kernarg_segment_size: 400
    .language:       OpenCL C
    .language_version:
      - 2
      - 0
    .max_flat_workgroup_size: 256
    .name:           _Z38paged_attention_ll4mi_QKV_mfma4_kernelIDF16_hLN4vllm18Fp8KVCacheDataTypeE1EhLi32ELi64ELi256ELb0ELi4EEvPKT_PKT0_S7_ifPKiS9_S9_iPKfiiiPfSC_PS2_PT2_iSB_SB_
    .private_segment_fixed_size: 64
    .sgpr_count:     36
    .sgpr_spill_count: 0
    .symbol:         _Z38paged_attention_ll4mi_QKV_mfma4_kernelIDF16_hLN4vllm18Fp8KVCacheDataTypeE1EhLi32ELi64ELi256ELb0ELi4EEvPKT_PKT0_S7_ifPKiS9_S9_iPKfiiiPfSC_PS2_PT2_iSB_SB_.kd
    .uniform_work_group_size: 1
    .uses_dynamic_stack: false
    .vgpr_count:     41
    .vgpr_spill_count: 0
    .wavefront_size: 32
    .workgroup_processor_mode: 1
  - .args:
      - .actual_access:  read_only
        .address_space:  global
        .offset:         0
        .size:           8
        .value_kind:     global_buffer
      - .actual_access:  read_only
        .address_space:  global
        .offset:         8
        .size:           8
        .value_kind:     global_buffer
      - .actual_access:  read_only
        .address_space:  global
        .offset:         16
        .size:           8
        .value_kind:     global_buffer
      - .offset:         24
        .size:           4
        .value_kind:     by_value
      - .offset:         28
        .size:           4
        .value_kind:     by_value
      - .actual_access:  read_only
        .address_space:  global
        .offset:         32
        .size:           8
        .value_kind:     global_buffer
      - .actual_access:  read_only
        .address_space:  global
        .offset:         40
        .size:           8
        .value_kind:     global_buffer
      - .actual_access:  read_only
        .address_space:  global
        .offset:         48
        .size:           8
        .value_kind:     global_buffer
      - .offset:         56
        .size:           4
        .value_kind:     by_value
      - .actual_access:  read_only
        .address_space:  global
        .offset:         64
        .size:           8
        .value_kind:     global_buffer
      - .offset:         72
        .size:           4
        .value_kind:     by_value
      - .offset:         76
        .size:           4
        .value_kind:     by_value
      - .offset:         80
        .size:           4
        .value_kind:     by_value
      - .actual_access:  write_only
        .address_space:  global
        .offset:         88
        .size:           8
        .value_kind:     global_buffer
      - .actual_access:  write_only
        .address_space:  global
        .offset:         96
        .size:           8
        .value_kind:     global_buffer
      - .actual_access:  write_only
        .address_space:  global
        .offset:         104
        .size:           8
        .value_kind:     global_buffer
      - .actual_access:  read_only
        .address_space:  global
        .offset:         112
        .size:           8
        .value_kind:     global_buffer
      - .offset:         120
        .size:           4
        .value_kind:     by_value
      - .address_space:  global
        .offset:         128
        .size:           8
        .value_kind:     global_buffer
      - .address_space:  global
        .offset:         136
        .size:           8
        .value_kind:     global_buffer
      - .offset:         144
        .size:           4
        .value_kind:     hidden_block_count_x
      - .offset:         148
        .size:           4
        .value_kind:     hidden_block_count_y
      - .offset:         152
        .size:           4
        .value_kind:     hidden_block_count_z
      - .offset:         156
        .size:           2
        .value_kind:     hidden_group_size_x
      - .offset:         158
        .size:           2
        .value_kind:     hidden_group_size_y
      - .offset:         160
        .size:           2
        .value_kind:     hidden_group_size_z
      - .offset:         162
        .size:           2
        .value_kind:     hidden_remainder_x
      - .offset:         164
        .size:           2
        .value_kind:     hidden_remainder_y
      - .offset:         166
        .size:           2
        .value_kind:     hidden_remainder_z
      - .offset:         184
        .size:           8
        .value_kind:     hidden_global_offset_x
      - .offset:         192
        .size:           8
        .value_kind:     hidden_global_offset_y
      - .offset:         200
        .size:           8
        .value_kind:     hidden_global_offset_z
      - .offset:         208
        .size:           2
        .value_kind:     hidden_grid_dims
    .group_segment_fixed_size: 17472
    .kernarg_segment_align: 8
    .kernarg_segment_size: 400
    .language:       OpenCL C
    .language_version:
      - 2
      - 0
    .max_flat_workgroup_size: 256
    .name:           _Z39paged_attention_ll4mi_QKV_mfma16_kernelIDF16_hLN4vllm18Fp8KVCacheDataTypeE1EhLi32ELi64ELi256ELb0ELi5EL8MFMAType1EEvPKT_PKT0_S8_ifPKiSA_SA_iPKfiiiPfSD_PS3_PT2_iSC_SC_
    .private_segment_fixed_size: 0
    .sgpr_count:     39
    .sgpr_spill_count: 0
    .symbol:         _Z39paged_attention_ll4mi_QKV_mfma16_kernelIDF16_hLN4vllm18Fp8KVCacheDataTypeE1EhLi32ELi64ELi256ELb0ELi5EL8MFMAType1EEvPKT_PKT0_S8_ifPKiSA_SA_iPKfiiiPfSD_PS3_PT2_iSC_SC_.kd
    .uniform_work_group_size: 1
    .uses_dynamic_stack: false
    .vgpr_count:     146
    .vgpr_spill_count: 0
    .wavefront_size: 32
    .workgroup_processor_mode: 1
  - .args:
      - .actual_access:  read_only
        .address_space:  global
        .offset:         0
        .size:           8
        .value_kind:     global_buffer
      - .actual_access:  read_only
        .address_space:  global
        .offset:         8
        .size:           8
        .value_kind:     global_buffer
      - .actual_access:  read_only
        .address_space:  global
        .offset:         16
        .size:           8
        .value_kind:     global_buffer
      - .offset:         24
        .size:           4
        .value_kind:     by_value
      - .offset:         28
        .size:           4
        .value_kind:     by_value
      - .actual_access:  read_only
        .address_space:  global
        .offset:         32
        .size:           8
        .value_kind:     global_buffer
      - .actual_access:  read_only
        .address_space:  global
        .offset:         40
        .size:           8
        .value_kind:     global_buffer
      - .actual_access:  read_only
        .address_space:  global
        .offset:         48
        .size:           8
        .value_kind:     global_buffer
      - .offset:         56
        .size:           4
        .value_kind:     by_value
      - .actual_access:  read_only
        .address_space:  global
        .offset:         64
        .size:           8
        .value_kind:     global_buffer
      - .offset:         72
        .size:           4
        .value_kind:     by_value
      - .offset:         76
        .size:           4
        .value_kind:     by_value
      - .offset:         80
        .size:           4
        .value_kind:     by_value
      - .actual_access:  write_only
        .address_space:  global
        .offset:         88
        .size:           8
        .value_kind:     global_buffer
      - .actual_access:  write_only
        .address_space:  global
        .offset:         96
        .size:           8
        .value_kind:     global_buffer
      - .actual_access:  write_only
        .address_space:  global
        .offset:         104
        .size:           8
        .value_kind:     global_buffer
      - .actual_access:  read_only
        .address_space:  global
        .offset:         112
        .size:           8
        .value_kind:     global_buffer
      - .offset:         120
        .size:           4
        .value_kind:     by_value
      - .address_space:  global
        .offset:         128
        .size:           8
        .value_kind:     global_buffer
      - .address_space:  global
        .offset:         136
        .size:           8
        .value_kind:     global_buffer
      - .offset:         144
        .size:           4
        .value_kind:     hidden_block_count_x
      - .offset:         148
        .size:           4
        .value_kind:     hidden_block_count_y
      - .offset:         152
        .size:           4
        .value_kind:     hidden_block_count_z
      - .offset:         156
        .size:           2
        .value_kind:     hidden_group_size_x
      - .offset:         158
        .size:           2
        .value_kind:     hidden_group_size_y
      - .offset:         160
        .size:           2
        .value_kind:     hidden_group_size_z
      - .offset:         162
        .size:           2
        .value_kind:     hidden_remainder_x
      - .offset:         164
        .size:           2
        .value_kind:     hidden_remainder_y
      - .offset:         166
        .size:           2
        .value_kind:     hidden_remainder_z
      - .offset:         184
        .size:           8
        .value_kind:     hidden_global_offset_x
      - .offset:         192
        .size:           8
        .value_kind:     hidden_global_offset_y
      - .offset:         200
        .size:           8
        .value_kind:     hidden_global_offset_z
      - .offset:         208
        .size:           2
        .value_kind:     hidden_grid_dims
    .group_segment_fixed_size: 17472
    .kernarg_segment_align: 8
    .kernarg_segment_size: 400
    .language:       OpenCL C
    .language_version:
      - 2
      - 0
    .max_flat_workgroup_size: 256
    .name:           _Z39paged_attention_ll4mi_QKV_mfma16_kernelIDF16_hLN4vllm18Fp8KVCacheDataTypeE1EhLi32ELi64ELi256ELb0ELi6EL8MFMAType1EEvPKT_PKT0_S8_ifPKiSA_SA_iPKfiiiPfSD_PS3_PT2_iSC_SC_
    .private_segment_fixed_size: 0
    .sgpr_count:     40
    .sgpr_spill_count: 0
    .symbol:         _Z39paged_attention_ll4mi_QKV_mfma16_kernelIDF16_hLN4vllm18Fp8KVCacheDataTypeE1EhLi32ELi64ELi256ELb0ELi6EL8MFMAType1EEvPKT_PKT0_S8_ifPKiSA_SA_iPKfiiiPfSD_PS3_PT2_iSC_SC_.kd
    .uniform_work_group_size: 1
    .uses_dynamic_stack: false
    .vgpr_count:     146
    .vgpr_spill_count: 0
    .wavefront_size: 32
    .workgroup_processor_mode: 1
  - .args:
      - .actual_access:  read_only
        .address_space:  global
        .offset:         0
        .size:           8
        .value_kind:     global_buffer
      - .actual_access:  read_only
        .address_space:  global
        .offset:         8
        .size:           8
        .value_kind:     global_buffer
      - .actual_access:  read_only
        .address_space:  global
        .offset:         16
        .size:           8
        .value_kind:     global_buffer
      - .offset:         24
        .size:           4
        .value_kind:     by_value
      - .offset:         28
        .size:           4
        .value_kind:     by_value
      - .actual_access:  read_only
        .address_space:  global
        .offset:         32
        .size:           8
        .value_kind:     global_buffer
      - .actual_access:  read_only
        .address_space:  global
        .offset:         40
        .size:           8
        .value_kind:     global_buffer
      - .actual_access:  read_only
        .address_space:  global
        .offset:         48
        .size:           8
        .value_kind:     global_buffer
      - .offset:         56
        .size:           4
        .value_kind:     by_value
      - .actual_access:  read_only
        .address_space:  global
        .offset:         64
        .size:           8
        .value_kind:     global_buffer
      - .offset:         72
        .size:           4
        .value_kind:     by_value
      - .offset:         76
        .size:           4
        .value_kind:     by_value
      - .offset:         80
        .size:           4
        .value_kind:     by_value
      - .actual_access:  write_only
        .address_space:  global
        .offset:         88
        .size:           8
        .value_kind:     global_buffer
      - .actual_access:  write_only
        .address_space:  global
        .offset:         96
        .size:           8
        .value_kind:     global_buffer
      - .actual_access:  write_only
        .address_space:  global
        .offset:         104
        .size:           8
        .value_kind:     global_buffer
      - .actual_access:  read_only
        .address_space:  global
        .offset:         112
        .size:           8
        .value_kind:     global_buffer
      - .offset:         120
        .size:           4
        .value_kind:     by_value
      - .address_space:  global
        .offset:         128
        .size:           8
        .value_kind:     global_buffer
      - .address_space:  global
        .offset:         136
        .size:           8
        .value_kind:     global_buffer
      - .offset:         144
        .size:           4
        .value_kind:     hidden_block_count_x
      - .offset:         148
        .size:           4
        .value_kind:     hidden_block_count_y
      - .offset:         152
        .size:           4
        .value_kind:     hidden_block_count_z
      - .offset:         156
        .size:           2
        .value_kind:     hidden_group_size_x
      - .offset:         158
        .size:           2
        .value_kind:     hidden_group_size_y
      - .offset:         160
        .size:           2
        .value_kind:     hidden_group_size_z
      - .offset:         162
        .size:           2
        .value_kind:     hidden_remainder_x
      - .offset:         164
        .size:           2
        .value_kind:     hidden_remainder_y
      - .offset:         166
        .size:           2
        .value_kind:     hidden_remainder_z
      - .offset:         184
        .size:           8
        .value_kind:     hidden_global_offset_x
      - .offset:         192
        .size:           8
        .value_kind:     hidden_global_offset_y
      - .offset:         200
        .size:           8
        .value_kind:     hidden_global_offset_z
      - .offset:         208
        .size:           2
        .value_kind:     hidden_grid_dims
    .group_segment_fixed_size: 17472
    .kernarg_segment_align: 8
    .kernarg_segment_size: 400
    .language:       OpenCL C
    .language_version:
      - 2
      - 0
    .max_flat_workgroup_size: 256
    .name:           _Z39paged_attention_ll4mi_QKV_mfma16_kernelIDF16_hLN4vllm18Fp8KVCacheDataTypeE1EhLi32ELi64ELi256ELb0ELi7EL8MFMAType1EEvPKT_PKT0_S8_ifPKiSA_SA_iPKfiiiPfSD_PS3_PT2_iSC_SC_
    .private_segment_fixed_size: 0
    .sgpr_count:     39
    .sgpr_spill_count: 0
    .symbol:         _Z39paged_attention_ll4mi_QKV_mfma16_kernelIDF16_hLN4vllm18Fp8KVCacheDataTypeE1EhLi32ELi64ELi256ELb0ELi7EL8MFMAType1EEvPKT_PKT0_S8_ifPKiSA_SA_iPKfiiiPfSD_PS3_PT2_iSC_SC_.kd
    .uniform_work_group_size: 1
    .uses_dynamic_stack: false
    .vgpr_count:     146
    .vgpr_spill_count: 0
    .wavefront_size: 32
    .workgroup_processor_mode: 1
  - .args:
      - .actual_access:  read_only
        .address_space:  global
        .offset:         0
        .size:           8
        .value_kind:     global_buffer
      - .actual_access:  read_only
        .address_space:  global
        .offset:         8
        .size:           8
        .value_kind:     global_buffer
      - .actual_access:  read_only
        .address_space:  global
        .offset:         16
        .size:           8
        .value_kind:     global_buffer
      - .offset:         24
        .size:           4
        .value_kind:     by_value
      - .offset:         28
        .size:           4
        .value_kind:     by_value
      - .actual_access:  read_only
        .address_space:  global
        .offset:         32
        .size:           8
        .value_kind:     global_buffer
      - .actual_access:  read_only
        .address_space:  global
        .offset:         40
        .size:           8
        .value_kind:     global_buffer
      - .actual_access:  read_only
        .address_space:  global
        .offset:         48
        .size:           8
        .value_kind:     global_buffer
      - .offset:         56
        .size:           4
        .value_kind:     by_value
      - .actual_access:  read_only
        .address_space:  global
        .offset:         64
        .size:           8
        .value_kind:     global_buffer
      - .offset:         72
        .size:           4
        .value_kind:     by_value
      - .offset:         76
        .size:           4
        .value_kind:     by_value
      - .offset:         80
        .size:           4
        .value_kind:     by_value
      - .actual_access:  write_only
        .address_space:  global
        .offset:         88
        .size:           8
        .value_kind:     global_buffer
      - .actual_access:  write_only
        .address_space:  global
        .offset:         96
        .size:           8
        .value_kind:     global_buffer
      - .actual_access:  write_only
        .address_space:  global
        .offset:         104
        .size:           8
        .value_kind:     global_buffer
      - .actual_access:  read_only
        .address_space:  global
        .offset:         112
        .size:           8
        .value_kind:     global_buffer
      - .offset:         120
        .size:           4
        .value_kind:     by_value
      - .address_space:  global
        .offset:         128
        .size:           8
        .value_kind:     global_buffer
      - .address_space:  global
        .offset:         136
        .size:           8
        .value_kind:     global_buffer
      - .offset:         144
        .size:           4
        .value_kind:     hidden_block_count_x
      - .offset:         148
        .size:           4
        .value_kind:     hidden_block_count_y
      - .offset:         152
        .size:           4
        .value_kind:     hidden_block_count_z
      - .offset:         156
        .size:           2
        .value_kind:     hidden_group_size_x
      - .offset:         158
        .size:           2
        .value_kind:     hidden_group_size_y
      - .offset:         160
        .size:           2
        .value_kind:     hidden_group_size_z
      - .offset:         162
        .size:           2
        .value_kind:     hidden_remainder_x
      - .offset:         164
        .size:           2
        .value_kind:     hidden_remainder_y
      - .offset:         166
        .size:           2
        .value_kind:     hidden_remainder_z
      - .offset:         184
        .size:           8
        .value_kind:     hidden_global_offset_x
      - .offset:         192
        .size:           8
        .value_kind:     hidden_global_offset_y
      - .offset:         200
        .size:           8
        .value_kind:     hidden_global_offset_z
      - .offset:         208
        .size:           2
        .value_kind:     hidden_grid_dims
    .group_segment_fixed_size: 17472
    .kernarg_segment_align: 8
    .kernarg_segment_size: 400
    .language:       OpenCL C
    .language_version:
      - 2
      - 0
    .max_flat_workgroup_size: 256
    .name:           _Z39paged_attention_ll4mi_QKV_mfma16_kernelIDF16_hLN4vllm18Fp8KVCacheDataTypeE1EhLi32ELi64ELi256ELb0ELi8EL8MFMAType1EEvPKT_PKT0_S8_ifPKiSA_SA_iPKfiiiPfSD_PS3_PT2_iSC_SC_
    .private_segment_fixed_size: 0
    .sgpr_count:     44
    .sgpr_spill_count: 0
    .symbol:         _Z39paged_attention_ll4mi_QKV_mfma16_kernelIDF16_hLN4vllm18Fp8KVCacheDataTypeE1EhLi32ELi64ELi256ELb0ELi8EL8MFMAType1EEvPKT_PKT0_S8_ifPKiSA_SA_iPKfiiiPfSD_PS3_PT2_iSC_SC_.kd
    .uniform_work_group_size: 1
    .uses_dynamic_stack: false
    .vgpr_count:     123
    .vgpr_spill_count: 0
    .wavefront_size: 32
    .workgroup_processor_mode: 1
  - .args:
      - .actual_access:  read_only
        .address_space:  global
        .offset:         0
        .size:           8
        .value_kind:     global_buffer
      - .actual_access:  read_only
        .address_space:  global
        .offset:         8
        .size:           8
        .value_kind:     global_buffer
      - .actual_access:  read_only
        .address_space:  global
        .offset:         16
        .size:           8
        .value_kind:     global_buffer
      - .offset:         24
        .size:           4
        .value_kind:     by_value
      - .offset:         28
        .size:           4
        .value_kind:     by_value
      - .actual_access:  read_only
        .address_space:  global
        .offset:         32
        .size:           8
        .value_kind:     global_buffer
      - .actual_access:  read_only
        .address_space:  global
        .offset:         40
        .size:           8
        .value_kind:     global_buffer
      - .actual_access:  read_only
        .address_space:  global
        .offset:         48
        .size:           8
        .value_kind:     global_buffer
      - .offset:         56
        .size:           4
        .value_kind:     by_value
      - .actual_access:  read_only
        .address_space:  global
        .offset:         64
        .size:           8
        .value_kind:     global_buffer
      - .offset:         72
        .size:           4
        .value_kind:     by_value
      - .offset:         76
        .size:           4
        .value_kind:     by_value
      - .offset:         80
        .size:           4
        .value_kind:     by_value
      - .actual_access:  write_only
        .address_space:  global
        .offset:         88
        .size:           8
        .value_kind:     global_buffer
      - .actual_access:  write_only
        .address_space:  global
        .offset:         96
        .size:           8
        .value_kind:     global_buffer
      - .actual_access:  write_only
        .address_space:  global
        .offset:         104
        .size:           8
        .value_kind:     global_buffer
      - .actual_access:  read_only
        .address_space:  global
        .offset:         112
        .size:           8
        .value_kind:     global_buffer
      - .offset:         120
        .size:           4
        .value_kind:     by_value
      - .address_space:  global
        .offset:         128
        .size:           8
        .value_kind:     global_buffer
      - .address_space:  global
        .offset:         136
        .size:           8
        .value_kind:     global_buffer
      - .offset:         144
        .size:           4
        .value_kind:     hidden_block_count_x
      - .offset:         148
        .size:           4
        .value_kind:     hidden_block_count_y
      - .offset:         152
        .size:           4
        .value_kind:     hidden_block_count_z
      - .offset:         156
        .size:           2
        .value_kind:     hidden_group_size_x
      - .offset:         158
        .size:           2
        .value_kind:     hidden_group_size_y
      - .offset:         160
        .size:           2
        .value_kind:     hidden_group_size_z
      - .offset:         162
        .size:           2
        .value_kind:     hidden_remainder_x
      - .offset:         164
        .size:           2
        .value_kind:     hidden_remainder_y
      - .offset:         166
        .size:           2
        .value_kind:     hidden_remainder_z
      - .offset:         184
        .size:           8
        .value_kind:     hidden_global_offset_x
      - .offset:         192
        .size:           8
        .value_kind:     hidden_global_offset_y
      - .offset:         200
        .size:           8
        .value_kind:     hidden_global_offset_z
      - .offset:         208
        .size:           2
        .value_kind:     hidden_grid_dims
    .group_segment_fixed_size: 17472
    .kernarg_segment_align: 8
    .kernarg_segment_size: 400
    .language:       OpenCL C
    .language_version:
      - 2
      - 0
    .max_flat_workgroup_size: 256
    .name:           _Z39paged_attention_ll4mi_QKV_mfma16_kernelIDF16_hLN4vllm18Fp8KVCacheDataTypeE1EhLi32ELi64ELi256ELb0ELi9EL8MFMAType1EEvPKT_PKT0_S8_ifPKiSA_SA_iPKfiiiPfSD_PS3_PT2_iSC_SC_
    .private_segment_fixed_size: 0
    .sgpr_count:     39
    .sgpr_spill_count: 0
    .symbol:         _Z39paged_attention_ll4mi_QKV_mfma16_kernelIDF16_hLN4vllm18Fp8KVCacheDataTypeE1EhLi32ELi64ELi256ELb0ELi9EL8MFMAType1EEvPKT_PKT0_S8_ifPKiSA_SA_iPKfiiiPfSD_PS3_PT2_iSC_SC_.kd
    .uniform_work_group_size: 1
    .uses_dynamic_stack: false
    .vgpr_count:     146
    .vgpr_spill_count: 0
    .wavefront_size: 32
    .workgroup_processor_mode: 1
  - .args:
      - .actual_access:  read_only
        .address_space:  global
        .offset:         0
        .size:           8
        .value_kind:     global_buffer
      - .actual_access:  read_only
        .address_space:  global
        .offset:         8
        .size:           8
        .value_kind:     global_buffer
      - .actual_access:  read_only
        .address_space:  global
        .offset:         16
        .size:           8
        .value_kind:     global_buffer
      - .offset:         24
        .size:           4
        .value_kind:     by_value
      - .offset:         28
        .size:           4
        .value_kind:     by_value
      - .actual_access:  read_only
        .address_space:  global
        .offset:         32
        .size:           8
        .value_kind:     global_buffer
      - .actual_access:  read_only
        .address_space:  global
        .offset:         40
        .size:           8
        .value_kind:     global_buffer
      - .actual_access:  read_only
        .address_space:  global
        .offset:         48
        .size:           8
        .value_kind:     global_buffer
      - .offset:         56
        .size:           4
        .value_kind:     by_value
      - .actual_access:  read_only
        .address_space:  global
        .offset:         64
        .size:           8
        .value_kind:     global_buffer
      - .offset:         72
        .size:           4
        .value_kind:     by_value
      - .offset:         76
        .size:           4
        .value_kind:     by_value
      - .offset:         80
        .size:           4
        .value_kind:     by_value
      - .actual_access:  write_only
        .address_space:  global
        .offset:         88
        .size:           8
        .value_kind:     global_buffer
      - .actual_access:  write_only
        .address_space:  global
        .offset:         96
        .size:           8
        .value_kind:     global_buffer
      - .actual_access:  write_only
        .address_space:  global
        .offset:         104
        .size:           8
        .value_kind:     global_buffer
      - .actual_access:  read_only
        .address_space:  global
        .offset:         112
        .size:           8
        .value_kind:     global_buffer
      - .offset:         120
        .size:           4
        .value_kind:     by_value
      - .address_space:  global
        .offset:         128
        .size:           8
        .value_kind:     global_buffer
      - .address_space:  global
        .offset:         136
        .size:           8
        .value_kind:     global_buffer
      - .offset:         144
        .size:           4
        .value_kind:     hidden_block_count_x
      - .offset:         148
        .size:           4
        .value_kind:     hidden_block_count_y
      - .offset:         152
        .size:           4
        .value_kind:     hidden_block_count_z
      - .offset:         156
        .size:           2
        .value_kind:     hidden_group_size_x
      - .offset:         158
        .size:           2
        .value_kind:     hidden_group_size_y
      - .offset:         160
        .size:           2
        .value_kind:     hidden_group_size_z
      - .offset:         162
        .size:           2
        .value_kind:     hidden_remainder_x
      - .offset:         164
        .size:           2
        .value_kind:     hidden_remainder_y
      - .offset:         166
        .size:           2
        .value_kind:     hidden_remainder_z
      - .offset:         184
        .size:           8
        .value_kind:     hidden_global_offset_x
      - .offset:         192
        .size:           8
        .value_kind:     hidden_global_offset_y
      - .offset:         200
        .size:           8
        .value_kind:     hidden_global_offset_z
      - .offset:         208
        .size:           2
        .value_kind:     hidden_grid_dims
    .group_segment_fixed_size: 17472
    .kernarg_segment_align: 8
    .kernarg_segment_size: 400
    .language:       OpenCL C
    .language_version:
      - 2
      - 0
    .max_flat_workgroup_size: 256
    .name:           _Z39paged_attention_ll4mi_QKV_mfma16_kernelIDF16_hLN4vllm18Fp8KVCacheDataTypeE1EhLi32ELi64ELi256ELb0ELi10EL8MFMAType1EEvPKT_PKT0_S8_ifPKiSA_SA_iPKfiiiPfSD_PS3_PT2_iSC_SC_
    .private_segment_fixed_size: 0
    .sgpr_count:     40
    .sgpr_spill_count: 0
    .symbol:         _Z39paged_attention_ll4mi_QKV_mfma16_kernelIDF16_hLN4vllm18Fp8KVCacheDataTypeE1EhLi32ELi64ELi256ELb0ELi10EL8MFMAType1EEvPKT_PKT0_S8_ifPKiSA_SA_iPKfiiiPfSD_PS3_PT2_iSC_SC_.kd
    .uniform_work_group_size: 1
    .uses_dynamic_stack: false
    .vgpr_count:     146
    .vgpr_spill_count: 0
    .wavefront_size: 32
    .workgroup_processor_mode: 1
  - .args:
      - .actual_access:  read_only
        .address_space:  global
        .offset:         0
        .size:           8
        .value_kind:     global_buffer
      - .actual_access:  read_only
        .address_space:  global
        .offset:         8
        .size:           8
        .value_kind:     global_buffer
      - .actual_access:  read_only
        .address_space:  global
        .offset:         16
        .size:           8
        .value_kind:     global_buffer
      - .offset:         24
        .size:           4
        .value_kind:     by_value
      - .offset:         28
        .size:           4
        .value_kind:     by_value
      - .actual_access:  read_only
        .address_space:  global
        .offset:         32
        .size:           8
        .value_kind:     global_buffer
      - .actual_access:  read_only
        .address_space:  global
        .offset:         40
        .size:           8
        .value_kind:     global_buffer
      - .actual_access:  read_only
        .address_space:  global
        .offset:         48
        .size:           8
        .value_kind:     global_buffer
      - .offset:         56
        .size:           4
        .value_kind:     by_value
      - .actual_access:  read_only
        .address_space:  global
        .offset:         64
        .size:           8
        .value_kind:     global_buffer
      - .offset:         72
        .size:           4
        .value_kind:     by_value
      - .offset:         76
        .size:           4
        .value_kind:     by_value
      - .offset:         80
        .size:           4
        .value_kind:     by_value
      - .actual_access:  write_only
        .address_space:  global
        .offset:         88
        .size:           8
        .value_kind:     global_buffer
      - .actual_access:  write_only
        .address_space:  global
        .offset:         96
        .size:           8
        .value_kind:     global_buffer
      - .actual_access:  write_only
        .address_space:  global
        .offset:         104
        .size:           8
        .value_kind:     global_buffer
      - .actual_access:  read_only
        .address_space:  global
        .offset:         112
        .size:           8
        .value_kind:     global_buffer
      - .offset:         120
        .size:           4
        .value_kind:     by_value
      - .address_space:  global
        .offset:         128
        .size:           8
        .value_kind:     global_buffer
      - .address_space:  global
        .offset:         136
        .size:           8
        .value_kind:     global_buffer
      - .offset:         144
        .size:           4
        .value_kind:     hidden_block_count_x
      - .offset:         148
        .size:           4
        .value_kind:     hidden_block_count_y
      - .offset:         152
        .size:           4
        .value_kind:     hidden_block_count_z
      - .offset:         156
        .size:           2
        .value_kind:     hidden_group_size_x
      - .offset:         158
        .size:           2
        .value_kind:     hidden_group_size_y
      - .offset:         160
        .size:           2
        .value_kind:     hidden_group_size_z
      - .offset:         162
        .size:           2
        .value_kind:     hidden_remainder_x
      - .offset:         164
        .size:           2
        .value_kind:     hidden_remainder_y
      - .offset:         166
        .size:           2
        .value_kind:     hidden_remainder_z
      - .offset:         184
        .size:           8
        .value_kind:     hidden_global_offset_x
      - .offset:         192
        .size:           8
        .value_kind:     hidden_global_offset_y
      - .offset:         200
        .size:           8
        .value_kind:     hidden_global_offset_z
      - .offset:         208
        .size:           2
        .value_kind:     hidden_grid_dims
    .group_segment_fixed_size: 17472
    .kernarg_segment_align: 8
    .kernarg_segment_size: 400
    .language:       OpenCL C
    .language_version:
      - 2
      - 0
    .max_flat_workgroup_size: 256
    .name:           _Z39paged_attention_ll4mi_QKV_mfma16_kernelIDF16_hLN4vllm18Fp8KVCacheDataTypeE1EhLi32ELi64ELi256ELb0ELi11EL8MFMAType1EEvPKT_PKT0_S8_ifPKiSA_SA_iPKfiiiPfSD_PS3_PT2_iSC_SC_
    .private_segment_fixed_size: 0
    .sgpr_count:     39
    .sgpr_spill_count: 0
    .symbol:         _Z39paged_attention_ll4mi_QKV_mfma16_kernelIDF16_hLN4vllm18Fp8KVCacheDataTypeE1EhLi32ELi64ELi256ELb0ELi11EL8MFMAType1EEvPKT_PKT0_S8_ifPKiSA_SA_iPKfiiiPfSD_PS3_PT2_iSC_SC_.kd
    .uniform_work_group_size: 1
    .uses_dynamic_stack: false
    .vgpr_count:     146
    .vgpr_spill_count: 0
    .wavefront_size: 32
    .workgroup_processor_mode: 1
  - .args:
      - .actual_access:  read_only
        .address_space:  global
        .offset:         0
        .size:           8
        .value_kind:     global_buffer
      - .actual_access:  read_only
        .address_space:  global
        .offset:         8
        .size:           8
        .value_kind:     global_buffer
      - .actual_access:  read_only
        .address_space:  global
        .offset:         16
        .size:           8
        .value_kind:     global_buffer
      - .offset:         24
        .size:           4
        .value_kind:     by_value
      - .offset:         28
        .size:           4
        .value_kind:     by_value
      - .actual_access:  read_only
        .address_space:  global
        .offset:         32
        .size:           8
        .value_kind:     global_buffer
      - .actual_access:  read_only
        .address_space:  global
        .offset:         40
        .size:           8
        .value_kind:     global_buffer
      - .actual_access:  read_only
        .address_space:  global
        .offset:         48
        .size:           8
        .value_kind:     global_buffer
      - .offset:         56
        .size:           4
        .value_kind:     by_value
      - .actual_access:  read_only
        .address_space:  global
        .offset:         64
        .size:           8
        .value_kind:     global_buffer
      - .offset:         72
        .size:           4
        .value_kind:     by_value
      - .offset:         76
        .size:           4
        .value_kind:     by_value
      - .offset:         80
        .size:           4
        .value_kind:     by_value
      - .actual_access:  write_only
        .address_space:  global
        .offset:         88
        .size:           8
        .value_kind:     global_buffer
      - .actual_access:  write_only
        .address_space:  global
        .offset:         96
        .size:           8
        .value_kind:     global_buffer
      - .actual_access:  write_only
        .address_space:  global
        .offset:         104
        .size:           8
        .value_kind:     global_buffer
      - .actual_access:  read_only
        .address_space:  global
        .offset:         112
        .size:           8
        .value_kind:     global_buffer
      - .offset:         120
        .size:           4
        .value_kind:     by_value
      - .address_space:  global
        .offset:         128
        .size:           8
        .value_kind:     global_buffer
      - .address_space:  global
        .offset:         136
        .size:           8
        .value_kind:     global_buffer
      - .offset:         144
        .size:           4
        .value_kind:     hidden_block_count_x
      - .offset:         148
        .size:           4
        .value_kind:     hidden_block_count_y
      - .offset:         152
        .size:           4
        .value_kind:     hidden_block_count_z
      - .offset:         156
        .size:           2
        .value_kind:     hidden_group_size_x
      - .offset:         158
        .size:           2
        .value_kind:     hidden_group_size_y
      - .offset:         160
        .size:           2
        .value_kind:     hidden_group_size_z
      - .offset:         162
        .size:           2
        .value_kind:     hidden_remainder_x
      - .offset:         164
        .size:           2
        .value_kind:     hidden_remainder_y
      - .offset:         166
        .size:           2
        .value_kind:     hidden_remainder_z
      - .offset:         184
        .size:           8
        .value_kind:     hidden_global_offset_x
      - .offset:         192
        .size:           8
        .value_kind:     hidden_global_offset_y
      - .offset:         200
        .size:           8
        .value_kind:     hidden_global_offset_z
      - .offset:         208
        .size:           2
        .value_kind:     hidden_grid_dims
    .group_segment_fixed_size: 17472
    .kernarg_segment_align: 8
    .kernarg_segment_size: 400
    .language:       OpenCL C
    .language_version:
      - 2
      - 0
    .max_flat_workgroup_size: 256
    .name:           _Z39paged_attention_ll4mi_QKV_mfma16_kernelIDF16_hLN4vllm18Fp8KVCacheDataTypeE1EhLi32ELi64ELi256ELb0ELi12EL8MFMAType1EEvPKT_PKT0_S8_ifPKiSA_SA_iPKfiiiPfSD_PS3_PT2_iSC_SC_
    .private_segment_fixed_size: 0
    .sgpr_count:     40
    .sgpr_spill_count: 0
    .symbol:         _Z39paged_attention_ll4mi_QKV_mfma16_kernelIDF16_hLN4vllm18Fp8KVCacheDataTypeE1EhLi32ELi64ELi256ELb0ELi12EL8MFMAType1EEvPKT_PKT0_S8_ifPKiSA_SA_iPKfiiiPfSD_PS3_PT2_iSC_SC_.kd
    .uniform_work_group_size: 1
    .uses_dynamic_stack: false
    .vgpr_count:     146
    .vgpr_spill_count: 0
    .wavefront_size: 32
    .workgroup_processor_mode: 1
  - .args:
      - .actual_access:  read_only
        .address_space:  global
        .offset:         0
        .size:           8
        .value_kind:     global_buffer
      - .actual_access:  read_only
        .address_space:  global
        .offset:         8
        .size:           8
        .value_kind:     global_buffer
      - .actual_access:  read_only
        .address_space:  global
        .offset:         16
        .size:           8
        .value_kind:     global_buffer
      - .offset:         24
        .size:           4
        .value_kind:     by_value
      - .offset:         28
        .size:           4
        .value_kind:     by_value
      - .actual_access:  read_only
        .address_space:  global
        .offset:         32
        .size:           8
        .value_kind:     global_buffer
      - .actual_access:  read_only
        .address_space:  global
        .offset:         40
        .size:           8
        .value_kind:     global_buffer
      - .actual_access:  read_only
        .address_space:  global
        .offset:         48
        .size:           8
        .value_kind:     global_buffer
      - .offset:         56
        .size:           4
        .value_kind:     by_value
      - .actual_access:  read_only
        .address_space:  global
        .offset:         64
        .size:           8
        .value_kind:     global_buffer
      - .offset:         72
        .size:           4
        .value_kind:     by_value
      - .offset:         76
        .size:           4
        .value_kind:     by_value
      - .offset:         80
        .size:           4
        .value_kind:     by_value
      - .actual_access:  write_only
        .address_space:  global
        .offset:         88
        .size:           8
        .value_kind:     global_buffer
      - .actual_access:  write_only
        .address_space:  global
        .offset:         96
        .size:           8
        .value_kind:     global_buffer
      - .actual_access:  write_only
        .address_space:  global
        .offset:         104
        .size:           8
        .value_kind:     global_buffer
      - .actual_access:  read_only
        .address_space:  global
        .offset:         112
        .size:           8
        .value_kind:     global_buffer
      - .offset:         120
        .size:           4
        .value_kind:     by_value
      - .address_space:  global
        .offset:         128
        .size:           8
        .value_kind:     global_buffer
      - .address_space:  global
        .offset:         136
        .size:           8
        .value_kind:     global_buffer
      - .offset:         144
        .size:           4
        .value_kind:     hidden_block_count_x
      - .offset:         148
        .size:           4
        .value_kind:     hidden_block_count_y
      - .offset:         152
        .size:           4
        .value_kind:     hidden_block_count_z
      - .offset:         156
        .size:           2
        .value_kind:     hidden_group_size_x
      - .offset:         158
        .size:           2
        .value_kind:     hidden_group_size_y
      - .offset:         160
        .size:           2
        .value_kind:     hidden_group_size_z
      - .offset:         162
        .size:           2
        .value_kind:     hidden_remainder_x
      - .offset:         164
        .size:           2
        .value_kind:     hidden_remainder_y
      - .offset:         166
        .size:           2
        .value_kind:     hidden_remainder_z
      - .offset:         184
        .size:           8
        .value_kind:     hidden_global_offset_x
      - .offset:         192
        .size:           8
        .value_kind:     hidden_global_offset_y
      - .offset:         200
        .size:           8
        .value_kind:     hidden_global_offset_z
      - .offset:         208
        .size:           2
        .value_kind:     hidden_grid_dims
    .group_segment_fixed_size: 17472
    .kernarg_segment_align: 8
    .kernarg_segment_size: 400
    .language:       OpenCL C
    .language_version:
      - 2
      - 0
    .max_flat_workgroup_size: 256
    .name:           _Z39paged_attention_ll4mi_QKV_mfma16_kernelIDF16_hLN4vllm18Fp8KVCacheDataTypeE1EhLi32ELi64ELi256ELb0ELi13EL8MFMAType1EEvPKT_PKT0_S8_ifPKiSA_SA_iPKfiiiPfSD_PS3_PT2_iSC_SC_
    .private_segment_fixed_size: 0
    .sgpr_count:     39
    .sgpr_spill_count: 0
    .symbol:         _Z39paged_attention_ll4mi_QKV_mfma16_kernelIDF16_hLN4vllm18Fp8KVCacheDataTypeE1EhLi32ELi64ELi256ELb0ELi13EL8MFMAType1EEvPKT_PKT0_S8_ifPKiSA_SA_iPKfiiiPfSD_PS3_PT2_iSC_SC_.kd
    .uniform_work_group_size: 1
    .uses_dynamic_stack: false
    .vgpr_count:     146
    .vgpr_spill_count: 0
    .wavefront_size: 32
    .workgroup_processor_mode: 1
  - .args:
      - .actual_access:  read_only
        .address_space:  global
        .offset:         0
        .size:           8
        .value_kind:     global_buffer
      - .actual_access:  read_only
        .address_space:  global
        .offset:         8
        .size:           8
        .value_kind:     global_buffer
      - .actual_access:  read_only
        .address_space:  global
        .offset:         16
        .size:           8
        .value_kind:     global_buffer
      - .offset:         24
        .size:           4
        .value_kind:     by_value
      - .offset:         28
        .size:           4
        .value_kind:     by_value
      - .actual_access:  read_only
        .address_space:  global
        .offset:         32
        .size:           8
        .value_kind:     global_buffer
      - .actual_access:  read_only
        .address_space:  global
        .offset:         40
        .size:           8
        .value_kind:     global_buffer
      - .actual_access:  read_only
        .address_space:  global
        .offset:         48
        .size:           8
        .value_kind:     global_buffer
      - .offset:         56
        .size:           4
        .value_kind:     by_value
      - .actual_access:  read_only
        .address_space:  global
        .offset:         64
        .size:           8
        .value_kind:     global_buffer
      - .offset:         72
        .size:           4
        .value_kind:     by_value
      - .offset:         76
        .size:           4
        .value_kind:     by_value
      - .offset:         80
        .size:           4
        .value_kind:     by_value
      - .actual_access:  write_only
        .address_space:  global
        .offset:         88
        .size:           8
        .value_kind:     global_buffer
      - .actual_access:  write_only
        .address_space:  global
        .offset:         96
        .size:           8
        .value_kind:     global_buffer
      - .actual_access:  write_only
        .address_space:  global
        .offset:         104
        .size:           8
        .value_kind:     global_buffer
      - .actual_access:  read_only
        .address_space:  global
        .offset:         112
        .size:           8
        .value_kind:     global_buffer
      - .offset:         120
        .size:           4
        .value_kind:     by_value
      - .address_space:  global
        .offset:         128
        .size:           8
        .value_kind:     global_buffer
      - .address_space:  global
        .offset:         136
        .size:           8
        .value_kind:     global_buffer
      - .offset:         144
        .size:           4
        .value_kind:     hidden_block_count_x
      - .offset:         148
        .size:           4
        .value_kind:     hidden_block_count_y
      - .offset:         152
        .size:           4
        .value_kind:     hidden_block_count_z
      - .offset:         156
        .size:           2
        .value_kind:     hidden_group_size_x
      - .offset:         158
        .size:           2
        .value_kind:     hidden_group_size_y
      - .offset:         160
        .size:           2
        .value_kind:     hidden_group_size_z
      - .offset:         162
        .size:           2
        .value_kind:     hidden_remainder_x
      - .offset:         164
        .size:           2
        .value_kind:     hidden_remainder_y
      - .offset:         166
        .size:           2
        .value_kind:     hidden_remainder_z
      - .offset:         184
        .size:           8
        .value_kind:     hidden_global_offset_x
      - .offset:         192
        .size:           8
        .value_kind:     hidden_global_offset_y
      - .offset:         200
        .size:           8
        .value_kind:     hidden_global_offset_z
      - .offset:         208
        .size:           2
        .value_kind:     hidden_grid_dims
    .group_segment_fixed_size: 17472
    .kernarg_segment_align: 8
    .kernarg_segment_size: 400
    .language:       OpenCL C
    .language_version:
      - 2
      - 0
    .max_flat_workgroup_size: 256
    .name:           _Z39paged_attention_ll4mi_QKV_mfma16_kernelIDF16_hLN4vllm18Fp8KVCacheDataTypeE1EhLi32ELi64ELi256ELb0ELi14EL8MFMAType1EEvPKT_PKT0_S8_ifPKiSA_SA_iPKfiiiPfSD_PS3_PT2_iSC_SC_
    .private_segment_fixed_size: 0
    .sgpr_count:     40
    .sgpr_spill_count: 0
    .symbol:         _Z39paged_attention_ll4mi_QKV_mfma16_kernelIDF16_hLN4vllm18Fp8KVCacheDataTypeE1EhLi32ELi64ELi256ELb0ELi14EL8MFMAType1EEvPKT_PKT0_S8_ifPKiSA_SA_iPKfiiiPfSD_PS3_PT2_iSC_SC_.kd
    .uniform_work_group_size: 1
    .uses_dynamic_stack: false
    .vgpr_count:     146
    .vgpr_spill_count: 0
    .wavefront_size: 32
    .workgroup_processor_mode: 1
  - .args:
      - .actual_access:  read_only
        .address_space:  global
        .offset:         0
        .size:           8
        .value_kind:     global_buffer
      - .actual_access:  read_only
        .address_space:  global
        .offset:         8
        .size:           8
        .value_kind:     global_buffer
      - .actual_access:  read_only
        .address_space:  global
        .offset:         16
        .size:           8
        .value_kind:     global_buffer
      - .offset:         24
        .size:           4
        .value_kind:     by_value
      - .offset:         28
        .size:           4
        .value_kind:     by_value
      - .actual_access:  read_only
        .address_space:  global
        .offset:         32
        .size:           8
        .value_kind:     global_buffer
      - .actual_access:  read_only
        .address_space:  global
        .offset:         40
        .size:           8
        .value_kind:     global_buffer
      - .actual_access:  read_only
        .address_space:  global
        .offset:         48
        .size:           8
        .value_kind:     global_buffer
      - .offset:         56
        .size:           4
        .value_kind:     by_value
      - .actual_access:  read_only
        .address_space:  global
        .offset:         64
        .size:           8
        .value_kind:     global_buffer
      - .offset:         72
        .size:           4
        .value_kind:     by_value
      - .offset:         76
        .size:           4
        .value_kind:     by_value
      - .offset:         80
        .size:           4
        .value_kind:     by_value
      - .actual_access:  write_only
        .address_space:  global
        .offset:         88
        .size:           8
        .value_kind:     global_buffer
      - .actual_access:  write_only
        .address_space:  global
        .offset:         96
        .size:           8
        .value_kind:     global_buffer
      - .actual_access:  write_only
        .address_space:  global
        .offset:         104
        .size:           8
        .value_kind:     global_buffer
      - .actual_access:  read_only
        .address_space:  global
        .offset:         112
        .size:           8
        .value_kind:     global_buffer
      - .offset:         120
        .size:           4
        .value_kind:     by_value
      - .address_space:  global
        .offset:         128
        .size:           8
        .value_kind:     global_buffer
      - .address_space:  global
        .offset:         136
        .size:           8
        .value_kind:     global_buffer
      - .offset:         144
        .size:           4
        .value_kind:     hidden_block_count_x
      - .offset:         148
        .size:           4
        .value_kind:     hidden_block_count_y
      - .offset:         152
        .size:           4
        .value_kind:     hidden_block_count_z
      - .offset:         156
        .size:           2
        .value_kind:     hidden_group_size_x
      - .offset:         158
        .size:           2
        .value_kind:     hidden_group_size_y
      - .offset:         160
        .size:           2
        .value_kind:     hidden_group_size_z
      - .offset:         162
        .size:           2
        .value_kind:     hidden_remainder_x
      - .offset:         164
        .size:           2
        .value_kind:     hidden_remainder_y
      - .offset:         166
        .size:           2
        .value_kind:     hidden_remainder_z
      - .offset:         184
        .size:           8
        .value_kind:     hidden_global_offset_x
      - .offset:         192
        .size:           8
        .value_kind:     hidden_global_offset_y
      - .offset:         200
        .size:           8
        .value_kind:     hidden_global_offset_z
      - .offset:         208
        .size:           2
        .value_kind:     hidden_grid_dims
    .group_segment_fixed_size: 17472
    .kernarg_segment_align: 8
    .kernarg_segment_size: 400
    .language:       OpenCL C
    .language_version:
      - 2
      - 0
    .max_flat_workgroup_size: 256
    .name:           _Z39paged_attention_ll4mi_QKV_mfma16_kernelIDF16_hLN4vllm18Fp8KVCacheDataTypeE1EhLi32ELi64ELi256ELb0ELi15EL8MFMAType1EEvPKT_PKT0_S8_ifPKiSA_SA_iPKfiiiPfSD_PS3_PT2_iSC_SC_
    .private_segment_fixed_size: 0
    .sgpr_count:     39
    .sgpr_spill_count: 0
    .symbol:         _Z39paged_attention_ll4mi_QKV_mfma16_kernelIDF16_hLN4vllm18Fp8KVCacheDataTypeE1EhLi32ELi64ELi256ELb0ELi15EL8MFMAType1EEvPKT_PKT0_S8_ifPKiSA_SA_iPKfiiiPfSD_PS3_PT2_iSC_SC_.kd
    .uniform_work_group_size: 1
    .uses_dynamic_stack: false
    .vgpr_count:     146
    .vgpr_spill_count: 0
    .wavefront_size: 32
    .workgroup_processor_mode: 1
  - .args:
      - .actual_access:  read_only
        .address_space:  global
        .offset:         0
        .size:           8
        .value_kind:     global_buffer
      - .actual_access:  read_only
        .address_space:  global
        .offset:         8
        .size:           8
        .value_kind:     global_buffer
      - .actual_access:  read_only
        .address_space:  global
        .offset:         16
        .size:           8
        .value_kind:     global_buffer
      - .offset:         24
        .size:           4
        .value_kind:     by_value
      - .offset:         28
        .size:           4
        .value_kind:     by_value
      - .actual_access:  read_only
        .address_space:  global
        .offset:         32
        .size:           8
        .value_kind:     global_buffer
      - .actual_access:  read_only
        .address_space:  global
        .offset:         40
        .size:           8
        .value_kind:     global_buffer
      - .actual_access:  read_only
        .address_space:  global
        .offset:         48
        .size:           8
        .value_kind:     global_buffer
      - .offset:         56
        .size:           4
        .value_kind:     by_value
      - .actual_access:  read_only
        .address_space:  global
        .offset:         64
        .size:           8
        .value_kind:     global_buffer
      - .offset:         72
        .size:           4
        .value_kind:     by_value
      - .offset:         76
        .size:           4
        .value_kind:     by_value
      - .offset:         80
        .size:           4
        .value_kind:     by_value
      - .actual_access:  write_only
        .address_space:  global
        .offset:         88
        .size:           8
        .value_kind:     global_buffer
      - .actual_access:  write_only
        .address_space:  global
        .offset:         96
        .size:           8
        .value_kind:     global_buffer
      - .actual_access:  write_only
        .address_space:  global
        .offset:         104
        .size:           8
        .value_kind:     global_buffer
      - .actual_access:  read_only
        .address_space:  global
        .offset:         112
        .size:           8
        .value_kind:     global_buffer
      - .offset:         120
        .size:           4
        .value_kind:     by_value
      - .address_space:  global
        .offset:         128
        .size:           8
        .value_kind:     global_buffer
      - .address_space:  global
        .offset:         136
        .size:           8
        .value_kind:     global_buffer
      - .offset:         144
        .size:           4
        .value_kind:     hidden_block_count_x
      - .offset:         148
        .size:           4
        .value_kind:     hidden_block_count_y
      - .offset:         152
        .size:           4
        .value_kind:     hidden_block_count_z
      - .offset:         156
        .size:           2
        .value_kind:     hidden_group_size_x
      - .offset:         158
        .size:           2
        .value_kind:     hidden_group_size_y
      - .offset:         160
        .size:           2
        .value_kind:     hidden_group_size_z
      - .offset:         162
        .size:           2
        .value_kind:     hidden_remainder_x
      - .offset:         164
        .size:           2
        .value_kind:     hidden_remainder_y
      - .offset:         166
        .size:           2
        .value_kind:     hidden_remainder_z
      - .offset:         184
        .size:           8
        .value_kind:     hidden_global_offset_x
      - .offset:         192
        .size:           8
        .value_kind:     hidden_global_offset_y
      - .offset:         200
        .size:           8
        .value_kind:     hidden_global_offset_z
      - .offset:         208
        .size:           2
        .value_kind:     hidden_grid_dims
    .group_segment_fixed_size: 17472
    .kernarg_segment_align: 8
    .kernarg_segment_size: 400
    .language:       OpenCL C
    .language_version:
      - 2
      - 0
    .max_flat_workgroup_size: 256
    .name:           _Z39paged_attention_ll4mi_QKV_mfma16_kernelIDF16_hLN4vllm18Fp8KVCacheDataTypeE1EhLi32ELi64ELi256ELb0ELi16EL8MFMAType1EEvPKT_PKT0_S8_ifPKiSA_SA_iPKfiiiPfSD_PS3_PT2_iSC_SC_
    .private_segment_fixed_size: 0
    .sgpr_count:     44
    .sgpr_spill_count: 0
    .symbol:         _Z39paged_attention_ll4mi_QKV_mfma16_kernelIDF16_hLN4vllm18Fp8KVCacheDataTypeE1EhLi32ELi64ELi256ELb0ELi16EL8MFMAType1EEvPKT_PKT0_S8_ifPKiSA_SA_iPKfiiiPfSD_PS3_PT2_iSC_SC_.kd
    .uniform_work_group_size: 1
    .uses_dynamic_stack: false
    .vgpr_count:     123
    .vgpr_spill_count: 0
    .wavefront_size: 32
    .workgroup_processor_mode: 1
  - .args:
      - .actual_access:  read_only
        .address_space:  global
        .offset:         0
        .size:           8
        .value_kind:     global_buffer
      - .actual_access:  read_only
        .address_space:  global
        .offset:         8
        .size:           8
        .value_kind:     global_buffer
      - .actual_access:  read_only
        .address_space:  global
        .offset:         16
        .size:           8
        .value_kind:     global_buffer
      - .offset:         24
        .size:           4
        .value_kind:     by_value
      - .offset:         28
        .size:           4
        .value_kind:     by_value
      - .actual_access:  read_only
        .address_space:  global
        .offset:         32
        .size:           8
        .value_kind:     global_buffer
      - .actual_access:  read_only
        .address_space:  global
        .offset:         40
        .size:           8
        .value_kind:     global_buffer
      - .actual_access:  read_only
        .address_space:  global
        .offset:         48
        .size:           8
        .value_kind:     global_buffer
      - .offset:         56
        .size:           4
        .value_kind:     by_value
      - .actual_access:  read_only
        .address_space:  global
        .offset:         64
        .size:           8
        .value_kind:     global_buffer
      - .offset:         72
        .size:           4
        .value_kind:     by_value
      - .offset:         76
        .size:           4
        .value_kind:     by_value
      - .offset:         80
        .size:           4
        .value_kind:     by_value
      - .actual_access:  write_only
        .address_space:  global
        .offset:         88
        .size:           8
        .value_kind:     global_buffer
      - .actual_access:  write_only
        .address_space:  global
        .offset:         96
        .size:           8
        .value_kind:     global_buffer
      - .actual_access:  write_only
        .address_space:  global
        .offset:         104
        .size:           8
        .value_kind:     global_buffer
      - .actual_access:  read_only
        .address_space:  global
        .offset:         112
        .size:           8
        .value_kind:     global_buffer
      - .offset:         120
        .size:           4
        .value_kind:     by_value
      - .address_space:  global
        .offset:         128
        .size:           8
        .value_kind:     global_buffer
      - .address_space:  global
        .offset:         136
        .size:           8
        .value_kind:     global_buffer
      - .offset:         144
        .size:           4
        .value_kind:     hidden_block_count_x
      - .offset:         148
        .size:           4
        .value_kind:     hidden_block_count_y
      - .offset:         152
        .size:           4
        .value_kind:     hidden_block_count_z
      - .offset:         156
        .size:           2
        .value_kind:     hidden_group_size_x
      - .offset:         158
        .size:           2
        .value_kind:     hidden_group_size_y
      - .offset:         160
        .size:           2
        .value_kind:     hidden_group_size_z
      - .offset:         162
        .size:           2
        .value_kind:     hidden_remainder_x
      - .offset:         164
        .size:           2
        .value_kind:     hidden_remainder_y
      - .offset:         166
        .size:           2
        .value_kind:     hidden_remainder_z
      - .offset:         184
        .size:           8
        .value_kind:     hidden_global_offset_x
      - .offset:         192
        .size:           8
        .value_kind:     hidden_global_offset_y
      - .offset:         200
        .size:           8
        .value_kind:     hidden_global_offset_z
      - .offset:         208
        .size:           2
        .value_kind:     hidden_grid_dims
    .group_segment_fixed_size: 17472
    .kernarg_segment_align: 8
    .kernarg_segment_size: 400
    .language:       OpenCL C
    .language_version:
      - 2
      - 0
    .max_flat_workgroup_size: 256
    .name:           _Z39paged_attention_ll4mi_QKV_mfma16_kernelIDF16_hLN4vllm18Fp8KVCacheDataTypeE1EhLi32ELi64ELi256ELb0ELi1EL8MFMAType1EEvPKT_PKT0_S8_ifPKiSA_SA_iPKfiiiPfSD_PS3_PT2_iSC_SC_
    .private_segment_fixed_size: 0
    .sgpr_count:     52
    .sgpr_spill_count: 0
    .symbol:         _Z39paged_attention_ll4mi_QKV_mfma16_kernelIDF16_hLN4vllm18Fp8KVCacheDataTypeE1EhLi32ELi64ELi256ELb0ELi1EL8MFMAType1EEvPKT_PKT0_S8_ifPKiSA_SA_iPKfiiiPfSD_PS3_PT2_iSC_SC_.kd
    .uniform_work_group_size: 1
    .uses_dynamic_stack: false
    .vgpr_count:     144
    .vgpr_spill_count: 0
    .wavefront_size: 32
    .workgroup_processor_mode: 1
  - .args:
      - .actual_access:  read_only
        .address_space:  global
        .offset:         0
        .size:           8
        .value_kind:     global_buffer
      - .actual_access:  read_only
        .address_space:  global
        .offset:         8
        .size:           8
        .value_kind:     global_buffer
      - .actual_access:  read_only
        .address_space:  global
        .offset:         16
        .size:           8
        .value_kind:     global_buffer
      - .offset:         24
        .size:           4
        .value_kind:     by_value
      - .offset:         28
        .size:           4
        .value_kind:     by_value
      - .actual_access:  read_only
        .address_space:  global
        .offset:         32
        .size:           8
        .value_kind:     global_buffer
      - .actual_access:  read_only
        .address_space:  global
        .offset:         40
        .size:           8
        .value_kind:     global_buffer
      - .actual_access:  read_only
        .address_space:  global
        .offset:         48
        .size:           8
        .value_kind:     global_buffer
      - .offset:         56
        .size:           4
        .value_kind:     by_value
      - .actual_access:  read_only
        .address_space:  global
        .offset:         64
        .size:           8
        .value_kind:     global_buffer
      - .offset:         72
        .size:           4
        .value_kind:     by_value
      - .offset:         76
        .size:           4
        .value_kind:     by_value
      - .offset:         80
        .size:           4
        .value_kind:     by_value
      - .actual_access:  write_only
        .address_space:  global
        .offset:         88
        .size:           8
        .value_kind:     global_buffer
      - .actual_access:  write_only
        .address_space:  global
        .offset:         96
        .size:           8
        .value_kind:     global_buffer
      - .actual_access:  write_only
        .address_space:  global
        .offset:         104
        .size:           8
        .value_kind:     global_buffer
      - .actual_access:  read_only
        .address_space:  global
        .offset:         112
        .size:           8
        .value_kind:     global_buffer
      - .offset:         120
        .size:           4
        .value_kind:     by_value
      - .address_space:  global
        .offset:         128
        .size:           8
        .value_kind:     global_buffer
      - .address_space:  global
        .offset:         136
        .size:           8
        .value_kind:     global_buffer
      - .offset:         144
        .size:           4
        .value_kind:     hidden_block_count_x
      - .offset:         148
        .size:           4
        .value_kind:     hidden_block_count_y
      - .offset:         152
        .size:           4
        .value_kind:     hidden_block_count_z
      - .offset:         156
        .size:           2
        .value_kind:     hidden_group_size_x
      - .offset:         158
        .size:           2
        .value_kind:     hidden_group_size_y
      - .offset:         160
        .size:           2
        .value_kind:     hidden_group_size_z
      - .offset:         162
        .size:           2
        .value_kind:     hidden_remainder_x
      - .offset:         164
        .size:           2
        .value_kind:     hidden_remainder_y
      - .offset:         166
        .size:           2
        .value_kind:     hidden_remainder_z
      - .offset:         184
        .size:           8
        .value_kind:     hidden_global_offset_x
      - .offset:         192
        .size:           8
        .value_kind:     hidden_global_offset_y
      - .offset:         200
        .size:           8
        .value_kind:     hidden_global_offset_z
      - .offset:         208
        .size:           2
        .value_kind:     hidden_grid_dims
    .group_segment_fixed_size: 17472
    .kernarg_segment_align: 8
    .kernarg_segment_size: 400
    .language:       OpenCL C
    .language_version:
      - 2
      - 0
    .max_flat_workgroup_size: 256
    .name:           _Z39paged_attention_ll4mi_QKV_mfma16_kernelIDF16_hLN4vllm18Fp8KVCacheDataTypeE1EhLi32ELi64ELi256ELb0ELi2EL8MFMAType1EEvPKT_PKT0_S8_ifPKiSA_SA_iPKfiiiPfSD_PS3_PT2_iSC_SC_
    .private_segment_fixed_size: 0
    .sgpr_count:     40
    .sgpr_spill_count: 0
    .symbol:         _Z39paged_attention_ll4mi_QKV_mfma16_kernelIDF16_hLN4vllm18Fp8KVCacheDataTypeE1EhLi32ELi64ELi256ELb0ELi2EL8MFMAType1EEvPKT_PKT0_S8_ifPKiSA_SA_iPKfiiiPfSD_PS3_PT2_iSC_SC_.kd
    .uniform_work_group_size: 1
    .uses_dynamic_stack: false
    .vgpr_count:     148
    .vgpr_spill_count: 0
    .wavefront_size: 32
    .workgroup_processor_mode: 1
  - .args:
      - .actual_access:  read_only
        .address_space:  global
        .offset:         0
        .size:           8
        .value_kind:     global_buffer
      - .actual_access:  read_only
        .address_space:  global
        .offset:         8
        .size:           8
        .value_kind:     global_buffer
      - .actual_access:  read_only
        .address_space:  global
        .offset:         16
        .size:           8
        .value_kind:     global_buffer
      - .offset:         24
        .size:           4
        .value_kind:     by_value
      - .offset:         28
        .size:           4
        .value_kind:     by_value
      - .actual_access:  read_only
        .address_space:  global
        .offset:         32
        .size:           8
        .value_kind:     global_buffer
      - .actual_access:  read_only
        .address_space:  global
        .offset:         40
        .size:           8
        .value_kind:     global_buffer
      - .actual_access:  read_only
        .address_space:  global
        .offset:         48
        .size:           8
        .value_kind:     global_buffer
      - .offset:         56
        .size:           4
        .value_kind:     by_value
      - .actual_access:  read_only
        .address_space:  global
        .offset:         64
        .size:           8
        .value_kind:     global_buffer
      - .offset:         72
        .size:           4
        .value_kind:     by_value
      - .offset:         76
        .size:           4
        .value_kind:     by_value
      - .offset:         80
        .size:           4
        .value_kind:     by_value
      - .actual_access:  write_only
        .address_space:  global
        .offset:         88
        .size:           8
        .value_kind:     global_buffer
      - .actual_access:  write_only
        .address_space:  global
        .offset:         96
        .size:           8
        .value_kind:     global_buffer
      - .actual_access:  write_only
        .address_space:  global
        .offset:         104
        .size:           8
        .value_kind:     global_buffer
      - .actual_access:  read_only
        .address_space:  global
        .offset:         112
        .size:           8
        .value_kind:     global_buffer
      - .offset:         120
        .size:           4
        .value_kind:     by_value
      - .address_space:  global
        .offset:         128
        .size:           8
        .value_kind:     global_buffer
      - .address_space:  global
        .offset:         136
        .size:           8
        .value_kind:     global_buffer
      - .offset:         144
        .size:           4
        .value_kind:     hidden_block_count_x
      - .offset:         148
        .size:           4
        .value_kind:     hidden_block_count_y
      - .offset:         152
        .size:           4
        .value_kind:     hidden_block_count_z
      - .offset:         156
        .size:           2
        .value_kind:     hidden_group_size_x
      - .offset:         158
        .size:           2
        .value_kind:     hidden_group_size_y
      - .offset:         160
        .size:           2
        .value_kind:     hidden_group_size_z
      - .offset:         162
        .size:           2
        .value_kind:     hidden_remainder_x
      - .offset:         164
        .size:           2
        .value_kind:     hidden_remainder_y
      - .offset:         166
        .size:           2
        .value_kind:     hidden_remainder_z
      - .offset:         184
        .size:           8
        .value_kind:     hidden_global_offset_x
      - .offset:         192
        .size:           8
        .value_kind:     hidden_global_offset_y
      - .offset:         200
        .size:           8
        .value_kind:     hidden_global_offset_z
      - .offset:         208
        .size:           2
        .value_kind:     hidden_grid_dims
    .group_segment_fixed_size: 17472
    .kernarg_segment_align: 8
    .kernarg_segment_size: 400
    .language:       OpenCL C
    .language_version:
      - 2
      - 0
    .max_flat_workgroup_size: 256
    .name:           _Z39paged_attention_ll4mi_QKV_mfma16_kernelIDF16_hLN4vllm18Fp8KVCacheDataTypeE1EhLi32ELi64ELi256ELb0ELi3EL8MFMAType1EEvPKT_PKT0_S8_ifPKiSA_SA_iPKfiiiPfSD_PS3_PT2_iSC_SC_
    .private_segment_fixed_size: 0
    .sgpr_count:     39
    .sgpr_spill_count: 0
    .symbol:         _Z39paged_attention_ll4mi_QKV_mfma16_kernelIDF16_hLN4vllm18Fp8KVCacheDataTypeE1EhLi32ELi64ELi256ELb0ELi3EL8MFMAType1EEvPKT_PKT0_S8_ifPKiSA_SA_iPKfiiiPfSD_PS3_PT2_iSC_SC_.kd
    .uniform_work_group_size: 1
    .uses_dynamic_stack: false
    .vgpr_count:     146
    .vgpr_spill_count: 0
    .wavefront_size: 32
    .workgroup_processor_mode: 1
  - .args:
      - .actual_access:  read_only
        .address_space:  global
        .offset:         0
        .size:           8
        .value_kind:     global_buffer
      - .actual_access:  read_only
        .address_space:  global
        .offset:         8
        .size:           8
        .value_kind:     global_buffer
      - .actual_access:  read_only
        .address_space:  global
        .offset:         16
        .size:           8
        .value_kind:     global_buffer
      - .offset:         24
        .size:           4
        .value_kind:     by_value
      - .offset:         28
        .size:           4
        .value_kind:     by_value
      - .actual_access:  read_only
        .address_space:  global
        .offset:         32
        .size:           8
        .value_kind:     global_buffer
      - .actual_access:  read_only
        .address_space:  global
        .offset:         40
        .size:           8
        .value_kind:     global_buffer
      - .actual_access:  read_only
        .address_space:  global
        .offset:         48
        .size:           8
        .value_kind:     global_buffer
      - .offset:         56
        .size:           4
        .value_kind:     by_value
      - .actual_access:  read_only
        .address_space:  global
        .offset:         64
        .size:           8
        .value_kind:     global_buffer
      - .offset:         72
        .size:           4
        .value_kind:     by_value
      - .offset:         76
        .size:           4
        .value_kind:     by_value
      - .offset:         80
        .size:           4
        .value_kind:     by_value
      - .actual_access:  write_only
        .address_space:  global
        .offset:         88
        .size:           8
        .value_kind:     global_buffer
      - .actual_access:  write_only
        .address_space:  global
        .offset:         96
        .size:           8
        .value_kind:     global_buffer
      - .actual_access:  write_only
        .address_space:  global
        .offset:         104
        .size:           8
        .value_kind:     global_buffer
      - .actual_access:  read_only
        .address_space:  global
        .offset:         112
        .size:           8
        .value_kind:     global_buffer
      - .offset:         120
        .size:           4
        .value_kind:     by_value
      - .address_space:  global
        .offset:         128
        .size:           8
        .value_kind:     global_buffer
      - .address_space:  global
        .offset:         136
        .size:           8
        .value_kind:     global_buffer
      - .offset:         144
        .size:           4
        .value_kind:     hidden_block_count_x
      - .offset:         148
        .size:           4
        .value_kind:     hidden_block_count_y
      - .offset:         152
        .size:           4
        .value_kind:     hidden_block_count_z
      - .offset:         156
        .size:           2
        .value_kind:     hidden_group_size_x
      - .offset:         158
        .size:           2
        .value_kind:     hidden_group_size_y
      - .offset:         160
        .size:           2
        .value_kind:     hidden_group_size_z
      - .offset:         162
        .size:           2
        .value_kind:     hidden_remainder_x
      - .offset:         164
        .size:           2
        .value_kind:     hidden_remainder_y
      - .offset:         166
        .size:           2
        .value_kind:     hidden_remainder_z
      - .offset:         184
        .size:           8
        .value_kind:     hidden_global_offset_x
      - .offset:         192
        .size:           8
        .value_kind:     hidden_global_offset_y
      - .offset:         200
        .size:           8
        .value_kind:     hidden_global_offset_z
      - .offset:         208
        .size:           2
        .value_kind:     hidden_grid_dims
    .group_segment_fixed_size: 17472
    .kernarg_segment_align: 8
    .kernarg_segment_size: 400
    .language:       OpenCL C
    .language_version:
      - 2
      - 0
    .max_flat_workgroup_size: 256
    .name:           _Z39paged_attention_ll4mi_QKV_mfma16_kernelIDF16_hLN4vllm18Fp8KVCacheDataTypeE1EhLi32ELi64ELi256ELb0ELi4EL8MFMAType1EEvPKT_PKT0_S8_ifPKiSA_SA_iPKfiiiPfSD_PS3_PT2_iSC_SC_
    .private_segment_fixed_size: 0
    .sgpr_count:     44
    .sgpr_spill_count: 0
    .symbol:         _Z39paged_attention_ll4mi_QKV_mfma16_kernelIDF16_hLN4vllm18Fp8KVCacheDataTypeE1EhLi32ELi64ELi256ELb0ELi4EL8MFMAType1EEvPKT_PKT0_S8_ifPKiSA_SA_iPKfiiiPfSD_PS3_PT2_iSC_SC_.kd
    .uniform_work_group_size: 1
    .uses_dynamic_stack: false
    .vgpr_count:     123
    .vgpr_spill_count: 0
    .wavefront_size: 32
    .workgroup_processor_mode: 1
  - .args:
      - .actual_access:  read_only
        .address_space:  global
        .offset:         0
        .size:           8
        .value_kind:     global_buffer
      - .actual_access:  read_only
        .address_space:  global
        .offset:         8
        .size:           8
        .value_kind:     global_buffer
      - .actual_access:  read_only
        .address_space:  global
        .offset:         16
        .size:           8
        .value_kind:     global_buffer
      - .offset:         24
        .size:           4
        .value_kind:     by_value
      - .offset:         28
        .size:           4
        .value_kind:     by_value
      - .actual_access:  read_only
        .address_space:  global
        .offset:         32
        .size:           8
        .value_kind:     global_buffer
      - .actual_access:  read_only
        .address_space:  global
        .offset:         40
        .size:           8
        .value_kind:     global_buffer
      - .actual_access:  read_only
        .address_space:  global
        .offset:         48
        .size:           8
        .value_kind:     global_buffer
      - .offset:         56
        .size:           4
        .value_kind:     by_value
      - .actual_access:  read_only
        .address_space:  global
        .offset:         64
        .size:           8
        .value_kind:     global_buffer
      - .offset:         72
        .size:           4
        .value_kind:     by_value
      - .offset:         76
        .size:           4
        .value_kind:     by_value
      - .offset:         80
        .size:           4
        .value_kind:     by_value
      - .actual_access:  read_only
        .address_space:  global
        .offset:         88
        .size:           8
        .value_kind:     global_buffer
      - .actual_access:  read_only
        .address_space:  global
        .offset:         96
        .size:           8
        .value_kind:     global_buffer
      - .actual_access:  read_only
        .address_space:  global
        .offset:         104
        .size:           8
        .value_kind:     global_buffer
      - .actual_access:  read_only
        .address_space:  global
        .offset:         112
        .size:           8
        .value_kind:     global_buffer
      - .offset:         120
        .size:           4
        .value_kind:     by_value
      - .address_space:  global
        .offset:         128
        .size:           8
        .value_kind:     global_buffer
      - .address_space:  global
        .offset:         136
        .size:           8
        .value_kind:     global_buffer
      - .offset:         144
        .size:           4
        .value_kind:     hidden_block_count_x
      - .offset:         148
        .size:           4
        .value_kind:     hidden_block_count_y
      - .offset:         152
        .size:           4
        .value_kind:     hidden_block_count_z
      - .offset:         156
        .size:           2
        .value_kind:     hidden_group_size_x
      - .offset:         158
        .size:           2
        .value_kind:     hidden_group_size_y
      - .offset:         160
        .size:           2
        .value_kind:     hidden_group_size_z
      - .offset:         162
        .size:           2
        .value_kind:     hidden_remainder_x
      - .offset:         164
        .size:           2
        .value_kind:     hidden_remainder_y
      - .offset:         166
        .size:           2
        .value_kind:     hidden_remainder_z
      - .offset:         184
        .size:           8
        .value_kind:     hidden_global_offset_x
      - .offset:         192
        .size:           8
        .value_kind:     hidden_global_offset_y
      - .offset:         200
        .size:           8
        .value_kind:     hidden_global_offset_z
      - .offset:         208
        .size:           2
        .value_kind:     hidden_grid_dims
      - .offset:         224
        .size:           8
        .value_kind:     hidden_hostcall_buffer
    .group_segment_fixed_size: 0
    .kernarg_segment_align: 8
    .kernarg_segment_size: 400
    .language:       OpenCL C
    .language_version:
      - 2
      - 0
    .max_flat_workgroup_size: 256
    .name:           _Z38paged_attention_ll4mi_QKV_mfma4_kernelIDF16_hLN4vllm18Fp8KVCacheDataTypeE1EDF16_Li32ELi64ELi256ELb1ELi1EEvPKT_PKT0_S7_ifPKiS9_S9_iPKfiiiPfSC_PS2_PT2_iSB_SB_
    .private_segment_fixed_size: 64
    .sgpr_count:     36
    .sgpr_spill_count: 0
    .symbol:         _Z38paged_attention_ll4mi_QKV_mfma4_kernelIDF16_hLN4vllm18Fp8KVCacheDataTypeE1EDF16_Li32ELi64ELi256ELb1ELi1EEvPKT_PKT0_S7_ifPKiS9_S9_iPKfiiiPfSC_PS2_PT2_iSB_SB_.kd
    .uniform_work_group_size: 1
    .uses_dynamic_stack: false
    .vgpr_count:     41
    .vgpr_spill_count: 0
    .wavefront_size: 32
    .workgroup_processor_mode: 1
  - .args:
      - .actual_access:  read_only
        .address_space:  global
        .offset:         0
        .size:           8
        .value_kind:     global_buffer
      - .actual_access:  read_only
        .address_space:  global
        .offset:         8
        .size:           8
        .value_kind:     global_buffer
      - .actual_access:  read_only
        .address_space:  global
        .offset:         16
        .size:           8
        .value_kind:     global_buffer
      - .offset:         24
        .size:           4
        .value_kind:     by_value
      - .offset:         28
        .size:           4
        .value_kind:     by_value
      - .actual_access:  read_only
        .address_space:  global
        .offset:         32
        .size:           8
        .value_kind:     global_buffer
      - .actual_access:  read_only
        .address_space:  global
        .offset:         40
        .size:           8
        .value_kind:     global_buffer
      - .actual_access:  read_only
        .address_space:  global
        .offset:         48
        .size:           8
        .value_kind:     global_buffer
      - .offset:         56
        .size:           4
        .value_kind:     by_value
      - .actual_access:  read_only
        .address_space:  global
        .offset:         64
        .size:           8
        .value_kind:     global_buffer
      - .offset:         72
        .size:           4
        .value_kind:     by_value
      - .offset:         76
        .size:           4
        .value_kind:     by_value
      - .offset:         80
        .size:           4
        .value_kind:     by_value
      - .actual_access:  read_only
        .address_space:  global
        .offset:         88
        .size:           8
        .value_kind:     global_buffer
      - .actual_access:  read_only
        .address_space:  global
        .offset:         96
        .size:           8
        .value_kind:     global_buffer
      - .actual_access:  read_only
        .address_space:  global
        .offset:         104
        .size:           8
        .value_kind:     global_buffer
      - .actual_access:  read_only
        .address_space:  global
        .offset:         112
        .size:           8
        .value_kind:     global_buffer
      - .offset:         120
        .size:           4
        .value_kind:     by_value
      - .address_space:  global
        .offset:         128
        .size:           8
        .value_kind:     global_buffer
      - .address_space:  global
        .offset:         136
        .size:           8
        .value_kind:     global_buffer
      - .offset:         144
        .size:           4
        .value_kind:     hidden_block_count_x
      - .offset:         148
        .size:           4
        .value_kind:     hidden_block_count_y
      - .offset:         152
        .size:           4
        .value_kind:     hidden_block_count_z
      - .offset:         156
        .size:           2
        .value_kind:     hidden_group_size_x
      - .offset:         158
        .size:           2
        .value_kind:     hidden_group_size_y
      - .offset:         160
        .size:           2
        .value_kind:     hidden_group_size_z
      - .offset:         162
        .size:           2
        .value_kind:     hidden_remainder_x
      - .offset:         164
        .size:           2
        .value_kind:     hidden_remainder_y
      - .offset:         166
        .size:           2
        .value_kind:     hidden_remainder_z
      - .offset:         184
        .size:           8
        .value_kind:     hidden_global_offset_x
      - .offset:         192
        .size:           8
        .value_kind:     hidden_global_offset_y
      - .offset:         200
        .size:           8
        .value_kind:     hidden_global_offset_z
      - .offset:         208
        .size:           2
        .value_kind:     hidden_grid_dims
      - .offset:         224
        .size:           8
        .value_kind:     hidden_hostcall_buffer
    .group_segment_fixed_size: 0
    .kernarg_segment_align: 8
    .kernarg_segment_size: 400
    .language:       OpenCL C
    .language_version:
      - 2
      - 0
    .max_flat_workgroup_size: 256
    .name:           _Z38paged_attention_ll4mi_QKV_mfma4_kernelIDF16_hLN4vllm18Fp8KVCacheDataTypeE1EDF16_Li32ELi64ELi256ELb1ELi2EEvPKT_PKT0_S7_ifPKiS9_S9_iPKfiiiPfSC_PS2_PT2_iSB_SB_
    .private_segment_fixed_size: 64
    .sgpr_count:     36
    .sgpr_spill_count: 0
    .symbol:         _Z38paged_attention_ll4mi_QKV_mfma4_kernelIDF16_hLN4vllm18Fp8KVCacheDataTypeE1EDF16_Li32ELi64ELi256ELb1ELi2EEvPKT_PKT0_S7_ifPKiS9_S9_iPKfiiiPfSC_PS2_PT2_iSB_SB_.kd
    .uniform_work_group_size: 1
    .uses_dynamic_stack: false
    .vgpr_count:     41
    .vgpr_spill_count: 0
    .wavefront_size: 32
    .workgroup_processor_mode: 1
  - .args:
      - .actual_access:  read_only
        .address_space:  global
        .offset:         0
        .size:           8
        .value_kind:     global_buffer
      - .actual_access:  read_only
        .address_space:  global
        .offset:         8
        .size:           8
        .value_kind:     global_buffer
      - .actual_access:  read_only
        .address_space:  global
        .offset:         16
        .size:           8
        .value_kind:     global_buffer
      - .offset:         24
        .size:           4
        .value_kind:     by_value
      - .offset:         28
        .size:           4
        .value_kind:     by_value
      - .actual_access:  read_only
        .address_space:  global
        .offset:         32
        .size:           8
        .value_kind:     global_buffer
      - .actual_access:  read_only
        .address_space:  global
        .offset:         40
        .size:           8
        .value_kind:     global_buffer
      - .actual_access:  read_only
        .address_space:  global
        .offset:         48
        .size:           8
        .value_kind:     global_buffer
      - .offset:         56
        .size:           4
        .value_kind:     by_value
      - .actual_access:  read_only
        .address_space:  global
        .offset:         64
        .size:           8
        .value_kind:     global_buffer
      - .offset:         72
        .size:           4
        .value_kind:     by_value
      - .offset:         76
        .size:           4
        .value_kind:     by_value
      - .offset:         80
        .size:           4
        .value_kind:     by_value
      - .actual_access:  read_only
        .address_space:  global
        .offset:         88
        .size:           8
        .value_kind:     global_buffer
      - .actual_access:  read_only
        .address_space:  global
        .offset:         96
        .size:           8
        .value_kind:     global_buffer
      - .actual_access:  read_only
        .address_space:  global
        .offset:         104
        .size:           8
        .value_kind:     global_buffer
      - .actual_access:  read_only
        .address_space:  global
        .offset:         112
        .size:           8
        .value_kind:     global_buffer
      - .offset:         120
        .size:           4
        .value_kind:     by_value
      - .address_space:  global
        .offset:         128
        .size:           8
        .value_kind:     global_buffer
      - .address_space:  global
        .offset:         136
        .size:           8
        .value_kind:     global_buffer
      - .offset:         144
        .size:           4
        .value_kind:     hidden_block_count_x
      - .offset:         148
        .size:           4
        .value_kind:     hidden_block_count_y
      - .offset:         152
        .size:           4
        .value_kind:     hidden_block_count_z
      - .offset:         156
        .size:           2
        .value_kind:     hidden_group_size_x
      - .offset:         158
        .size:           2
        .value_kind:     hidden_group_size_y
      - .offset:         160
        .size:           2
        .value_kind:     hidden_group_size_z
      - .offset:         162
        .size:           2
        .value_kind:     hidden_remainder_x
      - .offset:         164
        .size:           2
        .value_kind:     hidden_remainder_y
      - .offset:         166
        .size:           2
        .value_kind:     hidden_remainder_z
      - .offset:         184
        .size:           8
        .value_kind:     hidden_global_offset_x
      - .offset:         192
        .size:           8
        .value_kind:     hidden_global_offset_y
      - .offset:         200
        .size:           8
        .value_kind:     hidden_global_offset_z
      - .offset:         208
        .size:           2
        .value_kind:     hidden_grid_dims
      - .offset:         224
        .size:           8
        .value_kind:     hidden_hostcall_buffer
    .group_segment_fixed_size: 0
    .kernarg_segment_align: 8
    .kernarg_segment_size: 400
    .language:       OpenCL C
    .language_version:
      - 2
      - 0
    .max_flat_workgroup_size: 256
    .name:           _Z38paged_attention_ll4mi_QKV_mfma4_kernelIDF16_hLN4vllm18Fp8KVCacheDataTypeE1EDF16_Li32ELi64ELi256ELb1ELi3EEvPKT_PKT0_S7_ifPKiS9_S9_iPKfiiiPfSC_PS2_PT2_iSB_SB_
    .private_segment_fixed_size: 64
    .sgpr_count:     36
    .sgpr_spill_count: 0
    .symbol:         _Z38paged_attention_ll4mi_QKV_mfma4_kernelIDF16_hLN4vllm18Fp8KVCacheDataTypeE1EDF16_Li32ELi64ELi256ELb1ELi3EEvPKT_PKT0_S7_ifPKiS9_S9_iPKfiiiPfSC_PS2_PT2_iSB_SB_.kd
    .uniform_work_group_size: 1
    .uses_dynamic_stack: false
    .vgpr_count:     41
    .vgpr_spill_count: 0
    .wavefront_size: 32
    .workgroup_processor_mode: 1
  - .args:
      - .actual_access:  read_only
        .address_space:  global
        .offset:         0
        .size:           8
        .value_kind:     global_buffer
      - .actual_access:  read_only
        .address_space:  global
        .offset:         8
        .size:           8
        .value_kind:     global_buffer
      - .actual_access:  read_only
        .address_space:  global
        .offset:         16
        .size:           8
        .value_kind:     global_buffer
      - .offset:         24
        .size:           4
        .value_kind:     by_value
      - .offset:         28
        .size:           4
        .value_kind:     by_value
      - .actual_access:  read_only
        .address_space:  global
        .offset:         32
        .size:           8
        .value_kind:     global_buffer
      - .actual_access:  read_only
        .address_space:  global
        .offset:         40
        .size:           8
        .value_kind:     global_buffer
      - .actual_access:  read_only
        .address_space:  global
        .offset:         48
        .size:           8
        .value_kind:     global_buffer
      - .offset:         56
        .size:           4
        .value_kind:     by_value
      - .actual_access:  read_only
        .address_space:  global
        .offset:         64
        .size:           8
        .value_kind:     global_buffer
      - .offset:         72
        .size:           4
        .value_kind:     by_value
      - .offset:         76
        .size:           4
        .value_kind:     by_value
      - .offset:         80
        .size:           4
        .value_kind:     by_value
      - .actual_access:  read_only
        .address_space:  global
        .offset:         88
        .size:           8
        .value_kind:     global_buffer
      - .actual_access:  read_only
        .address_space:  global
        .offset:         96
        .size:           8
        .value_kind:     global_buffer
      - .actual_access:  read_only
        .address_space:  global
        .offset:         104
        .size:           8
        .value_kind:     global_buffer
      - .actual_access:  read_only
        .address_space:  global
        .offset:         112
        .size:           8
        .value_kind:     global_buffer
      - .offset:         120
        .size:           4
        .value_kind:     by_value
      - .address_space:  global
        .offset:         128
        .size:           8
        .value_kind:     global_buffer
      - .address_space:  global
        .offset:         136
        .size:           8
        .value_kind:     global_buffer
      - .offset:         144
        .size:           4
        .value_kind:     hidden_block_count_x
      - .offset:         148
        .size:           4
        .value_kind:     hidden_block_count_y
      - .offset:         152
        .size:           4
        .value_kind:     hidden_block_count_z
      - .offset:         156
        .size:           2
        .value_kind:     hidden_group_size_x
      - .offset:         158
        .size:           2
        .value_kind:     hidden_group_size_y
      - .offset:         160
        .size:           2
        .value_kind:     hidden_group_size_z
      - .offset:         162
        .size:           2
        .value_kind:     hidden_remainder_x
      - .offset:         164
        .size:           2
        .value_kind:     hidden_remainder_y
      - .offset:         166
        .size:           2
        .value_kind:     hidden_remainder_z
      - .offset:         184
        .size:           8
        .value_kind:     hidden_global_offset_x
      - .offset:         192
        .size:           8
        .value_kind:     hidden_global_offset_y
      - .offset:         200
        .size:           8
        .value_kind:     hidden_global_offset_z
      - .offset:         208
        .size:           2
        .value_kind:     hidden_grid_dims
      - .offset:         224
        .size:           8
        .value_kind:     hidden_hostcall_buffer
    .group_segment_fixed_size: 0
    .kernarg_segment_align: 8
    .kernarg_segment_size: 400
    .language:       OpenCL C
    .language_version:
      - 2
      - 0
    .max_flat_workgroup_size: 256
    .name:           _Z38paged_attention_ll4mi_QKV_mfma4_kernelIDF16_hLN4vllm18Fp8KVCacheDataTypeE1EDF16_Li32ELi64ELi256ELb1ELi4EEvPKT_PKT0_S7_ifPKiS9_S9_iPKfiiiPfSC_PS2_PT2_iSB_SB_
    .private_segment_fixed_size: 64
    .sgpr_count:     36
    .sgpr_spill_count: 0
    .symbol:         _Z38paged_attention_ll4mi_QKV_mfma4_kernelIDF16_hLN4vllm18Fp8KVCacheDataTypeE1EDF16_Li32ELi64ELi256ELb1ELi4EEvPKT_PKT0_S7_ifPKiS9_S9_iPKfiiiPfSC_PS2_PT2_iSB_SB_.kd
    .uniform_work_group_size: 1
    .uses_dynamic_stack: false
    .vgpr_count:     41
    .vgpr_spill_count: 0
    .wavefront_size: 32
    .workgroup_processor_mode: 1
  - .args:
      - .actual_access:  read_only
        .address_space:  global
        .offset:         0
        .size:           8
        .value_kind:     global_buffer
      - .actual_access:  read_only
        .address_space:  global
        .offset:         8
        .size:           8
        .value_kind:     global_buffer
      - .actual_access:  read_only
        .address_space:  global
        .offset:         16
        .size:           8
        .value_kind:     global_buffer
      - .offset:         24
        .size:           4
        .value_kind:     by_value
      - .offset:         28
        .size:           4
        .value_kind:     by_value
      - .actual_access:  read_only
        .address_space:  global
        .offset:         32
        .size:           8
        .value_kind:     global_buffer
      - .actual_access:  read_only
        .address_space:  global
        .offset:         40
        .size:           8
        .value_kind:     global_buffer
      - .actual_access:  read_only
        .address_space:  global
        .offset:         48
        .size:           8
        .value_kind:     global_buffer
      - .offset:         56
        .size:           4
        .value_kind:     by_value
      - .actual_access:  read_only
        .address_space:  global
        .offset:         64
        .size:           8
        .value_kind:     global_buffer
      - .offset:         72
        .size:           4
        .value_kind:     by_value
      - .offset:         76
        .size:           4
        .value_kind:     by_value
      - .offset:         80
        .size:           4
        .value_kind:     by_value
      - .actual_access:  write_only
        .address_space:  global
        .offset:         88
        .size:           8
        .value_kind:     global_buffer
      - .actual_access:  write_only
        .address_space:  global
        .offset:         96
        .size:           8
        .value_kind:     global_buffer
      - .actual_access:  write_only
        .address_space:  global
        .offset:         104
        .size:           8
        .value_kind:     global_buffer
      - .actual_access:  read_only
        .address_space:  global
        .offset:         112
        .size:           8
        .value_kind:     global_buffer
      - .offset:         120
        .size:           4
        .value_kind:     by_value
      - .address_space:  global
        .offset:         128
        .size:           8
        .value_kind:     global_buffer
      - .address_space:  global
        .offset:         136
        .size:           8
        .value_kind:     global_buffer
      - .offset:         144
        .size:           4
        .value_kind:     hidden_block_count_x
      - .offset:         148
        .size:           4
        .value_kind:     hidden_block_count_y
      - .offset:         152
        .size:           4
        .value_kind:     hidden_block_count_z
      - .offset:         156
        .size:           2
        .value_kind:     hidden_group_size_x
      - .offset:         158
        .size:           2
        .value_kind:     hidden_group_size_y
      - .offset:         160
        .size:           2
        .value_kind:     hidden_group_size_z
      - .offset:         162
        .size:           2
        .value_kind:     hidden_remainder_x
      - .offset:         164
        .size:           2
        .value_kind:     hidden_remainder_y
      - .offset:         166
        .size:           2
        .value_kind:     hidden_remainder_z
      - .offset:         184
        .size:           8
        .value_kind:     hidden_global_offset_x
      - .offset:         192
        .size:           8
        .value_kind:     hidden_global_offset_y
      - .offset:         200
        .size:           8
        .value_kind:     hidden_global_offset_z
      - .offset:         208
        .size:           2
        .value_kind:     hidden_grid_dims
    .group_segment_fixed_size: 17472
    .kernarg_segment_align: 8
    .kernarg_segment_size: 400
    .language:       OpenCL C
    .language_version:
      - 2
      - 0
    .max_flat_workgroup_size: 256
    .name:           _Z39paged_attention_ll4mi_QKV_mfma16_kernelIDF16_hLN4vllm18Fp8KVCacheDataTypeE1EDF16_Li32ELi64ELi256ELb1ELi5EL8MFMAType1EEvPKT_PKT0_S8_ifPKiSA_SA_iPKfiiiPfSD_PS3_PT2_iSC_SC_
    .private_segment_fixed_size: 0
    .sgpr_count:     39
    .sgpr_spill_count: 0
    .symbol:         _Z39paged_attention_ll4mi_QKV_mfma16_kernelIDF16_hLN4vllm18Fp8KVCacheDataTypeE1EDF16_Li32ELi64ELi256ELb1ELi5EL8MFMAType1EEvPKT_PKT0_S8_ifPKiSA_SA_iPKfiiiPfSD_PS3_PT2_iSC_SC_.kd
    .uniform_work_group_size: 1
    .uses_dynamic_stack: false
    .vgpr_count:     146
    .vgpr_spill_count: 0
    .wavefront_size: 32
    .workgroup_processor_mode: 1
  - .args:
      - .actual_access:  read_only
        .address_space:  global
        .offset:         0
        .size:           8
        .value_kind:     global_buffer
      - .actual_access:  read_only
        .address_space:  global
        .offset:         8
        .size:           8
        .value_kind:     global_buffer
      - .actual_access:  read_only
        .address_space:  global
        .offset:         16
        .size:           8
        .value_kind:     global_buffer
      - .offset:         24
        .size:           4
        .value_kind:     by_value
      - .offset:         28
        .size:           4
        .value_kind:     by_value
      - .actual_access:  read_only
        .address_space:  global
        .offset:         32
        .size:           8
        .value_kind:     global_buffer
      - .actual_access:  read_only
        .address_space:  global
        .offset:         40
        .size:           8
        .value_kind:     global_buffer
      - .actual_access:  read_only
        .address_space:  global
        .offset:         48
        .size:           8
        .value_kind:     global_buffer
      - .offset:         56
        .size:           4
        .value_kind:     by_value
      - .actual_access:  read_only
        .address_space:  global
        .offset:         64
        .size:           8
        .value_kind:     global_buffer
      - .offset:         72
        .size:           4
        .value_kind:     by_value
      - .offset:         76
        .size:           4
        .value_kind:     by_value
      - .offset:         80
        .size:           4
        .value_kind:     by_value
      - .actual_access:  write_only
        .address_space:  global
        .offset:         88
        .size:           8
        .value_kind:     global_buffer
      - .actual_access:  write_only
        .address_space:  global
        .offset:         96
        .size:           8
        .value_kind:     global_buffer
      - .actual_access:  write_only
        .address_space:  global
        .offset:         104
        .size:           8
        .value_kind:     global_buffer
      - .actual_access:  read_only
        .address_space:  global
        .offset:         112
        .size:           8
        .value_kind:     global_buffer
      - .offset:         120
        .size:           4
        .value_kind:     by_value
      - .address_space:  global
        .offset:         128
        .size:           8
        .value_kind:     global_buffer
      - .address_space:  global
        .offset:         136
        .size:           8
        .value_kind:     global_buffer
      - .offset:         144
        .size:           4
        .value_kind:     hidden_block_count_x
      - .offset:         148
        .size:           4
        .value_kind:     hidden_block_count_y
      - .offset:         152
        .size:           4
        .value_kind:     hidden_block_count_z
      - .offset:         156
        .size:           2
        .value_kind:     hidden_group_size_x
      - .offset:         158
        .size:           2
        .value_kind:     hidden_group_size_y
      - .offset:         160
        .size:           2
        .value_kind:     hidden_group_size_z
      - .offset:         162
        .size:           2
        .value_kind:     hidden_remainder_x
      - .offset:         164
        .size:           2
        .value_kind:     hidden_remainder_y
      - .offset:         166
        .size:           2
        .value_kind:     hidden_remainder_z
      - .offset:         184
        .size:           8
        .value_kind:     hidden_global_offset_x
      - .offset:         192
        .size:           8
        .value_kind:     hidden_global_offset_y
      - .offset:         200
        .size:           8
        .value_kind:     hidden_global_offset_z
      - .offset:         208
        .size:           2
        .value_kind:     hidden_grid_dims
    .group_segment_fixed_size: 17472
    .kernarg_segment_align: 8
    .kernarg_segment_size: 400
    .language:       OpenCL C
    .language_version:
      - 2
      - 0
    .max_flat_workgroup_size: 256
    .name:           _Z39paged_attention_ll4mi_QKV_mfma16_kernelIDF16_hLN4vllm18Fp8KVCacheDataTypeE1EDF16_Li32ELi64ELi256ELb1ELi6EL8MFMAType1EEvPKT_PKT0_S8_ifPKiSA_SA_iPKfiiiPfSD_PS3_PT2_iSC_SC_
    .private_segment_fixed_size: 0
    .sgpr_count:     40
    .sgpr_spill_count: 0
    .symbol:         _Z39paged_attention_ll4mi_QKV_mfma16_kernelIDF16_hLN4vllm18Fp8KVCacheDataTypeE1EDF16_Li32ELi64ELi256ELb1ELi6EL8MFMAType1EEvPKT_PKT0_S8_ifPKiSA_SA_iPKfiiiPfSD_PS3_PT2_iSC_SC_.kd
    .uniform_work_group_size: 1
    .uses_dynamic_stack: false
    .vgpr_count:     146
    .vgpr_spill_count: 0
    .wavefront_size: 32
    .workgroup_processor_mode: 1
  - .args:
      - .actual_access:  read_only
        .address_space:  global
        .offset:         0
        .size:           8
        .value_kind:     global_buffer
      - .actual_access:  read_only
        .address_space:  global
        .offset:         8
        .size:           8
        .value_kind:     global_buffer
      - .actual_access:  read_only
        .address_space:  global
        .offset:         16
        .size:           8
        .value_kind:     global_buffer
      - .offset:         24
        .size:           4
        .value_kind:     by_value
      - .offset:         28
        .size:           4
        .value_kind:     by_value
      - .actual_access:  read_only
        .address_space:  global
        .offset:         32
        .size:           8
        .value_kind:     global_buffer
      - .actual_access:  read_only
        .address_space:  global
        .offset:         40
        .size:           8
        .value_kind:     global_buffer
      - .actual_access:  read_only
        .address_space:  global
        .offset:         48
        .size:           8
        .value_kind:     global_buffer
      - .offset:         56
        .size:           4
        .value_kind:     by_value
      - .actual_access:  read_only
        .address_space:  global
        .offset:         64
        .size:           8
        .value_kind:     global_buffer
      - .offset:         72
        .size:           4
        .value_kind:     by_value
      - .offset:         76
        .size:           4
        .value_kind:     by_value
      - .offset:         80
        .size:           4
        .value_kind:     by_value
      - .actual_access:  write_only
        .address_space:  global
        .offset:         88
        .size:           8
        .value_kind:     global_buffer
      - .actual_access:  write_only
        .address_space:  global
        .offset:         96
        .size:           8
        .value_kind:     global_buffer
      - .actual_access:  write_only
        .address_space:  global
        .offset:         104
        .size:           8
        .value_kind:     global_buffer
      - .actual_access:  read_only
        .address_space:  global
        .offset:         112
        .size:           8
        .value_kind:     global_buffer
      - .offset:         120
        .size:           4
        .value_kind:     by_value
      - .address_space:  global
        .offset:         128
        .size:           8
        .value_kind:     global_buffer
      - .address_space:  global
        .offset:         136
        .size:           8
        .value_kind:     global_buffer
      - .offset:         144
        .size:           4
        .value_kind:     hidden_block_count_x
      - .offset:         148
        .size:           4
        .value_kind:     hidden_block_count_y
      - .offset:         152
        .size:           4
        .value_kind:     hidden_block_count_z
      - .offset:         156
        .size:           2
        .value_kind:     hidden_group_size_x
      - .offset:         158
        .size:           2
        .value_kind:     hidden_group_size_y
      - .offset:         160
        .size:           2
        .value_kind:     hidden_group_size_z
      - .offset:         162
        .size:           2
        .value_kind:     hidden_remainder_x
      - .offset:         164
        .size:           2
        .value_kind:     hidden_remainder_y
      - .offset:         166
        .size:           2
        .value_kind:     hidden_remainder_z
      - .offset:         184
        .size:           8
        .value_kind:     hidden_global_offset_x
      - .offset:         192
        .size:           8
        .value_kind:     hidden_global_offset_y
      - .offset:         200
        .size:           8
        .value_kind:     hidden_global_offset_z
      - .offset:         208
        .size:           2
        .value_kind:     hidden_grid_dims
    .group_segment_fixed_size: 17472
    .kernarg_segment_align: 8
    .kernarg_segment_size: 400
    .language:       OpenCL C
    .language_version:
      - 2
      - 0
    .max_flat_workgroup_size: 256
    .name:           _Z39paged_attention_ll4mi_QKV_mfma16_kernelIDF16_hLN4vllm18Fp8KVCacheDataTypeE1EDF16_Li32ELi64ELi256ELb1ELi7EL8MFMAType1EEvPKT_PKT0_S8_ifPKiSA_SA_iPKfiiiPfSD_PS3_PT2_iSC_SC_
    .private_segment_fixed_size: 0
    .sgpr_count:     39
    .sgpr_spill_count: 0
    .symbol:         _Z39paged_attention_ll4mi_QKV_mfma16_kernelIDF16_hLN4vllm18Fp8KVCacheDataTypeE1EDF16_Li32ELi64ELi256ELb1ELi7EL8MFMAType1EEvPKT_PKT0_S8_ifPKiSA_SA_iPKfiiiPfSD_PS3_PT2_iSC_SC_.kd
    .uniform_work_group_size: 1
    .uses_dynamic_stack: false
    .vgpr_count:     146
    .vgpr_spill_count: 0
    .wavefront_size: 32
    .workgroup_processor_mode: 1
  - .args:
      - .actual_access:  read_only
        .address_space:  global
        .offset:         0
        .size:           8
        .value_kind:     global_buffer
      - .actual_access:  read_only
        .address_space:  global
        .offset:         8
        .size:           8
        .value_kind:     global_buffer
      - .actual_access:  read_only
        .address_space:  global
        .offset:         16
        .size:           8
        .value_kind:     global_buffer
      - .offset:         24
        .size:           4
        .value_kind:     by_value
      - .offset:         28
        .size:           4
        .value_kind:     by_value
      - .actual_access:  read_only
        .address_space:  global
        .offset:         32
        .size:           8
        .value_kind:     global_buffer
      - .actual_access:  read_only
        .address_space:  global
        .offset:         40
        .size:           8
        .value_kind:     global_buffer
      - .actual_access:  read_only
        .address_space:  global
        .offset:         48
        .size:           8
        .value_kind:     global_buffer
      - .offset:         56
        .size:           4
        .value_kind:     by_value
      - .actual_access:  read_only
        .address_space:  global
        .offset:         64
        .size:           8
        .value_kind:     global_buffer
      - .offset:         72
        .size:           4
        .value_kind:     by_value
      - .offset:         76
        .size:           4
        .value_kind:     by_value
      - .offset:         80
        .size:           4
        .value_kind:     by_value
      - .actual_access:  write_only
        .address_space:  global
        .offset:         88
        .size:           8
        .value_kind:     global_buffer
      - .actual_access:  write_only
        .address_space:  global
        .offset:         96
        .size:           8
        .value_kind:     global_buffer
      - .actual_access:  write_only
        .address_space:  global
        .offset:         104
        .size:           8
        .value_kind:     global_buffer
      - .actual_access:  read_only
        .address_space:  global
        .offset:         112
        .size:           8
        .value_kind:     global_buffer
      - .offset:         120
        .size:           4
        .value_kind:     by_value
      - .address_space:  global
        .offset:         128
        .size:           8
        .value_kind:     global_buffer
      - .address_space:  global
        .offset:         136
        .size:           8
        .value_kind:     global_buffer
      - .offset:         144
        .size:           4
        .value_kind:     hidden_block_count_x
      - .offset:         148
        .size:           4
        .value_kind:     hidden_block_count_y
      - .offset:         152
        .size:           4
        .value_kind:     hidden_block_count_z
      - .offset:         156
        .size:           2
        .value_kind:     hidden_group_size_x
      - .offset:         158
        .size:           2
        .value_kind:     hidden_group_size_y
      - .offset:         160
        .size:           2
        .value_kind:     hidden_group_size_z
      - .offset:         162
        .size:           2
        .value_kind:     hidden_remainder_x
      - .offset:         164
        .size:           2
        .value_kind:     hidden_remainder_y
      - .offset:         166
        .size:           2
        .value_kind:     hidden_remainder_z
      - .offset:         184
        .size:           8
        .value_kind:     hidden_global_offset_x
      - .offset:         192
        .size:           8
        .value_kind:     hidden_global_offset_y
      - .offset:         200
        .size:           8
        .value_kind:     hidden_global_offset_z
      - .offset:         208
        .size:           2
        .value_kind:     hidden_grid_dims
    .group_segment_fixed_size: 17472
    .kernarg_segment_align: 8
    .kernarg_segment_size: 400
    .language:       OpenCL C
    .language_version:
      - 2
      - 0
    .max_flat_workgroup_size: 256
    .name:           _Z39paged_attention_ll4mi_QKV_mfma16_kernelIDF16_hLN4vllm18Fp8KVCacheDataTypeE1EDF16_Li32ELi64ELi256ELb1ELi8EL8MFMAType1EEvPKT_PKT0_S8_ifPKiSA_SA_iPKfiiiPfSD_PS3_PT2_iSC_SC_
    .private_segment_fixed_size: 0
    .sgpr_count:     44
    .sgpr_spill_count: 0
    .symbol:         _Z39paged_attention_ll4mi_QKV_mfma16_kernelIDF16_hLN4vllm18Fp8KVCacheDataTypeE1EDF16_Li32ELi64ELi256ELb1ELi8EL8MFMAType1EEvPKT_PKT0_S8_ifPKiSA_SA_iPKfiiiPfSD_PS3_PT2_iSC_SC_.kd
    .uniform_work_group_size: 1
    .uses_dynamic_stack: false
    .vgpr_count:     123
    .vgpr_spill_count: 0
    .wavefront_size: 32
    .workgroup_processor_mode: 1
  - .args:
      - .actual_access:  read_only
        .address_space:  global
        .offset:         0
        .size:           8
        .value_kind:     global_buffer
      - .actual_access:  read_only
        .address_space:  global
        .offset:         8
        .size:           8
        .value_kind:     global_buffer
      - .actual_access:  read_only
        .address_space:  global
        .offset:         16
        .size:           8
        .value_kind:     global_buffer
      - .offset:         24
        .size:           4
        .value_kind:     by_value
      - .offset:         28
        .size:           4
        .value_kind:     by_value
      - .actual_access:  read_only
        .address_space:  global
        .offset:         32
        .size:           8
        .value_kind:     global_buffer
      - .actual_access:  read_only
        .address_space:  global
        .offset:         40
        .size:           8
        .value_kind:     global_buffer
      - .actual_access:  read_only
        .address_space:  global
        .offset:         48
        .size:           8
        .value_kind:     global_buffer
      - .offset:         56
        .size:           4
        .value_kind:     by_value
      - .actual_access:  read_only
        .address_space:  global
        .offset:         64
        .size:           8
        .value_kind:     global_buffer
      - .offset:         72
        .size:           4
        .value_kind:     by_value
      - .offset:         76
        .size:           4
        .value_kind:     by_value
      - .offset:         80
        .size:           4
        .value_kind:     by_value
      - .actual_access:  write_only
        .address_space:  global
        .offset:         88
        .size:           8
        .value_kind:     global_buffer
      - .actual_access:  write_only
        .address_space:  global
        .offset:         96
        .size:           8
        .value_kind:     global_buffer
      - .actual_access:  write_only
        .address_space:  global
        .offset:         104
        .size:           8
        .value_kind:     global_buffer
      - .actual_access:  read_only
        .address_space:  global
        .offset:         112
        .size:           8
        .value_kind:     global_buffer
      - .offset:         120
        .size:           4
        .value_kind:     by_value
      - .address_space:  global
        .offset:         128
        .size:           8
        .value_kind:     global_buffer
      - .address_space:  global
        .offset:         136
        .size:           8
        .value_kind:     global_buffer
      - .offset:         144
        .size:           4
        .value_kind:     hidden_block_count_x
      - .offset:         148
        .size:           4
        .value_kind:     hidden_block_count_y
      - .offset:         152
        .size:           4
        .value_kind:     hidden_block_count_z
      - .offset:         156
        .size:           2
        .value_kind:     hidden_group_size_x
      - .offset:         158
        .size:           2
        .value_kind:     hidden_group_size_y
      - .offset:         160
        .size:           2
        .value_kind:     hidden_group_size_z
      - .offset:         162
        .size:           2
        .value_kind:     hidden_remainder_x
      - .offset:         164
        .size:           2
        .value_kind:     hidden_remainder_y
      - .offset:         166
        .size:           2
        .value_kind:     hidden_remainder_z
      - .offset:         184
        .size:           8
        .value_kind:     hidden_global_offset_x
      - .offset:         192
        .size:           8
        .value_kind:     hidden_global_offset_y
      - .offset:         200
        .size:           8
        .value_kind:     hidden_global_offset_z
      - .offset:         208
        .size:           2
        .value_kind:     hidden_grid_dims
    .group_segment_fixed_size: 17472
    .kernarg_segment_align: 8
    .kernarg_segment_size: 400
    .language:       OpenCL C
    .language_version:
      - 2
      - 0
    .max_flat_workgroup_size: 256
    .name:           _Z39paged_attention_ll4mi_QKV_mfma16_kernelIDF16_hLN4vllm18Fp8KVCacheDataTypeE1EDF16_Li32ELi64ELi256ELb1ELi9EL8MFMAType1EEvPKT_PKT0_S8_ifPKiSA_SA_iPKfiiiPfSD_PS3_PT2_iSC_SC_
    .private_segment_fixed_size: 0
    .sgpr_count:     39
    .sgpr_spill_count: 0
    .symbol:         _Z39paged_attention_ll4mi_QKV_mfma16_kernelIDF16_hLN4vllm18Fp8KVCacheDataTypeE1EDF16_Li32ELi64ELi256ELb1ELi9EL8MFMAType1EEvPKT_PKT0_S8_ifPKiSA_SA_iPKfiiiPfSD_PS3_PT2_iSC_SC_.kd
    .uniform_work_group_size: 1
    .uses_dynamic_stack: false
    .vgpr_count:     146
    .vgpr_spill_count: 0
    .wavefront_size: 32
    .workgroup_processor_mode: 1
  - .args:
      - .actual_access:  read_only
        .address_space:  global
        .offset:         0
        .size:           8
        .value_kind:     global_buffer
      - .actual_access:  read_only
        .address_space:  global
        .offset:         8
        .size:           8
        .value_kind:     global_buffer
      - .actual_access:  read_only
        .address_space:  global
        .offset:         16
        .size:           8
        .value_kind:     global_buffer
      - .offset:         24
        .size:           4
        .value_kind:     by_value
      - .offset:         28
        .size:           4
        .value_kind:     by_value
      - .actual_access:  read_only
        .address_space:  global
        .offset:         32
        .size:           8
        .value_kind:     global_buffer
      - .actual_access:  read_only
        .address_space:  global
        .offset:         40
        .size:           8
        .value_kind:     global_buffer
      - .actual_access:  read_only
        .address_space:  global
        .offset:         48
        .size:           8
        .value_kind:     global_buffer
      - .offset:         56
        .size:           4
        .value_kind:     by_value
      - .actual_access:  read_only
        .address_space:  global
        .offset:         64
        .size:           8
        .value_kind:     global_buffer
      - .offset:         72
        .size:           4
        .value_kind:     by_value
      - .offset:         76
        .size:           4
        .value_kind:     by_value
      - .offset:         80
        .size:           4
        .value_kind:     by_value
      - .actual_access:  write_only
        .address_space:  global
        .offset:         88
        .size:           8
        .value_kind:     global_buffer
      - .actual_access:  write_only
        .address_space:  global
        .offset:         96
        .size:           8
        .value_kind:     global_buffer
      - .actual_access:  write_only
        .address_space:  global
        .offset:         104
        .size:           8
        .value_kind:     global_buffer
      - .actual_access:  read_only
        .address_space:  global
        .offset:         112
        .size:           8
        .value_kind:     global_buffer
      - .offset:         120
        .size:           4
        .value_kind:     by_value
      - .address_space:  global
        .offset:         128
        .size:           8
        .value_kind:     global_buffer
      - .address_space:  global
        .offset:         136
        .size:           8
        .value_kind:     global_buffer
      - .offset:         144
        .size:           4
        .value_kind:     hidden_block_count_x
      - .offset:         148
        .size:           4
        .value_kind:     hidden_block_count_y
      - .offset:         152
        .size:           4
        .value_kind:     hidden_block_count_z
      - .offset:         156
        .size:           2
        .value_kind:     hidden_group_size_x
      - .offset:         158
        .size:           2
        .value_kind:     hidden_group_size_y
      - .offset:         160
        .size:           2
        .value_kind:     hidden_group_size_z
      - .offset:         162
        .size:           2
        .value_kind:     hidden_remainder_x
      - .offset:         164
        .size:           2
        .value_kind:     hidden_remainder_y
      - .offset:         166
        .size:           2
        .value_kind:     hidden_remainder_z
      - .offset:         184
        .size:           8
        .value_kind:     hidden_global_offset_x
      - .offset:         192
        .size:           8
        .value_kind:     hidden_global_offset_y
      - .offset:         200
        .size:           8
        .value_kind:     hidden_global_offset_z
      - .offset:         208
        .size:           2
        .value_kind:     hidden_grid_dims
    .group_segment_fixed_size: 17472
    .kernarg_segment_align: 8
    .kernarg_segment_size: 400
    .language:       OpenCL C
    .language_version:
      - 2
      - 0
    .max_flat_workgroup_size: 256
    .name:           _Z39paged_attention_ll4mi_QKV_mfma16_kernelIDF16_hLN4vllm18Fp8KVCacheDataTypeE1EDF16_Li32ELi64ELi256ELb1ELi10EL8MFMAType1EEvPKT_PKT0_S8_ifPKiSA_SA_iPKfiiiPfSD_PS3_PT2_iSC_SC_
    .private_segment_fixed_size: 0
    .sgpr_count:     40
    .sgpr_spill_count: 0
    .symbol:         _Z39paged_attention_ll4mi_QKV_mfma16_kernelIDF16_hLN4vllm18Fp8KVCacheDataTypeE1EDF16_Li32ELi64ELi256ELb1ELi10EL8MFMAType1EEvPKT_PKT0_S8_ifPKiSA_SA_iPKfiiiPfSD_PS3_PT2_iSC_SC_.kd
    .uniform_work_group_size: 1
    .uses_dynamic_stack: false
    .vgpr_count:     146
    .vgpr_spill_count: 0
    .wavefront_size: 32
    .workgroup_processor_mode: 1
  - .args:
      - .actual_access:  read_only
        .address_space:  global
        .offset:         0
        .size:           8
        .value_kind:     global_buffer
      - .actual_access:  read_only
        .address_space:  global
        .offset:         8
        .size:           8
        .value_kind:     global_buffer
      - .actual_access:  read_only
        .address_space:  global
        .offset:         16
        .size:           8
        .value_kind:     global_buffer
      - .offset:         24
        .size:           4
        .value_kind:     by_value
      - .offset:         28
        .size:           4
        .value_kind:     by_value
      - .actual_access:  read_only
        .address_space:  global
        .offset:         32
        .size:           8
        .value_kind:     global_buffer
      - .actual_access:  read_only
        .address_space:  global
        .offset:         40
        .size:           8
        .value_kind:     global_buffer
      - .actual_access:  read_only
        .address_space:  global
        .offset:         48
        .size:           8
        .value_kind:     global_buffer
      - .offset:         56
        .size:           4
        .value_kind:     by_value
      - .actual_access:  read_only
        .address_space:  global
        .offset:         64
        .size:           8
        .value_kind:     global_buffer
      - .offset:         72
        .size:           4
        .value_kind:     by_value
      - .offset:         76
        .size:           4
        .value_kind:     by_value
      - .offset:         80
        .size:           4
        .value_kind:     by_value
      - .actual_access:  write_only
        .address_space:  global
        .offset:         88
        .size:           8
        .value_kind:     global_buffer
      - .actual_access:  write_only
        .address_space:  global
        .offset:         96
        .size:           8
        .value_kind:     global_buffer
      - .actual_access:  write_only
        .address_space:  global
        .offset:         104
        .size:           8
        .value_kind:     global_buffer
      - .actual_access:  read_only
        .address_space:  global
        .offset:         112
        .size:           8
        .value_kind:     global_buffer
      - .offset:         120
        .size:           4
        .value_kind:     by_value
      - .address_space:  global
        .offset:         128
        .size:           8
        .value_kind:     global_buffer
      - .address_space:  global
        .offset:         136
        .size:           8
        .value_kind:     global_buffer
      - .offset:         144
        .size:           4
        .value_kind:     hidden_block_count_x
      - .offset:         148
        .size:           4
        .value_kind:     hidden_block_count_y
      - .offset:         152
        .size:           4
        .value_kind:     hidden_block_count_z
      - .offset:         156
        .size:           2
        .value_kind:     hidden_group_size_x
      - .offset:         158
        .size:           2
        .value_kind:     hidden_group_size_y
      - .offset:         160
        .size:           2
        .value_kind:     hidden_group_size_z
      - .offset:         162
        .size:           2
        .value_kind:     hidden_remainder_x
      - .offset:         164
        .size:           2
        .value_kind:     hidden_remainder_y
      - .offset:         166
        .size:           2
        .value_kind:     hidden_remainder_z
      - .offset:         184
        .size:           8
        .value_kind:     hidden_global_offset_x
      - .offset:         192
        .size:           8
        .value_kind:     hidden_global_offset_y
      - .offset:         200
        .size:           8
        .value_kind:     hidden_global_offset_z
      - .offset:         208
        .size:           2
        .value_kind:     hidden_grid_dims
    .group_segment_fixed_size: 17472
    .kernarg_segment_align: 8
    .kernarg_segment_size: 400
    .language:       OpenCL C
    .language_version:
      - 2
      - 0
    .max_flat_workgroup_size: 256
    .name:           _Z39paged_attention_ll4mi_QKV_mfma16_kernelIDF16_hLN4vllm18Fp8KVCacheDataTypeE1EDF16_Li32ELi64ELi256ELb1ELi11EL8MFMAType1EEvPKT_PKT0_S8_ifPKiSA_SA_iPKfiiiPfSD_PS3_PT2_iSC_SC_
    .private_segment_fixed_size: 0
    .sgpr_count:     39
    .sgpr_spill_count: 0
    .symbol:         _Z39paged_attention_ll4mi_QKV_mfma16_kernelIDF16_hLN4vllm18Fp8KVCacheDataTypeE1EDF16_Li32ELi64ELi256ELb1ELi11EL8MFMAType1EEvPKT_PKT0_S8_ifPKiSA_SA_iPKfiiiPfSD_PS3_PT2_iSC_SC_.kd
    .uniform_work_group_size: 1
    .uses_dynamic_stack: false
    .vgpr_count:     146
    .vgpr_spill_count: 0
    .wavefront_size: 32
    .workgroup_processor_mode: 1
  - .args:
      - .actual_access:  read_only
        .address_space:  global
        .offset:         0
        .size:           8
        .value_kind:     global_buffer
      - .actual_access:  read_only
        .address_space:  global
        .offset:         8
        .size:           8
        .value_kind:     global_buffer
      - .actual_access:  read_only
        .address_space:  global
        .offset:         16
        .size:           8
        .value_kind:     global_buffer
      - .offset:         24
        .size:           4
        .value_kind:     by_value
      - .offset:         28
        .size:           4
        .value_kind:     by_value
      - .actual_access:  read_only
        .address_space:  global
        .offset:         32
        .size:           8
        .value_kind:     global_buffer
      - .actual_access:  read_only
        .address_space:  global
        .offset:         40
        .size:           8
        .value_kind:     global_buffer
      - .actual_access:  read_only
        .address_space:  global
        .offset:         48
        .size:           8
        .value_kind:     global_buffer
      - .offset:         56
        .size:           4
        .value_kind:     by_value
      - .actual_access:  read_only
        .address_space:  global
        .offset:         64
        .size:           8
        .value_kind:     global_buffer
      - .offset:         72
        .size:           4
        .value_kind:     by_value
      - .offset:         76
        .size:           4
        .value_kind:     by_value
      - .offset:         80
        .size:           4
        .value_kind:     by_value
      - .actual_access:  write_only
        .address_space:  global
        .offset:         88
        .size:           8
        .value_kind:     global_buffer
      - .actual_access:  write_only
        .address_space:  global
        .offset:         96
        .size:           8
        .value_kind:     global_buffer
      - .actual_access:  write_only
        .address_space:  global
        .offset:         104
        .size:           8
        .value_kind:     global_buffer
      - .actual_access:  read_only
        .address_space:  global
        .offset:         112
        .size:           8
        .value_kind:     global_buffer
      - .offset:         120
        .size:           4
        .value_kind:     by_value
      - .address_space:  global
        .offset:         128
        .size:           8
        .value_kind:     global_buffer
      - .address_space:  global
        .offset:         136
        .size:           8
        .value_kind:     global_buffer
      - .offset:         144
        .size:           4
        .value_kind:     hidden_block_count_x
      - .offset:         148
        .size:           4
        .value_kind:     hidden_block_count_y
      - .offset:         152
        .size:           4
        .value_kind:     hidden_block_count_z
      - .offset:         156
        .size:           2
        .value_kind:     hidden_group_size_x
      - .offset:         158
        .size:           2
        .value_kind:     hidden_group_size_y
      - .offset:         160
        .size:           2
        .value_kind:     hidden_group_size_z
      - .offset:         162
        .size:           2
        .value_kind:     hidden_remainder_x
      - .offset:         164
        .size:           2
        .value_kind:     hidden_remainder_y
      - .offset:         166
        .size:           2
        .value_kind:     hidden_remainder_z
      - .offset:         184
        .size:           8
        .value_kind:     hidden_global_offset_x
      - .offset:         192
        .size:           8
        .value_kind:     hidden_global_offset_y
      - .offset:         200
        .size:           8
        .value_kind:     hidden_global_offset_z
      - .offset:         208
        .size:           2
        .value_kind:     hidden_grid_dims
    .group_segment_fixed_size: 17472
    .kernarg_segment_align: 8
    .kernarg_segment_size: 400
    .language:       OpenCL C
    .language_version:
      - 2
      - 0
    .max_flat_workgroup_size: 256
    .name:           _Z39paged_attention_ll4mi_QKV_mfma16_kernelIDF16_hLN4vllm18Fp8KVCacheDataTypeE1EDF16_Li32ELi64ELi256ELb1ELi12EL8MFMAType1EEvPKT_PKT0_S8_ifPKiSA_SA_iPKfiiiPfSD_PS3_PT2_iSC_SC_
    .private_segment_fixed_size: 0
    .sgpr_count:     40
    .sgpr_spill_count: 0
    .symbol:         _Z39paged_attention_ll4mi_QKV_mfma16_kernelIDF16_hLN4vllm18Fp8KVCacheDataTypeE1EDF16_Li32ELi64ELi256ELb1ELi12EL8MFMAType1EEvPKT_PKT0_S8_ifPKiSA_SA_iPKfiiiPfSD_PS3_PT2_iSC_SC_.kd
    .uniform_work_group_size: 1
    .uses_dynamic_stack: false
    .vgpr_count:     146
    .vgpr_spill_count: 0
    .wavefront_size: 32
    .workgroup_processor_mode: 1
  - .args:
      - .actual_access:  read_only
        .address_space:  global
        .offset:         0
        .size:           8
        .value_kind:     global_buffer
      - .actual_access:  read_only
        .address_space:  global
        .offset:         8
        .size:           8
        .value_kind:     global_buffer
      - .actual_access:  read_only
        .address_space:  global
        .offset:         16
        .size:           8
        .value_kind:     global_buffer
      - .offset:         24
        .size:           4
        .value_kind:     by_value
      - .offset:         28
        .size:           4
        .value_kind:     by_value
      - .actual_access:  read_only
        .address_space:  global
        .offset:         32
        .size:           8
        .value_kind:     global_buffer
      - .actual_access:  read_only
        .address_space:  global
        .offset:         40
        .size:           8
        .value_kind:     global_buffer
      - .actual_access:  read_only
        .address_space:  global
        .offset:         48
        .size:           8
        .value_kind:     global_buffer
      - .offset:         56
        .size:           4
        .value_kind:     by_value
      - .actual_access:  read_only
        .address_space:  global
        .offset:         64
        .size:           8
        .value_kind:     global_buffer
      - .offset:         72
        .size:           4
        .value_kind:     by_value
      - .offset:         76
        .size:           4
        .value_kind:     by_value
      - .offset:         80
        .size:           4
        .value_kind:     by_value
      - .actual_access:  write_only
        .address_space:  global
        .offset:         88
        .size:           8
        .value_kind:     global_buffer
      - .actual_access:  write_only
        .address_space:  global
        .offset:         96
        .size:           8
        .value_kind:     global_buffer
      - .actual_access:  write_only
        .address_space:  global
        .offset:         104
        .size:           8
        .value_kind:     global_buffer
      - .actual_access:  read_only
        .address_space:  global
        .offset:         112
        .size:           8
        .value_kind:     global_buffer
      - .offset:         120
        .size:           4
        .value_kind:     by_value
      - .address_space:  global
        .offset:         128
        .size:           8
        .value_kind:     global_buffer
      - .address_space:  global
        .offset:         136
        .size:           8
        .value_kind:     global_buffer
      - .offset:         144
        .size:           4
        .value_kind:     hidden_block_count_x
      - .offset:         148
        .size:           4
        .value_kind:     hidden_block_count_y
      - .offset:         152
        .size:           4
        .value_kind:     hidden_block_count_z
      - .offset:         156
        .size:           2
        .value_kind:     hidden_group_size_x
      - .offset:         158
        .size:           2
        .value_kind:     hidden_group_size_y
      - .offset:         160
        .size:           2
        .value_kind:     hidden_group_size_z
      - .offset:         162
        .size:           2
        .value_kind:     hidden_remainder_x
      - .offset:         164
        .size:           2
        .value_kind:     hidden_remainder_y
      - .offset:         166
        .size:           2
        .value_kind:     hidden_remainder_z
      - .offset:         184
        .size:           8
        .value_kind:     hidden_global_offset_x
      - .offset:         192
        .size:           8
        .value_kind:     hidden_global_offset_y
      - .offset:         200
        .size:           8
        .value_kind:     hidden_global_offset_z
      - .offset:         208
        .size:           2
        .value_kind:     hidden_grid_dims
    .group_segment_fixed_size: 17472
    .kernarg_segment_align: 8
    .kernarg_segment_size: 400
    .language:       OpenCL C
    .language_version:
      - 2
      - 0
    .max_flat_workgroup_size: 256
    .name:           _Z39paged_attention_ll4mi_QKV_mfma16_kernelIDF16_hLN4vllm18Fp8KVCacheDataTypeE1EDF16_Li32ELi64ELi256ELb1ELi13EL8MFMAType1EEvPKT_PKT0_S8_ifPKiSA_SA_iPKfiiiPfSD_PS3_PT2_iSC_SC_
    .private_segment_fixed_size: 0
    .sgpr_count:     39
    .sgpr_spill_count: 0
    .symbol:         _Z39paged_attention_ll4mi_QKV_mfma16_kernelIDF16_hLN4vllm18Fp8KVCacheDataTypeE1EDF16_Li32ELi64ELi256ELb1ELi13EL8MFMAType1EEvPKT_PKT0_S8_ifPKiSA_SA_iPKfiiiPfSD_PS3_PT2_iSC_SC_.kd
    .uniform_work_group_size: 1
    .uses_dynamic_stack: false
    .vgpr_count:     146
    .vgpr_spill_count: 0
    .wavefront_size: 32
    .workgroup_processor_mode: 1
  - .args:
      - .actual_access:  read_only
        .address_space:  global
        .offset:         0
        .size:           8
        .value_kind:     global_buffer
      - .actual_access:  read_only
        .address_space:  global
        .offset:         8
        .size:           8
        .value_kind:     global_buffer
      - .actual_access:  read_only
        .address_space:  global
        .offset:         16
        .size:           8
        .value_kind:     global_buffer
      - .offset:         24
        .size:           4
        .value_kind:     by_value
      - .offset:         28
        .size:           4
        .value_kind:     by_value
      - .actual_access:  read_only
        .address_space:  global
        .offset:         32
        .size:           8
        .value_kind:     global_buffer
      - .actual_access:  read_only
        .address_space:  global
        .offset:         40
        .size:           8
        .value_kind:     global_buffer
      - .actual_access:  read_only
        .address_space:  global
        .offset:         48
        .size:           8
        .value_kind:     global_buffer
      - .offset:         56
        .size:           4
        .value_kind:     by_value
      - .actual_access:  read_only
        .address_space:  global
        .offset:         64
        .size:           8
        .value_kind:     global_buffer
      - .offset:         72
        .size:           4
        .value_kind:     by_value
      - .offset:         76
        .size:           4
        .value_kind:     by_value
      - .offset:         80
        .size:           4
        .value_kind:     by_value
      - .actual_access:  write_only
        .address_space:  global
        .offset:         88
        .size:           8
        .value_kind:     global_buffer
      - .actual_access:  write_only
        .address_space:  global
        .offset:         96
        .size:           8
        .value_kind:     global_buffer
      - .actual_access:  write_only
        .address_space:  global
        .offset:         104
        .size:           8
        .value_kind:     global_buffer
      - .actual_access:  read_only
        .address_space:  global
        .offset:         112
        .size:           8
        .value_kind:     global_buffer
      - .offset:         120
        .size:           4
        .value_kind:     by_value
      - .address_space:  global
        .offset:         128
        .size:           8
        .value_kind:     global_buffer
      - .address_space:  global
        .offset:         136
        .size:           8
        .value_kind:     global_buffer
      - .offset:         144
        .size:           4
        .value_kind:     hidden_block_count_x
      - .offset:         148
        .size:           4
        .value_kind:     hidden_block_count_y
      - .offset:         152
        .size:           4
        .value_kind:     hidden_block_count_z
      - .offset:         156
        .size:           2
        .value_kind:     hidden_group_size_x
      - .offset:         158
        .size:           2
        .value_kind:     hidden_group_size_y
      - .offset:         160
        .size:           2
        .value_kind:     hidden_group_size_z
      - .offset:         162
        .size:           2
        .value_kind:     hidden_remainder_x
      - .offset:         164
        .size:           2
        .value_kind:     hidden_remainder_y
      - .offset:         166
        .size:           2
        .value_kind:     hidden_remainder_z
      - .offset:         184
        .size:           8
        .value_kind:     hidden_global_offset_x
      - .offset:         192
        .size:           8
        .value_kind:     hidden_global_offset_y
      - .offset:         200
        .size:           8
        .value_kind:     hidden_global_offset_z
      - .offset:         208
        .size:           2
        .value_kind:     hidden_grid_dims
    .group_segment_fixed_size: 17472
    .kernarg_segment_align: 8
    .kernarg_segment_size: 400
    .language:       OpenCL C
    .language_version:
      - 2
      - 0
    .max_flat_workgroup_size: 256
    .name:           _Z39paged_attention_ll4mi_QKV_mfma16_kernelIDF16_hLN4vllm18Fp8KVCacheDataTypeE1EDF16_Li32ELi64ELi256ELb1ELi14EL8MFMAType1EEvPKT_PKT0_S8_ifPKiSA_SA_iPKfiiiPfSD_PS3_PT2_iSC_SC_
    .private_segment_fixed_size: 0
    .sgpr_count:     40
    .sgpr_spill_count: 0
    .symbol:         _Z39paged_attention_ll4mi_QKV_mfma16_kernelIDF16_hLN4vllm18Fp8KVCacheDataTypeE1EDF16_Li32ELi64ELi256ELb1ELi14EL8MFMAType1EEvPKT_PKT0_S8_ifPKiSA_SA_iPKfiiiPfSD_PS3_PT2_iSC_SC_.kd
    .uniform_work_group_size: 1
    .uses_dynamic_stack: false
    .vgpr_count:     146
    .vgpr_spill_count: 0
    .wavefront_size: 32
    .workgroup_processor_mode: 1
  - .args:
      - .actual_access:  read_only
        .address_space:  global
        .offset:         0
        .size:           8
        .value_kind:     global_buffer
      - .actual_access:  read_only
        .address_space:  global
        .offset:         8
        .size:           8
        .value_kind:     global_buffer
      - .actual_access:  read_only
        .address_space:  global
        .offset:         16
        .size:           8
        .value_kind:     global_buffer
      - .offset:         24
        .size:           4
        .value_kind:     by_value
      - .offset:         28
        .size:           4
        .value_kind:     by_value
      - .actual_access:  read_only
        .address_space:  global
        .offset:         32
        .size:           8
        .value_kind:     global_buffer
      - .actual_access:  read_only
        .address_space:  global
        .offset:         40
        .size:           8
        .value_kind:     global_buffer
      - .actual_access:  read_only
        .address_space:  global
        .offset:         48
        .size:           8
        .value_kind:     global_buffer
      - .offset:         56
        .size:           4
        .value_kind:     by_value
      - .actual_access:  read_only
        .address_space:  global
        .offset:         64
        .size:           8
        .value_kind:     global_buffer
      - .offset:         72
        .size:           4
        .value_kind:     by_value
      - .offset:         76
        .size:           4
        .value_kind:     by_value
      - .offset:         80
        .size:           4
        .value_kind:     by_value
      - .actual_access:  write_only
        .address_space:  global
        .offset:         88
        .size:           8
        .value_kind:     global_buffer
      - .actual_access:  write_only
        .address_space:  global
        .offset:         96
        .size:           8
        .value_kind:     global_buffer
      - .actual_access:  write_only
        .address_space:  global
        .offset:         104
        .size:           8
        .value_kind:     global_buffer
      - .actual_access:  read_only
        .address_space:  global
        .offset:         112
        .size:           8
        .value_kind:     global_buffer
      - .offset:         120
        .size:           4
        .value_kind:     by_value
      - .address_space:  global
        .offset:         128
        .size:           8
        .value_kind:     global_buffer
      - .address_space:  global
        .offset:         136
        .size:           8
        .value_kind:     global_buffer
      - .offset:         144
        .size:           4
        .value_kind:     hidden_block_count_x
      - .offset:         148
        .size:           4
        .value_kind:     hidden_block_count_y
      - .offset:         152
        .size:           4
        .value_kind:     hidden_block_count_z
      - .offset:         156
        .size:           2
        .value_kind:     hidden_group_size_x
      - .offset:         158
        .size:           2
        .value_kind:     hidden_group_size_y
      - .offset:         160
        .size:           2
        .value_kind:     hidden_group_size_z
      - .offset:         162
        .size:           2
        .value_kind:     hidden_remainder_x
      - .offset:         164
        .size:           2
        .value_kind:     hidden_remainder_y
      - .offset:         166
        .size:           2
        .value_kind:     hidden_remainder_z
      - .offset:         184
        .size:           8
        .value_kind:     hidden_global_offset_x
      - .offset:         192
        .size:           8
        .value_kind:     hidden_global_offset_y
      - .offset:         200
        .size:           8
        .value_kind:     hidden_global_offset_z
      - .offset:         208
        .size:           2
        .value_kind:     hidden_grid_dims
    .group_segment_fixed_size: 17472
    .kernarg_segment_align: 8
    .kernarg_segment_size: 400
    .language:       OpenCL C
    .language_version:
      - 2
      - 0
    .max_flat_workgroup_size: 256
    .name:           _Z39paged_attention_ll4mi_QKV_mfma16_kernelIDF16_hLN4vllm18Fp8KVCacheDataTypeE1EDF16_Li32ELi64ELi256ELb1ELi15EL8MFMAType1EEvPKT_PKT0_S8_ifPKiSA_SA_iPKfiiiPfSD_PS3_PT2_iSC_SC_
    .private_segment_fixed_size: 0
    .sgpr_count:     39
    .sgpr_spill_count: 0
    .symbol:         _Z39paged_attention_ll4mi_QKV_mfma16_kernelIDF16_hLN4vllm18Fp8KVCacheDataTypeE1EDF16_Li32ELi64ELi256ELb1ELi15EL8MFMAType1EEvPKT_PKT0_S8_ifPKiSA_SA_iPKfiiiPfSD_PS3_PT2_iSC_SC_.kd
    .uniform_work_group_size: 1
    .uses_dynamic_stack: false
    .vgpr_count:     146
    .vgpr_spill_count: 0
    .wavefront_size: 32
    .workgroup_processor_mode: 1
  - .args:
      - .actual_access:  read_only
        .address_space:  global
        .offset:         0
        .size:           8
        .value_kind:     global_buffer
      - .actual_access:  read_only
        .address_space:  global
        .offset:         8
        .size:           8
        .value_kind:     global_buffer
      - .actual_access:  read_only
        .address_space:  global
        .offset:         16
        .size:           8
        .value_kind:     global_buffer
      - .offset:         24
        .size:           4
        .value_kind:     by_value
      - .offset:         28
        .size:           4
        .value_kind:     by_value
      - .actual_access:  read_only
        .address_space:  global
        .offset:         32
        .size:           8
        .value_kind:     global_buffer
      - .actual_access:  read_only
        .address_space:  global
        .offset:         40
        .size:           8
        .value_kind:     global_buffer
      - .actual_access:  read_only
        .address_space:  global
        .offset:         48
        .size:           8
        .value_kind:     global_buffer
      - .offset:         56
        .size:           4
        .value_kind:     by_value
      - .actual_access:  read_only
        .address_space:  global
        .offset:         64
        .size:           8
        .value_kind:     global_buffer
      - .offset:         72
        .size:           4
        .value_kind:     by_value
      - .offset:         76
        .size:           4
        .value_kind:     by_value
      - .offset:         80
        .size:           4
        .value_kind:     by_value
      - .actual_access:  write_only
        .address_space:  global
        .offset:         88
        .size:           8
        .value_kind:     global_buffer
      - .actual_access:  write_only
        .address_space:  global
        .offset:         96
        .size:           8
        .value_kind:     global_buffer
      - .actual_access:  write_only
        .address_space:  global
        .offset:         104
        .size:           8
        .value_kind:     global_buffer
      - .actual_access:  read_only
        .address_space:  global
        .offset:         112
        .size:           8
        .value_kind:     global_buffer
      - .offset:         120
        .size:           4
        .value_kind:     by_value
      - .address_space:  global
        .offset:         128
        .size:           8
        .value_kind:     global_buffer
      - .address_space:  global
        .offset:         136
        .size:           8
        .value_kind:     global_buffer
      - .offset:         144
        .size:           4
        .value_kind:     hidden_block_count_x
      - .offset:         148
        .size:           4
        .value_kind:     hidden_block_count_y
      - .offset:         152
        .size:           4
        .value_kind:     hidden_block_count_z
      - .offset:         156
        .size:           2
        .value_kind:     hidden_group_size_x
      - .offset:         158
        .size:           2
        .value_kind:     hidden_group_size_y
      - .offset:         160
        .size:           2
        .value_kind:     hidden_group_size_z
      - .offset:         162
        .size:           2
        .value_kind:     hidden_remainder_x
      - .offset:         164
        .size:           2
        .value_kind:     hidden_remainder_y
      - .offset:         166
        .size:           2
        .value_kind:     hidden_remainder_z
      - .offset:         184
        .size:           8
        .value_kind:     hidden_global_offset_x
      - .offset:         192
        .size:           8
        .value_kind:     hidden_global_offset_y
      - .offset:         200
        .size:           8
        .value_kind:     hidden_global_offset_z
      - .offset:         208
        .size:           2
        .value_kind:     hidden_grid_dims
    .group_segment_fixed_size: 17472
    .kernarg_segment_align: 8
    .kernarg_segment_size: 400
    .language:       OpenCL C
    .language_version:
      - 2
      - 0
    .max_flat_workgroup_size: 256
    .name:           _Z39paged_attention_ll4mi_QKV_mfma16_kernelIDF16_hLN4vllm18Fp8KVCacheDataTypeE1EDF16_Li32ELi64ELi256ELb1ELi16EL8MFMAType1EEvPKT_PKT0_S8_ifPKiSA_SA_iPKfiiiPfSD_PS3_PT2_iSC_SC_
    .private_segment_fixed_size: 0
    .sgpr_count:     44
    .sgpr_spill_count: 0
    .symbol:         _Z39paged_attention_ll4mi_QKV_mfma16_kernelIDF16_hLN4vllm18Fp8KVCacheDataTypeE1EDF16_Li32ELi64ELi256ELb1ELi16EL8MFMAType1EEvPKT_PKT0_S8_ifPKiSA_SA_iPKfiiiPfSD_PS3_PT2_iSC_SC_.kd
    .uniform_work_group_size: 1
    .uses_dynamic_stack: false
    .vgpr_count:     123
    .vgpr_spill_count: 0
    .wavefront_size: 32
    .workgroup_processor_mode: 1
  - .args:
      - .actual_access:  read_only
        .address_space:  global
        .offset:         0
        .size:           8
        .value_kind:     global_buffer
      - .actual_access:  read_only
        .address_space:  global
        .offset:         8
        .size:           8
        .value_kind:     global_buffer
      - .actual_access:  read_only
        .address_space:  global
        .offset:         16
        .size:           8
        .value_kind:     global_buffer
      - .offset:         24
        .size:           4
        .value_kind:     by_value
      - .offset:         28
        .size:           4
        .value_kind:     by_value
      - .actual_access:  read_only
        .address_space:  global
        .offset:         32
        .size:           8
        .value_kind:     global_buffer
      - .actual_access:  read_only
        .address_space:  global
        .offset:         40
        .size:           8
        .value_kind:     global_buffer
      - .actual_access:  read_only
        .address_space:  global
        .offset:         48
        .size:           8
        .value_kind:     global_buffer
      - .offset:         56
        .size:           4
        .value_kind:     by_value
      - .actual_access:  read_only
        .address_space:  global
        .offset:         64
        .size:           8
        .value_kind:     global_buffer
      - .offset:         72
        .size:           4
        .value_kind:     by_value
      - .offset:         76
        .size:           4
        .value_kind:     by_value
      - .offset:         80
        .size:           4
        .value_kind:     by_value
      - .actual_access:  write_only
        .address_space:  global
        .offset:         88
        .size:           8
        .value_kind:     global_buffer
      - .actual_access:  write_only
        .address_space:  global
        .offset:         96
        .size:           8
        .value_kind:     global_buffer
      - .actual_access:  write_only
        .address_space:  global
        .offset:         104
        .size:           8
        .value_kind:     global_buffer
      - .actual_access:  read_only
        .address_space:  global
        .offset:         112
        .size:           8
        .value_kind:     global_buffer
      - .offset:         120
        .size:           4
        .value_kind:     by_value
      - .address_space:  global
        .offset:         128
        .size:           8
        .value_kind:     global_buffer
      - .address_space:  global
        .offset:         136
        .size:           8
        .value_kind:     global_buffer
      - .offset:         144
        .size:           4
        .value_kind:     hidden_block_count_x
      - .offset:         148
        .size:           4
        .value_kind:     hidden_block_count_y
      - .offset:         152
        .size:           4
        .value_kind:     hidden_block_count_z
      - .offset:         156
        .size:           2
        .value_kind:     hidden_group_size_x
      - .offset:         158
        .size:           2
        .value_kind:     hidden_group_size_y
      - .offset:         160
        .size:           2
        .value_kind:     hidden_group_size_z
      - .offset:         162
        .size:           2
        .value_kind:     hidden_remainder_x
      - .offset:         164
        .size:           2
        .value_kind:     hidden_remainder_y
      - .offset:         166
        .size:           2
        .value_kind:     hidden_remainder_z
      - .offset:         184
        .size:           8
        .value_kind:     hidden_global_offset_x
      - .offset:         192
        .size:           8
        .value_kind:     hidden_global_offset_y
      - .offset:         200
        .size:           8
        .value_kind:     hidden_global_offset_z
      - .offset:         208
        .size:           2
        .value_kind:     hidden_grid_dims
    .group_segment_fixed_size: 17472
    .kernarg_segment_align: 8
    .kernarg_segment_size: 400
    .language:       OpenCL C
    .language_version:
      - 2
      - 0
    .max_flat_workgroup_size: 256
    .name:           _Z39paged_attention_ll4mi_QKV_mfma16_kernelIDF16_hLN4vllm18Fp8KVCacheDataTypeE1EDF16_Li32ELi64ELi256ELb1ELi1EL8MFMAType1EEvPKT_PKT0_S8_ifPKiSA_SA_iPKfiiiPfSD_PS3_PT2_iSC_SC_
    .private_segment_fixed_size: 0
    .sgpr_count:     52
    .sgpr_spill_count: 0
    .symbol:         _Z39paged_attention_ll4mi_QKV_mfma16_kernelIDF16_hLN4vllm18Fp8KVCacheDataTypeE1EDF16_Li32ELi64ELi256ELb1ELi1EL8MFMAType1EEvPKT_PKT0_S8_ifPKiSA_SA_iPKfiiiPfSD_PS3_PT2_iSC_SC_.kd
    .uniform_work_group_size: 1
    .uses_dynamic_stack: false
    .vgpr_count:     144
    .vgpr_spill_count: 0
    .wavefront_size: 32
    .workgroup_processor_mode: 1
  - .args:
      - .actual_access:  read_only
        .address_space:  global
        .offset:         0
        .size:           8
        .value_kind:     global_buffer
      - .actual_access:  read_only
        .address_space:  global
        .offset:         8
        .size:           8
        .value_kind:     global_buffer
      - .actual_access:  read_only
        .address_space:  global
        .offset:         16
        .size:           8
        .value_kind:     global_buffer
      - .offset:         24
        .size:           4
        .value_kind:     by_value
      - .offset:         28
        .size:           4
        .value_kind:     by_value
      - .actual_access:  read_only
        .address_space:  global
        .offset:         32
        .size:           8
        .value_kind:     global_buffer
      - .actual_access:  read_only
        .address_space:  global
        .offset:         40
        .size:           8
        .value_kind:     global_buffer
      - .actual_access:  read_only
        .address_space:  global
        .offset:         48
        .size:           8
        .value_kind:     global_buffer
      - .offset:         56
        .size:           4
        .value_kind:     by_value
      - .actual_access:  read_only
        .address_space:  global
        .offset:         64
        .size:           8
        .value_kind:     global_buffer
      - .offset:         72
        .size:           4
        .value_kind:     by_value
      - .offset:         76
        .size:           4
        .value_kind:     by_value
      - .offset:         80
        .size:           4
        .value_kind:     by_value
      - .actual_access:  write_only
        .address_space:  global
        .offset:         88
        .size:           8
        .value_kind:     global_buffer
      - .actual_access:  write_only
        .address_space:  global
        .offset:         96
        .size:           8
        .value_kind:     global_buffer
      - .actual_access:  write_only
        .address_space:  global
        .offset:         104
        .size:           8
        .value_kind:     global_buffer
      - .actual_access:  read_only
        .address_space:  global
        .offset:         112
        .size:           8
        .value_kind:     global_buffer
      - .offset:         120
        .size:           4
        .value_kind:     by_value
      - .address_space:  global
        .offset:         128
        .size:           8
        .value_kind:     global_buffer
      - .address_space:  global
        .offset:         136
        .size:           8
        .value_kind:     global_buffer
      - .offset:         144
        .size:           4
        .value_kind:     hidden_block_count_x
      - .offset:         148
        .size:           4
        .value_kind:     hidden_block_count_y
      - .offset:         152
        .size:           4
        .value_kind:     hidden_block_count_z
      - .offset:         156
        .size:           2
        .value_kind:     hidden_group_size_x
      - .offset:         158
        .size:           2
        .value_kind:     hidden_group_size_y
      - .offset:         160
        .size:           2
        .value_kind:     hidden_group_size_z
      - .offset:         162
        .size:           2
        .value_kind:     hidden_remainder_x
      - .offset:         164
        .size:           2
        .value_kind:     hidden_remainder_y
      - .offset:         166
        .size:           2
        .value_kind:     hidden_remainder_z
      - .offset:         184
        .size:           8
        .value_kind:     hidden_global_offset_x
      - .offset:         192
        .size:           8
        .value_kind:     hidden_global_offset_y
      - .offset:         200
        .size:           8
        .value_kind:     hidden_global_offset_z
      - .offset:         208
        .size:           2
        .value_kind:     hidden_grid_dims
    .group_segment_fixed_size: 17472
    .kernarg_segment_align: 8
    .kernarg_segment_size: 400
    .language:       OpenCL C
    .language_version:
      - 2
      - 0
    .max_flat_workgroup_size: 256
    .name:           _Z39paged_attention_ll4mi_QKV_mfma16_kernelIDF16_hLN4vllm18Fp8KVCacheDataTypeE1EDF16_Li32ELi64ELi256ELb1ELi2EL8MFMAType1EEvPKT_PKT0_S8_ifPKiSA_SA_iPKfiiiPfSD_PS3_PT2_iSC_SC_
    .private_segment_fixed_size: 0
    .sgpr_count:     40
    .sgpr_spill_count: 0
    .symbol:         _Z39paged_attention_ll4mi_QKV_mfma16_kernelIDF16_hLN4vllm18Fp8KVCacheDataTypeE1EDF16_Li32ELi64ELi256ELb1ELi2EL8MFMAType1EEvPKT_PKT0_S8_ifPKiSA_SA_iPKfiiiPfSD_PS3_PT2_iSC_SC_.kd
    .uniform_work_group_size: 1
    .uses_dynamic_stack: false
    .vgpr_count:     148
    .vgpr_spill_count: 0
    .wavefront_size: 32
    .workgroup_processor_mode: 1
  - .args:
      - .actual_access:  read_only
        .address_space:  global
        .offset:         0
        .size:           8
        .value_kind:     global_buffer
      - .actual_access:  read_only
        .address_space:  global
        .offset:         8
        .size:           8
        .value_kind:     global_buffer
      - .actual_access:  read_only
        .address_space:  global
        .offset:         16
        .size:           8
        .value_kind:     global_buffer
      - .offset:         24
        .size:           4
        .value_kind:     by_value
      - .offset:         28
        .size:           4
        .value_kind:     by_value
      - .actual_access:  read_only
        .address_space:  global
        .offset:         32
        .size:           8
        .value_kind:     global_buffer
      - .actual_access:  read_only
        .address_space:  global
        .offset:         40
        .size:           8
        .value_kind:     global_buffer
      - .actual_access:  read_only
        .address_space:  global
        .offset:         48
        .size:           8
        .value_kind:     global_buffer
      - .offset:         56
        .size:           4
        .value_kind:     by_value
      - .actual_access:  read_only
        .address_space:  global
        .offset:         64
        .size:           8
        .value_kind:     global_buffer
      - .offset:         72
        .size:           4
        .value_kind:     by_value
      - .offset:         76
        .size:           4
        .value_kind:     by_value
      - .offset:         80
        .size:           4
        .value_kind:     by_value
      - .actual_access:  write_only
        .address_space:  global
        .offset:         88
        .size:           8
        .value_kind:     global_buffer
      - .actual_access:  write_only
        .address_space:  global
        .offset:         96
        .size:           8
        .value_kind:     global_buffer
      - .actual_access:  write_only
        .address_space:  global
        .offset:         104
        .size:           8
        .value_kind:     global_buffer
      - .actual_access:  read_only
        .address_space:  global
        .offset:         112
        .size:           8
        .value_kind:     global_buffer
      - .offset:         120
        .size:           4
        .value_kind:     by_value
      - .address_space:  global
        .offset:         128
        .size:           8
        .value_kind:     global_buffer
      - .address_space:  global
        .offset:         136
        .size:           8
        .value_kind:     global_buffer
      - .offset:         144
        .size:           4
        .value_kind:     hidden_block_count_x
      - .offset:         148
        .size:           4
        .value_kind:     hidden_block_count_y
      - .offset:         152
        .size:           4
        .value_kind:     hidden_block_count_z
      - .offset:         156
        .size:           2
        .value_kind:     hidden_group_size_x
      - .offset:         158
        .size:           2
        .value_kind:     hidden_group_size_y
      - .offset:         160
        .size:           2
        .value_kind:     hidden_group_size_z
      - .offset:         162
        .size:           2
        .value_kind:     hidden_remainder_x
      - .offset:         164
        .size:           2
        .value_kind:     hidden_remainder_y
      - .offset:         166
        .size:           2
        .value_kind:     hidden_remainder_z
      - .offset:         184
        .size:           8
        .value_kind:     hidden_global_offset_x
      - .offset:         192
        .size:           8
        .value_kind:     hidden_global_offset_y
      - .offset:         200
        .size:           8
        .value_kind:     hidden_global_offset_z
      - .offset:         208
        .size:           2
        .value_kind:     hidden_grid_dims
    .group_segment_fixed_size: 17472
    .kernarg_segment_align: 8
    .kernarg_segment_size: 400
    .language:       OpenCL C
    .language_version:
      - 2
      - 0
    .max_flat_workgroup_size: 256
    .name:           _Z39paged_attention_ll4mi_QKV_mfma16_kernelIDF16_hLN4vllm18Fp8KVCacheDataTypeE1EDF16_Li32ELi64ELi256ELb1ELi3EL8MFMAType1EEvPKT_PKT0_S8_ifPKiSA_SA_iPKfiiiPfSD_PS3_PT2_iSC_SC_
    .private_segment_fixed_size: 0
    .sgpr_count:     39
    .sgpr_spill_count: 0
    .symbol:         _Z39paged_attention_ll4mi_QKV_mfma16_kernelIDF16_hLN4vllm18Fp8KVCacheDataTypeE1EDF16_Li32ELi64ELi256ELb1ELi3EL8MFMAType1EEvPKT_PKT0_S8_ifPKiSA_SA_iPKfiiiPfSD_PS3_PT2_iSC_SC_.kd
    .uniform_work_group_size: 1
    .uses_dynamic_stack: false
    .vgpr_count:     146
    .vgpr_spill_count: 0
    .wavefront_size: 32
    .workgroup_processor_mode: 1
  - .args:
      - .actual_access:  read_only
        .address_space:  global
        .offset:         0
        .size:           8
        .value_kind:     global_buffer
      - .actual_access:  read_only
        .address_space:  global
        .offset:         8
        .size:           8
        .value_kind:     global_buffer
      - .actual_access:  read_only
        .address_space:  global
        .offset:         16
        .size:           8
        .value_kind:     global_buffer
      - .offset:         24
        .size:           4
        .value_kind:     by_value
      - .offset:         28
        .size:           4
        .value_kind:     by_value
      - .actual_access:  read_only
        .address_space:  global
        .offset:         32
        .size:           8
        .value_kind:     global_buffer
      - .actual_access:  read_only
        .address_space:  global
        .offset:         40
        .size:           8
        .value_kind:     global_buffer
      - .actual_access:  read_only
        .address_space:  global
        .offset:         48
        .size:           8
        .value_kind:     global_buffer
      - .offset:         56
        .size:           4
        .value_kind:     by_value
      - .actual_access:  read_only
        .address_space:  global
        .offset:         64
        .size:           8
        .value_kind:     global_buffer
      - .offset:         72
        .size:           4
        .value_kind:     by_value
      - .offset:         76
        .size:           4
        .value_kind:     by_value
      - .offset:         80
        .size:           4
        .value_kind:     by_value
      - .actual_access:  write_only
        .address_space:  global
        .offset:         88
        .size:           8
        .value_kind:     global_buffer
      - .actual_access:  write_only
        .address_space:  global
        .offset:         96
        .size:           8
        .value_kind:     global_buffer
      - .actual_access:  write_only
        .address_space:  global
        .offset:         104
        .size:           8
        .value_kind:     global_buffer
      - .actual_access:  read_only
        .address_space:  global
        .offset:         112
        .size:           8
        .value_kind:     global_buffer
      - .offset:         120
        .size:           4
        .value_kind:     by_value
      - .address_space:  global
        .offset:         128
        .size:           8
        .value_kind:     global_buffer
      - .address_space:  global
        .offset:         136
        .size:           8
        .value_kind:     global_buffer
      - .offset:         144
        .size:           4
        .value_kind:     hidden_block_count_x
      - .offset:         148
        .size:           4
        .value_kind:     hidden_block_count_y
      - .offset:         152
        .size:           4
        .value_kind:     hidden_block_count_z
      - .offset:         156
        .size:           2
        .value_kind:     hidden_group_size_x
      - .offset:         158
        .size:           2
        .value_kind:     hidden_group_size_y
      - .offset:         160
        .size:           2
        .value_kind:     hidden_group_size_z
      - .offset:         162
        .size:           2
        .value_kind:     hidden_remainder_x
      - .offset:         164
        .size:           2
        .value_kind:     hidden_remainder_y
      - .offset:         166
        .size:           2
        .value_kind:     hidden_remainder_z
      - .offset:         184
        .size:           8
        .value_kind:     hidden_global_offset_x
      - .offset:         192
        .size:           8
        .value_kind:     hidden_global_offset_y
      - .offset:         200
        .size:           8
        .value_kind:     hidden_global_offset_z
      - .offset:         208
        .size:           2
        .value_kind:     hidden_grid_dims
    .group_segment_fixed_size: 17472
    .kernarg_segment_align: 8
    .kernarg_segment_size: 400
    .language:       OpenCL C
    .language_version:
      - 2
      - 0
    .max_flat_workgroup_size: 256
    .name:           _Z39paged_attention_ll4mi_QKV_mfma16_kernelIDF16_hLN4vllm18Fp8KVCacheDataTypeE1EDF16_Li32ELi64ELi256ELb1ELi4EL8MFMAType1EEvPKT_PKT0_S8_ifPKiSA_SA_iPKfiiiPfSD_PS3_PT2_iSC_SC_
    .private_segment_fixed_size: 0
    .sgpr_count:     44
    .sgpr_spill_count: 0
    .symbol:         _Z39paged_attention_ll4mi_QKV_mfma16_kernelIDF16_hLN4vllm18Fp8KVCacheDataTypeE1EDF16_Li32ELi64ELi256ELb1ELi4EL8MFMAType1EEvPKT_PKT0_S8_ifPKiSA_SA_iPKfiiiPfSD_PS3_PT2_iSC_SC_.kd
    .uniform_work_group_size: 1
    .uses_dynamic_stack: false
    .vgpr_count:     123
    .vgpr_spill_count: 0
    .wavefront_size: 32
    .workgroup_processor_mode: 1
  - .args:
      - .actual_access:  read_only
        .address_space:  global
        .offset:         0
        .size:           8
        .value_kind:     global_buffer
      - .actual_access:  read_only
        .address_space:  global
        .offset:         8
        .size:           8
        .value_kind:     global_buffer
      - .actual_access:  read_only
        .address_space:  global
        .offset:         16
        .size:           8
        .value_kind:     global_buffer
      - .offset:         24
        .size:           4
        .value_kind:     by_value
      - .offset:         28
        .size:           4
        .value_kind:     by_value
      - .actual_access:  read_only
        .address_space:  global
        .offset:         32
        .size:           8
        .value_kind:     global_buffer
      - .actual_access:  read_only
        .address_space:  global
        .offset:         40
        .size:           8
        .value_kind:     global_buffer
      - .actual_access:  read_only
        .address_space:  global
        .offset:         48
        .size:           8
        .value_kind:     global_buffer
      - .offset:         56
        .size:           4
        .value_kind:     by_value
      - .actual_access:  read_only
        .address_space:  global
        .offset:         64
        .size:           8
        .value_kind:     global_buffer
      - .offset:         72
        .size:           4
        .value_kind:     by_value
      - .offset:         76
        .size:           4
        .value_kind:     by_value
      - .offset:         80
        .size:           4
        .value_kind:     by_value
      - .actual_access:  read_only
        .address_space:  global
        .offset:         88
        .size:           8
        .value_kind:     global_buffer
      - .actual_access:  read_only
        .address_space:  global
        .offset:         96
        .size:           8
        .value_kind:     global_buffer
      - .actual_access:  read_only
        .address_space:  global
        .offset:         104
        .size:           8
        .value_kind:     global_buffer
      - .actual_access:  read_only
        .address_space:  global
        .offset:         112
        .size:           8
        .value_kind:     global_buffer
      - .offset:         120
        .size:           4
        .value_kind:     by_value
      - .address_space:  global
        .offset:         128
        .size:           8
        .value_kind:     global_buffer
      - .address_space:  global
        .offset:         136
        .size:           8
        .value_kind:     global_buffer
      - .offset:         144
        .size:           4
        .value_kind:     hidden_block_count_x
      - .offset:         148
        .size:           4
        .value_kind:     hidden_block_count_y
      - .offset:         152
        .size:           4
        .value_kind:     hidden_block_count_z
      - .offset:         156
        .size:           2
        .value_kind:     hidden_group_size_x
      - .offset:         158
        .size:           2
        .value_kind:     hidden_group_size_y
      - .offset:         160
        .size:           2
        .value_kind:     hidden_group_size_z
      - .offset:         162
        .size:           2
        .value_kind:     hidden_remainder_x
      - .offset:         164
        .size:           2
        .value_kind:     hidden_remainder_y
      - .offset:         166
        .size:           2
        .value_kind:     hidden_remainder_z
      - .offset:         184
        .size:           8
        .value_kind:     hidden_global_offset_x
      - .offset:         192
        .size:           8
        .value_kind:     hidden_global_offset_y
      - .offset:         200
        .size:           8
        .value_kind:     hidden_global_offset_z
      - .offset:         208
        .size:           2
        .value_kind:     hidden_grid_dims
      - .offset:         224
        .size:           8
        .value_kind:     hidden_hostcall_buffer
    .group_segment_fixed_size: 0
    .kernarg_segment_align: 8
    .kernarg_segment_size: 400
    .language:       OpenCL C
    .language_version:
      - 2
      - 0
    .max_flat_workgroup_size: 256
    .name:           _Z38paged_attention_ll4mi_QKV_mfma4_kernelIDF16_hLN4vllm18Fp8KVCacheDataTypeE1EDF16_Li32ELi64ELi256ELb0ELi1EEvPKT_PKT0_S7_ifPKiS9_S9_iPKfiiiPfSC_PS2_PT2_iSB_SB_
    .private_segment_fixed_size: 64
    .sgpr_count:     36
    .sgpr_spill_count: 0
    .symbol:         _Z38paged_attention_ll4mi_QKV_mfma4_kernelIDF16_hLN4vllm18Fp8KVCacheDataTypeE1EDF16_Li32ELi64ELi256ELb0ELi1EEvPKT_PKT0_S7_ifPKiS9_S9_iPKfiiiPfSC_PS2_PT2_iSB_SB_.kd
    .uniform_work_group_size: 1
    .uses_dynamic_stack: false
    .vgpr_count:     41
    .vgpr_spill_count: 0
    .wavefront_size: 32
    .workgroup_processor_mode: 1
  - .args:
      - .actual_access:  read_only
        .address_space:  global
        .offset:         0
        .size:           8
        .value_kind:     global_buffer
      - .actual_access:  read_only
        .address_space:  global
        .offset:         8
        .size:           8
        .value_kind:     global_buffer
      - .actual_access:  read_only
        .address_space:  global
        .offset:         16
        .size:           8
        .value_kind:     global_buffer
      - .offset:         24
        .size:           4
        .value_kind:     by_value
      - .offset:         28
        .size:           4
        .value_kind:     by_value
      - .actual_access:  read_only
        .address_space:  global
        .offset:         32
        .size:           8
        .value_kind:     global_buffer
      - .actual_access:  read_only
        .address_space:  global
        .offset:         40
        .size:           8
        .value_kind:     global_buffer
      - .actual_access:  read_only
        .address_space:  global
        .offset:         48
        .size:           8
        .value_kind:     global_buffer
      - .offset:         56
        .size:           4
        .value_kind:     by_value
      - .actual_access:  read_only
        .address_space:  global
        .offset:         64
        .size:           8
        .value_kind:     global_buffer
      - .offset:         72
        .size:           4
        .value_kind:     by_value
      - .offset:         76
        .size:           4
        .value_kind:     by_value
      - .offset:         80
        .size:           4
        .value_kind:     by_value
      - .actual_access:  read_only
        .address_space:  global
        .offset:         88
        .size:           8
        .value_kind:     global_buffer
      - .actual_access:  read_only
        .address_space:  global
        .offset:         96
        .size:           8
        .value_kind:     global_buffer
      - .actual_access:  read_only
        .address_space:  global
        .offset:         104
        .size:           8
        .value_kind:     global_buffer
      - .actual_access:  read_only
        .address_space:  global
        .offset:         112
        .size:           8
        .value_kind:     global_buffer
      - .offset:         120
        .size:           4
        .value_kind:     by_value
      - .address_space:  global
        .offset:         128
        .size:           8
        .value_kind:     global_buffer
      - .address_space:  global
        .offset:         136
        .size:           8
        .value_kind:     global_buffer
      - .offset:         144
        .size:           4
        .value_kind:     hidden_block_count_x
      - .offset:         148
        .size:           4
        .value_kind:     hidden_block_count_y
      - .offset:         152
        .size:           4
        .value_kind:     hidden_block_count_z
      - .offset:         156
        .size:           2
        .value_kind:     hidden_group_size_x
      - .offset:         158
        .size:           2
        .value_kind:     hidden_group_size_y
      - .offset:         160
        .size:           2
        .value_kind:     hidden_group_size_z
      - .offset:         162
        .size:           2
        .value_kind:     hidden_remainder_x
      - .offset:         164
        .size:           2
        .value_kind:     hidden_remainder_y
      - .offset:         166
        .size:           2
        .value_kind:     hidden_remainder_z
      - .offset:         184
        .size:           8
        .value_kind:     hidden_global_offset_x
      - .offset:         192
        .size:           8
        .value_kind:     hidden_global_offset_y
      - .offset:         200
        .size:           8
        .value_kind:     hidden_global_offset_z
      - .offset:         208
        .size:           2
        .value_kind:     hidden_grid_dims
      - .offset:         224
        .size:           8
        .value_kind:     hidden_hostcall_buffer
    .group_segment_fixed_size: 0
    .kernarg_segment_align: 8
    .kernarg_segment_size: 400
    .language:       OpenCL C
    .language_version:
      - 2
      - 0
    .max_flat_workgroup_size: 256
    .name:           _Z38paged_attention_ll4mi_QKV_mfma4_kernelIDF16_hLN4vllm18Fp8KVCacheDataTypeE1EDF16_Li32ELi64ELi256ELb0ELi2EEvPKT_PKT0_S7_ifPKiS9_S9_iPKfiiiPfSC_PS2_PT2_iSB_SB_
    .private_segment_fixed_size: 64
    .sgpr_count:     36
    .sgpr_spill_count: 0
    .symbol:         _Z38paged_attention_ll4mi_QKV_mfma4_kernelIDF16_hLN4vllm18Fp8KVCacheDataTypeE1EDF16_Li32ELi64ELi256ELb0ELi2EEvPKT_PKT0_S7_ifPKiS9_S9_iPKfiiiPfSC_PS2_PT2_iSB_SB_.kd
    .uniform_work_group_size: 1
    .uses_dynamic_stack: false
    .vgpr_count:     41
    .vgpr_spill_count: 0
    .wavefront_size: 32
    .workgroup_processor_mode: 1
  - .args:
      - .actual_access:  read_only
        .address_space:  global
        .offset:         0
        .size:           8
        .value_kind:     global_buffer
      - .actual_access:  read_only
        .address_space:  global
        .offset:         8
        .size:           8
        .value_kind:     global_buffer
      - .actual_access:  read_only
        .address_space:  global
        .offset:         16
        .size:           8
        .value_kind:     global_buffer
      - .offset:         24
        .size:           4
        .value_kind:     by_value
      - .offset:         28
        .size:           4
        .value_kind:     by_value
      - .actual_access:  read_only
        .address_space:  global
        .offset:         32
        .size:           8
        .value_kind:     global_buffer
      - .actual_access:  read_only
        .address_space:  global
        .offset:         40
        .size:           8
        .value_kind:     global_buffer
      - .actual_access:  read_only
        .address_space:  global
        .offset:         48
        .size:           8
        .value_kind:     global_buffer
      - .offset:         56
        .size:           4
        .value_kind:     by_value
      - .actual_access:  read_only
        .address_space:  global
        .offset:         64
        .size:           8
        .value_kind:     global_buffer
      - .offset:         72
        .size:           4
        .value_kind:     by_value
      - .offset:         76
        .size:           4
        .value_kind:     by_value
      - .offset:         80
        .size:           4
        .value_kind:     by_value
      - .actual_access:  read_only
        .address_space:  global
        .offset:         88
        .size:           8
        .value_kind:     global_buffer
      - .actual_access:  read_only
        .address_space:  global
        .offset:         96
        .size:           8
        .value_kind:     global_buffer
      - .actual_access:  read_only
        .address_space:  global
        .offset:         104
        .size:           8
        .value_kind:     global_buffer
      - .actual_access:  read_only
        .address_space:  global
        .offset:         112
        .size:           8
        .value_kind:     global_buffer
      - .offset:         120
        .size:           4
        .value_kind:     by_value
      - .address_space:  global
        .offset:         128
        .size:           8
        .value_kind:     global_buffer
      - .address_space:  global
        .offset:         136
        .size:           8
        .value_kind:     global_buffer
      - .offset:         144
        .size:           4
        .value_kind:     hidden_block_count_x
      - .offset:         148
        .size:           4
        .value_kind:     hidden_block_count_y
      - .offset:         152
        .size:           4
        .value_kind:     hidden_block_count_z
      - .offset:         156
        .size:           2
        .value_kind:     hidden_group_size_x
      - .offset:         158
        .size:           2
        .value_kind:     hidden_group_size_y
      - .offset:         160
        .size:           2
        .value_kind:     hidden_group_size_z
      - .offset:         162
        .size:           2
        .value_kind:     hidden_remainder_x
      - .offset:         164
        .size:           2
        .value_kind:     hidden_remainder_y
      - .offset:         166
        .size:           2
        .value_kind:     hidden_remainder_z
      - .offset:         184
        .size:           8
        .value_kind:     hidden_global_offset_x
      - .offset:         192
        .size:           8
        .value_kind:     hidden_global_offset_y
      - .offset:         200
        .size:           8
        .value_kind:     hidden_global_offset_z
      - .offset:         208
        .size:           2
        .value_kind:     hidden_grid_dims
      - .offset:         224
        .size:           8
        .value_kind:     hidden_hostcall_buffer
    .group_segment_fixed_size: 0
    .kernarg_segment_align: 8
    .kernarg_segment_size: 400
    .language:       OpenCL C
    .language_version:
      - 2
      - 0
    .max_flat_workgroup_size: 256
    .name:           _Z38paged_attention_ll4mi_QKV_mfma4_kernelIDF16_hLN4vllm18Fp8KVCacheDataTypeE1EDF16_Li32ELi64ELi256ELb0ELi3EEvPKT_PKT0_S7_ifPKiS9_S9_iPKfiiiPfSC_PS2_PT2_iSB_SB_
    .private_segment_fixed_size: 64
    .sgpr_count:     36
    .sgpr_spill_count: 0
    .symbol:         _Z38paged_attention_ll4mi_QKV_mfma4_kernelIDF16_hLN4vllm18Fp8KVCacheDataTypeE1EDF16_Li32ELi64ELi256ELb0ELi3EEvPKT_PKT0_S7_ifPKiS9_S9_iPKfiiiPfSC_PS2_PT2_iSB_SB_.kd
    .uniform_work_group_size: 1
    .uses_dynamic_stack: false
    .vgpr_count:     41
    .vgpr_spill_count: 0
    .wavefront_size: 32
    .workgroup_processor_mode: 1
  - .args:
      - .actual_access:  read_only
        .address_space:  global
        .offset:         0
        .size:           8
        .value_kind:     global_buffer
      - .actual_access:  read_only
        .address_space:  global
        .offset:         8
        .size:           8
        .value_kind:     global_buffer
      - .actual_access:  read_only
        .address_space:  global
        .offset:         16
        .size:           8
        .value_kind:     global_buffer
      - .offset:         24
        .size:           4
        .value_kind:     by_value
      - .offset:         28
        .size:           4
        .value_kind:     by_value
      - .actual_access:  read_only
        .address_space:  global
        .offset:         32
        .size:           8
        .value_kind:     global_buffer
      - .actual_access:  read_only
        .address_space:  global
        .offset:         40
        .size:           8
        .value_kind:     global_buffer
      - .actual_access:  read_only
        .address_space:  global
        .offset:         48
        .size:           8
        .value_kind:     global_buffer
      - .offset:         56
        .size:           4
        .value_kind:     by_value
      - .actual_access:  read_only
        .address_space:  global
        .offset:         64
        .size:           8
        .value_kind:     global_buffer
      - .offset:         72
        .size:           4
        .value_kind:     by_value
      - .offset:         76
        .size:           4
        .value_kind:     by_value
      - .offset:         80
        .size:           4
        .value_kind:     by_value
      - .actual_access:  read_only
        .address_space:  global
        .offset:         88
        .size:           8
        .value_kind:     global_buffer
      - .actual_access:  read_only
        .address_space:  global
        .offset:         96
        .size:           8
        .value_kind:     global_buffer
      - .actual_access:  read_only
        .address_space:  global
        .offset:         104
        .size:           8
        .value_kind:     global_buffer
      - .actual_access:  read_only
        .address_space:  global
        .offset:         112
        .size:           8
        .value_kind:     global_buffer
      - .offset:         120
        .size:           4
        .value_kind:     by_value
      - .address_space:  global
        .offset:         128
        .size:           8
        .value_kind:     global_buffer
      - .address_space:  global
        .offset:         136
        .size:           8
        .value_kind:     global_buffer
      - .offset:         144
        .size:           4
        .value_kind:     hidden_block_count_x
      - .offset:         148
        .size:           4
        .value_kind:     hidden_block_count_y
      - .offset:         152
        .size:           4
        .value_kind:     hidden_block_count_z
      - .offset:         156
        .size:           2
        .value_kind:     hidden_group_size_x
      - .offset:         158
        .size:           2
        .value_kind:     hidden_group_size_y
      - .offset:         160
        .size:           2
        .value_kind:     hidden_group_size_z
      - .offset:         162
        .size:           2
        .value_kind:     hidden_remainder_x
      - .offset:         164
        .size:           2
        .value_kind:     hidden_remainder_y
      - .offset:         166
        .size:           2
        .value_kind:     hidden_remainder_z
      - .offset:         184
        .size:           8
        .value_kind:     hidden_global_offset_x
      - .offset:         192
        .size:           8
        .value_kind:     hidden_global_offset_y
      - .offset:         200
        .size:           8
        .value_kind:     hidden_global_offset_z
      - .offset:         208
        .size:           2
        .value_kind:     hidden_grid_dims
      - .offset:         224
        .size:           8
        .value_kind:     hidden_hostcall_buffer
    .group_segment_fixed_size: 0
    .kernarg_segment_align: 8
    .kernarg_segment_size: 400
    .language:       OpenCL C
    .language_version:
      - 2
      - 0
    .max_flat_workgroup_size: 256
    .name:           _Z38paged_attention_ll4mi_QKV_mfma4_kernelIDF16_hLN4vllm18Fp8KVCacheDataTypeE1EDF16_Li32ELi64ELi256ELb0ELi4EEvPKT_PKT0_S7_ifPKiS9_S9_iPKfiiiPfSC_PS2_PT2_iSB_SB_
    .private_segment_fixed_size: 64
    .sgpr_count:     36
    .sgpr_spill_count: 0
    .symbol:         _Z38paged_attention_ll4mi_QKV_mfma4_kernelIDF16_hLN4vllm18Fp8KVCacheDataTypeE1EDF16_Li32ELi64ELi256ELb0ELi4EEvPKT_PKT0_S7_ifPKiS9_S9_iPKfiiiPfSC_PS2_PT2_iSB_SB_.kd
    .uniform_work_group_size: 1
    .uses_dynamic_stack: false
    .vgpr_count:     41
    .vgpr_spill_count: 0
    .wavefront_size: 32
    .workgroup_processor_mode: 1
  - .args:
      - .actual_access:  read_only
        .address_space:  global
        .offset:         0
        .size:           8
        .value_kind:     global_buffer
      - .actual_access:  read_only
        .address_space:  global
        .offset:         8
        .size:           8
        .value_kind:     global_buffer
      - .actual_access:  read_only
        .address_space:  global
        .offset:         16
        .size:           8
        .value_kind:     global_buffer
      - .offset:         24
        .size:           4
        .value_kind:     by_value
      - .offset:         28
        .size:           4
        .value_kind:     by_value
      - .actual_access:  read_only
        .address_space:  global
        .offset:         32
        .size:           8
        .value_kind:     global_buffer
      - .actual_access:  read_only
        .address_space:  global
        .offset:         40
        .size:           8
        .value_kind:     global_buffer
      - .actual_access:  read_only
        .address_space:  global
        .offset:         48
        .size:           8
        .value_kind:     global_buffer
      - .offset:         56
        .size:           4
        .value_kind:     by_value
      - .actual_access:  read_only
        .address_space:  global
        .offset:         64
        .size:           8
        .value_kind:     global_buffer
      - .offset:         72
        .size:           4
        .value_kind:     by_value
      - .offset:         76
        .size:           4
        .value_kind:     by_value
      - .offset:         80
        .size:           4
        .value_kind:     by_value
      - .actual_access:  write_only
        .address_space:  global
        .offset:         88
        .size:           8
        .value_kind:     global_buffer
      - .actual_access:  write_only
        .address_space:  global
        .offset:         96
        .size:           8
        .value_kind:     global_buffer
      - .actual_access:  write_only
        .address_space:  global
        .offset:         104
        .size:           8
        .value_kind:     global_buffer
      - .actual_access:  read_only
        .address_space:  global
        .offset:         112
        .size:           8
        .value_kind:     global_buffer
      - .offset:         120
        .size:           4
        .value_kind:     by_value
      - .address_space:  global
        .offset:         128
        .size:           8
        .value_kind:     global_buffer
      - .address_space:  global
        .offset:         136
        .size:           8
        .value_kind:     global_buffer
      - .offset:         144
        .size:           4
        .value_kind:     hidden_block_count_x
      - .offset:         148
        .size:           4
        .value_kind:     hidden_block_count_y
      - .offset:         152
        .size:           4
        .value_kind:     hidden_block_count_z
      - .offset:         156
        .size:           2
        .value_kind:     hidden_group_size_x
      - .offset:         158
        .size:           2
        .value_kind:     hidden_group_size_y
      - .offset:         160
        .size:           2
        .value_kind:     hidden_group_size_z
      - .offset:         162
        .size:           2
        .value_kind:     hidden_remainder_x
      - .offset:         164
        .size:           2
        .value_kind:     hidden_remainder_y
      - .offset:         166
        .size:           2
        .value_kind:     hidden_remainder_z
      - .offset:         184
        .size:           8
        .value_kind:     hidden_global_offset_x
      - .offset:         192
        .size:           8
        .value_kind:     hidden_global_offset_y
      - .offset:         200
        .size:           8
        .value_kind:     hidden_global_offset_z
      - .offset:         208
        .size:           2
        .value_kind:     hidden_grid_dims
    .group_segment_fixed_size: 17472
    .kernarg_segment_align: 8
    .kernarg_segment_size: 400
    .language:       OpenCL C
    .language_version:
      - 2
      - 0
    .max_flat_workgroup_size: 256
    .name:           _Z39paged_attention_ll4mi_QKV_mfma16_kernelIDF16_hLN4vllm18Fp8KVCacheDataTypeE1EDF16_Li32ELi64ELi256ELb0ELi5EL8MFMAType1EEvPKT_PKT0_S8_ifPKiSA_SA_iPKfiiiPfSD_PS3_PT2_iSC_SC_
    .private_segment_fixed_size: 0
    .sgpr_count:     39
    .sgpr_spill_count: 0
    .symbol:         _Z39paged_attention_ll4mi_QKV_mfma16_kernelIDF16_hLN4vllm18Fp8KVCacheDataTypeE1EDF16_Li32ELi64ELi256ELb0ELi5EL8MFMAType1EEvPKT_PKT0_S8_ifPKiSA_SA_iPKfiiiPfSD_PS3_PT2_iSC_SC_.kd
    .uniform_work_group_size: 1
    .uses_dynamic_stack: false
    .vgpr_count:     146
    .vgpr_spill_count: 0
    .wavefront_size: 32
    .workgroup_processor_mode: 1
  - .args:
      - .actual_access:  read_only
        .address_space:  global
        .offset:         0
        .size:           8
        .value_kind:     global_buffer
      - .actual_access:  read_only
        .address_space:  global
        .offset:         8
        .size:           8
        .value_kind:     global_buffer
      - .actual_access:  read_only
        .address_space:  global
        .offset:         16
        .size:           8
        .value_kind:     global_buffer
      - .offset:         24
        .size:           4
        .value_kind:     by_value
      - .offset:         28
        .size:           4
        .value_kind:     by_value
      - .actual_access:  read_only
        .address_space:  global
        .offset:         32
        .size:           8
        .value_kind:     global_buffer
      - .actual_access:  read_only
        .address_space:  global
        .offset:         40
        .size:           8
        .value_kind:     global_buffer
      - .actual_access:  read_only
        .address_space:  global
        .offset:         48
        .size:           8
        .value_kind:     global_buffer
      - .offset:         56
        .size:           4
        .value_kind:     by_value
      - .actual_access:  read_only
        .address_space:  global
        .offset:         64
        .size:           8
        .value_kind:     global_buffer
      - .offset:         72
        .size:           4
        .value_kind:     by_value
      - .offset:         76
        .size:           4
        .value_kind:     by_value
      - .offset:         80
        .size:           4
        .value_kind:     by_value
      - .actual_access:  write_only
        .address_space:  global
        .offset:         88
        .size:           8
        .value_kind:     global_buffer
      - .actual_access:  write_only
        .address_space:  global
        .offset:         96
        .size:           8
        .value_kind:     global_buffer
      - .actual_access:  write_only
        .address_space:  global
        .offset:         104
        .size:           8
        .value_kind:     global_buffer
      - .actual_access:  read_only
        .address_space:  global
        .offset:         112
        .size:           8
        .value_kind:     global_buffer
      - .offset:         120
        .size:           4
        .value_kind:     by_value
      - .address_space:  global
        .offset:         128
        .size:           8
        .value_kind:     global_buffer
      - .address_space:  global
        .offset:         136
        .size:           8
        .value_kind:     global_buffer
      - .offset:         144
        .size:           4
        .value_kind:     hidden_block_count_x
      - .offset:         148
        .size:           4
        .value_kind:     hidden_block_count_y
      - .offset:         152
        .size:           4
        .value_kind:     hidden_block_count_z
      - .offset:         156
        .size:           2
        .value_kind:     hidden_group_size_x
      - .offset:         158
        .size:           2
        .value_kind:     hidden_group_size_y
      - .offset:         160
        .size:           2
        .value_kind:     hidden_group_size_z
      - .offset:         162
        .size:           2
        .value_kind:     hidden_remainder_x
      - .offset:         164
        .size:           2
        .value_kind:     hidden_remainder_y
      - .offset:         166
        .size:           2
        .value_kind:     hidden_remainder_z
      - .offset:         184
        .size:           8
        .value_kind:     hidden_global_offset_x
      - .offset:         192
        .size:           8
        .value_kind:     hidden_global_offset_y
      - .offset:         200
        .size:           8
        .value_kind:     hidden_global_offset_z
      - .offset:         208
        .size:           2
        .value_kind:     hidden_grid_dims
    .group_segment_fixed_size: 17472
    .kernarg_segment_align: 8
    .kernarg_segment_size: 400
    .language:       OpenCL C
    .language_version:
      - 2
      - 0
    .max_flat_workgroup_size: 256
    .name:           _Z39paged_attention_ll4mi_QKV_mfma16_kernelIDF16_hLN4vllm18Fp8KVCacheDataTypeE1EDF16_Li32ELi64ELi256ELb0ELi6EL8MFMAType1EEvPKT_PKT0_S8_ifPKiSA_SA_iPKfiiiPfSD_PS3_PT2_iSC_SC_
    .private_segment_fixed_size: 0
    .sgpr_count:     40
    .sgpr_spill_count: 0
    .symbol:         _Z39paged_attention_ll4mi_QKV_mfma16_kernelIDF16_hLN4vllm18Fp8KVCacheDataTypeE1EDF16_Li32ELi64ELi256ELb0ELi6EL8MFMAType1EEvPKT_PKT0_S8_ifPKiSA_SA_iPKfiiiPfSD_PS3_PT2_iSC_SC_.kd
    .uniform_work_group_size: 1
    .uses_dynamic_stack: false
    .vgpr_count:     146
    .vgpr_spill_count: 0
    .wavefront_size: 32
    .workgroup_processor_mode: 1
  - .args:
      - .actual_access:  read_only
        .address_space:  global
        .offset:         0
        .size:           8
        .value_kind:     global_buffer
      - .actual_access:  read_only
        .address_space:  global
        .offset:         8
        .size:           8
        .value_kind:     global_buffer
      - .actual_access:  read_only
        .address_space:  global
        .offset:         16
        .size:           8
        .value_kind:     global_buffer
      - .offset:         24
        .size:           4
        .value_kind:     by_value
      - .offset:         28
        .size:           4
        .value_kind:     by_value
      - .actual_access:  read_only
        .address_space:  global
        .offset:         32
        .size:           8
        .value_kind:     global_buffer
      - .actual_access:  read_only
        .address_space:  global
        .offset:         40
        .size:           8
        .value_kind:     global_buffer
      - .actual_access:  read_only
        .address_space:  global
        .offset:         48
        .size:           8
        .value_kind:     global_buffer
      - .offset:         56
        .size:           4
        .value_kind:     by_value
      - .actual_access:  read_only
        .address_space:  global
        .offset:         64
        .size:           8
        .value_kind:     global_buffer
      - .offset:         72
        .size:           4
        .value_kind:     by_value
      - .offset:         76
        .size:           4
        .value_kind:     by_value
      - .offset:         80
        .size:           4
        .value_kind:     by_value
      - .actual_access:  write_only
        .address_space:  global
        .offset:         88
        .size:           8
        .value_kind:     global_buffer
      - .actual_access:  write_only
        .address_space:  global
        .offset:         96
        .size:           8
        .value_kind:     global_buffer
      - .actual_access:  write_only
        .address_space:  global
        .offset:         104
        .size:           8
        .value_kind:     global_buffer
      - .actual_access:  read_only
        .address_space:  global
        .offset:         112
        .size:           8
        .value_kind:     global_buffer
      - .offset:         120
        .size:           4
        .value_kind:     by_value
      - .address_space:  global
        .offset:         128
        .size:           8
        .value_kind:     global_buffer
      - .address_space:  global
        .offset:         136
        .size:           8
        .value_kind:     global_buffer
      - .offset:         144
        .size:           4
        .value_kind:     hidden_block_count_x
      - .offset:         148
        .size:           4
        .value_kind:     hidden_block_count_y
      - .offset:         152
        .size:           4
        .value_kind:     hidden_block_count_z
      - .offset:         156
        .size:           2
        .value_kind:     hidden_group_size_x
      - .offset:         158
        .size:           2
        .value_kind:     hidden_group_size_y
      - .offset:         160
        .size:           2
        .value_kind:     hidden_group_size_z
      - .offset:         162
        .size:           2
        .value_kind:     hidden_remainder_x
      - .offset:         164
        .size:           2
        .value_kind:     hidden_remainder_y
      - .offset:         166
        .size:           2
        .value_kind:     hidden_remainder_z
      - .offset:         184
        .size:           8
        .value_kind:     hidden_global_offset_x
      - .offset:         192
        .size:           8
        .value_kind:     hidden_global_offset_y
      - .offset:         200
        .size:           8
        .value_kind:     hidden_global_offset_z
      - .offset:         208
        .size:           2
        .value_kind:     hidden_grid_dims
    .group_segment_fixed_size: 17472
    .kernarg_segment_align: 8
    .kernarg_segment_size: 400
    .language:       OpenCL C
    .language_version:
      - 2
      - 0
    .max_flat_workgroup_size: 256
    .name:           _Z39paged_attention_ll4mi_QKV_mfma16_kernelIDF16_hLN4vllm18Fp8KVCacheDataTypeE1EDF16_Li32ELi64ELi256ELb0ELi7EL8MFMAType1EEvPKT_PKT0_S8_ifPKiSA_SA_iPKfiiiPfSD_PS3_PT2_iSC_SC_
    .private_segment_fixed_size: 0
    .sgpr_count:     39
    .sgpr_spill_count: 0
    .symbol:         _Z39paged_attention_ll4mi_QKV_mfma16_kernelIDF16_hLN4vllm18Fp8KVCacheDataTypeE1EDF16_Li32ELi64ELi256ELb0ELi7EL8MFMAType1EEvPKT_PKT0_S8_ifPKiSA_SA_iPKfiiiPfSD_PS3_PT2_iSC_SC_.kd
    .uniform_work_group_size: 1
    .uses_dynamic_stack: false
    .vgpr_count:     146
    .vgpr_spill_count: 0
    .wavefront_size: 32
    .workgroup_processor_mode: 1
  - .args:
      - .actual_access:  read_only
        .address_space:  global
        .offset:         0
        .size:           8
        .value_kind:     global_buffer
      - .actual_access:  read_only
        .address_space:  global
        .offset:         8
        .size:           8
        .value_kind:     global_buffer
      - .actual_access:  read_only
        .address_space:  global
        .offset:         16
        .size:           8
        .value_kind:     global_buffer
      - .offset:         24
        .size:           4
        .value_kind:     by_value
      - .offset:         28
        .size:           4
        .value_kind:     by_value
      - .actual_access:  read_only
        .address_space:  global
        .offset:         32
        .size:           8
        .value_kind:     global_buffer
      - .actual_access:  read_only
        .address_space:  global
        .offset:         40
        .size:           8
        .value_kind:     global_buffer
      - .actual_access:  read_only
        .address_space:  global
        .offset:         48
        .size:           8
        .value_kind:     global_buffer
      - .offset:         56
        .size:           4
        .value_kind:     by_value
      - .actual_access:  read_only
        .address_space:  global
        .offset:         64
        .size:           8
        .value_kind:     global_buffer
      - .offset:         72
        .size:           4
        .value_kind:     by_value
      - .offset:         76
        .size:           4
        .value_kind:     by_value
      - .offset:         80
        .size:           4
        .value_kind:     by_value
      - .actual_access:  write_only
        .address_space:  global
        .offset:         88
        .size:           8
        .value_kind:     global_buffer
      - .actual_access:  write_only
        .address_space:  global
        .offset:         96
        .size:           8
        .value_kind:     global_buffer
      - .actual_access:  write_only
        .address_space:  global
        .offset:         104
        .size:           8
        .value_kind:     global_buffer
      - .actual_access:  read_only
        .address_space:  global
        .offset:         112
        .size:           8
        .value_kind:     global_buffer
      - .offset:         120
        .size:           4
        .value_kind:     by_value
      - .address_space:  global
        .offset:         128
        .size:           8
        .value_kind:     global_buffer
      - .address_space:  global
        .offset:         136
        .size:           8
        .value_kind:     global_buffer
      - .offset:         144
        .size:           4
        .value_kind:     hidden_block_count_x
      - .offset:         148
        .size:           4
        .value_kind:     hidden_block_count_y
      - .offset:         152
        .size:           4
        .value_kind:     hidden_block_count_z
      - .offset:         156
        .size:           2
        .value_kind:     hidden_group_size_x
      - .offset:         158
        .size:           2
        .value_kind:     hidden_group_size_y
      - .offset:         160
        .size:           2
        .value_kind:     hidden_group_size_z
      - .offset:         162
        .size:           2
        .value_kind:     hidden_remainder_x
      - .offset:         164
        .size:           2
        .value_kind:     hidden_remainder_y
      - .offset:         166
        .size:           2
        .value_kind:     hidden_remainder_z
      - .offset:         184
        .size:           8
        .value_kind:     hidden_global_offset_x
      - .offset:         192
        .size:           8
        .value_kind:     hidden_global_offset_y
      - .offset:         200
        .size:           8
        .value_kind:     hidden_global_offset_z
      - .offset:         208
        .size:           2
        .value_kind:     hidden_grid_dims
    .group_segment_fixed_size: 17472
    .kernarg_segment_align: 8
    .kernarg_segment_size: 400
    .language:       OpenCL C
    .language_version:
      - 2
      - 0
    .max_flat_workgroup_size: 256
    .name:           _Z39paged_attention_ll4mi_QKV_mfma16_kernelIDF16_hLN4vllm18Fp8KVCacheDataTypeE1EDF16_Li32ELi64ELi256ELb0ELi8EL8MFMAType1EEvPKT_PKT0_S8_ifPKiSA_SA_iPKfiiiPfSD_PS3_PT2_iSC_SC_
    .private_segment_fixed_size: 0
    .sgpr_count:     44
    .sgpr_spill_count: 0
    .symbol:         _Z39paged_attention_ll4mi_QKV_mfma16_kernelIDF16_hLN4vllm18Fp8KVCacheDataTypeE1EDF16_Li32ELi64ELi256ELb0ELi8EL8MFMAType1EEvPKT_PKT0_S8_ifPKiSA_SA_iPKfiiiPfSD_PS3_PT2_iSC_SC_.kd
    .uniform_work_group_size: 1
    .uses_dynamic_stack: false
    .vgpr_count:     123
    .vgpr_spill_count: 0
    .wavefront_size: 32
    .workgroup_processor_mode: 1
  - .args:
      - .actual_access:  read_only
        .address_space:  global
        .offset:         0
        .size:           8
        .value_kind:     global_buffer
      - .actual_access:  read_only
        .address_space:  global
        .offset:         8
        .size:           8
        .value_kind:     global_buffer
      - .actual_access:  read_only
        .address_space:  global
        .offset:         16
        .size:           8
        .value_kind:     global_buffer
      - .offset:         24
        .size:           4
        .value_kind:     by_value
      - .offset:         28
        .size:           4
        .value_kind:     by_value
      - .actual_access:  read_only
        .address_space:  global
        .offset:         32
        .size:           8
        .value_kind:     global_buffer
      - .actual_access:  read_only
        .address_space:  global
        .offset:         40
        .size:           8
        .value_kind:     global_buffer
      - .actual_access:  read_only
        .address_space:  global
        .offset:         48
        .size:           8
        .value_kind:     global_buffer
      - .offset:         56
        .size:           4
        .value_kind:     by_value
      - .actual_access:  read_only
        .address_space:  global
        .offset:         64
        .size:           8
        .value_kind:     global_buffer
      - .offset:         72
        .size:           4
        .value_kind:     by_value
      - .offset:         76
        .size:           4
        .value_kind:     by_value
      - .offset:         80
        .size:           4
        .value_kind:     by_value
      - .actual_access:  write_only
        .address_space:  global
        .offset:         88
        .size:           8
        .value_kind:     global_buffer
      - .actual_access:  write_only
        .address_space:  global
        .offset:         96
        .size:           8
        .value_kind:     global_buffer
      - .actual_access:  write_only
        .address_space:  global
        .offset:         104
        .size:           8
        .value_kind:     global_buffer
      - .actual_access:  read_only
        .address_space:  global
        .offset:         112
        .size:           8
        .value_kind:     global_buffer
      - .offset:         120
        .size:           4
        .value_kind:     by_value
      - .address_space:  global
        .offset:         128
        .size:           8
        .value_kind:     global_buffer
      - .address_space:  global
        .offset:         136
        .size:           8
        .value_kind:     global_buffer
      - .offset:         144
        .size:           4
        .value_kind:     hidden_block_count_x
      - .offset:         148
        .size:           4
        .value_kind:     hidden_block_count_y
      - .offset:         152
        .size:           4
        .value_kind:     hidden_block_count_z
      - .offset:         156
        .size:           2
        .value_kind:     hidden_group_size_x
      - .offset:         158
        .size:           2
        .value_kind:     hidden_group_size_y
      - .offset:         160
        .size:           2
        .value_kind:     hidden_group_size_z
      - .offset:         162
        .size:           2
        .value_kind:     hidden_remainder_x
      - .offset:         164
        .size:           2
        .value_kind:     hidden_remainder_y
      - .offset:         166
        .size:           2
        .value_kind:     hidden_remainder_z
      - .offset:         184
        .size:           8
        .value_kind:     hidden_global_offset_x
      - .offset:         192
        .size:           8
        .value_kind:     hidden_global_offset_y
      - .offset:         200
        .size:           8
        .value_kind:     hidden_global_offset_z
      - .offset:         208
        .size:           2
        .value_kind:     hidden_grid_dims
    .group_segment_fixed_size: 17472
    .kernarg_segment_align: 8
    .kernarg_segment_size: 400
    .language:       OpenCL C
    .language_version:
      - 2
      - 0
    .max_flat_workgroup_size: 256
    .name:           _Z39paged_attention_ll4mi_QKV_mfma16_kernelIDF16_hLN4vllm18Fp8KVCacheDataTypeE1EDF16_Li32ELi64ELi256ELb0ELi9EL8MFMAType1EEvPKT_PKT0_S8_ifPKiSA_SA_iPKfiiiPfSD_PS3_PT2_iSC_SC_
    .private_segment_fixed_size: 0
    .sgpr_count:     39
    .sgpr_spill_count: 0
    .symbol:         _Z39paged_attention_ll4mi_QKV_mfma16_kernelIDF16_hLN4vllm18Fp8KVCacheDataTypeE1EDF16_Li32ELi64ELi256ELb0ELi9EL8MFMAType1EEvPKT_PKT0_S8_ifPKiSA_SA_iPKfiiiPfSD_PS3_PT2_iSC_SC_.kd
    .uniform_work_group_size: 1
    .uses_dynamic_stack: false
    .vgpr_count:     146
    .vgpr_spill_count: 0
    .wavefront_size: 32
    .workgroup_processor_mode: 1
  - .args:
      - .actual_access:  read_only
        .address_space:  global
        .offset:         0
        .size:           8
        .value_kind:     global_buffer
      - .actual_access:  read_only
        .address_space:  global
        .offset:         8
        .size:           8
        .value_kind:     global_buffer
      - .actual_access:  read_only
        .address_space:  global
        .offset:         16
        .size:           8
        .value_kind:     global_buffer
      - .offset:         24
        .size:           4
        .value_kind:     by_value
      - .offset:         28
        .size:           4
        .value_kind:     by_value
      - .actual_access:  read_only
        .address_space:  global
        .offset:         32
        .size:           8
        .value_kind:     global_buffer
      - .actual_access:  read_only
        .address_space:  global
        .offset:         40
        .size:           8
        .value_kind:     global_buffer
      - .actual_access:  read_only
        .address_space:  global
        .offset:         48
        .size:           8
        .value_kind:     global_buffer
      - .offset:         56
        .size:           4
        .value_kind:     by_value
      - .actual_access:  read_only
        .address_space:  global
        .offset:         64
        .size:           8
        .value_kind:     global_buffer
      - .offset:         72
        .size:           4
        .value_kind:     by_value
      - .offset:         76
        .size:           4
        .value_kind:     by_value
      - .offset:         80
        .size:           4
        .value_kind:     by_value
      - .actual_access:  write_only
        .address_space:  global
        .offset:         88
        .size:           8
        .value_kind:     global_buffer
      - .actual_access:  write_only
        .address_space:  global
        .offset:         96
        .size:           8
        .value_kind:     global_buffer
      - .actual_access:  write_only
        .address_space:  global
        .offset:         104
        .size:           8
        .value_kind:     global_buffer
      - .actual_access:  read_only
        .address_space:  global
        .offset:         112
        .size:           8
        .value_kind:     global_buffer
      - .offset:         120
        .size:           4
        .value_kind:     by_value
      - .address_space:  global
        .offset:         128
        .size:           8
        .value_kind:     global_buffer
      - .address_space:  global
        .offset:         136
        .size:           8
        .value_kind:     global_buffer
      - .offset:         144
        .size:           4
        .value_kind:     hidden_block_count_x
      - .offset:         148
        .size:           4
        .value_kind:     hidden_block_count_y
      - .offset:         152
        .size:           4
        .value_kind:     hidden_block_count_z
      - .offset:         156
        .size:           2
        .value_kind:     hidden_group_size_x
      - .offset:         158
        .size:           2
        .value_kind:     hidden_group_size_y
      - .offset:         160
        .size:           2
        .value_kind:     hidden_group_size_z
      - .offset:         162
        .size:           2
        .value_kind:     hidden_remainder_x
      - .offset:         164
        .size:           2
        .value_kind:     hidden_remainder_y
      - .offset:         166
        .size:           2
        .value_kind:     hidden_remainder_z
      - .offset:         184
        .size:           8
        .value_kind:     hidden_global_offset_x
      - .offset:         192
        .size:           8
        .value_kind:     hidden_global_offset_y
      - .offset:         200
        .size:           8
        .value_kind:     hidden_global_offset_z
      - .offset:         208
        .size:           2
        .value_kind:     hidden_grid_dims
    .group_segment_fixed_size: 17472
    .kernarg_segment_align: 8
    .kernarg_segment_size: 400
    .language:       OpenCL C
    .language_version:
      - 2
      - 0
    .max_flat_workgroup_size: 256
    .name:           _Z39paged_attention_ll4mi_QKV_mfma16_kernelIDF16_hLN4vllm18Fp8KVCacheDataTypeE1EDF16_Li32ELi64ELi256ELb0ELi10EL8MFMAType1EEvPKT_PKT0_S8_ifPKiSA_SA_iPKfiiiPfSD_PS3_PT2_iSC_SC_
    .private_segment_fixed_size: 0
    .sgpr_count:     40
    .sgpr_spill_count: 0
    .symbol:         _Z39paged_attention_ll4mi_QKV_mfma16_kernelIDF16_hLN4vllm18Fp8KVCacheDataTypeE1EDF16_Li32ELi64ELi256ELb0ELi10EL8MFMAType1EEvPKT_PKT0_S8_ifPKiSA_SA_iPKfiiiPfSD_PS3_PT2_iSC_SC_.kd
    .uniform_work_group_size: 1
    .uses_dynamic_stack: false
    .vgpr_count:     146
    .vgpr_spill_count: 0
    .wavefront_size: 32
    .workgroup_processor_mode: 1
  - .args:
      - .actual_access:  read_only
        .address_space:  global
        .offset:         0
        .size:           8
        .value_kind:     global_buffer
      - .actual_access:  read_only
        .address_space:  global
        .offset:         8
        .size:           8
        .value_kind:     global_buffer
      - .actual_access:  read_only
        .address_space:  global
        .offset:         16
        .size:           8
        .value_kind:     global_buffer
      - .offset:         24
        .size:           4
        .value_kind:     by_value
      - .offset:         28
        .size:           4
        .value_kind:     by_value
      - .actual_access:  read_only
        .address_space:  global
        .offset:         32
        .size:           8
        .value_kind:     global_buffer
      - .actual_access:  read_only
        .address_space:  global
        .offset:         40
        .size:           8
        .value_kind:     global_buffer
      - .actual_access:  read_only
        .address_space:  global
        .offset:         48
        .size:           8
        .value_kind:     global_buffer
      - .offset:         56
        .size:           4
        .value_kind:     by_value
      - .actual_access:  read_only
        .address_space:  global
        .offset:         64
        .size:           8
        .value_kind:     global_buffer
      - .offset:         72
        .size:           4
        .value_kind:     by_value
      - .offset:         76
        .size:           4
        .value_kind:     by_value
      - .offset:         80
        .size:           4
        .value_kind:     by_value
      - .actual_access:  write_only
        .address_space:  global
        .offset:         88
        .size:           8
        .value_kind:     global_buffer
      - .actual_access:  write_only
        .address_space:  global
        .offset:         96
        .size:           8
        .value_kind:     global_buffer
      - .actual_access:  write_only
        .address_space:  global
        .offset:         104
        .size:           8
        .value_kind:     global_buffer
      - .actual_access:  read_only
        .address_space:  global
        .offset:         112
        .size:           8
        .value_kind:     global_buffer
      - .offset:         120
        .size:           4
        .value_kind:     by_value
      - .address_space:  global
        .offset:         128
        .size:           8
        .value_kind:     global_buffer
      - .address_space:  global
        .offset:         136
        .size:           8
        .value_kind:     global_buffer
      - .offset:         144
        .size:           4
        .value_kind:     hidden_block_count_x
      - .offset:         148
        .size:           4
        .value_kind:     hidden_block_count_y
      - .offset:         152
        .size:           4
        .value_kind:     hidden_block_count_z
      - .offset:         156
        .size:           2
        .value_kind:     hidden_group_size_x
      - .offset:         158
        .size:           2
        .value_kind:     hidden_group_size_y
      - .offset:         160
        .size:           2
        .value_kind:     hidden_group_size_z
      - .offset:         162
        .size:           2
        .value_kind:     hidden_remainder_x
      - .offset:         164
        .size:           2
        .value_kind:     hidden_remainder_y
      - .offset:         166
        .size:           2
        .value_kind:     hidden_remainder_z
      - .offset:         184
        .size:           8
        .value_kind:     hidden_global_offset_x
      - .offset:         192
        .size:           8
        .value_kind:     hidden_global_offset_y
      - .offset:         200
        .size:           8
        .value_kind:     hidden_global_offset_z
      - .offset:         208
        .size:           2
        .value_kind:     hidden_grid_dims
    .group_segment_fixed_size: 17472
    .kernarg_segment_align: 8
    .kernarg_segment_size: 400
    .language:       OpenCL C
    .language_version:
      - 2
      - 0
    .max_flat_workgroup_size: 256
    .name:           _Z39paged_attention_ll4mi_QKV_mfma16_kernelIDF16_hLN4vllm18Fp8KVCacheDataTypeE1EDF16_Li32ELi64ELi256ELb0ELi11EL8MFMAType1EEvPKT_PKT0_S8_ifPKiSA_SA_iPKfiiiPfSD_PS3_PT2_iSC_SC_
    .private_segment_fixed_size: 0
    .sgpr_count:     39
    .sgpr_spill_count: 0
    .symbol:         _Z39paged_attention_ll4mi_QKV_mfma16_kernelIDF16_hLN4vllm18Fp8KVCacheDataTypeE1EDF16_Li32ELi64ELi256ELb0ELi11EL8MFMAType1EEvPKT_PKT0_S8_ifPKiSA_SA_iPKfiiiPfSD_PS3_PT2_iSC_SC_.kd
    .uniform_work_group_size: 1
    .uses_dynamic_stack: false
    .vgpr_count:     146
    .vgpr_spill_count: 0
    .wavefront_size: 32
    .workgroup_processor_mode: 1
  - .args:
      - .actual_access:  read_only
        .address_space:  global
        .offset:         0
        .size:           8
        .value_kind:     global_buffer
      - .actual_access:  read_only
        .address_space:  global
        .offset:         8
        .size:           8
        .value_kind:     global_buffer
      - .actual_access:  read_only
        .address_space:  global
        .offset:         16
        .size:           8
        .value_kind:     global_buffer
      - .offset:         24
        .size:           4
        .value_kind:     by_value
      - .offset:         28
        .size:           4
        .value_kind:     by_value
      - .actual_access:  read_only
        .address_space:  global
        .offset:         32
        .size:           8
        .value_kind:     global_buffer
      - .actual_access:  read_only
        .address_space:  global
        .offset:         40
        .size:           8
        .value_kind:     global_buffer
      - .actual_access:  read_only
        .address_space:  global
        .offset:         48
        .size:           8
        .value_kind:     global_buffer
      - .offset:         56
        .size:           4
        .value_kind:     by_value
      - .actual_access:  read_only
        .address_space:  global
        .offset:         64
        .size:           8
        .value_kind:     global_buffer
      - .offset:         72
        .size:           4
        .value_kind:     by_value
      - .offset:         76
        .size:           4
        .value_kind:     by_value
      - .offset:         80
        .size:           4
        .value_kind:     by_value
      - .actual_access:  write_only
        .address_space:  global
        .offset:         88
        .size:           8
        .value_kind:     global_buffer
      - .actual_access:  write_only
        .address_space:  global
        .offset:         96
        .size:           8
        .value_kind:     global_buffer
      - .actual_access:  write_only
        .address_space:  global
        .offset:         104
        .size:           8
        .value_kind:     global_buffer
      - .actual_access:  read_only
        .address_space:  global
        .offset:         112
        .size:           8
        .value_kind:     global_buffer
      - .offset:         120
        .size:           4
        .value_kind:     by_value
      - .address_space:  global
        .offset:         128
        .size:           8
        .value_kind:     global_buffer
      - .address_space:  global
        .offset:         136
        .size:           8
        .value_kind:     global_buffer
      - .offset:         144
        .size:           4
        .value_kind:     hidden_block_count_x
      - .offset:         148
        .size:           4
        .value_kind:     hidden_block_count_y
      - .offset:         152
        .size:           4
        .value_kind:     hidden_block_count_z
      - .offset:         156
        .size:           2
        .value_kind:     hidden_group_size_x
      - .offset:         158
        .size:           2
        .value_kind:     hidden_group_size_y
      - .offset:         160
        .size:           2
        .value_kind:     hidden_group_size_z
      - .offset:         162
        .size:           2
        .value_kind:     hidden_remainder_x
      - .offset:         164
        .size:           2
        .value_kind:     hidden_remainder_y
      - .offset:         166
        .size:           2
        .value_kind:     hidden_remainder_z
      - .offset:         184
        .size:           8
        .value_kind:     hidden_global_offset_x
      - .offset:         192
        .size:           8
        .value_kind:     hidden_global_offset_y
      - .offset:         200
        .size:           8
        .value_kind:     hidden_global_offset_z
      - .offset:         208
        .size:           2
        .value_kind:     hidden_grid_dims
    .group_segment_fixed_size: 17472
    .kernarg_segment_align: 8
    .kernarg_segment_size: 400
    .language:       OpenCL C
    .language_version:
      - 2
      - 0
    .max_flat_workgroup_size: 256
    .name:           _Z39paged_attention_ll4mi_QKV_mfma16_kernelIDF16_hLN4vllm18Fp8KVCacheDataTypeE1EDF16_Li32ELi64ELi256ELb0ELi12EL8MFMAType1EEvPKT_PKT0_S8_ifPKiSA_SA_iPKfiiiPfSD_PS3_PT2_iSC_SC_
    .private_segment_fixed_size: 0
    .sgpr_count:     40
    .sgpr_spill_count: 0
    .symbol:         _Z39paged_attention_ll4mi_QKV_mfma16_kernelIDF16_hLN4vllm18Fp8KVCacheDataTypeE1EDF16_Li32ELi64ELi256ELb0ELi12EL8MFMAType1EEvPKT_PKT0_S8_ifPKiSA_SA_iPKfiiiPfSD_PS3_PT2_iSC_SC_.kd
    .uniform_work_group_size: 1
    .uses_dynamic_stack: false
    .vgpr_count:     146
    .vgpr_spill_count: 0
    .wavefront_size: 32
    .workgroup_processor_mode: 1
  - .args:
      - .actual_access:  read_only
        .address_space:  global
        .offset:         0
        .size:           8
        .value_kind:     global_buffer
      - .actual_access:  read_only
        .address_space:  global
        .offset:         8
        .size:           8
        .value_kind:     global_buffer
      - .actual_access:  read_only
        .address_space:  global
        .offset:         16
        .size:           8
        .value_kind:     global_buffer
      - .offset:         24
        .size:           4
        .value_kind:     by_value
      - .offset:         28
        .size:           4
        .value_kind:     by_value
      - .actual_access:  read_only
        .address_space:  global
        .offset:         32
        .size:           8
        .value_kind:     global_buffer
      - .actual_access:  read_only
        .address_space:  global
        .offset:         40
        .size:           8
        .value_kind:     global_buffer
      - .actual_access:  read_only
        .address_space:  global
        .offset:         48
        .size:           8
        .value_kind:     global_buffer
      - .offset:         56
        .size:           4
        .value_kind:     by_value
      - .actual_access:  read_only
        .address_space:  global
        .offset:         64
        .size:           8
        .value_kind:     global_buffer
      - .offset:         72
        .size:           4
        .value_kind:     by_value
      - .offset:         76
        .size:           4
        .value_kind:     by_value
      - .offset:         80
        .size:           4
        .value_kind:     by_value
      - .actual_access:  write_only
        .address_space:  global
        .offset:         88
        .size:           8
        .value_kind:     global_buffer
      - .actual_access:  write_only
        .address_space:  global
        .offset:         96
        .size:           8
        .value_kind:     global_buffer
      - .actual_access:  write_only
        .address_space:  global
        .offset:         104
        .size:           8
        .value_kind:     global_buffer
      - .actual_access:  read_only
        .address_space:  global
        .offset:         112
        .size:           8
        .value_kind:     global_buffer
      - .offset:         120
        .size:           4
        .value_kind:     by_value
      - .address_space:  global
        .offset:         128
        .size:           8
        .value_kind:     global_buffer
      - .address_space:  global
        .offset:         136
        .size:           8
        .value_kind:     global_buffer
      - .offset:         144
        .size:           4
        .value_kind:     hidden_block_count_x
      - .offset:         148
        .size:           4
        .value_kind:     hidden_block_count_y
      - .offset:         152
        .size:           4
        .value_kind:     hidden_block_count_z
      - .offset:         156
        .size:           2
        .value_kind:     hidden_group_size_x
      - .offset:         158
        .size:           2
        .value_kind:     hidden_group_size_y
      - .offset:         160
        .size:           2
        .value_kind:     hidden_group_size_z
      - .offset:         162
        .size:           2
        .value_kind:     hidden_remainder_x
      - .offset:         164
        .size:           2
        .value_kind:     hidden_remainder_y
      - .offset:         166
        .size:           2
        .value_kind:     hidden_remainder_z
      - .offset:         184
        .size:           8
        .value_kind:     hidden_global_offset_x
      - .offset:         192
        .size:           8
        .value_kind:     hidden_global_offset_y
      - .offset:         200
        .size:           8
        .value_kind:     hidden_global_offset_z
      - .offset:         208
        .size:           2
        .value_kind:     hidden_grid_dims
    .group_segment_fixed_size: 17472
    .kernarg_segment_align: 8
    .kernarg_segment_size: 400
    .language:       OpenCL C
    .language_version:
      - 2
      - 0
    .max_flat_workgroup_size: 256
    .name:           _Z39paged_attention_ll4mi_QKV_mfma16_kernelIDF16_hLN4vllm18Fp8KVCacheDataTypeE1EDF16_Li32ELi64ELi256ELb0ELi13EL8MFMAType1EEvPKT_PKT0_S8_ifPKiSA_SA_iPKfiiiPfSD_PS3_PT2_iSC_SC_
    .private_segment_fixed_size: 0
    .sgpr_count:     39
    .sgpr_spill_count: 0
    .symbol:         _Z39paged_attention_ll4mi_QKV_mfma16_kernelIDF16_hLN4vllm18Fp8KVCacheDataTypeE1EDF16_Li32ELi64ELi256ELb0ELi13EL8MFMAType1EEvPKT_PKT0_S8_ifPKiSA_SA_iPKfiiiPfSD_PS3_PT2_iSC_SC_.kd
    .uniform_work_group_size: 1
    .uses_dynamic_stack: false
    .vgpr_count:     146
    .vgpr_spill_count: 0
    .wavefront_size: 32
    .workgroup_processor_mode: 1
  - .args:
      - .actual_access:  read_only
        .address_space:  global
        .offset:         0
        .size:           8
        .value_kind:     global_buffer
      - .actual_access:  read_only
        .address_space:  global
        .offset:         8
        .size:           8
        .value_kind:     global_buffer
      - .actual_access:  read_only
        .address_space:  global
        .offset:         16
        .size:           8
        .value_kind:     global_buffer
      - .offset:         24
        .size:           4
        .value_kind:     by_value
      - .offset:         28
        .size:           4
        .value_kind:     by_value
      - .actual_access:  read_only
        .address_space:  global
        .offset:         32
        .size:           8
        .value_kind:     global_buffer
      - .actual_access:  read_only
        .address_space:  global
        .offset:         40
        .size:           8
        .value_kind:     global_buffer
      - .actual_access:  read_only
        .address_space:  global
        .offset:         48
        .size:           8
        .value_kind:     global_buffer
      - .offset:         56
        .size:           4
        .value_kind:     by_value
      - .actual_access:  read_only
        .address_space:  global
        .offset:         64
        .size:           8
        .value_kind:     global_buffer
      - .offset:         72
        .size:           4
        .value_kind:     by_value
      - .offset:         76
        .size:           4
        .value_kind:     by_value
      - .offset:         80
        .size:           4
        .value_kind:     by_value
      - .actual_access:  write_only
        .address_space:  global
        .offset:         88
        .size:           8
        .value_kind:     global_buffer
      - .actual_access:  write_only
        .address_space:  global
        .offset:         96
        .size:           8
        .value_kind:     global_buffer
      - .actual_access:  write_only
        .address_space:  global
        .offset:         104
        .size:           8
        .value_kind:     global_buffer
      - .actual_access:  read_only
        .address_space:  global
        .offset:         112
        .size:           8
        .value_kind:     global_buffer
      - .offset:         120
        .size:           4
        .value_kind:     by_value
      - .address_space:  global
        .offset:         128
        .size:           8
        .value_kind:     global_buffer
      - .address_space:  global
        .offset:         136
        .size:           8
        .value_kind:     global_buffer
      - .offset:         144
        .size:           4
        .value_kind:     hidden_block_count_x
      - .offset:         148
        .size:           4
        .value_kind:     hidden_block_count_y
      - .offset:         152
        .size:           4
        .value_kind:     hidden_block_count_z
      - .offset:         156
        .size:           2
        .value_kind:     hidden_group_size_x
      - .offset:         158
        .size:           2
        .value_kind:     hidden_group_size_y
      - .offset:         160
        .size:           2
        .value_kind:     hidden_group_size_z
      - .offset:         162
        .size:           2
        .value_kind:     hidden_remainder_x
      - .offset:         164
        .size:           2
        .value_kind:     hidden_remainder_y
      - .offset:         166
        .size:           2
        .value_kind:     hidden_remainder_z
      - .offset:         184
        .size:           8
        .value_kind:     hidden_global_offset_x
      - .offset:         192
        .size:           8
        .value_kind:     hidden_global_offset_y
      - .offset:         200
        .size:           8
        .value_kind:     hidden_global_offset_z
      - .offset:         208
        .size:           2
        .value_kind:     hidden_grid_dims
    .group_segment_fixed_size: 17472
    .kernarg_segment_align: 8
    .kernarg_segment_size: 400
    .language:       OpenCL C
    .language_version:
      - 2
      - 0
    .max_flat_workgroup_size: 256
    .name:           _Z39paged_attention_ll4mi_QKV_mfma16_kernelIDF16_hLN4vllm18Fp8KVCacheDataTypeE1EDF16_Li32ELi64ELi256ELb0ELi14EL8MFMAType1EEvPKT_PKT0_S8_ifPKiSA_SA_iPKfiiiPfSD_PS3_PT2_iSC_SC_
    .private_segment_fixed_size: 0
    .sgpr_count:     40
    .sgpr_spill_count: 0
    .symbol:         _Z39paged_attention_ll4mi_QKV_mfma16_kernelIDF16_hLN4vllm18Fp8KVCacheDataTypeE1EDF16_Li32ELi64ELi256ELb0ELi14EL8MFMAType1EEvPKT_PKT0_S8_ifPKiSA_SA_iPKfiiiPfSD_PS3_PT2_iSC_SC_.kd
    .uniform_work_group_size: 1
    .uses_dynamic_stack: false
    .vgpr_count:     146
    .vgpr_spill_count: 0
    .wavefront_size: 32
    .workgroup_processor_mode: 1
  - .args:
      - .actual_access:  read_only
        .address_space:  global
        .offset:         0
        .size:           8
        .value_kind:     global_buffer
      - .actual_access:  read_only
        .address_space:  global
        .offset:         8
        .size:           8
        .value_kind:     global_buffer
      - .actual_access:  read_only
        .address_space:  global
        .offset:         16
        .size:           8
        .value_kind:     global_buffer
      - .offset:         24
        .size:           4
        .value_kind:     by_value
      - .offset:         28
        .size:           4
        .value_kind:     by_value
      - .actual_access:  read_only
        .address_space:  global
        .offset:         32
        .size:           8
        .value_kind:     global_buffer
      - .actual_access:  read_only
        .address_space:  global
        .offset:         40
        .size:           8
        .value_kind:     global_buffer
      - .actual_access:  read_only
        .address_space:  global
        .offset:         48
        .size:           8
        .value_kind:     global_buffer
      - .offset:         56
        .size:           4
        .value_kind:     by_value
      - .actual_access:  read_only
        .address_space:  global
        .offset:         64
        .size:           8
        .value_kind:     global_buffer
      - .offset:         72
        .size:           4
        .value_kind:     by_value
      - .offset:         76
        .size:           4
        .value_kind:     by_value
      - .offset:         80
        .size:           4
        .value_kind:     by_value
      - .actual_access:  write_only
        .address_space:  global
        .offset:         88
        .size:           8
        .value_kind:     global_buffer
      - .actual_access:  write_only
        .address_space:  global
        .offset:         96
        .size:           8
        .value_kind:     global_buffer
      - .actual_access:  write_only
        .address_space:  global
        .offset:         104
        .size:           8
        .value_kind:     global_buffer
      - .actual_access:  read_only
        .address_space:  global
        .offset:         112
        .size:           8
        .value_kind:     global_buffer
      - .offset:         120
        .size:           4
        .value_kind:     by_value
      - .address_space:  global
        .offset:         128
        .size:           8
        .value_kind:     global_buffer
      - .address_space:  global
        .offset:         136
        .size:           8
        .value_kind:     global_buffer
      - .offset:         144
        .size:           4
        .value_kind:     hidden_block_count_x
      - .offset:         148
        .size:           4
        .value_kind:     hidden_block_count_y
      - .offset:         152
        .size:           4
        .value_kind:     hidden_block_count_z
      - .offset:         156
        .size:           2
        .value_kind:     hidden_group_size_x
      - .offset:         158
        .size:           2
        .value_kind:     hidden_group_size_y
      - .offset:         160
        .size:           2
        .value_kind:     hidden_group_size_z
      - .offset:         162
        .size:           2
        .value_kind:     hidden_remainder_x
      - .offset:         164
        .size:           2
        .value_kind:     hidden_remainder_y
      - .offset:         166
        .size:           2
        .value_kind:     hidden_remainder_z
      - .offset:         184
        .size:           8
        .value_kind:     hidden_global_offset_x
      - .offset:         192
        .size:           8
        .value_kind:     hidden_global_offset_y
      - .offset:         200
        .size:           8
        .value_kind:     hidden_global_offset_z
      - .offset:         208
        .size:           2
        .value_kind:     hidden_grid_dims
    .group_segment_fixed_size: 17472
    .kernarg_segment_align: 8
    .kernarg_segment_size: 400
    .language:       OpenCL C
    .language_version:
      - 2
      - 0
    .max_flat_workgroup_size: 256
    .name:           _Z39paged_attention_ll4mi_QKV_mfma16_kernelIDF16_hLN4vllm18Fp8KVCacheDataTypeE1EDF16_Li32ELi64ELi256ELb0ELi15EL8MFMAType1EEvPKT_PKT0_S8_ifPKiSA_SA_iPKfiiiPfSD_PS3_PT2_iSC_SC_
    .private_segment_fixed_size: 0
    .sgpr_count:     39
    .sgpr_spill_count: 0
    .symbol:         _Z39paged_attention_ll4mi_QKV_mfma16_kernelIDF16_hLN4vllm18Fp8KVCacheDataTypeE1EDF16_Li32ELi64ELi256ELb0ELi15EL8MFMAType1EEvPKT_PKT0_S8_ifPKiSA_SA_iPKfiiiPfSD_PS3_PT2_iSC_SC_.kd
    .uniform_work_group_size: 1
    .uses_dynamic_stack: false
    .vgpr_count:     146
    .vgpr_spill_count: 0
    .wavefront_size: 32
    .workgroup_processor_mode: 1
  - .args:
      - .actual_access:  read_only
        .address_space:  global
        .offset:         0
        .size:           8
        .value_kind:     global_buffer
      - .actual_access:  read_only
        .address_space:  global
        .offset:         8
        .size:           8
        .value_kind:     global_buffer
      - .actual_access:  read_only
        .address_space:  global
        .offset:         16
        .size:           8
        .value_kind:     global_buffer
      - .offset:         24
        .size:           4
        .value_kind:     by_value
      - .offset:         28
        .size:           4
        .value_kind:     by_value
      - .actual_access:  read_only
        .address_space:  global
        .offset:         32
        .size:           8
        .value_kind:     global_buffer
      - .actual_access:  read_only
        .address_space:  global
        .offset:         40
        .size:           8
        .value_kind:     global_buffer
      - .actual_access:  read_only
        .address_space:  global
        .offset:         48
        .size:           8
        .value_kind:     global_buffer
      - .offset:         56
        .size:           4
        .value_kind:     by_value
      - .actual_access:  read_only
        .address_space:  global
        .offset:         64
        .size:           8
        .value_kind:     global_buffer
      - .offset:         72
        .size:           4
        .value_kind:     by_value
      - .offset:         76
        .size:           4
        .value_kind:     by_value
      - .offset:         80
        .size:           4
        .value_kind:     by_value
      - .actual_access:  write_only
        .address_space:  global
        .offset:         88
        .size:           8
        .value_kind:     global_buffer
      - .actual_access:  write_only
        .address_space:  global
        .offset:         96
        .size:           8
        .value_kind:     global_buffer
      - .actual_access:  write_only
        .address_space:  global
        .offset:         104
        .size:           8
        .value_kind:     global_buffer
      - .actual_access:  read_only
        .address_space:  global
        .offset:         112
        .size:           8
        .value_kind:     global_buffer
      - .offset:         120
        .size:           4
        .value_kind:     by_value
      - .address_space:  global
        .offset:         128
        .size:           8
        .value_kind:     global_buffer
      - .address_space:  global
        .offset:         136
        .size:           8
        .value_kind:     global_buffer
      - .offset:         144
        .size:           4
        .value_kind:     hidden_block_count_x
      - .offset:         148
        .size:           4
        .value_kind:     hidden_block_count_y
      - .offset:         152
        .size:           4
        .value_kind:     hidden_block_count_z
      - .offset:         156
        .size:           2
        .value_kind:     hidden_group_size_x
      - .offset:         158
        .size:           2
        .value_kind:     hidden_group_size_y
      - .offset:         160
        .size:           2
        .value_kind:     hidden_group_size_z
      - .offset:         162
        .size:           2
        .value_kind:     hidden_remainder_x
      - .offset:         164
        .size:           2
        .value_kind:     hidden_remainder_y
      - .offset:         166
        .size:           2
        .value_kind:     hidden_remainder_z
      - .offset:         184
        .size:           8
        .value_kind:     hidden_global_offset_x
      - .offset:         192
        .size:           8
        .value_kind:     hidden_global_offset_y
      - .offset:         200
        .size:           8
        .value_kind:     hidden_global_offset_z
      - .offset:         208
        .size:           2
        .value_kind:     hidden_grid_dims
    .group_segment_fixed_size: 17472
    .kernarg_segment_align: 8
    .kernarg_segment_size: 400
    .language:       OpenCL C
    .language_version:
      - 2
      - 0
    .max_flat_workgroup_size: 256
    .name:           _Z39paged_attention_ll4mi_QKV_mfma16_kernelIDF16_hLN4vllm18Fp8KVCacheDataTypeE1EDF16_Li32ELi64ELi256ELb0ELi16EL8MFMAType1EEvPKT_PKT0_S8_ifPKiSA_SA_iPKfiiiPfSD_PS3_PT2_iSC_SC_
    .private_segment_fixed_size: 0
    .sgpr_count:     44
    .sgpr_spill_count: 0
    .symbol:         _Z39paged_attention_ll4mi_QKV_mfma16_kernelIDF16_hLN4vllm18Fp8KVCacheDataTypeE1EDF16_Li32ELi64ELi256ELb0ELi16EL8MFMAType1EEvPKT_PKT0_S8_ifPKiSA_SA_iPKfiiiPfSD_PS3_PT2_iSC_SC_.kd
    .uniform_work_group_size: 1
    .uses_dynamic_stack: false
    .vgpr_count:     123
    .vgpr_spill_count: 0
    .wavefront_size: 32
    .workgroup_processor_mode: 1
  - .args:
      - .actual_access:  read_only
        .address_space:  global
        .offset:         0
        .size:           8
        .value_kind:     global_buffer
      - .actual_access:  read_only
        .address_space:  global
        .offset:         8
        .size:           8
        .value_kind:     global_buffer
      - .actual_access:  read_only
        .address_space:  global
        .offset:         16
        .size:           8
        .value_kind:     global_buffer
      - .offset:         24
        .size:           4
        .value_kind:     by_value
      - .offset:         28
        .size:           4
        .value_kind:     by_value
      - .actual_access:  read_only
        .address_space:  global
        .offset:         32
        .size:           8
        .value_kind:     global_buffer
      - .actual_access:  read_only
        .address_space:  global
        .offset:         40
        .size:           8
        .value_kind:     global_buffer
      - .actual_access:  read_only
        .address_space:  global
        .offset:         48
        .size:           8
        .value_kind:     global_buffer
      - .offset:         56
        .size:           4
        .value_kind:     by_value
      - .actual_access:  read_only
        .address_space:  global
        .offset:         64
        .size:           8
        .value_kind:     global_buffer
      - .offset:         72
        .size:           4
        .value_kind:     by_value
      - .offset:         76
        .size:           4
        .value_kind:     by_value
      - .offset:         80
        .size:           4
        .value_kind:     by_value
      - .actual_access:  write_only
        .address_space:  global
        .offset:         88
        .size:           8
        .value_kind:     global_buffer
      - .actual_access:  write_only
        .address_space:  global
        .offset:         96
        .size:           8
        .value_kind:     global_buffer
      - .actual_access:  write_only
        .address_space:  global
        .offset:         104
        .size:           8
        .value_kind:     global_buffer
      - .actual_access:  read_only
        .address_space:  global
        .offset:         112
        .size:           8
        .value_kind:     global_buffer
      - .offset:         120
        .size:           4
        .value_kind:     by_value
      - .address_space:  global
        .offset:         128
        .size:           8
        .value_kind:     global_buffer
      - .address_space:  global
        .offset:         136
        .size:           8
        .value_kind:     global_buffer
      - .offset:         144
        .size:           4
        .value_kind:     hidden_block_count_x
      - .offset:         148
        .size:           4
        .value_kind:     hidden_block_count_y
      - .offset:         152
        .size:           4
        .value_kind:     hidden_block_count_z
      - .offset:         156
        .size:           2
        .value_kind:     hidden_group_size_x
      - .offset:         158
        .size:           2
        .value_kind:     hidden_group_size_y
      - .offset:         160
        .size:           2
        .value_kind:     hidden_group_size_z
      - .offset:         162
        .size:           2
        .value_kind:     hidden_remainder_x
      - .offset:         164
        .size:           2
        .value_kind:     hidden_remainder_y
      - .offset:         166
        .size:           2
        .value_kind:     hidden_remainder_z
      - .offset:         184
        .size:           8
        .value_kind:     hidden_global_offset_x
      - .offset:         192
        .size:           8
        .value_kind:     hidden_global_offset_y
      - .offset:         200
        .size:           8
        .value_kind:     hidden_global_offset_z
      - .offset:         208
        .size:           2
        .value_kind:     hidden_grid_dims
    .group_segment_fixed_size: 17472
    .kernarg_segment_align: 8
    .kernarg_segment_size: 400
    .language:       OpenCL C
    .language_version:
      - 2
      - 0
    .max_flat_workgroup_size: 256
    .name:           _Z39paged_attention_ll4mi_QKV_mfma16_kernelIDF16_hLN4vllm18Fp8KVCacheDataTypeE1EDF16_Li32ELi64ELi256ELb0ELi1EL8MFMAType1EEvPKT_PKT0_S8_ifPKiSA_SA_iPKfiiiPfSD_PS3_PT2_iSC_SC_
    .private_segment_fixed_size: 0
    .sgpr_count:     52
    .sgpr_spill_count: 0
    .symbol:         _Z39paged_attention_ll4mi_QKV_mfma16_kernelIDF16_hLN4vllm18Fp8KVCacheDataTypeE1EDF16_Li32ELi64ELi256ELb0ELi1EL8MFMAType1EEvPKT_PKT0_S8_ifPKiSA_SA_iPKfiiiPfSD_PS3_PT2_iSC_SC_.kd
    .uniform_work_group_size: 1
    .uses_dynamic_stack: false
    .vgpr_count:     144
    .vgpr_spill_count: 0
    .wavefront_size: 32
    .workgroup_processor_mode: 1
  - .args:
      - .actual_access:  read_only
        .address_space:  global
        .offset:         0
        .size:           8
        .value_kind:     global_buffer
      - .actual_access:  read_only
        .address_space:  global
        .offset:         8
        .size:           8
        .value_kind:     global_buffer
      - .actual_access:  read_only
        .address_space:  global
        .offset:         16
        .size:           8
        .value_kind:     global_buffer
      - .offset:         24
        .size:           4
        .value_kind:     by_value
      - .offset:         28
        .size:           4
        .value_kind:     by_value
      - .actual_access:  read_only
        .address_space:  global
        .offset:         32
        .size:           8
        .value_kind:     global_buffer
      - .actual_access:  read_only
        .address_space:  global
        .offset:         40
        .size:           8
        .value_kind:     global_buffer
      - .actual_access:  read_only
        .address_space:  global
        .offset:         48
        .size:           8
        .value_kind:     global_buffer
      - .offset:         56
        .size:           4
        .value_kind:     by_value
      - .actual_access:  read_only
        .address_space:  global
        .offset:         64
        .size:           8
        .value_kind:     global_buffer
      - .offset:         72
        .size:           4
        .value_kind:     by_value
      - .offset:         76
        .size:           4
        .value_kind:     by_value
      - .offset:         80
        .size:           4
        .value_kind:     by_value
      - .actual_access:  write_only
        .address_space:  global
        .offset:         88
        .size:           8
        .value_kind:     global_buffer
      - .actual_access:  write_only
        .address_space:  global
        .offset:         96
        .size:           8
        .value_kind:     global_buffer
      - .actual_access:  write_only
        .address_space:  global
        .offset:         104
        .size:           8
        .value_kind:     global_buffer
      - .actual_access:  read_only
        .address_space:  global
        .offset:         112
        .size:           8
        .value_kind:     global_buffer
      - .offset:         120
        .size:           4
        .value_kind:     by_value
      - .address_space:  global
        .offset:         128
        .size:           8
        .value_kind:     global_buffer
      - .address_space:  global
        .offset:         136
        .size:           8
        .value_kind:     global_buffer
      - .offset:         144
        .size:           4
        .value_kind:     hidden_block_count_x
      - .offset:         148
        .size:           4
        .value_kind:     hidden_block_count_y
      - .offset:         152
        .size:           4
        .value_kind:     hidden_block_count_z
      - .offset:         156
        .size:           2
        .value_kind:     hidden_group_size_x
      - .offset:         158
        .size:           2
        .value_kind:     hidden_group_size_y
      - .offset:         160
        .size:           2
        .value_kind:     hidden_group_size_z
      - .offset:         162
        .size:           2
        .value_kind:     hidden_remainder_x
      - .offset:         164
        .size:           2
        .value_kind:     hidden_remainder_y
      - .offset:         166
        .size:           2
        .value_kind:     hidden_remainder_z
      - .offset:         184
        .size:           8
        .value_kind:     hidden_global_offset_x
      - .offset:         192
        .size:           8
        .value_kind:     hidden_global_offset_y
      - .offset:         200
        .size:           8
        .value_kind:     hidden_global_offset_z
      - .offset:         208
        .size:           2
        .value_kind:     hidden_grid_dims
    .group_segment_fixed_size: 17472
    .kernarg_segment_align: 8
    .kernarg_segment_size: 400
    .language:       OpenCL C
    .language_version:
      - 2
      - 0
    .max_flat_workgroup_size: 256
    .name:           _Z39paged_attention_ll4mi_QKV_mfma16_kernelIDF16_hLN4vllm18Fp8KVCacheDataTypeE1EDF16_Li32ELi64ELi256ELb0ELi2EL8MFMAType1EEvPKT_PKT0_S8_ifPKiSA_SA_iPKfiiiPfSD_PS3_PT2_iSC_SC_
    .private_segment_fixed_size: 0
    .sgpr_count:     40
    .sgpr_spill_count: 0
    .symbol:         _Z39paged_attention_ll4mi_QKV_mfma16_kernelIDF16_hLN4vllm18Fp8KVCacheDataTypeE1EDF16_Li32ELi64ELi256ELb0ELi2EL8MFMAType1EEvPKT_PKT0_S8_ifPKiSA_SA_iPKfiiiPfSD_PS3_PT2_iSC_SC_.kd
    .uniform_work_group_size: 1
    .uses_dynamic_stack: false
    .vgpr_count:     148
    .vgpr_spill_count: 0
    .wavefront_size: 32
    .workgroup_processor_mode: 1
  - .args:
      - .actual_access:  read_only
        .address_space:  global
        .offset:         0
        .size:           8
        .value_kind:     global_buffer
      - .actual_access:  read_only
        .address_space:  global
        .offset:         8
        .size:           8
        .value_kind:     global_buffer
      - .actual_access:  read_only
        .address_space:  global
        .offset:         16
        .size:           8
        .value_kind:     global_buffer
      - .offset:         24
        .size:           4
        .value_kind:     by_value
      - .offset:         28
        .size:           4
        .value_kind:     by_value
      - .actual_access:  read_only
        .address_space:  global
        .offset:         32
        .size:           8
        .value_kind:     global_buffer
      - .actual_access:  read_only
        .address_space:  global
        .offset:         40
        .size:           8
        .value_kind:     global_buffer
      - .actual_access:  read_only
        .address_space:  global
        .offset:         48
        .size:           8
        .value_kind:     global_buffer
      - .offset:         56
        .size:           4
        .value_kind:     by_value
      - .actual_access:  read_only
        .address_space:  global
        .offset:         64
        .size:           8
        .value_kind:     global_buffer
      - .offset:         72
        .size:           4
        .value_kind:     by_value
      - .offset:         76
        .size:           4
        .value_kind:     by_value
      - .offset:         80
        .size:           4
        .value_kind:     by_value
      - .actual_access:  write_only
        .address_space:  global
        .offset:         88
        .size:           8
        .value_kind:     global_buffer
      - .actual_access:  write_only
        .address_space:  global
        .offset:         96
        .size:           8
        .value_kind:     global_buffer
      - .actual_access:  write_only
        .address_space:  global
        .offset:         104
        .size:           8
        .value_kind:     global_buffer
      - .actual_access:  read_only
        .address_space:  global
        .offset:         112
        .size:           8
        .value_kind:     global_buffer
      - .offset:         120
        .size:           4
        .value_kind:     by_value
      - .address_space:  global
        .offset:         128
        .size:           8
        .value_kind:     global_buffer
      - .address_space:  global
        .offset:         136
        .size:           8
        .value_kind:     global_buffer
      - .offset:         144
        .size:           4
        .value_kind:     hidden_block_count_x
      - .offset:         148
        .size:           4
        .value_kind:     hidden_block_count_y
      - .offset:         152
        .size:           4
        .value_kind:     hidden_block_count_z
      - .offset:         156
        .size:           2
        .value_kind:     hidden_group_size_x
      - .offset:         158
        .size:           2
        .value_kind:     hidden_group_size_y
      - .offset:         160
        .size:           2
        .value_kind:     hidden_group_size_z
      - .offset:         162
        .size:           2
        .value_kind:     hidden_remainder_x
      - .offset:         164
        .size:           2
        .value_kind:     hidden_remainder_y
      - .offset:         166
        .size:           2
        .value_kind:     hidden_remainder_z
      - .offset:         184
        .size:           8
        .value_kind:     hidden_global_offset_x
      - .offset:         192
        .size:           8
        .value_kind:     hidden_global_offset_y
      - .offset:         200
        .size:           8
        .value_kind:     hidden_global_offset_z
      - .offset:         208
        .size:           2
        .value_kind:     hidden_grid_dims
    .group_segment_fixed_size: 17472
    .kernarg_segment_align: 8
    .kernarg_segment_size: 400
    .language:       OpenCL C
    .language_version:
      - 2
      - 0
    .max_flat_workgroup_size: 256
    .name:           _Z39paged_attention_ll4mi_QKV_mfma16_kernelIDF16_hLN4vllm18Fp8KVCacheDataTypeE1EDF16_Li32ELi64ELi256ELb0ELi3EL8MFMAType1EEvPKT_PKT0_S8_ifPKiSA_SA_iPKfiiiPfSD_PS3_PT2_iSC_SC_
    .private_segment_fixed_size: 0
    .sgpr_count:     39
    .sgpr_spill_count: 0
    .symbol:         _Z39paged_attention_ll4mi_QKV_mfma16_kernelIDF16_hLN4vllm18Fp8KVCacheDataTypeE1EDF16_Li32ELi64ELi256ELb0ELi3EL8MFMAType1EEvPKT_PKT0_S8_ifPKiSA_SA_iPKfiiiPfSD_PS3_PT2_iSC_SC_.kd
    .uniform_work_group_size: 1
    .uses_dynamic_stack: false
    .vgpr_count:     146
    .vgpr_spill_count: 0
    .wavefront_size: 32
    .workgroup_processor_mode: 1
  - .args:
      - .actual_access:  read_only
        .address_space:  global
        .offset:         0
        .size:           8
        .value_kind:     global_buffer
      - .actual_access:  read_only
        .address_space:  global
        .offset:         8
        .size:           8
        .value_kind:     global_buffer
      - .actual_access:  read_only
        .address_space:  global
        .offset:         16
        .size:           8
        .value_kind:     global_buffer
      - .offset:         24
        .size:           4
        .value_kind:     by_value
      - .offset:         28
        .size:           4
        .value_kind:     by_value
      - .actual_access:  read_only
        .address_space:  global
        .offset:         32
        .size:           8
        .value_kind:     global_buffer
      - .actual_access:  read_only
        .address_space:  global
        .offset:         40
        .size:           8
        .value_kind:     global_buffer
      - .actual_access:  read_only
        .address_space:  global
        .offset:         48
        .size:           8
        .value_kind:     global_buffer
      - .offset:         56
        .size:           4
        .value_kind:     by_value
      - .actual_access:  read_only
        .address_space:  global
        .offset:         64
        .size:           8
        .value_kind:     global_buffer
      - .offset:         72
        .size:           4
        .value_kind:     by_value
      - .offset:         76
        .size:           4
        .value_kind:     by_value
      - .offset:         80
        .size:           4
        .value_kind:     by_value
      - .actual_access:  write_only
        .address_space:  global
        .offset:         88
        .size:           8
        .value_kind:     global_buffer
      - .actual_access:  write_only
        .address_space:  global
        .offset:         96
        .size:           8
        .value_kind:     global_buffer
      - .actual_access:  write_only
        .address_space:  global
        .offset:         104
        .size:           8
        .value_kind:     global_buffer
      - .actual_access:  read_only
        .address_space:  global
        .offset:         112
        .size:           8
        .value_kind:     global_buffer
      - .offset:         120
        .size:           4
        .value_kind:     by_value
      - .address_space:  global
        .offset:         128
        .size:           8
        .value_kind:     global_buffer
      - .address_space:  global
        .offset:         136
        .size:           8
        .value_kind:     global_buffer
      - .offset:         144
        .size:           4
        .value_kind:     hidden_block_count_x
      - .offset:         148
        .size:           4
        .value_kind:     hidden_block_count_y
      - .offset:         152
        .size:           4
        .value_kind:     hidden_block_count_z
      - .offset:         156
        .size:           2
        .value_kind:     hidden_group_size_x
      - .offset:         158
        .size:           2
        .value_kind:     hidden_group_size_y
      - .offset:         160
        .size:           2
        .value_kind:     hidden_group_size_z
      - .offset:         162
        .size:           2
        .value_kind:     hidden_remainder_x
      - .offset:         164
        .size:           2
        .value_kind:     hidden_remainder_y
      - .offset:         166
        .size:           2
        .value_kind:     hidden_remainder_z
      - .offset:         184
        .size:           8
        .value_kind:     hidden_global_offset_x
      - .offset:         192
        .size:           8
        .value_kind:     hidden_global_offset_y
      - .offset:         200
        .size:           8
        .value_kind:     hidden_global_offset_z
      - .offset:         208
        .size:           2
        .value_kind:     hidden_grid_dims
    .group_segment_fixed_size: 17472
    .kernarg_segment_align: 8
    .kernarg_segment_size: 400
    .language:       OpenCL C
    .language_version:
      - 2
      - 0
    .max_flat_workgroup_size: 256
    .name:           _Z39paged_attention_ll4mi_QKV_mfma16_kernelIDF16_hLN4vllm18Fp8KVCacheDataTypeE1EDF16_Li32ELi64ELi256ELb0ELi4EL8MFMAType1EEvPKT_PKT0_S8_ifPKiSA_SA_iPKfiiiPfSD_PS3_PT2_iSC_SC_
    .private_segment_fixed_size: 0
    .sgpr_count:     44
    .sgpr_spill_count: 0
    .symbol:         _Z39paged_attention_ll4mi_QKV_mfma16_kernelIDF16_hLN4vllm18Fp8KVCacheDataTypeE1EDF16_Li32ELi64ELi256ELb0ELi4EL8MFMAType1EEvPKT_PKT0_S8_ifPKiSA_SA_iPKfiiiPfSD_PS3_PT2_iSC_SC_.kd
    .uniform_work_group_size: 1
    .uses_dynamic_stack: false
    .vgpr_count:     123
    .vgpr_spill_count: 0
    .wavefront_size: 32
    .workgroup_processor_mode: 1
  - .args:
      - .actual_access:  read_only
        .address_space:  global
        .offset:         0
        .size:           8
        .value_kind:     global_buffer
      - .actual_access:  read_only
        .address_space:  global
        .offset:         8
        .size:           8
        .value_kind:     global_buffer
      - .actual_access:  read_only
        .address_space:  global
        .offset:         16
        .size:           8
        .value_kind:     global_buffer
      - .offset:         24
        .size:           4
        .value_kind:     by_value
      - .offset:         28
        .size:           4
        .value_kind:     by_value
      - .actual_access:  read_only
        .address_space:  global
        .offset:         32
        .size:           8
        .value_kind:     global_buffer
      - .actual_access:  read_only
        .address_space:  global
        .offset:         40
        .size:           8
        .value_kind:     global_buffer
      - .actual_access:  read_only
        .address_space:  global
        .offset:         48
        .size:           8
        .value_kind:     global_buffer
      - .offset:         56
        .size:           4
        .value_kind:     by_value
      - .actual_access:  read_only
        .address_space:  global
        .offset:         64
        .size:           8
        .value_kind:     global_buffer
      - .offset:         72
        .size:           4
        .value_kind:     by_value
      - .offset:         76
        .size:           4
        .value_kind:     by_value
      - .offset:         80
        .size:           4
        .value_kind:     by_value
      - .actual_access:  read_only
        .address_space:  global
        .offset:         88
        .size:           8
        .value_kind:     global_buffer
      - .actual_access:  read_only
        .address_space:  global
        .offset:         96
        .size:           8
        .value_kind:     global_buffer
      - .actual_access:  read_only
        .address_space:  global
        .offset:         104
        .size:           8
        .value_kind:     global_buffer
      - .actual_access:  read_only
        .address_space:  global
        .offset:         112
        .size:           8
        .value_kind:     global_buffer
      - .offset:         120
        .size:           4
        .value_kind:     by_value
      - .address_space:  global
        .offset:         128
        .size:           8
        .value_kind:     global_buffer
      - .address_space:  global
        .offset:         136
        .size:           8
        .value_kind:     global_buffer
      - .offset:         144
        .size:           4
        .value_kind:     hidden_block_count_x
      - .offset:         148
        .size:           4
        .value_kind:     hidden_block_count_y
      - .offset:         152
        .size:           4
        .value_kind:     hidden_block_count_z
      - .offset:         156
        .size:           2
        .value_kind:     hidden_group_size_x
      - .offset:         158
        .size:           2
        .value_kind:     hidden_group_size_y
      - .offset:         160
        .size:           2
        .value_kind:     hidden_group_size_z
      - .offset:         162
        .size:           2
        .value_kind:     hidden_remainder_x
      - .offset:         164
        .size:           2
        .value_kind:     hidden_remainder_y
      - .offset:         166
        .size:           2
        .value_kind:     hidden_remainder_z
      - .offset:         184
        .size:           8
        .value_kind:     hidden_global_offset_x
      - .offset:         192
        .size:           8
        .value_kind:     hidden_global_offset_y
      - .offset:         200
        .size:           8
        .value_kind:     hidden_global_offset_z
      - .offset:         208
        .size:           2
        .value_kind:     hidden_grid_dims
      - .offset:         224
        .size:           8
        .value_kind:     hidden_hostcall_buffer
    .group_segment_fixed_size: 0
    .kernarg_segment_align: 8
    .kernarg_segment_size: 400
    .language:       OpenCL C
    .language_version:
      - 2
      - 0
    .max_flat_workgroup_size: 256
    .name:           _Z38paged_attention_ll4mi_QKV_mfma4_kernelIDF16_hLN4vllm18Fp8KVCacheDataTypeE1EhLi16ELi128ELi256ELb1ELi1EEvPKT_PKT0_S7_ifPKiS9_S9_iPKfiiiPfSC_PS2_PT2_iSB_SB_
    .private_segment_fixed_size: 64
    .sgpr_count:     36
    .sgpr_spill_count: 0
    .symbol:         _Z38paged_attention_ll4mi_QKV_mfma4_kernelIDF16_hLN4vllm18Fp8KVCacheDataTypeE1EhLi16ELi128ELi256ELb1ELi1EEvPKT_PKT0_S7_ifPKiS9_S9_iPKfiiiPfSC_PS2_PT2_iSB_SB_.kd
    .uniform_work_group_size: 1
    .uses_dynamic_stack: false
    .vgpr_count:     41
    .vgpr_spill_count: 0
    .wavefront_size: 32
    .workgroup_processor_mode: 1
  - .args:
      - .actual_access:  read_only
        .address_space:  global
        .offset:         0
        .size:           8
        .value_kind:     global_buffer
      - .actual_access:  read_only
        .address_space:  global
        .offset:         8
        .size:           8
        .value_kind:     global_buffer
      - .actual_access:  read_only
        .address_space:  global
        .offset:         16
        .size:           8
        .value_kind:     global_buffer
      - .offset:         24
        .size:           4
        .value_kind:     by_value
      - .offset:         28
        .size:           4
        .value_kind:     by_value
      - .actual_access:  read_only
        .address_space:  global
        .offset:         32
        .size:           8
        .value_kind:     global_buffer
      - .actual_access:  read_only
        .address_space:  global
        .offset:         40
        .size:           8
        .value_kind:     global_buffer
      - .actual_access:  read_only
        .address_space:  global
        .offset:         48
        .size:           8
        .value_kind:     global_buffer
      - .offset:         56
        .size:           4
        .value_kind:     by_value
      - .actual_access:  read_only
        .address_space:  global
        .offset:         64
        .size:           8
        .value_kind:     global_buffer
      - .offset:         72
        .size:           4
        .value_kind:     by_value
      - .offset:         76
        .size:           4
        .value_kind:     by_value
      - .offset:         80
        .size:           4
        .value_kind:     by_value
      - .actual_access:  read_only
        .address_space:  global
        .offset:         88
        .size:           8
        .value_kind:     global_buffer
      - .actual_access:  read_only
        .address_space:  global
        .offset:         96
        .size:           8
        .value_kind:     global_buffer
      - .actual_access:  read_only
        .address_space:  global
        .offset:         104
        .size:           8
        .value_kind:     global_buffer
      - .actual_access:  read_only
        .address_space:  global
        .offset:         112
        .size:           8
        .value_kind:     global_buffer
      - .offset:         120
        .size:           4
        .value_kind:     by_value
      - .address_space:  global
        .offset:         128
        .size:           8
        .value_kind:     global_buffer
      - .address_space:  global
        .offset:         136
        .size:           8
        .value_kind:     global_buffer
      - .offset:         144
        .size:           4
        .value_kind:     hidden_block_count_x
      - .offset:         148
        .size:           4
        .value_kind:     hidden_block_count_y
      - .offset:         152
        .size:           4
        .value_kind:     hidden_block_count_z
      - .offset:         156
        .size:           2
        .value_kind:     hidden_group_size_x
      - .offset:         158
        .size:           2
        .value_kind:     hidden_group_size_y
      - .offset:         160
        .size:           2
        .value_kind:     hidden_group_size_z
      - .offset:         162
        .size:           2
        .value_kind:     hidden_remainder_x
      - .offset:         164
        .size:           2
        .value_kind:     hidden_remainder_y
      - .offset:         166
        .size:           2
        .value_kind:     hidden_remainder_z
      - .offset:         184
        .size:           8
        .value_kind:     hidden_global_offset_x
      - .offset:         192
        .size:           8
        .value_kind:     hidden_global_offset_y
      - .offset:         200
        .size:           8
        .value_kind:     hidden_global_offset_z
      - .offset:         208
        .size:           2
        .value_kind:     hidden_grid_dims
      - .offset:         224
        .size:           8
        .value_kind:     hidden_hostcall_buffer
    .group_segment_fixed_size: 0
    .kernarg_segment_align: 8
    .kernarg_segment_size: 400
    .language:       OpenCL C
    .language_version:
      - 2
      - 0
    .max_flat_workgroup_size: 256
    .name:           _Z38paged_attention_ll4mi_QKV_mfma4_kernelIDF16_hLN4vllm18Fp8KVCacheDataTypeE1EhLi16ELi128ELi256ELb1ELi2EEvPKT_PKT0_S7_ifPKiS9_S9_iPKfiiiPfSC_PS2_PT2_iSB_SB_
    .private_segment_fixed_size: 64
    .sgpr_count:     36
    .sgpr_spill_count: 0
    .symbol:         _Z38paged_attention_ll4mi_QKV_mfma4_kernelIDF16_hLN4vllm18Fp8KVCacheDataTypeE1EhLi16ELi128ELi256ELb1ELi2EEvPKT_PKT0_S7_ifPKiS9_S9_iPKfiiiPfSC_PS2_PT2_iSB_SB_.kd
    .uniform_work_group_size: 1
    .uses_dynamic_stack: false
    .vgpr_count:     41
    .vgpr_spill_count: 0
    .wavefront_size: 32
    .workgroup_processor_mode: 1
  - .args:
      - .actual_access:  read_only
        .address_space:  global
        .offset:         0
        .size:           8
        .value_kind:     global_buffer
      - .actual_access:  read_only
        .address_space:  global
        .offset:         8
        .size:           8
        .value_kind:     global_buffer
      - .actual_access:  read_only
        .address_space:  global
        .offset:         16
        .size:           8
        .value_kind:     global_buffer
      - .offset:         24
        .size:           4
        .value_kind:     by_value
      - .offset:         28
        .size:           4
        .value_kind:     by_value
      - .actual_access:  read_only
        .address_space:  global
        .offset:         32
        .size:           8
        .value_kind:     global_buffer
      - .actual_access:  read_only
        .address_space:  global
        .offset:         40
        .size:           8
        .value_kind:     global_buffer
      - .actual_access:  read_only
        .address_space:  global
        .offset:         48
        .size:           8
        .value_kind:     global_buffer
      - .offset:         56
        .size:           4
        .value_kind:     by_value
      - .actual_access:  read_only
        .address_space:  global
        .offset:         64
        .size:           8
        .value_kind:     global_buffer
      - .offset:         72
        .size:           4
        .value_kind:     by_value
      - .offset:         76
        .size:           4
        .value_kind:     by_value
      - .offset:         80
        .size:           4
        .value_kind:     by_value
      - .actual_access:  read_only
        .address_space:  global
        .offset:         88
        .size:           8
        .value_kind:     global_buffer
      - .actual_access:  read_only
        .address_space:  global
        .offset:         96
        .size:           8
        .value_kind:     global_buffer
      - .actual_access:  read_only
        .address_space:  global
        .offset:         104
        .size:           8
        .value_kind:     global_buffer
      - .actual_access:  read_only
        .address_space:  global
        .offset:         112
        .size:           8
        .value_kind:     global_buffer
      - .offset:         120
        .size:           4
        .value_kind:     by_value
      - .address_space:  global
        .offset:         128
        .size:           8
        .value_kind:     global_buffer
      - .address_space:  global
        .offset:         136
        .size:           8
        .value_kind:     global_buffer
      - .offset:         144
        .size:           4
        .value_kind:     hidden_block_count_x
      - .offset:         148
        .size:           4
        .value_kind:     hidden_block_count_y
      - .offset:         152
        .size:           4
        .value_kind:     hidden_block_count_z
      - .offset:         156
        .size:           2
        .value_kind:     hidden_group_size_x
      - .offset:         158
        .size:           2
        .value_kind:     hidden_group_size_y
      - .offset:         160
        .size:           2
        .value_kind:     hidden_group_size_z
      - .offset:         162
        .size:           2
        .value_kind:     hidden_remainder_x
      - .offset:         164
        .size:           2
        .value_kind:     hidden_remainder_y
      - .offset:         166
        .size:           2
        .value_kind:     hidden_remainder_z
      - .offset:         184
        .size:           8
        .value_kind:     hidden_global_offset_x
      - .offset:         192
        .size:           8
        .value_kind:     hidden_global_offset_y
      - .offset:         200
        .size:           8
        .value_kind:     hidden_global_offset_z
      - .offset:         208
        .size:           2
        .value_kind:     hidden_grid_dims
      - .offset:         224
        .size:           8
        .value_kind:     hidden_hostcall_buffer
    .group_segment_fixed_size: 0
    .kernarg_segment_align: 8
    .kernarg_segment_size: 400
    .language:       OpenCL C
    .language_version:
      - 2
      - 0
    .max_flat_workgroup_size: 256
    .name:           _Z38paged_attention_ll4mi_QKV_mfma4_kernelIDF16_hLN4vllm18Fp8KVCacheDataTypeE1EhLi16ELi128ELi256ELb1ELi3EEvPKT_PKT0_S7_ifPKiS9_S9_iPKfiiiPfSC_PS2_PT2_iSB_SB_
    .private_segment_fixed_size: 64
    .sgpr_count:     36
    .sgpr_spill_count: 0
    .symbol:         _Z38paged_attention_ll4mi_QKV_mfma4_kernelIDF16_hLN4vllm18Fp8KVCacheDataTypeE1EhLi16ELi128ELi256ELb1ELi3EEvPKT_PKT0_S7_ifPKiS9_S9_iPKfiiiPfSC_PS2_PT2_iSB_SB_.kd
    .uniform_work_group_size: 1
    .uses_dynamic_stack: false
    .vgpr_count:     41
    .vgpr_spill_count: 0
    .wavefront_size: 32
    .workgroup_processor_mode: 1
  - .args:
      - .actual_access:  read_only
        .address_space:  global
        .offset:         0
        .size:           8
        .value_kind:     global_buffer
      - .actual_access:  read_only
        .address_space:  global
        .offset:         8
        .size:           8
        .value_kind:     global_buffer
      - .actual_access:  read_only
        .address_space:  global
        .offset:         16
        .size:           8
        .value_kind:     global_buffer
      - .offset:         24
        .size:           4
        .value_kind:     by_value
      - .offset:         28
        .size:           4
        .value_kind:     by_value
      - .actual_access:  read_only
        .address_space:  global
        .offset:         32
        .size:           8
        .value_kind:     global_buffer
      - .actual_access:  read_only
        .address_space:  global
        .offset:         40
        .size:           8
        .value_kind:     global_buffer
      - .actual_access:  read_only
        .address_space:  global
        .offset:         48
        .size:           8
        .value_kind:     global_buffer
      - .offset:         56
        .size:           4
        .value_kind:     by_value
      - .actual_access:  read_only
        .address_space:  global
        .offset:         64
        .size:           8
        .value_kind:     global_buffer
      - .offset:         72
        .size:           4
        .value_kind:     by_value
      - .offset:         76
        .size:           4
        .value_kind:     by_value
      - .offset:         80
        .size:           4
        .value_kind:     by_value
      - .actual_access:  read_only
        .address_space:  global
        .offset:         88
        .size:           8
        .value_kind:     global_buffer
      - .actual_access:  read_only
        .address_space:  global
        .offset:         96
        .size:           8
        .value_kind:     global_buffer
      - .actual_access:  read_only
        .address_space:  global
        .offset:         104
        .size:           8
        .value_kind:     global_buffer
      - .actual_access:  read_only
        .address_space:  global
        .offset:         112
        .size:           8
        .value_kind:     global_buffer
      - .offset:         120
        .size:           4
        .value_kind:     by_value
      - .address_space:  global
        .offset:         128
        .size:           8
        .value_kind:     global_buffer
      - .address_space:  global
        .offset:         136
        .size:           8
        .value_kind:     global_buffer
      - .offset:         144
        .size:           4
        .value_kind:     hidden_block_count_x
      - .offset:         148
        .size:           4
        .value_kind:     hidden_block_count_y
      - .offset:         152
        .size:           4
        .value_kind:     hidden_block_count_z
      - .offset:         156
        .size:           2
        .value_kind:     hidden_group_size_x
      - .offset:         158
        .size:           2
        .value_kind:     hidden_group_size_y
      - .offset:         160
        .size:           2
        .value_kind:     hidden_group_size_z
      - .offset:         162
        .size:           2
        .value_kind:     hidden_remainder_x
      - .offset:         164
        .size:           2
        .value_kind:     hidden_remainder_y
      - .offset:         166
        .size:           2
        .value_kind:     hidden_remainder_z
      - .offset:         184
        .size:           8
        .value_kind:     hidden_global_offset_x
      - .offset:         192
        .size:           8
        .value_kind:     hidden_global_offset_y
      - .offset:         200
        .size:           8
        .value_kind:     hidden_global_offset_z
      - .offset:         208
        .size:           2
        .value_kind:     hidden_grid_dims
      - .offset:         224
        .size:           8
        .value_kind:     hidden_hostcall_buffer
    .group_segment_fixed_size: 0
    .kernarg_segment_align: 8
    .kernarg_segment_size: 400
    .language:       OpenCL C
    .language_version:
      - 2
      - 0
    .max_flat_workgroup_size: 256
    .name:           _Z38paged_attention_ll4mi_QKV_mfma4_kernelIDF16_hLN4vllm18Fp8KVCacheDataTypeE1EhLi16ELi128ELi256ELb1ELi4EEvPKT_PKT0_S7_ifPKiS9_S9_iPKfiiiPfSC_PS2_PT2_iSB_SB_
    .private_segment_fixed_size: 64
    .sgpr_count:     36
    .sgpr_spill_count: 0
    .symbol:         _Z38paged_attention_ll4mi_QKV_mfma4_kernelIDF16_hLN4vllm18Fp8KVCacheDataTypeE1EhLi16ELi128ELi256ELb1ELi4EEvPKT_PKT0_S7_ifPKiS9_S9_iPKfiiiPfSC_PS2_PT2_iSB_SB_.kd
    .uniform_work_group_size: 1
    .uses_dynamic_stack: false
    .vgpr_count:     41
    .vgpr_spill_count: 0
    .wavefront_size: 32
    .workgroup_processor_mode: 1
  - .args:
      - .actual_access:  read_only
        .address_space:  global
        .offset:         0
        .size:           8
        .value_kind:     global_buffer
      - .actual_access:  read_only
        .address_space:  global
        .offset:         8
        .size:           8
        .value_kind:     global_buffer
      - .actual_access:  read_only
        .address_space:  global
        .offset:         16
        .size:           8
        .value_kind:     global_buffer
      - .offset:         24
        .size:           4
        .value_kind:     by_value
      - .offset:         28
        .size:           4
        .value_kind:     by_value
      - .actual_access:  read_only
        .address_space:  global
        .offset:         32
        .size:           8
        .value_kind:     global_buffer
      - .actual_access:  read_only
        .address_space:  global
        .offset:         40
        .size:           8
        .value_kind:     global_buffer
      - .actual_access:  read_only
        .address_space:  global
        .offset:         48
        .size:           8
        .value_kind:     global_buffer
      - .offset:         56
        .size:           4
        .value_kind:     by_value
      - .actual_access:  read_only
        .address_space:  global
        .offset:         64
        .size:           8
        .value_kind:     global_buffer
      - .offset:         72
        .size:           4
        .value_kind:     by_value
      - .offset:         76
        .size:           4
        .value_kind:     by_value
      - .offset:         80
        .size:           4
        .value_kind:     by_value
      - .actual_access:  write_only
        .address_space:  global
        .offset:         88
        .size:           8
        .value_kind:     global_buffer
      - .actual_access:  write_only
        .address_space:  global
        .offset:         96
        .size:           8
        .value_kind:     global_buffer
      - .actual_access:  write_only
        .address_space:  global
        .offset:         104
        .size:           8
        .value_kind:     global_buffer
      - .actual_access:  read_only
        .address_space:  global
        .offset:         112
        .size:           8
        .value_kind:     global_buffer
      - .offset:         120
        .size:           4
        .value_kind:     by_value
      - .address_space:  global
        .offset:         128
        .size:           8
        .value_kind:     global_buffer
      - .address_space:  global
        .offset:         136
        .size:           8
        .value_kind:     global_buffer
      - .offset:         144
        .size:           4
        .value_kind:     hidden_block_count_x
      - .offset:         148
        .size:           4
        .value_kind:     hidden_block_count_y
      - .offset:         152
        .size:           4
        .value_kind:     hidden_block_count_z
      - .offset:         156
        .size:           2
        .value_kind:     hidden_group_size_x
      - .offset:         158
        .size:           2
        .value_kind:     hidden_group_size_y
      - .offset:         160
        .size:           2
        .value_kind:     hidden_group_size_z
      - .offset:         162
        .size:           2
        .value_kind:     hidden_remainder_x
      - .offset:         164
        .size:           2
        .value_kind:     hidden_remainder_y
      - .offset:         166
        .size:           2
        .value_kind:     hidden_remainder_z
      - .offset:         184
        .size:           8
        .value_kind:     hidden_global_offset_x
      - .offset:         192
        .size:           8
        .value_kind:     hidden_global_offset_y
      - .offset:         200
        .size:           8
        .value_kind:     hidden_global_offset_z
      - .offset:         208
        .size:           2
        .value_kind:     hidden_grid_dims
    .group_segment_fixed_size: 17472
    .kernarg_segment_align: 8
    .kernarg_segment_size: 400
    .language:       OpenCL C
    .language_version:
      - 2
      - 0
    .max_flat_workgroup_size: 256
    .name:           _Z39paged_attention_ll4mi_QKV_mfma16_kernelIDF16_hLN4vllm18Fp8KVCacheDataTypeE1EhLi16ELi128ELi256ELb1ELi5EL8MFMAType1EEvPKT_PKT0_S8_ifPKiSA_SA_iPKfiiiPfSD_PS3_PT2_iSC_SC_
    .private_segment_fixed_size: 0
    .sgpr_count:     38
    .sgpr_spill_count: 0
    .symbol:         _Z39paged_attention_ll4mi_QKV_mfma16_kernelIDF16_hLN4vllm18Fp8KVCacheDataTypeE1EhLi16ELi128ELi256ELb1ELi5EL8MFMAType1EEvPKT_PKT0_S8_ifPKiSA_SA_iPKfiiiPfSD_PS3_PT2_iSC_SC_.kd
    .uniform_work_group_size: 1
    .uses_dynamic_stack: false
    .vgpr_count:     150
    .vgpr_spill_count: 0
    .wavefront_size: 32
    .workgroup_processor_mode: 1
  - .args:
      - .actual_access:  read_only
        .address_space:  global
        .offset:         0
        .size:           8
        .value_kind:     global_buffer
      - .actual_access:  read_only
        .address_space:  global
        .offset:         8
        .size:           8
        .value_kind:     global_buffer
      - .actual_access:  read_only
        .address_space:  global
        .offset:         16
        .size:           8
        .value_kind:     global_buffer
      - .offset:         24
        .size:           4
        .value_kind:     by_value
      - .offset:         28
        .size:           4
        .value_kind:     by_value
      - .actual_access:  read_only
        .address_space:  global
        .offset:         32
        .size:           8
        .value_kind:     global_buffer
      - .actual_access:  read_only
        .address_space:  global
        .offset:         40
        .size:           8
        .value_kind:     global_buffer
      - .actual_access:  read_only
        .address_space:  global
        .offset:         48
        .size:           8
        .value_kind:     global_buffer
      - .offset:         56
        .size:           4
        .value_kind:     by_value
      - .actual_access:  read_only
        .address_space:  global
        .offset:         64
        .size:           8
        .value_kind:     global_buffer
      - .offset:         72
        .size:           4
        .value_kind:     by_value
      - .offset:         76
        .size:           4
        .value_kind:     by_value
      - .offset:         80
        .size:           4
        .value_kind:     by_value
      - .actual_access:  write_only
        .address_space:  global
        .offset:         88
        .size:           8
        .value_kind:     global_buffer
      - .actual_access:  write_only
        .address_space:  global
        .offset:         96
        .size:           8
        .value_kind:     global_buffer
      - .actual_access:  write_only
        .address_space:  global
        .offset:         104
        .size:           8
        .value_kind:     global_buffer
      - .actual_access:  read_only
        .address_space:  global
        .offset:         112
        .size:           8
        .value_kind:     global_buffer
      - .offset:         120
        .size:           4
        .value_kind:     by_value
      - .address_space:  global
        .offset:         128
        .size:           8
        .value_kind:     global_buffer
      - .address_space:  global
        .offset:         136
        .size:           8
        .value_kind:     global_buffer
      - .offset:         144
        .size:           4
        .value_kind:     hidden_block_count_x
      - .offset:         148
        .size:           4
        .value_kind:     hidden_block_count_y
      - .offset:         152
        .size:           4
        .value_kind:     hidden_block_count_z
      - .offset:         156
        .size:           2
        .value_kind:     hidden_group_size_x
      - .offset:         158
        .size:           2
        .value_kind:     hidden_group_size_y
      - .offset:         160
        .size:           2
        .value_kind:     hidden_group_size_z
      - .offset:         162
        .size:           2
        .value_kind:     hidden_remainder_x
      - .offset:         164
        .size:           2
        .value_kind:     hidden_remainder_y
      - .offset:         166
        .size:           2
        .value_kind:     hidden_remainder_z
      - .offset:         184
        .size:           8
        .value_kind:     hidden_global_offset_x
      - .offset:         192
        .size:           8
        .value_kind:     hidden_global_offset_y
      - .offset:         200
        .size:           8
        .value_kind:     hidden_global_offset_z
      - .offset:         208
        .size:           2
        .value_kind:     hidden_grid_dims
    .group_segment_fixed_size: 17472
    .kernarg_segment_align: 8
    .kernarg_segment_size: 400
    .language:       OpenCL C
    .language_version:
      - 2
      - 0
    .max_flat_workgroup_size: 256
    .name:           _Z39paged_attention_ll4mi_QKV_mfma16_kernelIDF16_hLN4vllm18Fp8KVCacheDataTypeE1EhLi16ELi128ELi256ELb1ELi6EL8MFMAType1EEvPKT_PKT0_S8_ifPKiSA_SA_iPKfiiiPfSD_PS3_PT2_iSC_SC_
    .private_segment_fixed_size: 0
    .sgpr_count:     38
    .sgpr_spill_count: 0
    .symbol:         _Z39paged_attention_ll4mi_QKV_mfma16_kernelIDF16_hLN4vllm18Fp8KVCacheDataTypeE1EhLi16ELi128ELi256ELb1ELi6EL8MFMAType1EEvPKT_PKT0_S8_ifPKiSA_SA_iPKfiiiPfSD_PS3_PT2_iSC_SC_.kd
    .uniform_work_group_size: 1
    .uses_dynamic_stack: false
    .vgpr_count:     150
    .vgpr_spill_count: 0
    .wavefront_size: 32
    .workgroup_processor_mode: 1
  - .args:
      - .actual_access:  read_only
        .address_space:  global
        .offset:         0
        .size:           8
        .value_kind:     global_buffer
      - .actual_access:  read_only
        .address_space:  global
        .offset:         8
        .size:           8
        .value_kind:     global_buffer
      - .actual_access:  read_only
        .address_space:  global
        .offset:         16
        .size:           8
        .value_kind:     global_buffer
      - .offset:         24
        .size:           4
        .value_kind:     by_value
      - .offset:         28
        .size:           4
        .value_kind:     by_value
      - .actual_access:  read_only
        .address_space:  global
        .offset:         32
        .size:           8
        .value_kind:     global_buffer
      - .actual_access:  read_only
        .address_space:  global
        .offset:         40
        .size:           8
        .value_kind:     global_buffer
      - .actual_access:  read_only
        .address_space:  global
        .offset:         48
        .size:           8
        .value_kind:     global_buffer
      - .offset:         56
        .size:           4
        .value_kind:     by_value
      - .actual_access:  read_only
        .address_space:  global
        .offset:         64
        .size:           8
        .value_kind:     global_buffer
      - .offset:         72
        .size:           4
        .value_kind:     by_value
      - .offset:         76
        .size:           4
        .value_kind:     by_value
      - .offset:         80
        .size:           4
        .value_kind:     by_value
      - .actual_access:  write_only
        .address_space:  global
        .offset:         88
        .size:           8
        .value_kind:     global_buffer
      - .actual_access:  write_only
        .address_space:  global
        .offset:         96
        .size:           8
        .value_kind:     global_buffer
      - .actual_access:  write_only
        .address_space:  global
        .offset:         104
        .size:           8
        .value_kind:     global_buffer
      - .actual_access:  read_only
        .address_space:  global
        .offset:         112
        .size:           8
        .value_kind:     global_buffer
      - .offset:         120
        .size:           4
        .value_kind:     by_value
      - .address_space:  global
        .offset:         128
        .size:           8
        .value_kind:     global_buffer
      - .address_space:  global
        .offset:         136
        .size:           8
        .value_kind:     global_buffer
      - .offset:         144
        .size:           4
        .value_kind:     hidden_block_count_x
      - .offset:         148
        .size:           4
        .value_kind:     hidden_block_count_y
      - .offset:         152
        .size:           4
        .value_kind:     hidden_block_count_z
      - .offset:         156
        .size:           2
        .value_kind:     hidden_group_size_x
      - .offset:         158
        .size:           2
        .value_kind:     hidden_group_size_y
      - .offset:         160
        .size:           2
        .value_kind:     hidden_group_size_z
      - .offset:         162
        .size:           2
        .value_kind:     hidden_remainder_x
      - .offset:         164
        .size:           2
        .value_kind:     hidden_remainder_y
      - .offset:         166
        .size:           2
        .value_kind:     hidden_remainder_z
      - .offset:         184
        .size:           8
        .value_kind:     hidden_global_offset_x
      - .offset:         192
        .size:           8
        .value_kind:     hidden_global_offset_y
      - .offset:         200
        .size:           8
        .value_kind:     hidden_global_offset_z
      - .offset:         208
        .size:           2
        .value_kind:     hidden_grid_dims
    .group_segment_fixed_size: 17472
    .kernarg_segment_align: 8
    .kernarg_segment_size: 400
    .language:       OpenCL C
    .language_version:
      - 2
      - 0
    .max_flat_workgroup_size: 256
    .name:           _Z39paged_attention_ll4mi_QKV_mfma16_kernelIDF16_hLN4vllm18Fp8KVCacheDataTypeE1EhLi16ELi128ELi256ELb1ELi7EL8MFMAType1EEvPKT_PKT0_S8_ifPKiSA_SA_iPKfiiiPfSD_PS3_PT2_iSC_SC_
    .private_segment_fixed_size: 0
    .sgpr_count:     38
    .sgpr_spill_count: 0
    .symbol:         _Z39paged_attention_ll4mi_QKV_mfma16_kernelIDF16_hLN4vllm18Fp8KVCacheDataTypeE1EhLi16ELi128ELi256ELb1ELi7EL8MFMAType1EEvPKT_PKT0_S8_ifPKiSA_SA_iPKfiiiPfSD_PS3_PT2_iSC_SC_.kd
    .uniform_work_group_size: 1
    .uses_dynamic_stack: false
    .vgpr_count:     150
    .vgpr_spill_count: 0
    .wavefront_size: 32
    .workgroup_processor_mode: 1
  - .args:
      - .actual_access:  read_only
        .address_space:  global
        .offset:         0
        .size:           8
        .value_kind:     global_buffer
      - .actual_access:  read_only
        .address_space:  global
        .offset:         8
        .size:           8
        .value_kind:     global_buffer
      - .actual_access:  read_only
        .address_space:  global
        .offset:         16
        .size:           8
        .value_kind:     global_buffer
      - .offset:         24
        .size:           4
        .value_kind:     by_value
      - .offset:         28
        .size:           4
        .value_kind:     by_value
      - .actual_access:  read_only
        .address_space:  global
        .offset:         32
        .size:           8
        .value_kind:     global_buffer
      - .actual_access:  read_only
        .address_space:  global
        .offset:         40
        .size:           8
        .value_kind:     global_buffer
      - .actual_access:  read_only
        .address_space:  global
        .offset:         48
        .size:           8
        .value_kind:     global_buffer
      - .offset:         56
        .size:           4
        .value_kind:     by_value
      - .actual_access:  read_only
        .address_space:  global
        .offset:         64
        .size:           8
        .value_kind:     global_buffer
      - .offset:         72
        .size:           4
        .value_kind:     by_value
      - .offset:         76
        .size:           4
        .value_kind:     by_value
      - .offset:         80
        .size:           4
        .value_kind:     by_value
      - .actual_access:  write_only
        .address_space:  global
        .offset:         88
        .size:           8
        .value_kind:     global_buffer
      - .actual_access:  write_only
        .address_space:  global
        .offset:         96
        .size:           8
        .value_kind:     global_buffer
      - .actual_access:  write_only
        .address_space:  global
        .offset:         104
        .size:           8
        .value_kind:     global_buffer
      - .actual_access:  read_only
        .address_space:  global
        .offset:         112
        .size:           8
        .value_kind:     global_buffer
      - .offset:         120
        .size:           4
        .value_kind:     by_value
      - .address_space:  global
        .offset:         128
        .size:           8
        .value_kind:     global_buffer
      - .address_space:  global
        .offset:         136
        .size:           8
        .value_kind:     global_buffer
      - .offset:         144
        .size:           4
        .value_kind:     hidden_block_count_x
      - .offset:         148
        .size:           4
        .value_kind:     hidden_block_count_y
      - .offset:         152
        .size:           4
        .value_kind:     hidden_block_count_z
      - .offset:         156
        .size:           2
        .value_kind:     hidden_group_size_x
      - .offset:         158
        .size:           2
        .value_kind:     hidden_group_size_y
      - .offset:         160
        .size:           2
        .value_kind:     hidden_group_size_z
      - .offset:         162
        .size:           2
        .value_kind:     hidden_remainder_x
      - .offset:         164
        .size:           2
        .value_kind:     hidden_remainder_y
      - .offset:         166
        .size:           2
        .value_kind:     hidden_remainder_z
      - .offset:         184
        .size:           8
        .value_kind:     hidden_global_offset_x
      - .offset:         192
        .size:           8
        .value_kind:     hidden_global_offset_y
      - .offset:         200
        .size:           8
        .value_kind:     hidden_global_offset_z
      - .offset:         208
        .size:           2
        .value_kind:     hidden_grid_dims
    .group_segment_fixed_size: 17472
    .kernarg_segment_align: 8
    .kernarg_segment_size: 400
    .language:       OpenCL C
    .language_version:
      - 2
      - 0
    .max_flat_workgroup_size: 256
    .name:           _Z39paged_attention_ll4mi_QKV_mfma16_kernelIDF16_hLN4vllm18Fp8KVCacheDataTypeE1EhLi16ELi128ELi256ELb1ELi8EL8MFMAType1EEvPKT_PKT0_S8_ifPKiSA_SA_iPKfiiiPfSD_PS3_PT2_iSC_SC_
    .private_segment_fixed_size: 0
    .sgpr_count:     38
    .sgpr_spill_count: 0
    .symbol:         _Z39paged_attention_ll4mi_QKV_mfma16_kernelIDF16_hLN4vllm18Fp8KVCacheDataTypeE1EhLi16ELi128ELi256ELb1ELi8EL8MFMAType1EEvPKT_PKT0_S8_ifPKiSA_SA_iPKfiiiPfSD_PS3_PT2_iSC_SC_.kd
    .uniform_work_group_size: 1
    .uses_dynamic_stack: false
    .vgpr_count:     140
    .vgpr_spill_count: 0
    .wavefront_size: 32
    .workgroup_processor_mode: 1
  - .args:
      - .actual_access:  read_only
        .address_space:  global
        .offset:         0
        .size:           8
        .value_kind:     global_buffer
      - .actual_access:  read_only
        .address_space:  global
        .offset:         8
        .size:           8
        .value_kind:     global_buffer
      - .actual_access:  read_only
        .address_space:  global
        .offset:         16
        .size:           8
        .value_kind:     global_buffer
      - .offset:         24
        .size:           4
        .value_kind:     by_value
      - .offset:         28
        .size:           4
        .value_kind:     by_value
      - .actual_access:  read_only
        .address_space:  global
        .offset:         32
        .size:           8
        .value_kind:     global_buffer
      - .actual_access:  read_only
        .address_space:  global
        .offset:         40
        .size:           8
        .value_kind:     global_buffer
      - .actual_access:  read_only
        .address_space:  global
        .offset:         48
        .size:           8
        .value_kind:     global_buffer
      - .offset:         56
        .size:           4
        .value_kind:     by_value
      - .actual_access:  read_only
        .address_space:  global
        .offset:         64
        .size:           8
        .value_kind:     global_buffer
      - .offset:         72
        .size:           4
        .value_kind:     by_value
      - .offset:         76
        .size:           4
        .value_kind:     by_value
      - .offset:         80
        .size:           4
        .value_kind:     by_value
      - .actual_access:  write_only
        .address_space:  global
        .offset:         88
        .size:           8
        .value_kind:     global_buffer
      - .actual_access:  write_only
        .address_space:  global
        .offset:         96
        .size:           8
        .value_kind:     global_buffer
      - .actual_access:  write_only
        .address_space:  global
        .offset:         104
        .size:           8
        .value_kind:     global_buffer
      - .actual_access:  read_only
        .address_space:  global
        .offset:         112
        .size:           8
        .value_kind:     global_buffer
      - .offset:         120
        .size:           4
        .value_kind:     by_value
      - .address_space:  global
        .offset:         128
        .size:           8
        .value_kind:     global_buffer
      - .address_space:  global
        .offset:         136
        .size:           8
        .value_kind:     global_buffer
      - .offset:         144
        .size:           4
        .value_kind:     hidden_block_count_x
      - .offset:         148
        .size:           4
        .value_kind:     hidden_block_count_y
      - .offset:         152
        .size:           4
        .value_kind:     hidden_block_count_z
      - .offset:         156
        .size:           2
        .value_kind:     hidden_group_size_x
      - .offset:         158
        .size:           2
        .value_kind:     hidden_group_size_y
      - .offset:         160
        .size:           2
        .value_kind:     hidden_group_size_z
      - .offset:         162
        .size:           2
        .value_kind:     hidden_remainder_x
      - .offset:         164
        .size:           2
        .value_kind:     hidden_remainder_y
      - .offset:         166
        .size:           2
        .value_kind:     hidden_remainder_z
      - .offset:         184
        .size:           8
        .value_kind:     hidden_global_offset_x
      - .offset:         192
        .size:           8
        .value_kind:     hidden_global_offset_y
      - .offset:         200
        .size:           8
        .value_kind:     hidden_global_offset_z
      - .offset:         208
        .size:           2
        .value_kind:     hidden_grid_dims
    .group_segment_fixed_size: 17472
    .kernarg_segment_align: 8
    .kernarg_segment_size: 400
    .language:       OpenCL C
    .language_version:
      - 2
      - 0
    .max_flat_workgroup_size: 256
    .name:           _Z39paged_attention_ll4mi_QKV_mfma16_kernelIDF16_hLN4vllm18Fp8KVCacheDataTypeE1EhLi16ELi128ELi256ELb1ELi9EL8MFMAType1EEvPKT_PKT0_S8_ifPKiSA_SA_iPKfiiiPfSD_PS3_PT2_iSC_SC_
    .private_segment_fixed_size: 0
    .sgpr_count:     38
    .sgpr_spill_count: 0
    .symbol:         _Z39paged_attention_ll4mi_QKV_mfma16_kernelIDF16_hLN4vllm18Fp8KVCacheDataTypeE1EhLi16ELi128ELi256ELb1ELi9EL8MFMAType1EEvPKT_PKT0_S8_ifPKiSA_SA_iPKfiiiPfSD_PS3_PT2_iSC_SC_.kd
    .uniform_work_group_size: 1
    .uses_dynamic_stack: false
    .vgpr_count:     150
    .vgpr_spill_count: 0
    .wavefront_size: 32
    .workgroup_processor_mode: 1
  - .args:
      - .actual_access:  read_only
        .address_space:  global
        .offset:         0
        .size:           8
        .value_kind:     global_buffer
      - .actual_access:  read_only
        .address_space:  global
        .offset:         8
        .size:           8
        .value_kind:     global_buffer
      - .actual_access:  read_only
        .address_space:  global
        .offset:         16
        .size:           8
        .value_kind:     global_buffer
      - .offset:         24
        .size:           4
        .value_kind:     by_value
      - .offset:         28
        .size:           4
        .value_kind:     by_value
      - .actual_access:  read_only
        .address_space:  global
        .offset:         32
        .size:           8
        .value_kind:     global_buffer
      - .actual_access:  read_only
        .address_space:  global
        .offset:         40
        .size:           8
        .value_kind:     global_buffer
      - .actual_access:  read_only
        .address_space:  global
        .offset:         48
        .size:           8
        .value_kind:     global_buffer
      - .offset:         56
        .size:           4
        .value_kind:     by_value
      - .actual_access:  read_only
        .address_space:  global
        .offset:         64
        .size:           8
        .value_kind:     global_buffer
      - .offset:         72
        .size:           4
        .value_kind:     by_value
      - .offset:         76
        .size:           4
        .value_kind:     by_value
      - .offset:         80
        .size:           4
        .value_kind:     by_value
      - .actual_access:  write_only
        .address_space:  global
        .offset:         88
        .size:           8
        .value_kind:     global_buffer
      - .actual_access:  write_only
        .address_space:  global
        .offset:         96
        .size:           8
        .value_kind:     global_buffer
      - .actual_access:  write_only
        .address_space:  global
        .offset:         104
        .size:           8
        .value_kind:     global_buffer
      - .actual_access:  read_only
        .address_space:  global
        .offset:         112
        .size:           8
        .value_kind:     global_buffer
      - .offset:         120
        .size:           4
        .value_kind:     by_value
      - .address_space:  global
        .offset:         128
        .size:           8
        .value_kind:     global_buffer
      - .address_space:  global
        .offset:         136
        .size:           8
        .value_kind:     global_buffer
      - .offset:         144
        .size:           4
        .value_kind:     hidden_block_count_x
      - .offset:         148
        .size:           4
        .value_kind:     hidden_block_count_y
      - .offset:         152
        .size:           4
        .value_kind:     hidden_block_count_z
      - .offset:         156
        .size:           2
        .value_kind:     hidden_group_size_x
      - .offset:         158
        .size:           2
        .value_kind:     hidden_group_size_y
      - .offset:         160
        .size:           2
        .value_kind:     hidden_group_size_z
      - .offset:         162
        .size:           2
        .value_kind:     hidden_remainder_x
      - .offset:         164
        .size:           2
        .value_kind:     hidden_remainder_y
      - .offset:         166
        .size:           2
        .value_kind:     hidden_remainder_z
      - .offset:         184
        .size:           8
        .value_kind:     hidden_global_offset_x
      - .offset:         192
        .size:           8
        .value_kind:     hidden_global_offset_y
      - .offset:         200
        .size:           8
        .value_kind:     hidden_global_offset_z
      - .offset:         208
        .size:           2
        .value_kind:     hidden_grid_dims
    .group_segment_fixed_size: 17472
    .kernarg_segment_align: 8
    .kernarg_segment_size: 400
    .language:       OpenCL C
    .language_version:
      - 2
      - 0
    .max_flat_workgroup_size: 256
    .name:           _Z39paged_attention_ll4mi_QKV_mfma16_kernelIDF16_hLN4vllm18Fp8KVCacheDataTypeE1EhLi16ELi128ELi256ELb1ELi10EL8MFMAType1EEvPKT_PKT0_S8_ifPKiSA_SA_iPKfiiiPfSD_PS3_PT2_iSC_SC_
    .private_segment_fixed_size: 0
    .sgpr_count:     38
    .sgpr_spill_count: 0
    .symbol:         _Z39paged_attention_ll4mi_QKV_mfma16_kernelIDF16_hLN4vllm18Fp8KVCacheDataTypeE1EhLi16ELi128ELi256ELb1ELi10EL8MFMAType1EEvPKT_PKT0_S8_ifPKiSA_SA_iPKfiiiPfSD_PS3_PT2_iSC_SC_.kd
    .uniform_work_group_size: 1
    .uses_dynamic_stack: false
    .vgpr_count:     150
    .vgpr_spill_count: 0
    .wavefront_size: 32
    .workgroup_processor_mode: 1
  - .args:
      - .actual_access:  read_only
        .address_space:  global
        .offset:         0
        .size:           8
        .value_kind:     global_buffer
      - .actual_access:  read_only
        .address_space:  global
        .offset:         8
        .size:           8
        .value_kind:     global_buffer
      - .actual_access:  read_only
        .address_space:  global
        .offset:         16
        .size:           8
        .value_kind:     global_buffer
      - .offset:         24
        .size:           4
        .value_kind:     by_value
      - .offset:         28
        .size:           4
        .value_kind:     by_value
      - .actual_access:  read_only
        .address_space:  global
        .offset:         32
        .size:           8
        .value_kind:     global_buffer
      - .actual_access:  read_only
        .address_space:  global
        .offset:         40
        .size:           8
        .value_kind:     global_buffer
      - .actual_access:  read_only
        .address_space:  global
        .offset:         48
        .size:           8
        .value_kind:     global_buffer
      - .offset:         56
        .size:           4
        .value_kind:     by_value
      - .actual_access:  read_only
        .address_space:  global
        .offset:         64
        .size:           8
        .value_kind:     global_buffer
      - .offset:         72
        .size:           4
        .value_kind:     by_value
      - .offset:         76
        .size:           4
        .value_kind:     by_value
      - .offset:         80
        .size:           4
        .value_kind:     by_value
      - .actual_access:  write_only
        .address_space:  global
        .offset:         88
        .size:           8
        .value_kind:     global_buffer
      - .actual_access:  write_only
        .address_space:  global
        .offset:         96
        .size:           8
        .value_kind:     global_buffer
      - .actual_access:  write_only
        .address_space:  global
        .offset:         104
        .size:           8
        .value_kind:     global_buffer
      - .actual_access:  read_only
        .address_space:  global
        .offset:         112
        .size:           8
        .value_kind:     global_buffer
      - .offset:         120
        .size:           4
        .value_kind:     by_value
      - .address_space:  global
        .offset:         128
        .size:           8
        .value_kind:     global_buffer
      - .address_space:  global
        .offset:         136
        .size:           8
        .value_kind:     global_buffer
      - .offset:         144
        .size:           4
        .value_kind:     hidden_block_count_x
      - .offset:         148
        .size:           4
        .value_kind:     hidden_block_count_y
      - .offset:         152
        .size:           4
        .value_kind:     hidden_block_count_z
      - .offset:         156
        .size:           2
        .value_kind:     hidden_group_size_x
      - .offset:         158
        .size:           2
        .value_kind:     hidden_group_size_y
      - .offset:         160
        .size:           2
        .value_kind:     hidden_group_size_z
      - .offset:         162
        .size:           2
        .value_kind:     hidden_remainder_x
      - .offset:         164
        .size:           2
        .value_kind:     hidden_remainder_y
      - .offset:         166
        .size:           2
        .value_kind:     hidden_remainder_z
      - .offset:         184
        .size:           8
        .value_kind:     hidden_global_offset_x
      - .offset:         192
        .size:           8
        .value_kind:     hidden_global_offset_y
      - .offset:         200
        .size:           8
        .value_kind:     hidden_global_offset_z
      - .offset:         208
        .size:           2
        .value_kind:     hidden_grid_dims
    .group_segment_fixed_size: 17472
    .kernarg_segment_align: 8
    .kernarg_segment_size: 400
    .language:       OpenCL C
    .language_version:
      - 2
      - 0
    .max_flat_workgroup_size: 256
    .name:           _Z39paged_attention_ll4mi_QKV_mfma16_kernelIDF16_hLN4vllm18Fp8KVCacheDataTypeE1EhLi16ELi128ELi256ELb1ELi11EL8MFMAType1EEvPKT_PKT0_S8_ifPKiSA_SA_iPKfiiiPfSD_PS3_PT2_iSC_SC_
    .private_segment_fixed_size: 0
    .sgpr_count:     38
    .sgpr_spill_count: 0
    .symbol:         _Z39paged_attention_ll4mi_QKV_mfma16_kernelIDF16_hLN4vllm18Fp8KVCacheDataTypeE1EhLi16ELi128ELi256ELb1ELi11EL8MFMAType1EEvPKT_PKT0_S8_ifPKiSA_SA_iPKfiiiPfSD_PS3_PT2_iSC_SC_.kd
    .uniform_work_group_size: 1
    .uses_dynamic_stack: false
    .vgpr_count:     150
    .vgpr_spill_count: 0
    .wavefront_size: 32
    .workgroup_processor_mode: 1
  - .args:
      - .actual_access:  read_only
        .address_space:  global
        .offset:         0
        .size:           8
        .value_kind:     global_buffer
      - .actual_access:  read_only
        .address_space:  global
        .offset:         8
        .size:           8
        .value_kind:     global_buffer
      - .actual_access:  read_only
        .address_space:  global
        .offset:         16
        .size:           8
        .value_kind:     global_buffer
      - .offset:         24
        .size:           4
        .value_kind:     by_value
      - .offset:         28
        .size:           4
        .value_kind:     by_value
      - .actual_access:  read_only
        .address_space:  global
        .offset:         32
        .size:           8
        .value_kind:     global_buffer
      - .actual_access:  read_only
        .address_space:  global
        .offset:         40
        .size:           8
        .value_kind:     global_buffer
      - .actual_access:  read_only
        .address_space:  global
        .offset:         48
        .size:           8
        .value_kind:     global_buffer
      - .offset:         56
        .size:           4
        .value_kind:     by_value
      - .actual_access:  read_only
        .address_space:  global
        .offset:         64
        .size:           8
        .value_kind:     global_buffer
      - .offset:         72
        .size:           4
        .value_kind:     by_value
      - .offset:         76
        .size:           4
        .value_kind:     by_value
      - .offset:         80
        .size:           4
        .value_kind:     by_value
      - .actual_access:  write_only
        .address_space:  global
        .offset:         88
        .size:           8
        .value_kind:     global_buffer
      - .actual_access:  write_only
        .address_space:  global
        .offset:         96
        .size:           8
        .value_kind:     global_buffer
      - .actual_access:  write_only
        .address_space:  global
        .offset:         104
        .size:           8
        .value_kind:     global_buffer
      - .actual_access:  read_only
        .address_space:  global
        .offset:         112
        .size:           8
        .value_kind:     global_buffer
      - .offset:         120
        .size:           4
        .value_kind:     by_value
      - .address_space:  global
        .offset:         128
        .size:           8
        .value_kind:     global_buffer
      - .address_space:  global
        .offset:         136
        .size:           8
        .value_kind:     global_buffer
      - .offset:         144
        .size:           4
        .value_kind:     hidden_block_count_x
      - .offset:         148
        .size:           4
        .value_kind:     hidden_block_count_y
      - .offset:         152
        .size:           4
        .value_kind:     hidden_block_count_z
      - .offset:         156
        .size:           2
        .value_kind:     hidden_group_size_x
      - .offset:         158
        .size:           2
        .value_kind:     hidden_group_size_y
      - .offset:         160
        .size:           2
        .value_kind:     hidden_group_size_z
      - .offset:         162
        .size:           2
        .value_kind:     hidden_remainder_x
      - .offset:         164
        .size:           2
        .value_kind:     hidden_remainder_y
      - .offset:         166
        .size:           2
        .value_kind:     hidden_remainder_z
      - .offset:         184
        .size:           8
        .value_kind:     hidden_global_offset_x
      - .offset:         192
        .size:           8
        .value_kind:     hidden_global_offset_y
      - .offset:         200
        .size:           8
        .value_kind:     hidden_global_offset_z
      - .offset:         208
        .size:           2
        .value_kind:     hidden_grid_dims
    .group_segment_fixed_size: 17472
    .kernarg_segment_align: 8
    .kernarg_segment_size: 400
    .language:       OpenCL C
    .language_version:
      - 2
      - 0
    .max_flat_workgroup_size: 256
    .name:           _Z39paged_attention_ll4mi_QKV_mfma16_kernelIDF16_hLN4vllm18Fp8KVCacheDataTypeE1EhLi16ELi128ELi256ELb1ELi12EL8MFMAType1EEvPKT_PKT0_S8_ifPKiSA_SA_iPKfiiiPfSD_PS3_PT2_iSC_SC_
    .private_segment_fixed_size: 0
    .sgpr_count:     38
    .sgpr_spill_count: 0
    .symbol:         _Z39paged_attention_ll4mi_QKV_mfma16_kernelIDF16_hLN4vllm18Fp8KVCacheDataTypeE1EhLi16ELi128ELi256ELb1ELi12EL8MFMAType1EEvPKT_PKT0_S8_ifPKiSA_SA_iPKfiiiPfSD_PS3_PT2_iSC_SC_.kd
    .uniform_work_group_size: 1
    .uses_dynamic_stack: false
    .vgpr_count:     150
    .vgpr_spill_count: 0
    .wavefront_size: 32
    .workgroup_processor_mode: 1
  - .args:
      - .actual_access:  read_only
        .address_space:  global
        .offset:         0
        .size:           8
        .value_kind:     global_buffer
      - .actual_access:  read_only
        .address_space:  global
        .offset:         8
        .size:           8
        .value_kind:     global_buffer
      - .actual_access:  read_only
        .address_space:  global
        .offset:         16
        .size:           8
        .value_kind:     global_buffer
      - .offset:         24
        .size:           4
        .value_kind:     by_value
      - .offset:         28
        .size:           4
        .value_kind:     by_value
      - .actual_access:  read_only
        .address_space:  global
        .offset:         32
        .size:           8
        .value_kind:     global_buffer
      - .actual_access:  read_only
        .address_space:  global
        .offset:         40
        .size:           8
        .value_kind:     global_buffer
      - .actual_access:  read_only
        .address_space:  global
        .offset:         48
        .size:           8
        .value_kind:     global_buffer
      - .offset:         56
        .size:           4
        .value_kind:     by_value
      - .actual_access:  read_only
        .address_space:  global
        .offset:         64
        .size:           8
        .value_kind:     global_buffer
      - .offset:         72
        .size:           4
        .value_kind:     by_value
      - .offset:         76
        .size:           4
        .value_kind:     by_value
      - .offset:         80
        .size:           4
        .value_kind:     by_value
      - .actual_access:  write_only
        .address_space:  global
        .offset:         88
        .size:           8
        .value_kind:     global_buffer
      - .actual_access:  write_only
        .address_space:  global
        .offset:         96
        .size:           8
        .value_kind:     global_buffer
      - .actual_access:  write_only
        .address_space:  global
        .offset:         104
        .size:           8
        .value_kind:     global_buffer
      - .actual_access:  read_only
        .address_space:  global
        .offset:         112
        .size:           8
        .value_kind:     global_buffer
      - .offset:         120
        .size:           4
        .value_kind:     by_value
      - .address_space:  global
        .offset:         128
        .size:           8
        .value_kind:     global_buffer
      - .address_space:  global
        .offset:         136
        .size:           8
        .value_kind:     global_buffer
      - .offset:         144
        .size:           4
        .value_kind:     hidden_block_count_x
      - .offset:         148
        .size:           4
        .value_kind:     hidden_block_count_y
      - .offset:         152
        .size:           4
        .value_kind:     hidden_block_count_z
      - .offset:         156
        .size:           2
        .value_kind:     hidden_group_size_x
      - .offset:         158
        .size:           2
        .value_kind:     hidden_group_size_y
      - .offset:         160
        .size:           2
        .value_kind:     hidden_group_size_z
      - .offset:         162
        .size:           2
        .value_kind:     hidden_remainder_x
      - .offset:         164
        .size:           2
        .value_kind:     hidden_remainder_y
      - .offset:         166
        .size:           2
        .value_kind:     hidden_remainder_z
      - .offset:         184
        .size:           8
        .value_kind:     hidden_global_offset_x
      - .offset:         192
        .size:           8
        .value_kind:     hidden_global_offset_y
      - .offset:         200
        .size:           8
        .value_kind:     hidden_global_offset_z
      - .offset:         208
        .size:           2
        .value_kind:     hidden_grid_dims
    .group_segment_fixed_size: 17472
    .kernarg_segment_align: 8
    .kernarg_segment_size: 400
    .language:       OpenCL C
    .language_version:
      - 2
      - 0
    .max_flat_workgroup_size: 256
    .name:           _Z39paged_attention_ll4mi_QKV_mfma16_kernelIDF16_hLN4vllm18Fp8KVCacheDataTypeE1EhLi16ELi128ELi256ELb1ELi13EL8MFMAType1EEvPKT_PKT0_S8_ifPKiSA_SA_iPKfiiiPfSD_PS3_PT2_iSC_SC_
    .private_segment_fixed_size: 0
    .sgpr_count:     38
    .sgpr_spill_count: 0
    .symbol:         _Z39paged_attention_ll4mi_QKV_mfma16_kernelIDF16_hLN4vllm18Fp8KVCacheDataTypeE1EhLi16ELi128ELi256ELb1ELi13EL8MFMAType1EEvPKT_PKT0_S8_ifPKiSA_SA_iPKfiiiPfSD_PS3_PT2_iSC_SC_.kd
    .uniform_work_group_size: 1
    .uses_dynamic_stack: false
    .vgpr_count:     150
    .vgpr_spill_count: 0
    .wavefront_size: 32
    .workgroup_processor_mode: 1
  - .args:
      - .actual_access:  read_only
        .address_space:  global
        .offset:         0
        .size:           8
        .value_kind:     global_buffer
      - .actual_access:  read_only
        .address_space:  global
        .offset:         8
        .size:           8
        .value_kind:     global_buffer
      - .actual_access:  read_only
        .address_space:  global
        .offset:         16
        .size:           8
        .value_kind:     global_buffer
      - .offset:         24
        .size:           4
        .value_kind:     by_value
      - .offset:         28
        .size:           4
        .value_kind:     by_value
      - .actual_access:  read_only
        .address_space:  global
        .offset:         32
        .size:           8
        .value_kind:     global_buffer
      - .actual_access:  read_only
        .address_space:  global
        .offset:         40
        .size:           8
        .value_kind:     global_buffer
      - .actual_access:  read_only
        .address_space:  global
        .offset:         48
        .size:           8
        .value_kind:     global_buffer
      - .offset:         56
        .size:           4
        .value_kind:     by_value
      - .actual_access:  read_only
        .address_space:  global
        .offset:         64
        .size:           8
        .value_kind:     global_buffer
      - .offset:         72
        .size:           4
        .value_kind:     by_value
      - .offset:         76
        .size:           4
        .value_kind:     by_value
      - .offset:         80
        .size:           4
        .value_kind:     by_value
      - .actual_access:  write_only
        .address_space:  global
        .offset:         88
        .size:           8
        .value_kind:     global_buffer
      - .actual_access:  write_only
        .address_space:  global
        .offset:         96
        .size:           8
        .value_kind:     global_buffer
      - .actual_access:  write_only
        .address_space:  global
        .offset:         104
        .size:           8
        .value_kind:     global_buffer
      - .actual_access:  read_only
        .address_space:  global
        .offset:         112
        .size:           8
        .value_kind:     global_buffer
      - .offset:         120
        .size:           4
        .value_kind:     by_value
      - .address_space:  global
        .offset:         128
        .size:           8
        .value_kind:     global_buffer
      - .address_space:  global
        .offset:         136
        .size:           8
        .value_kind:     global_buffer
      - .offset:         144
        .size:           4
        .value_kind:     hidden_block_count_x
      - .offset:         148
        .size:           4
        .value_kind:     hidden_block_count_y
      - .offset:         152
        .size:           4
        .value_kind:     hidden_block_count_z
      - .offset:         156
        .size:           2
        .value_kind:     hidden_group_size_x
      - .offset:         158
        .size:           2
        .value_kind:     hidden_group_size_y
      - .offset:         160
        .size:           2
        .value_kind:     hidden_group_size_z
      - .offset:         162
        .size:           2
        .value_kind:     hidden_remainder_x
      - .offset:         164
        .size:           2
        .value_kind:     hidden_remainder_y
      - .offset:         166
        .size:           2
        .value_kind:     hidden_remainder_z
      - .offset:         184
        .size:           8
        .value_kind:     hidden_global_offset_x
      - .offset:         192
        .size:           8
        .value_kind:     hidden_global_offset_y
      - .offset:         200
        .size:           8
        .value_kind:     hidden_global_offset_z
      - .offset:         208
        .size:           2
        .value_kind:     hidden_grid_dims
    .group_segment_fixed_size: 17472
    .kernarg_segment_align: 8
    .kernarg_segment_size: 400
    .language:       OpenCL C
    .language_version:
      - 2
      - 0
    .max_flat_workgroup_size: 256
    .name:           _Z39paged_attention_ll4mi_QKV_mfma16_kernelIDF16_hLN4vllm18Fp8KVCacheDataTypeE1EhLi16ELi128ELi256ELb1ELi14EL8MFMAType1EEvPKT_PKT0_S8_ifPKiSA_SA_iPKfiiiPfSD_PS3_PT2_iSC_SC_
    .private_segment_fixed_size: 0
    .sgpr_count:     38
    .sgpr_spill_count: 0
    .symbol:         _Z39paged_attention_ll4mi_QKV_mfma16_kernelIDF16_hLN4vllm18Fp8KVCacheDataTypeE1EhLi16ELi128ELi256ELb1ELi14EL8MFMAType1EEvPKT_PKT0_S8_ifPKiSA_SA_iPKfiiiPfSD_PS3_PT2_iSC_SC_.kd
    .uniform_work_group_size: 1
    .uses_dynamic_stack: false
    .vgpr_count:     150
    .vgpr_spill_count: 0
    .wavefront_size: 32
    .workgroup_processor_mode: 1
  - .args:
      - .actual_access:  read_only
        .address_space:  global
        .offset:         0
        .size:           8
        .value_kind:     global_buffer
      - .actual_access:  read_only
        .address_space:  global
        .offset:         8
        .size:           8
        .value_kind:     global_buffer
      - .actual_access:  read_only
        .address_space:  global
        .offset:         16
        .size:           8
        .value_kind:     global_buffer
      - .offset:         24
        .size:           4
        .value_kind:     by_value
      - .offset:         28
        .size:           4
        .value_kind:     by_value
      - .actual_access:  read_only
        .address_space:  global
        .offset:         32
        .size:           8
        .value_kind:     global_buffer
      - .actual_access:  read_only
        .address_space:  global
        .offset:         40
        .size:           8
        .value_kind:     global_buffer
      - .actual_access:  read_only
        .address_space:  global
        .offset:         48
        .size:           8
        .value_kind:     global_buffer
      - .offset:         56
        .size:           4
        .value_kind:     by_value
      - .actual_access:  read_only
        .address_space:  global
        .offset:         64
        .size:           8
        .value_kind:     global_buffer
      - .offset:         72
        .size:           4
        .value_kind:     by_value
      - .offset:         76
        .size:           4
        .value_kind:     by_value
      - .offset:         80
        .size:           4
        .value_kind:     by_value
      - .actual_access:  write_only
        .address_space:  global
        .offset:         88
        .size:           8
        .value_kind:     global_buffer
      - .actual_access:  write_only
        .address_space:  global
        .offset:         96
        .size:           8
        .value_kind:     global_buffer
      - .actual_access:  write_only
        .address_space:  global
        .offset:         104
        .size:           8
        .value_kind:     global_buffer
      - .actual_access:  read_only
        .address_space:  global
        .offset:         112
        .size:           8
        .value_kind:     global_buffer
      - .offset:         120
        .size:           4
        .value_kind:     by_value
      - .address_space:  global
        .offset:         128
        .size:           8
        .value_kind:     global_buffer
      - .address_space:  global
        .offset:         136
        .size:           8
        .value_kind:     global_buffer
      - .offset:         144
        .size:           4
        .value_kind:     hidden_block_count_x
      - .offset:         148
        .size:           4
        .value_kind:     hidden_block_count_y
      - .offset:         152
        .size:           4
        .value_kind:     hidden_block_count_z
      - .offset:         156
        .size:           2
        .value_kind:     hidden_group_size_x
      - .offset:         158
        .size:           2
        .value_kind:     hidden_group_size_y
      - .offset:         160
        .size:           2
        .value_kind:     hidden_group_size_z
      - .offset:         162
        .size:           2
        .value_kind:     hidden_remainder_x
      - .offset:         164
        .size:           2
        .value_kind:     hidden_remainder_y
      - .offset:         166
        .size:           2
        .value_kind:     hidden_remainder_z
      - .offset:         184
        .size:           8
        .value_kind:     hidden_global_offset_x
      - .offset:         192
        .size:           8
        .value_kind:     hidden_global_offset_y
      - .offset:         200
        .size:           8
        .value_kind:     hidden_global_offset_z
      - .offset:         208
        .size:           2
        .value_kind:     hidden_grid_dims
    .group_segment_fixed_size: 17472
    .kernarg_segment_align: 8
    .kernarg_segment_size: 400
    .language:       OpenCL C
    .language_version:
      - 2
      - 0
    .max_flat_workgroup_size: 256
    .name:           _Z39paged_attention_ll4mi_QKV_mfma16_kernelIDF16_hLN4vllm18Fp8KVCacheDataTypeE1EhLi16ELi128ELi256ELb1ELi15EL8MFMAType1EEvPKT_PKT0_S8_ifPKiSA_SA_iPKfiiiPfSD_PS3_PT2_iSC_SC_
    .private_segment_fixed_size: 0
    .sgpr_count:     38
    .sgpr_spill_count: 0
    .symbol:         _Z39paged_attention_ll4mi_QKV_mfma16_kernelIDF16_hLN4vllm18Fp8KVCacheDataTypeE1EhLi16ELi128ELi256ELb1ELi15EL8MFMAType1EEvPKT_PKT0_S8_ifPKiSA_SA_iPKfiiiPfSD_PS3_PT2_iSC_SC_.kd
    .uniform_work_group_size: 1
    .uses_dynamic_stack: false
    .vgpr_count:     150
    .vgpr_spill_count: 0
    .wavefront_size: 32
    .workgroup_processor_mode: 1
  - .args:
      - .actual_access:  read_only
        .address_space:  global
        .offset:         0
        .size:           8
        .value_kind:     global_buffer
      - .actual_access:  read_only
        .address_space:  global
        .offset:         8
        .size:           8
        .value_kind:     global_buffer
      - .actual_access:  read_only
        .address_space:  global
        .offset:         16
        .size:           8
        .value_kind:     global_buffer
      - .offset:         24
        .size:           4
        .value_kind:     by_value
      - .offset:         28
        .size:           4
        .value_kind:     by_value
      - .actual_access:  read_only
        .address_space:  global
        .offset:         32
        .size:           8
        .value_kind:     global_buffer
      - .actual_access:  read_only
        .address_space:  global
        .offset:         40
        .size:           8
        .value_kind:     global_buffer
      - .actual_access:  read_only
        .address_space:  global
        .offset:         48
        .size:           8
        .value_kind:     global_buffer
      - .offset:         56
        .size:           4
        .value_kind:     by_value
      - .actual_access:  read_only
        .address_space:  global
        .offset:         64
        .size:           8
        .value_kind:     global_buffer
      - .offset:         72
        .size:           4
        .value_kind:     by_value
      - .offset:         76
        .size:           4
        .value_kind:     by_value
      - .offset:         80
        .size:           4
        .value_kind:     by_value
      - .actual_access:  write_only
        .address_space:  global
        .offset:         88
        .size:           8
        .value_kind:     global_buffer
      - .actual_access:  write_only
        .address_space:  global
        .offset:         96
        .size:           8
        .value_kind:     global_buffer
      - .actual_access:  write_only
        .address_space:  global
        .offset:         104
        .size:           8
        .value_kind:     global_buffer
      - .actual_access:  read_only
        .address_space:  global
        .offset:         112
        .size:           8
        .value_kind:     global_buffer
      - .offset:         120
        .size:           4
        .value_kind:     by_value
      - .address_space:  global
        .offset:         128
        .size:           8
        .value_kind:     global_buffer
      - .address_space:  global
        .offset:         136
        .size:           8
        .value_kind:     global_buffer
      - .offset:         144
        .size:           4
        .value_kind:     hidden_block_count_x
      - .offset:         148
        .size:           4
        .value_kind:     hidden_block_count_y
      - .offset:         152
        .size:           4
        .value_kind:     hidden_block_count_z
      - .offset:         156
        .size:           2
        .value_kind:     hidden_group_size_x
      - .offset:         158
        .size:           2
        .value_kind:     hidden_group_size_y
      - .offset:         160
        .size:           2
        .value_kind:     hidden_group_size_z
      - .offset:         162
        .size:           2
        .value_kind:     hidden_remainder_x
      - .offset:         164
        .size:           2
        .value_kind:     hidden_remainder_y
      - .offset:         166
        .size:           2
        .value_kind:     hidden_remainder_z
      - .offset:         184
        .size:           8
        .value_kind:     hidden_global_offset_x
      - .offset:         192
        .size:           8
        .value_kind:     hidden_global_offset_y
      - .offset:         200
        .size:           8
        .value_kind:     hidden_global_offset_z
      - .offset:         208
        .size:           2
        .value_kind:     hidden_grid_dims
    .group_segment_fixed_size: 17472
    .kernarg_segment_align: 8
    .kernarg_segment_size: 400
    .language:       OpenCL C
    .language_version:
      - 2
      - 0
    .max_flat_workgroup_size: 256
    .name:           _Z39paged_attention_ll4mi_QKV_mfma16_kernelIDF16_hLN4vllm18Fp8KVCacheDataTypeE1EhLi16ELi128ELi256ELb1ELi16EL8MFMAType1EEvPKT_PKT0_S8_ifPKiSA_SA_iPKfiiiPfSD_PS3_PT2_iSC_SC_
    .private_segment_fixed_size: 0
    .sgpr_count:     37
    .sgpr_spill_count: 0
    .symbol:         _Z39paged_attention_ll4mi_QKV_mfma16_kernelIDF16_hLN4vllm18Fp8KVCacheDataTypeE1EhLi16ELi128ELi256ELb1ELi16EL8MFMAType1EEvPKT_PKT0_S8_ifPKiSA_SA_iPKfiiiPfSD_PS3_PT2_iSC_SC_.kd
    .uniform_work_group_size: 1
    .uses_dynamic_stack: false
    .vgpr_count:     140
    .vgpr_spill_count: 0
    .wavefront_size: 32
    .workgroup_processor_mode: 1
  - .args:
      - .actual_access:  read_only
        .address_space:  global
        .offset:         0
        .size:           8
        .value_kind:     global_buffer
      - .actual_access:  read_only
        .address_space:  global
        .offset:         8
        .size:           8
        .value_kind:     global_buffer
      - .actual_access:  read_only
        .address_space:  global
        .offset:         16
        .size:           8
        .value_kind:     global_buffer
      - .offset:         24
        .size:           4
        .value_kind:     by_value
      - .offset:         28
        .size:           4
        .value_kind:     by_value
      - .actual_access:  read_only
        .address_space:  global
        .offset:         32
        .size:           8
        .value_kind:     global_buffer
      - .actual_access:  read_only
        .address_space:  global
        .offset:         40
        .size:           8
        .value_kind:     global_buffer
      - .actual_access:  read_only
        .address_space:  global
        .offset:         48
        .size:           8
        .value_kind:     global_buffer
      - .offset:         56
        .size:           4
        .value_kind:     by_value
      - .actual_access:  read_only
        .address_space:  global
        .offset:         64
        .size:           8
        .value_kind:     global_buffer
      - .offset:         72
        .size:           4
        .value_kind:     by_value
      - .offset:         76
        .size:           4
        .value_kind:     by_value
      - .offset:         80
        .size:           4
        .value_kind:     by_value
      - .actual_access:  write_only
        .address_space:  global
        .offset:         88
        .size:           8
        .value_kind:     global_buffer
      - .actual_access:  write_only
        .address_space:  global
        .offset:         96
        .size:           8
        .value_kind:     global_buffer
      - .actual_access:  write_only
        .address_space:  global
        .offset:         104
        .size:           8
        .value_kind:     global_buffer
      - .actual_access:  read_only
        .address_space:  global
        .offset:         112
        .size:           8
        .value_kind:     global_buffer
      - .offset:         120
        .size:           4
        .value_kind:     by_value
      - .address_space:  global
        .offset:         128
        .size:           8
        .value_kind:     global_buffer
      - .address_space:  global
        .offset:         136
        .size:           8
        .value_kind:     global_buffer
      - .offset:         144
        .size:           4
        .value_kind:     hidden_block_count_x
      - .offset:         148
        .size:           4
        .value_kind:     hidden_block_count_y
      - .offset:         152
        .size:           4
        .value_kind:     hidden_block_count_z
      - .offset:         156
        .size:           2
        .value_kind:     hidden_group_size_x
      - .offset:         158
        .size:           2
        .value_kind:     hidden_group_size_y
      - .offset:         160
        .size:           2
        .value_kind:     hidden_group_size_z
      - .offset:         162
        .size:           2
        .value_kind:     hidden_remainder_x
      - .offset:         164
        .size:           2
        .value_kind:     hidden_remainder_y
      - .offset:         166
        .size:           2
        .value_kind:     hidden_remainder_z
      - .offset:         184
        .size:           8
        .value_kind:     hidden_global_offset_x
      - .offset:         192
        .size:           8
        .value_kind:     hidden_global_offset_y
      - .offset:         200
        .size:           8
        .value_kind:     hidden_global_offset_z
      - .offset:         208
        .size:           2
        .value_kind:     hidden_grid_dims
    .group_segment_fixed_size: 17472
    .kernarg_segment_align: 8
    .kernarg_segment_size: 400
    .language:       OpenCL C
    .language_version:
      - 2
      - 0
    .max_flat_workgroup_size: 256
    .name:           _Z39paged_attention_ll4mi_QKV_mfma16_kernelIDF16_hLN4vllm18Fp8KVCacheDataTypeE1EhLi16ELi128ELi256ELb1ELi1EL8MFMAType1EEvPKT_PKT0_S8_ifPKiSA_SA_iPKfiiiPfSD_PS3_PT2_iSC_SC_
    .private_segment_fixed_size: 0
    .sgpr_count:     68
    .sgpr_spill_count: 0
    .symbol:         _Z39paged_attention_ll4mi_QKV_mfma16_kernelIDF16_hLN4vllm18Fp8KVCacheDataTypeE1EhLi16ELi128ELi256ELb1ELi1EL8MFMAType1EEvPKT_PKT0_S8_ifPKiSA_SA_iPKfiiiPfSD_PS3_PT2_iSC_SC_.kd
    .uniform_work_group_size: 1
    .uses_dynamic_stack: false
    .vgpr_count:     134
    .vgpr_spill_count: 0
    .wavefront_size: 32
    .workgroup_processor_mode: 1
  - .args:
      - .actual_access:  read_only
        .address_space:  global
        .offset:         0
        .size:           8
        .value_kind:     global_buffer
      - .actual_access:  read_only
        .address_space:  global
        .offset:         8
        .size:           8
        .value_kind:     global_buffer
      - .actual_access:  read_only
        .address_space:  global
        .offset:         16
        .size:           8
        .value_kind:     global_buffer
      - .offset:         24
        .size:           4
        .value_kind:     by_value
      - .offset:         28
        .size:           4
        .value_kind:     by_value
      - .actual_access:  read_only
        .address_space:  global
        .offset:         32
        .size:           8
        .value_kind:     global_buffer
      - .actual_access:  read_only
        .address_space:  global
        .offset:         40
        .size:           8
        .value_kind:     global_buffer
      - .actual_access:  read_only
        .address_space:  global
        .offset:         48
        .size:           8
        .value_kind:     global_buffer
      - .offset:         56
        .size:           4
        .value_kind:     by_value
      - .actual_access:  read_only
        .address_space:  global
        .offset:         64
        .size:           8
        .value_kind:     global_buffer
      - .offset:         72
        .size:           4
        .value_kind:     by_value
      - .offset:         76
        .size:           4
        .value_kind:     by_value
      - .offset:         80
        .size:           4
        .value_kind:     by_value
      - .actual_access:  write_only
        .address_space:  global
        .offset:         88
        .size:           8
        .value_kind:     global_buffer
      - .actual_access:  write_only
        .address_space:  global
        .offset:         96
        .size:           8
        .value_kind:     global_buffer
      - .actual_access:  write_only
        .address_space:  global
        .offset:         104
        .size:           8
        .value_kind:     global_buffer
      - .actual_access:  read_only
        .address_space:  global
        .offset:         112
        .size:           8
        .value_kind:     global_buffer
      - .offset:         120
        .size:           4
        .value_kind:     by_value
      - .address_space:  global
        .offset:         128
        .size:           8
        .value_kind:     global_buffer
      - .address_space:  global
        .offset:         136
        .size:           8
        .value_kind:     global_buffer
      - .offset:         144
        .size:           4
        .value_kind:     hidden_block_count_x
      - .offset:         148
        .size:           4
        .value_kind:     hidden_block_count_y
      - .offset:         152
        .size:           4
        .value_kind:     hidden_block_count_z
      - .offset:         156
        .size:           2
        .value_kind:     hidden_group_size_x
      - .offset:         158
        .size:           2
        .value_kind:     hidden_group_size_y
      - .offset:         160
        .size:           2
        .value_kind:     hidden_group_size_z
      - .offset:         162
        .size:           2
        .value_kind:     hidden_remainder_x
      - .offset:         164
        .size:           2
        .value_kind:     hidden_remainder_y
      - .offset:         166
        .size:           2
        .value_kind:     hidden_remainder_z
      - .offset:         184
        .size:           8
        .value_kind:     hidden_global_offset_x
      - .offset:         192
        .size:           8
        .value_kind:     hidden_global_offset_y
      - .offset:         200
        .size:           8
        .value_kind:     hidden_global_offset_z
      - .offset:         208
        .size:           2
        .value_kind:     hidden_grid_dims
    .group_segment_fixed_size: 17472
    .kernarg_segment_align: 8
    .kernarg_segment_size: 400
    .language:       OpenCL C
    .language_version:
      - 2
      - 0
    .max_flat_workgroup_size: 256
    .name:           _Z39paged_attention_ll4mi_QKV_mfma16_kernelIDF16_hLN4vllm18Fp8KVCacheDataTypeE1EhLi16ELi128ELi256ELb1ELi2EL8MFMAType1EEvPKT_PKT0_S8_ifPKiSA_SA_iPKfiiiPfSD_PS3_PT2_iSC_SC_
    .private_segment_fixed_size: 0
    .sgpr_count:     39
    .sgpr_spill_count: 0
    .symbol:         _Z39paged_attention_ll4mi_QKV_mfma16_kernelIDF16_hLN4vllm18Fp8KVCacheDataTypeE1EhLi16ELi128ELi256ELb1ELi2EL8MFMAType1EEvPKT_PKT0_S8_ifPKiSA_SA_iPKfiiiPfSD_PS3_PT2_iSC_SC_.kd
    .uniform_work_group_size: 1
    .uses_dynamic_stack: false
    .vgpr_count:     146
    .vgpr_spill_count: 0
    .wavefront_size: 32
    .workgroup_processor_mode: 1
  - .args:
      - .actual_access:  read_only
        .address_space:  global
        .offset:         0
        .size:           8
        .value_kind:     global_buffer
      - .actual_access:  read_only
        .address_space:  global
        .offset:         8
        .size:           8
        .value_kind:     global_buffer
      - .actual_access:  read_only
        .address_space:  global
        .offset:         16
        .size:           8
        .value_kind:     global_buffer
      - .offset:         24
        .size:           4
        .value_kind:     by_value
      - .offset:         28
        .size:           4
        .value_kind:     by_value
      - .actual_access:  read_only
        .address_space:  global
        .offset:         32
        .size:           8
        .value_kind:     global_buffer
      - .actual_access:  read_only
        .address_space:  global
        .offset:         40
        .size:           8
        .value_kind:     global_buffer
      - .actual_access:  read_only
        .address_space:  global
        .offset:         48
        .size:           8
        .value_kind:     global_buffer
      - .offset:         56
        .size:           4
        .value_kind:     by_value
      - .actual_access:  read_only
        .address_space:  global
        .offset:         64
        .size:           8
        .value_kind:     global_buffer
      - .offset:         72
        .size:           4
        .value_kind:     by_value
      - .offset:         76
        .size:           4
        .value_kind:     by_value
      - .offset:         80
        .size:           4
        .value_kind:     by_value
      - .actual_access:  write_only
        .address_space:  global
        .offset:         88
        .size:           8
        .value_kind:     global_buffer
      - .actual_access:  write_only
        .address_space:  global
        .offset:         96
        .size:           8
        .value_kind:     global_buffer
      - .actual_access:  write_only
        .address_space:  global
        .offset:         104
        .size:           8
        .value_kind:     global_buffer
      - .actual_access:  read_only
        .address_space:  global
        .offset:         112
        .size:           8
        .value_kind:     global_buffer
      - .offset:         120
        .size:           4
        .value_kind:     by_value
      - .address_space:  global
        .offset:         128
        .size:           8
        .value_kind:     global_buffer
      - .address_space:  global
        .offset:         136
        .size:           8
        .value_kind:     global_buffer
      - .offset:         144
        .size:           4
        .value_kind:     hidden_block_count_x
      - .offset:         148
        .size:           4
        .value_kind:     hidden_block_count_y
      - .offset:         152
        .size:           4
        .value_kind:     hidden_block_count_z
      - .offset:         156
        .size:           2
        .value_kind:     hidden_group_size_x
      - .offset:         158
        .size:           2
        .value_kind:     hidden_group_size_y
      - .offset:         160
        .size:           2
        .value_kind:     hidden_group_size_z
      - .offset:         162
        .size:           2
        .value_kind:     hidden_remainder_x
      - .offset:         164
        .size:           2
        .value_kind:     hidden_remainder_y
      - .offset:         166
        .size:           2
        .value_kind:     hidden_remainder_z
      - .offset:         184
        .size:           8
        .value_kind:     hidden_global_offset_x
      - .offset:         192
        .size:           8
        .value_kind:     hidden_global_offset_y
      - .offset:         200
        .size:           8
        .value_kind:     hidden_global_offset_z
      - .offset:         208
        .size:           2
        .value_kind:     hidden_grid_dims
    .group_segment_fixed_size: 17472
    .kernarg_segment_align: 8
    .kernarg_segment_size: 400
    .language:       OpenCL C
    .language_version:
      - 2
      - 0
    .max_flat_workgroup_size: 256
    .name:           _Z39paged_attention_ll4mi_QKV_mfma16_kernelIDF16_hLN4vllm18Fp8KVCacheDataTypeE1EhLi16ELi128ELi256ELb1ELi3EL8MFMAType1EEvPKT_PKT0_S8_ifPKiSA_SA_iPKfiiiPfSD_PS3_PT2_iSC_SC_
    .private_segment_fixed_size: 0
    .sgpr_count:     38
    .sgpr_spill_count: 0
    .symbol:         _Z39paged_attention_ll4mi_QKV_mfma16_kernelIDF16_hLN4vllm18Fp8KVCacheDataTypeE1EhLi16ELi128ELi256ELb1ELi3EL8MFMAType1EEvPKT_PKT0_S8_ifPKiSA_SA_iPKfiiiPfSD_PS3_PT2_iSC_SC_.kd
    .uniform_work_group_size: 1
    .uses_dynamic_stack: false
    .vgpr_count:     150
    .vgpr_spill_count: 0
    .wavefront_size: 32
    .workgroup_processor_mode: 1
  - .args:
      - .actual_access:  read_only
        .address_space:  global
        .offset:         0
        .size:           8
        .value_kind:     global_buffer
      - .actual_access:  read_only
        .address_space:  global
        .offset:         8
        .size:           8
        .value_kind:     global_buffer
      - .actual_access:  read_only
        .address_space:  global
        .offset:         16
        .size:           8
        .value_kind:     global_buffer
      - .offset:         24
        .size:           4
        .value_kind:     by_value
      - .offset:         28
        .size:           4
        .value_kind:     by_value
      - .actual_access:  read_only
        .address_space:  global
        .offset:         32
        .size:           8
        .value_kind:     global_buffer
      - .actual_access:  read_only
        .address_space:  global
        .offset:         40
        .size:           8
        .value_kind:     global_buffer
      - .actual_access:  read_only
        .address_space:  global
        .offset:         48
        .size:           8
        .value_kind:     global_buffer
      - .offset:         56
        .size:           4
        .value_kind:     by_value
      - .actual_access:  read_only
        .address_space:  global
        .offset:         64
        .size:           8
        .value_kind:     global_buffer
      - .offset:         72
        .size:           4
        .value_kind:     by_value
      - .offset:         76
        .size:           4
        .value_kind:     by_value
      - .offset:         80
        .size:           4
        .value_kind:     by_value
      - .actual_access:  write_only
        .address_space:  global
        .offset:         88
        .size:           8
        .value_kind:     global_buffer
      - .actual_access:  write_only
        .address_space:  global
        .offset:         96
        .size:           8
        .value_kind:     global_buffer
      - .actual_access:  write_only
        .address_space:  global
        .offset:         104
        .size:           8
        .value_kind:     global_buffer
      - .actual_access:  read_only
        .address_space:  global
        .offset:         112
        .size:           8
        .value_kind:     global_buffer
      - .offset:         120
        .size:           4
        .value_kind:     by_value
      - .address_space:  global
        .offset:         128
        .size:           8
        .value_kind:     global_buffer
      - .address_space:  global
        .offset:         136
        .size:           8
        .value_kind:     global_buffer
      - .offset:         144
        .size:           4
        .value_kind:     hidden_block_count_x
      - .offset:         148
        .size:           4
        .value_kind:     hidden_block_count_y
      - .offset:         152
        .size:           4
        .value_kind:     hidden_block_count_z
      - .offset:         156
        .size:           2
        .value_kind:     hidden_group_size_x
      - .offset:         158
        .size:           2
        .value_kind:     hidden_group_size_y
      - .offset:         160
        .size:           2
        .value_kind:     hidden_group_size_z
      - .offset:         162
        .size:           2
        .value_kind:     hidden_remainder_x
      - .offset:         164
        .size:           2
        .value_kind:     hidden_remainder_y
      - .offset:         166
        .size:           2
        .value_kind:     hidden_remainder_z
      - .offset:         184
        .size:           8
        .value_kind:     hidden_global_offset_x
      - .offset:         192
        .size:           8
        .value_kind:     hidden_global_offset_y
      - .offset:         200
        .size:           8
        .value_kind:     hidden_global_offset_z
      - .offset:         208
        .size:           2
        .value_kind:     hidden_grid_dims
    .group_segment_fixed_size: 17472
    .kernarg_segment_align: 8
    .kernarg_segment_size: 400
    .language:       OpenCL C
    .language_version:
      - 2
      - 0
    .max_flat_workgroup_size: 256
    .name:           _Z39paged_attention_ll4mi_QKV_mfma16_kernelIDF16_hLN4vllm18Fp8KVCacheDataTypeE1EhLi16ELi128ELi256ELb1ELi4EL8MFMAType1EEvPKT_PKT0_S8_ifPKiSA_SA_iPKfiiiPfSD_PS3_PT2_iSC_SC_
    .private_segment_fixed_size: 0
    .sgpr_count:     38
    .sgpr_spill_count: 0
    .symbol:         _Z39paged_attention_ll4mi_QKV_mfma16_kernelIDF16_hLN4vllm18Fp8KVCacheDataTypeE1EhLi16ELi128ELi256ELb1ELi4EL8MFMAType1EEvPKT_PKT0_S8_ifPKiSA_SA_iPKfiiiPfSD_PS3_PT2_iSC_SC_.kd
    .uniform_work_group_size: 1
    .uses_dynamic_stack: false
    .vgpr_count:     140
    .vgpr_spill_count: 0
    .wavefront_size: 32
    .workgroup_processor_mode: 1
  - .args:
      - .actual_access:  read_only
        .address_space:  global
        .offset:         0
        .size:           8
        .value_kind:     global_buffer
      - .actual_access:  read_only
        .address_space:  global
        .offset:         8
        .size:           8
        .value_kind:     global_buffer
      - .actual_access:  read_only
        .address_space:  global
        .offset:         16
        .size:           8
        .value_kind:     global_buffer
      - .offset:         24
        .size:           4
        .value_kind:     by_value
      - .offset:         28
        .size:           4
        .value_kind:     by_value
      - .actual_access:  read_only
        .address_space:  global
        .offset:         32
        .size:           8
        .value_kind:     global_buffer
      - .actual_access:  read_only
        .address_space:  global
        .offset:         40
        .size:           8
        .value_kind:     global_buffer
      - .actual_access:  read_only
        .address_space:  global
        .offset:         48
        .size:           8
        .value_kind:     global_buffer
      - .offset:         56
        .size:           4
        .value_kind:     by_value
      - .actual_access:  read_only
        .address_space:  global
        .offset:         64
        .size:           8
        .value_kind:     global_buffer
      - .offset:         72
        .size:           4
        .value_kind:     by_value
      - .offset:         76
        .size:           4
        .value_kind:     by_value
      - .offset:         80
        .size:           4
        .value_kind:     by_value
      - .actual_access:  read_only
        .address_space:  global
        .offset:         88
        .size:           8
        .value_kind:     global_buffer
      - .actual_access:  read_only
        .address_space:  global
        .offset:         96
        .size:           8
        .value_kind:     global_buffer
      - .actual_access:  read_only
        .address_space:  global
        .offset:         104
        .size:           8
        .value_kind:     global_buffer
      - .actual_access:  read_only
        .address_space:  global
        .offset:         112
        .size:           8
        .value_kind:     global_buffer
      - .offset:         120
        .size:           4
        .value_kind:     by_value
      - .address_space:  global
        .offset:         128
        .size:           8
        .value_kind:     global_buffer
      - .address_space:  global
        .offset:         136
        .size:           8
        .value_kind:     global_buffer
      - .offset:         144
        .size:           4
        .value_kind:     hidden_block_count_x
      - .offset:         148
        .size:           4
        .value_kind:     hidden_block_count_y
      - .offset:         152
        .size:           4
        .value_kind:     hidden_block_count_z
      - .offset:         156
        .size:           2
        .value_kind:     hidden_group_size_x
      - .offset:         158
        .size:           2
        .value_kind:     hidden_group_size_y
      - .offset:         160
        .size:           2
        .value_kind:     hidden_group_size_z
      - .offset:         162
        .size:           2
        .value_kind:     hidden_remainder_x
      - .offset:         164
        .size:           2
        .value_kind:     hidden_remainder_y
      - .offset:         166
        .size:           2
        .value_kind:     hidden_remainder_z
      - .offset:         184
        .size:           8
        .value_kind:     hidden_global_offset_x
      - .offset:         192
        .size:           8
        .value_kind:     hidden_global_offset_y
      - .offset:         200
        .size:           8
        .value_kind:     hidden_global_offset_z
      - .offset:         208
        .size:           2
        .value_kind:     hidden_grid_dims
      - .offset:         224
        .size:           8
        .value_kind:     hidden_hostcall_buffer
    .group_segment_fixed_size: 0
    .kernarg_segment_align: 8
    .kernarg_segment_size: 400
    .language:       OpenCL C
    .language_version:
      - 2
      - 0
    .max_flat_workgroup_size: 256
    .name:           _Z38paged_attention_ll4mi_QKV_mfma4_kernelIDF16_hLN4vllm18Fp8KVCacheDataTypeE1EhLi16ELi128ELi256ELb0ELi1EEvPKT_PKT0_S7_ifPKiS9_S9_iPKfiiiPfSC_PS2_PT2_iSB_SB_
    .private_segment_fixed_size: 64
    .sgpr_count:     36
    .sgpr_spill_count: 0
    .symbol:         _Z38paged_attention_ll4mi_QKV_mfma4_kernelIDF16_hLN4vllm18Fp8KVCacheDataTypeE1EhLi16ELi128ELi256ELb0ELi1EEvPKT_PKT0_S7_ifPKiS9_S9_iPKfiiiPfSC_PS2_PT2_iSB_SB_.kd
    .uniform_work_group_size: 1
    .uses_dynamic_stack: false
    .vgpr_count:     41
    .vgpr_spill_count: 0
    .wavefront_size: 32
    .workgroup_processor_mode: 1
  - .args:
      - .actual_access:  read_only
        .address_space:  global
        .offset:         0
        .size:           8
        .value_kind:     global_buffer
      - .actual_access:  read_only
        .address_space:  global
        .offset:         8
        .size:           8
        .value_kind:     global_buffer
      - .actual_access:  read_only
        .address_space:  global
        .offset:         16
        .size:           8
        .value_kind:     global_buffer
      - .offset:         24
        .size:           4
        .value_kind:     by_value
      - .offset:         28
        .size:           4
        .value_kind:     by_value
      - .actual_access:  read_only
        .address_space:  global
        .offset:         32
        .size:           8
        .value_kind:     global_buffer
      - .actual_access:  read_only
        .address_space:  global
        .offset:         40
        .size:           8
        .value_kind:     global_buffer
      - .actual_access:  read_only
        .address_space:  global
        .offset:         48
        .size:           8
        .value_kind:     global_buffer
      - .offset:         56
        .size:           4
        .value_kind:     by_value
      - .actual_access:  read_only
        .address_space:  global
        .offset:         64
        .size:           8
        .value_kind:     global_buffer
      - .offset:         72
        .size:           4
        .value_kind:     by_value
      - .offset:         76
        .size:           4
        .value_kind:     by_value
      - .offset:         80
        .size:           4
        .value_kind:     by_value
      - .actual_access:  read_only
        .address_space:  global
        .offset:         88
        .size:           8
        .value_kind:     global_buffer
      - .actual_access:  read_only
        .address_space:  global
        .offset:         96
        .size:           8
        .value_kind:     global_buffer
      - .actual_access:  read_only
        .address_space:  global
        .offset:         104
        .size:           8
        .value_kind:     global_buffer
      - .actual_access:  read_only
        .address_space:  global
        .offset:         112
        .size:           8
        .value_kind:     global_buffer
      - .offset:         120
        .size:           4
        .value_kind:     by_value
      - .address_space:  global
        .offset:         128
        .size:           8
        .value_kind:     global_buffer
      - .address_space:  global
        .offset:         136
        .size:           8
        .value_kind:     global_buffer
      - .offset:         144
        .size:           4
        .value_kind:     hidden_block_count_x
      - .offset:         148
        .size:           4
        .value_kind:     hidden_block_count_y
      - .offset:         152
        .size:           4
        .value_kind:     hidden_block_count_z
      - .offset:         156
        .size:           2
        .value_kind:     hidden_group_size_x
      - .offset:         158
        .size:           2
        .value_kind:     hidden_group_size_y
      - .offset:         160
        .size:           2
        .value_kind:     hidden_group_size_z
      - .offset:         162
        .size:           2
        .value_kind:     hidden_remainder_x
      - .offset:         164
        .size:           2
        .value_kind:     hidden_remainder_y
      - .offset:         166
        .size:           2
        .value_kind:     hidden_remainder_z
      - .offset:         184
        .size:           8
        .value_kind:     hidden_global_offset_x
      - .offset:         192
        .size:           8
        .value_kind:     hidden_global_offset_y
      - .offset:         200
        .size:           8
        .value_kind:     hidden_global_offset_z
      - .offset:         208
        .size:           2
        .value_kind:     hidden_grid_dims
      - .offset:         224
        .size:           8
        .value_kind:     hidden_hostcall_buffer
    .group_segment_fixed_size: 0
    .kernarg_segment_align: 8
    .kernarg_segment_size: 400
    .language:       OpenCL C
    .language_version:
      - 2
      - 0
    .max_flat_workgroup_size: 256
    .name:           _Z38paged_attention_ll4mi_QKV_mfma4_kernelIDF16_hLN4vllm18Fp8KVCacheDataTypeE1EhLi16ELi128ELi256ELb0ELi2EEvPKT_PKT0_S7_ifPKiS9_S9_iPKfiiiPfSC_PS2_PT2_iSB_SB_
    .private_segment_fixed_size: 64
    .sgpr_count:     36
    .sgpr_spill_count: 0
    .symbol:         _Z38paged_attention_ll4mi_QKV_mfma4_kernelIDF16_hLN4vllm18Fp8KVCacheDataTypeE1EhLi16ELi128ELi256ELb0ELi2EEvPKT_PKT0_S7_ifPKiS9_S9_iPKfiiiPfSC_PS2_PT2_iSB_SB_.kd
    .uniform_work_group_size: 1
    .uses_dynamic_stack: false
    .vgpr_count:     41
    .vgpr_spill_count: 0
    .wavefront_size: 32
    .workgroup_processor_mode: 1
  - .args:
      - .actual_access:  read_only
        .address_space:  global
        .offset:         0
        .size:           8
        .value_kind:     global_buffer
      - .actual_access:  read_only
        .address_space:  global
        .offset:         8
        .size:           8
        .value_kind:     global_buffer
      - .actual_access:  read_only
        .address_space:  global
        .offset:         16
        .size:           8
        .value_kind:     global_buffer
      - .offset:         24
        .size:           4
        .value_kind:     by_value
      - .offset:         28
        .size:           4
        .value_kind:     by_value
      - .actual_access:  read_only
        .address_space:  global
        .offset:         32
        .size:           8
        .value_kind:     global_buffer
      - .actual_access:  read_only
        .address_space:  global
        .offset:         40
        .size:           8
        .value_kind:     global_buffer
      - .actual_access:  read_only
        .address_space:  global
        .offset:         48
        .size:           8
        .value_kind:     global_buffer
      - .offset:         56
        .size:           4
        .value_kind:     by_value
      - .actual_access:  read_only
        .address_space:  global
        .offset:         64
        .size:           8
        .value_kind:     global_buffer
      - .offset:         72
        .size:           4
        .value_kind:     by_value
      - .offset:         76
        .size:           4
        .value_kind:     by_value
      - .offset:         80
        .size:           4
        .value_kind:     by_value
      - .actual_access:  read_only
        .address_space:  global
        .offset:         88
        .size:           8
        .value_kind:     global_buffer
      - .actual_access:  read_only
        .address_space:  global
        .offset:         96
        .size:           8
        .value_kind:     global_buffer
      - .actual_access:  read_only
        .address_space:  global
        .offset:         104
        .size:           8
        .value_kind:     global_buffer
      - .actual_access:  read_only
        .address_space:  global
        .offset:         112
        .size:           8
        .value_kind:     global_buffer
      - .offset:         120
        .size:           4
        .value_kind:     by_value
      - .address_space:  global
        .offset:         128
        .size:           8
        .value_kind:     global_buffer
      - .address_space:  global
        .offset:         136
        .size:           8
        .value_kind:     global_buffer
      - .offset:         144
        .size:           4
        .value_kind:     hidden_block_count_x
      - .offset:         148
        .size:           4
        .value_kind:     hidden_block_count_y
      - .offset:         152
        .size:           4
        .value_kind:     hidden_block_count_z
      - .offset:         156
        .size:           2
        .value_kind:     hidden_group_size_x
      - .offset:         158
        .size:           2
        .value_kind:     hidden_group_size_y
      - .offset:         160
        .size:           2
        .value_kind:     hidden_group_size_z
      - .offset:         162
        .size:           2
        .value_kind:     hidden_remainder_x
      - .offset:         164
        .size:           2
        .value_kind:     hidden_remainder_y
      - .offset:         166
        .size:           2
        .value_kind:     hidden_remainder_z
      - .offset:         184
        .size:           8
        .value_kind:     hidden_global_offset_x
      - .offset:         192
        .size:           8
        .value_kind:     hidden_global_offset_y
      - .offset:         200
        .size:           8
        .value_kind:     hidden_global_offset_z
      - .offset:         208
        .size:           2
        .value_kind:     hidden_grid_dims
      - .offset:         224
        .size:           8
        .value_kind:     hidden_hostcall_buffer
    .group_segment_fixed_size: 0
    .kernarg_segment_align: 8
    .kernarg_segment_size: 400
    .language:       OpenCL C
    .language_version:
      - 2
      - 0
    .max_flat_workgroup_size: 256
    .name:           _Z38paged_attention_ll4mi_QKV_mfma4_kernelIDF16_hLN4vllm18Fp8KVCacheDataTypeE1EhLi16ELi128ELi256ELb0ELi3EEvPKT_PKT0_S7_ifPKiS9_S9_iPKfiiiPfSC_PS2_PT2_iSB_SB_
    .private_segment_fixed_size: 64
    .sgpr_count:     36
    .sgpr_spill_count: 0
    .symbol:         _Z38paged_attention_ll4mi_QKV_mfma4_kernelIDF16_hLN4vllm18Fp8KVCacheDataTypeE1EhLi16ELi128ELi256ELb0ELi3EEvPKT_PKT0_S7_ifPKiS9_S9_iPKfiiiPfSC_PS2_PT2_iSB_SB_.kd
    .uniform_work_group_size: 1
    .uses_dynamic_stack: false
    .vgpr_count:     41
    .vgpr_spill_count: 0
    .wavefront_size: 32
    .workgroup_processor_mode: 1
  - .args:
      - .actual_access:  read_only
        .address_space:  global
        .offset:         0
        .size:           8
        .value_kind:     global_buffer
      - .actual_access:  read_only
        .address_space:  global
        .offset:         8
        .size:           8
        .value_kind:     global_buffer
      - .actual_access:  read_only
        .address_space:  global
        .offset:         16
        .size:           8
        .value_kind:     global_buffer
      - .offset:         24
        .size:           4
        .value_kind:     by_value
      - .offset:         28
        .size:           4
        .value_kind:     by_value
      - .actual_access:  read_only
        .address_space:  global
        .offset:         32
        .size:           8
        .value_kind:     global_buffer
      - .actual_access:  read_only
        .address_space:  global
        .offset:         40
        .size:           8
        .value_kind:     global_buffer
      - .actual_access:  read_only
        .address_space:  global
        .offset:         48
        .size:           8
        .value_kind:     global_buffer
      - .offset:         56
        .size:           4
        .value_kind:     by_value
      - .actual_access:  read_only
        .address_space:  global
        .offset:         64
        .size:           8
        .value_kind:     global_buffer
      - .offset:         72
        .size:           4
        .value_kind:     by_value
      - .offset:         76
        .size:           4
        .value_kind:     by_value
      - .offset:         80
        .size:           4
        .value_kind:     by_value
      - .actual_access:  read_only
        .address_space:  global
        .offset:         88
        .size:           8
        .value_kind:     global_buffer
      - .actual_access:  read_only
        .address_space:  global
        .offset:         96
        .size:           8
        .value_kind:     global_buffer
      - .actual_access:  read_only
        .address_space:  global
        .offset:         104
        .size:           8
        .value_kind:     global_buffer
      - .actual_access:  read_only
        .address_space:  global
        .offset:         112
        .size:           8
        .value_kind:     global_buffer
      - .offset:         120
        .size:           4
        .value_kind:     by_value
      - .address_space:  global
        .offset:         128
        .size:           8
        .value_kind:     global_buffer
      - .address_space:  global
        .offset:         136
        .size:           8
        .value_kind:     global_buffer
      - .offset:         144
        .size:           4
        .value_kind:     hidden_block_count_x
      - .offset:         148
        .size:           4
        .value_kind:     hidden_block_count_y
      - .offset:         152
        .size:           4
        .value_kind:     hidden_block_count_z
      - .offset:         156
        .size:           2
        .value_kind:     hidden_group_size_x
      - .offset:         158
        .size:           2
        .value_kind:     hidden_group_size_y
      - .offset:         160
        .size:           2
        .value_kind:     hidden_group_size_z
      - .offset:         162
        .size:           2
        .value_kind:     hidden_remainder_x
      - .offset:         164
        .size:           2
        .value_kind:     hidden_remainder_y
      - .offset:         166
        .size:           2
        .value_kind:     hidden_remainder_z
      - .offset:         184
        .size:           8
        .value_kind:     hidden_global_offset_x
      - .offset:         192
        .size:           8
        .value_kind:     hidden_global_offset_y
      - .offset:         200
        .size:           8
        .value_kind:     hidden_global_offset_z
      - .offset:         208
        .size:           2
        .value_kind:     hidden_grid_dims
      - .offset:         224
        .size:           8
        .value_kind:     hidden_hostcall_buffer
    .group_segment_fixed_size: 0
    .kernarg_segment_align: 8
    .kernarg_segment_size: 400
    .language:       OpenCL C
    .language_version:
      - 2
      - 0
    .max_flat_workgroup_size: 256
    .name:           _Z38paged_attention_ll4mi_QKV_mfma4_kernelIDF16_hLN4vllm18Fp8KVCacheDataTypeE1EhLi16ELi128ELi256ELb0ELi4EEvPKT_PKT0_S7_ifPKiS9_S9_iPKfiiiPfSC_PS2_PT2_iSB_SB_
    .private_segment_fixed_size: 64
    .sgpr_count:     36
    .sgpr_spill_count: 0
    .symbol:         _Z38paged_attention_ll4mi_QKV_mfma4_kernelIDF16_hLN4vllm18Fp8KVCacheDataTypeE1EhLi16ELi128ELi256ELb0ELi4EEvPKT_PKT0_S7_ifPKiS9_S9_iPKfiiiPfSC_PS2_PT2_iSB_SB_.kd
    .uniform_work_group_size: 1
    .uses_dynamic_stack: false
    .vgpr_count:     41
    .vgpr_spill_count: 0
    .wavefront_size: 32
    .workgroup_processor_mode: 1
  - .args:
      - .actual_access:  read_only
        .address_space:  global
        .offset:         0
        .size:           8
        .value_kind:     global_buffer
      - .actual_access:  read_only
        .address_space:  global
        .offset:         8
        .size:           8
        .value_kind:     global_buffer
      - .actual_access:  read_only
        .address_space:  global
        .offset:         16
        .size:           8
        .value_kind:     global_buffer
      - .offset:         24
        .size:           4
        .value_kind:     by_value
      - .offset:         28
        .size:           4
        .value_kind:     by_value
      - .actual_access:  read_only
        .address_space:  global
        .offset:         32
        .size:           8
        .value_kind:     global_buffer
      - .actual_access:  read_only
        .address_space:  global
        .offset:         40
        .size:           8
        .value_kind:     global_buffer
      - .actual_access:  read_only
        .address_space:  global
        .offset:         48
        .size:           8
        .value_kind:     global_buffer
      - .offset:         56
        .size:           4
        .value_kind:     by_value
      - .actual_access:  read_only
        .address_space:  global
        .offset:         64
        .size:           8
        .value_kind:     global_buffer
      - .offset:         72
        .size:           4
        .value_kind:     by_value
      - .offset:         76
        .size:           4
        .value_kind:     by_value
      - .offset:         80
        .size:           4
        .value_kind:     by_value
      - .actual_access:  write_only
        .address_space:  global
        .offset:         88
        .size:           8
        .value_kind:     global_buffer
      - .actual_access:  write_only
        .address_space:  global
        .offset:         96
        .size:           8
        .value_kind:     global_buffer
      - .actual_access:  write_only
        .address_space:  global
        .offset:         104
        .size:           8
        .value_kind:     global_buffer
      - .actual_access:  read_only
        .address_space:  global
        .offset:         112
        .size:           8
        .value_kind:     global_buffer
      - .offset:         120
        .size:           4
        .value_kind:     by_value
      - .address_space:  global
        .offset:         128
        .size:           8
        .value_kind:     global_buffer
      - .address_space:  global
        .offset:         136
        .size:           8
        .value_kind:     global_buffer
      - .offset:         144
        .size:           4
        .value_kind:     hidden_block_count_x
      - .offset:         148
        .size:           4
        .value_kind:     hidden_block_count_y
      - .offset:         152
        .size:           4
        .value_kind:     hidden_block_count_z
      - .offset:         156
        .size:           2
        .value_kind:     hidden_group_size_x
      - .offset:         158
        .size:           2
        .value_kind:     hidden_group_size_y
      - .offset:         160
        .size:           2
        .value_kind:     hidden_group_size_z
      - .offset:         162
        .size:           2
        .value_kind:     hidden_remainder_x
      - .offset:         164
        .size:           2
        .value_kind:     hidden_remainder_y
      - .offset:         166
        .size:           2
        .value_kind:     hidden_remainder_z
      - .offset:         184
        .size:           8
        .value_kind:     hidden_global_offset_x
      - .offset:         192
        .size:           8
        .value_kind:     hidden_global_offset_y
      - .offset:         200
        .size:           8
        .value_kind:     hidden_global_offset_z
      - .offset:         208
        .size:           2
        .value_kind:     hidden_grid_dims
    .group_segment_fixed_size: 17472
    .kernarg_segment_align: 8
    .kernarg_segment_size: 400
    .language:       OpenCL C
    .language_version:
      - 2
      - 0
    .max_flat_workgroup_size: 256
    .name:           _Z39paged_attention_ll4mi_QKV_mfma16_kernelIDF16_hLN4vllm18Fp8KVCacheDataTypeE1EhLi16ELi128ELi256ELb0ELi5EL8MFMAType1EEvPKT_PKT0_S8_ifPKiSA_SA_iPKfiiiPfSD_PS3_PT2_iSC_SC_
    .private_segment_fixed_size: 0
    .sgpr_count:     38
    .sgpr_spill_count: 0
    .symbol:         _Z39paged_attention_ll4mi_QKV_mfma16_kernelIDF16_hLN4vllm18Fp8KVCacheDataTypeE1EhLi16ELi128ELi256ELb0ELi5EL8MFMAType1EEvPKT_PKT0_S8_ifPKiSA_SA_iPKfiiiPfSD_PS3_PT2_iSC_SC_.kd
    .uniform_work_group_size: 1
    .uses_dynamic_stack: false
    .vgpr_count:     150
    .vgpr_spill_count: 0
    .wavefront_size: 32
    .workgroup_processor_mode: 1
  - .args:
      - .actual_access:  read_only
        .address_space:  global
        .offset:         0
        .size:           8
        .value_kind:     global_buffer
      - .actual_access:  read_only
        .address_space:  global
        .offset:         8
        .size:           8
        .value_kind:     global_buffer
      - .actual_access:  read_only
        .address_space:  global
        .offset:         16
        .size:           8
        .value_kind:     global_buffer
      - .offset:         24
        .size:           4
        .value_kind:     by_value
      - .offset:         28
        .size:           4
        .value_kind:     by_value
      - .actual_access:  read_only
        .address_space:  global
        .offset:         32
        .size:           8
        .value_kind:     global_buffer
      - .actual_access:  read_only
        .address_space:  global
        .offset:         40
        .size:           8
        .value_kind:     global_buffer
      - .actual_access:  read_only
        .address_space:  global
        .offset:         48
        .size:           8
        .value_kind:     global_buffer
      - .offset:         56
        .size:           4
        .value_kind:     by_value
      - .actual_access:  read_only
        .address_space:  global
        .offset:         64
        .size:           8
        .value_kind:     global_buffer
      - .offset:         72
        .size:           4
        .value_kind:     by_value
      - .offset:         76
        .size:           4
        .value_kind:     by_value
      - .offset:         80
        .size:           4
        .value_kind:     by_value
      - .actual_access:  write_only
        .address_space:  global
        .offset:         88
        .size:           8
        .value_kind:     global_buffer
      - .actual_access:  write_only
        .address_space:  global
        .offset:         96
        .size:           8
        .value_kind:     global_buffer
      - .actual_access:  write_only
        .address_space:  global
        .offset:         104
        .size:           8
        .value_kind:     global_buffer
      - .actual_access:  read_only
        .address_space:  global
        .offset:         112
        .size:           8
        .value_kind:     global_buffer
      - .offset:         120
        .size:           4
        .value_kind:     by_value
      - .address_space:  global
        .offset:         128
        .size:           8
        .value_kind:     global_buffer
      - .address_space:  global
        .offset:         136
        .size:           8
        .value_kind:     global_buffer
      - .offset:         144
        .size:           4
        .value_kind:     hidden_block_count_x
      - .offset:         148
        .size:           4
        .value_kind:     hidden_block_count_y
      - .offset:         152
        .size:           4
        .value_kind:     hidden_block_count_z
      - .offset:         156
        .size:           2
        .value_kind:     hidden_group_size_x
      - .offset:         158
        .size:           2
        .value_kind:     hidden_group_size_y
      - .offset:         160
        .size:           2
        .value_kind:     hidden_group_size_z
      - .offset:         162
        .size:           2
        .value_kind:     hidden_remainder_x
      - .offset:         164
        .size:           2
        .value_kind:     hidden_remainder_y
      - .offset:         166
        .size:           2
        .value_kind:     hidden_remainder_z
      - .offset:         184
        .size:           8
        .value_kind:     hidden_global_offset_x
      - .offset:         192
        .size:           8
        .value_kind:     hidden_global_offset_y
      - .offset:         200
        .size:           8
        .value_kind:     hidden_global_offset_z
      - .offset:         208
        .size:           2
        .value_kind:     hidden_grid_dims
    .group_segment_fixed_size: 17472
    .kernarg_segment_align: 8
    .kernarg_segment_size: 400
    .language:       OpenCL C
    .language_version:
      - 2
      - 0
    .max_flat_workgroup_size: 256
    .name:           _Z39paged_attention_ll4mi_QKV_mfma16_kernelIDF16_hLN4vllm18Fp8KVCacheDataTypeE1EhLi16ELi128ELi256ELb0ELi6EL8MFMAType1EEvPKT_PKT0_S8_ifPKiSA_SA_iPKfiiiPfSD_PS3_PT2_iSC_SC_
    .private_segment_fixed_size: 0
    .sgpr_count:     38
    .sgpr_spill_count: 0
    .symbol:         _Z39paged_attention_ll4mi_QKV_mfma16_kernelIDF16_hLN4vllm18Fp8KVCacheDataTypeE1EhLi16ELi128ELi256ELb0ELi6EL8MFMAType1EEvPKT_PKT0_S8_ifPKiSA_SA_iPKfiiiPfSD_PS3_PT2_iSC_SC_.kd
    .uniform_work_group_size: 1
    .uses_dynamic_stack: false
    .vgpr_count:     150
    .vgpr_spill_count: 0
    .wavefront_size: 32
    .workgroup_processor_mode: 1
  - .args:
      - .actual_access:  read_only
        .address_space:  global
        .offset:         0
        .size:           8
        .value_kind:     global_buffer
      - .actual_access:  read_only
        .address_space:  global
        .offset:         8
        .size:           8
        .value_kind:     global_buffer
      - .actual_access:  read_only
        .address_space:  global
        .offset:         16
        .size:           8
        .value_kind:     global_buffer
      - .offset:         24
        .size:           4
        .value_kind:     by_value
      - .offset:         28
        .size:           4
        .value_kind:     by_value
      - .actual_access:  read_only
        .address_space:  global
        .offset:         32
        .size:           8
        .value_kind:     global_buffer
      - .actual_access:  read_only
        .address_space:  global
        .offset:         40
        .size:           8
        .value_kind:     global_buffer
      - .actual_access:  read_only
        .address_space:  global
        .offset:         48
        .size:           8
        .value_kind:     global_buffer
      - .offset:         56
        .size:           4
        .value_kind:     by_value
      - .actual_access:  read_only
        .address_space:  global
        .offset:         64
        .size:           8
        .value_kind:     global_buffer
      - .offset:         72
        .size:           4
        .value_kind:     by_value
      - .offset:         76
        .size:           4
        .value_kind:     by_value
      - .offset:         80
        .size:           4
        .value_kind:     by_value
      - .actual_access:  write_only
        .address_space:  global
        .offset:         88
        .size:           8
        .value_kind:     global_buffer
      - .actual_access:  write_only
        .address_space:  global
        .offset:         96
        .size:           8
        .value_kind:     global_buffer
      - .actual_access:  write_only
        .address_space:  global
        .offset:         104
        .size:           8
        .value_kind:     global_buffer
      - .actual_access:  read_only
        .address_space:  global
        .offset:         112
        .size:           8
        .value_kind:     global_buffer
      - .offset:         120
        .size:           4
        .value_kind:     by_value
      - .address_space:  global
        .offset:         128
        .size:           8
        .value_kind:     global_buffer
      - .address_space:  global
        .offset:         136
        .size:           8
        .value_kind:     global_buffer
      - .offset:         144
        .size:           4
        .value_kind:     hidden_block_count_x
      - .offset:         148
        .size:           4
        .value_kind:     hidden_block_count_y
      - .offset:         152
        .size:           4
        .value_kind:     hidden_block_count_z
      - .offset:         156
        .size:           2
        .value_kind:     hidden_group_size_x
      - .offset:         158
        .size:           2
        .value_kind:     hidden_group_size_y
      - .offset:         160
        .size:           2
        .value_kind:     hidden_group_size_z
      - .offset:         162
        .size:           2
        .value_kind:     hidden_remainder_x
      - .offset:         164
        .size:           2
        .value_kind:     hidden_remainder_y
      - .offset:         166
        .size:           2
        .value_kind:     hidden_remainder_z
      - .offset:         184
        .size:           8
        .value_kind:     hidden_global_offset_x
      - .offset:         192
        .size:           8
        .value_kind:     hidden_global_offset_y
      - .offset:         200
        .size:           8
        .value_kind:     hidden_global_offset_z
      - .offset:         208
        .size:           2
        .value_kind:     hidden_grid_dims
    .group_segment_fixed_size: 17472
    .kernarg_segment_align: 8
    .kernarg_segment_size: 400
    .language:       OpenCL C
    .language_version:
      - 2
      - 0
    .max_flat_workgroup_size: 256
    .name:           _Z39paged_attention_ll4mi_QKV_mfma16_kernelIDF16_hLN4vllm18Fp8KVCacheDataTypeE1EhLi16ELi128ELi256ELb0ELi7EL8MFMAType1EEvPKT_PKT0_S8_ifPKiSA_SA_iPKfiiiPfSD_PS3_PT2_iSC_SC_
    .private_segment_fixed_size: 0
    .sgpr_count:     38
    .sgpr_spill_count: 0
    .symbol:         _Z39paged_attention_ll4mi_QKV_mfma16_kernelIDF16_hLN4vllm18Fp8KVCacheDataTypeE1EhLi16ELi128ELi256ELb0ELi7EL8MFMAType1EEvPKT_PKT0_S8_ifPKiSA_SA_iPKfiiiPfSD_PS3_PT2_iSC_SC_.kd
    .uniform_work_group_size: 1
    .uses_dynamic_stack: false
    .vgpr_count:     150
    .vgpr_spill_count: 0
    .wavefront_size: 32
    .workgroup_processor_mode: 1
  - .args:
      - .actual_access:  read_only
        .address_space:  global
        .offset:         0
        .size:           8
        .value_kind:     global_buffer
      - .actual_access:  read_only
        .address_space:  global
        .offset:         8
        .size:           8
        .value_kind:     global_buffer
      - .actual_access:  read_only
        .address_space:  global
        .offset:         16
        .size:           8
        .value_kind:     global_buffer
      - .offset:         24
        .size:           4
        .value_kind:     by_value
      - .offset:         28
        .size:           4
        .value_kind:     by_value
      - .actual_access:  read_only
        .address_space:  global
        .offset:         32
        .size:           8
        .value_kind:     global_buffer
      - .actual_access:  read_only
        .address_space:  global
        .offset:         40
        .size:           8
        .value_kind:     global_buffer
      - .actual_access:  read_only
        .address_space:  global
        .offset:         48
        .size:           8
        .value_kind:     global_buffer
      - .offset:         56
        .size:           4
        .value_kind:     by_value
      - .actual_access:  read_only
        .address_space:  global
        .offset:         64
        .size:           8
        .value_kind:     global_buffer
      - .offset:         72
        .size:           4
        .value_kind:     by_value
      - .offset:         76
        .size:           4
        .value_kind:     by_value
      - .offset:         80
        .size:           4
        .value_kind:     by_value
      - .actual_access:  write_only
        .address_space:  global
        .offset:         88
        .size:           8
        .value_kind:     global_buffer
      - .actual_access:  write_only
        .address_space:  global
        .offset:         96
        .size:           8
        .value_kind:     global_buffer
      - .actual_access:  write_only
        .address_space:  global
        .offset:         104
        .size:           8
        .value_kind:     global_buffer
      - .actual_access:  read_only
        .address_space:  global
        .offset:         112
        .size:           8
        .value_kind:     global_buffer
      - .offset:         120
        .size:           4
        .value_kind:     by_value
      - .address_space:  global
        .offset:         128
        .size:           8
        .value_kind:     global_buffer
      - .address_space:  global
        .offset:         136
        .size:           8
        .value_kind:     global_buffer
      - .offset:         144
        .size:           4
        .value_kind:     hidden_block_count_x
      - .offset:         148
        .size:           4
        .value_kind:     hidden_block_count_y
      - .offset:         152
        .size:           4
        .value_kind:     hidden_block_count_z
      - .offset:         156
        .size:           2
        .value_kind:     hidden_group_size_x
      - .offset:         158
        .size:           2
        .value_kind:     hidden_group_size_y
      - .offset:         160
        .size:           2
        .value_kind:     hidden_group_size_z
      - .offset:         162
        .size:           2
        .value_kind:     hidden_remainder_x
      - .offset:         164
        .size:           2
        .value_kind:     hidden_remainder_y
      - .offset:         166
        .size:           2
        .value_kind:     hidden_remainder_z
      - .offset:         184
        .size:           8
        .value_kind:     hidden_global_offset_x
      - .offset:         192
        .size:           8
        .value_kind:     hidden_global_offset_y
      - .offset:         200
        .size:           8
        .value_kind:     hidden_global_offset_z
      - .offset:         208
        .size:           2
        .value_kind:     hidden_grid_dims
    .group_segment_fixed_size: 17472
    .kernarg_segment_align: 8
    .kernarg_segment_size: 400
    .language:       OpenCL C
    .language_version:
      - 2
      - 0
    .max_flat_workgroup_size: 256
    .name:           _Z39paged_attention_ll4mi_QKV_mfma16_kernelIDF16_hLN4vllm18Fp8KVCacheDataTypeE1EhLi16ELi128ELi256ELb0ELi8EL8MFMAType1EEvPKT_PKT0_S8_ifPKiSA_SA_iPKfiiiPfSD_PS3_PT2_iSC_SC_
    .private_segment_fixed_size: 0
    .sgpr_count:     38
    .sgpr_spill_count: 0
    .symbol:         _Z39paged_attention_ll4mi_QKV_mfma16_kernelIDF16_hLN4vllm18Fp8KVCacheDataTypeE1EhLi16ELi128ELi256ELb0ELi8EL8MFMAType1EEvPKT_PKT0_S8_ifPKiSA_SA_iPKfiiiPfSD_PS3_PT2_iSC_SC_.kd
    .uniform_work_group_size: 1
    .uses_dynamic_stack: false
    .vgpr_count:     140
    .vgpr_spill_count: 0
    .wavefront_size: 32
    .workgroup_processor_mode: 1
  - .args:
      - .actual_access:  read_only
        .address_space:  global
        .offset:         0
        .size:           8
        .value_kind:     global_buffer
      - .actual_access:  read_only
        .address_space:  global
        .offset:         8
        .size:           8
        .value_kind:     global_buffer
      - .actual_access:  read_only
        .address_space:  global
        .offset:         16
        .size:           8
        .value_kind:     global_buffer
      - .offset:         24
        .size:           4
        .value_kind:     by_value
      - .offset:         28
        .size:           4
        .value_kind:     by_value
      - .actual_access:  read_only
        .address_space:  global
        .offset:         32
        .size:           8
        .value_kind:     global_buffer
      - .actual_access:  read_only
        .address_space:  global
        .offset:         40
        .size:           8
        .value_kind:     global_buffer
      - .actual_access:  read_only
        .address_space:  global
        .offset:         48
        .size:           8
        .value_kind:     global_buffer
      - .offset:         56
        .size:           4
        .value_kind:     by_value
      - .actual_access:  read_only
        .address_space:  global
        .offset:         64
        .size:           8
        .value_kind:     global_buffer
      - .offset:         72
        .size:           4
        .value_kind:     by_value
      - .offset:         76
        .size:           4
        .value_kind:     by_value
      - .offset:         80
        .size:           4
        .value_kind:     by_value
      - .actual_access:  write_only
        .address_space:  global
        .offset:         88
        .size:           8
        .value_kind:     global_buffer
      - .actual_access:  write_only
        .address_space:  global
        .offset:         96
        .size:           8
        .value_kind:     global_buffer
      - .actual_access:  write_only
        .address_space:  global
        .offset:         104
        .size:           8
        .value_kind:     global_buffer
      - .actual_access:  read_only
        .address_space:  global
        .offset:         112
        .size:           8
        .value_kind:     global_buffer
      - .offset:         120
        .size:           4
        .value_kind:     by_value
      - .address_space:  global
        .offset:         128
        .size:           8
        .value_kind:     global_buffer
      - .address_space:  global
        .offset:         136
        .size:           8
        .value_kind:     global_buffer
      - .offset:         144
        .size:           4
        .value_kind:     hidden_block_count_x
      - .offset:         148
        .size:           4
        .value_kind:     hidden_block_count_y
      - .offset:         152
        .size:           4
        .value_kind:     hidden_block_count_z
      - .offset:         156
        .size:           2
        .value_kind:     hidden_group_size_x
      - .offset:         158
        .size:           2
        .value_kind:     hidden_group_size_y
      - .offset:         160
        .size:           2
        .value_kind:     hidden_group_size_z
      - .offset:         162
        .size:           2
        .value_kind:     hidden_remainder_x
      - .offset:         164
        .size:           2
        .value_kind:     hidden_remainder_y
      - .offset:         166
        .size:           2
        .value_kind:     hidden_remainder_z
      - .offset:         184
        .size:           8
        .value_kind:     hidden_global_offset_x
      - .offset:         192
        .size:           8
        .value_kind:     hidden_global_offset_y
      - .offset:         200
        .size:           8
        .value_kind:     hidden_global_offset_z
      - .offset:         208
        .size:           2
        .value_kind:     hidden_grid_dims
    .group_segment_fixed_size: 17472
    .kernarg_segment_align: 8
    .kernarg_segment_size: 400
    .language:       OpenCL C
    .language_version:
      - 2
      - 0
    .max_flat_workgroup_size: 256
    .name:           _Z39paged_attention_ll4mi_QKV_mfma16_kernelIDF16_hLN4vllm18Fp8KVCacheDataTypeE1EhLi16ELi128ELi256ELb0ELi9EL8MFMAType1EEvPKT_PKT0_S8_ifPKiSA_SA_iPKfiiiPfSD_PS3_PT2_iSC_SC_
    .private_segment_fixed_size: 0
    .sgpr_count:     38
    .sgpr_spill_count: 0
    .symbol:         _Z39paged_attention_ll4mi_QKV_mfma16_kernelIDF16_hLN4vllm18Fp8KVCacheDataTypeE1EhLi16ELi128ELi256ELb0ELi9EL8MFMAType1EEvPKT_PKT0_S8_ifPKiSA_SA_iPKfiiiPfSD_PS3_PT2_iSC_SC_.kd
    .uniform_work_group_size: 1
    .uses_dynamic_stack: false
    .vgpr_count:     150
    .vgpr_spill_count: 0
    .wavefront_size: 32
    .workgroup_processor_mode: 1
  - .args:
      - .actual_access:  read_only
        .address_space:  global
        .offset:         0
        .size:           8
        .value_kind:     global_buffer
      - .actual_access:  read_only
        .address_space:  global
        .offset:         8
        .size:           8
        .value_kind:     global_buffer
      - .actual_access:  read_only
        .address_space:  global
        .offset:         16
        .size:           8
        .value_kind:     global_buffer
      - .offset:         24
        .size:           4
        .value_kind:     by_value
      - .offset:         28
        .size:           4
        .value_kind:     by_value
      - .actual_access:  read_only
        .address_space:  global
        .offset:         32
        .size:           8
        .value_kind:     global_buffer
      - .actual_access:  read_only
        .address_space:  global
        .offset:         40
        .size:           8
        .value_kind:     global_buffer
      - .actual_access:  read_only
        .address_space:  global
        .offset:         48
        .size:           8
        .value_kind:     global_buffer
      - .offset:         56
        .size:           4
        .value_kind:     by_value
      - .actual_access:  read_only
        .address_space:  global
        .offset:         64
        .size:           8
        .value_kind:     global_buffer
      - .offset:         72
        .size:           4
        .value_kind:     by_value
      - .offset:         76
        .size:           4
        .value_kind:     by_value
      - .offset:         80
        .size:           4
        .value_kind:     by_value
      - .actual_access:  write_only
        .address_space:  global
        .offset:         88
        .size:           8
        .value_kind:     global_buffer
      - .actual_access:  write_only
        .address_space:  global
        .offset:         96
        .size:           8
        .value_kind:     global_buffer
      - .actual_access:  write_only
        .address_space:  global
        .offset:         104
        .size:           8
        .value_kind:     global_buffer
      - .actual_access:  read_only
        .address_space:  global
        .offset:         112
        .size:           8
        .value_kind:     global_buffer
      - .offset:         120
        .size:           4
        .value_kind:     by_value
      - .address_space:  global
        .offset:         128
        .size:           8
        .value_kind:     global_buffer
      - .address_space:  global
        .offset:         136
        .size:           8
        .value_kind:     global_buffer
      - .offset:         144
        .size:           4
        .value_kind:     hidden_block_count_x
      - .offset:         148
        .size:           4
        .value_kind:     hidden_block_count_y
      - .offset:         152
        .size:           4
        .value_kind:     hidden_block_count_z
      - .offset:         156
        .size:           2
        .value_kind:     hidden_group_size_x
      - .offset:         158
        .size:           2
        .value_kind:     hidden_group_size_y
      - .offset:         160
        .size:           2
        .value_kind:     hidden_group_size_z
      - .offset:         162
        .size:           2
        .value_kind:     hidden_remainder_x
      - .offset:         164
        .size:           2
        .value_kind:     hidden_remainder_y
      - .offset:         166
        .size:           2
        .value_kind:     hidden_remainder_z
      - .offset:         184
        .size:           8
        .value_kind:     hidden_global_offset_x
      - .offset:         192
        .size:           8
        .value_kind:     hidden_global_offset_y
      - .offset:         200
        .size:           8
        .value_kind:     hidden_global_offset_z
      - .offset:         208
        .size:           2
        .value_kind:     hidden_grid_dims
    .group_segment_fixed_size: 17472
    .kernarg_segment_align: 8
    .kernarg_segment_size: 400
    .language:       OpenCL C
    .language_version:
      - 2
      - 0
    .max_flat_workgroup_size: 256
    .name:           _Z39paged_attention_ll4mi_QKV_mfma16_kernelIDF16_hLN4vllm18Fp8KVCacheDataTypeE1EhLi16ELi128ELi256ELb0ELi10EL8MFMAType1EEvPKT_PKT0_S8_ifPKiSA_SA_iPKfiiiPfSD_PS3_PT2_iSC_SC_
    .private_segment_fixed_size: 0
    .sgpr_count:     38
    .sgpr_spill_count: 0
    .symbol:         _Z39paged_attention_ll4mi_QKV_mfma16_kernelIDF16_hLN4vllm18Fp8KVCacheDataTypeE1EhLi16ELi128ELi256ELb0ELi10EL8MFMAType1EEvPKT_PKT0_S8_ifPKiSA_SA_iPKfiiiPfSD_PS3_PT2_iSC_SC_.kd
    .uniform_work_group_size: 1
    .uses_dynamic_stack: false
    .vgpr_count:     150
    .vgpr_spill_count: 0
    .wavefront_size: 32
    .workgroup_processor_mode: 1
  - .args:
      - .actual_access:  read_only
        .address_space:  global
        .offset:         0
        .size:           8
        .value_kind:     global_buffer
      - .actual_access:  read_only
        .address_space:  global
        .offset:         8
        .size:           8
        .value_kind:     global_buffer
      - .actual_access:  read_only
        .address_space:  global
        .offset:         16
        .size:           8
        .value_kind:     global_buffer
      - .offset:         24
        .size:           4
        .value_kind:     by_value
      - .offset:         28
        .size:           4
        .value_kind:     by_value
      - .actual_access:  read_only
        .address_space:  global
        .offset:         32
        .size:           8
        .value_kind:     global_buffer
      - .actual_access:  read_only
        .address_space:  global
        .offset:         40
        .size:           8
        .value_kind:     global_buffer
      - .actual_access:  read_only
        .address_space:  global
        .offset:         48
        .size:           8
        .value_kind:     global_buffer
      - .offset:         56
        .size:           4
        .value_kind:     by_value
      - .actual_access:  read_only
        .address_space:  global
        .offset:         64
        .size:           8
        .value_kind:     global_buffer
      - .offset:         72
        .size:           4
        .value_kind:     by_value
      - .offset:         76
        .size:           4
        .value_kind:     by_value
      - .offset:         80
        .size:           4
        .value_kind:     by_value
      - .actual_access:  write_only
        .address_space:  global
        .offset:         88
        .size:           8
        .value_kind:     global_buffer
      - .actual_access:  write_only
        .address_space:  global
        .offset:         96
        .size:           8
        .value_kind:     global_buffer
      - .actual_access:  write_only
        .address_space:  global
        .offset:         104
        .size:           8
        .value_kind:     global_buffer
      - .actual_access:  read_only
        .address_space:  global
        .offset:         112
        .size:           8
        .value_kind:     global_buffer
      - .offset:         120
        .size:           4
        .value_kind:     by_value
      - .address_space:  global
        .offset:         128
        .size:           8
        .value_kind:     global_buffer
      - .address_space:  global
        .offset:         136
        .size:           8
        .value_kind:     global_buffer
      - .offset:         144
        .size:           4
        .value_kind:     hidden_block_count_x
      - .offset:         148
        .size:           4
        .value_kind:     hidden_block_count_y
      - .offset:         152
        .size:           4
        .value_kind:     hidden_block_count_z
      - .offset:         156
        .size:           2
        .value_kind:     hidden_group_size_x
      - .offset:         158
        .size:           2
        .value_kind:     hidden_group_size_y
      - .offset:         160
        .size:           2
        .value_kind:     hidden_group_size_z
      - .offset:         162
        .size:           2
        .value_kind:     hidden_remainder_x
      - .offset:         164
        .size:           2
        .value_kind:     hidden_remainder_y
      - .offset:         166
        .size:           2
        .value_kind:     hidden_remainder_z
      - .offset:         184
        .size:           8
        .value_kind:     hidden_global_offset_x
      - .offset:         192
        .size:           8
        .value_kind:     hidden_global_offset_y
      - .offset:         200
        .size:           8
        .value_kind:     hidden_global_offset_z
      - .offset:         208
        .size:           2
        .value_kind:     hidden_grid_dims
    .group_segment_fixed_size: 17472
    .kernarg_segment_align: 8
    .kernarg_segment_size: 400
    .language:       OpenCL C
    .language_version:
      - 2
      - 0
    .max_flat_workgroup_size: 256
    .name:           _Z39paged_attention_ll4mi_QKV_mfma16_kernelIDF16_hLN4vllm18Fp8KVCacheDataTypeE1EhLi16ELi128ELi256ELb0ELi11EL8MFMAType1EEvPKT_PKT0_S8_ifPKiSA_SA_iPKfiiiPfSD_PS3_PT2_iSC_SC_
    .private_segment_fixed_size: 0
    .sgpr_count:     38
    .sgpr_spill_count: 0
    .symbol:         _Z39paged_attention_ll4mi_QKV_mfma16_kernelIDF16_hLN4vllm18Fp8KVCacheDataTypeE1EhLi16ELi128ELi256ELb0ELi11EL8MFMAType1EEvPKT_PKT0_S8_ifPKiSA_SA_iPKfiiiPfSD_PS3_PT2_iSC_SC_.kd
    .uniform_work_group_size: 1
    .uses_dynamic_stack: false
    .vgpr_count:     150
    .vgpr_spill_count: 0
    .wavefront_size: 32
    .workgroup_processor_mode: 1
  - .args:
      - .actual_access:  read_only
        .address_space:  global
        .offset:         0
        .size:           8
        .value_kind:     global_buffer
      - .actual_access:  read_only
        .address_space:  global
        .offset:         8
        .size:           8
        .value_kind:     global_buffer
      - .actual_access:  read_only
        .address_space:  global
        .offset:         16
        .size:           8
        .value_kind:     global_buffer
      - .offset:         24
        .size:           4
        .value_kind:     by_value
      - .offset:         28
        .size:           4
        .value_kind:     by_value
      - .actual_access:  read_only
        .address_space:  global
        .offset:         32
        .size:           8
        .value_kind:     global_buffer
      - .actual_access:  read_only
        .address_space:  global
        .offset:         40
        .size:           8
        .value_kind:     global_buffer
      - .actual_access:  read_only
        .address_space:  global
        .offset:         48
        .size:           8
        .value_kind:     global_buffer
      - .offset:         56
        .size:           4
        .value_kind:     by_value
      - .actual_access:  read_only
        .address_space:  global
        .offset:         64
        .size:           8
        .value_kind:     global_buffer
      - .offset:         72
        .size:           4
        .value_kind:     by_value
      - .offset:         76
        .size:           4
        .value_kind:     by_value
      - .offset:         80
        .size:           4
        .value_kind:     by_value
      - .actual_access:  write_only
        .address_space:  global
        .offset:         88
        .size:           8
        .value_kind:     global_buffer
      - .actual_access:  write_only
        .address_space:  global
        .offset:         96
        .size:           8
        .value_kind:     global_buffer
      - .actual_access:  write_only
        .address_space:  global
        .offset:         104
        .size:           8
        .value_kind:     global_buffer
      - .actual_access:  read_only
        .address_space:  global
        .offset:         112
        .size:           8
        .value_kind:     global_buffer
      - .offset:         120
        .size:           4
        .value_kind:     by_value
      - .address_space:  global
        .offset:         128
        .size:           8
        .value_kind:     global_buffer
      - .address_space:  global
        .offset:         136
        .size:           8
        .value_kind:     global_buffer
      - .offset:         144
        .size:           4
        .value_kind:     hidden_block_count_x
      - .offset:         148
        .size:           4
        .value_kind:     hidden_block_count_y
      - .offset:         152
        .size:           4
        .value_kind:     hidden_block_count_z
      - .offset:         156
        .size:           2
        .value_kind:     hidden_group_size_x
      - .offset:         158
        .size:           2
        .value_kind:     hidden_group_size_y
      - .offset:         160
        .size:           2
        .value_kind:     hidden_group_size_z
      - .offset:         162
        .size:           2
        .value_kind:     hidden_remainder_x
      - .offset:         164
        .size:           2
        .value_kind:     hidden_remainder_y
      - .offset:         166
        .size:           2
        .value_kind:     hidden_remainder_z
      - .offset:         184
        .size:           8
        .value_kind:     hidden_global_offset_x
      - .offset:         192
        .size:           8
        .value_kind:     hidden_global_offset_y
      - .offset:         200
        .size:           8
        .value_kind:     hidden_global_offset_z
      - .offset:         208
        .size:           2
        .value_kind:     hidden_grid_dims
    .group_segment_fixed_size: 17472
    .kernarg_segment_align: 8
    .kernarg_segment_size: 400
    .language:       OpenCL C
    .language_version:
      - 2
      - 0
    .max_flat_workgroup_size: 256
    .name:           _Z39paged_attention_ll4mi_QKV_mfma16_kernelIDF16_hLN4vllm18Fp8KVCacheDataTypeE1EhLi16ELi128ELi256ELb0ELi12EL8MFMAType1EEvPKT_PKT0_S8_ifPKiSA_SA_iPKfiiiPfSD_PS3_PT2_iSC_SC_
    .private_segment_fixed_size: 0
    .sgpr_count:     38
    .sgpr_spill_count: 0
    .symbol:         _Z39paged_attention_ll4mi_QKV_mfma16_kernelIDF16_hLN4vllm18Fp8KVCacheDataTypeE1EhLi16ELi128ELi256ELb0ELi12EL8MFMAType1EEvPKT_PKT0_S8_ifPKiSA_SA_iPKfiiiPfSD_PS3_PT2_iSC_SC_.kd
    .uniform_work_group_size: 1
    .uses_dynamic_stack: false
    .vgpr_count:     150
    .vgpr_spill_count: 0
    .wavefront_size: 32
    .workgroup_processor_mode: 1
  - .args:
      - .actual_access:  read_only
        .address_space:  global
        .offset:         0
        .size:           8
        .value_kind:     global_buffer
      - .actual_access:  read_only
        .address_space:  global
        .offset:         8
        .size:           8
        .value_kind:     global_buffer
      - .actual_access:  read_only
        .address_space:  global
        .offset:         16
        .size:           8
        .value_kind:     global_buffer
      - .offset:         24
        .size:           4
        .value_kind:     by_value
      - .offset:         28
        .size:           4
        .value_kind:     by_value
      - .actual_access:  read_only
        .address_space:  global
        .offset:         32
        .size:           8
        .value_kind:     global_buffer
      - .actual_access:  read_only
        .address_space:  global
        .offset:         40
        .size:           8
        .value_kind:     global_buffer
      - .actual_access:  read_only
        .address_space:  global
        .offset:         48
        .size:           8
        .value_kind:     global_buffer
      - .offset:         56
        .size:           4
        .value_kind:     by_value
      - .actual_access:  read_only
        .address_space:  global
        .offset:         64
        .size:           8
        .value_kind:     global_buffer
      - .offset:         72
        .size:           4
        .value_kind:     by_value
      - .offset:         76
        .size:           4
        .value_kind:     by_value
      - .offset:         80
        .size:           4
        .value_kind:     by_value
      - .actual_access:  write_only
        .address_space:  global
        .offset:         88
        .size:           8
        .value_kind:     global_buffer
      - .actual_access:  write_only
        .address_space:  global
        .offset:         96
        .size:           8
        .value_kind:     global_buffer
      - .actual_access:  write_only
        .address_space:  global
        .offset:         104
        .size:           8
        .value_kind:     global_buffer
      - .actual_access:  read_only
        .address_space:  global
        .offset:         112
        .size:           8
        .value_kind:     global_buffer
      - .offset:         120
        .size:           4
        .value_kind:     by_value
      - .address_space:  global
        .offset:         128
        .size:           8
        .value_kind:     global_buffer
      - .address_space:  global
        .offset:         136
        .size:           8
        .value_kind:     global_buffer
      - .offset:         144
        .size:           4
        .value_kind:     hidden_block_count_x
      - .offset:         148
        .size:           4
        .value_kind:     hidden_block_count_y
      - .offset:         152
        .size:           4
        .value_kind:     hidden_block_count_z
      - .offset:         156
        .size:           2
        .value_kind:     hidden_group_size_x
      - .offset:         158
        .size:           2
        .value_kind:     hidden_group_size_y
      - .offset:         160
        .size:           2
        .value_kind:     hidden_group_size_z
      - .offset:         162
        .size:           2
        .value_kind:     hidden_remainder_x
      - .offset:         164
        .size:           2
        .value_kind:     hidden_remainder_y
      - .offset:         166
        .size:           2
        .value_kind:     hidden_remainder_z
      - .offset:         184
        .size:           8
        .value_kind:     hidden_global_offset_x
      - .offset:         192
        .size:           8
        .value_kind:     hidden_global_offset_y
      - .offset:         200
        .size:           8
        .value_kind:     hidden_global_offset_z
      - .offset:         208
        .size:           2
        .value_kind:     hidden_grid_dims
    .group_segment_fixed_size: 17472
    .kernarg_segment_align: 8
    .kernarg_segment_size: 400
    .language:       OpenCL C
    .language_version:
      - 2
      - 0
    .max_flat_workgroup_size: 256
    .name:           _Z39paged_attention_ll4mi_QKV_mfma16_kernelIDF16_hLN4vllm18Fp8KVCacheDataTypeE1EhLi16ELi128ELi256ELb0ELi13EL8MFMAType1EEvPKT_PKT0_S8_ifPKiSA_SA_iPKfiiiPfSD_PS3_PT2_iSC_SC_
    .private_segment_fixed_size: 0
    .sgpr_count:     38
    .sgpr_spill_count: 0
    .symbol:         _Z39paged_attention_ll4mi_QKV_mfma16_kernelIDF16_hLN4vllm18Fp8KVCacheDataTypeE1EhLi16ELi128ELi256ELb0ELi13EL8MFMAType1EEvPKT_PKT0_S8_ifPKiSA_SA_iPKfiiiPfSD_PS3_PT2_iSC_SC_.kd
    .uniform_work_group_size: 1
    .uses_dynamic_stack: false
    .vgpr_count:     150
    .vgpr_spill_count: 0
    .wavefront_size: 32
    .workgroup_processor_mode: 1
  - .args:
      - .actual_access:  read_only
        .address_space:  global
        .offset:         0
        .size:           8
        .value_kind:     global_buffer
      - .actual_access:  read_only
        .address_space:  global
        .offset:         8
        .size:           8
        .value_kind:     global_buffer
      - .actual_access:  read_only
        .address_space:  global
        .offset:         16
        .size:           8
        .value_kind:     global_buffer
      - .offset:         24
        .size:           4
        .value_kind:     by_value
      - .offset:         28
        .size:           4
        .value_kind:     by_value
      - .actual_access:  read_only
        .address_space:  global
        .offset:         32
        .size:           8
        .value_kind:     global_buffer
      - .actual_access:  read_only
        .address_space:  global
        .offset:         40
        .size:           8
        .value_kind:     global_buffer
      - .actual_access:  read_only
        .address_space:  global
        .offset:         48
        .size:           8
        .value_kind:     global_buffer
      - .offset:         56
        .size:           4
        .value_kind:     by_value
      - .actual_access:  read_only
        .address_space:  global
        .offset:         64
        .size:           8
        .value_kind:     global_buffer
      - .offset:         72
        .size:           4
        .value_kind:     by_value
      - .offset:         76
        .size:           4
        .value_kind:     by_value
      - .offset:         80
        .size:           4
        .value_kind:     by_value
      - .actual_access:  write_only
        .address_space:  global
        .offset:         88
        .size:           8
        .value_kind:     global_buffer
      - .actual_access:  write_only
        .address_space:  global
        .offset:         96
        .size:           8
        .value_kind:     global_buffer
      - .actual_access:  write_only
        .address_space:  global
        .offset:         104
        .size:           8
        .value_kind:     global_buffer
      - .actual_access:  read_only
        .address_space:  global
        .offset:         112
        .size:           8
        .value_kind:     global_buffer
      - .offset:         120
        .size:           4
        .value_kind:     by_value
      - .address_space:  global
        .offset:         128
        .size:           8
        .value_kind:     global_buffer
      - .address_space:  global
        .offset:         136
        .size:           8
        .value_kind:     global_buffer
      - .offset:         144
        .size:           4
        .value_kind:     hidden_block_count_x
      - .offset:         148
        .size:           4
        .value_kind:     hidden_block_count_y
      - .offset:         152
        .size:           4
        .value_kind:     hidden_block_count_z
      - .offset:         156
        .size:           2
        .value_kind:     hidden_group_size_x
      - .offset:         158
        .size:           2
        .value_kind:     hidden_group_size_y
      - .offset:         160
        .size:           2
        .value_kind:     hidden_group_size_z
      - .offset:         162
        .size:           2
        .value_kind:     hidden_remainder_x
      - .offset:         164
        .size:           2
        .value_kind:     hidden_remainder_y
      - .offset:         166
        .size:           2
        .value_kind:     hidden_remainder_z
      - .offset:         184
        .size:           8
        .value_kind:     hidden_global_offset_x
      - .offset:         192
        .size:           8
        .value_kind:     hidden_global_offset_y
      - .offset:         200
        .size:           8
        .value_kind:     hidden_global_offset_z
      - .offset:         208
        .size:           2
        .value_kind:     hidden_grid_dims
    .group_segment_fixed_size: 17472
    .kernarg_segment_align: 8
    .kernarg_segment_size: 400
    .language:       OpenCL C
    .language_version:
      - 2
      - 0
    .max_flat_workgroup_size: 256
    .name:           _Z39paged_attention_ll4mi_QKV_mfma16_kernelIDF16_hLN4vllm18Fp8KVCacheDataTypeE1EhLi16ELi128ELi256ELb0ELi14EL8MFMAType1EEvPKT_PKT0_S8_ifPKiSA_SA_iPKfiiiPfSD_PS3_PT2_iSC_SC_
    .private_segment_fixed_size: 0
    .sgpr_count:     38
    .sgpr_spill_count: 0
    .symbol:         _Z39paged_attention_ll4mi_QKV_mfma16_kernelIDF16_hLN4vllm18Fp8KVCacheDataTypeE1EhLi16ELi128ELi256ELb0ELi14EL8MFMAType1EEvPKT_PKT0_S8_ifPKiSA_SA_iPKfiiiPfSD_PS3_PT2_iSC_SC_.kd
    .uniform_work_group_size: 1
    .uses_dynamic_stack: false
    .vgpr_count:     150
    .vgpr_spill_count: 0
    .wavefront_size: 32
    .workgroup_processor_mode: 1
  - .args:
      - .actual_access:  read_only
        .address_space:  global
        .offset:         0
        .size:           8
        .value_kind:     global_buffer
      - .actual_access:  read_only
        .address_space:  global
        .offset:         8
        .size:           8
        .value_kind:     global_buffer
      - .actual_access:  read_only
        .address_space:  global
        .offset:         16
        .size:           8
        .value_kind:     global_buffer
      - .offset:         24
        .size:           4
        .value_kind:     by_value
      - .offset:         28
        .size:           4
        .value_kind:     by_value
      - .actual_access:  read_only
        .address_space:  global
        .offset:         32
        .size:           8
        .value_kind:     global_buffer
      - .actual_access:  read_only
        .address_space:  global
        .offset:         40
        .size:           8
        .value_kind:     global_buffer
      - .actual_access:  read_only
        .address_space:  global
        .offset:         48
        .size:           8
        .value_kind:     global_buffer
      - .offset:         56
        .size:           4
        .value_kind:     by_value
      - .actual_access:  read_only
        .address_space:  global
        .offset:         64
        .size:           8
        .value_kind:     global_buffer
      - .offset:         72
        .size:           4
        .value_kind:     by_value
      - .offset:         76
        .size:           4
        .value_kind:     by_value
      - .offset:         80
        .size:           4
        .value_kind:     by_value
      - .actual_access:  write_only
        .address_space:  global
        .offset:         88
        .size:           8
        .value_kind:     global_buffer
      - .actual_access:  write_only
        .address_space:  global
        .offset:         96
        .size:           8
        .value_kind:     global_buffer
      - .actual_access:  write_only
        .address_space:  global
        .offset:         104
        .size:           8
        .value_kind:     global_buffer
      - .actual_access:  read_only
        .address_space:  global
        .offset:         112
        .size:           8
        .value_kind:     global_buffer
      - .offset:         120
        .size:           4
        .value_kind:     by_value
      - .address_space:  global
        .offset:         128
        .size:           8
        .value_kind:     global_buffer
      - .address_space:  global
        .offset:         136
        .size:           8
        .value_kind:     global_buffer
      - .offset:         144
        .size:           4
        .value_kind:     hidden_block_count_x
      - .offset:         148
        .size:           4
        .value_kind:     hidden_block_count_y
      - .offset:         152
        .size:           4
        .value_kind:     hidden_block_count_z
      - .offset:         156
        .size:           2
        .value_kind:     hidden_group_size_x
      - .offset:         158
        .size:           2
        .value_kind:     hidden_group_size_y
      - .offset:         160
        .size:           2
        .value_kind:     hidden_group_size_z
      - .offset:         162
        .size:           2
        .value_kind:     hidden_remainder_x
      - .offset:         164
        .size:           2
        .value_kind:     hidden_remainder_y
      - .offset:         166
        .size:           2
        .value_kind:     hidden_remainder_z
      - .offset:         184
        .size:           8
        .value_kind:     hidden_global_offset_x
      - .offset:         192
        .size:           8
        .value_kind:     hidden_global_offset_y
      - .offset:         200
        .size:           8
        .value_kind:     hidden_global_offset_z
      - .offset:         208
        .size:           2
        .value_kind:     hidden_grid_dims
    .group_segment_fixed_size: 17472
    .kernarg_segment_align: 8
    .kernarg_segment_size: 400
    .language:       OpenCL C
    .language_version:
      - 2
      - 0
    .max_flat_workgroup_size: 256
    .name:           _Z39paged_attention_ll4mi_QKV_mfma16_kernelIDF16_hLN4vllm18Fp8KVCacheDataTypeE1EhLi16ELi128ELi256ELb0ELi15EL8MFMAType1EEvPKT_PKT0_S8_ifPKiSA_SA_iPKfiiiPfSD_PS3_PT2_iSC_SC_
    .private_segment_fixed_size: 0
    .sgpr_count:     38
    .sgpr_spill_count: 0
    .symbol:         _Z39paged_attention_ll4mi_QKV_mfma16_kernelIDF16_hLN4vllm18Fp8KVCacheDataTypeE1EhLi16ELi128ELi256ELb0ELi15EL8MFMAType1EEvPKT_PKT0_S8_ifPKiSA_SA_iPKfiiiPfSD_PS3_PT2_iSC_SC_.kd
    .uniform_work_group_size: 1
    .uses_dynamic_stack: false
    .vgpr_count:     150
    .vgpr_spill_count: 0
    .wavefront_size: 32
    .workgroup_processor_mode: 1
  - .args:
      - .actual_access:  read_only
        .address_space:  global
        .offset:         0
        .size:           8
        .value_kind:     global_buffer
      - .actual_access:  read_only
        .address_space:  global
        .offset:         8
        .size:           8
        .value_kind:     global_buffer
      - .actual_access:  read_only
        .address_space:  global
        .offset:         16
        .size:           8
        .value_kind:     global_buffer
      - .offset:         24
        .size:           4
        .value_kind:     by_value
      - .offset:         28
        .size:           4
        .value_kind:     by_value
      - .actual_access:  read_only
        .address_space:  global
        .offset:         32
        .size:           8
        .value_kind:     global_buffer
      - .actual_access:  read_only
        .address_space:  global
        .offset:         40
        .size:           8
        .value_kind:     global_buffer
      - .actual_access:  read_only
        .address_space:  global
        .offset:         48
        .size:           8
        .value_kind:     global_buffer
      - .offset:         56
        .size:           4
        .value_kind:     by_value
      - .actual_access:  read_only
        .address_space:  global
        .offset:         64
        .size:           8
        .value_kind:     global_buffer
      - .offset:         72
        .size:           4
        .value_kind:     by_value
      - .offset:         76
        .size:           4
        .value_kind:     by_value
      - .offset:         80
        .size:           4
        .value_kind:     by_value
      - .actual_access:  write_only
        .address_space:  global
        .offset:         88
        .size:           8
        .value_kind:     global_buffer
      - .actual_access:  write_only
        .address_space:  global
        .offset:         96
        .size:           8
        .value_kind:     global_buffer
      - .actual_access:  write_only
        .address_space:  global
        .offset:         104
        .size:           8
        .value_kind:     global_buffer
      - .actual_access:  read_only
        .address_space:  global
        .offset:         112
        .size:           8
        .value_kind:     global_buffer
      - .offset:         120
        .size:           4
        .value_kind:     by_value
      - .address_space:  global
        .offset:         128
        .size:           8
        .value_kind:     global_buffer
      - .address_space:  global
        .offset:         136
        .size:           8
        .value_kind:     global_buffer
      - .offset:         144
        .size:           4
        .value_kind:     hidden_block_count_x
      - .offset:         148
        .size:           4
        .value_kind:     hidden_block_count_y
      - .offset:         152
        .size:           4
        .value_kind:     hidden_block_count_z
      - .offset:         156
        .size:           2
        .value_kind:     hidden_group_size_x
      - .offset:         158
        .size:           2
        .value_kind:     hidden_group_size_y
      - .offset:         160
        .size:           2
        .value_kind:     hidden_group_size_z
      - .offset:         162
        .size:           2
        .value_kind:     hidden_remainder_x
      - .offset:         164
        .size:           2
        .value_kind:     hidden_remainder_y
      - .offset:         166
        .size:           2
        .value_kind:     hidden_remainder_z
      - .offset:         184
        .size:           8
        .value_kind:     hidden_global_offset_x
      - .offset:         192
        .size:           8
        .value_kind:     hidden_global_offset_y
      - .offset:         200
        .size:           8
        .value_kind:     hidden_global_offset_z
      - .offset:         208
        .size:           2
        .value_kind:     hidden_grid_dims
    .group_segment_fixed_size: 17472
    .kernarg_segment_align: 8
    .kernarg_segment_size: 400
    .language:       OpenCL C
    .language_version:
      - 2
      - 0
    .max_flat_workgroup_size: 256
    .name:           _Z39paged_attention_ll4mi_QKV_mfma16_kernelIDF16_hLN4vllm18Fp8KVCacheDataTypeE1EhLi16ELi128ELi256ELb0ELi16EL8MFMAType1EEvPKT_PKT0_S8_ifPKiSA_SA_iPKfiiiPfSD_PS3_PT2_iSC_SC_
    .private_segment_fixed_size: 0
    .sgpr_count:     37
    .sgpr_spill_count: 0
    .symbol:         _Z39paged_attention_ll4mi_QKV_mfma16_kernelIDF16_hLN4vllm18Fp8KVCacheDataTypeE1EhLi16ELi128ELi256ELb0ELi16EL8MFMAType1EEvPKT_PKT0_S8_ifPKiSA_SA_iPKfiiiPfSD_PS3_PT2_iSC_SC_.kd
    .uniform_work_group_size: 1
    .uses_dynamic_stack: false
    .vgpr_count:     140
    .vgpr_spill_count: 0
    .wavefront_size: 32
    .workgroup_processor_mode: 1
  - .args:
      - .actual_access:  read_only
        .address_space:  global
        .offset:         0
        .size:           8
        .value_kind:     global_buffer
      - .actual_access:  read_only
        .address_space:  global
        .offset:         8
        .size:           8
        .value_kind:     global_buffer
      - .actual_access:  read_only
        .address_space:  global
        .offset:         16
        .size:           8
        .value_kind:     global_buffer
      - .offset:         24
        .size:           4
        .value_kind:     by_value
      - .offset:         28
        .size:           4
        .value_kind:     by_value
      - .actual_access:  read_only
        .address_space:  global
        .offset:         32
        .size:           8
        .value_kind:     global_buffer
      - .actual_access:  read_only
        .address_space:  global
        .offset:         40
        .size:           8
        .value_kind:     global_buffer
      - .actual_access:  read_only
        .address_space:  global
        .offset:         48
        .size:           8
        .value_kind:     global_buffer
      - .offset:         56
        .size:           4
        .value_kind:     by_value
      - .actual_access:  read_only
        .address_space:  global
        .offset:         64
        .size:           8
        .value_kind:     global_buffer
      - .offset:         72
        .size:           4
        .value_kind:     by_value
      - .offset:         76
        .size:           4
        .value_kind:     by_value
      - .offset:         80
        .size:           4
        .value_kind:     by_value
      - .actual_access:  write_only
        .address_space:  global
        .offset:         88
        .size:           8
        .value_kind:     global_buffer
      - .actual_access:  write_only
        .address_space:  global
        .offset:         96
        .size:           8
        .value_kind:     global_buffer
      - .actual_access:  write_only
        .address_space:  global
        .offset:         104
        .size:           8
        .value_kind:     global_buffer
      - .actual_access:  read_only
        .address_space:  global
        .offset:         112
        .size:           8
        .value_kind:     global_buffer
      - .offset:         120
        .size:           4
        .value_kind:     by_value
      - .address_space:  global
        .offset:         128
        .size:           8
        .value_kind:     global_buffer
      - .address_space:  global
        .offset:         136
        .size:           8
        .value_kind:     global_buffer
      - .offset:         144
        .size:           4
        .value_kind:     hidden_block_count_x
      - .offset:         148
        .size:           4
        .value_kind:     hidden_block_count_y
      - .offset:         152
        .size:           4
        .value_kind:     hidden_block_count_z
      - .offset:         156
        .size:           2
        .value_kind:     hidden_group_size_x
      - .offset:         158
        .size:           2
        .value_kind:     hidden_group_size_y
      - .offset:         160
        .size:           2
        .value_kind:     hidden_group_size_z
      - .offset:         162
        .size:           2
        .value_kind:     hidden_remainder_x
      - .offset:         164
        .size:           2
        .value_kind:     hidden_remainder_y
      - .offset:         166
        .size:           2
        .value_kind:     hidden_remainder_z
      - .offset:         184
        .size:           8
        .value_kind:     hidden_global_offset_x
      - .offset:         192
        .size:           8
        .value_kind:     hidden_global_offset_y
      - .offset:         200
        .size:           8
        .value_kind:     hidden_global_offset_z
      - .offset:         208
        .size:           2
        .value_kind:     hidden_grid_dims
    .group_segment_fixed_size: 17472
    .kernarg_segment_align: 8
    .kernarg_segment_size: 400
    .language:       OpenCL C
    .language_version:
      - 2
      - 0
    .max_flat_workgroup_size: 256
    .name:           _Z39paged_attention_ll4mi_QKV_mfma16_kernelIDF16_hLN4vllm18Fp8KVCacheDataTypeE1EhLi16ELi128ELi256ELb0ELi1EL8MFMAType1EEvPKT_PKT0_S8_ifPKiSA_SA_iPKfiiiPfSD_PS3_PT2_iSC_SC_
    .private_segment_fixed_size: 0
    .sgpr_count:     68
    .sgpr_spill_count: 0
    .symbol:         _Z39paged_attention_ll4mi_QKV_mfma16_kernelIDF16_hLN4vllm18Fp8KVCacheDataTypeE1EhLi16ELi128ELi256ELb0ELi1EL8MFMAType1EEvPKT_PKT0_S8_ifPKiSA_SA_iPKfiiiPfSD_PS3_PT2_iSC_SC_.kd
    .uniform_work_group_size: 1
    .uses_dynamic_stack: false
    .vgpr_count:     134
    .vgpr_spill_count: 0
    .wavefront_size: 32
    .workgroup_processor_mode: 1
  - .args:
      - .actual_access:  read_only
        .address_space:  global
        .offset:         0
        .size:           8
        .value_kind:     global_buffer
      - .actual_access:  read_only
        .address_space:  global
        .offset:         8
        .size:           8
        .value_kind:     global_buffer
      - .actual_access:  read_only
        .address_space:  global
        .offset:         16
        .size:           8
        .value_kind:     global_buffer
      - .offset:         24
        .size:           4
        .value_kind:     by_value
      - .offset:         28
        .size:           4
        .value_kind:     by_value
      - .actual_access:  read_only
        .address_space:  global
        .offset:         32
        .size:           8
        .value_kind:     global_buffer
      - .actual_access:  read_only
        .address_space:  global
        .offset:         40
        .size:           8
        .value_kind:     global_buffer
      - .actual_access:  read_only
        .address_space:  global
        .offset:         48
        .size:           8
        .value_kind:     global_buffer
      - .offset:         56
        .size:           4
        .value_kind:     by_value
      - .actual_access:  read_only
        .address_space:  global
        .offset:         64
        .size:           8
        .value_kind:     global_buffer
      - .offset:         72
        .size:           4
        .value_kind:     by_value
      - .offset:         76
        .size:           4
        .value_kind:     by_value
      - .offset:         80
        .size:           4
        .value_kind:     by_value
      - .actual_access:  write_only
        .address_space:  global
        .offset:         88
        .size:           8
        .value_kind:     global_buffer
      - .actual_access:  write_only
        .address_space:  global
        .offset:         96
        .size:           8
        .value_kind:     global_buffer
      - .actual_access:  write_only
        .address_space:  global
        .offset:         104
        .size:           8
        .value_kind:     global_buffer
      - .actual_access:  read_only
        .address_space:  global
        .offset:         112
        .size:           8
        .value_kind:     global_buffer
      - .offset:         120
        .size:           4
        .value_kind:     by_value
      - .address_space:  global
        .offset:         128
        .size:           8
        .value_kind:     global_buffer
      - .address_space:  global
        .offset:         136
        .size:           8
        .value_kind:     global_buffer
      - .offset:         144
        .size:           4
        .value_kind:     hidden_block_count_x
      - .offset:         148
        .size:           4
        .value_kind:     hidden_block_count_y
      - .offset:         152
        .size:           4
        .value_kind:     hidden_block_count_z
      - .offset:         156
        .size:           2
        .value_kind:     hidden_group_size_x
      - .offset:         158
        .size:           2
        .value_kind:     hidden_group_size_y
      - .offset:         160
        .size:           2
        .value_kind:     hidden_group_size_z
      - .offset:         162
        .size:           2
        .value_kind:     hidden_remainder_x
      - .offset:         164
        .size:           2
        .value_kind:     hidden_remainder_y
      - .offset:         166
        .size:           2
        .value_kind:     hidden_remainder_z
      - .offset:         184
        .size:           8
        .value_kind:     hidden_global_offset_x
      - .offset:         192
        .size:           8
        .value_kind:     hidden_global_offset_y
      - .offset:         200
        .size:           8
        .value_kind:     hidden_global_offset_z
      - .offset:         208
        .size:           2
        .value_kind:     hidden_grid_dims
    .group_segment_fixed_size: 17472
    .kernarg_segment_align: 8
    .kernarg_segment_size: 400
    .language:       OpenCL C
    .language_version:
      - 2
      - 0
    .max_flat_workgroup_size: 256
    .name:           _Z39paged_attention_ll4mi_QKV_mfma16_kernelIDF16_hLN4vllm18Fp8KVCacheDataTypeE1EhLi16ELi128ELi256ELb0ELi2EL8MFMAType1EEvPKT_PKT0_S8_ifPKiSA_SA_iPKfiiiPfSD_PS3_PT2_iSC_SC_
    .private_segment_fixed_size: 0
    .sgpr_count:     39
    .sgpr_spill_count: 0
    .symbol:         _Z39paged_attention_ll4mi_QKV_mfma16_kernelIDF16_hLN4vllm18Fp8KVCacheDataTypeE1EhLi16ELi128ELi256ELb0ELi2EL8MFMAType1EEvPKT_PKT0_S8_ifPKiSA_SA_iPKfiiiPfSD_PS3_PT2_iSC_SC_.kd
    .uniform_work_group_size: 1
    .uses_dynamic_stack: false
    .vgpr_count:     146
    .vgpr_spill_count: 0
    .wavefront_size: 32
    .workgroup_processor_mode: 1
  - .args:
      - .actual_access:  read_only
        .address_space:  global
        .offset:         0
        .size:           8
        .value_kind:     global_buffer
      - .actual_access:  read_only
        .address_space:  global
        .offset:         8
        .size:           8
        .value_kind:     global_buffer
      - .actual_access:  read_only
        .address_space:  global
        .offset:         16
        .size:           8
        .value_kind:     global_buffer
      - .offset:         24
        .size:           4
        .value_kind:     by_value
      - .offset:         28
        .size:           4
        .value_kind:     by_value
      - .actual_access:  read_only
        .address_space:  global
        .offset:         32
        .size:           8
        .value_kind:     global_buffer
      - .actual_access:  read_only
        .address_space:  global
        .offset:         40
        .size:           8
        .value_kind:     global_buffer
      - .actual_access:  read_only
        .address_space:  global
        .offset:         48
        .size:           8
        .value_kind:     global_buffer
      - .offset:         56
        .size:           4
        .value_kind:     by_value
      - .actual_access:  read_only
        .address_space:  global
        .offset:         64
        .size:           8
        .value_kind:     global_buffer
      - .offset:         72
        .size:           4
        .value_kind:     by_value
      - .offset:         76
        .size:           4
        .value_kind:     by_value
      - .offset:         80
        .size:           4
        .value_kind:     by_value
      - .actual_access:  write_only
        .address_space:  global
        .offset:         88
        .size:           8
        .value_kind:     global_buffer
      - .actual_access:  write_only
        .address_space:  global
        .offset:         96
        .size:           8
        .value_kind:     global_buffer
      - .actual_access:  write_only
        .address_space:  global
        .offset:         104
        .size:           8
        .value_kind:     global_buffer
      - .actual_access:  read_only
        .address_space:  global
        .offset:         112
        .size:           8
        .value_kind:     global_buffer
      - .offset:         120
        .size:           4
        .value_kind:     by_value
      - .address_space:  global
        .offset:         128
        .size:           8
        .value_kind:     global_buffer
      - .address_space:  global
        .offset:         136
        .size:           8
        .value_kind:     global_buffer
      - .offset:         144
        .size:           4
        .value_kind:     hidden_block_count_x
      - .offset:         148
        .size:           4
        .value_kind:     hidden_block_count_y
      - .offset:         152
        .size:           4
        .value_kind:     hidden_block_count_z
      - .offset:         156
        .size:           2
        .value_kind:     hidden_group_size_x
      - .offset:         158
        .size:           2
        .value_kind:     hidden_group_size_y
      - .offset:         160
        .size:           2
        .value_kind:     hidden_group_size_z
      - .offset:         162
        .size:           2
        .value_kind:     hidden_remainder_x
      - .offset:         164
        .size:           2
        .value_kind:     hidden_remainder_y
      - .offset:         166
        .size:           2
        .value_kind:     hidden_remainder_z
      - .offset:         184
        .size:           8
        .value_kind:     hidden_global_offset_x
      - .offset:         192
        .size:           8
        .value_kind:     hidden_global_offset_y
      - .offset:         200
        .size:           8
        .value_kind:     hidden_global_offset_z
      - .offset:         208
        .size:           2
        .value_kind:     hidden_grid_dims
    .group_segment_fixed_size: 17472
    .kernarg_segment_align: 8
    .kernarg_segment_size: 400
    .language:       OpenCL C
    .language_version:
      - 2
      - 0
    .max_flat_workgroup_size: 256
    .name:           _Z39paged_attention_ll4mi_QKV_mfma16_kernelIDF16_hLN4vllm18Fp8KVCacheDataTypeE1EhLi16ELi128ELi256ELb0ELi3EL8MFMAType1EEvPKT_PKT0_S8_ifPKiSA_SA_iPKfiiiPfSD_PS3_PT2_iSC_SC_
    .private_segment_fixed_size: 0
    .sgpr_count:     38
    .sgpr_spill_count: 0
    .symbol:         _Z39paged_attention_ll4mi_QKV_mfma16_kernelIDF16_hLN4vllm18Fp8KVCacheDataTypeE1EhLi16ELi128ELi256ELb0ELi3EL8MFMAType1EEvPKT_PKT0_S8_ifPKiSA_SA_iPKfiiiPfSD_PS3_PT2_iSC_SC_.kd
    .uniform_work_group_size: 1
    .uses_dynamic_stack: false
    .vgpr_count:     150
    .vgpr_spill_count: 0
    .wavefront_size: 32
    .workgroup_processor_mode: 1
  - .args:
      - .actual_access:  read_only
        .address_space:  global
        .offset:         0
        .size:           8
        .value_kind:     global_buffer
      - .actual_access:  read_only
        .address_space:  global
        .offset:         8
        .size:           8
        .value_kind:     global_buffer
      - .actual_access:  read_only
        .address_space:  global
        .offset:         16
        .size:           8
        .value_kind:     global_buffer
      - .offset:         24
        .size:           4
        .value_kind:     by_value
      - .offset:         28
        .size:           4
        .value_kind:     by_value
      - .actual_access:  read_only
        .address_space:  global
        .offset:         32
        .size:           8
        .value_kind:     global_buffer
      - .actual_access:  read_only
        .address_space:  global
        .offset:         40
        .size:           8
        .value_kind:     global_buffer
      - .actual_access:  read_only
        .address_space:  global
        .offset:         48
        .size:           8
        .value_kind:     global_buffer
      - .offset:         56
        .size:           4
        .value_kind:     by_value
      - .actual_access:  read_only
        .address_space:  global
        .offset:         64
        .size:           8
        .value_kind:     global_buffer
      - .offset:         72
        .size:           4
        .value_kind:     by_value
      - .offset:         76
        .size:           4
        .value_kind:     by_value
      - .offset:         80
        .size:           4
        .value_kind:     by_value
      - .actual_access:  write_only
        .address_space:  global
        .offset:         88
        .size:           8
        .value_kind:     global_buffer
      - .actual_access:  write_only
        .address_space:  global
        .offset:         96
        .size:           8
        .value_kind:     global_buffer
      - .actual_access:  write_only
        .address_space:  global
        .offset:         104
        .size:           8
        .value_kind:     global_buffer
      - .actual_access:  read_only
        .address_space:  global
        .offset:         112
        .size:           8
        .value_kind:     global_buffer
      - .offset:         120
        .size:           4
        .value_kind:     by_value
      - .address_space:  global
        .offset:         128
        .size:           8
        .value_kind:     global_buffer
      - .address_space:  global
        .offset:         136
        .size:           8
        .value_kind:     global_buffer
      - .offset:         144
        .size:           4
        .value_kind:     hidden_block_count_x
      - .offset:         148
        .size:           4
        .value_kind:     hidden_block_count_y
      - .offset:         152
        .size:           4
        .value_kind:     hidden_block_count_z
      - .offset:         156
        .size:           2
        .value_kind:     hidden_group_size_x
      - .offset:         158
        .size:           2
        .value_kind:     hidden_group_size_y
      - .offset:         160
        .size:           2
        .value_kind:     hidden_group_size_z
      - .offset:         162
        .size:           2
        .value_kind:     hidden_remainder_x
      - .offset:         164
        .size:           2
        .value_kind:     hidden_remainder_y
      - .offset:         166
        .size:           2
        .value_kind:     hidden_remainder_z
      - .offset:         184
        .size:           8
        .value_kind:     hidden_global_offset_x
      - .offset:         192
        .size:           8
        .value_kind:     hidden_global_offset_y
      - .offset:         200
        .size:           8
        .value_kind:     hidden_global_offset_z
      - .offset:         208
        .size:           2
        .value_kind:     hidden_grid_dims
    .group_segment_fixed_size: 17472
    .kernarg_segment_align: 8
    .kernarg_segment_size: 400
    .language:       OpenCL C
    .language_version:
      - 2
      - 0
    .max_flat_workgroup_size: 256
    .name:           _Z39paged_attention_ll4mi_QKV_mfma16_kernelIDF16_hLN4vllm18Fp8KVCacheDataTypeE1EhLi16ELi128ELi256ELb0ELi4EL8MFMAType1EEvPKT_PKT0_S8_ifPKiSA_SA_iPKfiiiPfSD_PS3_PT2_iSC_SC_
    .private_segment_fixed_size: 0
    .sgpr_count:     38
    .sgpr_spill_count: 0
    .symbol:         _Z39paged_attention_ll4mi_QKV_mfma16_kernelIDF16_hLN4vllm18Fp8KVCacheDataTypeE1EhLi16ELi128ELi256ELb0ELi4EL8MFMAType1EEvPKT_PKT0_S8_ifPKiSA_SA_iPKfiiiPfSD_PS3_PT2_iSC_SC_.kd
    .uniform_work_group_size: 1
    .uses_dynamic_stack: false
    .vgpr_count:     140
    .vgpr_spill_count: 0
    .wavefront_size: 32
    .workgroup_processor_mode: 1
  - .args:
      - .actual_access:  read_only
        .address_space:  global
        .offset:         0
        .size:           8
        .value_kind:     global_buffer
      - .actual_access:  read_only
        .address_space:  global
        .offset:         8
        .size:           8
        .value_kind:     global_buffer
      - .actual_access:  read_only
        .address_space:  global
        .offset:         16
        .size:           8
        .value_kind:     global_buffer
      - .offset:         24
        .size:           4
        .value_kind:     by_value
      - .offset:         28
        .size:           4
        .value_kind:     by_value
      - .actual_access:  read_only
        .address_space:  global
        .offset:         32
        .size:           8
        .value_kind:     global_buffer
      - .actual_access:  read_only
        .address_space:  global
        .offset:         40
        .size:           8
        .value_kind:     global_buffer
      - .actual_access:  read_only
        .address_space:  global
        .offset:         48
        .size:           8
        .value_kind:     global_buffer
      - .offset:         56
        .size:           4
        .value_kind:     by_value
      - .actual_access:  read_only
        .address_space:  global
        .offset:         64
        .size:           8
        .value_kind:     global_buffer
      - .offset:         72
        .size:           4
        .value_kind:     by_value
      - .offset:         76
        .size:           4
        .value_kind:     by_value
      - .offset:         80
        .size:           4
        .value_kind:     by_value
      - .actual_access:  read_only
        .address_space:  global
        .offset:         88
        .size:           8
        .value_kind:     global_buffer
      - .actual_access:  read_only
        .address_space:  global
        .offset:         96
        .size:           8
        .value_kind:     global_buffer
      - .actual_access:  read_only
        .address_space:  global
        .offset:         104
        .size:           8
        .value_kind:     global_buffer
      - .actual_access:  read_only
        .address_space:  global
        .offset:         112
        .size:           8
        .value_kind:     global_buffer
      - .offset:         120
        .size:           4
        .value_kind:     by_value
      - .address_space:  global
        .offset:         128
        .size:           8
        .value_kind:     global_buffer
      - .address_space:  global
        .offset:         136
        .size:           8
        .value_kind:     global_buffer
      - .offset:         144
        .size:           4
        .value_kind:     hidden_block_count_x
      - .offset:         148
        .size:           4
        .value_kind:     hidden_block_count_y
      - .offset:         152
        .size:           4
        .value_kind:     hidden_block_count_z
      - .offset:         156
        .size:           2
        .value_kind:     hidden_group_size_x
      - .offset:         158
        .size:           2
        .value_kind:     hidden_group_size_y
      - .offset:         160
        .size:           2
        .value_kind:     hidden_group_size_z
      - .offset:         162
        .size:           2
        .value_kind:     hidden_remainder_x
      - .offset:         164
        .size:           2
        .value_kind:     hidden_remainder_y
      - .offset:         166
        .size:           2
        .value_kind:     hidden_remainder_z
      - .offset:         184
        .size:           8
        .value_kind:     hidden_global_offset_x
      - .offset:         192
        .size:           8
        .value_kind:     hidden_global_offset_y
      - .offset:         200
        .size:           8
        .value_kind:     hidden_global_offset_z
      - .offset:         208
        .size:           2
        .value_kind:     hidden_grid_dims
      - .offset:         224
        .size:           8
        .value_kind:     hidden_hostcall_buffer
    .group_segment_fixed_size: 0
    .kernarg_segment_align: 8
    .kernarg_segment_size: 400
    .language:       OpenCL C
    .language_version:
      - 2
      - 0
    .max_flat_workgroup_size: 256
    .name:           _Z38paged_attention_ll4mi_QKV_mfma4_kernelIDF16_hLN4vllm18Fp8KVCacheDataTypeE1EDF16_Li16ELi128ELi256ELb1ELi1EEvPKT_PKT0_S7_ifPKiS9_S9_iPKfiiiPfSC_PS2_PT2_iSB_SB_
    .private_segment_fixed_size: 64
    .sgpr_count:     36
    .sgpr_spill_count: 0
    .symbol:         _Z38paged_attention_ll4mi_QKV_mfma4_kernelIDF16_hLN4vllm18Fp8KVCacheDataTypeE1EDF16_Li16ELi128ELi256ELb1ELi1EEvPKT_PKT0_S7_ifPKiS9_S9_iPKfiiiPfSC_PS2_PT2_iSB_SB_.kd
    .uniform_work_group_size: 1
    .uses_dynamic_stack: false
    .vgpr_count:     41
    .vgpr_spill_count: 0
    .wavefront_size: 32
    .workgroup_processor_mode: 1
  - .args:
      - .actual_access:  read_only
        .address_space:  global
        .offset:         0
        .size:           8
        .value_kind:     global_buffer
      - .actual_access:  read_only
        .address_space:  global
        .offset:         8
        .size:           8
        .value_kind:     global_buffer
      - .actual_access:  read_only
        .address_space:  global
        .offset:         16
        .size:           8
        .value_kind:     global_buffer
      - .offset:         24
        .size:           4
        .value_kind:     by_value
      - .offset:         28
        .size:           4
        .value_kind:     by_value
      - .actual_access:  read_only
        .address_space:  global
        .offset:         32
        .size:           8
        .value_kind:     global_buffer
      - .actual_access:  read_only
        .address_space:  global
        .offset:         40
        .size:           8
        .value_kind:     global_buffer
      - .actual_access:  read_only
        .address_space:  global
        .offset:         48
        .size:           8
        .value_kind:     global_buffer
      - .offset:         56
        .size:           4
        .value_kind:     by_value
      - .actual_access:  read_only
        .address_space:  global
        .offset:         64
        .size:           8
        .value_kind:     global_buffer
      - .offset:         72
        .size:           4
        .value_kind:     by_value
      - .offset:         76
        .size:           4
        .value_kind:     by_value
      - .offset:         80
        .size:           4
        .value_kind:     by_value
      - .actual_access:  read_only
        .address_space:  global
        .offset:         88
        .size:           8
        .value_kind:     global_buffer
      - .actual_access:  read_only
        .address_space:  global
        .offset:         96
        .size:           8
        .value_kind:     global_buffer
      - .actual_access:  read_only
        .address_space:  global
        .offset:         104
        .size:           8
        .value_kind:     global_buffer
      - .actual_access:  read_only
        .address_space:  global
        .offset:         112
        .size:           8
        .value_kind:     global_buffer
      - .offset:         120
        .size:           4
        .value_kind:     by_value
      - .address_space:  global
        .offset:         128
        .size:           8
        .value_kind:     global_buffer
      - .address_space:  global
        .offset:         136
        .size:           8
        .value_kind:     global_buffer
      - .offset:         144
        .size:           4
        .value_kind:     hidden_block_count_x
      - .offset:         148
        .size:           4
        .value_kind:     hidden_block_count_y
      - .offset:         152
        .size:           4
        .value_kind:     hidden_block_count_z
      - .offset:         156
        .size:           2
        .value_kind:     hidden_group_size_x
      - .offset:         158
        .size:           2
        .value_kind:     hidden_group_size_y
      - .offset:         160
        .size:           2
        .value_kind:     hidden_group_size_z
      - .offset:         162
        .size:           2
        .value_kind:     hidden_remainder_x
      - .offset:         164
        .size:           2
        .value_kind:     hidden_remainder_y
      - .offset:         166
        .size:           2
        .value_kind:     hidden_remainder_z
      - .offset:         184
        .size:           8
        .value_kind:     hidden_global_offset_x
      - .offset:         192
        .size:           8
        .value_kind:     hidden_global_offset_y
      - .offset:         200
        .size:           8
        .value_kind:     hidden_global_offset_z
      - .offset:         208
        .size:           2
        .value_kind:     hidden_grid_dims
      - .offset:         224
        .size:           8
        .value_kind:     hidden_hostcall_buffer
    .group_segment_fixed_size: 0
    .kernarg_segment_align: 8
    .kernarg_segment_size: 400
    .language:       OpenCL C
    .language_version:
      - 2
      - 0
    .max_flat_workgroup_size: 256
    .name:           _Z38paged_attention_ll4mi_QKV_mfma4_kernelIDF16_hLN4vllm18Fp8KVCacheDataTypeE1EDF16_Li16ELi128ELi256ELb1ELi2EEvPKT_PKT0_S7_ifPKiS9_S9_iPKfiiiPfSC_PS2_PT2_iSB_SB_
    .private_segment_fixed_size: 64
    .sgpr_count:     36
    .sgpr_spill_count: 0
    .symbol:         _Z38paged_attention_ll4mi_QKV_mfma4_kernelIDF16_hLN4vllm18Fp8KVCacheDataTypeE1EDF16_Li16ELi128ELi256ELb1ELi2EEvPKT_PKT0_S7_ifPKiS9_S9_iPKfiiiPfSC_PS2_PT2_iSB_SB_.kd
    .uniform_work_group_size: 1
    .uses_dynamic_stack: false
    .vgpr_count:     41
    .vgpr_spill_count: 0
    .wavefront_size: 32
    .workgroup_processor_mode: 1
  - .args:
      - .actual_access:  read_only
        .address_space:  global
        .offset:         0
        .size:           8
        .value_kind:     global_buffer
      - .actual_access:  read_only
        .address_space:  global
        .offset:         8
        .size:           8
        .value_kind:     global_buffer
      - .actual_access:  read_only
        .address_space:  global
        .offset:         16
        .size:           8
        .value_kind:     global_buffer
      - .offset:         24
        .size:           4
        .value_kind:     by_value
      - .offset:         28
        .size:           4
        .value_kind:     by_value
      - .actual_access:  read_only
        .address_space:  global
        .offset:         32
        .size:           8
        .value_kind:     global_buffer
      - .actual_access:  read_only
        .address_space:  global
        .offset:         40
        .size:           8
        .value_kind:     global_buffer
      - .actual_access:  read_only
        .address_space:  global
        .offset:         48
        .size:           8
        .value_kind:     global_buffer
      - .offset:         56
        .size:           4
        .value_kind:     by_value
      - .actual_access:  read_only
        .address_space:  global
        .offset:         64
        .size:           8
        .value_kind:     global_buffer
      - .offset:         72
        .size:           4
        .value_kind:     by_value
      - .offset:         76
        .size:           4
        .value_kind:     by_value
      - .offset:         80
        .size:           4
        .value_kind:     by_value
      - .actual_access:  read_only
        .address_space:  global
        .offset:         88
        .size:           8
        .value_kind:     global_buffer
      - .actual_access:  read_only
        .address_space:  global
        .offset:         96
        .size:           8
        .value_kind:     global_buffer
      - .actual_access:  read_only
        .address_space:  global
        .offset:         104
        .size:           8
        .value_kind:     global_buffer
      - .actual_access:  read_only
        .address_space:  global
        .offset:         112
        .size:           8
        .value_kind:     global_buffer
      - .offset:         120
        .size:           4
        .value_kind:     by_value
      - .address_space:  global
        .offset:         128
        .size:           8
        .value_kind:     global_buffer
      - .address_space:  global
        .offset:         136
        .size:           8
        .value_kind:     global_buffer
      - .offset:         144
        .size:           4
        .value_kind:     hidden_block_count_x
      - .offset:         148
        .size:           4
        .value_kind:     hidden_block_count_y
      - .offset:         152
        .size:           4
        .value_kind:     hidden_block_count_z
      - .offset:         156
        .size:           2
        .value_kind:     hidden_group_size_x
      - .offset:         158
        .size:           2
        .value_kind:     hidden_group_size_y
      - .offset:         160
        .size:           2
        .value_kind:     hidden_group_size_z
      - .offset:         162
        .size:           2
        .value_kind:     hidden_remainder_x
      - .offset:         164
        .size:           2
        .value_kind:     hidden_remainder_y
      - .offset:         166
        .size:           2
        .value_kind:     hidden_remainder_z
      - .offset:         184
        .size:           8
        .value_kind:     hidden_global_offset_x
      - .offset:         192
        .size:           8
        .value_kind:     hidden_global_offset_y
      - .offset:         200
        .size:           8
        .value_kind:     hidden_global_offset_z
      - .offset:         208
        .size:           2
        .value_kind:     hidden_grid_dims
      - .offset:         224
        .size:           8
        .value_kind:     hidden_hostcall_buffer
    .group_segment_fixed_size: 0
    .kernarg_segment_align: 8
    .kernarg_segment_size: 400
    .language:       OpenCL C
    .language_version:
      - 2
      - 0
    .max_flat_workgroup_size: 256
    .name:           _Z38paged_attention_ll4mi_QKV_mfma4_kernelIDF16_hLN4vllm18Fp8KVCacheDataTypeE1EDF16_Li16ELi128ELi256ELb1ELi3EEvPKT_PKT0_S7_ifPKiS9_S9_iPKfiiiPfSC_PS2_PT2_iSB_SB_
    .private_segment_fixed_size: 64
    .sgpr_count:     36
    .sgpr_spill_count: 0
    .symbol:         _Z38paged_attention_ll4mi_QKV_mfma4_kernelIDF16_hLN4vllm18Fp8KVCacheDataTypeE1EDF16_Li16ELi128ELi256ELb1ELi3EEvPKT_PKT0_S7_ifPKiS9_S9_iPKfiiiPfSC_PS2_PT2_iSB_SB_.kd
    .uniform_work_group_size: 1
    .uses_dynamic_stack: false
    .vgpr_count:     41
    .vgpr_spill_count: 0
    .wavefront_size: 32
    .workgroup_processor_mode: 1
  - .args:
      - .actual_access:  read_only
        .address_space:  global
        .offset:         0
        .size:           8
        .value_kind:     global_buffer
      - .actual_access:  read_only
        .address_space:  global
        .offset:         8
        .size:           8
        .value_kind:     global_buffer
      - .actual_access:  read_only
        .address_space:  global
        .offset:         16
        .size:           8
        .value_kind:     global_buffer
      - .offset:         24
        .size:           4
        .value_kind:     by_value
      - .offset:         28
        .size:           4
        .value_kind:     by_value
      - .actual_access:  read_only
        .address_space:  global
        .offset:         32
        .size:           8
        .value_kind:     global_buffer
      - .actual_access:  read_only
        .address_space:  global
        .offset:         40
        .size:           8
        .value_kind:     global_buffer
      - .actual_access:  read_only
        .address_space:  global
        .offset:         48
        .size:           8
        .value_kind:     global_buffer
      - .offset:         56
        .size:           4
        .value_kind:     by_value
      - .actual_access:  read_only
        .address_space:  global
        .offset:         64
        .size:           8
        .value_kind:     global_buffer
      - .offset:         72
        .size:           4
        .value_kind:     by_value
      - .offset:         76
        .size:           4
        .value_kind:     by_value
      - .offset:         80
        .size:           4
        .value_kind:     by_value
      - .actual_access:  read_only
        .address_space:  global
        .offset:         88
        .size:           8
        .value_kind:     global_buffer
      - .actual_access:  read_only
        .address_space:  global
        .offset:         96
        .size:           8
        .value_kind:     global_buffer
      - .actual_access:  read_only
        .address_space:  global
        .offset:         104
        .size:           8
        .value_kind:     global_buffer
      - .actual_access:  read_only
        .address_space:  global
        .offset:         112
        .size:           8
        .value_kind:     global_buffer
      - .offset:         120
        .size:           4
        .value_kind:     by_value
      - .address_space:  global
        .offset:         128
        .size:           8
        .value_kind:     global_buffer
      - .address_space:  global
        .offset:         136
        .size:           8
        .value_kind:     global_buffer
      - .offset:         144
        .size:           4
        .value_kind:     hidden_block_count_x
      - .offset:         148
        .size:           4
        .value_kind:     hidden_block_count_y
      - .offset:         152
        .size:           4
        .value_kind:     hidden_block_count_z
      - .offset:         156
        .size:           2
        .value_kind:     hidden_group_size_x
      - .offset:         158
        .size:           2
        .value_kind:     hidden_group_size_y
      - .offset:         160
        .size:           2
        .value_kind:     hidden_group_size_z
      - .offset:         162
        .size:           2
        .value_kind:     hidden_remainder_x
      - .offset:         164
        .size:           2
        .value_kind:     hidden_remainder_y
      - .offset:         166
        .size:           2
        .value_kind:     hidden_remainder_z
      - .offset:         184
        .size:           8
        .value_kind:     hidden_global_offset_x
      - .offset:         192
        .size:           8
        .value_kind:     hidden_global_offset_y
      - .offset:         200
        .size:           8
        .value_kind:     hidden_global_offset_z
      - .offset:         208
        .size:           2
        .value_kind:     hidden_grid_dims
      - .offset:         224
        .size:           8
        .value_kind:     hidden_hostcall_buffer
    .group_segment_fixed_size: 0
    .kernarg_segment_align: 8
    .kernarg_segment_size: 400
    .language:       OpenCL C
    .language_version:
      - 2
      - 0
    .max_flat_workgroup_size: 256
    .name:           _Z38paged_attention_ll4mi_QKV_mfma4_kernelIDF16_hLN4vllm18Fp8KVCacheDataTypeE1EDF16_Li16ELi128ELi256ELb1ELi4EEvPKT_PKT0_S7_ifPKiS9_S9_iPKfiiiPfSC_PS2_PT2_iSB_SB_
    .private_segment_fixed_size: 64
    .sgpr_count:     36
    .sgpr_spill_count: 0
    .symbol:         _Z38paged_attention_ll4mi_QKV_mfma4_kernelIDF16_hLN4vllm18Fp8KVCacheDataTypeE1EDF16_Li16ELi128ELi256ELb1ELi4EEvPKT_PKT0_S7_ifPKiS9_S9_iPKfiiiPfSC_PS2_PT2_iSB_SB_.kd
    .uniform_work_group_size: 1
    .uses_dynamic_stack: false
    .vgpr_count:     41
    .vgpr_spill_count: 0
    .wavefront_size: 32
    .workgroup_processor_mode: 1
  - .args:
      - .actual_access:  read_only
        .address_space:  global
        .offset:         0
        .size:           8
        .value_kind:     global_buffer
      - .actual_access:  read_only
        .address_space:  global
        .offset:         8
        .size:           8
        .value_kind:     global_buffer
      - .actual_access:  read_only
        .address_space:  global
        .offset:         16
        .size:           8
        .value_kind:     global_buffer
      - .offset:         24
        .size:           4
        .value_kind:     by_value
      - .offset:         28
        .size:           4
        .value_kind:     by_value
      - .actual_access:  read_only
        .address_space:  global
        .offset:         32
        .size:           8
        .value_kind:     global_buffer
      - .actual_access:  read_only
        .address_space:  global
        .offset:         40
        .size:           8
        .value_kind:     global_buffer
      - .actual_access:  read_only
        .address_space:  global
        .offset:         48
        .size:           8
        .value_kind:     global_buffer
      - .offset:         56
        .size:           4
        .value_kind:     by_value
      - .actual_access:  read_only
        .address_space:  global
        .offset:         64
        .size:           8
        .value_kind:     global_buffer
      - .offset:         72
        .size:           4
        .value_kind:     by_value
      - .offset:         76
        .size:           4
        .value_kind:     by_value
      - .offset:         80
        .size:           4
        .value_kind:     by_value
      - .actual_access:  write_only
        .address_space:  global
        .offset:         88
        .size:           8
        .value_kind:     global_buffer
      - .actual_access:  write_only
        .address_space:  global
        .offset:         96
        .size:           8
        .value_kind:     global_buffer
      - .actual_access:  write_only
        .address_space:  global
        .offset:         104
        .size:           8
        .value_kind:     global_buffer
      - .actual_access:  read_only
        .address_space:  global
        .offset:         112
        .size:           8
        .value_kind:     global_buffer
      - .offset:         120
        .size:           4
        .value_kind:     by_value
      - .address_space:  global
        .offset:         128
        .size:           8
        .value_kind:     global_buffer
      - .address_space:  global
        .offset:         136
        .size:           8
        .value_kind:     global_buffer
      - .offset:         144
        .size:           4
        .value_kind:     hidden_block_count_x
      - .offset:         148
        .size:           4
        .value_kind:     hidden_block_count_y
      - .offset:         152
        .size:           4
        .value_kind:     hidden_block_count_z
      - .offset:         156
        .size:           2
        .value_kind:     hidden_group_size_x
      - .offset:         158
        .size:           2
        .value_kind:     hidden_group_size_y
      - .offset:         160
        .size:           2
        .value_kind:     hidden_group_size_z
      - .offset:         162
        .size:           2
        .value_kind:     hidden_remainder_x
      - .offset:         164
        .size:           2
        .value_kind:     hidden_remainder_y
      - .offset:         166
        .size:           2
        .value_kind:     hidden_remainder_z
      - .offset:         184
        .size:           8
        .value_kind:     hidden_global_offset_x
      - .offset:         192
        .size:           8
        .value_kind:     hidden_global_offset_y
      - .offset:         200
        .size:           8
        .value_kind:     hidden_global_offset_z
      - .offset:         208
        .size:           2
        .value_kind:     hidden_grid_dims
    .group_segment_fixed_size: 17472
    .kernarg_segment_align: 8
    .kernarg_segment_size: 400
    .language:       OpenCL C
    .language_version:
      - 2
      - 0
    .max_flat_workgroup_size: 256
    .name:           _Z39paged_attention_ll4mi_QKV_mfma16_kernelIDF16_hLN4vllm18Fp8KVCacheDataTypeE1EDF16_Li16ELi128ELi256ELb1ELi5EL8MFMAType1EEvPKT_PKT0_S8_ifPKiSA_SA_iPKfiiiPfSD_PS3_PT2_iSC_SC_
    .private_segment_fixed_size: 0
    .sgpr_count:     38
    .sgpr_spill_count: 0
    .symbol:         _Z39paged_attention_ll4mi_QKV_mfma16_kernelIDF16_hLN4vllm18Fp8KVCacheDataTypeE1EDF16_Li16ELi128ELi256ELb1ELi5EL8MFMAType1EEvPKT_PKT0_S8_ifPKiSA_SA_iPKfiiiPfSD_PS3_PT2_iSC_SC_.kd
    .uniform_work_group_size: 1
    .uses_dynamic_stack: false
    .vgpr_count:     150
    .vgpr_spill_count: 0
    .wavefront_size: 32
    .workgroup_processor_mode: 1
  - .args:
      - .actual_access:  read_only
        .address_space:  global
        .offset:         0
        .size:           8
        .value_kind:     global_buffer
      - .actual_access:  read_only
        .address_space:  global
        .offset:         8
        .size:           8
        .value_kind:     global_buffer
      - .actual_access:  read_only
        .address_space:  global
        .offset:         16
        .size:           8
        .value_kind:     global_buffer
      - .offset:         24
        .size:           4
        .value_kind:     by_value
      - .offset:         28
        .size:           4
        .value_kind:     by_value
      - .actual_access:  read_only
        .address_space:  global
        .offset:         32
        .size:           8
        .value_kind:     global_buffer
      - .actual_access:  read_only
        .address_space:  global
        .offset:         40
        .size:           8
        .value_kind:     global_buffer
      - .actual_access:  read_only
        .address_space:  global
        .offset:         48
        .size:           8
        .value_kind:     global_buffer
      - .offset:         56
        .size:           4
        .value_kind:     by_value
      - .actual_access:  read_only
        .address_space:  global
        .offset:         64
        .size:           8
        .value_kind:     global_buffer
      - .offset:         72
        .size:           4
        .value_kind:     by_value
      - .offset:         76
        .size:           4
        .value_kind:     by_value
      - .offset:         80
        .size:           4
        .value_kind:     by_value
      - .actual_access:  write_only
        .address_space:  global
        .offset:         88
        .size:           8
        .value_kind:     global_buffer
      - .actual_access:  write_only
        .address_space:  global
        .offset:         96
        .size:           8
        .value_kind:     global_buffer
      - .actual_access:  write_only
        .address_space:  global
        .offset:         104
        .size:           8
        .value_kind:     global_buffer
      - .actual_access:  read_only
        .address_space:  global
        .offset:         112
        .size:           8
        .value_kind:     global_buffer
      - .offset:         120
        .size:           4
        .value_kind:     by_value
      - .address_space:  global
        .offset:         128
        .size:           8
        .value_kind:     global_buffer
      - .address_space:  global
        .offset:         136
        .size:           8
        .value_kind:     global_buffer
      - .offset:         144
        .size:           4
        .value_kind:     hidden_block_count_x
      - .offset:         148
        .size:           4
        .value_kind:     hidden_block_count_y
      - .offset:         152
        .size:           4
        .value_kind:     hidden_block_count_z
      - .offset:         156
        .size:           2
        .value_kind:     hidden_group_size_x
      - .offset:         158
        .size:           2
        .value_kind:     hidden_group_size_y
      - .offset:         160
        .size:           2
        .value_kind:     hidden_group_size_z
      - .offset:         162
        .size:           2
        .value_kind:     hidden_remainder_x
      - .offset:         164
        .size:           2
        .value_kind:     hidden_remainder_y
      - .offset:         166
        .size:           2
        .value_kind:     hidden_remainder_z
      - .offset:         184
        .size:           8
        .value_kind:     hidden_global_offset_x
      - .offset:         192
        .size:           8
        .value_kind:     hidden_global_offset_y
      - .offset:         200
        .size:           8
        .value_kind:     hidden_global_offset_z
      - .offset:         208
        .size:           2
        .value_kind:     hidden_grid_dims
    .group_segment_fixed_size: 17472
    .kernarg_segment_align: 8
    .kernarg_segment_size: 400
    .language:       OpenCL C
    .language_version:
      - 2
      - 0
    .max_flat_workgroup_size: 256
    .name:           _Z39paged_attention_ll4mi_QKV_mfma16_kernelIDF16_hLN4vllm18Fp8KVCacheDataTypeE1EDF16_Li16ELi128ELi256ELb1ELi6EL8MFMAType1EEvPKT_PKT0_S8_ifPKiSA_SA_iPKfiiiPfSD_PS3_PT2_iSC_SC_
    .private_segment_fixed_size: 0
    .sgpr_count:     38
    .sgpr_spill_count: 0
    .symbol:         _Z39paged_attention_ll4mi_QKV_mfma16_kernelIDF16_hLN4vllm18Fp8KVCacheDataTypeE1EDF16_Li16ELi128ELi256ELb1ELi6EL8MFMAType1EEvPKT_PKT0_S8_ifPKiSA_SA_iPKfiiiPfSD_PS3_PT2_iSC_SC_.kd
    .uniform_work_group_size: 1
    .uses_dynamic_stack: false
    .vgpr_count:     150
    .vgpr_spill_count: 0
    .wavefront_size: 32
    .workgroup_processor_mode: 1
  - .args:
      - .actual_access:  read_only
        .address_space:  global
        .offset:         0
        .size:           8
        .value_kind:     global_buffer
      - .actual_access:  read_only
        .address_space:  global
        .offset:         8
        .size:           8
        .value_kind:     global_buffer
      - .actual_access:  read_only
        .address_space:  global
        .offset:         16
        .size:           8
        .value_kind:     global_buffer
      - .offset:         24
        .size:           4
        .value_kind:     by_value
      - .offset:         28
        .size:           4
        .value_kind:     by_value
      - .actual_access:  read_only
        .address_space:  global
        .offset:         32
        .size:           8
        .value_kind:     global_buffer
      - .actual_access:  read_only
        .address_space:  global
        .offset:         40
        .size:           8
        .value_kind:     global_buffer
      - .actual_access:  read_only
        .address_space:  global
        .offset:         48
        .size:           8
        .value_kind:     global_buffer
      - .offset:         56
        .size:           4
        .value_kind:     by_value
      - .actual_access:  read_only
        .address_space:  global
        .offset:         64
        .size:           8
        .value_kind:     global_buffer
      - .offset:         72
        .size:           4
        .value_kind:     by_value
      - .offset:         76
        .size:           4
        .value_kind:     by_value
      - .offset:         80
        .size:           4
        .value_kind:     by_value
      - .actual_access:  write_only
        .address_space:  global
        .offset:         88
        .size:           8
        .value_kind:     global_buffer
      - .actual_access:  write_only
        .address_space:  global
        .offset:         96
        .size:           8
        .value_kind:     global_buffer
      - .actual_access:  write_only
        .address_space:  global
        .offset:         104
        .size:           8
        .value_kind:     global_buffer
      - .actual_access:  read_only
        .address_space:  global
        .offset:         112
        .size:           8
        .value_kind:     global_buffer
      - .offset:         120
        .size:           4
        .value_kind:     by_value
      - .address_space:  global
        .offset:         128
        .size:           8
        .value_kind:     global_buffer
      - .address_space:  global
        .offset:         136
        .size:           8
        .value_kind:     global_buffer
      - .offset:         144
        .size:           4
        .value_kind:     hidden_block_count_x
      - .offset:         148
        .size:           4
        .value_kind:     hidden_block_count_y
      - .offset:         152
        .size:           4
        .value_kind:     hidden_block_count_z
      - .offset:         156
        .size:           2
        .value_kind:     hidden_group_size_x
      - .offset:         158
        .size:           2
        .value_kind:     hidden_group_size_y
      - .offset:         160
        .size:           2
        .value_kind:     hidden_group_size_z
      - .offset:         162
        .size:           2
        .value_kind:     hidden_remainder_x
      - .offset:         164
        .size:           2
        .value_kind:     hidden_remainder_y
      - .offset:         166
        .size:           2
        .value_kind:     hidden_remainder_z
      - .offset:         184
        .size:           8
        .value_kind:     hidden_global_offset_x
      - .offset:         192
        .size:           8
        .value_kind:     hidden_global_offset_y
      - .offset:         200
        .size:           8
        .value_kind:     hidden_global_offset_z
      - .offset:         208
        .size:           2
        .value_kind:     hidden_grid_dims
    .group_segment_fixed_size: 17472
    .kernarg_segment_align: 8
    .kernarg_segment_size: 400
    .language:       OpenCL C
    .language_version:
      - 2
      - 0
    .max_flat_workgroup_size: 256
    .name:           _Z39paged_attention_ll4mi_QKV_mfma16_kernelIDF16_hLN4vllm18Fp8KVCacheDataTypeE1EDF16_Li16ELi128ELi256ELb1ELi7EL8MFMAType1EEvPKT_PKT0_S8_ifPKiSA_SA_iPKfiiiPfSD_PS3_PT2_iSC_SC_
    .private_segment_fixed_size: 0
    .sgpr_count:     38
    .sgpr_spill_count: 0
    .symbol:         _Z39paged_attention_ll4mi_QKV_mfma16_kernelIDF16_hLN4vllm18Fp8KVCacheDataTypeE1EDF16_Li16ELi128ELi256ELb1ELi7EL8MFMAType1EEvPKT_PKT0_S8_ifPKiSA_SA_iPKfiiiPfSD_PS3_PT2_iSC_SC_.kd
    .uniform_work_group_size: 1
    .uses_dynamic_stack: false
    .vgpr_count:     150
    .vgpr_spill_count: 0
    .wavefront_size: 32
    .workgroup_processor_mode: 1
  - .args:
      - .actual_access:  read_only
        .address_space:  global
        .offset:         0
        .size:           8
        .value_kind:     global_buffer
      - .actual_access:  read_only
        .address_space:  global
        .offset:         8
        .size:           8
        .value_kind:     global_buffer
      - .actual_access:  read_only
        .address_space:  global
        .offset:         16
        .size:           8
        .value_kind:     global_buffer
      - .offset:         24
        .size:           4
        .value_kind:     by_value
      - .offset:         28
        .size:           4
        .value_kind:     by_value
      - .actual_access:  read_only
        .address_space:  global
        .offset:         32
        .size:           8
        .value_kind:     global_buffer
      - .actual_access:  read_only
        .address_space:  global
        .offset:         40
        .size:           8
        .value_kind:     global_buffer
      - .actual_access:  read_only
        .address_space:  global
        .offset:         48
        .size:           8
        .value_kind:     global_buffer
      - .offset:         56
        .size:           4
        .value_kind:     by_value
      - .actual_access:  read_only
        .address_space:  global
        .offset:         64
        .size:           8
        .value_kind:     global_buffer
      - .offset:         72
        .size:           4
        .value_kind:     by_value
      - .offset:         76
        .size:           4
        .value_kind:     by_value
      - .offset:         80
        .size:           4
        .value_kind:     by_value
      - .actual_access:  write_only
        .address_space:  global
        .offset:         88
        .size:           8
        .value_kind:     global_buffer
      - .actual_access:  write_only
        .address_space:  global
        .offset:         96
        .size:           8
        .value_kind:     global_buffer
      - .actual_access:  write_only
        .address_space:  global
        .offset:         104
        .size:           8
        .value_kind:     global_buffer
      - .actual_access:  read_only
        .address_space:  global
        .offset:         112
        .size:           8
        .value_kind:     global_buffer
      - .offset:         120
        .size:           4
        .value_kind:     by_value
      - .address_space:  global
        .offset:         128
        .size:           8
        .value_kind:     global_buffer
      - .address_space:  global
        .offset:         136
        .size:           8
        .value_kind:     global_buffer
      - .offset:         144
        .size:           4
        .value_kind:     hidden_block_count_x
      - .offset:         148
        .size:           4
        .value_kind:     hidden_block_count_y
      - .offset:         152
        .size:           4
        .value_kind:     hidden_block_count_z
      - .offset:         156
        .size:           2
        .value_kind:     hidden_group_size_x
      - .offset:         158
        .size:           2
        .value_kind:     hidden_group_size_y
      - .offset:         160
        .size:           2
        .value_kind:     hidden_group_size_z
      - .offset:         162
        .size:           2
        .value_kind:     hidden_remainder_x
      - .offset:         164
        .size:           2
        .value_kind:     hidden_remainder_y
      - .offset:         166
        .size:           2
        .value_kind:     hidden_remainder_z
      - .offset:         184
        .size:           8
        .value_kind:     hidden_global_offset_x
      - .offset:         192
        .size:           8
        .value_kind:     hidden_global_offset_y
      - .offset:         200
        .size:           8
        .value_kind:     hidden_global_offset_z
      - .offset:         208
        .size:           2
        .value_kind:     hidden_grid_dims
    .group_segment_fixed_size: 17472
    .kernarg_segment_align: 8
    .kernarg_segment_size: 400
    .language:       OpenCL C
    .language_version:
      - 2
      - 0
    .max_flat_workgroup_size: 256
    .name:           _Z39paged_attention_ll4mi_QKV_mfma16_kernelIDF16_hLN4vllm18Fp8KVCacheDataTypeE1EDF16_Li16ELi128ELi256ELb1ELi8EL8MFMAType1EEvPKT_PKT0_S8_ifPKiSA_SA_iPKfiiiPfSD_PS3_PT2_iSC_SC_
    .private_segment_fixed_size: 0
    .sgpr_count:     38
    .sgpr_spill_count: 0
    .symbol:         _Z39paged_attention_ll4mi_QKV_mfma16_kernelIDF16_hLN4vllm18Fp8KVCacheDataTypeE1EDF16_Li16ELi128ELi256ELb1ELi8EL8MFMAType1EEvPKT_PKT0_S8_ifPKiSA_SA_iPKfiiiPfSD_PS3_PT2_iSC_SC_.kd
    .uniform_work_group_size: 1
    .uses_dynamic_stack: false
    .vgpr_count:     140
    .vgpr_spill_count: 0
    .wavefront_size: 32
    .workgroup_processor_mode: 1
  - .args:
      - .actual_access:  read_only
        .address_space:  global
        .offset:         0
        .size:           8
        .value_kind:     global_buffer
      - .actual_access:  read_only
        .address_space:  global
        .offset:         8
        .size:           8
        .value_kind:     global_buffer
      - .actual_access:  read_only
        .address_space:  global
        .offset:         16
        .size:           8
        .value_kind:     global_buffer
      - .offset:         24
        .size:           4
        .value_kind:     by_value
      - .offset:         28
        .size:           4
        .value_kind:     by_value
      - .actual_access:  read_only
        .address_space:  global
        .offset:         32
        .size:           8
        .value_kind:     global_buffer
      - .actual_access:  read_only
        .address_space:  global
        .offset:         40
        .size:           8
        .value_kind:     global_buffer
      - .actual_access:  read_only
        .address_space:  global
        .offset:         48
        .size:           8
        .value_kind:     global_buffer
      - .offset:         56
        .size:           4
        .value_kind:     by_value
      - .actual_access:  read_only
        .address_space:  global
        .offset:         64
        .size:           8
        .value_kind:     global_buffer
      - .offset:         72
        .size:           4
        .value_kind:     by_value
      - .offset:         76
        .size:           4
        .value_kind:     by_value
      - .offset:         80
        .size:           4
        .value_kind:     by_value
      - .actual_access:  write_only
        .address_space:  global
        .offset:         88
        .size:           8
        .value_kind:     global_buffer
      - .actual_access:  write_only
        .address_space:  global
        .offset:         96
        .size:           8
        .value_kind:     global_buffer
      - .actual_access:  write_only
        .address_space:  global
        .offset:         104
        .size:           8
        .value_kind:     global_buffer
      - .actual_access:  read_only
        .address_space:  global
        .offset:         112
        .size:           8
        .value_kind:     global_buffer
      - .offset:         120
        .size:           4
        .value_kind:     by_value
      - .address_space:  global
        .offset:         128
        .size:           8
        .value_kind:     global_buffer
      - .address_space:  global
        .offset:         136
        .size:           8
        .value_kind:     global_buffer
      - .offset:         144
        .size:           4
        .value_kind:     hidden_block_count_x
      - .offset:         148
        .size:           4
        .value_kind:     hidden_block_count_y
      - .offset:         152
        .size:           4
        .value_kind:     hidden_block_count_z
      - .offset:         156
        .size:           2
        .value_kind:     hidden_group_size_x
      - .offset:         158
        .size:           2
        .value_kind:     hidden_group_size_y
      - .offset:         160
        .size:           2
        .value_kind:     hidden_group_size_z
      - .offset:         162
        .size:           2
        .value_kind:     hidden_remainder_x
      - .offset:         164
        .size:           2
        .value_kind:     hidden_remainder_y
      - .offset:         166
        .size:           2
        .value_kind:     hidden_remainder_z
      - .offset:         184
        .size:           8
        .value_kind:     hidden_global_offset_x
      - .offset:         192
        .size:           8
        .value_kind:     hidden_global_offset_y
      - .offset:         200
        .size:           8
        .value_kind:     hidden_global_offset_z
      - .offset:         208
        .size:           2
        .value_kind:     hidden_grid_dims
    .group_segment_fixed_size: 17472
    .kernarg_segment_align: 8
    .kernarg_segment_size: 400
    .language:       OpenCL C
    .language_version:
      - 2
      - 0
    .max_flat_workgroup_size: 256
    .name:           _Z39paged_attention_ll4mi_QKV_mfma16_kernelIDF16_hLN4vllm18Fp8KVCacheDataTypeE1EDF16_Li16ELi128ELi256ELb1ELi9EL8MFMAType1EEvPKT_PKT0_S8_ifPKiSA_SA_iPKfiiiPfSD_PS3_PT2_iSC_SC_
    .private_segment_fixed_size: 0
    .sgpr_count:     38
    .sgpr_spill_count: 0
    .symbol:         _Z39paged_attention_ll4mi_QKV_mfma16_kernelIDF16_hLN4vllm18Fp8KVCacheDataTypeE1EDF16_Li16ELi128ELi256ELb1ELi9EL8MFMAType1EEvPKT_PKT0_S8_ifPKiSA_SA_iPKfiiiPfSD_PS3_PT2_iSC_SC_.kd
    .uniform_work_group_size: 1
    .uses_dynamic_stack: false
    .vgpr_count:     150
    .vgpr_spill_count: 0
    .wavefront_size: 32
    .workgroup_processor_mode: 1
  - .args:
      - .actual_access:  read_only
        .address_space:  global
        .offset:         0
        .size:           8
        .value_kind:     global_buffer
      - .actual_access:  read_only
        .address_space:  global
        .offset:         8
        .size:           8
        .value_kind:     global_buffer
      - .actual_access:  read_only
        .address_space:  global
        .offset:         16
        .size:           8
        .value_kind:     global_buffer
      - .offset:         24
        .size:           4
        .value_kind:     by_value
      - .offset:         28
        .size:           4
        .value_kind:     by_value
      - .actual_access:  read_only
        .address_space:  global
        .offset:         32
        .size:           8
        .value_kind:     global_buffer
      - .actual_access:  read_only
        .address_space:  global
        .offset:         40
        .size:           8
        .value_kind:     global_buffer
      - .actual_access:  read_only
        .address_space:  global
        .offset:         48
        .size:           8
        .value_kind:     global_buffer
      - .offset:         56
        .size:           4
        .value_kind:     by_value
      - .actual_access:  read_only
        .address_space:  global
        .offset:         64
        .size:           8
        .value_kind:     global_buffer
      - .offset:         72
        .size:           4
        .value_kind:     by_value
      - .offset:         76
        .size:           4
        .value_kind:     by_value
      - .offset:         80
        .size:           4
        .value_kind:     by_value
      - .actual_access:  write_only
        .address_space:  global
        .offset:         88
        .size:           8
        .value_kind:     global_buffer
      - .actual_access:  write_only
        .address_space:  global
        .offset:         96
        .size:           8
        .value_kind:     global_buffer
      - .actual_access:  write_only
        .address_space:  global
        .offset:         104
        .size:           8
        .value_kind:     global_buffer
      - .actual_access:  read_only
        .address_space:  global
        .offset:         112
        .size:           8
        .value_kind:     global_buffer
      - .offset:         120
        .size:           4
        .value_kind:     by_value
      - .address_space:  global
        .offset:         128
        .size:           8
        .value_kind:     global_buffer
      - .address_space:  global
        .offset:         136
        .size:           8
        .value_kind:     global_buffer
      - .offset:         144
        .size:           4
        .value_kind:     hidden_block_count_x
      - .offset:         148
        .size:           4
        .value_kind:     hidden_block_count_y
      - .offset:         152
        .size:           4
        .value_kind:     hidden_block_count_z
      - .offset:         156
        .size:           2
        .value_kind:     hidden_group_size_x
      - .offset:         158
        .size:           2
        .value_kind:     hidden_group_size_y
      - .offset:         160
        .size:           2
        .value_kind:     hidden_group_size_z
      - .offset:         162
        .size:           2
        .value_kind:     hidden_remainder_x
      - .offset:         164
        .size:           2
        .value_kind:     hidden_remainder_y
      - .offset:         166
        .size:           2
        .value_kind:     hidden_remainder_z
      - .offset:         184
        .size:           8
        .value_kind:     hidden_global_offset_x
      - .offset:         192
        .size:           8
        .value_kind:     hidden_global_offset_y
      - .offset:         200
        .size:           8
        .value_kind:     hidden_global_offset_z
      - .offset:         208
        .size:           2
        .value_kind:     hidden_grid_dims
    .group_segment_fixed_size: 17472
    .kernarg_segment_align: 8
    .kernarg_segment_size: 400
    .language:       OpenCL C
    .language_version:
      - 2
      - 0
    .max_flat_workgroup_size: 256
    .name:           _Z39paged_attention_ll4mi_QKV_mfma16_kernelIDF16_hLN4vllm18Fp8KVCacheDataTypeE1EDF16_Li16ELi128ELi256ELb1ELi10EL8MFMAType1EEvPKT_PKT0_S8_ifPKiSA_SA_iPKfiiiPfSD_PS3_PT2_iSC_SC_
    .private_segment_fixed_size: 0
    .sgpr_count:     38
    .sgpr_spill_count: 0
    .symbol:         _Z39paged_attention_ll4mi_QKV_mfma16_kernelIDF16_hLN4vllm18Fp8KVCacheDataTypeE1EDF16_Li16ELi128ELi256ELb1ELi10EL8MFMAType1EEvPKT_PKT0_S8_ifPKiSA_SA_iPKfiiiPfSD_PS3_PT2_iSC_SC_.kd
    .uniform_work_group_size: 1
    .uses_dynamic_stack: false
    .vgpr_count:     150
    .vgpr_spill_count: 0
    .wavefront_size: 32
    .workgroup_processor_mode: 1
  - .args:
      - .actual_access:  read_only
        .address_space:  global
        .offset:         0
        .size:           8
        .value_kind:     global_buffer
      - .actual_access:  read_only
        .address_space:  global
        .offset:         8
        .size:           8
        .value_kind:     global_buffer
      - .actual_access:  read_only
        .address_space:  global
        .offset:         16
        .size:           8
        .value_kind:     global_buffer
      - .offset:         24
        .size:           4
        .value_kind:     by_value
      - .offset:         28
        .size:           4
        .value_kind:     by_value
      - .actual_access:  read_only
        .address_space:  global
        .offset:         32
        .size:           8
        .value_kind:     global_buffer
      - .actual_access:  read_only
        .address_space:  global
        .offset:         40
        .size:           8
        .value_kind:     global_buffer
      - .actual_access:  read_only
        .address_space:  global
        .offset:         48
        .size:           8
        .value_kind:     global_buffer
      - .offset:         56
        .size:           4
        .value_kind:     by_value
      - .actual_access:  read_only
        .address_space:  global
        .offset:         64
        .size:           8
        .value_kind:     global_buffer
      - .offset:         72
        .size:           4
        .value_kind:     by_value
      - .offset:         76
        .size:           4
        .value_kind:     by_value
      - .offset:         80
        .size:           4
        .value_kind:     by_value
      - .actual_access:  write_only
        .address_space:  global
        .offset:         88
        .size:           8
        .value_kind:     global_buffer
      - .actual_access:  write_only
        .address_space:  global
        .offset:         96
        .size:           8
        .value_kind:     global_buffer
      - .actual_access:  write_only
        .address_space:  global
        .offset:         104
        .size:           8
        .value_kind:     global_buffer
      - .actual_access:  read_only
        .address_space:  global
        .offset:         112
        .size:           8
        .value_kind:     global_buffer
      - .offset:         120
        .size:           4
        .value_kind:     by_value
      - .address_space:  global
        .offset:         128
        .size:           8
        .value_kind:     global_buffer
      - .address_space:  global
        .offset:         136
        .size:           8
        .value_kind:     global_buffer
      - .offset:         144
        .size:           4
        .value_kind:     hidden_block_count_x
      - .offset:         148
        .size:           4
        .value_kind:     hidden_block_count_y
      - .offset:         152
        .size:           4
        .value_kind:     hidden_block_count_z
      - .offset:         156
        .size:           2
        .value_kind:     hidden_group_size_x
      - .offset:         158
        .size:           2
        .value_kind:     hidden_group_size_y
      - .offset:         160
        .size:           2
        .value_kind:     hidden_group_size_z
      - .offset:         162
        .size:           2
        .value_kind:     hidden_remainder_x
      - .offset:         164
        .size:           2
        .value_kind:     hidden_remainder_y
      - .offset:         166
        .size:           2
        .value_kind:     hidden_remainder_z
      - .offset:         184
        .size:           8
        .value_kind:     hidden_global_offset_x
      - .offset:         192
        .size:           8
        .value_kind:     hidden_global_offset_y
      - .offset:         200
        .size:           8
        .value_kind:     hidden_global_offset_z
      - .offset:         208
        .size:           2
        .value_kind:     hidden_grid_dims
    .group_segment_fixed_size: 17472
    .kernarg_segment_align: 8
    .kernarg_segment_size: 400
    .language:       OpenCL C
    .language_version:
      - 2
      - 0
    .max_flat_workgroup_size: 256
    .name:           _Z39paged_attention_ll4mi_QKV_mfma16_kernelIDF16_hLN4vllm18Fp8KVCacheDataTypeE1EDF16_Li16ELi128ELi256ELb1ELi11EL8MFMAType1EEvPKT_PKT0_S8_ifPKiSA_SA_iPKfiiiPfSD_PS3_PT2_iSC_SC_
    .private_segment_fixed_size: 0
    .sgpr_count:     38
    .sgpr_spill_count: 0
    .symbol:         _Z39paged_attention_ll4mi_QKV_mfma16_kernelIDF16_hLN4vllm18Fp8KVCacheDataTypeE1EDF16_Li16ELi128ELi256ELb1ELi11EL8MFMAType1EEvPKT_PKT0_S8_ifPKiSA_SA_iPKfiiiPfSD_PS3_PT2_iSC_SC_.kd
    .uniform_work_group_size: 1
    .uses_dynamic_stack: false
    .vgpr_count:     150
    .vgpr_spill_count: 0
    .wavefront_size: 32
    .workgroup_processor_mode: 1
  - .args:
      - .actual_access:  read_only
        .address_space:  global
        .offset:         0
        .size:           8
        .value_kind:     global_buffer
      - .actual_access:  read_only
        .address_space:  global
        .offset:         8
        .size:           8
        .value_kind:     global_buffer
      - .actual_access:  read_only
        .address_space:  global
        .offset:         16
        .size:           8
        .value_kind:     global_buffer
      - .offset:         24
        .size:           4
        .value_kind:     by_value
      - .offset:         28
        .size:           4
        .value_kind:     by_value
      - .actual_access:  read_only
        .address_space:  global
        .offset:         32
        .size:           8
        .value_kind:     global_buffer
      - .actual_access:  read_only
        .address_space:  global
        .offset:         40
        .size:           8
        .value_kind:     global_buffer
      - .actual_access:  read_only
        .address_space:  global
        .offset:         48
        .size:           8
        .value_kind:     global_buffer
      - .offset:         56
        .size:           4
        .value_kind:     by_value
      - .actual_access:  read_only
        .address_space:  global
        .offset:         64
        .size:           8
        .value_kind:     global_buffer
      - .offset:         72
        .size:           4
        .value_kind:     by_value
      - .offset:         76
        .size:           4
        .value_kind:     by_value
      - .offset:         80
        .size:           4
        .value_kind:     by_value
      - .actual_access:  write_only
        .address_space:  global
        .offset:         88
        .size:           8
        .value_kind:     global_buffer
      - .actual_access:  write_only
        .address_space:  global
        .offset:         96
        .size:           8
        .value_kind:     global_buffer
      - .actual_access:  write_only
        .address_space:  global
        .offset:         104
        .size:           8
        .value_kind:     global_buffer
      - .actual_access:  read_only
        .address_space:  global
        .offset:         112
        .size:           8
        .value_kind:     global_buffer
      - .offset:         120
        .size:           4
        .value_kind:     by_value
      - .address_space:  global
        .offset:         128
        .size:           8
        .value_kind:     global_buffer
      - .address_space:  global
        .offset:         136
        .size:           8
        .value_kind:     global_buffer
      - .offset:         144
        .size:           4
        .value_kind:     hidden_block_count_x
      - .offset:         148
        .size:           4
        .value_kind:     hidden_block_count_y
      - .offset:         152
        .size:           4
        .value_kind:     hidden_block_count_z
      - .offset:         156
        .size:           2
        .value_kind:     hidden_group_size_x
      - .offset:         158
        .size:           2
        .value_kind:     hidden_group_size_y
      - .offset:         160
        .size:           2
        .value_kind:     hidden_group_size_z
      - .offset:         162
        .size:           2
        .value_kind:     hidden_remainder_x
      - .offset:         164
        .size:           2
        .value_kind:     hidden_remainder_y
      - .offset:         166
        .size:           2
        .value_kind:     hidden_remainder_z
      - .offset:         184
        .size:           8
        .value_kind:     hidden_global_offset_x
      - .offset:         192
        .size:           8
        .value_kind:     hidden_global_offset_y
      - .offset:         200
        .size:           8
        .value_kind:     hidden_global_offset_z
      - .offset:         208
        .size:           2
        .value_kind:     hidden_grid_dims
    .group_segment_fixed_size: 17472
    .kernarg_segment_align: 8
    .kernarg_segment_size: 400
    .language:       OpenCL C
    .language_version:
      - 2
      - 0
    .max_flat_workgroup_size: 256
    .name:           _Z39paged_attention_ll4mi_QKV_mfma16_kernelIDF16_hLN4vllm18Fp8KVCacheDataTypeE1EDF16_Li16ELi128ELi256ELb1ELi12EL8MFMAType1EEvPKT_PKT0_S8_ifPKiSA_SA_iPKfiiiPfSD_PS3_PT2_iSC_SC_
    .private_segment_fixed_size: 0
    .sgpr_count:     38
    .sgpr_spill_count: 0
    .symbol:         _Z39paged_attention_ll4mi_QKV_mfma16_kernelIDF16_hLN4vllm18Fp8KVCacheDataTypeE1EDF16_Li16ELi128ELi256ELb1ELi12EL8MFMAType1EEvPKT_PKT0_S8_ifPKiSA_SA_iPKfiiiPfSD_PS3_PT2_iSC_SC_.kd
    .uniform_work_group_size: 1
    .uses_dynamic_stack: false
    .vgpr_count:     150
    .vgpr_spill_count: 0
    .wavefront_size: 32
    .workgroup_processor_mode: 1
  - .args:
      - .actual_access:  read_only
        .address_space:  global
        .offset:         0
        .size:           8
        .value_kind:     global_buffer
      - .actual_access:  read_only
        .address_space:  global
        .offset:         8
        .size:           8
        .value_kind:     global_buffer
      - .actual_access:  read_only
        .address_space:  global
        .offset:         16
        .size:           8
        .value_kind:     global_buffer
      - .offset:         24
        .size:           4
        .value_kind:     by_value
      - .offset:         28
        .size:           4
        .value_kind:     by_value
      - .actual_access:  read_only
        .address_space:  global
        .offset:         32
        .size:           8
        .value_kind:     global_buffer
      - .actual_access:  read_only
        .address_space:  global
        .offset:         40
        .size:           8
        .value_kind:     global_buffer
      - .actual_access:  read_only
        .address_space:  global
        .offset:         48
        .size:           8
        .value_kind:     global_buffer
      - .offset:         56
        .size:           4
        .value_kind:     by_value
      - .actual_access:  read_only
        .address_space:  global
        .offset:         64
        .size:           8
        .value_kind:     global_buffer
      - .offset:         72
        .size:           4
        .value_kind:     by_value
      - .offset:         76
        .size:           4
        .value_kind:     by_value
      - .offset:         80
        .size:           4
        .value_kind:     by_value
      - .actual_access:  write_only
        .address_space:  global
        .offset:         88
        .size:           8
        .value_kind:     global_buffer
      - .actual_access:  write_only
        .address_space:  global
        .offset:         96
        .size:           8
        .value_kind:     global_buffer
      - .actual_access:  write_only
        .address_space:  global
        .offset:         104
        .size:           8
        .value_kind:     global_buffer
      - .actual_access:  read_only
        .address_space:  global
        .offset:         112
        .size:           8
        .value_kind:     global_buffer
      - .offset:         120
        .size:           4
        .value_kind:     by_value
      - .address_space:  global
        .offset:         128
        .size:           8
        .value_kind:     global_buffer
      - .address_space:  global
        .offset:         136
        .size:           8
        .value_kind:     global_buffer
      - .offset:         144
        .size:           4
        .value_kind:     hidden_block_count_x
      - .offset:         148
        .size:           4
        .value_kind:     hidden_block_count_y
      - .offset:         152
        .size:           4
        .value_kind:     hidden_block_count_z
      - .offset:         156
        .size:           2
        .value_kind:     hidden_group_size_x
      - .offset:         158
        .size:           2
        .value_kind:     hidden_group_size_y
      - .offset:         160
        .size:           2
        .value_kind:     hidden_group_size_z
      - .offset:         162
        .size:           2
        .value_kind:     hidden_remainder_x
      - .offset:         164
        .size:           2
        .value_kind:     hidden_remainder_y
      - .offset:         166
        .size:           2
        .value_kind:     hidden_remainder_z
      - .offset:         184
        .size:           8
        .value_kind:     hidden_global_offset_x
      - .offset:         192
        .size:           8
        .value_kind:     hidden_global_offset_y
      - .offset:         200
        .size:           8
        .value_kind:     hidden_global_offset_z
      - .offset:         208
        .size:           2
        .value_kind:     hidden_grid_dims
    .group_segment_fixed_size: 17472
    .kernarg_segment_align: 8
    .kernarg_segment_size: 400
    .language:       OpenCL C
    .language_version:
      - 2
      - 0
    .max_flat_workgroup_size: 256
    .name:           _Z39paged_attention_ll4mi_QKV_mfma16_kernelIDF16_hLN4vllm18Fp8KVCacheDataTypeE1EDF16_Li16ELi128ELi256ELb1ELi13EL8MFMAType1EEvPKT_PKT0_S8_ifPKiSA_SA_iPKfiiiPfSD_PS3_PT2_iSC_SC_
    .private_segment_fixed_size: 0
    .sgpr_count:     38
    .sgpr_spill_count: 0
    .symbol:         _Z39paged_attention_ll4mi_QKV_mfma16_kernelIDF16_hLN4vllm18Fp8KVCacheDataTypeE1EDF16_Li16ELi128ELi256ELb1ELi13EL8MFMAType1EEvPKT_PKT0_S8_ifPKiSA_SA_iPKfiiiPfSD_PS3_PT2_iSC_SC_.kd
    .uniform_work_group_size: 1
    .uses_dynamic_stack: false
    .vgpr_count:     150
    .vgpr_spill_count: 0
    .wavefront_size: 32
    .workgroup_processor_mode: 1
  - .args:
      - .actual_access:  read_only
        .address_space:  global
        .offset:         0
        .size:           8
        .value_kind:     global_buffer
      - .actual_access:  read_only
        .address_space:  global
        .offset:         8
        .size:           8
        .value_kind:     global_buffer
      - .actual_access:  read_only
        .address_space:  global
        .offset:         16
        .size:           8
        .value_kind:     global_buffer
      - .offset:         24
        .size:           4
        .value_kind:     by_value
      - .offset:         28
        .size:           4
        .value_kind:     by_value
      - .actual_access:  read_only
        .address_space:  global
        .offset:         32
        .size:           8
        .value_kind:     global_buffer
      - .actual_access:  read_only
        .address_space:  global
        .offset:         40
        .size:           8
        .value_kind:     global_buffer
      - .actual_access:  read_only
        .address_space:  global
        .offset:         48
        .size:           8
        .value_kind:     global_buffer
      - .offset:         56
        .size:           4
        .value_kind:     by_value
      - .actual_access:  read_only
        .address_space:  global
        .offset:         64
        .size:           8
        .value_kind:     global_buffer
      - .offset:         72
        .size:           4
        .value_kind:     by_value
      - .offset:         76
        .size:           4
        .value_kind:     by_value
      - .offset:         80
        .size:           4
        .value_kind:     by_value
      - .actual_access:  write_only
        .address_space:  global
        .offset:         88
        .size:           8
        .value_kind:     global_buffer
      - .actual_access:  write_only
        .address_space:  global
        .offset:         96
        .size:           8
        .value_kind:     global_buffer
      - .actual_access:  write_only
        .address_space:  global
        .offset:         104
        .size:           8
        .value_kind:     global_buffer
      - .actual_access:  read_only
        .address_space:  global
        .offset:         112
        .size:           8
        .value_kind:     global_buffer
      - .offset:         120
        .size:           4
        .value_kind:     by_value
      - .address_space:  global
        .offset:         128
        .size:           8
        .value_kind:     global_buffer
      - .address_space:  global
        .offset:         136
        .size:           8
        .value_kind:     global_buffer
      - .offset:         144
        .size:           4
        .value_kind:     hidden_block_count_x
      - .offset:         148
        .size:           4
        .value_kind:     hidden_block_count_y
      - .offset:         152
        .size:           4
        .value_kind:     hidden_block_count_z
      - .offset:         156
        .size:           2
        .value_kind:     hidden_group_size_x
      - .offset:         158
        .size:           2
        .value_kind:     hidden_group_size_y
      - .offset:         160
        .size:           2
        .value_kind:     hidden_group_size_z
      - .offset:         162
        .size:           2
        .value_kind:     hidden_remainder_x
      - .offset:         164
        .size:           2
        .value_kind:     hidden_remainder_y
      - .offset:         166
        .size:           2
        .value_kind:     hidden_remainder_z
      - .offset:         184
        .size:           8
        .value_kind:     hidden_global_offset_x
      - .offset:         192
        .size:           8
        .value_kind:     hidden_global_offset_y
      - .offset:         200
        .size:           8
        .value_kind:     hidden_global_offset_z
      - .offset:         208
        .size:           2
        .value_kind:     hidden_grid_dims
    .group_segment_fixed_size: 17472
    .kernarg_segment_align: 8
    .kernarg_segment_size: 400
    .language:       OpenCL C
    .language_version:
      - 2
      - 0
    .max_flat_workgroup_size: 256
    .name:           _Z39paged_attention_ll4mi_QKV_mfma16_kernelIDF16_hLN4vllm18Fp8KVCacheDataTypeE1EDF16_Li16ELi128ELi256ELb1ELi14EL8MFMAType1EEvPKT_PKT0_S8_ifPKiSA_SA_iPKfiiiPfSD_PS3_PT2_iSC_SC_
    .private_segment_fixed_size: 0
    .sgpr_count:     38
    .sgpr_spill_count: 0
    .symbol:         _Z39paged_attention_ll4mi_QKV_mfma16_kernelIDF16_hLN4vllm18Fp8KVCacheDataTypeE1EDF16_Li16ELi128ELi256ELb1ELi14EL8MFMAType1EEvPKT_PKT0_S8_ifPKiSA_SA_iPKfiiiPfSD_PS3_PT2_iSC_SC_.kd
    .uniform_work_group_size: 1
    .uses_dynamic_stack: false
    .vgpr_count:     150
    .vgpr_spill_count: 0
    .wavefront_size: 32
    .workgroup_processor_mode: 1
  - .args:
      - .actual_access:  read_only
        .address_space:  global
        .offset:         0
        .size:           8
        .value_kind:     global_buffer
      - .actual_access:  read_only
        .address_space:  global
        .offset:         8
        .size:           8
        .value_kind:     global_buffer
      - .actual_access:  read_only
        .address_space:  global
        .offset:         16
        .size:           8
        .value_kind:     global_buffer
      - .offset:         24
        .size:           4
        .value_kind:     by_value
      - .offset:         28
        .size:           4
        .value_kind:     by_value
      - .actual_access:  read_only
        .address_space:  global
        .offset:         32
        .size:           8
        .value_kind:     global_buffer
      - .actual_access:  read_only
        .address_space:  global
        .offset:         40
        .size:           8
        .value_kind:     global_buffer
      - .actual_access:  read_only
        .address_space:  global
        .offset:         48
        .size:           8
        .value_kind:     global_buffer
      - .offset:         56
        .size:           4
        .value_kind:     by_value
      - .actual_access:  read_only
        .address_space:  global
        .offset:         64
        .size:           8
        .value_kind:     global_buffer
      - .offset:         72
        .size:           4
        .value_kind:     by_value
      - .offset:         76
        .size:           4
        .value_kind:     by_value
      - .offset:         80
        .size:           4
        .value_kind:     by_value
      - .actual_access:  write_only
        .address_space:  global
        .offset:         88
        .size:           8
        .value_kind:     global_buffer
      - .actual_access:  write_only
        .address_space:  global
        .offset:         96
        .size:           8
        .value_kind:     global_buffer
      - .actual_access:  write_only
        .address_space:  global
        .offset:         104
        .size:           8
        .value_kind:     global_buffer
      - .actual_access:  read_only
        .address_space:  global
        .offset:         112
        .size:           8
        .value_kind:     global_buffer
      - .offset:         120
        .size:           4
        .value_kind:     by_value
      - .address_space:  global
        .offset:         128
        .size:           8
        .value_kind:     global_buffer
      - .address_space:  global
        .offset:         136
        .size:           8
        .value_kind:     global_buffer
      - .offset:         144
        .size:           4
        .value_kind:     hidden_block_count_x
      - .offset:         148
        .size:           4
        .value_kind:     hidden_block_count_y
      - .offset:         152
        .size:           4
        .value_kind:     hidden_block_count_z
      - .offset:         156
        .size:           2
        .value_kind:     hidden_group_size_x
      - .offset:         158
        .size:           2
        .value_kind:     hidden_group_size_y
      - .offset:         160
        .size:           2
        .value_kind:     hidden_group_size_z
      - .offset:         162
        .size:           2
        .value_kind:     hidden_remainder_x
      - .offset:         164
        .size:           2
        .value_kind:     hidden_remainder_y
      - .offset:         166
        .size:           2
        .value_kind:     hidden_remainder_z
      - .offset:         184
        .size:           8
        .value_kind:     hidden_global_offset_x
      - .offset:         192
        .size:           8
        .value_kind:     hidden_global_offset_y
      - .offset:         200
        .size:           8
        .value_kind:     hidden_global_offset_z
      - .offset:         208
        .size:           2
        .value_kind:     hidden_grid_dims
    .group_segment_fixed_size: 17472
    .kernarg_segment_align: 8
    .kernarg_segment_size: 400
    .language:       OpenCL C
    .language_version:
      - 2
      - 0
    .max_flat_workgroup_size: 256
    .name:           _Z39paged_attention_ll4mi_QKV_mfma16_kernelIDF16_hLN4vllm18Fp8KVCacheDataTypeE1EDF16_Li16ELi128ELi256ELb1ELi15EL8MFMAType1EEvPKT_PKT0_S8_ifPKiSA_SA_iPKfiiiPfSD_PS3_PT2_iSC_SC_
    .private_segment_fixed_size: 0
    .sgpr_count:     38
    .sgpr_spill_count: 0
    .symbol:         _Z39paged_attention_ll4mi_QKV_mfma16_kernelIDF16_hLN4vllm18Fp8KVCacheDataTypeE1EDF16_Li16ELi128ELi256ELb1ELi15EL8MFMAType1EEvPKT_PKT0_S8_ifPKiSA_SA_iPKfiiiPfSD_PS3_PT2_iSC_SC_.kd
    .uniform_work_group_size: 1
    .uses_dynamic_stack: false
    .vgpr_count:     150
    .vgpr_spill_count: 0
    .wavefront_size: 32
    .workgroup_processor_mode: 1
  - .args:
      - .actual_access:  read_only
        .address_space:  global
        .offset:         0
        .size:           8
        .value_kind:     global_buffer
      - .actual_access:  read_only
        .address_space:  global
        .offset:         8
        .size:           8
        .value_kind:     global_buffer
      - .actual_access:  read_only
        .address_space:  global
        .offset:         16
        .size:           8
        .value_kind:     global_buffer
      - .offset:         24
        .size:           4
        .value_kind:     by_value
      - .offset:         28
        .size:           4
        .value_kind:     by_value
      - .actual_access:  read_only
        .address_space:  global
        .offset:         32
        .size:           8
        .value_kind:     global_buffer
      - .actual_access:  read_only
        .address_space:  global
        .offset:         40
        .size:           8
        .value_kind:     global_buffer
      - .actual_access:  read_only
        .address_space:  global
        .offset:         48
        .size:           8
        .value_kind:     global_buffer
      - .offset:         56
        .size:           4
        .value_kind:     by_value
      - .actual_access:  read_only
        .address_space:  global
        .offset:         64
        .size:           8
        .value_kind:     global_buffer
      - .offset:         72
        .size:           4
        .value_kind:     by_value
      - .offset:         76
        .size:           4
        .value_kind:     by_value
      - .offset:         80
        .size:           4
        .value_kind:     by_value
      - .actual_access:  write_only
        .address_space:  global
        .offset:         88
        .size:           8
        .value_kind:     global_buffer
      - .actual_access:  write_only
        .address_space:  global
        .offset:         96
        .size:           8
        .value_kind:     global_buffer
      - .actual_access:  write_only
        .address_space:  global
        .offset:         104
        .size:           8
        .value_kind:     global_buffer
      - .actual_access:  read_only
        .address_space:  global
        .offset:         112
        .size:           8
        .value_kind:     global_buffer
      - .offset:         120
        .size:           4
        .value_kind:     by_value
      - .address_space:  global
        .offset:         128
        .size:           8
        .value_kind:     global_buffer
      - .address_space:  global
        .offset:         136
        .size:           8
        .value_kind:     global_buffer
      - .offset:         144
        .size:           4
        .value_kind:     hidden_block_count_x
      - .offset:         148
        .size:           4
        .value_kind:     hidden_block_count_y
      - .offset:         152
        .size:           4
        .value_kind:     hidden_block_count_z
      - .offset:         156
        .size:           2
        .value_kind:     hidden_group_size_x
      - .offset:         158
        .size:           2
        .value_kind:     hidden_group_size_y
      - .offset:         160
        .size:           2
        .value_kind:     hidden_group_size_z
      - .offset:         162
        .size:           2
        .value_kind:     hidden_remainder_x
      - .offset:         164
        .size:           2
        .value_kind:     hidden_remainder_y
      - .offset:         166
        .size:           2
        .value_kind:     hidden_remainder_z
      - .offset:         184
        .size:           8
        .value_kind:     hidden_global_offset_x
      - .offset:         192
        .size:           8
        .value_kind:     hidden_global_offset_y
      - .offset:         200
        .size:           8
        .value_kind:     hidden_global_offset_z
      - .offset:         208
        .size:           2
        .value_kind:     hidden_grid_dims
    .group_segment_fixed_size: 17472
    .kernarg_segment_align: 8
    .kernarg_segment_size: 400
    .language:       OpenCL C
    .language_version:
      - 2
      - 0
    .max_flat_workgroup_size: 256
    .name:           _Z39paged_attention_ll4mi_QKV_mfma16_kernelIDF16_hLN4vllm18Fp8KVCacheDataTypeE1EDF16_Li16ELi128ELi256ELb1ELi16EL8MFMAType1EEvPKT_PKT0_S8_ifPKiSA_SA_iPKfiiiPfSD_PS3_PT2_iSC_SC_
    .private_segment_fixed_size: 0
    .sgpr_count:     37
    .sgpr_spill_count: 0
    .symbol:         _Z39paged_attention_ll4mi_QKV_mfma16_kernelIDF16_hLN4vllm18Fp8KVCacheDataTypeE1EDF16_Li16ELi128ELi256ELb1ELi16EL8MFMAType1EEvPKT_PKT0_S8_ifPKiSA_SA_iPKfiiiPfSD_PS3_PT2_iSC_SC_.kd
    .uniform_work_group_size: 1
    .uses_dynamic_stack: false
    .vgpr_count:     140
    .vgpr_spill_count: 0
    .wavefront_size: 32
    .workgroup_processor_mode: 1
  - .args:
      - .actual_access:  read_only
        .address_space:  global
        .offset:         0
        .size:           8
        .value_kind:     global_buffer
      - .actual_access:  read_only
        .address_space:  global
        .offset:         8
        .size:           8
        .value_kind:     global_buffer
      - .actual_access:  read_only
        .address_space:  global
        .offset:         16
        .size:           8
        .value_kind:     global_buffer
      - .offset:         24
        .size:           4
        .value_kind:     by_value
      - .offset:         28
        .size:           4
        .value_kind:     by_value
      - .actual_access:  read_only
        .address_space:  global
        .offset:         32
        .size:           8
        .value_kind:     global_buffer
      - .actual_access:  read_only
        .address_space:  global
        .offset:         40
        .size:           8
        .value_kind:     global_buffer
      - .actual_access:  read_only
        .address_space:  global
        .offset:         48
        .size:           8
        .value_kind:     global_buffer
      - .offset:         56
        .size:           4
        .value_kind:     by_value
      - .actual_access:  read_only
        .address_space:  global
        .offset:         64
        .size:           8
        .value_kind:     global_buffer
      - .offset:         72
        .size:           4
        .value_kind:     by_value
      - .offset:         76
        .size:           4
        .value_kind:     by_value
      - .offset:         80
        .size:           4
        .value_kind:     by_value
      - .actual_access:  write_only
        .address_space:  global
        .offset:         88
        .size:           8
        .value_kind:     global_buffer
      - .actual_access:  write_only
        .address_space:  global
        .offset:         96
        .size:           8
        .value_kind:     global_buffer
      - .actual_access:  write_only
        .address_space:  global
        .offset:         104
        .size:           8
        .value_kind:     global_buffer
      - .actual_access:  read_only
        .address_space:  global
        .offset:         112
        .size:           8
        .value_kind:     global_buffer
      - .offset:         120
        .size:           4
        .value_kind:     by_value
      - .address_space:  global
        .offset:         128
        .size:           8
        .value_kind:     global_buffer
      - .address_space:  global
        .offset:         136
        .size:           8
        .value_kind:     global_buffer
      - .offset:         144
        .size:           4
        .value_kind:     hidden_block_count_x
      - .offset:         148
        .size:           4
        .value_kind:     hidden_block_count_y
      - .offset:         152
        .size:           4
        .value_kind:     hidden_block_count_z
      - .offset:         156
        .size:           2
        .value_kind:     hidden_group_size_x
      - .offset:         158
        .size:           2
        .value_kind:     hidden_group_size_y
      - .offset:         160
        .size:           2
        .value_kind:     hidden_group_size_z
      - .offset:         162
        .size:           2
        .value_kind:     hidden_remainder_x
      - .offset:         164
        .size:           2
        .value_kind:     hidden_remainder_y
      - .offset:         166
        .size:           2
        .value_kind:     hidden_remainder_z
      - .offset:         184
        .size:           8
        .value_kind:     hidden_global_offset_x
      - .offset:         192
        .size:           8
        .value_kind:     hidden_global_offset_y
      - .offset:         200
        .size:           8
        .value_kind:     hidden_global_offset_z
      - .offset:         208
        .size:           2
        .value_kind:     hidden_grid_dims
    .group_segment_fixed_size: 17472
    .kernarg_segment_align: 8
    .kernarg_segment_size: 400
    .language:       OpenCL C
    .language_version:
      - 2
      - 0
    .max_flat_workgroup_size: 256
    .name:           _Z39paged_attention_ll4mi_QKV_mfma16_kernelIDF16_hLN4vllm18Fp8KVCacheDataTypeE1EDF16_Li16ELi128ELi256ELb1ELi1EL8MFMAType1EEvPKT_PKT0_S8_ifPKiSA_SA_iPKfiiiPfSD_PS3_PT2_iSC_SC_
    .private_segment_fixed_size: 0
    .sgpr_count:     68
    .sgpr_spill_count: 0
    .symbol:         _Z39paged_attention_ll4mi_QKV_mfma16_kernelIDF16_hLN4vllm18Fp8KVCacheDataTypeE1EDF16_Li16ELi128ELi256ELb1ELi1EL8MFMAType1EEvPKT_PKT0_S8_ifPKiSA_SA_iPKfiiiPfSD_PS3_PT2_iSC_SC_.kd
    .uniform_work_group_size: 1
    .uses_dynamic_stack: false
    .vgpr_count:     134
    .vgpr_spill_count: 0
    .wavefront_size: 32
    .workgroup_processor_mode: 1
  - .args:
      - .actual_access:  read_only
        .address_space:  global
        .offset:         0
        .size:           8
        .value_kind:     global_buffer
      - .actual_access:  read_only
        .address_space:  global
        .offset:         8
        .size:           8
        .value_kind:     global_buffer
      - .actual_access:  read_only
        .address_space:  global
        .offset:         16
        .size:           8
        .value_kind:     global_buffer
      - .offset:         24
        .size:           4
        .value_kind:     by_value
      - .offset:         28
        .size:           4
        .value_kind:     by_value
      - .actual_access:  read_only
        .address_space:  global
        .offset:         32
        .size:           8
        .value_kind:     global_buffer
      - .actual_access:  read_only
        .address_space:  global
        .offset:         40
        .size:           8
        .value_kind:     global_buffer
      - .actual_access:  read_only
        .address_space:  global
        .offset:         48
        .size:           8
        .value_kind:     global_buffer
      - .offset:         56
        .size:           4
        .value_kind:     by_value
      - .actual_access:  read_only
        .address_space:  global
        .offset:         64
        .size:           8
        .value_kind:     global_buffer
      - .offset:         72
        .size:           4
        .value_kind:     by_value
      - .offset:         76
        .size:           4
        .value_kind:     by_value
      - .offset:         80
        .size:           4
        .value_kind:     by_value
      - .actual_access:  write_only
        .address_space:  global
        .offset:         88
        .size:           8
        .value_kind:     global_buffer
      - .actual_access:  write_only
        .address_space:  global
        .offset:         96
        .size:           8
        .value_kind:     global_buffer
      - .actual_access:  write_only
        .address_space:  global
        .offset:         104
        .size:           8
        .value_kind:     global_buffer
      - .actual_access:  read_only
        .address_space:  global
        .offset:         112
        .size:           8
        .value_kind:     global_buffer
      - .offset:         120
        .size:           4
        .value_kind:     by_value
      - .address_space:  global
        .offset:         128
        .size:           8
        .value_kind:     global_buffer
      - .address_space:  global
        .offset:         136
        .size:           8
        .value_kind:     global_buffer
      - .offset:         144
        .size:           4
        .value_kind:     hidden_block_count_x
      - .offset:         148
        .size:           4
        .value_kind:     hidden_block_count_y
      - .offset:         152
        .size:           4
        .value_kind:     hidden_block_count_z
      - .offset:         156
        .size:           2
        .value_kind:     hidden_group_size_x
      - .offset:         158
        .size:           2
        .value_kind:     hidden_group_size_y
      - .offset:         160
        .size:           2
        .value_kind:     hidden_group_size_z
      - .offset:         162
        .size:           2
        .value_kind:     hidden_remainder_x
      - .offset:         164
        .size:           2
        .value_kind:     hidden_remainder_y
      - .offset:         166
        .size:           2
        .value_kind:     hidden_remainder_z
      - .offset:         184
        .size:           8
        .value_kind:     hidden_global_offset_x
      - .offset:         192
        .size:           8
        .value_kind:     hidden_global_offset_y
      - .offset:         200
        .size:           8
        .value_kind:     hidden_global_offset_z
      - .offset:         208
        .size:           2
        .value_kind:     hidden_grid_dims
    .group_segment_fixed_size: 17472
    .kernarg_segment_align: 8
    .kernarg_segment_size: 400
    .language:       OpenCL C
    .language_version:
      - 2
      - 0
    .max_flat_workgroup_size: 256
    .name:           _Z39paged_attention_ll4mi_QKV_mfma16_kernelIDF16_hLN4vllm18Fp8KVCacheDataTypeE1EDF16_Li16ELi128ELi256ELb1ELi2EL8MFMAType1EEvPKT_PKT0_S8_ifPKiSA_SA_iPKfiiiPfSD_PS3_PT2_iSC_SC_
    .private_segment_fixed_size: 0
    .sgpr_count:     39
    .sgpr_spill_count: 0
    .symbol:         _Z39paged_attention_ll4mi_QKV_mfma16_kernelIDF16_hLN4vllm18Fp8KVCacheDataTypeE1EDF16_Li16ELi128ELi256ELb1ELi2EL8MFMAType1EEvPKT_PKT0_S8_ifPKiSA_SA_iPKfiiiPfSD_PS3_PT2_iSC_SC_.kd
    .uniform_work_group_size: 1
    .uses_dynamic_stack: false
    .vgpr_count:     146
    .vgpr_spill_count: 0
    .wavefront_size: 32
    .workgroup_processor_mode: 1
  - .args:
      - .actual_access:  read_only
        .address_space:  global
        .offset:         0
        .size:           8
        .value_kind:     global_buffer
      - .actual_access:  read_only
        .address_space:  global
        .offset:         8
        .size:           8
        .value_kind:     global_buffer
      - .actual_access:  read_only
        .address_space:  global
        .offset:         16
        .size:           8
        .value_kind:     global_buffer
      - .offset:         24
        .size:           4
        .value_kind:     by_value
      - .offset:         28
        .size:           4
        .value_kind:     by_value
      - .actual_access:  read_only
        .address_space:  global
        .offset:         32
        .size:           8
        .value_kind:     global_buffer
      - .actual_access:  read_only
        .address_space:  global
        .offset:         40
        .size:           8
        .value_kind:     global_buffer
      - .actual_access:  read_only
        .address_space:  global
        .offset:         48
        .size:           8
        .value_kind:     global_buffer
      - .offset:         56
        .size:           4
        .value_kind:     by_value
      - .actual_access:  read_only
        .address_space:  global
        .offset:         64
        .size:           8
        .value_kind:     global_buffer
      - .offset:         72
        .size:           4
        .value_kind:     by_value
      - .offset:         76
        .size:           4
        .value_kind:     by_value
      - .offset:         80
        .size:           4
        .value_kind:     by_value
      - .actual_access:  write_only
        .address_space:  global
        .offset:         88
        .size:           8
        .value_kind:     global_buffer
      - .actual_access:  write_only
        .address_space:  global
        .offset:         96
        .size:           8
        .value_kind:     global_buffer
      - .actual_access:  write_only
        .address_space:  global
        .offset:         104
        .size:           8
        .value_kind:     global_buffer
      - .actual_access:  read_only
        .address_space:  global
        .offset:         112
        .size:           8
        .value_kind:     global_buffer
      - .offset:         120
        .size:           4
        .value_kind:     by_value
      - .address_space:  global
        .offset:         128
        .size:           8
        .value_kind:     global_buffer
      - .address_space:  global
        .offset:         136
        .size:           8
        .value_kind:     global_buffer
      - .offset:         144
        .size:           4
        .value_kind:     hidden_block_count_x
      - .offset:         148
        .size:           4
        .value_kind:     hidden_block_count_y
      - .offset:         152
        .size:           4
        .value_kind:     hidden_block_count_z
      - .offset:         156
        .size:           2
        .value_kind:     hidden_group_size_x
      - .offset:         158
        .size:           2
        .value_kind:     hidden_group_size_y
      - .offset:         160
        .size:           2
        .value_kind:     hidden_group_size_z
      - .offset:         162
        .size:           2
        .value_kind:     hidden_remainder_x
      - .offset:         164
        .size:           2
        .value_kind:     hidden_remainder_y
      - .offset:         166
        .size:           2
        .value_kind:     hidden_remainder_z
      - .offset:         184
        .size:           8
        .value_kind:     hidden_global_offset_x
      - .offset:         192
        .size:           8
        .value_kind:     hidden_global_offset_y
      - .offset:         200
        .size:           8
        .value_kind:     hidden_global_offset_z
      - .offset:         208
        .size:           2
        .value_kind:     hidden_grid_dims
    .group_segment_fixed_size: 17472
    .kernarg_segment_align: 8
    .kernarg_segment_size: 400
    .language:       OpenCL C
    .language_version:
      - 2
      - 0
    .max_flat_workgroup_size: 256
    .name:           _Z39paged_attention_ll4mi_QKV_mfma16_kernelIDF16_hLN4vllm18Fp8KVCacheDataTypeE1EDF16_Li16ELi128ELi256ELb1ELi3EL8MFMAType1EEvPKT_PKT0_S8_ifPKiSA_SA_iPKfiiiPfSD_PS3_PT2_iSC_SC_
    .private_segment_fixed_size: 0
    .sgpr_count:     38
    .sgpr_spill_count: 0
    .symbol:         _Z39paged_attention_ll4mi_QKV_mfma16_kernelIDF16_hLN4vllm18Fp8KVCacheDataTypeE1EDF16_Li16ELi128ELi256ELb1ELi3EL8MFMAType1EEvPKT_PKT0_S8_ifPKiSA_SA_iPKfiiiPfSD_PS3_PT2_iSC_SC_.kd
    .uniform_work_group_size: 1
    .uses_dynamic_stack: false
    .vgpr_count:     150
    .vgpr_spill_count: 0
    .wavefront_size: 32
    .workgroup_processor_mode: 1
  - .args:
      - .actual_access:  read_only
        .address_space:  global
        .offset:         0
        .size:           8
        .value_kind:     global_buffer
      - .actual_access:  read_only
        .address_space:  global
        .offset:         8
        .size:           8
        .value_kind:     global_buffer
      - .actual_access:  read_only
        .address_space:  global
        .offset:         16
        .size:           8
        .value_kind:     global_buffer
      - .offset:         24
        .size:           4
        .value_kind:     by_value
      - .offset:         28
        .size:           4
        .value_kind:     by_value
      - .actual_access:  read_only
        .address_space:  global
        .offset:         32
        .size:           8
        .value_kind:     global_buffer
      - .actual_access:  read_only
        .address_space:  global
        .offset:         40
        .size:           8
        .value_kind:     global_buffer
      - .actual_access:  read_only
        .address_space:  global
        .offset:         48
        .size:           8
        .value_kind:     global_buffer
      - .offset:         56
        .size:           4
        .value_kind:     by_value
      - .actual_access:  read_only
        .address_space:  global
        .offset:         64
        .size:           8
        .value_kind:     global_buffer
      - .offset:         72
        .size:           4
        .value_kind:     by_value
      - .offset:         76
        .size:           4
        .value_kind:     by_value
      - .offset:         80
        .size:           4
        .value_kind:     by_value
      - .actual_access:  write_only
        .address_space:  global
        .offset:         88
        .size:           8
        .value_kind:     global_buffer
      - .actual_access:  write_only
        .address_space:  global
        .offset:         96
        .size:           8
        .value_kind:     global_buffer
      - .actual_access:  write_only
        .address_space:  global
        .offset:         104
        .size:           8
        .value_kind:     global_buffer
      - .actual_access:  read_only
        .address_space:  global
        .offset:         112
        .size:           8
        .value_kind:     global_buffer
      - .offset:         120
        .size:           4
        .value_kind:     by_value
      - .address_space:  global
        .offset:         128
        .size:           8
        .value_kind:     global_buffer
      - .address_space:  global
        .offset:         136
        .size:           8
        .value_kind:     global_buffer
      - .offset:         144
        .size:           4
        .value_kind:     hidden_block_count_x
      - .offset:         148
        .size:           4
        .value_kind:     hidden_block_count_y
      - .offset:         152
        .size:           4
        .value_kind:     hidden_block_count_z
      - .offset:         156
        .size:           2
        .value_kind:     hidden_group_size_x
      - .offset:         158
        .size:           2
        .value_kind:     hidden_group_size_y
      - .offset:         160
        .size:           2
        .value_kind:     hidden_group_size_z
      - .offset:         162
        .size:           2
        .value_kind:     hidden_remainder_x
      - .offset:         164
        .size:           2
        .value_kind:     hidden_remainder_y
      - .offset:         166
        .size:           2
        .value_kind:     hidden_remainder_z
      - .offset:         184
        .size:           8
        .value_kind:     hidden_global_offset_x
      - .offset:         192
        .size:           8
        .value_kind:     hidden_global_offset_y
      - .offset:         200
        .size:           8
        .value_kind:     hidden_global_offset_z
      - .offset:         208
        .size:           2
        .value_kind:     hidden_grid_dims
    .group_segment_fixed_size: 17472
    .kernarg_segment_align: 8
    .kernarg_segment_size: 400
    .language:       OpenCL C
    .language_version:
      - 2
      - 0
    .max_flat_workgroup_size: 256
    .name:           _Z39paged_attention_ll4mi_QKV_mfma16_kernelIDF16_hLN4vllm18Fp8KVCacheDataTypeE1EDF16_Li16ELi128ELi256ELb1ELi4EL8MFMAType1EEvPKT_PKT0_S8_ifPKiSA_SA_iPKfiiiPfSD_PS3_PT2_iSC_SC_
    .private_segment_fixed_size: 0
    .sgpr_count:     38
    .sgpr_spill_count: 0
    .symbol:         _Z39paged_attention_ll4mi_QKV_mfma16_kernelIDF16_hLN4vllm18Fp8KVCacheDataTypeE1EDF16_Li16ELi128ELi256ELb1ELi4EL8MFMAType1EEvPKT_PKT0_S8_ifPKiSA_SA_iPKfiiiPfSD_PS3_PT2_iSC_SC_.kd
    .uniform_work_group_size: 1
    .uses_dynamic_stack: false
    .vgpr_count:     140
    .vgpr_spill_count: 0
    .wavefront_size: 32
    .workgroup_processor_mode: 1
  - .args:
      - .actual_access:  read_only
        .address_space:  global
        .offset:         0
        .size:           8
        .value_kind:     global_buffer
      - .actual_access:  read_only
        .address_space:  global
        .offset:         8
        .size:           8
        .value_kind:     global_buffer
      - .actual_access:  read_only
        .address_space:  global
        .offset:         16
        .size:           8
        .value_kind:     global_buffer
      - .offset:         24
        .size:           4
        .value_kind:     by_value
      - .offset:         28
        .size:           4
        .value_kind:     by_value
      - .actual_access:  read_only
        .address_space:  global
        .offset:         32
        .size:           8
        .value_kind:     global_buffer
      - .actual_access:  read_only
        .address_space:  global
        .offset:         40
        .size:           8
        .value_kind:     global_buffer
      - .actual_access:  read_only
        .address_space:  global
        .offset:         48
        .size:           8
        .value_kind:     global_buffer
      - .offset:         56
        .size:           4
        .value_kind:     by_value
      - .actual_access:  read_only
        .address_space:  global
        .offset:         64
        .size:           8
        .value_kind:     global_buffer
      - .offset:         72
        .size:           4
        .value_kind:     by_value
      - .offset:         76
        .size:           4
        .value_kind:     by_value
      - .offset:         80
        .size:           4
        .value_kind:     by_value
      - .actual_access:  read_only
        .address_space:  global
        .offset:         88
        .size:           8
        .value_kind:     global_buffer
      - .actual_access:  read_only
        .address_space:  global
        .offset:         96
        .size:           8
        .value_kind:     global_buffer
      - .actual_access:  read_only
        .address_space:  global
        .offset:         104
        .size:           8
        .value_kind:     global_buffer
      - .actual_access:  read_only
        .address_space:  global
        .offset:         112
        .size:           8
        .value_kind:     global_buffer
      - .offset:         120
        .size:           4
        .value_kind:     by_value
      - .address_space:  global
        .offset:         128
        .size:           8
        .value_kind:     global_buffer
      - .address_space:  global
        .offset:         136
        .size:           8
        .value_kind:     global_buffer
      - .offset:         144
        .size:           4
        .value_kind:     hidden_block_count_x
      - .offset:         148
        .size:           4
        .value_kind:     hidden_block_count_y
      - .offset:         152
        .size:           4
        .value_kind:     hidden_block_count_z
      - .offset:         156
        .size:           2
        .value_kind:     hidden_group_size_x
      - .offset:         158
        .size:           2
        .value_kind:     hidden_group_size_y
      - .offset:         160
        .size:           2
        .value_kind:     hidden_group_size_z
      - .offset:         162
        .size:           2
        .value_kind:     hidden_remainder_x
      - .offset:         164
        .size:           2
        .value_kind:     hidden_remainder_y
      - .offset:         166
        .size:           2
        .value_kind:     hidden_remainder_z
      - .offset:         184
        .size:           8
        .value_kind:     hidden_global_offset_x
      - .offset:         192
        .size:           8
        .value_kind:     hidden_global_offset_y
      - .offset:         200
        .size:           8
        .value_kind:     hidden_global_offset_z
      - .offset:         208
        .size:           2
        .value_kind:     hidden_grid_dims
      - .offset:         224
        .size:           8
        .value_kind:     hidden_hostcall_buffer
    .group_segment_fixed_size: 0
    .kernarg_segment_align: 8
    .kernarg_segment_size: 400
    .language:       OpenCL C
    .language_version:
      - 2
      - 0
    .max_flat_workgroup_size: 256
    .name:           _Z38paged_attention_ll4mi_QKV_mfma4_kernelIDF16_hLN4vllm18Fp8KVCacheDataTypeE1EDF16_Li16ELi128ELi256ELb0ELi1EEvPKT_PKT0_S7_ifPKiS9_S9_iPKfiiiPfSC_PS2_PT2_iSB_SB_
    .private_segment_fixed_size: 64
    .sgpr_count:     36
    .sgpr_spill_count: 0
    .symbol:         _Z38paged_attention_ll4mi_QKV_mfma4_kernelIDF16_hLN4vllm18Fp8KVCacheDataTypeE1EDF16_Li16ELi128ELi256ELb0ELi1EEvPKT_PKT0_S7_ifPKiS9_S9_iPKfiiiPfSC_PS2_PT2_iSB_SB_.kd
    .uniform_work_group_size: 1
    .uses_dynamic_stack: false
    .vgpr_count:     41
    .vgpr_spill_count: 0
    .wavefront_size: 32
    .workgroup_processor_mode: 1
  - .args:
      - .actual_access:  read_only
        .address_space:  global
        .offset:         0
        .size:           8
        .value_kind:     global_buffer
      - .actual_access:  read_only
        .address_space:  global
        .offset:         8
        .size:           8
        .value_kind:     global_buffer
      - .actual_access:  read_only
        .address_space:  global
        .offset:         16
        .size:           8
        .value_kind:     global_buffer
      - .offset:         24
        .size:           4
        .value_kind:     by_value
      - .offset:         28
        .size:           4
        .value_kind:     by_value
      - .actual_access:  read_only
        .address_space:  global
        .offset:         32
        .size:           8
        .value_kind:     global_buffer
      - .actual_access:  read_only
        .address_space:  global
        .offset:         40
        .size:           8
        .value_kind:     global_buffer
      - .actual_access:  read_only
        .address_space:  global
        .offset:         48
        .size:           8
        .value_kind:     global_buffer
      - .offset:         56
        .size:           4
        .value_kind:     by_value
      - .actual_access:  read_only
        .address_space:  global
        .offset:         64
        .size:           8
        .value_kind:     global_buffer
      - .offset:         72
        .size:           4
        .value_kind:     by_value
      - .offset:         76
        .size:           4
        .value_kind:     by_value
      - .offset:         80
        .size:           4
        .value_kind:     by_value
      - .actual_access:  read_only
        .address_space:  global
        .offset:         88
        .size:           8
        .value_kind:     global_buffer
      - .actual_access:  read_only
        .address_space:  global
        .offset:         96
        .size:           8
        .value_kind:     global_buffer
      - .actual_access:  read_only
        .address_space:  global
        .offset:         104
        .size:           8
        .value_kind:     global_buffer
      - .actual_access:  read_only
        .address_space:  global
        .offset:         112
        .size:           8
        .value_kind:     global_buffer
      - .offset:         120
        .size:           4
        .value_kind:     by_value
      - .address_space:  global
        .offset:         128
        .size:           8
        .value_kind:     global_buffer
      - .address_space:  global
        .offset:         136
        .size:           8
        .value_kind:     global_buffer
      - .offset:         144
        .size:           4
        .value_kind:     hidden_block_count_x
      - .offset:         148
        .size:           4
        .value_kind:     hidden_block_count_y
      - .offset:         152
        .size:           4
        .value_kind:     hidden_block_count_z
      - .offset:         156
        .size:           2
        .value_kind:     hidden_group_size_x
      - .offset:         158
        .size:           2
        .value_kind:     hidden_group_size_y
      - .offset:         160
        .size:           2
        .value_kind:     hidden_group_size_z
      - .offset:         162
        .size:           2
        .value_kind:     hidden_remainder_x
      - .offset:         164
        .size:           2
        .value_kind:     hidden_remainder_y
      - .offset:         166
        .size:           2
        .value_kind:     hidden_remainder_z
      - .offset:         184
        .size:           8
        .value_kind:     hidden_global_offset_x
      - .offset:         192
        .size:           8
        .value_kind:     hidden_global_offset_y
      - .offset:         200
        .size:           8
        .value_kind:     hidden_global_offset_z
      - .offset:         208
        .size:           2
        .value_kind:     hidden_grid_dims
      - .offset:         224
        .size:           8
        .value_kind:     hidden_hostcall_buffer
    .group_segment_fixed_size: 0
    .kernarg_segment_align: 8
    .kernarg_segment_size: 400
    .language:       OpenCL C
    .language_version:
      - 2
      - 0
    .max_flat_workgroup_size: 256
    .name:           _Z38paged_attention_ll4mi_QKV_mfma4_kernelIDF16_hLN4vllm18Fp8KVCacheDataTypeE1EDF16_Li16ELi128ELi256ELb0ELi2EEvPKT_PKT0_S7_ifPKiS9_S9_iPKfiiiPfSC_PS2_PT2_iSB_SB_
    .private_segment_fixed_size: 64
    .sgpr_count:     36
    .sgpr_spill_count: 0
    .symbol:         _Z38paged_attention_ll4mi_QKV_mfma4_kernelIDF16_hLN4vllm18Fp8KVCacheDataTypeE1EDF16_Li16ELi128ELi256ELb0ELi2EEvPKT_PKT0_S7_ifPKiS9_S9_iPKfiiiPfSC_PS2_PT2_iSB_SB_.kd
    .uniform_work_group_size: 1
    .uses_dynamic_stack: false
    .vgpr_count:     41
    .vgpr_spill_count: 0
    .wavefront_size: 32
    .workgroup_processor_mode: 1
  - .args:
      - .actual_access:  read_only
        .address_space:  global
        .offset:         0
        .size:           8
        .value_kind:     global_buffer
      - .actual_access:  read_only
        .address_space:  global
        .offset:         8
        .size:           8
        .value_kind:     global_buffer
      - .actual_access:  read_only
        .address_space:  global
        .offset:         16
        .size:           8
        .value_kind:     global_buffer
      - .offset:         24
        .size:           4
        .value_kind:     by_value
      - .offset:         28
        .size:           4
        .value_kind:     by_value
      - .actual_access:  read_only
        .address_space:  global
        .offset:         32
        .size:           8
        .value_kind:     global_buffer
      - .actual_access:  read_only
        .address_space:  global
        .offset:         40
        .size:           8
        .value_kind:     global_buffer
      - .actual_access:  read_only
        .address_space:  global
        .offset:         48
        .size:           8
        .value_kind:     global_buffer
      - .offset:         56
        .size:           4
        .value_kind:     by_value
      - .actual_access:  read_only
        .address_space:  global
        .offset:         64
        .size:           8
        .value_kind:     global_buffer
      - .offset:         72
        .size:           4
        .value_kind:     by_value
      - .offset:         76
        .size:           4
        .value_kind:     by_value
      - .offset:         80
        .size:           4
        .value_kind:     by_value
      - .actual_access:  read_only
        .address_space:  global
        .offset:         88
        .size:           8
        .value_kind:     global_buffer
      - .actual_access:  read_only
        .address_space:  global
        .offset:         96
        .size:           8
        .value_kind:     global_buffer
      - .actual_access:  read_only
        .address_space:  global
        .offset:         104
        .size:           8
        .value_kind:     global_buffer
      - .actual_access:  read_only
        .address_space:  global
        .offset:         112
        .size:           8
        .value_kind:     global_buffer
      - .offset:         120
        .size:           4
        .value_kind:     by_value
      - .address_space:  global
        .offset:         128
        .size:           8
        .value_kind:     global_buffer
      - .address_space:  global
        .offset:         136
        .size:           8
        .value_kind:     global_buffer
      - .offset:         144
        .size:           4
        .value_kind:     hidden_block_count_x
      - .offset:         148
        .size:           4
        .value_kind:     hidden_block_count_y
      - .offset:         152
        .size:           4
        .value_kind:     hidden_block_count_z
      - .offset:         156
        .size:           2
        .value_kind:     hidden_group_size_x
      - .offset:         158
        .size:           2
        .value_kind:     hidden_group_size_y
      - .offset:         160
        .size:           2
        .value_kind:     hidden_group_size_z
      - .offset:         162
        .size:           2
        .value_kind:     hidden_remainder_x
      - .offset:         164
        .size:           2
        .value_kind:     hidden_remainder_y
      - .offset:         166
        .size:           2
        .value_kind:     hidden_remainder_z
      - .offset:         184
        .size:           8
        .value_kind:     hidden_global_offset_x
      - .offset:         192
        .size:           8
        .value_kind:     hidden_global_offset_y
      - .offset:         200
        .size:           8
        .value_kind:     hidden_global_offset_z
      - .offset:         208
        .size:           2
        .value_kind:     hidden_grid_dims
      - .offset:         224
        .size:           8
        .value_kind:     hidden_hostcall_buffer
    .group_segment_fixed_size: 0
    .kernarg_segment_align: 8
    .kernarg_segment_size: 400
    .language:       OpenCL C
    .language_version:
      - 2
      - 0
    .max_flat_workgroup_size: 256
    .name:           _Z38paged_attention_ll4mi_QKV_mfma4_kernelIDF16_hLN4vllm18Fp8KVCacheDataTypeE1EDF16_Li16ELi128ELi256ELb0ELi3EEvPKT_PKT0_S7_ifPKiS9_S9_iPKfiiiPfSC_PS2_PT2_iSB_SB_
    .private_segment_fixed_size: 64
    .sgpr_count:     36
    .sgpr_spill_count: 0
    .symbol:         _Z38paged_attention_ll4mi_QKV_mfma4_kernelIDF16_hLN4vllm18Fp8KVCacheDataTypeE1EDF16_Li16ELi128ELi256ELb0ELi3EEvPKT_PKT0_S7_ifPKiS9_S9_iPKfiiiPfSC_PS2_PT2_iSB_SB_.kd
    .uniform_work_group_size: 1
    .uses_dynamic_stack: false
    .vgpr_count:     41
    .vgpr_spill_count: 0
    .wavefront_size: 32
    .workgroup_processor_mode: 1
  - .args:
      - .actual_access:  read_only
        .address_space:  global
        .offset:         0
        .size:           8
        .value_kind:     global_buffer
      - .actual_access:  read_only
        .address_space:  global
        .offset:         8
        .size:           8
        .value_kind:     global_buffer
      - .actual_access:  read_only
        .address_space:  global
        .offset:         16
        .size:           8
        .value_kind:     global_buffer
      - .offset:         24
        .size:           4
        .value_kind:     by_value
      - .offset:         28
        .size:           4
        .value_kind:     by_value
      - .actual_access:  read_only
        .address_space:  global
        .offset:         32
        .size:           8
        .value_kind:     global_buffer
      - .actual_access:  read_only
        .address_space:  global
        .offset:         40
        .size:           8
        .value_kind:     global_buffer
      - .actual_access:  read_only
        .address_space:  global
        .offset:         48
        .size:           8
        .value_kind:     global_buffer
      - .offset:         56
        .size:           4
        .value_kind:     by_value
      - .actual_access:  read_only
        .address_space:  global
        .offset:         64
        .size:           8
        .value_kind:     global_buffer
      - .offset:         72
        .size:           4
        .value_kind:     by_value
      - .offset:         76
        .size:           4
        .value_kind:     by_value
      - .offset:         80
        .size:           4
        .value_kind:     by_value
      - .actual_access:  read_only
        .address_space:  global
        .offset:         88
        .size:           8
        .value_kind:     global_buffer
      - .actual_access:  read_only
        .address_space:  global
        .offset:         96
        .size:           8
        .value_kind:     global_buffer
      - .actual_access:  read_only
        .address_space:  global
        .offset:         104
        .size:           8
        .value_kind:     global_buffer
      - .actual_access:  read_only
        .address_space:  global
        .offset:         112
        .size:           8
        .value_kind:     global_buffer
      - .offset:         120
        .size:           4
        .value_kind:     by_value
      - .address_space:  global
        .offset:         128
        .size:           8
        .value_kind:     global_buffer
      - .address_space:  global
        .offset:         136
        .size:           8
        .value_kind:     global_buffer
      - .offset:         144
        .size:           4
        .value_kind:     hidden_block_count_x
      - .offset:         148
        .size:           4
        .value_kind:     hidden_block_count_y
      - .offset:         152
        .size:           4
        .value_kind:     hidden_block_count_z
      - .offset:         156
        .size:           2
        .value_kind:     hidden_group_size_x
      - .offset:         158
        .size:           2
        .value_kind:     hidden_group_size_y
      - .offset:         160
        .size:           2
        .value_kind:     hidden_group_size_z
      - .offset:         162
        .size:           2
        .value_kind:     hidden_remainder_x
      - .offset:         164
        .size:           2
        .value_kind:     hidden_remainder_y
      - .offset:         166
        .size:           2
        .value_kind:     hidden_remainder_z
      - .offset:         184
        .size:           8
        .value_kind:     hidden_global_offset_x
      - .offset:         192
        .size:           8
        .value_kind:     hidden_global_offset_y
      - .offset:         200
        .size:           8
        .value_kind:     hidden_global_offset_z
      - .offset:         208
        .size:           2
        .value_kind:     hidden_grid_dims
      - .offset:         224
        .size:           8
        .value_kind:     hidden_hostcall_buffer
    .group_segment_fixed_size: 0
    .kernarg_segment_align: 8
    .kernarg_segment_size: 400
    .language:       OpenCL C
    .language_version:
      - 2
      - 0
    .max_flat_workgroup_size: 256
    .name:           _Z38paged_attention_ll4mi_QKV_mfma4_kernelIDF16_hLN4vllm18Fp8KVCacheDataTypeE1EDF16_Li16ELi128ELi256ELb0ELi4EEvPKT_PKT0_S7_ifPKiS9_S9_iPKfiiiPfSC_PS2_PT2_iSB_SB_
    .private_segment_fixed_size: 64
    .sgpr_count:     36
    .sgpr_spill_count: 0
    .symbol:         _Z38paged_attention_ll4mi_QKV_mfma4_kernelIDF16_hLN4vllm18Fp8KVCacheDataTypeE1EDF16_Li16ELi128ELi256ELb0ELi4EEvPKT_PKT0_S7_ifPKiS9_S9_iPKfiiiPfSC_PS2_PT2_iSB_SB_.kd
    .uniform_work_group_size: 1
    .uses_dynamic_stack: false
    .vgpr_count:     41
    .vgpr_spill_count: 0
    .wavefront_size: 32
    .workgroup_processor_mode: 1
  - .args:
      - .actual_access:  read_only
        .address_space:  global
        .offset:         0
        .size:           8
        .value_kind:     global_buffer
      - .actual_access:  read_only
        .address_space:  global
        .offset:         8
        .size:           8
        .value_kind:     global_buffer
      - .actual_access:  read_only
        .address_space:  global
        .offset:         16
        .size:           8
        .value_kind:     global_buffer
      - .offset:         24
        .size:           4
        .value_kind:     by_value
      - .offset:         28
        .size:           4
        .value_kind:     by_value
      - .actual_access:  read_only
        .address_space:  global
        .offset:         32
        .size:           8
        .value_kind:     global_buffer
      - .actual_access:  read_only
        .address_space:  global
        .offset:         40
        .size:           8
        .value_kind:     global_buffer
      - .actual_access:  read_only
        .address_space:  global
        .offset:         48
        .size:           8
        .value_kind:     global_buffer
      - .offset:         56
        .size:           4
        .value_kind:     by_value
      - .actual_access:  read_only
        .address_space:  global
        .offset:         64
        .size:           8
        .value_kind:     global_buffer
      - .offset:         72
        .size:           4
        .value_kind:     by_value
      - .offset:         76
        .size:           4
        .value_kind:     by_value
      - .offset:         80
        .size:           4
        .value_kind:     by_value
      - .actual_access:  write_only
        .address_space:  global
        .offset:         88
        .size:           8
        .value_kind:     global_buffer
      - .actual_access:  write_only
        .address_space:  global
        .offset:         96
        .size:           8
        .value_kind:     global_buffer
      - .actual_access:  write_only
        .address_space:  global
        .offset:         104
        .size:           8
        .value_kind:     global_buffer
      - .actual_access:  read_only
        .address_space:  global
        .offset:         112
        .size:           8
        .value_kind:     global_buffer
      - .offset:         120
        .size:           4
        .value_kind:     by_value
      - .address_space:  global
        .offset:         128
        .size:           8
        .value_kind:     global_buffer
      - .address_space:  global
        .offset:         136
        .size:           8
        .value_kind:     global_buffer
      - .offset:         144
        .size:           4
        .value_kind:     hidden_block_count_x
      - .offset:         148
        .size:           4
        .value_kind:     hidden_block_count_y
      - .offset:         152
        .size:           4
        .value_kind:     hidden_block_count_z
      - .offset:         156
        .size:           2
        .value_kind:     hidden_group_size_x
      - .offset:         158
        .size:           2
        .value_kind:     hidden_group_size_y
      - .offset:         160
        .size:           2
        .value_kind:     hidden_group_size_z
      - .offset:         162
        .size:           2
        .value_kind:     hidden_remainder_x
      - .offset:         164
        .size:           2
        .value_kind:     hidden_remainder_y
      - .offset:         166
        .size:           2
        .value_kind:     hidden_remainder_z
      - .offset:         184
        .size:           8
        .value_kind:     hidden_global_offset_x
      - .offset:         192
        .size:           8
        .value_kind:     hidden_global_offset_y
      - .offset:         200
        .size:           8
        .value_kind:     hidden_global_offset_z
      - .offset:         208
        .size:           2
        .value_kind:     hidden_grid_dims
    .group_segment_fixed_size: 17472
    .kernarg_segment_align: 8
    .kernarg_segment_size: 400
    .language:       OpenCL C
    .language_version:
      - 2
      - 0
    .max_flat_workgroup_size: 256
    .name:           _Z39paged_attention_ll4mi_QKV_mfma16_kernelIDF16_hLN4vllm18Fp8KVCacheDataTypeE1EDF16_Li16ELi128ELi256ELb0ELi5EL8MFMAType1EEvPKT_PKT0_S8_ifPKiSA_SA_iPKfiiiPfSD_PS3_PT2_iSC_SC_
    .private_segment_fixed_size: 0
    .sgpr_count:     38
    .sgpr_spill_count: 0
    .symbol:         _Z39paged_attention_ll4mi_QKV_mfma16_kernelIDF16_hLN4vllm18Fp8KVCacheDataTypeE1EDF16_Li16ELi128ELi256ELb0ELi5EL8MFMAType1EEvPKT_PKT0_S8_ifPKiSA_SA_iPKfiiiPfSD_PS3_PT2_iSC_SC_.kd
    .uniform_work_group_size: 1
    .uses_dynamic_stack: false
    .vgpr_count:     150
    .vgpr_spill_count: 0
    .wavefront_size: 32
    .workgroup_processor_mode: 1
  - .args:
      - .actual_access:  read_only
        .address_space:  global
        .offset:         0
        .size:           8
        .value_kind:     global_buffer
      - .actual_access:  read_only
        .address_space:  global
        .offset:         8
        .size:           8
        .value_kind:     global_buffer
      - .actual_access:  read_only
        .address_space:  global
        .offset:         16
        .size:           8
        .value_kind:     global_buffer
      - .offset:         24
        .size:           4
        .value_kind:     by_value
      - .offset:         28
        .size:           4
        .value_kind:     by_value
      - .actual_access:  read_only
        .address_space:  global
        .offset:         32
        .size:           8
        .value_kind:     global_buffer
      - .actual_access:  read_only
        .address_space:  global
        .offset:         40
        .size:           8
        .value_kind:     global_buffer
      - .actual_access:  read_only
        .address_space:  global
        .offset:         48
        .size:           8
        .value_kind:     global_buffer
      - .offset:         56
        .size:           4
        .value_kind:     by_value
      - .actual_access:  read_only
        .address_space:  global
        .offset:         64
        .size:           8
        .value_kind:     global_buffer
      - .offset:         72
        .size:           4
        .value_kind:     by_value
      - .offset:         76
        .size:           4
        .value_kind:     by_value
      - .offset:         80
        .size:           4
        .value_kind:     by_value
      - .actual_access:  write_only
        .address_space:  global
        .offset:         88
        .size:           8
        .value_kind:     global_buffer
      - .actual_access:  write_only
        .address_space:  global
        .offset:         96
        .size:           8
        .value_kind:     global_buffer
      - .actual_access:  write_only
        .address_space:  global
        .offset:         104
        .size:           8
        .value_kind:     global_buffer
      - .actual_access:  read_only
        .address_space:  global
        .offset:         112
        .size:           8
        .value_kind:     global_buffer
      - .offset:         120
        .size:           4
        .value_kind:     by_value
      - .address_space:  global
        .offset:         128
        .size:           8
        .value_kind:     global_buffer
      - .address_space:  global
        .offset:         136
        .size:           8
        .value_kind:     global_buffer
      - .offset:         144
        .size:           4
        .value_kind:     hidden_block_count_x
      - .offset:         148
        .size:           4
        .value_kind:     hidden_block_count_y
      - .offset:         152
        .size:           4
        .value_kind:     hidden_block_count_z
      - .offset:         156
        .size:           2
        .value_kind:     hidden_group_size_x
      - .offset:         158
        .size:           2
        .value_kind:     hidden_group_size_y
      - .offset:         160
        .size:           2
        .value_kind:     hidden_group_size_z
      - .offset:         162
        .size:           2
        .value_kind:     hidden_remainder_x
      - .offset:         164
        .size:           2
        .value_kind:     hidden_remainder_y
      - .offset:         166
        .size:           2
        .value_kind:     hidden_remainder_z
      - .offset:         184
        .size:           8
        .value_kind:     hidden_global_offset_x
      - .offset:         192
        .size:           8
        .value_kind:     hidden_global_offset_y
      - .offset:         200
        .size:           8
        .value_kind:     hidden_global_offset_z
      - .offset:         208
        .size:           2
        .value_kind:     hidden_grid_dims
    .group_segment_fixed_size: 17472
    .kernarg_segment_align: 8
    .kernarg_segment_size: 400
    .language:       OpenCL C
    .language_version:
      - 2
      - 0
    .max_flat_workgroup_size: 256
    .name:           _Z39paged_attention_ll4mi_QKV_mfma16_kernelIDF16_hLN4vllm18Fp8KVCacheDataTypeE1EDF16_Li16ELi128ELi256ELb0ELi6EL8MFMAType1EEvPKT_PKT0_S8_ifPKiSA_SA_iPKfiiiPfSD_PS3_PT2_iSC_SC_
    .private_segment_fixed_size: 0
    .sgpr_count:     38
    .sgpr_spill_count: 0
    .symbol:         _Z39paged_attention_ll4mi_QKV_mfma16_kernelIDF16_hLN4vllm18Fp8KVCacheDataTypeE1EDF16_Li16ELi128ELi256ELb0ELi6EL8MFMAType1EEvPKT_PKT0_S8_ifPKiSA_SA_iPKfiiiPfSD_PS3_PT2_iSC_SC_.kd
    .uniform_work_group_size: 1
    .uses_dynamic_stack: false
    .vgpr_count:     150
    .vgpr_spill_count: 0
    .wavefront_size: 32
    .workgroup_processor_mode: 1
  - .args:
      - .actual_access:  read_only
        .address_space:  global
        .offset:         0
        .size:           8
        .value_kind:     global_buffer
      - .actual_access:  read_only
        .address_space:  global
        .offset:         8
        .size:           8
        .value_kind:     global_buffer
      - .actual_access:  read_only
        .address_space:  global
        .offset:         16
        .size:           8
        .value_kind:     global_buffer
      - .offset:         24
        .size:           4
        .value_kind:     by_value
      - .offset:         28
        .size:           4
        .value_kind:     by_value
      - .actual_access:  read_only
        .address_space:  global
        .offset:         32
        .size:           8
        .value_kind:     global_buffer
      - .actual_access:  read_only
        .address_space:  global
        .offset:         40
        .size:           8
        .value_kind:     global_buffer
      - .actual_access:  read_only
        .address_space:  global
        .offset:         48
        .size:           8
        .value_kind:     global_buffer
      - .offset:         56
        .size:           4
        .value_kind:     by_value
      - .actual_access:  read_only
        .address_space:  global
        .offset:         64
        .size:           8
        .value_kind:     global_buffer
      - .offset:         72
        .size:           4
        .value_kind:     by_value
      - .offset:         76
        .size:           4
        .value_kind:     by_value
      - .offset:         80
        .size:           4
        .value_kind:     by_value
      - .actual_access:  write_only
        .address_space:  global
        .offset:         88
        .size:           8
        .value_kind:     global_buffer
      - .actual_access:  write_only
        .address_space:  global
        .offset:         96
        .size:           8
        .value_kind:     global_buffer
      - .actual_access:  write_only
        .address_space:  global
        .offset:         104
        .size:           8
        .value_kind:     global_buffer
      - .actual_access:  read_only
        .address_space:  global
        .offset:         112
        .size:           8
        .value_kind:     global_buffer
      - .offset:         120
        .size:           4
        .value_kind:     by_value
      - .address_space:  global
        .offset:         128
        .size:           8
        .value_kind:     global_buffer
      - .address_space:  global
        .offset:         136
        .size:           8
        .value_kind:     global_buffer
      - .offset:         144
        .size:           4
        .value_kind:     hidden_block_count_x
      - .offset:         148
        .size:           4
        .value_kind:     hidden_block_count_y
      - .offset:         152
        .size:           4
        .value_kind:     hidden_block_count_z
      - .offset:         156
        .size:           2
        .value_kind:     hidden_group_size_x
      - .offset:         158
        .size:           2
        .value_kind:     hidden_group_size_y
      - .offset:         160
        .size:           2
        .value_kind:     hidden_group_size_z
      - .offset:         162
        .size:           2
        .value_kind:     hidden_remainder_x
      - .offset:         164
        .size:           2
        .value_kind:     hidden_remainder_y
      - .offset:         166
        .size:           2
        .value_kind:     hidden_remainder_z
      - .offset:         184
        .size:           8
        .value_kind:     hidden_global_offset_x
      - .offset:         192
        .size:           8
        .value_kind:     hidden_global_offset_y
      - .offset:         200
        .size:           8
        .value_kind:     hidden_global_offset_z
      - .offset:         208
        .size:           2
        .value_kind:     hidden_grid_dims
    .group_segment_fixed_size: 17472
    .kernarg_segment_align: 8
    .kernarg_segment_size: 400
    .language:       OpenCL C
    .language_version:
      - 2
      - 0
    .max_flat_workgroup_size: 256
    .name:           _Z39paged_attention_ll4mi_QKV_mfma16_kernelIDF16_hLN4vllm18Fp8KVCacheDataTypeE1EDF16_Li16ELi128ELi256ELb0ELi7EL8MFMAType1EEvPKT_PKT0_S8_ifPKiSA_SA_iPKfiiiPfSD_PS3_PT2_iSC_SC_
    .private_segment_fixed_size: 0
    .sgpr_count:     38
    .sgpr_spill_count: 0
    .symbol:         _Z39paged_attention_ll4mi_QKV_mfma16_kernelIDF16_hLN4vllm18Fp8KVCacheDataTypeE1EDF16_Li16ELi128ELi256ELb0ELi7EL8MFMAType1EEvPKT_PKT0_S8_ifPKiSA_SA_iPKfiiiPfSD_PS3_PT2_iSC_SC_.kd
    .uniform_work_group_size: 1
    .uses_dynamic_stack: false
    .vgpr_count:     150
    .vgpr_spill_count: 0
    .wavefront_size: 32
    .workgroup_processor_mode: 1
  - .args:
      - .actual_access:  read_only
        .address_space:  global
        .offset:         0
        .size:           8
        .value_kind:     global_buffer
      - .actual_access:  read_only
        .address_space:  global
        .offset:         8
        .size:           8
        .value_kind:     global_buffer
      - .actual_access:  read_only
        .address_space:  global
        .offset:         16
        .size:           8
        .value_kind:     global_buffer
      - .offset:         24
        .size:           4
        .value_kind:     by_value
      - .offset:         28
        .size:           4
        .value_kind:     by_value
      - .actual_access:  read_only
        .address_space:  global
        .offset:         32
        .size:           8
        .value_kind:     global_buffer
      - .actual_access:  read_only
        .address_space:  global
        .offset:         40
        .size:           8
        .value_kind:     global_buffer
      - .actual_access:  read_only
        .address_space:  global
        .offset:         48
        .size:           8
        .value_kind:     global_buffer
      - .offset:         56
        .size:           4
        .value_kind:     by_value
      - .actual_access:  read_only
        .address_space:  global
        .offset:         64
        .size:           8
        .value_kind:     global_buffer
      - .offset:         72
        .size:           4
        .value_kind:     by_value
      - .offset:         76
        .size:           4
        .value_kind:     by_value
      - .offset:         80
        .size:           4
        .value_kind:     by_value
      - .actual_access:  write_only
        .address_space:  global
        .offset:         88
        .size:           8
        .value_kind:     global_buffer
      - .actual_access:  write_only
        .address_space:  global
        .offset:         96
        .size:           8
        .value_kind:     global_buffer
      - .actual_access:  write_only
        .address_space:  global
        .offset:         104
        .size:           8
        .value_kind:     global_buffer
      - .actual_access:  read_only
        .address_space:  global
        .offset:         112
        .size:           8
        .value_kind:     global_buffer
      - .offset:         120
        .size:           4
        .value_kind:     by_value
      - .address_space:  global
        .offset:         128
        .size:           8
        .value_kind:     global_buffer
      - .address_space:  global
        .offset:         136
        .size:           8
        .value_kind:     global_buffer
      - .offset:         144
        .size:           4
        .value_kind:     hidden_block_count_x
      - .offset:         148
        .size:           4
        .value_kind:     hidden_block_count_y
      - .offset:         152
        .size:           4
        .value_kind:     hidden_block_count_z
      - .offset:         156
        .size:           2
        .value_kind:     hidden_group_size_x
      - .offset:         158
        .size:           2
        .value_kind:     hidden_group_size_y
      - .offset:         160
        .size:           2
        .value_kind:     hidden_group_size_z
      - .offset:         162
        .size:           2
        .value_kind:     hidden_remainder_x
      - .offset:         164
        .size:           2
        .value_kind:     hidden_remainder_y
      - .offset:         166
        .size:           2
        .value_kind:     hidden_remainder_z
      - .offset:         184
        .size:           8
        .value_kind:     hidden_global_offset_x
      - .offset:         192
        .size:           8
        .value_kind:     hidden_global_offset_y
      - .offset:         200
        .size:           8
        .value_kind:     hidden_global_offset_z
      - .offset:         208
        .size:           2
        .value_kind:     hidden_grid_dims
    .group_segment_fixed_size: 17472
    .kernarg_segment_align: 8
    .kernarg_segment_size: 400
    .language:       OpenCL C
    .language_version:
      - 2
      - 0
    .max_flat_workgroup_size: 256
    .name:           _Z39paged_attention_ll4mi_QKV_mfma16_kernelIDF16_hLN4vllm18Fp8KVCacheDataTypeE1EDF16_Li16ELi128ELi256ELb0ELi8EL8MFMAType1EEvPKT_PKT0_S8_ifPKiSA_SA_iPKfiiiPfSD_PS3_PT2_iSC_SC_
    .private_segment_fixed_size: 0
    .sgpr_count:     38
    .sgpr_spill_count: 0
    .symbol:         _Z39paged_attention_ll4mi_QKV_mfma16_kernelIDF16_hLN4vllm18Fp8KVCacheDataTypeE1EDF16_Li16ELi128ELi256ELb0ELi8EL8MFMAType1EEvPKT_PKT0_S8_ifPKiSA_SA_iPKfiiiPfSD_PS3_PT2_iSC_SC_.kd
    .uniform_work_group_size: 1
    .uses_dynamic_stack: false
    .vgpr_count:     140
    .vgpr_spill_count: 0
    .wavefront_size: 32
    .workgroup_processor_mode: 1
  - .args:
      - .actual_access:  read_only
        .address_space:  global
        .offset:         0
        .size:           8
        .value_kind:     global_buffer
      - .actual_access:  read_only
        .address_space:  global
        .offset:         8
        .size:           8
        .value_kind:     global_buffer
      - .actual_access:  read_only
        .address_space:  global
        .offset:         16
        .size:           8
        .value_kind:     global_buffer
      - .offset:         24
        .size:           4
        .value_kind:     by_value
      - .offset:         28
        .size:           4
        .value_kind:     by_value
      - .actual_access:  read_only
        .address_space:  global
        .offset:         32
        .size:           8
        .value_kind:     global_buffer
      - .actual_access:  read_only
        .address_space:  global
        .offset:         40
        .size:           8
        .value_kind:     global_buffer
      - .actual_access:  read_only
        .address_space:  global
        .offset:         48
        .size:           8
        .value_kind:     global_buffer
      - .offset:         56
        .size:           4
        .value_kind:     by_value
      - .actual_access:  read_only
        .address_space:  global
        .offset:         64
        .size:           8
        .value_kind:     global_buffer
      - .offset:         72
        .size:           4
        .value_kind:     by_value
      - .offset:         76
        .size:           4
        .value_kind:     by_value
      - .offset:         80
        .size:           4
        .value_kind:     by_value
      - .actual_access:  write_only
        .address_space:  global
        .offset:         88
        .size:           8
        .value_kind:     global_buffer
      - .actual_access:  write_only
        .address_space:  global
        .offset:         96
        .size:           8
        .value_kind:     global_buffer
      - .actual_access:  write_only
        .address_space:  global
        .offset:         104
        .size:           8
        .value_kind:     global_buffer
      - .actual_access:  read_only
        .address_space:  global
        .offset:         112
        .size:           8
        .value_kind:     global_buffer
      - .offset:         120
        .size:           4
        .value_kind:     by_value
      - .address_space:  global
        .offset:         128
        .size:           8
        .value_kind:     global_buffer
      - .address_space:  global
        .offset:         136
        .size:           8
        .value_kind:     global_buffer
      - .offset:         144
        .size:           4
        .value_kind:     hidden_block_count_x
      - .offset:         148
        .size:           4
        .value_kind:     hidden_block_count_y
      - .offset:         152
        .size:           4
        .value_kind:     hidden_block_count_z
      - .offset:         156
        .size:           2
        .value_kind:     hidden_group_size_x
      - .offset:         158
        .size:           2
        .value_kind:     hidden_group_size_y
      - .offset:         160
        .size:           2
        .value_kind:     hidden_group_size_z
      - .offset:         162
        .size:           2
        .value_kind:     hidden_remainder_x
      - .offset:         164
        .size:           2
        .value_kind:     hidden_remainder_y
      - .offset:         166
        .size:           2
        .value_kind:     hidden_remainder_z
      - .offset:         184
        .size:           8
        .value_kind:     hidden_global_offset_x
      - .offset:         192
        .size:           8
        .value_kind:     hidden_global_offset_y
      - .offset:         200
        .size:           8
        .value_kind:     hidden_global_offset_z
      - .offset:         208
        .size:           2
        .value_kind:     hidden_grid_dims
    .group_segment_fixed_size: 17472
    .kernarg_segment_align: 8
    .kernarg_segment_size: 400
    .language:       OpenCL C
    .language_version:
      - 2
      - 0
    .max_flat_workgroup_size: 256
    .name:           _Z39paged_attention_ll4mi_QKV_mfma16_kernelIDF16_hLN4vllm18Fp8KVCacheDataTypeE1EDF16_Li16ELi128ELi256ELb0ELi9EL8MFMAType1EEvPKT_PKT0_S8_ifPKiSA_SA_iPKfiiiPfSD_PS3_PT2_iSC_SC_
    .private_segment_fixed_size: 0
    .sgpr_count:     38
    .sgpr_spill_count: 0
    .symbol:         _Z39paged_attention_ll4mi_QKV_mfma16_kernelIDF16_hLN4vllm18Fp8KVCacheDataTypeE1EDF16_Li16ELi128ELi256ELb0ELi9EL8MFMAType1EEvPKT_PKT0_S8_ifPKiSA_SA_iPKfiiiPfSD_PS3_PT2_iSC_SC_.kd
    .uniform_work_group_size: 1
    .uses_dynamic_stack: false
    .vgpr_count:     150
    .vgpr_spill_count: 0
    .wavefront_size: 32
    .workgroup_processor_mode: 1
  - .args:
      - .actual_access:  read_only
        .address_space:  global
        .offset:         0
        .size:           8
        .value_kind:     global_buffer
      - .actual_access:  read_only
        .address_space:  global
        .offset:         8
        .size:           8
        .value_kind:     global_buffer
      - .actual_access:  read_only
        .address_space:  global
        .offset:         16
        .size:           8
        .value_kind:     global_buffer
      - .offset:         24
        .size:           4
        .value_kind:     by_value
      - .offset:         28
        .size:           4
        .value_kind:     by_value
      - .actual_access:  read_only
        .address_space:  global
        .offset:         32
        .size:           8
        .value_kind:     global_buffer
      - .actual_access:  read_only
        .address_space:  global
        .offset:         40
        .size:           8
        .value_kind:     global_buffer
      - .actual_access:  read_only
        .address_space:  global
        .offset:         48
        .size:           8
        .value_kind:     global_buffer
      - .offset:         56
        .size:           4
        .value_kind:     by_value
      - .actual_access:  read_only
        .address_space:  global
        .offset:         64
        .size:           8
        .value_kind:     global_buffer
      - .offset:         72
        .size:           4
        .value_kind:     by_value
      - .offset:         76
        .size:           4
        .value_kind:     by_value
      - .offset:         80
        .size:           4
        .value_kind:     by_value
      - .actual_access:  write_only
        .address_space:  global
        .offset:         88
        .size:           8
        .value_kind:     global_buffer
      - .actual_access:  write_only
        .address_space:  global
        .offset:         96
        .size:           8
        .value_kind:     global_buffer
      - .actual_access:  write_only
        .address_space:  global
        .offset:         104
        .size:           8
        .value_kind:     global_buffer
      - .actual_access:  read_only
        .address_space:  global
        .offset:         112
        .size:           8
        .value_kind:     global_buffer
      - .offset:         120
        .size:           4
        .value_kind:     by_value
      - .address_space:  global
        .offset:         128
        .size:           8
        .value_kind:     global_buffer
      - .address_space:  global
        .offset:         136
        .size:           8
        .value_kind:     global_buffer
      - .offset:         144
        .size:           4
        .value_kind:     hidden_block_count_x
      - .offset:         148
        .size:           4
        .value_kind:     hidden_block_count_y
      - .offset:         152
        .size:           4
        .value_kind:     hidden_block_count_z
      - .offset:         156
        .size:           2
        .value_kind:     hidden_group_size_x
      - .offset:         158
        .size:           2
        .value_kind:     hidden_group_size_y
      - .offset:         160
        .size:           2
        .value_kind:     hidden_group_size_z
      - .offset:         162
        .size:           2
        .value_kind:     hidden_remainder_x
      - .offset:         164
        .size:           2
        .value_kind:     hidden_remainder_y
      - .offset:         166
        .size:           2
        .value_kind:     hidden_remainder_z
      - .offset:         184
        .size:           8
        .value_kind:     hidden_global_offset_x
      - .offset:         192
        .size:           8
        .value_kind:     hidden_global_offset_y
      - .offset:         200
        .size:           8
        .value_kind:     hidden_global_offset_z
      - .offset:         208
        .size:           2
        .value_kind:     hidden_grid_dims
    .group_segment_fixed_size: 17472
    .kernarg_segment_align: 8
    .kernarg_segment_size: 400
    .language:       OpenCL C
    .language_version:
      - 2
      - 0
    .max_flat_workgroup_size: 256
    .name:           _Z39paged_attention_ll4mi_QKV_mfma16_kernelIDF16_hLN4vllm18Fp8KVCacheDataTypeE1EDF16_Li16ELi128ELi256ELb0ELi10EL8MFMAType1EEvPKT_PKT0_S8_ifPKiSA_SA_iPKfiiiPfSD_PS3_PT2_iSC_SC_
    .private_segment_fixed_size: 0
    .sgpr_count:     38
    .sgpr_spill_count: 0
    .symbol:         _Z39paged_attention_ll4mi_QKV_mfma16_kernelIDF16_hLN4vllm18Fp8KVCacheDataTypeE1EDF16_Li16ELi128ELi256ELb0ELi10EL8MFMAType1EEvPKT_PKT0_S8_ifPKiSA_SA_iPKfiiiPfSD_PS3_PT2_iSC_SC_.kd
    .uniform_work_group_size: 1
    .uses_dynamic_stack: false
    .vgpr_count:     150
    .vgpr_spill_count: 0
    .wavefront_size: 32
    .workgroup_processor_mode: 1
  - .args:
      - .actual_access:  read_only
        .address_space:  global
        .offset:         0
        .size:           8
        .value_kind:     global_buffer
      - .actual_access:  read_only
        .address_space:  global
        .offset:         8
        .size:           8
        .value_kind:     global_buffer
      - .actual_access:  read_only
        .address_space:  global
        .offset:         16
        .size:           8
        .value_kind:     global_buffer
      - .offset:         24
        .size:           4
        .value_kind:     by_value
      - .offset:         28
        .size:           4
        .value_kind:     by_value
      - .actual_access:  read_only
        .address_space:  global
        .offset:         32
        .size:           8
        .value_kind:     global_buffer
      - .actual_access:  read_only
        .address_space:  global
        .offset:         40
        .size:           8
        .value_kind:     global_buffer
      - .actual_access:  read_only
        .address_space:  global
        .offset:         48
        .size:           8
        .value_kind:     global_buffer
      - .offset:         56
        .size:           4
        .value_kind:     by_value
      - .actual_access:  read_only
        .address_space:  global
        .offset:         64
        .size:           8
        .value_kind:     global_buffer
      - .offset:         72
        .size:           4
        .value_kind:     by_value
      - .offset:         76
        .size:           4
        .value_kind:     by_value
      - .offset:         80
        .size:           4
        .value_kind:     by_value
      - .actual_access:  write_only
        .address_space:  global
        .offset:         88
        .size:           8
        .value_kind:     global_buffer
      - .actual_access:  write_only
        .address_space:  global
        .offset:         96
        .size:           8
        .value_kind:     global_buffer
      - .actual_access:  write_only
        .address_space:  global
        .offset:         104
        .size:           8
        .value_kind:     global_buffer
      - .actual_access:  read_only
        .address_space:  global
        .offset:         112
        .size:           8
        .value_kind:     global_buffer
      - .offset:         120
        .size:           4
        .value_kind:     by_value
      - .address_space:  global
        .offset:         128
        .size:           8
        .value_kind:     global_buffer
      - .address_space:  global
        .offset:         136
        .size:           8
        .value_kind:     global_buffer
      - .offset:         144
        .size:           4
        .value_kind:     hidden_block_count_x
      - .offset:         148
        .size:           4
        .value_kind:     hidden_block_count_y
      - .offset:         152
        .size:           4
        .value_kind:     hidden_block_count_z
      - .offset:         156
        .size:           2
        .value_kind:     hidden_group_size_x
      - .offset:         158
        .size:           2
        .value_kind:     hidden_group_size_y
      - .offset:         160
        .size:           2
        .value_kind:     hidden_group_size_z
      - .offset:         162
        .size:           2
        .value_kind:     hidden_remainder_x
      - .offset:         164
        .size:           2
        .value_kind:     hidden_remainder_y
      - .offset:         166
        .size:           2
        .value_kind:     hidden_remainder_z
      - .offset:         184
        .size:           8
        .value_kind:     hidden_global_offset_x
      - .offset:         192
        .size:           8
        .value_kind:     hidden_global_offset_y
      - .offset:         200
        .size:           8
        .value_kind:     hidden_global_offset_z
      - .offset:         208
        .size:           2
        .value_kind:     hidden_grid_dims
    .group_segment_fixed_size: 17472
    .kernarg_segment_align: 8
    .kernarg_segment_size: 400
    .language:       OpenCL C
    .language_version:
      - 2
      - 0
    .max_flat_workgroup_size: 256
    .name:           _Z39paged_attention_ll4mi_QKV_mfma16_kernelIDF16_hLN4vllm18Fp8KVCacheDataTypeE1EDF16_Li16ELi128ELi256ELb0ELi11EL8MFMAType1EEvPKT_PKT0_S8_ifPKiSA_SA_iPKfiiiPfSD_PS3_PT2_iSC_SC_
    .private_segment_fixed_size: 0
    .sgpr_count:     38
    .sgpr_spill_count: 0
    .symbol:         _Z39paged_attention_ll4mi_QKV_mfma16_kernelIDF16_hLN4vllm18Fp8KVCacheDataTypeE1EDF16_Li16ELi128ELi256ELb0ELi11EL8MFMAType1EEvPKT_PKT0_S8_ifPKiSA_SA_iPKfiiiPfSD_PS3_PT2_iSC_SC_.kd
    .uniform_work_group_size: 1
    .uses_dynamic_stack: false
    .vgpr_count:     150
    .vgpr_spill_count: 0
    .wavefront_size: 32
    .workgroup_processor_mode: 1
  - .args:
      - .actual_access:  read_only
        .address_space:  global
        .offset:         0
        .size:           8
        .value_kind:     global_buffer
      - .actual_access:  read_only
        .address_space:  global
        .offset:         8
        .size:           8
        .value_kind:     global_buffer
      - .actual_access:  read_only
        .address_space:  global
        .offset:         16
        .size:           8
        .value_kind:     global_buffer
      - .offset:         24
        .size:           4
        .value_kind:     by_value
      - .offset:         28
        .size:           4
        .value_kind:     by_value
      - .actual_access:  read_only
        .address_space:  global
        .offset:         32
        .size:           8
        .value_kind:     global_buffer
      - .actual_access:  read_only
        .address_space:  global
        .offset:         40
        .size:           8
        .value_kind:     global_buffer
      - .actual_access:  read_only
        .address_space:  global
        .offset:         48
        .size:           8
        .value_kind:     global_buffer
      - .offset:         56
        .size:           4
        .value_kind:     by_value
      - .actual_access:  read_only
        .address_space:  global
        .offset:         64
        .size:           8
        .value_kind:     global_buffer
      - .offset:         72
        .size:           4
        .value_kind:     by_value
      - .offset:         76
        .size:           4
        .value_kind:     by_value
      - .offset:         80
        .size:           4
        .value_kind:     by_value
      - .actual_access:  write_only
        .address_space:  global
        .offset:         88
        .size:           8
        .value_kind:     global_buffer
      - .actual_access:  write_only
        .address_space:  global
        .offset:         96
        .size:           8
        .value_kind:     global_buffer
      - .actual_access:  write_only
        .address_space:  global
        .offset:         104
        .size:           8
        .value_kind:     global_buffer
      - .actual_access:  read_only
        .address_space:  global
        .offset:         112
        .size:           8
        .value_kind:     global_buffer
      - .offset:         120
        .size:           4
        .value_kind:     by_value
      - .address_space:  global
        .offset:         128
        .size:           8
        .value_kind:     global_buffer
      - .address_space:  global
        .offset:         136
        .size:           8
        .value_kind:     global_buffer
      - .offset:         144
        .size:           4
        .value_kind:     hidden_block_count_x
      - .offset:         148
        .size:           4
        .value_kind:     hidden_block_count_y
      - .offset:         152
        .size:           4
        .value_kind:     hidden_block_count_z
      - .offset:         156
        .size:           2
        .value_kind:     hidden_group_size_x
      - .offset:         158
        .size:           2
        .value_kind:     hidden_group_size_y
      - .offset:         160
        .size:           2
        .value_kind:     hidden_group_size_z
      - .offset:         162
        .size:           2
        .value_kind:     hidden_remainder_x
      - .offset:         164
        .size:           2
        .value_kind:     hidden_remainder_y
      - .offset:         166
        .size:           2
        .value_kind:     hidden_remainder_z
      - .offset:         184
        .size:           8
        .value_kind:     hidden_global_offset_x
      - .offset:         192
        .size:           8
        .value_kind:     hidden_global_offset_y
      - .offset:         200
        .size:           8
        .value_kind:     hidden_global_offset_z
      - .offset:         208
        .size:           2
        .value_kind:     hidden_grid_dims
    .group_segment_fixed_size: 17472
    .kernarg_segment_align: 8
    .kernarg_segment_size: 400
    .language:       OpenCL C
    .language_version:
      - 2
      - 0
    .max_flat_workgroup_size: 256
    .name:           _Z39paged_attention_ll4mi_QKV_mfma16_kernelIDF16_hLN4vllm18Fp8KVCacheDataTypeE1EDF16_Li16ELi128ELi256ELb0ELi12EL8MFMAType1EEvPKT_PKT0_S8_ifPKiSA_SA_iPKfiiiPfSD_PS3_PT2_iSC_SC_
    .private_segment_fixed_size: 0
    .sgpr_count:     38
    .sgpr_spill_count: 0
    .symbol:         _Z39paged_attention_ll4mi_QKV_mfma16_kernelIDF16_hLN4vllm18Fp8KVCacheDataTypeE1EDF16_Li16ELi128ELi256ELb0ELi12EL8MFMAType1EEvPKT_PKT0_S8_ifPKiSA_SA_iPKfiiiPfSD_PS3_PT2_iSC_SC_.kd
    .uniform_work_group_size: 1
    .uses_dynamic_stack: false
    .vgpr_count:     150
    .vgpr_spill_count: 0
    .wavefront_size: 32
    .workgroup_processor_mode: 1
  - .args:
      - .actual_access:  read_only
        .address_space:  global
        .offset:         0
        .size:           8
        .value_kind:     global_buffer
      - .actual_access:  read_only
        .address_space:  global
        .offset:         8
        .size:           8
        .value_kind:     global_buffer
      - .actual_access:  read_only
        .address_space:  global
        .offset:         16
        .size:           8
        .value_kind:     global_buffer
      - .offset:         24
        .size:           4
        .value_kind:     by_value
      - .offset:         28
        .size:           4
        .value_kind:     by_value
      - .actual_access:  read_only
        .address_space:  global
        .offset:         32
        .size:           8
        .value_kind:     global_buffer
      - .actual_access:  read_only
        .address_space:  global
        .offset:         40
        .size:           8
        .value_kind:     global_buffer
      - .actual_access:  read_only
        .address_space:  global
        .offset:         48
        .size:           8
        .value_kind:     global_buffer
      - .offset:         56
        .size:           4
        .value_kind:     by_value
      - .actual_access:  read_only
        .address_space:  global
        .offset:         64
        .size:           8
        .value_kind:     global_buffer
      - .offset:         72
        .size:           4
        .value_kind:     by_value
      - .offset:         76
        .size:           4
        .value_kind:     by_value
      - .offset:         80
        .size:           4
        .value_kind:     by_value
      - .actual_access:  write_only
        .address_space:  global
        .offset:         88
        .size:           8
        .value_kind:     global_buffer
      - .actual_access:  write_only
        .address_space:  global
        .offset:         96
        .size:           8
        .value_kind:     global_buffer
      - .actual_access:  write_only
        .address_space:  global
        .offset:         104
        .size:           8
        .value_kind:     global_buffer
      - .actual_access:  read_only
        .address_space:  global
        .offset:         112
        .size:           8
        .value_kind:     global_buffer
      - .offset:         120
        .size:           4
        .value_kind:     by_value
      - .address_space:  global
        .offset:         128
        .size:           8
        .value_kind:     global_buffer
      - .address_space:  global
        .offset:         136
        .size:           8
        .value_kind:     global_buffer
      - .offset:         144
        .size:           4
        .value_kind:     hidden_block_count_x
      - .offset:         148
        .size:           4
        .value_kind:     hidden_block_count_y
      - .offset:         152
        .size:           4
        .value_kind:     hidden_block_count_z
      - .offset:         156
        .size:           2
        .value_kind:     hidden_group_size_x
      - .offset:         158
        .size:           2
        .value_kind:     hidden_group_size_y
      - .offset:         160
        .size:           2
        .value_kind:     hidden_group_size_z
      - .offset:         162
        .size:           2
        .value_kind:     hidden_remainder_x
      - .offset:         164
        .size:           2
        .value_kind:     hidden_remainder_y
      - .offset:         166
        .size:           2
        .value_kind:     hidden_remainder_z
      - .offset:         184
        .size:           8
        .value_kind:     hidden_global_offset_x
      - .offset:         192
        .size:           8
        .value_kind:     hidden_global_offset_y
      - .offset:         200
        .size:           8
        .value_kind:     hidden_global_offset_z
      - .offset:         208
        .size:           2
        .value_kind:     hidden_grid_dims
    .group_segment_fixed_size: 17472
    .kernarg_segment_align: 8
    .kernarg_segment_size: 400
    .language:       OpenCL C
    .language_version:
      - 2
      - 0
    .max_flat_workgroup_size: 256
    .name:           _Z39paged_attention_ll4mi_QKV_mfma16_kernelIDF16_hLN4vllm18Fp8KVCacheDataTypeE1EDF16_Li16ELi128ELi256ELb0ELi13EL8MFMAType1EEvPKT_PKT0_S8_ifPKiSA_SA_iPKfiiiPfSD_PS3_PT2_iSC_SC_
    .private_segment_fixed_size: 0
    .sgpr_count:     38
    .sgpr_spill_count: 0
    .symbol:         _Z39paged_attention_ll4mi_QKV_mfma16_kernelIDF16_hLN4vllm18Fp8KVCacheDataTypeE1EDF16_Li16ELi128ELi256ELb0ELi13EL8MFMAType1EEvPKT_PKT0_S8_ifPKiSA_SA_iPKfiiiPfSD_PS3_PT2_iSC_SC_.kd
    .uniform_work_group_size: 1
    .uses_dynamic_stack: false
    .vgpr_count:     150
    .vgpr_spill_count: 0
    .wavefront_size: 32
    .workgroup_processor_mode: 1
  - .args:
      - .actual_access:  read_only
        .address_space:  global
        .offset:         0
        .size:           8
        .value_kind:     global_buffer
      - .actual_access:  read_only
        .address_space:  global
        .offset:         8
        .size:           8
        .value_kind:     global_buffer
      - .actual_access:  read_only
        .address_space:  global
        .offset:         16
        .size:           8
        .value_kind:     global_buffer
      - .offset:         24
        .size:           4
        .value_kind:     by_value
      - .offset:         28
        .size:           4
        .value_kind:     by_value
      - .actual_access:  read_only
        .address_space:  global
        .offset:         32
        .size:           8
        .value_kind:     global_buffer
      - .actual_access:  read_only
        .address_space:  global
        .offset:         40
        .size:           8
        .value_kind:     global_buffer
      - .actual_access:  read_only
        .address_space:  global
        .offset:         48
        .size:           8
        .value_kind:     global_buffer
      - .offset:         56
        .size:           4
        .value_kind:     by_value
      - .actual_access:  read_only
        .address_space:  global
        .offset:         64
        .size:           8
        .value_kind:     global_buffer
      - .offset:         72
        .size:           4
        .value_kind:     by_value
      - .offset:         76
        .size:           4
        .value_kind:     by_value
      - .offset:         80
        .size:           4
        .value_kind:     by_value
      - .actual_access:  write_only
        .address_space:  global
        .offset:         88
        .size:           8
        .value_kind:     global_buffer
      - .actual_access:  write_only
        .address_space:  global
        .offset:         96
        .size:           8
        .value_kind:     global_buffer
      - .actual_access:  write_only
        .address_space:  global
        .offset:         104
        .size:           8
        .value_kind:     global_buffer
      - .actual_access:  read_only
        .address_space:  global
        .offset:         112
        .size:           8
        .value_kind:     global_buffer
      - .offset:         120
        .size:           4
        .value_kind:     by_value
      - .address_space:  global
        .offset:         128
        .size:           8
        .value_kind:     global_buffer
      - .address_space:  global
        .offset:         136
        .size:           8
        .value_kind:     global_buffer
      - .offset:         144
        .size:           4
        .value_kind:     hidden_block_count_x
      - .offset:         148
        .size:           4
        .value_kind:     hidden_block_count_y
      - .offset:         152
        .size:           4
        .value_kind:     hidden_block_count_z
      - .offset:         156
        .size:           2
        .value_kind:     hidden_group_size_x
      - .offset:         158
        .size:           2
        .value_kind:     hidden_group_size_y
      - .offset:         160
        .size:           2
        .value_kind:     hidden_group_size_z
      - .offset:         162
        .size:           2
        .value_kind:     hidden_remainder_x
      - .offset:         164
        .size:           2
        .value_kind:     hidden_remainder_y
      - .offset:         166
        .size:           2
        .value_kind:     hidden_remainder_z
      - .offset:         184
        .size:           8
        .value_kind:     hidden_global_offset_x
      - .offset:         192
        .size:           8
        .value_kind:     hidden_global_offset_y
      - .offset:         200
        .size:           8
        .value_kind:     hidden_global_offset_z
      - .offset:         208
        .size:           2
        .value_kind:     hidden_grid_dims
    .group_segment_fixed_size: 17472
    .kernarg_segment_align: 8
    .kernarg_segment_size: 400
    .language:       OpenCL C
    .language_version:
      - 2
      - 0
    .max_flat_workgroup_size: 256
    .name:           _Z39paged_attention_ll4mi_QKV_mfma16_kernelIDF16_hLN4vllm18Fp8KVCacheDataTypeE1EDF16_Li16ELi128ELi256ELb0ELi14EL8MFMAType1EEvPKT_PKT0_S8_ifPKiSA_SA_iPKfiiiPfSD_PS3_PT2_iSC_SC_
    .private_segment_fixed_size: 0
    .sgpr_count:     38
    .sgpr_spill_count: 0
    .symbol:         _Z39paged_attention_ll4mi_QKV_mfma16_kernelIDF16_hLN4vllm18Fp8KVCacheDataTypeE1EDF16_Li16ELi128ELi256ELb0ELi14EL8MFMAType1EEvPKT_PKT0_S8_ifPKiSA_SA_iPKfiiiPfSD_PS3_PT2_iSC_SC_.kd
    .uniform_work_group_size: 1
    .uses_dynamic_stack: false
    .vgpr_count:     150
    .vgpr_spill_count: 0
    .wavefront_size: 32
    .workgroup_processor_mode: 1
  - .args:
      - .actual_access:  read_only
        .address_space:  global
        .offset:         0
        .size:           8
        .value_kind:     global_buffer
      - .actual_access:  read_only
        .address_space:  global
        .offset:         8
        .size:           8
        .value_kind:     global_buffer
      - .actual_access:  read_only
        .address_space:  global
        .offset:         16
        .size:           8
        .value_kind:     global_buffer
      - .offset:         24
        .size:           4
        .value_kind:     by_value
      - .offset:         28
        .size:           4
        .value_kind:     by_value
      - .actual_access:  read_only
        .address_space:  global
        .offset:         32
        .size:           8
        .value_kind:     global_buffer
      - .actual_access:  read_only
        .address_space:  global
        .offset:         40
        .size:           8
        .value_kind:     global_buffer
      - .actual_access:  read_only
        .address_space:  global
        .offset:         48
        .size:           8
        .value_kind:     global_buffer
      - .offset:         56
        .size:           4
        .value_kind:     by_value
      - .actual_access:  read_only
        .address_space:  global
        .offset:         64
        .size:           8
        .value_kind:     global_buffer
      - .offset:         72
        .size:           4
        .value_kind:     by_value
      - .offset:         76
        .size:           4
        .value_kind:     by_value
      - .offset:         80
        .size:           4
        .value_kind:     by_value
      - .actual_access:  write_only
        .address_space:  global
        .offset:         88
        .size:           8
        .value_kind:     global_buffer
      - .actual_access:  write_only
        .address_space:  global
        .offset:         96
        .size:           8
        .value_kind:     global_buffer
      - .actual_access:  write_only
        .address_space:  global
        .offset:         104
        .size:           8
        .value_kind:     global_buffer
      - .actual_access:  read_only
        .address_space:  global
        .offset:         112
        .size:           8
        .value_kind:     global_buffer
      - .offset:         120
        .size:           4
        .value_kind:     by_value
      - .address_space:  global
        .offset:         128
        .size:           8
        .value_kind:     global_buffer
      - .address_space:  global
        .offset:         136
        .size:           8
        .value_kind:     global_buffer
      - .offset:         144
        .size:           4
        .value_kind:     hidden_block_count_x
      - .offset:         148
        .size:           4
        .value_kind:     hidden_block_count_y
      - .offset:         152
        .size:           4
        .value_kind:     hidden_block_count_z
      - .offset:         156
        .size:           2
        .value_kind:     hidden_group_size_x
      - .offset:         158
        .size:           2
        .value_kind:     hidden_group_size_y
      - .offset:         160
        .size:           2
        .value_kind:     hidden_group_size_z
      - .offset:         162
        .size:           2
        .value_kind:     hidden_remainder_x
      - .offset:         164
        .size:           2
        .value_kind:     hidden_remainder_y
      - .offset:         166
        .size:           2
        .value_kind:     hidden_remainder_z
      - .offset:         184
        .size:           8
        .value_kind:     hidden_global_offset_x
      - .offset:         192
        .size:           8
        .value_kind:     hidden_global_offset_y
      - .offset:         200
        .size:           8
        .value_kind:     hidden_global_offset_z
      - .offset:         208
        .size:           2
        .value_kind:     hidden_grid_dims
    .group_segment_fixed_size: 17472
    .kernarg_segment_align: 8
    .kernarg_segment_size: 400
    .language:       OpenCL C
    .language_version:
      - 2
      - 0
    .max_flat_workgroup_size: 256
    .name:           _Z39paged_attention_ll4mi_QKV_mfma16_kernelIDF16_hLN4vllm18Fp8KVCacheDataTypeE1EDF16_Li16ELi128ELi256ELb0ELi15EL8MFMAType1EEvPKT_PKT0_S8_ifPKiSA_SA_iPKfiiiPfSD_PS3_PT2_iSC_SC_
    .private_segment_fixed_size: 0
    .sgpr_count:     38
    .sgpr_spill_count: 0
    .symbol:         _Z39paged_attention_ll4mi_QKV_mfma16_kernelIDF16_hLN4vllm18Fp8KVCacheDataTypeE1EDF16_Li16ELi128ELi256ELb0ELi15EL8MFMAType1EEvPKT_PKT0_S8_ifPKiSA_SA_iPKfiiiPfSD_PS3_PT2_iSC_SC_.kd
    .uniform_work_group_size: 1
    .uses_dynamic_stack: false
    .vgpr_count:     150
    .vgpr_spill_count: 0
    .wavefront_size: 32
    .workgroup_processor_mode: 1
  - .args:
      - .actual_access:  read_only
        .address_space:  global
        .offset:         0
        .size:           8
        .value_kind:     global_buffer
      - .actual_access:  read_only
        .address_space:  global
        .offset:         8
        .size:           8
        .value_kind:     global_buffer
      - .actual_access:  read_only
        .address_space:  global
        .offset:         16
        .size:           8
        .value_kind:     global_buffer
      - .offset:         24
        .size:           4
        .value_kind:     by_value
      - .offset:         28
        .size:           4
        .value_kind:     by_value
      - .actual_access:  read_only
        .address_space:  global
        .offset:         32
        .size:           8
        .value_kind:     global_buffer
      - .actual_access:  read_only
        .address_space:  global
        .offset:         40
        .size:           8
        .value_kind:     global_buffer
      - .actual_access:  read_only
        .address_space:  global
        .offset:         48
        .size:           8
        .value_kind:     global_buffer
      - .offset:         56
        .size:           4
        .value_kind:     by_value
      - .actual_access:  read_only
        .address_space:  global
        .offset:         64
        .size:           8
        .value_kind:     global_buffer
      - .offset:         72
        .size:           4
        .value_kind:     by_value
      - .offset:         76
        .size:           4
        .value_kind:     by_value
      - .offset:         80
        .size:           4
        .value_kind:     by_value
      - .actual_access:  write_only
        .address_space:  global
        .offset:         88
        .size:           8
        .value_kind:     global_buffer
      - .actual_access:  write_only
        .address_space:  global
        .offset:         96
        .size:           8
        .value_kind:     global_buffer
      - .actual_access:  write_only
        .address_space:  global
        .offset:         104
        .size:           8
        .value_kind:     global_buffer
      - .actual_access:  read_only
        .address_space:  global
        .offset:         112
        .size:           8
        .value_kind:     global_buffer
      - .offset:         120
        .size:           4
        .value_kind:     by_value
      - .address_space:  global
        .offset:         128
        .size:           8
        .value_kind:     global_buffer
      - .address_space:  global
        .offset:         136
        .size:           8
        .value_kind:     global_buffer
      - .offset:         144
        .size:           4
        .value_kind:     hidden_block_count_x
      - .offset:         148
        .size:           4
        .value_kind:     hidden_block_count_y
      - .offset:         152
        .size:           4
        .value_kind:     hidden_block_count_z
      - .offset:         156
        .size:           2
        .value_kind:     hidden_group_size_x
      - .offset:         158
        .size:           2
        .value_kind:     hidden_group_size_y
      - .offset:         160
        .size:           2
        .value_kind:     hidden_group_size_z
      - .offset:         162
        .size:           2
        .value_kind:     hidden_remainder_x
      - .offset:         164
        .size:           2
        .value_kind:     hidden_remainder_y
      - .offset:         166
        .size:           2
        .value_kind:     hidden_remainder_z
      - .offset:         184
        .size:           8
        .value_kind:     hidden_global_offset_x
      - .offset:         192
        .size:           8
        .value_kind:     hidden_global_offset_y
      - .offset:         200
        .size:           8
        .value_kind:     hidden_global_offset_z
      - .offset:         208
        .size:           2
        .value_kind:     hidden_grid_dims
    .group_segment_fixed_size: 17472
    .kernarg_segment_align: 8
    .kernarg_segment_size: 400
    .language:       OpenCL C
    .language_version:
      - 2
      - 0
    .max_flat_workgroup_size: 256
    .name:           _Z39paged_attention_ll4mi_QKV_mfma16_kernelIDF16_hLN4vllm18Fp8KVCacheDataTypeE1EDF16_Li16ELi128ELi256ELb0ELi16EL8MFMAType1EEvPKT_PKT0_S8_ifPKiSA_SA_iPKfiiiPfSD_PS3_PT2_iSC_SC_
    .private_segment_fixed_size: 0
    .sgpr_count:     37
    .sgpr_spill_count: 0
    .symbol:         _Z39paged_attention_ll4mi_QKV_mfma16_kernelIDF16_hLN4vllm18Fp8KVCacheDataTypeE1EDF16_Li16ELi128ELi256ELb0ELi16EL8MFMAType1EEvPKT_PKT0_S8_ifPKiSA_SA_iPKfiiiPfSD_PS3_PT2_iSC_SC_.kd
    .uniform_work_group_size: 1
    .uses_dynamic_stack: false
    .vgpr_count:     140
    .vgpr_spill_count: 0
    .wavefront_size: 32
    .workgroup_processor_mode: 1
  - .args:
      - .actual_access:  read_only
        .address_space:  global
        .offset:         0
        .size:           8
        .value_kind:     global_buffer
      - .actual_access:  read_only
        .address_space:  global
        .offset:         8
        .size:           8
        .value_kind:     global_buffer
      - .actual_access:  read_only
        .address_space:  global
        .offset:         16
        .size:           8
        .value_kind:     global_buffer
      - .offset:         24
        .size:           4
        .value_kind:     by_value
      - .offset:         28
        .size:           4
        .value_kind:     by_value
      - .actual_access:  read_only
        .address_space:  global
        .offset:         32
        .size:           8
        .value_kind:     global_buffer
      - .actual_access:  read_only
        .address_space:  global
        .offset:         40
        .size:           8
        .value_kind:     global_buffer
      - .actual_access:  read_only
        .address_space:  global
        .offset:         48
        .size:           8
        .value_kind:     global_buffer
      - .offset:         56
        .size:           4
        .value_kind:     by_value
      - .actual_access:  read_only
        .address_space:  global
        .offset:         64
        .size:           8
        .value_kind:     global_buffer
      - .offset:         72
        .size:           4
        .value_kind:     by_value
      - .offset:         76
        .size:           4
        .value_kind:     by_value
      - .offset:         80
        .size:           4
        .value_kind:     by_value
      - .actual_access:  write_only
        .address_space:  global
        .offset:         88
        .size:           8
        .value_kind:     global_buffer
      - .actual_access:  write_only
        .address_space:  global
        .offset:         96
        .size:           8
        .value_kind:     global_buffer
      - .actual_access:  write_only
        .address_space:  global
        .offset:         104
        .size:           8
        .value_kind:     global_buffer
      - .actual_access:  read_only
        .address_space:  global
        .offset:         112
        .size:           8
        .value_kind:     global_buffer
      - .offset:         120
        .size:           4
        .value_kind:     by_value
      - .address_space:  global
        .offset:         128
        .size:           8
        .value_kind:     global_buffer
      - .address_space:  global
        .offset:         136
        .size:           8
        .value_kind:     global_buffer
      - .offset:         144
        .size:           4
        .value_kind:     hidden_block_count_x
      - .offset:         148
        .size:           4
        .value_kind:     hidden_block_count_y
      - .offset:         152
        .size:           4
        .value_kind:     hidden_block_count_z
      - .offset:         156
        .size:           2
        .value_kind:     hidden_group_size_x
      - .offset:         158
        .size:           2
        .value_kind:     hidden_group_size_y
      - .offset:         160
        .size:           2
        .value_kind:     hidden_group_size_z
      - .offset:         162
        .size:           2
        .value_kind:     hidden_remainder_x
      - .offset:         164
        .size:           2
        .value_kind:     hidden_remainder_y
      - .offset:         166
        .size:           2
        .value_kind:     hidden_remainder_z
      - .offset:         184
        .size:           8
        .value_kind:     hidden_global_offset_x
      - .offset:         192
        .size:           8
        .value_kind:     hidden_global_offset_y
      - .offset:         200
        .size:           8
        .value_kind:     hidden_global_offset_z
      - .offset:         208
        .size:           2
        .value_kind:     hidden_grid_dims
    .group_segment_fixed_size: 17472
    .kernarg_segment_align: 8
    .kernarg_segment_size: 400
    .language:       OpenCL C
    .language_version:
      - 2
      - 0
    .max_flat_workgroup_size: 256
    .name:           _Z39paged_attention_ll4mi_QKV_mfma16_kernelIDF16_hLN4vllm18Fp8KVCacheDataTypeE1EDF16_Li16ELi128ELi256ELb0ELi1EL8MFMAType1EEvPKT_PKT0_S8_ifPKiSA_SA_iPKfiiiPfSD_PS3_PT2_iSC_SC_
    .private_segment_fixed_size: 0
    .sgpr_count:     68
    .sgpr_spill_count: 0
    .symbol:         _Z39paged_attention_ll4mi_QKV_mfma16_kernelIDF16_hLN4vllm18Fp8KVCacheDataTypeE1EDF16_Li16ELi128ELi256ELb0ELi1EL8MFMAType1EEvPKT_PKT0_S8_ifPKiSA_SA_iPKfiiiPfSD_PS3_PT2_iSC_SC_.kd
    .uniform_work_group_size: 1
    .uses_dynamic_stack: false
    .vgpr_count:     134
    .vgpr_spill_count: 0
    .wavefront_size: 32
    .workgroup_processor_mode: 1
  - .args:
      - .actual_access:  read_only
        .address_space:  global
        .offset:         0
        .size:           8
        .value_kind:     global_buffer
      - .actual_access:  read_only
        .address_space:  global
        .offset:         8
        .size:           8
        .value_kind:     global_buffer
      - .actual_access:  read_only
        .address_space:  global
        .offset:         16
        .size:           8
        .value_kind:     global_buffer
      - .offset:         24
        .size:           4
        .value_kind:     by_value
      - .offset:         28
        .size:           4
        .value_kind:     by_value
      - .actual_access:  read_only
        .address_space:  global
        .offset:         32
        .size:           8
        .value_kind:     global_buffer
      - .actual_access:  read_only
        .address_space:  global
        .offset:         40
        .size:           8
        .value_kind:     global_buffer
      - .actual_access:  read_only
        .address_space:  global
        .offset:         48
        .size:           8
        .value_kind:     global_buffer
      - .offset:         56
        .size:           4
        .value_kind:     by_value
      - .actual_access:  read_only
        .address_space:  global
        .offset:         64
        .size:           8
        .value_kind:     global_buffer
      - .offset:         72
        .size:           4
        .value_kind:     by_value
      - .offset:         76
        .size:           4
        .value_kind:     by_value
      - .offset:         80
        .size:           4
        .value_kind:     by_value
      - .actual_access:  write_only
        .address_space:  global
        .offset:         88
        .size:           8
        .value_kind:     global_buffer
      - .actual_access:  write_only
        .address_space:  global
        .offset:         96
        .size:           8
        .value_kind:     global_buffer
      - .actual_access:  write_only
        .address_space:  global
        .offset:         104
        .size:           8
        .value_kind:     global_buffer
      - .actual_access:  read_only
        .address_space:  global
        .offset:         112
        .size:           8
        .value_kind:     global_buffer
      - .offset:         120
        .size:           4
        .value_kind:     by_value
      - .address_space:  global
        .offset:         128
        .size:           8
        .value_kind:     global_buffer
      - .address_space:  global
        .offset:         136
        .size:           8
        .value_kind:     global_buffer
      - .offset:         144
        .size:           4
        .value_kind:     hidden_block_count_x
      - .offset:         148
        .size:           4
        .value_kind:     hidden_block_count_y
      - .offset:         152
        .size:           4
        .value_kind:     hidden_block_count_z
      - .offset:         156
        .size:           2
        .value_kind:     hidden_group_size_x
      - .offset:         158
        .size:           2
        .value_kind:     hidden_group_size_y
      - .offset:         160
        .size:           2
        .value_kind:     hidden_group_size_z
      - .offset:         162
        .size:           2
        .value_kind:     hidden_remainder_x
      - .offset:         164
        .size:           2
        .value_kind:     hidden_remainder_y
      - .offset:         166
        .size:           2
        .value_kind:     hidden_remainder_z
      - .offset:         184
        .size:           8
        .value_kind:     hidden_global_offset_x
      - .offset:         192
        .size:           8
        .value_kind:     hidden_global_offset_y
      - .offset:         200
        .size:           8
        .value_kind:     hidden_global_offset_z
      - .offset:         208
        .size:           2
        .value_kind:     hidden_grid_dims
    .group_segment_fixed_size: 17472
    .kernarg_segment_align: 8
    .kernarg_segment_size: 400
    .language:       OpenCL C
    .language_version:
      - 2
      - 0
    .max_flat_workgroup_size: 256
    .name:           _Z39paged_attention_ll4mi_QKV_mfma16_kernelIDF16_hLN4vllm18Fp8KVCacheDataTypeE1EDF16_Li16ELi128ELi256ELb0ELi2EL8MFMAType1EEvPKT_PKT0_S8_ifPKiSA_SA_iPKfiiiPfSD_PS3_PT2_iSC_SC_
    .private_segment_fixed_size: 0
    .sgpr_count:     39
    .sgpr_spill_count: 0
    .symbol:         _Z39paged_attention_ll4mi_QKV_mfma16_kernelIDF16_hLN4vllm18Fp8KVCacheDataTypeE1EDF16_Li16ELi128ELi256ELb0ELi2EL8MFMAType1EEvPKT_PKT0_S8_ifPKiSA_SA_iPKfiiiPfSD_PS3_PT2_iSC_SC_.kd
    .uniform_work_group_size: 1
    .uses_dynamic_stack: false
    .vgpr_count:     146
    .vgpr_spill_count: 0
    .wavefront_size: 32
    .workgroup_processor_mode: 1
  - .args:
      - .actual_access:  read_only
        .address_space:  global
        .offset:         0
        .size:           8
        .value_kind:     global_buffer
      - .actual_access:  read_only
        .address_space:  global
        .offset:         8
        .size:           8
        .value_kind:     global_buffer
      - .actual_access:  read_only
        .address_space:  global
        .offset:         16
        .size:           8
        .value_kind:     global_buffer
      - .offset:         24
        .size:           4
        .value_kind:     by_value
      - .offset:         28
        .size:           4
        .value_kind:     by_value
      - .actual_access:  read_only
        .address_space:  global
        .offset:         32
        .size:           8
        .value_kind:     global_buffer
      - .actual_access:  read_only
        .address_space:  global
        .offset:         40
        .size:           8
        .value_kind:     global_buffer
      - .actual_access:  read_only
        .address_space:  global
        .offset:         48
        .size:           8
        .value_kind:     global_buffer
      - .offset:         56
        .size:           4
        .value_kind:     by_value
      - .actual_access:  read_only
        .address_space:  global
        .offset:         64
        .size:           8
        .value_kind:     global_buffer
      - .offset:         72
        .size:           4
        .value_kind:     by_value
      - .offset:         76
        .size:           4
        .value_kind:     by_value
      - .offset:         80
        .size:           4
        .value_kind:     by_value
      - .actual_access:  write_only
        .address_space:  global
        .offset:         88
        .size:           8
        .value_kind:     global_buffer
      - .actual_access:  write_only
        .address_space:  global
        .offset:         96
        .size:           8
        .value_kind:     global_buffer
      - .actual_access:  write_only
        .address_space:  global
        .offset:         104
        .size:           8
        .value_kind:     global_buffer
      - .actual_access:  read_only
        .address_space:  global
        .offset:         112
        .size:           8
        .value_kind:     global_buffer
      - .offset:         120
        .size:           4
        .value_kind:     by_value
      - .address_space:  global
        .offset:         128
        .size:           8
        .value_kind:     global_buffer
      - .address_space:  global
        .offset:         136
        .size:           8
        .value_kind:     global_buffer
      - .offset:         144
        .size:           4
        .value_kind:     hidden_block_count_x
      - .offset:         148
        .size:           4
        .value_kind:     hidden_block_count_y
      - .offset:         152
        .size:           4
        .value_kind:     hidden_block_count_z
      - .offset:         156
        .size:           2
        .value_kind:     hidden_group_size_x
      - .offset:         158
        .size:           2
        .value_kind:     hidden_group_size_y
      - .offset:         160
        .size:           2
        .value_kind:     hidden_group_size_z
      - .offset:         162
        .size:           2
        .value_kind:     hidden_remainder_x
      - .offset:         164
        .size:           2
        .value_kind:     hidden_remainder_y
      - .offset:         166
        .size:           2
        .value_kind:     hidden_remainder_z
      - .offset:         184
        .size:           8
        .value_kind:     hidden_global_offset_x
      - .offset:         192
        .size:           8
        .value_kind:     hidden_global_offset_y
      - .offset:         200
        .size:           8
        .value_kind:     hidden_global_offset_z
      - .offset:         208
        .size:           2
        .value_kind:     hidden_grid_dims
    .group_segment_fixed_size: 17472
    .kernarg_segment_align: 8
    .kernarg_segment_size: 400
    .language:       OpenCL C
    .language_version:
      - 2
      - 0
    .max_flat_workgroup_size: 256
    .name:           _Z39paged_attention_ll4mi_QKV_mfma16_kernelIDF16_hLN4vllm18Fp8KVCacheDataTypeE1EDF16_Li16ELi128ELi256ELb0ELi3EL8MFMAType1EEvPKT_PKT0_S8_ifPKiSA_SA_iPKfiiiPfSD_PS3_PT2_iSC_SC_
    .private_segment_fixed_size: 0
    .sgpr_count:     38
    .sgpr_spill_count: 0
    .symbol:         _Z39paged_attention_ll4mi_QKV_mfma16_kernelIDF16_hLN4vllm18Fp8KVCacheDataTypeE1EDF16_Li16ELi128ELi256ELb0ELi3EL8MFMAType1EEvPKT_PKT0_S8_ifPKiSA_SA_iPKfiiiPfSD_PS3_PT2_iSC_SC_.kd
    .uniform_work_group_size: 1
    .uses_dynamic_stack: false
    .vgpr_count:     150
    .vgpr_spill_count: 0
    .wavefront_size: 32
    .workgroup_processor_mode: 1
  - .args:
      - .actual_access:  read_only
        .address_space:  global
        .offset:         0
        .size:           8
        .value_kind:     global_buffer
      - .actual_access:  read_only
        .address_space:  global
        .offset:         8
        .size:           8
        .value_kind:     global_buffer
      - .actual_access:  read_only
        .address_space:  global
        .offset:         16
        .size:           8
        .value_kind:     global_buffer
      - .offset:         24
        .size:           4
        .value_kind:     by_value
      - .offset:         28
        .size:           4
        .value_kind:     by_value
      - .actual_access:  read_only
        .address_space:  global
        .offset:         32
        .size:           8
        .value_kind:     global_buffer
      - .actual_access:  read_only
        .address_space:  global
        .offset:         40
        .size:           8
        .value_kind:     global_buffer
      - .actual_access:  read_only
        .address_space:  global
        .offset:         48
        .size:           8
        .value_kind:     global_buffer
      - .offset:         56
        .size:           4
        .value_kind:     by_value
      - .actual_access:  read_only
        .address_space:  global
        .offset:         64
        .size:           8
        .value_kind:     global_buffer
      - .offset:         72
        .size:           4
        .value_kind:     by_value
      - .offset:         76
        .size:           4
        .value_kind:     by_value
      - .offset:         80
        .size:           4
        .value_kind:     by_value
      - .actual_access:  write_only
        .address_space:  global
        .offset:         88
        .size:           8
        .value_kind:     global_buffer
      - .actual_access:  write_only
        .address_space:  global
        .offset:         96
        .size:           8
        .value_kind:     global_buffer
      - .actual_access:  write_only
        .address_space:  global
        .offset:         104
        .size:           8
        .value_kind:     global_buffer
      - .actual_access:  read_only
        .address_space:  global
        .offset:         112
        .size:           8
        .value_kind:     global_buffer
      - .offset:         120
        .size:           4
        .value_kind:     by_value
      - .address_space:  global
        .offset:         128
        .size:           8
        .value_kind:     global_buffer
      - .address_space:  global
        .offset:         136
        .size:           8
        .value_kind:     global_buffer
      - .offset:         144
        .size:           4
        .value_kind:     hidden_block_count_x
      - .offset:         148
        .size:           4
        .value_kind:     hidden_block_count_y
      - .offset:         152
        .size:           4
        .value_kind:     hidden_block_count_z
      - .offset:         156
        .size:           2
        .value_kind:     hidden_group_size_x
      - .offset:         158
        .size:           2
        .value_kind:     hidden_group_size_y
      - .offset:         160
        .size:           2
        .value_kind:     hidden_group_size_z
      - .offset:         162
        .size:           2
        .value_kind:     hidden_remainder_x
      - .offset:         164
        .size:           2
        .value_kind:     hidden_remainder_y
      - .offset:         166
        .size:           2
        .value_kind:     hidden_remainder_z
      - .offset:         184
        .size:           8
        .value_kind:     hidden_global_offset_x
      - .offset:         192
        .size:           8
        .value_kind:     hidden_global_offset_y
      - .offset:         200
        .size:           8
        .value_kind:     hidden_global_offset_z
      - .offset:         208
        .size:           2
        .value_kind:     hidden_grid_dims
    .group_segment_fixed_size: 17472
    .kernarg_segment_align: 8
    .kernarg_segment_size: 400
    .language:       OpenCL C
    .language_version:
      - 2
      - 0
    .max_flat_workgroup_size: 256
    .name:           _Z39paged_attention_ll4mi_QKV_mfma16_kernelIDF16_hLN4vllm18Fp8KVCacheDataTypeE1EDF16_Li16ELi128ELi256ELb0ELi4EL8MFMAType1EEvPKT_PKT0_S8_ifPKiSA_SA_iPKfiiiPfSD_PS3_PT2_iSC_SC_
    .private_segment_fixed_size: 0
    .sgpr_count:     38
    .sgpr_spill_count: 0
    .symbol:         _Z39paged_attention_ll4mi_QKV_mfma16_kernelIDF16_hLN4vllm18Fp8KVCacheDataTypeE1EDF16_Li16ELi128ELi256ELb0ELi4EL8MFMAType1EEvPKT_PKT0_S8_ifPKiSA_SA_iPKfiiiPfSD_PS3_PT2_iSC_SC_.kd
    .uniform_work_group_size: 1
    .uses_dynamic_stack: false
    .vgpr_count:     140
    .vgpr_spill_count: 0
    .wavefront_size: 32
    .workgroup_processor_mode: 1
  - .args:
      - .actual_access:  read_only
        .address_space:  global
        .offset:         0
        .size:           8
        .value_kind:     global_buffer
      - .actual_access:  read_only
        .address_space:  global
        .offset:         8
        .size:           8
        .value_kind:     global_buffer
      - .actual_access:  read_only
        .address_space:  global
        .offset:         16
        .size:           8
        .value_kind:     global_buffer
      - .offset:         24
        .size:           4
        .value_kind:     by_value
      - .offset:         28
        .size:           4
        .value_kind:     by_value
      - .actual_access:  read_only
        .address_space:  global
        .offset:         32
        .size:           8
        .value_kind:     global_buffer
      - .actual_access:  read_only
        .address_space:  global
        .offset:         40
        .size:           8
        .value_kind:     global_buffer
      - .actual_access:  read_only
        .address_space:  global
        .offset:         48
        .size:           8
        .value_kind:     global_buffer
      - .offset:         56
        .size:           4
        .value_kind:     by_value
      - .actual_access:  read_only
        .address_space:  global
        .offset:         64
        .size:           8
        .value_kind:     global_buffer
      - .offset:         72
        .size:           4
        .value_kind:     by_value
      - .offset:         76
        .size:           4
        .value_kind:     by_value
      - .offset:         80
        .size:           4
        .value_kind:     by_value
      - .actual_access:  read_only
        .address_space:  global
        .offset:         88
        .size:           8
        .value_kind:     global_buffer
      - .actual_access:  read_only
        .address_space:  global
        .offset:         96
        .size:           8
        .value_kind:     global_buffer
      - .actual_access:  read_only
        .address_space:  global
        .offset:         104
        .size:           8
        .value_kind:     global_buffer
      - .actual_access:  read_only
        .address_space:  global
        .offset:         112
        .size:           8
        .value_kind:     global_buffer
      - .offset:         120
        .size:           4
        .value_kind:     by_value
      - .address_space:  global
        .offset:         128
        .size:           8
        .value_kind:     global_buffer
      - .address_space:  global
        .offset:         136
        .size:           8
        .value_kind:     global_buffer
      - .offset:         144
        .size:           4
        .value_kind:     hidden_block_count_x
      - .offset:         148
        .size:           4
        .value_kind:     hidden_block_count_y
      - .offset:         152
        .size:           4
        .value_kind:     hidden_block_count_z
      - .offset:         156
        .size:           2
        .value_kind:     hidden_group_size_x
      - .offset:         158
        .size:           2
        .value_kind:     hidden_group_size_y
      - .offset:         160
        .size:           2
        .value_kind:     hidden_group_size_z
      - .offset:         162
        .size:           2
        .value_kind:     hidden_remainder_x
      - .offset:         164
        .size:           2
        .value_kind:     hidden_remainder_y
      - .offset:         166
        .size:           2
        .value_kind:     hidden_remainder_z
      - .offset:         184
        .size:           8
        .value_kind:     hidden_global_offset_x
      - .offset:         192
        .size:           8
        .value_kind:     hidden_global_offset_y
      - .offset:         200
        .size:           8
        .value_kind:     hidden_global_offset_z
      - .offset:         208
        .size:           2
        .value_kind:     hidden_grid_dims
      - .offset:         224
        .size:           8
        .value_kind:     hidden_hostcall_buffer
    .group_segment_fixed_size: 0
    .kernarg_segment_align: 8
    .kernarg_segment_size: 400
    .language:       OpenCL C
    .language_version:
      - 2
      - 0
    .max_flat_workgroup_size: 256
    .name:           _Z38paged_attention_ll4mi_QKV_mfma4_kernelIDF16_hLN4vllm18Fp8KVCacheDataTypeE1EhLi32ELi128ELi256ELb1ELi1EEvPKT_PKT0_S7_ifPKiS9_S9_iPKfiiiPfSC_PS2_PT2_iSB_SB_
    .private_segment_fixed_size: 64
    .sgpr_count:     36
    .sgpr_spill_count: 0
    .symbol:         _Z38paged_attention_ll4mi_QKV_mfma4_kernelIDF16_hLN4vllm18Fp8KVCacheDataTypeE1EhLi32ELi128ELi256ELb1ELi1EEvPKT_PKT0_S7_ifPKiS9_S9_iPKfiiiPfSC_PS2_PT2_iSB_SB_.kd
    .uniform_work_group_size: 1
    .uses_dynamic_stack: false
    .vgpr_count:     41
    .vgpr_spill_count: 0
    .wavefront_size: 32
    .workgroup_processor_mode: 1
  - .args:
      - .actual_access:  read_only
        .address_space:  global
        .offset:         0
        .size:           8
        .value_kind:     global_buffer
      - .actual_access:  read_only
        .address_space:  global
        .offset:         8
        .size:           8
        .value_kind:     global_buffer
      - .actual_access:  read_only
        .address_space:  global
        .offset:         16
        .size:           8
        .value_kind:     global_buffer
      - .offset:         24
        .size:           4
        .value_kind:     by_value
      - .offset:         28
        .size:           4
        .value_kind:     by_value
      - .actual_access:  read_only
        .address_space:  global
        .offset:         32
        .size:           8
        .value_kind:     global_buffer
      - .actual_access:  read_only
        .address_space:  global
        .offset:         40
        .size:           8
        .value_kind:     global_buffer
      - .actual_access:  read_only
        .address_space:  global
        .offset:         48
        .size:           8
        .value_kind:     global_buffer
      - .offset:         56
        .size:           4
        .value_kind:     by_value
      - .actual_access:  read_only
        .address_space:  global
        .offset:         64
        .size:           8
        .value_kind:     global_buffer
      - .offset:         72
        .size:           4
        .value_kind:     by_value
      - .offset:         76
        .size:           4
        .value_kind:     by_value
      - .offset:         80
        .size:           4
        .value_kind:     by_value
      - .actual_access:  read_only
        .address_space:  global
        .offset:         88
        .size:           8
        .value_kind:     global_buffer
      - .actual_access:  read_only
        .address_space:  global
        .offset:         96
        .size:           8
        .value_kind:     global_buffer
      - .actual_access:  read_only
        .address_space:  global
        .offset:         104
        .size:           8
        .value_kind:     global_buffer
      - .actual_access:  read_only
        .address_space:  global
        .offset:         112
        .size:           8
        .value_kind:     global_buffer
      - .offset:         120
        .size:           4
        .value_kind:     by_value
      - .address_space:  global
        .offset:         128
        .size:           8
        .value_kind:     global_buffer
      - .address_space:  global
        .offset:         136
        .size:           8
        .value_kind:     global_buffer
      - .offset:         144
        .size:           4
        .value_kind:     hidden_block_count_x
      - .offset:         148
        .size:           4
        .value_kind:     hidden_block_count_y
      - .offset:         152
        .size:           4
        .value_kind:     hidden_block_count_z
      - .offset:         156
        .size:           2
        .value_kind:     hidden_group_size_x
      - .offset:         158
        .size:           2
        .value_kind:     hidden_group_size_y
      - .offset:         160
        .size:           2
        .value_kind:     hidden_group_size_z
      - .offset:         162
        .size:           2
        .value_kind:     hidden_remainder_x
      - .offset:         164
        .size:           2
        .value_kind:     hidden_remainder_y
      - .offset:         166
        .size:           2
        .value_kind:     hidden_remainder_z
      - .offset:         184
        .size:           8
        .value_kind:     hidden_global_offset_x
      - .offset:         192
        .size:           8
        .value_kind:     hidden_global_offset_y
      - .offset:         200
        .size:           8
        .value_kind:     hidden_global_offset_z
      - .offset:         208
        .size:           2
        .value_kind:     hidden_grid_dims
      - .offset:         224
        .size:           8
        .value_kind:     hidden_hostcall_buffer
    .group_segment_fixed_size: 0
    .kernarg_segment_align: 8
    .kernarg_segment_size: 400
    .language:       OpenCL C
    .language_version:
      - 2
      - 0
    .max_flat_workgroup_size: 256
    .name:           _Z38paged_attention_ll4mi_QKV_mfma4_kernelIDF16_hLN4vllm18Fp8KVCacheDataTypeE1EhLi32ELi128ELi256ELb1ELi2EEvPKT_PKT0_S7_ifPKiS9_S9_iPKfiiiPfSC_PS2_PT2_iSB_SB_
    .private_segment_fixed_size: 64
    .sgpr_count:     36
    .sgpr_spill_count: 0
    .symbol:         _Z38paged_attention_ll4mi_QKV_mfma4_kernelIDF16_hLN4vllm18Fp8KVCacheDataTypeE1EhLi32ELi128ELi256ELb1ELi2EEvPKT_PKT0_S7_ifPKiS9_S9_iPKfiiiPfSC_PS2_PT2_iSB_SB_.kd
    .uniform_work_group_size: 1
    .uses_dynamic_stack: false
    .vgpr_count:     41
    .vgpr_spill_count: 0
    .wavefront_size: 32
    .workgroup_processor_mode: 1
  - .args:
      - .actual_access:  read_only
        .address_space:  global
        .offset:         0
        .size:           8
        .value_kind:     global_buffer
      - .actual_access:  read_only
        .address_space:  global
        .offset:         8
        .size:           8
        .value_kind:     global_buffer
      - .actual_access:  read_only
        .address_space:  global
        .offset:         16
        .size:           8
        .value_kind:     global_buffer
      - .offset:         24
        .size:           4
        .value_kind:     by_value
      - .offset:         28
        .size:           4
        .value_kind:     by_value
      - .actual_access:  read_only
        .address_space:  global
        .offset:         32
        .size:           8
        .value_kind:     global_buffer
      - .actual_access:  read_only
        .address_space:  global
        .offset:         40
        .size:           8
        .value_kind:     global_buffer
      - .actual_access:  read_only
        .address_space:  global
        .offset:         48
        .size:           8
        .value_kind:     global_buffer
      - .offset:         56
        .size:           4
        .value_kind:     by_value
      - .actual_access:  read_only
        .address_space:  global
        .offset:         64
        .size:           8
        .value_kind:     global_buffer
      - .offset:         72
        .size:           4
        .value_kind:     by_value
      - .offset:         76
        .size:           4
        .value_kind:     by_value
      - .offset:         80
        .size:           4
        .value_kind:     by_value
      - .actual_access:  read_only
        .address_space:  global
        .offset:         88
        .size:           8
        .value_kind:     global_buffer
      - .actual_access:  read_only
        .address_space:  global
        .offset:         96
        .size:           8
        .value_kind:     global_buffer
      - .actual_access:  read_only
        .address_space:  global
        .offset:         104
        .size:           8
        .value_kind:     global_buffer
      - .actual_access:  read_only
        .address_space:  global
        .offset:         112
        .size:           8
        .value_kind:     global_buffer
      - .offset:         120
        .size:           4
        .value_kind:     by_value
      - .address_space:  global
        .offset:         128
        .size:           8
        .value_kind:     global_buffer
      - .address_space:  global
        .offset:         136
        .size:           8
        .value_kind:     global_buffer
      - .offset:         144
        .size:           4
        .value_kind:     hidden_block_count_x
      - .offset:         148
        .size:           4
        .value_kind:     hidden_block_count_y
      - .offset:         152
        .size:           4
        .value_kind:     hidden_block_count_z
      - .offset:         156
        .size:           2
        .value_kind:     hidden_group_size_x
      - .offset:         158
        .size:           2
        .value_kind:     hidden_group_size_y
      - .offset:         160
        .size:           2
        .value_kind:     hidden_group_size_z
      - .offset:         162
        .size:           2
        .value_kind:     hidden_remainder_x
      - .offset:         164
        .size:           2
        .value_kind:     hidden_remainder_y
      - .offset:         166
        .size:           2
        .value_kind:     hidden_remainder_z
      - .offset:         184
        .size:           8
        .value_kind:     hidden_global_offset_x
      - .offset:         192
        .size:           8
        .value_kind:     hidden_global_offset_y
      - .offset:         200
        .size:           8
        .value_kind:     hidden_global_offset_z
      - .offset:         208
        .size:           2
        .value_kind:     hidden_grid_dims
      - .offset:         224
        .size:           8
        .value_kind:     hidden_hostcall_buffer
    .group_segment_fixed_size: 0
    .kernarg_segment_align: 8
    .kernarg_segment_size: 400
    .language:       OpenCL C
    .language_version:
      - 2
      - 0
    .max_flat_workgroup_size: 256
    .name:           _Z38paged_attention_ll4mi_QKV_mfma4_kernelIDF16_hLN4vllm18Fp8KVCacheDataTypeE1EhLi32ELi128ELi256ELb1ELi3EEvPKT_PKT0_S7_ifPKiS9_S9_iPKfiiiPfSC_PS2_PT2_iSB_SB_
    .private_segment_fixed_size: 64
    .sgpr_count:     36
    .sgpr_spill_count: 0
    .symbol:         _Z38paged_attention_ll4mi_QKV_mfma4_kernelIDF16_hLN4vllm18Fp8KVCacheDataTypeE1EhLi32ELi128ELi256ELb1ELi3EEvPKT_PKT0_S7_ifPKiS9_S9_iPKfiiiPfSC_PS2_PT2_iSB_SB_.kd
    .uniform_work_group_size: 1
    .uses_dynamic_stack: false
    .vgpr_count:     41
    .vgpr_spill_count: 0
    .wavefront_size: 32
    .workgroup_processor_mode: 1
  - .args:
      - .actual_access:  read_only
        .address_space:  global
        .offset:         0
        .size:           8
        .value_kind:     global_buffer
      - .actual_access:  read_only
        .address_space:  global
        .offset:         8
        .size:           8
        .value_kind:     global_buffer
      - .actual_access:  read_only
        .address_space:  global
        .offset:         16
        .size:           8
        .value_kind:     global_buffer
      - .offset:         24
        .size:           4
        .value_kind:     by_value
      - .offset:         28
        .size:           4
        .value_kind:     by_value
      - .actual_access:  read_only
        .address_space:  global
        .offset:         32
        .size:           8
        .value_kind:     global_buffer
      - .actual_access:  read_only
        .address_space:  global
        .offset:         40
        .size:           8
        .value_kind:     global_buffer
      - .actual_access:  read_only
        .address_space:  global
        .offset:         48
        .size:           8
        .value_kind:     global_buffer
      - .offset:         56
        .size:           4
        .value_kind:     by_value
      - .actual_access:  read_only
        .address_space:  global
        .offset:         64
        .size:           8
        .value_kind:     global_buffer
      - .offset:         72
        .size:           4
        .value_kind:     by_value
      - .offset:         76
        .size:           4
        .value_kind:     by_value
      - .offset:         80
        .size:           4
        .value_kind:     by_value
      - .actual_access:  read_only
        .address_space:  global
        .offset:         88
        .size:           8
        .value_kind:     global_buffer
      - .actual_access:  read_only
        .address_space:  global
        .offset:         96
        .size:           8
        .value_kind:     global_buffer
      - .actual_access:  read_only
        .address_space:  global
        .offset:         104
        .size:           8
        .value_kind:     global_buffer
      - .actual_access:  read_only
        .address_space:  global
        .offset:         112
        .size:           8
        .value_kind:     global_buffer
      - .offset:         120
        .size:           4
        .value_kind:     by_value
      - .address_space:  global
        .offset:         128
        .size:           8
        .value_kind:     global_buffer
      - .address_space:  global
        .offset:         136
        .size:           8
        .value_kind:     global_buffer
      - .offset:         144
        .size:           4
        .value_kind:     hidden_block_count_x
      - .offset:         148
        .size:           4
        .value_kind:     hidden_block_count_y
      - .offset:         152
        .size:           4
        .value_kind:     hidden_block_count_z
      - .offset:         156
        .size:           2
        .value_kind:     hidden_group_size_x
      - .offset:         158
        .size:           2
        .value_kind:     hidden_group_size_y
      - .offset:         160
        .size:           2
        .value_kind:     hidden_group_size_z
      - .offset:         162
        .size:           2
        .value_kind:     hidden_remainder_x
      - .offset:         164
        .size:           2
        .value_kind:     hidden_remainder_y
      - .offset:         166
        .size:           2
        .value_kind:     hidden_remainder_z
      - .offset:         184
        .size:           8
        .value_kind:     hidden_global_offset_x
      - .offset:         192
        .size:           8
        .value_kind:     hidden_global_offset_y
      - .offset:         200
        .size:           8
        .value_kind:     hidden_global_offset_z
      - .offset:         208
        .size:           2
        .value_kind:     hidden_grid_dims
      - .offset:         224
        .size:           8
        .value_kind:     hidden_hostcall_buffer
    .group_segment_fixed_size: 0
    .kernarg_segment_align: 8
    .kernarg_segment_size: 400
    .language:       OpenCL C
    .language_version:
      - 2
      - 0
    .max_flat_workgroup_size: 256
    .name:           _Z38paged_attention_ll4mi_QKV_mfma4_kernelIDF16_hLN4vllm18Fp8KVCacheDataTypeE1EhLi32ELi128ELi256ELb1ELi4EEvPKT_PKT0_S7_ifPKiS9_S9_iPKfiiiPfSC_PS2_PT2_iSB_SB_
    .private_segment_fixed_size: 64
    .sgpr_count:     36
    .sgpr_spill_count: 0
    .symbol:         _Z38paged_attention_ll4mi_QKV_mfma4_kernelIDF16_hLN4vllm18Fp8KVCacheDataTypeE1EhLi32ELi128ELi256ELb1ELi4EEvPKT_PKT0_S7_ifPKiS9_S9_iPKfiiiPfSC_PS2_PT2_iSB_SB_.kd
    .uniform_work_group_size: 1
    .uses_dynamic_stack: false
    .vgpr_count:     41
    .vgpr_spill_count: 0
    .wavefront_size: 32
    .workgroup_processor_mode: 1
  - .args:
      - .actual_access:  read_only
        .address_space:  global
        .offset:         0
        .size:           8
        .value_kind:     global_buffer
      - .actual_access:  read_only
        .address_space:  global
        .offset:         8
        .size:           8
        .value_kind:     global_buffer
      - .actual_access:  read_only
        .address_space:  global
        .offset:         16
        .size:           8
        .value_kind:     global_buffer
      - .offset:         24
        .size:           4
        .value_kind:     by_value
      - .offset:         28
        .size:           4
        .value_kind:     by_value
      - .actual_access:  read_only
        .address_space:  global
        .offset:         32
        .size:           8
        .value_kind:     global_buffer
      - .actual_access:  read_only
        .address_space:  global
        .offset:         40
        .size:           8
        .value_kind:     global_buffer
      - .actual_access:  read_only
        .address_space:  global
        .offset:         48
        .size:           8
        .value_kind:     global_buffer
      - .offset:         56
        .size:           4
        .value_kind:     by_value
      - .actual_access:  read_only
        .address_space:  global
        .offset:         64
        .size:           8
        .value_kind:     global_buffer
      - .offset:         72
        .size:           4
        .value_kind:     by_value
      - .offset:         76
        .size:           4
        .value_kind:     by_value
      - .offset:         80
        .size:           4
        .value_kind:     by_value
      - .actual_access:  write_only
        .address_space:  global
        .offset:         88
        .size:           8
        .value_kind:     global_buffer
      - .actual_access:  write_only
        .address_space:  global
        .offset:         96
        .size:           8
        .value_kind:     global_buffer
      - .actual_access:  write_only
        .address_space:  global
        .offset:         104
        .size:           8
        .value_kind:     global_buffer
      - .actual_access:  read_only
        .address_space:  global
        .offset:         112
        .size:           8
        .value_kind:     global_buffer
      - .offset:         120
        .size:           4
        .value_kind:     by_value
      - .address_space:  global
        .offset:         128
        .size:           8
        .value_kind:     global_buffer
      - .address_space:  global
        .offset:         136
        .size:           8
        .value_kind:     global_buffer
      - .offset:         144
        .size:           4
        .value_kind:     hidden_block_count_x
      - .offset:         148
        .size:           4
        .value_kind:     hidden_block_count_y
      - .offset:         152
        .size:           4
        .value_kind:     hidden_block_count_z
      - .offset:         156
        .size:           2
        .value_kind:     hidden_group_size_x
      - .offset:         158
        .size:           2
        .value_kind:     hidden_group_size_y
      - .offset:         160
        .size:           2
        .value_kind:     hidden_group_size_z
      - .offset:         162
        .size:           2
        .value_kind:     hidden_remainder_x
      - .offset:         164
        .size:           2
        .value_kind:     hidden_remainder_y
      - .offset:         166
        .size:           2
        .value_kind:     hidden_remainder_z
      - .offset:         184
        .size:           8
        .value_kind:     hidden_global_offset_x
      - .offset:         192
        .size:           8
        .value_kind:     hidden_global_offset_y
      - .offset:         200
        .size:           8
        .value_kind:     hidden_global_offset_z
      - .offset:         208
        .size:           2
        .value_kind:     hidden_grid_dims
    .group_segment_fixed_size: 17472
    .kernarg_segment_align: 8
    .kernarg_segment_size: 400
    .language:       OpenCL C
    .language_version:
      - 2
      - 0
    .max_flat_workgroup_size: 256
    .name:           _Z39paged_attention_ll4mi_QKV_mfma16_kernelIDF16_hLN4vllm18Fp8KVCacheDataTypeE1EhLi32ELi128ELi256ELb1ELi5EL8MFMAType1EEvPKT_PKT0_S8_ifPKiSA_SA_iPKfiiiPfSD_PS3_PT2_iSC_SC_
    .private_segment_fixed_size: 0
    .sgpr_count:     39
    .sgpr_spill_count: 0
    .symbol:         _Z39paged_attention_ll4mi_QKV_mfma16_kernelIDF16_hLN4vllm18Fp8KVCacheDataTypeE1EhLi32ELi128ELi256ELb1ELi5EL8MFMAType1EEvPKT_PKT0_S8_ifPKiSA_SA_iPKfiiiPfSD_PS3_PT2_iSC_SC_.kd
    .uniform_work_group_size: 1
    .uses_dynamic_stack: false
    .vgpr_count:     150
    .vgpr_spill_count: 0
    .wavefront_size: 32
    .workgroup_processor_mode: 1
  - .args:
      - .actual_access:  read_only
        .address_space:  global
        .offset:         0
        .size:           8
        .value_kind:     global_buffer
      - .actual_access:  read_only
        .address_space:  global
        .offset:         8
        .size:           8
        .value_kind:     global_buffer
      - .actual_access:  read_only
        .address_space:  global
        .offset:         16
        .size:           8
        .value_kind:     global_buffer
      - .offset:         24
        .size:           4
        .value_kind:     by_value
      - .offset:         28
        .size:           4
        .value_kind:     by_value
      - .actual_access:  read_only
        .address_space:  global
        .offset:         32
        .size:           8
        .value_kind:     global_buffer
      - .actual_access:  read_only
        .address_space:  global
        .offset:         40
        .size:           8
        .value_kind:     global_buffer
      - .actual_access:  read_only
        .address_space:  global
        .offset:         48
        .size:           8
        .value_kind:     global_buffer
      - .offset:         56
        .size:           4
        .value_kind:     by_value
      - .actual_access:  read_only
        .address_space:  global
        .offset:         64
        .size:           8
        .value_kind:     global_buffer
      - .offset:         72
        .size:           4
        .value_kind:     by_value
      - .offset:         76
        .size:           4
        .value_kind:     by_value
      - .offset:         80
        .size:           4
        .value_kind:     by_value
      - .actual_access:  write_only
        .address_space:  global
        .offset:         88
        .size:           8
        .value_kind:     global_buffer
      - .actual_access:  write_only
        .address_space:  global
        .offset:         96
        .size:           8
        .value_kind:     global_buffer
      - .actual_access:  write_only
        .address_space:  global
        .offset:         104
        .size:           8
        .value_kind:     global_buffer
      - .actual_access:  read_only
        .address_space:  global
        .offset:         112
        .size:           8
        .value_kind:     global_buffer
      - .offset:         120
        .size:           4
        .value_kind:     by_value
      - .address_space:  global
        .offset:         128
        .size:           8
        .value_kind:     global_buffer
      - .address_space:  global
        .offset:         136
        .size:           8
        .value_kind:     global_buffer
      - .offset:         144
        .size:           4
        .value_kind:     hidden_block_count_x
      - .offset:         148
        .size:           4
        .value_kind:     hidden_block_count_y
      - .offset:         152
        .size:           4
        .value_kind:     hidden_block_count_z
      - .offset:         156
        .size:           2
        .value_kind:     hidden_group_size_x
      - .offset:         158
        .size:           2
        .value_kind:     hidden_group_size_y
      - .offset:         160
        .size:           2
        .value_kind:     hidden_group_size_z
      - .offset:         162
        .size:           2
        .value_kind:     hidden_remainder_x
      - .offset:         164
        .size:           2
        .value_kind:     hidden_remainder_y
      - .offset:         166
        .size:           2
        .value_kind:     hidden_remainder_z
      - .offset:         184
        .size:           8
        .value_kind:     hidden_global_offset_x
      - .offset:         192
        .size:           8
        .value_kind:     hidden_global_offset_y
      - .offset:         200
        .size:           8
        .value_kind:     hidden_global_offset_z
      - .offset:         208
        .size:           2
        .value_kind:     hidden_grid_dims
    .group_segment_fixed_size: 17472
    .kernarg_segment_align: 8
    .kernarg_segment_size: 400
    .language:       OpenCL C
    .language_version:
      - 2
      - 0
    .max_flat_workgroup_size: 256
    .name:           _Z39paged_attention_ll4mi_QKV_mfma16_kernelIDF16_hLN4vllm18Fp8KVCacheDataTypeE1EhLi32ELi128ELi256ELb1ELi6EL8MFMAType1EEvPKT_PKT0_S8_ifPKiSA_SA_iPKfiiiPfSD_PS3_PT2_iSC_SC_
    .private_segment_fixed_size: 0
    .sgpr_count:     39
    .sgpr_spill_count: 0
    .symbol:         _Z39paged_attention_ll4mi_QKV_mfma16_kernelIDF16_hLN4vllm18Fp8KVCacheDataTypeE1EhLi32ELi128ELi256ELb1ELi6EL8MFMAType1EEvPKT_PKT0_S8_ifPKiSA_SA_iPKfiiiPfSD_PS3_PT2_iSC_SC_.kd
    .uniform_work_group_size: 1
    .uses_dynamic_stack: false
    .vgpr_count:     150
    .vgpr_spill_count: 0
    .wavefront_size: 32
    .workgroup_processor_mode: 1
  - .args:
      - .actual_access:  read_only
        .address_space:  global
        .offset:         0
        .size:           8
        .value_kind:     global_buffer
      - .actual_access:  read_only
        .address_space:  global
        .offset:         8
        .size:           8
        .value_kind:     global_buffer
      - .actual_access:  read_only
        .address_space:  global
        .offset:         16
        .size:           8
        .value_kind:     global_buffer
      - .offset:         24
        .size:           4
        .value_kind:     by_value
      - .offset:         28
        .size:           4
        .value_kind:     by_value
      - .actual_access:  read_only
        .address_space:  global
        .offset:         32
        .size:           8
        .value_kind:     global_buffer
      - .actual_access:  read_only
        .address_space:  global
        .offset:         40
        .size:           8
        .value_kind:     global_buffer
      - .actual_access:  read_only
        .address_space:  global
        .offset:         48
        .size:           8
        .value_kind:     global_buffer
      - .offset:         56
        .size:           4
        .value_kind:     by_value
      - .actual_access:  read_only
        .address_space:  global
        .offset:         64
        .size:           8
        .value_kind:     global_buffer
      - .offset:         72
        .size:           4
        .value_kind:     by_value
      - .offset:         76
        .size:           4
        .value_kind:     by_value
      - .offset:         80
        .size:           4
        .value_kind:     by_value
      - .actual_access:  write_only
        .address_space:  global
        .offset:         88
        .size:           8
        .value_kind:     global_buffer
      - .actual_access:  write_only
        .address_space:  global
        .offset:         96
        .size:           8
        .value_kind:     global_buffer
      - .actual_access:  write_only
        .address_space:  global
        .offset:         104
        .size:           8
        .value_kind:     global_buffer
      - .actual_access:  read_only
        .address_space:  global
        .offset:         112
        .size:           8
        .value_kind:     global_buffer
      - .offset:         120
        .size:           4
        .value_kind:     by_value
      - .address_space:  global
        .offset:         128
        .size:           8
        .value_kind:     global_buffer
      - .address_space:  global
        .offset:         136
        .size:           8
        .value_kind:     global_buffer
      - .offset:         144
        .size:           4
        .value_kind:     hidden_block_count_x
      - .offset:         148
        .size:           4
        .value_kind:     hidden_block_count_y
      - .offset:         152
        .size:           4
        .value_kind:     hidden_block_count_z
      - .offset:         156
        .size:           2
        .value_kind:     hidden_group_size_x
      - .offset:         158
        .size:           2
        .value_kind:     hidden_group_size_y
      - .offset:         160
        .size:           2
        .value_kind:     hidden_group_size_z
      - .offset:         162
        .size:           2
        .value_kind:     hidden_remainder_x
      - .offset:         164
        .size:           2
        .value_kind:     hidden_remainder_y
      - .offset:         166
        .size:           2
        .value_kind:     hidden_remainder_z
      - .offset:         184
        .size:           8
        .value_kind:     hidden_global_offset_x
      - .offset:         192
        .size:           8
        .value_kind:     hidden_global_offset_y
      - .offset:         200
        .size:           8
        .value_kind:     hidden_global_offset_z
      - .offset:         208
        .size:           2
        .value_kind:     hidden_grid_dims
    .group_segment_fixed_size: 17472
    .kernarg_segment_align: 8
    .kernarg_segment_size: 400
    .language:       OpenCL C
    .language_version:
      - 2
      - 0
    .max_flat_workgroup_size: 256
    .name:           _Z39paged_attention_ll4mi_QKV_mfma16_kernelIDF16_hLN4vllm18Fp8KVCacheDataTypeE1EhLi32ELi128ELi256ELb1ELi7EL8MFMAType1EEvPKT_PKT0_S8_ifPKiSA_SA_iPKfiiiPfSD_PS3_PT2_iSC_SC_
    .private_segment_fixed_size: 0
    .sgpr_count:     39
    .sgpr_spill_count: 0
    .symbol:         _Z39paged_attention_ll4mi_QKV_mfma16_kernelIDF16_hLN4vllm18Fp8KVCacheDataTypeE1EhLi32ELi128ELi256ELb1ELi7EL8MFMAType1EEvPKT_PKT0_S8_ifPKiSA_SA_iPKfiiiPfSD_PS3_PT2_iSC_SC_.kd
    .uniform_work_group_size: 1
    .uses_dynamic_stack: false
    .vgpr_count:     150
    .vgpr_spill_count: 0
    .wavefront_size: 32
    .workgroup_processor_mode: 1
  - .args:
      - .actual_access:  read_only
        .address_space:  global
        .offset:         0
        .size:           8
        .value_kind:     global_buffer
      - .actual_access:  read_only
        .address_space:  global
        .offset:         8
        .size:           8
        .value_kind:     global_buffer
      - .actual_access:  read_only
        .address_space:  global
        .offset:         16
        .size:           8
        .value_kind:     global_buffer
      - .offset:         24
        .size:           4
        .value_kind:     by_value
      - .offset:         28
        .size:           4
        .value_kind:     by_value
      - .actual_access:  read_only
        .address_space:  global
        .offset:         32
        .size:           8
        .value_kind:     global_buffer
      - .actual_access:  read_only
        .address_space:  global
        .offset:         40
        .size:           8
        .value_kind:     global_buffer
      - .actual_access:  read_only
        .address_space:  global
        .offset:         48
        .size:           8
        .value_kind:     global_buffer
      - .offset:         56
        .size:           4
        .value_kind:     by_value
      - .actual_access:  read_only
        .address_space:  global
        .offset:         64
        .size:           8
        .value_kind:     global_buffer
      - .offset:         72
        .size:           4
        .value_kind:     by_value
      - .offset:         76
        .size:           4
        .value_kind:     by_value
      - .offset:         80
        .size:           4
        .value_kind:     by_value
      - .actual_access:  write_only
        .address_space:  global
        .offset:         88
        .size:           8
        .value_kind:     global_buffer
      - .actual_access:  write_only
        .address_space:  global
        .offset:         96
        .size:           8
        .value_kind:     global_buffer
      - .actual_access:  write_only
        .address_space:  global
        .offset:         104
        .size:           8
        .value_kind:     global_buffer
      - .actual_access:  read_only
        .address_space:  global
        .offset:         112
        .size:           8
        .value_kind:     global_buffer
      - .offset:         120
        .size:           4
        .value_kind:     by_value
      - .address_space:  global
        .offset:         128
        .size:           8
        .value_kind:     global_buffer
      - .address_space:  global
        .offset:         136
        .size:           8
        .value_kind:     global_buffer
      - .offset:         144
        .size:           4
        .value_kind:     hidden_block_count_x
      - .offset:         148
        .size:           4
        .value_kind:     hidden_block_count_y
      - .offset:         152
        .size:           4
        .value_kind:     hidden_block_count_z
      - .offset:         156
        .size:           2
        .value_kind:     hidden_group_size_x
      - .offset:         158
        .size:           2
        .value_kind:     hidden_group_size_y
      - .offset:         160
        .size:           2
        .value_kind:     hidden_group_size_z
      - .offset:         162
        .size:           2
        .value_kind:     hidden_remainder_x
      - .offset:         164
        .size:           2
        .value_kind:     hidden_remainder_y
      - .offset:         166
        .size:           2
        .value_kind:     hidden_remainder_z
      - .offset:         184
        .size:           8
        .value_kind:     hidden_global_offset_x
      - .offset:         192
        .size:           8
        .value_kind:     hidden_global_offset_y
      - .offset:         200
        .size:           8
        .value_kind:     hidden_global_offset_z
      - .offset:         208
        .size:           2
        .value_kind:     hidden_grid_dims
    .group_segment_fixed_size: 17472
    .kernarg_segment_align: 8
    .kernarg_segment_size: 400
    .language:       OpenCL C
    .language_version:
      - 2
      - 0
    .max_flat_workgroup_size: 256
    .name:           _Z39paged_attention_ll4mi_QKV_mfma16_kernelIDF16_hLN4vllm18Fp8KVCacheDataTypeE1EhLi32ELi128ELi256ELb1ELi8EL8MFMAType1EEvPKT_PKT0_S8_ifPKiSA_SA_iPKfiiiPfSD_PS3_PT2_iSC_SC_
    .private_segment_fixed_size: 0
    .sgpr_count:     38
    .sgpr_spill_count: 0
    .symbol:         _Z39paged_attention_ll4mi_QKV_mfma16_kernelIDF16_hLN4vllm18Fp8KVCacheDataTypeE1EhLi32ELi128ELi256ELb1ELi8EL8MFMAType1EEvPKT_PKT0_S8_ifPKiSA_SA_iPKfiiiPfSD_PS3_PT2_iSC_SC_.kd
    .uniform_work_group_size: 1
    .uses_dynamic_stack: false
    .vgpr_count:     140
    .vgpr_spill_count: 0
    .wavefront_size: 32
    .workgroup_processor_mode: 1
  - .args:
      - .actual_access:  read_only
        .address_space:  global
        .offset:         0
        .size:           8
        .value_kind:     global_buffer
      - .actual_access:  read_only
        .address_space:  global
        .offset:         8
        .size:           8
        .value_kind:     global_buffer
      - .actual_access:  read_only
        .address_space:  global
        .offset:         16
        .size:           8
        .value_kind:     global_buffer
      - .offset:         24
        .size:           4
        .value_kind:     by_value
      - .offset:         28
        .size:           4
        .value_kind:     by_value
      - .actual_access:  read_only
        .address_space:  global
        .offset:         32
        .size:           8
        .value_kind:     global_buffer
      - .actual_access:  read_only
        .address_space:  global
        .offset:         40
        .size:           8
        .value_kind:     global_buffer
      - .actual_access:  read_only
        .address_space:  global
        .offset:         48
        .size:           8
        .value_kind:     global_buffer
      - .offset:         56
        .size:           4
        .value_kind:     by_value
      - .actual_access:  read_only
        .address_space:  global
        .offset:         64
        .size:           8
        .value_kind:     global_buffer
      - .offset:         72
        .size:           4
        .value_kind:     by_value
      - .offset:         76
        .size:           4
        .value_kind:     by_value
      - .offset:         80
        .size:           4
        .value_kind:     by_value
      - .actual_access:  write_only
        .address_space:  global
        .offset:         88
        .size:           8
        .value_kind:     global_buffer
      - .actual_access:  write_only
        .address_space:  global
        .offset:         96
        .size:           8
        .value_kind:     global_buffer
      - .actual_access:  write_only
        .address_space:  global
        .offset:         104
        .size:           8
        .value_kind:     global_buffer
      - .actual_access:  read_only
        .address_space:  global
        .offset:         112
        .size:           8
        .value_kind:     global_buffer
      - .offset:         120
        .size:           4
        .value_kind:     by_value
      - .address_space:  global
        .offset:         128
        .size:           8
        .value_kind:     global_buffer
      - .address_space:  global
        .offset:         136
        .size:           8
        .value_kind:     global_buffer
      - .offset:         144
        .size:           4
        .value_kind:     hidden_block_count_x
      - .offset:         148
        .size:           4
        .value_kind:     hidden_block_count_y
      - .offset:         152
        .size:           4
        .value_kind:     hidden_block_count_z
      - .offset:         156
        .size:           2
        .value_kind:     hidden_group_size_x
      - .offset:         158
        .size:           2
        .value_kind:     hidden_group_size_y
      - .offset:         160
        .size:           2
        .value_kind:     hidden_group_size_z
      - .offset:         162
        .size:           2
        .value_kind:     hidden_remainder_x
      - .offset:         164
        .size:           2
        .value_kind:     hidden_remainder_y
      - .offset:         166
        .size:           2
        .value_kind:     hidden_remainder_z
      - .offset:         184
        .size:           8
        .value_kind:     hidden_global_offset_x
      - .offset:         192
        .size:           8
        .value_kind:     hidden_global_offset_y
      - .offset:         200
        .size:           8
        .value_kind:     hidden_global_offset_z
      - .offset:         208
        .size:           2
        .value_kind:     hidden_grid_dims
    .group_segment_fixed_size: 17472
    .kernarg_segment_align: 8
    .kernarg_segment_size: 400
    .language:       OpenCL C
    .language_version:
      - 2
      - 0
    .max_flat_workgroup_size: 256
    .name:           _Z39paged_attention_ll4mi_QKV_mfma16_kernelIDF16_hLN4vllm18Fp8KVCacheDataTypeE1EhLi32ELi128ELi256ELb1ELi9EL8MFMAType1EEvPKT_PKT0_S8_ifPKiSA_SA_iPKfiiiPfSD_PS3_PT2_iSC_SC_
    .private_segment_fixed_size: 0
    .sgpr_count:     39
    .sgpr_spill_count: 0
    .symbol:         _Z39paged_attention_ll4mi_QKV_mfma16_kernelIDF16_hLN4vllm18Fp8KVCacheDataTypeE1EhLi32ELi128ELi256ELb1ELi9EL8MFMAType1EEvPKT_PKT0_S8_ifPKiSA_SA_iPKfiiiPfSD_PS3_PT2_iSC_SC_.kd
    .uniform_work_group_size: 1
    .uses_dynamic_stack: false
    .vgpr_count:     150
    .vgpr_spill_count: 0
    .wavefront_size: 32
    .workgroup_processor_mode: 1
  - .args:
      - .actual_access:  read_only
        .address_space:  global
        .offset:         0
        .size:           8
        .value_kind:     global_buffer
      - .actual_access:  read_only
        .address_space:  global
        .offset:         8
        .size:           8
        .value_kind:     global_buffer
      - .actual_access:  read_only
        .address_space:  global
        .offset:         16
        .size:           8
        .value_kind:     global_buffer
      - .offset:         24
        .size:           4
        .value_kind:     by_value
      - .offset:         28
        .size:           4
        .value_kind:     by_value
      - .actual_access:  read_only
        .address_space:  global
        .offset:         32
        .size:           8
        .value_kind:     global_buffer
      - .actual_access:  read_only
        .address_space:  global
        .offset:         40
        .size:           8
        .value_kind:     global_buffer
      - .actual_access:  read_only
        .address_space:  global
        .offset:         48
        .size:           8
        .value_kind:     global_buffer
      - .offset:         56
        .size:           4
        .value_kind:     by_value
      - .actual_access:  read_only
        .address_space:  global
        .offset:         64
        .size:           8
        .value_kind:     global_buffer
      - .offset:         72
        .size:           4
        .value_kind:     by_value
      - .offset:         76
        .size:           4
        .value_kind:     by_value
      - .offset:         80
        .size:           4
        .value_kind:     by_value
      - .actual_access:  write_only
        .address_space:  global
        .offset:         88
        .size:           8
        .value_kind:     global_buffer
      - .actual_access:  write_only
        .address_space:  global
        .offset:         96
        .size:           8
        .value_kind:     global_buffer
      - .actual_access:  write_only
        .address_space:  global
        .offset:         104
        .size:           8
        .value_kind:     global_buffer
      - .actual_access:  read_only
        .address_space:  global
        .offset:         112
        .size:           8
        .value_kind:     global_buffer
      - .offset:         120
        .size:           4
        .value_kind:     by_value
      - .address_space:  global
        .offset:         128
        .size:           8
        .value_kind:     global_buffer
      - .address_space:  global
        .offset:         136
        .size:           8
        .value_kind:     global_buffer
      - .offset:         144
        .size:           4
        .value_kind:     hidden_block_count_x
      - .offset:         148
        .size:           4
        .value_kind:     hidden_block_count_y
      - .offset:         152
        .size:           4
        .value_kind:     hidden_block_count_z
      - .offset:         156
        .size:           2
        .value_kind:     hidden_group_size_x
      - .offset:         158
        .size:           2
        .value_kind:     hidden_group_size_y
      - .offset:         160
        .size:           2
        .value_kind:     hidden_group_size_z
      - .offset:         162
        .size:           2
        .value_kind:     hidden_remainder_x
      - .offset:         164
        .size:           2
        .value_kind:     hidden_remainder_y
      - .offset:         166
        .size:           2
        .value_kind:     hidden_remainder_z
      - .offset:         184
        .size:           8
        .value_kind:     hidden_global_offset_x
      - .offset:         192
        .size:           8
        .value_kind:     hidden_global_offset_y
      - .offset:         200
        .size:           8
        .value_kind:     hidden_global_offset_z
      - .offset:         208
        .size:           2
        .value_kind:     hidden_grid_dims
    .group_segment_fixed_size: 17472
    .kernarg_segment_align: 8
    .kernarg_segment_size: 400
    .language:       OpenCL C
    .language_version:
      - 2
      - 0
    .max_flat_workgroup_size: 256
    .name:           _Z39paged_attention_ll4mi_QKV_mfma16_kernelIDF16_hLN4vllm18Fp8KVCacheDataTypeE1EhLi32ELi128ELi256ELb1ELi10EL8MFMAType1EEvPKT_PKT0_S8_ifPKiSA_SA_iPKfiiiPfSD_PS3_PT2_iSC_SC_
    .private_segment_fixed_size: 0
    .sgpr_count:     39
    .sgpr_spill_count: 0
    .symbol:         _Z39paged_attention_ll4mi_QKV_mfma16_kernelIDF16_hLN4vllm18Fp8KVCacheDataTypeE1EhLi32ELi128ELi256ELb1ELi10EL8MFMAType1EEvPKT_PKT0_S8_ifPKiSA_SA_iPKfiiiPfSD_PS3_PT2_iSC_SC_.kd
    .uniform_work_group_size: 1
    .uses_dynamic_stack: false
    .vgpr_count:     150
    .vgpr_spill_count: 0
    .wavefront_size: 32
    .workgroup_processor_mode: 1
  - .args:
      - .actual_access:  read_only
        .address_space:  global
        .offset:         0
        .size:           8
        .value_kind:     global_buffer
      - .actual_access:  read_only
        .address_space:  global
        .offset:         8
        .size:           8
        .value_kind:     global_buffer
      - .actual_access:  read_only
        .address_space:  global
        .offset:         16
        .size:           8
        .value_kind:     global_buffer
      - .offset:         24
        .size:           4
        .value_kind:     by_value
      - .offset:         28
        .size:           4
        .value_kind:     by_value
      - .actual_access:  read_only
        .address_space:  global
        .offset:         32
        .size:           8
        .value_kind:     global_buffer
      - .actual_access:  read_only
        .address_space:  global
        .offset:         40
        .size:           8
        .value_kind:     global_buffer
      - .actual_access:  read_only
        .address_space:  global
        .offset:         48
        .size:           8
        .value_kind:     global_buffer
      - .offset:         56
        .size:           4
        .value_kind:     by_value
      - .actual_access:  read_only
        .address_space:  global
        .offset:         64
        .size:           8
        .value_kind:     global_buffer
      - .offset:         72
        .size:           4
        .value_kind:     by_value
      - .offset:         76
        .size:           4
        .value_kind:     by_value
      - .offset:         80
        .size:           4
        .value_kind:     by_value
      - .actual_access:  write_only
        .address_space:  global
        .offset:         88
        .size:           8
        .value_kind:     global_buffer
      - .actual_access:  write_only
        .address_space:  global
        .offset:         96
        .size:           8
        .value_kind:     global_buffer
      - .actual_access:  write_only
        .address_space:  global
        .offset:         104
        .size:           8
        .value_kind:     global_buffer
      - .actual_access:  read_only
        .address_space:  global
        .offset:         112
        .size:           8
        .value_kind:     global_buffer
      - .offset:         120
        .size:           4
        .value_kind:     by_value
      - .address_space:  global
        .offset:         128
        .size:           8
        .value_kind:     global_buffer
      - .address_space:  global
        .offset:         136
        .size:           8
        .value_kind:     global_buffer
      - .offset:         144
        .size:           4
        .value_kind:     hidden_block_count_x
      - .offset:         148
        .size:           4
        .value_kind:     hidden_block_count_y
      - .offset:         152
        .size:           4
        .value_kind:     hidden_block_count_z
      - .offset:         156
        .size:           2
        .value_kind:     hidden_group_size_x
      - .offset:         158
        .size:           2
        .value_kind:     hidden_group_size_y
      - .offset:         160
        .size:           2
        .value_kind:     hidden_group_size_z
      - .offset:         162
        .size:           2
        .value_kind:     hidden_remainder_x
      - .offset:         164
        .size:           2
        .value_kind:     hidden_remainder_y
      - .offset:         166
        .size:           2
        .value_kind:     hidden_remainder_z
      - .offset:         184
        .size:           8
        .value_kind:     hidden_global_offset_x
      - .offset:         192
        .size:           8
        .value_kind:     hidden_global_offset_y
      - .offset:         200
        .size:           8
        .value_kind:     hidden_global_offset_z
      - .offset:         208
        .size:           2
        .value_kind:     hidden_grid_dims
    .group_segment_fixed_size: 17472
    .kernarg_segment_align: 8
    .kernarg_segment_size: 400
    .language:       OpenCL C
    .language_version:
      - 2
      - 0
    .max_flat_workgroup_size: 256
    .name:           _Z39paged_attention_ll4mi_QKV_mfma16_kernelIDF16_hLN4vllm18Fp8KVCacheDataTypeE1EhLi32ELi128ELi256ELb1ELi11EL8MFMAType1EEvPKT_PKT0_S8_ifPKiSA_SA_iPKfiiiPfSD_PS3_PT2_iSC_SC_
    .private_segment_fixed_size: 0
    .sgpr_count:     39
    .sgpr_spill_count: 0
    .symbol:         _Z39paged_attention_ll4mi_QKV_mfma16_kernelIDF16_hLN4vllm18Fp8KVCacheDataTypeE1EhLi32ELi128ELi256ELb1ELi11EL8MFMAType1EEvPKT_PKT0_S8_ifPKiSA_SA_iPKfiiiPfSD_PS3_PT2_iSC_SC_.kd
    .uniform_work_group_size: 1
    .uses_dynamic_stack: false
    .vgpr_count:     150
    .vgpr_spill_count: 0
    .wavefront_size: 32
    .workgroup_processor_mode: 1
  - .args:
      - .actual_access:  read_only
        .address_space:  global
        .offset:         0
        .size:           8
        .value_kind:     global_buffer
      - .actual_access:  read_only
        .address_space:  global
        .offset:         8
        .size:           8
        .value_kind:     global_buffer
      - .actual_access:  read_only
        .address_space:  global
        .offset:         16
        .size:           8
        .value_kind:     global_buffer
      - .offset:         24
        .size:           4
        .value_kind:     by_value
      - .offset:         28
        .size:           4
        .value_kind:     by_value
      - .actual_access:  read_only
        .address_space:  global
        .offset:         32
        .size:           8
        .value_kind:     global_buffer
      - .actual_access:  read_only
        .address_space:  global
        .offset:         40
        .size:           8
        .value_kind:     global_buffer
      - .actual_access:  read_only
        .address_space:  global
        .offset:         48
        .size:           8
        .value_kind:     global_buffer
      - .offset:         56
        .size:           4
        .value_kind:     by_value
      - .actual_access:  read_only
        .address_space:  global
        .offset:         64
        .size:           8
        .value_kind:     global_buffer
      - .offset:         72
        .size:           4
        .value_kind:     by_value
      - .offset:         76
        .size:           4
        .value_kind:     by_value
      - .offset:         80
        .size:           4
        .value_kind:     by_value
      - .actual_access:  write_only
        .address_space:  global
        .offset:         88
        .size:           8
        .value_kind:     global_buffer
      - .actual_access:  write_only
        .address_space:  global
        .offset:         96
        .size:           8
        .value_kind:     global_buffer
      - .actual_access:  write_only
        .address_space:  global
        .offset:         104
        .size:           8
        .value_kind:     global_buffer
      - .actual_access:  read_only
        .address_space:  global
        .offset:         112
        .size:           8
        .value_kind:     global_buffer
      - .offset:         120
        .size:           4
        .value_kind:     by_value
      - .address_space:  global
        .offset:         128
        .size:           8
        .value_kind:     global_buffer
      - .address_space:  global
        .offset:         136
        .size:           8
        .value_kind:     global_buffer
      - .offset:         144
        .size:           4
        .value_kind:     hidden_block_count_x
      - .offset:         148
        .size:           4
        .value_kind:     hidden_block_count_y
      - .offset:         152
        .size:           4
        .value_kind:     hidden_block_count_z
      - .offset:         156
        .size:           2
        .value_kind:     hidden_group_size_x
      - .offset:         158
        .size:           2
        .value_kind:     hidden_group_size_y
      - .offset:         160
        .size:           2
        .value_kind:     hidden_group_size_z
      - .offset:         162
        .size:           2
        .value_kind:     hidden_remainder_x
      - .offset:         164
        .size:           2
        .value_kind:     hidden_remainder_y
      - .offset:         166
        .size:           2
        .value_kind:     hidden_remainder_z
      - .offset:         184
        .size:           8
        .value_kind:     hidden_global_offset_x
      - .offset:         192
        .size:           8
        .value_kind:     hidden_global_offset_y
      - .offset:         200
        .size:           8
        .value_kind:     hidden_global_offset_z
      - .offset:         208
        .size:           2
        .value_kind:     hidden_grid_dims
    .group_segment_fixed_size: 17472
    .kernarg_segment_align: 8
    .kernarg_segment_size: 400
    .language:       OpenCL C
    .language_version:
      - 2
      - 0
    .max_flat_workgroup_size: 256
    .name:           _Z39paged_attention_ll4mi_QKV_mfma16_kernelIDF16_hLN4vllm18Fp8KVCacheDataTypeE1EhLi32ELi128ELi256ELb1ELi12EL8MFMAType1EEvPKT_PKT0_S8_ifPKiSA_SA_iPKfiiiPfSD_PS3_PT2_iSC_SC_
    .private_segment_fixed_size: 0
    .sgpr_count:     39
    .sgpr_spill_count: 0
    .symbol:         _Z39paged_attention_ll4mi_QKV_mfma16_kernelIDF16_hLN4vllm18Fp8KVCacheDataTypeE1EhLi32ELi128ELi256ELb1ELi12EL8MFMAType1EEvPKT_PKT0_S8_ifPKiSA_SA_iPKfiiiPfSD_PS3_PT2_iSC_SC_.kd
    .uniform_work_group_size: 1
    .uses_dynamic_stack: false
    .vgpr_count:     150
    .vgpr_spill_count: 0
    .wavefront_size: 32
    .workgroup_processor_mode: 1
  - .args:
      - .actual_access:  read_only
        .address_space:  global
        .offset:         0
        .size:           8
        .value_kind:     global_buffer
      - .actual_access:  read_only
        .address_space:  global
        .offset:         8
        .size:           8
        .value_kind:     global_buffer
      - .actual_access:  read_only
        .address_space:  global
        .offset:         16
        .size:           8
        .value_kind:     global_buffer
      - .offset:         24
        .size:           4
        .value_kind:     by_value
      - .offset:         28
        .size:           4
        .value_kind:     by_value
      - .actual_access:  read_only
        .address_space:  global
        .offset:         32
        .size:           8
        .value_kind:     global_buffer
      - .actual_access:  read_only
        .address_space:  global
        .offset:         40
        .size:           8
        .value_kind:     global_buffer
      - .actual_access:  read_only
        .address_space:  global
        .offset:         48
        .size:           8
        .value_kind:     global_buffer
      - .offset:         56
        .size:           4
        .value_kind:     by_value
      - .actual_access:  read_only
        .address_space:  global
        .offset:         64
        .size:           8
        .value_kind:     global_buffer
      - .offset:         72
        .size:           4
        .value_kind:     by_value
      - .offset:         76
        .size:           4
        .value_kind:     by_value
      - .offset:         80
        .size:           4
        .value_kind:     by_value
      - .actual_access:  write_only
        .address_space:  global
        .offset:         88
        .size:           8
        .value_kind:     global_buffer
      - .actual_access:  write_only
        .address_space:  global
        .offset:         96
        .size:           8
        .value_kind:     global_buffer
      - .actual_access:  write_only
        .address_space:  global
        .offset:         104
        .size:           8
        .value_kind:     global_buffer
      - .actual_access:  read_only
        .address_space:  global
        .offset:         112
        .size:           8
        .value_kind:     global_buffer
      - .offset:         120
        .size:           4
        .value_kind:     by_value
      - .address_space:  global
        .offset:         128
        .size:           8
        .value_kind:     global_buffer
      - .address_space:  global
        .offset:         136
        .size:           8
        .value_kind:     global_buffer
      - .offset:         144
        .size:           4
        .value_kind:     hidden_block_count_x
      - .offset:         148
        .size:           4
        .value_kind:     hidden_block_count_y
      - .offset:         152
        .size:           4
        .value_kind:     hidden_block_count_z
      - .offset:         156
        .size:           2
        .value_kind:     hidden_group_size_x
      - .offset:         158
        .size:           2
        .value_kind:     hidden_group_size_y
      - .offset:         160
        .size:           2
        .value_kind:     hidden_group_size_z
      - .offset:         162
        .size:           2
        .value_kind:     hidden_remainder_x
      - .offset:         164
        .size:           2
        .value_kind:     hidden_remainder_y
      - .offset:         166
        .size:           2
        .value_kind:     hidden_remainder_z
      - .offset:         184
        .size:           8
        .value_kind:     hidden_global_offset_x
      - .offset:         192
        .size:           8
        .value_kind:     hidden_global_offset_y
      - .offset:         200
        .size:           8
        .value_kind:     hidden_global_offset_z
      - .offset:         208
        .size:           2
        .value_kind:     hidden_grid_dims
    .group_segment_fixed_size: 17472
    .kernarg_segment_align: 8
    .kernarg_segment_size: 400
    .language:       OpenCL C
    .language_version:
      - 2
      - 0
    .max_flat_workgroup_size: 256
    .name:           _Z39paged_attention_ll4mi_QKV_mfma16_kernelIDF16_hLN4vllm18Fp8KVCacheDataTypeE1EhLi32ELi128ELi256ELb1ELi13EL8MFMAType1EEvPKT_PKT0_S8_ifPKiSA_SA_iPKfiiiPfSD_PS3_PT2_iSC_SC_
    .private_segment_fixed_size: 0
    .sgpr_count:     39
    .sgpr_spill_count: 0
    .symbol:         _Z39paged_attention_ll4mi_QKV_mfma16_kernelIDF16_hLN4vllm18Fp8KVCacheDataTypeE1EhLi32ELi128ELi256ELb1ELi13EL8MFMAType1EEvPKT_PKT0_S8_ifPKiSA_SA_iPKfiiiPfSD_PS3_PT2_iSC_SC_.kd
    .uniform_work_group_size: 1
    .uses_dynamic_stack: false
    .vgpr_count:     150
    .vgpr_spill_count: 0
    .wavefront_size: 32
    .workgroup_processor_mode: 1
  - .args:
      - .actual_access:  read_only
        .address_space:  global
        .offset:         0
        .size:           8
        .value_kind:     global_buffer
      - .actual_access:  read_only
        .address_space:  global
        .offset:         8
        .size:           8
        .value_kind:     global_buffer
      - .actual_access:  read_only
        .address_space:  global
        .offset:         16
        .size:           8
        .value_kind:     global_buffer
      - .offset:         24
        .size:           4
        .value_kind:     by_value
      - .offset:         28
        .size:           4
        .value_kind:     by_value
      - .actual_access:  read_only
        .address_space:  global
        .offset:         32
        .size:           8
        .value_kind:     global_buffer
      - .actual_access:  read_only
        .address_space:  global
        .offset:         40
        .size:           8
        .value_kind:     global_buffer
      - .actual_access:  read_only
        .address_space:  global
        .offset:         48
        .size:           8
        .value_kind:     global_buffer
      - .offset:         56
        .size:           4
        .value_kind:     by_value
      - .actual_access:  read_only
        .address_space:  global
        .offset:         64
        .size:           8
        .value_kind:     global_buffer
      - .offset:         72
        .size:           4
        .value_kind:     by_value
      - .offset:         76
        .size:           4
        .value_kind:     by_value
      - .offset:         80
        .size:           4
        .value_kind:     by_value
      - .actual_access:  write_only
        .address_space:  global
        .offset:         88
        .size:           8
        .value_kind:     global_buffer
      - .actual_access:  write_only
        .address_space:  global
        .offset:         96
        .size:           8
        .value_kind:     global_buffer
      - .actual_access:  write_only
        .address_space:  global
        .offset:         104
        .size:           8
        .value_kind:     global_buffer
      - .actual_access:  read_only
        .address_space:  global
        .offset:         112
        .size:           8
        .value_kind:     global_buffer
      - .offset:         120
        .size:           4
        .value_kind:     by_value
      - .address_space:  global
        .offset:         128
        .size:           8
        .value_kind:     global_buffer
      - .address_space:  global
        .offset:         136
        .size:           8
        .value_kind:     global_buffer
      - .offset:         144
        .size:           4
        .value_kind:     hidden_block_count_x
      - .offset:         148
        .size:           4
        .value_kind:     hidden_block_count_y
      - .offset:         152
        .size:           4
        .value_kind:     hidden_block_count_z
      - .offset:         156
        .size:           2
        .value_kind:     hidden_group_size_x
      - .offset:         158
        .size:           2
        .value_kind:     hidden_group_size_y
      - .offset:         160
        .size:           2
        .value_kind:     hidden_group_size_z
      - .offset:         162
        .size:           2
        .value_kind:     hidden_remainder_x
      - .offset:         164
        .size:           2
        .value_kind:     hidden_remainder_y
      - .offset:         166
        .size:           2
        .value_kind:     hidden_remainder_z
      - .offset:         184
        .size:           8
        .value_kind:     hidden_global_offset_x
      - .offset:         192
        .size:           8
        .value_kind:     hidden_global_offset_y
      - .offset:         200
        .size:           8
        .value_kind:     hidden_global_offset_z
      - .offset:         208
        .size:           2
        .value_kind:     hidden_grid_dims
    .group_segment_fixed_size: 17472
    .kernarg_segment_align: 8
    .kernarg_segment_size: 400
    .language:       OpenCL C
    .language_version:
      - 2
      - 0
    .max_flat_workgroup_size: 256
    .name:           _Z39paged_attention_ll4mi_QKV_mfma16_kernelIDF16_hLN4vllm18Fp8KVCacheDataTypeE1EhLi32ELi128ELi256ELb1ELi14EL8MFMAType1EEvPKT_PKT0_S8_ifPKiSA_SA_iPKfiiiPfSD_PS3_PT2_iSC_SC_
    .private_segment_fixed_size: 0
    .sgpr_count:     39
    .sgpr_spill_count: 0
    .symbol:         _Z39paged_attention_ll4mi_QKV_mfma16_kernelIDF16_hLN4vllm18Fp8KVCacheDataTypeE1EhLi32ELi128ELi256ELb1ELi14EL8MFMAType1EEvPKT_PKT0_S8_ifPKiSA_SA_iPKfiiiPfSD_PS3_PT2_iSC_SC_.kd
    .uniform_work_group_size: 1
    .uses_dynamic_stack: false
    .vgpr_count:     150
    .vgpr_spill_count: 0
    .wavefront_size: 32
    .workgroup_processor_mode: 1
  - .args:
      - .actual_access:  read_only
        .address_space:  global
        .offset:         0
        .size:           8
        .value_kind:     global_buffer
      - .actual_access:  read_only
        .address_space:  global
        .offset:         8
        .size:           8
        .value_kind:     global_buffer
      - .actual_access:  read_only
        .address_space:  global
        .offset:         16
        .size:           8
        .value_kind:     global_buffer
      - .offset:         24
        .size:           4
        .value_kind:     by_value
      - .offset:         28
        .size:           4
        .value_kind:     by_value
      - .actual_access:  read_only
        .address_space:  global
        .offset:         32
        .size:           8
        .value_kind:     global_buffer
      - .actual_access:  read_only
        .address_space:  global
        .offset:         40
        .size:           8
        .value_kind:     global_buffer
      - .actual_access:  read_only
        .address_space:  global
        .offset:         48
        .size:           8
        .value_kind:     global_buffer
      - .offset:         56
        .size:           4
        .value_kind:     by_value
      - .actual_access:  read_only
        .address_space:  global
        .offset:         64
        .size:           8
        .value_kind:     global_buffer
      - .offset:         72
        .size:           4
        .value_kind:     by_value
      - .offset:         76
        .size:           4
        .value_kind:     by_value
      - .offset:         80
        .size:           4
        .value_kind:     by_value
      - .actual_access:  write_only
        .address_space:  global
        .offset:         88
        .size:           8
        .value_kind:     global_buffer
      - .actual_access:  write_only
        .address_space:  global
        .offset:         96
        .size:           8
        .value_kind:     global_buffer
      - .actual_access:  write_only
        .address_space:  global
        .offset:         104
        .size:           8
        .value_kind:     global_buffer
      - .actual_access:  read_only
        .address_space:  global
        .offset:         112
        .size:           8
        .value_kind:     global_buffer
      - .offset:         120
        .size:           4
        .value_kind:     by_value
      - .address_space:  global
        .offset:         128
        .size:           8
        .value_kind:     global_buffer
      - .address_space:  global
        .offset:         136
        .size:           8
        .value_kind:     global_buffer
      - .offset:         144
        .size:           4
        .value_kind:     hidden_block_count_x
      - .offset:         148
        .size:           4
        .value_kind:     hidden_block_count_y
      - .offset:         152
        .size:           4
        .value_kind:     hidden_block_count_z
      - .offset:         156
        .size:           2
        .value_kind:     hidden_group_size_x
      - .offset:         158
        .size:           2
        .value_kind:     hidden_group_size_y
      - .offset:         160
        .size:           2
        .value_kind:     hidden_group_size_z
      - .offset:         162
        .size:           2
        .value_kind:     hidden_remainder_x
      - .offset:         164
        .size:           2
        .value_kind:     hidden_remainder_y
      - .offset:         166
        .size:           2
        .value_kind:     hidden_remainder_z
      - .offset:         184
        .size:           8
        .value_kind:     hidden_global_offset_x
      - .offset:         192
        .size:           8
        .value_kind:     hidden_global_offset_y
      - .offset:         200
        .size:           8
        .value_kind:     hidden_global_offset_z
      - .offset:         208
        .size:           2
        .value_kind:     hidden_grid_dims
    .group_segment_fixed_size: 17472
    .kernarg_segment_align: 8
    .kernarg_segment_size: 400
    .language:       OpenCL C
    .language_version:
      - 2
      - 0
    .max_flat_workgroup_size: 256
    .name:           _Z39paged_attention_ll4mi_QKV_mfma16_kernelIDF16_hLN4vllm18Fp8KVCacheDataTypeE1EhLi32ELi128ELi256ELb1ELi15EL8MFMAType1EEvPKT_PKT0_S8_ifPKiSA_SA_iPKfiiiPfSD_PS3_PT2_iSC_SC_
    .private_segment_fixed_size: 0
    .sgpr_count:     39
    .sgpr_spill_count: 0
    .symbol:         _Z39paged_attention_ll4mi_QKV_mfma16_kernelIDF16_hLN4vllm18Fp8KVCacheDataTypeE1EhLi32ELi128ELi256ELb1ELi15EL8MFMAType1EEvPKT_PKT0_S8_ifPKiSA_SA_iPKfiiiPfSD_PS3_PT2_iSC_SC_.kd
    .uniform_work_group_size: 1
    .uses_dynamic_stack: false
    .vgpr_count:     150
    .vgpr_spill_count: 0
    .wavefront_size: 32
    .workgroup_processor_mode: 1
  - .args:
      - .actual_access:  read_only
        .address_space:  global
        .offset:         0
        .size:           8
        .value_kind:     global_buffer
      - .actual_access:  read_only
        .address_space:  global
        .offset:         8
        .size:           8
        .value_kind:     global_buffer
      - .actual_access:  read_only
        .address_space:  global
        .offset:         16
        .size:           8
        .value_kind:     global_buffer
      - .offset:         24
        .size:           4
        .value_kind:     by_value
      - .offset:         28
        .size:           4
        .value_kind:     by_value
      - .actual_access:  read_only
        .address_space:  global
        .offset:         32
        .size:           8
        .value_kind:     global_buffer
      - .actual_access:  read_only
        .address_space:  global
        .offset:         40
        .size:           8
        .value_kind:     global_buffer
      - .actual_access:  read_only
        .address_space:  global
        .offset:         48
        .size:           8
        .value_kind:     global_buffer
      - .offset:         56
        .size:           4
        .value_kind:     by_value
      - .actual_access:  read_only
        .address_space:  global
        .offset:         64
        .size:           8
        .value_kind:     global_buffer
      - .offset:         72
        .size:           4
        .value_kind:     by_value
      - .offset:         76
        .size:           4
        .value_kind:     by_value
      - .offset:         80
        .size:           4
        .value_kind:     by_value
      - .actual_access:  write_only
        .address_space:  global
        .offset:         88
        .size:           8
        .value_kind:     global_buffer
      - .actual_access:  write_only
        .address_space:  global
        .offset:         96
        .size:           8
        .value_kind:     global_buffer
      - .actual_access:  write_only
        .address_space:  global
        .offset:         104
        .size:           8
        .value_kind:     global_buffer
      - .actual_access:  read_only
        .address_space:  global
        .offset:         112
        .size:           8
        .value_kind:     global_buffer
      - .offset:         120
        .size:           4
        .value_kind:     by_value
      - .address_space:  global
        .offset:         128
        .size:           8
        .value_kind:     global_buffer
      - .address_space:  global
        .offset:         136
        .size:           8
        .value_kind:     global_buffer
      - .offset:         144
        .size:           4
        .value_kind:     hidden_block_count_x
      - .offset:         148
        .size:           4
        .value_kind:     hidden_block_count_y
      - .offset:         152
        .size:           4
        .value_kind:     hidden_block_count_z
      - .offset:         156
        .size:           2
        .value_kind:     hidden_group_size_x
      - .offset:         158
        .size:           2
        .value_kind:     hidden_group_size_y
      - .offset:         160
        .size:           2
        .value_kind:     hidden_group_size_z
      - .offset:         162
        .size:           2
        .value_kind:     hidden_remainder_x
      - .offset:         164
        .size:           2
        .value_kind:     hidden_remainder_y
      - .offset:         166
        .size:           2
        .value_kind:     hidden_remainder_z
      - .offset:         184
        .size:           8
        .value_kind:     hidden_global_offset_x
      - .offset:         192
        .size:           8
        .value_kind:     hidden_global_offset_y
      - .offset:         200
        .size:           8
        .value_kind:     hidden_global_offset_z
      - .offset:         208
        .size:           2
        .value_kind:     hidden_grid_dims
    .group_segment_fixed_size: 17472
    .kernarg_segment_align: 8
    .kernarg_segment_size: 400
    .language:       OpenCL C
    .language_version:
      - 2
      - 0
    .max_flat_workgroup_size: 256
    .name:           _Z39paged_attention_ll4mi_QKV_mfma16_kernelIDF16_hLN4vllm18Fp8KVCacheDataTypeE1EhLi32ELi128ELi256ELb1ELi16EL8MFMAType1EEvPKT_PKT0_S8_ifPKiSA_SA_iPKfiiiPfSD_PS3_PT2_iSC_SC_
    .private_segment_fixed_size: 0
    .sgpr_count:     39
    .sgpr_spill_count: 0
    .symbol:         _Z39paged_attention_ll4mi_QKV_mfma16_kernelIDF16_hLN4vllm18Fp8KVCacheDataTypeE1EhLi32ELi128ELi256ELb1ELi16EL8MFMAType1EEvPKT_PKT0_S8_ifPKiSA_SA_iPKfiiiPfSD_PS3_PT2_iSC_SC_.kd
    .uniform_work_group_size: 1
    .uses_dynamic_stack: false
    .vgpr_count:     140
    .vgpr_spill_count: 0
    .wavefront_size: 32
    .workgroup_processor_mode: 1
  - .args:
      - .actual_access:  read_only
        .address_space:  global
        .offset:         0
        .size:           8
        .value_kind:     global_buffer
      - .actual_access:  read_only
        .address_space:  global
        .offset:         8
        .size:           8
        .value_kind:     global_buffer
      - .actual_access:  read_only
        .address_space:  global
        .offset:         16
        .size:           8
        .value_kind:     global_buffer
      - .offset:         24
        .size:           4
        .value_kind:     by_value
      - .offset:         28
        .size:           4
        .value_kind:     by_value
      - .actual_access:  read_only
        .address_space:  global
        .offset:         32
        .size:           8
        .value_kind:     global_buffer
      - .actual_access:  read_only
        .address_space:  global
        .offset:         40
        .size:           8
        .value_kind:     global_buffer
      - .actual_access:  read_only
        .address_space:  global
        .offset:         48
        .size:           8
        .value_kind:     global_buffer
      - .offset:         56
        .size:           4
        .value_kind:     by_value
      - .actual_access:  read_only
        .address_space:  global
        .offset:         64
        .size:           8
        .value_kind:     global_buffer
      - .offset:         72
        .size:           4
        .value_kind:     by_value
      - .offset:         76
        .size:           4
        .value_kind:     by_value
      - .offset:         80
        .size:           4
        .value_kind:     by_value
      - .actual_access:  write_only
        .address_space:  global
        .offset:         88
        .size:           8
        .value_kind:     global_buffer
      - .actual_access:  write_only
        .address_space:  global
        .offset:         96
        .size:           8
        .value_kind:     global_buffer
      - .actual_access:  write_only
        .address_space:  global
        .offset:         104
        .size:           8
        .value_kind:     global_buffer
      - .actual_access:  read_only
        .address_space:  global
        .offset:         112
        .size:           8
        .value_kind:     global_buffer
      - .offset:         120
        .size:           4
        .value_kind:     by_value
      - .address_space:  global
        .offset:         128
        .size:           8
        .value_kind:     global_buffer
      - .address_space:  global
        .offset:         136
        .size:           8
        .value_kind:     global_buffer
      - .offset:         144
        .size:           4
        .value_kind:     hidden_block_count_x
      - .offset:         148
        .size:           4
        .value_kind:     hidden_block_count_y
      - .offset:         152
        .size:           4
        .value_kind:     hidden_block_count_z
      - .offset:         156
        .size:           2
        .value_kind:     hidden_group_size_x
      - .offset:         158
        .size:           2
        .value_kind:     hidden_group_size_y
      - .offset:         160
        .size:           2
        .value_kind:     hidden_group_size_z
      - .offset:         162
        .size:           2
        .value_kind:     hidden_remainder_x
      - .offset:         164
        .size:           2
        .value_kind:     hidden_remainder_y
      - .offset:         166
        .size:           2
        .value_kind:     hidden_remainder_z
      - .offset:         184
        .size:           8
        .value_kind:     hidden_global_offset_x
      - .offset:         192
        .size:           8
        .value_kind:     hidden_global_offset_y
      - .offset:         200
        .size:           8
        .value_kind:     hidden_global_offset_z
      - .offset:         208
        .size:           2
        .value_kind:     hidden_grid_dims
    .group_segment_fixed_size: 17472
    .kernarg_segment_align: 8
    .kernarg_segment_size: 400
    .language:       OpenCL C
    .language_version:
      - 2
      - 0
    .max_flat_workgroup_size: 256
    .name:           _Z39paged_attention_ll4mi_QKV_mfma16_kernelIDF16_hLN4vllm18Fp8KVCacheDataTypeE1EhLi32ELi128ELi256ELb1ELi1EL8MFMAType1EEvPKT_PKT0_S8_ifPKiSA_SA_iPKfiiiPfSD_PS3_PT2_iSC_SC_
    .private_segment_fixed_size: 0
    .sgpr_count:     70
    .sgpr_spill_count: 0
    .symbol:         _Z39paged_attention_ll4mi_QKV_mfma16_kernelIDF16_hLN4vllm18Fp8KVCacheDataTypeE1EhLi32ELi128ELi256ELb1ELi1EL8MFMAType1EEvPKT_PKT0_S8_ifPKiSA_SA_iPKfiiiPfSD_PS3_PT2_iSC_SC_.kd
    .uniform_work_group_size: 1
    .uses_dynamic_stack: false
    .vgpr_count:     134
    .vgpr_spill_count: 0
    .wavefront_size: 32
    .workgroup_processor_mode: 1
  - .args:
      - .actual_access:  read_only
        .address_space:  global
        .offset:         0
        .size:           8
        .value_kind:     global_buffer
      - .actual_access:  read_only
        .address_space:  global
        .offset:         8
        .size:           8
        .value_kind:     global_buffer
      - .actual_access:  read_only
        .address_space:  global
        .offset:         16
        .size:           8
        .value_kind:     global_buffer
      - .offset:         24
        .size:           4
        .value_kind:     by_value
      - .offset:         28
        .size:           4
        .value_kind:     by_value
      - .actual_access:  read_only
        .address_space:  global
        .offset:         32
        .size:           8
        .value_kind:     global_buffer
      - .actual_access:  read_only
        .address_space:  global
        .offset:         40
        .size:           8
        .value_kind:     global_buffer
      - .actual_access:  read_only
        .address_space:  global
        .offset:         48
        .size:           8
        .value_kind:     global_buffer
      - .offset:         56
        .size:           4
        .value_kind:     by_value
      - .actual_access:  read_only
        .address_space:  global
        .offset:         64
        .size:           8
        .value_kind:     global_buffer
      - .offset:         72
        .size:           4
        .value_kind:     by_value
      - .offset:         76
        .size:           4
        .value_kind:     by_value
      - .offset:         80
        .size:           4
        .value_kind:     by_value
      - .actual_access:  write_only
        .address_space:  global
        .offset:         88
        .size:           8
        .value_kind:     global_buffer
      - .actual_access:  write_only
        .address_space:  global
        .offset:         96
        .size:           8
        .value_kind:     global_buffer
      - .actual_access:  write_only
        .address_space:  global
        .offset:         104
        .size:           8
        .value_kind:     global_buffer
      - .actual_access:  read_only
        .address_space:  global
        .offset:         112
        .size:           8
        .value_kind:     global_buffer
      - .offset:         120
        .size:           4
        .value_kind:     by_value
      - .address_space:  global
        .offset:         128
        .size:           8
        .value_kind:     global_buffer
      - .address_space:  global
        .offset:         136
        .size:           8
        .value_kind:     global_buffer
      - .offset:         144
        .size:           4
        .value_kind:     hidden_block_count_x
      - .offset:         148
        .size:           4
        .value_kind:     hidden_block_count_y
      - .offset:         152
        .size:           4
        .value_kind:     hidden_block_count_z
      - .offset:         156
        .size:           2
        .value_kind:     hidden_group_size_x
      - .offset:         158
        .size:           2
        .value_kind:     hidden_group_size_y
      - .offset:         160
        .size:           2
        .value_kind:     hidden_group_size_z
      - .offset:         162
        .size:           2
        .value_kind:     hidden_remainder_x
      - .offset:         164
        .size:           2
        .value_kind:     hidden_remainder_y
      - .offset:         166
        .size:           2
        .value_kind:     hidden_remainder_z
      - .offset:         184
        .size:           8
        .value_kind:     hidden_global_offset_x
      - .offset:         192
        .size:           8
        .value_kind:     hidden_global_offset_y
      - .offset:         200
        .size:           8
        .value_kind:     hidden_global_offset_z
      - .offset:         208
        .size:           2
        .value_kind:     hidden_grid_dims
    .group_segment_fixed_size: 17472
    .kernarg_segment_align: 8
    .kernarg_segment_size: 400
    .language:       OpenCL C
    .language_version:
      - 2
      - 0
    .max_flat_workgroup_size: 256
    .name:           _Z39paged_attention_ll4mi_QKV_mfma16_kernelIDF16_hLN4vllm18Fp8KVCacheDataTypeE1EhLi32ELi128ELi256ELb1ELi2EL8MFMAType1EEvPKT_PKT0_S8_ifPKiSA_SA_iPKfiiiPfSD_PS3_PT2_iSC_SC_
    .private_segment_fixed_size: 0
    .sgpr_count:     41
    .sgpr_spill_count: 0
    .symbol:         _Z39paged_attention_ll4mi_QKV_mfma16_kernelIDF16_hLN4vllm18Fp8KVCacheDataTypeE1EhLi32ELi128ELi256ELb1ELi2EL8MFMAType1EEvPKT_PKT0_S8_ifPKiSA_SA_iPKfiiiPfSD_PS3_PT2_iSC_SC_.kd
    .uniform_work_group_size: 1
    .uses_dynamic_stack: false
    .vgpr_count:     146
    .vgpr_spill_count: 0
    .wavefront_size: 32
    .workgroup_processor_mode: 1
  - .args:
      - .actual_access:  read_only
        .address_space:  global
        .offset:         0
        .size:           8
        .value_kind:     global_buffer
      - .actual_access:  read_only
        .address_space:  global
        .offset:         8
        .size:           8
        .value_kind:     global_buffer
      - .actual_access:  read_only
        .address_space:  global
        .offset:         16
        .size:           8
        .value_kind:     global_buffer
      - .offset:         24
        .size:           4
        .value_kind:     by_value
      - .offset:         28
        .size:           4
        .value_kind:     by_value
      - .actual_access:  read_only
        .address_space:  global
        .offset:         32
        .size:           8
        .value_kind:     global_buffer
      - .actual_access:  read_only
        .address_space:  global
        .offset:         40
        .size:           8
        .value_kind:     global_buffer
      - .actual_access:  read_only
        .address_space:  global
        .offset:         48
        .size:           8
        .value_kind:     global_buffer
      - .offset:         56
        .size:           4
        .value_kind:     by_value
      - .actual_access:  read_only
        .address_space:  global
        .offset:         64
        .size:           8
        .value_kind:     global_buffer
      - .offset:         72
        .size:           4
        .value_kind:     by_value
      - .offset:         76
        .size:           4
        .value_kind:     by_value
      - .offset:         80
        .size:           4
        .value_kind:     by_value
      - .actual_access:  write_only
        .address_space:  global
        .offset:         88
        .size:           8
        .value_kind:     global_buffer
      - .actual_access:  write_only
        .address_space:  global
        .offset:         96
        .size:           8
        .value_kind:     global_buffer
      - .actual_access:  write_only
        .address_space:  global
        .offset:         104
        .size:           8
        .value_kind:     global_buffer
      - .actual_access:  read_only
        .address_space:  global
        .offset:         112
        .size:           8
        .value_kind:     global_buffer
      - .offset:         120
        .size:           4
        .value_kind:     by_value
      - .address_space:  global
        .offset:         128
        .size:           8
        .value_kind:     global_buffer
      - .address_space:  global
        .offset:         136
        .size:           8
        .value_kind:     global_buffer
      - .offset:         144
        .size:           4
        .value_kind:     hidden_block_count_x
      - .offset:         148
        .size:           4
        .value_kind:     hidden_block_count_y
      - .offset:         152
        .size:           4
        .value_kind:     hidden_block_count_z
      - .offset:         156
        .size:           2
        .value_kind:     hidden_group_size_x
      - .offset:         158
        .size:           2
        .value_kind:     hidden_group_size_y
      - .offset:         160
        .size:           2
        .value_kind:     hidden_group_size_z
      - .offset:         162
        .size:           2
        .value_kind:     hidden_remainder_x
      - .offset:         164
        .size:           2
        .value_kind:     hidden_remainder_y
      - .offset:         166
        .size:           2
        .value_kind:     hidden_remainder_z
      - .offset:         184
        .size:           8
        .value_kind:     hidden_global_offset_x
      - .offset:         192
        .size:           8
        .value_kind:     hidden_global_offset_y
      - .offset:         200
        .size:           8
        .value_kind:     hidden_global_offset_z
      - .offset:         208
        .size:           2
        .value_kind:     hidden_grid_dims
    .group_segment_fixed_size: 17472
    .kernarg_segment_align: 8
    .kernarg_segment_size: 400
    .language:       OpenCL C
    .language_version:
      - 2
      - 0
    .max_flat_workgroup_size: 256
    .name:           _Z39paged_attention_ll4mi_QKV_mfma16_kernelIDF16_hLN4vllm18Fp8KVCacheDataTypeE1EhLi32ELi128ELi256ELb1ELi3EL8MFMAType1EEvPKT_PKT0_S8_ifPKiSA_SA_iPKfiiiPfSD_PS3_PT2_iSC_SC_
    .private_segment_fixed_size: 0
    .sgpr_count:     39
    .sgpr_spill_count: 0
    .symbol:         _Z39paged_attention_ll4mi_QKV_mfma16_kernelIDF16_hLN4vllm18Fp8KVCacheDataTypeE1EhLi32ELi128ELi256ELb1ELi3EL8MFMAType1EEvPKT_PKT0_S8_ifPKiSA_SA_iPKfiiiPfSD_PS3_PT2_iSC_SC_.kd
    .uniform_work_group_size: 1
    .uses_dynamic_stack: false
    .vgpr_count:     150
    .vgpr_spill_count: 0
    .wavefront_size: 32
    .workgroup_processor_mode: 1
  - .args:
      - .actual_access:  read_only
        .address_space:  global
        .offset:         0
        .size:           8
        .value_kind:     global_buffer
      - .actual_access:  read_only
        .address_space:  global
        .offset:         8
        .size:           8
        .value_kind:     global_buffer
      - .actual_access:  read_only
        .address_space:  global
        .offset:         16
        .size:           8
        .value_kind:     global_buffer
      - .offset:         24
        .size:           4
        .value_kind:     by_value
      - .offset:         28
        .size:           4
        .value_kind:     by_value
      - .actual_access:  read_only
        .address_space:  global
        .offset:         32
        .size:           8
        .value_kind:     global_buffer
      - .actual_access:  read_only
        .address_space:  global
        .offset:         40
        .size:           8
        .value_kind:     global_buffer
      - .actual_access:  read_only
        .address_space:  global
        .offset:         48
        .size:           8
        .value_kind:     global_buffer
      - .offset:         56
        .size:           4
        .value_kind:     by_value
      - .actual_access:  read_only
        .address_space:  global
        .offset:         64
        .size:           8
        .value_kind:     global_buffer
      - .offset:         72
        .size:           4
        .value_kind:     by_value
      - .offset:         76
        .size:           4
        .value_kind:     by_value
      - .offset:         80
        .size:           4
        .value_kind:     by_value
      - .actual_access:  write_only
        .address_space:  global
        .offset:         88
        .size:           8
        .value_kind:     global_buffer
      - .actual_access:  write_only
        .address_space:  global
        .offset:         96
        .size:           8
        .value_kind:     global_buffer
      - .actual_access:  write_only
        .address_space:  global
        .offset:         104
        .size:           8
        .value_kind:     global_buffer
      - .actual_access:  read_only
        .address_space:  global
        .offset:         112
        .size:           8
        .value_kind:     global_buffer
      - .offset:         120
        .size:           4
        .value_kind:     by_value
      - .address_space:  global
        .offset:         128
        .size:           8
        .value_kind:     global_buffer
      - .address_space:  global
        .offset:         136
        .size:           8
        .value_kind:     global_buffer
      - .offset:         144
        .size:           4
        .value_kind:     hidden_block_count_x
      - .offset:         148
        .size:           4
        .value_kind:     hidden_block_count_y
      - .offset:         152
        .size:           4
        .value_kind:     hidden_block_count_z
      - .offset:         156
        .size:           2
        .value_kind:     hidden_group_size_x
      - .offset:         158
        .size:           2
        .value_kind:     hidden_group_size_y
      - .offset:         160
        .size:           2
        .value_kind:     hidden_group_size_z
      - .offset:         162
        .size:           2
        .value_kind:     hidden_remainder_x
      - .offset:         164
        .size:           2
        .value_kind:     hidden_remainder_y
      - .offset:         166
        .size:           2
        .value_kind:     hidden_remainder_z
      - .offset:         184
        .size:           8
        .value_kind:     hidden_global_offset_x
      - .offset:         192
        .size:           8
        .value_kind:     hidden_global_offset_y
      - .offset:         200
        .size:           8
        .value_kind:     hidden_global_offset_z
      - .offset:         208
        .size:           2
        .value_kind:     hidden_grid_dims
    .group_segment_fixed_size: 17472
    .kernarg_segment_align: 8
    .kernarg_segment_size: 400
    .language:       OpenCL C
    .language_version:
      - 2
      - 0
    .max_flat_workgroup_size: 256
    .name:           _Z39paged_attention_ll4mi_QKV_mfma16_kernelIDF16_hLN4vllm18Fp8KVCacheDataTypeE1EhLi32ELi128ELi256ELb1ELi4EL8MFMAType1EEvPKT_PKT0_S8_ifPKiSA_SA_iPKfiiiPfSD_PS3_PT2_iSC_SC_
    .private_segment_fixed_size: 0
    .sgpr_count:     38
    .sgpr_spill_count: 0
    .symbol:         _Z39paged_attention_ll4mi_QKV_mfma16_kernelIDF16_hLN4vllm18Fp8KVCacheDataTypeE1EhLi32ELi128ELi256ELb1ELi4EL8MFMAType1EEvPKT_PKT0_S8_ifPKiSA_SA_iPKfiiiPfSD_PS3_PT2_iSC_SC_.kd
    .uniform_work_group_size: 1
    .uses_dynamic_stack: false
    .vgpr_count:     140
    .vgpr_spill_count: 0
    .wavefront_size: 32
    .workgroup_processor_mode: 1
  - .args:
      - .actual_access:  read_only
        .address_space:  global
        .offset:         0
        .size:           8
        .value_kind:     global_buffer
      - .actual_access:  read_only
        .address_space:  global
        .offset:         8
        .size:           8
        .value_kind:     global_buffer
      - .actual_access:  read_only
        .address_space:  global
        .offset:         16
        .size:           8
        .value_kind:     global_buffer
      - .offset:         24
        .size:           4
        .value_kind:     by_value
      - .offset:         28
        .size:           4
        .value_kind:     by_value
      - .actual_access:  read_only
        .address_space:  global
        .offset:         32
        .size:           8
        .value_kind:     global_buffer
      - .actual_access:  read_only
        .address_space:  global
        .offset:         40
        .size:           8
        .value_kind:     global_buffer
      - .actual_access:  read_only
        .address_space:  global
        .offset:         48
        .size:           8
        .value_kind:     global_buffer
      - .offset:         56
        .size:           4
        .value_kind:     by_value
      - .actual_access:  read_only
        .address_space:  global
        .offset:         64
        .size:           8
        .value_kind:     global_buffer
      - .offset:         72
        .size:           4
        .value_kind:     by_value
      - .offset:         76
        .size:           4
        .value_kind:     by_value
      - .offset:         80
        .size:           4
        .value_kind:     by_value
      - .actual_access:  read_only
        .address_space:  global
        .offset:         88
        .size:           8
        .value_kind:     global_buffer
      - .actual_access:  read_only
        .address_space:  global
        .offset:         96
        .size:           8
        .value_kind:     global_buffer
      - .actual_access:  read_only
        .address_space:  global
        .offset:         104
        .size:           8
        .value_kind:     global_buffer
      - .actual_access:  read_only
        .address_space:  global
        .offset:         112
        .size:           8
        .value_kind:     global_buffer
      - .offset:         120
        .size:           4
        .value_kind:     by_value
      - .address_space:  global
        .offset:         128
        .size:           8
        .value_kind:     global_buffer
      - .address_space:  global
        .offset:         136
        .size:           8
        .value_kind:     global_buffer
      - .offset:         144
        .size:           4
        .value_kind:     hidden_block_count_x
      - .offset:         148
        .size:           4
        .value_kind:     hidden_block_count_y
      - .offset:         152
        .size:           4
        .value_kind:     hidden_block_count_z
      - .offset:         156
        .size:           2
        .value_kind:     hidden_group_size_x
      - .offset:         158
        .size:           2
        .value_kind:     hidden_group_size_y
      - .offset:         160
        .size:           2
        .value_kind:     hidden_group_size_z
      - .offset:         162
        .size:           2
        .value_kind:     hidden_remainder_x
      - .offset:         164
        .size:           2
        .value_kind:     hidden_remainder_y
      - .offset:         166
        .size:           2
        .value_kind:     hidden_remainder_z
      - .offset:         184
        .size:           8
        .value_kind:     hidden_global_offset_x
      - .offset:         192
        .size:           8
        .value_kind:     hidden_global_offset_y
      - .offset:         200
        .size:           8
        .value_kind:     hidden_global_offset_z
      - .offset:         208
        .size:           2
        .value_kind:     hidden_grid_dims
      - .offset:         224
        .size:           8
        .value_kind:     hidden_hostcall_buffer
    .group_segment_fixed_size: 0
    .kernarg_segment_align: 8
    .kernarg_segment_size: 400
    .language:       OpenCL C
    .language_version:
      - 2
      - 0
    .max_flat_workgroup_size: 256
    .name:           _Z38paged_attention_ll4mi_QKV_mfma4_kernelIDF16_hLN4vllm18Fp8KVCacheDataTypeE1EhLi32ELi128ELi256ELb0ELi1EEvPKT_PKT0_S7_ifPKiS9_S9_iPKfiiiPfSC_PS2_PT2_iSB_SB_
    .private_segment_fixed_size: 64
    .sgpr_count:     36
    .sgpr_spill_count: 0
    .symbol:         _Z38paged_attention_ll4mi_QKV_mfma4_kernelIDF16_hLN4vllm18Fp8KVCacheDataTypeE1EhLi32ELi128ELi256ELb0ELi1EEvPKT_PKT0_S7_ifPKiS9_S9_iPKfiiiPfSC_PS2_PT2_iSB_SB_.kd
    .uniform_work_group_size: 1
    .uses_dynamic_stack: false
    .vgpr_count:     41
    .vgpr_spill_count: 0
    .wavefront_size: 32
    .workgroup_processor_mode: 1
  - .args:
      - .actual_access:  read_only
        .address_space:  global
        .offset:         0
        .size:           8
        .value_kind:     global_buffer
      - .actual_access:  read_only
        .address_space:  global
        .offset:         8
        .size:           8
        .value_kind:     global_buffer
      - .actual_access:  read_only
        .address_space:  global
        .offset:         16
        .size:           8
        .value_kind:     global_buffer
      - .offset:         24
        .size:           4
        .value_kind:     by_value
      - .offset:         28
        .size:           4
        .value_kind:     by_value
      - .actual_access:  read_only
        .address_space:  global
        .offset:         32
        .size:           8
        .value_kind:     global_buffer
      - .actual_access:  read_only
        .address_space:  global
        .offset:         40
        .size:           8
        .value_kind:     global_buffer
      - .actual_access:  read_only
        .address_space:  global
        .offset:         48
        .size:           8
        .value_kind:     global_buffer
      - .offset:         56
        .size:           4
        .value_kind:     by_value
      - .actual_access:  read_only
        .address_space:  global
        .offset:         64
        .size:           8
        .value_kind:     global_buffer
      - .offset:         72
        .size:           4
        .value_kind:     by_value
      - .offset:         76
        .size:           4
        .value_kind:     by_value
      - .offset:         80
        .size:           4
        .value_kind:     by_value
      - .actual_access:  read_only
        .address_space:  global
        .offset:         88
        .size:           8
        .value_kind:     global_buffer
      - .actual_access:  read_only
        .address_space:  global
        .offset:         96
        .size:           8
        .value_kind:     global_buffer
      - .actual_access:  read_only
        .address_space:  global
        .offset:         104
        .size:           8
        .value_kind:     global_buffer
      - .actual_access:  read_only
        .address_space:  global
        .offset:         112
        .size:           8
        .value_kind:     global_buffer
      - .offset:         120
        .size:           4
        .value_kind:     by_value
      - .address_space:  global
        .offset:         128
        .size:           8
        .value_kind:     global_buffer
      - .address_space:  global
        .offset:         136
        .size:           8
        .value_kind:     global_buffer
      - .offset:         144
        .size:           4
        .value_kind:     hidden_block_count_x
      - .offset:         148
        .size:           4
        .value_kind:     hidden_block_count_y
      - .offset:         152
        .size:           4
        .value_kind:     hidden_block_count_z
      - .offset:         156
        .size:           2
        .value_kind:     hidden_group_size_x
      - .offset:         158
        .size:           2
        .value_kind:     hidden_group_size_y
      - .offset:         160
        .size:           2
        .value_kind:     hidden_group_size_z
      - .offset:         162
        .size:           2
        .value_kind:     hidden_remainder_x
      - .offset:         164
        .size:           2
        .value_kind:     hidden_remainder_y
      - .offset:         166
        .size:           2
        .value_kind:     hidden_remainder_z
      - .offset:         184
        .size:           8
        .value_kind:     hidden_global_offset_x
      - .offset:         192
        .size:           8
        .value_kind:     hidden_global_offset_y
      - .offset:         200
        .size:           8
        .value_kind:     hidden_global_offset_z
      - .offset:         208
        .size:           2
        .value_kind:     hidden_grid_dims
      - .offset:         224
        .size:           8
        .value_kind:     hidden_hostcall_buffer
    .group_segment_fixed_size: 0
    .kernarg_segment_align: 8
    .kernarg_segment_size: 400
    .language:       OpenCL C
    .language_version:
      - 2
      - 0
    .max_flat_workgroup_size: 256
    .name:           _Z38paged_attention_ll4mi_QKV_mfma4_kernelIDF16_hLN4vllm18Fp8KVCacheDataTypeE1EhLi32ELi128ELi256ELb0ELi2EEvPKT_PKT0_S7_ifPKiS9_S9_iPKfiiiPfSC_PS2_PT2_iSB_SB_
    .private_segment_fixed_size: 64
    .sgpr_count:     36
    .sgpr_spill_count: 0
    .symbol:         _Z38paged_attention_ll4mi_QKV_mfma4_kernelIDF16_hLN4vllm18Fp8KVCacheDataTypeE1EhLi32ELi128ELi256ELb0ELi2EEvPKT_PKT0_S7_ifPKiS9_S9_iPKfiiiPfSC_PS2_PT2_iSB_SB_.kd
    .uniform_work_group_size: 1
    .uses_dynamic_stack: false
    .vgpr_count:     41
    .vgpr_spill_count: 0
    .wavefront_size: 32
    .workgroup_processor_mode: 1
  - .args:
      - .actual_access:  read_only
        .address_space:  global
        .offset:         0
        .size:           8
        .value_kind:     global_buffer
      - .actual_access:  read_only
        .address_space:  global
        .offset:         8
        .size:           8
        .value_kind:     global_buffer
      - .actual_access:  read_only
        .address_space:  global
        .offset:         16
        .size:           8
        .value_kind:     global_buffer
      - .offset:         24
        .size:           4
        .value_kind:     by_value
      - .offset:         28
        .size:           4
        .value_kind:     by_value
      - .actual_access:  read_only
        .address_space:  global
        .offset:         32
        .size:           8
        .value_kind:     global_buffer
      - .actual_access:  read_only
        .address_space:  global
        .offset:         40
        .size:           8
        .value_kind:     global_buffer
      - .actual_access:  read_only
        .address_space:  global
        .offset:         48
        .size:           8
        .value_kind:     global_buffer
      - .offset:         56
        .size:           4
        .value_kind:     by_value
      - .actual_access:  read_only
        .address_space:  global
        .offset:         64
        .size:           8
        .value_kind:     global_buffer
      - .offset:         72
        .size:           4
        .value_kind:     by_value
      - .offset:         76
        .size:           4
        .value_kind:     by_value
      - .offset:         80
        .size:           4
        .value_kind:     by_value
      - .actual_access:  read_only
        .address_space:  global
        .offset:         88
        .size:           8
        .value_kind:     global_buffer
      - .actual_access:  read_only
        .address_space:  global
        .offset:         96
        .size:           8
        .value_kind:     global_buffer
      - .actual_access:  read_only
        .address_space:  global
        .offset:         104
        .size:           8
        .value_kind:     global_buffer
      - .actual_access:  read_only
        .address_space:  global
        .offset:         112
        .size:           8
        .value_kind:     global_buffer
      - .offset:         120
        .size:           4
        .value_kind:     by_value
      - .address_space:  global
        .offset:         128
        .size:           8
        .value_kind:     global_buffer
      - .address_space:  global
        .offset:         136
        .size:           8
        .value_kind:     global_buffer
      - .offset:         144
        .size:           4
        .value_kind:     hidden_block_count_x
      - .offset:         148
        .size:           4
        .value_kind:     hidden_block_count_y
      - .offset:         152
        .size:           4
        .value_kind:     hidden_block_count_z
      - .offset:         156
        .size:           2
        .value_kind:     hidden_group_size_x
      - .offset:         158
        .size:           2
        .value_kind:     hidden_group_size_y
      - .offset:         160
        .size:           2
        .value_kind:     hidden_group_size_z
      - .offset:         162
        .size:           2
        .value_kind:     hidden_remainder_x
      - .offset:         164
        .size:           2
        .value_kind:     hidden_remainder_y
      - .offset:         166
        .size:           2
        .value_kind:     hidden_remainder_z
      - .offset:         184
        .size:           8
        .value_kind:     hidden_global_offset_x
      - .offset:         192
        .size:           8
        .value_kind:     hidden_global_offset_y
      - .offset:         200
        .size:           8
        .value_kind:     hidden_global_offset_z
      - .offset:         208
        .size:           2
        .value_kind:     hidden_grid_dims
      - .offset:         224
        .size:           8
        .value_kind:     hidden_hostcall_buffer
    .group_segment_fixed_size: 0
    .kernarg_segment_align: 8
    .kernarg_segment_size: 400
    .language:       OpenCL C
    .language_version:
      - 2
      - 0
    .max_flat_workgroup_size: 256
    .name:           _Z38paged_attention_ll4mi_QKV_mfma4_kernelIDF16_hLN4vllm18Fp8KVCacheDataTypeE1EhLi32ELi128ELi256ELb0ELi3EEvPKT_PKT0_S7_ifPKiS9_S9_iPKfiiiPfSC_PS2_PT2_iSB_SB_
    .private_segment_fixed_size: 64
    .sgpr_count:     36
    .sgpr_spill_count: 0
    .symbol:         _Z38paged_attention_ll4mi_QKV_mfma4_kernelIDF16_hLN4vllm18Fp8KVCacheDataTypeE1EhLi32ELi128ELi256ELb0ELi3EEvPKT_PKT0_S7_ifPKiS9_S9_iPKfiiiPfSC_PS2_PT2_iSB_SB_.kd
    .uniform_work_group_size: 1
    .uses_dynamic_stack: false
    .vgpr_count:     41
    .vgpr_spill_count: 0
    .wavefront_size: 32
    .workgroup_processor_mode: 1
  - .args:
      - .actual_access:  read_only
        .address_space:  global
        .offset:         0
        .size:           8
        .value_kind:     global_buffer
      - .actual_access:  read_only
        .address_space:  global
        .offset:         8
        .size:           8
        .value_kind:     global_buffer
      - .actual_access:  read_only
        .address_space:  global
        .offset:         16
        .size:           8
        .value_kind:     global_buffer
      - .offset:         24
        .size:           4
        .value_kind:     by_value
      - .offset:         28
        .size:           4
        .value_kind:     by_value
      - .actual_access:  read_only
        .address_space:  global
        .offset:         32
        .size:           8
        .value_kind:     global_buffer
      - .actual_access:  read_only
        .address_space:  global
        .offset:         40
        .size:           8
        .value_kind:     global_buffer
      - .actual_access:  read_only
        .address_space:  global
        .offset:         48
        .size:           8
        .value_kind:     global_buffer
      - .offset:         56
        .size:           4
        .value_kind:     by_value
      - .actual_access:  read_only
        .address_space:  global
        .offset:         64
        .size:           8
        .value_kind:     global_buffer
      - .offset:         72
        .size:           4
        .value_kind:     by_value
      - .offset:         76
        .size:           4
        .value_kind:     by_value
      - .offset:         80
        .size:           4
        .value_kind:     by_value
      - .actual_access:  read_only
        .address_space:  global
        .offset:         88
        .size:           8
        .value_kind:     global_buffer
      - .actual_access:  read_only
        .address_space:  global
        .offset:         96
        .size:           8
        .value_kind:     global_buffer
      - .actual_access:  read_only
        .address_space:  global
        .offset:         104
        .size:           8
        .value_kind:     global_buffer
      - .actual_access:  read_only
        .address_space:  global
        .offset:         112
        .size:           8
        .value_kind:     global_buffer
      - .offset:         120
        .size:           4
        .value_kind:     by_value
      - .address_space:  global
        .offset:         128
        .size:           8
        .value_kind:     global_buffer
      - .address_space:  global
        .offset:         136
        .size:           8
        .value_kind:     global_buffer
      - .offset:         144
        .size:           4
        .value_kind:     hidden_block_count_x
      - .offset:         148
        .size:           4
        .value_kind:     hidden_block_count_y
      - .offset:         152
        .size:           4
        .value_kind:     hidden_block_count_z
      - .offset:         156
        .size:           2
        .value_kind:     hidden_group_size_x
      - .offset:         158
        .size:           2
        .value_kind:     hidden_group_size_y
      - .offset:         160
        .size:           2
        .value_kind:     hidden_group_size_z
      - .offset:         162
        .size:           2
        .value_kind:     hidden_remainder_x
      - .offset:         164
        .size:           2
        .value_kind:     hidden_remainder_y
      - .offset:         166
        .size:           2
        .value_kind:     hidden_remainder_z
      - .offset:         184
        .size:           8
        .value_kind:     hidden_global_offset_x
      - .offset:         192
        .size:           8
        .value_kind:     hidden_global_offset_y
      - .offset:         200
        .size:           8
        .value_kind:     hidden_global_offset_z
      - .offset:         208
        .size:           2
        .value_kind:     hidden_grid_dims
      - .offset:         224
        .size:           8
        .value_kind:     hidden_hostcall_buffer
    .group_segment_fixed_size: 0
    .kernarg_segment_align: 8
    .kernarg_segment_size: 400
    .language:       OpenCL C
    .language_version:
      - 2
      - 0
    .max_flat_workgroup_size: 256
    .name:           _Z38paged_attention_ll4mi_QKV_mfma4_kernelIDF16_hLN4vllm18Fp8KVCacheDataTypeE1EhLi32ELi128ELi256ELb0ELi4EEvPKT_PKT0_S7_ifPKiS9_S9_iPKfiiiPfSC_PS2_PT2_iSB_SB_
    .private_segment_fixed_size: 64
    .sgpr_count:     36
    .sgpr_spill_count: 0
    .symbol:         _Z38paged_attention_ll4mi_QKV_mfma4_kernelIDF16_hLN4vllm18Fp8KVCacheDataTypeE1EhLi32ELi128ELi256ELb0ELi4EEvPKT_PKT0_S7_ifPKiS9_S9_iPKfiiiPfSC_PS2_PT2_iSB_SB_.kd
    .uniform_work_group_size: 1
    .uses_dynamic_stack: false
    .vgpr_count:     41
    .vgpr_spill_count: 0
    .wavefront_size: 32
    .workgroup_processor_mode: 1
  - .args:
      - .actual_access:  read_only
        .address_space:  global
        .offset:         0
        .size:           8
        .value_kind:     global_buffer
      - .actual_access:  read_only
        .address_space:  global
        .offset:         8
        .size:           8
        .value_kind:     global_buffer
      - .actual_access:  read_only
        .address_space:  global
        .offset:         16
        .size:           8
        .value_kind:     global_buffer
      - .offset:         24
        .size:           4
        .value_kind:     by_value
      - .offset:         28
        .size:           4
        .value_kind:     by_value
      - .actual_access:  read_only
        .address_space:  global
        .offset:         32
        .size:           8
        .value_kind:     global_buffer
      - .actual_access:  read_only
        .address_space:  global
        .offset:         40
        .size:           8
        .value_kind:     global_buffer
      - .actual_access:  read_only
        .address_space:  global
        .offset:         48
        .size:           8
        .value_kind:     global_buffer
      - .offset:         56
        .size:           4
        .value_kind:     by_value
      - .actual_access:  read_only
        .address_space:  global
        .offset:         64
        .size:           8
        .value_kind:     global_buffer
      - .offset:         72
        .size:           4
        .value_kind:     by_value
      - .offset:         76
        .size:           4
        .value_kind:     by_value
      - .offset:         80
        .size:           4
        .value_kind:     by_value
      - .actual_access:  write_only
        .address_space:  global
        .offset:         88
        .size:           8
        .value_kind:     global_buffer
      - .actual_access:  write_only
        .address_space:  global
        .offset:         96
        .size:           8
        .value_kind:     global_buffer
      - .actual_access:  write_only
        .address_space:  global
        .offset:         104
        .size:           8
        .value_kind:     global_buffer
      - .actual_access:  read_only
        .address_space:  global
        .offset:         112
        .size:           8
        .value_kind:     global_buffer
      - .offset:         120
        .size:           4
        .value_kind:     by_value
      - .address_space:  global
        .offset:         128
        .size:           8
        .value_kind:     global_buffer
      - .address_space:  global
        .offset:         136
        .size:           8
        .value_kind:     global_buffer
      - .offset:         144
        .size:           4
        .value_kind:     hidden_block_count_x
      - .offset:         148
        .size:           4
        .value_kind:     hidden_block_count_y
      - .offset:         152
        .size:           4
        .value_kind:     hidden_block_count_z
      - .offset:         156
        .size:           2
        .value_kind:     hidden_group_size_x
      - .offset:         158
        .size:           2
        .value_kind:     hidden_group_size_y
      - .offset:         160
        .size:           2
        .value_kind:     hidden_group_size_z
      - .offset:         162
        .size:           2
        .value_kind:     hidden_remainder_x
      - .offset:         164
        .size:           2
        .value_kind:     hidden_remainder_y
      - .offset:         166
        .size:           2
        .value_kind:     hidden_remainder_z
      - .offset:         184
        .size:           8
        .value_kind:     hidden_global_offset_x
      - .offset:         192
        .size:           8
        .value_kind:     hidden_global_offset_y
      - .offset:         200
        .size:           8
        .value_kind:     hidden_global_offset_z
      - .offset:         208
        .size:           2
        .value_kind:     hidden_grid_dims
    .group_segment_fixed_size: 17472
    .kernarg_segment_align: 8
    .kernarg_segment_size: 400
    .language:       OpenCL C
    .language_version:
      - 2
      - 0
    .max_flat_workgroup_size: 256
    .name:           _Z39paged_attention_ll4mi_QKV_mfma16_kernelIDF16_hLN4vllm18Fp8KVCacheDataTypeE1EhLi32ELi128ELi256ELb0ELi5EL8MFMAType1EEvPKT_PKT0_S8_ifPKiSA_SA_iPKfiiiPfSD_PS3_PT2_iSC_SC_
    .private_segment_fixed_size: 0
    .sgpr_count:     39
    .sgpr_spill_count: 0
    .symbol:         _Z39paged_attention_ll4mi_QKV_mfma16_kernelIDF16_hLN4vllm18Fp8KVCacheDataTypeE1EhLi32ELi128ELi256ELb0ELi5EL8MFMAType1EEvPKT_PKT0_S8_ifPKiSA_SA_iPKfiiiPfSD_PS3_PT2_iSC_SC_.kd
    .uniform_work_group_size: 1
    .uses_dynamic_stack: false
    .vgpr_count:     150
    .vgpr_spill_count: 0
    .wavefront_size: 32
    .workgroup_processor_mode: 1
  - .args:
      - .actual_access:  read_only
        .address_space:  global
        .offset:         0
        .size:           8
        .value_kind:     global_buffer
      - .actual_access:  read_only
        .address_space:  global
        .offset:         8
        .size:           8
        .value_kind:     global_buffer
      - .actual_access:  read_only
        .address_space:  global
        .offset:         16
        .size:           8
        .value_kind:     global_buffer
      - .offset:         24
        .size:           4
        .value_kind:     by_value
      - .offset:         28
        .size:           4
        .value_kind:     by_value
      - .actual_access:  read_only
        .address_space:  global
        .offset:         32
        .size:           8
        .value_kind:     global_buffer
      - .actual_access:  read_only
        .address_space:  global
        .offset:         40
        .size:           8
        .value_kind:     global_buffer
      - .actual_access:  read_only
        .address_space:  global
        .offset:         48
        .size:           8
        .value_kind:     global_buffer
      - .offset:         56
        .size:           4
        .value_kind:     by_value
      - .actual_access:  read_only
        .address_space:  global
        .offset:         64
        .size:           8
        .value_kind:     global_buffer
      - .offset:         72
        .size:           4
        .value_kind:     by_value
      - .offset:         76
        .size:           4
        .value_kind:     by_value
      - .offset:         80
        .size:           4
        .value_kind:     by_value
      - .actual_access:  write_only
        .address_space:  global
        .offset:         88
        .size:           8
        .value_kind:     global_buffer
      - .actual_access:  write_only
        .address_space:  global
        .offset:         96
        .size:           8
        .value_kind:     global_buffer
      - .actual_access:  write_only
        .address_space:  global
        .offset:         104
        .size:           8
        .value_kind:     global_buffer
      - .actual_access:  read_only
        .address_space:  global
        .offset:         112
        .size:           8
        .value_kind:     global_buffer
      - .offset:         120
        .size:           4
        .value_kind:     by_value
      - .address_space:  global
        .offset:         128
        .size:           8
        .value_kind:     global_buffer
      - .address_space:  global
        .offset:         136
        .size:           8
        .value_kind:     global_buffer
      - .offset:         144
        .size:           4
        .value_kind:     hidden_block_count_x
      - .offset:         148
        .size:           4
        .value_kind:     hidden_block_count_y
      - .offset:         152
        .size:           4
        .value_kind:     hidden_block_count_z
      - .offset:         156
        .size:           2
        .value_kind:     hidden_group_size_x
      - .offset:         158
        .size:           2
        .value_kind:     hidden_group_size_y
      - .offset:         160
        .size:           2
        .value_kind:     hidden_group_size_z
      - .offset:         162
        .size:           2
        .value_kind:     hidden_remainder_x
      - .offset:         164
        .size:           2
        .value_kind:     hidden_remainder_y
      - .offset:         166
        .size:           2
        .value_kind:     hidden_remainder_z
      - .offset:         184
        .size:           8
        .value_kind:     hidden_global_offset_x
      - .offset:         192
        .size:           8
        .value_kind:     hidden_global_offset_y
      - .offset:         200
        .size:           8
        .value_kind:     hidden_global_offset_z
      - .offset:         208
        .size:           2
        .value_kind:     hidden_grid_dims
    .group_segment_fixed_size: 17472
    .kernarg_segment_align: 8
    .kernarg_segment_size: 400
    .language:       OpenCL C
    .language_version:
      - 2
      - 0
    .max_flat_workgroup_size: 256
    .name:           _Z39paged_attention_ll4mi_QKV_mfma16_kernelIDF16_hLN4vllm18Fp8KVCacheDataTypeE1EhLi32ELi128ELi256ELb0ELi6EL8MFMAType1EEvPKT_PKT0_S8_ifPKiSA_SA_iPKfiiiPfSD_PS3_PT2_iSC_SC_
    .private_segment_fixed_size: 0
    .sgpr_count:     39
    .sgpr_spill_count: 0
    .symbol:         _Z39paged_attention_ll4mi_QKV_mfma16_kernelIDF16_hLN4vllm18Fp8KVCacheDataTypeE1EhLi32ELi128ELi256ELb0ELi6EL8MFMAType1EEvPKT_PKT0_S8_ifPKiSA_SA_iPKfiiiPfSD_PS3_PT2_iSC_SC_.kd
    .uniform_work_group_size: 1
    .uses_dynamic_stack: false
    .vgpr_count:     150
    .vgpr_spill_count: 0
    .wavefront_size: 32
    .workgroup_processor_mode: 1
  - .args:
      - .actual_access:  read_only
        .address_space:  global
        .offset:         0
        .size:           8
        .value_kind:     global_buffer
      - .actual_access:  read_only
        .address_space:  global
        .offset:         8
        .size:           8
        .value_kind:     global_buffer
      - .actual_access:  read_only
        .address_space:  global
        .offset:         16
        .size:           8
        .value_kind:     global_buffer
      - .offset:         24
        .size:           4
        .value_kind:     by_value
      - .offset:         28
        .size:           4
        .value_kind:     by_value
      - .actual_access:  read_only
        .address_space:  global
        .offset:         32
        .size:           8
        .value_kind:     global_buffer
      - .actual_access:  read_only
        .address_space:  global
        .offset:         40
        .size:           8
        .value_kind:     global_buffer
      - .actual_access:  read_only
        .address_space:  global
        .offset:         48
        .size:           8
        .value_kind:     global_buffer
      - .offset:         56
        .size:           4
        .value_kind:     by_value
      - .actual_access:  read_only
        .address_space:  global
        .offset:         64
        .size:           8
        .value_kind:     global_buffer
      - .offset:         72
        .size:           4
        .value_kind:     by_value
      - .offset:         76
        .size:           4
        .value_kind:     by_value
      - .offset:         80
        .size:           4
        .value_kind:     by_value
      - .actual_access:  write_only
        .address_space:  global
        .offset:         88
        .size:           8
        .value_kind:     global_buffer
      - .actual_access:  write_only
        .address_space:  global
        .offset:         96
        .size:           8
        .value_kind:     global_buffer
      - .actual_access:  write_only
        .address_space:  global
        .offset:         104
        .size:           8
        .value_kind:     global_buffer
      - .actual_access:  read_only
        .address_space:  global
        .offset:         112
        .size:           8
        .value_kind:     global_buffer
      - .offset:         120
        .size:           4
        .value_kind:     by_value
      - .address_space:  global
        .offset:         128
        .size:           8
        .value_kind:     global_buffer
      - .address_space:  global
        .offset:         136
        .size:           8
        .value_kind:     global_buffer
      - .offset:         144
        .size:           4
        .value_kind:     hidden_block_count_x
      - .offset:         148
        .size:           4
        .value_kind:     hidden_block_count_y
      - .offset:         152
        .size:           4
        .value_kind:     hidden_block_count_z
      - .offset:         156
        .size:           2
        .value_kind:     hidden_group_size_x
      - .offset:         158
        .size:           2
        .value_kind:     hidden_group_size_y
      - .offset:         160
        .size:           2
        .value_kind:     hidden_group_size_z
      - .offset:         162
        .size:           2
        .value_kind:     hidden_remainder_x
      - .offset:         164
        .size:           2
        .value_kind:     hidden_remainder_y
      - .offset:         166
        .size:           2
        .value_kind:     hidden_remainder_z
      - .offset:         184
        .size:           8
        .value_kind:     hidden_global_offset_x
      - .offset:         192
        .size:           8
        .value_kind:     hidden_global_offset_y
      - .offset:         200
        .size:           8
        .value_kind:     hidden_global_offset_z
      - .offset:         208
        .size:           2
        .value_kind:     hidden_grid_dims
    .group_segment_fixed_size: 17472
    .kernarg_segment_align: 8
    .kernarg_segment_size: 400
    .language:       OpenCL C
    .language_version:
      - 2
      - 0
    .max_flat_workgroup_size: 256
    .name:           _Z39paged_attention_ll4mi_QKV_mfma16_kernelIDF16_hLN4vllm18Fp8KVCacheDataTypeE1EhLi32ELi128ELi256ELb0ELi7EL8MFMAType1EEvPKT_PKT0_S8_ifPKiSA_SA_iPKfiiiPfSD_PS3_PT2_iSC_SC_
    .private_segment_fixed_size: 0
    .sgpr_count:     39
    .sgpr_spill_count: 0
    .symbol:         _Z39paged_attention_ll4mi_QKV_mfma16_kernelIDF16_hLN4vllm18Fp8KVCacheDataTypeE1EhLi32ELi128ELi256ELb0ELi7EL8MFMAType1EEvPKT_PKT0_S8_ifPKiSA_SA_iPKfiiiPfSD_PS3_PT2_iSC_SC_.kd
    .uniform_work_group_size: 1
    .uses_dynamic_stack: false
    .vgpr_count:     150
    .vgpr_spill_count: 0
    .wavefront_size: 32
    .workgroup_processor_mode: 1
  - .args:
      - .actual_access:  read_only
        .address_space:  global
        .offset:         0
        .size:           8
        .value_kind:     global_buffer
      - .actual_access:  read_only
        .address_space:  global
        .offset:         8
        .size:           8
        .value_kind:     global_buffer
      - .actual_access:  read_only
        .address_space:  global
        .offset:         16
        .size:           8
        .value_kind:     global_buffer
      - .offset:         24
        .size:           4
        .value_kind:     by_value
      - .offset:         28
        .size:           4
        .value_kind:     by_value
      - .actual_access:  read_only
        .address_space:  global
        .offset:         32
        .size:           8
        .value_kind:     global_buffer
      - .actual_access:  read_only
        .address_space:  global
        .offset:         40
        .size:           8
        .value_kind:     global_buffer
      - .actual_access:  read_only
        .address_space:  global
        .offset:         48
        .size:           8
        .value_kind:     global_buffer
      - .offset:         56
        .size:           4
        .value_kind:     by_value
      - .actual_access:  read_only
        .address_space:  global
        .offset:         64
        .size:           8
        .value_kind:     global_buffer
      - .offset:         72
        .size:           4
        .value_kind:     by_value
      - .offset:         76
        .size:           4
        .value_kind:     by_value
      - .offset:         80
        .size:           4
        .value_kind:     by_value
      - .actual_access:  write_only
        .address_space:  global
        .offset:         88
        .size:           8
        .value_kind:     global_buffer
      - .actual_access:  write_only
        .address_space:  global
        .offset:         96
        .size:           8
        .value_kind:     global_buffer
      - .actual_access:  write_only
        .address_space:  global
        .offset:         104
        .size:           8
        .value_kind:     global_buffer
      - .actual_access:  read_only
        .address_space:  global
        .offset:         112
        .size:           8
        .value_kind:     global_buffer
      - .offset:         120
        .size:           4
        .value_kind:     by_value
      - .address_space:  global
        .offset:         128
        .size:           8
        .value_kind:     global_buffer
      - .address_space:  global
        .offset:         136
        .size:           8
        .value_kind:     global_buffer
      - .offset:         144
        .size:           4
        .value_kind:     hidden_block_count_x
      - .offset:         148
        .size:           4
        .value_kind:     hidden_block_count_y
      - .offset:         152
        .size:           4
        .value_kind:     hidden_block_count_z
      - .offset:         156
        .size:           2
        .value_kind:     hidden_group_size_x
      - .offset:         158
        .size:           2
        .value_kind:     hidden_group_size_y
      - .offset:         160
        .size:           2
        .value_kind:     hidden_group_size_z
      - .offset:         162
        .size:           2
        .value_kind:     hidden_remainder_x
      - .offset:         164
        .size:           2
        .value_kind:     hidden_remainder_y
      - .offset:         166
        .size:           2
        .value_kind:     hidden_remainder_z
      - .offset:         184
        .size:           8
        .value_kind:     hidden_global_offset_x
      - .offset:         192
        .size:           8
        .value_kind:     hidden_global_offset_y
      - .offset:         200
        .size:           8
        .value_kind:     hidden_global_offset_z
      - .offset:         208
        .size:           2
        .value_kind:     hidden_grid_dims
    .group_segment_fixed_size: 17472
    .kernarg_segment_align: 8
    .kernarg_segment_size: 400
    .language:       OpenCL C
    .language_version:
      - 2
      - 0
    .max_flat_workgroup_size: 256
    .name:           _Z39paged_attention_ll4mi_QKV_mfma16_kernelIDF16_hLN4vllm18Fp8KVCacheDataTypeE1EhLi32ELi128ELi256ELb0ELi8EL8MFMAType1EEvPKT_PKT0_S8_ifPKiSA_SA_iPKfiiiPfSD_PS3_PT2_iSC_SC_
    .private_segment_fixed_size: 0
    .sgpr_count:     38
    .sgpr_spill_count: 0
    .symbol:         _Z39paged_attention_ll4mi_QKV_mfma16_kernelIDF16_hLN4vllm18Fp8KVCacheDataTypeE1EhLi32ELi128ELi256ELb0ELi8EL8MFMAType1EEvPKT_PKT0_S8_ifPKiSA_SA_iPKfiiiPfSD_PS3_PT2_iSC_SC_.kd
    .uniform_work_group_size: 1
    .uses_dynamic_stack: false
    .vgpr_count:     140
    .vgpr_spill_count: 0
    .wavefront_size: 32
    .workgroup_processor_mode: 1
  - .args:
      - .actual_access:  read_only
        .address_space:  global
        .offset:         0
        .size:           8
        .value_kind:     global_buffer
      - .actual_access:  read_only
        .address_space:  global
        .offset:         8
        .size:           8
        .value_kind:     global_buffer
      - .actual_access:  read_only
        .address_space:  global
        .offset:         16
        .size:           8
        .value_kind:     global_buffer
      - .offset:         24
        .size:           4
        .value_kind:     by_value
      - .offset:         28
        .size:           4
        .value_kind:     by_value
      - .actual_access:  read_only
        .address_space:  global
        .offset:         32
        .size:           8
        .value_kind:     global_buffer
      - .actual_access:  read_only
        .address_space:  global
        .offset:         40
        .size:           8
        .value_kind:     global_buffer
      - .actual_access:  read_only
        .address_space:  global
        .offset:         48
        .size:           8
        .value_kind:     global_buffer
      - .offset:         56
        .size:           4
        .value_kind:     by_value
      - .actual_access:  read_only
        .address_space:  global
        .offset:         64
        .size:           8
        .value_kind:     global_buffer
      - .offset:         72
        .size:           4
        .value_kind:     by_value
      - .offset:         76
        .size:           4
        .value_kind:     by_value
      - .offset:         80
        .size:           4
        .value_kind:     by_value
      - .actual_access:  write_only
        .address_space:  global
        .offset:         88
        .size:           8
        .value_kind:     global_buffer
      - .actual_access:  write_only
        .address_space:  global
        .offset:         96
        .size:           8
        .value_kind:     global_buffer
      - .actual_access:  write_only
        .address_space:  global
        .offset:         104
        .size:           8
        .value_kind:     global_buffer
      - .actual_access:  read_only
        .address_space:  global
        .offset:         112
        .size:           8
        .value_kind:     global_buffer
      - .offset:         120
        .size:           4
        .value_kind:     by_value
      - .address_space:  global
        .offset:         128
        .size:           8
        .value_kind:     global_buffer
      - .address_space:  global
        .offset:         136
        .size:           8
        .value_kind:     global_buffer
      - .offset:         144
        .size:           4
        .value_kind:     hidden_block_count_x
      - .offset:         148
        .size:           4
        .value_kind:     hidden_block_count_y
      - .offset:         152
        .size:           4
        .value_kind:     hidden_block_count_z
      - .offset:         156
        .size:           2
        .value_kind:     hidden_group_size_x
      - .offset:         158
        .size:           2
        .value_kind:     hidden_group_size_y
      - .offset:         160
        .size:           2
        .value_kind:     hidden_group_size_z
      - .offset:         162
        .size:           2
        .value_kind:     hidden_remainder_x
      - .offset:         164
        .size:           2
        .value_kind:     hidden_remainder_y
      - .offset:         166
        .size:           2
        .value_kind:     hidden_remainder_z
      - .offset:         184
        .size:           8
        .value_kind:     hidden_global_offset_x
      - .offset:         192
        .size:           8
        .value_kind:     hidden_global_offset_y
      - .offset:         200
        .size:           8
        .value_kind:     hidden_global_offset_z
      - .offset:         208
        .size:           2
        .value_kind:     hidden_grid_dims
    .group_segment_fixed_size: 17472
    .kernarg_segment_align: 8
    .kernarg_segment_size: 400
    .language:       OpenCL C
    .language_version:
      - 2
      - 0
    .max_flat_workgroup_size: 256
    .name:           _Z39paged_attention_ll4mi_QKV_mfma16_kernelIDF16_hLN4vllm18Fp8KVCacheDataTypeE1EhLi32ELi128ELi256ELb0ELi9EL8MFMAType1EEvPKT_PKT0_S8_ifPKiSA_SA_iPKfiiiPfSD_PS3_PT2_iSC_SC_
    .private_segment_fixed_size: 0
    .sgpr_count:     39
    .sgpr_spill_count: 0
    .symbol:         _Z39paged_attention_ll4mi_QKV_mfma16_kernelIDF16_hLN4vllm18Fp8KVCacheDataTypeE1EhLi32ELi128ELi256ELb0ELi9EL8MFMAType1EEvPKT_PKT0_S8_ifPKiSA_SA_iPKfiiiPfSD_PS3_PT2_iSC_SC_.kd
    .uniform_work_group_size: 1
    .uses_dynamic_stack: false
    .vgpr_count:     150
    .vgpr_spill_count: 0
    .wavefront_size: 32
    .workgroup_processor_mode: 1
  - .args:
      - .actual_access:  read_only
        .address_space:  global
        .offset:         0
        .size:           8
        .value_kind:     global_buffer
      - .actual_access:  read_only
        .address_space:  global
        .offset:         8
        .size:           8
        .value_kind:     global_buffer
      - .actual_access:  read_only
        .address_space:  global
        .offset:         16
        .size:           8
        .value_kind:     global_buffer
      - .offset:         24
        .size:           4
        .value_kind:     by_value
      - .offset:         28
        .size:           4
        .value_kind:     by_value
      - .actual_access:  read_only
        .address_space:  global
        .offset:         32
        .size:           8
        .value_kind:     global_buffer
      - .actual_access:  read_only
        .address_space:  global
        .offset:         40
        .size:           8
        .value_kind:     global_buffer
      - .actual_access:  read_only
        .address_space:  global
        .offset:         48
        .size:           8
        .value_kind:     global_buffer
      - .offset:         56
        .size:           4
        .value_kind:     by_value
      - .actual_access:  read_only
        .address_space:  global
        .offset:         64
        .size:           8
        .value_kind:     global_buffer
      - .offset:         72
        .size:           4
        .value_kind:     by_value
      - .offset:         76
        .size:           4
        .value_kind:     by_value
      - .offset:         80
        .size:           4
        .value_kind:     by_value
      - .actual_access:  write_only
        .address_space:  global
        .offset:         88
        .size:           8
        .value_kind:     global_buffer
      - .actual_access:  write_only
        .address_space:  global
        .offset:         96
        .size:           8
        .value_kind:     global_buffer
      - .actual_access:  write_only
        .address_space:  global
        .offset:         104
        .size:           8
        .value_kind:     global_buffer
      - .actual_access:  read_only
        .address_space:  global
        .offset:         112
        .size:           8
        .value_kind:     global_buffer
      - .offset:         120
        .size:           4
        .value_kind:     by_value
      - .address_space:  global
        .offset:         128
        .size:           8
        .value_kind:     global_buffer
      - .address_space:  global
        .offset:         136
        .size:           8
        .value_kind:     global_buffer
      - .offset:         144
        .size:           4
        .value_kind:     hidden_block_count_x
      - .offset:         148
        .size:           4
        .value_kind:     hidden_block_count_y
      - .offset:         152
        .size:           4
        .value_kind:     hidden_block_count_z
      - .offset:         156
        .size:           2
        .value_kind:     hidden_group_size_x
      - .offset:         158
        .size:           2
        .value_kind:     hidden_group_size_y
      - .offset:         160
        .size:           2
        .value_kind:     hidden_group_size_z
      - .offset:         162
        .size:           2
        .value_kind:     hidden_remainder_x
      - .offset:         164
        .size:           2
        .value_kind:     hidden_remainder_y
      - .offset:         166
        .size:           2
        .value_kind:     hidden_remainder_z
      - .offset:         184
        .size:           8
        .value_kind:     hidden_global_offset_x
      - .offset:         192
        .size:           8
        .value_kind:     hidden_global_offset_y
      - .offset:         200
        .size:           8
        .value_kind:     hidden_global_offset_z
      - .offset:         208
        .size:           2
        .value_kind:     hidden_grid_dims
    .group_segment_fixed_size: 17472
    .kernarg_segment_align: 8
    .kernarg_segment_size: 400
    .language:       OpenCL C
    .language_version:
      - 2
      - 0
    .max_flat_workgroup_size: 256
    .name:           _Z39paged_attention_ll4mi_QKV_mfma16_kernelIDF16_hLN4vllm18Fp8KVCacheDataTypeE1EhLi32ELi128ELi256ELb0ELi10EL8MFMAType1EEvPKT_PKT0_S8_ifPKiSA_SA_iPKfiiiPfSD_PS3_PT2_iSC_SC_
    .private_segment_fixed_size: 0
    .sgpr_count:     39
    .sgpr_spill_count: 0
    .symbol:         _Z39paged_attention_ll4mi_QKV_mfma16_kernelIDF16_hLN4vllm18Fp8KVCacheDataTypeE1EhLi32ELi128ELi256ELb0ELi10EL8MFMAType1EEvPKT_PKT0_S8_ifPKiSA_SA_iPKfiiiPfSD_PS3_PT2_iSC_SC_.kd
    .uniform_work_group_size: 1
    .uses_dynamic_stack: false
    .vgpr_count:     150
    .vgpr_spill_count: 0
    .wavefront_size: 32
    .workgroup_processor_mode: 1
  - .args:
      - .actual_access:  read_only
        .address_space:  global
        .offset:         0
        .size:           8
        .value_kind:     global_buffer
      - .actual_access:  read_only
        .address_space:  global
        .offset:         8
        .size:           8
        .value_kind:     global_buffer
      - .actual_access:  read_only
        .address_space:  global
        .offset:         16
        .size:           8
        .value_kind:     global_buffer
      - .offset:         24
        .size:           4
        .value_kind:     by_value
      - .offset:         28
        .size:           4
        .value_kind:     by_value
      - .actual_access:  read_only
        .address_space:  global
        .offset:         32
        .size:           8
        .value_kind:     global_buffer
      - .actual_access:  read_only
        .address_space:  global
        .offset:         40
        .size:           8
        .value_kind:     global_buffer
      - .actual_access:  read_only
        .address_space:  global
        .offset:         48
        .size:           8
        .value_kind:     global_buffer
      - .offset:         56
        .size:           4
        .value_kind:     by_value
      - .actual_access:  read_only
        .address_space:  global
        .offset:         64
        .size:           8
        .value_kind:     global_buffer
      - .offset:         72
        .size:           4
        .value_kind:     by_value
      - .offset:         76
        .size:           4
        .value_kind:     by_value
      - .offset:         80
        .size:           4
        .value_kind:     by_value
      - .actual_access:  write_only
        .address_space:  global
        .offset:         88
        .size:           8
        .value_kind:     global_buffer
      - .actual_access:  write_only
        .address_space:  global
        .offset:         96
        .size:           8
        .value_kind:     global_buffer
      - .actual_access:  write_only
        .address_space:  global
        .offset:         104
        .size:           8
        .value_kind:     global_buffer
      - .actual_access:  read_only
        .address_space:  global
        .offset:         112
        .size:           8
        .value_kind:     global_buffer
      - .offset:         120
        .size:           4
        .value_kind:     by_value
      - .address_space:  global
        .offset:         128
        .size:           8
        .value_kind:     global_buffer
      - .address_space:  global
        .offset:         136
        .size:           8
        .value_kind:     global_buffer
      - .offset:         144
        .size:           4
        .value_kind:     hidden_block_count_x
      - .offset:         148
        .size:           4
        .value_kind:     hidden_block_count_y
      - .offset:         152
        .size:           4
        .value_kind:     hidden_block_count_z
      - .offset:         156
        .size:           2
        .value_kind:     hidden_group_size_x
      - .offset:         158
        .size:           2
        .value_kind:     hidden_group_size_y
      - .offset:         160
        .size:           2
        .value_kind:     hidden_group_size_z
      - .offset:         162
        .size:           2
        .value_kind:     hidden_remainder_x
      - .offset:         164
        .size:           2
        .value_kind:     hidden_remainder_y
      - .offset:         166
        .size:           2
        .value_kind:     hidden_remainder_z
      - .offset:         184
        .size:           8
        .value_kind:     hidden_global_offset_x
      - .offset:         192
        .size:           8
        .value_kind:     hidden_global_offset_y
      - .offset:         200
        .size:           8
        .value_kind:     hidden_global_offset_z
      - .offset:         208
        .size:           2
        .value_kind:     hidden_grid_dims
    .group_segment_fixed_size: 17472
    .kernarg_segment_align: 8
    .kernarg_segment_size: 400
    .language:       OpenCL C
    .language_version:
      - 2
      - 0
    .max_flat_workgroup_size: 256
    .name:           _Z39paged_attention_ll4mi_QKV_mfma16_kernelIDF16_hLN4vllm18Fp8KVCacheDataTypeE1EhLi32ELi128ELi256ELb0ELi11EL8MFMAType1EEvPKT_PKT0_S8_ifPKiSA_SA_iPKfiiiPfSD_PS3_PT2_iSC_SC_
    .private_segment_fixed_size: 0
    .sgpr_count:     39
    .sgpr_spill_count: 0
    .symbol:         _Z39paged_attention_ll4mi_QKV_mfma16_kernelIDF16_hLN4vllm18Fp8KVCacheDataTypeE1EhLi32ELi128ELi256ELb0ELi11EL8MFMAType1EEvPKT_PKT0_S8_ifPKiSA_SA_iPKfiiiPfSD_PS3_PT2_iSC_SC_.kd
    .uniform_work_group_size: 1
    .uses_dynamic_stack: false
    .vgpr_count:     150
    .vgpr_spill_count: 0
    .wavefront_size: 32
    .workgroup_processor_mode: 1
  - .args:
      - .actual_access:  read_only
        .address_space:  global
        .offset:         0
        .size:           8
        .value_kind:     global_buffer
      - .actual_access:  read_only
        .address_space:  global
        .offset:         8
        .size:           8
        .value_kind:     global_buffer
      - .actual_access:  read_only
        .address_space:  global
        .offset:         16
        .size:           8
        .value_kind:     global_buffer
      - .offset:         24
        .size:           4
        .value_kind:     by_value
      - .offset:         28
        .size:           4
        .value_kind:     by_value
      - .actual_access:  read_only
        .address_space:  global
        .offset:         32
        .size:           8
        .value_kind:     global_buffer
      - .actual_access:  read_only
        .address_space:  global
        .offset:         40
        .size:           8
        .value_kind:     global_buffer
      - .actual_access:  read_only
        .address_space:  global
        .offset:         48
        .size:           8
        .value_kind:     global_buffer
      - .offset:         56
        .size:           4
        .value_kind:     by_value
      - .actual_access:  read_only
        .address_space:  global
        .offset:         64
        .size:           8
        .value_kind:     global_buffer
      - .offset:         72
        .size:           4
        .value_kind:     by_value
      - .offset:         76
        .size:           4
        .value_kind:     by_value
      - .offset:         80
        .size:           4
        .value_kind:     by_value
      - .actual_access:  write_only
        .address_space:  global
        .offset:         88
        .size:           8
        .value_kind:     global_buffer
      - .actual_access:  write_only
        .address_space:  global
        .offset:         96
        .size:           8
        .value_kind:     global_buffer
      - .actual_access:  write_only
        .address_space:  global
        .offset:         104
        .size:           8
        .value_kind:     global_buffer
      - .actual_access:  read_only
        .address_space:  global
        .offset:         112
        .size:           8
        .value_kind:     global_buffer
      - .offset:         120
        .size:           4
        .value_kind:     by_value
      - .address_space:  global
        .offset:         128
        .size:           8
        .value_kind:     global_buffer
      - .address_space:  global
        .offset:         136
        .size:           8
        .value_kind:     global_buffer
      - .offset:         144
        .size:           4
        .value_kind:     hidden_block_count_x
      - .offset:         148
        .size:           4
        .value_kind:     hidden_block_count_y
      - .offset:         152
        .size:           4
        .value_kind:     hidden_block_count_z
      - .offset:         156
        .size:           2
        .value_kind:     hidden_group_size_x
      - .offset:         158
        .size:           2
        .value_kind:     hidden_group_size_y
      - .offset:         160
        .size:           2
        .value_kind:     hidden_group_size_z
      - .offset:         162
        .size:           2
        .value_kind:     hidden_remainder_x
      - .offset:         164
        .size:           2
        .value_kind:     hidden_remainder_y
      - .offset:         166
        .size:           2
        .value_kind:     hidden_remainder_z
      - .offset:         184
        .size:           8
        .value_kind:     hidden_global_offset_x
      - .offset:         192
        .size:           8
        .value_kind:     hidden_global_offset_y
      - .offset:         200
        .size:           8
        .value_kind:     hidden_global_offset_z
      - .offset:         208
        .size:           2
        .value_kind:     hidden_grid_dims
    .group_segment_fixed_size: 17472
    .kernarg_segment_align: 8
    .kernarg_segment_size: 400
    .language:       OpenCL C
    .language_version:
      - 2
      - 0
    .max_flat_workgroup_size: 256
    .name:           _Z39paged_attention_ll4mi_QKV_mfma16_kernelIDF16_hLN4vllm18Fp8KVCacheDataTypeE1EhLi32ELi128ELi256ELb0ELi12EL8MFMAType1EEvPKT_PKT0_S8_ifPKiSA_SA_iPKfiiiPfSD_PS3_PT2_iSC_SC_
    .private_segment_fixed_size: 0
    .sgpr_count:     39
    .sgpr_spill_count: 0
    .symbol:         _Z39paged_attention_ll4mi_QKV_mfma16_kernelIDF16_hLN4vllm18Fp8KVCacheDataTypeE1EhLi32ELi128ELi256ELb0ELi12EL8MFMAType1EEvPKT_PKT0_S8_ifPKiSA_SA_iPKfiiiPfSD_PS3_PT2_iSC_SC_.kd
    .uniform_work_group_size: 1
    .uses_dynamic_stack: false
    .vgpr_count:     150
    .vgpr_spill_count: 0
    .wavefront_size: 32
    .workgroup_processor_mode: 1
  - .args:
      - .actual_access:  read_only
        .address_space:  global
        .offset:         0
        .size:           8
        .value_kind:     global_buffer
      - .actual_access:  read_only
        .address_space:  global
        .offset:         8
        .size:           8
        .value_kind:     global_buffer
      - .actual_access:  read_only
        .address_space:  global
        .offset:         16
        .size:           8
        .value_kind:     global_buffer
      - .offset:         24
        .size:           4
        .value_kind:     by_value
      - .offset:         28
        .size:           4
        .value_kind:     by_value
      - .actual_access:  read_only
        .address_space:  global
        .offset:         32
        .size:           8
        .value_kind:     global_buffer
      - .actual_access:  read_only
        .address_space:  global
        .offset:         40
        .size:           8
        .value_kind:     global_buffer
      - .actual_access:  read_only
        .address_space:  global
        .offset:         48
        .size:           8
        .value_kind:     global_buffer
      - .offset:         56
        .size:           4
        .value_kind:     by_value
      - .actual_access:  read_only
        .address_space:  global
        .offset:         64
        .size:           8
        .value_kind:     global_buffer
      - .offset:         72
        .size:           4
        .value_kind:     by_value
      - .offset:         76
        .size:           4
        .value_kind:     by_value
      - .offset:         80
        .size:           4
        .value_kind:     by_value
      - .actual_access:  write_only
        .address_space:  global
        .offset:         88
        .size:           8
        .value_kind:     global_buffer
      - .actual_access:  write_only
        .address_space:  global
        .offset:         96
        .size:           8
        .value_kind:     global_buffer
      - .actual_access:  write_only
        .address_space:  global
        .offset:         104
        .size:           8
        .value_kind:     global_buffer
      - .actual_access:  read_only
        .address_space:  global
        .offset:         112
        .size:           8
        .value_kind:     global_buffer
      - .offset:         120
        .size:           4
        .value_kind:     by_value
      - .address_space:  global
        .offset:         128
        .size:           8
        .value_kind:     global_buffer
      - .address_space:  global
        .offset:         136
        .size:           8
        .value_kind:     global_buffer
      - .offset:         144
        .size:           4
        .value_kind:     hidden_block_count_x
      - .offset:         148
        .size:           4
        .value_kind:     hidden_block_count_y
      - .offset:         152
        .size:           4
        .value_kind:     hidden_block_count_z
      - .offset:         156
        .size:           2
        .value_kind:     hidden_group_size_x
      - .offset:         158
        .size:           2
        .value_kind:     hidden_group_size_y
      - .offset:         160
        .size:           2
        .value_kind:     hidden_group_size_z
      - .offset:         162
        .size:           2
        .value_kind:     hidden_remainder_x
      - .offset:         164
        .size:           2
        .value_kind:     hidden_remainder_y
      - .offset:         166
        .size:           2
        .value_kind:     hidden_remainder_z
      - .offset:         184
        .size:           8
        .value_kind:     hidden_global_offset_x
      - .offset:         192
        .size:           8
        .value_kind:     hidden_global_offset_y
      - .offset:         200
        .size:           8
        .value_kind:     hidden_global_offset_z
      - .offset:         208
        .size:           2
        .value_kind:     hidden_grid_dims
    .group_segment_fixed_size: 17472
    .kernarg_segment_align: 8
    .kernarg_segment_size: 400
    .language:       OpenCL C
    .language_version:
      - 2
      - 0
    .max_flat_workgroup_size: 256
    .name:           _Z39paged_attention_ll4mi_QKV_mfma16_kernelIDF16_hLN4vllm18Fp8KVCacheDataTypeE1EhLi32ELi128ELi256ELb0ELi13EL8MFMAType1EEvPKT_PKT0_S8_ifPKiSA_SA_iPKfiiiPfSD_PS3_PT2_iSC_SC_
    .private_segment_fixed_size: 0
    .sgpr_count:     39
    .sgpr_spill_count: 0
    .symbol:         _Z39paged_attention_ll4mi_QKV_mfma16_kernelIDF16_hLN4vllm18Fp8KVCacheDataTypeE1EhLi32ELi128ELi256ELb0ELi13EL8MFMAType1EEvPKT_PKT0_S8_ifPKiSA_SA_iPKfiiiPfSD_PS3_PT2_iSC_SC_.kd
    .uniform_work_group_size: 1
    .uses_dynamic_stack: false
    .vgpr_count:     150
    .vgpr_spill_count: 0
    .wavefront_size: 32
    .workgroup_processor_mode: 1
  - .args:
      - .actual_access:  read_only
        .address_space:  global
        .offset:         0
        .size:           8
        .value_kind:     global_buffer
      - .actual_access:  read_only
        .address_space:  global
        .offset:         8
        .size:           8
        .value_kind:     global_buffer
      - .actual_access:  read_only
        .address_space:  global
        .offset:         16
        .size:           8
        .value_kind:     global_buffer
      - .offset:         24
        .size:           4
        .value_kind:     by_value
      - .offset:         28
        .size:           4
        .value_kind:     by_value
      - .actual_access:  read_only
        .address_space:  global
        .offset:         32
        .size:           8
        .value_kind:     global_buffer
      - .actual_access:  read_only
        .address_space:  global
        .offset:         40
        .size:           8
        .value_kind:     global_buffer
      - .actual_access:  read_only
        .address_space:  global
        .offset:         48
        .size:           8
        .value_kind:     global_buffer
      - .offset:         56
        .size:           4
        .value_kind:     by_value
      - .actual_access:  read_only
        .address_space:  global
        .offset:         64
        .size:           8
        .value_kind:     global_buffer
      - .offset:         72
        .size:           4
        .value_kind:     by_value
      - .offset:         76
        .size:           4
        .value_kind:     by_value
      - .offset:         80
        .size:           4
        .value_kind:     by_value
      - .actual_access:  write_only
        .address_space:  global
        .offset:         88
        .size:           8
        .value_kind:     global_buffer
      - .actual_access:  write_only
        .address_space:  global
        .offset:         96
        .size:           8
        .value_kind:     global_buffer
      - .actual_access:  write_only
        .address_space:  global
        .offset:         104
        .size:           8
        .value_kind:     global_buffer
      - .actual_access:  read_only
        .address_space:  global
        .offset:         112
        .size:           8
        .value_kind:     global_buffer
      - .offset:         120
        .size:           4
        .value_kind:     by_value
      - .address_space:  global
        .offset:         128
        .size:           8
        .value_kind:     global_buffer
      - .address_space:  global
        .offset:         136
        .size:           8
        .value_kind:     global_buffer
      - .offset:         144
        .size:           4
        .value_kind:     hidden_block_count_x
      - .offset:         148
        .size:           4
        .value_kind:     hidden_block_count_y
      - .offset:         152
        .size:           4
        .value_kind:     hidden_block_count_z
      - .offset:         156
        .size:           2
        .value_kind:     hidden_group_size_x
      - .offset:         158
        .size:           2
        .value_kind:     hidden_group_size_y
      - .offset:         160
        .size:           2
        .value_kind:     hidden_group_size_z
      - .offset:         162
        .size:           2
        .value_kind:     hidden_remainder_x
      - .offset:         164
        .size:           2
        .value_kind:     hidden_remainder_y
      - .offset:         166
        .size:           2
        .value_kind:     hidden_remainder_z
      - .offset:         184
        .size:           8
        .value_kind:     hidden_global_offset_x
      - .offset:         192
        .size:           8
        .value_kind:     hidden_global_offset_y
      - .offset:         200
        .size:           8
        .value_kind:     hidden_global_offset_z
      - .offset:         208
        .size:           2
        .value_kind:     hidden_grid_dims
    .group_segment_fixed_size: 17472
    .kernarg_segment_align: 8
    .kernarg_segment_size: 400
    .language:       OpenCL C
    .language_version:
      - 2
      - 0
    .max_flat_workgroup_size: 256
    .name:           _Z39paged_attention_ll4mi_QKV_mfma16_kernelIDF16_hLN4vllm18Fp8KVCacheDataTypeE1EhLi32ELi128ELi256ELb0ELi14EL8MFMAType1EEvPKT_PKT0_S8_ifPKiSA_SA_iPKfiiiPfSD_PS3_PT2_iSC_SC_
    .private_segment_fixed_size: 0
    .sgpr_count:     39
    .sgpr_spill_count: 0
    .symbol:         _Z39paged_attention_ll4mi_QKV_mfma16_kernelIDF16_hLN4vllm18Fp8KVCacheDataTypeE1EhLi32ELi128ELi256ELb0ELi14EL8MFMAType1EEvPKT_PKT0_S8_ifPKiSA_SA_iPKfiiiPfSD_PS3_PT2_iSC_SC_.kd
    .uniform_work_group_size: 1
    .uses_dynamic_stack: false
    .vgpr_count:     150
    .vgpr_spill_count: 0
    .wavefront_size: 32
    .workgroup_processor_mode: 1
  - .args:
      - .actual_access:  read_only
        .address_space:  global
        .offset:         0
        .size:           8
        .value_kind:     global_buffer
      - .actual_access:  read_only
        .address_space:  global
        .offset:         8
        .size:           8
        .value_kind:     global_buffer
      - .actual_access:  read_only
        .address_space:  global
        .offset:         16
        .size:           8
        .value_kind:     global_buffer
      - .offset:         24
        .size:           4
        .value_kind:     by_value
      - .offset:         28
        .size:           4
        .value_kind:     by_value
      - .actual_access:  read_only
        .address_space:  global
        .offset:         32
        .size:           8
        .value_kind:     global_buffer
      - .actual_access:  read_only
        .address_space:  global
        .offset:         40
        .size:           8
        .value_kind:     global_buffer
      - .actual_access:  read_only
        .address_space:  global
        .offset:         48
        .size:           8
        .value_kind:     global_buffer
      - .offset:         56
        .size:           4
        .value_kind:     by_value
      - .actual_access:  read_only
        .address_space:  global
        .offset:         64
        .size:           8
        .value_kind:     global_buffer
      - .offset:         72
        .size:           4
        .value_kind:     by_value
      - .offset:         76
        .size:           4
        .value_kind:     by_value
      - .offset:         80
        .size:           4
        .value_kind:     by_value
      - .actual_access:  write_only
        .address_space:  global
        .offset:         88
        .size:           8
        .value_kind:     global_buffer
      - .actual_access:  write_only
        .address_space:  global
        .offset:         96
        .size:           8
        .value_kind:     global_buffer
      - .actual_access:  write_only
        .address_space:  global
        .offset:         104
        .size:           8
        .value_kind:     global_buffer
      - .actual_access:  read_only
        .address_space:  global
        .offset:         112
        .size:           8
        .value_kind:     global_buffer
      - .offset:         120
        .size:           4
        .value_kind:     by_value
      - .address_space:  global
        .offset:         128
        .size:           8
        .value_kind:     global_buffer
      - .address_space:  global
        .offset:         136
        .size:           8
        .value_kind:     global_buffer
      - .offset:         144
        .size:           4
        .value_kind:     hidden_block_count_x
      - .offset:         148
        .size:           4
        .value_kind:     hidden_block_count_y
      - .offset:         152
        .size:           4
        .value_kind:     hidden_block_count_z
      - .offset:         156
        .size:           2
        .value_kind:     hidden_group_size_x
      - .offset:         158
        .size:           2
        .value_kind:     hidden_group_size_y
      - .offset:         160
        .size:           2
        .value_kind:     hidden_group_size_z
      - .offset:         162
        .size:           2
        .value_kind:     hidden_remainder_x
      - .offset:         164
        .size:           2
        .value_kind:     hidden_remainder_y
      - .offset:         166
        .size:           2
        .value_kind:     hidden_remainder_z
      - .offset:         184
        .size:           8
        .value_kind:     hidden_global_offset_x
      - .offset:         192
        .size:           8
        .value_kind:     hidden_global_offset_y
      - .offset:         200
        .size:           8
        .value_kind:     hidden_global_offset_z
      - .offset:         208
        .size:           2
        .value_kind:     hidden_grid_dims
    .group_segment_fixed_size: 17472
    .kernarg_segment_align: 8
    .kernarg_segment_size: 400
    .language:       OpenCL C
    .language_version:
      - 2
      - 0
    .max_flat_workgroup_size: 256
    .name:           _Z39paged_attention_ll4mi_QKV_mfma16_kernelIDF16_hLN4vllm18Fp8KVCacheDataTypeE1EhLi32ELi128ELi256ELb0ELi15EL8MFMAType1EEvPKT_PKT0_S8_ifPKiSA_SA_iPKfiiiPfSD_PS3_PT2_iSC_SC_
    .private_segment_fixed_size: 0
    .sgpr_count:     39
    .sgpr_spill_count: 0
    .symbol:         _Z39paged_attention_ll4mi_QKV_mfma16_kernelIDF16_hLN4vllm18Fp8KVCacheDataTypeE1EhLi32ELi128ELi256ELb0ELi15EL8MFMAType1EEvPKT_PKT0_S8_ifPKiSA_SA_iPKfiiiPfSD_PS3_PT2_iSC_SC_.kd
    .uniform_work_group_size: 1
    .uses_dynamic_stack: false
    .vgpr_count:     150
    .vgpr_spill_count: 0
    .wavefront_size: 32
    .workgroup_processor_mode: 1
  - .args:
      - .actual_access:  read_only
        .address_space:  global
        .offset:         0
        .size:           8
        .value_kind:     global_buffer
      - .actual_access:  read_only
        .address_space:  global
        .offset:         8
        .size:           8
        .value_kind:     global_buffer
      - .actual_access:  read_only
        .address_space:  global
        .offset:         16
        .size:           8
        .value_kind:     global_buffer
      - .offset:         24
        .size:           4
        .value_kind:     by_value
      - .offset:         28
        .size:           4
        .value_kind:     by_value
      - .actual_access:  read_only
        .address_space:  global
        .offset:         32
        .size:           8
        .value_kind:     global_buffer
      - .actual_access:  read_only
        .address_space:  global
        .offset:         40
        .size:           8
        .value_kind:     global_buffer
      - .actual_access:  read_only
        .address_space:  global
        .offset:         48
        .size:           8
        .value_kind:     global_buffer
      - .offset:         56
        .size:           4
        .value_kind:     by_value
      - .actual_access:  read_only
        .address_space:  global
        .offset:         64
        .size:           8
        .value_kind:     global_buffer
      - .offset:         72
        .size:           4
        .value_kind:     by_value
      - .offset:         76
        .size:           4
        .value_kind:     by_value
      - .offset:         80
        .size:           4
        .value_kind:     by_value
      - .actual_access:  write_only
        .address_space:  global
        .offset:         88
        .size:           8
        .value_kind:     global_buffer
      - .actual_access:  write_only
        .address_space:  global
        .offset:         96
        .size:           8
        .value_kind:     global_buffer
      - .actual_access:  write_only
        .address_space:  global
        .offset:         104
        .size:           8
        .value_kind:     global_buffer
      - .actual_access:  read_only
        .address_space:  global
        .offset:         112
        .size:           8
        .value_kind:     global_buffer
      - .offset:         120
        .size:           4
        .value_kind:     by_value
      - .address_space:  global
        .offset:         128
        .size:           8
        .value_kind:     global_buffer
      - .address_space:  global
        .offset:         136
        .size:           8
        .value_kind:     global_buffer
      - .offset:         144
        .size:           4
        .value_kind:     hidden_block_count_x
      - .offset:         148
        .size:           4
        .value_kind:     hidden_block_count_y
      - .offset:         152
        .size:           4
        .value_kind:     hidden_block_count_z
      - .offset:         156
        .size:           2
        .value_kind:     hidden_group_size_x
      - .offset:         158
        .size:           2
        .value_kind:     hidden_group_size_y
      - .offset:         160
        .size:           2
        .value_kind:     hidden_group_size_z
      - .offset:         162
        .size:           2
        .value_kind:     hidden_remainder_x
      - .offset:         164
        .size:           2
        .value_kind:     hidden_remainder_y
      - .offset:         166
        .size:           2
        .value_kind:     hidden_remainder_z
      - .offset:         184
        .size:           8
        .value_kind:     hidden_global_offset_x
      - .offset:         192
        .size:           8
        .value_kind:     hidden_global_offset_y
      - .offset:         200
        .size:           8
        .value_kind:     hidden_global_offset_z
      - .offset:         208
        .size:           2
        .value_kind:     hidden_grid_dims
    .group_segment_fixed_size: 17472
    .kernarg_segment_align: 8
    .kernarg_segment_size: 400
    .language:       OpenCL C
    .language_version:
      - 2
      - 0
    .max_flat_workgroup_size: 256
    .name:           _Z39paged_attention_ll4mi_QKV_mfma16_kernelIDF16_hLN4vllm18Fp8KVCacheDataTypeE1EhLi32ELi128ELi256ELb0ELi16EL8MFMAType1EEvPKT_PKT0_S8_ifPKiSA_SA_iPKfiiiPfSD_PS3_PT2_iSC_SC_
    .private_segment_fixed_size: 0
    .sgpr_count:     39
    .sgpr_spill_count: 0
    .symbol:         _Z39paged_attention_ll4mi_QKV_mfma16_kernelIDF16_hLN4vllm18Fp8KVCacheDataTypeE1EhLi32ELi128ELi256ELb0ELi16EL8MFMAType1EEvPKT_PKT0_S8_ifPKiSA_SA_iPKfiiiPfSD_PS3_PT2_iSC_SC_.kd
    .uniform_work_group_size: 1
    .uses_dynamic_stack: false
    .vgpr_count:     140
    .vgpr_spill_count: 0
    .wavefront_size: 32
    .workgroup_processor_mode: 1
  - .args:
      - .actual_access:  read_only
        .address_space:  global
        .offset:         0
        .size:           8
        .value_kind:     global_buffer
      - .actual_access:  read_only
        .address_space:  global
        .offset:         8
        .size:           8
        .value_kind:     global_buffer
      - .actual_access:  read_only
        .address_space:  global
        .offset:         16
        .size:           8
        .value_kind:     global_buffer
      - .offset:         24
        .size:           4
        .value_kind:     by_value
      - .offset:         28
        .size:           4
        .value_kind:     by_value
      - .actual_access:  read_only
        .address_space:  global
        .offset:         32
        .size:           8
        .value_kind:     global_buffer
      - .actual_access:  read_only
        .address_space:  global
        .offset:         40
        .size:           8
        .value_kind:     global_buffer
      - .actual_access:  read_only
        .address_space:  global
        .offset:         48
        .size:           8
        .value_kind:     global_buffer
      - .offset:         56
        .size:           4
        .value_kind:     by_value
      - .actual_access:  read_only
        .address_space:  global
        .offset:         64
        .size:           8
        .value_kind:     global_buffer
      - .offset:         72
        .size:           4
        .value_kind:     by_value
      - .offset:         76
        .size:           4
        .value_kind:     by_value
      - .offset:         80
        .size:           4
        .value_kind:     by_value
      - .actual_access:  write_only
        .address_space:  global
        .offset:         88
        .size:           8
        .value_kind:     global_buffer
      - .actual_access:  write_only
        .address_space:  global
        .offset:         96
        .size:           8
        .value_kind:     global_buffer
      - .actual_access:  write_only
        .address_space:  global
        .offset:         104
        .size:           8
        .value_kind:     global_buffer
      - .actual_access:  read_only
        .address_space:  global
        .offset:         112
        .size:           8
        .value_kind:     global_buffer
      - .offset:         120
        .size:           4
        .value_kind:     by_value
      - .address_space:  global
        .offset:         128
        .size:           8
        .value_kind:     global_buffer
      - .address_space:  global
        .offset:         136
        .size:           8
        .value_kind:     global_buffer
      - .offset:         144
        .size:           4
        .value_kind:     hidden_block_count_x
      - .offset:         148
        .size:           4
        .value_kind:     hidden_block_count_y
      - .offset:         152
        .size:           4
        .value_kind:     hidden_block_count_z
      - .offset:         156
        .size:           2
        .value_kind:     hidden_group_size_x
      - .offset:         158
        .size:           2
        .value_kind:     hidden_group_size_y
      - .offset:         160
        .size:           2
        .value_kind:     hidden_group_size_z
      - .offset:         162
        .size:           2
        .value_kind:     hidden_remainder_x
      - .offset:         164
        .size:           2
        .value_kind:     hidden_remainder_y
      - .offset:         166
        .size:           2
        .value_kind:     hidden_remainder_z
      - .offset:         184
        .size:           8
        .value_kind:     hidden_global_offset_x
      - .offset:         192
        .size:           8
        .value_kind:     hidden_global_offset_y
      - .offset:         200
        .size:           8
        .value_kind:     hidden_global_offset_z
      - .offset:         208
        .size:           2
        .value_kind:     hidden_grid_dims
    .group_segment_fixed_size: 17472
    .kernarg_segment_align: 8
    .kernarg_segment_size: 400
    .language:       OpenCL C
    .language_version:
      - 2
      - 0
    .max_flat_workgroup_size: 256
    .name:           _Z39paged_attention_ll4mi_QKV_mfma16_kernelIDF16_hLN4vllm18Fp8KVCacheDataTypeE1EhLi32ELi128ELi256ELb0ELi1EL8MFMAType1EEvPKT_PKT0_S8_ifPKiSA_SA_iPKfiiiPfSD_PS3_PT2_iSC_SC_
    .private_segment_fixed_size: 0
    .sgpr_count:     70
    .sgpr_spill_count: 0
    .symbol:         _Z39paged_attention_ll4mi_QKV_mfma16_kernelIDF16_hLN4vllm18Fp8KVCacheDataTypeE1EhLi32ELi128ELi256ELb0ELi1EL8MFMAType1EEvPKT_PKT0_S8_ifPKiSA_SA_iPKfiiiPfSD_PS3_PT2_iSC_SC_.kd
    .uniform_work_group_size: 1
    .uses_dynamic_stack: false
    .vgpr_count:     134
    .vgpr_spill_count: 0
    .wavefront_size: 32
    .workgroup_processor_mode: 1
  - .args:
      - .actual_access:  read_only
        .address_space:  global
        .offset:         0
        .size:           8
        .value_kind:     global_buffer
      - .actual_access:  read_only
        .address_space:  global
        .offset:         8
        .size:           8
        .value_kind:     global_buffer
      - .actual_access:  read_only
        .address_space:  global
        .offset:         16
        .size:           8
        .value_kind:     global_buffer
      - .offset:         24
        .size:           4
        .value_kind:     by_value
      - .offset:         28
        .size:           4
        .value_kind:     by_value
      - .actual_access:  read_only
        .address_space:  global
        .offset:         32
        .size:           8
        .value_kind:     global_buffer
      - .actual_access:  read_only
        .address_space:  global
        .offset:         40
        .size:           8
        .value_kind:     global_buffer
      - .actual_access:  read_only
        .address_space:  global
        .offset:         48
        .size:           8
        .value_kind:     global_buffer
      - .offset:         56
        .size:           4
        .value_kind:     by_value
      - .actual_access:  read_only
        .address_space:  global
        .offset:         64
        .size:           8
        .value_kind:     global_buffer
      - .offset:         72
        .size:           4
        .value_kind:     by_value
      - .offset:         76
        .size:           4
        .value_kind:     by_value
      - .offset:         80
        .size:           4
        .value_kind:     by_value
      - .actual_access:  write_only
        .address_space:  global
        .offset:         88
        .size:           8
        .value_kind:     global_buffer
      - .actual_access:  write_only
        .address_space:  global
        .offset:         96
        .size:           8
        .value_kind:     global_buffer
      - .actual_access:  write_only
        .address_space:  global
        .offset:         104
        .size:           8
        .value_kind:     global_buffer
      - .actual_access:  read_only
        .address_space:  global
        .offset:         112
        .size:           8
        .value_kind:     global_buffer
      - .offset:         120
        .size:           4
        .value_kind:     by_value
      - .address_space:  global
        .offset:         128
        .size:           8
        .value_kind:     global_buffer
      - .address_space:  global
        .offset:         136
        .size:           8
        .value_kind:     global_buffer
      - .offset:         144
        .size:           4
        .value_kind:     hidden_block_count_x
      - .offset:         148
        .size:           4
        .value_kind:     hidden_block_count_y
      - .offset:         152
        .size:           4
        .value_kind:     hidden_block_count_z
      - .offset:         156
        .size:           2
        .value_kind:     hidden_group_size_x
      - .offset:         158
        .size:           2
        .value_kind:     hidden_group_size_y
      - .offset:         160
        .size:           2
        .value_kind:     hidden_group_size_z
      - .offset:         162
        .size:           2
        .value_kind:     hidden_remainder_x
      - .offset:         164
        .size:           2
        .value_kind:     hidden_remainder_y
      - .offset:         166
        .size:           2
        .value_kind:     hidden_remainder_z
      - .offset:         184
        .size:           8
        .value_kind:     hidden_global_offset_x
      - .offset:         192
        .size:           8
        .value_kind:     hidden_global_offset_y
      - .offset:         200
        .size:           8
        .value_kind:     hidden_global_offset_z
      - .offset:         208
        .size:           2
        .value_kind:     hidden_grid_dims
    .group_segment_fixed_size: 17472
    .kernarg_segment_align: 8
    .kernarg_segment_size: 400
    .language:       OpenCL C
    .language_version:
      - 2
      - 0
    .max_flat_workgroup_size: 256
    .name:           _Z39paged_attention_ll4mi_QKV_mfma16_kernelIDF16_hLN4vllm18Fp8KVCacheDataTypeE1EhLi32ELi128ELi256ELb0ELi2EL8MFMAType1EEvPKT_PKT0_S8_ifPKiSA_SA_iPKfiiiPfSD_PS3_PT2_iSC_SC_
    .private_segment_fixed_size: 0
    .sgpr_count:     41
    .sgpr_spill_count: 0
    .symbol:         _Z39paged_attention_ll4mi_QKV_mfma16_kernelIDF16_hLN4vllm18Fp8KVCacheDataTypeE1EhLi32ELi128ELi256ELb0ELi2EL8MFMAType1EEvPKT_PKT0_S8_ifPKiSA_SA_iPKfiiiPfSD_PS3_PT2_iSC_SC_.kd
    .uniform_work_group_size: 1
    .uses_dynamic_stack: false
    .vgpr_count:     146
    .vgpr_spill_count: 0
    .wavefront_size: 32
    .workgroup_processor_mode: 1
  - .args:
      - .actual_access:  read_only
        .address_space:  global
        .offset:         0
        .size:           8
        .value_kind:     global_buffer
      - .actual_access:  read_only
        .address_space:  global
        .offset:         8
        .size:           8
        .value_kind:     global_buffer
      - .actual_access:  read_only
        .address_space:  global
        .offset:         16
        .size:           8
        .value_kind:     global_buffer
      - .offset:         24
        .size:           4
        .value_kind:     by_value
      - .offset:         28
        .size:           4
        .value_kind:     by_value
      - .actual_access:  read_only
        .address_space:  global
        .offset:         32
        .size:           8
        .value_kind:     global_buffer
      - .actual_access:  read_only
        .address_space:  global
        .offset:         40
        .size:           8
        .value_kind:     global_buffer
      - .actual_access:  read_only
        .address_space:  global
        .offset:         48
        .size:           8
        .value_kind:     global_buffer
      - .offset:         56
        .size:           4
        .value_kind:     by_value
      - .actual_access:  read_only
        .address_space:  global
        .offset:         64
        .size:           8
        .value_kind:     global_buffer
      - .offset:         72
        .size:           4
        .value_kind:     by_value
      - .offset:         76
        .size:           4
        .value_kind:     by_value
      - .offset:         80
        .size:           4
        .value_kind:     by_value
      - .actual_access:  write_only
        .address_space:  global
        .offset:         88
        .size:           8
        .value_kind:     global_buffer
      - .actual_access:  write_only
        .address_space:  global
        .offset:         96
        .size:           8
        .value_kind:     global_buffer
      - .actual_access:  write_only
        .address_space:  global
        .offset:         104
        .size:           8
        .value_kind:     global_buffer
      - .actual_access:  read_only
        .address_space:  global
        .offset:         112
        .size:           8
        .value_kind:     global_buffer
      - .offset:         120
        .size:           4
        .value_kind:     by_value
      - .address_space:  global
        .offset:         128
        .size:           8
        .value_kind:     global_buffer
      - .address_space:  global
        .offset:         136
        .size:           8
        .value_kind:     global_buffer
      - .offset:         144
        .size:           4
        .value_kind:     hidden_block_count_x
      - .offset:         148
        .size:           4
        .value_kind:     hidden_block_count_y
      - .offset:         152
        .size:           4
        .value_kind:     hidden_block_count_z
      - .offset:         156
        .size:           2
        .value_kind:     hidden_group_size_x
      - .offset:         158
        .size:           2
        .value_kind:     hidden_group_size_y
      - .offset:         160
        .size:           2
        .value_kind:     hidden_group_size_z
      - .offset:         162
        .size:           2
        .value_kind:     hidden_remainder_x
      - .offset:         164
        .size:           2
        .value_kind:     hidden_remainder_y
      - .offset:         166
        .size:           2
        .value_kind:     hidden_remainder_z
      - .offset:         184
        .size:           8
        .value_kind:     hidden_global_offset_x
      - .offset:         192
        .size:           8
        .value_kind:     hidden_global_offset_y
      - .offset:         200
        .size:           8
        .value_kind:     hidden_global_offset_z
      - .offset:         208
        .size:           2
        .value_kind:     hidden_grid_dims
    .group_segment_fixed_size: 17472
    .kernarg_segment_align: 8
    .kernarg_segment_size: 400
    .language:       OpenCL C
    .language_version:
      - 2
      - 0
    .max_flat_workgroup_size: 256
    .name:           _Z39paged_attention_ll4mi_QKV_mfma16_kernelIDF16_hLN4vllm18Fp8KVCacheDataTypeE1EhLi32ELi128ELi256ELb0ELi3EL8MFMAType1EEvPKT_PKT0_S8_ifPKiSA_SA_iPKfiiiPfSD_PS3_PT2_iSC_SC_
    .private_segment_fixed_size: 0
    .sgpr_count:     39
    .sgpr_spill_count: 0
    .symbol:         _Z39paged_attention_ll4mi_QKV_mfma16_kernelIDF16_hLN4vllm18Fp8KVCacheDataTypeE1EhLi32ELi128ELi256ELb0ELi3EL8MFMAType1EEvPKT_PKT0_S8_ifPKiSA_SA_iPKfiiiPfSD_PS3_PT2_iSC_SC_.kd
    .uniform_work_group_size: 1
    .uses_dynamic_stack: false
    .vgpr_count:     150
    .vgpr_spill_count: 0
    .wavefront_size: 32
    .workgroup_processor_mode: 1
  - .args:
      - .actual_access:  read_only
        .address_space:  global
        .offset:         0
        .size:           8
        .value_kind:     global_buffer
      - .actual_access:  read_only
        .address_space:  global
        .offset:         8
        .size:           8
        .value_kind:     global_buffer
      - .actual_access:  read_only
        .address_space:  global
        .offset:         16
        .size:           8
        .value_kind:     global_buffer
      - .offset:         24
        .size:           4
        .value_kind:     by_value
      - .offset:         28
        .size:           4
        .value_kind:     by_value
      - .actual_access:  read_only
        .address_space:  global
        .offset:         32
        .size:           8
        .value_kind:     global_buffer
      - .actual_access:  read_only
        .address_space:  global
        .offset:         40
        .size:           8
        .value_kind:     global_buffer
      - .actual_access:  read_only
        .address_space:  global
        .offset:         48
        .size:           8
        .value_kind:     global_buffer
      - .offset:         56
        .size:           4
        .value_kind:     by_value
      - .actual_access:  read_only
        .address_space:  global
        .offset:         64
        .size:           8
        .value_kind:     global_buffer
      - .offset:         72
        .size:           4
        .value_kind:     by_value
      - .offset:         76
        .size:           4
        .value_kind:     by_value
      - .offset:         80
        .size:           4
        .value_kind:     by_value
      - .actual_access:  write_only
        .address_space:  global
        .offset:         88
        .size:           8
        .value_kind:     global_buffer
      - .actual_access:  write_only
        .address_space:  global
        .offset:         96
        .size:           8
        .value_kind:     global_buffer
      - .actual_access:  write_only
        .address_space:  global
        .offset:         104
        .size:           8
        .value_kind:     global_buffer
      - .actual_access:  read_only
        .address_space:  global
        .offset:         112
        .size:           8
        .value_kind:     global_buffer
      - .offset:         120
        .size:           4
        .value_kind:     by_value
      - .address_space:  global
        .offset:         128
        .size:           8
        .value_kind:     global_buffer
      - .address_space:  global
        .offset:         136
        .size:           8
        .value_kind:     global_buffer
      - .offset:         144
        .size:           4
        .value_kind:     hidden_block_count_x
      - .offset:         148
        .size:           4
        .value_kind:     hidden_block_count_y
      - .offset:         152
        .size:           4
        .value_kind:     hidden_block_count_z
      - .offset:         156
        .size:           2
        .value_kind:     hidden_group_size_x
      - .offset:         158
        .size:           2
        .value_kind:     hidden_group_size_y
      - .offset:         160
        .size:           2
        .value_kind:     hidden_group_size_z
      - .offset:         162
        .size:           2
        .value_kind:     hidden_remainder_x
      - .offset:         164
        .size:           2
        .value_kind:     hidden_remainder_y
      - .offset:         166
        .size:           2
        .value_kind:     hidden_remainder_z
      - .offset:         184
        .size:           8
        .value_kind:     hidden_global_offset_x
      - .offset:         192
        .size:           8
        .value_kind:     hidden_global_offset_y
      - .offset:         200
        .size:           8
        .value_kind:     hidden_global_offset_z
      - .offset:         208
        .size:           2
        .value_kind:     hidden_grid_dims
    .group_segment_fixed_size: 17472
    .kernarg_segment_align: 8
    .kernarg_segment_size: 400
    .language:       OpenCL C
    .language_version:
      - 2
      - 0
    .max_flat_workgroup_size: 256
    .name:           _Z39paged_attention_ll4mi_QKV_mfma16_kernelIDF16_hLN4vllm18Fp8KVCacheDataTypeE1EhLi32ELi128ELi256ELb0ELi4EL8MFMAType1EEvPKT_PKT0_S8_ifPKiSA_SA_iPKfiiiPfSD_PS3_PT2_iSC_SC_
    .private_segment_fixed_size: 0
    .sgpr_count:     38
    .sgpr_spill_count: 0
    .symbol:         _Z39paged_attention_ll4mi_QKV_mfma16_kernelIDF16_hLN4vllm18Fp8KVCacheDataTypeE1EhLi32ELi128ELi256ELb0ELi4EL8MFMAType1EEvPKT_PKT0_S8_ifPKiSA_SA_iPKfiiiPfSD_PS3_PT2_iSC_SC_.kd
    .uniform_work_group_size: 1
    .uses_dynamic_stack: false
    .vgpr_count:     140
    .vgpr_spill_count: 0
    .wavefront_size: 32
    .workgroup_processor_mode: 1
  - .args:
      - .actual_access:  read_only
        .address_space:  global
        .offset:         0
        .size:           8
        .value_kind:     global_buffer
      - .actual_access:  read_only
        .address_space:  global
        .offset:         8
        .size:           8
        .value_kind:     global_buffer
      - .actual_access:  read_only
        .address_space:  global
        .offset:         16
        .size:           8
        .value_kind:     global_buffer
      - .offset:         24
        .size:           4
        .value_kind:     by_value
      - .offset:         28
        .size:           4
        .value_kind:     by_value
      - .actual_access:  read_only
        .address_space:  global
        .offset:         32
        .size:           8
        .value_kind:     global_buffer
      - .actual_access:  read_only
        .address_space:  global
        .offset:         40
        .size:           8
        .value_kind:     global_buffer
      - .actual_access:  read_only
        .address_space:  global
        .offset:         48
        .size:           8
        .value_kind:     global_buffer
      - .offset:         56
        .size:           4
        .value_kind:     by_value
      - .actual_access:  read_only
        .address_space:  global
        .offset:         64
        .size:           8
        .value_kind:     global_buffer
      - .offset:         72
        .size:           4
        .value_kind:     by_value
      - .offset:         76
        .size:           4
        .value_kind:     by_value
      - .offset:         80
        .size:           4
        .value_kind:     by_value
      - .actual_access:  read_only
        .address_space:  global
        .offset:         88
        .size:           8
        .value_kind:     global_buffer
      - .actual_access:  read_only
        .address_space:  global
        .offset:         96
        .size:           8
        .value_kind:     global_buffer
      - .actual_access:  read_only
        .address_space:  global
        .offset:         104
        .size:           8
        .value_kind:     global_buffer
      - .actual_access:  read_only
        .address_space:  global
        .offset:         112
        .size:           8
        .value_kind:     global_buffer
      - .offset:         120
        .size:           4
        .value_kind:     by_value
      - .address_space:  global
        .offset:         128
        .size:           8
        .value_kind:     global_buffer
      - .address_space:  global
        .offset:         136
        .size:           8
        .value_kind:     global_buffer
      - .offset:         144
        .size:           4
        .value_kind:     hidden_block_count_x
      - .offset:         148
        .size:           4
        .value_kind:     hidden_block_count_y
      - .offset:         152
        .size:           4
        .value_kind:     hidden_block_count_z
      - .offset:         156
        .size:           2
        .value_kind:     hidden_group_size_x
      - .offset:         158
        .size:           2
        .value_kind:     hidden_group_size_y
      - .offset:         160
        .size:           2
        .value_kind:     hidden_group_size_z
      - .offset:         162
        .size:           2
        .value_kind:     hidden_remainder_x
      - .offset:         164
        .size:           2
        .value_kind:     hidden_remainder_y
      - .offset:         166
        .size:           2
        .value_kind:     hidden_remainder_z
      - .offset:         184
        .size:           8
        .value_kind:     hidden_global_offset_x
      - .offset:         192
        .size:           8
        .value_kind:     hidden_global_offset_y
      - .offset:         200
        .size:           8
        .value_kind:     hidden_global_offset_z
      - .offset:         208
        .size:           2
        .value_kind:     hidden_grid_dims
      - .offset:         224
        .size:           8
        .value_kind:     hidden_hostcall_buffer
    .group_segment_fixed_size: 0
    .kernarg_segment_align: 8
    .kernarg_segment_size: 400
    .language:       OpenCL C
    .language_version:
      - 2
      - 0
    .max_flat_workgroup_size: 256
    .name:           _Z38paged_attention_ll4mi_QKV_mfma4_kernelIDF16_hLN4vllm18Fp8KVCacheDataTypeE1EDF16_Li32ELi128ELi256ELb1ELi1EEvPKT_PKT0_S7_ifPKiS9_S9_iPKfiiiPfSC_PS2_PT2_iSB_SB_
    .private_segment_fixed_size: 64
    .sgpr_count:     36
    .sgpr_spill_count: 0
    .symbol:         _Z38paged_attention_ll4mi_QKV_mfma4_kernelIDF16_hLN4vllm18Fp8KVCacheDataTypeE1EDF16_Li32ELi128ELi256ELb1ELi1EEvPKT_PKT0_S7_ifPKiS9_S9_iPKfiiiPfSC_PS2_PT2_iSB_SB_.kd
    .uniform_work_group_size: 1
    .uses_dynamic_stack: false
    .vgpr_count:     41
    .vgpr_spill_count: 0
    .wavefront_size: 32
    .workgroup_processor_mode: 1
  - .args:
      - .actual_access:  read_only
        .address_space:  global
        .offset:         0
        .size:           8
        .value_kind:     global_buffer
      - .actual_access:  read_only
        .address_space:  global
        .offset:         8
        .size:           8
        .value_kind:     global_buffer
      - .actual_access:  read_only
        .address_space:  global
        .offset:         16
        .size:           8
        .value_kind:     global_buffer
      - .offset:         24
        .size:           4
        .value_kind:     by_value
      - .offset:         28
        .size:           4
        .value_kind:     by_value
      - .actual_access:  read_only
        .address_space:  global
        .offset:         32
        .size:           8
        .value_kind:     global_buffer
      - .actual_access:  read_only
        .address_space:  global
        .offset:         40
        .size:           8
        .value_kind:     global_buffer
      - .actual_access:  read_only
        .address_space:  global
        .offset:         48
        .size:           8
        .value_kind:     global_buffer
      - .offset:         56
        .size:           4
        .value_kind:     by_value
      - .actual_access:  read_only
        .address_space:  global
        .offset:         64
        .size:           8
        .value_kind:     global_buffer
      - .offset:         72
        .size:           4
        .value_kind:     by_value
      - .offset:         76
        .size:           4
        .value_kind:     by_value
      - .offset:         80
        .size:           4
        .value_kind:     by_value
      - .actual_access:  read_only
        .address_space:  global
        .offset:         88
        .size:           8
        .value_kind:     global_buffer
      - .actual_access:  read_only
        .address_space:  global
        .offset:         96
        .size:           8
        .value_kind:     global_buffer
      - .actual_access:  read_only
        .address_space:  global
        .offset:         104
        .size:           8
        .value_kind:     global_buffer
      - .actual_access:  read_only
        .address_space:  global
        .offset:         112
        .size:           8
        .value_kind:     global_buffer
      - .offset:         120
        .size:           4
        .value_kind:     by_value
      - .address_space:  global
        .offset:         128
        .size:           8
        .value_kind:     global_buffer
      - .address_space:  global
        .offset:         136
        .size:           8
        .value_kind:     global_buffer
      - .offset:         144
        .size:           4
        .value_kind:     hidden_block_count_x
      - .offset:         148
        .size:           4
        .value_kind:     hidden_block_count_y
      - .offset:         152
        .size:           4
        .value_kind:     hidden_block_count_z
      - .offset:         156
        .size:           2
        .value_kind:     hidden_group_size_x
      - .offset:         158
        .size:           2
        .value_kind:     hidden_group_size_y
      - .offset:         160
        .size:           2
        .value_kind:     hidden_group_size_z
      - .offset:         162
        .size:           2
        .value_kind:     hidden_remainder_x
      - .offset:         164
        .size:           2
        .value_kind:     hidden_remainder_y
      - .offset:         166
        .size:           2
        .value_kind:     hidden_remainder_z
      - .offset:         184
        .size:           8
        .value_kind:     hidden_global_offset_x
      - .offset:         192
        .size:           8
        .value_kind:     hidden_global_offset_y
      - .offset:         200
        .size:           8
        .value_kind:     hidden_global_offset_z
      - .offset:         208
        .size:           2
        .value_kind:     hidden_grid_dims
      - .offset:         224
        .size:           8
        .value_kind:     hidden_hostcall_buffer
    .group_segment_fixed_size: 0
    .kernarg_segment_align: 8
    .kernarg_segment_size: 400
    .language:       OpenCL C
    .language_version:
      - 2
      - 0
    .max_flat_workgroup_size: 256
    .name:           _Z38paged_attention_ll4mi_QKV_mfma4_kernelIDF16_hLN4vllm18Fp8KVCacheDataTypeE1EDF16_Li32ELi128ELi256ELb1ELi2EEvPKT_PKT0_S7_ifPKiS9_S9_iPKfiiiPfSC_PS2_PT2_iSB_SB_
    .private_segment_fixed_size: 64
    .sgpr_count:     36
    .sgpr_spill_count: 0
    .symbol:         _Z38paged_attention_ll4mi_QKV_mfma4_kernelIDF16_hLN4vllm18Fp8KVCacheDataTypeE1EDF16_Li32ELi128ELi256ELb1ELi2EEvPKT_PKT0_S7_ifPKiS9_S9_iPKfiiiPfSC_PS2_PT2_iSB_SB_.kd
    .uniform_work_group_size: 1
    .uses_dynamic_stack: false
    .vgpr_count:     41
    .vgpr_spill_count: 0
    .wavefront_size: 32
    .workgroup_processor_mode: 1
  - .args:
      - .actual_access:  read_only
        .address_space:  global
        .offset:         0
        .size:           8
        .value_kind:     global_buffer
      - .actual_access:  read_only
        .address_space:  global
        .offset:         8
        .size:           8
        .value_kind:     global_buffer
      - .actual_access:  read_only
        .address_space:  global
        .offset:         16
        .size:           8
        .value_kind:     global_buffer
      - .offset:         24
        .size:           4
        .value_kind:     by_value
      - .offset:         28
        .size:           4
        .value_kind:     by_value
      - .actual_access:  read_only
        .address_space:  global
        .offset:         32
        .size:           8
        .value_kind:     global_buffer
      - .actual_access:  read_only
        .address_space:  global
        .offset:         40
        .size:           8
        .value_kind:     global_buffer
      - .actual_access:  read_only
        .address_space:  global
        .offset:         48
        .size:           8
        .value_kind:     global_buffer
      - .offset:         56
        .size:           4
        .value_kind:     by_value
      - .actual_access:  read_only
        .address_space:  global
        .offset:         64
        .size:           8
        .value_kind:     global_buffer
      - .offset:         72
        .size:           4
        .value_kind:     by_value
      - .offset:         76
        .size:           4
        .value_kind:     by_value
      - .offset:         80
        .size:           4
        .value_kind:     by_value
      - .actual_access:  read_only
        .address_space:  global
        .offset:         88
        .size:           8
        .value_kind:     global_buffer
      - .actual_access:  read_only
        .address_space:  global
        .offset:         96
        .size:           8
        .value_kind:     global_buffer
      - .actual_access:  read_only
        .address_space:  global
        .offset:         104
        .size:           8
        .value_kind:     global_buffer
      - .actual_access:  read_only
        .address_space:  global
        .offset:         112
        .size:           8
        .value_kind:     global_buffer
      - .offset:         120
        .size:           4
        .value_kind:     by_value
      - .address_space:  global
        .offset:         128
        .size:           8
        .value_kind:     global_buffer
      - .address_space:  global
        .offset:         136
        .size:           8
        .value_kind:     global_buffer
      - .offset:         144
        .size:           4
        .value_kind:     hidden_block_count_x
      - .offset:         148
        .size:           4
        .value_kind:     hidden_block_count_y
      - .offset:         152
        .size:           4
        .value_kind:     hidden_block_count_z
      - .offset:         156
        .size:           2
        .value_kind:     hidden_group_size_x
      - .offset:         158
        .size:           2
        .value_kind:     hidden_group_size_y
      - .offset:         160
        .size:           2
        .value_kind:     hidden_group_size_z
      - .offset:         162
        .size:           2
        .value_kind:     hidden_remainder_x
      - .offset:         164
        .size:           2
        .value_kind:     hidden_remainder_y
      - .offset:         166
        .size:           2
        .value_kind:     hidden_remainder_z
      - .offset:         184
        .size:           8
        .value_kind:     hidden_global_offset_x
      - .offset:         192
        .size:           8
        .value_kind:     hidden_global_offset_y
      - .offset:         200
        .size:           8
        .value_kind:     hidden_global_offset_z
      - .offset:         208
        .size:           2
        .value_kind:     hidden_grid_dims
      - .offset:         224
        .size:           8
        .value_kind:     hidden_hostcall_buffer
    .group_segment_fixed_size: 0
    .kernarg_segment_align: 8
    .kernarg_segment_size: 400
    .language:       OpenCL C
    .language_version:
      - 2
      - 0
    .max_flat_workgroup_size: 256
    .name:           _Z38paged_attention_ll4mi_QKV_mfma4_kernelIDF16_hLN4vllm18Fp8KVCacheDataTypeE1EDF16_Li32ELi128ELi256ELb1ELi3EEvPKT_PKT0_S7_ifPKiS9_S9_iPKfiiiPfSC_PS2_PT2_iSB_SB_
    .private_segment_fixed_size: 64
    .sgpr_count:     36
    .sgpr_spill_count: 0
    .symbol:         _Z38paged_attention_ll4mi_QKV_mfma4_kernelIDF16_hLN4vllm18Fp8KVCacheDataTypeE1EDF16_Li32ELi128ELi256ELb1ELi3EEvPKT_PKT0_S7_ifPKiS9_S9_iPKfiiiPfSC_PS2_PT2_iSB_SB_.kd
    .uniform_work_group_size: 1
    .uses_dynamic_stack: false
    .vgpr_count:     41
    .vgpr_spill_count: 0
    .wavefront_size: 32
    .workgroup_processor_mode: 1
  - .args:
      - .actual_access:  read_only
        .address_space:  global
        .offset:         0
        .size:           8
        .value_kind:     global_buffer
      - .actual_access:  read_only
        .address_space:  global
        .offset:         8
        .size:           8
        .value_kind:     global_buffer
      - .actual_access:  read_only
        .address_space:  global
        .offset:         16
        .size:           8
        .value_kind:     global_buffer
      - .offset:         24
        .size:           4
        .value_kind:     by_value
      - .offset:         28
        .size:           4
        .value_kind:     by_value
      - .actual_access:  read_only
        .address_space:  global
        .offset:         32
        .size:           8
        .value_kind:     global_buffer
      - .actual_access:  read_only
        .address_space:  global
        .offset:         40
        .size:           8
        .value_kind:     global_buffer
      - .actual_access:  read_only
        .address_space:  global
        .offset:         48
        .size:           8
        .value_kind:     global_buffer
      - .offset:         56
        .size:           4
        .value_kind:     by_value
      - .actual_access:  read_only
        .address_space:  global
        .offset:         64
        .size:           8
        .value_kind:     global_buffer
      - .offset:         72
        .size:           4
        .value_kind:     by_value
      - .offset:         76
        .size:           4
        .value_kind:     by_value
      - .offset:         80
        .size:           4
        .value_kind:     by_value
      - .actual_access:  read_only
        .address_space:  global
        .offset:         88
        .size:           8
        .value_kind:     global_buffer
      - .actual_access:  read_only
        .address_space:  global
        .offset:         96
        .size:           8
        .value_kind:     global_buffer
      - .actual_access:  read_only
        .address_space:  global
        .offset:         104
        .size:           8
        .value_kind:     global_buffer
      - .actual_access:  read_only
        .address_space:  global
        .offset:         112
        .size:           8
        .value_kind:     global_buffer
      - .offset:         120
        .size:           4
        .value_kind:     by_value
      - .address_space:  global
        .offset:         128
        .size:           8
        .value_kind:     global_buffer
      - .address_space:  global
        .offset:         136
        .size:           8
        .value_kind:     global_buffer
      - .offset:         144
        .size:           4
        .value_kind:     hidden_block_count_x
      - .offset:         148
        .size:           4
        .value_kind:     hidden_block_count_y
      - .offset:         152
        .size:           4
        .value_kind:     hidden_block_count_z
      - .offset:         156
        .size:           2
        .value_kind:     hidden_group_size_x
      - .offset:         158
        .size:           2
        .value_kind:     hidden_group_size_y
      - .offset:         160
        .size:           2
        .value_kind:     hidden_group_size_z
      - .offset:         162
        .size:           2
        .value_kind:     hidden_remainder_x
      - .offset:         164
        .size:           2
        .value_kind:     hidden_remainder_y
      - .offset:         166
        .size:           2
        .value_kind:     hidden_remainder_z
      - .offset:         184
        .size:           8
        .value_kind:     hidden_global_offset_x
      - .offset:         192
        .size:           8
        .value_kind:     hidden_global_offset_y
      - .offset:         200
        .size:           8
        .value_kind:     hidden_global_offset_z
      - .offset:         208
        .size:           2
        .value_kind:     hidden_grid_dims
      - .offset:         224
        .size:           8
        .value_kind:     hidden_hostcall_buffer
    .group_segment_fixed_size: 0
    .kernarg_segment_align: 8
    .kernarg_segment_size: 400
    .language:       OpenCL C
    .language_version:
      - 2
      - 0
    .max_flat_workgroup_size: 256
    .name:           _Z38paged_attention_ll4mi_QKV_mfma4_kernelIDF16_hLN4vllm18Fp8KVCacheDataTypeE1EDF16_Li32ELi128ELi256ELb1ELi4EEvPKT_PKT0_S7_ifPKiS9_S9_iPKfiiiPfSC_PS2_PT2_iSB_SB_
    .private_segment_fixed_size: 64
    .sgpr_count:     36
    .sgpr_spill_count: 0
    .symbol:         _Z38paged_attention_ll4mi_QKV_mfma4_kernelIDF16_hLN4vllm18Fp8KVCacheDataTypeE1EDF16_Li32ELi128ELi256ELb1ELi4EEvPKT_PKT0_S7_ifPKiS9_S9_iPKfiiiPfSC_PS2_PT2_iSB_SB_.kd
    .uniform_work_group_size: 1
    .uses_dynamic_stack: false
    .vgpr_count:     41
    .vgpr_spill_count: 0
    .wavefront_size: 32
    .workgroup_processor_mode: 1
  - .args:
      - .actual_access:  read_only
        .address_space:  global
        .offset:         0
        .size:           8
        .value_kind:     global_buffer
      - .actual_access:  read_only
        .address_space:  global
        .offset:         8
        .size:           8
        .value_kind:     global_buffer
      - .actual_access:  read_only
        .address_space:  global
        .offset:         16
        .size:           8
        .value_kind:     global_buffer
      - .offset:         24
        .size:           4
        .value_kind:     by_value
      - .offset:         28
        .size:           4
        .value_kind:     by_value
      - .actual_access:  read_only
        .address_space:  global
        .offset:         32
        .size:           8
        .value_kind:     global_buffer
      - .actual_access:  read_only
        .address_space:  global
        .offset:         40
        .size:           8
        .value_kind:     global_buffer
      - .actual_access:  read_only
        .address_space:  global
        .offset:         48
        .size:           8
        .value_kind:     global_buffer
      - .offset:         56
        .size:           4
        .value_kind:     by_value
      - .actual_access:  read_only
        .address_space:  global
        .offset:         64
        .size:           8
        .value_kind:     global_buffer
      - .offset:         72
        .size:           4
        .value_kind:     by_value
      - .offset:         76
        .size:           4
        .value_kind:     by_value
      - .offset:         80
        .size:           4
        .value_kind:     by_value
      - .actual_access:  write_only
        .address_space:  global
        .offset:         88
        .size:           8
        .value_kind:     global_buffer
      - .actual_access:  write_only
        .address_space:  global
        .offset:         96
        .size:           8
        .value_kind:     global_buffer
      - .actual_access:  write_only
        .address_space:  global
        .offset:         104
        .size:           8
        .value_kind:     global_buffer
      - .actual_access:  read_only
        .address_space:  global
        .offset:         112
        .size:           8
        .value_kind:     global_buffer
      - .offset:         120
        .size:           4
        .value_kind:     by_value
      - .address_space:  global
        .offset:         128
        .size:           8
        .value_kind:     global_buffer
      - .address_space:  global
        .offset:         136
        .size:           8
        .value_kind:     global_buffer
      - .offset:         144
        .size:           4
        .value_kind:     hidden_block_count_x
      - .offset:         148
        .size:           4
        .value_kind:     hidden_block_count_y
      - .offset:         152
        .size:           4
        .value_kind:     hidden_block_count_z
      - .offset:         156
        .size:           2
        .value_kind:     hidden_group_size_x
      - .offset:         158
        .size:           2
        .value_kind:     hidden_group_size_y
      - .offset:         160
        .size:           2
        .value_kind:     hidden_group_size_z
      - .offset:         162
        .size:           2
        .value_kind:     hidden_remainder_x
      - .offset:         164
        .size:           2
        .value_kind:     hidden_remainder_y
      - .offset:         166
        .size:           2
        .value_kind:     hidden_remainder_z
      - .offset:         184
        .size:           8
        .value_kind:     hidden_global_offset_x
      - .offset:         192
        .size:           8
        .value_kind:     hidden_global_offset_y
      - .offset:         200
        .size:           8
        .value_kind:     hidden_global_offset_z
      - .offset:         208
        .size:           2
        .value_kind:     hidden_grid_dims
    .group_segment_fixed_size: 17472
    .kernarg_segment_align: 8
    .kernarg_segment_size: 400
    .language:       OpenCL C
    .language_version:
      - 2
      - 0
    .max_flat_workgroup_size: 256
    .name:           _Z39paged_attention_ll4mi_QKV_mfma16_kernelIDF16_hLN4vllm18Fp8KVCacheDataTypeE1EDF16_Li32ELi128ELi256ELb1ELi5EL8MFMAType1EEvPKT_PKT0_S8_ifPKiSA_SA_iPKfiiiPfSD_PS3_PT2_iSC_SC_
    .private_segment_fixed_size: 0
    .sgpr_count:     39
    .sgpr_spill_count: 0
    .symbol:         _Z39paged_attention_ll4mi_QKV_mfma16_kernelIDF16_hLN4vllm18Fp8KVCacheDataTypeE1EDF16_Li32ELi128ELi256ELb1ELi5EL8MFMAType1EEvPKT_PKT0_S8_ifPKiSA_SA_iPKfiiiPfSD_PS3_PT2_iSC_SC_.kd
    .uniform_work_group_size: 1
    .uses_dynamic_stack: false
    .vgpr_count:     150
    .vgpr_spill_count: 0
    .wavefront_size: 32
    .workgroup_processor_mode: 1
  - .args:
      - .actual_access:  read_only
        .address_space:  global
        .offset:         0
        .size:           8
        .value_kind:     global_buffer
      - .actual_access:  read_only
        .address_space:  global
        .offset:         8
        .size:           8
        .value_kind:     global_buffer
      - .actual_access:  read_only
        .address_space:  global
        .offset:         16
        .size:           8
        .value_kind:     global_buffer
      - .offset:         24
        .size:           4
        .value_kind:     by_value
      - .offset:         28
        .size:           4
        .value_kind:     by_value
      - .actual_access:  read_only
        .address_space:  global
        .offset:         32
        .size:           8
        .value_kind:     global_buffer
      - .actual_access:  read_only
        .address_space:  global
        .offset:         40
        .size:           8
        .value_kind:     global_buffer
      - .actual_access:  read_only
        .address_space:  global
        .offset:         48
        .size:           8
        .value_kind:     global_buffer
      - .offset:         56
        .size:           4
        .value_kind:     by_value
      - .actual_access:  read_only
        .address_space:  global
        .offset:         64
        .size:           8
        .value_kind:     global_buffer
      - .offset:         72
        .size:           4
        .value_kind:     by_value
      - .offset:         76
        .size:           4
        .value_kind:     by_value
      - .offset:         80
        .size:           4
        .value_kind:     by_value
      - .actual_access:  write_only
        .address_space:  global
        .offset:         88
        .size:           8
        .value_kind:     global_buffer
      - .actual_access:  write_only
        .address_space:  global
        .offset:         96
        .size:           8
        .value_kind:     global_buffer
      - .actual_access:  write_only
        .address_space:  global
        .offset:         104
        .size:           8
        .value_kind:     global_buffer
      - .actual_access:  read_only
        .address_space:  global
        .offset:         112
        .size:           8
        .value_kind:     global_buffer
      - .offset:         120
        .size:           4
        .value_kind:     by_value
      - .address_space:  global
        .offset:         128
        .size:           8
        .value_kind:     global_buffer
      - .address_space:  global
        .offset:         136
        .size:           8
        .value_kind:     global_buffer
      - .offset:         144
        .size:           4
        .value_kind:     hidden_block_count_x
      - .offset:         148
        .size:           4
        .value_kind:     hidden_block_count_y
      - .offset:         152
        .size:           4
        .value_kind:     hidden_block_count_z
      - .offset:         156
        .size:           2
        .value_kind:     hidden_group_size_x
      - .offset:         158
        .size:           2
        .value_kind:     hidden_group_size_y
      - .offset:         160
        .size:           2
        .value_kind:     hidden_group_size_z
      - .offset:         162
        .size:           2
        .value_kind:     hidden_remainder_x
      - .offset:         164
        .size:           2
        .value_kind:     hidden_remainder_y
      - .offset:         166
        .size:           2
        .value_kind:     hidden_remainder_z
      - .offset:         184
        .size:           8
        .value_kind:     hidden_global_offset_x
      - .offset:         192
        .size:           8
        .value_kind:     hidden_global_offset_y
      - .offset:         200
        .size:           8
        .value_kind:     hidden_global_offset_z
      - .offset:         208
        .size:           2
        .value_kind:     hidden_grid_dims
    .group_segment_fixed_size: 17472
    .kernarg_segment_align: 8
    .kernarg_segment_size: 400
    .language:       OpenCL C
    .language_version:
      - 2
      - 0
    .max_flat_workgroup_size: 256
    .name:           _Z39paged_attention_ll4mi_QKV_mfma16_kernelIDF16_hLN4vllm18Fp8KVCacheDataTypeE1EDF16_Li32ELi128ELi256ELb1ELi6EL8MFMAType1EEvPKT_PKT0_S8_ifPKiSA_SA_iPKfiiiPfSD_PS3_PT2_iSC_SC_
    .private_segment_fixed_size: 0
    .sgpr_count:     39
    .sgpr_spill_count: 0
    .symbol:         _Z39paged_attention_ll4mi_QKV_mfma16_kernelIDF16_hLN4vllm18Fp8KVCacheDataTypeE1EDF16_Li32ELi128ELi256ELb1ELi6EL8MFMAType1EEvPKT_PKT0_S8_ifPKiSA_SA_iPKfiiiPfSD_PS3_PT2_iSC_SC_.kd
    .uniform_work_group_size: 1
    .uses_dynamic_stack: false
    .vgpr_count:     150
    .vgpr_spill_count: 0
    .wavefront_size: 32
    .workgroup_processor_mode: 1
  - .args:
      - .actual_access:  read_only
        .address_space:  global
        .offset:         0
        .size:           8
        .value_kind:     global_buffer
      - .actual_access:  read_only
        .address_space:  global
        .offset:         8
        .size:           8
        .value_kind:     global_buffer
      - .actual_access:  read_only
        .address_space:  global
        .offset:         16
        .size:           8
        .value_kind:     global_buffer
      - .offset:         24
        .size:           4
        .value_kind:     by_value
      - .offset:         28
        .size:           4
        .value_kind:     by_value
      - .actual_access:  read_only
        .address_space:  global
        .offset:         32
        .size:           8
        .value_kind:     global_buffer
      - .actual_access:  read_only
        .address_space:  global
        .offset:         40
        .size:           8
        .value_kind:     global_buffer
      - .actual_access:  read_only
        .address_space:  global
        .offset:         48
        .size:           8
        .value_kind:     global_buffer
      - .offset:         56
        .size:           4
        .value_kind:     by_value
      - .actual_access:  read_only
        .address_space:  global
        .offset:         64
        .size:           8
        .value_kind:     global_buffer
      - .offset:         72
        .size:           4
        .value_kind:     by_value
      - .offset:         76
        .size:           4
        .value_kind:     by_value
      - .offset:         80
        .size:           4
        .value_kind:     by_value
      - .actual_access:  write_only
        .address_space:  global
        .offset:         88
        .size:           8
        .value_kind:     global_buffer
      - .actual_access:  write_only
        .address_space:  global
        .offset:         96
        .size:           8
        .value_kind:     global_buffer
      - .actual_access:  write_only
        .address_space:  global
        .offset:         104
        .size:           8
        .value_kind:     global_buffer
      - .actual_access:  read_only
        .address_space:  global
        .offset:         112
        .size:           8
        .value_kind:     global_buffer
      - .offset:         120
        .size:           4
        .value_kind:     by_value
      - .address_space:  global
        .offset:         128
        .size:           8
        .value_kind:     global_buffer
      - .address_space:  global
        .offset:         136
        .size:           8
        .value_kind:     global_buffer
      - .offset:         144
        .size:           4
        .value_kind:     hidden_block_count_x
      - .offset:         148
        .size:           4
        .value_kind:     hidden_block_count_y
      - .offset:         152
        .size:           4
        .value_kind:     hidden_block_count_z
      - .offset:         156
        .size:           2
        .value_kind:     hidden_group_size_x
      - .offset:         158
        .size:           2
        .value_kind:     hidden_group_size_y
      - .offset:         160
        .size:           2
        .value_kind:     hidden_group_size_z
      - .offset:         162
        .size:           2
        .value_kind:     hidden_remainder_x
      - .offset:         164
        .size:           2
        .value_kind:     hidden_remainder_y
      - .offset:         166
        .size:           2
        .value_kind:     hidden_remainder_z
      - .offset:         184
        .size:           8
        .value_kind:     hidden_global_offset_x
      - .offset:         192
        .size:           8
        .value_kind:     hidden_global_offset_y
      - .offset:         200
        .size:           8
        .value_kind:     hidden_global_offset_z
      - .offset:         208
        .size:           2
        .value_kind:     hidden_grid_dims
    .group_segment_fixed_size: 17472
    .kernarg_segment_align: 8
    .kernarg_segment_size: 400
    .language:       OpenCL C
    .language_version:
      - 2
      - 0
    .max_flat_workgroup_size: 256
    .name:           _Z39paged_attention_ll4mi_QKV_mfma16_kernelIDF16_hLN4vllm18Fp8KVCacheDataTypeE1EDF16_Li32ELi128ELi256ELb1ELi7EL8MFMAType1EEvPKT_PKT0_S8_ifPKiSA_SA_iPKfiiiPfSD_PS3_PT2_iSC_SC_
    .private_segment_fixed_size: 0
    .sgpr_count:     39
    .sgpr_spill_count: 0
    .symbol:         _Z39paged_attention_ll4mi_QKV_mfma16_kernelIDF16_hLN4vllm18Fp8KVCacheDataTypeE1EDF16_Li32ELi128ELi256ELb1ELi7EL8MFMAType1EEvPKT_PKT0_S8_ifPKiSA_SA_iPKfiiiPfSD_PS3_PT2_iSC_SC_.kd
    .uniform_work_group_size: 1
    .uses_dynamic_stack: false
    .vgpr_count:     150
    .vgpr_spill_count: 0
    .wavefront_size: 32
    .workgroup_processor_mode: 1
  - .args:
      - .actual_access:  read_only
        .address_space:  global
        .offset:         0
        .size:           8
        .value_kind:     global_buffer
      - .actual_access:  read_only
        .address_space:  global
        .offset:         8
        .size:           8
        .value_kind:     global_buffer
      - .actual_access:  read_only
        .address_space:  global
        .offset:         16
        .size:           8
        .value_kind:     global_buffer
      - .offset:         24
        .size:           4
        .value_kind:     by_value
      - .offset:         28
        .size:           4
        .value_kind:     by_value
      - .actual_access:  read_only
        .address_space:  global
        .offset:         32
        .size:           8
        .value_kind:     global_buffer
      - .actual_access:  read_only
        .address_space:  global
        .offset:         40
        .size:           8
        .value_kind:     global_buffer
      - .actual_access:  read_only
        .address_space:  global
        .offset:         48
        .size:           8
        .value_kind:     global_buffer
      - .offset:         56
        .size:           4
        .value_kind:     by_value
      - .actual_access:  read_only
        .address_space:  global
        .offset:         64
        .size:           8
        .value_kind:     global_buffer
      - .offset:         72
        .size:           4
        .value_kind:     by_value
      - .offset:         76
        .size:           4
        .value_kind:     by_value
      - .offset:         80
        .size:           4
        .value_kind:     by_value
      - .actual_access:  write_only
        .address_space:  global
        .offset:         88
        .size:           8
        .value_kind:     global_buffer
      - .actual_access:  write_only
        .address_space:  global
        .offset:         96
        .size:           8
        .value_kind:     global_buffer
      - .actual_access:  write_only
        .address_space:  global
        .offset:         104
        .size:           8
        .value_kind:     global_buffer
      - .actual_access:  read_only
        .address_space:  global
        .offset:         112
        .size:           8
        .value_kind:     global_buffer
      - .offset:         120
        .size:           4
        .value_kind:     by_value
      - .address_space:  global
        .offset:         128
        .size:           8
        .value_kind:     global_buffer
      - .address_space:  global
        .offset:         136
        .size:           8
        .value_kind:     global_buffer
      - .offset:         144
        .size:           4
        .value_kind:     hidden_block_count_x
      - .offset:         148
        .size:           4
        .value_kind:     hidden_block_count_y
      - .offset:         152
        .size:           4
        .value_kind:     hidden_block_count_z
      - .offset:         156
        .size:           2
        .value_kind:     hidden_group_size_x
      - .offset:         158
        .size:           2
        .value_kind:     hidden_group_size_y
      - .offset:         160
        .size:           2
        .value_kind:     hidden_group_size_z
      - .offset:         162
        .size:           2
        .value_kind:     hidden_remainder_x
      - .offset:         164
        .size:           2
        .value_kind:     hidden_remainder_y
      - .offset:         166
        .size:           2
        .value_kind:     hidden_remainder_z
      - .offset:         184
        .size:           8
        .value_kind:     hidden_global_offset_x
      - .offset:         192
        .size:           8
        .value_kind:     hidden_global_offset_y
      - .offset:         200
        .size:           8
        .value_kind:     hidden_global_offset_z
      - .offset:         208
        .size:           2
        .value_kind:     hidden_grid_dims
    .group_segment_fixed_size: 17472
    .kernarg_segment_align: 8
    .kernarg_segment_size: 400
    .language:       OpenCL C
    .language_version:
      - 2
      - 0
    .max_flat_workgroup_size: 256
    .name:           _Z39paged_attention_ll4mi_QKV_mfma16_kernelIDF16_hLN4vllm18Fp8KVCacheDataTypeE1EDF16_Li32ELi128ELi256ELb1ELi8EL8MFMAType1EEvPKT_PKT0_S8_ifPKiSA_SA_iPKfiiiPfSD_PS3_PT2_iSC_SC_
    .private_segment_fixed_size: 0
    .sgpr_count:     38
    .sgpr_spill_count: 0
    .symbol:         _Z39paged_attention_ll4mi_QKV_mfma16_kernelIDF16_hLN4vllm18Fp8KVCacheDataTypeE1EDF16_Li32ELi128ELi256ELb1ELi8EL8MFMAType1EEvPKT_PKT0_S8_ifPKiSA_SA_iPKfiiiPfSD_PS3_PT2_iSC_SC_.kd
    .uniform_work_group_size: 1
    .uses_dynamic_stack: false
    .vgpr_count:     140
    .vgpr_spill_count: 0
    .wavefront_size: 32
    .workgroup_processor_mode: 1
  - .args:
      - .actual_access:  read_only
        .address_space:  global
        .offset:         0
        .size:           8
        .value_kind:     global_buffer
      - .actual_access:  read_only
        .address_space:  global
        .offset:         8
        .size:           8
        .value_kind:     global_buffer
      - .actual_access:  read_only
        .address_space:  global
        .offset:         16
        .size:           8
        .value_kind:     global_buffer
      - .offset:         24
        .size:           4
        .value_kind:     by_value
      - .offset:         28
        .size:           4
        .value_kind:     by_value
      - .actual_access:  read_only
        .address_space:  global
        .offset:         32
        .size:           8
        .value_kind:     global_buffer
      - .actual_access:  read_only
        .address_space:  global
        .offset:         40
        .size:           8
        .value_kind:     global_buffer
      - .actual_access:  read_only
        .address_space:  global
        .offset:         48
        .size:           8
        .value_kind:     global_buffer
      - .offset:         56
        .size:           4
        .value_kind:     by_value
      - .actual_access:  read_only
        .address_space:  global
        .offset:         64
        .size:           8
        .value_kind:     global_buffer
      - .offset:         72
        .size:           4
        .value_kind:     by_value
      - .offset:         76
        .size:           4
        .value_kind:     by_value
      - .offset:         80
        .size:           4
        .value_kind:     by_value
      - .actual_access:  write_only
        .address_space:  global
        .offset:         88
        .size:           8
        .value_kind:     global_buffer
      - .actual_access:  write_only
        .address_space:  global
        .offset:         96
        .size:           8
        .value_kind:     global_buffer
      - .actual_access:  write_only
        .address_space:  global
        .offset:         104
        .size:           8
        .value_kind:     global_buffer
      - .actual_access:  read_only
        .address_space:  global
        .offset:         112
        .size:           8
        .value_kind:     global_buffer
      - .offset:         120
        .size:           4
        .value_kind:     by_value
      - .address_space:  global
        .offset:         128
        .size:           8
        .value_kind:     global_buffer
      - .address_space:  global
        .offset:         136
        .size:           8
        .value_kind:     global_buffer
      - .offset:         144
        .size:           4
        .value_kind:     hidden_block_count_x
      - .offset:         148
        .size:           4
        .value_kind:     hidden_block_count_y
      - .offset:         152
        .size:           4
        .value_kind:     hidden_block_count_z
      - .offset:         156
        .size:           2
        .value_kind:     hidden_group_size_x
      - .offset:         158
        .size:           2
        .value_kind:     hidden_group_size_y
      - .offset:         160
        .size:           2
        .value_kind:     hidden_group_size_z
      - .offset:         162
        .size:           2
        .value_kind:     hidden_remainder_x
      - .offset:         164
        .size:           2
        .value_kind:     hidden_remainder_y
      - .offset:         166
        .size:           2
        .value_kind:     hidden_remainder_z
      - .offset:         184
        .size:           8
        .value_kind:     hidden_global_offset_x
      - .offset:         192
        .size:           8
        .value_kind:     hidden_global_offset_y
      - .offset:         200
        .size:           8
        .value_kind:     hidden_global_offset_z
      - .offset:         208
        .size:           2
        .value_kind:     hidden_grid_dims
    .group_segment_fixed_size: 17472
    .kernarg_segment_align: 8
    .kernarg_segment_size: 400
    .language:       OpenCL C
    .language_version:
      - 2
      - 0
    .max_flat_workgroup_size: 256
    .name:           _Z39paged_attention_ll4mi_QKV_mfma16_kernelIDF16_hLN4vllm18Fp8KVCacheDataTypeE1EDF16_Li32ELi128ELi256ELb1ELi9EL8MFMAType1EEvPKT_PKT0_S8_ifPKiSA_SA_iPKfiiiPfSD_PS3_PT2_iSC_SC_
    .private_segment_fixed_size: 0
    .sgpr_count:     39
    .sgpr_spill_count: 0
    .symbol:         _Z39paged_attention_ll4mi_QKV_mfma16_kernelIDF16_hLN4vllm18Fp8KVCacheDataTypeE1EDF16_Li32ELi128ELi256ELb1ELi9EL8MFMAType1EEvPKT_PKT0_S8_ifPKiSA_SA_iPKfiiiPfSD_PS3_PT2_iSC_SC_.kd
    .uniform_work_group_size: 1
    .uses_dynamic_stack: false
    .vgpr_count:     150
    .vgpr_spill_count: 0
    .wavefront_size: 32
    .workgroup_processor_mode: 1
  - .args:
      - .actual_access:  read_only
        .address_space:  global
        .offset:         0
        .size:           8
        .value_kind:     global_buffer
      - .actual_access:  read_only
        .address_space:  global
        .offset:         8
        .size:           8
        .value_kind:     global_buffer
      - .actual_access:  read_only
        .address_space:  global
        .offset:         16
        .size:           8
        .value_kind:     global_buffer
      - .offset:         24
        .size:           4
        .value_kind:     by_value
      - .offset:         28
        .size:           4
        .value_kind:     by_value
      - .actual_access:  read_only
        .address_space:  global
        .offset:         32
        .size:           8
        .value_kind:     global_buffer
      - .actual_access:  read_only
        .address_space:  global
        .offset:         40
        .size:           8
        .value_kind:     global_buffer
      - .actual_access:  read_only
        .address_space:  global
        .offset:         48
        .size:           8
        .value_kind:     global_buffer
      - .offset:         56
        .size:           4
        .value_kind:     by_value
      - .actual_access:  read_only
        .address_space:  global
        .offset:         64
        .size:           8
        .value_kind:     global_buffer
      - .offset:         72
        .size:           4
        .value_kind:     by_value
      - .offset:         76
        .size:           4
        .value_kind:     by_value
      - .offset:         80
        .size:           4
        .value_kind:     by_value
      - .actual_access:  write_only
        .address_space:  global
        .offset:         88
        .size:           8
        .value_kind:     global_buffer
      - .actual_access:  write_only
        .address_space:  global
        .offset:         96
        .size:           8
        .value_kind:     global_buffer
      - .actual_access:  write_only
        .address_space:  global
        .offset:         104
        .size:           8
        .value_kind:     global_buffer
      - .actual_access:  read_only
        .address_space:  global
        .offset:         112
        .size:           8
        .value_kind:     global_buffer
      - .offset:         120
        .size:           4
        .value_kind:     by_value
      - .address_space:  global
        .offset:         128
        .size:           8
        .value_kind:     global_buffer
      - .address_space:  global
        .offset:         136
        .size:           8
        .value_kind:     global_buffer
      - .offset:         144
        .size:           4
        .value_kind:     hidden_block_count_x
      - .offset:         148
        .size:           4
        .value_kind:     hidden_block_count_y
      - .offset:         152
        .size:           4
        .value_kind:     hidden_block_count_z
      - .offset:         156
        .size:           2
        .value_kind:     hidden_group_size_x
      - .offset:         158
        .size:           2
        .value_kind:     hidden_group_size_y
      - .offset:         160
        .size:           2
        .value_kind:     hidden_group_size_z
      - .offset:         162
        .size:           2
        .value_kind:     hidden_remainder_x
      - .offset:         164
        .size:           2
        .value_kind:     hidden_remainder_y
      - .offset:         166
        .size:           2
        .value_kind:     hidden_remainder_z
      - .offset:         184
        .size:           8
        .value_kind:     hidden_global_offset_x
      - .offset:         192
        .size:           8
        .value_kind:     hidden_global_offset_y
      - .offset:         200
        .size:           8
        .value_kind:     hidden_global_offset_z
      - .offset:         208
        .size:           2
        .value_kind:     hidden_grid_dims
    .group_segment_fixed_size: 17472
    .kernarg_segment_align: 8
    .kernarg_segment_size: 400
    .language:       OpenCL C
    .language_version:
      - 2
      - 0
    .max_flat_workgroup_size: 256
    .name:           _Z39paged_attention_ll4mi_QKV_mfma16_kernelIDF16_hLN4vllm18Fp8KVCacheDataTypeE1EDF16_Li32ELi128ELi256ELb1ELi10EL8MFMAType1EEvPKT_PKT0_S8_ifPKiSA_SA_iPKfiiiPfSD_PS3_PT2_iSC_SC_
    .private_segment_fixed_size: 0
    .sgpr_count:     39
    .sgpr_spill_count: 0
    .symbol:         _Z39paged_attention_ll4mi_QKV_mfma16_kernelIDF16_hLN4vllm18Fp8KVCacheDataTypeE1EDF16_Li32ELi128ELi256ELb1ELi10EL8MFMAType1EEvPKT_PKT0_S8_ifPKiSA_SA_iPKfiiiPfSD_PS3_PT2_iSC_SC_.kd
    .uniform_work_group_size: 1
    .uses_dynamic_stack: false
    .vgpr_count:     150
    .vgpr_spill_count: 0
    .wavefront_size: 32
    .workgroup_processor_mode: 1
  - .args:
      - .actual_access:  read_only
        .address_space:  global
        .offset:         0
        .size:           8
        .value_kind:     global_buffer
      - .actual_access:  read_only
        .address_space:  global
        .offset:         8
        .size:           8
        .value_kind:     global_buffer
      - .actual_access:  read_only
        .address_space:  global
        .offset:         16
        .size:           8
        .value_kind:     global_buffer
      - .offset:         24
        .size:           4
        .value_kind:     by_value
      - .offset:         28
        .size:           4
        .value_kind:     by_value
      - .actual_access:  read_only
        .address_space:  global
        .offset:         32
        .size:           8
        .value_kind:     global_buffer
      - .actual_access:  read_only
        .address_space:  global
        .offset:         40
        .size:           8
        .value_kind:     global_buffer
      - .actual_access:  read_only
        .address_space:  global
        .offset:         48
        .size:           8
        .value_kind:     global_buffer
      - .offset:         56
        .size:           4
        .value_kind:     by_value
      - .actual_access:  read_only
        .address_space:  global
        .offset:         64
        .size:           8
        .value_kind:     global_buffer
      - .offset:         72
        .size:           4
        .value_kind:     by_value
      - .offset:         76
        .size:           4
        .value_kind:     by_value
      - .offset:         80
        .size:           4
        .value_kind:     by_value
      - .actual_access:  write_only
        .address_space:  global
        .offset:         88
        .size:           8
        .value_kind:     global_buffer
      - .actual_access:  write_only
        .address_space:  global
        .offset:         96
        .size:           8
        .value_kind:     global_buffer
      - .actual_access:  write_only
        .address_space:  global
        .offset:         104
        .size:           8
        .value_kind:     global_buffer
      - .actual_access:  read_only
        .address_space:  global
        .offset:         112
        .size:           8
        .value_kind:     global_buffer
      - .offset:         120
        .size:           4
        .value_kind:     by_value
      - .address_space:  global
        .offset:         128
        .size:           8
        .value_kind:     global_buffer
      - .address_space:  global
        .offset:         136
        .size:           8
        .value_kind:     global_buffer
      - .offset:         144
        .size:           4
        .value_kind:     hidden_block_count_x
      - .offset:         148
        .size:           4
        .value_kind:     hidden_block_count_y
      - .offset:         152
        .size:           4
        .value_kind:     hidden_block_count_z
      - .offset:         156
        .size:           2
        .value_kind:     hidden_group_size_x
      - .offset:         158
        .size:           2
        .value_kind:     hidden_group_size_y
      - .offset:         160
        .size:           2
        .value_kind:     hidden_group_size_z
      - .offset:         162
        .size:           2
        .value_kind:     hidden_remainder_x
      - .offset:         164
        .size:           2
        .value_kind:     hidden_remainder_y
      - .offset:         166
        .size:           2
        .value_kind:     hidden_remainder_z
      - .offset:         184
        .size:           8
        .value_kind:     hidden_global_offset_x
      - .offset:         192
        .size:           8
        .value_kind:     hidden_global_offset_y
      - .offset:         200
        .size:           8
        .value_kind:     hidden_global_offset_z
      - .offset:         208
        .size:           2
        .value_kind:     hidden_grid_dims
    .group_segment_fixed_size: 17472
    .kernarg_segment_align: 8
    .kernarg_segment_size: 400
    .language:       OpenCL C
    .language_version:
      - 2
      - 0
    .max_flat_workgroup_size: 256
    .name:           _Z39paged_attention_ll4mi_QKV_mfma16_kernelIDF16_hLN4vllm18Fp8KVCacheDataTypeE1EDF16_Li32ELi128ELi256ELb1ELi11EL8MFMAType1EEvPKT_PKT0_S8_ifPKiSA_SA_iPKfiiiPfSD_PS3_PT2_iSC_SC_
    .private_segment_fixed_size: 0
    .sgpr_count:     39
    .sgpr_spill_count: 0
    .symbol:         _Z39paged_attention_ll4mi_QKV_mfma16_kernelIDF16_hLN4vllm18Fp8KVCacheDataTypeE1EDF16_Li32ELi128ELi256ELb1ELi11EL8MFMAType1EEvPKT_PKT0_S8_ifPKiSA_SA_iPKfiiiPfSD_PS3_PT2_iSC_SC_.kd
    .uniform_work_group_size: 1
    .uses_dynamic_stack: false
    .vgpr_count:     150
    .vgpr_spill_count: 0
    .wavefront_size: 32
    .workgroup_processor_mode: 1
  - .args:
      - .actual_access:  read_only
        .address_space:  global
        .offset:         0
        .size:           8
        .value_kind:     global_buffer
      - .actual_access:  read_only
        .address_space:  global
        .offset:         8
        .size:           8
        .value_kind:     global_buffer
      - .actual_access:  read_only
        .address_space:  global
        .offset:         16
        .size:           8
        .value_kind:     global_buffer
      - .offset:         24
        .size:           4
        .value_kind:     by_value
      - .offset:         28
        .size:           4
        .value_kind:     by_value
      - .actual_access:  read_only
        .address_space:  global
        .offset:         32
        .size:           8
        .value_kind:     global_buffer
      - .actual_access:  read_only
        .address_space:  global
        .offset:         40
        .size:           8
        .value_kind:     global_buffer
      - .actual_access:  read_only
        .address_space:  global
        .offset:         48
        .size:           8
        .value_kind:     global_buffer
      - .offset:         56
        .size:           4
        .value_kind:     by_value
      - .actual_access:  read_only
        .address_space:  global
        .offset:         64
        .size:           8
        .value_kind:     global_buffer
      - .offset:         72
        .size:           4
        .value_kind:     by_value
      - .offset:         76
        .size:           4
        .value_kind:     by_value
      - .offset:         80
        .size:           4
        .value_kind:     by_value
      - .actual_access:  write_only
        .address_space:  global
        .offset:         88
        .size:           8
        .value_kind:     global_buffer
      - .actual_access:  write_only
        .address_space:  global
        .offset:         96
        .size:           8
        .value_kind:     global_buffer
      - .actual_access:  write_only
        .address_space:  global
        .offset:         104
        .size:           8
        .value_kind:     global_buffer
      - .actual_access:  read_only
        .address_space:  global
        .offset:         112
        .size:           8
        .value_kind:     global_buffer
      - .offset:         120
        .size:           4
        .value_kind:     by_value
      - .address_space:  global
        .offset:         128
        .size:           8
        .value_kind:     global_buffer
      - .address_space:  global
        .offset:         136
        .size:           8
        .value_kind:     global_buffer
      - .offset:         144
        .size:           4
        .value_kind:     hidden_block_count_x
      - .offset:         148
        .size:           4
        .value_kind:     hidden_block_count_y
      - .offset:         152
        .size:           4
        .value_kind:     hidden_block_count_z
      - .offset:         156
        .size:           2
        .value_kind:     hidden_group_size_x
      - .offset:         158
        .size:           2
        .value_kind:     hidden_group_size_y
      - .offset:         160
        .size:           2
        .value_kind:     hidden_group_size_z
      - .offset:         162
        .size:           2
        .value_kind:     hidden_remainder_x
      - .offset:         164
        .size:           2
        .value_kind:     hidden_remainder_y
      - .offset:         166
        .size:           2
        .value_kind:     hidden_remainder_z
      - .offset:         184
        .size:           8
        .value_kind:     hidden_global_offset_x
      - .offset:         192
        .size:           8
        .value_kind:     hidden_global_offset_y
      - .offset:         200
        .size:           8
        .value_kind:     hidden_global_offset_z
      - .offset:         208
        .size:           2
        .value_kind:     hidden_grid_dims
    .group_segment_fixed_size: 17472
    .kernarg_segment_align: 8
    .kernarg_segment_size: 400
    .language:       OpenCL C
    .language_version:
      - 2
      - 0
    .max_flat_workgroup_size: 256
    .name:           _Z39paged_attention_ll4mi_QKV_mfma16_kernelIDF16_hLN4vllm18Fp8KVCacheDataTypeE1EDF16_Li32ELi128ELi256ELb1ELi12EL8MFMAType1EEvPKT_PKT0_S8_ifPKiSA_SA_iPKfiiiPfSD_PS3_PT2_iSC_SC_
    .private_segment_fixed_size: 0
    .sgpr_count:     39
    .sgpr_spill_count: 0
    .symbol:         _Z39paged_attention_ll4mi_QKV_mfma16_kernelIDF16_hLN4vllm18Fp8KVCacheDataTypeE1EDF16_Li32ELi128ELi256ELb1ELi12EL8MFMAType1EEvPKT_PKT0_S8_ifPKiSA_SA_iPKfiiiPfSD_PS3_PT2_iSC_SC_.kd
    .uniform_work_group_size: 1
    .uses_dynamic_stack: false
    .vgpr_count:     150
    .vgpr_spill_count: 0
    .wavefront_size: 32
    .workgroup_processor_mode: 1
  - .args:
      - .actual_access:  read_only
        .address_space:  global
        .offset:         0
        .size:           8
        .value_kind:     global_buffer
      - .actual_access:  read_only
        .address_space:  global
        .offset:         8
        .size:           8
        .value_kind:     global_buffer
      - .actual_access:  read_only
        .address_space:  global
        .offset:         16
        .size:           8
        .value_kind:     global_buffer
      - .offset:         24
        .size:           4
        .value_kind:     by_value
      - .offset:         28
        .size:           4
        .value_kind:     by_value
      - .actual_access:  read_only
        .address_space:  global
        .offset:         32
        .size:           8
        .value_kind:     global_buffer
      - .actual_access:  read_only
        .address_space:  global
        .offset:         40
        .size:           8
        .value_kind:     global_buffer
      - .actual_access:  read_only
        .address_space:  global
        .offset:         48
        .size:           8
        .value_kind:     global_buffer
      - .offset:         56
        .size:           4
        .value_kind:     by_value
      - .actual_access:  read_only
        .address_space:  global
        .offset:         64
        .size:           8
        .value_kind:     global_buffer
      - .offset:         72
        .size:           4
        .value_kind:     by_value
      - .offset:         76
        .size:           4
        .value_kind:     by_value
      - .offset:         80
        .size:           4
        .value_kind:     by_value
      - .actual_access:  write_only
        .address_space:  global
        .offset:         88
        .size:           8
        .value_kind:     global_buffer
      - .actual_access:  write_only
        .address_space:  global
        .offset:         96
        .size:           8
        .value_kind:     global_buffer
      - .actual_access:  write_only
        .address_space:  global
        .offset:         104
        .size:           8
        .value_kind:     global_buffer
      - .actual_access:  read_only
        .address_space:  global
        .offset:         112
        .size:           8
        .value_kind:     global_buffer
      - .offset:         120
        .size:           4
        .value_kind:     by_value
      - .address_space:  global
        .offset:         128
        .size:           8
        .value_kind:     global_buffer
      - .address_space:  global
        .offset:         136
        .size:           8
        .value_kind:     global_buffer
      - .offset:         144
        .size:           4
        .value_kind:     hidden_block_count_x
      - .offset:         148
        .size:           4
        .value_kind:     hidden_block_count_y
      - .offset:         152
        .size:           4
        .value_kind:     hidden_block_count_z
      - .offset:         156
        .size:           2
        .value_kind:     hidden_group_size_x
      - .offset:         158
        .size:           2
        .value_kind:     hidden_group_size_y
      - .offset:         160
        .size:           2
        .value_kind:     hidden_group_size_z
      - .offset:         162
        .size:           2
        .value_kind:     hidden_remainder_x
      - .offset:         164
        .size:           2
        .value_kind:     hidden_remainder_y
      - .offset:         166
        .size:           2
        .value_kind:     hidden_remainder_z
      - .offset:         184
        .size:           8
        .value_kind:     hidden_global_offset_x
      - .offset:         192
        .size:           8
        .value_kind:     hidden_global_offset_y
      - .offset:         200
        .size:           8
        .value_kind:     hidden_global_offset_z
      - .offset:         208
        .size:           2
        .value_kind:     hidden_grid_dims
    .group_segment_fixed_size: 17472
    .kernarg_segment_align: 8
    .kernarg_segment_size: 400
    .language:       OpenCL C
    .language_version:
      - 2
      - 0
    .max_flat_workgroup_size: 256
    .name:           _Z39paged_attention_ll4mi_QKV_mfma16_kernelIDF16_hLN4vllm18Fp8KVCacheDataTypeE1EDF16_Li32ELi128ELi256ELb1ELi13EL8MFMAType1EEvPKT_PKT0_S8_ifPKiSA_SA_iPKfiiiPfSD_PS3_PT2_iSC_SC_
    .private_segment_fixed_size: 0
    .sgpr_count:     39
    .sgpr_spill_count: 0
    .symbol:         _Z39paged_attention_ll4mi_QKV_mfma16_kernelIDF16_hLN4vllm18Fp8KVCacheDataTypeE1EDF16_Li32ELi128ELi256ELb1ELi13EL8MFMAType1EEvPKT_PKT0_S8_ifPKiSA_SA_iPKfiiiPfSD_PS3_PT2_iSC_SC_.kd
    .uniform_work_group_size: 1
    .uses_dynamic_stack: false
    .vgpr_count:     150
    .vgpr_spill_count: 0
    .wavefront_size: 32
    .workgroup_processor_mode: 1
  - .args:
      - .actual_access:  read_only
        .address_space:  global
        .offset:         0
        .size:           8
        .value_kind:     global_buffer
      - .actual_access:  read_only
        .address_space:  global
        .offset:         8
        .size:           8
        .value_kind:     global_buffer
      - .actual_access:  read_only
        .address_space:  global
        .offset:         16
        .size:           8
        .value_kind:     global_buffer
      - .offset:         24
        .size:           4
        .value_kind:     by_value
      - .offset:         28
        .size:           4
        .value_kind:     by_value
      - .actual_access:  read_only
        .address_space:  global
        .offset:         32
        .size:           8
        .value_kind:     global_buffer
      - .actual_access:  read_only
        .address_space:  global
        .offset:         40
        .size:           8
        .value_kind:     global_buffer
      - .actual_access:  read_only
        .address_space:  global
        .offset:         48
        .size:           8
        .value_kind:     global_buffer
      - .offset:         56
        .size:           4
        .value_kind:     by_value
      - .actual_access:  read_only
        .address_space:  global
        .offset:         64
        .size:           8
        .value_kind:     global_buffer
      - .offset:         72
        .size:           4
        .value_kind:     by_value
      - .offset:         76
        .size:           4
        .value_kind:     by_value
      - .offset:         80
        .size:           4
        .value_kind:     by_value
      - .actual_access:  write_only
        .address_space:  global
        .offset:         88
        .size:           8
        .value_kind:     global_buffer
      - .actual_access:  write_only
        .address_space:  global
        .offset:         96
        .size:           8
        .value_kind:     global_buffer
      - .actual_access:  write_only
        .address_space:  global
        .offset:         104
        .size:           8
        .value_kind:     global_buffer
      - .actual_access:  read_only
        .address_space:  global
        .offset:         112
        .size:           8
        .value_kind:     global_buffer
      - .offset:         120
        .size:           4
        .value_kind:     by_value
      - .address_space:  global
        .offset:         128
        .size:           8
        .value_kind:     global_buffer
      - .address_space:  global
        .offset:         136
        .size:           8
        .value_kind:     global_buffer
      - .offset:         144
        .size:           4
        .value_kind:     hidden_block_count_x
      - .offset:         148
        .size:           4
        .value_kind:     hidden_block_count_y
      - .offset:         152
        .size:           4
        .value_kind:     hidden_block_count_z
      - .offset:         156
        .size:           2
        .value_kind:     hidden_group_size_x
      - .offset:         158
        .size:           2
        .value_kind:     hidden_group_size_y
      - .offset:         160
        .size:           2
        .value_kind:     hidden_group_size_z
      - .offset:         162
        .size:           2
        .value_kind:     hidden_remainder_x
      - .offset:         164
        .size:           2
        .value_kind:     hidden_remainder_y
      - .offset:         166
        .size:           2
        .value_kind:     hidden_remainder_z
      - .offset:         184
        .size:           8
        .value_kind:     hidden_global_offset_x
      - .offset:         192
        .size:           8
        .value_kind:     hidden_global_offset_y
      - .offset:         200
        .size:           8
        .value_kind:     hidden_global_offset_z
      - .offset:         208
        .size:           2
        .value_kind:     hidden_grid_dims
    .group_segment_fixed_size: 17472
    .kernarg_segment_align: 8
    .kernarg_segment_size: 400
    .language:       OpenCL C
    .language_version:
      - 2
      - 0
    .max_flat_workgroup_size: 256
    .name:           _Z39paged_attention_ll4mi_QKV_mfma16_kernelIDF16_hLN4vllm18Fp8KVCacheDataTypeE1EDF16_Li32ELi128ELi256ELb1ELi14EL8MFMAType1EEvPKT_PKT0_S8_ifPKiSA_SA_iPKfiiiPfSD_PS3_PT2_iSC_SC_
    .private_segment_fixed_size: 0
    .sgpr_count:     39
    .sgpr_spill_count: 0
    .symbol:         _Z39paged_attention_ll4mi_QKV_mfma16_kernelIDF16_hLN4vllm18Fp8KVCacheDataTypeE1EDF16_Li32ELi128ELi256ELb1ELi14EL8MFMAType1EEvPKT_PKT0_S8_ifPKiSA_SA_iPKfiiiPfSD_PS3_PT2_iSC_SC_.kd
    .uniform_work_group_size: 1
    .uses_dynamic_stack: false
    .vgpr_count:     150
    .vgpr_spill_count: 0
    .wavefront_size: 32
    .workgroup_processor_mode: 1
  - .args:
      - .actual_access:  read_only
        .address_space:  global
        .offset:         0
        .size:           8
        .value_kind:     global_buffer
      - .actual_access:  read_only
        .address_space:  global
        .offset:         8
        .size:           8
        .value_kind:     global_buffer
      - .actual_access:  read_only
        .address_space:  global
        .offset:         16
        .size:           8
        .value_kind:     global_buffer
      - .offset:         24
        .size:           4
        .value_kind:     by_value
      - .offset:         28
        .size:           4
        .value_kind:     by_value
      - .actual_access:  read_only
        .address_space:  global
        .offset:         32
        .size:           8
        .value_kind:     global_buffer
      - .actual_access:  read_only
        .address_space:  global
        .offset:         40
        .size:           8
        .value_kind:     global_buffer
      - .actual_access:  read_only
        .address_space:  global
        .offset:         48
        .size:           8
        .value_kind:     global_buffer
      - .offset:         56
        .size:           4
        .value_kind:     by_value
      - .actual_access:  read_only
        .address_space:  global
        .offset:         64
        .size:           8
        .value_kind:     global_buffer
      - .offset:         72
        .size:           4
        .value_kind:     by_value
      - .offset:         76
        .size:           4
        .value_kind:     by_value
      - .offset:         80
        .size:           4
        .value_kind:     by_value
      - .actual_access:  write_only
        .address_space:  global
        .offset:         88
        .size:           8
        .value_kind:     global_buffer
      - .actual_access:  write_only
        .address_space:  global
        .offset:         96
        .size:           8
        .value_kind:     global_buffer
      - .actual_access:  write_only
        .address_space:  global
        .offset:         104
        .size:           8
        .value_kind:     global_buffer
      - .actual_access:  read_only
        .address_space:  global
        .offset:         112
        .size:           8
        .value_kind:     global_buffer
      - .offset:         120
        .size:           4
        .value_kind:     by_value
      - .address_space:  global
        .offset:         128
        .size:           8
        .value_kind:     global_buffer
      - .address_space:  global
        .offset:         136
        .size:           8
        .value_kind:     global_buffer
      - .offset:         144
        .size:           4
        .value_kind:     hidden_block_count_x
      - .offset:         148
        .size:           4
        .value_kind:     hidden_block_count_y
      - .offset:         152
        .size:           4
        .value_kind:     hidden_block_count_z
      - .offset:         156
        .size:           2
        .value_kind:     hidden_group_size_x
      - .offset:         158
        .size:           2
        .value_kind:     hidden_group_size_y
      - .offset:         160
        .size:           2
        .value_kind:     hidden_group_size_z
      - .offset:         162
        .size:           2
        .value_kind:     hidden_remainder_x
      - .offset:         164
        .size:           2
        .value_kind:     hidden_remainder_y
      - .offset:         166
        .size:           2
        .value_kind:     hidden_remainder_z
      - .offset:         184
        .size:           8
        .value_kind:     hidden_global_offset_x
      - .offset:         192
        .size:           8
        .value_kind:     hidden_global_offset_y
      - .offset:         200
        .size:           8
        .value_kind:     hidden_global_offset_z
      - .offset:         208
        .size:           2
        .value_kind:     hidden_grid_dims
    .group_segment_fixed_size: 17472
    .kernarg_segment_align: 8
    .kernarg_segment_size: 400
    .language:       OpenCL C
    .language_version:
      - 2
      - 0
    .max_flat_workgroup_size: 256
    .name:           _Z39paged_attention_ll4mi_QKV_mfma16_kernelIDF16_hLN4vllm18Fp8KVCacheDataTypeE1EDF16_Li32ELi128ELi256ELb1ELi15EL8MFMAType1EEvPKT_PKT0_S8_ifPKiSA_SA_iPKfiiiPfSD_PS3_PT2_iSC_SC_
    .private_segment_fixed_size: 0
    .sgpr_count:     39
    .sgpr_spill_count: 0
    .symbol:         _Z39paged_attention_ll4mi_QKV_mfma16_kernelIDF16_hLN4vllm18Fp8KVCacheDataTypeE1EDF16_Li32ELi128ELi256ELb1ELi15EL8MFMAType1EEvPKT_PKT0_S8_ifPKiSA_SA_iPKfiiiPfSD_PS3_PT2_iSC_SC_.kd
    .uniform_work_group_size: 1
    .uses_dynamic_stack: false
    .vgpr_count:     150
    .vgpr_spill_count: 0
    .wavefront_size: 32
    .workgroup_processor_mode: 1
  - .args:
      - .actual_access:  read_only
        .address_space:  global
        .offset:         0
        .size:           8
        .value_kind:     global_buffer
      - .actual_access:  read_only
        .address_space:  global
        .offset:         8
        .size:           8
        .value_kind:     global_buffer
      - .actual_access:  read_only
        .address_space:  global
        .offset:         16
        .size:           8
        .value_kind:     global_buffer
      - .offset:         24
        .size:           4
        .value_kind:     by_value
      - .offset:         28
        .size:           4
        .value_kind:     by_value
      - .actual_access:  read_only
        .address_space:  global
        .offset:         32
        .size:           8
        .value_kind:     global_buffer
      - .actual_access:  read_only
        .address_space:  global
        .offset:         40
        .size:           8
        .value_kind:     global_buffer
      - .actual_access:  read_only
        .address_space:  global
        .offset:         48
        .size:           8
        .value_kind:     global_buffer
      - .offset:         56
        .size:           4
        .value_kind:     by_value
      - .actual_access:  read_only
        .address_space:  global
        .offset:         64
        .size:           8
        .value_kind:     global_buffer
      - .offset:         72
        .size:           4
        .value_kind:     by_value
      - .offset:         76
        .size:           4
        .value_kind:     by_value
      - .offset:         80
        .size:           4
        .value_kind:     by_value
      - .actual_access:  write_only
        .address_space:  global
        .offset:         88
        .size:           8
        .value_kind:     global_buffer
      - .actual_access:  write_only
        .address_space:  global
        .offset:         96
        .size:           8
        .value_kind:     global_buffer
      - .actual_access:  write_only
        .address_space:  global
        .offset:         104
        .size:           8
        .value_kind:     global_buffer
      - .actual_access:  read_only
        .address_space:  global
        .offset:         112
        .size:           8
        .value_kind:     global_buffer
      - .offset:         120
        .size:           4
        .value_kind:     by_value
      - .address_space:  global
        .offset:         128
        .size:           8
        .value_kind:     global_buffer
      - .address_space:  global
        .offset:         136
        .size:           8
        .value_kind:     global_buffer
      - .offset:         144
        .size:           4
        .value_kind:     hidden_block_count_x
      - .offset:         148
        .size:           4
        .value_kind:     hidden_block_count_y
      - .offset:         152
        .size:           4
        .value_kind:     hidden_block_count_z
      - .offset:         156
        .size:           2
        .value_kind:     hidden_group_size_x
      - .offset:         158
        .size:           2
        .value_kind:     hidden_group_size_y
      - .offset:         160
        .size:           2
        .value_kind:     hidden_group_size_z
      - .offset:         162
        .size:           2
        .value_kind:     hidden_remainder_x
      - .offset:         164
        .size:           2
        .value_kind:     hidden_remainder_y
      - .offset:         166
        .size:           2
        .value_kind:     hidden_remainder_z
      - .offset:         184
        .size:           8
        .value_kind:     hidden_global_offset_x
      - .offset:         192
        .size:           8
        .value_kind:     hidden_global_offset_y
      - .offset:         200
        .size:           8
        .value_kind:     hidden_global_offset_z
      - .offset:         208
        .size:           2
        .value_kind:     hidden_grid_dims
    .group_segment_fixed_size: 17472
    .kernarg_segment_align: 8
    .kernarg_segment_size: 400
    .language:       OpenCL C
    .language_version:
      - 2
      - 0
    .max_flat_workgroup_size: 256
    .name:           _Z39paged_attention_ll4mi_QKV_mfma16_kernelIDF16_hLN4vllm18Fp8KVCacheDataTypeE1EDF16_Li32ELi128ELi256ELb1ELi16EL8MFMAType1EEvPKT_PKT0_S8_ifPKiSA_SA_iPKfiiiPfSD_PS3_PT2_iSC_SC_
    .private_segment_fixed_size: 0
    .sgpr_count:     39
    .sgpr_spill_count: 0
    .symbol:         _Z39paged_attention_ll4mi_QKV_mfma16_kernelIDF16_hLN4vllm18Fp8KVCacheDataTypeE1EDF16_Li32ELi128ELi256ELb1ELi16EL8MFMAType1EEvPKT_PKT0_S8_ifPKiSA_SA_iPKfiiiPfSD_PS3_PT2_iSC_SC_.kd
    .uniform_work_group_size: 1
    .uses_dynamic_stack: false
    .vgpr_count:     140
    .vgpr_spill_count: 0
    .wavefront_size: 32
    .workgroup_processor_mode: 1
  - .args:
      - .actual_access:  read_only
        .address_space:  global
        .offset:         0
        .size:           8
        .value_kind:     global_buffer
      - .actual_access:  read_only
        .address_space:  global
        .offset:         8
        .size:           8
        .value_kind:     global_buffer
      - .actual_access:  read_only
        .address_space:  global
        .offset:         16
        .size:           8
        .value_kind:     global_buffer
      - .offset:         24
        .size:           4
        .value_kind:     by_value
      - .offset:         28
        .size:           4
        .value_kind:     by_value
      - .actual_access:  read_only
        .address_space:  global
        .offset:         32
        .size:           8
        .value_kind:     global_buffer
      - .actual_access:  read_only
        .address_space:  global
        .offset:         40
        .size:           8
        .value_kind:     global_buffer
      - .actual_access:  read_only
        .address_space:  global
        .offset:         48
        .size:           8
        .value_kind:     global_buffer
      - .offset:         56
        .size:           4
        .value_kind:     by_value
      - .actual_access:  read_only
        .address_space:  global
        .offset:         64
        .size:           8
        .value_kind:     global_buffer
      - .offset:         72
        .size:           4
        .value_kind:     by_value
      - .offset:         76
        .size:           4
        .value_kind:     by_value
      - .offset:         80
        .size:           4
        .value_kind:     by_value
      - .actual_access:  write_only
        .address_space:  global
        .offset:         88
        .size:           8
        .value_kind:     global_buffer
      - .actual_access:  write_only
        .address_space:  global
        .offset:         96
        .size:           8
        .value_kind:     global_buffer
      - .actual_access:  write_only
        .address_space:  global
        .offset:         104
        .size:           8
        .value_kind:     global_buffer
      - .actual_access:  read_only
        .address_space:  global
        .offset:         112
        .size:           8
        .value_kind:     global_buffer
      - .offset:         120
        .size:           4
        .value_kind:     by_value
      - .address_space:  global
        .offset:         128
        .size:           8
        .value_kind:     global_buffer
      - .address_space:  global
        .offset:         136
        .size:           8
        .value_kind:     global_buffer
      - .offset:         144
        .size:           4
        .value_kind:     hidden_block_count_x
      - .offset:         148
        .size:           4
        .value_kind:     hidden_block_count_y
      - .offset:         152
        .size:           4
        .value_kind:     hidden_block_count_z
      - .offset:         156
        .size:           2
        .value_kind:     hidden_group_size_x
      - .offset:         158
        .size:           2
        .value_kind:     hidden_group_size_y
      - .offset:         160
        .size:           2
        .value_kind:     hidden_group_size_z
      - .offset:         162
        .size:           2
        .value_kind:     hidden_remainder_x
      - .offset:         164
        .size:           2
        .value_kind:     hidden_remainder_y
      - .offset:         166
        .size:           2
        .value_kind:     hidden_remainder_z
      - .offset:         184
        .size:           8
        .value_kind:     hidden_global_offset_x
      - .offset:         192
        .size:           8
        .value_kind:     hidden_global_offset_y
      - .offset:         200
        .size:           8
        .value_kind:     hidden_global_offset_z
      - .offset:         208
        .size:           2
        .value_kind:     hidden_grid_dims
    .group_segment_fixed_size: 17472
    .kernarg_segment_align: 8
    .kernarg_segment_size: 400
    .language:       OpenCL C
    .language_version:
      - 2
      - 0
    .max_flat_workgroup_size: 256
    .name:           _Z39paged_attention_ll4mi_QKV_mfma16_kernelIDF16_hLN4vllm18Fp8KVCacheDataTypeE1EDF16_Li32ELi128ELi256ELb1ELi1EL8MFMAType1EEvPKT_PKT0_S8_ifPKiSA_SA_iPKfiiiPfSD_PS3_PT2_iSC_SC_
    .private_segment_fixed_size: 0
    .sgpr_count:     70
    .sgpr_spill_count: 0
    .symbol:         _Z39paged_attention_ll4mi_QKV_mfma16_kernelIDF16_hLN4vllm18Fp8KVCacheDataTypeE1EDF16_Li32ELi128ELi256ELb1ELi1EL8MFMAType1EEvPKT_PKT0_S8_ifPKiSA_SA_iPKfiiiPfSD_PS3_PT2_iSC_SC_.kd
    .uniform_work_group_size: 1
    .uses_dynamic_stack: false
    .vgpr_count:     134
    .vgpr_spill_count: 0
    .wavefront_size: 32
    .workgroup_processor_mode: 1
  - .args:
      - .actual_access:  read_only
        .address_space:  global
        .offset:         0
        .size:           8
        .value_kind:     global_buffer
      - .actual_access:  read_only
        .address_space:  global
        .offset:         8
        .size:           8
        .value_kind:     global_buffer
      - .actual_access:  read_only
        .address_space:  global
        .offset:         16
        .size:           8
        .value_kind:     global_buffer
      - .offset:         24
        .size:           4
        .value_kind:     by_value
      - .offset:         28
        .size:           4
        .value_kind:     by_value
      - .actual_access:  read_only
        .address_space:  global
        .offset:         32
        .size:           8
        .value_kind:     global_buffer
      - .actual_access:  read_only
        .address_space:  global
        .offset:         40
        .size:           8
        .value_kind:     global_buffer
      - .actual_access:  read_only
        .address_space:  global
        .offset:         48
        .size:           8
        .value_kind:     global_buffer
      - .offset:         56
        .size:           4
        .value_kind:     by_value
      - .actual_access:  read_only
        .address_space:  global
        .offset:         64
        .size:           8
        .value_kind:     global_buffer
      - .offset:         72
        .size:           4
        .value_kind:     by_value
      - .offset:         76
        .size:           4
        .value_kind:     by_value
      - .offset:         80
        .size:           4
        .value_kind:     by_value
      - .actual_access:  write_only
        .address_space:  global
        .offset:         88
        .size:           8
        .value_kind:     global_buffer
      - .actual_access:  write_only
        .address_space:  global
        .offset:         96
        .size:           8
        .value_kind:     global_buffer
      - .actual_access:  write_only
        .address_space:  global
        .offset:         104
        .size:           8
        .value_kind:     global_buffer
      - .actual_access:  read_only
        .address_space:  global
        .offset:         112
        .size:           8
        .value_kind:     global_buffer
      - .offset:         120
        .size:           4
        .value_kind:     by_value
      - .address_space:  global
        .offset:         128
        .size:           8
        .value_kind:     global_buffer
      - .address_space:  global
        .offset:         136
        .size:           8
        .value_kind:     global_buffer
      - .offset:         144
        .size:           4
        .value_kind:     hidden_block_count_x
      - .offset:         148
        .size:           4
        .value_kind:     hidden_block_count_y
      - .offset:         152
        .size:           4
        .value_kind:     hidden_block_count_z
      - .offset:         156
        .size:           2
        .value_kind:     hidden_group_size_x
      - .offset:         158
        .size:           2
        .value_kind:     hidden_group_size_y
      - .offset:         160
        .size:           2
        .value_kind:     hidden_group_size_z
      - .offset:         162
        .size:           2
        .value_kind:     hidden_remainder_x
      - .offset:         164
        .size:           2
        .value_kind:     hidden_remainder_y
      - .offset:         166
        .size:           2
        .value_kind:     hidden_remainder_z
      - .offset:         184
        .size:           8
        .value_kind:     hidden_global_offset_x
      - .offset:         192
        .size:           8
        .value_kind:     hidden_global_offset_y
      - .offset:         200
        .size:           8
        .value_kind:     hidden_global_offset_z
      - .offset:         208
        .size:           2
        .value_kind:     hidden_grid_dims
    .group_segment_fixed_size: 17472
    .kernarg_segment_align: 8
    .kernarg_segment_size: 400
    .language:       OpenCL C
    .language_version:
      - 2
      - 0
    .max_flat_workgroup_size: 256
    .name:           _Z39paged_attention_ll4mi_QKV_mfma16_kernelIDF16_hLN4vllm18Fp8KVCacheDataTypeE1EDF16_Li32ELi128ELi256ELb1ELi2EL8MFMAType1EEvPKT_PKT0_S8_ifPKiSA_SA_iPKfiiiPfSD_PS3_PT2_iSC_SC_
    .private_segment_fixed_size: 0
    .sgpr_count:     41
    .sgpr_spill_count: 0
    .symbol:         _Z39paged_attention_ll4mi_QKV_mfma16_kernelIDF16_hLN4vllm18Fp8KVCacheDataTypeE1EDF16_Li32ELi128ELi256ELb1ELi2EL8MFMAType1EEvPKT_PKT0_S8_ifPKiSA_SA_iPKfiiiPfSD_PS3_PT2_iSC_SC_.kd
    .uniform_work_group_size: 1
    .uses_dynamic_stack: false
    .vgpr_count:     146
    .vgpr_spill_count: 0
    .wavefront_size: 32
    .workgroup_processor_mode: 1
  - .args:
      - .actual_access:  read_only
        .address_space:  global
        .offset:         0
        .size:           8
        .value_kind:     global_buffer
      - .actual_access:  read_only
        .address_space:  global
        .offset:         8
        .size:           8
        .value_kind:     global_buffer
      - .actual_access:  read_only
        .address_space:  global
        .offset:         16
        .size:           8
        .value_kind:     global_buffer
      - .offset:         24
        .size:           4
        .value_kind:     by_value
      - .offset:         28
        .size:           4
        .value_kind:     by_value
      - .actual_access:  read_only
        .address_space:  global
        .offset:         32
        .size:           8
        .value_kind:     global_buffer
      - .actual_access:  read_only
        .address_space:  global
        .offset:         40
        .size:           8
        .value_kind:     global_buffer
      - .actual_access:  read_only
        .address_space:  global
        .offset:         48
        .size:           8
        .value_kind:     global_buffer
      - .offset:         56
        .size:           4
        .value_kind:     by_value
      - .actual_access:  read_only
        .address_space:  global
        .offset:         64
        .size:           8
        .value_kind:     global_buffer
      - .offset:         72
        .size:           4
        .value_kind:     by_value
      - .offset:         76
        .size:           4
        .value_kind:     by_value
      - .offset:         80
        .size:           4
        .value_kind:     by_value
      - .actual_access:  write_only
        .address_space:  global
        .offset:         88
        .size:           8
        .value_kind:     global_buffer
      - .actual_access:  write_only
        .address_space:  global
        .offset:         96
        .size:           8
        .value_kind:     global_buffer
      - .actual_access:  write_only
        .address_space:  global
        .offset:         104
        .size:           8
        .value_kind:     global_buffer
      - .actual_access:  read_only
        .address_space:  global
        .offset:         112
        .size:           8
        .value_kind:     global_buffer
      - .offset:         120
        .size:           4
        .value_kind:     by_value
      - .address_space:  global
        .offset:         128
        .size:           8
        .value_kind:     global_buffer
      - .address_space:  global
        .offset:         136
        .size:           8
        .value_kind:     global_buffer
      - .offset:         144
        .size:           4
        .value_kind:     hidden_block_count_x
      - .offset:         148
        .size:           4
        .value_kind:     hidden_block_count_y
      - .offset:         152
        .size:           4
        .value_kind:     hidden_block_count_z
      - .offset:         156
        .size:           2
        .value_kind:     hidden_group_size_x
      - .offset:         158
        .size:           2
        .value_kind:     hidden_group_size_y
      - .offset:         160
        .size:           2
        .value_kind:     hidden_group_size_z
      - .offset:         162
        .size:           2
        .value_kind:     hidden_remainder_x
      - .offset:         164
        .size:           2
        .value_kind:     hidden_remainder_y
      - .offset:         166
        .size:           2
        .value_kind:     hidden_remainder_z
      - .offset:         184
        .size:           8
        .value_kind:     hidden_global_offset_x
      - .offset:         192
        .size:           8
        .value_kind:     hidden_global_offset_y
      - .offset:         200
        .size:           8
        .value_kind:     hidden_global_offset_z
      - .offset:         208
        .size:           2
        .value_kind:     hidden_grid_dims
    .group_segment_fixed_size: 17472
    .kernarg_segment_align: 8
    .kernarg_segment_size: 400
    .language:       OpenCL C
    .language_version:
      - 2
      - 0
    .max_flat_workgroup_size: 256
    .name:           _Z39paged_attention_ll4mi_QKV_mfma16_kernelIDF16_hLN4vllm18Fp8KVCacheDataTypeE1EDF16_Li32ELi128ELi256ELb1ELi3EL8MFMAType1EEvPKT_PKT0_S8_ifPKiSA_SA_iPKfiiiPfSD_PS3_PT2_iSC_SC_
    .private_segment_fixed_size: 0
    .sgpr_count:     39
    .sgpr_spill_count: 0
    .symbol:         _Z39paged_attention_ll4mi_QKV_mfma16_kernelIDF16_hLN4vllm18Fp8KVCacheDataTypeE1EDF16_Li32ELi128ELi256ELb1ELi3EL8MFMAType1EEvPKT_PKT0_S8_ifPKiSA_SA_iPKfiiiPfSD_PS3_PT2_iSC_SC_.kd
    .uniform_work_group_size: 1
    .uses_dynamic_stack: false
    .vgpr_count:     150
    .vgpr_spill_count: 0
    .wavefront_size: 32
    .workgroup_processor_mode: 1
  - .args:
      - .actual_access:  read_only
        .address_space:  global
        .offset:         0
        .size:           8
        .value_kind:     global_buffer
      - .actual_access:  read_only
        .address_space:  global
        .offset:         8
        .size:           8
        .value_kind:     global_buffer
      - .actual_access:  read_only
        .address_space:  global
        .offset:         16
        .size:           8
        .value_kind:     global_buffer
      - .offset:         24
        .size:           4
        .value_kind:     by_value
      - .offset:         28
        .size:           4
        .value_kind:     by_value
      - .actual_access:  read_only
        .address_space:  global
        .offset:         32
        .size:           8
        .value_kind:     global_buffer
      - .actual_access:  read_only
        .address_space:  global
        .offset:         40
        .size:           8
        .value_kind:     global_buffer
      - .actual_access:  read_only
        .address_space:  global
        .offset:         48
        .size:           8
        .value_kind:     global_buffer
      - .offset:         56
        .size:           4
        .value_kind:     by_value
      - .actual_access:  read_only
        .address_space:  global
        .offset:         64
        .size:           8
        .value_kind:     global_buffer
      - .offset:         72
        .size:           4
        .value_kind:     by_value
      - .offset:         76
        .size:           4
        .value_kind:     by_value
      - .offset:         80
        .size:           4
        .value_kind:     by_value
      - .actual_access:  write_only
        .address_space:  global
        .offset:         88
        .size:           8
        .value_kind:     global_buffer
      - .actual_access:  write_only
        .address_space:  global
        .offset:         96
        .size:           8
        .value_kind:     global_buffer
      - .actual_access:  write_only
        .address_space:  global
        .offset:         104
        .size:           8
        .value_kind:     global_buffer
      - .actual_access:  read_only
        .address_space:  global
        .offset:         112
        .size:           8
        .value_kind:     global_buffer
      - .offset:         120
        .size:           4
        .value_kind:     by_value
      - .address_space:  global
        .offset:         128
        .size:           8
        .value_kind:     global_buffer
      - .address_space:  global
        .offset:         136
        .size:           8
        .value_kind:     global_buffer
      - .offset:         144
        .size:           4
        .value_kind:     hidden_block_count_x
      - .offset:         148
        .size:           4
        .value_kind:     hidden_block_count_y
      - .offset:         152
        .size:           4
        .value_kind:     hidden_block_count_z
      - .offset:         156
        .size:           2
        .value_kind:     hidden_group_size_x
      - .offset:         158
        .size:           2
        .value_kind:     hidden_group_size_y
      - .offset:         160
        .size:           2
        .value_kind:     hidden_group_size_z
      - .offset:         162
        .size:           2
        .value_kind:     hidden_remainder_x
      - .offset:         164
        .size:           2
        .value_kind:     hidden_remainder_y
      - .offset:         166
        .size:           2
        .value_kind:     hidden_remainder_z
      - .offset:         184
        .size:           8
        .value_kind:     hidden_global_offset_x
      - .offset:         192
        .size:           8
        .value_kind:     hidden_global_offset_y
      - .offset:         200
        .size:           8
        .value_kind:     hidden_global_offset_z
      - .offset:         208
        .size:           2
        .value_kind:     hidden_grid_dims
    .group_segment_fixed_size: 17472
    .kernarg_segment_align: 8
    .kernarg_segment_size: 400
    .language:       OpenCL C
    .language_version:
      - 2
      - 0
    .max_flat_workgroup_size: 256
    .name:           _Z39paged_attention_ll4mi_QKV_mfma16_kernelIDF16_hLN4vllm18Fp8KVCacheDataTypeE1EDF16_Li32ELi128ELi256ELb1ELi4EL8MFMAType1EEvPKT_PKT0_S8_ifPKiSA_SA_iPKfiiiPfSD_PS3_PT2_iSC_SC_
    .private_segment_fixed_size: 0
    .sgpr_count:     38
    .sgpr_spill_count: 0
    .symbol:         _Z39paged_attention_ll4mi_QKV_mfma16_kernelIDF16_hLN4vllm18Fp8KVCacheDataTypeE1EDF16_Li32ELi128ELi256ELb1ELi4EL8MFMAType1EEvPKT_PKT0_S8_ifPKiSA_SA_iPKfiiiPfSD_PS3_PT2_iSC_SC_.kd
    .uniform_work_group_size: 1
    .uses_dynamic_stack: false
    .vgpr_count:     140
    .vgpr_spill_count: 0
    .wavefront_size: 32
    .workgroup_processor_mode: 1
  - .args:
      - .actual_access:  read_only
        .address_space:  global
        .offset:         0
        .size:           8
        .value_kind:     global_buffer
      - .actual_access:  read_only
        .address_space:  global
        .offset:         8
        .size:           8
        .value_kind:     global_buffer
      - .actual_access:  read_only
        .address_space:  global
        .offset:         16
        .size:           8
        .value_kind:     global_buffer
      - .offset:         24
        .size:           4
        .value_kind:     by_value
      - .offset:         28
        .size:           4
        .value_kind:     by_value
      - .actual_access:  read_only
        .address_space:  global
        .offset:         32
        .size:           8
        .value_kind:     global_buffer
      - .actual_access:  read_only
        .address_space:  global
        .offset:         40
        .size:           8
        .value_kind:     global_buffer
      - .actual_access:  read_only
        .address_space:  global
        .offset:         48
        .size:           8
        .value_kind:     global_buffer
      - .offset:         56
        .size:           4
        .value_kind:     by_value
      - .actual_access:  read_only
        .address_space:  global
        .offset:         64
        .size:           8
        .value_kind:     global_buffer
      - .offset:         72
        .size:           4
        .value_kind:     by_value
      - .offset:         76
        .size:           4
        .value_kind:     by_value
      - .offset:         80
        .size:           4
        .value_kind:     by_value
      - .actual_access:  read_only
        .address_space:  global
        .offset:         88
        .size:           8
        .value_kind:     global_buffer
      - .actual_access:  read_only
        .address_space:  global
        .offset:         96
        .size:           8
        .value_kind:     global_buffer
      - .actual_access:  read_only
        .address_space:  global
        .offset:         104
        .size:           8
        .value_kind:     global_buffer
      - .actual_access:  read_only
        .address_space:  global
        .offset:         112
        .size:           8
        .value_kind:     global_buffer
      - .offset:         120
        .size:           4
        .value_kind:     by_value
      - .address_space:  global
        .offset:         128
        .size:           8
        .value_kind:     global_buffer
      - .address_space:  global
        .offset:         136
        .size:           8
        .value_kind:     global_buffer
      - .offset:         144
        .size:           4
        .value_kind:     hidden_block_count_x
      - .offset:         148
        .size:           4
        .value_kind:     hidden_block_count_y
      - .offset:         152
        .size:           4
        .value_kind:     hidden_block_count_z
      - .offset:         156
        .size:           2
        .value_kind:     hidden_group_size_x
      - .offset:         158
        .size:           2
        .value_kind:     hidden_group_size_y
      - .offset:         160
        .size:           2
        .value_kind:     hidden_group_size_z
      - .offset:         162
        .size:           2
        .value_kind:     hidden_remainder_x
      - .offset:         164
        .size:           2
        .value_kind:     hidden_remainder_y
      - .offset:         166
        .size:           2
        .value_kind:     hidden_remainder_z
      - .offset:         184
        .size:           8
        .value_kind:     hidden_global_offset_x
      - .offset:         192
        .size:           8
        .value_kind:     hidden_global_offset_y
      - .offset:         200
        .size:           8
        .value_kind:     hidden_global_offset_z
      - .offset:         208
        .size:           2
        .value_kind:     hidden_grid_dims
      - .offset:         224
        .size:           8
        .value_kind:     hidden_hostcall_buffer
    .group_segment_fixed_size: 0
    .kernarg_segment_align: 8
    .kernarg_segment_size: 400
    .language:       OpenCL C
    .language_version:
      - 2
      - 0
    .max_flat_workgroup_size: 256
    .name:           _Z38paged_attention_ll4mi_QKV_mfma4_kernelIDF16_hLN4vllm18Fp8KVCacheDataTypeE1EDF16_Li32ELi128ELi256ELb0ELi1EEvPKT_PKT0_S7_ifPKiS9_S9_iPKfiiiPfSC_PS2_PT2_iSB_SB_
    .private_segment_fixed_size: 64
    .sgpr_count:     36
    .sgpr_spill_count: 0
    .symbol:         _Z38paged_attention_ll4mi_QKV_mfma4_kernelIDF16_hLN4vllm18Fp8KVCacheDataTypeE1EDF16_Li32ELi128ELi256ELb0ELi1EEvPKT_PKT0_S7_ifPKiS9_S9_iPKfiiiPfSC_PS2_PT2_iSB_SB_.kd
    .uniform_work_group_size: 1
    .uses_dynamic_stack: false
    .vgpr_count:     41
    .vgpr_spill_count: 0
    .wavefront_size: 32
    .workgroup_processor_mode: 1
  - .args:
      - .actual_access:  read_only
        .address_space:  global
        .offset:         0
        .size:           8
        .value_kind:     global_buffer
      - .actual_access:  read_only
        .address_space:  global
        .offset:         8
        .size:           8
        .value_kind:     global_buffer
      - .actual_access:  read_only
        .address_space:  global
        .offset:         16
        .size:           8
        .value_kind:     global_buffer
      - .offset:         24
        .size:           4
        .value_kind:     by_value
      - .offset:         28
        .size:           4
        .value_kind:     by_value
      - .actual_access:  read_only
        .address_space:  global
        .offset:         32
        .size:           8
        .value_kind:     global_buffer
      - .actual_access:  read_only
        .address_space:  global
        .offset:         40
        .size:           8
        .value_kind:     global_buffer
      - .actual_access:  read_only
        .address_space:  global
        .offset:         48
        .size:           8
        .value_kind:     global_buffer
      - .offset:         56
        .size:           4
        .value_kind:     by_value
      - .actual_access:  read_only
        .address_space:  global
        .offset:         64
        .size:           8
        .value_kind:     global_buffer
      - .offset:         72
        .size:           4
        .value_kind:     by_value
      - .offset:         76
        .size:           4
        .value_kind:     by_value
      - .offset:         80
        .size:           4
        .value_kind:     by_value
      - .actual_access:  read_only
        .address_space:  global
        .offset:         88
        .size:           8
        .value_kind:     global_buffer
      - .actual_access:  read_only
        .address_space:  global
        .offset:         96
        .size:           8
        .value_kind:     global_buffer
      - .actual_access:  read_only
        .address_space:  global
        .offset:         104
        .size:           8
        .value_kind:     global_buffer
      - .actual_access:  read_only
        .address_space:  global
        .offset:         112
        .size:           8
        .value_kind:     global_buffer
      - .offset:         120
        .size:           4
        .value_kind:     by_value
      - .address_space:  global
        .offset:         128
        .size:           8
        .value_kind:     global_buffer
      - .address_space:  global
        .offset:         136
        .size:           8
        .value_kind:     global_buffer
      - .offset:         144
        .size:           4
        .value_kind:     hidden_block_count_x
      - .offset:         148
        .size:           4
        .value_kind:     hidden_block_count_y
      - .offset:         152
        .size:           4
        .value_kind:     hidden_block_count_z
      - .offset:         156
        .size:           2
        .value_kind:     hidden_group_size_x
      - .offset:         158
        .size:           2
        .value_kind:     hidden_group_size_y
      - .offset:         160
        .size:           2
        .value_kind:     hidden_group_size_z
      - .offset:         162
        .size:           2
        .value_kind:     hidden_remainder_x
      - .offset:         164
        .size:           2
        .value_kind:     hidden_remainder_y
      - .offset:         166
        .size:           2
        .value_kind:     hidden_remainder_z
      - .offset:         184
        .size:           8
        .value_kind:     hidden_global_offset_x
      - .offset:         192
        .size:           8
        .value_kind:     hidden_global_offset_y
      - .offset:         200
        .size:           8
        .value_kind:     hidden_global_offset_z
      - .offset:         208
        .size:           2
        .value_kind:     hidden_grid_dims
      - .offset:         224
        .size:           8
        .value_kind:     hidden_hostcall_buffer
    .group_segment_fixed_size: 0
    .kernarg_segment_align: 8
    .kernarg_segment_size: 400
    .language:       OpenCL C
    .language_version:
      - 2
      - 0
    .max_flat_workgroup_size: 256
    .name:           _Z38paged_attention_ll4mi_QKV_mfma4_kernelIDF16_hLN4vllm18Fp8KVCacheDataTypeE1EDF16_Li32ELi128ELi256ELb0ELi2EEvPKT_PKT0_S7_ifPKiS9_S9_iPKfiiiPfSC_PS2_PT2_iSB_SB_
    .private_segment_fixed_size: 64
    .sgpr_count:     36
    .sgpr_spill_count: 0
    .symbol:         _Z38paged_attention_ll4mi_QKV_mfma4_kernelIDF16_hLN4vllm18Fp8KVCacheDataTypeE1EDF16_Li32ELi128ELi256ELb0ELi2EEvPKT_PKT0_S7_ifPKiS9_S9_iPKfiiiPfSC_PS2_PT2_iSB_SB_.kd
    .uniform_work_group_size: 1
    .uses_dynamic_stack: false
    .vgpr_count:     41
    .vgpr_spill_count: 0
    .wavefront_size: 32
    .workgroup_processor_mode: 1
  - .args:
      - .actual_access:  read_only
        .address_space:  global
        .offset:         0
        .size:           8
        .value_kind:     global_buffer
      - .actual_access:  read_only
        .address_space:  global
        .offset:         8
        .size:           8
        .value_kind:     global_buffer
      - .actual_access:  read_only
        .address_space:  global
        .offset:         16
        .size:           8
        .value_kind:     global_buffer
      - .offset:         24
        .size:           4
        .value_kind:     by_value
      - .offset:         28
        .size:           4
        .value_kind:     by_value
      - .actual_access:  read_only
        .address_space:  global
        .offset:         32
        .size:           8
        .value_kind:     global_buffer
      - .actual_access:  read_only
        .address_space:  global
        .offset:         40
        .size:           8
        .value_kind:     global_buffer
      - .actual_access:  read_only
        .address_space:  global
        .offset:         48
        .size:           8
        .value_kind:     global_buffer
      - .offset:         56
        .size:           4
        .value_kind:     by_value
      - .actual_access:  read_only
        .address_space:  global
        .offset:         64
        .size:           8
        .value_kind:     global_buffer
      - .offset:         72
        .size:           4
        .value_kind:     by_value
      - .offset:         76
        .size:           4
        .value_kind:     by_value
      - .offset:         80
        .size:           4
        .value_kind:     by_value
      - .actual_access:  read_only
        .address_space:  global
        .offset:         88
        .size:           8
        .value_kind:     global_buffer
      - .actual_access:  read_only
        .address_space:  global
        .offset:         96
        .size:           8
        .value_kind:     global_buffer
      - .actual_access:  read_only
        .address_space:  global
        .offset:         104
        .size:           8
        .value_kind:     global_buffer
      - .actual_access:  read_only
        .address_space:  global
        .offset:         112
        .size:           8
        .value_kind:     global_buffer
      - .offset:         120
        .size:           4
        .value_kind:     by_value
      - .address_space:  global
        .offset:         128
        .size:           8
        .value_kind:     global_buffer
      - .address_space:  global
        .offset:         136
        .size:           8
        .value_kind:     global_buffer
      - .offset:         144
        .size:           4
        .value_kind:     hidden_block_count_x
      - .offset:         148
        .size:           4
        .value_kind:     hidden_block_count_y
      - .offset:         152
        .size:           4
        .value_kind:     hidden_block_count_z
      - .offset:         156
        .size:           2
        .value_kind:     hidden_group_size_x
      - .offset:         158
        .size:           2
        .value_kind:     hidden_group_size_y
      - .offset:         160
        .size:           2
        .value_kind:     hidden_group_size_z
      - .offset:         162
        .size:           2
        .value_kind:     hidden_remainder_x
      - .offset:         164
        .size:           2
        .value_kind:     hidden_remainder_y
      - .offset:         166
        .size:           2
        .value_kind:     hidden_remainder_z
      - .offset:         184
        .size:           8
        .value_kind:     hidden_global_offset_x
      - .offset:         192
        .size:           8
        .value_kind:     hidden_global_offset_y
      - .offset:         200
        .size:           8
        .value_kind:     hidden_global_offset_z
      - .offset:         208
        .size:           2
        .value_kind:     hidden_grid_dims
      - .offset:         224
        .size:           8
        .value_kind:     hidden_hostcall_buffer
    .group_segment_fixed_size: 0
    .kernarg_segment_align: 8
    .kernarg_segment_size: 400
    .language:       OpenCL C
    .language_version:
      - 2
      - 0
    .max_flat_workgroup_size: 256
    .name:           _Z38paged_attention_ll4mi_QKV_mfma4_kernelIDF16_hLN4vllm18Fp8KVCacheDataTypeE1EDF16_Li32ELi128ELi256ELb0ELi3EEvPKT_PKT0_S7_ifPKiS9_S9_iPKfiiiPfSC_PS2_PT2_iSB_SB_
    .private_segment_fixed_size: 64
    .sgpr_count:     36
    .sgpr_spill_count: 0
    .symbol:         _Z38paged_attention_ll4mi_QKV_mfma4_kernelIDF16_hLN4vllm18Fp8KVCacheDataTypeE1EDF16_Li32ELi128ELi256ELb0ELi3EEvPKT_PKT0_S7_ifPKiS9_S9_iPKfiiiPfSC_PS2_PT2_iSB_SB_.kd
    .uniform_work_group_size: 1
    .uses_dynamic_stack: false
    .vgpr_count:     41
    .vgpr_spill_count: 0
    .wavefront_size: 32
    .workgroup_processor_mode: 1
  - .args:
      - .actual_access:  read_only
        .address_space:  global
        .offset:         0
        .size:           8
        .value_kind:     global_buffer
      - .actual_access:  read_only
        .address_space:  global
        .offset:         8
        .size:           8
        .value_kind:     global_buffer
      - .actual_access:  read_only
        .address_space:  global
        .offset:         16
        .size:           8
        .value_kind:     global_buffer
      - .offset:         24
        .size:           4
        .value_kind:     by_value
      - .offset:         28
        .size:           4
        .value_kind:     by_value
      - .actual_access:  read_only
        .address_space:  global
        .offset:         32
        .size:           8
        .value_kind:     global_buffer
      - .actual_access:  read_only
        .address_space:  global
        .offset:         40
        .size:           8
        .value_kind:     global_buffer
      - .actual_access:  read_only
        .address_space:  global
        .offset:         48
        .size:           8
        .value_kind:     global_buffer
      - .offset:         56
        .size:           4
        .value_kind:     by_value
      - .actual_access:  read_only
        .address_space:  global
        .offset:         64
        .size:           8
        .value_kind:     global_buffer
      - .offset:         72
        .size:           4
        .value_kind:     by_value
      - .offset:         76
        .size:           4
        .value_kind:     by_value
      - .offset:         80
        .size:           4
        .value_kind:     by_value
      - .actual_access:  read_only
        .address_space:  global
        .offset:         88
        .size:           8
        .value_kind:     global_buffer
      - .actual_access:  read_only
        .address_space:  global
        .offset:         96
        .size:           8
        .value_kind:     global_buffer
      - .actual_access:  read_only
        .address_space:  global
        .offset:         104
        .size:           8
        .value_kind:     global_buffer
      - .actual_access:  read_only
        .address_space:  global
        .offset:         112
        .size:           8
        .value_kind:     global_buffer
      - .offset:         120
        .size:           4
        .value_kind:     by_value
      - .address_space:  global
        .offset:         128
        .size:           8
        .value_kind:     global_buffer
      - .address_space:  global
        .offset:         136
        .size:           8
        .value_kind:     global_buffer
      - .offset:         144
        .size:           4
        .value_kind:     hidden_block_count_x
      - .offset:         148
        .size:           4
        .value_kind:     hidden_block_count_y
      - .offset:         152
        .size:           4
        .value_kind:     hidden_block_count_z
      - .offset:         156
        .size:           2
        .value_kind:     hidden_group_size_x
      - .offset:         158
        .size:           2
        .value_kind:     hidden_group_size_y
      - .offset:         160
        .size:           2
        .value_kind:     hidden_group_size_z
      - .offset:         162
        .size:           2
        .value_kind:     hidden_remainder_x
      - .offset:         164
        .size:           2
        .value_kind:     hidden_remainder_y
      - .offset:         166
        .size:           2
        .value_kind:     hidden_remainder_z
      - .offset:         184
        .size:           8
        .value_kind:     hidden_global_offset_x
      - .offset:         192
        .size:           8
        .value_kind:     hidden_global_offset_y
      - .offset:         200
        .size:           8
        .value_kind:     hidden_global_offset_z
      - .offset:         208
        .size:           2
        .value_kind:     hidden_grid_dims
      - .offset:         224
        .size:           8
        .value_kind:     hidden_hostcall_buffer
    .group_segment_fixed_size: 0
    .kernarg_segment_align: 8
    .kernarg_segment_size: 400
    .language:       OpenCL C
    .language_version:
      - 2
      - 0
    .max_flat_workgroup_size: 256
    .name:           _Z38paged_attention_ll4mi_QKV_mfma4_kernelIDF16_hLN4vllm18Fp8KVCacheDataTypeE1EDF16_Li32ELi128ELi256ELb0ELi4EEvPKT_PKT0_S7_ifPKiS9_S9_iPKfiiiPfSC_PS2_PT2_iSB_SB_
    .private_segment_fixed_size: 64
    .sgpr_count:     36
    .sgpr_spill_count: 0
    .symbol:         _Z38paged_attention_ll4mi_QKV_mfma4_kernelIDF16_hLN4vllm18Fp8KVCacheDataTypeE1EDF16_Li32ELi128ELi256ELb0ELi4EEvPKT_PKT0_S7_ifPKiS9_S9_iPKfiiiPfSC_PS2_PT2_iSB_SB_.kd
    .uniform_work_group_size: 1
    .uses_dynamic_stack: false
    .vgpr_count:     41
    .vgpr_spill_count: 0
    .wavefront_size: 32
    .workgroup_processor_mode: 1
  - .args:
      - .actual_access:  read_only
        .address_space:  global
        .offset:         0
        .size:           8
        .value_kind:     global_buffer
      - .actual_access:  read_only
        .address_space:  global
        .offset:         8
        .size:           8
        .value_kind:     global_buffer
      - .actual_access:  read_only
        .address_space:  global
        .offset:         16
        .size:           8
        .value_kind:     global_buffer
      - .offset:         24
        .size:           4
        .value_kind:     by_value
      - .offset:         28
        .size:           4
        .value_kind:     by_value
      - .actual_access:  read_only
        .address_space:  global
        .offset:         32
        .size:           8
        .value_kind:     global_buffer
      - .actual_access:  read_only
        .address_space:  global
        .offset:         40
        .size:           8
        .value_kind:     global_buffer
      - .actual_access:  read_only
        .address_space:  global
        .offset:         48
        .size:           8
        .value_kind:     global_buffer
      - .offset:         56
        .size:           4
        .value_kind:     by_value
      - .actual_access:  read_only
        .address_space:  global
        .offset:         64
        .size:           8
        .value_kind:     global_buffer
      - .offset:         72
        .size:           4
        .value_kind:     by_value
      - .offset:         76
        .size:           4
        .value_kind:     by_value
      - .offset:         80
        .size:           4
        .value_kind:     by_value
      - .actual_access:  write_only
        .address_space:  global
        .offset:         88
        .size:           8
        .value_kind:     global_buffer
      - .actual_access:  write_only
        .address_space:  global
        .offset:         96
        .size:           8
        .value_kind:     global_buffer
      - .actual_access:  write_only
        .address_space:  global
        .offset:         104
        .size:           8
        .value_kind:     global_buffer
      - .actual_access:  read_only
        .address_space:  global
        .offset:         112
        .size:           8
        .value_kind:     global_buffer
      - .offset:         120
        .size:           4
        .value_kind:     by_value
      - .address_space:  global
        .offset:         128
        .size:           8
        .value_kind:     global_buffer
      - .address_space:  global
        .offset:         136
        .size:           8
        .value_kind:     global_buffer
      - .offset:         144
        .size:           4
        .value_kind:     hidden_block_count_x
      - .offset:         148
        .size:           4
        .value_kind:     hidden_block_count_y
      - .offset:         152
        .size:           4
        .value_kind:     hidden_block_count_z
      - .offset:         156
        .size:           2
        .value_kind:     hidden_group_size_x
      - .offset:         158
        .size:           2
        .value_kind:     hidden_group_size_y
      - .offset:         160
        .size:           2
        .value_kind:     hidden_group_size_z
      - .offset:         162
        .size:           2
        .value_kind:     hidden_remainder_x
      - .offset:         164
        .size:           2
        .value_kind:     hidden_remainder_y
      - .offset:         166
        .size:           2
        .value_kind:     hidden_remainder_z
      - .offset:         184
        .size:           8
        .value_kind:     hidden_global_offset_x
      - .offset:         192
        .size:           8
        .value_kind:     hidden_global_offset_y
      - .offset:         200
        .size:           8
        .value_kind:     hidden_global_offset_z
      - .offset:         208
        .size:           2
        .value_kind:     hidden_grid_dims
    .group_segment_fixed_size: 17472
    .kernarg_segment_align: 8
    .kernarg_segment_size: 400
    .language:       OpenCL C
    .language_version:
      - 2
      - 0
    .max_flat_workgroup_size: 256
    .name:           _Z39paged_attention_ll4mi_QKV_mfma16_kernelIDF16_hLN4vllm18Fp8KVCacheDataTypeE1EDF16_Li32ELi128ELi256ELb0ELi5EL8MFMAType1EEvPKT_PKT0_S8_ifPKiSA_SA_iPKfiiiPfSD_PS3_PT2_iSC_SC_
    .private_segment_fixed_size: 0
    .sgpr_count:     39
    .sgpr_spill_count: 0
    .symbol:         _Z39paged_attention_ll4mi_QKV_mfma16_kernelIDF16_hLN4vllm18Fp8KVCacheDataTypeE1EDF16_Li32ELi128ELi256ELb0ELi5EL8MFMAType1EEvPKT_PKT0_S8_ifPKiSA_SA_iPKfiiiPfSD_PS3_PT2_iSC_SC_.kd
    .uniform_work_group_size: 1
    .uses_dynamic_stack: false
    .vgpr_count:     150
    .vgpr_spill_count: 0
    .wavefront_size: 32
    .workgroup_processor_mode: 1
  - .args:
      - .actual_access:  read_only
        .address_space:  global
        .offset:         0
        .size:           8
        .value_kind:     global_buffer
      - .actual_access:  read_only
        .address_space:  global
        .offset:         8
        .size:           8
        .value_kind:     global_buffer
      - .actual_access:  read_only
        .address_space:  global
        .offset:         16
        .size:           8
        .value_kind:     global_buffer
      - .offset:         24
        .size:           4
        .value_kind:     by_value
      - .offset:         28
        .size:           4
        .value_kind:     by_value
      - .actual_access:  read_only
        .address_space:  global
        .offset:         32
        .size:           8
        .value_kind:     global_buffer
      - .actual_access:  read_only
        .address_space:  global
        .offset:         40
        .size:           8
        .value_kind:     global_buffer
      - .actual_access:  read_only
        .address_space:  global
        .offset:         48
        .size:           8
        .value_kind:     global_buffer
      - .offset:         56
        .size:           4
        .value_kind:     by_value
      - .actual_access:  read_only
        .address_space:  global
        .offset:         64
        .size:           8
        .value_kind:     global_buffer
      - .offset:         72
        .size:           4
        .value_kind:     by_value
      - .offset:         76
        .size:           4
        .value_kind:     by_value
      - .offset:         80
        .size:           4
        .value_kind:     by_value
      - .actual_access:  write_only
        .address_space:  global
        .offset:         88
        .size:           8
        .value_kind:     global_buffer
      - .actual_access:  write_only
        .address_space:  global
        .offset:         96
        .size:           8
        .value_kind:     global_buffer
      - .actual_access:  write_only
        .address_space:  global
        .offset:         104
        .size:           8
        .value_kind:     global_buffer
      - .actual_access:  read_only
        .address_space:  global
        .offset:         112
        .size:           8
        .value_kind:     global_buffer
      - .offset:         120
        .size:           4
        .value_kind:     by_value
      - .address_space:  global
        .offset:         128
        .size:           8
        .value_kind:     global_buffer
      - .address_space:  global
        .offset:         136
        .size:           8
        .value_kind:     global_buffer
      - .offset:         144
        .size:           4
        .value_kind:     hidden_block_count_x
      - .offset:         148
        .size:           4
        .value_kind:     hidden_block_count_y
      - .offset:         152
        .size:           4
        .value_kind:     hidden_block_count_z
      - .offset:         156
        .size:           2
        .value_kind:     hidden_group_size_x
      - .offset:         158
        .size:           2
        .value_kind:     hidden_group_size_y
      - .offset:         160
        .size:           2
        .value_kind:     hidden_group_size_z
      - .offset:         162
        .size:           2
        .value_kind:     hidden_remainder_x
      - .offset:         164
        .size:           2
        .value_kind:     hidden_remainder_y
      - .offset:         166
        .size:           2
        .value_kind:     hidden_remainder_z
      - .offset:         184
        .size:           8
        .value_kind:     hidden_global_offset_x
      - .offset:         192
        .size:           8
        .value_kind:     hidden_global_offset_y
      - .offset:         200
        .size:           8
        .value_kind:     hidden_global_offset_z
      - .offset:         208
        .size:           2
        .value_kind:     hidden_grid_dims
    .group_segment_fixed_size: 17472
    .kernarg_segment_align: 8
    .kernarg_segment_size: 400
    .language:       OpenCL C
    .language_version:
      - 2
      - 0
    .max_flat_workgroup_size: 256
    .name:           _Z39paged_attention_ll4mi_QKV_mfma16_kernelIDF16_hLN4vllm18Fp8KVCacheDataTypeE1EDF16_Li32ELi128ELi256ELb0ELi6EL8MFMAType1EEvPKT_PKT0_S8_ifPKiSA_SA_iPKfiiiPfSD_PS3_PT2_iSC_SC_
    .private_segment_fixed_size: 0
    .sgpr_count:     39
    .sgpr_spill_count: 0
    .symbol:         _Z39paged_attention_ll4mi_QKV_mfma16_kernelIDF16_hLN4vllm18Fp8KVCacheDataTypeE1EDF16_Li32ELi128ELi256ELb0ELi6EL8MFMAType1EEvPKT_PKT0_S8_ifPKiSA_SA_iPKfiiiPfSD_PS3_PT2_iSC_SC_.kd
    .uniform_work_group_size: 1
    .uses_dynamic_stack: false
    .vgpr_count:     150
    .vgpr_spill_count: 0
    .wavefront_size: 32
    .workgroup_processor_mode: 1
  - .args:
      - .actual_access:  read_only
        .address_space:  global
        .offset:         0
        .size:           8
        .value_kind:     global_buffer
      - .actual_access:  read_only
        .address_space:  global
        .offset:         8
        .size:           8
        .value_kind:     global_buffer
      - .actual_access:  read_only
        .address_space:  global
        .offset:         16
        .size:           8
        .value_kind:     global_buffer
      - .offset:         24
        .size:           4
        .value_kind:     by_value
      - .offset:         28
        .size:           4
        .value_kind:     by_value
      - .actual_access:  read_only
        .address_space:  global
        .offset:         32
        .size:           8
        .value_kind:     global_buffer
      - .actual_access:  read_only
        .address_space:  global
        .offset:         40
        .size:           8
        .value_kind:     global_buffer
      - .actual_access:  read_only
        .address_space:  global
        .offset:         48
        .size:           8
        .value_kind:     global_buffer
      - .offset:         56
        .size:           4
        .value_kind:     by_value
      - .actual_access:  read_only
        .address_space:  global
        .offset:         64
        .size:           8
        .value_kind:     global_buffer
      - .offset:         72
        .size:           4
        .value_kind:     by_value
      - .offset:         76
        .size:           4
        .value_kind:     by_value
      - .offset:         80
        .size:           4
        .value_kind:     by_value
      - .actual_access:  write_only
        .address_space:  global
        .offset:         88
        .size:           8
        .value_kind:     global_buffer
      - .actual_access:  write_only
        .address_space:  global
        .offset:         96
        .size:           8
        .value_kind:     global_buffer
      - .actual_access:  write_only
        .address_space:  global
        .offset:         104
        .size:           8
        .value_kind:     global_buffer
      - .actual_access:  read_only
        .address_space:  global
        .offset:         112
        .size:           8
        .value_kind:     global_buffer
      - .offset:         120
        .size:           4
        .value_kind:     by_value
      - .address_space:  global
        .offset:         128
        .size:           8
        .value_kind:     global_buffer
      - .address_space:  global
        .offset:         136
        .size:           8
        .value_kind:     global_buffer
      - .offset:         144
        .size:           4
        .value_kind:     hidden_block_count_x
      - .offset:         148
        .size:           4
        .value_kind:     hidden_block_count_y
      - .offset:         152
        .size:           4
        .value_kind:     hidden_block_count_z
      - .offset:         156
        .size:           2
        .value_kind:     hidden_group_size_x
      - .offset:         158
        .size:           2
        .value_kind:     hidden_group_size_y
      - .offset:         160
        .size:           2
        .value_kind:     hidden_group_size_z
      - .offset:         162
        .size:           2
        .value_kind:     hidden_remainder_x
      - .offset:         164
        .size:           2
        .value_kind:     hidden_remainder_y
      - .offset:         166
        .size:           2
        .value_kind:     hidden_remainder_z
      - .offset:         184
        .size:           8
        .value_kind:     hidden_global_offset_x
      - .offset:         192
        .size:           8
        .value_kind:     hidden_global_offset_y
      - .offset:         200
        .size:           8
        .value_kind:     hidden_global_offset_z
      - .offset:         208
        .size:           2
        .value_kind:     hidden_grid_dims
    .group_segment_fixed_size: 17472
    .kernarg_segment_align: 8
    .kernarg_segment_size: 400
    .language:       OpenCL C
    .language_version:
      - 2
      - 0
    .max_flat_workgroup_size: 256
    .name:           _Z39paged_attention_ll4mi_QKV_mfma16_kernelIDF16_hLN4vllm18Fp8KVCacheDataTypeE1EDF16_Li32ELi128ELi256ELb0ELi7EL8MFMAType1EEvPKT_PKT0_S8_ifPKiSA_SA_iPKfiiiPfSD_PS3_PT2_iSC_SC_
    .private_segment_fixed_size: 0
    .sgpr_count:     39
    .sgpr_spill_count: 0
    .symbol:         _Z39paged_attention_ll4mi_QKV_mfma16_kernelIDF16_hLN4vllm18Fp8KVCacheDataTypeE1EDF16_Li32ELi128ELi256ELb0ELi7EL8MFMAType1EEvPKT_PKT0_S8_ifPKiSA_SA_iPKfiiiPfSD_PS3_PT2_iSC_SC_.kd
    .uniform_work_group_size: 1
    .uses_dynamic_stack: false
    .vgpr_count:     150
    .vgpr_spill_count: 0
    .wavefront_size: 32
    .workgroup_processor_mode: 1
  - .args:
      - .actual_access:  read_only
        .address_space:  global
        .offset:         0
        .size:           8
        .value_kind:     global_buffer
      - .actual_access:  read_only
        .address_space:  global
        .offset:         8
        .size:           8
        .value_kind:     global_buffer
      - .actual_access:  read_only
        .address_space:  global
        .offset:         16
        .size:           8
        .value_kind:     global_buffer
      - .offset:         24
        .size:           4
        .value_kind:     by_value
      - .offset:         28
        .size:           4
        .value_kind:     by_value
      - .actual_access:  read_only
        .address_space:  global
        .offset:         32
        .size:           8
        .value_kind:     global_buffer
      - .actual_access:  read_only
        .address_space:  global
        .offset:         40
        .size:           8
        .value_kind:     global_buffer
      - .actual_access:  read_only
        .address_space:  global
        .offset:         48
        .size:           8
        .value_kind:     global_buffer
      - .offset:         56
        .size:           4
        .value_kind:     by_value
      - .actual_access:  read_only
        .address_space:  global
        .offset:         64
        .size:           8
        .value_kind:     global_buffer
      - .offset:         72
        .size:           4
        .value_kind:     by_value
      - .offset:         76
        .size:           4
        .value_kind:     by_value
      - .offset:         80
        .size:           4
        .value_kind:     by_value
      - .actual_access:  write_only
        .address_space:  global
        .offset:         88
        .size:           8
        .value_kind:     global_buffer
      - .actual_access:  write_only
        .address_space:  global
        .offset:         96
        .size:           8
        .value_kind:     global_buffer
      - .actual_access:  write_only
        .address_space:  global
        .offset:         104
        .size:           8
        .value_kind:     global_buffer
      - .actual_access:  read_only
        .address_space:  global
        .offset:         112
        .size:           8
        .value_kind:     global_buffer
      - .offset:         120
        .size:           4
        .value_kind:     by_value
      - .address_space:  global
        .offset:         128
        .size:           8
        .value_kind:     global_buffer
      - .address_space:  global
        .offset:         136
        .size:           8
        .value_kind:     global_buffer
      - .offset:         144
        .size:           4
        .value_kind:     hidden_block_count_x
      - .offset:         148
        .size:           4
        .value_kind:     hidden_block_count_y
      - .offset:         152
        .size:           4
        .value_kind:     hidden_block_count_z
      - .offset:         156
        .size:           2
        .value_kind:     hidden_group_size_x
      - .offset:         158
        .size:           2
        .value_kind:     hidden_group_size_y
      - .offset:         160
        .size:           2
        .value_kind:     hidden_group_size_z
      - .offset:         162
        .size:           2
        .value_kind:     hidden_remainder_x
      - .offset:         164
        .size:           2
        .value_kind:     hidden_remainder_y
      - .offset:         166
        .size:           2
        .value_kind:     hidden_remainder_z
      - .offset:         184
        .size:           8
        .value_kind:     hidden_global_offset_x
      - .offset:         192
        .size:           8
        .value_kind:     hidden_global_offset_y
      - .offset:         200
        .size:           8
        .value_kind:     hidden_global_offset_z
      - .offset:         208
        .size:           2
        .value_kind:     hidden_grid_dims
    .group_segment_fixed_size: 17472
    .kernarg_segment_align: 8
    .kernarg_segment_size: 400
    .language:       OpenCL C
    .language_version:
      - 2
      - 0
    .max_flat_workgroup_size: 256
    .name:           _Z39paged_attention_ll4mi_QKV_mfma16_kernelIDF16_hLN4vllm18Fp8KVCacheDataTypeE1EDF16_Li32ELi128ELi256ELb0ELi8EL8MFMAType1EEvPKT_PKT0_S8_ifPKiSA_SA_iPKfiiiPfSD_PS3_PT2_iSC_SC_
    .private_segment_fixed_size: 0
    .sgpr_count:     38
    .sgpr_spill_count: 0
    .symbol:         _Z39paged_attention_ll4mi_QKV_mfma16_kernelIDF16_hLN4vllm18Fp8KVCacheDataTypeE1EDF16_Li32ELi128ELi256ELb0ELi8EL8MFMAType1EEvPKT_PKT0_S8_ifPKiSA_SA_iPKfiiiPfSD_PS3_PT2_iSC_SC_.kd
    .uniform_work_group_size: 1
    .uses_dynamic_stack: false
    .vgpr_count:     140
    .vgpr_spill_count: 0
    .wavefront_size: 32
    .workgroup_processor_mode: 1
  - .args:
      - .actual_access:  read_only
        .address_space:  global
        .offset:         0
        .size:           8
        .value_kind:     global_buffer
      - .actual_access:  read_only
        .address_space:  global
        .offset:         8
        .size:           8
        .value_kind:     global_buffer
      - .actual_access:  read_only
        .address_space:  global
        .offset:         16
        .size:           8
        .value_kind:     global_buffer
      - .offset:         24
        .size:           4
        .value_kind:     by_value
      - .offset:         28
        .size:           4
        .value_kind:     by_value
      - .actual_access:  read_only
        .address_space:  global
        .offset:         32
        .size:           8
        .value_kind:     global_buffer
      - .actual_access:  read_only
        .address_space:  global
        .offset:         40
        .size:           8
        .value_kind:     global_buffer
      - .actual_access:  read_only
        .address_space:  global
        .offset:         48
        .size:           8
        .value_kind:     global_buffer
      - .offset:         56
        .size:           4
        .value_kind:     by_value
      - .actual_access:  read_only
        .address_space:  global
        .offset:         64
        .size:           8
        .value_kind:     global_buffer
      - .offset:         72
        .size:           4
        .value_kind:     by_value
      - .offset:         76
        .size:           4
        .value_kind:     by_value
      - .offset:         80
        .size:           4
        .value_kind:     by_value
      - .actual_access:  write_only
        .address_space:  global
        .offset:         88
        .size:           8
        .value_kind:     global_buffer
      - .actual_access:  write_only
        .address_space:  global
        .offset:         96
        .size:           8
        .value_kind:     global_buffer
      - .actual_access:  write_only
        .address_space:  global
        .offset:         104
        .size:           8
        .value_kind:     global_buffer
      - .actual_access:  read_only
        .address_space:  global
        .offset:         112
        .size:           8
        .value_kind:     global_buffer
      - .offset:         120
        .size:           4
        .value_kind:     by_value
      - .address_space:  global
        .offset:         128
        .size:           8
        .value_kind:     global_buffer
      - .address_space:  global
        .offset:         136
        .size:           8
        .value_kind:     global_buffer
      - .offset:         144
        .size:           4
        .value_kind:     hidden_block_count_x
      - .offset:         148
        .size:           4
        .value_kind:     hidden_block_count_y
      - .offset:         152
        .size:           4
        .value_kind:     hidden_block_count_z
      - .offset:         156
        .size:           2
        .value_kind:     hidden_group_size_x
      - .offset:         158
        .size:           2
        .value_kind:     hidden_group_size_y
      - .offset:         160
        .size:           2
        .value_kind:     hidden_group_size_z
      - .offset:         162
        .size:           2
        .value_kind:     hidden_remainder_x
      - .offset:         164
        .size:           2
        .value_kind:     hidden_remainder_y
      - .offset:         166
        .size:           2
        .value_kind:     hidden_remainder_z
      - .offset:         184
        .size:           8
        .value_kind:     hidden_global_offset_x
      - .offset:         192
        .size:           8
        .value_kind:     hidden_global_offset_y
      - .offset:         200
        .size:           8
        .value_kind:     hidden_global_offset_z
      - .offset:         208
        .size:           2
        .value_kind:     hidden_grid_dims
    .group_segment_fixed_size: 17472
    .kernarg_segment_align: 8
    .kernarg_segment_size: 400
    .language:       OpenCL C
    .language_version:
      - 2
      - 0
    .max_flat_workgroup_size: 256
    .name:           _Z39paged_attention_ll4mi_QKV_mfma16_kernelIDF16_hLN4vllm18Fp8KVCacheDataTypeE1EDF16_Li32ELi128ELi256ELb0ELi9EL8MFMAType1EEvPKT_PKT0_S8_ifPKiSA_SA_iPKfiiiPfSD_PS3_PT2_iSC_SC_
    .private_segment_fixed_size: 0
    .sgpr_count:     39
    .sgpr_spill_count: 0
    .symbol:         _Z39paged_attention_ll4mi_QKV_mfma16_kernelIDF16_hLN4vllm18Fp8KVCacheDataTypeE1EDF16_Li32ELi128ELi256ELb0ELi9EL8MFMAType1EEvPKT_PKT0_S8_ifPKiSA_SA_iPKfiiiPfSD_PS3_PT2_iSC_SC_.kd
    .uniform_work_group_size: 1
    .uses_dynamic_stack: false
    .vgpr_count:     150
    .vgpr_spill_count: 0
    .wavefront_size: 32
    .workgroup_processor_mode: 1
  - .args:
      - .actual_access:  read_only
        .address_space:  global
        .offset:         0
        .size:           8
        .value_kind:     global_buffer
      - .actual_access:  read_only
        .address_space:  global
        .offset:         8
        .size:           8
        .value_kind:     global_buffer
      - .actual_access:  read_only
        .address_space:  global
        .offset:         16
        .size:           8
        .value_kind:     global_buffer
      - .offset:         24
        .size:           4
        .value_kind:     by_value
      - .offset:         28
        .size:           4
        .value_kind:     by_value
      - .actual_access:  read_only
        .address_space:  global
        .offset:         32
        .size:           8
        .value_kind:     global_buffer
      - .actual_access:  read_only
        .address_space:  global
        .offset:         40
        .size:           8
        .value_kind:     global_buffer
      - .actual_access:  read_only
        .address_space:  global
        .offset:         48
        .size:           8
        .value_kind:     global_buffer
      - .offset:         56
        .size:           4
        .value_kind:     by_value
      - .actual_access:  read_only
        .address_space:  global
        .offset:         64
        .size:           8
        .value_kind:     global_buffer
      - .offset:         72
        .size:           4
        .value_kind:     by_value
      - .offset:         76
        .size:           4
        .value_kind:     by_value
      - .offset:         80
        .size:           4
        .value_kind:     by_value
      - .actual_access:  write_only
        .address_space:  global
        .offset:         88
        .size:           8
        .value_kind:     global_buffer
      - .actual_access:  write_only
        .address_space:  global
        .offset:         96
        .size:           8
        .value_kind:     global_buffer
      - .actual_access:  write_only
        .address_space:  global
        .offset:         104
        .size:           8
        .value_kind:     global_buffer
      - .actual_access:  read_only
        .address_space:  global
        .offset:         112
        .size:           8
        .value_kind:     global_buffer
      - .offset:         120
        .size:           4
        .value_kind:     by_value
      - .address_space:  global
        .offset:         128
        .size:           8
        .value_kind:     global_buffer
      - .address_space:  global
        .offset:         136
        .size:           8
        .value_kind:     global_buffer
      - .offset:         144
        .size:           4
        .value_kind:     hidden_block_count_x
      - .offset:         148
        .size:           4
        .value_kind:     hidden_block_count_y
      - .offset:         152
        .size:           4
        .value_kind:     hidden_block_count_z
      - .offset:         156
        .size:           2
        .value_kind:     hidden_group_size_x
      - .offset:         158
        .size:           2
        .value_kind:     hidden_group_size_y
      - .offset:         160
        .size:           2
        .value_kind:     hidden_group_size_z
      - .offset:         162
        .size:           2
        .value_kind:     hidden_remainder_x
      - .offset:         164
        .size:           2
        .value_kind:     hidden_remainder_y
      - .offset:         166
        .size:           2
        .value_kind:     hidden_remainder_z
      - .offset:         184
        .size:           8
        .value_kind:     hidden_global_offset_x
      - .offset:         192
        .size:           8
        .value_kind:     hidden_global_offset_y
      - .offset:         200
        .size:           8
        .value_kind:     hidden_global_offset_z
      - .offset:         208
        .size:           2
        .value_kind:     hidden_grid_dims
    .group_segment_fixed_size: 17472
    .kernarg_segment_align: 8
    .kernarg_segment_size: 400
    .language:       OpenCL C
    .language_version:
      - 2
      - 0
    .max_flat_workgroup_size: 256
    .name:           _Z39paged_attention_ll4mi_QKV_mfma16_kernelIDF16_hLN4vllm18Fp8KVCacheDataTypeE1EDF16_Li32ELi128ELi256ELb0ELi10EL8MFMAType1EEvPKT_PKT0_S8_ifPKiSA_SA_iPKfiiiPfSD_PS3_PT2_iSC_SC_
    .private_segment_fixed_size: 0
    .sgpr_count:     39
    .sgpr_spill_count: 0
    .symbol:         _Z39paged_attention_ll4mi_QKV_mfma16_kernelIDF16_hLN4vllm18Fp8KVCacheDataTypeE1EDF16_Li32ELi128ELi256ELb0ELi10EL8MFMAType1EEvPKT_PKT0_S8_ifPKiSA_SA_iPKfiiiPfSD_PS3_PT2_iSC_SC_.kd
    .uniform_work_group_size: 1
    .uses_dynamic_stack: false
    .vgpr_count:     150
    .vgpr_spill_count: 0
    .wavefront_size: 32
    .workgroup_processor_mode: 1
  - .args:
      - .actual_access:  read_only
        .address_space:  global
        .offset:         0
        .size:           8
        .value_kind:     global_buffer
      - .actual_access:  read_only
        .address_space:  global
        .offset:         8
        .size:           8
        .value_kind:     global_buffer
      - .actual_access:  read_only
        .address_space:  global
        .offset:         16
        .size:           8
        .value_kind:     global_buffer
      - .offset:         24
        .size:           4
        .value_kind:     by_value
      - .offset:         28
        .size:           4
        .value_kind:     by_value
      - .actual_access:  read_only
        .address_space:  global
        .offset:         32
        .size:           8
        .value_kind:     global_buffer
      - .actual_access:  read_only
        .address_space:  global
        .offset:         40
        .size:           8
        .value_kind:     global_buffer
      - .actual_access:  read_only
        .address_space:  global
        .offset:         48
        .size:           8
        .value_kind:     global_buffer
      - .offset:         56
        .size:           4
        .value_kind:     by_value
      - .actual_access:  read_only
        .address_space:  global
        .offset:         64
        .size:           8
        .value_kind:     global_buffer
      - .offset:         72
        .size:           4
        .value_kind:     by_value
      - .offset:         76
        .size:           4
        .value_kind:     by_value
      - .offset:         80
        .size:           4
        .value_kind:     by_value
      - .actual_access:  write_only
        .address_space:  global
        .offset:         88
        .size:           8
        .value_kind:     global_buffer
      - .actual_access:  write_only
        .address_space:  global
        .offset:         96
        .size:           8
        .value_kind:     global_buffer
      - .actual_access:  write_only
        .address_space:  global
        .offset:         104
        .size:           8
        .value_kind:     global_buffer
      - .actual_access:  read_only
        .address_space:  global
        .offset:         112
        .size:           8
        .value_kind:     global_buffer
      - .offset:         120
        .size:           4
        .value_kind:     by_value
      - .address_space:  global
        .offset:         128
        .size:           8
        .value_kind:     global_buffer
      - .address_space:  global
        .offset:         136
        .size:           8
        .value_kind:     global_buffer
      - .offset:         144
        .size:           4
        .value_kind:     hidden_block_count_x
      - .offset:         148
        .size:           4
        .value_kind:     hidden_block_count_y
      - .offset:         152
        .size:           4
        .value_kind:     hidden_block_count_z
      - .offset:         156
        .size:           2
        .value_kind:     hidden_group_size_x
      - .offset:         158
        .size:           2
        .value_kind:     hidden_group_size_y
      - .offset:         160
        .size:           2
        .value_kind:     hidden_group_size_z
      - .offset:         162
        .size:           2
        .value_kind:     hidden_remainder_x
      - .offset:         164
        .size:           2
        .value_kind:     hidden_remainder_y
      - .offset:         166
        .size:           2
        .value_kind:     hidden_remainder_z
      - .offset:         184
        .size:           8
        .value_kind:     hidden_global_offset_x
      - .offset:         192
        .size:           8
        .value_kind:     hidden_global_offset_y
      - .offset:         200
        .size:           8
        .value_kind:     hidden_global_offset_z
      - .offset:         208
        .size:           2
        .value_kind:     hidden_grid_dims
    .group_segment_fixed_size: 17472
    .kernarg_segment_align: 8
    .kernarg_segment_size: 400
    .language:       OpenCL C
    .language_version:
      - 2
      - 0
    .max_flat_workgroup_size: 256
    .name:           _Z39paged_attention_ll4mi_QKV_mfma16_kernelIDF16_hLN4vllm18Fp8KVCacheDataTypeE1EDF16_Li32ELi128ELi256ELb0ELi11EL8MFMAType1EEvPKT_PKT0_S8_ifPKiSA_SA_iPKfiiiPfSD_PS3_PT2_iSC_SC_
    .private_segment_fixed_size: 0
    .sgpr_count:     39
    .sgpr_spill_count: 0
    .symbol:         _Z39paged_attention_ll4mi_QKV_mfma16_kernelIDF16_hLN4vllm18Fp8KVCacheDataTypeE1EDF16_Li32ELi128ELi256ELb0ELi11EL8MFMAType1EEvPKT_PKT0_S8_ifPKiSA_SA_iPKfiiiPfSD_PS3_PT2_iSC_SC_.kd
    .uniform_work_group_size: 1
    .uses_dynamic_stack: false
    .vgpr_count:     150
    .vgpr_spill_count: 0
    .wavefront_size: 32
    .workgroup_processor_mode: 1
  - .args:
      - .actual_access:  read_only
        .address_space:  global
        .offset:         0
        .size:           8
        .value_kind:     global_buffer
      - .actual_access:  read_only
        .address_space:  global
        .offset:         8
        .size:           8
        .value_kind:     global_buffer
      - .actual_access:  read_only
        .address_space:  global
        .offset:         16
        .size:           8
        .value_kind:     global_buffer
      - .offset:         24
        .size:           4
        .value_kind:     by_value
      - .offset:         28
        .size:           4
        .value_kind:     by_value
      - .actual_access:  read_only
        .address_space:  global
        .offset:         32
        .size:           8
        .value_kind:     global_buffer
      - .actual_access:  read_only
        .address_space:  global
        .offset:         40
        .size:           8
        .value_kind:     global_buffer
      - .actual_access:  read_only
        .address_space:  global
        .offset:         48
        .size:           8
        .value_kind:     global_buffer
      - .offset:         56
        .size:           4
        .value_kind:     by_value
      - .actual_access:  read_only
        .address_space:  global
        .offset:         64
        .size:           8
        .value_kind:     global_buffer
      - .offset:         72
        .size:           4
        .value_kind:     by_value
      - .offset:         76
        .size:           4
        .value_kind:     by_value
      - .offset:         80
        .size:           4
        .value_kind:     by_value
      - .actual_access:  write_only
        .address_space:  global
        .offset:         88
        .size:           8
        .value_kind:     global_buffer
      - .actual_access:  write_only
        .address_space:  global
        .offset:         96
        .size:           8
        .value_kind:     global_buffer
      - .actual_access:  write_only
        .address_space:  global
        .offset:         104
        .size:           8
        .value_kind:     global_buffer
      - .actual_access:  read_only
        .address_space:  global
        .offset:         112
        .size:           8
        .value_kind:     global_buffer
      - .offset:         120
        .size:           4
        .value_kind:     by_value
      - .address_space:  global
        .offset:         128
        .size:           8
        .value_kind:     global_buffer
      - .address_space:  global
        .offset:         136
        .size:           8
        .value_kind:     global_buffer
      - .offset:         144
        .size:           4
        .value_kind:     hidden_block_count_x
      - .offset:         148
        .size:           4
        .value_kind:     hidden_block_count_y
      - .offset:         152
        .size:           4
        .value_kind:     hidden_block_count_z
      - .offset:         156
        .size:           2
        .value_kind:     hidden_group_size_x
      - .offset:         158
        .size:           2
        .value_kind:     hidden_group_size_y
      - .offset:         160
        .size:           2
        .value_kind:     hidden_group_size_z
      - .offset:         162
        .size:           2
        .value_kind:     hidden_remainder_x
      - .offset:         164
        .size:           2
        .value_kind:     hidden_remainder_y
      - .offset:         166
        .size:           2
        .value_kind:     hidden_remainder_z
      - .offset:         184
        .size:           8
        .value_kind:     hidden_global_offset_x
      - .offset:         192
        .size:           8
        .value_kind:     hidden_global_offset_y
      - .offset:         200
        .size:           8
        .value_kind:     hidden_global_offset_z
      - .offset:         208
        .size:           2
        .value_kind:     hidden_grid_dims
    .group_segment_fixed_size: 17472
    .kernarg_segment_align: 8
    .kernarg_segment_size: 400
    .language:       OpenCL C
    .language_version:
      - 2
      - 0
    .max_flat_workgroup_size: 256
    .name:           _Z39paged_attention_ll4mi_QKV_mfma16_kernelIDF16_hLN4vllm18Fp8KVCacheDataTypeE1EDF16_Li32ELi128ELi256ELb0ELi12EL8MFMAType1EEvPKT_PKT0_S8_ifPKiSA_SA_iPKfiiiPfSD_PS3_PT2_iSC_SC_
    .private_segment_fixed_size: 0
    .sgpr_count:     39
    .sgpr_spill_count: 0
    .symbol:         _Z39paged_attention_ll4mi_QKV_mfma16_kernelIDF16_hLN4vllm18Fp8KVCacheDataTypeE1EDF16_Li32ELi128ELi256ELb0ELi12EL8MFMAType1EEvPKT_PKT0_S8_ifPKiSA_SA_iPKfiiiPfSD_PS3_PT2_iSC_SC_.kd
    .uniform_work_group_size: 1
    .uses_dynamic_stack: false
    .vgpr_count:     150
    .vgpr_spill_count: 0
    .wavefront_size: 32
    .workgroup_processor_mode: 1
  - .args:
      - .actual_access:  read_only
        .address_space:  global
        .offset:         0
        .size:           8
        .value_kind:     global_buffer
      - .actual_access:  read_only
        .address_space:  global
        .offset:         8
        .size:           8
        .value_kind:     global_buffer
      - .actual_access:  read_only
        .address_space:  global
        .offset:         16
        .size:           8
        .value_kind:     global_buffer
      - .offset:         24
        .size:           4
        .value_kind:     by_value
      - .offset:         28
        .size:           4
        .value_kind:     by_value
      - .actual_access:  read_only
        .address_space:  global
        .offset:         32
        .size:           8
        .value_kind:     global_buffer
      - .actual_access:  read_only
        .address_space:  global
        .offset:         40
        .size:           8
        .value_kind:     global_buffer
      - .actual_access:  read_only
        .address_space:  global
        .offset:         48
        .size:           8
        .value_kind:     global_buffer
      - .offset:         56
        .size:           4
        .value_kind:     by_value
      - .actual_access:  read_only
        .address_space:  global
        .offset:         64
        .size:           8
        .value_kind:     global_buffer
      - .offset:         72
        .size:           4
        .value_kind:     by_value
      - .offset:         76
        .size:           4
        .value_kind:     by_value
      - .offset:         80
        .size:           4
        .value_kind:     by_value
      - .actual_access:  write_only
        .address_space:  global
        .offset:         88
        .size:           8
        .value_kind:     global_buffer
      - .actual_access:  write_only
        .address_space:  global
        .offset:         96
        .size:           8
        .value_kind:     global_buffer
      - .actual_access:  write_only
        .address_space:  global
        .offset:         104
        .size:           8
        .value_kind:     global_buffer
      - .actual_access:  read_only
        .address_space:  global
        .offset:         112
        .size:           8
        .value_kind:     global_buffer
      - .offset:         120
        .size:           4
        .value_kind:     by_value
      - .address_space:  global
        .offset:         128
        .size:           8
        .value_kind:     global_buffer
      - .address_space:  global
        .offset:         136
        .size:           8
        .value_kind:     global_buffer
      - .offset:         144
        .size:           4
        .value_kind:     hidden_block_count_x
      - .offset:         148
        .size:           4
        .value_kind:     hidden_block_count_y
      - .offset:         152
        .size:           4
        .value_kind:     hidden_block_count_z
      - .offset:         156
        .size:           2
        .value_kind:     hidden_group_size_x
      - .offset:         158
        .size:           2
        .value_kind:     hidden_group_size_y
      - .offset:         160
        .size:           2
        .value_kind:     hidden_group_size_z
      - .offset:         162
        .size:           2
        .value_kind:     hidden_remainder_x
      - .offset:         164
        .size:           2
        .value_kind:     hidden_remainder_y
      - .offset:         166
        .size:           2
        .value_kind:     hidden_remainder_z
      - .offset:         184
        .size:           8
        .value_kind:     hidden_global_offset_x
      - .offset:         192
        .size:           8
        .value_kind:     hidden_global_offset_y
      - .offset:         200
        .size:           8
        .value_kind:     hidden_global_offset_z
      - .offset:         208
        .size:           2
        .value_kind:     hidden_grid_dims
    .group_segment_fixed_size: 17472
    .kernarg_segment_align: 8
    .kernarg_segment_size: 400
    .language:       OpenCL C
    .language_version:
      - 2
      - 0
    .max_flat_workgroup_size: 256
    .name:           _Z39paged_attention_ll4mi_QKV_mfma16_kernelIDF16_hLN4vllm18Fp8KVCacheDataTypeE1EDF16_Li32ELi128ELi256ELb0ELi13EL8MFMAType1EEvPKT_PKT0_S8_ifPKiSA_SA_iPKfiiiPfSD_PS3_PT2_iSC_SC_
    .private_segment_fixed_size: 0
    .sgpr_count:     39
    .sgpr_spill_count: 0
    .symbol:         _Z39paged_attention_ll4mi_QKV_mfma16_kernelIDF16_hLN4vllm18Fp8KVCacheDataTypeE1EDF16_Li32ELi128ELi256ELb0ELi13EL8MFMAType1EEvPKT_PKT0_S8_ifPKiSA_SA_iPKfiiiPfSD_PS3_PT2_iSC_SC_.kd
    .uniform_work_group_size: 1
    .uses_dynamic_stack: false
    .vgpr_count:     150
    .vgpr_spill_count: 0
    .wavefront_size: 32
    .workgroup_processor_mode: 1
  - .args:
      - .actual_access:  read_only
        .address_space:  global
        .offset:         0
        .size:           8
        .value_kind:     global_buffer
      - .actual_access:  read_only
        .address_space:  global
        .offset:         8
        .size:           8
        .value_kind:     global_buffer
      - .actual_access:  read_only
        .address_space:  global
        .offset:         16
        .size:           8
        .value_kind:     global_buffer
      - .offset:         24
        .size:           4
        .value_kind:     by_value
      - .offset:         28
        .size:           4
        .value_kind:     by_value
      - .actual_access:  read_only
        .address_space:  global
        .offset:         32
        .size:           8
        .value_kind:     global_buffer
      - .actual_access:  read_only
        .address_space:  global
        .offset:         40
        .size:           8
        .value_kind:     global_buffer
      - .actual_access:  read_only
        .address_space:  global
        .offset:         48
        .size:           8
        .value_kind:     global_buffer
      - .offset:         56
        .size:           4
        .value_kind:     by_value
      - .actual_access:  read_only
        .address_space:  global
        .offset:         64
        .size:           8
        .value_kind:     global_buffer
      - .offset:         72
        .size:           4
        .value_kind:     by_value
      - .offset:         76
        .size:           4
        .value_kind:     by_value
      - .offset:         80
        .size:           4
        .value_kind:     by_value
      - .actual_access:  write_only
        .address_space:  global
        .offset:         88
        .size:           8
        .value_kind:     global_buffer
      - .actual_access:  write_only
        .address_space:  global
        .offset:         96
        .size:           8
        .value_kind:     global_buffer
      - .actual_access:  write_only
        .address_space:  global
        .offset:         104
        .size:           8
        .value_kind:     global_buffer
      - .actual_access:  read_only
        .address_space:  global
        .offset:         112
        .size:           8
        .value_kind:     global_buffer
      - .offset:         120
        .size:           4
        .value_kind:     by_value
      - .address_space:  global
        .offset:         128
        .size:           8
        .value_kind:     global_buffer
      - .address_space:  global
        .offset:         136
        .size:           8
        .value_kind:     global_buffer
      - .offset:         144
        .size:           4
        .value_kind:     hidden_block_count_x
      - .offset:         148
        .size:           4
        .value_kind:     hidden_block_count_y
      - .offset:         152
        .size:           4
        .value_kind:     hidden_block_count_z
      - .offset:         156
        .size:           2
        .value_kind:     hidden_group_size_x
      - .offset:         158
        .size:           2
        .value_kind:     hidden_group_size_y
      - .offset:         160
        .size:           2
        .value_kind:     hidden_group_size_z
      - .offset:         162
        .size:           2
        .value_kind:     hidden_remainder_x
      - .offset:         164
        .size:           2
        .value_kind:     hidden_remainder_y
      - .offset:         166
        .size:           2
        .value_kind:     hidden_remainder_z
      - .offset:         184
        .size:           8
        .value_kind:     hidden_global_offset_x
      - .offset:         192
        .size:           8
        .value_kind:     hidden_global_offset_y
      - .offset:         200
        .size:           8
        .value_kind:     hidden_global_offset_z
      - .offset:         208
        .size:           2
        .value_kind:     hidden_grid_dims
    .group_segment_fixed_size: 17472
    .kernarg_segment_align: 8
    .kernarg_segment_size: 400
    .language:       OpenCL C
    .language_version:
      - 2
      - 0
    .max_flat_workgroup_size: 256
    .name:           _Z39paged_attention_ll4mi_QKV_mfma16_kernelIDF16_hLN4vllm18Fp8KVCacheDataTypeE1EDF16_Li32ELi128ELi256ELb0ELi14EL8MFMAType1EEvPKT_PKT0_S8_ifPKiSA_SA_iPKfiiiPfSD_PS3_PT2_iSC_SC_
    .private_segment_fixed_size: 0
    .sgpr_count:     39
    .sgpr_spill_count: 0
    .symbol:         _Z39paged_attention_ll4mi_QKV_mfma16_kernelIDF16_hLN4vllm18Fp8KVCacheDataTypeE1EDF16_Li32ELi128ELi256ELb0ELi14EL8MFMAType1EEvPKT_PKT0_S8_ifPKiSA_SA_iPKfiiiPfSD_PS3_PT2_iSC_SC_.kd
    .uniform_work_group_size: 1
    .uses_dynamic_stack: false
    .vgpr_count:     150
    .vgpr_spill_count: 0
    .wavefront_size: 32
    .workgroup_processor_mode: 1
  - .args:
      - .actual_access:  read_only
        .address_space:  global
        .offset:         0
        .size:           8
        .value_kind:     global_buffer
      - .actual_access:  read_only
        .address_space:  global
        .offset:         8
        .size:           8
        .value_kind:     global_buffer
      - .actual_access:  read_only
        .address_space:  global
        .offset:         16
        .size:           8
        .value_kind:     global_buffer
      - .offset:         24
        .size:           4
        .value_kind:     by_value
      - .offset:         28
        .size:           4
        .value_kind:     by_value
      - .actual_access:  read_only
        .address_space:  global
        .offset:         32
        .size:           8
        .value_kind:     global_buffer
      - .actual_access:  read_only
        .address_space:  global
        .offset:         40
        .size:           8
        .value_kind:     global_buffer
      - .actual_access:  read_only
        .address_space:  global
        .offset:         48
        .size:           8
        .value_kind:     global_buffer
      - .offset:         56
        .size:           4
        .value_kind:     by_value
      - .actual_access:  read_only
        .address_space:  global
        .offset:         64
        .size:           8
        .value_kind:     global_buffer
      - .offset:         72
        .size:           4
        .value_kind:     by_value
      - .offset:         76
        .size:           4
        .value_kind:     by_value
      - .offset:         80
        .size:           4
        .value_kind:     by_value
      - .actual_access:  write_only
        .address_space:  global
        .offset:         88
        .size:           8
        .value_kind:     global_buffer
      - .actual_access:  write_only
        .address_space:  global
        .offset:         96
        .size:           8
        .value_kind:     global_buffer
      - .actual_access:  write_only
        .address_space:  global
        .offset:         104
        .size:           8
        .value_kind:     global_buffer
      - .actual_access:  read_only
        .address_space:  global
        .offset:         112
        .size:           8
        .value_kind:     global_buffer
      - .offset:         120
        .size:           4
        .value_kind:     by_value
      - .address_space:  global
        .offset:         128
        .size:           8
        .value_kind:     global_buffer
      - .address_space:  global
        .offset:         136
        .size:           8
        .value_kind:     global_buffer
      - .offset:         144
        .size:           4
        .value_kind:     hidden_block_count_x
      - .offset:         148
        .size:           4
        .value_kind:     hidden_block_count_y
      - .offset:         152
        .size:           4
        .value_kind:     hidden_block_count_z
      - .offset:         156
        .size:           2
        .value_kind:     hidden_group_size_x
      - .offset:         158
        .size:           2
        .value_kind:     hidden_group_size_y
      - .offset:         160
        .size:           2
        .value_kind:     hidden_group_size_z
      - .offset:         162
        .size:           2
        .value_kind:     hidden_remainder_x
      - .offset:         164
        .size:           2
        .value_kind:     hidden_remainder_y
      - .offset:         166
        .size:           2
        .value_kind:     hidden_remainder_z
      - .offset:         184
        .size:           8
        .value_kind:     hidden_global_offset_x
      - .offset:         192
        .size:           8
        .value_kind:     hidden_global_offset_y
      - .offset:         200
        .size:           8
        .value_kind:     hidden_global_offset_z
      - .offset:         208
        .size:           2
        .value_kind:     hidden_grid_dims
    .group_segment_fixed_size: 17472
    .kernarg_segment_align: 8
    .kernarg_segment_size: 400
    .language:       OpenCL C
    .language_version:
      - 2
      - 0
    .max_flat_workgroup_size: 256
    .name:           _Z39paged_attention_ll4mi_QKV_mfma16_kernelIDF16_hLN4vllm18Fp8KVCacheDataTypeE1EDF16_Li32ELi128ELi256ELb0ELi15EL8MFMAType1EEvPKT_PKT0_S8_ifPKiSA_SA_iPKfiiiPfSD_PS3_PT2_iSC_SC_
    .private_segment_fixed_size: 0
    .sgpr_count:     39
    .sgpr_spill_count: 0
    .symbol:         _Z39paged_attention_ll4mi_QKV_mfma16_kernelIDF16_hLN4vllm18Fp8KVCacheDataTypeE1EDF16_Li32ELi128ELi256ELb0ELi15EL8MFMAType1EEvPKT_PKT0_S8_ifPKiSA_SA_iPKfiiiPfSD_PS3_PT2_iSC_SC_.kd
    .uniform_work_group_size: 1
    .uses_dynamic_stack: false
    .vgpr_count:     150
    .vgpr_spill_count: 0
    .wavefront_size: 32
    .workgroup_processor_mode: 1
  - .args:
      - .actual_access:  read_only
        .address_space:  global
        .offset:         0
        .size:           8
        .value_kind:     global_buffer
      - .actual_access:  read_only
        .address_space:  global
        .offset:         8
        .size:           8
        .value_kind:     global_buffer
      - .actual_access:  read_only
        .address_space:  global
        .offset:         16
        .size:           8
        .value_kind:     global_buffer
      - .offset:         24
        .size:           4
        .value_kind:     by_value
      - .offset:         28
        .size:           4
        .value_kind:     by_value
      - .actual_access:  read_only
        .address_space:  global
        .offset:         32
        .size:           8
        .value_kind:     global_buffer
      - .actual_access:  read_only
        .address_space:  global
        .offset:         40
        .size:           8
        .value_kind:     global_buffer
      - .actual_access:  read_only
        .address_space:  global
        .offset:         48
        .size:           8
        .value_kind:     global_buffer
      - .offset:         56
        .size:           4
        .value_kind:     by_value
      - .actual_access:  read_only
        .address_space:  global
        .offset:         64
        .size:           8
        .value_kind:     global_buffer
      - .offset:         72
        .size:           4
        .value_kind:     by_value
      - .offset:         76
        .size:           4
        .value_kind:     by_value
      - .offset:         80
        .size:           4
        .value_kind:     by_value
      - .actual_access:  write_only
        .address_space:  global
        .offset:         88
        .size:           8
        .value_kind:     global_buffer
      - .actual_access:  write_only
        .address_space:  global
        .offset:         96
        .size:           8
        .value_kind:     global_buffer
      - .actual_access:  write_only
        .address_space:  global
        .offset:         104
        .size:           8
        .value_kind:     global_buffer
      - .actual_access:  read_only
        .address_space:  global
        .offset:         112
        .size:           8
        .value_kind:     global_buffer
      - .offset:         120
        .size:           4
        .value_kind:     by_value
      - .address_space:  global
        .offset:         128
        .size:           8
        .value_kind:     global_buffer
      - .address_space:  global
        .offset:         136
        .size:           8
        .value_kind:     global_buffer
      - .offset:         144
        .size:           4
        .value_kind:     hidden_block_count_x
      - .offset:         148
        .size:           4
        .value_kind:     hidden_block_count_y
      - .offset:         152
        .size:           4
        .value_kind:     hidden_block_count_z
      - .offset:         156
        .size:           2
        .value_kind:     hidden_group_size_x
      - .offset:         158
        .size:           2
        .value_kind:     hidden_group_size_y
      - .offset:         160
        .size:           2
        .value_kind:     hidden_group_size_z
      - .offset:         162
        .size:           2
        .value_kind:     hidden_remainder_x
      - .offset:         164
        .size:           2
        .value_kind:     hidden_remainder_y
      - .offset:         166
        .size:           2
        .value_kind:     hidden_remainder_z
      - .offset:         184
        .size:           8
        .value_kind:     hidden_global_offset_x
      - .offset:         192
        .size:           8
        .value_kind:     hidden_global_offset_y
      - .offset:         200
        .size:           8
        .value_kind:     hidden_global_offset_z
      - .offset:         208
        .size:           2
        .value_kind:     hidden_grid_dims
    .group_segment_fixed_size: 17472
    .kernarg_segment_align: 8
    .kernarg_segment_size: 400
    .language:       OpenCL C
    .language_version:
      - 2
      - 0
    .max_flat_workgroup_size: 256
    .name:           _Z39paged_attention_ll4mi_QKV_mfma16_kernelIDF16_hLN4vllm18Fp8KVCacheDataTypeE1EDF16_Li32ELi128ELi256ELb0ELi16EL8MFMAType1EEvPKT_PKT0_S8_ifPKiSA_SA_iPKfiiiPfSD_PS3_PT2_iSC_SC_
    .private_segment_fixed_size: 0
    .sgpr_count:     39
    .sgpr_spill_count: 0
    .symbol:         _Z39paged_attention_ll4mi_QKV_mfma16_kernelIDF16_hLN4vllm18Fp8KVCacheDataTypeE1EDF16_Li32ELi128ELi256ELb0ELi16EL8MFMAType1EEvPKT_PKT0_S8_ifPKiSA_SA_iPKfiiiPfSD_PS3_PT2_iSC_SC_.kd
    .uniform_work_group_size: 1
    .uses_dynamic_stack: false
    .vgpr_count:     140
    .vgpr_spill_count: 0
    .wavefront_size: 32
    .workgroup_processor_mode: 1
  - .args:
      - .actual_access:  read_only
        .address_space:  global
        .offset:         0
        .size:           8
        .value_kind:     global_buffer
      - .actual_access:  read_only
        .address_space:  global
        .offset:         8
        .size:           8
        .value_kind:     global_buffer
      - .actual_access:  read_only
        .address_space:  global
        .offset:         16
        .size:           8
        .value_kind:     global_buffer
      - .offset:         24
        .size:           4
        .value_kind:     by_value
      - .offset:         28
        .size:           4
        .value_kind:     by_value
      - .actual_access:  read_only
        .address_space:  global
        .offset:         32
        .size:           8
        .value_kind:     global_buffer
      - .actual_access:  read_only
        .address_space:  global
        .offset:         40
        .size:           8
        .value_kind:     global_buffer
      - .actual_access:  read_only
        .address_space:  global
        .offset:         48
        .size:           8
        .value_kind:     global_buffer
      - .offset:         56
        .size:           4
        .value_kind:     by_value
      - .actual_access:  read_only
        .address_space:  global
        .offset:         64
        .size:           8
        .value_kind:     global_buffer
      - .offset:         72
        .size:           4
        .value_kind:     by_value
      - .offset:         76
        .size:           4
        .value_kind:     by_value
      - .offset:         80
        .size:           4
        .value_kind:     by_value
      - .actual_access:  write_only
        .address_space:  global
        .offset:         88
        .size:           8
        .value_kind:     global_buffer
      - .actual_access:  write_only
        .address_space:  global
        .offset:         96
        .size:           8
        .value_kind:     global_buffer
      - .actual_access:  write_only
        .address_space:  global
        .offset:         104
        .size:           8
        .value_kind:     global_buffer
      - .actual_access:  read_only
        .address_space:  global
        .offset:         112
        .size:           8
        .value_kind:     global_buffer
      - .offset:         120
        .size:           4
        .value_kind:     by_value
      - .address_space:  global
        .offset:         128
        .size:           8
        .value_kind:     global_buffer
      - .address_space:  global
        .offset:         136
        .size:           8
        .value_kind:     global_buffer
      - .offset:         144
        .size:           4
        .value_kind:     hidden_block_count_x
      - .offset:         148
        .size:           4
        .value_kind:     hidden_block_count_y
      - .offset:         152
        .size:           4
        .value_kind:     hidden_block_count_z
      - .offset:         156
        .size:           2
        .value_kind:     hidden_group_size_x
      - .offset:         158
        .size:           2
        .value_kind:     hidden_group_size_y
      - .offset:         160
        .size:           2
        .value_kind:     hidden_group_size_z
      - .offset:         162
        .size:           2
        .value_kind:     hidden_remainder_x
      - .offset:         164
        .size:           2
        .value_kind:     hidden_remainder_y
      - .offset:         166
        .size:           2
        .value_kind:     hidden_remainder_z
      - .offset:         184
        .size:           8
        .value_kind:     hidden_global_offset_x
      - .offset:         192
        .size:           8
        .value_kind:     hidden_global_offset_y
      - .offset:         200
        .size:           8
        .value_kind:     hidden_global_offset_z
      - .offset:         208
        .size:           2
        .value_kind:     hidden_grid_dims
    .group_segment_fixed_size: 17472
    .kernarg_segment_align: 8
    .kernarg_segment_size: 400
    .language:       OpenCL C
    .language_version:
      - 2
      - 0
    .max_flat_workgroup_size: 256
    .name:           _Z39paged_attention_ll4mi_QKV_mfma16_kernelIDF16_hLN4vllm18Fp8KVCacheDataTypeE1EDF16_Li32ELi128ELi256ELb0ELi1EL8MFMAType1EEvPKT_PKT0_S8_ifPKiSA_SA_iPKfiiiPfSD_PS3_PT2_iSC_SC_
    .private_segment_fixed_size: 0
    .sgpr_count:     70
    .sgpr_spill_count: 0
    .symbol:         _Z39paged_attention_ll4mi_QKV_mfma16_kernelIDF16_hLN4vllm18Fp8KVCacheDataTypeE1EDF16_Li32ELi128ELi256ELb0ELi1EL8MFMAType1EEvPKT_PKT0_S8_ifPKiSA_SA_iPKfiiiPfSD_PS3_PT2_iSC_SC_.kd
    .uniform_work_group_size: 1
    .uses_dynamic_stack: false
    .vgpr_count:     134
    .vgpr_spill_count: 0
    .wavefront_size: 32
    .workgroup_processor_mode: 1
  - .args:
      - .actual_access:  read_only
        .address_space:  global
        .offset:         0
        .size:           8
        .value_kind:     global_buffer
      - .actual_access:  read_only
        .address_space:  global
        .offset:         8
        .size:           8
        .value_kind:     global_buffer
      - .actual_access:  read_only
        .address_space:  global
        .offset:         16
        .size:           8
        .value_kind:     global_buffer
      - .offset:         24
        .size:           4
        .value_kind:     by_value
      - .offset:         28
        .size:           4
        .value_kind:     by_value
      - .actual_access:  read_only
        .address_space:  global
        .offset:         32
        .size:           8
        .value_kind:     global_buffer
      - .actual_access:  read_only
        .address_space:  global
        .offset:         40
        .size:           8
        .value_kind:     global_buffer
      - .actual_access:  read_only
        .address_space:  global
        .offset:         48
        .size:           8
        .value_kind:     global_buffer
      - .offset:         56
        .size:           4
        .value_kind:     by_value
      - .actual_access:  read_only
        .address_space:  global
        .offset:         64
        .size:           8
        .value_kind:     global_buffer
      - .offset:         72
        .size:           4
        .value_kind:     by_value
      - .offset:         76
        .size:           4
        .value_kind:     by_value
      - .offset:         80
        .size:           4
        .value_kind:     by_value
      - .actual_access:  write_only
        .address_space:  global
        .offset:         88
        .size:           8
        .value_kind:     global_buffer
      - .actual_access:  write_only
        .address_space:  global
        .offset:         96
        .size:           8
        .value_kind:     global_buffer
      - .actual_access:  write_only
        .address_space:  global
        .offset:         104
        .size:           8
        .value_kind:     global_buffer
      - .actual_access:  read_only
        .address_space:  global
        .offset:         112
        .size:           8
        .value_kind:     global_buffer
      - .offset:         120
        .size:           4
        .value_kind:     by_value
      - .address_space:  global
        .offset:         128
        .size:           8
        .value_kind:     global_buffer
      - .address_space:  global
        .offset:         136
        .size:           8
        .value_kind:     global_buffer
      - .offset:         144
        .size:           4
        .value_kind:     hidden_block_count_x
      - .offset:         148
        .size:           4
        .value_kind:     hidden_block_count_y
      - .offset:         152
        .size:           4
        .value_kind:     hidden_block_count_z
      - .offset:         156
        .size:           2
        .value_kind:     hidden_group_size_x
      - .offset:         158
        .size:           2
        .value_kind:     hidden_group_size_y
      - .offset:         160
        .size:           2
        .value_kind:     hidden_group_size_z
      - .offset:         162
        .size:           2
        .value_kind:     hidden_remainder_x
      - .offset:         164
        .size:           2
        .value_kind:     hidden_remainder_y
      - .offset:         166
        .size:           2
        .value_kind:     hidden_remainder_z
      - .offset:         184
        .size:           8
        .value_kind:     hidden_global_offset_x
      - .offset:         192
        .size:           8
        .value_kind:     hidden_global_offset_y
      - .offset:         200
        .size:           8
        .value_kind:     hidden_global_offset_z
      - .offset:         208
        .size:           2
        .value_kind:     hidden_grid_dims
    .group_segment_fixed_size: 17472
    .kernarg_segment_align: 8
    .kernarg_segment_size: 400
    .language:       OpenCL C
    .language_version:
      - 2
      - 0
    .max_flat_workgroup_size: 256
    .name:           _Z39paged_attention_ll4mi_QKV_mfma16_kernelIDF16_hLN4vllm18Fp8KVCacheDataTypeE1EDF16_Li32ELi128ELi256ELb0ELi2EL8MFMAType1EEvPKT_PKT0_S8_ifPKiSA_SA_iPKfiiiPfSD_PS3_PT2_iSC_SC_
    .private_segment_fixed_size: 0
    .sgpr_count:     41
    .sgpr_spill_count: 0
    .symbol:         _Z39paged_attention_ll4mi_QKV_mfma16_kernelIDF16_hLN4vllm18Fp8KVCacheDataTypeE1EDF16_Li32ELi128ELi256ELb0ELi2EL8MFMAType1EEvPKT_PKT0_S8_ifPKiSA_SA_iPKfiiiPfSD_PS3_PT2_iSC_SC_.kd
    .uniform_work_group_size: 1
    .uses_dynamic_stack: false
    .vgpr_count:     146
    .vgpr_spill_count: 0
    .wavefront_size: 32
    .workgroup_processor_mode: 1
  - .args:
      - .actual_access:  read_only
        .address_space:  global
        .offset:         0
        .size:           8
        .value_kind:     global_buffer
      - .actual_access:  read_only
        .address_space:  global
        .offset:         8
        .size:           8
        .value_kind:     global_buffer
      - .actual_access:  read_only
        .address_space:  global
        .offset:         16
        .size:           8
        .value_kind:     global_buffer
      - .offset:         24
        .size:           4
        .value_kind:     by_value
      - .offset:         28
        .size:           4
        .value_kind:     by_value
      - .actual_access:  read_only
        .address_space:  global
        .offset:         32
        .size:           8
        .value_kind:     global_buffer
      - .actual_access:  read_only
        .address_space:  global
        .offset:         40
        .size:           8
        .value_kind:     global_buffer
      - .actual_access:  read_only
        .address_space:  global
        .offset:         48
        .size:           8
        .value_kind:     global_buffer
      - .offset:         56
        .size:           4
        .value_kind:     by_value
      - .actual_access:  read_only
        .address_space:  global
        .offset:         64
        .size:           8
        .value_kind:     global_buffer
      - .offset:         72
        .size:           4
        .value_kind:     by_value
      - .offset:         76
        .size:           4
        .value_kind:     by_value
      - .offset:         80
        .size:           4
        .value_kind:     by_value
      - .actual_access:  write_only
        .address_space:  global
        .offset:         88
        .size:           8
        .value_kind:     global_buffer
      - .actual_access:  write_only
        .address_space:  global
        .offset:         96
        .size:           8
        .value_kind:     global_buffer
      - .actual_access:  write_only
        .address_space:  global
        .offset:         104
        .size:           8
        .value_kind:     global_buffer
      - .actual_access:  read_only
        .address_space:  global
        .offset:         112
        .size:           8
        .value_kind:     global_buffer
      - .offset:         120
        .size:           4
        .value_kind:     by_value
      - .address_space:  global
        .offset:         128
        .size:           8
        .value_kind:     global_buffer
      - .address_space:  global
        .offset:         136
        .size:           8
        .value_kind:     global_buffer
      - .offset:         144
        .size:           4
        .value_kind:     hidden_block_count_x
      - .offset:         148
        .size:           4
        .value_kind:     hidden_block_count_y
      - .offset:         152
        .size:           4
        .value_kind:     hidden_block_count_z
      - .offset:         156
        .size:           2
        .value_kind:     hidden_group_size_x
      - .offset:         158
        .size:           2
        .value_kind:     hidden_group_size_y
      - .offset:         160
        .size:           2
        .value_kind:     hidden_group_size_z
      - .offset:         162
        .size:           2
        .value_kind:     hidden_remainder_x
      - .offset:         164
        .size:           2
        .value_kind:     hidden_remainder_y
      - .offset:         166
        .size:           2
        .value_kind:     hidden_remainder_z
      - .offset:         184
        .size:           8
        .value_kind:     hidden_global_offset_x
      - .offset:         192
        .size:           8
        .value_kind:     hidden_global_offset_y
      - .offset:         200
        .size:           8
        .value_kind:     hidden_global_offset_z
      - .offset:         208
        .size:           2
        .value_kind:     hidden_grid_dims
    .group_segment_fixed_size: 17472
    .kernarg_segment_align: 8
    .kernarg_segment_size: 400
    .language:       OpenCL C
    .language_version:
      - 2
      - 0
    .max_flat_workgroup_size: 256
    .name:           _Z39paged_attention_ll4mi_QKV_mfma16_kernelIDF16_hLN4vllm18Fp8KVCacheDataTypeE1EDF16_Li32ELi128ELi256ELb0ELi3EL8MFMAType1EEvPKT_PKT0_S8_ifPKiSA_SA_iPKfiiiPfSD_PS3_PT2_iSC_SC_
    .private_segment_fixed_size: 0
    .sgpr_count:     39
    .sgpr_spill_count: 0
    .symbol:         _Z39paged_attention_ll4mi_QKV_mfma16_kernelIDF16_hLN4vllm18Fp8KVCacheDataTypeE1EDF16_Li32ELi128ELi256ELb0ELi3EL8MFMAType1EEvPKT_PKT0_S8_ifPKiSA_SA_iPKfiiiPfSD_PS3_PT2_iSC_SC_.kd
    .uniform_work_group_size: 1
    .uses_dynamic_stack: false
    .vgpr_count:     150
    .vgpr_spill_count: 0
    .wavefront_size: 32
    .workgroup_processor_mode: 1
  - .args:
      - .actual_access:  read_only
        .address_space:  global
        .offset:         0
        .size:           8
        .value_kind:     global_buffer
      - .actual_access:  read_only
        .address_space:  global
        .offset:         8
        .size:           8
        .value_kind:     global_buffer
      - .actual_access:  read_only
        .address_space:  global
        .offset:         16
        .size:           8
        .value_kind:     global_buffer
      - .offset:         24
        .size:           4
        .value_kind:     by_value
      - .offset:         28
        .size:           4
        .value_kind:     by_value
      - .actual_access:  read_only
        .address_space:  global
        .offset:         32
        .size:           8
        .value_kind:     global_buffer
      - .actual_access:  read_only
        .address_space:  global
        .offset:         40
        .size:           8
        .value_kind:     global_buffer
      - .actual_access:  read_only
        .address_space:  global
        .offset:         48
        .size:           8
        .value_kind:     global_buffer
      - .offset:         56
        .size:           4
        .value_kind:     by_value
      - .actual_access:  read_only
        .address_space:  global
        .offset:         64
        .size:           8
        .value_kind:     global_buffer
      - .offset:         72
        .size:           4
        .value_kind:     by_value
      - .offset:         76
        .size:           4
        .value_kind:     by_value
      - .offset:         80
        .size:           4
        .value_kind:     by_value
      - .actual_access:  write_only
        .address_space:  global
        .offset:         88
        .size:           8
        .value_kind:     global_buffer
      - .actual_access:  write_only
        .address_space:  global
        .offset:         96
        .size:           8
        .value_kind:     global_buffer
      - .actual_access:  write_only
        .address_space:  global
        .offset:         104
        .size:           8
        .value_kind:     global_buffer
      - .actual_access:  read_only
        .address_space:  global
        .offset:         112
        .size:           8
        .value_kind:     global_buffer
      - .offset:         120
        .size:           4
        .value_kind:     by_value
      - .address_space:  global
        .offset:         128
        .size:           8
        .value_kind:     global_buffer
      - .address_space:  global
        .offset:         136
        .size:           8
        .value_kind:     global_buffer
      - .offset:         144
        .size:           4
        .value_kind:     hidden_block_count_x
      - .offset:         148
        .size:           4
        .value_kind:     hidden_block_count_y
      - .offset:         152
        .size:           4
        .value_kind:     hidden_block_count_z
      - .offset:         156
        .size:           2
        .value_kind:     hidden_group_size_x
      - .offset:         158
        .size:           2
        .value_kind:     hidden_group_size_y
      - .offset:         160
        .size:           2
        .value_kind:     hidden_group_size_z
      - .offset:         162
        .size:           2
        .value_kind:     hidden_remainder_x
      - .offset:         164
        .size:           2
        .value_kind:     hidden_remainder_y
      - .offset:         166
        .size:           2
        .value_kind:     hidden_remainder_z
      - .offset:         184
        .size:           8
        .value_kind:     hidden_global_offset_x
      - .offset:         192
        .size:           8
        .value_kind:     hidden_global_offset_y
      - .offset:         200
        .size:           8
        .value_kind:     hidden_global_offset_z
      - .offset:         208
        .size:           2
        .value_kind:     hidden_grid_dims
    .group_segment_fixed_size: 17472
    .kernarg_segment_align: 8
    .kernarg_segment_size: 400
    .language:       OpenCL C
    .language_version:
      - 2
      - 0
    .max_flat_workgroup_size: 256
    .name:           _Z39paged_attention_ll4mi_QKV_mfma16_kernelIDF16_hLN4vllm18Fp8KVCacheDataTypeE1EDF16_Li32ELi128ELi256ELb0ELi4EL8MFMAType1EEvPKT_PKT0_S8_ifPKiSA_SA_iPKfiiiPfSD_PS3_PT2_iSC_SC_
    .private_segment_fixed_size: 0
    .sgpr_count:     38
    .sgpr_spill_count: 0
    .symbol:         _Z39paged_attention_ll4mi_QKV_mfma16_kernelIDF16_hLN4vllm18Fp8KVCacheDataTypeE1EDF16_Li32ELi128ELi256ELb0ELi4EL8MFMAType1EEvPKT_PKT0_S8_ifPKiSA_SA_iPKfiiiPfSD_PS3_PT2_iSC_SC_.kd
    .uniform_work_group_size: 1
    .uses_dynamic_stack: false
    .vgpr_count:     140
    .vgpr_spill_count: 0
    .wavefront_size: 32
    .workgroup_processor_mode: 1
  - .args:
      - .actual_access:  read_only
        .address_space:  global
        .offset:         0
        .size:           8
        .value_kind:     global_buffer
      - .actual_access:  read_only
        .address_space:  global
        .offset:         8
        .size:           8
        .value_kind:     global_buffer
      - .actual_access:  read_only
        .address_space:  global
        .offset:         16
        .size:           8
        .value_kind:     global_buffer
      - .offset:         24
        .size:           4
        .value_kind:     by_value
      - .offset:         28
        .size:           4
        .value_kind:     by_value
      - .actual_access:  read_only
        .address_space:  global
        .offset:         32
        .size:           8
        .value_kind:     global_buffer
      - .actual_access:  read_only
        .address_space:  global
        .offset:         40
        .size:           8
        .value_kind:     global_buffer
      - .actual_access:  read_only
        .address_space:  global
        .offset:         48
        .size:           8
        .value_kind:     global_buffer
      - .offset:         56
        .size:           4
        .value_kind:     by_value
      - .actual_access:  read_only
        .address_space:  global
        .offset:         64
        .size:           8
        .value_kind:     global_buffer
      - .offset:         72
        .size:           4
        .value_kind:     by_value
      - .offset:         76
        .size:           4
        .value_kind:     by_value
      - .offset:         80
        .size:           4
        .value_kind:     by_value
      - .actual_access:  write_only
        .address_space:  global
        .offset:         88
        .size:           8
        .value_kind:     global_buffer
      - .actual_access:  write_only
        .address_space:  global
        .offset:         96
        .size:           8
        .value_kind:     global_buffer
      - .actual_access:  write_only
        .address_space:  global
        .offset:         104
        .size:           8
        .value_kind:     global_buffer
      - .actual_access:  read_only
        .address_space:  global
        .offset:         112
        .size:           8
        .value_kind:     global_buffer
      - .offset:         120
        .size:           4
        .value_kind:     by_value
      - .address_space:  global
        .offset:         128
        .size:           8
        .value_kind:     global_buffer
      - .address_space:  global
        .offset:         136
        .size:           8
        .value_kind:     global_buffer
      - .offset:         144
        .size:           4
        .value_kind:     hidden_block_count_x
      - .offset:         148
        .size:           4
        .value_kind:     hidden_block_count_y
      - .offset:         152
        .size:           4
        .value_kind:     hidden_block_count_z
      - .offset:         156
        .size:           2
        .value_kind:     hidden_group_size_x
      - .offset:         158
        .size:           2
        .value_kind:     hidden_group_size_y
      - .offset:         160
        .size:           2
        .value_kind:     hidden_group_size_z
      - .offset:         162
        .size:           2
        .value_kind:     hidden_remainder_x
      - .offset:         164
        .size:           2
        .value_kind:     hidden_remainder_y
      - .offset:         166
        .size:           2
        .value_kind:     hidden_remainder_z
      - .offset:         184
        .size:           8
        .value_kind:     hidden_global_offset_x
      - .offset:         192
        .size:           8
        .value_kind:     hidden_global_offset_y
      - .offset:         200
        .size:           8
        .value_kind:     hidden_global_offset_z
      - .offset:         208
        .size:           2
        .value_kind:     hidden_grid_dims
    .group_segment_fixed_size: 17472
    .kernarg_segment_align: 8
    .kernarg_segment_size: 400
    .language:       OpenCL C
    .language_version:
      - 2
      - 0
    .max_flat_workgroup_size: 256
    .name:           _Z39paged_attention_ll4mi_QKV_mfma16_kernelIDF16_hLN4vllm18Fp8KVCacheDataTypeE1EhLi16ELi64ELi256ELb1ELi5EL8MFMAType0EEvPKT_PKT0_S8_ifPKiSA_SA_iPKfiiiPfSD_PS3_PT2_iSC_SC_
    .private_segment_fixed_size: 0
    .sgpr_count:     39
    .sgpr_spill_count: 0
    .symbol:         _Z39paged_attention_ll4mi_QKV_mfma16_kernelIDF16_hLN4vllm18Fp8KVCacheDataTypeE1EhLi16ELi64ELi256ELb1ELi5EL8MFMAType0EEvPKT_PKT0_S8_ifPKiSA_SA_iPKfiiiPfSD_PS3_PT2_iSC_SC_.kd
    .uniform_work_group_size: 1
    .uses_dynamic_stack: false
    .vgpr_count:     146
    .vgpr_spill_count: 0
    .wavefront_size: 32
    .workgroup_processor_mode: 1
  - .args:
      - .actual_access:  read_only
        .address_space:  global
        .offset:         0
        .size:           8
        .value_kind:     global_buffer
      - .actual_access:  read_only
        .address_space:  global
        .offset:         8
        .size:           8
        .value_kind:     global_buffer
      - .actual_access:  read_only
        .address_space:  global
        .offset:         16
        .size:           8
        .value_kind:     global_buffer
      - .offset:         24
        .size:           4
        .value_kind:     by_value
      - .offset:         28
        .size:           4
        .value_kind:     by_value
      - .actual_access:  read_only
        .address_space:  global
        .offset:         32
        .size:           8
        .value_kind:     global_buffer
      - .actual_access:  read_only
        .address_space:  global
        .offset:         40
        .size:           8
        .value_kind:     global_buffer
      - .actual_access:  read_only
        .address_space:  global
        .offset:         48
        .size:           8
        .value_kind:     global_buffer
      - .offset:         56
        .size:           4
        .value_kind:     by_value
      - .actual_access:  read_only
        .address_space:  global
        .offset:         64
        .size:           8
        .value_kind:     global_buffer
      - .offset:         72
        .size:           4
        .value_kind:     by_value
      - .offset:         76
        .size:           4
        .value_kind:     by_value
      - .offset:         80
        .size:           4
        .value_kind:     by_value
      - .actual_access:  write_only
        .address_space:  global
        .offset:         88
        .size:           8
        .value_kind:     global_buffer
      - .actual_access:  write_only
        .address_space:  global
        .offset:         96
        .size:           8
        .value_kind:     global_buffer
      - .actual_access:  write_only
        .address_space:  global
        .offset:         104
        .size:           8
        .value_kind:     global_buffer
      - .actual_access:  read_only
        .address_space:  global
        .offset:         112
        .size:           8
        .value_kind:     global_buffer
      - .offset:         120
        .size:           4
        .value_kind:     by_value
      - .address_space:  global
        .offset:         128
        .size:           8
        .value_kind:     global_buffer
      - .address_space:  global
        .offset:         136
        .size:           8
        .value_kind:     global_buffer
      - .offset:         144
        .size:           4
        .value_kind:     hidden_block_count_x
      - .offset:         148
        .size:           4
        .value_kind:     hidden_block_count_y
      - .offset:         152
        .size:           4
        .value_kind:     hidden_block_count_z
      - .offset:         156
        .size:           2
        .value_kind:     hidden_group_size_x
      - .offset:         158
        .size:           2
        .value_kind:     hidden_group_size_y
      - .offset:         160
        .size:           2
        .value_kind:     hidden_group_size_z
      - .offset:         162
        .size:           2
        .value_kind:     hidden_remainder_x
      - .offset:         164
        .size:           2
        .value_kind:     hidden_remainder_y
      - .offset:         166
        .size:           2
        .value_kind:     hidden_remainder_z
      - .offset:         184
        .size:           8
        .value_kind:     hidden_global_offset_x
      - .offset:         192
        .size:           8
        .value_kind:     hidden_global_offset_y
      - .offset:         200
        .size:           8
        .value_kind:     hidden_global_offset_z
      - .offset:         208
        .size:           2
        .value_kind:     hidden_grid_dims
    .group_segment_fixed_size: 17472
    .kernarg_segment_align: 8
    .kernarg_segment_size: 400
    .language:       OpenCL C
    .language_version:
      - 2
      - 0
    .max_flat_workgroup_size: 256
    .name:           _Z39paged_attention_ll4mi_QKV_mfma16_kernelIDF16_hLN4vllm18Fp8KVCacheDataTypeE1EhLi16ELi64ELi256ELb1ELi6EL8MFMAType0EEvPKT_PKT0_S8_ifPKiSA_SA_iPKfiiiPfSD_PS3_PT2_iSC_SC_
    .private_segment_fixed_size: 0
    .sgpr_count:     38
    .sgpr_spill_count: 0
    .symbol:         _Z39paged_attention_ll4mi_QKV_mfma16_kernelIDF16_hLN4vllm18Fp8KVCacheDataTypeE1EhLi16ELi64ELi256ELb1ELi6EL8MFMAType0EEvPKT_PKT0_S8_ifPKiSA_SA_iPKfiiiPfSD_PS3_PT2_iSC_SC_.kd
    .uniform_work_group_size: 1
    .uses_dynamic_stack: false
    .vgpr_count:     146
    .vgpr_spill_count: 0
    .wavefront_size: 32
    .workgroup_processor_mode: 1
  - .args:
      - .actual_access:  read_only
        .address_space:  global
        .offset:         0
        .size:           8
        .value_kind:     global_buffer
      - .actual_access:  read_only
        .address_space:  global
        .offset:         8
        .size:           8
        .value_kind:     global_buffer
      - .actual_access:  read_only
        .address_space:  global
        .offset:         16
        .size:           8
        .value_kind:     global_buffer
      - .offset:         24
        .size:           4
        .value_kind:     by_value
      - .offset:         28
        .size:           4
        .value_kind:     by_value
      - .actual_access:  read_only
        .address_space:  global
        .offset:         32
        .size:           8
        .value_kind:     global_buffer
      - .actual_access:  read_only
        .address_space:  global
        .offset:         40
        .size:           8
        .value_kind:     global_buffer
      - .actual_access:  read_only
        .address_space:  global
        .offset:         48
        .size:           8
        .value_kind:     global_buffer
      - .offset:         56
        .size:           4
        .value_kind:     by_value
      - .actual_access:  read_only
        .address_space:  global
        .offset:         64
        .size:           8
        .value_kind:     global_buffer
      - .offset:         72
        .size:           4
        .value_kind:     by_value
      - .offset:         76
        .size:           4
        .value_kind:     by_value
      - .offset:         80
        .size:           4
        .value_kind:     by_value
      - .actual_access:  write_only
        .address_space:  global
        .offset:         88
        .size:           8
        .value_kind:     global_buffer
      - .actual_access:  write_only
        .address_space:  global
        .offset:         96
        .size:           8
        .value_kind:     global_buffer
      - .actual_access:  write_only
        .address_space:  global
        .offset:         104
        .size:           8
        .value_kind:     global_buffer
      - .actual_access:  read_only
        .address_space:  global
        .offset:         112
        .size:           8
        .value_kind:     global_buffer
      - .offset:         120
        .size:           4
        .value_kind:     by_value
      - .address_space:  global
        .offset:         128
        .size:           8
        .value_kind:     global_buffer
      - .address_space:  global
        .offset:         136
        .size:           8
        .value_kind:     global_buffer
      - .offset:         144
        .size:           4
        .value_kind:     hidden_block_count_x
      - .offset:         148
        .size:           4
        .value_kind:     hidden_block_count_y
      - .offset:         152
        .size:           4
        .value_kind:     hidden_block_count_z
      - .offset:         156
        .size:           2
        .value_kind:     hidden_group_size_x
      - .offset:         158
        .size:           2
        .value_kind:     hidden_group_size_y
      - .offset:         160
        .size:           2
        .value_kind:     hidden_group_size_z
      - .offset:         162
        .size:           2
        .value_kind:     hidden_remainder_x
      - .offset:         164
        .size:           2
        .value_kind:     hidden_remainder_y
      - .offset:         166
        .size:           2
        .value_kind:     hidden_remainder_z
      - .offset:         184
        .size:           8
        .value_kind:     hidden_global_offset_x
      - .offset:         192
        .size:           8
        .value_kind:     hidden_global_offset_y
      - .offset:         200
        .size:           8
        .value_kind:     hidden_global_offset_z
      - .offset:         208
        .size:           2
        .value_kind:     hidden_grid_dims
    .group_segment_fixed_size: 17472
    .kernarg_segment_align: 8
    .kernarg_segment_size: 400
    .language:       OpenCL C
    .language_version:
      - 2
      - 0
    .max_flat_workgroup_size: 256
    .name:           _Z39paged_attention_ll4mi_QKV_mfma16_kernelIDF16_hLN4vllm18Fp8KVCacheDataTypeE1EhLi16ELi64ELi256ELb1ELi7EL8MFMAType0EEvPKT_PKT0_S8_ifPKiSA_SA_iPKfiiiPfSD_PS3_PT2_iSC_SC_
    .private_segment_fixed_size: 0
    .sgpr_count:     39
    .sgpr_spill_count: 0
    .symbol:         _Z39paged_attention_ll4mi_QKV_mfma16_kernelIDF16_hLN4vllm18Fp8KVCacheDataTypeE1EhLi16ELi64ELi256ELb1ELi7EL8MFMAType0EEvPKT_PKT0_S8_ifPKiSA_SA_iPKfiiiPfSD_PS3_PT2_iSC_SC_.kd
    .uniform_work_group_size: 1
    .uses_dynamic_stack: false
    .vgpr_count:     146
    .vgpr_spill_count: 0
    .wavefront_size: 32
    .workgroup_processor_mode: 1
  - .args:
      - .actual_access:  read_only
        .address_space:  global
        .offset:         0
        .size:           8
        .value_kind:     global_buffer
      - .actual_access:  read_only
        .address_space:  global
        .offset:         8
        .size:           8
        .value_kind:     global_buffer
      - .actual_access:  read_only
        .address_space:  global
        .offset:         16
        .size:           8
        .value_kind:     global_buffer
      - .offset:         24
        .size:           4
        .value_kind:     by_value
      - .offset:         28
        .size:           4
        .value_kind:     by_value
      - .actual_access:  read_only
        .address_space:  global
        .offset:         32
        .size:           8
        .value_kind:     global_buffer
      - .actual_access:  read_only
        .address_space:  global
        .offset:         40
        .size:           8
        .value_kind:     global_buffer
      - .actual_access:  read_only
        .address_space:  global
        .offset:         48
        .size:           8
        .value_kind:     global_buffer
      - .offset:         56
        .size:           4
        .value_kind:     by_value
      - .actual_access:  read_only
        .address_space:  global
        .offset:         64
        .size:           8
        .value_kind:     global_buffer
      - .offset:         72
        .size:           4
        .value_kind:     by_value
      - .offset:         76
        .size:           4
        .value_kind:     by_value
      - .offset:         80
        .size:           4
        .value_kind:     by_value
      - .actual_access:  write_only
        .address_space:  global
        .offset:         88
        .size:           8
        .value_kind:     global_buffer
      - .actual_access:  write_only
        .address_space:  global
        .offset:         96
        .size:           8
        .value_kind:     global_buffer
      - .actual_access:  write_only
        .address_space:  global
        .offset:         104
        .size:           8
        .value_kind:     global_buffer
      - .actual_access:  read_only
        .address_space:  global
        .offset:         112
        .size:           8
        .value_kind:     global_buffer
      - .offset:         120
        .size:           4
        .value_kind:     by_value
      - .address_space:  global
        .offset:         128
        .size:           8
        .value_kind:     global_buffer
      - .address_space:  global
        .offset:         136
        .size:           8
        .value_kind:     global_buffer
      - .offset:         144
        .size:           4
        .value_kind:     hidden_block_count_x
      - .offset:         148
        .size:           4
        .value_kind:     hidden_block_count_y
      - .offset:         152
        .size:           4
        .value_kind:     hidden_block_count_z
      - .offset:         156
        .size:           2
        .value_kind:     hidden_group_size_x
      - .offset:         158
        .size:           2
        .value_kind:     hidden_group_size_y
      - .offset:         160
        .size:           2
        .value_kind:     hidden_group_size_z
      - .offset:         162
        .size:           2
        .value_kind:     hidden_remainder_x
      - .offset:         164
        .size:           2
        .value_kind:     hidden_remainder_y
      - .offset:         166
        .size:           2
        .value_kind:     hidden_remainder_z
      - .offset:         184
        .size:           8
        .value_kind:     hidden_global_offset_x
      - .offset:         192
        .size:           8
        .value_kind:     hidden_global_offset_y
      - .offset:         200
        .size:           8
        .value_kind:     hidden_global_offset_z
      - .offset:         208
        .size:           2
        .value_kind:     hidden_grid_dims
    .group_segment_fixed_size: 17472
    .kernarg_segment_align: 8
    .kernarg_segment_size: 400
    .language:       OpenCL C
    .language_version:
      - 2
      - 0
    .max_flat_workgroup_size: 256
    .name:           _Z39paged_attention_ll4mi_QKV_mfma16_kernelIDF16_hLN4vllm18Fp8KVCacheDataTypeE1EhLi16ELi64ELi256ELb1ELi8EL8MFMAType0EEvPKT_PKT0_S8_ifPKiSA_SA_iPKfiiiPfSD_PS3_PT2_iSC_SC_
    .private_segment_fixed_size: 0
    .sgpr_count:     42
    .sgpr_spill_count: 0
    .symbol:         _Z39paged_attention_ll4mi_QKV_mfma16_kernelIDF16_hLN4vllm18Fp8KVCacheDataTypeE1EhLi16ELi64ELi256ELb1ELi8EL8MFMAType0EEvPKT_PKT0_S8_ifPKiSA_SA_iPKfiiiPfSD_PS3_PT2_iSC_SC_.kd
    .uniform_work_group_size: 1
    .uses_dynamic_stack: false
    .vgpr_count:     123
    .vgpr_spill_count: 0
    .wavefront_size: 32
    .workgroup_processor_mode: 1
  - .args:
      - .actual_access:  read_only
        .address_space:  global
        .offset:         0
        .size:           8
        .value_kind:     global_buffer
      - .actual_access:  read_only
        .address_space:  global
        .offset:         8
        .size:           8
        .value_kind:     global_buffer
      - .actual_access:  read_only
        .address_space:  global
        .offset:         16
        .size:           8
        .value_kind:     global_buffer
      - .offset:         24
        .size:           4
        .value_kind:     by_value
      - .offset:         28
        .size:           4
        .value_kind:     by_value
      - .actual_access:  read_only
        .address_space:  global
        .offset:         32
        .size:           8
        .value_kind:     global_buffer
      - .actual_access:  read_only
        .address_space:  global
        .offset:         40
        .size:           8
        .value_kind:     global_buffer
      - .actual_access:  read_only
        .address_space:  global
        .offset:         48
        .size:           8
        .value_kind:     global_buffer
      - .offset:         56
        .size:           4
        .value_kind:     by_value
      - .actual_access:  read_only
        .address_space:  global
        .offset:         64
        .size:           8
        .value_kind:     global_buffer
      - .offset:         72
        .size:           4
        .value_kind:     by_value
      - .offset:         76
        .size:           4
        .value_kind:     by_value
      - .offset:         80
        .size:           4
        .value_kind:     by_value
      - .actual_access:  write_only
        .address_space:  global
        .offset:         88
        .size:           8
        .value_kind:     global_buffer
      - .actual_access:  write_only
        .address_space:  global
        .offset:         96
        .size:           8
        .value_kind:     global_buffer
      - .actual_access:  write_only
        .address_space:  global
        .offset:         104
        .size:           8
        .value_kind:     global_buffer
      - .actual_access:  read_only
        .address_space:  global
        .offset:         112
        .size:           8
        .value_kind:     global_buffer
      - .offset:         120
        .size:           4
        .value_kind:     by_value
      - .address_space:  global
        .offset:         128
        .size:           8
        .value_kind:     global_buffer
      - .address_space:  global
        .offset:         136
        .size:           8
        .value_kind:     global_buffer
      - .offset:         144
        .size:           4
        .value_kind:     hidden_block_count_x
      - .offset:         148
        .size:           4
        .value_kind:     hidden_block_count_y
      - .offset:         152
        .size:           4
        .value_kind:     hidden_block_count_z
      - .offset:         156
        .size:           2
        .value_kind:     hidden_group_size_x
      - .offset:         158
        .size:           2
        .value_kind:     hidden_group_size_y
      - .offset:         160
        .size:           2
        .value_kind:     hidden_group_size_z
      - .offset:         162
        .size:           2
        .value_kind:     hidden_remainder_x
      - .offset:         164
        .size:           2
        .value_kind:     hidden_remainder_y
      - .offset:         166
        .size:           2
        .value_kind:     hidden_remainder_z
      - .offset:         184
        .size:           8
        .value_kind:     hidden_global_offset_x
      - .offset:         192
        .size:           8
        .value_kind:     hidden_global_offset_y
      - .offset:         200
        .size:           8
        .value_kind:     hidden_global_offset_z
      - .offset:         208
        .size:           2
        .value_kind:     hidden_grid_dims
    .group_segment_fixed_size: 17472
    .kernarg_segment_align: 8
    .kernarg_segment_size: 400
    .language:       OpenCL C
    .language_version:
      - 2
      - 0
    .max_flat_workgroup_size: 256
    .name:           _Z39paged_attention_ll4mi_QKV_mfma16_kernelIDF16_hLN4vllm18Fp8KVCacheDataTypeE1EhLi16ELi64ELi256ELb1ELi9EL8MFMAType0EEvPKT_PKT0_S8_ifPKiSA_SA_iPKfiiiPfSD_PS3_PT2_iSC_SC_
    .private_segment_fixed_size: 0
    .sgpr_count:     39
    .sgpr_spill_count: 0
    .symbol:         _Z39paged_attention_ll4mi_QKV_mfma16_kernelIDF16_hLN4vllm18Fp8KVCacheDataTypeE1EhLi16ELi64ELi256ELb1ELi9EL8MFMAType0EEvPKT_PKT0_S8_ifPKiSA_SA_iPKfiiiPfSD_PS3_PT2_iSC_SC_.kd
    .uniform_work_group_size: 1
    .uses_dynamic_stack: false
    .vgpr_count:     146
    .vgpr_spill_count: 0
    .wavefront_size: 32
    .workgroup_processor_mode: 1
  - .args:
      - .actual_access:  read_only
        .address_space:  global
        .offset:         0
        .size:           8
        .value_kind:     global_buffer
      - .actual_access:  read_only
        .address_space:  global
        .offset:         8
        .size:           8
        .value_kind:     global_buffer
      - .actual_access:  read_only
        .address_space:  global
        .offset:         16
        .size:           8
        .value_kind:     global_buffer
      - .offset:         24
        .size:           4
        .value_kind:     by_value
      - .offset:         28
        .size:           4
        .value_kind:     by_value
      - .actual_access:  read_only
        .address_space:  global
        .offset:         32
        .size:           8
        .value_kind:     global_buffer
      - .actual_access:  read_only
        .address_space:  global
        .offset:         40
        .size:           8
        .value_kind:     global_buffer
      - .actual_access:  read_only
        .address_space:  global
        .offset:         48
        .size:           8
        .value_kind:     global_buffer
      - .offset:         56
        .size:           4
        .value_kind:     by_value
      - .actual_access:  read_only
        .address_space:  global
        .offset:         64
        .size:           8
        .value_kind:     global_buffer
      - .offset:         72
        .size:           4
        .value_kind:     by_value
      - .offset:         76
        .size:           4
        .value_kind:     by_value
      - .offset:         80
        .size:           4
        .value_kind:     by_value
      - .actual_access:  write_only
        .address_space:  global
        .offset:         88
        .size:           8
        .value_kind:     global_buffer
      - .actual_access:  write_only
        .address_space:  global
        .offset:         96
        .size:           8
        .value_kind:     global_buffer
      - .actual_access:  write_only
        .address_space:  global
        .offset:         104
        .size:           8
        .value_kind:     global_buffer
      - .actual_access:  read_only
        .address_space:  global
        .offset:         112
        .size:           8
        .value_kind:     global_buffer
      - .offset:         120
        .size:           4
        .value_kind:     by_value
      - .address_space:  global
        .offset:         128
        .size:           8
        .value_kind:     global_buffer
      - .address_space:  global
        .offset:         136
        .size:           8
        .value_kind:     global_buffer
      - .offset:         144
        .size:           4
        .value_kind:     hidden_block_count_x
      - .offset:         148
        .size:           4
        .value_kind:     hidden_block_count_y
      - .offset:         152
        .size:           4
        .value_kind:     hidden_block_count_z
      - .offset:         156
        .size:           2
        .value_kind:     hidden_group_size_x
      - .offset:         158
        .size:           2
        .value_kind:     hidden_group_size_y
      - .offset:         160
        .size:           2
        .value_kind:     hidden_group_size_z
      - .offset:         162
        .size:           2
        .value_kind:     hidden_remainder_x
      - .offset:         164
        .size:           2
        .value_kind:     hidden_remainder_y
      - .offset:         166
        .size:           2
        .value_kind:     hidden_remainder_z
      - .offset:         184
        .size:           8
        .value_kind:     hidden_global_offset_x
      - .offset:         192
        .size:           8
        .value_kind:     hidden_global_offset_y
      - .offset:         200
        .size:           8
        .value_kind:     hidden_global_offset_z
      - .offset:         208
        .size:           2
        .value_kind:     hidden_grid_dims
    .group_segment_fixed_size: 17472
    .kernarg_segment_align: 8
    .kernarg_segment_size: 400
    .language:       OpenCL C
    .language_version:
      - 2
      - 0
    .max_flat_workgroup_size: 256
    .name:           _Z39paged_attention_ll4mi_QKV_mfma16_kernelIDF16_hLN4vllm18Fp8KVCacheDataTypeE1EhLi16ELi64ELi256ELb1ELi10EL8MFMAType0EEvPKT_PKT0_S8_ifPKiSA_SA_iPKfiiiPfSD_PS3_PT2_iSC_SC_
    .private_segment_fixed_size: 0
    .sgpr_count:     38
    .sgpr_spill_count: 0
    .symbol:         _Z39paged_attention_ll4mi_QKV_mfma16_kernelIDF16_hLN4vllm18Fp8KVCacheDataTypeE1EhLi16ELi64ELi256ELb1ELi10EL8MFMAType0EEvPKT_PKT0_S8_ifPKiSA_SA_iPKfiiiPfSD_PS3_PT2_iSC_SC_.kd
    .uniform_work_group_size: 1
    .uses_dynamic_stack: false
    .vgpr_count:     146
    .vgpr_spill_count: 0
    .wavefront_size: 32
    .workgroup_processor_mode: 1
  - .args:
      - .actual_access:  read_only
        .address_space:  global
        .offset:         0
        .size:           8
        .value_kind:     global_buffer
      - .actual_access:  read_only
        .address_space:  global
        .offset:         8
        .size:           8
        .value_kind:     global_buffer
      - .actual_access:  read_only
        .address_space:  global
        .offset:         16
        .size:           8
        .value_kind:     global_buffer
      - .offset:         24
        .size:           4
        .value_kind:     by_value
      - .offset:         28
        .size:           4
        .value_kind:     by_value
      - .actual_access:  read_only
        .address_space:  global
        .offset:         32
        .size:           8
        .value_kind:     global_buffer
      - .actual_access:  read_only
        .address_space:  global
        .offset:         40
        .size:           8
        .value_kind:     global_buffer
      - .actual_access:  read_only
        .address_space:  global
        .offset:         48
        .size:           8
        .value_kind:     global_buffer
      - .offset:         56
        .size:           4
        .value_kind:     by_value
      - .actual_access:  read_only
        .address_space:  global
        .offset:         64
        .size:           8
        .value_kind:     global_buffer
      - .offset:         72
        .size:           4
        .value_kind:     by_value
      - .offset:         76
        .size:           4
        .value_kind:     by_value
      - .offset:         80
        .size:           4
        .value_kind:     by_value
      - .actual_access:  write_only
        .address_space:  global
        .offset:         88
        .size:           8
        .value_kind:     global_buffer
      - .actual_access:  write_only
        .address_space:  global
        .offset:         96
        .size:           8
        .value_kind:     global_buffer
      - .actual_access:  write_only
        .address_space:  global
        .offset:         104
        .size:           8
        .value_kind:     global_buffer
      - .actual_access:  read_only
        .address_space:  global
        .offset:         112
        .size:           8
        .value_kind:     global_buffer
      - .offset:         120
        .size:           4
        .value_kind:     by_value
      - .address_space:  global
        .offset:         128
        .size:           8
        .value_kind:     global_buffer
      - .address_space:  global
        .offset:         136
        .size:           8
        .value_kind:     global_buffer
      - .offset:         144
        .size:           4
        .value_kind:     hidden_block_count_x
      - .offset:         148
        .size:           4
        .value_kind:     hidden_block_count_y
      - .offset:         152
        .size:           4
        .value_kind:     hidden_block_count_z
      - .offset:         156
        .size:           2
        .value_kind:     hidden_group_size_x
      - .offset:         158
        .size:           2
        .value_kind:     hidden_group_size_y
      - .offset:         160
        .size:           2
        .value_kind:     hidden_group_size_z
      - .offset:         162
        .size:           2
        .value_kind:     hidden_remainder_x
      - .offset:         164
        .size:           2
        .value_kind:     hidden_remainder_y
      - .offset:         166
        .size:           2
        .value_kind:     hidden_remainder_z
      - .offset:         184
        .size:           8
        .value_kind:     hidden_global_offset_x
      - .offset:         192
        .size:           8
        .value_kind:     hidden_global_offset_y
      - .offset:         200
        .size:           8
        .value_kind:     hidden_global_offset_z
      - .offset:         208
        .size:           2
        .value_kind:     hidden_grid_dims
    .group_segment_fixed_size: 17472
    .kernarg_segment_align: 8
    .kernarg_segment_size: 400
    .language:       OpenCL C
    .language_version:
      - 2
      - 0
    .max_flat_workgroup_size: 256
    .name:           _Z39paged_attention_ll4mi_QKV_mfma16_kernelIDF16_hLN4vllm18Fp8KVCacheDataTypeE1EhLi16ELi64ELi256ELb1ELi11EL8MFMAType0EEvPKT_PKT0_S8_ifPKiSA_SA_iPKfiiiPfSD_PS3_PT2_iSC_SC_
    .private_segment_fixed_size: 0
    .sgpr_count:     39
    .sgpr_spill_count: 0
    .symbol:         _Z39paged_attention_ll4mi_QKV_mfma16_kernelIDF16_hLN4vllm18Fp8KVCacheDataTypeE1EhLi16ELi64ELi256ELb1ELi11EL8MFMAType0EEvPKT_PKT0_S8_ifPKiSA_SA_iPKfiiiPfSD_PS3_PT2_iSC_SC_.kd
    .uniform_work_group_size: 1
    .uses_dynamic_stack: false
    .vgpr_count:     146
    .vgpr_spill_count: 0
    .wavefront_size: 32
    .workgroup_processor_mode: 1
  - .args:
      - .actual_access:  read_only
        .address_space:  global
        .offset:         0
        .size:           8
        .value_kind:     global_buffer
      - .actual_access:  read_only
        .address_space:  global
        .offset:         8
        .size:           8
        .value_kind:     global_buffer
      - .actual_access:  read_only
        .address_space:  global
        .offset:         16
        .size:           8
        .value_kind:     global_buffer
      - .offset:         24
        .size:           4
        .value_kind:     by_value
      - .offset:         28
        .size:           4
        .value_kind:     by_value
      - .actual_access:  read_only
        .address_space:  global
        .offset:         32
        .size:           8
        .value_kind:     global_buffer
      - .actual_access:  read_only
        .address_space:  global
        .offset:         40
        .size:           8
        .value_kind:     global_buffer
      - .actual_access:  read_only
        .address_space:  global
        .offset:         48
        .size:           8
        .value_kind:     global_buffer
      - .offset:         56
        .size:           4
        .value_kind:     by_value
      - .actual_access:  read_only
        .address_space:  global
        .offset:         64
        .size:           8
        .value_kind:     global_buffer
      - .offset:         72
        .size:           4
        .value_kind:     by_value
      - .offset:         76
        .size:           4
        .value_kind:     by_value
      - .offset:         80
        .size:           4
        .value_kind:     by_value
      - .actual_access:  write_only
        .address_space:  global
        .offset:         88
        .size:           8
        .value_kind:     global_buffer
      - .actual_access:  write_only
        .address_space:  global
        .offset:         96
        .size:           8
        .value_kind:     global_buffer
      - .actual_access:  write_only
        .address_space:  global
        .offset:         104
        .size:           8
        .value_kind:     global_buffer
      - .actual_access:  read_only
        .address_space:  global
        .offset:         112
        .size:           8
        .value_kind:     global_buffer
      - .offset:         120
        .size:           4
        .value_kind:     by_value
      - .address_space:  global
        .offset:         128
        .size:           8
        .value_kind:     global_buffer
      - .address_space:  global
        .offset:         136
        .size:           8
        .value_kind:     global_buffer
      - .offset:         144
        .size:           4
        .value_kind:     hidden_block_count_x
      - .offset:         148
        .size:           4
        .value_kind:     hidden_block_count_y
      - .offset:         152
        .size:           4
        .value_kind:     hidden_block_count_z
      - .offset:         156
        .size:           2
        .value_kind:     hidden_group_size_x
      - .offset:         158
        .size:           2
        .value_kind:     hidden_group_size_y
      - .offset:         160
        .size:           2
        .value_kind:     hidden_group_size_z
      - .offset:         162
        .size:           2
        .value_kind:     hidden_remainder_x
      - .offset:         164
        .size:           2
        .value_kind:     hidden_remainder_y
      - .offset:         166
        .size:           2
        .value_kind:     hidden_remainder_z
      - .offset:         184
        .size:           8
        .value_kind:     hidden_global_offset_x
      - .offset:         192
        .size:           8
        .value_kind:     hidden_global_offset_y
      - .offset:         200
        .size:           8
        .value_kind:     hidden_global_offset_z
      - .offset:         208
        .size:           2
        .value_kind:     hidden_grid_dims
    .group_segment_fixed_size: 17472
    .kernarg_segment_align: 8
    .kernarg_segment_size: 400
    .language:       OpenCL C
    .language_version:
      - 2
      - 0
    .max_flat_workgroup_size: 256
    .name:           _Z39paged_attention_ll4mi_QKV_mfma16_kernelIDF16_hLN4vllm18Fp8KVCacheDataTypeE1EhLi16ELi64ELi256ELb1ELi12EL8MFMAType0EEvPKT_PKT0_S8_ifPKiSA_SA_iPKfiiiPfSD_PS3_PT2_iSC_SC_
    .private_segment_fixed_size: 0
    .sgpr_count:     38
    .sgpr_spill_count: 0
    .symbol:         _Z39paged_attention_ll4mi_QKV_mfma16_kernelIDF16_hLN4vllm18Fp8KVCacheDataTypeE1EhLi16ELi64ELi256ELb1ELi12EL8MFMAType0EEvPKT_PKT0_S8_ifPKiSA_SA_iPKfiiiPfSD_PS3_PT2_iSC_SC_.kd
    .uniform_work_group_size: 1
    .uses_dynamic_stack: false
    .vgpr_count:     146
    .vgpr_spill_count: 0
    .wavefront_size: 32
    .workgroup_processor_mode: 1
  - .args:
      - .actual_access:  read_only
        .address_space:  global
        .offset:         0
        .size:           8
        .value_kind:     global_buffer
      - .actual_access:  read_only
        .address_space:  global
        .offset:         8
        .size:           8
        .value_kind:     global_buffer
      - .actual_access:  read_only
        .address_space:  global
        .offset:         16
        .size:           8
        .value_kind:     global_buffer
      - .offset:         24
        .size:           4
        .value_kind:     by_value
      - .offset:         28
        .size:           4
        .value_kind:     by_value
      - .actual_access:  read_only
        .address_space:  global
        .offset:         32
        .size:           8
        .value_kind:     global_buffer
      - .actual_access:  read_only
        .address_space:  global
        .offset:         40
        .size:           8
        .value_kind:     global_buffer
      - .actual_access:  read_only
        .address_space:  global
        .offset:         48
        .size:           8
        .value_kind:     global_buffer
      - .offset:         56
        .size:           4
        .value_kind:     by_value
      - .actual_access:  read_only
        .address_space:  global
        .offset:         64
        .size:           8
        .value_kind:     global_buffer
      - .offset:         72
        .size:           4
        .value_kind:     by_value
      - .offset:         76
        .size:           4
        .value_kind:     by_value
      - .offset:         80
        .size:           4
        .value_kind:     by_value
      - .actual_access:  write_only
        .address_space:  global
        .offset:         88
        .size:           8
        .value_kind:     global_buffer
      - .actual_access:  write_only
        .address_space:  global
        .offset:         96
        .size:           8
        .value_kind:     global_buffer
      - .actual_access:  write_only
        .address_space:  global
        .offset:         104
        .size:           8
        .value_kind:     global_buffer
      - .actual_access:  read_only
        .address_space:  global
        .offset:         112
        .size:           8
        .value_kind:     global_buffer
      - .offset:         120
        .size:           4
        .value_kind:     by_value
      - .address_space:  global
        .offset:         128
        .size:           8
        .value_kind:     global_buffer
      - .address_space:  global
        .offset:         136
        .size:           8
        .value_kind:     global_buffer
      - .offset:         144
        .size:           4
        .value_kind:     hidden_block_count_x
      - .offset:         148
        .size:           4
        .value_kind:     hidden_block_count_y
      - .offset:         152
        .size:           4
        .value_kind:     hidden_block_count_z
      - .offset:         156
        .size:           2
        .value_kind:     hidden_group_size_x
      - .offset:         158
        .size:           2
        .value_kind:     hidden_group_size_y
      - .offset:         160
        .size:           2
        .value_kind:     hidden_group_size_z
      - .offset:         162
        .size:           2
        .value_kind:     hidden_remainder_x
      - .offset:         164
        .size:           2
        .value_kind:     hidden_remainder_y
      - .offset:         166
        .size:           2
        .value_kind:     hidden_remainder_z
      - .offset:         184
        .size:           8
        .value_kind:     hidden_global_offset_x
      - .offset:         192
        .size:           8
        .value_kind:     hidden_global_offset_y
      - .offset:         200
        .size:           8
        .value_kind:     hidden_global_offset_z
      - .offset:         208
        .size:           2
        .value_kind:     hidden_grid_dims
    .group_segment_fixed_size: 17472
    .kernarg_segment_align: 8
    .kernarg_segment_size: 400
    .language:       OpenCL C
    .language_version:
      - 2
      - 0
    .max_flat_workgroup_size: 256
    .name:           _Z39paged_attention_ll4mi_QKV_mfma16_kernelIDF16_hLN4vllm18Fp8KVCacheDataTypeE1EhLi16ELi64ELi256ELb1ELi13EL8MFMAType0EEvPKT_PKT0_S8_ifPKiSA_SA_iPKfiiiPfSD_PS3_PT2_iSC_SC_
    .private_segment_fixed_size: 0
    .sgpr_count:     39
    .sgpr_spill_count: 0
    .symbol:         _Z39paged_attention_ll4mi_QKV_mfma16_kernelIDF16_hLN4vllm18Fp8KVCacheDataTypeE1EhLi16ELi64ELi256ELb1ELi13EL8MFMAType0EEvPKT_PKT0_S8_ifPKiSA_SA_iPKfiiiPfSD_PS3_PT2_iSC_SC_.kd
    .uniform_work_group_size: 1
    .uses_dynamic_stack: false
    .vgpr_count:     146
    .vgpr_spill_count: 0
    .wavefront_size: 32
    .workgroup_processor_mode: 1
  - .args:
      - .actual_access:  read_only
        .address_space:  global
        .offset:         0
        .size:           8
        .value_kind:     global_buffer
      - .actual_access:  read_only
        .address_space:  global
        .offset:         8
        .size:           8
        .value_kind:     global_buffer
      - .actual_access:  read_only
        .address_space:  global
        .offset:         16
        .size:           8
        .value_kind:     global_buffer
      - .offset:         24
        .size:           4
        .value_kind:     by_value
      - .offset:         28
        .size:           4
        .value_kind:     by_value
      - .actual_access:  read_only
        .address_space:  global
        .offset:         32
        .size:           8
        .value_kind:     global_buffer
      - .actual_access:  read_only
        .address_space:  global
        .offset:         40
        .size:           8
        .value_kind:     global_buffer
      - .actual_access:  read_only
        .address_space:  global
        .offset:         48
        .size:           8
        .value_kind:     global_buffer
      - .offset:         56
        .size:           4
        .value_kind:     by_value
      - .actual_access:  read_only
        .address_space:  global
        .offset:         64
        .size:           8
        .value_kind:     global_buffer
      - .offset:         72
        .size:           4
        .value_kind:     by_value
      - .offset:         76
        .size:           4
        .value_kind:     by_value
      - .offset:         80
        .size:           4
        .value_kind:     by_value
      - .actual_access:  write_only
        .address_space:  global
        .offset:         88
        .size:           8
        .value_kind:     global_buffer
      - .actual_access:  write_only
        .address_space:  global
        .offset:         96
        .size:           8
        .value_kind:     global_buffer
      - .actual_access:  write_only
        .address_space:  global
        .offset:         104
        .size:           8
        .value_kind:     global_buffer
      - .actual_access:  read_only
        .address_space:  global
        .offset:         112
        .size:           8
        .value_kind:     global_buffer
      - .offset:         120
        .size:           4
        .value_kind:     by_value
      - .address_space:  global
        .offset:         128
        .size:           8
        .value_kind:     global_buffer
      - .address_space:  global
        .offset:         136
        .size:           8
        .value_kind:     global_buffer
      - .offset:         144
        .size:           4
        .value_kind:     hidden_block_count_x
      - .offset:         148
        .size:           4
        .value_kind:     hidden_block_count_y
      - .offset:         152
        .size:           4
        .value_kind:     hidden_block_count_z
      - .offset:         156
        .size:           2
        .value_kind:     hidden_group_size_x
      - .offset:         158
        .size:           2
        .value_kind:     hidden_group_size_y
      - .offset:         160
        .size:           2
        .value_kind:     hidden_group_size_z
      - .offset:         162
        .size:           2
        .value_kind:     hidden_remainder_x
      - .offset:         164
        .size:           2
        .value_kind:     hidden_remainder_y
      - .offset:         166
        .size:           2
        .value_kind:     hidden_remainder_z
      - .offset:         184
        .size:           8
        .value_kind:     hidden_global_offset_x
      - .offset:         192
        .size:           8
        .value_kind:     hidden_global_offset_y
      - .offset:         200
        .size:           8
        .value_kind:     hidden_global_offset_z
      - .offset:         208
        .size:           2
        .value_kind:     hidden_grid_dims
    .group_segment_fixed_size: 17472
    .kernarg_segment_align: 8
    .kernarg_segment_size: 400
    .language:       OpenCL C
    .language_version:
      - 2
      - 0
    .max_flat_workgroup_size: 256
    .name:           _Z39paged_attention_ll4mi_QKV_mfma16_kernelIDF16_hLN4vllm18Fp8KVCacheDataTypeE1EhLi16ELi64ELi256ELb1ELi14EL8MFMAType0EEvPKT_PKT0_S8_ifPKiSA_SA_iPKfiiiPfSD_PS3_PT2_iSC_SC_
    .private_segment_fixed_size: 0
    .sgpr_count:     38
    .sgpr_spill_count: 0
    .symbol:         _Z39paged_attention_ll4mi_QKV_mfma16_kernelIDF16_hLN4vllm18Fp8KVCacheDataTypeE1EhLi16ELi64ELi256ELb1ELi14EL8MFMAType0EEvPKT_PKT0_S8_ifPKiSA_SA_iPKfiiiPfSD_PS3_PT2_iSC_SC_.kd
    .uniform_work_group_size: 1
    .uses_dynamic_stack: false
    .vgpr_count:     146
    .vgpr_spill_count: 0
    .wavefront_size: 32
    .workgroup_processor_mode: 1
  - .args:
      - .actual_access:  read_only
        .address_space:  global
        .offset:         0
        .size:           8
        .value_kind:     global_buffer
      - .actual_access:  read_only
        .address_space:  global
        .offset:         8
        .size:           8
        .value_kind:     global_buffer
      - .actual_access:  read_only
        .address_space:  global
        .offset:         16
        .size:           8
        .value_kind:     global_buffer
      - .offset:         24
        .size:           4
        .value_kind:     by_value
      - .offset:         28
        .size:           4
        .value_kind:     by_value
      - .actual_access:  read_only
        .address_space:  global
        .offset:         32
        .size:           8
        .value_kind:     global_buffer
      - .actual_access:  read_only
        .address_space:  global
        .offset:         40
        .size:           8
        .value_kind:     global_buffer
      - .actual_access:  read_only
        .address_space:  global
        .offset:         48
        .size:           8
        .value_kind:     global_buffer
      - .offset:         56
        .size:           4
        .value_kind:     by_value
      - .actual_access:  read_only
        .address_space:  global
        .offset:         64
        .size:           8
        .value_kind:     global_buffer
      - .offset:         72
        .size:           4
        .value_kind:     by_value
      - .offset:         76
        .size:           4
        .value_kind:     by_value
      - .offset:         80
        .size:           4
        .value_kind:     by_value
      - .actual_access:  write_only
        .address_space:  global
        .offset:         88
        .size:           8
        .value_kind:     global_buffer
      - .actual_access:  write_only
        .address_space:  global
        .offset:         96
        .size:           8
        .value_kind:     global_buffer
      - .actual_access:  write_only
        .address_space:  global
        .offset:         104
        .size:           8
        .value_kind:     global_buffer
      - .actual_access:  read_only
        .address_space:  global
        .offset:         112
        .size:           8
        .value_kind:     global_buffer
      - .offset:         120
        .size:           4
        .value_kind:     by_value
      - .address_space:  global
        .offset:         128
        .size:           8
        .value_kind:     global_buffer
      - .address_space:  global
        .offset:         136
        .size:           8
        .value_kind:     global_buffer
      - .offset:         144
        .size:           4
        .value_kind:     hidden_block_count_x
      - .offset:         148
        .size:           4
        .value_kind:     hidden_block_count_y
      - .offset:         152
        .size:           4
        .value_kind:     hidden_block_count_z
      - .offset:         156
        .size:           2
        .value_kind:     hidden_group_size_x
      - .offset:         158
        .size:           2
        .value_kind:     hidden_group_size_y
      - .offset:         160
        .size:           2
        .value_kind:     hidden_group_size_z
      - .offset:         162
        .size:           2
        .value_kind:     hidden_remainder_x
      - .offset:         164
        .size:           2
        .value_kind:     hidden_remainder_y
      - .offset:         166
        .size:           2
        .value_kind:     hidden_remainder_z
      - .offset:         184
        .size:           8
        .value_kind:     hidden_global_offset_x
      - .offset:         192
        .size:           8
        .value_kind:     hidden_global_offset_y
      - .offset:         200
        .size:           8
        .value_kind:     hidden_global_offset_z
      - .offset:         208
        .size:           2
        .value_kind:     hidden_grid_dims
    .group_segment_fixed_size: 17472
    .kernarg_segment_align: 8
    .kernarg_segment_size: 400
    .language:       OpenCL C
    .language_version:
      - 2
      - 0
    .max_flat_workgroup_size: 256
    .name:           _Z39paged_attention_ll4mi_QKV_mfma16_kernelIDF16_hLN4vllm18Fp8KVCacheDataTypeE1EhLi16ELi64ELi256ELb1ELi15EL8MFMAType0EEvPKT_PKT0_S8_ifPKiSA_SA_iPKfiiiPfSD_PS3_PT2_iSC_SC_
    .private_segment_fixed_size: 0
    .sgpr_count:     39
    .sgpr_spill_count: 0
    .symbol:         _Z39paged_attention_ll4mi_QKV_mfma16_kernelIDF16_hLN4vllm18Fp8KVCacheDataTypeE1EhLi16ELi64ELi256ELb1ELi15EL8MFMAType0EEvPKT_PKT0_S8_ifPKiSA_SA_iPKfiiiPfSD_PS3_PT2_iSC_SC_.kd
    .uniform_work_group_size: 1
    .uses_dynamic_stack: false
    .vgpr_count:     146
    .vgpr_spill_count: 0
    .wavefront_size: 32
    .workgroup_processor_mode: 1
  - .args:
      - .actual_access:  read_only
        .address_space:  global
        .offset:         0
        .size:           8
        .value_kind:     global_buffer
      - .actual_access:  read_only
        .address_space:  global
        .offset:         8
        .size:           8
        .value_kind:     global_buffer
      - .actual_access:  read_only
        .address_space:  global
        .offset:         16
        .size:           8
        .value_kind:     global_buffer
      - .offset:         24
        .size:           4
        .value_kind:     by_value
      - .offset:         28
        .size:           4
        .value_kind:     by_value
      - .actual_access:  read_only
        .address_space:  global
        .offset:         32
        .size:           8
        .value_kind:     global_buffer
      - .actual_access:  read_only
        .address_space:  global
        .offset:         40
        .size:           8
        .value_kind:     global_buffer
      - .actual_access:  read_only
        .address_space:  global
        .offset:         48
        .size:           8
        .value_kind:     global_buffer
      - .offset:         56
        .size:           4
        .value_kind:     by_value
      - .actual_access:  read_only
        .address_space:  global
        .offset:         64
        .size:           8
        .value_kind:     global_buffer
      - .offset:         72
        .size:           4
        .value_kind:     by_value
      - .offset:         76
        .size:           4
        .value_kind:     by_value
      - .offset:         80
        .size:           4
        .value_kind:     by_value
      - .actual_access:  write_only
        .address_space:  global
        .offset:         88
        .size:           8
        .value_kind:     global_buffer
      - .actual_access:  write_only
        .address_space:  global
        .offset:         96
        .size:           8
        .value_kind:     global_buffer
      - .actual_access:  write_only
        .address_space:  global
        .offset:         104
        .size:           8
        .value_kind:     global_buffer
      - .actual_access:  read_only
        .address_space:  global
        .offset:         112
        .size:           8
        .value_kind:     global_buffer
      - .offset:         120
        .size:           4
        .value_kind:     by_value
      - .address_space:  global
        .offset:         128
        .size:           8
        .value_kind:     global_buffer
      - .address_space:  global
        .offset:         136
        .size:           8
        .value_kind:     global_buffer
      - .offset:         144
        .size:           4
        .value_kind:     hidden_block_count_x
      - .offset:         148
        .size:           4
        .value_kind:     hidden_block_count_y
      - .offset:         152
        .size:           4
        .value_kind:     hidden_block_count_z
      - .offset:         156
        .size:           2
        .value_kind:     hidden_group_size_x
      - .offset:         158
        .size:           2
        .value_kind:     hidden_group_size_y
      - .offset:         160
        .size:           2
        .value_kind:     hidden_group_size_z
      - .offset:         162
        .size:           2
        .value_kind:     hidden_remainder_x
      - .offset:         164
        .size:           2
        .value_kind:     hidden_remainder_y
      - .offset:         166
        .size:           2
        .value_kind:     hidden_remainder_z
      - .offset:         184
        .size:           8
        .value_kind:     hidden_global_offset_x
      - .offset:         192
        .size:           8
        .value_kind:     hidden_global_offset_y
      - .offset:         200
        .size:           8
        .value_kind:     hidden_global_offset_z
      - .offset:         208
        .size:           2
        .value_kind:     hidden_grid_dims
    .group_segment_fixed_size: 17472
    .kernarg_segment_align: 8
    .kernarg_segment_size: 400
    .language:       OpenCL C
    .language_version:
      - 2
      - 0
    .max_flat_workgroup_size: 256
    .name:           _Z39paged_attention_ll4mi_QKV_mfma16_kernelIDF16_hLN4vllm18Fp8KVCacheDataTypeE1EhLi16ELi64ELi256ELb1ELi16EL8MFMAType0EEvPKT_PKT0_S8_ifPKiSA_SA_iPKfiiiPfSD_PS3_PT2_iSC_SC_
    .private_segment_fixed_size: 0
    .sgpr_count:     42
    .sgpr_spill_count: 0
    .symbol:         _Z39paged_attention_ll4mi_QKV_mfma16_kernelIDF16_hLN4vllm18Fp8KVCacheDataTypeE1EhLi16ELi64ELi256ELb1ELi16EL8MFMAType0EEvPKT_PKT0_S8_ifPKiSA_SA_iPKfiiiPfSD_PS3_PT2_iSC_SC_.kd
    .uniform_work_group_size: 1
    .uses_dynamic_stack: false
    .vgpr_count:     123
    .vgpr_spill_count: 0
    .wavefront_size: 32
    .workgroup_processor_mode: 1
  - .args:
      - .actual_access:  read_only
        .address_space:  global
        .offset:         0
        .size:           8
        .value_kind:     global_buffer
      - .actual_access:  read_only
        .address_space:  global
        .offset:         8
        .size:           8
        .value_kind:     global_buffer
      - .actual_access:  read_only
        .address_space:  global
        .offset:         16
        .size:           8
        .value_kind:     global_buffer
      - .offset:         24
        .size:           4
        .value_kind:     by_value
      - .offset:         28
        .size:           4
        .value_kind:     by_value
      - .actual_access:  read_only
        .address_space:  global
        .offset:         32
        .size:           8
        .value_kind:     global_buffer
      - .actual_access:  read_only
        .address_space:  global
        .offset:         40
        .size:           8
        .value_kind:     global_buffer
      - .actual_access:  read_only
        .address_space:  global
        .offset:         48
        .size:           8
        .value_kind:     global_buffer
      - .offset:         56
        .size:           4
        .value_kind:     by_value
      - .actual_access:  read_only
        .address_space:  global
        .offset:         64
        .size:           8
        .value_kind:     global_buffer
      - .offset:         72
        .size:           4
        .value_kind:     by_value
      - .offset:         76
        .size:           4
        .value_kind:     by_value
      - .offset:         80
        .size:           4
        .value_kind:     by_value
      - .actual_access:  write_only
        .address_space:  global
        .offset:         88
        .size:           8
        .value_kind:     global_buffer
      - .actual_access:  write_only
        .address_space:  global
        .offset:         96
        .size:           8
        .value_kind:     global_buffer
      - .actual_access:  write_only
        .address_space:  global
        .offset:         104
        .size:           8
        .value_kind:     global_buffer
      - .actual_access:  read_only
        .address_space:  global
        .offset:         112
        .size:           8
        .value_kind:     global_buffer
      - .offset:         120
        .size:           4
        .value_kind:     by_value
      - .address_space:  global
        .offset:         128
        .size:           8
        .value_kind:     global_buffer
      - .address_space:  global
        .offset:         136
        .size:           8
        .value_kind:     global_buffer
      - .offset:         144
        .size:           4
        .value_kind:     hidden_block_count_x
      - .offset:         148
        .size:           4
        .value_kind:     hidden_block_count_y
      - .offset:         152
        .size:           4
        .value_kind:     hidden_block_count_z
      - .offset:         156
        .size:           2
        .value_kind:     hidden_group_size_x
      - .offset:         158
        .size:           2
        .value_kind:     hidden_group_size_y
      - .offset:         160
        .size:           2
        .value_kind:     hidden_group_size_z
      - .offset:         162
        .size:           2
        .value_kind:     hidden_remainder_x
      - .offset:         164
        .size:           2
        .value_kind:     hidden_remainder_y
      - .offset:         166
        .size:           2
        .value_kind:     hidden_remainder_z
      - .offset:         184
        .size:           8
        .value_kind:     hidden_global_offset_x
      - .offset:         192
        .size:           8
        .value_kind:     hidden_global_offset_y
      - .offset:         200
        .size:           8
        .value_kind:     hidden_global_offset_z
      - .offset:         208
        .size:           2
        .value_kind:     hidden_grid_dims
    .group_segment_fixed_size: 17472
    .kernarg_segment_align: 8
    .kernarg_segment_size: 400
    .language:       OpenCL C
    .language_version:
      - 2
      - 0
    .max_flat_workgroup_size: 256
    .name:           _Z39paged_attention_ll4mi_QKV_mfma16_kernelIDF16_hLN4vllm18Fp8KVCacheDataTypeE1EhLi16ELi64ELi256ELb1ELi1EL8MFMAType0EEvPKT_PKT0_S8_ifPKiSA_SA_iPKfiiiPfSD_PS3_PT2_iSC_SC_
    .private_segment_fixed_size: 0
    .sgpr_count:     50
    .sgpr_spill_count: 0
    .symbol:         _Z39paged_attention_ll4mi_QKV_mfma16_kernelIDF16_hLN4vllm18Fp8KVCacheDataTypeE1EhLi16ELi64ELi256ELb1ELi1EL8MFMAType0EEvPKT_PKT0_S8_ifPKiSA_SA_iPKfiiiPfSD_PS3_PT2_iSC_SC_.kd
    .uniform_work_group_size: 1
    .uses_dynamic_stack: false
    .vgpr_count:     144
    .vgpr_spill_count: 0
    .wavefront_size: 32
    .workgroup_processor_mode: 1
  - .args:
      - .actual_access:  read_only
        .address_space:  global
        .offset:         0
        .size:           8
        .value_kind:     global_buffer
      - .actual_access:  read_only
        .address_space:  global
        .offset:         8
        .size:           8
        .value_kind:     global_buffer
      - .actual_access:  read_only
        .address_space:  global
        .offset:         16
        .size:           8
        .value_kind:     global_buffer
      - .offset:         24
        .size:           4
        .value_kind:     by_value
      - .offset:         28
        .size:           4
        .value_kind:     by_value
      - .actual_access:  read_only
        .address_space:  global
        .offset:         32
        .size:           8
        .value_kind:     global_buffer
      - .actual_access:  read_only
        .address_space:  global
        .offset:         40
        .size:           8
        .value_kind:     global_buffer
      - .actual_access:  read_only
        .address_space:  global
        .offset:         48
        .size:           8
        .value_kind:     global_buffer
      - .offset:         56
        .size:           4
        .value_kind:     by_value
      - .actual_access:  read_only
        .address_space:  global
        .offset:         64
        .size:           8
        .value_kind:     global_buffer
      - .offset:         72
        .size:           4
        .value_kind:     by_value
      - .offset:         76
        .size:           4
        .value_kind:     by_value
      - .offset:         80
        .size:           4
        .value_kind:     by_value
      - .actual_access:  write_only
        .address_space:  global
        .offset:         88
        .size:           8
        .value_kind:     global_buffer
      - .actual_access:  write_only
        .address_space:  global
        .offset:         96
        .size:           8
        .value_kind:     global_buffer
      - .actual_access:  write_only
        .address_space:  global
        .offset:         104
        .size:           8
        .value_kind:     global_buffer
      - .actual_access:  read_only
        .address_space:  global
        .offset:         112
        .size:           8
        .value_kind:     global_buffer
      - .offset:         120
        .size:           4
        .value_kind:     by_value
      - .address_space:  global
        .offset:         128
        .size:           8
        .value_kind:     global_buffer
      - .address_space:  global
        .offset:         136
        .size:           8
        .value_kind:     global_buffer
      - .offset:         144
        .size:           4
        .value_kind:     hidden_block_count_x
      - .offset:         148
        .size:           4
        .value_kind:     hidden_block_count_y
      - .offset:         152
        .size:           4
        .value_kind:     hidden_block_count_z
      - .offset:         156
        .size:           2
        .value_kind:     hidden_group_size_x
      - .offset:         158
        .size:           2
        .value_kind:     hidden_group_size_y
      - .offset:         160
        .size:           2
        .value_kind:     hidden_group_size_z
      - .offset:         162
        .size:           2
        .value_kind:     hidden_remainder_x
      - .offset:         164
        .size:           2
        .value_kind:     hidden_remainder_y
      - .offset:         166
        .size:           2
        .value_kind:     hidden_remainder_z
      - .offset:         184
        .size:           8
        .value_kind:     hidden_global_offset_x
      - .offset:         192
        .size:           8
        .value_kind:     hidden_global_offset_y
      - .offset:         200
        .size:           8
        .value_kind:     hidden_global_offset_z
      - .offset:         208
        .size:           2
        .value_kind:     hidden_grid_dims
    .group_segment_fixed_size: 17472
    .kernarg_segment_align: 8
    .kernarg_segment_size: 400
    .language:       OpenCL C
    .language_version:
      - 2
      - 0
    .max_flat_workgroup_size: 256
    .name:           _Z39paged_attention_ll4mi_QKV_mfma16_kernelIDF16_hLN4vllm18Fp8KVCacheDataTypeE1EhLi16ELi64ELi256ELb1ELi2EL8MFMAType0EEvPKT_PKT0_S8_ifPKiSA_SA_iPKfiiiPfSD_PS3_PT2_iSC_SC_
    .private_segment_fixed_size: 0
    .sgpr_count:     38
    .sgpr_spill_count: 0
    .symbol:         _Z39paged_attention_ll4mi_QKV_mfma16_kernelIDF16_hLN4vllm18Fp8KVCacheDataTypeE1EhLi16ELi64ELi256ELb1ELi2EL8MFMAType0EEvPKT_PKT0_S8_ifPKiSA_SA_iPKfiiiPfSD_PS3_PT2_iSC_SC_.kd
    .uniform_work_group_size: 1
    .uses_dynamic_stack: false
    .vgpr_count:     148
    .vgpr_spill_count: 0
    .wavefront_size: 32
    .workgroup_processor_mode: 1
  - .args:
      - .actual_access:  read_only
        .address_space:  global
        .offset:         0
        .size:           8
        .value_kind:     global_buffer
      - .actual_access:  read_only
        .address_space:  global
        .offset:         8
        .size:           8
        .value_kind:     global_buffer
      - .actual_access:  read_only
        .address_space:  global
        .offset:         16
        .size:           8
        .value_kind:     global_buffer
      - .offset:         24
        .size:           4
        .value_kind:     by_value
      - .offset:         28
        .size:           4
        .value_kind:     by_value
      - .actual_access:  read_only
        .address_space:  global
        .offset:         32
        .size:           8
        .value_kind:     global_buffer
      - .actual_access:  read_only
        .address_space:  global
        .offset:         40
        .size:           8
        .value_kind:     global_buffer
      - .actual_access:  read_only
        .address_space:  global
        .offset:         48
        .size:           8
        .value_kind:     global_buffer
      - .offset:         56
        .size:           4
        .value_kind:     by_value
      - .actual_access:  read_only
        .address_space:  global
        .offset:         64
        .size:           8
        .value_kind:     global_buffer
      - .offset:         72
        .size:           4
        .value_kind:     by_value
      - .offset:         76
        .size:           4
        .value_kind:     by_value
      - .offset:         80
        .size:           4
        .value_kind:     by_value
      - .actual_access:  write_only
        .address_space:  global
        .offset:         88
        .size:           8
        .value_kind:     global_buffer
      - .actual_access:  write_only
        .address_space:  global
        .offset:         96
        .size:           8
        .value_kind:     global_buffer
      - .actual_access:  write_only
        .address_space:  global
        .offset:         104
        .size:           8
        .value_kind:     global_buffer
      - .actual_access:  read_only
        .address_space:  global
        .offset:         112
        .size:           8
        .value_kind:     global_buffer
      - .offset:         120
        .size:           4
        .value_kind:     by_value
      - .address_space:  global
        .offset:         128
        .size:           8
        .value_kind:     global_buffer
      - .address_space:  global
        .offset:         136
        .size:           8
        .value_kind:     global_buffer
      - .offset:         144
        .size:           4
        .value_kind:     hidden_block_count_x
      - .offset:         148
        .size:           4
        .value_kind:     hidden_block_count_y
      - .offset:         152
        .size:           4
        .value_kind:     hidden_block_count_z
      - .offset:         156
        .size:           2
        .value_kind:     hidden_group_size_x
      - .offset:         158
        .size:           2
        .value_kind:     hidden_group_size_y
      - .offset:         160
        .size:           2
        .value_kind:     hidden_group_size_z
      - .offset:         162
        .size:           2
        .value_kind:     hidden_remainder_x
      - .offset:         164
        .size:           2
        .value_kind:     hidden_remainder_y
      - .offset:         166
        .size:           2
        .value_kind:     hidden_remainder_z
      - .offset:         184
        .size:           8
        .value_kind:     hidden_global_offset_x
      - .offset:         192
        .size:           8
        .value_kind:     hidden_global_offset_y
      - .offset:         200
        .size:           8
        .value_kind:     hidden_global_offset_z
      - .offset:         208
        .size:           2
        .value_kind:     hidden_grid_dims
    .group_segment_fixed_size: 17472
    .kernarg_segment_align: 8
    .kernarg_segment_size: 400
    .language:       OpenCL C
    .language_version:
      - 2
      - 0
    .max_flat_workgroup_size: 256
    .name:           _Z39paged_attention_ll4mi_QKV_mfma16_kernelIDF16_hLN4vllm18Fp8KVCacheDataTypeE1EhLi16ELi64ELi256ELb1ELi3EL8MFMAType0EEvPKT_PKT0_S8_ifPKiSA_SA_iPKfiiiPfSD_PS3_PT2_iSC_SC_
    .private_segment_fixed_size: 0
    .sgpr_count:     39
    .sgpr_spill_count: 0
    .symbol:         _Z39paged_attention_ll4mi_QKV_mfma16_kernelIDF16_hLN4vllm18Fp8KVCacheDataTypeE1EhLi16ELi64ELi256ELb1ELi3EL8MFMAType0EEvPKT_PKT0_S8_ifPKiSA_SA_iPKfiiiPfSD_PS3_PT2_iSC_SC_.kd
    .uniform_work_group_size: 1
    .uses_dynamic_stack: false
    .vgpr_count:     146
    .vgpr_spill_count: 0
    .wavefront_size: 32
    .workgroup_processor_mode: 1
  - .args:
      - .actual_access:  read_only
        .address_space:  global
        .offset:         0
        .size:           8
        .value_kind:     global_buffer
      - .actual_access:  read_only
        .address_space:  global
        .offset:         8
        .size:           8
        .value_kind:     global_buffer
      - .actual_access:  read_only
        .address_space:  global
        .offset:         16
        .size:           8
        .value_kind:     global_buffer
      - .offset:         24
        .size:           4
        .value_kind:     by_value
      - .offset:         28
        .size:           4
        .value_kind:     by_value
      - .actual_access:  read_only
        .address_space:  global
        .offset:         32
        .size:           8
        .value_kind:     global_buffer
      - .actual_access:  read_only
        .address_space:  global
        .offset:         40
        .size:           8
        .value_kind:     global_buffer
      - .actual_access:  read_only
        .address_space:  global
        .offset:         48
        .size:           8
        .value_kind:     global_buffer
      - .offset:         56
        .size:           4
        .value_kind:     by_value
      - .actual_access:  read_only
        .address_space:  global
        .offset:         64
        .size:           8
        .value_kind:     global_buffer
      - .offset:         72
        .size:           4
        .value_kind:     by_value
      - .offset:         76
        .size:           4
        .value_kind:     by_value
      - .offset:         80
        .size:           4
        .value_kind:     by_value
      - .actual_access:  write_only
        .address_space:  global
        .offset:         88
        .size:           8
        .value_kind:     global_buffer
      - .actual_access:  write_only
        .address_space:  global
        .offset:         96
        .size:           8
        .value_kind:     global_buffer
      - .actual_access:  write_only
        .address_space:  global
        .offset:         104
        .size:           8
        .value_kind:     global_buffer
      - .actual_access:  read_only
        .address_space:  global
        .offset:         112
        .size:           8
        .value_kind:     global_buffer
      - .offset:         120
        .size:           4
        .value_kind:     by_value
      - .address_space:  global
        .offset:         128
        .size:           8
        .value_kind:     global_buffer
      - .address_space:  global
        .offset:         136
        .size:           8
        .value_kind:     global_buffer
      - .offset:         144
        .size:           4
        .value_kind:     hidden_block_count_x
      - .offset:         148
        .size:           4
        .value_kind:     hidden_block_count_y
      - .offset:         152
        .size:           4
        .value_kind:     hidden_block_count_z
      - .offset:         156
        .size:           2
        .value_kind:     hidden_group_size_x
      - .offset:         158
        .size:           2
        .value_kind:     hidden_group_size_y
      - .offset:         160
        .size:           2
        .value_kind:     hidden_group_size_z
      - .offset:         162
        .size:           2
        .value_kind:     hidden_remainder_x
      - .offset:         164
        .size:           2
        .value_kind:     hidden_remainder_y
      - .offset:         166
        .size:           2
        .value_kind:     hidden_remainder_z
      - .offset:         184
        .size:           8
        .value_kind:     hidden_global_offset_x
      - .offset:         192
        .size:           8
        .value_kind:     hidden_global_offset_y
      - .offset:         200
        .size:           8
        .value_kind:     hidden_global_offset_z
      - .offset:         208
        .size:           2
        .value_kind:     hidden_grid_dims
    .group_segment_fixed_size: 17472
    .kernarg_segment_align: 8
    .kernarg_segment_size: 400
    .language:       OpenCL C
    .language_version:
      - 2
      - 0
    .max_flat_workgroup_size: 256
    .name:           _Z39paged_attention_ll4mi_QKV_mfma16_kernelIDF16_hLN4vllm18Fp8KVCacheDataTypeE1EhLi16ELi64ELi256ELb1ELi4EL8MFMAType0EEvPKT_PKT0_S8_ifPKiSA_SA_iPKfiiiPfSD_PS3_PT2_iSC_SC_
    .private_segment_fixed_size: 0
    .sgpr_count:     42
    .sgpr_spill_count: 0
    .symbol:         _Z39paged_attention_ll4mi_QKV_mfma16_kernelIDF16_hLN4vllm18Fp8KVCacheDataTypeE1EhLi16ELi64ELi256ELb1ELi4EL8MFMAType0EEvPKT_PKT0_S8_ifPKiSA_SA_iPKfiiiPfSD_PS3_PT2_iSC_SC_.kd
    .uniform_work_group_size: 1
    .uses_dynamic_stack: false
    .vgpr_count:     123
    .vgpr_spill_count: 0
    .wavefront_size: 32
    .workgroup_processor_mode: 1
  - .args:
      - .actual_access:  read_only
        .address_space:  global
        .offset:         0
        .size:           8
        .value_kind:     global_buffer
      - .actual_access:  read_only
        .address_space:  global
        .offset:         8
        .size:           8
        .value_kind:     global_buffer
      - .actual_access:  read_only
        .address_space:  global
        .offset:         16
        .size:           8
        .value_kind:     global_buffer
      - .offset:         24
        .size:           4
        .value_kind:     by_value
      - .offset:         28
        .size:           4
        .value_kind:     by_value
      - .actual_access:  read_only
        .address_space:  global
        .offset:         32
        .size:           8
        .value_kind:     global_buffer
      - .actual_access:  read_only
        .address_space:  global
        .offset:         40
        .size:           8
        .value_kind:     global_buffer
      - .actual_access:  read_only
        .address_space:  global
        .offset:         48
        .size:           8
        .value_kind:     global_buffer
      - .offset:         56
        .size:           4
        .value_kind:     by_value
      - .actual_access:  read_only
        .address_space:  global
        .offset:         64
        .size:           8
        .value_kind:     global_buffer
      - .offset:         72
        .size:           4
        .value_kind:     by_value
      - .offset:         76
        .size:           4
        .value_kind:     by_value
      - .offset:         80
        .size:           4
        .value_kind:     by_value
      - .actual_access:  write_only
        .address_space:  global
        .offset:         88
        .size:           8
        .value_kind:     global_buffer
      - .actual_access:  write_only
        .address_space:  global
        .offset:         96
        .size:           8
        .value_kind:     global_buffer
      - .actual_access:  write_only
        .address_space:  global
        .offset:         104
        .size:           8
        .value_kind:     global_buffer
      - .actual_access:  read_only
        .address_space:  global
        .offset:         112
        .size:           8
        .value_kind:     global_buffer
      - .offset:         120
        .size:           4
        .value_kind:     by_value
      - .address_space:  global
        .offset:         128
        .size:           8
        .value_kind:     global_buffer
      - .address_space:  global
        .offset:         136
        .size:           8
        .value_kind:     global_buffer
      - .offset:         144
        .size:           4
        .value_kind:     hidden_block_count_x
      - .offset:         148
        .size:           4
        .value_kind:     hidden_block_count_y
      - .offset:         152
        .size:           4
        .value_kind:     hidden_block_count_z
      - .offset:         156
        .size:           2
        .value_kind:     hidden_group_size_x
      - .offset:         158
        .size:           2
        .value_kind:     hidden_group_size_y
      - .offset:         160
        .size:           2
        .value_kind:     hidden_group_size_z
      - .offset:         162
        .size:           2
        .value_kind:     hidden_remainder_x
      - .offset:         164
        .size:           2
        .value_kind:     hidden_remainder_y
      - .offset:         166
        .size:           2
        .value_kind:     hidden_remainder_z
      - .offset:         184
        .size:           8
        .value_kind:     hidden_global_offset_x
      - .offset:         192
        .size:           8
        .value_kind:     hidden_global_offset_y
      - .offset:         200
        .size:           8
        .value_kind:     hidden_global_offset_z
      - .offset:         208
        .size:           2
        .value_kind:     hidden_grid_dims
    .group_segment_fixed_size: 17472
    .kernarg_segment_align: 8
    .kernarg_segment_size: 400
    .language:       OpenCL C
    .language_version:
      - 2
      - 0
    .max_flat_workgroup_size: 256
    .name:           _Z39paged_attention_ll4mi_QKV_mfma16_kernelIDF16_hLN4vllm18Fp8KVCacheDataTypeE1EhLi16ELi64ELi256ELb0ELi5EL8MFMAType0EEvPKT_PKT0_S8_ifPKiSA_SA_iPKfiiiPfSD_PS3_PT2_iSC_SC_
    .private_segment_fixed_size: 0
    .sgpr_count:     39
    .sgpr_spill_count: 0
    .symbol:         _Z39paged_attention_ll4mi_QKV_mfma16_kernelIDF16_hLN4vllm18Fp8KVCacheDataTypeE1EhLi16ELi64ELi256ELb0ELi5EL8MFMAType0EEvPKT_PKT0_S8_ifPKiSA_SA_iPKfiiiPfSD_PS3_PT2_iSC_SC_.kd
    .uniform_work_group_size: 1
    .uses_dynamic_stack: false
    .vgpr_count:     146
    .vgpr_spill_count: 0
    .wavefront_size: 32
    .workgroup_processor_mode: 1
  - .args:
      - .actual_access:  read_only
        .address_space:  global
        .offset:         0
        .size:           8
        .value_kind:     global_buffer
      - .actual_access:  read_only
        .address_space:  global
        .offset:         8
        .size:           8
        .value_kind:     global_buffer
      - .actual_access:  read_only
        .address_space:  global
        .offset:         16
        .size:           8
        .value_kind:     global_buffer
      - .offset:         24
        .size:           4
        .value_kind:     by_value
      - .offset:         28
        .size:           4
        .value_kind:     by_value
      - .actual_access:  read_only
        .address_space:  global
        .offset:         32
        .size:           8
        .value_kind:     global_buffer
      - .actual_access:  read_only
        .address_space:  global
        .offset:         40
        .size:           8
        .value_kind:     global_buffer
      - .actual_access:  read_only
        .address_space:  global
        .offset:         48
        .size:           8
        .value_kind:     global_buffer
      - .offset:         56
        .size:           4
        .value_kind:     by_value
      - .actual_access:  read_only
        .address_space:  global
        .offset:         64
        .size:           8
        .value_kind:     global_buffer
      - .offset:         72
        .size:           4
        .value_kind:     by_value
      - .offset:         76
        .size:           4
        .value_kind:     by_value
      - .offset:         80
        .size:           4
        .value_kind:     by_value
      - .actual_access:  write_only
        .address_space:  global
        .offset:         88
        .size:           8
        .value_kind:     global_buffer
      - .actual_access:  write_only
        .address_space:  global
        .offset:         96
        .size:           8
        .value_kind:     global_buffer
      - .actual_access:  write_only
        .address_space:  global
        .offset:         104
        .size:           8
        .value_kind:     global_buffer
      - .actual_access:  read_only
        .address_space:  global
        .offset:         112
        .size:           8
        .value_kind:     global_buffer
      - .offset:         120
        .size:           4
        .value_kind:     by_value
      - .address_space:  global
        .offset:         128
        .size:           8
        .value_kind:     global_buffer
      - .address_space:  global
        .offset:         136
        .size:           8
        .value_kind:     global_buffer
      - .offset:         144
        .size:           4
        .value_kind:     hidden_block_count_x
      - .offset:         148
        .size:           4
        .value_kind:     hidden_block_count_y
      - .offset:         152
        .size:           4
        .value_kind:     hidden_block_count_z
      - .offset:         156
        .size:           2
        .value_kind:     hidden_group_size_x
      - .offset:         158
        .size:           2
        .value_kind:     hidden_group_size_y
      - .offset:         160
        .size:           2
        .value_kind:     hidden_group_size_z
      - .offset:         162
        .size:           2
        .value_kind:     hidden_remainder_x
      - .offset:         164
        .size:           2
        .value_kind:     hidden_remainder_y
      - .offset:         166
        .size:           2
        .value_kind:     hidden_remainder_z
      - .offset:         184
        .size:           8
        .value_kind:     hidden_global_offset_x
      - .offset:         192
        .size:           8
        .value_kind:     hidden_global_offset_y
      - .offset:         200
        .size:           8
        .value_kind:     hidden_global_offset_z
      - .offset:         208
        .size:           2
        .value_kind:     hidden_grid_dims
    .group_segment_fixed_size: 17472
    .kernarg_segment_align: 8
    .kernarg_segment_size: 400
    .language:       OpenCL C
    .language_version:
      - 2
      - 0
    .max_flat_workgroup_size: 256
    .name:           _Z39paged_attention_ll4mi_QKV_mfma16_kernelIDF16_hLN4vllm18Fp8KVCacheDataTypeE1EhLi16ELi64ELi256ELb0ELi6EL8MFMAType0EEvPKT_PKT0_S8_ifPKiSA_SA_iPKfiiiPfSD_PS3_PT2_iSC_SC_
    .private_segment_fixed_size: 0
    .sgpr_count:     38
    .sgpr_spill_count: 0
    .symbol:         _Z39paged_attention_ll4mi_QKV_mfma16_kernelIDF16_hLN4vllm18Fp8KVCacheDataTypeE1EhLi16ELi64ELi256ELb0ELi6EL8MFMAType0EEvPKT_PKT0_S8_ifPKiSA_SA_iPKfiiiPfSD_PS3_PT2_iSC_SC_.kd
    .uniform_work_group_size: 1
    .uses_dynamic_stack: false
    .vgpr_count:     146
    .vgpr_spill_count: 0
    .wavefront_size: 32
    .workgroup_processor_mode: 1
  - .args:
      - .actual_access:  read_only
        .address_space:  global
        .offset:         0
        .size:           8
        .value_kind:     global_buffer
      - .actual_access:  read_only
        .address_space:  global
        .offset:         8
        .size:           8
        .value_kind:     global_buffer
      - .actual_access:  read_only
        .address_space:  global
        .offset:         16
        .size:           8
        .value_kind:     global_buffer
      - .offset:         24
        .size:           4
        .value_kind:     by_value
      - .offset:         28
        .size:           4
        .value_kind:     by_value
      - .actual_access:  read_only
        .address_space:  global
        .offset:         32
        .size:           8
        .value_kind:     global_buffer
      - .actual_access:  read_only
        .address_space:  global
        .offset:         40
        .size:           8
        .value_kind:     global_buffer
      - .actual_access:  read_only
        .address_space:  global
        .offset:         48
        .size:           8
        .value_kind:     global_buffer
      - .offset:         56
        .size:           4
        .value_kind:     by_value
      - .actual_access:  read_only
        .address_space:  global
        .offset:         64
        .size:           8
        .value_kind:     global_buffer
      - .offset:         72
        .size:           4
        .value_kind:     by_value
      - .offset:         76
        .size:           4
        .value_kind:     by_value
      - .offset:         80
        .size:           4
        .value_kind:     by_value
      - .actual_access:  write_only
        .address_space:  global
        .offset:         88
        .size:           8
        .value_kind:     global_buffer
      - .actual_access:  write_only
        .address_space:  global
        .offset:         96
        .size:           8
        .value_kind:     global_buffer
      - .actual_access:  write_only
        .address_space:  global
        .offset:         104
        .size:           8
        .value_kind:     global_buffer
      - .actual_access:  read_only
        .address_space:  global
        .offset:         112
        .size:           8
        .value_kind:     global_buffer
      - .offset:         120
        .size:           4
        .value_kind:     by_value
      - .address_space:  global
        .offset:         128
        .size:           8
        .value_kind:     global_buffer
      - .address_space:  global
        .offset:         136
        .size:           8
        .value_kind:     global_buffer
      - .offset:         144
        .size:           4
        .value_kind:     hidden_block_count_x
      - .offset:         148
        .size:           4
        .value_kind:     hidden_block_count_y
      - .offset:         152
        .size:           4
        .value_kind:     hidden_block_count_z
      - .offset:         156
        .size:           2
        .value_kind:     hidden_group_size_x
      - .offset:         158
        .size:           2
        .value_kind:     hidden_group_size_y
      - .offset:         160
        .size:           2
        .value_kind:     hidden_group_size_z
      - .offset:         162
        .size:           2
        .value_kind:     hidden_remainder_x
      - .offset:         164
        .size:           2
        .value_kind:     hidden_remainder_y
      - .offset:         166
        .size:           2
        .value_kind:     hidden_remainder_z
      - .offset:         184
        .size:           8
        .value_kind:     hidden_global_offset_x
      - .offset:         192
        .size:           8
        .value_kind:     hidden_global_offset_y
      - .offset:         200
        .size:           8
        .value_kind:     hidden_global_offset_z
      - .offset:         208
        .size:           2
        .value_kind:     hidden_grid_dims
    .group_segment_fixed_size: 17472
    .kernarg_segment_align: 8
    .kernarg_segment_size: 400
    .language:       OpenCL C
    .language_version:
      - 2
      - 0
    .max_flat_workgroup_size: 256
    .name:           _Z39paged_attention_ll4mi_QKV_mfma16_kernelIDF16_hLN4vllm18Fp8KVCacheDataTypeE1EhLi16ELi64ELi256ELb0ELi7EL8MFMAType0EEvPKT_PKT0_S8_ifPKiSA_SA_iPKfiiiPfSD_PS3_PT2_iSC_SC_
    .private_segment_fixed_size: 0
    .sgpr_count:     39
    .sgpr_spill_count: 0
    .symbol:         _Z39paged_attention_ll4mi_QKV_mfma16_kernelIDF16_hLN4vllm18Fp8KVCacheDataTypeE1EhLi16ELi64ELi256ELb0ELi7EL8MFMAType0EEvPKT_PKT0_S8_ifPKiSA_SA_iPKfiiiPfSD_PS3_PT2_iSC_SC_.kd
    .uniform_work_group_size: 1
    .uses_dynamic_stack: false
    .vgpr_count:     146
    .vgpr_spill_count: 0
    .wavefront_size: 32
    .workgroup_processor_mode: 1
  - .args:
      - .actual_access:  read_only
        .address_space:  global
        .offset:         0
        .size:           8
        .value_kind:     global_buffer
      - .actual_access:  read_only
        .address_space:  global
        .offset:         8
        .size:           8
        .value_kind:     global_buffer
      - .actual_access:  read_only
        .address_space:  global
        .offset:         16
        .size:           8
        .value_kind:     global_buffer
      - .offset:         24
        .size:           4
        .value_kind:     by_value
      - .offset:         28
        .size:           4
        .value_kind:     by_value
      - .actual_access:  read_only
        .address_space:  global
        .offset:         32
        .size:           8
        .value_kind:     global_buffer
      - .actual_access:  read_only
        .address_space:  global
        .offset:         40
        .size:           8
        .value_kind:     global_buffer
      - .actual_access:  read_only
        .address_space:  global
        .offset:         48
        .size:           8
        .value_kind:     global_buffer
      - .offset:         56
        .size:           4
        .value_kind:     by_value
      - .actual_access:  read_only
        .address_space:  global
        .offset:         64
        .size:           8
        .value_kind:     global_buffer
      - .offset:         72
        .size:           4
        .value_kind:     by_value
      - .offset:         76
        .size:           4
        .value_kind:     by_value
      - .offset:         80
        .size:           4
        .value_kind:     by_value
      - .actual_access:  write_only
        .address_space:  global
        .offset:         88
        .size:           8
        .value_kind:     global_buffer
      - .actual_access:  write_only
        .address_space:  global
        .offset:         96
        .size:           8
        .value_kind:     global_buffer
      - .actual_access:  write_only
        .address_space:  global
        .offset:         104
        .size:           8
        .value_kind:     global_buffer
      - .actual_access:  read_only
        .address_space:  global
        .offset:         112
        .size:           8
        .value_kind:     global_buffer
      - .offset:         120
        .size:           4
        .value_kind:     by_value
      - .address_space:  global
        .offset:         128
        .size:           8
        .value_kind:     global_buffer
      - .address_space:  global
        .offset:         136
        .size:           8
        .value_kind:     global_buffer
      - .offset:         144
        .size:           4
        .value_kind:     hidden_block_count_x
      - .offset:         148
        .size:           4
        .value_kind:     hidden_block_count_y
      - .offset:         152
        .size:           4
        .value_kind:     hidden_block_count_z
      - .offset:         156
        .size:           2
        .value_kind:     hidden_group_size_x
      - .offset:         158
        .size:           2
        .value_kind:     hidden_group_size_y
      - .offset:         160
        .size:           2
        .value_kind:     hidden_group_size_z
      - .offset:         162
        .size:           2
        .value_kind:     hidden_remainder_x
      - .offset:         164
        .size:           2
        .value_kind:     hidden_remainder_y
      - .offset:         166
        .size:           2
        .value_kind:     hidden_remainder_z
      - .offset:         184
        .size:           8
        .value_kind:     hidden_global_offset_x
      - .offset:         192
        .size:           8
        .value_kind:     hidden_global_offset_y
      - .offset:         200
        .size:           8
        .value_kind:     hidden_global_offset_z
      - .offset:         208
        .size:           2
        .value_kind:     hidden_grid_dims
    .group_segment_fixed_size: 17472
    .kernarg_segment_align: 8
    .kernarg_segment_size: 400
    .language:       OpenCL C
    .language_version:
      - 2
      - 0
    .max_flat_workgroup_size: 256
    .name:           _Z39paged_attention_ll4mi_QKV_mfma16_kernelIDF16_hLN4vllm18Fp8KVCacheDataTypeE1EhLi16ELi64ELi256ELb0ELi8EL8MFMAType0EEvPKT_PKT0_S8_ifPKiSA_SA_iPKfiiiPfSD_PS3_PT2_iSC_SC_
    .private_segment_fixed_size: 0
    .sgpr_count:     42
    .sgpr_spill_count: 0
    .symbol:         _Z39paged_attention_ll4mi_QKV_mfma16_kernelIDF16_hLN4vllm18Fp8KVCacheDataTypeE1EhLi16ELi64ELi256ELb0ELi8EL8MFMAType0EEvPKT_PKT0_S8_ifPKiSA_SA_iPKfiiiPfSD_PS3_PT2_iSC_SC_.kd
    .uniform_work_group_size: 1
    .uses_dynamic_stack: false
    .vgpr_count:     123
    .vgpr_spill_count: 0
    .wavefront_size: 32
    .workgroup_processor_mode: 1
  - .args:
      - .actual_access:  read_only
        .address_space:  global
        .offset:         0
        .size:           8
        .value_kind:     global_buffer
      - .actual_access:  read_only
        .address_space:  global
        .offset:         8
        .size:           8
        .value_kind:     global_buffer
      - .actual_access:  read_only
        .address_space:  global
        .offset:         16
        .size:           8
        .value_kind:     global_buffer
      - .offset:         24
        .size:           4
        .value_kind:     by_value
      - .offset:         28
        .size:           4
        .value_kind:     by_value
      - .actual_access:  read_only
        .address_space:  global
        .offset:         32
        .size:           8
        .value_kind:     global_buffer
      - .actual_access:  read_only
        .address_space:  global
        .offset:         40
        .size:           8
        .value_kind:     global_buffer
      - .actual_access:  read_only
        .address_space:  global
        .offset:         48
        .size:           8
        .value_kind:     global_buffer
      - .offset:         56
        .size:           4
        .value_kind:     by_value
      - .actual_access:  read_only
        .address_space:  global
        .offset:         64
        .size:           8
        .value_kind:     global_buffer
      - .offset:         72
        .size:           4
        .value_kind:     by_value
      - .offset:         76
        .size:           4
        .value_kind:     by_value
      - .offset:         80
        .size:           4
        .value_kind:     by_value
      - .actual_access:  write_only
        .address_space:  global
        .offset:         88
        .size:           8
        .value_kind:     global_buffer
      - .actual_access:  write_only
        .address_space:  global
        .offset:         96
        .size:           8
        .value_kind:     global_buffer
      - .actual_access:  write_only
        .address_space:  global
        .offset:         104
        .size:           8
        .value_kind:     global_buffer
      - .actual_access:  read_only
        .address_space:  global
        .offset:         112
        .size:           8
        .value_kind:     global_buffer
      - .offset:         120
        .size:           4
        .value_kind:     by_value
      - .address_space:  global
        .offset:         128
        .size:           8
        .value_kind:     global_buffer
      - .address_space:  global
        .offset:         136
        .size:           8
        .value_kind:     global_buffer
      - .offset:         144
        .size:           4
        .value_kind:     hidden_block_count_x
      - .offset:         148
        .size:           4
        .value_kind:     hidden_block_count_y
      - .offset:         152
        .size:           4
        .value_kind:     hidden_block_count_z
      - .offset:         156
        .size:           2
        .value_kind:     hidden_group_size_x
      - .offset:         158
        .size:           2
        .value_kind:     hidden_group_size_y
      - .offset:         160
        .size:           2
        .value_kind:     hidden_group_size_z
      - .offset:         162
        .size:           2
        .value_kind:     hidden_remainder_x
      - .offset:         164
        .size:           2
        .value_kind:     hidden_remainder_y
      - .offset:         166
        .size:           2
        .value_kind:     hidden_remainder_z
      - .offset:         184
        .size:           8
        .value_kind:     hidden_global_offset_x
      - .offset:         192
        .size:           8
        .value_kind:     hidden_global_offset_y
      - .offset:         200
        .size:           8
        .value_kind:     hidden_global_offset_z
      - .offset:         208
        .size:           2
        .value_kind:     hidden_grid_dims
    .group_segment_fixed_size: 17472
    .kernarg_segment_align: 8
    .kernarg_segment_size: 400
    .language:       OpenCL C
    .language_version:
      - 2
      - 0
    .max_flat_workgroup_size: 256
    .name:           _Z39paged_attention_ll4mi_QKV_mfma16_kernelIDF16_hLN4vllm18Fp8KVCacheDataTypeE1EhLi16ELi64ELi256ELb0ELi9EL8MFMAType0EEvPKT_PKT0_S8_ifPKiSA_SA_iPKfiiiPfSD_PS3_PT2_iSC_SC_
    .private_segment_fixed_size: 0
    .sgpr_count:     39
    .sgpr_spill_count: 0
    .symbol:         _Z39paged_attention_ll4mi_QKV_mfma16_kernelIDF16_hLN4vllm18Fp8KVCacheDataTypeE1EhLi16ELi64ELi256ELb0ELi9EL8MFMAType0EEvPKT_PKT0_S8_ifPKiSA_SA_iPKfiiiPfSD_PS3_PT2_iSC_SC_.kd
    .uniform_work_group_size: 1
    .uses_dynamic_stack: false
    .vgpr_count:     146
    .vgpr_spill_count: 0
    .wavefront_size: 32
    .workgroup_processor_mode: 1
  - .args:
      - .actual_access:  read_only
        .address_space:  global
        .offset:         0
        .size:           8
        .value_kind:     global_buffer
      - .actual_access:  read_only
        .address_space:  global
        .offset:         8
        .size:           8
        .value_kind:     global_buffer
      - .actual_access:  read_only
        .address_space:  global
        .offset:         16
        .size:           8
        .value_kind:     global_buffer
      - .offset:         24
        .size:           4
        .value_kind:     by_value
      - .offset:         28
        .size:           4
        .value_kind:     by_value
      - .actual_access:  read_only
        .address_space:  global
        .offset:         32
        .size:           8
        .value_kind:     global_buffer
      - .actual_access:  read_only
        .address_space:  global
        .offset:         40
        .size:           8
        .value_kind:     global_buffer
      - .actual_access:  read_only
        .address_space:  global
        .offset:         48
        .size:           8
        .value_kind:     global_buffer
      - .offset:         56
        .size:           4
        .value_kind:     by_value
      - .actual_access:  read_only
        .address_space:  global
        .offset:         64
        .size:           8
        .value_kind:     global_buffer
      - .offset:         72
        .size:           4
        .value_kind:     by_value
      - .offset:         76
        .size:           4
        .value_kind:     by_value
      - .offset:         80
        .size:           4
        .value_kind:     by_value
      - .actual_access:  write_only
        .address_space:  global
        .offset:         88
        .size:           8
        .value_kind:     global_buffer
      - .actual_access:  write_only
        .address_space:  global
        .offset:         96
        .size:           8
        .value_kind:     global_buffer
      - .actual_access:  write_only
        .address_space:  global
        .offset:         104
        .size:           8
        .value_kind:     global_buffer
      - .actual_access:  read_only
        .address_space:  global
        .offset:         112
        .size:           8
        .value_kind:     global_buffer
      - .offset:         120
        .size:           4
        .value_kind:     by_value
      - .address_space:  global
        .offset:         128
        .size:           8
        .value_kind:     global_buffer
      - .address_space:  global
        .offset:         136
        .size:           8
        .value_kind:     global_buffer
      - .offset:         144
        .size:           4
        .value_kind:     hidden_block_count_x
      - .offset:         148
        .size:           4
        .value_kind:     hidden_block_count_y
      - .offset:         152
        .size:           4
        .value_kind:     hidden_block_count_z
      - .offset:         156
        .size:           2
        .value_kind:     hidden_group_size_x
      - .offset:         158
        .size:           2
        .value_kind:     hidden_group_size_y
      - .offset:         160
        .size:           2
        .value_kind:     hidden_group_size_z
      - .offset:         162
        .size:           2
        .value_kind:     hidden_remainder_x
      - .offset:         164
        .size:           2
        .value_kind:     hidden_remainder_y
      - .offset:         166
        .size:           2
        .value_kind:     hidden_remainder_z
      - .offset:         184
        .size:           8
        .value_kind:     hidden_global_offset_x
      - .offset:         192
        .size:           8
        .value_kind:     hidden_global_offset_y
      - .offset:         200
        .size:           8
        .value_kind:     hidden_global_offset_z
      - .offset:         208
        .size:           2
        .value_kind:     hidden_grid_dims
    .group_segment_fixed_size: 17472
    .kernarg_segment_align: 8
    .kernarg_segment_size: 400
    .language:       OpenCL C
    .language_version:
      - 2
      - 0
    .max_flat_workgroup_size: 256
    .name:           _Z39paged_attention_ll4mi_QKV_mfma16_kernelIDF16_hLN4vllm18Fp8KVCacheDataTypeE1EhLi16ELi64ELi256ELb0ELi10EL8MFMAType0EEvPKT_PKT0_S8_ifPKiSA_SA_iPKfiiiPfSD_PS3_PT2_iSC_SC_
    .private_segment_fixed_size: 0
    .sgpr_count:     38
    .sgpr_spill_count: 0
    .symbol:         _Z39paged_attention_ll4mi_QKV_mfma16_kernelIDF16_hLN4vllm18Fp8KVCacheDataTypeE1EhLi16ELi64ELi256ELb0ELi10EL8MFMAType0EEvPKT_PKT0_S8_ifPKiSA_SA_iPKfiiiPfSD_PS3_PT2_iSC_SC_.kd
    .uniform_work_group_size: 1
    .uses_dynamic_stack: false
    .vgpr_count:     146
    .vgpr_spill_count: 0
    .wavefront_size: 32
    .workgroup_processor_mode: 1
  - .args:
      - .actual_access:  read_only
        .address_space:  global
        .offset:         0
        .size:           8
        .value_kind:     global_buffer
      - .actual_access:  read_only
        .address_space:  global
        .offset:         8
        .size:           8
        .value_kind:     global_buffer
      - .actual_access:  read_only
        .address_space:  global
        .offset:         16
        .size:           8
        .value_kind:     global_buffer
      - .offset:         24
        .size:           4
        .value_kind:     by_value
      - .offset:         28
        .size:           4
        .value_kind:     by_value
      - .actual_access:  read_only
        .address_space:  global
        .offset:         32
        .size:           8
        .value_kind:     global_buffer
      - .actual_access:  read_only
        .address_space:  global
        .offset:         40
        .size:           8
        .value_kind:     global_buffer
      - .actual_access:  read_only
        .address_space:  global
        .offset:         48
        .size:           8
        .value_kind:     global_buffer
      - .offset:         56
        .size:           4
        .value_kind:     by_value
      - .actual_access:  read_only
        .address_space:  global
        .offset:         64
        .size:           8
        .value_kind:     global_buffer
      - .offset:         72
        .size:           4
        .value_kind:     by_value
      - .offset:         76
        .size:           4
        .value_kind:     by_value
      - .offset:         80
        .size:           4
        .value_kind:     by_value
      - .actual_access:  write_only
        .address_space:  global
        .offset:         88
        .size:           8
        .value_kind:     global_buffer
      - .actual_access:  write_only
        .address_space:  global
        .offset:         96
        .size:           8
        .value_kind:     global_buffer
      - .actual_access:  write_only
        .address_space:  global
        .offset:         104
        .size:           8
        .value_kind:     global_buffer
      - .actual_access:  read_only
        .address_space:  global
        .offset:         112
        .size:           8
        .value_kind:     global_buffer
      - .offset:         120
        .size:           4
        .value_kind:     by_value
      - .address_space:  global
        .offset:         128
        .size:           8
        .value_kind:     global_buffer
      - .address_space:  global
        .offset:         136
        .size:           8
        .value_kind:     global_buffer
      - .offset:         144
        .size:           4
        .value_kind:     hidden_block_count_x
      - .offset:         148
        .size:           4
        .value_kind:     hidden_block_count_y
      - .offset:         152
        .size:           4
        .value_kind:     hidden_block_count_z
      - .offset:         156
        .size:           2
        .value_kind:     hidden_group_size_x
      - .offset:         158
        .size:           2
        .value_kind:     hidden_group_size_y
      - .offset:         160
        .size:           2
        .value_kind:     hidden_group_size_z
      - .offset:         162
        .size:           2
        .value_kind:     hidden_remainder_x
      - .offset:         164
        .size:           2
        .value_kind:     hidden_remainder_y
      - .offset:         166
        .size:           2
        .value_kind:     hidden_remainder_z
      - .offset:         184
        .size:           8
        .value_kind:     hidden_global_offset_x
      - .offset:         192
        .size:           8
        .value_kind:     hidden_global_offset_y
      - .offset:         200
        .size:           8
        .value_kind:     hidden_global_offset_z
      - .offset:         208
        .size:           2
        .value_kind:     hidden_grid_dims
    .group_segment_fixed_size: 17472
    .kernarg_segment_align: 8
    .kernarg_segment_size: 400
    .language:       OpenCL C
    .language_version:
      - 2
      - 0
    .max_flat_workgroup_size: 256
    .name:           _Z39paged_attention_ll4mi_QKV_mfma16_kernelIDF16_hLN4vllm18Fp8KVCacheDataTypeE1EhLi16ELi64ELi256ELb0ELi11EL8MFMAType0EEvPKT_PKT0_S8_ifPKiSA_SA_iPKfiiiPfSD_PS3_PT2_iSC_SC_
    .private_segment_fixed_size: 0
    .sgpr_count:     39
    .sgpr_spill_count: 0
    .symbol:         _Z39paged_attention_ll4mi_QKV_mfma16_kernelIDF16_hLN4vllm18Fp8KVCacheDataTypeE1EhLi16ELi64ELi256ELb0ELi11EL8MFMAType0EEvPKT_PKT0_S8_ifPKiSA_SA_iPKfiiiPfSD_PS3_PT2_iSC_SC_.kd
    .uniform_work_group_size: 1
    .uses_dynamic_stack: false
    .vgpr_count:     146
    .vgpr_spill_count: 0
    .wavefront_size: 32
    .workgroup_processor_mode: 1
  - .args:
      - .actual_access:  read_only
        .address_space:  global
        .offset:         0
        .size:           8
        .value_kind:     global_buffer
      - .actual_access:  read_only
        .address_space:  global
        .offset:         8
        .size:           8
        .value_kind:     global_buffer
      - .actual_access:  read_only
        .address_space:  global
        .offset:         16
        .size:           8
        .value_kind:     global_buffer
      - .offset:         24
        .size:           4
        .value_kind:     by_value
      - .offset:         28
        .size:           4
        .value_kind:     by_value
      - .actual_access:  read_only
        .address_space:  global
        .offset:         32
        .size:           8
        .value_kind:     global_buffer
      - .actual_access:  read_only
        .address_space:  global
        .offset:         40
        .size:           8
        .value_kind:     global_buffer
      - .actual_access:  read_only
        .address_space:  global
        .offset:         48
        .size:           8
        .value_kind:     global_buffer
      - .offset:         56
        .size:           4
        .value_kind:     by_value
      - .actual_access:  read_only
        .address_space:  global
        .offset:         64
        .size:           8
        .value_kind:     global_buffer
      - .offset:         72
        .size:           4
        .value_kind:     by_value
      - .offset:         76
        .size:           4
        .value_kind:     by_value
      - .offset:         80
        .size:           4
        .value_kind:     by_value
      - .actual_access:  write_only
        .address_space:  global
        .offset:         88
        .size:           8
        .value_kind:     global_buffer
      - .actual_access:  write_only
        .address_space:  global
        .offset:         96
        .size:           8
        .value_kind:     global_buffer
      - .actual_access:  write_only
        .address_space:  global
        .offset:         104
        .size:           8
        .value_kind:     global_buffer
      - .actual_access:  read_only
        .address_space:  global
        .offset:         112
        .size:           8
        .value_kind:     global_buffer
      - .offset:         120
        .size:           4
        .value_kind:     by_value
      - .address_space:  global
        .offset:         128
        .size:           8
        .value_kind:     global_buffer
      - .address_space:  global
        .offset:         136
        .size:           8
        .value_kind:     global_buffer
      - .offset:         144
        .size:           4
        .value_kind:     hidden_block_count_x
      - .offset:         148
        .size:           4
        .value_kind:     hidden_block_count_y
      - .offset:         152
        .size:           4
        .value_kind:     hidden_block_count_z
      - .offset:         156
        .size:           2
        .value_kind:     hidden_group_size_x
      - .offset:         158
        .size:           2
        .value_kind:     hidden_group_size_y
      - .offset:         160
        .size:           2
        .value_kind:     hidden_group_size_z
      - .offset:         162
        .size:           2
        .value_kind:     hidden_remainder_x
      - .offset:         164
        .size:           2
        .value_kind:     hidden_remainder_y
      - .offset:         166
        .size:           2
        .value_kind:     hidden_remainder_z
      - .offset:         184
        .size:           8
        .value_kind:     hidden_global_offset_x
      - .offset:         192
        .size:           8
        .value_kind:     hidden_global_offset_y
      - .offset:         200
        .size:           8
        .value_kind:     hidden_global_offset_z
      - .offset:         208
        .size:           2
        .value_kind:     hidden_grid_dims
    .group_segment_fixed_size: 17472
    .kernarg_segment_align: 8
    .kernarg_segment_size: 400
    .language:       OpenCL C
    .language_version:
      - 2
      - 0
    .max_flat_workgroup_size: 256
    .name:           _Z39paged_attention_ll4mi_QKV_mfma16_kernelIDF16_hLN4vllm18Fp8KVCacheDataTypeE1EhLi16ELi64ELi256ELb0ELi12EL8MFMAType0EEvPKT_PKT0_S8_ifPKiSA_SA_iPKfiiiPfSD_PS3_PT2_iSC_SC_
    .private_segment_fixed_size: 0
    .sgpr_count:     38
    .sgpr_spill_count: 0
    .symbol:         _Z39paged_attention_ll4mi_QKV_mfma16_kernelIDF16_hLN4vllm18Fp8KVCacheDataTypeE1EhLi16ELi64ELi256ELb0ELi12EL8MFMAType0EEvPKT_PKT0_S8_ifPKiSA_SA_iPKfiiiPfSD_PS3_PT2_iSC_SC_.kd
    .uniform_work_group_size: 1
    .uses_dynamic_stack: false
    .vgpr_count:     146
    .vgpr_spill_count: 0
    .wavefront_size: 32
    .workgroup_processor_mode: 1
  - .args:
      - .actual_access:  read_only
        .address_space:  global
        .offset:         0
        .size:           8
        .value_kind:     global_buffer
      - .actual_access:  read_only
        .address_space:  global
        .offset:         8
        .size:           8
        .value_kind:     global_buffer
      - .actual_access:  read_only
        .address_space:  global
        .offset:         16
        .size:           8
        .value_kind:     global_buffer
      - .offset:         24
        .size:           4
        .value_kind:     by_value
      - .offset:         28
        .size:           4
        .value_kind:     by_value
      - .actual_access:  read_only
        .address_space:  global
        .offset:         32
        .size:           8
        .value_kind:     global_buffer
      - .actual_access:  read_only
        .address_space:  global
        .offset:         40
        .size:           8
        .value_kind:     global_buffer
      - .actual_access:  read_only
        .address_space:  global
        .offset:         48
        .size:           8
        .value_kind:     global_buffer
      - .offset:         56
        .size:           4
        .value_kind:     by_value
      - .actual_access:  read_only
        .address_space:  global
        .offset:         64
        .size:           8
        .value_kind:     global_buffer
      - .offset:         72
        .size:           4
        .value_kind:     by_value
      - .offset:         76
        .size:           4
        .value_kind:     by_value
      - .offset:         80
        .size:           4
        .value_kind:     by_value
      - .actual_access:  write_only
        .address_space:  global
        .offset:         88
        .size:           8
        .value_kind:     global_buffer
      - .actual_access:  write_only
        .address_space:  global
        .offset:         96
        .size:           8
        .value_kind:     global_buffer
      - .actual_access:  write_only
        .address_space:  global
        .offset:         104
        .size:           8
        .value_kind:     global_buffer
      - .actual_access:  read_only
        .address_space:  global
        .offset:         112
        .size:           8
        .value_kind:     global_buffer
      - .offset:         120
        .size:           4
        .value_kind:     by_value
      - .address_space:  global
        .offset:         128
        .size:           8
        .value_kind:     global_buffer
      - .address_space:  global
        .offset:         136
        .size:           8
        .value_kind:     global_buffer
      - .offset:         144
        .size:           4
        .value_kind:     hidden_block_count_x
      - .offset:         148
        .size:           4
        .value_kind:     hidden_block_count_y
      - .offset:         152
        .size:           4
        .value_kind:     hidden_block_count_z
      - .offset:         156
        .size:           2
        .value_kind:     hidden_group_size_x
      - .offset:         158
        .size:           2
        .value_kind:     hidden_group_size_y
      - .offset:         160
        .size:           2
        .value_kind:     hidden_group_size_z
      - .offset:         162
        .size:           2
        .value_kind:     hidden_remainder_x
      - .offset:         164
        .size:           2
        .value_kind:     hidden_remainder_y
      - .offset:         166
        .size:           2
        .value_kind:     hidden_remainder_z
      - .offset:         184
        .size:           8
        .value_kind:     hidden_global_offset_x
      - .offset:         192
        .size:           8
        .value_kind:     hidden_global_offset_y
      - .offset:         200
        .size:           8
        .value_kind:     hidden_global_offset_z
      - .offset:         208
        .size:           2
        .value_kind:     hidden_grid_dims
    .group_segment_fixed_size: 17472
    .kernarg_segment_align: 8
    .kernarg_segment_size: 400
    .language:       OpenCL C
    .language_version:
      - 2
      - 0
    .max_flat_workgroup_size: 256
    .name:           _Z39paged_attention_ll4mi_QKV_mfma16_kernelIDF16_hLN4vllm18Fp8KVCacheDataTypeE1EhLi16ELi64ELi256ELb0ELi13EL8MFMAType0EEvPKT_PKT0_S8_ifPKiSA_SA_iPKfiiiPfSD_PS3_PT2_iSC_SC_
    .private_segment_fixed_size: 0
    .sgpr_count:     39
    .sgpr_spill_count: 0
    .symbol:         _Z39paged_attention_ll4mi_QKV_mfma16_kernelIDF16_hLN4vllm18Fp8KVCacheDataTypeE1EhLi16ELi64ELi256ELb0ELi13EL8MFMAType0EEvPKT_PKT0_S8_ifPKiSA_SA_iPKfiiiPfSD_PS3_PT2_iSC_SC_.kd
    .uniform_work_group_size: 1
    .uses_dynamic_stack: false
    .vgpr_count:     146
    .vgpr_spill_count: 0
    .wavefront_size: 32
    .workgroup_processor_mode: 1
  - .args:
      - .actual_access:  read_only
        .address_space:  global
        .offset:         0
        .size:           8
        .value_kind:     global_buffer
      - .actual_access:  read_only
        .address_space:  global
        .offset:         8
        .size:           8
        .value_kind:     global_buffer
      - .actual_access:  read_only
        .address_space:  global
        .offset:         16
        .size:           8
        .value_kind:     global_buffer
      - .offset:         24
        .size:           4
        .value_kind:     by_value
      - .offset:         28
        .size:           4
        .value_kind:     by_value
      - .actual_access:  read_only
        .address_space:  global
        .offset:         32
        .size:           8
        .value_kind:     global_buffer
      - .actual_access:  read_only
        .address_space:  global
        .offset:         40
        .size:           8
        .value_kind:     global_buffer
      - .actual_access:  read_only
        .address_space:  global
        .offset:         48
        .size:           8
        .value_kind:     global_buffer
      - .offset:         56
        .size:           4
        .value_kind:     by_value
      - .actual_access:  read_only
        .address_space:  global
        .offset:         64
        .size:           8
        .value_kind:     global_buffer
      - .offset:         72
        .size:           4
        .value_kind:     by_value
      - .offset:         76
        .size:           4
        .value_kind:     by_value
      - .offset:         80
        .size:           4
        .value_kind:     by_value
      - .actual_access:  write_only
        .address_space:  global
        .offset:         88
        .size:           8
        .value_kind:     global_buffer
      - .actual_access:  write_only
        .address_space:  global
        .offset:         96
        .size:           8
        .value_kind:     global_buffer
      - .actual_access:  write_only
        .address_space:  global
        .offset:         104
        .size:           8
        .value_kind:     global_buffer
      - .actual_access:  read_only
        .address_space:  global
        .offset:         112
        .size:           8
        .value_kind:     global_buffer
      - .offset:         120
        .size:           4
        .value_kind:     by_value
      - .address_space:  global
        .offset:         128
        .size:           8
        .value_kind:     global_buffer
      - .address_space:  global
        .offset:         136
        .size:           8
        .value_kind:     global_buffer
      - .offset:         144
        .size:           4
        .value_kind:     hidden_block_count_x
      - .offset:         148
        .size:           4
        .value_kind:     hidden_block_count_y
      - .offset:         152
        .size:           4
        .value_kind:     hidden_block_count_z
      - .offset:         156
        .size:           2
        .value_kind:     hidden_group_size_x
      - .offset:         158
        .size:           2
        .value_kind:     hidden_group_size_y
      - .offset:         160
        .size:           2
        .value_kind:     hidden_group_size_z
      - .offset:         162
        .size:           2
        .value_kind:     hidden_remainder_x
      - .offset:         164
        .size:           2
        .value_kind:     hidden_remainder_y
      - .offset:         166
        .size:           2
        .value_kind:     hidden_remainder_z
      - .offset:         184
        .size:           8
        .value_kind:     hidden_global_offset_x
      - .offset:         192
        .size:           8
        .value_kind:     hidden_global_offset_y
      - .offset:         200
        .size:           8
        .value_kind:     hidden_global_offset_z
      - .offset:         208
        .size:           2
        .value_kind:     hidden_grid_dims
    .group_segment_fixed_size: 17472
    .kernarg_segment_align: 8
    .kernarg_segment_size: 400
    .language:       OpenCL C
    .language_version:
      - 2
      - 0
    .max_flat_workgroup_size: 256
    .name:           _Z39paged_attention_ll4mi_QKV_mfma16_kernelIDF16_hLN4vllm18Fp8KVCacheDataTypeE1EhLi16ELi64ELi256ELb0ELi14EL8MFMAType0EEvPKT_PKT0_S8_ifPKiSA_SA_iPKfiiiPfSD_PS3_PT2_iSC_SC_
    .private_segment_fixed_size: 0
    .sgpr_count:     38
    .sgpr_spill_count: 0
    .symbol:         _Z39paged_attention_ll4mi_QKV_mfma16_kernelIDF16_hLN4vllm18Fp8KVCacheDataTypeE1EhLi16ELi64ELi256ELb0ELi14EL8MFMAType0EEvPKT_PKT0_S8_ifPKiSA_SA_iPKfiiiPfSD_PS3_PT2_iSC_SC_.kd
    .uniform_work_group_size: 1
    .uses_dynamic_stack: false
    .vgpr_count:     146
    .vgpr_spill_count: 0
    .wavefront_size: 32
    .workgroup_processor_mode: 1
  - .args:
      - .actual_access:  read_only
        .address_space:  global
        .offset:         0
        .size:           8
        .value_kind:     global_buffer
      - .actual_access:  read_only
        .address_space:  global
        .offset:         8
        .size:           8
        .value_kind:     global_buffer
      - .actual_access:  read_only
        .address_space:  global
        .offset:         16
        .size:           8
        .value_kind:     global_buffer
      - .offset:         24
        .size:           4
        .value_kind:     by_value
      - .offset:         28
        .size:           4
        .value_kind:     by_value
      - .actual_access:  read_only
        .address_space:  global
        .offset:         32
        .size:           8
        .value_kind:     global_buffer
      - .actual_access:  read_only
        .address_space:  global
        .offset:         40
        .size:           8
        .value_kind:     global_buffer
      - .actual_access:  read_only
        .address_space:  global
        .offset:         48
        .size:           8
        .value_kind:     global_buffer
      - .offset:         56
        .size:           4
        .value_kind:     by_value
      - .actual_access:  read_only
        .address_space:  global
        .offset:         64
        .size:           8
        .value_kind:     global_buffer
      - .offset:         72
        .size:           4
        .value_kind:     by_value
      - .offset:         76
        .size:           4
        .value_kind:     by_value
      - .offset:         80
        .size:           4
        .value_kind:     by_value
      - .actual_access:  write_only
        .address_space:  global
        .offset:         88
        .size:           8
        .value_kind:     global_buffer
      - .actual_access:  write_only
        .address_space:  global
        .offset:         96
        .size:           8
        .value_kind:     global_buffer
      - .actual_access:  write_only
        .address_space:  global
        .offset:         104
        .size:           8
        .value_kind:     global_buffer
      - .actual_access:  read_only
        .address_space:  global
        .offset:         112
        .size:           8
        .value_kind:     global_buffer
      - .offset:         120
        .size:           4
        .value_kind:     by_value
      - .address_space:  global
        .offset:         128
        .size:           8
        .value_kind:     global_buffer
      - .address_space:  global
        .offset:         136
        .size:           8
        .value_kind:     global_buffer
      - .offset:         144
        .size:           4
        .value_kind:     hidden_block_count_x
      - .offset:         148
        .size:           4
        .value_kind:     hidden_block_count_y
      - .offset:         152
        .size:           4
        .value_kind:     hidden_block_count_z
      - .offset:         156
        .size:           2
        .value_kind:     hidden_group_size_x
      - .offset:         158
        .size:           2
        .value_kind:     hidden_group_size_y
      - .offset:         160
        .size:           2
        .value_kind:     hidden_group_size_z
      - .offset:         162
        .size:           2
        .value_kind:     hidden_remainder_x
      - .offset:         164
        .size:           2
        .value_kind:     hidden_remainder_y
      - .offset:         166
        .size:           2
        .value_kind:     hidden_remainder_z
      - .offset:         184
        .size:           8
        .value_kind:     hidden_global_offset_x
      - .offset:         192
        .size:           8
        .value_kind:     hidden_global_offset_y
      - .offset:         200
        .size:           8
        .value_kind:     hidden_global_offset_z
      - .offset:         208
        .size:           2
        .value_kind:     hidden_grid_dims
    .group_segment_fixed_size: 17472
    .kernarg_segment_align: 8
    .kernarg_segment_size: 400
    .language:       OpenCL C
    .language_version:
      - 2
      - 0
    .max_flat_workgroup_size: 256
    .name:           _Z39paged_attention_ll4mi_QKV_mfma16_kernelIDF16_hLN4vllm18Fp8KVCacheDataTypeE1EhLi16ELi64ELi256ELb0ELi15EL8MFMAType0EEvPKT_PKT0_S8_ifPKiSA_SA_iPKfiiiPfSD_PS3_PT2_iSC_SC_
    .private_segment_fixed_size: 0
    .sgpr_count:     39
    .sgpr_spill_count: 0
    .symbol:         _Z39paged_attention_ll4mi_QKV_mfma16_kernelIDF16_hLN4vllm18Fp8KVCacheDataTypeE1EhLi16ELi64ELi256ELb0ELi15EL8MFMAType0EEvPKT_PKT0_S8_ifPKiSA_SA_iPKfiiiPfSD_PS3_PT2_iSC_SC_.kd
    .uniform_work_group_size: 1
    .uses_dynamic_stack: false
    .vgpr_count:     146
    .vgpr_spill_count: 0
    .wavefront_size: 32
    .workgroup_processor_mode: 1
  - .args:
      - .actual_access:  read_only
        .address_space:  global
        .offset:         0
        .size:           8
        .value_kind:     global_buffer
      - .actual_access:  read_only
        .address_space:  global
        .offset:         8
        .size:           8
        .value_kind:     global_buffer
      - .actual_access:  read_only
        .address_space:  global
        .offset:         16
        .size:           8
        .value_kind:     global_buffer
      - .offset:         24
        .size:           4
        .value_kind:     by_value
      - .offset:         28
        .size:           4
        .value_kind:     by_value
      - .actual_access:  read_only
        .address_space:  global
        .offset:         32
        .size:           8
        .value_kind:     global_buffer
      - .actual_access:  read_only
        .address_space:  global
        .offset:         40
        .size:           8
        .value_kind:     global_buffer
      - .actual_access:  read_only
        .address_space:  global
        .offset:         48
        .size:           8
        .value_kind:     global_buffer
      - .offset:         56
        .size:           4
        .value_kind:     by_value
      - .actual_access:  read_only
        .address_space:  global
        .offset:         64
        .size:           8
        .value_kind:     global_buffer
      - .offset:         72
        .size:           4
        .value_kind:     by_value
      - .offset:         76
        .size:           4
        .value_kind:     by_value
      - .offset:         80
        .size:           4
        .value_kind:     by_value
      - .actual_access:  write_only
        .address_space:  global
        .offset:         88
        .size:           8
        .value_kind:     global_buffer
      - .actual_access:  write_only
        .address_space:  global
        .offset:         96
        .size:           8
        .value_kind:     global_buffer
      - .actual_access:  write_only
        .address_space:  global
        .offset:         104
        .size:           8
        .value_kind:     global_buffer
      - .actual_access:  read_only
        .address_space:  global
        .offset:         112
        .size:           8
        .value_kind:     global_buffer
      - .offset:         120
        .size:           4
        .value_kind:     by_value
      - .address_space:  global
        .offset:         128
        .size:           8
        .value_kind:     global_buffer
      - .address_space:  global
        .offset:         136
        .size:           8
        .value_kind:     global_buffer
      - .offset:         144
        .size:           4
        .value_kind:     hidden_block_count_x
      - .offset:         148
        .size:           4
        .value_kind:     hidden_block_count_y
      - .offset:         152
        .size:           4
        .value_kind:     hidden_block_count_z
      - .offset:         156
        .size:           2
        .value_kind:     hidden_group_size_x
      - .offset:         158
        .size:           2
        .value_kind:     hidden_group_size_y
      - .offset:         160
        .size:           2
        .value_kind:     hidden_group_size_z
      - .offset:         162
        .size:           2
        .value_kind:     hidden_remainder_x
      - .offset:         164
        .size:           2
        .value_kind:     hidden_remainder_y
      - .offset:         166
        .size:           2
        .value_kind:     hidden_remainder_z
      - .offset:         184
        .size:           8
        .value_kind:     hidden_global_offset_x
      - .offset:         192
        .size:           8
        .value_kind:     hidden_global_offset_y
      - .offset:         200
        .size:           8
        .value_kind:     hidden_global_offset_z
      - .offset:         208
        .size:           2
        .value_kind:     hidden_grid_dims
    .group_segment_fixed_size: 17472
    .kernarg_segment_align: 8
    .kernarg_segment_size: 400
    .language:       OpenCL C
    .language_version:
      - 2
      - 0
    .max_flat_workgroup_size: 256
    .name:           _Z39paged_attention_ll4mi_QKV_mfma16_kernelIDF16_hLN4vllm18Fp8KVCacheDataTypeE1EhLi16ELi64ELi256ELb0ELi16EL8MFMAType0EEvPKT_PKT0_S8_ifPKiSA_SA_iPKfiiiPfSD_PS3_PT2_iSC_SC_
    .private_segment_fixed_size: 0
    .sgpr_count:     42
    .sgpr_spill_count: 0
    .symbol:         _Z39paged_attention_ll4mi_QKV_mfma16_kernelIDF16_hLN4vllm18Fp8KVCacheDataTypeE1EhLi16ELi64ELi256ELb0ELi16EL8MFMAType0EEvPKT_PKT0_S8_ifPKiSA_SA_iPKfiiiPfSD_PS3_PT2_iSC_SC_.kd
    .uniform_work_group_size: 1
    .uses_dynamic_stack: false
    .vgpr_count:     123
    .vgpr_spill_count: 0
    .wavefront_size: 32
    .workgroup_processor_mode: 1
  - .args:
      - .actual_access:  read_only
        .address_space:  global
        .offset:         0
        .size:           8
        .value_kind:     global_buffer
      - .actual_access:  read_only
        .address_space:  global
        .offset:         8
        .size:           8
        .value_kind:     global_buffer
      - .actual_access:  read_only
        .address_space:  global
        .offset:         16
        .size:           8
        .value_kind:     global_buffer
      - .offset:         24
        .size:           4
        .value_kind:     by_value
      - .offset:         28
        .size:           4
        .value_kind:     by_value
      - .actual_access:  read_only
        .address_space:  global
        .offset:         32
        .size:           8
        .value_kind:     global_buffer
      - .actual_access:  read_only
        .address_space:  global
        .offset:         40
        .size:           8
        .value_kind:     global_buffer
      - .actual_access:  read_only
        .address_space:  global
        .offset:         48
        .size:           8
        .value_kind:     global_buffer
      - .offset:         56
        .size:           4
        .value_kind:     by_value
      - .actual_access:  read_only
        .address_space:  global
        .offset:         64
        .size:           8
        .value_kind:     global_buffer
      - .offset:         72
        .size:           4
        .value_kind:     by_value
      - .offset:         76
        .size:           4
        .value_kind:     by_value
      - .offset:         80
        .size:           4
        .value_kind:     by_value
      - .actual_access:  write_only
        .address_space:  global
        .offset:         88
        .size:           8
        .value_kind:     global_buffer
      - .actual_access:  write_only
        .address_space:  global
        .offset:         96
        .size:           8
        .value_kind:     global_buffer
      - .actual_access:  write_only
        .address_space:  global
        .offset:         104
        .size:           8
        .value_kind:     global_buffer
      - .actual_access:  read_only
        .address_space:  global
        .offset:         112
        .size:           8
        .value_kind:     global_buffer
      - .offset:         120
        .size:           4
        .value_kind:     by_value
      - .address_space:  global
        .offset:         128
        .size:           8
        .value_kind:     global_buffer
      - .address_space:  global
        .offset:         136
        .size:           8
        .value_kind:     global_buffer
      - .offset:         144
        .size:           4
        .value_kind:     hidden_block_count_x
      - .offset:         148
        .size:           4
        .value_kind:     hidden_block_count_y
      - .offset:         152
        .size:           4
        .value_kind:     hidden_block_count_z
      - .offset:         156
        .size:           2
        .value_kind:     hidden_group_size_x
      - .offset:         158
        .size:           2
        .value_kind:     hidden_group_size_y
      - .offset:         160
        .size:           2
        .value_kind:     hidden_group_size_z
      - .offset:         162
        .size:           2
        .value_kind:     hidden_remainder_x
      - .offset:         164
        .size:           2
        .value_kind:     hidden_remainder_y
      - .offset:         166
        .size:           2
        .value_kind:     hidden_remainder_z
      - .offset:         184
        .size:           8
        .value_kind:     hidden_global_offset_x
      - .offset:         192
        .size:           8
        .value_kind:     hidden_global_offset_y
      - .offset:         200
        .size:           8
        .value_kind:     hidden_global_offset_z
      - .offset:         208
        .size:           2
        .value_kind:     hidden_grid_dims
    .group_segment_fixed_size: 17472
    .kernarg_segment_align: 8
    .kernarg_segment_size: 400
    .language:       OpenCL C
    .language_version:
      - 2
      - 0
    .max_flat_workgroup_size: 256
    .name:           _Z39paged_attention_ll4mi_QKV_mfma16_kernelIDF16_hLN4vllm18Fp8KVCacheDataTypeE1EhLi16ELi64ELi256ELb0ELi1EL8MFMAType0EEvPKT_PKT0_S8_ifPKiSA_SA_iPKfiiiPfSD_PS3_PT2_iSC_SC_
    .private_segment_fixed_size: 0
    .sgpr_count:     50
    .sgpr_spill_count: 0
    .symbol:         _Z39paged_attention_ll4mi_QKV_mfma16_kernelIDF16_hLN4vllm18Fp8KVCacheDataTypeE1EhLi16ELi64ELi256ELb0ELi1EL8MFMAType0EEvPKT_PKT0_S8_ifPKiSA_SA_iPKfiiiPfSD_PS3_PT2_iSC_SC_.kd
    .uniform_work_group_size: 1
    .uses_dynamic_stack: false
    .vgpr_count:     144
    .vgpr_spill_count: 0
    .wavefront_size: 32
    .workgroup_processor_mode: 1
  - .args:
      - .actual_access:  read_only
        .address_space:  global
        .offset:         0
        .size:           8
        .value_kind:     global_buffer
      - .actual_access:  read_only
        .address_space:  global
        .offset:         8
        .size:           8
        .value_kind:     global_buffer
      - .actual_access:  read_only
        .address_space:  global
        .offset:         16
        .size:           8
        .value_kind:     global_buffer
      - .offset:         24
        .size:           4
        .value_kind:     by_value
      - .offset:         28
        .size:           4
        .value_kind:     by_value
      - .actual_access:  read_only
        .address_space:  global
        .offset:         32
        .size:           8
        .value_kind:     global_buffer
      - .actual_access:  read_only
        .address_space:  global
        .offset:         40
        .size:           8
        .value_kind:     global_buffer
      - .actual_access:  read_only
        .address_space:  global
        .offset:         48
        .size:           8
        .value_kind:     global_buffer
      - .offset:         56
        .size:           4
        .value_kind:     by_value
      - .actual_access:  read_only
        .address_space:  global
        .offset:         64
        .size:           8
        .value_kind:     global_buffer
      - .offset:         72
        .size:           4
        .value_kind:     by_value
      - .offset:         76
        .size:           4
        .value_kind:     by_value
      - .offset:         80
        .size:           4
        .value_kind:     by_value
      - .actual_access:  write_only
        .address_space:  global
        .offset:         88
        .size:           8
        .value_kind:     global_buffer
      - .actual_access:  write_only
        .address_space:  global
        .offset:         96
        .size:           8
        .value_kind:     global_buffer
      - .actual_access:  write_only
        .address_space:  global
        .offset:         104
        .size:           8
        .value_kind:     global_buffer
      - .actual_access:  read_only
        .address_space:  global
        .offset:         112
        .size:           8
        .value_kind:     global_buffer
      - .offset:         120
        .size:           4
        .value_kind:     by_value
      - .address_space:  global
        .offset:         128
        .size:           8
        .value_kind:     global_buffer
      - .address_space:  global
        .offset:         136
        .size:           8
        .value_kind:     global_buffer
      - .offset:         144
        .size:           4
        .value_kind:     hidden_block_count_x
      - .offset:         148
        .size:           4
        .value_kind:     hidden_block_count_y
      - .offset:         152
        .size:           4
        .value_kind:     hidden_block_count_z
      - .offset:         156
        .size:           2
        .value_kind:     hidden_group_size_x
      - .offset:         158
        .size:           2
        .value_kind:     hidden_group_size_y
      - .offset:         160
        .size:           2
        .value_kind:     hidden_group_size_z
      - .offset:         162
        .size:           2
        .value_kind:     hidden_remainder_x
      - .offset:         164
        .size:           2
        .value_kind:     hidden_remainder_y
      - .offset:         166
        .size:           2
        .value_kind:     hidden_remainder_z
      - .offset:         184
        .size:           8
        .value_kind:     hidden_global_offset_x
      - .offset:         192
        .size:           8
        .value_kind:     hidden_global_offset_y
      - .offset:         200
        .size:           8
        .value_kind:     hidden_global_offset_z
      - .offset:         208
        .size:           2
        .value_kind:     hidden_grid_dims
    .group_segment_fixed_size: 17472
    .kernarg_segment_align: 8
    .kernarg_segment_size: 400
    .language:       OpenCL C
    .language_version:
      - 2
      - 0
    .max_flat_workgroup_size: 256
    .name:           _Z39paged_attention_ll4mi_QKV_mfma16_kernelIDF16_hLN4vllm18Fp8KVCacheDataTypeE1EhLi16ELi64ELi256ELb0ELi2EL8MFMAType0EEvPKT_PKT0_S8_ifPKiSA_SA_iPKfiiiPfSD_PS3_PT2_iSC_SC_
    .private_segment_fixed_size: 0
    .sgpr_count:     38
    .sgpr_spill_count: 0
    .symbol:         _Z39paged_attention_ll4mi_QKV_mfma16_kernelIDF16_hLN4vllm18Fp8KVCacheDataTypeE1EhLi16ELi64ELi256ELb0ELi2EL8MFMAType0EEvPKT_PKT0_S8_ifPKiSA_SA_iPKfiiiPfSD_PS3_PT2_iSC_SC_.kd
    .uniform_work_group_size: 1
    .uses_dynamic_stack: false
    .vgpr_count:     148
    .vgpr_spill_count: 0
    .wavefront_size: 32
    .workgroup_processor_mode: 1
  - .args:
      - .actual_access:  read_only
        .address_space:  global
        .offset:         0
        .size:           8
        .value_kind:     global_buffer
      - .actual_access:  read_only
        .address_space:  global
        .offset:         8
        .size:           8
        .value_kind:     global_buffer
      - .actual_access:  read_only
        .address_space:  global
        .offset:         16
        .size:           8
        .value_kind:     global_buffer
      - .offset:         24
        .size:           4
        .value_kind:     by_value
      - .offset:         28
        .size:           4
        .value_kind:     by_value
      - .actual_access:  read_only
        .address_space:  global
        .offset:         32
        .size:           8
        .value_kind:     global_buffer
      - .actual_access:  read_only
        .address_space:  global
        .offset:         40
        .size:           8
        .value_kind:     global_buffer
      - .actual_access:  read_only
        .address_space:  global
        .offset:         48
        .size:           8
        .value_kind:     global_buffer
      - .offset:         56
        .size:           4
        .value_kind:     by_value
      - .actual_access:  read_only
        .address_space:  global
        .offset:         64
        .size:           8
        .value_kind:     global_buffer
      - .offset:         72
        .size:           4
        .value_kind:     by_value
      - .offset:         76
        .size:           4
        .value_kind:     by_value
      - .offset:         80
        .size:           4
        .value_kind:     by_value
      - .actual_access:  write_only
        .address_space:  global
        .offset:         88
        .size:           8
        .value_kind:     global_buffer
      - .actual_access:  write_only
        .address_space:  global
        .offset:         96
        .size:           8
        .value_kind:     global_buffer
      - .actual_access:  write_only
        .address_space:  global
        .offset:         104
        .size:           8
        .value_kind:     global_buffer
      - .actual_access:  read_only
        .address_space:  global
        .offset:         112
        .size:           8
        .value_kind:     global_buffer
      - .offset:         120
        .size:           4
        .value_kind:     by_value
      - .address_space:  global
        .offset:         128
        .size:           8
        .value_kind:     global_buffer
      - .address_space:  global
        .offset:         136
        .size:           8
        .value_kind:     global_buffer
      - .offset:         144
        .size:           4
        .value_kind:     hidden_block_count_x
      - .offset:         148
        .size:           4
        .value_kind:     hidden_block_count_y
      - .offset:         152
        .size:           4
        .value_kind:     hidden_block_count_z
      - .offset:         156
        .size:           2
        .value_kind:     hidden_group_size_x
      - .offset:         158
        .size:           2
        .value_kind:     hidden_group_size_y
      - .offset:         160
        .size:           2
        .value_kind:     hidden_group_size_z
      - .offset:         162
        .size:           2
        .value_kind:     hidden_remainder_x
      - .offset:         164
        .size:           2
        .value_kind:     hidden_remainder_y
      - .offset:         166
        .size:           2
        .value_kind:     hidden_remainder_z
      - .offset:         184
        .size:           8
        .value_kind:     hidden_global_offset_x
      - .offset:         192
        .size:           8
        .value_kind:     hidden_global_offset_y
      - .offset:         200
        .size:           8
        .value_kind:     hidden_global_offset_z
      - .offset:         208
        .size:           2
        .value_kind:     hidden_grid_dims
    .group_segment_fixed_size: 17472
    .kernarg_segment_align: 8
    .kernarg_segment_size: 400
    .language:       OpenCL C
    .language_version:
      - 2
      - 0
    .max_flat_workgroup_size: 256
    .name:           _Z39paged_attention_ll4mi_QKV_mfma16_kernelIDF16_hLN4vllm18Fp8KVCacheDataTypeE1EhLi16ELi64ELi256ELb0ELi3EL8MFMAType0EEvPKT_PKT0_S8_ifPKiSA_SA_iPKfiiiPfSD_PS3_PT2_iSC_SC_
    .private_segment_fixed_size: 0
    .sgpr_count:     39
    .sgpr_spill_count: 0
    .symbol:         _Z39paged_attention_ll4mi_QKV_mfma16_kernelIDF16_hLN4vllm18Fp8KVCacheDataTypeE1EhLi16ELi64ELi256ELb0ELi3EL8MFMAType0EEvPKT_PKT0_S8_ifPKiSA_SA_iPKfiiiPfSD_PS3_PT2_iSC_SC_.kd
    .uniform_work_group_size: 1
    .uses_dynamic_stack: false
    .vgpr_count:     146
    .vgpr_spill_count: 0
    .wavefront_size: 32
    .workgroup_processor_mode: 1
  - .args:
      - .actual_access:  read_only
        .address_space:  global
        .offset:         0
        .size:           8
        .value_kind:     global_buffer
      - .actual_access:  read_only
        .address_space:  global
        .offset:         8
        .size:           8
        .value_kind:     global_buffer
      - .actual_access:  read_only
        .address_space:  global
        .offset:         16
        .size:           8
        .value_kind:     global_buffer
      - .offset:         24
        .size:           4
        .value_kind:     by_value
      - .offset:         28
        .size:           4
        .value_kind:     by_value
      - .actual_access:  read_only
        .address_space:  global
        .offset:         32
        .size:           8
        .value_kind:     global_buffer
      - .actual_access:  read_only
        .address_space:  global
        .offset:         40
        .size:           8
        .value_kind:     global_buffer
      - .actual_access:  read_only
        .address_space:  global
        .offset:         48
        .size:           8
        .value_kind:     global_buffer
      - .offset:         56
        .size:           4
        .value_kind:     by_value
      - .actual_access:  read_only
        .address_space:  global
        .offset:         64
        .size:           8
        .value_kind:     global_buffer
      - .offset:         72
        .size:           4
        .value_kind:     by_value
      - .offset:         76
        .size:           4
        .value_kind:     by_value
      - .offset:         80
        .size:           4
        .value_kind:     by_value
      - .actual_access:  write_only
        .address_space:  global
        .offset:         88
        .size:           8
        .value_kind:     global_buffer
      - .actual_access:  write_only
        .address_space:  global
        .offset:         96
        .size:           8
        .value_kind:     global_buffer
      - .actual_access:  write_only
        .address_space:  global
        .offset:         104
        .size:           8
        .value_kind:     global_buffer
      - .actual_access:  read_only
        .address_space:  global
        .offset:         112
        .size:           8
        .value_kind:     global_buffer
      - .offset:         120
        .size:           4
        .value_kind:     by_value
      - .address_space:  global
        .offset:         128
        .size:           8
        .value_kind:     global_buffer
      - .address_space:  global
        .offset:         136
        .size:           8
        .value_kind:     global_buffer
      - .offset:         144
        .size:           4
        .value_kind:     hidden_block_count_x
      - .offset:         148
        .size:           4
        .value_kind:     hidden_block_count_y
      - .offset:         152
        .size:           4
        .value_kind:     hidden_block_count_z
      - .offset:         156
        .size:           2
        .value_kind:     hidden_group_size_x
      - .offset:         158
        .size:           2
        .value_kind:     hidden_group_size_y
      - .offset:         160
        .size:           2
        .value_kind:     hidden_group_size_z
      - .offset:         162
        .size:           2
        .value_kind:     hidden_remainder_x
      - .offset:         164
        .size:           2
        .value_kind:     hidden_remainder_y
      - .offset:         166
        .size:           2
        .value_kind:     hidden_remainder_z
      - .offset:         184
        .size:           8
        .value_kind:     hidden_global_offset_x
      - .offset:         192
        .size:           8
        .value_kind:     hidden_global_offset_y
      - .offset:         200
        .size:           8
        .value_kind:     hidden_global_offset_z
      - .offset:         208
        .size:           2
        .value_kind:     hidden_grid_dims
    .group_segment_fixed_size: 17472
    .kernarg_segment_align: 8
    .kernarg_segment_size: 400
    .language:       OpenCL C
    .language_version:
      - 2
      - 0
    .max_flat_workgroup_size: 256
    .name:           _Z39paged_attention_ll4mi_QKV_mfma16_kernelIDF16_hLN4vllm18Fp8KVCacheDataTypeE1EhLi16ELi64ELi256ELb0ELi4EL8MFMAType0EEvPKT_PKT0_S8_ifPKiSA_SA_iPKfiiiPfSD_PS3_PT2_iSC_SC_
    .private_segment_fixed_size: 0
    .sgpr_count:     42
    .sgpr_spill_count: 0
    .symbol:         _Z39paged_attention_ll4mi_QKV_mfma16_kernelIDF16_hLN4vllm18Fp8KVCacheDataTypeE1EhLi16ELi64ELi256ELb0ELi4EL8MFMAType0EEvPKT_PKT0_S8_ifPKiSA_SA_iPKfiiiPfSD_PS3_PT2_iSC_SC_.kd
    .uniform_work_group_size: 1
    .uses_dynamic_stack: false
    .vgpr_count:     123
    .vgpr_spill_count: 0
    .wavefront_size: 32
    .workgroup_processor_mode: 1
  - .args:
      - .actual_access:  read_only
        .address_space:  global
        .offset:         0
        .size:           8
        .value_kind:     global_buffer
      - .actual_access:  read_only
        .address_space:  global
        .offset:         8
        .size:           8
        .value_kind:     global_buffer
      - .actual_access:  read_only
        .address_space:  global
        .offset:         16
        .size:           8
        .value_kind:     global_buffer
      - .offset:         24
        .size:           4
        .value_kind:     by_value
      - .offset:         28
        .size:           4
        .value_kind:     by_value
      - .actual_access:  read_only
        .address_space:  global
        .offset:         32
        .size:           8
        .value_kind:     global_buffer
      - .actual_access:  read_only
        .address_space:  global
        .offset:         40
        .size:           8
        .value_kind:     global_buffer
      - .actual_access:  read_only
        .address_space:  global
        .offset:         48
        .size:           8
        .value_kind:     global_buffer
      - .offset:         56
        .size:           4
        .value_kind:     by_value
      - .actual_access:  read_only
        .address_space:  global
        .offset:         64
        .size:           8
        .value_kind:     global_buffer
      - .offset:         72
        .size:           4
        .value_kind:     by_value
      - .offset:         76
        .size:           4
        .value_kind:     by_value
      - .offset:         80
        .size:           4
        .value_kind:     by_value
      - .actual_access:  write_only
        .address_space:  global
        .offset:         88
        .size:           8
        .value_kind:     global_buffer
      - .actual_access:  write_only
        .address_space:  global
        .offset:         96
        .size:           8
        .value_kind:     global_buffer
      - .actual_access:  write_only
        .address_space:  global
        .offset:         104
        .size:           8
        .value_kind:     global_buffer
      - .actual_access:  read_only
        .address_space:  global
        .offset:         112
        .size:           8
        .value_kind:     global_buffer
      - .offset:         120
        .size:           4
        .value_kind:     by_value
      - .address_space:  global
        .offset:         128
        .size:           8
        .value_kind:     global_buffer
      - .address_space:  global
        .offset:         136
        .size:           8
        .value_kind:     global_buffer
      - .offset:         144
        .size:           4
        .value_kind:     hidden_block_count_x
      - .offset:         148
        .size:           4
        .value_kind:     hidden_block_count_y
      - .offset:         152
        .size:           4
        .value_kind:     hidden_block_count_z
      - .offset:         156
        .size:           2
        .value_kind:     hidden_group_size_x
      - .offset:         158
        .size:           2
        .value_kind:     hidden_group_size_y
      - .offset:         160
        .size:           2
        .value_kind:     hidden_group_size_z
      - .offset:         162
        .size:           2
        .value_kind:     hidden_remainder_x
      - .offset:         164
        .size:           2
        .value_kind:     hidden_remainder_y
      - .offset:         166
        .size:           2
        .value_kind:     hidden_remainder_z
      - .offset:         184
        .size:           8
        .value_kind:     hidden_global_offset_x
      - .offset:         192
        .size:           8
        .value_kind:     hidden_global_offset_y
      - .offset:         200
        .size:           8
        .value_kind:     hidden_global_offset_z
      - .offset:         208
        .size:           2
        .value_kind:     hidden_grid_dims
    .group_segment_fixed_size: 17472
    .kernarg_segment_align: 8
    .kernarg_segment_size: 400
    .language:       OpenCL C
    .language_version:
      - 2
      - 0
    .max_flat_workgroup_size: 256
    .name:           _Z39paged_attention_ll4mi_QKV_mfma16_kernelIDF16_hLN4vllm18Fp8KVCacheDataTypeE1EDF16_Li16ELi64ELi256ELb1ELi5EL8MFMAType0EEvPKT_PKT0_S8_ifPKiSA_SA_iPKfiiiPfSD_PS3_PT2_iSC_SC_
    .private_segment_fixed_size: 0
    .sgpr_count:     39
    .sgpr_spill_count: 0
    .symbol:         _Z39paged_attention_ll4mi_QKV_mfma16_kernelIDF16_hLN4vllm18Fp8KVCacheDataTypeE1EDF16_Li16ELi64ELi256ELb1ELi5EL8MFMAType0EEvPKT_PKT0_S8_ifPKiSA_SA_iPKfiiiPfSD_PS3_PT2_iSC_SC_.kd
    .uniform_work_group_size: 1
    .uses_dynamic_stack: false
    .vgpr_count:     146
    .vgpr_spill_count: 0
    .wavefront_size: 32
    .workgroup_processor_mode: 1
  - .args:
      - .actual_access:  read_only
        .address_space:  global
        .offset:         0
        .size:           8
        .value_kind:     global_buffer
      - .actual_access:  read_only
        .address_space:  global
        .offset:         8
        .size:           8
        .value_kind:     global_buffer
      - .actual_access:  read_only
        .address_space:  global
        .offset:         16
        .size:           8
        .value_kind:     global_buffer
      - .offset:         24
        .size:           4
        .value_kind:     by_value
      - .offset:         28
        .size:           4
        .value_kind:     by_value
      - .actual_access:  read_only
        .address_space:  global
        .offset:         32
        .size:           8
        .value_kind:     global_buffer
      - .actual_access:  read_only
        .address_space:  global
        .offset:         40
        .size:           8
        .value_kind:     global_buffer
      - .actual_access:  read_only
        .address_space:  global
        .offset:         48
        .size:           8
        .value_kind:     global_buffer
      - .offset:         56
        .size:           4
        .value_kind:     by_value
      - .actual_access:  read_only
        .address_space:  global
        .offset:         64
        .size:           8
        .value_kind:     global_buffer
      - .offset:         72
        .size:           4
        .value_kind:     by_value
      - .offset:         76
        .size:           4
        .value_kind:     by_value
      - .offset:         80
        .size:           4
        .value_kind:     by_value
      - .actual_access:  write_only
        .address_space:  global
        .offset:         88
        .size:           8
        .value_kind:     global_buffer
      - .actual_access:  write_only
        .address_space:  global
        .offset:         96
        .size:           8
        .value_kind:     global_buffer
      - .actual_access:  write_only
        .address_space:  global
        .offset:         104
        .size:           8
        .value_kind:     global_buffer
      - .actual_access:  read_only
        .address_space:  global
        .offset:         112
        .size:           8
        .value_kind:     global_buffer
      - .offset:         120
        .size:           4
        .value_kind:     by_value
      - .address_space:  global
        .offset:         128
        .size:           8
        .value_kind:     global_buffer
      - .address_space:  global
        .offset:         136
        .size:           8
        .value_kind:     global_buffer
      - .offset:         144
        .size:           4
        .value_kind:     hidden_block_count_x
      - .offset:         148
        .size:           4
        .value_kind:     hidden_block_count_y
      - .offset:         152
        .size:           4
        .value_kind:     hidden_block_count_z
      - .offset:         156
        .size:           2
        .value_kind:     hidden_group_size_x
      - .offset:         158
        .size:           2
        .value_kind:     hidden_group_size_y
      - .offset:         160
        .size:           2
        .value_kind:     hidden_group_size_z
      - .offset:         162
        .size:           2
        .value_kind:     hidden_remainder_x
      - .offset:         164
        .size:           2
        .value_kind:     hidden_remainder_y
      - .offset:         166
        .size:           2
        .value_kind:     hidden_remainder_z
      - .offset:         184
        .size:           8
        .value_kind:     hidden_global_offset_x
      - .offset:         192
        .size:           8
        .value_kind:     hidden_global_offset_y
      - .offset:         200
        .size:           8
        .value_kind:     hidden_global_offset_z
      - .offset:         208
        .size:           2
        .value_kind:     hidden_grid_dims
    .group_segment_fixed_size: 17472
    .kernarg_segment_align: 8
    .kernarg_segment_size: 400
    .language:       OpenCL C
    .language_version:
      - 2
      - 0
    .max_flat_workgroup_size: 256
    .name:           _Z39paged_attention_ll4mi_QKV_mfma16_kernelIDF16_hLN4vllm18Fp8KVCacheDataTypeE1EDF16_Li16ELi64ELi256ELb1ELi6EL8MFMAType0EEvPKT_PKT0_S8_ifPKiSA_SA_iPKfiiiPfSD_PS3_PT2_iSC_SC_
    .private_segment_fixed_size: 0
    .sgpr_count:     38
    .sgpr_spill_count: 0
    .symbol:         _Z39paged_attention_ll4mi_QKV_mfma16_kernelIDF16_hLN4vllm18Fp8KVCacheDataTypeE1EDF16_Li16ELi64ELi256ELb1ELi6EL8MFMAType0EEvPKT_PKT0_S8_ifPKiSA_SA_iPKfiiiPfSD_PS3_PT2_iSC_SC_.kd
    .uniform_work_group_size: 1
    .uses_dynamic_stack: false
    .vgpr_count:     146
    .vgpr_spill_count: 0
    .wavefront_size: 32
    .workgroup_processor_mode: 1
  - .args:
      - .actual_access:  read_only
        .address_space:  global
        .offset:         0
        .size:           8
        .value_kind:     global_buffer
      - .actual_access:  read_only
        .address_space:  global
        .offset:         8
        .size:           8
        .value_kind:     global_buffer
      - .actual_access:  read_only
        .address_space:  global
        .offset:         16
        .size:           8
        .value_kind:     global_buffer
      - .offset:         24
        .size:           4
        .value_kind:     by_value
      - .offset:         28
        .size:           4
        .value_kind:     by_value
      - .actual_access:  read_only
        .address_space:  global
        .offset:         32
        .size:           8
        .value_kind:     global_buffer
      - .actual_access:  read_only
        .address_space:  global
        .offset:         40
        .size:           8
        .value_kind:     global_buffer
      - .actual_access:  read_only
        .address_space:  global
        .offset:         48
        .size:           8
        .value_kind:     global_buffer
      - .offset:         56
        .size:           4
        .value_kind:     by_value
      - .actual_access:  read_only
        .address_space:  global
        .offset:         64
        .size:           8
        .value_kind:     global_buffer
      - .offset:         72
        .size:           4
        .value_kind:     by_value
      - .offset:         76
        .size:           4
        .value_kind:     by_value
      - .offset:         80
        .size:           4
        .value_kind:     by_value
      - .actual_access:  write_only
        .address_space:  global
        .offset:         88
        .size:           8
        .value_kind:     global_buffer
      - .actual_access:  write_only
        .address_space:  global
        .offset:         96
        .size:           8
        .value_kind:     global_buffer
      - .actual_access:  write_only
        .address_space:  global
        .offset:         104
        .size:           8
        .value_kind:     global_buffer
      - .actual_access:  read_only
        .address_space:  global
        .offset:         112
        .size:           8
        .value_kind:     global_buffer
      - .offset:         120
        .size:           4
        .value_kind:     by_value
      - .address_space:  global
        .offset:         128
        .size:           8
        .value_kind:     global_buffer
      - .address_space:  global
        .offset:         136
        .size:           8
        .value_kind:     global_buffer
      - .offset:         144
        .size:           4
        .value_kind:     hidden_block_count_x
      - .offset:         148
        .size:           4
        .value_kind:     hidden_block_count_y
      - .offset:         152
        .size:           4
        .value_kind:     hidden_block_count_z
      - .offset:         156
        .size:           2
        .value_kind:     hidden_group_size_x
      - .offset:         158
        .size:           2
        .value_kind:     hidden_group_size_y
      - .offset:         160
        .size:           2
        .value_kind:     hidden_group_size_z
      - .offset:         162
        .size:           2
        .value_kind:     hidden_remainder_x
      - .offset:         164
        .size:           2
        .value_kind:     hidden_remainder_y
      - .offset:         166
        .size:           2
        .value_kind:     hidden_remainder_z
      - .offset:         184
        .size:           8
        .value_kind:     hidden_global_offset_x
      - .offset:         192
        .size:           8
        .value_kind:     hidden_global_offset_y
      - .offset:         200
        .size:           8
        .value_kind:     hidden_global_offset_z
      - .offset:         208
        .size:           2
        .value_kind:     hidden_grid_dims
    .group_segment_fixed_size: 17472
    .kernarg_segment_align: 8
    .kernarg_segment_size: 400
    .language:       OpenCL C
    .language_version:
      - 2
      - 0
    .max_flat_workgroup_size: 256
    .name:           _Z39paged_attention_ll4mi_QKV_mfma16_kernelIDF16_hLN4vllm18Fp8KVCacheDataTypeE1EDF16_Li16ELi64ELi256ELb1ELi7EL8MFMAType0EEvPKT_PKT0_S8_ifPKiSA_SA_iPKfiiiPfSD_PS3_PT2_iSC_SC_
    .private_segment_fixed_size: 0
    .sgpr_count:     39
    .sgpr_spill_count: 0
    .symbol:         _Z39paged_attention_ll4mi_QKV_mfma16_kernelIDF16_hLN4vllm18Fp8KVCacheDataTypeE1EDF16_Li16ELi64ELi256ELb1ELi7EL8MFMAType0EEvPKT_PKT0_S8_ifPKiSA_SA_iPKfiiiPfSD_PS3_PT2_iSC_SC_.kd
    .uniform_work_group_size: 1
    .uses_dynamic_stack: false
    .vgpr_count:     146
    .vgpr_spill_count: 0
    .wavefront_size: 32
    .workgroup_processor_mode: 1
  - .args:
      - .actual_access:  read_only
        .address_space:  global
        .offset:         0
        .size:           8
        .value_kind:     global_buffer
      - .actual_access:  read_only
        .address_space:  global
        .offset:         8
        .size:           8
        .value_kind:     global_buffer
      - .actual_access:  read_only
        .address_space:  global
        .offset:         16
        .size:           8
        .value_kind:     global_buffer
      - .offset:         24
        .size:           4
        .value_kind:     by_value
      - .offset:         28
        .size:           4
        .value_kind:     by_value
      - .actual_access:  read_only
        .address_space:  global
        .offset:         32
        .size:           8
        .value_kind:     global_buffer
      - .actual_access:  read_only
        .address_space:  global
        .offset:         40
        .size:           8
        .value_kind:     global_buffer
      - .actual_access:  read_only
        .address_space:  global
        .offset:         48
        .size:           8
        .value_kind:     global_buffer
      - .offset:         56
        .size:           4
        .value_kind:     by_value
      - .actual_access:  read_only
        .address_space:  global
        .offset:         64
        .size:           8
        .value_kind:     global_buffer
      - .offset:         72
        .size:           4
        .value_kind:     by_value
      - .offset:         76
        .size:           4
        .value_kind:     by_value
      - .offset:         80
        .size:           4
        .value_kind:     by_value
      - .actual_access:  write_only
        .address_space:  global
        .offset:         88
        .size:           8
        .value_kind:     global_buffer
      - .actual_access:  write_only
        .address_space:  global
        .offset:         96
        .size:           8
        .value_kind:     global_buffer
      - .actual_access:  write_only
        .address_space:  global
        .offset:         104
        .size:           8
        .value_kind:     global_buffer
      - .actual_access:  read_only
        .address_space:  global
        .offset:         112
        .size:           8
        .value_kind:     global_buffer
      - .offset:         120
        .size:           4
        .value_kind:     by_value
      - .address_space:  global
        .offset:         128
        .size:           8
        .value_kind:     global_buffer
      - .address_space:  global
        .offset:         136
        .size:           8
        .value_kind:     global_buffer
      - .offset:         144
        .size:           4
        .value_kind:     hidden_block_count_x
      - .offset:         148
        .size:           4
        .value_kind:     hidden_block_count_y
      - .offset:         152
        .size:           4
        .value_kind:     hidden_block_count_z
      - .offset:         156
        .size:           2
        .value_kind:     hidden_group_size_x
      - .offset:         158
        .size:           2
        .value_kind:     hidden_group_size_y
      - .offset:         160
        .size:           2
        .value_kind:     hidden_group_size_z
      - .offset:         162
        .size:           2
        .value_kind:     hidden_remainder_x
      - .offset:         164
        .size:           2
        .value_kind:     hidden_remainder_y
      - .offset:         166
        .size:           2
        .value_kind:     hidden_remainder_z
      - .offset:         184
        .size:           8
        .value_kind:     hidden_global_offset_x
      - .offset:         192
        .size:           8
        .value_kind:     hidden_global_offset_y
      - .offset:         200
        .size:           8
        .value_kind:     hidden_global_offset_z
      - .offset:         208
        .size:           2
        .value_kind:     hidden_grid_dims
    .group_segment_fixed_size: 17472
    .kernarg_segment_align: 8
    .kernarg_segment_size: 400
    .language:       OpenCL C
    .language_version:
      - 2
      - 0
    .max_flat_workgroup_size: 256
    .name:           _Z39paged_attention_ll4mi_QKV_mfma16_kernelIDF16_hLN4vllm18Fp8KVCacheDataTypeE1EDF16_Li16ELi64ELi256ELb1ELi8EL8MFMAType0EEvPKT_PKT0_S8_ifPKiSA_SA_iPKfiiiPfSD_PS3_PT2_iSC_SC_
    .private_segment_fixed_size: 0
    .sgpr_count:     42
    .sgpr_spill_count: 0
    .symbol:         _Z39paged_attention_ll4mi_QKV_mfma16_kernelIDF16_hLN4vllm18Fp8KVCacheDataTypeE1EDF16_Li16ELi64ELi256ELb1ELi8EL8MFMAType0EEvPKT_PKT0_S8_ifPKiSA_SA_iPKfiiiPfSD_PS3_PT2_iSC_SC_.kd
    .uniform_work_group_size: 1
    .uses_dynamic_stack: false
    .vgpr_count:     123
    .vgpr_spill_count: 0
    .wavefront_size: 32
    .workgroup_processor_mode: 1
  - .args:
      - .actual_access:  read_only
        .address_space:  global
        .offset:         0
        .size:           8
        .value_kind:     global_buffer
      - .actual_access:  read_only
        .address_space:  global
        .offset:         8
        .size:           8
        .value_kind:     global_buffer
      - .actual_access:  read_only
        .address_space:  global
        .offset:         16
        .size:           8
        .value_kind:     global_buffer
      - .offset:         24
        .size:           4
        .value_kind:     by_value
      - .offset:         28
        .size:           4
        .value_kind:     by_value
      - .actual_access:  read_only
        .address_space:  global
        .offset:         32
        .size:           8
        .value_kind:     global_buffer
      - .actual_access:  read_only
        .address_space:  global
        .offset:         40
        .size:           8
        .value_kind:     global_buffer
      - .actual_access:  read_only
        .address_space:  global
        .offset:         48
        .size:           8
        .value_kind:     global_buffer
      - .offset:         56
        .size:           4
        .value_kind:     by_value
      - .actual_access:  read_only
        .address_space:  global
        .offset:         64
        .size:           8
        .value_kind:     global_buffer
      - .offset:         72
        .size:           4
        .value_kind:     by_value
      - .offset:         76
        .size:           4
        .value_kind:     by_value
      - .offset:         80
        .size:           4
        .value_kind:     by_value
      - .actual_access:  write_only
        .address_space:  global
        .offset:         88
        .size:           8
        .value_kind:     global_buffer
      - .actual_access:  write_only
        .address_space:  global
        .offset:         96
        .size:           8
        .value_kind:     global_buffer
      - .actual_access:  write_only
        .address_space:  global
        .offset:         104
        .size:           8
        .value_kind:     global_buffer
      - .actual_access:  read_only
        .address_space:  global
        .offset:         112
        .size:           8
        .value_kind:     global_buffer
      - .offset:         120
        .size:           4
        .value_kind:     by_value
      - .address_space:  global
        .offset:         128
        .size:           8
        .value_kind:     global_buffer
      - .address_space:  global
        .offset:         136
        .size:           8
        .value_kind:     global_buffer
      - .offset:         144
        .size:           4
        .value_kind:     hidden_block_count_x
      - .offset:         148
        .size:           4
        .value_kind:     hidden_block_count_y
      - .offset:         152
        .size:           4
        .value_kind:     hidden_block_count_z
      - .offset:         156
        .size:           2
        .value_kind:     hidden_group_size_x
      - .offset:         158
        .size:           2
        .value_kind:     hidden_group_size_y
      - .offset:         160
        .size:           2
        .value_kind:     hidden_group_size_z
      - .offset:         162
        .size:           2
        .value_kind:     hidden_remainder_x
      - .offset:         164
        .size:           2
        .value_kind:     hidden_remainder_y
      - .offset:         166
        .size:           2
        .value_kind:     hidden_remainder_z
      - .offset:         184
        .size:           8
        .value_kind:     hidden_global_offset_x
      - .offset:         192
        .size:           8
        .value_kind:     hidden_global_offset_y
      - .offset:         200
        .size:           8
        .value_kind:     hidden_global_offset_z
      - .offset:         208
        .size:           2
        .value_kind:     hidden_grid_dims
    .group_segment_fixed_size: 17472
    .kernarg_segment_align: 8
    .kernarg_segment_size: 400
    .language:       OpenCL C
    .language_version:
      - 2
      - 0
    .max_flat_workgroup_size: 256
    .name:           _Z39paged_attention_ll4mi_QKV_mfma16_kernelIDF16_hLN4vllm18Fp8KVCacheDataTypeE1EDF16_Li16ELi64ELi256ELb1ELi9EL8MFMAType0EEvPKT_PKT0_S8_ifPKiSA_SA_iPKfiiiPfSD_PS3_PT2_iSC_SC_
    .private_segment_fixed_size: 0
    .sgpr_count:     39
    .sgpr_spill_count: 0
    .symbol:         _Z39paged_attention_ll4mi_QKV_mfma16_kernelIDF16_hLN4vllm18Fp8KVCacheDataTypeE1EDF16_Li16ELi64ELi256ELb1ELi9EL8MFMAType0EEvPKT_PKT0_S8_ifPKiSA_SA_iPKfiiiPfSD_PS3_PT2_iSC_SC_.kd
    .uniform_work_group_size: 1
    .uses_dynamic_stack: false
    .vgpr_count:     146
    .vgpr_spill_count: 0
    .wavefront_size: 32
    .workgroup_processor_mode: 1
  - .args:
      - .actual_access:  read_only
        .address_space:  global
        .offset:         0
        .size:           8
        .value_kind:     global_buffer
      - .actual_access:  read_only
        .address_space:  global
        .offset:         8
        .size:           8
        .value_kind:     global_buffer
      - .actual_access:  read_only
        .address_space:  global
        .offset:         16
        .size:           8
        .value_kind:     global_buffer
      - .offset:         24
        .size:           4
        .value_kind:     by_value
      - .offset:         28
        .size:           4
        .value_kind:     by_value
      - .actual_access:  read_only
        .address_space:  global
        .offset:         32
        .size:           8
        .value_kind:     global_buffer
      - .actual_access:  read_only
        .address_space:  global
        .offset:         40
        .size:           8
        .value_kind:     global_buffer
      - .actual_access:  read_only
        .address_space:  global
        .offset:         48
        .size:           8
        .value_kind:     global_buffer
      - .offset:         56
        .size:           4
        .value_kind:     by_value
      - .actual_access:  read_only
        .address_space:  global
        .offset:         64
        .size:           8
        .value_kind:     global_buffer
      - .offset:         72
        .size:           4
        .value_kind:     by_value
      - .offset:         76
        .size:           4
        .value_kind:     by_value
      - .offset:         80
        .size:           4
        .value_kind:     by_value
      - .actual_access:  write_only
        .address_space:  global
        .offset:         88
        .size:           8
        .value_kind:     global_buffer
      - .actual_access:  write_only
        .address_space:  global
        .offset:         96
        .size:           8
        .value_kind:     global_buffer
      - .actual_access:  write_only
        .address_space:  global
        .offset:         104
        .size:           8
        .value_kind:     global_buffer
      - .actual_access:  read_only
        .address_space:  global
        .offset:         112
        .size:           8
        .value_kind:     global_buffer
      - .offset:         120
        .size:           4
        .value_kind:     by_value
      - .address_space:  global
        .offset:         128
        .size:           8
        .value_kind:     global_buffer
      - .address_space:  global
        .offset:         136
        .size:           8
        .value_kind:     global_buffer
      - .offset:         144
        .size:           4
        .value_kind:     hidden_block_count_x
      - .offset:         148
        .size:           4
        .value_kind:     hidden_block_count_y
      - .offset:         152
        .size:           4
        .value_kind:     hidden_block_count_z
      - .offset:         156
        .size:           2
        .value_kind:     hidden_group_size_x
      - .offset:         158
        .size:           2
        .value_kind:     hidden_group_size_y
      - .offset:         160
        .size:           2
        .value_kind:     hidden_group_size_z
      - .offset:         162
        .size:           2
        .value_kind:     hidden_remainder_x
      - .offset:         164
        .size:           2
        .value_kind:     hidden_remainder_y
      - .offset:         166
        .size:           2
        .value_kind:     hidden_remainder_z
      - .offset:         184
        .size:           8
        .value_kind:     hidden_global_offset_x
      - .offset:         192
        .size:           8
        .value_kind:     hidden_global_offset_y
      - .offset:         200
        .size:           8
        .value_kind:     hidden_global_offset_z
      - .offset:         208
        .size:           2
        .value_kind:     hidden_grid_dims
    .group_segment_fixed_size: 17472
    .kernarg_segment_align: 8
    .kernarg_segment_size: 400
    .language:       OpenCL C
    .language_version:
      - 2
      - 0
    .max_flat_workgroup_size: 256
    .name:           _Z39paged_attention_ll4mi_QKV_mfma16_kernelIDF16_hLN4vllm18Fp8KVCacheDataTypeE1EDF16_Li16ELi64ELi256ELb1ELi10EL8MFMAType0EEvPKT_PKT0_S8_ifPKiSA_SA_iPKfiiiPfSD_PS3_PT2_iSC_SC_
    .private_segment_fixed_size: 0
    .sgpr_count:     38
    .sgpr_spill_count: 0
    .symbol:         _Z39paged_attention_ll4mi_QKV_mfma16_kernelIDF16_hLN4vllm18Fp8KVCacheDataTypeE1EDF16_Li16ELi64ELi256ELb1ELi10EL8MFMAType0EEvPKT_PKT0_S8_ifPKiSA_SA_iPKfiiiPfSD_PS3_PT2_iSC_SC_.kd
    .uniform_work_group_size: 1
    .uses_dynamic_stack: false
    .vgpr_count:     146
    .vgpr_spill_count: 0
    .wavefront_size: 32
    .workgroup_processor_mode: 1
  - .args:
      - .actual_access:  read_only
        .address_space:  global
        .offset:         0
        .size:           8
        .value_kind:     global_buffer
      - .actual_access:  read_only
        .address_space:  global
        .offset:         8
        .size:           8
        .value_kind:     global_buffer
      - .actual_access:  read_only
        .address_space:  global
        .offset:         16
        .size:           8
        .value_kind:     global_buffer
      - .offset:         24
        .size:           4
        .value_kind:     by_value
      - .offset:         28
        .size:           4
        .value_kind:     by_value
      - .actual_access:  read_only
        .address_space:  global
        .offset:         32
        .size:           8
        .value_kind:     global_buffer
      - .actual_access:  read_only
        .address_space:  global
        .offset:         40
        .size:           8
        .value_kind:     global_buffer
      - .actual_access:  read_only
        .address_space:  global
        .offset:         48
        .size:           8
        .value_kind:     global_buffer
      - .offset:         56
        .size:           4
        .value_kind:     by_value
      - .actual_access:  read_only
        .address_space:  global
        .offset:         64
        .size:           8
        .value_kind:     global_buffer
      - .offset:         72
        .size:           4
        .value_kind:     by_value
      - .offset:         76
        .size:           4
        .value_kind:     by_value
      - .offset:         80
        .size:           4
        .value_kind:     by_value
      - .actual_access:  write_only
        .address_space:  global
        .offset:         88
        .size:           8
        .value_kind:     global_buffer
      - .actual_access:  write_only
        .address_space:  global
        .offset:         96
        .size:           8
        .value_kind:     global_buffer
      - .actual_access:  write_only
        .address_space:  global
        .offset:         104
        .size:           8
        .value_kind:     global_buffer
      - .actual_access:  read_only
        .address_space:  global
        .offset:         112
        .size:           8
        .value_kind:     global_buffer
      - .offset:         120
        .size:           4
        .value_kind:     by_value
      - .address_space:  global
        .offset:         128
        .size:           8
        .value_kind:     global_buffer
      - .address_space:  global
        .offset:         136
        .size:           8
        .value_kind:     global_buffer
      - .offset:         144
        .size:           4
        .value_kind:     hidden_block_count_x
      - .offset:         148
        .size:           4
        .value_kind:     hidden_block_count_y
      - .offset:         152
        .size:           4
        .value_kind:     hidden_block_count_z
      - .offset:         156
        .size:           2
        .value_kind:     hidden_group_size_x
      - .offset:         158
        .size:           2
        .value_kind:     hidden_group_size_y
      - .offset:         160
        .size:           2
        .value_kind:     hidden_group_size_z
      - .offset:         162
        .size:           2
        .value_kind:     hidden_remainder_x
      - .offset:         164
        .size:           2
        .value_kind:     hidden_remainder_y
      - .offset:         166
        .size:           2
        .value_kind:     hidden_remainder_z
      - .offset:         184
        .size:           8
        .value_kind:     hidden_global_offset_x
      - .offset:         192
        .size:           8
        .value_kind:     hidden_global_offset_y
      - .offset:         200
        .size:           8
        .value_kind:     hidden_global_offset_z
      - .offset:         208
        .size:           2
        .value_kind:     hidden_grid_dims
    .group_segment_fixed_size: 17472
    .kernarg_segment_align: 8
    .kernarg_segment_size: 400
    .language:       OpenCL C
    .language_version:
      - 2
      - 0
    .max_flat_workgroup_size: 256
    .name:           _Z39paged_attention_ll4mi_QKV_mfma16_kernelIDF16_hLN4vllm18Fp8KVCacheDataTypeE1EDF16_Li16ELi64ELi256ELb1ELi11EL8MFMAType0EEvPKT_PKT0_S8_ifPKiSA_SA_iPKfiiiPfSD_PS3_PT2_iSC_SC_
    .private_segment_fixed_size: 0
    .sgpr_count:     39
    .sgpr_spill_count: 0
    .symbol:         _Z39paged_attention_ll4mi_QKV_mfma16_kernelIDF16_hLN4vllm18Fp8KVCacheDataTypeE1EDF16_Li16ELi64ELi256ELb1ELi11EL8MFMAType0EEvPKT_PKT0_S8_ifPKiSA_SA_iPKfiiiPfSD_PS3_PT2_iSC_SC_.kd
    .uniform_work_group_size: 1
    .uses_dynamic_stack: false
    .vgpr_count:     146
    .vgpr_spill_count: 0
    .wavefront_size: 32
    .workgroup_processor_mode: 1
  - .args:
      - .actual_access:  read_only
        .address_space:  global
        .offset:         0
        .size:           8
        .value_kind:     global_buffer
      - .actual_access:  read_only
        .address_space:  global
        .offset:         8
        .size:           8
        .value_kind:     global_buffer
      - .actual_access:  read_only
        .address_space:  global
        .offset:         16
        .size:           8
        .value_kind:     global_buffer
      - .offset:         24
        .size:           4
        .value_kind:     by_value
      - .offset:         28
        .size:           4
        .value_kind:     by_value
      - .actual_access:  read_only
        .address_space:  global
        .offset:         32
        .size:           8
        .value_kind:     global_buffer
      - .actual_access:  read_only
        .address_space:  global
        .offset:         40
        .size:           8
        .value_kind:     global_buffer
      - .actual_access:  read_only
        .address_space:  global
        .offset:         48
        .size:           8
        .value_kind:     global_buffer
      - .offset:         56
        .size:           4
        .value_kind:     by_value
      - .actual_access:  read_only
        .address_space:  global
        .offset:         64
        .size:           8
        .value_kind:     global_buffer
      - .offset:         72
        .size:           4
        .value_kind:     by_value
      - .offset:         76
        .size:           4
        .value_kind:     by_value
      - .offset:         80
        .size:           4
        .value_kind:     by_value
      - .actual_access:  write_only
        .address_space:  global
        .offset:         88
        .size:           8
        .value_kind:     global_buffer
      - .actual_access:  write_only
        .address_space:  global
        .offset:         96
        .size:           8
        .value_kind:     global_buffer
      - .actual_access:  write_only
        .address_space:  global
        .offset:         104
        .size:           8
        .value_kind:     global_buffer
      - .actual_access:  read_only
        .address_space:  global
        .offset:         112
        .size:           8
        .value_kind:     global_buffer
      - .offset:         120
        .size:           4
        .value_kind:     by_value
      - .address_space:  global
        .offset:         128
        .size:           8
        .value_kind:     global_buffer
      - .address_space:  global
        .offset:         136
        .size:           8
        .value_kind:     global_buffer
      - .offset:         144
        .size:           4
        .value_kind:     hidden_block_count_x
      - .offset:         148
        .size:           4
        .value_kind:     hidden_block_count_y
      - .offset:         152
        .size:           4
        .value_kind:     hidden_block_count_z
      - .offset:         156
        .size:           2
        .value_kind:     hidden_group_size_x
      - .offset:         158
        .size:           2
        .value_kind:     hidden_group_size_y
      - .offset:         160
        .size:           2
        .value_kind:     hidden_group_size_z
      - .offset:         162
        .size:           2
        .value_kind:     hidden_remainder_x
      - .offset:         164
        .size:           2
        .value_kind:     hidden_remainder_y
      - .offset:         166
        .size:           2
        .value_kind:     hidden_remainder_z
      - .offset:         184
        .size:           8
        .value_kind:     hidden_global_offset_x
      - .offset:         192
        .size:           8
        .value_kind:     hidden_global_offset_y
      - .offset:         200
        .size:           8
        .value_kind:     hidden_global_offset_z
      - .offset:         208
        .size:           2
        .value_kind:     hidden_grid_dims
    .group_segment_fixed_size: 17472
    .kernarg_segment_align: 8
    .kernarg_segment_size: 400
    .language:       OpenCL C
    .language_version:
      - 2
      - 0
    .max_flat_workgroup_size: 256
    .name:           _Z39paged_attention_ll4mi_QKV_mfma16_kernelIDF16_hLN4vllm18Fp8KVCacheDataTypeE1EDF16_Li16ELi64ELi256ELb1ELi12EL8MFMAType0EEvPKT_PKT0_S8_ifPKiSA_SA_iPKfiiiPfSD_PS3_PT2_iSC_SC_
    .private_segment_fixed_size: 0
    .sgpr_count:     38
    .sgpr_spill_count: 0
    .symbol:         _Z39paged_attention_ll4mi_QKV_mfma16_kernelIDF16_hLN4vllm18Fp8KVCacheDataTypeE1EDF16_Li16ELi64ELi256ELb1ELi12EL8MFMAType0EEvPKT_PKT0_S8_ifPKiSA_SA_iPKfiiiPfSD_PS3_PT2_iSC_SC_.kd
    .uniform_work_group_size: 1
    .uses_dynamic_stack: false
    .vgpr_count:     146
    .vgpr_spill_count: 0
    .wavefront_size: 32
    .workgroup_processor_mode: 1
  - .args:
      - .actual_access:  read_only
        .address_space:  global
        .offset:         0
        .size:           8
        .value_kind:     global_buffer
      - .actual_access:  read_only
        .address_space:  global
        .offset:         8
        .size:           8
        .value_kind:     global_buffer
      - .actual_access:  read_only
        .address_space:  global
        .offset:         16
        .size:           8
        .value_kind:     global_buffer
      - .offset:         24
        .size:           4
        .value_kind:     by_value
      - .offset:         28
        .size:           4
        .value_kind:     by_value
      - .actual_access:  read_only
        .address_space:  global
        .offset:         32
        .size:           8
        .value_kind:     global_buffer
      - .actual_access:  read_only
        .address_space:  global
        .offset:         40
        .size:           8
        .value_kind:     global_buffer
      - .actual_access:  read_only
        .address_space:  global
        .offset:         48
        .size:           8
        .value_kind:     global_buffer
      - .offset:         56
        .size:           4
        .value_kind:     by_value
      - .actual_access:  read_only
        .address_space:  global
        .offset:         64
        .size:           8
        .value_kind:     global_buffer
      - .offset:         72
        .size:           4
        .value_kind:     by_value
      - .offset:         76
        .size:           4
        .value_kind:     by_value
      - .offset:         80
        .size:           4
        .value_kind:     by_value
      - .actual_access:  write_only
        .address_space:  global
        .offset:         88
        .size:           8
        .value_kind:     global_buffer
      - .actual_access:  write_only
        .address_space:  global
        .offset:         96
        .size:           8
        .value_kind:     global_buffer
      - .actual_access:  write_only
        .address_space:  global
        .offset:         104
        .size:           8
        .value_kind:     global_buffer
      - .actual_access:  read_only
        .address_space:  global
        .offset:         112
        .size:           8
        .value_kind:     global_buffer
      - .offset:         120
        .size:           4
        .value_kind:     by_value
      - .address_space:  global
        .offset:         128
        .size:           8
        .value_kind:     global_buffer
      - .address_space:  global
        .offset:         136
        .size:           8
        .value_kind:     global_buffer
      - .offset:         144
        .size:           4
        .value_kind:     hidden_block_count_x
      - .offset:         148
        .size:           4
        .value_kind:     hidden_block_count_y
      - .offset:         152
        .size:           4
        .value_kind:     hidden_block_count_z
      - .offset:         156
        .size:           2
        .value_kind:     hidden_group_size_x
      - .offset:         158
        .size:           2
        .value_kind:     hidden_group_size_y
      - .offset:         160
        .size:           2
        .value_kind:     hidden_group_size_z
      - .offset:         162
        .size:           2
        .value_kind:     hidden_remainder_x
      - .offset:         164
        .size:           2
        .value_kind:     hidden_remainder_y
      - .offset:         166
        .size:           2
        .value_kind:     hidden_remainder_z
      - .offset:         184
        .size:           8
        .value_kind:     hidden_global_offset_x
      - .offset:         192
        .size:           8
        .value_kind:     hidden_global_offset_y
      - .offset:         200
        .size:           8
        .value_kind:     hidden_global_offset_z
      - .offset:         208
        .size:           2
        .value_kind:     hidden_grid_dims
    .group_segment_fixed_size: 17472
    .kernarg_segment_align: 8
    .kernarg_segment_size: 400
    .language:       OpenCL C
    .language_version:
      - 2
      - 0
    .max_flat_workgroup_size: 256
    .name:           _Z39paged_attention_ll4mi_QKV_mfma16_kernelIDF16_hLN4vllm18Fp8KVCacheDataTypeE1EDF16_Li16ELi64ELi256ELb1ELi13EL8MFMAType0EEvPKT_PKT0_S8_ifPKiSA_SA_iPKfiiiPfSD_PS3_PT2_iSC_SC_
    .private_segment_fixed_size: 0
    .sgpr_count:     39
    .sgpr_spill_count: 0
    .symbol:         _Z39paged_attention_ll4mi_QKV_mfma16_kernelIDF16_hLN4vllm18Fp8KVCacheDataTypeE1EDF16_Li16ELi64ELi256ELb1ELi13EL8MFMAType0EEvPKT_PKT0_S8_ifPKiSA_SA_iPKfiiiPfSD_PS3_PT2_iSC_SC_.kd
    .uniform_work_group_size: 1
    .uses_dynamic_stack: false
    .vgpr_count:     146
    .vgpr_spill_count: 0
    .wavefront_size: 32
    .workgroup_processor_mode: 1
  - .args:
      - .actual_access:  read_only
        .address_space:  global
        .offset:         0
        .size:           8
        .value_kind:     global_buffer
      - .actual_access:  read_only
        .address_space:  global
        .offset:         8
        .size:           8
        .value_kind:     global_buffer
      - .actual_access:  read_only
        .address_space:  global
        .offset:         16
        .size:           8
        .value_kind:     global_buffer
      - .offset:         24
        .size:           4
        .value_kind:     by_value
      - .offset:         28
        .size:           4
        .value_kind:     by_value
      - .actual_access:  read_only
        .address_space:  global
        .offset:         32
        .size:           8
        .value_kind:     global_buffer
      - .actual_access:  read_only
        .address_space:  global
        .offset:         40
        .size:           8
        .value_kind:     global_buffer
      - .actual_access:  read_only
        .address_space:  global
        .offset:         48
        .size:           8
        .value_kind:     global_buffer
      - .offset:         56
        .size:           4
        .value_kind:     by_value
      - .actual_access:  read_only
        .address_space:  global
        .offset:         64
        .size:           8
        .value_kind:     global_buffer
      - .offset:         72
        .size:           4
        .value_kind:     by_value
      - .offset:         76
        .size:           4
        .value_kind:     by_value
      - .offset:         80
        .size:           4
        .value_kind:     by_value
      - .actual_access:  write_only
        .address_space:  global
        .offset:         88
        .size:           8
        .value_kind:     global_buffer
      - .actual_access:  write_only
        .address_space:  global
        .offset:         96
        .size:           8
        .value_kind:     global_buffer
      - .actual_access:  write_only
        .address_space:  global
        .offset:         104
        .size:           8
        .value_kind:     global_buffer
      - .actual_access:  read_only
        .address_space:  global
        .offset:         112
        .size:           8
        .value_kind:     global_buffer
      - .offset:         120
        .size:           4
        .value_kind:     by_value
      - .address_space:  global
        .offset:         128
        .size:           8
        .value_kind:     global_buffer
      - .address_space:  global
        .offset:         136
        .size:           8
        .value_kind:     global_buffer
      - .offset:         144
        .size:           4
        .value_kind:     hidden_block_count_x
      - .offset:         148
        .size:           4
        .value_kind:     hidden_block_count_y
      - .offset:         152
        .size:           4
        .value_kind:     hidden_block_count_z
      - .offset:         156
        .size:           2
        .value_kind:     hidden_group_size_x
      - .offset:         158
        .size:           2
        .value_kind:     hidden_group_size_y
      - .offset:         160
        .size:           2
        .value_kind:     hidden_group_size_z
      - .offset:         162
        .size:           2
        .value_kind:     hidden_remainder_x
      - .offset:         164
        .size:           2
        .value_kind:     hidden_remainder_y
      - .offset:         166
        .size:           2
        .value_kind:     hidden_remainder_z
      - .offset:         184
        .size:           8
        .value_kind:     hidden_global_offset_x
      - .offset:         192
        .size:           8
        .value_kind:     hidden_global_offset_y
      - .offset:         200
        .size:           8
        .value_kind:     hidden_global_offset_z
      - .offset:         208
        .size:           2
        .value_kind:     hidden_grid_dims
    .group_segment_fixed_size: 17472
    .kernarg_segment_align: 8
    .kernarg_segment_size: 400
    .language:       OpenCL C
    .language_version:
      - 2
      - 0
    .max_flat_workgroup_size: 256
    .name:           _Z39paged_attention_ll4mi_QKV_mfma16_kernelIDF16_hLN4vllm18Fp8KVCacheDataTypeE1EDF16_Li16ELi64ELi256ELb1ELi14EL8MFMAType0EEvPKT_PKT0_S8_ifPKiSA_SA_iPKfiiiPfSD_PS3_PT2_iSC_SC_
    .private_segment_fixed_size: 0
    .sgpr_count:     38
    .sgpr_spill_count: 0
    .symbol:         _Z39paged_attention_ll4mi_QKV_mfma16_kernelIDF16_hLN4vllm18Fp8KVCacheDataTypeE1EDF16_Li16ELi64ELi256ELb1ELi14EL8MFMAType0EEvPKT_PKT0_S8_ifPKiSA_SA_iPKfiiiPfSD_PS3_PT2_iSC_SC_.kd
    .uniform_work_group_size: 1
    .uses_dynamic_stack: false
    .vgpr_count:     146
    .vgpr_spill_count: 0
    .wavefront_size: 32
    .workgroup_processor_mode: 1
  - .args:
      - .actual_access:  read_only
        .address_space:  global
        .offset:         0
        .size:           8
        .value_kind:     global_buffer
      - .actual_access:  read_only
        .address_space:  global
        .offset:         8
        .size:           8
        .value_kind:     global_buffer
      - .actual_access:  read_only
        .address_space:  global
        .offset:         16
        .size:           8
        .value_kind:     global_buffer
      - .offset:         24
        .size:           4
        .value_kind:     by_value
      - .offset:         28
        .size:           4
        .value_kind:     by_value
      - .actual_access:  read_only
        .address_space:  global
        .offset:         32
        .size:           8
        .value_kind:     global_buffer
      - .actual_access:  read_only
        .address_space:  global
        .offset:         40
        .size:           8
        .value_kind:     global_buffer
      - .actual_access:  read_only
        .address_space:  global
        .offset:         48
        .size:           8
        .value_kind:     global_buffer
      - .offset:         56
        .size:           4
        .value_kind:     by_value
      - .actual_access:  read_only
        .address_space:  global
        .offset:         64
        .size:           8
        .value_kind:     global_buffer
      - .offset:         72
        .size:           4
        .value_kind:     by_value
      - .offset:         76
        .size:           4
        .value_kind:     by_value
      - .offset:         80
        .size:           4
        .value_kind:     by_value
      - .actual_access:  write_only
        .address_space:  global
        .offset:         88
        .size:           8
        .value_kind:     global_buffer
      - .actual_access:  write_only
        .address_space:  global
        .offset:         96
        .size:           8
        .value_kind:     global_buffer
      - .actual_access:  write_only
        .address_space:  global
        .offset:         104
        .size:           8
        .value_kind:     global_buffer
      - .actual_access:  read_only
        .address_space:  global
        .offset:         112
        .size:           8
        .value_kind:     global_buffer
      - .offset:         120
        .size:           4
        .value_kind:     by_value
      - .address_space:  global
        .offset:         128
        .size:           8
        .value_kind:     global_buffer
      - .address_space:  global
        .offset:         136
        .size:           8
        .value_kind:     global_buffer
      - .offset:         144
        .size:           4
        .value_kind:     hidden_block_count_x
      - .offset:         148
        .size:           4
        .value_kind:     hidden_block_count_y
      - .offset:         152
        .size:           4
        .value_kind:     hidden_block_count_z
      - .offset:         156
        .size:           2
        .value_kind:     hidden_group_size_x
      - .offset:         158
        .size:           2
        .value_kind:     hidden_group_size_y
      - .offset:         160
        .size:           2
        .value_kind:     hidden_group_size_z
      - .offset:         162
        .size:           2
        .value_kind:     hidden_remainder_x
      - .offset:         164
        .size:           2
        .value_kind:     hidden_remainder_y
      - .offset:         166
        .size:           2
        .value_kind:     hidden_remainder_z
      - .offset:         184
        .size:           8
        .value_kind:     hidden_global_offset_x
      - .offset:         192
        .size:           8
        .value_kind:     hidden_global_offset_y
      - .offset:         200
        .size:           8
        .value_kind:     hidden_global_offset_z
      - .offset:         208
        .size:           2
        .value_kind:     hidden_grid_dims
    .group_segment_fixed_size: 17472
    .kernarg_segment_align: 8
    .kernarg_segment_size: 400
    .language:       OpenCL C
    .language_version:
      - 2
      - 0
    .max_flat_workgroup_size: 256
    .name:           _Z39paged_attention_ll4mi_QKV_mfma16_kernelIDF16_hLN4vllm18Fp8KVCacheDataTypeE1EDF16_Li16ELi64ELi256ELb1ELi15EL8MFMAType0EEvPKT_PKT0_S8_ifPKiSA_SA_iPKfiiiPfSD_PS3_PT2_iSC_SC_
    .private_segment_fixed_size: 0
    .sgpr_count:     39
    .sgpr_spill_count: 0
    .symbol:         _Z39paged_attention_ll4mi_QKV_mfma16_kernelIDF16_hLN4vllm18Fp8KVCacheDataTypeE1EDF16_Li16ELi64ELi256ELb1ELi15EL8MFMAType0EEvPKT_PKT0_S8_ifPKiSA_SA_iPKfiiiPfSD_PS3_PT2_iSC_SC_.kd
    .uniform_work_group_size: 1
    .uses_dynamic_stack: false
    .vgpr_count:     146
    .vgpr_spill_count: 0
    .wavefront_size: 32
    .workgroup_processor_mode: 1
  - .args:
      - .actual_access:  read_only
        .address_space:  global
        .offset:         0
        .size:           8
        .value_kind:     global_buffer
      - .actual_access:  read_only
        .address_space:  global
        .offset:         8
        .size:           8
        .value_kind:     global_buffer
      - .actual_access:  read_only
        .address_space:  global
        .offset:         16
        .size:           8
        .value_kind:     global_buffer
      - .offset:         24
        .size:           4
        .value_kind:     by_value
      - .offset:         28
        .size:           4
        .value_kind:     by_value
      - .actual_access:  read_only
        .address_space:  global
        .offset:         32
        .size:           8
        .value_kind:     global_buffer
      - .actual_access:  read_only
        .address_space:  global
        .offset:         40
        .size:           8
        .value_kind:     global_buffer
      - .actual_access:  read_only
        .address_space:  global
        .offset:         48
        .size:           8
        .value_kind:     global_buffer
      - .offset:         56
        .size:           4
        .value_kind:     by_value
      - .actual_access:  read_only
        .address_space:  global
        .offset:         64
        .size:           8
        .value_kind:     global_buffer
      - .offset:         72
        .size:           4
        .value_kind:     by_value
      - .offset:         76
        .size:           4
        .value_kind:     by_value
      - .offset:         80
        .size:           4
        .value_kind:     by_value
      - .actual_access:  write_only
        .address_space:  global
        .offset:         88
        .size:           8
        .value_kind:     global_buffer
      - .actual_access:  write_only
        .address_space:  global
        .offset:         96
        .size:           8
        .value_kind:     global_buffer
      - .actual_access:  write_only
        .address_space:  global
        .offset:         104
        .size:           8
        .value_kind:     global_buffer
      - .actual_access:  read_only
        .address_space:  global
        .offset:         112
        .size:           8
        .value_kind:     global_buffer
      - .offset:         120
        .size:           4
        .value_kind:     by_value
      - .address_space:  global
        .offset:         128
        .size:           8
        .value_kind:     global_buffer
      - .address_space:  global
        .offset:         136
        .size:           8
        .value_kind:     global_buffer
      - .offset:         144
        .size:           4
        .value_kind:     hidden_block_count_x
      - .offset:         148
        .size:           4
        .value_kind:     hidden_block_count_y
      - .offset:         152
        .size:           4
        .value_kind:     hidden_block_count_z
      - .offset:         156
        .size:           2
        .value_kind:     hidden_group_size_x
      - .offset:         158
        .size:           2
        .value_kind:     hidden_group_size_y
      - .offset:         160
        .size:           2
        .value_kind:     hidden_group_size_z
      - .offset:         162
        .size:           2
        .value_kind:     hidden_remainder_x
      - .offset:         164
        .size:           2
        .value_kind:     hidden_remainder_y
      - .offset:         166
        .size:           2
        .value_kind:     hidden_remainder_z
      - .offset:         184
        .size:           8
        .value_kind:     hidden_global_offset_x
      - .offset:         192
        .size:           8
        .value_kind:     hidden_global_offset_y
      - .offset:         200
        .size:           8
        .value_kind:     hidden_global_offset_z
      - .offset:         208
        .size:           2
        .value_kind:     hidden_grid_dims
    .group_segment_fixed_size: 17472
    .kernarg_segment_align: 8
    .kernarg_segment_size: 400
    .language:       OpenCL C
    .language_version:
      - 2
      - 0
    .max_flat_workgroup_size: 256
    .name:           _Z39paged_attention_ll4mi_QKV_mfma16_kernelIDF16_hLN4vllm18Fp8KVCacheDataTypeE1EDF16_Li16ELi64ELi256ELb1ELi16EL8MFMAType0EEvPKT_PKT0_S8_ifPKiSA_SA_iPKfiiiPfSD_PS3_PT2_iSC_SC_
    .private_segment_fixed_size: 0
    .sgpr_count:     42
    .sgpr_spill_count: 0
    .symbol:         _Z39paged_attention_ll4mi_QKV_mfma16_kernelIDF16_hLN4vllm18Fp8KVCacheDataTypeE1EDF16_Li16ELi64ELi256ELb1ELi16EL8MFMAType0EEvPKT_PKT0_S8_ifPKiSA_SA_iPKfiiiPfSD_PS3_PT2_iSC_SC_.kd
    .uniform_work_group_size: 1
    .uses_dynamic_stack: false
    .vgpr_count:     123
    .vgpr_spill_count: 0
    .wavefront_size: 32
    .workgroup_processor_mode: 1
  - .args:
      - .actual_access:  read_only
        .address_space:  global
        .offset:         0
        .size:           8
        .value_kind:     global_buffer
      - .actual_access:  read_only
        .address_space:  global
        .offset:         8
        .size:           8
        .value_kind:     global_buffer
      - .actual_access:  read_only
        .address_space:  global
        .offset:         16
        .size:           8
        .value_kind:     global_buffer
      - .offset:         24
        .size:           4
        .value_kind:     by_value
      - .offset:         28
        .size:           4
        .value_kind:     by_value
      - .actual_access:  read_only
        .address_space:  global
        .offset:         32
        .size:           8
        .value_kind:     global_buffer
      - .actual_access:  read_only
        .address_space:  global
        .offset:         40
        .size:           8
        .value_kind:     global_buffer
      - .actual_access:  read_only
        .address_space:  global
        .offset:         48
        .size:           8
        .value_kind:     global_buffer
      - .offset:         56
        .size:           4
        .value_kind:     by_value
      - .actual_access:  read_only
        .address_space:  global
        .offset:         64
        .size:           8
        .value_kind:     global_buffer
      - .offset:         72
        .size:           4
        .value_kind:     by_value
      - .offset:         76
        .size:           4
        .value_kind:     by_value
      - .offset:         80
        .size:           4
        .value_kind:     by_value
      - .actual_access:  write_only
        .address_space:  global
        .offset:         88
        .size:           8
        .value_kind:     global_buffer
      - .actual_access:  write_only
        .address_space:  global
        .offset:         96
        .size:           8
        .value_kind:     global_buffer
      - .actual_access:  write_only
        .address_space:  global
        .offset:         104
        .size:           8
        .value_kind:     global_buffer
      - .actual_access:  read_only
        .address_space:  global
        .offset:         112
        .size:           8
        .value_kind:     global_buffer
      - .offset:         120
        .size:           4
        .value_kind:     by_value
      - .address_space:  global
        .offset:         128
        .size:           8
        .value_kind:     global_buffer
      - .address_space:  global
        .offset:         136
        .size:           8
        .value_kind:     global_buffer
      - .offset:         144
        .size:           4
        .value_kind:     hidden_block_count_x
      - .offset:         148
        .size:           4
        .value_kind:     hidden_block_count_y
      - .offset:         152
        .size:           4
        .value_kind:     hidden_block_count_z
      - .offset:         156
        .size:           2
        .value_kind:     hidden_group_size_x
      - .offset:         158
        .size:           2
        .value_kind:     hidden_group_size_y
      - .offset:         160
        .size:           2
        .value_kind:     hidden_group_size_z
      - .offset:         162
        .size:           2
        .value_kind:     hidden_remainder_x
      - .offset:         164
        .size:           2
        .value_kind:     hidden_remainder_y
      - .offset:         166
        .size:           2
        .value_kind:     hidden_remainder_z
      - .offset:         184
        .size:           8
        .value_kind:     hidden_global_offset_x
      - .offset:         192
        .size:           8
        .value_kind:     hidden_global_offset_y
      - .offset:         200
        .size:           8
        .value_kind:     hidden_global_offset_z
      - .offset:         208
        .size:           2
        .value_kind:     hidden_grid_dims
    .group_segment_fixed_size: 17472
    .kernarg_segment_align: 8
    .kernarg_segment_size: 400
    .language:       OpenCL C
    .language_version:
      - 2
      - 0
    .max_flat_workgroup_size: 256
    .name:           _Z39paged_attention_ll4mi_QKV_mfma16_kernelIDF16_hLN4vllm18Fp8KVCacheDataTypeE1EDF16_Li16ELi64ELi256ELb1ELi1EL8MFMAType0EEvPKT_PKT0_S8_ifPKiSA_SA_iPKfiiiPfSD_PS3_PT2_iSC_SC_
    .private_segment_fixed_size: 0
    .sgpr_count:     50
    .sgpr_spill_count: 0
    .symbol:         _Z39paged_attention_ll4mi_QKV_mfma16_kernelIDF16_hLN4vllm18Fp8KVCacheDataTypeE1EDF16_Li16ELi64ELi256ELb1ELi1EL8MFMAType0EEvPKT_PKT0_S8_ifPKiSA_SA_iPKfiiiPfSD_PS3_PT2_iSC_SC_.kd
    .uniform_work_group_size: 1
    .uses_dynamic_stack: false
    .vgpr_count:     144
    .vgpr_spill_count: 0
    .wavefront_size: 32
    .workgroup_processor_mode: 1
  - .args:
      - .actual_access:  read_only
        .address_space:  global
        .offset:         0
        .size:           8
        .value_kind:     global_buffer
      - .actual_access:  read_only
        .address_space:  global
        .offset:         8
        .size:           8
        .value_kind:     global_buffer
      - .actual_access:  read_only
        .address_space:  global
        .offset:         16
        .size:           8
        .value_kind:     global_buffer
      - .offset:         24
        .size:           4
        .value_kind:     by_value
      - .offset:         28
        .size:           4
        .value_kind:     by_value
      - .actual_access:  read_only
        .address_space:  global
        .offset:         32
        .size:           8
        .value_kind:     global_buffer
      - .actual_access:  read_only
        .address_space:  global
        .offset:         40
        .size:           8
        .value_kind:     global_buffer
      - .actual_access:  read_only
        .address_space:  global
        .offset:         48
        .size:           8
        .value_kind:     global_buffer
      - .offset:         56
        .size:           4
        .value_kind:     by_value
      - .actual_access:  read_only
        .address_space:  global
        .offset:         64
        .size:           8
        .value_kind:     global_buffer
      - .offset:         72
        .size:           4
        .value_kind:     by_value
      - .offset:         76
        .size:           4
        .value_kind:     by_value
      - .offset:         80
        .size:           4
        .value_kind:     by_value
      - .actual_access:  write_only
        .address_space:  global
        .offset:         88
        .size:           8
        .value_kind:     global_buffer
      - .actual_access:  write_only
        .address_space:  global
        .offset:         96
        .size:           8
        .value_kind:     global_buffer
      - .actual_access:  write_only
        .address_space:  global
        .offset:         104
        .size:           8
        .value_kind:     global_buffer
      - .actual_access:  read_only
        .address_space:  global
        .offset:         112
        .size:           8
        .value_kind:     global_buffer
      - .offset:         120
        .size:           4
        .value_kind:     by_value
      - .address_space:  global
        .offset:         128
        .size:           8
        .value_kind:     global_buffer
      - .address_space:  global
        .offset:         136
        .size:           8
        .value_kind:     global_buffer
      - .offset:         144
        .size:           4
        .value_kind:     hidden_block_count_x
      - .offset:         148
        .size:           4
        .value_kind:     hidden_block_count_y
      - .offset:         152
        .size:           4
        .value_kind:     hidden_block_count_z
      - .offset:         156
        .size:           2
        .value_kind:     hidden_group_size_x
      - .offset:         158
        .size:           2
        .value_kind:     hidden_group_size_y
      - .offset:         160
        .size:           2
        .value_kind:     hidden_group_size_z
      - .offset:         162
        .size:           2
        .value_kind:     hidden_remainder_x
      - .offset:         164
        .size:           2
        .value_kind:     hidden_remainder_y
      - .offset:         166
        .size:           2
        .value_kind:     hidden_remainder_z
      - .offset:         184
        .size:           8
        .value_kind:     hidden_global_offset_x
      - .offset:         192
        .size:           8
        .value_kind:     hidden_global_offset_y
      - .offset:         200
        .size:           8
        .value_kind:     hidden_global_offset_z
      - .offset:         208
        .size:           2
        .value_kind:     hidden_grid_dims
    .group_segment_fixed_size: 17472
    .kernarg_segment_align: 8
    .kernarg_segment_size: 400
    .language:       OpenCL C
    .language_version:
      - 2
      - 0
    .max_flat_workgroup_size: 256
    .name:           _Z39paged_attention_ll4mi_QKV_mfma16_kernelIDF16_hLN4vllm18Fp8KVCacheDataTypeE1EDF16_Li16ELi64ELi256ELb1ELi2EL8MFMAType0EEvPKT_PKT0_S8_ifPKiSA_SA_iPKfiiiPfSD_PS3_PT2_iSC_SC_
    .private_segment_fixed_size: 0
    .sgpr_count:     38
    .sgpr_spill_count: 0
    .symbol:         _Z39paged_attention_ll4mi_QKV_mfma16_kernelIDF16_hLN4vllm18Fp8KVCacheDataTypeE1EDF16_Li16ELi64ELi256ELb1ELi2EL8MFMAType0EEvPKT_PKT0_S8_ifPKiSA_SA_iPKfiiiPfSD_PS3_PT2_iSC_SC_.kd
    .uniform_work_group_size: 1
    .uses_dynamic_stack: false
    .vgpr_count:     148
    .vgpr_spill_count: 0
    .wavefront_size: 32
    .workgroup_processor_mode: 1
  - .args:
      - .actual_access:  read_only
        .address_space:  global
        .offset:         0
        .size:           8
        .value_kind:     global_buffer
      - .actual_access:  read_only
        .address_space:  global
        .offset:         8
        .size:           8
        .value_kind:     global_buffer
      - .actual_access:  read_only
        .address_space:  global
        .offset:         16
        .size:           8
        .value_kind:     global_buffer
      - .offset:         24
        .size:           4
        .value_kind:     by_value
      - .offset:         28
        .size:           4
        .value_kind:     by_value
      - .actual_access:  read_only
        .address_space:  global
        .offset:         32
        .size:           8
        .value_kind:     global_buffer
      - .actual_access:  read_only
        .address_space:  global
        .offset:         40
        .size:           8
        .value_kind:     global_buffer
      - .actual_access:  read_only
        .address_space:  global
        .offset:         48
        .size:           8
        .value_kind:     global_buffer
      - .offset:         56
        .size:           4
        .value_kind:     by_value
      - .actual_access:  read_only
        .address_space:  global
        .offset:         64
        .size:           8
        .value_kind:     global_buffer
      - .offset:         72
        .size:           4
        .value_kind:     by_value
      - .offset:         76
        .size:           4
        .value_kind:     by_value
      - .offset:         80
        .size:           4
        .value_kind:     by_value
      - .actual_access:  write_only
        .address_space:  global
        .offset:         88
        .size:           8
        .value_kind:     global_buffer
      - .actual_access:  write_only
        .address_space:  global
        .offset:         96
        .size:           8
        .value_kind:     global_buffer
      - .actual_access:  write_only
        .address_space:  global
        .offset:         104
        .size:           8
        .value_kind:     global_buffer
      - .actual_access:  read_only
        .address_space:  global
        .offset:         112
        .size:           8
        .value_kind:     global_buffer
      - .offset:         120
        .size:           4
        .value_kind:     by_value
      - .address_space:  global
        .offset:         128
        .size:           8
        .value_kind:     global_buffer
      - .address_space:  global
        .offset:         136
        .size:           8
        .value_kind:     global_buffer
      - .offset:         144
        .size:           4
        .value_kind:     hidden_block_count_x
      - .offset:         148
        .size:           4
        .value_kind:     hidden_block_count_y
      - .offset:         152
        .size:           4
        .value_kind:     hidden_block_count_z
      - .offset:         156
        .size:           2
        .value_kind:     hidden_group_size_x
      - .offset:         158
        .size:           2
        .value_kind:     hidden_group_size_y
      - .offset:         160
        .size:           2
        .value_kind:     hidden_group_size_z
      - .offset:         162
        .size:           2
        .value_kind:     hidden_remainder_x
      - .offset:         164
        .size:           2
        .value_kind:     hidden_remainder_y
      - .offset:         166
        .size:           2
        .value_kind:     hidden_remainder_z
      - .offset:         184
        .size:           8
        .value_kind:     hidden_global_offset_x
      - .offset:         192
        .size:           8
        .value_kind:     hidden_global_offset_y
      - .offset:         200
        .size:           8
        .value_kind:     hidden_global_offset_z
      - .offset:         208
        .size:           2
        .value_kind:     hidden_grid_dims
    .group_segment_fixed_size: 17472
    .kernarg_segment_align: 8
    .kernarg_segment_size: 400
    .language:       OpenCL C
    .language_version:
      - 2
      - 0
    .max_flat_workgroup_size: 256
    .name:           _Z39paged_attention_ll4mi_QKV_mfma16_kernelIDF16_hLN4vllm18Fp8KVCacheDataTypeE1EDF16_Li16ELi64ELi256ELb1ELi3EL8MFMAType0EEvPKT_PKT0_S8_ifPKiSA_SA_iPKfiiiPfSD_PS3_PT2_iSC_SC_
    .private_segment_fixed_size: 0
    .sgpr_count:     39
    .sgpr_spill_count: 0
    .symbol:         _Z39paged_attention_ll4mi_QKV_mfma16_kernelIDF16_hLN4vllm18Fp8KVCacheDataTypeE1EDF16_Li16ELi64ELi256ELb1ELi3EL8MFMAType0EEvPKT_PKT0_S8_ifPKiSA_SA_iPKfiiiPfSD_PS3_PT2_iSC_SC_.kd
    .uniform_work_group_size: 1
    .uses_dynamic_stack: false
    .vgpr_count:     146
    .vgpr_spill_count: 0
    .wavefront_size: 32
    .workgroup_processor_mode: 1
  - .args:
      - .actual_access:  read_only
        .address_space:  global
        .offset:         0
        .size:           8
        .value_kind:     global_buffer
      - .actual_access:  read_only
        .address_space:  global
        .offset:         8
        .size:           8
        .value_kind:     global_buffer
      - .actual_access:  read_only
        .address_space:  global
        .offset:         16
        .size:           8
        .value_kind:     global_buffer
      - .offset:         24
        .size:           4
        .value_kind:     by_value
      - .offset:         28
        .size:           4
        .value_kind:     by_value
      - .actual_access:  read_only
        .address_space:  global
        .offset:         32
        .size:           8
        .value_kind:     global_buffer
      - .actual_access:  read_only
        .address_space:  global
        .offset:         40
        .size:           8
        .value_kind:     global_buffer
      - .actual_access:  read_only
        .address_space:  global
        .offset:         48
        .size:           8
        .value_kind:     global_buffer
      - .offset:         56
        .size:           4
        .value_kind:     by_value
      - .actual_access:  read_only
        .address_space:  global
        .offset:         64
        .size:           8
        .value_kind:     global_buffer
      - .offset:         72
        .size:           4
        .value_kind:     by_value
      - .offset:         76
        .size:           4
        .value_kind:     by_value
      - .offset:         80
        .size:           4
        .value_kind:     by_value
      - .actual_access:  write_only
        .address_space:  global
        .offset:         88
        .size:           8
        .value_kind:     global_buffer
      - .actual_access:  write_only
        .address_space:  global
        .offset:         96
        .size:           8
        .value_kind:     global_buffer
      - .actual_access:  write_only
        .address_space:  global
        .offset:         104
        .size:           8
        .value_kind:     global_buffer
      - .actual_access:  read_only
        .address_space:  global
        .offset:         112
        .size:           8
        .value_kind:     global_buffer
      - .offset:         120
        .size:           4
        .value_kind:     by_value
      - .address_space:  global
        .offset:         128
        .size:           8
        .value_kind:     global_buffer
      - .address_space:  global
        .offset:         136
        .size:           8
        .value_kind:     global_buffer
      - .offset:         144
        .size:           4
        .value_kind:     hidden_block_count_x
      - .offset:         148
        .size:           4
        .value_kind:     hidden_block_count_y
      - .offset:         152
        .size:           4
        .value_kind:     hidden_block_count_z
      - .offset:         156
        .size:           2
        .value_kind:     hidden_group_size_x
      - .offset:         158
        .size:           2
        .value_kind:     hidden_group_size_y
      - .offset:         160
        .size:           2
        .value_kind:     hidden_group_size_z
      - .offset:         162
        .size:           2
        .value_kind:     hidden_remainder_x
      - .offset:         164
        .size:           2
        .value_kind:     hidden_remainder_y
      - .offset:         166
        .size:           2
        .value_kind:     hidden_remainder_z
      - .offset:         184
        .size:           8
        .value_kind:     hidden_global_offset_x
      - .offset:         192
        .size:           8
        .value_kind:     hidden_global_offset_y
      - .offset:         200
        .size:           8
        .value_kind:     hidden_global_offset_z
      - .offset:         208
        .size:           2
        .value_kind:     hidden_grid_dims
    .group_segment_fixed_size: 17472
    .kernarg_segment_align: 8
    .kernarg_segment_size: 400
    .language:       OpenCL C
    .language_version:
      - 2
      - 0
    .max_flat_workgroup_size: 256
    .name:           _Z39paged_attention_ll4mi_QKV_mfma16_kernelIDF16_hLN4vllm18Fp8KVCacheDataTypeE1EDF16_Li16ELi64ELi256ELb1ELi4EL8MFMAType0EEvPKT_PKT0_S8_ifPKiSA_SA_iPKfiiiPfSD_PS3_PT2_iSC_SC_
    .private_segment_fixed_size: 0
    .sgpr_count:     42
    .sgpr_spill_count: 0
    .symbol:         _Z39paged_attention_ll4mi_QKV_mfma16_kernelIDF16_hLN4vllm18Fp8KVCacheDataTypeE1EDF16_Li16ELi64ELi256ELb1ELi4EL8MFMAType0EEvPKT_PKT0_S8_ifPKiSA_SA_iPKfiiiPfSD_PS3_PT2_iSC_SC_.kd
    .uniform_work_group_size: 1
    .uses_dynamic_stack: false
    .vgpr_count:     123
    .vgpr_spill_count: 0
    .wavefront_size: 32
    .workgroup_processor_mode: 1
  - .args:
      - .actual_access:  read_only
        .address_space:  global
        .offset:         0
        .size:           8
        .value_kind:     global_buffer
      - .actual_access:  read_only
        .address_space:  global
        .offset:         8
        .size:           8
        .value_kind:     global_buffer
      - .actual_access:  read_only
        .address_space:  global
        .offset:         16
        .size:           8
        .value_kind:     global_buffer
      - .offset:         24
        .size:           4
        .value_kind:     by_value
      - .offset:         28
        .size:           4
        .value_kind:     by_value
      - .actual_access:  read_only
        .address_space:  global
        .offset:         32
        .size:           8
        .value_kind:     global_buffer
      - .actual_access:  read_only
        .address_space:  global
        .offset:         40
        .size:           8
        .value_kind:     global_buffer
      - .actual_access:  read_only
        .address_space:  global
        .offset:         48
        .size:           8
        .value_kind:     global_buffer
      - .offset:         56
        .size:           4
        .value_kind:     by_value
      - .actual_access:  read_only
        .address_space:  global
        .offset:         64
        .size:           8
        .value_kind:     global_buffer
      - .offset:         72
        .size:           4
        .value_kind:     by_value
      - .offset:         76
        .size:           4
        .value_kind:     by_value
      - .offset:         80
        .size:           4
        .value_kind:     by_value
      - .actual_access:  write_only
        .address_space:  global
        .offset:         88
        .size:           8
        .value_kind:     global_buffer
      - .actual_access:  write_only
        .address_space:  global
        .offset:         96
        .size:           8
        .value_kind:     global_buffer
      - .actual_access:  write_only
        .address_space:  global
        .offset:         104
        .size:           8
        .value_kind:     global_buffer
      - .actual_access:  read_only
        .address_space:  global
        .offset:         112
        .size:           8
        .value_kind:     global_buffer
      - .offset:         120
        .size:           4
        .value_kind:     by_value
      - .address_space:  global
        .offset:         128
        .size:           8
        .value_kind:     global_buffer
      - .address_space:  global
        .offset:         136
        .size:           8
        .value_kind:     global_buffer
      - .offset:         144
        .size:           4
        .value_kind:     hidden_block_count_x
      - .offset:         148
        .size:           4
        .value_kind:     hidden_block_count_y
      - .offset:         152
        .size:           4
        .value_kind:     hidden_block_count_z
      - .offset:         156
        .size:           2
        .value_kind:     hidden_group_size_x
      - .offset:         158
        .size:           2
        .value_kind:     hidden_group_size_y
      - .offset:         160
        .size:           2
        .value_kind:     hidden_group_size_z
      - .offset:         162
        .size:           2
        .value_kind:     hidden_remainder_x
      - .offset:         164
        .size:           2
        .value_kind:     hidden_remainder_y
      - .offset:         166
        .size:           2
        .value_kind:     hidden_remainder_z
      - .offset:         184
        .size:           8
        .value_kind:     hidden_global_offset_x
      - .offset:         192
        .size:           8
        .value_kind:     hidden_global_offset_y
      - .offset:         200
        .size:           8
        .value_kind:     hidden_global_offset_z
      - .offset:         208
        .size:           2
        .value_kind:     hidden_grid_dims
    .group_segment_fixed_size: 17472
    .kernarg_segment_align: 8
    .kernarg_segment_size: 400
    .language:       OpenCL C
    .language_version:
      - 2
      - 0
    .max_flat_workgroup_size: 256
    .name:           _Z39paged_attention_ll4mi_QKV_mfma16_kernelIDF16_hLN4vllm18Fp8KVCacheDataTypeE1EDF16_Li16ELi64ELi256ELb0ELi5EL8MFMAType0EEvPKT_PKT0_S8_ifPKiSA_SA_iPKfiiiPfSD_PS3_PT2_iSC_SC_
    .private_segment_fixed_size: 0
    .sgpr_count:     39
    .sgpr_spill_count: 0
    .symbol:         _Z39paged_attention_ll4mi_QKV_mfma16_kernelIDF16_hLN4vllm18Fp8KVCacheDataTypeE1EDF16_Li16ELi64ELi256ELb0ELi5EL8MFMAType0EEvPKT_PKT0_S8_ifPKiSA_SA_iPKfiiiPfSD_PS3_PT2_iSC_SC_.kd
    .uniform_work_group_size: 1
    .uses_dynamic_stack: false
    .vgpr_count:     146
    .vgpr_spill_count: 0
    .wavefront_size: 32
    .workgroup_processor_mode: 1
  - .args:
      - .actual_access:  read_only
        .address_space:  global
        .offset:         0
        .size:           8
        .value_kind:     global_buffer
      - .actual_access:  read_only
        .address_space:  global
        .offset:         8
        .size:           8
        .value_kind:     global_buffer
      - .actual_access:  read_only
        .address_space:  global
        .offset:         16
        .size:           8
        .value_kind:     global_buffer
      - .offset:         24
        .size:           4
        .value_kind:     by_value
      - .offset:         28
        .size:           4
        .value_kind:     by_value
      - .actual_access:  read_only
        .address_space:  global
        .offset:         32
        .size:           8
        .value_kind:     global_buffer
      - .actual_access:  read_only
        .address_space:  global
        .offset:         40
        .size:           8
        .value_kind:     global_buffer
      - .actual_access:  read_only
        .address_space:  global
        .offset:         48
        .size:           8
        .value_kind:     global_buffer
      - .offset:         56
        .size:           4
        .value_kind:     by_value
      - .actual_access:  read_only
        .address_space:  global
        .offset:         64
        .size:           8
        .value_kind:     global_buffer
      - .offset:         72
        .size:           4
        .value_kind:     by_value
      - .offset:         76
        .size:           4
        .value_kind:     by_value
      - .offset:         80
        .size:           4
        .value_kind:     by_value
      - .actual_access:  write_only
        .address_space:  global
        .offset:         88
        .size:           8
        .value_kind:     global_buffer
      - .actual_access:  write_only
        .address_space:  global
        .offset:         96
        .size:           8
        .value_kind:     global_buffer
      - .actual_access:  write_only
        .address_space:  global
        .offset:         104
        .size:           8
        .value_kind:     global_buffer
      - .actual_access:  read_only
        .address_space:  global
        .offset:         112
        .size:           8
        .value_kind:     global_buffer
      - .offset:         120
        .size:           4
        .value_kind:     by_value
      - .address_space:  global
        .offset:         128
        .size:           8
        .value_kind:     global_buffer
      - .address_space:  global
        .offset:         136
        .size:           8
        .value_kind:     global_buffer
      - .offset:         144
        .size:           4
        .value_kind:     hidden_block_count_x
      - .offset:         148
        .size:           4
        .value_kind:     hidden_block_count_y
      - .offset:         152
        .size:           4
        .value_kind:     hidden_block_count_z
      - .offset:         156
        .size:           2
        .value_kind:     hidden_group_size_x
      - .offset:         158
        .size:           2
        .value_kind:     hidden_group_size_y
      - .offset:         160
        .size:           2
        .value_kind:     hidden_group_size_z
      - .offset:         162
        .size:           2
        .value_kind:     hidden_remainder_x
      - .offset:         164
        .size:           2
        .value_kind:     hidden_remainder_y
      - .offset:         166
        .size:           2
        .value_kind:     hidden_remainder_z
      - .offset:         184
        .size:           8
        .value_kind:     hidden_global_offset_x
      - .offset:         192
        .size:           8
        .value_kind:     hidden_global_offset_y
      - .offset:         200
        .size:           8
        .value_kind:     hidden_global_offset_z
      - .offset:         208
        .size:           2
        .value_kind:     hidden_grid_dims
    .group_segment_fixed_size: 17472
    .kernarg_segment_align: 8
    .kernarg_segment_size: 400
    .language:       OpenCL C
    .language_version:
      - 2
      - 0
    .max_flat_workgroup_size: 256
    .name:           _Z39paged_attention_ll4mi_QKV_mfma16_kernelIDF16_hLN4vllm18Fp8KVCacheDataTypeE1EDF16_Li16ELi64ELi256ELb0ELi6EL8MFMAType0EEvPKT_PKT0_S8_ifPKiSA_SA_iPKfiiiPfSD_PS3_PT2_iSC_SC_
    .private_segment_fixed_size: 0
    .sgpr_count:     38
    .sgpr_spill_count: 0
    .symbol:         _Z39paged_attention_ll4mi_QKV_mfma16_kernelIDF16_hLN4vllm18Fp8KVCacheDataTypeE1EDF16_Li16ELi64ELi256ELb0ELi6EL8MFMAType0EEvPKT_PKT0_S8_ifPKiSA_SA_iPKfiiiPfSD_PS3_PT2_iSC_SC_.kd
    .uniform_work_group_size: 1
    .uses_dynamic_stack: false
    .vgpr_count:     146
    .vgpr_spill_count: 0
    .wavefront_size: 32
    .workgroup_processor_mode: 1
  - .args:
      - .actual_access:  read_only
        .address_space:  global
        .offset:         0
        .size:           8
        .value_kind:     global_buffer
      - .actual_access:  read_only
        .address_space:  global
        .offset:         8
        .size:           8
        .value_kind:     global_buffer
      - .actual_access:  read_only
        .address_space:  global
        .offset:         16
        .size:           8
        .value_kind:     global_buffer
      - .offset:         24
        .size:           4
        .value_kind:     by_value
      - .offset:         28
        .size:           4
        .value_kind:     by_value
      - .actual_access:  read_only
        .address_space:  global
        .offset:         32
        .size:           8
        .value_kind:     global_buffer
      - .actual_access:  read_only
        .address_space:  global
        .offset:         40
        .size:           8
        .value_kind:     global_buffer
      - .actual_access:  read_only
        .address_space:  global
        .offset:         48
        .size:           8
        .value_kind:     global_buffer
      - .offset:         56
        .size:           4
        .value_kind:     by_value
      - .actual_access:  read_only
        .address_space:  global
        .offset:         64
        .size:           8
        .value_kind:     global_buffer
      - .offset:         72
        .size:           4
        .value_kind:     by_value
      - .offset:         76
        .size:           4
        .value_kind:     by_value
      - .offset:         80
        .size:           4
        .value_kind:     by_value
      - .actual_access:  write_only
        .address_space:  global
        .offset:         88
        .size:           8
        .value_kind:     global_buffer
      - .actual_access:  write_only
        .address_space:  global
        .offset:         96
        .size:           8
        .value_kind:     global_buffer
      - .actual_access:  write_only
        .address_space:  global
        .offset:         104
        .size:           8
        .value_kind:     global_buffer
      - .actual_access:  read_only
        .address_space:  global
        .offset:         112
        .size:           8
        .value_kind:     global_buffer
      - .offset:         120
        .size:           4
        .value_kind:     by_value
      - .address_space:  global
        .offset:         128
        .size:           8
        .value_kind:     global_buffer
      - .address_space:  global
        .offset:         136
        .size:           8
        .value_kind:     global_buffer
      - .offset:         144
        .size:           4
        .value_kind:     hidden_block_count_x
      - .offset:         148
        .size:           4
        .value_kind:     hidden_block_count_y
      - .offset:         152
        .size:           4
        .value_kind:     hidden_block_count_z
      - .offset:         156
        .size:           2
        .value_kind:     hidden_group_size_x
      - .offset:         158
        .size:           2
        .value_kind:     hidden_group_size_y
      - .offset:         160
        .size:           2
        .value_kind:     hidden_group_size_z
      - .offset:         162
        .size:           2
        .value_kind:     hidden_remainder_x
      - .offset:         164
        .size:           2
        .value_kind:     hidden_remainder_y
      - .offset:         166
        .size:           2
        .value_kind:     hidden_remainder_z
      - .offset:         184
        .size:           8
        .value_kind:     hidden_global_offset_x
      - .offset:         192
        .size:           8
        .value_kind:     hidden_global_offset_y
      - .offset:         200
        .size:           8
        .value_kind:     hidden_global_offset_z
      - .offset:         208
        .size:           2
        .value_kind:     hidden_grid_dims
    .group_segment_fixed_size: 17472
    .kernarg_segment_align: 8
    .kernarg_segment_size: 400
    .language:       OpenCL C
    .language_version:
      - 2
      - 0
    .max_flat_workgroup_size: 256
    .name:           _Z39paged_attention_ll4mi_QKV_mfma16_kernelIDF16_hLN4vllm18Fp8KVCacheDataTypeE1EDF16_Li16ELi64ELi256ELb0ELi7EL8MFMAType0EEvPKT_PKT0_S8_ifPKiSA_SA_iPKfiiiPfSD_PS3_PT2_iSC_SC_
    .private_segment_fixed_size: 0
    .sgpr_count:     39
    .sgpr_spill_count: 0
    .symbol:         _Z39paged_attention_ll4mi_QKV_mfma16_kernelIDF16_hLN4vllm18Fp8KVCacheDataTypeE1EDF16_Li16ELi64ELi256ELb0ELi7EL8MFMAType0EEvPKT_PKT0_S8_ifPKiSA_SA_iPKfiiiPfSD_PS3_PT2_iSC_SC_.kd
    .uniform_work_group_size: 1
    .uses_dynamic_stack: false
    .vgpr_count:     146
    .vgpr_spill_count: 0
    .wavefront_size: 32
    .workgroup_processor_mode: 1
  - .args:
      - .actual_access:  read_only
        .address_space:  global
        .offset:         0
        .size:           8
        .value_kind:     global_buffer
      - .actual_access:  read_only
        .address_space:  global
        .offset:         8
        .size:           8
        .value_kind:     global_buffer
      - .actual_access:  read_only
        .address_space:  global
        .offset:         16
        .size:           8
        .value_kind:     global_buffer
      - .offset:         24
        .size:           4
        .value_kind:     by_value
      - .offset:         28
        .size:           4
        .value_kind:     by_value
      - .actual_access:  read_only
        .address_space:  global
        .offset:         32
        .size:           8
        .value_kind:     global_buffer
      - .actual_access:  read_only
        .address_space:  global
        .offset:         40
        .size:           8
        .value_kind:     global_buffer
      - .actual_access:  read_only
        .address_space:  global
        .offset:         48
        .size:           8
        .value_kind:     global_buffer
      - .offset:         56
        .size:           4
        .value_kind:     by_value
      - .actual_access:  read_only
        .address_space:  global
        .offset:         64
        .size:           8
        .value_kind:     global_buffer
      - .offset:         72
        .size:           4
        .value_kind:     by_value
      - .offset:         76
        .size:           4
        .value_kind:     by_value
      - .offset:         80
        .size:           4
        .value_kind:     by_value
      - .actual_access:  write_only
        .address_space:  global
        .offset:         88
        .size:           8
        .value_kind:     global_buffer
      - .actual_access:  write_only
        .address_space:  global
        .offset:         96
        .size:           8
        .value_kind:     global_buffer
      - .actual_access:  write_only
        .address_space:  global
        .offset:         104
        .size:           8
        .value_kind:     global_buffer
      - .actual_access:  read_only
        .address_space:  global
        .offset:         112
        .size:           8
        .value_kind:     global_buffer
      - .offset:         120
        .size:           4
        .value_kind:     by_value
      - .address_space:  global
        .offset:         128
        .size:           8
        .value_kind:     global_buffer
      - .address_space:  global
        .offset:         136
        .size:           8
        .value_kind:     global_buffer
      - .offset:         144
        .size:           4
        .value_kind:     hidden_block_count_x
      - .offset:         148
        .size:           4
        .value_kind:     hidden_block_count_y
      - .offset:         152
        .size:           4
        .value_kind:     hidden_block_count_z
      - .offset:         156
        .size:           2
        .value_kind:     hidden_group_size_x
      - .offset:         158
        .size:           2
        .value_kind:     hidden_group_size_y
      - .offset:         160
        .size:           2
        .value_kind:     hidden_group_size_z
      - .offset:         162
        .size:           2
        .value_kind:     hidden_remainder_x
      - .offset:         164
        .size:           2
        .value_kind:     hidden_remainder_y
      - .offset:         166
        .size:           2
        .value_kind:     hidden_remainder_z
      - .offset:         184
        .size:           8
        .value_kind:     hidden_global_offset_x
      - .offset:         192
        .size:           8
        .value_kind:     hidden_global_offset_y
      - .offset:         200
        .size:           8
        .value_kind:     hidden_global_offset_z
      - .offset:         208
        .size:           2
        .value_kind:     hidden_grid_dims
    .group_segment_fixed_size: 17472
    .kernarg_segment_align: 8
    .kernarg_segment_size: 400
    .language:       OpenCL C
    .language_version:
      - 2
      - 0
    .max_flat_workgroup_size: 256
    .name:           _Z39paged_attention_ll4mi_QKV_mfma16_kernelIDF16_hLN4vllm18Fp8KVCacheDataTypeE1EDF16_Li16ELi64ELi256ELb0ELi8EL8MFMAType0EEvPKT_PKT0_S8_ifPKiSA_SA_iPKfiiiPfSD_PS3_PT2_iSC_SC_
    .private_segment_fixed_size: 0
    .sgpr_count:     42
    .sgpr_spill_count: 0
    .symbol:         _Z39paged_attention_ll4mi_QKV_mfma16_kernelIDF16_hLN4vllm18Fp8KVCacheDataTypeE1EDF16_Li16ELi64ELi256ELb0ELi8EL8MFMAType0EEvPKT_PKT0_S8_ifPKiSA_SA_iPKfiiiPfSD_PS3_PT2_iSC_SC_.kd
    .uniform_work_group_size: 1
    .uses_dynamic_stack: false
    .vgpr_count:     123
    .vgpr_spill_count: 0
    .wavefront_size: 32
    .workgroup_processor_mode: 1
  - .args:
      - .actual_access:  read_only
        .address_space:  global
        .offset:         0
        .size:           8
        .value_kind:     global_buffer
      - .actual_access:  read_only
        .address_space:  global
        .offset:         8
        .size:           8
        .value_kind:     global_buffer
      - .actual_access:  read_only
        .address_space:  global
        .offset:         16
        .size:           8
        .value_kind:     global_buffer
      - .offset:         24
        .size:           4
        .value_kind:     by_value
      - .offset:         28
        .size:           4
        .value_kind:     by_value
      - .actual_access:  read_only
        .address_space:  global
        .offset:         32
        .size:           8
        .value_kind:     global_buffer
      - .actual_access:  read_only
        .address_space:  global
        .offset:         40
        .size:           8
        .value_kind:     global_buffer
      - .actual_access:  read_only
        .address_space:  global
        .offset:         48
        .size:           8
        .value_kind:     global_buffer
      - .offset:         56
        .size:           4
        .value_kind:     by_value
      - .actual_access:  read_only
        .address_space:  global
        .offset:         64
        .size:           8
        .value_kind:     global_buffer
      - .offset:         72
        .size:           4
        .value_kind:     by_value
      - .offset:         76
        .size:           4
        .value_kind:     by_value
      - .offset:         80
        .size:           4
        .value_kind:     by_value
      - .actual_access:  write_only
        .address_space:  global
        .offset:         88
        .size:           8
        .value_kind:     global_buffer
      - .actual_access:  write_only
        .address_space:  global
        .offset:         96
        .size:           8
        .value_kind:     global_buffer
      - .actual_access:  write_only
        .address_space:  global
        .offset:         104
        .size:           8
        .value_kind:     global_buffer
      - .actual_access:  read_only
        .address_space:  global
        .offset:         112
        .size:           8
        .value_kind:     global_buffer
      - .offset:         120
        .size:           4
        .value_kind:     by_value
      - .address_space:  global
        .offset:         128
        .size:           8
        .value_kind:     global_buffer
      - .address_space:  global
        .offset:         136
        .size:           8
        .value_kind:     global_buffer
      - .offset:         144
        .size:           4
        .value_kind:     hidden_block_count_x
      - .offset:         148
        .size:           4
        .value_kind:     hidden_block_count_y
      - .offset:         152
        .size:           4
        .value_kind:     hidden_block_count_z
      - .offset:         156
        .size:           2
        .value_kind:     hidden_group_size_x
      - .offset:         158
        .size:           2
        .value_kind:     hidden_group_size_y
      - .offset:         160
        .size:           2
        .value_kind:     hidden_group_size_z
      - .offset:         162
        .size:           2
        .value_kind:     hidden_remainder_x
      - .offset:         164
        .size:           2
        .value_kind:     hidden_remainder_y
      - .offset:         166
        .size:           2
        .value_kind:     hidden_remainder_z
      - .offset:         184
        .size:           8
        .value_kind:     hidden_global_offset_x
      - .offset:         192
        .size:           8
        .value_kind:     hidden_global_offset_y
      - .offset:         200
        .size:           8
        .value_kind:     hidden_global_offset_z
      - .offset:         208
        .size:           2
        .value_kind:     hidden_grid_dims
    .group_segment_fixed_size: 17472
    .kernarg_segment_align: 8
    .kernarg_segment_size: 400
    .language:       OpenCL C
    .language_version:
      - 2
      - 0
    .max_flat_workgroup_size: 256
    .name:           _Z39paged_attention_ll4mi_QKV_mfma16_kernelIDF16_hLN4vllm18Fp8KVCacheDataTypeE1EDF16_Li16ELi64ELi256ELb0ELi9EL8MFMAType0EEvPKT_PKT0_S8_ifPKiSA_SA_iPKfiiiPfSD_PS3_PT2_iSC_SC_
    .private_segment_fixed_size: 0
    .sgpr_count:     39
    .sgpr_spill_count: 0
    .symbol:         _Z39paged_attention_ll4mi_QKV_mfma16_kernelIDF16_hLN4vllm18Fp8KVCacheDataTypeE1EDF16_Li16ELi64ELi256ELb0ELi9EL8MFMAType0EEvPKT_PKT0_S8_ifPKiSA_SA_iPKfiiiPfSD_PS3_PT2_iSC_SC_.kd
    .uniform_work_group_size: 1
    .uses_dynamic_stack: false
    .vgpr_count:     146
    .vgpr_spill_count: 0
    .wavefront_size: 32
    .workgroup_processor_mode: 1
  - .args:
      - .actual_access:  read_only
        .address_space:  global
        .offset:         0
        .size:           8
        .value_kind:     global_buffer
      - .actual_access:  read_only
        .address_space:  global
        .offset:         8
        .size:           8
        .value_kind:     global_buffer
      - .actual_access:  read_only
        .address_space:  global
        .offset:         16
        .size:           8
        .value_kind:     global_buffer
      - .offset:         24
        .size:           4
        .value_kind:     by_value
      - .offset:         28
        .size:           4
        .value_kind:     by_value
      - .actual_access:  read_only
        .address_space:  global
        .offset:         32
        .size:           8
        .value_kind:     global_buffer
      - .actual_access:  read_only
        .address_space:  global
        .offset:         40
        .size:           8
        .value_kind:     global_buffer
      - .actual_access:  read_only
        .address_space:  global
        .offset:         48
        .size:           8
        .value_kind:     global_buffer
      - .offset:         56
        .size:           4
        .value_kind:     by_value
      - .actual_access:  read_only
        .address_space:  global
        .offset:         64
        .size:           8
        .value_kind:     global_buffer
      - .offset:         72
        .size:           4
        .value_kind:     by_value
      - .offset:         76
        .size:           4
        .value_kind:     by_value
      - .offset:         80
        .size:           4
        .value_kind:     by_value
      - .actual_access:  write_only
        .address_space:  global
        .offset:         88
        .size:           8
        .value_kind:     global_buffer
      - .actual_access:  write_only
        .address_space:  global
        .offset:         96
        .size:           8
        .value_kind:     global_buffer
      - .actual_access:  write_only
        .address_space:  global
        .offset:         104
        .size:           8
        .value_kind:     global_buffer
      - .actual_access:  read_only
        .address_space:  global
        .offset:         112
        .size:           8
        .value_kind:     global_buffer
      - .offset:         120
        .size:           4
        .value_kind:     by_value
      - .address_space:  global
        .offset:         128
        .size:           8
        .value_kind:     global_buffer
      - .address_space:  global
        .offset:         136
        .size:           8
        .value_kind:     global_buffer
      - .offset:         144
        .size:           4
        .value_kind:     hidden_block_count_x
      - .offset:         148
        .size:           4
        .value_kind:     hidden_block_count_y
      - .offset:         152
        .size:           4
        .value_kind:     hidden_block_count_z
      - .offset:         156
        .size:           2
        .value_kind:     hidden_group_size_x
      - .offset:         158
        .size:           2
        .value_kind:     hidden_group_size_y
      - .offset:         160
        .size:           2
        .value_kind:     hidden_group_size_z
      - .offset:         162
        .size:           2
        .value_kind:     hidden_remainder_x
      - .offset:         164
        .size:           2
        .value_kind:     hidden_remainder_y
      - .offset:         166
        .size:           2
        .value_kind:     hidden_remainder_z
      - .offset:         184
        .size:           8
        .value_kind:     hidden_global_offset_x
      - .offset:         192
        .size:           8
        .value_kind:     hidden_global_offset_y
      - .offset:         200
        .size:           8
        .value_kind:     hidden_global_offset_z
      - .offset:         208
        .size:           2
        .value_kind:     hidden_grid_dims
    .group_segment_fixed_size: 17472
    .kernarg_segment_align: 8
    .kernarg_segment_size: 400
    .language:       OpenCL C
    .language_version:
      - 2
      - 0
    .max_flat_workgroup_size: 256
    .name:           _Z39paged_attention_ll4mi_QKV_mfma16_kernelIDF16_hLN4vllm18Fp8KVCacheDataTypeE1EDF16_Li16ELi64ELi256ELb0ELi10EL8MFMAType0EEvPKT_PKT0_S8_ifPKiSA_SA_iPKfiiiPfSD_PS3_PT2_iSC_SC_
    .private_segment_fixed_size: 0
    .sgpr_count:     38
    .sgpr_spill_count: 0
    .symbol:         _Z39paged_attention_ll4mi_QKV_mfma16_kernelIDF16_hLN4vllm18Fp8KVCacheDataTypeE1EDF16_Li16ELi64ELi256ELb0ELi10EL8MFMAType0EEvPKT_PKT0_S8_ifPKiSA_SA_iPKfiiiPfSD_PS3_PT2_iSC_SC_.kd
    .uniform_work_group_size: 1
    .uses_dynamic_stack: false
    .vgpr_count:     146
    .vgpr_spill_count: 0
    .wavefront_size: 32
    .workgroup_processor_mode: 1
  - .args:
      - .actual_access:  read_only
        .address_space:  global
        .offset:         0
        .size:           8
        .value_kind:     global_buffer
      - .actual_access:  read_only
        .address_space:  global
        .offset:         8
        .size:           8
        .value_kind:     global_buffer
      - .actual_access:  read_only
        .address_space:  global
        .offset:         16
        .size:           8
        .value_kind:     global_buffer
      - .offset:         24
        .size:           4
        .value_kind:     by_value
      - .offset:         28
        .size:           4
        .value_kind:     by_value
      - .actual_access:  read_only
        .address_space:  global
        .offset:         32
        .size:           8
        .value_kind:     global_buffer
      - .actual_access:  read_only
        .address_space:  global
        .offset:         40
        .size:           8
        .value_kind:     global_buffer
      - .actual_access:  read_only
        .address_space:  global
        .offset:         48
        .size:           8
        .value_kind:     global_buffer
      - .offset:         56
        .size:           4
        .value_kind:     by_value
      - .actual_access:  read_only
        .address_space:  global
        .offset:         64
        .size:           8
        .value_kind:     global_buffer
      - .offset:         72
        .size:           4
        .value_kind:     by_value
      - .offset:         76
        .size:           4
        .value_kind:     by_value
      - .offset:         80
        .size:           4
        .value_kind:     by_value
      - .actual_access:  write_only
        .address_space:  global
        .offset:         88
        .size:           8
        .value_kind:     global_buffer
      - .actual_access:  write_only
        .address_space:  global
        .offset:         96
        .size:           8
        .value_kind:     global_buffer
      - .actual_access:  write_only
        .address_space:  global
        .offset:         104
        .size:           8
        .value_kind:     global_buffer
      - .actual_access:  read_only
        .address_space:  global
        .offset:         112
        .size:           8
        .value_kind:     global_buffer
      - .offset:         120
        .size:           4
        .value_kind:     by_value
      - .address_space:  global
        .offset:         128
        .size:           8
        .value_kind:     global_buffer
      - .address_space:  global
        .offset:         136
        .size:           8
        .value_kind:     global_buffer
      - .offset:         144
        .size:           4
        .value_kind:     hidden_block_count_x
      - .offset:         148
        .size:           4
        .value_kind:     hidden_block_count_y
      - .offset:         152
        .size:           4
        .value_kind:     hidden_block_count_z
      - .offset:         156
        .size:           2
        .value_kind:     hidden_group_size_x
      - .offset:         158
        .size:           2
        .value_kind:     hidden_group_size_y
      - .offset:         160
        .size:           2
        .value_kind:     hidden_group_size_z
      - .offset:         162
        .size:           2
        .value_kind:     hidden_remainder_x
      - .offset:         164
        .size:           2
        .value_kind:     hidden_remainder_y
      - .offset:         166
        .size:           2
        .value_kind:     hidden_remainder_z
      - .offset:         184
        .size:           8
        .value_kind:     hidden_global_offset_x
      - .offset:         192
        .size:           8
        .value_kind:     hidden_global_offset_y
      - .offset:         200
        .size:           8
        .value_kind:     hidden_global_offset_z
      - .offset:         208
        .size:           2
        .value_kind:     hidden_grid_dims
    .group_segment_fixed_size: 17472
    .kernarg_segment_align: 8
    .kernarg_segment_size: 400
    .language:       OpenCL C
    .language_version:
      - 2
      - 0
    .max_flat_workgroup_size: 256
    .name:           _Z39paged_attention_ll4mi_QKV_mfma16_kernelIDF16_hLN4vllm18Fp8KVCacheDataTypeE1EDF16_Li16ELi64ELi256ELb0ELi11EL8MFMAType0EEvPKT_PKT0_S8_ifPKiSA_SA_iPKfiiiPfSD_PS3_PT2_iSC_SC_
    .private_segment_fixed_size: 0
    .sgpr_count:     39
    .sgpr_spill_count: 0
    .symbol:         _Z39paged_attention_ll4mi_QKV_mfma16_kernelIDF16_hLN4vllm18Fp8KVCacheDataTypeE1EDF16_Li16ELi64ELi256ELb0ELi11EL8MFMAType0EEvPKT_PKT0_S8_ifPKiSA_SA_iPKfiiiPfSD_PS3_PT2_iSC_SC_.kd
    .uniform_work_group_size: 1
    .uses_dynamic_stack: false
    .vgpr_count:     146
    .vgpr_spill_count: 0
    .wavefront_size: 32
    .workgroup_processor_mode: 1
  - .args:
      - .actual_access:  read_only
        .address_space:  global
        .offset:         0
        .size:           8
        .value_kind:     global_buffer
      - .actual_access:  read_only
        .address_space:  global
        .offset:         8
        .size:           8
        .value_kind:     global_buffer
      - .actual_access:  read_only
        .address_space:  global
        .offset:         16
        .size:           8
        .value_kind:     global_buffer
      - .offset:         24
        .size:           4
        .value_kind:     by_value
      - .offset:         28
        .size:           4
        .value_kind:     by_value
      - .actual_access:  read_only
        .address_space:  global
        .offset:         32
        .size:           8
        .value_kind:     global_buffer
      - .actual_access:  read_only
        .address_space:  global
        .offset:         40
        .size:           8
        .value_kind:     global_buffer
      - .actual_access:  read_only
        .address_space:  global
        .offset:         48
        .size:           8
        .value_kind:     global_buffer
      - .offset:         56
        .size:           4
        .value_kind:     by_value
      - .actual_access:  read_only
        .address_space:  global
        .offset:         64
        .size:           8
        .value_kind:     global_buffer
      - .offset:         72
        .size:           4
        .value_kind:     by_value
      - .offset:         76
        .size:           4
        .value_kind:     by_value
      - .offset:         80
        .size:           4
        .value_kind:     by_value
      - .actual_access:  write_only
        .address_space:  global
        .offset:         88
        .size:           8
        .value_kind:     global_buffer
      - .actual_access:  write_only
        .address_space:  global
        .offset:         96
        .size:           8
        .value_kind:     global_buffer
      - .actual_access:  write_only
        .address_space:  global
        .offset:         104
        .size:           8
        .value_kind:     global_buffer
      - .actual_access:  read_only
        .address_space:  global
        .offset:         112
        .size:           8
        .value_kind:     global_buffer
      - .offset:         120
        .size:           4
        .value_kind:     by_value
      - .address_space:  global
        .offset:         128
        .size:           8
        .value_kind:     global_buffer
      - .address_space:  global
        .offset:         136
        .size:           8
        .value_kind:     global_buffer
      - .offset:         144
        .size:           4
        .value_kind:     hidden_block_count_x
      - .offset:         148
        .size:           4
        .value_kind:     hidden_block_count_y
      - .offset:         152
        .size:           4
        .value_kind:     hidden_block_count_z
      - .offset:         156
        .size:           2
        .value_kind:     hidden_group_size_x
      - .offset:         158
        .size:           2
        .value_kind:     hidden_group_size_y
      - .offset:         160
        .size:           2
        .value_kind:     hidden_group_size_z
      - .offset:         162
        .size:           2
        .value_kind:     hidden_remainder_x
      - .offset:         164
        .size:           2
        .value_kind:     hidden_remainder_y
      - .offset:         166
        .size:           2
        .value_kind:     hidden_remainder_z
      - .offset:         184
        .size:           8
        .value_kind:     hidden_global_offset_x
      - .offset:         192
        .size:           8
        .value_kind:     hidden_global_offset_y
      - .offset:         200
        .size:           8
        .value_kind:     hidden_global_offset_z
      - .offset:         208
        .size:           2
        .value_kind:     hidden_grid_dims
    .group_segment_fixed_size: 17472
    .kernarg_segment_align: 8
    .kernarg_segment_size: 400
    .language:       OpenCL C
    .language_version:
      - 2
      - 0
    .max_flat_workgroup_size: 256
    .name:           _Z39paged_attention_ll4mi_QKV_mfma16_kernelIDF16_hLN4vllm18Fp8KVCacheDataTypeE1EDF16_Li16ELi64ELi256ELb0ELi12EL8MFMAType0EEvPKT_PKT0_S8_ifPKiSA_SA_iPKfiiiPfSD_PS3_PT2_iSC_SC_
    .private_segment_fixed_size: 0
    .sgpr_count:     38
    .sgpr_spill_count: 0
    .symbol:         _Z39paged_attention_ll4mi_QKV_mfma16_kernelIDF16_hLN4vllm18Fp8KVCacheDataTypeE1EDF16_Li16ELi64ELi256ELb0ELi12EL8MFMAType0EEvPKT_PKT0_S8_ifPKiSA_SA_iPKfiiiPfSD_PS3_PT2_iSC_SC_.kd
    .uniform_work_group_size: 1
    .uses_dynamic_stack: false
    .vgpr_count:     146
    .vgpr_spill_count: 0
    .wavefront_size: 32
    .workgroup_processor_mode: 1
  - .args:
      - .actual_access:  read_only
        .address_space:  global
        .offset:         0
        .size:           8
        .value_kind:     global_buffer
      - .actual_access:  read_only
        .address_space:  global
        .offset:         8
        .size:           8
        .value_kind:     global_buffer
      - .actual_access:  read_only
        .address_space:  global
        .offset:         16
        .size:           8
        .value_kind:     global_buffer
      - .offset:         24
        .size:           4
        .value_kind:     by_value
      - .offset:         28
        .size:           4
        .value_kind:     by_value
      - .actual_access:  read_only
        .address_space:  global
        .offset:         32
        .size:           8
        .value_kind:     global_buffer
      - .actual_access:  read_only
        .address_space:  global
        .offset:         40
        .size:           8
        .value_kind:     global_buffer
      - .actual_access:  read_only
        .address_space:  global
        .offset:         48
        .size:           8
        .value_kind:     global_buffer
      - .offset:         56
        .size:           4
        .value_kind:     by_value
      - .actual_access:  read_only
        .address_space:  global
        .offset:         64
        .size:           8
        .value_kind:     global_buffer
      - .offset:         72
        .size:           4
        .value_kind:     by_value
      - .offset:         76
        .size:           4
        .value_kind:     by_value
      - .offset:         80
        .size:           4
        .value_kind:     by_value
      - .actual_access:  write_only
        .address_space:  global
        .offset:         88
        .size:           8
        .value_kind:     global_buffer
      - .actual_access:  write_only
        .address_space:  global
        .offset:         96
        .size:           8
        .value_kind:     global_buffer
      - .actual_access:  write_only
        .address_space:  global
        .offset:         104
        .size:           8
        .value_kind:     global_buffer
      - .actual_access:  read_only
        .address_space:  global
        .offset:         112
        .size:           8
        .value_kind:     global_buffer
      - .offset:         120
        .size:           4
        .value_kind:     by_value
      - .address_space:  global
        .offset:         128
        .size:           8
        .value_kind:     global_buffer
      - .address_space:  global
        .offset:         136
        .size:           8
        .value_kind:     global_buffer
      - .offset:         144
        .size:           4
        .value_kind:     hidden_block_count_x
      - .offset:         148
        .size:           4
        .value_kind:     hidden_block_count_y
      - .offset:         152
        .size:           4
        .value_kind:     hidden_block_count_z
      - .offset:         156
        .size:           2
        .value_kind:     hidden_group_size_x
      - .offset:         158
        .size:           2
        .value_kind:     hidden_group_size_y
      - .offset:         160
        .size:           2
        .value_kind:     hidden_group_size_z
      - .offset:         162
        .size:           2
        .value_kind:     hidden_remainder_x
      - .offset:         164
        .size:           2
        .value_kind:     hidden_remainder_y
      - .offset:         166
        .size:           2
        .value_kind:     hidden_remainder_z
      - .offset:         184
        .size:           8
        .value_kind:     hidden_global_offset_x
      - .offset:         192
        .size:           8
        .value_kind:     hidden_global_offset_y
      - .offset:         200
        .size:           8
        .value_kind:     hidden_global_offset_z
      - .offset:         208
        .size:           2
        .value_kind:     hidden_grid_dims
    .group_segment_fixed_size: 17472
    .kernarg_segment_align: 8
    .kernarg_segment_size: 400
    .language:       OpenCL C
    .language_version:
      - 2
      - 0
    .max_flat_workgroup_size: 256
    .name:           _Z39paged_attention_ll4mi_QKV_mfma16_kernelIDF16_hLN4vllm18Fp8KVCacheDataTypeE1EDF16_Li16ELi64ELi256ELb0ELi13EL8MFMAType0EEvPKT_PKT0_S8_ifPKiSA_SA_iPKfiiiPfSD_PS3_PT2_iSC_SC_
    .private_segment_fixed_size: 0
    .sgpr_count:     39
    .sgpr_spill_count: 0
    .symbol:         _Z39paged_attention_ll4mi_QKV_mfma16_kernelIDF16_hLN4vllm18Fp8KVCacheDataTypeE1EDF16_Li16ELi64ELi256ELb0ELi13EL8MFMAType0EEvPKT_PKT0_S8_ifPKiSA_SA_iPKfiiiPfSD_PS3_PT2_iSC_SC_.kd
    .uniform_work_group_size: 1
    .uses_dynamic_stack: false
    .vgpr_count:     146
    .vgpr_spill_count: 0
    .wavefront_size: 32
    .workgroup_processor_mode: 1
  - .args:
      - .actual_access:  read_only
        .address_space:  global
        .offset:         0
        .size:           8
        .value_kind:     global_buffer
      - .actual_access:  read_only
        .address_space:  global
        .offset:         8
        .size:           8
        .value_kind:     global_buffer
      - .actual_access:  read_only
        .address_space:  global
        .offset:         16
        .size:           8
        .value_kind:     global_buffer
      - .offset:         24
        .size:           4
        .value_kind:     by_value
      - .offset:         28
        .size:           4
        .value_kind:     by_value
      - .actual_access:  read_only
        .address_space:  global
        .offset:         32
        .size:           8
        .value_kind:     global_buffer
      - .actual_access:  read_only
        .address_space:  global
        .offset:         40
        .size:           8
        .value_kind:     global_buffer
      - .actual_access:  read_only
        .address_space:  global
        .offset:         48
        .size:           8
        .value_kind:     global_buffer
      - .offset:         56
        .size:           4
        .value_kind:     by_value
      - .actual_access:  read_only
        .address_space:  global
        .offset:         64
        .size:           8
        .value_kind:     global_buffer
      - .offset:         72
        .size:           4
        .value_kind:     by_value
      - .offset:         76
        .size:           4
        .value_kind:     by_value
      - .offset:         80
        .size:           4
        .value_kind:     by_value
      - .actual_access:  write_only
        .address_space:  global
        .offset:         88
        .size:           8
        .value_kind:     global_buffer
      - .actual_access:  write_only
        .address_space:  global
        .offset:         96
        .size:           8
        .value_kind:     global_buffer
      - .actual_access:  write_only
        .address_space:  global
        .offset:         104
        .size:           8
        .value_kind:     global_buffer
      - .actual_access:  read_only
        .address_space:  global
        .offset:         112
        .size:           8
        .value_kind:     global_buffer
      - .offset:         120
        .size:           4
        .value_kind:     by_value
      - .address_space:  global
        .offset:         128
        .size:           8
        .value_kind:     global_buffer
      - .address_space:  global
        .offset:         136
        .size:           8
        .value_kind:     global_buffer
      - .offset:         144
        .size:           4
        .value_kind:     hidden_block_count_x
      - .offset:         148
        .size:           4
        .value_kind:     hidden_block_count_y
      - .offset:         152
        .size:           4
        .value_kind:     hidden_block_count_z
      - .offset:         156
        .size:           2
        .value_kind:     hidden_group_size_x
      - .offset:         158
        .size:           2
        .value_kind:     hidden_group_size_y
      - .offset:         160
        .size:           2
        .value_kind:     hidden_group_size_z
      - .offset:         162
        .size:           2
        .value_kind:     hidden_remainder_x
      - .offset:         164
        .size:           2
        .value_kind:     hidden_remainder_y
      - .offset:         166
        .size:           2
        .value_kind:     hidden_remainder_z
      - .offset:         184
        .size:           8
        .value_kind:     hidden_global_offset_x
      - .offset:         192
        .size:           8
        .value_kind:     hidden_global_offset_y
      - .offset:         200
        .size:           8
        .value_kind:     hidden_global_offset_z
      - .offset:         208
        .size:           2
        .value_kind:     hidden_grid_dims
    .group_segment_fixed_size: 17472
    .kernarg_segment_align: 8
    .kernarg_segment_size: 400
    .language:       OpenCL C
    .language_version:
      - 2
      - 0
    .max_flat_workgroup_size: 256
    .name:           _Z39paged_attention_ll4mi_QKV_mfma16_kernelIDF16_hLN4vllm18Fp8KVCacheDataTypeE1EDF16_Li16ELi64ELi256ELb0ELi14EL8MFMAType0EEvPKT_PKT0_S8_ifPKiSA_SA_iPKfiiiPfSD_PS3_PT2_iSC_SC_
    .private_segment_fixed_size: 0
    .sgpr_count:     38
    .sgpr_spill_count: 0
    .symbol:         _Z39paged_attention_ll4mi_QKV_mfma16_kernelIDF16_hLN4vllm18Fp8KVCacheDataTypeE1EDF16_Li16ELi64ELi256ELb0ELi14EL8MFMAType0EEvPKT_PKT0_S8_ifPKiSA_SA_iPKfiiiPfSD_PS3_PT2_iSC_SC_.kd
    .uniform_work_group_size: 1
    .uses_dynamic_stack: false
    .vgpr_count:     146
    .vgpr_spill_count: 0
    .wavefront_size: 32
    .workgroup_processor_mode: 1
  - .args:
      - .actual_access:  read_only
        .address_space:  global
        .offset:         0
        .size:           8
        .value_kind:     global_buffer
      - .actual_access:  read_only
        .address_space:  global
        .offset:         8
        .size:           8
        .value_kind:     global_buffer
      - .actual_access:  read_only
        .address_space:  global
        .offset:         16
        .size:           8
        .value_kind:     global_buffer
      - .offset:         24
        .size:           4
        .value_kind:     by_value
      - .offset:         28
        .size:           4
        .value_kind:     by_value
      - .actual_access:  read_only
        .address_space:  global
        .offset:         32
        .size:           8
        .value_kind:     global_buffer
      - .actual_access:  read_only
        .address_space:  global
        .offset:         40
        .size:           8
        .value_kind:     global_buffer
      - .actual_access:  read_only
        .address_space:  global
        .offset:         48
        .size:           8
        .value_kind:     global_buffer
      - .offset:         56
        .size:           4
        .value_kind:     by_value
      - .actual_access:  read_only
        .address_space:  global
        .offset:         64
        .size:           8
        .value_kind:     global_buffer
      - .offset:         72
        .size:           4
        .value_kind:     by_value
      - .offset:         76
        .size:           4
        .value_kind:     by_value
      - .offset:         80
        .size:           4
        .value_kind:     by_value
      - .actual_access:  write_only
        .address_space:  global
        .offset:         88
        .size:           8
        .value_kind:     global_buffer
      - .actual_access:  write_only
        .address_space:  global
        .offset:         96
        .size:           8
        .value_kind:     global_buffer
      - .actual_access:  write_only
        .address_space:  global
        .offset:         104
        .size:           8
        .value_kind:     global_buffer
      - .actual_access:  read_only
        .address_space:  global
        .offset:         112
        .size:           8
        .value_kind:     global_buffer
      - .offset:         120
        .size:           4
        .value_kind:     by_value
      - .address_space:  global
        .offset:         128
        .size:           8
        .value_kind:     global_buffer
      - .address_space:  global
        .offset:         136
        .size:           8
        .value_kind:     global_buffer
      - .offset:         144
        .size:           4
        .value_kind:     hidden_block_count_x
      - .offset:         148
        .size:           4
        .value_kind:     hidden_block_count_y
      - .offset:         152
        .size:           4
        .value_kind:     hidden_block_count_z
      - .offset:         156
        .size:           2
        .value_kind:     hidden_group_size_x
      - .offset:         158
        .size:           2
        .value_kind:     hidden_group_size_y
      - .offset:         160
        .size:           2
        .value_kind:     hidden_group_size_z
      - .offset:         162
        .size:           2
        .value_kind:     hidden_remainder_x
      - .offset:         164
        .size:           2
        .value_kind:     hidden_remainder_y
      - .offset:         166
        .size:           2
        .value_kind:     hidden_remainder_z
      - .offset:         184
        .size:           8
        .value_kind:     hidden_global_offset_x
      - .offset:         192
        .size:           8
        .value_kind:     hidden_global_offset_y
      - .offset:         200
        .size:           8
        .value_kind:     hidden_global_offset_z
      - .offset:         208
        .size:           2
        .value_kind:     hidden_grid_dims
    .group_segment_fixed_size: 17472
    .kernarg_segment_align: 8
    .kernarg_segment_size: 400
    .language:       OpenCL C
    .language_version:
      - 2
      - 0
    .max_flat_workgroup_size: 256
    .name:           _Z39paged_attention_ll4mi_QKV_mfma16_kernelIDF16_hLN4vllm18Fp8KVCacheDataTypeE1EDF16_Li16ELi64ELi256ELb0ELi15EL8MFMAType0EEvPKT_PKT0_S8_ifPKiSA_SA_iPKfiiiPfSD_PS3_PT2_iSC_SC_
    .private_segment_fixed_size: 0
    .sgpr_count:     39
    .sgpr_spill_count: 0
    .symbol:         _Z39paged_attention_ll4mi_QKV_mfma16_kernelIDF16_hLN4vllm18Fp8KVCacheDataTypeE1EDF16_Li16ELi64ELi256ELb0ELi15EL8MFMAType0EEvPKT_PKT0_S8_ifPKiSA_SA_iPKfiiiPfSD_PS3_PT2_iSC_SC_.kd
    .uniform_work_group_size: 1
    .uses_dynamic_stack: false
    .vgpr_count:     146
    .vgpr_spill_count: 0
    .wavefront_size: 32
    .workgroup_processor_mode: 1
  - .args:
      - .actual_access:  read_only
        .address_space:  global
        .offset:         0
        .size:           8
        .value_kind:     global_buffer
      - .actual_access:  read_only
        .address_space:  global
        .offset:         8
        .size:           8
        .value_kind:     global_buffer
      - .actual_access:  read_only
        .address_space:  global
        .offset:         16
        .size:           8
        .value_kind:     global_buffer
      - .offset:         24
        .size:           4
        .value_kind:     by_value
      - .offset:         28
        .size:           4
        .value_kind:     by_value
      - .actual_access:  read_only
        .address_space:  global
        .offset:         32
        .size:           8
        .value_kind:     global_buffer
      - .actual_access:  read_only
        .address_space:  global
        .offset:         40
        .size:           8
        .value_kind:     global_buffer
      - .actual_access:  read_only
        .address_space:  global
        .offset:         48
        .size:           8
        .value_kind:     global_buffer
      - .offset:         56
        .size:           4
        .value_kind:     by_value
      - .actual_access:  read_only
        .address_space:  global
        .offset:         64
        .size:           8
        .value_kind:     global_buffer
      - .offset:         72
        .size:           4
        .value_kind:     by_value
      - .offset:         76
        .size:           4
        .value_kind:     by_value
      - .offset:         80
        .size:           4
        .value_kind:     by_value
      - .actual_access:  write_only
        .address_space:  global
        .offset:         88
        .size:           8
        .value_kind:     global_buffer
      - .actual_access:  write_only
        .address_space:  global
        .offset:         96
        .size:           8
        .value_kind:     global_buffer
      - .actual_access:  write_only
        .address_space:  global
        .offset:         104
        .size:           8
        .value_kind:     global_buffer
      - .actual_access:  read_only
        .address_space:  global
        .offset:         112
        .size:           8
        .value_kind:     global_buffer
      - .offset:         120
        .size:           4
        .value_kind:     by_value
      - .address_space:  global
        .offset:         128
        .size:           8
        .value_kind:     global_buffer
      - .address_space:  global
        .offset:         136
        .size:           8
        .value_kind:     global_buffer
      - .offset:         144
        .size:           4
        .value_kind:     hidden_block_count_x
      - .offset:         148
        .size:           4
        .value_kind:     hidden_block_count_y
      - .offset:         152
        .size:           4
        .value_kind:     hidden_block_count_z
      - .offset:         156
        .size:           2
        .value_kind:     hidden_group_size_x
      - .offset:         158
        .size:           2
        .value_kind:     hidden_group_size_y
      - .offset:         160
        .size:           2
        .value_kind:     hidden_group_size_z
      - .offset:         162
        .size:           2
        .value_kind:     hidden_remainder_x
      - .offset:         164
        .size:           2
        .value_kind:     hidden_remainder_y
      - .offset:         166
        .size:           2
        .value_kind:     hidden_remainder_z
      - .offset:         184
        .size:           8
        .value_kind:     hidden_global_offset_x
      - .offset:         192
        .size:           8
        .value_kind:     hidden_global_offset_y
      - .offset:         200
        .size:           8
        .value_kind:     hidden_global_offset_z
      - .offset:         208
        .size:           2
        .value_kind:     hidden_grid_dims
    .group_segment_fixed_size: 17472
    .kernarg_segment_align: 8
    .kernarg_segment_size: 400
    .language:       OpenCL C
    .language_version:
      - 2
      - 0
    .max_flat_workgroup_size: 256
    .name:           _Z39paged_attention_ll4mi_QKV_mfma16_kernelIDF16_hLN4vllm18Fp8KVCacheDataTypeE1EDF16_Li16ELi64ELi256ELb0ELi16EL8MFMAType0EEvPKT_PKT0_S8_ifPKiSA_SA_iPKfiiiPfSD_PS3_PT2_iSC_SC_
    .private_segment_fixed_size: 0
    .sgpr_count:     42
    .sgpr_spill_count: 0
    .symbol:         _Z39paged_attention_ll4mi_QKV_mfma16_kernelIDF16_hLN4vllm18Fp8KVCacheDataTypeE1EDF16_Li16ELi64ELi256ELb0ELi16EL8MFMAType0EEvPKT_PKT0_S8_ifPKiSA_SA_iPKfiiiPfSD_PS3_PT2_iSC_SC_.kd
    .uniform_work_group_size: 1
    .uses_dynamic_stack: false
    .vgpr_count:     123
    .vgpr_spill_count: 0
    .wavefront_size: 32
    .workgroup_processor_mode: 1
  - .args:
      - .actual_access:  read_only
        .address_space:  global
        .offset:         0
        .size:           8
        .value_kind:     global_buffer
      - .actual_access:  read_only
        .address_space:  global
        .offset:         8
        .size:           8
        .value_kind:     global_buffer
      - .actual_access:  read_only
        .address_space:  global
        .offset:         16
        .size:           8
        .value_kind:     global_buffer
      - .offset:         24
        .size:           4
        .value_kind:     by_value
      - .offset:         28
        .size:           4
        .value_kind:     by_value
      - .actual_access:  read_only
        .address_space:  global
        .offset:         32
        .size:           8
        .value_kind:     global_buffer
      - .actual_access:  read_only
        .address_space:  global
        .offset:         40
        .size:           8
        .value_kind:     global_buffer
      - .actual_access:  read_only
        .address_space:  global
        .offset:         48
        .size:           8
        .value_kind:     global_buffer
      - .offset:         56
        .size:           4
        .value_kind:     by_value
      - .actual_access:  read_only
        .address_space:  global
        .offset:         64
        .size:           8
        .value_kind:     global_buffer
      - .offset:         72
        .size:           4
        .value_kind:     by_value
      - .offset:         76
        .size:           4
        .value_kind:     by_value
      - .offset:         80
        .size:           4
        .value_kind:     by_value
      - .actual_access:  write_only
        .address_space:  global
        .offset:         88
        .size:           8
        .value_kind:     global_buffer
      - .actual_access:  write_only
        .address_space:  global
        .offset:         96
        .size:           8
        .value_kind:     global_buffer
      - .actual_access:  write_only
        .address_space:  global
        .offset:         104
        .size:           8
        .value_kind:     global_buffer
      - .actual_access:  read_only
        .address_space:  global
        .offset:         112
        .size:           8
        .value_kind:     global_buffer
      - .offset:         120
        .size:           4
        .value_kind:     by_value
      - .address_space:  global
        .offset:         128
        .size:           8
        .value_kind:     global_buffer
      - .address_space:  global
        .offset:         136
        .size:           8
        .value_kind:     global_buffer
      - .offset:         144
        .size:           4
        .value_kind:     hidden_block_count_x
      - .offset:         148
        .size:           4
        .value_kind:     hidden_block_count_y
      - .offset:         152
        .size:           4
        .value_kind:     hidden_block_count_z
      - .offset:         156
        .size:           2
        .value_kind:     hidden_group_size_x
      - .offset:         158
        .size:           2
        .value_kind:     hidden_group_size_y
      - .offset:         160
        .size:           2
        .value_kind:     hidden_group_size_z
      - .offset:         162
        .size:           2
        .value_kind:     hidden_remainder_x
      - .offset:         164
        .size:           2
        .value_kind:     hidden_remainder_y
      - .offset:         166
        .size:           2
        .value_kind:     hidden_remainder_z
      - .offset:         184
        .size:           8
        .value_kind:     hidden_global_offset_x
      - .offset:         192
        .size:           8
        .value_kind:     hidden_global_offset_y
      - .offset:         200
        .size:           8
        .value_kind:     hidden_global_offset_z
      - .offset:         208
        .size:           2
        .value_kind:     hidden_grid_dims
    .group_segment_fixed_size: 17472
    .kernarg_segment_align: 8
    .kernarg_segment_size: 400
    .language:       OpenCL C
    .language_version:
      - 2
      - 0
    .max_flat_workgroup_size: 256
    .name:           _Z39paged_attention_ll4mi_QKV_mfma16_kernelIDF16_hLN4vllm18Fp8KVCacheDataTypeE1EDF16_Li16ELi64ELi256ELb0ELi1EL8MFMAType0EEvPKT_PKT0_S8_ifPKiSA_SA_iPKfiiiPfSD_PS3_PT2_iSC_SC_
    .private_segment_fixed_size: 0
    .sgpr_count:     50
    .sgpr_spill_count: 0
    .symbol:         _Z39paged_attention_ll4mi_QKV_mfma16_kernelIDF16_hLN4vllm18Fp8KVCacheDataTypeE1EDF16_Li16ELi64ELi256ELb0ELi1EL8MFMAType0EEvPKT_PKT0_S8_ifPKiSA_SA_iPKfiiiPfSD_PS3_PT2_iSC_SC_.kd
    .uniform_work_group_size: 1
    .uses_dynamic_stack: false
    .vgpr_count:     144
    .vgpr_spill_count: 0
    .wavefront_size: 32
    .workgroup_processor_mode: 1
  - .args:
      - .actual_access:  read_only
        .address_space:  global
        .offset:         0
        .size:           8
        .value_kind:     global_buffer
      - .actual_access:  read_only
        .address_space:  global
        .offset:         8
        .size:           8
        .value_kind:     global_buffer
      - .actual_access:  read_only
        .address_space:  global
        .offset:         16
        .size:           8
        .value_kind:     global_buffer
      - .offset:         24
        .size:           4
        .value_kind:     by_value
      - .offset:         28
        .size:           4
        .value_kind:     by_value
      - .actual_access:  read_only
        .address_space:  global
        .offset:         32
        .size:           8
        .value_kind:     global_buffer
      - .actual_access:  read_only
        .address_space:  global
        .offset:         40
        .size:           8
        .value_kind:     global_buffer
      - .actual_access:  read_only
        .address_space:  global
        .offset:         48
        .size:           8
        .value_kind:     global_buffer
      - .offset:         56
        .size:           4
        .value_kind:     by_value
      - .actual_access:  read_only
        .address_space:  global
        .offset:         64
        .size:           8
        .value_kind:     global_buffer
      - .offset:         72
        .size:           4
        .value_kind:     by_value
      - .offset:         76
        .size:           4
        .value_kind:     by_value
      - .offset:         80
        .size:           4
        .value_kind:     by_value
      - .actual_access:  write_only
        .address_space:  global
        .offset:         88
        .size:           8
        .value_kind:     global_buffer
      - .actual_access:  write_only
        .address_space:  global
        .offset:         96
        .size:           8
        .value_kind:     global_buffer
      - .actual_access:  write_only
        .address_space:  global
        .offset:         104
        .size:           8
        .value_kind:     global_buffer
      - .actual_access:  read_only
        .address_space:  global
        .offset:         112
        .size:           8
        .value_kind:     global_buffer
      - .offset:         120
        .size:           4
        .value_kind:     by_value
      - .address_space:  global
        .offset:         128
        .size:           8
        .value_kind:     global_buffer
      - .address_space:  global
        .offset:         136
        .size:           8
        .value_kind:     global_buffer
      - .offset:         144
        .size:           4
        .value_kind:     hidden_block_count_x
      - .offset:         148
        .size:           4
        .value_kind:     hidden_block_count_y
      - .offset:         152
        .size:           4
        .value_kind:     hidden_block_count_z
      - .offset:         156
        .size:           2
        .value_kind:     hidden_group_size_x
      - .offset:         158
        .size:           2
        .value_kind:     hidden_group_size_y
      - .offset:         160
        .size:           2
        .value_kind:     hidden_group_size_z
      - .offset:         162
        .size:           2
        .value_kind:     hidden_remainder_x
      - .offset:         164
        .size:           2
        .value_kind:     hidden_remainder_y
      - .offset:         166
        .size:           2
        .value_kind:     hidden_remainder_z
      - .offset:         184
        .size:           8
        .value_kind:     hidden_global_offset_x
      - .offset:         192
        .size:           8
        .value_kind:     hidden_global_offset_y
      - .offset:         200
        .size:           8
        .value_kind:     hidden_global_offset_z
      - .offset:         208
        .size:           2
        .value_kind:     hidden_grid_dims
    .group_segment_fixed_size: 17472
    .kernarg_segment_align: 8
    .kernarg_segment_size: 400
    .language:       OpenCL C
    .language_version:
      - 2
      - 0
    .max_flat_workgroup_size: 256
    .name:           _Z39paged_attention_ll4mi_QKV_mfma16_kernelIDF16_hLN4vllm18Fp8KVCacheDataTypeE1EDF16_Li16ELi64ELi256ELb0ELi2EL8MFMAType0EEvPKT_PKT0_S8_ifPKiSA_SA_iPKfiiiPfSD_PS3_PT2_iSC_SC_
    .private_segment_fixed_size: 0
    .sgpr_count:     38
    .sgpr_spill_count: 0
    .symbol:         _Z39paged_attention_ll4mi_QKV_mfma16_kernelIDF16_hLN4vllm18Fp8KVCacheDataTypeE1EDF16_Li16ELi64ELi256ELb0ELi2EL8MFMAType0EEvPKT_PKT0_S8_ifPKiSA_SA_iPKfiiiPfSD_PS3_PT2_iSC_SC_.kd
    .uniform_work_group_size: 1
    .uses_dynamic_stack: false
    .vgpr_count:     148
    .vgpr_spill_count: 0
    .wavefront_size: 32
    .workgroup_processor_mode: 1
  - .args:
      - .actual_access:  read_only
        .address_space:  global
        .offset:         0
        .size:           8
        .value_kind:     global_buffer
      - .actual_access:  read_only
        .address_space:  global
        .offset:         8
        .size:           8
        .value_kind:     global_buffer
      - .actual_access:  read_only
        .address_space:  global
        .offset:         16
        .size:           8
        .value_kind:     global_buffer
      - .offset:         24
        .size:           4
        .value_kind:     by_value
      - .offset:         28
        .size:           4
        .value_kind:     by_value
      - .actual_access:  read_only
        .address_space:  global
        .offset:         32
        .size:           8
        .value_kind:     global_buffer
      - .actual_access:  read_only
        .address_space:  global
        .offset:         40
        .size:           8
        .value_kind:     global_buffer
      - .actual_access:  read_only
        .address_space:  global
        .offset:         48
        .size:           8
        .value_kind:     global_buffer
      - .offset:         56
        .size:           4
        .value_kind:     by_value
      - .actual_access:  read_only
        .address_space:  global
        .offset:         64
        .size:           8
        .value_kind:     global_buffer
      - .offset:         72
        .size:           4
        .value_kind:     by_value
      - .offset:         76
        .size:           4
        .value_kind:     by_value
      - .offset:         80
        .size:           4
        .value_kind:     by_value
      - .actual_access:  write_only
        .address_space:  global
        .offset:         88
        .size:           8
        .value_kind:     global_buffer
      - .actual_access:  write_only
        .address_space:  global
        .offset:         96
        .size:           8
        .value_kind:     global_buffer
      - .actual_access:  write_only
        .address_space:  global
        .offset:         104
        .size:           8
        .value_kind:     global_buffer
      - .actual_access:  read_only
        .address_space:  global
        .offset:         112
        .size:           8
        .value_kind:     global_buffer
      - .offset:         120
        .size:           4
        .value_kind:     by_value
      - .address_space:  global
        .offset:         128
        .size:           8
        .value_kind:     global_buffer
      - .address_space:  global
        .offset:         136
        .size:           8
        .value_kind:     global_buffer
      - .offset:         144
        .size:           4
        .value_kind:     hidden_block_count_x
      - .offset:         148
        .size:           4
        .value_kind:     hidden_block_count_y
      - .offset:         152
        .size:           4
        .value_kind:     hidden_block_count_z
      - .offset:         156
        .size:           2
        .value_kind:     hidden_group_size_x
      - .offset:         158
        .size:           2
        .value_kind:     hidden_group_size_y
      - .offset:         160
        .size:           2
        .value_kind:     hidden_group_size_z
      - .offset:         162
        .size:           2
        .value_kind:     hidden_remainder_x
      - .offset:         164
        .size:           2
        .value_kind:     hidden_remainder_y
      - .offset:         166
        .size:           2
        .value_kind:     hidden_remainder_z
      - .offset:         184
        .size:           8
        .value_kind:     hidden_global_offset_x
      - .offset:         192
        .size:           8
        .value_kind:     hidden_global_offset_y
      - .offset:         200
        .size:           8
        .value_kind:     hidden_global_offset_z
      - .offset:         208
        .size:           2
        .value_kind:     hidden_grid_dims
    .group_segment_fixed_size: 17472
    .kernarg_segment_align: 8
    .kernarg_segment_size: 400
    .language:       OpenCL C
    .language_version:
      - 2
      - 0
    .max_flat_workgroup_size: 256
    .name:           _Z39paged_attention_ll4mi_QKV_mfma16_kernelIDF16_hLN4vllm18Fp8KVCacheDataTypeE1EDF16_Li16ELi64ELi256ELb0ELi3EL8MFMAType0EEvPKT_PKT0_S8_ifPKiSA_SA_iPKfiiiPfSD_PS3_PT2_iSC_SC_
    .private_segment_fixed_size: 0
    .sgpr_count:     39
    .sgpr_spill_count: 0
    .symbol:         _Z39paged_attention_ll4mi_QKV_mfma16_kernelIDF16_hLN4vllm18Fp8KVCacheDataTypeE1EDF16_Li16ELi64ELi256ELb0ELi3EL8MFMAType0EEvPKT_PKT0_S8_ifPKiSA_SA_iPKfiiiPfSD_PS3_PT2_iSC_SC_.kd
    .uniform_work_group_size: 1
    .uses_dynamic_stack: false
    .vgpr_count:     146
    .vgpr_spill_count: 0
    .wavefront_size: 32
    .workgroup_processor_mode: 1
  - .args:
      - .actual_access:  read_only
        .address_space:  global
        .offset:         0
        .size:           8
        .value_kind:     global_buffer
      - .actual_access:  read_only
        .address_space:  global
        .offset:         8
        .size:           8
        .value_kind:     global_buffer
      - .actual_access:  read_only
        .address_space:  global
        .offset:         16
        .size:           8
        .value_kind:     global_buffer
      - .offset:         24
        .size:           4
        .value_kind:     by_value
      - .offset:         28
        .size:           4
        .value_kind:     by_value
      - .actual_access:  read_only
        .address_space:  global
        .offset:         32
        .size:           8
        .value_kind:     global_buffer
      - .actual_access:  read_only
        .address_space:  global
        .offset:         40
        .size:           8
        .value_kind:     global_buffer
      - .actual_access:  read_only
        .address_space:  global
        .offset:         48
        .size:           8
        .value_kind:     global_buffer
      - .offset:         56
        .size:           4
        .value_kind:     by_value
      - .actual_access:  read_only
        .address_space:  global
        .offset:         64
        .size:           8
        .value_kind:     global_buffer
      - .offset:         72
        .size:           4
        .value_kind:     by_value
      - .offset:         76
        .size:           4
        .value_kind:     by_value
      - .offset:         80
        .size:           4
        .value_kind:     by_value
      - .actual_access:  write_only
        .address_space:  global
        .offset:         88
        .size:           8
        .value_kind:     global_buffer
      - .actual_access:  write_only
        .address_space:  global
        .offset:         96
        .size:           8
        .value_kind:     global_buffer
      - .actual_access:  write_only
        .address_space:  global
        .offset:         104
        .size:           8
        .value_kind:     global_buffer
      - .actual_access:  read_only
        .address_space:  global
        .offset:         112
        .size:           8
        .value_kind:     global_buffer
      - .offset:         120
        .size:           4
        .value_kind:     by_value
      - .address_space:  global
        .offset:         128
        .size:           8
        .value_kind:     global_buffer
      - .address_space:  global
        .offset:         136
        .size:           8
        .value_kind:     global_buffer
      - .offset:         144
        .size:           4
        .value_kind:     hidden_block_count_x
      - .offset:         148
        .size:           4
        .value_kind:     hidden_block_count_y
      - .offset:         152
        .size:           4
        .value_kind:     hidden_block_count_z
      - .offset:         156
        .size:           2
        .value_kind:     hidden_group_size_x
      - .offset:         158
        .size:           2
        .value_kind:     hidden_group_size_y
      - .offset:         160
        .size:           2
        .value_kind:     hidden_group_size_z
      - .offset:         162
        .size:           2
        .value_kind:     hidden_remainder_x
      - .offset:         164
        .size:           2
        .value_kind:     hidden_remainder_y
      - .offset:         166
        .size:           2
        .value_kind:     hidden_remainder_z
      - .offset:         184
        .size:           8
        .value_kind:     hidden_global_offset_x
      - .offset:         192
        .size:           8
        .value_kind:     hidden_global_offset_y
      - .offset:         200
        .size:           8
        .value_kind:     hidden_global_offset_z
      - .offset:         208
        .size:           2
        .value_kind:     hidden_grid_dims
    .group_segment_fixed_size: 17472
    .kernarg_segment_align: 8
    .kernarg_segment_size: 400
    .language:       OpenCL C
    .language_version:
      - 2
      - 0
    .max_flat_workgroup_size: 256
    .name:           _Z39paged_attention_ll4mi_QKV_mfma16_kernelIDF16_hLN4vllm18Fp8KVCacheDataTypeE1EDF16_Li16ELi64ELi256ELb0ELi4EL8MFMAType0EEvPKT_PKT0_S8_ifPKiSA_SA_iPKfiiiPfSD_PS3_PT2_iSC_SC_
    .private_segment_fixed_size: 0
    .sgpr_count:     42
    .sgpr_spill_count: 0
    .symbol:         _Z39paged_attention_ll4mi_QKV_mfma16_kernelIDF16_hLN4vllm18Fp8KVCacheDataTypeE1EDF16_Li16ELi64ELi256ELb0ELi4EL8MFMAType0EEvPKT_PKT0_S8_ifPKiSA_SA_iPKfiiiPfSD_PS3_PT2_iSC_SC_.kd
    .uniform_work_group_size: 1
    .uses_dynamic_stack: false
    .vgpr_count:     123
    .vgpr_spill_count: 0
    .wavefront_size: 32
    .workgroup_processor_mode: 1
  - .args:
      - .actual_access:  read_only
        .address_space:  global
        .offset:         0
        .size:           8
        .value_kind:     global_buffer
      - .actual_access:  read_only
        .address_space:  global
        .offset:         8
        .size:           8
        .value_kind:     global_buffer
      - .actual_access:  read_only
        .address_space:  global
        .offset:         16
        .size:           8
        .value_kind:     global_buffer
      - .offset:         24
        .size:           4
        .value_kind:     by_value
      - .offset:         28
        .size:           4
        .value_kind:     by_value
      - .actual_access:  read_only
        .address_space:  global
        .offset:         32
        .size:           8
        .value_kind:     global_buffer
      - .actual_access:  read_only
        .address_space:  global
        .offset:         40
        .size:           8
        .value_kind:     global_buffer
      - .actual_access:  read_only
        .address_space:  global
        .offset:         48
        .size:           8
        .value_kind:     global_buffer
      - .offset:         56
        .size:           4
        .value_kind:     by_value
      - .actual_access:  read_only
        .address_space:  global
        .offset:         64
        .size:           8
        .value_kind:     global_buffer
      - .offset:         72
        .size:           4
        .value_kind:     by_value
      - .offset:         76
        .size:           4
        .value_kind:     by_value
      - .offset:         80
        .size:           4
        .value_kind:     by_value
      - .actual_access:  write_only
        .address_space:  global
        .offset:         88
        .size:           8
        .value_kind:     global_buffer
      - .actual_access:  write_only
        .address_space:  global
        .offset:         96
        .size:           8
        .value_kind:     global_buffer
      - .actual_access:  write_only
        .address_space:  global
        .offset:         104
        .size:           8
        .value_kind:     global_buffer
      - .actual_access:  read_only
        .address_space:  global
        .offset:         112
        .size:           8
        .value_kind:     global_buffer
      - .offset:         120
        .size:           4
        .value_kind:     by_value
      - .address_space:  global
        .offset:         128
        .size:           8
        .value_kind:     global_buffer
      - .address_space:  global
        .offset:         136
        .size:           8
        .value_kind:     global_buffer
      - .offset:         144
        .size:           4
        .value_kind:     hidden_block_count_x
      - .offset:         148
        .size:           4
        .value_kind:     hidden_block_count_y
      - .offset:         152
        .size:           4
        .value_kind:     hidden_block_count_z
      - .offset:         156
        .size:           2
        .value_kind:     hidden_group_size_x
      - .offset:         158
        .size:           2
        .value_kind:     hidden_group_size_y
      - .offset:         160
        .size:           2
        .value_kind:     hidden_group_size_z
      - .offset:         162
        .size:           2
        .value_kind:     hidden_remainder_x
      - .offset:         164
        .size:           2
        .value_kind:     hidden_remainder_y
      - .offset:         166
        .size:           2
        .value_kind:     hidden_remainder_z
      - .offset:         184
        .size:           8
        .value_kind:     hidden_global_offset_x
      - .offset:         192
        .size:           8
        .value_kind:     hidden_global_offset_y
      - .offset:         200
        .size:           8
        .value_kind:     hidden_global_offset_z
      - .offset:         208
        .size:           2
        .value_kind:     hidden_grid_dims
    .group_segment_fixed_size: 17472
    .kernarg_segment_align: 8
    .kernarg_segment_size: 400
    .language:       OpenCL C
    .language_version:
      - 2
      - 0
    .max_flat_workgroup_size: 256
    .name:           _Z39paged_attention_ll4mi_QKV_mfma16_kernelIDF16_hLN4vllm18Fp8KVCacheDataTypeE1EhLi32ELi64ELi256ELb1ELi5EL8MFMAType0EEvPKT_PKT0_S8_ifPKiSA_SA_iPKfiiiPfSD_PS3_PT2_iSC_SC_
    .private_segment_fixed_size: 0
    .sgpr_count:     39
    .sgpr_spill_count: 0
    .symbol:         _Z39paged_attention_ll4mi_QKV_mfma16_kernelIDF16_hLN4vllm18Fp8KVCacheDataTypeE1EhLi32ELi64ELi256ELb1ELi5EL8MFMAType0EEvPKT_PKT0_S8_ifPKiSA_SA_iPKfiiiPfSD_PS3_PT2_iSC_SC_.kd
    .uniform_work_group_size: 1
    .uses_dynamic_stack: false
    .vgpr_count:     146
    .vgpr_spill_count: 0
    .wavefront_size: 32
    .workgroup_processor_mode: 1
  - .args:
      - .actual_access:  read_only
        .address_space:  global
        .offset:         0
        .size:           8
        .value_kind:     global_buffer
      - .actual_access:  read_only
        .address_space:  global
        .offset:         8
        .size:           8
        .value_kind:     global_buffer
      - .actual_access:  read_only
        .address_space:  global
        .offset:         16
        .size:           8
        .value_kind:     global_buffer
      - .offset:         24
        .size:           4
        .value_kind:     by_value
      - .offset:         28
        .size:           4
        .value_kind:     by_value
      - .actual_access:  read_only
        .address_space:  global
        .offset:         32
        .size:           8
        .value_kind:     global_buffer
      - .actual_access:  read_only
        .address_space:  global
        .offset:         40
        .size:           8
        .value_kind:     global_buffer
      - .actual_access:  read_only
        .address_space:  global
        .offset:         48
        .size:           8
        .value_kind:     global_buffer
      - .offset:         56
        .size:           4
        .value_kind:     by_value
      - .actual_access:  read_only
        .address_space:  global
        .offset:         64
        .size:           8
        .value_kind:     global_buffer
      - .offset:         72
        .size:           4
        .value_kind:     by_value
      - .offset:         76
        .size:           4
        .value_kind:     by_value
      - .offset:         80
        .size:           4
        .value_kind:     by_value
      - .actual_access:  write_only
        .address_space:  global
        .offset:         88
        .size:           8
        .value_kind:     global_buffer
      - .actual_access:  write_only
        .address_space:  global
        .offset:         96
        .size:           8
        .value_kind:     global_buffer
      - .actual_access:  write_only
        .address_space:  global
        .offset:         104
        .size:           8
        .value_kind:     global_buffer
      - .actual_access:  read_only
        .address_space:  global
        .offset:         112
        .size:           8
        .value_kind:     global_buffer
      - .offset:         120
        .size:           4
        .value_kind:     by_value
      - .address_space:  global
        .offset:         128
        .size:           8
        .value_kind:     global_buffer
      - .address_space:  global
        .offset:         136
        .size:           8
        .value_kind:     global_buffer
      - .offset:         144
        .size:           4
        .value_kind:     hidden_block_count_x
      - .offset:         148
        .size:           4
        .value_kind:     hidden_block_count_y
      - .offset:         152
        .size:           4
        .value_kind:     hidden_block_count_z
      - .offset:         156
        .size:           2
        .value_kind:     hidden_group_size_x
      - .offset:         158
        .size:           2
        .value_kind:     hidden_group_size_y
      - .offset:         160
        .size:           2
        .value_kind:     hidden_group_size_z
      - .offset:         162
        .size:           2
        .value_kind:     hidden_remainder_x
      - .offset:         164
        .size:           2
        .value_kind:     hidden_remainder_y
      - .offset:         166
        .size:           2
        .value_kind:     hidden_remainder_z
      - .offset:         184
        .size:           8
        .value_kind:     hidden_global_offset_x
      - .offset:         192
        .size:           8
        .value_kind:     hidden_global_offset_y
      - .offset:         200
        .size:           8
        .value_kind:     hidden_global_offset_z
      - .offset:         208
        .size:           2
        .value_kind:     hidden_grid_dims
    .group_segment_fixed_size: 17472
    .kernarg_segment_align: 8
    .kernarg_segment_size: 400
    .language:       OpenCL C
    .language_version:
      - 2
      - 0
    .max_flat_workgroup_size: 256
    .name:           _Z39paged_attention_ll4mi_QKV_mfma16_kernelIDF16_hLN4vllm18Fp8KVCacheDataTypeE1EhLi32ELi64ELi256ELb1ELi6EL8MFMAType0EEvPKT_PKT0_S8_ifPKiSA_SA_iPKfiiiPfSD_PS3_PT2_iSC_SC_
    .private_segment_fixed_size: 0
    .sgpr_count:     40
    .sgpr_spill_count: 0
    .symbol:         _Z39paged_attention_ll4mi_QKV_mfma16_kernelIDF16_hLN4vllm18Fp8KVCacheDataTypeE1EhLi32ELi64ELi256ELb1ELi6EL8MFMAType0EEvPKT_PKT0_S8_ifPKiSA_SA_iPKfiiiPfSD_PS3_PT2_iSC_SC_.kd
    .uniform_work_group_size: 1
    .uses_dynamic_stack: false
    .vgpr_count:     146
    .vgpr_spill_count: 0
    .wavefront_size: 32
    .workgroup_processor_mode: 1
  - .args:
      - .actual_access:  read_only
        .address_space:  global
        .offset:         0
        .size:           8
        .value_kind:     global_buffer
      - .actual_access:  read_only
        .address_space:  global
        .offset:         8
        .size:           8
        .value_kind:     global_buffer
      - .actual_access:  read_only
        .address_space:  global
        .offset:         16
        .size:           8
        .value_kind:     global_buffer
      - .offset:         24
        .size:           4
        .value_kind:     by_value
      - .offset:         28
        .size:           4
        .value_kind:     by_value
      - .actual_access:  read_only
        .address_space:  global
        .offset:         32
        .size:           8
        .value_kind:     global_buffer
      - .actual_access:  read_only
        .address_space:  global
        .offset:         40
        .size:           8
        .value_kind:     global_buffer
      - .actual_access:  read_only
        .address_space:  global
        .offset:         48
        .size:           8
        .value_kind:     global_buffer
      - .offset:         56
        .size:           4
        .value_kind:     by_value
      - .actual_access:  read_only
        .address_space:  global
        .offset:         64
        .size:           8
        .value_kind:     global_buffer
      - .offset:         72
        .size:           4
        .value_kind:     by_value
      - .offset:         76
        .size:           4
        .value_kind:     by_value
      - .offset:         80
        .size:           4
        .value_kind:     by_value
      - .actual_access:  write_only
        .address_space:  global
        .offset:         88
        .size:           8
        .value_kind:     global_buffer
      - .actual_access:  write_only
        .address_space:  global
        .offset:         96
        .size:           8
        .value_kind:     global_buffer
      - .actual_access:  write_only
        .address_space:  global
        .offset:         104
        .size:           8
        .value_kind:     global_buffer
      - .actual_access:  read_only
        .address_space:  global
        .offset:         112
        .size:           8
        .value_kind:     global_buffer
      - .offset:         120
        .size:           4
        .value_kind:     by_value
      - .address_space:  global
        .offset:         128
        .size:           8
        .value_kind:     global_buffer
      - .address_space:  global
        .offset:         136
        .size:           8
        .value_kind:     global_buffer
      - .offset:         144
        .size:           4
        .value_kind:     hidden_block_count_x
      - .offset:         148
        .size:           4
        .value_kind:     hidden_block_count_y
      - .offset:         152
        .size:           4
        .value_kind:     hidden_block_count_z
      - .offset:         156
        .size:           2
        .value_kind:     hidden_group_size_x
      - .offset:         158
        .size:           2
        .value_kind:     hidden_group_size_y
      - .offset:         160
        .size:           2
        .value_kind:     hidden_group_size_z
      - .offset:         162
        .size:           2
        .value_kind:     hidden_remainder_x
      - .offset:         164
        .size:           2
        .value_kind:     hidden_remainder_y
      - .offset:         166
        .size:           2
        .value_kind:     hidden_remainder_z
      - .offset:         184
        .size:           8
        .value_kind:     hidden_global_offset_x
      - .offset:         192
        .size:           8
        .value_kind:     hidden_global_offset_y
      - .offset:         200
        .size:           8
        .value_kind:     hidden_global_offset_z
      - .offset:         208
        .size:           2
        .value_kind:     hidden_grid_dims
    .group_segment_fixed_size: 17472
    .kernarg_segment_align: 8
    .kernarg_segment_size: 400
    .language:       OpenCL C
    .language_version:
      - 2
      - 0
    .max_flat_workgroup_size: 256
    .name:           _Z39paged_attention_ll4mi_QKV_mfma16_kernelIDF16_hLN4vllm18Fp8KVCacheDataTypeE1EhLi32ELi64ELi256ELb1ELi7EL8MFMAType0EEvPKT_PKT0_S8_ifPKiSA_SA_iPKfiiiPfSD_PS3_PT2_iSC_SC_
    .private_segment_fixed_size: 0
    .sgpr_count:     39
    .sgpr_spill_count: 0
    .symbol:         _Z39paged_attention_ll4mi_QKV_mfma16_kernelIDF16_hLN4vllm18Fp8KVCacheDataTypeE1EhLi32ELi64ELi256ELb1ELi7EL8MFMAType0EEvPKT_PKT0_S8_ifPKiSA_SA_iPKfiiiPfSD_PS3_PT2_iSC_SC_.kd
    .uniform_work_group_size: 1
    .uses_dynamic_stack: false
    .vgpr_count:     146
    .vgpr_spill_count: 0
    .wavefront_size: 32
    .workgroup_processor_mode: 1
  - .args:
      - .actual_access:  read_only
        .address_space:  global
        .offset:         0
        .size:           8
        .value_kind:     global_buffer
      - .actual_access:  read_only
        .address_space:  global
        .offset:         8
        .size:           8
        .value_kind:     global_buffer
      - .actual_access:  read_only
        .address_space:  global
        .offset:         16
        .size:           8
        .value_kind:     global_buffer
      - .offset:         24
        .size:           4
        .value_kind:     by_value
      - .offset:         28
        .size:           4
        .value_kind:     by_value
      - .actual_access:  read_only
        .address_space:  global
        .offset:         32
        .size:           8
        .value_kind:     global_buffer
      - .actual_access:  read_only
        .address_space:  global
        .offset:         40
        .size:           8
        .value_kind:     global_buffer
      - .actual_access:  read_only
        .address_space:  global
        .offset:         48
        .size:           8
        .value_kind:     global_buffer
      - .offset:         56
        .size:           4
        .value_kind:     by_value
      - .actual_access:  read_only
        .address_space:  global
        .offset:         64
        .size:           8
        .value_kind:     global_buffer
      - .offset:         72
        .size:           4
        .value_kind:     by_value
      - .offset:         76
        .size:           4
        .value_kind:     by_value
      - .offset:         80
        .size:           4
        .value_kind:     by_value
      - .actual_access:  write_only
        .address_space:  global
        .offset:         88
        .size:           8
        .value_kind:     global_buffer
      - .actual_access:  write_only
        .address_space:  global
        .offset:         96
        .size:           8
        .value_kind:     global_buffer
      - .actual_access:  write_only
        .address_space:  global
        .offset:         104
        .size:           8
        .value_kind:     global_buffer
      - .actual_access:  read_only
        .address_space:  global
        .offset:         112
        .size:           8
        .value_kind:     global_buffer
      - .offset:         120
        .size:           4
        .value_kind:     by_value
      - .address_space:  global
        .offset:         128
        .size:           8
        .value_kind:     global_buffer
      - .address_space:  global
        .offset:         136
        .size:           8
        .value_kind:     global_buffer
      - .offset:         144
        .size:           4
        .value_kind:     hidden_block_count_x
      - .offset:         148
        .size:           4
        .value_kind:     hidden_block_count_y
      - .offset:         152
        .size:           4
        .value_kind:     hidden_block_count_z
      - .offset:         156
        .size:           2
        .value_kind:     hidden_group_size_x
      - .offset:         158
        .size:           2
        .value_kind:     hidden_group_size_y
      - .offset:         160
        .size:           2
        .value_kind:     hidden_group_size_z
      - .offset:         162
        .size:           2
        .value_kind:     hidden_remainder_x
      - .offset:         164
        .size:           2
        .value_kind:     hidden_remainder_y
      - .offset:         166
        .size:           2
        .value_kind:     hidden_remainder_z
      - .offset:         184
        .size:           8
        .value_kind:     hidden_global_offset_x
      - .offset:         192
        .size:           8
        .value_kind:     hidden_global_offset_y
      - .offset:         200
        .size:           8
        .value_kind:     hidden_global_offset_z
      - .offset:         208
        .size:           2
        .value_kind:     hidden_grid_dims
    .group_segment_fixed_size: 17472
    .kernarg_segment_align: 8
    .kernarg_segment_size: 400
    .language:       OpenCL C
    .language_version:
      - 2
      - 0
    .max_flat_workgroup_size: 256
    .name:           _Z39paged_attention_ll4mi_QKV_mfma16_kernelIDF16_hLN4vllm18Fp8KVCacheDataTypeE1EhLi32ELi64ELi256ELb1ELi8EL8MFMAType0EEvPKT_PKT0_S8_ifPKiSA_SA_iPKfiiiPfSD_PS3_PT2_iSC_SC_
    .private_segment_fixed_size: 0
    .sgpr_count:     44
    .sgpr_spill_count: 0
    .symbol:         _Z39paged_attention_ll4mi_QKV_mfma16_kernelIDF16_hLN4vllm18Fp8KVCacheDataTypeE1EhLi32ELi64ELi256ELb1ELi8EL8MFMAType0EEvPKT_PKT0_S8_ifPKiSA_SA_iPKfiiiPfSD_PS3_PT2_iSC_SC_.kd
    .uniform_work_group_size: 1
    .uses_dynamic_stack: false
    .vgpr_count:     123
    .vgpr_spill_count: 0
    .wavefront_size: 32
    .workgroup_processor_mode: 1
  - .args:
      - .actual_access:  read_only
        .address_space:  global
        .offset:         0
        .size:           8
        .value_kind:     global_buffer
      - .actual_access:  read_only
        .address_space:  global
        .offset:         8
        .size:           8
        .value_kind:     global_buffer
      - .actual_access:  read_only
        .address_space:  global
        .offset:         16
        .size:           8
        .value_kind:     global_buffer
      - .offset:         24
        .size:           4
        .value_kind:     by_value
      - .offset:         28
        .size:           4
        .value_kind:     by_value
      - .actual_access:  read_only
        .address_space:  global
        .offset:         32
        .size:           8
        .value_kind:     global_buffer
      - .actual_access:  read_only
        .address_space:  global
        .offset:         40
        .size:           8
        .value_kind:     global_buffer
      - .actual_access:  read_only
        .address_space:  global
        .offset:         48
        .size:           8
        .value_kind:     global_buffer
      - .offset:         56
        .size:           4
        .value_kind:     by_value
      - .actual_access:  read_only
        .address_space:  global
        .offset:         64
        .size:           8
        .value_kind:     global_buffer
      - .offset:         72
        .size:           4
        .value_kind:     by_value
      - .offset:         76
        .size:           4
        .value_kind:     by_value
      - .offset:         80
        .size:           4
        .value_kind:     by_value
      - .actual_access:  write_only
        .address_space:  global
        .offset:         88
        .size:           8
        .value_kind:     global_buffer
      - .actual_access:  write_only
        .address_space:  global
        .offset:         96
        .size:           8
        .value_kind:     global_buffer
      - .actual_access:  write_only
        .address_space:  global
        .offset:         104
        .size:           8
        .value_kind:     global_buffer
      - .actual_access:  read_only
        .address_space:  global
        .offset:         112
        .size:           8
        .value_kind:     global_buffer
      - .offset:         120
        .size:           4
        .value_kind:     by_value
      - .address_space:  global
        .offset:         128
        .size:           8
        .value_kind:     global_buffer
      - .address_space:  global
        .offset:         136
        .size:           8
        .value_kind:     global_buffer
      - .offset:         144
        .size:           4
        .value_kind:     hidden_block_count_x
      - .offset:         148
        .size:           4
        .value_kind:     hidden_block_count_y
      - .offset:         152
        .size:           4
        .value_kind:     hidden_block_count_z
      - .offset:         156
        .size:           2
        .value_kind:     hidden_group_size_x
      - .offset:         158
        .size:           2
        .value_kind:     hidden_group_size_y
      - .offset:         160
        .size:           2
        .value_kind:     hidden_group_size_z
      - .offset:         162
        .size:           2
        .value_kind:     hidden_remainder_x
      - .offset:         164
        .size:           2
        .value_kind:     hidden_remainder_y
      - .offset:         166
        .size:           2
        .value_kind:     hidden_remainder_z
      - .offset:         184
        .size:           8
        .value_kind:     hidden_global_offset_x
      - .offset:         192
        .size:           8
        .value_kind:     hidden_global_offset_y
      - .offset:         200
        .size:           8
        .value_kind:     hidden_global_offset_z
      - .offset:         208
        .size:           2
        .value_kind:     hidden_grid_dims
    .group_segment_fixed_size: 17472
    .kernarg_segment_align: 8
    .kernarg_segment_size: 400
    .language:       OpenCL C
    .language_version:
      - 2
      - 0
    .max_flat_workgroup_size: 256
    .name:           _Z39paged_attention_ll4mi_QKV_mfma16_kernelIDF16_hLN4vllm18Fp8KVCacheDataTypeE1EhLi32ELi64ELi256ELb1ELi9EL8MFMAType0EEvPKT_PKT0_S8_ifPKiSA_SA_iPKfiiiPfSD_PS3_PT2_iSC_SC_
    .private_segment_fixed_size: 0
    .sgpr_count:     39
    .sgpr_spill_count: 0
    .symbol:         _Z39paged_attention_ll4mi_QKV_mfma16_kernelIDF16_hLN4vllm18Fp8KVCacheDataTypeE1EhLi32ELi64ELi256ELb1ELi9EL8MFMAType0EEvPKT_PKT0_S8_ifPKiSA_SA_iPKfiiiPfSD_PS3_PT2_iSC_SC_.kd
    .uniform_work_group_size: 1
    .uses_dynamic_stack: false
    .vgpr_count:     146
    .vgpr_spill_count: 0
    .wavefront_size: 32
    .workgroup_processor_mode: 1
  - .args:
      - .actual_access:  read_only
        .address_space:  global
        .offset:         0
        .size:           8
        .value_kind:     global_buffer
      - .actual_access:  read_only
        .address_space:  global
        .offset:         8
        .size:           8
        .value_kind:     global_buffer
      - .actual_access:  read_only
        .address_space:  global
        .offset:         16
        .size:           8
        .value_kind:     global_buffer
      - .offset:         24
        .size:           4
        .value_kind:     by_value
      - .offset:         28
        .size:           4
        .value_kind:     by_value
      - .actual_access:  read_only
        .address_space:  global
        .offset:         32
        .size:           8
        .value_kind:     global_buffer
      - .actual_access:  read_only
        .address_space:  global
        .offset:         40
        .size:           8
        .value_kind:     global_buffer
      - .actual_access:  read_only
        .address_space:  global
        .offset:         48
        .size:           8
        .value_kind:     global_buffer
      - .offset:         56
        .size:           4
        .value_kind:     by_value
      - .actual_access:  read_only
        .address_space:  global
        .offset:         64
        .size:           8
        .value_kind:     global_buffer
      - .offset:         72
        .size:           4
        .value_kind:     by_value
      - .offset:         76
        .size:           4
        .value_kind:     by_value
      - .offset:         80
        .size:           4
        .value_kind:     by_value
      - .actual_access:  write_only
        .address_space:  global
        .offset:         88
        .size:           8
        .value_kind:     global_buffer
      - .actual_access:  write_only
        .address_space:  global
        .offset:         96
        .size:           8
        .value_kind:     global_buffer
      - .actual_access:  write_only
        .address_space:  global
        .offset:         104
        .size:           8
        .value_kind:     global_buffer
      - .actual_access:  read_only
        .address_space:  global
        .offset:         112
        .size:           8
        .value_kind:     global_buffer
      - .offset:         120
        .size:           4
        .value_kind:     by_value
      - .address_space:  global
        .offset:         128
        .size:           8
        .value_kind:     global_buffer
      - .address_space:  global
        .offset:         136
        .size:           8
        .value_kind:     global_buffer
      - .offset:         144
        .size:           4
        .value_kind:     hidden_block_count_x
      - .offset:         148
        .size:           4
        .value_kind:     hidden_block_count_y
      - .offset:         152
        .size:           4
        .value_kind:     hidden_block_count_z
      - .offset:         156
        .size:           2
        .value_kind:     hidden_group_size_x
      - .offset:         158
        .size:           2
        .value_kind:     hidden_group_size_y
      - .offset:         160
        .size:           2
        .value_kind:     hidden_group_size_z
      - .offset:         162
        .size:           2
        .value_kind:     hidden_remainder_x
      - .offset:         164
        .size:           2
        .value_kind:     hidden_remainder_y
      - .offset:         166
        .size:           2
        .value_kind:     hidden_remainder_z
      - .offset:         184
        .size:           8
        .value_kind:     hidden_global_offset_x
      - .offset:         192
        .size:           8
        .value_kind:     hidden_global_offset_y
      - .offset:         200
        .size:           8
        .value_kind:     hidden_global_offset_z
      - .offset:         208
        .size:           2
        .value_kind:     hidden_grid_dims
    .group_segment_fixed_size: 17472
    .kernarg_segment_align: 8
    .kernarg_segment_size: 400
    .language:       OpenCL C
    .language_version:
      - 2
      - 0
    .max_flat_workgroup_size: 256
    .name:           _Z39paged_attention_ll4mi_QKV_mfma16_kernelIDF16_hLN4vllm18Fp8KVCacheDataTypeE1EhLi32ELi64ELi256ELb1ELi10EL8MFMAType0EEvPKT_PKT0_S8_ifPKiSA_SA_iPKfiiiPfSD_PS3_PT2_iSC_SC_
    .private_segment_fixed_size: 0
    .sgpr_count:     40
    .sgpr_spill_count: 0
    .symbol:         _Z39paged_attention_ll4mi_QKV_mfma16_kernelIDF16_hLN4vllm18Fp8KVCacheDataTypeE1EhLi32ELi64ELi256ELb1ELi10EL8MFMAType0EEvPKT_PKT0_S8_ifPKiSA_SA_iPKfiiiPfSD_PS3_PT2_iSC_SC_.kd
    .uniform_work_group_size: 1
    .uses_dynamic_stack: false
    .vgpr_count:     146
    .vgpr_spill_count: 0
    .wavefront_size: 32
    .workgroup_processor_mode: 1
  - .args:
      - .actual_access:  read_only
        .address_space:  global
        .offset:         0
        .size:           8
        .value_kind:     global_buffer
      - .actual_access:  read_only
        .address_space:  global
        .offset:         8
        .size:           8
        .value_kind:     global_buffer
      - .actual_access:  read_only
        .address_space:  global
        .offset:         16
        .size:           8
        .value_kind:     global_buffer
      - .offset:         24
        .size:           4
        .value_kind:     by_value
      - .offset:         28
        .size:           4
        .value_kind:     by_value
      - .actual_access:  read_only
        .address_space:  global
        .offset:         32
        .size:           8
        .value_kind:     global_buffer
      - .actual_access:  read_only
        .address_space:  global
        .offset:         40
        .size:           8
        .value_kind:     global_buffer
      - .actual_access:  read_only
        .address_space:  global
        .offset:         48
        .size:           8
        .value_kind:     global_buffer
      - .offset:         56
        .size:           4
        .value_kind:     by_value
      - .actual_access:  read_only
        .address_space:  global
        .offset:         64
        .size:           8
        .value_kind:     global_buffer
      - .offset:         72
        .size:           4
        .value_kind:     by_value
      - .offset:         76
        .size:           4
        .value_kind:     by_value
      - .offset:         80
        .size:           4
        .value_kind:     by_value
      - .actual_access:  write_only
        .address_space:  global
        .offset:         88
        .size:           8
        .value_kind:     global_buffer
      - .actual_access:  write_only
        .address_space:  global
        .offset:         96
        .size:           8
        .value_kind:     global_buffer
      - .actual_access:  write_only
        .address_space:  global
        .offset:         104
        .size:           8
        .value_kind:     global_buffer
      - .actual_access:  read_only
        .address_space:  global
        .offset:         112
        .size:           8
        .value_kind:     global_buffer
      - .offset:         120
        .size:           4
        .value_kind:     by_value
      - .address_space:  global
        .offset:         128
        .size:           8
        .value_kind:     global_buffer
      - .address_space:  global
        .offset:         136
        .size:           8
        .value_kind:     global_buffer
      - .offset:         144
        .size:           4
        .value_kind:     hidden_block_count_x
      - .offset:         148
        .size:           4
        .value_kind:     hidden_block_count_y
      - .offset:         152
        .size:           4
        .value_kind:     hidden_block_count_z
      - .offset:         156
        .size:           2
        .value_kind:     hidden_group_size_x
      - .offset:         158
        .size:           2
        .value_kind:     hidden_group_size_y
      - .offset:         160
        .size:           2
        .value_kind:     hidden_group_size_z
      - .offset:         162
        .size:           2
        .value_kind:     hidden_remainder_x
      - .offset:         164
        .size:           2
        .value_kind:     hidden_remainder_y
      - .offset:         166
        .size:           2
        .value_kind:     hidden_remainder_z
      - .offset:         184
        .size:           8
        .value_kind:     hidden_global_offset_x
      - .offset:         192
        .size:           8
        .value_kind:     hidden_global_offset_y
      - .offset:         200
        .size:           8
        .value_kind:     hidden_global_offset_z
      - .offset:         208
        .size:           2
        .value_kind:     hidden_grid_dims
    .group_segment_fixed_size: 17472
    .kernarg_segment_align: 8
    .kernarg_segment_size: 400
    .language:       OpenCL C
    .language_version:
      - 2
      - 0
    .max_flat_workgroup_size: 256
    .name:           _Z39paged_attention_ll4mi_QKV_mfma16_kernelIDF16_hLN4vllm18Fp8KVCacheDataTypeE1EhLi32ELi64ELi256ELb1ELi11EL8MFMAType0EEvPKT_PKT0_S8_ifPKiSA_SA_iPKfiiiPfSD_PS3_PT2_iSC_SC_
    .private_segment_fixed_size: 0
    .sgpr_count:     39
    .sgpr_spill_count: 0
    .symbol:         _Z39paged_attention_ll4mi_QKV_mfma16_kernelIDF16_hLN4vllm18Fp8KVCacheDataTypeE1EhLi32ELi64ELi256ELb1ELi11EL8MFMAType0EEvPKT_PKT0_S8_ifPKiSA_SA_iPKfiiiPfSD_PS3_PT2_iSC_SC_.kd
    .uniform_work_group_size: 1
    .uses_dynamic_stack: false
    .vgpr_count:     146
    .vgpr_spill_count: 0
    .wavefront_size: 32
    .workgroup_processor_mode: 1
  - .args:
      - .actual_access:  read_only
        .address_space:  global
        .offset:         0
        .size:           8
        .value_kind:     global_buffer
      - .actual_access:  read_only
        .address_space:  global
        .offset:         8
        .size:           8
        .value_kind:     global_buffer
      - .actual_access:  read_only
        .address_space:  global
        .offset:         16
        .size:           8
        .value_kind:     global_buffer
      - .offset:         24
        .size:           4
        .value_kind:     by_value
      - .offset:         28
        .size:           4
        .value_kind:     by_value
      - .actual_access:  read_only
        .address_space:  global
        .offset:         32
        .size:           8
        .value_kind:     global_buffer
      - .actual_access:  read_only
        .address_space:  global
        .offset:         40
        .size:           8
        .value_kind:     global_buffer
      - .actual_access:  read_only
        .address_space:  global
        .offset:         48
        .size:           8
        .value_kind:     global_buffer
      - .offset:         56
        .size:           4
        .value_kind:     by_value
      - .actual_access:  read_only
        .address_space:  global
        .offset:         64
        .size:           8
        .value_kind:     global_buffer
      - .offset:         72
        .size:           4
        .value_kind:     by_value
      - .offset:         76
        .size:           4
        .value_kind:     by_value
      - .offset:         80
        .size:           4
        .value_kind:     by_value
      - .actual_access:  write_only
        .address_space:  global
        .offset:         88
        .size:           8
        .value_kind:     global_buffer
      - .actual_access:  write_only
        .address_space:  global
        .offset:         96
        .size:           8
        .value_kind:     global_buffer
      - .actual_access:  write_only
        .address_space:  global
        .offset:         104
        .size:           8
        .value_kind:     global_buffer
      - .actual_access:  read_only
        .address_space:  global
        .offset:         112
        .size:           8
        .value_kind:     global_buffer
      - .offset:         120
        .size:           4
        .value_kind:     by_value
      - .address_space:  global
        .offset:         128
        .size:           8
        .value_kind:     global_buffer
      - .address_space:  global
        .offset:         136
        .size:           8
        .value_kind:     global_buffer
      - .offset:         144
        .size:           4
        .value_kind:     hidden_block_count_x
      - .offset:         148
        .size:           4
        .value_kind:     hidden_block_count_y
      - .offset:         152
        .size:           4
        .value_kind:     hidden_block_count_z
      - .offset:         156
        .size:           2
        .value_kind:     hidden_group_size_x
      - .offset:         158
        .size:           2
        .value_kind:     hidden_group_size_y
      - .offset:         160
        .size:           2
        .value_kind:     hidden_group_size_z
      - .offset:         162
        .size:           2
        .value_kind:     hidden_remainder_x
      - .offset:         164
        .size:           2
        .value_kind:     hidden_remainder_y
      - .offset:         166
        .size:           2
        .value_kind:     hidden_remainder_z
      - .offset:         184
        .size:           8
        .value_kind:     hidden_global_offset_x
      - .offset:         192
        .size:           8
        .value_kind:     hidden_global_offset_y
      - .offset:         200
        .size:           8
        .value_kind:     hidden_global_offset_z
      - .offset:         208
        .size:           2
        .value_kind:     hidden_grid_dims
    .group_segment_fixed_size: 17472
    .kernarg_segment_align: 8
    .kernarg_segment_size: 400
    .language:       OpenCL C
    .language_version:
      - 2
      - 0
    .max_flat_workgroup_size: 256
    .name:           _Z39paged_attention_ll4mi_QKV_mfma16_kernelIDF16_hLN4vllm18Fp8KVCacheDataTypeE1EhLi32ELi64ELi256ELb1ELi12EL8MFMAType0EEvPKT_PKT0_S8_ifPKiSA_SA_iPKfiiiPfSD_PS3_PT2_iSC_SC_
    .private_segment_fixed_size: 0
    .sgpr_count:     40
    .sgpr_spill_count: 0
    .symbol:         _Z39paged_attention_ll4mi_QKV_mfma16_kernelIDF16_hLN4vllm18Fp8KVCacheDataTypeE1EhLi32ELi64ELi256ELb1ELi12EL8MFMAType0EEvPKT_PKT0_S8_ifPKiSA_SA_iPKfiiiPfSD_PS3_PT2_iSC_SC_.kd
    .uniform_work_group_size: 1
    .uses_dynamic_stack: false
    .vgpr_count:     146
    .vgpr_spill_count: 0
    .wavefront_size: 32
    .workgroup_processor_mode: 1
  - .args:
      - .actual_access:  read_only
        .address_space:  global
        .offset:         0
        .size:           8
        .value_kind:     global_buffer
      - .actual_access:  read_only
        .address_space:  global
        .offset:         8
        .size:           8
        .value_kind:     global_buffer
      - .actual_access:  read_only
        .address_space:  global
        .offset:         16
        .size:           8
        .value_kind:     global_buffer
      - .offset:         24
        .size:           4
        .value_kind:     by_value
      - .offset:         28
        .size:           4
        .value_kind:     by_value
      - .actual_access:  read_only
        .address_space:  global
        .offset:         32
        .size:           8
        .value_kind:     global_buffer
      - .actual_access:  read_only
        .address_space:  global
        .offset:         40
        .size:           8
        .value_kind:     global_buffer
      - .actual_access:  read_only
        .address_space:  global
        .offset:         48
        .size:           8
        .value_kind:     global_buffer
      - .offset:         56
        .size:           4
        .value_kind:     by_value
      - .actual_access:  read_only
        .address_space:  global
        .offset:         64
        .size:           8
        .value_kind:     global_buffer
      - .offset:         72
        .size:           4
        .value_kind:     by_value
      - .offset:         76
        .size:           4
        .value_kind:     by_value
      - .offset:         80
        .size:           4
        .value_kind:     by_value
      - .actual_access:  write_only
        .address_space:  global
        .offset:         88
        .size:           8
        .value_kind:     global_buffer
      - .actual_access:  write_only
        .address_space:  global
        .offset:         96
        .size:           8
        .value_kind:     global_buffer
      - .actual_access:  write_only
        .address_space:  global
        .offset:         104
        .size:           8
        .value_kind:     global_buffer
      - .actual_access:  read_only
        .address_space:  global
        .offset:         112
        .size:           8
        .value_kind:     global_buffer
      - .offset:         120
        .size:           4
        .value_kind:     by_value
      - .address_space:  global
        .offset:         128
        .size:           8
        .value_kind:     global_buffer
      - .address_space:  global
        .offset:         136
        .size:           8
        .value_kind:     global_buffer
      - .offset:         144
        .size:           4
        .value_kind:     hidden_block_count_x
      - .offset:         148
        .size:           4
        .value_kind:     hidden_block_count_y
      - .offset:         152
        .size:           4
        .value_kind:     hidden_block_count_z
      - .offset:         156
        .size:           2
        .value_kind:     hidden_group_size_x
      - .offset:         158
        .size:           2
        .value_kind:     hidden_group_size_y
      - .offset:         160
        .size:           2
        .value_kind:     hidden_group_size_z
      - .offset:         162
        .size:           2
        .value_kind:     hidden_remainder_x
      - .offset:         164
        .size:           2
        .value_kind:     hidden_remainder_y
      - .offset:         166
        .size:           2
        .value_kind:     hidden_remainder_z
      - .offset:         184
        .size:           8
        .value_kind:     hidden_global_offset_x
      - .offset:         192
        .size:           8
        .value_kind:     hidden_global_offset_y
      - .offset:         200
        .size:           8
        .value_kind:     hidden_global_offset_z
      - .offset:         208
        .size:           2
        .value_kind:     hidden_grid_dims
    .group_segment_fixed_size: 17472
    .kernarg_segment_align: 8
    .kernarg_segment_size: 400
    .language:       OpenCL C
    .language_version:
      - 2
      - 0
    .max_flat_workgroup_size: 256
    .name:           _Z39paged_attention_ll4mi_QKV_mfma16_kernelIDF16_hLN4vllm18Fp8KVCacheDataTypeE1EhLi32ELi64ELi256ELb1ELi13EL8MFMAType0EEvPKT_PKT0_S8_ifPKiSA_SA_iPKfiiiPfSD_PS3_PT2_iSC_SC_
    .private_segment_fixed_size: 0
    .sgpr_count:     39
    .sgpr_spill_count: 0
    .symbol:         _Z39paged_attention_ll4mi_QKV_mfma16_kernelIDF16_hLN4vllm18Fp8KVCacheDataTypeE1EhLi32ELi64ELi256ELb1ELi13EL8MFMAType0EEvPKT_PKT0_S8_ifPKiSA_SA_iPKfiiiPfSD_PS3_PT2_iSC_SC_.kd
    .uniform_work_group_size: 1
    .uses_dynamic_stack: false
    .vgpr_count:     146
    .vgpr_spill_count: 0
    .wavefront_size: 32
    .workgroup_processor_mode: 1
  - .args:
      - .actual_access:  read_only
        .address_space:  global
        .offset:         0
        .size:           8
        .value_kind:     global_buffer
      - .actual_access:  read_only
        .address_space:  global
        .offset:         8
        .size:           8
        .value_kind:     global_buffer
      - .actual_access:  read_only
        .address_space:  global
        .offset:         16
        .size:           8
        .value_kind:     global_buffer
      - .offset:         24
        .size:           4
        .value_kind:     by_value
      - .offset:         28
        .size:           4
        .value_kind:     by_value
      - .actual_access:  read_only
        .address_space:  global
        .offset:         32
        .size:           8
        .value_kind:     global_buffer
      - .actual_access:  read_only
        .address_space:  global
        .offset:         40
        .size:           8
        .value_kind:     global_buffer
      - .actual_access:  read_only
        .address_space:  global
        .offset:         48
        .size:           8
        .value_kind:     global_buffer
      - .offset:         56
        .size:           4
        .value_kind:     by_value
      - .actual_access:  read_only
        .address_space:  global
        .offset:         64
        .size:           8
        .value_kind:     global_buffer
      - .offset:         72
        .size:           4
        .value_kind:     by_value
      - .offset:         76
        .size:           4
        .value_kind:     by_value
      - .offset:         80
        .size:           4
        .value_kind:     by_value
      - .actual_access:  write_only
        .address_space:  global
        .offset:         88
        .size:           8
        .value_kind:     global_buffer
      - .actual_access:  write_only
        .address_space:  global
        .offset:         96
        .size:           8
        .value_kind:     global_buffer
      - .actual_access:  write_only
        .address_space:  global
        .offset:         104
        .size:           8
        .value_kind:     global_buffer
      - .actual_access:  read_only
        .address_space:  global
        .offset:         112
        .size:           8
        .value_kind:     global_buffer
      - .offset:         120
        .size:           4
        .value_kind:     by_value
      - .address_space:  global
        .offset:         128
        .size:           8
        .value_kind:     global_buffer
      - .address_space:  global
        .offset:         136
        .size:           8
        .value_kind:     global_buffer
      - .offset:         144
        .size:           4
        .value_kind:     hidden_block_count_x
      - .offset:         148
        .size:           4
        .value_kind:     hidden_block_count_y
      - .offset:         152
        .size:           4
        .value_kind:     hidden_block_count_z
      - .offset:         156
        .size:           2
        .value_kind:     hidden_group_size_x
      - .offset:         158
        .size:           2
        .value_kind:     hidden_group_size_y
      - .offset:         160
        .size:           2
        .value_kind:     hidden_group_size_z
      - .offset:         162
        .size:           2
        .value_kind:     hidden_remainder_x
      - .offset:         164
        .size:           2
        .value_kind:     hidden_remainder_y
      - .offset:         166
        .size:           2
        .value_kind:     hidden_remainder_z
      - .offset:         184
        .size:           8
        .value_kind:     hidden_global_offset_x
      - .offset:         192
        .size:           8
        .value_kind:     hidden_global_offset_y
      - .offset:         200
        .size:           8
        .value_kind:     hidden_global_offset_z
      - .offset:         208
        .size:           2
        .value_kind:     hidden_grid_dims
    .group_segment_fixed_size: 17472
    .kernarg_segment_align: 8
    .kernarg_segment_size: 400
    .language:       OpenCL C
    .language_version:
      - 2
      - 0
    .max_flat_workgroup_size: 256
    .name:           _Z39paged_attention_ll4mi_QKV_mfma16_kernelIDF16_hLN4vllm18Fp8KVCacheDataTypeE1EhLi32ELi64ELi256ELb1ELi14EL8MFMAType0EEvPKT_PKT0_S8_ifPKiSA_SA_iPKfiiiPfSD_PS3_PT2_iSC_SC_
    .private_segment_fixed_size: 0
    .sgpr_count:     40
    .sgpr_spill_count: 0
    .symbol:         _Z39paged_attention_ll4mi_QKV_mfma16_kernelIDF16_hLN4vllm18Fp8KVCacheDataTypeE1EhLi32ELi64ELi256ELb1ELi14EL8MFMAType0EEvPKT_PKT0_S8_ifPKiSA_SA_iPKfiiiPfSD_PS3_PT2_iSC_SC_.kd
    .uniform_work_group_size: 1
    .uses_dynamic_stack: false
    .vgpr_count:     146
    .vgpr_spill_count: 0
    .wavefront_size: 32
    .workgroup_processor_mode: 1
  - .args:
      - .actual_access:  read_only
        .address_space:  global
        .offset:         0
        .size:           8
        .value_kind:     global_buffer
      - .actual_access:  read_only
        .address_space:  global
        .offset:         8
        .size:           8
        .value_kind:     global_buffer
      - .actual_access:  read_only
        .address_space:  global
        .offset:         16
        .size:           8
        .value_kind:     global_buffer
      - .offset:         24
        .size:           4
        .value_kind:     by_value
      - .offset:         28
        .size:           4
        .value_kind:     by_value
      - .actual_access:  read_only
        .address_space:  global
        .offset:         32
        .size:           8
        .value_kind:     global_buffer
      - .actual_access:  read_only
        .address_space:  global
        .offset:         40
        .size:           8
        .value_kind:     global_buffer
      - .actual_access:  read_only
        .address_space:  global
        .offset:         48
        .size:           8
        .value_kind:     global_buffer
      - .offset:         56
        .size:           4
        .value_kind:     by_value
      - .actual_access:  read_only
        .address_space:  global
        .offset:         64
        .size:           8
        .value_kind:     global_buffer
      - .offset:         72
        .size:           4
        .value_kind:     by_value
      - .offset:         76
        .size:           4
        .value_kind:     by_value
      - .offset:         80
        .size:           4
        .value_kind:     by_value
      - .actual_access:  write_only
        .address_space:  global
        .offset:         88
        .size:           8
        .value_kind:     global_buffer
      - .actual_access:  write_only
        .address_space:  global
        .offset:         96
        .size:           8
        .value_kind:     global_buffer
      - .actual_access:  write_only
        .address_space:  global
        .offset:         104
        .size:           8
        .value_kind:     global_buffer
      - .actual_access:  read_only
        .address_space:  global
        .offset:         112
        .size:           8
        .value_kind:     global_buffer
      - .offset:         120
        .size:           4
        .value_kind:     by_value
      - .address_space:  global
        .offset:         128
        .size:           8
        .value_kind:     global_buffer
      - .address_space:  global
        .offset:         136
        .size:           8
        .value_kind:     global_buffer
      - .offset:         144
        .size:           4
        .value_kind:     hidden_block_count_x
      - .offset:         148
        .size:           4
        .value_kind:     hidden_block_count_y
      - .offset:         152
        .size:           4
        .value_kind:     hidden_block_count_z
      - .offset:         156
        .size:           2
        .value_kind:     hidden_group_size_x
      - .offset:         158
        .size:           2
        .value_kind:     hidden_group_size_y
      - .offset:         160
        .size:           2
        .value_kind:     hidden_group_size_z
      - .offset:         162
        .size:           2
        .value_kind:     hidden_remainder_x
      - .offset:         164
        .size:           2
        .value_kind:     hidden_remainder_y
      - .offset:         166
        .size:           2
        .value_kind:     hidden_remainder_z
      - .offset:         184
        .size:           8
        .value_kind:     hidden_global_offset_x
      - .offset:         192
        .size:           8
        .value_kind:     hidden_global_offset_y
      - .offset:         200
        .size:           8
        .value_kind:     hidden_global_offset_z
      - .offset:         208
        .size:           2
        .value_kind:     hidden_grid_dims
    .group_segment_fixed_size: 17472
    .kernarg_segment_align: 8
    .kernarg_segment_size: 400
    .language:       OpenCL C
    .language_version:
      - 2
      - 0
    .max_flat_workgroup_size: 256
    .name:           _Z39paged_attention_ll4mi_QKV_mfma16_kernelIDF16_hLN4vllm18Fp8KVCacheDataTypeE1EhLi32ELi64ELi256ELb1ELi15EL8MFMAType0EEvPKT_PKT0_S8_ifPKiSA_SA_iPKfiiiPfSD_PS3_PT2_iSC_SC_
    .private_segment_fixed_size: 0
    .sgpr_count:     39
    .sgpr_spill_count: 0
    .symbol:         _Z39paged_attention_ll4mi_QKV_mfma16_kernelIDF16_hLN4vllm18Fp8KVCacheDataTypeE1EhLi32ELi64ELi256ELb1ELi15EL8MFMAType0EEvPKT_PKT0_S8_ifPKiSA_SA_iPKfiiiPfSD_PS3_PT2_iSC_SC_.kd
    .uniform_work_group_size: 1
    .uses_dynamic_stack: false
    .vgpr_count:     146
    .vgpr_spill_count: 0
    .wavefront_size: 32
    .workgroup_processor_mode: 1
  - .args:
      - .actual_access:  read_only
        .address_space:  global
        .offset:         0
        .size:           8
        .value_kind:     global_buffer
      - .actual_access:  read_only
        .address_space:  global
        .offset:         8
        .size:           8
        .value_kind:     global_buffer
      - .actual_access:  read_only
        .address_space:  global
        .offset:         16
        .size:           8
        .value_kind:     global_buffer
      - .offset:         24
        .size:           4
        .value_kind:     by_value
      - .offset:         28
        .size:           4
        .value_kind:     by_value
      - .actual_access:  read_only
        .address_space:  global
        .offset:         32
        .size:           8
        .value_kind:     global_buffer
      - .actual_access:  read_only
        .address_space:  global
        .offset:         40
        .size:           8
        .value_kind:     global_buffer
      - .actual_access:  read_only
        .address_space:  global
        .offset:         48
        .size:           8
        .value_kind:     global_buffer
      - .offset:         56
        .size:           4
        .value_kind:     by_value
      - .actual_access:  read_only
        .address_space:  global
        .offset:         64
        .size:           8
        .value_kind:     global_buffer
      - .offset:         72
        .size:           4
        .value_kind:     by_value
      - .offset:         76
        .size:           4
        .value_kind:     by_value
      - .offset:         80
        .size:           4
        .value_kind:     by_value
      - .actual_access:  write_only
        .address_space:  global
        .offset:         88
        .size:           8
        .value_kind:     global_buffer
      - .actual_access:  write_only
        .address_space:  global
        .offset:         96
        .size:           8
        .value_kind:     global_buffer
      - .actual_access:  write_only
        .address_space:  global
        .offset:         104
        .size:           8
        .value_kind:     global_buffer
      - .actual_access:  read_only
        .address_space:  global
        .offset:         112
        .size:           8
        .value_kind:     global_buffer
      - .offset:         120
        .size:           4
        .value_kind:     by_value
      - .address_space:  global
        .offset:         128
        .size:           8
        .value_kind:     global_buffer
      - .address_space:  global
        .offset:         136
        .size:           8
        .value_kind:     global_buffer
      - .offset:         144
        .size:           4
        .value_kind:     hidden_block_count_x
      - .offset:         148
        .size:           4
        .value_kind:     hidden_block_count_y
      - .offset:         152
        .size:           4
        .value_kind:     hidden_block_count_z
      - .offset:         156
        .size:           2
        .value_kind:     hidden_group_size_x
      - .offset:         158
        .size:           2
        .value_kind:     hidden_group_size_y
      - .offset:         160
        .size:           2
        .value_kind:     hidden_group_size_z
      - .offset:         162
        .size:           2
        .value_kind:     hidden_remainder_x
      - .offset:         164
        .size:           2
        .value_kind:     hidden_remainder_y
      - .offset:         166
        .size:           2
        .value_kind:     hidden_remainder_z
      - .offset:         184
        .size:           8
        .value_kind:     hidden_global_offset_x
      - .offset:         192
        .size:           8
        .value_kind:     hidden_global_offset_y
      - .offset:         200
        .size:           8
        .value_kind:     hidden_global_offset_z
      - .offset:         208
        .size:           2
        .value_kind:     hidden_grid_dims
    .group_segment_fixed_size: 17472
    .kernarg_segment_align: 8
    .kernarg_segment_size: 400
    .language:       OpenCL C
    .language_version:
      - 2
      - 0
    .max_flat_workgroup_size: 256
    .name:           _Z39paged_attention_ll4mi_QKV_mfma16_kernelIDF16_hLN4vllm18Fp8KVCacheDataTypeE1EhLi32ELi64ELi256ELb1ELi16EL8MFMAType0EEvPKT_PKT0_S8_ifPKiSA_SA_iPKfiiiPfSD_PS3_PT2_iSC_SC_
    .private_segment_fixed_size: 0
    .sgpr_count:     44
    .sgpr_spill_count: 0
    .symbol:         _Z39paged_attention_ll4mi_QKV_mfma16_kernelIDF16_hLN4vllm18Fp8KVCacheDataTypeE1EhLi32ELi64ELi256ELb1ELi16EL8MFMAType0EEvPKT_PKT0_S8_ifPKiSA_SA_iPKfiiiPfSD_PS3_PT2_iSC_SC_.kd
    .uniform_work_group_size: 1
    .uses_dynamic_stack: false
    .vgpr_count:     123
    .vgpr_spill_count: 0
    .wavefront_size: 32
    .workgroup_processor_mode: 1
  - .args:
      - .actual_access:  read_only
        .address_space:  global
        .offset:         0
        .size:           8
        .value_kind:     global_buffer
      - .actual_access:  read_only
        .address_space:  global
        .offset:         8
        .size:           8
        .value_kind:     global_buffer
      - .actual_access:  read_only
        .address_space:  global
        .offset:         16
        .size:           8
        .value_kind:     global_buffer
      - .offset:         24
        .size:           4
        .value_kind:     by_value
      - .offset:         28
        .size:           4
        .value_kind:     by_value
      - .actual_access:  read_only
        .address_space:  global
        .offset:         32
        .size:           8
        .value_kind:     global_buffer
      - .actual_access:  read_only
        .address_space:  global
        .offset:         40
        .size:           8
        .value_kind:     global_buffer
      - .actual_access:  read_only
        .address_space:  global
        .offset:         48
        .size:           8
        .value_kind:     global_buffer
      - .offset:         56
        .size:           4
        .value_kind:     by_value
      - .actual_access:  read_only
        .address_space:  global
        .offset:         64
        .size:           8
        .value_kind:     global_buffer
      - .offset:         72
        .size:           4
        .value_kind:     by_value
      - .offset:         76
        .size:           4
        .value_kind:     by_value
      - .offset:         80
        .size:           4
        .value_kind:     by_value
      - .actual_access:  write_only
        .address_space:  global
        .offset:         88
        .size:           8
        .value_kind:     global_buffer
      - .actual_access:  write_only
        .address_space:  global
        .offset:         96
        .size:           8
        .value_kind:     global_buffer
      - .actual_access:  write_only
        .address_space:  global
        .offset:         104
        .size:           8
        .value_kind:     global_buffer
      - .actual_access:  read_only
        .address_space:  global
        .offset:         112
        .size:           8
        .value_kind:     global_buffer
      - .offset:         120
        .size:           4
        .value_kind:     by_value
      - .address_space:  global
        .offset:         128
        .size:           8
        .value_kind:     global_buffer
      - .address_space:  global
        .offset:         136
        .size:           8
        .value_kind:     global_buffer
      - .offset:         144
        .size:           4
        .value_kind:     hidden_block_count_x
      - .offset:         148
        .size:           4
        .value_kind:     hidden_block_count_y
      - .offset:         152
        .size:           4
        .value_kind:     hidden_block_count_z
      - .offset:         156
        .size:           2
        .value_kind:     hidden_group_size_x
      - .offset:         158
        .size:           2
        .value_kind:     hidden_group_size_y
      - .offset:         160
        .size:           2
        .value_kind:     hidden_group_size_z
      - .offset:         162
        .size:           2
        .value_kind:     hidden_remainder_x
      - .offset:         164
        .size:           2
        .value_kind:     hidden_remainder_y
      - .offset:         166
        .size:           2
        .value_kind:     hidden_remainder_z
      - .offset:         184
        .size:           8
        .value_kind:     hidden_global_offset_x
      - .offset:         192
        .size:           8
        .value_kind:     hidden_global_offset_y
      - .offset:         200
        .size:           8
        .value_kind:     hidden_global_offset_z
      - .offset:         208
        .size:           2
        .value_kind:     hidden_grid_dims
    .group_segment_fixed_size: 17472
    .kernarg_segment_align: 8
    .kernarg_segment_size: 400
    .language:       OpenCL C
    .language_version:
      - 2
      - 0
    .max_flat_workgroup_size: 256
    .name:           _Z39paged_attention_ll4mi_QKV_mfma16_kernelIDF16_hLN4vllm18Fp8KVCacheDataTypeE1EhLi32ELi64ELi256ELb1ELi1EL8MFMAType0EEvPKT_PKT0_S8_ifPKiSA_SA_iPKfiiiPfSD_PS3_PT2_iSC_SC_
    .private_segment_fixed_size: 0
    .sgpr_count:     52
    .sgpr_spill_count: 0
    .symbol:         _Z39paged_attention_ll4mi_QKV_mfma16_kernelIDF16_hLN4vllm18Fp8KVCacheDataTypeE1EhLi32ELi64ELi256ELb1ELi1EL8MFMAType0EEvPKT_PKT0_S8_ifPKiSA_SA_iPKfiiiPfSD_PS3_PT2_iSC_SC_.kd
    .uniform_work_group_size: 1
    .uses_dynamic_stack: false
    .vgpr_count:     144
    .vgpr_spill_count: 0
    .wavefront_size: 32
    .workgroup_processor_mode: 1
  - .args:
      - .actual_access:  read_only
        .address_space:  global
        .offset:         0
        .size:           8
        .value_kind:     global_buffer
      - .actual_access:  read_only
        .address_space:  global
        .offset:         8
        .size:           8
        .value_kind:     global_buffer
      - .actual_access:  read_only
        .address_space:  global
        .offset:         16
        .size:           8
        .value_kind:     global_buffer
      - .offset:         24
        .size:           4
        .value_kind:     by_value
      - .offset:         28
        .size:           4
        .value_kind:     by_value
      - .actual_access:  read_only
        .address_space:  global
        .offset:         32
        .size:           8
        .value_kind:     global_buffer
      - .actual_access:  read_only
        .address_space:  global
        .offset:         40
        .size:           8
        .value_kind:     global_buffer
      - .actual_access:  read_only
        .address_space:  global
        .offset:         48
        .size:           8
        .value_kind:     global_buffer
      - .offset:         56
        .size:           4
        .value_kind:     by_value
      - .actual_access:  read_only
        .address_space:  global
        .offset:         64
        .size:           8
        .value_kind:     global_buffer
      - .offset:         72
        .size:           4
        .value_kind:     by_value
      - .offset:         76
        .size:           4
        .value_kind:     by_value
      - .offset:         80
        .size:           4
        .value_kind:     by_value
      - .actual_access:  write_only
        .address_space:  global
        .offset:         88
        .size:           8
        .value_kind:     global_buffer
      - .actual_access:  write_only
        .address_space:  global
        .offset:         96
        .size:           8
        .value_kind:     global_buffer
      - .actual_access:  write_only
        .address_space:  global
        .offset:         104
        .size:           8
        .value_kind:     global_buffer
      - .actual_access:  read_only
        .address_space:  global
        .offset:         112
        .size:           8
        .value_kind:     global_buffer
      - .offset:         120
        .size:           4
        .value_kind:     by_value
      - .address_space:  global
        .offset:         128
        .size:           8
        .value_kind:     global_buffer
      - .address_space:  global
        .offset:         136
        .size:           8
        .value_kind:     global_buffer
      - .offset:         144
        .size:           4
        .value_kind:     hidden_block_count_x
      - .offset:         148
        .size:           4
        .value_kind:     hidden_block_count_y
      - .offset:         152
        .size:           4
        .value_kind:     hidden_block_count_z
      - .offset:         156
        .size:           2
        .value_kind:     hidden_group_size_x
      - .offset:         158
        .size:           2
        .value_kind:     hidden_group_size_y
      - .offset:         160
        .size:           2
        .value_kind:     hidden_group_size_z
      - .offset:         162
        .size:           2
        .value_kind:     hidden_remainder_x
      - .offset:         164
        .size:           2
        .value_kind:     hidden_remainder_y
      - .offset:         166
        .size:           2
        .value_kind:     hidden_remainder_z
      - .offset:         184
        .size:           8
        .value_kind:     hidden_global_offset_x
      - .offset:         192
        .size:           8
        .value_kind:     hidden_global_offset_y
      - .offset:         200
        .size:           8
        .value_kind:     hidden_global_offset_z
      - .offset:         208
        .size:           2
        .value_kind:     hidden_grid_dims
    .group_segment_fixed_size: 17472
    .kernarg_segment_align: 8
    .kernarg_segment_size: 400
    .language:       OpenCL C
    .language_version:
      - 2
      - 0
    .max_flat_workgroup_size: 256
    .name:           _Z39paged_attention_ll4mi_QKV_mfma16_kernelIDF16_hLN4vllm18Fp8KVCacheDataTypeE1EhLi32ELi64ELi256ELb1ELi2EL8MFMAType0EEvPKT_PKT0_S8_ifPKiSA_SA_iPKfiiiPfSD_PS3_PT2_iSC_SC_
    .private_segment_fixed_size: 0
    .sgpr_count:     40
    .sgpr_spill_count: 0
    .symbol:         _Z39paged_attention_ll4mi_QKV_mfma16_kernelIDF16_hLN4vllm18Fp8KVCacheDataTypeE1EhLi32ELi64ELi256ELb1ELi2EL8MFMAType0EEvPKT_PKT0_S8_ifPKiSA_SA_iPKfiiiPfSD_PS3_PT2_iSC_SC_.kd
    .uniform_work_group_size: 1
    .uses_dynamic_stack: false
    .vgpr_count:     148
    .vgpr_spill_count: 0
    .wavefront_size: 32
    .workgroup_processor_mode: 1
  - .args:
      - .actual_access:  read_only
        .address_space:  global
        .offset:         0
        .size:           8
        .value_kind:     global_buffer
      - .actual_access:  read_only
        .address_space:  global
        .offset:         8
        .size:           8
        .value_kind:     global_buffer
      - .actual_access:  read_only
        .address_space:  global
        .offset:         16
        .size:           8
        .value_kind:     global_buffer
      - .offset:         24
        .size:           4
        .value_kind:     by_value
      - .offset:         28
        .size:           4
        .value_kind:     by_value
      - .actual_access:  read_only
        .address_space:  global
        .offset:         32
        .size:           8
        .value_kind:     global_buffer
      - .actual_access:  read_only
        .address_space:  global
        .offset:         40
        .size:           8
        .value_kind:     global_buffer
      - .actual_access:  read_only
        .address_space:  global
        .offset:         48
        .size:           8
        .value_kind:     global_buffer
      - .offset:         56
        .size:           4
        .value_kind:     by_value
      - .actual_access:  read_only
        .address_space:  global
        .offset:         64
        .size:           8
        .value_kind:     global_buffer
      - .offset:         72
        .size:           4
        .value_kind:     by_value
      - .offset:         76
        .size:           4
        .value_kind:     by_value
      - .offset:         80
        .size:           4
        .value_kind:     by_value
      - .actual_access:  write_only
        .address_space:  global
        .offset:         88
        .size:           8
        .value_kind:     global_buffer
      - .actual_access:  write_only
        .address_space:  global
        .offset:         96
        .size:           8
        .value_kind:     global_buffer
      - .actual_access:  write_only
        .address_space:  global
        .offset:         104
        .size:           8
        .value_kind:     global_buffer
      - .actual_access:  read_only
        .address_space:  global
        .offset:         112
        .size:           8
        .value_kind:     global_buffer
      - .offset:         120
        .size:           4
        .value_kind:     by_value
      - .address_space:  global
        .offset:         128
        .size:           8
        .value_kind:     global_buffer
      - .address_space:  global
        .offset:         136
        .size:           8
        .value_kind:     global_buffer
      - .offset:         144
        .size:           4
        .value_kind:     hidden_block_count_x
      - .offset:         148
        .size:           4
        .value_kind:     hidden_block_count_y
      - .offset:         152
        .size:           4
        .value_kind:     hidden_block_count_z
      - .offset:         156
        .size:           2
        .value_kind:     hidden_group_size_x
      - .offset:         158
        .size:           2
        .value_kind:     hidden_group_size_y
      - .offset:         160
        .size:           2
        .value_kind:     hidden_group_size_z
      - .offset:         162
        .size:           2
        .value_kind:     hidden_remainder_x
      - .offset:         164
        .size:           2
        .value_kind:     hidden_remainder_y
      - .offset:         166
        .size:           2
        .value_kind:     hidden_remainder_z
      - .offset:         184
        .size:           8
        .value_kind:     hidden_global_offset_x
      - .offset:         192
        .size:           8
        .value_kind:     hidden_global_offset_y
      - .offset:         200
        .size:           8
        .value_kind:     hidden_global_offset_z
      - .offset:         208
        .size:           2
        .value_kind:     hidden_grid_dims
    .group_segment_fixed_size: 17472
    .kernarg_segment_align: 8
    .kernarg_segment_size: 400
    .language:       OpenCL C
    .language_version:
      - 2
      - 0
    .max_flat_workgroup_size: 256
    .name:           _Z39paged_attention_ll4mi_QKV_mfma16_kernelIDF16_hLN4vllm18Fp8KVCacheDataTypeE1EhLi32ELi64ELi256ELb1ELi3EL8MFMAType0EEvPKT_PKT0_S8_ifPKiSA_SA_iPKfiiiPfSD_PS3_PT2_iSC_SC_
    .private_segment_fixed_size: 0
    .sgpr_count:     39
    .sgpr_spill_count: 0
    .symbol:         _Z39paged_attention_ll4mi_QKV_mfma16_kernelIDF16_hLN4vllm18Fp8KVCacheDataTypeE1EhLi32ELi64ELi256ELb1ELi3EL8MFMAType0EEvPKT_PKT0_S8_ifPKiSA_SA_iPKfiiiPfSD_PS3_PT2_iSC_SC_.kd
    .uniform_work_group_size: 1
    .uses_dynamic_stack: false
    .vgpr_count:     146
    .vgpr_spill_count: 0
    .wavefront_size: 32
    .workgroup_processor_mode: 1
  - .args:
      - .actual_access:  read_only
        .address_space:  global
        .offset:         0
        .size:           8
        .value_kind:     global_buffer
      - .actual_access:  read_only
        .address_space:  global
        .offset:         8
        .size:           8
        .value_kind:     global_buffer
      - .actual_access:  read_only
        .address_space:  global
        .offset:         16
        .size:           8
        .value_kind:     global_buffer
      - .offset:         24
        .size:           4
        .value_kind:     by_value
      - .offset:         28
        .size:           4
        .value_kind:     by_value
      - .actual_access:  read_only
        .address_space:  global
        .offset:         32
        .size:           8
        .value_kind:     global_buffer
      - .actual_access:  read_only
        .address_space:  global
        .offset:         40
        .size:           8
        .value_kind:     global_buffer
      - .actual_access:  read_only
        .address_space:  global
        .offset:         48
        .size:           8
        .value_kind:     global_buffer
      - .offset:         56
        .size:           4
        .value_kind:     by_value
      - .actual_access:  read_only
        .address_space:  global
        .offset:         64
        .size:           8
        .value_kind:     global_buffer
      - .offset:         72
        .size:           4
        .value_kind:     by_value
      - .offset:         76
        .size:           4
        .value_kind:     by_value
      - .offset:         80
        .size:           4
        .value_kind:     by_value
      - .actual_access:  write_only
        .address_space:  global
        .offset:         88
        .size:           8
        .value_kind:     global_buffer
      - .actual_access:  write_only
        .address_space:  global
        .offset:         96
        .size:           8
        .value_kind:     global_buffer
      - .actual_access:  write_only
        .address_space:  global
        .offset:         104
        .size:           8
        .value_kind:     global_buffer
      - .actual_access:  read_only
        .address_space:  global
        .offset:         112
        .size:           8
        .value_kind:     global_buffer
      - .offset:         120
        .size:           4
        .value_kind:     by_value
      - .address_space:  global
        .offset:         128
        .size:           8
        .value_kind:     global_buffer
      - .address_space:  global
        .offset:         136
        .size:           8
        .value_kind:     global_buffer
      - .offset:         144
        .size:           4
        .value_kind:     hidden_block_count_x
      - .offset:         148
        .size:           4
        .value_kind:     hidden_block_count_y
      - .offset:         152
        .size:           4
        .value_kind:     hidden_block_count_z
      - .offset:         156
        .size:           2
        .value_kind:     hidden_group_size_x
      - .offset:         158
        .size:           2
        .value_kind:     hidden_group_size_y
      - .offset:         160
        .size:           2
        .value_kind:     hidden_group_size_z
      - .offset:         162
        .size:           2
        .value_kind:     hidden_remainder_x
      - .offset:         164
        .size:           2
        .value_kind:     hidden_remainder_y
      - .offset:         166
        .size:           2
        .value_kind:     hidden_remainder_z
      - .offset:         184
        .size:           8
        .value_kind:     hidden_global_offset_x
      - .offset:         192
        .size:           8
        .value_kind:     hidden_global_offset_y
      - .offset:         200
        .size:           8
        .value_kind:     hidden_global_offset_z
      - .offset:         208
        .size:           2
        .value_kind:     hidden_grid_dims
    .group_segment_fixed_size: 17472
    .kernarg_segment_align: 8
    .kernarg_segment_size: 400
    .language:       OpenCL C
    .language_version:
      - 2
      - 0
    .max_flat_workgroup_size: 256
    .name:           _Z39paged_attention_ll4mi_QKV_mfma16_kernelIDF16_hLN4vllm18Fp8KVCacheDataTypeE1EhLi32ELi64ELi256ELb1ELi4EL8MFMAType0EEvPKT_PKT0_S8_ifPKiSA_SA_iPKfiiiPfSD_PS3_PT2_iSC_SC_
    .private_segment_fixed_size: 0
    .sgpr_count:     44
    .sgpr_spill_count: 0
    .symbol:         _Z39paged_attention_ll4mi_QKV_mfma16_kernelIDF16_hLN4vllm18Fp8KVCacheDataTypeE1EhLi32ELi64ELi256ELb1ELi4EL8MFMAType0EEvPKT_PKT0_S8_ifPKiSA_SA_iPKfiiiPfSD_PS3_PT2_iSC_SC_.kd
    .uniform_work_group_size: 1
    .uses_dynamic_stack: false
    .vgpr_count:     123
    .vgpr_spill_count: 0
    .wavefront_size: 32
    .workgroup_processor_mode: 1
  - .args:
      - .actual_access:  read_only
        .address_space:  global
        .offset:         0
        .size:           8
        .value_kind:     global_buffer
      - .actual_access:  read_only
        .address_space:  global
        .offset:         8
        .size:           8
        .value_kind:     global_buffer
      - .actual_access:  read_only
        .address_space:  global
        .offset:         16
        .size:           8
        .value_kind:     global_buffer
      - .offset:         24
        .size:           4
        .value_kind:     by_value
      - .offset:         28
        .size:           4
        .value_kind:     by_value
      - .actual_access:  read_only
        .address_space:  global
        .offset:         32
        .size:           8
        .value_kind:     global_buffer
      - .actual_access:  read_only
        .address_space:  global
        .offset:         40
        .size:           8
        .value_kind:     global_buffer
      - .actual_access:  read_only
        .address_space:  global
        .offset:         48
        .size:           8
        .value_kind:     global_buffer
      - .offset:         56
        .size:           4
        .value_kind:     by_value
      - .actual_access:  read_only
        .address_space:  global
        .offset:         64
        .size:           8
        .value_kind:     global_buffer
      - .offset:         72
        .size:           4
        .value_kind:     by_value
      - .offset:         76
        .size:           4
        .value_kind:     by_value
      - .offset:         80
        .size:           4
        .value_kind:     by_value
      - .actual_access:  write_only
        .address_space:  global
        .offset:         88
        .size:           8
        .value_kind:     global_buffer
      - .actual_access:  write_only
        .address_space:  global
        .offset:         96
        .size:           8
        .value_kind:     global_buffer
      - .actual_access:  write_only
        .address_space:  global
        .offset:         104
        .size:           8
        .value_kind:     global_buffer
      - .actual_access:  read_only
        .address_space:  global
        .offset:         112
        .size:           8
        .value_kind:     global_buffer
      - .offset:         120
        .size:           4
        .value_kind:     by_value
      - .address_space:  global
        .offset:         128
        .size:           8
        .value_kind:     global_buffer
      - .address_space:  global
        .offset:         136
        .size:           8
        .value_kind:     global_buffer
      - .offset:         144
        .size:           4
        .value_kind:     hidden_block_count_x
      - .offset:         148
        .size:           4
        .value_kind:     hidden_block_count_y
      - .offset:         152
        .size:           4
        .value_kind:     hidden_block_count_z
      - .offset:         156
        .size:           2
        .value_kind:     hidden_group_size_x
      - .offset:         158
        .size:           2
        .value_kind:     hidden_group_size_y
      - .offset:         160
        .size:           2
        .value_kind:     hidden_group_size_z
      - .offset:         162
        .size:           2
        .value_kind:     hidden_remainder_x
      - .offset:         164
        .size:           2
        .value_kind:     hidden_remainder_y
      - .offset:         166
        .size:           2
        .value_kind:     hidden_remainder_z
      - .offset:         184
        .size:           8
        .value_kind:     hidden_global_offset_x
      - .offset:         192
        .size:           8
        .value_kind:     hidden_global_offset_y
      - .offset:         200
        .size:           8
        .value_kind:     hidden_global_offset_z
      - .offset:         208
        .size:           2
        .value_kind:     hidden_grid_dims
    .group_segment_fixed_size: 17472
    .kernarg_segment_align: 8
    .kernarg_segment_size: 400
    .language:       OpenCL C
    .language_version:
      - 2
      - 0
    .max_flat_workgroup_size: 256
    .name:           _Z39paged_attention_ll4mi_QKV_mfma16_kernelIDF16_hLN4vllm18Fp8KVCacheDataTypeE1EhLi32ELi64ELi256ELb0ELi5EL8MFMAType0EEvPKT_PKT0_S8_ifPKiSA_SA_iPKfiiiPfSD_PS3_PT2_iSC_SC_
    .private_segment_fixed_size: 0
    .sgpr_count:     39
    .sgpr_spill_count: 0
    .symbol:         _Z39paged_attention_ll4mi_QKV_mfma16_kernelIDF16_hLN4vllm18Fp8KVCacheDataTypeE1EhLi32ELi64ELi256ELb0ELi5EL8MFMAType0EEvPKT_PKT0_S8_ifPKiSA_SA_iPKfiiiPfSD_PS3_PT2_iSC_SC_.kd
    .uniform_work_group_size: 1
    .uses_dynamic_stack: false
    .vgpr_count:     146
    .vgpr_spill_count: 0
    .wavefront_size: 32
    .workgroup_processor_mode: 1
  - .args:
      - .actual_access:  read_only
        .address_space:  global
        .offset:         0
        .size:           8
        .value_kind:     global_buffer
      - .actual_access:  read_only
        .address_space:  global
        .offset:         8
        .size:           8
        .value_kind:     global_buffer
      - .actual_access:  read_only
        .address_space:  global
        .offset:         16
        .size:           8
        .value_kind:     global_buffer
      - .offset:         24
        .size:           4
        .value_kind:     by_value
      - .offset:         28
        .size:           4
        .value_kind:     by_value
      - .actual_access:  read_only
        .address_space:  global
        .offset:         32
        .size:           8
        .value_kind:     global_buffer
      - .actual_access:  read_only
        .address_space:  global
        .offset:         40
        .size:           8
        .value_kind:     global_buffer
      - .actual_access:  read_only
        .address_space:  global
        .offset:         48
        .size:           8
        .value_kind:     global_buffer
      - .offset:         56
        .size:           4
        .value_kind:     by_value
      - .actual_access:  read_only
        .address_space:  global
        .offset:         64
        .size:           8
        .value_kind:     global_buffer
      - .offset:         72
        .size:           4
        .value_kind:     by_value
      - .offset:         76
        .size:           4
        .value_kind:     by_value
      - .offset:         80
        .size:           4
        .value_kind:     by_value
      - .actual_access:  write_only
        .address_space:  global
        .offset:         88
        .size:           8
        .value_kind:     global_buffer
      - .actual_access:  write_only
        .address_space:  global
        .offset:         96
        .size:           8
        .value_kind:     global_buffer
      - .actual_access:  write_only
        .address_space:  global
        .offset:         104
        .size:           8
        .value_kind:     global_buffer
      - .actual_access:  read_only
        .address_space:  global
        .offset:         112
        .size:           8
        .value_kind:     global_buffer
      - .offset:         120
        .size:           4
        .value_kind:     by_value
      - .address_space:  global
        .offset:         128
        .size:           8
        .value_kind:     global_buffer
      - .address_space:  global
        .offset:         136
        .size:           8
        .value_kind:     global_buffer
      - .offset:         144
        .size:           4
        .value_kind:     hidden_block_count_x
      - .offset:         148
        .size:           4
        .value_kind:     hidden_block_count_y
      - .offset:         152
        .size:           4
        .value_kind:     hidden_block_count_z
      - .offset:         156
        .size:           2
        .value_kind:     hidden_group_size_x
      - .offset:         158
        .size:           2
        .value_kind:     hidden_group_size_y
      - .offset:         160
        .size:           2
        .value_kind:     hidden_group_size_z
      - .offset:         162
        .size:           2
        .value_kind:     hidden_remainder_x
      - .offset:         164
        .size:           2
        .value_kind:     hidden_remainder_y
      - .offset:         166
        .size:           2
        .value_kind:     hidden_remainder_z
      - .offset:         184
        .size:           8
        .value_kind:     hidden_global_offset_x
      - .offset:         192
        .size:           8
        .value_kind:     hidden_global_offset_y
      - .offset:         200
        .size:           8
        .value_kind:     hidden_global_offset_z
      - .offset:         208
        .size:           2
        .value_kind:     hidden_grid_dims
    .group_segment_fixed_size: 17472
    .kernarg_segment_align: 8
    .kernarg_segment_size: 400
    .language:       OpenCL C
    .language_version:
      - 2
      - 0
    .max_flat_workgroup_size: 256
    .name:           _Z39paged_attention_ll4mi_QKV_mfma16_kernelIDF16_hLN4vllm18Fp8KVCacheDataTypeE1EhLi32ELi64ELi256ELb0ELi6EL8MFMAType0EEvPKT_PKT0_S8_ifPKiSA_SA_iPKfiiiPfSD_PS3_PT2_iSC_SC_
    .private_segment_fixed_size: 0
    .sgpr_count:     40
    .sgpr_spill_count: 0
    .symbol:         _Z39paged_attention_ll4mi_QKV_mfma16_kernelIDF16_hLN4vllm18Fp8KVCacheDataTypeE1EhLi32ELi64ELi256ELb0ELi6EL8MFMAType0EEvPKT_PKT0_S8_ifPKiSA_SA_iPKfiiiPfSD_PS3_PT2_iSC_SC_.kd
    .uniform_work_group_size: 1
    .uses_dynamic_stack: false
    .vgpr_count:     146
    .vgpr_spill_count: 0
    .wavefront_size: 32
    .workgroup_processor_mode: 1
  - .args:
      - .actual_access:  read_only
        .address_space:  global
        .offset:         0
        .size:           8
        .value_kind:     global_buffer
      - .actual_access:  read_only
        .address_space:  global
        .offset:         8
        .size:           8
        .value_kind:     global_buffer
      - .actual_access:  read_only
        .address_space:  global
        .offset:         16
        .size:           8
        .value_kind:     global_buffer
      - .offset:         24
        .size:           4
        .value_kind:     by_value
      - .offset:         28
        .size:           4
        .value_kind:     by_value
      - .actual_access:  read_only
        .address_space:  global
        .offset:         32
        .size:           8
        .value_kind:     global_buffer
      - .actual_access:  read_only
        .address_space:  global
        .offset:         40
        .size:           8
        .value_kind:     global_buffer
      - .actual_access:  read_only
        .address_space:  global
        .offset:         48
        .size:           8
        .value_kind:     global_buffer
      - .offset:         56
        .size:           4
        .value_kind:     by_value
      - .actual_access:  read_only
        .address_space:  global
        .offset:         64
        .size:           8
        .value_kind:     global_buffer
      - .offset:         72
        .size:           4
        .value_kind:     by_value
      - .offset:         76
        .size:           4
        .value_kind:     by_value
      - .offset:         80
        .size:           4
        .value_kind:     by_value
      - .actual_access:  write_only
        .address_space:  global
        .offset:         88
        .size:           8
        .value_kind:     global_buffer
      - .actual_access:  write_only
        .address_space:  global
        .offset:         96
        .size:           8
        .value_kind:     global_buffer
      - .actual_access:  write_only
        .address_space:  global
        .offset:         104
        .size:           8
        .value_kind:     global_buffer
      - .actual_access:  read_only
        .address_space:  global
        .offset:         112
        .size:           8
        .value_kind:     global_buffer
      - .offset:         120
        .size:           4
        .value_kind:     by_value
      - .address_space:  global
        .offset:         128
        .size:           8
        .value_kind:     global_buffer
      - .address_space:  global
        .offset:         136
        .size:           8
        .value_kind:     global_buffer
      - .offset:         144
        .size:           4
        .value_kind:     hidden_block_count_x
      - .offset:         148
        .size:           4
        .value_kind:     hidden_block_count_y
      - .offset:         152
        .size:           4
        .value_kind:     hidden_block_count_z
      - .offset:         156
        .size:           2
        .value_kind:     hidden_group_size_x
      - .offset:         158
        .size:           2
        .value_kind:     hidden_group_size_y
      - .offset:         160
        .size:           2
        .value_kind:     hidden_group_size_z
      - .offset:         162
        .size:           2
        .value_kind:     hidden_remainder_x
      - .offset:         164
        .size:           2
        .value_kind:     hidden_remainder_y
      - .offset:         166
        .size:           2
        .value_kind:     hidden_remainder_z
      - .offset:         184
        .size:           8
        .value_kind:     hidden_global_offset_x
      - .offset:         192
        .size:           8
        .value_kind:     hidden_global_offset_y
      - .offset:         200
        .size:           8
        .value_kind:     hidden_global_offset_z
      - .offset:         208
        .size:           2
        .value_kind:     hidden_grid_dims
    .group_segment_fixed_size: 17472
    .kernarg_segment_align: 8
    .kernarg_segment_size: 400
    .language:       OpenCL C
    .language_version:
      - 2
      - 0
    .max_flat_workgroup_size: 256
    .name:           _Z39paged_attention_ll4mi_QKV_mfma16_kernelIDF16_hLN4vllm18Fp8KVCacheDataTypeE1EhLi32ELi64ELi256ELb0ELi7EL8MFMAType0EEvPKT_PKT0_S8_ifPKiSA_SA_iPKfiiiPfSD_PS3_PT2_iSC_SC_
    .private_segment_fixed_size: 0
    .sgpr_count:     39
    .sgpr_spill_count: 0
    .symbol:         _Z39paged_attention_ll4mi_QKV_mfma16_kernelIDF16_hLN4vllm18Fp8KVCacheDataTypeE1EhLi32ELi64ELi256ELb0ELi7EL8MFMAType0EEvPKT_PKT0_S8_ifPKiSA_SA_iPKfiiiPfSD_PS3_PT2_iSC_SC_.kd
    .uniform_work_group_size: 1
    .uses_dynamic_stack: false
    .vgpr_count:     146
    .vgpr_spill_count: 0
    .wavefront_size: 32
    .workgroup_processor_mode: 1
  - .args:
      - .actual_access:  read_only
        .address_space:  global
        .offset:         0
        .size:           8
        .value_kind:     global_buffer
      - .actual_access:  read_only
        .address_space:  global
        .offset:         8
        .size:           8
        .value_kind:     global_buffer
      - .actual_access:  read_only
        .address_space:  global
        .offset:         16
        .size:           8
        .value_kind:     global_buffer
      - .offset:         24
        .size:           4
        .value_kind:     by_value
      - .offset:         28
        .size:           4
        .value_kind:     by_value
      - .actual_access:  read_only
        .address_space:  global
        .offset:         32
        .size:           8
        .value_kind:     global_buffer
      - .actual_access:  read_only
        .address_space:  global
        .offset:         40
        .size:           8
        .value_kind:     global_buffer
      - .actual_access:  read_only
        .address_space:  global
        .offset:         48
        .size:           8
        .value_kind:     global_buffer
      - .offset:         56
        .size:           4
        .value_kind:     by_value
      - .actual_access:  read_only
        .address_space:  global
        .offset:         64
        .size:           8
        .value_kind:     global_buffer
      - .offset:         72
        .size:           4
        .value_kind:     by_value
      - .offset:         76
        .size:           4
        .value_kind:     by_value
      - .offset:         80
        .size:           4
        .value_kind:     by_value
      - .actual_access:  write_only
        .address_space:  global
        .offset:         88
        .size:           8
        .value_kind:     global_buffer
      - .actual_access:  write_only
        .address_space:  global
        .offset:         96
        .size:           8
        .value_kind:     global_buffer
      - .actual_access:  write_only
        .address_space:  global
        .offset:         104
        .size:           8
        .value_kind:     global_buffer
      - .actual_access:  read_only
        .address_space:  global
        .offset:         112
        .size:           8
        .value_kind:     global_buffer
      - .offset:         120
        .size:           4
        .value_kind:     by_value
      - .address_space:  global
        .offset:         128
        .size:           8
        .value_kind:     global_buffer
      - .address_space:  global
        .offset:         136
        .size:           8
        .value_kind:     global_buffer
      - .offset:         144
        .size:           4
        .value_kind:     hidden_block_count_x
      - .offset:         148
        .size:           4
        .value_kind:     hidden_block_count_y
      - .offset:         152
        .size:           4
        .value_kind:     hidden_block_count_z
      - .offset:         156
        .size:           2
        .value_kind:     hidden_group_size_x
      - .offset:         158
        .size:           2
        .value_kind:     hidden_group_size_y
      - .offset:         160
        .size:           2
        .value_kind:     hidden_group_size_z
      - .offset:         162
        .size:           2
        .value_kind:     hidden_remainder_x
      - .offset:         164
        .size:           2
        .value_kind:     hidden_remainder_y
      - .offset:         166
        .size:           2
        .value_kind:     hidden_remainder_z
      - .offset:         184
        .size:           8
        .value_kind:     hidden_global_offset_x
      - .offset:         192
        .size:           8
        .value_kind:     hidden_global_offset_y
      - .offset:         200
        .size:           8
        .value_kind:     hidden_global_offset_z
      - .offset:         208
        .size:           2
        .value_kind:     hidden_grid_dims
    .group_segment_fixed_size: 17472
    .kernarg_segment_align: 8
    .kernarg_segment_size: 400
    .language:       OpenCL C
    .language_version:
      - 2
      - 0
    .max_flat_workgroup_size: 256
    .name:           _Z39paged_attention_ll4mi_QKV_mfma16_kernelIDF16_hLN4vllm18Fp8KVCacheDataTypeE1EhLi32ELi64ELi256ELb0ELi8EL8MFMAType0EEvPKT_PKT0_S8_ifPKiSA_SA_iPKfiiiPfSD_PS3_PT2_iSC_SC_
    .private_segment_fixed_size: 0
    .sgpr_count:     44
    .sgpr_spill_count: 0
    .symbol:         _Z39paged_attention_ll4mi_QKV_mfma16_kernelIDF16_hLN4vllm18Fp8KVCacheDataTypeE1EhLi32ELi64ELi256ELb0ELi8EL8MFMAType0EEvPKT_PKT0_S8_ifPKiSA_SA_iPKfiiiPfSD_PS3_PT2_iSC_SC_.kd
    .uniform_work_group_size: 1
    .uses_dynamic_stack: false
    .vgpr_count:     123
    .vgpr_spill_count: 0
    .wavefront_size: 32
    .workgroup_processor_mode: 1
  - .args:
      - .actual_access:  read_only
        .address_space:  global
        .offset:         0
        .size:           8
        .value_kind:     global_buffer
      - .actual_access:  read_only
        .address_space:  global
        .offset:         8
        .size:           8
        .value_kind:     global_buffer
      - .actual_access:  read_only
        .address_space:  global
        .offset:         16
        .size:           8
        .value_kind:     global_buffer
      - .offset:         24
        .size:           4
        .value_kind:     by_value
      - .offset:         28
        .size:           4
        .value_kind:     by_value
      - .actual_access:  read_only
        .address_space:  global
        .offset:         32
        .size:           8
        .value_kind:     global_buffer
      - .actual_access:  read_only
        .address_space:  global
        .offset:         40
        .size:           8
        .value_kind:     global_buffer
      - .actual_access:  read_only
        .address_space:  global
        .offset:         48
        .size:           8
        .value_kind:     global_buffer
      - .offset:         56
        .size:           4
        .value_kind:     by_value
      - .actual_access:  read_only
        .address_space:  global
        .offset:         64
        .size:           8
        .value_kind:     global_buffer
      - .offset:         72
        .size:           4
        .value_kind:     by_value
      - .offset:         76
        .size:           4
        .value_kind:     by_value
      - .offset:         80
        .size:           4
        .value_kind:     by_value
      - .actual_access:  write_only
        .address_space:  global
        .offset:         88
        .size:           8
        .value_kind:     global_buffer
      - .actual_access:  write_only
        .address_space:  global
        .offset:         96
        .size:           8
        .value_kind:     global_buffer
      - .actual_access:  write_only
        .address_space:  global
        .offset:         104
        .size:           8
        .value_kind:     global_buffer
      - .actual_access:  read_only
        .address_space:  global
        .offset:         112
        .size:           8
        .value_kind:     global_buffer
      - .offset:         120
        .size:           4
        .value_kind:     by_value
      - .address_space:  global
        .offset:         128
        .size:           8
        .value_kind:     global_buffer
      - .address_space:  global
        .offset:         136
        .size:           8
        .value_kind:     global_buffer
      - .offset:         144
        .size:           4
        .value_kind:     hidden_block_count_x
      - .offset:         148
        .size:           4
        .value_kind:     hidden_block_count_y
      - .offset:         152
        .size:           4
        .value_kind:     hidden_block_count_z
      - .offset:         156
        .size:           2
        .value_kind:     hidden_group_size_x
      - .offset:         158
        .size:           2
        .value_kind:     hidden_group_size_y
      - .offset:         160
        .size:           2
        .value_kind:     hidden_group_size_z
      - .offset:         162
        .size:           2
        .value_kind:     hidden_remainder_x
      - .offset:         164
        .size:           2
        .value_kind:     hidden_remainder_y
      - .offset:         166
        .size:           2
        .value_kind:     hidden_remainder_z
      - .offset:         184
        .size:           8
        .value_kind:     hidden_global_offset_x
      - .offset:         192
        .size:           8
        .value_kind:     hidden_global_offset_y
      - .offset:         200
        .size:           8
        .value_kind:     hidden_global_offset_z
      - .offset:         208
        .size:           2
        .value_kind:     hidden_grid_dims
    .group_segment_fixed_size: 17472
    .kernarg_segment_align: 8
    .kernarg_segment_size: 400
    .language:       OpenCL C
    .language_version:
      - 2
      - 0
    .max_flat_workgroup_size: 256
    .name:           _Z39paged_attention_ll4mi_QKV_mfma16_kernelIDF16_hLN4vllm18Fp8KVCacheDataTypeE1EhLi32ELi64ELi256ELb0ELi9EL8MFMAType0EEvPKT_PKT0_S8_ifPKiSA_SA_iPKfiiiPfSD_PS3_PT2_iSC_SC_
    .private_segment_fixed_size: 0
    .sgpr_count:     39
    .sgpr_spill_count: 0
    .symbol:         _Z39paged_attention_ll4mi_QKV_mfma16_kernelIDF16_hLN4vllm18Fp8KVCacheDataTypeE1EhLi32ELi64ELi256ELb0ELi9EL8MFMAType0EEvPKT_PKT0_S8_ifPKiSA_SA_iPKfiiiPfSD_PS3_PT2_iSC_SC_.kd
    .uniform_work_group_size: 1
    .uses_dynamic_stack: false
    .vgpr_count:     146
    .vgpr_spill_count: 0
    .wavefront_size: 32
    .workgroup_processor_mode: 1
  - .args:
      - .actual_access:  read_only
        .address_space:  global
        .offset:         0
        .size:           8
        .value_kind:     global_buffer
      - .actual_access:  read_only
        .address_space:  global
        .offset:         8
        .size:           8
        .value_kind:     global_buffer
      - .actual_access:  read_only
        .address_space:  global
        .offset:         16
        .size:           8
        .value_kind:     global_buffer
      - .offset:         24
        .size:           4
        .value_kind:     by_value
      - .offset:         28
        .size:           4
        .value_kind:     by_value
      - .actual_access:  read_only
        .address_space:  global
        .offset:         32
        .size:           8
        .value_kind:     global_buffer
      - .actual_access:  read_only
        .address_space:  global
        .offset:         40
        .size:           8
        .value_kind:     global_buffer
      - .actual_access:  read_only
        .address_space:  global
        .offset:         48
        .size:           8
        .value_kind:     global_buffer
      - .offset:         56
        .size:           4
        .value_kind:     by_value
      - .actual_access:  read_only
        .address_space:  global
        .offset:         64
        .size:           8
        .value_kind:     global_buffer
      - .offset:         72
        .size:           4
        .value_kind:     by_value
      - .offset:         76
        .size:           4
        .value_kind:     by_value
      - .offset:         80
        .size:           4
        .value_kind:     by_value
      - .actual_access:  write_only
        .address_space:  global
        .offset:         88
        .size:           8
        .value_kind:     global_buffer
      - .actual_access:  write_only
        .address_space:  global
        .offset:         96
        .size:           8
        .value_kind:     global_buffer
      - .actual_access:  write_only
        .address_space:  global
        .offset:         104
        .size:           8
        .value_kind:     global_buffer
      - .actual_access:  read_only
        .address_space:  global
        .offset:         112
        .size:           8
        .value_kind:     global_buffer
      - .offset:         120
        .size:           4
        .value_kind:     by_value
      - .address_space:  global
        .offset:         128
        .size:           8
        .value_kind:     global_buffer
      - .address_space:  global
        .offset:         136
        .size:           8
        .value_kind:     global_buffer
      - .offset:         144
        .size:           4
        .value_kind:     hidden_block_count_x
      - .offset:         148
        .size:           4
        .value_kind:     hidden_block_count_y
      - .offset:         152
        .size:           4
        .value_kind:     hidden_block_count_z
      - .offset:         156
        .size:           2
        .value_kind:     hidden_group_size_x
      - .offset:         158
        .size:           2
        .value_kind:     hidden_group_size_y
      - .offset:         160
        .size:           2
        .value_kind:     hidden_group_size_z
      - .offset:         162
        .size:           2
        .value_kind:     hidden_remainder_x
      - .offset:         164
        .size:           2
        .value_kind:     hidden_remainder_y
      - .offset:         166
        .size:           2
        .value_kind:     hidden_remainder_z
      - .offset:         184
        .size:           8
        .value_kind:     hidden_global_offset_x
      - .offset:         192
        .size:           8
        .value_kind:     hidden_global_offset_y
      - .offset:         200
        .size:           8
        .value_kind:     hidden_global_offset_z
      - .offset:         208
        .size:           2
        .value_kind:     hidden_grid_dims
    .group_segment_fixed_size: 17472
    .kernarg_segment_align: 8
    .kernarg_segment_size: 400
    .language:       OpenCL C
    .language_version:
      - 2
      - 0
    .max_flat_workgroup_size: 256
    .name:           _Z39paged_attention_ll4mi_QKV_mfma16_kernelIDF16_hLN4vllm18Fp8KVCacheDataTypeE1EhLi32ELi64ELi256ELb0ELi10EL8MFMAType0EEvPKT_PKT0_S8_ifPKiSA_SA_iPKfiiiPfSD_PS3_PT2_iSC_SC_
    .private_segment_fixed_size: 0
    .sgpr_count:     40
    .sgpr_spill_count: 0
    .symbol:         _Z39paged_attention_ll4mi_QKV_mfma16_kernelIDF16_hLN4vllm18Fp8KVCacheDataTypeE1EhLi32ELi64ELi256ELb0ELi10EL8MFMAType0EEvPKT_PKT0_S8_ifPKiSA_SA_iPKfiiiPfSD_PS3_PT2_iSC_SC_.kd
    .uniform_work_group_size: 1
    .uses_dynamic_stack: false
    .vgpr_count:     146
    .vgpr_spill_count: 0
    .wavefront_size: 32
    .workgroup_processor_mode: 1
  - .args:
      - .actual_access:  read_only
        .address_space:  global
        .offset:         0
        .size:           8
        .value_kind:     global_buffer
      - .actual_access:  read_only
        .address_space:  global
        .offset:         8
        .size:           8
        .value_kind:     global_buffer
      - .actual_access:  read_only
        .address_space:  global
        .offset:         16
        .size:           8
        .value_kind:     global_buffer
      - .offset:         24
        .size:           4
        .value_kind:     by_value
      - .offset:         28
        .size:           4
        .value_kind:     by_value
      - .actual_access:  read_only
        .address_space:  global
        .offset:         32
        .size:           8
        .value_kind:     global_buffer
      - .actual_access:  read_only
        .address_space:  global
        .offset:         40
        .size:           8
        .value_kind:     global_buffer
      - .actual_access:  read_only
        .address_space:  global
        .offset:         48
        .size:           8
        .value_kind:     global_buffer
      - .offset:         56
        .size:           4
        .value_kind:     by_value
      - .actual_access:  read_only
        .address_space:  global
        .offset:         64
        .size:           8
        .value_kind:     global_buffer
      - .offset:         72
        .size:           4
        .value_kind:     by_value
      - .offset:         76
        .size:           4
        .value_kind:     by_value
      - .offset:         80
        .size:           4
        .value_kind:     by_value
      - .actual_access:  write_only
        .address_space:  global
        .offset:         88
        .size:           8
        .value_kind:     global_buffer
      - .actual_access:  write_only
        .address_space:  global
        .offset:         96
        .size:           8
        .value_kind:     global_buffer
      - .actual_access:  write_only
        .address_space:  global
        .offset:         104
        .size:           8
        .value_kind:     global_buffer
      - .actual_access:  read_only
        .address_space:  global
        .offset:         112
        .size:           8
        .value_kind:     global_buffer
      - .offset:         120
        .size:           4
        .value_kind:     by_value
      - .address_space:  global
        .offset:         128
        .size:           8
        .value_kind:     global_buffer
      - .address_space:  global
        .offset:         136
        .size:           8
        .value_kind:     global_buffer
      - .offset:         144
        .size:           4
        .value_kind:     hidden_block_count_x
      - .offset:         148
        .size:           4
        .value_kind:     hidden_block_count_y
      - .offset:         152
        .size:           4
        .value_kind:     hidden_block_count_z
      - .offset:         156
        .size:           2
        .value_kind:     hidden_group_size_x
      - .offset:         158
        .size:           2
        .value_kind:     hidden_group_size_y
      - .offset:         160
        .size:           2
        .value_kind:     hidden_group_size_z
      - .offset:         162
        .size:           2
        .value_kind:     hidden_remainder_x
      - .offset:         164
        .size:           2
        .value_kind:     hidden_remainder_y
      - .offset:         166
        .size:           2
        .value_kind:     hidden_remainder_z
      - .offset:         184
        .size:           8
        .value_kind:     hidden_global_offset_x
      - .offset:         192
        .size:           8
        .value_kind:     hidden_global_offset_y
      - .offset:         200
        .size:           8
        .value_kind:     hidden_global_offset_z
      - .offset:         208
        .size:           2
        .value_kind:     hidden_grid_dims
    .group_segment_fixed_size: 17472
    .kernarg_segment_align: 8
    .kernarg_segment_size: 400
    .language:       OpenCL C
    .language_version:
      - 2
      - 0
    .max_flat_workgroup_size: 256
    .name:           _Z39paged_attention_ll4mi_QKV_mfma16_kernelIDF16_hLN4vllm18Fp8KVCacheDataTypeE1EhLi32ELi64ELi256ELb0ELi11EL8MFMAType0EEvPKT_PKT0_S8_ifPKiSA_SA_iPKfiiiPfSD_PS3_PT2_iSC_SC_
    .private_segment_fixed_size: 0
    .sgpr_count:     39
    .sgpr_spill_count: 0
    .symbol:         _Z39paged_attention_ll4mi_QKV_mfma16_kernelIDF16_hLN4vllm18Fp8KVCacheDataTypeE1EhLi32ELi64ELi256ELb0ELi11EL8MFMAType0EEvPKT_PKT0_S8_ifPKiSA_SA_iPKfiiiPfSD_PS3_PT2_iSC_SC_.kd
    .uniform_work_group_size: 1
    .uses_dynamic_stack: false
    .vgpr_count:     146
    .vgpr_spill_count: 0
    .wavefront_size: 32
    .workgroup_processor_mode: 1
  - .args:
      - .actual_access:  read_only
        .address_space:  global
        .offset:         0
        .size:           8
        .value_kind:     global_buffer
      - .actual_access:  read_only
        .address_space:  global
        .offset:         8
        .size:           8
        .value_kind:     global_buffer
      - .actual_access:  read_only
        .address_space:  global
        .offset:         16
        .size:           8
        .value_kind:     global_buffer
      - .offset:         24
        .size:           4
        .value_kind:     by_value
      - .offset:         28
        .size:           4
        .value_kind:     by_value
      - .actual_access:  read_only
        .address_space:  global
        .offset:         32
        .size:           8
        .value_kind:     global_buffer
      - .actual_access:  read_only
        .address_space:  global
        .offset:         40
        .size:           8
        .value_kind:     global_buffer
      - .actual_access:  read_only
        .address_space:  global
        .offset:         48
        .size:           8
        .value_kind:     global_buffer
      - .offset:         56
        .size:           4
        .value_kind:     by_value
      - .actual_access:  read_only
        .address_space:  global
        .offset:         64
        .size:           8
        .value_kind:     global_buffer
      - .offset:         72
        .size:           4
        .value_kind:     by_value
      - .offset:         76
        .size:           4
        .value_kind:     by_value
      - .offset:         80
        .size:           4
        .value_kind:     by_value
      - .actual_access:  write_only
        .address_space:  global
        .offset:         88
        .size:           8
        .value_kind:     global_buffer
      - .actual_access:  write_only
        .address_space:  global
        .offset:         96
        .size:           8
        .value_kind:     global_buffer
      - .actual_access:  write_only
        .address_space:  global
        .offset:         104
        .size:           8
        .value_kind:     global_buffer
      - .actual_access:  read_only
        .address_space:  global
        .offset:         112
        .size:           8
        .value_kind:     global_buffer
      - .offset:         120
        .size:           4
        .value_kind:     by_value
      - .address_space:  global
        .offset:         128
        .size:           8
        .value_kind:     global_buffer
      - .address_space:  global
        .offset:         136
        .size:           8
        .value_kind:     global_buffer
      - .offset:         144
        .size:           4
        .value_kind:     hidden_block_count_x
      - .offset:         148
        .size:           4
        .value_kind:     hidden_block_count_y
      - .offset:         152
        .size:           4
        .value_kind:     hidden_block_count_z
      - .offset:         156
        .size:           2
        .value_kind:     hidden_group_size_x
      - .offset:         158
        .size:           2
        .value_kind:     hidden_group_size_y
      - .offset:         160
        .size:           2
        .value_kind:     hidden_group_size_z
      - .offset:         162
        .size:           2
        .value_kind:     hidden_remainder_x
      - .offset:         164
        .size:           2
        .value_kind:     hidden_remainder_y
      - .offset:         166
        .size:           2
        .value_kind:     hidden_remainder_z
      - .offset:         184
        .size:           8
        .value_kind:     hidden_global_offset_x
      - .offset:         192
        .size:           8
        .value_kind:     hidden_global_offset_y
      - .offset:         200
        .size:           8
        .value_kind:     hidden_global_offset_z
      - .offset:         208
        .size:           2
        .value_kind:     hidden_grid_dims
    .group_segment_fixed_size: 17472
    .kernarg_segment_align: 8
    .kernarg_segment_size: 400
    .language:       OpenCL C
    .language_version:
      - 2
      - 0
    .max_flat_workgroup_size: 256
    .name:           _Z39paged_attention_ll4mi_QKV_mfma16_kernelIDF16_hLN4vllm18Fp8KVCacheDataTypeE1EhLi32ELi64ELi256ELb0ELi12EL8MFMAType0EEvPKT_PKT0_S8_ifPKiSA_SA_iPKfiiiPfSD_PS3_PT2_iSC_SC_
    .private_segment_fixed_size: 0
    .sgpr_count:     40
    .sgpr_spill_count: 0
    .symbol:         _Z39paged_attention_ll4mi_QKV_mfma16_kernelIDF16_hLN4vllm18Fp8KVCacheDataTypeE1EhLi32ELi64ELi256ELb0ELi12EL8MFMAType0EEvPKT_PKT0_S8_ifPKiSA_SA_iPKfiiiPfSD_PS3_PT2_iSC_SC_.kd
    .uniform_work_group_size: 1
    .uses_dynamic_stack: false
    .vgpr_count:     146
    .vgpr_spill_count: 0
    .wavefront_size: 32
    .workgroup_processor_mode: 1
  - .args:
      - .actual_access:  read_only
        .address_space:  global
        .offset:         0
        .size:           8
        .value_kind:     global_buffer
      - .actual_access:  read_only
        .address_space:  global
        .offset:         8
        .size:           8
        .value_kind:     global_buffer
      - .actual_access:  read_only
        .address_space:  global
        .offset:         16
        .size:           8
        .value_kind:     global_buffer
      - .offset:         24
        .size:           4
        .value_kind:     by_value
      - .offset:         28
        .size:           4
        .value_kind:     by_value
      - .actual_access:  read_only
        .address_space:  global
        .offset:         32
        .size:           8
        .value_kind:     global_buffer
      - .actual_access:  read_only
        .address_space:  global
        .offset:         40
        .size:           8
        .value_kind:     global_buffer
      - .actual_access:  read_only
        .address_space:  global
        .offset:         48
        .size:           8
        .value_kind:     global_buffer
      - .offset:         56
        .size:           4
        .value_kind:     by_value
      - .actual_access:  read_only
        .address_space:  global
        .offset:         64
        .size:           8
        .value_kind:     global_buffer
      - .offset:         72
        .size:           4
        .value_kind:     by_value
      - .offset:         76
        .size:           4
        .value_kind:     by_value
      - .offset:         80
        .size:           4
        .value_kind:     by_value
      - .actual_access:  write_only
        .address_space:  global
        .offset:         88
        .size:           8
        .value_kind:     global_buffer
      - .actual_access:  write_only
        .address_space:  global
        .offset:         96
        .size:           8
        .value_kind:     global_buffer
      - .actual_access:  write_only
        .address_space:  global
        .offset:         104
        .size:           8
        .value_kind:     global_buffer
      - .actual_access:  read_only
        .address_space:  global
        .offset:         112
        .size:           8
        .value_kind:     global_buffer
      - .offset:         120
        .size:           4
        .value_kind:     by_value
      - .address_space:  global
        .offset:         128
        .size:           8
        .value_kind:     global_buffer
      - .address_space:  global
        .offset:         136
        .size:           8
        .value_kind:     global_buffer
      - .offset:         144
        .size:           4
        .value_kind:     hidden_block_count_x
      - .offset:         148
        .size:           4
        .value_kind:     hidden_block_count_y
      - .offset:         152
        .size:           4
        .value_kind:     hidden_block_count_z
      - .offset:         156
        .size:           2
        .value_kind:     hidden_group_size_x
      - .offset:         158
        .size:           2
        .value_kind:     hidden_group_size_y
      - .offset:         160
        .size:           2
        .value_kind:     hidden_group_size_z
      - .offset:         162
        .size:           2
        .value_kind:     hidden_remainder_x
      - .offset:         164
        .size:           2
        .value_kind:     hidden_remainder_y
      - .offset:         166
        .size:           2
        .value_kind:     hidden_remainder_z
      - .offset:         184
        .size:           8
        .value_kind:     hidden_global_offset_x
      - .offset:         192
        .size:           8
        .value_kind:     hidden_global_offset_y
      - .offset:         200
        .size:           8
        .value_kind:     hidden_global_offset_z
      - .offset:         208
        .size:           2
        .value_kind:     hidden_grid_dims
    .group_segment_fixed_size: 17472
    .kernarg_segment_align: 8
    .kernarg_segment_size: 400
    .language:       OpenCL C
    .language_version:
      - 2
      - 0
    .max_flat_workgroup_size: 256
    .name:           _Z39paged_attention_ll4mi_QKV_mfma16_kernelIDF16_hLN4vllm18Fp8KVCacheDataTypeE1EhLi32ELi64ELi256ELb0ELi13EL8MFMAType0EEvPKT_PKT0_S8_ifPKiSA_SA_iPKfiiiPfSD_PS3_PT2_iSC_SC_
    .private_segment_fixed_size: 0
    .sgpr_count:     39
    .sgpr_spill_count: 0
    .symbol:         _Z39paged_attention_ll4mi_QKV_mfma16_kernelIDF16_hLN4vllm18Fp8KVCacheDataTypeE1EhLi32ELi64ELi256ELb0ELi13EL8MFMAType0EEvPKT_PKT0_S8_ifPKiSA_SA_iPKfiiiPfSD_PS3_PT2_iSC_SC_.kd
    .uniform_work_group_size: 1
    .uses_dynamic_stack: false
    .vgpr_count:     146
    .vgpr_spill_count: 0
    .wavefront_size: 32
    .workgroup_processor_mode: 1
  - .args:
      - .actual_access:  read_only
        .address_space:  global
        .offset:         0
        .size:           8
        .value_kind:     global_buffer
      - .actual_access:  read_only
        .address_space:  global
        .offset:         8
        .size:           8
        .value_kind:     global_buffer
      - .actual_access:  read_only
        .address_space:  global
        .offset:         16
        .size:           8
        .value_kind:     global_buffer
      - .offset:         24
        .size:           4
        .value_kind:     by_value
      - .offset:         28
        .size:           4
        .value_kind:     by_value
      - .actual_access:  read_only
        .address_space:  global
        .offset:         32
        .size:           8
        .value_kind:     global_buffer
      - .actual_access:  read_only
        .address_space:  global
        .offset:         40
        .size:           8
        .value_kind:     global_buffer
      - .actual_access:  read_only
        .address_space:  global
        .offset:         48
        .size:           8
        .value_kind:     global_buffer
      - .offset:         56
        .size:           4
        .value_kind:     by_value
      - .actual_access:  read_only
        .address_space:  global
        .offset:         64
        .size:           8
        .value_kind:     global_buffer
      - .offset:         72
        .size:           4
        .value_kind:     by_value
      - .offset:         76
        .size:           4
        .value_kind:     by_value
      - .offset:         80
        .size:           4
        .value_kind:     by_value
      - .actual_access:  write_only
        .address_space:  global
        .offset:         88
        .size:           8
        .value_kind:     global_buffer
      - .actual_access:  write_only
        .address_space:  global
        .offset:         96
        .size:           8
        .value_kind:     global_buffer
      - .actual_access:  write_only
        .address_space:  global
        .offset:         104
        .size:           8
        .value_kind:     global_buffer
      - .actual_access:  read_only
        .address_space:  global
        .offset:         112
        .size:           8
        .value_kind:     global_buffer
      - .offset:         120
        .size:           4
        .value_kind:     by_value
      - .address_space:  global
        .offset:         128
        .size:           8
        .value_kind:     global_buffer
      - .address_space:  global
        .offset:         136
        .size:           8
        .value_kind:     global_buffer
      - .offset:         144
        .size:           4
        .value_kind:     hidden_block_count_x
      - .offset:         148
        .size:           4
        .value_kind:     hidden_block_count_y
      - .offset:         152
        .size:           4
        .value_kind:     hidden_block_count_z
      - .offset:         156
        .size:           2
        .value_kind:     hidden_group_size_x
      - .offset:         158
        .size:           2
        .value_kind:     hidden_group_size_y
      - .offset:         160
        .size:           2
        .value_kind:     hidden_group_size_z
      - .offset:         162
        .size:           2
        .value_kind:     hidden_remainder_x
      - .offset:         164
        .size:           2
        .value_kind:     hidden_remainder_y
      - .offset:         166
        .size:           2
        .value_kind:     hidden_remainder_z
      - .offset:         184
        .size:           8
        .value_kind:     hidden_global_offset_x
      - .offset:         192
        .size:           8
        .value_kind:     hidden_global_offset_y
      - .offset:         200
        .size:           8
        .value_kind:     hidden_global_offset_z
      - .offset:         208
        .size:           2
        .value_kind:     hidden_grid_dims
    .group_segment_fixed_size: 17472
    .kernarg_segment_align: 8
    .kernarg_segment_size: 400
    .language:       OpenCL C
    .language_version:
      - 2
      - 0
    .max_flat_workgroup_size: 256
    .name:           _Z39paged_attention_ll4mi_QKV_mfma16_kernelIDF16_hLN4vllm18Fp8KVCacheDataTypeE1EhLi32ELi64ELi256ELb0ELi14EL8MFMAType0EEvPKT_PKT0_S8_ifPKiSA_SA_iPKfiiiPfSD_PS3_PT2_iSC_SC_
    .private_segment_fixed_size: 0
    .sgpr_count:     40
    .sgpr_spill_count: 0
    .symbol:         _Z39paged_attention_ll4mi_QKV_mfma16_kernelIDF16_hLN4vllm18Fp8KVCacheDataTypeE1EhLi32ELi64ELi256ELb0ELi14EL8MFMAType0EEvPKT_PKT0_S8_ifPKiSA_SA_iPKfiiiPfSD_PS3_PT2_iSC_SC_.kd
    .uniform_work_group_size: 1
    .uses_dynamic_stack: false
    .vgpr_count:     146
    .vgpr_spill_count: 0
    .wavefront_size: 32
    .workgroup_processor_mode: 1
  - .args:
      - .actual_access:  read_only
        .address_space:  global
        .offset:         0
        .size:           8
        .value_kind:     global_buffer
      - .actual_access:  read_only
        .address_space:  global
        .offset:         8
        .size:           8
        .value_kind:     global_buffer
      - .actual_access:  read_only
        .address_space:  global
        .offset:         16
        .size:           8
        .value_kind:     global_buffer
      - .offset:         24
        .size:           4
        .value_kind:     by_value
      - .offset:         28
        .size:           4
        .value_kind:     by_value
      - .actual_access:  read_only
        .address_space:  global
        .offset:         32
        .size:           8
        .value_kind:     global_buffer
      - .actual_access:  read_only
        .address_space:  global
        .offset:         40
        .size:           8
        .value_kind:     global_buffer
      - .actual_access:  read_only
        .address_space:  global
        .offset:         48
        .size:           8
        .value_kind:     global_buffer
      - .offset:         56
        .size:           4
        .value_kind:     by_value
      - .actual_access:  read_only
        .address_space:  global
        .offset:         64
        .size:           8
        .value_kind:     global_buffer
      - .offset:         72
        .size:           4
        .value_kind:     by_value
      - .offset:         76
        .size:           4
        .value_kind:     by_value
      - .offset:         80
        .size:           4
        .value_kind:     by_value
      - .actual_access:  write_only
        .address_space:  global
        .offset:         88
        .size:           8
        .value_kind:     global_buffer
      - .actual_access:  write_only
        .address_space:  global
        .offset:         96
        .size:           8
        .value_kind:     global_buffer
      - .actual_access:  write_only
        .address_space:  global
        .offset:         104
        .size:           8
        .value_kind:     global_buffer
      - .actual_access:  read_only
        .address_space:  global
        .offset:         112
        .size:           8
        .value_kind:     global_buffer
      - .offset:         120
        .size:           4
        .value_kind:     by_value
      - .address_space:  global
        .offset:         128
        .size:           8
        .value_kind:     global_buffer
      - .address_space:  global
        .offset:         136
        .size:           8
        .value_kind:     global_buffer
      - .offset:         144
        .size:           4
        .value_kind:     hidden_block_count_x
      - .offset:         148
        .size:           4
        .value_kind:     hidden_block_count_y
      - .offset:         152
        .size:           4
        .value_kind:     hidden_block_count_z
      - .offset:         156
        .size:           2
        .value_kind:     hidden_group_size_x
      - .offset:         158
        .size:           2
        .value_kind:     hidden_group_size_y
      - .offset:         160
        .size:           2
        .value_kind:     hidden_group_size_z
      - .offset:         162
        .size:           2
        .value_kind:     hidden_remainder_x
      - .offset:         164
        .size:           2
        .value_kind:     hidden_remainder_y
      - .offset:         166
        .size:           2
        .value_kind:     hidden_remainder_z
      - .offset:         184
        .size:           8
        .value_kind:     hidden_global_offset_x
      - .offset:         192
        .size:           8
        .value_kind:     hidden_global_offset_y
      - .offset:         200
        .size:           8
        .value_kind:     hidden_global_offset_z
      - .offset:         208
        .size:           2
        .value_kind:     hidden_grid_dims
    .group_segment_fixed_size: 17472
    .kernarg_segment_align: 8
    .kernarg_segment_size: 400
    .language:       OpenCL C
    .language_version:
      - 2
      - 0
    .max_flat_workgroup_size: 256
    .name:           _Z39paged_attention_ll4mi_QKV_mfma16_kernelIDF16_hLN4vllm18Fp8KVCacheDataTypeE1EhLi32ELi64ELi256ELb0ELi15EL8MFMAType0EEvPKT_PKT0_S8_ifPKiSA_SA_iPKfiiiPfSD_PS3_PT2_iSC_SC_
    .private_segment_fixed_size: 0
    .sgpr_count:     39
    .sgpr_spill_count: 0
    .symbol:         _Z39paged_attention_ll4mi_QKV_mfma16_kernelIDF16_hLN4vllm18Fp8KVCacheDataTypeE1EhLi32ELi64ELi256ELb0ELi15EL8MFMAType0EEvPKT_PKT0_S8_ifPKiSA_SA_iPKfiiiPfSD_PS3_PT2_iSC_SC_.kd
    .uniform_work_group_size: 1
    .uses_dynamic_stack: false
    .vgpr_count:     146
    .vgpr_spill_count: 0
    .wavefront_size: 32
    .workgroup_processor_mode: 1
  - .args:
      - .actual_access:  read_only
        .address_space:  global
        .offset:         0
        .size:           8
        .value_kind:     global_buffer
      - .actual_access:  read_only
        .address_space:  global
        .offset:         8
        .size:           8
        .value_kind:     global_buffer
      - .actual_access:  read_only
        .address_space:  global
        .offset:         16
        .size:           8
        .value_kind:     global_buffer
      - .offset:         24
        .size:           4
        .value_kind:     by_value
      - .offset:         28
        .size:           4
        .value_kind:     by_value
      - .actual_access:  read_only
        .address_space:  global
        .offset:         32
        .size:           8
        .value_kind:     global_buffer
      - .actual_access:  read_only
        .address_space:  global
        .offset:         40
        .size:           8
        .value_kind:     global_buffer
      - .actual_access:  read_only
        .address_space:  global
        .offset:         48
        .size:           8
        .value_kind:     global_buffer
      - .offset:         56
        .size:           4
        .value_kind:     by_value
      - .actual_access:  read_only
        .address_space:  global
        .offset:         64
        .size:           8
        .value_kind:     global_buffer
      - .offset:         72
        .size:           4
        .value_kind:     by_value
      - .offset:         76
        .size:           4
        .value_kind:     by_value
      - .offset:         80
        .size:           4
        .value_kind:     by_value
      - .actual_access:  write_only
        .address_space:  global
        .offset:         88
        .size:           8
        .value_kind:     global_buffer
      - .actual_access:  write_only
        .address_space:  global
        .offset:         96
        .size:           8
        .value_kind:     global_buffer
      - .actual_access:  write_only
        .address_space:  global
        .offset:         104
        .size:           8
        .value_kind:     global_buffer
      - .actual_access:  read_only
        .address_space:  global
        .offset:         112
        .size:           8
        .value_kind:     global_buffer
      - .offset:         120
        .size:           4
        .value_kind:     by_value
      - .address_space:  global
        .offset:         128
        .size:           8
        .value_kind:     global_buffer
      - .address_space:  global
        .offset:         136
        .size:           8
        .value_kind:     global_buffer
      - .offset:         144
        .size:           4
        .value_kind:     hidden_block_count_x
      - .offset:         148
        .size:           4
        .value_kind:     hidden_block_count_y
      - .offset:         152
        .size:           4
        .value_kind:     hidden_block_count_z
      - .offset:         156
        .size:           2
        .value_kind:     hidden_group_size_x
      - .offset:         158
        .size:           2
        .value_kind:     hidden_group_size_y
      - .offset:         160
        .size:           2
        .value_kind:     hidden_group_size_z
      - .offset:         162
        .size:           2
        .value_kind:     hidden_remainder_x
      - .offset:         164
        .size:           2
        .value_kind:     hidden_remainder_y
      - .offset:         166
        .size:           2
        .value_kind:     hidden_remainder_z
      - .offset:         184
        .size:           8
        .value_kind:     hidden_global_offset_x
      - .offset:         192
        .size:           8
        .value_kind:     hidden_global_offset_y
      - .offset:         200
        .size:           8
        .value_kind:     hidden_global_offset_z
      - .offset:         208
        .size:           2
        .value_kind:     hidden_grid_dims
    .group_segment_fixed_size: 17472
    .kernarg_segment_align: 8
    .kernarg_segment_size: 400
    .language:       OpenCL C
    .language_version:
      - 2
      - 0
    .max_flat_workgroup_size: 256
    .name:           _Z39paged_attention_ll4mi_QKV_mfma16_kernelIDF16_hLN4vllm18Fp8KVCacheDataTypeE1EhLi32ELi64ELi256ELb0ELi16EL8MFMAType0EEvPKT_PKT0_S8_ifPKiSA_SA_iPKfiiiPfSD_PS3_PT2_iSC_SC_
    .private_segment_fixed_size: 0
    .sgpr_count:     44
    .sgpr_spill_count: 0
    .symbol:         _Z39paged_attention_ll4mi_QKV_mfma16_kernelIDF16_hLN4vllm18Fp8KVCacheDataTypeE1EhLi32ELi64ELi256ELb0ELi16EL8MFMAType0EEvPKT_PKT0_S8_ifPKiSA_SA_iPKfiiiPfSD_PS3_PT2_iSC_SC_.kd
    .uniform_work_group_size: 1
    .uses_dynamic_stack: false
    .vgpr_count:     123
    .vgpr_spill_count: 0
    .wavefront_size: 32
    .workgroup_processor_mode: 1
  - .args:
      - .actual_access:  read_only
        .address_space:  global
        .offset:         0
        .size:           8
        .value_kind:     global_buffer
      - .actual_access:  read_only
        .address_space:  global
        .offset:         8
        .size:           8
        .value_kind:     global_buffer
      - .actual_access:  read_only
        .address_space:  global
        .offset:         16
        .size:           8
        .value_kind:     global_buffer
      - .offset:         24
        .size:           4
        .value_kind:     by_value
      - .offset:         28
        .size:           4
        .value_kind:     by_value
      - .actual_access:  read_only
        .address_space:  global
        .offset:         32
        .size:           8
        .value_kind:     global_buffer
      - .actual_access:  read_only
        .address_space:  global
        .offset:         40
        .size:           8
        .value_kind:     global_buffer
      - .actual_access:  read_only
        .address_space:  global
        .offset:         48
        .size:           8
        .value_kind:     global_buffer
      - .offset:         56
        .size:           4
        .value_kind:     by_value
      - .actual_access:  read_only
        .address_space:  global
        .offset:         64
        .size:           8
        .value_kind:     global_buffer
      - .offset:         72
        .size:           4
        .value_kind:     by_value
      - .offset:         76
        .size:           4
        .value_kind:     by_value
      - .offset:         80
        .size:           4
        .value_kind:     by_value
      - .actual_access:  write_only
        .address_space:  global
        .offset:         88
        .size:           8
        .value_kind:     global_buffer
      - .actual_access:  write_only
        .address_space:  global
        .offset:         96
        .size:           8
        .value_kind:     global_buffer
      - .actual_access:  write_only
        .address_space:  global
        .offset:         104
        .size:           8
        .value_kind:     global_buffer
      - .actual_access:  read_only
        .address_space:  global
        .offset:         112
        .size:           8
        .value_kind:     global_buffer
      - .offset:         120
        .size:           4
        .value_kind:     by_value
      - .address_space:  global
        .offset:         128
        .size:           8
        .value_kind:     global_buffer
      - .address_space:  global
        .offset:         136
        .size:           8
        .value_kind:     global_buffer
      - .offset:         144
        .size:           4
        .value_kind:     hidden_block_count_x
      - .offset:         148
        .size:           4
        .value_kind:     hidden_block_count_y
      - .offset:         152
        .size:           4
        .value_kind:     hidden_block_count_z
      - .offset:         156
        .size:           2
        .value_kind:     hidden_group_size_x
      - .offset:         158
        .size:           2
        .value_kind:     hidden_group_size_y
      - .offset:         160
        .size:           2
        .value_kind:     hidden_group_size_z
      - .offset:         162
        .size:           2
        .value_kind:     hidden_remainder_x
      - .offset:         164
        .size:           2
        .value_kind:     hidden_remainder_y
      - .offset:         166
        .size:           2
        .value_kind:     hidden_remainder_z
      - .offset:         184
        .size:           8
        .value_kind:     hidden_global_offset_x
      - .offset:         192
        .size:           8
        .value_kind:     hidden_global_offset_y
      - .offset:         200
        .size:           8
        .value_kind:     hidden_global_offset_z
      - .offset:         208
        .size:           2
        .value_kind:     hidden_grid_dims
    .group_segment_fixed_size: 17472
    .kernarg_segment_align: 8
    .kernarg_segment_size: 400
    .language:       OpenCL C
    .language_version:
      - 2
      - 0
    .max_flat_workgroup_size: 256
    .name:           _Z39paged_attention_ll4mi_QKV_mfma16_kernelIDF16_hLN4vllm18Fp8KVCacheDataTypeE1EhLi32ELi64ELi256ELb0ELi1EL8MFMAType0EEvPKT_PKT0_S8_ifPKiSA_SA_iPKfiiiPfSD_PS3_PT2_iSC_SC_
    .private_segment_fixed_size: 0
    .sgpr_count:     52
    .sgpr_spill_count: 0
    .symbol:         _Z39paged_attention_ll4mi_QKV_mfma16_kernelIDF16_hLN4vllm18Fp8KVCacheDataTypeE1EhLi32ELi64ELi256ELb0ELi1EL8MFMAType0EEvPKT_PKT0_S8_ifPKiSA_SA_iPKfiiiPfSD_PS3_PT2_iSC_SC_.kd
    .uniform_work_group_size: 1
    .uses_dynamic_stack: false
    .vgpr_count:     144
    .vgpr_spill_count: 0
    .wavefront_size: 32
    .workgroup_processor_mode: 1
  - .args:
      - .actual_access:  read_only
        .address_space:  global
        .offset:         0
        .size:           8
        .value_kind:     global_buffer
      - .actual_access:  read_only
        .address_space:  global
        .offset:         8
        .size:           8
        .value_kind:     global_buffer
      - .actual_access:  read_only
        .address_space:  global
        .offset:         16
        .size:           8
        .value_kind:     global_buffer
      - .offset:         24
        .size:           4
        .value_kind:     by_value
      - .offset:         28
        .size:           4
        .value_kind:     by_value
      - .actual_access:  read_only
        .address_space:  global
        .offset:         32
        .size:           8
        .value_kind:     global_buffer
      - .actual_access:  read_only
        .address_space:  global
        .offset:         40
        .size:           8
        .value_kind:     global_buffer
      - .actual_access:  read_only
        .address_space:  global
        .offset:         48
        .size:           8
        .value_kind:     global_buffer
      - .offset:         56
        .size:           4
        .value_kind:     by_value
      - .actual_access:  read_only
        .address_space:  global
        .offset:         64
        .size:           8
        .value_kind:     global_buffer
      - .offset:         72
        .size:           4
        .value_kind:     by_value
      - .offset:         76
        .size:           4
        .value_kind:     by_value
      - .offset:         80
        .size:           4
        .value_kind:     by_value
      - .actual_access:  write_only
        .address_space:  global
        .offset:         88
        .size:           8
        .value_kind:     global_buffer
      - .actual_access:  write_only
        .address_space:  global
        .offset:         96
        .size:           8
        .value_kind:     global_buffer
      - .actual_access:  write_only
        .address_space:  global
        .offset:         104
        .size:           8
        .value_kind:     global_buffer
      - .actual_access:  read_only
        .address_space:  global
        .offset:         112
        .size:           8
        .value_kind:     global_buffer
      - .offset:         120
        .size:           4
        .value_kind:     by_value
      - .address_space:  global
        .offset:         128
        .size:           8
        .value_kind:     global_buffer
      - .address_space:  global
        .offset:         136
        .size:           8
        .value_kind:     global_buffer
      - .offset:         144
        .size:           4
        .value_kind:     hidden_block_count_x
      - .offset:         148
        .size:           4
        .value_kind:     hidden_block_count_y
      - .offset:         152
        .size:           4
        .value_kind:     hidden_block_count_z
      - .offset:         156
        .size:           2
        .value_kind:     hidden_group_size_x
      - .offset:         158
        .size:           2
        .value_kind:     hidden_group_size_y
      - .offset:         160
        .size:           2
        .value_kind:     hidden_group_size_z
      - .offset:         162
        .size:           2
        .value_kind:     hidden_remainder_x
      - .offset:         164
        .size:           2
        .value_kind:     hidden_remainder_y
      - .offset:         166
        .size:           2
        .value_kind:     hidden_remainder_z
      - .offset:         184
        .size:           8
        .value_kind:     hidden_global_offset_x
      - .offset:         192
        .size:           8
        .value_kind:     hidden_global_offset_y
      - .offset:         200
        .size:           8
        .value_kind:     hidden_global_offset_z
      - .offset:         208
        .size:           2
        .value_kind:     hidden_grid_dims
    .group_segment_fixed_size: 17472
    .kernarg_segment_align: 8
    .kernarg_segment_size: 400
    .language:       OpenCL C
    .language_version:
      - 2
      - 0
    .max_flat_workgroup_size: 256
    .name:           _Z39paged_attention_ll4mi_QKV_mfma16_kernelIDF16_hLN4vllm18Fp8KVCacheDataTypeE1EhLi32ELi64ELi256ELb0ELi2EL8MFMAType0EEvPKT_PKT0_S8_ifPKiSA_SA_iPKfiiiPfSD_PS3_PT2_iSC_SC_
    .private_segment_fixed_size: 0
    .sgpr_count:     40
    .sgpr_spill_count: 0
    .symbol:         _Z39paged_attention_ll4mi_QKV_mfma16_kernelIDF16_hLN4vllm18Fp8KVCacheDataTypeE1EhLi32ELi64ELi256ELb0ELi2EL8MFMAType0EEvPKT_PKT0_S8_ifPKiSA_SA_iPKfiiiPfSD_PS3_PT2_iSC_SC_.kd
    .uniform_work_group_size: 1
    .uses_dynamic_stack: false
    .vgpr_count:     148
    .vgpr_spill_count: 0
    .wavefront_size: 32
    .workgroup_processor_mode: 1
  - .args:
      - .actual_access:  read_only
        .address_space:  global
        .offset:         0
        .size:           8
        .value_kind:     global_buffer
      - .actual_access:  read_only
        .address_space:  global
        .offset:         8
        .size:           8
        .value_kind:     global_buffer
      - .actual_access:  read_only
        .address_space:  global
        .offset:         16
        .size:           8
        .value_kind:     global_buffer
      - .offset:         24
        .size:           4
        .value_kind:     by_value
      - .offset:         28
        .size:           4
        .value_kind:     by_value
      - .actual_access:  read_only
        .address_space:  global
        .offset:         32
        .size:           8
        .value_kind:     global_buffer
      - .actual_access:  read_only
        .address_space:  global
        .offset:         40
        .size:           8
        .value_kind:     global_buffer
      - .actual_access:  read_only
        .address_space:  global
        .offset:         48
        .size:           8
        .value_kind:     global_buffer
      - .offset:         56
        .size:           4
        .value_kind:     by_value
      - .actual_access:  read_only
        .address_space:  global
        .offset:         64
        .size:           8
        .value_kind:     global_buffer
      - .offset:         72
        .size:           4
        .value_kind:     by_value
      - .offset:         76
        .size:           4
        .value_kind:     by_value
      - .offset:         80
        .size:           4
        .value_kind:     by_value
      - .actual_access:  write_only
        .address_space:  global
        .offset:         88
        .size:           8
        .value_kind:     global_buffer
      - .actual_access:  write_only
        .address_space:  global
        .offset:         96
        .size:           8
        .value_kind:     global_buffer
      - .actual_access:  write_only
        .address_space:  global
        .offset:         104
        .size:           8
        .value_kind:     global_buffer
      - .actual_access:  read_only
        .address_space:  global
        .offset:         112
        .size:           8
        .value_kind:     global_buffer
      - .offset:         120
        .size:           4
        .value_kind:     by_value
      - .address_space:  global
        .offset:         128
        .size:           8
        .value_kind:     global_buffer
      - .address_space:  global
        .offset:         136
        .size:           8
        .value_kind:     global_buffer
      - .offset:         144
        .size:           4
        .value_kind:     hidden_block_count_x
      - .offset:         148
        .size:           4
        .value_kind:     hidden_block_count_y
      - .offset:         152
        .size:           4
        .value_kind:     hidden_block_count_z
      - .offset:         156
        .size:           2
        .value_kind:     hidden_group_size_x
      - .offset:         158
        .size:           2
        .value_kind:     hidden_group_size_y
      - .offset:         160
        .size:           2
        .value_kind:     hidden_group_size_z
      - .offset:         162
        .size:           2
        .value_kind:     hidden_remainder_x
      - .offset:         164
        .size:           2
        .value_kind:     hidden_remainder_y
      - .offset:         166
        .size:           2
        .value_kind:     hidden_remainder_z
      - .offset:         184
        .size:           8
        .value_kind:     hidden_global_offset_x
      - .offset:         192
        .size:           8
        .value_kind:     hidden_global_offset_y
      - .offset:         200
        .size:           8
        .value_kind:     hidden_global_offset_z
      - .offset:         208
        .size:           2
        .value_kind:     hidden_grid_dims
    .group_segment_fixed_size: 17472
    .kernarg_segment_align: 8
    .kernarg_segment_size: 400
    .language:       OpenCL C
    .language_version:
      - 2
      - 0
    .max_flat_workgroup_size: 256
    .name:           _Z39paged_attention_ll4mi_QKV_mfma16_kernelIDF16_hLN4vllm18Fp8KVCacheDataTypeE1EhLi32ELi64ELi256ELb0ELi3EL8MFMAType0EEvPKT_PKT0_S8_ifPKiSA_SA_iPKfiiiPfSD_PS3_PT2_iSC_SC_
    .private_segment_fixed_size: 0
    .sgpr_count:     39
    .sgpr_spill_count: 0
    .symbol:         _Z39paged_attention_ll4mi_QKV_mfma16_kernelIDF16_hLN4vllm18Fp8KVCacheDataTypeE1EhLi32ELi64ELi256ELb0ELi3EL8MFMAType0EEvPKT_PKT0_S8_ifPKiSA_SA_iPKfiiiPfSD_PS3_PT2_iSC_SC_.kd
    .uniform_work_group_size: 1
    .uses_dynamic_stack: false
    .vgpr_count:     146
    .vgpr_spill_count: 0
    .wavefront_size: 32
    .workgroup_processor_mode: 1
  - .args:
      - .actual_access:  read_only
        .address_space:  global
        .offset:         0
        .size:           8
        .value_kind:     global_buffer
      - .actual_access:  read_only
        .address_space:  global
        .offset:         8
        .size:           8
        .value_kind:     global_buffer
      - .actual_access:  read_only
        .address_space:  global
        .offset:         16
        .size:           8
        .value_kind:     global_buffer
      - .offset:         24
        .size:           4
        .value_kind:     by_value
      - .offset:         28
        .size:           4
        .value_kind:     by_value
      - .actual_access:  read_only
        .address_space:  global
        .offset:         32
        .size:           8
        .value_kind:     global_buffer
      - .actual_access:  read_only
        .address_space:  global
        .offset:         40
        .size:           8
        .value_kind:     global_buffer
      - .actual_access:  read_only
        .address_space:  global
        .offset:         48
        .size:           8
        .value_kind:     global_buffer
      - .offset:         56
        .size:           4
        .value_kind:     by_value
      - .actual_access:  read_only
        .address_space:  global
        .offset:         64
        .size:           8
        .value_kind:     global_buffer
      - .offset:         72
        .size:           4
        .value_kind:     by_value
      - .offset:         76
        .size:           4
        .value_kind:     by_value
      - .offset:         80
        .size:           4
        .value_kind:     by_value
      - .actual_access:  write_only
        .address_space:  global
        .offset:         88
        .size:           8
        .value_kind:     global_buffer
      - .actual_access:  write_only
        .address_space:  global
        .offset:         96
        .size:           8
        .value_kind:     global_buffer
      - .actual_access:  write_only
        .address_space:  global
        .offset:         104
        .size:           8
        .value_kind:     global_buffer
      - .actual_access:  read_only
        .address_space:  global
        .offset:         112
        .size:           8
        .value_kind:     global_buffer
      - .offset:         120
        .size:           4
        .value_kind:     by_value
      - .address_space:  global
        .offset:         128
        .size:           8
        .value_kind:     global_buffer
      - .address_space:  global
        .offset:         136
        .size:           8
        .value_kind:     global_buffer
      - .offset:         144
        .size:           4
        .value_kind:     hidden_block_count_x
      - .offset:         148
        .size:           4
        .value_kind:     hidden_block_count_y
      - .offset:         152
        .size:           4
        .value_kind:     hidden_block_count_z
      - .offset:         156
        .size:           2
        .value_kind:     hidden_group_size_x
      - .offset:         158
        .size:           2
        .value_kind:     hidden_group_size_y
      - .offset:         160
        .size:           2
        .value_kind:     hidden_group_size_z
      - .offset:         162
        .size:           2
        .value_kind:     hidden_remainder_x
      - .offset:         164
        .size:           2
        .value_kind:     hidden_remainder_y
      - .offset:         166
        .size:           2
        .value_kind:     hidden_remainder_z
      - .offset:         184
        .size:           8
        .value_kind:     hidden_global_offset_x
      - .offset:         192
        .size:           8
        .value_kind:     hidden_global_offset_y
      - .offset:         200
        .size:           8
        .value_kind:     hidden_global_offset_z
      - .offset:         208
        .size:           2
        .value_kind:     hidden_grid_dims
    .group_segment_fixed_size: 17472
    .kernarg_segment_align: 8
    .kernarg_segment_size: 400
    .language:       OpenCL C
    .language_version:
      - 2
      - 0
    .max_flat_workgroup_size: 256
    .name:           _Z39paged_attention_ll4mi_QKV_mfma16_kernelIDF16_hLN4vllm18Fp8KVCacheDataTypeE1EhLi32ELi64ELi256ELb0ELi4EL8MFMAType0EEvPKT_PKT0_S8_ifPKiSA_SA_iPKfiiiPfSD_PS3_PT2_iSC_SC_
    .private_segment_fixed_size: 0
    .sgpr_count:     44
    .sgpr_spill_count: 0
    .symbol:         _Z39paged_attention_ll4mi_QKV_mfma16_kernelIDF16_hLN4vllm18Fp8KVCacheDataTypeE1EhLi32ELi64ELi256ELb0ELi4EL8MFMAType0EEvPKT_PKT0_S8_ifPKiSA_SA_iPKfiiiPfSD_PS3_PT2_iSC_SC_.kd
    .uniform_work_group_size: 1
    .uses_dynamic_stack: false
    .vgpr_count:     123
    .vgpr_spill_count: 0
    .wavefront_size: 32
    .workgroup_processor_mode: 1
  - .args:
      - .actual_access:  read_only
        .address_space:  global
        .offset:         0
        .size:           8
        .value_kind:     global_buffer
      - .actual_access:  read_only
        .address_space:  global
        .offset:         8
        .size:           8
        .value_kind:     global_buffer
      - .actual_access:  read_only
        .address_space:  global
        .offset:         16
        .size:           8
        .value_kind:     global_buffer
      - .offset:         24
        .size:           4
        .value_kind:     by_value
      - .offset:         28
        .size:           4
        .value_kind:     by_value
      - .actual_access:  read_only
        .address_space:  global
        .offset:         32
        .size:           8
        .value_kind:     global_buffer
      - .actual_access:  read_only
        .address_space:  global
        .offset:         40
        .size:           8
        .value_kind:     global_buffer
      - .actual_access:  read_only
        .address_space:  global
        .offset:         48
        .size:           8
        .value_kind:     global_buffer
      - .offset:         56
        .size:           4
        .value_kind:     by_value
      - .actual_access:  read_only
        .address_space:  global
        .offset:         64
        .size:           8
        .value_kind:     global_buffer
      - .offset:         72
        .size:           4
        .value_kind:     by_value
      - .offset:         76
        .size:           4
        .value_kind:     by_value
      - .offset:         80
        .size:           4
        .value_kind:     by_value
      - .actual_access:  write_only
        .address_space:  global
        .offset:         88
        .size:           8
        .value_kind:     global_buffer
      - .actual_access:  write_only
        .address_space:  global
        .offset:         96
        .size:           8
        .value_kind:     global_buffer
      - .actual_access:  write_only
        .address_space:  global
        .offset:         104
        .size:           8
        .value_kind:     global_buffer
      - .actual_access:  read_only
        .address_space:  global
        .offset:         112
        .size:           8
        .value_kind:     global_buffer
      - .offset:         120
        .size:           4
        .value_kind:     by_value
      - .address_space:  global
        .offset:         128
        .size:           8
        .value_kind:     global_buffer
      - .address_space:  global
        .offset:         136
        .size:           8
        .value_kind:     global_buffer
      - .offset:         144
        .size:           4
        .value_kind:     hidden_block_count_x
      - .offset:         148
        .size:           4
        .value_kind:     hidden_block_count_y
      - .offset:         152
        .size:           4
        .value_kind:     hidden_block_count_z
      - .offset:         156
        .size:           2
        .value_kind:     hidden_group_size_x
      - .offset:         158
        .size:           2
        .value_kind:     hidden_group_size_y
      - .offset:         160
        .size:           2
        .value_kind:     hidden_group_size_z
      - .offset:         162
        .size:           2
        .value_kind:     hidden_remainder_x
      - .offset:         164
        .size:           2
        .value_kind:     hidden_remainder_y
      - .offset:         166
        .size:           2
        .value_kind:     hidden_remainder_z
      - .offset:         184
        .size:           8
        .value_kind:     hidden_global_offset_x
      - .offset:         192
        .size:           8
        .value_kind:     hidden_global_offset_y
      - .offset:         200
        .size:           8
        .value_kind:     hidden_global_offset_z
      - .offset:         208
        .size:           2
        .value_kind:     hidden_grid_dims
    .group_segment_fixed_size: 17472
    .kernarg_segment_align: 8
    .kernarg_segment_size: 400
    .language:       OpenCL C
    .language_version:
      - 2
      - 0
    .max_flat_workgroup_size: 256
    .name:           _Z39paged_attention_ll4mi_QKV_mfma16_kernelIDF16_hLN4vllm18Fp8KVCacheDataTypeE1EDF16_Li32ELi64ELi256ELb1ELi5EL8MFMAType0EEvPKT_PKT0_S8_ifPKiSA_SA_iPKfiiiPfSD_PS3_PT2_iSC_SC_
    .private_segment_fixed_size: 0
    .sgpr_count:     39
    .sgpr_spill_count: 0
    .symbol:         _Z39paged_attention_ll4mi_QKV_mfma16_kernelIDF16_hLN4vllm18Fp8KVCacheDataTypeE1EDF16_Li32ELi64ELi256ELb1ELi5EL8MFMAType0EEvPKT_PKT0_S8_ifPKiSA_SA_iPKfiiiPfSD_PS3_PT2_iSC_SC_.kd
    .uniform_work_group_size: 1
    .uses_dynamic_stack: false
    .vgpr_count:     146
    .vgpr_spill_count: 0
    .wavefront_size: 32
    .workgroup_processor_mode: 1
  - .args:
      - .actual_access:  read_only
        .address_space:  global
        .offset:         0
        .size:           8
        .value_kind:     global_buffer
      - .actual_access:  read_only
        .address_space:  global
        .offset:         8
        .size:           8
        .value_kind:     global_buffer
      - .actual_access:  read_only
        .address_space:  global
        .offset:         16
        .size:           8
        .value_kind:     global_buffer
      - .offset:         24
        .size:           4
        .value_kind:     by_value
      - .offset:         28
        .size:           4
        .value_kind:     by_value
      - .actual_access:  read_only
        .address_space:  global
        .offset:         32
        .size:           8
        .value_kind:     global_buffer
      - .actual_access:  read_only
        .address_space:  global
        .offset:         40
        .size:           8
        .value_kind:     global_buffer
      - .actual_access:  read_only
        .address_space:  global
        .offset:         48
        .size:           8
        .value_kind:     global_buffer
      - .offset:         56
        .size:           4
        .value_kind:     by_value
      - .actual_access:  read_only
        .address_space:  global
        .offset:         64
        .size:           8
        .value_kind:     global_buffer
      - .offset:         72
        .size:           4
        .value_kind:     by_value
      - .offset:         76
        .size:           4
        .value_kind:     by_value
      - .offset:         80
        .size:           4
        .value_kind:     by_value
      - .actual_access:  write_only
        .address_space:  global
        .offset:         88
        .size:           8
        .value_kind:     global_buffer
      - .actual_access:  write_only
        .address_space:  global
        .offset:         96
        .size:           8
        .value_kind:     global_buffer
      - .actual_access:  write_only
        .address_space:  global
        .offset:         104
        .size:           8
        .value_kind:     global_buffer
      - .actual_access:  read_only
        .address_space:  global
        .offset:         112
        .size:           8
        .value_kind:     global_buffer
      - .offset:         120
        .size:           4
        .value_kind:     by_value
      - .address_space:  global
        .offset:         128
        .size:           8
        .value_kind:     global_buffer
      - .address_space:  global
        .offset:         136
        .size:           8
        .value_kind:     global_buffer
      - .offset:         144
        .size:           4
        .value_kind:     hidden_block_count_x
      - .offset:         148
        .size:           4
        .value_kind:     hidden_block_count_y
      - .offset:         152
        .size:           4
        .value_kind:     hidden_block_count_z
      - .offset:         156
        .size:           2
        .value_kind:     hidden_group_size_x
      - .offset:         158
        .size:           2
        .value_kind:     hidden_group_size_y
      - .offset:         160
        .size:           2
        .value_kind:     hidden_group_size_z
      - .offset:         162
        .size:           2
        .value_kind:     hidden_remainder_x
      - .offset:         164
        .size:           2
        .value_kind:     hidden_remainder_y
      - .offset:         166
        .size:           2
        .value_kind:     hidden_remainder_z
      - .offset:         184
        .size:           8
        .value_kind:     hidden_global_offset_x
      - .offset:         192
        .size:           8
        .value_kind:     hidden_global_offset_y
      - .offset:         200
        .size:           8
        .value_kind:     hidden_global_offset_z
      - .offset:         208
        .size:           2
        .value_kind:     hidden_grid_dims
    .group_segment_fixed_size: 17472
    .kernarg_segment_align: 8
    .kernarg_segment_size: 400
    .language:       OpenCL C
    .language_version:
      - 2
      - 0
    .max_flat_workgroup_size: 256
    .name:           _Z39paged_attention_ll4mi_QKV_mfma16_kernelIDF16_hLN4vllm18Fp8KVCacheDataTypeE1EDF16_Li32ELi64ELi256ELb1ELi6EL8MFMAType0EEvPKT_PKT0_S8_ifPKiSA_SA_iPKfiiiPfSD_PS3_PT2_iSC_SC_
    .private_segment_fixed_size: 0
    .sgpr_count:     40
    .sgpr_spill_count: 0
    .symbol:         _Z39paged_attention_ll4mi_QKV_mfma16_kernelIDF16_hLN4vllm18Fp8KVCacheDataTypeE1EDF16_Li32ELi64ELi256ELb1ELi6EL8MFMAType0EEvPKT_PKT0_S8_ifPKiSA_SA_iPKfiiiPfSD_PS3_PT2_iSC_SC_.kd
    .uniform_work_group_size: 1
    .uses_dynamic_stack: false
    .vgpr_count:     146
    .vgpr_spill_count: 0
    .wavefront_size: 32
    .workgroup_processor_mode: 1
  - .args:
      - .actual_access:  read_only
        .address_space:  global
        .offset:         0
        .size:           8
        .value_kind:     global_buffer
      - .actual_access:  read_only
        .address_space:  global
        .offset:         8
        .size:           8
        .value_kind:     global_buffer
      - .actual_access:  read_only
        .address_space:  global
        .offset:         16
        .size:           8
        .value_kind:     global_buffer
      - .offset:         24
        .size:           4
        .value_kind:     by_value
      - .offset:         28
        .size:           4
        .value_kind:     by_value
      - .actual_access:  read_only
        .address_space:  global
        .offset:         32
        .size:           8
        .value_kind:     global_buffer
      - .actual_access:  read_only
        .address_space:  global
        .offset:         40
        .size:           8
        .value_kind:     global_buffer
      - .actual_access:  read_only
        .address_space:  global
        .offset:         48
        .size:           8
        .value_kind:     global_buffer
      - .offset:         56
        .size:           4
        .value_kind:     by_value
      - .actual_access:  read_only
        .address_space:  global
        .offset:         64
        .size:           8
        .value_kind:     global_buffer
      - .offset:         72
        .size:           4
        .value_kind:     by_value
      - .offset:         76
        .size:           4
        .value_kind:     by_value
      - .offset:         80
        .size:           4
        .value_kind:     by_value
      - .actual_access:  write_only
        .address_space:  global
        .offset:         88
        .size:           8
        .value_kind:     global_buffer
      - .actual_access:  write_only
        .address_space:  global
        .offset:         96
        .size:           8
        .value_kind:     global_buffer
      - .actual_access:  write_only
        .address_space:  global
        .offset:         104
        .size:           8
        .value_kind:     global_buffer
      - .actual_access:  read_only
        .address_space:  global
        .offset:         112
        .size:           8
        .value_kind:     global_buffer
      - .offset:         120
        .size:           4
        .value_kind:     by_value
      - .address_space:  global
        .offset:         128
        .size:           8
        .value_kind:     global_buffer
      - .address_space:  global
        .offset:         136
        .size:           8
        .value_kind:     global_buffer
      - .offset:         144
        .size:           4
        .value_kind:     hidden_block_count_x
      - .offset:         148
        .size:           4
        .value_kind:     hidden_block_count_y
      - .offset:         152
        .size:           4
        .value_kind:     hidden_block_count_z
      - .offset:         156
        .size:           2
        .value_kind:     hidden_group_size_x
      - .offset:         158
        .size:           2
        .value_kind:     hidden_group_size_y
      - .offset:         160
        .size:           2
        .value_kind:     hidden_group_size_z
      - .offset:         162
        .size:           2
        .value_kind:     hidden_remainder_x
      - .offset:         164
        .size:           2
        .value_kind:     hidden_remainder_y
      - .offset:         166
        .size:           2
        .value_kind:     hidden_remainder_z
      - .offset:         184
        .size:           8
        .value_kind:     hidden_global_offset_x
      - .offset:         192
        .size:           8
        .value_kind:     hidden_global_offset_y
      - .offset:         200
        .size:           8
        .value_kind:     hidden_global_offset_z
      - .offset:         208
        .size:           2
        .value_kind:     hidden_grid_dims
    .group_segment_fixed_size: 17472
    .kernarg_segment_align: 8
    .kernarg_segment_size: 400
    .language:       OpenCL C
    .language_version:
      - 2
      - 0
    .max_flat_workgroup_size: 256
    .name:           _Z39paged_attention_ll4mi_QKV_mfma16_kernelIDF16_hLN4vllm18Fp8KVCacheDataTypeE1EDF16_Li32ELi64ELi256ELb1ELi7EL8MFMAType0EEvPKT_PKT0_S8_ifPKiSA_SA_iPKfiiiPfSD_PS3_PT2_iSC_SC_
    .private_segment_fixed_size: 0
    .sgpr_count:     39
    .sgpr_spill_count: 0
    .symbol:         _Z39paged_attention_ll4mi_QKV_mfma16_kernelIDF16_hLN4vllm18Fp8KVCacheDataTypeE1EDF16_Li32ELi64ELi256ELb1ELi7EL8MFMAType0EEvPKT_PKT0_S8_ifPKiSA_SA_iPKfiiiPfSD_PS3_PT2_iSC_SC_.kd
    .uniform_work_group_size: 1
    .uses_dynamic_stack: false
    .vgpr_count:     146
    .vgpr_spill_count: 0
    .wavefront_size: 32
    .workgroup_processor_mode: 1
  - .args:
      - .actual_access:  read_only
        .address_space:  global
        .offset:         0
        .size:           8
        .value_kind:     global_buffer
      - .actual_access:  read_only
        .address_space:  global
        .offset:         8
        .size:           8
        .value_kind:     global_buffer
      - .actual_access:  read_only
        .address_space:  global
        .offset:         16
        .size:           8
        .value_kind:     global_buffer
      - .offset:         24
        .size:           4
        .value_kind:     by_value
      - .offset:         28
        .size:           4
        .value_kind:     by_value
      - .actual_access:  read_only
        .address_space:  global
        .offset:         32
        .size:           8
        .value_kind:     global_buffer
      - .actual_access:  read_only
        .address_space:  global
        .offset:         40
        .size:           8
        .value_kind:     global_buffer
      - .actual_access:  read_only
        .address_space:  global
        .offset:         48
        .size:           8
        .value_kind:     global_buffer
      - .offset:         56
        .size:           4
        .value_kind:     by_value
      - .actual_access:  read_only
        .address_space:  global
        .offset:         64
        .size:           8
        .value_kind:     global_buffer
      - .offset:         72
        .size:           4
        .value_kind:     by_value
      - .offset:         76
        .size:           4
        .value_kind:     by_value
      - .offset:         80
        .size:           4
        .value_kind:     by_value
      - .actual_access:  write_only
        .address_space:  global
        .offset:         88
        .size:           8
        .value_kind:     global_buffer
      - .actual_access:  write_only
        .address_space:  global
        .offset:         96
        .size:           8
        .value_kind:     global_buffer
      - .actual_access:  write_only
        .address_space:  global
        .offset:         104
        .size:           8
        .value_kind:     global_buffer
      - .actual_access:  read_only
        .address_space:  global
        .offset:         112
        .size:           8
        .value_kind:     global_buffer
      - .offset:         120
        .size:           4
        .value_kind:     by_value
      - .address_space:  global
        .offset:         128
        .size:           8
        .value_kind:     global_buffer
      - .address_space:  global
        .offset:         136
        .size:           8
        .value_kind:     global_buffer
      - .offset:         144
        .size:           4
        .value_kind:     hidden_block_count_x
      - .offset:         148
        .size:           4
        .value_kind:     hidden_block_count_y
      - .offset:         152
        .size:           4
        .value_kind:     hidden_block_count_z
      - .offset:         156
        .size:           2
        .value_kind:     hidden_group_size_x
      - .offset:         158
        .size:           2
        .value_kind:     hidden_group_size_y
      - .offset:         160
        .size:           2
        .value_kind:     hidden_group_size_z
      - .offset:         162
        .size:           2
        .value_kind:     hidden_remainder_x
      - .offset:         164
        .size:           2
        .value_kind:     hidden_remainder_y
      - .offset:         166
        .size:           2
        .value_kind:     hidden_remainder_z
      - .offset:         184
        .size:           8
        .value_kind:     hidden_global_offset_x
      - .offset:         192
        .size:           8
        .value_kind:     hidden_global_offset_y
      - .offset:         200
        .size:           8
        .value_kind:     hidden_global_offset_z
      - .offset:         208
        .size:           2
        .value_kind:     hidden_grid_dims
    .group_segment_fixed_size: 17472
    .kernarg_segment_align: 8
    .kernarg_segment_size: 400
    .language:       OpenCL C
    .language_version:
      - 2
      - 0
    .max_flat_workgroup_size: 256
    .name:           _Z39paged_attention_ll4mi_QKV_mfma16_kernelIDF16_hLN4vllm18Fp8KVCacheDataTypeE1EDF16_Li32ELi64ELi256ELb1ELi8EL8MFMAType0EEvPKT_PKT0_S8_ifPKiSA_SA_iPKfiiiPfSD_PS3_PT2_iSC_SC_
    .private_segment_fixed_size: 0
    .sgpr_count:     44
    .sgpr_spill_count: 0
    .symbol:         _Z39paged_attention_ll4mi_QKV_mfma16_kernelIDF16_hLN4vllm18Fp8KVCacheDataTypeE1EDF16_Li32ELi64ELi256ELb1ELi8EL8MFMAType0EEvPKT_PKT0_S8_ifPKiSA_SA_iPKfiiiPfSD_PS3_PT2_iSC_SC_.kd
    .uniform_work_group_size: 1
    .uses_dynamic_stack: false
    .vgpr_count:     123
    .vgpr_spill_count: 0
    .wavefront_size: 32
    .workgroup_processor_mode: 1
  - .args:
      - .actual_access:  read_only
        .address_space:  global
        .offset:         0
        .size:           8
        .value_kind:     global_buffer
      - .actual_access:  read_only
        .address_space:  global
        .offset:         8
        .size:           8
        .value_kind:     global_buffer
      - .actual_access:  read_only
        .address_space:  global
        .offset:         16
        .size:           8
        .value_kind:     global_buffer
      - .offset:         24
        .size:           4
        .value_kind:     by_value
      - .offset:         28
        .size:           4
        .value_kind:     by_value
      - .actual_access:  read_only
        .address_space:  global
        .offset:         32
        .size:           8
        .value_kind:     global_buffer
      - .actual_access:  read_only
        .address_space:  global
        .offset:         40
        .size:           8
        .value_kind:     global_buffer
      - .actual_access:  read_only
        .address_space:  global
        .offset:         48
        .size:           8
        .value_kind:     global_buffer
      - .offset:         56
        .size:           4
        .value_kind:     by_value
      - .actual_access:  read_only
        .address_space:  global
        .offset:         64
        .size:           8
        .value_kind:     global_buffer
      - .offset:         72
        .size:           4
        .value_kind:     by_value
      - .offset:         76
        .size:           4
        .value_kind:     by_value
      - .offset:         80
        .size:           4
        .value_kind:     by_value
      - .actual_access:  write_only
        .address_space:  global
        .offset:         88
        .size:           8
        .value_kind:     global_buffer
      - .actual_access:  write_only
        .address_space:  global
        .offset:         96
        .size:           8
        .value_kind:     global_buffer
      - .actual_access:  write_only
        .address_space:  global
        .offset:         104
        .size:           8
        .value_kind:     global_buffer
      - .actual_access:  read_only
        .address_space:  global
        .offset:         112
        .size:           8
        .value_kind:     global_buffer
      - .offset:         120
        .size:           4
        .value_kind:     by_value
      - .address_space:  global
        .offset:         128
        .size:           8
        .value_kind:     global_buffer
      - .address_space:  global
        .offset:         136
        .size:           8
        .value_kind:     global_buffer
      - .offset:         144
        .size:           4
        .value_kind:     hidden_block_count_x
      - .offset:         148
        .size:           4
        .value_kind:     hidden_block_count_y
      - .offset:         152
        .size:           4
        .value_kind:     hidden_block_count_z
      - .offset:         156
        .size:           2
        .value_kind:     hidden_group_size_x
      - .offset:         158
        .size:           2
        .value_kind:     hidden_group_size_y
      - .offset:         160
        .size:           2
        .value_kind:     hidden_group_size_z
      - .offset:         162
        .size:           2
        .value_kind:     hidden_remainder_x
      - .offset:         164
        .size:           2
        .value_kind:     hidden_remainder_y
      - .offset:         166
        .size:           2
        .value_kind:     hidden_remainder_z
      - .offset:         184
        .size:           8
        .value_kind:     hidden_global_offset_x
      - .offset:         192
        .size:           8
        .value_kind:     hidden_global_offset_y
      - .offset:         200
        .size:           8
        .value_kind:     hidden_global_offset_z
      - .offset:         208
        .size:           2
        .value_kind:     hidden_grid_dims
    .group_segment_fixed_size: 17472
    .kernarg_segment_align: 8
    .kernarg_segment_size: 400
    .language:       OpenCL C
    .language_version:
      - 2
      - 0
    .max_flat_workgroup_size: 256
    .name:           _Z39paged_attention_ll4mi_QKV_mfma16_kernelIDF16_hLN4vllm18Fp8KVCacheDataTypeE1EDF16_Li32ELi64ELi256ELb1ELi9EL8MFMAType0EEvPKT_PKT0_S8_ifPKiSA_SA_iPKfiiiPfSD_PS3_PT2_iSC_SC_
    .private_segment_fixed_size: 0
    .sgpr_count:     39
    .sgpr_spill_count: 0
    .symbol:         _Z39paged_attention_ll4mi_QKV_mfma16_kernelIDF16_hLN4vllm18Fp8KVCacheDataTypeE1EDF16_Li32ELi64ELi256ELb1ELi9EL8MFMAType0EEvPKT_PKT0_S8_ifPKiSA_SA_iPKfiiiPfSD_PS3_PT2_iSC_SC_.kd
    .uniform_work_group_size: 1
    .uses_dynamic_stack: false
    .vgpr_count:     146
    .vgpr_spill_count: 0
    .wavefront_size: 32
    .workgroup_processor_mode: 1
  - .args:
      - .actual_access:  read_only
        .address_space:  global
        .offset:         0
        .size:           8
        .value_kind:     global_buffer
      - .actual_access:  read_only
        .address_space:  global
        .offset:         8
        .size:           8
        .value_kind:     global_buffer
      - .actual_access:  read_only
        .address_space:  global
        .offset:         16
        .size:           8
        .value_kind:     global_buffer
      - .offset:         24
        .size:           4
        .value_kind:     by_value
      - .offset:         28
        .size:           4
        .value_kind:     by_value
      - .actual_access:  read_only
        .address_space:  global
        .offset:         32
        .size:           8
        .value_kind:     global_buffer
      - .actual_access:  read_only
        .address_space:  global
        .offset:         40
        .size:           8
        .value_kind:     global_buffer
      - .actual_access:  read_only
        .address_space:  global
        .offset:         48
        .size:           8
        .value_kind:     global_buffer
      - .offset:         56
        .size:           4
        .value_kind:     by_value
      - .actual_access:  read_only
        .address_space:  global
        .offset:         64
        .size:           8
        .value_kind:     global_buffer
      - .offset:         72
        .size:           4
        .value_kind:     by_value
      - .offset:         76
        .size:           4
        .value_kind:     by_value
      - .offset:         80
        .size:           4
        .value_kind:     by_value
      - .actual_access:  write_only
        .address_space:  global
        .offset:         88
        .size:           8
        .value_kind:     global_buffer
      - .actual_access:  write_only
        .address_space:  global
        .offset:         96
        .size:           8
        .value_kind:     global_buffer
      - .actual_access:  write_only
        .address_space:  global
        .offset:         104
        .size:           8
        .value_kind:     global_buffer
      - .actual_access:  read_only
        .address_space:  global
        .offset:         112
        .size:           8
        .value_kind:     global_buffer
      - .offset:         120
        .size:           4
        .value_kind:     by_value
      - .address_space:  global
        .offset:         128
        .size:           8
        .value_kind:     global_buffer
      - .address_space:  global
        .offset:         136
        .size:           8
        .value_kind:     global_buffer
      - .offset:         144
        .size:           4
        .value_kind:     hidden_block_count_x
      - .offset:         148
        .size:           4
        .value_kind:     hidden_block_count_y
      - .offset:         152
        .size:           4
        .value_kind:     hidden_block_count_z
      - .offset:         156
        .size:           2
        .value_kind:     hidden_group_size_x
      - .offset:         158
        .size:           2
        .value_kind:     hidden_group_size_y
      - .offset:         160
        .size:           2
        .value_kind:     hidden_group_size_z
      - .offset:         162
        .size:           2
        .value_kind:     hidden_remainder_x
      - .offset:         164
        .size:           2
        .value_kind:     hidden_remainder_y
      - .offset:         166
        .size:           2
        .value_kind:     hidden_remainder_z
      - .offset:         184
        .size:           8
        .value_kind:     hidden_global_offset_x
      - .offset:         192
        .size:           8
        .value_kind:     hidden_global_offset_y
      - .offset:         200
        .size:           8
        .value_kind:     hidden_global_offset_z
      - .offset:         208
        .size:           2
        .value_kind:     hidden_grid_dims
    .group_segment_fixed_size: 17472
    .kernarg_segment_align: 8
    .kernarg_segment_size: 400
    .language:       OpenCL C
    .language_version:
      - 2
      - 0
    .max_flat_workgroup_size: 256
    .name:           _Z39paged_attention_ll4mi_QKV_mfma16_kernelIDF16_hLN4vllm18Fp8KVCacheDataTypeE1EDF16_Li32ELi64ELi256ELb1ELi10EL8MFMAType0EEvPKT_PKT0_S8_ifPKiSA_SA_iPKfiiiPfSD_PS3_PT2_iSC_SC_
    .private_segment_fixed_size: 0
    .sgpr_count:     40
    .sgpr_spill_count: 0
    .symbol:         _Z39paged_attention_ll4mi_QKV_mfma16_kernelIDF16_hLN4vllm18Fp8KVCacheDataTypeE1EDF16_Li32ELi64ELi256ELb1ELi10EL8MFMAType0EEvPKT_PKT0_S8_ifPKiSA_SA_iPKfiiiPfSD_PS3_PT2_iSC_SC_.kd
    .uniform_work_group_size: 1
    .uses_dynamic_stack: false
    .vgpr_count:     146
    .vgpr_spill_count: 0
    .wavefront_size: 32
    .workgroup_processor_mode: 1
  - .args:
      - .actual_access:  read_only
        .address_space:  global
        .offset:         0
        .size:           8
        .value_kind:     global_buffer
      - .actual_access:  read_only
        .address_space:  global
        .offset:         8
        .size:           8
        .value_kind:     global_buffer
      - .actual_access:  read_only
        .address_space:  global
        .offset:         16
        .size:           8
        .value_kind:     global_buffer
      - .offset:         24
        .size:           4
        .value_kind:     by_value
      - .offset:         28
        .size:           4
        .value_kind:     by_value
      - .actual_access:  read_only
        .address_space:  global
        .offset:         32
        .size:           8
        .value_kind:     global_buffer
      - .actual_access:  read_only
        .address_space:  global
        .offset:         40
        .size:           8
        .value_kind:     global_buffer
      - .actual_access:  read_only
        .address_space:  global
        .offset:         48
        .size:           8
        .value_kind:     global_buffer
      - .offset:         56
        .size:           4
        .value_kind:     by_value
      - .actual_access:  read_only
        .address_space:  global
        .offset:         64
        .size:           8
        .value_kind:     global_buffer
      - .offset:         72
        .size:           4
        .value_kind:     by_value
      - .offset:         76
        .size:           4
        .value_kind:     by_value
      - .offset:         80
        .size:           4
        .value_kind:     by_value
      - .actual_access:  write_only
        .address_space:  global
        .offset:         88
        .size:           8
        .value_kind:     global_buffer
      - .actual_access:  write_only
        .address_space:  global
        .offset:         96
        .size:           8
        .value_kind:     global_buffer
      - .actual_access:  write_only
        .address_space:  global
        .offset:         104
        .size:           8
        .value_kind:     global_buffer
      - .actual_access:  read_only
        .address_space:  global
        .offset:         112
        .size:           8
        .value_kind:     global_buffer
      - .offset:         120
        .size:           4
        .value_kind:     by_value
      - .address_space:  global
        .offset:         128
        .size:           8
        .value_kind:     global_buffer
      - .address_space:  global
        .offset:         136
        .size:           8
        .value_kind:     global_buffer
      - .offset:         144
        .size:           4
        .value_kind:     hidden_block_count_x
      - .offset:         148
        .size:           4
        .value_kind:     hidden_block_count_y
      - .offset:         152
        .size:           4
        .value_kind:     hidden_block_count_z
      - .offset:         156
        .size:           2
        .value_kind:     hidden_group_size_x
      - .offset:         158
        .size:           2
        .value_kind:     hidden_group_size_y
      - .offset:         160
        .size:           2
        .value_kind:     hidden_group_size_z
      - .offset:         162
        .size:           2
        .value_kind:     hidden_remainder_x
      - .offset:         164
        .size:           2
        .value_kind:     hidden_remainder_y
      - .offset:         166
        .size:           2
        .value_kind:     hidden_remainder_z
      - .offset:         184
        .size:           8
        .value_kind:     hidden_global_offset_x
      - .offset:         192
        .size:           8
        .value_kind:     hidden_global_offset_y
      - .offset:         200
        .size:           8
        .value_kind:     hidden_global_offset_z
      - .offset:         208
        .size:           2
        .value_kind:     hidden_grid_dims
    .group_segment_fixed_size: 17472
    .kernarg_segment_align: 8
    .kernarg_segment_size: 400
    .language:       OpenCL C
    .language_version:
      - 2
      - 0
    .max_flat_workgroup_size: 256
    .name:           _Z39paged_attention_ll4mi_QKV_mfma16_kernelIDF16_hLN4vllm18Fp8KVCacheDataTypeE1EDF16_Li32ELi64ELi256ELb1ELi11EL8MFMAType0EEvPKT_PKT0_S8_ifPKiSA_SA_iPKfiiiPfSD_PS3_PT2_iSC_SC_
    .private_segment_fixed_size: 0
    .sgpr_count:     39
    .sgpr_spill_count: 0
    .symbol:         _Z39paged_attention_ll4mi_QKV_mfma16_kernelIDF16_hLN4vllm18Fp8KVCacheDataTypeE1EDF16_Li32ELi64ELi256ELb1ELi11EL8MFMAType0EEvPKT_PKT0_S8_ifPKiSA_SA_iPKfiiiPfSD_PS3_PT2_iSC_SC_.kd
    .uniform_work_group_size: 1
    .uses_dynamic_stack: false
    .vgpr_count:     146
    .vgpr_spill_count: 0
    .wavefront_size: 32
    .workgroup_processor_mode: 1
  - .args:
      - .actual_access:  read_only
        .address_space:  global
        .offset:         0
        .size:           8
        .value_kind:     global_buffer
      - .actual_access:  read_only
        .address_space:  global
        .offset:         8
        .size:           8
        .value_kind:     global_buffer
      - .actual_access:  read_only
        .address_space:  global
        .offset:         16
        .size:           8
        .value_kind:     global_buffer
      - .offset:         24
        .size:           4
        .value_kind:     by_value
      - .offset:         28
        .size:           4
        .value_kind:     by_value
      - .actual_access:  read_only
        .address_space:  global
        .offset:         32
        .size:           8
        .value_kind:     global_buffer
      - .actual_access:  read_only
        .address_space:  global
        .offset:         40
        .size:           8
        .value_kind:     global_buffer
      - .actual_access:  read_only
        .address_space:  global
        .offset:         48
        .size:           8
        .value_kind:     global_buffer
      - .offset:         56
        .size:           4
        .value_kind:     by_value
      - .actual_access:  read_only
        .address_space:  global
        .offset:         64
        .size:           8
        .value_kind:     global_buffer
      - .offset:         72
        .size:           4
        .value_kind:     by_value
      - .offset:         76
        .size:           4
        .value_kind:     by_value
      - .offset:         80
        .size:           4
        .value_kind:     by_value
      - .actual_access:  write_only
        .address_space:  global
        .offset:         88
        .size:           8
        .value_kind:     global_buffer
      - .actual_access:  write_only
        .address_space:  global
        .offset:         96
        .size:           8
        .value_kind:     global_buffer
      - .actual_access:  write_only
        .address_space:  global
        .offset:         104
        .size:           8
        .value_kind:     global_buffer
      - .actual_access:  read_only
        .address_space:  global
        .offset:         112
        .size:           8
        .value_kind:     global_buffer
      - .offset:         120
        .size:           4
        .value_kind:     by_value
      - .address_space:  global
        .offset:         128
        .size:           8
        .value_kind:     global_buffer
      - .address_space:  global
        .offset:         136
        .size:           8
        .value_kind:     global_buffer
      - .offset:         144
        .size:           4
        .value_kind:     hidden_block_count_x
      - .offset:         148
        .size:           4
        .value_kind:     hidden_block_count_y
      - .offset:         152
        .size:           4
        .value_kind:     hidden_block_count_z
      - .offset:         156
        .size:           2
        .value_kind:     hidden_group_size_x
      - .offset:         158
        .size:           2
        .value_kind:     hidden_group_size_y
      - .offset:         160
        .size:           2
        .value_kind:     hidden_group_size_z
      - .offset:         162
        .size:           2
        .value_kind:     hidden_remainder_x
      - .offset:         164
        .size:           2
        .value_kind:     hidden_remainder_y
      - .offset:         166
        .size:           2
        .value_kind:     hidden_remainder_z
      - .offset:         184
        .size:           8
        .value_kind:     hidden_global_offset_x
      - .offset:         192
        .size:           8
        .value_kind:     hidden_global_offset_y
      - .offset:         200
        .size:           8
        .value_kind:     hidden_global_offset_z
      - .offset:         208
        .size:           2
        .value_kind:     hidden_grid_dims
    .group_segment_fixed_size: 17472
    .kernarg_segment_align: 8
    .kernarg_segment_size: 400
    .language:       OpenCL C
    .language_version:
      - 2
      - 0
    .max_flat_workgroup_size: 256
    .name:           _Z39paged_attention_ll4mi_QKV_mfma16_kernelIDF16_hLN4vllm18Fp8KVCacheDataTypeE1EDF16_Li32ELi64ELi256ELb1ELi12EL8MFMAType0EEvPKT_PKT0_S8_ifPKiSA_SA_iPKfiiiPfSD_PS3_PT2_iSC_SC_
    .private_segment_fixed_size: 0
    .sgpr_count:     40
    .sgpr_spill_count: 0
    .symbol:         _Z39paged_attention_ll4mi_QKV_mfma16_kernelIDF16_hLN4vllm18Fp8KVCacheDataTypeE1EDF16_Li32ELi64ELi256ELb1ELi12EL8MFMAType0EEvPKT_PKT0_S8_ifPKiSA_SA_iPKfiiiPfSD_PS3_PT2_iSC_SC_.kd
    .uniform_work_group_size: 1
    .uses_dynamic_stack: false
    .vgpr_count:     146
    .vgpr_spill_count: 0
    .wavefront_size: 32
    .workgroup_processor_mode: 1
  - .args:
      - .actual_access:  read_only
        .address_space:  global
        .offset:         0
        .size:           8
        .value_kind:     global_buffer
      - .actual_access:  read_only
        .address_space:  global
        .offset:         8
        .size:           8
        .value_kind:     global_buffer
      - .actual_access:  read_only
        .address_space:  global
        .offset:         16
        .size:           8
        .value_kind:     global_buffer
      - .offset:         24
        .size:           4
        .value_kind:     by_value
      - .offset:         28
        .size:           4
        .value_kind:     by_value
      - .actual_access:  read_only
        .address_space:  global
        .offset:         32
        .size:           8
        .value_kind:     global_buffer
      - .actual_access:  read_only
        .address_space:  global
        .offset:         40
        .size:           8
        .value_kind:     global_buffer
      - .actual_access:  read_only
        .address_space:  global
        .offset:         48
        .size:           8
        .value_kind:     global_buffer
      - .offset:         56
        .size:           4
        .value_kind:     by_value
      - .actual_access:  read_only
        .address_space:  global
        .offset:         64
        .size:           8
        .value_kind:     global_buffer
      - .offset:         72
        .size:           4
        .value_kind:     by_value
      - .offset:         76
        .size:           4
        .value_kind:     by_value
      - .offset:         80
        .size:           4
        .value_kind:     by_value
      - .actual_access:  write_only
        .address_space:  global
        .offset:         88
        .size:           8
        .value_kind:     global_buffer
      - .actual_access:  write_only
        .address_space:  global
        .offset:         96
        .size:           8
        .value_kind:     global_buffer
      - .actual_access:  write_only
        .address_space:  global
        .offset:         104
        .size:           8
        .value_kind:     global_buffer
      - .actual_access:  read_only
        .address_space:  global
        .offset:         112
        .size:           8
        .value_kind:     global_buffer
      - .offset:         120
        .size:           4
        .value_kind:     by_value
      - .address_space:  global
        .offset:         128
        .size:           8
        .value_kind:     global_buffer
      - .address_space:  global
        .offset:         136
        .size:           8
        .value_kind:     global_buffer
      - .offset:         144
        .size:           4
        .value_kind:     hidden_block_count_x
      - .offset:         148
        .size:           4
        .value_kind:     hidden_block_count_y
      - .offset:         152
        .size:           4
        .value_kind:     hidden_block_count_z
      - .offset:         156
        .size:           2
        .value_kind:     hidden_group_size_x
      - .offset:         158
        .size:           2
        .value_kind:     hidden_group_size_y
      - .offset:         160
        .size:           2
        .value_kind:     hidden_group_size_z
      - .offset:         162
        .size:           2
        .value_kind:     hidden_remainder_x
      - .offset:         164
        .size:           2
        .value_kind:     hidden_remainder_y
      - .offset:         166
        .size:           2
        .value_kind:     hidden_remainder_z
      - .offset:         184
        .size:           8
        .value_kind:     hidden_global_offset_x
      - .offset:         192
        .size:           8
        .value_kind:     hidden_global_offset_y
      - .offset:         200
        .size:           8
        .value_kind:     hidden_global_offset_z
      - .offset:         208
        .size:           2
        .value_kind:     hidden_grid_dims
    .group_segment_fixed_size: 17472
    .kernarg_segment_align: 8
    .kernarg_segment_size: 400
    .language:       OpenCL C
    .language_version:
      - 2
      - 0
    .max_flat_workgroup_size: 256
    .name:           _Z39paged_attention_ll4mi_QKV_mfma16_kernelIDF16_hLN4vllm18Fp8KVCacheDataTypeE1EDF16_Li32ELi64ELi256ELb1ELi13EL8MFMAType0EEvPKT_PKT0_S8_ifPKiSA_SA_iPKfiiiPfSD_PS3_PT2_iSC_SC_
    .private_segment_fixed_size: 0
    .sgpr_count:     39
    .sgpr_spill_count: 0
    .symbol:         _Z39paged_attention_ll4mi_QKV_mfma16_kernelIDF16_hLN4vllm18Fp8KVCacheDataTypeE1EDF16_Li32ELi64ELi256ELb1ELi13EL8MFMAType0EEvPKT_PKT0_S8_ifPKiSA_SA_iPKfiiiPfSD_PS3_PT2_iSC_SC_.kd
    .uniform_work_group_size: 1
    .uses_dynamic_stack: false
    .vgpr_count:     146
    .vgpr_spill_count: 0
    .wavefront_size: 32
    .workgroup_processor_mode: 1
  - .args:
      - .actual_access:  read_only
        .address_space:  global
        .offset:         0
        .size:           8
        .value_kind:     global_buffer
      - .actual_access:  read_only
        .address_space:  global
        .offset:         8
        .size:           8
        .value_kind:     global_buffer
      - .actual_access:  read_only
        .address_space:  global
        .offset:         16
        .size:           8
        .value_kind:     global_buffer
      - .offset:         24
        .size:           4
        .value_kind:     by_value
      - .offset:         28
        .size:           4
        .value_kind:     by_value
      - .actual_access:  read_only
        .address_space:  global
        .offset:         32
        .size:           8
        .value_kind:     global_buffer
      - .actual_access:  read_only
        .address_space:  global
        .offset:         40
        .size:           8
        .value_kind:     global_buffer
      - .actual_access:  read_only
        .address_space:  global
        .offset:         48
        .size:           8
        .value_kind:     global_buffer
      - .offset:         56
        .size:           4
        .value_kind:     by_value
      - .actual_access:  read_only
        .address_space:  global
        .offset:         64
        .size:           8
        .value_kind:     global_buffer
      - .offset:         72
        .size:           4
        .value_kind:     by_value
      - .offset:         76
        .size:           4
        .value_kind:     by_value
      - .offset:         80
        .size:           4
        .value_kind:     by_value
      - .actual_access:  write_only
        .address_space:  global
        .offset:         88
        .size:           8
        .value_kind:     global_buffer
      - .actual_access:  write_only
        .address_space:  global
        .offset:         96
        .size:           8
        .value_kind:     global_buffer
      - .actual_access:  write_only
        .address_space:  global
        .offset:         104
        .size:           8
        .value_kind:     global_buffer
      - .actual_access:  read_only
        .address_space:  global
        .offset:         112
        .size:           8
        .value_kind:     global_buffer
      - .offset:         120
        .size:           4
        .value_kind:     by_value
      - .address_space:  global
        .offset:         128
        .size:           8
        .value_kind:     global_buffer
      - .address_space:  global
        .offset:         136
        .size:           8
        .value_kind:     global_buffer
      - .offset:         144
        .size:           4
        .value_kind:     hidden_block_count_x
      - .offset:         148
        .size:           4
        .value_kind:     hidden_block_count_y
      - .offset:         152
        .size:           4
        .value_kind:     hidden_block_count_z
      - .offset:         156
        .size:           2
        .value_kind:     hidden_group_size_x
      - .offset:         158
        .size:           2
        .value_kind:     hidden_group_size_y
      - .offset:         160
        .size:           2
        .value_kind:     hidden_group_size_z
      - .offset:         162
        .size:           2
        .value_kind:     hidden_remainder_x
      - .offset:         164
        .size:           2
        .value_kind:     hidden_remainder_y
      - .offset:         166
        .size:           2
        .value_kind:     hidden_remainder_z
      - .offset:         184
        .size:           8
        .value_kind:     hidden_global_offset_x
      - .offset:         192
        .size:           8
        .value_kind:     hidden_global_offset_y
      - .offset:         200
        .size:           8
        .value_kind:     hidden_global_offset_z
      - .offset:         208
        .size:           2
        .value_kind:     hidden_grid_dims
    .group_segment_fixed_size: 17472
    .kernarg_segment_align: 8
    .kernarg_segment_size: 400
    .language:       OpenCL C
    .language_version:
      - 2
      - 0
    .max_flat_workgroup_size: 256
    .name:           _Z39paged_attention_ll4mi_QKV_mfma16_kernelIDF16_hLN4vllm18Fp8KVCacheDataTypeE1EDF16_Li32ELi64ELi256ELb1ELi14EL8MFMAType0EEvPKT_PKT0_S8_ifPKiSA_SA_iPKfiiiPfSD_PS3_PT2_iSC_SC_
    .private_segment_fixed_size: 0
    .sgpr_count:     40
    .sgpr_spill_count: 0
    .symbol:         _Z39paged_attention_ll4mi_QKV_mfma16_kernelIDF16_hLN4vllm18Fp8KVCacheDataTypeE1EDF16_Li32ELi64ELi256ELb1ELi14EL8MFMAType0EEvPKT_PKT0_S8_ifPKiSA_SA_iPKfiiiPfSD_PS3_PT2_iSC_SC_.kd
    .uniform_work_group_size: 1
    .uses_dynamic_stack: false
    .vgpr_count:     146
    .vgpr_spill_count: 0
    .wavefront_size: 32
    .workgroup_processor_mode: 1
  - .args:
      - .actual_access:  read_only
        .address_space:  global
        .offset:         0
        .size:           8
        .value_kind:     global_buffer
      - .actual_access:  read_only
        .address_space:  global
        .offset:         8
        .size:           8
        .value_kind:     global_buffer
      - .actual_access:  read_only
        .address_space:  global
        .offset:         16
        .size:           8
        .value_kind:     global_buffer
      - .offset:         24
        .size:           4
        .value_kind:     by_value
      - .offset:         28
        .size:           4
        .value_kind:     by_value
      - .actual_access:  read_only
        .address_space:  global
        .offset:         32
        .size:           8
        .value_kind:     global_buffer
      - .actual_access:  read_only
        .address_space:  global
        .offset:         40
        .size:           8
        .value_kind:     global_buffer
      - .actual_access:  read_only
        .address_space:  global
        .offset:         48
        .size:           8
        .value_kind:     global_buffer
      - .offset:         56
        .size:           4
        .value_kind:     by_value
      - .actual_access:  read_only
        .address_space:  global
        .offset:         64
        .size:           8
        .value_kind:     global_buffer
      - .offset:         72
        .size:           4
        .value_kind:     by_value
      - .offset:         76
        .size:           4
        .value_kind:     by_value
      - .offset:         80
        .size:           4
        .value_kind:     by_value
      - .actual_access:  write_only
        .address_space:  global
        .offset:         88
        .size:           8
        .value_kind:     global_buffer
      - .actual_access:  write_only
        .address_space:  global
        .offset:         96
        .size:           8
        .value_kind:     global_buffer
      - .actual_access:  write_only
        .address_space:  global
        .offset:         104
        .size:           8
        .value_kind:     global_buffer
      - .actual_access:  read_only
        .address_space:  global
        .offset:         112
        .size:           8
        .value_kind:     global_buffer
      - .offset:         120
        .size:           4
        .value_kind:     by_value
      - .address_space:  global
        .offset:         128
        .size:           8
        .value_kind:     global_buffer
      - .address_space:  global
        .offset:         136
        .size:           8
        .value_kind:     global_buffer
      - .offset:         144
        .size:           4
        .value_kind:     hidden_block_count_x
      - .offset:         148
        .size:           4
        .value_kind:     hidden_block_count_y
      - .offset:         152
        .size:           4
        .value_kind:     hidden_block_count_z
      - .offset:         156
        .size:           2
        .value_kind:     hidden_group_size_x
      - .offset:         158
        .size:           2
        .value_kind:     hidden_group_size_y
      - .offset:         160
        .size:           2
        .value_kind:     hidden_group_size_z
      - .offset:         162
        .size:           2
        .value_kind:     hidden_remainder_x
      - .offset:         164
        .size:           2
        .value_kind:     hidden_remainder_y
      - .offset:         166
        .size:           2
        .value_kind:     hidden_remainder_z
      - .offset:         184
        .size:           8
        .value_kind:     hidden_global_offset_x
      - .offset:         192
        .size:           8
        .value_kind:     hidden_global_offset_y
      - .offset:         200
        .size:           8
        .value_kind:     hidden_global_offset_z
      - .offset:         208
        .size:           2
        .value_kind:     hidden_grid_dims
    .group_segment_fixed_size: 17472
    .kernarg_segment_align: 8
    .kernarg_segment_size: 400
    .language:       OpenCL C
    .language_version:
      - 2
      - 0
    .max_flat_workgroup_size: 256
    .name:           _Z39paged_attention_ll4mi_QKV_mfma16_kernelIDF16_hLN4vllm18Fp8KVCacheDataTypeE1EDF16_Li32ELi64ELi256ELb1ELi15EL8MFMAType0EEvPKT_PKT0_S8_ifPKiSA_SA_iPKfiiiPfSD_PS3_PT2_iSC_SC_
    .private_segment_fixed_size: 0
    .sgpr_count:     39
    .sgpr_spill_count: 0
    .symbol:         _Z39paged_attention_ll4mi_QKV_mfma16_kernelIDF16_hLN4vllm18Fp8KVCacheDataTypeE1EDF16_Li32ELi64ELi256ELb1ELi15EL8MFMAType0EEvPKT_PKT0_S8_ifPKiSA_SA_iPKfiiiPfSD_PS3_PT2_iSC_SC_.kd
    .uniform_work_group_size: 1
    .uses_dynamic_stack: false
    .vgpr_count:     146
    .vgpr_spill_count: 0
    .wavefront_size: 32
    .workgroup_processor_mode: 1
  - .args:
      - .actual_access:  read_only
        .address_space:  global
        .offset:         0
        .size:           8
        .value_kind:     global_buffer
      - .actual_access:  read_only
        .address_space:  global
        .offset:         8
        .size:           8
        .value_kind:     global_buffer
      - .actual_access:  read_only
        .address_space:  global
        .offset:         16
        .size:           8
        .value_kind:     global_buffer
      - .offset:         24
        .size:           4
        .value_kind:     by_value
      - .offset:         28
        .size:           4
        .value_kind:     by_value
      - .actual_access:  read_only
        .address_space:  global
        .offset:         32
        .size:           8
        .value_kind:     global_buffer
      - .actual_access:  read_only
        .address_space:  global
        .offset:         40
        .size:           8
        .value_kind:     global_buffer
      - .actual_access:  read_only
        .address_space:  global
        .offset:         48
        .size:           8
        .value_kind:     global_buffer
      - .offset:         56
        .size:           4
        .value_kind:     by_value
      - .actual_access:  read_only
        .address_space:  global
        .offset:         64
        .size:           8
        .value_kind:     global_buffer
      - .offset:         72
        .size:           4
        .value_kind:     by_value
      - .offset:         76
        .size:           4
        .value_kind:     by_value
      - .offset:         80
        .size:           4
        .value_kind:     by_value
      - .actual_access:  write_only
        .address_space:  global
        .offset:         88
        .size:           8
        .value_kind:     global_buffer
      - .actual_access:  write_only
        .address_space:  global
        .offset:         96
        .size:           8
        .value_kind:     global_buffer
      - .actual_access:  write_only
        .address_space:  global
        .offset:         104
        .size:           8
        .value_kind:     global_buffer
      - .actual_access:  read_only
        .address_space:  global
        .offset:         112
        .size:           8
        .value_kind:     global_buffer
      - .offset:         120
        .size:           4
        .value_kind:     by_value
      - .address_space:  global
        .offset:         128
        .size:           8
        .value_kind:     global_buffer
      - .address_space:  global
        .offset:         136
        .size:           8
        .value_kind:     global_buffer
      - .offset:         144
        .size:           4
        .value_kind:     hidden_block_count_x
      - .offset:         148
        .size:           4
        .value_kind:     hidden_block_count_y
      - .offset:         152
        .size:           4
        .value_kind:     hidden_block_count_z
      - .offset:         156
        .size:           2
        .value_kind:     hidden_group_size_x
      - .offset:         158
        .size:           2
        .value_kind:     hidden_group_size_y
      - .offset:         160
        .size:           2
        .value_kind:     hidden_group_size_z
      - .offset:         162
        .size:           2
        .value_kind:     hidden_remainder_x
      - .offset:         164
        .size:           2
        .value_kind:     hidden_remainder_y
      - .offset:         166
        .size:           2
        .value_kind:     hidden_remainder_z
      - .offset:         184
        .size:           8
        .value_kind:     hidden_global_offset_x
      - .offset:         192
        .size:           8
        .value_kind:     hidden_global_offset_y
      - .offset:         200
        .size:           8
        .value_kind:     hidden_global_offset_z
      - .offset:         208
        .size:           2
        .value_kind:     hidden_grid_dims
    .group_segment_fixed_size: 17472
    .kernarg_segment_align: 8
    .kernarg_segment_size: 400
    .language:       OpenCL C
    .language_version:
      - 2
      - 0
    .max_flat_workgroup_size: 256
    .name:           _Z39paged_attention_ll4mi_QKV_mfma16_kernelIDF16_hLN4vllm18Fp8KVCacheDataTypeE1EDF16_Li32ELi64ELi256ELb1ELi16EL8MFMAType0EEvPKT_PKT0_S8_ifPKiSA_SA_iPKfiiiPfSD_PS3_PT2_iSC_SC_
    .private_segment_fixed_size: 0
    .sgpr_count:     44
    .sgpr_spill_count: 0
    .symbol:         _Z39paged_attention_ll4mi_QKV_mfma16_kernelIDF16_hLN4vllm18Fp8KVCacheDataTypeE1EDF16_Li32ELi64ELi256ELb1ELi16EL8MFMAType0EEvPKT_PKT0_S8_ifPKiSA_SA_iPKfiiiPfSD_PS3_PT2_iSC_SC_.kd
    .uniform_work_group_size: 1
    .uses_dynamic_stack: false
    .vgpr_count:     123
    .vgpr_spill_count: 0
    .wavefront_size: 32
    .workgroup_processor_mode: 1
  - .args:
      - .actual_access:  read_only
        .address_space:  global
        .offset:         0
        .size:           8
        .value_kind:     global_buffer
      - .actual_access:  read_only
        .address_space:  global
        .offset:         8
        .size:           8
        .value_kind:     global_buffer
      - .actual_access:  read_only
        .address_space:  global
        .offset:         16
        .size:           8
        .value_kind:     global_buffer
      - .offset:         24
        .size:           4
        .value_kind:     by_value
      - .offset:         28
        .size:           4
        .value_kind:     by_value
      - .actual_access:  read_only
        .address_space:  global
        .offset:         32
        .size:           8
        .value_kind:     global_buffer
      - .actual_access:  read_only
        .address_space:  global
        .offset:         40
        .size:           8
        .value_kind:     global_buffer
      - .actual_access:  read_only
        .address_space:  global
        .offset:         48
        .size:           8
        .value_kind:     global_buffer
      - .offset:         56
        .size:           4
        .value_kind:     by_value
      - .actual_access:  read_only
        .address_space:  global
        .offset:         64
        .size:           8
        .value_kind:     global_buffer
      - .offset:         72
        .size:           4
        .value_kind:     by_value
      - .offset:         76
        .size:           4
        .value_kind:     by_value
      - .offset:         80
        .size:           4
        .value_kind:     by_value
      - .actual_access:  write_only
        .address_space:  global
        .offset:         88
        .size:           8
        .value_kind:     global_buffer
      - .actual_access:  write_only
        .address_space:  global
        .offset:         96
        .size:           8
        .value_kind:     global_buffer
      - .actual_access:  write_only
        .address_space:  global
        .offset:         104
        .size:           8
        .value_kind:     global_buffer
      - .actual_access:  read_only
        .address_space:  global
        .offset:         112
        .size:           8
        .value_kind:     global_buffer
      - .offset:         120
        .size:           4
        .value_kind:     by_value
      - .address_space:  global
        .offset:         128
        .size:           8
        .value_kind:     global_buffer
      - .address_space:  global
        .offset:         136
        .size:           8
        .value_kind:     global_buffer
      - .offset:         144
        .size:           4
        .value_kind:     hidden_block_count_x
      - .offset:         148
        .size:           4
        .value_kind:     hidden_block_count_y
      - .offset:         152
        .size:           4
        .value_kind:     hidden_block_count_z
      - .offset:         156
        .size:           2
        .value_kind:     hidden_group_size_x
      - .offset:         158
        .size:           2
        .value_kind:     hidden_group_size_y
      - .offset:         160
        .size:           2
        .value_kind:     hidden_group_size_z
      - .offset:         162
        .size:           2
        .value_kind:     hidden_remainder_x
      - .offset:         164
        .size:           2
        .value_kind:     hidden_remainder_y
      - .offset:         166
        .size:           2
        .value_kind:     hidden_remainder_z
      - .offset:         184
        .size:           8
        .value_kind:     hidden_global_offset_x
      - .offset:         192
        .size:           8
        .value_kind:     hidden_global_offset_y
      - .offset:         200
        .size:           8
        .value_kind:     hidden_global_offset_z
      - .offset:         208
        .size:           2
        .value_kind:     hidden_grid_dims
    .group_segment_fixed_size: 17472
    .kernarg_segment_align: 8
    .kernarg_segment_size: 400
    .language:       OpenCL C
    .language_version:
      - 2
      - 0
    .max_flat_workgroup_size: 256
    .name:           _Z39paged_attention_ll4mi_QKV_mfma16_kernelIDF16_hLN4vllm18Fp8KVCacheDataTypeE1EDF16_Li32ELi64ELi256ELb1ELi1EL8MFMAType0EEvPKT_PKT0_S8_ifPKiSA_SA_iPKfiiiPfSD_PS3_PT2_iSC_SC_
    .private_segment_fixed_size: 0
    .sgpr_count:     52
    .sgpr_spill_count: 0
    .symbol:         _Z39paged_attention_ll4mi_QKV_mfma16_kernelIDF16_hLN4vllm18Fp8KVCacheDataTypeE1EDF16_Li32ELi64ELi256ELb1ELi1EL8MFMAType0EEvPKT_PKT0_S8_ifPKiSA_SA_iPKfiiiPfSD_PS3_PT2_iSC_SC_.kd
    .uniform_work_group_size: 1
    .uses_dynamic_stack: false
    .vgpr_count:     144
    .vgpr_spill_count: 0
    .wavefront_size: 32
    .workgroup_processor_mode: 1
  - .args:
      - .actual_access:  read_only
        .address_space:  global
        .offset:         0
        .size:           8
        .value_kind:     global_buffer
      - .actual_access:  read_only
        .address_space:  global
        .offset:         8
        .size:           8
        .value_kind:     global_buffer
      - .actual_access:  read_only
        .address_space:  global
        .offset:         16
        .size:           8
        .value_kind:     global_buffer
      - .offset:         24
        .size:           4
        .value_kind:     by_value
      - .offset:         28
        .size:           4
        .value_kind:     by_value
      - .actual_access:  read_only
        .address_space:  global
        .offset:         32
        .size:           8
        .value_kind:     global_buffer
      - .actual_access:  read_only
        .address_space:  global
        .offset:         40
        .size:           8
        .value_kind:     global_buffer
      - .actual_access:  read_only
        .address_space:  global
        .offset:         48
        .size:           8
        .value_kind:     global_buffer
      - .offset:         56
        .size:           4
        .value_kind:     by_value
      - .actual_access:  read_only
        .address_space:  global
        .offset:         64
        .size:           8
        .value_kind:     global_buffer
      - .offset:         72
        .size:           4
        .value_kind:     by_value
      - .offset:         76
        .size:           4
        .value_kind:     by_value
      - .offset:         80
        .size:           4
        .value_kind:     by_value
      - .actual_access:  write_only
        .address_space:  global
        .offset:         88
        .size:           8
        .value_kind:     global_buffer
      - .actual_access:  write_only
        .address_space:  global
        .offset:         96
        .size:           8
        .value_kind:     global_buffer
      - .actual_access:  write_only
        .address_space:  global
        .offset:         104
        .size:           8
        .value_kind:     global_buffer
      - .actual_access:  read_only
        .address_space:  global
        .offset:         112
        .size:           8
        .value_kind:     global_buffer
      - .offset:         120
        .size:           4
        .value_kind:     by_value
      - .address_space:  global
        .offset:         128
        .size:           8
        .value_kind:     global_buffer
      - .address_space:  global
        .offset:         136
        .size:           8
        .value_kind:     global_buffer
      - .offset:         144
        .size:           4
        .value_kind:     hidden_block_count_x
      - .offset:         148
        .size:           4
        .value_kind:     hidden_block_count_y
      - .offset:         152
        .size:           4
        .value_kind:     hidden_block_count_z
      - .offset:         156
        .size:           2
        .value_kind:     hidden_group_size_x
      - .offset:         158
        .size:           2
        .value_kind:     hidden_group_size_y
      - .offset:         160
        .size:           2
        .value_kind:     hidden_group_size_z
      - .offset:         162
        .size:           2
        .value_kind:     hidden_remainder_x
      - .offset:         164
        .size:           2
        .value_kind:     hidden_remainder_y
      - .offset:         166
        .size:           2
        .value_kind:     hidden_remainder_z
      - .offset:         184
        .size:           8
        .value_kind:     hidden_global_offset_x
      - .offset:         192
        .size:           8
        .value_kind:     hidden_global_offset_y
      - .offset:         200
        .size:           8
        .value_kind:     hidden_global_offset_z
      - .offset:         208
        .size:           2
        .value_kind:     hidden_grid_dims
    .group_segment_fixed_size: 17472
    .kernarg_segment_align: 8
    .kernarg_segment_size: 400
    .language:       OpenCL C
    .language_version:
      - 2
      - 0
    .max_flat_workgroup_size: 256
    .name:           _Z39paged_attention_ll4mi_QKV_mfma16_kernelIDF16_hLN4vllm18Fp8KVCacheDataTypeE1EDF16_Li32ELi64ELi256ELb1ELi2EL8MFMAType0EEvPKT_PKT0_S8_ifPKiSA_SA_iPKfiiiPfSD_PS3_PT2_iSC_SC_
    .private_segment_fixed_size: 0
    .sgpr_count:     40
    .sgpr_spill_count: 0
    .symbol:         _Z39paged_attention_ll4mi_QKV_mfma16_kernelIDF16_hLN4vllm18Fp8KVCacheDataTypeE1EDF16_Li32ELi64ELi256ELb1ELi2EL8MFMAType0EEvPKT_PKT0_S8_ifPKiSA_SA_iPKfiiiPfSD_PS3_PT2_iSC_SC_.kd
    .uniform_work_group_size: 1
    .uses_dynamic_stack: false
    .vgpr_count:     148
    .vgpr_spill_count: 0
    .wavefront_size: 32
    .workgroup_processor_mode: 1
  - .args:
      - .actual_access:  read_only
        .address_space:  global
        .offset:         0
        .size:           8
        .value_kind:     global_buffer
      - .actual_access:  read_only
        .address_space:  global
        .offset:         8
        .size:           8
        .value_kind:     global_buffer
      - .actual_access:  read_only
        .address_space:  global
        .offset:         16
        .size:           8
        .value_kind:     global_buffer
      - .offset:         24
        .size:           4
        .value_kind:     by_value
      - .offset:         28
        .size:           4
        .value_kind:     by_value
      - .actual_access:  read_only
        .address_space:  global
        .offset:         32
        .size:           8
        .value_kind:     global_buffer
      - .actual_access:  read_only
        .address_space:  global
        .offset:         40
        .size:           8
        .value_kind:     global_buffer
      - .actual_access:  read_only
        .address_space:  global
        .offset:         48
        .size:           8
        .value_kind:     global_buffer
      - .offset:         56
        .size:           4
        .value_kind:     by_value
      - .actual_access:  read_only
        .address_space:  global
        .offset:         64
        .size:           8
        .value_kind:     global_buffer
      - .offset:         72
        .size:           4
        .value_kind:     by_value
      - .offset:         76
        .size:           4
        .value_kind:     by_value
      - .offset:         80
        .size:           4
        .value_kind:     by_value
      - .actual_access:  write_only
        .address_space:  global
        .offset:         88
        .size:           8
        .value_kind:     global_buffer
      - .actual_access:  write_only
        .address_space:  global
        .offset:         96
        .size:           8
        .value_kind:     global_buffer
      - .actual_access:  write_only
        .address_space:  global
        .offset:         104
        .size:           8
        .value_kind:     global_buffer
      - .actual_access:  read_only
        .address_space:  global
        .offset:         112
        .size:           8
        .value_kind:     global_buffer
      - .offset:         120
        .size:           4
        .value_kind:     by_value
      - .address_space:  global
        .offset:         128
        .size:           8
        .value_kind:     global_buffer
      - .address_space:  global
        .offset:         136
        .size:           8
        .value_kind:     global_buffer
      - .offset:         144
        .size:           4
        .value_kind:     hidden_block_count_x
      - .offset:         148
        .size:           4
        .value_kind:     hidden_block_count_y
      - .offset:         152
        .size:           4
        .value_kind:     hidden_block_count_z
      - .offset:         156
        .size:           2
        .value_kind:     hidden_group_size_x
      - .offset:         158
        .size:           2
        .value_kind:     hidden_group_size_y
      - .offset:         160
        .size:           2
        .value_kind:     hidden_group_size_z
      - .offset:         162
        .size:           2
        .value_kind:     hidden_remainder_x
      - .offset:         164
        .size:           2
        .value_kind:     hidden_remainder_y
      - .offset:         166
        .size:           2
        .value_kind:     hidden_remainder_z
      - .offset:         184
        .size:           8
        .value_kind:     hidden_global_offset_x
      - .offset:         192
        .size:           8
        .value_kind:     hidden_global_offset_y
      - .offset:         200
        .size:           8
        .value_kind:     hidden_global_offset_z
      - .offset:         208
        .size:           2
        .value_kind:     hidden_grid_dims
    .group_segment_fixed_size: 17472
    .kernarg_segment_align: 8
    .kernarg_segment_size: 400
    .language:       OpenCL C
    .language_version:
      - 2
      - 0
    .max_flat_workgroup_size: 256
    .name:           _Z39paged_attention_ll4mi_QKV_mfma16_kernelIDF16_hLN4vllm18Fp8KVCacheDataTypeE1EDF16_Li32ELi64ELi256ELb1ELi3EL8MFMAType0EEvPKT_PKT0_S8_ifPKiSA_SA_iPKfiiiPfSD_PS3_PT2_iSC_SC_
    .private_segment_fixed_size: 0
    .sgpr_count:     39
    .sgpr_spill_count: 0
    .symbol:         _Z39paged_attention_ll4mi_QKV_mfma16_kernelIDF16_hLN4vllm18Fp8KVCacheDataTypeE1EDF16_Li32ELi64ELi256ELb1ELi3EL8MFMAType0EEvPKT_PKT0_S8_ifPKiSA_SA_iPKfiiiPfSD_PS3_PT2_iSC_SC_.kd
    .uniform_work_group_size: 1
    .uses_dynamic_stack: false
    .vgpr_count:     146
    .vgpr_spill_count: 0
    .wavefront_size: 32
    .workgroup_processor_mode: 1
  - .args:
      - .actual_access:  read_only
        .address_space:  global
        .offset:         0
        .size:           8
        .value_kind:     global_buffer
      - .actual_access:  read_only
        .address_space:  global
        .offset:         8
        .size:           8
        .value_kind:     global_buffer
      - .actual_access:  read_only
        .address_space:  global
        .offset:         16
        .size:           8
        .value_kind:     global_buffer
      - .offset:         24
        .size:           4
        .value_kind:     by_value
      - .offset:         28
        .size:           4
        .value_kind:     by_value
      - .actual_access:  read_only
        .address_space:  global
        .offset:         32
        .size:           8
        .value_kind:     global_buffer
      - .actual_access:  read_only
        .address_space:  global
        .offset:         40
        .size:           8
        .value_kind:     global_buffer
      - .actual_access:  read_only
        .address_space:  global
        .offset:         48
        .size:           8
        .value_kind:     global_buffer
      - .offset:         56
        .size:           4
        .value_kind:     by_value
      - .actual_access:  read_only
        .address_space:  global
        .offset:         64
        .size:           8
        .value_kind:     global_buffer
      - .offset:         72
        .size:           4
        .value_kind:     by_value
      - .offset:         76
        .size:           4
        .value_kind:     by_value
      - .offset:         80
        .size:           4
        .value_kind:     by_value
      - .actual_access:  write_only
        .address_space:  global
        .offset:         88
        .size:           8
        .value_kind:     global_buffer
      - .actual_access:  write_only
        .address_space:  global
        .offset:         96
        .size:           8
        .value_kind:     global_buffer
      - .actual_access:  write_only
        .address_space:  global
        .offset:         104
        .size:           8
        .value_kind:     global_buffer
      - .actual_access:  read_only
        .address_space:  global
        .offset:         112
        .size:           8
        .value_kind:     global_buffer
      - .offset:         120
        .size:           4
        .value_kind:     by_value
      - .address_space:  global
        .offset:         128
        .size:           8
        .value_kind:     global_buffer
      - .address_space:  global
        .offset:         136
        .size:           8
        .value_kind:     global_buffer
      - .offset:         144
        .size:           4
        .value_kind:     hidden_block_count_x
      - .offset:         148
        .size:           4
        .value_kind:     hidden_block_count_y
      - .offset:         152
        .size:           4
        .value_kind:     hidden_block_count_z
      - .offset:         156
        .size:           2
        .value_kind:     hidden_group_size_x
      - .offset:         158
        .size:           2
        .value_kind:     hidden_group_size_y
      - .offset:         160
        .size:           2
        .value_kind:     hidden_group_size_z
      - .offset:         162
        .size:           2
        .value_kind:     hidden_remainder_x
      - .offset:         164
        .size:           2
        .value_kind:     hidden_remainder_y
      - .offset:         166
        .size:           2
        .value_kind:     hidden_remainder_z
      - .offset:         184
        .size:           8
        .value_kind:     hidden_global_offset_x
      - .offset:         192
        .size:           8
        .value_kind:     hidden_global_offset_y
      - .offset:         200
        .size:           8
        .value_kind:     hidden_global_offset_z
      - .offset:         208
        .size:           2
        .value_kind:     hidden_grid_dims
    .group_segment_fixed_size: 17472
    .kernarg_segment_align: 8
    .kernarg_segment_size: 400
    .language:       OpenCL C
    .language_version:
      - 2
      - 0
    .max_flat_workgroup_size: 256
    .name:           _Z39paged_attention_ll4mi_QKV_mfma16_kernelIDF16_hLN4vllm18Fp8KVCacheDataTypeE1EDF16_Li32ELi64ELi256ELb1ELi4EL8MFMAType0EEvPKT_PKT0_S8_ifPKiSA_SA_iPKfiiiPfSD_PS3_PT2_iSC_SC_
    .private_segment_fixed_size: 0
    .sgpr_count:     44
    .sgpr_spill_count: 0
    .symbol:         _Z39paged_attention_ll4mi_QKV_mfma16_kernelIDF16_hLN4vllm18Fp8KVCacheDataTypeE1EDF16_Li32ELi64ELi256ELb1ELi4EL8MFMAType0EEvPKT_PKT0_S8_ifPKiSA_SA_iPKfiiiPfSD_PS3_PT2_iSC_SC_.kd
    .uniform_work_group_size: 1
    .uses_dynamic_stack: false
    .vgpr_count:     123
    .vgpr_spill_count: 0
    .wavefront_size: 32
    .workgroup_processor_mode: 1
  - .args:
      - .actual_access:  read_only
        .address_space:  global
        .offset:         0
        .size:           8
        .value_kind:     global_buffer
      - .actual_access:  read_only
        .address_space:  global
        .offset:         8
        .size:           8
        .value_kind:     global_buffer
      - .actual_access:  read_only
        .address_space:  global
        .offset:         16
        .size:           8
        .value_kind:     global_buffer
      - .offset:         24
        .size:           4
        .value_kind:     by_value
      - .offset:         28
        .size:           4
        .value_kind:     by_value
      - .actual_access:  read_only
        .address_space:  global
        .offset:         32
        .size:           8
        .value_kind:     global_buffer
      - .actual_access:  read_only
        .address_space:  global
        .offset:         40
        .size:           8
        .value_kind:     global_buffer
      - .actual_access:  read_only
        .address_space:  global
        .offset:         48
        .size:           8
        .value_kind:     global_buffer
      - .offset:         56
        .size:           4
        .value_kind:     by_value
      - .actual_access:  read_only
        .address_space:  global
        .offset:         64
        .size:           8
        .value_kind:     global_buffer
      - .offset:         72
        .size:           4
        .value_kind:     by_value
      - .offset:         76
        .size:           4
        .value_kind:     by_value
      - .offset:         80
        .size:           4
        .value_kind:     by_value
      - .actual_access:  write_only
        .address_space:  global
        .offset:         88
        .size:           8
        .value_kind:     global_buffer
      - .actual_access:  write_only
        .address_space:  global
        .offset:         96
        .size:           8
        .value_kind:     global_buffer
      - .actual_access:  write_only
        .address_space:  global
        .offset:         104
        .size:           8
        .value_kind:     global_buffer
      - .actual_access:  read_only
        .address_space:  global
        .offset:         112
        .size:           8
        .value_kind:     global_buffer
      - .offset:         120
        .size:           4
        .value_kind:     by_value
      - .address_space:  global
        .offset:         128
        .size:           8
        .value_kind:     global_buffer
      - .address_space:  global
        .offset:         136
        .size:           8
        .value_kind:     global_buffer
      - .offset:         144
        .size:           4
        .value_kind:     hidden_block_count_x
      - .offset:         148
        .size:           4
        .value_kind:     hidden_block_count_y
      - .offset:         152
        .size:           4
        .value_kind:     hidden_block_count_z
      - .offset:         156
        .size:           2
        .value_kind:     hidden_group_size_x
      - .offset:         158
        .size:           2
        .value_kind:     hidden_group_size_y
      - .offset:         160
        .size:           2
        .value_kind:     hidden_group_size_z
      - .offset:         162
        .size:           2
        .value_kind:     hidden_remainder_x
      - .offset:         164
        .size:           2
        .value_kind:     hidden_remainder_y
      - .offset:         166
        .size:           2
        .value_kind:     hidden_remainder_z
      - .offset:         184
        .size:           8
        .value_kind:     hidden_global_offset_x
      - .offset:         192
        .size:           8
        .value_kind:     hidden_global_offset_y
      - .offset:         200
        .size:           8
        .value_kind:     hidden_global_offset_z
      - .offset:         208
        .size:           2
        .value_kind:     hidden_grid_dims
    .group_segment_fixed_size: 17472
    .kernarg_segment_align: 8
    .kernarg_segment_size: 400
    .language:       OpenCL C
    .language_version:
      - 2
      - 0
    .max_flat_workgroup_size: 256
    .name:           _Z39paged_attention_ll4mi_QKV_mfma16_kernelIDF16_hLN4vllm18Fp8KVCacheDataTypeE1EDF16_Li32ELi64ELi256ELb0ELi5EL8MFMAType0EEvPKT_PKT0_S8_ifPKiSA_SA_iPKfiiiPfSD_PS3_PT2_iSC_SC_
    .private_segment_fixed_size: 0
    .sgpr_count:     39
    .sgpr_spill_count: 0
    .symbol:         _Z39paged_attention_ll4mi_QKV_mfma16_kernelIDF16_hLN4vllm18Fp8KVCacheDataTypeE1EDF16_Li32ELi64ELi256ELb0ELi5EL8MFMAType0EEvPKT_PKT0_S8_ifPKiSA_SA_iPKfiiiPfSD_PS3_PT2_iSC_SC_.kd
    .uniform_work_group_size: 1
    .uses_dynamic_stack: false
    .vgpr_count:     146
    .vgpr_spill_count: 0
    .wavefront_size: 32
    .workgroup_processor_mode: 1
  - .args:
      - .actual_access:  read_only
        .address_space:  global
        .offset:         0
        .size:           8
        .value_kind:     global_buffer
      - .actual_access:  read_only
        .address_space:  global
        .offset:         8
        .size:           8
        .value_kind:     global_buffer
      - .actual_access:  read_only
        .address_space:  global
        .offset:         16
        .size:           8
        .value_kind:     global_buffer
      - .offset:         24
        .size:           4
        .value_kind:     by_value
      - .offset:         28
        .size:           4
        .value_kind:     by_value
      - .actual_access:  read_only
        .address_space:  global
        .offset:         32
        .size:           8
        .value_kind:     global_buffer
      - .actual_access:  read_only
        .address_space:  global
        .offset:         40
        .size:           8
        .value_kind:     global_buffer
      - .actual_access:  read_only
        .address_space:  global
        .offset:         48
        .size:           8
        .value_kind:     global_buffer
      - .offset:         56
        .size:           4
        .value_kind:     by_value
      - .actual_access:  read_only
        .address_space:  global
        .offset:         64
        .size:           8
        .value_kind:     global_buffer
      - .offset:         72
        .size:           4
        .value_kind:     by_value
      - .offset:         76
        .size:           4
        .value_kind:     by_value
      - .offset:         80
        .size:           4
        .value_kind:     by_value
      - .actual_access:  write_only
        .address_space:  global
        .offset:         88
        .size:           8
        .value_kind:     global_buffer
      - .actual_access:  write_only
        .address_space:  global
        .offset:         96
        .size:           8
        .value_kind:     global_buffer
      - .actual_access:  write_only
        .address_space:  global
        .offset:         104
        .size:           8
        .value_kind:     global_buffer
      - .actual_access:  read_only
        .address_space:  global
        .offset:         112
        .size:           8
        .value_kind:     global_buffer
      - .offset:         120
        .size:           4
        .value_kind:     by_value
      - .address_space:  global
        .offset:         128
        .size:           8
        .value_kind:     global_buffer
      - .address_space:  global
        .offset:         136
        .size:           8
        .value_kind:     global_buffer
      - .offset:         144
        .size:           4
        .value_kind:     hidden_block_count_x
      - .offset:         148
        .size:           4
        .value_kind:     hidden_block_count_y
      - .offset:         152
        .size:           4
        .value_kind:     hidden_block_count_z
      - .offset:         156
        .size:           2
        .value_kind:     hidden_group_size_x
      - .offset:         158
        .size:           2
        .value_kind:     hidden_group_size_y
      - .offset:         160
        .size:           2
        .value_kind:     hidden_group_size_z
      - .offset:         162
        .size:           2
        .value_kind:     hidden_remainder_x
      - .offset:         164
        .size:           2
        .value_kind:     hidden_remainder_y
      - .offset:         166
        .size:           2
        .value_kind:     hidden_remainder_z
      - .offset:         184
        .size:           8
        .value_kind:     hidden_global_offset_x
      - .offset:         192
        .size:           8
        .value_kind:     hidden_global_offset_y
      - .offset:         200
        .size:           8
        .value_kind:     hidden_global_offset_z
      - .offset:         208
        .size:           2
        .value_kind:     hidden_grid_dims
    .group_segment_fixed_size: 17472
    .kernarg_segment_align: 8
    .kernarg_segment_size: 400
    .language:       OpenCL C
    .language_version:
      - 2
      - 0
    .max_flat_workgroup_size: 256
    .name:           _Z39paged_attention_ll4mi_QKV_mfma16_kernelIDF16_hLN4vllm18Fp8KVCacheDataTypeE1EDF16_Li32ELi64ELi256ELb0ELi6EL8MFMAType0EEvPKT_PKT0_S8_ifPKiSA_SA_iPKfiiiPfSD_PS3_PT2_iSC_SC_
    .private_segment_fixed_size: 0
    .sgpr_count:     40
    .sgpr_spill_count: 0
    .symbol:         _Z39paged_attention_ll4mi_QKV_mfma16_kernelIDF16_hLN4vllm18Fp8KVCacheDataTypeE1EDF16_Li32ELi64ELi256ELb0ELi6EL8MFMAType0EEvPKT_PKT0_S8_ifPKiSA_SA_iPKfiiiPfSD_PS3_PT2_iSC_SC_.kd
    .uniform_work_group_size: 1
    .uses_dynamic_stack: false
    .vgpr_count:     146
    .vgpr_spill_count: 0
    .wavefront_size: 32
    .workgroup_processor_mode: 1
  - .args:
      - .actual_access:  read_only
        .address_space:  global
        .offset:         0
        .size:           8
        .value_kind:     global_buffer
      - .actual_access:  read_only
        .address_space:  global
        .offset:         8
        .size:           8
        .value_kind:     global_buffer
      - .actual_access:  read_only
        .address_space:  global
        .offset:         16
        .size:           8
        .value_kind:     global_buffer
      - .offset:         24
        .size:           4
        .value_kind:     by_value
      - .offset:         28
        .size:           4
        .value_kind:     by_value
      - .actual_access:  read_only
        .address_space:  global
        .offset:         32
        .size:           8
        .value_kind:     global_buffer
      - .actual_access:  read_only
        .address_space:  global
        .offset:         40
        .size:           8
        .value_kind:     global_buffer
      - .actual_access:  read_only
        .address_space:  global
        .offset:         48
        .size:           8
        .value_kind:     global_buffer
      - .offset:         56
        .size:           4
        .value_kind:     by_value
      - .actual_access:  read_only
        .address_space:  global
        .offset:         64
        .size:           8
        .value_kind:     global_buffer
      - .offset:         72
        .size:           4
        .value_kind:     by_value
      - .offset:         76
        .size:           4
        .value_kind:     by_value
      - .offset:         80
        .size:           4
        .value_kind:     by_value
      - .actual_access:  write_only
        .address_space:  global
        .offset:         88
        .size:           8
        .value_kind:     global_buffer
      - .actual_access:  write_only
        .address_space:  global
        .offset:         96
        .size:           8
        .value_kind:     global_buffer
      - .actual_access:  write_only
        .address_space:  global
        .offset:         104
        .size:           8
        .value_kind:     global_buffer
      - .actual_access:  read_only
        .address_space:  global
        .offset:         112
        .size:           8
        .value_kind:     global_buffer
      - .offset:         120
        .size:           4
        .value_kind:     by_value
      - .address_space:  global
        .offset:         128
        .size:           8
        .value_kind:     global_buffer
      - .address_space:  global
        .offset:         136
        .size:           8
        .value_kind:     global_buffer
      - .offset:         144
        .size:           4
        .value_kind:     hidden_block_count_x
      - .offset:         148
        .size:           4
        .value_kind:     hidden_block_count_y
      - .offset:         152
        .size:           4
        .value_kind:     hidden_block_count_z
      - .offset:         156
        .size:           2
        .value_kind:     hidden_group_size_x
      - .offset:         158
        .size:           2
        .value_kind:     hidden_group_size_y
      - .offset:         160
        .size:           2
        .value_kind:     hidden_group_size_z
      - .offset:         162
        .size:           2
        .value_kind:     hidden_remainder_x
      - .offset:         164
        .size:           2
        .value_kind:     hidden_remainder_y
      - .offset:         166
        .size:           2
        .value_kind:     hidden_remainder_z
      - .offset:         184
        .size:           8
        .value_kind:     hidden_global_offset_x
      - .offset:         192
        .size:           8
        .value_kind:     hidden_global_offset_y
      - .offset:         200
        .size:           8
        .value_kind:     hidden_global_offset_z
      - .offset:         208
        .size:           2
        .value_kind:     hidden_grid_dims
    .group_segment_fixed_size: 17472
    .kernarg_segment_align: 8
    .kernarg_segment_size: 400
    .language:       OpenCL C
    .language_version:
      - 2
      - 0
    .max_flat_workgroup_size: 256
    .name:           _Z39paged_attention_ll4mi_QKV_mfma16_kernelIDF16_hLN4vllm18Fp8KVCacheDataTypeE1EDF16_Li32ELi64ELi256ELb0ELi7EL8MFMAType0EEvPKT_PKT0_S8_ifPKiSA_SA_iPKfiiiPfSD_PS3_PT2_iSC_SC_
    .private_segment_fixed_size: 0
    .sgpr_count:     39
    .sgpr_spill_count: 0
    .symbol:         _Z39paged_attention_ll4mi_QKV_mfma16_kernelIDF16_hLN4vllm18Fp8KVCacheDataTypeE1EDF16_Li32ELi64ELi256ELb0ELi7EL8MFMAType0EEvPKT_PKT0_S8_ifPKiSA_SA_iPKfiiiPfSD_PS3_PT2_iSC_SC_.kd
    .uniform_work_group_size: 1
    .uses_dynamic_stack: false
    .vgpr_count:     146
    .vgpr_spill_count: 0
    .wavefront_size: 32
    .workgroup_processor_mode: 1
  - .args:
      - .actual_access:  read_only
        .address_space:  global
        .offset:         0
        .size:           8
        .value_kind:     global_buffer
      - .actual_access:  read_only
        .address_space:  global
        .offset:         8
        .size:           8
        .value_kind:     global_buffer
      - .actual_access:  read_only
        .address_space:  global
        .offset:         16
        .size:           8
        .value_kind:     global_buffer
      - .offset:         24
        .size:           4
        .value_kind:     by_value
      - .offset:         28
        .size:           4
        .value_kind:     by_value
      - .actual_access:  read_only
        .address_space:  global
        .offset:         32
        .size:           8
        .value_kind:     global_buffer
      - .actual_access:  read_only
        .address_space:  global
        .offset:         40
        .size:           8
        .value_kind:     global_buffer
      - .actual_access:  read_only
        .address_space:  global
        .offset:         48
        .size:           8
        .value_kind:     global_buffer
      - .offset:         56
        .size:           4
        .value_kind:     by_value
      - .actual_access:  read_only
        .address_space:  global
        .offset:         64
        .size:           8
        .value_kind:     global_buffer
      - .offset:         72
        .size:           4
        .value_kind:     by_value
      - .offset:         76
        .size:           4
        .value_kind:     by_value
      - .offset:         80
        .size:           4
        .value_kind:     by_value
      - .actual_access:  write_only
        .address_space:  global
        .offset:         88
        .size:           8
        .value_kind:     global_buffer
      - .actual_access:  write_only
        .address_space:  global
        .offset:         96
        .size:           8
        .value_kind:     global_buffer
      - .actual_access:  write_only
        .address_space:  global
        .offset:         104
        .size:           8
        .value_kind:     global_buffer
      - .actual_access:  read_only
        .address_space:  global
        .offset:         112
        .size:           8
        .value_kind:     global_buffer
      - .offset:         120
        .size:           4
        .value_kind:     by_value
      - .address_space:  global
        .offset:         128
        .size:           8
        .value_kind:     global_buffer
      - .address_space:  global
        .offset:         136
        .size:           8
        .value_kind:     global_buffer
      - .offset:         144
        .size:           4
        .value_kind:     hidden_block_count_x
      - .offset:         148
        .size:           4
        .value_kind:     hidden_block_count_y
      - .offset:         152
        .size:           4
        .value_kind:     hidden_block_count_z
      - .offset:         156
        .size:           2
        .value_kind:     hidden_group_size_x
      - .offset:         158
        .size:           2
        .value_kind:     hidden_group_size_y
      - .offset:         160
        .size:           2
        .value_kind:     hidden_group_size_z
      - .offset:         162
        .size:           2
        .value_kind:     hidden_remainder_x
      - .offset:         164
        .size:           2
        .value_kind:     hidden_remainder_y
      - .offset:         166
        .size:           2
        .value_kind:     hidden_remainder_z
      - .offset:         184
        .size:           8
        .value_kind:     hidden_global_offset_x
      - .offset:         192
        .size:           8
        .value_kind:     hidden_global_offset_y
      - .offset:         200
        .size:           8
        .value_kind:     hidden_global_offset_z
      - .offset:         208
        .size:           2
        .value_kind:     hidden_grid_dims
    .group_segment_fixed_size: 17472
    .kernarg_segment_align: 8
    .kernarg_segment_size: 400
    .language:       OpenCL C
    .language_version:
      - 2
      - 0
    .max_flat_workgroup_size: 256
    .name:           _Z39paged_attention_ll4mi_QKV_mfma16_kernelIDF16_hLN4vllm18Fp8KVCacheDataTypeE1EDF16_Li32ELi64ELi256ELb0ELi8EL8MFMAType0EEvPKT_PKT0_S8_ifPKiSA_SA_iPKfiiiPfSD_PS3_PT2_iSC_SC_
    .private_segment_fixed_size: 0
    .sgpr_count:     44
    .sgpr_spill_count: 0
    .symbol:         _Z39paged_attention_ll4mi_QKV_mfma16_kernelIDF16_hLN4vllm18Fp8KVCacheDataTypeE1EDF16_Li32ELi64ELi256ELb0ELi8EL8MFMAType0EEvPKT_PKT0_S8_ifPKiSA_SA_iPKfiiiPfSD_PS3_PT2_iSC_SC_.kd
    .uniform_work_group_size: 1
    .uses_dynamic_stack: false
    .vgpr_count:     123
    .vgpr_spill_count: 0
    .wavefront_size: 32
    .workgroup_processor_mode: 1
  - .args:
      - .actual_access:  read_only
        .address_space:  global
        .offset:         0
        .size:           8
        .value_kind:     global_buffer
      - .actual_access:  read_only
        .address_space:  global
        .offset:         8
        .size:           8
        .value_kind:     global_buffer
      - .actual_access:  read_only
        .address_space:  global
        .offset:         16
        .size:           8
        .value_kind:     global_buffer
      - .offset:         24
        .size:           4
        .value_kind:     by_value
      - .offset:         28
        .size:           4
        .value_kind:     by_value
      - .actual_access:  read_only
        .address_space:  global
        .offset:         32
        .size:           8
        .value_kind:     global_buffer
      - .actual_access:  read_only
        .address_space:  global
        .offset:         40
        .size:           8
        .value_kind:     global_buffer
      - .actual_access:  read_only
        .address_space:  global
        .offset:         48
        .size:           8
        .value_kind:     global_buffer
      - .offset:         56
        .size:           4
        .value_kind:     by_value
      - .actual_access:  read_only
        .address_space:  global
        .offset:         64
        .size:           8
        .value_kind:     global_buffer
      - .offset:         72
        .size:           4
        .value_kind:     by_value
      - .offset:         76
        .size:           4
        .value_kind:     by_value
      - .offset:         80
        .size:           4
        .value_kind:     by_value
      - .actual_access:  write_only
        .address_space:  global
        .offset:         88
        .size:           8
        .value_kind:     global_buffer
      - .actual_access:  write_only
        .address_space:  global
        .offset:         96
        .size:           8
        .value_kind:     global_buffer
      - .actual_access:  write_only
        .address_space:  global
        .offset:         104
        .size:           8
        .value_kind:     global_buffer
      - .actual_access:  read_only
        .address_space:  global
        .offset:         112
        .size:           8
        .value_kind:     global_buffer
      - .offset:         120
        .size:           4
        .value_kind:     by_value
      - .address_space:  global
        .offset:         128
        .size:           8
        .value_kind:     global_buffer
      - .address_space:  global
        .offset:         136
        .size:           8
        .value_kind:     global_buffer
      - .offset:         144
        .size:           4
        .value_kind:     hidden_block_count_x
      - .offset:         148
        .size:           4
        .value_kind:     hidden_block_count_y
      - .offset:         152
        .size:           4
        .value_kind:     hidden_block_count_z
      - .offset:         156
        .size:           2
        .value_kind:     hidden_group_size_x
      - .offset:         158
        .size:           2
        .value_kind:     hidden_group_size_y
      - .offset:         160
        .size:           2
        .value_kind:     hidden_group_size_z
      - .offset:         162
        .size:           2
        .value_kind:     hidden_remainder_x
      - .offset:         164
        .size:           2
        .value_kind:     hidden_remainder_y
      - .offset:         166
        .size:           2
        .value_kind:     hidden_remainder_z
      - .offset:         184
        .size:           8
        .value_kind:     hidden_global_offset_x
      - .offset:         192
        .size:           8
        .value_kind:     hidden_global_offset_y
      - .offset:         200
        .size:           8
        .value_kind:     hidden_global_offset_z
      - .offset:         208
        .size:           2
        .value_kind:     hidden_grid_dims
    .group_segment_fixed_size: 17472
    .kernarg_segment_align: 8
    .kernarg_segment_size: 400
    .language:       OpenCL C
    .language_version:
      - 2
      - 0
    .max_flat_workgroup_size: 256
    .name:           _Z39paged_attention_ll4mi_QKV_mfma16_kernelIDF16_hLN4vllm18Fp8KVCacheDataTypeE1EDF16_Li32ELi64ELi256ELb0ELi9EL8MFMAType0EEvPKT_PKT0_S8_ifPKiSA_SA_iPKfiiiPfSD_PS3_PT2_iSC_SC_
    .private_segment_fixed_size: 0
    .sgpr_count:     39
    .sgpr_spill_count: 0
    .symbol:         _Z39paged_attention_ll4mi_QKV_mfma16_kernelIDF16_hLN4vllm18Fp8KVCacheDataTypeE1EDF16_Li32ELi64ELi256ELb0ELi9EL8MFMAType0EEvPKT_PKT0_S8_ifPKiSA_SA_iPKfiiiPfSD_PS3_PT2_iSC_SC_.kd
    .uniform_work_group_size: 1
    .uses_dynamic_stack: false
    .vgpr_count:     146
    .vgpr_spill_count: 0
    .wavefront_size: 32
    .workgroup_processor_mode: 1
  - .args:
      - .actual_access:  read_only
        .address_space:  global
        .offset:         0
        .size:           8
        .value_kind:     global_buffer
      - .actual_access:  read_only
        .address_space:  global
        .offset:         8
        .size:           8
        .value_kind:     global_buffer
      - .actual_access:  read_only
        .address_space:  global
        .offset:         16
        .size:           8
        .value_kind:     global_buffer
      - .offset:         24
        .size:           4
        .value_kind:     by_value
      - .offset:         28
        .size:           4
        .value_kind:     by_value
      - .actual_access:  read_only
        .address_space:  global
        .offset:         32
        .size:           8
        .value_kind:     global_buffer
      - .actual_access:  read_only
        .address_space:  global
        .offset:         40
        .size:           8
        .value_kind:     global_buffer
      - .actual_access:  read_only
        .address_space:  global
        .offset:         48
        .size:           8
        .value_kind:     global_buffer
      - .offset:         56
        .size:           4
        .value_kind:     by_value
      - .actual_access:  read_only
        .address_space:  global
        .offset:         64
        .size:           8
        .value_kind:     global_buffer
      - .offset:         72
        .size:           4
        .value_kind:     by_value
      - .offset:         76
        .size:           4
        .value_kind:     by_value
      - .offset:         80
        .size:           4
        .value_kind:     by_value
      - .actual_access:  write_only
        .address_space:  global
        .offset:         88
        .size:           8
        .value_kind:     global_buffer
      - .actual_access:  write_only
        .address_space:  global
        .offset:         96
        .size:           8
        .value_kind:     global_buffer
      - .actual_access:  write_only
        .address_space:  global
        .offset:         104
        .size:           8
        .value_kind:     global_buffer
      - .actual_access:  read_only
        .address_space:  global
        .offset:         112
        .size:           8
        .value_kind:     global_buffer
      - .offset:         120
        .size:           4
        .value_kind:     by_value
      - .address_space:  global
        .offset:         128
        .size:           8
        .value_kind:     global_buffer
      - .address_space:  global
        .offset:         136
        .size:           8
        .value_kind:     global_buffer
      - .offset:         144
        .size:           4
        .value_kind:     hidden_block_count_x
      - .offset:         148
        .size:           4
        .value_kind:     hidden_block_count_y
      - .offset:         152
        .size:           4
        .value_kind:     hidden_block_count_z
      - .offset:         156
        .size:           2
        .value_kind:     hidden_group_size_x
      - .offset:         158
        .size:           2
        .value_kind:     hidden_group_size_y
      - .offset:         160
        .size:           2
        .value_kind:     hidden_group_size_z
      - .offset:         162
        .size:           2
        .value_kind:     hidden_remainder_x
      - .offset:         164
        .size:           2
        .value_kind:     hidden_remainder_y
      - .offset:         166
        .size:           2
        .value_kind:     hidden_remainder_z
      - .offset:         184
        .size:           8
        .value_kind:     hidden_global_offset_x
      - .offset:         192
        .size:           8
        .value_kind:     hidden_global_offset_y
      - .offset:         200
        .size:           8
        .value_kind:     hidden_global_offset_z
      - .offset:         208
        .size:           2
        .value_kind:     hidden_grid_dims
    .group_segment_fixed_size: 17472
    .kernarg_segment_align: 8
    .kernarg_segment_size: 400
    .language:       OpenCL C
    .language_version:
      - 2
      - 0
    .max_flat_workgroup_size: 256
    .name:           _Z39paged_attention_ll4mi_QKV_mfma16_kernelIDF16_hLN4vllm18Fp8KVCacheDataTypeE1EDF16_Li32ELi64ELi256ELb0ELi10EL8MFMAType0EEvPKT_PKT0_S8_ifPKiSA_SA_iPKfiiiPfSD_PS3_PT2_iSC_SC_
    .private_segment_fixed_size: 0
    .sgpr_count:     40
    .sgpr_spill_count: 0
    .symbol:         _Z39paged_attention_ll4mi_QKV_mfma16_kernelIDF16_hLN4vllm18Fp8KVCacheDataTypeE1EDF16_Li32ELi64ELi256ELb0ELi10EL8MFMAType0EEvPKT_PKT0_S8_ifPKiSA_SA_iPKfiiiPfSD_PS3_PT2_iSC_SC_.kd
    .uniform_work_group_size: 1
    .uses_dynamic_stack: false
    .vgpr_count:     146
    .vgpr_spill_count: 0
    .wavefront_size: 32
    .workgroup_processor_mode: 1
  - .args:
      - .actual_access:  read_only
        .address_space:  global
        .offset:         0
        .size:           8
        .value_kind:     global_buffer
      - .actual_access:  read_only
        .address_space:  global
        .offset:         8
        .size:           8
        .value_kind:     global_buffer
      - .actual_access:  read_only
        .address_space:  global
        .offset:         16
        .size:           8
        .value_kind:     global_buffer
      - .offset:         24
        .size:           4
        .value_kind:     by_value
      - .offset:         28
        .size:           4
        .value_kind:     by_value
      - .actual_access:  read_only
        .address_space:  global
        .offset:         32
        .size:           8
        .value_kind:     global_buffer
      - .actual_access:  read_only
        .address_space:  global
        .offset:         40
        .size:           8
        .value_kind:     global_buffer
      - .actual_access:  read_only
        .address_space:  global
        .offset:         48
        .size:           8
        .value_kind:     global_buffer
      - .offset:         56
        .size:           4
        .value_kind:     by_value
      - .actual_access:  read_only
        .address_space:  global
        .offset:         64
        .size:           8
        .value_kind:     global_buffer
      - .offset:         72
        .size:           4
        .value_kind:     by_value
      - .offset:         76
        .size:           4
        .value_kind:     by_value
      - .offset:         80
        .size:           4
        .value_kind:     by_value
      - .actual_access:  write_only
        .address_space:  global
        .offset:         88
        .size:           8
        .value_kind:     global_buffer
      - .actual_access:  write_only
        .address_space:  global
        .offset:         96
        .size:           8
        .value_kind:     global_buffer
      - .actual_access:  write_only
        .address_space:  global
        .offset:         104
        .size:           8
        .value_kind:     global_buffer
      - .actual_access:  read_only
        .address_space:  global
        .offset:         112
        .size:           8
        .value_kind:     global_buffer
      - .offset:         120
        .size:           4
        .value_kind:     by_value
      - .address_space:  global
        .offset:         128
        .size:           8
        .value_kind:     global_buffer
      - .address_space:  global
        .offset:         136
        .size:           8
        .value_kind:     global_buffer
      - .offset:         144
        .size:           4
        .value_kind:     hidden_block_count_x
      - .offset:         148
        .size:           4
        .value_kind:     hidden_block_count_y
      - .offset:         152
        .size:           4
        .value_kind:     hidden_block_count_z
      - .offset:         156
        .size:           2
        .value_kind:     hidden_group_size_x
      - .offset:         158
        .size:           2
        .value_kind:     hidden_group_size_y
      - .offset:         160
        .size:           2
        .value_kind:     hidden_group_size_z
      - .offset:         162
        .size:           2
        .value_kind:     hidden_remainder_x
      - .offset:         164
        .size:           2
        .value_kind:     hidden_remainder_y
      - .offset:         166
        .size:           2
        .value_kind:     hidden_remainder_z
      - .offset:         184
        .size:           8
        .value_kind:     hidden_global_offset_x
      - .offset:         192
        .size:           8
        .value_kind:     hidden_global_offset_y
      - .offset:         200
        .size:           8
        .value_kind:     hidden_global_offset_z
      - .offset:         208
        .size:           2
        .value_kind:     hidden_grid_dims
    .group_segment_fixed_size: 17472
    .kernarg_segment_align: 8
    .kernarg_segment_size: 400
    .language:       OpenCL C
    .language_version:
      - 2
      - 0
    .max_flat_workgroup_size: 256
    .name:           _Z39paged_attention_ll4mi_QKV_mfma16_kernelIDF16_hLN4vllm18Fp8KVCacheDataTypeE1EDF16_Li32ELi64ELi256ELb0ELi11EL8MFMAType0EEvPKT_PKT0_S8_ifPKiSA_SA_iPKfiiiPfSD_PS3_PT2_iSC_SC_
    .private_segment_fixed_size: 0
    .sgpr_count:     39
    .sgpr_spill_count: 0
    .symbol:         _Z39paged_attention_ll4mi_QKV_mfma16_kernelIDF16_hLN4vllm18Fp8KVCacheDataTypeE1EDF16_Li32ELi64ELi256ELb0ELi11EL8MFMAType0EEvPKT_PKT0_S8_ifPKiSA_SA_iPKfiiiPfSD_PS3_PT2_iSC_SC_.kd
    .uniform_work_group_size: 1
    .uses_dynamic_stack: false
    .vgpr_count:     146
    .vgpr_spill_count: 0
    .wavefront_size: 32
    .workgroup_processor_mode: 1
  - .args:
      - .actual_access:  read_only
        .address_space:  global
        .offset:         0
        .size:           8
        .value_kind:     global_buffer
      - .actual_access:  read_only
        .address_space:  global
        .offset:         8
        .size:           8
        .value_kind:     global_buffer
      - .actual_access:  read_only
        .address_space:  global
        .offset:         16
        .size:           8
        .value_kind:     global_buffer
      - .offset:         24
        .size:           4
        .value_kind:     by_value
      - .offset:         28
        .size:           4
        .value_kind:     by_value
      - .actual_access:  read_only
        .address_space:  global
        .offset:         32
        .size:           8
        .value_kind:     global_buffer
      - .actual_access:  read_only
        .address_space:  global
        .offset:         40
        .size:           8
        .value_kind:     global_buffer
      - .actual_access:  read_only
        .address_space:  global
        .offset:         48
        .size:           8
        .value_kind:     global_buffer
      - .offset:         56
        .size:           4
        .value_kind:     by_value
      - .actual_access:  read_only
        .address_space:  global
        .offset:         64
        .size:           8
        .value_kind:     global_buffer
      - .offset:         72
        .size:           4
        .value_kind:     by_value
      - .offset:         76
        .size:           4
        .value_kind:     by_value
      - .offset:         80
        .size:           4
        .value_kind:     by_value
      - .actual_access:  write_only
        .address_space:  global
        .offset:         88
        .size:           8
        .value_kind:     global_buffer
      - .actual_access:  write_only
        .address_space:  global
        .offset:         96
        .size:           8
        .value_kind:     global_buffer
      - .actual_access:  write_only
        .address_space:  global
        .offset:         104
        .size:           8
        .value_kind:     global_buffer
      - .actual_access:  read_only
        .address_space:  global
        .offset:         112
        .size:           8
        .value_kind:     global_buffer
      - .offset:         120
        .size:           4
        .value_kind:     by_value
      - .address_space:  global
        .offset:         128
        .size:           8
        .value_kind:     global_buffer
      - .address_space:  global
        .offset:         136
        .size:           8
        .value_kind:     global_buffer
      - .offset:         144
        .size:           4
        .value_kind:     hidden_block_count_x
      - .offset:         148
        .size:           4
        .value_kind:     hidden_block_count_y
      - .offset:         152
        .size:           4
        .value_kind:     hidden_block_count_z
      - .offset:         156
        .size:           2
        .value_kind:     hidden_group_size_x
      - .offset:         158
        .size:           2
        .value_kind:     hidden_group_size_y
      - .offset:         160
        .size:           2
        .value_kind:     hidden_group_size_z
      - .offset:         162
        .size:           2
        .value_kind:     hidden_remainder_x
      - .offset:         164
        .size:           2
        .value_kind:     hidden_remainder_y
      - .offset:         166
        .size:           2
        .value_kind:     hidden_remainder_z
      - .offset:         184
        .size:           8
        .value_kind:     hidden_global_offset_x
      - .offset:         192
        .size:           8
        .value_kind:     hidden_global_offset_y
      - .offset:         200
        .size:           8
        .value_kind:     hidden_global_offset_z
      - .offset:         208
        .size:           2
        .value_kind:     hidden_grid_dims
    .group_segment_fixed_size: 17472
    .kernarg_segment_align: 8
    .kernarg_segment_size: 400
    .language:       OpenCL C
    .language_version:
      - 2
      - 0
    .max_flat_workgroup_size: 256
    .name:           _Z39paged_attention_ll4mi_QKV_mfma16_kernelIDF16_hLN4vllm18Fp8KVCacheDataTypeE1EDF16_Li32ELi64ELi256ELb0ELi12EL8MFMAType0EEvPKT_PKT0_S8_ifPKiSA_SA_iPKfiiiPfSD_PS3_PT2_iSC_SC_
    .private_segment_fixed_size: 0
    .sgpr_count:     40
    .sgpr_spill_count: 0
    .symbol:         _Z39paged_attention_ll4mi_QKV_mfma16_kernelIDF16_hLN4vllm18Fp8KVCacheDataTypeE1EDF16_Li32ELi64ELi256ELb0ELi12EL8MFMAType0EEvPKT_PKT0_S8_ifPKiSA_SA_iPKfiiiPfSD_PS3_PT2_iSC_SC_.kd
    .uniform_work_group_size: 1
    .uses_dynamic_stack: false
    .vgpr_count:     146
    .vgpr_spill_count: 0
    .wavefront_size: 32
    .workgroup_processor_mode: 1
  - .args:
      - .actual_access:  read_only
        .address_space:  global
        .offset:         0
        .size:           8
        .value_kind:     global_buffer
      - .actual_access:  read_only
        .address_space:  global
        .offset:         8
        .size:           8
        .value_kind:     global_buffer
      - .actual_access:  read_only
        .address_space:  global
        .offset:         16
        .size:           8
        .value_kind:     global_buffer
      - .offset:         24
        .size:           4
        .value_kind:     by_value
      - .offset:         28
        .size:           4
        .value_kind:     by_value
      - .actual_access:  read_only
        .address_space:  global
        .offset:         32
        .size:           8
        .value_kind:     global_buffer
      - .actual_access:  read_only
        .address_space:  global
        .offset:         40
        .size:           8
        .value_kind:     global_buffer
      - .actual_access:  read_only
        .address_space:  global
        .offset:         48
        .size:           8
        .value_kind:     global_buffer
      - .offset:         56
        .size:           4
        .value_kind:     by_value
      - .actual_access:  read_only
        .address_space:  global
        .offset:         64
        .size:           8
        .value_kind:     global_buffer
      - .offset:         72
        .size:           4
        .value_kind:     by_value
      - .offset:         76
        .size:           4
        .value_kind:     by_value
      - .offset:         80
        .size:           4
        .value_kind:     by_value
      - .actual_access:  write_only
        .address_space:  global
        .offset:         88
        .size:           8
        .value_kind:     global_buffer
      - .actual_access:  write_only
        .address_space:  global
        .offset:         96
        .size:           8
        .value_kind:     global_buffer
      - .actual_access:  write_only
        .address_space:  global
        .offset:         104
        .size:           8
        .value_kind:     global_buffer
      - .actual_access:  read_only
        .address_space:  global
        .offset:         112
        .size:           8
        .value_kind:     global_buffer
      - .offset:         120
        .size:           4
        .value_kind:     by_value
      - .address_space:  global
        .offset:         128
        .size:           8
        .value_kind:     global_buffer
      - .address_space:  global
        .offset:         136
        .size:           8
        .value_kind:     global_buffer
      - .offset:         144
        .size:           4
        .value_kind:     hidden_block_count_x
      - .offset:         148
        .size:           4
        .value_kind:     hidden_block_count_y
      - .offset:         152
        .size:           4
        .value_kind:     hidden_block_count_z
      - .offset:         156
        .size:           2
        .value_kind:     hidden_group_size_x
      - .offset:         158
        .size:           2
        .value_kind:     hidden_group_size_y
      - .offset:         160
        .size:           2
        .value_kind:     hidden_group_size_z
      - .offset:         162
        .size:           2
        .value_kind:     hidden_remainder_x
      - .offset:         164
        .size:           2
        .value_kind:     hidden_remainder_y
      - .offset:         166
        .size:           2
        .value_kind:     hidden_remainder_z
      - .offset:         184
        .size:           8
        .value_kind:     hidden_global_offset_x
      - .offset:         192
        .size:           8
        .value_kind:     hidden_global_offset_y
      - .offset:         200
        .size:           8
        .value_kind:     hidden_global_offset_z
      - .offset:         208
        .size:           2
        .value_kind:     hidden_grid_dims
    .group_segment_fixed_size: 17472
    .kernarg_segment_align: 8
    .kernarg_segment_size: 400
    .language:       OpenCL C
    .language_version:
      - 2
      - 0
    .max_flat_workgroup_size: 256
    .name:           _Z39paged_attention_ll4mi_QKV_mfma16_kernelIDF16_hLN4vllm18Fp8KVCacheDataTypeE1EDF16_Li32ELi64ELi256ELb0ELi13EL8MFMAType0EEvPKT_PKT0_S8_ifPKiSA_SA_iPKfiiiPfSD_PS3_PT2_iSC_SC_
    .private_segment_fixed_size: 0
    .sgpr_count:     39
    .sgpr_spill_count: 0
    .symbol:         _Z39paged_attention_ll4mi_QKV_mfma16_kernelIDF16_hLN4vllm18Fp8KVCacheDataTypeE1EDF16_Li32ELi64ELi256ELb0ELi13EL8MFMAType0EEvPKT_PKT0_S8_ifPKiSA_SA_iPKfiiiPfSD_PS3_PT2_iSC_SC_.kd
    .uniform_work_group_size: 1
    .uses_dynamic_stack: false
    .vgpr_count:     146
    .vgpr_spill_count: 0
    .wavefront_size: 32
    .workgroup_processor_mode: 1
  - .args:
      - .actual_access:  read_only
        .address_space:  global
        .offset:         0
        .size:           8
        .value_kind:     global_buffer
      - .actual_access:  read_only
        .address_space:  global
        .offset:         8
        .size:           8
        .value_kind:     global_buffer
      - .actual_access:  read_only
        .address_space:  global
        .offset:         16
        .size:           8
        .value_kind:     global_buffer
      - .offset:         24
        .size:           4
        .value_kind:     by_value
      - .offset:         28
        .size:           4
        .value_kind:     by_value
      - .actual_access:  read_only
        .address_space:  global
        .offset:         32
        .size:           8
        .value_kind:     global_buffer
      - .actual_access:  read_only
        .address_space:  global
        .offset:         40
        .size:           8
        .value_kind:     global_buffer
      - .actual_access:  read_only
        .address_space:  global
        .offset:         48
        .size:           8
        .value_kind:     global_buffer
      - .offset:         56
        .size:           4
        .value_kind:     by_value
      - .actual_access:  read_only
        .address_space:  global
        .offset:         64
        .size:           8
        .value_kind:     global_buffer
      - .offset:         72
        .size:           4
        .value_kind:     by_value
      - .offset:         76
        .size:           4
        .value_kind:     by_value
      - .offset:         80
        .size:           4
        .value_kind:     by_value
      - .actual_access:  write_only
        .address_space:  global
        .offset:         88
        .size:           8
        .value_kind:     global_buffer
      - .actual_access:  write_only
        .address_space:  global
        .offset:         96
        .size:           8
        .value_kind:     global_buffer
      - .actual_access:  write_only
        .address_space:  global
        .offset:         104
        .size:           8
        .value_kind:     global_buffer
      - .actual_access:  read_only
        .address_space:  global
        .offset:         112
        .size:           8
        .value_kind:     global_buffer
      - .offset:         120
        .size:           4
        .value_kind:     by_value
      - .address_space:  global
        .offset:         128
        .size:           8
        .value_kind:     global_buffer
      - .address_space:  global
        .offset:         136
        .size:           8
        .value_kind:     global_buffer
      - .offset:         144
        .size:           4
        .value_kind:     hidden_block_count_x
      - .offset:         148
        .size:           4
        .value_kind:     hidden_block_count_y
      - .offset:         152
        .size:           4
        .value_kind:     hidden_block_count_z
      - .offset:         156
        .size:           2
        .value_kind:     hidden_group_size_x
      - .offset:         158
        .size:           2
        .value_kind:     hidden_group_size_y
      - .offset:         160
        .size:           2
        .value_kind:     hidden_group_size_z
      - .offset:         162
        .size:           2
        .value_kind:     hidden_remainder_x
      - .offset:         164
        .size:           2
        .value_kind:     hidden_remainder_y
      - .offset:         166
        .size:           2
        .value_kind:     hidden_remainder_z
      - .offset:         184
        .size:           8
        .value_kind:     hidden_global_offset_x
      - .offset:         192
        .size:           8
        .value_kind:     hidden_global_offset_y
      - .offset:         200
        .size:           8
        .value_kind:     hidden_global_offset_z
      - .offset:         208
        .size:           2
        .value_kind:     hidden_grid_dims
    .group_segment_fixed_size: 17472
    .kernarg_segment_align: 8
    .kernarg_segment_size: 400
    .language:       OpenCL C
    .language_version:
      - 2
      - 0
    .max_flat_workgroup_size: 256
    .name:           _Z39paged_attention_ll4mi_QKV_mfma16_kernelIDF16_hLN4vllm18Fp8KVCacheDataTypeE1EDF16_Li32ELi64ELi256ELb0ELi14EL8MFMAType0EEvPKT_PKT0_S8_ifPKiSA_SA_iPKfiiiPfSD_PS3_PT2_iSC_SC_
    .private_segment_fixed_size: 0
    .sgpr_count:     40
    .sgpr_spill_count: 0
    .symbol:         _Z39paged_attention_ll4mi_QKV_mfma16_kernelIDF16_hLN4vllm18Fp8KVCacheDataTypeE1EDF16_Li32ELi64ELi256ELb0ELi14EL8MFMAType0EEvPKT_PKT0_S8_ifPKiSA_SA_iPKfiiiPfSD_PS3_PT2_iSC_SC_.kd
    .uniform_work_group_size: 1
    .uses_dynamic_stack: false
    .vgpr_count:     146
    .vgpr_spill_count: 0
    .wavefront_size: 32
    .workgroup_processor_mode: 1
  - .args:
      - .actual_access:  read_only
        .address_space:  global
        .offset:         0
        .size:           8
        .value_kind:     global_buffer
      - .actual_access:  read_only
        .address_space:  global
        .offset:         8
        .size:           8
        .value_kind:     global_buffer
      - .actual_access:  read_only
        .address_space:  global
        .offset:         16
        .size:           8
        .value_kind:     global_buffer
      - .offset:         24
        .size:           4
        .value_kind:     by_value
      - .offset:         28
        .size:           4
        .value_kind:     by_value
      - .actual_access:  read_only
        .address_space:  global
        .offset:         32
        .size:           8
        .value_kind:     global_buffer
      - .actual_access:  read_only
        .address_space:  global
        .offset:         40
        .size:           8
        .value_kind:     global_buffer
      - .actual_access:  read_only
        .address_space:  global
        .offset:         48
        .size:           8
        .value_kind:     global_buffer
      - .offset:         56
        .size:           4
        .value_kind:     by_value
      - .actual_access:  read_only
        .address_space:  global
        .offset:         64
        .size:           8
        .value_kind:     global_buffer
      - .offset:         72
        .size:           4
        .value_kind:     by_value
      - .offset:         76
        .size:           4
        .value_kind:     by_value
      - .offset:         80
        .size:           4
        .value_kind:     by_value
      - .actual_access:  write_only
        .address_space:  global
        .offset:         88
        .size:           8
        .value_kind:     global_buffer
      - .actual_access:  write_only
        .address_space:  global
        .offset:         96
        .size:           8
        .value_kind:     global_buffer
      - .actual_access:  write_only
        .address_space:  global
        .offset:         104
        .size:           8
        .value_kind:     global_buffer
      - .actual_access:  read_only
        .address_space:  global
        .offset:         112
        .size:           8
        .value_kind:     global_buffer
      - .offset:         120
        .size:           4
        .value_kind:     by_value
      - .address_space:  global
        .offset:         128
        .size:           8
        .value_kind:     global_buffer
      - .address_space:  global
        .offset:         136
        .size:           8
        .value_kind:     global_buffer
      - .offset:         144
        .size:           4
        .value_kind:     hidden_block_count_x
      - .offset:         148
        .size:           4
        .value_kind:     hidden_block_count_y
      - .offset:         152
        .size:           4
        .value_kind:     hidden_block_count_z
      - .offset:         156
        .size:           2
        .value_kind:     hidden_group_size_x
      - .offset:         158
        .size:           2
        .value_kind:     hidden_group_size_y
      - .offset:         160
        .size:           2
        .value_kind:     hidden_group_size_z
      - .offset:         162
        .size:           2
        .value_kind:     hidden_remainder_x
      - .offset:         164
        .size:           2
        .value_kind:     hidden_remainder_y
      - .offset:         166
        .size:           2
        .value_kind:     hidden_remainder_z
      - .offset:         184
        .size:           8
        .value_kind:     hidden_global_offset_x
      - .offset:         192
        .size:           8
        .value_kind:     hidden_global_offset_y
      - .offset:         200
        .size:           8
        .value_kind:     hidden_global_offset_z
      - .offset:         208
        .size:           2
        .value_kind:     hidden_grid_dims
    .group_segment_fixed_size: 17472
    .kernarg_segment_align: 8
    .kernarg_segment_size: 400
    .language:       OpenCL C
    .language_version:
      - 2
      - 0
    .max_flat_workgroup_size: 256
    .name:           _Z39paged_attention_ll4mi_QKV_mfma16_kernelIDF16_hLN4vllm18Fp8KVCacheDataTypeE1EDF16_Li32ELi64ELi256ELb0ELi15EL8MFMAType0EEvPKT_PKT0_S8_ifPKiSA_SA_iPKfiiiPfSD_PS3_PT2_iSC_SC_
    .private_segment_fixed_size: 0
    .sgpr_count:     39
    .sgpr_spill_count: 0
    .symbol:         _Z39paged_attention_ll4mi_QKV_mfma16_kernelIDF16_hLN4vllm18Fp8KVCacheDataTypeE1EDF16_Li32ELi64ELi256ELb0ELi15EL8MFMAType0EEvPKT_PKT0_S8_ifPKiSA_SA_iPKfiiiPfSD_PS3_PT2_iSC_SC_.kd
    .uniform_work_group_size: 1
    .uses_dynamic_stack: false
    .vgpr_count:     146
    .vgpr_spill_count: 0
    .wavefront_size: 32
    .workgroup_processor_mode: 1
  - .args:
      - .actual_access:  read_only
        .address_space:  global
        .offset:         0
        .size:           8
        .value_kind:     global_buffer
      - .actual_access:  read_only
        .address_space:  global
        .offset:         8
        .size:           8
        .value_kind:     global_buffer
      - .actual_access:  read_only
        .address_space:  global
        .offset:         16
        .size:           8
        .value_kind:     global_buffer
      - .offset:         24
        .size:           4
        .value_kind:     by_value
      - .offset:         28
        .size:           4
        .value_kind:     by_value
      - .actual_access:  read_only
        .address_space:  global
        .offset:         32
        .size:           8
        .value_kind:     global_buffer
      - .actual_access:  read_only
        .address_space:  global
        .offset:         40
        .size:           8
        .value_kind:     global_buffer
      - .actual_access:  read_only
        .address_space:  global
        .offset:         48
        .size:           8
        .value_kind:     global_buffer
      - .offset:         56
        .size:           4
        .value_kind:     by_value
      - .actual_access:  read_only
        .address_space:  global
        .offset:         64
        .size:           8
        .value_kind:     global_buffer
      - .offset:         72
        .size:           4
        .value_kind:     by_value
      - .offset:         76
        .size:           4
        .value_kind:     by_value
      - .offset:         80
        .size:           4
        .value_kind:     by_value
      - .actual_access:  write_only
        .address_space:  global
        .offset:         88
        .size:           8
        .value_kind:     global_buffer
      - .actual_access:  write_only
        .address_space:  global
        .offset:         96
        .size:           8
        .value_kind:     global_buffer
      - .actual_access:  write_only
        .address_space:  global
        .offset:         104
        .size:           8
        .value_kind:     global_buffer
      - .actual_access:  read_only
        .address_space:  global
        .offset:         112
        .size:           8
        .value_kind:     global_buffer
      - .offset:         120
        .size:           4
        .value_kind:     by_value
      - .address_space:  global
        .offset:         128
        .size:           8
        .value_kind:     global_buffer
      - .address_space:  global
        .offset:         136
        .size:           8
        .value_kind:     global_buffer
      - .offset:         144
        .size:           4
        .value_kind:     hidden_block_count_x
      - .offset:         148
        .size:           4
        .value_kind:     hidden_block_count_y
      - .offset:         152
        .size:           4
        .value_kind:     hidden_block_count_z
      - .offset:         156
        .size:           2
        .value_kind:     hidden_group_size_x
      - .offset:         158
        .size:           2
        .value_kind:     hidden_group_size_y
      - .offset:         160
        .size:           2
        .value_kind:     hidden_group_size_z
      - .offset:         162
        .size:           2
        .value_kind:     hidden_remainder_x
      - .offset:         164
        .size:           2
        .value_kind:     hidden_remainder_y
      - .offset:         166
        .size:           2
        .value_kind:     hidden_remainder_z
      - .offset:         184
        .size:           8
        .value_kind:     hidden_global_offset_x
      - .offset:         192
        .size:           8
        .value_kind:     hidden_global_offset_y
      - .offset:         200
        .size:           8
        .value_kind:     hidden_global_offset_z
      - .offset:         208
        .size:           2
        .value_kind:     hidden_grid_dims
    .group_segment_fixed_size: 17472
    .kernarg_segment_align: 8
    .kernarg_segment_size: 400
    .language:       OpenCL C
    .language_version:
      - 2
      - 0
    .max_flat_workgroup_size: 256
    .name:           _Z39paged_attention_ll4mi_QKV_mfma16_kernelIDF16_hLN4vllm18Fp8KVCacheDataTypeE1EDF16_Li32ELi64ELi256ELb0ELi16EL8MFMAType0EEvPKT_PKT0_S8_ifPKiSA_SA_iPKfiiiPfSD_PS3_PT2_iSC_SC_
    .private_segment_fixed_size: 0
    .sgpr_count:     44
    .sgpr_spill_count: 0
    .symbol:         _Z39paged_attention_ll4mi_QKV_mfma16_kernelIDF16_hLN4vllm18Fp8KVCacheDataTypeE1EDF16_Li32ELi64ELi256ELb0ELi16EL8MFMAType0EEvPKT_PKT0_S8_ifPKiSA_SA_iPKfiiiPfSD_PS3_PT2_iSC_SC_.kd
    .uniform_work_group_size: 1
    .uses_dynamic_stack: false
    .vgpr_count:     123
    .vgpr_spill_count: 0
    .wavefront_size: 32
    .workgroup_processor_mode: 1
  - .args:
      - .actual_access:  read_only
        .address_space:  global
        .offset:         0
        .size:           8
        .value_kind:     global_buffer
      - .actual_access:  read_only
        .address_space:  global
        .offset:         8
        .size:           8
        .value_kind:     global_buffer
      - .actual_access:  read_only
        .address_space:  global
        .offset:         16
        .size:           8
        .value_kind:     global_buffer
      - .offset:         24
        .size:           4
        .value_kind:     by_value
      - .offset:         28
        .size:           4
        .value_kind:     by_value
      - .actual_access:  read_only
        .address_space:  global
        .offset:         32
        .size:           8
        .value_kind:     global_buffer
      - .actual_access:  read_only
        .address_space:  global
        .offset:         40
        .size:           8
        .value_kind:     global_buffer
      - .actual_access:  read_only
        .address_space:  global
        .offset:         48
        .size:           8
        .value_kind:     global_buffer
      - .offset:         56
        .size:           4
        .value_kind:     by_value
      - .actual_access:  read_only
        .address_space:  global
        .offset:         64
        .size:           8
        .value_kind:     global_buffer
      - .offset:         72
        .size:           4
        .value_kind:     by_value
      - .offset:         76
        .size:           4
        .value_kind:     by_value
      - .offset:         80
        .size:           4
        .value_kind:     by_value
      - .actual_access:  write_only
        .address_space:  global
        .offset:         88
        .size:           8
        .value_kind:     global_buffer
      - .actual_access:  write_only
        .address_space:  global
        .offset:         96
        .size:           8
        .value_kind:     global_buffer
      - .actual_access:  write_only
        .address_space:  global
        .offset:         104
        .size:           8
        .value_kind:     global_buffer
      - .actual_access:  read_only
        .address_space:  global
        .offset:         112
        .size:           8
        .value_kind:     global_buffer
      - .offset:         120
        .size:           4
        .value_kind:     by_value
      - .address_space:  global
        .offset:         128
        .size:           8
        .value_kind:     global_buffer
      - .address_space:  global
        .offset:         136
        .size:           8
        .value_kind:     global_buffer
      - .offset:         144
        .size:           4
        .value_kind:     hidden_block_count_x
      - .offset:         148
        .size:           4
        .value_kind:     hidden_block_count_y
      - .offset:         152
        .size:           4
        .value_kind:     hidden_block_count_z
      - .offset:         156
        .size:           2
        .value_kind:     hidden_group_size_x
      - .offset:         158
        .size:           2
        .value_kind:     hidden_group_size_y
      - .offset:         160
        .size:           2
        .value_kind:     hidden_group_size_z
      - .offset:         162
        .size:           2
        .value_kind:     hidden_remainder_x
      - .offset:         164
        .size:           2
        .value_kind:     hidden_remainder_y
      - .offset:         166
        .size:           2
        .value_kind:     hidden_remainder_z
      - .offset:         184
        .size:           8
        .value_kind:     hidden_global_offset_x
      - .offset:         192
        .size:           8
        .value_kind:     hidden_global_offset_y
      - .offset:         200
        .size:           8
        .value_kind:     hidden_global_offset_z
      - .offset:         208
        .size:           2
        .value_kind:     hidden_grid_dims
    .group_segment_fixed_size: 17472
    .kernarg_segment_align: 8
    .kernarg_segment_size: 400
    .language:       OpenCL C
    .language_version:
      - 2
      - 0
    .max_flat_workgroup_size: 256
    .name:           _Z39paged_attention_ll4mi_QKV_mfma16_kernelIDF16_hLN4vllm18Fp8KVCacheDataTypeE1EDF16_Li32ELi64ELi256ELb0ELi1EL8MFMAType0EEvPKT_PKT0_S8_ifPKiSA_SA_iPKfiiiPfSD_PS3_PT2_iSC_SC_
    .private_segment_fixed_size: 0
    .sgpr_count:     52
    .sgpr_spill_count: 0
    .symbol:         _Z39paged_attention_ll4mi_QKV_mfma16_kernelIDF16_hLN4vllm18Fp8KVCacheDataTypeE1EDF16_Li32ELi64ELi256ELb0ELi1EL8MFMAType0EEvPKT_PKT0_S8_ifPKiSA_SA_iPKfiiiPfSD_PS3_PT2_iSC_SC_.kd
    .uniform_work_group_size: 1
    .uses_dynamic_stack: false
    .vgpr_count:     144
    .vgpr_spill_count: 0
    .wavefront_size: 32
    .workgroup_processor_mode: 1
  - .args:
      - .actual_access:  read_only
        .address_space:  global
        .offset:         0
        .size:           8
        .value_kind:     global_buffer
      - .actual_access:  read_only
        .address_space:  global
        .offset:         8
        .size:           8
        .value_kind:     global_buffer
      - .actual_access:  read_only
        .address_space:  global
        .offset:         16
        .size:           8
        .value_kind:     global_buffer
      - .offset:         24
        .size:           4
        .value_kind:     by_value
      - .offset:         28
        .size:           4
        .value_kind:     by_value
      - .actual_access:  read_only
        .address_space:  global
        .offset:         32
        .size:           8
        .value_kind:     global_buffer
      - .actual_access:  read_only
        .address_space:  global
        .offset:         40
        .size:           8
        .value_kind:     global_buffer
      - .actual_access:  read_only
        .address_space:  global
        .offset:         48
        .size:           8
        .value_kind:     global_buffer
      - .offset:         56
        .size:           4
        .value_kind:     by_value
      - .actual_access:  read_only
        .address_space:  global
        .offset:         64
        .size:           8
        .value_kind:     global_buffer
      - .offset:         72
        .size:           4
        .value_kind:     by_value
      - .offset:         76
        .size:           4
        .value_kind:     by_value
      - .offset:         80
        .size:           4
        .value_kind:     by_value
      - .actual_access:  write_only
        .address_space:  global
        .offset:         88
        .size:           8
        .value_kind:     global_buffer
      - .actual_access:  write_only
        .address_space:  global
        .offset:         96
        .size:           8
        .value_kind:     global_buffer
      - .actual_access:  write_only
        .address_space:  global
        .offset:         104
        .size:           8
        .value_kind:     global_buffer
      - .actual_access:  read_only
        .address_space:  global
        .offset:         112
        .size:           8
        .value_kind:     global_buffer
      - .offset:         120
        .size:           4
        .value_kind:     by_value
      - .address_space:  global
        .offset:         128
        .size:           8
        .value_kind:     global_buffer
      - .address_space:  global
        .offset:         136
        .size:           8
        .value_kind:     global_buffer
      - .offset:         144
        .size:           4
        .value_kind:     hidden_block_count_x
      - .offset:         148
        .size:           4
        .value_kind:     hidden_block_count_y
      - .offset:         152
        .size:           4
        .value_kind:     hidden_block_count_z
      - .offset:         156
        .size:           2
        .value_kind:     hidden_group_size_x
      - .offset:         158
        .size:           2
        .value_kind:     hidden_group_size_y
      - .offset:         160
        .size:           2
        .value_kind:     hidden_group_size_z
      - .offset:         162
        .size:           2
        .value_kind:     hidden_remainder_x
      - .offset:         164
        .size:           2
        .value_kind:     hidden_remainder_y
      - .offset:         166
        .size:           2
        .value_kind:     hidden_remainder_z
      - .offset:         184
        .size:           8
        .value_kind:     hidden_global_offset_x
      - .offset:         192
        .size:           8
        .value_kind:     hidden_global_offset_y
      - .offset:         200
        .size:           8
        .value_kind:     hidden_global_offset_z
      - .offset:         208
        .size:           2
        .value_kind:     hidden_grid_dims
    .group_segment_fixed_size: 17472
    .kernarg_segment_align: 8
    .kernarg_segment_size: 400
    .language:       OpenCL C
    .language_version:
      - 2
      - 0
    .max_flat_workgroup_size: 256
    .name:           _Z39paged_attention_ll4mi_QKV_mfma16_kernelIDF16_hLN4vllm18Fp8KVCacheDataTypeE1EDF16_Li32ELi64ELi256ELb0ELi2EL8MFMAType0EEvPKT_PKT0_S8_ifPKiSA_SA_iPKfiiiPfSD_PS3_PT2_iSC_SC_
    .private_segment_fixed_size: 0
    .sgpr_count:     40
    .sgpr_spill_count: 0
    .symbol:         _Z39paged_attention_ll4mi_QKV_mfma16_kernelIDF16_hLN4vllm18Fp8KVCacheDataTypeE1EDF16_Li32ELi64ELi256ELb0ELi2EL8MFMAType0EEvPKT_PKT0_S8_ifPKiSA_SA_iPKfiiiPfSD_PS3_PT2_iSC_SC_.kd
    .uniform_work_group_size: 1
    .uses_dynamic_stack: false
    .vgpr_count:     148
    .vgpr_spill_count: 0
    .wavefront_size: 32
    .workgroup_processor_mode: 1
  - .args:
      - .actual_access:  read_only
        .address_space:  global
        .offset:         0
        .size:           8
        .value_kind:     global_buffer
      - .actual_access:  read_only
        .address_space:  global
        .offset:         8
        .size:           8
        .value_kind:     global_buffer
      - .actual_access:  read_only
        .address_space:  global
        .offset:         16
        .size:           8
        .value_kind:     global_buffer
      - .offset:         24
        .size:           4
        .value_kind:     by_value
      - .offset:         28
        .size:           4
        .value_kind:     by_value
      - .actual_access:  read_only
        .address_space:  global
        .offset:         32
        .size:           8
        .value_kind:     global_buffer
      - .actual_access:  read_only
        .address_space:  global
        .offset:         40
        .size:           8
        .value_kind:     global_buffer
      - .actual_access:  read_only
        .address_space:  global
        .offset:         48
        .size:           8
        .value_kind:     global_buffer
      - .offset:         56
        .size:           4
        .value_kind:     by_value
      - .actual_access:  read_only
        .address_space:  global
        .offset:         64
        .size:           8
        .value_kind:     global_buffer
      - .offset:         72
        .size:           4
        .value_kind:     by_value
      - .offset:         76
        .size:           4
        .value_kind:     by_value
      - .offset:         80
        .size:           4
        .value_kind:     by_value
      - .actual_access:  write_only
        .address_space:  global
        .offset:         88
        .size:           8
        .value_kind:     global_buffer
      - .actual_access:  write_only
        .address_space:  global
        .offset:         96
        .size:           8
        .value_kind:     global_buffer
      - .actual_access:  write_only
        .address_space:  global
        .offset:         104
        .size:           8
        .value_kind:     global_buffer
      - .actual_access:  read_only
        .address_space:  global
        .offset:         112
        .size:           8
        .value_kind:     global_buffer
      - .offset:         120
        .size:           4
        .value_kind:     by_value
      - .address_space:  global
        .offset:         128
        .size:           8
        .value_kind:     global_buffer
      - .address_space:  global
        .offset:         136
        .size:           8
        .value_kind:     global_buffer
      - .offset:         144
        .size:           4
        .value_kind:     hidden_block_count_x
      - .offset:         148
        .size:           4
        .value_kind:     hidden_block_count_y
      - .offset:         152
        .size:           4
        .value_kind:     hidden_block_count_z
      - .offset:         156
        .size:           2
        .value_kind:     hidden_group_size_x
      - .offset:         158
        .size:           2
        .value_kind:     hidden_group_size_y
      - .offset:         160
        .size:           2
        .value_kind:     hidden_group_size_z
      - .offset:         162
        .size:           2
        .value_kind:     hidden_remainder_x
      - .offset:         164
        .size:           2
        .value_kind:     hidden_remainder_y
      - .offset:         166
        .size:           2
        .value_kind:     hidden_remainder_z
      - .offset:         184
        .size:           8
        .value_kind:     hidden_global_offset_x
      - .offset:         192
        .size:           8
        .value_kind:     hidden_global_offset_y
      - .offset:         200
        .size:           8
        .value_kind:     hidden_global_offset_z
      - .offset:         208
        .size:           2
        .value_kind:     hidden_grid_dims
    .group_segment_fixed_size: 17472
    .kernarg_segment_align: 8
    .kernarg_segment_size: 400
    .language:       OpenCL C
    .language_version:
      - 2
      - 0
    .max_flat_workgroup_size: 256
    .name:           _Z39paged_attention_ll4mi_QKV_mfma16_kernelIDF16_hLN4vllm18Fp8KVCacheDataTypeE1EDF16_Li32ELi64ELi256ELb0ELi3EL8MFMAType0EEvPKT_PKT0_S8_ifPKiSA_SA_iPKfiiiPfSD_PS3_PT2_iSC_SC_
    .private_segment_fixed_size: 0
    .sgpr_count:     39
    .sgpr_spill_count: 0
    .symbol:         _Z39paged_attention_ll4mi_QKV_mfma16_kernelIDF16_hLN4vllm18Fp8KVCacheDataTypeE1EDF16_Li32ELi64ELi256ELb0ELi3EL8MFMAType0EEvPKT_PKT0_S8_ifPKiSA_SA_iPKfiiiPfSD_PS3_PT2_iSC_SC_.kd
    .uniform_work_group_size: 1
    .uses_dynamic_stack: false
    .vgpr_count:     146
    .vgpr_spill_count: 0
    .wavefront_size: 32
    .workgroup_processor_mode: 1
  - .args:
      - .actual_access:  read_only
        .address_space:  global
        .offset:         0
        .size:           8
        .value_kind:     global_buffer
      - .actual_access:  read_only
        .address_space:  global
        .offset:         8
        .size:           8
        .value_kind:     global_buffer
      - .actual_access:  read_only
        .address_space:  global
        .offset:         16
        .size:           8
        .value_kind:     global_buffer
      - .offset:         24
        .size:           4
        .value_kind:     by_value
      - .offset:         28
        .size:           4
        .value_kind:     by_value
      - .actual_access:  read_only
        .address_space:  global
        .offset:         32
        .size:           8
        .value_kind:     global_buffer
      - .actual_access:  read_only
        .address_space:  global
        .offset:         40
        .size:           8
        .value_kind:     global_buffer
      - .actual_access:  read_only
        .address_space:  global
        .offset:         48
        .size:           8
        .value_kind:     global_buffer
      - .offset:         56
        .size:           4
        .value_kind:     by_value
      - .actual_access:  read_only
        .address_space:  global
        .offset:         64
        .size:           8
        .value_kind:     global_buffer
      - .offset:         72
        .size:           4
        .value_kind:     by_value
      - .offset:         76
        .size:           4
        .value_kind:     by_value
      - .offset:         80
        .size:           4
        .value_kind:     by_value
      - .actual_access:  write_only
        .address_space:  global
        .offset:         88
        .size:           8
        .value_kind:     global_buffer
      - .actual_access:  write_only
        .address_space:  global
        .offset:         96
        .size:           8
        .value_kind:     global_buffer
      - .actual_access:  write_only
        .address_space:  global
        .offset:         104
        .size:           8
        .value_kind:     global_buffer
      - .actual_access:  read_only
        .address_space:  global
        .offset:         112
        .size:           8
        .value_kind:     global_buffer
      - .offset:         120
        .size:           4
        .value_kind:     by_value
      - .address_space:  global
        .offset:         128
        .size:           8
        .value_kind:     global_buffer
      - .address_space:  global
        .offset:         136
        .size:           8
        .value_kind:     global_buffer
      - .offset:         144
        .size:           4
        .value_kind:     hidden_block_count_x
      - .offset:         148
        .size:           4
        .value_kind:     hidden_block_count_y
      - .offset:         152
        .size:           4
        .value_kind:     hidden_block_count_z
      - .offset:         156
        .size:           2
        .value_kind:     hidden_group_size_x
      - .offset:         158
        .size:           2
        .value_kind:     hidden_group_size_y
      - .offset:         160
        .size:           2
        .value_kind:     hidden_group_size_z
      - .offset:         162
        .size:           2
        .value_kind:     hidden_remainder_x
      - .offset:         164
        .size:           2
        .value_kind:     hidden_remainder_y
      - .offset:         166
        .size:           2
        .value_kind:     hidden_remainder_z
      - .offset:         184
        .size:           8
        .value_kind:     hidden_global_offset_x
      - .offset:         192
        .size:           8
        .value_kind:     hidden_global_offset_y
      - .offset:         200
        .size:           8
        .value_kind:     hidden_global_offset_z
      - .offset:         208
        .size:           2
        .value_kind:     hidden_grid_dims
    .group_segment_fixed_size: 17472
    .kernarg_segment_align: 8
    .kernarg_segment_size: 400
    .language:       OpenCL C
    .language_version:
      - 2
      - 0
    .max_flat_workgroup_size: 256
    .name:           _Z39paged_attention_ll4mi_QKV_mfma16_kernelIDF16_hLN4vllm18Fp8KVCacheDataTypeE1EDF16_Li32ELi64ELi256ELb0ELi4EL8MFMAType0EEvPKT_PKT0_S8_ifPKiSA_SA_iPKfiiiPfSD_PS3_PT2_iSC_SC_
    .private_segment_fixed_size: 0
    .sgpr_count:     44
    .sgpr_spill_count: 0
    .symbol:         _Z39paged_attention_ll4mi_QKV_mfma16_kernelIDF16_hLN4vllm18Fp8KVCacheDataTypeE1EDF16_Li32ELi64ELi256ELb0ELi4EL8MFMAType0EEvPKT_PKT0_S8_ifPKiSA_SA_iPKfiiiPfSD_PS3_PT2_iSC_SC_.kd
    .uniform_work_group_size: 1
    .uses_dynamic_stack: false
    .vgpr_count:     123
    .vgpr_spill_count: 0
    .wavefront_size: 32
    .workgroup_processor_mode: 1
  - .args:
      - .actual_access:  read_only
        .address_space:  global
        .offset:         0
        .size:           8
        .value_kind:     global_buffer
      - .actual_access:  read_only
        .address_space:  global
        .offset:         8
        .size:           8
        .value_kind:     global_buffer
      - .actual_access:  read_only
        .address_space:  global
        .offset:         16
        .size:           8
        .value_kind:     global_buffer
      - .offset:         24
        .size:           4
        .value_kind:     by_value
      - .offset:         28
        .size:           4
        .value_kind:     by_value
      - .actual_access:  read_only
        .address_space:  global
        .offset:         32
        .size:           8
        .value_kind:     global_buffer
      - .actual_access:  read_only
        .address_space:  global
        .offset:         40
        .size:           8
        .value_kind:     global_buffer
      - .actual_access:  read_only
        .address_space:  global
        .offset:         48
        .size:           8
        .value_kind:     global_buffer
      - .offset:         56
        .size:           4
        .value_kind:     by_value
      - .actual_access:  read_only
        .address_space:  global
        .offset:         64
        .size:           8
        .value_kind:     global_buffer
      - .offset:         72
        .size:           4
        .value_kind:     by_value
      - .offset:         76
        .size:           4
        .value_kind:     by_value
      - .offset:         80
        .size:           4
        .value_kind:     by_value
      - .actual_access:  write_only
        .address_space:  global
        .offset:         88
        .size:           8
        .value_kind:     global_buffer
      - .actual_access:  write_only
        .address_space:  global
        .offset:         96
        .size:           8
        .value_kind:     global_buffer
      - .actual_access:  write_only
        .address_space:  global
        .offset:         104
        .size:           8
        .value_kind:     global_buffer
      - .actual_access:  read_only
        .address_space:  global
        .offset:         112
        .size:           8
        .value_kind:     global_buffer
      - .offset:         120
        .size:           4
        .value_kind:     by_value
      - .address_space:  global
        .offset:         128
        .size:           8
        .value_kind:     global_buffer
      - .address_space:  global
        .offset:         136
        .size:           8
        .value_kind:     global_buffer
      - .offset:         144
        .size:           4
        .value_kind:     hidden_block_count_x
      - .offset:         148
        .size:           4
        .value_kind:     hidden_block_count_y
      - .offset:         152
        .size:           4
        .value_kind:     hidden_block_count_z
      - .offset:         156
        .size:           2
        .value_kind:     hidden_group_size_x
      - .offset:         158
        .size:           2
        .value_kind:     hidden_group_size_y
      - .offset:         160
        .size:           2
        .value_kind:     hidden_group_size_z
      - .offset:         162
        .size:           2
        .value_kind:     hidden_remainder_x
      - .offset:         164
        .size:           2
        .value_kind:     hidden_remainder_y
      - .offset:         166
        .size:           2
        .value_kind:     hidden_remainder_z
      - .offset:         184
        .size:           8
        .value_kind:     hidden_global_offset_x
      - .offset:         192
        .size:           8
        .value_kind:     hidden_global_offset_y
      - .offset:         200
        .size:           8
        .value_kind:     hidden_global_offset_z
      - .offset:         208
        .size:           2
        .value_kind:     hidden_grid_dims
    .group_segment_fixed_size: 17472
    .kernarg_segment_align: 8
    .kernarg_segment_size: 400
    .language:       OpenCL C
    .language_version:
      - 2
      - 0
    .max_flat_workgroup_size: 256
    .name:           _Z39paged_attention_ll4mi_QKV_mfma16_kernelIDF16_hLN4vllm18Fp8KVCacheDataTypeE1EhLi16ELi128ELi256ELb1ELi5EL8MFMAType0EEvPKT_PKT0_S8_ifPKiSA_SA_iPKfiiiPfSD_PS3_PT2_iSC_SC_
    .private_segment_fixed_size: 0
    .sgpr_count:     38
    .sgpr_spill_count: 0
    .symbol:         _Z39paged_attention_ll4mi_QKV_mfma16_kernelIDF16_hLN4vllm18Fp8KVCacheDataTypeE1EhLi16ELi128ELi256ELb1ELi5EL8MFMAType0EEvPKT_PKT0_S8_ifPKiSA_SA_iPKfiiiPfSD_PS3_PT2_iSC_SC_.kd
    .uniform_work_group_size: 1
    .uses_dynamic_stack: false
    .vgpr_count:     150
    .vgpr_spill_count: 0
    .wavefront_size: 32
    .workgroup_processor_mode: 1
  - .args:
      - .actual_access:  read_only
        .address_space:  global
        .offset:         0
        .size:           8
        .value_kind:     global_buffer
      - .actual_access:  read_only
        .address_space:  global
        .offset:         8
        .size:           8
        .value_kind:     global_buffer
      - .actual_access:  read_only
        .address_space:  global
        .offset:         16
        .size:           8
        .value_kind:     global_buffer
      - .offset:         24
        .size:           4
        .value_kind:     by_value
      - .offset:         28
        .size:           4
        .value_kind:     by_value
      - .actual_access:  read_only
        .address_space:  global
        .offset:         32
        .size:           8
        .value_kind:     global_buffer
      - .actual_access:  read_only
        .address_space:  global
        .offset:         40
        .size:           8
        .value_kind:     global_buffer
      - .actual_access:  read_only
        .address_space:  global
        .offset:         48
        .size:           8
        .value_kind:     global_buffer
      - .offset:         56
        .size:           4
        .value_kind:     by_value
      - .actual_access:  read_only
        .address_space:  global
        .offset:         64
        .size:           8
        .value_kind:     global_buffer
      - .offset:         72
        .size:           4
        .value_kind:     by_value
      - .offset:         76
        .size:           4
        .value_kind:     by_value
      - .offset:         80
        .size:           4
        .value_kind:     by_value
      - .actual_access:  write_only
        .address_space:  global
        .offset:         88
        .size:           8
        .value_kind:     global_buffer
      - .actual_access:  write_only
        .address_space:  global
        .offset:         96
        .size:           8
        .value_kind:     global_buffer
      - .actual_access:  write_only
        .address_space:  global
        .offset:         104
        .size:           8
        .value_kind:     global_buffer
      - .actual_access:  read_only
        .address_space:  global
        .offset:         112
        .size:           8
        .value_kind:     global_buffer
      - .offset:         120
        .size:           4
        .value_kind:     by_value
      - .address_space:  global
        .offset:         128
        .size:           8
        .value_kind:     global_buffer
      - .address_space:  global
        .offset:         136
        .size:           8
        .value_kind:     global_buffer
      - .offset:         144
        .size:           4
        .value_kind:     hidden_block_count_x
      - .offset:         148
        .size:           4
        .value_kind:     hidden_block_count_y
      - .offset:         152
        .size:           4
        .value_kind:     hidden_block_count_z
      - .offset:         156
        .size:           2
        .value_kind:     hidden_group_size_x
      - .offset:         158
        .size:           2
        .value_kind:     hidden_group_size_y
      - .offset:         160
        .size:           2
        .value_kind:     hidden_group_size_z
      - .offset:         162
        .size:           2
        .value_kind:     hidden_remainder_x
      - .offset:         164
        .size:           2
        .value_kind:     hidden_remainder_y
      - .offset:         166
        .size:           2
        .value_kind:     hidden_remainder_z
      - .offset:         184
        .size:           8
        .value_kind:     hidden_global_offset_x
      - .offset:         192
        .size:           8
        .value_kind:     hidden_global_offset_y
      - .offset:         200
        .size:           8
        .value_kind:     hidden_global_offset_z
      - .offset:         208
        .size:           2
        .value_kind:     hidden_grid_dims
    .group_segment_fixed_size: 17472
    .kernarg_segment_align: 8
    .kernarg_segment_size: 400
    .language:       OpenCL C
    .language_version:
      - 2
      - 0
    .max_flat_workgroup_size: 256
    .name:           _Z39paged_attention_ll4mi_QKV_mfma16_kernelIDF16_hLN4vllm18Fp8KVCacheDataTypeE1EhLi16ELi128ELi256ELb1ELi6EL8MFMAType0EEvPKT_PKT0_S8_ifPKiSA_SA_iPKfiiiPfSD_PS3_PT2_iSC_SC_
    .private_segment_fixed_size: 0
    .sgpr_count:     38
    .sgpr_spill_count: 0
    .symbol:         _Z39paged_attention_ll4mi_QKV_mfma16_kernelIDF16_hLN4vllm18Fp8KVCacheDataTypeE1EhLi16ELi128ELi256ELb1ELi6EL8MFMAType0EEvPKT_PKT0_S8_ifPKiSA_SA_iPKfiiiPfSD_PS3_PT2_iSC_SC_.kd
    .uniform_work_group_size: 1
    .uses_dynamic_stack: false
    .vgpr_count:     150
    .vgpr_spill_count: 0
    .wavefront_size: 32
    .workgroup_processor_mode: 1
  - .args:
      - .actual_access:  read_only
        .address_space:  global
        .offset:         0
        .size:           8
        .value_kind:     global_buffer
      - .actual_access:  read_only
        .address_space:  global
        .offset:         8
        .size:           8
        .value_kind:     global_buffer
      - .actual_access:  read_only
        .address_space:  global
        .offset:         16
        .size:           8
        .value_kind:     global_buffer
      - .offset:         24
        .size:           4
        .value_kind:     by_value
      - .offset:         28
        .size:           4
        .value_kind:     by_value
      - .actual_access:  read_only
        .address_space:  global
        .offset:         32
        .size:           8
        .value_kind:     global_buffer
      - .actual_access:  read_only
        .address_space:  global
        .offset:         40
        .size:           8
        .value_kind:     global_buffer
      - .actual_access:  read_only
        .address_space:  global
        .offset:         48
        .size:           8
        .value_kind:     global_buffer
      - .offset:         56
        .size:           4
        .value_kind:     by_value
      - .actual_access:  read_only
        .address_space:  global
        .offset:         64
        .size:           8
        .value_kind:     global_buffer
      - .offset:         72
        .size:           4
        .value_kind:     by_value
      - .offset:         76
        .size:           4
        .value_kind:     by_value
      - .offset:         80
        .size:           4
        .value_kind:     by_value
      - .actual_access:  write_only
        .address_space:  global
        .offset:         88
        .size:           8
        .value_kind:     global_buffer
      - .actual_access:  write_only
        .address_space:  global
        .offset:         96
        .size:           8
        .value_kind:     global_buffer
      - .actual_access:  write_only
        .address_space:  global
        .offset:         104
        .size:           8
        .value_kind:     global_buffer
      - .actual_access:  read_only
        .address_space:  global
        .offset:         112
        .size:           8
        .value_kind:     global_buffer
      - .offset:         120
        .size:           4
        .value_kind:     by_value
      - .address_space:  global
        .offset:         128
        .size:           8
        .value_kind:     global_buffer
      - .address_space:  global
        .offset:         136
        .size:           8
        .value_kind:     global_buffer
      - .offset:         144
        .size:           4
        .value_kind:     hidden_block_count_x
      - .offset:         148
        .size:           4
        .value_kind:     hidden_block_count_y
      - .offset:         152
        .size:           4
        .value_kind:     hidden_block_count_z
      - .offset:         156
        .size:           2
        .value_kind:     hidden_group_size_x
      - .offset:         158
        .size:           2
        .value_kind:     hidden_group_size_y
      - .offset:         160
        .size:           2
        .value_kind:     hidden_group_size_z
      - .offset:         162
        .size:           2
        .value_kind:     hidden_remainder_x
      - .offset:         164
        .size:           2
        .value_kind:     hidden_remainder_y
      - .offset:         166
        .size:           2
        .value_kind:     hidden_remainder_z
      - .offset:         184
        .size:           8
        .value_kind:     hidden_global_offset_x
      - .offset:         192
        .size:           8
        .value_kind:     hidden_global_offset_y
      - .offset:         200
        .size:           8
        .value_kind:     hidden_global_offset_z
      - .offset:         208
        .size:           2
        .value_kind:     hidden_grid_dims
    .group_segment_fixed_size: 17472
    .kernarg_segment_align: 8
    .kernarg_segment_size: 400
    .language:       OpenCL C
    .language_version:
      - 2
      - 0
    .max_flat_workgroup_size: 256
    .name:           _Z39paged_attention_ll4mi_QKV_mfma16_kernelIDF16_hLN4vllm18Fp8KVCacheDataTypeE1EhLi16ELi128ELi256ELb1ELi7EL8MFMAType0EEvPKT_PKT0_S8_ifPKiSA_SA_iPKfiiiPfSD_PS3_PT2_iSC_SC_
    .private_segment_fixed_size: 0
    .sgpr_count:     38
    .sgpr_spill_count: 0
    .symbol:         _Z39paged_attention_ll4mi_QKV_mfma16_kernelIDF16_hLN4vllm18Fp8KVCacheDataTypeE1EhLi16ELi128ELi256ELb1ELi7EL8MFMAType0EEvPKT_PKT0_S8_ifPKiSA_SA_iPKfiiiPfSD_PS3_PT2_iSC_SC_.kd
    .uniform_work_group_size: 1
    .uses_dynamic_stack: false
    .vgpr_count:     150
    .vgpr_spill_count: 0
    .wavefront_size: 32
    .workgroup_processor_mode: 1
  - .args:
      - .actual_access:  read_only
        .address_space:  global
        .offset:         0
        .size:           8
        .value_kind:     global_buffer
      - .actual_access:  read_only
        .address_space:  global
        .offset:         8
        .size:           8
        .value_kind:     global_buffer
      - .actual_access:  read_only
        .address_space:  global
        .offset:         16
        .size:           8
        .value_kind:     global_buffer
      - .offset:         24
        .size:           4
        .value_kind:     by_value
      - .offset:         28
        .size:           4
        .value_kind:     by_value
      - .actual_access:  read_only
        .address_space:  global
        .offset:         32
        .size:           8
        .value_kind:     global_buffer
      - .actual_access:  read_only
        .address_space:  global
        .offset:         40
        .size:           8
        .value_kind:     global_buffer
      - .actual_access:  read_only
        .address_space:  global
        .offset:         48
        .size:           8
        .value_kind:     global_buffer
      - .offset:         56
        .size:           4
        .value_kind:     by_value
      - .actual_access:  read_only
        .address_space:  global
        .offset:         64
        .size:           8
        .value_kind:     global_buffer
      - .offset:         72
        .size:           4
        .value_kind:     by_value
      - .offset:         76
        .size:           4
        .value_kind:     by_value
      - .offset:         80
        .size:           4
        .value_kind:     by_value
      - .actual_access:  write_only
        .address_space:  global
        .offset:         88
        .size:           8
        .value_kind:     global_buffer
      - .actual_access:  write_only
        .address_space:  global
        .offset:         96
        .size:           8
        .value_kind:     global_buffer
      - .actual_access:  write_only
        .address_space:  global
        .offset:         104
        .size:           8
        .value_kind:     global_buffer
      - .actual_access:  read_only
        .address_space:  global
        .offset:         112
        .size:           8
        .value_kind:     global_buffer
      - .offset:         120
        .size:           4
        .value_kind:     by_value
      - .address_space:  global
        .offset:         128
        .size:           8
        .value_kind:     global_buffer
      - .address_space:  global
        .offset:         136
        .size:           8
        .value_kind:     global_buffer
      - .offset:         144
        .size:           4
        .value_kind:     hidden_block_count_x
      - .offset:         148
        .size:           4
        .value_kind:     hidden_block_count_y
      - .offset:         152
        .size:           4
        .value_kind:     hidden_block_count_z
      - .offset:         156
        .size:           2
        .value_kind:     hidden_group_size_x
      - .offset:         158
        .size:           2
        .value_kind:     hidden_group_size_y
      - .offset:         160
        .size:           2
        .value_kind:     hidden_group_size_z
      - .offset:         162
        .size:           2
        .value_kind:     hidden_remainder_x
      - .offset:         164
        .size:           2
        .value_kind:     hidden_remainder_y
      - .offset:         166
        .size:           2
        .value_kind:     hidden_remainder_z
      - .offset:         184
        .size:           8
        .value_kind:     hidden_global_offset_x
      - .offset:         192
        .size:           8
        .value_kind:     hidden_global_offset_y
      - .offset:         200
        .size:           8
        .value_kind:     hidden_global_offset_z
      - .offset:         208
        .size:           2
        .value_kind:     hidden_grid_dims
    .group_segment_fixed_size: 17472
    .kernarg_segment_align: 8
    .kernarg_segment_size: 400
    .language:       OpenCL C
    .language_version:
      - 2
      - 0
    .max_flat_workgroup_size: 256
    .name:           _Z39paged_attention_ll4mi_QKV_mfma16_kernelIDF16_hLN4vllm18Fp8KVCacheDataTypeE1EhLi16ELi128ELi256ELb1ELi8EL8MFMAType0EEvPKT_PKT0_S8_ifPKiSA_SA_iPKfiiiPfSD_PS3_PT2_iSC_SC_
    .private_segment_fixed_size: 0
    .sgpr_count:     38
    .sgpr_spill_count: 0
    .symbol:         _Z39paged_attention_ll4mi_QKV_mfma16_kernelIDF16_hLN4vllm18Fp8KVCacheDataTypeE1EhLi16ELi128ELi256ELb1ELi8EL8MFMAType0EEvPKT_PKT0_S8_ifPKiSA_SA_iPKfiiiPfSD_PS3_PT2_iSC_SC_.kd
    .uniform_work_group_size: 1
    .uses_dynamic_stack: false
    .vgpr_count:     140
    .vgpr_spill_count: 0
    .wavefront_size: 32
    .workgroup_processor_mode: 1
  - .args:
      - .actual_access:  read_only
        .address_space:  global
        .offset:         0
        .size:           8
        .value_kind:     global_buffer
      - .actual_access:  read_only
        .address_space:  global
        .offset:         8
        .size:           8
        .value_kind:     global_buffer
      - .actual_access:  read_only
        .address_space:  global
        .offset:         16
        .size:           8
        .value_kind:     global_buffer
      - .offset:         24
        .size:           4
        .value_kind:     by_value
      - .offset:         28
        .size:           4
        .value_kind:     by_value
      - .actual_access:  read_only
        .address_space:  global
        .offset:         32
        .size:           8
        .value_kind:     global_buffer
      - .actual_access:  read_only
        .address_space:  global
        .offset:         40
        .size:           8
        .value_kind:     global_buffer
      - .actual_access:  read_only
        .address_space:  global
        .offset:         48
        .size:           8
        .value_kind:     global_buffer
      - .offset:         56
        .size:           4
        .value_kind:     by_value
      - .actual_access:  read_only
        .address_space:  global
        .offset:         64
        .size:           8
        .value_kind:     global_buffer
      - .offset:         72
        .size:           4
        .value_kind:     by_value
      - .offset:         76
        .size:           4
        .value_kind:     by_value
      - .offset:         80
        .size:           4
        .value_kind:     by_value
      - .actual_access:  write_only
        .address_space:  global
        .offset:         88
        .size:           8
        .value_kind:     global_buffer
      - .actual_access:  write_only
        .address_space:  global
        .offset:         96
        .size:           8
        .value_kind:     global_buffer
      - .actual_access:  write_only
        .address_space:  global
        .offset:         104
        .size:           8
        .value_kind:     global_buffer
      - .actual_access:  read_only
        .address_space:  global
        .offset:         112
        .size:           8
        .value_kind:     global_buffer
      - .offset:         120
        .size:           4
        .value_kind:     by_value
      - .address_space:  global
        .offset:         128
        .size:           8
        .value_kind:     global_buffer
      - .address_space:  global
        .offset:         136
        .size:           8
        .value_kind:     global_buffer
      - .offset:         144
        .size:           4
        .value_kind:     hidden_block_count_x
      - .offset:         148
        .size:           4
        .value_kind:     hidden_block_count_y
      - .offset:         152
        .size:           4
        .value_kind:     hidden_block_count_z
      - .offset:         156
        .size:           2
        .value_kind:     hidden_group_size_x
      - .offset:         158
        .size:           2
        .value_kind:     hidden_group_size_y
      - .offset:         160
        .size:           2
        .value_kind:     hidden_group_size_z
      - .offset:         162
        .size:           2
        .value_kind:     hidden_remainder_x
      - .offset:         164
        .size:           2
        .value_kind:     hidden_remainder_y
      - .offset:         166
        .size:           2
        .value_kind:     hidden_remainder_z
      - .offset:         184
        .size:           8
        .value_kind:     hidden_global_offset_x
      - .offset:         192
        .size:           8
        .value_kind:     hidden_global_offset_y
      - .offset:         200
        .size:           8
        .value_kind:     hidden_global_offset_z
      - .offset:         208
        .size:           2
        .value_kind:     hidden_grid_dims
    .group_segment_fixed_size: 17472
    .kernarg_segment_align: 8
    .kernarg_segment_size: 400
    .language:       OpenCL C
    .language_version:
      - 2
      - 0
    .max_flat_workgroup_size: 256
    .name:           _Z39paged_attention_ll4mi_QKV_mfma16_kernelIDF16_hLN4vllm18Fp8KVCacheDataTypeE1EhLi16ELi128ELi256ELb1ELi9EL8MFMAType0EEvPKT_PKT0_S8_ifPKiSA_SA_iPKfiiiPfSD_PS3_PT2_iSC_SC_
    .private_segment_fixed_size: 0
    .sgpr_count:     38
    .sgpr_spill_count: 0
    .symbol:         _Z39paged_attention_ll4mi_QKV_mfma16_kernelIDF16_hLN4vllm18Fp8KVCacheDataTypeE1EhLi16ELi128ELi256ELb1ELi9EL8MFMAType0EEvPKT_PKT0_S8_ifPKiSA_SA_iPKfiiiPfSD_PS3_PT2_iSC_SC_.kd
    .uniform_work_group_size: 1
    .uses_dynamic_stack: false
    .vgpr_count:     150
    .vgpr_spill_count: 0
    .wavefront_size: 32
    .workgroup_processor_mode: 1
  - .args:
      - .actual_access:  read_only
        .address_space:  global
        .offset:         0
        .size:           8
        .value_kind:     global_buffer
      - .actual_access:  read_only
        .address_space:  global
        .offset:         8
        .size:           8
        .value_kind:     global_buffer
      - .actual_access:  read_only
        .address_space:  global
        .offset:         16
        .size:           8
        .value_kind:     global_buffer
      - .offset:         24
        .size:           4
        .value_kind:     by_value
      - .offset:         28
        .size:           4
        .value_kind:     by_value
      - .actual_access:  read_only
        .address_space:  global
        .offset:         32
        .size:           8
        .value_kind:     global_buffer
      - .actual_access:  read_only
        .address_space:  global
        .offset:         40
        .size:           8
        .value_kind:     global_buffer
      - .actual_access:  read_only
        .address_space:  global
        .offset:         48
        .size:           8
        .value_kind:     global_buffer
      - .offset:         56
        .size:           4
        .value_kind:     by_value
      - .actual_access:  read_only
        .address_space:  global
        .offset:         64
        .size:           8
        .value_kind:     global_buffer
      - .offset:         72
        .size:           4
        .value_kind:     by_value
      - .offset:         76
        .size:           4
        .value_kind:     by_value
      - .offset:         80
        .size:           4
        .value_kind:     by_value
      - .actual_access:  write_only
        .address_space:  global
        .offset:         88
        .size:           8
        .value_kind:     global_buffer
      - .actual_access:  write_only
        .address_space:  global
        .offset:         96
        .size:           8
        .value_kind:     global_buffer
      - .actual_access:  write_only
        .address_space:  global
        .offset:         104
        .size:           8
        .value_kind:     global_buffer
      - .actual_access:  read_only
        .address_space:  global
        .offset:         112
        .size:           8
        .value_kind:     global_buffer
      - .offset:         120
        .size:           4
        .value_kind:     by_value
      - .address_space:  global
        .offset:         128
        .size:           8
        .value_kind:     global_buffer
      - .address_space:  global
        .offset:         136
        .size:           8
        .value_kind:     global_buffer
      - .offset:         144
        .size:           4
        .value_kind:     hidden_block_count_x
      - .offset:         148
        .size:           4
        .value_kind:     hidden_block_count_y
      - .offset:         152
        .size:           4
        .value_kind:     hidden_block_count_z
      - .offset:         156
        .size:           2
        .value_kind:     hidden_group_size_x
      - .offset:         158
        .size:           2
        .value_kind:     hidden_group_size_y
      - .offset:         160
        .size:           2
        .value_kind:     hidden_group_size_z
      - .offset:         162
        .size:           2
        .value_kind:     hidden_remainder_x
      - .offset:         164
        .size:           2
        .value_kind:     hidden_remainder_y
      - .offset:         166
        .size:           2
        .value_kind:     hidden_remainder_z
      - .offset:         184
        .size:           8
        .value_kind:     hidden_global_offset_x
      - .offset:         192
        .size:           8
        .value_kind:     hidden_global_offset_y
      - .offset:         200
        .size:           8
        .value_kind:     hidden_global_offset_z
      - .offset:         208
        .size:           2
        .value_kind:     hidden_grid_dims
    .group_segment_fixed_size: 17472
    .kernarg_segment_align: 8
    .kernarg_segment_size: 400
    .language:       OpenCL C
    .language_version:
      - 2
      - 0
    .max_flat_workgroup_size: 256
    .name:           _Z39paged_attention_ll4mi_QKV_mfma16_kernelIDF16_hLN4vllm18Fp8KVCacheDataTypeE1EhLi16ELi128ELi256ELb1ELi10EL8MFMAType0EEvPKT_PKT0_S8_ifPKiSA_SA_iPKfiiiPfSD_PS3_PT2_iSC_SC_
    .private_segment_fixed_size: 0
    .sgpr_count:     38
    .sgpr_spill_count: 0
    .symbol:         _Z39paged_attention_ll4mi_QKV_mfma16_kernelIDF16_hLN4vllm18Fp8KVCacheDataTypeE1EhLi16ELi128ELi256ELb1ELi10EL8MFMAType0EEvPKT_PKT0_S8_ifPKiSA_SA_iPKfiiiPfSD_PS3_PT2_iSC_SC_.kd
    .uniform_work_group_size: 1
    .uses_dynamic_stack: false
    .vgpr_count:     150
    .vgpr_spill_count: 0
    .wavefront_size: 32
    .workgroup_processor_mode: 1
  - .args:
      - .actual_access:  read_only
        .address_space:  global
        .offset:         0
        .size:           8
        .value_kind:     global_buffer
      - .actual_access:  read_only
        .address_space:  global
        .offset:         8
        .size:           8
        .value_kind:     global_buffer
      - .actual_access:  read_only
        .address_space:  global
        .offset:         16
        .size:           8
        .value_kind:     global_buffer
      - .offset:         24
        .size:           4
        .value_kind:     by_value
      - .offset:         28
        .size:           4
        .value_kind:     by_value
      - .actual_access:  read_only
        .address_space:  global
        .offset:         32
        .size:           8
        .value_kind:     global_buffer
      - .actual_access:  read_only
        .address_space:  global
        .offset:         40
        .size:           8
        .value_kind:     global_buffer
      - .actual_access:  read_only
        .address_space:  global
        .offset:         48
        .size:           8
        .value_kind:     global_buffer
      - .offset:         56
        .size:           4
        .value_kind:     by_value
      - .actual_access:  read_only
        .address_space:  global
        .offset:         64
        .size:           8
        .value_kind:     global_buffer
      - .offset:         72
        .size:           4
        .value_kind:     by_value
      - .offset:         76
        .size:           4
        .value_kind:     by_value
      - .offset:         80
        .size:           4
        .value_kind:     by_value
      - .actual_access:  write_only
        .address_space:  global
        .offset:         88
        .size:           8
        .value_kind:     global_buffer
      - .actual_access:  write_only
        .address_space:  global
        .offset:         96
        .size:           8
        .value_kind:     global_buffer
      - .actual_access:  write_only
        .address_space:  global
        .offset:         104
        .size:           8
        .value_kind:     global_buffer
      - .actual_access:  read_only
        .address_space:  global
        .offset:         112
        .size:           8
        .value_kind:     global_buffer
      - .offset:         120
        .size:           4
        .value_kind:     by_value
      - .address_space:  global
        .offset:         128
        .size:           8
        .value_kind:     global_buffer
      - .address_space:  global
        .offset:         136
        .size:           8
        .value_kind:     global_buffer
      - .offset:         144
        .size:           4
        .value_kind:     hidden_block_count_x
      - .offset:         148
        .size:           4
        .value_kind:     hidden_block_count_y
      - .offset:         152
        .size:           4
        .value_kind:     hidden_block_count_z
      - .offset:         156
        .size:           2
        .value_kind:     hidden_group_size_x
      - .offset:         158
        .size:           2
        .value_kind:     hidden_group_size_y
      - .offset:         160
        .size:           2
        .value_kind:     hidden_group_size_z
      - .offset:         162
        .size:           2
        .value_kind:     hidden_remainder_x
      - .offset:         164
        .size:           2
        .value_kind:     hidden_remainder_y
      - .offset:         166
        .size:           2
        .value_kind:     hidden_remainder_z
      - .offset:         184
        .size:           8
        .value_kind:     hidden_global_offset_x
      - .offset:         192
        .size:           8
        .value_kind:     hidden_global_offset_y
      - .offset:         200
        .size:           8
        .value_kind:     hidden_global_offset_z
      - .offset:         208
        .size:           2
        .value_kind:     hidden_grid_dims
    .group_segment_fixed_size: 17472
    .kernarg_segment_align: 8
    .kernarg_segment_size: 400
    .language:       OpenCL C
    .language_version:
      - 2
      - 0
    .max_flat_workgroup_size: 256
    .name:           _Z39paged_attention_ll4mi_QKV_mfma16_kernelIDF16_hLN4vllm18Fp8KVCacheDataTypeE1EhLi16ELi128ELi256ELb1ELi11EL8MFMAType0EEvPKT_PKT0_S8_ifPKiSA_SA_iPKfiiiPfSD_PS3_PT2_iSC_SC_
    .private_segment_fixed_size: 0
    .sgpr_count:     38
    .sgpr_spill_count: 0
    .symbol:         _Z39paged_attention_ll4mi_QKV_mfma16_kernelIDF16_hLN4vllm18Fp8KVCacheDataTypeE1EhLi16ELi128ELi256ELb1ELi11EL8MFMAType0EEvPKT_PKT0_S8_ifPKiSA_SA_iPKfiiiPfSD_PS3_PT2_iSC_SC_.kd
    .uniform_work_group_size: 1
    .uses_dynamic_stack: false
    .vgpr_count:     150
    .vgpr_spill_count: 0
    .wavefront_size: 32
    .workgroup_processor_mode: 1
  - .args:
      - .actual_access:  read_only
        .address_space:  global
        .offset:         0
        .size:           8
        .value_kind:     global_buffer
      - .actual_access:  read_only
        .address_space:  global
        .offset:         8
        .size:           8
        .value_kind:     global_buffer
      - .actual_access:  read_only
        .address_space:  global
        .offset:         16
        .size:           8
        .value_kind:     global_buffer
      - .offset:         24
        .size:           4
        .value_kind:     by_value
      - .offset:         28
        .size:           4
        .value_kind:     by_value
      - .actual_access:  read_only
        .address_space:  global
        .offset:         32
        .size:           8
        .value_kind:     global_buffer
      - .actual_access:  read_only
        .address_space:  global
        .offset:         40
        .size:           8
        .value_kind:     global_buffer
      - .actual_access:  read_only
        .address_space:  global
        .offset:         48
        .size:           8
        .value_kind:     global_buffer
      - .offset:         56
        .size:           4
        .value_kind:     by_value
      - .actual_access:  read_only
        .address_space:  global
        .offset:         64
        .size:           8
        .value_kind:     global_buffer
      - .offset:         72
        .size:           4
        .value_kind:     by_value
      - .offset:         76
        .size:           4
        .value_kind:     by_value
      - .offset:         80
        .size:           4
        .value_kind:     by_value
      - .actual_access:  write_only
        .address_space:  global
        .offset:         88
        .size:           8
        .value_kind:     global_buffer
      - .actual_access:  write_only
        .address_space:  global
        .offset:         96
        .size:           8
        .value_kind:     global_buffer
      - .actual_access:  write_only
        .address_space:  global
        .offset:         104
        .size:           8
        .value_kind:     global_buffer
      - .actual_access:  read_only
        .address_space:  global
        .offset:         112
        .size:           8
        .value_kind:     global_buffer
      - .offset:         120
        .size:           4
        .value_kind:     by_value
      - .address_space:  global
        .offset:         128
        .size:           8
        .value_kind:     global_buffer
      - .address_space:  global
        .offset:         136
        .size:           8
        .value_kind:     global_buffer
      - .offset:         144
        .size:           4
        .value_kind:     hidden_block_count_x
      - .offset:         148
        .size:           4
        .value_kind:     hidden_block_count_y
      - .offset:         152
        .size:           4
        .value_kind:     hidden_block_count_z
      - .offset:         156
        .size:           2
        .value_kind:     hidden_group_size_x
      - .offset:         158
        .size:           2
        .value_kind:     hidden_group_size_y
      - .offset:         160
        .size:           2
        .value_kind:     hidden_group_size_z
      - .offset:         162
        .size:           2
        .value_kind:     hidden_remainder_x
      - .offset:         164
        .size:           2
        .value_kind:     hidden_remainder_y
      - .offset:         166
        .size:           2
        .value_kind:     hidden_remainder_z
      - .offset:         184
        .size:           8
        .value_kind:     hidden_global_offset_x
      - .offset:         192
        .size:           8
        .value_kind:     hidden_global_offset_y
      - .offset:         200
        .size:           8
        .value_kind:     hidden_global_offset_z
      - .offset:         208
        .size:           2
        .value_kind:     hidden_grid_dims
    .group_segment_fixed_size: 17472
    .kernarg_segment_align: 8
    .kernarg_segment_size: 400
    .language:       OpenCL C
    .language_version:
      - 2
      - 0
    .max_flat_workgroup_size: 256
    .name:           _Z39paged_attention_ll4mi_QKV_mfma16_kernelIDF16_hLN4vllm18Fp8KVCacheDataTypeE1EhLi16ELi128ELi256ELb1ELi12EL8MFMAType0EEvPKT_PKT0_S8_ifPKiSA_SA_iPKfiiiPfSD_PS3_PT2_iSC_SC_
    .private_segment_fixed_size: 0
    .sgpr_count:     38
    .sgpr_spill_count: 0
    .symbol:         _Z39paged_attention_ll4mi_QKV_mfma16_kernelIDF16_hLN4vllm18Fp8KVCacheDataTypeE1EhLi16ELi128ELi256ELb1ELi12EL8MFMAType0EEvPKT_PKT0_S8_ifPKiSA_SA_iPKfiiiPfSD_PS3_PT2_iSC_SC_.kd
    .uniform_work_group_size: 1
    .uses_dynamic_stack: false
    .vgpr_count:     150
    .vgpr_spill_count: 0
    .wavefront_size: 32
    .workgroup_processor_mode: 1
  - .args:
      - .actual_access:  read_only
        .address_space:  global
        .offset:         0
        .size:           8
        .value_kind:     global_buffer
      - .actual_access:  read_only
        .address_space:  global
        .offset:         8
        .size:           8
        .value_kind:     global_buffer
      - .actual_access:  read_only
        .address_space:  global
        .offset:         16
        .size:           8
        .value_kind:     global_buffer
      - .offset:         24
        .size:           4
        .value_kind:     by_value
      - .offset:         28
        .size:           4
        .value_kind:     by_value
      - .actual_access:  read_only
        .address_space:  global
        .offset:         32
        .size:           8
        .value_kind:     global_buffer
      - .actual_access:  read_only
        .address_space:  global
        .offset:         40
        .size:           8
        .value_kind:     global_buffer
      - .actual_access:  read_only
        .address_space:  global
        .offset:         48
        .size:           8
        .value_kind:     global_buffer
      - .offset:         56
        .size:           4
        .value_kind:     by_value
      - .actual_access:  read_only
        .address_space:  global
        .offset:         64
        .size:           8
        .value_kind:     global_buffer
      - .offset:         72
        .size:           4
        .value_kind:     by_value
      - .offset:         76
        .size:           4
        .value_kind:     by_value
      - .offset:         80
        .size:           4
        .value_kind:     by_value
      - .actual_access:  write_only
        .address_space:  global
        .offset:         88
        .size:           8
        .value_kind:     global_buffer
      - .actual_access:  write_only
        .address_space:  global
        .offset:         96
        .size:           8
        .value_kind:     global_buffer
      - .actual_access:  write_only
        .address_space:  global
        .offset:         104
        .size:           8
        .value_kind:     global_buffer
      - .actual_access:  read_only
        .address_space:  global
        .offset:         112
        .size:           8
        .value_kind:     global_buffer
      - .offset:         120
        .size:           4
        .value_kind:     by_value
      - .address_space:  global
        .offset:         128
        .size:           8
        .value_kind:     global_buffer
      - .address_space:  global
        .offset:         136
        .size:           8
        .value_kind:     global_buffer
      - .offset:         144
        .size:           4
        .value_kind:     hidden_block_count_x
      - .offset:         148
        .size:           4
        .value_kind:     hidden_block_count_y
      - .offset:         152
        .size:           4
        .value_kind:     hidden_block_count_z
      - .offset:         156
        .size:           2
        .value_kind:     hidden_group_size_x
      - .offset:         158
        .size:           2
        .value_kind:     hidden_group_size_y
      - .offset:         160
        .size:           2
        .value_kind:     hidden_group_size_z
      - .offset:         162
        .size:           2
        .value_kind:     hidden_remainder_x
      - .offset:         164
        .size:           2
        .value_kind:     hidden_remainder_y
      - .offset:         166
        .size:           2
        .value_kind:     hidden_remainder_z
      - .offset:         184
        .size:           8
        .value_kind:     hidden_global_offset_x
      - .offset:         192
        .size:           8
        .value_kind:     hidden_global_offset_y
      - .offset:         200
        .size:           8
        .value_kind:     hidden_global_offset_z
      - .offset:         208
        .size:           2
        .value_kind:     hidden_grid_dims
    .group_segment_fixed_size: 17472
    .kernarg_segment_align: 8
    .kernarg_segment_size: 400
    .language:       OpenCL C
    .language_version:
      - 2
      - 0
    .max_flat_workgroup_size: 256
    .name:           _Z39paged_attention_ll4mi_QKV_mfma16_kernelIDF16_hLN4vllm18Fp8KVCacheDataTypeE1EhLi16ELi128ELi256ELb1ELi13EL8MFMAType0EEvPKT_PKT0_S8_ifPKiSA_SA_iPKfiiiPfSD_PS3_PT2_iSC_SC_
    .private_segment_fixed_size: 0
    .sgpr_count:     38
    .sgpr_spill_count: 0
    .symbol:         _Z39paged_attention_ll4mi_QKV_mfma16_kernelIDF16_hLN4vllm18Fp8KVCacheDataTypeE1EhLi16ELi128ELi256ELb1ELi13EL8MFMAType0EEvPKT_PKT0_S8_ifPKiSA_SA_iPKfiiiPfSD_PS3_PT2_iSC_SC_.kd
    .uniform_work_group_size: 1
    .uses_dynamic_stack: false
    .vgpr_count:     150
    .vgpr_spill_count: 0
    .wavefront_size: 32
    .workgroup_processor_mode: 1
  - .args:
      - .actual_access:  read_only
        .address_space:  global
        .offset:         0
        .size:           8
        .value_kind:     global_buffer
      - .actual_access:  read_only
        .address_space:  global
        .offset:         8
        .size:           8
        .value_kind:     global_buffer
      - .actual_access:  read_only
        .address_space:  global
        .offset:         16
        .size:           8
        .value_kind:     global_buffer
      - .offset:         24
        .size:           4
        .value_kind:     by_value
      - .offset:         28
        .size:           4
        .value_kind:     by_value
      - .actual_access:  read_only
        .address_space:  global
        .offset:         32
        .size:           8
        .value_kind:     global_buffer
      - .actual_access:  read_only
        .address_space:  global
        .offset:         40
        .size:           8
        .value_kind:     global_buffer
      - .actual_access:  read_only
        .address_space:  global
        .offset:         48
        .size:           8
        .value_kind:     global_buffer
      - .offset:         56
        .size:           4
        .value_kind:     by_value
      - .actual_access:  read_only
        .address_space:  global
        .offset:         64
        .size:           8
        .value_kind:     global_buffer
      - .offset:         72
        .size:           4
        .value_kind:     by_value
      - .offset:         76
        .size:           4
        .value_kind:     by_value
      - .offset:         80
        .size:           4
        .value_kind:     by_value
      - .actual_access:  write_only
        .address_space:  global
        .offset:         88
        .size:           8
        .value_kind:     global_buffer
      - .actual_access:  write_only
        .address_space:  global
        .offset:         96
        .size:           8
        .value_kind:     global_buffer
      - .actual_access:  write_only
        .address_space:  global
        .offset:         104
        .size:           8
        .value_kind:     global_buffer
      - .actual_access:  read_only
        .address_space:  global
        .offset:         112
        .size:           8
        .value_kind:     global_buffer
      - .offset:         120
        .size:           4
        .value_kind:     by_value
      - .address_space:  global
        .offset:         128
        .size:           8
        .value_kind:     global_buffer
      - .address_space:  global
        .offset:         136
        .size:           8
        .value_kind:     global_buffer
      - .offset:         144
        .size:           4
        .value_kind:     hidden_block_count_x
      - .offset:         148
        .size:           4
        .value_kind:     hidden_block_count_y
      - .offset:         152
        .size:           4
        .value_kind:     hidden_block_count_z
      - .offset:         156
        .size:           2
        .value_kind:     hidden_group_size_x
      - .offset:         158
        .size:           2
        .value_kind:     hidden_group_size_y
      - .offset:         160
        .size:           2
        .value_kind:     hidden_group_size_z
      - .offset:         162
        .size:           2
        .value_kind:     hidden_remainder_x
      - .offset:         164
        .size:           2
        .value_kind:     hidden_remainder_y
      - .offset:         166
        .size:           2
        .value_kind:     hidden_remainder_z
      - .offset:         184
        .size:           8
        .value_kind:     hidden_global_offset_x
      - .offset:         192
        .size:           8
        .value_kind:     hidden_global_offset_y
      - .offset:         200
        .size:           8
        .value_kind:     hidden_global_offset_z
      - .offset:         208
        .size:           2
        .value_kind:     hidden_grid_dims
    .group_segment_fixed_size: 17472
    .kernarg_segment_align: 8
    .kernarg_segment_size: 400
    .language:       OpenCL C
    .language_version:
      - 2
      - 0
    .max_flat_workgroup_size: 256
    .name:           _Z39paged_attention_ll4mi_QKV_mfma16_kernelIDF16_hLN4vllm18Fp8KVCacheDataTypeE1EhLi16ELi128ELi256ELb1ELi14EL8MFMAType0EEvPKT_PKT0_S8_ifPKiSA_SA_iPKfiiiPfSD_PS3_PT2_iSC_SC_
    .private_segment_fixed_size: 0
    .sgpr_count:     38
    .sgpr_spill_count: 0
    .symbol:         _Z39paged_attention_ll4mi_QKV_mfma16_kernelIDF16_hLN4vllm18Fp8KVCacheDataTypeE1EhLi16ELi128ELi256ELb1ELi14EL8MFMAType0EEvPKT_PKT0_S8_ifPKiSA_SA_iPKfiiiPfSD_PS3_PT2_iSC_SC_.kd
    .uniform_work_group_size: 1
    .uses_dynamic_stack: false
    .vgpr_count:     150
    .vgpr_spill_count: 0
    .wavefront_size: 32
    .workgroup_processor_mode: 1
  - .args:
      - .actual_access:  read_only
        .address_space:  global
        .offset:         0
        .size:           8
        .value_kind:     global_buffer
      - .actual_access:  read_only
        .address_space:  global
        .offset:         8
        .size:           8
        .value_kind:     global_buffer
      - .actual_access:  read_only
        .address_space:  global
        .offset:         16
        .size:           8
        .value_kind:     global_buffer
      - .offset:         24
        .size:           4
        .value_kind:     by_value
      - .offset:         28
        .size:           4
        .value_kind:     by_value
      - .actual_access:  read_only
        .address_space:  global
        .offset:         32
        .size:           8
        .value_kind:     global_buffer
      - .actual_access:  read_only
        .address_space:  global
        .offset:         40
        .size:           8
        .value_kind:     global_buffer
      - .actual_access:  read_only
        .address_space:  global
        .offset:         48
        .size:           8
        .value_kind:     global_buffer
      - .offset:         56
        .size:           4
        .value_kind:     by_value
      - .actual_access:  read_only
        .address_space:  global
        .offset:         64
        .size:           8
        .value_kind:     global_buffer
      - .offset:         72
        .size:           4
        .value_kind:     by_value
      - .offset:         76
        .size:           4
        .value_kind:     by_value
      - .offset:         80
        .size:           4
        .value_kind:     by_value
      - .actual_access:  write_only
        .address_space:  global
        .offset:         88
        .size:           8
        .value_kind:     global_buffer
      - .actual_access:  write_only
        .address_space:  global
        .offset:         96
        .size:           8
        .value_kind:     global_buffer
      - .actual_access:  write_only
        .address_space:  global
        .offset:         104
        .size:           8
        .value_kind:     global_buffer
      - .actual_access:  read_only
        .address_space:  global
        .offset:         112
        .size:           8
        .value_kind:     global_buffer
      - .offset:         120
        .size:           4
        .value_kind:     by_value
      - .address_space:  global
        .offset:         128
        .size:           8
        .value_kind:     global_buffer
      - .address_space:  global
        .offset:         136
        .size:           8
        .value_kind:     global_buffer
      - .offset:         144
        .size:           4
        .value_kind:     hidden_block_count_x
      - .offset:         148
        .size:           4
        .value_kind:     hidden_block_count_y
      - .offset:         152
        .size:           4
        .value_kind:     hidden_block_count_z
      - .offset:         156
        .size:           2
        .value_kind:     hidden_group_size_x
      - .offset:         158
        .size:           2
        .value_kind:     hidden_group_size_y
      - .offset:         160
        .size:           2
        .value_kind:     hidden_group_size_z
      - .offset:         162
        .size:           2
        .value_kind:     hidden_remainder_x
      - .offset:         164
        .size:           2
        .value_kind:     hidden_remainder_y
      - .offset:         166
        .size:           2
        .value_kind:     hidden_remainder_z
      - .offset:         184
        .size:           8
        .value_kind:     hidden_global_offset_x
      - .offset:         192
        .size:           8
        .value_kind:     hidden_global_offset_y
      - .offset:         200
        .size:           8
        .value_kind:     hidden_global_offset_z
      - .offset:         208
        .size:           2
        .value_kind:     hidden_grid_dims
    .group_segment_fixed_size: 17472
    .kernarg_segment_align: 8
    .kernarg_segment_size: 400
    .language:       OpenCL C
    .language_version:
      - 2
      - 0
    .max_flat_workgroup_size: 256
    .name:           _Z39paged_attention_ll4mi_QKV_mfma16_kernelIDF16_hLN4vllm18Fp8KVCacheDataTypeE1EhLi16ELi128ELi256ELb1ELi15EL8MFMAType0EEvPKT_PKT0_S8_ifPKiSA_SA_iPKfiiiPfSD_PS3_PT2_iSC_SC_
    .private_segment_fixed_size: 0
    .sgpr_count:     38
    .sgpr_spill_count: 0
    .symbol:         _Z39paged_attention_ll4mi_QKV_mfma16_kernelIDF16_hLN4vllm18Fp8KVCacheDataTypeE1EhLi16ELi128ELi256ELb1ELi15EL8MFMAType0EEvPKT_PKT0_S8_ifPKiSA_SA_iPKfiiiPfSD_PS3_PT2_iSC_SC_.kd
    .uniform_work_group_size: 1
    .uses_dynamic_stack: false
    .vgpr_count:     150
    .vgpr_spill_count: 0
    .wavefront_size: 32
    .workgroup_processor_mode: 1
  - .args:
      - .actual_access:  read_only
        .address_space:  global
        .offset:         0
        .size:           8
        .value_kind:     global_buffer
      - .actual_access:  read_only
        .address_space:  global
        .offset:         8
        .size:           8
        .value_kind:     global_buffer
      - .actual_access:  read_only
        .address_space:  global
        .offset:         16
        .size:           8
        .value_kind:     global_buffer
      - .offset:         24
        .size:           4
        .value_kind:     by_value
      - .offset:         28
        .size:           4
        .value_kind:     by_value
      - .actual_access:  read_only
        .address_space:  global
        .offset:         32
        .size:           8
        .value_kind:     global_buffer
      - .actual_access:  read_only
        .address_space:  global
        .offset:         40
        .size:           8
        .value_kind:     global_buffer
      - .actual_access:  read_only
        .address_space:  global
        .offset:         48
        .size:           8
        .value_kind:     global_buffer
      - .offset:         56
        .size:           4
        .value_kind:     by_value
      - .actual_access:  read_only
        .address_space:  global
        .offset:         64
        .size:           8
        .value_kind:     global_buffer
      - .offset:         72
        .size:           4
        .value_kind:     by_value
      - .offset:         76
        .size:           4
        .value_kind:     by_value
      - .offset:         80
        .size:           4
        .value_kind:     by_value
      - .actual_access:  write_only
        .address_space:  global
        .offset:         88
        .size:           8
        .value_kind:     global_buffer
      - .actual_access:  write_only
        .address_space:  global
        .offset:         96
        .size:           8
        .value_kind:     global_buffer
      - .actual_access:  write_only
        .address_space:  global
        .offset:         104
        .size:           8
        .value_kind:     global_buffer
      - .actual_access:  read_only
        .address_space:  global
        .offset:         112
        .size:           8
        .value_kind:     global_buffer
      - .offset:         120
        .size:           4
        .value_kind:     by_value
      - .address_space:  global
        .offset:         128
        .size:           8
        .value_kind:     global_buffer
      - .address_space:  global
        .offset:         136
        .size:           8
        .value_kind:     global_buffer
      - .offset:         144
        .size:           4
        .value_kind:     hidden_block_count_x
      - .offset:         148
        .size:           4
        .value_kind:     hidden_block_count_y
      - .offset:         152
        .size:           4
        .value_kind:     hidden_block_count_z
      - .offset:         156
        .size:           2
        .value_kind:     hidden_group_size_x
      - .offset:         158
        .size:           2
        .value_kind:     hidden_group_size_y
      - .offset:         160
        .size:           2
        .value_kind:     hidden_group_size_z
      - .offset:         162
        .size:           2
        .value_kind:     hidden_remainder_x
      - .offset:         164
        .size:           2
        .value_kind:     hidden_remainder_y
      - .offset:         166
        .size:           2
        .value_kind:     hidden_remainder_z
      - .offset:         184
        .size:           8
        .value_kind:     hidden_global_offset_x
      - .offset:         192
        .size:           8
        .value_kind:     hidden_global_offset_y
      - .offset:         200
        .size:           8
        .value_kind:     hidden_global_offset_z
      - .offset:         208
        .size:           2
        .value_kind:     hidden_grid_dims
    .group_segment_fixed_size: 17472
    .kernarg_segment_align: 8
    .kernarg_segment_size: 400
    .language:       OpenCL C
    .language_version:
      - 2
      - 0
    .max_flat_workgroup_size: 256
    .name:           _Z39paged_attention_ll4mi_QKV_mfma16_kernelIDF16_hLN4vllm18Fp8KVCacheDataTypeE1EhLi16ELi128ELi256ELb1ELi16EL8MFMAType0EEvPKT_PKT0_S8_ifPKiSA_SA_iPKfiiiPfSD_PS3_PT2_iSC_SC_
    .private_segment_fixed_size: 0
    .sgpr_count:     37
    .sgpr_spill_count: 0
    .symbol:         _Z39paged_attention_ll4mi_QKV_mfma16_kernelIDF16_hLN4vllm18Fp8KVCacheDataTypeE1EhLi16ELi128ELi256ELb1ELi16EL8MFMAType0EEvPKT_PKT0_S8_ifPKiSA_SA_iPKfiiiPfSD_PS3_PT2_iSC_SC_.kd
    .uniform_work_group_size: 1
    .uses_dynamic_stack: false
    .vgpr_count:     140
    .vgpr_spill_count: 0
    .wavefront_size: 32
    .workgroup_processor_mode: 1
  - .args:
      - .actual_access:  read_only
        .address_space:  global
        .offset:         0
        .size:           8
        .value_kind:     global_buffer
      - .actual_access:  read_only
        .address_space:  global
        .offset:         8
        .size:           8
        .value_kind:     global_buffer
      - .actual_access:  read_only
        .address_space:  global
        .offset:         16
        .size:           8
        .value_kind:     global_buffer
      - .offset:         24
        .size:           4
        .value_kind:     by_value
      - .offset:         28
        .size:           4
        .value_kind:     by_value
      - .actual_access:  read_only
        .address_space:  global
        .offset:         32
        .size:           8
        .value_kind:     global_buffer
      - .actual_access:  read_only
        .address_space:  global
        .offset:         40
        .size:           8
        .value_kind:     global_buffer
      - .actual_access:  read_only
        .address_space:  global
        .offset:         48
        .size:           8
        .value_kind:     global_buffer
      - .offset:         56
        .size:           4
        .value_kind:     by_value
      - .actual_access:  read_only
        .address_space:  global
        .offset:         64
        .size:           8
        .value_kind:     global_buffer
      - .offset:         72
        .size:           4
        .value_kind:     by_value
      - .offset:         76
        .size:           4
        .value_kind:     by_value
      - .offset:         80
        .size:           4
        .value_kind:     by_value
      - .actual_access:  write_only
        .address_space:  global
        .offset:         88
        .size:           8
        .value_kind:     global_buffer
      - .actual_access:  write_only
        .address_space:  global
        .offset:         96
        .size:           8
        .value_kind:     global_buffer
      - .actual_access:  write_only
        .address_space:  global
        .offset:         104
        .size:           8
        .value_kind:     global_buffer
      - .actual_access:  read_only
        .address_space:  global
        .offset:         112
        .size:           8
        .value_kind:     global_buffer
      - .offset:         120
        .size:           4
        .value_kind:     by_value
      - .address_space:  global
        .offset:         128
        .size:           8
        .value_kind:     global_buffer
      - .address_space:  global
        .offset:         136
        .size:           8
        .value_kind:     global_buffer
      - .offset:         144
        .size:           4
        .value_kind:     hidden_block_count_x
      - .offset:         148
        .size:           4
        .value_kind:     hidden_block_count_y
      - .offset:         152
        .size:           4
        .value_kind:     hidden_block_count_z
      - .offset:         156
        .size:           2
        .value_kind:     hidden_group_size_x
      - .offset:         158
        .size:           2
        .value_kind:     hidden_group_size_y
      - .offset:         160
        .size:           2
        .value_kind:     hidden_group_size_z
      - .offset:         162
        .size:           2
        .value_kind:     hidden_remainder_x
      - .offset:         164
        .size:           2
        .value_kind:     hidden_remainder_y
      - .offset:         166
        .size:           2
        .value_kind:     hidden_remainder_z
      - .offset:         184
        .size:           8
        .value_kind:     hidden_global_offset_x
      - .offset:         192
        .size:           8
        .value_kind:     hidden_global_offset_y
      - .offset:         200
        .size:           8
        .value_kind:     hidden_global_offset_z
      - .offset:         208
        .size:           2
        .value_kind:     hidden_grid_dims
    .group_segment_fixed_size: 17472
    .kernarg_segment_align: 8
    .kernarg_segment_size: 400
    .language:       OpenCL C
    .language_version:
      - 2
      - 0
    .max_flat_workgroup_size: 256
    .name:           _Z39paged_attention_ll4mi_QKV_mfma16_kernelIDF16_hLN4vllm18Fp8KVCacheDataTypeE1EhLi16ELi128ELi256ELb1ELi1EL8MFMAType0EEvPKT_PKT0_S8_ifPKiSA_SA_iPKfiiiPfSD_PS3_PT2_iSC_SC_
    .private_segment_fixed_size: 0
    .sgpr_count:     68
    .sgpr_spill_count: 0
    .symbol:         _Z39paged_attention_ll4mi_QKV_mfma16_kernelIDF16_hLN4vllm18Fp8KVCacheDataTypeE1EhLi16ELi128ELi256ELb1ELi1EL8MFMAType0EEvPKT_PKT0_S8_ifPKiSA_SA_iPKfiiiPfSD_PS3_PT2_iSC_SC_.kd
    .uniform_work_group_size: 1
    .uses_dynamic_stack: false
    .vgpr_count:     134
    .vgpr_spill_count: 0
    .wavefront_size: 32
    .workgroup_processor_mode: 1
  - .args:
      - .actual_access:  read_only
        .address_space:  global
        .offset:         0
        .size:           8
        .value_kind:     global_buffer
      - .actual_access:  read_only
        .address_space:  global
        .offset:         8
        .size:           8
        .value_kind:     global_buffer
      - .actual_access:  read_only
        .address_space:  global
        .offset:         16
        .size:           8
        .value_kind:     global_buffer
      - .offset:         24
        .size:           4
        .value_kind:     by_value
      - .offset:         28
        .size:           4
        .value_kind:     by_value
      - .actual_access:  read_only
        .address_space:  global
        .offset:         32
        .size:           8
        .value_kind:     global_buffer
      - .actual_access:  read_only
        .address_space:  global
        .offset:         40
        .size:           8
        .value_kind:     global_buffer
      - .actual_access:  read_only
        .address_space:  global
        .offset:         48
        .size:           8
        .value_kind:     global_buffer
      - .offset:         56
        .size:           4
        .value_kind:     by_value
      - .actual_access:  read_only
        .address_space:  global
        .offset:         64
        .size:           8
        .value_kind:     global_buffer
      - .offset:         72
        .size:           4
        .value_kind:     by_value
      - .offset:         76
        .size:           4
        .value_kind:     by_value
      - .offset:         80
        .size:           4
        .value_kind:     by_value
      - .actual_access:  write_only
        .address_space:  global
        .offset:         88
        .size:           8
        .value_kind:     global_buffer
      - .actual_access:  write_only
        .address_space:  global
        .offset:         96
        .size:           8
        .value_kind:     global_buffer
      - .actual_access:  write_only
        .address_space:  global
        .offset:         104
        .size:           8
        .value_kind:     global_buffer
      - .actual_access:  read_only
        .address_space:  global
        .offset:         112
        .size:           8
        .value_kind:     global_buffer
      - .offset:         120
        .size:           4
        .value_kind:     by_value
      - .address_space:  global
        .offset:         128
        .size:           8
        .value_kind:     global_buffer
      - .address_space:  global
        .offset:         136
        .size:           8
        .value_kind:     global_buffer
      - .offset:         144
        .size:           4
        .value_kind:     hidden_block_count_x
      - .offset:         148
        .size:           4
        .value_kind:     hidden_block_count_y
      - .offset:         152
        .size:           4
        .value_kind:     hidden_block_count_z
      - .offset:         156
        .size:           2
        .value_kind:     hidden_group_size_x
      - .offset:         158
        .size:           2
        .value_kind:     hidden_group_size_y
      - .offset:         160
        .size:           2
        .value_kind:     hidden_group_size_z
      - .offset:         162
        .size:           2
        .value_kind:     hidden_remainder_x
      - .offset:         164
        .size:           2
        .value_kind:     hidden_remainder_y
      - .offset:         166
        .size:           2
        .value_kind:     hidden_remainder_z
      - .offset:         184
        .size:           8
        .value_kind:     hidden_global_offset_x
      - .offset:         192
        .size:           8
        .value_kind:     hidden_global_offset_y
      - .offset:         200
        .size:           8
        .value_kind:     hidden_global_offset_z
      - .offset:         208
        .size:           2
        .value_kind:     hidden_grid_dims
    .group_segment_fixed_size: 17472
    .kernarg_segment_align: 8
    .kernarg_segment_size: 400
    .language:       OpenCL C
    .language_version:
      - 2
      - 0
    .max_flat_workgroup_size: 256
    .name:           _Z39paged_attention_ll4mi_QKV_mfma16_kernelIDF16_hLN4vllm18Fp8KVCacheDataTypeE1EhLi16ELi128ELi256ELb1ELi2EL8MFMAType0EEvPKT_PKT0_S8_ifPKiSA_SA_iPKfiiiPfSD_PS3_PT2_iSC_SC_
    .private_segment_fixed_size: 0
    .sgpr_count:     39
    .sgpr_spill_count: 0
    .symbol:         _Z39paged_attention_ll4mi_QKV_mfma16_kernelIDF16_hLN4vllm18Fp8KVCacheDataTypeE1EhLi16ELi128ELi256ELb1ELi2EL8MFMAType0EEvPKT_PKT0_S8_ifPKiSA_SA_iPKfiiiPfSD_PS3_PT2_iSC_SC_.kd
    .uniform_work_group_size: 1
    .uses_dynamic_stack: false
    .vgpr_count:     146
    .vgpr_spill_count: 0
    .wavefront_size: 32
    .workgroup_processor_mode: 1
  - .args:
      - .actual_access:  read_only
        .address_space:  global
        .offset:         0
        .size:           8
        .value_kind:     global_buffer
      - .actual_access:  read_only
        .address_space:  global
        .offset:         8
        .size:           8
        .value_kind:     global_buffer
      - .actual_access:  read_only
        .address_space:  global
        .offset:         16
        .size:           8
        .value_kind:     global_buffer
      - .offset:         24
        .size:           4
        .value_kind:     by_value
      - .offset:         28
        .size:           4
        .value_kind:     by_value
      - .actual_access:  read_only
        .address_space:  global
        .offset:         32
        .size:           8
        .value_kind:     global_buffer
      - .actual_access:  read_only
        .address_space:  global
        .offset:         40
        .size:           8
        .value_kind:     global_buffer
      - .actual_access:  read_only
        .address_space:  global
        .offset:         48
        .size:           8
        .value_kind:     global_buffer
      - .offset:         56
        .size:           4
        .value_kind:     by_value
      - .actual_access:  read_only
        .address_space:  global
        .offset:         64
        .size:           8
        .value_kind:     global_buffer
      - .offset:         72
        .size:           4
        .value_kind:     by_value
      - .offset:         76
        .size:           4
        .value_kind:     by_value
      - .offset:         80
        .size:           4
        .value_kind:     by_value
      - .actual_access:  write_only
        .address_space:  global
        .offset:         88
        .size:           8
        .value_kind:     global_buffer
      - .actual_access:  write_only
        .address_space:  global
        .offset:         96
        .size:           8
        .value_kind:     global_buffer
      - .actual_access:  write_only
        .address_space:  global
        .offset:         104
        .size:           8
        .value_kind:     global_buffer
      - .actual_access:  read_only
        .address_space:  global
        .offset:         112
        .size:           8
        .value_kind:     global_buffer
      - .offset:         120
        .size:           4
        .value_kind:     by_value
      - .address_space:  global
        .offset:         128
        .size:           8
        .value_kind:     global_buffer
      - .address_space:  global
        .offset:         136
        .size:           8
        .value_kind:     global_buffer
      - .offset:         144
        .size:           4
        .value_kind:     hidden_block_count_x
      - .offset:         148
        .size:           4
        .value_kind:     hidden_block_count_y
      - .offset:         152
        .size:           4
        .value_kind:     hidden_block_count_z
      - .offset:         156
        .size:           2
        .value_kind:     hidden_group_size_x
      - .offset:         158
        .size:           2
        .value_kind:     hidden_group_size_y
      - .offset:         160
        .size:           2
        .value_kind:     hidden_group_size_z
      - .offset:         162
        .size:           2
        .value_kind:     hidden_remainder_x
      - .offset:         164
        .size:           2
        .value_kind:     hidden_remainder_y
      - .offset:         166
        .size:           2
        .value_kind:     hidden_remainder_z
      - .offset:         184
        .size:           8
        .value_kind:     hidden_global_offset_x
      - .offset:         192
        .size:           8
        .value_kind:     hidden_global_offset_y
      - .offset:         200
        .size:           8
        .value_kind:     hidden_global_offset_z
      - .offset:         208
        .size:           2
        .value_kind:     hidden_grid_dims
    .group_segment_fixed_size: 17472
    .kernarg_segment_align: 8
    .kernarg_segment_size: 400
    .language:       OpenCL C
    .language_version:
      - 2
      - 0
    .max_flat_workgroup_size: 256
    .name:           _Z39paged_attention_ll4mi_QKV_mfma16_kernelIDF16_hLN4vllm18Fp8KVCacheDataTypeE1EhLi16ELi128ELi256ELb1ELi3EL8MFMAType0EEvPKT_PKT0_S8_ifPKiSA_SA_iPKfiiiPfSD_PS3_PT2_iSC_SC_
    .private_segment_fixed_size: 0
    .sgpr_count:     38
    .sgpr_spill_count: 0
    .symbol:         _Z39paged_attention_ll4mi_QKV_mfma16_kernelIDF16_hLN4vllm18Fp8KVCacheDataTypeE1EhLi16ELi128ELi256ELb1ELi3EL8MFMAType0EEvPKT_PKT0_S8_ifPKiSA_SA_iPKfiiiPfSD_PS3_PT2_iSC_SC_.kd
    .uniform_work_group_size: 1
    .uses_dynamic_stack: false
    .vgpr_count:     150
    .vgpr_spill_count: 0
    .wavefront_size: 32
    .workgroup_processor_mode: 1
  - .args:
      - .actual_access:  read_only
        .address_space:  global
        .offset:         0
        .size:           8
        .value_kind:     global_buffer
      - .actual_access:  read_only
        .address_space:  global
        .offset:         8
        .size:           8
        .value_kind:     global_buffer
      - .actual_access:  read_only
        .address_space:  global
        .offset:         16
        .size:           8
        .value_kind:     global_buffer
      - .offset:         24
        .size:           4
        .value_kind:     by_value
      - .offset:         28
        .size:           4
        .value_kind:     by_value
      - .actual_access:  read_only
        .address_space:  global
        .offset:         32
        .size:           8
        .value_kind:     global_buffer
      - .actual_access:  read_only
        .address_space:  global
        .offset:         40
        .size:           8
        .value_kind:     global_buffer
      - .actual_access:  read_only
        .address_space:  global
        .offset:         48
        .size:           8
        .value_kind:     global_buffer
      - .offset:         56
        .size:           4
        .value_kind:     by_value
      - .actual_access:  read_only
        .address_space:  global
        .offset:         64
        .size:           8
        .value_kind:     global_buffer
      - .offset:         72
        .size:           4
        .value_kind:     by_value
      - .offset:         76
        .size:           4
        .value_kind:     by_value
      - .offset:         80
        .size:           4
        .value_kind:     by_value
      - .actual_access:  write_only
        .address_space:  global
        .offset:         88
        .size:           8
        .value_kind:     global_buffer
      - .actual_access:  write_only
        .address_space:  global
        .offset:         96
        .size:           8
        .value_kind:     global_buffer
      - .actual_access:  write_only
        .address_space:  global
        .offset:         104
        .size:           8
        .value_kind:     global_buffer
      - .actual_access:  read_only
        .address_space:  global
        .offset:         112
        .size:           8
        .value_kind:     global_buffer
      - .offset:         120
        .size:           4
        .value_kind:     by_value
      - .address_space:  global
        .offset:         128
        .size:           8
        .value_kind:     global_buffer
      - .address_space:  global
        .offset:         136
        .size:           8
        .value_kind:     global_buffer
      - .offset:         144
        .size:           4
        .value_kind:     hidden_block_count_x
      - .offset:         148
        .size:           4
        .value_kind:     hidden_block_count_y
      - .offset:         152
        .size:           4
        .value_kind:     hidden_block_count_z
      - .offset:         156
        .size:           2
        .value_kind:     hidden_group_size_x
      - .offset:         158
        .size:           2
        .value_kind:     hidden_group_size_y
      - .offset:         160
        .size:           2
        .value_kind:     hidden_group_size_z
      - .offset:         162
        .size:           2
        .value_kind:     hidden_remainder_x
      - .offset:         164
        .size:           2
        .value_kind:     hidden_remainder_y
      - .offset:         166
        .size:           2
        .value_kind:     hidden_remainder_z
      - .offset:         184
        .size:           8
        .value_kind:     hidden_global_offset_x
      - .offset:         192
        .size:           8
        .value_kind:     hidden_global_offset_y
      - .offset:         200
        .size:           8
        .value_kind:     hidden_global_offset_z
      - .offset:         208
        .size:           2
        .value_kind:     hidden_grid_dims
    .group_segment_fixed_size: 17472
    .kernarg_segment_align: 8
    .kernarg_segment_size: 400
    .language:       OpenCL C
    .language_version:
      - 2
      - 0
    .max_flat_workgroup_size: 256
    .name:           _Z39paged_attention_ll4mi_QKV_mfma16_kernelIDF16_hLN4vllm18Fp8KVCacheDataTypeE1EhLi16ELi128ELi256ELb1ELi4EL8MFMAType0EEvPKT_PKT0_S8_ifPKiSA_SA_iPKfiiiPfSD_PS3_PT2_iSC_SC_
    .private_segment_fixed_size: 0
    .sgpr_count:     38
    .sgpr_spill_count: 0
    .symbol:         _Z39paged_attention_ll4mi_QKV_mfma16_kernelIDF16_hLN4vllm18Fp8KVCacheDataTypeE1EhLi16ELi128ELi256ELb1ELi4EL8MFMAType0EEvPKT_PKT0_S8_ifPKiSA_SA_iPKfiiiPfSD_PS3_PT2_iSC_SC_.kd
    .uniform_work_group_size: 1
    .uses_dynamic_stack: false
    .vgpr_count:     140
    .vgpr_spill_count: 0
    .wavefront_size: 32
    .workgroup_processor_mode: 1
  - .args:
      - .actual_access:  read_only
        .address_space:  global
        .offset:         0
        .size:           8
        .value_kind:     global_buffer
      - .actual_access:  read_only
        .address_space:  global
        .offset:         8
        .size:           8
        .value_kind:     global_buffer
      - .actual_access:  read_only
        .address_space:  global
        .offset:         16
        .size:           8
        .value_kind:     global_buffer
      - .offset:         24
        .size:           4
        .value_kind:     by_value
      - .offset:         28
        .size:           4
        .value_kind:     by_value
      - .actual_access:  read_only
        .address_space:  global
        .offset:         32
        .size:           8
        .value_kind:     global_buffer
      - .actual_access:  read_only
        .address_space:  global
        .offset:         40
        .size:           8
        .value_kind:     global_buffer
      - .actual_access:  read_only
        .address_space:  global
        .offset:         48
        .size:           8
        .value_kind:     global_buffer
      - .offset:         56
        .size:           4
        .value_kind:     by_value
      - .actual_access:  read_only
        .address_space:  global
        .offset:         64
        .size:           8
        .value_kind:     global_buffer
      - .offset:         72
        .size:           4
        .value_kind:     by_value
      - .offset:         76
        .size:           4
        .value_kind:     by_value
      - .offset:         80
        .size:           4
        .value_kind:     by_value
      - .actual_access:  write_only
        .address_space:  global
        .offset:         88
        .size:           8
        .value_kind:     global_buffer
      - .actual_access:  write_only
        .address_space:  global
        .offset:         96
        .size:           8
        .value_kind:     global_buffer
      - .actual_access:  write_only
        .address_space:  global
        .offset:         104
        .size:           8
        .value_kind:     global_buffer
      - .actual_access:  read_only
        .address_space:  global
        .offset:         112
        .size:           8
        .value_kind:     global_buffer
      - .offset:         120
        .size:           4
        .value_kind:     by_value
      - .address_space:  global
        .offset:         128
        .size:           8
        .value_kind:     global_buffer
      - .address_space:  global
        .offset:         136
        .size:           8
        .value_kind:     global_buffer
      - .offset:         144
        .size:           4
        .value_kind:     hidden_block_count_x
      - .offset:         148
        .size:           4
        .value_kind:     hidden_block_count_y
      - .offset:         152
        .size:           4
        .value_kind:     hidden_block_count_z
      - .offset:         156
        .size:           2
        .value_kind:     hidden_group_size_x
      - .offset:         158
        .size:           2
        .value_kind:     hidden_group_size_y
      - .offset:         160
        .size:           2
        .value_kind:     hidden_group_size_z
      - .offset:         162
        .size:           2
        .value_kind:     hidden_remainder_x
      - .offset:         164
        .size:           2
        .value_kind:     hidden_remainder_y
      - .offset:         166
        .size:           2
        .value_kind:     hidden_remainder_z
      - .offset:         184
        .size:           8
        .value_kind:     hidden_global_offset_x
      - .offset:         192
        .size:           8
        .value_kind:     hidden_global_offset_y
      - .offset:         200
        .size:           8
        .value_kind:     hidden_global_offset_z
      - .offset:         208
        .size:           2
        .value_kind:     hidden_grid_dims
    .group_segment_fixed_size: 17472
    .kernarg_segment_align: 8
    .kernarg_segment_size: 400
    .language:       OpenCL C
    .language_version:
      - 2
      - 0
    .max_flat_workgroup_size: 256
    .name:           _Z39paged_attention_ll4mi_QKV_mfma16_kernelIDF16_hLN4vllm18Fp8KVCacheDataTypeE1EhLi16ELi128ELi256ELb0ELi5EL8MFMAType0EEvPKT_PKT0_S8_ifPKiSA_SA_iPKfiiiPfSD_PS3_PT2_iSC_SC_
    .private_segment_fixed_size: 0
    .sgpr_count:     38
    .sgpr_spill_count: 0
    .symbol:         _Z39paged_attention_ll4mi_QKV_mfma16_kernelIDF16_hLN4vllm18Fp8KVCacheDataTypeE1EhLi16ELi128ELi256ELb0ELi5EL8MFMAType0EEvPKT_PKT0_S8_ifPKiSA_SA_iPKfiiiPfSD_PS3_PT2_iSC_SC_.kd
    .uniform_work_group_size: 1
    .uses_dynamic_stack: false
    .vgpr_count:     150
    .vgpr_spill_count: 0
    .wavefront_size: 32
    .workgroup_processor_mode: 1
  - .args:
      - .actual_access:  read_only
        .address_space:  global
        .offset:         0
        .size:           8
        .value_kind:     global_buffer
      - .actual_access:  read_only
        .address_space:  global
        .offset:         8
        .size:           8
        .value_kind:     global_buffer
      - .actual_access:  read_only
        .address_space:  global
        .offset:         16
        .size:           8
        .value_kind:     global_buffer
      - .offset:         24
        .size:           4
        .value_kind:     by_value
      - .offset:         28
        .size:           4
        .value_kind:     by_value
      - .actual_access:  read_only
        .address_space:  global
        .offset:         32
        .size:           8
        .value_kind:     global_buffer
      - .actual_access:  read_only
        .address_space:  global
        .offset:         40
        .size:           8
        .value_kind:     global_buffer
      - .actual_access:  read_only
        .address_space:  global
        .offset:         48
        .size:           8
        .value_kind:     global_buffer
      - .offset:         56
        .size:           4
        .value_kind:     by_value
      - .actual_access:  read_only
        .address_space:  global
        .offset:         64
        .size:           8
        .value_kind:     global_buffer
      - .offset:         72
        .size:           4
        .value_kind:     by_value
      - .offset:         76
        .size:           4
        .value_kind:     by_value
      - .offset:         80
        .size:           4
        .value_kind:     by_value
      - .actual_access:  write_only
        .address_space:  global
        .offset:         88
        .size:           8
        .value_kind:     global_buffer
      - .actual_access:  write_only
        .address_space:  global
        .offset:         96
        .size:           8
        .value_kind:     global_buffer
      - .actual_access:  write_only
        .address_space:  global
        .offset:         104
        .size:           8
        .value_kind:     global_buffer
      - .actual_access:  read_only
        .address_space:  global
        .offset:         112
        .size:           8
        .value_kind:     global_buffer
      - .offset:         120
        .size:           4
        .value_kind:     by_value
      - .address_space:  global
        .offset:         128
        .size:           8
        .value_kind:     global_buffer
      - .address_space:  global
        .offset:         136
        .size:           8
        .value_kind:     global_buffer
      - .offset:         144
        .size:           4
        .value_kind:     hidden_block_count_x
      - .offset:         148
        .size:           4
        .value_kind:     hidden_block_count_y
      - .offset:         152
        .size:           4
        .value_kind:     hidden_block_count_z
      - .offset:         156
        .size:           2
        .value_kind:     hidden_group_size_x
      - .offset:         158
        .size:           2
        .value_kind:     hidden_group_size_y
      - .offset:         160
        .size:           2
        .value_kind:     hidden_group_size_z
      - .offset:         162
        .size:           2
        .value_kind:     hidden_remainder_x
      - .offset:         164
        .size:           2
        .value_kind:     hidden_remainder_y
      - .offset:         166
        .size:           2
        .value_kind:     hidden_remainder_z
      - .offset:         184
        .size:           8
        .value_kind:     hidden_global_offset_x
      - .offset:         192
        .size:           8
        .value_kind:     hidden_global_offset_y
      - .offset:         200
        .size:           8
        .value_kind:     hidden_global_offset_z
      - .offset:         208
        .size:           2
        .value_kind:     hidden_grid_dims
    .group_segment_fixed_size: 17472
    .kernarg_segment_align: 8
    .kernarg_segment_size: 400
    .language:       OpenCL C
    .language_version:
      - 2
      - 0
    .max_flat_workgroup_size: 256
    .name:           _Z39paged_attention_ll4mi_QKV_mfma16_kernelIDF16_hLN4vllm18Fp8KVCacheDataTypeE1EhLi16ELi128ELi256ELb0ELi6EL8MFMAType0EEvPKT_PKT0_S8_ifPKiSA_SA_iPKfiiiPfSD_PS3_PT2_iSC_SC_
    .private_segment_fixed_size: 0
    .sgpr_count:     38
    .sgpr_spill_count: 0
    .symbol:         _Z39paged_attention_ll4mi_QKV_mfma16_kernelIDF16_hLN4vllm18Fp8KVCacheDataTypeE1EhLi16ELi128ELi256ELb0ELi6EL8MFMAType0EEvPKT_PKT0_S8_ifPKiSA_SA_iPKfiiiPfSD_PS3_PT2_iSC_SC_.kd
    .uniform_work_group_size: 1
    .uses_dynamic_stack: false
    .vgpr_count:     150
    .vgpr_spill_count: 0
    .wavefront_size: 32
    .workgroup_processor_mode: 1
  - .args:
      - .actual_access:  read_only
        .address_space:  global
        .offset:         0
        .size:           8
        .value_kind:     global_buffer
      - .actual_access:  read_only
        .address_space:  global
        .offset:         8
        .size:           8
        .value_kind:     global_buffer
      - .actual_access:  read_only
        .address_space:  global
        .offset:         16
        .size:           8
        .value_kind:     global_buffer
      - .offset:         24
        .size:           4
        .value_kind:     by_value
      - .offset:         28
        .size:           4
        .value_kind:     by_value
      - .actual_access:  read_only
        .address_space:  global
        .offset:         32
        .size:           8
        .value_kind:     global_buffer
      - .actual_access:  read_only
        .address_space:  global
        .offset:         40
        .size:           8
        .value_kind:     global_buffer
      - .actual_access:  read_only
        .address_space:  global
        .offset:         48
        .size:           8
        .value_kind:     global_buffer
      - .offset:         56
        .size:           4
        .value_kind:     by_value
      - .actual_access:  read_only
        .address_space:  global
        .offset:         64
        .size:           8
        .value_kind:     global_buffer
      - .offset:         72
        .size:           4
        .value_kind:     by_value
      - .offset:         76
        .size:           4
        .value_kind:     by_value
      - .offset:         80
        .size:           4
        .value_kind:     by_value
      - .actual_access:  write_only
        .address_space:  global
        .offset:         88
        .size:           8
        .value_kind:     global_buffer
      - .actual_access:  write_only
        .address_space:  global
        .offset:         96
        .size:           8
        .value_kind:     global_buffer
      - .actual_access:  write_only
        .address_space:  global
        .offset:         104
        .size:           8
        .value_kind:     global_buffer
      - .actual_access:  read_only
        .address_space:  global
        .offset:         112
        .size:           8
        .value_kind:     global_buffer
      - .offset:         120
        .size:           4
        .value_kind:     by_value
      - .address_space:  global
        .offset:         128
        .size:           8
        .value_kind:     global_buffer
      - .address_space:  global
        .offset:         136
        .size:           8
        .value_kind:     global_buffer
      - .offset:         144
        .size:           4
        .value_kind:     hidden_block_count_x
      - .offset:         148
        .size:           4
        .value_kind:     hidden_block_count_y
      - .offset:         152
        .size:           4
        .value_kind:     hidden_block_count_z
      - .offset:         156
        .size:           2
        .value_kind:     hidden_group_size_x
      - .offset:         158
        .size:           2
        .value_kind:     hidden_group_size_y
      - .offset:         160
        .size:           2
        .value_kind:     hidden_group_size_z
      - .offset:         162
        .size:           2
        .value_kind:     hidden_remainder_x
      - .offset:         164
        .size:           2
        .value_kind:     hidden_remainder_y
      - .offset:         166
        .size:           2
        .value_kind:     hidden_remainder_z
      - .offset:         184
        .size:           8
        .value_kind:     hidden_global_offset_x
      - .offset:         192
        .size:           8
        .value_kind:     hidden_global_offset_y
      - .offset:         200
        .size:           8
        .value_kind:     hidden_global_offset_z
      - .offset:         208
        .size:           2
        .value_kind:     hidden_grid_dims
    .group_segment_fixed_size: 17472
    .kernarg_segment_align: 8
    .kernarg_segment_size: 400
    .language:       OpenCL C
    .language_version:
      - 2
      - 0
    .max_flat_workgroup_size: 256
    .name:           _Z39paged_attention_ll4mi_QKV_mfma16_kernelIDF16_hLN4vllm18Fp8KVCacheDataTypeE1EhLi16ELi128ELi256ELb0ELi7EL8MFMAType0EEvPKT_PKT0_S8_ifPKiSA_SA_iPKfiiiPfSD_PS3_PT2_iSC_SC_
    .private_segment_fixed_size: 0
    .sgpr_count:     38
    .sgpr_spill_count: 0
    .symbol:         _Z39paged_attention_ll4mi_QKV_mfma16_kernelIDF16_hLN4vllm18Fp8KVCacheDataTypeE1EhLi16ELi128ELi256ELb0ELi7EL8MFMAType0EEvPKT_PKT0_S8_ifPKiSA_SA_iPKfiiiPfSD_PS3_PT2_iSC_SC_.kd
    .uniform_work_group_size: 1
    .uses_dynamic_stack: false
    .vgpr_count:     150
    .vgpr_spill_count: 0
    .wavefront_size: 32
    .workgroup_processor_mode: 1
  - .args:
      - .actual_access:  read_only
        .address_space:  global
        .offset:         0
        .size:           8
        .value_kind:     global_buffer
      - .actual_access:  read_only
        .address_space:  global
        .offset:         8
        .size:           8
        .value_kind:     global_buffer
      - .actual_access:  read_only
        .address_space:  global
        .offset:         16
        .size:           8
        .value_kind:     global_buffer
      - .offset:         24
        .size:           4
        .value_kind:     by_value
      - .offset:         28
        .size:           4
        .value_kind:     by_value
      - .actual_access:  read_only
        .address_space:  global
        .offset:         32
        .size:           8
        .value_kind:     global_buffer
      - .actual_access:  read_only
        .address_space:  global
        .offset:         40
        .size:           8
        .value_kind:     global_buffer
      - .actual_access:  read_only
        .address_space:  global
        .offset:         48
        .size:           8
        .value_kind:     global_buffer
      - .offset:         56
        .size:           4
        .value_kind:     by_value
      - .actual_access:  read_only
        .address_space:  global
        .offset:         64
        .size:           8
        .value_kind:     global_buffer
      - .offset:         72
        .size:           4
        .value_kind:     by_value
      - .offset:         76
        .size:           4
        .value_kind:     by_value
      - .offset:         80
        .size:           4
        .value_kind:     by_value
      - .actual_access:  write_only
        .address_space:  global
        .offset:         88
        .size:           8
        .value_kind:     global_buffer
      - .actual_access:  write_only
        .address_space:  global
        .offset:         96
        .size:           8
        .value_kind:     global_buffer
      - .actual_access:  write_only
        .address_space:  global
        .offset:         104
        .size:           8
        .value_kind:     global_buffer
      - .actual_access:  read_only
        .address_space:  global
        .offset:         112
        .size:           8
        .value_kind:     global_buffer
      - .offset:         120
        .size:           4
        .value_kind:     by_value
      - .address_space:  global
        .offset:         128
        .size:           8
        .value_kind:     global_buffer
      - .address_space:  global
        .offset:         136
        .size:           8
        .value_kind:     global_buffer
      - .offset:         144
        .size:           4
        .value_kind:     hidden_block_count_x
      - .offset:         148
        .size:           4
        .value_kind:     hidden_block_count_y
      - .offset:         152
        .size:           4
        .value_kind:     hidden_block_count_z
      - .offset:         156
        .size:           2
        .value_kind:     hidden_group_size_x
      - .offset:         158
        .size:           2
        .value_kind:     hidden_group_size_y
      - .offset:         160
        .size:           2
        .value_kind:     hidden_group_size_z
      - .offset:         162
        .size:           2
        .value_kind:     hidden_remainder_x
      - .offset:         164
        .size:           2
        .value_kind:     hidden_remainder_y
      - .offset:         166
        .size:           2
        .value_kind:     hidden_remainder_z
      - .offset:         184
        .size:           8
        .value_kind:     hidden_global_offset_x
      - .offset:         192
        .size:           8
        .value_kind:     hidden_global_offset_y
      - .offset:         200
        .size:           8
        .value_kind:     hidden_global_offset_z
      - .offset:         208
        .size:           2
        .value_kind:     hidden_grid_dims
    .group_segment_fixed_size: 17472
    .kernarg_segment_align: 8
    .kernarg_segment_size: 400
    .language:       OpenCL C
    .language_version:
      - 2
      - 0
    .max_flat_workgroup_size: 256
    .name:           _Z39paged_attention_ll4mi_QKV_mfma16_kernelIDF16_hLN4vllm18Fp8KVCacheDataTypeE1EhLi16ELi128ELi256ELb0ELi8EL8MFMAType0EEvPKT_PKT0_S8_ifPKiSA_SA_iPKfiiiPfSD_PS3_PT2_iSC_SC_
    .private_segment_fixed_size: 0
    .sgpr_count:     38
    .sgpr_spill_count: 0
    .symbol:         _Z39paged_attention_ll4mi_QKV_mfma16_kernelIDF16_hLN4vllm18Fp8KVCacheDataTypeE1EhLi16ELi128ELi256ELb0ELi8EL8MFMAType0EEvPKT_PKT0_S8_ifPKiSA_SA_iPKfiiiPfSD_PS3_PT2_iSC_SC_.kd
    .uniform_work_group_size: 1
    .uses_dynamic_stack: false
    .vgpr_count:     140
    .vgpr_spill_count: 0
    .wavefront_size: 32
    .workgroup_processor_mode: 1
  - .args:
      - .actual_access:  read_only
        .address_space:  global
        .offset:         0
        .size:           8
        .value_kind:     global_buffer
      - .actual_access:  read_only
        .address_space:  global
        .offset:         8
        .size:           8
        .value_kind:     global_buffer
      - .actual_access:  read_only
        .address_space:  global
        .offset:         16
        .size:           8
        .value_kind:     global_buffer
      - .offset:         24
        .size:           4
        .value_kind:     by_value
      - .offset:         28
        .size:           4
        .value_kind:     by_value
      - .actual_access:  read_only
        .address_space:  global
        .offset:         32
        .size:           8
        .value_kind:     global_buffer
      - .actual_access:  read_only
        .address_space:  global
        .offset:         40
        .size:           8
        .value_kind:     global_buffer
      - .actual_access:  read_only
        .address_space:  global
        .offset:         48
        .size:           8
        .value_kind:     global_buffer
      - .offset:         56
        .size:           4
        .value_kind:     by_value
      - .actual_access:  read_only
        .address_space:  global
        .offset:         64
        .size:           8
        .value_kind:     global_buffer
      - .offset:         72
        .size:           4
        .value_kind:     by_value
      - .offset:         76
        .size:           4
        .value_kind:     by_value
      - .offset:         80
        .size:           4
        .value_kind:     by_value
      - .actual_access:  write_only
        .address_space:  global
        .offset:         88
        .size:           8
        .value_kind:     global_buffer
      - .actual_access:  write_only
        .address_space:  global
        .offset:         96
        .size:           8
        .value_kind:     global_buffer
      - .actual_access:  write_only
        .address_space:  global
        .offset:         104
        .size:           8
        .value_kind:     global_buffer
      - .actual_access:  read_only
        .address_space:  global
        .offset:         112
        .size:           8
        .value_kind:     global_buffer
      - .offset:         120
        .size:           4
        .value_kind:     by_value
      - .address_space:  global
        .offset:         128
        .size:           8
        .value_kind:     global_buffer
      - .address_space:  global
        .offset:         136
        .size:           8
        .value_kind:     global_buffer
      - .offset:         144
        .size:           4
        .value_kind:     hidden_block_count_x
      - .offset:         148
        .size:           4
        .value_kind:     hidden_block_count_y
      - .offset:         152
        .size:           4
        .value_kind:     hidden_block_count_z
      - .offset:         156
        .size:           2
        .value_kind:     hidden_group_size_x
      - .offset:         158
        .size:           2
        .value_kind:     hidden_group_size_y
      - .offset:         160
        .size:           2
        .value_kind:     hidden_group_size_z
      - .offset:         162
        .size:           2
        .value_kind:     hidden_remainder_x
      - .offset:         164
        .size:           2
        .value_kind:     hidden_remainder_y
      - .offset:         166
        .size:           2
        .value_kind:     hidden_remainder_z
      - .offset:         184
        .size:           8
        .value_kind:     hidden_global_offset_x
      - .offset:         192
        .size:           8
        .value_kind:     hidden_global_offset_y
      - .offset:         200
        .size:           8
        .value_kind:     hidden_global_offset_z
      - .offset:         208
        .size:           2
        .value_kind:     hidden_grid_dims
    .group_segment_fixed_size: 17472
    .kernarg_segment_align: 8
    .kernarg_segment_size: 400
    .language:       OpenCL C
    .language_version:
      - 2
      - 0
    .max_flat_workgroup_size: 256
    .name:           _Z39paged_attention_ll4mi_QKV_mfma16_kernelIDF16_hLN4vllm18Fp8KVCacheDataTypeE1EhLi16ELi128ELi256ELb0ELi9EL8MFMAType0EEvPKT_PKT0_S8_ifPKiSA_SA_iPKfiiiPfSD_PS3_PT2_iSC_SC_
    .private_segment_fixed_size: 0
    .sgpr_count:     38
    .sgpr_spill_count: 0
    .symbol:         _Z39paged_attention_ll4mi_QKV_mfma16_kernelIDF16_hLN4vllm18Fp8KVCacheDataTypeE1EhLi16ELi128ELi256ELb0ELi9EL8MFMAType0EEvPKT_PKT0_S8_ifPKiSA_SA_iPKfiiiPfSD_PS3_PT2_iSC_SC_.kd
    .uniform_work_group_size: 1
    .uses_dynamic_stack: false
    .vgpr_count:     150
    .vgpr_spill_count: 0
    .wavefront_size: 32
    .workgroup_processor_mode: 1
  - .args:
      - .actual_access:  read_only
        .address_space:  global
        .offset:         0
        .size:           8
        .value_kind:     global_buffer
      - .actual_access:  read_only
        .address_space:  global
        .offset:         8
        .size:           8
        .value_kind:     global_buffer
      - .actual_access:  read_only
        .address_space:  global
        .offset:         16
        .size:           8
        .value_kind:     global_buffer
      - .offset:         24
        .size:           4
        .value_kind:     by_value
      - .offset:         28
        .size:           4
        .value_kind:     by_value
      - .actual_access:  read_only
        .address_space:  global
        .offset:         32
        .size:           8
        .value_kind:     global_buffer
      - .actual_access:  read_only
        .address_space:  global
        .offset:         40
        .size:           8
        .value_kind:     global_buffer
      - .actual_access:  read_only
        .address_space:  global
        .offset:         48
        .size:           8
        .value_kind:     global_buffer
      - .offset:         56
        .size:           4
        .value_kind:     by_value
      - .actual_access:  read_only
        .address_space:  global
        .offset:         64
        .size:           8
        .value_kind:     global_buffer
      - .offset:         72
        .size:           4
        .value_kind:     by_value
      - .offset:         76
        .size:           4
        .value_kind:     by_value
      - .offset:         80
        .size:           4
        .value_kind:     by_value
      - .actual_access:  write_only
        .address_space:  global
        .offset:         88
        .size:           8
        .value_kind:     global_buffer
      - .actual_access:  write_only
        .address_space:  global
        .offset:         96
        .size:           8
        .value_kind:     global_buffer
      - .actual_access:  write_only
        .address_space:  global
        .offset:         104
        .size:           8
        .value_kind:     global_buffer
      - .actual_access:  read_only
        .address_space:  global
        .offset:         112
        .size:           8
        .value_kind:     global_buffer
      - .offset:         120
        .size:           4
        .value_kind:     by_value
      - .address_space:  global
        .offset:         128
        .size:           8
        .value_kind:     global_buffer
      - .address_space:  global
        .offset:         136
        .size:           8
        .value_kind:     global_buffer
      - .offset:         144
        .size:           4
        .value_kind:     hidden_block_count_x
      - .offset:         148
        .size:           4
        .value_kind:     hidden_block_count_y
      - .offset:         152
        .size:           4
        .value_kind:     hidden_block_count_z
      - .offset:         156
        .size:           2
        .value_kind:     hidden_group_size_x
      - .offset:         158
        .size:           2
        .value_kind:     hidden_group_size_y
      - .offset:         160
        .size:           2
        .value_kind:     hidden_group_size_z
      - .offset:         162
        .size:           2
        .value_kind:     hidden_remainder_x
      - .offset:         164
        .size:           2
        .value_kind:     hidden_remainder_y
      - .offset:         166
        .size:           2
        .value_kind:     hidden_remainder_z
      - .offset:         184
        .size:           8
        .value_kind:     hidden_global_offset_x
      - .offset:         192
        .size:           8
        .value_kind:     hidden_global_offset_y
      - .offset:         200
        .size:           8
        .value_kind:     hidden_global_offset_z
      - .offset:         208
        .size:           2
        .value_kind:     hidden_grid_dims
    .group_segment_fixed_size: 17472
    .kernarg_segment_align: 8
    .kernarg_segment_size: 400
    .language:       OpenCL C
    .language_version:
      - 2
      - 0
    .max_flat_workgroup_size: 256
    .name:           _Z39paged_attention_ll4mi_QKV_mfma16_kernelIDF16_hLN4vllm18Fp8KVCacheDataTypeE1EhLi16ELi128ELi256ELb0ELi10EL8MFMAType0EEvPKT_PKT0_S8_ifPKiSA_SA_iPKfiiiPfSD_PS3_PT2_iSC_SC_
    .private_segment_fixed_size: 0
    .sgpr_count:     38
    .sgpr_spill_count: 0
    .symbol:         _Z39paged_attention_ll4mi_QKV_mfma16_kernelIDF16_hLN4vllm18Fp8KVCacheDataTypeE1EhLi16ELi128ELi256ELb0ELi10EL8MFMAType0EEvPKT_PKT0_S8_ifPKiSA_SA_iPKfiiiPfSD_PS3_PT2_iSC_SC_.kd
    .uniform_work_group_size: 1
    .uses_dynamic_stack: false
    .vgpr_count:     150
    .vgpr_spill_count: 0
    .wavefront_size: 32
    .workgroup_processor_mode: 1
  - .args:
      - .actual_access:  read_only
        .address_space:  global
        .offset:         0
        .size:           8
        .value_kind:     global_buffer
      - .actual_access:  read_only
        .address_space:  global
        .offset:         8
        .size:           8
        .value_kind:     global_buffer
      - .actual_access:  read_only
        .address_space:  global
        .offset:         16
        .size:           8
        .value_kind:     global_buffer
      - .offset:         24
        .size:           4
        .value_kind:     by_value
      - .offset:         28
        .size:           4
        .value_kind:     by_value
      - .actual_access:  read_only
        .address_space:  global
        .offset:         32
        .size:           8
        .value_kind:     global_buffer
      - .actual_access:  read_only
        .address_space:  global
        .offset:         40
        .size:           8
        .value_kind:     global_buffer
      - .actual_access:  read_only
        .address_space:  global
        .offset:         48
        .size:           8
        .value_kind:     global_buffer
      - .offset:         56
        .size:           4
        .value_kind:     by_value
      - .actual_access:  read_only
        .address_space:  global
        .offset:         64
        .size:           8
        .value_kind:     global_buffer
      - .offset:         72
        .size:           4
        .value_kind:     by_value
      - .offset:         76
        .size:           4
        .value_kind:     by_value
      - .offset:         80
        .size:           4
        .value_kind:     by_value
      - .actual_access:  write_only
        .address_space:  global
        .offset:         88
        .size:           8
        .value_kind:     global_buffer
      - .actual_access:  write_only
        .address_space:  global
        .offset:         96
        .size:           8
        .value_kind:     global_buffer
      - .actual_access:  write_only
        .address_space:  global
        .offset:         104
        .size:           8
        .value_kind:     global_buffer
      - .actual_access:  read_only
        .address_space:  global
        .offset:         112
        .size:           8
        .value_kind:     global_buffer
      - .offset:         120
        .size:           4
        .value_kind:     by_value
      - .address_space:  global
        .offset:         128
        .size:           8
        .value_kind:     global_buffer
      - .address_space:  global
        .offset:         136
        .size:           8
        .value_kind:     global_buffer
      - .offset:         144
        .size:           4
        .value_kind:     hidden_block_count_x
      - .offset:         148
        .size:           4
        .value_kind:     hidden_block_count_y
      - .offset:         152
        .size:           4
        .value_kind:     hidden_block_count_z
      - .offset:         156
        .size:           2
        .value_kind:     hidden_group_size_x
      - .offset:         158
        .size:           2
        .value_kind:     hidden_group_size_y
      - .offset:         160
        .size:           2
        .value_kind:     hidden_group_size_z
      - .offset:         162
        .size:           2
        .value_kind:     hidden_remainder_x
      - .offset:         164
        .size:           2
        .value_kind:     hidden_remainder_y
      - .offset:         166
        .size:           2
        .value_kind:     hidden_remainder_z
      - .offset:         184
        .size:           8
        .value_kind:     hidden_global_offset_x
      - .offset:         192
        .size:           8
        .value_kind:     hidden_global_offset_y
      - .offset:         200
        .size:           8
        .value_kind:     hidden_global_offset_z
      - .offset:         208
        .size:           2
        .value_kind:     hidden_grid_dims
    .group_segment_fixed_size: 17472
    .kernarg_segment_align: 8
    .kernarg_segment_size: 400
    .language:       OpenCL C
    .language_version:
      - 2
      - 0
    .max_flat_workgroup_size: 256
    .name:           _Z39paged_attention_ll4mi_QKV_mfma16_kernelIDF16_hLN4vllm18Fp8KVCacheDataTypeE1EhLi16ELi128ELi256ELb0ELi11EL8MFMAType0EEvPKT_PKT0_S8_ifPKiSA_SA_iPKfiiiPfSD_PS3_PT2_iSC_SC_
    .private_segment_fixed_size: 0
    .sgpr_count:     38
    .sgpr_spill_count: 0
    .symbol:         _Z39paged_attention_ll4mi_QKV_mfma16_kernelIDF16_hLN4vllm18Fp8KVCacheDataTypeE1EhLi16ELi128ELi256ELb0ELi11EL8MFMAType0EEvPKT_PKT0_S8_ifPKiSA_SA_iPKfiiiPfSD_PS3_PT2_iSC_SC_.kd
    .uniform_work_group_size: 1
    .uses_dynamic_stack: false
    .vgpr_count:     150
    .vgpr_spill_count: 0
    .wavefront_size: 32
    .workgroup_processor_mode: 1
  - .args:
      - .actual_access:  read_only
        .address_space:  global
        .offset:         0
        .size:           8
        .value_kind:     global_buffer
      - .actual_access:  read_only
        .address_space:  global
        .offset:         8
        .size:           8
        .value_kind:     global_buffer
      - .actual_access:  read_only
        .address_space:  global
        .offset:         16
        .size:           8
        .value_kind:     global_buffer
      - .offset:         24
        .size:           4
        .value_kind:     by_value
      - .offset:         28
        .size:           4
        .value_kind:     by_value
      - .actual_access:  read_only
        .address_space:  global
        .offset:         32
        .size:           8
        .value_kind:     global_buffer
      - .actual_access:  read_only
        .address_space:  global
        .offset:         40
        .size:           8
        .value_kind:     global_buffer
      - .actual_access:  read_only
        .address_space:  global
        .offset:         48
        .size:           8
        .value_kind:     global_buffer
      - .offset:         56
        .size:           4
        .value_kind:     by_value
      - .actual_access:  read_only
        .address_space:  global
        .offset:         64
        .size:           8
        .value_kind:     global_buffer
      - .offset:         72
        .size:           4
        .value_kind:     by_value
      - .offset:         76
        .size:           4
        .value_kind:     by_value
      - .offset:         80
        .size:           4
        .value_kind:     by_value
      - .actual_access:  write_only
        .address_space:  global
        .offset:         88
        .size:           8
        .value_kind:     global_buffer
      - .actual_access:  write_only
        .address_space:  global
        .offset:         96
        .size:           8
        .value_kind:     global_buffer
      - .actual_access:  write_only
        .address_space:  global
        .offset:         104
        .size:           8
        .value_kind:     global_buffer
      - .actual_access:  read_only
        .address_space:  global
        .offset:         112
        .size:           8
        .value_kind:     global_buffer
      - .offset:         120
        .size:           4
        .value_kind:     by_value
      - .address_space:  global
        .offset:         128
        .size:           8
        .value_kind:     global_buffer
      - .address_space:  global
        .offset:         136
        .size:           8
        .value_kind:     global_buffer
      - .offset:         144
        .size:           4
        .value_kind:     hidden_block_count_x
      - .offset:         148
        .size:           4
        .value_kind:     hidden_block_count_y
      - .offset:         152
        .size:           4
        .value_kind:     hidden_block_count_z
      - .offset:         156
        .size:           2
        .value_kind:     hidden_group_size_x
      - .offset:         158
        .size:           2
        .value_kind:     hidden_group_size_y
      - .offset:         160
        .size:           2
        .value_kind:     hidden_group_size_z
      - .offset:         162
        .size:           2
        .value_kind:     hidden_remainder_x
      - .offset:         164
        .size:           2
        .value_kind:     hidden_remainder_y
      - .offset:         166
        .size:           2
        .value_kind:     hidden_remainder_z
      - .offset:         184
        .size:           8
        .value_kind:     hidden_global_offset_x
      - .offset:         192
        .size:           8
        .value_kind:     hidden_global_offset_y
      - .offset:         200
        .size:           8
        .value_kind:     hidden_global_offset_z
      - .offset:         208
        .size:           2
        .value_kind:     hidden_grid_dims
    .group_segment_fixed_size: 17472
    .kernarg_segment_align: 8
    .kernarg_segment_size: 400
    .language:       OpenCL C
    .language_version:
      - 2
      - 0
    .max_flat_workgroup_size: 256
    .name:           _Z39paged_attention_ll4mi_QKV_mfma16_kernelIDF16_hLN4vllm18Fp8KVCacheDataTypeE1EhLi16ELi128ELi256ELb0ELi12EL8MFMAType0EEvPKT_PKT0_S8_ifPKiSA_SA_iPKfiiiPfSD_PS3_PT2_iSC_SC_
    .private_segment_fixed_size: 0
    .sgpr_count:     38
    .sgpr_spill_count: 0
    .symbol:         _Z39paged_attention_ll4mi_QKV_mfma16_kernelIDF16_hLN4vllm18Fp8KVCacheDataTypeE1EhLi16ELi128ELi256ELb0ELi12EL8MFMAType0EEvPKT_PKT0_S8_ifPKiSA_SA_iPKfiiiPfSD_PS3_PT2_iSC_SC_.kd
    .uniform_work_group_size: 1
    .uses_dynamic_stack: false
    .vgpr_count:     150
    .vgpr_spill_count: 0
    .wavefront_size: 32
    .workgroup_processor_mode: 1
  - .args:
      - .actual_access:  read_only
        .address_space:  global
        .offset:         0
        .size:           8
        .value_kind:     global_buffer
      - .actual_access:  read_only
        .address_space:  global
        .offset:         8
        .size:           8
        .value_kind:     global_buffer
      - .actual_access:  read_only
        .address_space:  global
        .offset:         16
        .size:           8
        .value_kind:     global_buffer
      - .offset:         24
        .size:           4
        .value_kind:     by_value
      - .offset:         28
        .size:           4
        .value_kind:     by_value
      - .actual_access:  read_only
        .address_space:  global
        .offset:         32
        .size:           8
        .value_kind:     global_buffer
      - .actual_access:  read_only
        .address_space:  global
        .offset:         40
        .size:           8
        .value_kind:     global_buffer
      - .actual_access:  read_only
        .address_space:  global
        .offset:         48
        .size:           8
        .value_kind:     global_buffer
      - .offset:         56
        .size:           4
        .value_kind:     by_value
      - .actual_access:  read_only
        .address_space:  global
        .offset:         64
        .size:           8
        .value_kind:     global_buffer
      - .offset:         72
        .size:           4
        .value_kind:     by_value
      - .offset:         76
        .size:           4
        .value_kind:     by_value
      - .offset:         80
        .size:           4
        .value_kind:     by_value
      - .actual_access:  write_only
        .address_space:  global
        .offset:         88
        .size:           8
        .value_kind:     global_buffer
      - .actual_access:  write_only
        .address_space:  global
        .offset:         96
        .size:           8
        .value_kind:     global_buffer
      - .actual_access:  write_only
        .address_space:  global
        .offset:         104
        .size:           8
        .value_kind:     global_buffer
      - .actual_access:  read_only
        .address_space:  global
        .offset:         112
        .size:           8
        .value_kind:     global_buffer
      - .offset:         120
        .size:           4
        .value_kind:     by_value
      - .address_space:  global
        .offset:         128
        .size:           8
        .value_kind:     global_buffer
      - .address_space:  global
        .offset:         136
        .size:           8
        .value_kind:     global_buffer
      - .offset:         144
        .size:           4
        .value_kind:     hidden_block_count_x
      - .offset:         148
        .size:           4
        .value_kind:     hidden_block_count_y
      - .offset:         152
        .size:           4
        .value_kind:     hidden_block_count_z
      - .offset:         156
        .size:           2
        .value_kind:     hidden_group_size_x
      - .offset:         158
        .size:           2
        .value_kind:     hidden_group_size_y
      - .offset:         160
        .size:           2
        .value_kind:     hidden_group_size_z
      - .offset:         162
        .size:           2
        .value_kind:     hidden_remainder_x
      - .offset:         164
        .size:           2
        .value_kind:     hidden_remainder_y
      - .offset:         166
        .size:           2
        .value_kind:     hidden_remainder_z
      - .offset:         184
        .size:           8
        .value_kind:     hidden_global_offset_x
      - .offset:         192
        .size:           8
        .value_kind:     hidden_global_offset_y
      - .offset:         200
        .size:           8
        .value_kind:     hidden_global_offset_z
      - .offset:         208
        .size:           2
        .value_kind:     hidden_grid_dims
    .group_segment_fixed_size: 17472
    .kernarg_segment_align: 8
    .kernarg_segment_size: 400
    .language:       OpenCL C
    .language_version:
      - 2
      - 0
    .max_flat_workgroup_size: 256
    .name:           _Z39paged_attention_ll4mi_QKV_mfma16_kernelIDF16_hLN4vllm18Fp8KVCacheDataTypeE1EhLi16ELi128ELi256ELb0ELi13EL8MFMAType0EEvPKT_PKT0_S8_ifPKiSA_SA_iPKfiiiPfSD_PS3_PT2_iSC_SC_
    .private_segment_fixed_size: 0
    .sgpr_count:     38
    .sgpr_spill_count: 0
    .symbol:         _Z39paged_attention_ll4mi_QKV_mfma16_kernelIDF16_hLN4vllm18Fp8KVCacheDataTypeE1EhLi16ELi128ELi256ELb0ELi13EL8MFMAType0EEvPKT_PKT0_S8_ifPKiSA_SA_iPKfiiiPfSD_PS3_PT2_iSC_SC_.kd
    .uniform_work_group_size: 1
    .uses_dynamic_stack: false
    .vgpr_count:     150
    .vgpr_spill_count: 0
    .wavefront_size: 32
    .workgroup_processor_mode: 1
  - .args:
      - .actual_access:  read_only
        .address_space:  global
        .offset:         0
        .size:           8
        .value_kind:     global_buffer
      - .actual_access:  read_only
        .address_space:  global
        .offset:         8
        .size:           8
        .value_kind:     global_buffer
      - .actual_access:  read_only
        .address_space:  global
        .offset:         16
        .size:           8
        .value_kind:     global_buffer
      - .offset:         24
        .size:           4
        .value_kind:     by_value
      - .offset:         28
        .size:           4
        .value_kind:     by_value
      - .actual_access:  read_only
        .address_space:  global
        .offset:         32
        .size:           8
        .value_kind:     global_buffer
      - .actual_access:  read_only
        .address_space:  global
        .offset:         40
        .size:           8
        .value_kind:     global_buffer
      - .actual_access:  read_only
        .address_space:  global
        .offset:         48
        .size:           8
        .value_kind:     global_buffer
      - .offset:         56
        .size:           4
        .value_kind:     by_value
      - .actual_access:  read_only
        .address_space:  global
        .offset:         64
        .size:           8
        .value_kind:     global_buffer
      - .offset:         72
        .size:           4
        .value_kind:     by_value
      - .offset:         76
        .size:           4
        .value_kind:     by_value
      - .offset:         80
        .size:           4
        .value_kind:     by_value
      - .actual_access:  write_only
        .address_space:  global
        .offset:         88
        .size:           8
        .value_kind:     global_buffer
      - .actual_access:  write_only
        .address_space:  global
        .offset:         96
        .size:           8
        .value_kind:     global_buffer
      - .actual_access:  write_only
        .address_space:  global
        .offset:         104
        .size:           8
        .value_kind:     global_buffer
      - .actual_access:  read_only
        .address_space:  global
        .offset:         112
        .size:           8
        .value_kind:     global_buffer
      - .offset:         120
        .size:           4
        .value_kind:     by_value
      - .address_space:  global
        .offset:         128
        .size:           8
        .value_kind:     global_buffer
      - .address_space:  global
        .offset:         136
        .size:           8
        .value_kind:     global_buffer
      - .offset:         144
        .size:           4
        .value_kind:     hidden_block_count_x
      - .offset:         148
        .size:           4
        .value_kind:     hidden_block_count_y
      - .offset:         152
        .size:           4
        .value_kind:     hidden_block_count_z
      - .offset:         156
        .size:           2
        .value_kind:     hidden_group_size_x
      - .offset:         158
        .size:           2
        .value_kind:     hidden_group_size_y
      - .offset:         160
        .size:           2
        .value_kind:     hidden_group_size_z
      - .offset:         162
        .size:           2
        .value_kind:     hidden_remainder_x
      - .offset:         164
        .size:           2
        .value_kind:     hidden_remainder_y
      - .offset:         166
        .size:           2
        .value_kind:     hidden_remainder_z
      - .offset:         184
        .size:           8
        .value_kind:     hidden_global_offset_x
      - .offset:         192
        .size:           8
        .value_kind:     hidden_global_offset_y
      - .offset:         200
        .size:           8
        .value_kind:     hidden_global_offset_z
      - .offset:         208
        .size:           2
        .value_kind:     hidden_grid_dims
    .group_segment_fixed_size: 17472
    .kernarg_segment_align: 8
    .kernarg_segment_size: 400
    .language:       OpenCL C
    .language_version:
      - 2
      - 0
    .max_flat_workgroup_size: 256
    .name:           _Z39paged_attention_ll4mi_QKV_mfma16_kernelIDF16_hLN4vllm18Fp8KVCacheDataTypeE1EhLi16ELi128ELi256ELb0ELi14EL8MFMAType0EEvPKT_PKT0_S8_ifPKiSA_SA_iPKfiiiPfSD_PS3_PT2_iSC_SC_
    .private_segment_fixed_size: 0
    .sgpr_count:     38
    .sgpr_spill_count: 0
    .symbol:         _Z39paged_attention_ll4mi_QKV_mfma16_kernelIDF16_hLN4vllm18Fp8KVCacheDataTypeE1EhLi16ELi128ELi256ELb0ELi14EL8MFMAType0EEvPKT_PKT0_S8_ifPKiSA_SA_iPKfiiiPfSD_PS3_PT2_iSC_SC_.kd
    .uniform_work_group_size: 1
    .uses_dynamic_stack: false
    .vgpr_count:     150
    .vgpr_spill_count: 0
    .wavefront_size: 32
    .workgroup_processor_mode: 1
  - .args:
      - .actual_access:  read_only
        .address_space:  global
        .offset:         0
        .size:           8
        .value_kind:     global_buffer
      - .actual_access:  read_only
        .address_space:  global
        .offset:         8
        .size:           8
        .value_kind:     global_buffer
      - .actual_access:  read_only
        .address_space:  global
        .offset:         16
        .size:           8
        .value_kind:     global_buffer
      - .offset:         24
        .size:           4
        .value_kind:     by_value
      - .offset:         28
        .size:           4
        .value_kind:     by_value
      - .actual_access:  read_only
        .address_space:  global
        .offset:         32
        .size:           8
        .value_kind:     global_buffer
      - .actual_access:  read_only
        .address_space:  global
        .offset:         40
        .size:           8
        .value_kind:     global_buffer
      - .actual_access:  read_only
        .address_space:  global
        .offset:         48
        .size:           8
        .value_kind:     global_buffer
      - .offset:         56
        .size:           4
        .value_kind:     by_value
      - .actual_access:  read_only
        .address_space:  global
        .offset:         64
        .size:           8
        .value_kind:     global_buffer
      - .offset:         72
        .size:           4
        .value_kind:     by_value
      - .offset:         76
        .size:           4
        .value_kind:     by_value
      - .offset:         80
        .size:           4
        .value_kind:     by_value
      - .actual_access:  write_only
        .address_space:  global
        .offset:         88
        .size:           8
        .value_kind:     global_buffer
      - .actual_access:  write_only
        .address_space:  global
        .offset:         96
        .size:           8
        .value_kind:     global_buffer
      - .actual_access:  write_only
        .address_space:  global
        .offset:         104
        .size:           8
        .value_kind:     global_buffer
      - .actual_access:  read_only
        .address_space:  global
        .offset:         112
        .size:           8
        .value_kind:     global_buffer
      - .offset:         120
        .size:           4
        .value_kind:     by_value
      - .address_space:  global
        .offset:         128
        .size:           8
        .value_kind:     global_buffer
      - .address_space:  global
        .offset:         136
        .size:           8
        .value_kind:     global_buffer
      - .offset:         144
        .size:           4
        .value_kind:     hidden_block_count_x
      - .offset:         148
        .size:           4
        .value_kind:     hidden_block_count_y
      - .offset:         152
        .size:           4
        .value_kind:     hidden_block_count_z
      - .offset:         156
        .size:           2
        .value_kind:     hidden_group_size_x
      - .offset:         158
        .size:           2
        .value_kind:     hidden_group_size_y
      - .offset:         160
        .size:           2
        .value_kind:     hidden_group_size_z
      - .offset:         162
        .size:           2
        .value_kind:     hidden_remainder_x
      - .offset:         164
        .size:           2
        .value_kind:     hidden_remainder_y
      - .offset:         166
        .size:           2
        .value_kind:     hidden_remainder_z
      - .offset:         184
        .size:           8
        .value_kind:     hidden_global_offset_x
      - .offset:         192
        .size:           8
        .value_kind:     hidden_global_offset_y
      - .offset:         200
        .size:           8
        .value_kind:     hidden_global_offset_z
      - .offset:         208
        .size:           2
        .value_kind:     hidden_grid_dims
    .group_segment_fixed_size: 17472
    .kernarg_segment_align: 8
    .kernarg_segment_size: 400
    .language:       OpenCL C
    .language_version:
      - 2
      - 0
    .max_flat_workgroup_size: 256
    .name:           _Z39paged_attention_ll4mi_QKV_mfma16_kernelIDF16_hLN4vllm18Fp8KVCacheDataTypeE1EhLi16ELi128ELi256ELb0ELi15EL8MFMAType0EEvPKT_PKT0_S8_ifPKiSA_SA_iPKfiiiPfSD_PS3_PT2_iSC_SC_
    .private_segment_fixed_size: 0
    .sgpr_count:     38
    .sgpr_spill_count: 0
    .symbol:         _Z39paged_attention_ll4mi_QKV_mfma16_kernelIDF16_hLN4vllm18Fp8KVCacheDataTypeE1EhLi16ELi128ELi256ELb0ELi15EL8MFMAType0EEvPKT_PKT0_S8_ifPKiSA_SA_iPKfiiiPfSD_PS3_PT2_iSC_SC_.kd
    .uniform_work_group_size: 1
    .uses_dynamic_stack: false
    .vgpr_count:     150
    .vgpr_spill_count: 0
    .wavefront_size: 32
    .workgroup_processor_mode: 1
  - .args:
      - .actual_access:  read_only
        .address_space:  global
        .offset:         0
        .size:           8
        .value_kind:     global_buffer
      - .actual_access:  read_only
        .address_space:  global
        .offset:         8
        .size:           8
        .value_kind:     global_buffer
      - .actual_access:  read_only
        .address_space:  global
        .offset:         16
        .size:           8
        .value_kind:     global_buffer
      - .offset:         24
        .size:           4
        .value_kind:     by_value
      - .offset:         28
        .size:           4
        .value_kind:     by_value
      - .actual_access:  read_only
        .address_space:  global
        .offset:         32
        .size:           8
        .value_kind:     global_buffer
      - .actual_access:  read_only
        .address_space:  global
        .offset:         40
        .size:           8
        .value_kind:     global_buffer
      - .actual_access:  read_only
        .address_space:  global
        .offset:         48
        .size:           8
        .value_kind:     global_buffer
      - .offset:         56
        .size:           4
        .value_kind:     by_value
      - .actual_access:  read_only
        .address_space:  global
        .offset:         64
        .size:           8
        .value_kind:     global_buffer
      - .offset:         72
        .size:           4
        .value_kind:     by_value
      - .offset:         76
        .size:           4
        .value_kind:     by_value
      - .offset:         80
        .size:           4
        .value_kind:     by_value
      - .actual_access:  write_only
        .address_space:  global
        .offset:         88
        .size:           8
        .value_kind:     global_buffer
      - .actual_access:  write_only
        .address_space:  global
        .offset:         96
        .size:           8
        .value_kind:     global_buffer
      - .actual_access:  write_only
        .address_space:  global
        .offset:         104
        .size:           8
        .value_kind:     global_buffer
      - .actual_access:  read_only
        .address_space:  global
        .offset:         112
        .size:           8
        .value_kind:     global_buffer
      - .offset:         120
        .size:           4
        .value_kind:     by_value
      - .address_space:  global
        .offset:         128
        .size:           8
        .value_kind:     global_buffer
      - .address_space:  global
        .offset:         136
        .size:           8
        .value_kind:     global_buffer
      - .offset:         144
        .size:           4
        .value_kind:     hidden_block_count_x
      - .offset:         148
        .size:           4
        .value_kind:     hidden_block_count_y
      - .offset:         152
        .size:           4
        .value_kind:     hidden_block_count_z
      - .offset:         156
        .size:           2
        .value_kind:     hidden_group_size_x
      - .offset:         158
        .size:           2
        .value_kind:     hidden_group_size_y
      - .offset:         160
        .size:           2
        .value_kind:     hidden_group_size_z
      - .offset:         162
        .size:           2
        .value_kind:     hidden_remainder_x
      - .offset:         164
        .size:           2
        .value_kind:     hidden_remainder_y
      - .offset:         166
        .size:           2
        .value_kind:     hidden_remainder_z
      - .offset:         184
        .size:           8
        .value_kind:     hidden_global_offset_x
      - .offset:         192
        .size:           8
        .value_kind:     hidden_global_offset_y
      - .offset:         200
        .size:           8
        .value_kind:     hidden_global_offset_z
      - .offset:         208
        .size:           2
        .value_kind:     hidden_grid_dims
    .group_segment_fixed_size: 17472
    .kernarg_segment_align: 8
    .kernarg_segment_size: 400
    .language:       OpenCL C
    .language_version:
      - 2
      - 0
    .max_flat_workgroup_size: 256
    .name:           _Z39paged_attention_ll4mi_QKV_mfma16_kernelIDF16_hLN4vllm18Fp8KVCacheDataTypeE1EhLi16ELi128ELi256ELb0ELi16EL8MFMAType0EEvPKT_PKT0_S8_ifPKiSA_SA_iPKfiiiPfSD_PS3_PT2_iSC_SC_
    .private_segment_fixed_size: 0
    .sgpr_count:     37
    .sgpr_spill_count: 0
    .symbol:         _Z39paged_attention_ll4mi_QKV_mfma16_kernelIDF16_hLN4vllm18Fp8KVCacheDataTypeE1EhLi16ELi128ELi256ELb0ELi16EL8MFMAType0EEvPKT_PKT0_S8_ifPKiSA_SA_iPKfiiiPfSD_PS3_PT2_iSC_SC_.kd
    .uniform_work_group_size: 1
    .uses_dynamic_stack: false
    .vgpr_count:     140
    .vgpr_spill_count: 0
    .wavefront_size: 32
    .workgroup_processor_mode: 1
  - .args:
      - .actual_access:  read_only
        .address_space:  global
        .offset:         0
        .size:           8
        .value_kind:     global_buffer
      - .actual_access:  read_only
        .address_space:  global
        .offset:         8
        .size:           8
        .value_kind:     global_buffer
      - .actual_access:  read_only
        .address_space:  global
        .offset:         16
        .size:           8
        .value_kind:     global_buffer
      - .offset:         24
        .size:           4
        .value_kind:     by_value
      - .offset:         28
        .size:           4
        .value_kind:     by_value
      - .actual_access:  read_only
        .address_space:  global
        .offset:         32
        .size:           8
        .value_kind:     global_buffer
      - .actual_access:  read_only
        .address_space:  global
        .offset:         40
        .size:           8
        .value_kind:     global_buffer
      - .actual_access:  read_only
        .address_space:  global
        .offset:         48
        .size:           8
        .value_kind:     global_buffer
      - .offset:         56
        .size:           4
        .value_kind:     by_value
      - .actual_access:  read_only
        .address_space:  global
        .offset:         64
        .size:           8
        .value_kind:     global_buffer
      - .offset:         72
        .size:           4
        .value_kind:     by_value
      - .offset:         76
        .size:           4
        .value_kind:     by_value
      - .offset:         80
        .size:           4
        .value_kind:     by_value
      - .actual_access:  write_only
        .address_space:  global
        .offset:         88
        .size:           8
        .value_kind:     global_buffer
      - .actual_access:  write_only
        .address_space:  global
        .offset:         96
        .size:           8
        .value_kind:     global_buffer
      - .actual_access:  write_only
        .address_space:  global
        .offset:         104
        .size:           8
        .value_kind:     global_buffer
      - .actual_access:  read_only
        .address_space:  global
        .offset:         112
        .size:           8
        .value_kind:     global_buffer
      - .offset:         120
        .size:           4
        .value_kind:     by_value
      - .address_space:  global
        .offset:         128
        .size:           8
        .value_kind:     global_buffer
      - .address_space:  global
        .offset:         136
        .size:           8
        .value_kind:     global_buffer
      - .offset:         144
        .size:           4
        .value_kind:     hidden_block_count_x
      - .offset:         148
        .size:           4
        .value_kind:     hidden_block_count_y
      - .offset:         152
        .size:           4
        .value_kind:     hidden_block_count_z
      - .offset:         156
        .size:           2
        .value_kind:     hidden_group_size_x
      - .offset:         158
        .size:           2
        .value_kind:     hidden_group_size_y
      - .offset:         160
        .size:           2
        .value_kind:     hidden_group_size_z
      - .offset:         162
        .size:           2
        .value_kind:     hidden_remainder_x
      - .offset:         164
        .size:           2
        .value_kind:     hidden_remainder_y
      - .offset:         166
        .size:           2
        .value_kind:     hidden_remainder_z
      - .offset:         184
        .size:           8
        .value_kind:     hidden_global_offset_x
      - .offset:         192
        .size:           8
        .value_kind:     hidden_global_offset_y
      - .offset:         200
        .size:           8
        .value_kind:     hidden_global_offset_z
      - .offset:         208
        .size:           2
        .value_kind:     hidden_grid_dims
    .group_segment_fixed_size: 17472
    .kernarg_segment_align: 8
    .kernarg_segment_size: 400
    .language:       OpenCL C
    .language_version:
      - 2
      - 0
    .max_flat_workgroup_size: 256
    .name:           _Z39paged_attention_ll4mi_QKV_mfma16_kernelIDF16_hLN4vllm18Fp8KVCacheDataTypeE1EhLi16ELi128ELi256ELb0ELi1EL8MFMAType0EEvPKT_PKT0_S8_ifPKiSA_SA_iPKfiiiPfSD_PS3_PT2_iSC_SC_
    .private_segment_fixed_size: 0
    .sgpr_count:     68
    .sgpr_spill_count: 0
    .symbol:         _Z39paged_attention_ll4mi_QKV_mfma16_kernelIDF16_hLN4vllm18Fp8KVCacheDataTypeE1EhLi16ELi128ELi256ELb0ELi1EL8MFMAType0EEvPKT_PKT0_S8_ifPKiSA_SA_iPKfiiiPfSD_PS3_PT2_iSC_SC_.kd
    .uniform_work_group_size: 1
    .uses_dynamic_stack: false
    .vgpr_count:     134
    .vgpr_spill_count: 0
    .wavefront_size: 32
    .workgroup_processor_mode: 1
  - .args:
      - .actual_access:  read_only
        .address_space:  global
        .offset:         0
        .size:           8
        .value_kind:     global_buffer
      - .actual_access:  read_only
        .address_space:  global
        .offset:         8
        .size:           8
        .value_kind:     global_buffer
      - .actual_access:  read_only
        .address_space:  global
        .offset:         16
        .size:           8
        .value_kind:     global_buffer
      - .offset:         24
        .size:           4
        .value_kind:     by_value
      - .offset:         28
        .size:           4
        .value_kind:     by_value
      - .actual_access:  read_only
        .address_space:  global
        .offset:         32
        .size:           8
        .value_kind:     global_buffer
      - .actual_access:  read_only
        .address_space:  global
        .offset:         40
        .size:           8
        .value_kind:     global_buffer
      - .actual_access:  read_only
        .address_space:  global
        .offset:         48
        .size:           8
        .value_kind:     global_buffer
      - .offset:         56
        .size:           4
        .value_kind:     by_value
      - .actual_access:  read_only
        .address_space:  global
        .offset:         64
        .size:           8
        .value_kind:     global_buffer
      - .offset:         72
        .size:           4
        .value_kind:     by_value
      - .offset:         76
        .size:           4
        .value_kind:     by_value
      - .offset:         80
        .size:           4
        .value_kind:     by_value
      - .actual_access:  write_only
        .address_space:  global
        .offset:         88
        .size:           8
        .value_kind:     global_buffer
      - .actual_access:  write_only
        .address_space:  global
        .offset:         96
        .size:           8
        .value_kind:     global_buffer
      - .actual_access:  write_only
        .address_space:  global
        .offset:         104
        .size:           8
        .value_kind:     global_buffer
      - .actual_access:  read_only
        .address_space:  global
        .offset:         112
        .size:           8
        .value_kind:     global_buffer
      - .offset:         120
        .size:           4
        .value_kind:     by_value
      - .address_space:  global
        .offset:         128
        .size:           8
        .value_kind:     global_buffer
      - .address_space:  global
        .offset:         136
        .size:           8
        .value_kind:     global_buffer
      - .offset:         144
        .size:           4
        .value_kind:     hidden_block_count_x
      - .offset:         148
        .size:           4
        .value_kind:     hidden_block_count_y
      - .offset:         152
        .size:           4
        .value_kind:     hidden_block_count_z
      - .offset:         156
        .size:           2
        .value_kind:     hidden_group_size_x
      - .offset:         158
        .size:           2
        .value_kind:     hidden_group_size_y
      - .offset:         160
        .size:           2
        .value_kind:     hidden_group_size_z
      - .offset:         162
        .size:           2
        .value_kind:     hidden_remainder_x
      - .offset:         164
        .size:           2
        .value_kind:     hidden_remainder_y
      - .offset:         166
        .size:           2
        .value_kind:     hidden_remainder_z
      - .offset:         184
        .size:           8
        .value_kind:     hidden_global_offset_x
      - .offset:         192
        .size:           8
        .value_kind:     hidden_global_offset_y
      - .offset:         200
        .size:           8
        .value_kind:     hidden_global_offset_z
      - .offset:         208
        .size:           2
        .value_kind:     hidden_grid_dims
    .group_segment_fixed_size: 17472
    .kernarg_segment_align: 8
    .kernarg_segment_size: 400
    .language:       OpenCL C
    .language_version:
      - 2
      - 0
    .max_flat_workgroup_size: 256
    .name:           _Z39paged_attention_ll4mi_QKV_mfma16_kernelIDF16_hLN4vllm18Fp8KVCacheDataTypeE1EhLi16ELi128ELi256ELb0ELi2EL8MFMAType0EEvPKT_PKT0_S8_ifPKiSA_SA_iPKfiiiPfSD_PS3_PT2_iSC_SC_
    .private_segment_fixed_size: 0
    .sgpr_count:     39
    .sgpr_spill_count: 0
    .symbol:         _Z39paged_attention_ll4mi_QKV_mfma16_kernelIDF16_hLN4vllm18Fp8KVCacheDataTypeE1EhLi16ELi128ELi256ELb0ELi2EL8MFMAType0EEvPKT_PKT0_S8_ifPKiSA_SA_iPKfiiiPfSD_PS3_PT2_iSC_SC_.kd
    .uniform_work_group_size: 1
    .uses_dynamic_stack: false
    .vgpr_count:     146
    .vgpr_spill_count: 0
    .wavefront_size: 32
    .workgroup_processor_mode: 1
  - .args:
      - .actual_access:  read_only
        .address_space:  global
        .offset:         0
        .size:           8
        .value_kind:     global_buffer
      - .actual_access:  read_only
        .address_space:  global
        .offset:         8
        .size:           8
        .value_kind:     global_buffer
      - .actual_access:  read_only
        .address_space:  global
        .offset:         16
        .size:           8
        .value_kind:     global_buffer
      - .offset:         24
        .size:           4
        .value_kind:     by_value
      - .offset:         28
        .size:           4
        .value_kind:     by_value
      - .actual_access:  read_only
        .address_space:  global
        .offset:         32
        .size:           8
        .value_kind:     global_buffer
      - .actual_access:  read_only
        .address_space:  global
        .offset:         40
        .size:           8
        .value_kind:     global_buffer
      - .actual_access:  read_only
        .address_space:  global
        .offset:         48
        .size:           8
        .value_kind:     global_buffer
      - .offset:         56
        .size:           4
        .value_kind:     by_value
      - .actual_access:  read_only
        .address_space:  global
        .offset:         64
        .size:           8
        .value_kind:     global_buffer
      - .offset:         72
        .size:           4
        .value_kind:     by_value
      - .offset:         76
        .size:           4
        .value_kind:     by_value
      - .offset:         80
        .size:           4
        .value_kind:     by_value
      - .actual_access:  write_only
        .address_space:  global
        .offset:         88
        .size:           8
        .value_kind:     global_buffer
      - .actual_access:  write_only
        .address_space:  global
        .offset:         96
        .size:           8
        .value_kind:     global_buffer
      - .actual_access:  write_only
        .address_space:  global
        .offset:         104
        .size:           8
        .value_kind:     global_buffer
      - .actual_access:  read_only
        .address_space:  global
        .offset:         112
        .size:           8
        .value_kind:     global_buffer
      - .offset:         120
        .size:           4
        .value_kind:     by_value
      - .address_space:  global
        .offset:         128
        .size:           8
        .value_kind:     global_buffer
      - .address_space:  global
        .offset:         136
        .size:           8
        .value_kind:     global_buffer
      - .offset:         144
        .size:           4
        .value_kind:     hidden_block_count_x
      - .offset:         148
        .size:           4
        .value_kind:     hidden_block_count_y
      - .offset:         152
        .size:           4
        .value_kind:     hidden_block_count_z
      - .offset:         156
        .size:           2
        .value_kind:     hidden_group_size_x
      - .offset:         158
        .size:           2
        .value_kind:     hidden_group_size_y
      - .offset:         160
        .size:           2
        .value_kind:     hidden_group_size_z
      - .offset:         162
        .size:           2
        .value_kind:     hidden_remainder_x
      - .offset:         164
        .size:           2
        .value_kind:     hidden_remainder_y
      - .offset:         166
        .size:           2
        .value_kind:     hidden_remainder_z
      - .offset:         184
        .size:           8
        .value_kind:     hidden_global_offset_x
      - .offset:         192
        .size:           8
        .value_kind:     hidden_global_offset_y
      - .offset:         200
        .size:           8
        .value_kind:     hidden_global_offset_z
      - .offset:         208
        .size:           2
        .value_kind:     hidden_grid_dims
    .group_segment_fixed_size: 17472
    .kernarg_segment_align: 8
    .kernarg_segment_size: 400
    .language:       OpenCL C
    .language_version:
      - 2
      - 0
    .max_flat_workgroup_size: 256
    .name:           _Z39paged_attention_ll4mi_QKV_mfma16_kernelIDF16_hLN4vllm18Fp8KVCacheDataTypeE1EhLi16ELi128ELi256ELb0ELi3EL8MFMAType0EEvPKT_PKT0_S8_ifPKiSA_SA_iPKfiiiPfSD_PS3_PT2_iSC_SC_
    .private_segment_fixed_size: 0
    .sgpr_count:     38
    .sgpr_spill_count: 0
    .symbol:         _Z39paged_attention_ll4mi_QKV_mfma16_kernelIDF16_hLN4vllm18Fp8KVCacheDataTypeE1EhLi16ELi128ELi256ELb0ELi3EL8MFMAType0EEvPKT_PKT0_S8_ifPKiSA_SA_iPKfiiiPfSD_PS3_PT2_iSC_SC_.kd
    .uniform_work_group_size: 1
    .uses_dynamic_stack: false
    .vgpr_count:     150
    .vgpr_spill_count: 0
    .wavefront_size: 32
    .workgroup_processor_mode: 1
  - .args:
      - .actual_access:  read_only
        .address_space:  global
        .offset:         0
        .size:           8
        .value_kind:     global_buffer
      - .actual_access:  read_only
        .address_space:  global
        .offset:         8
        .size:           8
        .value_kind:     global_buffer
      - .actual_access:  read_only
        .address_space:  global
        .offset:         16
        .size:           8
        .value_kind:     global_buffer
      - .offset:         24
        .size:           4
        .value_kind:     by_value
      - .offset:         28
        .size:           4
        .value_kind:     by_value
      - .actual_access:  read_only
        .address_space:  global
        .offset:         32
        .size:           8
        .value_kind:     global_buffer
      - .actual_access:  read_only
        .address_space:  global
        .offset:         40
        .size:           8
        .value_kind:     global_buffer
      - .actual_access:  read_only
        .address_space:  global
        .offset:         48
        .size:           8
        .value_kind:     global_buffer
      - .offset:         56
        .size:           4
        .value_kind:     by_value
      - .actual_access:  read_only
        .address_space:  global
        .offset:         64
        .size:           8
        .value_kind:     global_buffer
      - .offset:         72
        .size:           4
        .value_kind:     by_value
      - .offset:         76
        .size:           4
        .value_kind:     by_value
      - .offset:         80
        .size:           4
        .value_kind:     by_value
      - .actual_access:  write_only
        .address_space:  global
        .offset:         88
        .size:           8
        .value_kind:     global_buffer
      - .actual_access:  write_only
        .address_space:  global
        .offset:         96
        .size:           8
        .value_kind:     global_buffer
      - .actual_access:  write_only
        .address_space:  global
        .offset:         104
        .size:           8
        .value_kind:     global_buffer
      - .actual_access:  read_only
        .address_space:  global
        .offset:         112
        .size:           8
        .value_kind:     global_buffer
      - .offset:         120
        .size:           4
        .value_kind:     by_value
      - .address_space:  global
        .offset:         128
        .size:           8
        .value_kind:     global_buffer
      - .address_space:  global
        .offset:         136
        .size:           8
        .value_kind:     global_buffer
      - .offset:         144
        .size:           4
        .value_kind:     hidden_block_count_x
      - .offset:         148
        .size:           4
        .value_kind:     hidden_block_count_y
      - .offset:         152
        .size:           4
        .value_kind:     hidden_block_count_z
      - .offset:         156
        .size:           2
        .value_kind:     hidden_group_size_x
      - .offset:         158
        .size:           2
        .value_kind:     hidden_group_size_y
      - .offset:         160
        .size:           2
        .value_kind:     hidden_group_size_z
      - .offset:         162
        .size:           2
        .value_kind:     hidden_remainder_x
      - .offset:         164
        .size:           2
        .value_kind:     hidden_remainder_y
      - .offset:         166
        .size:           2
        .value_kind:     hidden_remainder_z
      - .offset:         184
        .size:           8
        .value_kind:     hidden_global_offset_x
      - .offset:         192
        .size:           8
        .value_kind:     hidden_global_offset_y
      - .offset:         200
        .size:           8
        .value_kind:     hidden_global_offset_z
      - .offset:         208
        .size:           2
        .value_kind:     hidden_grid_dims
    .group_segment_fixed_size: 17472
    .kernarg_segment_align: 8
    .kernarg_segment_size: 400
    .language:       OpenCL C
    .language_version:
      - 2
      - 0
    .max_flat_workgroup_size: 256
    .name:           _Z39paged_attention_ll4mi_QKV_mfma16_kernelIDF16_hLN4vllm18Fp8KVCacheDataTypeE1EhLi16ELi128ELi256ELb0ELi4EL8MFMAType0EEvPKT_PKT0_S8_ifPKiSA_SA_iPKfiiiPfSD_PS3_PT2_iSC_SC_
    .private_segment_fixed_size: 0
    .sgpr_count:     38
    .sgpr_spill_count: 0
    .symbol:         _Z39paged_attention_ll4mi_QKV_mfma16_kernelIDF16_hLN4vllm18Fp8KVCacheDataTypeE1EhLi16ELi128ELi256ELb0ELi4EL8MFMAType0EEvPKT_PKT0_S8_ifPKiSA_SA_iPKfiiiPfSD_PS3_PT2_iSC_SC_.kd
    .uniform_work_group_size: 1
    .uses_dynamic_stack: false
    .vgpr_count:     140
    .vgpr_spill_count: 0
    .wavefront_size: 32
    .workgroup_processor_mode: 1
  - .args:
      - .actual_access:  read_only
        .address_space:  global
        .offset:         0
        .size:           8
        .value_kind:     global_buffer
      - .actual_access:  read_only
        .address_space:  global
        .offset:         8
        .size:           8
        .value_kind:     global_buffer
      - .actual_access:  read_only
        .address_space:  global
        .offset:         16
        .size:           8
        .value_kind:     global_buffer
      - .offset:         24
        .size:           4
        .value_kind:     by_value
      - .offset:         28
        .size:           4
        .value_kind:     by_value
      - .actual_access:  read_only
        .address_space:  global
        .offset:         32
        .size:           8
        .value_kind:     global_buffer
      - .actual_access:  read_only
        .address_space:  global
        .offset:         40
        .size:           8
        .value_kind:     global_buffer
      - .actual_access:  read_only
        .address_space:  global
        .offset:         48
        .size:           8
        .value_kind:     global_buffer
      - .offset:         56
        .size:           4
        .value_kind:     by_value
      - .actual_access:  read_only
        .address_space:  global
        .offset:         64
        .size:           8
        .value_kind:     global_buffer
      - .offset:         72
        .size:           4
        .value_kind:     by_value
      - .offset:         76
        .size:           4
        .value_kind:     by_value
      - .offset:         80
        .size:           4
        .value_kind:     by_value
      - .actual_access:  write_only
        .address_space:  global
        .offset:         88
        .size:           8
        .value_kind:     global_buffer
      - .actual_access:  write_only
        .address_space:  global
        .offset:         96
        .size:           8
        .value_kind:     global_buffer
      - .actual_access:  write_only
        .address_space:  global
        .offset:         104
        .size:           8
        .value_kind:     global_buffer
      - .actual_access:  read_only
        .address_space:  global
        .offset:         112
        .size:           8
        .value_kind:     global_buffer
      - .offset:         120
        .size:           4
        .value_kind:     by_value
      - .address_space:  global
        .offset:         128
        .size:           8
        .value_kind:     global_buffer
      - .address_space:  global
        .offset:         136
        .size:           8
        .value_kind:     global_buffer
      - .offset:         144
        .size:           4
        .value_kind:     hidden_block_count_x
      - .offset:         148
        .size:           4
        .value_kind:     hidden_block_count_y
      - .offset:         152
        .size:           4
        .value_kind:     hidden_block_count_z
      - .offset:         156
        .size:           2
        .value_kind:     hidden_group_size_x
      - .offset:         158
        .size:           2
        .value_kind:     hidden_group_size_y
      - .offset:         160
        .size:           2
        .value_kind:     hidden_group_size_z
      - .offset:         162
        .size:           2
        .value_kind:     hidden_remainder_x
      - .offset:         164
        .size:           2
        .value_kind:     hidden_remainder_y
      - .offset:         166
        .size:           2
        .value_kind:     hidden_remainder_z
      - .offset:         184
        .size:           8
        .value_kind:     hidden_global_offset_x
      - .offset:         192
        .size:           8
        .value_kind:     hidden_global_offset_y
      - .offset:         200
        .size:           8
        .value_kind:     hidden_global_offset_z
      - .offset:         208
        .size:           2
        .value_kind:     hidden_grid_dims
    .group_segment_fixed_size: 17472
    .kernarg_segment_align: 8
    .kernarg_segment_size: 400
    .language:       OpenCL C
    .language_version:
      - 2
      - 0
    .max_flat_workgroup_size: 256
    .name:           _Z39paged_attention_ll4mi_QKV_mfma16_kernelIDF16_hLN4vllm18Fp8KVCacheDataTypeE1EDF16_Li16ELi128ELi256ELb1ELi5EL8MFMAType0EEvPKT_PKT0_S8_ifPKiSA_SA_iPKfiiiPfSD_PS3_PT2_iSC_SC_
    .private_segment_fixed_size: 0
    .sgpr_count:     38
    .sgpr_spill_count: 0
    .symbol:         _Z39paged_attention_ll4mi_QKV_mfma16_kernelIDF16_hLN4vllm18Fp8KVCacheDataTypeE1EDF16_Li16ELi128ELi256ELb1ELi5EL8MFMAType0EEvPKT_PKT0_S8_ifPKiSA_SA_iPKfiiiPfSD_PS3_PT2_iSC_SC_.kd
    .uniform_work_group_size: 1
    .uses_dynamic_stack: false
    .vgpr_count:     150
    .vgpr_spill_count: 0
    .wavefront_size: 32
    .workgroup_processor_mode: 1
  - .args:
      - .actual_access:  read_only
        .address_space:  global
        .offset:         0
        .size:           8
        .value_kind:     global_buffer
      - .actual_access:  read_only
        .address_space:  global
        .offset:         8
        .size:           8
        .value_kind:     global_buffer
      - .actual_access:  read_only
        .address_space:  global
        .offset:         16
        .size:           8
        .value_kind:     global_buffer
      - .offset:         24
        .size:           4
        .value_kind:     by_value
      - .offset:         28
        .size:           4
        .value_kind:     by_value
      - .actual_access:  read_only
        .address_space:  global
        .offset:         32
        .size:           8
        .value_kind:     global_buffer
      - .actual_access:  read_only
        .address_space:  global
        .offset:         40
        .size:           8
        .value_kind:     global_buffer
      - .actual_access:  read_only
        .address_space:  global
        .offset:         48
        .size:           8
        .value_kind:     global_buffer
      - .offset:         56
        .size:           4
        .value_kind:     by_value
      - .actual_access:  read_only
        .address_space:  global
        .offset:         64
        .size:           8
        .value_kind:     global_buffer
      - .offset:         72
        .size:           4
        .value_kind:     by_value
      - .offset:         76
        .size:           4
        .value_kind:     by_value
      - .offset:         80
        .size:           4
        .value_kind:     by_value
      - .actual_access:  write_only
        .address_space:  global
        .offset:         88
        .size:           8
        .value_kind:     global_buffer
      - .actual_access:  write_only
        .address_space:  global
        .offset:         96
        .size:           8
        .value_kind:     global_buffer
      - .actual_access:  write_only
        .address_space:  global
        .offset:         104
        .size:           8
        .value_kind:     global_buffer
      - .actual_access:  read_only
        .address_space:  global
        .offset:         112
        .size:           8
        .value_kind:     global_buffer
      - .offset:         120
        .size:           4
        .value_kind:     by_value
      - .address_space:  global
        .offset:         128
        .size:           8
        .value_kind:     global_buffer
      - .address_space:  global
        .offset:         136
        .size:           8
        .value_kind:     global_buffer
      - .offset:         144
        .size:           4
        .value_kind:     hidden_block_count_x
      - .offset:         148
        .size:           4
        .value_kind:     hidden_block_count_y
      - .offset:         152
        .size:           4
        .value_kind:     hidden_block_count_z
      - .offset:         156
        .size:           2
        .value_kind:     hidden_group_size_x
      - .offset:         158
        .size:           2
        .value_kind:     hidden_group_size_y
      - .offset:         160
        .size:           2
        .value_kind:     hidden_group_size_z
      - .offset:         162
        .size:           2
        .value_kind:     hidden_remainder_x
      - .offset:         164
        .size:           2
        .value_kind:     hidden_remainder_y
      - .offset:         166
        .size:           2
        .value_kind:     hidden_remainder_z
      - .offset:         184
        .size:           8
        .value_kind:     hidden_global_offset_x
      - .offset:         192
        .size:           8
        .value_kind:     hidden_global_offset_y
      - .offset:         200
        .size:           8
        .value_kind:     hidden_global_offset_z
      - .offset:         208
        .size:           2
        .value_kind:     hidden_grid_dims
    .group_segment_fixed_size: 17472
    .kernarg_segment_align: 8
    .kernarg_segment_size: 400
    .language:       OpenCL C
    .language_version:
      - 2
      - 0
    .max_flat_workgroup_size: 256
    .name:           _Z39paged_attention_ll4mi_QKV_mfma16_kernelIDF16_hLN4vllm18Fp8KVCacheDataTypeE1EDF16_Li16ELi128ELi256ELb1ELi6EL8MFMAType0EEvPKT_PKT0_S8_ifPKiSA_SA_iPKfiiiPfSD_PS3_PT2_iSC_SC_
    .private_segment_fixed_size: 0
    .sgpr_count:     38
    .sgpr_spill_count: 0
    .symbol:         _Z39paged_attention_ll4mi_QKV_mfma16_kernelIDF16_hLN4vllm18Fp8KVCacheDataTypeE1EDF16_Li16ELi128ELi256ELb1ELi6EL8MFMAType0EEvPKT_PKT0_S8_ifPKiSA_SA_iPKfiiiPfSD_PS3_PT2_iSC_SC_.kd
    .uniform_work_group_size: 1
    .uses_dynamic_stack: false
    .vgpr_count:     150
    .vgpr_spill_count: 0
    .wavefront_size: 32
    .workgroup_processor_mode: 1
  - .args:
      - .actual_access:  read_only
        .address_space:  global
        .offset:         0
        .size:           8
        .value_kind:     global_buffer
      - .actual_access:  read_only
        .address_space:  global
        .offset:         8
        .size:           8
        .value_kind:     global_buffer
      - .actual_access:  read_only
        .address_space:  global
        .offset:         16
        .size:           8
        .value_kind:     global_buffer
      - .offset:         24
        .size:           4
        .value_kind:     by_value
      - .offset:         28
        .size:           4
        .value_kind:     by_value
      - .actual_access:  read_only
        .address_space:  global
        .offset:         32
        .size:           8
        .value_kind:     global_buffer
      - .actual_access:  read_only
        .address_space:  global
        .offset:         40
        .size:           8
        .value_kind:     global_buffer
      - .actual_access:  read_only
        .address_space:  global
        .offset:         48
        .size:           8
        .value_kind:     global_buffer
      - .offset:         56
        .size:           4
        .value_kind:     by_value
      - .actual_access:  read_only
        .address_space:  global
        .offset:         64
        .size:           8
        .value_kind:     global_buffer
      - .offset:         72
        .size:           4
        .value_kind:     by_value
      - .offset:         76
        .size:           4
        .value_kind:     by_value
      - .offset:         80
        .size:           4
        .value_kind:     by_value
      - .actual_access:  write_only
        .address_space:  global
        .offset:         88
        .size:           8
        .value_kind:     global_buffer
      - .actual_access:  write_only
        .address_space:  global
        .offset:         96
        .size:           8
        .value_kind:     global_buffer
      - .actual_access:  write_only
        .address_space:  global
        .offset:         104
        .size:           8
        .value_kind:     global_buffer
      - .actual_access:  read_only
        .address_space:  global
        .offset:         112
        .size:           8
        .value_kind:     global_buffer
      - .offset:         120
        .size:           4
        .value_kind:     by_value
      - .address_space:  global
        .offset:         128
        .size:           8
        .value_kind:     global_buffer
      - .address_space:  global
        .offset:         136
        .size:           8
        .value_kind:     global_buffer
      - .offset:         144
        .size:           4
        .value_kind:     hidden_block_count_x
      - .offset:         148
        .size:           4
        .value_kind:     hidden_block_count_y
      - .offset:         152
        .size:           4
        .value_kind:     hidden_block_count_z
      - .offset:         156
        .size:           2
        .value_kind:     hidden_group_size_x
      - .offset:         158
        .size:           2
        .value_kind:     hidden_group_size_y
      - .offset:         160
        .size:           2
        .value_kind:     hidden_group_size_z
      - .offset:         162
        .size:           2
        .value_kind:     hidden_remainder_x
      - .offset:         164
        .size:           2
        .value_kind:     hidden_remainder_y
      - .offset:         166
        .size:           2
        .value_kind:     hidden_remainder_z
      - .offset:         184
        .size:           8
        .value_kind:     hidden_global_offset_x
      - .offset:         192
        .size:           8
        .value_kind:     hidden_global_offset_y
      - .offset:         200
        .size:           8
        .value_kind:     hidden_global_offset_z
      - .offset:         208
        .size:           2
        .value_kind:     hidden_grid_dims
    .group_segment_fixed_size: 17472
    .kernarg_segment_align: 8
    .kernarg_segment_size: 400
    .language:       OpenCL C
    .language_version:
      - 2
      - 0
    .max_flat_workgroup_size: 256
    .name:           _Z39paged_attention_ll4mi_QKV_mfma16_kernelIDF16_hLN4vllm18Fp8KVCacheDataTypeE1EDF16_Li16ELi128ELi256ELb1ELi7EL8MFMAType0EEvPKT_PKT0_S8_ifPKiSA_SA_iPKfiiiPfSD_PS3_PT2_iSC_SC_
    .private_segment_fixed_size: 0
    .sgpr_count:     38
    .sgpr_spill_count: 0
    .symbol:         _Z39paged_attention_ll4mi_QKV_mfma16_kernelIDF16_hLN4vllm18Fp8KVCacheDataTypeE1EDF16_Li16ELi128ELi256ELb1ELi7EL8MFMAType0EEvPKT_PKT0_S8_ifPKiSA_SA_iPKfiiiPfSD_PS3_PT2_iSC_SC_.kd
    .uniform_work_group_size: 1
    .uses_dynamic_stack: false
    .vgpr_count:     150
    .vgpr_spill_count: 0
    .wavefront_size: 32
    .workgroup_processor_mode: 1
  - .args:
      - .actual_access:  read_only
        .address_space:  global
        .offset:         0
        .size:           8
        .value_kind:     global_buffer
      - .actual_access:  read_only
        .address_space:  global
        .offset:         8
        .size:           8
        .value_kind:     global_buffer
      - .actual_access:  read_only
        .address_space:  global
        .offset:         16
        .size:           8
        .value_kind:     global_buffer
      - .offset:         24
        .size:           4
        .value_kind:     by_value
      - .offset:         28
        .size:           4
        .value_kind:     by_value
      - .actual_access:  read_only
        .address_space:  global
        .offset:         32
        .size:           8
        .value_kind:     global_buffer
      - .actual_access:  read_only
        .address_space:  global
        .offset:         40
        .size:           8
        .value_kind:     global_buffer
      - .actual_access:  read_only
        .address_space:  global
        .offset:         48
        .size:           8
        .value_kind:     global_buffer
      - .offset:         56
        .size:           4
        .value_kind:     by_value
      - .actual_access:  read_only
        .address_space:  global
        .offset:         64
        .size:           8
        .value_kind:     global_buffer
      - .offset:         72
        .size:           4
        .value_kind:     by_value
      - .offset:         76
        .size:           4
        .value_kind:     by_value
      - .offset:         80
        .size:           4
        .value_kind:     by_value
      - .actual_access:  write_only
        .address_space:  global
        .offset:         88
        .size:           8
        .value_kind:     global_buffer
      - .actual_access:  write_only
        .address_space:  global
        .offset:         96
        .size:           8
        .value_kind:     global_buffer
      - .actual_access:  write_only
        .address_space:  global
        .offset:         104
        .size:           8
        .value_kind:     global_buffer
      - .actual_access:  read_only
        .address_space:  global
        .offset:         112
        .size:           8
        .value_kind:     global_buffer
      - .offset:         120
        .size:           4
        .value_kind:     by_value
      - .address_space:  global
        .offset:         128
        .size:           8
        .value_kind:     global_buffer
      - .address_space:  global
        .offset:         136
        .size:           8
        .value_kind:     global_buffer
      - .offset:         144
        .size:           4
        .value_kind:     hidden_block_count_x
      - .offset:         148
        .size:           4
        .value_kind:     hidden_block_count_y
      - .offset:         152
        .size:           4
        .value_kind:     hidden_block_count_z
      - .offset:         156
        .size:           2
        .value_kind:     hidden_group_size_x
      - .offset:         158
        .size:           2
        .value_kind:     hidden_group_size_y
      - .offset:         160
        .size:           2
        .value_kind:     hidden_group_size_z
      - .offset:         162
        .size:           2
        .value_kind:     hidden_remainder_x
      - .offset:         164
        .size:           2
        .value_kind:     hidden_remainder_y
      - .offset:         166
        .size:           2
        .value_kind:     hidden_remainder_z
      - .offset:         184
        .size:           8
        .value_kind:     hidden_global_offset_x
      - .offset:         192
        .size:           8
        .value_kind:     hidden_global_offset_y
      - .offset:         200
        .size:           8
        .value_kind:     hidden_global_offset_z
      - .offset:         208
        .size:           2
        .value_kind:     hidden_grid_dims
    .group_segment_fixed_size: 17472
    .kernarg_segment_align: 8
    .kernarg_segment_size: 400
    .language:       OpenCL C
    .language_version:
      - 2
      - 0
    .max_flat_workgroup_size: 256
    .name:           _Z39paged_attention_ll4mi_QKV_mfma16_kernelIDF16_hLN4vllm18Fp8KVCacheDataTypeE1EDF16_Li16ELi128ELi256ELb1ELi8EL8MFMAType0EEvPKT_PKT0_S8_ifPKiSA_SA_iPKfiiiPfSD_PS3_PT2_iSC_SC_
    .private_segment_fixed_size: 0
    .sgpr_count:     38
    .sgpr_spill_count: 0
    .symbol:         _Z39paged_attention_ll4mi_QKV_mfma16_kernelIDF16_hLN4vllm18Fp8KVCacheDataTypeE1EDF16_Li16ELi128ELi256ELb1ELi8EL8MFMAType0EEvPKT_PKT0_S8_ifPKiSA_SA_iPKfiiiPfSD_PS3_PT2_iSC_SC_.kd
    .uniform_work_group_size: 1
    .uses_dynamic_stack: false
    .vgpr_count:     140
    .vgpr_spill_count: 0
    .wavefront_size: 32
    .workgroup_processor_mode: 1
  - .args:
      - .actual_access:  read_only
        .address_space:  global
        .offset:         0
        .size:           8
        .value_kind:     global_buffer
      - .actual_access:  read_only
        .address_space:  global
        .offset:         8
        .size:           8
        .value_kind:     global_buffer
      - .actual_access:  read_only
        .address_space:  global
        .offset:         16
        .size:           8
        .value_kind:     global_buffer
      - .offset:         24
        .size:           4
        .value_kind:     by_value
      - .offset:         28
        .size:           4
        .value_kind:     by_value
      - .actual_access:  read_only
        .address_space:  global
        .offset:         32
        .size:           8
        .value_kind:     global_buffer
      - .actual_access:  read_only
        .address_space:  global
        .offset:         40
        .size:           8
        .value_kind:     global_buffer
      - .actual_access:  read_only
        .address_space:  global
        .offset:         48
        .size:           8
        .value_kind:     global_buffer
      - .offset:         56
        .size:           4
        .value_kind:     by_value
      - .actual_access:  read_only
        .address_space:  global
        .offset:         64
        .size:           8
        .value_kind:     global_buffer
      - .offset:         72
        .size:           4
        .value_kind:     by_value
      - .offset:         76
        .size:           4
        .value_kind:     by_value
      - .offset:         80
        .size:           4
        .value_kind:     by_value
      - .actual_access:  write_only
        .address_space:  global
        .offset:         88
        .size:           8
        .value_kind:     global_buffer
      - .actual_access:  write_only
        .address_space:  global
        .offset:         96
        .size:           8
        .value_kind:     global_buffer
      - .actual_access:  write_only
        .address_space:  global
        .offset:         104
        .size:           8
        .value_kind:     global_buffer
      - .actual_access:  read_only
        .address_space:  global
        .offset:         112
        .size:           8
        .value_kind:     global_buffer
      - .offset:         120
        .size:           4
        .value_kind:     by_value
      - .address_space:  global
        .offset:         128
        .size:           8
        .value_kind:     global_buffer
      - .address_space:  global
        .offset:         136
        .size:           8
        .value_kind:     global_buffer
      - .offset:         144
        .size:           4
        .value_kind:     hidden_block_count_x
      - .offset:         148
        .size:           4
        .value_kind:     hidden_block_count_y
      - .offset:         152
        .size:           4
        .value_kind:     hidden_block_count_z
      - .offset:         156
        .size:           2
        .value_kind:     hidden_group_size_x
      - .offset:         158
        .size:           2
        .value_kind:     hidden_group_size_y
      - .offset:         160
        .size:           2
        .value_kind:     hidden_group_size_z
      - .offset:         162
        .size:           2
        .value_kind:     hidden_remainder_x
      - .offset:         164
        .size:           2
        .value_kind:     hidden_remainder_y
      - .offset:         166
        .size:           2
        .value_kind:     hidden_remainder_z
      - .offset:         184
        .size:           8
        .value_kind:     hidden_global_offset_x
      - .offset:         192
        .size:           8
        .value_kind:     hidden_global_offset_y
      - .offset:         200
        .size:           8
        .value_kind:     hidden_global_offset_z
      - .offset:         208
        .size:           2
        .value_kind:     hidden_grid_dims
    .group_segment_fixed_size: 17472
    .kernarg_segment_align: 8
    .kernarg_segment_size: 400
    .language:       OpenCL C
    .language_version:
      - 2
      - 0
    .max_flat_workgroup_size: 256
    .name:           _Z39paged_attention_ll4mi_QKV_mfma16_kernelIDF16_hLN4vllm18Fp8KVCacheDataTypeE1EDF16_Li16ELi128ELi256ELb1ELi9EL8MFMAType0EEvPKT_PKT0_S8_ifPKiSA_SA_iPKfiiiPfSD_PS3_PT2_iSC_SC_
    .private_segment_fixed_size: 0
    .sgpr_count:     38
    .sgpr_spill_count: 0
    .symbol:         _Z39paged_attention_ll4mi_QKV_mfma16_kernelIDF16_hLN4vllm18Fp8KVCacheDataTypeE1EDF16_Li16ELi128ELi256ELb1ELi9EL8MFMAType0EEvPKT_PKT0_S8_ifPKiSA_SA_iPKfiiiPfSD_PS3_PT2_iSC_SC_.kd
    .uniform_work_group_size: 1
    .uses_dynamic_stack: false
    .vgpr_count:     150
    .vgpr_spill_count: 0
    .wavefront_size: 32
    .workgroup_processor_mode: 1
  - .args:
      - .actual_access:  read_only
        .address_space:  global
        .offset:         0
        .size:           8
        .value_kind:     global_buffer
      - .actual_access:  read_only
        .address_space:  global
        .offset:         8
        .size:           8
        .value_kind:     global_buffer
      - .actual_access:  read_only
        .address_space:  global
        .offset:         16
        .size:           8
        .value_kind:     global_buffer
      - .offset:         24
        .size:           4
        .value_kind:     by_value
      - .offset:         28
        .size:           4
        .value_kind:     by_value
      - .actual_access:  read_only
        .address_space:  global
        .offset:         32
        .size:           8
        .value_kind:     global_buffer
      - .actual_access:  read_only
        .address_space:  global
        .offset:         40
        .size:           8
        .value_kind:     global_buffer
      - .actual_access:  read_only
        .address_space:  global
        .offset:         48
        .size:           8
        .value_kind:     global_buffer
      - .offset:         56
        .size:           4
        .value_kind:     by_value
      - .actual_access:  read_only
        .address_space:  global
        .offset:         64
        .size:           8
        .value_kind:     global_buffer
      - .offset:         72
        .size:           4
        .value_kind:     by_value
      - .offset:         76
        .size:           4
        .value_kind:     by_value
      - .offset:         80
        .size:           4
        .value_kind:     by_value
      - .actual_access:  write_only
        .address_space:  global
        .offset:         88
        .size:           8
        .value_kind:     global_buffer
      - .actual_access:  write_only
        .address_space:  global
        .offset:         96
        .size:           8
        .value_kind:     global_buffer
      - .actual_access:  write_only
        .address_space:  global
        .offset:         104
        .size:           8
        .value_kind:     global_buffer
      - .actual_access:  read_only
        .address_space:  global
        .offset:         112
        .size:           8
        .value_kind:     global_buffer
      - .offset:         120
        .size:           4
        .value_kind:     by_value
      - .address_space:  global
        .offset:         128
        .size:           8
        .value_kind:     global_buffer
      - .address_space:  global
        .offset:         136
        .size:           8
        .value_kind:     global_buffer
      - .offset:         144
        .size:           4
        .value_kind:     hidden_block_count_x
      - .offset:         148
        .size:           4
        .value_kind:     hidden_block_count_y
      - .offset:         152
        .size:           4
        .value_kind:     hidden_block_count_z
      - .offset:         156
        .size:           2
        .value_kind:     hidden_group_size_x
      - .offset:         158
        .size:           2
        .value_kind:     hidden_group_size_y
      - .offset:         160
        .size:           2
        .value_kind:     hidden_group_size_z
      - .offset:         162
        .size:           2
        .value_kind:     hidden_remainder_x
      - .offset:         164
        .size:           2
        .value_kind:     hidden_remainder_y
      - .offset:         166
        .size:           2
        .value_kind:     hidden_remainder_z
      - .offset:         184
        .size:           8
        .value_kind:     hidden_global_offset_x
      - .offset:         192
        .size:           8
        .value_kind:     hidden_global_offset_y
      - .offset:         200
        .size:           8
        .value_kind:     hidden_global_offset_z
      - .offset:         208
        .size:           2
        .value_kind:     hidden_grid_dims
    .group_segment_fixed_size: 17472
    .kernarg_segment_align: 8
    .kernarg_segment_size: 400
    .language:       OpenCL C
    .language_version:
      - 2
      - 0
    .max_flat_workgroup_size: 256
    .name:           _Z39paged_attention_ll4mi_QKV_mfma16_kernelIDF16_hLN4vllm18Fp8KVCacheDataTypeE1EDF16_Li16ELi128ELi256ELb1ELi10EL8MFMAType0EEvPKT_PKT0_S8_ifPKiSA_SA_iPKfiiiPfSD_PS3_PT2_iSC_SC_
    .private_segment_fixed_size: 0
    .sgpr_count:     38
    .sgpr_spill_count: 0
    .symbol:         _Z39paged_attention_ll4mi_QKV_mfma16_kernelIDF16_hLN4vllm18Fp8KVCacheDataTypeE1EDF16_Li16ELi128ELi256ELb1ELi10EL8MFMAType0EEvPKT_PKT0_S8_ifPKiSA_SA_iPKfiiiPfSD_PS3_PT2_iSC_SC_.kd
    .uniform_work_group_size: 1
    .uses_dynamic_stack: false
    .vgpr_count:     150
    .vgpr_spill_count: 0
    .wavefront_size: 32
    .workgroup_processor_mode: 1
  - .args:
      - .actual_access:  read_only
        .address_space:  global
        .offset:         0
        .size:           8
        .value_kind:     global_buffer
      - .actual_access:  read_only
        .address_space:  global
        .offset:         8
        .size:           8
        .value_kind:     global_buffer
      - .actual_access:  read_only
        .address_space:  global
        .offset:         16
        .size:           8
        .value_kind:     global_buffer
      - .offset:         24
        .size:           4
        .value_kind:     by_value
      - .offset:         28
        .size:           4
        .value_kind:     by_value
      - .actual_access:  read_only
        .address_space:  global
        .offset:         32
        .size:           8
        .value_kind:     global_buffer
      - .actual_access:  read_only
        .address_space:  global
        .offset:         40
        .size:           8
        .value_kind:     global_buffer
      - .actual_access:  read_only
        .address_space:  global
        .offset:         48
        .size:           8
        .value_kind:     global_buffer
      - .offset:         56
        .size:           4
        .value_kind:     by_value
      - .actual_access:  read_only
        .address_space:  global
        .offset:         64
        .size:           8
        .value_kind:     global_buffer
      - .offset:         72
        .size:           4
        .value_kind:     by_value
      - .offset:         76
        .size:           4
        .value_kind:     by_value
      - .offset:         80
        .size:           4
        .value_kind:     by_value
      - .actual_access:  write_only
        .address_space:  global
        .offset:         88
        .size:           8
        .value_kind:     global_buffer
      - .actual_access:  write_only
        .address_space:  global
        .offset:         96
        .size:           8
        .value_kind:     global_buffer
      - .actual_access:  write_only
        .address_space:  global
        .offset:         104
        .size:           8
        .value_kind:     global_buffer
      - .actual_access:  read_only
        .address_space:  global
        .offset:         112
        .size:           8
        .value_kind:     global_buffer
      - .offset:         120
        .size:           4
        .value_kind:     by_value
      - .address_space:  global
        .offset:         128
        .size:           8
        .value_kind:     global_buffer
      - .address_space:  global
        .offset:         136
        .size:           8
        .value_kind:     global_buffer
      - .offset:         144
        .size:           4
        .value_kind:     hidden_block_count_x
      - .offset:         148
        .size:           4
        .value_kind:     hidden_block_count_y
      - .offset:         152
        .size:           4
        .value_kind:     hidden_block_count_z
      - .offset:         156
        .size:           2
        .value_kind:     hidden_group_size_x
      - .offset:         158
        .size:           2
        .value_kind:     hidden_group_size_y
      - .offset:         160
        .size:           2
        .value_kind:     hidden_group_size_z
      - .offset:         162
        .size:           2
        .value_kind:     hidden_remainder_x
      - .offset:         164
        .size:           2
        .value_kind:     hidden_remainder_y
      - .offset:         166
        .size:           2
        .value_kind:     hidden_remainder_z
      - .offset:         184
        .size:           8
        .value_kind:     hidden_global_offset_x
      - .offset:         192
        .size:           8
        .value_kind:     hidden_global_offset_y
      - .offset:         200
        .size:           8
        .value_kind:     hidden_global_offset_z
      - .offset:         208
        .size:           2
        .value_kind:     hidden_grid_dims
    .group_segment_fixed_size: 17472
    .kernarg_segment_align: 8
    .kernarg_segment_size: 400
    .language:       OpenCL C
    .language_version:
      - 2
      - 0
    .max_flat_workgroup_size: 256
    .name:           _Z39paged_attention_ll4mi_QKV_mfma16_kernelIDF16_hLN4vllm18Fp8KVCacheDataTypeE1EDF16_Li16ELi128ELi256ELb1ELi11EL8MFMAType0EEvPKT_PKT0_S8_ifPKiSA_SA_iPKfiiiPfSD_PS3_PT2_iSC_SC_
    .private_segment_fixed_size: 0
    .sgpr_count:     38
    .sgpr_spill_count: 0
    .symbol:         _Z39paged_attention_ll4mi_QKV_mfma16_kernelIDF16_hLN4vllm18Fp8KVCacheDataTypeE1EDF16_Li16ELi128ELi256ELb1ELi11EL8MFMAType0EEvPKT_PKT0_S8_ifPKiSA_SA_iPKfiiiPfSD_PS3_PT2_iSC_SC_.kd
    .uniform_work_group_size: 1
    .uses_dynamic_stack: false
    .vgpr_count:     150
    .vgpr_spill_count: 0
    .wavefront_size: 32
    .workgroup_processor_mode: 1
  - .args:
      - .actual_access:  read_only
        .address_space:  global
        .offset:         0
        .size:           8
        .value_kind:     global_buffer
      - .actual_access:  read_only
        .address_space:  global
        .offset:         8
        .size:           8
        .value_kind:     global_buffer
      - .actual_access:  read_only
        .address_space:  global
        .offset:         16
        .size:           8
        .value_kind:     global_buffer
      - .offset:         24
        .size:           4
        .value_kind:     by_value
      - .offset:         28
        .size:           4
        .value_kind:     by_value
      - .actual_access:  read_only
        .address_space:  global
        .offset:         32
        .size:           8
        .value_kind:     global_buffer
      - .actual_access:  read_only
        .address_space:  global
        .offset:         40
        .size:           8
        .value_kind:     global_buffer
      - .actual_access:  read_only
        .address_space:  global
        .offset:         48
        .size:           8
        .value_kind:     global_buffer
      - .offset:         56
        .size:           4
        .value_kind:     by_value
      - .actual_access:  read_only
        .address_space:  global
        .offset:         64
        .size:           8
        .value_kind:     global_buffer
      - .offset:         72
        .size:           4
        .value_kind:     by_value
      - .offset:         76
        .size:           4
        .value_kind:     by_value
      - .offset:         80
        .size:           4
        .value_kind:     by_value
      - .actual_access:  write_only
        .address_space:  global
        .offset:         88
        .size:           8
        .value_kind:     global_buffer
      - .actual_access:  write_only
        .address_space:  global
        .offset:         96
        .size:           8
        .value_kind:     global_buffer
      - .actual_access:  write_only
        .address_space:  global
        .offset:         104
        .size:           8
        .value_kind:     global_buffer
      - .actual_access:  read_only
        .address_space:  global
        .offset:         112
        .size:           8
        .value_kind:     global_buffer
      - .offset:         120
        .size:           4
        .value_kind:     by_value
      - .address_space:  global
        .offset:         128
        .size:           8
        .value_kind:     global_buffer
      - .address_space:  global
        .offset:         136
        .size:           8
        .value_kind:     global_buffer
      - .offset:         144
        .size:           4
        .value_kind:     hidden_block_count_x
      - .offset:         148
        .size:           4
        .value_kind:     hidden_block_count_y
      - .offset:         152
        .size:           4
        .value_kind:     hidden_block_count_z
      - .offset:         156
        .size:           2
        .value_kind:     hidden_group_size_x
      - .offset:         158
        .size:           2
        .value_kind:     hidden_group_size_y
      - .offset:         160
        .size:           2
        .value_kind:     hidden_group_size_z
      - .offset:         162
        .size:           2
        .value_kind:     hidden_remainder_x
      - .offset:         164
        .size:           2
        .value_kind:     hidden_remainder_y
      - .offset:         166
        .size:           2
        .value_kind:     hidden_remainder_z
      - .offset:         184
        .size:           8
        .value_kind:     hidden_global_offset_x
      - .offset:         192
        .size:           8
        .value_kind:     hidden_global_offset_y
      - .offset:         200
        .size:           8
        .value_kind:     hidden_global_offset_z
      - .offset:         208
        .size:           2
        .value_kind:     hidden_grid_dims
    .group_segment_fixed_size: 17472
    .kernarg_segment_align: 8
    .kernarg_segment_size: 400
    .language:       OpenCL C
    .language_version:
      - 2
      - 0
    .max_flat_workgroup_size: 256
    .name:           _Z39paged_attention_ll4mi_QKV_mfma16_kernelIDF16_hLN4vllm18Fp8KVCacheDataTypeE1EDF16_Li16ELi128ELi256ELb1ELi12EL8MFMAType0EEvPKT_PKT0_S8_ifPKiSA_SA_iPKfiiiPfSD_PS3_PT2_iSC_SC_
    .private_segment_fixed_size: 0
    .sgpr_count:     38
    .sgpr_spill_count: 0
    .symbol:         _Z39paged_attention_ll4mi_QKV_mfma16_kernelIDF16_hLN4vllm18Fp8KVCacheDataTypeE1EDF16_Li16ELi128ELi256ELb1ELi12EL8MFMAType0EEvPKT_PKT0_S8_ifPKiSA_SA_iPKfiiiPfSD_PS3_PT2_iSC_SC_.kd
    .uniform_work_group_size: 1
    .uses_dynamic_stack: false
    .vgpr_count:     150
    .vgpr_spill_count: 0
    .wavefront_size: 32
    .workgroup_processor_mode: 1
  - .args:
      - .actual_access:  read_only
        .address_space:  global
        .offset:         0
        .size:           8
        .value_kind:     global_buffer
      - .actual_access:  read_only
        .address_space:  global
        .offset:         8
        .size:           8
        .value_kind:     global_buffer
      - .actual_access:  read_only
        .address_space:  global
        .offset:         16
        .size:           8
        .value_kind:     global_buffer
      - .offset:         24
        .size:           4
        .value_kind:     by_value
      - .offset:         28
        .size:           4
        .value_kind:     by_value
      - .actual_access:  read_only
        .address_space:  global
        .offset:         32
        .size:           8
        .value_kind:     global_buffer
      - .actual_access:  read_only
        .address_space:  global
        .offset:         40
        .size:           8
        .value_kind:     global_buffer
      - .actual_access:  read_only
        .address_space:  global
        .offset:         48
        .size:           8
        .value_kind:     global_buffer
      - .offset:         56
        .size:           4
        .value_kind:     by_value
      - .actual_access:  read_only
        .address_space:  global
        .offset:         64
        .size:           8
        .value_kind:     global_buffer
      - .offset:         72
        .size:           4
        .value_kind:     by_value
      - .offset:         76
        .size:           4
        .value_kind:     by_value
      - .offset:         80
        .size:           4
        .value_kind:     by_value
      - .actual_access:  write_only
        .address_space:  global
        .offset:         88
        .size:           8
        .value_kind:     global_buffer
      - .actual_access:  write_only
        .address_space:  global
        .offset:         96
        .size:           8
        .value_kind:     global_buffer
      - .actual_access:  write_only
        .address_space:  global
        .offset:         104
        .size:           8
        .value_kind:     global_buffer
      - .actual_access:  read_only
        .address_space:  global
        .offset:         112
        .size:           8
        .value_kind:     global_buffer
      - .offset:         120
        .size:           4
        .value_kind:     by_value
      - .address_space:  global
        .offset:         128
        .size:           8
        .value_kind:     global_buffer
      - .address_space:  global
        .offset:         136
        .size:           8
        .value_kind:     global_buffer
      - .offset:         144
        .size:           4
        .value_kind:     hidden_block_count_x
      - .offset:         148
        .size:           4
        .value_kind:     hidden_block_count_y
      - .offset:         152
        .size:           4
        .value_kind:     hidden_block_count_z
      - .offset:         156
        .size:           2
        .value_kind:     hidden_group_size_x
      - .offset:         158
        .size:           2
        .value_kind:     hidden_group_size_y
      - .offset:         160
        .size:           2
        .value_kind:     hidden_group_size_z
      - .offset:         162
        .size:           2
        .value_kind:     hidden_remainder_x
      - .offset:         164
        .size:           2
        .value_kind:     hidden_remainder_y
      - .offset:         166
        .size:           2
        .value_kind:     hidden_remainder_z
      - .offset:         184
        .size:           8
        .value_kind:     hidden_global_offset_x
      - .offset:         192
        .size:           8
        .value_kind:     hidden_global_offset_y
      - .offset:         200
        .size:           8
        .value_kind:     hidden_global_offset_z
      - .offset:         208
        .size:           2
        .value_kind:     hidden_grid_dims
    .group_segment_fixed_size: 17472
    .kernarg_segment_align: 8
    .kernarg_segment_size: 400
    .language:       OpenCL C
    .language_version:
      - 2
      - 0
    .max_flat_workgroup_size: 256
    .name:           _Z39paged_attention_ll4mi_QKV_mfma16_kernelIDF16_hLN4vllm18Fp8KVCacheDataTypeE1EDF16_Li16ELi128ELi256ELb1ELi13EL8MFMAType0EEvPKT_PKT0_S8_ifPKiSA_SA_iPKfiiiPfSD_PS3_PT2_iSC_SC_
    .private_segment_fixed_size: 0
    .sgpr_count:     38
    .sgpr_spill_count: 0
    .symbol:         _Z39paged_attention_ll4mi_QKV_mfma16_kernelIDF16_hLN4vllm18Fp8KVCacheDataTypeE1EDF16_Li16ELi128ELi256ELb1ELi13EL8MFMAType0EEvPKT_PKT0_S8_ifPKiSA_SA_iPKfiiiPfSD_PS3_PT2_iSC_SC_.kd
    .uniform_work_group_size: 1
    .uses_dynamic_stack: false
    .vgpr_count:     150
    .vgpr_spill_count: 0
    .wavefront_size: 32
    .workgroup_processor_mode: 1
  - .args:
      - .actual_access:  read_only
        .address_space:  global
        .offset:         0
        .size:           8
        .value_kind:     global_buffer
      - .actual_access:  read_only
        .address_space:  global
        .offset:         8
        .size:           8
        .value_kind:     global_buffer
      - .actual_access:  read_only
        .address_space:  global
        .offset:         16
        .size:           8
        .value_kind:     global_buffer
      - .offset:         24
        .size:           4
        .value_kind:     by_value
      - .offset:         28
        .size:           4
        .value_kind:     by_value
      - .actual_access:  read_only
        .address_space:  global
        .offset:         32
        .size:           8
        .value_kind:     global_buffer
      - .actual_access:  read_only
        .address_space:  global
        .offset:         40
        .size:           8
        .value_kind:     global_buffer
      - .actual_access:  read_only
        .address_space:  global
        .offset:         48
        .size:           8
        .value_kind:     global_buffer
      - .offset:         56
        .size:           4
        .value_kind:     by_value
      - .actual_access:  read_only
        .address_space:  global
        .offset:         64
        .size:           8
        .value_kind:     global_buffer
      - .offset:         72
        .size:           4
        .value_kind:     by_value
      - .offset:         76
        .size:           4
        .value_kind:     by_value
      - .offset:         80
        .size:           4
        .value_kind:     by_value
      - .actual_access:  write_only
        .address_space:  global
        .offset:         88
        .size:           8
        .value_kind:     global_buffer
      - .actual_access:  write_only
        .address_space:  global
        .offset:         96
        .size:           8
        .value_kind:     global_buffer
      - .actual_access:  write_only
        .address_space:  global
        .offset:         104
        .size:           8
        .value_kind:     global_buffer
      - .actual_access:  read_only
        .address_space:  global
        .offset:         112
        .size:           8
        .value_kind:     global_buffer
      - .offset:         120
        .size:           4
        .value_kind:     by_value
      - .address_space:  global
        .offset:         128
        .size:           8
        .value_kind:     global_buffer
      - .address_space:  global
        .offset:         136
        .size:           8
        .value_kind:     global_buffer
      - .offset:         144
        .size:           4
        .value_kind:     hidden_block_count_x
      - .offset:         148
        .size:           4
        .value_kind:     hidden_block_count_y
      - .offset:         152
        .size:           4
        .value_kind:     hidden_block_count_z
      - .offset:         156
        .size:           2
        .value_kind:     hidden_group_size_x
      - .offset:         158
        .size:           2
        .value_kind:     hidden_group_size_y
      - .offset:         160
        .size:           2
        .value_kind:     hidden_group_size_z
      - .offset:         162
        .size:           2
        .value_kind:     hidden_remainder_x
      - .offset:         164
        .size:           2
        .value_kind:     hidden_remainder_y
      - .offset:         166
        .size:           2
        .value_kind:     hidden_remainder_z
      - .offset:         184
        .size:           8
        .value_kind:     hidden_global_offset_x
      - .offset:         192
        .size:           8
        .value_kind:     hidden_global_offset_y
      - .offset:         200
        .size:           8
        .value_kind:     hidden_global_offset_z
      - .offset:         208
        .size:           2
        .value_kind:     hidden_grid_dims
    .group_segment_fixed_size: 17472
    .kernarg_segment_align: 8
    .kernarg_segment_size: 400
    .language:       OpenCL C
    .language_version:
      - 2
      - 0
    .max_flat_workgroup_size: 256
    .name:           _Z39paged_attention_ll4mi_QKV_mfma16_kernelIDF16_hLN4vllm18Fp8KVCacheDataTypeE1EDF16_Li16ELi128ELi256ELb1ELi14EL8MFMAType0EEvPKT_PKT0_S8_ifPKiSA_SA_iPKfiiiPfSD_PS3_PT2_iSC_SC_
    .private_segment_fixed_size: 0
    .sgpr_count:     38
    .sgpr_spill_count: 0
    .symbol:         _Z39paged_attention_ll4mi_QKV_mfma16_kernelIDF16_hLN4vllm18Fp8KVCacheDataTypeE1EDF16_Li16ELi128ELi256ELb1ELi14EL8MFMAType0EEvPKT_PKT0_S8_ifPKiSA_SA_iPKfiiiPfSD_PS3_PT2_iSC_SC_.kd
    .uniform_work_group_size: 1
    .uses_dynamic_stack: false
    .vgpr_count:     150
    .vgpr_spill_count: 0
    .wavefront_size: 32
    .workgroup_processor_mode: 1
  - .args:
      - .actual_access:  read_only
        .address_space:  global
        .offset:         0
        .size:           8
        .value_kind:     global_buffer
      - .actual_access:  read_only
        .address_space:  global
        .offset:         8
        .size:           8
        .value_kind:     global_buffer
      - .actual_access:  read_only
        .address_space:  global
        .offset:         16
        .size:           8
        .value_kind:     global_buffer
      - .offset:         24
        .size:           4
        .value_kind:     by_value
      - .offset:         28
        .size:           4
        .value_kind:     by_value
      - .actual_access:  read_only
        .address_space:  global
        .offset:         32
        .size:           8
        .value_kind:     global_buffer
      - .actual_access:  read_only
        .address_space:  global
        .offset:         40
        .size:           8
        .value_kind:     global_buffer
      - .actual_access:  read_only
        .address_space:  global
        .offset:         48
        .size:           8
        .value_kind:     global_buffer
      - .offset:         56
        .size:           4
        .value_kind:     by_value
      - .actual_access:  read_only
        .address_space:  global
        .offset:         64
        .size:           8
        .value_kind:     global_buffer
      - .offset:         72
        .size:           4
        .value_kind:     by_value
      - .offset:         76
        .size:           4
        .value_kind:     by_value
      - .offset:         80
        .size:           4
        .value_kind:     by_value
      - .actual_access:  write_only
        .address_space:  global
        .offset:         88
        .size:           8
        .value_kind:     global_buffer
      - .actual_access:  write_only
        .address_space:  global
        .offset:         96
        .size:           8
        .value_kind:     global_buffer
      - .actual_access:  write_only
        .address_space:  global
        .offset:         104
        .size:           8
        .value_kind:     global_buffer
      - .actual_access:  read_only
        .address_space:  global
        .offset:         112
        .size:           8
        .value_kind:     global_buffer
      - .offset:         120
        .size:           4
        .value_kind:     by_value
      - .address_space:  global
        .offset:         128
        .size:           8
        .value_kind:     global_buffer
      - .address_space:  global
        .offset:         136
        .size:           8
        .value_kind:     global_buffer
      - .offset:         144
        .size:           4
        .value_kind:     hidden_block_count_x
      - .offset:         148
        .size:           4
        .value_kind:     hidden_block_count_y
      - .offset:         152
        .size:           4
        .value_kind:     hidden_block_count_z
      - .offset:         156
        .size:           2
        .value_kind:     hidden_group_size_x
      - .offset:         158
        .size:           2
        .value_kind:     hidden_group_size_y
      - .offset:         160
        .size:           2
        .value_kind:     hidden_group_size_z
      - .offset:         162
        .size:           2
        .value_kind:     hidden_remainder_x
      - .offset:         164
        .size:           2
        .value_kind:     hidden_remainder_y
      - .offset:         166
        .size:           2
        .value_kind:     hidden_remainder_z
      - .offset:         184
        .size:           8
        .value_kind:     hidden_global_offset_x
      - .offset:         192
        .size:           8
        .value_kind:     hidden_global_offset_y
      - .offset:         200
        .size:           8
        .value_kind:     hidden_global_offset_z
      - .offset:         208
        .size:           2
        .value_kind:     hidden_grid_dims
    .group_segment_fixed_size: 17472
    .kernarg_segment_align: 8
    .kernarg_segment_size: 400
    .language:       OpenCL C
    .language_version:
      - 2
      - 0
    .max_flat_workgroup_size: 256
    .name:           _Z39paged_attention_ll4mi_QKV_mfma16_kernelIDF16_hLN4vllm18Fp8KVCacheDataTypeE1EDF16_Li16ELi128ELi256ELb1ELi15EL8MFMAType0EEvPKT_PKT0_S8_ifPKiSA_SA_iPKfiiiPfSD_PS3_PT2_iSC_SC_
    .private_segment_fixed_size: 0
    .sgpr_count:     38
    .sgpr_spill_count: 0
    .symbol:         _Z39paged_attention_ll4mi_QKV_mfma16_kernelIDF16_hLN4vllm18Fp8KVCacheDataTypeE1EDF16_Li16ELi128ELi256ELb1ELi15EL8MFMAType0EEvPKT_PKT0_S8_ifPKiSA_SA_iPKfiiiPfSD_PS3_PT2_iSC_SC_.kd
    .uniform_work_group_size: 1
    .uses_dynamic_stack: false
    .vgpr_count:     150
    .vgpr_spill_count: 0
    .wavefront_size: 32
    .workgroup_processor_mode: 1
  - .args:
      - .actual_access:  read_only
        .address_space:  global
        .offset:         0
        .size:           8
        .value_kind:     global_buffer
      - .actual_access:  read_only
        .address_space:  global
        .offset:         8
        .size:           8
        .value_kind:     global_buffer
      - .actual_access:  read_only
        .address_space:  global
        .offset:         16
        .size:           8
        .value_kind:     global_buffer
      - .offset:         24
        .size:           4
        .value_kind:     by_value
      - .offset:         28
        .size:           4
        .value_kind:     by_value
      - .actual_access:  read_only
        .address_space:  global
        .offset:         32
        .size:           8
        .value_kind:     global_buffer
      - .actual_access:  read_only
        .address_space:  global
        .offset:         40
        .size:           8
        .value_kind:     global_buffer
      - .actual_access:  read_only
        .address_space:  global
        .offset:         48
        .size:           8
        .value_kind:     global_buffer
      - .offset:         56
        .size:           4
        .value_kind:     by_value
      - .actual_access:  read_only
        .address_space:  global
        .offset:         64
        .size:           8
        .value_kind:     global_buffer
      - .offset:         72
        .size:           4
        .value_kind:     by_value
      - .offset:         76
        .size:           4
        .value_kind:     by_value
      - .offset:         80
        .size:           4
        .value_kind:     by_value
      - .actual_access:  write_only
        .address_space:  global
        .offset:         88
        .size:           8
        .value_kind:     global_buffer
      - .actual_access:  write_only
        .address_space:  global
        .offset:         96
        .size:           8
        .value_kind:     global_buffer
      - .actual_access:  write_only
        .address_space:  global
        .offset:         104
        .size:           8
        .value_kind:     global_buffer
      - .actual_access:  read_only
        .address_space:  global
        .offset:         112
        .size:           8
        .value_kind:     global_buffer
      - .offset:         120
        .size:           4
        .value_kind:     by_value
      - .address_space:  global
        .offset:         128
        .size:           8
        .value_kind:     global_buffer
      - .address_space:  global
        .offset:         136
        .size:           8
        .value_kind:     global_buffer
      - .offset:         144
        .size:           4
        .value_kind:     hidden_block_count_x
      - .offset:         148
        .size:           4
        .value_kind:     hidden_block_count_y
      - .offset:         152
        .size:           4
        .value_kind:     hidden_block_count_z
      - .offset:         156
        .size:           2
        .value_kind:     hidden_group_size_x
      - .offset:         158
        .size:           2
        .value_kind:     hidden_group_size_y
      - .offset:         160
        .size:           2
        .value_kind:     hidden_group_size_z
      - .offset:         162
        .size:           2
        .value_kind:     hidden_remainder_x
      - .offset:         164
        .size:           2
        .value_kind:     hidden_remainder_y
      - .offset:         166
        .size:           2
        .value_kind:     hidden_remainder_z
      - .offset:         184
        .size:           8
        .value_kind:     hidden_global_offset_x
      - .offset:         192
        .size:           8
        .value_kind:     hidden_global_offset_y
      - .offset:         200
        .size:           8
        .value_kind:     hidden_global_offset_z
      - .offset:         208
        .size:           2
        .value_kind:     hidden_grid_dims
    .group_segment_fixed_size: 17472
    .kernarg_segment_align: 8
    .kernarg_segment_size: 400
    .language:       OpenCL C
    .language_version:
      - 2
      - 0
    .max_flat_workgroup_size: 256
    .name:           _Z39paged_attention_ll4mi_QKV_mfma16_kernelIDF16_hLN4vllm18Fp8KVCacheDataTypeE1EDF16_Li16ELi128ELi256ELb1ELi16EL8MFMAType0EEvPKT_PKT0_S8_ifPKiSA_SA_iPKfiiiPfSD_PS3_PT2_iSC_SC_
    .private_segment_fixed_size: 0
    .sgpr_count:     37
    .sgpr_spill_count: 0
    .symbol:         _Z39paged_attention_ll4mi_QKV_mfma16_kernelIDF16_hLN4vllm18Fp8KVCacheDataTypeE1EDF16_Li16ELi128ELi256ELb1ELi16EL8MFMAType0EEvPKT_PKT0_S8_ifPKiSA_SA_iPKfiiiPfSD_PS3_PT2_iSC_SC_.kd
    .uniform_work_group_size: 1
    .uses_dynamic_stack: false
    .vgpr_count:     140
    .vgpr_spill_count: 0
    .wavefront_size: 32
    .workgroup_processor_mode: 1
  - .args:
      - .actual_access:  read_only
        .address_space:  global
        .offset:         0
        .size:           8
        .value_kind:     global_buffer
      - .actual_access:  read_only
        .address_space:  global
        .offset:         8
        .size:           8
        .value_kind:     global_buffer
      - .actual_access:  read_only
        .address_space:  global
        .offset:         16
        .size:           8
        .value_kind:     global_buffer
      - .offset:         24
        .size:           4
        .value_kind:     by_value
      - .offset:         28
        .size:           4
        .value_kind:     by_value
      - .actual_access:  read_only
        .address_space:  global
        .offset:         32
        .size:           8
        .value_kind:     global_buffer
      - .actual_access:  read_only
        .address_space:  global
        .offset:         40
        .size:           8
        .value_kind:     global_buffer
      - .actual_access:  read_only
        .address_space:  global
        .offset:         48
        .size:           8
        .value_kind:     global_buffer
      - .offset:         56
        .size:           4
        .value_kind:     by_value
      - .actual_access:  read_only
        .address_space:  global
        .offset:         64
        .size:           8
        .value_kind:     global_buffer
      - .offset:         72
        .size:           4
        .value_kind:     by_value
      - .offset:         76
        .size:           4
        .value_kind:     by_value
      - .offset:         80
        .size:           4
        .value_kind:     by_value
      - .actual_access:  write_only
        .address_space:  global
        .offset:         88
        .size:           8
        .value_kind:     global_buffer
      - .actual_access:  write_only
        .address_space:  global
        .offset:         96
        .size:           8
        .value_kind:     global_buffer
      - .actual_access:  write_only
        .address_space:  global
        .offset:         104
        .size:           8
        .value_kind:     global_buffer
      - .actual_access:  read_only
        .address_space:  global
        .offset:         112
        .size:           8
        .value_kind:     global_buffer
      - .offset:         120
        .size:           4
        .value_kind:     by_value
      - .address_space:  global
        .offset:         128
        .size:           8
        .value_kind:     global_buffer
      - .address_space:  global
        .offset:         136
        .size:           8
        .value_kind:     global_buffer
      - .offset:         144
        .size:           4
        .value_kind:     hidden_block_count_x
      - .offset:         148
        .size:           4
        .value_kind:     hidden_block_count_y
      - .offset:         152
        .size:           4
        .value_kind:     hidden_block_count_z
      - .offset:         156
        .size:           2
        .value_kind:     hidden_group_size_x
      - .offset:         158
        .size:           2
        .value_kind:     hidden_group_size_y
      - .offset:         160
        .size:           2
        .value_kind:     hidden_group_size_z
      - .offset:         162
        .size:           2
        .value_kind:     hidden_remainder_x
      - .offset:         164
        .size:           2
        .value_kind:     hidden_remainder_y
      - .offset:         166
        .size:           2
        .value_kind:     hidden_remainder_z
      - .offset:         184
        .size:           8
        .value_kind:     hidden_global_offset_x
      - .offset:         192
        .size:           8
        .value_kind:     hidden_global_offset_y
      - .offset:         200
        .size:           8
        .value_kind:     hidden_global_offset_z
      - .offset:         208
        .size:           2
        .value_kind:     hidden_grid_dims
    .group_segment_fixed_size: 17472
    .kernarg_segment_align: 8
    .kernarg_segment_size: 400
    .language:       OpenCL C
    .language_version:
      - 2
      - 0
    .max_flat_workgroup_size: 256
    .name:           _Z39paged_attention_ll4mi_QKV_mfma16_kernelIDF16_hLN4vllm18Fp8KVCacheDataTypeE1EDF16_Li16ELi128ELi256ELb1ELi1EL8MFMAType0EEvPKT_PKT0_S8_ifPKiSA_SA_iPKfiiiPfSD_PS3_PT2_iSC_SC_
    .private_segment_fixed_size: 0
    .sgpr_count:     68
    .sgpr_spill_count: 0
    .symbol:         _Z39paged_attention_ll4mi_QKV_mfma16_kernelIDF16_hLN4vllm18Fp8KVCacheDataTypeE1EDF16_Li16ELi128ELi256ELb1ELi1EL8MFMAType0EEvPKT_PKT0_S8_ifPKiSA_SA_iPKfiiiPfSD_PS3_PT2_iSC_SC_.kd
    .uniform_work_group_size: 1
    .uses_dynamic_stack: false
    .vgpr_count:     134
    .vgpr_spill_count: 0
    .wavefront_size: 32
    .workgroup_processor_mode: 1
  - .args:
      - .actual_access:  read_only
        .address_space:  global
        .offset:         0
        .size:           8
        .value_kind:     global_buffer
      - .actual_access:  read_only
        .address_space:  global
        .offset:         8
        .size:           8
        .value_kind:     global_buffer
      - .actual_access:  read_only
        .address_space:  global
        .offset:         16
        .size:           8
        .value_kind:     global_buffer
      - .offset:         24
        .size:           4
        .value_kind:     by_value
      - .offset:         28
        .size:           4
        .value_kind:     by_value
      - .actual_access:  read_only
        .address_space:  global
        .offset:         32
        .size:           8
        .value_kind:     global_buffer
      - .actual_access:  read_only
        .address_space:  global
        .offset:         40
        .size:           8
        .value_kind:     global_buffer
      - .actual_access:  read_only
        .address_space:  global
        .offset:         48
        .size:           8
        .value_kind:     global_buffer
      - .offset:         56
        .size:           4
        .value_kind:     by_value
      - .actual_access:  read_only
        .address_space:  global
        .offset:         64
        .size:           8
        .value_kind:     global_buffer
      - .offset:         72
        .size:           4
        .value_kind:     by_value
      - .offset:         76
        .size:           4
        .value_kind:     by_value
      - .offset:         80
        .size:           4
        .value_kind:     by_value
      - .actual_access:  write_only
        .address_space:  global
        .offset:         88
        .size:           8
        .value_kind:     global_buffer
      - .actual_access:  write_only
        .address_space:  global
        .offset:         96
        .size:           8
        .value_kind:     global_buffer
      - .actual_access:  write_only
        .address_space:  global
        .offset:         104
        .size:           8
        .value_kind:     global_buffer
      - .actual_access:  read_only
        .address_space:  global
        .offset:         112
        .size:           8
        .value_kind:     global_buffer
      - .offset:         120
        .size:           4
        .value_kind:     by_value
      - .address_space:  global
        .offset:         128
        .size:           8
        .value_kind:     global_buffer
      - .address_space:  global
        .offset:         136
        .size:           8
        .value_kind:     global_buffer
      - .offset:         144
        .size:           4
        .value_kind:     hidden_block_count_x
      - .offset:         148
        .size:           4
        .value_kind:     hidden_block_count_y
      - .offset:         152
        .size:           4
        .value_kind:     hidden_block_count_z
      - .offset:         156
        .size:           2
        .value_kind:     hidden_group_size_x
      - .offset:         158
        .size:           2
        .value_kind:     hidden_group_size_y
      - .offset:         160
        .size:           2
        .value_kind:     hidden_group_size_z
      - .offset:         162
        .size:           2
        .value_kind:     hidden_remainder_x
      - .offset:         164
        .size:           2
        .value_kind:     hidden_remainder_y
      - .offset:         166
        .size:           2
        .value_kind:     hidden_remainder_z
      - .offset:         184
        .size:           8
        .value_kind:     hidden_global_offset_x
      - .offset:         192
        .size:           8
        .value_kind:     hidden_global_offset_y
      - .offset:         200
        .size:           8
        .value_kind:     hidden_global_offset_z
      - .offset:         208
        .size:           2
        .value_kind:     hidden_grid_dims
    .group_segment_fixed_size: 17472
    .kernarg_segment_align: 8
    .kernarg_segment_size: 400
    .language:       OpenCL C
    .language_version:
      - 2
      - 0
    .max_flat_workgroup_size: 256
    .name:           _Z39paged_attention_ll4mi_QKV_mfma16_kernelIDF16_hLN4vllm18Fp8KVCacheDataTypeE1EDF16_Li16ELi128ELi256ELb1ELi2EL8MFMAType0EEvPKT_PKT0_S8_ifPKiSA_SA_iPKfiiiPfSD_PS3_PT2_iSC_SC_
    .private_segment_fixed_size: 0
    .sgpr_count:     39
    .sgpr_spill_count: 0
    .symbol:         _Z39paged_attention_ll4mi_QKV_mfma16_kernelIDF16_hLN4vllm18Fp8KVCacheDataTypeE1EDF16_Li16ELi128ELi256ELb1ELi2EL8MFMAType0EEvPKT_PKT0_S8_ifPKiSA_SA_iPKfiiiPfSD_PS3_PT2_iSC_SC_.kd
    .uniform_work_group_size: 1
    .uses_dynamic_stack: false
    .vgpr_count:     146
    .vgpr_spill_count: 0
    .wavefront_size: 32
    .workgroup_processor_mode: 1
  - .args:
      - .actual_access:  read_only
        .address_space:  global
        .offset:         0
        .size:           8
        .value_kind:     global_buffer
      - .actual_access:  read_only
        .address_space:  global
        .offset:         8
        .size:           8
        .value_kind:     global_buffer
      - .actual_access:  read_only
        .address_space:  global
        .offset:         16
        .size:           8
        .value_kind:     global_buffer
      - .offset:         24
        .size:           4
        .value_kind:     by_value
      - .offset:         28
        .size:           4
        .value_kind:     by_value
      - .actual_access:  read_only
        .address_space:  global
        .offset:         32
        .size:           8
        .value_kind:     global_buffer
      - .actual_access:  read_only
        .address_space:  global
        .offset:         40
        .size:           8
        .value_kind:     global_buffer
      - .actual_access:  read_only
        .address_space:  global
        .offset:         48
        .size:           8
        .value_kind:     global_buffer
      - .offset:         56
        .size:           4
        .value_kind:     by_value
      - .actual_access:  read_only
        .address_space:  global
        .offset:         64
        .size:           8
        .value_kind:     global_buffer
      - .offset:         72
        .size:           4
        .value_kind:     by_value
      - .offset:         76
        .size:           4
        .value_kind:     by_value
      - .offset:         80
        .size:           4
        .value_kind:     by_value
      - .actual_access:  write_only
        .address_space:  global
        .offset:         88
        .size:           8
        .value_kind:     global_buffer
      - .actual_access:  write_only
        .address_space:  global
        .offset:         96
        .size:           8
        .value_kind:     global_buffer
      - .actual_access:  write_only
        .address_space:  global
        .offset:         104
        .size:           8
        .value_kind:     global_buffer
      - .actual_access:  read_only
        .address_space:  global
        .offset:         112
        .size:           8
        .value_kind:     global_buffer
      - .offset:         120
        .size:           4
        .value_kind:     by_value
      - .address_space:  global
        .offset:         128
        .size:           8
        .value_kind:     global_buffer
      - .address_space:  global
        .offset:         136
        .size:           8
        .value_kind:     global_buffer
      - .offset:         144
        .size:           4
        .value_kind:     hidden_block_count_x
      - .offset:         148
        .size:           4
        .value_kind:     hidden_block_count_y
      - .offset:         152
        .size:           4
        .value_kind:     hidden_block_count_z
      - .offset:         156
        .size:           2
        .value_kind:     hidden_group_size_x
      - .offset:         158
        .size:           2
        .value_kind:     hidden_group_size_y
      - .offset:         160
        .size:           2
        .value_kind:     hidden_group_size_z
      - .offset:         162
        .size:           2
        .value_kind:     hidden_remainder_x
      - .offset:         164
        .size:           2
        .value_kind:     hidden_remainder_y
      - .offset:         166
        .size:           2
        .value_kind:     hidden_remainder_z
      - .offset:         184
        .size:           8
        .value_kind:     hidden_global_offset_x
      - .offset:         192
        .size:           8
        .value_kind:     hidden_global_offset_y
      - .offset:         200
        .size:           8
        .value_kind:     hidden_global_offset_z
      - .offset:         208
        .size:           2
        .value_kind:     hidden_grid_dims
    .group_segment_fixed_size: 17472
    .kernarg_segment_align: 8
    .kernarg_segment_size: 400
    .language:       OpenCL C
    .language_version:
      - 2
      - 0
    .max_flat_workgroup_size: 256
    .name:           _Z39paged_attention_ll4mi_QKV_mfma16_kernelIDF16_hLN4vllm18Fp8KVCacheDataTypeE1EDF16_Li16ELi128ELi256ELb1ELi3EL8MFMAType0EEvPKT_PKT0_S8_ifPKiSA_SA_iPKfiiiPfSD_PS3_PT2_iSC_SC_
    .private_segment_fixed_size: 0
    .sgpr_count:     38
    .sgpr_spill_count: 0
    .symbol:         _Z39paged_attention_ll4mi_QKV_mfma16_kernelIDF16_hLN4vllm18Fp8KVCacheDataTypeE1EDF16_Li16ELi128ELi256ELb1ELi3EL8MFMAType0EEvPKT_PKT0_S8_ifPKiSA_SA_iPKfiiiPfSD_PS3_PT2_iSC_SC_.kd
    .uniform_work_group_size: 1
    .uses_dynamic_stack: false
    .vgpr_count:     150
    .vgpr_spill_count: 0
    .wavefront_size: 32
    .workgroup_processor_mode: 1
  - .args:
      - .actual_access:  read_only
        .address_space:  global
        .offset:         0
        .size:           8
        .value_kind:     global_buffer
      - .actual_access:  read_only
        .address_space:  global
        .offset:         8
        .size:           8
        .value_kind:     global_buffer
      - .actual_access:  read_only
        .address_space:  global
        .offset:         16
        .size:           8
        .value_kind:     global_buffer
      - .offset:         24
        .size:           4
        .value_kind:     by_value
      - .offset:         28
        .size:           4
        .value_kind:     by_value
      - .actual_access:  read_only
        .address_space:  global
        .offset:         32
        .size:           8
        .value_kind:     global_buffer
      - .actual_access:  read_only
        .address_space:  global
        .offset:         40
        .size:           8
        .value_kind:     global_buffer
      - .actual_access:  read_only
        .address_space:  global
        .offset:         48
        .size:           8
        .value_kind:     global_buffer
      - .offset:         56
        .size:           4
        .value_kind:     by_value
      - .actual_access:  read_only
        .address_space:  global
        .offset:         64
        .size:           8
        .value_kind:     global_buffer
      - .offset:         72
        .size:           4
        .value_kind:     by_value
      - .offset:         76
        .size:           4
        .value_kind:     by_value
      - .offset:         80
        .size:           4
        .value_kind:     by_value
      - .actual_access:  write_only
        .address_space:  global
        .offset:         88
        .size:           8
        .value_kind:     global_buffer
      - .actual_access:  write_only
        .address_space:  global
        .offset:         96
        .size:           8
        .value_kind:     global_buffer
      - .actual_access:  write_only
        .address_space:  global
        .offset:         104
        .size:           8
        .value_kind:     global_buffer
      - .actual_access:  read_only
        .address_space:  global
        .offset:         112
        .size:           8
        .value_kind:     global_buffer
      - .offset:         120
        .size:           4
        .value_kind:     by_value
      - .address_space:  global
        .offset:         128
        .size:           8
        .value_kind:     global_buffer
      - .address_space:  global
        .offset:         136
        .size:           8
        .value_kind:     global_buffer
      - .offset:         144
        .size:           4
        .value_kind:     hidden_block_count_x
      - .offset:         148
        .size:           4
        .value_kind:     hidden_block_count_y
      - .offset:         152
        .size:           4
        .value_kind:     hidden_block_count_z
      - .offset:         156
        .size:           2
        .value_kind:     hidden_group_size_x
      - .offset:         158
        .size:           2
        .value_kind:     hidden_group_size_y
      - .offset:         160
        .size:           2
        .value_kind:     hidden_group_size_z
      - .offset:         162
        .size:           2
        .value_kind:     hidden_remainder_x
      - .offset:         164
        .size:           2
        .value_kind:     hidden_remainder_y
      - .offset:         166
        .size:           2
        .value_kind:     hidden_remainder_z
      - .offset:         184
        .size:           8
        .value_kind:     hidden_global_offset_x
      - .offset:         192
        .size:           8
        .value_kind:     hidden_global_offset_y
      - .offset:         200
        .size:           8
        .value_kind:     hidden_global_offset_z
      - .offset:         208
        .size:           2
        .value_kind:     hidden_grid_dims
    .group_segment_fixed_size: 17472
    .kernarg_segment_align: 8
    .kernarg_segment_size: 400
    .language:       OpenCL C
    .language_version:
      - 2
      - 0
    .max_flat_workgroup_size: 256
    .name:           _Z39paged_attention_ll4mi_QKV_mfma16_kernelIDF16_hLN4vllm18Fp8KVCacheDataTypeE1EDF16_Li16ELi128ELi256ELb1ELi4EL8MFMAType0EEvPKT_PKT0_S8_ifPKiSA_SA_iPKfiiiPfSD_PS3_PT2_iSC_SC_
    .private_segment_fixed_size: 0
    .sgpr_count:     38
    .sgpr_spill_count: 0
    .symbol:         _Z39paged_attention_ll4mi_QKV_mfma16_kernelIDF16_hLN4vllm18Fp8KVCacheDataTypeE1EDF16_Li16ELi128ELi256ELb1ELi4EL8MFMAType0EEvPKT_PKT0_S8_ifPKiSA_SA_iPKfiiiPfSD_PS3_PT2_iSC_SC_.kd
    .uniform_work_group_size: 1
    .uses_dynamic_stack: false
    .vgpr_count:     140
    .vgpr_spill_count: 0
    .wavefront_size: 32
    .workgroup_processor_mode: 1
  - .args:
      - .actual_access:  read_only
        .address_space:  global
        .offset:         0
        .size:           8
        .value_kind:     global_buffer
      - .actual_access:  read_only
        .address_space:  global
        .offset:         8
        .size:           8
        .value_kind:     global_buffer
      - .actual_access:  read_only
        .address_space:  global
        .offset:         16
        .size:           8
        .value_kind:     global_buffer
      - .offset:         24
        .size:           4
        .value_kind:     by_value
      - .offset:         28
        .size:           4
        .value_kind:     by_value
      - .actual_access:  read_only
        .address_space:  global
        .offset:         32
        .size:           8
        .value_kind:     global_buffer
      - .actual_access:  read_only
        .address_space:  global
        .offset:         40
        .size:           8
        .value_kind:     global_buffer
      - .actual_access:  read_only
        .address_space:  global
        .offset:         48
        .size:           8
        .value_kind:     global_buffer
      - .offset:         56
        .size:           4
        .value_kind:     by_value
      - .actual_access:  read_only
        .address_space:  global
        .offset:         64
        .size:           8
        .value_kind:     global_buffer
      - .offset:         72
        .size:           4
        .value_kind:     by_value
      - .offset:         76
        .size:           4
        .value_kind:     by_value
      - .offset:         80
        .size:           4
        .value_kind:     by_value
      - .actual_access:  write_only
        .address_space:  global
        .offset:         88
        .size:           8
        .value_kind:     global_buffer
      - .actual_access:  write_only
        .address_space:  global
        .offset:         96
        .size:           8
        .value_kind:     global_buffer
      - .actual_access:  write_only
        .address_space:  global
        .offset:         104
        .size:           8
        .value_kind:     global_buffer
      - .actual_access:  read_only
        .address_space:  global
        .offset:         112
        .size:           8
        .value_kind:     global_buffer
      - .offset:         120
        .size:           4
        .value_kind:     by_value
      - .address_space:  global
        .offset:         128
        .size:           8
        .value_kind:     global_buffer
      - .address_space:  global
        .offset:         136
        .size:           8
        .value_kind:     global_buffer
      - .offset:         144
        .size:           4
        .value_kind:     hidden_block_count_x
      - .offset:         148
        .size:           4
        .value_kind:     hidden_block_count_y
      - .offset:         152
        .size:           4
        .value_kind:     hidden_block_count_z
      - .offset:         156
        .size:           2
        .value_kind:     hidden_group_size_x
      - .offset:         158
        .size:           2
        .value_kind:     hidden_group_size_y
      - .offset:         160
        .size:           2
        .value_kind:     hidden_group_size_z
      - .offset:         162
        .size:           2
        .value_kind:     hidden_remainder_x
      - .offset:         164
        .size:           2
        .value_kind:     hidden_remainder_y
      - .offset:         166
        .size:           2
        .value_kind:     hidden_remainder_z
      - .offset:         184
        .size:           8
        .value_kind:     hidden_global_offset_x
      - .offset:         192
        .size:           8
        .value_kind:     hidden_global_offset_y
      - .offset:         200
        .size:           8
        .value_kind:     hidden_global_offset_z
      - .offset:         208
        .size:           2
        .value_kind:     hidden_grid_dims
    .group_segment_fixed_size: 17472
    .kernarg_segment_align: 8
    .kernarg_segment_size: 400
    .language:       OpenCL C
    .language_version:
      - 2
      - 0
    .max_flat_workgroup_size: 256
    .name:           _Z39paged_attention_ll4mi_QKV_mfma16_kernelIDF16_hLN4vllm18Fp8KVCacheDataTypeE1EDF16_Li16ELi128ELi256ELb0ELi5EL8MFMAType0EEvPKT_PKT0_S8_ifPKiSA_SA_iPKfiiiPfSD_PS3_PT2_iSC_SC_
    .private_segment_fixed_size: 0
    .sgpr_count:     38
    .sgpr_spill_count: 0
    .symbol:         _Z39paged_attention_ll4mi_QKV_mfma16_kernelIDF16_hLN4vllm18Fp8KVCacheDataTypeE1EDF16_Li16ELi128ELi256ELb0ELi5EL8MFMAType0EEvPKT_PKT0_S8_ifPKiSA_SA_iPKfiiiPfSD_PS3_PT2_iSC_SC_.kd
    .uniform_work_group_size: 1
    .uses_dynamic_stack: false
    .vgpr_count:     150
    .vgpr_spill_count: 0
    .wavefront_size: 32
    .workgroup_processor_mode: 1
  - .args:
      - .actual_access:  read_only
        .address_space:  global
        .offset:         0
        .size:           8
        .value_kind:     global_buffer
      - .actual_access:  read_only
        .address_space:  global
        .offset:         8
        .size:           8
        .value_kind:     global_buffer
      - .actual_access:  read_only
        .address_space:  global
        .offset:         16
        .size:           8
        .value_kind:     global_buffer
      - .offset:         24
        .size:           4
        .value_kind:     by_value
      - .offset:         28
        .size:           4
        .value_kind:     by_value
      - .actual_access:  read_only
        .address_space:  global
        .offset:         32
        .size:           8
        .value_kind:     global_buffer
      - .actual_access:  read_only
        .address_space:  global
        .offset:         40
        .size:           8
        .value_kind:     global_buffer
      - .actual_access:  read_only
        .address_space:  global
        .offset:         48
        .size:           8
        .value_kind:     global_buffer
      - .offset:         56
        .size:           4
        .value_kind:     by_value
      - .actual_access:  read_only
        .address_space:  global
        .offset:         64
        .size:           8
        .value_kind:     global_buffer
      - .offset:         72
        .size:           4
        .value_kind:     by_value
      - .offset:         76
        .size:           4
        .value_kind:     by_value
      - .offset:         80
        .size:           4
        .value_kind:     by_value
      - .actual_access:  write_only
        .address_space:  global
        .offset:         88
        .size:           8
        .value_kind:     global_buffer
      - .actual_access:  write_only
        .address_space:  global
        .offset:         96
        .size:           8
        .value_kind:     global_buffer
      - .actual_access:  write_only
        .address_space:  global
        .offset:         104
        .size:           8
        .value_kind:     global_buffer
      - .actual_access:  read_only
        .address_space:  global
        .offset:         112
        .size:           8
        .value_kind:     global_buffer
      - .offset:         120
        .size:           4
        .value_kind:     by_value
      - .address_space:  global
        .offset:         128
        .size:           8
        .value_kind:     global_buffer
      - .address_space:  global
        .offset:         136
        .size:           8
        .value_kind:     global_buffer
      - .offset:         144
        .size:           4
        .value_kind:     hidden_block_count_x
      - .offset:         148
        .size:           4
        .value_kind:     hidden_block_count_y
      - .offset:         152
        .size:           4
        .value_kind:     hidden_block_count_z
      - .offset:         156
        .size:           2
        .value_kind:     hidden_group_size_x
      - .offset:         158
        .size:           2
        .value_kind:     hidden_group_size_y
      - .offset:         160
        .size:           2
        .value_kind:     hidden_group_size_z
      - .offset:         162
        .size:           2
        .value_kind:     hidden_remainder_x
      - .offset:         164
        .size:           2
        .value_kind:     hidden_remainder_y
      - .offset:         166
        .size:           2
        .value_kind:     hidden_remainder_z
      - .offset:         184
        .size:           8
        .value_kind:     hidden_global_offset_x
      - .offset:         192
        .size:           8
        .value_kind:     hidden_global_offset_y
      - .offset:         200
        .size:           8
        .value_kind:     hidden_global_offset_z
      - .offset:         208
        .size:           2
        .value_kind:     hidden_grid_dims
    .group_segment_fixed_size: 17472
    .kernarg_segment_align: 8
    .kernarg_segment_size: 400
    .language:       OpenCL C
    .language_version:
      - 2
      - 0
    .max_flat_workgroup_size: 256
    .name:           _Z39paged_attention_ll4mi_QKV_mfma16_kernelIDF16_hLN4vllm18Fp8KVCacheDataTypeE1EDF16_Li16ELi128ELi256ELb0ELi6EL8MFMAType0EEvPKT_PKT0_S8_ifPKiSA_SA_iPKfiiiPfSD_PS3_PT2_iSC_SC_
    .private_segment_fixed_size: 0
    .sgpr_count:     38
    .sgpr_spill_count: 0
    .symbol:         _Z39paged_attention_ll4mi_QKV_mfma16_kernelIDF16_hLN4vllm18Fp8KVCacheDataTypeE1EDF16_Li16ELi128ELi256ELb0ELi6EL8MFMAType0EEvPKT_PKT0_S8_ifPKiSA_SA_iPKfiiiPfSD_PS3_PT2_iSC_SC_.kd
    .uniform_work_group_size: 1
    .uses_dynamic_stack: false
    .vgpr_count:     150
    .vgpr_spill_count: 0
    .wavefront_size: 32
    .workgroup_processor_mode: 1
  - .args:
      - .actual_access:  read_only
        .address_space:  global
        .offset:         0
        .size:           8
        .value_kind:     global_buffer
      - .actual_access:  read_only
        .address_space:  global
        .offset:         8
        .size:           8
        .value_kind:     global_buffer
      - .actual_access:  read_only
        .address_space:  global
        .offset:         16
        .size:           8
        .value_kind:     global_buffer
      - .offset:         24
        .size:           4
        .value_kind:     by_value
      - .offset:         28
        .size:           4
        .value_kind:     by_value
      - .actual_access:  read_only
        .address_space:  global
        .offset:         32
        .size:           8
        .value_kind:     global_buffer
      - .actual_access:  read_only
        .address_space:  global
        .offset:         40
        .size:           8
        .value_kind:     global_buffer
      - .actual_access:  read_only
        .address_space:  global
        .offset:         48
        .size:           8
        .value_kind:     global_buffer
      - .offset:         56
        .size:           4
        .value_kind:     by_value
      - .actual_access:  read_only
        .address_space:  global
        .offset:         64
        .size:           8
        .value_kind:     global_buffer
      - .offset:         72
        .size:           4
        .value_kind:     by_value
      - .offset:         76
        .size:           4
        .value_kind:     by_value
      - .offset:         80
        .size:           4
        .value_kind:     by_value
      - .actual_access:  write_only
        .address_space:  global
        .offset:         88
        .size:           8
        .value_kind:     global_buffer
      - .actual_access:  write_only
        .address_space:  global
        .offset:         96
        .size:           8
        .value_kind:     global_buffer
      - .actual_access:  write_only
        .address_space:  global
        .offset:         104
        .size:           8
        .value_kind:     global_buffer
      - .actual_access:  read_only
        .address_space:  global
        .offset:         112
        .size:           8
        .value_kind:     global_buffer
      - .offset:         120
        .size:           4
        .value_kind:     by_value
      - .address_space:  global
        .offset:         128
        .size:           8
        .value_kind:     global_buffer
      - .address_space:  global
        .offset:         136
        .size:           8
        .value_kind:     global_buffer
      - .offset:         144
        .size:           4
        .value_kind:     hidden_block_count_x
      - .offset:         148
        .size:           4
        .value_kind:     hidden_block_count_y
      - .offset:         152
        .size:           4
        .value_kind:     hidden_block_count_z
      - .offset:         156
        .size:           2
        .value_kind:     hidden_group_size_x
      - .offset:         158
        .size:           2
        .value_kind:     hidden_group_size_y
      - .offset:         160
        .size:           2
        .value_kind:     hidden_group_size_z
      - .offset:         162
        .size:           2
        .value_kind:     hidden_remainder_x
      - .offset:         164
        .size:           2
        .value_kind:     hidden_remainder_y
      - .offset:         166
        .size:           2
        .value_kind:     hidden_remainder_z
      - .offset:         184
        .size:           8
        .value_kind:     hidden_global_offset_x
      - .offset:         192
        .size:           8
        .value_kind:     hidden_global_offset_y
      - .offset:         200
        .size:           8
        .value_kind:     hidden_global_offset_z
      - .offset:         208
        .size:           2
        .value_kind:     hidden_grid_dims
    .group_segment_fixed_size: 17472
    .kernarg_segment_align: 8
    .kernarg_segment_size: 400
    .language:       OpenCL C
    .language_version:
      - 2
      - 0
    .max_flat_workgroup_size: 256
    .name:           _Z39paged_attention_ll4mi_QKV_mfma16_kernelIDF16_hLN4vllm18Fp8KVCacheDataTypeE1EDF16_Li16ELi128ELi256ELb0ELi7EL8MFMAType0EEvPKT_PKT0_S8_ifPKiSA_SA_iPKfiiiPfSD_PS3_PT2_iSC_SC_
    .private_segment_fixed_size: 0
    .sgpr_count:     38
    .sgpr_spill_count: 0
    .symbol:         _Z39paged_attention_ll4mi_QKV_mfma16_kernelIDF16_hLN4vllm18Fp8KVCacheDataTypeE1EDF16_Li16ELi128ELi256ELb0ELi7EL8MFMAType0EEvPKT_PKT0_S8_ifPKiSA_SA_iPKfiiiPfSD_PS3_PT2_iSC_SC_.kd
    .uniform_work_group_size: 1
    .uses_dynamic_stack: false
    .vgpr_count:     150
    .vgpr_spill_count: 0
    .wavefront_size: 32
    .workgroup_processor_mode: 1
  - .args:
      - .actual_access:  read_only
        .address_space:  global
        .offset:         0
        .size:           8
        .value_kind:     global_buffer
      - .actual_access:  read_only
        .address_space:  global
        .offset:         8
        .size:           8
        .value_kind:     global_buffer
      - .actual_access:  read_only
        .address_space:  global
        .offset:         16
        .size:           8
        .value_kind:     global_buffer
      - .offset:         24
        .size:           4
        .value_kind:     by_value
      - .offset:         28
        .size:           4
        .value_kind:     by_value
      - .actual_access:  read_only
        .address_space:  global
        .offset:         32
        .size:           8
        .value_kind:     global_buffer
      - .actual_access:  read_only
        .address_space:  global
        .offset:         40
        .size:           8
        .value_kind:     global_buffer
      - .actual_access:  read_only
        .address_space:  global
        .offset:         48
        .size:           8
        .value_kind:     global_buffer
      - .offset:         56
        .size:           4
        .value_kind:     by_value
      - .actual_access:  read_only
        .address_space:  global
        .offset:         64
        .size:           8
        .value_kind:     global_buffer
      - .offset:         72
        .size:           4
        .value_kind:     by_value
      - .offset:         76
        .size:           4
        .value_kind:     by_value
      - .offset:         80
        .size:           4
        .value_kind:     by_value
      - .actual_access:  write_only
        .address_space:  global
        .offset:         88
        .size:           8
        .value_kind:     global_buffer
      - .actual_access:  write_only
        .address_space:  global
        .offset:         96
        .size:           8
        .value_kind:     global_buffer
      - .actual_access:  write_only
        .address_space:  global
        .offset:         104
        .size:           8
        .value_kind:     global_buffer
      - .actual_access:  read_only
        .address_space:  global
        .offset:         112
        .size:           8
        .value_kind:     global_buffer
      - .offset:         120
        .size:           4
        .value_kind:     by_value
      - .address_space:  global
        .offset:         128
        .size:           8
        .value_kind:     global_buffer
      - .address_space:  global
        .offset:         136
        .size:           8
        .value_kind:     global_buffer
      - .offset:         144
        .size:           4
        .value_kind:     hidden_block_count_x
      - .offset:         148
        .size:           4
        .value_kind:     hidden_block_count_y
      - .offset:         152
        .size:           4
        .value_kind:     hidden_block_count_z
      - .offset:         156
        .size:           2
        .value_kind:     hidden_group_size_x
      - .offset:         158
        .size:           2
        .value_kind:     hidden_group_size_y
      - .offset:         160
        .size:           2
        .value_kind:     hidden_group_size_z
      - .offset:         162
        .size:           2
        .value_kind:     hidden_remainder_x
      - .offset:         164
        .size:           2
        .value_kind:     hidden_remainder_y
      - .offset:         166
        .size:           2
        .value_kind:     hidden_remainder_z
      - .offset:         184
        .size:           8
        .value_kind:     hidden_global_offset_x
      - .offset:         192
        .size:           8
        .value_kind:     hidden_global_offset_y
      - .offset:         200
        .size:           8
        .value_kind:     hidden_global_offset_z
      - .offset:         208
        .size:           2
        .value_kind:     hidden_grid_dims
    .group_segment_fixed_size: 17472
    .kernarg_segment_align: 8
    .kernarg_segment_size: 400
    .language:       OpenCL C
    .language_version:
      - 2
      - 0
    .max_flat_workgroup_size: 256
    .name:           _Z39paged_attention_ll4mi_QKV_mfma16_kernelIDF16_hLN4vllm18Fp8KVCacheDataTypeE1EDF16_Li16ELi128ELi256ELb0ELi8EL8MFMAType0EEvPKT_PKT0_S8_ifPKiSA_SA_iPKfiiiPfSD_PS3_PT2_iSC_SC_
    .private_segment_fixed_size: 0
    .sgpr_count:     38
    .sgpr_spill_count: 0
    .symbol:         _Z39paged_attention_ll4mi_QKV_mfma16_kernelIDF16_hLN4vllm18Fp8KVCacheDataTypeE1EDF16_Li16ELi128ELi256ELb0ELi8EL8MFMAType0EEvPKT_PKT0_S8_ifPKiSA_SA_iPKfiiiPfSD_PS3_PT2_iSC_SC_.kd
    .uniform_work_group_size: 1
    .uses_dynamic_stack: false
    .vgpr_count:     140
    .vgpr_spill_count: 0
    .wavefront_size: 32
    .workgroup_processor_mode: 1
  - .args:
      - .actual_access:  read_only
        .address_space:  global
        .offset:         0
        .size:           8
        .value_kind:     global_buffer
      - .actual_access:  read_only
        .address_space:  global
        .offset:         8
        .size:           8
        .value_kind:     global_buffer
      - .actual_access:  read_only
        .address_space:  global
        .offset:         16
        .size:           8
        .value_kind:     global_buffer
      - .offset:         24
        .size:           4
        .value_kind:     by_value
      - .offset:         28
        .size:           4
        .value_kind:     by_value
      - .actual_access:  read_only
        .address_space:  global
        .offset:         32
        .size:           8
        .value_kind:     global_buffer
      - .actual_access:  read_only
        .address_space:  global
        .offset:         40
        .size:           8
        .value_kind:     global_buffer
      - .actual_access:  read_only
        .address_space:  global
        .offset:         48
        .size:           8
        .value_kind:     global_buffer
      - .offset:         56
        .size:           4
        .value_kind:     by_value
      - .actual_access:  read_only
        .address_space:  global
        .offset:         64
        .size:           8
        .value_kind:     global_buffer
      - .offset:         72
        .size:           4
        .value_kind:     by_value
      - .offset:         76
        .size:           4
        .value_kind:     by_value
      - .offset:         80
        .size:           4
        .value_kind:     by_value
      - .actual_access:  write_only
        .address_space:  global
        .offset:         88
        .size:           8
        .value_kind:     global_buffer
      - .actual_access:  write_only
        .address_space:  global
        .offset:         96
        .size:           8
        .value_kind:     global_buffer
      - .actual_access:  write_only
        .address_space:  global
        .offset:         104
        .size:           8
        .value_kind:     global_buffer
      - .actual_access:  read_only
        .address_space:  global
        .offset:         112
        .size:           8
        .value_kind:     global_buffer
      - .offset:         120
        .size:           4
        .value_kind:     by_value
      - .address_space:  global
        .offset:         128
        .size:           8
        .value_kind:     global_buffer
      - .address_space:  global
        .offset:         136
        .size:           8
        .value_kind:     global_buffer
      - .offset:         144
        .size:           4
        .value_kind:     hidden_block_count_x
      - .offset:         148
        .size:           4
        .value_kind:     hidden_block_count_y
      - .offset:         152
        .size:           4
        .value_kind:     hidden_block_count_z
      - .offset:         156
        .size:           2
        .value_kind:     hidden_group_size_x
      - .offset:         158
        .size:           2
        .value_kind:     hidden_group_size_y
      - .offset:         160
        .size:           2
        .value_kind:     hidden_group_size_z
      - .offset:         162
        .size:           2
        .value_kind:     hidden_remainder_x
      - .offset:         164
        .size:           2
        .value_kind:     hidden_remainder_y
      - .offset:         166
        .size:           2
        .value_kind:     hidden_remainder_z
      - .offset:         184
        .size:           8
        .value_kind:     hidden_global_offset_x
      - .offset:         192
        .size:           8
        .value_kind:     hidden_global_offset_y
      - .offset:         200
        .size:           8
        .value_kind:     hidden_global_offset_z
      - .offset:         208
        .size:           2
        .value_kind:     hidden_grid_dims
    .group_segment_fixed_size: 17472
    .kernarg_segment_align: 8
    .kernarg_segment_size: 400
    .language:       OpenCL C
    .language_version:
      - 2
      - 0
    .max_flat_workgroup_size: 256
    .name:           _Z39paged_attention_ll4mi_QKV_mfma16_kernelIDF16_hLN4vllm18Fp8KVCacheDataTypeE1EDF16_Li16ELi128ELi256ELb0ELi9EL8MFMAType0EEvPKT_PKT0_S8_ifPKiSA_SA_iPKfiiiPfSD_PS3_PT2_iSC_SC_
    .private_segment_fixed_size: 0
    .sgpr_count:     38
    .sgpr_spill_count: 0
    .symbol:         _Z39paged_attention_ll4mi_QKV_mfma16_kernelIDF16_hLN4vllm18Fp8KVCacheDataTypeE1EDF16_Li16ELi128ELi256ELb0ELi9EL8MFMAType0EEvPKT_PKT0_S8_ifPKiSA_SA_iPKfiiiPfSD_PS3_PT2_iSC_SC_.kd
    .uniform_work_group_size: 1
    .uses_dynamic_stack: false
    .vgpr_count:     150
    .vgpr_spill_count: 0
    .wavefront_size: 32
    .workgroup_processor_mode: 1
  - .args:
      - .actual_access:  read_only
        .address_space:  global
        .offset:         0
        .size:           8
        .value_kind:     global_buffer
      - .actual_access:  read_only
        .address_space:  global
        .offset:         8
        .size:           8
        .value_kind:     global_buffer
      - .actual_access:  read_only
        .address_space:  global
        .offset:         16
        .size:           8
        .value_kind:     global_buffer
      - .offset:         24
        .size:           4
        .value_kind:     by_value
      - .offset:         28
        .size:           4
        .value_kind:     by_value
      - .actual_access:  read_only
        .address_space:  global
        .offset:         32
        .size:           8
        .value_kind:     global_buffer
      - .actual_access:  read_only
        .address_space:  global
        .offset:         40
        .size:           8
        .value_kind:     global_buffer
      - .actual_access:  read_only
        .address_space:  global
        .offset:         48
        .size:           8
        .value_kind:     global_buffer
      - .offset:         56
        .size:           4
        .value_kind:     by_value
      - .actual_access:  read_only
        .address_space:  global
        .offset:         64
        .size:           8
        .value_kind:     global_buffer
      - .offset:         72
        .size:           4
        .value_kind:     by_value
      - .offset:         76
        .size:           4
        .value_kind:     by_value
      - .offset:         80
        .size:           4
        .value_kind:     by_value
      - .actual_access:  write_only
        .address_space:  global
        .offset:         88
        .size:           8
        .value_kind:     global_buffer
      - .actual_access:  write_only
        .address_space:  global
        .offset:         96
        .size:           8
        .value_kind:     global_buffer
      - .actual_access:  write_only
        .address_space:  global
        .offset:         104
        .size:           8
        .value_kind:     global_buffer
      - .actual_access:  read_only
        .address_space:  global
        .offset:         112
        .size:           8
        .value_kind:     global_buffer
      - .offset:         120
        .size:           4
        .value_kind:     by_value
      - .address_space:  global
        .offset:         128
        .size:           8
        .value_kind:     global_buffer
      - .address_space:  global
        .offset:         136
        .size:           8
        .value_kind:     global_buffer
      - .offset:         144
        .size:           4
        .value_kind:     hidden_block_count_x
      - .offset:         148
        .size:           4
        .value_kind:     hidden_block_count_y
      - .offset:         152
        .size:           4
        .value_kind:     hidden_block_count_z
      - .offset:         156
        .size:           2
        .value_kind:     hidden_group_size_x
      - .offset:         158
        .size:           2
        .value_kind:     hidden_group_size_y
      - .offset:         160
        .size:           2
        .value_kind:     hidden_group_size_z
      - .offset:         162
        .size:           2
        .value_kind:     hidden_remainder_x
      - .offset:         164
        .size:           2
        .value_kind:     hidden_remainder_y
      - .offset:         166
        .size:           2
        .value_kind:     hidden_remainder_z
      - .offset:         184
        .size:           8
        .value_kind:     hidden_global_offset_x
      - .offset:         192
        .size:           8
        .value_kind:     hidden_global_offset_y
      - .offset:         200
        .size:           8
        .value_kind:     hidden_global_offset_z
      - .offset:         208
        .size:           2
        .value_kind:     hidden_grid_dims
    .group_segment_fixed_size: 17472
    .kernarg_segment_align: 8
    .kernarg_segment_size: 400
    .language:       OpenCL C
    .language_version:
      - 2
      - 0
    .max_flat_workgroup_size: 256
    .name:           _Z39paged_attention_ll4mi_QKV_mfma16_kernelIDF16_hLN4vllm18Fp8KVCacheDataTypeE1EDF16_Li16ELi128ELi256ELb0ELi10EL8MFMAType0EEvPKT_PKT0_S8_ifPKiSA_SA_iPKfiiiPfSD_PS3_PT2_iSC_SC_
    .private_segment_fixed_size: 0
    .sgpr_count:     38
    .sgpr_spill_count: 0
    .symbol:         _Z39paged_attention_ll4mi_QKV_mfma16_kernelIDF16_hLN4vllm18Fp8KVCacheDataTypeE1EDF16_Li16ELi128ELi256ELb0ELi10EL8MFMAType0EEvPKT_PKT0_S8_ifPKiSA_SA_iPKfiiiPfSD_PS3_PT2_iSC_SC_.kd
    .uniform_work_group_size: 1
    .uses_dynamic_stack: false
    .vgpr_count:     150
    .vgpr_spill_count: 0
    .wavefront_size: 32
    .workgroup_processor_mode: 1
  - .args:
      - .actual_access:  read_only
        .address_space:  global
        .offset:         0
        .size:           8
        .value_kind:     global_buffer
      - .actual_access:  read_only
        .address_space:  global
        .offset:         8
        .size:           8
        .value_kind:     global_buffer
      - .actual_access:  read_only
        .address_space:  global
        .offset:         16
        .size:           8
        .value_kind:     global_buffer
      - .offset:         24
        .size:           4
        .value_kind:     by_value
      - .offset:         28
        .size:           4
        .value_kind:     by_value
      - .actual_access:  read_only
        .address_space:  global
        .offset:         32
        .size:           8
        .value_kind:     global_buffer
      - .actual_access:  read_only
        .address_space:  global
        .offset:         40
        .size:           8
        .value_kind:     global_buffer
      - .actual_access:  read_only
        .address_space:  global
        .offset:         48
        .size:           8
        .value_kind:     global_buffer
      - .offset:         56
        .size:           4
        .value_kind:     by_value
      - .actual_access:  read_only
        .address_space:  global
        .offset:         64
        .size:           8
        .value_kind:     global_buffer
      - .offset:         72
        .size:           4
        .value_kind:     by_value
      - .offset:         76
        .size:           4
        .value_kind:     by_value
      - .offset:         80
        .size:           4
        .value_kind:     by_value
      - .actual_access:  write_only
        .address_space:  global
        .offset:         88
        .size:           8
        .value_kind:     global_buffer
      - .actual_access:  write_only
        .address_space:  global
        .offset:         96
        .size:           8
        .value_kind:     global_buffer
      - .actual_access:  write_only
        .address_space:  global
        .offset:         104
        .size:           8
        .value_kind:     global_buffer
      - .actual_access:  read_only
        .address_space:  global
        .offset:         112
        .size:           8
        .value_kind:     global_buffer
      - .offset:         120
        .size:           4
        .value_kind:     by_value
      - .address_space:  global
        .offset:         128
        .size:           8
        .value_kind:     global_buffer
      - .address_space:  global
        .offset:         136
        .size:           8
        .value_kind:     global_buffer
      - .offset:         144
        .size:           4
        .value_kind:     hidden_block_count_x
      - .offset:         148
        .size:           4
        .value_kind:     hidden_block_count_y
      - .offset:         152
        .size:           4
        .value_kind:     hidden_block_count_z
      - .offset:         156
        .size:           2
        .value_kind:     hidden_group_size_x
      - .offset:         158
        .size:           2
        .value_kind:     hidden_group_size_y
      - .offset:         160
        .size:           2
        .value_kind:     hidden_group_size_z
      - .offset:         162
        .size:           2
        .value_kind:     hidden_remainder_x
      - .offset:         164
        .size:           2
        .value_kind:     hidden_remainder_y
      - .offset:         166
        .size:           2
        .value_kind:     hidden_remainder_z
      - .offset:         184
        .size:           8
        .value_kind:     hidden_global_offset_x
      - .offset:         192
        .size:           8
        .value_kind:     hidden_global_offset_y
      - .offset:         200
        .size:           8
        .value_kind:     hidden_global_offset_z
      - .offset:         208
        .size:           2
        .value_kind:     hidden_grid_dims
    .group_segment_fixed_size: 17472
    .kernarg_segment_align: 8
    .kernarg_segment_size: 400
    .language:       OpenCL C
    .language_version:
      - 2
      - 0
    .max_flat_workgroup_size: 256
    .name:           _Z39paged_attention_ll4mi_QKV_mfma16_kernelIDF16_hLN4vllm18Fp8KVCacheDataTypeE1EDF16_Li16ELi128ELi256ELb0ELi11EL8MFMAType0EEvPKT_PKT0_S8_ifPKiSA_SA_iPKfiiiPfSD_PS3_PT2_iSC_SC_
    .private_segment_fixed_size: 0
    .sgpr_count:     38
    .sgpr_spill_count: 0
    .symbol:         _Z39paged_attention_ll4mi_QKV_mfma16_kernelIDF16_hLN4vllm18Fp8KVCacheDataTypeE1EDF16_Li16ELi128ELi256ELb0ELi11EL8MFMAType0EEvPKT_PKT0_S8_ifPKiSA_SA_iPKfiiiPfSD_PS3_PT2_iSC_SC_.kd
    .uniform_work_group_size: 1
    .uses_dynamic_stack: false
    .vgpr_count:     150
    .vgpr_spill_count: 0
    .wavefront_size: 32
    .workgroup_processor_mode: 1
  - .args:
      - .actual_access:  read_only
        .address_space:  global
        .offset:         0
        .size:           8
        .value_kind:     global_buffer
      - .actual_access:  read_only
        .address_space:  global
        .offset:         8
        .size:           8
        .value_kind:     global_buffer
      - .actual_access:  read_only
        .address_space:  global
        .offset:         16
        .size:           8
        .value_kind:     global_buffer
      - .offset:         24
        .size:           4
        .value_kind:     by_value
      - .offset:         28
        .size:           4
        .value_kind:     by_value
      - .actual_access:  read_only
        .address_space:  global
        .offset:         32
        .size:           8
        .value_kind:     global_buffer
      - .actual_access:  read_only
        .address_space:  global
        .offset:         40
        .size:           8
        .value_kind:     global_buffer
      - .actual_access:  read_only
        .address_space:  global
        .offset:         48
        .size:           8
        .value_kind:     global_buffer
      - .offset:         56
        .size:           4
        .value_kind:     by_value
      - .actual_access:  read_only
        .address_space:  global
        .offset:         64
        .size:           8
        .value_kind:     global_buffer
      - .offset:         72
        .size:           4
        .value_kind:     by_value
      - .offset:         76
        .size:           4
        .value_kind:     by_value
      - .offset:         80
        .size:           4
        .value_kind:     by_value
      - .actual_access:  write_only
        .address_space:  global
        .offset:         88
        .size:           8
        .value_kind:     global_buffer
      - .actual_access:  write_only
        .address_space:  global
        .offset:         96
        .size:           8
        .value_kind:     global_buffer
      - .actual_access:  write_only
        .address_space:  global
        .offset:         104
        .size:           8
        .value_kind:     global_buffer
      - .actual_access:  read_only
        .address_space:  global
        .offset:         112
        .size:           8
        .value_kind:     global_buffer
      - .offset:         120
        .size:           4
        .value_kind:     by_value
      - .address_space:  global
        .offset:         128
        .size:           8
        .value_kind:     global_buffer
      - .address_space:  global
        .offset:         136
        .size:           8
        .value_kind:     global_buffer
      - .offset:         144
        .size:           4
        .value_kind:     hidden_block_count_x
      - .offset:         148
        .size:           4
        .value_kind:     hidden_block_count_y
      - .offset:         152
        .size:           4
        .value_kind:     hidden_block_count_z
      - .offset:         156
        .size:           2
        .value_kind:     hidden_group_size_x
      - .offset:         158
        .size:           2
        .value_kind:     hidden_group_size_y
      - .offset:         160
        .size:           2
        .value_kind:     hidden_group_size_z
      - .offset:         162
        .size:           2
        .value_kind:     hidden_remainder_x
      - .offset:         164
        .size:           2
        .value_kind:     hidden_remainder_y
      - .offset:         166
        .size:           2
        .value_kind:     hidden_remainder_z
      - .offset:         184
        .size:           8
        .value_kind:     hidden_global_offset_x
      - .offset:         192
        .size:           8
        .value_kind:     hidden_global_offset_y
      - .offset:         200
        .size:           8
        .value_kind:     hidden_global_offset_z
      - .offset:         208
        .size:           2
        .value_kind:     hidden_grid_dims
    .group_segment_fixed_size: 17472
    .kernarg_segment_align: 8
    .kernarg_segment_size: 400
    .language:       OpenCL C
    .language_version:
      - 2
      - 0
    .max_flat_workgroup_size: 256
    .name:           _Z39paged_attention_ll4mi_QKV_mfma16_kernelIDF16_hLN4vllm18Fp8KVCacheDataTypeE1EDF16_Li16ELi128ELi256ELb0ELi12EL8MFMAType0EEvPKT_PKT0_S8_ifPKiSA_SA_iPKfiiiPfSD_PS3_PT2_iSC_SC_
    .private_segment_fixed_size: 0
    .sgpr_count:     38
    .sgpr_spill_count: 0
    .symbol:         _Z39paged_attention_ll4mi_QKV_mfma16_kernelIDF16_hLN4vllm18Fp8KVCacheDataTypeE1EDF16_Li16ELi128ELi256ELb0ELi12EL8MFMAType0EEvPKT_PKT0_S8_ifPKiSA_SA_iPKfiiiPfSD_PS3_PT2_iSC_SC_.kd
    .uniform_work_group_size: 1
    .uses_dynamic_stack: false
    .vgpr_count:     150
    .vgpr_spill_count: 0
    .wavefront_size: 32
    .workgroup_processor_mode: 1
  - .args:
      - .actual_access:  read_only
        .address_space:  global
        .offset:         0
        .size:           8
        .value_kind:     global_buffer
      - .actual_access:  read_only
        .address_space:  global
        .offset:         8
        .size:           8
        .value_kind:     global_buffer
      - .actual_access:  read_only
        .address_space:  global
        .offset:         16
        .size:           8
        .value_kind:     global_buffer
      - .offset:         24
        .size:           4
        .value_kind:     by_value
      - .offset:         28
        .size:           4
        .value_kind:     by_value
      - .actual_access:  read_only
        .address_space:  global
        .offset:         32
        .size:           8
        .value_kind:     global_buffer
      - .actual_access:  read_only
        .address_space:  global
        .offset:         40
        .size:           8
        .value_kind:     global_buffer
      - .actual_access:  read_only
        .address_space:  global
        .offset:         48
        .size:           8
        .value_kind:     global_buffer
      - .offset:         56
        .size:           4
        .value_kind:     by_value
      - .actual_access:  read_only
        .address_space:  global
        .offset:         64
        .size:           8
        .value_kind:     global_buffer
      - .offset:         72
        .size:           4
        .value_kind:     by_value
      - .offset:         76
        .size:           4
        .value_kind:     by_value
      - .offset:         80
        .size:           4
        .value_kind:     by_value
      - .actual_access:  write_only
        .address_space:  global
        .offset:         88
        .size:           8
        .value_kind:     global_buffer
      - .actual_access:  write_only
        .address_space:  global
        .offset:         96
        .size:           8
        .value_kind:     global_buffer
      - .actual_access:  write_only
        .address_space:  global
        .offset:         104
        .size:           8
        .value_kind:     global_buffer
      - .actual_access:  read_only
        .address_space:  global
        .offset:         112
        .size:           8
        .value_kind:     global_buffer
      - .offset:         120
        .size:           4
        .value_kind:     by_value
      - .address_space:  global
        .offset:         128
        .size:           8
        .value_kind:     global_buffer
      - .address_space:  global
        .offset:         136
        .size:           8
        .value_kind:     global_buffer
      - .offset:         144
        .size:           4
        .value_kind:     hidden_block_count_x
      - .offset:         148
        .size:           4
        .value_kind:     hidden_block_count_y
      - .offset:         152
        .size:           4
        .value_kind:     hidden_block_count_z
      - .offset:         156
        .size:           2
        .value_kind:     hidden_group_size_x
      - .offset:         158
        .size:           2
        .value_kind:     hidden_group_size_y
      - .offset:         160
        .size:           2
        .value_kind:     hidden_group_size_z
      - .offset:         162
        .size:           2
        .value_kind:     hidden_remainder_x
      - .offset:         164
        .size:           2
        .value_kind:     hidden_remainder_y
      - .offset:         166
        .size:           2
        .value_kind:     hidden_remainder_z
      - .offset:         184
        .size:           8
        .value_kind:     hidden_global_offset_x
      - .offset:         192
        .size:           8
        .value_kind:     hidden_global_offset_y
      - .offset:         200
        .size:           8
        .value_kind:     hidden_global_offset_z
      - .offset:         208
        .size:           2
        .value_kind:     hidden_grid_dims
    .group_segment_fixed_size: 17472
    .kernarg_segment_align: 8
    .kernarg_segment_size: 400
    .language:       OpenCL C
    .language_version:
      - 2
      - 0
    .max_flat_workgroup_size: 256
    .name:           _Z39paged_attention_ll4mi_QKV_mfma16_kernelIDF16_hLN4vllm18Fp8KVCacheDataTypeE1EDF16_Li16ELi128ELi256ELb0ELi13EL8MFMAType0EEvPKT_PKT0_S8_ifPKiSA_SA_iPKfiiiPfSD_PS3_PT2_iSC_SC_
    .private_segment_fixed_size: 0
    .sgpr_count:     38
    .sgpr_spill_count: 0
    .symbol:         _Z39paged_attention_ll4mi_QKV_mfma16_kernelIDF16_hLN4vllm18Fp8KVCacheDataTypeE1EDF16_Li16ELi128ELi256ELb0ELi13EL8MFMAType0EEvPKT_PKT0_S8_ifPKiSA_SA_iPKfiiiPfSD_PS3_PT2_iSC_SC_.kd
    .uniform_work_group_size: 1
    .uses_dynamic_stack: false
    .vgpr_count:     150
    .vgpr_spill_count: 0
    .wavefront_size: 32
    .workgroup_processor_mode: 1
  - .args:
      - .actual_access:  read_only
        .address_space:  global
        .offset:         0
        .size:           8
        .value_kind:     global_buffer
      - .actual_access:  read_only
        .address_space:  global
        .offset:         8
        .size:           8
        .value_kind:     global_buffer
      - .actual_access:  read_only
        .address_space:  global
        .offset:         16
        .size:           8
        .value_kind:     global_buffer
      - .offset:         24
        .size:           4
        .value_kind:     by_value
      - .offset:         28
        .size:           4
        .value_kind:     by_value
      - .actual_access:  read_only
        .address_space:  global
        .offset:         32
        .size:           8
        .value_kind:     global_buffer
      - .actual_access:  read_only
        .address_space:  global
        .offset:         40
        .size:           8
        .value_kind:     global_buffer
      - .actual_access:  read_only
        .address_space:  global
        .offset:         48
        .size:           8
        .value_kind:     global_buffer
      - .offset:         56
        .size:           4
        .value_kind:     by_value
      - .actual_access:  read_only
        .address_space:  global
        .offset:         64
        .size:           8
        .value_kind:     global_buffer
      - .offset:         72
        .size:           4
        .value_kind:     by_value
      - .offset:         76
        .size:           4
        .value_kind:     by_value
      - .offset:         80
        .size:           4
        .value_kind:     by_value
      - .actual_access:  write_only
        .address_space:  global
        .offset:         88
        .size:           8
        .value_kind:     global_buffer
      - .actual_access:  write_only
        .address_space:  global
        .offset:         96
        .size:           8
        .value_kind:     global_buffer
      - .actual_access:  write_only
        .address_space:  global
        .offset:         104
        .size:           8
        .value_kind:     global_buffer
      - .actual_access:  read_only
        .address_space:  global
        .offset:         112
        .size:           8
        .value_kind:     global_buffer
      - .offset:         120
        .size:           4
        .value_kind:     by_value
      - .address_space:  global
        .offset:         128
        .size:           8
        .value_kind:     global_buffer
      - .address_space:  global
        .offset:         136
        .size:           8
        .value_kind:     global_buffer
      - .offset:         144
        .size:           4
        .value_kind:     hidden_block_count_x
      - .offset:         148
        .size:           4
        .value_kind:     hidden_block_count_y
      - .offset:         152
        .size:           4
        .value_kind:     hidden_block_count_z
      - .offset:         156
        .size:           2
        .value_kind:     hidden_group_size_x
      - .offset:         158
        .size:           2
        .value_kind:     hidden_group_size_y
      - .offset:         160
        .size:           2
        .value_kind:     hidden_group_size_z
      - .offset:         162
        .size:           2
        .value_kind:     hidden_remainder_x
      - .offset:         164
        .size:           2
        .value_kind:     hidden_remainder_y
      - .offset:         166
        .size:           2
        .value_kind:     hidden_remainder_z
      - .offset:         184
        .size:           8
        .value_kind:     hidden_global_offset_x
      - .offset:         192
        .size:           8
        .value_kind:     hidden_global_offset_y
      - .offset:         200
        .size:           8
        .value_kind:     hidden_global_offset_z
      - .offset:         208
        .size:           2
        .value_kind:     hidden_grid_dims
    .group_segment_fixed_size: 17472
    .kernarg_segment_align: 8
    .kernarg_segment_size: 400
    .language:       OpenCL C
    .language_version:
      - 2
      - 0
    .max_flat_workgroup_size: 256
    .name:           _Z39paged_attention_ll4mi_QKV_mfma16_kernelIDF16_hLN4vllm18Fp8KVCacheDataTypeE1EDF16_Li16ELi128ELi256ELb0ELi14EL8MFMAType0EEvPKT_PKT0_S8_ifPKiSA_SA_iPKfiiiPfSD_PS3_PT2_iSC_SC_
    .private_segment_fixed_size: 0
    .sgpr_count:     38
    .sgpr_spill_count: 0
    .symbol:         _Z39paged_attention_ll4mi_QKV_mfma16_kernelIDF16_hLN4vllm18Fp8KVCacheDataTypeE1EDF16_Li16ELi128ELi256ELb0ELi14EL8MFMAType0EEvPKT_PKT0_S8_ifPKiSA_SA_iPKfiiiPfSD_PS3_PT2_iSC_SC_.kd
    .uniform_work_group_size: 1
    .uses_dynamic_stack: false
    .vgpr_count:     150
    .vgpr_spill_count: 0
    .wavefront_size: 32
    .workgroup_processor_mode: 1
  - .args:
      - .actual_access:  read_only
        .address_space:  global
        .offset:         0
        .size:           8
        .value_kind:     global_buffer
      - .actual_access:  read_only
        .address_space:  global
        .offset:         8
        .size:           8
        .value_kind:     global_buffer
      - .actual_access:  read_only
        .address_space:  global
        .offset:         16
        .size:           8
        .value_kind:     global_buffer
      - .offset:         24
        .size:           4
        .value_kind:     by_value
      - .offset:         28
        .size:           4
        .value_kind:     by_value
      - .actual_access:  read_only
        .address_space:  global
        .offset:         32
        .size:           8
        .value_kind:     global_buffer
      - .actual_access:  read_only
        .address_space:  global
        .offset:         40
        .size:           8
        .value_kind:     global_buffer
      - .actual_access:  read_only
        .address_space:  global
        .offset:         48
        .size:           8
        .value_kind:     global_buffer
      - .offset:         56
        .size:           4
        .value_kind:     by_value
      - .actual_access:  read_only
        .address_space:  global
        .offset:         64
        .size:           8
        .value_kind:     global_buffer
      - .offset:         72
        .size:           4
        .value_kind:     by_value
      - .offset:         76
        .size:           4
        .value_kind:     by_value
      - .offset:         80
        .size:           4
        .value_kind:     by_value
      - .actual_access:  write_only
        .address_space:  global
        .offset:         88
        .size:           8
        .value_kind:     global_buffer
      - .actual_access:  write_only
        .address_space:  global
        .offset:         96
        .size:           8
        .value_kind:     global_buffer
      - .actual_access:  write_only
        .address_space:  global
        .offset:         104
        .size:           8
        .value_kind:     global_buffer
      - .actual_access:  read_only
        .address_space:  global
        .offset:         112
        .size:           8
        .value_kind:     global_buffer
      - .offset:         120
        .size:           4
        .value_kind:     by_value
      - .address_space:  global
        .offset:         128
        .size:           8
        .value_kind:     global_buffer
      - .address_space:  global
        .offset:         136
        .size:           8
        .value_kind:     global_buffer
      - .offset:         144
        .size:           4
        .value_kind:     hidden_block_count_x
      - .offset:         148
        .size:           4
        .value_kind:     hidden_block_count_y
      - .offset:         152
        .size:           4
        .value_kind:     hidden_block_count_z
      - .offset:         156
        .size:           2
        .value_kind:     hidden_group_size_x
      - .offset:         158
        .size:           2
        .value_kind:     hidden_group_size_y
      - .offset:         160
        .size:           2
        .value_kind:     hidden_group_size_z
      - .offset:         162
        .size:           2
        .value_kind:     hidden_remainder_x
      - .offset:         164
        .size:           2
        .value_kind:     hidden_remainder_y
      - .offset:         166
        .size:           2
        .value_kind:     hidden_remainder_z
      - .offset:         184
        .size:           8
        .value_kind:     hidden_global_offset_x
      - .offset:         192
        .size:           8
        .value_kind:     hidden_global_offset_y
      - .offset:         200
        .size:           8
        .value_kind:     hidden_global_offset_z
      - .offset:         208
        .size:           2
        .value_kind:     hidden_grid_dims
    .group_segment_fixed_size: 17472
    .kernarg_segment_align: 8
    .kernarg_segment_size: 400
    .language:       OpenCL C
    .language_version:
      - 2
      - 0
    .max_flat_workgroup_size: 256
    .name:           _Z39paged_attention_ll4mi_QKV_mfma16_kernelIDF16_hLN4vllm18Fp8KVCacheDataTypeE1EDF16_Li16ELi128ELi256ELb0ELi15EL8MFMAType0EEvPKT_PKT0_S8_ifPKiSA_SA_iPKfiiiPfSD_PS3_PT2_iSC_SC_
    .private_segment_fixed_size: 0
    .sgpr_count:     38
    .sgpr_spill_count: 0
    .symbol:         _Z39paged_attention_ll4mi_QKV_mfma16_kernelIDF16_hLN4vllm18Fp8KVCacheDataTypeE1EDF16_Li16ELi128ELi256ELb0ELi15EL8MFMAType0EEvPKT_PKT0_S8_ifPKiSA_SA_iPKfiiiPfSD_PS3_PT2_iSC_SC_.kd
    .uniform_work_group_size: 1
    .uses_dynamic_stack: false
    .vgpr_count:     150
    .vgpr_spill_count: 0
    .wavefront_size: 32
    .workgroup_processor_mode: 1
  - .args:
      - .actual_access:  read_only
        .address_space:  global
        .offset:         0
        .size:           8
        .value_kind:     global_buffer
      - .actual_access:  read_only
        .address_space:  global
        .offset:         8
        .size:           8
        .value_kind:     global_buffer
      - .actual_access:  read_only
        .address_space:  global
        .offset:         16
        .size:           8
        .value_kind:     global_buffer
      - .offset:         24
        .size:           4
        .value_kind:     by_value
      - .offset:         28
        .size:           4
        .value_kind:     by_value
      - .actual_access:  read_only
        .address_space:  global
        .offset:         32
        .size:           8
        .value_kind:     global_buffer
      - .actual_access:  read_only
        .address_space:  global
        .offset:         40
        .size:           8
        .value_kind:     global_buffer
      - .actual_access:  read_only
        .address_space:  global
        .offset:         48
        .size:           8
        .value_kind:     global_buffer
      - .offset:         56
        .size:           4
        .value_kind:     by_value
      - .actual_access:  read_only
        .address_space:  global
        .offset:         64
        .size:           8
        .value_kind:     global_buffer
      - .offset:         72
        .size:           4
        .value_kind:     by_value
      - .offset:         76
        .size:           4
        .value_kind:     by_value
      - .offset:         80
        .size:           4
        .value_kind:     by_value
      - .actual_access:  write_only
        .address_space:  global
        .offset:         88
        .size:           8
        .value_kind:     global_buffer
      - .actual_access:  write_only
        .address_space:  global
        .offset:         96
        .size:           8
        .value_kind:     global_buffer
      - .actual_access:  write_only
        .address_space:  global
        .offset:         104
        .size:           8
        .value_kind:     global_buffer
      - .actual_access:  read_only
        .address_space:  global
        .offset:         112
        .size:           8
        .value_kind:     global_buffer
      - .offset:         120
        .size:           4
        .value_kind:     by_value
      - .address_space:  global
        .offset:         128
        .size:           8
        .value_kind:     global_buffer
      - .address_space:  global
        .offset:         136
        .size:           8
        .value_kind:     global_buffer
      - .offset:         144
        .size:           4
        .value_kind:     hidden_block_count_x
      - .offset:         148
        .size:           4
        .value_kind:     hidden_block_count_y
      - .offset:         152
        .size:           4
        .value_kind:     hidden_block_count_z
      - .offset:         156
        .size:           2
        .value_kind:     hidden_group_size_x
      - .offset:         158
        .size:           2
        .value_kind:     hidden_group_size_y
      - .offset:         160
        .size:           2
        .value_kind:     hidden_group_size_z
      - .offset:         162
        .size:           2
        .value_kind:     hidden_remainder_x
      - .offset:         164
        .size:           2
        .value_kind:     hidden_remainder_y
      - .offset:         166
        .size:           2
        .value_kind:     hidden_remainder_z
      - .offset:         184
        .size:           8
        .value_kind:     hidden_global_offset_x
      - .offset:         192
        .size:           8
        .value_kind:     hidden_global_offset_y
      - .offset:         200
        .size:           8
        .value_kind:     hidden_global_offset_z
      - .offset:         208
        .size:           2
        .value_kind:     hidden_grid_dims
    .group_segment_fixed_size: 17472
    .kernarg_segment_align: 8
    .kernarg_segment_size: 400
    .language:       OpenCL C
    .language_version:
      - 2
      - 0
    .max_flat_workgroup_size: 256
    .name:           _Z39paged_attention_ll4mi_QKV_mfma16_kernelIDF16_hLN4vllm18Fp8KVCacheDataTypeE1EDF16_Li16ELi128ELi256ELb0ELi16EL8MFMAType0EEvPKT_PKT0_S8_ifPKiSA_SA_iPKfiiiPfSD_PS3_PT2_iSC_SC_
    .private_segment_fixed_size: 0
    .sgpr_count:     37
    .sgpr_spill_count: 0
    .symbol:         _Z39paged_attention_ll4mi_QKV_mfma16_kernelIDF16_hLN4vllm18Fp8KVCacheDataTypeE1EDF16_Li16ELi128ELi256ELb0ELi16EL8MFMAType0EEvPKT_PKT0_S8_ifPKiSA_SA_iPKfiiiPfSD_PS3_PT2_iSC_SC_.kd
    .uniform_work_group_size: 1
    .uses_dynamic_stack: false
    .vgpr_count:     140
    .vgpr_spill_count: 0
    .wavefront_size: 32
    .workgroup_processor_mode: 1
  - .args:
      - .actual_access:  read_only
        .address_space:  global
        .offset:         0
        .size:           8
        .value_kind:     global_buffer
      - .actual_access:  read_only
        .address_space:  global
        .offset:         8
        .size:           8
        .value_kind:     global_buffer
      - .actual_access:  read_only
        .address_space:  global
        .offset:         16
        .size:           8
        .value_kind:     global_buffer
      - .offset:         24
        .size:           4
        .value_kind:     by_value
      - .offset:         28
        .size:           4
        .value_kind:     by_value
      - .actual_access:  read_only
        .address_space:  global
        .offset:         32
        .size:           8
        .value_kind:     global_buffer
      - .actual_access:  read_only
        .address_space:  global
        .offset:         40
        .size:           8
        .value_kind:     global_buffer
      - .actual_access:  read_only
        .address_space:  global
        .offset:         48
        .size:           8
        .value_kind:     global_buffer
      - .offset:         56
        .size:           4
        .value_kind:     by_value
      - .actual_access:  read_only
        .address_space:  global
        .offset:         64
        .size:           8
        .value_kind:     global_buffer
      - .offset:         72
        .size:           4
        .value_kind:     by_value
      - .offset:         76
        .size:           4
        .value_kind:     by_value
      - .offset:         80
        .size:           4
        .value_kind:     by_value
      - .actual_access:  write_only
        .address_space:  global
        .offset:         88
        .size:           8
        .value_kind:     global_buffer
      - .actual_access:  write_only
        .address_space:  global
        .offset:         96
        .size:           8
        .value_kind:     global_buffer
      - .actual_access:  write_only
        .address_space:  global
        .offset:         104
        .size:           8
        .value_kind:     global_buffer
      - .actual_access:  read_only
        .address_space:  global
        .offset:         112
        .size:           8
        .value_kind:     global_buffer
      - .offset:         120
        .size:           4
        .value_kind:     by_value
      - .address_space:  global
        .offset:         128
        .size:           8
        .value_kind:     global_buffer
      - .address_space:  global
        .offset:         136
        .size:           8
        .value_kind:     global_buffer
      - .offset:         144
        .size:           4
        .value_kind:     hidden_block_count_x
      - .offset:         148
        .size:           4
        .value_kind:     hidden_block_count_y
      - .offset:         152
        .size:           4
        .value_kind:     hidden_block_count_z
      - .offset:         156
        .size:           2
        .value_kind:     hidden_group_size_x
      - .offset:         158
        .size:           2
        .value_kind:     hidden_group_size_y
      - .offset:         160
        .size:           2
        .value_kind:     hidden_group_size_z
      - .offset:         162
        .size:           2
        .value_kind:     hidden_remainder_x
      - .offset:         164
        .size:           2
        .value_kind:     hidden_remainder_y
      - .offset:         166
        .size:           2
        .value_kind:     hidden_remainder_z
      - .offset:         184
        .size:           8
        .value_kind:     hidden_global_offset_x
      - .offset:         192
        .size:           8
        .value_kind:     hidden_global_offset_y
      - .offset:         200
        .size:           8
        .value_kind:     hidden_global_offset_z
      - .offset:         208
        .size:           2
        .value_kind:     hidden_grid_dims
    .group_segment_fixed_size: 17472
    .kernarg_segment_align: 8
    .kernarg_segment_size: 400
    .language:       OpenCL C
    .language_version:
      - 2
      - 0
    .max_flat_workgroup_size: 256
    .name:           _Z39paged_attention_ll4mi_QKV_mfma16_kernelIDF16_hLN4vllm18Fp8KVCacheDataTypeE1EDF16_Li16ELi128ELi256ELb0ELi1EL8MFMAType0EEvPKT_PKT0_S8_ifPKiSA_SA_iPKfiiiPfSD_PS3_PT2_iSC_SC_
    .private_segment_fixed_size: 0
    .sgpr_count:     68
    .sgpr_spill_count: 0
    .symbol:         _Z39paged_attention_ll4mi_QKV_mfma16_kernelIDF16_hLN4vllm18Fp8KVCacheDataTypeE1EDF16_Li16ELi128ELi256ELb0ELi1EL8MFMAType0EEvPKT_PKT0_S8_ifPKiSA_SA_iPKfiiiPfSD_PS3_PT2_iSC_SC_.kd
    .uniform_work_group_size: 1
    .uses_dynamic_stack: false
    .vgpr_count:     134
    .vgpr_spill_count: 0
    .wavefront_size: 32
    .workgroup_processor_mode: 1
  - .args:
      - .actual_access:  read_only
        .address_space:  global
        .offset:         0
        .size:           8
        .value_kind:     global_buffer
      - .actual_access:  read_only
        .address_space:  global
        .offset:         8
        .size:           8
        .value_kind:     global_buffer
      - .actual_access:  read_only
        .address_space:  global
        .offset:         16
        .size:           8
        .value_kind:     global_buffer
      - .offset:         24
        .size:           4
        .value_kind:     by_value
      - .offset:         28
        .size:           4
        .value_kind:     by_value
      - .actual_access:  read_only
        .address_space:  global
        .offset:         32
        .size:           8
        .value_kind:     global_buffer
      - .actual_access:  read_only
        .address_space:  global
        .offset:         40
        .size:           8
        .value_kind:     global_buffer
      - .actual_access:  read_only
        .address_space:  global
        .offset:         48
        .size:           8
        .value_kind:     global_buffer
      - .offset:         56
        .size:           4
        .value_kind:     by_value
      - .actual_access:  read_only
        .address_space:  global
        .offset:         64
        .size:           8
        .value_kind:     global_buffer
      - .offset:         72
        .size:           4
        .value_kind:     by_value
      - .offset:         76
        .size:           4
        .value_kind:     by_value
      - .offset:         80
        .size:           4
        .value_kind:     by_value
      - .actual_access:  write_only
        .address_space:  global
        .offset:         88
        .size:           8
        .value_kind:     global_buffer
      - .actual_access:  write_only
        .address_space:  global
        .offset:         96
        .size:           8
        .value_kind:     global_buffer
      - .actual_access:  write_only
        .address_space:  global
        .offset:         104
        .size:           8
        .value_kind:     global_buffer
      - .actual_access:  read_only
        .address_space:  global
        .offset:         112
        .size:           8
        .value_kind:     global_buffer
      - .offset:         120
        .size:           4
        .value_kind:     by_value
      - .address_space:  global
        .offset:         128
        .size:           8
        .value_kind:     global_buffer
      - .address_space:  global
        .offset:         136
        .size:           8
        .value_kind:     global_buffer
      - .offset:         144
        .size:           4
        .value_kind:     hidden_block_count_x
      - .offset:         148
        .size:           4
        .value_kind:     hidden_block_count_y
      - .offset:         152
        .size:           4
        .value_kind:     hidden_block_count_z
      - .offset:         156
        .size:           2
        .value_kind:     hidden_group_size_x
      - .offset:         158
        .size:           2
        .value_kind:     hidden_group_size_y
      - .offset:         160
        .size:           2
        .value_kind:     hidden_group_size_z
      - .offset:         162
        .size:           2
        .value_kind:     hidden_remainder_x
      - .offset:         164
        .size:           2
        .value_kind:     hidden_remainder_y
      - .offset:         166
        .size:           2
        .value_kind:     hidden_remainder_z
      - .offset:         184
        .size:           8
        .value_kind:     hidden_global_offset_x
      - .offset:         192
        .size:           8
        .value_kind:     hidden_global_offset_y
      - .offset:         200
        .size:           8
        .value_kind:     hidden_global_offset_z
      - .offset:         208
        .size:           2
        .value_kind:     hidden_grid_dims
    .group_segment_fixed_size: 17472
    .kernarg_segment_align: 8
    .kernarg_segment_size: 400
    .language:       OpenCL C
    .language_version:
      - 2
      - 0
    .max_flat_workgroup_size: 256
    .name:           _Z39paged_attention_ll4mi_QKV_mfma16_kernelIDF16_hLN4vllm18Fp8KVCacheDataTypeE1EDF16_Li16ELi128ELi256ELb0ELi2EL8MFMAType0EEvPKT_PKT0_S8_ifPKiSA_SA_iPKfiiiPfSD_PS3_PT2_iSC_SC_
    .private_segment_fixed_size: 0
    .sgpr_count:     39
    .sgpr_spill_count: 0
    .symbol:         _Z39paged_attention_ll4mi_QKV_mfma16_kernelIDF16_hLN4vllm18Fp8KVCacheDataTypeE1EDF16_Li16ELi128ELi256ELb0ELi2EL8MFMAType0EEvPKT_PKT0_S8_ifPKiSA_SA_iPKfiiiPfSD_PS3_PT2_iSC_SC_.kd
    .uniform_work_group_size: 1
    .uses_dynamic_stack: false
    .vgpr_count:     146
    .vgpr_spill_count: 0
    .wavefront_size: 32
    .workgroup_processor_mode: 1
  - .args:
      - .actual_access:  read_only
        .address_space:  global
        .offset:         0
        .size:           8
        .value_kind:     global_buffer
      - .actual_access:  read_only
        .address_space:  global
        .offset:         8
        .size:           8
        .value_kind:     global_buffer
      - .actual_access:  read_only
        .address_space:  global
        .offset:         16
        .size:           8
        .value_kind:     global_buffer
      - .offset:         24
        .size:           4
        .value_kind:     by_value
      - .offset:         28
        .size:           4
        .value_kind:     by_value
      - .actual_access:  read_only
        .address_space:  global
        .offset:         32
        .size:           8
        .value_kind:     global_buffer
      - .actual_access:  read_only
        .address_space:  global
        .offset:         40
        .size:           8
        .value_kind:     global_buffer
      - .actual_access:  read_only
        .address_space:  global
        .offset:         48
        .size:           8
        .value_kind:     global_buffer
      - .offset:         56
        .size:           4
        .value_kind:     by_value
      - .actual_access:  read_only
        .address_space:  global
        .offset:         64
        .size:           8
        .value_kind:     global_buffer
      - .offset:         72
        .size:           4
        .value_kind:     by_value
      - .offset:         76
        .size:           4
        .value_kind:     by_value
      - .offset:         80
        .size:           4
        .value_kind:     by_value
      - .actual_access:  write_only
        .address_space:  global
        .offset:         88
        .size:           8
        .value_kind:     global_buffer
      - .actual_access:  write_only
        .address_space:  global
        .offset:         96
        .size:           8
        .value_kind:     global_buffer
      - .actual_access:  write_only
        .address_space:  global
        .offset:         104
        .size:           8
        .value_kind:     global_buffer
      - .actual_access:  read_only
        .address_space:  global
        .offset:         112
        .size:           8
        .value_kind:     global_buffer
      - .offset:         120
        .size:           4
        .value_kind:     by_value
      - .address_space:  global
        .offset:         128
        .size:           8
        .value_kind:     global_buffer
      - .address_space:  global
        .offset:         136
        .size:           8
        .value_kind:     global_buffer
      - .offset:         144
        .size:           4
        .value_kind:     hidden_block_count_x
      - .offset:         148
        .size:           4
        .value_kind:     hidden_block_count_y
      - .offset:         152
        .size:           4
        .value_kind:     hidden_block_count_z
      - .offset:         156
        .size:           2
        .value_kind:     hidden_group_size_x
      - .offset:         158
        .size:           2
        .value_kind:     hidden_group_size_y
      - .offset:         160
        .size:           2
        .value_kind:     hidden_group_size_z
      - .offset:         162
        .size:           2
        .value_kind:     hidden_remainder_x
      - .offset:         164
        .size:           2
        .value_kind:     hidden_remainder_y
      - .offset:         166
        .size:           2
        .value_kind:     hidden_remainder_z
      - .offset:         184
        .size:           8
        .value_kind:     hidden_global_offset_x
      - .offset:         192
        .size:           8
        .value_kind:     hidden_global_offset_y
      - .offset:         200
        .size:           8
        .value_kind:     hidden_global_offset_z
      - .offset:         208
        .size:           2
        .value_kind:     hidden_grid_dims
    .group_segment_fixed_size: 17472
    .kernarg_segment_align: 8
    .kernarg_segment_size: 400
    .language:       OpenCL C
    .language_version:
      - 2
      - 0
    .max_flat_workgroup_size: 256
    .name:           _Z39paged_attention_ll4mi_QKV_mfma16_kernelIDF16_hLN4vllm18Fp8KVCacheDataTypeE1EDF16_Li16ELi128ELi256ELb0ELi3EL8MFMAType0EEvPKT_PKT0_S8_ifPKiSA_SA_iPKfiiiPfSD_PS3_PT2_iSC_SC_
    .private_segment_fixed_size: 0
    .sgpr_count:     38
    .sgpr_spill_count: 0
    .symbol:         _Z39paged_attention_ll4mi_QKV_mfma16_kernelIDF16_hLN4vllm18Fp8KVCacheDataTypeE1EDF16_Li16ELi128ELi256ELb0ELi3EL8MFMAType0EEvPKT_PKT0_S8_ifPKiSA_SA_iPKfiiiPfSD_PS3_PT2_iSC_SC_.kd
    .uniform_work_group_size: 1
    .uses_dynamic_stack: false
    .vgpr_count:     150
    .vgpr_spill_count: 0
    .wavefront_size: 32
    .workgroup_processor_mode: 1
  - .args:
      - .actual_access:  read_only
        .address_space:  global
        .offset:         0
        .size:           8
        .value_kind:     global_buffer
      - .actual_access:  read_only
        .address_space:  global
        .offset:         8
        .size:           8
        .value_kind:     global_buffer
      - .actual_access:  read_only
        .address_space:  global
        .offset:         16
        .size:           8
        .value_kind:     global_buffer
      - .offset:         24
        .size:           4
        .value_kind:     by_value
      - .offset:         28
        .size:           4
        .value_kind:     by_value
      - .actual_access:  read_only
        .address_space:  global
        .offset:         32
        .size:           8
        .value_kind:     global_buffer
      - .actual_access:  read_only
        .address_space:  global
        .offset:         40
        .size:           8
        .value_kind:     global_buffer
      - .actual_access:  read_only
        .address_space:  global
        .offset:         48
        .size:           8
        .value_kind:     global_buffer
      - .offset:         56
        .size:           4
        .value_kind:     by_value
      - .actual_access:  read_only
        .address_space:  global
        .offset:         64
        .size:           8
        .value_kind:     global_buffer
      - .offset:         72
        .size:           4
        .value_kind:     by_value
      - .offset:         76
        .size:           4
        .value_kind:     by_value
      - .offset:         80
        .size:           4
        .value_kind:     by_value
      - .actual_access:  write_only
        .address_space:  global
        .offset:         88
        .size:           8
        .value_kind:     global_buffer
      - .actual_access:  write_only
        .address_space:  global
        .offset:         96
        .size:           8
        .value_kind:     global_buffer
      - .actual_access:  write_only
        .address_space:  global
        .offset:         104
        .size:           8
        .value_kind:     global_buffer
      - .actual_access:  read_only
        .address_space:  global
        .offset:         112
        .size:           8
        .value_kind:     global_buffer
      - .offset:         120
        .size:           4
        .value_kind:     by_value
      - .address_space:  global
        .offset:         128
        .size:           8
        .value_kind:     global_buffer
      - .address_space:  global
        .offset:         136
        .size:           8
        .value_kind:     global_buffer
      - .offset:         144
        .size:           4
        .value_kind:     hidden_block_count_x
      - .offset:         148
        .size:           4
        .value_kind:     hidden_block_count_y
      - .offset:         152
        .size:           4
        .value_kind:     hidden_block_count_z
      - .offset:         156
        .size:           2
        .value_kind:     hidden_group_size_x
      - .offset:         158
        .size:           2
        .value_kind:     hidden_group_size_y
      - .offset:         160
        .size:           2
        .value_kind:     hidden_group_size_z
      - .offset:         162
        .size:           2
        .value_kind:     hidden_remainder_x
      - .offset:         164
        .size:           2
        .value_kind:     hidden_remainder_y
      - .offset:         166
        .size:           2
        .value_kind:     hidden_remainder_z
      - .offset:         184
        .size:           8
        .value_kind:     hidden_global_offset_x
      - .offset:         192
        .size:           8
        .value_kind:     hidden_global_offset_y
      - .offset:         200
        .size:           8
        .value_kind:     hidden_global_offset_z
      - .offset:         208
        .size:           2
        .value_kind:     hidden_grid_dims
    .group_segment_fixed_size: 17472
    .kernarg_segment_align: 8
    .kernarg_segment_size: 400
    .language:       OpenCL C
    .language_version:
      - 2
      - 0
    .max_flat_workgroup_size: 256
    .name:           _Z39paged_attention_ll4mi_QKV_mfma16_kernelIDF16_hLN4vllm18Fp8KVCacheDataTypeE1EDF16_Li16ELi128ELi256ELb0ELi4EL8MFMAType0EEvPKT_PKT0_S8_ifPKiSA_SA_iPKfiiiPfSD_PS3_PT2_iSC_SC_
    .private_segment_fixed_size: 0
    .sgpr_count:     38
    .sgpr_spill_count: 0
    .symbol:         _Z39paged_attention_ll4mi_QKV_mfma16_kernelIDF16_hLN4vllm18Fp8KVCacheDataTypeE1EDF16_Li16ELi128ELi256ELb0ELi4EL8MFMAType0EEvPKT_PKT0_S8_ifPKiSA_SA_iPKfiiiPfSD_PS3_PT2_iSC_SC_.kd
    .uniform_work_group_size: 1
    .uses_dynamic_stack: false
    .vgpr_count:     140
    .vgpr_spill_count: 0
    .wavefront_size: 32
    .workgroup_processor_mode: 1
  - .args:
      - .actual_access:  read_only
        .address_space:  global
        .offset:         0
        .size:           8
        .value_kind:     global_buffer
      - .actual_access:  read_only
        .address_space:  global
        .offset:         8
        .size:           8
        .value_kind:     global_buffer
      - .actual_access:  read_only
        .address_space:  global
        .offset:         16
        .size:           8
        .value_kind:     global_buffer
      - .offset:         24
        .size:           4
        .value_kind:     by_value
      - .offset:         28
        .size:           4
        .value_kind:     by_value
      - .actual_access:  read_only
        .address_space:  global
        .offset:         32
        .size:           8
        .value_kind:     global_buffer
      - .actual_access:  read_only
        .address_space:  global
        .offset:         40
        .size:           8
        .value_kind:     global_buffer
      - .actual_access:  read_only
        .address_space:  global
        .offset:         48
        .size:           8
        .value_kind:     global_buffer
      - .offset:         56
        .size:           4
        .value_kind:     by_value
      - .actual_access:  read_only
        .address_space:  global
        .offset:         64
        .size:           8
        .value_kind:     global_buffer
      - .offset:         72
        .size:           4
        .value_kind:     by_value
      - .offset:         76
        .size:           4
        .value_kind:     by_value
      - .offset:         80
        .size:           4
        .value_kind:     by_value
      - .actual_access:  write_only
        .address_space:  global
        .offset:         88
        .size:           8
        .value_kind:     global_buffer
      - .actual_access:  write_only
        .address_space:  global
        .offset:         96
        .size:           8
        .value_kind:     global_buffer
      - .actual_access:  write_only
        .address_space:  global
        .offset:         104
        .size:           8
        .value_kind:     global_buffer
      - .actual_access:  read_only
        .address_space:  global
        .offset:         112
        .size:           8
        .value_kind:     global_buffer
      - .offset:         120
        .size:           4
        .value_kind:     by_value
      - .address_space:  global
        .offset:         128
        .size:           8
        .value_kind:     global_buffer
      - .address_space:  global
        .offset:         136
        .size:           8
        .value_kind:     global_buffer
      - .offset:         144
        .size:           4
        .value_kind:     hidden_block_count_x
      - .offset:         148
        .size:           4
        .value_kind:     hidden_block_count_y
      - .offset:         152
        .size:           4
        .value_kind:     hidden_block_count_z
      - .offset:         156
        .size:           2
        .value_kind:     hidden_group_size_x
      - .offset:         158
        .size:           2
        .value_kind:     hidden_group_size_y
      - .offset:         160
        .size:           2
        .value_kind:     hidden_group_size_z
      - .offset:         162
        .size:           2
        .value_kind:     hidden_remainder_x
      - .offset:         164
        .size:           2
        .value_kind:     hidden_remainder_y
      - .offset:         166
        .size:           2
        .value_kind:     hidden_remainder_z
      - .offset:         184
        .size:           8
        .value_kind:     hidden_global_offset_x
      - .offset:         192
        .size:           8
        .value_kind:     hidden_global_offset_y
      - .offset:         200
        .size:           8
        .value_kind:     hidden_global_offset_z
      - .offset:         208
        .size:           2
        .value_kind:     hidden_grid_dims
    .group_segment_fixed_size: 17472
    .kernarg_segment_align: 8
    .kernarg_segment_size: 400
    .language:       OpenCL C
    .language_version:
      - 2
      - 0
    .max_flat_workgroup_size: 256
    .name:           _Z39paged_attention_ll4mi_QKV_mfma16_kernelIDF16_hLN4vllm18Fp8KVCacheDataTypeE1EhLi32ELi128ELi256ELb1ELi5EL8MFMAType0EEvPKT_PKT0_S8_ifPKiSA_SA_iPKfiiiPfSD_PS3_PT2_iSC_SC_
    .private_segment_fixed_size: 0
    .sgpr_count:     39
    .sgpr_spill_count: 0
    .symbol:         _Z39paged_attention_ll4mi_QKV_mfma16_kernelIDF16_hLN4vllm18Fp8KVCacheDataTypeE1EhLi32ELi128ELi256ELb1ELi5EL8MFMAType0EEvPKT_PKT0_S8_ifPKiSA_SA_iPKfiiiPfSD_PS3_PT2_iSC_SC_.kd
    .uniform_work_group_size: 1
    .uses_dynamic_stack: false
    .vgpr_count:     150
    .vgpr_spill_count: 0
    .wavefront_size: 32
    .workgroup_processor_mode: 1
  - .args:
      - .actual_access:  read_only
        .address_space:  global
        .offset:         0
        .size:           8
        .value_kind:     global_buffer
      - .actual_access:  read_only
        .address_space:  global
        .offset:         8
        .size:           8
        .value_kind:     global_buffer
      - .actual_access:  read_only
        .address_space:  global
        .offset:         16
        .size:           8
        .value_kind:     global_buffer
      - .offset:         24
        .size:           4
        .value_kind:     by_value
      - .offset:         28
        .size:           4
        .value_kind:     by_value
      - .actual_access:  read_only
        .address_space:  global
        .offset:         32
        .size:           8
        .value_kind:     global_buffer
      - .actual_access:  read_only
        .address_space:  global
        .offset:         40
        .size:           8
        .value_kind:     global_buffer
      - .actual_access:  read_only
        .address_space:  global
        .offset:         48
        .size:           8
        .value_kind:     global_buffer
      - .offset:         56
        .size:           4
        .value_kind:     by_value
      - .actual_access:  read_only
        .address_space:  global
        .offset:         64
        .size:           8
        .value_kind:     global_buffer
      - .offset:         72
        .size:           4
        .value_kind:     by_value
      - .offset:         76
        .size:           4
        .value_kind:     by_value
      - .offset:         80
        .size:           4
        .value_kind:     by_value
      - .actual_access:  write_only
        .address_space:  global
        .offset:         88
        .size:           8
        .value_kind:     global_buffer
      - .actual_access:  write_only
        .address_space:  global
        .offset:         96
        .size:           8
        .value_kind:     global_buffer
      - .actual_access:  write_only
        .address_space:  global
        .offset:         104
        .size:           8
        .value_kind:     global_buffer
      - .actual_access:  read_only
        .address_space:  global
        .offset:         112
        .size:           8
        .value_kind:     global_buffer
      - .offset:         120
        .size:           4
        .value_kind:     by_value
      - .address_space:  global
        .offset:         128
        .size:           8
        .value_kind:     global_buffer
      - .address_space:  global
        .offset:         136
        .size:           8
        .value_kind:     global_buffer
      - .offset:         144
        .size:           4
        .value_kind:     hidden_block_count_x
      - .offset:         148
        .size:           4
        .value_kind:     hidden_block_count_y
      - .offset:         152
        .size:           4
        .value_kind:     hidden_block_count_z
      - .offset:         156
        .size:           2
        .value_kind:     hidden_group_size_x
      - .offset:         158
        .size:           2
        .value_kind:     hidden_group_size_y
      - .offset:         160
        .size:           2
        .value_kind:     hidden_group_size_z
      - .offset:         162
        .size:           2
        .value_kind:     hidden_remainder_x
      - .offset:         164
        .size:           2
        .value_kind:     hidden_remainder_y
      - .offset:         166
        .size:           2
        .value_kind:     hidden_remainder_z
      - .offset:         184
        .size:           8
        .value_kind:     hidden_global_offset_x
      - .offset:         192
        .size:           8
        .value_kind:     hidden_global_offset_y
      - .offset:         200
        .size:           8
        .value_kind:     hidden_global_offset_z
      - .offset:         208
        .size:           2
        .value_kind:     hidden_grid_dims
    .group_segment_fixed_size: 17472
    .kernarg_segment_align: 8
    .kernarg_segment_size: 400
    .language:       OpenCL C
    .language_version:
      - 2
      - 0
    .max_flat_workgroup_size: 256
    .name:           _Z39paged_attention_ll4mi_QKV_mfma16_kernelIDF16_hLN4vllm18Fp8KVCacheDataTypeE1EhLi32ELi128ELi256ELb1ELi6EL8MFMAType0EEvPKT_PKT0_S8_ifPKiSA_SA_iPKfiiiPfSD_PS3_PT2_iSC_SC_
    .private_segment_fixed_size: 0
    .sgpr_count:     39
    .sgpr_spill_count: 0
    .symbol:         _Z39paged_attention_ll4mi_QKV_mfma16_kernelIDF16_hLN4vllm18Fp8KVCacheDataTypeE1EhLi32ELi128ELi256ELb1ELi6EL8MFMAType0EEvPKT_PKT0_S8_ifPKiSA_SA_iPKfiiiPfSD_PS3_PT2_iSC_SC_.kd
    .uniform_work_group_size: 1
    .uses_dynamic_stack: false
    .vgpr_count:     150
    .vgpr_spill_count: 0
    .wavefront_size: 32
    .workgroup_processor_mode: 1
  - .args:
      - .actual_access:  read_only
        .address_space:  global
        .offset:         0
        .size:           8
        .value_kind:     global_buffer
      - .actual_access:  read_only
        .address_space:  global
        .offset:         8
        .size:           8
        .value_kind:     global_buffer
      - .actual_access:  read_only
        .address_space:  global
        .offset:         16
        .size:           8
        .value_kind:     global_buffer
      - .offset:         24
        .size:           4
        .value_kind:     by_value
      - .offset:         28
        .size:           4
        .value_kind:     by_value
      - .actual_access:  read_only
        .address_space:  global
        .offset:         32
        .size:           8
        .value_kind:     global_buffer
      - .actual_access:  read_only
        .address_space:  global
        .offset:         40
        .size:           8
        .value_kind:     global_buffer
      - .actual_access:  read_only
        .address_space:  global
        .offset:         48
        .size:           8
        .value_kind:     global_buffer
      - .offset:         56
        .size:           4
        .value_kind:     by_value
      - .actual_access:  read_only
        .address_space:  global
        .offset:         64
        .size:           8
        .value_kind:     global_buffer
      - .offset:         72
        .size:           4
        .value_kind:     by_value
      - .offset:         76
        .size:           4
        .value_kind:     by_value
      - .offset:         80
        .size:           4
        .value_kind:     by_value
      - .actual_access:  write_only
        .address_space:  global
        .offset:         88
        .size:           8
        .value_kind:     global_buffer
      - .actual_access:  write_only
        .address_space:  global
        .offset:         96
        .size:           8
        .value_kind:     global_buffer
      - .actual_access:  write_only
        .address_space:  global
        .offset:         104
        .size:           8
        .value_kind:     global_buffer
      - .actual_access:  read_only
        .address_space:  global
        .offset:         112
        .size:           8
        .value_kind:     global_buffer
      - .offset:         120
        .size:           4
        .value_kind:     by_value
      - .address_space:  global
        .offset:         128
        .size:           8
        .value_kind:     global_buffer
      - .address_space:  global
        .offset:         136
        .size:           8
        .value_kind:     global_buffer
      - .offset:         144
        .size:           4
        .value_kind:     hidden_block_count_x
      - .offset:         148
        .size:           4
        .value_kind:     hidden_block_count_y
      - .offset:         152
        .size:           4
        .value_kind:     hidden_block_count_z
      - .offset:         156
        .size:           2
        .value_kind:     hidden_group_size_x
      - .offset:         158
        .size:           2
        .value_kind:     hidden_group_size_y
      - .offset:         160
        .size:           2
        .value_kind:     hidden_group_size_z
      - .offset:         162
        .size:           2
        .value_kind:     hidden_remainder_x
      - .offset:         164
        .size:           2
        .value_kind:     hidden_remainder_y
      - .offset:         166
        .size:           2
        .value_kind:     hidden_remainder_z
      - .offset:         184
        .size:           8
        .value_kind:     hidden_global_offset_x
      - .offset:         192
        .size:           8
        .value_kind:     hidden_global_offset_y
      - .offset:         200
        .size:           8
        .value_kind:     hidden_global_offset_z
      - .offset:         208
        .size:           2
        .value_kind:     hidden_grid_dims
    .group_segment_fixed_size: 17472
    .kernarg_segment_align: 8
    .kernarg_segment_size: 400
    .language:       OpenCL C
    .language_version:
      - 2
      - 0
    .max_flat_workgroup_size: 256
    .name:           _Z39paged_attention_ll4mi_QKV_mfma16_kernelIDF16_hLN4vllm18Fp8KVCacheDataTypeE1EhLi32ELi128ELi256ELb1ELi7EL8MFMAType0EEvPKT_PKT0_S8_ifPKiSA_SA_iPKfiiiPfSD_PS3_PT2_iSC_SC_
    .private_segment_fixed_size: 0
    .sgpr_count:     39
    .sgpr_spill_count: 0
    .symbol:         _Z39paged_attention_ll4mi_QKV_mfma16_kernelIDF16_hLN4vllm18Fp8KVCacheDataTypeE1EhLi32ELi128ELi256ELb1ELi7EL8MFMAType0EEvPKT_PKT0_S8_ifPKiSA_SA_iPKfiiiPfSD_PS3_PT2_iSC_SC_.kd
    .uniform_work_group_size: 1
    .uses_dynamic_stack: false
    .vgpr_count:     150
    .vgpr_spill_count: 0
    .wavefront_size: 32
    .workgroup_processor_mode: 1
  - .args:
      - .actual_access:  read_only
        .address_space:  global
        .offset:         0
        .size:           8
        .value_kind:     global_buffer
      - .actual_access:  read_only
        .address_space:  global
        .offset:         8
        .size:           8
        .value_kind:     global_buffer
      - .actual_access:  read_only
        .address_space:  global
        .offset:         16
        .size:           8
        .value_kind:     global_buffer
      - .offset:         24
        .size:           4
        .value_kind:     by_value
      - .offset:         28
        .size:           4
        .value_kind:     by_value
      - .actual_access:  read_only
        .address_space:  global
        .offset:         32
        .size:           8
        .value_kind:     global_buffer
      - .actual_access:  read_only
        .address_space:  global
        .offset:         40
        .size:           8
        .value_kind:     global_buffer
      - .actual_access:  read_only
        .address_space:  global
        .offset:         48
        .size:           8
        .value_kind:     global_buffer
      - .offset:         56
        .size:           4
        .value_kind:     by_value
      - .actual_access:  read_only
        .address_space:  global
        .offset:         64
        .size:           8
        .value_kind:     global_buffer
      - .offset:         72
        .size:           4
        .value_kind:     by_value
      - .offset:         76
        .size:           4
        .value_kind:     by_value
      - .offset:         80
        .size:           4
        .value_kind:     by_value
      - .actual_access:  write_only
        .address_space:  global
        .offset:         88
        .size:           8
        .value_kind:     global_buffer
      - .actual_access:  write_only
        .address_space:  global
        .offset:         96
        .size:           8
        .value_kind:     global_buffer
      - .actual_access:  write_only
        .address_space:  global
        .offset:         104
        .size:           8
        .value_kind:     global_buffer
      - .actual_access:  read_only
        .address_space:  global
        .offset:         112
        .size:           8
        .value_kind:     global_buffer
      - .offset:         120
        .size:           4
        .value_kind:     by_value
      - .address_space:  global
        .offset:         128
        .size:           8
        .value_kind:     global_buffer
      - .address_space:  global
        .offset:         136
        .size:           8
        .value_kind:     global_buffer
      - .offset:         144
        .size:           4
        .value_kind:     hidden_block_count_x
      - .offset:         148
        .size:           4
        .value_kind:     hidden_block_count_y
      - .offset:         152
        .size:           4
        .value_kind:     hidden_block_count_z
      - .offset:         156
        .size:           2
        .value_kind:     hidden_group_size_x
      - .offset:         158
        .size:           2
        .value_kind:     hidden_group_size_y
      - .offset:         160
        .size:           2
        .value_kind:     hidden_group_size_z
      - .offset:         162
        .size:           2
        .value_kind:     hidden_remainder_x
      - .offset:         164
        .size:           2
        .value_kind:     hidden_remainder_y
      - .offset:         166
        .size:           2
        .value_kind:     hidden_remainder_z
      - .offset:         184
        .size:           8
        .value_kind:     hidden_global_offset_x
      - .offset:         192
        .size:           8
        .value_kind:     hidden_global_offset_y
      - .offset:         200
        .size:           8
        .value_kind:     hidden_global_offset_z
      - .offset:         208
        .size:           2
        .value_kind:     hidden_grid_dims
    .group_segment_fixed_size: 17472
    .kernarg_segment_align: 8
    .kernarg_segment_size: 400
    .language:       OpenCL C
    .language_version:
      - 2
      - 0
    .max_flat_workgroup_size: 256
    .name:           _Z39paged_attention_ll4mi_QKV_mfma16_kernelIDF16_hLN4vllm18Fp8KVCacheDataTypeE1EhLi32ELi128ELi256ELb1ELi8EL8MFMAType0EEvPKT_PKT0_S8_ifPKiSA_SA_iPKfiiiPfSD_PS3_PT2_iSC_SC_
    .private_segment_fixed_size: 0
    .sgpr_count:     38
    .sgpr_spill_count: 0
    .symbol:         _Z39paged_attention_ll4mi_QKV_mfma16_kernelIDF16_hLN4vllm18Fp8KVCacheDataTypeE1EhLi32ELi128ELi256ELb1ELi8EL8MFMAType0EEvPKT_PKT0_S8_ifPKiSA_SA_iPKfiiiPfSD_PS3_PT2_iSC_SC_.kd
    .uniform_work_group_size: 1
    .uses_dynamic_stack: false
    .vgpr_count:     140
    .vgpr_spill_count: 0
    .wavefront_size: 32
    .workgroup_processor_mode: 1
  - .args:
      - .actual_access:  read_only
        .address_space:  global
        .offset:         0
        .size:           8
        .value_kind:     global_buffer
      - .actual_access:  read_only
        .address_space:  global
        .offset:         8
        .size:           8
        .value_kind:     global_buffer
      - .actual_access:  read_only
        .address_space:  global
        .offset:         16
        .size:           8
        .value_kind:     global_buffer
      - .offset:         24
        .size:           4
        .value_kind:     by_value
      - .offset:         28
        .size:           4
        .value_kind:     by_value
      - .actual_access:  read_only
        .address_space:  global
        .offset:         32
        .size:           8
        .value_kind:     global_buffer
      - .actual_access:  read_only
        .address_space:  global
        .offset:         40
        .size:           8
        .value_kind:     global_buffer
      - .actual_access:  read_only
        .address_space:  global
        .offset:         48
        .size:           8
        .value_kind:     global_buffer
      - .offset:         56
        .size:           4
        .value_kind:     by_value
      - .actual_access:  read_only
        .address_space:  global
        .offset:         64
        .size:           8
        .value_kind:     global_buffer
      - .offset:         72
        .size:           4
        .value_kind:     by_value
      - .offset:         76
        .size:           4
        .value_kind:     by_value
      - .offset:         80
        .size:           4
        .value_kind:     by_value
      - .actual_access:  write_only
        .address_space:  global
        .offset:         88
        .size:           8
        .value_kind:     global_buffer
      - .actual_access:  write_only
        .address_space:  global
        .offset:         96
        .size:           8
        .value_kind:     global_buffer
      - .actual_access:  write_only
        .address_space:  global
        .offset:         104
        .size:           8
        .value_kind:     global_buffer
      - .actual_access:  read_only
        .address_space:  global
        .offset:         112
        .size:           8
        .value_kind:     global_buffer
      - .offset:         120
        .size:           4
        .value_kind:     by_value
      - .address_space:  global
        .offset:         128
        .size:           8
        .value_kind:     global_buffer
      - .address_space:  global
        .offset:         136
        .size:           8
        .value_kind:     global_buffer
      - .offset:         144
        .size:           4
        .value_kind:     hidden_block_count_x
      - .offset:         148
        .size:           4
        .value_kind:     hidden_block_count_y
      - .offset:         152
        .size:           4
        .value_kind:     hidden_block_count_z
      - .offset:         156
        .size:           2
        .value_kind:     hidden_group_size_x
      - .offset:         158
        .size:           2
        .value_kind:     hidden_group_size_y
      - .offset:         160
        .size:           2
        .value_kind:     hidden_group_size_z
      - .offset:         162
        .size:           2
        .value_kind:     hidden_remainder_x
      - .offset:         164
        .size:           2
        .value_kind:     hidden_remainder_y
      - .offset:         166
        .size:           2
        .value_kind:     hidden_remainder_z
      - .offset:         184
        .size:           8
        .value_kind:     hidden_global_offset_x
      - .offset:         192
        .size:           8
        .value_kind:     hidden_global_offset_y
      - .offset:         200
        .size:           8
        .value_kind:     hidden_global_offset_z
      - .offset:         208
        .size:           2
        .value_kind:     hidden_grid_dims
    .group_segment_fixed_size: 17472
    .kernarg_segment_align: 8
    .kernarg_segment_size: 400
    .language:       OpenCL C
    .language_version:
      - 2
      - 0
    .max_flat_workgroup_size: 256
    .name:           _Z39paged_attention_ll4mi_QKV_mfma16_kernelIDF16_hLN4vllm18Fp8KVCacheDataTypeE1EhLi32ELi128ELi256ELb1ELi9EL8MFMAType0EEvPKT_PKT0_S8_ifPKiSA_SA_iPKfiiiPfSD_PS3_PT2_iSC_SC_
    .private_segment_fixed_size: 0
    .sgpr_count:     39
    .sgpr_spill_count: 0
    .symbol:         _Z39paged_attention_ll4mi_QKV_mfma16_kernelIDF16_hLN4vllm18Fp8KVCacheDataTypeE1EhLi32ELi128ELi256ELb1ELi9EL8MFMAType0EEvPKT_PKT0_S8_ifPKiSA_SA_iPKfiiiPfSD_PS3_PT2_iSC_SC_.kd
    .uniform_work_group_size: 1
    .uses_dynamic_stack: false
    .vgpr_count:     150
    .vgpr_spill_count: 0
    .wavefront_size: 32
    .workgroup_processor_mode: 1
  - .args:
      - .actual_access:  read_only
        .address_space:  global
        .offset:         0
        .size:           8
        .value_kind:     global_buffer
      - .actual_access:  read_only
        .address_space:  global
        .offset:         8
        .size:           8
        .value_kind:     global_buffer
      - .actual_access:  read_only
        .address_space:  global
        .offset:         16
        .size:           8
        .value_kind:     global_buffer
      - .offset:         24
        .size:           4
        .value_kind:     by_value
      - .offset:         28
        .size:           4
        .value_kind:     by_value
      - .actual_access:  read_only
        .address_space:  global
        .offset:         32
        .size:           8
        .value_kind:     global_buffer
      - .actual_access:  read_only
        .address_space:  global
        .offset:         40
        .size:           8
        .value_kind:     global_buffer
      - .actual_access:  read_only
        .address_space:  global
        .offset:         48
        .size:           8
        .value_kind:     global_buffer
      - .offset:         56
        .size:           4
        .value_kind:     by_value
      - .actual_access:  read_only
        .address_space:  global
        .offset:         64
        .size:           8
        .value_kind:     global_buffer
      - .offset:         72
        .size:           4
        .value_kind:     by_value
      - .offset:         76
        .size:           4
        .value_kind:     by_value
      - .offset:         80
        .size:           4
        .value_kind:     by_value
      - .actual_access:  write_only
        .address_space:  global
        .offset:         88
        .size:           8
        .value_kind:     global_buffer
      - .actual_access:  write_only
        .address_space:  global
        .offset:         96
        .size:           8
        .value_kind:     global_buffer
      - .actual_access:  write_only
        .address_space:  global
        .offset:         104
        .size:           8
        .value_kind:     global_buffer
      - .actual_access:  read_only
        .address_space:  global
        .offset:         112
        .size:           8
        .value_kind:     global_buffer
      - .offset:         120
        .size:           4
        .value_kind:     by_value
      - .address_space:  global
        .offset:         128
        .size:           8
        .value_kind:     global_buffer
      - .address_space:  global
        .offset:         136
        .size:           8
        .value_kind:     global_buffer
      - .offset:         144
        .size:           4
        .value_kind:     hidden_block_count_x
      - .offset:         148
        .size:           4
        .value_kind:     hidden_block_count_y
      - .offset:         152
        .size:           4
        .value_kind:     hidden_block_count_z
      - .offset:         156
        .size:           2
        .value_kind:     hidden_group_size_x
      - .offset:         158
        .size:           2
        .value_kind:     hidden_group_size_y
      - .offset:         160
        .size:           2
        .value_kind:     hidden_group_size_z
      - .offset:         162
        .size:           2
        .value_kind:     hidden_remainder_x
      - .offset:         164
        .size:           2
        .value_kind:     hidden_remainder_y
      - .offset:         166
        .size:           2
        .value_kind:     hidden_remainder_z
      - .offset:         184
        .size:           8
        .value_kind:     hidden_global_offset_x
      - .offset:         192
        .size:           8
        .value_kind:     hidden_global_offset_y
      - .offset:         200
        .size:           8
        .value_kind:     hidden_global_offset_z
      - .offset:         208
        .size:           2
        .value_kind:     hidden_grid_dims
    .group_segment_fixed_size: 17472
    .kernarg_segment_align: 8
    .kernarg_segment_size: 400
    .language:       OpenCL C
    .language_version:
      - 2
      - 0
    .max_flat_workgroup_size: 256
    .name:           _Z39paged_attention_ll4mi_QKV_mfma16_kernelIDF16_hLN4vllm18Fp8KVCacheDataTypeE1EhLi32ELi128ELi256ELb1ELi10EL8MFMAType0EEvPKT_PKT0_S8_ifPKiSA_SA_iPKfiiiPfSD_PS3_PT2_iSC_SC_
    .private_segment_fixed_size: 0
    .sgpr_count:     39
    .sgpr_spill_count: 0
    .symbol:         _Z39paged_attention_ll4mi_QKV_mfma16_kernelIDF16_hLN4vllm18Fp8KVCacheDataTypeE1EhLi32ELi128ELi256ELb1ELi10EL8MFMAType0EEvPKT_PKT0_S8_ifPKiSA_SA_iPKfiiiPfSD_PS3_PT2_iSC_SC_.kd
    .uniform_work_group_size: 1
    .uses_dynamic_stack: false
    .vgpr_count:     150
    .vgpr_spill_count: 0
    .wavefront_size: 32
    .workgroup_processor_mode: 1
  - .args:
      - .actual_access:  read_only
        .address_space:  global
        .offset:         0
        .size:           8
        .value_kind:     global_buffer
      - .actual_access:  read_only
        .address_space:  global
        .offset:         8
        .size:           8
        .value_kind:     global_buffer
      - .actual_access:  read_only
        .address_space:  global
        .offset:         16
        .size:           8
        .value_kind:     global_buffer
      - .offset:         24
        .size:           4
        .value_kind:     by_value
      - .offset:         28
        .size:           4
        .value_kind:     by_value
      - .actual_access:  read_only
        .address_space:  global
        .offset:         32
        .size:           8
        .value_kind:     global_buffer
      - .actual_access:  read_only
        .address_space:  global
        .offset:         40
        .size:           8
        .value_kind:     global_buffer
      - .actual_access:  read_only
        .address_space:  global
        .offset:         48
        .size:           8
        .value_kind:     global_buffer
      - .offset:         56
        .size:           4
        .value_kind:     by_value
      - .actual_access:  read_only
        .address_space:  global
        .offset:         64
        .size:           8
        .value_kind:     global_buffer
      - .offset:         72
        .size:           4
        .value_kind:     by_value
      - .offset:         76
        .size:           4
        .value_kind:     by_value
      - .offset:         80
        .size:           4
        .value_kind:     by_value
      - .actual_access:  write_only
        .address_space:  global
        .offset:         88
        .size:           8
        .value_kind:     global_buffer
      - .actual_access:  write_only
        .address_space:  global
        .offset:         96
        .size:           8
        .value_kind:     global_buffer
      - .actual_access:  write_only
        .address_space:  global
        .offset:         104
        .size:           8
        .value_kind:     global_buffer
      - .actual_access:  read_only
        .address_space:  global
        .offset:         112
        .size:           8
        .value_kind:     global_buffer
      - .offset:         120
        .size:           4
        .value_kind:     by_value
      - .address_space:  global
        .offset:         128
        .size:           8
        .value_kind:     global_buffer
      - .address_space:  global
        .offset:         136
        .size:           8
        .value_kind:     global_buffer
      - .offset:         144
        .size:           4
        .value_kind:     hidden_block_count_x
      - .offset:         148
        .size:           4
        .value_kind:     hidden_block_count_y
      - .offset:         152
        .size:           4
        .value_kind:     hidden_block_count_z
      - .offset:         156
        .size:           2
        .value_kind:     hidden_group_size_x
      - .offset:         158
        .size:           2
        .value_kind:     hidden_group_size_y
      - .offset:         160
        .size:           2
        .value_kind:     hidden_group_size_z
      - .offset:         162
        .size:           2
        .value_kind:     hidden_remainder_x
      - .offset:         164
        .size:           2
        .value_kind:     hidden_remainder_y
      - .offset:         166
        .size:           2
        .value_kind:     hidden_remainder_z
      - .offset:         184
        .size:           8
        .value_kind:     hidden_global_offset_x
      - .offset:         192
        .size:           8
        .value_kind:     hidden_global_offset_y
      - .offset:         200
        .size:           8
        .value_kind:     hidden_global_offset_z
      - .offset:         208
        .size:           2
        .value_kind:     hidden_grid_dims
    .group_segment_fixed_size: 17472
    .kernarg_segment_align: 8
    .kernarg_segment_size: 400
    .language:       OpenCL C
    .language_version:
      - 2
      - 0
    .max_flat_workgroup_size: 256
    .name:           _Z39paged_attention_ll4mi_QKV_mfma16_kernelIDF16_hLN4vllm18Fp8KVCacheDataTypeE1EhLi32ELi128ELi256ELb1ELi11EL8MFMAType0EEvPKT_PKT0_S8_ifPKiSA_SA_iPKfiiiPfSD_PS3_PT2_iSC_SC_
    .private_segment_fixed_size: 0
    .sgpr_count:     39
    .sgpr_spill_count: 0
    .symbol:         _Z39paged_attention_ll4mi_QKV_mfma16_kernelIDF16_hLN4vllm18Fp8KVCacheDataTypeE1EhLi32ELi128ELi256ELb1ELi11EL8MFMAType0EEvPKT_PKT0_S8_ifPKiSA_SA_iPKfiiiPfSD_PS3_PT2_iSC_SC_.kd
    .uniform_work_group_size: 1
    .uses_dynamic_stack: false
    .vgpr_count:     150
    .vgpr_spill_count: 0
    .wavefront_size: 32
    .workgroup_processor_mode: 1
  - .args:
      - .actual_access:  read_only
        .address_space:  global
        .offset:         0
        .size:           8
        .value_kind:     global_buffer
      - .actual_access:  read_only
        .address_space:  global
        .offset:         8
        .size:           8
        .value_kind:     global_buffer
      - .actual_access:  read_only
        .address_space:  global
        .offset:         16
        .size:           8
        .value_kind:     global_buffer
      - .offset:         24
        .size:           4
        .value_kind:     by_value
      - .offset:         28
        .size:           4
        .value_kind:     by_value
      - .actual_access:  read_only
        .address_space:  global
        .offset:         32
        .size:           8
        .value_kind:     global_buffer
      - .actual_access:  read_only
        .address_space:  global
        .offset:         40
        .size:           8
        .value_kind:     global_buffer
      - .actual_access:  read_only
        .address_space:  global
        .offset:         48
        .size:           8
        .value_kind:     global_buffer
      - .offset:         56
        .size:           4
        .value_kind:     by_value
      - .actual_access:  read_only
        .address_space:  global
        .offset:         64
        .size:           8
        .value_kind:     global_buffer
      - .offset:         72
        .size:           4
        .value_kind:     by_value
      - .offset:         76
        .size:           4
        .value_kind:     by_value
      - .offset:         80
        .size:           4
        .value_kind:     by_value
      - .actual_access:  write_only
        .address_space:  global
        .offset:         88
        .size:           8
        .value_kind:     global_buffer
      - .actual_access:  write_only
        .address_space:  global
        .offset:         96
        .size:           8
        .value_kind:     global_buffer
      - .actual_access:  write_only
        .address_space:  global
        .offset:         104
        .size:           8
        .value_kind:     global_buffer
      - .actual_access:  read_only
        .address_space:  global
        .offset:         112
        .size:           8
        .value_kind:     global_buffer
      - .offset:         120
        .size:           4
        .value_kind:     by_value
      - .address_space:  global
        .offset:         128
        .size:           8
        .value_kind:     global_buffer
      - .address_space:  global
        .offset:         136
        .size:           8
        .value_kind:     global_buffer
      - .offset:         144
        .size:           4
        .value_kind:     hidden_block_count_x
      - .offset:         148
        .size:           4
        .value_kind:     hidden_block_count_y
      - .offset:         152
        .size:           4
        .value_kind:     hidden_block_count_z
      - .offset:         156
        .size:           2
        .value_kind:     hidden_group_size_x
      - .offset:         158
        .size:           2
        .value_kind:     hidden_group_size_y
      - .offset:         160
        .size:           2
        .value_kind:     hidden_group_size_z
      - .offset:         162
        .size:           2
        .value_kind:     hidden_remainder_x
      - .offset:         164
        .size:           2
        .value_kind:     hidden_remainder_y
      - .offset:         166
        .size:           2
        .value_kind:     hidden_remainder_z
      - .offset:         184
        .size:           8
        .value_kind:     hidden_global_offset_x
      - .offset:         192
        .size:           8
        .value_kind:     hidden_global_offset_y
      - .offset:         200
        .size:           8
        .value_kind:     hidden_global_offset_z
      - .offset:         208
        .size:           2
        .value_kind:     hidden_grid_dims
    .group_segment_fixed_size: 17472
    .kernarg_segment_align: 8
    .kernarg_segment_size: 400
    .language:       OpenCL C
    .language_version:
      - 2
      - 0
    .max_flat_workgroup_size: 256
    .name:           _Z39paged_attention_ll4mi_QKV_mfma16_kernelIDF16_hLN4vllm18Fp8KVCacheDataTypeE1EhLi32ELi128ELi256ELb1ELi12EL8MFMAType0EEvPKT_PKT0_S8_ifPKiSA_SA_iPKfiiiPfSD_PS3_PT2_iSC_SC_
    .private_segment_fixed_size: 0
    .sgpr_count:     39
    .sgpr_spill_count: 0
    .symbol:         _Z39paged_attention_ll4mi_QKV_mfma16_kernelIDF16_hLN4vllm18Fp8KVCacheDataTypeE1EhLi32ELi128ELi256ELb1ELi12EL8MFMAType0EEvPKT_PKT0_S8_ifPKiSA_SA_iPKfiiiPfSD_PS3_PT2_iSC_SC_.kd
    .uniform_work_group_size: 1
    .uses_dynamic_stack: false
    .vgpr_count:     150
    .vgpr_spill_count: 0
    .wavefront_size: 32
    .workgroup_processor_mode: 1
  - .args:
      - .actual_access:  read_only
        .address_space:  global
        .offset:         0
        .size:           8
        .value_kind:     global_buffer
      - .actual_access:  read_only
        .address_space:  global
        .offset:         8
        .size:           8
        .value_kind:     global_buffer
      - .actual_access:  read_only
        .address_space:  global
        .offset:         16
        .size:           8
        .value_kind:     global_buffer
      - .offset:         24
        .size:           4
        .value_kind:     by_value
      - .offset:         28
        .size:           4
        .value_kind:     by_value
      - .actual_access:  read_only
        .address_space:  global
        .offset:         32
        .size:           8
        .value_kind:     global_buffer
      - .actual_access:  read_only
        .address_space:  global
        .offset:         40
        .size:           8
        .value_kind:     global_buffer
      - .actual_access:  read_only
        .address_space:  global
        .offset:         48
        .size:           8
        .value_kind:     global_buffer
      - .offset:         56
        .size:           4
        .value_kind:     by_value
      - .actual_access:  read_only
        .address_space:  global
        .offset:         64
        .size:           8
        .value_kind:     global_buffer
      - .offset:         72
        .size:           4
        .value_kind:     by_value
      - .offset:         76
        .size:           4
        .value_kind:     by_value
      - .offset:         80
        .size:           4
        .value_kind:     by_value
      - .actual_access:  write_only
        .address_space:  global
        .offset:         88
        .size:           8
        .value_kind:     global_buffer
      - .actual_access:  write_only
        .address_space:  global
        .offset:         96
        .size:           8
        .value_kind:     global_buffer
      - .actual_access:  write_only
        .address_space:  global
        .offset:         104
        .size:           8
        .value_kind:     global_buffer
      - .actual_access:  read_only
        .address_space:  global
        .offset:         112
        .size:           8
        .value_kind:     global_buffer
      - .offset:         120
        .size:           4
        .value_kind:     by_value
      - .address_space:  global
        .offset:         128
        .size:           8
        .value_kind:     global_buffer
      - .address_space:  global
        .offset:         136
        .size:           8
        .value_kind:     global_buffer
      - .offset:         144
        .size:           4
        .value_kind:     hidden_block_count_x
      - .offset:         148
        .size:           4
        .value_kind:     hidden_block_count_y
      - .offset:         152
        .size:           4
        .value_kind:     hidden_block_count_z
      - .offset:         156
        .size:           2
        .value_kind:     hidden_group_size_x
      - .offset:         158
        .size:           2
        .value_kind:     hidden_group_size_y
      - .offset:         160
        .size:           2
        .value_kind:     hidden_group_size_z
      - .offset:         162
        .size:           2
        .value_kind:     hidden_remainder_x
      - .offset:         164
        .size:           2
        .value_kind:     hidden_remainder_y
      - .offset:         166
        .size:           2
        .value_kind:     hidden_remainder_z
      - .offset:         184
        .size:           8
        .value_kind:     hidden_global_offset_x
      - .offset:         192
        .size:           8
        .value_kind:     hidden_global_offset_y
      - .offset:         200
        .size:           8
        .value_kind:     hidden_global_offset_z
      - .offset:         208
        .size:           2
        .value_kind:     hidden_grid_dims
    .group_segment_fixed_size: 17472
    .kernarg_segment_align: 8
    .kernarg_segment_size: 400
    .language:       OpenCL C
    .language_version:
      - 2
      - 0
    .max_flat_workgroup_size: 256
    .name:           _Z39paged_attention_ll4mi_QKV_mfma16_kernelIDF16_hLN4vllm18Fp8KVCacheDataTypeE1EhLi32ELi128ELi256ELb1ELi13EL8MFMAType0EEvPKT_PKT0_S8_ifPKiSA_SA_iPKfiiiPfSD_PS3_PT2_iSC_SC_
    .private_segment_fixed_size: 0
    .sgpr_count:     39
    .sgpr_spill_count: 0
    .symbol:         _Z39paged_attention_ll4mi_QKV_mfma16_kernelIDF16_hLN4vllm18Fp8KVCacheDataTypeE1EhLi32ELi128ELi256ELb1ELi13EL8MFMAType0EEvPKT_PKT0_S8_ifPKiSA_SA_iPKfiiiPfSD_PS3_PT2_iSC_SC_.kd
    .uniform_work_group_size: 1
    .uses_dynamic_stack: false
    .vgpr_count:     150
    .vgpr_spill_count: 0
    .wavefront_size: 32
    .workgroup_processor_mode: 1
  - .args:
      - .actual_access:  read_only
        .address_space:  global
        .offset:         0
        .size:           8
        .value_kind:     global_buffer
      - .actual_access:  read_only
        .address_space:  global
        .offset:         8
        .size:           8
        .value_kind:     global_buffer
      - .actual_access:  read_only
        .address_space:  global
        .offset:         16
        .size:           8
        .value_kind:     global_buffer
      - .offset:         24
        .size:           4
        .value_kind:     by_value
      - .offset:         28
        .size:           4
        .value_kind:     by_value
      - .actual_access:  read_only
        .address_space:  global
        .offset:         32
        .size:           8
        .value_kind:     global_buffer
      - .actual_access:  read_only
        .address_space:  global
        .offset:         40
        .size:           8
        .value_kind:     global_buffer
      - .actual_access:  read_only
        .address_space:  global
        .offset:         48
        .size:           8
        .value_kind:     global_buffer
      - .offset:         56
        .size:           4
        .value_kind:     by_value
      - .actual_access:  read_only
        .address_space:  global
        .offset:         64
        .size:           8
        .value_kind:     global_buffer
      - .offset:         72
        .size:           4
        .value_kind:     by_value
      - .offset:         76
        .size:           4
        .value_kind:     by_value
      - .offset:         80
        .size:           4
        .value_kind:     by_value
      - .actual_access:  write_only
        .address_space:  global
        .offset:         88
        .size:           8
        .value_kind:     global_buffer
      - .actual_access:  write_only
        .address_space:  global
        .offset:         96
        .size:           8
        .value_kind:     global_buffer
      - .actual_access:  write_only
        .address_space:  global
        .offset:         104
        .size:           8
        .value_kind:     global_buffer
      - .actual_access:  read_only
        .address_space:  global
        .offset:         112
        .size:           8
        .value_kind:     global_buffer
      - .offset:         120
        .size:           4
        .value_kind:     by_value
      - .address_space:  global
        .offset:         128
        .size:           8
        .value_kind:     global_buffer
      - .address_space:  global
        .offset:         136
        .size:           8
        .value_kind:     global_buffer
      - .offset:         144
        .size:           4
        .value_kind:     hidden_block_count_x
      - .offset:         148
        .size:           4
        .value_kind:     hidden_block_count_y
      - .offset:         152
        .size:           4
        .value_kind:     hidden_block_count_z
      - .offset:         156
        .size:           2
        .value_kind:     hidden_group_size_x
      - .offset:         158
        .size:           2
        .value_kind:     hidden_group_size_y
      - .offset:         160
        .size:           2
        .value_kind:     hidden_group_size_z
      - .offset:         162
        .size:           2
        .value_kind:     hidden_remainder_x
      - .offset:         164
        .size:           2
        .value_kind:     hidden_remainder_y
      - .offset:         166
        .size:           2
        .value_kind:     hidden_remainder_z
      - .offset:         184
        .size:           8
        .value_kind:     hidden_global_offset_x
      - .offset:         192
        .size:           8
        .value_kind:     hidden_global_offset_y
      - .offset:         200
        .size:           8
        .value_kind:     hidden_global_offset_z
      - .offset:         208
        .size:           2
        .value_kind:     hidden_grid_dims
    .group_segment_fixed_size: 17472
    .kernarg_segment_align: 8
    .kernarg_segment_size: 400
    .language:       OpenCL C
    .language_version:
      - 2
      - 0
    .max_flat_workgroup_size: 256
    .name:           _Z39paged_attention_ll4mi_QKV_mfma16_kernelIDF16_hLN4vllm18Fp8KVCacheDataTypeE1EhLi32ELi128ELi256ELb1ELi14EL8MFMAType0EEvPKT_PKT0_S8_ifPKiSA_SA_iPKfiiiPfSD_PS3_PT2_iSC_SC_
    .private_segment_fixed_size: 0
    .sgpr_count:     39
    .sgpr_spill_count: 0
    .symbol:         _Z39paged_attention_ll4mi_QKV_mfma16_kernelIDF16_hLN4vllm18Fp8KVCacheDataTypeE1EhLi32ELi128ELi256ELb1ELi14EL8MFMAType0EEvPKT_PKT0_S8_ifPKiSA_SA_iPKfiiiPfSD_PS3_PT2_iSC_SC_.kd
    .uniform_work_group_size: 1
    .uses_dynamic_stack: false
    .vgpr_count:     150
    .vgpr_spill_count: 0
    .wavefront_size: 32
    .workgroup_processor_mode: 1
  - .args:
      - .actual_access:  read_only
        .address_space:  global
        .offset:         0
        .size:           8
        .value_kind:     global_buffer
      - .actual_access:  read_only
        .address_space:  global
        .offset:         8
        .size:           8
        .value_kind:     global_buffer
      - .actual_access:  read_only
        .address_space:  global
        .offset:         16
        .size:           8
        .value_kind:     global_buffer
      - .offset:         24
        .size:           4
        .value_kind:     by_value
      - .offset:         28
        .size:           4
        .value_kind:     by_value
      - .actual_access:  read_only
        .address_space:  global
        .offset:         32
        .size:           8
        .value_kind:     global_buffer
      - .actual_access:  read_only
        .address_space:  global
        .offset:         40
        .size:           8
        .value_kind:     global_buffer
      - .actual_access:  read_only
        .address_space:  global
        .offset:         48
        .size:           8
        .value_kind:     global_buffer
      - .offset:         56
        .size:           4
        .value_kind:     by_value
      - .actual_access:  read_only
        .address_space:  global
        .offset:         64
        .size:           8
        .value_kind:     global_buffer
      - .offset:         72
        .size:           4
        .value_kind:     by_value
      - .offset:         76
        .size:           4
        .value_kind:     by_value
      - .offset:         80
        .size:           4
        .value_kind:     by_value
      - .actual_access:  write_only
        .address_space:  global
        .offset:         88
        .size:           8
        .value_kind:     global_buffer
      - .actual_access:  write_only
        .address_space:  global
        .offset:         96
        .size:           8
        .value_kind:     global_buffer
      - .actual_access:  write_only
        .address_space:  global
        .offset:         104
        .size:           8
        .value_kind:     global_buffer
      - .actual_access:  read_only
        .address_space:  global
        .offset:         112
        .size:           8
        .value_kind:     global_buffer
      - .offset:         120
        .size:           4
        .value_kind:     by_value
      - .address_space:  global
        .offset:         128
        .size:           8
        .value_kind:     global_buffer
      - .address_space:  global
        .offset:         136
        .size:           8
        .value_kind:     global_buffer
      - .offset:         144
        .size:           4
        .value_kind:     hidden_block_count_x
      - .offset:         148
        .size:           4
        .value_kind:     hidden_block_count_y
      - .offset:         152
        .size:           4
        .value_kind:     hidden_block_count_z
      - .offset:         156
        .size:           2
        .value_kind:     hidden_group_size_x
      - .offset:         158
        .size:           2
        .value_kind:     hidden_group_size_y
      - .offset:         160
        .size:           2
        .value_kind:     hidden_group_size_z
      - .offset:         162
        .size:           2
        .value_kind:     hidden_remainder_x
      - .offset:         164
        .size:           2
        .value_kind:     hidden_remainder_y
      - .offset:         166
        .size:           2
        .value_kind:     hidden_remainder_z
      - .offset:         184
        .size:           8
        .value_kind:     hidden_global_offset_x
      - .offset:         192
        .size:           8
        .value_kind:     hidden_global_offset_y
      - .offset:         200
        .size:           8
        .value_kind:     hidden_global_offset_z
      - .offset:         208
        .size:           2
        .value_kind:     hidden_grid_dims
    .group_segment_fixed_size: 17472
    .kernarg_segment_align: 8
    .kernarg_segment_size: 400
    .language:       OpenCL C
    .language_version:
      - 2
      - 0
    .max_flat_workgroup_size: 256
    .name:           _Z39paged_attention_ll4mi_QKV_mfma16_kernelIDF16_hLN4vllm18Fp8KVCacheDataTypeE1EhLi32ELi128ELi256ELb1ELi15EL8MFMAType0EEvPKT_PKT0_S8_ifPKiSA_SA_iPKfiiiPfSD_PS3_PT2_iSC_SC_
    .private_segment_fixed_size: 0
    .sgpr_count:     39
    .sgpr_spill_count: 0
    .symbol:         _Z39paged_attention_ll4mi_QKV_mfma16_kernelIDF16_hLN4vllm18Fp8KVCacheDataTypeE1EhLi32ELi128ELi256ELb1ELi15EL8MFMAType0EEvPKT_PKT0_S8_ifPKiSA_SA_iPKfiiiPfSD_PS3_PT2_iSC_SC_.kd
    .uniform_work_group_size: 1
    .uses_dynamic_stack: false
    .vgpr_count:     150
    .vgpr_spill_count: 0
    .wavefront_size: 32
    .workgroup_processor_mode: 1
  - .args:
      - .actual_access:  read_only
        .address_space:  global
        .offset:         0
        .size:           8
        .value_kind:     global_buffer
      - .actual_access:  read_only
        .address_space:  global
        .offset:         8
        .size:           8
        .value_kind:     global_buffer
      - .actual_access:  read_only
        .address_space:  global
        .offset:         16
        .size:           8
        .value_kind:     global_buffer
      - .offset:         24
        .size:           4
        .value_kind:     by_value
      - .offset:         28
        .size:           4
        .value_kind:     by_value
      - .actual_access:  read_only
        .address_space:  global
        .offset:         32
        .size:           8
        .value_kind:     global_buffer
      - .actual_access:  read_only
        .address_space:  global
        .offset:         40
        .size:           8
        .value_kind:     global_buffer
      - .actual_access:  read_only
        .address_space:  global
        .offset:         48
        .size:           8
        .value_kind:     global_buffer
      - .offset:         56
        .size:           4
        .value_kind:     by_value
      - .actual_access:  read_only
        .address_space:  global
        .offset:         64
        .size:           8
        .value_kind:     global_buffer
      - .offset:         72
        .size:           4
        .value_kind:     by_value
      - .offset:         76
        .size:           4
        .value_kind:     by_value
      - .offset:         80
        .size:           4
        .value_kind:     by_value
      - .actual_access:  write_only
        .address_space:  global
        .offset:         88
        .size:           8
        .value_kind:     global_buffer
      - .actual_access:  write_only
        .address_space:  global
        .offset:         96
        .size:           8
        .value_kind:     global_buffer
      - .actual_access:  write_only
        .address_space:  global
        .offset:         104
        .size:           8
        .value_kind:     global_buffer
      - .actual_access:  read_only
        .address_space:  global
        .offset:         112
        .size:           8
        .value_kind:     global_buffer
      - .offset:         120
        .size:           4
        .value_kind:     by_value
      - .address_space:  global
        .offset:         128
        .size:           8
        .value_kind:     global_buffer
      - .address_space:  global
        .offset:         136
        .size:           8
        .value_kind:     global_buffer
      - .offset:         144
        .size:           4
        .value_kind:     hidden_block_count_x
      - .offset:         148
        .size:           4
        .value_kind:     hidden_block_count_y
      - .offset:         152
        .size:           4
        .value_kind:     hidden_block_count_z
      - .offset:         156
        .size:           2
        .value_kind:     hidden_group_size_x
      - .offset:         158
        .size:           2
        .value_kind:     hidden_group_size_y
      - .offset:         160
        .size:           2
        .value_kind:     hidden_group_size_z
      - .offset:         162
        .size:           2
        .value_kind:     hidden_remainder_x
      - .offset:         164
        .size:           2
        .value_kind:     hidden_remainder_y
      - .offset:         166
        .size:           2
        .value_kind:     hidden_remainder_z
      - .offset:         184
        .size:           8
        .value_kind:     hidden_global_offset_x
      - .offset:         192
        .size:           8
        .value_kind:     hidden_global_offset_y
      - .offset:         200
        .size:           8
        .value_kind:     hidden_global_offset_z
      - .offset:         208
        .size:           2
        .value_kind:     hidden_grid_dims
    .group_segment_fixed_size: 17472
    .kernarg_segment_align: 8
    .kernarg_segment_size: 400
    .language:       OpenCL C
    .language_version:
      - 2
      - 0
    .max_flat_workgroup_size: 256
    .name:           _Z39paged_attention_ll4mi_QKV_mfma16_kernelIDF16_hLN4vllm18Fp8KVCacheDataTypeE1EhLi32ELi128ELi256ELb1ELi16EL8MFMAType0EEvPKT_PKT0_S8_ifPKiSA_SA_iPKfiiiPfSD_PS3_PT2_iSC_SC_
    .private_segment_fixed_size: 0
    .sgpr_count:     39
    .sgpr_spill_count: 0
    .symbol:         _Z39paged_attention_ll4mi_QKV_mfma16_kernelIDF16_hLN4vllm18Fp8KVCacheDataTypeE1EhLi32ELi128ELi256ELb1ELi16EL8MFMAType0EEvPKT_PKT0_S8_ifPKiSA_SA_iPKfiiiPfSD_PS3_PT2_iSC_SC_.kd
    .uniform_work_group_size: 1
    .uses_dynamic_stack: false
    .vgpr_count:     140
    .vgpr_spill_count: 0
    .wavefront_size: 32
    .workgroup_processor_mode: 1
  - .args:
      - .actual_access:  read_only
        .address_space:  global
        .offset:         0
        .size:           8
        .value_kind:     global_buffer
      - .actual_access:  read_only
        .address_space:  global
        .offset:         8
        .size:           8
        .value_kind:     global_buffer
      - .actual_access:  read_only
        .address_space:  global
        .offset:         16
        .size:           8
        .value_kind:     global_buffer
      - .offset:         24
        .size:           4
        .value_kind:     by_value
      - .offset:         28
        .size:           4
        .value_kind:     by_value
      - .actual_access:  read_only
        .address_space:  global
        .offset:         32
        .size:           8
        .value_kind:     global_buffer
      - .actual_access:  read_only
        .address_space:  global
        .offset:         40
        .size:           8
        .value_kind:     global_buffer
      - .actual_access:  read_only
        .address_space:  global
        .offset:         48
        .size:           8
        .value_kind:     global_buffer
      - .offset:         56
        .size:           4
        .value_kind:     by_value
      - .actual_access:  read_only
        .address_space:  global
        .offset:         64
        .size:           8
        .value_kind:     global_buffer
      - .offset:         72
        .size:           4
        .value_kind:     by_value
      - .offset:         76
        .size:           4
        .value_kind:     by_value
      - .offset:         80
        .size:           4
        .value_kind:     by_value
      - .actual_access:  write_only
        .address_space:  global
        .offset:         88
        .size:           8
        .value_kind:     global_buffer
      - .actual_access:  write_only
        .address_space:  global
        .offset:         96
        .size:           8
        .value_kind:     global_buffer
      - .actual_access:  write_only
        .address_space:  global
        .offset:         104
        .size:           8
        .value_kind:     global_buffer
      - .actual_access:  read_only
        .address_space:  global
        .offset:         112
        .size:           8
        .value_kind:     global_buffer
      - .offset:         120
        .size:           4
        .value_kind:     by_value
      - .address_space:  global
        .offset:         128
        .size:           8
        .value_kind:     global_buffer
      - .address_space:  global
        .offset:         136
        .size:           8
        .value_kind:     global_buffer
      - .offset:         144
        .size:           4
        .value_kind:     hidden_block_count_x
      - .offset:         148
        .size:           4
        .value_kind:     hidden_block_count_y
      - .offset:         152
        .size:           4
        .value_kind:     hidden_block_count_z
      - .offset:         156
        .size:           2
        .value_kind:     hidden_group_size_x
      - .offset:         158
        .size:           2
        .value_kind:     hidden_group_size_y
      - .offset:         160
        .size:           2
        .value_kind:     hidden_group_size_z
      - .offset:         162
        .size:           2
        .value_kind:     hidden_remainder_x
      - .offset:         164
        .size:           2
        .value_kind:     hidden_remainder_y
      - .offset:         166
        .size:           2
        .value_kind:     hidden_remainder_z
      - .offset:         184
        .size:           8
        .value_kind:     hidden_global_offset_x
      - .offset:         192
        .size:           8
        .value_kind:     hidden_global_offset_y
      - .offset:         200
        .size:           8
        .value_kind:     hidden_global_offset_z
      - .offset:         208
        .size:           2
        .value_kind:     hidden_grid_dims
    .group_segment_fixed_size: 17472
    .kernarg_segment_align: 8
    .kernarg_segment_size: 400
    .language:       OpenCL C
    .language_version:
      - 2
      - 0
    .max_flat_workgroup_size: 256
    .name:           _Z39paged_attention_ll4mi_QKV_mfma16_kernelIDF16_hLN4vllm18Fp8KVCacheDataTypeE1EhLi32ELi128ELi256ELb1ELi1EL8MFMAType0EEvPKT_PKT0_S8_ifPKiSA_SA_iPKfiiiPfSD_PS3_PT2_iSC_SC_
    .private_segment_fixed_size: 0
    .sgpr_count:     70
    .sgpr_spill_count: 0
    .symbol:         _Z39paged_attention_ll4mi_QKV_mfma16_kernelIDF16_hLN4vllm18Fp8KVCacheDataTypeE1EhLi32ELi128ELi256ELb1ELi1EL8MFMAType0EEvPKT_PKT0_S8_ifPKiSA_SA_iPKfiiiPfSD_PS3_PT2_iSC_SC_.kd
    .uniform_work_group_size: 1
    .uses_dynamic_stack: false
    .vgpr_count:     134
    .vgpr_spill_count: 0
    .wavefront_size: 32
    .workgroup_processor_mode: 1
  - .args:
      - .actual_access:  read_only
        .address_space:  global
        .offset:         0
        .size:           8
        .value_kind:     global_buffer
      - .actual_access:  read_only
        .address_space:  global
        .offset:         8
        .size:           8
        .value_kind:     global_buffer
      - .actual_access:  read_only
        .address_space:  global
        .offset:         16
        .size:           8
        .value_kind:     global_buffer
      - .offset:         24
        .size:           4
        .value_kind:     by_value
      - .offset:         28
        .size:           4
        .value_kind:     by_value
      - .actual_access:  read_only
        .address_space:  global
        .offset:         32
        .size:           8
        .value_kind:     global_buffer
      - .actual_access:  read_only
        .address_space:  global
        .offset:         40
        .size:           8
        .value_kind:     global_buffer
      - .actual_access:  read_only
        .address_space:  global
        .offset:         48
        .size:           8
        .value_kind:     global_buffer
      - .offset:         56
        .size:           4
        .value_kind:     by_value
      - .actual_access:  read_only
        .address_space:  global
        .offset:         64
        .size:           8
        .value_kind:     global_buffer
      - .offset:         72
        .size:           4
        .value_kind:     by_value
      - .offset:         76
        .size:           4
        .value_kind:     by_value
      - .offset:         80
        .size:           4
        .value_kind:     by_value
      - .actual_access:  write_only
        .address_space:  global
        .offset:         88
        .size:           8
        .value_kind:     global_buffer
      - .actual_access:  write_only
        .address_space:  global
        .offset:         96
        .size:           8
        .value_kind:     global_buffer
      - .actual_access:  write_only
        .address_space:  global
        .offset:         104
        .size:           8
        .value_kind:     global_buffer
      - .actual_access:  read_only
        .address_space:  global
        .offset:         112
        .size:           8
        .value_kind:     global_buffer
      - .offset:         120
        .size:           4
        .value_kind:     by_value
      - .address_space:  global
        .offset:         128
        .size:           8
        .value_kind:     global_buffer
      - .address_space:  global
        .offset:         136
        .size:           8
        .value_kind:     global_buffer
      - .offset:         144
        .size:           4
        .value_kind:     hidden_block_count_x
      - .offset:         148
        .size:           4
        .value_kind:     hidden_block_count_y
      - .offset:         152
        .size:           4
        .value_kind:     hidden_block_count_z
      - .offset:         156
        .size:           2
        .value_kind:     hidden_group_size_x
      - .offset:         158
        .size:           2
        .value_kind:     hidden_group_size_y
      - .offset:         160
        .size:           2
        .value_kind:     hidden_group_size_z
      - .offset:         162
        .size:           2
        .value_kind:     hidden_remainder_x
      - .offset:         164
        .size:           2
        .value_kind:     hidden_remainder_y
      - .offset:         166
        .size:           2
        .value_kind:     hidden_remainder_z
      - .offset:         184
        .size:           8
        .value_kind:     hidden_global_offset_x
      - .offset:         192
        .size:           8
        .value_kind:     hidden_global_offset_y
      - .offset:         200
        .size:           8
        .value_kind:     hidden_global_offset_z
      - .offset:         208
        .size:           2
        .value_kind:     hidden_grid_dims
    .group_segment_fixed_size: 17472
    .kernarg_segment_align: 8
    .kernarg_segment_size: 400
    .language:       OpenCL C
    .language_version:
      - 2
      - 0
    .max_flat_workgroup_size: 256
    .name:           _Z39paged_attention_ll4mi_QKV_mfma16_kernelIDF16_hLN4vllm18Fp8KVCacheDataTypeE1EhLi32ELi128ELi256ELb1ELi2EL8MFMAType0EEvPKT_PKT0_S8_ifPKiSA_SA_iPKfiiiPfSD_PS3_PT2_iSC_SC_
    .private_segment_fixed_size: 0
    .sgpr_count:     41
    .sgpr_spill_count: 0
    .symbol:         _Z39paged_attention_ll4mi_QKV_mfma16_kernelIDF16_hLN4vllm18Fp8KVCacheDataTypeE1EhLi32ELi128ELi256ELb1ELi2EL8MFMAType0EEvPKT_PKT0_S8_ifPKiSA_SA_iPKfiiiPfSD_PS3_PT2_iSC_SC_.kd
    .uniform_work_group_size: 1
    .uses_dynamic_stack: false
    .vgpr_count:     146
    .vgpr_spill_count: 0
    .wavefront_size: 32
    .workgroup_processor_mode: 1
  - .args:
      - .actual_access:  read_only
        .address_space:  global
        .offset:         0
        .size:           8
        .value_kind:     global_buffer
      - .actual_access:  read_only
        .address_space:  global
        .offset:         8
        .size:           8
        .value_kind:     global_buffer
      - .actual_access:  read_only
        .address_space:  global
        .offset:         16
        .size:           8
        .value_kind:     global_buffer
      - .offset:         24
        .size:           4
        .value_kind:     by_value
      - .offset:         28
        .size:           4
        .value_kind:     by_value
      - .actual_access:  read_only
        .address_space:  global
        .offset:         32
        .size:           8
        .value_kind:     global_buffer
      - .actual_access:  read_only
        .address_space:  global
        .offset:         40
        .size:           8
        .value_kind:     global_buffer
      - .actual_access:  read_only
        .address_space:  global
        .offset:         48
        .size:           8
        .value_kind:     global_buffer
      - .offset:         56
        .size:           4
        .value_kind:     by_value
      - .actual_access:  read_only
        .address_space:  global
        .offset:         64
        .size:           8
        .value_kind:     global_buffer
      - .offset:         72
        .size:           4
        .value_kind:     by_value
      - .offset:         76
        .size:           4
        .value_kind:     by_value
      - .offset:         80
        .size:           4
        .value_kind:     by_value
      - .actual_access:  write_only
        .address_space:  global
        .offset:         88
        .size:           8
        .value_kind:     global_buffer
      - .actual_access:  write_only
        .address_space:  global
        .offset:         96
        .size:           8
        .value_kind:     global_buffer
      - .actual_access:  write_only
        .address_space:  global
        .offset:         104
        .size:           8
        .value_kind:     global_buffer
      - .actual_access:  read_only
        .address_space:  global
        .offset:         112
        .size:           8
        .value_kind:     global_buffer
      - .offset:         120
        .size:           4
        .value_kind:     by_value
      - .address_space:  global
        .offset:         128
        .size:           8
        .value_kind:     global_buffer
      - .address_space:  global
        .offset:         136
        .size:           8
        .value_kind:     global_buffer
      - .offset:         144
        .size:           4
        .value_kind:     hidden_block_count_x
      - .offset:         148
        .size:           4
        .value_kind:     hidden_block_count_y
      - .offset:         152
        .size:           4
        .value_kind:     hidden_block_count_z
      - .offset:         156
        .size:           2
        .value_kind:     hidden_group_size_x
      - .offset:         158
        .size:           2
        .value_kind:     hidden_group_size_y
      - .offset:         160
        .size:           2
        .value_kind:     hidden_group_size_z
      - .offset:         162
        .size:           2
        .value_kind:     hidden_remainder_x
      - .offset:         164
        .size:           2
        .value_kind:     hidden_remainder_y
      - .offset:         166
        .size:           2
        .value_kind:     hidden_remainder_z
      - .offset:         184
        .size:           8
        .value_kind:     hidden_global_offset_x
      - .offset:         192
        .size:           8
        .value_kind:     hidden_global_offset_y
      - .offset:         200
        .size:           8
        .value_kind:     hidden_global_offset_z
      - .offset:         208
        .size:           2
        .value_kind:     hidden_grid_dims
    .group_segment_fixed_size: 17472
    .kernarg_segment_align: 8
    .kernarg_segment_size: 400
    .language:       OpenCL C
    .language_version:
      - 2
      - 0
    .max_flat_workgroup_size: 256
    .name:           _Z39paged_attention_ll4mi_QKV_mfma16_kernelIDF16_hLN4vllm18Fp8KVCacheDataTypeE1EhLi32ELi128ELi256ELb1ELi3EL8MFMAType0EEvPKT_PKT0_S8_ifPKiSA_SA_iPKfiiiPfSD_PS3_PT2_iSC_SC_
    .private_segment_fixed_size: 0
    .sgpr_count:     39
    .sgpr_spill_count: 0
    .symbol:         _Z39paged_attention_ll4mi_QKV_mfma16_kernelIDF16_hLN4vllm18Fp8KVCacheDataTypeE1EhLi32ELi128ELi256ELb1ELi3EL8MFMAType0EEvPKT_PKT0_S8_ifPKiSA_SA_iPKfiiiPfSD_PS3_PT2_iSC_SC_.kd
    .uniform_work_group_size: 1
    .uses_dynamic_stack: false
    .vgpr_count:     150
    .vgpr_spill_count: 0
    .wavefront_size: 32
    .workgroup_processor_mode: 1
  - .args:
      - .actual_access:  read_only
        .address_space:  global
        .offset:         0
        .size:           8
        .value_kind:     global_buffer
      - .actual_access:  read_only
        .address_space:  global
        .offset:         8
        .size:           8
        .value_kind:     global_buffer
      - .actual_access:  read_only
        .address_space:  global
        .offset:         16
        .size:           8
        .value_kind:     global_buffer
      - .offset:         24
        .size:           4
        .value_kind:     by_value
      - .offset:         28
        .size:           4
        .value_kind:     by_value
      - .actual_access:  read_only
        .address_space:  global
        .offset:         32
        .size:           8
        .value_kind:     global_buffer
      - .actual_access:  read_only
        .address_space:  global
        .offset:         40
        .size:           8
        .value_kind:     global_buffer
      - .actual_access:  read_only
        .address_space:  global
        .offset:         48
        .size:           8
        .value_kind:     global_buffer
      - .offset:         56
        .size:           4
        .value_kind:     by_value
      - .actual_access:  read_only
        .address_space:  global
        .offset:         64
        .size:           8
        .value_kind:     global_buffer
      - .offset:         72
        .size:           4
        .value_kind:     by_value
      - .offset:         76
        .size:           4
        .value_kind:     by_value
      - .offset:         80
        .size:           4
        .value_kind:     by_value
      - .actual_access:  write_only
        .address_space:  global
        .offset:         88
        .size:           8
        .value_kind:     global_buffer
      - .actual_access:  write_only
        .address_space:  global
        .offset:         96
        .size:           8
        .value_kind:     global_buffer
      - .actual_access:  write_only
        .address_space:  global
        .offset:         104
        .size:           8
        .value_kind:     global_buffer
      - .actual_access:  read_only
        .address_space:  global
        .offset:         112
        .size:           8
        .value_kind:     global_buffer
      - .offset:         120
        .size:           4
        .value_kind:     by_value
      - .address_space:  global
        .offset:         128
        .size:           8
        .value_kind:     global_buffer
      - .address_space:  global
        .offset:         136
        .size:           8
        .value_kind:     global_buffer
      - .offset:         144
        .size:           4
        .value_kind:     hidden_block_count_x
      - .offset:         148
        .size:           4
        .value_kind:     hidden_block_count_y
      - .offset:         152
        .size:           4
        .value_kind:     hidden_block_count_z
      - .offset:         156
        .size:           2
        .value_kind:     hidden_group_size_x
      - .offset:         158
        .size:           2
        .value_kind:     hidden_group_size_y
      - .offset:         160
        .size:           2
        .value_kind:     hidden_group_size_z
      - .offset:         162
        .size:           2
        .value_kind:     hidden_remainder_x
      - .offset:         164
        .size:           2
        .value_kind:     hidden_remainder_y
      - .offset:         166
        .size:           2
        .value_kind:     hidden_remainder_z
      - .offset:         184
        .size:           8
        .value_kind:     hidden_global_offset_x
      - .offset:         192
        .size:           8
        .value_kind:     hidden_global_offset_y
      - .offset:         200
        .size:           8
        .value_kind:     hidden_global_offset_z
      - .offset:         208
        .size:           2
        .value_kind:     hidden_grid_dims
    .group_segment_fixed_size: 17472
    .kernarg_segment_align: 8
    .kernarg_segment_size: 400
    .language:       OpenCL C
    .language_version:
      - 2
      - 0
    .max_flat_workgroup_size: 256
    .name:           _Z39paged_attention_ll4mi_QKV_mfma16_kernelIDF16_hLN4vllm18Fp8KVCacheDataTypeE1EhLi32ELi128ELi256ELb1ELi4EL8MFMAType0EEvPKT_PKT0_S8_ifPKiSA_SA_iPKfiiiPfSD_PS3_PT2_iSC_SC_
    .private_segment_fixed_size: 0
    .sgpr_count:     38
    .sgpr_spill_count: 0
    .symbol:         _Z39paged_attention_ll4mi_QKV_mfma16_kernelIDF16_hLN4vllm18Fp8KVCacheDataTypeE1EhLi32ELi128ELi256ELb1ELi4EL8MFMAType0EEvPKT_PKT0_S8_ifPKiSA_SA_iPKfiiiPfSD_PS3_PT2_iSC_SC_.kd
    .uniform_work_group_size: 1
    .uses_dynamic_stack: false
    .vgpr_count:     140
    .vgpr_spill_count: 0
    .wavefront_size: 32
    .workgroup_processor_mode: 1
  - .args:
      - .actual_access:  read_only
        .address_space:  global
        .offset:         0
        .size:           8
        .value_kind:     global_buffer
      - .actual_access:  read_only
        .address_space:  global
        .offset:         8
        .size:           8
        .value_kind:     global_buffer
      - .actual_access:  read_only
        .address_space:  global
        .offset:         16
        .size:           8
        .value_kind:     global_buffer
      - .offset:         24
        .size:           4
        .value_kind:     by_value
      - .offset:         28
        .size:           4
        .value_kind:     by_value
      - .actual_access:  read_only
        .address_space:  global
        .offset:         32
        .size:           8
        .value_kind:     global_buffer
      - .actual_access:  read_only
        .address_space:  global
        .offset:         40
        .size:           8
        .value_kind:     global_buffer
      - .actual_access:  read_only
        .address_space:  global
        .offset:         48
        .size:           8
        .value_kind:     global_buffer
      - .offset:         56
        .size:           4
        .value_kind:     by_value
      - .actual_access:  read_only
        .address_space:  global
        .offset:         64
        .size:           8
        .value_kind:     global_buffer
      - .offset:         72
        .size:           4
        .value_kind:     by_value
      - .offset:         76
        .size:           4
        .value_kind:     by_value
      - .offset:         80
        .size:           4
        .value_kind:     by_value
      - .actual_access:  write_only
        .address_space:  global
        .offset:         88
        .size:           8
        .value_kind:     global_buffer
      - .actual_access:  write_only
        .address_space:  global
        .offset:         96
        .size:           8
        .value_kind:     global_buffer
      - .actual_access:  write_only
        .address_space:  global
        .offset:         104
        .size:           8
        .value_kind:     global_buffer
      - .actual_access:  read_only
        .address_space:  global
        .offset:         112
        .size:           8
        .value_kind:     global_buffer
      - .offset:         120
        .size:           4
        .value_kind:     by_value
      - .address_space:  global
        .offset:         128
        .size:           8
        .value_kind:     global_buffer
      - .address_space:  global
        .offset:         136
        .size:           8
        .value_kind:     global_buffer
      - .offset:         144
        .size:           4
        .value_kind:     hidden_block_count_x
      - .offset:         148
        .size:           4
        .value_kind:     hidden_block_count_y
      - .offset:         152
        .size:           4
        .value_kind:     hidden_block_count_z
      - .offset:         156
        .size:           2
        .value_kind:     hidden_group_size_x
      - .offset:         158
        .size:           2
        .value_kind:     hidden_group_size_y
      - .offset:         160
        .size:           2
        .value_kind:     hidden_group_size_z
      - .offset:         162
        .size:           2
        .value_kind:     hidden_remainder_x
      - .offset:         164
        .size:           2
        .value_kind:     hidden_remainder_y
      - .offset:         166
        .size:           2
        .value_kind:     hidden_remainder_z
      - .offset:         184
        .size:           8
        .value_kind:     hidden_global_offset_x
      - .offset:         192
        .size:           8
        .value_kind:     hidden_global_offset_y
      - .offset:         200
        .size:           8
        .value_kind:     hidden_global_offset_z
      - .offset:         208
        .size:           2
        .value_kind:     hidden_grid_dims
    .group_segment_fixed_size: 17472
    .kernarg_segment_align: 8
    .kernarg_segment_size: 400
    .language:       OpenCL C
    .language_version:
      - 2
      - 0
    .max_flat_workgroup_size: 256
    .name:           _Z39paged_attention_ll4mi_QKV_mfma16_kernelIDF16_hLN4vllm18Fp8KVCacheDataTypeE1EhLi32ELi128ELi256ELb0ELi5EL8MFMAType0EEvPKT_PKT0_S8_ifPKiSA_SA_iPKfiiiPfSD_PS3_PT2_iSC_SC_
    .private_segment_fixed_size: 0
    .sgpr_count:     39
    .sgpr_spill_count: 0
    .symbol:         _Z39paged_attention_ll4mi_QKV_mfma16_kernelIDF16_hLN4vllm18Fp8KVCacheDataTypeE1EhLi32ELi128ELi256ELb0ELi5EL8MFMAType0EEvPKT_PKT0_S8_ifPKiSA_SA_iPKfiiiPfSD_PS3_PT2_iSC_SC_.kd
    .uniform_work_group_size: 1
    .uses_dynamic_stack: false
    .vgpr_count:     150
    .vgpr_spill_count: 0
    .wavefront_size: 32
    .workgroup_processor_mode: 1
  - .args:
      - .actual_access:  read_only
        .address_space:  global
        .offset:         0
        .size:           8
        .value_kind:     global_buffer
      - .actual_access:  read_only
        .address_space:  global
        .offset:         8
        .size:           8
        .value_kind:     global_buffer
      - .actual_access:  read_only
        .address_space:  global
        .offset:         16
        .size:           8
        .value_kind:     global_buffer
      - .offset:         24
        .size:           4
        .value_kind:     by_value
      - .offset:         28
        .size:           4
        .value_kind:     by_value
      - .actual_access:  read_only
        .address_space:  global
        .offset:         32
        .size:           8
        .value_kind:     global_buffer
      - .actual_access:  read_only
        .address_space:  global
        .offset:         40
        .size:           8
        .value_kind:     global_buffer
      - .actual_access:  read_only
        .address_space:  global
        .offset:         48
        .size:           8
        .value_kind:     global_buffer
      - .offset:         56
        .size:           4
        .value_kind:     by_value
      - .actual_access:  read_only
        .address_space:  global
        .offset:         64
        .size:           8
        .value_kind:     global_buffer
      - .offset:         72
        .size:           4
        .value_kind:     by_value
      - .offset:         76
        .size:           4
        .value_kind:     by_value
      - .offset:         80
        .size:           4
        .value_kind:     by_value
      - .actual_access:  write_only
        .address_space:  global
        .offset:         88
        .size:           8
        .value_kind:     global_buffer
      - .actual_access:  write_only
        .address_space:  global
        .offset:         96
        .size:           8
        .value_kind:     global_buffer
      - .actual_access:  write_only
        .address_space:  global
        .offset:         104
        .size:           8
        .value_kind:     global_buffer
      - .actual_access:  read_only
        .address_space:  global
        .offset:         112
        .size:           8
        .value_kind:     global_buffer
      - .offset:         120
        .size:           4
        .value_kind:     by_value
      - .address_space:  global
        .offset:         128
        .size:           8
        .value_kind:     global_buffer
      - .address_space:  global
        .offset:         136
        .size:           8
        .value_kind:     global_buffer
      - .offset:         144
        .size:           4
        .value_kind:     hidden_block_count_x
      - .offset:         148
        .size:           4
        .value_kind:     hidden_block_count_y
      - .offset:         152
        .size:           4
        .value_kind:     hidden_block_count_z
      - .offset:         156
        .size:           2
        .value_kind:     hidden_group_size_x
      - .offset:         158
        .size:           2
        .value_kind:     hidden_group_size_y
      - .offset:         160
        .size:           2
        .value_kind:     hidden_group_size_z
      - .offset:         162
        .size:           2
        .value_kind:     hidden_remainder_x
      - .offset:         164
        .size:           2
        .value_kind:     hidden_remainder_y
      - .offset:         166
        .size:           2
        .value_kind:     hidden_remainder_z
      - .offset:         184
        .size:           8
        .value_kind:     hidden_global_offset_x
      - .offset:         192
        .size:           8
        .value_kind:     hidden_global_offset_y
      - .offset:         200
        .size:           8
        .value_kind:     hidden_global_offset_z
      - .offset:         208
        .size:           2
        .value_kind:     hidden_grid_dims
    .group_segment_fixed_size: 17472
    .kernarg_segment_align: 8
    .kernarg_segment_size: 400
    .language:       OpenCL C
    .language_version:
      - 2
      - 0
    .max_flat_workgroup_size: 256
    .name:           _Z39paged_attention_ll4mi_QKV_mfma16_kernelIDF16_hLN4vllm18Fp8KVCacheDataTypeE1EhLi32ELi128ELi256ELb0ELi6EL8MFMAType0EEvPKT_PKT0_S8_ifPKiSA_SA_iPKfiiiPfSD_PS3_PT2_iSC_SC_
    .private_segment_fixed_size: 0
    .sgpr_count:     39
    .sgpr_spill_count: 0
    .symbol:         _Z39paged_attention_ll4mi_QKV_mfma16_kernelIDF16_hLN4vllm18Fp8KVCacheDataTypeE1EhLi32ELi128ELi256ELb0ELi6EL8MFMAType0EEvPKT_PKT0_S8_ifPKiSA_SA_iPKfiiiPfSD_PS3_PT2_iSC_SC_.kd
    .uniform_work_group_size: 1
    .uses_dynamic_stack: false
    .vgpr_count:     150
    .vgpr_spill_count: 0
    .wavefront_size: 32
    .workgroup_processor_mode: 1
  - .args:
      - .actual_access:  read_only
        .address_space:  global
        .offset:         0
        .size:           8
        .value_kind:     global_buffer
      - .actual_access:  read_only
        .address_space:  global
        .offset:         8
        .size:           8
        .value_kind:     global_buffer
      - .actual_access:  read_only
        .address_space:  global
        .offset:         16
        .size:           8
        .value_kind:     global_buffer
      - .offset:         24
        .size:           4
        .value_kind:     by_value
      - .offset:         28
        .size:           4
        .value_kind:     by_value
      - .actual_access:  read_only
        .address_space:  global
        .offset:         32
        .size:           8
        .value_kind:     global_buffer
      - .actual_access:  read_only
        .address_space:  global
        .offset:         40
        .size:           8
        .value_kind:     global_buffer
      - .actual_access:  read_only
        .address_space:  global
        .offset:         48
        .size:           8
        .value_kind:     global_buffer
      - .offset:         56
        .size:           4
        .value_kind:     by_value
      - .actual_access:  read_only
        .address_space:  global
        .offset:         64
        .size:           8
        .value_kind:     global_buffer
      - .offset:         72
        .size:           4
        .value_kind:     by_value
      - .offset:         76
        .size:           4
        .value_kind:     by_value
      - .offset:         80
        .size:           4
        .value_kind:     by_value
      - .actual_access:  write_only
        .address_space:  global
        .offset:         88
        .size:           8
        .value_kind:     global_buffer
      - .actual_access:  write_only
        .address_space:  global
        .offset:         96
        .size:           8
        .value_kind:     global_buffer
      - .actual_access:  write_only
        .address_space:  global
        .offset:         104
        .size:           8
        .value_kind:     global_buffer
      - .actual_access:  read_only
        .address_space:  global
        .offset:         112
        .size:           8
        .value_kind:     global_buffer
      - .offset:         120
        .size:           4
        .value_kind:     by_value
      - .address_space:  global
        .offset:         128
        .size:           8
        .value_kind:     global_buffer
      - .address_space:  global
        .offset:         136
        .size:           8
        .value_kind:     global_buffer
      - .offset:         144
        .size:           4
        .value_kind:     hidden_block_count_x
      - .offset:         148
        .size:           4
        .value_kind:     hidden_block_count_y
      - .offset:         152
        .size:           4
        .value_kind:     hidden_block_count_z
      - .offset:         156
        .size:           2
        .value_kind:     hidden_group_size_x
      - .offset:         158
        .size:           2
        .value_kind:     hidden_group_size_y
      - .offset:         160
        .size:           2
        .value_kind:     hidden_group_size_z
      - .offset:         162
        .size:           2
        .value_kind:     hidden_remainder_x
      - .offset:         164
        .size:           2
        .value_kind:     hidden_remainder_y
      - .offset:         166
        .size:           2
        .value_kind:     hidden_remainder_z
      - .offset:         184
        .size:           8
        .value_kind:     hidden_global_offset_x
      - .offset:         192
        .size:           8
        .value_kind:     hidden_global_offset_y
      - .offset:         200
        .size:           8
        .value_kind:     hidden_global_offset_z
      - .offset:         208
        .size:           2
        .value_kind:     hidden_grid_dims
    .group_segment_fixed_size: 17472
    .kernarg_segment_align: 8
    .kernarg_segment_size: 400
    .language:       OpenCL C
    .language_version:
      - 2
      - 0
    .max_flat_workgroup_size: 256
    .name:           _Z39paged_attention_ll4mi_QKV_mfma16_kernelIDF16_hLN4vllm18Fp8KVCacheDataTypeE1EhLi32ELi128ELi256ELb0ELi7EL8MFMAType0EEvPKT_PKT0_S8_ifPKiSA_SA_iPKfiiiPfSD_PS3_PT2_iSC_SC_
    .private_segment_fixed_size: 0
    .sgpr_count:     39
    .sgpr_spill_count: 0
    .symbol:         _Z39paged_attention_ll4mi_QKV_mfma16_kernelIDF16_hLN4vllm18Fp8KVCacheDataTypeE1EhLi32ELi128ELi256ELb0ELi7EL8MFMAType0EEvPKT_PKT0_S8_ifPKiSA_SA_iPKfiiiPfSD_PS3_PT2_iSC_SC_.kd
    .uniform_work_group_size: 1
    .uses_dynamic_stack: false
    .vgpr_count:     150
    .vgpr_spill_count: 0
    .wavefront_size: 32
    .workgroup_processor_mode: 1
  - .args:
      - .actual_access:  read_only
        .address_space:  global
        .offset:         0
        .size:           8
        .value_kind:     global_buffer
      - .actual_access:  read_only
        .address_space:  global
        .offset:         8
        .size:           8
        .value_kind:     global_buffer
      - .actual_access:  read_only
        .address_space:  global
        .offset:         16
        .size:           8
        .value_kind:     global_buffer
      - .offset:         24
        .size:           4
        .value_kind:     by_value
      - .offset:         28
        .size:           4
        .value_kind:     by_value
      - .actual_access:  read_only
        .address_space:  global
        .offset:         32
        .size:           8
        .value_kind:     global_buffer
      - .actual_access:  read_only
        .address_space:  global
        .offset:         40
        .size:           8
        .value_kind:     global_buffer
      - .actual_access:  read_only
        .address_space:  global
        .offset:         48
        .size:           8
        .value_kind:     global_buffer
      - .offset:         56
        .size:           4
        .value_kind:     by_value
      - .actual_access:  read_only
        .address_space:  global
        .offset:         64
        .size:           8
        .value_kind:     global_buffer
      - .offset:         72
        .size:           4
        .value_kind:     by_value
      - .offset:         76
        .size:           4
        .value_kind:     by_value
      - .offset:         80
        .size:           4
        .value_kind:     by_value
      - .actual_access:  write_only
        .address_space:  global
        .offset:         88
        .size:           8
        .value_kind:     global_buffer
      - .actual_access:  write_only
        .address_space:  global
        .offset:         96
        .size:           8
        .value_kind:     global_buffer
      - .actual_access:  write_only
        .address_space:  global
        .offset:         104
        .size:           8
        .value_kind:     global_buffer
      - .actual_access:  read_only
        .address_space:  global
        .offset:         112
        .size:           8
        .value_kind:     global_buffer
      - .offset:         120
        .size:           4
        .value_kind:     by_value
      - .address_space:  global
        .offset:         128
        .size:           8
        .value_kind:     global_buffer
      - .address_space:  global
        .offset:         136
        .size:           8
        .value_kind:     global_buffer
      - .offset:         144
        .size:           4
        .value_kind:     hidden_block_count_x
      - .offset:         148
        .size:           4
        .value_kind:     hidden_block_count_y
      - .offset:         152
        .size:           4
        .value_kind:     hidden_block_count_z
      - .offset:         156
        .size:           2
        .value_kind:     hidden_group_size_x
      - .offset:         158
        .size:           2
        .value_kind:     hidden_group_size_y
      - .offset:         160
        .size:           2
        .value_kind:     hidden_group_size_z
      - .offset:         162
        .size:           2
        .value_kind:     hidden_remainder_x
      - .offset:         164
        .size:           2
        .value_kind:     hidden_remainder_y
      - .offset:         166
        .size:           2
        .value_kind:     hidden_remainder_z
      - .offset:         184
        .size:           8
        .value_kind:     hidden_global_offset_x
      - .offset:         192
        .size:           8
        .value_kind:     hidden_global_offset_y
      - .offset:         200
        .size:           8
        .value_kind:     hidden_global_offset_z
      - .offset:         208
        .size:           2
        .value_kind:     hidden_grid_dims
    .group_segment_fixed_size: 17472
    .kernarg_segment_align: 8
    .kernarg_segment_size: 400
    .language:       OpenCL C
    .language_version:
      - 2
      - 0
    .max_flat_workgroup_size: 256
    .name:           _Z39paged_attention_ll4mi_QKV_mfma16_kernelIDF16_hLN4vllm18Fp8KVCacheDataTypeE1EhLi32ELi128ELi256ELb0ELi8EL8MFMAType0EEvPKT_PKT0_S8_ifPKiSA_SA_iPKfiiiPfSD_PS3_PT2_iSC_SC_
    .private_segment_fixed_size: 0
    .sgpr_count:     38
    .sgpr_spill_count: 0
    .symbol:         _Z39paged_attention_ll4mi_QKV_mfma16_kernelIDF16_hLN4vllm18Fp8KVCacheDataTypeE1EhLi32ELi128ELi256ELb0ELi8EL8MFMAType0EEvPKT_PKT0_S8_ifPKiSA_SA_iPKfiiiPfSD_PS3_PT2_iSC_SC_.kd
    .uniform_work_group_size: 1
    .uses_dynamic_stack: false
    .vgpr_count:     140
    .vgpr_spill_count: 0
    .wavefront_size: 32
    .workgroup_processor_mode: 1
  - .args:
      - .actual_access:  read_only
        .address_space:  global
        .offset:         0
        .size:           8
        .value_kind:     global_buffer
      - .actual_access:  read_only
        .address_space:  global
        .offset:         8
        .size:           8
        .value_kind:     global_buffer
      - .actual_access:  read_only
        .address_space:  global
        .offset:         16
        .size:           8
        .value_kind:     global_buffer
      - .offset:         24
        .size:           4
        .value_kind:     by_value
      - .offset:         28
        .size:           4
        .value_kind:     by_value
      - .actual_access:  read_only
        .address_space:  global
        .offset:         32
        .size:           8
        .value_kind:     global_buffer
      - .actual_access:  read_only
        .address_space:  global
        .offset:         40
        .size:           8
        .value_kind:     global_buffer
      - .actual_access:  read_only
        .address_space:  global
        .offset:         48
        .size:           8
        .value_kind:     global_buffer
      - .offset:         56
        .size:           4
        .value_kind:     by_value
      - .actual_access:  read_only
        .address_space:  global
        .offset:         64
        .size:           8
        .value_kind:     global_buffer
      - .offset:         72
        .size:           4
        .value_kind:     by_value
      - .offset:         76
        .size:           4
        .value_kind:     by_value
      - .offset:         80
        .size:           4
        .value_kind:     by_value
      - .actual_access:  write_only
        .address_space:  global
        .offset:         88
        .size:           8
        .value_kind:     global_buffer
      - .actual_access:  write_only
        .address_space:  global
        .offset:         96
        .size:           8
        .value_kind:     global_buffer
      - .actual_access:  write_only
        .address_space:  global
        .offset:         104
        .size:           8
        .value_kind:     global_buffer
      - .actual_access:  read_only
        .address_space:  global
        .offset:         112
        .size:           8
        .value_kind:     global_buffer
      - .offset:         120
        .size:           4
        .value_kind:     by_value
      - .address_space:  global
        .offset:         128
        .size:           8
        .value_kind:     global_buffer
      - .address_space:  global
        .offset:         136
        .size:           8
        .value_kind:     global_buffer
      - .offset:         144
        .size:           4
        .value_kind:     hidden_block_count_x
      - .offset:         148
        .size:           4
        .value_kind:     hidden_block_count_y
      - .offset:         152
        .size:           4
        .value_kind:     hidden_block_count_z
      - .offset:         156
        .size:           2
        .value_kind:     hidden_group_size_x
      - .offset:         158
        .size:           2
        .value_kind:     hidden_group_size_y
      - .offset:         160
        .size:           2
        .value_kind:     hidden_group_size_z
      - .offset:         162
        .size:           2
        .value_kind:     hidden_remainder_x
      - .offset:         164
        .size:           2
        .value_kind:     hidden_remainder_y
      - .offset:         166
        .size:           2
        .value_kind:     hidden_remainder_z
      - .offset:         184
        .size:           8
        .value_kind:     hidden_global_offset_x
      - .offset:         192
        .size:           8
        .value_kind:     hidden_global_offset_y
      - .offset:         200
        .size:           8
        .value_kind:     hidden_global_offset_z
      - .offset:         208
        .size:           2
        .value_kind:     hidden_grid_dims
    .group_segment_fixed_size: 17472
    .kernarg_segment_align: 8
    .kernarg_segment_size: 400
    .language:       OpenCL C
    .language_version:
      - 2
      - 0
    .max_flat_workgroup_size: 256
    .name:           _Z39paged_attention_ll4mi_QKV_mfma16_kernelIDF16_hLN4vllm18Fp8KVCacheDataTypeE1EhLi32ELi128ELi256ELb0ELi9EL8MFMAType0EEvPKT_PKT0_S8_ifPKiSA_SA_iPKfiiiPfSD_PS3_PT2_iSC_SC_
    .private_segment_fixed_size: 0
    .sgpr_count:     39
    .sgpr_spill_count: 0
    .symbol:         _Z39paged_attention_ll4mi_QKV_mfma16_kernelIDF16_hLN4vllm18Fp8KVCacheDataTypeE1EhLi32ELi128ELi256ELb0ELi9EL8MFMAType0EEvPKT_PKT0_S8_ifPKiSA_SA_iPKfiiiPfSD_PS3_PT2_iSC_SC_.kd
    .uniform_work_group_size: 1
    .uses_dynamic_stack: false
    .vgpr_count:     150
    .vgpr_spill_count: 0
    .wavefront_size: 32
    .workgroup_processor_mode: 1
  - .args:
      - .actual_access:  read_only
        .address_space:  global
        .offset:         0
        .size:           8
        .value_kind:     global_buffer
      - .actual_access:  read_only
        .address_space:  global
        .offset:         8
        .size:           8
        .value_kind:     global_buffer
      - .actual_access:  read_only
        .address_space:  global
        .offset:         16
        .size:           8
        .value_kind:     global_buffer
      - .offset:         24
        .size:           4
        .value_kind:     by_value
      - .offset:         28
        .size:           4
        .value_kind:     by_value
      - .actual_access:  read_only
        .address_space:  global
        .offset:         32
        .size:           8
        .value_kind:     global_buffer
      - .actual_access:  read_only
        .address_space:  global
        .offset:         40
        .size:           8
        .value_kind:     global_buffer
      - .actual_access:  read_only
        .address_space:  global
        .offset:         48
        .size:           8
        .value_kind:     global_buffer
      - .offset:         56
        .size:           4
        .value_kind:     by_value
      - .actual_access:  read_only
        .address_space:  global
        .offset:         64
        .size:           8
        .value_kind:     global_buffer
      - .offset:         72
        .size:           4
        .value_kind:     by_value
      - .offset:         76
        .size:           4
        .value_kind:     by_value
      - .offset:         80
        .size:           4
        .value_kind:     by_value
      - .actual_access:  write_only
        .address_space:  global
        .offset:         88
        .size:           8
        .value_kind:     global_buffer
      - .actual_access:  write_only
        .address_space:  global
        .offset:         96
        .size:           8
        .value_kind:     global_buffer
      - .actual_access:  write_only
        .address_space:  global
        .offset:         104
        .size:           8
        .value_kind:     global_buffer
      - .actual_access:  read_only
        .address_space:  global
        .offset:         112
        .size:           8
        .value_kind:     global_buffer
      - .offset:         120
        .size:           4
        .value_kind:     by_value
      - .address_space:  global
        .offset:         128
        .size:           8
        .value_kind:     global_buffer
      - .address_space:  global
        .offset:         136
        .size:           8
        .value_kind:     global_buffer
      - .offset:         144
        .size:           4
        .value_kind:     hidden_block_count_x
      - .offset:         148
        .size:           4
        .value_kind:     hidden_block_count_y
      - .offset:         152
        .size:           4
        .value_kind:     hidden_block_count_z
      - .offset:         156
        .size:           2
        .value_kind:     hidden_group_size_x
      - .offset:         158
        .size:           2
        .value_kind:     hidden_group_size_y
      - .offset:         160
        .size:           2
        .value_kind:     hidden_group_size_z
      - .offset:         162
        .size:           2
        .value_kind:     hidden_remainder_x
      - .offset:         164
        .size:           2
        .value_kind:     hidden_remainder_y
      - .offset:         166
        .size:           2
        .value_kind:     hidden_remainder_z
      - .offset:         184
        .size:           8
        .value_kind:     hidden_global_offset_x
      - .offset:         192
        .size:           8
        .value_kind:     hidden_global_offset_y
      - .offset:         200
        .size:           8
        .value_kind:     hidden_global_offset_z
      - .offset:         208
        .size:           2
        .value_kind:     hidden_grid_dims
    .group_segment_fixed_size: 17472
    .kernarg_segment_align: 8
    .kernarg_segment_size: 400
    .language:       OpenCL C
    .language_version:
      - 2
      - 0
    .max_flat_workgroup_size: 256
    .name:           _Z39paged_attention_ll4mi_QKV_mfma16_kernelIDF16_hLN4vllm18Fp8KVCacheDataTypeE1EhLi32ELi128ELi256ELb0ELi10EL8MFMAType0EEvPKT_PKT0_S8_ifPKiSA_SA_iPKfiiiPfSD_PS3_PT2_iSC_SC_
    .private_segment_fixed_size: 0
    .sgpr_count:     39
    .sgpr_spill_count: 0
    .symbol:         _Z39paged_attention_ll4mi_QKV_mfma16_kernelIDF16_hLN4vllm18Fp8KVCacheDataTypeE1EhLi32ELi128ELi256ELb0ELi10EL8MFMAType0EEvPKT_PKT0_S8_ifPKiSA_SA_iPKfiiiPfSD_PS3_PT2_iSC_SC_.kd
    .uniform_work_group_size: 1
    .uses_dynamic_stack: false
    .vgpr_count:     150
    .vgpr_spill_count: 0
    .wavefront_size: 32
    .workgroup_processor_mode: 1
  - .args:
      - .actual_access:  read_only
        .address_space:  global
        .offset:         0
        .size:           8
        .value_kind:     global_buffer
      - .actual_access:  read_only
        .address_space:  global
        .offset:         8
        .size:           8
        .value_kind:     global_buffer
      - .actual_access:  read_only
        .address_space:  global
        .offset:         16
        .size:           8
        .value_kind:     global_buffer
      - .offset:         24
        .size:           4
        .value_kind:     by_value
      - .offset:         28
        .size:           4
        .value_kind:     by_value
      - .actual_access:  read_only
        .address_space:  global
        .offset:         32
        .size:           8
        .value_kind:     global_buffer
      - .actual_access:  read_only
        .address_space:  global
        .offset:         40
        .size:           8
        .value_kind:     global_buffer
      - .actual_access:  read_only
        .address_space:  global
        .offset:         48
        .size:           8
        .value_kind:     global_buffer
      - .offset:         56
        .size:           4
        .value_kind:     by_value
      - .actual_access:  read_only
        .address_space:  global
        .offset:         64
        .size:           8
        .value_kind:     global_buffer
      - .offset:         72
        .size:           4
        .value_kind:     by_value
      - .offset:         76
        .size:           4
        .value_kind:     by_value
      - .offset:         80
        .size:           4
        .value_kind:     by_value
      - .actual_access:  write_only
        .address_space:  global
        .offset:         88
        .size:           8
        .value_kind:     global_buffer
      - .actual_access:  write_only
        .address_space:  global
        .offset:         96
        .size:           8
        .value_kind:     global_buffer
      - .actual_access:  write_only
        .address_space:  global
        .offset:         104
        .size:           8
        .value_kind:     global_buffer
      - .actual_access:  read_only
        .address_space:  global
        .offset:         112
        .size:           8
        .value_kind:     global_buffer
      - .offset:         120
        .size:           4
        .value_kind:     by_value
      - .address_space:  global
        .offset:         128
        .size:           8
        .value_kind:     global_buffer
      - .address_space:  global
        .offset:         136
        .size:           8
        .value_kind:     global_buffer
      - .offset:         144
        .size:           4
        .value_kind:     hidden_block_count_x
      - .offset:         148
        .size:           4
        .value_kind:     hidden_block_count_y
      - .offset:         152
        .size:           4
        .value_kind:     hidden_block_count_z
      - .offset:         156
        .size:           2
        .value_kind:     hidden_group_size_x
      - .offset:         158
        .size:           2
        .value_kind:     hidden_group_size_y
      - .offset:         160
        .size:           2
        .value_kind:     hidden_group_size_z
      - .offset:         162
        .size:           2
        .value_kind:     hidden_remainder_x
      - .offset:         164
        .size:           2
        .value_kind:     hidden_remainder_y
      - .offset:         166
        .size:           2
        .value_kind:     hidden_remainder_z
      - .offset:         184
        .size:           8
        .value_kind:     hidden_global_offset_x
      - .offset:         192
        .size:           8
        .value_kind:     hidden_global_offset_y
      - .offset:         200
        .size:           8
        .value_kind:     hidden_global_offset_z
      - .offset:         208
        .size:           2
        .value_kind:     hidden_grid_dims
    .group_segment_fixed_size: 17472
    .kernarg_segment_align: 8
    .kernarg_segment_size: 400
    .language:       OpenCL C
    .language_version:
      - 2
      - 0
    .max_flat_workgroup_size: 256
    .name:           _Z39paged_attention_ll4mi_QKV_mfma16_kernelIDF16_hLN4vllm18Fp8KVCacheDataTypeE1EhLi32ELi128ELi256ELb0ELi11EL8MFMAType0EEvPKT_PKT0_S8_ifPKiSA_SA_iPKfiiiPfSD_PS3_PT2_iSC_SC_
    .private_segment_fixed_size: 0
    .sgpr_count:     39
    .sgpr_spill_count: 0
    .symbol:         _Z39paged_attention_ll4mi_QKV_mfma16_kernelIDF16_hLN4vllm18Fp8KVCacheDataTypeE1EhLi32ELi128ELi256ELb0ELi11EL8MFMAType0EEvPKT_PKT0_S8_ifPKiSA_SA_iPKfiiiPfSD_PS3_PT2_iSC_SC_.kd
    .uniform_work_group_size: 1
    .uses_dynamic_stack: false
    .vgpr_count:     150
    .vgpr_spill_count: 0
    .wavefront_size: 32
    .workgroup_processor_mode: 1
  - .args:
      - .actual_access:  read_only
        .address_space:  global
        .offset:         0
        .size:           8
        .value_kind:     global_buffer
      - .actual_access:  read_only
        .address_space:  global
        .offset:         8
        .size:           8
        .value_kind:     global_buffer
      - .actual_access:  read_only
        .address_space:  global
        .offset:         16
        .size:           8
        .value_kind:     global_buffer
      - .offset:         24
        .size:           4
        .value_kind:     by_value
      - .offset:         28
        .size:           4
        .value_kind:     by_value
      - .actual_access:  read_only
        .address_space:  global
        .offset:         32
        .size:           8
        .value_kind:     global_buffer
      - .actual_access:  read_only
        .address_space:  global
        .offset:         40
        .size:           8
        .value_kind:     global_buffer
      - .actual_access:  read_only
        .address_space:  global
        .offset:         48
        .size:           8
        .value_kind:     global_buffer
      - .offset:         56
        .size:           4
        .value_kind:     by_value
      - .actual_access:  read_only
        .address_space:  global
        .offset:         64
        .size:           8
        .value_kind:     global_buffer
      - .offset:         72
        .size:           4
        .value_kind:     by_value
      - .offset:         76
        .size:           4
        .value_kind:     by_value
      - .offset:         80
        .size:           4
        .value_kind:     by_value
      - .actual_access:  write_only
        .address_space:  global
        .offset:         88
        .size:           8
        .value_kind:     global_buffer
      - .actual_access:  write_only
        .address_space:  global
        .offset:         96
        .size:           8
        .value_kind:     global_buffer
      - .actual_access:  write_only
        .address_space:  global
        .offset:         104
        .size:           8
        .value_kind:     global_buffer
      - .actual_access:  read_only
        .address_space:  global
        .offset:         112
        .size:           8
        .value_kind:     global_buffer
      - .offset:         120
        .size:           4
        .value_kind:     by_value
      - .address_space:  global
        .offset:         128
        .size:           8
        .value_kind:     global_buffer
      - .address_space:  global
        .offset:         136
        .size:           8
        .value_kind:     global_buffer
      - .offset:         144
        .size:           4
        .value_kind:     hidden_block_count_x
      - .offset:         148
        .size:           4
        .value_kind:     hidden_block_count_y
      - .offset:         152
        .size:           4
        .value_kind:     hidden_block_count_z
      - .offset:         156
        .size:           2
        .value_kind:     hidden_group_size_x
      - .offset:         158
        .size:           2
        .value_kind:     hidden_group_size_y
      - .offset:         160
        .size:           2
        .value_kind:     hidden_group_size_z
      - .offset:         162
        .size:           2
        .value_kind:     hidden_remainder_x
      - .offset:         164
        .size:           2
        .value_kind:     hidden_remainder_y
      - .offset:         166
        .size:           2
        .value_kind:     hidden_remainder_z
      - .offset:         184
        .size:           8
        .value_kind:     hidden_global_offset_x
      - .offset:         192
        .size:           8
        .value_kind:     hidden_global_offset_y
      - .offset:         200
        .size:           8
        .value_kind:     hidden_global_offset_z
      - .offset:         208
        .size:           2
        .value_kind:     hidden_grid_dims
    .group_segment_fixed_size: 17472
    .kernarg_segment_align: 8
    .kernarg_segment_size: 400
    .language:       OpenCL C
    .language_version:
      - 2
      - 0
    .max_flat_workgroup_size: 256
    .name:           _Z39paged_attention_ll4mi_QKV_mfma16_kernelIDF16_hLN4vllm18Fp8KVCacheDataTypeE1EhLi32ELi128ELi256ELb0ELi12EL8MFMAType0EEvPKT_PKT0_S8_ifPKiSA_SA_iPKfiiiPfSD_PS3_PT2_iSC_SC_
    .private_segment_fixed_size: 0
    .sgpr_count:     39
    .sgpr_spill_count: 0
    .symbol:         _Z39paged_attention_ll4mi_QKV_mfma16_kernelIDF16_hLN4vllm18Fp8KVCacheDataTypeE1EhLi32ELi128ELi256ELb0ELi12EL8MFMAType0EEvPKT_PKT0_S8_ifPKiSA_SA_iPKfiiiPfSD_PS3_PT2_iSC_SC_.kd
    .uniform_work_group_size: 1
    .uses_dynamic_stack: false
    .vgpr_count:     150
    .vgpr_spill_count: 0
    .wavefront_size: 32
    .workgroup_processor_mode: 1
  - .args:
      - .actual_access:  read_only
        .address_space:  global
        .offset:         0
        .size:           8
        .value_kind:     global_buffer
      - .actual_access:  read_only
        .address_space:  global
        .offset:         8
        .size:           8
        .value_kind:     global_buffer
      - .actual_access:  read_only
        .address_space:  global
        .offset:         16
        .size:           8
        .value_kind:     global_buffer
      - .offset:         24
        .size:           4
        .value_kind:     by_value
      - .offset:         28
        .size:           4
        .value_kind:     by_value
      - .actual_access:  read_only
        .address_space:  global
        .offset:         32
        .size:           8
        .value_kind:     global_buffer
      - .actual_access:  read_only
        .address_space:  global
        .offset:         40
        .size:           8
        .value_kind:     global_buffer
      - .actual_access:  read_only
        .address_space:  global
        .offset:         48
        .size:           8
        .value_kind:     global_buffer
      - .offset:         56
        .size:           4
        .value_kind:     by_value
      - .actual_access:  read_only
        .address_space:  global
        .offset:         64
        .size:           8
        .value_kind:     global_buffer
      - .offset:         72
        .size:           4
        .value_kind:     by_value
      - .offset:         76
        .size:           4
        .value_kind:     by_value
      - .offset:         80
        .size:           4
        .value_kind:     by_value
      - .actual_access:  write_only
        .address_space:  global
        .offset:         88
        .size:           8
        .value_kind:     global_buffer
      - .actual_access:  write_only
        .address_space:  global
        .offset:         96
        .size:           8
        .value_kind:     global_buffer
      - .actual_access:  write_only
        .address_space:  global
        .offset:         104
        .size:           8
        .value_kind:     global_buffer
      - .actual_access:  read_only
        .address_space:  global
        .offset:         112
        .size:           8
        .value_kind:     global_buffer
      - .offset:         120
        .size:           4
        .value_kind:     by_value
      - .address_space:  global
        .offset:         128
        .size:           8
        .value_kind:     global_buffer
      - .address_space:  global
        .offset:         136
        .size:           8
        .value_kind:     global_buffer
      - .offset:         144
        .size:           4
        .value_kind:     hidden_block_count_x
      - .offset:         148
        .size:           4
        .value_kind:     hidden_block_count_y
      - .offset:         152
        .size:           4
        .value_kind:     hidden_block_count_z
      - .offset:         156
        .size:           2
        .value_kind:     hidden_group_size_x
      - .offset:         158
        .size:           2
        .value_kind:     hidden_group_size_y
      - .offset:         160
        .size:           2
        .value_kind:     hidden_group_size_z
      - .offset:         162
        .size:           2
        .value_kind:     hidden_remainder_x
      - .offset:         164
        .size:           2
        .value_kind:     hidden_remainder_y
      - .offset:         166
        .size:           2
        .value_kind:     hidden_remainder_z
      - .offset:         184
        .size:           8
        .value_kind:     hidden_global_offset_x
      - .offset:         192
        .size:           8
        .value_kind:     hidden_global_offset_y
      - .offset:         200
        .size:           8
        .value_kind:     hidden_global_offset_z
      - .offset:         208
        .size:           2
        .value_kind:     hidden_grid_dims
    .group_segment_fixed_size: 17472
    .kernarg_segment_align: 8
    .kernarg_segment_size: 400
    .language:       OpenCL C
    .language_version:
      - 2
      - 0
    .max_flat_workgroup_size: 256
    .name:           _Z39paged_attention_ll4mi_QKV_mfma16_kernelIDF16_hLN4vllm18Fp8KVCacheDataTypeE1EhLi32ELi128ELi256ELb0ELi13EL8MFMAType0EEvPKT_PKT0_S8_ifPKiSA_SA_iPKfiiiPfSD_PS3_PT2_iSC_SC_
    .private_segment_fixed_size: 0
    .sgpr_count:     39
    .sgpr_spill_count: 0
    .symbol:         _Z39paged_attention_ll4mi_QKV_mfma16_kernelIDF16_hLN4vllm18Fp8KVCacheDataTypeE1EhLi32ELi128ELi256ELb0ELi13EL8MFMAType0EEvPKT_PKT0_S8_ifPKiSA_SA_iPKfiiiPfSD_PS3_PT2_iSC_SC_.kd
    .uniform_work_group_size: 1
    .uses_dynamic_stack: false
    .vgpr_count:     150
    .vgpr_spill_count: 0
    .wavefront_size: 32
    .workgroup_processor_mode: 1
  - .args:
      - .actual_access:  read_only
        .address_space:  global
        .offset:         0
        .size:           8
        .value_kind:     global_buffer
      - .actual_access:  read_only
        .address_space:  global
        .offset:         8
        .size:           8
        .value_kind:     global_buffer
      - .actual_access:  read_only
        .address_space:  global
        .offset:         16
        .size:           8
        .value_kind:     global_buffer
      - .offset:         24
        .size:           4
        .value_kind:     by_value
      - .offset:         28
        .size:           4
        .value_kind:     by_value
      - .actual_access:  read_only
        .address_space:  global
        .offset:         32
        .size:           8
        .value_kind:     global_buffer
      - .actual_access:  read_only
        .address_space:  global
        .offset:         40
        .size:           8
        .value_kind:     global_buffer
      - .actual_access:  read_only
        .address_space:  global
        .offset:         48
        .size:           8
        .value_kind:     global_buffer
      - .offset:         56
        .size:           4
        .value_kind:     by_value
      - .actual_access:  read_only
        .address_space:  global
        .offset:         64
        .size:           8
        .value_kind:     global_buffer
      - .offset:         72
        .size:           4
        .value_kind:     by_value
      - .offset:         76
        .size:           4
        .value_kind:     by_value
      - .offset:         80
        .size:           4
        .value_kind:     by_value
      - .actual_access:  write_only
        .address_space:  global
        .offset:         88
        .size:           8
        .value_kind:     global_buffer
      - .actual_access:  write_only
        .address_space:  global
        .offset:         96
        .size:           8
        .value_kind:     global_buffer
      - .actual_access:  write_only
        .address_space:  global
        .offset:         104
        .size:           8
        .value_kind:     global_buffer
      - .actual_access:  read_only
        .address_space:  global
        .offset:         112
        .size:           8
        .value_kind:     global_buffer
      - .offset:         120
        .size:           4
        .value_kind:     by_value
      - .address_space:  global
        .offset:         128
        .size:           8
        .value_kind:     global_buffer
      - .address_space:  global
        .offset:         136
        .size:           8
        .value_kind:     global_buffer
      - .offset:         144
        .size:           4
        .value_kind:     hidden_block_count_x
      - .offset:         148
        .size:           4
        .value_kind:     hidden_block_count_y
      - .offset:         152
        .size:           4
        .value_kind:     hidden_block_count_z
      - .offset:         156
        .size:           2
        .value_kind:     hidden_group_size_x
      - .offset:         158
        .size:           2
        .value_kind:     hidden_group_size_y
      - .offset:         160
        .size:           2
        .value_kind:     hidden_group_size_z
      - .offset:         162
        .size:           2
        .value_kind:     hidden_remainder_x
      - .offset:         164
        .size:           2
        .value_kind:     hidden_remainder_y
      - .offset:         166
        .size:           2
        .value_kind:     hidden_remainder_z
      - .offset:         184
        .size:           8
        .value_kind:     hidden_global_offset_x
      - .offset:         192
        .size:           8
        .value_kind:     hidden_global_offset_y
      - .offset:         200
        .size:           8
        .value_kind:     hidden_global_offset_z
      - .offset:         208
        .size:           2
        .value_kind:     hidden_grid_dims
    .group_segment_fixed_size: 17472
    .kernarg_segment_align: 8
    .kernarg_segment_size: 400
    .language:       OpenCL C
    .language_version:
      - 2
      - 0
    .max_flat_workgroup_size: 256
    .name:           _Z39paged_attention_ll4mi_QKV_mfma16_kernelIDF16_hLN4vllm18Fp8KVCacheDataTypeE1EhLi32ELi128ELi256ELb0ELi14EL8MFMAType0EEvPKT_PKT0_S8_ifPKiSA_SA_iPKfiiiPfSD_PS3_PT2_iSC_SC_
    .private_segment_fixed_size: 0
    .sgpr_count:     39
    .sgpr_spill_count: 0
    .symbol:         _Z39paged_attention_ll4mi_QKV_mfma16_kernelIDF16_hLN4vllm18Fp8KVCacheDataTypeE1EhLi32ELi128ELi256ELb0ELi14EL8MFMAType0EEvPKT_PKT0_S8_ifPKiSA_SA_iPKfiiiPfSD_PS3_PT2_iSC_SC_.kd
    .uniform_work_group_size: 1
    .uses_dynamic_stack: false
    .vgpr_count:     150
    .vgpr_spill_count: 0
    .wavefront_size: 32
    .workgroup_processor_mode: 1
  - .args:
      - .actual_access:  read_only
        .address_space:  global
        .offset:         0
        .size:           8
        .value_kind:     global_buffer
      - .actual_access:  read_only
        .address_space:  global
        .offset:         8
        .size:           8
        .value_kind:     global_buffer
      - .actual_access:  read_only
        .address_space:  global
        .offset:         16
        .size:           8
        .value_kind:     global_buffer
      - .offset:         24
        .size:           4
        .value_kind:     by_value
      - .offset:         28
        .size:           4
        .value_kind:     by_value
      - .actual_access:  read_only
        .address_space:  global
        .offset:         32
        .size:           8
        .value_kind:     global_buffer
      - .actual_access:  read_only
        .address_space:  global
        .offset:         40
        .size:           8
        .value_kind:     global_buffer
      - .actual_access:  read_only
        .address_space:  global
        .offset:         48
        .size:           8
        .value_kind:     global_buffer
      - .offset:         56
        .size:           4
        .value_kind:     by_value
      - .actual_access:  read_only
        .address_space:  global
        .offset:         64
        .size:           8
        .value_kind:     global_buffer
      - .offset:         72
        .size:           4
        .value_kind:     by_value
      - .offset:         76
        .size:           4
        .value_kind:     by_value
      - .offset:         80
        .size:           4
        .value_kind:     by_value
      - .actual_access:  write_only
        .address_space:  global
        .offset:         88
        .size:           8
        .value_kind:     global_buffer
      - .actual_access:  write_only
        .address_space:  global
        .offset:         96
        .size:           8
        .value_kind:     global_buffer
      - .actual_access:  write_only
        .address_space:  global
        .offset:         104
        .size:           8
        .value_kind:     global_buffer
      - .actual_access:  read_only
        .address_space:  global
        .offset:         112
        .size:           8
        .value_kind:     global_buffer
      - .offset:         120
        .size:           4
        .value_kind:     by_value
      - .address_space:  global
        .offset:         128
        .size:           8
        .value_kind:     global_buffer
      - .address_space:  global
        .offset:         136
        .size:           8
        .value_kind:     global_buffer
      - .offset:         144
        .size:           4
        .value_kind:     hidden_block_count_x
      - .offset:         148
        .size:           4
        .value_kind:     hidden_block_count_y
      - .offset:         152
        .size:           4
        .value_kind:     hidden_block_count_z
      - .offset:         156
        .size:           2
        .value_kind:     hidden_group_size_x
      - .offset:         158
        .size:           2
        .value_kind:     hidden_group_size_y
      - .offset:         160
        .size:           2
        .value_kind:     hidden_group_size_z
      - .offset:         162
        .size:           2
        .value_kind:     hidden_remainder_x
      - .offset:         164
        .size:           2
        .value_kind:     hidden_remainder_y
      - .offset:         166
        .size:           2
        .value_kind:     hidden_remainder_z
      - .offset:         184
        .size:           8
        .value_kind:     hidden_global_offset_x
      - .offset:         192
        .size:           8
        .value_kind:     hidden_global_offset_y
      - .offset:         200
        .size:           8
        .value_kind:     hidden_global_offset_z
      - .offset:         208
        .size:           2
        .value_kind:     hidden_grid_dims
    .group_segment_fixed_size: 17472
    .kernarg_segment_align: 8
    .kernarg_segment_size: 400
    .language:       OpenCL C
    .language_version:
      - 2
      - 0
    .max_flat_workgroup_size: 256
    .name:           _Z39paged_attention_ll4mi_QKV_mfma16_kernelIDF16_hLN4vllm18Fp8KVCacheDataTypeE1EhLi32ELi128ELi256ELb0ELi15EL8MFMAType0EEvPKT_PKT0_S8_ifPKiSA_SA_iPKfiiiPfSD_PS3_PT2_iSC_SC_
    .private_segment_fixed_size: 0
    .sgpr_count:     39
    .sgpr_spill_count: 0
    .symbol:         _Z39paged_attention_ll4mi_QKV_mfma16_kernelIDF16_hLN4vllm18Fp8KVCacheDataTypeE1EhLi32ELi128ELi256ELb0ELi15EL8MFMAType0EEvPKT_PKT0_S8_ifPKiSA_SA_iPKfiiiPfSD_PS3_PT2_iSC_SC_.kd
    .uniform_work_group_size: 1
    .uses_dynamic_stack: false
    .vgpr_count:     150
    .vgpr_spill_count: 0
    .wavefront_size: 32
    .workgroup_processor_mode: 1
  - .args:
      - .actual_access:  read_only
        .address_space:  global
        .offset:         0
        .size:           8
        .value_kind:     global_buffer
      - .actual_access:  read_only
        .address_space:  global
        .offset:         8
        .size:           8
        .value_kind:     global_buffer
      - .actual_access:  read_only
        .address_space:  global
        .offset:         16
        .size:           8
        .value_kind:     global_buffer
      - .offset:         24
        .size:           4
        .value_kind:     by_value
      - .offset:         28
        .size:           4
        .value_kind:     by_value
      - .actual_access:  read_only
        .address_space:  global
        .offset:         32
        .size:           8
        .value_kind:     global_buffer
      - .actual_access:  read_only
        .address_space:  global
        .offset:         40
        .size:           8
        .value_kind:     global_buffer
      - .actual_access:  read_only
        .address_space:  global
        .offset:         48
        .size:           8
        .value_kind:     global_buffer
      - .offset:         56
        .size:           4
        .value_kind:     by_value
      - .actual_access:  read_only
        .address_space:  global
        .offset:         64
        .size:           8
        .value_kind:     global_buffer
      - .offset:         72
        .size:           4
        .value_kind:     by_value
      - .offset:         76
        .size:           4
        .value_kind:     by_value
      - .offset:         80
        .size:           4
        .value_kind:     by_value
      - .actual_access:  write_only
        .address_space:  global
        .offset:         88
        .size:           8
        .value_kind:     global_buffer
      - .actual_access:  write_only
        .address_space:  global
        .offset:         96
        .size:           8
        .value_kind:     global_buffer
      - .actual_access:  write_only
        .address_space:  global
        .offset:         104
        .size:           8
        .value_kind:     global_buffer
      - .actual_access:  read_only
        .address_space:  global
        .offset:         112
        .size:           8
        .value_kind:     global_buffer
      - .offset:         120
        .size:           4
        .value_kind:     by_value
      - .address_space:  global
        .offset:         128
        .size:           8
        .value_kind:     global_buffer
      - .address_space:  global
        .offset:         136
        .size:           8
        .value_kind:     global_buffer
      - .offset:         144
        .size:           4
        .value_kind:     hidden_block_count_x
      - .offset:         148
        .size:           4
        .value_kind:     hidden_block_count_y
      - .offset:         152
        .size:           4
        .value_kind:     hidden_block_count_z
      - .offset:         156
        .size:           2
        .value_kind:     hidden_group_size_x
      - .offset:         158
        .size:           2
        .value_kind:     hidden_group_size_y
      - .offset:         160
        .size:           2
        .value_kind:     hidden_group_size_z
      - .offset:         162
        .size:           2
        .value_kind:     hidden_remainder_x
      - .offset:         164
        .size:           2
        .value_kind:     hidden_remainder_y
      - .offset:         166
        .size:           2
        .value_kind:     hidden_remainder_z
      - .offset:         184
        .size:           8
        .value_kind:     hidden_global_offset_x
      - .offset:         192
        .size:           8
        .value_kind:     hidden_global_offset_y
      - .offset:         200
        .size:           8
        .value_kind:     hidden_global_offset_z
      - .offset:         208
        .size:           2
        .value_kind:     hidden_grid_dims
    .group_segment_fixed_size: 17472
    .kernarg_segment_align: 8
    .kernarg_segment_size: 400
    .language:       OpenCL C
    .language_version:
      - 2
      - 0
    .max_flat_workgroup_size: 256
    .name:           _Z39paged_attention_ll4mi_QKV_mfma16_kernelIDF16_hLN4vllm18Fp8KVCacheDataTypeE1EhLi32ELi128ELi256ELb0ELi16EL8MFMAType0EEvPKT_PKT0_S8_ifPKiSA_SA_iPKfiiiPfSD_PS3_PT2_iSC_SC_
    .private_segment_fixed_size: 0
    .sgpr_count:     39
    .sgpr_spill_count: 0
    .symbol:         _Z39paged_attention_ll4mi_QKV_mfma16_kernelIDF16_hLN4vllm18Fp8KVCacheDataTypeE1EhLi32ELi128ELi256ELb0ELi16EL8MFMAType0EEvPKT_PKT0_S8_ifPKiSA_SA_iPKfiiiPfSD_PS3_PT2_iSC_SC_.kd
    .uniform_work_group_size: 1
    .uses_dynamic_stack: false
    .vgpr_count:     140
    .vgpr_spill_count: 0
    .wavefront_size: 32
    .workgroup_processor_mode: 1
  - .args:
      - .actual_access:  read_only
        .address_space:  global
        .offset:         0
        .size:           8
        .value_kind:     global_buffer
      - .actual_access:  read_only
        .address_space:  global
        .offset:         8
        .size:           8
        .value_kind:     global_buffer
      - .actual_access:  read_only
        .address_space:  global
        .offset:         16
        .size:           8
        .value_kind:     global_buffer
      - .offset:         24
        .size:           4
        .value_kind:     by_value
      - .offset:         28
        .size:           4
        .value_kind:     by_value
      - .actual_access:  read_only
        .address_space:  global
        .offset:         32
        .size:           8
        .value_kind:     global_buffer
      - .actual_access:  read_only
        .address_space:  global
        .offset:         40
        .size:           8
        .value_kind:     global_buffer
      - .actual_access:  read_only
        .address_space:  global
        .offset:         48
        .size:           8
        .value_kind:     global_buffer
      - .offset:         56
        .size:           4
        .value_kind:     by_value
      - .actual_access:  read_only
        .address_space:  global
        .offset:         64
        .size:           8
        .value_kind:     global_buffer
      - .offset:         72
        .size:           4
        .value_kind:     by_value
      - .offset:         76
        .size:           4
        .value_kind:     by_value
      - .offset:         80
        .size:           4
        .value_kind:     by_value
      - .actual_access:  write_only
        .address_space:  global
        .offset:         88
        .size:           8
        .value_kind:     global_buffer
      - .actual_access:  write_only
        .address_space:  global
        .offset:         96
        .size:           8
        .value_kind:     global_buffer
      - .actual_access:  write_only
        .address_space:  global
        .offset:         104
        .size:           8
        .value_kind:     global_buffer
      - .actual_access:  read_only
        .address_space:  global
        .offset:         112
        .size:           8
        .value_kind:     global_buffer
      - .offset:         120
        .size:           4
        .value_kind:     by_value
      - .address_space:  global
        .offset:         128
        .size:           8
        .value_kind:     global_buffer
      - .address_space:  global
        .offset:         136
        .size:           8
        .value_kind:     global_buffer
      - .offset:         144
        .size:           4
        .value_kind:     hidden_block_count_x
      - .offset:         148
        .size:           4
        .value_kind:     hidden_block_count_y
      - .offset:         152
        .size:           4
        .value_kind:     hidden_block_count_z
      - .offset:         156
        .size:           2
        .value_kind:     hidden_group_size_x
      - .offset:         158
        .size:           2
        .value_kind:     hidden_group_size_y
      - .offset:         160
        .size:           2
        .value_kind:     hidden_group_size_z
      - .offset:         162
        .size:           2
        .value_kind:     hidden_remainder_x
      - .offset:         164
        .size:           2
        .value_kind:     hidden_remainder_y
      - .offset:         166
        .size:           2
        .value_kind:     hidden_remainder_z
      - .offset:         184
        .size:           8
        .value_kind:     hidden_global_offset_x
      - .offset:         192
        .size:           8
        .value_kind:     hidden_global_offset_y
      - .offset:         200
        .size:           8
        .value_kind:     hidden_global_offset_z
      - .offset:         208
        .size:           2
        .value_kind:     hidden_grid_dims
    .group_segment_fixed_size: 17472
    .kernarg_segment_align: 8
    .kernarg_segment_size: 400
    .language:       OpenCL C
    .language_version:
      - 2
      - 0
    .max_flat_workgroup_size: 256
    .name:           _Z39paged_attention_ll4mi_QKV_mfma16_kernelIDF16_hLN4vllm18Fp8KVCacheDataTypeE1EhLi32ELi128ELi256ELb0ELi1EL8MFMAType0EEvPKT_PKT0_S8_ifPKiSA_SA_iPKfiiiPfSD_PS3_PT2_iSC_SC_
    .private_segment_fixed_size: 0
    .sgpr_count:     70
    .sgpr_spill_count: 0
    .symbol:         _Z39paged_attention_ll4mi_QKV_mfma16_kernelIDF16_hLN4vllm18Fp8KVCacheDataTypeE1EhLi32ELi128ELi256ELb0ELi1EL8MFMAType0EEvPKT_PKT0_S8_ifPKiSA_SA_iPKfiiiPfSD_PS3_PT2_iSC_SC_.kd
    .uniform_work_group_size: 1
    .uses_dynamic_stack: false
    .vgpr_count:     134
    .vgpr_spill_count: 0
    .wavefront_size: 32
    .workgroup_processor_mode: 1
  - .args:
      - .actual_access:  read_only
        .address_space:  global
        .offset:         0
        .size:           8
        .value_kind:     global_buffer
      - .actual_access:  read_only
        .address_space:  global
        .offset:         8
        .size:           8
        .value_kind:     global_buffer
      - .actual_access:  read_only
        .address_space:  global
        .offset:         16
        .size:           8
        .value_kind:     global_buffer
      - .offset:         24
        .size:           4
        .value_kind:     by_value
      - .offset:         28
        .size:           4
        .value_kind:     by_value
      - .actual_access:  read_only
        .address_space:  global
        .offset:         32
        .size:           8
        .value_kind:     global_buffer
      - .actual_access:  read_only
        .address_space:  global
        .offset:         40
        .size:           8
        .value_kind:     global_buffer
      - .actual_access:  read_only
        .address_space:  global
        .offset:         48
        .size:           8
        .value_kind:     global_buffer
      - .offset:         56
        .size:           4
        .value_kind:     by_value
      - .actual_access:  read_only
        .address_space:  global
        .offset:         64
        .size:           8
        .value_kind:     global_buffer
      - .offset:         72
        .size:           4
        .value_kind:     by_value
      - .offset:         76
        .size:           4
        .value_kind:     by_value
      - .offset:         80
        .size:           4
        .value_kind:     by_value
      - .actual_access:  write_only
        .address_space:  global
        .offset:         88
        .size:           8
        .value_kind:     global_buffer
      - .actual_access:  write_only
        .address_space:  global
        .offset:         96
        .size:           8
        .value_kind:     global_buffer
      - .actual_access:  write_only
        .address_space:  global
        .offset:         104
        .size:           8
        .value_kind:     global_buffer
      - .actual_access:  read_only
        .address_space:  global
        .offset:         112
        .size:           8
        .value_kind:     global_buffer
      - .offset:         120
        .size:           4
        .value_kind:     by_value
      - .address_space:  global
        .offset:         128
        .size:           8
        .value_kind:     global_buffer
      - .address_space:  global
        .offset:         136
        .size:           8
        .value_kind:     global_buffer
      - .offset:         144
        .size:           4
        .value_kind:     hidden_block_count_x
      - .offset:         148
        .size:           4
        .value_kind:     hidden_block_count_y
      - .offset:         152
        .size:           4
        .value_kind:     hidden_block_count_z
      - .offset:         156
        .size:           2
        .value_kind:     hidden_group_size_x
      - .offset:         158
        .size:           2
        .value_kind:     hidden_group_size_y
      - .offset:         160
        .size:           2
        .value_kind:     hidden_group_size_z
      - .offset:         162
        .size:           2
        .value_kind:     hidden_remainder_x
      - .offset:         164
        .size:           2
        .value_kind:     hidden_remainder_y
      - .offset:         166
        .size:           2
        .value_kind:     hidden_remainder_z
      - .offset:         184
        .size:           8
        .value_kind:     hidden_global_offset_x
      - .offset:         192
        .size:           8
        .value_kind:     hidden_global_offset_y
      - .offset:         200
        .size:           8
        .value_kind:     hidden_global_offset_z
      - .offset:         208
        .size:           2
        .value_kind:     hidden_grid_dims
    .group_segment_fixed_size: 17472
    .kernarg_segment_align: 8
    .kernarg_segment_size: 400
    .language:       OpenCL C
    .language_version:
      - 2
      - 0
    .max_flat_workgroup_size: 256
    .name:           _Z39paged_attention_ll4mi_QKV_mfma16_kernelIDF16_hLN4vllm18Fp8KVCacheDataTypeE1EhLi32ELi128ELi256ELb0ELi2EL8MFMAType0EEvPKT_PKT0_S8_ifPKiSA_SA_iPKfiiiPfSD_PS3_PT2_iSC_SC_
    .private_segment_fixed_size: 0
    .sgpr_count:     41
    .sgpr_spill_count: 0
    .symbol:         _Z39paged_attention_ll4mi_QKV_mfma16_kernelIDF16_hLN4vllm18Fp8KVCacheDataTypeE1EhLi32ELi128ELi256ELb0ELi2EL8MFMAType0EEvPKT_PKT0_S8_ifPKiSA_SA_iPKfiiiPfSD_PS3_PT2_iSC_SC_.kd
    .uniform_work_group_size: 1
    .uses_dynamic_stack: false
    .vgpr_count:     146
    .vgpr_spill_count: 0
    .wavefront_size: 32
    .workgroup_processor_mode: 1
  - .args:
      - .actual_access:  read_only
        .address_space:  global
        .offset:         0
        .size:           8
        .value_kind:     global_buffer
      - .actual_access:  read_only
        .address_space:  global
        .offset:         8
        .size:           8
        .value_kind:     global_buffer
      - .actual_access:  read_only
        .address_space:  global
        .offset:         16
        .size:           8
        .value_kind:     global_buffer
      - .offset:         24
        .size:           4
        .value_kind:     by_value
      - .offset:         28
        .size:           4
        .value_kind:     by_value
      - .actual_access:  read_only
        .address_space:  global
        .offset:         32
        .size:           8
        .value_kind:     global_buffer
      - .actual_access:  read_only
        .address_space:  global
        .offset:         40
        .size:           8
        .value_kind:     global_buffer
      - .actual_access:  read_only
        .address_space:  global
        .offset:         48
        .size:           8
        .value_kind:     global_buffer
      - .offset:         56
        .size:           4
        .value_kind:     by_value
      - .actual_access:  read_only
        .address_space:  global
        .offset:         64
        .size:           8
        .value_kind:     global_buffer
      - .offset:         72
        .size:           4
        .value_kind:     by_value
      - .offset:         76
        .size:           4
        .value_kind:     by_value
      - .offset:         80
        .size:           4
        .value_kind:     by_value
      - .actual_access:  write_only
        .address_space:  global
        .offset:         88
        .size:           8
        .value_kind:     global_buffer
      - .actual_access:  write_only
        .address_space:  global
        .offset:         96
        .size:           8
        .value_kind:     global_buffer
      - .actual_access:  write_only
        .address_space:  global
        .offset:         104
        .size:           8
        .value_kind:     global_buffer
      - .actual_access:  read_only
        .address_space:  global
        .offset:         112
        .size:           8
        .value_kind:     global_buffer
      - .offset:         120
        .size:           4
        .value_kind:     by_value
      - .address_space:  global
        .offset:         128
        .size:           8
        .value_kind:     global_buffer
      - .address_space:  global
        .offset:         136
        .size:           8
        .value_kind:     global_buffer
      - .offset:         144
        .size:           4
        .value_kind:     hidden_block_count_x
      - .offset:         148
        .size:           4
        .value_kind:     hidden_block_count_y
      - .offset:         152
        .size:           4
        .value_kind:     hidden_block_count_z
      - .offset:         156
        .size:           2
        .value_kind:     hidden_group_size_x
      - .offset:         158
        .size:           2
        .value_kind:     hidden_group_size_y
      - .offset:         160
        .size:           2
        .value_kind:     hidden_group_size_z
      - .offset:         162
        .size:           2
        .value_kind:     hidden_remainder_x
      - .offset:         164
        .size:           2
        .value_kind:     hidden_remainder_y
      - .offset:         166
        .size:           2
        .value_kind:     hidden_remainder_z
      - .offset:         184
        .size:           8
        .value_kind:     hidden_global_offset_x
      - .offset:         192
        .size:           8
        .value_kind:     hidden_global_offset_y
      - .offset:         200
        .size:           8
        .value_kind:     hidden_global_offset_z
      - .offset:         208
        .size:           2
        .value_kind:     hidden_grid_dims
    .group_segment_fixed_size: 17472
    .kernarg_segment_align: 8
    .kernarg_segment_size: 400
    .language:       OpenCL C
    .language_version:
      - 2
      - 0
    .max_flat_workgroup_size: 256
    .name:           _Z39paged_attention_ll4mi_QKV_mfma16_kernelIDF16_hLN4vllm18Fp8KVCacheDataTypeE1EhLi32ELi128ELi256ELb0ELi3EL8MFMAType0EEvPKT_PKT0_S8_ifPKiSA_SA_iPKfiiiPfSD_PS3_PT2_iSC_SC_
    .private_segment_fixed_size: 0
    .sgpr_count:     39
    .sgpr_spill_count: 0
    .symbol:         _Z39paged_attention_ll4mi_QKV_mfma16_kernelIDF16_hLN4vllm18Fp8KVCacheDataTypeE1EhLi32ELi128ELi256ELb0ELi3EL8MFMAType0EEvPKT_PKT0_S8_ifPKiSA_SA_iPKfiiiPfSD_PS3_PT2_iSC_SC_.kd
    .uniform_work_group_size: 1
    .uses_dynamic_stack: false
    .vgpr_count:     150
    .vgpr_spill_count: 0
    .wavefront_size: 32
    .workgroup_processor_mode: 1
  - .args:
      - .actual_access:  read_only
        .address_space:  global
        .offset:         0
        .size:           8
        .value_kind:     global_buffer
      - .actual_access:  read_only
        .address_space:  global
        .offset:         8
        .size:           8
        .value_kind:     global_buffer
      - .actual_access:  read_only
        .address_space:  global
        .offset:         16
        .size:           8
        .value_kind:     global_buffer
      - .offset:         24
        .size:           4
        .value_kind:     by_value
      - .offset:         28
        .size:           4
        .value_kind:     by_value
      - .actual_access:  read_only
        .address_space:  global
        .offset:         32
        .size:           8
        .value_kind:     global_buffer
      - .actual_access:  read_only
        .address_space:  global
        .offset:         40
        .size:           8
        .value_kind:     global_buffer
      - .actual_access:  read_only
        .address_space:  global
        .offset:         48
        .size:           8
        .value_kind:     global_buffer
      - .offset:         56
        .size:           4
        .value_kind:     by_value
      - .actual_access:  read_only
        .address_space:  global
        .offset:         64
        .size:           8
        .value_kind:     global_buffer
      - .offset:         72
        .size:           4
        .value_kind:     by_value
      - .offset:         76
        .size:           4
        .value_kind:     by_value
      - .offset:         80
        .size:           4
        .value_kind:     by_value
      - .actual_access:  write_only
        .address_space:  global
        .offset:         88
        .size:           8
        .value_kind:     global_buffer
      - .actual_access:  write_only
        .address_space:  global
        .offset:         96
        .size:           8
        .value_kind:     global_buffer
      - .actual_access:  write_only
        .address_space:  global
        .offset:         104
        .size:           8
        .value_kind:     global_buffer
      - .actual_access:  read_only
        .address_space:  global
        .offset:         112
        .size:           8
        .value_kind:     global_buffer
      - .offset:         120
        .size:           4
        .value_kind:     by_value
      - .address_space:  global
        .offset:         128
        .size:           8
        .value_kind:     global_buffer
      - .address_space:  global
        .offset:         136
        .size:           8
        .value_kind:     global_buffer
      - .offset:         144
        .size:           4
        .value_kind:     hidden_block_count_x
      - .offset:         148
        .size:           4
        .value_kind:     hidden_block_count_y
      - .offset:         152
        .size:           4
        .value_kind:     hidden_block_count_z
      - .offset:         156
        .size:           2
        .value_kind:     hidden_group_size_x
      - .offset:         158
        .size:           2
        .value_kind:     hidden_group_size_y
      - .offset:         160
        .size:           2
        .value_kind:     hidden_group_size_z
      - .offset:         162
        .size:           2
        .value_kind:     hidden_remainder_x
      - .offset:         164
        .size:           2
        .value_kind:     hidden_remainder_y
      - .offset:         166
        .size:           2
        .value_kind:     hidden_remainder_z
      - .offset:         184
        .size:           8
        .value_kind:     hidden_global_offset_x
      - .offset:         192
        .size:           8
        .value_kind:     hidden_global_offset_y
      - .offset:         200
        .size:           8
        .value_kind:     hidden_global_offset_z
      - .offset:         208
        .size:           2
        .value_kind:     hidden_grid_dims
    .group_segment_fixed_size: 17472
    .kernarg_segment_align: 8
    .kernarg_segment_size: 400
    .language:       OpenCL C
    .language_version:
      - 2
      - 0
    .max_flat_workgroup_size: 256
    .name:           _Z39paged_attention_ll4mi_QKV_mfma16_kernelIDF16_hLN4vllm18Fp8KVCacheDataTypeE1EhLi32ELi128ELi256ELb0ELi4EL8MFMAType0EEvPKT_PKT0_S8_ifPKiSA_SA_iPKfiiiPfSD_PS3_PT2_iSC_SC_
    .private_segment_fixed_size: 0
    .sgpr_count:     38
    .sgpr_spill_count: 0
    .symbol:         _Z39paged_attention_ll4mi_QKV_mfma16_kernelIDF16_hLN4vllm18Fp8KVCacheDataTypeE1EhLi32ELi128ELi256ELb0ELi4EL8MFMAType0EEvPKT_PKT0_S8_ifPKiSA_SA_iPKfiiiPfSD_PS3_PT2_iSC_SC_.kd
    .uniform_work_group_size: 1
    .uses_dynamic_stack: false
    .vgpr_count:     140
    .vgpr_spill_count: 0
    .wavefront_size: 32
    .workgroup_processor_mode: 1
  - .args:
      - .actual_access:  read_only
        .address_space:  global
        .offset:         0
        .size:           8
        .value_kind:     global_buffer
      - .actual_access:  read_only
        .address_space:  global
        .offset:         8
        .size:           8
        .value_kind:     global_buffer
      - .actual_access:  read_only
        .address_space:  global
        .offset:         16
        .size:           8
        .value_kind:     global_buffer
      - .offset:         24
        .size:           4
        .value_kind:     by_value
      - .offset:         28
        .size:           4
        .value_kind:     by_value
      - .actual_access:  read_only
        .address_space:  global
        .offset:         32
        .size:           8
        .value_kind:     global_buffer
      - .actual_access:  read_only
        .address_space:  global
        .offset:         40
        .size:           8
        .value_kind:     global_buffer
      - .actual_access:  read_only
        .address_space:  global
        .offset:         48
        .size:           8
        .value_kind:     global_buffer
      - .offset:         56
        .size:           4
        .value_kind:     by_value
      - .actual_access:  read_only
        .address_space:  global
        .offset:         64
        .size:           8
        .value_kind:     global_buffer
      - .offset:         72
        .size:           4
        .value_kind:     by_value
      - .offset:         76
        .size:           4
        .value_kind:     by_value
      - .offset:         80
        .size:           4
        .value_kind:     by_value
      - .actual_access:  write_only
        .address_space:  global
        .offset:         88
        .size:           8
        .value_kind:     global_buffer
      - .actual_access:  write_only
        .address_space:  global
        .offset:         96
        .size:           8
        .value_kind:     global_buffer
      - .actual_access:  write_only
        .address_space:  global
        .offset:         104
        .size:           8
        .value_kind:     global_buffer
      - .actual_access:  read_only
        .address_space:  global
        .offset:         112
        .size:           8
        .value_kind:     global_buffer
      - .offset:         120
        .size:           4
        .value_kind:     by_value
      - .address_space:  global
        .offset:         128
        .size:           8
        .value_kind:     global_buffer
      - .address_space:  global
        .offset:         136
        .size:           8
        .value_kind:     global_buffer
      - .offset:         144
        .size:           4
        .value_kind:     hidden_block_count_x
      - .offset:         148
        .size:           4
        .value_kind:     hidden_block_count_y
      - .offset:         152
        .size:           4
        .value_kind:     hidden_block_count_z
      - .offset:         156
        .size:           2
        .value_kind:     hidden_group_size_x
      - .offset:         158
        .size:           2
        .value_kind:     hidden_group_size_y
      - .offset:         160
        .size:           2
        .value_kind:     hidden_group_size_z
      - .offset:         162
        .size:           2
        .value_kind:     hidden_remainder_x
      - .offset:         164
        .size:           2
        .value_kind:     hidden_remainder_y
      - .offset:         166
        .size:           2
        .value_kind:     hidden_remainder_z
      - .offset:         184
        .size:           8
        .value_kind:     hidden_global_offset_x
      - .offset:         192
        .size:           8
        .value_kind:     hidden_global_offset_y
      - .offset:         200
        .size:           8
        .value_kind:     hidden_global_offset_z
      - .offset:         208
        .size:           2
        .value_kind:     hidden_grid_dims
    .group_segment_fixed_size: 17472
    .kernarg_segment_align: 8
    .kernarg_segment_size: 400
    .language:       OpenCL C
    .language_version:
      - 2
      - 0
    .max_flat_workgroup_size: 256
    .name:           _Z39paged_attention_ll4mi_QKV_mfma16_kernelIDF16_hLN4vllm18Fp8KVCacheDataTypeE1EDF16_Li32ELi128ELi256ELb1ELi5EL8MFMAType0EEvPKT_PKT0_S8_ifPKiSA_SA_iPKfiiiPfSD_PS3_PT2_iSC_SC_
    .private_segment_fixed_size: 0
    .sgpr_count:     39
    .sgpr_spill_count: 0
    .symbol:         _Z39paged_attention_ll4mi_QKV_mfma16_kernelIDF16_hLN4vllm18Fp8KVCacheDataTypeE1EDF16_Li32ELi128ELi256ELb1ELi5EL8MFMAType0EEvPKT_PKT0_S8_ifPKiSA_SA_iPKfiiiPfSD_PS3_PT2_iSC_SC_.kd
    .uniform_work_group_size: 1
    .uses_dynamic_stack: false
    .vgpr_count:     150
    .vgpr_spill_count: 0
    .wavefront_size: 32
    .workgroup_processor_mode: 1
  - .args:
      - .actual_access:  read_only
        .address_space:  global
        .offset:         0
        .size:           8
        .value_kind:     global_buffer
      - .actual_access:  read_only
        .address_space:  global
        .offset:         8
        .size:           8
        .value_kind:     global_buffer
      - .actual_access:  read_only
        .address_space:  global
        .offset:         16
        .size:           8
        .value_kind:     global_buffer
      - .offset:         24
        .size:           4
        .value_kind:     by_value
      - .offset:         28
        .size:           4
        .value_kind:     by_value
      - .actual_access:  read_only
        .address_space:  global
        .offset:         32
        .size:           8
        .value_kind:     global_buffer
      - .actual_access:  read_only
        .address_space:  global
        .offset:         40
        .size:           8
        .value_kind:     global_buffer
      - .actual_access:  read_only
        .address_space:  global
        .offset:         48
        .size:           8
        .value_kind:     global_buffer
      - .offset:         56
        .size:           4
        .value_kind:     by_value
      - .actual_access:  read_only
        .address_space:  global
        .offset:         64
        .size:           8
        .value_kind:     global_buffer
      - .offset:         72
        .size:           4
        .value_kind:     by_value
      - .offset:         76
        .size:           4
        .value_kind:     by_value
      - .offset:         80
        .size:           4
        .value_kind:     by_value
      - .actual_access:  write_only
        .address_space:  global
        .offset:         88
        .size:           8
        .value_kind:     global_buffer
      - .actual_access:  write_only
        .address_space:  global
        .offset:         96
        .size:           8
        .value_kind:     global_buffer
      - .actual_access:  write_only
        .address_space:  global
        .offset:         104
        .size:           8
        .value_kind:     global_buffer
      - .actual_access:  read_only
        .address_space:  global
        .offset:         112
        .size:           8
        .value_kind:     global_buffer
      - .offset:         120
        .size:           4
        .value_kind:     by_value
      - .address_space:  global
        .offset:         128
        .size:           8
        .value_kind:     global_buffer
      - .address_space:  global
        .offset:         136
        .size:           8
        .value_kind:     global_buffer
      - .offset:         144
        .size:           4
        .value_kind:     hidden_block_count_x
      - .offset:         148
        .size:           4
        .value_kind:     hidden_block_count_y
      - .offset:         152
        .size:           4
        .value_kind:     hidden_block_count_z
      - .offset:         156
        .size:           2
        .value_kind:     hidden_group_size_x
      - .offset:         158
        .size:           2
        .value_kind:     hidden_group_size_y
      - .offset:         160
        .size:           2
        .value_kind:     hidden_group_size_z
      - .offset:         162
        .size:           2
        .value_kind:     hidden_remainder_x
      - .offset:         164
        .size:           2
        .value_kind:     hidden_remainder_y
      - .offset:         166
        .size:           2
        .value_kind:     hidden_remainder_z
      - .offset:         184
        .size:           8
        .value_kind:     hidden_global_offset_x
      - .offset:         192
        .size:           8
        .value_kind:     hidden_global_offset_y
      - .offset:         200
        .size:           8
        .value_kind:     hidden_global_offset_z
      - .offset:         208
        .size:           2
        .value_kind:     hidden_grid_dims
    .group_segment_fixed_size: 17472
    .kernarg_segment_align: 8
    .kernarg_segment_size: 400
    .language:       OpenCL C
    .language_version:
      - 2
      - 0
    .max_flat_workgroup_size: 256
    .name:           _Z39paged_attention_ll4mi_QKV_mfma16_kernelIDF16_hLN4vllm18Fp8KVCacheDataTypeE1EDF16_Li32ELi128ELi256ELb1ELi6EL8MFMAType0EEvPKT_PKT0_S8_ifPKiSA_SA_iPKfiiiPfSD_PS3_PT2_iSC_SC_
    .private_segment_fixed_size: 0
    .sgpr_count:     39
    .sgpr_spill_count: 0
    .symbol:         _Z39paged_attention_ll4mi_QKV_mfma16_kernelIDF16_hLN4vllm18Fp8KVCacheDataTypeE1EDF16_Li32ELi128ELi256ELb1ELi6EL8MFMAType0EEvPKT_PKT0_S8_ifPKiSA_SA_iPKfiiiPfSD_PS3_PT2_iSC_SC_.kd
    .uniform_work_group_size: 1
    .uses_dynamic_stack: false
    .vgpr_count:     150
    .vgpr_spill_count: 0
    .wavefront_size: 32
    .workgroup_processor_mode: 1
  - .args:
      - .actual_access:  read_only
        .address_space:  global
        .offset:         0
        .size:           8
        .value_kind:     global_buffer
      - .actual_access:  read_only
        .address_space:  global
        .offset:         8
        .size:           8
        .value_kind:     global_buffer
      - .actual_access:  read_only
        .address_space:  global
        .offset:         16
        .size:           8
        .value_kind:     global_buffer
      - .offset:         24
        .size:           4
        .value_kind:     by_value
      - .offset:         28
        .size:           4
        .value_kind:     by_value
      - .actual_access:  read_only
        .address_space:  global
        .offset:         32
        .size:           8
        .value_kind:     global_buffer
      - .actual_access:  read_only
        .address_space:  global
        .offset:         40
        .size:           8
        .value_kind:     global_buffer
      - .actual_access:  read_only
        .address_space:  global
        .offset:         48
        .size:           8
        .value_kind:     global_buffer
      - .offset:         56
        .size:           4
        .value_kind:     by_value
      - .actual_access:  read_only
        .address_space:  global
        .offset:         64
        .size:           8
        .value_kind:     global_buffer
      - .offset:         72
        .size:           4
        .value_kind:     by_value
      - .offset:         76
        .size:           4
        .value_kind:     by_value
      - .offset:         80
        .size:           4
        .value_kind:     by_value
      - .actual_access:  write_only
        .address_space:  global
        .offset:         88
        .size:           8
        .value_kind:     global_buffer
      - .actual_access:  write_only
        .address_space:  global
        .offset:         96
        .size:           8
        .value_kind:     global_buffer
      - .actual_access:  write_only
        .address_space:  global
        .offset:         104
        .size:           8
        .value_kind:     global_buffer
      - .actual_access:  read_only
        .address_space:  global
        .offset:         112
        .size:           8
        .value_kind:     global_buffer
      - .offset:         120
        .size:           4
        .value_kind:     by_value
      - .address_space:  global
        .offset:         128
        .size:           8
        .value_kind:     global_buffer
      - .address_space:  global
        .offset:         136
        .size:           8
        .value_kind:     global_buffer
      - .offset:         144
        .size:           4
        .value_kind:     hidden_block_count_x
      - .offset:         148
        .size:           4
        .value_kind:     hidden_block_count_y
      - .offset:         152
        .size:           4
        .value_kind:     hidden_block_count_z
      - .offset:         156
        .size:           2
        .value_kind:     hidden_group_size_x
      - .offset:         158
        .size:           2
        .value_kind:     hidden_group_size_y
      - .offset:         160
        .size:           2
        .value_kind:     hidden_group_size_z
      - .offset:         162
        .size:           2
        .value_kind:     hidden_remainder_x
      - .offset:         164
        .size:           2
        .value_kind:     hidden_remainder_y
      - .offset:         166
        .size:           2
        .value_kind:     hidden_remainder_z
      - .offset:         184
        .size:           8
        .value_kind:     hidden_global_offset_x
      - .offset:         192
        .size:           8
        .value_kind:     hidden_global_offset_y
      - .offset:         200
        .size:           8
        .value_kind:     hidden_global_offset_z
      - .offset:         208
        .size:           2
        .value_kind:     hidden_grid_dims
    .group_segment_fixed_size: 17472
    .kernarg_segment_align: 8
    .kernarg_segment_size: 400
    .language:       OpenCL C
    .language_version:
      - 2
      - 0
    .max_flat_workgroup_size: 256
    .name:           _Z39paged_attention_ll4mi_QKV_mfma16_kernelIDF16_hLN4vllm18Fp8KVCacheDataTypeE1EDF16_Li32ELi128ELi256ELb1ELi7EL8MFMAType0EEvPKT_PKT0_S8_ifPKiSA_SA_iPKfiiiPfSD_PS3_PT2_iSC_SC_
    .private_segment_fixed_size: 0
    .sgpr_count:     39
    .sgpr_spill_count: 0
    .symbol:         _Z39paged_attention_ll4mi_QKV_mfma16_kernelIDF16_hLN4vllm18Fp8KVCacheDataTypeE1EDF16_Li32ELi128ELi256ELb1ELi7EL8MFMAType0EEvPKT_PKT0_S8_ifPKiSA_SA_iPKfiiiPfSD_PS3_PT2_iSC_SC_.kd
    .uniform_work_group_size: 1
    .uses_dynamic_stack: false
    .vgpr_count:     150
    .vgpr_spill_count: 0
    .wavefront_size: 32
    .workgroup_processor_mode: 1
  - .args:
      - .actual_access:  read_only
        .address_space:  global
        .offset:         0
        .size:           8
        .value_kind:     global_buffer
      - .actual_access:  read_only
        .address_space:  global
        .offset:         8
        .size:           8
        .value_kind:     global_buffer
      - .actual_access:  read_only
        .address_space:  global
        .offset:         16
        .size:           8
        .value_kind:     global_buffer
      - .offset:         24
        .size:           4
        .value_kind:     by_value
      - .offset:         28
        .size:           4
        .value_kind:     by_value
      - .actual_access:  read_only
        .address_space:  global
        .offset:         32
        .size:           8
        .value_kind:     global_buffer
      - .actual_access:  read_only
        .address_space:  global
        .offset:         40
        .size:           8
        .value_kind:     global_buffer
      - .actual_access:  read_only
        .address_space:  global
        .offset:         48
        .size:           8
        .value_kind:     global_buffer
      - .offset:         56
        .size:           4
        .value_kind:     by_value
      - .actual_access:  read_only
        .address_space:  global
        .offset:         64
        .size:           8
        .value_kind:     global_buffer
      - .offset:         72
        .size:           4
        .value_kind:     by_value
      - .offset:         76
        .size:           4
        .value_kind:     by_value
      - .offset:         80
        .size:           4
        .value_kind:     by_value
      - .actual_access:  write_only
        .address_space:  global
        .offset:         88
        .size:           8
        .value_kind:     global_buffer
      - .actual_access:  write_only
        .address_space:  global
        .offset:         96
        .size:           8
        .value_kind:     global_buffer
      - .actual_access:  write_only
        .address_space:  global
        .offset:         104
        .size:           8
        .value_kind:     global_buffer
      - .actual_access:  read_only
        .address_space:  global
        .offset:         112
        .size:           8
        .value_kind:     global_buffer
      - .offset:         120
        .size:           4
        .value_kind:     by_value
      - .address_space:  global
        .offset:         128
        .size:           8
        .value_kind:     global_buffer
      - .address_space:  global
        .offset:         136
        .size:           8
        .value_kind:     global_buffer
      - .offset:         144
        .size:           4
        .value_kind:     hidden_block_count_x
      - .offset:         148
        .size:           4
        .value_kind:     hidden_block_count_y
      - .offset:         152
        .size:           4
        .value_kind:     hidden_block_count_z
      - .offset:         156
        .size:           2
        .value_kind:     hidden_group_size_x
      - .offset:         158
        .size:           2
        .value_kind:     hidden_group_size_y
      - .offset:         160
        .size:           2
        .value_kind:     hidden_group_size_z
      - .offset:         162
        .size:           2
        .value_kind:     hidden_remainder_x
      - .offset:         164
        .size:           2
        .value_kind:     hidden_remainder_y
      - .offset:         166
        .size:           2
        .value_kind:     hidden_remainder_z
      - .offset:         184
        .size:           8
        .value_kind:     hidden_global_offset_x
      - .offset:         192
        .size:           8
        .value_kind:     hidden_global_offset_y
      - .offset:         200
        .size:           8
        .value_kind:     hidden_global_offset_z
      - .offset:         208
        .size:           2
        .value_kind:     hidden_grid_dims
    .group_segment_fixed_size: 17472
    .kernarg_segment_align: 8
    .kernarg_segment_size: 400
    .language:       OpenCL C
    .language_version:
      - 2
      - 0
    .max_flat_workgroup_size: 256
    .name:           _Z39paged_attention_ll4mi_QKV_mfma16_kernelIDF16_hLN4vllm18Fp8KVCacheDataTypeE1EDF16_Li32ELi128ELi256ELb1ELi8EL8MFMAType0EEvPKT_PKT0_S8_ifPKiSA_SA_iPKfiiiPfSD_PS3_PT2_iSC_SC_
    .private_segment_fixed_size: 0
    .sgpr_count:     38
    .sgpr_spill_count: 0
    .symbol:         _Z39paged_attention_ll4mi_QKV_mfma16_kernelIDF16_hLN4vllm18Fp8KVCacheDataTypeE1EDF16_Li32ELi128ELi256ELb1ELi8EL8MFMAType0EEvPKT_PKT0_S8_ifPKiSA_SA_iPKfiiiPfSD_PS3_PT2_iSC_SC_.kd
    .uniform_work_group_size: 1
    .uses_dynamic_stack: false
    .vgpr_count:     140
    .vgpr_spill_count: 0
    .wavefront_size: 32
    .workgroup_processor_mode: 1
  - .args:
      - .actual_access:  read_only
        .address_space:  global
        .offset:         0
        .size:           8
        .value_kind:     global_buffer
      - .actual_access:  read_only
        .address_space:  global
        .offset:         8
        .size:           8
        .value_kind:     global_buffer
      - .actual_access:  read_only
        .address_space:  global
        .offset:         16
        .size:           8
        .value_kind:     global_buffer
      - .offset:         24
        .size:           4
        .value_kind:     by_value
      - .offset:         28
        .size:           4
        .value_kind:     by_value
      - .actual_access:  read_only
        .address_space:  global
        .offset:         32
        .size:           8
        .value_kind:     global_buffer
      - .actual_access:  read_only
        .address_space:  global
        .offset:         40
        .size:           8
        .value_kind:     global_buffer
      - .actual_access:  read_only
        .address_space:  global
        .offset:         48
        .size:           8
        .value_kind:     global_buffer
      - .offset:         56
        .size:           4
        .value_kind:     by_value
      - .actual_access:  read_only
        .address_space:  global
        .offset:         64
        .size:           8
        .value_kind:     global_buffer
      - .offset:         72
        .size:           4
        .value_kind:     by_value
      - .offset:         76
        .size:           4
        .value_kind:     by_value
      - .offset:         80
        .size:           4
        .value_kind:     by_value
      - .actual_access:  write_only
        .address_space:  global
        .offset:         88
        .size:           8
        .value_kind:     global_buffer
      - .actual_access:  write_only
        .address_space:  global
        .offset:         96
        .size:           8
        .value_kind:     global_buffer
      - .actual_access:  write_only
        .address_space:  global
        .offset:         104
        .size:           8
        .value_kind:     global_buffer
      - .actual_access:  read_only
        .address_space:  global
        .offset:         112
        .size:           8
        .value_kind:     global_buffer
      - .offset:         120
        .size:           4
        .value_kind:     by_value
      - .address_space:  global
        .offset:         128
        .size:           8
        .value_kind:     global_buffer
      - .address_space:  global
        .offset:         136
        .size:           8
        .value_kind:     global_buffer
      - .offset:         144
        .size:           4
        .value_kind:     hidden_block_count_x
      - .offset:         148
        .size:           4
        .value_kind:     hidden_block_count_y
      - .offset:         152
        .size:           4
        .value_kind:     hidden_block_count_z
      - .offset:         156
        .size:           2
        .value_kind:     hidden_group_size_x
      - .offset:         158
        .size:           2
        .value_kind:     hidden_group_size_y
      - .offset:         160
        .size:           2
        .value_kind:     hidden_group_size_z
      - .offset:         162
        .size:           2
        .value_kind:     hidden_remainder_x
      - .offset:         164
        .size:           2
        .value_kind:     hidden_remainder_y
      - .offset:         166
        .size:           2
        .value_kind:     hidden_remainder_z
      - .offset:         184
        .size:           8
        .value_kind:     hidden_global_offset_x
      - .offset:         192
        .size:           8
        .value_kind:     hidden_global_offset_y
      - .offset:         200
        .size:           8
        .value_kind:     hidden_global_offset_z
      - .offset:         208
        .size:           2
        .value_kind:     hidden_grid_dims
    .group_segment_fixed_size: 17472
    .kernarg_segment_align: 8
    .kernarg_segment_size: 400
    .language:       OpenCL C
    .language_version:
      - 2
      - 0
    .max_flat_workgroup_size: 256
    .name:           _Z39paged_attention_ll4mi_QKV_mfma16_kernelIDF16_hLN4vllm18Fp8KVCacheDataTypeE1EDF16_Li32ELi128ELi256ELb1ELi9EL8MFMAType0EEvPKT_PKT0_S8_ifPKiSA_SA_iPKfiiiPfSD_PS3_PT2_iSC_SC_
    .private_segment_fixed_size: 0
    .sgpr_count:     39
    .sgpr_spill_count: 0
    .symbol:         _Z39paged_attention_ll4mi_QKV_mfma16_kernelIDF16_hLN4vllm18Fp8KVCacheDataTypeE1EDF16_Li32ELi128ELi256ELb1ELi9EL8MFMAType0EEvPKT_PKT0_S8_ifPKiSA_SA_iPKfiiiPfSD_PS3_PT2_iSC_SC_.kd
    .uniform_work_group_size: 1
    .uses_dynamic_stack: false
    .vgpr_count:     150
    .vgpr_spill_count: 0
    .wavefront_size: 32
    .workgroup_processor_mode: 1
  - .args:
      - .actual_access:  read_only
        .address_space:  global
        .offset:         0
        .size:           8
        .value_kind:     global_buffer
      - .actual_access:  read_only
        .address_space:  global
        .offset:         8
        .size:           8
        .value_kind:     global_buffer
      - .actual_access:  read_only
        .address_space:  global
        .offset:         16
        .size:           8
        .value_kind:     global_buffer
      - .offset:         24
        .size:           4
        .value_kind:     by_value
      - .offset:         28
        .size:           4
        .value_kind:     by_value
      - .actual_access:  read_only
        .address_space:  global
        .offset:         32
        .size:           8
        .value_kind:     global_buffer
      - .actual_access:  read_only
        .address_space:  global
        .offset:         40
        .size:           8
        .value_kind:     global_buffer
      - .actual_access:  read_only
        .address_space:  global
        .offset:         48
        .size:           8
        .value_kind:     global_buffer
      - .offset:         56
        .size:           4
        .value_kind:     by_value
      - .actual_access:  read_only
        .address_space:  global
        .offset:         64
        .size:           8
        .value_kind:     global_buffer
      - .offset:         72
        .size:           4
        .value_kind:     by_value
      - .offset:         76
        .size:           4
        .value_kind:     by_value
      - .offset:         80
        .size:           4
        .value_kind:     by_value
      - .actual_access:  write_only
        .address_space:  global
        .offset:         88
        .size:           8
        .value_kind:     global_buffer
      - .actual_access:  write_only
        .address_space:  global
        .offset:         96
        .size:           8
        .value_kind:     global_buffer
      - .actual_access:  write_only
        .address_space:  global
        .offset:         104
        .size:           8
        .value_kind:     global_buffer
      - .actual_access:  read_only
        .address_space:  global
        .offset:         112
        .size:           8
        .value_kind:     global_buffer
      - .offset:         120
        .size:           4
        .value_kind:     by_value
      - .address_space:  global
        .offset:         128
        .size:           8
        .value_kind:     global_buffer
      - .address_space:  global
        .offset:         136
        .size:           8
        .value_kind:     global_buffer
      - .offset:         144
        .size:           4
        .value_kind:     hidden_block_count_x
      - .offset:         148
        .size:           4
        .value_kind:     hidden_block_count_y
      - .offset:         152
        .size:           4
        .value_kind:     hidden_block_count_z
      - .offset:         156
        .size:           2
        .value_kind:     hidden_group_size_x
      - .offset:         158
        .size:           2
        .value_kind:     hidden_group_size_y
      - .offset:         160
        .size:           2
        .value_kind:     hidden_group_size_z
      - .offset:         162
        .size:           2
        .value_kind:     hidden_remainder_x
      - .offset:         164
        .size:           2
        .value_kind:     hidden_remainder_y
      - .offset:         166
        .size:           2
        .value_kind:     hidden_remainder_z
      - .offset:         184
        .size:           8
        .value_kind:     hidden_global_offset_x
      - .offset:         192
        .size:           8
        .value_kind:     hidden_global_offset_y
      - .offset:         200
        .size:           8
        .value_kind:     hidden_global_offset_z
      - .offset:         208
        .size:           2
        .value_kind:     hidden_grid_dims
    .group_segment_fixed_size: 17472
    .kernarg_segment_align: 8
    .kernarg_segment_size: 400
    .language:       OpenCL C
    .language_version:
      - 2
      - 0
    .max_flat_workgroup_size: 256
    .name:           _Z39paged_attention_ll4mi_QKV_mfma16_kernelIDF16_hLN4vllm18Fp8KVCacheDataTypeE1EDF16_Li32ELi128ELi256ELb1ELi10EL8MFMAType0EEvPKT_PKT0_S8_ifPKiSA_SA_iPKfiiiPfSD_PS3_PT2_iSC_SC_
    .private_segment_fixed_size: 0
    .sgpr_count:     39
    .sgpr_spill_count: 0
    .symbol:         _Z39paged_attention_ll4mi_QKV_mfma16_kernelIDF16_hLN4vllm18Fp8KVCacheDataTypeE1EDF16_Li32ELi128ELi256ELb1ELi10EL8MFMAType0EEvPKT_PKT0_S8_ifPKiSA_SA_iPKfiiiPfSD_PS3_PT2_iSC_SC_.kd
    .uniform_work_group_size: 1
    .uses_dynamic_stack: false
    .vgpr_count:     150
    .vgpr_spill_count: 0
    .wavefront_size: 32
    .workgroup_processor_mode: 1
  - .args:
      - .actual_access:  read_only
        .address_space:  global
        .offset:         0
        .size:           8
        .value_kind:     global_buffer
      - .actual_access:  read_only
        .address_space:  global
        .offset:         8
        .size:           8
        .value_kind:     global_buffer
      - .actual_access:  read_only
        .address_space:  global
        .offset:         16
        .size:           8
        .value_kind:     global_buffer
      - .offset:         24
        .size:           4
        .value_kind:     by_value
      - .offset:         28
        .size:           4
        .value_kind:     by_value
      - .actual_access:  read_only
        .address_space:  global
        .offset:         32
        .size:           8
        .value_kind:     global_buffer
      - .actual_access:  read_only
        .address_space:  global
        .offset:         40
        .size:           8
        .value_kind:     global_buffer
      - .actual_access:  read_only
        .address_space:  global
        .offset:         48
        .size:           8
        .value_kind:     global_buffer
      - .offset:         56
        .size:           4
        .value_kind:     by_value
      - .actual_access:  read_only
        .address_space:  global
        .offset:         64
        .size:           8
        .value_kind:     global_buffer
      - .offset:         72
        .size:           4
        .value_kind:     by_value
      - .offset:         76
        .size:           4
        .value_kind:     by_value
      - .offset:         80
        .size:           4
        .value_kind:     by_value
      - .actual_access:  write_only
        .address_space:  global
        .offset:         88
        .size:           8
        .value_kind:     global_buffer
      - .actual_access:  write_only
        .address_space:  global
        .offset:         96
        .size:           8
        .value_kind:     global_buffer
      - .actual_access:  write_only
        .address_space:  global
        .offset:         104
        .size:           8
        .value_kind:     global_buffer
      - .actual_access:  read_only
        .address_space:  global
        .offset:         112
        .size:           8
        .value_kind:     global_buffer
      - .offset:         120
        .size:           4
        .value_kind:     by_value
      - .address_space:  global
        .offset:         128
        .size:           8
        .value_kind:     global_buffer
      - .address_space:  global
        .offset:         136
        .size:           8
        .value_kind:     global_buffer
      - .offset:         144
        .size:           4
        .value_kind:     hidden_block_count_x
      - .offset:         148
        .size:           4
        .value_kind:     hidden_block_count_y
      - .offset:         152
        .size:           4
        .value_kind:     hidden_block_count_z
      - .offset:         156
        .size:           2
        .value_kind:     hidden_group_size_x
      - .offset:         158
        .size:           2
        .value_kind:     hidden_group_size_y
      - .offset:         160
        .size:           2
        .value_kind:     hidden_group_size_z
      - .offset:         162
        .size:           2
        .value_kind:     hidden_remainder_x
      - .offset:         164
        .size:           2
        .value_kind:     hidden_remainder_y
      - .offset:         166
        .size:           2
        .value_kind:     hidden_remainder_z
      - .offset:         184
        .size:           8
        .value_kind:     hidden_global_offset_x
      - .offset:         192
        .size:           8
        .value_kind:     hidden_global_offset_y
      - .offset:         200
        .size:           8
        .value_kind:     hidden_global_offset_z
      - .offset:         208
        .size:           2
        .value_kind:     hidden_grid_dims
    .group_segment_fixed_size: 17472
    .kernarg_segment_align: 8
    .kernarg_segment_size: 400
    .language:       OpenCL C
    .language_version:
      - 2
      - 0
    .max_flat_workgroup_size: 256
    .name:           _Z39paged_attention_ll4mi_QKV_mfma16_kernelIDF16_hLN4vllm18Fp8KVCacheDataTypeE1EDF16_Li32ELi128ELi256ELb1ELi11EL8MFMAType0EEvPKT_PKT0_S8_ifPKiSA_SA_iPKfiiiPfSD_PS3_PT2_iSC_SC_
    .private_segment_fixed_size: 0
    .sgpr_count:     39
    .sgpr_spill_count: 0
    .symbol:         _Z39paged_attention_ll4mi_QKV_mfma16_kernelIDF16_hLN4vllm18Fp8KVCacheDataTypeE1EDF16_Li32ELi128ELi256ELb1ELi11EL8MFMAType0EEvPKT_PKT0_S8_ifPKiSA_SA_iPKfiiiPfSD_PS3_PT2_iSC_SC_.kd
    .uniform_work_group_size: 1
    .uses_dynamic_stack: false
    .vgpr_count:     150
    .vgpr_spill_count: 0
    .wavefront_size: 32
    .workgroup_processor_mode: 1
  - .args:
      - .actual_access:  read_only
        .address_space:  global
        .offset:         0
        .size:           8
        .value_kind:     global_buffer
      - .actual_access:  read_only
        .address_space:  global
        .offset:         8
        .size:           8
        .value_kind:     global_buffer
      - .actual_access:  read_only
        .address_space:  global
        .offset:         16
        .size:           8
        .value_kind:     global_buffer
      - .offset:         24
        .size:           4
        .value_kind:     by_value
      - .offset:         28
        .size:           4
        .value_kind:     by_value
      - .actual_access:  read_only
        .address_space:  global
        .offset:         32
        .size:           8
        .value_kind:     global_buffer
      - .actual_access:  read_only
        .address_space:  global
        .offset:         40
        .size:           8
        .value_kind:     global_buffer
      - .actual_access:  read_only
        .address_space:  global
        .offset:         48
        .size:           8
        .value_kind:     global_buffer
      - .offset:         56
        .size:           4
        .value_kind:     by_value
      - .actual_access:  read_only
        .address_space:  global
        .offset:         64
        .size:           8
        .value_kind:     global_buffer
      - .offset:         72
        .size:           4
        .value_kind:     by_value
      - .offset:         76
        .size:           4
        .value_kind:     by_value
      - .offset:         80
        .size:           4
        .value_kind:     by_value
      - .actual_access:  write_only
        .address_space:  global
        .offset:         88
        .size:           8
        .value_kind:     global_buffer
      - .actual_access:  write_only
        .address_space:  global
        .offset:         96
        .size:           8
        .value_kind:     global_buffer
      - .actual_access:  write_only
        .address_space:  global
        .offset:         104
        .size:           8
        .value_kind:     global_buffer
      - .actual_access:  read_only
        .address_space:  global
        .offset:         112
        .size:           8
        .value_kind:     global_buffer
      - .offset:         120
        .size:           4
        .value_kind:     by_value
      - .address_space:  global
        .offset:         128
        .size:           8
        .value_kind:     global_buffer
      - .address_space:  global
        .offset:         136
        .size:           8
        .value_kind:     global_buffer
      - .offset:         144
        .size:           4
        .value_kind:     hidden_block_count_x
      - .offset:         148
        .size:           4
        .value_kind:     hidden_block_count_y
      - .offset:         152
        .size:           4
        .value_kind:     hidden_block_count_z
      - .offset:         156
        .size:           2
        .value_kind:     hidden_group_size_x
      - .offset:         158
        .size:           2
        .value_kind:     hidden_group_size_y
      - .offset:         160
        .size:           2
        .value_kind:     hidden_group_size_z
      - .offset:         162
        .size:           2
        .value_kind:     hidden_remainder_x
      - .offset:         164
        .size:           2
        .value_kind:     hidden_remainder_y
      - .offset:         166
        .size:           2
        .value_kind:     hidden_remainder_z
      - .offset:         184
        .size:           8
        .value_kind:     hidden_global_offset_x
      - .offset:         192
        .size:           8
        .value_kind:     hidden_global_offset_y
      - .offset:         200
        .size:           8
        .value_kind:     hidden_global_offset_z
      - .offset:         208
        .size:           2
        .value_kind:     hidden_grid_dims
    .group_segment_fixed_size: 17472
    .kernarg_segment_align: 8
    .kernarg_segment_size: 400
    .language:       OpenCL C
    .language_version:
      - 2
      - 0
    .max_flat_workgroup_size: 256
    .name:           _Z39paged_attention_ll4mi_QKV_mfma16_kernelIDF16_hLN4vllm18Fp8KVCacheDataTypeE1EDF16_Li32ELi128ELi256ELb1ELi12EL8MFMAType0EEvPKT_PKT0_S8_ifPKiSA_SA_iPKfiiiPfSD_PS3_PT2_iSC_SC_
    .private_segment_fixed_size: 0
    .sgpr_count:     39
    .sgpr_spill_count: 0
    .symbol:         _Z39paged_attention_ll4mi_QKV_mfma16_kernelIDF16_hLN4vllm18Fp8KVCacheDataTypeE1EDF16_Li32ELi128ELi256ELb1ELi12EL8MFMAType0EEvPKT_PKT0_S8_ifPKiSA_SA_iPKfiiiPfSD_PS3_PT2_iSC_SC_.kd
    .uniform_work_group_size: 1
    .uses_dynamic_stack: false
    .vgpr_count:     150
    .vgpr_spill_count: 0
    .wavefront_size: 32
    .workgroup_processor_mode: 1
  - .args:
      - .actual_access:  read_only
        .address_space:  global
        .offset:         0
        .size:           8
        .value_kind:     global_buffer
      - .actual_access:  read_only
        .address_space:  global
        .offset:         8
        .size:           8
        .value_kind:     global_buffer
      - .actual_access:  read_only
        .address_space:  global
        .offset:         16
        .size:           8
        .value_kind:     global_buffer
      - .offset:         24
        .size:           4
        .value_kind:     by_value
      - .offset:         28
        .size:           4
        .value_kind:     by_value
      - .actual_access:  read_only
        .address_space:  global
        .offset:         32
        .size:           8
        .value_kind:     global_buffer
      - .actual_access:  read_only
        .address_space:  global
        .offset:         40
        .size:           8
        .value_kind:     global_buffer
      - .actual_access:  read_only
        .address_space:  global
        .offset:         48
        .size:           8
        .value_kind:     global_buffer
      - .offset:         56
        .size:           4
        .value_kind:     by_value
      - .actual_access:  read_only
        .address_space:  global
        .offset:         64
        .size:           8
        .value_kind:     global_buffer
      - .offset:         72
        .size:           4
        .value_kind:     by_value
      - .offset:         76
        .size:           4
        .value_kind:     by_value
      - .offset:         80
        .size:           4
        .value_kind:     by_value
      - .actual_access:  write_only
        .address_space:  global
        .offset:         88
        .size:           8
        .value_kind:     global_buffer
      - .actual_access:  write_only
        .address_space:  global
        .offset:         96
        .size:           8
        .value_kind:     global_buffer
      - .actual_access:  write_only
        .address_space:  global
        .offset:         104
        .size:           8
        .value_kind:     global_buffer
      - .actual_access:  read_only
        .address_space:  global
        .offset:         112
        .size:           8
        .value_kind:     global_buffer
      - .offset:         120
        .size:           4
        .value_kind:     by_value
      - .address_space:  global
        .offset:         128
        .size:           8
        .value_kind:     global_buffer
      - .address_space:  global
        .offset:         136
        .size:           8
        .value_kind:     global_buffer
      - .offset:         144
        .size:           4
        .value_kind:     hidden_block_count_x
      - .offset:         148
        .size:           4
        .value_kind:     hidden_block_count_y
      - .offset:         152
        .size:           4
        .value_kind:     hidden_block_count_z
      - .offset:         156
        .size:           2
        .value_kind:     hidden_group_size_x
      - .offset:         158
        .size:           2
        .value_kind:     hidden_group_size_y
      - .offset:         160
        .size:           2
        .value_kind:     hidden_group_size_z
      - .offset:         162
        .size:           2
        .value_kind:     hidden_remainder_x
      - .offset:         164
        .size:           2
        .value_kind:     hidden_remainder_y
      - .offset:         166
        .size:           2
        .value_kind:     hidden_remainder_z
      - .offset:         184
        .size:           8
        .value_kind:     hidden_global_offset_x
      - .offset:         192
        .size:           8
        .value_kind:     hidden_global_offset_y
      - .offset:         200
        .size:           8
        .value_kind:     hidden_global_offset_z
      - .offset:         208
        .size:           2
        .value_kind:     hidden_grid_dims
    .group_segment_fixed_size: 17472
    .kernarg_segment_align: 8
    .kernarg_segment_size: 400
    .language:       OpenCL C
    .language_version:
      - 2
      - 0
    .max_flat_workgroup_size: 256
    .name:           _Z39paged_attention_ll4mi_QKV_mfma16_kernelIDF16_hLN4vllm18Fp8KVCacheDataTypeE1EDF16_Li32ELi128ELi256ELb1ELi13EL8MFMAType0EEvPKT_PKT0_S8_ifPKiSA_SA_iPKfiiiPfSD_PS3_PT2_iSC_SC_
    .private_segment_fixed_size: 0
    .sgpr_count:     39
    .sgpr_spill_count: 0
    .symbol:         _Z39paged_attention_ll4mi_QKV_mfma16_kernelIDF16_hLN4vllm18Fp8KVCacheDataTypeE1EDF16_Li32ELi128ELi256ELb1ELi13EL8MFMAType0EEvPKT_PKT0_S8_ifPKiSA_SA_iPKfiiiPfSD_PS3_PT2_iSC_SC_.kd
    .uniform_work_group_size: 1
    .uses_dynamic_stack: false
    .vgpr_count:     150
    .vgpr_spill_count: 0
    .wavefront_size: 32
    .workgroup_processor_mode: 1
  - .args:
      - .actual_access:  read_only
        .address_space:  global
        .offset:         0
        .size:           8
        .value_kind:     global_buffer
      - .actual_access:  read_only
        .address_space:  global
        .offset:         8
        .size:           8
        .value_kind:     global_buffer
      - .actual_access:  read_only
        .address_space:  global
        .offset:         16
        .size:           8
        .value_kind:     global_buffer
      - .offset:         24
        .size:           4
        .value_kind:     by_value
      - .offset:         28
        .size:           4
        .value_kind:     by_value
      - .actual_access:  read_only
        .address_space:  global
        .offset:         32
        .size:           8
        .value_kind:     global_buffer
      - .actual_access:  read_only
        .address_space:  global
        .offset:         40
        .size:           8
        .value_kind:     global_buffer
      - .actual_access:  read_only
        .address_space:  global
        .offset:         48
        .size:           8
        .value_kind:     global_buffer
      - .offset:         56
        .size:           4
        .value_kind:     by_value
      - .actual_access:  read_only
        .address_space:  global
        .offset:         64
        .size:           8
        .value_kind:     global_buffer
      - .offset:         72
        .size:           4
        .value_kind:     by_value
      - .offset:         76
        .size:           4
        .value_kind:     by_value
      - .offset:         80
        .size:           4
        .value_kind:     by_value
      - .actual_access:  write_only
        .address_space:  global
        .offset:         88
        .size:           8
        .value_kind:     global_buffer
      - .actual_access:  write_only
        .address_space:  global
        .offset:         96
        .size:           8
        .value_kind:     global_buffer
      - .actual_access:  write_only
        .address_space:  global
        .offset:         104
        .size:           8
        .value_kind:     global_buffer
      - .actual_access:  read_only
        .address_space:  global
        .offset:         112
        .size:           8
        .value_kind:     global_buffer
      - .offset:         120
        .size:           4
        .value_kind:     by_value
      - .address_space:  global
        .offset:         128
        .size:           8
        .value_kind:     global_buffer
      - .address_space:  global
        .offset:         136
        .size:           8
        .value_kind:     global_buffer
      - .offset:         144
        .size:           4
        .value_kind:     hidden_block_count_x
      - .offset:         148
        .size:           4
        .value_kind:     hidden_block_count_y
      - .offset:         152
        .size:           4
        .value_kind:     hidden_block_count_z
      - .offset:         156
        .size:           2
        .value_kind:     hidden_group_size_x
      - .offset:         158
        .size:           2
        .value_kind:     hidden_group_size_y
      - .offset:         160
        .size:           2
        .value_kind:     hidden_group_size_z
      - .offset:         162
        .size:           2
        .value_kind:     hidden_remainder_x
      - .offset:         164
        .size:           2
        .value_kind:     hidden_remainder_y
      - .offset:         166
        .size:           2
        .value_kind:     hidden_remainder_z
      - .offset:         184
        .size:           8
        .value_kind:     hidden_global_offset_x
      - .offset:         192
        .size:           8
        .value_kind:     hidden_global_offset_y
      - .offset:         200
        .size:           8
        .value_kind:     hidden_global_offset_z
      - .offset:         208
        .size:           2
        .value_kind:     hidden_grid_dims
    .group_segment_fixed_size: 17472
    .kernarg_segment_align: 8
    .kernarg_segment_size: 400
    .language:       OpenCL C
    .language_version:
      - 2
      - 0
    .max_flat_workgroup_size: 256
    .name:           _Z39paged_attention_ll4mi_QKV_mfma16_kernelIDF16_hLN4vllm18Fp8KVCacheDataTypeE1EDF16_Li32ELi128ELi256ELb1ELi14EL8MFMAType0EEvPKT_PKT0_S8_ifPKiSA_SA_iPKfiiiPfSD_PS3_PT2_iSC_SC_
    .private_segment_fixed_size: 0
    .sgpr_count:     39
    .sgpr_spill_count: 0
    .symbol:         _Z39paged_attention_ll4mi_QKV_mfma16_kernelIDF16_hLN4vllm18Fp8KVCacheDataTypeE1EDF16_Li32ELi128ELi256ELb1ELi14EL8MFMAType0EEvPKT_PKT0_S8_ifPKiSA_SA_iPKfiiiPfSD_PS3_PT2_iSC_SC_.kd
    .uniform_work_group_size: 1
    .uses_dynamic_stack: false
    .vgpr_count:     150
    .vgpr_spill_count: 0
    .wavefront_size: 32
    .workgroup_processor_mode: 1
  - .args:
      - .actual_access:  read_only
        .address_space:  global
        .offset:         0
        .size:           8
        .value_kind:     global_buffer
      - .actual_access:  read_only
        .address_space:  global
        .offset:         8
        .size:           8
        .value_kind:     global_buffer
      - .actual_access:  read_only
        .address_space:  global
        .offset:         16
        .size:           8
        .value_kind:     global_buffer
      - .offset:         24
        .size:           4
        .value_kind:     by_value
      - .offset:         28
        .size:           4
        .value_kind:     by_value
      - .actual_access:  read_only
        .address_space:  global
        .offset:         32
        .size:           8
        .value_kind:     global_buffer
      - .actual_access:  read_only
        .address_space:  global
        .offset:         40
        .size:           8
        .value_kind:     global_buffer
      - .actual_access:  read_only
        .address_space:  global
        .offset:         48
        .size:           8
        .value_kind:     global_buffer
      - .offset:         56
        .size:           4
        .value_kind:     by_value
      - .actual_access:  read_only
        .address_space:  global
        .offset:         64
        .size:           8
        .value_kind:     global_buffer
      - .offset:         72
        .size:           4
        .value_kind:     by_value
      - .offset:         76
        .size:           4
        .value_kind:     by_value
      - .offset:         80
        .size:           4
        .value_kind:     by_value
      - .actual_access:  write_only
        .address_space:  global
        .offset:         88
        .size:           8
        .value_kind:     global_buffer
      - .actual_access:  write_only
        .address_space:  global
        .offset:         96
        .size:           8
        .value_kind:     global_buffer
      - .actual_access:  write_only
        .address_space:  global
        .offset:         104
        .size:           8
        .value_kind:     global_buffer
      - .actual_access:  read_only
        .address_space:  global
        .offset:         112
        .size:           8
        .value_kind:     global_buffer
      - .offset:         120
        .size:           4
        .value_kind:     by_value
      - .address_space:  global
        .offset:         128
        .size:           8
        .value_kind:     global_buffer
      - .address_space:  global
        .offset:         136
        .size:           8
        .value_kind:     global_buffer
      - .offset:         144
        .size:           4
        .value_kind:     hidden_block_count_x
      - .offset:         148
        .size:           4
        .value_kind:     hidden_block_count_y
      - .offset:         152
        .size:           4
        .value_kind:     hidden_block_count_z
      - .offset:         156
        .size:           2
        .value_kind:     hidden_group_size_x
      - .offset:         158
        .size:           2
        .value_kind:     hidden_group_size_y
      - .offset:         160
        .size:           2
        .value_kind:     hidden_group_size_z
      - .offset:         162
        .size:           2
        .value_kind:     hidden_remainder_x
      - .offset:         164
        .size:           2
        .value_kind:     hidden_remainder_y
      - .offset:         166
        .size:           2
        .value_kind:     hidden_remainder_z
      - .offset:         184
        .size:           8
        .value_kind:     hidden_global_offset_x
      - .offset:         192
        .size:           8
        .value_kind:     hidden_global_offset_y
      - .offset:         200
        .size:           8
        .value_kind:     hidden_global_offset_z
      - .offset:         208
        .size:           2
        .value_kind:     hidden_grid_dims
    .group_segment_fixed_size: 17472
    .kernarg_segment_align: 8
    .kernarg_segment_size: 400
    .language:       OpenCL C
    .language_version:
      - 2
      - 0
    .max_flat_workgroup_size: 256
    .name:           _Z39paged_attention_ll4mi_QKV_mfma16_kernelIDF16_hLN4vllm18Fp8KVCacheDataTypeE1EDF16_Li32ELi128ELi256ELb1ELi15EL8MFMAType0EEvPKT_PKT0_S8_ifPKiSA_SA_iPKfiiiPfSD_PS3_PT2_iSC_SC_
    .private_segment_fixed_size: 0
    .sgpr_count:     39
    .sgpr_spill_count: 0
    .symbol:         _Z39paged_attention_ll4mi_QKV_mfma16_kernelIDF16_hLN4vllm18Fp8KVCacheDataTypeE1EDF16_Li32ELi128ELi256ELb1ELi15EL8MFMAType0EEvPKT_PKT0_S8_ifPKiSA_SA_iPKfiiiPfSD_PS3_PT2_iSC_SC_.kd
    .uniform_work_group_size: 1
    .uses_dynamic_stack: false
    .vgpr_count:     150
    .vgpr_spill_count: 0
    .wavefront_size: 32
    .workgroup_processor_mode: 1
  - .args:
      - .actual_access:  read_only
        .address_space:  global
        .offset:         0
        .size:           8
        .value_kind:     global_buffer
      - .actual_access:  read_only
        .address_space:  global
        .offset:         8
        .size:           8
        .value_kind:     global_buffer
      - .actual_access:  read_only
        .address_space:  global
        .offset:         16
        .size:           8
        .value_kind:     global_buffer
      - .offset:         24
        .size:           4
        .value_kind:     by_value
      - .offset:         28
        .size:           4
        .value_kind:     by_value
      - .actual_access:  read_only
        .address_space:  global
        .offset:         32
        .size:           8
        .value_kind:     global_buffer
      - .actual_access:  read_only
        .address_space:  global
        .offset:         40
        .size:           8
        .value_kind:     global_buffer
      - .actual_access:  read_only
        .address_space:  global
        .offset:         48
        .size:           8
        .value_kind:     global_buffer
      - .offset:         56
        .size:           4
        .value_kind:     by_value
      - .actual_access:  read_only
        .address_space:  global
        .offset:         64
        .size:           8
        .value_kind:     global_buffer
      - .offset:         72
        .size:           4
        .value_kind:     by_value
      - .offset:         76
        .size:           4
        .value_kind:     by_value
      - .offset:         80
        .size:           4
        .value_kind:     by_value
      - .actual_access:  write_only
        .address_space:  global
        .offset:         88
        .size:           8
        .value_kind:     global_buffer
      - .actual_access:  write_only
        .address_space:  global
        .offset:         96
        .size:           8
        .value_kind:     global_buffer
      - .actual_access:  write_only
        .address_space:  global
        .offset:         104
        .size:           8
        .value_kind:     global_buffer
      - .actual_access:  read_only
        .address_space:  global
        .offset:         112
        .size:           8
        .value_kind:     global_buffer
      - .offset:         120
        .size:           4
        .value_kind:     by_value
      - .address_space:  global
        .offset:         128
        .size:           8
        .value_kind:     global_buffer
      - .address_space:  global
        .offset:         136
        .size:           8
        .value_kind:     global_buffer
      - .offset:         144
        .size:           4
        .value_kind:     hidden_block_count_x
      - .offset:         148
        .size:           4
        .value_kind:     hidden_block_count_y
      - .offset:         152
        .size:           4
        .value_kind:     hidden_block_count_z
      - .offset:         156
        .size:           2
        .value_kind:     hidden_group_size_x
      - .offset:         158
        .size:           2
        .value_kind:     hidden_group_size_y
      - .offset:         160
        .size:           2
        .value_kind:     hidden_group_size_z
      - .offset:         162
        .size:           2
        .value_kind:     hidden_remainder_x
      - .offset:         164
        .size:           2
        .value_kind:     hidden_remainder_y
      - .offset:         166
        .size:           2
        .value_kind:     hidden_remainder_z
      - .offset:         184
        .size:           8
        .value_kind:     hidden_global_offset_x
      - .offset:         192
        .size:           8
        .value_kind:     hidden_global_offset_y
      - .offset:         200
        .size:           8
        .value_kind:     hidden_global_offset_z
      - .offset:         208
        .size:           2
        .value_kind:     hidden_grid_dims
    .group_segment_fixed_size: 17472
    .kernarg_segment_align: 8
    .kernarg_segment_size: 400
    .language:       OpenCL C
    .language_version:
      - 2
      - 0
    .max_flat_workgroup_size: 256
    .name:           _Z39paged_attention_ll4mi_QKV_mfma16_kernelIDF16_hLN4vllm18Fp8KVCacheDataTypeE1EDF16_Li32ELi128ELi256ELb1ELi16EL8MFMAType0EEvPKT_PKT0_S8_ifPKiSA_SA_iPKfiiiPfSD_PS3_PT2_iSC_SC_
    .private_segment_fixed_size: 0
    .sgpr_count:     39
    .sgpr_spill_count: 0
    .symbol:         _Z39paged_attention_ll4mi_QKV_mfma16_kernelIDF16_hLN4vllm18Fp8KVCacheDataTypeE1EDF16_Li32ELi128ELi256ELb1ELi16EL8MFMAType0EEvPKT_PKT0_S8_ifPKiSA_SA_iPKfiiiPfSD_PS3_PT2_iSC_SC_.kd
    .uniform_work_group_size: 1
    .uses_dynamic_stack: false
    .vgpr_count:     140
    .vgpr_spill_count: 0
    .wavefront_size: 32
    .workgroup_processor_mode: 1
  - .args:
      - .actual_access:  read_only
        .address_space:  global
        .offset:         0
        .size:           8
        .value_kind:     global_buffer
      - .actual_access:  read_only
        .address_space:  global
        .offset:         8
        .size:           8
        .value_kind:     global_buffer
      - .actual_access:  read_only
        .address_space:  global
        .offset:         16
        .size:           8
        .value_kind:     global_buffer
      - .offset:         24
        .size:           4
        .value_kind:     by_value
      - .offset:         28
        .size:           4
        .value_kind:     by_value
      - .actual_access:  read_only
        .address_space:  global
        .offset:         32
        .size:           8
        .value_kind:     global_buffer
      - .actual_access:  read_only
        .address_space:  global
        .offset:         40
        .size:           8
        .value_kind:     global_buffer
      - .actual_access:  read_only
        .address_space:  global
        .offset:         48
        .size:           8
        .value_kind:     global_buffer
      - .offset:         56
        .size:           4
        .value_kind:     by_value
      - .actual_access:  read_only
        .address_space:  global
        .offset:         64
        .size:           8
        .value_kind:     global_buffer
      - .offset:         72
        .size:           4
        .value_kind:     by_value
      - .offset:         76
        .size:           4
        .value_kind:     by_value
      - .offset:         80
        .size:           4
        .value_kind:     by_value
      - .actual_access:  write_only
        .address_space:  global
        .offset:         88
        .size:           8
        .value_kind:     global_buffer
      - .actual_access:  write_only
        .address_space:  global
        .offset:         96
        .size:           8
        .value_kind:     global_buffer
      - .actual_access:  write_only
        .address_space:  global
        .offset:         104
        .size:           8
        .value_kind:     global_buffer
      - .actual_access:  read_only
        .address_space:  global
        .offset:         112
        .size:           8
        .value_kind:     global_buffer
      - .offset:         120
        .size:           4
        .value_kind:     by_value
      - .address_space:  global
        .offset:         128
        .size:           8
        .value_kind:     global_buffer
      - .address_space:  global
        .offset:         136
        .size:           8
        .value_kind:     global_buffer
      - .offset:         144
        .size:           4
        .value_kind:     hidden_block_count_x
      - .offset:         148
        .size:           4
        .value_kind:     hidden_block_count_y
      - .offset:         152
        .size:           4
        .value_kind:     hidden_block_count_z
      - .offset:         156
        .size:           2
        .value_kind:     hidden_group_size_x
      - .offset:         158
        .size:           2
        .value_kind:     hidden_group_size_y
      - .offset:         160
        .size:           2
        .value_kind:     hidden_group_size_z
      - .offset:         162
        .size:           2
        .value_kind:     hidden_remainder_x
      - .offset:         164
        .size:           2
        .value_kind:     hidden_remainder_y
      - .offset:         166
        .size:           2
        .value_kind:     hidden_remainder_z
      - .offset:         184
        .size:           8
        .value_kind:     hidden_global_offset_x
      - .offset:         192
        .size:           8
        .value_kind:     hidden_global_offset_y
      - .offset:         200
        .size:           8
        .value_kind:     hidden_global_offset_z
      - .offset:         208
        .size:           2
        .value_kind:     hidden_grid_dims
    .group_segment_fixed_size: 17472
    .kernarg_segment_align: 8
    .kernarg_segment_size: 400
    .language:       OpenCL C
    .language_version:
      - 2
      - 0
    .max_flat_workgroup_size: 256
    .name:           _Z39paged_attention_ll4mi_QKV_mfma16_kernelIDF16_hLN4vllm18Fp8KVCacheDataTypeE1EDF16_Li32ELi128ELi256ELb1ELi1EL8MFMAType0EEvPKT_PKT0_S8_ifPKiSA_SA_iPKfiiiPfSD_PS3_PT2_iSC_SC_
    .private_segment_fixed_size: 0
    .sgpr_count:     70
    .sgpr_spill_count: 0
    .symbol:         _Z39paged_attention_ll4mi_QKV_mfma16_kernelIDF16_hLN4vllm18Fp8KVCacheDataTypeE1EDF16_Li32ELi128ELi256ELb1ELi1EL8MFMAType0EEvPKT_PKT0_S8_ifPKiSA_SA_iPKfiiiPfSD_PS3_PT2_iSC_SC_.kd
    .uniform_work_group_size: 1
    .uses_dynamic_stack: false
    .vgpr_count:     134
    .vgpr_spill_count: 0
    .wavefront_size: 32
    .workgroup_processor_mode: 1
  - .args:
      - .actual_access:  read_only
        .address_space:  global
        .offset:         0
        .size:           8
        .value_kind:     global_buffer
      - .actual_access:  read_only
        .address_space:  global
        .offset:         8
        .size:           8
        .value_kind:     global_buffer
      - .actual_access:  read_only
        .address_space:  global
        .offset:         16
        .size:           8
        .value_kind:     global_buffer
      - .offset:         24
        .size:           4
        .value_kind:     by_value
      - .offset:         28
        .size:           4
        .value_kind:     by_value
      - .actual_access:  read_only
        .address_space:  global
        .offset:         32
        .size:           8
        .value_kind:     global_buffer
      - .actual_access:  read_only
        .address_space:  global
        .offset:         40
        .size:           8
        .value_kind:     global_buffer
      - .actual_access:  read_only
        .address_space:  global
        .offset:         48
        .size:           8
        .value_kind:     global_buffer
      - .offset:         56
        .size:           4
        .value_kind:     by_value
      - .actual_access:  read_only
        .address_space:  global
        .offset:         64
        .size:           8
        .value_kind:     global_buffer
      - .offset:         72
        .size:           4
        .value_kind:     by_value
      - .offset:         76
        .size:           4
        .value_kind:     by_value
      - .offset:         80
        .size:           4
        .value_kind:     by_value
      - .actual_access:  write_only
        .address_space:  global
        .offset:         88
        .size:           8
        .value_kind:     global_buffer
      - .actual_access:  write_only
        .address_space:  global
        .offset:         96
        .size:           8
        .value_kind:     global_buffer
      - .actual_access:  write_only
        .address_space:  global
        .offset:         104
        .size:           8
        .value_kind:     global_buffer
      - .actual_access:  read_only
        .address_space:  global
        .offset:         112
        .size:           8
        .value_kind:     global_buffer
      - .offset:         120
        .size:           4
        .value_kind:     by_value
      - .address_space:  global
        .offset:         128
        .size:           8
        .value_kind:     global_buffer
      - .address_space:  global
        .offset:         136
        .size:           8
        .value_kind:     global_buffer
      - .offset:         144
        .size:           4
        .value_kind:     hidden_block_count_x
      - .offset:         148
        .size:           4
        .value_kind:     hidden_block_count_y
      - .offset:         152
        .size:           4
        .value_kind:     hidden_block_count_z
      - .offset:         156
        .size:           2
        .value_kind:     hidden_group_size_x
      - .offset:         158
        .size:           2
        .value_kind:     hidden_group_size_y
      - .offset:         160
        .size:           2
        .value_kind:     hidden_group_size_z
      - .offset:         162
        .size:           2
        .value_kind:     hidden_remainder_x
      - .offset:         164
        .size:           2
        .value_kind:     hidden_remainder_y
      - .offset:         166
        .size:           2
        .value_kind:     hidden_remainder_z
      - .offset:         184
        .size:           8
        .value_kind:     hidden_global_offset_x
      - .offset:         192
        .size:           8
        .value_kind:     hidden_global_offset_y
      - .offset:         200
        .size:           8
        .value_kind:     hidden_global_offset_z
      - .offset:         208
        .size:           2
        .value_kind:     hidden_grid_dims
    .group_segment_fixed_size: 17472
    .kernarg_segment_align: 8
    .kernarg_segment_size: 400
    .language:       OpenCL C
    .language_version:
      - 2
      - 0
    .max_flat_workgroup_size: 256
    .name:           _Z39paged_attention_ll4mi_QKV_mfma16_kernelIDF16_hLN4vllm18Fp8KVCacheDataTypeE1EDF16_Li32ELi128ELi256ELb1ELi2EL8MFMAType0EEvPKT_PKT0_S8_ifPKiSA_SA_iPKfiiiPfSD_PS3_PT2_iSC_SC_
    .private_segment_fixed_size: 0
    .sgpr_count:     41
    .sgpr_spill_count: 0
    .symbol:         _Z39paged_attention_ll4mi_QKV_mfma16_kernelIDF16_hLN4vllm18Fp8KVCacheDataTypeE1EDF16_Li32ELi128ELi256ELb1ELi2EL8MFMAType0EEvPKT_PKT0_S8_ifPKiSA_SA_iPKfiiiPfSD_PS3_PT2_iSC_SC_.kd
    .uniform_work_group_size: 1
    .uses_dynamic_stack: false
    .vgpr_count:     146
    .vgpr_spill_count: 0
    .wavefront_size: 32
    .workgroup_processor_mode: 1
  - .args:
      - .actual_access:  read_only
        .address_space:  global
        .offset:         0
        .size:           8
        .value_kind:     global_buffer
      - .actual_access:  read_only
        .address_space:  global
        .offset:         8
        .size:           8
        .value_kind:     global_buffer
      - .actual_access:  read_only
        .address_space:  global
        .offset:         16
        .size:           8
        .value_kind:     global_buffer
      - .offset:         24
        .size:           4
        .value_kind:     by_value
      - .offset:         28
        .size:           4
        .value_kind:     by_value
      - .actual_access:  read_only
        .address_space:  global
        .offset:         32
        .size:           8
        .value_kind:     global_buffer
      - .actual_access:  read_only
        .address_space:  global
        .offset:         40
        .size:           8
        .value_kind:     global_buffer
      - .actual_access:  read_only
        .address_space:  global
        .offset:         48
        .size:           8
        .value_kind:     global_buffer
      - .offset:         56
        .size:           4
        .value_kind:     by_value
      - .actual_access:  read_only
        .address_space:  global
        .offset:         64
        .size:           8
        .value_kind:     global_buffer
      - .offset:         72
        .size:           4
        .value_kind:     by_value
      - .offset:         76
        .size:           4
        .value_kind:     by_value
      - .offset:         80
        .size:           4
        .value_kind:     by_value
      - .actual_access:  write_only
        .address_space:  global
        .offset:         88
        .size:           8
        .value_kind:     global_buffer
      - .actual_access:  write_only
        .address_space:  global
        .offset:         96
        .size:           8
        .value_kind:     global_buffer
      - .actual_access:  write_only
        .address_space:  global
        .offset:         104
        .size:           8
        .value_kind:     global_buffer
      - .actual_access:  read_only
        .address_space:  global
        .offset:         112
        .size:           8
        .value_kind:     global_buffer
      - .offset:         120
        .size:           4
        .value_kind:     by_value
      - .address_space:  global
        .offset:         128
        .size:           8
        .value_kind:     global_buffer
      - .address_space:  global
        .offset:         136
        .size:           8
        .value_kind:     global_buffer
      - .offset:         144
        .size:           4
        .value_kind:     hidden_block_count_x
      - .offset:         148
        .size:           4
        .value_kind:     hidden_block_count_y
      - .offset:         152
        .size:           4
        .value_kind:     hidden_block_count_z
      - .offset:         156
        .size:           2
        .value_kind:     hidden_group_size_x
      - .offset:         158
        .size:           2
        .value_kind:     hidden_group_size_y
      - .offset:         160
        .size:           2
        .value_kind:     hidden_group_size_z
      - .offset:         162
        .size:           2
        .value_kind:     hidden_remainder_x
      - .offset:         164
        .size:           2
        .value_kind:     hidden_remainder_y
      - .offset:         166
        .size:           2
        .value_kind:     hidden_remainder_z
      - .offset:         184
        .size:           8
        .value_kind:     hidden_global_offset_x
      - .offset:         192
        .size:           8
        .value_kind:     hidden_global_offset_y
      - .offset:         200
        .size:           8
        .value_kind:     hidden_global_offset_z
      - .offset:         208
        .size:           2
        .value_kind:     hidden_grid_dims
    .group_segment_fixed_size: 17472
    .kernarg_segment_align: 8
    .kernarg_segment_size: 400
    .language:       OpenCL C
    .language_version:
      - 2
      - 0
    .max_flat_workgroup_size: 256
    .name:           _Z39paged_attention_ll4mi_QKV_mfma16_kernelIDF16_hLN4vllm18Fp8KVCacheDataTypeE1EDF16_Li32ELi128ELi256ELb1ELi3EL8MFMAType0EEvPKT_PKT0_S8_ifPKiSA_SA_iPKfiiiPfSD_PS3_PT2_iSC_SC_
    .private_segment_fixed_size: 0
    .sgpr_count:     39
    .sgpr_spill_count: 0
    .symbol:         _Z39paged_attention_ll4mi_QKV_mfma16_kernelIDF16_hLN4vllm18Fp8KVCacheDataTypeE1EDF16_Li32ELi128ELi256ELb1ELi3EL8MFMAType0EEvPKT_PKT0_S8_ifPKiSA_SA_iPKfiiiPfSD_PS3_PT2_iSC_SC_.kd
    .uniform_work_group_size: 1
    .uses_dynamic_stack: false
    .vgpr_count:     150
    .vgpr_spill_count: 0
    .wavefront_size: 32
    .workgroup_processor_mode: 1
  - .args:
      - .actual_access:  read_only
        .address_space:  global
        .offset:         0
        .size:           8
        .value_kind:     global_buffer
      - .actual_access:  read_only
        .address_space:  global
        .offset:         8
        .size:           8
        .value_kind:     global_buffer
      - .actual_access:  read_only
        .address_space:  global
        .offset:         16
        .size:           8
        .value_kind:     global_buffer
      - .offset:         24
        .size:           4
        .value_kind:     by_value
      - .offset:         28
        .size:           4
        .value_kind:     by_value
      - .actual_access:  read_only
        .address_space:  global
        .offset:         32
        .size:           8
        .value_kind:     global_buffer
      - .actual_access:  read_only
        .address_space:  global
        .offset:         40
        .size:           8
        .value_kind:     global_buffer
      - .actual_access:  read_only
        .address_space:  global
        .offset:         48
        .size:           8
        .value_kind:     global_buffer
      - .offset:         56
        .size:           4
        .value_kind:     by_value
      - .actual_access:  read_only
        .address_space:  global
        .offset:         64
        .size:           8
        .value_kind:     global_buffer
      - .offset:         72
        .size:           4
        .value_kind:     by_value
      - .offset:         76
        .size:           4
        .value_kind:     by_value
      - .offset:         80
        .size:           4
        .value_kind:     by_value
      - .actual_access:  write_only
        .address_space:  global
        .offset:         88
        .size:           8
        .value_kind:     global_buffer
      - .actual_access:  write_only
        .address_space:  global
        .offset:         96
        .size:           8
        .value_kind:     global_buffer
      - .actual_access:  write_only
        .address_space:  global
        .offset:         104
        .size:           8
        .value_kind:     global_buffer
      - .actual_access:  read_only
        .address_space:  global
        .offset:         112
        .size:           8
        .value_kind:     global_buffer
      - .offset:         120
        .size:           4
        .value_kind:     by_value
      - .address_space:  global
        .offset:         128
        .size:           8
        .value_kind:     global_buffer
      - .address_space:  global
        .offset:         136
        .size:           8
        .value_kind:     global_buffer
      - .offset:         144
        .size:           4
        .value_kind:     hidden_block_count_x
      - .offset:         148
        .size:           4
        .value_kind:     hidden_block_count_y
      - .offset:         152
        .size:           4
        .value_kind:     hidden_block_count_z
      - .offset:         156
        .size:           2
        .value_kind:     hidden_group_size_x
      - .offset:         158
        .size:           2
        .value_kind:     hidden_group_size_y
      - .offset:         160
        .size:           2
        .value_kind:     hidden_group_size_z
      - .offset:         162
        .size:           2
        .value_kind:     hidden_remainder_x
      - .offset:         164
        .size:           2
        .value_kind:     hidden_remainder_y
      - .offset:         166
        .size:           2
        .value_kind:     hidden_remainder_z
      - .offset:         184
        .size:           8
        .value_kind:     hidden_global_offset_x
      - .offset:         192
        .size:           8
        .value_kind:     hidden_global_offset_y
      - .offset:         200
        .size:           8
        .value_kind:     hidden_global_offset_z
      - .offset:         208
        .size:           2
        .value_kind:     hidden_grid_dims
    .group_segment_fixed_size: 17472
    .kernarg_segment_align: 8
    .kernarg_segment_size: 400
    .language:       OpenCL C
    .language_version:
      - 2
      - 0
    .max_flat_workgroup_size: 256
    .name:           _Z39paged_attention_ll4mi_QKV_mfma16_kernelIDF16_hLN4vllm18Fp8KVCacheDataTypeE1EDF16_Li32ELi128ELi256ELb1ELi4EL8MFMAType0EEvPKT_PKT0_S8_ifPKiSA_SA_iPKfiiiPfSD_PS3_PT2_iSC_SC_
    .private_segment_fixed_size: 0
    .sgpr_count:     38
    .sgpr_spill_count: 0
    .symbol:         _Z39paged_attention_ll4mi_QKV_mfma16_kernelIDF16_hLN4vllm18Fp8KVCacheDataTypeE1EDF16_Li32ELi128ELi256ELb1ELi4EL8MFMAType0EEvPKT_PKT0_S8_ifPKiSA_SA_iPKfiiiPfSD_PS3_PT2_iSC_SC_.kd
    .uniform_work_group_size: 1
    .uses_dynamic_stack: false
    .vgpr_count:     140
    .vgpr_spill_count: 0
    .wavefront_size: 32
    .workgroup_processor_mode: 1
  - .args:
      - .actual_access:  read_only
        .address_space:  global
        .offset:         0
        .size:           8
        .value_kind:     global_buffer
      - .actual_access:  read_only
        .address_space:  global
        .offset:         8
        .size:           8
        .value_kind:     global_buffer
      - .actual_access:  read_only
        .address_space:  global
        .offset:         16
        .size:           8
        .value_kind:     global_buffer
      - .offset:         24
        .size:           4
        .value_kind:     by_value
      - .offset:         28
        .size:           4
        .value_kind:     by_value
      - .actual_access:  read_only
        .address_space:  global
        .offset:         32
        .size:           8
        .value_kind:     global_buffer
      - .actual_access:  read_only
        .address_space:  global
        .offset:         40
        .size:           8
        .value_kind:     global_buffer
      - .actual_access:  read_only
        .address_space:  global
        .offset:         48
        .size:           8
        .value_kind:     global_buffer
      - .offset:         56
        .size:           4
        .value_kind:     by_value
      - .actual_access:  read_only
        .address_space:  global
        .offset:         64
        .size:           8
        .value_kind:     global_buffer
      - .offset:         72
        .size:           4
        .value_kind:     by_value
      - .offset:         76
        .size:           4
        .value_kind:     by_value
      - .offset:         80
        .size:           4
        .value_kind:     by_value
      - .actual_access:  write_only
        .address_space:  global
        .offset:         88
        .size:           8
        .value_kind:     global_buffer
      - .actual_access:  write_only
        .address_space:  global
        .offset:         96
        .size:           8
        .value_kind:     global_buffer
      - .actual_access:  write_only
        .address_space:  global
        .offset:         104
        .size:           8
        .value_kind:     global_buffer
      - .actual_access:  read_only
        .address_space:  global
        .offset:         112
        .size:           8
        .value_kind:     global_buffer
      - .offset:         120
        .size:           4
        .value_kind:     by_value
      - .address_space:  global
        .offset:         128
        .size:           8
        .value_kind:     global_buffer
      - .address_space:  global
        .offset:         136
        .size:           8
        .value_kind:     global_buffer
      - .offset:         144
        .size:           4
        .value_kind:     hidden_block_count_x
      - .offset:         148
        .size:           4
        .value_kind:     hidden_block_count_y
      - .offset:         152
        .size:           4
        .value_kind:     hidden_block_count_z
      - .offset:         156
        .size:           2
        .value_kind:     hidden_group_size_x
      - .offset:         158
        .size:           2
        .value_kind:     hidden_group_size_y
      - .offset:         160
        .size:           2
        .value_kind:     hidden_group_size_z
      - .offset:         162
        .size:           2
        .value_kind:     hidden_remainder_x
      - .offset:         164
        .size:           2
        .value_kind:     hidden_remainder_y
      - .offset:         166
        .size:           2
        .value_kind:     hidden_remainder_z
      - .offset:         184
        .size:           8
        .value_kind:     hidden_global_offset_x
      - .offset:         192
        .size:           8
        .value_kind:     hidden_global_offset_y
      - .offset:         200
        .size:           8
        .value_kind:     hidden_global_offset_z
      - .offset:         208
        .size:           2
        .value_kind:     hidden_grid_dims
    .group_segment_fixed_size: 17472
    .kernarg_segment_align: 8
    .kernarg_segment_size: 400
    .language:       OpenCL C
    .language_version:
      - 2
      - 0
    .max_flat_workgroup_size: 256
    .name:           _Z39paged_attention_ll4mi_QKV_mfma16_kernelIDF16_hLN4vllm18Fp8KVCacheDataTypeE1EDF16_Li32ELi128ELi256ELb0ELi5EL8MFMAType0EEvPKT_PKT0_S8_ifPKiSA_SA_iPKfiiiPfSD_PS3_PT2_iSC_SC_
    .private_segment_fixed_size: 0
    .sgpr_count:     39
    .sgpr_spill_count: 0
    .symbol:         _Z39paged_attention_ll4mi_QKV_mfma16_kernelIDF16_hLN4vllm18Fp8KVCacheDataTypeE1EDF16_Li32ELi128ELi256ELb0ELi5EL8MFMAType0EEvPKT_PKT0_S8_ifPKiSA_SA_iPKfiiiPfSD_PS3_PT2_iSC_SC_.kd
    .uniform_work_group_size: 1
    .uses_dynamic_stack: false
    .vgpr_count:     150
    .vgpr_spill_count: 0
    .wavefront_size: 32
    .workgroup_processor_mode: 1
  - .args:
      - .actual_access:  read_only
        .address_space:  global
        .offset:         0
        .size:           8
        .value_kind:     global_buffer
      - .actual_access:  read_only
        .address_space:  global
        .offset:         8
        .size:           8
        .value_kind:     global_buffer
      - .actual_access:  read_only
        .address_space:  global
        .offset:         16
        .size:           8
        .value_kind:     global_buffer
      - .offset:         24
        .size:           4
        .value_kind:     by_value
      - .offset:         28
        .size:           4
        .value_kind:     by_value
      - .actual_access:  read_only
        .address_space:  global
        .offset:         32
        .size:           8
        .value_kind:     global_buffer
      - .actual_access:  read_only
        .address_space:  global
        .offset:         40
        .size:           8
        .value_kind:     global_buffer
      - .actual_access:  read_only
        .address_space:  global
        .offset:         48
        .size:           8
        .value_kind:     global_buffer
      - .offset:         56
        .size:           4
        .value_kind:     by_value
      - .actual_access:  read_only
        .address_space:  global
        .offset:         64
        .size:           8
        .value_kind:     global_buffer
      - .offset:         72
        .size:           4
        .value_kind:     by_value
      - .offset:         76
        .size:           4
        .value_kind:     by_value
      - .offset:         80
        .size:           4
        .value_kind:     by_value
      - .actual_access:  write_only
        .address_space:  global
        .offset:         88
        .size:           8
        .value_kind:     global_buffer
      - .actual_access:  write_only
        .address_space:  global
        .offset:         96
        .size:           8
        .value_kind:     global_buffer
      - .actual_access:  write_only
        .address_space:  global
        .offset:         104
        .size:           8
        .value_kind:     global_buffer
      - .actual_access:  read_only
        .address_space:  global
        .offset:         112
        .size:           8
        .value_kind:     global_buffer
      - .offset:         120
        .size:           4
        .value_kind:     by_value
      - .address_space:  global
        .offset:         128
        .size:           8
        .value_kind:     global_buffer
      - .address_space:  global
        .offset:         136
        .size:           8
        .value_kind:     global_buffer
      - .offset:         144
        .size:           4
        .value_kind:     hidden_block_count_x
      - .offset:         148
        .size:           4
        .value_kind:     hidden_block_count_y
      - .offset:         152
        .size:           4
        .value_kind:     hidden_block_count_z
      - .offset:         156
        .size:           2
        .value_kind:     hidden_group_size_x
      - .offset:         158
        .size:           2
        .value_kind:     hidden_group_size_y
      - .offset:         160
        .size:           2
        .value_kind:     hidden_group_size_z
      - .offset:         162
        .size:           2
        .value_kind:     hidden_remainder_x
      - .offset:         164
        .size:           2
        .value_kind:     hidden_remainder_y
      - .offset:         166
        .size:           2
        .value_kind:     hidden_remainder_z
      - .offset:         184
        .size:           8
        .value_kind:     hidden_global_offset_x
      - .offset:         192
        .size:           8
        .value_kind:     hidden_global_offset_y
      - .offset:         200
        .size:           8
        .value_kind:     hidden_global_offset_z
      - .offset:         208
        .size:           2
        .value_kind:     hidden_grid_dims
    .group_segment_fixed_size: 17472
    .kernarg_segment_align: 8
    .kernarg_segment_size: 400
    .language:       OpenCL C
    .language_version:
      - 2
      - 0
    .max_flat_workgroup_size: 256
    .name:           _Z39paged_attention_ll4mi_QKV_mfma16_kernelIDF16_hLN4vllm18Fp8KVCacheDataTypeE1EDF16_Li32ELi128ELi256ELb0ELi6EL8MFMAType0EEvPKT_PKT0_S8_ifPKiSA_SA_iPKfiiiPfSD_PS3_PT2_iSC_SC_
    .private_segment_fixed_size: 0
    .sgpr_count:     39
    .sgpr_spill_count: 0
    .symbol:         _Z39paged_attention_ll4mi_QKV_mfma16_kernelIDF16_hLN4vllm18Fp8KVCacheDataTypeE1EDF16_Li32ELi128ELi256ELb0ELi6EL8MFMAType0EEvPKT_PKT0_S8_ifPKiSA_SA_iPKfiiiPfSD_PS3_PT2_iSC_SC_.kd
    .uniform_work_group_size: 1
    .uses_dynamic_stack: false
    .vgpr_count:     150
    .vgpr_spill_count: 0
    .wavefront_size: 32
    .workgroup_processor_mode: 1
  - .args:
      - .actual_access:  read_only
        .address_space:  global
        .offset:         0
        .size:           8
        .value_kind:     global_buffer
      - .actual_access:  read_only
        .address_space:  global
        .offset:         8
        .size:           8
        .value_kind:     global_buffer
      - .actual_access:  read_only
        .address_space:  global
        .offset:         16
        .size:           8
        .value_kind:     global_buffer
      - .offset:         24
        .size:           4
        .value_kind:     by_value
      - .offset:         28
        .size:           4
        .value_kind:     by_value
      - .actual_access:  read_only
        .address_space:  global
        .offset:         32
        .size:           8
        .value_kind:     global_buffer
      - .actual_access:  read_only
        .address_space:  global
        .offset:         40
        .size:           8
        .value_kind:     global_buffer
      - .actual_access:  read_only
        .address_space:  global
        .offset:         48
        .size:           8
        .value_kind:     global_buffer
      - .offset:         56
        .size:           4
        .value_kind:     by_value
      - .actual_access:  read_only
        .address_space:  global
        .offset:         64
        .size:           8
        .value_kind:     global_buffer
      - .offset:         72
        .size:           4
        .value_kind:     by_value
      - .offset:         76
        .size:           4
        .value_kind:     by_value
      - .offset:         80
        .size:           4
        .value_kind:     by_value
      - .actual_access:  write_only
        .address_space:  global
        .offset:         88
        .size:           8
        .value_kind:     global_buffer
      - .actual_access:  write_only
        .address_space:  global
        .offset:         96
        .size:           8
        .value_kind:     global_buffer
      - .actual_access:  write_only
        .address_space:  global
        .offset:         104
        .size:           8
        .value_kind:     global_buffer
      - .actual_access:  read_only
        .address_space:  global
        .offset:         112
        .size:           8
        .value_kind:     global_buffer
      - .offset:         120
        .size:           4
        .value_kind:     by_value
      - .address_space:  global
        .offset:         128
        .size:           8
        .value_kind:     global_buffer
      - .address_space:  global
        .offset:         136
        .size:           8
        .value_kind:     global_buffer
      - .offset:         144
        .size:           4
        .value_kind:     hidden_block_count_x
      - .offset:         148
        .size:           4
        .value_kind:     hidden_block_count_y
      - .offset:         152
        .size:           4
        .value_kind:     hidden_block_count_z
      - .offset:         156
        .size:           2
        .value_kind:     hidden_group_size_x
      - .offset:         158
        .size:           2
        .value_kind:     hidden_group_size_y
      - .offset:         160
        .size:           2
        .value_kind:     hidden_group_size_z
      - .offset:         162
        .size:           2
        .value_kind:     hidden_remainder_x
      - .offset:         164
        .size:           2
        .value_kind:     hidden_remainder_y
      - .offset:         166
        .size:           2
        .value_kind:     hidden_remainder_z
      - .offset:         184
        .size:           8
        .value_kind:     hidden_global_offset_x
      - .offset:         192
        .size:           8
        .value_kind:     hidden_global_offset_y
      - .offset:         200
        .size:           8
        .value_kind:     hidden_global_offset_z
      - .offset:         208
        .size:           2
        .value_kind:     hidden_grid_dims
    .group_segment_fixed_size: 17472
    .kernarg_segment_align: 8
    .kernarg_segment_size: 400
    .language:       OpenCL C
    .language_version:
      - 2
      - 0
    .max_flat_workgroup_size: 256
    .name:           _Z39paged_attention_ll4mi_QKV_mfma16_kernelIDF16_hLN4vllm18Fp8KVCacheDataTypeE1EDF16_Li32ELi128ELi256ELb0ELi7EL8MFMAType0EEvPKT_PKT0_S8_ifPKiSA_SA_iPKfiiiPfSD_PS3_PT2_iSC_SC_
    .private_segment_fixed_size: 0
    .sgpr_count:     39
    .sgpr_spill_count: 0
    .symbol:         _Z39paged_attention_ll4mi_QKV_mfma16_kernelIDF16_hLN4vllm18Fp8KVCacheDataTypeE1EDF16_Li32ELi128ELi256ELb0ELi7EL8MFMAType0EEvPKT_PKT0_S8_ifPKiSA_SA_iPKfiiiPfSD_PS3_PT2_iSC_SC_.kd
    .uniform_work_group_size: 1
    .uses_dynamic_stack: false
    .vgpr_count:     150
    .vgpr_spill_count: 0
    .wavefront_size: 32
    .workgroup_processor_mode: 1
  - .args:
      - .actual_access:  read_only
        .address_space:  global
        .offset:         0
        .size:           8
        .value_kind:     global_buffer
      - .actual_access:  read_only
        .address_space:  global
        .offset:         8
        .size:           8
        .value_kind:     global_buffer
      - .actual_access:  read_only
        .address_space:  global
        .offset:         16
        .size:           8
        .value_kind:     global_buffer
      - .offset:         24
        .size:           4
        .value_kind:     by_value
      - .offset:         28
        .size:           4
        .value_kind:     by_value
      - .actual_access:  read_only
        .address_space:  global
        .offset:         32
        .size:           8
        .value_kind:     global_buffer
      - .actual_access:  read_only
        .address_space:  global
        .offset:         40
        .size:           8
        .value_kind:     global_buffer
      - .actual_access:  read_only
        .address_space:  global
        .offset:         48
        .size:           8
        .value_kind:     global_buffer
      - .offset:         56
        .size:           4
        .value_kind:     by_value
      - .actual_access:  read_only
        .address_space:  global
        .offset:         64
        .size:           8
        .value_kind:     global_buffer
      - .offset:         72
        .size:           4
        .value_kind:     by_value
      - .offset:         76
        .size:           4
        .value_kind:     by_value
      - .offset:         80
        .size:           4
        .value_kind:     by_value
      - .actual_access:  write_only
        .address_space:  global
        .offset:         88
        .size:           8
        .value_kind:     global_buffer
      - .actual_access:  write_only
        .address_space:  global
        .offset:         96
        .size:           8
        .value_kind:     global_buffer
      - .actual_access:  write_only
        .address_space:  global
        .offset:         104
        .size:           8
        .value_kind:     global_buffer
      - .actual_access:  read_only
        .address_space:  global
        .offset:         112
        .size:           8
        .value_kind:     global_buffer
      - .offset:         120
        .size:           4
        .value_kind:     by_value
      - .address_space:  global
        .offset:         128
        .size:           8
        .value_kind:     global_buffer
      - .address_space:  global
        .offset:         136
        .size:           8
        .value_kind:     global_buffer
      - .offset:         144
        .size:           4
        .value_kind:     hidden_block_count_x
      - .offset:         148
        .size:           4
        .value_kind:     hidden_block_count_y
      - .offset:         152
        .size:           4
        .value_kind:     hidden_block_count_z
      - .offset:         156
        .size:           2
        .value_kind:     hidden_group_size_x
      - .offset:         158
        .size:           2
        .value_kind:     hidden_group_size_y
      - .offset:         160
        .size:           2
        .value_kind:     hidden_group_size_z
      - .offset:         162
        .size:           2
        .value_kind:     hidden_remainder_x
      - .offset:         164
        .size:           2
        .value_kind:     hidden_remainder_y
      - .offset:         166
        .size:           2
        .value_kind:     hidden_remainder_z
      - .offset:         184
        .size:           8
        .value_kind:     hidden_global_offset_x
      - .offset:         192
        .size:           8
        .value_kind:     hidden_global_offset_y
      - .offset:         200
        .size:           8
        .value_kind:     hidden_global_offset_z
      - .offset:         208
        .size:           2
        .value_kind:     hidden_grid_dims
    .group_segment_fixed_size: 17472
    .kernarg_segment_align: 8
    .kernarg_segment_size: 400
    .language:       OpenCL C
    .language_version:
      - 2
      - 0
    .max_flat_workgroup_size: 256
    .name:           _Z39paged_attention_ll4mi_QKV_mfma16_kernelIDF16_hLN4vllm18Fp8KVCacheDataTypeE1EDF16_Li32ELi128ELi256ELb0ELi8EL8MFMAType0EEvPKT_PKT0_S8_ifPKiSA_SA_iPKfiiiPfSD_PS3_PT2_iSC_SC_
    .private_segment_fixed_size: 0
    .sgpr_count:     38
    .sgpr_spill_count: 0
    .symbol:         _Z39paged_attention_ll4mi_QKV_mfma16_kernelIDF16_hLN4vllm18Fp8KVCacheDataTypeE1EDF16_Li32ELi128ELi256ELb0ELi8EL8MFMAType0EEvPKT_PKT0_S8_ifPKiSA_SA_iPKfiiiPfSD_PS3_PT2_iSC_SC_.kd
    .uniform_work_group_size: 1
    .uses_dynamic_stack: false
    .vgpr_count:     140
    .vgpr_spill_count: 0
    .wavefront_size: 32
    .workgroup_processor_mode: 1
  - .args:
      - .actual_access:  read_only
        .address_space:  global
        .offset:         0
        .size:           8
        .value_kind:     global_buffer
      - .actual_access:  read_only
        .address_space:  global
        .offset:         8
        .size:           8
        .value_kind:     global_buffer
      - .actual_access:  read_only
        .address_space:  global
        .offset:         16
        .size:           8
        .value_kind:     global_buffer
      - .offset:         24
        .size:           4
        .value_kind:     by_value
      - .offset:         28
        .size:           4
        .value_kind:     by_value
      - .actual_access:  read_only
        .address_space:  global
        .offset:         32
        .size:           8
        .value_kind:     global_buffer
      - .actual_access:  read_only
        .address_space:  global
        .offset:         40
        .size:           8
        .value_kind:     global_buffer
      - .actual_access:  read_only
        .address_space:  global
        .offset:         48
        .size:           8
        .value_kind:     global_buffer
      - .offset:         56
        .size:           4
        .value_kind:     by_value
      - .actual_access:  read_only
        .address_space:  global
        .offset:         64
        .size:           8
        .value_kind:     global_buffer
      - .offset:         72
        .size:           4
        .value_kind:     by_value
      - .offset:         76
        .size:           4
        .value_kind:     by_value
      - .offset:         80
        .size:           4
        .value_kind:     by_value
      - .actual_access:  write_only
        .address_space:  global
        .offset:         88
        .size:           8
        .value_kind:     global_buffer
      - .actual_access:  write_only
        .address_space:  global
        .offset:         96
        .size:           8
        .value_kind:     global_buffer
      - .actual_access:  write_only
        .address_space:  global
        .offset:         104
        .size:           8
        .value_kind:     global_buffer
      - .actual_access:  read_only
        .address_space:  global
        .offset:         112
        .size:           8
        .value_kind:     global_buffer
      - .offset:         120
        .size:           4
        .value_kind:     by_value
      - .address_space:  global
        .offset:         128
        .size:           8
        .value_kind:     global_buffer
      - .address_space:  global
        .offset:         136
        .size:           8
        .value_kind:     global_buffer
      - .offset:         144
        .size:           4
        .value_kind:     hidden_block_count_x
      - .offset:         148
        .size:           4
        .value_kind:     hidden_block_count_y
      - .offset:         152
        .size:           4
        .value_kind:     hidden_block_count_z
      - .offset:         156
        .size:           2
        .value_kind:     hidden_group_size_x
      - .offset:         158
        .size:           2
        .value_kind:     hidden_group_size_y
      - .offset:         160
        .size:           2
        .value_kind:     hidden_group_size_z
      - .offset:         162
        .size:           2
        .value_kind:     hidden_remainder_x
      - .offset:         164
        .size:           2
        .value_kind:     hidden_remainder_y
      - .offset:         166
        .size:           2
        .value_kind:     hidden_remainder_z
      - .offset:         184
        .size:           8
        .value_kind:     hidden_global_offset_x
      - .offset:         192
        .size:           8
        .value_kind:     hidden_global_offset_y
      - .offset:         200
        .size:           8
        .value_kind:     hidden_global_offset_z
      - .offset:         208
        .size:           2
        .value_kind:     hidden_grid_dims
    .group_segment_fixed_size: 17472
    .kernarg_segment_align: 8
    .kernarg_segment_size: 400
    .language:       OpenCL C
    .language_version:
      - 2
      - 0
    .max_flat_workgroup_size: 256
    .name:           _Z39paged_attention_ll4mi_QKV_mfma16_kernelIDF16_hLN4vllm18Fp8KVCacheDataTypeE1EDF16_Li32ELi128ELi256ELb0ELi9EL8MFMAType0EEvPKT_PKT0_S8_ifPKiSA_SA_iPKfiiiPfSD_PS3_PT2_iSC_SC_
    .private_segment_fixed_size: 0
    .sgpr_count:     39
    .sgpr_spill_count: 0
    .symbol:         _Z39paged_attention_ll4mi_QKV_mfma16_kernelIDF16_hLN4vllm18Fp8KVCacheDataTypeE1EDF16_Li32ELi128ELi256ELb0ELi9EL8MFMAType0EEvPKT_PKT0_S8_ifPKiSA_SA_iPKfiiiPfSD_PS3_PT2_iSC_SC_.kd
    .uniform_work_group_size: 1
    .uses_dynamic_stack: false
    .vgpr_count:     150
    .vgpr_spill_count: 0
    .wavefront_size: 32
    .workgroup_processor_mode: 1
  - .args:
      - .actual_access:  read_only
        .address_space:  global
        .offset:         0
        .size:           8
        .value_kind:     global_buffer
      - .actual_access:  read_only
        .address_space:  global
        .offset:         8
        .size:           8
        .value_kind:     global_buffer
      - .actual_access:  read_only
        .address_space:  global
        .offset:         16
        .size:           8
        .value_kind:     global_buffer
      - .offset:         24
        .size:           4
        .value_kind:     by_value
      - .offset:         28
        .size:           4
        .value_kind:     by_value
      - .actual_access:  read_only
        .address_space:  global
        .offset:         32
        .size:           8
        .value_kind:     global_buffer
      - .actual_access:  read_only
        .address_space:  global
        .offset:         40
        .size:           8
        .value_kind:     global_buffer
      - .actual_access:  read_only
        .address_space:  global
        .offset:         48
        .size:           8
        .value_kind:     global_buffer
      - .offset:         56
        .size:           4
        .value_kind:     by_value
      - .actual_access:  read_only
        .address_space:  global
        .offset:         64
        .size:           8
        .value_kind:     global_buffer
      - .offset:         72
        .size:           4
        .value_kind:     by_value
      - .offset:         76
        .size:           4
        .value_kind:     by_value
      - .offset:         80
        .size:           4
        .value_kind:     by_value
      - .actual_access:  write_only
        .address_space:  global
        .offset:         88
        .size:           8
        .value_kind:     global_buffer
      - .actual_access:  write_only
        .address_space:  global
        .offset:         96
        .size:           8
        .value_kind:     global_buffer
      - .actual_access:  write_only
        .address_space:  global
        .offset:         104
        .size:           8
        .value_kind:     global_buffer
      - .actual_access:  read_only
        .address_space:  global
        .offset:         112
        .size:           8
        .value_kind:     global_buffer
      - .offset:         120
        .size:           4
        .value_kind:     by_value
      - .address_space:  global
        .offset:         128
        .size:           8
        .value_kind:     global_buffer
      - .address_space:  global
        .offset:         136
        .size:           8
        .value_kind:     global_buffer
      - .offset:         144
        .size:           4
        .value_kind:     hidden_block_count_x
      - .offset:         148
        .size:           4
        .value_kind:     hidden_block_count_y
      - .offset:         152
        .size:           4
        .value_kind:     hidden_block_count_z
      - .offset:         156
        .size:           2
        .value_kind:     hidden_group_size_x
      - .offset:         158
        .size:           2
        .value_kind:     hidden_group_size_y
      - .offset:         160
        .size:           2
        .value_kind:     hidden_group_size_z
      - .offset:         162
        .size:           2
        .value_kind:     hidden_remainder_x
      - .offset:         164
        .size:           2
        .value_kind:     hidden_remainder_y
      - .offset:         166
        .size:           2
        .value_kind:     hidden_remainder_z
      - .offset:         184
        .size:           8
        .value_kind:     hidden_global_offset_x
      - .offset:         192
        .size:           8
        .value_kind:     hidden_global_offset_y
      - .offset:         200
        .size:           8
        .value_kind:     hidden_global_offset_z
      - .offset:         208
        .size:           2
        .value_kind:     hidden_grid_dims
    .group_segment_fixed_size: 17472
    .kernarg_segment_align: 8
    .kernarg_segment_size: 400
    .language:       OpenCL C
    .language_version:
      - 2
      - 0
    .max_flat_workgroup_size: 256
    .name:           _Z39paged_attention_ll4mi_QKV_mfma16_kernelIDF16_hLN4vllm18Fp8KVCacheDataTypeE1EDF16_Li32ELi128ELi256ELb0ELi10EL8MFMAType0EEvPKT_PKT0_S8_ifPKiSA_SA_iPKfiiiPfSD_PS3_PT2_iSC_SC_
    .private_segment_fixed_size: 0
    .sgpr_count:     39
    .sgpr_spill_count: 0
    .symbol:         _Z39paged_attention_ll4mi_QKV_mfma16_kernelIDF16_hLN4vllm18Fp8KVCacheDataTypeE1EDF16_Li32ELi128ELi256ELb0ELi10EL8MFMAType0EEvPKT_PKT0_S8_ifPKiSA_SA_iPKfiiiPfSD_PS3_PT2_iSC_SC_.kd
    .uniform_work_group_size: 1
    .uses_dynamic_stack: false
    .vgpr_count:     150
    .vgpr_spill_count: 0
    .wavefront_size: 32
    .workgroup_processor_mode: 1
  - .args:
      - .actual_access:  read_only
        .address_space:  global
        .offset:         0
        .size:           8
        .value_kind:     global_buffer
      - .actual_access:  read_only
        .address_space:  global
        .offset:         8
        .size:           8
        .value_kind:     global_buffer
      - .actual_access:  read_only
        .address_space:  global
        .offset:         16
        .size:           8
        .value_kind:     global_buffer
      - .offset:         24
        .size:           4
        .value_kind:     by_value
      - .offset:         28
        .size:           4
        .value_kind:     by_value
      - .actual_access:  read_only
        .address_space:  global
        .offset:         32
        .size:           8
        .value_kind:     global_buffer
      - .actual_access:  read_only
        .address_space:  global
        .offset:         40
        .size:           8
        .value_kind:     global_buffer
      - .actual_access:  read_only
        .address_space:  global
        .offset:         48
        .size:           8
        .value_kind:     global_buffer
      - .offset:         56
        .size:           4
        .value_kind:     by_value
      - .actual_access:  read_only
        .address_space:  global
        .offset:         64
        .size:           8
        .value_kind:     global_buffer
      - .offset:         72
        .size:           4
        .value_kind:     by_value
      - .offset:         76
        .size:           4
        .value_kind:     by_value
      - .offset:         80
        .size:           4
        .value_kind:     by_value
      - .actual_access:  write_only
        .address_space:  global
        .offset:         88
        .size:           8
        .value_kind:     global_buffer
      - .actual_access:  write_only
        .address_space:  global
        .offset:         96
        .size:           8
        .value_kind:     global_buffer
      - .actual_access:  write_only
        .address_space:  global
        .offset:         104
        .size:           8
        .value_kind:     global_buffer
      - .actual_access:  read_only
        .address_space:  global
        .offset:         112
        .size:           8
        .value_kind:     global_buffer
      - .offset:         120
        .size:           4
        .value_kind:     by_value
      - .address_space:  global
        .offset:         128
        .size:           8
        .value_kind:     global_buffer
      - .address_space:  global
        .offset:         136
        .size:           8
        .value_kind:     global_buffer
      - .offset:         144
        .size:           4
        .value_kind:     hidden_block_count_x
      - .offset:         148
        .size:           4
        .value_kind:     hidden_block_count_y
      - .offset:         152
        .size:           4
        .value_kind:     hidden_block_count_z
      - .offset:         156
        .size:           2
        .value_kind:     hidden_group_size_x
      - .offset:         158
        .size:           2
        .value_kind:     hidden_group_size_y
      - .offset:         160
        .size:           2
        .value_kind:     hidden_group_size_z
      - .offset:         162
        .size:           2
        .value_kind:     hidden_remainder_x
      - .offset:         164
        .size:           2
        .value_kind:     hidden_remainder_y
      - .offset:         166
        .size:           2
        .value_kind:     hidden_remainder_z
      - .offset:         184
        .size:           8
        .value_kind:     hidden_global_offset_x
      - .offset:         192
        .size:           8
        .value_kind:     hidden_global_offset_y
      - .offset:         200
        .size:           8
        .value_kind:     hidden_global_offset_z
      - .offset:         208
        .size:           2
        .value_kind:     hidden_grid_dims
    .group_segment_fixed_size: 17472
    .kernarg_segment_align: 8
    .kernarg_segment_size: 400
    .language:       OpenCL C
    .language_version:
      - 2
      - 0
    .max_flat_workgroup_size: 256
    .name:           _Z39paged_attention_ll4mi_QKV_mfma16_kernelIDF16_hLN4vllm18Fp8KVCacheDataTypeE1EDF16_Li32ELi128ELi256ELb0ELi11EL8MFMAType0EEvPKT_PKT0_S8_ifPKiSA_SA_iPKfiiiPfSD_PS3_PT2_iSC_SC_
    .private_segment_fixed_size: 0
    .sgpr_count:     39
    .sgpr_spill_count: 0
    .symbol:         _Z39paged_attention_ll4mi_QKV_mfma16_kernelIDF16_hLN4vllm18Fp8KVCacheDataTypeE1EDF16_Li32ELi128ELi256ELb0ELi11EL8MFMAType0EEvPKT_PKT0_S8_ifPKiSA_SA_iPKfiiiPfSD_PS3_PT2_iSC_SC_.kd
    .uniform_work_group_size: 1
    .uses_dynamic_stack: false
    .vgpr_count:     150
    .vgpr_spill_count: 0
    .wavefront_size: 32
    .workgroup_processor_mode: 1
  - .args:
      - .actual_access:  read_only
        .address_space:  global
        .offset:         0
        .size:           8
        .value_kind:     global_buffer
      - .actual_access:  read_only
        .address_space:  global
        .offset:         8
        .size:           8
        .value_kind:     global_buffer
      - .actual_access:  read_only
        .address_space:  global
        .offset:         16
        .size:           8
        .value_kind:     global_buffer
      - .offset:         24
        .size:           4
        .value_kind:     by_value
      - .offset:         28
        .size:           4
        .value_kind:     by_value
      - .actual_access:  read_only
        .address_space:  global
        .offset:         32
        .size:           8
        .value_kind:     global_buffer
      - .actual_access:  read_only
        .address_space:  global
        .offset:         40
        .size:           8
        .value_kind:     global_buffer
      - .actual_access:  read_only
        .address_space:  global
        .offset:         48
        .size:           8
        .value_kind:     global_buffer
      - .offset:         56
        .size:           4
        .value_kind:     by_value
      - .actual_access:  read_only
        .address_space:  global
        .offset:         64
        .size:           8
        .value_kind:     global_buffer
      - .offset:         72
        .size:           4
        .value_kind:     by_value
      - .offset:         76
        .size:           4
        .value_kind:     by_value
      - .offset:         80
        .size:           4
        .value_kind:     by_value
      - .actual_access:  write_only
        .address_space:  global
        .offset:         88
        .size:           8
        .value_kind:     global_buffer
      - .actual_access:  write_only
        .address_space:  global
        .offset:         96
        .size:           8
        .value_kind:     global_buffer
      - .actual_access:  write_only
        .address_space:  global
        .offset:         104
        .size:           8
        .value_kind:     global_buffer
      - .actual_access:  read_only
        .address_space:  global
        .offset:         112
        .size:           8
        .value_kind:     global_buffer
      - .offset:         120
        .size:           4
        .value_kind:     by_value
      - .address_space:  global
        .offset:         128
        .size:           8
        .value_kind:     global_buffer
      - .address_space:  global
        .offset:         136
        .size:           8
        .value_kind:     global_buffer
      - .offset:         144
        .size:           4
        .value_kind:     hidden_block_count_x
      - .offset:         148
        .size:           4
        .value_kind:     hidden_block_count_y
      - .offset:         152
        .size:           4
        .value_kind:     hidden_block_count_z
      - .offset:         156
        .size:           2
        .value_kind:     hidden_group_size_x
      - .offset:         158
        .size:           2
        .value_kind:     hidden_group_size_y
      - .offset:         160
        .size:           2
        .value_kind:     hidden_group_size_z
      - .offset:         162
        .size:           2
        .value_kind:     hidden_remainder_x
      - .offset:         164
        .size:           2
        .value_kind:     hidden_remainder_y
      - .offset:         166
        .size:           2
        .value_kind:     hidden_remainder_z
      - .offset:         184
        .size:           8
        .value_kind:     hidden_global_offset_x
      - .offset:         192
        .size:           8
        .value_kind:     hidden_global_offset_y
      - .offset:         200
        .size:           8
        .value_kind:     hidden_global_offset_z
      - .offset:         208
        .size:           2
        .value_kind:     hidden_grid_dims
    .group_segment_fixed_size: 17472
    .kernarg_segment_align: 8
    .kernarg_segment_size: 400
    .language:       OpenCL C
    .language_version:
      - 2
      - 0
    .max_flat_workgroup_size: 256
    .name:           _Z39paged_attention_ll4mi_QKV_mfma16_kernelIDF16_hLN4vllm18Fp8KVCacheDataTypeE1EDF16_Li32ELi128ELi256ELb0ELi12EL8MFMAType0EEvPKT_PKT0_S8_ifPKiSA_SA_iPKfiiiPfSD_PS3_PT2_iSC_SC_
    .private_segment_fixed_size: 0
    .sgpr_count:     39
    .sgpr_spill_count: 0
    .symbol:         _Z39paged_attention_ll4mi_QKV_mfma16_kernelIDF16_hLN4vllm18Fp8KVCacheDataTypeE1EDF16_Li32ELi128ELi256ELb0ELi12EL8MFMAType0EEvPKT_PKT0_S8_ifPKiSA_SA_iPKfiiiPfSD_PS3_PT2_iSC_SC_.kd
    .uniform_work_group_size: 1
    .uses_dynamic_stack: false
    .vgpr_count:     150
    .vgpr_spill_count: 0
    .wavefront_size: 32
    .workgroup_processor_mode: 1
  - .args:
      - .actual_access:  read_only
        .address_space:  global
        .offset:         0
        .size:           8
        .value_kind:     global_buffer
      - .actual_access:  read_only
        .address_space:  global
        .offset:         8
        .size:           8
        .value_kind:     global_buffer
      - .actual_access:  read_only
        .address_space:  global
        .offset:         16
        .size:           8
        .value_kind:     global_buffer
      - .offset:         24
        .size:           4
        .value_kind:     by_value
      - .offset:         28
        .size:           4
        .value_kind:     by_value
      - .actual_access:  read_only
        .address_space:  global
        .offset:         32
        .size:           8
        .value_kind:     global_buffer
      - .actual_access:  read_only
        .address_space:  global
        .offset:         40
        .size:           8
        .value_kind:     global_buffer
      - .actual_access:  read_only
        .address_space:  global
        .offset:         48
        .size:           8
        .value_kind:     global_buffer
      - .offset:         56
        .size:           4
        .value_kind:     by_value
      - .actual_access:  read_only
        .address_space:  global
        .offset:         64
        .size:           8
        .value_kind:     global_buffer
      - .offset:         72
        .size:           4
        .value_kind:     by_value
      - .offset:         76
        .size:           4
        .value_kind:     by_value
      - .offset:         80
        .size:           4
        .value_kind:     by_value
      - .actual_access:  write_only
        .address_space:  global
        .offset:         88
        .size:           8
        .value_kind:     global_buffer
      - .actual_access:  write_only
        .address_space:  global
        .offset:         96
        .size:           8
        .value_kind:     global_buffer
      - .actual_access:  write_only
        .address_space:  global
        .offset:         104
        .size:           8
        .value_kind:     global_buffer
      - .actual_access:  read_only
        .address_space:  global
        .offset:         112
        .size:           8
        .value_kind:     global_buffer
      - .offset:         120
        .size:           4
        .value_kind:     by_value
      - .address_space:  global
        .offset:         128
        .size:           8
        .value_kind:     global_buffer
      - .address_space:  global
        .offset:         136
        .size:           8
        .value_kind:     global_buffer
      - .offset:         144
        .size:           4
        .value_kind:     hidden_block_count_x
      - .offset:         148
        .size:           4
        .value_kind:     hidden_block_count_y
      - .offset:         152
        .size:           4
        .value_kind:     hidden_block_count_z
      - .offset:         156
        .size:           2
        .value_kind:     hidden_group_size_x
      - .offset:         158
        .size:           2
        .value_kind:     hidden_group_size_y
      - .offset:         160
        .size:           2
        .value_kind:     hidden_group_size_z
      - .offset:         162
        .size:           2
        .value_kind:     hidden_remainder_x
      - .offset:         164
        .size:           2
        .value_kind:     hidden_remainder_y
      - .offset:         166
        .size:           2
        .value_kind:     hidden_remainder_z
      - .offset:         184
        .size:           8
        .value_kind:     hidden_global_offset_x
      - .offset:         192
        .size:           8
        .value_kind:     hidden_global_offset_y
      - .offset:         200
        .size:           8
        .value_kind:     hidden_global_offset_z
      - .offset:         208
        .size:           2
        .value_kind:     hidden_grid_dims
    .group_segment_fixed_size: 17472
    .kernarg_segment_align: 8
    .kernarg_segment_size: 400
    .language:       OpenCL C
    .language_version:
      - 2
      - 0
    .max_flat_workgroup_size: 256
    .name:           _Z39paged_attention_ll4mi_QKV_mfma16_kernelIDF16_hLN4vllm18Fp8KVCacheDataTypeE1EDF16_Li32ELi128ELi256ELb0ELi13EL8MFMAType0EEvPKT_PKT0_S8_ifPKiSA_SA_iPKfiiiPfSD_PS3_PT2_iSC_SC_
    .private_segment_fixed_size: 0
    .sgpr_count:     39
    .sgpr_spill_count: 0
    .symbol:         _Z39paged_attention_ll4mi_QKV_mfma16_kernelIDF16_hLN4vllm18Fp8KVCacheDataTypeE1EDF16_Li32ELi128ELi256ELb0ELi13EL8MFMAType0EEvPKT_PKT0_S8_ifPKiSA_SA_iPKfiiiPfSD_PS3_PT2_iSC_SC_.kd
    .uniform_work_group_size: 1
    .uses_dynamic_stack: false
    .vgpr_count:     150
    .vgpr_spill_count: 0
    .wavefront_size: 32
    .workgroup_processor_mode: 1
  - .args:
      - .actual_access:  read_only
        .address_space:  global
        .offset:         0
        .size:           8
        .value_kind:     global_buffer
      - .actual_access:  read_only
        .address_space:  global
        .offset:         8
        .size:           8
        .value_kind:     global_buffer
      - .actual_access:  read_only
        .address_space:  global
        .offset:         16
        .size:           8
        .value_kind:     global_buffer
      - .offset:         24
        .size:           4
        .value_kind:     by_value
      - .offset:         28
        .size:           4
        .value_kind:     by_value
      - .actual_access:  read_only
        .address_space:  global
        .offset:         32
        .size:           8
        .value_kind:     global_buffer
      - .actual_access:  read_only
        .address_space:  global
        .offset:         40
        .size:           8
        .value_kind:     global_buffer
      - .actual_access:  read_only
        .address_space:  global
        .offset:         48
        .size:           8
        .value_kind:     global_buffer
      - .offset:         56
        .size:           4
        .value_kind:     by_value
      - .actual_access:  read_only
        .address_space:  global
        .offset:         64
        .size:           8
        .value_kind:     global_buffer
      - .offset:         72
        .size:           4
        .value_kind:     by_value
      - .offset:         76
        .size:           4
        .value_kind:     by_value
      - .offset:         80
        .size:           4
        .value_kind:     by_value
      - .actual_access:  write_only
        .address_space:  global
        .offset:         88
        .size:           8
        .value_kind:     global_buffer
      - .actual_access:  write_only
        .address_space:  global
        .offset:         96
        .size:           8
        .value_kind:     global_buffer
      - .actual_access:  write_only
        .address_space:  global
        .offset:         104
        .size:           8
        .value_kind:     global_buffer
      - .actual_access:  read_only
        .address_space:  global
        .offset:         112
        .size:           8
        .value_kind:     global_buffer
      - .offset:         120
        .size:           4
        .value_kind:     by_value
      - .address_space:  global
        .offset:         128
        .size:           8
        .value_kind:     global_buffer
      - .address_space:  global
        .offset:         136
        .size:           8
        .value_kind:     global_buffer
      - .offset:         144
        .size:           4
        .value_kind:     hidden_block_count_x
      - .offset:         148
        .size:           4
        .value_kind:     hidden_block_count_y
      - .offset:         152
        .size:           4
        .value_kind:     hidden_block_count_z
      - .offset:         156
        .size:           2
        .value_kind:     hidden_group_size_x
      - .offset:         158
        .size:           2
        .value_kind:     hidden_group_size_y
      - .offset:         160
        .size:           2
        .value_kind:     hidden_group_size_z
      - .offset:         162
        .size:           2
        .value_kind:     hidden_remainder_x
      - .offset:         164
        .size:           2
        .value_kind:     hidden_remainder_y
      - .offset:         166
        .size:           2
        .value_kind:     hidden_remainder_z
      - .offset:         184
        .size:           8
        .value_kind:     hidden_global_offset_x
      - .offset:         192
        .size:           8
        .value_kind:     hidden_global_offset_y
      - .offset:         200
        .size:           8
        .value_kind:     hidden_global_offset_z
      - .offset:         208
        .size:           2
        .value_kind:     hidden_grid_dims
    .group_segment_fixed_size: 17472
    .kernarg_segment_align: 8
    .kernarg_segment_size: 400
    .language:       OpenCL C
    .language_version:
      - 2
      - 0
    .max_flat_workgroup_size: 256
    .name:           _Z39paged_attention_ll4mi_QKV_mfma16_kernelIDF16_hLN4vllm18Fp8KVCacheDataTypeE1EDF16_Li32ELi128ELi256ELb0ELi14EL8MFMAType0EEvPKT_PKT0_S8_ifPKiSA_SA_iPKfiiiPfSD_PS3_PT2_iSC_SC_
    .private_segment_fixed_size: 0
    .sgpr_count:     39
    .sgpr_spill_count: 0
    .symbol:         _Z39paged_attention_ll4mi_QKV_mfma16_kernelIDF16_hLN4vllm18Fp8KVCacheDataTypeE1EDF16_Li32ELi128ELi256ELb0ELi14EL8MFMAType0EEvPKT_PKT0_S8_ifPKiSA_SA_iPKfiiiPfSD_PS3_PT2_iSC_SC_.kd
    .uniform_work_group_size: 1
    .uses_dynamic_stack: false
    .vgpr_count:     150
    .vgpr_spill_count: 0
    .wavefront_size: 32
    .workgroup_processor_mode: 1
  - .args:
      - .actual_access:  read_only
        .address_space:  global
        .offset:         0
        .size:           8
        .value_kind:     global_buffer
      - .actual_access:  read_only
        .address_space:  global
        .offset:         8
        .size:           8
        .value_kind:     global_buffer
      - .actual_access:  read_only
        .address_space:  global
        .offset:         16
        .size:           8
        .value_kind:     global_buffer
      - .offset:         24
        .size:           4
        .value_kind:     by_value
      - .offset:         28
        .size:           4
        .value_kind:     by_value
      - .actual_access:  read_only
        .address_space:  global
        .offset:         32
        .size:           8
        .value_kind:     global_buffer
      - .actual_access:  read_only
        .address_space:  global
        .offset:         40
        .size:           8
        .value_kind:     global_buffer
      - .actual_access:  read_only
        .address_space:  global
        .offset:         48
        .size:           8
        .value_kind:     global_buffer
      - .offset:         56
        .size:           4
        .value_kind:     by_value
      - .actual_access:  read_only
        .address_space:  global
        .offset:         64
        .size:           8
        .value_kind:     global_buffer
      - .offset:         72
        .size:           4
        .value_kind:     by_value
      - .offset:         76
        .size:           4
        .value_kind:     by_value
      - .offset:         80
        .size:           4
        .value_kind:     by_value
      - .actual_access:  write_only
        .address_space:  global
        .offset:         88
        .size:           8
        .value_kind:     global_buffer
      - .actual_access:  write_only
        .address_space:  global
        .offset:         96
        .size:           8
        .value_kind:     global_buffer
      - .actual_access:  write_only
        .address_space:  global
        .offset:         104
        .size:           8
        .value_kind:     global_buffer
      - .actual_access:  read_only
        .address_space:  global
        .offset:         112
        .size:           8
        .value_kind:     global_buffer
      - .offset:         120
        .size:           4
        .value_kind:     by_value
      - .address_space:  global
        .offset:         128
        .size:           8
        .value_kind:     global_buffer
      - .address_space:  global
        .offset:         136
        .size:           8
        .value_kind:     global_buffer
      - .offset:         144
        .size:           4
        .value_kind:     hidden_block_count_x
      - .offset:         148
        .size:           4
        .value_kind:     hidden_block_count_y
      - .offset:         152
        .size:           4
        .value_kind:     hidden_block_count_z
      - .offset:         156
        .size:           2
        .value_kind:     hidden_group_size_x
      - .offset:         158
        .size:           2
        .value_kind:     hidden_group_size_y
      - .offset:         160
        .size:           2
        .value_kind:     hidden_group_size_z
      - .offset:         162
        .size:           2
        .value_kind:     hidden_remainder_x
      - .offset:         164
        .size:           2
        .value_kind:     hidden_remainder_y
      - .offset:         166
        .size:           2
        .value_kind:     hidden_remainder_z
      - .offset:         184
        .size:           8
        .value_kind:     hidden_global_offset_x
      - .offset:         192
        .size:           8
        .value_kind:     hidden_global_offset_y
      - .offset:         200
        .size:           8
        .value_kind:     hidden_global_offset_z
      - .offset:         208
        .size:           2
        .value_kind:     hidden_grid_dims
    .group_segment_fixed_size: 17472
    .kernarg_segment_align: 8
    .kernarg_segment_size: 400
    .language:       OpenCL C
    .language_version:
      - 2
      - 0
    .max_flat_workgroup_size: 256
    .name:           _Z39paged_attention_ll4mi_QKV_mfma16_kernelIDF16_hLN4vllm18Fp8KVCacheDataTypeE1EDF16_Li32ELi128ELi256ELb0ELi15EL8MFMAType0EEvPKT_PKT0_S8_ifPKiSA_SA_iPKfiiiPfSD_PS3_PT2_iSC_SC_
    .private_segment_fixed_size: 0
    .sgpr_count:     39
    .sgpr_spill_count: 0
    .symbol:         _Z39paged_attention_ll4mi_QKV_mfma16_kernelIDF16_hLN4vllm18Fp8KVCacheDataTypeE1EDF16_Li32ELi128ELi256ELb0ELi15EL8MFMAType0EEvPKT_PKT0_S8_ifPKiSA_SA_iPKfiiiPfSD_PS3_PT2_iSC_SC_.kd
    .uniform_work_group_size: 1
    .uses_dynamic_stack: false
    .vgpr_count:     150
    .vgpr_spill_count: 0
    .wavefront_size: 32
    .workgroup_processor_mode: 1
  - .args:
      - .actual_access:  read_only
        .address_space:  global
        .offset:         0
        .size:           8
        .value_kind:     global_buffer
      - .actual_access:  read_only
        .address_space:  global
        .offset:         8
        .size:           8
        .value_kind:     global_buffer
      - .actual_access:  read_only
        .address_space:  global
        .offset:         16
        .size:           8
        .value_kind:     global_buffer
      - .offset:         24
        .size:           4
        .value_kind:     by_value
      - .offset:         28
        .size:           4
        .value_kind:     by_value
      - .actual_access:  read_only
        .address_space:  global
        .offset:         32
        .size:           8
        .value_kind:     global_buffer
      - .actual_access:  read_only
        .address_space:  global
        .offset:         40
        .size:           8
        .value_kind:     global_buffer
      - .actual_access:  read_only
        .address_space:  global
        .offset:         48
        .size:           8
        .value_kind:     global_buffer
      - .offset:         56
        .size:           4
        .value_kind:     by_value
      - .actual_access:  read_only
        .address_space:  global
        .offset:         64
        .size:           8
        .value_kind:     global_buffer
      - .offset:         72
        .size:           4
        .value_kind:     by_value
      - .offset:         76
        .size:           4
        .value_kind:     by_value
      - .offset:         80
        .size:           4
        .value_kind:     by_value
      - .actual_access:  write_only
        .address_space:  global
        .offset:         88
        .size:           8
        .value_kind:     global_buffer
      - .actual_access:  write_only
        .address_space:  global
        .offset:         96
        .size:           8
        .value_kind:     global_buffer
      - .actual_access:  write_only
        .address_space:  global
        .offset:         104
        .size:           8
        .value_kind:     global_buffer
      - .actual_access:  read_only
        .address_space:  global
        .offset:         112
        .size:           8
        .value_kind:     global_buffer
      - .offset:         120
        .size:           4
        .value_kind:     by_value
      - .address_space:  global
        .offset:         128
        .size:           8
        .value_kind:     global_buffer
      - .address_space:  global
        .offset:         136
        .size:           8
        .value_kind:     global_buffer
      - .offset:         144
        .size:           4
        .value_kind:     hidden_block_count_x
      - .offset:         148
        .size:           4
        .value_kind:     hidden_block_count_y
      - .offset:         152
        .size:           4
        .value_kind:     hidden_block_count_z
      - .offset:         156
        .size:           2
        .value_kind:     hidden_group_size_x
      - .offset:         158
        .size:           2
        .value_kind:     hidden_group_size_y
      - .offset:         160
        .size:           2
        .value_kind:     hidden_group_size_z
      - .offset:         162
        .size:           2
        .value_kind:     hidden_remainder_x
      - .offset:         164
        .size:           2
        .value_kind:     hidden_remainder_y
      - .offset:         166
        .size:           2
        .value_kind:     hidden_remainder_z
      - .offset:         184
        .size:           8
        .value_kind:     hidden_global_offset_x
      - .offset:         192
        .size:           8
        .value_kind:     hidden_global_offset_y
      - .offset:         200
        .size:           8
        .value_kind:     hidden_global_offset_z
      - .offset:         208
        .size:           2
        .value_kind:     hidden_grid_dims
    .group_segment_fixed_size: 17472
    .kernarg_segment_align: 8
    .kernarg_segment_size: 400
    .language:       OpenCL C
    .language_version:
      - 2
      - 0
    .max_flat_workgroup_size: 256
    .name:           _Z39paged_attention_ll4mi_QKV_mfma16_kernelIDF16_hLN4vllm18Fp8KVCacheDataTypeE1EDF16_Li32ELi128ELi256ELb0ELi16EL8MFMAType0EEvPKT_PKT0_S8_ifPKiSA_SA_iPKfiiiPfSD_PS3_PT2_iSC_SC_
    .private_segment_fixed_size: 0
    .sgpr_count:     39
    .sgpr_spill_count: 0
    .symbol:         _Z39paged_attention_ll4mi_QKV_mfma16_kernelIDF16_hLN4vllm18Fp8KVCacheDataTypeE1EDF16_Li32ELi128ELi256ELb0ELi16EL8MFMAType0EEvPKT_PKT0_S8_ifPKiSA_SA_iPKfiiiPfSD_PS3_PT2_iSC_SC_.kd
    .uniform_work_group_size: 1
    .uses_dynamic_stack: false
    .vgpr_count:     140
    .vgpr_spill_count: 0
    .wavefront_size: 32
    .workgroup_processor_mode: 1
  - .args:
      - .actual_access:  read_only
        .address_space:  global
        .offset:         0
        .size:           8
        .value_kind:     global_buffer
      - .actual_access:  read_only
        .address_space:  global
        .offset:         8
        .size:           8
        .value_kind:     global_buffer
      - .actual_access:  read_only
        .address_space:  global
        .offset:         16
        .size:           8
        .value_kind:     global_buffer
      - .offset:         24
        .size:           4
        .value_kind:     by_value
      - .offset:         28
        .size:           4
        .value_kind:     by_value
      - .actual_access:  read_only
        .address_space:  global
        .offset:         32
        .size:           8
        .value_kind:     global_buffer
      - .actual_access:  read_only
        .address_space:  global
        .offset:         40
        .size:           8
        .value_kind:     global_buffer
      - .actual_access:  read_only
        .address_space:  global
        .offset:         48
        .size:           8
        .value_kind:     global_buffer
      - .offset:         56
        .size:           4
        .value_kind:     by_value
      - .actual_access:  read_only
        .address_space:  global
        .offset:         64
        .size:           8
        .value_kind:     global_buffer
      - .offset:         72
        .size:           4
        .value_kind:     by_value
      - .offset:         76
        .size:           4
        .value_kind:     by_value
      - .offset:         80
        .size:           4
        .value_kind:     by_value
      - .actual_access:  write_only
        .address_space:  global
        .offset:         88
        .size:           8
        .value_kind:     global_buffer
      - .actual_access:  write_only
        .address_space:  global
        .offset:         96
        .size:           8
        .value_kind:     global_buffer
      - .actual_access:  write_only
        .address_space:  global
        .offset:         104
        .size:           8
        .value_kind:     global_buffer
      - .actual_access:  read_only
        .address_space:  global
        .offset:         112
        .size:           8
        .value_kind:     global_buffer
      - .offset:         120
        .size:           4
        .value_kind:     by_value
      - .address_space:  global
        .offset:         128
        .size:           8
        .value_kind:     global_buffer
      - .address_space:  global
        .offset:         136
        .size:           8
        .value_kind:     global_buffer
      - .offset:         144
        .size:           4
        .value_kind:     hidden_block_count_x
      - .offset:         148
        .size:           4
        .value_kind:     hidden_block_count_y
      - .offset:         152
        .size:           4
        .value_kind:     hidden_block_count_z
      - .offset:         156
        .size:           2
        .value_kind:     hidden_group_size_x
      - .offset:         158
        .size:           2
        .value_kind:     hidden_group_size_y
      - .offset:         160
        .size:           2
        .value_kind:     hidden_group_size_z
      - .offset:         162
        .size:           2
        .value_kind:     hidden_remainder_x
      - .offset:         164
        .size:           2
        .value_kind:     hidden_remainder_y
      - .offset:         166
        .size:           2
        .value_kind:     hidden_remainder_z
      - .offset:         184
        .size:           8
        .value_kind:     hidden_global_offset_x
      - .offset:         192
        .size:           8
        .value_kind:     hidden_global_offset_y
      - .offset:         200
        .size:           8
        .value_kind:     hidden_global_offset_z
      - .offset:         208
        .size:           2
        .value_kind:     hidden_grid_dims
    .group_segment_fixed_size: 17472
    .kernarg_segment_align: 8
    .kernarg_segment_size: 400
    .language:       OpenCL C
    .language_version:
      - 2
      - 0
    .max_flat_workgroup_size: 256
    .name:           _Z39paged_attention_ll4mi_QKV_mfma16_kernelIDF16_hLN4vllm18Fp8KVCacheDataTypeE1EDF16_Li32ELi128ELi256ELb0ELi1EL8MFMAType0EEvPKT_PKT0_S8_ifPKiSA_SA_iPKfiiiPfSD_PS3_PT2_iSC_SC_
    .private_segment_fixed_size: 0
    .sgpr_count:     70
    .sgpr_spill_count: 0
    .symbol:         _Z39paged_attention_ll4mi_QKV_mfma16_kernelIDF16_hLN4vllm18Fp8KVCacheDataTypeE1EDF16_Li32ELi128ELi256ELb0ELi1EL8MFMAType0EEvPKT_PKT0_S8_ifPKiSA_SA_iPKfiiiPfSD_PS3_PT2_iSC_SC_.kd
    .uniform_work_group_size: 1
    .uses_dynamic_stack: false
    .vgpr_count:     134
    .vgpr_spill_count: 0
    .wavefront_size: 32
    .workgroup_processor_mode: 1
  - .args:
      - .actual_access:  read_only
        .address_space:  global
        .offset:         0
        .size:           8
        .value_kind:     global_buffer
      - .actual_access:  read_only
        .address_space:  global
        .offset:         8
        .size:           8
        .value_kind:     global_buffer
      - .actual_access:  read_only
        .address_space:  global
        .offset:         16
        .size:           8
        .value_kind:     global_buffer
      - .offset:         24
        .size:           4
        .value_kind:     by_value
      - .offset:         28
        .size:           4
        .value_kind:     by_value
      - .actual_access:  read_only
        .address_space:  global
        .offset:         32
        .size:           8
        .value_kind:     global_buffer
      - .actual_access:  read_only
        .address_space:  global
        .offset:         40
        .size:           8
        .value_kind:     global_buffer
      - .actual_access:  read_only
        .address_space:  global
        .offset:         48
        .size:           8
        .value_kind:     global_buffer
      - .offset:         56
        .size:           4
        .value_kind:     by_value
      - .actual_access:  read_only
        .address_space:  global
        .offset:         64
        .size:           8
        .value_kind:     global_buffer
      - .offset:         72
        .size:           4
        .value_kind:     by_value
      - .offset:         76
        .size:           4
        .value_kind:     by_value
      - .offset:         80
        .size:           4
        .value_kind:     by_value
      - .actual_access:  write_only
        .address_space:  global
        .offset:         88
        .size:           8
        .value_kind:     global_buffer
      - .actual_access:  write_only
        .address_space:  global
        .offset:         96
        .size:           8
        .value_kind:     global_buffer
      - .actual_access:  write_only
        .address_space:  global
        .offset:         104
        .size:           8
        .value_kind:     global_buffer
      - .actual_access:  read_only
        .address_space:  global
        .offset:         112
        .size:           8
        .value_kind:     global_buffer
      - .offset:         120
        .size:           4
        .value_kind:     by_value
      - .address_space:  global
        .offset:         128
        .size:           8
        .value_kind:     global_buffer
      - .address_space:  global
        .offset:         136
        .size:           8
        .value_kind:     global_buffer
      - .offset:         144
        .size:           4
        .value_kind:     hidden_block_count_x
      - .offset:         148
        .size:           4
        .value_kind:     hidden_block_count_y
      - .offset:         152
        .size:           4
        .value_kind:     hidden_block_count_z
      - .offset:         156
        .size:           2
        .value_kind:     hidden_group_size_x
      - .offset:         158
        .size:           2
        .value_kind:     hidden_group_size_y
      - .offset:         160
        .size:           2
        .value_kind:     hidden_group_size_z
      - .offset:         162
        .size:           2
        .value_kind:     hidden_remainder_x
      - .offset:         164
        .size:           2
        .value_kind:     hidden_remainder_y
      - .offset:         166
        .size:           2
        .value_kind:     hidden_remainder_z
      - .offset:         184
        .size:           8
        .value_kind:     hidden_global_offset_x
      - .offset:         192
        .size:           8
        .value_kind:     hidden_global_offset_y
      - .offset:         200
        .size:           8
        .value_kind:     hidden_global_offset_z
      - .offset:         208
        .size:           2
        .value_kind:     hidden_grid_dims
    .group_segment_fixed_size: 17472
    .kernarg_segment_align: 8
    .kernarg_segment_size: 400
    .language:       OpenCL C
    .language_version:
      - 2
      - 0
    .max_flat_workgroup_size: 256
    .name:           _Z39paged_attention_ll4mi_QKV_mfma16_kernelIDF16_hLN4vllm18Fp8KVCacheDataTypeE1EDF16_Li32ELi128ELi256ELb0ELi2EL8MFMAType0EEvPKT_PKT0_S8_ifPKiSA_SA_iPKfiiiPfSD_PS3_PT2_iSC_SC_
    .private_segment_fixed_size: 0
    .sgpr_count:     41
    .sgpr_spill_count: 0
    .symbol:         _Z39paged_attention_ll4mi_QKV_mfma16_kernelIDF16_hLN4vllm18Fp8KVCacheDataTypeE1EDF16_Li32ELi128ELi256ELb0ELi2EL8MFMAType0EEvPKT_PKT0_S8_ifPKiSA_SA_iPKfiiiPfSD_PS3_PT2_iSC_SC_.kd
    .uniform_work_group_size: 1
    .uses_dynamic_stack: false
    .vgpr_count:     146
    .vgpr_spill_count: 0
    .wavefront_size: 32
    .workgroup_processor_mode: 1
  - .args:
      - .actual_access:  read_only
        .address_space:  global
        .offset:         0
        .size:           8
        .value_kind:     global_buffer
      - .actual_access:  read_only
        .address_space:  global
        .offset:         8
        .size:           8
        .value_kind:     global_buffer
      - .actual_access:  read_only
        .address_space:  global
        .offset:         16
        .size:           8
        .value_kind:     global_buffer
      - .offset:         24
        .size:           4
        .value_kind:     by_value
      - .offset:         28
        .size:           4
        .value_kind:     by_value
      - .actual_access:  read_only
        .address_space:  global
        .offset:         32
        .size:           8
        .value_kind:     global_buffer
      - .actual_access:  read_only
        .address_space:  global
        .offset:         40
        .size:           8
        .value_kind:     global_buffer
      - .actual_access:  read_only
        .address_space:  global
        .offset:         48
        .size:           8
        .value_kind:     global_buffer
      - .offset:         56
        .size:           4
        .value_kind:     by_value
      - .actual_access:  read_only
        .address_space:  global
        .offset:         64
        .size:           8
        .value_kind:     global_buffer
      - .offset:         72
        .size:           4
        .value_kind:     by_value
      - .offset:         76
        .size:           4
        .value_kind:     by_value
      - .offset:         80
        .size:           4
        .value_kind:     by_value
      - .actual_access:  write_only
        .address_space:  global
        .offset:         88
        .size:           8
        .value_kind:     global_buffer
      - .actual_access:  write_only
        .address_space:  global
        .offset:         96
        .size:           8
        .value_kind:     global_buffer
      - .actual_access:  write_only
        .address_space:  global
        .offset:         104
        .size:           8
        .value_kind:     global_buffer
      - .actual_access:  read_only
        .address_space:  global
        .offset:         112
        .size:           8
        .value_kind:     global_buffer
      - .offset:         120
        .size:           4
        .value_kind:     by_value
      - .address_space:  global
        .offset:         128
        .size:           8
        .value_kind:     global_buffer
      - .address_space:  global
        .offset:         136
        .size:           8
        .value_kind:     global_buffer
      - .offset:         144
        .size:           4
        .value_kind:     hidden_block_count_x
      - .offset:         148
        .size:           4
        .value_kind:     hidden_block_count_y
      - .offset:         152
        .size:           4
        .value_kind:     hidden_block_count_z
      - .offset:         156
        .size:           2
        .value_kind:     hidden_group_size_x
      - .offset:         158
        .size:           2
        .value_kind:     hidden_group_size_y
      - .offset:         160
        .size:           2
        .value_kind:     hidden_group_size_z
      - .offset:         162
        .size:           2
        .value_kind:     hidden_remainder_x
      - .offset:         164
        .size:           2
        .value_kind:     hidden_remainder_y
      - .offset:         166
        .size:           2
        .value_kind:     hidden_remainder_z
      - .offset:         184
        .size:           8
        .value_kind:     hidden_global_offset_x
      - .offset:         192
        .size:           8
        .value_kind:     hidden_global_offset_y
      - .offset:         200
        .size:           8
        .value_kind:     hidden_global_offset_z
      - .offset:         208
        .size:           2
        .value_kind:     hidden_grid_dims
    .group_segment_fixed_size: 17472
    .kernarg_segment_align: 8
    .kernarg_segment_size: 400
    .language:       OpenCL C
    .language_version:
      - 2
      - 0
    .max_flat_workgroup_size: 256
    .name:           _Z39paged_attention_ll4mi_QKV_mfma16_kernelIDF16_hLN4vllm18Fp8KVCacheDataTypeE1EDF16_Li32ELi128ELi256ELb0ELi3EL8MFMAType0EEvPKT_PKT0_S8_ifPKiSA_SA_iPKfiiiPfSD_PS3_PT2_iSC_SC_
    .private_segment_fixed_size: 0
    .sgpr_count:     39
    .sgpr_spill_count: 0
    .symbol:         _Z39paged_attention_ll4mi_QKV_mfma16_kernelIDF16_hLN4vllm18Fp8KVCacheDataTypeE1EDF16_Li32ELi128ELi256ELb0ELi3EL8MFMAType0EEvPKT_PKT0_S8_ifPKiSA_SA_iPKfiiiPfSD_PS3_PT2_iSC_SC_.kd
    .uniform_work_group_size: 1
    .uses_dynamic_stack: false
    .vgpr_count:     150
    .vgpr_spill_count: 0
    .wavefront_size: 32
    .workgroup_processor_mode: 1
  - .args:
      - .actual_access:  read_only
        .address_space:  global
        .offset:         0
        .size:           8
        .value_kind:     global_buffer
      - .actual_access:  read_only
        .address_space:  global
        .offset:         8
        .size:           8
        .value_kind:     global_buffer
      - .actual_access:  read_only
        .address_space:  global
        .offset:         16
        .size:           8
        .value_kind:     global_buffer
      - .offset:         24
        .size:           4
        .value_kind:     by_value
      - .offset:         28
        .size:           4
        .value_kind:     by_value
      - .actual_access:  read_only
        .address_space:  global
        .offset:         32
        .size:           8
        .value_kind:     global_buffer
      - .actual_access:  read_only
        .address_space:  global
        .offset:         40
        .size:           8
        .value_kind:     global_buffer
      - .actual_access:  read_only
        .address_space:  global
        .offset:         48
        .size:           8
        .value_kind:     global_buffer
      - .offset:         56
        .size:           4
        .value_kind:     by_value
      - .actual_access:  read_only
        .address_space:  global
        .offset:         64
        .size:           8
        .value_kind:     global_buffer
      - .offset:         72
        .size:           4
        .value_kind:     by_value
      - .offset:         76
        .size:           4
        .value_kind:     by_value
      - .offset:         80
        .size:           4
        .value_kind:     by_value
      - .actual_access:  write_only
        .address_space:  global
        .offset:         88
        .size:           8
        .value_kind:     global_buffer
      - .actual_access:  write_only
        .address_space:  global
        .offset:         96
        .size:           8
        .value_kind:     global_buffer
      - .actual_access:  write_only
        .address_space:  global
        .offset:         104
        .size:           8
        .value_kind:     global_buffer
      - .actual_access:  read_only
        .address_space:  global
        .offset:         112
        .size:           8
        .value_kind:     global_buffer
      - .offset:         120
        .size:           4
        .value_kind:     by_value
      - .address_space:  global
        .offset:         128
        .size:           8
        .value_kind:     global_buffer
      - .address_space:  global
        .offset:         136
        .size:           8
        .value_kind:     global_buffer
      - .offset:         144
        .size:           4
        .value_kind:     hidden_block_count_x
      - .offset:         148
        .size:           4
        .value_kind:     hidden_block_count_y
      - .offset:         152
        .size:           4
        .value_kind:     hidden_block_count_z
      - .offset:         156
        .size:           2
        .value_kind:     hidden_group_size_x
      - .offset:         158
        .size:           2
        .value_kind:     hidden_group_size_y
      - .offset:         160
        .size:           2
        .value_kind:     hidden_group_size_z
      - .offset:         162
        .size:           2
        .value_kind:     hidden_remainder_x
      - .offset:         164
        .size:           2
        .value_kind:     hidden_remainder_y
      - .offset:         166
        .size:           2
        .value_kind:     hidden_remainder_z
      - .offset:         184
        .size:           8
        .value_kind:     hidden_global_offset_x
      - .offset:         192
        .size:           8
        .value_kind:     hidden_global_offset_y
      - .offset:         200
        .size:           8
        .value_kind:     hidden_global_offset_z
      - .offset:         208
        .size:           2
        .value_kind:     hidden_grid_dims
    .group_segment_fixed_size: 17472
    .kernarg_segment_align: 8
    .kernarg_segment_size: 400
    .language:       OpenCL C
    .language_version:
      - 2
      - 0
    .max_flat_workgroup_size: 256
    .name:           _Z39paged_attention_ll4mi_QKV_mfma16_kernelIDF16_hLN4vllm18Fp8KVCacheDataTypeE1EDF16_Li32ELi128ELi256ELb0ELi4EL8MFMAType0EEvPKT_PKT0_S8_ifPKiSA_SA_iPKfiiiPfSD_PS3_PT2_iSC_SC_
    .private_segment_fixed_size: 0
    .sgpr_count:     38
    .sgpr_spill_count: 0
    .symbol:         _Z39paged_attention_ll4mi_QKV_mfma16_kernelIDF16_hLN4vllm18Fp8KVCacheDataTypeE1EDF16_Li32ELi128ELi256ELb0ELi4EL8MFMAType0EEvPKT_PKT0_S8_ifPKiSA_SA_iPKfiiiPfSD_PS3_PT2_iSC_SC_.kd
    .uniform_work_group_size: 1
    .uses_dynamic_stack: false
    .vgpr_count:     140
    .vgpr_spill_count: 0
    .wavefront_size: 32
    .workgroup_processor_mode: 1
  - .args:
      - .actual_access:  read_only
        .address_space:  global
        .offset:         0
        .size:           8
        .value_kind:     global_buffer
      - .actual_access:  read_only
        .address_space:  global
        .offset:         8
        .size:           8
        .value_kind:     global_buffer
      - .actual_access:  read_only
        .address_space:  global
        .offset:         16
        .size:           8
        .value_kind:     global_buffer
      - .offset:         24
        .size:           4
        .value_kind:     by_value
      - .offset:         28
        .size:           4
        .value_kind:     by_value
      - .actual_access:  read_only
        .address_space:  global
        .offset:         32
        .size:           8
        .value_kind:     global_buffer
      - .actual_access:  read_only
        .address_space:  global
        .offset:         40
        .size:           8
        .value_kind:     global_buffer
      - .actual_access:  read_only
        .address_space:  global
        .offset:         48
        .size:           8
        .value_kind:     global_buffer
      - .offset:         56
        .size:           4
        .value_kind:     by_value
      - .actual_access:  read_only
        .address_space:  global
        .offset:         64
        .size:           8
        .value_kind:     global_buffer
      - .offset:         72
        .size:           4
        .value_kind:     by_value
      - .offset:         76
        .size:           4
        .value_kind:     by_value
      - .offset:         80
        .size:           4
        .value_kind:     by_value
      - .actual_access:  read_only
        .address_space:  global
        .offset:         88
        .size:           8
        .value_kind:     global_buffer
      - .actual_access:  read_only
        .address_space:  global
        .offset:         96
        .size:           8
        .value_kind:     global_buffer
      - .actual_access:  read_only
        .address_space:  global
        .offset:         104
        .size:           8
        .value_kind:     global_buffer
      - .actual_access:  read_only
        .address_space:  global
        .offset:         112
        .size:           8
        .value_kind:     global_buffer
      - .offset:         120
        .size:           4
        .value_kind:     by_value
      - .address_space:  global
        .offset:         128
        .size:           8
        .value_kind:     global_buffer
      - .address_space:  global
        .offset:         136
        .size:           8
        .value_kind:     global_buffer
      - .offset:         144
        .size:           4
        .value_kind:     hidden_block_count_x
      - .offset:         148
        .size:           4
        .value_kind:     hidden_block_count_y
      - .offset:         152
        .size:           4
        .value_kind:     hidden_block_count_z
      - .offset:         156
        .size:           2
        .value_kind:     hidden_group_size_x
      - .offset:         158
        .size:           2
        .value_kind:     hidden_group_size_y
      - .offset:         160
        .size:           2
        .value_kind:     hidden_group_size_z
      - .offset:         162
        .size:           2
        .value_kind:     hidden_remainder_x
      - .offset:         164
        .size:           2
        .value_kind:     hidden_remainder_y
      - .offset:         166
        .size:           2
        .value_kind:     hidden_remainder_z
      - .offset:         184
        .size:           8
        .value_kind:     hidden_global_offset_x
      - .offset:         192
        .size:           8
        .value_kind:     hidden_global_offset_y
      - .offset:         200
        .size:           8
        .value_kind:     hidden_global_offset_z
      - .offset:         208
        .size:           2
        .value_kind:     hidden_grid_dims
      - .offset:         224
        .size:           8
        .value_kind:     hidden_hostcall_buffer
    .group_segment_fixed_size: 0
    .kernarg_segment_align: 8
    .kernarg_segment_size: 400
    .language:       OpenCL C
    .language_version:
      - 2
      - 0
    .max_flat_workgroup_size: 256
    .name:           _Z38paged_attention_ll4mi_QKV_mfma4_kernelI14__hip_bfloat16hLN4vllm18Fp8KVCacheDataTypeE1EhLi16ELi64ELi256ELb1ELi1EEvPKT_PKT0_S8_ifPKiSA_SA_iPKfiiiPfSD_PS3_PT2_iSC_SC_
    .private_segment_fixed_size: 64
    .sgpr_count:     36
    .sgpr_spill_count: 0
    .symbol:         _Z38paged_attention_ll4mi_QKV_mfma4_kernelI14__hip_bfloat16hLN4vllm18Fp8KVCacheDataTypeE1EhLi16ELi64ELi256ELb1ELi1EEvPKT_PKT0_S8_ifPKiSA_SA_iPKfiiiPfSD_PS3_PT2_iSC_SC_.kd
    .uniform_work_group_size: 1
    .uses_dynamic_stack: false
    .vgpr_count:     41
    .vgpr_spill_count: 0
    .wavefront_size: 32
    .workgroup_processor_mode: 1
  - .args:
      - .actual_access:  read_only
        .address_space:  global
        .offset:         0
        .size:           8
        .value_kind:     global_buffer
      - .actual_access:  read_only
        .address_space:  global
        .offset:         8
        .size:           8
        .value_kind:     global_buffer
      - .actual_access:  read_only
        .address_space:  global
        .offset:         16
        .size:           8
        .value_kind:     global_buffer
      - .offset:         24
        .size:           4
        .value_kind:     by_value
      - .offset:         28
        .size:           4
        .value_kind:     by_value
      - .actual_access:  read_only
        .address_space:  global
        .offset:         32
        .size:           8
        .value_kind:     global_buffer
      - .actual_access:  read_only
        .address_space:  global
        .offset:         40
        .size:           8
        .value_kind:     global_buffer
      - .actual_access:  read_only
        .address_space:  global
        .offset:         48
        .size:           8
        .value_kind:     global_buffer
      - .offset:         56
        .size:           4
        .value_kind:     by_value
      - .actual_access:  read_only
        .address_space:  global
        .offset:         64
        .size:           8
        .value_kind:     global_buffer
      - .offset:         72
        .size:           4
        .value_kind:     by_value
      - .offset:         76
        .size:           4
        .value_kind:     by_value
      - .offset:         80
        .size:           4
        .value_kind:     by_value
      - .actual_access:  read_only
        .address_space:  global
        .offset:         88
        .size:           8
        .value_kind:     global_buffer
      - .actual_access:  read_only
        .address_space:  global
        .offset:         96
        .size:           8
        .value_kind:     global_buffer
      - .actual_access:  read_only
        .address_space:  global
        .offset:         104
        .size:           8
        .value_kind:     global_buffer
      - .actual_access:  read_only
        .address_space:  global
        .offset:         112
        .size:           8
        .value_kind:     global_buffer
      - .offset:         120
        .size:           4
        .value_kind:     by_value
      - .address_space:  global
        .offset:         128
        .size:           8
        .value_kind:     global_buffer
      - .address_space:  global
        .offset:         136
        .size:           8
        .value_kind:     global_buffer
      - .offset:         144
        .size:           4
        .value_kind:     hidden_block_count_x
      - .offset:         148
        .size:           4
        .value_kind:     hidden_block_count_y
      - .offset:         152
        .size:           4
        .value_kind:     hidden_block_count_z
      - .offset:         156
        .size:           2
        .value_kind:     hidden_group_size_x
      - .offset:         158
        .size:           2
        .value_kind:     hidden_group_size_y
      - .offset:         160
        .size:           2
        .value_kind:     hidden_group_size_z
      - .offset:         162
        .size:           2
        .value_kind:     hidden_remainder_x
      - .offset:         164
        .size:           2
        .value_kind:     hidden_remainder_y
      - .offset:         166
        .size:           2
        .value_kind:     hidden_remainder_z
      - .offset:         184
        .size:           8
        .value_kind:     hidden_global_offset_x
      - .offset:         192
        .size:           8
        .value_kind:     hidden_global_offset_y
      - .offset:         200
        .size:           8
        .value_kind:     hidden_global_offset_z
      - .offset:         208
        .size:           2
        .value_kind:     hidden_grid_dims
      - .offset:         224
        .size:           8
        .value_kind:     hidden_hostcall_buffer
    .group_segment_fixed_size: 0
    .kernarg_segment_align: 8
    .kernarg_segment_size: 400
    .language:       OpenCL C
    .language_version:
      - 2
      - 0
    .max_flat_workgroup_size: 256
    .name:           _Z38paged_attention_ll4mi_QKV_mfma4_kernelI14__hip_bfloat16hLN4vllm18Fp8KVCacheDataTypeE1EhLi16ELi64ELi256ELb1ELi2EEvPKT_PKT0_S8_ifPKiSA_SA_iPKfiiiPfSD_PS3_PT2_iSC_SC_
    .private_segment_fixed_size: 64
    .sgpr_count:     36
    .sgpr_spill_count: 0
    .symbol:         _Z38paged_attention_ll4mi_QKV_mfma4_kernelI14__hip_bfloat16hLN4vllm18Fp8KVCacheDataTypeE1EhLi16ELi64ELi256ELb1ELi2EEvPKT_PKT0_S8_ifPKiSA_SA_iPKfiiiPfSD_PS3_PT2_iSC_SC_.kd
    .uniform_work_group_size: 1
    .uses_dynamic_stack: false
    .vgpr_count:     41
    .vgpr_spill_count: 0
    .wavefront_size: 32
    .workgroup_processor_mode: 1
  - .args:
      - .actual_access:  read_only
        .address_space:  global
        .offset:         0
        .size:           8
        .value_kind:     global_buffer
      - .actual_access:  read_only
        .address_space:  global
        .offset:         8
        .size:           8
        .value_kind:     global_buffer
      - .actual_access:  read_only
        .address_space:  global
        .offset:         16
        .size:           8
        .value_kind:     global_buffer
      - .offset:         24
        .size:           4
        .value_kind:     by_value
      - .offset:         28
        .size:           4
        .value_kind:     by_value
      - .actual_access:  read_only
        .address_space:  global
        .offset:         32
        .size:           8
        .value_kind:     global_buffer
      - .actual_access:  read_only
        .address_space:  global
        .offset:         40
        .size:           8
        .value_kind:     global_buffer
      - .actual_access:  read_only
        .address_space:  global
        .offset:         48
        .size:           8
        .value_kind:     global_buffer
      - .offset:         56
        .size:           4
        .value_kind:     by_value
      - .actual_access:  read_only
        .address_space:  global
        .offset:         64
        .size:           8
        .value_kind:     global_buffer
      - .offset:         72
        .size:           4
        .value_kind:     by_value
      - .offset:         76
        .size:           4
        .value_kind:     by_value
      - .offset:         80
        .size:           4
        .value_kind:     by_value
      - .actual_access:  read_only
        .address_space:  global
        .offset:         88
        .size:           8
        .value_kind:     global_buffer
      - .actual_access:  read_only
        .address_space:  global
        .offset:         96
        .size:           8
        .value_kind:     global_buffer
      - .actual_access:  read_only
        .address_space:  global
        .offset:         104
        .size:           8
        .value_kind:     global_buffer
      - .actual_access:  read_only
        .address_space:  global
        .offset:         112
        .size:           8
        .value_kind:     global_buffer
      - .offset:         120
        .size:           4
        .value_kind:     by_value
      - .address_space:  global
        .offset:         128
        .size:           8
        .value_kind:     global_buffer
      - .address_space:  global
        .offset:         136
        .size:           8
        .value_kind:     global_buffer
      - .offset:         144
        .size:           4
        .value_kind:     hidden_block_count_x
      - .offset:         148
        .size:           4
        .value_kind:     hidden_block_count_y
      - .offset:         152
        .size:           4
        .value_kind:     hidden_block_count_z
      - .offset:         156
        .size:           2
        .value_kind:     hidden_group_size_x
      - .offset:         158
        .size:           2
        .value_kind:     hidden_group_size_y
      - .offset:         160
        .size:           2
        .value_kind:     hidden_group_size_z
      - .offset:         162
        .size:           2
        .value_kind:     hidden_remainder_x
      - .offset:         164
        .size:           2
        .value_kind:     hidden_remainder_y
      - .offset:         166
        .size:           2
        .value_kind:     hidden_remainder_z
      - .offset:         184
        .size:           8
        .value_kind:     hidden_global_offset_x
      - .offset:         192
        .size:           8
        .value_kind:     hidden_global_offset_y
      - .offset:         200
        .size:           8
        .value_kind:     hidden_global_offset_z
      - .offset:         208
        .size:           2
        .value_kind:     hidden_grid_dims
      - .offset:         224
        .size:           8
        .value_kind:     hidden_hostcall_buffer
    .group_segment_fixed_size: 0
    .kernarg_segment_align: 8
    .kernarg_segment_size: 400
    .language:       OpenCL C
    .language_version:
      - 2
      - 0
    .max_flat_workgroup_size: 256
    .name:           _Z38paged_attention_ll4mi_QKV_mfma4_kernelI14__hip_bfloat16hLN4vllm18Fp8KVCacheDataTypeE1EhLi16ELi64ELi256ELb1ELi3EEvPKT_PKT0_S8_ifPKiSA_SA_iPKfiiiPfSD_PS3_PT2_iSC_SC_
    .private_segment_fixed_size: 64
    .sgpr_count:     36
    .sgpr_spill_count: 0
    .symbol:         _Z38paged_attention_ll4mi_QKV_mfma4_kernelI14__hip_bfloat16hLN4vllm18Fp8KVCacheDataTypeE1EhLi16ELi64ELi256ELb1ELi3EEvPKT_PKT0_S8_ifPKiSA_SA_iPKfiiiPfSD_PS3_PT2_iSC_SC_.kd
    .uniform_work_group_size: 1
    .uses_dynamic_stack: false
    .vgpr_count:     41
    .vgpr_spill_count: 0
    .wavefront_size: 32
    .workgroup_processor_mode: 1
  - .args:
      - .actual_access:  read_only
        .address_space:  global
        .offset:         0
        .size:           8
        .value_kind:     global_buffer
      - .actual_access:  read_only
        .address_space:  global
        .offset:         8
        .size:           8
        .value_kind:     global_buffer
      - .actual_access:  read_only
        .address_space:  global
        .offset:         16
        .size:           8
        .value_kind:     global_buffer
      - .offset:         24
        .size:           4
        .value_kind:     by_value
      - .offset:         28
        .size:           4
        .value_kind:     by_value
      - .actual_access:  read_only
        .address_space:  global
        .offset:         32
        .size:           8
        .value_kind:     global_buffer
      - .actual_access:  read_only
        .address_space:  global
        .offset:         40
        .size:           8
        .value_kind:     global_buffer
      - .actual_access:  read_only
        .address_space:  global
        .offset:         48
        .size:           8
        .value_kind:     global_buffer
      - .offset:         56
        .size:           4
        .value_kind:     by_value
      - .actual_access:  read_only
        .address_space:  global
        .offset:         64
        .size:           8
        .value_kind:     global_buffer
      - .offset:         72
        .size:           4
        .value_kind:     by_value
      - .offset:         76
        .size:           4
        .value_kind:     by_value
      - .offset:         80
        .size:           4
        .value_kind:     by_value
      - .actual_access:  read_only
        .address_space:  global
        .offset:         88
        .size:           8
        .value_kind:     global_buffer
      - .actual_access:  read_only
        .address_space:  global
        .offset:         96
        .size:           8
        .value_kind:     global_buffer
      - .actual_access:  read_only
        .address_space:  global
        .offset:         104
        .size:           8
        .value_kind:     global_buffer
      - .actual_access:  read_only
        .address_space:  global
        .offset:         112
        .size:           8
        .value_kind:     global_buffer
      - .offset:         120
        .size:           4
        .value_kind:     by_value
      - .address_space:  global
        .offset:         128
        .size:           8
        .value_kind:     global_buffer
      - .address_space:  global
        .offset:         136
        .size:           8
        .value_kind:     global_buffer
      - .offset:         144
        .size:           4
        .value_kind:     hidden_block_count_x
      - .offset:         148
        .size:           4
        .value_kind:     hidden_block_count_y
      - .offset:         152
        .size:           4
        .value_kind:     hidden_block_count_z
      - .offset:         156
        .size:           2
        .value_kind:     hidden_group_size_x
      - .offset:         158
        .size:           2
        .value_kind:     hidden_group_size_y
      - .offset:         160
        .size:           2
        .value_kind:     hidden_group_size_z
      - .offset:         162
        .size:           2
        .value_kind:     hidden_remainder_x
      - .offset:         164
        .size:           2
        .value_kind:     hidden_remainder_y
      - .offset:         166
        .size:           2
        .value_kind:     hidden_remainder_z
      - .offset:         184
        .size:           8
        .value_kind:     hidden_global_offset_x
      - .offset:         192
        .size:           8
        .value_kind:     hidden_global_offset_y
      - .offset:         200
        .size:           8
        .value_kind:     hidden_global_offset_z
      - .offset:         208
        .size:           2
        .value_kind:     hidden_grid_dims
      - .offset:         224
        .size:           8
        .value_kind:     hidden_hostcall_buffer
    .group_segment_fixed_size: 0
    .kernarg_segment_align: 8
    .kernarg_segment_size: 400
    .language:       OpenCL C
    .language_version:
      - 2
      - 0
    .max_flat_workgroup_size: 256
    .name:           _Z38paged_attention_ll4mi_QKV_mfma4_kernelI14__hip_bfloat16hLN4vllm18Fp8KVCacheDataTypeE1EhLi16ELi64ELi256ELb1ELi4EEvPKT_PKT0_S8_ifPKiSA_SA_iPKfiiiPfSD_PS3_PT2_iSC_SC_
    .private_segment_fixed_size: 64
    .sgpr_count:     36
    .sgpr_spill_count: 0
    .symbol:         _Z38paged_attention_ll4mi_QKV_mfma4_kernelI14__hip_bfloat16hLN4vllm18Fp8KVCacheDataTypeE1EhLi16ELi64ELi256ELb1ELi4EEvPKT_PKT0_S8_ifPKiSA_SA_iPKfiiiPfSD_PS3_PT2_iSC_SC_.kd
    .uniform_work_group_size: 1
    .uses_dynamic_stack: false
    .vgpr_count:     41
    .vgpr_spill_count: 0
    .wavefront_size: 32
    .workgroup_processor_mode: 1
  - .args:
      - .actual_access:  read_only
        .address_space:  global
        .offset:         0
        .size:           8
        .value_kind:     global_buffer
      - .actual_access:  read_only
        .address_space:  global
        .offset:         8
        .size:           8
        .value_kind:     global_buffer
      - .actual_access:  read_only
        .address_space:  global
        .offset:         16
        .size:           8
        .value_kind:     global_buffer
      - .offset:         24
        .size:           4
        .value_kind:     by_value
      - .offset:         28
        .size:           4
        .value_kind:     by_value
      - .actual_access:  read_only
        .address_space:  global
        .offset:         32
        .size:           8
        .value_kind:     global_buffer
      - .actual_access:  read_only
        .address_space:  global
        .offset:         40
        .size:           8
        .value_kind:     global_buffer
      - .actual_access:  read_only
        .address_space:  global
        .offset:         48
        .size:           8
        .value_kind:     global_buffer
      - .offset:         56
        .size:           4
        .value_kind:     by_value
      - .actual_access:  read_only
        .address_space:  global
        .offset:         64
        .size:           8
        .value_kind:     global_buffer
      - .offset:         72
        .size:           4
        .value_kind:     by_value
      - .offset:         76
        .size:           4
        .value_kind:     by_value
      - .offset:         80
        .size:           4
        .value_kind:     by_value
      - .actual_access:  write_only
        .address_space:  global
        .offset:         88
        .size:           8
        .value_kind:     global_buffer
      - .actual_access:  write_only
        .address_space:  global
        .offset:         96
        .size:           8
        .value_kind:     global_buffer
      - .actual_access:  write_only
        .address_space:  global
        .offset:         104
        .size:           8
        .value_kind:     global_buffer
      - .actual_access:  read_only
        .address_space:  global
        .offset:         112
        .size:           8
        .value_kind:     global_buffer
      - .offset:         120
        .size:           4
        .value_kind:     by_value
      - .address_space:  global
        .offset:         128
        .size:           8
        .value_kind:     global_buffer
      - .address_space:  global
        .offset:         136
        .size:           8
        .value_kind:     global_buffer
      - .offset:         144
        .size:           4
        .value_kind:     hidden_block_count_x
      - .offset:         148
        .size:           4
        .value_kind:     hidden_block_count_y
      - .offset:         152
        .size:           4
        .value_kind:     hidden_block_count_z
      - .offset:         156
        .size:           2
        .value_kind:     hidden_group_size_x
      - .offset:         158
        .size:           2
        .value_kind:     hidden_group_size_y
      - .offset:         160
        .size:           2
        .value_kind:     hidden_group_size_z
      - .offset:         162
        .size:           2
        .value_kind:     hidden_remainder_x
      - .offset:         164
        .size:           2
        .value_kind:     hidden_remainder_y
      - .offset:         166
        .size:           2
        .value_kind:     hidden_remainder_z
      - .offset:         184
        .size:           8
        .value_kind:     hidden_global_offset_x
      - .offset:         192
        .size:           8
        .value_kind:     hidden_global_offset_y
      - .offset:         200
        .size:           8
        .value_kind:     hidden_global_offset_z
      - .offset:         208
        .size:           2
        .value_kind:     hidden_grid_dims
    .group_segment_fixed_size: 17472
    .kernarg_segment_align: 8
    .kernarg_segment_size: 400
    .language:       OpenCL C
    .language_version:
      - 2
      - 0
    .max_flat_workgroup_size: 256
    .name:           _Z39paged_attention_ll4mi_QKV_mfma16_kernelI14__hip_bfloat16hLN4vllm18Fp8KVCacheDataTypeE1EhLi16ELi64ELi256ELb1ELi5EL8MFMAType1EEvPKT_PKT0_S9_ifPKiSB_SB_iPKfiiiPfSE_PS4_PT2_iSD_SD_
    .private_segment_fixed_size: 0
    .sgpr_count:     42
    .sgpr_spill_count: 0
    .symbol:         _Z39paged_attention_ll4mi_QKV_mfma16_kernelI14__hip_bfloat16hLN4vllm18Fp8KVCacheDataTypeE1EhLi16ELi64ELi256ELb1ELi5EL8MFMAType1EEvPKT_PKT0_S9_ifPKiSB_SB_iPKfiiiPfSE_PS4_PT2_iSD_SD_.kd
    .uniform_work_group_size: 1
    .uses_dynamic_stack: false
    .vgpr_count:     124
    .vgpr_spill_count: 0
    .wavefront_size: 32
    .workgroup_processor_mode: 1
  - .args:
      - .actual_access:  read_only
        .address_space:  global
        .offset:         0
        .size:           8
        .value_kind:     global_buffer
      - .actual_access:  read_only
        .address_space:  global
        .offset:         8
        .size:           8
        .value_kind:     global_buffer
      - .actual_access:  read_only
        .address_space:  global
        .offset:         16
        .size:           8
        .value_kind:     global_buffer
      - .offset:         24
        .size:           4
        .value_kind:     by_value
      - .offset:         28
        .size:           4
        .value_kind:     by_value
      - .actual_access:  read_only
        .address_space:  global
        .offset:         32
        .size:           8
        .value_kind:     global_buffer
      - .actual_access:  read_only
        .address_space:  global
        .offset:         40
        .size:           8
        .value_kind:     global_buffer
      - .actual_access:  read_only
        .address_space:  global
        .offset:         48
        .size:           8
        .value_kind:     global_buffer
      - .offset:         56
        .size:           4
        .value_kind:     by_value
      - .actual_access:  read_only
        .address_space:  global
        .offset:         64
        .size:           8
        .value_kind:     global_buffer
      - .offset:         72
        .size:           4
        .value_kind:     by_value
      - .offset:         76
        .size:           4
        .value_kind:     by_value
      - .offset:         80
        .size:           4
        .value_kind:     by_value
      - .actual_access:  write_only
        .address_space:  global
        .offset:         88
        .size:           8
        .value_kind:     global_buffer
      - .actual_access:  write_only
        .address_space:  global
        .offset:         96
        .size:           8
        .value_kind:     global_buffer
      - .actual_access:  write_only
        .address_space:  global
        .offset:         104
        .size:           8
        .value_kind:     global_buffer
      - .actual_access:  read_only
        .address_space:  global
        .offset:         112
        .size:           8
        .value_kind:     global_buffer
      - .offset:         120
        .size:           4
        .value_kind:     by_value
      - .address_space:  global
        .offset:         128
        .size:           8
        .value_kind:     global_buffer
      - .address_space:  global
        .offset:         136
        .size:           8
        .value_kind:     global_buffer
      - .offset:         144
        .size:           4
        .value_kind:     hidden_block_count_x
      - .offset:         148
        .size:           4
        .value_kind:     hidden_block_count_y
      - .offset:         152
        .size:           4
        .value_kind:     hidden_block_count_z
      - .offset:         156
        .size:           2
        .value_kind:     hidden_group_size_x
      - .offset:         158
        .size:           2
        .value_kind:     hidden_group_size_y
      - .offset:         160
        .size:           2
        .value_kind:     hidden_group_size_z
      - .offset:         162
        .size:           2
        .value_kind:     hidden_remainder_x
      - .offset:         164
        .size:           2
        .value_kind:     hidden_remainder_y
      - .offset:         166
        .size:           2
        .value_kind:     hidden_remainder_z
      - .offset:         184
        .size:           8
        .value_kind:     hidden_global_offset_x
      - .offset:         192
        .size:           8
        .value_kind:     hidden_global_offset_y
      - .offset:         200
        .size:           8
        .value_kind:     hidden_global_offset_z
      - .offset:         208
        .size:           2
        .value_kind:     hidden_grid_dims
    .group_segment_fixed_size: 17472
    .kernarg_segment_align: 8
    .kernarg_segment_size: 400
    .language:       OpenCL C
    .language_version:
      - 2
      - 0
    .max_flat_workgroup_size: 256
    .name:           _Z39paged_attention_ll4mi_QKV_mfma16_kernelI14__hip_bfloat16hLN4vllm18Fp8KVCacheDataTypeE1EhLi16ELi64ELi256ELb1ELi6EL8MFMAType1EEvPKT_PKT0_S9_ifPKiSB_SB_iPKfiiiPfSE_PS4_PT2_iSD_SD_
    .private_segment_fixed_size: 0
    .sgpr_count:     40
    .sgpr_spill_count: 0
    .symbol:         _Z39paged_attention_ll4mi_QKV_mfma16_kernelI14__hip_bfloat16hLN4vllm18Fp8KVCacheDataTypeE1EhLi16ELi64ELi256ELb1ELi6EL8MFMAType1EEvPKT_PKT0_S9_ifPKiSB_SB_iPKfiiiPfSE_PS4_PT2_iSD_SD_.kd
    .uniform_work_group_size: 1
    .uses_dynamic_stack: false
    .vgpr_count:     124
    .vgpr_spill_count: 0
    .wavefront_size: 32
    .workgroup_processor_mode: 1
  - .args:
      - .actual_access:  read_only
        .address_space:  global
        .offset:         0
        .size:           8
        .value_kind:     global_buffer
      - .actual_access:  read_only
        .address_space:  global
        .offset:         8
        .size:           8
        .value_kind:     global_buffer
      - .actual_access:  read_only
        .address_space:  global
        .offset:         16
        .size:           8
        .value_kind:     global_buffer
      - .offset:         24
        .size:           4
        .value_kind:     by_value
      - .offset:         28
        .size:           4
        .value_kind:     by_value
      - .actual_access:  read_only
        .address_space:  global
        .offset:         32
        .size:           8
        .value_kind:     global_buffer
      - .actual_access:  read_only
        .address_space:  global
        .offset:         40
        .size:           8
        .value_kind:     global_buffer
      - .actual_access:  read_only
        .address_space:  global
        .offset:         48
        .size:           8
        .value_kind:     global_buffer
      - .offset:         56
        .size:           4
        .value_kind:     by_value
      - .actual_access:  read_only
        .address_space:  global
        .offset:         64
        .size:           8
        .value_kind:     global_buffer
      - .offset:         72
        .size:           4
        .value_kind:     by_value
      - .offset:         76
        .size:           4
        .value_kind:     by_value
      - .offset:         80
        .size:           4
        .value_kind:     by_value
      - .actual_access:  write_only
        .address_space:  global
        .offset:         88
        .size:           8
        .value_kind:     global_buffer
      - .actual_access:  write_only
        .address_space:  global
        .offset:         96
        .size:           8
        .value_kind:     global_buffer
      - .actual_access:  write_only
        .address_space:  global
        .offset:         104
        .size:           8
        .value_kind:     global_buffer
      - .actual_access:  read_only
        .address_space:  global
        .offset:         112
        .size:           8
        .value_kind:     global_buffer
      - .offset:         120
        .size:           4
        .value_kind:     by_value
      - .address_space:  global
        .offset:         128
        .size:           8
        .value_kind:     global_buffer
      - .address_space:  global
        .offset:         136
        .size:           8
        .value_kind:     global_buffer
      - .offset:         144
        .size:           4
        .value_kind:     hidden_block_count_x
      - .offset:         148
        .size:           4
        .value_kind:     hidden_block_count_y
      - .offset:         152
        .size:           4
        .value_kind:     hidden_block_count_z
      - .offset:         156
        .size:           2
        .value_kind:     hidden_group_size_x
      - .offset:         158
        .size:           2
        .value_kind:     hidden_group_size_y
      - .offset:         160
        .size:           2
        .value_kind:     hidden_group_size_z
      - .offset:         162
        .size:           2
        .value_kind:     hidden_remainder_x
      - .offset:         164
        .size:           2
        .value_kind:     hidden_remainder_y
      - .offset:         166
        .size:           2
        .value_kind:     hidden_remainder_z
      - .offset:         184
        .size:           8
        .value_kind:     hidden_global_offset_x
      - .offset:         192
        .size:           8
        .value_kind:     hidden_global_offset_y
      - .offset:         200
        .size:           8
        .value_kind:     hidden_global_offset_z
      - .offset:         208
        .size:           2
        .value_kind:     hidden_grid_dims
    .group_segment_fixed_size: 17472
    .kernarg_segment_align: 8
    .kernarg_segment_size: 400
    .language:       OpenCL C
    .language_version:
      - 2
      - 0
    .max_flat_workgroup_size: 256
    .name:           _Z39paged_attention_ll4mi_QKV_mfma16_kernelI14__hip_bfloat16hLN4vllm18Fp8KVCacheDataTypeE1EhLi16ELi64ELi256ELb1ELi7EL8MFMAType1EEvPKT_PKT0_S9_ifPKiSB_SB_iPKfiiiPfSE_PS4_PT2_iSD_SD_
    .private_segment_fixed_size: 0
    .sgpr_count:     42
    .sgpr_spill_count: 0
    .symbol:         _Z39paged_attention_ll4mi_QKV_mfma16_kernelI14__hip_bfloat16hLN4vllm18Fp8KVCacheDataTypeE1EhLi16ELi64ELi256ELb1ELi7EL8MFMAType1EEvPKT_PKT0_S9_ifPKiSB_SB_iPKfiiiPfSE_PS4_PT2_iSD_SD_.kd
    .uniform_work_group_size: 1
    .uses_dynamic_stack: false
    .vgpr_count:     124
    .vgpr_spill_count: 0
    .wavefront_size: 32
    .workgroup_processor_mode: 1
  - .args:
      - .actual_access:  read_only
        .address_space:  global
        .offset:         0
        .size:           8
        .value_kind:     global_buffer
      - .actual_access:  read_only
        .address_space:  global
        .offset:         8
        .size:           8
        .value_kind:     global_buffer
      - .actual_access:  read_only
        .address_space:  global
        .offset:         16
        .size:           8
        .value_kind:     global_buffer
      - .offset:         24
        .size:           4
        .value_kind:     by_value
      - .offset:         28
        .size:           4
        .value_kind:     by_value
      - .actual_access:  read_only
        .address_space:  global
        .offset:         32
        .size:           8
        .value_kind:     global_buffer
      - .actual_access:  read_only
        .address_space:  global
        .offset:         40
        .size:           8
        .value_kind:     global_buffer
      - .actual_access:  read_only
        .address_space:  global
        .offset:         48
        .size:           8
        .value_kind:     global_buffer
      - .offset:         56
        .size:           4
        .value_kind:     by_value
      - .actual_access:  read_only
        .address_space:  global
        .offset:         64
        .size:           8
        .value_kind:     global_buffer
      - .offset:         72
        .size:           4
        .value_kind:     by_value
      - .offset:         76
        .size:           4
        .value_kind:     by_value
      - .offset:         80
        .size:           4
        .value_kind:     by_value
      - .actual_access:  write_only
        .address_space:  global
        .offset:         88
        .size:           8
        .value_kind:     global_buffer
      - .actual_access:  write_only
        .address_space:  global
        .offset:         96
        .size:           8
        .value_kind:     global_buffer
      - .actual_access:  write_only
        .address_space:  global
        .offset:         104
        .size:           8
        .value_kind:     global_buffer
      - .actual_access:  read_only
        .address_space:  global
        .offset:         112
        .size:           8
        .value_kind:     global_buffer
      - .offset:         120
        .size:           4
        .value_kind:     by_value
      - .address_space:  global
        .offset:         128
        .size:           8
        .value_kind:     global_buffer
      - .address_space:  global
        .offset:         136
        .size:           8
        .value_kind:     global_buffer
      - .offset:         144
        .size:           4
        .value_kind:     hidden_block_count_x
      - .offset:         148
        .size:           4
        .value_kind:     hidden_block_count_y
      - .offset:         152
        .size:           4
        .value_kind:     hidden_block_count_z
      - .offset:         156
        .size:           2
        .value_kind:     hidden_group_size_x
      - .offset:         158
        .size:           2
        .value_kind:     hidden_group_size_y
      - .offset:         160
        .size:           2
        .value_kind:     hidden_group_size_z
      - .offset:         162
        .size:           2
        .value_kind:     hidden_remainder_x
      - .offset:         164
        .size:           2
        .value_kind:     hidden_remainder_y
      - .offset:         166
        .size:           2
        .value_kind:     hidden_remainder_z
      - .offset:         184
        .size:           8
        .value_kind:     hidden_global_offset_x
      - .offset:         192
        .size:           8
        .value_kind:     hidden_global_offset_y
      - .offset:         200
        .size:           8
        .value_kind:     hidden_global_offset_z
      - .offset:         208
        .size:           2
        .value_kind:     hidden_grid_dims
    .group_segment_fixed_size: 17472
    .kernarg_segment_align: 8
    .kernarg_segment_size: 400
    .language:       OpenCL C
    .language_version:
      - 2
      - 0
    .max_flat_workgroup_size: 256
    .name:           _Z39paged_attention_ll4mi_QKV_mfma16_kernelI14__hip_bfloat16hLN4vllm18Fp8KVCacheDataTypeE1EhLi16ELi64ELi256ELb1ELi8EL8MFMAType1EEvPKT_PKT0_S9_ifPKiSB_SB_iPKfiiiPfSE_PS4_PT2_iSD_SD_
    .private_segment_fixed_size: 0
    .sgpr_count:     40
    .sgpr_spill_count: 0
    .symbol:         _Z39paged_attention_ll4mi_QKV_mfma16_kernelI14__hip_bfloat16hLN4vllm18Fp8KVCacheDataTypeE1EhLi16ELi64ELi256ELb1ELi8EL8MFMAType1EEvPKT_PKT0_S9_ifPKiSB_SB_iPKfiiiPfSE_PS4_PT2_iSD_SD_.kd
    .uniform_work_group_size: 1
    .uses_dynamic_stack: false
    .vgpr_count:     124
    .vgpr_spill_count: 0
    .wavefront_size: 32
    .workgroup_processor_mode: 1
  - .args:
      - .actual_access:  read_only
        .address_space:  global
        .offset:         0
        .size:           8
        .value_kind:     global_buffer
      - .actual_access:  read_only
        .address_space:  global
        .offset:         8
        .size:           8
        .value_kind:     global_buffer
      - .actual_access:  read_only
        .address_space:  global
        .offset:         16
        .size:           8
        .value_kind:     global_buffer
      - .offset:         24
        .size:           4
        .value_kind:     by_value
      - .offset:         28
        .size:           4
        .value_kind:     by_value
      - .actual_access:  read_only
        .address_space:  global
        .offset:         32
        .size:           8
        .value_kind:     global_buffer
      - .actual_access:  read_only
        .address_space:  global
        .offset:         40
        .size:           8
        .value_kind:     global_buffer
      - .actual_access:  read_only
        .address_space:  global
        .offset:         48
        .size:           8
        .value_kind:     global_buffer
      - .offset:         56
        .size:           4
        .value_kind:     by_value
      - .actual_access:  read_only
        .address_space:  global
        .offset:         64
        .size:           8
        .value_kind:     global_buffer
      - .offset:         72
        .size:           4
        .value_kind:     by_value
      - .offset:         76
        .size:           4
        .value_kind:     by_value
      - .offset:         80
        .size:           4
        .value_kind:     by_value
      - .actual_access:  write_only
        .address_space:  global
        .offset:         88
        .size:           8
        .value_kind:     global_buffer
      - .actual_access:  write_only
        .address_space:  global
        .offset:         96
        .size:           8
        .value_kind:     global_buffer
      - .actual_access:  write_only
        .address_space:  global
        .offset:         104
        .size:           8
        .value_kind:     global_buffer
      - .actual_access:  read_only
        .address_space:  global
        .offset:         112
        .size:           8
        .value_kind:     global_buffer
      - .offset:         120
        .size:           4
        .value_kind:     by_value
      - .address_space:  global
        .offset:         128
        .size:           8
        .value_kind:     global_buffer
      - .address_space:  global
        .offset:         136
        .size:           8
        .value_kind:     global_buffer
      - .offset:         144
        .size:           4
        .value_kind:     hidden_block_count_x
      - .offset:         148
        .size:           4
        .value_kind:     hidden_block_count_y
      - .offset:         152
        .size:           4
        .value_kind:     hidden_block_count_z
      - .offset:         156
        .size:           2
        .value_kind:     hidden_group_size_x
      - .offset:         158
        .size:           2
        .value_kind:     hidden_group_size_y
      - .offset:         160
        .size:           2
        .value_kind:     hidden_group_size_z
      - .offset:         162
        .size:           2
        .value_kind:     hidden_remainder_x
      - .offset:         164
        .size:           2
        .value_kind:     hidden_remainder_y
      - .offset:         166
        .size:           2
        .value_kind:     hidden_remainder_z
      - .offset:         184
        .size:           8
        .value_kind:     hidden_global_offset_x
      - .offset:         192
        .size:           8
        .value_kind:     hidden_global_offset_y
      - .offset:         200
        .size:           8
        .value_kind:     hidden_global_offset_z
      - .offset:         208
        .size:           2
        .value_kind:     hidden_grid_dims
    .group_segment_fixed_size: 17472
    .kernarg_segment_align: 8
    .kernarg_segment_size: 400
    .language:       OpenCL C
    .language_version:
      - 2
      - 0
    .max_flat_workgroup_size: 256
    .name:           _Z39paged_attention_ll4mi_QKV_mfma16_kernelI14__hip_bfloat16hLN4vllm18Fp8KVCacheDataTypeE1EhLi16ELi64ELi256ELb1ELi9EL8MFMAType1EEvPKT_PKT0_S9_ifPKiSB_SB_iPKfiiiPfSE_PS4_PT2_iSD_SD_
    .private_segment_fixed_size: 0
    .sgpr_count:     42
    .sgpr_spill_count: 0
    .symbol:         _Z39paged_attention_ll4mi_QKV_mfma16_kernelI14__hip_bfloat16hLN4vllm18Fp8KVCacheDataTypeE1EhLi16ELi64ELi256ELb1ELi9EL8MFMAType1EEvPKT_PKT0_S9_ifPKiSB_SB_iPKfiiiPfSE_PS4_PT2_iSD_SD_.kd
    .uniform_work_group_size: 1
    .uses_dynamic_stack: false
    .vgpr_count:     124
    .vgpr_spill_count: 0
    .wavefront_size: 32
    .workgroup_processor_mode: 1
  - .args:
      - .actual_access:  read_only
        .address_space:  global
        .offset:         0
        .size:           8
        .value_kind:     global_buffer
      - .actual_access:  read_only
        .address_space:  global
        .offset:         8
        .size:           8
        .value_kind:     global_buffer
      - .actual_access:  read_only
        .address_space:  global
        .offset:         16
        .size:           8
        .value_kind:     global_buffer
      - .offset:         24
        .size:           4
        .value_kind:     by_value
      - .offset:         28
        .size:           4
        .value_kind:     by_value
      - .actual_access:  read_only
        .address_space:  global
        .offset:         32
        .size:           8
        .value_kind:     global_buffer
      - .actual_access:  read_only
        .address_space:  global
        .offset:         40
        .size:           8
        .value_kind:     global_buffer
      - .actual_access:  read_only
        .address_space:  global
        .offset:         48
        .size:           8
        .value_kind:     global_buffer
      - .offset:         56
        .size:           4
        .value_kind:     by_value
      - .actual_access:  read_only
        .address_space:  global
        .offset:         64
        .size:           8
        .value_kind:     global_buffer
      - .offset:         72
        .size:           4
        .value_kind:     by_value
      - .offset:         76
        .size:           4
        .value_kind:     by_value
      - .offset:         80
        .size:           4
        .value_kind:     by_value
      - .actual_access:  write_only
        .address_space:  global
        .offset:         88
        .size:           8
        .value_kind:     global_buffer
      - .actual_access:  write_only
        .address_space:  global
        .offset:         96
        .size:           8
        .value_kind:     global_buffer
      - .actual_access:  write_only
        .address_space:  global
        .offset:         104
        .size:           8
        .value_kind:     global_buffer
      - .actual_access:  read_only
        .address_space:  global
        .offset:         112
        .size:           8
        .value_kind:     global_buffer
      - .offset:         120
        .size:           4
        .value_kind:     by_value
      - .address_space:  global
        .offset:         128
        .size:           8
        .value_kind:     global_buffer
      - .address_space:  global
        .offset:         136
        .size:           8
        .value_kind:     global_buffer
      - .offset:         144
        .size:           4
        .value_kind:     hidden_block_count_x
      - .offset:         148
        .size:           4
        .value_kind:     hidden_block_count_y
      - .offset:         152
        .size:           4
        .value_kind:     hidden_block_count_z
      - .offset:         156
        .size:           2
        .value_kind:     hidden_group_size_x
      - .offset:         158
        .size:           2
        .value_kind:     hidden_group_size_y
      - .offset:         160
        .size:           2
        .value_kind:     hidden_group_size_z
      - .offset:         162
        .size:           2
        .value_kind:     hidden_remainder_x
      - .offset:         164
        .size:           2
        .value_kind:     hidden_remainder_y
      - .offset:         166
        .size:           2
        .value_kind:     hidden_remainder_z
      - .offset:         184
        .size:           8
        .value_kind:     hidden_global_offset_x
      - .offset:         192
        .size:           8
        .value_kind:     hidden_global_offset_y
      - .offset:         200
        .size:           8
        .value_kind:     hidden_global_offset_z
      - .offset:         208
        .size:           2
        .value_kind:     hidden_grid_dims
    .group_segment_fixed_size: 17472
    .kernarg_segment_align: 8
    .kernarg_segment_size: 400
    .language:       OpenCL C
    .language_version:
      - 2
      - 0
    .max_flat_workgroup_size: 256
    .name:           _Z39paged_attention_ll4mi_QKV_mfma16_kernelI14__hip_bfloat16hLN4vllm18Fp8KVCacheDataTypeE1EhLi16ELi64ELi256ELb1ELi10EL8MFMAType1EEvPKT_PKT0_S9_ifPKiSB_SB_iPKfiiiPfSE_PS4_PT2_iSD_SD_
    .private_segment_fixed_size: 0
    .sgpr_count:     40
    .sgpr_spill_count: 0
    .symbol:         _Z39paged_attention_ll4mi_QKV_mfma16_kernelI14__hip_bfloat16hLN4vllm18Fp8KVCacheDataTypeE1EhLi16ELi64ELi256ELb1ELi10EL8MFMAType1EEvPKT_PKT0_S9_ifPKiSB_SB_iPKfiiiPfSE_PS4_PT2_iSD_SD_.kd
    .uniform_work_group_size: 1
    .uses_dynamic_stack: false
    .vgpr_count:     124
    .vgpr_spill_count: 0
    .wavefront_size: 32
    .workgroup_processor_mode: 1
  - .args:
      - .actual_access:  read_only
        .address_space:  global
        .offset:         0
        .size:           8
        .value_kind:     global_buffer
      - .actual_access:  read_only
        .address_space:  global
        .offset:         8
        .size:           8
        .value_kind:     global_buffer
      - .actual_access:  read_only
        .address_space:  global
        .offset:         16
        .size:           8
        .value_kind:     global_buffer
      - .offset:         24
        .size:           4
        .value_kind:     by_value
      - .offset:         28
        .size:           4
        .value_kind:     by_value
      - .actual_access:  read_only
        .address_space:  global
        .offset:         32
        .size:           8
        .value_kind:     global_buffer
      - .actual_access:  read_only
        .address_space:  global
        .offset:         40
        .size:           8
        .value_kind:     global_buffer
      - .actual_access:  read_only
        .address_space:  global
        .offset:         48
        .size:           8
        .value_kind:     global_buffer
      - .offset:         56
        .size:           4
        .value_kind:     by_value
      - .actual_access:  read_only
        .address_space:  global
        .offset:         64
        .size:           8
        .value_kind:     global_buffer
      - .offset:         72
        .size:           4
        .value_kind:     by_value
      - .offset:         76
        .size:           4
        .value_kind:     by_value
      - .offset:         80
        .size:           4
        .value_kind:     by_value
      - .actual_access:  write_only
        .address_space:  global
        .offset:         88
        .size:           8
        .value_kind:     global_buffer
      - .actual_access:  write_only
        .address_space:  global
        .offset:         96
        .size:           8
        .value_kind:     global_buffer
      - .actual_access:  write_only
        .address_space:  global
        .offset:         104
        .size:           8
        .value_kind:     global_buffer
      - .actual_access:  read_only
        .address_space:  global
        .offset:         112
        .size:           8
        .value_kind:     global_buffer
      - .offset:         120
        .size:           4
        .value_kind:     by_value
      - .address_space:  global
        .offset:         128
        .size:           8
        .value_kind:     global_buffer
      - .address_space:  global
        .offset:         136
        .size:           8
        .value_kind:     global_buffer
      - .offset:         144
        .size:           4
        .value_kind:     hidden_block_count_x
      - .offset:         148
        .size:           4
        .value_kind:     hidden_block_count_y
      - .offset:         152
        .size:           4
        .value_kind:     hidden_block_count_z
      - .offset:         156
        .size:           2
        .value_kind:     hidden_group_size_x
      - .offset:         158
        .size:           2
        .value_kind:     hidden_group_size_y
      - .offset:         160
        .size:           2
        .value_kind:     hidden_group_size_z
      - .offset:         162
        .size:           2
        .value_kind:     hidden_remainder_x
      - .offset:         164
        .size:           2
        .value_kind:     hidden_remainder_y
      - .offset:         166
        .size:           2
        .value_kind:     hidden_remainder_z
      - .offset:         184
        .size:           8
        .value_kind:     hidden_global_offset_x
      - .offset:         192
        .size:           8
        .value_kind:     hidden_global_offset_y
      - .offset:         200
        .size:           8
        .value_kind:     hidden_global_offset_z
      - .offset:         208
        .size:           2
        .value_kind:     hidden_grid_dims
    .group_segment_fixed_size: 17472
    .kernarg_segment_align: 8
    .kernarg_segment_size: 400
    .language:       OpenCL C
    .language_version:
      - 2
      - 0
    .max_flat_workgroup_size: 256
    .name:           _Z39paged_attention_ll4mi_QKV_mfma16_kernelI14__hip_bfloat16hLN4vllm18Fp8KVCacheDataTypeE1EhLi16ELi64ELi256ELb1ELi11EL8MFMAType1EEvPKT_PKT0_S9_ifPKiSB_SB_iPKfiiiPfSE_PS4_PT2_iSD_SD_
    .private_segment_fixed_size: 0
    .sgpr_count:     42
    .sgpr_spill_count: 0
    .symbol:         _Z39paged_attention_ll4mi_QKV_mfma16_kernelI14__hip_bfloat16hLN4vllm18Fp8KVCacheDataTypeE1EhLi16ELi64ELi256ELb1ELi11EL8MFMAType1EEvPKT_PKT0_S9_ifPKiSB_SB_iPKfiiiPfSE_PS4_PT2_iSD_SD_.kd
    .uniform_work_group_size: 1
    .uses_dynamic_stack: false
    .vgpr_count:     124
    .vgpr_spill_count: 0
    .wavefront_size: 32
    .workgroup_processor_mode: 1
  - .args:
      - .actual_access:  read_only
        .address_space:  global
        .offset:         0
        .size:           8
        .value_kind:     global_buffer
      - .actual_access:  read_only
        .address_space:  global
        .offset:         8
        .size:           8
        .value_kind:     global_buffer
      - .actual_access:  read_only
        .address_space:  global
        .offset:         16
        .size:           8
        .value_kind:     global_buffer
      - .offset:         24
        .size:           4
        .value_kind:     by_value
      - .offset:         28
        .size:           4
        .value_kind:     by_value
      - .actual_access:  read_only
        .address_space:  global
        .offset:         32
        .size:           8
        .value_kind:     global_buffer
      - .actual_access:  read_only
        .address_space:  global
        .offset:         40
        .size:           8
        .value_kind:     global_buffer
      - .actual_access:  read_only
        .address_space:  global
        .offset:         48
        .size:           8
        .value_kind:     global_buffer
      - .offset:         56
        .size:           4
        .value_kind:     by_value
      - .actual_access:  read_only
        .address_space:  global
        .offset:         64
        .size:           8
        .value_kind:     global_buffer
      - .offset:         72
        .size:           4
        .value_kind:     by_value
      - .offset:         76
        .size:           4
        .value_kind:     by_value
      - .offset:         80
        .size:           4
        .value_kind:     by_value
      - .actual_access:  write_only
        .address_space:  global
        .offset:         88
        .size:           8
        .value_kind:     global_buffer
      - .actual_access:  write_only
        .address_space:  global
        .offset:         96
        .size:           8
        .value_kind:     global_buffer
      - .actual_access:  write_only
        .address_space:  global
        .offset:         104
        .size:           8
        .value_kind:     global_buffer
      - .actual_access:  read_only
        .address_space:  global
        .offset:         112
        .size:           8
        .value_kind:     global_buffer
      - .offset:         120
        .size:           4
        .value_kind:     by_value
      - .address_space:  global
        .offset:         128
        .size:           8
        .value_kind:     global_buffer
      - .address_space:  global
        .offset:         136
        .size:           8
        .value_kind:     global_buffer
      - .offset:         144
        .size:           4
        .value_kind:     hidden_block_count_x
      - .offset:         148
        .size:           4
        .value_kind:     hidden_block_count_y
      - .offset:         152
        .size:           4
        .value_kind:     hidden_block_count_z
      - .offset:         156
        .size:           2
        .value_kind:     hidden_group_size_x
      - .offset:         158
        .size:           2
        .value_kind:     hidden_group_size_y
      - .offset:         160
        .size:           2
        .value_kind:     hidden_group_size_z
      - .offset:         162
        .size:           2
        .value_kind:     hidden_remainder_x
      - .offset:         164
        .size:           2
        .value_kind:     hidden_remainder_y
      - .offset:         166
        .size:           2
        .value_kind:     hidden_remainder_z
      - .offset:         184
        .size:           8
        .value_kind:     hidden_global_offset_x
      - .offset:         192
        .size:           8
        .value_kind:     hidden_global_offset_y
      - .offset:         200
        .size:           8
        .value_kind:     hidden_global_offset_z
      - .offset:         208
        .size:           2
        .value_kind:     hidden_grid_dims
    .group_segment_fixed_size: 17472
    .kernarg_segment_align: 8
    .kernarg_segment_size: 400
    .language:       OpenCL C
    .language_version:
      - 2
      - 0
    .max_flat_workgroup_size: 256
    .name:           _Z39paged_attention_ll4mi_QKV_mfma16_kernelI14__hip_bfloat16hLN4vllm18Fp8KVCacheDataTypeE1EhLi16ELi64ELi256ELb1ELi12EL8MFMAType1EEvPKT_PKT0_S9_ifPKiSB_SB_iPKfiiiPfSE_PS4_PT2_iSD_SD_
    .private_segment_fixed_size: 0
    .sgpr_count:     40
    .sgpr_spill_count: 0
    .symbol:         _Z39paged_attention_ll4mi_QKV_mfma16_kernelI14__hip_bfloat16hLN4vllm18Fp8KVCacheDataTypeE1EhLi16ELi64ELi256ELb1ELi12EL8MFMAType1EEvPKT_PKT0_S9_ifPKiSB_SB_iPKfiiiPfSE_PS4_PT2_iSD_SD_.kd
    .uniform_work_group_size: 1
    .uses_dynamic_stack: false
    .vgpr_count:     124
    .vgpr_spill_count: 0
    .wavefront_size: 32
    .workgroup_processor_mode: 1
  - .args:
      - .actual_access:  read_only
        .address_space:  global
        .offset:         0
        .size:           8
        .value_kind:     global_buffer
      - .actual_access:  read_only
        .address_space:  global
        .offset:         8
        .size:           8
        .value_kind:     global_buffer
      - .actual_access:  read_only
        .address_space:  global
        .offset:         16
        .size:           8
        .value_kind:     global_buffer
      - .offset:         24
        .size:           4
        .value_kind:     by_value
      - .offset:         28
        .size:           4
        .value_kind:     by_value
      - .actual_access:  read_only
        .address_space:  global
        .offset:         32
        .size:           8
        .value_kind:     global_buffer
      - .actual_access:  read_only
        .address_space:  global
        .offset:         40
        .size:           8
        .value_kind:     global_buffer
      - .actual_access:  read_only
        .address_space:  global
        .offset:         48
        .size:           8
        .value_kind:     global_buffer
      - .offset:         56
        .size:           4
        .value_kind:     by_value
      - .actual_access:  read_only
        .address_space:  global
        .offset:         64
        .size:           8
        .value_kind:     global_buffer
      - .offset:         72
        .size:           4
        .value_kind:     by_value
      - .offset:         76
        .size:           4
        .value_kind:     by_value
      - .offset:         80
        .size:           4
        .value_kind:     by_value
      - .actual_access:  write_only
        .address_space:  global
        .offset:         88
        .size:           8
        .value_kind:     global_buffer
      - .actual_access:  write_only
        .address_space:  global
        .offset:         96
        .size:           8
        .value_kind:     global_buffer
      - .actual_access:  write_only
        .address_space:  global
        .offset:         104
        .size:           8
        .value_kind:     global_buffer
      - .actual_access:  read_only
        .address_space:  global
        .offset:         112
        .size:           8
        .value_kind:     global_buffer
      - .offset:         120
        .size:           4
        .value_kind:     by_value
      - .address_space:  global
        .offset:         128
        .size:           8
        .value_kind:     global_buffer
      - .address_space:  global
        .offset:         136
        .size:           8
        .value_kind:     global_buffer
      - .offset:         144
        .size:           4
        .value_kind:     hidden_block_count_x
      - .offset:         148
        .size:           4
        .value_kind:     hidden_block_count_y
      - .offset:         152
        .size:           4
        .value_kind:     hidden_block_count_z
      - .offset:         156
        .size:           2
        .value_kind:     hidden_group_size_x
      - .offset:         158
        .size:           2
        .value_kind:     hidden_group_size_y
      - .offset:         160
        .size:           2
        .value_kind:     hidden_group_size_z
      - .offset:         162
        .size:           2
        .value_kind:     hidden_remainder_x
      - .offset:         164
        .size:           2
        .value_kind:     hidden_remainder_y
      - .offset:         166
        .size:           2
        .value_kind:     hidden_remainder_z
      - .offset:         184
        .size:           8
        .value_kind:     hidden_global_offset_x
      - .offset:         192
        .size:           8
        .value_kind:     hidden_global_offset_y
      - .offset:         200
        .size:           8
        .value_kind:     hidden_global_offset_z
      - .offset:         208
        .size:           2
        .value_kind:     hidden_grid_dims
    .group_segment_fixed_size: 17472
    .kernarg_segment_align: 8
    .kernarg_segment_size: 400
    .language:       OpenCL C
    .language_version:
      - 2
      - 0
    .max_flat_workgroup_size: 256
    .name:           _Z39paged_attention_ll4mi_QKV_mfma16_kernelI14__hip_bfloat16hLN4vllm18Fp8KVCacheDataTypeE1EhLi16ELi64ELi256ELb1ELi13EL8MFMAType1EEvPKT_PKT0_S9_ifPKiSB_SB_iPKfiiiPfSE_PS4_PT2_iSD_SD_
    .private_segment_fixed_size: 0
    .sgpr_count:     42
    .sgpr_spill_count: 0
    .symbol:         _Z39paged_attention_ll4mi_QKV_mfma16_kernelI14__hip_bfloat16hLN4vllm18Fp8KVCacheDataTypeE1EhLi16ELi64ELi256ELb1ELi13EL8MFMAType1EEvPKT_PKT0_S9_ifPKiSB_SB_iPKfiiiPfSE_PS4_PT2_iSD_SD_.kd
    .uniform_work_group_size: 1
    .uses_dynamic_stack: false
    .vgpr_count:     124
    .vgpr_spill_count: 0
    .wavefront_size: 32
    .workgroup_processor_mode: 1
  - .args:
      - .actual_access:  read_only
        .address_space:  global
        .offset:         0
        .size:           8
        .value_kind:     global_buffer
      - .actual_access:  read_only
        .address_space:  global
        .offset:         8
        .size:           8
        .value_kind:     global_buffer
      - .actual_access:  read_only
        .address_space:  global
        .offset:         16
        .size:           8
        .value_kind:     global_buffer
      - .offset:         24
        .size:           4
        .value_kind:     by_value
      - .offset:         28
        .size:           4
        .value_kind:     by_value
      - .actual_access:  read_only
        .address_space:  global
        .offset:         32
        .size:           8
        .value_kind:     global_buffer
      - .actual_access:  read_only
        .address_space:  global
        .offset:         40
        .size:           8
        .value_kind:     global_buffer
      - .actual_access:  read_only
        .address_space:  global
        .offset:         48
        .size:           8
        .value_kind:     global_buffer
      - .offset:         56
        .size:           4
        .value_kind:     by_value
      - .actual_access:  read_only
        .address_space:  global
        .offset:         64
        .size:           8
        .value_kind:     global_buffer
      - .offset:         72
        .size:           4
        .value_kind:     by_value
      - .offset:         76
        .size:           4
        .value_kind:     by_value
      - .offset:         80
        .size:           4
        .value_kind:     by_value
      - .actual_access:  write_only
        .address_space:  global
        .offset:         88
        .size:           8
        .value_kind:     global_buffer
      - .actual_access:  write_only
        .address_space:  global
        .offset:         96
        .size:           8
        .value_kind:     global_buffer
      - .actual_access:  write_only
        .address_space:  global
        .offset:         104
        .size:           8
        .value_kind:     global_buffer
      - .actual_access:  read_only
        .address_space:  global
        .offset:         112
        .size:           8
        .value_kind:     global_buffer
      - .offset:         120
        .size:           4
        .value_kind:     by_value
      - .address_space:  global
        .offset:         128
        .size:           8
        .value_kind:     global_buffer
      - .address_space:  global
        .offset:         136
        .size:           8
        .value_kind:     global_buffer
      - .offset:         144
        .size:           4
        .value_kind:     hidden_block_count_x
      - .offset:         148
        .size:           4
        .value_kind:     hidden_block_count_y
      - .offset:         152
        .size:           4
        .value_kind:     hidden_block_count_z
      - .offset:         156
        .size:           2
        .value_kind:     hidden_group_size_x
      - .offset:         158
        .size:           2
        .value_kind:     hidden_group_size_y
      - .offset:         160
        .size:           2
        .value_kind:     hidden_group_size_z
      - .offset:         162
        .size:           2
        .value_kind:     hidden_remainder_x
      - .offset:         164
        .size:           2
        .value_kind:     hidden_remainder_y
      - .offset:         166
        .size:           2
        .value_kind:     hidden_remainder_z
      - .offset:         184
        .size:           8
        .value_kind:     hidden_global_offset_x
      - .offset:         192
        .size:           8
        .value_kind:     hidden_global_offset_y
      - .offset:         200
        .size:           8
        .value_kind:     hidden_global_offset_z
      - .offset:         208
        .size:           2
        .value_kind:     hidden_grid_dims
    .group_segment_fixed_size: 17472
    .kernarg_segment_align: 8
    .kernarg_segment_size: 400
    .language:       OpenCL C
    .language_version:
      - 2
      - 0
    .max_flat_workgroup_size: 256
    .name:           _Z39paged_attention_ll4mi_QKV_mfma16_kernelI14__hip_bfloat16hLN4vllm18Fp8KVCacheDataTypeE1EhLi16ELi64ELi256ELb1ELi14EL8MFMAType1EEvPKT_PKT0_S9_ifPKiSB_SB_iPKfiiiPfSE_PS4_PT2_iSD_SD_
    .private_segment_fixed_size: 0
    .sgpr_count:     40
    .sgpr_spill_count: 0
    .symbol:         _Z39paged_attention_ll4mi_QKV_mfma16_kernelI14__hip_bfloat16hLN4vllm18Fp8KVCacheDataTypeE1EhLi16ELi64ELi256ELb1ELi14EL8MFMAType1EEvPKT_PKT0_S9_ifPKiSB_SB_iPKfiiiPfSE_PS4_PT2_iSD_SD_.kd
    .uniform_work_group_size: 1
    .uses_dynamic_stack: false
    .vgpr_count:     124
    .vgpr_spill_count: 0
    .wavefront_size: 32
    .workgroup_processor_mode: 1
  - .args:
      - .actual_access:  read_only
        .address_space:  global
        .offset:         0
        .size:           8
        .value_kind:     global_buffer
      - .actual_access:  read_only
        .address_space:  global
        .offset:         8
        .size:           8
        .value_kind:     global_buffer
      - .actual_access:  read_only
        .address_space:  global
        .offset:         16
        .size:           8
        .value_kind:     global_buffer
      - .offset:         24
        .size:           4
        .value_kind:     by_value
      - .offset:         28
        .size:           4
        .value_kind:     by_value
      - .actual_access:  read_only
        .address_space:  global
        .offset:         32
        .size:           8
        .value_kind:     global_buffer
      - .actual_access:  read_only
        .address_space:  global
        .offset:         40
        .size:           8
        .value_kind:     global_buffer
      - .actual_access:  read_only
        .address_space:  global
        .offset:         48
        .size:           8
        .value_kind:     global_buffer
      - .offset:         56
        .size:           4
        .value_kind:     by_value
      - .actual_access:  read_only
        .address_space:  global
        .offset:         64
        .size:           8
        .value_kind:     global_buffer
      - .offset:         72
        .size:           4
        .value_kind:     by_value
      - .offset:         76
        .size:           4
        .value_kind:     by_value
      - .offset:         80
        .size:           4
        .value_kind:     by_value
      - .actual_access:  write_only
        .address_space:  global
        .offset:         88
        .size:           8
        .value_kind:     global_buffer
      - .actual_access:  write_only
        .address_space:  global
        .offset:         96
        .size:           8
        .value_kind:     global_buffer
      - .actual_access:  write_only
        .address_space:  global
        .offset:         104
        .size:           8
        .value_kind:     global_buffer
      - .actual_access:  read_only
        .address_space:  global
        .offset:         112
        .size:           8
        .value_kind:     global_buffer
      - .offset:         120
        .size:           4
        .value_kind:     by_value
      - .address_space:  global
        .offset:         128
        .size:           8
        .value_kind:     global_buffer
      - .address_space:  global
        .offset:         136
        .size:           8
        .value_kind:     global_buffer
      - .offset:         144
        .size:           4
        .value_kind:     hidden_block_count_x
      - .offset:         148
        .size:           4
        .value_kind:     hidden_block_count_y
      - .offset:         152
        .size:           4
        .value_kind:     hidden_block_count_z
      - .offset:         156
        .size:           2
        .value_kind:     hidden_group_size_x
      - .offset:         158
        .size:           2
        .value_kind:     hidden_group_size_y
      - .offset:         160
        .size:           2
        .value_kind:     hidden_group_size_z
      - .offset:         162
        .size:           2
        .value_kind:     hidden_remainder_x
      - .offset:         164
        .size:           2
        .value_kind:     hidden_remainder_y
      - .offset:         166
        .size:           2
        .value_kind:     hidden_remainder_z
      - .offset:         184
        .size:           8
        .value_kind:     hidden_global_offset_x
      - .offset:         192
        .size:           8
        .value_kind:     hidden_global_offset_y
      - .offset:         200
        .size:           8
        .value_kind:     hidden_global_offset_z
      - .offset:         208
        .size:           2
        .value_kind:     hidden_grid_dims
    .group_segment_fixed_size: 17472
    .kernarg_segment_align: 8
    .kernarg_segment_size: 400
    .language:       OpenCL C
    .language_version:
      - 2
      - 0
    .max_flat_workgroup_size: 256
    .name:           _Z39paged_attention_ll4mi_QKV_mfma16_kernelI14__hip_bfloat16hLN4vllm18Fp8KVCacheDataTypeE1EhLi16ELi64ELi256ELb1ELi15EL8MFMAType1EEvPKT_PKT0_S9_ifPKiSB_SB_iPKfiiiPfSE_PS4_PT2_iSD_SD_
    .private_segment_fixed_size: 0
    .sgpr_count:     42
    .sgpr_spill_count: 0
    .symbol:         _Z39paged_attention_ll4mi_QKV_mfma16_kernelI14__hip_bfloat16hLN4vllm18Fp8KVCacheDataTypeE1EhLi16ELi64ELi256ELb1ELi15EL8MFMAType1EEvPKT_PKT0_S9_ifPKiSB_SB_iPKfiiiPfSE_PS4_PT2_iSD_SD_.kd
    .uniform_work_group_size: 1
    .uses_dynamic_stack: false
    .vgpr_count:     124
    .vgpr_spill_count: 0
    .wavefront_size: 32
    .workgroup_processor_mode: 1
  - .args:
      - .actual_access:  read_only
        .address_space:  global
        .offset:         0
        .size:           8
        .value_kind:     global_buffer
      - .actual_access:  read_only
        .address_space:  global
        .offset:         8
        .size:           8
        .value_kind:     global_buffer
      - .actual_access:  read_only
        .address_space:  global
        .offset:         16
        .size:           8
        .value_kind:     global_buffer
      - .offset:         24
        .size:           4
        .value_kind:     by_value
      - .offset:         28
        .size:           4
        .value_kind:     by_value
      - .actual_access:  read_only
        .address_space:  global
        .offset:         32
        .size:           8
        .value_kind:     global_buffer
      - .actual_access:  read_only
        .address_space:  global
        .offset:         40
        .size:           8
        .value_kind:     global_buffer
      - .actual_access:  read_only
        .address_space:  global
        .offset:         48
        .size:           8
        .value_kind:     global_buffer
      - .offset:         56
        .size:           4
        .value_kind:     by_value
      - .actual_access:  read_only
        .address_space:  global
        .offset:         64
        .size:           8
        .value_kind:     global_buffer
      - .offset:         72
        .size:           4
        .value_kind:     by_value
      - .offset:         76
        .size:           4
        .value_kind:     by_value
      - .offset:         80
        .size:           4
        .value_kind:     by_value
      - .actual_access:  write_only
        .address_space:  global
        .offset:         88
        .size:           8
        .value_kind:     global_buffer
      - .actual_access:  write_only
        .address_space:  global
        .offset:         96
        .size:           8
        .value_kind:     global_buffer
      - .actual_access:  write_only
        .address_space:  global
        .offset:         104
        .size:           8
        .value_kind:     global_buffer
      - .actual_access:  read_only
        .address_space:  global
        .offset:         112
        .size:           8
        .value_kind:     global_buffer
      - .offset:         120
        .size:           4
        .value_kind:     by_value
      - .address_space:  global
        .offset:         128
        .size:           8
        .value_kind:     global_buffer
      - .address_space:  global
        .offset:         136
        .size:           8
        .value_kind:     global_buffer
      - .offset:         144
        .size:           4
        .value_kind:     hidden_block_count_x
      - .offset:         148
        .size:           4
        .value_kind:     hidden_block_count_y
      - .offset:         152
        .size:           4
        .value_kind:     hidden_block_count_z
      - .offset:         156
        .size:           2
        .value_kind:     hidden_group_size_x
      - .offset:         158
        .size:           2
        .value_kind:     hidden_group_size_y
      - .offset:         160
        .size:           2
        .value_kind:     hidden_group_size_z
      - .offset:         162
        .size:           2
        .value_kind:     hidden_remainder_x
      - .offset:         164
        .size:           2
        .value_kind:     hidden_remainder_y
      - .offset:         166
        .size:           2
        .value_kind:     hidden_remainder_z
      - .offset:         184
        .size:           8
        .value_kind:     hidden_global_offset_x
      - .offset:         192
        .size:           8
        .value_kind:     hidden_global_offset_y
      - .offset:         200
        .size:           8
        .value_kind:     hidden_global_offset_z
      - .offset:         208
        .size:           2
        .value_kind:     hidden_grid_dims
    .group_segment_fixed_size: 17472
    .kernarg_segment_align: 8
    .kernarg_segment_size: 400
    .language:       OpenCL C
    .language_version:
      - 2
      - 0
    .max_flat_workgroup_size: 256
    .name:           _Z39paged_attention_ll4mi_QKV_mfma16_kernelI14__hip_bfloat16hLN4vllm18Fp8KVCacheDataTypeE1EhLi16ELi64ELi256ELb1ELi16EL8MFMAType1EEvPKT_PKT0_S9_ifPKiSB_SB_iPKfiiiPfSE_PS4_PT2_iSD_SD_
    .private_segment_fixed_size: 0
    .sgpr_count:     40
    .sgpr_spill_count: 0
    .symbol:         _Z39paged_attention_ll4mi_QKV_mfma16_kernelI14__hip_bfloat16hLN4vllm18Fp8KVCacheDataTypeE1EhLi16ELi64ELi256ELb1ELi16EL8MFMAType1EEvPKT_PKT0_S9_ifPKiSB_SB_iPKfiiiPfSE_PS4_PT2_iSD_SD_.kd
    .uniform_work_group_size: 1
    .uses_dynamic_stack: false
    .vgpr_count:     125
    .vgpr_spill_count: 0
    .wavefront_size: 32
    .workgroup_processor_mode: 1
  - .args:
      - .actual_access:  read_only
        .address_space:  global
        .offset:         0
        .size:           8
        .value_kind:     global_buffer
      - .actual_access:  read_only
        .address_space:  global
        .offset:         8
        .size:           8
        .value_kind:     global_buffer
      - .actual_access:  read_only
        .address_space:  global
        .offset:         16
        .size:           8
        .value_kind:     global_buffer
      - .offset:         24
        .size:           4
        .value_kind:     by_value
      - .offset:         28
        .size:           4
        .value_kind:     by_value
      - .actual_access:  read_only
        .address_space:  global
        .offset:         32
        .size:           8
        .value_kind:     global_buffer
      - .actual_access:  read_only
        .address_space:  global
        .offset:         40
        .size:           8
        .value_kind:     global_buffer
      - .actual_access:  read_only
        .address_space:  global
        .offset:         48
        .size:           8
        .value_kind:     global_buffer
      - .offset:         56
        .size:           4
        .value_kind:     by_value
      - .actual_access:  read_only
        .address_space:  global
        .offset:         64
        .size:           8
        .value_kind:     global_buffer
      - .offset:         72
        .size:           4
        .value_kind:     by_value
      - .offset:         76
        .size:           4
        .value_kind:     by_value
      - .offset:         80
        .size:           4
        .value_kind:     by_value
      - .actual_access:  write_only
        .address_space:  global
        .offset:         88
        .size:           8
        .value_kind:     global_buffer
      - .actual_access:  write_only
        .address_space:  global
        .offset:         96
        .size:           8
        .value_kind:     global_buffer
      - .actual_access:  write_only
        .address_space:  global
        .offset:         104
        .size:           8
        .value_kind:     global_buffer
      - .actual_access:  read_only
        .address_space:  global
        .offset:         112
        .size:           8
        .value_kind:     global_buffer
      - .offset:         120
        .size:           4
        .value_kind:     by_value
      - .address_space:  global
        .offset:         128
        .size:           8
        .value_kind:     global_buffer
      - .address_space:  global
        .offset:         136
        .size:           8
        .value_kind:     global_buffer
      - .offset:         144
        .size:           4
        .value_kind:     hidden_block_count_x
      - .offset:         148
        .size:           4
        .value_kind:     hidden_block_count_y
      - .offset:         152
        .size:           4
        .value_kind:     hidden_block_count_z
      - .offset:         156
        .size:           2
        .value_kind:     hidden_group_size_x
      - .offset:         158
        .size:           2
        .value_kind:     hidden_group_size_y
      - .offset:         160
        .size:           2
        .value_kind:     hidden_group_size_z
      - .offset:         162
        .size:           2
        .value_kind:     hidden_remainder_x
      - .offset:         164
        .size:           2
        .value_kind:     hidden_remainder_y
      - .offset:         166
        .size:           2
        .value_kind:     hidden_remainder_z
      - .offset:         184
        .size:           8
        .value_kind:     hidden_global_offset_x
      - .offset:         192
        .size:           8
        .value_kind:     hidden_global_offset_y
      - .offset:         200
        .size:           8
        .value_kind:     hidden_global_offset_z
      - .offset:         208
        .size:           2
        .value_kind:     hidden_grid_dims
    .group_segment_fixed_size: 17472
    .kernarg_segment_align: 8
    .kernarg_segment_size: 400
    .language:       OpenCL C
    .language_version:
      - 2
      - 0
    .max_flat_workgroup_size: 256
    .name:           _Z39paged_attention_ll4mi_QKV_mfma16_kernelI14__hip_bfloat16hLN4vllm18Fp8KVCacheDataTypeE1EhLi16ELi64ELi256ELb1ELi1EL8MFMAType1EEvPKT_PKT0_S9_ifPKiSB_SB_iPKfiiiPfSE_PS4_PT2_iSD_SD_
    .private_segment_fixed_size: 0
    .sgpr_count:     50
    .sgpr_spill_count: 0
    .symbol:         _Z39paged_attention_ll4mi_QKV_mfma16_kernelI14__hip_bfloat16hLN4vllm18Fp8KVCacheDataTypeE1EhLi16ELi64ELi256ELb1ELi1EL8MFMAType1EEvPKT_PKT0_S9_ifPKiSB_SB_iPKfiiiPfSE_PS4_PT2_iSD_SD_.kd
    .uniform_work_group_size: 1
    .uses_dynamic_stack: false
    .vgpr_count:     131
    .vgpr_spill_count: 0
    .wavefront_size: 32
    .workgroup_processor_mode: 1
  - .args:
      - .actual_access:  read_only
        .address_space:  global
        .offset:         0
        .size:           8
        .value_kind:     global_buffer
      - .actual_access:  read_only
        .address_space:  global
        .offset:         8
        .size:           8
        .value_kind:     global_buffer
      - .actual_access:  read_only
        .address_space:  global
        .offset:         16
        .size:           8
        .value_kind:     global_buffer
      - .offset:         24
        .size:           4
        .value_kind:     by_value
      - .offset:         28
        .size:           4
        .value_kind:     by_value
      - .actual_access:  read_only
        .address_space:  global
        .offset:         32
        .size:           8
        .value_kind:     global_buffer
      - .actual_access:  read_only
        .address_space:  global
        .offset:         40
        .size:           8
        .value_kind:     global_buffer
      - .actual_access:  read_only
        .address_space:  global
        .offset:         48
        .size:           8
        .value_kind:     global_buffer
      - .offset:         56
        .size:           4
        .value_kind:     by_value
      - .actual_access:  read_only
        .address_space:  global
        .offset:         64
        .size:           8
        .value_kind:     global_buffer
      - .offset:         72
        .size:           4
        .value_kind:     by_value
      - .offset:         76
        .size:           4
        .value_kind:     by_value
      - .offset:         80
        .size:           4
        .value_kind:     by_value
      - .actual_access:  write_only
        .address_space:  global
        .offset:         88
        .size:           8
        .value_kind:     global_buffer
      - .actual_access:  write_only
        .address_space:  global
        .offset:         96
        .size:           8
        .value_kind:     global_buffer
      - .actual_access:  write_only
        .address_space:  global
        .offset:         104
        .size:           8
        .value_kind:     global_buffer
      - .actual_access:  read_only
        .address_space:  global
        .offset:         112
        .size:           8
        .value_kind:     global_buffer
      - .offset:         120
        .size:           4
        .value_kind:     by_value
      - .address_space:  global
        .offset:         128
        .size:           8
        .value_kind:     global_buffer
      - .address_space:  global
        .offset:         136
        .size:           8
        .value_kind:     global_buffer
      - .offset:         144
        .size:           4
        .value_kind:     hidden_block_count_x
      - .offset:         148
        .size:           4
        .value_kind:     hidden_block_count_y
      - .offset:         152
        .size:           4
        .value_kind:     hidden_block_count_z
      - .offset:         156
        .size:           2
        .value_kind:     hidden_group_size_x
      - .offset:         158
        .size:           2
        .value_kind:     hidden_group_size_y
      - .offset:         160
        .size:           2
        .value_kind:     hidden_group_size_z
      - .offset:         162
        .size:           2
        .value_kind:     hidden_remainder_x
      - .offset:         164
        .size:           2
        .value_kind:     hidden_remainder_y
      - .offset:         166
        .size:           2
        .value_kind:     hidden_remainder_z
      - .offset:         184
        .size:           8
        .value_kind:     hidden_global_offset_x
      - .offset:         192
        .size:           8
        .value_kind:     hidden_global_offset_y
      - .offset:         200
        .size:           8
        .value_kind:     hidden_global_offset_z
      - .offset:         208
        .size:           2
        .value_kind:     hidden_grid_dims
    .group_segment_fixed_size: 17472
    .kernarg_segment_align: 8
    .kernarg_segment_size: 400
    .language:       OpenCL C
    .language_version:
      - 2
      - 0
    .max_flat_workgroup_size: 256
    .name:           _Z39paged_attention_ll4mi_QKV_mfma16_kernelI14__hip_bfloat16hLN4vllm18Fp8KVCacheDataTypeE1EhLi16ELi64ELi256ELb1ELi2EL8MFMAType1EEvPKT_PKT0_S9_ifPKiSB_SB_iPKfiiiPfSE_PS4_PT2_iSD_SD_
    .private_segment_fixed_size: 0
    .sgpr_count:     40
    .sgpr_spill_count: 0
    .symbol:         _Z39paged_attention_ll4mi_QKV_mfma16_kernelI14__hip_bfloat16hLN4vllm18Fp8KVCacheDataTypeE1EhLi16ELi64ELi256ELb1ELi2EL8MFMAType1EEvPKT_PKT0_S9_ifPKiSB_SB_iPKfiiiPfSE_PS4_PT2_iSD_SD_.kd
    .uniform_work_group_size: 1
    .uses_dynamic_stack: false
    .vgpr_count:     125
    .vgpr_spill_count: 0
    .wavefront_size: 32
    .workgroup_processor_mode: 1
  - .args:
      - .actual_access:  read_only
        .address_space:  global
        .offset:         0
        .size:           8
        .value_kind:     global_buffer
      - .actual_access:  read_only
        .address_space:  global
        .offset:         8
        .size:           8
        .value_kind:     global_buffer
      - .actual_access:  read_only
        .address_space:  global
        .offset:         16
        .size:           8
        .value_kind:     global_buffer
      - .offset:         24
        .size:           4
        .value_kind:     by_value
      - .offset:         28
        .size:           4
        .value_kind:     by_value
      - .actual_access:  read_only
        .address_space:  global
        .offset:         32
        .size:           8
        .value_kind:     global_buffer
      - .actual_access:  read_only
        .address_space:  global
        .offset:         40
        .size:           8
        .value_kind:     global_buffer
      - .actual_access:  read_only
        .address_space:  global
        .offset:         48
        .size:           8
        .value_kind:     global_buffer
      - .offset:         56
        .size:           4
        .value_kind:     by_value
      - .actual_access:  read_only
        .address_space:  global
        .offset:         64
        .size:           8
        .value_kind:     global_buffer
      - .offset:         72
        .size:           4
        .value_kind:     by_value
      - .offset:         76
        .size:           4
        .value_kind:     by_value
      - .offset:         80
        .size:           4
        .value_kind:     by_value
      - .actual_access:  write_only
        .address_space:  global
        .offset:         88
        .size:           8
        .value_kind:     global_buffer
      - .actual_access:  write_only
        .address_space:  global
        .offset:         96
        .size:           8
        .value_kind:     global_buffer
      - .actual_access:  write_only
        .address_space:  global
        .offset:         104
        .size:           8
        .value_kind:     global_buffer
      - .actual_access:  read_only
        .address_space:  global
        .offset:         112
        .size:           8
        .value_kind:     global_buffer
      - .offset:         120
        .size:           4
        .value_kind:     by_value
      - .address_space:  global
        .offset:         128
        .size:           8
        .value_kind:     global_buffer
      - .address_space:  global
        .offset:         136
        .size:           8
        .value_kind:     global_buffer
      - .offset:         144
        .size:           4
        .value_kind:     hidden_block_count_x
      - .offset:         148
        .size:           4
        .value_kind:     hidden_block_count_y
      - .offset:         152
        .size:           4
        .value_kind:     hidden_block_count_z
      - .offset:         156
        .size:           2
        .value_kind:     hidden_group_size_x
      - .offset:         158
        .size:           2
        .value_kind:     hidden_group_size_y
      - .offset:         160
        .size:           2
        .value_kind:     hidden_group_size_z
      - .offset:         162
        .size:           2
        .value_kind:     hidden_remainder_x
      - .offset:         164
        .size:           2
        .value_kind:     hidden_remainder_y
      - .offset:         166
        .size:           2
        .value_kind:     hidden_remainder_z
      - .offset:         184
        .size:           8
        .value_kind:     hidden_global_offset_x
      - .offset:         192
        .size:           8
        .value_kind:     hidden_global_offset_y
      - .offset:         200
        .size:           8
        .value_kind:     hidden_global_offset_z
      - .offset:         208
        .size:           2
        .value_kind:     hidden_grid_dims
    .group_segment_fixed_size: 17472
    .kernarg_segment_align: 8
    .kernarg_segment_size: 400
    .language:       OpenCL C
    .language_version:
      - 2
      - 0
    .max_flat_workgroup_size: 256
    .name:           _Z39paged_attention_ll4mi_QKV_mfma16_kernelI14__hip_bfloat16hLN4vllm18Fp8KVCacheDataTypeE1EhLi16ELi64ELi256ELb1ELi3EL8MFMAType1EEvPKT_PKT0_S9_ifPKiSB_SB_iPKfiiiPfSE_PS4_PT2_iSD_SD_
    .private_segment_fixed_size: 0
    .sgpr_count:     42
    .sgpr_spill_count: 0
    .symbol:         _Z39paged_attention_ll4mi_QKV_mfma16_kernelI14__hip_bfloat16hLN4vllm18Fp8KVCacheDataTypeE1EhLi16ELi64ELi256ELb1ELi3EL8MFMAType1EEvPKT_PKT0_S9_ifPKiSB_SB_iPKfiiiPfSE_PS4_PT2_iSD_SD_.kd
    .uniform_work_group_size: 1
    .uses_dynamic_stack: false
    .vgpr_count:     124
    .vgpr_spill_count: 0
    .wavefront_size: 32
    .workgroup_processor_mode: 1
  - .args:
      - .actual_access:  read_only
        .address_space:  global
        .offset:         0
        .size:           8
        .value_kind:     global_buffer
      - .actual_access:  read_only
        .address_space:  global
        .offset:         8
        .size:           8
        .value_kind:     global_buffer
      - .actual_access:  read_only
        .address_space:  global
        .offset:         16
        .size:           8
        .value_kind:     global_buffer
      - .offset:         24
        .size:           4
        .value_kind:     by_value
      - .offset:         28
        .size:           4
        .value_kind:     by_value
      - .actual_access:  read_only
        .address_space:  global
        .offset:         32
        .size:           8
        .value_kind:     global_buffer
      - .actual_access:  read_only
        .address_space:  global
        .offset:         40
        .size:           8
        .value_kind:     global_buffer
      - .actual_access:  read_only
        .address_space:  global
        .offset:         48
        .size:           8
        .value_kind:     global_buffer
      - .offset:         56
        .size:           4
        .value_kind:     by_value
      - .actual_access:  read_only
        .address_space:  global
        .offset:         64
        .size:           8
        .value_kind:     global_buffer
      - .offset:         72
        .size:           4
        .value_kind:     by_value
      - .offset:         76
        .size:           4
        .value_kind:     by_value
      - .offset:         80
        .size:           4
        .value_kind:     by_value
      - .actual_access:  write_only
        .address_space:  global
        .offset:         88
        .size:           8
        .value_kind:     global_buffer
      - .actual_access:  write_only
        .address_space:  global
        .offset:         96
        .size:           8
        .value_kind:     global_buffer
      - .actual_access:  write_only
        .address_space:  global
        .offset:         104
        .size:           8
        .value_kind:     global_buffer
      - .actual_access:  read_only
        .address_space:  global
        .offset:         112
        .size:           8
        .value_kind:     global_buffer
      - .offset:         120
        .size:           4
        .value_kind:     by_value
      - .address_space:  global
        .offset:         128
        .size:           8
        .value_kind:     global_buffer
      - .address_space:  global
        .offset:         136
        .size:           8
        .value_kind:     global_buffer
      - .offset:         144
        .size:           4
        .value_kind:     hidden_block_count_x
      - .offset:         148
        .size:           4
        .value_kind:     hidden_block_count_y
      - .offset:         152
        .size:           4
        .value_kind:     hidden_block_count_z
      - .offset:         156
        .size:           2
        .value_kind:     hidden_group_size_x
      - .offset:         158
        .size:           2
        .value_kind:     hidden_group_size_y
      - .offset:         160
        .size:           2
        .value_kind:     hidden_group_size_z
      - .offset:         162
        .size:           2
        .value_kind:     hidden_remainder_x
      - .offset:         164
        .size:           2
        .value_kind:     hidden_remainder_y
      - .offset:         166
        .size:           2
        .value_kind:     hidden_remainder_z
      - .offset:         184
        .size:           8
        .value_kind:     hidden_global_offset_x
      - .offset:         192
        .size:           8
        .value_kind:     hidden_global_offset_y
      - .offset:         200
        .size:           8
        .value_kind:     hidden_global_offset_z
      - .offset:         208
        .size:           2
        .value_kind:     hidden_grid_dims
    .group_segment_fixed_size: 17472
    .kernarg_segment_align: 8
    .kernarg_segment_size: 400
    .language:       OpenCL C
    .language_version:
      - 2
      - 0
    .max_flat_workgroup_size: 256
    .name:           _Z39paged_attention_ll4mi_QKV_mfma16_kernelI14__hip_bfloat16hLN4vllm18Fp8KVCacheDataTypeE1EhLi16ELi64ELi256ELb1ELi4EL8MFMAType1EEvPKT_PKT0_S9_ifPKiSB_SB_iPKfiiiPfSE_PS4_PT2_iSD_SD_
    .private_segment_fixed_size: 0
    .sgpr_count:     40
    .sgpr_spill_count: 0
    .symbol:         _Z39paged_attention_ll4mi_QKV_mfma16_kernelI14__hip_bfloat16hLN4vllm18Fp8KVCacheDataTypeE1EhLi16ELi64ELi256ELb1ELi4EL8MFMAType1EEvPKT_PKT0_S9_ifPKiSB_SB_iPKfiiiPfSE_PS4_PT2_iSD_SD_.kd
    .uniform_work_group_size: 1
    .uses_dynamic_stack: false
    .vgpr_count:     124
    .vgpr_spill_count: 0
    .wavefront_size: 32
    .workgroup_processor_mode: 1
  - .args:
      - .actual_access:  read_only
        .address_space:  global
        .offset:         0
        .size:           8
        .value_kind:     global_buffer
      - .actual_access:  read_only
        .address_space:  global
        .offset:         8
        .size:           8
        .value_kind:     global_buffer
      - .actual_access:  read_only
        .address_space:  global
        .offset:         16
        .size:           8
        .value_kind:     global_buffer
      - .offset:         24
        .size:           4
        .value_kind:     by_value
      - .offset:         28
        .size:           4
        .value_kind:     by_value
      - .actual_access:  read_only
        .address_space:  global
        .offset:         32
        .size:           8
        .value_kind:     global_buffer
      - .actual_access:  read_only
        .address_space:  global
        .offset:         40
        .size:           8
        .value_kind:     global_buffer
      - .actual_access:  read_only
        .address_space:  global
        .offset:         48
        .size:           8
        .value_kind:     global_buffer
      - .offset:         56
        .size:           4
        .value_kind:     by_value
      - .actual_access:  read_only
        .address_space:  global
        .offset:         64
        .size:           8
        .value_kind:     global_buffer
      - .offset:         72
        .size:           4
        .value_kind:     by_value
      - .offset:         76
        .size:           4
        .value_kind:     by_value
      - .offset:         80
        .size:           4
        .value_kind:     by_value
      - .actual_access:  read_only
        .address_space:  global
        .offset:         88
        .size:           8
        .value_kind:     global_buffer
      - .actual_access:  read_only
        .address_space:  global
        .offset:         96
        .size:           8
        .value_kind:     global_buffer
      - .actual_access:  read_only
        .address_space:  global
        .offset:         104
        .size:           8
        .value_kind:     global_buffer
      - .actual_access:  read_only
        .address_space:  global
        .offset:         112
        .size:           8
        .value_kind:     global_buffer
      - .offset:         120
        .size:           4
        .value_kind:     by_value
      - .address_space:  global
        .offset:         128
        .size:           8
        .value_kind:     global_buffer
      - .address_space:  global
        .offset:         136
        .size:           8
        .value_kind:     global_buffer
      - .offset:         144
        .size:           4
        .value_kind:     hidden_block_count_x
      - .offset:         148
        .size:           4
        .value_kind:     hidden_block_count_y
      - .offset:         152
        .size:           4
        .value_kind:     hidden_block_count_z
      - .offset:         156
        .size:           2
        .value_kind:     hidden_group_size_x
      - .offset:         158
        .size:           2
        .value_kind:     hidden_group_size_y
      - .offset:         160
        .size:           2
        .value_kind:     hidden_group_size_z
      - .offset:         162
        .size:           2
        .value_kind:     hidden_remainder_x
      - .offset:         164
        .size:           2
        .value_kind:     hidden_remainder_y
      - .offset:         166
        .size:           2
        .value_kind:     hidden_remainder_z
      - .offset:         184
        .size:           8
        .value_kind:     hidden_global_offset_x
      - .offset:         192
        .size:           8
        .value_kind:     hidden_global_offset_y
      - .offset:         200
        .size:           8
        .value_kind:     hidden_global_offset_z
      - .offset:         208
        .size:           2
        .value_kind:     hidden_grid_dims
      - .offset:         224
        .size:           8
        .value_kind:     hidden_hostcall_buffer
    .group_segment_fixed_size: 0
    .kernarg_segment_align: 8
    .kernarg_segment_size: 400
    .language:       OpenCL C
    .language_version:
      - 2
      - 0
    .max_flat_workgroup_size: 256
    .name:           _Z38paged_attention_ll4mi_QKV_mfma4_kernelI14__hip_bfloat16hLN4vllm18Fp8KVCacheDataTypeE1EhLi16ELi64ELi256ELb0ELi1EEvPKT_PKT0_S8_ifPKiSA_SA_iPKfiiiPfSD_PS3_PT2_iSC_SC_
    .private_segment_fixed_size: 64
    .sgpr_count:     36
    .sgpr_spill_count: 0
    .symbol:         _Z38paged_attention_ll4mi_QKV_mfma4_kernelI14__hip_bfloat16hLN4vllm18Fp8KVCacheDataTypeE1EhLi16ELi64ELi256ELb0ELi1EEvPKT_PKT0_S8_ifPKiSA_SA_iPKfiiiPfSD_PS3_PT2_iSC_SC_.kd
    .uniform_work_group_size: 1
    .uses_dynamic_stack: false
    .vgpr_count:     41
    .vgpr_spill_count: 0
    .wavefront_size: 32
    .workgroup_processor_mode: 1
  - .args:
      - .actual_access:  read_only
        .address_space:  global
        .offset:         0
        .size:           8
        .value_kind:     global_buffer
      - .actual_access:  read_only
        .address_space:  global
        .offset:         8
        .size:           8
        .value_kind:     global_buffer
      - .actual_access:  read_only
        .address_space:  global
        .offset:         16
        .size:           8
        .value_kind:     global_buffer
      - .offset:         24
        .size:           4
        .value_kind:     by_value
      - .offset:         28
        .size:           4
        .value_kind:     by_value
      - .actual_access:  read_only
        .address_space:  global
        .offset:         32
        .size:           8
        .value_kind:     global_buffer
      - .actual_access:  read_only
        .address_space:  global
        .offset:         40
        .size:           8
        .value_kind:     global_buffer
      - .actual_access:  read_only
        .address_space:  global
        .offset:         48
        .size:           8
        .value_kind:     global_buffer
      - .offset:         56
        .size:           4
        .value_kind:     by_value
      - .actual_access:  read_only
        .address_space:  global
        .offset:         64
        .size:           8
        .value_kind:     global_buffer
      - .offset:         72
        .size:           4
        .value_kind:     by_value
      - .offset:         76
        .size:           4
        .value_kind:     by_value
      - .offset:         80
        .size:           4
        .value_kind:     by_value
      - .actual_access:  read_only
        .address_space:  global
        .offset:         88
        .size:           8
        .value_kind:     global_buffer
      - .actual_access:  read_only
        .address_space:  global
        .offset:         96
        .size:           8
        .value_kind:     global_buffer
      - .actual_access:  read_only
        .address_space:  global
        .offset:         104
        .size:           8
        .value_kind:     global_buffer
      - .actual_access:  read_only
        .address_space:  global
        .offset:         112
        .size:           8
        .value_kind:     global_buffer
      - .offset:         120
        .size:           4
        .value_kind:     by_value
      - .address_space:  global
        .offset:         128
        .size:           8
        .value_kind:     global_buffer
      - .address_space:  global
        .offset:         136
        .size:           8
        .value_kind:     global_buffer
      - .offset:         144
        .size:           4
        .value_kind:     hidden_block_count_x
      - .offset:         148
        .size:           4
        .value_kind:     hidden_block_count_y
      - .offset:         152
        .size:           4
        .value_kind:     hidden_block_count_z
      - .offset:         156
        .size:           2
        .value_kind:     hidden_group_size_x
      - .offset:         158
        .size:           2
        .value_kind:     hidden_group_size_y
      - .offset:         160
        .size:           2
        .value_kind:     hidden_group_size_z
      - .offset:         162
        .size:           2
        .value_kind:     hidden_remainder_x
      - .offset:         164
        .size:           2
        .value_kind:     hidden_remainder_y
      - .offset:         166
        .size:           2
        .value_kind:     hidden_remainder_z
      - .offset:         184
        .size:           8
        .value_kind:     hidden_global_offset_x
      - .offset:         192
        .size:           8
        .value_kind:     hidden_global_offset_y
      - .offset:         200
        .size:           8
        .value_kind:     hidden_global_offset_z
      - .offset:         208
        .size:           2
        .value_kind:     hidden_grid_dims
      - .offset:         224
        .size:           8
        .value_kind:     hidden_hostcall_buffer
    .group_segment_fixed_size: 0
    .kernarg_segment_align: 8
    .kernarg_segment_size: 400
    .language:       OpenCL C
    .language_version:
      - 2
      - 0
    .max_flat_workgroup_size: 256
    .name:           _Z38paged_attention_ll4mi_QKV_mfma4_kernelI14__hip_bfloat16hLN4vllm18Fp8KVCacheDataTypeE1EhLi16ELi64ELi256ELb0ELi2EEvPKT_PKT0_S8_ifPKiSA_SA_iPKfiiiPfSD_PS3_PT2_iSC_SC_
    .private_segment_fixed_size: 64
    .sgpr_count:     36
    .sgpr_spill_count: 0
    .symbol:         _Z38paged_attention_ll4mi_QKV_mfma4_kernelI14__hip_bfloat16hLN4vllm18Fp8KVCacheDataTypeE1EhLi16ELi64ELi256ELb0ELi2EEvPKT_PKT0_S8_ifPKiSA_SA_iPKfiiiPfSD_PS3_PT2_iSC_SC_.kd
    .uniform_work_group_size: 1
    .uses_dynamic_stack: false
    .vgpr_count:     41
    .vgpr_spill_count: 0
    .wavefront_size: 32
    .workgroup_processor_mode: 1
  - .args:
      - .actual_access:  read_only
        .address_space:  global
        .offset:         0
        .size:           8
        .value_kind:     global_buffer
      - .actual_access:  read_only
        .address_space:  global
        .offset:         8
        .size:           8
        .value_kind:     global_buffer
      - .actual_access:  read_only
        .address_space:  global
        .offset:         16
        .size:           8
        .value_kind:     global_buffer
      - .offset:         24
        .size:           4
        .value_kind:     by_value
      - .offset:         28
        .size:           4
        .value_kind:     by_value
      - .actual_access:  read_only
        .address_space:  global
        .offset:         32
        .size:           8
        .value_kind:     global_buffer
      - .actual_access:  read_only
        .address_space:  global
        .offset:         40
        .size:           8
        .value_kind:     global_buffer
      - .actual_access:  read_only
        .address_space:  global
        .offset:         48
        .size:           8
        .value_kind:     global_buffer
      - .offset:         56
        .size:           4
        .value_kind:     by_value
      - .actual_access:  read_only
        .address_space:  global
        .offset:         64
        .size:           8
        .value_kind:     global_buffer
      - .offset:         72
        .size:           4
        .value_kind:     by_value
      - .offset:         76
        .size:           4
        .value_kind:     by_value
      - .offset:         80
        .size:           4
        .value_kind:     by_value
      - .actual_access:  read_only
        .address_space:  global
        .offset:         88
        .size:           8
        .value_kind:     global_buffer
      - .actual_access:  read_only
        .address_space:  global
        .offset:         96
        .size:           8
        .value_kind:     global_buffer
      - .actual_access:  read_only
        .address_space:  global
        .offset:         104
        .size:           8
        .value_kind:     global_buffer
      - .actual_access:  read_only
        .address_space:  global
        .offset:         112
        .size:           8
        .value_kind:     global_buffer
      - .offset:         120
        .size:           4
        .value_kind:     by_value
      - .address_space:  global
        .offset:         128
        .size:           8
        .value_kind:     global_buffer
      - .address_space:  global
        .offset:         136
        .size:           8
        .value_kind:     global_buffer
      - .offset:         144
        .size:           4
        .value_kind:     hidden_block_count_x
      - .offset:         148
        .size:           4
        .value_kind:     hidden_block_count_y
      - .offset:         152
        .size:           4
        .value_kind:     hidden_block_count_z
      - .offset:         156
        .size:           2
        .value_kind:     hidden_group_size_x
      - .offset:         158
        .size:           2
        .value_kind:     hidden_group_size_y
      - .offset:         160
        .size:           2
        .value_kind:     hidden_group_size_z
      - .offset:         162
        .size:           2
        .value_kind:     hidden_remainder_x
      - .offset:         164
        .size:           2
        .value_kind:     hidden_remainder_y
      - .offset:         166
        .size:           2
        .value_kind:     hidden_remainder_z
      - .offset:         184
        .size:           8
        .value_kind:     hidden_global_offset_x
      - .offset:         192
        .size:           8
        .value_kind:     hidden_global_offset_y
      - .offset:         200
        .size:           8
        .value_kind:     hidden_global_offset_z
      - .offset:         208
        .size:           2
        .value_kind:     hidden_grid_dims
      - .offset:         224
        .size:           8
        .value_kind:     hidden_hostcall_buffer
    .group_segment_fixed_size: 0
    .kernarg_segment_align: 8
    .kernarg_segment_size: 400
    .language:       OpenCL C
    .language_version:
      - 2
      - 0
    .max_flat_workgroup_size: 256
    .name:           _Z38paged_attention_ll4mi_QKV_mfma4_kernelI14__hip_bfloat16hLN4vllm18Fp8KVCacheDataTypeE1EhLi16ELi64ELi256ELb0ELi3EEvPKT_PKT0_S8_ifPKiSA_SA_iPKfiiiPfSD_PS3_PT2_iSC_SC_
    .private_segment_fixed_size: 64
    .sgpr_count:     36
    .sgpr_spill_count: 0
    .symbol:         _Z38paged_attention_ll4mi_QKV_mfma4_kernelI14__hip_bfloat16hLN4vllm18Fp8KVCacheDataTypeE1EhLi16ELi64ELi256ELb0ELi3EEvPKT_PKT0_S8_ifPKiSA_SA_iPKfiiiPfSD_PS3_PT2_iSC_SC_.kd
    .uniform_work_group_size: 1
    .uses_dynamic_stack: false
    .vgpr_count:     41
    .vgpr_spill_count: 0
    .wavefront_size: 32
    .workgroup_processor_mode: 1
  - .args:
      - .actual_access:  read_only
        .address_space:  global
        .offset:         0
        .size:           8
        .value_kind:     global_buffer
      - .actual_access:  read_only
        .address_space:  global
        .offset:         8
        .size:           8
        .value_kind:     global_buffer
      - .actual_access:  read_only
        .address_space:  global
        .offset:         16
        .size:           8
        .value_kind:     global_buffer
      - .offset:         24
        .size:           4
        .value_kind:     by_value
      - .offset:         28
        .size:           4
        .value_kind:     by_value
      - .actual_access:  read_only
        .address_space:  global
        .offset:         32
        .size:           8
        .value_kind:     global_buffer
      - .actual_access:  read_only
        .address_space:  global
        .offset:         40
        .size:           8
        .value_kind:     global_buffer
      - .actual_access:  read_only
        .address_space:  global
        .offset:         48
        .size:           8
        .value_kind:     global_buffer
      - .offset:         56
        .size:           4
        .value_kind:     by_value
      - .actual_access:  read_only
        .address_space:  global
        .offset:         64
        .size:           8
        .value_kind:     global_buffer
      - .offset:         72
        .size:           4
        .value_kind:     by_value
      - .offset:         76
        .size:           4
        .value_kind:     by_value
      - .offset:         80
        .size:           4
        .value_kind:     by_value
      - .actual_access:  read_only
        .address_space:  global
        .offset:         88
        .size:           8
        .value_kind:     global_buffer
      - .actual_access:  read_only
        .address_space:  global
        .offset:         96
        .size:           8
        .value_kind:     global_buffer
      - .actual_access:  read_only
        .address_space:  global
        .offset:         104
        .size:           8
        .value_kind:     global_buffer
      - .actual_access:  read_only
        .address_space:  global
        .offset:         112
        .size:           8
        .value_kind:     global_buffer
      - .offset:         120
        .size:           4
        .value_kind:     by_value
      - .address_space:  global
        .offset:         128
        .size:           8
        .value_kind:     global_buffer
      - .address_space:  global
        .offset:         136
        .size:           8
        .value_kind:     global_buffer
      - .offset:         144
        .size:           4
        .value_kind:     hidden_block_count_x
      - .offset:         148
        .size:           4
        .value_kind:     hidden_block_count_y
      - .offset:         152
        .size:           4
        .value_kind:     hidden_block_count_z
      - .offset:         156
        .size:           2
        .value_kind:     hidden_group_size_x
      - .offset:         158
        .size:           2
        .value_kind:     hidden_group_size_y
      - .offset:         160
        .size:           2
        .value_kind:     hidden_group_size_z
      - .offset:         162
        .size:           2
        .value_kind:     hidden_remainder_x
      - .offset:         164
        .size:           2
        .value_kind:     hidden_remainder_y
      - .offset:         166
        .size:           2
        .value_kind:     hidden_remainder_z
      - .offset:         184
        .size:           8
        .value_kind:     hidden_global_offset_x
      - .offset:         192
        .size:           8
        .value_kind:     hidden_global_offset_y
      - .offset:         200
        .size:           8
        .value_kind:     hidden_global_offset_z
      - .offset:         208
        .size:           2
        .value_kind:     hidden_grid_dims
      - .offset:         224
        .size:           8
        .value_kind:     hidden_hostcall_buffer
    .group_segment_fixed_size: 0
    .kernarg_segment_align: 8
    .kernarg_segment_size: 400
    .language:       OpenCL C
    .language_version:
      - 2
      - 0
    .max_flat_workgroup_size: 256
    .name:           _Z38paged_attention_ll4mi_QKV_mfma4_kernelI14__hip_bfloat16hLN4vllm18Fp8KVCacheDataTypeE1EhLi16ELi64ELi256ELb0ELi4EEvPKT_PKT0_S8_ifPKiSA_SA_iPKfiiiPfSD_PS3_PT2_iSC_SC_
    .private_segment_fixed_size: 64
    .sgpr_count:     36
    .sgpr_spill_count: 0
    .symbol:         _Z38paged_attention_ll4mi_QKV_mfma4_kernelI14__hip_bfloat16hLN4vllm18Fp8KVCacheDataTypeE1EhLi16ELi64ELi256ELb0ELi4EEvPKT_PKT0_S8_ifPKiSA_SA_iPKfiiiPfSD_PS3_PT2_iSC_SC_.kd
    .uniform_work_group_size: 1
    .uses_dynamic_stack: false
    .vgpr_count:     41
    .vgpr_spill_count: 0
    .wavefront_size: 32
    .workgroup_processor_mode: 1
  - .args:
      - .actual_access:  read_only
        .address_space:  global
        .offset:         0
        .size:           8
        .value_kind:     global_buffer
      - .actual_access:  read_only
        .address_space:  global
        .offset:         8
        .size:           8
        .value_kind:     global_buffer
      - .actual_access:  read_only
        .address_space:  global
        .offset:         16
        .size:           8
        .value_kind:     global_buffer
      - .offset:         24
        .size:           4
        .value_kind:     by_value
      - .offset:         28
        .size:           4
        .value_kind:     by_value
      - .actual_access:  read_only
        .address_space:  global
        .offset:         32
        .size:           8
        .value_kind:     global_buffer
      - .actual_access:  read_only
        .address_space:  global
        .offset:         40
        .size:           8
        .value_kind:     global_buffer
      - .actual_access:  read_only
        .address_space:  global
        .offset:         48
        .size:           8
        .value_kind:     global_buffer
      - .offset:         56
        .size:           4
        .value_kind:     by_value
      - .actual_access:  read_only
        .address_space:  global
        .offset:         64
        .size:           8
        .value_kind:     global_buffer
      - .offset:         72
        .size:           4
        .value_kind:     by_value
      - .offset:         76
        .size:           4
        .value_kind:     by_value
      - .offset:         80
        .size:           4
        .value_kind:     by_value
      - .actual_access:  write_only
        .address_space:  global
        .offset:         88
        .size:           8
        .value_kind:     global_buffer
      - .actual_access:  write_only
        .address_space:  global
        .offset:         96
        .size:           8
        .value_kind:     global_buffer
      - .actual_access:  write_only
        .address_space:  global
        .offset:         104
        .size:           8
        .value_kind:     global_buffer
      - .actual_access:  read_only
        .address_space:  global
        .offset:         112
        .size:           8
        .value_kind:     global_buffer
      - .offset:         120
        .size:           4
        .value_kind:     by_value
      - .address_space:  global
        .offset:         128
        .size:           8
        .value_kind:     global_buffer
      - .address_space:  global
        .offset:         136
        .size:           8
        .value_kind:     global_buffer
      - .offset:         144
        .size:           4
        .value_kind:     hidden_block_count_x
      - .offset:         148
        .size:           4
        .value_kind:     hidden_block_count_y
      - .offset:         152
        .size:           4
        .value_kind:     hidden_block_count_z
      - .offset:         156
        .size:           2
        .value_kind:     hidden_group_size_x
      - .offset:         158
        .size:           2
        .value_kind:     hidden_group_size_y
      - .offset:         160
        .size:           2
        .value_kind:     hidden_group_size_z
      - .offset:         162
        .size:           2
        .value_kind:     hidden_remainder_x
      - .offset:         164
        .size:           2
        .value_kind:     hidden_remainder_y
      - .offset:         166
        .size:           2
        .value_kind:     hidden_remainder_z
      - .offset:         184
        .size:           8
        .value_kind:     hidden_global_offset_x
      - .offset:         192
        .size:           8
        .value_kind:     hidden_global_offset_y
      - .offset:         200
        .size:           8
        .value_kind:     hidden_global_offset_z
      - .offset:         208
        .size:           2
        .value_kind:     hidden_grid_dims
    .group_segment_fixed_size: 17472
    .kernarg_segment_align: 8
    .kernarg_segment_size: 400
    .language:       OpenCL C
    .language_version:
      - 2
      - 0
    .max_flat_workgroup_size: 256
    .name:           _Z39paged_attention_ll4mi_QKV_mfma16_kernelI14__hip_bfloat16hLN4vllm18Fp8KVCacheDataTypeE1EhLi16ELi64ELi256ELb0ELi5EL8MFMAType1EEvPKT_PKT0_S9_ifPKiSB_SB_iPKfiiiPfSE_PS4_PT2_iSD_SD_
    .private_segment_fixed_size: 0
    .sgpr_count:     42
    .sgpr_spill_count: 0
    .symbol:         _Z39paged_attention_ll4mi_QKV_mfma16_kernelI14__hip_bfloat16hLN4vllm18Fp8KVCacheDataTypeE1EhLi16ELi64ELi256ELb0ELi5EL8MFMAType1EEvPKT_PKT0_S9_ifPKiSB_SB_iPKfiiiPfSE_PS4_PT2_iSD_SD_.kd
    .uniform_work_group_size: 1
    .uses_dynamic_stack: false
    .vgpr_count:     124
    .vgpr_spill_count: 0
    .wavefront_size: 32
    .workgroup_processor_mode: 1
  - .args:
      - .actual_access:  read_only
        .address_space:  global
        .offset:         0
        .size:           8
        .value_kind:     global_buffer
      - .actual_access:  read_only
        .address_space:  global
        .offset:         8
        .size:           8
        .value_kind:     global_buffer
      - .actual_access:  read_only
        .address_space:  global
        .offset:         16
        .size:           8
        .value_kind:     global_buffer
      - .offset:         24
        .size:           4
        .value_kind:     by_value
      - .offset:         28
        .size:           4
        .value_kind:     by_value
      - .actual_access:  read_only
        .address_space:  global
        .offset:         32
        .size:           8
        .value_kind:     global_buffer
      - .actual_access:  read_only
        .address_space:  global
        .offset:         40
        .size:           8
        .value_kind:     global_buffer
      - .actual_access:  read_only
        .address_space:  global
        .offset:         48
        .size:           8
        .value_kind:     global_buffer
      - .offset:         56
        .size:           4
        .value_kind:     by_value
      - .actual_access:  read_only
        .address_space:  global
        .offset:         64
        .size:           8
        .value_kind:     global_buffer
      - .offset:         72
        .size:           4
        .value_kind:     by_value
      - .offset:         76
        .size:           4
        .value_kind:     by_value
      - .offset:         80
        .size:           4
        .value_kind:     by_value
      - .actual_access:  write_only
        .address_space:  global
        .offset:         88
        .size:           8
        .value_kind:     global_buffer
      - .actual_access:  write_only
        .address_space:  global
        .offset:         96
        .size:           8
        .value_kind:     global_buffer
      - .actual_access:  write_only
        .address_space:  global
        .offset:         104
        .size:           8
        .value_kind:     global_buffer
      - .actual_access:  read_only
        .address_space:  global
        .offset:         112
        .size:           8
        .value_kind:     global_buffer
      - .offset:         120
        .size:           4
        .value_kind:     by_value
      - .address_space:  global
        .offset:         128
        .size:           8
        .value_kind:     global_buffer
      - .address_space:  global
        .offset:         136
        .size:           8
        .value_kind:     global_buffer
      - .offset:         144
        .size:           4
        .value_kind:     hidden_block_count_x
      - .offset:         148
        .size:           4
        .value_kind:     hidden_block_count_y
      - .offset:         152
        .size:           4
        .value_kind:     hidden_block_count_z
      - .offset:         156
        .size:           2
        .value_kind:     hidden_group_size_x
      - .offset:         158
        .size:           2
        .value_kind:     hidden_group_size_y
      - .offset:         160
        .size:           2
        .value_kind:     hidden_group_size_z
      - .offset:         162
        .size:           2
        .value_kind:     hidden_remainder_x
      - .offset:         164
        .size:           2
        .value_kind:     hidden_remainder_y
      - .offset:         166
        .size:           2
        .value_kind:     hidden_remainder_z
      - .offset:         184
        .size:           8
        .value_kind:     hidden_global_offset_x
      - .offset:         192
        .size:           8
        .value_kind:     hidden_global_offset_y
      - .offset:         200
        .size:           8
        .value_kind:     hidden_global_offset_z
      - .offset:         208
        .size:           2
        .value_kind:     hidden_grid_dims
    .group_segment_fixed_size: 17472
    .kernarg_segment_align: 8
    .kernarg_segment_size: 400
    .language:       OpenCL C
    .language_version:
      - 2
      - 0
    .max_flat_workgroup_size: 256
    .name:           _Z39paged_attention_ll4mi_QKV_mfma16_kernelI14__hip_bfloat16hLN4vllm18Fp8KVCacheDataTypeE1EhLi16ELi64ELi256ELb0ELi6EL8MFMAType1EEvPKT_PKT0_S9_ifPKiSB_SB_iPKfiiiPfSE_PS4_PT2_iSD_SD_
    .private_segment_fixed_size: 0
    .sgpr_count:     40
    .sgpr_spill_count: 0
    .symbol:         _Z39paged_attention_ll4mi_QKV_mfma16_kernelI14__hip_bfloat16hLN4vllm18Fp8KVCacheDataTypeE1EhLi16ELi64ELi256ELb0ELi6EL8MFMAType1EEvPKT_PKT0_S9_ifPKiSB_SB_iPKfiiiPfSE_PS4_PT2_iSD_SD_.kd
    .uniform_work_group_size: 1
    .uses_dynamic_stack: false
    .vgpr_count:     124
    .vgpr_spill_count: 0
    .wavefront_size: 32
    .workgroup_processor_mode: 1
  - .args:
      - .actual_access:  read_only
        .address_space:  global
        .offset:         0
        .size:           8
        .value_kind:     global_buffer
      - .actual_access:  read_only
        .address_space:  global
        .offset:         8
        .size:           8
        .value_kind:     global_buffer
      - .actual_access:  read_only
        .address_space:  global
        .offset:         16
        .size:           8
        .value_kind:     global_buffer
      - .offset:         24
        .size:           4
        .value_kind:     by_value
      - .offset:         28
        .size:           4
        .value_kind:     by_value
      - .actual_access:  read_only
        .address_space:  global
        .offset:         32
        .size:           8
        .value_kind:     global_buffer
      - .actual_access:  read_only
        .address_space:  global
        .offset:         40
        .size:           8
        .value_kind:     global_buffer
      - .actual_access:  read_only
        .address_space:  global
        .offset:         48
        .size:           8
        .value_kind:     global_buffer
      - .offset:         56
        .size:           4
        .value_kind:     by_value
      - .actual_access:  read_only
        .address_space:  global
        .offset:         64
        .size:           8
        .value_kind:     global_buffer
      - .offset:         72
        .size:           4
        .value_kind:     by_value
      - .offset:         76
        .size:           4
        .value_kind:     by_value
      - .offset:         80
        .size:           4
        .value_kind:     by_value
      - .actual_access:  write_only
        .address_space:  global
        .offset:         88
        .size:           8
        .value_kind:     global_buffer
      - .actual_access:  write_only
        .address_space:  global
        .offset:         96
        .size:           8
        .value_kind:     global_buffer
      - .actual_access:  write_only
        .address_space:  global
        .offset:         104
        .size:           8
        .value_kind:     global_buffer
      - .actual_access:  read_only
        .address_space:  global
        .offset:         112
        .size:           8
        .value_kind:     global_buffer
      - .offset:         120
        .size:           4
        .value_kind:     by_value
      - .address_space:  global
        .offset:         128
        .size:           8
        .value_kind:     global_buffer
      - .address_space:  global
        .offset:         136
        .size:           8
        .value_kind:     global_buffer
      - .offset:         144
        .size:           4
        .value_kind:     hidden_block_count_x
      - .offset:         148
        .size:           4
        .value_kind:     hidden_block_count_y
      - .offset:         152
        .size:           4
        .value_kind:     hidden_block_count_z
      - .offset:         156
        .size:           2
        .value_kind:     hidden_group_size_x
      - .offset:         158
        .size:           2
        .value_kind:     hidden_group_size_y
      - .offset:         160
        .size:           2
        .value_kind:     hidden_group_size_z
      - .offset:         162
        .size:           2
        .value_kind:     hidden_remainder_x
      - .offset:         164
        .size:           2
        .value_kind:     hidden_remainder_y
      - .offset:         166
        .size:           2
        .value_kind:     hidden_remainder_z
      - .offset:         184
        .size:           8
        .value_kind:     hidden_global_offset_x
      - .offset:         192
        .size:           8
        .value_kind:     hidden_global_offset_y
      - .offset:         200
        .size:           8
        .value_kind:     hidden_global_offset_z
      - .offset:         208
        .size:           2
        .value_kind:     hidden_grid_dims
    .group_segment_fixed_size: 17472
    .kernarg_segment_align: 8
    .kernarg_segment_size: 400
    .language:       OpenCL C
    .language_version:
      - 2
      - 0
    .max_flat_workgroup_size: 256
    .name:           _Z39paged_attention_ll4mi_QKV_mfma16_kernelI14__hip_bfloat16hLN4vllm18Fp8KVCacheDataTypeE1EhLi16ELi64ELi256ELb0ELi7EL8MFMAType1EEvPKT_PKT0_S9_ifPKiSB_SB_iPKfiiiPfSE_PS4_PT2_iSD_SD_
    .private_segment_fixed_size: 0
    .sgpr_count:     42
    .sgpr_spill_count: 0
    .symbol:         _Z39paged_attention_ll4mi_QKV_mfma16_kernelI14__hip_bfloat16hLN4vllm18Fp8KVCacheDataTypeE1EhLi16ELi64ELi256ELb0ELi7EL8MFMAType1EEvPKT_PKT0_S9_ifPKiSB_SB_iPKfiiiPfSE_PS4_PT2_iSD_SD_.kd
    .uniform_work_group_size: 1
    .uses_dynamic_stack: false
    .vgpr_count:     124
    .vgpr_spill_count: 0
    .wavefront_size: 32
    .workgroup_processor_mode: 1
  - .args:
      - .actual_access:  read_only
        .address_space:  global
        .offset:         0
        .size:           8
        .value_kind:     global_buffer
      - .actual_access:  read_only
        .address_space:  global
        .offset:         8
        .size:           8
        .value_kind:     global_buffer
      - .actual_access:  read_only
        .address_space:  global
        .offset:         16
        .size:           8
        .value_kind:     global_buffer
      - .offset:         24
        .size:           4
        .value_kind:     by_value
      - .offset:         28
        .size:           4
        .value_kind:     by_value
      - .actual_access:  read_only
        .address_space:  global
        .offset:         32
        .size:           8
        .value_kind:     global_buffer
      - .actual_access:  read_only
        .address_space:  global
        .offset:         40
        .size:           8
        .value_kind:     global_buffer
      - .actual_access:  read_only
        .address_space:  global
        .offset:         48
        .size:           8
        .value_kind:     global_buffer
      - .offset:         56
        .size:           4
        .value_kind:     by_value
      - .actual_access:  read_only
        .address_space:  global
        .offset:         64
        .size:           8
        .value_kind:     global_buffer
      - .offset:         72
        .size:           4
        .value_kind:     by_value
      - .offset:         76
        .size:           4
        .value_kind:     by_value
      - .offset:         80
        .size:           4
        .value_kind:     by_value
      - .actual_access:  write_only
        .address_space:  global
        .offset:         88
        .size:           8
        .value_kind:     global_buffer
      - .actual_access:  write_only
        .address_space:  global
        .offset:         96
        .size:           8
        .value_kind:     global_buffer
      - .actual_access:  write_only
        .address_space:  global
        .offset:         104
        .size:           8
        .value_kind:     global_buffer
      - .actual_access:  read_only
        .address_space:  global
        .offset:         112
        .size:           8
        .value_kind:     global_buffer
      - .offset:         120
        .size:           4
        .value_kind:     by_value
      - .address_space:  global
        .offset:         128
        .size:           8
        .value_kind:     global_buffer
      - .address_space:  global
        .offset:         136
        .size:           8
        .value_kind:     global_buffer
      - .offset:         144
        .size:           4
        .value_kind:     hidden_block_count_x
      - .offset:         148
        .size:           4
        .value_kind:     hidden_block_count_y
      - .offset:         152
        .size:           4
        .value_kind:     hidden_block_count_z
      - .offset:         156
        .size:           2
        .value_kind:     hidden_group_size_x
      - .offset:         158
        .size:           2
        .value_kind:     hidden_group_size_y
      - .offset:         160
        .size:           2
        .value_kind:     hidden_group_size_z
      - .offset:         162
        .size:           2
        .value_kind:     hidden_remainder_x
      - .offset:         164
        .size:           2
        .value_kind:     hidden_remainder_y
      - .offset:         166
        .size:           2
        .value_kind:     hidden_remainder_z
      - .offset:         184
        .size:           8
        .value_kind:     hidden_global_offset_x
      - .offset:         192
        .size:           8
        .value_kind:     hidden_global_offset_y
      - .offset:         200
        .size:           8
        .value_kind:     hidden_global_offset_z
      - .offset:         208
        .size:           2
        .value_kind:     hidden_grid_dims
    .group_segment_fixed_size: 17472
    .kernarg_segment_align: 8
    .kernarg_segment_size: 400
    .language:       OpenCL C
    .language_version:
      - 2
      - 0
    .max_flat_workgroup_size: 256
    .name:           _Z39paged_attention_ll4mi_QKV_mfma16_kernelI14__hip_bfloat16hLN4vllm18Fp8KVCacheDataTypeE1EhLi16ELi64ELi256ELb0ELi8EL8MFMAType1EEvPKT_PKT0_S9_ifPKiSB_SB_iPKfiiiPfSE_PS4_PT2_iSD_SD_
    .private_segment_fixed_size: 0
    .sgpr_count:     40
    .sgpr_spill_count: 0
    .symbol:         _Z39paged_attention_ll4mi_QKV_mfma16_kernelI14__hip_bfloat16hLN4vllm18Fp8KVCacheDataTypeE1EhLi16ELi64ELi256ELb0ELi8EL8MFMAType1EEvPKT_PKT0_S9_ifPKiSB_SB_iPKfiiiPfSE_PS4_PT2_iSD_SD_.kd
    .uniform_work_group_size: 1
    .uses_dynamic_stack: false
    .vgpr_count:     124
    .vgpr_spill_count: 0
    .wavefront_size: 32
    .workgroup_processor_mode: 1
  - .args:
      - .actual_access:  read_only
        .address_space:  global
        .offset:         0
        .size:           8
        .value_kind:     global_buffer
      - .actual_access:  read_only
        .address_space:  global
        .offset:         8
        .size:           8
        .value_kind:     global_buffer
      - .actual_access:  read_only
        .address_space:  global
        .offset:         16
        .size:           8
        .value_kind:     global_buffer
      - .offset:         24
        .size:           4
        .value_kind:     by_value
      - .offset:         28
        .size:           4
        .value_kind:     by_value
      - .actual_access:  read_only
        .address_space:  global
        .offset:         32
        .size:           8
        .value_kind:     global_buffer
      - .actual_access:  read_only
        .address_space:  global
        .offset:         40
        .size:           8
        .value_kind:     global_buffer
      - .actual_access:  read_only
        .address_space:  global
        .offset:         48
        .size:           8
        .value_kind:     global_buffer
      - .offset:         56
        .size:           4
        .value_kind:     by_value
      - .actual_access:  read_only
        .address_space:  global
        .offset:         64
        .size:           8
        .value_kind:     global_buffer
      - .offset:         72
        .size:           4
        .value_kind:     by_value
      - .offset:         76
        .size:           4
        .value_kind:     by_value
      - .offset:         80
        .size:           4
        .value_kind:     by_value
      - .actual_access:  write_only
        .address_space:  global
        .offset:         88
        .size:           8
        .value_kind:     global_buffer
      - .actual_access:  write_only
        .address_space:  global
        .offset:         96
        .size:           8
        .value_kind:     global_buffer
      - .actual_access:  write_only
        .address_space:  global
        .offset:         104
        .size:           8
        .value_kind:     global_buffer
      - .actual_access:  read_only
        .address_space:  global
        .offset:         112
        .size:           8
        .value_kind:     global_buffer
      - .offset:         120
        .size:           4
        .value_kind:     by_value
      - .address_space:  global
        .offset:         128
        .size:           8
        .value_kind:     global_buffer
      - .address_space:  global
        .offset:         136
        .size:           8
        .value_kind:     global_buffer
      - .offset:         144
        .size:           4
        .value_kind:     hidden_block_count_x
      - .offset:         148
        .size:           4
        .value_kind:     hidden_block_count_y
      - .offset:         152
        .size:           4
        .value_kind:     hidden_block_count_z
      - .offset:         156
        .size:           2
        .value_kind:     hidden_group_size_x
      - .offset:         158
        .size:           2
        .value_kind:     hidden_group_size_y
      - .offset:         160
        .size:           2
        .value_kind:     hidden_group_size_z
      - .offset:         162
        .size:           2
        .value_kind:     hidden_remainder_x
      - .offset:         164
        .size:           2
        .value_kind:     hidden_remainder_y
      - .offset:         166
        .size:           2
        .value_kind:     hidden_remainder_z
      - .offset:         184
        .size:           8
        .value_kind:     hidden_global_offset_x
      - .offset:         192
        .size:           8
        .value_kind:     hidden_global_offset_y
      - .offset:         200
        .size:           8
        .value_kind:     hidden_global_offset_z
      - .offset:         208
        .size:           2
        .value_kind:     hidden_grid_dims
    .group_segment_fixed_size: 17472
    .kernarg_segment_align: 8
    .kernarg_segment_size: 400
    .language:       OpenCL C
    .language_version:
      - 2
      - 0
    .max_flat_workgroup_size: 256
    .name:           _Z39paged_attention_ll4mi_QKV_mfma16_kernelI14__hip_bfloat16hLN4vllm18Fp8KVCacheDataTypeE1EhLi16ELi64ELi256ELb0ELi9EL8MFMAType1EEvPKT_PKT0_S9_ifPKiSB_SB_iPKfiiiPfSE_PS4_PT2_iSD_SD_
    .private_segment_fixed_size: 0
    .sgpr_count:     42
    .sgpr_spill_count: 0
    .symbol:         _Z39paged_attention_ll4mi_QKV_mfma16_kernelI14__hip_bfloat16hLN4vllm18Fp8KVCacheDataTypeE1EhLi16ELi64ELi256ELb0ELi9EL8MFMAType1EEvPKT_PKT0_S9_ifPKiSB_SB_iPKfiiiPfSE_PS4_PT2_iSD_SD_.kd
    .uniform_work_group_size: 1
    .uses_dynamic_stack: false
    .vgpr_count:     124
    .vgpr_spill_count: 0
    .wavefront_size: 32
    .workgroup_processor_mode: 1
  - .args:
      - .actual_access:  read_only
        .address_space:  global
        .offset:         0
        .size:           8
        .value_kind:     global_buffer
      - .actual_access:  read_only
        .address_space:  global
        .offset:         8
        .size:           8
        .value_kind:     global_buffer
      - .actual_access:  read_only
        .address_space:  global
        .offset:         16
        .size:           8
        .value_kind:     global_buffer
      - .offset:         24
        .size:           4
        .value_kind:     by_value
      - .offset:         28
        .size:           4
        .value_kind:     by_value
      - .actual_access:  read_only
        .address_space:  global
        .offset:         32
        .size:           8
        .value_kind:     global_buffer
      - .actual_access:  read_only
        .address_space:  global
        .offset:         40
        .size:           8
        .value_kind:     global_buffer
      - .actual_access:  read_only
        .address_space:  global
        .offset:         48
        .size:           8
        .value_kind:     global_buffer
      - .offset:         56
        .size:           4
        .value_kind:     by_value
      - .actual_access:  read_only
        .address_space:  global
        .offset:         64
        .size:           8
        .value_kind:     global_buffer
      - .offset:         72
        .size:           4
        .value_kind:     by_value
      - .offset:         76
        .size:           4
        .value_kind:     by_value
      - .offset:         80
        .size:           4
        .value_kind:     by_value
      - .actual_access:  write_only
        .address_space:  global
        .offset:         88
        .size:           8
        .value_kind:     global_buffer
      - .actual_access:  write_only
        .address_space:  global
        .offset:         96
        .size:           8
        .value_kind:     global_buffer
      - .actual_access:  write_only
        .address_space:  global
        .offset:         104
        .size:           8
        .value_kind:     global_buffer
      - .actual_access:  read_only
        .address_space:  global
        .offset:         112
        .size:           8
        .value_kind:     global_buffer
      - .offset:         120
        .size:           4
        .value_kind:     by_value
      - .address_space:  global
        .offset:         128
        .size:           8
        .value_kind:     global_buffer
      - .address_space:  global
        .offset:         136
        .size:           8
        .value_kind:     global_buffer
      - .offset:         144
        .size:           4
        .value_kind:     hidden_block_count_x
      - .offset:         148
        .size:           4
        .value_kind:     hidden_block_count_y
      - .offset:         152
        .size:           4
        .value_kind:     hidden_block_count_z
      - .offset:         156
        .size:           2
        .value_kind:     hidden_group_size_x
      - .offset:         158
        .size:           2
        .value_kind:     hidden_group_size_y
      - .offset:         160
        .size:           2
        .value_kind:     hidden_group_size_z
      - .offset:         162
        .size:           2
        .value_kind:     hidden_remainder_x
      - .offset:         164
        .size:           2
        .value_kind:     hidden_remainder_y
      - .offset:         166
        .size:           2
        .value_kind:     hidden_remainder_z
      - .offset:         184
        .size:           8
        .value_kind:     hidden_global_offset_x
      - .offset:         192
        .size:           8
        .value_kind:     hidden_global_offset_y
      - .offset:         200
        .size:           8
        .value_kind:     hidden_global_offset_z
      - .offset:         208
        .size:           2
        .value_kind:     hidden_grid_dims
    .group_segment_fixed_size: 17472
    .kernarg_segment_align: 8
    .kernarg_segment_size: 400
    .language:       OpenCL C
    .language_version:
      - 2
      - 0
    .max_flat_workgroup_size: 256
    .name:           _Z39paged_attention_ll4mi_QKV_mfma16_kernelI14__hip_bfloat16hLN4vllm18Fp8KVCacheDataTypeE1EhLi16ELi64ELi256ELb0ELi10EL8MFMAType1EEvPKT_PKT0_S9_ifPKiSB_SB_iPKfiiiPfSE_PS4_PT2_iSD_SD_
    .private_segment_fixed_size: 0
    .sgpr_count:     40
    .sgpr_spill_count: 0
    .symbol:         _Z39paged_attention_ll4mi_QKV_mfma16_kernelI14__hip_bfloat16hLN4vllm18Fp8KVCacheDataTypeE1EhLi16ELi64ELi256ELb0ELi10EL8MFMAType1EEvPKT_PKT0_S9_ifPKiSB_SB_iPKfiiiPfSE_PS4_PT2_iSD_SD_.kd
    .uniform_work_group_size: 1
    .uses_dynamic_stack: false
    .vgpr_count:     124
    .vgpr_spill_count: 0
    .wavefront_size: 32
    .workgroup_processor_mode: 1
  - .args:
      - .actual_access:  read_only
        .address_space:  global
        .offset:         0
        .size:           8
        .value_kind:     global_buffer
      - .actual_access:  read_only
        .address_space:  global
        .offset:         8
        .size:           8
        .value_kind:     global_buffer
      - .actual_access:  read_only
        .address_space:  global
        .offset:         16
        .size:           8
        .value_kind:     global_buffer
      - .offset:         24
        .size:           4
        .value_kind:     by_value
      - .offset:         28
        .size:           4
        .value_kind:     by_value
      - .actual_access:  read_only
        .address_space:  global
        .offset:         32
        .size:           8
        .value_kind:     global_buffer
      - .actual_access:  read_only
        .address_space:  global
        .offset:         40
        .size:           8
        .value_kind:     global_buffer
      - .actual_access:  read_only
        .address_space:  global
        .offset:         48
        .size:           8
        .value_kind:     global_buffer
      - .offset:         56
        .size:           4
        .value_kind:     by_value
      - .actual_access:  read_only
        .address_space:  global
        .offset:         64
        .size:           8
        .value_kind:     global_buffer
      - .offset:         72
        .size:           4
        .value_kind:     by_value
      - .offset:         76
        .size:           4
        .value_kind:     by_value
      - .offset:         80
        .size:           4
        .value_kind:     by_value
      - .actual_access:  write_only
        .address_space:  global
        .offset:         88
        .size:           8
        .value_kind:     global_buffer
      - .actual_access:  write_only
        .address_space:  global
        .offset:         96
        .size:           8
        .value_kind:     global_buffer
      - .actual_access:  write_only
        .address_space:  global
        .offset:         104
        .size:           8
        .value_kind:     global_buffer
      - .actual_access:  read_only
        .address_space:  global
        .offset:         112
        .size:           8
        .value_kind:     global_buffer
      - .offset:         120
        .size:           4
        .value_kind:     by_value
      - .address_space:  global
        .offset:         128
        .size:           8
        .value_kind:     global_buffer
      - .address_space:  global
        .offset:         136
        .size:           8
        .value_kind:     global_buffer
      - .offset:         144
        .size:           4
        .value_kind:     hidden_block_count_x
      - .offset:         148
        .size:           4
        .value_kind:     hidden_block_count_y
      - .offset:         152
        .size:           4
        .value_kind:     hidden_block_count_z
      - .offset:         156
        .size:           2
        .value_kind:     hidden_group_size_x
      - .offset:         158
        .size:           2
        .value_kind:     hidden_group_size_y
      - .offset:         160
        .size:           2
        .value_kind:     hidden_group_size_z
      - .offset:         162
        .size:           2
        .value_kind:     hidden_remainder_x
      - .offset:         164
        .size:           2
        .value_kind:     hidden_remainder_y
      - .offset:         166
        .size:           2
        .value_kind:     hidden_remainder_z
      - .offset:         184
        .size:           8
        .value_kind:     hidden_global_offset_x
      - .offset:         192
        .size:           8
        .value_kind:     hidden_global_offset_y
      - .offset:         200
        .size:           8
        .value_kind:     hidden_global_offset_z
      - .offset:         208
        .size:           2
        .value_kind:     hidden_grid_dims
    .group_segment_fixed_size: 17472
    .kernarg_segment_align: 8
    .kernarg_segment_size: 400
    .language:       OpenCL C
    .language_version:
      - 2
      - 0
    .max_flat_workgroup_size: 256
    .name:           _Z39paged_attention_ll4mi_QKV_mfma16_kernelI14__hip_bfloat16hLN4vllm18Fp8KVCacheDataTypeE1EhLi16ELi64ELi256ELb0ELi11EL8MFMAType1EEvPKT_PKT0_S9_ifPKiSB_SB_iPKfiiiPfSE_PS4_PT2_iSD_SD_
    .private_segment_fixed_size: 0
    .sgpr_count:     42
    .sgpr_spill_count: 0
    .symbol:         _Z39paged_attention_ll4mi_QKV_mfma16_kernelI14__hip_bfloat16hLN4vllm18Fp8KVCacheDataTypeE1EhLi16ELi64ELi256ELb0ELi11EL8MFMAType1EEvPKT_PKT0_S9_ifPKiSB_SB_iPKfiiiPfSE_PS4_PT2_iSD_SD_.kd
    .uniform_work_group_size: 1
    .uses_dynamic_stack: false
    .vgpr_count:     124
    .vgpr_spill_count: 0
    .wavefront_size: 32
    .workgroup_processor_mode: 1
  - .args:
      - .actual_access:  read_only
        .address_space:  global
        .offset:         0
        .size:           8
        .value_kind:     global_buffer
      - .actual_access:  read_only
        .address_space:  global
        .offset:         8
        .size:           8
        .value_kind:     global_buffer
      - .actual_access:  read_only
        .address_space:  global
        .offset:         16
        .size:           8
        .value_kind:     global_buffer
      - .offset:         24
        .size:           4
        .value_kind:     by_value
      - .offset:         28
        .size:           4
        .value_kind:     by_value
      - .actual_access:  read_only
        .address_space:  global
        .offset:         32
        .size:           8
        .value_kind:     global_buffer
      - .actual_access:  read_only
        .address_space:  global
        .offset:         40
        .size:           8
        .value_kind:     global_buffer
      - .actual_access:  read_only
        .address_space:  global
        .offset:         48
        .size:           8
        .value_kind:     global_buffer
      - .offset:         56
        .size:           4
        .value_kind:     by_value
      - .actual_access:  read_only
        .address_space:  global
        .offset:         64
        .size:           8
        .value_kind:     global_buffer
      - .offset:         72
        .size:           4
        .value_kind:     by_value
      - .offset:         76
        .size:           4
        .value_kind:     by_value
      - .offset:         80
        .size:           4
        .value_kind:     by_value
      - .actual_access:  write_only
        .address_space:  global
        .offset:         88
        .size:           8
        .value_kind:     global_buffer
      - .actual_access:  write_only
        .address_space:  global
        .offset:         96
        .size:           8
        .value_kind:     global_buffer
      - .actual_access:  write_only
        .address_space:  global
        .offset:         104
        .size:           8
        .value_kind:     global_buffer
      - .actual_access:  read_only
        .address_space:  global
        .offset:         112
        .size:           8
        .value_kind:     global_buffer
      - .offset:         120
        .size:           4
        .value_kind:     by_value
      - .address_space:  global
        .offset:         128
        .size:           8
        .value_kind:     global_buffer
      - .address_space:  global
        .offset:         136
        .size:           8
        .value_kind:     global_buffer
      - .offset:         144
        .size:           4
        .value_kind:     hidden_block_count_x
      - .offset:         148
        .size:           4
        .value_kind:     hidden_block_count_y
      - .offset:         152
        .size:           4
        .value_kind:     hidden_block_count_z
      - .offset:         156
        .size:           2
        .value_kind:     hidden_group_size_x
      - .offset:         158
        .size:           2
        .value_kind:     hidden_group_size_y
      - .offset:         160
        .size:           2
        .value_kind:     hidden_group_size_z
      - .offset:         162
        .size:           2
        .value_kind:     hidden_remainder_x
      - .offset:         164
        .size:           2
        .value_kind:     hidden_remainder_y
      - .offset:         166
        .size:           2
        .value_kind:     hidden_remainder_z
      - .offset:         184
        .size:           8
        .value_kind:     hidden_global_offset_x
      - .offset:         192
        .size:           8
        .value_kind:     hidden_global_offset_y
      - .offset:         200
        .size:           8
        .value_kind:     hidden_global_offset_z
      - .offset:         208
        .size:           2
        .value_kind:     hidden_grid_dims
    .group_segment_fixed_size: 17472
    .kernarg_segment_align: 8
    .kernarg_segment_size: 400
    .language:       OpenCL C
    .language_version:
      - 2
      - 0
    .max_flat_workgroup_size: 256
    .name:           _Z39paged_attention_ll4mi_QKV_mfma16_kernelI14__hip_bfloat16hLN4vllm18Fp8KVCacheDataTypeE1EhLi16ELi64ELi256ELb0ELi12EL8MFMAType1EEvPKT_PKT0_S9_ifPKiSB_SB_iPKfiiiPfSE_PS4_PT2_iSD_SD_
    .private_segment_fixed_size: 0
    .sgpr_count:     40
    .sgpr_spill_count: 0
    .symbol:         _Z39paged_attention_ll4mi_QKV_mfma16_kernelI14__hip_bfloat16hLN4vllm18Fp8KVCacheDataTypeE1EhLi16ELi64ELi256ELb0ELi12EL8MFMAType1EEvPKT_PKT0_S9_ifPKiSB_SB_iPKfiiiPfSE_PS4_PT2_iSD_SD_.kd
    .uniform_work_group_size: 1
    .uses_dynamic_stack: false
    .vgpr_count:     124
    .vgpr_spill_count: 0
    .wavefront_size: 32
    .workgroup_processor_mode: 1
  - .args:
      - .actual_access:  read_only
        .address_space:  global
        .offset:         0
        .size:           8
        .value_kind:     global_buffer
      - .actual_access:  read_only
        .address_space:  global
        .offset:         8
        .size:           8
        .value_kind:     global_buffer
      - .actual_access:  read_only
        .address_space:  global
        .offset:         16
        .size:           8
        .value_kind:     global_buffer
      - .offset:         24
        .size:           4
        .value_kind:     by_value
      - .offset:         28
        .size:           4
        .value_kind:     by_value
      - .actual_access:  read_only
        .address_space:  global
        .offset:         32
        .size:           8
        .value_kind:     global_buffer
      - .actual_access:  read_only
        .address_space:  global
        .offset:         40
        .size:           8
        .value_kind:     global_buffer
      - .actual_access:  read_only
        .address_space:  global
        .offset:         48
        .size:           8
        .value_kind:     global_buffer
      - .offset:         56
        .size:           4
        .value_kind:     by_value
      - .actual_access:  read_only
        .address_space:  global
        .offset:         64
        .size:           8
        .value_kind:     global_buffer
      - .offset:         72
        .size:           4
        .value_kind:     by_value
      - .offset:         76
        .size:           4
        .value_kind:     by_value
      - .offset:         80
        .size:           4
        .value_kind:     by_value
      - .actual_access:  write_only
        .address_space:  global
        .offset:         88
        .size:           8
        .value_kind:     global_buffer
      - .actual_access:  write_only
        .address_space:  global
        .offset:         96
        .size:           8
        .value_kind:     global_buffer
      - .actual_access:  write_only
        .address_space:  global
        .offset:         104
        .size:           8
        .value_kind:     global_buffer
      - .actual_access:  read_only
        .address_space:  global
        .offset:         112
        .size:           8
        .value_kind:     global_buffer
      - .offset:         120
        .size:           4
        .value_kind:     by_value
      - .address_space:  global
        .offset:         128
        .size:           8
        .value_kind:     global_buffer
      - .address_space:  global
        .offset:         136
        .size:           8
        .value_kind:     global_buffer
      - .offset:         144
        .size:           4
        .value_kind:     hidden_block_count_x
      - .offset:         148
        .size:           4
        .value_kind:     hidden_block_count_y
      - .offset:         152
        .size:           4
        .value_kind:     hidden_block_count_z
      - .offset:         156
        .size:           2
        .value_kind:     hidden_group_size_x
      - .offset:         158
        .size:           2
        .value_kind:     hidden_group_size_y
      - .offset:         160
        .size:           2
        .value_kind:     hidden_group_size_z
      - .offset:         162
        .size:           2
        .value_kind:     hidden_remainder_x
      - .offset:         164
        .size:           2
        .value_kind:     hidden_remainder_y
      - .offset:         166
        .size:           2
        .value_kind:     hidden_remainder_z
      - .offset:         184
        .size:           8
        .value_kind:     hidden_global_offset_x
      - .offset:         192
        .size:           8
        .value_kind:     hidden_global_offset_y
      - .offset:         200
        .size:           8
        .value_kind:     hidden_global_offset_z
      - .offset:         208
        .size:           2
        .value_kind:     hidden_grid_dims
    .group_segment_fixed_size: 17472
    .kernarg_segment_align: 8
    .kernarg_segment_size: 400
    .language:       OpenCL C
    .language_version:
      - 2
      - 0
    .max_flat_workgroup_size: 256
    .name:           _Z39paged_attention_ll4mi_QKV_mfma16_kernelI14__hip_bfloat16hLN4vllm18Fp8KVCacheDataTypeE1EhLi16ELi64ELi256ELb0ELi13EL8MFMAType1EEvPKT_PKT0_S9_ifPKiSB_SB_iPKfiiiPfSE_PS4_PT2_iSD_SD_
    .private_segment_fixed_size: 0
    .sgpr_count:     42
    .sgpr_spill_count: 0
    .symbol:         _Z39paged_attention_ll4mi_QKV_mfma16_kernelI14__hip_bfloat16hLN4vllm18Fp8KVCacheDataTypeE1EhLi16ELi64ELi256ELb0ELi13EL8MFMAType1EEvPKT_PKT0_S9_ifPKiSB_SB_iPKfiiiPfSE_PS4_PT2_iSD_SD_.kd
    .uniform_work_group_size: 1
    .uses_dynamic_stack: false
    .vgpr_count:     124
    .vgpr_spill_count: 0
    .wavefront_size: 32
    .workgroup_processor_mode: 1
  - .args:
      - .actual_access:  read_only
        .address_space:  global
        .offset:         0
        .size:           8
        .value_kind:     global_buffer
      - .actual_access:  read_only
        .address_space:  global
        .offset:         8
        .size:           8
        .value_kind:     global_buffer
      - .actual_access:  read_only
        .address_space:  global
        .offset:         16
        .size:           8
        .value_kind:     global_buffer
      - .offset:         24
        .size:           4
        .value_kind:     by_value
      - .offset:         28
        .size:           4
        .value_kind:     by_value
      - .actual_access:  read_only
        .address_space:  global
        .offset:         32
        .size:           8
        .value_kind:     global_buffer
      - .actual_access:  read_only
        .address_space:  global
        .offset:         40
        .size:           8
        .value_kind:     global_buffer
      - .actual_access:  read_only
        .address_space:  global
        .offset:         48
        .size:           8
        .value_kind:     global_buffer
      - .offset:         56
        .size:           4
        .value_kind:     by_value
      - .actual_access:  read_only
        .address_space:  global
        .offset:         64
        .size:           8
        .value_kind:     global_buffer
      - .offset:         72
        .size:           4
        .value_kind:     by_value
      - .offset:         76
        .size:           4
        .value_kind:     by_value
      - .offset:         80
        .size:           4
        .value_kind:     by_value
      - .actual_access:  write_only
        .address_space:  global
        .offset:         88
        .size:           8
        .value_kind:     global_buffer
      - .actual_access:  write_only
        .address_space:  global
        .offset:         96
        .size:           8
        .value_kind:     global_buffer
      - .actual_access:  write_only
        .address_space:  global
        .offset:         104
        .size:           8
        .value_kind:     global_buffer
      - .actual_access:  read_only
        .address_space:  global
        .offset:         112
        .size:           8
        .value_kind:     global_buffer
      - .offset:         120
        .size:           4
        .value_kind:     by_value
      - .address_space:  global
        .offset:         128
        .size:           8
        .value_kind:     global_buffer
      - .address_space:  global
        .offset:         136
        .size:           8
        .value_kind:     global_buffer
      - .offset:         144
        .size:           4
        .value_kind:     hidden_block_count_x
      - .offset:         148
        .size:           4
        .value_kind:     hidden_block_count_y
      - .offset:         152
        .size:           4
        .value_kind:     hidden_block_count_z
      - .offset:         156
        .size:           2
        .value_kind:     hidden_group_size_x
      - .offset:         158
        .size:           2
        .value_kind:     hidden_group_size_y
      - .offset:         160
        .size:           2
        .value_kind:     hidden_group_size_z
      - .offset:         162
        .size:           2
        .value_kind:     hidden_remainder_x
      - .offset:         164
        .size:           2
        .value_kind:     hidden_remainder_y
      - .offset:         166
        .size:           2
        .value_kind:     hidden_remainder_z
      - .offset:         184
        .size:           8
        .value_kind:     hidden_global_offset_x
      - .offset:         192
        .size:           8
        .value_kind:     hidden_global_offset_y
      - .offset:         200
        .size:           8
        .value_kind:     hidden_global_offset_z
      - .offset:         208
        .size:           2
        .value_kind:     hidden_grid_dims
    .group_segment_fixed_size: 17472
    .kernarg_segment_align: 8
    .kernarg_segment_size: 400
    .language:       OpenCL C
    .language_version:
      - 2
      - 0
    .max_flat_workgroup_size: 256
    .name:           _Z39paged_attention_ll4mi_QKV_mfma16_kernelI14__hip_bfloat16hLN4vllm18Fp8KVCacheDataTypeE1EhLi16ELi64ELi256ELb0ELi14EL8MFMAType1EEvPKT_PKT0_S9_ifPKiSB_SB_iPKfiiiPfSE_PS4_PT2_iSD_SD_
    .private_segment_fixed_size: 0
    .sgpr_count:     40
    .sgpr_spill_count: 0
    .symbol:         _Z39paged_attention_ll4mi_QKV_mfma16_kernelI14__hip_bfloat16hLN4vllm18Fp8KVCacheDataTypeE1EhLi16ELi64ELi256ELb0ELi14EL8MFMAType1EEvPKT_PKT0_S9_ifPKiSB_SB_iPKfiiiPfSE_PS4_PT2_iSD_SD_.kd
    .uniform_work_group_size: 1
    .uses_dynamic_stack: false
    .vgpr_count:     124
    .vgpr_spill_count: 0
    .wavefront_size: 32
    .workgroup_processor_mode: 1
  - .args:
      - .actual_access:  read_only
        .address_space:  global
        .offset:         0
        .size:           8
        .value_kind:     global_buffer
      - .actual_access:  read_only
        .address_space:  global
        .offset:         8
        .size:           8
        .value_kind:     global_buffer
      - .actual_access:  read_only
        .address_space:  global
        .offset:         16
        .size:           8
        .value_kind:     global_buffer
      - .offset:         24
        .size:           4
        .value_kind:     by_value
      - .offset:         28
        .size:           4
        .value_kind:     by_value
      - .actual_access:  read_only
        .address_space:  global
        .offset:         32
        .size:           8
        .value_kind:     global_buffer
      - .actual_access:  read_only
        .address_space:  global
        .offset:         40
        .size:           8
        .value_kind:     global_buffer
      - .actual_access:  read_only
        .address_space:  global
        .offset:         48
        .size:           8
        .value_kind:     global_buffer
      - .offset:         56
        .size:           4
        .value_kind:     by_value
      - .actual_access:  read_only
        .address_space:  global
        .offset:         64
        .size:           8
        .value_kind:     global_buffer
      - .offset:         72
        .size:           4
        .value_kind:     by_value
      - .offset:         76
        .size:           4
        .value_kind:     by_value
      - .offset:         80
        .size:           4
        .value_kind:     by_value
      - .actual_access:  write_only
        .address_space:  global
        .offset:         88
        .size:           8
        .value_kind:     global_buffer
      - .actual_access:  write_only
        .address_space:  global
        .offset:         96
        .size:           8
        .value_kind:     global_buffer
      - .actual_access:  write_only
        .address_space:  global
        .offset:         104
        .size:           8
        .value_kind:     global_buffer
      - .actual_access:  read_only
        .address_space:  global
        .offset:         112
        .size:           8
        .value_kind:     global_buffer
      - .offset:         120
        .size:           4
        .value_kind:     by_value
      - .address_space:  global
        .offset:         128
        .size:           8
        .value_kind:     global_buffer
      - .address_space:  global
        .offset:         136
        .size:           8
        .value_kind:     global_buffer
      - .offset:         144
        .size:           4
        .value_kind:     hidden_block_count_x
      - .offset:         148
        .size:           4
        .value_kind:     hidden_block_count_y
      - .offset:         152
        .size:           4
        .value_kind:     hidden_block_count_z
      - .offset:         156
        .size:           2
        .value_kind:     hidden_group_size_x
      - .offset:         158
        .size:           2
        .value_kind:     hidden_group_size_y
      - .offset:         160
        .size:           2
        .value_kind:     hidden_group_size_z
      - .offset:         162
        .size:           2
        .value_kind:     hidden_remainder_x
      - .offset:         164
        .size:           2
        .value_kind:     hidden_remainder_y
      - .offset:         166
        .size:           2
        .value_kind:     hidden_remainder_z
      - .offset:         184
        .size:           8
        .value_kind:     hidden_global_offset_x
      - .offset:         192
        .size:           8
        .value_kind:     hidden_global_offset_y
      - .offset:         200
        .size:           8
        .value_kind:     hidden_global_offset_z
      - .offset:         208
        .size:           2
        .value_kind:     hidden_grid_dims
    .group_segment_fixed_size: 17472
    .kernarg_segment_align: 8
    .kernarg_segment_size: 400
    .language:       OpenCL C
    .language_version:
      - 2
      - 0
    .max_flat_workgroup_size: 256
    .name:           _Z39paged_attention_ll4mi_QKV_mfma16_kernelI14__hip_bfloat16hLN4vllm18Fp8KVCacheDataTypeE1EhLi16ELi64ELi256ELb0ELi15EL8MFMAType1EEvPKT_PKT0_S9_ifPKiSB_SB_iPKfiiiPfSE_PS4_PT2_iSD_SD_
    .private_segment_fixed_size: 0
    .sgpr_count:     42
    .sgpr_spill_count: 0
    .symbol:         _Z39paged_attention_ll4mi_QKV_mfma16_kernelI14__hip_bfloat16hLN4vllm18Fp8KVCacheDataTypeE1EhLi16ELi64ELi256ELb0ELi15EL8MFMAType1EEvPKT_PKT0_S9_ifPKiSB_SB_iPKfiiiPfSE_PS4_PT2_iSD_SD_.kd
    .uniform_work_group_size: 1
    .uses_dynamic_stack: false
    .vgpr_count:     124
    .vgpr_spill_count: 0
    .wavefront_size: 32
    .workgroup_processor_mode: 1
  - .args:
      - .actual_access:  read_only
        .address_space:  global
        .offset:         0
        .size:           8
        .value_kind:     global_buffer
      - .actual_access:  read_only
        .address_space:  global
        .offset:         8
        .size:           8
        .value_kind:     global_buffer
      - .actual_access:  read_only
        .address_space:  global
        .offset:         16
        .size:           8
        .value_kind:     global_buffer
      - .offset:         24
        .size:           4
        .value_kind:     by_value
      - .offset:         28
        .size:           4
        .value_kind:     by_value
      - .actual_access:  read_only
        .address_space:  global
        .offset:         32
        .size:           8
        .value_kind:     global_buffer
      - .actual_access:  read_only
        .address_space:  global
        .offset:         40
        .size:           8
        .value_kind:     global_buffer
      - .actual_access:  read_only
        .address_space:  global
        .offset:         48
        .size:           8
        .value_kind:     global_buffer
      - .offset:         56
        .size:           4
        .value_kind:     by_value
      - .actual_access:  read_only
        .address_space:  global
        .offset:         64
        .size:           8
        .value_kind:     global_buffer
      - .offset:         72
        .size:           4
        .value_kind:     by_value
      - .offset:         76
        .size:           4
        .value_kind:     by_value
      - .offset:         80
        .size:           4
        .value_kind:     by_value
      - .actual_access:  write_only
        .address_space:  global
        .offset:         88
        .size:           8
        .value_kind:     global_buffer
      - .actual_access:  write_only
        .address_space:  global
        .offset:         96
        .size:           8
        .value_kind:     global_buffer
      - .actual_access:  write_only
        .address_space:  global
        .offset:         104
        .size:           8
        .value_kind:     global_buffer
      - .actual_access:  read_only
        .address_space:  global
        .offset:         112
        .size:           8
        .value_kind:     global_buffer
      - .offset:         120
        .size:           4
        .value_kind:     by_value
      - .address_space:  global
        .offset:         128
        .size:           8
        .value_kind:     global_buffer
      - .address_space:  global
        .offset:         136
        .size:           8
        .value_kind:     global_buffer
      - .offset:         144
        .size:           4
        .value_kind:     hidden_block_count_x
      - .offset:         148
        .size:           4
        .value_kind:     hidden_block_count_y
      - .offset:         152
        .size:           4
        .value_kind:     hidden_block_count_z
      - .offset:         156
        .size:           2
        .value_kind:     hidden_group_size_x
      - .offset:         158
        .size:           2
        .value_kind:     hidden_group_size_y
      - .offset:         160
        .size:           2
        .value_kind:     hidden_group_size_z
      - .offset:         162
        .size:           2
        .value_kind:     hidden_remainder_x
      - .offset:         164
        .size:           2
        .value_kind:     hidden_remainder_y
      - .offset:         166
        .size:           2
        .value_kind:     hidden_remainder_z
      - .offset:         184
        .size:           8
        .value_kind:     hidden_global_offset_x
      - .offset:         192
        .size:           8
        .value_kind:     hidden_global_offset_y
      - .offset:         200
        .size:           8
        .value_kind:     hidden_global_offset_z
      - .offset:         208
        .size:           2
        .value_kind:     hidden_grid_dims
    .group_segment_fixed_size: 17472
    .kernarg_segment_align: 8
    .kernarg_segment_size: 400
    .language:       OpenCL C
    .language_version:
      - 2
      - 0
    .max_flat_workgroup_size: 256
    .name:           _Z39paged_attention_ll4mi_QKV_mfma16_kernelI14__hip_bfloat16hLN4vllm18Fp8KVCacheDataTypeE1EhLi16ELi64ELi256ELb0ELi16EL8MFMAType1EEvPKT_PKT0_S9_ifPKiSB_SB_iPKfiiiPfSE_PS4_PT2_iSD_SD_
    .private_segment_fixed_size: 0
    .sgpr_count:     40
    .sgpr_spill_count: 0
    .symbol:         _Z39paged_attention_ll4mi_QKV_mfma16_kernelI14__hip_bfloat16hLN4vllm18Fp8KVCacheDataTypeE1EhLi16ELi64ELi256ELb0ELi16EL8MFMAType1EEvPKT_PKT0_S9_ifPKiSB_SB_iPKfiiiPfSE_PS4_PT2_iSD_SD_.kd
    .uniform_work_group_size: 1
    .uses_dynamic_stack: false
    .vgpr_count:     125
    .vgpr_spill_count: 0
    .wavefront_size: 32
    .workgroup_processor_mode: 1
  - .args:
      - .actual_access:  read_only
        .address_space:  global
        .offset:         0
        .size:           8
        .value_kind:     global_buffer
      - .actual_access:  read_only
        .address_space:  global
        .offset:         8
        .size:           8
        .value_kind:     global_buffer
      - .actual_access:  read_only
        .address_space:  global
        .offset:         16
        .size:           8
        .value_kind:     global_buffer
      - .offset:         24
        .size:           4
        .value_kind:     by_value
      - .offset:         28
        .size:           4
        .value_kind:     by_value
      - .actual_access:  read_only
        .address_space:  global
        .offset:         32
        .size:           8
        .value_kind:     global_buffer
      - .actual_access:  read_only
        .address_space:  global
        .offset:         40
        .size:           8
        .value_kind:     global_buffer
      - .actual_access:  read_only
        .address_space:  global
        .offset:         48
        .size:           8
        .value_kind:     global_buffer
      - .offset:         56
        .size:           4
        .value_kind:     by_value
      - .actual_access:  read_only
        .address_space:  global
        .offset:         64
        .size:           8
        .value_kind:     global_buffer
      - .offset:         72
        .size:           4
        .value_kind:     by_value
      - .offset:         76
        .size:           4
        .value_kind:     by_value
      - .offset:         80
        .size:           4
        .value_kind:     by_value
      - .actual_access:  write_only
        .address_space:  global
        .offset:         88
        .size:           8
        .value_kind:     global_buffer
      - .actual_access:  write_only
        .address_space:  global
        .offset:         96
        .size:           8
        .value_kind:     global_buffer
      - .actual_access:  write_only
        .address_space:  global
        .offset:         104
        .size:           8
        .value_kind:     global_buffer
      - .actual_access:  read_only
        .address_space:  global
        .offset:         112
        .size:           8
        .value_kind:     global_buffer
      - .offset:         120
        .size:           4
        .value_kind:     by_value
      - .address_space:  global
        .offset:         128
        .size:           8
        .value_kind:     global_buffer
      - .address_space:  global
        .offset:         136
        .size:           8
        .value_kind:     global_buffer
      - .offset:         144
        .size:           4
        .value_kind:     hidden_block_count_x
      - .offset:         148
        .size:           4
        .value_kind:     hidden_block_count_y
      - .offset:         152
        .size:           4
        .value_kind:     hidden_block_count_z
      - .offset:         156
        .size:           2
        .value_kind:     hidden_group_size_x
      - .offset:         158
        .size:           2
        .value_kind:     hidden_group_size_y
      - .offset:         160
        .size:           2
        .value_kind:     hidden_group_size_z
      - .offset:         162
        .size:           2
        .value_kind:     hidden_remainder_x
      - .offset:         164
        .size:           2
        .value_kind:     hidden_remainder_y
      - .offset:         166
        .size:           2
        .value_kind:     hidden_remainder_z
      - .offset:         184
        .size:           8
        .value_kind:     hidden_global_offset_x
      - .offset:         192
        .size:           8
        .value_kind:     hidden_global_offset_y
      - .offset:         200
        .size:           8
        .value_kind:     hidden_global_offset_z
      - .offset:         208
        .size:           2
        .value_kind:     hidden_grid_dims
    .group_segment_fixed_size: 17472
    .kernarg_segment_align: 8
    .kernarg_segment_size: 400
    .language:       OpenCL C
    .language_version:
      - 2
      - 0
    .max_flat_workgroup_size: 256
    .name:           _Z39paged_attention_ll4mi_QKV_mfma16_kernelI14__hip_bfloat16hLN4vllm18Fp8KVCacheDataTypeE1EhLi16ELi64ELi256ELb0ELi1EL8MFMAType1EEvPKT_PKT0_S9_ifPKiSB_SB_iPKfiiiPfSE_PS4_PT2_iSD_SD_
    .private_segment_fixed_size: 0
    .sgpr_count:     50
    .sgpr_spill_count: 0
    .symbol:         _Z39paged_attention_ll4mi_QKV_mfma16_kernelI14__hip_bfloat16hLN4vllm18Fp8KVCacheDataTypeE1EhLi16ELi64ELi256ELb0ELi1EL8MFMAType1EEvPKT_PKT0_S9_ifPKiSB_SB_iPKfiiiPfSE_PS4_PT2_iSD_SD_.kd
    .uniform_work_group_size: 1
    .uses_dynamic_stack: false
    .vgpr_count:     131
    .vgpr_spill_count: 0
    .wavefront_size: 32
    .workgroup_processor_mode: 1
  - .args:
      - .actual_access:  read_only
        .address_space:  global
        .offset:         0
        .size:           8
        .value_kind:     global_buffer
      - .actual_access:  read_only
        .address_space:  global
        .offset:         8
        .size:           8
        .value_kind:     global_buffer
      - .actual_access:  read_only
        .address_space:  global
        .offset:         16
        .size:           8
        .value_kind:     global_buffer
      - .offset:         24
        .size:           4
        .value_kind:     by_value
      - .offset:         28
        .size:           4
        .value_kind:     by_value
      - .actual_access:  read_only
        .address_space:  global
        .offset:         32
        .size:           8
        .value_kind:     global_buffer
      - .actual_access:  read_only
        .address_space:  global
        .offset:         40
        .size:           8
        .value_kind:     global_buffer
      - .actual_access:  read_only
        .address_space:  global
        .offset:         48
        .size:           8
        .value_kind:     global_buffer
      - .offset:         56
        .size:           4
        .value_kind:     by_value
      - .actual_access:  read_only
        .address_space:  global
        .offset:         64
        .size:           8
        .value_kind:     global_buffer
      - .offset:         72
        .size:           4
        .value_kind:     by_value
      - .offset:         76
        .size:           4
        .value_kind:     by_value
      - .offset:         80
        .size:           4
        .value_kind:     by_value
      - .actual_access:  write_only
        .address_space:  global
        .offset:         88
        .size:           8
        .value_kind:     global_buffer
      - .actual_access:  write_only
        .address_space:  global
        .offset:         96
        .size:           8
        .value_kind:     global_buffer
      - .actual_access:  write_only
        .address_space:  global
        .offset:         104
        .size:           8
        .value_kind:     global_buffer
      - .actual_access:  read_only
        .address_space:  global
        .offset:         112
        .size:           8
        .value_kind:     global_buffer
      - .offset:         120
        .size:           4
        .value_kind:     by_value
      - .address_space:  global
        .offset:         128
        .size:           8
        .value_kind:     global_buffer
      - .address_space:  global
        .offset:         136
        .size:           8
        .value_kind:     global_buffer
      - .offset:         144
        .size:           4
        .value_kind:     hidden_block_count_x
      - .offset:         148
        .size:           4
        .value_kind:     hidden_block_count_y
      - .offset:         152
        .size:           4
        .value_kind:     hidden_block_count_z
      - .offset:         156
        .size:           2
        .value_kind:     hidden_group_size_x
      - .offset:         158
        .size:           2
        .value_kind:     hidden_group_size_y
      - .offset:         160
        .size:           2
        .value_kind:     hidden_group_size_z
      - .offset:         162
        .size:           2
        .value_kind:     hidden_remainder_x
      - .offset:         164
        .size:           2
        .value_kind:     hidden_remainder_y
      - .offset:         166
        .size:           2
        .value_kind:     hidden_remainder_z
      - .offset:         184
        .size:           8
        .value_kind:     hidden_global_offset_x
      - .offset:         192
        .size:           8
        .value_kind:     hidden_global_offset_y
      - .offset:         200
        .size:           8
        .value_kind:     hidden_global_offset_z
      - .offset:         208
        .size:           2
        .value_kind:     hidden_grid_dims
    .group_segment_fixed_size: 17472
    .kernarg_segment_align: 8
    .kernarg_segment_size: 400
    .language:       OpenCL C
    .language_version:
      - 2
      - 0
    .max_flat_workgroup_size: 256
    .name:           _Z39paged_attention_ll4mi_QKV_mfma16_kernelI14__hip_bfloat16hLN4vllm18Fp8KVCacheDataTypeE1EhLi16ELi64ELi256ELb0ELi2EL8MFMAType1EEvPKT_PKT0_S9_ifPKiSB_SB_iPKfiiiPfSE_PS4_PT2_iSD_SD_
    .private_segment_fixed_size: 0
    .sgpr_count:     40
    .sgpr_spill_count: 0
    .symbol:         _Z39paged_attention_ll4mi_QKV_mfma16_kernelI14__hip_bfloat16hLN4vllm18Fp8KVCacheDataTypeE1EhLi16ELi64ELi256ELb0ELi2EL8MFMAType1EEvPKT_PKT0_S9_ifPKiSB_SB_iPKfiiiPfSE_PS4_PT2_iSD_SD_.kd
    .uniform_work_group_size: 1
    .uses_dynamic_stack: false
    .vgpr_count:     125
    .vgpr_spill_count: 0
    .wavefront_size: 32
    .workgroup_processor_mode: 1
  - .args:
      - .actual_access:  read_only
        .address_space:  global
        .offset:         0
        .size:           8
        .value_kind:     global_buffer
      - .actual_access:  read_only
        .address_space:  global
        .offset:         8
        .size:           8
        .value_kind:     global_buffer
      - .actual_access:  read_only
        .address_space:  global
        .offset:         16
        .size:           8
        .value_kind:     global_buffer
      - .offset:         24
        .size:           4
        .value_kind:     by_value
      - .offset:         28
        .size:           4
        .value_kind:     by_value
      - .actual_access:  read_only
        .address_space:  global
        .offset:         32
        .size:           8
        .value_kind:     global_buffer
      - .actual_access:  read_only
        .address_space:  global
        .offset:         40
        .size:           8
        .value_kind:     global_buffer
      - .actual_access:  read_only
        .address_space:  global
        .offset:         48
        .size:           8
        .value_kind:     global_buffer
      - .offset:         56
        .size:           4
        .value_kind:     by_value
      - .actual_access:  read_only
        .address_space:  global
        .offset:         64
        .size:           8
        .value_kind:     global_buffer
      - .offset:         72
        .size:           4
        .value_kind:     by_value
      - .offset:         76
        .size:           4
        .value_kind:     by_value
      - .offset:         80
        .size:           4
        .value_kind:     by_value
      - .actual_access:  write_only
        .address_space:  global
        .offset:         88
        .size:           8
        .value_kind:     global_buffer
      - .actual_access:  write_only
        .address_space:  global
        .offset:         96
        .size:           8
        .value_kind:     global_buffer
      - .actual_access:  write_only
        .address_space:  global
        .offset:         104
        .size:           8
        .value_kind:     global_buffer
      - .actual_access:  read_only
        .address_space:  global
        .offset:         112
        .size:           8
        .value_kind:     global_buffer
      - .offset:         120
        .size:           4
        .value_kind:     by_value
      - .address_space:  global
        .offset:         128
        .size:           8
        .value_kind:     global_buffer
      - .address_space:  global
        .offset:         136
        .size:           8
        .value_kind:     global_buffer
      - .offset:         144
        .size:           4
        .value_kind:     hidden_block_count_x
      - .offset:         148
        .size:           4
        .value_kind:     hidden_block_count_y
      - .offset:         152
        .size:           4
        .value_kind:     hidden_block_count_z
      - .offset:         156
        .size:           2
        .value_kind:     hidden_group_size_x
      - .offset:         158
        .size:           2
        .value_kind:     hidden_group_size_y
      - .offset:         160
        .size:           2
        .value_kind:     hidden_group_size_z
      - .offset:         162
        .size:           2
        .value_kind:     hidden_remainder_x
      - .offset:         164
        .size:           2
        .value_kind:     hidden_remainder_y
      - .offset:         166
        .size:           2
        .value_kind:     hidden_remainder_z
      - .offset:         184
        .size:           8
        .value_kind:     hidden_global_offset_x
      - .offset:         192
        .size:           8
        .value_kind:     hidden_global_offset_y
      - .offset:         200
        .size:           8
        .value_kind:     hidden_global_offset_z
      - .offset:         208
        .size:           2
        .value_kind:     hidden_grid_dims
    .group_segment_fixed_size: 17472
    .kernarg_segment_align: 8
    .kernarg_segment_size: 400
    .language:       OpenCL C
    .language_version:
      - 2
      - 0
    .max_flat_workgroup_size: 256
    .name:           _Z39paged_attention_ll4mi_QKV_mfma16_kernelI14__hip_bfloat16hLN4vllm18Fp8KVCacheDataTypeE1EhLi16ELi64ELi256ELb0ELi3EL8MFMAType1EEvPKT_PKT0_S9_ifPKiSB_SB_iPKfiiiPfSE_PS4_PT2_iSD_SD_
    .private_segment_fixed_size: 0
    .sgpr_count:     42
    .sgpr_spill_count: 0
    .symbol:         _Z39paged_attention_ll4mi_QKV_mfma16_kernelI14__hip_bfloat16hLN4vllm18Fp8KVCacheDataTypeE1EhLi16ELi64ELi256ELb0ELi3EL8MFMAType1EEvPKT_PKT0_S9_ifPKiSB_SB_iPKfiiiPfSE_PS4_PT2_iSD_SD_.kd
    .uniform_work_group_size: 1
    .uses_dynamic_stack: false
    .vgpr_count:     124
    .vgpr_spill_count: 0
    .wavefront_size: 32
    .workgroup_processor_mode: 1
  - .args:
      - .actual_access:  read_only
        .address_space:  global
        .offset:         0
        .size:           8
        .value_kind:     global_buffer
      - .actual_access:  read_only
        .address_space:  global
        .offset:         8
        .size:           8
        .value_kind:     global_buffer
      - .actual_access:  read_only
        .address_space:  global
        .offset:         16
        .size:           8
        .value_kind:     global_buffer
      - .offset:         24
        .size:           4
        .value_kind:     by_value
      - .offset:         28
        .size:           4
        .value_kind:     by_value
      - .actual_access:  read_only
        .address_space:  global
        .offset:         32
        .size:           8
        .value_kind:     global_buffer
      - .actual_access:  read_only
        .address_space:  global
        .offset:         40
        .size:           8
        .value_kind:     global_buffer
      - .actual_access:  read_only
        .address_space:  global
        .offset:         48
        .size:           8
        .value_kind:     global_buffer
      - .offset:         56
        .size:           4
        .value_kind:     by_value
      - .actual_access:  read_only
        .address_space:  global
        .offset:         64
        .size:           8
        .value_kind:     global_buffer
      - .offset:         72
        .size:           4
        .value_kind:     by_value
      - .offset:         76
        .size:           4
        .value_kind:     by_value
      - .offset:         80
        .size:           4
        .value_kind:     by_value
      - .actual_access:  write_only
        .address_space:  global
        .offset:         88
        .size:           8
        .value_kind:     global_buffer
      - .actual_access:  write_only
        .address_space:  global
        .offset:         96
        .size:           8
        .value_kind:     global_buffer
      - .actual_access:  write_only
        .address_space:  global
        .offset:         104
        .size:           8
        .value_kind:     global_buffer
      - .actual_access:  read_only
        .address_space:  global
        .offset:         112
        .size:           8
        .value_kind:     global_buffer
      - .offset:         120
        .size:           4
        .value_kind:     by_value
      - .address_space:  global
        .offset:         128
        .size:           8
        .value_kind:     global_buffer
      - .address_space:  global
        .offset:         136
        .size:           8
        .value_kind:     global_buffer
      - .offset:         144
        .size:           4
        .value_kind:     hidden_block_count_x
      - .offset:         148
        .size:           4
        .value_kind:     hidden_block_count_y
      - .offset:         152
        .size:           4
        .value_kind:     hidden_block_count_z
      - .offset:         156
        .size:           2
        .value_kind:     hidden_group_size_x
      - .offset:         158
        .size:           2
        .value_kind:     hidden_group_size_y
      - .offset:         160
        .size:           2
        .value_kind:     hidden_group_size_z
      - .offset:         162
        .size:           2
        .value_kind:     hidden_remainder_x
      - .offset:         164
        .size:           2
        .value_kind:     hidden_remainder_y
      - .offset:         166
        .size:           2
        .value_kind:     hidden_remainder_z
      - .offset:         184
        .size:           8
        .value_kind:     hidden_global_offset_x
      - .offset:         192
        .size:           8
        .value_kind:     hidden_global_offset_y
      - .offset:         200
        .size:           8
        .value_kind:     hidden_global_offset_z
      - .offset:         208
        .size:           2
        .value_kind:     hidden_grid_dims
    .group_segment_fixed_size: 17472
    .kernarg_segment_align: 8
    .kernarg_segment_size: 400
    .language:       OpenCL C
    .language_version:
      - 2
      - 0
    .max_flat_workgroup_size: 256
    .name:           _Z39paged_attention_ll4mi_QKV_mfma16_kernelI14__hip_bfloat16hLN4vllm18Fp8KVCacheDataTypeE1EhLi16ELi64ELi256ELb0ELi4EL8MFMAType1EEvPKT_PKT0_S9_ifPKiSB_SB_iPKfiiiPfSE_PS4_PT2_iSD_SD_
    .private_segment_fixed_size: 0
    .sgpr_count:     40
    .sgpr_spill_count: 0
    .symbol:         _Z39paged_attention_ll4mi_QKV_mfma16_kernelI14__hip_bfloat16hLN4vllm18Fp8KVCacheDataTypeE1EhLi16ELi64ELi256ELb0ELi4EL8MFMAType1EEvPKT_PKT0_S9_ifPKiSB_SB_iPKfiiiPfSE_PS4_PT2_iSD_SD_.kd
    .uniform_work_group_size: 1
    .uses_dynamic_stack: false
    .vgpr_count:     124
    .vgpr_spill_count: 0
    .wavefront_size: 32
    .workgroup_processor_mode: 1
  - .args:
      - .actual_access:  read_only
        .address_space:  global
        .offset:         0
        .size:           8
        .value_kind:     global_buffer
      - .actual_access:  read_only
        .address_space:  global
        .offset:         8
        .size:           8
        .value_kind:     global_buffer
      - .actual_access:  read_only
        .address_space:  global
        .offset:         16
        .size:           8
        .value_kind:     global_buffer
      - .offset:         24
        .size:           4
        .value_kind:     by_value
      - .offset:         28
        .size:           4
        .value_kind:     by_value
      - .actual_access:  read_only
        .address_space:  global
        .offset:         32
        .size:           8
        .value_kind:     global_buffer
      - .actual_access:  read_only
        .address_space:  global
        .offset:         40
        .size:           8
        .value_kind:     global_buffer
      - .actual_access:  read_only
        .address_space:  global
        .offset:         48
        .size:           8
        .value_kind:     global_buffer
      - .offset:         56
        .size:           4
        .value_kind:     by_value
      - .actual_access:  read_only
        .address_space:  global
        .offset:         64
        .size:           8
        .value_kind:     global_buffer
      - .offset:         72
        .size:           4
        .value_kind:     by_value
      - .offset:         76
        .size:           4
        .value_kind:     by_value
      - .offset:         80
        .size:           4
        .value_kind:     by_value
      - .actual_access:  read_only
        .address_space:  global
        .offset:         88
        .size:           8
        .value_kind:     global_buffer
      - .actual_access:  read_only
        .address_space:  global
        .offset:         96
        .size:           8
        .value_kind:     global_buffer
      - .actual_access:  read_only
        .address_space:  global
        .offset:         104
        .size:           8
        .value_kind:     global_buffer
      - .actual_access:  read_only
        .address_space:  global
        .offset:         112
        .size:           8
        .value_kind:     global_buffer
      - .offset:         120
        .size:           4
        .value_kind:     by_value
      - .address_space:  global
        .offset:         128
        .size:           8
        .value_kind:     global_buffer
      - .address_space:  global
        .offset:         136
        .size:           8
        .value_kind:     global_buffer
      - .offset:         144
        .size:           4
        .value_kind:     hidden_block_count_x
      - .offset:         148
        .size:           4
        .value_kind:     hidden_block_count_y
      - .offset:         152
        .size:           4
        .value_kind:     hidden_block_count_z
      - .offset:         156
        .size:           2
        .value_kind:     hidden_group_size_x
      - .offset:         158
        .size:           2
        .value_kind:     hidden_group_size_y
      - .offset:         160
        .size:           2
        .value_kind:     hidden_group_size_z
      - .offset:         162
        .size:           2
        .value_kind:     hidden_remainder_x
      - .offset:         164
        .size:           2
        .value_kind:     hidden_remainder_y
      - .offset:         166
        .size:           2
        .value_kind:     hidden_remainder_z
      - .offset:         184
        .size:           8
        .value_kind:     hidden_global_offset_x
      - .offset:         192
        .size:           8
        .value_kind:     hidden_global_offset_y
      - .offset:         200
        .size:           8
        .value_kind:     hidden_global_offset_z
      - .offset:         208
        .size:           2
        .value_kind:     hidden_grid_dims
      - .offset:         224
        .size:           8
        .value_kind:     hidden_hostcall_buffer
    .group_segment_fixed_size: 0
    .kernarg_segment_align: 8
    .kernarg_segment_size: 400
    .language:       OpenCL C
    .language_version:
      - 2
      - 0
    .max_flat_workgroup_size: 256
    .name:           _Z38paged_attention_ll4mi_QKV_mfma4_kernelI14__hip_bfloat16hLN4vllm18Fp8KVCacheDataTypeE1ES0_Li16ELi64ELi256ELb1ELi1EEvPKT_PKT0_S8_ifPKiSA_SA_iPKfiiiPfSD_PS3_PT2_iSC_SC_
    .private_segment_fixed_size: 64
    .sgpr_count:     36
    .sgpr_spill_count: 0
    .symbol:         _Z38paged_attention_ll4mi_QKV_mfma4_kernelI14__hip_bfloat16hLN4vllm18Fp8KVCacheDataTypeE1ES0_Li16ELi64ELi256ELb1ELi1EEvPKT_PKT0_S8_ifPKiSA_SA_iPKfiiiPfSD_PS3_PT2_iSC_SC_.kd
    .uniform_work_group_size: 1
    .uses_dynamic_stack: false
    .vgpr_count:     41
    .vgpr_spill_count: 0
    .wavefront_size: 32
    .workgroup_processor_mode: 1
  - .args:
      - .actual_access:  read_only
        .address_space:  global
        .offset:         0
        .size:           8
        .value_kind:     global_buffer
      - .actual_access:  read_only
        .address_space:  global
        .offset:         8
        .size:           8
        .value_kind:     global_buffer
      - .actual_access:  read_only
        .address_space:  global
        .offset:         16
        .size:           8
        .value_kind:     global_buffer
      - .offset:         24
        .size:           4
        .value_kind:     by_value
      - .offset:         28
        .size:           4
        .value_kind:     by_value
      - .actual_access:  read_only
        .address_space:  global
        .offset:         32
        .size:           8
        .value_kind:     global_buffer
      - .actual_access:  read_only
        .address_space:  global
        .offset:         40
        .size:           8
        .value_kind:     global_buffer
      - .actual_access:  read_only
        .address_space:  global
        .offset:         48
        .size:           8
        .value_kind:     global_buffer
      - .offset:         56
        .size:           4
        .value_kind:     by_value
      - .actual_access:  read_only
        .address_space:  global
        .offset:         64
        .size:           8
        .value_kind:     global_buffer
      - .offset:         72
        .size:           4
        .value_kind:     by_value
      - .offset:         76
        .size:           4
        .value_kind:     by_value
      - .offset:         80
        .size:           4
        .value_kind:     by_value
      - .actual_access:  read_only
        .address_space:  global
        .offset:         88
        .size:           8
        .value_kind:     global_buffer
      - .actual_access:  read_only
        .address_space:  global
        .offset:         96
        .size:           8
        .value_kind:     global_buffer
      - .actual_access:  read_only
        .address_space:  global
        .offset:         104
        .size:           8
        .value_kind:     global_buffer
      - .actual_access:  read_only
        .address_space:  global
        .offset:         112
        .size:           8
        .value_kind:     global_buffer
      - .offset:         120
        .size:           4
        .value_kind:     by_value
      - .address_space:  global
        .offset:         128
        .size:           8
        .value_kind:     global_buffer
      - .address_space:  global
        .offset:         136
        .size:           8
        .value_kind:     global_buffer
      - .offset:         144
        .size:           4
        .value_kind:     hidden_block_count_x
      - .offset:         148
        .size:           4
        .value_kind:     hidden_block_count_y
      - .offset:         152
        .size:           4
        .value_kind:     hidden_block_count_z
      - .offset:         156
        .size:           2
        .value_kind:     hidden_group_size_x
      - .offset:         158
        .size:           2
        .value_kind:     hidden_group_size_y
      - .offset:         160
        .size:           2
        .value_kind:     hidden_group_size_z
      - .offset:         162
        .size:           2
        .value_kind:     hidden_remainder_x
      - .offset:         164
        .size:           2
        .value_kind:     hidden_remainder_y
      - .offset:         166
        .size:           2
        .value_kind:     hidden_remainder_z
      - .offset:         184
        .size:           8
        .value_kind:     hidden_global_offset_x
      - .offset:         192
        .size:           8
        .value_kind:     hidden_global_offset_y
      - .offset:         200
        .size:           8
        .value_kind:     hidden_global_offset_z
      - .offset:         208
        .size:           2
        .value_kind:     hidden_grid_dims
      - .offset:         224
        .size:           8
        .value_kind:     hidden_hostcall_buffer
    .group_segment_fixed_size: 0
    .kernarg_segment_align: 8
    .kernarg_segment_size: 400
    .language:       OpenCL C
    .language_version:
      - 2
      - 0
    .max_flat_workgroup_size: 256
    .name:           _Z38paged_attention_ll4mi_QKV_mfma4_kernelI14__hip_bfloat16hLN4vllm18Fp8KVCacheDataTypeE1ES0_Li16ELi64ELi256ELb1ELi2EEvPKT_PKT0_S8_ifPKiSA_SA_iPKfiiiPfSD_PS3_PT2_iSC_SC_
    .private_segment_fixed_size: 64
    .sgpr_count:     36
    .sgpr_spill_count: 0
    .symbol:         _Z38paged_attention_ll4mi_QKV_mfma4_kernelI14__hip_bfloat16hLN4vllm18Fp8KVCacheDataTypeE1ES0_Li16ELi64ELi256ELb1ELi2EEvPKT_PKT0_S8_ifPKiSA_SA_iPKfiiiPfSD_PS3_PT2_iSC_SC_.kd
    .uniform_work_group_size: 1
    .uses_dynamic_stack: false
    .vgpr_count:     41
    .vgpr_spill_count: 0
    .wavefront_size: 32
    .workgroup_processor_mode: 1
  - .args:
      - .actual_access:  read_only
        .address_space:  global
        .offset:         0
        .size:           8
        .value_kind:     global_buffer
      - .actual_access:  read_only
        .address_space:  global
        .offset:         8
        .size:           8
        .value_kind:     global_buffer
      - .actual_access:  read_only
        .address_space:  global
        .offset:         16
        .size:           8
        .value_kind:     global_buffer
      - .offset:         24
        .size:           4
        .value_kind:     by_value
      - .offset:         28
        .size:           4
        .value_kind:     by_value
      - .actual_access:  read_only
        .address_space:  global
        .offset:         32
        .size:           8
        .value_kind:     global_buffer
      - .actual_access:  read_only
        .address_space:  global
        .offset:         40
        .size:           8
        .value_kind:     global_buffer
      - .actual_access:  read_only
        .address_space:  global
        .offset:         48
        .size:           8
        .value_kind:     global_buffer
      - .offset:         56
        .size:           4
        .value_kind:     by_value
      - .actual_access:  read_only
        .address_space:  global
        .offset:         64
        .size:           8
        .value_kind:     global_buffer
      - .offset:         72
        .size:           4
        .value_kind:     by_value
      - .offset:         76
        .size:           4
        .value_kind:     by_value
      - .offset:         80
        .size:           4
        .value_kind:     by_value
      - .actual_access:  read_only
        .address_space:  global
        .offset:         88
        .size:           8
        .value_kind:     global_buffer
      - .actual_access:  read_only
        .address_space:  global
        .offset:         96
        .size:           8
        .value_kind:     global_buffer
      - .actual_access:  read_only
        .address_space:  global
        .offset:         104
        .size:           8
        .value_kind:     global_buffer
      - .actual_access:  read_only
        .address_space:  global
        .offset:         112
        .size:           8
        .value_kind:     global_buffer
      - .offset:         120
        .size:           4
        .value_kind:     by_value
      - .address_space:  global
        .offset:         128
        .size:           8
        .value_kind:     global_buffer
      - .address_space:  global
        .offset:         136
        .size:           8
        .value_kind:     global_buffer
      - .offset:         144
        .size:           4
        .value_kind:     hidden_block_count_x
      - .offset:         148
        .size:           4
        .value_kind:     hidden_block_count_y
      - .offset:         152
        .size:           4
        .value_kind:     hidden_block_count_z
      - .offset:         156
        .size:           2
        .value_kind:     hidden_group_size_x
      - .offset:         158
        .size:           2
        .value_kind:     hidden_group_size_y
      - .offset:         160
        .size:           2
        .value_kind:     hidden_group_size_z
      - .offset:         162
        .size:           2
        .value_kind:     hidden_remainder_x
      - .offset:         164
        .size:           2
        .value_kind:     hidden_remainder_y
      - .offset:         166
        .size:           2
        .value_kind:     hidden_remainder_z
      - .offset:         184
        .size:           8
        .value_kind:     hidden_global_offset_x
      - .offset:         192
        .size:           8
        .value_kind:     hidden_global_offset_y
      - .offset:         200
        .size:           8
        .value_kind:     hidden_global_offset_z
      - .offset:         208
        .size:           2
        .value_kind:     hidden_grid_dims
      - .offset:         224
        .size:           8
        .value_kind:     hidden_hostcall_buffer
    .group_segment_fixed_size: 0
    .kernarg_segment_align: 8
    .kernarg_segment_size: 400
    .language:       OpenCL C
    .language_version:
      - 2
      - 0
    .max_flat_workgroup_size: 256
    .name:           _Z38paged_attention_ll4mi_QKV_mfma4_kernelI14__hip_bfloat16hLN4vllm18Fp8KVCacheDataTypeE1ES0_Li16ELi64ELi256ELb1ELi3EEvPKT_PKT0_S8_ifPKiSA_SA_iPKfiiiPfSD_PS3_PT2_iSC_SC_
    .private_segment_fixed_size: 64
    .sgpr_count:     36
    .sgpr_spill_count: 0
    .symbol:         _Z38paged_attention_ll4mi_QKV_mfma4_kernelI14__hip_bfloat16hLN4vllm18Fp8KVCacheDataTypeE1ES0_Li16ELi64ELi256ELb1ELi3EEvPKT_PKT0_S8_ifPKiSA_SA_iPKfiiiPfSD_PS3_PT2_iSC_SC_.kd
    .uniform_work_group_size: 1
    .uses_dynamic_stack: false
    .vgpr_count:     41
    .vgpr_spill_count: 0
    .wavefront_size: 32
    .workgroup_processor_mode: 1
  - .args:
      - .actual_access:  read_only
        .address_space:  global
        .offset:         0
        .size:           8
        .value_kind:     global_buffer
      - .actual_access:  read_only
        .address_space:  global
        .offset:         8
        .size:           8
        .value_kind:     global_buffer
      - .actual_access:  read_only
        .address_space:  global
        .offset:         16
        .size:           8
        .value_kind:     global_buffer
      - .offset:         24
        .size:           4
        .value_kind:     by_value
      - .offset:         28
        .size:           4
        .value_kind:     by_value
      - .actual_access:  read_only
        .address_space:  global
        .offset:         32
        .size:           8
        .value_kind:     global_buffer
      - .actual_access:  read_only
        .address_space:  global
        .offset:         40
        .size:           8
        .value_kind:     global_buffer
      - .actual_access:  read_only
        .address_space:  global
        .offset:         48
        .size:           8
        .value_kind:     global_buffer
      - .offset:         56
        .size:           4
        .value_kind:     by_value
      - .actual_access:  read_only
        .address_space:  global
        .offset:         64
        .size:           8
        .value_kind:     global_buffer
      - .offset:         72
        .size:           4
        .value_kind:     by_value
      - .offset:         76
        .size:           4
        .value_kind:     by_value
      - .offset:         80
        .size:           4
        .value_kind:     by_value
      - .actual_access:  read_only
        .address_space:  global
        .offset:         88
        .size:           8
        .value_kind:     global_buffer
      - .actual_access:  read_only
        .address_space:  global
        .offset:         96
        .size:           8
        .value_kind:     global_buffer
      - .actual_access:  read_only
        .address_space:  global
        .offset:         104
        .size:           8
        .value_kind:     global_buffer
      - .actual_access:  read_only
        .address_space:  global
        .offset:         112
        .size:           8
        .value_kind:     global_buffer
      - .offset:         120
        .size:           4
        .value_kind:     by_value
      - .address_space:  global
        .offset:         128
        .size:           8
        .value_kind:     global_buffer
      - .address_space:  global
        .offset:         136
        .size:           8
        .value_kind:     global_buffer
      - .offset:         144
        .size:           4
        .value_kind:     hidden_block_count_x
      - .offset:         148
        .size:           4
        .value_kind:     hidden_block_count_y
      - .offset:         152
        .size:           4
        .value_kind:     hidden_block_count_z
      - .offset:         156
        .size:           2
        .value_kind:     hidden_group_size_x
      - .offset:         158
        .size:           2
        .value_kind:     hidden_group_size_y
      - .offset:         160
        .size:           2
        .value_kind:     hidden_group_size_z
      - .offset:         162
        .size:           2
        .value_kind:     hidden_remainder_x
      - .offset:         164
        .size:           2
        .value_kind:     hidden_remainder_y
      - .offset:         166
        .size:           2
        .value_kind:     hidden_remainder_z
      - .offset:         184
        .size:           8
        .value_kind:     hidden_global_offset_x
      - .offset:         192
        .size:           8
        .value_kind:     hidden_global_offset_y
      - .offset:         200
        .size:           8
        .value_kind:     hidden_global_offset_z
      - .offset:         208
        .size:           2
        .value_kind:     hidden_grid_dims
      - .offset:         224
        .size:           8
        .value_kind:     hidden_hostcall_buffer
    .group_segment_fixed_size: 0
    .kernarg_segment_align: 8
    .kernarg_segment_size: 400
    .language:       OpenCL C
    .language_version:
      - 2
      - 0
    .max_flat_workgroup_size: 256
    .name:           _Z38paged_attention_ll4mi_QKV_mfma4_kernelI14__hip_bfloat16hLN4vllm18Fp8KVCacheDataTypeE1ES0_Li16ELi64ELi256ELb1ELi4EEvPKT_PKT0_S8_ifPKiSA_SA_iPKfiiiPfSD_PS3_PT2_iSC_SC_
    .private_segment_fixed_size: 64
    .sgpr_count:     36
    .sgpr_spill_count: 0
    .symbol:         _Z38paged_attention_ll4mi_QKV_mfma4_kernelI14__hip_bfloat16hLN4vllm18Fp8KVCacheDataTypeE1ES0_Li16ELi64ELi256ELb1ELi4EEvPKT_PKT0_S8_ifPKiSA_SA_iPKfiiiPfSD_PS3_PT2_iSC_SC_.kd
    .uniform_work_group_size: 1
    .uses_dynamic_stack: false
    .vgpr_count:     41
    .vgpr_spill_count: 0
    .wavefront_size: 32
    .workgroup_processor_mode: 1
  - .args:
      - .actual_access:  read_only
        .address_space:  global
        .offset:         0
        .size:           8
        .value_kind:     global_buffer
      - .actual_access:  read_only
        .address_space:  global
        .offset:         8
        .size:           8
        .value_kind:     global_buffer
      - .actual_access:  read_only
        .address_space:  global
        .offset:         16
        .size:           8
        .value_kind:     global_buffer
      - .offset:         24
        .size:           4
        .value_kind:     by_value
      - .offset:         28
        .size:           4
        .value_kind:     by_value
      - .actual_access:  read_only
        .address_space:  global
        .offset:         32
        .size:           8
        .value_kind:     global_buffer
      - .actual_access:  read_only
        .address_space:  global
        .offset:         40
        .size:           8
        .value_kind:     global_buffer
      - .actual_access:  read_only
        .address_space:  global
        .offset:         48
        .size:           8
        .value_kind:     global_buffer
      - .offset:         56
        .size:           4
        .value_kind:     by_value
      - .actual_access:  read_only
        .address_space:  global
        .offset:         64
        .size:           8
        .value_kind:     global_buffer
      - .offset:         72
        .size:           4
        .value_kind:     by_value
      - .offset:         76
        .size:           4
        .value_kind:     by_value
      - .offset:         80
        .size:           4
        .value_kind:     by_value
      - .actual_access:  write_only
        .address_space:  global
        .offset:         88
        .size:           8
        .value_kind:     global_buffer
      - .actual_access:  write_only
        .address_space:  global
        .offset:         96
        .size:           8
        .value_kind:     global_buffer
      - .actual_access:  write_only
        .address_space:  global
        .offset:         104
        .size:           8
        .value_kind:     global_buffer
      - .actual_access:  read_only
        .address_space:  global
        .offset:         112
        .size:           8
        .value_kind:     global_buffer
      - .offset:         120
        .size:           4
        .value_kind:     by_value
      - .address_space:  global
        .offset:         128
        .size:           8
        .value_kind:     global_buffer
      - .address_space:  global
        .offset:         136
        .size:           8
        .value_kind:     global_buffer
      - .offset:         144
        .size:           4
        .value_kind:     hidden_block_count_x
      - .offset:         148
        .size:           4
        .value_kind:     hidden_block_count_y
      - .offset:         152
        .size:           4
        .value_kind:     hidden_block_count_z
      - .offset:         156
        .size:           2
        .value_kind:     hidden_group_size_x
      - .offset:         158
        .size:           2
        .value_kind:     hidden_group_size_y
      - .offset:         160
        .size:           2
        .value_kind:     hidden_group_size_z
      - .offset:         162
        .size:           2
        .value_kind:     hidden_remainder_x
      - .offset:         164
        .size:           2
        .value_kind:     hidden_remainder_y
      - .offset:         166
        .size:           2
        .value_kind:     hidden_remainder_z
      - .offset:         184
        .size:           8
        .value_kind:     hidden_global_offset_x
      - .offset:         192
        .size:           8
        .value_kind:     hidden_global_offset_y
      - .offset:         200
        .size:           8
        .value_kind:     hidden_global_offset_z
      - .offset:         208
        .size:           2
        .value_kind:     hidden_grid_dims
    .group_segment_fixed_size: 17472
    .kernarg_segment_align: 8
    .kernarg_segment_size: 400
    .language:       OpenCL C
    .language_version:
      - 2
      - 0
    .max_flat_workgroup_size: 256
    .name:           _Z39paged_attention_ll4mi_QKV_mfma16_kernelI14__hip_bfloat16hLN4vllm18Fp8KVCacheDataTypeE1ES0_Li16ELi64ELi256ELb1ELi5EL8MFMAType1EEvPKT_PKT0_S9_ifPKiSB_SB_iPKfiiiPfSE_PS4_PT2_iSD_SD_
    .private_segment_fixed_size: 0
    .sgpr_count:     42
    .sgpr_spill_count: 0
    .symbol:         _Z39paged_attention_ll4mi_QKV_mfma16_kernelI14__hip_bfloat16hLN4vllm18Fp8KVCacheDataTypeE1ES0_Li16ELi64ELi256ELb1ELi5EL8MFMAType1EEvPKT_PKT0_S9_ifPKiSB_SB_iPKfiiiPfSE_PS4_PT2_iSD_SD_.kd
    .uniform_work_group_size: 1
    .uses_dynamic_stack: false
    .vgpr_count:     124
    .vgpr_spill_count: 0
    .wavefront_size: 32
    .workgroup_processor_mode: 1
  - .args:
      - .actual_access:  read_only
        .address_space:  global
        .offset:         0
        .size:           8
        .value_kind:     global_buffer
      - .actual_access:  read_only
        .address_space:  global
        .offset:         8
        .size:           8
        .value_kind:     global_buffer
      - .actual_access:  read_only
        .address_space:  global
        .offset:         16
        .size:           8
        .value_kind:     global_buffer
      - .offset:         24
        .size:           4
        .value_kind:     by_value
      - .offset:         28
        .size:           4
        .value_kind:     by_value
      - .actual_access:  read_only
        .address_space:  global
        .offset:         32
        .size:           8
        .value_kind:     global_buffer
      - .actual_access:  read_only
        .address_space:  global
        .offset:         40
        .size:           8
        .value_kind:     global_buffer
      - .actual_access:  read_only
        .address_space:  global
        .offset:         48
        .size:           8
        .value_kind:     global_buffer
      - .offset:         56
        .size:           4
        .value_kind:     by_value
      - .actual_access:  read_only
        .address_space:  global
        .offset:         64
        .size:           8
        .value_kind:     global_buffer
      - .offset:         72
        .size:           4
        .value_kind:     by_value
      - .offset:         76
        .size:           4
        .value_kind:     by_value
      - .offset:         80
        .size:           4
        .value_kind:     by_value
      - .actual_access:  write_only
        .address_space:  global
        .offset:         88
        .size:           8
        .value_kind:     global_buffer
      - .actual_access:  write_only
        .address_space:  global
        .offset:         96
        .size:           8
        .value_kind:     global_buffer
      - .actual_access:  write_only
        .address_space:  global
        .offset:         104
        .size:           8
        .value_kind:     global_buffer
      - .actual_access:  read_only
        .address_space:  global
        .offset:         112
        .size:           8
        .value_kind:     global_buffer
      - .offset:         120
        .size:           4
        .value_kind:     by_value
      - .address_space:  global
        .offset:         128
        .size:           8
        .value_kind:     global_buffer
      - .address_space:  global
        .offset:         136
        .size:           8
        .value_kind:     global_buffer
      - .offset:         144
        .size:           4
        .value_kind:     hidden_block_count_x
      - .offset:         148
        .size:           4
        .value_kind:     hidden_block_count_y
      - .offset:         152
        .size:           4
        .value_kind:     hidden_block_count_z
      - .offset:         156
        .size:           2
        .value_kind:     hidden_group_size_x
      - .offset:         158
        .size:           2
        .value_kind:     hidden_group_size_y
      - .offset:         160
        .size:           2
        .value_kind:     hidden_group_size_z
      - .offset:         162
        .size:           2
        .value_kind:     hidden_remainder_x
      - .offset:         164
        .size:           2
        .value_kind:     hidden_remainder_y
      - .offset:         166
        .size:           2
        .value_kind:     hidden_remainder_z
      - .offset:         184
        .size:           8
        .value_kind:     hidden_global_offset_x
      - .offset:         192
        .size:           8
        .value_kind:     hidden_global_offset_y
      - .offset:         200
        .size:           8
        .value_kind:     hidden_global_offset_z
      - .offset:         208
        .size:           2
        .value_kind:     hidden_grid_dims
    .group_segment_fixed_size: 17472
    .kernarg_segment_align: 8
    .kernarg_segment_size: 400
    .language:       OpenCL C
    .language_version:
      - 2
      - 0
    .max_flat_workgroup_size: 256
    .name:           _Z39paged_attention_ll4mi_QKV_mfma16_kernelI14__hip_bfloat16hLN4vllm18Fp8KVCacheDataTypeE1ES0_Li16ELi64ELi256ELb1ELi6EL8MFMAType1EEvPKT_PKT0_S9_ifPKiSB_SB_iPKfiiiPfSE_PS4_PT2_iSD_SD_
    .private_segment_fixed_size: 0
    .sgpr_count:     40
    .sgpr_spill_count: 0
    .symbol:         _Z39paged_attention_ll4mi_QKV_mfma16_kernelI14__hip_bfloat16hLN4vllm18Fp8KVCacheDataTypeE1ES0_Li16ELi64ELi256ELb1ELi6EL8MFMAType1EEvPKT_PKT0_S9_ifPKiSB_SB_iPKfiiiPfSE_PS4_PT2_iSD_SD_.kd
    .uniform_work_group_size: 1
    .uses_dynamic_stack: false
    .vgpr_count:     124
    .vgpr_spill_count: 0
    .wavefront_size: 32
    .workgroup_processor_mode: 1
  - .args:
      - .actual_access:  read_only
        .address_space:  global
        .offset:         0
        .size:           8
        .value_kind:     global_buffer
      - .actual_access:  read_only
        .address_space:  global
        .offset:         8
        .size:           8
        .value_kind:     global_buffer
      - .actual_access:  read_only
        .address_space:  global
        .offset:         16
        .size:           8
        .value_kind:     global_buffer
      - .offset:         24
        .size:           4
        .value_kind:     by_value
      - .offset:         28
        .size:           4
        .value_kind:     by_value
      - .actual_access:  read_only
        .address_space:  global
        .offset:         32
        .size:           8
        .value_kind:     global_buffer
      - .actual_access:  read_only
        .address_space:  global
        .offset:         40
        .size:           8
        .value_kind:     global_buffer
      - .actual_access:  read_only
        .address_space:  global
        .offset:         48
        .size:           8
        .value_kind:     global_buffer
      - .offset:         56
        .size:           4
        .value_kind:     by_value
      - .actual_access:  read_only
        .address_space:  global
        .offset:         64
        .size:           8
        .value_kind:     global_buffer
      - .offset:         72
        .size:           4
        .value_kind:     by_value
      - .offset:         76
        .size:           4
        .value_kind:     by_value
      - .offset:         80
        .size:           4
        .value_kind:     by_value
      - .actual_access:  write_only
        .address_space:  global
        .offset:         88
        .size:           8
        .value_kind:     global_buffer
      - .actual_access:  write_only
        .address_space:  global
        .offset:         96
        .size:           8
        .value_kind:     global_buffer
      - .actual_access:  write_only
        .address_space:  global
        .offset:         104
        .size:           8
        .value_kind:     global_buffer
      - .actual_access:  read_only
        .address_space:  global
        .offset:         112
        .size:           8
        .value_kind:     global_buffer
      - .offset:         120
        .size:           4
        .value_kind:     by_value
      - .address_space:  global
        .offset:         128
        .size:           8
        .value_kind:     global_buffer
      - .address_space:  global
        .offset:         136
        .size:           8
        .value_kind:     global_buffer
      - .offset:         144
        .size:           4
        .value_kind:     hidden_block_count_x
      - .offset:         148
        .size:           4
        .value_kind:     hidden_block_count_y
      - .offset:         152
        .size:           4
        .value_kind:     hidden_block_count_z
      - .offset:         156
        .size:           2
        .value_kind:     hidden_group_size_x
      - .offset:         158
        .size:           2
        .value_kind:     hidden_group_size_y
      - .offset:         160
        .size:           2
        .value_kind:     hidden_group_size_z
      - .offset:         162
        .size:           2
        .value_kind:     hidden_remainder_x
      - .offset:         164
        .size:           2
        .value_kind:     hidden_remainder_y
      - .offset:         166
        .size:           2
        .value_kind:     hidden_remainder_z
      - .offset:         184
        .size:           8
        .value_kind:     hidden_global_offset_x
      - .offset:         192
        .size:           8
        .value_kind:     hidden_global_offset_y
      - .offset:         200
        .size:           8
        .value_kind:     hidden_global_offset_z
      - .offset:         208
        .size:           2
        .value_kind:     hidden_grid_dims
    .group_segment_fixed_size: 17472
    .kernarg_segment_align: 8
    .kernarg_segment_size: 400
    .language:       OpenCL C
    .language_version:
      - 2
      - 0
    .max_flat_workgroup_size: 256
    .name:           _Z39paged_attention_ll4mi_QKV_mfma16_kernelI14__hip_bfloat16hLN4vllm18Fp8KVCacheDataTypeE1ES0_Li16ELi64ELi256ELb1ELi7EL8MFMAType1EEvPKT_PKT0_S9_ifPKiSB_SB_iPKfiiiPfSE_PS4_PT2_iSD_SD_
    .private_segment_fixed_size: 0
    .sgpr_count:     42
    .sgpr_spill_count: 0
    .symbol:         _Z39paged_attention_ll4mi_QKV_mfma16_kernelI14__hip_bfloat16hLN4vllm18Fp8KVCacheDataTypeE1ES0_Li16ELi64ELi256ELb1ELi7EL8MFMAType1EEvPKT_PKT0_S9_ifPKiSB_SB_iPKfiiiPfSE_PS4_PT2_iSD_SD_.kd
    .uniform_work_group_size: 1
    .uses_dynamic_stack: false
    .vgpr_count:     124
    .vgpr_spill_count: 0
    .wavefront_size: 32
    .workgroup_processor_mode: 1
  - .args:
      - .actual_access:  read_only
        .address_space:  global
        .offset:         0
        .size:           8
        .value_kind:     global_buffer
      - .actual_access:  read_only
        .address_space:  global
        .offset:         8
        .size:           8
        .value_kind:     global_buffer
      - .actual_access:  read_only
        .address_space:  global
        .offset:         16
        .size:           8
        .value_kind:     global_buffer
      - .offset:         24
        .size:           4
        .value_kind:     by_value
      - .offset:         28
        .size:           4
        .value_kind:     by_value
      - .actual_access:  read_only
        .address_space:  global
        .offset:         32
        .size:           8
        .value_kind:     global_buffer
      - .actual_access:  read_only
        .address_space:  global
        .offset:         40
        .size:           8
        .value_kind:     global_buffer
      - .actual_access:  read_only
        .address_space:  global
        .offset:         48
        .size:           8
        .value_kind:     global_buffer
      - .offset:         56
        .size:           4
        .value_kind:     by_value
      - .actual_access:  read_only
        .address_space:  global
        .offset:         64
        .size:           8
        .value_kind:     global_buffer
      - .offset:         72
        .size:           4
        .value_kind:     by_value
      - .offset:         76
        .size:           4
        .value_kind:     by_value
      - .offset:         80
        .size:           4
        .value_kind:     by_value
      - .actual_access:  write_only
        .address_space:  global
        .offset:         88
        .size:           8
        .value_kind:     global_buffer
      - .actual_access:  write_only
        .address_space:  global
        .offset:         96
        .size:           8
        .value_kind:     global_buffer
      - .actual_access:  write_only
        .address_space:  global
        .offset:         104
        .size:           8
        .value_kind:     global_buffer
      - .actual_access:  read_only
        .address_space:  global
        .offset:         112
        .size:           8
        .value_kind:     global_buffer
      - .offset:         120
        .size:           4
        .value_kind:     by_value
      - .address_space:  global
        .offset:         128
        .size:           8
        .value_kind:     global_buffer
      - .address_space:  global
        .offset:         136
        .size:           8
        .value_kind:     global_buffer
      - .offset:         144
        .size:           4
        .value_kind:     hidden_block_count_x
      - .offset:         148
        .size:           4
        .value_kind:     hidden_block_count_y
      - .offset:         152
        .size:           4
        .value_kind:     hidden_block_count_z
      - .offset:         156
        .size:           2
        .value_kind:     hidden_group_size_x
      - .offset:         158
        .size:           2
        .value_kind:     hidden_group_size_y
      - .offset:         160
        .size:           2
        .value_kind:     hidden_group_size_z
      - .offset:         162
        .size:           2
        .value_kind:     hidden_remainder_x
      - .offset:         164
        .size:           2
        .value_kind:     hidden_remainder_y
      - .offset:         166
        .size:           2
        .value_kind:     hidden_remainder_z
      - .offset:         184
        .size:           8
        .value_kind:     hidden_global_offset_x
      - .offset:         192
        .size:           8
        .value_kind:     hidden_global_offset_y
      - .offset:         200
        .size:           8
        .value_kind:     hidden_global_offset_z
      - .offset:         208
        .size:           2
        .value_kind:     hidden_grid_dims
    .group_segment_fixed_size: 17472
    .kernarg_segment_align: 8
    .kernarg_segment_size: 400
    .language:       OpenCL C
    .language_version:
      - 2
      - 0
    .max_flat_workgroup_size: 256
    .name:           _Z39paged_attention_ll4mi_QKV_mfma16_kernelI14__hip_bfloat16hLN4vllm18Fp8KVCacheDataTypeE1ES0_Li16ELi64ELi256ELb1ELi8EL8MFMAType1EEvPKT_PKT0_S9_ifPKiSB_SB_iPKfiiiPfSE_PS4_PT2_iSD_SD_
    .private_segment_fixed_size: 0
    .sgpr_count:     40
    .sgpr_spill_count: 0
    .symbol:         _Z39paged_attention_ll4mi_QKV_mfma16_kernelI14__hip_bfloat16hLN4vllm18Fp8KVCacheDataTypeE1ES0_Li16ELi64ELi256ELb1ELi8EL8MFMAType1EEvPKT_PKT0_S9_ifPKiSB_SB_iPKfiiiPfSE_PS4_PT2_iSD_SD_.kd
    .uniform_work_group_size: 1
    .uses_dynamic_stack: false
    .vgpr_count:     124
    .vgpr_spill_count: 0
    .wavefront_size: 32
    .workgroup_processor_mode: 1
  - .args:
      - .actual_access:  read_only
        .address_space:  global
        .offset:         0
        .size:           8
        .value_kind:     global_buffer
      - .actual_access:  read_only
        .address_space:  global
        .offset:         8
        .size:           8
        .value_kind:     global_buffer
      - .actual_access:  read_only
        .address_space:  global
        .offset:         16
        .size:           8
        .value_kind:     global_buffer
      - .offset:         24
        .size:           4
        .value_kind:     by_value
      - .offset:         28
        .size:           4
        .value_kind:     by_value
      - .actual_access:  read_only
        .address_space:  global
        .offset:         32
        .size:           8
        .value_kind:     global_buffer
      - .actual_access:  read_only
        .address_space:  global
        .offset:         40
        .size:           8
        .value_kind:     global_buffer
      - .actual_access:  read_only
        .address_space:  global
        .offset:         48
        .size:           8
        .value_kind:     global_buffer
      - .offset:         56
        .size:           4
        .value_kind:     by_value
      - .actual_access:  read_only
        .address_space:  global
        .offset:         64
        .size:           8
        .value_kind:     global_buffer
      - .offset:         72
        .size:           4
        .value_kind:     by_value
      - .offset:         76
        .size:           4
        .value_kind:     by_value
      - .offset:         80
        .size:           4
        .value_kind:     by_value
      - .actual_access:  write_only
        .address_space:  global
        .offset:         88
        .size:           8
        .value_kind:     global_buffer
      - .actual_access:  write_only
        .address_space:  global
        .offset:         96
        .size:           8
        .value_kind:     global_buffer
      - .actual_access:  write_only
        .address_space:  global
        .offset:         104
        .size:           8
        .value_kind:     global_buffer
      - .actual_access:  read_only
        .address_space:  global
        .offset:         112
        .size:           8
        .value_kind:     global_buffer
      - .offset:         120
        .size:           4
        .value_kind:     by_value
      - .address_space:  global
        .offset:         128
        .size:           8
        .value_kind:     global_buffer
      - .address_space:  global
        .offset:         136
        .size:           8
        .value_kind:     global_buffer
      - .offset:         144
        .size:           4
        .value_kind:     hidden_block_count_x
      - .offset:         148
        .size:           4
        .value_kind:     hidden_block_count_y
      - .offset:         152
        .size:           4
        .value_kind:     hidden_block_count_z
      - .offset:         156
        .size:           2
        .value_kind:     hidden_group_size_x
      - .offset:         158
        .size:           2
        .value_kind:     hidden_group_size_y
      - .offset:         160
        .size:           2
        .value_kind:     hidden_group_size_z
      - .offset:         162
        .size:           2
        .value_kind:     hidden_remainder_x
      - .offset:         164
        .size:           2
        .value_kind:     hidden_remainder_y
      - .offset:         166
        .size:           2
        .value_kind:     hidden_remainder_z
      - .offset:         184
        .size:           8
        .value_kind:     hidden_global_offset_x
      - .offset:         192
        .size:           8
        .value_kind:     hidden_global_offset_y
      - .offset:         200
        .size:           8
        .value_kind:     hidden_global_offset_z
      - .offset:         208
        .size:           2
        .value_kind:     hidden_grid_dims
    .group_segment_fixed_size: 17472
    .kernarg_segment_align: 8
    .kernarg_segment_size: 400
    .language:       OpenCL C
    .language_version:
      - 2
      - 0
    .max_flat_workgroup_size: 256
    .name:           _Z39paged_attention_ll4mi_QKV_mfma16_kernelI14__hip_bfloat16hLN4vllm18Fp8KVCacheDataTypeE1ES0_Li16ELi64ELi256ELb1ELi9EL8MFMAType1EEvPKT_PKT0_S9_ifPKiSB_SB_iPKfiiiPfSE_PS4_PT2_iSD_SD_
    .private_segment_fixed_size: 0
    .sgpr_count:     42
    .sgpr_spill_count: 0
    .symbol:         _Z39paged_attention_ll4mi_QKV_mfma16_kernelI14__hip_bfloat16hLN4vllm18Fp8KVCacheDataTypeE1ES0_Li16ELi64ELi256ELb1ELi9EL8MFMAType1EEvPKT_PKT0_S9_ifPKiSB_SB_iPKfiiiPfSE_PS4_PT2_iSD_SD_.kd
    .uniform_work_group_size: 1
    .uses_dynamic_stack: false
    .vgpr_count:     124
    .vgpr_spill_count: 0
    .wavefront_size: 32
    .workgroup_processor_mode: 1
  - .args:
      - .actual_access:  read_only
        .address_space:  global
        .offset:         0
        .size:           8
        .value_kind:     global_buffer
      - .actual_access:  read_only
        .address_space:  global
        .offset:         8
        .size:           8
        .value_kind:     global_buffer
      - .actual_access:  read_only
        .address_space:  global
        .offset:         16
        .size:           8
        .value_kind:     global_buffer
      - .offset:         24
        .size:           4
        .value_kind:     by_value
      - .offset:         28
        .size:           4
        .value_kind:     by_value
      - .actual_access:  read_only
        .address_space:  global
        .offset:         32
        .size:           8
        .value_kind:     global_buffer
      - .actual_access:  read_only
        .address_space:  global
        .offset:         40
        .size:           8
        .value_kind:     global_buffer
      - .actual_access:  read_only
        .address_space:  global
        .offset:         48
        .size:           8
        .value_kind:     global_buffer
      - .offset:         56
        .size:           4
        .value_kind:     by_value
      - .actual_access:  read_only
        .address_space:  global
        .offset:         64
        .size:           8
        .value_kind:     global_buffer
      - .offset:         72
        .size:           4
        .value_kind:     by_value
      - .offset:         76
        .size:           4
        .value_kind:     by_value
      - .offset:         80
        .size:           4
        .value_kind:     by_value
      - .actual_access:  write_only
        .address_space:  global
        .offset:         88
        .size:           8
        .value_kind:     global_buffer
      - .actual_access:  write_only
        .address_space:  global
        .offset:         96
        .size:           8
        .value_kind:     global_buffer
      - .actual_access:  write_only
        .address_space:  global
        .offset:         104
        .size:           8
        .value_kind:     global_buffer
      - .actual_access:  read_only
        .address_space:  global
        .offset:         112
        .size:           8
        .value_kind:     global_buffer
      - .offset:         120
        .size:           4
        .value_kind:     by_value
      - .address_space:  global
        .offset:         128
        .size:           8
        .value_kind:     global_buffer
      - .address_space:  global
        .offset:         136
        .size:           8
        .value_kind:     global_buffer
      - .offset:         144
        .size:           4
        .value_kind:     hidden_block_count_x
      - .offset:         148
        .size:           4
        .value_kind:     hidden_block_count_y
      - .offset:         152
        .size:           4
        .value_kind:     hidden_block_count_z
      - .offset:         156
        .size:           2
        .value_kind:     hidden_group_size_x
      - .offset:         158
        .size:           2
        .value_kind:     hidden_group_size_y
      - .offset:         160
        .size:           2
        .value_kind:     hidden_group_size_z
      - .offset:         162
        .size:           2
        .value_kind:     hidden_remainder_x
      - .offset:         164
        .size:           2
        .value_kind:     hidden_remainder_y
      - .offset:         166
        .size:           2
        .value_kind:     hidden_remainder_z
      - .offset:         184
        .size:           8
        .value_kind:     hidden_global_offset_x
      - .offset:         192
        .size:           8
        .value_kind:     hidden_global_offset_y
      - .offset:         200
        .size:           8
        .value_kind:     hidden_global_offset_z
      - .offset:         208
        .size:           2
        .value_kind:     hidden_grid_dims
    .group_segment_fixed_size: 17472
    .kernarg_segment_align: 8
    .kernarg_segment_size: 400
    .language:       OpenCL C
    .language_version:
      - 2
      - 0
    .max_flat_workgroup_size: 256
    .name:           _Z39paged_attention_ll4mi_QKV_mfma16_kernelI14__hip_bfloat16hLN4vllm18Fp8KVCacheDataTypeE1ES0_Li16ELi64ELi256ELb1ELi10EL8MFMAType1EEvPKT_PKT0_S9_ifPKiSB_SB_iPKfiiiPfSE_PS4_PT2_iSD_SD_
    .private_segment_fixed_size: 0
    .sgpr_count:     40
    .sgpr_spill_count: 0
    .symbol:         _Z39paged_attention_ll4mi_QKV_mfma16_kernelI14__hip_bfloat16hLN4vllm18Fp8KVCacheDataTypeE1ES0_Li16ELi64ELi256ELb1ELi10EL8MFMAType1EEvPKT_PKT0_S9_ifPKiSB_SB_iPKfiiiPfSE_PS4_PT2_iSD_SD_.kd
    .uniform_work_group_size: 1
    .uses_dynamic_stack: false
    .vgpr_count:     124
    .vgpr_spill_count: 0
    .wavefront_size: 32
    .workgroup_processor_mode: 1
  - .args:
      - .actual_access:  read_only
        .address_space:  global
        .offset:         0
        .size:           8
        .value_kind:     global_buffer
      - .actual_access:  read_only
        .address_space:  global
        .offset:         8
        .size:           8
        .value_kind:     global_buffer
      - .actual_access:  read_only
        .address_space:  global
        .offset:         16
        .size:           8
        .value_kind:     global_buffer
      - .offset:         24
        .size:           4
        .value_kind:     by_value
      - .offset:         28
        .size:           4
        .value_kind:     by_value
      - .actual_access:  read_only
        .address_space:  global
        .offset:         32
        .size:           8
        .value_kind:     global_buffer
      - .actual_access:  read_only
        .address_space:  global
        .offset:         40
        .size:           8
        .value_kind:     global_buffer
      - .actual_access:  read_only
        .address_space:  global
        .offset:         48
        .size:           8
        .value_kind:     global_buffer
      - .offset:         56
        .size:           4
        .value_kind:     by_value
      - .actual_access:  read_only
        .address_space:  global
        .offset:         64
        .size:           8
        .value_kind:     global_buffer
      - .offset:         72
        .size:           4
        .value_kind:     by_value
      - .offset:         76
        .size:           4
        .value_kind:     by_value
      - .offset:         80
        .size:           4
        .value_kind:     by_value
      - .actual_access:  write_only
        .address_space:  global
        .offset:         88
        .size:           8
        .value_kind:     global_buffer
      - .actual_access:  write_only
        .address_space:  global
        .offset:         96
        .size:           8
        .value_kind:     global_buffer
      - .actual_access:  write_only
        .address_space:  global
        .offset:         104
        .size:           8
        .value_kind:     global_buffer
      - .actual_access:  read_only
        .address_space:  global
        .offset:         112
        .size:           8
        .value_kind:     global_buffer
      - .offset:         120
        .size:           4
        .value_kind:     by_value
      - .address_space:  global
        .offset:         128
        .size:           8
        .value_kind:     global_buffer
      - .address_space:  global
        .offset:         136
        .size:           8
        .value_kind:     global_buffer
      - .offset:         144
        .size:           4
        .value_kind:     hidden_block_count_x
      - .offset:         148
        .size:           4
        .value_kind:     hidden_block_count_y
      - .offset:         152
        .size:           4
        .value_kind:     hidden_block_count_z
      - .offset:         156
        .size:           2
        .value_kind:     hidden_group_size_x
      - .offset:         158
        .size:           2
        .value_kind:     hidden_group_size_y
      - .offset:         160
        .size:           2
        .value_kind:     hidden_group_size_z
      - .offset:         162
        .size:           2
        .value_kind:     hidden_remainder_x
      - .offset:         164
        .size:           2
        .value_kind:     hidden_remainder_y
      - .offset:         166
        .size:           2
        .value_kind:     hidden_remainder_z
      - .offset:         184
        .size:           8
        .value_kind:     hidden_global_offset_x
      - .offset:         192
        .size:           8
        .value_kind:     hidden_global_offset_y
      - .offset:         200
        .size:           8
        .value_kind:     hidden_global_offset_z
      - .offset:         208
        .size:           2
        .value_kind:     hidden_grid_dims
    .group_segment_fixed_size: 17472
    .kernarg_segment_align: 8
    .kernarg_segment_size: 400
    .language:       OpenCL C
    .language_version:
      - 2
      - 0
    .max_flat_workgroup_size: 256
    .name:           _Z39paged_attention_ll4mi_QKV_mfma16_kernelI14__hip_bfloat16hLN4vllm18Fp8KVCacheDataTypeE1ES0_Li16ELi64ELi256ELb1ELi11EL8MFMAType1EEvPKT_PKT0_S9_ifPKiSB_SB_iPKfiiiPfSE_PS4_PT2_iSD_SD_
    .private_segment_fixed_size: 0
    .sgpr_count:     42
    .sgpr_spill_count: 0
    .symbol:         _Z39paged_attention_ll4mi_QKV_mfma16_kernelI14__hip_bfloat16hLN4vllm18Fp8KVCacheDataTypeE1ES0_Li16ELi64ELi256ELb1ELi11EL8MFMAType1EEvPKT_PKT0_S9_ifPKiSB_SB_iPKfiiiPfSE_PS4_PT2_iSD_SD_.kd
    .uniform_work_group_size: 1
    .uses_dynamic_stack: false
    .vgpr_count:     124
    .vgpr_spill_count: 0
    .wavefront_size: 32
    .workgroup_processor_mode: 1
  - .args:
      - .actual_access:  read_only
        .address_space:  global
        .offset:         0
        .size:           8
        .value_kind:     global_buffer
      - .actual_access:  read_only
        .address_space:  global
        .offset:         8
        .size:           8
        .value_kind:     global_buffer
      - .actual_access:  read_only
        .address_space:  global
        .offset:         16
        .size:           8
        .value_kind:     global_buffer
      - .offset:         24
        .size:           4
        .value_kind:     by_value
      - .offset:         28
        .size:           4
        .value_kind:     by_value
      - .actual_access:  read_only
        .address_space:  global
        .offset:         32
        .size:           8
        .value_kind:     global_buffer
      - .actual_access:  read_only
        .address_space:  global
        .offset:         40
        .size:           8
        .value_kind:     global_buffer
      - .actual_access:  read_only
        .address_space:  global
        .offset:         48
        .size:           8
        .value_kind:     global_buffer
      - .offset:         56
        .size:           4
        .value_kind:     by_value
      - .actual_access:  read_only
        .address_space:  global
        .offset:         64
        .size:           8
        .value_kind:     global_buffer
      - .offset:         72
        .size:           4
        .value_kind:     by_value
      - .offset:         76
        .size:           4
        .value_kind:     by_value
      - .offset:         80
        .size:           4
        .value_kind:     by_value
      - .actual_access:  write_only
        .address_space:  global
        .offset:         88
        .size:           8
        .value_kind:     global_buffer
      - .actual_access:  write_only
        .address_space:  global
        .offset:         96
        .size:           8
        .value_kind:     global_buffer
      - .actual_access:  write_only
        .address_space:  global
        .offset:         104
        .size:           8
        .value_kind:     global_buffer
      - .actual_access:  read_only
        .address_space:  global
        .offset:         112
        .size:           8
        .value_kind:     global_buffer
      - .offset:         120
        .size:           4
        .value_kind:     by_value
      - .address_space:  global
        .offset:         128
        .size:           8
        .value_kind:     global_buffer
      - .address_space:  global
        .offset:         136
        .size:           8
        .value_kind:     global_buffer
      - .offset:         144
        .size:           4
        .value_kind:     hidden_block_count_x
      - .offset:         148
        .size:           4
        .value_kind:     hidden_block_count_y
      - .offset:         152
        .size:           4
        .value_kind:     hidden_block_count_z
      - .offset:         156
        .size:           2
        .value_kind:     hidden_group_size_x
      - .offset:         158
        .size:           2
        .value_kind:     hidden_group_size_y
      - .offset:         160
        .size:           2
        .value_kind:     hidden_group_size_z
      - .offset:         162
        .size:           2
        .value_kind:     hidden_remainder_x
      - .offset:         164
        .size:           2
        .value_kind:     hidden_remainder_y
      - .offset:         166
        .size:           2
        .value_kind:     hidden_remainder_z
      - .offset:         184
        .size:           8
        .value_kind:     hidden_global_offset_x
      - .offset:         192
        .size:           8
        .value_kind:     hidden_global_offset_y
      - .offset:         200
        .size:           8
        .value_kind:     hidden_global_offset_z
      - .offset:         208
        .size:           2
        .value_kind:     hidden_grid_dims
    .group_segment_fixed_size: 17472
    .kernarg_segment_align: 8
    .kernarg_segment_size: 400
    .language:       OpenCL C
    .language_version:
      - 2
      - 0
    .max_flat_workgroup_size: 256
    .name:           _Z39paged_attention_ll4mi_QKV_mfma16_kernelI14__hip_bfloat16hLN4vllm18Fp8KVCacheDataTypeE1ES0_Li16ELi64ELi256ELb1ELi12EL8MFMAType1EEvPKT_PKT0_S9_ifPKiSB_SB_iPKfiiiPfSE_PS4_PT2_iSD_SD_
    .private_segment_fixed_size: 0
    .sgpr_count:     40
    .sgpr_spill_count: 0
    .symbol:         _Z39paged_attention_ll4mi_QKV_mfma16_kernelI14__hip_bfloat16hLN4vllm18Fp8KVCacheDataTypeE1ES0_Li16ELi64ELi256ELb1ELi12EL8MFMAType1EEvPKT_PKT0_S9_ifPKiSB_SB_iPKfiiiPfSE_PS4_PT2_iSD_SD_.kd
    .uniform_work_group_size: 1
    .uses_dynamic_stack: false
    .vgpr_count:     124
    .vgpr_spill_count: 0
    .wavefront_size: 32
    .workgroup_processor_mode: 1
  - .args:
      - .actual_access:  read_only
        .address_space:  global
        .offset:         0
        .size:           8
        .value_kind:     global_buffer
      - .actual_access:  read_only
        .address_space:  global
        .offset:         8
        .size:           8
        .value_kind:     global_buffer
      - .actual_access:  read_only
        .address_space:  global
        .offset:         16
        .size:           8
        .value_kind:     global_buffer
      - .offset:         24
        .size:           4
        .value_kind:     by_value
      - .offset:         28
        .size:           4
        .value_kind:     by_value
      - .actual_access:  read_only
        .address_space:  global
        .offset:         32
        .size:           8
        .value_kind:     global_buffer
      - .actual_access:  read_only
        .address_space:  global
        .offset:         40
        .size:           8
        .value_kind:     global_buffer
      - .actual_access:  read_only
        .address_space:  global
        .offset:         48
        .size:           8
        .value_kind:     global_buffer
      - .offset:         56
        .size:           4
        .value_kind:     by_value
      - .actual_access:  read_only
        .address_space:  global
        .offset:         64
        .size:           8
        .value_kind:     global_buffer
      - .offset:         72
        .size:           4
        .value_kind:     by_value
      - .offset:         76
        .size:           4
        .value_kind:     by_value
      - .offset:         80
        .size:           4
        .value_kind:     by_value
      - .actual_access:  write_only
        .address_space:  global
        .offset:         88
        .size:           8
        .value_kind:     global_buffer
      - .actual_access:  write_only
        .address_space:  global
        .offset:         96
        .size:           8
        .value_kind:     global_buffer
      - .actual_access:  write_only
        .address_space:  global
        .offset:         104
        .size:           8
        .value_kind:     global_buffer
      - .actual_access:  read_only
        .address_space:  global
        .offset:         112
        .size:           8
        .value_kind:     global_buffer
      - .offset:         120
        .size:           4
        .value_kind:     by_value
      - .address_space:  global
        .offset:         128
        .size:           8
        .value_kind:     global_buffer
      - .address_space:  global
        .offset:         136
        .size:           8
        .value_kind:     global_buffer
      - .offset:         144
        .size:           4
        .value_kind:     hidden_block_count_x
      - .offset:         148
        .size:           4
        .value_kind:     hidden_block_count_y
      - .offset:         152
        .size:           4
        .value_kind:     hidden_block_count_z
      - .offset:         156
        .size:           2
        .value_kind:     hidden_group_size_x
      - .offset:         158
        .size:           2
        .value_kind:     hidden_group_size_y
      - .offset:         160
        .size:           2
        .value_kind:     hidden_group_size_z
      - .offset:         162
        .size:           2
        .value_kind:     hidden_remainder_x
      - .offset:         164
        .size:           2
        .value_kind:     hidden_remainder_y
      - .offset:         166
        .size:           2
        .value_kind:     hidden_remainder_z
      - .offset:         184
        .size:           8
        .value_kind:     hidden_global_offset_x
      - .offset:         192
        .size:           8
        .value_kind:     hidden_global_offset_y
      - .offset:         200
        .size:           8
        .value_kind:     hidden_global_offset_z
      - .offset:         208
        .size:           2
        .value_kind:     hidden_grid_dims
    .group_segment_fixed_size: 17472
    .kernarg_segment_align: 8
    .kernarg_segment_size: 400
    .language:       OpenCL C
    .language_version:
      - 2
      - 0
    .max_flat_workgroup_size: 256
    .name:           _Z39paged_attention_ll4mi_QKV_mfma16_kernelI14__hip_bfloat16hLN4vllm18Fp8KVCacheDataTypeE1ES0_Li16ELi64ELi256ELb1ELi13EL8MFMAType1EEvPKT_PKT0_S9_ifPKiSB_SB_iPKfiiiPfSE_PS4_PT2_iSD_SD_
    .private_segment_fixed_size: 0
    .sgpr_count:     42
    .sgpr_spill_count: 0
    .symbol:         _Z39paged_attention_ll4mi_QKV_mfma16_kernelI14__hip_bfloat16hLN4vllm18Fp8KVCacheDataTypeE1ES0_Li16ELi64ELi256ELb1ELi13EL8MFMAType1EEvPKT_PKT0_S9_ifPKiSB_SB_iPKfiiiPfSE_PS4_PT2_iSD_SD_.kd
    .uniform_work_group_size: 1
    .uses_dynamic_stack: false
    .vgpr_count:     124
    .vgpr_spill_count: 0
    .wavefront_size: 32
    .workgroup_processor_mode: 1
  - .args:
      - .actual_access:  read_only
        .address_space:  global
        .offset:         0
        .size:           8
        .value_kind:     global_buffer
      - .actual_access:  read_only
        .address_space:  global
        .offset:         8
        .size:           8
        .value_kind:     global_buffer
      - .actual_access:  read_only
        .address_space:  global
        .offset:         16
        .size:           8
        .value_kind:     global_buffer
      - .offset:         24
        .size:           4
        .value_kind:     by_value
      - .offset:         28
        .size:           4
        .value_kind:     by_value
      - .actual_access:  read_only
        .address_space:  global
        .offset:         32
        .size:           8
        .value_kind:     global_buffer
      - .actual_access:  read_only
        .address_space:  global
        .offset:         40
        .size:           8
        .value_kind:     global_buffer
      - .actual_access:  read_only
        .address_space:  global
        .offset:         48
        .size:           8
        .value_kind:     global_buffer
      - .offset:         56
        .size:           4
        .value_kind:     by_value
      - .actual_access:  read_only
        .address_space:  global
        .offset:         64
        .size:           8
        .value_kind:     global_buffer
      - .offset:         72
        .size:           4
        .value_kind:     by_value
      - .offset:         76
        .size:           4
        .value_kind:     by_value
      - .offset:         80
        .size:           4
        .value_kind:     by_value
      - .actual_access:  write_only
        .address_space:  global
        .offset:         88
        .size:           8
        .value_kind:     global_buffer
      - .actual_access:  write_only
        .address_space:  global
        .offset:         96
        .size:           8
        .value_kind:     global_buffer
      - .actual_access:  write_only
        .address_space:  global
        .offset:         104
        .size:           8
        .value_kind:     global_buffer
      - .actual_access:  read_only
        .address_space:  global
        .offset:         112
        .size:           8
        .value_kind:     global_buffer
      - .offset:         120
        .size:           4
        .value_kind:     by_value
      - .address_space:  global
        .offset:         128
        .size:           8
        .value_kind:     global_buffer
      - .address_space:  global
        .offset:         136
        .size:           8
        .value_kind:     global_buffer
      - .offset:         144
        .size:           4
        .value_kind:     hidden_block_count_x
      - .offset:         148
        .size:           4
        .value_kind:     hidden_block_count_y
      - .offset:         152
        .size:           4
        .value_kind:     hidden_block_count_z
      - .offset:         156
        .size:           2
        .value_kind:     hidden_group_size_x
      - .offset:         158
        .size:           2
        .value_kind:     hidden_group_size_y
      - .offset:         160
        .size:           2
        .value_kind:     hidden_group_size_z
      - .offset:         162
        .size:           2
        .value_kind:     hidden_remainder_x
      - .offset:         164
        .size:           2
        .value_kind:     hidden_remainder_y
      - .offset:         166
        .size:           2
        .value_kind:     hidden_remainder_z
      - .offset:         184
        .size:           8
        .value_kind:     hidden_global_offset_x
      - .offset:         192
        .size:           8
        .value_kind:     hidden_global_offset_y
      - .offset:         200
        .size:           8
        .value_kind:     hidden_global_offset_z
      - .offset:         208
        .size:           2
        .value_kind:     hidden_grid_dims
    .group_segment_fixed_size: 17472
    .kernarg_segment_align: 8
    .kernarg_segment_size: 400
    .language:       OpenCL C
    .language_version:
      - 2
      - 0
    .max_flat_workgroup_size: 256
    .name:           _Z39paged_attention_ll4mi_QKV_mfma16_kernelI14__hip_bfloat16hLN4vllm18Fp8KVCacheDataTypeE1ES0_Li16ELi64ELi256ELb1ELi14EL8MFMAType1EEvPKT_PKT0_S9_ifPKiSB_SB_iPKfiiiPfSE_PS4_PT2_iSD_SD_
    .private_segment_fixed_size: 0
    .sgpr_count:     40
    .sgpr_spill_count: 0
    .symbol:         _Z39paged_attention_ll4mi_QKV_mfma16_kernelI14__hip_bfloat16hLN4vllm18Fp8KVCacheDataTypeE1ES0_Li16ELi64ELi256ELb1ELi14EL8MFMAType1EEvPKT_PKT0_S9_ifPKiSB_SB_iPKfiiiPfSE_PS4_PT2_iSD_SD_.kd
    .uniform_work_group_size: 1
    .uses_dynamic_stack: false
    .vgpr_count:     124
    .vgpr_spill_count: 0
    .wavefront_size: 32
    .workgroup_processor_mode: 1
  - .args:
      - .actual_access:  read_only
        .address_space:  global
        .offset:         0
        .size:           8
        .value_kind:     global_buffer
      - .actual_access:  read_only
        .address_space:  global
        .offset:         8
        .size:           8
        .value_kind:     global_buffer
      - .actual_access:  read_only
        .address_space:  global
        .offset:         16
        .size:           8
        .value_kind:     global_buffer
      - .offset:         24
        .size:           4
        .value_kind:     by_value
      - .offset:         28
        .size:           4
        .value_kind:     by_value
      - .actual_access:  read_only
        .address_space:  global
        .offset:         32
        .size:           8
        .value_kind:     global_buffer
      - .actual_access:  read_only
        .address_space:  global
        .offset:         40
        .size:           8
        .value_kind:     global_buffer
      - .actual_access:  read_only
        .address_space:  global
        .offset:         48
        .size:           8
        .value_kind:     global_buffer
      - .offset:         56
        .size:           4
        .value_kind:     by_value
      - .actual_access:  read_only
        .address_space:  global
        .offset:         64
        .size:           8
        .value_kind:     global_buffer
      - .offset:         72
        .size:           4
        .value_kind:     by_value
      - .offset:         76
        .size:           4
        .value_kind:     by_value
      - .offset:         80
        .size:           4
        .value_kind:     by_value
      - .actual_access:  write_only
        .address_space:  global
        .offset:         88
        .size:           8
        .value_kind:     global_buffer
      - .actual_access:  write_only
        .address_space:  global
        .offset:         96
        .size:           8
        .value_kind:     global_buffer
      - .actual_access:  write_only
        .address_space:  global
        .offset:         104
        .size:           8
        .value_kind:     global_buffer
      - .actual_access:  read_only
        .address_space:  global
        .offset:         112
        .size:           8
        .value_kind:     global_buffer
      - .offset:         120
        .size:           4
        .value_kind:     by_value
      - .address_space:  global
        .offset:         128
        .size:           8
        .value_kind:     global_buffer
      - .address_space:  global
        .offset:         136
        .size:           8
        .value_kind:     global_buffer
      - .offset:         144
        .size:           4
        .value_kind:     hidden_block_count_x
      - .offset:         148
        .size:           4
        .value_kind:     hidden_block_count_y
      - .offset:         152
        .size:           4
        .value_kind:     hidden_block_count_z
      - .offset:         156
        .size:           2
        .value_kind:     hidden_group_size_x
      - .offset:         158
        .size:           2
        .value_kind:     hidden_group_size_y
      - .offset:         160
        .size:           2
        .value_kind:     hidden_group_size_z
      - .offset:         162
        .size:           2
        .value_kind:     hidden_remainder_x
      - .offset:         164
        .size:           2
        .value_kind:     hidden_remainder_y
      - .offset:         166
        .size:           2
        .value_kind:     hidden_remainder_z
      - .offset:         184
        .size:           8
        .value_kind:     hidden_global_offset_x
      - .offset:         192
        .size:           8
        .value_kind:     hidden_global_offset_y
      - .offset:         200
        .size:           8
        .value_kind:     hidden_global_offset_z
      - .offset:         208
        .size:           2
        .value_kind:     hidden_grid_dims
    .group_segment_fixed_size: 17472
    .kernarg_segment_align: 8
    .kernarg_segment_size: 400
    .language:       OpenCL C
    .language_version:
      - 2
      - 0
    .max_flat_workgroup_size: 256
    .name:           _Z39paged_attention_ll4mi_QKV_mfma16_kernelI14__hip_bfloat16hLN4vllm18Fp8KVCacheDataTypeE1ES0_Li16ELi64ELi256ELb1ELi15EL8MFMAType1EEvPKT_PKT0_S9_ifPKiSB_SB_iPKfiiiPfSE_PS4_PT2_iSD_SD_
    .private_segment_fixed_size: 0
    .sgpr_count:     42
    .sgpr_spill_count: 0
    .symbol:         _Z39paged_attention_ll4mi_QKV_mfma16_kernelI14__hip_bfloat16hLN4vllm18Fp8KVCacheDataTypeE1ES0_Li16ELi64ELi256ELb1ELi15EL8MFMAType1EEvPKT_PKT0_S9_ifPKiSB_SB_iPKfiiiPfSE_PS4_PT2_iSD_SD_.kd
    .uniform_work_group_size: 1
    .uses_dynamic_stack: false
    .vgpr_count:     124
    .vgpr_spill_count: 0
    .wavefront_size: 32
    .workgroup_processor_mode: 1
  - .args:
      - .actual_access:  read_only
        .address_space:  global
        .offset:         0
        .size:           8
        .value_kind:     global_buffer
      - .actual_access:  read_only
        .address_space:  global
        .offset:         8
        .size:           8
        .value_kind:     global_buffer
      - .actual_access:  read_only
        .address_space:  global
        .offset:         16
        .size:           8
        .value_kind:     global_buffer
      - .offset:         24
        .size:           4
        .value_kind:     by_value
      - .offset:         28
        .size:           4
        .value_kind:     by_value
      - .actual_access:  read_only
        .address_space:  global
        .offset:         32
        .size:           8
        .value_kind:     global_buffer
      - .actual_access:  read_only
        .address_space:  global
        .offset:         40
        .size:           8
        .value_kind:     global_buffer
      - .actual_access:  read_only
        .address_space:  global
        .offset:         48
        .size:           8
        .value_kind:     global_buffer
      - .offset:         56
        .size:           4
        .value_kind:     by_value
      - .actual_access:  read_only
        .address_space:  global
        .offset:         64
        .size:           8
        .value_kind:     global_buffer
      - .offset:         72
        .size:           4
        .value_kind:     by_value
      - .offset:         76
        .size:           4
        .value_kind:     by_value
      - .offset:         80
        .size:           4
        .value_kind:     by_value
      - .actual_access:  write_only
        .address_space:  global
        .offset:         88
        .size:           8
        .value_kind:     global_buffer
      - .actual_access:  write_only
        .address_space:  global
        .offset:         96
        .size:           8
        .value_kind:     global_buffer
      - .actual_access:  write_only
        .address_space:  global
        .offset:         104
        .size:           8
        .value_kind:     global_buffer
      - .actual_access:  read_only
        .address_space:  global
        .offset:         112
        .size:           8
        .value_kind:     global_buffer
      - .offset:         120
        .size:           4
        .value_kind:     by_value
      - .address_space:  global
        .offset:         128
        .size:           8
        .value_kind:     global_buffer
      - .address_space:  global
        .offset:         136
        .size:           8
        .value_kind:     global_buffer
      - .offset:         144
        .size:           4
        .value_kind:     hidden_block_count_x
      - .offset:         148
        .size:           4
        .value_kind:     hidden_block_count_y
      - .offset:         152
        .size:           4
        .value_kind:     hidden_block_count_z
      - .offset:         156
        .size:           2
        .value_kind:     hidden_group_size_x
      - .offset:         158
        .size:           2
        .value_kind:     hidden_group_size_y
      - .offset:         160
        .size:           2
        .value_kind:     hidden_group_size_z
      - .offset:         162
        .size:           2
        .value_kind:     hidden_remainder_x
      - .offset:         164
        .size:           2
        .value_kind:     hidden_remainder_y
      - .offset:         166
        .size:           2
        .value_kind:     hidden_remainder_z
      - .offset:         184
        .size:           8
        .value_kind:     hidden_global_offset_x
      - .offset:         192
        .size:           8
        .value_kind:     hidden_global_offset_y
      - .offset:         200
        .size:           8
        .value_kind:     hidden_global_offset_z
      - .offset:         208
        .size:           2
        .value_kind:     hidden_grid_dims
    .group_segment_fixed_size: 17472
    .kernarg_segment_align: 8
    .kernarg_segment_size: 400
    .language:       OpenCL C
    .language_version:
      - 2
      - 0
    .max_flat_workgroup_size: 256
    .name:           _Z39paged_attention_ll4mi_QKV_mfma16_kernelI14__hip_bfloat16hLN4vllm18Fp8KVCacheDataTypeE1ES0_Li16ELi64ELi256ELb1ELi16EL8MFMAType1EEvPKT_PKT0_S9_ifPKiSB_SB_iPKfiiiPfSE_PS4_PT2_iSD_SD_
    .private_segment_fixed_size: 0
    .sgpr_count:     40
    .sgpr_spill_count: 0
    .symbol:         _Z39paged_attention_ll4mi_QKV_mfma16_kernelI14__hip_bfloat16hLN4vllm18Fp8KVCacheDataTypeE1ES0_Li16ELi64ELi256ELb1ELi16EL8MFMAType1EEvPKT_PKT0_S9_ifPKiSB_SB_iPKfiiiPfSE_PS4_PT2_iSD_SD_.kd
    .uniform_work_group_size: 1
    .uses_dynamic_stack: false
    .vgpr_count:     125
    .vgpr_spill_count: 0
    .wavefront_size: 32
    .workgroup_processor_mode: 1
  - .args:
      - .actual_access:  read_only
        .address_space:  global
        .offset:         0
        .size:           8
        .value_kind:     global_buffer
      - .actual_access:  read_only
        .address_space:  global
        .offset:         8
        .size:           8
        .value_kind:     global_buffer
      - .actual_access:  read_only
        .address_space:  global
        .offset:         16
        .size:           8
        .value_kind:     global_buffer
      - .offset:         24
        .size:           4
        .value_kind:     by_value
      - .offset:         28
        .size:           4
        .value_kind:     by_value
      - .actual_access:  read_only
        .address_space:  global
        .offset:         32
        .size:           8
        .value_kind:     global_buffer
      - .actual_access:  read_only
        .address_space:  global
        .offset:         40
        .size:           8
        .value_kind:     global_buffer
      - .actual_access:  read_only
        .address_space:  global
        .offset:         48
        .size:           8
        .value_kind:     global_buffer
      - .offset:         56
        .size:           4
        .value_kind:     by_value
      - .actual_access:  read_only
        .address_space:  global
        .offset:         64
        .size:           8
        .value_kind:     global_buffer
      - .offset:         72
        .size:           4
        .value_kind:     by_value
      - .offset:         76
        .size:           4
        .value_kind:     by_value
      - .offset:         80
        .size:           4
        .value_kind:     by_value
      - .actual_access:  write_only
        .address_space:  global
        .offset:         88
        .size:           8
        .value_kind:     global_buffer
      - .actual_access:  write_only
        .address_space:  global
        .offset:         96
        .size:           8
        .value_kind:     global_buffer
      - .actual_access:  write_only
        .address_space:  global
        .offset:         104
        .size:           8
        .value_kind:     global_buffer
      - .actual_access:  read_only
        .address_space:  global
        .offset:         112
        .size:           8
        .value_kind:     global_buffer
      - .offset:         120
        .size:           4
        .value_kind:     by_value
      - .address_space:  global
        .offset:         128
        .size:           8
        .value_kind:     global_buffer
      - .address_space:  global
        .offset:         136
        .size:           8
        .value_kind:     global_buffer
      - .offset:         144
        .size:           4
        .value_kind:     hidden_block_count_x
      - .offset:         148
        .size:           4
        .value_kind:     hidden_block_count_y
      - .offset:         152
        .size:           4
        .value_kind:     hidden_block_count_z
      - .offset:         156
        .size:           2
        .value_kind:     hidden_group_size_x
      - .offset:         158
        .size:           2
        .value_kind:     hidden_group_size_y
      - .offset:         160
        .size:           2
        .value_kind:     hidden_group_size_z
      - .offset:         162
        .size:           2
        .value_kind:     hidden_remainder_x
      - .offset:         164
        .size:           2
        .value_kind:     hidden_remainder_y
      - .offset:         166
        .size:           2
        .value_kind:     hidden_remainder_z
      - .offset:         184
        .size:           8
        .value_kind:     hidden_global_offset_x
      - .offset:         192
        .size:           8
        .value_kind:     hidden_global_offset_y
      - .offset:         200
        .size:           8
        .value_kind:     hidden_global_offset_z
      - .offset:         208
        .size:           2
        .value_kind:     hidden_grid_dims
    .group_segment_fixed_size: 17472
    .kernarg_segment_align: 8
    .kernarg_segment_size: 400
    .language:       OpenCL C
    .language_version:
      - 2
      - 0
    .max_flat_workgroup_size: 256
    .name:           _Z39paged_attention_ll4mi_QKV_mfma16_kernelI14__hip_bfloat16hLN4vllm18Fp8KVCacheDataTypeE1ES0_Li16ELi64ELi256ELb1ELi1EL8MFMAType1EEvPKT_PKT0_S9_ifPKiSB_SB_iPKfiiiPfSE_PS4_PT2_iSD_SD_
    .private_segment_fixed_size: 0
    .sgpr_count:     50
    .sgpr_spill_count: 0
    .symbol:         _Z39paged_attention_ll4mi_QKV_mfma16_kernelI14__hip_bfloat16hLN4vllm18Fp8KVCacheDataTypeE1ES0_Li16ELi64ELi256ELb1ELi1EL8MFMAType1EEvPKT_PKT0_S9_ifPKiSB_SB_iPKfiiiPfSE_PS4_PT2_iSD_SD_.kd
    .uniform_work_group_size: 1
    .uses_dynamic_stack: false
    .vgpr_count:     131
    .vgpr_spill_count: 0
    .wavefront_size: 32
    .workgroup_processor_mode: 1
  - .args:
      - .actual_access:  read_only
        .address_space:  global
        .offset:         0
        .size:           8
        .value_kind:     global_buffer
      - .actual_access:  read_only
        .address_space:  global
        .offset:         8
        .size:           8
        .value_kind:     global_buffer
      - .actual_access:  read_only
        .address_space:  global
        .offset:         16
        .size:           8
        .value_kind:     global_buffer
      - .offset:         24
        .size:           4
        .value_kind:     by_value
      - .offset:         28
        .size:           4
        .value_kind:     by_value
      - .actual_access:  read_only
        .address_space:  global
        .offset:         32
        .size:           8
        .value_kind:     global_buffer
      - .actual_access:  read_only
        .address_space:  global
        .offset:         40
        .size:           8
        .value_kind:     global_buffer
      - .actual_access:  read_only
        .address_space:  global
        .offset:         48
        .size:           8
        .value_kind:     global_buffer
      - .offset:         56
        .size:           4
        .value_kind:     by_value
      - .actual_access:  read_only
        .address_space:  global
        .offset:         64
        .size:           8
        .value_kind:     global_buffer
      - .offset:         72
        .size:           4
        .value_kind:     by_value
      - .offset:         76
        .size:           4
        .value_kind:     by_value
      - .offset:         80
        .size:           4
        .value_kind:     by_value
      - .actual_access:  write_only
        .address_space:  global
        .offset:         88
        .size:           8
        .value_kind:     global_buffer
      - .actual_access:  write_only
        .address_space:  global
        .offset:         96
        .size:           8
        .value_kind:     global_buffer
      - .actual_access:  write_only
        .address_space:  global
        .offset:         104
        .size:           8
        .value_kind:     global_buffer
      - .actual_access:  read_only
        .address_space:  global
        .offset:         112
        .size:           8
        .value_kind:     global_buffer
      - .offset:         120
        .size:           4
        .value_kind:     by_value
      - .address_space:  global
        .offset:         128
        .size:           8
        .value_kind:     global_buffer
      - .address_space:  global
        .offset:         136
        .size:           8
        .value_kind:     global_buffer
      - .offset:         144
        .size:           4
        .value_kind:     hidden_block_count_x
      - .offset:         148
        .size:           4
        .value_kind:     hidden_block_count_y
      - .offset:         152
        .size:           4
        .value_kind:     hidden_block_count_z
      - .offset:         156
        .size:           2
        .value_kind:     hidden_group_size_x
      - .offset:         158
        .size:           2
        .value_kind:     hidden_group_size_y
      - .offset:         160
        .size:           2
        .value_kind:     hidden_group_size_z
      - .offset:         162
        .size:           2
        .value_kind:     hidden_remainder_x
      - .offset:         164
        .size:           2
        .value_kind:     hidden_remainder_y
      - .offset:         166
        .size:           2
        .value_kind:     hidden_remainder_z
      - .offset:         184
        .size:           8
        .value_kind:     hidden_global_offset_x
      - .offset:         192
        .size:           8
        .value_kind:     hidden_global_offset_y
      - .offset:         200
        .size:           8
        .value_kind:     hidden_global_offset_z
      - .offset:         208
        .size:           2
        .value_kind:     hidden_grid_dims
    .group_segment_fixed_size: 17472
    .kernarg_segment_align: 8
    .kernarg_segment_size: 400
    .language:       OpenCL C
    .language_version:
      - 2
      - 0
    .max_flat_workgroup_size: 256
    .name:           _Z39paged_attention_ll4mi_QKV_mfma16_kernelI14__hip_bfloat16hLN4vllm18Fp8KVCacheDataTypeE1ES0_Li16ELi64ELi256ELb1ELi2EL8MFMAType1EEvPKT_PKT0_S9_ifPKiSB_SB_iPKfiiiPfSE_PS4_PT2_iSD_SD_
    .private_segment_fixed_size: 0
    .sgpr_count:     40
    .sgpr_spill_count: 0
    .symbol:         _Z39paged_attention_ll4mi_QKV_mfma16_kernelI14__hip_bfloat16hLN4vllm18Fp8KVCacheDataTypeE1ES0_Li16ELi64ELi256ELb1ELi2EL8MFMAType1EEvPKT_PKT0_S9_ifPKiSB_SB_iPKfiiiPfSE_PS4_PT2_iSD_SD_.kd
    .uniform_work_group_size: 1
    .uses_dynamic_stack: false
    .vgpr_count:     125
    .vgpr_spill_count: 0
    .wavefront_size: 32
    .workgroup_processor_mode: 1
  - .args:
      - .actual_access:  read_only
        .address_space:  global
        .offset:         0
        .size:           8
        .value_kind:     global_buffer
      - .actual_access:  read_only
        .address_space:  global
        .offset:         8
        .size:           8
        .value_kind:     global_buffer
      - .actual_access:  read_only
        .address_space:  global
        .offset:         16
        .size:           8
        .value_kind:     global_buffer
      - .offset:         24
        .size:           4
        .value_kind:     by_value
      - .offset:         28
        .size:           4
        .value_kind:     by_value
      - .actual_access:  read_only
        .address_space:  global
        .offset:         32
        .size:           8
        .value_kind:     global_buffer
      - .actual_access:  read_only
        .address_space:  global
        .offset:         40
        .size:           8
        .value_kind:     global_buffer
      - .actual_access:  read_only
        .address_space:  global
        .offset:         48
        .size:           8
        .value_kind:     global_buffer
      - .offset:         56
        .size:           4
        .value_kind:     by_value
      - .actual_access:  read_only
        .address_space:  global
        .offset:         64
        .size:           8
        .value_kind:     global_buffer
      - .offset:         72
        .size:           4
        .value_kind:     by_value
      - .offset:         76
        .size:           4
        .value_kind:     by_value
      - .offset:         80
        .size:           4
        .value_kind:     by_value
      - .actual_access:  write_only
        .address_space:  global
        .offset:         88
        .size:           8
        .value_kind:     global_buffer
      - .actual_access:  write_only
        .address_space:  global
        .offset:         96
        .size:           8
        .value_kind:     global_buffer
      - .actual_access:  write_only
        .address_space:  global
        .offset:         104
        .size:           8
        .value_kind:     global_buffer
      - .actual_access:  read_only
        .address_space:  global
        .offset:         112
        .size:           8
        .value_kind:     global_buffer
      - .offset:         120
        .size:           4
        .value_kind:     by_value
      - .address_space:  global
        .offset:         128
        .size:           8
        .value_kind:     global_buffer
      - .address_space:  global
        .offset:         136
        .size:           8
        .value_kind:     global_buffer
      - .offset:         144
        .size:           4
        .value_kind:     hidden_block_count_x
      - .offset:         148
        .size:           4
        .value_kind:     hidden_block_count_y
      - .offset:         152
        .size:           4
        .value_kind:     hidden_block_count_z
      - .offset:         156
        .size:           2
        .value_kind:     hidden_group_size_x
      - .offset:         158
        .size:           2
        .value_kind:     hidden_group_size_y
      - .offset:         160
        .size:           2
        .value_kind:     hidden_group_size_z
      - .offset:         162
        .size:           2
        .value_kind:     hidden_remainder_x
      - .offset:         164
        .size:           2
        .value_kind:     hidden_remainder_y
      - .offset:         166
        .size:           2
        .value_kind:     hidden_remainder_z
      - .offset:         184
        .size:           8
        .value_kind:     hidden_global_offset_x
      - .offset:         192
        .size:           8
        .value_kind:     hidden_global_offset_y
      - .offset:         200
        .size:           8
        .value_kind:     hidden_global_offset_z
      - .offset:         208
        .size:           2
        .value_kind:     hidden_grid_dims
    .group_segment_fixed_size: 17472
    .kernarg_segment_align: 8
    .kernarg_segment_size: 400
    .language:       OpenCL C
    .language_version:
      - 2
      - 0
    .max_flat_workgroup_size: 256
    .name:           _Z39paged_attention_ll4mi_QKV_mfma16_kernelI14__hip_bfloat16hLN4vllm18Fp8KVCacheDataTypeE1ES0_Li16ELi64ELi256ELb1ELi3EL8MFMAType1EEvPKT_PKT0_S9_ifPKiSB_SB_iPKfiiiPfSE_PS4_PT2_iSD_SD_
    .private_segment_fixed_size: 0
    .sgpr_count:     42
    .sgpr_spill_count: 0
    .symbol:         _Z39paged_attention_ll4mi_QKV_mfma16_kernelI14__hip_bfloat16hLN4vllm18Fp8KVCacheDataTypeE1ES0_Li16ELi64ELi256ELb1ELi3EL8MFMAType1EEvPKT_PKT0_S9_ifPKiSB_SB_iPKfiiiPfSE_PS4_PT2_iSD_SD_.kd
    .uniform_work_group_size: 1
    .uses_dynamic_stack: false
    .vgpr_count:     124
    .vgpr_spill_count: 0
    .wavefront_size: 32
    .workgroup_processor_mode: 1
  - .args:
      - .actual_access:  read_only
        .address_space:  global
        .offset:         0
        .size:           8
        .value_kind:     global_buffer
      - .actual_access:  read_only
        .address_space:  global
        .offset:         8
        .size:           8
        .value_kind:     global_buffer
      - .actual_access:  read_only
        .address_space:  global
        .offset:         16
        .size:           8
        .value_kind:     global_buffer
      - .offset:         24
        .size:           4
        .value_kind:     by_value
      - .offset:         28
        .size:           4
        .value_kind:     by_value
      - .actual_access:  read_only
        .address_space:  global
        .offset:         32
        .size:           8
        .value_kind:     global_buffer
      - .actual_access:  read_only
        .address_space:  global
        .offset:         40
        .size:           8
        .value_kind:     global_buffer
      - .actual_access:  read_only
        .address_space:  global
        .offset:         48
        .size:           8
        .value_kind:     global_buffer
      - .offset:         56
        .size:           4
        .value_kind:     by_value
      - .actual_access:  read_only
        .address_space:  global
        .offset:         64
        .size:           8
        .value_kind:     global_buffer
      - .offset:         72
        .size:           4
        .value_kind:     by_value
      - .offset:         76
        .size:           4
        .value_kind:     by_value
      - .offset:         80
        .size:           4
        .value_kind:     by_value
      - .actual_access:  write_only
        .address_space:  global
        .offset:         88
        .size:           8
        .value_kind:     global_buffer
      - .actual_access:  write_only
        .address_space:  global
        .offset:         96
        .size:           8
        .value_kind:     global_buffer
      - .actual_access:  write_only
        .address_space:  global
        .offset:         104
        .size:           8
        .value_kind:     global_buffer
      - .actual_access:  read_only
        .address_space:  global
        .offset:         112
        .size:           8
        .value_kind:     global_buffer
      - .offset:         120
        .size:           4
        .value_kind:     by_value
      - .address_space:  global
        .offset:         128
        .size:           8
        .value_kind:     global_buffer
      - .address_space:  global
        .offset:         136
        .size:           8
        .value_kind:     global_buffer
      - .offset:         144
        .size:           4
        .value_kind:     hidden_block_count_x
      - .offset:         148
        .size:           4
        .value_kind:     hidden_block_count_y
      - .offset:         152
        .size:           4
        .value_kind:     hidden_block_count_z
      - .offset:         156
        .size:           2
        .value_kind:     hidden_group_size_x
      - .offset:         158
        .size:           2
        .value_kind:     hidden_group_size_y
      - .offset:         160
        .size:           2
        .value_kind:     hidden_group_size_z
      - .offset:         162
        .size:           2
        .value_kind:     hidden_remainder_x
      - .offset:         164
        .size:           2
        .value_kind:     hidden_remainder_y
      - .offset:         166
        .size:           2
        .value_kind:     hidden_remainder_z
      - .offset:         184
        .size:           8
        .value_kind:     hidden_global_offset_x
      - .offset:         192
        .size:           8
        .value_kind:     hidden_global_offset_y
      - .offset:         200
        .size:           8
        .value_kind:     hidden_global_offset_z
      - .offset:         208
        .size:           2
        .value_kind:     hidden_grid_dims
    .group_segment_fixed_size: 17472
    .kernarg_segment_align: 8
    .kernarg_segment_size: 400
    .language:       OpenCL C
    .language_version:
      - 2
      - 0
    .max_flat_workgroup_size: 256
    .name:           _Z39paged_attention_ll4mi_QKV_mfma16_kernelI14__hip_bfloat16hLN4vllm18Fp8KVCacheDataTypeE1ES0_Li16ELi64ELi256ELb1ELi4EL8MFMAType1EEvPKT_PKT0_S9_ifPKiSB_SB_iPKfiiiPfSE_PS4_PT2_iSD_SD_
    .private_segment_fixed_size: 0
    .sgpr_count:     40
    .sgpr_spill_count: 0
    .symbol:         _Z39paged_attention_ll4mi_QKV_mfma16_kernelI14__hip_bfloat16hLN4vllm18Fp8KVCacheDataTypeE1ES0_Li16ELi64ELi256ELb1ELi4EL8MFMAType1EEvPKT_PKT0_S9_ifPKiSB_SB_iPKfiiiPfSE_PS4_PT2_iSD_SD_.kd
    .uniform_work_group_size: 1
    .uses_dynamic_stack: false
    .vgpr_count:     124
    .vgpr_spill_count: 0
    .wavefront_size: 32
    .workgroup_processor_mode: 1
  - .args:
      - .actual_access:  read_only
        .address_space:  global
        .offset:         0
        .size:           8
        .value_kind:     global_buffer
      - .actual_access:  read_only
        .address_space:  global
        .offset:         8
        .size:           8
        .value_kind:     global_buffer
      - .actual_access:  read_only
        .address_space:  global
        .offset:         16
        .size:           8
        .value_kind:     global_buffer
      - .offset:         24
        .size:           4
        .value_kind:     by_value
      - .offset:         28
        .size:           4
        .value_kind:     by_value
      - .actual_access:  read_only
        .address_space:  global
        .offset:         32
        .size:           8
        .value_kind:     global_buffer
      - .actual_access:  read_only
        .address_space:  global
        .offset:         40
        .size:           8
        .value_kind:     global_buffer
      - .actual_access:  read_only
        .address_space:  global
        .offset:         48
        .size:           8
        .value_kind:     global_buffer
      - .offset:         56
        .size:           4
        .value_kind:     by_value
      - .actual_access:  read_only
        .address_space:  global
        .offset:         64
        .size:           8
        .value_kind:     global_buffer
      - .offset:         72
        .size:           4
        .value_kind:     by_value
      - .offset:         76
        .size:           4
        .value_kind:     by_value
      - .offset:         80
        .size:           4
        .value_kind:     by_value
      - .actual_access:  read_only
        .address_space:  global
        .offset:         88
        .size:           8
        .value_kind:     global_buffer
      - .actual_access:  read_only
        .address_space:  global
        .offset:         96
        .size:           8
        .value_kind:     global_buffer
      - .actual_access:  read_only
        .address_space:  global
        .offset:         104
        .size:           8
        .value_kind:     global_buffer
      - .actual_access:  read_only
        .address_space:  global
        .offset:         112
        .size:           8
        .value_kind:     global_buffer
      - .offset:         120
        .size:           4
        .value_kind:     by_value
      - .address_space:  global
        .offset:         128
        .size:           8
        .value_kind:     global_buffer
      - .address_space:  global
        .offset:         136
        .size:           8
        .value_kind:     global_buffer
      - .offset:         144
        .size:           4
        .value_kind:     hidden_block_count_x
      - .offset:         148
        .size:           4
        .value_kind:     hidden_block_count_y
      - .offset:         152
        .size:           4
        .value_kind:     hidden_block_count_z
      - .offset:         156
        .size:           2
        .value_kind:     hidden_group_size_x
      - .offset:         158
        .size:           2
        .value_kind:     hidden_group_size_y
      - .offset:         160
        .size:           2
        .value_kind:     hidden_group_size_z
      - .offset:         162
        .size:           2
        .value_kind:     hidden_remainder_x
      - .offset:         164
        .size:           2
        .value_kind:     hidden_remainder_y
      - .offset:         166
        .size:           2
        .value_kind:     hidden_remainder_z
      - .offset:         184
        .size:           8
        .value_kind:     hidden_global_offset_x
      - .offset:         192
        .size:           8
        .value_kind:     hidden_global_offset_y
      - .offset:         200
        .size:           8
        .value_kind:     hidden_global_offset_z
      - .offset:         208
        .size:           2
        .value_kind:     hidden_grid_dims
      - .offset:         224
        .size:           8
        .value_kind:     hidden_hostcall_buffer
    .group_segment_fixed_size: 0
    .kernarg_segment_align: 8
    .kernarg_segment_size: 400
    .language:       OpenCL C
    .language_version:
      - 2
      - 0
    .max_flat_workgroup_size: 256
    .name:           _Z38paged_attention_ll4mi_QKV_mfma4_kernelI14__hip_bfloat16hLN4vllm18Fp8KVCacheDataTypeE1ES0_Li16ELi64ELi256ELb0ELi1EEvPKT_PKT0_S8_ifPKiSA_SA_iPKfiiiPfSD_PS3_PT2_iSC_SC_
    .private_segment_fixed_size: 64
    .sgpr_count:     36
    .sgpr_spill_count: 0
    .symbol:         _Z38paged_attention_ll4mi_QKV_mfma4_kernelI14__hip_bfloat16hLN4vllm18Fp8KVCacheDataTypeE1ES0_Li16ELi64ELi256ELb0ELi1EEvPKT_PKT0_S8_ifPKiSA_SA_iPKfiiiPfSD_PS3_PT2_iSC_SC_.kd
    .uniform_work_group_size: 1
    .uses_dynamic_stack: false
    .vgpr_count:     41
    .vgpr_spill_count: 0
    .wavefront_size: 32
    .workgroup_processor_mode: 1
  - .args:
      - .actual_access:  read_only
        .address_space:  global
        .offset:         0
        .size:           8
        .value_kind:     global_buffer
      - .actual_access:  read_only
        .address_space:  global
        .offset:         8
        .size:           8
        .value_kind:     global_buffer
      - .actual_access:  read_only
        .address_space:  global
        .offset:         16
        .size:           8
        .value_kind:     global_buffer
      - .offset:         24
        .size:           4
        .value_kind:     by_value
      - .offset:         28
        .size:           4
        .value_kind:     by_value
      - .actual_access:  read_only
        .address_space:  global
        .offset:         32
        .size:           8
        .value_kind:     global_buffer
      - .actual_access:  read_only
        .address_space:  global
        .offset:         40
        .size:           8
        .value_kind:     global_buffer
      - .actual_access:  read_only
        .address_space:  global
        .offset:         48
        .size:           8
        .value_kind:     global_buffer
      - .offset:         56
        .size:           4
        .value_kind:     by_value
      - .actual_access:  read_only
        .address_space:  global
        .offset:         64
        .size:           8
        .value_kind:     global_buffer
      - .offset:         72
        .size:           4
        .value_kind:     by_value
      - .offset:         76
        .size:           4
        .value_kind:     by_value
      - .offset:         80
        .size:           4
        .value_kind:     by_value
      - .actual_access:  read_only
        .address_space:  global
        .offset:         88
        .size:           8
        .value_kind:     global_buffer
      - .actual_access:  read_only
        .address_space:  global
        .offset:         96
        .size:           8
        .value_kind:     global_buffer
      - .actual_access:  read_only
        .address_space:  global
        .offset:         104
        .size:           8
        .value_kind:     global_buffer
      - .actual_access:  read_only
        .address_space:  global
        .offset:         112
        .size:           8
        .value_kind:     global_buffer
      - .offset:         120
        .size:           4
        .value_kind:     by_value
      - .address_space:  global
        .offset:         128
        .size:           8
        .value_kind:     global_buffer
      - .address_space:  global
        .offset:         136
        .size:           8
        .value_kind:     global_buffer
      - .offset:         144
        .size:           4
        .value_kind:     hidden_block_count_x
      - .offset:         148
        .size:           4
        .value_kind:     hidden_block_count_y
      - .offset:         152
        .size:           4
        .value_kind:     hidden_block_count_z
      - .offset:         156
        .size:           2
        .value_kind:     hidden_group_size_x
      - .offset:         158
        .size:           2
        .value_kind:     hidden_group_size_y
      - .offset:         160
        .size:           2
        .value_kind:     hidden_group_size_z
      - .offset:         162
        .size:           2
        .value_kind:     hidden_remainder_x
      - .offset:         164
        .size:           2
        .value_kind:     hidden_remainder_y
      - .offset:         166
        .size:           2
        .value_kind:     hidden_remainder_z
      - .offset:         184
        .size:           8
        .value_kind:     hidden_global_offset_x
      - .offset:         192
        .size:           8
        .value_kind:     hidden_global_offset_y
      - .offset:         200
        .size:           8
        .value_kind:     hidden_global_offset_z
      - .offset:         208
        .size:           2
        .value_kind:     hidden_grid_dims
      - .offset:         224
        .size:           8
        .value_kind:     hidden_hostcall_buffer
    .group_segment_fixed_size: 0
    .kernarg_segment_align: 8
    .kernarg_segment_size: 400
    .language:       OpenCL C
    .language_version:
      - 2
      - 0
    .max_flat_workgroup_size: 256
    .name:           _Z38paged_attention_ll4mi_QKV_mfma4_kernelI14__hip_bfloat16hLN4vllm18Fp8KVCacheDataTypeE1ES0_Li16ELi64ELi256ELb0ELi2EEvPKT_PKT0_S8_ifPKiSA_SA_iPKfiiiPfSD_PS3_PT2_iSC_SC_
    .private_segment_fixed_size: 64
    .sgpr_count:     36
    .sgpr_spill_count: 0
    .symbol:         _Z38paged_attention_ll4mi_QKV_mfma4_kernelI14__hip_bfloat16hLN4vllm18Fp8KVCacheDataTypeE1ES0_Li16ELi64ELi256ELb0ELi2EEvPKT_PKT0_S8_ifPKiSA_SA_iPKfiiiPfSD_PS3_PT2_iSC_SC_.kd
    .uniform_work_group_size: 1
    .uses_dynamic_stack: false
    .vgpr_count:     41
    .vgpr_spill_count: 0
    .wavefront_size: 32
    .workgroup_processor_mode: 1
  - .args:
      - .actual_access:  read_only
        .address_space:  global
        .offset:         0
        .size:           8
        .value_kind:     global_buffer
      - .actual_access:  read_only
        .address_space:  global
        .offset:         8
        .size:           8
        .value_kind:     global_buffer
      - .actual_access:  read_only
        .address_space:  global
        .offset:         16
        .size:           8
        .value_kind:     global_buffer
      - .offset:         24
        .size:           4
        .value_kind:     by_value
      - .offset:         28
        .size:           4
        .value_kind:     by_value
      - .actual_access:  read_only
        .address_space:  global
        .offset:         32
        .size:           8
        .value_kind:     global_buffer
      - .actual_access:  read_only
        .address_space:  global
        .offset:         40
        .size:           8
        .value_kind:     global_buffer
      - .actual_access:  read_only
        .address_space:  global
        .offset:         48
        .size:           8
        .value_kind:     global_buffer
      - .offset:         56
        .size:           4
        .value_kind:     by_value
      - .actual_access:  read_only
        .address_space:  global
        .offset:         64
        .size:           8
        .value_kind:     global_buffer
      - .offset:         72
        .size:           4
        .value_kind:     by_value
      - .offset:         76
        .size:           4
        .value_kind:     by_value
      - .offset:         80
        .size:           4
        .value_kind:     by_value
      - .actual_access:  read_only
        .address_space:  global
        .offset:         88
        .size:           8
        .value_kind:     global_buffer
      - .actual_access:  read_only
        .address_space:  global
        .offset:         96
        .size:           8
        .value_kind:     global_buffer
      - .actual_access:  read_only
        .address_space:  global
        .offset:         104
        .size:           8
        .value_kind:     global_buffer
      - .actual_access:  read_only
        .address_space:  global
        .offset:         112
        .size:           8
        .value_kind:     global_buffer
      - .offset:         120
        .size:           4
        .value_kind:     by_value
      - .address_space:  global
        .offset:         128
        .size:           8
        .value_kind:     global_buffer
      - .address_space:  global
        .offset:         136
        .size:           8
        .value_kind:     global_buffer
      - .offset:         144
        .size:           4
        .value_kind:     hidden_block_count_x
      - .offset:         148
        .size:           4
        .value_kind:     hidden_block_count_y
      - .offset:         152
        .size:           4
        .value_kind:     hidden_block_count_z
      - .offset:         156
        .size:           2
        .value_kind:     hidden_group_size_x
      - .offset:         158
        .size:           2
        .value_kind:     hidden_group_size_y
      - .offset:         160
        .size:           2
        .value_kind:     hidden_group_size_z
      - .offset:         162
        .size:           2
        .value_kind:     hidden_remainder_x
      - .offset:         164
        .size:           2
        .value_kind:     hidden_remainder_y
      - .offset:         166
        .size:           2
        .value_kind:     hidden_remainder_z
      - .offset:         184
        .size:           8
        .value_kind:     hidden_global_offset_x
      - .offset:         192
        .size:           8
        .value_kind:     hidden_global_offset_y
      - .offset:         200
        .size:           8
        .value_kind:     hidden_global_offset_z
      - .offset:         208
        .size:           2
        .value_kind:     hidden_grid_dims
      - .offset:         224
        .size:           8
        .value_kind:     hidden_hostcall_buffer
    .group_segment_fixed_size: 0
    .kernarg_segment_align: 8
    .kernarg_segment_size: 400
    .language:       OpenCL C
    .language_version:
      - 2
      - 0
    .max_flat_workgroup_size: 256
    .name:           _Z38paged_attention_ll4mi_QKV_mfma4_kernelI14__hip_bfloat16hLN4vllm18Fp8KVCacheDataTypeE1ES0_Li16ELi64ELi256ELb0ELi3EEvPKT_PKT0_S8_ifPKiSA_SA_iPKfiiiPfSD_PS3_PT2_iSC_SC_
    .private_segment_fixed_size: 64
    .sgpr_count:     36
    .sgpr_spill_count: 0
    .symbol:         _Z38paged_attention_ll4mi_QKV_mfma4_kernelI14__hip_bfloat16hLN4vllm18Fp8KVCacheDataTypeE1ES0_Li16ELi64ELi256ELb0ELi3EEvPKT_PKT0_S8_ifPKiSA_SA_iPKfiiiPfSD_PS3_PT2_iSC_SC_.kd
    .uniform_work_group_size: 1
    .uses_dynamic_stack: false
    .vgpr_count:     41
    .vgpr_spill_count: 0
    .wavefront_size: 32
    .workgroup_processor_mode: 1
  - .args:
      - .actual_access:  read_only
        .address_space:  global
        .offset:         0
        .size:           8
        .value_kind:     global_buffer
      - .actual_access:  read_only
        .address_space:  global
        .offset:         8
        .size:           8
        .value_kind:     global_buffer
      - .actual_access:  read_only
        .address_space:  global
        .offset:         16
        .size:           8
        .value_kind:     global_buffer
      - .offset:         24
        .size:           4
        .value_kind:     by_value
      - .offset:         28
        .size:           4
        .value_kind:     by_value
      - .actual_access:  read_only
        .address_space:  global
        .offset:         32
        .size:           8
        .value_kind:     global_buffer
      - .actual_access:  read_only
        .address_space:  global
        .offset:         40
        .size:           8
        .value_kind:     global_buffer
      - .actual_access:  read_only
        .address_space:  global
        .offset:         48
        .size:           8
        .value_kind:     global_buffer
      - .offset:         56
        .size:           4
        .value_kind:     by_value
      - .actual_access:  read_only
        .address_space:  global
        .offset:         64
        .size:           8
        .value_kind:     global_buffer
      - .offset:         72
        .size:           4
        .value_kind:     by_value
      - .offset:         76
        .size:           4
        .value_kind:     by_value
      - .offset:         80
        .size:           4
        .value_kind:     by_value
      - .actual_access:  read_only
        .address_space:  global
        .offset:         88
        .size:           8
        .value_kind:     global_buffer
      - .actual_access:  read_only
        .address_space:  global
        .offset:         96
        .size:           8
        .value_kind:     global_buffer
      - .actual_access:  read_only
        .address_space:  global
        .offset:         104
        .size:           8
        .value_kind:     global_buffer
      - .actual_access:  read_only
        .address_space:  global
        .offset:         112
        .size:           8
        .value_kind:     global_buffer
      - .offset:         120
        .size:           4
        .value_kind:     by_value
      - .address_space:  global
        .offset:         128
        .size:           8
        .value_kind:     global_buffer
      - .address_space:  global
        .offset:         136
        .size:           8
        .value_kind:     global_buffer
      - .offset:         144
        .size:           4
        .value_kind:     hidden_block_count_x
      - .offset:         148
        .size:           4
        .value_kind:     hidden_block_count_y
      - .offset:         152
        .size:           4
        .value_kind:     hidden_block_count_z
      - .offset:         156
        .size:           2
        .value_kind:     hidden_group_size_x
      - .offset:         158
        .size:           2
        .value_kind:     hidden_group_size_y
      - .offset:         160
        .size:           2
        .value_kind:     hidden_group_size_z
      - .offset:         162
        .size:           2
        .value_kind:     hidden_remainder_x
      - .offset:         164
        .size:           2
        .value_kind:     hidden_remainder_y
      - .offset:         166
        .size:           2
        .value_kind:     hidden_remainder_z
      - .offset:         184
        .size:           8
        .value_kind:     hidden_global_offset_x
      - .offset:         192
        .size:           8
        .value_kind:     hidden_global_offset_y
      - .offset:         200
        .size:           8
        .value_kind:     hidden_global_offset_z
      - .offset:         208
        .size:           2
        .value_kind:     hidden_grid_dims
      - .offset:         224
        .size:           8
        .value_kind:     hidden_hostcall_buffer
    .group_segment_fixed_size: 0
    .kernarg_segment_align: 8
    .kernarg_segment_size: 400
    .language:       OpenCL C
    .language_version:
      - 2
      - 0
    .max_flat_workgroup_size: 256
    .name:           _Z38paged_attention_ll4mi_QKV_mfma4_kernelI14__hip_bfloat16hLN4vllm18Fp8KVCacheDataTypeE1ES0_Li16ELi64ELi256ELb0ELi4EEvPKT_PKT0_S8_ifPKiSA_SA_iPKfiiiPfSD_PS3_PT2_iSC_SC_
    .private_segment_fixed_size: 64
    .sgpr_count:     36
    .sgpr_spill_count: 0
    .symbol:         _Z38paged_attention_ll4mi_QKV_mfma4_kernelI14__hip_bfloat16hLN4vllm18Fp8KVCacheDataTypeE1ES0_Li16ELi64ELi256ELb0ELi4EEvPKT_PKT0_S8_ifPKiSA_SA_iPKfiiiPfSD_PS3_PT2_iSC_SC_.kd
    .uniform_work_group_size: 1
    .uses_dynamic_stack: false
    .vgpr_count:     41
    .vgpr_spill_count: 0
    .wavefront_size: 32
    .workgroup_processor_mode: 1
  - .args:
      - .actual_access:  read_only
        .address_space:  global
        .offset:         0
        .size:           8
        .value_kind:     global_buffer
      - .actual_access:  read_only
        .address_space:  global
        .offset:         8
        .size:           8
        .value_kind:     global_buffer
      - .actual_access:  read_only
        .address_space:  global
        .offset:         16
        .size:           8
        .value_kind:     global_buffer
      - .offset:         24
        .size:           4
        .value_kind:     by_value
      - .offset:         28
        .size:           4
        .value_kind:     by_value
      - .actual_access:  read_only
        .address_space:  global
        .offset:         32
        .size:           8
        .value_kind:     global_buffer
      - .actual_access:  read_only
        .address_space:  global
        .offset:         40
        .size:           8
        .value_kind:     global_buffer
      - .actual_access:  read_only
        .address_space:  global
        .offset:         48
        .size:           8
        .value_kind:     global_buffer
      - .offset:         56
        .size:           4
        .value_kind:     by_value
      - .actual_access:  read_only
        .address_space:  global
        .offset:         64
        .size:           8
        .value_kind:     global_buffer
      - .offset:         72
        .size:           4
        .value_kind:     by_value
      - .offset:         76
        .size:           4
        .value_kind:     by_value
      - .offset:         80
        .size:           4
        .value_kind:     by_value
      - .actual_access:  write_only
        .address_space:  global
        .offset:         88
        .size:           8
        .value_kind:     global_buffer
      - .actual_access:  write_only
        .address_space:  global
        .offset:         96
        .size:           8
        .value_kind:     global_buffer
      - .actual_access:  write_only
        .address_space:  global
        .offset:         104
        .size:           8
        .value_kind:     global_buffer
      - .actual_access:  read_only
        .address_space:  global
        .offset:         112
        .size:           8
        .value_kind:     global_buffer
      - .offset:         120
        .size:           4
        .value_kind:     by_value
      - .address_space:  global
        .offset:         128
        .size:           8
        .value_kind:     global_buffer
      - .address_space:  global
        .offset:         136
        .size:           8
        .value_kind:     global_buffer
      - .offset:         144
        .size:           4
        .value_kind:     hidden_block_count_x
      - .offset:         148
        .size:           4
        .value_kind:     hidden_block_count_y
      - .offset:         152
        .size:           4
        .value_kind:     hidden_block_count_z
      - .offset:         156
        .size:           2
        .value_kind:     hidden_group_size_x
      - .offset:         158
        .size:           2
        .value_kind:     hidden_group_size_y
      - .offset:         160
        .size:           2
        .value_kind:     hidden_group_size_z
      - .offset:         162
        .size:           2
        .value_kind:     hidden_remainder_x
      - .offset:         164
        .size:           2
        .value_kind:     hidden_remainder_y
      - .offset:         166
        .size:           2
        .value_kind:     hidden_remainder_z
      - .offset:         184
        .size:           8
        .value_kind:     hidden_global_offset_x
      - .offset:         192
        .size:           8
        .value_kind:     hidden_global_offset_y
      - .offset:         200
        .size:           8
        .value_kind:     hidden_global_offset_z
      - .offset:         208
        .size:           2
        .value_kind:     hidden_grid_dims
    .group_segment_fixed_size: 17472
    .kernarg_segment_align: 8
    .kernarg_segment_size: 400
    .language:       OpenCL C
    .language_version:
      - 2
      - 0
    .max_flat_workgroup_size: 256
    .name:           _Z39paged_attention_ll4mi_QKV_mfma16_kernelI14__hip_bfloat16hLN4vllm18Fp8KVCacheDataTypeE1ES0_Li16ELi64ELi256ELb0ELi5EL8MFMAType1EEvPKT_PKT0_S9_ifPKiSB_SB_iPKfiiiPfSE_PS4_PT2_iSD_SD_
    .private_segment_fixed_size: 0
    .sgpr_count:     42
    .sgpr_spill_count: 0
    .symbol:         _Z39paged_attention_ll4mi_QKV_mfma16_kernelI14__hip_bfloat16hLN4vllm18Fp8KVCacheDataTypeE1ES0_Li16ELi64ELi256ELb0ELi5EL8MFMAType1EEvPKT_PKT0_S9_ifPKiSB_SB_iPKfiiiPfSE_PS4_PT2_iSD_SD_.kd
    .uniform_work_group_size: 1
    .uses_dynamic_stack: false
    .vgpr_count:     124
    .vgpr_spill_count: 0
    .wavefront_size: 32
    .workgroup_processor_mode: 1
  - .args:
      - .actual_access:  read_only
        .address_space:  global
        .offset:         0
        .size:           8
        .value_kind:     global_buffer
      - .actual_access:  read_only
        .address_space:  global
        .offset:         8
        .size:           8
        .value_kind:     global_buffer
      - .actual_access:  read_only
        .address_space:  global
        .offset:         16
        .size:           8
        .value_kind:     global_buffer
      - .offset:         24
        .size:           4
        .value_kind:     by_value
      - .offset:         28
        .size:           4
        .value_kind:     by_value
      - .actual_access:  read_only
        .address_space:  global
        .offset:         32
        .size:           8
        .value_kind:     global_buffer
      - .actual_access:  read_only
        .address_space:  global
        .offset:         40
        .size:           8
        .value_kind:     global_buffer
      - .actual_access:  read_only
        .address_space:  global
        .offset:         48
        .size:           8
        .value_kind:     global_buffer
      - .offset:         56
        .size:           4
        .value_kind:     by_value
      - .actual_access:  read_only
        .address_space:  global
        .offset:         64
        .size:           8
        .value_kind:     global_buffer
      - .offset:         72
        .size:           4
        .value_kind:     by_value
      - .offset:         76
        .size:           4
        .value_kind:     by_value
      - .offset:         80
        .size:           4
        .value_kind:     by_value
      - .actual_access:  write_only
        .address_space:  global
        .offset:         88
        .size:           8
        .value_kind:     global_buffer
      - .actual_access:  write_only
        .address_space:  global
        .offset:         96
        .size:           8
        .value_kind:     global_buffer
      - .actual_access:  write_only
        .address_space:  global
        .offset:         104
        .size:           8
        .value_kind:     global_buffer
      - .actual_access:  read_only
        .address_space:  global
        .offset:         112
        .size:           8
        .value_kind:     global_buffer
      - .offset:         120
        .size:           4
        .value_kind:     by_value
      - .address_space:  global
        .offset:         128
        .size:           8
        .value_kind:     global_buffer
      - .address_space:  global
        .offset:         136
        .size:           8
        .value_kind:     global_buffer
      - .offset:         144
        .size:           4
        .value_kind:     hidden_block_count_x
      - .offset:         148
        .size:           4
        .value_kind:     hidden_block_count_y
      - .offset:         152
        .size:           4
        .value_kind:     hidden_block_count_z
      - .offset:         156
        .size:           2
        .value_kind:     hidden_group_size_x
      - .offset:         158
        .size:           2
        .value_kind:     hidden_group_size_y
      - .offset:         160
        .size:           2
        .value_kind:     hidden_group_size_z
      - .offset:         162
        .size:           2
        .value_kind:     hidden_remainder_x
      - .offset:         164
        .size:           2
        .value_kind:     hidden_remainder_y
      - .offset:         166
        .size:           2
        .value_kind:     hidden_remainder_z
      - .offset:         184
        .size:           8
        .value_kind:     hidden_global_offset_x
      - .offset:         192
        .size:           8
        .value_kind:     hidden_global_offset_y
      - .offset:         200
        .size:           8
        .value_kind:     hidden_global_offset_z
      - .offset:         208
        .size:           2
        .value_kind:     hidden_grid_dims
    .group_segment_fixed_size: 17472
    .kernarg_segment_align: 8
    .kernarg_segment_size: 400
    .language:       OpenCL C
    .language_version:
      - 2
      - 0
    .max_flat_workgroup_size: 256
    .name:           _Z39paged_attention_ll4mi_QKV_mfma16_kernelI14__hip_bfloat16hLN4vllm18Fp8KVCacheDataTypeE1ES0_Li16ELi64ELi256ELb0ELi6EL8MFMAType1EEvPKT_PKT0_S9_ifPKiSB_SB_iPKfiiiPfSE_PS4_PT2_iSD_SD_
    .private_segment_fixed_size: 0
    .sgpr_count:     40
    .sgpr_spill_count: 0
    .symbol:         _Z39paged_attention_ll4mi_QKV_mfma16_kernelI14__hip_bfloat16hLN4vllm18Fp8KVCacheDataTypeE1ES0_Li16ELi64ELi256ELb0ELi6EL8MFMAType1EEvPKT_PKT0_S9_ifPKiSB_SB_iPKfiiiPfSE_PS4_PT2_iSD_SD_.kd
    .uniform_work_group_size: 1
    .uses_dynamic_stack: false
    .vgpr_count:     124
    .vgpr_spill_count: 0
    .wavefront_size: 32
    .workgroup_processor_mode: 1
  - .args:
      - .actual_access:  read_only
        .address_space:  global
        .offset:         0
        .size:           8
        .value_kind:     global_buffer
      - .actual_access:  read_only
        .address_space:  global
        .offset:         8
        .size:           8
        .value_kind:     global_buffer
      - .actual_access:  read_only
        .address_space:  global
        .offset:         16
        .size:           8
        .value_kind:     global_buffer
      - .offset:         24
        .size:           4
        .value_kind:     by_value
      - .offset:         28
        .size:           4
        .value_kind:     by_value
      - .actual_access:  read_only
        .address_space:  global
        .offset:         32
        .size:           8
        .value_kind:     global_buffer
      - .actual_access:  read_only
        .address_space:  global
        .offset:         40
        .size:           8
        .value_kind:     global_buffer
      - .actual_access:  read_only
        .address_space:  global
        .offset:         48
        .size:           8
        .value_kind:     global_buffer
      - .offset:         56
        .size:           4
        .value_kind:     by_value
      - .actual_access:  read_only
        .address_space:  global
        .offset:         64
        .size:           8
        .value_kind:     global_buffer
      - .offset:         72
        .size:           4
        .value_kind:     by_value
      - .offset:         76
        .size:           4
        .value_kind:     by_value
      - .offset:         80
        .size:           4
        .value_kind:     by_value
      - .actual_access:  write_only
        .address_space:  global
        .offset:         88
        .size:           8
        .value_kind:     global_buffer
      - .actual_access:  write_only
        .address_space:  global
        .offset:         96
        .size:           8
        .value_kind:     global_buffer
      - .actual_access:  write_only
        .address_space:  global
        .offset:         104
        .size:           8
        .value_kind:     global_buffer
      - .actual_access:  read_only
        .address_space:  global
        .offset:         112
        .size:           8
        .value_kind:     global_buffer
      - .offset:         120
        .size:           4
        .value_kind:     by_value
      - .address_space:  global
        .offset:         128
        .size:           8
        .value_kind:     global_buffer
      - .address_space:  global
        .offset:         136
        .size:           8
        .value_kind:     global_buffer
      - .offset:         144
        .size:           4
        .value_kind:     hidden_block_count_x
      - .offset:         148
        .size:           4
        .value_kind:     hidden_block_count_y
      - .offset:         152
        .size:           4
        .value_kind:     hidden_block_count_z
      - .offset:         156
        .size:           2
        .value_kind:     hidden_group_size_x
      - .offset:         158
        .size:           2
        .value_kind:     hidden_group_size_y
      - .offset:         160
        .size:           2
        .value_kind:     hidden_group_size_z
      - .offset:         162
        .size:           2
        .value_kind:     hidden_remainder_x
      - .offset:         164
        .size:           2
        .value_kind:     hidden_remainder_y
      - .offset:         166
        .size:           2
        .value_kind:     hidden_remainder_z
      - .offset:         184
        .size:           8
        .value_kind:     hidden_global_offset_x
      - .offset:         192
        .size:           8
        .value_kind:     hidden_global_offset_y
      - .offset:         200
        .size:           8
        .value_kind:     hidden_global_offset_z
      - .offset:         208
        .size:           2
        .value_kind:     hidden_grid_dims
    .group_segment_fixed_size: 17472
    .kernarg_segment_align: 8
    .kernarg_segment_size: 400
    .language:       OpenCL C
    .language_version:
      - 2
      - 0
    .max_flat_workgroup_size: 256
    .name:           _Z39paged_attention_ll4mi_QKV_mfma16_kernelI14__hip_bfloat16hLN4vllm18Fp8KVCacheDataTypeE1ES0_Li16ELi64ELi256ELb0ELi7EL8MFMAType1EEvPKT_PKT0_S9_ifPKiSB_SB_iPKfiiiPfSE_PS4_PT2_iSD_SD_
    .private_segment_fixed_size: 0
    .sgpr_count:     42
    .sgpr_spill_count: 0
    .symbol:         _Z39paged_attention_ll4mi_QKV_mfma16_kernelI14__hip_bfloat16hLN4vllm18Fp8KVCacheDataTypeE1ES0_Li16ELi64ELi256ELb0ELi7EL8MFMAType1EEvPKT_PKT0_S9_ifPKiSB_SB_iPKfiiiPfSE_PS4_PT2_iSD_SD_.kd
    .uniform_work_group_size: 1
    .uses_dynamic_stack: false
    .vgpr_count:     124
    .vgpr_spill_count: 0
    .wavefront_size: 32
    .workgroup_processor_mode: 1
  - .args:
      - .actual_access:  read_only
        .address_space:  global
        .offset:         0
        .size:           8
        .value_kind:     global_buffer
      - .actual_access:  read_only
        .address_space:  global
        .offset:         8
        .size:           8
        .value_kind:     global_buffer
      - .actual_access:  read_only
        .address_space:  global
        .offset:         16
        .size:           8
        .value_kind:     global_buffer
      - .offset:         24
        .size:           4
        .value_kind:     by_value
      - .offset:         28
        .size:           4
        .value_kind:     by_value
      - .actual_access:  read_only
        .address_space:  global
        .offset:         32
        .size:           8
        .value_kind:     global_buffer
      - .actual_access:  read_only
        .address_space:  global
        .offset:         40
        .size:           8
        .value_kind:     global_buffer
      - .actual_access:  read_only
        .address_space:  global
        .offset:         48
        .size:           8
        .value_kind:     global_buffer
      - .offset:         56
        .size:           4
        .value_kind:     by_value
      - .actual_access:  read_only
        .address_space:  global
        .offset:         64
        .size:           8
        .value_kind:     global_buffer
      - .offset:         72
        .size:           4
        .value_kind:     by_value
      - .offset:         76
        .size:           4
        .value_kind:     by_value
      - .offset:         80
        .size:           4
        .value_kind:     by_value
      - .actual_access:  write_only
        .address_space:  global
        .offset:         88
        .size:           8
        .value_kind:     global_buffer
      - .actual_access:  write_only
        .address_space:  global
        .offset:         96
        .size:           8
        .value_kind:     global_buffer
      - .actual_access:  write_only
        .address_space:  global
        .offset:         104
        .size:           8
        .value_kind:     global_buffer
      - .actual_access:  read_only
        .address_space:  global
        .offset:         112
        .size:           8
        .value_kind:     global_buffer
      - .offset:         120
        .size:           4
        .value_kind:     by_value
      - .address_space:  global
        .offset:         128
        .size:           8
        .value_kind:     global_buffer
      - .address_space:  global
        .offset:         136
        .size:           8
        .value_kind:     global_buffer
      - .offset:         144
        .size:           4
        .value_kind:     hidden_block_count_x
      - .offset:         148
        .size:           4
        .value_kind:     hidden_block_count_y
      - .offset:         152
        .size:           4
        .value_kind:     hidden_block_count_z
      - .offset:         156
        .size:           2
        .value_kind:     hidden_group_size_x
      - .offset:         158
        .size:           2
        .value_kind:     hidden_group_size_y
      - .offset:         160
        .size:           2
        .value_kind:     hidden_group_size_z
      - .offset:         162
        .size:           2
        .value_kind:     hidden_remainder_x
      - .offset:         164
        .size:           2
        .value_kind:     hidden_remainder_y
      - .offset:         166
        .size:           2
        .value_kind:     hidden_remainder_z
      - .offset:         184
        .size:           8
        .value_kind:     hidden_global_offset_x
      - .offset:         192
        .size:           8
        .value_kind:     hidden_global_offset_y
      - .offset:         200
        .size:           8
        .value_kind:     hidden_global_offset_z
      - .offset:         208
        .size:           2
        .value_kind:     hidden_grid_dims
    .group_segment_fixed_size: 17472
    .kernarg_segment_align: 8
    .kernarg_segment_size: 400
    .language:       OpenCL C
    .language_version:
      - 2
      - 0
    .max_flat_workgroup_size: 256
    .name:           _Z39paged_attention_ll4mi_QKV_mfma16_kernelI14__hip_bfloat16hLN4vllm18Fp8KVCacheDataTypeE1ES0_Li16ELi64ELi256ELb0ELi8EL8MFMAType1EEvPKT_PKT0_S9_ifPKiSB_SB_iPKfiiiPfSE_PS4_PT2_iSD_SD_
    .private_segment_fixed_size: 0
    .sgpr_count:     40
    .sgpr_spill_count: 0
    .symbol:         _Z39paged_attention_ll4mi_QKV_mfma16_kernelI14__hip_bfloat16hLN4vllm18Fp8KVCacheDataTypeE1ES0_Li16ELi64ELi256ELb0ELi8EL8MFMAType1EEvPKT_PKT0_S9_ifPKiSB_SB_iPKfiiiPfSE_PS4_PT2_iSD_SD_.kd
    .uniform_work_group_size: 1
    .uses_dynamic_stack: false
    .vgpr_count:     124
    .vgpr_spill_count: 0
    .wavefront_size: 32
    .workgroup_processor_mode: 1
  - .args:
      - .actual_access:  read_only
        .address_space:  global
        .offset:         0
        .size:           8
        .value_kind:     global_buffer
      - .actual_access:  read_only
        .address_space:  global
        .offset:         8
        .size:           8
        .value_kind:     global_buffer
      - .actual_access:  read_only
        .address_space:  global
        .offset:         16
        .size:           8
        .value_kind:     global_buffer
      - .offset:         24
        .size:           4
        .value_kind:     by_value
      - .offset:         28
        .size:           4
        .value_kind:     by_value
      - .actual_access:  read_only
        .address_space:  global
        .offset:         32
        .size:           8
        .value_kind:     global_buffer
      - .actual_access:  read_only
        .address_space:  global
        .offset:         40
        .size:           8
        .value_kind:     global_buffer
      - .actual_access:  read_only
        .address_space:  global
        .offset:         48
        .size:           8
        .value_kind:     global_buffer
      - .offset:         56
        .size:           4
        .value_kind:     by_value
      - .actual_access:  read_only
        .address_space:  global
        .offset:         64
        .size:           8
        .value_kind:     global_buffer
      - .offset:         72
        .size:           4
        .value_kind:     by_value
      - .offset:         76
        .size:           4
        .value_kind:     by_value
      - .offset:         80
        .size:           4
        .value_kind:     by_value
      - .actual_access:  write_only
        .address_space:  global
        .offset:         88
        .size:           8
        .value_kind:     global_buffer
      - .actual_access:  write_only
        .address_space:  global
        .offset:         96
        .size:           8
        .value_kind:     global_buffer
      - .actual_access:  write_only
        .address_space:  global
        .offset:         104
        .size:           8
        .value_kind:     global_buffer
      - .actual_access:  read_only
        .address_space:  global
        .offset:         112
        .size:           8
        .value_kind:     global_buffer
      - .offset:         120
        .size:           4
        .value_kind:     by_value
      - .address_space:  global
        .offset:         128
        .size:           8
        .value_kind:     global_buffer
      - .address_space:  global
        .offset:         136
        .size:           8
        .value_kind:     global_buffer
      - .offset:         144
        .size:           4
        .value_kind:     hidden_block_count_x
      - .offset:         148
        .size:           4
        .value_kind:     hidden_block_count_y
      - .offset:         152
        .size:           4
        .value_kind:     hidden_block_count_z
      - .offset:         156
        .size:           2
        .value_kind:     hidden_group_size_x
      - .offset:         158
        .size:           2
        .value_kind:     hidden_group_size_y
      - .offset:         160
        .size:           2
        .value_kind:     hidden_group_size_z
      - .offset:         162
        .size:           2
        .value_kind:     hidden_remainder_x
      - .offset:         164
        .size:           2
        .value_kind:     hidden_remainder_y
      - .offset:         166
        .size:           2
        .value_kind:     hidden_remainder_z
      - .offset:         184
        .size:           8
        .value_kind:     hidden_global_offset_x
      - .offset:         192
        .size:           8
        .value_kind:     hidden_global_offset_y
      - .offset:         200
        .size:           8
        .value_kind:     hidden_global_offset_z
      - .offset:         208
        .size:           2
        .value_kind:     hidden_grid_dims
    .group_segment_fixed_size: 17472
    .kernarg_segment_align: 8
    .kernarg_segment_size: 400
    .language:       OpenCL C
    .language_version:
      - 2
      - 0
    .max_flat_workgroup_size: 256
    .name:           _Z39paged_attention_ll4mi_QKV_mfma16_kernelI14__hip_bfloat16hLN4vllm18Fp8KVCacheDataTypeE1ES0_Li16ELi64ELi256ELb0ELi9EL8MFMAType1EEvPKT_PKT0_S9_ifPKiSB_SB_iPKfiiiPfSE_PS4_PT2_iSD_SD_
    .private_segment_fixed_size: 0
    .sgpr_count:     42
    .sgpr_spill_count: 0
    .symbol:         _Z39paged_attention_ll4mi_QKV_mfma16_kernelI14__hip_bfloat16hLN4vllm18Fp8KVCacheDataTypeE1ES0_Li16ELi64ELi256ELb0ELi9EL8MFMAType1EEvPKT_PKT0_S9_ifPKiSB_SB_iPKfiiiPfSE_PS4_PT2_iSD_SD_.kd
    .uniform_work_group_size: 1
    .uses_dynamic_stack: false
    .vgpr_count:     124
    .vgpr_spill_count: 0
    .wavefront_size: 32
    .workgroup_processor_mode: 1
  - .args:
      - .actual_access:  read_only
        .address_space:  global
        .offset:         0
        .size:           8
        .value_kind:     global_buffer
      - .actual_access:  read_only
        .address_space:  global
        .offset:         8
        .size:           8
        .value_kind:     global_buffer
      - .actual_access:  read_only
        .address_space:  global
        .offset:         16
        .size:           8
        .value_kind:     global_buffer
      - .offset:         24
        .size:           4
        .value_kind:     by_value
      - .offset:         28
        .size:           4
        .value_kind:     by_value
      - .actual_access:  read_only
        .address_space:  global
        .offset:         32
        .size:           8
        .value_kind:     global_buffer
      - .actual_access:  read_only
        .address_space:  global
        .offset:         40
        .size:           8
        .value_kind:     global_buffer
      - .actual_access:  read_only
        .address_space:  global
        .offset:         48
        .size:           8
        .value_kind:     global_buffer
      - .offset:         56
        .size:           4
        .value_kind:     by_value
      - .actual_access:  read_only
        .address_space:  global
        .offset:         64
        .size:           8
        .value_kind:     global_buffer
      - .offset:         72
        .size:           4
        .value_kind:     by_value
      - .offset:         76
        .size:           4
        .value_kind:     by_value
      - .offset:         80
        .size:           4
        .value_kind:     by_value
      - .actual_access:  write_only
        .address_space:  global
        .offset:         88
        .size:           8
        .value_kind:     global_buffer
      - .actual_access:  write_only
        .address_space:  global
        .offset:         96
        .size:           8
        .value_kind:     global_buffer
      - .actual_access:  write_only
        .address_space:  global
        .offset:         104
        .size:           8
        .value_kind:     global_buffer
      - .actual_access:  read_only
        .address_space:  global
        .offset:         112
        .size:           8
        .value_kind:     global_buffer
      - .offset:         120
        .size:           4
        .value_kind:     by_value
      - .address_space:  global
        .offset:         128
        .size:           8
        .value_kind:     global_buffer
      - .address_space:  global
        .offset:         136
        .size:           8
        .value_kind:     global_buffer
      - .offset:         144
        .size:           4
        .value_kind:     hidden_block_count_x
      - .offset:         148
        .size:           4
        .value_kind:     hidden_block_count_y
      - .offset:         152
        .size:           4
        .value_kind:     hidden_block_count_z
      - .offset:         156
        .size:           2
        .value_kind:     hidden_group_size_x
      - .offset:         158
        .size:           2
        .value_kind:     hidden_group_size_y
      - .offset:         160
        .size:           2
        .value_kind:     hidden_group_size_z
      - .offset:         162
        .size:           2
        .value_kind:     hidden_remainder_x
      - .offset:         164
        .size:           2
        .value_kind:     hidden_remainder_y
      - .offset:         166
        .size:           2
        .value_kind:     hidden_remainder_z
      - .offset:         184
        .size:           8
        .value_kind:     hidden_global_offset_x
      - .offset:         192
        .size:           8
        .value_kind:     hidden_global_offset_y
      - .offset:         200
        .size:           8
        .value_kind:     hidden_global_offset_z
      - .offset:         208
        .size:           2
        .value_kind:     hidden_grid_dims
    .group_segment_fixed_size: 17472
    .kernarg_segment_align: 8
    .kernarg_segment_size: 400
    .language:       OpenCL C
    .language_version:
      - 2
      - 0
    .max_flat_workgroup_size: 256
    .name:           _Z39paged_attention_ll4mi_QKV_mfma16_kernelI14__hip_bfloat16hLN4vllm18Fp8KVCacheDataTypeE1ES0_Li16ELi64ELi256ELb0ELi10EL8MFMAType1EEvPKT_PKT0_S9_ifPKiSB_SB_iPKfiiiPfSE_PS4_PT2_iSD_SD_
    .private_segment_fixed_size: 0
    .sgpr_count:     40
    .sgpr_spill_count: 0
    .symbol:         _Z39paged_attention_ll4mi_QKV_mfma16_kernelI14__hip_bfloat16hLN4vllm18Fp8KVCacheDataTypeE1ES0_Li16ELi64ELi256ELb0ELi10EL8MFMAType1EEvPKT_PKT0_S9_ifPKiSB_SB_iPKfiiiPfSE_PS4_PT2_iSD_SD_.kd
    .uniform_work_group_size: 1
    .uses_dynamic_stack: false
    .vgpr_count:     124
    .vgpr_spill_count: 0
    .wavefront_size: 32
    .workgroup_processor_mode: 1
  - .args:
      - .actual_access:  read_only
        .address_space:  global
        .offset:         0
        .size:           8
        .value_kind:     global_buffer
      - .actual_access:  read_only
        .address_space:  global
        .offset:         8
        .size:           8
        .value_kind:     global_buffer
      - .actual_access:  read_only
        .address_space:  global
        .offset:         16
        .size:           8
        .value_kind:     global_buffer
      - .offset:         24
        .size:           4
        .value_kind:     by_value
      - .offset:         28
        .size:           4
        .value_kind:     by_value
      - .actual_access:  read_only
        .address_space:  global
        .offset:         32
        .size:           8
        .value_kind:     global_buffer
      - .actual_access:  read_only
        .address_space:  global
        .offset:         40
        .size:           8
        .value_kind:     global_buffer
      - .actual_access:  read_only
        .address_space:  global
        .offset:         48
        .size:           8
        .value_kind:     global_buffer
      - .offset:         56
        .size:           4
        .value_kind:     by_value
      - .actual_access:  read_only
        .address_space:  global
        .offset:         64
        .size:           8
        .value_kind:     global_buffer
      - .offset:         72
        .size:           4
        .value_kind:     by_value
      - .offset:         76
        .size:           4
        .value_kind:     by_value
      - .offset:         80
        .size:           4
        .value_kind:     by_value
      - .actual_access:  write_only
        .address_space:  global
        .offset:         88
        .size:           8
        .value_kind:     global_buffer
      - .actual_access:  write_only
        .address_space:  global
        .offset:         96
        .size:           8
        .value_kind:     global_buffer
      - .actual_access:  write_only
        .address_space:  global
        .offset:         104
        .size:           8
        .value_kind:     global_buffer
      - .actual_access:  read_only
        .address_space:  global
        .offset:         112
        .size:           8
        .value_kind:     global_buffer
      - .offset:         120
        .size:           4
        .value_kind:     by_value
      - .address_space:  global
        .offset:         128
        .size:           8
        .value_kind:     global_buffer
      - .address_space:  global
        .offset:         136
        .size:           8
        .value_kind:     global_buffer
      - .offset:         144
        .size:           4
        .value_kind:     hidden_block_count_x
      - .offset:         148
        .size:           4
        .value_kind:     hidden_block_count_y
      - .offset:         152
        .size:           4
        .value_kind:     hidden_block_count_z
      - .offset:         156
        .size:           2
        .value_kind:     hidden_group_size_x
      - .offset:         158
        .size:           2
        .value_kind:     hidden_group_size_y
      - .offset:         160
        .size:           2
        .value_kind:     hidden_group_size_z
      - .offset:         162
        .size:           2
        .value_kind:     hidden_remainder_x
      - .offset:         164
        .size:           2
        .value_kind:     hidden_remainder_y
      - .offset:         166
        .size:           2
        .value_kind:     hidden_remainder_z
      - .offset:         184
        .size:           8
        .value_kind:     hidden_global_offset_x
      - .offset:         192
        .size:           8
        .value_kind:     hidden_global_offset_y
      - .offset:         200
        .size:           8
        .value_kind:     hidden_global_offset_z
      - .offset:         208
        .size:           2
        .value_kind:     hidden_grid_dims
    .group_segment_fixed_size: 17472
    .kernarg_segment_align: 8
    .kernarg_segment_size: 400
    .language:       OpenCL C
    .language_version:
      - 2
      - 0
    .max_flat_workgroup_size: 256
    .name:           _Z39paged_attention_ll4mi_QKV_mfma16_kernelI14__hip_bfloat16hLN4vllm18Fp8KVCacheDataTypeE1ES0_Li16ELi64ELi256ELb0ELi11EL8MFMAType1EEvPKT_PKT0_S9_ifPKiSB_SB_iPKfiiiPfSE_PS4_PT2_iSD_SD_
    .private_segment_fixed_size: 0
    .sgpr_count:     42
    .sgpr_spill_count: 0
    .symbol:         _Z39paged_attention_ll4mi_QKV_mfma16_kernelI14__hip_bfloat16hLN4vllm18Fp8KVCacheDataTypeE1ES0_Li16ELi64ELi256ELb0ELi11EL8MFMAType1EEvPKT_PKT0_S9_ifPKiSB_SB_iPKfiiiPfSE_PS4_PT2_iSD_SD_.kd
    .uniform_work_group_size: 1
    .uses_dynamic_stack: false
    .vgpr_count:     124
    .vgpr_spill_count: 0
    .wavefront_size: 32
    .workgroup_processor_mode: 1
  - .args:
      - .actual_access:  read_only
        .address_space:  global
        .offset:         0
        .size:           8
        .value_kind:     global_buffer
      - .actual_access:  read_only
        .address_space:  global
        .offset:         8
        .size:           8
        .value_kind:     global_buffer
      - .actual_access:  read_only
        .address_space:  global
        .offset:         16
        .size:           8
        .value_kind:     global_buffer
      - .offset:         24
        .size:           4
        .value_kind:     by_value
      - .offset:         28
        .size:           4
        .value_kind:     by_value
      - .actual_access:  read_only
        .address_space:  global
        .offset:         32
        .size:           8
        .value_kind:     global_buffer
      - .actual_access:  read_only
        .address_space:  global
        .offset:         40
        .size:           8
        .value_kind:     global_buffer
      - .actual_access:  read_only
        .address_space:  global
        .offset:         48
        .size:           8
        .value_kind:     global_buffer
      - .offset:         56
        .size:           4
        .value_kind:     by_value
      - .actual_access:  read_only
        .address_space:  global
        .offset:         64
        .size:           8
        .value_kind:     global_buffer
      - .offset:         72
        .size:           4
        .value_kind:     by_value
      - .offset:         76
        .size:           4
        .value_kind:     by_value
      - .offset:         80
        .size:           4
        .value_kind:     by_value
      - .actual_access:  write_only
        .address_space:  global
        .offset:         88
        .size:           8
        .value_kind:     global_buffer
      - .actual_access:  write_only
        .address_space:  global
        .offset:         96
        .size:           8
        .value_kind:     global_buffer
      - .actual_access:  write_only
        .address_space:  global
        .offset:         104
        .size:           8
        .value_kind:     global_buffer
      - .actual_access:  read_only
        .address_space:  global
        .offset:         112
        .size:           8
        .value_kind:     global_buffer
      - .offset:         120
        .size:           4
        .value_kind:     by_value
      - .address_space:  global
        .offset:         128
        .size:           8
        .value_kind:     global_buffer
      - .address_space:  global
        .offset:         136
        .size:           8
        .value_kind:     global_buffer
      - .offset:         144
        .size:           4
        .value_kind:     hidden_block_count_x
      - .offset:         148
        .size:           4
        .value_kind:     hidden_block_count_y
      - .offset:         152
        .size:           4
        .value_kind:     hidden_block_count_z
      - .offset:         156
        .size:           2
        .value_kind:     hidden_group_size_x
      - .offset:         158
        .size:           2
        .value_kind:     hidden_group_size_y
      - .offset:         160
        .size:           2
        .value_kind:     hidden_group_size_z
      - .offset:         162
        .size:           2
        .value_kind:     hidden_remainder_x
      - .offset:         164
        .size:           2
        .value_kind:     hidden_remainder_y
      - .offset:         166
        .size:           2
        .value_kind:     hidden_remainder_z
      - .offset:         184
        .size:           8
        .value_kind:     hidden_global_offset_x
      - .offset:         192
        .size:           8
        .value_kind:     hidden_global_offset_y
      - .offset:         200
        .size:           8
        .value_kind:     hidden_global_offset_z
      - .offset:         208
        .size:           2
        .value_kind:     hidden_grid_dims
    .group_segment_fixed_size: 17472
    .kernarg_segment_align: 8
    .kernarg_segment_size: 400
    .language:       OpenCL C
    .language_version:
      - 2
      - 0
    .max_flat_workgroup_size: 256
    .name:           _Z39paged_attention_ll4mi_QKV_mfma16_kernelI14__hip_bfloat16hLN4vllm18Fp8KVCacheDataTypeE1ES0_Li16ELi64ELi256ELb0ELi12EL8MFMAType1EEvPKT_PKT0_S9_ifPKiSB_SB_iPKfiiiPfSE_PS4_PT2_iSD_SD_
    .private_segment_fixed_size: 0
    .sgpr_count:     40
    .sgpr_spill_count: 0
    .symbol:         _Z39paged_attention_ll4mi_QKV_mfma16_kernelI14__hip_bfloat16hLN4vllm18Fp8KVCacheDataTypeE1ES0_Li16ELi64ELi256ELb0ELi12EL8MFMAType1EEvPKT_PKT0_S9_ifPKiSB_SB_iPKfiiiPfSE_PS4_PT2_iSD_SD_.kd
    .uniform_work_group_size: 1
    .uses_dynamic_stack: false
    .vgpr_count:     124
    .vgpr_spill_count: 0
    .wavefront_size: 32
    .workgroup_processor_mode: 1
  - .args:
      - .actual_access:  read_only
        .address_space:  global
        .offset:         0
        .size:           8
        .value_kind:     global_buffer
      - .actual_access:  read_only
        .address_space:  global
        .offset:         8
        .size:           8
        .value_kind:     global_buffer
      - .actual_access:  read_only
        .address_space:  global
        .offset:         16
        .size:           8
        .value_kind:     global_buffer
      - .offset:         24
        .size:           4
        .value_kind:     by_value
      - .offset:         28
        .size:           4
        .value_kind:     by_value
      - .actual_access:  read_only
        .address_space:  global
        .offset:         32
        .size:           8
        .value_kind:     global_buffer
      - .actual_access:  read_only
        .address_space:  global
        .offset:         40
        .size:           8
        .value_kind:     global_buffer
      - .actual_access:  read_only
        .address_space:  global
        .offset:         48
        .size:           8
        .value_kind:     global_buffer
      - .offset:         56
        .size:           4
        .value_kind:     by_value
      - .actual_access:  read_only
        .address_space:  global
        .offset:         64
        .size:           8
        .value_kind:     global_buffer
      - .offset:         72
        .size:           4
        .value_kind:     by_value
      - .offset:         76
        .size:           4
        .value_kind:     by_value
      - .offset:         80
        .size:           4
        .value_kind:     by_value
      - .actual_access:  write_only
        .address_space:  global
        .offset:         88
        .size:           8
        .value_kind:     global_buffer
      - .actual_access:  write_only
        .address_space:  global
        .offset:         96
        .size:           8
        .value_kind:     global_buffer
      - .actual_access:  write_only
        .address_space:  global
        .offset:         104
        .size:           8
        .value_kind:     global_buffer
      - .actual_access:  read_only
        .address_space:  global
        .offset:         112
        .size:           8
        .value_kind:     global_buffer
      - .offset:         120
        .size:           4
        .value_kind:     by_value
      - .address_space:  global
        .offset:         128
        .size:           8
        .value_kind:     global_buffer
      - .address_space:  global
        .offset:         136
        .size:           8
        .value_kind:     global_buffer
      - .offset:         144
        .size:           4
        .value_kind:     hidden_block_count_x
      - .offset:         148
        .size:           4
        .value_kind:     hidden_block_count_y
      - .offset:         152
        .size:           4
        .value_kind:     hidden_block_count_z
      - .offset:         156
        .size:           2
        .value_kind:     hidden_group_size_x
      - .offset:         158
        .size:           2
        .value_kind:     hidden_group_size_y
      - .offset:         160
        .size:           2
        .value_kind:     hidden_group_size_z
      - .offset:         162
        .size:           2
        .value_kind:     hidden_remainder_x
      - .offset:         164
        .size:           2
        .value_kind:     hidden_remainder_y
      - .offset:         166
        .size:           2
        .value_kind:     hidden_remainder_z
      - .offset:         184
        .size:           8
        .value_kind:     hidden_global_offset_x
      - .offset:         192
        .size:           8
        .value_kind:     hidden_global_offset_y
      - .offset:         200
        .size:           8
        .value_kind:     hidden_global_offset_z
      - .offset:         208
        .size:           2
        .value_kind:     hidden_grid_dims
    .group_segment_fixed_size: 17472
    .kernarg_segment_align: 8
    .kernarg_segment_size: 400
    .language:       OpenCL C
    .language_version:
      - 2
      - 0
    .max_flat_workgroup_size: 256
    .name:           _Z39paged_attention_ll4mi_QKV_mfma16_kernelI14__hip_bfloat16hLN4vllm18Fp8KVCacheDataTypeE1ES0_Li16ELi64ELi256ELb0ELi13EL8MFMAType1EEvPKT_PKT0_S9_ifPKiSB_SB_iPKfiiiPfSE_PS4_PT2_iSD_SD_
    .private_segment_fixed_size: 0
    .sgpr_count:     42
    .sgpr_spill_count: 0
    .symbol:         _Z39paged_attention_ll4mi_QKV_mfma16_kernelI14__hip_bfloat16hLN4vllm18Fp8KVCacheDataTypeE1ES0_Li16ELi64ELi256ELb0ELi13EL8MFMAType1EEvPKT_PKT0_S9_ifPKiSB_SB_iPKfiiiPfSE_PS4_PT2_iSD_SD_.kd
    .uniform_work_group_size: 1
    .uses_dynamic_stack: false
    .vgpr_count:     124
    .vgpr_spill_count: 0
    .wavefront_size: 32
    .workgroup_processor_mode: 1
  - .args:
      - .actual_access:  read_only
        .address_space:  global
        .offset:         0
        .size:           8
        .value_kind:     global_buffer
      - .actual_access:  read_only
        .address_space:  global
        .offset:         8
        .size:           8
        .value_kind:     global_buffer
      - .actual_access:  read_only
        .address_space:  global
        .offset:         16
        .size:           8
        .value_kind:     global_buffer
      - .offset:         24
        .size:           4
        .value_kind:     by_value
      - .offset:         28
        .size:           4
        .value_kind:     by_value
      - .actual_access:  read_only
        .address_space:  global
        .offset:         32
        .size:           8
        .value_kind:     global_buffer
      - .actual_access:  read_only
        .address_space:  global
        .offset:         40
        .size:           8
        .value_kind:     global_buffer
      - .actual_access:  read_only
        .address_space:  global
        .offset:         48
        .size:           8
        .value_kind:     global_buffer
      - .offset:         56
        .size:           4
        .value_kind:     by_value
      - .actual_access:  read_only
        .address_space:  global
        .offset:         64
        .size:           8
        .value_kind:     global_buffer
      - .offset:         72
        .size:           4
        .value_kind:     by_value
      - .offset:         76
        .size:           4
        .value_kind:     by_value
      - .offset:         80
        .size:           4
        .value_kind:     by_value
      - .actual_access:  write_only
        .address_space:  global
        .offset:         88
        .size:           8
        .value_kind:     global_buffer
      - .actual_access:  write_only
        .address_space:  global
        .offset:         96
        .size:           8
        .value_kind:     global_buffer
      - .actual_access:  write_only
        .address_space:  global
        .offset:         104
        .size:           8
        .value_kind:     global_buffer
      - .actual_access:  read_only
        .address_space:  global
        .offset:         112
        .size:           8
        .value_kind:     global_buffer
      - .offset:         120
        .size:           4
        .value_kind:     by_value
      - .address_space:  global
        .offset:         128
        .size:           8
        .value_kind:     global_buffer
      - .address_space:  global
        .offset:         136
        .size:           8
        .value_kind:     global_buffer
      - .offset:         144
        .size:           4
        .value_kind:     hidden_block_count_x
      - .offset:         148
        .size:           4
        .value_kind:     hidden_block_count_y
      - .offset:         152
        .size:           4
        .value_kind:     hidden_block_count_z
      - .offset:         156
        .size:           2
        .value_kind:     hidden_group_size_x
      - .offset:         158
        .size:           2
        .value_kind:     hidden_group_size_y
      - .offset:         160
        .size:           2
        .value_kind:     hidden_group_size_z
      - .offset:         162
        .size:           2
        .value_kind:     hidden_remainder_x
      - .offset:         164
        .size:           2
        .value_kind:     hidden_remainder_y
      - .offset:         166
        .size:           2
        .value_kind:     hidden_remainder_z
      - .offset:         184
        .size:           8
        .value_kind:     hidden_global_offset_x
      - .offset:         192
        .size:           8
        .value_kind:     hidden_global_offset_y
      - .offset:         200
        .size:           8
        .value_kind:     hidden_global_offset_z
      - .offset:         208
        .size:           2
        .value_kind:     hidden_grid_dims
    .group_segment_fixed_size: 17472
    .kernarg_segment_align: 8
    .kernarg_segment_size: 400
    .language:       OpenCL C
    .language_version:
      - 2
      - 0
    .max_flat_workgroup_size: 256
    .name:           _Z39paged_attention_ll4mi_QKV_mfma16_kernelI14__hip_bfloat16hLN4vllm18Fp8KVCacheDataTypeE1ES0_Li16ELi64ELi256ELb0ELi14EL8MFMAType1EEvPKT_PKT0_S9_ifPKiSB_SB_iPKfiiiPfSE_PS4_PT2_iSD_SD_
    .private_segment_fixed_size: 0
    .sgpr_count:     40
    .sgpr_spill_count: 0
    .symbol:         _Z39paged_attention_ll4mi_QKV_mfma16_kernelI14__hip_bfloat16hLN4vllm18Fp8KVCacheDataTypeE1ES0_Li16ELi64ELi256ELb0ELi14EL8MFMAType1EEvPKT_PKT0_S9_ifPKiSB_SB_iPKfiiiPfSE_PS4_PT2_iSD_SD_.kd
    .uniform_work_group_size: 1
    .uses_dynamic_stack: false
    .vgpr_count:     124
    .vgpr_spill_count: 0
    .wavefront_size: 32
    .workgroup_processor_mode: 1
  - .args:
      - .actual_access:  read_only
        .address_space:  global
        .offset:         0
        .size:           8
        .value_kind:     global_buffer
      - .actual_access:  read_only
        .address_space:  global
        .offset:         8
        .size:           8
        .value_kind:     global_buffer
      - .actual_access:  read_only
        .address_space:  global
        .offset:         16
        .size:           8
        .value_kind:     global_buffer
      - .offset:         24
        .size:           4
        .value_kind:     by_value
      - .offset:         28
        .size:           4
        .value_kind:     by_value
      - .actual_access:  read_only
        .address_space:  global
        .offset:         32
        .size:           8
        .value_kind:     global_buffer
      - .actual_access:  read_only
        .address_space:  global
        .offset:         40
        .size:           8
        .value_kind:     global_buffer
      - .actual_access:  read_only
        .address_space:  global
        .offset:         48
        .size:           8
        .value_kind:     global_buffer
      - .offset:         56
        .size:           4
        .value_kind:     by_value
      - .actual_access:  read_only
        .address_space:  global
        .offset:         64
        .size:           8
        .value_kind:     global_buffer
      - .offset:         72
        .size:           4
        .value_kind:     by_value
      - .offset:         76
        .size:           4
        .value_kind:     by_value
      - .offset:         80
        .size:           4
        .value_kind:     by_value
      - .actual_access:  write_only
        .address_space:  global
        .offset:         88
        .size:           8
        .value_kind:     global_buffer
      - .actual_access:  write_only
        .address_space:  global
        .offset:         96
        .size:           8
        .value_kind:     global_buffer
      - .actual_access:  write_only
        .address_space:  global
        .offset:         104
        .size:           8
        .value_kind:     global_buffer
      - .actual_access:  read_only
        .address_space:  global
        .offset:         112
        .size:           8
        .value_kind:     global_buffer
      - .offset:         120
        .size:           4
        .value_kind:     by_value
      - .address_space:  global
        .offset:         128
        .size:           8
        .value_kind:     global_buffer
      - .address_space:  global
        .offset:         136
        .size:           8
        .value_kind:     global_buffer
      - .offset:         144
        .size:           4
        .value_kind:     hidden_block_count_x
      - .offset:         148
        .size:           4
        .value_kind:     hidden_block_count_y
      - .offset:         152
        .size:           4
        .value_kind:     hidden_block_count_z
      - .offset:         156
        .size:           2
        .value_kind:     hidden_group_size_x
      - .offset:         158
        .size:           2
        .value_kind:     hidden_group_size_y
      - .offset:         160
        .size:           2
        .value_kind:     hidden_group_size_z
      - .offset:         162
        .size:           2
        .value_kind:     hidden_remainder_x
      - .offset:         164
        .size:           2
        .value_kind:     hidden_remainder_y
      - .offset:         166
        .size:           2
        .value_kind:     hidden_remainder_z
      - .offset:         184
        .size:           8
        .value_kind:     hidden_global_offset_x
      - .offset:         192
        .size:           8
        .value_kind:     hidden_global_offset_y
      - .offset:         200
        .size:           8
        .value_kind:     hidden_global_offset_z
      - .offset:         208
        .size:           2
        .value_kind:     hidden_grid_dims
    .group_segment_fixed_size: 17472
    .kernarg_segment_align: 8
    .kernarg_segment_size: 400
    .language:       OpenCL C
    .language_version:
      - 2
      - 0
    .max_flat_workgroup_size: 256
    .name:           _Z39paged_attention_ll4mi_QKV_mfma16_kernelI14__hip_bfloat16hLN4vllm18Fp8KVCacheDataTypeE1ES0_Li16ELi64ELi256ELb0ELi15EL8MFMAType1EEvPKT_PKT0_S9_ifPKiSB_SB_iPKfiiiPfSE_PS4_PT2_iSD_SD_
    .private_segment_fixed_size: 0
    .sgpr_count:     42
    .sgpr_spill_count: 0
    .symbol:         _Z39paged_attention_ll4mi_QKV_mfma16_kernelI14__hip_bfloat16hLN4vllm18Fp8KVCacheDataTypeE1ES0_Li16ELi64ELi256ELb0ELi15EL8MFMAType1EEvPKT_PKT0_S9_ifPKiSB_SB_iPKfiiiPfSE_PS4_PT2_iSD_SD_.kd
    .uniform_work_group_size: 1
    .uses_dynamic_stack: false
    .vgpr_count:     124
    .vgpr_spill_count: 0
    .wavefront_size: 32
    .workgroup_processor_mode: 1
  - .args:
      - .actual_access:  read_only
        .address_space:  global
        .offset:         0
        .size:           8
        .value_kind:     global_buffer
      - .actual_access:  read_only
        .address_space:  global
        .offset:         8
        .size:           8
        .value_kind:     global_buffer
      - .actual_access:  read_only
        .address_space:  global
        .offset:         16
        .size:           8
        .value_kind:     global_buffer
      - .offset:         24
        .size:           4
        .value_kind:     by_value
      - .offset:         28
        .size:           4
        .value_kind:     by_value
      - .actual_access:  read_only
        .address_space:  global
        .offset:         32
        .size:           8
        .value_kind:     global_buffer
      - .actual_access:  read_only
        .address_space:  global
        .offset:         40
        .size:           8
        .value_kind:     global_buffer
      - .actual_access:  read_only
        .address_space:  global
        .offset:         48
        .size:           8
        .value_kind:     global_buffer
      - .offset:         56
        .size:           4
        .value_kind:     by_value
      - .actual_access:  read_only
        .address_space:  global
        .offset:         64
        .size:           8
        .value_kind:     global_buffer
      - .offset:         72
        .size:           4
        .value_kind:     by_value
      - .offset:         76
        .size:           4
        .value_kind:     by_value
      - .offset:         80
        .size:           4
        .value_kind:     by_value
      - .actual_access:  write_only
        .address_space:  global
        .offset:         88
        .size:           8
        .value_kind:     global_buffer
      - .actual_access:  write_only
        .address_space:  global
        .offset:         96
        .size:           8
        .value_kind:     global_buffer
      - .actual_access:  write_only
        .address_space:  global
        .offset:         104
        .size:           8
        .value_kind:     global_buffer
      - .actual_access:  read_only
        .address_space:  global
        .offset:         112
        .size:           8
        .value_kind:     global_buffer
      - .offset:         120
        .size:           4
        .value_kind:     by_value
      - .address_space:  global
        .offset:         128
        .size:           8
        .value_kind:     global_buffer
      - .address_space:  global
        .offset:         136
        .size:           8
        .value_kind:     global_buffer
      - .offset:         144
        .size:           4
        .value_kind:     hidden_block_count_x
      - .offset:         148
        .size:           4
        .value_kind:     hidden_block_count_y
      - .offset:         152
        .size:           4
        .value_kind:     hidden_block_count_z
      - .offset:         156
        .size:           2
        .value_kind:     hidden_group_size_x
      - .offset:         158
        .size:           2
        .value_kind:     hidden_group_size_y
      - .offset:         160
        .size:           2
        .value_kind:     hidden_group_size_z
      - .offset:         162
        .size:           2
        .value_kind:     hidden_remainder_x
      - .offset:         164
        .size:           2
        .value_kind:     hidden_remainder_y
      - .offset:         166
        .size:           2
        .value_kind:     hidden_remainder_z
      - .offset:         184
        .size:           8
        .value_kind:     hidden_global_offset_x
      - .offset:         192
        .size:           8
        .value_kind:     hidden_global_offset_y
      - .offset:         200
        .size:           8
        .value_kind:     hidden_global_offset_z
      - .offset:         208
        .size:           2
        .value_kind:     hidden_grid_dims
    .group_segment_fixed_size: 17472
    .kernarg_segment_align: 8
    .kernarg_segment_size: 400
    .language:       OpenCL C
    .language_version:
      - 2
      - 0
    .max_flat_workgroup_size: 256
    .name:           _Z39paged_attention_ll4mi_QKV_mfma16_kernelI14__hip_bfloat16hLN4vllm18Fp8KVCacheDataTypeE1ES0_Li16ELi64ELi256ELb0ELi16EL8MFMAType1EEvPKT_PKT0_S9_ifPKiSB_SB_iPKfiiiPfSE_PS4_PT2_iSD_SD_
    .private_segment_fixed_size: 0
    .sgpr_count:     40
    .sgpr_spill_count: 0
    .symbol:         _Z39paged_attention_ll4mi_QKV_mfma16_kernelI14__hip_bfloat16hLN4vllm18Fp8KVCacheDataTypeE1ES0_Li16ELi64ELi256ELb0ELi16EL8MFMAType1EEvPKT_PKT0_S9_ifPKiSB_SB_iPKfiiiPfSE_PS4_PT2_iSD_SD_.kd
    .uniform_work_group_size: 1
    .uses_dynamic_stack: false
    .vgpr_count:     125
    .vgpr_spill_count: 0
    .wavefront_size: 32
    .workgroup_processor_mode: 1
  - .args:
      - .actual_access:  read_only
        .address_space:  global
        .offset:         0
        .size:           8
        .value_kind:     global_buffer
      - .actual_access:  read_only
        .address_space:  global
        .offset:         8
        .size:           8
        .value_kind:     global_buffer
      - .actual_access:  read_only
        .address_space:  global
        .offset:         16
        .size:           8
        .value_kind:     global_buffer
      - .offset:         24
        .size:           4
        .value_kind:     by_value
      - .offset:         28
        .size:           4
        .value_kind:     by_value
      - .actual_access:  read_only
        .address_space:  global
        .offset:         32
        .size:           8
        .value_kind:     global_buffer
      - .actual_access:  read_only
        .address_space:  global
        .offset:         40
        .size:           8
        .value_kind:     global_buffer
      - .actual_access:  read_only
        .address_space:  global
        .offset:         48
        .size:           8
        .value_kind:     global_buffer
      - .offset:         56
        .size:           4
        .value_kind:     by_value
      - .actual_access:  read_only
        .address_space:  global
        .offset:         64
        .size:           8
        .value_kind:     global_buffer
      - .offset:         72
        .size:           4
        .value_kind:     by_value
      - .offset:         76
        .size:           4
        .value_kind:     by_value
      - .offset:         80
        .size:           4
        .value_kind:     by_value
      - .actual_access:  write_only
        .address_space:  global
        .offset:         88
        .size:           8
        .value_kind:     global_buffer
      - .actual_access:  write_only
        .address_space:  global
        .offset:         96
        .size:           8
        .value_kind:     global_buffer
      - .actual_access:  write_only
        .address_space:  global
        .offset:         104
        .size:           8
        .value_kind:     global_buffer
      - .actual_access:  read_only
        .address_space:  global
        .offset:         112
        .size:           8
        .value_kind:     global_buffer
      - .offset:         120
        .size:           4
        .value_kind:     by_value
      - .address_space:  global
        .offset:         128
        .size:           8
        .value_kind:     global_buffer
      - .address_space:  global
        .offset:         136
        .size:           8
        .value_kind:     global_buffer
      - .offset:         144
        .size:           4
        .value_kind:     hidden_block_count_x
      - .offset:         148
        .size:           4
        .value_kind:     hidden_block_count_y
      - .offset:         152
        .size:           4
        .value_kind:     hidden_block_count_z
      - .offset:         156
        .size:           2
        .value_kind:     hidden_group_size_x
      - .offset:         158
        .size:           2
        .value_kind:     hidden_group_size_y
      - .offset:         160
        .size:           2
        .value_kind:     hidden_group_size_z
      - .offset:         162
        .size:           2
        .value_kind:     hidden_remainder_x
      - .offset:         164
        .size:           2
        .value_kind:     hidden_remainder_y
      - .offset:         166
        .size:           2
        .value_kind:     hidden_remainder_z
      - .offset:         184
        .size:           8
        .value_kind:     hidden_global_offset_x
      - .offset:         192
        .size:           8
        .value_kind:     hidden_global_offset_y
      - .offset:         200
        .size:           8
        .value_kind:     hidden_global_offset_z
      - .offset:         208
        .size:           2
        .value_kind:     hidden_grid_dims
    .group_segment_fixed_size: 17472
    .kernarg_segment_align: 8
    .kernarg_segment_size: 400
    .language:       OpenCL C
    .language_version:
      - 2
      - 0
    .max_flat_workgroup_size: 256
    .name:           _Z39paged_attention_ll4mi_QKV_mfma16_kernelI14__hip_bfloat16hLN4vllm18Fp8KVCacheDataTypeE1ES0_Li16ELi64ELi256ELb0ELi1EL8MFMAType1EEvPKT_PKT0_S9_ifPKiSB_SB_iPKfiiiPfSE_PS4_PT2_iSD_SD_
    .private_segment_fixed_size: 0
    .sgpr_count:     50
    .sgpr_spill_count: 0
    .symbol:         _Z39paged_attention_ll4mi_QKV_mfma16_kernelI14__hip_bfloat16hLN4vllm18Fp8KVCacheDataTypeE1ES0_Li16ELi64ELi256ELb0ELi1EL8MFMAType1EEvPKT_PKT0_S9_ifPKiSB_SB_iPKfiiiPfSE_PS4_PT2_iSD_SD_.kd
    .uniform_work_group_size: 1
    .uses_dynamic_stack: false
    .vgpr_count:     131
    .vgpr_spill_count: 0
    .wavefront_size: 32
    .workgroup_processor_mode: 1
  - .args:
      - .actual_access:  read_only
        .address_space:  global
        .offset:         0
        .size:           8
        .value_kind:     global_buffer
      - .actual_access:  read_only
        .address_space:  global
        .offset:         8
        .size:           8
        .value_kind:     global_buffer
      - .actual_access:  read_only
        .address_space:  global
        .offset:         16
        .size:           8
        .value_kind:     global_buffer
      - .offset:         24
        .size:           4
        .value_kind:     by_value
      - .offset:         28
        .size:           4
        .value_kind:     by_value
      - .actual_access:  read_only
        .address_space:  global
        .offset:         32
        .size:           8
        .value_kind:     global_buffer
      - .actual_access:  read_only
        .address_space:  global
        .offset:         40
        .size:           8
        .value_kind:     global_buffer
      - .actual_access:  read_only
        .address_space:  global
        .offset:         48
        .size:           8
        .value_kind:     global_buffer
      - .offset:         56
        .size:           4
        .value_kind:     by_value
      - .actual_access:  read_only
        .address_space:  global
        .offset:         64
        .size:           8
        .value_kind:     global_buffer
      - .offset:         72
        .size:           4
        .value_kind:     by_value
      - .offset:         76
        .size:           4
        .value_kind:     by_value
      - .offset:         80
        .size:           4
        .value_kind:     by_value
      - .actual_access:  write_only
        .address_space:  global
        .offset:         88
        .size:           8
        .value_kind:     global_buffer
      - .actual_access:  write_only
        .address_space:  global
        .offset:         96
        .size:           8
        .value_kind:     global_buffer
      - .actual_access:  write_only
        .address_space:  global
        .offset:         104
        .size:           8
        .value_kind:     global_buffer
      - .actual_access:  read_only
        .address_space:  global
        .offset:         112
        .size:           8
        .value_kind:     global_buffer
      - .offset:         120
        .size:           4
        .value_kind:     by_value
      - .address_space:  global
        .offset:         128
        .size:           8
        .value_kind:     global_buffer
      - .address_space:  global
        .offset:         136
        .size:           8
        .value_kind:     global_buffer
      - .offset:         144
        .size:           4
        .value_kind:     hidden_block_count_x
      - .offset:         148
        .size:           4
        .value_kind:     hidden_block_count_y
      - .offset:         152
        .size:           4
        .value_kind:     hidden_block_count_z
      - .offset:         156
        .size:           2
        .value_kind:     hidden_group_size_x
      - .offset:         158
        .size:           2
        .value_kind:     hidden_group_size_y
      - .offset:         160
        .size:           2
        .value_kind:     hidden_group_size_z
      - .offset:         162
        .size:           2
        .value_kind:     hidden_remainder_x
      - .offset:         164
        .size:           2
        .value_kind:     hidden_remainder_y
      - .offset:         166
        .size:           2
        .value_kind:     hidden_remainder_z
      - .offset:         184
        .size:           8
        .value_kind:     hidden_global_offset_x
      - .offset:         192
        .size:           8
        .value_kind:     hidden_global_offset_y
      - .offset:         200
        .size:           8
        .value_kind:     hidden_global_offset_z
      - .offset:         208
        .size:           2
        .value_kind:     hidden_grid_dims
    .group_segment_fixed_size: 17472
    .kernarg_segment_align: 8
    .kernarg_segment_size: 400
    .language:       OpenCL C
    .language_version:
      - 2
      - 0
    .max_flat_workgroup_size: 256
    .name:           _Z39paged_attention_ll4mi_QKV_mfma16_kernelI14__hip_bfloat16hLN4vllm18Fp8KVCacheDataTypeE1ES0_Li16ELi64ELi256ELb0ELi2EL8MFMAType1EEvPKT_PKT0_S9_ifPKiSB_SB_iPKfiiiPfSE_PS4_PT2_iSD_SD_
    .private_segment_fixed_size: 0
    .sgpr_count:     40
    .sgpr_spill_count: 0
    .symbol:         _Z39paged_attention_ll4mi_QKV_mfma16_kernelI14__hip_bfloat16hLN4vllm18Fp8KVCacheDataTypeE1ES0_Li16ELi64ELi256ELb0ELi2EL8MFMAType1EEvPKT_PKT0_S9_ifPKiSB_SB_iPKfiiiPfSE_PS4_PT2_iSD_SD_.kd
    .uniform_work_group_size: 1
    .uses_dynamic_stack: false
    .vgpr_count:     125
    .vgpr_spill_count: 0
    .wavefront_size: 32
    .workgroup_processor_mode: 1
  - .args:
      - .actual_access:  read_only
        .address_space:  global
        .offset:         0
        .size:           8
        .value_kind:     global_buffer
      - .actual_access:  read_only
        .address_space:  global
        .offset:         8
        .size:           8
        .value_kind:     global_buffer
      - .actual_access:  read_only
        .address_space:  global
        .offset:         16
        .size:           8
        .value_kind:     global_buffer
      - .offset:         24
        .size:           4
        .value_kind:     by_value
      - .offset:         28
        .size:           4
        .value_kind:     by_value
      - .actual_access:  read_only
        .address_space:  global
        .offset:         32
        .size:           8
        .value_kind:     global_buffer
      - .actual_access:  read_only
        .address_space:  global
        .offset:         40
        .size:           8
        .value_kind:     global_buffer
      - .actual_access:  read_only
        .address_space:  global
        .offset:         48
        .size:           8
        .value_kind:     global_buffer
      - .offset:         56
        .size:           4
        .value_kind:     by_value
      - .actual_access:  read_only
        .address_space:  global
        .offset:         64
        .size:           8
        .value_kind:     global_buffer
      - .offset:         72
        .size:           4
        .value_kind:     by_value
      - .offset:         76
        .size:           4
        .value_kind:     by_value
      - .offset:         80
        .size:           4
        .value_kind:     by_value
      - .actual_access:  write_only
        .address_space:  global
        .offset:         88
        .size:           8
        .value_kind:     global_buffer
      - .actual_access:  write_only
        .address_space:  global
        .offset:         96
        .size:           8
        .value_kind:     global_buffer
      - .actual_access:  write_only
        .address_space:  global
        .offset:         104
        .size:           8
        .value_kind:     global_buffer
      - .actual_access:  read_only
        .address_space:  global
        .offset:         112
        .size:           8
        .value_kind:     global_buffer
      - .offset:         120
        .size:           4
        .value_kind:     by_value
      - .address_space:  global
        .offset:         128
        .size:           8
        .value_kind:     global_buffer
      - .address_space:  global
        .offset:         136
        .size:           8
        .value_kind:     global_buffer
      - .offset:         144
        .size:           4
        .value_kind:     hidden_block_count_x
      - .offset:         148
        .size:           4
        .value_kind:     hidden_block_count_y
      - .offset:         152
        .size:           4
        .value_kind:     hidden_block_count_z
      - .offset:         156
        .size:           2
        .value_kind:     hidden_group_size_x
      - .offset:         158
        .size:           2
        .value_kind:     hidden_group_size_y
      - .offset:         160
        .size:           2
        .value_kind:     hidden_group_size_z
      - .offset:         162
        .size:           2
        .value_kind:     hidden_remainder_x
      - .offset:         164
        .size:           2
        .value_kind:     hidden_remainder_y
      - .offset:         166
        .size:           2
        .value_kind:     hidden_remainder_z
      - .offset:         184
        .size:           8
        .value_kind:     hidden_global_offset_x
      - .offset:         192
        .size:           8
        .value_kind:     hidden_global_offset_y
      - .offset:         200
        .size:           8
        .value_kind:     hidden_global_offset_z
      - .offset:         208
        .size:           2
        .value_kind:     hidden_grid_dims
    .group_segment_fixed_size: 17472
    .kernarg_segment_align: 8
    .kernarg_segment_size: 400
    .language:       OpenCL C
    .language_version:
      - 2
      - 0
    .max_flat_workgroup_size: 256
    .name:           _Z39paged_attention_ll4mi_QKV_mfma16_kernelI14__hip_bfloat16hLN4vllm18Fp8KVCacheDataTypeE1ES0_Li16ELi64ELi256ELb0ELi3EL8MFMAType1EEvPKT_PKT0_S9_ifPKiSB_SB_iPKfiiiPfSE_PS4_PT2_iSD_SD_
    .private_segment_fixed_size: 0
    .sgpr_count:     42
    .sgpr_spill_count: 0
    .symbol:         _Z39paged_attention_ll4mi_QKV_mfma16_kernelI14__hip_bfloat16hLN4vllm18Fp8KVCacheDataTypeE1ES0_Li16ELi64ELi256ELb0ELi3EL8MFMAType1EEvPKT_PKT0_S9_ifPKiSB_SB_iPKfiiiPfSE_PS4_PT2_iSD_SD_.kd
    .uniform_work_group_size: 1
    .uses_dynamic_stack: false
    .vgpr_count:     124
    .vgpr_spill_count: 0
    .wavefront_size: 32
    .workgroup_processor_mode: 1
  - .args:
      - .actual_access:  read_only
        .address_space:  global
        .offset:         0
        .size:           8
        .value_kind:     global_buffer
      - .actual_access:  read_only
        .address_space:  global
        .offset:         8
        .size:           8
        .value_kind:     global_buffer
      - .actual_access:  read_only
        .address_space:  global
        .offset:         16
        .size:           8
        .value_kind:     global_buffer
      - .offset:         24
        .size:           4
        .value_kind:     by_value
      - .offset:         28
        .size:           4
        .value_kind:     by_value
      - .actual_access:  read_only
        .address_space:  global
        .offset:         32
        .size:           8
        .value_kind:     global_buffer
      - .actual_access:  read_only
        .address_space:  global
        .offset:         40
        .size:           8
        .value_kind:     global_buffer
      - .actual_access:  read_only
        .address_space:  global
        .offset:         48
        .size:           8
        .value_kind:     global_buffer
      - .offset:         56
        .size:           4
        .value_kind:     by_value
      - .actual_access:  read_only
        .address_space:  global
        .offset:         64
        .size:           8
        .value_kind:     global_buffer
      - .offset:         72
        .size:           4
        .value_kind:     by_value
      - .offset:         76
        .size:           4
        .value_kind:     by_value
      - .offset:         80
        .size:           4
        .value_kind:     by_value
      - .actual_access:  write_only
        .address_space:  global
        .offset:         88
        .size:           8
        .value_kind:     global_buffer
      - .actual_access:  write_only
        .address_space:  global
        .offset:         96
        .size:           8
        .value_kind:     global_buffer
      - .actual_access:  write_only
        .address_space:  global
        .offset:         104
        .size:           8
        .value_kind:     global_buffer
      - .actual_access:  read_only
        .address_space:  global
        .offset:         112
        .size:           8
        .value_kind:     global_buffer
      - .offset:         120
        .size:           4
        .value_kind:     by_value
      - .address_space:  global
        .offset:         128
        .size:           8
        .value_kind:     global_buffer
      - .address_space:  global
        .offset:         136
        .size:           8
        .value_kind:     global_buffer
      - .offset:         144
        .size:           4
        .value_kind:     hidden_block_count_x
      - .offset:         148
        .size:           4
        .value_kind:     hidden_block_count_y
      - .offset:         152
        .size:           4
        .value_kind:     hidden_block_count_z
      - .offset:         156
        .size:           2
        .value_kind:     hidden_group_size_x
      - .offset:         158
        .size:           2
        .value_kind:     hidden_group_size_y
      - .offset:         160
        .size:           2
        .value_kind:     hidden_group_size_z
      - .offset:         162
        .size:           2
        .value_kind:     hidden_remainder_x
      - .offset:         164
        .size:           2
        .value_kind:     hidden_remainder_y
      - .offset:         166
        .size:           2
        .value_kind:     hidden_remainder_z
      - .offset:         184
        .size:           8
        .value_kind:     hidden_global_offset_x
      - .offset:         192
        .size:           8
        .value_kind:     hidden_global_offset_y
      - .offset:         200
        .size:           8
        .value_kind:     hidden_global_offset_z
      - .offset:         208
        .size:           2
        .value_kind:     hidden_grid_dims
    .group_segment_fixed_size: 17472
    .kernarg_segment_align: 8
    .kernarg_segment_size: 400
    .language:       OpenCL C
    .language_version:
      - 2
      - 0
    .max_flat_workgroup_size: 256
    .name:           _Z39paged_attention_ll4mi_QKV_mfma16_kernelI14__hip_bfloat16hLN4vllm18Fp8KVCacheDataTypeE1ES0_Li16ELi64ELi256ELb0ELi4EL8MFMAType1EEvPKT_PKT0_S9_ifPKiSB_SB_iPKfiiiPfSE_PS4_PT2_iSD_SD_
    .private_segment_fixed_size: 0
    .sgpr_count:     40
    .sgpr_spill_count: 0
    .symbol:         _Z39paged_attention_ll4mi_QKV_mfma16_kernelI14__hip_bfloat16hLN4vllm18Fp8KVCacheDataTypeE1ES0_Li16ELi64ELi256ELb0ELi4EL8MFMAType1EEvPKT_PKT0_S9_ifPKiSB_SB_iPKfiiiPfSE_PS4_PT2_iSD_SD_.kd
    .uniform_work_group_size: 1
    .uses_dynamic_stack: false
    .vgpr_count:     124
    .vgpr_spill_count: 0
    .wavefront_size: 32
    .workgroup_processor_mode: 1
  - .args:
      - .actual_access:  read_only
        .address_space:  global
        .offset:         0
        .size:           8
        .value_kind:     global_buffer
      - .actual_access:  read_only
        .address_space:  global
        .offset:         8
        .size:           8
        .value_kind:     global_buffer
      - .actual_access:  read_only
        .address_space:  global
        .offset:         16
        .size:           8
        .value_kind:     global_buffer
      - .offset:         24
        .size:           4
        .value_kind:     by_value
      - .offset:         28
        .size:           4
        .value_kind:     by_value
      - .actual_access:  read_only
        .address_space:  global
        .offset:         32
        .size:           8
        .value_kind:     global_buffer
      - .actual_access:  read_only
        .address_space:  global
        .offset:         40
        .size:           8
        .value_kind:     global_buffer
      - .actual_access:  read_only
        .address_space:  global
        .offset:         48
        .size:           8
        .value_kind:     global_buffer
      - .offset:         56
        .size:           4
        .value_kind:     by_value
      - .actual_access:  read_only
        .address_space:  global
        .offset:         64
        .size:           8
        .value_kind:     global_buffer
      - .offset:         72
        .size:           4
        .value_kind:     by_value
      - .offset:         76
        .size:           4
        .value_kind:     by_value
      - .offset:         80
        .size:           4
        .value_kind:     by_value
      - .actual_access:  read_only
        .address_space:  global
        .offset:         88
        .size:           8
        .value_kind:     global_buffer
      - .actual_access:  read_only
        .address_space:  global
        .offset:         96
        .size:           8
        .value_kind:     global_buffer
      - .actual_access:  read_only
        .address_space:  global
        .offset:         104
        .size:           8
        .value_kind:     global_buffer
      - .actual_access:  read_only
        .address_space:  global
        .offset:         112
        .size:           8
        .value_kind:     global_buffer
      - .offset:         120
        .size:           4
        .value_kind:     by_value
      - .address_space:  global
        .offset:         128
        .size:           8
        .value_kind:     global_buffer
      - .address_space:  global
        .offset:         136
        .size:           8
        .value_kind:     global_buffer
      - .offset:         144
        .size:           4
        .value_kind:     hidden_block_count_x
      - .offset:         148
        .size:           4
        .value_kind:     hidden_block_count_y
      - .offset:         152
        .size:           4
        .value_kind:     hidden_block_count_z
      - .offset:         156
        .size:           2
        .value_kind:     hidden_group_size_x
      - .offset:         158
        .size:           2
        .value_kind:     hidden_group_size_y
      - .offset:         160
        .size:           2
        .value_kind:     hidden_group_size_z
      - .offset:         162
        .size:           2
        .value_kind:     hidden_remainder_x
      - .offset:         164
        .size:           2
        .value_kind:     hidden_remainder_y
      - .offset:         166
        .size:           2
        .value_kind:     hidden_remainder_z
      - .offset:         184
        .size:           8
        .value_kind:     hidden_global_offset_x
      - .offset:         192
        .size:           8
        .value_kind:     hidden_global_offset_y
      - .offset:         200
        .size:           8
        .value_kind:     hidden_global_offset_z
      - .offset:         208
        .size:           2
        .value_kind:     hidden_grid_dims
      - .offset:         224
        .size:           8
        .value_kind:     hidden_hostcall_buffer
    .group_segment_fixed_size: 0
    .kernarg_segment_align: 8
    .kernarg_segment_size: 400
    .language:       OpenCL C
    .language_version:
      - 2
      - 0
    .max_flat_workgroup_size: 256
    .name:           _Z38paged_attention_ll4mi_QKV_mfma4_kernelI14__hip_bfloat16hLN4vllm18Fp8KVCacheDataTypeE1EhLi32ELi64ELi256ELb1ELi1EEvPKT_PKT0_S8_ifPKiSA_SA_iPKfiiiPfSD_PS3_PT2_iSC_SC_
    .private_segment_fixed_size: 64
    .sgpr_count:     36
    .sgpr_spill_count: 0
    .symbol:         _Z38paged_attention_ll4mi_QKV_mfma4_kernelI14__hip_bfloat16hLN4vllm18Fp8KVCacheDataTypeE1EhLi32ELi64ELi256ELb1ELi1EEvPKT_PKT0_S8_ifPKiSA_SA_iPKfiiiPfSD_PS3_PT2_iSC_SC_.kd
    .uniform_work_group_size: 1
    .uses_dynamic_stack: false
    .vgpr_count:     41
    .vgpr_spill_count: 0
    .wavefront_size: 32
    .workgroup_processor_mode: 1
  - .args:
      - .actual_access:  read_only
        .address_space:  global
        .offset:         0
        .size:           8
        .value_kind:     global_buffer
      - .actual_access:  read_only
        .address_space:  global
        .offset:         8
        .size:           8
        .value_kind:     global_buffer
      - .actual_access:  read_only
        .address_space:  global
        .offset:         16
        .size:           8
        .value_kind:     global_buffer
      - .offset:         24
        .size:           4
        .value_kind:     by_value
      - .offset:         28
        .size:           4
        .value_kind:     by_value
      - .actual_access:  read_only
        .address_space:  global
        .offset:         32
        .size:           8
        .value_kind:     global_buffer
      - .actual_access:  read_only
        .address_space:  global
        .offset:         40
        .size:           8
        .value_kind:     global_buffer
      - .actual_access:  read_only
        .address_space:  global
        .offset:         48
        .size:           8
        .value_kind:     global_buffer
      - .offset:         56
        .size:           4
        .value_kind:     by_value
      - .actual_access:  read_only
        .address_space:  global
        .offset:         64
        .size:           8
        .value_kind:     global_buffer
      - .offset:         72
        .size:           4
        .value_kind:     by_value
      - .offset:         76
        .size:           4
        .value_kind:     by_value
      - .offset:         80
        .size:           4
        .value_kind:     by_value
      - .actual_access:  read_only
        .address_space:  global
        .offset:         88
        .size:           8
        .value_kind:     global_buffer
      - .actual_access:  read_only
        .address_space:  global
        .offset:         96
        .size:           8
        .value_kind:     global_buffer
      - .actual_access:  read_only
        .address_space:  global
        .offset:         104
        .size:           8
        .value_kind:     global_buffer
      - .actual_access:  read_only
        .address_space:  global
        .offset:         112
        .size:           8
        .value_kind:     global_buffer
      - .offset:         120
        .size:           4
        .value_kind:     by_value
      - .address_space:  global
        .offset:         128
        .size:           8
        .value_kind:     global_buffer
      - .address_space:  global
        .offset:         136
        .size:           8
        .value_kind:     global_buffer
      - .offset:         144
        .size:           4
        .value_kind:     hidden_block_count_x
      - .offset:         148
        .size:           4
        .value_kind:     hidden_block_count_y
      - .offset:         152
        .size:           4
        .value_kind:     hidden_block_count_z
      - .offset:         156
        .size:           2
        .value_kind:     hidden_group_size_x
      - .offset:         158
        .size:           2
        .value_kind:     hidden_group_size_y
      - .offset:         160
        .size:           2
        .value_kind:     hidden_group_size_z
      - .offset:         162
        .size:           2
        .value_kind:     hidden_remainder_x
      - .offset:         164
        .size:           2
        .value_kind:     hidden_remainder_y
      - .offset:         166
        .size:           2
        .value_kind:     hidden_remainder_z
      - .offset:         184
        .size:           8
        .value_kind:     hidden_global_offset_x
      - .offset:         192
        .size:           8
        .value_kind:     hidden_global_offset_y
      - .offset:         200
        .size:           8
        .value_kind:     hidden_global_offset_z
      - .offset:         208
        .size:           2
        .value_kind:     hidden_grid_dims
      - .offset:         224
        .size:           8
        .value_kind:     hidden_hostcall_buffer
    .group_segment_fixed_size: 0
    .kernarg_segment_align: 8
    .kernarg_segment_size: 400
    .language:       OpenCL C
    .language_version:
      - 2
      - 0
    .max_flat_workgroup_size: 256
    .name:           _Z38paged_attention_ll4mi_QKV_mfma4_kernelI14__hip_bfloat16hLN4vllm18Fp8KVCacheDataTypeE1EhLi32ELi64ELi256ELb1ELi2EEvPKT_PKT0_S8_ifPKiSA_SA_iPKfiiiPfSD_PS3_PT2_iSC_SC_
    .private_segment_fixed_size: 64
    .sgpr_count:     36
    .sgpr_spill_count: 0
    .symbol:         _Z38paged_attention_ll4mi_QKV_mfma4_kernelI14__hip_bfloat16hLN4vllm18Fp8KVCacheDataTypeE1EhLi32ELi64ELi256ELb1ELi2EEvPKT_PKT0_S8_ifPKiSA_SA_iPKfiiiPfSD_PS3_PT2_iSC_SC_.kd
    .uniform_work_group_size: 1
    .uses_dynamic_stack: false
    .vgpr_count:     41
    .vgpr_spill_count: 0
    .wavefront_size: 32
    .workgroup_processor_mode: 1
  - .args:
      - .actual_access:  read_only
        .address_space:  global
        .offset:         0
        .size:           8
        .value_kind:     global_buffer
      - .actual_access:  read_only
        .address_space:  global
        .offset:         8
        .size:           8
        .value_kind:     global_buffer
      - .actual_access:  read_only
        .address_space:  global
        .offset:         16
        .size:           8
        .value_kind:     global_buffer
      - .offset:         24
        .size:           4
        .value_kind:     by_value
      - .offset:         28
        .size:           4
        .value_kind:     by_value
      - .actual_access:  read_only
        .address_space:  global
        .offset:         32
        .size:           8
        .value_kind:     global_buffer
      - .actual_access:  read_only
        .address_space:  global
        .offset:         40
        .size:           8
        .value_kind:     global_buffer
      - .actual_access:  read_only
        .address_space:  global
        .offset:         48
        .size:           8
        .value_kind:     global_buffer
      - .offset:         56
        .size:           4
        .value_kind:     by_value
      - .actual_access:  read_only
        .address_space:  global
        .offset:         64
        .size:           8
        .value_kind:     global_buffer
      - .offset:         72
        .size:           4
        .value_kind:     by_value
      - .offset:         76
        .size:           4
        .value_kind:     by_value
      - .offset:         80
        .size:           4
        .value_kind:     by_value
      - .actual_access:  read_only
        .address_space:  global
        .offset:         88
        .size:           8
        .value_kind:     global_buffer
      - .actual_access:  read_only
        .address_space:  global
        .offset:         96
        .size:           8
        .value_kind:     global_buffer
      - .actual_access:  read_only
        .address_space:  global
        .offset:         104
        .size:           8
        .value_kind:     global_buffer
      - .actual_access:  read_only
        .address_space:  global
        .offset:         112
        .size:           8
        .value_kind:     global_buffer
      - .offset:         120
        .size:           4
        .value_kind:     by_value
      - .address_space:  global
        .offset:         128
        .size:           8
        .value_kind:     global_buffer
      - .address_space:  global
        .offset:         136
        .size:           8
        .value_kind:     global_buffer
      - .offset:         144
        .size:           4
        .value_kind:     hidden_block_count_x
      - .offset:         148
        .size:           4
        .value_kind:     hidden_block_count_y
      - .offset:         152
        .size:           4
        .value_kind:     hidden_block_count_z
      - .offset:         156
        .size:           2
        .value_kind:     hidden_group_size_x
      - .offset:         158
        .size:           2
        .value_kind:     hidden_group_size_y
      - .offset:         160
        .size:           2
        .value_kind:     hidden_group_size_z
      - .offset:         162
        .size:           2
        .value_kind:     hidden_remainder_x
      - .offset:         164
        .size:           2
        .value_kind:     hidden_remainder_y
      - .offset:         166
        .size:           2
        .value_kind:     hidden_remainder_z
      - .offset:         184
        .size:           8
        .value_kind:     hidden_global_offset_x
      - .offset:         192
        .size:           8
        .value_kind:     hidden_global_offset_y
      - .offset:         200
        .size:           8
        .value_kind:     hidden_global_offset_z
      - .offset:         208
        .size:           2
        .value_kind:     hidden_grid_dims
      - .offset:         224
        .size:           8
        .value_kind:     hidden_hostcall_buffer
    .group_segment_fixed_size: 0
    .kernarg_segment_align: 8
    .kernarg_segment_size: 400
    .language:       OpenCL C
    .language_version:
      - 2
      - 0
    .max_flat_workgroup_size: 256
    .name:           _Z38paged_attention_ll4mi_QKV_mfma4_kernelI14__hip_bfloat16hLN4vllm18Fp8KVCacheDataTypeE1EhLi32ELi64ELi256ELb1ELi3EEvPKT_PKT0_S8_ifPKiSA_SA_iPKfiiiPfSD_PS3_PT2_iSC_SC_
    .private_segment_fixed_size: 64
    .sgpr_count:     36
    .sgpr_spill_count: 0
    .symbol:         _Z38paged_attention_ll4mi_QKV_mfma4_kernelI14__hip_bfloat16hLN4vllm18Fp8KVCacheDataTypeE1EhLi32ELi64ELi256ELb1ELi3EEvPKT_PKT0_S8_ifPKiSA_SA_iPKfiiiPfSD_PS3_PT2_iSC_SC_.kd
    .uniform_work_group_size: 1
    .uses_dynamic_stack: false
    .vgpr_count:     41
    .vgpr_spill_count: 0
    .wavefront_size: 32
    .workgroup_processor_mode: 1
  - .args:
      - .actual_access:  read_only
        .address_space:  global
        .offset:         0
        .size:           8
        .value_kind:     global_buffer
      - .actual_access:  read_only
        .address_space:  global
        .offset:         8
        .size:           8
        .value_kind:     global_buffer
      - .actual_access:  read_only
        .address_space:  global
        .offset:         16
        .size:           8
        .value_kind:     global_buffer
      - .offset:         24
        .size:           4
        .value_kind:     by_value
      - .offset:         28
        .size:           4
        .value_kind:     by_value
      - .actual_access:  read_only
        .address_space:  global
        .offset:         32
        .size:           8
        .value_kind:     global_buffer
      - .actual_access:  read_only
        .address_space:  global
        .offset:         40
        .size:           8
        .value_kind:     global_buffer
      - .actual_access:  read_only
        .address_space:  global
        .offset:         48
        .size:           8
        .value_kind:     global_buffer
      - .offset:         56
        .size:           4
        .value_kind:     by_value
      - .actual_access:  read_only
        .address_space:  global
        .offset:         64
        .size:           8
        .value_kind:     global_buffer
      - .offset:         72
        .size:           4
        .value_kind:     by_value
      - .offset:         76
        .size:           4
        .value_kind:     by_value
      - .offset:         80
        .size:           4
        .value_kind:     by_value
      - .actual_access:  read_only
        .address_space:  global
        .offset:         88
        .size:           8
        .value_kind:     global_buffer
      - .actual_access:  read_only
        .address_space:  global
        .offset:         96
        .size:           8
        .value_kind:     global_buffer
      - .actual_access:  read_only
        .address_space:  global
        .offset:         104
        .size:           8
        .value_kind:     global_buffer
      - .actual_access:  read_only
        .address_space:  global
        .offset:         112
        .size:           8
        .value_kind:     global_buffer
      - .offset:         120
        .size:           4
        .value_kind:     by_value
      - .address_space:  global
        .offset:         128
        .size:           8
        .value_kind:     global_buffer
      - .address_space:  global
        .offset:         136
        .size:           8
        .value_kind:     global_buffer
      - .offset:         144
        .size:           4
        .value_kind:     hidden_block_count_x
      - .offset:         148
        .size:           4
        .value_kind:     hidden_block_count_y
      - .offset:         152
        .size:           4
        .value_kind:     hidden_block_count_z
      - .offset:         156
        .size:           2
        .value_kind:     hidden_group_size_x
      - .offset:         158
        .size:           2
        .value_kind:     hidden_group_size_y
      - .offset:         160
        .size:           2
        .value_kind:     hidden_group_size_z
      - .offset:         162
        .size:           2
        .value_kind:     hidden_remainder_x
      - .offset:         164
        .size:           2
        .value_kind:     hidden_remainder_y
      - .offset:         166
        .size:           2
        .value_kind:     hidden_remainder_z
      - .offset:         184
        .size:           8
        .value_kind:     hidden_global_offset_x
      - .offset:         192
        .size:           8
        .value_kind:     hidden_global_offset_y
      - .offset:         200
        .size:           8
        .value_kind:     hidden_global_offset_z
      - .offset:         208
        .size:           2
        .value_kind:     hidden_grid_dims
      - .offset:         224
        .size:           8
        .value_kind:     hidden_hostcall_buffer
    .group_segment_fixed_size: 0
    .kernarg_segment_align: 8
    .kernarg_segment_size: 400
    .language:       OpenCL C
    .language_version:
      - 2
      - 0
    .max_flat_workgroup_size: 256
    .name:           _Z38paged_attention_ll4mi_QKV_mfma4_kernelI14__hip_bfloat16hLN4vllm18Fp8KVCacheDataTypeE1EhLi32ELi64ELi256ELb1ELi4EEvPKT_PKT0_S8_ifPKiSA_SA_iPKfiiiPfSD_PS3_PT2_iSC_SC_
    .private_segment_fixed_size: 64
    .sgpr_count:     36
    .sgpr_spill_count: 0
    .symbol:         _Z38paged_attention_ll4mi_QKV_mfma4_kernelI14__hip_bfloat16hLN4vllm18Fp8KVCacheDataTypeE1EhLi32ELi64ELi256ELb1ELi4EEvPKT_PKT0_S8_ifPKiSA_SA_iPKfiiiPfSD_PS3_PT2_iSC_SC_.kd
    .uniform_work_group_size: 1
    .uses_dynamic_stack: false
    .vgpr_count:     41
    .vgpr_spill_count: 0
    .wavefront_size: 32
    .workgroup_processor_mode: 1
  - .args:
      - .actual_access:  read_only
        .address_space:  global
        .offset:         0
        .size:           8
        .value_kind:     global_buffer
      - .actual_access:  read_only
        .address_space:  global
        .offset:         8
        .size:           8
        .value_kind:     global_buffer
      - .actual_access:  read_only
        .address_space:  global
        .offset:         16
        .size:           8
        .value_kind:     global_buffer
      - .offset:         24
        .size:           4
        .value_kind:     by_value
      - .offset:         28
        .size:           4
        .value_kind:     by_value
      - .actual_access:  read_only
        .address_space:  global
        .offset:         32
        .size:           8
        .value_kind:     global_buffer
      - .actual_access:  read_only
        .address_space:  global
        .offset:         40
        .size:           8
        .value_kind:     global_buffer
      - .actual_access:  read_only
        .address_space:  global
        .offset:         48
        .size:           8
        .value_kind:     global_buffer
      - .offset:         56
        .size:           4
        .value_kind:     by_value
      - .actual_access:  read_only
        .address_space:  global
        .offset:         64
        .size:           8
        .value_kind:     global_buffer
      - .offset:         72
        .size:           4
        .value_kind:     by_value
      - .offset:         76
        .size:           4
        .value_kind:     by_value
      - .offset:         80
        .size:           4
        .value_kind:     by_value
      - .actual_access:  write_only
        .address_space:  global
        .offset:         88
        .size:           8
        .value_kind:     global_buffer
      - .actual_access:  write_only
        .address_space:  global
        .offset:         96
        .size:           8
        .value_kind:     global_buffer
      - .actual_access:  write_only
        .address_space:  global
        .offset:         104
        .size:           8
        .value_kind:     global_buffer
      - .actual_access:  read_only
        .address_space:  global
        .offset:         112
        .size:           8
        .value_kind:     global_buffer
      - .offset:         120
        .size:           4
        .value_kind:     by_value
      - .address_space:  global
        .offset:         128
        .size:           8
        .value_kind:     global_buffer
      - .address_space:  global
        .offset:         136
        .size:           8
        .value_kind:     global_buffer
      - .offset:         144
        .size:           4
        .value_kind:     hidden_block_count_x
      - .offset:         148
        .size:           4
        .value_kind:     hidden_block_count_y
      - .offset:         152
        .size:           4
        .value_kind:     hidden_block_count_z
      - .offset:         156
        .size:           2
        .value_kind:     hidden_group_size_x
      - .offset:         158
        .size:           2
        .value_kind:     hidden_group_size_y
      - .offset:         160
        .size:           2
        .value_kind:     hidden_group_size_z
      - .offset:         162
        .size:           2
        .value_kind:     hidden_remainder_x
      - .offset:         164
        .size:           2
        .value_kind:     hidden_remainder_y
      - .offset:         166
        .size:           2
        .value_kind:     hidden_remainder_z
      - .offset:         184
        .size:           8
        .value_kind:     hidden_global_offset_x
      - .offset:         192
        .size:           8
        .value_kind:     hidden_global_offset_y
      - .offset:         200
        .size:           8
        .value_kind:     hidden_global_offset_z
      - .offset:         208
        .size:           2
        .value_kind:     hidden_grid_dims
    .group_segment_fixed_size: 17472
    .kernarg_segment_align: 8
    .kernarg_segment_size: 400
    .language:       OpenCL C
    .language_version:
      - 2
      - 0
    .max_flat_workgroup_size: 256
    .name:           _Z39paged_attention_ll4mi_QKV_mfma16_kernelI14__hip_bfloat16hLN4vllm18Fp8KVCacheDataTypeE1EhLi32ELi64ELi256ELb1ELi5EL8MFMAType1EEvPKT_PKT0_S9_ifPKiSB_SB_iPKfiiiPfSE_PS4_PT2_iSD_SD_
    .private_segment_fixed_size: 0
    .sgpr_count:     44
    .sgpr_spill_count: 0
    .symbol:         _Z39paged_attention_ll4mi_QKV_mfma16_kernelI14__hip_bfloat16hLN4vllm18Fp8KVCacheDataTypeE1EhLi32ELi64ELi256ELb1ELi5EL8MFMAType1EEvPKT_PKT0_S9_ifPKiSB_SB_iPKfiiiPfSE_PS4_PT2_iSD_SD_.kd
    .uniform_work_group_size: 1
    .uses_dynamic_stack: false
    .vgpr_count:     124
    .vgpr_spill_count: 0
    .wavefront_size: 32
    .workgroup_processor_mode: 1
  - .args:
      - .actual_access:  read_only
        .address_space:  global
        .offset:         0
        .size:           8
        .value_kind:     global_buffer
      - .actual_access:  read_only
        .address_space:  global
        .offset:         8
        .size:           8
        .value_kind:     global_buffer
      - .actual_access:  read_only
        .address_space:  global
        .offset:         16
        .size:           8
        .value_kind:     global_buffer
      - .offset:         24
        .size:           4
        .value_kind:     by_value
      - .offset:         28
        .size:           4
        .value_kind:     by_value
      - .actual_access:  read_only
        .address_space:  global
        .offset:         32
        .size:           8
        .value_kind:     global_buffer
      - .actual_access:  read_only
        .address_space:  global
        .offset:         40
        .size:           8
        .value_kind:     global_buffer
      - .actual_access:  read_only
        .address_space:  global
        .offset:         48
        .size:           8
        .value_kind:     global_buffer
      - .offset:         56
        .size:           4
        .value_kind:     by_value
      - .actual_access:  read_only
        .address_space:  global
        .offset:         64
        .size:           8
        .value_kind:     global_buffer
      - .offset:         72
        .size:           4
        .value_kind:     by_value
      - .offset:         76
        .size:           4
        .value_kind:     by_value
      - .offset:         80
        .size:           4
        .value_kind:     by_value
      - .actual_access:  write_only
        .address_space:  global
        .offset:         88
        .size:           8
        .value_kind:     global_buffer
      - .actual_access:  write_only
        .address_space:  global
        .offset:         96
        .size:           8
        .value_kind:     global_buffer
      - .actual_access:  write_only
        .address_space:  global
        .offset:         104
        .size:           8
        .value_kind:     global_buffer
      - .actual_access:  read_only
        .address_space:  global
        .offset:         112
        .size:           8
        .value_kind:     global_buffer
      - .offset:         120
        .size:           4
        .value_kind:     by_value
      - .address_space:  global
        .offset:         128
        .size:           8
        .value_kind:     global_buffer
      - .address_space:  global
        .offset:         136
        .size:           8
        .value_kind:     global_buffer
      - .offset:         144
        .size:           4
        .value_kind:     hidden_block_count_x
      - .offset:         148
        .size:           4
        .value_kind:     hidden_block_count_y
      - .offset:         152
        .size:           4
        .value_kind:     hidden_block_count_z
      - .offset:         156
        .size:           2
        .value_kind:     hidden_group_size_x
      - .offset:         158
        .size:           2
        .value_kind:     hidden_group_size_y
      - .offset:         160
        .size:           2
        .value_kind:     hidden_group_size_z
      - .offset:         162
        .size:           2
        .value_kind:     hidden_remainder_x
      - .offset:         164
        .size:           2
        .value_kind:     hidden_remainder_y
      - .offset:         166
        .size:           2
        .value_kind:     hidden_remainder_z
      - .offset:         184
        .size:           8
        .value_kind:     hidden_global_offset_x
      - .offset:         192
        .size:           8
        .value_kind:     hidden_global_offset_y
      - .offset:         200
        .size:           8
        .value_kind:     hidden_global_offset_z
      - .offset:         208
        .size:           2
        .value_kind:     hidden_grid_dims
    .group_segment_fixed_size: 17472
    .kernarg_segment_align: 8
    .kernarg_segment_size: 400
    .language:       OpenCL C
    .language_version:
      - 2
      - 0
    .max_flat_workgroup_size: 256
    .name:           _Z39paged_attention_ll4mi_QKV_mfma16_kernelI14__hip_bfloat16hLN4vllm18Fp8KVCacheDataTypeE1EhLi32ELi64ELi256ELb1ELi6EL8MFMAType1EEvPKT_PKT0_S9_ifPKiSB_SB_iPKfiiiPfSE_PS4_PT2_iSD_SD_
    .private_segment_fixed_size: 0
    .sgpr_count:     42
    .sgpr_spill_count: 0
    .symbol:         _Z39paged_attention_ll4mi_QKV_mfma16_kernelI14__hip_bfloat16hLN4vllm18Fp8KVCacheDataTypeE1EhLi32ELi64ELi256ELb1ELi6EL8MFMAType1EEvPKT_PKT0_S9_ifPKiSB_SB_iPKfiiiPfSE_PS4_PT2_iSD_SD_.kd
    .uniform_work_group_size: 1
    .uses_dynamic_stack: false
    .vgpr_count:     124
    .vgpr_spill_count: 0
    .wavefront_size: 32
    .workgroup_processor_mode: 1
  - .args:
      - .actual_access:  read_only
        .address_space:  global
        .offset:         0
        .size:           8
        .value_kind:     global_buffer
      - .actual_access:  read_only
        .address_space:  global
        .offset:         8
        .size:           8
        .value_kind:     global_buffer
      - .actual_access:  read_only
        .address_space:  global
        .offset:         16
        .size:           8
        .value_kind:     global_buffer
      - .offset:         24
        .size:           4
        .value_kind:     by_value
      - .offset:         28
        .size:           4
        .value_kind:     by_value
      - .actual_access:  read_only
        .address_space:  global
        .offset:         32
        .size:           8
        .value_kind:     global_buffer
      - .actual_access:  read_only
        .address_space:  global
        .offset:         40
        .size:           8
        .value_kind:     global_buffer
      - .actual_access:  read_only
        .address_space:  global
        .offset:         48
        .size:           8
        .value_kind:     global_buffer
      - .offset:         56
        .size:           4
        .value_kind:     by_value
      - .actual_access:  read_only
        .address_space:  global
        .offset:         64
        .size:           8
        .value_kind:     global_buffer
      - .offset:         72
        .size:           4
        .value_kind:     by_value
      - .offset:         76
        .size:           4
        .value_kind:     by_value
      - .offset:         80
        .size:           4
        .value_kind:     by_value
      - .actual_access:  write_only
        .address_space:  global
        .offset:         88
        .size:           8
        .value_kind:     global_buffer
      - .actual_access:  write_only
        .address_space:  global
        .offset:         96
        .size:           8
        .value_kind:     global_buffer
      - .actual_access:  write_only
        .address_space:  global
        .offset:         104
        .size:           8
        .value_kind:     global_buffer
      - .actual_access:  read_only
        .address_space:  global
        .offset:         112
        .size:           8
        .value_kind:     global_buffer
      - .offset:         120
        .size:           4
        .value_kind:     by_value
      - .address_space:  global
        .offset:         128
        .size:           8
        .value_kind:     global_buffer
      - .address_space:  global
        .offset:         136
        .size:           8
        .value_kind:     global_buffer
      - .offset:         144
        .size:           4
        .value_kind:     hidden_block_count_x
      - .offset:         148
        .size:           4
        .value_kind:     hidden_block_count_y
      - .offset:         152
        .size:           4
        .value_kind:     hidden_block_count_z
      - .offset:         156
        .size:           2
        .value_kind:     hidden_group_size_x
      - .offset:         158
        .size:           2
        .value_kind:     hidden_group_size_y
      - .offset:         160
        .size:           2
        .value_kind:     hidden_group_size_z
      - .offset:         162
        .size:           2
        .value_kind:     hidden_remainder_x
      - .offset:         164
        .size:           2
        .value_kind:     hidden_remainder_y
      - .offset:         166
        .size:           2
        .value_kind:     hidden_remainder_z
      - .offset:         184
        .size:           8
        .value_kind:     hidden_global_offset_x
      - .offset:         192
        .size:           8
        .value_kind:     hidden_global_offset_y
      - .offset:         200
        .size:           8
        .value_kind:     hidden_global_offset_z
      - .offset:         208
        .size:           2
        .value_kind:     hidden_grid_dims
    .group_segment_fixed_size: 17472
    .kernarg_segment_align: 8
    .kernarg_segment_size: 400
    .language:       OpenCL C
    .language_version:
      - 2
      - 0
    .max_flat_workgroup_size: 256
    .name:           _Z39paged_attention_ll4mi_QKV_mfma16_kernelI14__hip_bfloat16hLN4vllm18Fp8KVCacheDataTypeE1EhLi32ELi64ELi256ELb1ELi7EL8MFMAType1EEvPKT_PKT0_S9_ifPKiSB_SB_iPKfiiiPfSE_PS4_PT2_iSD_SD_
    .private_segment_fixed_size: 0
    .sgpr_count:     44
    .sgpr_spill_count: 0
    .symbol:         _Z39paged_attention_ll4mi_QKV_mfma16_kernelI14__hip_bfloat16hLN4vllm18Fp8KVCacheDataTypeE1EhLi32ELi64ELi256ELb1ELi7EL8MFMAType1EEvPKT_PKT0_S9_ifPKiSB_SB_iPKfiiiPfSE_PS4_PT2_iSD_SD_.kd
    .uniform_work_group_size: 1
    .uses_dynamic_stack: false
    .vgpr_count:     124
    .vgpr_spill_count: 0
    .wavefront_size: 32
    .workgroup_processor_mode: 1
  - .args:
      - .actual_access:  read_only
        .address_space:  global
        .offset:         0
        .size:           8
        .value_kind:     global_buffer
      - .actual_access:  read_only
        .address_space:  global
        .offset:         8
        .size:           8
        .value_kind:     global_buffer
      - .actual_access:  read_only
        .address_space:  global
        .offset:         16
        .size:           8
        .value_kind:     global_buffer
      - .offset:         24
        .size:           4
        .value_kind:     by_value
      - .offset:         28
        .size:           4
        .value_kind:     by_value
      - .actual_access:  read_only
        .address_space:  global
        .offset:         32
        .size:           8
        .value_kind:     global_buffer
      - .actual_access:  read_only
        .address_space:  global
        .offset:         40
        .size:           8
        .value_kind:     global_buffer
      - .actual_access:  read_only
        .address_space:  global
        .offset:         48
        .size:           8
        .value_kind:     global_buffer
      - .offset:         56
        .size:           4
        .value_kind:     by_value
      - .actual_access:  read_only
        .address_space:  global
        .offset:         64
        .size:           8
        .value_kind:     global_buffer
      - .offset:         72
        .size:           4
        .value_kind:     by_value
      - .offset:         76
        .size:           4
        .value_kind:     by_value
      - .offset:         80
        .size:           4
        .value_kind:     by_value
      - .actual_access:  write_only
        .address_space:  global
        .offset:         88
        .size:           8
        .value_kind:     global_buffer
      - .actual_access:  write_only
        .address_space:  global
        .offset:         96
        .size:           8
        .value_kind:     global_buffer
      - .actual_access:  write_only
        .address_space:  global
        .offset:         104
        .size:           8
        .value_kind:     global_buffer
      - .actual_access:  read_only
        .address_space:  global
        .offset:         112
        .size:           8
        .value_kind:     global_buffer
      - .offset:         120
        .size:           4
        .value_kind:     by_value
      - .address_space:  global
        .offset:         128
        .size:           8
        .value_kind:     global_buffer
      - .address_space:  global
        .offset:         136
        .size:           8
        .value_kind:     global_buffer
      - .offset:         144
        .size:           4
        .value_kind:     hidden_block_count_x
      - .offset:         148
        .size:           4
        .value_kind:     hidden_block_count_y
      - .offset:         152
        .size:           4
        .value_kind:     hidden_block_count_z
      - .offset:         156
        .size:           2
        .value_kind:     hidden_group_size_x
      - .offset:         158
        .size:           2
        .value_kind:     hidden_group_size_y
      - .offset:         160
        .size:           2
        .value_kind:     hidden_group_size_z
      - .offset:         162
        .size:           2
        .value_kind:     hidden_remainder_x
      - .offset:         164
        .size:           2
        .value_kind:     hidden_remainder_y
      - .offset:         166
        .size:           2
        .value_kind:     hidden_remainder_z
      - .offset:         184
        .size:           8
        .value_kind:     hidden_global_offset_x
      - .offset:         192
        .size:           8
        .value_kind:     hidden_global_offset_y
      - .offset:         200
        .size:           8
        .value_kind:     hidden_global_offset_z
      - .offset:         208
        .size:           2
        .value_kind:     hidden_grid_dims
    .group_segment_fixed_size: 17472
    .kernarg_segment_align: 8
    .kernarg_segment_size: 400
    .language:       OpenCL C
    .language_version:
      - 2
      - 0
    .max_flat_workgroup_size: 256
    .name:           _Z39paged_attention_ll4mi_QKV_mfma16_kernelI14__hip_bfloat16hLN4vllm18Fp8KVCacheDataTypeE1EhLi32ELi64ELi256ELb1ELi8EL8MFMAType1EEvPKT_PKT0_S9_ifPKiSB_SB_iPKfiiiPfSE_PS4_PT2_iSD_SD_
    .private_segment_fixed_size: 0
    .sgpr_count:     42
    .sgpr_spill_count: 0
    .symbol:         _Z39paged_attention_ll4mi_QKV_mfma16_kernelI14__hip_bfloat16hLN4vllm18Fp8KVCacheDataTypeE1EhLi32ELi64ELi256ELb1ELi8EL8MFMAType1EEvPKT_PKT0_S9_ifPKiSB_SB_iPKfiiiPfSE_PS4_PT2_iSD_SD_.kd
    .uniform_work_group_size: 1
    .uses_dynamic_stack: false
    .vgpr_count:     124
    .vgpr_spill_count: 0
    .wavefront_size: 32
    .workgroup_processor_mode: 1
  - .args:
      - .actual_access:  read_only
        .address_space:  global
        .offset:         0
        .size:           8
        .value_kind:     global_buffer
      - .actual_access:  read_only
        .address_space:  global
        .offset:         8
        .size:           8
        .value_kind:     global_buffer
      - .actual_access:  read_only
        .address_space:  global
        .offset:         16
        .size:           8
        .value_kind:     global_buffer
      - .offset:         24
        .size:           4
        .value_kind:     by_value
      - .offset:         28
        .size:           4
        .value_kind:     by_value
      - .actual_access:  read_only
        .address_space:  global
        .offset:         32
        .size:           8
        .value_kind:     global_buffer
      - .actual_access:  read_only
        .address_space:  global
        .offset:         40
        .size:           8
        .value_kind:     global_buffer
      - .actual_access:  read_only
        .address_space:  global
        .offset:         48
        .size:           8
        .value_kind:     global_buffer
      - .offset:         56
        .size:           4
        .value_kind:     by_value
      - .actual_access:  read_only
        .address_space:  global
        .offset:         64
        .size:           8
        .value_kind:     global_buffer
      - .offset:         72
        .size:           4
        .value_kind:     by_value
      - .offset:         76
        .size:           4
        .value_kind:     by_value
      - .offset:         80
        .size:           4
        .value_kind:     by_value
      - .actual_access:  write_only
        .address_space:  global
        .offset:         88
        .size:           8
        .value_kind:     global_buffer
      - .actual_access:  write_only
        .address_space:  global
        .offset:         96
        .size:           8
        .value_kind:     global_buffer
      - .actual_access:  write_only
        .address_space:  global
        .offset:         104
        .size:           8
        .value_kind:     global_buffer
      - .actual_access:  read_only
        .address_space:  global
        .offset:         112
        .size:           8
        .value_kind:     global_buffer
      - .offset:         120
        .size:           4
        .value_kind:     by_value
      - .address_space:  global
        .offset:         128
        .size:           8
        .value_kind:     global_buffer
      - .address_space:  global
        .offset:         136
        .size:           8
        .value_kind:     global_buffer
      - .offset:         144
        .size:           4
        .value_kind:     hidden_block_count_x
      - .offset:         148
        .size:           4
        .value_kind:     hidden_block_count_y
      - .offset:         152
        .size:           4
        .value_kind:     hidden_block_count_z
      - .offset:         156
        .size:           2
        .value_kind:     hidden_group_size_x
      - .offset:         158
        .size:           2
        .value_kind:     hidden_group_size_y
      - .offset:         160
        .size:           2
        .value_kind:     hidden_group_size_z
      - .offset:         162
        .size:           2
        .value_kind:     hidden_remainder_x
      - .offset:         164
        .size:           2
        .value_kind:     hidden_remainder_y
      - .offset:         166
        .size:           2
        .value_kind:     hidden_remainder_z
      - .offset:         184
        .size:           8
        .value_kind:     hidden_global_offset_x
      - .offset:         192
        .size:           8
        .value_kind:     hidden_global_offset_y
      - .offset:         200
        .size:           8
        .value_kind:     hidden_global_offset_z
      - .offset:         208
        .size:           2
        .value_kind:     hidden_grid_dims
    .group_segment_fixed_size: 17472
    .kernarg_segment_align: 8
    .kernarg_segment_size: 400
    .language:       OpenCL C
    .language_version:
      - 2
      - 0
    .max_flat_workgroup_size: 256
    .name:           _Z39paged_attention_ll4mi_QKV_mfma16_kernelI14__hip_bfloat16hLN4vllm18Fp8KVCacheDataTypeE1EhLi32ELi64ELi256ELb1ELi9EL8MFMAType1EEvPKT_PKT0_S9_ifPKiSB_SB_iPKfiiiPfSE_PS4_PT2_iSD_SD_
    .private_segment_fixed_size: 0
    .sgpr_count:     44
    .sgpr_spill_count: 0
    .symbol:         _Z39paged_attention_ll4mi_QKV_mfma16_kernelI14__hip_bfloat16hLN4vllm18Fp8KVCacheDataTypeE1EhLi32ELi64ELi256ELb1ELi9EL8MFMAType1EEvPKT_PKT0_S9_ifPKiSB_SB_iPKfiiiPfSE_PS4_PT2_iSD_SD_.kd
    .uniform_work_group_size: 1
    .uses_dynamic_stack: false
    .vgpr_count:     124
    .vgpr_spill_count: 0
    .wavefront_size: 32
    .workgroup_processor_mode: 1
  - .args:
      - .actual_access:  read_only
        .address_space:  global
        .offset:         0
        .size:           8
        .value_kind:     global_buffer
      - .actual_access:  read_only
        .address_space:  global
        .offset:         8
        .size:           8
        .value_kind:     global_buffer
      - .actual_access:  read_only
        .address_space:  global
        .offset:         16
        .size:           8
        .value_kind:     global_buffer
      - .offset:         24
        .size:           4
        .value_kind:     by_value
      - .offset:         28
        .size:           4
        .value_kind:     by_value
      - .actual_access:  read_only
        .address_space:  global
        .offset:         32
        .size:           8
        .value_kind:     global_buffer
      - .actual_access:  read_only
        .address_space:  global
        .offset:         40
        .size:           8
        .value_kind:     global_buffer
      - .actual_access:  read_only
        .address_space:  global
        .offset:         48
        .size:           8
        .value_kind:     global_buffer
      - .offset:         56
        .size:           4
        .value_kind:     by_value
      - .actual_access:  read_only
        .address_space:  global
        .offset:         64
        .size:           8
        .value_kind:     global_buffer
      - .offset:         72
        .size:           4
        .value_kind:     by_value
      - .offset:         76
        .size:           4
        .value_kind:     by_value
      - .offset:         80
        .size:           4
        .value_kind:     by_value
      - .actual_access:  write_only
        .address_space:  global
        .offset:         88
        .size:           8
        .value_kind:     global_buffer
      - .actual_access:  write_only
        .address_space:  global
        .offset:         96
        .size:           8
        .value_kind:     global_buffer
      - .actual_access:  write_only
        .address_space:  global
        .offset:         104
        .size:           8
        .value_kind:     global_buffer
      - .actual_access:  read_only
        .address_space:  global
        .offset:         112
        .size:           8
        .value_kind:     global_buffer
      - .offset:         120
        .size:           4
        .value_kind:     by_value
      - .address_space:  global
        .offset:         128
        .size:           8
        .value_kind:     global_buffer
      - .address_space:  global
        .offset:         136
        .size:           8
        .value_kind:     global_buffer
      - .offset:         144
        .size:           4
        .value_kind:     hidden_block_count_x
      - .offset:         148
        .size:           4
        .value_kind:     hidden_block_count_y
      - .offset:         152
        .size:           4
        .value_kind:     hidden_block_count_z
      - .offset:         156
        .size:           2
        .value_kind:     hidden_group_size_x
      - .offset:         158
        .size:           2
        .value_kind:     hidden_group_size_y
      - .offset:         160
        .size:           2
        .value_kind:     hidden_group_size_z
      - .offset:         162
        .size:           2
        .value_kind:     hidden_remainder_x
      - .offset:         164
        .size:           2
        .value_kind:     hidden_remainder_y
      - .offset:         166
        .size:           2
        .value_kind:     hidden_remainder_z
      - .offset:         184
        .size:           8
        .value_kind:     hidden_global_offset_x
      - .offset:         192
        .size:           8
        .value_kind:     hidden_global_offset_y
      - .offset:         200
        .size:           8
        .value_kind:     hidden_global_offset_z
      - .offset:         208
        .size:           2
        .value_kind:     hidden_grid_dims
    .group_segment_fixed_size: 17472
    .kernarg_segment_align: 8
    .kernarg_segment_size: 400
    .language:       OpenCL C
    .language_version:
      - 2
      - 0
    .max_flat_workgroup_size: 256
    .name:           _Z39paged_attention_ll4mi_QKV_mfma16_kernelI14__hip_bfloat16hLN4vllm18Fp8KVCacheDataTypeE1EhLi32ELi64ELi256ELb1ELi10EL8MFMAType1EEvPKT_PKT0_S9_ifPKiSB_SB_iPKfiiiPfSE_PS4_PT2_iSD_SD_
    .private_segment_fixed_size: 0
    .sgpr_count:     42
    .sgpr_spill_count: 0
    .symbol:         _Z39paged_attention_ll4mi_QKV_mfma16_kernelI14__hip_bfloat16hLN4vllm18Fp8KVCacheDataTypeE1EhLi32ELi64ELi256ELb1ELi10EL8MFMAType1EEvPKT_PKT0_S9_ifPKiSB_SB_iPKfiiiPfSE_PS4_PT2_iSD_SD_.kd
    .uniform_work_group_size: 1
    .uses_dynamic_stack: false
    .vgpr_count:     124
    .vgpr_spill_count: 0
    .wavefront_size: 32
    .workgroup_processor_mode: 1
  - .args:
      - .actual_access:  read_only
        .address_space:  global
        .offset:         0
        .size:           8
        .value_kind:     global_buffer
      - .actual_access:  read_only
        .address_space:  global
        .offset:         8
        .size:           8
        .value_kind:     global_buffer
      - .actual_access:  read_only
        .address_space:  global
        .offset:         16
        .size:           8
        .value_kind:     global_buffer
      - .offset:         24
        .size:           4
        .value_kind:     by_value
      - .offset:         28
        .size:           4
        .value_kind:     by_value
      - .actual_access:  read_only
        .address_space:  global
        .offset:         32
        .size:           8
        .value_kind:     global_buffer
      - .actual_access:  read_only
        .address_space:  global
        .offset:         40
        .size:           8
        .value_kind:     global_buffer
      - .actual_access:  read_only
        .address_space:  global
        .offset:         48
        .size:           8
        .value_kind:     global_buffer
      - .offset:         56
        .size:           4
        .value_kind:     by_value
      - .actual_access:  read_only
        .address_space:  global
        .offset:         64
        .size:           8
        .value_kind:     global_buffer
      - .offset:         72
        .size:           4
        .value_kind:     by_value
      - .offset:         76
        .size:           4
        .value_kind:     by_value
      - .offset:         80
        .size:           4
        .value_kind:     by_value
      - .actual_access:  write_only
        .address_space:  global
        .offset:         88
        .size:           8
        .value_kind:     global_buffer
      - .actual_access:  write_only
        .address_space:  global
        .offset:         96
        .size:           8
        .value_kind:     global_buffer
      - .actual_access:  write_only
        .address_space:  global
        .offset:         104
        .size:           8
        .value_kind:     global_buffer
      - .actual_access:  read_only
        .address_space:  global
        .offset:         112
        .size:           8
        .value_kind:     global_buffer
      - .offset:         120
        .size:           4
        .value_kind:     by_value
      - .address_space:  global
        .offset:         128
        .size:           8
        .value_kind:     global_buffer
      - .address_space:  global
        .offset:         136
        .size:           8
        .value_kind:     global_buffer
      - .offset:         144
        .size:           4
        .value_kind:     hidden_block_count_x
      - .offset:         148
        .size:           4
        .value_kind:     hidden_block_count_y
      - .offset:         152
        .size:           4
        .value_kind:     hidden_block_count_z
      - .offset:         156
        .size:           2
        .value_kind:     hidden_group_size_x
      - .offset:         158
        .size:           2
        .value_kind:     hidden_group_size_y
      - .offset:         160
        .size:           2
        .value_kind:     hidden_group_size_z
      - .offset:         162
        .size:           2
        .value_kind:     hidden_remainder_x
      - .offset:         164
        .size:           2
        .value_kind:     hidden_remainder_y
      - .offset:         166
        .size:           2
        .value_kind:     hidden_remainder_z
      - .offset:         184
        .size:           8
        .value_kind:     hidden_global_offset_x
      - .offset:         192
        .size:           8
        .value_kind:     hidden_global_offset_y
      - .offset:         200
        .size:           8
        .value_kind:     hidden_global_offset_z
      - .offset:         208
        .size:           2
        .value_kind:     hidden_grid_dims
    .group_segment_fixed_size: 17472
    .kernarg_segment_align: 8
    .kernarg_segment_size: 400
    .language:       OpenCL C
    .language_version:
      - 2
      - 0
    .max_flat_workgroup_size: 256
    .name:           _Z39paged_attention_ll4mi_QKV_mfma16_kernelI14__hip_bfloat16hLN4vllm18Fp8KVCacheDataTypeE1EhLi32ELi64ELi256ELb1ELi11EL8MFMAType1EEvPKT_PKT0_S9_ifPKiSB_SB_iPKfiiiPfSE_PS4_PT2_iSD_SD_
    .private_segment_fixed_size: 0
    .sgpr_count:     44
    .sgpr_spill_count: 0
    .symbol:         _Z39paged_attention_ll4mi_QKV_mfma16_kernelI14__hip_bfloat16hLN4vllm18Fp8KVCacheDataTypeE1EhLi32ELi64ELi256ELb1ELi11EL8MFMAType1EEvPKT_PKT0_S9_ifPKiSB_SB_iPKfiiiPfSE_PS4_PT2_iSD_SD_.kd
    .uniform_work_group_size: 1
    .uses_dynamic_stack: false
    .vgpr_count:     124
    .vgpr_spill_count: 0
    .wavefront_size: 32
    .workgroup_processor_mode: 1
  - .args:
      - .actual_access:  read_only
        .address_space:  global
        .offset:         0
        .size:           8
        .value_kind:     global_buffer
      - .actual_access:  read_only
        .address_space:  global
        .offset:         8
        .size:           8
        .value_kind:     global_buffer
      - .actual_access:  read_only
        .address_space:  global
        .offset:         16
        .size:           8
        .value_kind:     global_buffer
      - .offset:         24
        .size:           4
        .value_kind:     by_value
      - .offset:         28
        .size:           4
        .value_kind:     by_value
      - .actual_access:  read_only
        .address_space:  global
        .offset:         32
        .size:           8
        .value_kind:     global_buffer
      - .actual_access:  read_only
        .address_space:  global
        .offset:         40
        .size:           8
        .value_kind:     global_buffer
      - .actual_access:  read_only
        .address_space:  global
        .offset:         48
        .size:           8
        .value_kind:     global_buffer
      - .offset:         56
        .size:           4
        .value_kind:     by_value
      - .actual_access:  read_only
        .address_space:  global
        .offset:         64
        .size:           8
        .value_kind:     global_buffer
      - .offset:         72
        .size:           4
        .value_kind:     by_value
      - .offset:         76
        .size:           4
        .value_kind:     by_value
      - .offset:         80
        .size:           4
        .value_kind:     by_value
      - .actual_access:  write_only
        .address_space:  global
        .offset:         88
        .size:           8
        .value_kind:     global_buffer
      - .actual_access:  write_only
        .address_space:  global
        .offset:         96
        .size:           8
        .value_kind:     global_buffer
      - .actual_access:  write_only
        .address_space:  global
        .offset:         104
        .size:           8
        .value_kind:     global_buffer
      - .actual_access:  read_only
        .address_space:  global
        .offset:         112
        .size:           8
        .value_kind:     global_buffer
      - .offset:         120
        .size:           4
        .value_kind:     by_value
      - .address_space:  global
        .offset:         128
        .size:           8
        .value_kind:     global_buffer
      - .address_space:  global
        .offset:         136
        .size:           8
        .value_kind:     global_buffer
      - .offset:         144
        .size:           4
        .value_kind:     hidden_block_count_x
      - .offset:         148
        .size:           4
        .value_kind:     hidden_block_count_y
      - .offset:         152
        .size:           4
        .value_kind:     hidden_block_count_z
      - .offset:         156
        .size:           2
        .value_kind:     hidden_group_size_x
      - .offset:         158
        .size:           2
        .value_kind:     hidden_group_size_y
      - .offset:         160
        .size:           2
        .value_kind:     hidden_group_size_z
      - .offset:         162
        .size:           2
        .value_kind:     hidden_remainder_x
      - .offset:         164
        .size:           2
        .value_kind:     hidden_remainder_y
      - .offset:         166
        .size:           2
        .value_kind:     hidden_remainder_z
      - .offset:         184
        .size:           8
        .value_kind:     hidden_global_offset_x
      - .offset:         192
        .size:           8
        .value_kind:     hidden_global_offset_y
      - .offset:         200
        .size:           8
        .value_kind:     hidden_global_offset_z
      - .offset:         208
        .size:           2
        .value_kind:     hidden_grid_dims
    .group_segment_fixed_size: 17472
    .kernarg_segment_align: 8
    .kernarg_segment_size: 400
    .language:       OpenCL C
    .language_version:
      - 2
      - 0
    .max_flat_workgroup_size: 256
    .name:           _Z39paged_attention_ll4mi_QKV_mfma16_kernelI14__hip_bfloat16hLN4vllm18Fp8KVCacheDataTypeE1EhLi32ELi64ELi256ELb1ELi12EL8MFMAType1EEvPKT_PKT0_S9_ifPKiSB_SB_iPKfiiiPfSE_PS4_PT2_iSD_SD_
    .private_segment_fixed_size: 0
    .sgpr_count:     42
    .sgpr_spill_count: 0
    .symbol:         _Z39paged_attention_ll4mi_QKV_mfma16_kernelI14__hip_bfloat16hLN4vllm18Fp8KVCacheDataTypeE1EhLi32ELi64ELi256ELb1ELi12EL8MFMAType1EEvPKT_PKT0_S9_ifPKiSB_SB_iPKfiiiPfSE_PS4_PT2_iSD_SD_.kd
    .uniform_work_group_size: 1
    .uses_dynamic_stack: false
    .vgpr_count:     124
    .vgpr_spill_count: 0
    .wavefront_size: 32
    .workgroup_processor_mode: 1
  - .args:
      - .actual_access:  read_only
        .address_space:  global
        .offset:         0
        .size:           8
        .value_kind:     global_buffer
      - .actual_access:  read_only
        .address_space:  global
        .offset:         8
        .size:           8
        .value_kind:     global_buffer
      - .actual_access:  read_only
        .address_space:  global
        .offset:         16
        .size:           8
        .value_kind:     global_buffer
      - .offset:         24
        .size:           4
        .value_kind:     by_value
      - .offset:         28
        .size:           4
        .value_kind:     by_value
      - .actual_access:  read_only
        .address_space:  global
        .offset:         32
        .size:           8
        .value_kind:     global_buffer
      - .actual_access:  read_only
        .address_space:  global
        .offset:         40
        .size:           8
        .value_kind:     global_buffer
      - .actual_access:  read_only
        .address_space:  global
        .offset:         48
        .size:           8
        .value_kind:     global_buffer
      - .offset:         56
        .size:           4
        .value_kind:     by_value
      - .actual_access:  read_only
        .address_space:  global
        .offset:         64
        .size:           8
        .value_kind:     global_buffer
      - .offset:         72
        .size:           4
        .value_kind:     by_value
      - .offset:         76
        .size:           4
        .value_kind:     by_value
      - .offset:         80
        .size:           4
        .value_kind:     by_value
      - .actual_access:  write_only
        .address_space:  global
        .offset:         88
        .size:           8
        .value_kind:     global_buffer
      - .actual_access:  write_only
        .address_space:  global
        .offset:         96
        .size:           8
        .value_kind:     global_buffer
      - .actual_access:  write_only
        .address_space:  global
        .offset:         104
        .size:           8
        .value_kind:     global_buffer
      - .actual_access:  read_only
        .address_space:  global
        .offset:         112
        .size:           8
        .value_kind:     global_buffer
      - .offset:         120
        .size:           4
        .value_kind:     by_value
      - .address_space:  global
        .offset:         128
        .size:           8
        .value_kind:     global_buffer
      - .address_space:  global
        .offset:         136
        .size:           8
        .value_kind:     global_buffer
      - .offset:         144
        .size:           4
        .value_kind:     hidden_block_count_x
      - .offset:         148
        .size:           4
        .value_kind:     hidden_block_count_y
      - .offset:         152
        .size:           4
        .value_kind:     hidden_block_count_z
      - .offset:         156
        .size:           2
        .value_kind:     hidden_group_size_x
      - .offset:         158
        .size:           2
        .value_kind:     hidden_group_size_y
      - .offset:         160
        .size:           2
        .value_kind:     hidden_group_size_z
      - .offset:         162
        .size:           2
        .value_kind:     hidden_remainder_x
      - .offset:         164
        .size:           2
        .value_kind:     hidden_remainder_y
      - .offset:         166
        .size:           2
        .value_kind:     hidden_remainder_z
      - .offset:         184
        .size:           8
        .value_kind:     hidden_global_offset_x
      - .offset:         192
        .size:           8
        .value_kind:     hidden_global_offset_y
      - .offset:         200
        .size:           8
        .value_kind:     hidden_global_offset_z
      - .offset:         208
        .size:           2
        .value_kind:     hidden_grid_dims
    .group_segment_fixed_size: 17472
    .kernarg_segment_align: 8
    .kernarg_segment_size: 400
    .language:       OpenCL C
    .language_version:
      - 2
      - 0
    .max_flat_workgroup_size: 256
    .name:           _Z39paged_attention_ll4mi_QKV_mfma16_kernelI14__hip_bfloat16hLN4vllm18Fp8KVCacheDataTypeE1EhLi32ELi64ELi256ELb1ELi13EL8MFMAType1EEvPKT_PKT0_S9_ifPKiSB_SB_iPKfiiiPfSE_PS4_PT2_iSD_SD_
    .private_segment_fixed_size: 0
    .sgpr_count:     44
    .sgpr_spill_count: 0
    .symbol:         _Z39paged_attention_ll4mi_QKV_mfma16_kernelI14__hip_bfloat16hLN4vllm18Fp8KVCacheDataTypeE1EhLi32ELi64ELi256ELb1ELi13EL8MFMAType1EEvPKT_PKT0_S9_ifPKiSB_SB_iPKfiiiPfSE_PS4_PT2_iSD_SD_.kd
    .uniform_work_group_size: 1
    .uses_dynamic_stack: false
    .vgpr_count:     124
    .vgpr_spill_count: 0
    .wavefront_size: 32
    .workgroup_processor_mode: 1
  - .args:
      - .actual_access:  read_only
        .address_space:  global
        .offset:         0
        .size:           8
        .value_kind:     global_buffer
      - .actual_access:  read_only
        .address_space:  global
        .offset:         8
        .size:           8
        .value_kind:     global_buffer
      - .actual_access:  read_only
        .address_space:  global
        .offset:         16
        .size:           8
        .value_kind:     global_buffer
      - .offset:         24
        .size:           4
        .value_kind:     by_value
      - .offset:         28
        .size:           4
        .value_kind:     by_value
      - .actual_access:  read_only
        .address_space:  global
        .offset:         32
        .size:           8
        .value_kind:     global_buffer
      - .actual_access:  read_only
        .address_space:  global
        .offset:         40
        .size:           8
        .value_kind:     global_buffer
      - .actual_access:  read_only
        .address_space:  global
        .offset:         48
        .size:           8
        .value_kind:     global_buffer
      - .offset:         56
        .size:           4
        .value_kind:     by_value
      - .actual_access:  read_only
        .address_space:  global
        .offset:         64
        .size:           8
        .value_kind:     global_buffer
      - .offset:         72
        .size:           4
        .value_kind:     by_value
      - .offset:         76
        .size:           4
        .value_kind:     by_value
      - .offset:         80
        .size:           4
        .value_kind:     by_value
      - .actual_access:  write_only
        .address_space:  global
        .offset:         88
        .size:           8
        .value_kind:     global_buffer
      - .actual_access:  write_only
        .address_space:  global
        .offset:         96
        .size:           8
        .value_kind:     global_buffer
      - .actual_access:  write_only
        .address_space:  global
        .offset:         104
        .size:           8
        .value_kind:     global_buffer
      - .actual_access:  read_only
        .address_space:  global
        .offset:         112
        .size:           8
        .value_kind:     global_buffer
      - .offset:         120
        .size:           4
        .value_kind:     by_value
      - .address_space:  global
        .offset:         128
        .size:           8
        .value_kind:     global_buffer
      - .address_space:  global
        .offset:         136
        .size:           8
        .value_kind:     global_buffer
      - .offset:         144
        .size:           4
        .value_kind:     hidden_block_count_x
      - .offset:         148
        .size:           4
        .value_kind:     hidden_block_count_y
      - .offset:         152
        .size:           4
        .value_kind:     hidden_block_count_z
      - .offset:         156
        .size:           2
        .value_kind:     hidden_group_size_x
      - .offset:         158
        .size:           2
        .value_kind:     hidden_group_size_y
      - .offset:         160
        .size:           2
        .value_kind:     hidden_group_size_z
      - .offset:         162
        .size:           2
        .value_kind:     hidden_remainder_x
      - .offset:         164
        .size:           2
        .value_kind:     hidden_remainder_y
      - .offset:         166
        .size:           2
        .value_kind:     hidden_remainder_z
      - .offset:         184
        .size:           8
        .value_kind:     hidden_global_offset_x
      - .offset:         192
        .size:           8
        .value_kind:     hidden_global_offset_y
      - .offset:         200
        .size:           8
        .value_kind:     hidden_global_offset_z
      - .offset:         208
        .size:           2
        .value_kind:     hidden_grid_dims
    .group_segment_fixed_size: 17472
    .kernarg_segment_align: 8
    .kernarg_segment_size: 400
    .language:       OpenCL C
    .language_version:
      - 2
      - 0
    .max_flat_workgroup_size: 256
    .name:           _Z39paged_attention_ll4mi_QKV_mfma16_kernelI14__hip_bfloat16hLN4vllm18Fp8KVCacheDataTypeE1EhLi32ELi64ELi256ELb1ELi14EL8MFMAType1EEvPKT_PKT0_S9_ifPKiSB_SB_iPKfiiiPfSE_PS4_PT2_iSD_SD_
    .private_segment_fixed_size: 0
    .sgpr_count:     42
    .sgpr_spill_count: 0
    .symbol:         _Z39paged_attention_ll4mi_QKV_mfma16_kernelI14__hip_bfloat16hLN4vllm18Fp8KVCacheDataTypeE1EhLi32ELi64ELi256ELb1ELi14EL8MFMAType1EEvPKT_PKT0_S9_ifPKiSB_SB_iPKfiiiPfSE_PS4_PT2_iSD_SD_.kd
    .uniform_work_group_size: 1
    .uses_dynamic_stack: false
    .vgpr_count:     124
    .vgpr_spill_count: 0
    .wavefront_size: 32
    .workgroup_processor_mode: 1
  - .args:
      - .actual_access:  read_only
        .address_space:  global
        .offset:         0
        .size:           8
        .value_kind:     global_buffer
      - .actual_access:  read_only
        .address_space:  global
        .offset:         8
        .size:           8
        .value_kind:     global_buffer
      - .actual_access:  read_only
        .address_space:  global
        .offset:         16
        .size:           8
        .value_kind:     global_buffer
      - .offset:         24
        .size:           4
        .value_kind:     by_value
      - .offset:         28
        .size:           4
        .value_kind:     by_value
      - .actual_access:  read_only
        .address_space:  global
        .offset:         32
        .size:           8
        .value_kind:     global_buffer
      - .actual_access:  read_only
        .address_space:  global
        .offset:         40
        .size:           8
        .value_kind:     global_buffer
      - .actual_access:  read_only
        .address_space:  global
        .offset:         48
        .size:           8
        .value_kind:     global_buffer
      - .offset:         56
        .size:           4
        .value_kind:     by_value
      - .actual_access:  read_only
        .address_space:  global
        .offset:         64
        .size:           8
        .value_kind:     global_buffer
      - .offset:         72
        .size:           4
        .value_kind:     by_value
      - .offset:         76
        .size:           4
        .value_kind:     by_value
      - .offset:         80
        .size:           4
        .value_kind:     by_value
      - .actual_access:  write_only
        .address_space:  global
        .offset:         88
        .size:           8
        .value_kind:     global_buffer
      - .actual_access:  write_only
        .address_space:  global
        .offset:         96
        .size:           8
        .value_kind:     global_buffer
      - .actual_access:  write_only
        .address_space:  global
        .offset:         104
        .size:           8
        .value_kind:     global_buffer
      - .actual_access:  read_only
        .address_space:  global
        .offset:         112
        .size:           8
        .value_kind:     global_buffer
      - .offset:         120
        .size:           4
        .value_kind:     by_value
      - .address_space:  global
        .offset:         128
        .size:           8
        .value_kind:     global_buffer
      - .address_space:  global
        .offset:         136
        .size:           8
        .value_kind:     global_buffer
      - .offset:         144
        .size:           4
        .value_kind:     hidden_block_count_x
      - .offset:         148
        .size:           4
        .value_kind:     hidden_block_count_y
      - .offset:         152
        .size:           4
        .value_kind:     hidden_block_count_z
      - .offset:         156
        .size:           2
        .value_kind:     hidden_group_size_x
      - .offset:         158
        .size:           2
        .value_kind:     hidden_group_size_y
      - .offset:         160
        .size:           2
        .value_kind:     hidden_group_size_z
      - .offset:         162
        .size:           2
        .value_kind:     hidden_remainder_x
      - .offset:         164
        .size:           2
        .value_kind:     hidden_remainder_y
      - .offset:         166
        .size:           2
        .value_kind:     hidden_remainder_z
      - .offset:         184
        .size:           8
        .value_kind:     hidden_global_offset_x
      - .offset:         192
        .size:           8
        .value_kind:     hidden_global_offset_y
      - .offset:         200
        .size:           8
        .value_kind:     hidden_global_offset_z
      - .offset:         208
        .size:           2
        .value_kind:     hidden_grid_dims
    .group_segment_fixed_size: 17472
    .kernarg_segment_align: 8
    .kernarg_segment_size: 400
    .language:       OpenCL C
    .language_version:
      - 2
      - 0
    .max_flat_workgroup_size: 256
    .name:           _Z39paged_attention_ll4mi_QKV_mfma16_kernelI14__hip_bfloat16hLN4vllm18Fp8KVCacheDataTypeE1EhLi32ELi64ELi256ELb1ELi15EL8MFMAType1EEvPKT_PKT0_S9_ifPKiSB_SB_iPKfiiiPfSE_PS4_PT2_iSD_SD_
    .private_segment_fixed_size: 0
    .sgpr_count:     44
    .sgpr_spill_count: 0
    .symbol:         _Z39paged_attention_ll4mi_QKV_mfma16_kernelI14__hip_bfloat16hLN4vllm18Fp8KVCacheDataTypeE1EhLi32ELi64ELi256ELb1ELi15EL8MFMAType1EEvPKT_PKT0_S9_ifPKiSB_SB_iPKfiiiPfSE_PS4_PT2_iSD_SD_.kd
    .uniform_work_group_size: 1
    .uses_dynamic_stack: false
    .vgpr_count:     124
    .vgpr_spill_count: 0
    .wavefront_size: 32
    .workgroup_processor_mode: 1
  - .args:
      - .actual_access:  read_only
        .address_space:  global
        .offset:         0
        .size:           8
        .value_kind:     global_buffer
      - .actual_access:  read_only
        .address_space:  global
        .offset:         8
        .size:           8
        .value_kind:     global_buffer
      - .actual_access:  read_only
        .address_space:  global
        .offset:         16
        .size:           8
        .value_kind:     global_buffer
      - .offset:         24
        .size:           4
        .value_kind:     by_value
      - .offset:         28
        .size:           4
        .value_kind:     by_value
      - .actual_access:  read_only
        .address_space:  global
        .offset:         32
        .size:           8
        .value_kind:     global_buffer
      - .actual_access:  read_only
        .address_space:  global
        .offset:         40
        .size:           8
        .value_kind:     global_buffer
      - .actual_access:  read_only
        .address_space:  global
        .offset:         48
        .size:           8
        .value_kind:     global_buffer
      - .offset:         56
        .size:           4
        .value_kind:     by_value
      - .actual_access:  read_only
        .address_space:  global
        .offset:         64
        .size:           8
        .value_kind:     global_buffer
      - .offset:         72
        .size:           4
        .value_kind:     by_value
      - .offset:         76
        .size:           4
        .value_kind:     by_value
      - .offset:         80
        .size:           4
        .value_kind:     by_value
      - .actual_access:  write_only
        .address_space:  global
        .offset:         88
        .size:           8
        .value_kind:     global_buffer
      - .actual_access:  write_only
        .address_space:  global
        .offset:         96
        .size:           8
        .value_kind:     global_buffer
      - .actual_access:  write_only
        .address_space:  global
        .offset:         104
        .size:           8
        .value_kind:     global_buffer
      - .actual_access:  read_only
        .address_space:  global
        .offset:         112
        .size:           8
        .value_kind:     global_buffer
      - .offset:         120
        .size:           4
        .value_kind:     by_value
      - .address_space:  global
        .offset:         128
        .size:           8
        .value_kind:     global_buffer
      - .address_space:  global
        .offset:         136
        .size:           8
        .value_kind:     global_buffer
      - .offset:         144
        .size:           4
        .value_kind:     hidden_block_count_x
      - .offset:         148
        .size:           4
        .value_kind:     hidden_block_count_y
      - .offset:         152
        .size:           4
        .value_kind:     hidden_block_count_z
      - .offset:         156
        .size:           2
        .value_kind:     hidden_group_size_x
      - .offset:         158
        .size:           2
        .value_kind:     hidden_group_size_y
      - .offset:         160
        .size:           2
        .value_kind:     hidden_group_size_z
      - .offset:         162
        .size:           2
        .value_kind:     hidden_remainder_x
      - .offset:         164
        .size:           2
        .value_kind:     hidden_remainder_y
      - .offset:         166
        .size:           2
        .value_kind:     hidden_remainder_z
      - .offset:         184
        .size:           8
        .value_kind:     hidden_global_offset_x
      - .offset:         192
        .size:           8
        .value_kind:     hidden_global_offset_y
      - .offset:         200
        .size:           8
        .value_kind:     hidden_global_offset_z
      - .offset:         208
        .size:           2
        .value_kind:     hidden_grid_dims
    .group_segment_fixed_size: 17472
    .kernarg_segment_align: 8
    .kernarg_segment_size: 400
    .language:       OpenCL C
    .language_version:
      - 2
      - 0
    .max_flat_workgroup_size: 256
    .name:           _Z39paged_attention_ll4mi_QKV_mfma16_kernelI14__hip_bfloat16hLN4vllm18Fp8KVCacheDataTypeE1EhLi32ELi64ELi256ELb1ELi16EL8MFMAType1EEvPKT_PKT0_S9_ifPKiSB_SB_iPKfiiiPfSE_PS4_PT2_iSD_SD_
    .private_segment_fixed_size: 0
    .sgpr_count:     42
    .sgpr_spill_count: 0
    .symbol:         _Z39paged_attention_ll4mi_QKV_mfma16_kernelI14__hip_bfloat16hLN4vllm18Fp8KVCacheDataTypeE1EhLi32ELi64ELi256ELb1ELi16EL8MFMAType1EEvPKT_PKT0_S9_ifPKiSB_SB_iPKfiiiPfSE_PS4_PT2_iSD_SD_.kd
    .uniform_work_group_size: 1
    .uses_dynamic_stack: false
    .vgpr_count:     125
    .vgpr_spill_count: 0
    .wavefront_size: 32
    .workgroup_processor_mode: 1
  - .args:
      - .actual_access:  read_only
        .address_space:  global
        .offset:         0
        .size:           8
        .value_kind:     global_buffer
      - .actual_access:  read_only
        .address_space:  global
        .offset:         8
        .size:           8
        .value_kind:     global_buffer
      - .actual_access:  read_only
        .address_space:  global
        .offset:         16
        .size:           8
        .value_kind:     global_buffer
      - .offset:         24
        .size:           4
        .value_kind:     by_value
      - .offset:         28
        .size:           4
        .value_kind:     by_value
      - .actual_access:  read_only
        .address_space:  global
        .offset:         32
        .size:           8
        .value_kind:     global_buffer
      - .actual_access:  read_only
        .address_space:  global
        .offset:         40
        .size:           8
        .value_kind:     global_buffer
      - .actual_access:  read_only
        .address_space:  global
        .offset:         48
        .size:           8
        .value_kind:     global_buffer
      - .offset:         56
        .size:           4
        .value_kind:     by_value
      - .actual_access:  read_only
        .address_space:  global
        .offset:         64
        .size:           8
        .value_kind:     global_buffer
      - .offset:         72
        .size:           4
        .value_kind:     by_value
      - .offset:         76
        .size:           4
        .value_kind:     by_value
      - .offset:         80
        .size:           4
        .value_kind:     by_value
      - .actual_access:  write_only
        .address_space:  global
        .offset:         88
        .size:           8
        .value_kind:     global_buffer
      - .actual_access:  write_only
        .address_space:  global
        .offset:         96
        .size:           8
        .value_kind:     global_buffer
      - .actual_access:  write_only
        .address_space:  global
        .offset:         104
        .size:           8
        .value_kind:     global_buffer
      - .actual_access:  read_only
        .address_space:  global
        .offset:         112
        .size:           8
        .value_kind:     global_buffer
      - .offset:         120
        .size:           4
        .value_kind:     by_value
      - .address_space:  global
        .offset:         128
        .size:           8
        .value_kind:     global_buffer
      - .address_space:  global
        .offset:         136
        .size:           8
        .value_kind:     global_buffer
      - .offset:         144
        .size:           4
        .value_kind:     hidden_block_count_x
      - .offset:         148
        .size:           4
        .value_kind:     hidden_block_count_y
      - .offset:         152
        .size:           4
        .value_kind:     hidden_block_count_z
      - .offset:         156
        .size:           2
        .value_kind:     hidden_group_size_x
      - .offset:         158
        .size:           2
        .value_kind:     hidden_group_size_y
      - .offset:         160
        .size:           2
        .value_kind:     hidden_group_size_z
      - .offset:         162
        .size:           2
        .value_kind:     hidden_remainder_x
      - .offset:         164
        .size:           2
        .value_kind:     hidden_remainder_y
      - .offset:         166
        .size:           2
        .value_kind:     hidden_remainder_z
      - .offset:         184
        .size:           8
        .value_kind:     hidden_global_offset_x
      - .offset:         192
        .size:           8
        .value_kind:     hidden_global_offset_y
      - .offset:         200
        .size:           8
        .value_kind:     hidden_global_offset_z
      - .offset:         208
        .size:           2
        .value_kind:     hidden_grid_dims
    .group_segment_fixed_size: 17472
    .kernarg_segment_align: 8
    .kernarg_segment_size: 400
    .language:       OpenCL C
    .language_version:
      - 2
      - 0
    .max_flat_workgroup_size: 256
    .name:           _Z39paged_attention_ll4mi_QKV_mfma16_kernelI14__hip_bfloat16hLN4vllm18Fp8KVCacheDataTypeE1EhLi32ELi64ELi256ELb1ELi1EL8MFMAType1EEvPKT_PKT0_S9_ifPKiSB_SB_iPKfiiiPfSE_PS4_PT2_iSD_SD_
    .private_segment_fixed_size: 0
    .sgpr_count:     52
    .sgpr_spill_count: 0
    .symbol:         _Z39paged_attention_ll4mi_QKV_mfma16_kernelI14__hip_bfloat16hLN4vllm18Fp8KVCacheDataTypeE1EhLi32ELi64ELi256ELb1ELi1EL8MFMAType1EEvPKT_PKT0_S9_ifPKiSB_SB_iPKfiiiPfSE_PS4_PT2_iSD_SD_.kd
    .uniform_work_group_size: 1
    .uses_dynamic_stack: false
    .vgpr_count:     131
    .vgpr_spill_count: 0
    .wavefront_size: 32
    .workgroup_processor_mode: 1
  - .args:
      - .actual_access:  read_only
        .address_space:  global
        .offset:         0
        .size:           8
        .value_kind:     global_buffer
      - .actual_access:  read_only
        .address_space:  global
        .offset:         8
        .size:           8
        .value_kind:     global_buffer
      - .actual_access:  read_only
        .address_space:  global
        .offset:         16
        .size:           8
        .value_kind:     global_buffer
      - .offset:         24
        .size:           4
        .value_kind:     by_value
      - .offset:         28
        .size:           4
        .value_kind:     by_value
      - .actual_access:  read_only
        .address_space:  global
        .offset:         32
        .size:           8
        .value_kind:     global_buffer
      - .actual_access:  read_only
        .address_space:  global
        .offset:         40
        .size:           8
        .value_kind:     global_buffer
      - .actual_access:  read_only
        .address_space:  global
        .offset:         48
        .size:           8
        .value_kind:     global_buffer
      - .offset:         56
        .size:           4
        .value_kind:     by_value
      - .actual_access:  read_only
        .address_space:  global
        .offset:         64
        .size:           8
        .value_kind:     global_buffer
      - .offset:         72
        .size:           4
        .value_kind:     by_value
      - .offset:         76
        .size:           4
        .value_kind:     by_value
      - .offset:         80
        .size:           4
        .value_kind:     by_value
      - .actual_access:  write_only
        .address_space:  global
        .offset:         88
        .size:           8
        .value_kind:     global_buffer
      - .actual_access:  write_only
        .address_space:  global
        .offset:         96
        .size:           8
        .value_kind:     global_buffer
      - .actual_access:  write_only
        .address_space:  global
        .offset:         104
        .size:           8
        .value_kind:     global_buffer
      - .actual_access:  read_only
        .address_space:  global
        .offset:         112
        .size:           8
        .value_kind:     global_buffer
      - .offset:         120
        .size:           4
        .value_kind:     by_value
      - .address_space:  global
        .offset:         128
        .size:           8
        .value_kind:     global_buffer
      - .address_space:  global
        .offset:         136
        .size:           8
        .value_kind:     global_buffer
      - .offset:         144
        .size:           4
        .value_kind:     hidden_block_count_x
      - .offset:         148
        .size:           4
        .value_kind:     hidden_block_count_y
      - .offset:         152
        .size:           4
        .value_kind:     hidden_block_count_z
      - .offset:         156
        .size:           2
        .value_kind:     hidden_group_size_x
      - .offset:         158
        .size:           2
        .value_kind:     hidden_group_size_y
      - .offset:         160
        .size:           2
        .value_kind:     hidden_group_size_z
      - .offset:         162
        .size:           2
        .value_kind:     hidden_remainder_x
      - .offset:         164
        .size:           2
        .value_kind:     hidden_remainder_y
      - .offset:         166
        .size:           2
        .value_kind:     hidden_remainder_z
      - .offset:         184
        .size:           8
        .value_kind:     hidden_global_offset_x
      - .offset:         192
        .size:           8
        .value_kind:     hidden_global_offset_y
      - .offset:         200
        .size:           8
        .value_kind:     hidden_global_offset_z
      - .offset:         208
        .size:           2
        .value_kind:     hidden_grid_dims
    .group_segment_fixed_size: 17472
    .kernarg_segment_align: 8
    .kernarg_segment_size: 400
    .language:       OpenCL C
    .language_version:
      - 2
      - 0
    .max_flat_workgroup_size: 256
    .name:           _Z39paged_attention_ll4mi_QKV_mfma16_kernelI14__hip_bfloat16hLN4vllm18Fp8KVCacheDataTypeE1EhLi32ELi64ELi256ELb1ELi2EL8MFMAType1EEvPKT_PKT0_S9_ifPKiSB_SB_iPKfiiiPfSE_PS4_PT2_iSD_SD_
    .private_segment_fixed_size: 0
    .sgpr_count:     42
    .sgpr_spill_count: 0
    .symbol:         _Z39paged_attention_ll4mi_QKV_mfma16_kernelI14__hip_bfloat16hLN4vllm18Fp8KVCacheDataTypeE1EhLi32ELi64ELi256ELb1ELi2EL8MFMAType1EEvPKT_PKT0_S9_ifPKiSB_SB_iPKfiiiPfSE_PS4_PT2_iSD_SD_.kd
    .uniform_work_group_size: 1
    .uses_dynamic_stack: false
    .vgpr_count:     125
    .vgpr_spill_count: 0
    .wavefront_size: 32
    .workgroup_processor_mode: 1
  - .args:
      - .actual_access:  read_only
        .address_space:  global
        .offset:         0
        .size:           8
        .value_kind:     global_buffer
      - .actual_access:  read_only
        .address_space:  global
        .offset:         8
        .size:           8
        .value_kind:     global_buffer
      - .actual_access:  read_only
        .address_space:  global
        .offset:         16
        .size:           8
        .value_kind:     global_buffer
      - .offset:         24
        .size:           4
        .value_kind:     by_value
      - .offset:         28
        .size:           4
        .value_kind:     by_value
      - .actual_access:  read_only
        .address_space:  global
        .offset:         32
        .size:           8
        .value_kind:     global_buffer
      - .actual_access:  read_only
        .address_space:  global
        .offset:         40
        .size:           8
        .value_kind:     global_buffer
      - .actual_access:  read_only
        .address_space:  global
        .offset:         48
        .size:           8
        .value_kind:     global_buffer
      - .offset:         56
        .size:           4
        .value_kind:     by_value
      - .actual_access:  read_only
        .address_space:  global
        .offset:         64
        .size:           8
        .value_kind:     global_buffer
      - .offset:         72
        .size:           4
        .value_kind:     by_value
      - .offset:         76
        .size:           4
        .value_kind:     by_value
      - .offset:         80
        .size:           4
        .value_kind:     by_value
      - .actual_access:  write_only
        .address_space:  global
        .offset:         88
        .size:           8
        .value_kind:     global_buffer
      - .actual_access:  write_only
        .address_space:  global
        .offset:         96
        .size:           8
        .value_kind:     global_buffer
      - .actual_access:  write_only
        .address_space:  global
        .offset:         104
        .size:           8
        .value_kind:     global_buffer
      - .actual_access:  read_only
        .address_space:  global
        .offset:         112
        .size:           8
        .value_kind:     global_buffer
      - .offset:         120
        .size:           4
        .value_kind:     by_value
      - .address_space:  global
        .offset:         128
        .size:           8
        .value_kind:     global_buffer
      - .address_space:  global
        .offset:         136
        .size:           8
        .value_kind:     global_buffer
      - .offset:         144
        .size:           4
        .value_kind:     hidden_block_count_x
      - .offset:         148
        .size:           4
        .value_kind:     hidden_block_count_y
      - .offset:         152
        .size:           4
        .value_kind:     hidden_block_count_z
      - .offset:         156
        .size:           2
        .value_kind:     hidden_group_size_x
      - .offset:         158
        .size:           2
        .value_kind:     hidden_group_size_y
      - .offset:         160
        .size:           2
        .value_kind:     hidden_group_size_z
      - .offset:         162
        .size:           2
        .value_kind:     hidden_remainder_x
      - .offset:         164
        .size:           2
        .value_kind:     hidden_remainder_y
      - .offset:         166
        .size:           2
        .value_kind:     hidden_remainder_z
      - .offset:         184
        .size:           8
        .value_kind:     hidden_global_offset_x
      - .offset:         192
        .size:           8
        .value_kind:     hidden_global_offset_y
      - .offset:         200
        .size:           8
        .value_kind:     hidden_global_offset_z
      - .offset:         208
        .size:           2
        .value_kind:     hidden_grid_dims
    .group_segment_fixed_size: 17472
    .kernarg_segment_align: 8
    .kernarg_segment_size: 400
    .language:       OpenCL C
    .language_version:
      - 2
      - 0
    .max_flat_workgroup_size: 256
    .name:           _Z39paged_attention_ll4mi_QKV_mfma16_kernelI14__hip_bfloat16hLN4vllm18Fp8KVCacheDataTypeE1EhLi32ELi64ELi256ELb1ELi3EL8MFMAType1EEvPKT_PKT0_S9_ifPKiSB_SB_iPKfiiiPfSE_PS4_PT2_iSD_SD_
    .private_segment_fixed_size: 0
    .sgpr_count:     44
    .sgpr_spill_count: 0
    .symbol:         _Z39paged_attention_ll4mi_QKV_mfma16_kernelI14__hip_bfloat16hLN4vllm18Fp8KVCacheDataTypeE1EhLi32ELi64ELi256ELb1ELi3EL8MFMAType1EEvPKT_PKT0_S9_ifPKiSB_SB_iPKfiiiPfSE_PS4_PT2_iSD_SD_.kd
    .uniform_work_group_size: 1
    .uses_dynamic_stack: false
    .vgpr_count:     124
    .vgpr_spill_count: 0
    .wavefront_size: 32
    .workgroup_processor_mode: 1
  - .args:
      - .actual_access:  read_only
        .address_space:  global
        .offset:         0
        .size:           8
        .value_kind:     global_buffer
      - .actual_access:  read_only
        .address_space:  global
        .offset:         8
        .size:           8
        .value_kind:     global_buffer
      - .actual_access:  read_only
        .address_space:  global
        .offset:         16
        .size:           8
        .value_kind:     global_buffer
      - .offset:         24
        .size:           4
        .value_kind:     by_value
      - .offset:         28
        .size:           4
        .value_kind:     by_value
      - .actual_access:  read_only
        .address_space:  global
        .offset:         32
        .size:           8
        .value_kind:     global_buffer
      - .actual_access:  read_only
        .address_space:  global
        .offset:         40
        .size:           8
        .value_kind:     global_buffer
      - .actual_access:  read_only
        .address_space:  global
        .offset:         48
        .size:           8
        .value_kind:     global_buffer
      - .offset:         56
        .size:           4
        .value_kind:     by_value
      - .actual_access:  read_only
        .address_space:  global
        .offset:         64
        .size:           8
        .value_kind:     global_buffer
      - .offset:         72
        .size:           4
        .value_kind:     by_value
      - .offset:         76
        .size:           4
        .value_kind:     by_value
      - .offset:         80
        .size:           4
        .value_kind:     by_value
      - .actual_access:  write_only
        .address_space:  global
        .offset:         88
        .size:           8
        .value_kind:     global_buffer
      - .actual_access:  write_only
        .address_space:  global
        .offset:         96
        .size:           8
        .value_kind:     global_buffer
      - .actual_access:  write_only
        .address_space:  global
        .offset:         104
        .size:           8
        .value_kind:     global_buffer
      - .actual_access:  read_only
        .address_space:  global
        .offset:         112
        .size:           8
        .value_kind:     global_buffer
      - .offset:         120
        .size:           4
        .value_kind:     by_value
      - .address_space:  global
        .offset:         128
        .size:           8
        .value_kind:     global_buffer
      - .address_space:  global
        .offset:         136
        .size:           8
        .value_kind:     global_buffer
      - .offset:         144
        .size:           4
        .value_kind:     hidden_block_count_x
      - .offset:         148
        .size:           4
        .value_kind:     hidden_block_count_y
      - .offset:         152
        .size:           4
        .value_kind:     hidden_block_count_z
      - .offset:         156
        .size:           2
        .value_kind:     hidden_group_size_x
      - .offset:         158
        .size:           2
        .value_kind:     hidden_group_size_y
      - .offset:         160
        .size:           2
        .value_kind:     hidden_group_size_z
      - .offset:         162
        .size:           2
        .value_kind:     hidden_remainder_x
      - .offset:         164
        .size:           2
        .value_kind:     hidden_remainder_y
      - .offset:         166
        .size:           2
        .value_kind:     hidden_remainder_z
      - .offset:         184
        .size:           8
        .value_kind:     hidden_global_offset_x
      - .offset:         192
        .size:           8
        .value_kind:     hidden_global_offset_y
      - .offset:         200
        .size:           8
        .value_kind:     hidden_global_offset_z
      - .offset:         208
        .size:           2
        .value_kind:     hidden_grid_dims
    .group_segment_fixed_size: 17472
    .kernarg_segment_align: 8
    .kernarg_segment_size: 400
    .language:       OpenCL C
    .language_version:
      - 2
      - 0
    .max_flat_workgroup_size: 256
    .name:           _Z39paged_attention_ll4mi_QKV_mfma16_kernelI14__hip_bfloat16hLN4vllm18Fp8KVCacheDataTypeE1EhLi32ELi64ELi256ELb1ELi4EL8MFMAType1EEvPKT_PKT0_S9_ifPKiSB_SB_iPKfiiiPfSE_PS4_PT2_iSD_SD_
    .private_segment_fixed_size: 0
    .sgpr_count:     42
    .sgpr_spill_count: 0
    .symbol:         _Z39paged_attention_ll4mi_QKV_mfma16_kernelI14__hip_bfloat16hLN4vllm18Fp8KVCacheDataTypeE1EhLi32ELi64ELi256ELb1ELi4EL8MFMAType1EEvPKT_PKT0_S9_ifPKiSB_SB_iPKfiiiPfSE_PS4_PT2_iSD_SD_.kd
    .uniform_work_group_size: 1
    .uses_dynamic_stack: false
    .vgpr_count:     124
    .vgpr_spill_count: 0
    .wavefront_size: 32
    .workgroup_processor_mode: 1
  - .args:
      - .actual_access:  read_only
        .address_space:  global
        .offset:         0
        .size:           8
        .value_kind:     global_buffer
      - .actual_access:  read_only
        .address_space:  global
        .offset:         8
        .size:           8
        .value_kind:     global_buffer
      - .actual_access:  read_only
        .address_space:  global
        .offset:         16
        .size:           8
        .value_kind:     global_buffer
      - .offset:         24
        .size:           4
        .value_kind:     by_value
      - .offset:         28
        .size:           4
        .value_kind:     by_value
      - .actual_access:  read_only
        .address_space:  global
        .offset:         32
        .size:           8
        .value_kind:     global_buffer
      - .actual_access:  read_only
        .address_space:  global
        .offset:         40
        .size:           8
        .value_kind:     global_buffer
      - .actual_access:  read_only
        .address_space:  global
        .offset:         48
        .size:           8
        .value_kind:     global_buffer
      - .offset:         56
        .size:           4
        .value_kind:     by_value
      - .actual_access:  read_only
        .address_space:  global
        .offset:         64
        .size:           8
        .value_kind:     global_buffer
      - .offset:         72
        .size:           4
        .value_kind:     by_value
      - .offset:         76
        .size:           4
        .value_kind:     by_value
      - .offset:         80
        .size:           4
        .value_kind:     by_value
      - .actual_access:  read_only
        .address_space:  global
        .offset:         88
        .size:           8
        .value_kind:     global_buffer
      - .actual_access:  read_only
        .address_space:  global
        .offset:         96
        .size:           8
        .value_kind:     global_buffer
      - .actual_access:  read_only
        .address_space:  global
        .offset:         104
        .size:           8
        .value_kind:     global_buffer
      - .actual_access:  read_only
        .address_space:  global
        .offset:         112
        .size:           8
        .value_kind:     global_buffer
      - .offset:         120
        .size:           4
        .value_kind:     by_value
      - .address_space:  global
        .offset:         128
        .size:           8
        .value_kind:     global_buffer
      - .address_space:  global
        .offset:         136
        .size:           8
        .value_kind:     global_buffer
      - .offset:         144
        .size:           4
        .value_kind:     hidden_block_count_x
      - .offset:         148
        .size:           4
        .value_kind:     hidden_block_count_y
      - .offset:         152
        .size:           4
        .value_kind:     hidden_block_count_z
      - .offset:         156
        .size:           2
        .value_kind:     hidden_group_size_x
      - .offset:         158
        .size:           2
        .value_kind:     hidden_group_size_y
      - .offset:         160
        .size:           2
        .value_kind:     hidden_group_size_z
      - .offset:         162
        .size:           2
        .value_kind:     hidden_remainder_x
      - .offset:         164
        .size:           2
        .value_kind:     hidden_remainder_y
      - .offset:         166
        .size:           2
        .value_kind:     hidden_remainder_z
      - .offset:         184
        .size:           8
        .value_kind:     hidden_global_offset_x
      - .offset:         192
        .size:           8
        .value_kind:     hidden_global_offset_y
      - .offset:         200
        .size:           8
        .value_kind:     hidden_global_offset_z
      - .offset:         208
        .size:           2
        .value_kind:     hidden_grid_dims
      - .offset:         224
        .size:           8
        .value_kind:     hidden_hostcall_buffer
    .group_segment_fixed_size: 0
    .kernarg_segment_align: 8
    .kernarg_segment_size: 400
    .language:       OpenCL C
    .language_version:
      - 2
      - 0
    .max_flat_workgroup_size: 256
    .name:           _Z38paged_attention_ll4mi_QKV_mfma4_kernelI14__hip_bfloat16hLN4vllm18Fp8KVCacheDataTypeE1EhLi32ELi64ELi256ELb0ELi1EEvPKT_PKT0_S8_ifPKiSA_SA_iPKfiiiPfSD_PS3_PT2_iSC_SC_
    .private_segment_fixed_size: 64
    .sgpr_count:     36
    .sgpr_spill_count: 0
    .symbol:         _Z38paged_attention_ll4mi_QKV_mfma4_kernelI14__hip_bfloat16hLN4vllm18Fp8KVCacheDataTypeE1EhLi32ELi64ELi256ELb0ELi1EEvPKT_PKT0_S8_ifPKiSA_SA_iPKfiiiPfSD_PS3_PT2_iSC_SC_.kd
    .uniform_work_group_size: 1
    .uses_dynamic_stack: false
    .vgpr_count:     41
    .vgpr_spill_count: 0
    .wavefront_size: 32
    .workgroup_processor_mode: 1
  - .args:
      - .actual_access:  read_only
        .address_space:  global
        .offset:         0
        .size:           8
        .value_kind:     global_buffer
      - .actual_access:  read_only
        .address_space:  global
        .offset:         8
        .size:           8
        .value_kind:     global_buffer
      - .actual_access:  read_only
        .address_space:  global
        .offset:         16
        .size:           8
        .value_kind:     global_buffer
      - .offset:         24
        .size:           4
        .value_kind:     by_value
      - .offset:         28
        .size:           4
        .value_kind:     by_value
      - .actual_access:  read_only
        .address_space:  global
        .offset:         32
        .size:           8
        .value_kind:     global_buffer
      - .actual_access:  read_only
        .address_space:  global
        .offset:         40
        .size:           8
        .value_kind:     global_buffer
      - .actual_access:  read_only
        .address_space:  global
        .offset:         48
        .size:           8
        .value_kind:     global_buffer
      - .offset:         56
        .size:           4
        .value_kind:     by_value
      - .actual_access:  read_only
        .address_space:  global
        .offset:         64
        .size:           8
        .value_kind:     global_buffer
      - .offset:         72
        .size:           4
        .value_kind:     by_value
      - .offset:         76
        .size:           4
        .value_kind:     by_value
      - .offset:         80
        .size:           4
        .value_kind:     by_value
      - .actual_access:  read_only
        .address_space:  global
        .offset:         88
        .size:           8
        .value_kind:     global_buffer
      - .actual_access:  read_only
        .address_space:  global
        .offset:         96
        .size:           8
        .value_kind:     global_buffer
      - .actual_access:  read_only
        .address_space:  global
        .offset:         104
        .size:           8
        .value_kind:     global_buffer
      - .actual_access:  read_only
        .address_space:  global
        .offset:         112
        .size:           8
        .value_kind:     global_buffer
      - .offset:         120
        .size:           4
        .value_kind:     by_value
      - .address_space:  global
        .offset:         128
        .size:           8
        .value_kind:     global_buffer
      - .address_space:  global
        .offset:         136
        .size:           8
        .value_kind:     global_buffer
      - .offset:         144
        .size:           4
        .value_kind:     hidden_block_count_x
      - .offset:         148
        .size:           4
        .value_kind:     hidden_block_count_y
      - .offset:         152
        .size:           4
        .value_kind:     hidden_block_count_z
      - .offset:         156
        .size:           2
        .value_kind:     hidden_group_size_x
      - .offset:         158
        .size:           2
        .value_kind:     hidden_group_size_y
      - .offset:         160
        .size:           2
        .value_kind:     hidden_group_size_z
      - .offset:         162
        .size:           2
        .value_kind:     hidden_remainder_x
      - .offset:         164
        .size:           2
        .value_kind:     hidden_remainder_y
      - .offset:         166
        .size:           2
        .value_kind:     hidden_remainder_z
      - .offset:         184
        .size:           8
        .value_kind:     hidden_global_offset_x
      - .offset:         192
        .size:           8
        .value_kind:     hidden_global_offset_y
      - .offset:         200
        .size:           8
        .value_kind:     hidden_global_offset_z
      - .offset:         208
        .size:           2
        .value_kind:     hidden_grid_dims
      - .offset:         224
        .size:           8
        .value_kind:     hidden_hostcall_buffer
    .group_segment_fixed_size: 0
    .kernarg_segment_align: 8
    .kernarg_segment_size: 400
    .language:       OpenCL C
    .language_version:
      - 2
      - 0
    .max_flat_workgroup_size: 256
    .name:           _Z38paged_attention_ll4mi_QKV_mfma4_kernelI14__hip_bfloat16hLN4vllm18Fp8KVCacheDataTypeE1EhLi32ELi64ELi256ELb0ELi2EEvPKT_PKT0_S8_ifPKiSA_SA_iPKfiiiPfSD_PS3_PT2_iSC_SC_
    .private_segment_fixed_size: 64
    .sgpr_count:     36
    .sgpr_spill_count: 0
    .symbol:         _Z38paged_attention_ll4mi_QKV_mfma4_kernelI14__hip_bfloat16hLN4vllm18Fp8KVCacheDataTypeE1EhLi32ELi64ELi256ELb0ELi2EEvPKT_PKT0_S8_ifPKiSA_SA_iPKfiiiPfSD_PS3_PT2_iSC_SC_.kd
    .uniform_work_group_size: 1
    .uses_dynamic_stack: false
    .vgpr_count:     41
    .vgpr_spill_count: 0
    .wavefront_size: 32
    .workgroup_processor_mode: 1
  - .args:
      - .actual_access:  read_only
        .address_space:  global
        .offset:         0
        .size:           8
        .value_kind:     global_buffer
      - .actual_access:  read_only
        .address_space:  global
        .offset:         8
        .size:           8
        .value_kind:     global_buffer
      - .actual_access:  read_only
        .address_space:  global
        .offset:         16
        .size:           8
        .value_kind:     global_buffer
      - .offset:         24
        .size:           4
        .value_kind:     by_value
      - .offset:         28
        .size:           4
        .value_kind:     by_value
      - .actual_access:  read_only
        .address_space:  global
        .offset:         32
        .size:           8
        .value_kind:     global_buffer
      - .actual_access:  read_only
        .address_space:  global
        .offset:         40
        .size:           8
        .value_kind:     global_buffer
      - .actual_access:  read_only
        .address_space:  global
        .offset:         48
        .size:           8
        .value_kind:     global_buffer
      - .offset:         56
        .size:           4
        .value_kind:     by_value
      - .actual_access:  read_only
        .address_space:  global
        .offset:         64
        .size:           8
        .value_kind:     global_buffer
      - .offset:         72
        .size:           4
        .value_kind:     by_value
      - .offset:         76
        .size:           4
        .value_kind:     by_value
      - .offset:         80
        .size:           4
        .value_kind:     by_value
      - .actual_access:  read_only
        .address_space:  global
        .offset:         88
        .size:           8
        .value_kind:     global_buffer
      - .actual_access:  read_only
        .address_space:  global
        .offset:         96
        .size:           8
        .value_kind:     global_buffer
      - .actual_access:  read_only
        .address_space:  global
        .offset:         104
        .size:           8
        .value_kind:     global_buffer
      - .actual_access:  read_only
        .address_space:  global
        .offset:         112
        .size:           8
        .value_kind:     global_buffer
      - .offset:         120
        .size:           4
        .value_kind:     by_value
      - .address_space:  global
        .offset:         128
        .size:           8
        .value_kind:     global_buffer
      - .address_space:  global
        .offset:         136
        .size:           8
        .value_kind:     global_buffer
      - .offset:         144
        .size:           4
        .value_kind:     hidden_block_count_x
      - .offset:         148
        .size:           4
        .value_kind:     hidden_block_count_y
      - .offset:         152
        .size:           4
        .value_kind:     hidden_block_count_z
      - .offset:         156
        .size:           2
        .value_kind:     hidden_group_size_x
      - .offset:         158
        .size:           2
        .value_kind:     hidden_group_size_y
      - .offset:         160
        .size:           2
        .value_kind:     hidden_group_size_z
      - .offset:         162
        .size:           2
        .value_kind:     hidden_remainder_x
      - .offset:         164
        .size:           2
        .value_kind:     hidden_remainder_y
      - .offset:         166
        .size:           2
        .value_kind:     hidden_remainder_z
      - .offset:         184
        .size:           8
        .value_kind:     hidden_global_offset_x
      - .offset:         192
        .size:           8
        .value_kind:     hidden_global_offset_y
      - .offset:         200
        .size:           8
        .value_kind:     hidden_global_offset_z
      - .offset:         208
        .size:           2
        .value_kind:     hidden_grid_dims
      - .offset:         224
        .size:           8
        .value_kind:     hidden_hostcall_buffer
    .group_segment_fixed_size: 0
    .kernarg_segment_align: 8
    .kernarg_segment_size: 400
    .language:       OpenCL C
    .language_version:
      - 2
      - 0
    .max_flat_workgroup_size: 256
    .name:           _Z38paged_attention_ll4mi_QKV_mfma4_kernelI14__hip_bfloat16hLN4vllm18Fp8KVCacheDataTypeE1EhLi32ELi64ELi256ELb0ELi3EEvPKT_PKT0_S8_ifPKiSA_SA_iPKfiiiPfSD_PS3_PT2_iSC_SC_
    .private_segment_fixed_size: 64
    .sgpr_count:     36
    .sgpr_spill_count: 0
    .symbol:         _Z38paged_attention_ll4mi_QKV_mfma4_kernelI14__hip_bfloat16hLN4vllm18Fp8KVCacheDataTypeE1EhLi32ELi64ELi256ELb0ELi3EEvPKT_PKT0_S8_ifPKiSA_SA_iPKfiiiPfSD_PS3_PT2_iSC_SC_.kd
    .uniform_work_group_size: 1
    .uses_dynamic_stack: false
    .vgpr_count:     41
    .vgpr_spill_count: 0
    .wavefront_size: 32
    .workgroup_processor_mode: 1
  - .args:
      - .actual_access:  read_only
        .address_space:  global
        .offset:         0
        .size:           8
        .value_kind:     global_buffer
      - .actual_access:  read_only
        .address_space:  global
        .offset:         8
        .size:           8
        .value_kind:     global_buffer
      - .actual_access:  read_only
        .address_space:  global
        .offset:         16
        .size:           8
        .value_kind:     global_buffer
      - .offset:         24
        .size:           4
        .value_kind:     by_value
      - .offset:         28
        .size:           4
        .value_kind:     by_value
      - .actual_access:  read_only
        .address_space:  global
        .offset:         32
        .size:           8
        .value_kind:     global_buffer
      - .actual_access:  read_only
        .address_space:  global
        .offset:         40
        .size:           8
        .value_kind:     global_buffer
      - .actual_access:  read_only
        .address_space:  global
        .offset:         48
        .size:           8
        .value_kind:     global_buffer
      - .offset:         56
        .size:           4
        .value_kind:     by_value
      - .actual_access:  read_only
        .address_space:  global
        .offset:         64
        .size:           8
        .value_kind:     global_buffer
      - .offset:         72
        .size:           4
        .value_kind:     by_value
      - .offset:         76
        .size:           4
        .value_kind:     by_value
      - .offset:         80
        .size:           4
        .value_kind:     by_value
      - .actual_access:  read_only
        .address_space:  global
        .offset:         88
        .size:           8
        .value_kind:     global_buffer
      - .actual_access:  read_only
        .address_space:  global
        .offset:         96
        .size:           8
        .value_kind:     global_buffer
      - .actual_access:  read_only
        .address_space:  global
        .offset:         104
        .size:           8
        .value_kind:     global_buffer
      - .actual_access:  read_only
        .address_space:  global
        .offset:         112
        .size:           8
        .value_kind:     global_buffer
      - .offset:         120
        .size:           4
        .value_kind:     by_value
      - .address_space:  global
        .offset:         128
        .size:           8
        .value_kind:     global_buffer
      - .address_space:  global
        .offset:         136
        .size:           8
        .value_kind:     global_buffer
      - .offset:         144
        .size:           4
        .value_kind:     hidden_block_count_x
      - .offset:         148
        .size:           4
        .value_kind:     hidden_block_count_y
      - .offset:         152
        .size:           4
        .value_kind:     hidden_block_count_z
      - .offset:         156
        .size:           2
        .value_kind:     hidden_group_size_x
      - .offset:         158
        .size:           2
        .value_kind:     hidden_group_size_y
      - .offset:         160
        .size:           2
        .value_kind:     hidden_group_size_z
      - .offset:         162
        .size:           2
        .value_kind:     hidden_remainder_x
      - .offset:         164
        .size:           2
        .value_kind:     hidden_remainder_y
      - .offset:         166
        .size:           2
        .value_kind:     hidden_remainder_z
      - .offset:         184
        .size:           8
        .value_kind:     hidden_global_offset_x
      - .offset:         192
        .size:           8
        .value_kind:     hidden_global_offset_y
      - .offset:         200
        .size:           8
        .value_kind:     hidden_global_offset_z
      - .offset:         208
        .size:           2
        .value_kind:     hidden_grid_dims
      - .offset:         224
        .size:           8
        .value_kind:     hidden_hostcall_buffer
    .group_segment_fixed_size: 0
    .kernarg_segment_align: 8
    .kernarg_segment_size: 400
    .language:       OpenCL C
    .language_version:
      - 2
      - 0
    .max_flat_workgroup_size: 256
    .name:           _Z38paged_attention_ll4mi_QKV_mfma4_kernelI14__hip_bfloat16hLN4vllm18Fp8KVCacheDataTypeE1EhLi32ELi64ELi256ELb0ELi4EEvPKT_PKT0_S8_ifPKiSA_SA_iPKfiiiPfSD_PS3_PT2_iSC_SC_
    .private_segment_fixed_size: 64
    .sgpr_count:     36
    .sgpr_spill_count: 0
    .symbol:         _Z38paged_attention_ll4mi_QKV_mfma4_kernelI14__hip_bfloat16hLN4vllm18Fp8KVCacheDataTypeE1EhLi32ELi64ELi256ELb0ELi4EEvPKT_PKT0_S8_ifPKiSA_SA_iPKfiiiPfSD_PS3_PT2_iSC_SC_.kd
    .uniform_work_group_size: 1
    .uses_dynamic_stack: false
    .vgpr_count:     41
    .vgpr_spill_count: 0
    .wavefront_size: 32
    .workgroup_processor_mode: 1
  - .args:
      - .actual_access:  read_only
        .address_space:  global
        .offset:         0
        .size:           8
        .value_kind:     global_buffer
      - .actual_access:  read_only
        .address_space:  global
        .offset:         8
        .size:           8
        .value_kind:     global_buffer
      - .actual_access:  read_only
        .address_space:  global
        .offset:         16
        .size:           8
        .value_kind:     global_buffer
      - .offset:         24
        .size:           4
        .value_kind:     by_value
      - .offset:         28
        .size:           4
        .value_kind:     by_value
      - .actual_access:  read_only
        .address_space:  global
        .offset:         32
        .size:           8
        .value_kind:     global_buffer
      - .actual_access:  read_only
        .address_space:  global
        .offset:         40
        .size:           8
        .value_kind:     global_buffer
      - .actual_access:  read_only
        .address_space:  global
        .offset:         48
        .size:           8
        .value_kind:     global_buffer
      - .offset:         56
        .size:           4
        .value_kind:     by_value
      - .actual_access:  read_only
        .address_space:  global
        .offset:         64
        .size:           8
        .value_kind:     global_buffer
      - .offset:         72
        .size:           4
        .value_kind:     by_value
      - .offset:         76
        .size:           4
        .value_kind:     by_value
      - .offset:         80
        .size:           4
        .value_kind:     by_value
      - .actual_access:  write_only
        .address_space:  global
        .offset:         88
        .size:           8
        .value_kind:     global_buffer
      - .actual_access:  write_only
        .address_space:  global
        .offset:         96
        .size:           8
        .value_kind:     global_buffer
      - .actual_access:  write_only
        .address_space:  global
        .offset:         104
        .size:           8
        .value_kind:     global_buffer
      - .actual_access:  read_only
        .address_space:  global
        .offset:         112
        .size:           8
        .value_kind:     global_buffer
      - .offset:         120
        .size:           4
        .value_kind:     by_value
      - .address_space:  global
        .offset:         128
        .size:           8
        .value_kind:     global_buffer
      - .address_space:  global
        .offset:         136
        .size:           8
        .value_kind:     global_buffer
      - .offset:         144
        .size:           4
        .value_kind:     hidden_block_count_x
      - .offset:         148
        .size:           4
        .value_kind:     hidden_block_count_y
      - .offset:         152
        .size:           4
        .value_kind:     hidden_block_count_z
      - .offset:         156
        .size:           2
        .value_kind:     hidden_group_size_x
      - .offset:         158
        .size:           2
        .value_kind:     hidden_group_size_y
      - .offset:         160
        .size:           2
        .value_kind:     hidden_group_size_z
      - .offset:         162
        .size:           2
        .value_kind:     hidden_remainder_x
      - .offset:         164
        .size:           2
        .value_kind:     hidden_remainder_y
      - .offset:         166
        .size:           2
        .value_kind:     hidden_remainder_z
      - .offset:         184
        .size:           8
        .value_kind:     hidden_global_offset_x
      - .offset:         192
        .size:           8
        .value_kind:     hidden_global_offset_y
      - .offset:         200
        .size:           8
        .value_kind:     hidden_global_offset_z
      - .offset:         208
        .size:           2
        .value_kind:     hidden_grid_dims
    .group_segment_fixed_size: 17472
    .kernarg_segment_align: 8
    .kernarg_segment_size: 400
    .language:       OpenCL C
    .language_version:
      - 2
      - 0
    .max_flat_workgroup_size: 256
    .name:           _Z39paged_attention_ll4mi_QKV_mfma16_kernelI14__hip_bfloat16hLN4vllm18Fp8KVCacheDataTypeE1EhLi32ELi64ELi256ELb0ELi5EL8MFMAType1EEvPKT_PKT0_S9_ifPKiSB_SB_iPKfiiiPfSE_PS4_PT2_iSD_SD_
    .private_segment_fixed_size: 0
    .sgpr_count:     44
    .sgpr_spill_count: 0
    .symbol:         _Z39paged_attention_ll4mi_QKV_mfma16_kernelI14__hip_bfloat16hLN4vllm18Fp8KVCacheDataTypeE1EhLi32ELi64ELi256ELb0ELi5EL8MFMAType1EEvPKT_PKT0_S9_ifPKiSB_SB_iPKfiiiPfSE_PS4_PT2_iSD_SD_.kd
    .uniform_work_group_size: 1
    .uses_dynamic_stack: false
    .vgpr_count:     124
    .vgpr_spill_count: 0
    .wavefront_size: 32
    .workgroup_processor_mode: 1
  - .args:
      - .actual_access:  read_only
        .address_space:  global
        .offset:         0
        .size:           8
        .value_kind:     global_buffer
      - .actual_access:  read_only
        .address_space:  global
        .offset:         8
        .size:           8
        .value_kind:     global_buffer
      - .actual_access:  read_only
        .address_space:  global
        .offset:         16
        .size:           8
        .value_kind:     global_buffer
      - .offset:         24
        .size:           4
        .value_kind:     by_value
      - .offset:         28
        .size:           4
        .value_kind:     by_value
      - .actual_access:  read_only
        .address_space:  global
        .offset:         32
        .size:           8
        .value_kind:     global_buffer
      - .actual_access:  read_only
        .address_space:  global
        .offset:         40
        .size:           8
        .value_kind:     global_buffer
      - .actual_access:  read_only
        .address_space:  global
        .offset:         48
        .size:           8
        .value_kind:     global_buffer
      - .offset:         56
        .size:           4
        .value_kind:     by_value
      - .actual_access:  read_only
        .address_space:  global
        .offset:         64
        .size:           8
        .value_kind:     global_buffer
      - .offset:         72
        .size:           4
        .value_kind:     by_value
      - .offset:         76
        .size:           4
        .value_kind:     by_value
      - .offset:         80
        .size:           4
        .value_kind:     by_value
      - .actual_access:  write_only
        .address_space:  global
        .offset:         88
        .size:           8
        .value_kind:     global_buffer
      - .actual_access:  write_only
        .address_space:  global
        .offset:         96
        .size:           8
        .value_kind:     global_buffer
      - .actual_access:  write_only
        .address_space:  global
        .offset:         104
        .size:           8
        .value_kind:     global_buffer
      - .actual_access:  read_only
        .address_space:  global
        .offset:         112
        .size:           8
        .value_kind:     global_buffer
      - .offset:         120
        .size:           4
        .value_kind:     by_value
      - .address_space:  global
        .offset:         128
        .size:           8
        .value_kind:     global_buffer
      - .address_space:  global
        .offset:         136
        .size:           8
        .value_kind:     global_buffer
      - .offset:         144
        .size:           4
        .value_kind:     hidden_block_count_x
      - .offset:         148
        .size:           4
        .value_kind:     hidden_block_count_y
      - .offset:         152
        .size:           4
        .value_kind:     hidden_block_count_z
      - .offset:         156
        .size:           2
        .value_kind:     hidden_group_size_x
      - .offset:         158
        .size:           2
        .value_kind:     hidden_group_size_y
      - .offset:         160
        .size:           2
        .value_kind:     hidden_group_size_z
      - .offset:         162
        .size:           2
        .value_kind:     hidden_remainder_x
      - .offset:         164
        .size:           2
        .value_kind:     hidden_remainder_y
      - .offset:         166
        .size:           2
        .value_kind:     hidden_remainder_z
      - .offset:         184
        .size:           8
        .value_kind:     hidden_global_offset_x
      - .offset:         192
        .size:           8
        .value_kind:     hidden_global_offset_y
      - .offset:         200
        .size:           8
        .value_kind:     hidden_global_offset_z
      - .offset:         208
        .size:           2
        .value_kind:     hidden_grid_dims
    .group_segment_fixed_size: 17472
    .kernarg_segment_align: 8
    .kernarg_segment_size: 400
    .language:       OpenCL C
    .language_version:
      - 2
      - 0
    .max_flat_workgroup_size: 256
    .name:           _Z39paged_attention_ll4mi_QKV_mfma16_kernelI14__hip_bfloat16hLN4vllm18Fp8KVCacheDataTypeE1EhLi32ELi64ELi256ELb0ELi6EL8MFMAType1EEvPKT_PKT0_S9_ifPKiSB_SB_iPKfiiiPfSE_PS4_PT2_iSD_SD_
    .private_segment_fixed_size: 0
    .sgpr_count:     42
    .sgpr_spill_count: 0
    .symbol:         _Z39paged_attention_ll4mi_QKV_mfma16_kernelI14__hip_bfloat16hLN4vllm18Fp8KVCacheDataTypeE1EhLi32ELi64ELi256ELb0ELi6EL8MFMAType1EEvPKT_PKT0_S9_ifPKiSB_SB_iPKfiiiPfSE_PS4_PT2_iSD_SD_.kd
    .uniform_work_group_size: 1
    .uses_dynamic_stack: false
    .vgpr_count:     124
    .vgpr_spill_count: 0
    .wavefront_size: 32
    .workgroup_processor_mode: 1
  - .args:
      - .actual_access:  read_only
        .address_space:  global
        .offset:         0
        .size:           8
        .value_kind:     global_buffer
      - .actual_access:  read_only
        .address_space:  global
        .offset:         8
        .size:           8
        .value_kind:     global_buffer
      - .actual_access:  read_only
        .address_space:  global
        .offset:         16
        .size:           8
        .value_kind:     global_buffer
      - .offset:         24
        .size:           4
        .value_kind:     by_value
      - .offset:         28
        .size:           4
        .value_kind:     by_value
      - .actual_access:  read_only
        .address_space:  global
        .offset:         32
        .size:           8
        .value_kind:     global_buffer
      - .actual_access:  read_only
        .address_space:  global
        .offset:         40
        .size:           8
        .value_kind:     global_buffer
      - .actual_access:  read_only
        .address_space:  global
        .offset:         48
        .size:           8
        .value_kind:     global_buffer
      - .offset:         56
        .size:           4
        .value_kind:     by_value
      - .actual_access:  read_only
        .address_space:  global
        .offset:         64
        .size:           8
        .value_kind:     global_buffer
      - .offset:         72
        .size:           4
        .value_kind:     by_value
      - .offset:         76
        .size:           4
        .value_kind:     by_value
      - .offset:         80
        .size:           4
        .value_kind:     by_value
      - .actual_access:  write_only
        .address_space:  global
        .offset:         88
        .size:           8
        .value_kind:     global_buffer
      - .actual_access:  write_only
        .address_space:  global
        .offset:         96
        .size:           8
        .value_kind:     global_buffer
      - .actual_access:  write_only
        .address_space:  global
        .offset:         104
        .size:           8
        .value_kind:     global_buffer
      - .actual_access:  read_only
        .address_space:  global
        .offset:         112
        .size:           8
        .value_kind:     global_buffer
      - .offset:         120
        .size:           4
        .value_kind:     by_value
      - .address_space:  global
        .offset:         128
        .size:           8
        .value_kind:     global_buffer
      - .address_space:  global
        .offset:         136
        .size:           8
        .value_kind:     global_buffer
      - .offset:         144
        .size:           4
        .value_kind:     hidden_block_count_x
      - .offset:         148
        .size:           4
        .value_kind:     hidden_block_count_y
      - .offset:         152
        .size:           4
        .value_kind:     hidden_block_count_z
      - .offset:         156
        .size:           2
        .value_kind:     hidden_group_size_x
      - .offset:         158
        .size:           2
        .value_kind:     hidden_group_size_y
      - .offset:         160
        .size:           2
        .value_kind:     hidden_group_size_z
      - .offset:         162
        .size:           2
        .value_kind:     hidden_remainder_x
      - .offset:         164
        .size:           2
        .value_kind:     hidden_remainder_y
      - .offset:         166
        .size:           2
        .value_kind:     hidden_remainder_z
      - .offset:         184
        .size:           8
        .value_kind:     hidden_global_offset_x
      - .offset:         192
        .size:           8
        .value_kind:     hidden_global_offset_y
      - .offset:         200
        .size:           8
        .value_kind:     hidden_global_offset_z
      - .offset:         208
        .size:           2
        .value_kind:     hidden_grid_dims
    .group_segment_fixed_size: 17472
    .kernarg_segment_align: 8
    .kernarg_segment_size: 400
    .language:       OpenCL C
    .language_version:
      - 2
      - 0
    .max_flat_workgroup_size: 256
    .name:           _Z39paged_attention_ll4mi_QKV_mfma16_kernelI14__hip_bfloat16hLN4vllm18Fp8KVCacheDataTypeE1EhLi32ELi64ELi256ELb0ELi7EL8MFMAType1EEvPKT_PKT0_S9_ifPKiSB_SB_iPKfiiiPfSE_PS4_PT2_iSD_SD_
    .private_segment_fixed_size: 0
    .sgpr_count:     44
    .sgpr_spill_count: 0
    .symbol:         _Z39paged_attention_ll4mi_QKV_mfma16_kernelI14__hip_bfloat16hLN4vllm18Fp8KVCacheDataTypeE1EhLi32ELi64ELi256ELb0ELi7EL8MFMAType1EEvPKT_PKT0_S9_ifPKiSB_SB_iPKfiiiPfSE_PS4_PT2_iSD_SD_.kd
    .uniform_work_group_size: 1
    .uses_dynamic_stack: false
    .vgpr_count:     124
    .vgpr_spill_count: 0
    .wavefront_size: 32
    .workgroup_processor_mode: 1
  - .args:
      - .actual_access:  read_only
        .address_space:  global
        .offset:         0
        .size:           8
        .value_kind:     global_buffer
      - .actual_access:  read_only
        .address_space:  global
        .offset:         8
        .size:           8
        .value_kind:     global_buffer
      - .actual_access:  read_only
        .address_space:  global
        .offset:         16
        .size:           8
        .value_kind:     global_buffer
      - .offset:         24
        .size:           4
        .value_kind:     by_value
      - .offset:         28
        .size:           4
        .value_kind:     by_value
      - .actual_access:  read_only
        .address_space:  global
        .offset:         32
        .size:           8
        .value_kind:     global_buffer
      - .actual_access:  read_only
        .address_space:  global
        .offset:         40
        .size:           8
        .value_kind:     global_buffer
      - .actual_access:  read_only
        .address_space:  global
        .offset:         48
        .size:           8
        .value_kind:     global_buffer
      - .offset:         56
        .size:           4
        .value_kind:     by_value
      - .actual_access:  read_only
        .address_space:  global
        .offset:         64
        .size:           8
        .value_kind:     global_buffer
      - .offset:         72
        .size:           4
        .value_kind:     by_value
      - .offset:         76
        .size:           4
        .value_kind:     by_value
      - .offset:         80
        .size:           4
        .value_kind:     by_value
      - .actual_access:  write_only
        .address_space:  global
        .offset:         88
        .size:           8
        .value_kind:     global_buffer
      - .actual_access:  write_only
        .address_space:  global
        .offset:         96
        .size:           8
        .value_kind:     global_buffer
      - .actual_access:  write_only
        .address_space:  global
        .offset:         104
        .size:           8
        .value_kind:     global_buffer
      - .actual_access:  read_only
        .address_space:  global
        .offset:         112
        .size:           8
        .value_kind:     global_buffer
      - .offset:         120
        .size:           4
        .value_kind:     by_value
      - .address_space:  global
        .offset:         128
        .size:           8
        .value_kind:     global_buffer
      - .address_space:  global
        .offset:         136
        .size:           8
        .value_kind:     global_buffer
      - .offset:         144
        .size:           4
        .value_kind:     hidden_block_count_x
      - .offset:         148
        .size:           4
        .value_kind:     hidden_block_count_y
      - .offset:         152
        .size:           4
        .value_kind:     hidden_block_count_z
      - .offset:         156
        .size:           2
        .value_kind:     hidden_group_size_x
      - .offset:         158
        .size:           2
        .value_kind:     hidden_group_size_y
      - .offset:         160
        .size:           2
        .value_kind:     hidden_group_size_z
      - .offset:         162
        .size:           2
        .value_kind:     hidden_remainder_x
      - .offset:         164
        .size:           2
        .value_kind:     hidden_remainder_y
      - .offset:         166
        .size:           2
        .value_kind:     hidden_remainder_z
      - .offset:         184
        .size:           8
        .value_kind:     hidden_global_offset_x
      - .offset:         192
        .size:           8
        .value_kind:     hidden_global_offset_y
      - .offset:         200
        .size:           8
        .value_kind:     hidden_global_offset_z
      - .offset:         208
        .size:           2
        .value_kind:     hidden_grid_dims
    .group_segment_fixed_size: 17472
    .kernarg_segment_align: 8
    .kernarg_segment_size: 400
    .language:       OpenCL C
    .language_version:
      - 2
      - 0
    .max_flat_workgroup_size: 256
    .name:           _Z39paged_attention_ll4mi_QKV_mfma16_kernelI14__hip_bfloat16hLN4vllm18Fp8KVCacheDataTypeE1EhLi32ELi64ELi256ELb0ELi8EL8MFMAType1EEvPKT_PKT0_S9_ifPKiSB_SB_iPKfiiiPfSE_PS4_PT2_iSD_SD_
    .private_segment_fixed_size: 0
    .sgpr_count:     42
    .sgpr_spill_count: 0
    .symbol:         _Z39paged_attention_ll4mi_QKV_mfma16_kernelI14__hip_bfloat16hLN4vllm18Fp8KVCacheDataTypeE1EhLi32ELi64ELi256ELb0ELi8EL8MFMAType1EEvPKT_PKT0_S9_ifPKiSB_SB_iPKfiiiPfSE_PS4_PT2_iSD_SD_.kd
    .uniform_work_group_size: 1
    .uses_dynamic_stack: false
    .vgpr_count:     124
    .vgpr_spill_count: 0
    .wavefront_size: 32
    .workgroup_processor_mode: 1
  - .args:
      - .actual_access:  read_only
        .address_space:  global
        .offset:         0
        .size:           8
        .value_kind:     global_buffer
      - .actual_access:  read_only
        .address_space:  global
        .offset:         8
        .size:           8
        .value_kind:     global_buffer
      - .actual_access:  read_only
        .address_space:  global
        .offset:         16
        .size:           8
        .value_kind:     global_buffer
      - .offset:         24
        .size:           4
        .value_kind:     by_value
      - .offset:         28
        .size:           4
        .value_kind:     by_value
      - .actual_access:  read_only
        .address_space:  global
        .offset:         32
        .size:           8
        .value_kind:     global_buffer
      - .actual_access:  read_only
        .address_space:  global
        .offset:         40
        .size:           8
        .value_kind:     global_buffer
      - .actual_access:  read_only
        .address_space:  global
        .offset:         48
        .size:           8
        .value_kind:     global_buffer
      - .offset:         56
        .size:           4
        .value_kind:     by_value
      - .actual_access:  read_only
        .address_space:  global
        .offset:         64
        .size:           8
        .value_kind:     global_buffer
      - .offset:         72
        .size:           4
        .value_kind:     by_value
      - .offset:         76
        .size:           4
        .value_kind:     by_value
      - .offset:         80
        .size:           4
        .value_kind:     by_value
      - .actual_access:  write_only
        .address_space:  global
        .offset:         88
        .size:           8
        .value_kind:     global_buffer
      - .actual_access:  write_only
        .address_space:  global
        .offset:         96
        .size:           8
        .value_kind:     global_buffer
      - .actual_access:  write_only
        .address_space:  global
        .offset:         104
        .size:           8
        .value_kind:     global_buffer
      - .actual_access:  read_only
        .address_space:  global
        .offset:         112
        .size:           8
        .value_kind:     global_buffer
      - .offset:         120
        .size:           4
        .value_kind:     by_value
      - .address_space:  global
        .offset:         128
        .size:           8
        .value_kind:     global_buffer
      - .address_space:  global
        .offset:         136
        .size:           8
        .value_kind:     global_buffer
      - .offset:         144
        .size:           4
        .value_kind:     hidden_block_count_x
      - .offset:         148
        .size:           4
        .value_kind:     hidden_block_count_y
      - .offset:         152
        .size:           4
        .value_kind:     hidden_block_count_z
      - .offset:         156
        .size:           2
        .value_kind:     hidden_group_size_x
      - .offset:         158
        .size:           2
        .value_kind:     hidden_group_size_y
      - .offset:         160
        .size:           2
        .value_kind:     hidden_group_size_z
      - .offset:         162
        .size:           2
        .value_kind:     hidden_remainder_x
      - .offset:         164
        .size:           2
        .value_kind:     hidden_remainder_y
      - .offset:         166
        .size:           2
        .value_kind:     hidden_remainder_z
      - .offset:         184
        .size:           8
        .value_kind:     hidden_global_offset_x
      - .offset:         192
        .size:           8
        .value_kind:     hidden_global_offset_y
      - .offset:         200
        .size:           8
        .value_kind:     hidden_global_offset_z
      - .offset:         208
        .size:           2
        .value_kind:     hidden_grid_dims
    .group_segment_fixed_size: 17472
    .kernarg_segment_align: 8
    .kernarg_segment_size: 400
    .language:       OpenCL C
    .language_version:
      - 2
      - 0
    .max_flat_workgroup_size: 256
    .name:           _Z39paged_attention_ll4mi_QKV_mfma16_kernelI14__hip_bfloat16hLN4vllm18Fp8KVCacheDataTypeE1EhLi32ELi64ELi256ELb0ELi9EL8MFMAType1EEvPKT_PKT0_S9_ifPKiSB_SB_iPKfiiiPfSE_PS4_PT2_iSD_SD_
    .private_segment_fixed_size: 0
    .sgpr_count:     44
    .sgpr_spill_count: 0
    .symbol:         _Z39paged_attention_ll4mi_QKV_mfma16_kernelI14__hip_bfloat16hLN4vllm18Fp8KVCacheDataTypeE1EhLi32ELi64ELi256ELb0ELi9EL8MFMAType1EEvPKT_PKT0_S9_ifPKiSB_SB_iPKfiiiPfSE_PS4_PT2_iSD_SD_.kd
    .uniform_work_group_size: 1
    .uses_dynamic_stack: false
    .vgpr_count:     124
    .vgpr_spill_count: 0
    .wavefront_size: 32
    .workgroup_processor_mode: 1
  - .args:
      - .actual_access:  read_only
        .address_space:  global
        .offset:         0
        .size:           8
        .value_kind:     global_buffer
      - .actual_access:  read_only
        .address_space:  global
        .offset:         8
        .size:           8
        .value_kind:     global_buffer
      - .actual_access:  read_only
        .address_space:  global
        .offset:         16
        .size:           8
        .value_kind:     global_buffer
      - .offset:         24
        .size:           4
        .value_kind:     by_value
      - .offset:         28
        .size:           4
        .value_kind:     by_value
      - .actual_access:  read_only
        .address_space:  global
        .offset:         32
        .size:           8
        .value_kind:     global_buffer
      - .actual_access:  read_only
        .address_space:  global
        .offset:         40
        .size:           8
        .value_kind:     global_buffer
      - .actual_access:  read_only
        .address_space:  global
        .offset:         48
        .size:           8
        .value_kind:     global_buffer
      - .offset:         56
        .size:           4
        .value_kind:     by_value
      - .actual_access:  read_only
        .address_space:  global
        .offset:         64
        .size:           8
        .value_kind:     global_buffer
      - .offset:         72
        .size:           4
        .value_kind:     by_value
      - .offset:         76
        .size:           4
        .value_kind:     by_value
      - .offset:         80
        .size:           4
        .value_kind:     by_value
      - .actual_access:  write_only
        .address_space:  global
        .offset:         88
        .size:           8
        .value_kind:     global_buffer
      - .actual_access:  write_only
        .address_space:  global
        .offset:         96
        .size:           8
        .value_kind:     global_buffer
      - .actual_access:  write_only
        .address_space:  global
        .offset:         104
        .size:           8
        .value_kind:     global_buffer
      - .actual_access:  read_only
        .address_space:  global
        .offset:         112
        .size:           8
        .value_kind:     global_buffer
      - .offset:         120
        .size:           4
        .value_kind:     by_value
      - .address_space:  global
        .offset:         128
        .size:           8
        .value_kind:     global_buffer
      - .address_space:  global
        .offset:         136
        .size:           8
        .value_kind:     global_buffer
      - .offset:         144
        .size:           4
        .value_kind:     hidden_block_count_x
      - .offset:         148
        .size:           4
        .value_kind:     hidden_block_count_y
      - .offset:         152
        .size:           4
        .value_kind:     hidden_block_count_z
      - .offset:         156
        .size:           2
        .value_kind:     hidden_group_size_x
      - .offset:         158
        .size:           2
        .value_kind:     hidden_group_size_y
      - .offset:         160
        .size:           2
        .value_kind:     hidden_group_size_z
      - .offset:         162
        .size:           2
        .value_kind:     hidden_remainder_x
      - .offset:         164
        .size:           2
        .value_kind:     hidden_remainder_y
      - .offset:         166
        .size:           2
        .value_kind:     hidden_remainder_z
      - .offset:         184
        .size:           8
        .value_kind:     hidden_global_offset_x
      - .offset:         192
        .size:           8
        .value_kind:     hidden_global_offset_y
      - .offset:         200
        .size:           8
        .value_kind:     hidden_global_offset_z
      - .offset:         208
        .size:           2
        .value_kind:     hidden_grid_dims
    .group_segment_fixed_size: 17472
    .kernarg_segment_align: 8
    .kernarg_segment_size: 400
    .language:       OpenCL C
    .language_version:
      - 2
      - 0
    .max_flat_workgroup_size: 256
    .name:           _Z39paged_attention_ll4mi_QKV_mfma16_kernelI14__hip_bfloat16hLN4vllm18Fp8KVCacheDataTypeE1EhLi32ELi64ELi256ELb0ELi10EL8MFMAType1EEvPKT_PKT0_S9_ifPKiSB_SB_iPKfiiiPfSE_PS4_PT2_iSD_SD_
    .private_segment_fixed_size: 0
    .sgpr_count:     42
    .sgpr_spill_count: 0
    .symbol:         _Z39paged_attention_ll4mi_QKV_mfma16_kernelI14__hip_bfloat16hLN4vllm18Fp8KVCacheDataTypeE1EhLi32ELi64ELi256ELb0ELi10EL8MFMAType1EEvPKT_PKT0_S9_ifPKiSB_SB_iPKfiiiPfSE_PS4_PT2_iSD_SD_.kd
    .uniform_work_group_size: 1
    .uses_dynamic_stack: false
    .vgpr_count:     124
    .vgpr_spill_count: 0
    .wavefront_size: 32
    .workgroup_processor_mode: 1
  - .args:
      - .actual_access:  read_only
        .address_space:  global
        .offset:         0
        .size:           8
        .value_kind:     global_buffer
      - .actual_access:  read_only
        .address_space:  global
        .offset:         8
        .size:           8
        .value_kind:     global_buffer
      - .actual_access:  read_only
        .address_space:  global
        .offset:         16
        .size:           8
        .value_kind:     global_buffer
      - .offset:         24
        .size:           4
        .value_kind:     by_value
      - .offset:         28
        .size:           4
        .value_kind:     by_value
      - .actual_access:  read_only
        .address_space:  global
        .offset:         32
        .size:           8
        .value_kind:     global_buffer
      - .actual_access:  read_only
        .address_space:  global
        .offset:         40
        .size:           8
        .value_kind:     global_buffer
      - .actual_access:  read_only
        .address_space:  global
        .offset:         48
        .size:           8
        .value_kind:     global_buffer
      - .offset:         56
        .size:           4
        .value_kind:     by_value
      - .actual_access:  read_only
        .address_space:  global
        .offset:         64
        .size:           8
        .value_kind:     global_buffer
      - .offset:         72
        .size:           4
        .value_kind:     by_value
      - .offset:         76
        .size:           4
        .value_kind:     by_value
      - .offset:         80
        .size:           4
        .value_kind:     by_value
      - .actual_access:  write_only
        .address_space:  global
        .offset:         88
        .size:           8
        .value_kind:     global_buffer
      - .actual_access:  write_only
        .address_space:  global
        .offset:         96
        .size:           8
        .value_kind:     global_buffer
      - .actual_access:  write_only
        .address_space:  global
        .offset:         104
        .size:           8
        .value_kind:     global_buffer
      - .actual_access:  read_only
        .address_space:  global
        .offset:         112
        .size:           8
        .value_kind:     global_buffer
      - .offset:         120
        .size:           4
        .value_kind:     by_value
      - .address_space:  global
        .offset:         128
        .size:           8
        .value_kind:     global_buffer
      - .address_space:  global
        .offset:         136
        .size:           8
        .value_kind:     global_buffer
      - .offset:         144
        .size:           4
        .value_kind:     hidden_block_count_x
      - .offset:         148
        .size:           4
        .value_kind:     hidden_block_count_y
      - .offset:         152
        .size:           4
        .value_kind:     hidden_block_count_z
      - .offset:         156
        .size:           2
        .value_kind:     hidden_group_size_x
      - .offset:         158
        .size:           2
        .value_kind:     hidden_group_size_y
      - .offset:         160
        .size:           2
        .value_kind:     hidden_group_size_z
      - .offset:         162
        .size:           2
        .value_kind:     hidden_remainder_x
      - .offset:         164
        .size:           2
        .value_kind:     hidden_remainder_y
      - .offset:         166
        .size:           2
        .value_kind:     hidden_remainder_z
      - .offset:         184
        .size:           8
        .value_kind:     hidden_global_offset_x
      - .offset:         192
        .size:           8
        .value_kind:     hidden_global_offset_y
      - .offset:         200
        .size:           8
        .value_kind:     hidden_global_offset_z
      - .offset:         208
        .size:           2
        .value_kind:     hidden_grid_dims
    .group_segment_fixed_size: 17472
    .kernarg_segment_align: 8
    .kernarg_segment_size: 400
    .language:       OpenCL C
    .language_version:
      - 2
      - 0
    .max_flat_workgroup_size: 256
    .name:           _Z39paged_attention_ll4mi_QKV_mfma16_kernelI14__hip_bfloat16hLN4vllm18Fp8KVCacheDataTypeE1EhLi32ELi64ELi256ELb0ELi11EL8MFMAType1EEvPKT_PKT0_S9_ifPKiSB_SB_iPKfiiiPfSE_PS4_PT2_iSD_SD_
    .private_segment_fixed_size: 0
    .sgpr_count:     44
    .sgpr_spill_count: 0
    .symbol:         _Z39paged_attention_ll4mi_QKV_mfma16_kernelI14__hip_bfloat16hLN4vllm18Fp8KVCacheDataTypeE1EhLi32ELi64ELi256ELb0ELi11EL8MFMAType1EEvPKT_PKT0_S9_ifPKiSB_SB_iPKfiiiPfSE_PS4_PT2_iSD_SD_.kd
    .uniform_work_group_size: 1
    .uses_dynamic_stack: false
    .vgpr_count:     124
    .vgpr_spill_count: 0
    .wavefront_size: 32
    .workgroup_processor_mode: 1
  - .args:
      - .actual_access:  read_only
        .address_space:  global
        .offset:         0
        .size:           8
        .value_kind:     global_buffer
      - .actual_access:  read_only
        .address_space:  global
        .offset:         8
        .size:           8
        .value_kind:     global_buffer
      - .actual_access:  read_only
        .address_space:  global
        .offset:         16
        .size:           8
        .value_kind:     global_buffer
      - .offset:         24
        .size:           4
        .value_kind:     by_value
      - .offset:         28
        .size:           4
        .value_kind:     by_value
      - .actual_access:  read_only
        .address_space:  global
        .offset:         32
        .size:           8
        .value_kind:     global_buffer
      - .actual_access:  read_only
        .address_space:  global
        .offset:         40
        .size:           8
        .value_kind:     global_buffer
      - .actual_access:  read_only
        .address_space:  global
        .offset:         48
        .size:           8
        .value_kind:     global_buffer
      - .offset:         56
        .size:           4
        .value_kind:     by_value
      - .actual_access:  read_only
        .address_space:  global
        .offset:         64
        .size:           8
        .value_kind:     global_buffer
      - .offset:         72
        .size:           4
        .value_kind:     by_value
      - .offset:         76
        .size:           4
        .value_kind:     by_value
      - .offset:         80
        .size:           4
        .value_kind:     by_value
      - .actual_access:  write_only
        .address_space:  global
        .offset:         88
        .size:           8
        .value_kind:     global_buffer
      - .actual_access:  write_only
        .address_space:  global
        .offset:         96
        .size:           8
        .value_kind:     global_buffer
      - .actual_access:  write_only
        .address_space:  global
        .offset:         104
        .size:           8
        .value_kind:     global_buffer
      - .actual_access:  read_only
        .address_space:  global
        .offset:         112
        .size:           8
        .value_kind:     global_buffer
      - .offset:         120
        .size:           4
        .value_kind:     by_value
      - .address_space:  global
        .offset:         128
        .size:           8
        .value_kind:     global_buffer
      - .address_space:  global
        .offset:         136
        .size:           8
        .value_kind:     global_buffer
      - .offset:         144
        .size:           4
        .value_kind:     hidden_block_count_x
      - .offset:         148
        .size:           4
        .value_kind:     hidden_block_count_y
      - .offset:         152
        .size:           4
        .value_kind:     hidden_block_count_z
      - .offset:         156
        .size:           2
        .value_kind:     hidden_group_size_x
      - .offset:         158
        .size:           2
        .value_kind:     hidden_group_size_y
      - .offset:         160
        .size:           2
        .value_kind:     hidden_group_size_z
      - .offset:         162
        .size:           2
        .value_kind:     hidden_remainder_x
      - .offset:         164
        .size:           2
        .value_kind:     hidden_remainder_y
      - .offset:         166
        .size:           2
        .value_kind:     hidden_remainder_z
      - .offset:         184
        .size:           8
        .value_kind:     hidden_global_offset_x
      - .offset:         192
        .size:           8
        .value_kind:     hidden_global_offset_y
      - .offset:         200
        .size:           8
        .value_kind:     hidden_global_offset_z
      - .offset:         208
        .size:           2
        .value_kind:     hidden_grid_dims
    .group_segment_fixed_size: 17472
    .kernarg_segment_align: 8
    .kernarg_segment_size: 400
    .language:       OpenCL C
    .language_version:
      - 2
      - 0
    .max_flat_workgroup_size: 256
    .name:           _Z39paged_attention_ll4mi_QKV_mfma16_kernelI14__hip_bfloat16hLN4vllm18Fp8KVCacheDataTypeE1EhLi32ELi64ELi256ELb0ELi12EL8MFMAType1EEvPKT_PKT0_S9_ifPKiSB_SB_iPKfiiiPfSE_PS4_PT2_iSD_SD_
    .private_segment_fixed_size: 0
    .sgpr_count:     42
    .sgpr_spill_count: 0
    .symbol:         _Z39paged_attention_ll4mi_QKV_mfma16_kernelI14__hip_bfloat16hLN4vllm18Fp8KVCacheDataTypeE1EhLi32ELi64ELi256ELb0ELi12EL8MFMAType1EEvPKT_PKT0_S9_ifPKiSB_SB_iPKfiiiPfSE_PS4_PT2_iSD_SD_.kd
    .uniform_work_group_size: 1
    .uses_dynamic_stack: false
    .vgpr_count:     124
    .vgpr_spill_count: 0
    .wavefront_size: 32
    .workgroup_processor_mode: 1
  - .args:
      - .actual_access:  read_only
        .address_space:  global
        .offset:         0
        .size:           8
        .value_kind:     global_buffer
      - .actual_access:  read_only
        .address_space:  global
        .offset:         8
        .size:           8
        .value_kind:     global_buffer
      - .actual_access:  read_only
        .address_space:  global
        .offset:         16
        .size:           8
        .value_kind:     global_buffer
      - .offset:         24
        .size:           4
        .value_kind:     by_value
      - .offset:         28
        .size:           4
        .value_kind:     by_value
      - .actual_access:  read_only
        .address_space:  global
        .offset:         32
        .size:           8
        .value_kind:     global_buffer
      - .actual_access:  read_only
        .address_space:  global
        .offset:         40
        .size:           8
        .value_kind:     global_buffer
      - .actual_access:  read_only
        .address_space:  global
        .offset:         48
        .size:           8
        .value_kind:     global_buffer
      - .offset:         56
        .size:           4
        .value_kind:     by_value
      - .actual_access:  read_only
        .address_space:  global
        .offset:         64
        .size:           8
        .value_kind:     global_buffer
      - .offset:         72
        .size:           4
        .value_kind:     by_value
      - .offset:         76
        .size:           4
        .value_kind:     by_value
      - .offset:         80
        .size:           4
        .value_kind:     by_value
      - .actual_access:  write_only
        .address_space:  global
        .offset:         88
        .size:           8
        .value_kind:     global_buffer
      - .actual_access:  write_only
        .address_space:  global
        .offset:         96
        .size:           8
        .value_kind:     global_buffer
      - .actual_access:  write_only
        .address_space:  global
        .offset:         104
        .size:           8
        .value_kind:     global_buffer
      - .actual_access:  read_only
        .address_space:  global
        .offset:         112
        .size:           8
        .value_kind:     global_buffer
      - .offset:         120
        .size:           4
        .value_kind:     by_value
      - .address_space:  global
        .offset:         128
        .size:           8
        .value_kind:     global_buffer
      - .address_space:  global
        .offset:         136
        .size:           8
        .value_kind:     global_buffer
      - .offset:         144
        .size:           4
        .value_kind:     hidden_block_count_x
      - .offset:         148
        .size:           4
        .value_kind:     hidden_block_count_y
      - .offset:         152
        .size:           4
        .value_kind:     hidden_block_count_z
      - .offset:         156
        .size:           2
        .value_kind:     hidden_group_size_x
      - .offset:         158
        .size:           2
        .value_kind:     hidden_group_size_y
      - .offset:         160
        .size:           2
        .value_kind:     hidden_group_size_z
      - .offset:         162
        .size:           2
        .value_kind:     hidden_remainder_x
      - .offset:         164
        .size:           2
        .value_kind:     hidden_remainder_y
      - .offset:         166
        .size:           2
        .value_kind:     hidden_remainder_z
      - .offset:         184
        .size:           8
        .value_kind:     hidden_global_offset_x
      - .offset:         192
        .size:           8
        .value_kind:     hidden_global_offset_y
      - .offset:         200
        .size:           8
        .value_kind:     hidden_global_offset_z
      - .offset:         208
        .size:           2
        .value_kind:     hidden_grid_dims
    .group_segment_fixed_size: 17472
    .kernarg_segment_align: 8
    .kernarg_segment_size: 400
    .language:       OpenCL C
    .language_version:
      - 2
      - 0
    .max_flat_workgroup_size: 256
    .name:           _Z39paged_attention_ll4mi_QKV_mfma16_kernelI14__hip_bfloat16hLN4vllm18Fp8KVCacheDataTypeE1EhLi32ELi64ELi256ELb0ELi13EL8MFMAType1EEvPKT_PKT0_S9_ifPKiSB_SB_iPKfiiiPfSE_PS4_PT2_iSD_SD_
    .private_segment_fixed_size: 0
    .sgpr_count:     44
    .sgpr_spill_count: 0
    .symbol:         _Z39paged_attention_ll4mi_QKV_mfma16_kernelI14__hip_bfloat16hLN4vllm18Fp8KVCacheDataTypeE1EhLi32ELi64ELi256ELb0ELi13EL8MFMAType1EEvPKT_PKT0_S9_ifPKiSB_SB_iPKfiiiPfSE_PS4_PT2_iSD_SD_.kd
    .uniform_work_group_size: 1
    .uses_dynamic_stack: false
    .vgpr_count:     124
    .vgpr_spill_count: 0
    .wavefront_size: 32
    .workgroup_processor_mode: 1
  - .args:
      - .actual_access:  read_only
        .address_space:  global
        .offset:         0
        .size:           8
        .value_kind:     global_buffer
      - .actual_access:  read_only
        .address_space:  global
        .offset:         8
        .size:           8
        .value_kind:     global_buffer
      - .actual_access:  read_only
        .address_space:  global
        .offset:         16
        .size:           8
        .value_kind:     global_buffer
      - .offset:         24
        .size:           4
        .value_kind:     by_value
      - .offset:         28
        .size:           4
        .value_kind:     by_value
      - .actual_access:  read_only
        .address_space:  global
        .offset:         32
        .size:           8
        .value_kind:     global_buffer
      - .actual_access:  read_only
        .address_space:  global
        .offset:         40
        .size:           8
        .value_kind:     global_buffer
      - .actual_access:  read_only
        .address_space:  global
        .offset:         48
        .size:           8
        .value_kind:     global_buffer
      - .offset:         56
        .size:           4
        .value_kind:     by_value
      - .actual_access:  read_only
        .address_space:  global
        .offset:         64
        .size:           8
        .value_kind:     global_buffer
      - .offset:         72
        .size:           4
        .value_kind:     by_value
      - .offset:         76
        .size:           4
        .value_kind:     by_value
      - .offset:         80
        .size:           4
        .value_kind:     by_value
      - .actual_access:  write_only
        .address_space:  global
        .offset:         88
        .size:           8
        .value_kind:     global_buffer
      - .actual_access:  write_only
        .address_space:  global
        .offset:         96
        .size:           8
        .value_kind:     global_buffer
      - .actual_access:  write_only
        .address_space:  global
        .offset:         104
        .size:           8
        .value_kind:     global_buffer
      - .actual_access:  read_only
        .address_space:  global
        .offset:         112
        .size:           8
        .value_kind:     global_buffer
      - .offset:         120
        .size:           4
        .value_kind:     by_value
      - .address_space:  global
        .offset:         128
        .size:           8
        .value_kind:     global_buffer
      - .address_space:  global
        .offset:         136
        .size:           8
        .value_kind:     global_buffer
      - .offset:         144
        .size:           4
        .value_kind:     hidden_block_count_x
      - .offset:         148
        .size:           4
        .value_kind:     hidden_block_count_y
      - .offset:         152
        .size:           4
        .value_kind:     hidden_block_count_z
      - .offset:         156
        .size:           2
        .value_kind:     hidden_group_size_x
      - .offset:         158
        .size:           2
        .value_kind:     hidden_group_size_y
      - .offset:         160
        .size:           2
        .value_kind:     hidden_group_size_z
      - .offset:         162
        .size:           2
        .value_kind:     hidden_remainder_x
      - .offset:         164
        .size:           2
        .value_kind:     hidden_remainder_y
      - .offset:         166
        .size:           2
        .value_kind:     hidden_remainder_z
      - .offset:         184
        .size:           8
        .value_kind:     hidden_global_offset_x
      - .offset:         192
        .size:           8
        .value_kind:     hidden_global_offset_y
      - .offset:         200
        .size:           8
        .value_kind:     hidden_global_offset_z
      - .offset:         208
        .size:           2
        .value_kind:     hidden_grid_dims
    .group_segment_fixed_size: 17472
    .kernarg_segment_align: 8
    .kernarg_segment_size: 400
    .language:       OpenCL C
    .language_version:
      - 2
      - 0
    .max_flat_workgroup_size: 256
    .name:           _Z39paged_attention_ll4mi_QKV_mfma16_kernelI14__hip_bfloat16hLN4vllm18Fp8KVCacheDataTypeE1EhLi32ELi64ELi256ELb0ELi14EL8MFMAType1EEvPKT_PKT0_S9_ifPKiSB_SB_iPKfiiiPfSE_PS4_PT2_iSD_SD_
    .private_segment_fixed_size: 0
    .sgpr_count:     42
    .sgpr_spill_count: 0
    .symbol:         _Z39paged_attention_ll4mi_QKV_mfma16_kernelI14__hip_bfloat16hLN4vllm18Fp8KVCacheDataTypeE1EhLi32ELi64ELi256ELb0ELi14EL8MFMAType1EEvPKT_PKT0_S9_ifPKiSB_SB_iPKfiiiPfSE_PS4_PT2_iSD_SD_.kd
    .uniform_work_group_size: 1
    .uses_dynamic_stack: false
    .vgpr_count:     124
    .vgpr_spill_count: 0
    .wavefront_size: 32
    .workgroup_processor_mode: 1
  - .args:
      - .actual_access:  read_only
        .address_space:  global
        .offset:         0
        .size:           8
        .value_kind:     global_buffer
      - .actual_access:  read_only
        .address_space:  global
        .offset:         8
        .size:           8
        .value_kind:     global_buffer
      - .actual_access:  read_only
        .address_space:  global
        .offset:         16
        .size:           8
        .value_kind:     global_buffer
      - .offset:         24
        .size:           4
        .value_kind:     by_value
      - .offset:         28
        .size:           4
        .value_kind:     by_value
      - .actual_access:  read_only
        .address_space:  global
        .offset:         32
        .size:           8
        .value_kind:     global_buffer
      - .actual_access:  read_only
        .address_space:  global
        .offset:         40
        .size:           8
        .value_kind:     global_buffer
      - .actual_access:  read_only
        .address_space:  global
        .offset:         48
        .size:           8
        .value_kind:     global_buffer
      - .offset:         56
        .size:           4
        .value_kind:     by_value
      - .actual_access:  read_only
        .address_space:  global
        .offset:         64
        .size:           8
        .value_kind:     global_buffer
      - .offset:         72
        .size:           4
        .value_kind:     by_value
      - .offset:         76
        .size:           4
        .value_kind:     by_value
      - .offset:         80
        .size:           4
        .value_kind:     by_value
      - .actual_access:  write_only
        .address_space:  global
        .offset:         88
        .size:           8
        .value_kind:     global_buffer
      - .actual_access:  write_only
        .address_space:  global
        .offset:         96
        .size:           8
        .value_kind:     global_buffer
      - .actual_access:  write_only
        .address_space:  global
        .offset:         104
        .size:           8
        .value_kind:     global_buffer
      - .actual_access:  read_only
        .address_space:  global
        .offset:         112
        .size:           8
        .value_kind:     global_buffer
      - .offset:         120
        .size:           4
        .value_kind:     by_value
      - .address_space:  global
        .offset:         128
        .size:           8
        .value_kind:     global_buffer
      - .address_space:  global
        .offset:         136
        .size:           8
        .value_kind:     global_buffer
      - .offset:         144
        .size:           4
        .value_kind:     hidden_block_count_x
      - .offset:         148
        .size:           4
        .value_kind:     hidden_block_count_y
      - .offset:         152
        .size:           4
        .value_kind:     hidden_block_count_z
      - .offset:         156
        .size:           2
        .value_kind:     hidden_group_size_x
      - .offset:         158
        .size:           2
        .value_kind:     hidden_group_size_y
      - .offset:         160
        .size:           2
        .value_kind:     hidden_group_size_z
      - .offset:         162
        .size:           2
        .value_kind:     hidden_remainder_x
      - .offset:         164
        .size:           2
        .value_kind:     hidden_remainder_y
      - .offset:         166
        .size:           2
        .value_kind:     hidden_remainder_z
      - .offset:         184
        .size:           8
        .value_kind:     hidden_global_offset_x
      - .offset:         192
        .size:           8
        .value_kind:     hidden_global_offset_y
      - .offset:         200
        .size:           8
        .value_kind:     hidden_global_offset_z
      - .offset:         208
        .size:           2
        .value_kind:     hidden_grid_dims
    .group_segment_fixed_size: 17472
    .kernarg_segment_align: 8
    .kernarg_segment_size: 400
    .language:       OpenCL C
    .language_version:
      - 2
      - 0
    .max_flat_workgroup_size: 256
    .name:           _Z39paged_attention_ll4mi_QKV_mfma16_kernelI14__hip_bfloat16hLN4vllm18Fp8KVCacheDataTypeE1EhLi32ELi64ELi256ELb0ELi15EL8MFMAType1EEvPKT_PKT0_S9_ifPKiSB_SB_iPKfiiiPfSE_PS4_PT2_iSD_SD_
    .private_segment_fixed_size: 0
    .sgpr_count:     44
    .sgpr_spill_count: 0
    .symbol:         _Z39paged_attention_ll4mi_QKV_mfma16_kernelI14__hip_bfloat16hLN4vllm18Fp8KVCacheDataTypeE1EhLi32ELi64ELi256ELb0ELi15EL8MFMAType1EEvPKT_PKT0_S9_ifPKiSB_SB_iPKfiiiPfSE_PS4_PT2_iSD_SD_.kd
    .uniform_work_group_size: 1
    .uses_dynamic_stack: false
    .vgpr_count:     124
    .vgpr_spill_count: 0
    .wavefront_size: 32
    .workgroup_processor_mode: 1
  - .args:
      - .actual_access:  read_only
        .address_space:  global
        .offset:         0
        .size:           8
        .value_kind:     global_buffer
      - .actual_access:  read_only
        .address_space:  global
        .offset:         8
        .size:           8
        .value_kind:     global_buffer
      - .actual_access:  read_only
        .address_space:  global
        .offset:         16
        .size:           8
        .value_kind:     global_buffer
      - .offset:         24
        .size:           4
        .value_kind:     by_value
      - .offset:         28
        .size:           4
        .value_kind:     by_value
      - .actual_access:  read_only
        .address_space:  global
        .offset:         32
        .size:           8
        .value_kind:     global_buffer
      - .actual_access:  read_only
        .address_space:  global
        .offset:         40
        .size:           8
        .value_kind:     global_buffer
      - .actual_access:  read_only
        .address_space:  global
        .offset:         48
        .size:           8
        .value_kind:     global_buffer
      - .offset:         56
        .size:           4
        .value_kind:     by_value
      - .actual_access:  read_only
        .address_space:  global
        .offset:         64
        .size:           8
        .value_kind:     global_buffer
      - .offset:         72
        .size:           4
        .value_kind:     by_value
      - .offset:         76
        .size:           4
        .value_kind:     by_value
      - .offset:         80
        .size:           4
        .value_kind:     by_value
      - .actual_access:  write_only
        .address_space:  global
        .offset:         88
        .size:           8
        .value_kind:     global_buffer
      - .actual_access:  write_only
        .address_space:  global
        .offset:         96
        .size:           8
        .value_kind:     global_buffer
      - .actual_access:  write_only
        .address_space:  global
        .offset:         104
        .size:           8
        .value_kind:     global_buffer
      - .actual_access:  read_only
        .address_space:  global
        .offset:         112
        .size:           8
        .value_kind:     global_buffer
      - .offset:         120
        .size:           4
        .value_kind:     by_value
      - .address_space:  global
        .offset:         128
        .size:           8
        .value_kind:     global_buffer
      - .address_space:  global
        .offset:         136
        .size:           8
        .value_kind:     global_buffer
      - .offset:         144
        .size:           4
        .value_kind:     hidden_block_count_x
      - .offset:         148
        .size:           4
        .value_kind:     hidden_block_count_y
      - .offset:         152
        .size:           4
        .value_kind:     hidden_block_count_z
      - .offset:         156
        .size:           2
        .value_kind:     hidden_group_size_x
      - .offset:         158
        .size:           2
        .value_kind:     hidden_group_size_y
      - .offset:         160
        .size:           2
        .value_kind:     hidden_group_size_z
      - .offset:         162
        .size:           2
        .value_kind:     hidden_remainder_x
      - .offset:         164
        .size:           2
        .value_kind:     hidden_remainder_y
      - .offset:         166
        .size:           2
        .value_kind:     hidden_remainder_z
      - .offset:         184
        .size:           8
        .value_kind:     hidden_global_offset_x
      - .offset:         192
        .size:           8
        .value_kind:     hidden_global_offset_y
      - .offset:         200
        .size:           8
        .value_kind:     hidden_global_offset_z
      - .offset:         208
        .size:           2
        .value_kind:     hidden_grid_dims
    .group_segment_fixed_size: 17472
    .kernarg_segment_align: 8
    .kernarg_segment_size: 400
    .language:       OpenCL C
    .language_version:
      - 2
      - 0
    .max_flat_workgroup_size: 256
    .name:           _Z39paged_attention_ll4mi_QKV_mfma16_kernelI14__hip_bfloat16hLN4vllm18Fp8KVCacheDataTypeE1EhLi32ELi64ELi256ELb0ELi16EL8MFMAType1EEvPKT_PKT0_S9_ifPKiSB_SB_iPKfiiiPfSE_PS4_PT2_iSD_SD_
    .private_segment_fixed_size: 0
    .sgpr_count:     42
    .sgpr_spill_count: 0
    .symbol:         _Z39paged_attention_ll4mi_QKV_mfma16_kernelI14__hip_bfloat16hLN4vllm18Fp8KVCacheDataTypeE1EhLi32ELi64ELi256ELb0ELi16EL8MFMAType1EEvPKT_PKT0_S9_ifPKiSB_SB_iPKfiiiPfSE_PS4_PT2_iSD_SD_.kd
    .uniform_work_group_size: 1
    .uses_dynamic_stack: false
    .vgpr_count:     125
    .vgpr_spill_count: 0
    .wavefront_size: 32
    .workgroup_processor_mode: 1
  - .args:
      - .actual_access:  read_only
        .address_space:  global
        .offset:         0
        .size:           8
        .value_kind:     global_buffer
      - .actual_access:  read_only
        .address_space:  global
        .offset:         8
        .size:           8
        .value_kind:     global_buffer
      - .actual_access:  read_only
        .address_space:  global
        .offset:         16
        .size:           8
        .value_kind:     global_buffer
      - .offset:         24
        .size:           4
        .value_kind:     by_value
      - .offset:         28
        .size:           4
        .value_kind:     by_value
      - .actual_access:  read_only
        .address_space:  global
        .offset:         32
        .size:           8
        .value_kind:     global_buffer
      - .actual_access:  read_only
        .address_space:  global
        .offset:         40
        .size:           8
        .value_kind:     global_buffer
      - .actual_access:  read_only
        .address_space:  global
        .offset:         48
        .size:           8
        .value_kind:     global_buffer
      - .offset:         56
        .size:           4
        .value_kind:     by_value
      - .actual_access:  read_only
        .address_space:  global
        .offset:         64
        .size:           8
        .value_kind:     global_buffer
      - .offset:         72
        .size:           4
        .value_kind:     by_value
      - .offset:         76
        .size:           4
        .value_kind:     by_value
      - .offset:         80
        .size:           4
        .value_kind:     by_value
      - .actual_access:  write_only
        .address_space:  global
        .offset:         88
        .size:           8
        .value_kind:     global_buffer
      - .actual_access:  write_only
        .address_space:  global
        .offset:         96
        .size:           8
        .value_kind:     global_buffer
      - .actual_access:  write_only
        .address_space:  global
        .offset:         104
        .size:           8
        .value_kind:     global_buffer
      - .actual_access:  read_only
        .address_space:  global
        .offset:         112
        .size:           8
        .value_kind:     global_buffer
      - .offset:         120
        .size:           4
        .value_kind:     by_value
      - .address_space:  global
        .offset:         128
        .size:           8
        .value_kind:     global_buffer
      - .address_space:  global
        .offset:         136
        .size:           8
        .value_kind:     global_buffer
      - .offset:         144
        .size:           4
        .value_kind:     hidden_block_count_x
      - .offset:         148
        .size:           4
        .value_kind:     hidden_block_count_y
      - .offset:         152
        .size:           4
        .value_kind:     hidden_block_count_z
      - .offset:         156
        .size:           2
        .value_kind:     hidden_group_size_x
      - .offset:         158
        .size:           2
        .value_kind:     hidden_group_size_y
      - .offset:         160
        .size:           2
        .value_kind:     hidden_group_size_z
      - .offset:         162
        .size:           2
        .value_kind:     hidden_remainder_x
      - .offset:         164
        .size:           2
        .value_kind:     hidden_remainder_y
      - .offset:         166
        .size:           2
        .value_kind:     hidden_remainder_z
      - .offset:         184
        .size:           8
        .value_kind:     hidden_global_offset_x
      - .offset:         192
        .size:           8
        .value_kind:     hidden_global_offset_y
      - .offset:         200
        .size:           8
        .value_kind:     hidden_global_offset_z
      - .offset:         208
        .size:           2
        .value_kind:     hidden_grid_dims
    .group_segment_fixed_size: 17472
    .kernarg_segment_align: 8
    .kernarg_segment_size: 400
    .language:       OpenCL C
    .language_version:
      - 2
      - 0
    .max_flat_workgroup_size: 256
    .name:           _Z39paged_attention_ll4mi_QKV_mfma16_kernelI14__hip_bfloat16hLN4vllm18Fp8KVCacheDataTypeE1EhLi32ELi64ELi256ELb0ELi1EL8MFMAType1EEvPKT_PKT0_S9_ifPKiSB_SB_iPKfiiiPfSE_PS4_PT2_iSD_SD_
    .private_segment_fixed_size: 0
    .sgpr_count:     52
    .sgpr_spill_count: 0
    .symbol:         _Z39paged_attention_ll4mi_QKV_mfma16_kernelI14__hip_bfloat16hLN4vllm18Fp8KVCacheDataTypeE1EhLi32ELi64ELi256ELb0ELi1EL8MFMAType1EEvPKT_PKT0_S9_ifPKiSB_SB_iPKfiiiPfSE_PS4_PT2_iSD_SD_.kd
    .uniform_work_group_size: 1
    .uses_dynamic_stack: false
    .vgpr_count:     131
    .vgpr_spill_count: 0
    .wavefront_size: 32
    .workgroup_processor_mode: 1
  - .args:
      - .actual_access:  read_only
        .address_space:  global
        .offset:         0
        .size:           8
        .value_kind:     global_buffer
      - .actual_access:  read_only
        .address_space:  global
        .offset:         8
        .size:           8
        .value_kind:     global_buffer
      - .actual_access:  read_only
        .address_space:  global
        .offset:         16
        .size:           8
        .value_kind:     global_buffer
      - .offset:         24
        .size:           4
        .value_kind:     by_value
      - .offset:         28
        .size:           4
        .value_kind:     by_value
      - .actual_access:  read_only
        .address_space:  global
        .offset:         32
        .size:           8
        .value_kind:     global_buffer
      - .actual_access:  read_only
        .address_space:  global
        .offset:         40
        .size:           8
        .value_kind:     global_buffer
      - .actual_access:  read_only
        .address_space:  global
        .offset:         48
        .size:           8
        .value_kind:     global_buffer
      - .offset:         56
        .size:           4
        .value_kind:     by_value
      - .actual_access:  read_only
        .address_space:  global
        .offset:         64
        .size:           8
        .value_kind:     global_buffer
      - .offset:         72
        .size:           4
        .value_kind:     by_value
      - .offset:         76
        .size:           4
        .value_kind:     by_value
      - .offset:         80
        .size:           4
        .value_kind:     by_value
      - .actual_access:  write_only
        .address_space:  global
        .offset:         88
        .size:           8
        .value_kind:     global_buffer
      - .actual_access:  write_only
        .address_space:  global
        .offset:         96
        .size:           8
        .value_kind:     global_buffer
      - .actual_access:  write_only
        .address_space:  global
        .offset:         104
        .size:           8
        .value_kind:     global_buffer
      - .actual_access:  read_only
        .address_space:  global
        .offset:         112
        .size:           8
        .value_kind:     global_buffer
      - .offset:         120
        .size:           4
        .value_kind:     by_value
      - .address_space:  global
        .offset:         128
        .size:           8
        .value_kind:     global_buffer
      - .address_space:  global
        .offset:         136
        .size:           8
        .value_kind:     global_buffer
      - .offset:         144
        .size:           4
        .value_kind:     hidden_block_count_x
      - .offset:         148
        .size:           4
        .value_kind:     hidden_block_count_y
      - .offset:         152
        .size:           4
        .value_kind:     hidden_block_count_z
      - .offset:         156
        .size:           2
        .value_kind:     hidden_group_size_x
      - .offset:         158
        .size:           2
        .value_kind:     hidden_group_size_y
      - .offset:         160
        .size:           2
        .value_kind:     hidden_group_size_z
      - .offset:         162
        .size:           2
        .value_kind:     hidden_remainder_x
      - .offset:         164
        .size:           2
        .value_kind:     hidden_remainder_y
      - .offset:         166
        .size:           2
        .value_kind:     hidden_remainder_z
      - .offset:         184
        .size:           8
        .value_kind:     hidden_global_offset_x
      - .offset:         192
        .size:           8
        .value_kind:     hidden_global_offset_y
      - .offset:         200
        .size:           8
        .value_kind:     hidden_global_offset_z
      - .offset:         208
        .size:           2
        .value_kind:     hidden_grid_dims
    .group_segment_fixed_size: 17472
    .kernarg_segment_align: 8
    .kernarg_segment_size: 400
    .language:       OpenCL C
    .language_version:
      - 2
      - 0
    .max_flat_workgroup_size: 256
    .name:           _Z39paged_attention_ll4mi_QKV_mfma16_kernelI14__hip_bfloat16hLN4vllm18Fp8KVCacheDataTypeE1EhLi32ELi64ELi256ELb0ELi2EL8MFMAType1EEvPKT_PKT0_S9_ifPKiSB_SB_iPKfiiiPfSE_PS4_PT2_iSD_SD_
    .private_segment_fixed_size: 0
    .sgpr_count:     42
    .sgpr_spill_count: 0
    .symbol:         _Z39paged_attention_ll4mi_QKV_mfma16_kernelI14__hip_bfloat16hLN4vllm18Fp8KVCacheDataTypeE1EhLi32ELi64ELi256ELb0ELi2EL8MFMAType1EEvPKT_PKT0_S9_ifPKiSB_SB_iPKfiiiPfSE_PS4_PT2_iSD_SD_.kd
    .uniform_work_group_size: 1
    .uses_dynamic_stack: false
    .vgpr_count:     125
    .vgpr_spill_count: 0
    .wavefront_size: 32
    .workgroup_processor_mode: 1
  - .args:
      - .actual_access:  read_only
        .address_space:  global
        .offset:         0
        .size:           8
        .value_kind:     global_buffer
      - .actual_access:  read_only
        .address_space:  global
        .offset:         8
        .size:           8
        .value_kind:     global_buffer
      - .actual_access:  read_only
        .address_space:  global
        .offset:         16
        .size:           8
        .value_kind:     global_buffer
      - .offset:         24
        .size:           4
        .value_kind:     by_value
      - .offset:         28
        .size:           4
        .value_kind:     by_value
      - .actual_access:  read_only
        .address_space:  global
        .offset:         32
        .size:           8
        .value_kind:     global_buffer
      - .actual_access:  read_only
        .address_space:  global
        .offset:         40
        .size:           8
        .value_kind:     global_buffer
      - .actual_access:  read_only
        .address_space:  global
        .offset:         48
        .size:           8
        .value_kind:     global_buffer
      - .offset:         56
        .size:           4
        .value_kind:     by_value
      - .actual_access:  read_only
        .address_space:  global
        .offset:         64
        .size:           8
        .value_kind:     global_buffer
      - .offset:         72
        .size:           4
        .value_kind:     by_value
      - .offset:         76
        .size:           4
        .value_kind:     by_value
      - .offset:         80
        .size:           4
        .value_kind:     by_value
      - .actual_access:  write_only
        .address_space:  global
        .offset:         88
        .size:           8
        .value_kind:     global_buffer
      - .actual_access:  write_only
        .address_space:  global
        .offset:         96
        .size:           8
        .value_kind:     global_buffer
      - .actual_access:  write_only
        .address_space:  global
        .offset:         104
        .size:           8
        .value_kind:     global_buffer
      - .actual_access:  read_only
        .address_space:  global
        .offset:         112
        .size:           8
        .value_kind:     global_buffer
      - .offset:         120
        .size:           4
        .value_kind:     by_value
      - .address_space:  global
        .offset:         128
        .size:           8
        .value_kind:     global_buffer
      - .address_space:  global
        .offset:         136
        .size:           8
        .value_kind:     global_buffer
      - .offset:         144
        .size:           4
        .value_kind:     hidden_block_count_x
      - .offset:         148
        .size:           4
        .value_kind:     hidden_block_count_y
      - .offset:         152
        .size:           4
        .value_kind:     hidden_block_count_z
      - .offset:         156
        .size:           2
        .value_kind:     hidden_group_size_x
      - .offset:         158
        .size:           2
        .value_kind:     hidden_group_size_y
      - .offset:         160
        .size:           2
        .value_kind:     hidden_group_size_z
      - .offset:         162
        .size:           2
        .value_kind:     hidden_remainder_x
      - .offset:         164
        .size:           2
        .value_kind:     hidden_remainder_y
      - .offset:         166
        .size:           2
        .value_kind:     hidden_remainder_z
      - .offset:         184
        .size:           8
        .value_kind:     hidden_global_offset_x
      - .offset:         192
        .size:           8
        .value_kind:     hidden_global_offset_y
      - .offset:         200
        .size:           8
        .value_kind:     hidden_global_offset_z
      - .offset:         208
        .size:           2
        .value_kind:     hidden_grid_dims
    .group_segment_fixed_size: 17472
    .kernarg_segment_align: 8
    .kernarg_segment_size: 400
    .language:       OpenCL C
    .language_version:
      - 2
      - 0
    .max_flat_workgroup_size: 256
    .name:           _Z39paged_attention_ll4mi_QKV_mfma16_kernelI14__hip_bfloat16hLN4vllm18Fp8KVCacheDataTypeE1EhLi32ELi64ELi256ELb0ELi3EL8MFMAType1EEvPKT_PKT0_S9_ifPKiSB_SB_iPKfiiiPfSE_PS4_PT2_iSD_SD_
    .private_segment_fixed_size: 0
    .sgpr_count:     44
    .sgpr_spill_count: 0
    .symbol:         _Z39paged_attention_ll4mi_QKV_mfma16_kernelI14__hip_bfloat16hLN4vllm18Fp8KVCacheDataTypeE1EhLi32ELi64ELi256ELb0ELi3EL8MFMAType1EEvPKT_PKT0_S9_ifPKiSB_SB_iPKfiiiPfSE_PS4_PT2_iSD_SD_.kd
    .uniform_work_group_size: 1
    .uses_dynamic_stack: false
    .vgpr_count:     124
    .vgpr_spill_count: 0
    .wavefront_size: 32
    .workgroup_processor_mode: 1
  - .args:
      - .actual_access:  read_only
        .address_space:  global
        .offset:         0
        .size:           8
        .value_kind:     global_buffer
      - .actual_access:  read_only
        .address_space:  global
        .offset:         8
        .size:           8
        .value_kind:     global_buffer
      - .actual_access:  read_only
        .address_space:  global
        .offset:         16
        .size:           8
        .value_kind:     global_buffer
      - .offset:         24
        .size:           4
        .value_kind:     by_value
      - .offset:         28
        .size:           4
        .value_kind:     by_value
      - .actual_access:  read_only
        .address_space:  global
        .offset:         32
        .size:           8
        .value_kind:     global_buffer
      - .actual_access:  read_only
        .address_space:  global
        .offset:         40
        .size:           8
        .value_kind:     global_buffer
      - .actual_access:  read_only
        .address_space:  global
        .offset:         48
        .size:           8
        .value_kind:     global_buffer
      - .offset:         56
        .size:           4
        .value_kind:     by_value
      - .actual_access:  read_only
        .address_space:  global
        .offset:         64
        .size:           8
        .value_kind:     global_buffer
      - .offset:         72
        .size:           4
        .value_kind:     by_value
      - .offset:         76
        .size:           4
        .value_kind:     by_value
      - .offset:         80
        .size:           4
        .value_kind:     by_value
      - .actual_access:  write_only
        .address_space:  global
        .offset:         88
        .size:           8
        .value_kind:     global_buffer
      - .actual_access:  write_only
        .address_space:  global
        .offset:         96
        .size:           8
        .value_kind:     global_buffer
      - .actual_access:  write_only
        .address_space:  global
        .offset:         104
        .size:           8
        .value_kind:     global_buffer
      - .actual_access:  read_only
        .address_space:  global
        .offset:         112
        .size:           8
        .value_kind:     global_buffer
      - .offset:         120
        .size:           4
        .value_kind:     by_value
      - .address_space:  global
        .offset:         128
        .size:           8
        .value_kind:     global_buffer
      - .address_space:  global
        .offset:         136
        .size:           8
        .value_kind:     global_buffer
      - .offset:         144
        .size:           4
        .value_kind:     hidden_block_count_x
      - .offset:         148
        .size:           4
        .value_kind:     hidden_block_count_y
      - .offset:         152
        .size:           4
        .value_kind:     hidden_block_count_z
      - .offset:         156
        .size:           2
        .value_kind:     hidden_group_size_x
      - .offset:         158
        .size:           2
        .value_kind:     hidden_group_size_y
      - .offset:         160
        .size:           2
        .value_kind:     hidden_group_size_z
      - .offset:         162
        .size:           2
        .value_kind:     hidden_remainder_x
      - .offset:         164
        .size:           2
        .value_kind:     hidden_remainder_y
      - .offset:         166
        .size:           2
        .value_kind:     hidden_remainder_z
      - .offset:         184
        .size:           8
        .value_kind:     hidden_global_offset_x
      - .offset:         192
        .size:           8
        .value_kind:     hidden_global_offset_y
      - .offset:         200
        .size:           8
        .value_kind:     hidden_global_offset_z
      - .offset:         208
        .size:           2
        .value_kind:     hidden_grid_dims
    .group_segment_fixed_size: 17472
    .kernarg_segment_align: 8
    .kernarg_segment_size: 400
    .language:       OpenCL C
    .language_version:
      - 2
      - 0
    .max_flat_workgroup_size: 256
    .name:           _Z39paged_attention_ll4mi_QKV_mfma16_kernelI14__hip_bfloat16hLN4vllm18Fp8KVCacheDataTypeE1EhLi32ELi64ELi256ELb0ELi4EL8MFMAType1EEvPKT_PKT0_S9_ifPKiSB_SB_iPKfiiiPfSE_PS4_PT2_iSD_SD_
    .private_segment_fixed_size: 0
    .sgpr_count:     42
    .sgpr_spill_count: 0
    .symbol:         _Z39paged_attention_ll4mi_QKV_mfma16_kernelI14__hip_bfloat16hLN4vllm18Fp8KVCacheDataTypeE1EhLi32ELi64ELi256ELb0ELi4EL8MFMAType1EEvPKT_PKT0_S9_ifPKiSB_SB_iPKfiiiPfSE_PS4_PT2_iSD_SD_.kd
    .uniform_work_group_size: 1
    .uses_dynamic_stack: false
    .vgpr_count:     124
    .vgpr_spill_count: 0
    .wavefront_size: 32
    .workgroup_processor_mode: 1
  - .args:
      - .actual_access:  read_only
        .address_space:  global
        .offset:         0
        .size:           8
        .value_kind:     global_buffer
      - .actual_access:  read_only
        .address_space:  global
        .offset:         8
        .size:           8
        .value_kind:     global_buffer
      - .actual_access:  read_only
        .address_space:  global
        .offset:         16
        .size:           8
        .value_kind:     global_buffer
      - .offset:         24
        .size:           4
        .value_kind:     by_value
      - .offset:         28
        .size:           4
        .value_kind:     by_value
      - .actual_access:  read_only
        .address_space:  global
        .offset:         32
        .size:           8
        .value_kind:     global_buffer
      - .actual_access:  read_only
        .address_space:  global
        .offset:         40
        .size:           8
        .value_kind:     global_buffer
      - .actual_access:  read_only
        .address_space:  global
        .offset:         48
        .size:           8
        .value_kind:     global_buffer
      - .offset:         56
        .size:           4
        .value_kind:     by_value
      - .actual_access:  read_only
        .address_space:  global
        .offset:         64
        .size:           8
        .value_kind:     global_buffer
      - .offset:         72
        .size:           4
        .value_kind:     by_value
      - .offset:         76
        .size:           4
        .value_kind:     by_value
      - .offset:         80
        .size:           4
        .value_kind:     by_value
      - .actual_access:  read_only
        .address_space:  global
        .offset:         88
        .size:           8
        .value_kind:     global_buffer
      - .actual_access:  read_only
        .address_space:  global
        .offset:         96
        .size:           8
        .value_kind:     global_buffer
      - .actual_access:  read_only
        .address_space:  global
        .offset:         104
        .size:           8
        .value_kind:     global_buffer
      - .actual_access:  read_only
        .address_space:  global
        .offset:         112
        .size:           8
        .value_kind:     global_buffer
      - .offset:         120
        .size:           4
        .value_kind:     by_value
      - .address_space:  global
        .offset:         128
        .size:           8
        .value_kind:     global_buffer
      - .address_space:  global
        .offset:         136
        .size:           8
        .value_kind:     global_buffer
      - .offset:         144
        .size:           4
        .value_kind:     hidden_block_count_x
      - .offset:         148
        .size:           4
        .value_kind:     hidden_block_count_y
      - .offset:         152
        .size:           4
        .value_kind:     hidden_block_count_z
      - .offset:         156
        .size:           2
        .value_kind:     hidden_group_size_x
      - .offset:         158
        .size:           2
        .value_kind:     hidden_group_size_y
      - .offset:         160
        .size:           2
        .value_kind:     hidden_group_size_z
      - .offset:         162
        .size:           2
        .value_kind:     hidden_remainder_x
      - .offset:         164
        .size:           2
        .value_kind:     hidden_remainder_y
      - .offset:         166
        .size:           2
        .value_kind:     hidden_remainder_z
      - .offset:         184
        .size:           8
        .value_kind:     hidden_global_offset_x
      - .offset:         192
        .size:           8
        .value_kind:     hidden_global_offset_y
      - .offset:         200
        .size:           8
        .value_kind:     hidden_global_offset_z
      - .offset:         208
        .size:           2
        .value_kind:     hidden_grid_dims
      - .offset:         224
        .size:           8
        .value_kind:     hidden_hostcall_buffer
    .group_segment_fixed_size: 0
    .kernarg_segment_align: 8
    .kernarg_segment_size: 400
    .language:       OpenCL C
    .language_version:
      - 2
      - 0
    .max_flat_workgroup_size: 256
    .name:           _Z38paged_attention_ll4mi_QKV_mfma4_kernelI14__hip_bfloat16hLN4vllm18Fp8KVCacheDataTypeE1ES0_Li32ELi64ELi256ELb1ELi1EEvPKT_PKT0_S8_ifPKiSA_SA_iPKfiiiPfSD_PS3_PT2_iSC_SC_
    .private_segment_fixed_size: 64
    .sgpr_count:     36
    .sgpr_spill_count: 0
    .symbol:         _Z38paged_attention_ll4mi_QKV_mfma4_kernelI14__hip_bfloat16hLN4vllm18Fp8KVCacheDataTypeE1ES0_Li32ELi64ELi256ELb1ELi1EEvPKT_PKT0_S8_ifPKiSA_SA_iPKfiiiPfSD_PS3_PT2_iSC_SC_.kd
    .uniform_work_group_size: 1
    .uses_dynamic_stack: false
    .vgpr_count:     41
    .vgpr_spill_count: 0
    .wavefront_size: 32
    .workgroup_processor_mode: 1
  - .args:
      - .actual_access:  read_only
        .address_space:  global
        .offset:         0
        .size:           8
        .value_kind:     global_buffer
      - .actual_access:  read_only
        .address_space:  global
        .offset:         8
        .size:           8
        .value_kind:     global_buffer
      - .actual_access:  read_only
        .address_space:  global
        .offset:         16
        .size:           8
        .value_kind:     global_buffer
      - .offset:         24
        .size:           4
        .value_kind:     by_value
      - .offset:         28
        .size:           4
        .value_kind:     by_value
      - .actual_access:  read_only
        .address_space:  global
        .offset:         32
        .size:           8
        .value_kind:     global_buffer
      - .actual_access:  read_only
        .address_space:  global
        .offset:         40
        .size:           8
        .value_kind:     global_buffer
      - .actual_access:  read_only
        .address_space:  global
        .offset:         48
        .size:           8
        .value_kind:     global_buffer
      - .offset:         56
        .size:           4
        .value_kind:     by_value
      - .actual_access:  read_only
        .address_space:  global
        .offset:         64
        .size:           8
        .value_kind:     global_buffer
      - .offset:         72
        .size:           4
        .value_kind:     by_value
      - .offset:         76
        .size:           4
        .value_kind:     by_value
      - .offset:         80
        .size:           4
        .value_kind:     by_value
      - .actual_access:  read_only
        .address_space:  global
        .offset:         88
        .size:           8
        .value_kind:     global_buffer
      - .actual_access:  read_only
        .address_space:  global
        .offset:         96
        .size:           8
        .value_kind:     global_buffer
      - .actual_access:  read_only
        .address_space:  global
        .offset:         104
        .size:           8
        .value_kind:     global_buffer
      - .actual_access:  read_only
        .address_space:  global
        .offset:         112
        .size:           8
        .value_kind:     global_buffer
      - .offset:         120
        .size:           4
        .value_kind:     by_value
      - .address_space:  global
        .offset:         128
        .size:           8
        .value_kind:     global_buffer
      - .address_space:  global
        .offset:         136
        .size:           8
        .value_kind:     global_buffer
      - .offset:         144
        .size:           4
        .value_kind:     hidden_block_count_x
      - .offset:         148
        .size:           4
        .value_kind:     hidden_block_count_y
      - .offset:         152
        .size:           4
        .value_kind:     hidden_block_count_z
      - .offset:         156
        .size:           2
        .value_kind:     hidden_group_size_x
      - .offset:         158
        .size:           2
        .value_kind:     hidden_group_size_y
      - .offset:         160
        .size:           2
        .value_kind:     hidden_group_size_z
      - .offset:         162
        .size:           2
        .value_kind:     hidden_remainder_x
      - .offset:         164
        .size:           2
        .value_kind:     hidden_remainder_y
      - .offset:         166
        .size:           2
        .value_kind:     hidden_remainder_z
      - .offset:         184
        .size:           8
        .value_kind:     hidden_global_offset_x
      - .offset:         192
        .size:           8
        .value_kind:     hidden_global_offset_y
      - .offset:         200
        .size:           8
        .value_kind:     hidden_global_offset_z
      - .offset:         208
        .size:           2
        .value_kind:     hidden_grid_dims
      - .offset:         224
        .size:           8
        .value_kind:     hidden_hostcall_buffer
    .group_segment_fixed_size: 0
    .kernarg_segment_align: 8
    .kernarg_segment_size: 400
    .language:       OpenCL C
    .language_version:
      - 2
      - 0
    .max_flat_workgroup_size: 256
    .name:           _Z38paged_attention_ll4mi_QKV_mfma4_kernelI14__hip_bfloat16hLN4vllm18Fp8KVCacheDataTypeE1ES0_Li32ELi64ELi256ELb1ELi2EEvPKT_PKT0_S8_ifPKiSA_SA_iPKfiiiPfSD_PS3_PT2_iSC_SC_
    .private_segment_fixed_size: 64
    .sgpr_count:     36
    .sgpr_spill_count: 0
    .symbol:         _Z38paged_attention_ll4mi_QKV_mfma4_kernelI14__hip_bfloat16hLN4vllm18Fp8KVCacheDataTypeE1ES0_Li32ELi64ELi256ELb1ELi2EEvPKT_PKT0_S8_ifPKiSA_SA_iPKfiiiPfSD_PS3_PT2_iSC_SC_.kd
    .uniform_work_group_size: 1
    .uses_dynamic_stack: false
    .vgpr_count:     41
    .vgpr_spill_count: 0
    .wavefront_size: 32
    .workgroup_processor_mode: 1
  - .args:
      - .actual_access:  read_only
        .address_space:  global
        .offset:         0
        .size:           8
        .value_kind:     global_buffer
      - .actual_access:  read_only
        .address_space:  global
        .offset:         8
        .size:           8
        .value_kind:     global_buffer
      - .actual_access:  read_only
        .address_space:  global
        .offset:         16
        .size:           8
        .value_kind:     global_buffer
      - .offset:         24
        .size:           4
        .value_kind:     by_value
      - .offset:         28
        .size:           4
        .value_kind:     by_value
      - .actual_access:  read_only
        .address_space:  global
        .offset:         32
        .size:           8
        .value_kind:     global_buffer
      - .actual_access:  read_only
        .address_space:  global
        .offset:         40
        .size:           8
        .value_kind:     global_buffer
      - .actual_access:  read_only
        .address_space:  global
        .offset:         48
        .size:           8
        .value_kind:     global_buffer
      - .offset:         56
        .size:           4
        .value_kind:     by_value
      - .actual_access:  read_only
        .address_space:  global
        .offset:         64
        .size:           8
        .value_kind:     global_buffer
      - .offset:         72
        .size:           4
        .value_kind:     by_value
      - .offset:         76
        .size:           4
        .value_kind:     by_value
      - .offset:         80
        .size:           4
        .value_kind:     by_value
      - .actual_access:  read_only
        .address_space:  global
        .offset:         88
        .size:           8
        .value_kind:     global_buffer
      - .actual_access:  read_only
        .address_space:  global
        .offset:         96
        .size:           8
        .value_kind:     global_buffer
      - .actual_access:  read_only
        .address_space:  global
        .offset:         104
        .size:           8
        .value_kind:     global_buffer
      - .actual_access:  read_only
        .address_space:  global
        .offset:         112
        .size:           8
        .value_kind:     global_buffer
      - .offset:         120
        .size:           4
        .value_kind:     by_value
      - .address_space:  global
        .offset:         128
        .size:           8
        .value_kind:     global_buffer
      - .address_space:  global
        .offset:         136
        .size:           8
        .value_kind:     global_buffer
      - .offset:         144
        .size:           4
        .value_kind:     hidden_block_count_x
      - .offset:         148
        .size:           4
        .value_kind:     hidden_block_count_y
      - .offset:         152
        .size:           4
        .value_kind:     hidden_block_count_z
      - .offset:         156
        .size:           2
        .value_kind:     hidden_group_size_x
      - .offset:         158
        .size:           2
        .value_kind:     hidden_group_size_y
      - .offset:         160
        .size:           2
        .value_kind:     hidden_group_size_z
      - .offset:         162
        .size:           2
        .value_kind:     hidden_remainder_x
      - .offset:         164
        .size:           2
        .value_kind:     hidden_remainder_y
      - .offset:         166
        .size:           2
        .value_kind:     hidden_remainder_z
      - .offset:         184
        .size:           8
        .value_kind:     hidden_global_offset_x
      - .offset:         192
        .size:           8
        .value_kind:     hidden_global_offset_y
      - .offset:         200
        .size:           8
        .value_kind:     hidden_global_offset_z
      - .offset:         208
        .size:           2
        .value_kind:     hidden_grid_dims
      - .offset:         224
        .size:           8
        .value_kind:     hidden_hostcall_buffer
    .group_segment_fixed_size: 0
    .kernarg_segment_align: 8
    .kernarg_segment_size: 400
    .language:       OpenCL C
    .language_version:
      - 2
      - 0
    .max_flat_workgroup_size: 256
    .name:           _Z38paged_attention_ll4mi_QKV_mfma4_kernelI14__hip_bfloat16hLN4vllm18Fp8KVCacheDataTypeE1ES0_Li32ELi64ELi256ELb1ELi3EEvPKT_PKT0_S8_ifPKiSA_SA_iPKfiiiPfSD_PS3_PT2_iSC_SC_
    .private_segment_fixed_size: 64
    .sgpr_count:     36
    .sgpr_spill_count: 0
    .symbol:         _Z38paged_attention_ll4mi_QKV_mfma4_kernelI14__hip_bfloat16hLN4vllm18Fp8KVCacheDataTypeE1ES0_Li32ELi64ELi256ELb1ELi3EEvPKT_PKT0_S8_ifPKiSA_SA_iPKfiiiPfSD_PS3_PT2_iSC_SC_.kd
    .uniform_work_group_size: 1
    .uses_dynamic_stack: false
    .vgpr_count:     41
    .vgpr_spill_count: 0
    .wavefront_size: 32
    .workgroup_processor_mode: 1
  - .args:
      - .actual_access:  read_only
        .address_space:  global
        .offset:         0
        .size:           8
        .value_kind:     global_buffer
      - .actual_access:  read_only
        .address_space:  global
        .offset:         8
        .size:           8
        .value_kind:     global_buffer
      - .actual_access:  read_only
        .address_space:  global
        .offset:         16
        .size:           8
        .value_kind:     global_buffer
      - .offset:         24
        .size:           4
        .value_kind:     by_value
      - .offset:         28
        .size:           4
        .value_kind:     by_value
      - .actual_access:  read_only
        .address_space:  global
        .offset:         32
        .size:           8
        .value_kind:     global_buffer
      - .actual_access:  read_only
        .address_space:  global
        .offset:         40
        .size:           8
        .value_kind:     global_buffer
      - .actual_access:  read_only
        .address_space:  global
        .offset:         48
        .size:           8
        .value_kind:     global_buffer
      - .offset:         56
        .size:           4
        .value_kind:     by_value
      - .actual_access:  read_only
        .address_space:  global
        .offset:         64
        .size:           8
        .value_kind:     global_buffer
      - .offset:         72
        .size:           4
        .value_kind:     by_value
      - .offset:         76
        .size:           4
        .value_kind:     by_value
      - .offset:         80
        .size:           4
        .value_kind:     by_value
      - .actual_access:  read_only
        .address_space:  global
        .offset:         88
        .size:           8
        .value_kind:     global_buffer
      - .actual_access:  read_only
        .address_space:  global
        .offset:         96
        .size:           8
        .value_kind:     global_buffer
      - .actual_access:  read_only
        .address_space:  global
        .offset:         104
        .size:           8
        .value_kind:     global_buffer
      - .actual_access:  read_only
        .address_space:  global
        .offset:         112
        .size:           8
        .value_kind:     global_buffer
      - .offset:         120
        .size:           4
        .value_kind:     by_value
      - .address_space:  global
        .offset:         128
        .size:           8
        .value_kind:     global_buffer
      - .address_space:  global
        .offset:         136
        .size:           8
        .value_kind:     global_buffer
      - .offset:         144
        .size:           4
        .value_kind:     hidden_block_count_x
      - .offset:         148
        .size:           4
        .value_kind:     hidden_block_count_y
      - .offset:         152
        .size:           4
        .value_kind:     hidden_block_count_z
      - .offset:         156
        .size:           2
        .value_kind:     hidden_group_size_x
      - .offset:         158
        .size:           2
        .value_kind:     hidden_group_size_y
      - .offset:         160
        .size:           2
        .value_kind:     hidden_group_size_z
      - .offset:         162
        .size:           2
        .value_kind:     hidden_remainder_x
      - .offset:         164
        .size:           2
        .value_kind:     hidden_remainder_y
      - .offset:         166
        .size:           2
        .value_kind:     hidden_remainder_z
      - .offset:         184
        .size:           8
        .value_kind:     hidden_global_offset_x
      - .offset:         192
        .size:           8
        .value_kind:     hidden_global_offset_y
      - .offset:         200
        .size:           8
        .value_kind:     hidden_global_offset_z
      - .offset:         208
        .size:           2
        .value_kind:     hidden_grid_dims
      - .offset:         224
        .size:           8
        .value_kind:     hidden_hostcall_buffer
    .group_segment_fixed_size: 0
    .kernarg_segment_align: 8
    .kernarg_segment_size: 400
    .language:       OpenCL C
    .language_version:
      - 2
      - 0
    .max_flat_workgroup_size: 256
    .name:           _Z38paged_attention_ll4mi_QKV_mfma4_kernelI14__hip_bfloat16hLN4vllm18Fp8KVCacheDataTypeE1ES0_Li32ELi64ELi256ELb1ELi4EEvPKT_PKT0_S8_ifPKiSA_SA_iPKfiiiPfSD_PS3_PT2_iSC_SC_
    .private_segment_fixed_size: 64
    .sgpr_count:     36
    .sgpr_spill_count: 0
    .symbol:         _Z38paged_attention_ll4mi_QKV_mfma4_kernelI14__hip_bfloat16hLN4vllm18Fp8KVCacheDataTypeE1ES0_Li32ELi64ELi256ELb1ELi4EEvPKT_PKT0_S8_ifPKiSA_SA_iPKfiiiPfSD_PS3_PT2_iSC_SC_.kd
    .uniform_work_group_size: 1
    .uses_dynamic_stack: false
    .vgpr_count:     41
    .vgpr_spill_count: 0
    .wavefront_size: 32
    .workgroup_processor_mode: 1
  - .args:
      - .actual_access:  read_only
        .address_space:  global
        .offset:         0
        .size:           8
        .value_kind:     global_buffer
      - .actual_access:  read_only
        .address_space:  global
        .offset:         8
        .size:           8
        .value_kind:     global_buffer
      - .actual_access:  read_only
        .address_space:  global
        .offset:         16
        .size:           8
        .value_kind:     global_buffer
      - .offset:         24
        .size:           4
        .value_kind:     by_value
      - .offset:         28
        .size:           4
        .value_kind:     by_value
      - .actual_access:  read_only
        .address_space:  global
        .offset:         32
        .size:           8
        .value_kind:     global_buffer
      - .actual_access:  read_only
        .address_space:  global
        .offset:         40
        .size:           8
        .value_kind:     global_buffer
      - .actual_access:  read_only
        .address_space:  global
        .offset:         48
        .size:           8
        .value_kind:     global_buffer
      - .offset:         56
        .size:           4
        .value_kind:     by_value
      - .actual_access:  read_only
        .address_space:  global
        .offset:         64
        .size:           8
        .value_kind:     global_buffer
      - .offset:         72
        .size:           4
        .value_kind:     by_value
      - .offset:         76
        .size:           4
        .value_kind:     by_value
      - .offset:         80
        .size:           4
        .value_kind:     by_value
      - .actual_access:  write_only
        .address_space:  global
        .offset:         88
        .size:           8
        .value_kind:     global_buffer
      - .actual_access:  write_only
        .address_space:  global
        .offset:         96
        .size:           8
        .value_kind:     global_buffer
      - .actual_access:  write_only
        .address_space:  global
        .offset:         104
        .size:           8
        .value_kind:     global_buffer
      - .actual_access:  read_only
        .address_space:  global
        .offset:         112
        .size:           8
        .value_kind:     global_buffer
      - .offset:         120
        .size:           4
        .value_kind:     by_value
      - .address_space:  global
        .offset:         128
        .size:           8
        .value_kind:     global_buffer
      - .address_space:  global
        .offset:         136
        .size:           8
        .value_kind:     global_buffer
      - .offset:         144
        .size:           4
        .value_kind:     hidden_block_count_x
      - .offset:         148
        .size:           4
        .value_kind:     hidden_block_count_y
      - .offset:         152
        .size:           4
        .value_kind:     hidden_block_count_z
      - .offset:         156
        .size:           2
        .value_kind:     hidden_group_size_x
      - .offset:         158
        .size:           2
        .value_kind:     hidden_group_size_y
      - .offset:         160
        .size:           2
        .value_kind:     hidden_group_size_z
      - .offset:         162
        .size:           2
        .value_kind:     hidden_remainder_x
      - .offset:         164
        .size:           2
        .value_kind:     hidden_remainder_y
      - .offset:         166
        .size:           2
        .value_kind:     hidden_remainder_z
      - .offset:         184
        .size:           8
        .value_kind:     hidden_global_offset_x
      - .offset:         192
        .size:           8
        .value_kind:     hidden_global_offset_y
      - .offset:         200
        .size:           8
        .value_kind:     hidden_global_offset_z
      - .offset:         208
        .size:           2
        .value_kind:     hidden_grid_dims
    .group_segment_fixed_size: 17472
    .kernarg_segment_align: 8
    .kernarg_segment_size: 400
    .language:       OpenCL C
    .language_version:
      - 2
      - 0
    .max_flat_workgroup_size: 256
    .name:           _Z39paged_attention_ll4mi_QKV_mfma16_kernelI14__hip_bfloat16hLN4vllm18Fp8KVCacheDataTypeE1ES0_Li32ELi64ELi256ELb1ELi5EL8MFMAType1EEvPKT_PKT0_S9_ifPKiSB_SB_iPKfiiiPfSE_PS4_PT2_iSD_SD_
    .private_segment_fixed_size: 0
    .sgpr_count:     44
    .sgpr_spill_count: 0
    .symbol:         _Z39paged_attention_ll4mi_QKV_mfma16_kernelI14__hip_bfloat16hLN4vllm18Fp8KVCacheDataTypeE1ES0_Li32ELi64ELi256ELb1ELi5EL8MFMAType1EEvPKT_PKT0_S9_ifPKiSB_SB_iPKfiiiPfSE_PS4_PT2_iSD_SD_.kd
    .uniform_work_group_size: 1
    .uses_dynamic_stack: false
    .vgpr_count:     124
    .vgpr_spill_count: 0
    .wavefront_size: 32
    .workgroup_processor_mode: 1
  - .args:
      - .actual_access:  read_only
        .address_space:  global
        .offset:         0
        .size:           8
        .value_kind:     global_buffer
      - .actual_access:  read_only
        .address_space:  global
        .offset:         8
        .size:           8
        .value_kind:     global_buffer
      - .actual_access:  read_only
        .address_space:  global
        .offset:         16
        .size:           8
        .value_kind:     global_buffer
      - .offset:         24
        .size:           4
        .value_kind:     by_value
      - .offset:         28
        .size:           4
        .value_kind:     by_value
      - .actual_access:  read_only
        .address_space:  global
        .offset:         32
        .size:           8
        .value_kind:     global_buffer
      - .actual_access:  read_only
        .address_space:  global
        .offset:         40
        .size:           8
        .value_kind:     global_buffer
      - .actual_access:  read_only
        .address_space:  global
        .offset:         48
        .size:           8
        .value_kind:     global_buffer
      - .offset:         56
        .size:           4
        .value_kind:     by_value
      - .actual_access:  read_only
        .address_space:  global
        .offset:         64
        .size:           8
        .value_kind:     global_buffer
      - .offset:         72
        .size:           4
        .value_kind:     by_value
      - .offset:         76
        .size:           4
        .value_kind:     by_value
      - .offset:         80
        .size:           4
        .value_kind:     by_value
      - .actual_access:  write_only
        .address_space:  global
        .offset:         88
        .size:           8
        .value_kind:     global_buffer
      - .actual_access:  write_only
        .address_space:  global
        .offset:         96
        .size:           8
        .value_kind:     global_buffer
      - .actual_access:  write_only
        .address_space:  global
        .offset:         104
        .size:           8
        .value_kind:     global_buffer
      - .actual_access:  read_only
        .address_space:  global
        .offset:         112
        .size:           8
        .value_kind:     global_buffer
      - .offset:         120
        .size:           4
        .value_kind:     by_value
      - .address_space:  global
        .offset:         128
        .size:           8
        .value_kind:     global_buffer
      - .address_space:  global
        .offset:         136
        .size:           8
        .value_kind:     global_buffer
      - .offset:         144
        .size:           4
        .value_kind:     hidden_block_count_x
      - .offset:         148
        .size:           4
        .value_kind:     hidden_block_count_y
      - .offset:         152
        .size:           4
        .value_kind:     hidden_block_count_z
      - .offset:         156
        .size:           2
        .value_kind:     hidden_group_size_x
      - .offset:         158
        .size:           2
        .value_kind:     hidden_group_size_y
      - .offset:         160
        .size:           2
        .value_kind:     hidden_group_size_z
      - .offset:         162
        .size:           2
        .value_kind:     hidden_remainder_x
      - .offset:         164
        .size:           2
        .value_kind:     hidden_remainder_y
      - .offset:         166
        .size:           2
        .value_kind:     hidden_remainder_z
      - .offset:         184
        .size:           8
        .value_kind:     hidden_global_offset_x
      - .offset:         192
        .size:           8
        .value_kind:     hidden_global_offset_y
      - .offset:         200
        .size:           8
        .value_kind:     hidden_global_offset_z
      - .offset:         208
        .size:           2
        .value_kind:     hidden_grid_dims
    .group_segment_fixed_size: 17472
    .kernarg_segment_align: 8
    .kernarg_segment_size: 400
    .language:       OpenCL C
    .language_version:
      - 2
      - 0
    .max_flat_workgroup_size: 256
    .name:           _Z39paged_attention_ll4mi_QKV_mfma16_kernelI14__hip_bfloat16hLN4vllm18Fp8KVCacheDataTypeE1ES0_Li32ELi64ELi256ELb1ELi6EL8MFMAType1EEvPKT_PKT0_S9_ifPKiSB_SB_iPKfiiiPfSE_PS4_PT2_iSD_SD_
    .private_segment_fixed_size: 0
    .sgpr_count:     42
    .sgpr_spill_count: 0
    .symbol:         _Z39paged_attention_ll4mi_QKV_mfma16_kernelI14__hip_bfloat16hLN4vllm18Fp8KVCacheDataTypeE1ES0_Li32ELi64ELi256ELb1ELi6EL8MFMAType1EEvPKT_PKT0_S9_ifPKiSB_SB_iPKfiiiPfSE_PS4_PT2_iSD_SD_.kd
    .uniform_work_group_size: 1
    .uses_dynamic_stack: false
    .vgpr_count:     124
    .vgpr_spill_count: 0
    .wavefront_size: 32
    .workgroup_processor_mode: 1
  - .args:
      - .actual_access:  read_only
        .address_space:  global
        .offset:         0
        .size:           8
        .value_kind:     global_buffer
      - .actual_access:  read_only
        .address_space:  global
        .offset:         8
        .size:           8
        .value_kind:     global_buffer
      - .actual_access:  read_only
        .address_space:  global
        .offset:         16
        .size:           8
        .value_kind:     global_buffer
      - .offset:         24
        .size:           4
        .value_kind:     by_value
      - .offset:         28
        .size:           4
        .value_kind:     by_value
      - .actual_access:  read_only
        .address_space:  global
        .offset:         32
        .size:           8
        .value_kind:     global_buffer
      - .actual_access:  read_only
        .address_space:  global
        .offset:         40
        .size:           8
        .value_kind:     global_buffer
      - .actual_access:  read_only
        .address_space:  global
        .offset:         48
        .size:           8
        .value_kind:     global_buffer
      - .offset:         56
        .size:           4
        .value_kind:     by_value
      - .actual_access:  read_only
        .address_space:  global
        .offset:         64
        .size:           8
        .value_kind:     global_buffer
      - .offset:         72
        .size:           4
        .value_kind:     by_value
      - .offset:         76
        .size:           4
        .value_kind:     by_value
      - .offset:         80
        .size:           4
        .value_kind:     by_value
      - .actual_access:  write_only
        .address_space:  global
        .offset:         88
        .size:           8
        .value_kind:     global_buffer
      - .actual_access:  write_only
        .address_space:  global
        .offset:         96
        .size:           8
        .value_kind:     global_buffer
      - .actual_access:  write_only
        .address_space:  global
        .offset:         104
        .size:           8
        .value_kind:     global_buffer
      - .actual_access:  read_only
        .address_space:  global
        .offset:         112
        .size:           8
        .value_kind:     global_buffer
      - .offset:         120
        .size:           4
        .value_kind:     by_value
      - .address_space:  global
        .offset:         128
        .size:           8
        .value_kind:     global_buffer
      - .address_space:  global
        .offset:         136
        .size:           8
        .value_kind:     global_buffer
      - .offset:         144
        .size:           4
        .value_kind:     hidden_block_count_x
      - .offset:         148
        .size:           4
        .value_kind:     hidden_block_count_y
      - .offset:         152
        .size:           4
        .value_kind:     hidden_block_count_z
      - .offset:         156
        .size:           2
        .value_kind:     hidden_group_size_x
      - .offset:         158
        .size:           2
        .value_kind:     hidden_group_size_y
      - .offset:         160
        .size:           2
        .value_kind:     hidden_group_size_z
      - .offset:         162
        .size:           2
        .value_kind:     hidden_remainder_x
      - .offset:         164
        .size:           2
        .value_kind:     hidden_remainder_y
      - .offset:         166
        .size:           2
        .value_kind:     hidden_remainder_z
      - .offset:         184
        .size:           8
        .value_kind:     hidden_global_offset_x
      - .offset:         192
        .size:           8
        .value_kind:     hidden_global_offset_y
      - .offset:         200
        .size:           8
        .value_kind:     hidden_global_offset_z
      - .offset:         208
        .size:           2
        .value_kind:     hidden_grid_dims
    .group_segment_fixed_size: 17472
    .kernarg_segment_align: 8
    .kernarg_segment_size: 400
    .language:       OpenCL C
    .language_version:
      - 2
      - 0
    .max_flat_workgroup_size: 256
    .name:           _Z39paged_attention_ll4mi_QKV_mfma16_kernelI14__hip_bfloat16hLN4vllm18Fp8KVCacheDataTypeE1ES0_Li32ELi64ELi256ELb1ELi7EL8MFMAType1EEvPKT_PKT0_S9_ifPKiSB_SB_iPKfiiiPfSE_PS4_PT2_iSD_SD_
    .private_segment_fixed_size: 0
    .sgpr_count:     44
    .sgpr_spill_count: 0
    .symbol:         _Z39paged_attention_ll4mi_QKV_mfma16_kernelI14__hip_bfloat16hLN4vllm18Fp8KVCacheDataTypeE1ES0_Li32ELi64ELi256ELb1ELi7EL8MFMAType1EEvPKT_PKT0_S9_ifPKiSB_SB_iPKfiiiPfSE_PS4_PT2_iSD_SD_.kd
    .uniform_work_group_size: 1
    .uses_dynamic_stack: false
    .vgpr_count:     124
    .vgpr_spill_count: 0
    .wavefront_size: 32
    .workgroup_processor_mode: 1
  - .args:
      - .actual_access:  read_only
        .address_space:  global
        .offset:         0
        .size:           8
        .value_kind:     global_buffer
      - .actual_access:  read_only
        .address_space:  global
        .offset:         8
        .size:           8
        .value_kind:     global_buffer
      - .actual_access:  read_only
        .address_space:  global
        .offset:         16
        .size:           8
        .value_kind:     global_buffer
      - .offset:         24
        .size:           4
        .value_kind:     by_value
      - .offset:         28
        .size:           4
        .value_kind:     by_value
      - .actual_access:  read_only
        .address_space:  global
        .offset:         32
        .size:           8
        .value_kind:     global_buffer
      - .actual_access:  read_only
        .address_space:  global
        .offset:         40
        .size:           8
        .value_kind:     global_buffer
      - .actual_access:  read_only
        .address_space:  global
        .offset:         48
        .size:           8
        .value_kind:     global_buffer
      - .offset:         56
        .size:           4
        .value_kind:     by_value
      - .actual_access:  read_only
        .address_space:  global
        .offset:         64
        .size:           8
        .value_kind:     global_buffer
      - .offset:         72
        .size:           4
        .value_kind:     by_value
      - .offset:         76
        .size:           4
        .value_kind:     by_value
      - .offset:         80
        .size:           4
        .value_kind:     by_value
      - .actual_access:  write_only
        .address_space:  global
        .offset:         88
        .size:           8
        .value_kind:     global_buffer
      - .actual_access:  write_only
        .address_space:  global
        .offset:         96
        .size:           8
        .value_kind:     global_buffer
      - .actual_access:  write_only
        .address_space:  global
        .offset:         104
        .size:           8
        .value_kind:     global_buffer
      - .actual_access:  read_only
        .address_space:  global
        .offset:         112
        .size:           8
        .value_kind:     global_buffer
      - .offset:         120
        .size:           4
        .value_kind:     by_value
      - .address_space:  global
        .offset:         128
        .size:           8
        .value_kind:     global_buffer
      - .address_space:  global
        .offset:         136
        .size:           8
        .value_kind:     global_buffer
      - .offset:         144
        .size:           4
        .value_kind:     hidden_block_count_x
      - .offset:         148
        .size:           4
        .value_kind:     hidden_block_count_y
      - .offset:         152
        .size:           4
        .value_kind:     hidden_block_count_z
      - .offset:         156
        .size:           2
        .value_kind:     hidden_group_size_x
      - .offset:         158
        .size:           2
        .value_kind:     hidden_group_size_y
      - .offset:         160
        .size:           2
        .value_kind:     hidden_group_size_z
      - .offset:         162
        .size:           2
        .value_kind:     hidden_remainder_x
      - .offset:         164
        .size:           2
        .value_kind:     hidden_remainder_y
      - .offset:         166
        .size:           2
        .value_kind:     hidden_remainder_z
      - .offset:         184
        .size:           8
        .value_kind:     hidden_global_offset_x
      - .offset:         192
        .size:           8
        .value_kind:     hidden_global_offset_y
      - .offset:         200
        .size:           8
        .value_kind:     hidden_global_offset_z
      - .offset:         208
        .size:           2
        .value_kind:     hidden_grid_dims
    .group_segment_fixed_size: 17472
    .kernarg_segment_align: 8
    .kernarg_segment_size: 400
    .language:       OpenCL C
    .language_version:
      - 2
      - 0
    .max_flat_workgroup_size: 256
    .name:           _Z39paged_attention_ll4mi_QKV_mfma16_kernelI14__hip_bfloat16hLN4vllm18Fp8KVCacheDataTypeE1ES0_Li32ELi64ELi256ELb1ELi8EL8MFMAType1EEvPKT_PKT0_S9_ifPKiSB_SB_iPKfiiiPfSE_PS4_PT2_iSD_SD_
    .private_segment_fixed_size: 0
    .sgpr_count:     42
    .sgpr_spill_count: 0
    .symbol:         _Z39paged_attention_ll4mi_QKV_mfma16_kernelI14__hip_bfloat16hLN4vllm18Fp8KVCacheDataTypeE1ES0_Li32ELi64ELi256ELb1ELi8EL8MFMAType1EEvPKT_PKT0_S9_ifPKiSB_SB_iPKfiiiPfSE_PS4_PT2_iSD_SD_.kd
    .uniform_work_group_size: 1
    .uses_dynamic_stack: false
    .vgpr_count:     124
    .vgpr_spill_count: 0
    .wavefront_size: 32
    .workgroup_processor_mode: 1
  - .args:
      - .actual_access:  read_only
        .address_space:  global
        .offset:         0
        .size:           8
        .value_kind:     global_buffer
      - .actual_access:  read_only
        .address_space:  global
        .offset:         8
        .size:           8
        .value_kind:     global_buffer
      - .actual_access:  read_only
        .address_space:  global
        .offset:         16
        .size:           8
        .value_kind:     global_buffer
      - .offset:         24
        .size:           4
        .value_kind:     by_value
      - .offset:         28
        .size:           4
        .value_kind:     by_value
      - .actual_access:  read_only
        .address_space:  global
        .offset:         32
        .size:           8
        .value_kind:     global_buffer
      - .actual_access:  read_only
        .address_space:  global
        .offset:         40
        .size:           8
        .value_kind:     global_buffer
      - .actual_access:  read_only
        .address_space:  global
        .offset:         48
        .size:           8
        .value_kind:     global_buffer
      - .offset:         56
        .size:           4
        .value_kind:     by_value
      - .actual_access:  read_only
        .address_space:  global
        .offset:         64
        .size:           8
        .value_kind:     global_buffer
      - .offset:         72
        .size:           4
        .value_kind:     by_value
      - .offset:         76
        .size:           4
        .value_kind:     by_value
      - .offset:         80
        .size:           4
        .value_kind:     by_value
      - .actual_access:  write_only
        .address_space:  global
        .offset:         88
        .size:           8
        .value_kind:     global_buffer
      - .actual_access:  write_only
        .address_space:  global
        .offset:         96
        .size:           8
        .value_kind:     global_buffer
      - .actual_access:  write_only
        .address_space:  global
        .offset:         104
        .size:           8
        .value_kind:     global_buffer
      - .actual_access:  read_only
        .address_space:  global
        .offset:         112
        .size:           8
        .value_kind:     global_buffer
      - .offset:         120
        .size:           4
        .value_kind:     by_value
      - .address_space:  global
        .offset:         128
        .size:           8
        .value_kind:     global_buffer
      - .address_space:  global
        .offset:         136
        .size:           8
        .value_kind:     global_buffer
      - .offset:         144
        .size:           4
        .value_kind:     hidden_block_count_x
      - .offset:         148
        .size:           4
        .value_kind:     hidden_block_count_y
      - .offset:         152
        .size:           4
        .value_kind:     hidden_block_count_z
      - .offset:         156
        .size:           2
        .value_kind:     hidden_group_size_x
      - .offset:         158
        .size:           2
        .value_kind:     hidden_group_size_y
      - .offset:         160
        .size:           2
        .value_kind:     hidden_group_size_z
      - .offset:         162
        .size:           2
        .value_kind:     hidden_remainder_x
      - .offset:         164
        .size:           2
        .value_kind:     hidden_remainder_y
      - .offset:         166
        .size:           2
        .value_kind:     hidden_remainder_z
      - .offset:         184
        .size:           8
        .value_kind:     hidden_global_offset_x
      - .offset:         192
        .size:           8
        .value_kind:     hidden_global_offset_y
      - .offset:         200
        .size:           8
        .value_kind:     hidden_global_offset_z
      - .offset:         208
        .size:           2
        .value_kind:     hidden_grid_dims
    .group_segment_fixed_size: 17472
    .kernarg_segment_align: 8
    .kernarg_segment_size: 400
    .language:       OpenCL C
    .language_version:
      - 2
      - 0
    .max_flat_workgroup_size: 256
    .name:           _Z39paged_attention_ll4mi_QKV_mfma16_kernelI14__hip_bfloat16hLN4vllm18Fp8KVCacheDataTypeE1ES0_Li32ELi64ELi256ELb1ELi9EL8MFMAType1EEvPKT_PKT0_S9_ifPKiSB_SB_iPKfiiiPfSE_PS4_PT2_iSD_SD_
    .private_segment_fixed_size: 0
    .sgpr_count:     44
    .sgpr_spill_count: 0
    .symbol:         _Z39paged_attention_ll4mi_QKV_mfma16_kernelI14__hip_bfloat16hLN4vllm18Fp8KVCacheDataTypeE1ES0_Li32ELi64ELi256ELb1ELi9EL8MFMAType1EEvPKT_PKT0_S9_ifPKiSB_SB_iPKfiiiPfSE_PS4_PT2_iSD_SD_.kd
    .uniform_work_group_size: 1
    .uses_dynamic_stack: false
    .vgpr_count:     124
    .vgpr_spill_count: 0
    .wavefront_size: 32
    .workgroup_processor_mode: 1
  - .args:
      - .actual_access:  read_only
        .address_space:  global
        .offset:         0
        .size:           8
        .value_kind:     global_buffer
      - .actual_access:  read_only
        .address_space:  global
        .offset:         8
        .size:           8
        .value_kind:     global_buffer
      - .actual_access:  read_only
        .address_space:  global
        .offset:         16
        .size:           8
        .value_kind:     global_buffer
      - .offset:         24
        .size:           4
        .value_kind:     by_value
      - .offset:         28
        .size:           4
        .value_kind:     by_value
      - .actual_access:  read_only
        .address_space:  global
        .offset:         32
        .size:           8
        .value_kind:     global_buffer
      - .actual_access:  read_only
        .address_space:  global
        .offset:         40
        .size:           8
        .value_kind:     global_buffer
      - .actual_access:  read_only
        .address_space:  global
        .offset:         48
        .size:           8
        .value_kind:     global_buffer
      - .offset:         56
        .size:           4
        .value_kind:     by_value
      - .actual_access:  read_only
        .address_space:  global
        .offset:         64
        .size:           8
        .value_kind:     global_buffer
      - .offset:         72
        .size:           4
        .value_kind:     by_value
      - .offset:         76
        .size:           4
        .value_kind:     by_value
      - .offset:         80
        .size:           4
        .value_kind:     by_value
      - .actual_access:  write_only
        .address_space:  global
        .offset:         88
        .size:           8
        .value_kind:     global_buffer
      - .actual_access:  write_only
        .address_space:  global
        .offset:         96
        .size:           8
        .value_kind:     global_buffer
      - .actual_access:  write_only
        .address_space:  global
        .offset:         104
        .size:           8
        .value_kind:     global_buffer
      - .actual_access:  read_only
        .address_space:  global
        .offset:         112
        .size:           8
        .value_kind:     global_buffer
      - .offset:         120
        .size:           4
        .value_kind:     by_value
      - .address_space:  global
        .offset:         128
        .size:           8
        .value_kind:     global_buffer
      - .address_space:  global
        .offset:         136
        .size:           8
        .value_kind:     global_buffer
      - .offset:         144
        .size:           4
        .value_kind:     hidden_block_count_x
      - .offset:         148
        .size:           4
        .value_kind:     hidden_block_count_y
      - .offset:         152
        .size:           4
        .value_kind:     hidden_block_count_z
      - .offset:         156
        .size:           2
        .value_kind:     hidden_group_size_x
      - .offset:         158
        .size:           2
        .value_kind:     hidden_group_size_y
      - .offset:         160
        .size:           2
        .value_kind:     hidden_group_size_z
      - .offset:         162
        .size:           2
        .value_kind:     hidden_remainder_x
      - .offset:         164
        .size:           2
        .value_kind:     hidden_remainder_y
      - .offset:         166
        .size:           2
        .value_kind:     hidden_remainder_z
      - .offset:         184
        .size:           8
        .value_kind:     hidden_global_offset_x
      - .offset:         192
        .size:           8
        .value_kind:     hidden_global_offset_y
      - .offset:         200
        .size:           8
        .value_kind:     hidden_global_offset_z
      - .offset:         208
        .size:           2
        .value_kind:     hidden_grid_dims
    .group_segment_fixed_size: 17472
    .kernarg_segment_align: 8
    .kernarg_segment_size: 400
    .language:       OpenCL C
    .language_version:
      - 2
      - 0
    .max_flat_workgroup_size: 256
    .name:           _Z39paged_attention_ll4mi_QKV_mfma16_kernelI14__hip_bfloat16hLN4vllm18Fp8KVCacheDataTypeE1ES0_Li32ELi64ELi256ELb1ELi10EL8MFMAType1EEvPKT_PKT0_S9_ifPKiSB_SB_iPKfiiiPfSE_PS4_PT2_iSD_SD_
    .private_segment_fixed_size: 0
    .sgpr_count:     42
    .sgpr_spill_count: 0
    .symbol:         _Z39paged_attention_ll4mi_QKV_mfma16_kernelI14__hip_bfloat16hLN4vllm18Fp8KVCacheDataTypeE1ES0_Li32ELi64ELi256ELb1ELi10EL8MFMAType1EEvPKT_PKT0_S9_ifPKiSB_SB_iPKfiiiPfSE_PS4_PT2_iSD_SD_.kd
    .uniform_work_group_size: 1
    .uses_dynamic_stack: false
    .vgpr_count:     124
    .vgpr_spill_count: 0
    .wavefront_size: 32
    .workgroup_processor_mode: 1
  - .args:
      - .actual_access:  read_only
        .address_space:  global
        .offset:         0
        .size:           8
        .value_kind:     global_buffer
      - .actual_access:  read_only
        .address_space:  global
        .offset:         8
        .size:           8
        .value_kind:     global_buffer
      - .actual_access:  read_only
        .address_space:  global
        .offset:         16
        .size:           8
        .value_kind:     global_buffer
      - .offset:         24
        .size:           4
        .value_kind:     by_value
      - .offset:         28
        .size:           4
        .value_kind:     by_value
      - .actual_access:  read_only
        .address_space:  global
        .offset:         32
        .size:           8
        .value_kind:     global_buffer
      - .actual_access:  read_only
        .address_space:  global
        .offset:         40
        .size:           8
        .value_kind:     global_buffer
      - .actual_access:  read_only
        .address_space:  global
        .offset:         48
        .size:           8
        .value_kind:     global_buffer
      - .offset:         56
        .size:           4
        .value_kind:     by_value
      - .actual_access:  read_only
        .address_space:  global
        .offset:         64
        .size:           8
        .value_kind:     global_buffer
      - .offset:         72
        .size:           4
        .value_kind:     by_value
      - .offset:         76
        .size:           4
        .value_kind:     by_value
      - .offset:         80
        .size:           4
        .value_kind:     by_value
      - .actual_access:  write_only
        .address_space:  global
        .offset:         88
        .size:           8
        .value_kind:     global_buffer
      - .actual_access:  write_only
        .address_space:  global
        .offset:         96
        .size:           8
        .value_kind:     global_buffer
      - .actual_access:  write_only
        .address_space:  global
        .offset:         104
        .size:           8
        .value_kind:     global_buffer
      - .actual_access:  read_only
        .address_space:  global
        .offset:         112
        .size:           8
        .value_kind:     global_buffer
      - .offset:         120
        .size:           4
        .value_kind:     by_value
      - .address_space:  global
        .offset:         128
        .size:           8
        .value_kind:     global_buffer
      - .address_space:  global
        .offset:         136
        .size:           8
        .value_kind:     global_buffer
      - .offset:         144
        .size:           4
        .value_kind:     hidden_block_count_x
      - .offset:         148
        .size:           4
        .value_kind:     hidden_block_count_y
      - .offset:         152
        .size:           4
        .value_kind:     hidden_block_count_z
      - .offset:         156
        .size:           2
        .value_kind:     hidden_group_size_x
      - .offset:         158
        .size:           2
        .value_kind:     hidden_group_size_y
      - .offset:         160
        .size:           2
        .value_kind:     hidden_group_size_z
      - .offset:         162
        .size:           2
        .value_kind:     hidden_remainder_x
      - .offset:         164
        .size:           2
        .value_kind:     hidden_remainder_y
      - .offset:         166
        .size:           2
        .value_kind:     hidden_remainder_z
      - .offset:         184
        .size:           8
        .value_kind:     hidden_global_offset_x
      - .offset:         192
        .size:           8
        .value_kind:     hidden_global_offset_y
      - .offset:         200
        .size:           8
        .value_kind:     hidden_global_offset_z
      - .offset:         208
        .size:           2
        .value_kind:     hidden_grid_dims
    .group_segment_fixed_size: 17472
    .kernarg_segment_align: 8
    .kernarg_segment_size: 400
    .language:       OpenCL C
    .language_version:
      - 2
      - 0
    .max_flat_workgroup_size: 256
    .name:           _Z39paged_attention_ll4mi_QKV_mfma16_kernelI14__hip_bfloat16hLN4vllm18Fp8KVCacheDataTypeE1ES0_Li32ELi64ELi256ELb1ELi11EL8MFMAType1EEvPKT_PKT0_S9_ifPKiSB_SB_iPKfiiiPfSE_PS4_PT2_iSD_SD_
    .private_segment_fixed_size: 0
    .sgpr_count:     44
    .sgpr_spill_count: 0
    .symbol:         _Z39paged_attention_ll4mi_QKV_mfma16_kernelI14__hip_bfloat16hLN4vllm18Fp8KVCacheDataTypeE1ES0_Li32ELi64ELi256ELb1ELi11EL8MFMAType1EEvPKT_PKT0_S9_ifPKiSB_SB_iPKfiiiPfSE_PS4_PT2_iSD_SD_.kd
    .uniform_work_group_size: 1
    .uses_dynamic_stack: false
    .vgpr_count:     124
    .vgpr_spill_count: 0
    .wavefront_size: 32
    .workgroup_processor_mode: 1
  - .args:
      - .actual_access:  read_only
        .address_space:  global
        .offset:         0
        .size:           8
        .value_kind:     global_buffer
      - .actual_access:  read_only
        .address_space:  global
        .offset:         8
        .size:           8
        .value_kind:     global_buffer
      - .actual_access:  read_only
        .address_space:  global
        .offset:         16
        .size:           8
        .value_kind:     global_buffer
      - .offset:         24
        .size:           4
        .value_kind:     by_value
      - .offset:         28
        .size:           4
        .value_kind:     by_value
      - .actual_access:  read_only
        .address_space:  global
        .offset:         32
        .size:           8
        .value_kind:     global_buffer
      - .actual_access:  read_only
        .address_space:  global
        .offset:         40
        .size:           8
        .value_kind:     global_buffer
      - .actual_access:  read_only
        .address_space:  global
        .offset:         48
        .size:           8
        .value_kind:     global_buffer
      - .offset:         56
        .size:           4
        .value_kind:     by_value
      - .actual_access:  read_only
        .address_space:  global
        .offset:         64
        .size:           8
        .value_kind:     global_buffer
      - .offset:         72
        .size:           4
        .value_kind:     by_value
      - .offset:         76
        .size:           4
        .value_kind:     by_value
      - .offset:         80
        .size:           4
        .value_kind:     by_value
      - .actual_access:  write_only
        .address_space:  global
        .offset:         88
        .size:           8
        .value_kind:     global_buffer
      - .actual_access:  write_only
        .address_space:  global
        .offset:         96
        .size:           8
        .value_kind:     global_buffer
      - .actual_access:  write_only
        .address_space:  global
        .offset:         104
        .size:           8
        .value_kind:     global_buffer
      - .actual_access:  read_only
        .address_space:  global
        .offset:         112
        .size:           8
        .value_kind:     global_buffer
      - .offset:         120
        .size:           4
        .value_kind:     by_value
      - .address_space:  global
        .offset:         128
        .size:           8
        .value_kind:     global_buffer
      - .address_space:  global
        .offset:         136
        .size:           8
        .value_kind:     global_buffer
      - .offset:         144
        .size:           4
        .value_kind:     hidden_block_count_x
      - .offset:         148
        .size:           4
        .value_kind:     hidden_block_count_y
      - .offset:         152
        .size:           4
        .value_kind:     hidden_block_count_z
      - .offset:         156
        .size:           2
        .value_kind:     hidden_group_size_x
      - .offset:         158
        .size:           2
        .value_kind:     hidden_group_size_y
      - .offset:         160
        .size:           2
        .value_kind:     hidden_group_size_z
      - .offset:         162
        .size:           2
        .value_kind:     hidden_remainder_x
      - .offset:         164
        .size:           2
        .value_kind:     hidden_remainder_y
      - .offset:         166
        .size:           2
        .value_kind:     hidden_remainder_z
      - .offset:         184
        .size:           8
        .value_kind:     hidden_global_offset_x
      - .offset:         192
        .size:           8
        .value_kind:     hidden_global_offset_y
      - .offset:         200
        .size:           8
        .value_kind:     hidden_global_offset_z
      - .offset:         208
        .size:           2
        .value_kind:     hidden_grid_dims
    .group_segment_fixed_size: 17472
    .kernarg_segment_align: 8
    .kernarg_segment_size: 400
    .language:       OpenCL C
    .language_version:
      - 2
      - 0
    .max_flat_workgroup_size: 256
    .name:           _Z39paged_attention_ll4mi_QKV_mfma16_kernelI14__hip_bfloat16hLN4vllm18Fp8KVCacheDataTypeE1ES0_Li32ELi64ELi256ELb1ELi12EL8MFMAType1EEvPKT_PKT0_S9_ifPKiSB_SB_iPKfiiiPfSE_PS4_PT2_iSD_SD_
    .private_segment_fixed_size: 0
    .sgpr_count:     42
    .sgpr_spill_count: 0
    .symbol:         _Z39paged_attention_ll4mi_QKV_mfma16_kernelI14__hip_bfloat16hLN4vllm18Fp8KVCacheDataTypeE1ES0_Li32ELi64ELi256ELb1ELi12EL8MFMAType1EEvPKT_PKT0_S9_ifPKiSB_SB_iPKfiiiPfSE_PS4_PT2_iSD_SD_.kd
    .uniform_work_group_size: 1
    .uses_dynamic_stack: false
    .vgpr_count:     124
    .vgpr_spill_count: 0
    .wavefront_size: 32
    .workgroup_processor_mode: 1
  - .args:
      - .actual_access:  read_only
        .address_space:  global
        .offset:         0
        .size:           8
        .value_kind:     global_buffer
      - .actual_access:  read_only
        .address_space:  global
        .offset:         8
        .size:           8
        .value_kind:     global_buffer
      - .actual_access:  read_only
        .address_space:  global
        .offset:         16
        .size:           8
        .value_kind:     global_buffer
      - .offset:         24
        .size:           4
        .value_kind:     by_value
      - .offset:         28
        .size:           4
        .value_kind:     by_value
      - .actual_access:  read_only
        .address_space:  global
        .offset:         32
        .size:           8
        .value_kind:     global_buffer
      - .actual_access:  read_only
        .address_space:  global
        .offset:         40
        .size:           8
        .value_kind:     global_buffer
      - .actual_access:  read_only
        .address_space:  global
        .offset:         48
        .size:           8
        .value_kind:     global_buffer
      - .offset:         56
        .size:           4
        .value_kind:     by_value
      - .actual_access:  read_only
        .address_space:  global
        .offset:         64
        .size:           8
        .value_kind:     global_buffer
      - .offset:         72
        .size:           4
        .value_kind:     by_value
      - .offset:         76
        .size:           4
        .value_kind:     by_value
      - .offset:         80
        .size:           4
        .value_kind:     by_value
      - .actual_access:  write_only
        .address_space:  global
        .offset:         88
        .size:           8
        .value_kind:     global_buffer
      - .actual_access:  write_only
        .address_space:  global
        .offset:         96
        .size:           8
        .value_kind:     global_buffer
      - .actual_access:  write_only
        .address_space:  global
        .offset:         104
        .size:           8
        .value_kind:     global_buffer
      - .actual_access:  read_only
        .address_space:  global
        .offset:         112
        .size:           8
        .value_kind:     global_buffer
      - .offset:         120
        .size:           4
        .value_kind:     by_value
      - .address_space:  global
        .offset:         128
        .size:           8
        .value_kind:     global_buffer
      - .address_space:  global
        .offset:         136
        .size:           8
        .value_kind:     global_buffer
      - .offset:         144
        .size:           4
        .value_kind:     hidden_block_count_x
      - .offset:         148
        .size:           4
        .value_kind:     hidden_block_count_y
      - .offset:         152
        .size:           4
        .value_kind:     hidden_block_count_z
      - .offset:         156
        .size:           2
        .value_kind:     hidden_group_size_x
      - .offset:         158
        .size:           2
        .value_kind:     hidden_group_size_y
      - .offset:         160
        .size:           2
        .value_kind:     hidden_group_size_z
      - .offset:         162
        .size:           2
        .value_kind:     hidden_remainder_x
      - .offset:         164
        .size:           2
        .value_kind:     hidden_remainder_y
      - .offset:         166
        .size:           2
        .value_kind:     hidden_remainder_z
      - .offset:         184
        .size:           8
        .value_kind:     hidden_global_offset_x
      - .offset:         192
        .size:           8
        .value_kind:     hidden_global_offset_y
      - .offset:         200
        .size:           8
        .value_kind:     hidden_global_offset_z
      - .offset:         208
        .size:           2
        .value_kind:     hidden_grid_dims
    .group_segment_fixed_size: 17472
    .kernarg_segment_align: 8
    .kernarg_segment_size: 400
    .language:       OpenCL C
    .language_version:
      - 2
      - 0
    .max_flat_workgroup_size: 256
    .name:           _Z39paged_attention_ll4mi_QKV_mfma16_kernelI14__hip_bfloat16hLN4vllm18Fp8KVCacheDataTypeE1ES0_Li32ELi64ELi256ELb1ELi13EL8MFMAType1EEvPKT_PKT0_S9_ifPKiSB_SB_iPKfiiiPfSE_PS4_PT2_iSD_SD_
    .private_segment_fixed_size: 0
    .sgpr_count:     44
    .sgpr_spill_count: 0
    .symbol:         _Z39paged_attention_ll4mi_QKV_mfma16_kernelI14__hip_bfloat16hLN4vllm18Fp8KVCacheDataTypeE1ES0_Li32ELi64ELi256ELb1ELi13EL8MFMAType1EEvPKT_PKT0_S9_ifPKiSB_SB_iPKfiiiPfSE_PS4_PT2_iSD_SD_.kd
    .uniform_work_group_size: 1
    .uses_dynamic_stack: false
    .vgpr_count:     124
    .vgpr_spill_count: 0
    .wavefront_size: 32
    .workgroup_processor_mode: 1
  - .args:
      - .actual_access:  read_only
        .address_space:  global
        .offset:         0
        .size:           8
        .value_kind:     global_buffer
      - .actual_access:  read_only
        .address_space:  global
        .offset:         8
        .size:           8
        .value_kind:     global_buffer
      - .actual_access:  read_only
        .address_space:  global
        .offset:         16
        .size:           8
        .value_kind:     global_buffer
      - .offset:         24
        .size:           4
        .value_kind:     by_value
      - .offset:         28
        .size:           4
        .value_kind:     by_value
      - .actual_access:  read_only
        .address_space:  global
        .offset:         32
        .size:           8
        .value_kind:     global_buffer
      - .actual_access:  read_only
        .address_space:  global
        .offset:         40
        .size:           8
        .value_kind:     global_buffer
      - .actual_access:  read_only
        .address_space:  global
        .offset:         48
        .size:           8
        .value_kind:     global_buffer
      - .offset:         56
        .size:           4
        .value_kind:     by_value
      - .actual_access:  read_only
        .address_space:  global
        .offset:         64
        .size:           8
        .value_kind:     global_buffer
      - .offset:         72
        .size:           4
        .value_kind:     by_value
      - .offset:         76
        .size:           4
        .value_kind:     by_value
      - .offset:         80
        .size:           4
        .value_kind:     by_value
      - .actual_access:  write_only
        .address_space:  global
        .offset:         88
        .size:           8
        .value_kind:     global_buffer
      - .actual_access:  write_only
        .address_space:  global
        .offset:         96
        .size:           8
        .value_kind:     global_buffer
      - .actual_access:  write_only
        .address_space:  global
        .offset:         104
        .size:           8
        .value_kind:     global_buffer
      - .actual_access:  read_only
        .address_space:  global
        .offset:         112
        .size:           8
        .value_kind:     global_buffer
      - .offset:         120
        .size:           4
        .value_kind:     by_value
      - .address_space:  global
        .offset:         128
        .size:           8
        .value_kind:     global_buffer
      - .address_space:  global
        .offset:         136
        .size:           8
        .value_kind:     global_buffer
      - .offset:         144
        .size:           4
        .value_kind:     hidden_block_count_x
      - .offset:         148
        .size:           4
        .value_kind:     hidden_block_count_y
      - .offset:         152
        .size:           4
        .value_kind:     hidden_block_count_z
      - .offset:         156
        .size:           2
        .value_kind:     hidden_group_size_x
      - .offset:         158
        .size:           2
        .value_kind:     hidden_group_size_y
      - .offset:         160
        .size:           2
        .value_kind:     hidden_group_size_z
      - .offset:         162
        .size:           2
        .value_kind:     hidden_remainder_x
      - .offset:         164
        .size:           2
        .value_kind:     hidden_remainder_y
      - .offset:         166
        .size:           2
        .value_kind:     hidden_remainder_z
      - .offset:         184
        .size:           8
        .value_kind:     hidden_global_offset_x
      - .offset:         192
        .size:           8
        .value_kind:     hidden_global_offset_y
      - .offset:         200
        .size:           8
        .value_kind:     hidden_global_offset_z
      - .offset:         208
        .size:           2
        .value_kind:     hidden_grid_dims
    .group_segment_fixed_size: 17472
    .kernarg_segment_align: 8
    .kernarg_segment_size: 400
    .language:       OpenCL C
    .language_version:
      - 2
      - 0
    .max_flat_workgroup_size: 256
    .name:           _Z39paged_attention_ll4mi_QKV_mfma16_kernelI14__hip_bfloat16hLN4vllm18Fp8KVCacheDataTypeE1ES0_Li32ELi64ELi256ELb1ELi14EL8MFMAType1EEvPKT_PKT0_S9_ifPKiSB_SB_iPKfiiiPfSE_PS4_PT2_iSD_SD_
    .private_segment_fixed_size: 0
    .sgpr_count:     42
    .sgpr_spill_count: 0
    .symbol:         _Z39paged_attention_ll4mi_QKV_mfma16_kernelI14__hip_bfloat16hLN4vllm18Fp8KVCacheDataTypeE1ES0_Li32ELi64ELi256ELb1ELi14EL8MFMAType1EEvPKT_PKT0_S9_ifPKiSB_SB_iPKfiiiPfSE_PS4_PT2_iSD_SD_.kd
    .uniform_work_group_size: 1
    .uses_dynamic_stack: false
    .vgpr_count:     124
    .vgpr_spill_count: 0
    .wavefront_size: 32
    .workgroup_processor_mode: 1
  - .args:
      - .actual_access:  read_only
        .address_space:  global
        .offset:         0
        .size:           8
        .value_kind:     global_buffer
      - .actual_access:  read_only
        .address_space:  global
        .offset:         8
        .size:           8
        .value_kind:     global_buffer
      - .actual_access:  read_only
        .address_space:  global
        .offset:         16
        .size:           8
        .value_kind:     global_buffer
      - .offset:         24
        .size:           4
        .value_kind:     by_value
      - .offset:         28
        .size:           4
        .value_kind:     by_value
      - .actual_access:  read_only
        .address_space:  global
        .offset:         32
        .size:           8
        .value_kind:     global_buffer
      - .actual_access:  read_only
        .address_space:  global
        .offset:         40
        .size:           8
        .value_kind:     global_buffer
      - .actual_access:  read_only
        .address_space:  global
        .offset:         48
        .size:           8
        .value_kind:     global_buffer
      - .offset:         56
        .size:           4
        .value_kind:     by_value
      - .actual_access:  read_only
        .address_space:  global
        .offset:         64
        .size:           8
        .value_kind:     global_buffer
      - .offset:         72
        .size:           4
        .value_kind:     by_value
      - .offset:         76
        .size:           4
        .value_kind:     by_value
      - .offset:         80
        .size:           4
        .value_kind:     by_value
      - .actual_access:  write_only
        .address_space:  global
        .offset:         88
        .size:           8
        .value_kind:     global_buffer
      - .actual_access:  write_only
        .address_space:  global
        .offset:         96
        .size:           8
        .value_kind:     global_buffer
      - .actual_access:  write_only
        .address_space:  global
        .offset:         104
        .size:           8
        .value_kind:     global_buffer
      - .actual_access:  read_only
        .address_space:  global
        .offset:         112
        .size:           8
        .value_kind:     global_buffer
      - .offset:         120
        .size:           4
        .value_kind:     by_value
      - .address_space:  global
        .offset:         128
        .size:           8
        .value_kind:     global_buffer
      - .address_space:  global
        .offset:         136
        .size:           8
        .value_kind:     global_buffer
      - .offset:         144
        .size:           4
        .value_kind:     hidden_block_count_x
      - .offset:         148
        .size:           4
        .value_kind:     hidden_block_count_y
      - .offset:         152
        .size:           4
        .value_kind:     hidden_block_count_z
      - .offset:         156
        .size:           2
        .value_kind:     hidden_group_size_x
      - .offset:         158
        .size:           2
        .value_kind:     hidden_group_size_y
      - .offset:         160
        .size:           2
        .value_kind:     hidden_group_size_z
      - .offset:         162
        .size:           2
        .value_kind:     hidden_remainder_x
      - .offset:         164
        .size:           2
        .value_kind:     hidden_remainder_y
      - .offset:         166
        .size:           2
        .value_kind:     hidden_remainder_z
      - .offset:         184
        .size:           8
        .value_kind:     hidden_global_offset_x
      - .offset:         192
        .size:           8
        .value_kind:     hidden_global_offset_y
      - .offset:         200
        .size:           8
        .value_kind:     hidden_global_offset_z
      - .offset:         208
        .size:           2
        .value_kind:     hidden_grid_dims
    .group_segment_fixed_size: 17472
    .kernarg_segment_align: 8
    .kernarg_segment_size: 400
    .language:       OpenCL C
    .language_version:
      - 2
      - 0
    .max_flat_workgroup_size: 256
    .name:           _Z39paged_attention_ll4mi_QKV_mfma16_kernelI14__hip_bfloat16hLN4vllm18Fp8KVCacheDataTypeE1ES0_Li32ELi64ELi256ELb1ELi15EL8MFMAType1EEvPKT_PKT0_S9_ifPKiSB_SB_iPKfiiiPfSE_PS4_PT2_iSD_SD_
    .private_segment_fixed_size: 0
    .sgpr_count:     44
    .sgpr_spill_count: 0
    .symbol:         _Z39paged_attention_ll4mi_QKV_mfma16_kernelI14__hip_bfloat16hLN4vllm18Fp8KVCacheDataTypeE1ES0_Li32ELi64ELi256ELb1ELi15EL8MFMAType1EEvPKT_PKT0_S9_ifPKiSB_SB_iPKfiiiPfSE_PS4_PT2_iSD_SD_.kd
    .uniform_work_group_size: 1
    .uses_dynamic_stack: false
    .vgpr_count:     124
    .vgpr_spill_count: 0
    .wavefront_size: 32
    .workgroup_processor_mode: 1
  - .args:
      - .actual_access:  read_only
        .address_space:  global
        .offset:         0
        .size:           8
        .value_kind:     global_buffer
      - .actual_access:  read_only
        .address_space:  global
        .offset:         8
        .size:           8
        .value_kind:     global_buffer
      - .actual_access:  read_only
        .address_space:  global
        .offset:         16
        .size:           8
        .value_kind:     global_buffer
      - .offset:         24
        .size:           4
        .value_kind:     by_value
      - .offset:         28
        .size:           4
        .value_kind:     by_value
      - .actual_access:  read_only
        .address_space:  global
        .offset:         32
        .size:           8
        .value_kind:     global_buffer
      - .actual_access:  read_only
        .address_space:  global
        .offset:         40
        .size:           8
        .value_kind:     global_buffer
      - .actual_access:  read_only
        .address_space:  global
        .offset:         48
        .size:           8
        .value_kind:     global_buffer
      - .offset:         56
        .size:           4
        .value_kind:     by_value
      - .actual_access:  read_only
        .address_space:  global
        .offset:         64
        .size:           8
        .value_kind:     global_buffer
      - .offset:         72
        .size:           4
        .value_kind:     by_value
      - .offset:         76
        .size:           4
        .value_kind:     by_value
      - .offset:         80
        .size:           4
        .value_kind:     by_value
      - .actual_access:  write_only
        .address_space:  global
        .offset:         88
        .size:           8
        .value_kind:     global_buffer
      - .actual_access:  write_only
        .address_space:  global
        .offset:         96
        .size:           8
        .value_kind:     global_buffer
      - .actual_access:  write_only
        .address_space:  global
        .offset:         104
        .size:           8
        .value_kind:     global_buffer
      - .actual_access:  read_only
        .address_space:  global
        .offset:         112
        .size:           8
        .value_kind:     global_buffer
      - .offset:         120
        .size:           4
        .value_kind:     by_value
      - .address_space:  global
        .offset:         128
        .size:           8
        .value_kind:     global_buffer
      - .address_space:  global
        .offset:         136
        .size:           8
        .value_kind:     global_buffer
      - .offset:         144
        .size:           4
        .value_kind:     hidden_block_count_x
      - .offset:         148
        .size:           4
        .value_kind:     hidden_block_count_y
      - .offset:         152
        .size:           4
        .value_kind:     hidden_block_count_z
      - .offset:         156
        .size:           2
        .value_kind:     hidden_group_size_x
      - .offset:         158
        .size:           2
        .value_kind:     hidden_group_size_y
      - .offset:         160
        .size:           2
        .value_kind:     hidden_group_size_z
      - .offset:         162
        .size:           2
        .value_kind:     hidden_remainder_x
      - .offset:         164
        .size:           2
        .value_kind:     hidden_remainder_y
      - .offset:         166
        .size:           2
        .value_kind:     hidden_remainder_z
      - .offset:         184
        .size:           8
        .value_kind:     hidden_global_offset_x
      - .offset:         192
        .size:           8
        .value_kind:     hidden_global_offset_y
      - .offset:         200
        .size:           8
        .value_kind:     hidden_global_offset_z
      - .offset:         208
        .size:           2
        .value_kind:     hidden_grid_dims
    .group_segment_fixed_size: 17472
    .kernarg_segment_align: 8
    .kernarg_segment_size: 400
    .language:       OpenCL C
    .language_version:
      - 2
      - 0
    .max_flat_workgroup_size: 256
    .name:           _Z39paged_attention_ll4mi_QKV_mfma16_kernelI14__hip_bfloat16hLN4vllm18Fp8KVCacheDataTypeE1ES0_Li32ELi64ELi256ELb1ELi16EL8MFMAType1EEvPKT_PKT0_S9_ifPKiSB_SB_iPKfiiiPfSE_PS4_PT2_iSD_SD_
    .private_segment_fixed_size: 0
    .sgpr_count:     42
    .sgpr_spill_count: 0
    .symbol:         _Z39paged_attention_ll4mi_QKV_mfma16_kernelI14__hip_bfloat16hLN4vllm18Fp8KVCacheDataTypeE1ES0_Li32ELi64ELi256ELb1ELi16EL8MFMAType1EEvPKT_PKT0_S9_ifPKiSB_SB_iPKfiiiPfSE_PS4_PT2_iSD_SD_.kd
    .uniform_work_group_size: 1
    .uses_dynamic_stack: false
    .vgpr_count:     125
    .vgpr_spill_count: 0
    .wavefront_size: 32
    .workgroup_processor_mode: 1
  - .args:
      - .actual_access:  read_only
        .address_space:  global
        .offset:         0
        .size:           8
        .value_kind:     global_buffer
      - .actual_access:  read_only
        .address_space:  global
        .offset:         8
        .size:           8
        .value_kind:     global_buffer
      - .actual_access:  read_only
        .address_space:  global
        .offset:         16
        .size:           8
        .value_kind:     global_buffer
      - .offset:         24
        .size:           4
        .value_kind:     by_value
      - .offset:         28
        .size:           4
        .value_kind:     by_value
      - .actual_access:  read_only
        .address_space:  global
        .offset:         32
        .size:           8
        .value_kind:     global_buffer
      - .actual_access:  read_only
        .address_space:  global
        .offset:         40
        .size:           8
        .value_kind:     global_buffer
      - .actual_access:  read_only
        .address_space:  global
        .offset:         48
        .size:           8
        .value_kind:     global_buffer
      - .offset:         56
        .size:           4
        .value_kind:     by_value
      - .actual_access:  read_only
        .address_space:  global
        .offset:         64
        .size:           8
        .value_kind:     global_buffer
      - .offset:         72
        .size:           4
        .value_kind:     by_value
      - .offset:         76
        .size:           4
        .value_kind:     by_value
      - .offset:         80
        .size:           4
        .value_kind:     by_value
      - .actual_access:  write_only
        .address_space:  global
        .offset:         88
        .size:           8
        .value_kind:     global_buffer
      - .actual_access:  write_only
        .address_space:  global
        .offset:         96
        .size:           8
        .value_kind:     global_buffer
      - .actual_access:  write_only
        .address_space:  global
        .offset:         104
        .size:           8
        .value_kind:     global_buffer
      - .actual_access:  read_only
        .address_space:  global
        .offset:         112
        .size:           8
        .value_kind:     global_buffer
      - .offset:         120
        .size:           4
        .value_kind:     by_value
      - .address_space:  global
        .offset:         128
        .size:           8
        .value_kind:     global_buffer
      - .address_space:  global
        .offset:         136
        .size:           8
        .value_kind:     global_buffer
      - .offset:         144
        .size:           4
        .value_kind:     hidden_block_count_x
      - .offset:         148
        .size:           4
        .value_kind:     hidden_block_count_y
      - .offset:         152
        .size:           4
        .value_kind:     hidden_block_count_z
      - .offset:         156
        .size:           2
        .value_kind:     hidden_group_size_x
      - .offset:         158
        .size:           2
        .value_kind:     hidden_group_size_y
      - .offset:         160
        .size:           2
        .value_kind:     hidden_group_size_z
      - .offset:         162
        .size:           2
        .value_kind:     hidden_remainder_x
      - .offset:         164
        .size:           2
        .value_kind:     hidden_remainder_y
      - .offset:         166
        .size:           2
        .value_kind:     hidden_remainder_z
      - .offset:         184
        .size:           8
        .value_kind:     hidden_global_offset_x
      - .offset:         192
        .size:           8
        .value_kind:     hidden_global_offset_y
      - .offset:         200
        .size:           8
        .value_kind:     hidden_global_offset_z
      - .offset:         208
        .size:           2
        .value_kind:     hidden_grid_dims
    .group_segment_fixed_size: 17472
    .kernarg_segment_align: 8
    .kernarg_segment_size: 400
    .language:       OpenCL C
    .language_version:
      - 2
      - 0
    .max_flat_workgroup_size: 256
    .name:           _Z39paged_attention_ll4mi_QKV_mfma16_kernelI14__hip_bfloat16hLN4vllm18Fp8KVCacheDataTypeE1ES0_Li32ELi64ELi256ELb1ELi1EL8MFMAType1EEvPKT_PKT0_S9_ifPKiSB_SB_iPKfiiiPfSE_PS4_PT2_iSD_SD_
    .private_segment_fixed_size: 0
    .sgpr_count:     52
    .sgpr_spill_count: 0
    .symbol:         _Z39paged_attention_ll4mi_QKV_mfma16_kernelI14__hip_bfloat16hLN4vllm18Fp8KVCacheDataTypeE1ES0_Li32ELi64ELi256ELb1ELi1EL8MFMAType1EEvPKT_PKT0_S9_ifPKiSB_SB_iPKfiiiPfSE_PS4_PT2_iSD_SD_.kd
    .uniform_work_group_size: 1
    .uses_dynamic_stack: false
    .vgpr_count:     131
    .vgpr_spill_count: 0
    .wavefront_size: 32
    .workgroup_processor_mode: 1
  - .args:
      - .actual_access:  read_only
        .address_space:  global
        .offset:         0
        .size:           8
        .value_kind:     global_buffer
      - .actual_access:  read_only
        .address_space:  global
        .offset:         8
        .size:           8
        .value_kind:     global_buffer
      - .actual_access:  read_only
        .address_space:  global
        .offset:         16
        .size:           8
        .value_kind:     global_buffer
      - .offset:         24
        .size:           4
        .value_kind:     by_value
      - .offset:         28
        .size:           4
        .value_kind:     by_value
      - .actual_access:  read_only
        .address_space:  global
        .offset:         32
        .size:           8
        .value_kind:     global_buffer
      - .actual_access:  read_only
        .address_space:  global
        .offset:         40
        .size:           8
        .value_kind:     global_buffer
      - .actual_access:  read_only
        .address_space:  global
        .offset:         48
        .size:           8
        .value_kind:     global_buffer
      - .offset:         56
        .size:           4
        .value_kind:     by_value
      - .actual_access:  read_only
        .address_space:  global
        .offset:         64
        .size:           8
        .value_kind:     global_buffer
      - .offset:         72
        .size:           4
        .value_kind:     by_value
      - .offset:         76
        .size:           4
        .value_kind:     by_value
      - .offset:         80
        .size:           4
        .value_kind:     by_value
      - .actual_access:  write_only
        .address_space:  global
        .offset:         88
        .size:           8
        .value_kind:     global_buffer
      - .actual_access:  write_only
        .address_space:  global
        .offset:         96
        .size:           8
        .value_kind:     global_buffer
      - .actual_access:  write_only
        .address_space:  global
        .offset:         104
        .size:           8
        .value_kind:     global_buffer
      - .actual_access:  read_only
        .address_space:  global
        .offset:         112
        .size:           8
        .value_kind:     global_buffer
      - .offset:         120
        .size:           4
        .value_kind:     by_value
      - .address_space:  global
        .offset:         128
        .size:           8
        .value_kind:     global_buffer
      - .address_space:  global
        .offset:         136
        .size:           8
        .value_kind:     global_buffer
      - .offset:         144
        .size:           4
        .value_kind:     hidden_block_count_x
      - .offset:         148
        .size:           4
        .value_kind:     hidden_block_count_y
      - .offset:         152
        .size:           4
        .value_kind:     hidden_block_count_z
      - .offset:         156
        .size:           2
        .value_kind:     hidden_group_size_x
      - .offset:         158
        .size:           2
        .value_kind:     hidden_group_size_y
      - .offset:         160
        .size:           2
        .value_kind:     hidden_group_size_z
      - .offset:         162
        .size:           2
        .value_kind:     hidden_remainder_x
      - .offset:         164
        .size:           2
        .value_kind:     hidden_remainder_y
      - .offset:         166
        .size:           2
        .value_kind:     hidden_remainder_z
      - .offset:         184
        .size:           8
        .value_kind:     hidden_global_offset_x
      - .offset:         192
        .size:           8
        .value_kind:     hidden_global_offset_y
      - .offset:         200
        .size:           8
        .value_kind:     hidden_global_offset_z
      - .offset:         208
        .size:           2
        .value_kind:     hidden_grid_dims
    .group_segment_fixed_size: 17472
    .kernarg_segment_align: 8
    .kernarg_segment_size: 400
    .language:       OpenCL C
    .language_version:
      - 2
      - 0
    .max_flat_workgroup_size: 256
    .name:           _Z39paged_attention_ll4mi_QKV_mfma16_kernelI14__hip_bfloat16hLN4vllm18Fp8KVCacheDataTypeE1ES0_Li32ELi64ELi256ELb1ELi2EL8MFMAType1EEvPKT_PKT0_S9_ifPKiSB_SB_iPKfiiiPfSE_PS4_PT2_iSD_SD_
    .private_segment_fixed_size: 0
    .sgpr_count:     42
    .sgpr_spill_count: 0
    .symbol:         _Z39paged_attention_ll4mi_QKV_mfma16_kernelI14__hip_bfloat16hLN4vllm18Fp8KVCacheDataTypeE1ES0_Li32ELi64ELi256ELb1ELi2EL8MFMAType1EEvPKT_PKT0_S9_ifPKiSB_SB_iPKfiiiPfSE_PS4_PT2_iSD_SD_.kd
    .uniform_work_group_size: 1
    .uses_dynamic_stack: false
    .vgpr_count:     125
    .vgpr_spill_count: 0
    .wavefront_size: 32
    .workgroup_processor_mode: 1
  - .args:
      - .actual_access:  read_only
        .address_space:  global
        .offset:         0
        .size:           8
        .value_kind:     global_buffer
      - .actual_access:  read_only
        .address_space:  global
        .offset:         8
        .size:           8
        .value_kind:     global_buffer
      - .actual_access:  read_only
        .address_space:  global
        .offset:         16
        .size:           8
        .value_kind:     global_buffer
      - .offset:         24
        .size:           4
        .value_kind:     by_value
      - .offset:         28
        .size:           4
        .value_kind:     by_value
      - .actual_access:  read_only
        .address_space:  global
        .offset:         32
        .size:           8
        .value_kind:     global_buffer
      - .actual_access:  read_only
        .address_space:  global
        .offset:         40
        .size:           8
        .value_kind:     global_buffer
      - .actual_access:  read_only
        .address_space:  global
        .offset:         48
        .size:           8
        .value_kind:     global_buffer
      - .offset:         56
        .size:           4
        .value_kind:     by_value
      - .actual_access:  read_only
        .address_space:  global
        .offset:         64
        .size:           8
        .value_kind:     global_buffer
      - .offset:         72
        .size:           4
        .value_kind:     by_value
      - .offset:         76
        .size:           4
        .value_kind:     by_value
      - .offset:         80
        .size:           4
        .value_kind:     by_value
      - .actual_access:  write_only
        .address_space:  global
        .offset:         88
        .size:           8
        .value_kind:     global_buffer
      - .actual_access:  write_only
        .address_space:  global
        .offset:         96
        .size:           8
        .value_kind:     global_buffer
      - .actual_access:  write_only
        .address_space:  global
        .offset:         104
        .size:           8
        .value_kind:     global_buffer
      - .actual_access:  read_only
        .address_space:  global
        .offset:         112
        .size:           8
        .value_kind:     global_buffer
      - .offset:         120
        .size:           4
        .value_kind:     by_value
      - .address_space:  global
        .offset:         128
        .size:           8
        .value_kind:     global_buffer
      - .address_space:  global
        .offset:         136
        .size:           8
        .value_kind:     global_buffer
      - .offset:         144
        .size:           4
        .value_kind:     hidden_block_count_x
      - .offset:         148
        .size:           4
        .value_kind:     hidden_block_count_y
      - .offset:         152
        .size:           4
        .value_kind:     hidden_block_count_z
      - .offset:         156
        .size:           2
        .value_kind:     hidden_group_size_x
      - .offset:         158
        .size:           2
        .value_kind:     hidden_group_size_y
      - .offset:         160
        .size:           2
        .value_kind:     hidden_group_size_z
      - .offset:         162
        .size:           2
        .value_kind:     hidden_remainder_x
      - .offset:         164
        .size:           2
        .value_kind:     hidden_remainder_y
      - .offset:         166
        .size:           2
        .value_kind:     hidden_remainder_z
      - .offset:         184
        .size:           8
        .value_kind:     hidden_global_offset_x
      - .offset:         192
        .size:           8
        .value_kind:     hidden_global_offset_y
      - .offset:         200
        .size:           8
        .value_kind:     hidden_global_offset_z
      - .offset:         208
        .size:           2
        .value_kind:     hidden_grid_dims
    .group_segment_fixed_size: 17472
    .kernarg_segment_align: 8
    .kernarg_segment_size: 400
    .language:       OpenCL C
    .language_version:
      - 2
      - 0
    .max_flat_workgroup_size: 256
    .name:           _Z39paged_attention_ll4mi_QKV_mfma16_kernelI14__hip_bfloat16hLN4vllm18Fp8KVCacheDataTypeE1ES0_Li32ELi64ELi256ELb1ELi3EL8MFMAType1EEvPKT_PKT0_S9_ifPKiSB_SB_iPKfiiiPfSE_PS4_PT2_iSD_SD_
    .private_segment_fixed_size: 0
    .sgpr_count:     44
    .sgpr_spill_count: 0
    .symbol:         _Z39paged_attention_ll4mi_QKV_mfma16_kernelI14__hip_bfloat16hLN4vllm18Fp8KVCacheDataTypeE1ES0_Li32ELi64ELi256ELb1ELi3EL8MFMAType1EEvPKT_PKT0_S9_ifPKiSB_SB_iPKfiiiPfSE_PS4_PT2_iSD_SD_.kd
    .uniform_work_group_size: 1
    .uses_dynamic_stack: false
    .vgpr_count:     124
    .vgpr_spill_count: 0
    .wavefront_size: 32
    .workgroup_processor_mode: 1
  - .args:
      - .actual_access:  read_only
        .address_space:  global
        .offset:         0
        .size:           8
        .value_kind:     global_buffer
      - .actual_access:  read_only
        .address_space:  global
        .offset:         8
        .size:           8
        .value_kind:     global_buffer
      - .actual_access:  read_only
        .address_space:  global
        .offset:         16
        .size:           8
        .value_kind:     global_buffer
      - .offset:         24
        .size:           4
        .value_kind:     by_value
      - .offset:         28
        .size:           4
        .value_kind:     by_value
      - .actual_access:  read_only
        .address_space:  global
        .offset:         32
        .size:           8
        .value_kind:     global_buffer
      - .actual_access:  read_only
        .address_space:  global
        .offset:         40
        .size:           8
        .value_kind:     global_buffer
      - .actual_access:  read_only
        .address_space:  global
        .offset:         48
        .size:           8
        .value_kind:     global_buffer
      - .offset:         56
        .size:           4
        .value_kind:     by_value
      - .actual_access:  read_only
        .address_space:  global
        .offset:         64
        .size:           8
        .value_kind:     global_buffer
      - .offset:         72
        .size:           4
        .value_kind:     by_value
      - .offset:         76
        .size:           4
        .value_kind:     by_value
      - .offset:         80
        .size:           4
        .value_kind:     by_value
      - .actual_access:  write_only
        .address_space:  global
        .offset:         88
        .size:           8
        .value_kind:     global_buffer
      - .actual_access:  write_only
        .address_space:  global
        .offset:         96
        .size:           8
        .value_kind:     global_buffer
      - .actual_access:  write_only
        .address_space:  global
        .offset:         104
        .size:           8
        .value_kind:     global_buffer
      - .actual_access:  read_only
        .address_space:  global
        .offset:         112
        .size:           8
        .value_kind:     global_buffer
      - .offset:         120
        .size:           4
        .value_kind:     by_value
      - .address_space:  global
        .offset:         128
        .size:           8
        .value_kind:     global_buffer
      - .address_space:  global
        .offset:         136
        .size:           8
        .value_kind:     global_buffer
      - .offset:         144
        .size:           4
        .value_kind:     hidden_block_count_x
      - .offset:         148
        .size:           4
        .value_kind:     hidden_block_count_y
      - .offset:         152
        .size:           4
        .value_kind:     hidden_block_count_z
      - .offset:         156
        .size:           2
        .value_kind:     hidden_group_size_x
      - .offset:         158
        .size:           2
        .value_kind:     hidden_group_size_y
      - .offset:         160
        .size:           2
        .value_kind:     hidden_group_size_z
      - .offset:         162
        .size:           2
        .value_kind:     hidden_remainder_x
      - .offset:         164
        .size:           2
        .value_kind:     hidden_remainder_y
      - .offset:         166
        .size:           2
        .value_kind:     hidden_remainder_z
      - .offset:         184
        .size:           8
        .value_kind:     hidden_global_offset_x
      - .offset:         192
        .size:           8
        .value_kind:     hidden_global_offset_y
      - .offset:         200
        .size:           8
        .value_kind:     hidden_global_offset_z
      - .offset:         208
        .size:           2
        .value_kind:     hidden_grid_dims
    .group_segment_fixed_size: 17472
    .kernarg_segment_align: 8
    .kernarg_segment_size: 400
    .language:       OpenCL C
    .language_version:
      - 2
      - 0
    .max_flat_workgroup_size: 256
    .name:           _Z39paged_attention_ll4mi_QKV_mfma16_kernelI14__hip_bfloat16hLN4vllm18Fp8KVCacheDataTypeE1ES0_Li32ELi64ELi256ELb1ELi4EL8MFMAType1EEvPKT_PKT0_S9_ifPKiSB_SB_iPKfiiiPfSE_PS4_PT2_iSD_SD_
    .private_segment_fixed_size: 0
    .sgpr_count:     42
    .sgpr_spill_count: 0
    .symbol:         _Z39paged_attention_ll4mi_QKV_mfma16_kernelI14__hip_bfloat16hLN4vllm18Fp8KVCacheDataTypeE1ES0_Li32ELi64ELi256ELb1ELi4EL8MFMAType1EEvPKT_PKT0_S9_ifPKiSB_SB_iPKfiiiPfSE_PS4_PT2_iSD_SD_.kd
    .uniform_work_group_size: 1
    .uses_dynamic_stack: false
    .vgpr_count:     124
    .vgpr_spill_count: 0
    .wavefront_size: 32
    .workgroup_processor_mode: 1
  - .args:
      - .actual_access:  read_only
        .address_space:  global
        .offset:         0
        .size:           8
        .value_kind:     global_buffer
      - .actual_access:  read_only
        .address_space:  global
        .offset:         8
        .size:           8
        .value_kind:     global_buffer
      - .actual_access:  read_only
        .address_space:  global
        .offset:         16
        .size:           8
        .value_kind:     global_buffer
      - .offset:         24
        .size:           4
        .value_kind:     by_value
      - .offset:         28
        .size:           4
        .value_kind:     by_value
      - .actual_access:  read_only
        .address_space:  global
        .offset:         32
        .size:           8
        .value_kind:     global_buffer
      - .actual_access:  read_only
        .address_space:  global
        .offset:         40
        .size:           8
        .value_kind:     global_buffer
      - .actual_access:  read_only
        .address_space:  global
        .offset:         48
        .size:           8
        .value_kind:     global_buffer
      - .offset:         56
        .size:           4
        .value_kind:     by_value
      - .actual_access:  read_only
        .address_space:  global
        .offset:         64
        .size:           8
        .value_kind:     global_buffer
      - .offset:         72
        .size:           4
        .value_kind:     by_value
      - .offset:         76
        .size:           4
        .value_kind:     by_value
      - .offset:         80
        .size:           4
        .value_kind:     by_value
      - .actual_access:  read_only
        .address_space:  global
        .offset:         88
        .size:           8
        .value_kind:     global_buffer
      - .actual_access:  read_only
        .address_space:  global
        .offset:         96
        .size:           8
        .value_kind:     global_buffer
      - .actual_access:  read_only
        .address_space:  global
        .offset:         104
        .size:           8
        .value_kind:     global_buffer
      - .actual_access:  read_only
        .address_space:  global
        .offset:         112
        .size:           8
        .value_kind:     global_buffer
      - .offset:         120
        .size:           4
        .value_kind:     by_value
      - .address_space:  global
        .offset:         128
        .size:           8
        .value_kind:     global_buffer
      - .address_space:  global
        .offset:         136
        .size:           8
        .value_kind:     global_buffer
      - .offset:         144
        .size:           4
        .value_kind:     hidden_block_count_x
      - .offset:         148
        .size:           4
        .value_kind:     hidden_block_count_y
      - .offset:         152
        .size:           4
        .value_kind:     hidden_block_count_z
      - .offset:         156
        .size:           2
        .value_kind:     hidden_group_size_x
      - .offset:         158
        .size:           2
        .value_kind:     hidden_group_size_y
      - .offset:         160
        .size:           2
        .value_kind:     hidden_group_size_z
      - .offset:         162
        .size:           2
        .value_kind:     hidden_remainder_x
      - .offset:         164
        .size:           2
        .value_kind:     hidden_remainder_y
      - .offset:         166
        .size:           2
        .value_kind:     hidden_remainder_z
      - .offset:         184
        .size:           8
        .value_kind:     hidden_global_offset_x
      - .offset:         192
        .size:           8
        .value_kind:     hidden_global_offset_y
      - .offset:         200
        .size:           8
        .value_kind:     hidden_global_offset_z
      - .offset:         208
        .size:           2
        .value_kind:     hidden_grid_dims
      - .offset:         224
        .size:           8
        .value_kind:     hidden_hostcall_buffer
    .group_segment_fixed_size: 0
    .kernarg_segment_align: 8
    .kernarg_segment_size: 400
    .language:       OpenCL C
    .language_version:
      - 2
      - 0
    .max_flat_workgroup_size: 256
    .name:           _Z38paged_attention_ll4mi_QKV_mfma4_kernelI14__hip_bfloat16hLN4vllm18Fp8KVCacheDataTypeE1ES0_Li32ELi64ELi256ELb0ELi1EEvPKT_PKT0_S8_ifPKiSA_SA_iPKfiiiPfSD_PS3_PT2_iSC_SC_
    .private_segment_fixed_size: 64
    .sgpr_count:     36
    .sgpr_spill_count: 0
    .symbol:         _Z38paged_attention_ll4mi_QKV_mfma4_kernelI14__hip_bfloat16hLN4vllm18Fp8KVCacheDataTypeE1ES0_Li32ELi64ELi256ELb0ELi1EEvPKT_PKT0_S8_ifPKiSA_SA_iPKfiiiPfSD_PS3_PT2_iSC_SC_.kd
    .uniform_work_group_size: 1
    .uses_dynamic_stack: false
    .vgpr_count:     41
    .vgpr_spill_count: 0
    .wavefront_size: 32
    .workgroup_processor_mode: 1
  - .args:
      - .actual_access:  read_only
        .address_space:  global
        .offset:         0
        .size:           8
        .value_kind:     global_buffer
      - .actual_access:  read_only
        .address_space:  global
        .offset:         8
        .size:           8
        .value_kind:     global_buffer
      - .actual_access:  read_only
        .address_space:  global
        .offset:         16
        .size:           8
        .value_kind:     global_buffer
      - .offset:         24
        .size:           4
        .value_kind:     by_value
      - .offset:         28
        .size:           4
        .value_kind:     by_value
      - .actual_access:  read_only
        .address_space:  global
        .offset:         32
        .size:           8
        .value_kind:     global_buffer
      - .actual_access:  read_only
        .address_space:  global
        .offset:         40
        .size:           8
        .value_kind:     global_buffer
      - .actual_access:  read_only
        .address_space:  global
        .offset:         48
        .size:           8
        .value_kind:     global_buffer
      - .offset:         56
        .size:           4
        .value_kind:     by_value
      - .actual_access:  read_only
        .address_space:  global
        .offset:         64
        .size:           8
        .value_kind:     global_buffer
      - .offset:         72
        .size:           4
        .value_kind:     by_value
      - .offset:         76
        .size:           4
        .value_kind:     by_value
      - .offset:         80
        .size:           4
        .value_kind:     by_value
      - .actual_access:  read_only
        .address_space:  global
        .offset:         88
        .size:           8
        .value_kind:     global_buffer
      - .actual_access:  read_only
        .address_space:  global
        .offset:         96
        .size:           8
        .value_kind:     global_buffer
      - .actual_access:  read_only
        .address_space:  global
        .offset:         104
        .size:           8
        .value_kind:     global_buffer
      - .actual_access:  read_only
        .address_space:  global
        .offset:         112
        .size:           8
        .value_kind:     global_buffer
      - .offset:         120
        .size:           4
        .value_kind:     by_value
      - .address_space:  global
        .offset:         128
        .size:           8
        .value_kind:     global_buffer
      - .address_space:  global
        .offset:         136
        .size:           8
        .value_kind:     global_buffer
      - .offset:         144
        .size:           4
        .value_kind:     hidden_block_count_x
      - .offset:         148
        .size:           4
        .value_kind:     hidden_block_count_y
      - .offset:         152
        .size:           4
        .value_kind:     hidden_block_count_z
      - .offset:         156
        .size:           2
        .value_kind:     hidden_group_size_x
      - .offset:         158
        .size:           2
        .value_kind:     hidden_group_size_y
      - .offset:         160
        .size:           2
        .value_kind:     hidden_group_size_z
      - .offset:         162
        .size:           2
        .value_kind:     hidden_remainder_x
      - .offset:         164
        .size:           2
        .value_kind:     hidden_remainder_y
      - .offset:         166
        .size:           2
        .value_kind:     hidden_remainder_z
      - .offset:         184
        .size:           8
        .value_kind:     hidden_global_offset_x
      - .offset:         192
        .size:           8
        .value_kind:     hidden_global_offset_y
      - .offset:         200
        .size:           8
        .value_kind:     hidden_global_offset_z
      - .offset:         208
        .size:           2
        .value_kind:     hidden_grid_dims
      - .offset:         224
        .size:           8
        .value_kind:     hidden_hostcall_buffer
    .group_segment_fixed_size: 0
    .kernarg_segment_align: 8
    .kernarg_segment_size: 400
    .language:       OpenCL C
    .language_version:
      - 2
      - 0
    .max_flat_workgroup_size: 256
    .name:           _Z38paged_attention_ll4mi_QKV_mfma4_kernelI14__hip_bfloat16hLN4vllm18Fp8KVCacheDataTypeE1ES0_Li32ELi64ELi256ELb0ELi2EEvPKT_PKT0_S8_ifPKiSA_SA_iPKfiiiPfSD_PS3_PT2_iSC_SC_
    .private_segment_fixed_size: 64
    .sgpr_count:     36
    .sgpr_spill_count: 0
    .symbol:         _Z38paged_attention_ll4mi_QKV_mfma4_kernelI14__hip_bfloat16hLN4vllm18Fp8KVCacheDataTypeE1ES0_Li32ELi64ELi256ELb0ELi2EEvPKT_PKT0_S8_ifPKiSA_SA_iPKfiiiPfSD_PS3_PT2_iSC_SC_.kd
    .uniform_work_group_size: 1
    .uses_dynamic_stack: false
    .vgpr_count:     41
    .vgpr_spill_count: 0
    .wavefront_size: 32
    .workgroup_processor_mode: 1
  - .args:
      - .actual_access:  read_only
        .address_space:  global
        .offset:         0
        .size:           8
        .value_kind:     global_buffer
      - .actual_access:  read_only
        .address_space:  global
        .offset:         8
        .size:           8
        .value_kind:     global_buffer
      - .actual_access:  read_only
        .address_space:  global
        .offset:         16
        .size:           8
        .value_kind:     global_buffer
      - .offset:         24
        .size:           4
        .value_kind:     by_value
      - .offset:         28
        .size:           4
        .value_kind:     by_value
      - .actual_access:  read_only
        .address_space:  global
        .offset:         32
        .size:           8
        .value_kind:     global_buffer
      - .actual_access:  read_only
        .address_space:  global
        .offset:         40
        .size:           8
        .value_kind:     global_buffer
      - .actual_access:  read_only
        .address_space:  global
        .offset:         48
        .size:           8
        .value_kind:     global_buffer
      - .offset:         56
        .size:           4
        .value_kind:     by_value
      - .actual_access:  read_only
        .address_space:  global
        .offset:         64
        .size:           8
        .value_kind:     global_buffer
      - .offset:         72
        .size:           4
        .value_kind:     by_value
      - .offset:         76
        .size:           4
        .value_kind:     by_value
      - .offset:         80
        .size:           4
        .value_kind:     by_value
      - .actual_access:  read_only
        .address_space:  global
        .offset:         88
        .size:           8
        .value_kind:     global_buffer
      - .actual_access:  read_only
        .address_space:  global
        .offset:         96
        .size:           8
        .value_kind:     global_buffer
      - .actual_access:  read_only
        .address_space:  global
        .offset:         104
        .size:           8
        .value_kind:     global_buffer
      - .actual_access:  read_only
        .address_space:  global
        .offset:         112
        .size:           8
        .value_kind:     global_buffer
      - .offset:         120
        .size:           4
        .value_kind:     by_value
      - .address_space:  global
        .offset:         128
        .size:           8
        .value_kind:     global_buffer
      - .address_space:  global
        .offset:         136
        .size:           8
        .value_kind:     global_buffer
      - .offset:         144
        .size:           4
        .value_kind:     hidden_block_count_x
      - .offset:         148
        .size:           4
        .value_kind:     hidden_block_count_y
      - .offset:         152
        .size:           4
        .value_kind:     hidden_block_count_z
      - .offset:         156
        .size:           2
        .value_kind:     hidden_group_size_x
      - .offset:         158
        .size:           2
        .value_kind:     hidden_group_size_y
      - .offset:         160
        .size:           2
        .value_kind:     hidden_group_size_z
      - .offset:         162
        .size:           2
        .value_kind:     hidden_remainder_x
      - .offset:         164
        .size:           2
        .value_kind:     hidden_remainder_y
      - .offset:         166
        .size:           2
        .value_kind:     hidden_remainder_z
      - .offset:         184
        .size:           8
        .value_kind:     hidden_global_offset_x
      - .offset:         192
        .size:           8
        .value_kind:     hidden_global_offset_y
      - .offset:         200
        .size:           8
        .value_kind:     hidden_global_offset_z
      - .offset:         208
        .size:           2
        .value_kind:     hidden_grid_dims
      - .offset:         224
        .size:           8
        .value_kind:     hidden_hostcall_buffer
    .group_segment_fixed_size: 0
    .kernarg_segment_align: 8
    .kernarg_segment_size: 400
    .language:       OpenCL C
    .language_version:
      - 2
      - 0
    .max_flat_workgroup_size: 256
    .name:           _Z38paged_attention_ll4mi_QKV_mfma4_kernelI14__hip_bfloat16hLN4vllm18Fp8KVCacheDataTypeE1ES0_Li32ELi64ELi256ELb0ELi3EEvPKT_PKT0_S8_ifPKiSA_SA_iPKfiiiPfSD_PS3_PT2_iSC_SC_
    .private_segment_fixed_size: 64
    .sgpr_count:     36
    .sgpr_spill_count: 0
    .symbol:         _Z38paged_attention_ll4mi_QKV_mfma4_kernelI14__hip_bfloat16hLN4vllm18Fp8KVCacheDataTypeE1ES0_Li32ELi64ELi256ELb0ELi3EEvPKT_PKT0_S8_ifPKiSA_SA_iPKfiiiPfSD_PS3_PT2_iSC_SC_.kd
    .uniform_work_group_size: 1
    .uses_dynamic_stack: false
    .vgpr_count:     41
    .vgpr_spill_count: 0
    .wavefront_size: 32
    .workgroup_processor_mode: 1
  - .args:
      - .actual_access:  read_only
        .address_space:  global
        .offset:         0
        .size:           8
        .value_kind:     global_buffer
      - .actual_access:  read_only
        .address_space:  global
        .offset:         8
        .size:           8
        .value_kind:     global_buffer
      - .actual_access:  read_only
        .address_space:  global
        .offset:         16
        .size:           8
        .value_kind:     global_buffer
      - .offset:         24
        .size:           4
        .value_kind:     by_value
      - .offset:         28
        .size:           4
        .value_kind:     by_value
      - .actual_access:  read_only
        .address_space:  global
        .offset:         32
        .size:           8
        .value_kind:     global_buffer
      - .actual_access:  read_only
        .address_space:  global
        .offset:         40
        .size:           8
        .value_kind:     global_buffer
      - .actual_access:  read_only
        .address_space:  global
        .offset:         48
        .size:           8
        .value_kind:     global_buffer
      - .offset:         56
        .size:           4
        .value_kind:     by_value
      - .actual_access:  read_only
        .address_space:  global
        .offset:         64
        .size:           8
        .value_kind:     global_buffer
      - .offset:         72
        .size:           4
        .value_kind:     by_value
      - .offset:         76
        .size:           4
        .value_kind:     by_value
      - .offset:         80
        .size:           4
        .value_kind:     by_value
      - .actual_access:  read_only
        .address_space:  global
        .offset:         88
        .size:           8
        .value_kind:     global_buffer
      - .actual_access:  read_only
        .address_space:  global
        .offset:         96
        .size:           8
        .value_kind:     global_buffer
      - .actual_access:  read_only
        .address_space:  global
        .offset:         104
        .size:           8
        .value_kind:     global_buffer
      - .actual_access:  read_only
        .address_space:  global
        .offset:         112
        .size:           8
        .value_kind:     global_buffer
      - .offset:         120
        .size:           4
        .value_kind:     by_value
      - .address_space:  global
        .offset:         128
        .size:           8
        .value_kind:     global_buffer
      - .address_space:  global
        .offset:         136
        .size:           8
        .value_kind:     global_buffer
      - .offset:         144
        .size:           4
        .value_kind:     hidden_block_count_x
      - .offset:         148
        .size:           4
        .value_kind:     hidden_block_count_y
      - .offset:         152
        .size:           4
        .value_kind:     hidden_block_count_z
      - .offset:         156
        .size:           2
        .value_kind:     hidden_group_size_x
      - .offset:         158
        .size:           2
        .value_kind:     hidden_group_size_y
      - .offset:         160
        .size:           2
        .value_kind:     hidden_group_size_z
      - .offset:         162
        .size:           2
        .value_kind:     hidden_remainder_x
      - .offset:         164
        .size:           2
        .value_kind:     hidden_remainder_y
      - .offset:         166
        .size:           2
        .value_kind:     hidden_remainder_z
      - .offset:         184
        .size:           8
        .value_kind:     hidden_global_offset_x
      - .offset:         192
        .size:           8
        .value_kind:     hidden_global_offset_y
      - .offset:         200
        .size:           8
        .value_kind:     hidden_global_offset_z
      - .offset:         208
        .size:           2
        .value_kind:     hidden_grid_dims
      - .offset:         224
        .size:           8
        .value_kind:     hidden_hostcall_buffer
    .group_segment_fixed_size: 0
    .kernarg_segment_align: 8
    .kernarg_segment_size: 400
    .language:       OpenCL C
    .language_version:
      - 2
      - 0
    .max_flat_workgroup_size: 256
    .name:           _Z38paged_attention_ll4mi_QKV_mfma4_kernelI14__hip_bfloat16hLN4vllm18Fp8KVCacheDataTypeE1ES0_Li32ELi64ELi256ELb0ELi4EEvPKT_PKT0_S8_ifPKiSA_SA_iPKfiiiPfSD_PS3_PT2_iSC_SC_
    .private_segment_fixed_size: 64
    .sgpr_count:     36
    .sgpr_spill_count: 0
    .symbol:         _Z38paged_attention_ll4mi_QKV_mfma4_kernelI14__hip_bfloat16hLN4vllm18Fp8KVCacheDataTypeE1ES0_Li32ELi64ELi256ELb0ELi4EEvPKT_PKT0_S8_ifPKiSA_SA_iPKfiiiPfSD_PS3_PT2_iSC_SC_.kd
    .uniform_work_group_size: 1
    .uses_dynamic_stack: false
    .vgpr_count:     41
    .vgpr_spill_count: 0
    .wavefront_size: 32
    .workgroup_processor_mode: 1
  - .args:
      - .actual_access:  read_only
        .address_space:  global
        .offset:         0
        .size:           8
        .value_kind:     global_buffer
      - .actual_access:  read_only
        .address_space:  global
        .offset:         8
        .size:           8
        .value_kind:     global_buffer
      - .actual_access:  read_only
        .address_space:  global
        .offset:         16
        .size:           8
        .value_kind:     global_buffer
      - .offset:         24
        .size:           4
        .value_kind:     by_value
      - .offset:         28
        .size:           4
        .value_kind:     by_value
      - .actual_access:  read_only
        .address_space:  global
        .offset:         32
        .size:           8
        .value_kind:     global_buffer
      - .actual_access:  read_only
        .address_space:  global
        .offset:         40
        .size:           8
        .value_kind:     global_buffer
      - .actual_access:  read_only
        .address_space:  global
        .offset:         48
        .size:           8
        .value_kind:     global_buffer
      - .offset:         56
        .size:           4
        .value_kind:     by_value
      - .actual_access:  read_only
        .address_space:  global
        .offset:         64
        .size:           8
        .value_kind:     global_buffer
      - .offset:         72
        .size:           4
        .value_kind:     by_value
      - .offset:         76
        .size:           4
        .value_kind:     by_value
      - .offset:         80
        .size:           4
        .value_kind:     by_value
      - .actual_access:  write_only
        .address_space:  global
        .offset:         88
        .size:           8
        .value_kind:     global_buffer
      - .actual_access:  write_only
        .address_space:  global
        .offset:         96
        .size:           8
        .value_kind:     global_buffer
      - .actual_access:  write_only
        .address_space:  global
        .offset:         104
        .size:           8
        .value_kind:     global_buffer
      - .actual_access:  read_only
        .address_space:  global
        .offset:         112
        .size:           8
        .value_kind:     global_buffer
      - .offset:         120
        .size:           4
        .value_kind:     by_value
      - .address_space:  global
        .offset:         128
        .size:           8
        .value_kind:     global_buffer
      - .address_space:  global
        .offset:         136
        .size:           8
        .value_kind:     global_buffer
      - .offset:         144
        .size:           4
        .value_kind:     hidden_block_count_x
      - .offset:         148
        .size:           4
        .value_kind:     hidden_block_count_y
      - .offset:         152
        .size:           4
        .value_kind:     hidden_block_count_z
      - .offset:         156
        .size:           2
        .value_kind:     hidden_group_size_x
      - .offset:         158
        .size:           2
        .value_kind:     hidden_group_size_y
      - .offset:         160
        .size:           2
        .value_kind:     hidden_group_size_z
      - .offset:         162
        .size:           2
        .value_kind:     hidden_remainder_x
      - .offset:         164
        .size:           2
        .value_kind:     hidden_remainder_y
      - .offset:         166
        .size:           2
        .value_kind:     hidden_remainder_z
      - .offset:         184
        .size:           8
        .value_kind:     hidden_global_offset_x
      - .offset:         192
        .size:           8
        .value_kind:     hidden_global_offset_y
      - .offset:         200
        .size:           8
        .value_kind:     hidden_global_offset_z
      - .offset:         208
        .size:           2
        .value_kind:     hidden_grid_dims
    .group_segment_fixed_size: 17472
    .kernarg_segment_align: 8
    .kernarg_segment_size: 400
    .language:       OpenCL C
    .language_version:
      - 2
      - 0
    .max_flat_workgroup_size: 256
    .name:           _Z39paged_attention_ll4mi_QKV_mfma16_kernelI14__hip_bfloat16hLN4vllm18Fp8KVCacheDataTypeE1ES0_Li32ELi64ELi256ELb0ELi5EL8MFMAType1EEvPKT_PKT0_S9_ifPKiSB_SB_iPKfiiiPfSE_PS4_PT2_iSD_SD_
    .private_segment_fixed_size: 0
    .sgpr_count:     44
    .sgpr_spill_count: 0
    .symbol:         _Z39paged_attention_ll4mi_QKV_mfma16_kernelI14__hip_bfloat16hLN4vllm18Fp8KVCacheDataTypeE1ES0_Li32ELi64ELi256ELb0ELi5EL8MFMAType1EEvPKT_PKT0_S9_ifPKiSB_SB_iPKfiiiPfSE_PS4_PT2_iSD_SD_.kd
    .uniform_work_group_size: 1
    .uses_dynamic_stack: false
    .vgpr_count:     124
    .vgpr_spill_count: 0
    .wavefront_size: 32
    .workgroup_processor_mode: 1
  - .args:
      - .actual_access:  read_only
        .address_space:  global
        .offset:         0
        .size:           8
        .value_kind:     global_buffer
      - .actual_access:  read_only
        .address_space:  global
        .offset:         8
        .size:           8
        .value_kind:     global_buffer
      - .actual_access:  read_only
        .address_space:  global
        .offset:         16
        .size:           8
        .value_kind:     global_buffer
      - .offset:         24
        .size:           4
        .value_kind:     by_value
      - .offset:         28
        .size:           4
        .value_kind:     by_value
      - .actual_access:  read_only
        .address_space:  global
        .offset:         32
        .size:           8
        .value_kind:     global_buffer
      - .actual_access:  read_only
        .address_space:  global
        .offset:         40
        .size:           8
        .value_kind:     global_buffer
      - .actual_access:  read_only
        .address_space:  global
        .offset:         48
        .size:           8
        .value_kind:     global_buffer
      - .offset:         56
        .size:           4
        .value_kind:     by_value
      - .actual_access:  read_only
        .address_space:  global
        .offset:         64
        .size:           8
        .value_kind:     global_buffer
      - .offset:         72
        .size:           4
        .value_kind:     by_value
      - .offset:         76
        .size:           4
        .value_kind:     by_value
      - .offset:         80
        .size:           4
        .value_kind:     by_value
      - .actual_access:  write_only
        .address_space:  global
        .offset:         88
        .size:           8
        .value_kind:     global_buffer
      - .actual_access:  write_only
        .address_space:  global
        .offset:         96
        .size:           8
        .value_kind:     global_buffer
      - .actual_access:  write_only
        .address_space:  global
        .offset:         104
        .size:           8
        .value_kind:     global_buffer
      - .actual_access:  read_only
        .address_space:  global
        .offset:         112
        .size:           8
        .value_kind:     global_buffer
      - .offset:         120
        .size:           4
        .value_kind:     by_value
      - .address_space:  global
        .offset:         128
        .size:           8
        .value_kind:     global_buffer
      - .address_space:  global
        .offset:         136
        .size:           8
        .value_kind:     global_buffer
      - .offset:         144
        .size:           4
        .value_kind:     hidden_block_count_x
      - .offset:         148
        .size:           4
        .value_kind:     hidden_block_count_y
      - .offset:         152
        .size:           4
        .value_kind:     hidden_block_count_z
      - .offset:         156
        .size:           2
        .value_kind:     hidden_group_size_x
      - .offset:         158
        .size:           2
        .value_kind:     hidden_group_size_y
      - .offset:         160
        .size:           2
        .value_kind:     hidden_group_size_z
      - .offset:         162
        .size:           2
        .value_kind:     hidden_remainder_x
      - .offset:         164
        .size:           2
        .value_kind:     hidden_remainder_y
      - .offset:         166
        .size:           2
        .value_kind:     hidden_remainder_z
      - .offset:         184
        .size:           8
        .value_kind:     hidden_global_offset_x
      - .offset:         192
        .size:           8
        .value_kind:     hidden_global_offset_y
      - .offset:         200
        .size:           8
        .value_kind:     hidden_global_offset_z
      - .offset:         208
        .size:           2
        .value_kind:     hidden_grid_dims
    .group_segment_fixed_size: 17472
    .kernarg_segment_align: 8
    .kernarg_segment_size: 400
    .language:       OpenCL C
    .language_version:
      - 2
      - 0
    .max_flat_workgroup_size: 256
    .name:           _Z39paged_attention_ll4mi_QKV_mfma16_kernelI14__hip_bfloat16hLN4vllm18Fp8KVCacheDataTypeE1ES0_Li32ELi64ELi256ELb0ELi6EL8MFMAType1EEvPKT_PKT0_S9_ifPKiSB_SB_iPKfiiiPfSE_PS4_PT2_iSD_SD_
    .private_segment_fixed_size: 0
    .sgpr_count:     42
    .sgpr_spill_count: 0
    .symbol:         _Z39paged_attention_ll4mi_QKV_mfma16_kernelI14__hip_bfloat16hLN4vllm18Fp8KVCacheDataTypeE1ES0_Li32ELi64ELi256ELb0ELi6EL8MFMAType1EEvPKT_PKT0_S9_ifPKiSB_SB_iPKfiiiPfSE_PS4_PT2_iSD_SD_.kd
    .uniform_work_group_size: 1
    .uses_dynamic_stack: false
    .vgpr_count:     124
    .vgpr_spill_count: 0
    .wavefront_size: 32
    .workgroup_processor_mode: 1
  - .args:
      - .actual_access:  read_only
        .address_space:  global
        .offset:         0
        .size:           8
        .value_kind:     global_buffer
      - .actual_access:  read_only
        .address_space:  global
        .offset:         8
        .size:           8
        .value_kind:     global_buffer
      - .actual_access:  read_only
        .address_space:  global
        .offset:         16
        .size:           8
        .value_kind:     global_buffer
      - .offset:         24
        .size:           4
        .value_kind:     by_value
      - .offset:         28
        .size:           4
        .value_kind:     by_value
      - .actual_access:  read_only
        .address_space:  global
        .offset:         32
        .size:           8
        .value_kind:     global_buffer
      - .actual_access:  read_only
        .address_space:  global
        .offset:         40
        .size:           8
        .value_kind:     global_buffer
      - .actual_access:  read_only
        .address_space:  global
        .offset:         48
        .size:           8
        .value_kind:     global_buffer
      - .offset:         56
        .size:           4
        .value_kind:     by_value
      - .actual_access:  read_only
        .address_space:  global
        .offset:         64
        .size:           8
        .value_kind:     global_buffer
      - .offset:         72
        .size:           4
        .value_kind:     by_value
      - .offset:         76
        .size:           4
        .value_kind:     by_value
      - .offset:         80
        .size:           4
        .value_kind:     by_value
      - .actual_access:  write_only
        .address_space:  global
        .offset:         88
        .size:           8
        .value_kind:     global_buffer
      - .actual_access:  write_only
        .address_space:  global
        .offset:         96
        .size:           8
        .value_kind:     global_buffer
      - .actual_access:  write_only
        .address_space:  global
        .offset:         104
        .size:           8
        .value_kind:     global_buffer
      - .actual_access:  read_only
        .address_space:  global
        .offset:         112
        .size:           8
        .value_kind:     global_buffer
      - .offset:         120
        .size:           4
        .value_kind:     by_value
      - .address_space:  global
        .offset:         128
        .size:           8
        .value_kind:     global_buffer
      - .address_space:  global
        .offset:         136
        .size:           8
        .value_kind:     global_buffer
      - .offset:         144
        .size:           4
        .value_kind:     hidden_block_count_x
      - .offset:         148
        .size:           4
        .value_kind:     hidden_block_count_y
      - .offset:         152
        .size:           4
        .value_kind:     hidden_block_count_z
      - .offset:         156
        .size:           2
        .value_kind:     hidden_group_size_x
      - .offset:         158
        .size:           2
        .value_kind:     hidden_group_size_y
      - .offset:         160
        .size:           2
        .value_kind:     hidden_group_size_z
      - .offset:         162
        .size:           2
        .value_kind:     hidden_remainder_x
      - .offset:         164
        .size:           2
        .value_kind:     hidden_remainder_y
      - .offset:         166
        .size:           2
        .value_kind:     hidden_remainder_z
      - .offset:         184
        .size:           8
        .value_kind:     hidden_global_offset_x
      - .offset:         192
        .size:           8
        .value_kind:     hidden_global_offset_y
      - .offset:         200
        .size:           8
        .value_kind:     hidden_global_offset_z
      - .offset:         208
        .size:           2
        .value_kind:     hidden_grid_dims
    .group_segment_fixed_size: 17472
    .kernarg_segment_align: 8
    .kernarg_segment_size: 400
    .language:       OpenCL C
    .language_version:
      - 2
      - 0
    .max_flat_workgroup_size: 256
    .name:           _Z39paged_attention_ll4mi_QKV_mfma16_kernelI14__hip_bfloat16hLN4vllm18Fp8KVCacheDataTypeE1ES0_Li32ELi64ELi256ELb0ELi7EL8MFMAType1EEvPKT_PKT0_S9_ifPKiSB_SB_iPKfiiiPfSE_PS4_PT2_iSD_SD_
    .private_segment_fixed_size: 0
    .sgpr_count:     44
    .sgpr_spill_count: 0
    .symbol:         _Z39paged_attention_ll4mi_QKV_mfma16_kernelI14__hip_bfloat16hLN4vllm18Fp8KVCacheDataTypeE1ES0_Li32ELi64ELi256ELb0ELi7EL8MFMAType1EEvPKT_PKT0_S9_ifPKiSB_SB_iPKfiiiPfSE_PS4_PT2_iSD_SD_.kd
    .uniform_work_group_size: 1
    .uses_dynamic_stack: false
    .vgpr_count:     124
    .vgpr_spill_count: 0
    .wavefront_size: 32
    .workgroup_processor_mode: 1
  - .args:
      - .actual_access:  read_only
        .address_space:  global
        .offset:         0
        .size:           8
        .value_kind:     global_buffer
      - .actual_access:  read_only
        .address_space:  global
        .offset:         8
        .size:           8
        .value_kind:     global_buffer
      - .actual_access:  read_only
        .address_space:  global
        .offset:         16
        .size:           8
        .value_kind:     global_buffer
      - .offset:         24
        .size:           4
        .value_kind:     by_value
      - .offset:         28
        .size:           4
        .value_kind:     by_value
      - .actual_access:  read_only
        .address_space:  global
        .offset:         32
        .size:           8
        .value_kind:     global_buffer
      - .actual_access:  read_only
        .address_space:  global
        .offset:         40
        .size:           8
        .value_kind:     global_buffer
      - .actual_access:  read_only
        .address_space:  global
        .offset:         48
        .size:           8
        .value_kind:     global_buffer
      - .offset:         56
        .size:           4
        .value_kind:     by_value
      - .actual_access:  read_only
        .address_space:  global
        .offset:         64
        .size:           8
        .value_kind:     global_buffer
      - .offset:         72
        .size:           4
        .value_kind:     by_value
      - .offset:         76
        .size:           4
        .value_kind:     by_value
      - .offset:         80
        .size:           4
        .value_kind:     by_value
      - .actual_access:  write_only
        .address_space:  global
        .offset:         88
        .size:           8
        .value_kind:     global_buffer
      - .actual_access:  write_only
        .address_space:  global
        .offset:         96
        .size:           8
        .value_kind:     global_buffer
      - .actual_access:  write_only
        .address_space:  global
        .offset:         104
        .size:           8
        .value_kind:     global_buffer
      - .actual_access:  read_only
        .address_space:  global
        .offset:         112
        .size:           8
        .value_kind:     global_buffer
      - .offset:         120
        .size:           4
        .value_kind:     by_value
      - .address_space:  global
        .offset:         128
        .size:           8
        .value_kind:     global_buffer
      - .address_space:  global
        .offset:         136
        .size:           8
        .value_kind:     global_buffer
      - .offset:         144
        .size:           4
        .value_kind:     hidden_block_count_x
      - .offset:         148
        .size:           4
        .value_kind:     hidden_block_count_y
      - .offset:         152
        .size:           4
        .value_kind:     hidden_block_count_z
      - .offset:         156
        .size:           2
        .value_kind:     hidden_group_size_x
      - .offset:         158
        .size:           2
        .value_kind:     hidden_group_size_y
      - .offset:         160
        .size:           2
        .value_kind:     hidden_group_size_z
      - .offset:         162
        .size:           2
        .value_kind:     hidden_remainder_x
      - .offset:         164
        .size:           2
        .value_kind:     hidden_remainder_y
      - .offset:         166
        .size:           2
        .value_kind:     hidden_remainder_z
      - .offset:         184
        .size:           8
        .value_kind:     hidden_global_offset_x
      - .offset:         192
        .size:           8
        .value_kind:     hidden_global_offset_y
      - .offset:         200
        .size:           8
        .value_kind:     hidden_global_offset_z
      - .offset:         208
        .size:           2
        .value_kind:     hidden_grid_dims
    .group_segment_fixed_size: 17472
    .kernarg_segment_align: 8
    .kernarg_segment_size: 400
    .language:       OpenCL C
    .language_version:
      - 2
      - 0
    .max_flat_workgroup_size: 256
    .name:           _Z39paged_attention_ll4mi_QKV_mfma16_kernelI14__hip_bfloat16hLN4vllm18Fp8KVCacheDataTypeE1ES0_Li32ELi64ELi256ELb0ELi8EL8MFMAType1EEvPKT_PKT0_S9_ifPKiSB_SB_iPKfiiiPfSE_PS4_PT2_iSD_SD_
    .private_segment_fixed_size: 0
    .sgpr_count:     42
    .sgpr_spill_count: 0
    .symbol:         _Z39paged_attention_ll4mi_QKV_mfma16_kernelI14__hip_bfloat16hLN4vllm18Fp8KVCacheDataTypeE1ES0_Li32ELi64ELi256ELb0ELi8EL8MFMAType1EEvPKT_PKT0_S9_ifPKiSB_SB_iPKfiiiPfSE_PS4_PT2_iSD_SD_.kd
    .uniform_work_group_size: 1
    .uses_dynamic_stack: false
    .vgpr_count:     124
    .vgpr_spill_count: 0
    .wavefront_size: 32
    .workgroup_processor_mode: 1
  - .args:
      - .actual_access:  read_only
        .address_space:  global
        .offset:         0
        .size:           8
        .value_kind:     global_buffer
      - .actual_access:  read_only
        .address_space:  global
        .offset:         8
        .size:           8
        .value_kind:     global_buffer
      - .actual_access:  read_only
        .address_space:  global
        .offset:         16
        .size:           8
        .value_kind:     global_buffer
      - .offset:         24
        .size:           4
        .value_kind:     by_value
      - .offset:         28
        .size:           4
        .value_kind:     by_value
      - .actual_access:  read_only
        .address_space:  global
        .offset:         32
        .size:           8
        .value_kind:     global_buffer
      - .actual_access:  read_only
        .address_space:  global
        .offset:         40
        .size:           8
        .value_kind:     global_buffer
      - .actual_access:  read_only
        .address_space:  global
        .offset:         48
        .size:           8
        .value_kind:     global_buffer
      - .offset:         56
        .size:           4
        .value_kind:     by_value
      - .actual_access:  read_only
        .address_space:  global
        .offset:         64
        .size:           8
        .value_kind:     global_buffer
      - .offset:         72
        .size:           4
        .value_kind:     by_value
      - .offset:         76
        .size:           4
        .value_kind:     by_value
      - .offset:         80
        .size:           4
        .value_kind:     by_value
      - .actual_access:  write_only
        .address_space:  global
        .offset:         88
        .size:           8
        .value_kind:     global_buffer
      - .actual_access:  write_only
        .address_space:  global
        .offset:         96
        .size:           8
        .value_kind:     global_buffer
      - .actual_access:  write_only
        .address_space:  global
        .offset:         104
        .size:           8
        .value_kind:     global_buffer
      - .actual_access:  read_only
        .address_space:  global
        .offset:         112
        .size:           8
        .value_kind:     global_buffer
      - .offset:         120
        .size:           4
        .value_kind:     by_value
      - .address_space:  global
        .offset:         128
        .size:           8
        .value_kind:     global_buffer
      - .address_space:  global
        .offset:         136
        .size:           8
        .value_kind:     global_buffer
      - .offset:         144
        .size:           4
        .value_kind:     hidden_block_count_x
      - .offset:         148
        .size:           4
        .value_kind:     hidden_block_count_y
      - .offset:         152
        .size:           4
        .value_kind:     hidden_block_count_z
      - .offset:         156
        .size:           2
        .value_kind:     hidden_group_size_x
      - .offset:         158
        .size:           2
        .value_kind:     hidden_group_size_y
      - .offset:         160
        .size:           2
        .value_kind:     hidden_group_size_z
      - .offset:         162
        .size:           2
        .value_kind:     hidden_remainder_x
      - .offset:         164
        .size:           2
        .value_kind:     hidden_remainder_y
      - .offset:         166
        .size:           2
        .value_kind:     hidden_remainder_z
      - .offset:         184
        .size:           8
        .value_kind:     hidden_global_offset_x
      - .offset:         192
        .size:           8
        .value_kind:     hidden_global_offset_y
      - .offset:         200
        .size:           8
        .value_kind:     hidden_global_offset_z
      - .offset:         208
        .size:           2
        .value_kind:     hidden_grid_dims
    .group_segment_fixed_size: 17472
    .kernarg_segment_align: 8
    .kernarg_segment_size: 400
    .language:       OpenCL C
    .language_version:
      - 2
      - 0
    .max_flat_workgroup_size: 256
    .name:           _Z39paged_attention_ll4mi_QKV_mfma16_kernelI14__hip_bfloat16hLN4vllm18Fp8KVCacheDataTypeE1ES0_Li32ELi64ELi256ELb0ELi9EL8MFMAType1EEvPKT_PKT0_S9_ifPKiSB_SB_iPKfiiiPfSE_PS4_PT2_iSD_SD_
    .private_segment_fixed_size: 0
    .sgpr_count:     44
    .sgpr_spill_count: 0
    .symbol:         _Z39paged_attention_ll4mi_QKV_mfma16_kernelI14__hip_bfloat16hLN4vllm18Fp8KVCacheDataTypeE1ES0_Li32ELi64ELi256ELb0ELi9EL8MFMAType1EEvPKT_PKT0_S9_ifPKiSB_SB_iPKfiiiPfSE_PS4_PT2_iSD_SD_.kd
    .uniform_work_group_size: 1
    .uses_dynamic_stack: false
    .vgpr_count:     124
    .vgpr_spill_count: 0
    .wavefront_size: 32
    .workgroup_processor_mode: 1
  - .args:
      - .actual_access:  read_only
        .address_space:  global
        .offset:         0
        .size:           8
        .value_kind:     global_buffer
      - .actual_access:  read_only
        .address_space:  global
        .offset:         8
        .size:           8
        .value_kind:     global_buffer
      - .actual_access:  read_only
        .address_space:  global
        .offset:         16
        .size:           8
        .value_kind:     global_buffer
      - .offset:         24
        .size:           4
        .value_kind:     by_value
      - .offset:         28
        .size:           4
        .value_kind:     by_value
      - .actual_access:  read_only
        .address_space:  global
        .offset:         32
        .size:           8
        .value_kind:     global_buffer
      - .actual_access:  read_only
        .address_space:  global
        .offset:         40
        .size:           8
        .value_kind:     global_buffer
      - .actual_access:  read_only
        .address_space:  global
        .offset:         48
        .size:           8
        .value_kind:     global_buffer
      - .offset:         56
        .size:           4
        .value_kind:     by_value
      - .actual_access:  read_only
        .address_space:  global
        .offset:         64
        .size:           8
        .value_kind:     global_buffer
      - .offset:         72
        .size:           4
        .value_kind:     by_value
      - .offset:         76
        .size:           4
        .value_kind:     by_value
      - .offset:         80
        .size:           4
        .value_kind:     by_value
      - .actual_access:  write_only
        .address_space:  global
        .offset:         88
        .size:           8
        .value_kind:     global_buffer
      - .actual_access:  write_only
        .address_space:  global
        .offset:         96
        .size:           8
        .value_kind:     global_buffer
      - .actual_access:  write_only
        .address_space:  global
        .offset:         104
        .size:           8
        .value_kind:     global_buffer
      - .actual_access:  read_only
        .address_space:  global
        .offset:         112
        .size:           8
        .value_kind:     global_buffer
      - .offset:         120
        .size:           4
        .value_kind:     by_value
      - .address_space:  global
        .offset:         128
        .size:           8
        .value_kind:     global_buffer
      - .address_space:  global
        .offset:         136
        .size:           8
        .value_kind:     global_buffer
      - .offset:         144
        .size:           4
        .value_kind:     hidden_block_count_x
      - .offset:         148
        .size:           4
        .value_kind:     hidden_block_count_y
      - .offset:         152
        .size:           4
        .value_kind:     hidden_block_count_z
      - .offset:         156
        .size:           2
        .value_kind:     hidden_group_size_x
      - .offset:         158
        .size:           2
        .value_kind:     hidden_group_size_y
      - .offset:         160
        .size:           2
        .value_kind:     hidden_group_size_z
      - .offset:         162
        .size:           2
        .value_kind:     hidden_remainder_x
      - .offset:         164
        .size:           2
        .value_kind:     hidden_remainder_y
      - .offset:         166
        .size:           2
        .value_kind:     hidden_remainder_z
      - .offset:         184
        .size:           8
        .value_kind:     hidden_global_offset_x
      - .offset:         192
        .size:           8
        .value_kind:     hidden_global_offset_y
      - .offset:         200
        .size:           8
        .value_kind:     hidden_global_offset_z
      - .offset:         208
        .size:           2
        .value_kind:     hidden_grid_dims
    .group_segment_fixed_size: 17472
    .kernarg_segment_align: 8
    .kernarg_segment_size: 400
    .language:       OpenCL C
    .language_version:
      - 2
      - 0
    .max_flat_workgroup_size: 256
    .name:           _Z39paged_attention_ll4mi_QKV_mfma16_kernelI14__hip_bfloat16hLN4vllm18Fp8KVCacheDataTypeE1ES0_Li32ELi64ELi256ELb0ELi10EL8MFMAType1EEvPKT_PKT0_S9_ifPKiSB_SB_iPKfiiiPfSE_PS4_PT2_iSD_SD_
    .private_segment_fixed_size: 0
    .sgpr_count:     42
    .sgpr_spill_count: 0
    .symbol:         _Z39paged_attention_ll4mi_QKV_mfma16_kernelI14__hip_bfloat16hLN4vllm18Fp8KVCacheDataTypeE1ES0_Li32ELi64ELi256ELb0ELi10EL8MFMAType1EEvPKT_PKT0_S9_ifPKiSB_SB_iPKfiiiPfSE_PS4_PT2_iSD_SD_.kd
    .uniform_work_group_size: 1
    .uses_dynamic_stack: false
    .vgpr_count:     124
    .vgpr_spill_count: 0
    .wavefront_size: 32
    .workgroup_processor_mode: 1
  - .args:
      - .actual_access:  read_only
        .address_space:  global
        .offset:         0
        .size:           8
        .value_kind:     global_buffer
      - .actual_access:  read_only
        .address_space:  global
        .offset:         8
        .size:           8
        .value_kind:     global_buffer
      - .actual_access:  read_only
        .address_space:  global
        .offset:         16
        .size:           8
        .value_kind:     global_buffer
      - .offset:         24
        .size:           4
        .value_kind:     by_value
      - .offset:         28
        .size:           4
        .value_kind:     by_value
      - .actual_access:  read_only
        .address_space:  global
        .offset:         32
        .size:           8
        .value_kind:     global_buffer
      - .actual_access:  read_only
        .address_space:  global
        .offset:         40
        .size:           8
        .value_kind:     global_buffer
      - .actual_access:  read_only
        .address_space:  global
        .offset:         48
        .size:           8
        .value_kind:     global_buffer
      - .offset:         56
        .size:           4
        .value_kind:     by_value
      - .actual_access:  read_only
        .address_space:  global
        .offset:         64
        .size:           8
        .value_kind:     global_buffer
      - .offset:         72
        .size:           4
        .value_kind:     by_value
      - .offset:         76
        .size:           4
        .value_kind:     by_value
      - .offset:         80
        .size:           4
        .value_kind:     by_value
      - .actual_access:  write_only
        .address_space:  global
        .offset:         88
        .size:           8
        .value_kind:     global_buffer
      - .actual_access:  write_only
        .address_space:  global
        .offset:         96
        .size:           8
        .value_kind:     global_buffer
      - .actual_access:  write_only
        .address_space:  global
        .offset:         104
        .size:           8
        .value_kind:     global_buffer
      - .actual_access:  read_only
        .address_space:  global
        .offset:         112
        .size:           8
        .value_kind:     global_buffer
      - .offset:         120
        .size:           4
        .value_kind:     by_value
      - .address_space:  global
        .offset:         128
        .size:           8
        .value_kind:     global_buffer
      - .address_space:  global
        .offset:         136
        .size:           8
        .value_kind:     global_buffer
      - .offset:         144
        .size:           4
        .value_kind:     hidden_block_count_x
      - .offset:         148
        .size:           4
        .value_kind:     hidden_block_count_y
      - .offset:         152
        .size:           4
        .value_kind:     hidden_block_count_z
      - .offset:         156
        .size:           2
        .value_kind:     hidden_group_size_x
      - .offset:         158
        .size:           2
        .value_kind:     hidden_group_size_y
      - .offset:         160
        .size:           2
        .value_kind:     hidden_group_size_z
      - .offset:         162
        .size:           2
        .value_kind:     hidden_remainder_x
      - .offset:         164
        .size:           2
        .value_kind:     hidden_remainder_y
      - .offset:         166
        .size:           2
        .value_kind:     hidden_remainder_z
      - .offset:         184
        .size:           8
        .value_kind:     hidden_global_offset_x
      - .offset:         192
        .size:           8
        .value_kind:     hidden_global_offset_y
      - .offset:         200
        .size:           8
        .value_kind:     hidden_global_offset_z
      - .offset:         208
        .size:           2
        .value_kind:     hidden_grid_dims
    .group_segment_fixed_size: 17472
    .kernarg_segment_align: 8
    .kernarg_segment_size: 400
    .language:       OpenCL C
    .language_version:
      - 2
      - 0
    .max_flat_workgroup_size: 256
    .name:           _Z39paged_attention_ll4mi_QKV_mfma16_kernelI14__hip_bfloat16hLN4vllm18Fp8KVCacheDataTypeE1ES0_Li32ELi64ELi256ELb0ELi11EL8MFMAType1EEvPKT_PKT0_S9_ifPKiSB_SB_iPKfiiiPfSE_PS4_PT2_iSD_SD_
    .private_segment_fixed_size: 0
    .sgpr_count:     44
    .sgpr_spill_count: 0
    .symbol:         _Z39paged_attention_ll4mi_QKV_mfma16_kernelI14__hip_bfloat16hLN4vllm18Fp8KVCacheDataTypeE1ES0_Li32ELi64ELi256ELb0ELi11EL8MFMAType1EEvPKT_PKT0_S9_ifPKiSB_SB_iPKfiiiPfSE_PS4_PT2_iSD_SD_.kd
    .uniform_work_group_size: 1
    .uses_dynamic_stack: false
    .vgpr_count:     124
    .vgpr_spill_count: 0
    .wavefront_size: 32
    .workgroup_processor_mode: 1
  - .args:
      - .actual_access:  read_only
        .address_space:  global
        .offset:         0
        .size:           8
        .value_kind:     global_buffer
      - .actual_access:  read_only
        .address_space:  global
        .offset:         8
        .size:           8
        .value_kind:     global_buffer
      - .actual_access:  read_only
        .address_space:  global
        .offset:         16
        .size:           8
        .value_kind:     global_buffer
      - .offset:         24
        .size:           4
        .value_kind:     by_value
      - .offset:         28
        .size:           4
        .value_kind:     by_value
      - .actual_access:  read_only
        .address_space:  global
        .offset:         32
        .size:           8
        .value_kind:     global_buffer
      - .actual_access:  read_only
        .address_space:  global
        .offset:         40
        .size:           8
        .value_kind:     global_buffer
      - .actual_access:  read_only
        .address_space:  global
        .offset:         48
        .size:           8
        .value_kind:     global_buffer
      - .offset:         56
        .size:           4
        .value_kind:     by_value
      - .actual_access:  read_only
        .address_space:  global
        .offset:         64
        .size:           8
        .value_kind:     global_buffer
      - .offset:         72
        .size:           4
        .value_kind:     by_value
      - .offset:         76
        .size:           4
        .value_kind:     by_value
      - .offset:         80
        .size:           4
        .value_kind:     by_value
      - .actual_access:  write_only
        .address_space:  global
        .offset:         88
        .size:           8
        .value_kind:     global_buffer
      - .actual_access:  write_only
        .address_space:  global
        .offset:         96
        .size:           8
        .value_kind:     global_buffer
      - .actual_access:  write_only
        .address_space:  global
        .offset:         104
        .size:           8
        .value_kind:     global_buffer
      - .actual_access:  read_only
        .address_space:  global
        .offset:         112
        .size:           8
        .value_kind:     global_buffer
      - .offset:         120
        .size:           4
        .value_kind:     by_value
      - .address_space:  global
        .offset:         128
        .size:           8
        .value_kind:     global_buffer
      - .address_space:  global
        .offset:         136
        .size:           8
        .value_kind:     global_buffer
      - .offset:         144
        .size:           4
        .value_kind:     hidden_block_count_x
      - .offset:         148
        .size:           4
        .value_kind:     hidden_block_count_y
      - .offset:         152
        .size:           4
        .value_kind:     hidden_block_count_z
      - .offset:         156
        .size:           2
        .value_kind:     hidden_group_size_x
      - .offset:         158
        .size:           2
        .value_kind:     hidden_group_size_y
      - .offset:         160
        .size:           2
        .value_kind:     hidden_group_size_z
      - .offset:         162
        .size:           2
        .value_kind:     hidden_remainder_x
      - .offset:         164
        .size:           2
        .value_kind:     hidden_remainder_y
      - .offset:         166
        .size:           2
        .value_kind:     hidden_remainder_z
      - .offset:         184
        .size:           8
        .value_kind:     hidden_global_offset_x
      - .offset:         192
        .size:           8
        .value_kind:     hidden_global_offset_y
      - .offset:         200
        .size:           8
        .value_kind:     hidden_global_offset_z
      - .offset:         208
        .size:           2
        .value_kind:     hidden_grid_dims
    .group_segment_fixed_size: 17472
    .kernarg_segment_align: 8
    .kernarg_segment_size: 400
    .language:       OpenCL C
    .language_version:
      - 2
      - 0
    .max_flat_workgroup_size: 256
    .name:           _Z39paged_attention_ll4mi_QKV_mfma16_kernelI14__hip_bfloat16hLN4vllm18Fp8KVCacheDataTypeE1ES0_Li32ELi64ELi256ELb0ELi12EL8MFMAType1EEvPKT_PKT0_S9_ifPKiSB_SB_iPKfiiiPfSE_PS4_PT2_iSD_SD_
    .private_segment_fixed_size: 0
    .sgpr_count:     42
    .sgpr_spill_count: 0
    .symbol:         _Z39paged_attention_ll4mi_QKV_mfma16_kernelI14__hip_bfloat16hLN4vllm18Fp8KVCacheDataTypeE1ES0_Li32ELi64ELi256ELb0ELi12EL8MFMAType1EEvPKT_PKT0_S9_ifPKiSB_SB_iPKfiiiPfSE_PS4_PT2_iSD_SD_.kd
    .uniform_work_group_size: 1
    .uses_dynamic_stack: false
    .vgpr_count:     124
    .vgpr_spill_count: 0
    .wavefront_size: 32
    .workgroup_processor_mode: 1
  - .args:
      - .actual_access:  read_only
        .address_space:  global
        .offset:         0
        .size:           8
        .value_kind:     global_buffer
      - .actual_access:  read_only
        .address_space:  global
        .offset:         8
        .size:           8
        .value_kind:     global_buffer
      - .actual_access:  read_only
        .address_space:  global
        .offset:         16
        .size:           8
        .value_kind:     global_buffer
      - .offset:         24
        .size:           4
        .value_kind:     by_value
      - .offset:         28
        .size:           4
        .value_kind:     by_value
      - .actual_access:  read_only
        .address_space:  global
        .offset:         32
        .size:           8
        .value_kind:     global_buffer
      - .actual_access:  read_only
        .address_space:  global
        .offset:         40
        .size:           8
        .value_kind:     global_buffer
      - .actual_access:  read_only
        .address_space:  global
        .offset:         48
        .size:           8
        .value_kind:     global_buffer
      - .offset:         56
        .size:           4
        .value_kind:     by_value
      - .actual_access:  read_only
        .address_space:  global
        .offset:         64
        .size:           8
        .value_kind:     global_buffer
      - .offset:         72
        .size:           4
        .value_kind:     by_value
      - .offset:         76
        .size:           4
        .value_kind:     by_value
      - .offset:         80
        .size:           4
        .value_kind:     by_value
      - .actual_access:  write_only
        .address_space:  global
        .offset:         88
        .size:           8
        .value_kind:     global_buffer
      - .actual_access:  write_only
        .address_space:  global
        .offset:         96
        .size:           8
        .value_kind:     global_buffer
      - .actual_access:  write_only
        .address_space:  global
        .offset:         104
        .size:           8
        .value_kind:     global_buffer
      - .actual_access:  read_only
        .address_space:  global
        .offset:         112
        .size:           8
        .value_kind:     global_buffer
      - .offset:         120
        .size:           4
        .value_kind:     by_value
      - .address_space:  global
        .offset:         128
        .size:           8
        .value_kind:     global_buffer
      - .address_space:  global
        .offset:         136
        .size:           8
        .value_kind:     global_buffer
      - .offset:         144
        .size:           4
        .value_kind:     hidden_block_count_x
      - .offset:         148
        .size:           4
        .value_kind:     hidden_block_count_y
      - .offset:         152
        .size:           4
        .value_kind:     hidden_block_count_z
      - .offset:         156
        .size:           2
        .value_kind:     hidden_group_size_x
      - .offset:         158
        .size:           2
        .value_kind:     hidden_group_size_y
      - .offset:         160
        .size:           2
        .value_kind:     hidden_group_size_z
      - .offset:         162
        .size:           2
        .value_kind:     hidden_remainder_x
      - .offset:         164
        .size:           2
        .value_kind:     hidden_remainder_y
      - .offset:         166
        .size:           2
        .value_kind:     hidden_remainder_z
      - .offset:         184
        .size:           8
        .value_kind:     hidden_global_offset_x
      - .offset:         192
        .size:           8
        .value_kind:     hidden_global_offset_y
      - .offset:         200
        .size:           8
        .value_kind:     hidden_global_offset_z
      - .offset:         208
        .size:           2
        .value_kind:     hidden_grid_dims
    .group_segment_fixed_size: 17472
    .kernarg_segment_align: 8
    .kernarg_segment_size: 400
    .language:       OpenCL C
    .language_version:
      - 2
      - 0
    .max_flat_workgroup_size: 256
    .name:           _Z39paged_attention_ll4mi_QKV_mfma16_kernelI14__hip_bfloat16hLN4vllm18Fp8KVCacheDataTypeE1ES0_Li32ELi64ELi256ELb0ELi13EL8MFMAType1EEvPKT_PKT0_S9_ifPKiSB_SB_iPKfiiiPfSE_PS4_PT2_iSD_SD_
    .private_segment_fixed_size: 0
    .sgpr_count:     44
    .sgpr_spill_count: 0
    .symbol:         _Z39paged_attention_ll4mi_QKV_mfma16_kernelI14__hip_bfloat16hLN4vllm18Fp8KVCacheDataTypeE1ES0_Li32ELi64ELi256ELb0ELi13EL8MFMAType1EEvPKT_PKT0_S9_ifPKiSB_SB_iPKfiiiPfSE_PS4_PT2_iSD_SD_.kd
    .uniform_work_group_size: 1
    .uses_dynamic_stack: false
    .vgpr_count:     124
    .vgpr_spill_count: 0
    .wavefront_size: 32
    .workgroup_processor_mode: 1
  - .args:
      - .actual_access:  read_only
        .address_space:  global
        .offset:         0
        .size:           8
        .value_kind:     global_buffer
      - .actual_access:  read_only
        .address_space:  global
        .offset:         8
        .size:           8
        .value_kind:     global_buffer
      - .actual_access:  read_only
        .address_space:  global
        .offset:         16
        .size:           8
        .value_kind:     global_buffer
      - .offset:         24
        .size:           4
        .value_kind:     by_value
      - .offset:         28
        .size:           4
        .value_kind:     by_value
      - .actual_access:  read_only
        .address_space:  global
        .offset:         32
        .size:           8
        .value_kind:     global_buffer
      - .actual_access:  read_only
        .address_space:  global
        .offset:         40
        .size:           8
        .value_kind:     global_buffer
      - .actual_access:  read_only
        .address_space:  global
        .offset:         48
        .size:           8
        .value_kind:     global_buffer
      - .offset:         56
        .size:           4
        .value_kind:     by_value
      - .actual_access:  read_only
        .address_space:  global
        .offset:         64
        .size:           8
        .value_kind:     global_buffer
      - .offset:         72
        .size:           4
        .value_kind:     by_value
      - .offset:         76
        .size:           4
        .value_kind:     by_value
      - .offset:         80
        .size:           4
        .value_kind:     by_value
      - .actual_access:  write_only
        .address_space:  global
        .offset:         88
        .size:           8
        .value_kind:     global_buffer
      - .actual_access:  write_only
        .address_space:  global
        .offset:         96
        .size:           8
        .value_kind:     global_buffer
      - .actual_access:  write_only
        .address_space:  global
        .offset:         104
        .size:           8
        .value_kind:     global_buffer
      - .actual_access:  read_only
        .address_space:  global
        .offset:         112
        .size:           8
        .value_kind:     global_buffer
      - .offset:         120
        .size:           4
        .value_kind:     by_value
      - .address_space:  global
        .offset:         128
        .size:           8
        .value_kind:     global_buffer
      - .address_space:  global
        .offset:         136
        .size:           8
        .value_kind:     global_buffer
      - .offset:         144
        .size:           4
        .value_kind:     hidden_block_count_x
      - .offset:         148
        .size:           4
        .value_kind:     hidden_block_count_y
      - .offset:         152
        .size:           4
        .value_kind:     hidden_block_count_z
      - .offset:         156
        .size:           2
        .value_kind:     hidden_group_size_x
      - .offset:         158
        .size:           2
        .value_kind:     hidden_group_size_y
      - .offset:         160
        .size:           2
        .value_kind:     hidden_group_size_z
      - .offset:         162
        .size:           2
        .value_kind:     hidden_remainder_x
      - .offset:         164
        .size:           2
        .value_kind:     hidden_remainder_y
      - .offset:         166
        .size:           2
        .value_kind:     hidden_remainder_z
      - .offset:         184
        .size:           8
        .value_kind:     hidden_global_offset_x
      - .offset:         192
        .size:           8
        .value_kind:     hidden_global_offset_y
      - .offset:         200
        .size:           8
        .value_kind:     hidden_global_offset_z
      - .offset:         208
        .size:           2
        .value_kind:     hidden_grid_dims
    .group_segment_fixed_size: 17472
    .kernarg_segment_align: 8
    .kernarg_segment_size: 400
    .language:       OpenCL C
    .language_version:
      - 2
      - 0
    .max_flat_workgroup_size: 256
    .name:           _Z39paged_attention_ll4mi_QKV_mfma16_kernelI14__hip_bfloat16hLN4vllm18Fp8KVCacheDataTypeE1ES0_Li32ELi64ELi256ELb0ELi14EL8MFMAType1EEvPKT_PKT0_S9_ifPKiSB_SB_iPKfiiiPfSE_PS4_PT2_iSD_SD_
    .private_segment_fixed_size: 0
    .sgpr_count:     42
    .sgpr_spill_count: 0
    .symbol:         _Z39paged_attention_ll4mi_QKV_mfma16_kernelI14__hip_bfloat16hLN4vllm18Fp8KVCacheDataTypeE1ES0_Li32ELi64ELi256ELb0ELi14EL8MFMAType1EEvPKT_PKT0_S9_ifPKiSB_SB_iPKfiiiPfSE_PS4_PT2_iSD_SD_.kd
    .uniform_work_group_size: 1
    .uses_dynamic_stack: false
    .vgpr_count:     124
    .vgpr_spill_count: 0
    .wavefront_size: 32
    .workgroup_processor_mode: 1
  - .args:
      - .actual_access:  read_only
        .address_space:  global
        .offset:         0
        .size:           8
        .value_kind:     global_buffer
      - .actual_access:  read_only
        .address_space:  global
        .offset:         8
        .size:           8
        .value_kind:     global_buffer
      - .actual_access:  read_only
        .address_space:  global
        .offset:         16
        .size:           8
        .value_kind:     global_buffer
      - .offset:         24
        .size:           4
        .value_kind:     by_value
      - .offset:         28
        .size:           4
        .value_kind:     by_value
      - .actual_access:  read_only
        .address_space:  global
        .offset:         32
        .size:           8
        .value_kind:     global_buffer
      - .actual_access:  read_only
        .address_space:  global
        .offset:         40
        .size:           8
        .value_kind:     global_buffer
      - .actual_access:  read_only
        .address_space:  global
        .offset:         48
        .size:           8
        .value_kind:     global_buffer
      - .offset:         56
        .size:           4
        .value_kind:     by_value
      - .actual_access:  read_only
        .address_space:  global
        .offset:         64
        .size:           8
        .value_kind:     global_buffer
      - .offset:         72
        .size:           4
        .value_kind:     by_value
      - .offset:         76
        .size:           4
        .value_kind:     by_value
      - .offset:         80
        .size:           4
        .value_kind:     by_value
      - .actual_access:  write_only
        .address_space:  global
        .offset:         88
        .size:           8
        .value_kind:     global_buffer
      - .actual_access:  write_only
        .address_space:  global
        .offset:         96
        .size:           8
        .value_kind:     global_buffer
      - .actual_access:  write_only
        .address_space:  global
        .offset:         104
        .size:           8
        .value_kind:     global_buffer
      - .actual_access:  read_only
        .address_space:  global
        .offset:         112
        .size:           8
        .value_kind:     global_buffer
      - .offset:         120
        .size:           4
        .value_kind:     by_value
      - .address_space:  global
        .offset:         128
        .size:           8
        .value_kind:     global_buffer
      - .address_space:  global
        .offset:         136
        .size:           8
        .value_kind:     global_buffer
      - .offset:         144
        .size:           4
        .value_kind:     hidden_block_count_x
      - .offset:         148
        .size:           4
        .value_kind:     hidden_block_count_y
      - .offset:         152
        .size:           4
        .value_kind:     hidden_block_count_z
      - .offset:         156
        .size:           2
        .value_kind:     hidden_group_size_x
      - .offset:         158
        .size:           2
        .value_kind:     hidden_group_size_y
      - .offset:         160
        .size:           2
        .value_kind:     hidden_group_size_z
      - .offset:         162
        .size:           2
        .value_kind:     hidden_remainder_x
      - .offset:         164
        .size:           2
        .value_kind:     hidden_remainder_y
      - .offset:         166
        .size:           2
        .value_kind:     hidden_remainder_z
      - .offset:         184
        .size:           8
        .value_kind:     hidden_global_offset_x
      - .offset:         192
        .size:           8
        .value_kind:     hidden_global_offset_y
      - .offset:         200
        .size:           8
        .value_kind:     hidden_global_offset_z
      - .offset:         208
        .size:           2
        .value_kind:     hidden_grid_dims
    .group_segment_fixed_size: 17472
    .kernarg_segment_align: 8
    .kernarg_segment_size: 400
    .language:       OpenCL C
    .language_version:
      - 2
      - 0
    .max_flat_workgroup_size: 256
    .name:           _Z39paged_attention_ll4mi_QKV_mfma16_kernelI14__hip_bfloat16hLN4vllm18Fp8KVCacheDataTypeE1ES0_Li32ELi64ELi256ELb0ELi15EL8MFMAType1EEvPKT_PKT0_S9_ifPKiSB_SB_iPKfiiiPfSE_PS4_PT2_iSD_SD_
    .private_segment_fixed_size: 0
    .sgpr_count:     44
    .sgpr_spill_count: 0
    .symbol:         _Z39paged_attention_ll4mi_QKV_mfma16_kernelI14__hip_bfloat16hLN4vllm18Fp8KVCacheDataTypeE1ES0_Li32ELi64ELi256ELb0ELi15EL8MFMAType1EEvPKT_PKT0_S9_ifPKiSB_SB_iPKfiiiPfSE_PS4_PT2_iSD_SD_.kd
    .uniform_work_group_size: 1
    .uses_dynamic_stack: false
    .vgpr_count:     124
    .vgpr_spill_count: 0
    .wavefront_size: 32
    .workgroup_processor_mode: 1
  - .args:
      - .actual_access:  read_only
        .address_space:  global
        .offset:         0
        .size:           8
        .value_kind:     global_buffer
      - .actual_access:  read_only
        .address_space:  global
        .offset:         8
        .size:           8
        .value_kind:     global_buffer
      - .actual_access:  read_only
        .address_space:  global
        .offset:         16
        .size:           8
        .value_kind:     global_buffer
      - .offset:         24
        .size:           4
        .value_kind:     by_value
      - .offset:         28
        .size:           4
        .value_kind:     by_value
      - .actual_access:  read_only
        .address_space:  global
        .offset:         32
        .size:           8
        .value_kind:     global_buffer
      - .actual_access:  read_only
        .address_space:  global
        .offset:         40
        .size:           8
        .value_kind:     global_buffer
      - .actual_access:  read_only
        .address_space:  global
        .offset:         48
        .size:           8
        .value_kind:     global_buffer
      - .offset:         56
        .size:           4
        .value_kind:     by_value
      - .actual_access:  read_only
        .address_space:  global
        .offset:         64
        .size:           8
        .value_kind:     global_buffer
      - .offset:         72
        .size:           4
        .value_kind:     by_value
      - .offset:         76
        .size:           4
        .value_kind:     by_value
      - .offset:         80
        .size:           4
        .value_kind:     by_value
      - .actual_access:  write_only
        .address_space:  global
        .offset:         88
        .size:           8
        .value_kind:     global_buffer
      - .actual_access:  write_only
        .address_space:  global
        .offset:         96
        .size:           8
        .value_kind:     global_buffer
      - .actual_access:  write_only
        .address_space:  global
        .offset:         104
        .size:           8
        .value_kind:     global_buffer
      - .actual_access:  read_only
        .address_space:  global
        .offset:         112
        .size:           8
        .value_kind:     global_buffer
      - .offset:         120
        .size:           4
        .value_kind:     by_value
      - .address_space:  global
        .offset:         128
        .size:           8
        .value_kind:     global_buffer
      - .address_space:  global
        .offset:         136
        .size:           8
        .value_kind:     global_buffer
      - .offset:         144
        .size:           4
        .value_kind:     hidden_block_count_x
      - .offset:         148
        .size:           4
        .value_kind:     hidden_block_count_y
      - .offset:         152
        .size:           4
        .value_kind:     hidden_block_count_z
      - .offset:         156
        .size:           2
        .value_kind:     hidden_group_size_x
      - .offset:         158
        .size:           2
        .value_kind:     hidden_group_size_y
      - .offset:         160
        .size:           2
        .value_kind:     hidden_group_size_z
      - .offset:         162
        .size:           2
        .value_kind:     hidden_remainder_x
      - .offset:         164
        .size:           2
        .value_kind:     hidden_remainder_y
      - .offset:         166
        .size:           2
        .value_kind:     hidden_remainder_z
      - .offset:         184
        .size:           8
        .value_kind:     hidden_global_offset_x
      - .offset:         192
        .size:           8
        .value_kind:     hidden_global_offset_y
      - .offset:         200
        .size:           8
        .value_kind:     hidden_global_offset_z
      - .offset:         208
        .size:           2
        .value_kind:     hidden_grid_dims
    .group_segment_fixed_size: 17472
    .kernarg_segment_align: 8
    .kernarg_segment_size: 400
    .language:       OpenCL C
    .language_version:
      - 2
      - 0
    .max_flat_workgroup_size: 256
    .name:           _Z39paged_attention_ll4mi_QKV_mfma16_kernelI14__hip_bfloat16hLN4vllm18Fp8KVCacheDataTypeE1ES0_Li32ELi64ELi256ELb0ELi16EL8MFMAType1EEvPKT_PKT0_S9_ifPKiSB_SB_iPKfiiiPfSE_PS4_PT2_iSD_SD_
    .private_segment_fixed_size: 0
    .sgpr_count:     42
    .sgpr_spill_count: 0
    .symbol:         _Z39paged_attention_ll4mi_QKV_mfma16_kernelI14__hip_bfloat16hLN4vllm18Fp8KVCacheDataTypeE1ES0_Li32ELi64ELi256ELb0ELi16EL8MFMAType1EEvPKT_PKT0_S9_ifPKiSB_SB_iPKfiiiPfSE_PS4_PT2_iSD_SD_.kd
    .uniform_work_group_size: 1
    .uses_dynamic_stack: false
    .vgpr_count:     125
    .vgpr_spill_count: 0
    .wavefront_size: 32
    .workgroup_processor_mode: 1
  - .args:
      - .actual_access:  read_only
        .address_space:  global
        .offset:         0
        .size:           8
        .value_kind:     global_buffer
      - .actual_access:  read_only
        .address_space:  global
        .offset:         8
        .size:           8
        .value_kind:     global_buffer
      - .actual_access:  read_only
        .address_space:  global
        .offset:         16
        .size:           8
        .value_kind:     global_buffer
      - .offset:         24
        .size:           4
        .value_kind:     by_value
      - .offset:         28
        .size:           4
        .value_kind:     by_value
      - .actual_access:  read_only
        .address_space:  global
        .offset:         32
        .size:           8
        .value_kind:     global_buffer
      - .actual_access:  read_only
        .address_space:  global
        .offset:         40
        .size:           8
        .value_kind:     global_buffer
      - .actual_access:  read_only
        .address_space:  global
        .offset:         48
        .size:           8
        .value_kind:     global_buffer
      - .offset:         56
        .size:           4
        .value_kind:     by_value
      - .actual_access:  read_only
        .address_space:  global
        .offset:         64
        .size:           8
        .value_kind:     global_buffer
      - .offset:         72
        .size:           4
        .value_kind:     by_value
      - .offset:         76
        .size:           4
        .value_kind:     by_value
      - .offset:         80
        .size:           4
        .value_kind:     by_value
      - .actual_access:  write_only
        .address_space:  global
        .offset:         88
        .size:           8
        .value_kind:     global_buffer
      - .actual_access:  write_only
        .address_space:  global
        .offset:         96
        .size:           8
        .value_kind:     global_buffer
      - .actual_access:  write_only
        .address_space:  global
        .offset:         104
        .size:           8
        .value_kind:     global_buffer
      - .actual_access:  read_only
        .address_space:  global
        .offset:         112
        .size:           8
        .value_kind:     global_buffer
      - .offset:         120
        .size:           4
        .value_kind:     by_value
      - .address_space:  global
        .offset:         128
        .size:           8
        .value_kind:     global_buffer
      - .address_space:  global
        .offset:         136
        .size:           8
        .value_kind:     global_buffer
      - .offset:         144
        .size:           4
        .value_kind:     hidden_block_count_x
      - .offset:         148
        .size:           4
        .value_kind:     hidden_block_count_y
      - .offset:         152
        .size:           4
        .value_kind:     hidden_block_count_z
      - .offset:         156
        .size:           2
        .value_kind:     hidden_group_size_x
      - .offset:         158
        .size:           2
        .value_kind:     hidden_group_size_y
      - .offset:         160
        .size:           2
        .value_kind:     hidden_group_size_z
      - .offset:         162
        .size:           2
        .value_kind:     hidden_remainder_x
      - .offset:         164
        .size:           2
        .value_kind:     hidden_remainder_y
      - .offset:         166
        .size:           2
        .value_kind:     hidden_remainder_z
      - .offset:         184
        .size:           8
        .value_kind:     hidden_global_offset_x
      - .offset:         192
        .size:           8
        .value_kind:     hidden_global_offset_y
      - .offset:         200
        .size:           8
        .value_kind:     hidden_global_offset_z
      - .offset:         208
        .size:           2
        .value_kind:     hidden_grid_dims
    .group_segment_fixed_size: 17472
    .kernarg_segment_align: 8
    .kernarg_segment_size: 400
    .language:       OpenCL C
    .language_version:
      - 2
      - 0
    .max_flat_workgroup_size: 256
    .name:           _Z39paged_attention_ll4mi_QKV_mfma16_kernelI14__hip_bfloat16hLN4vllm18Fp8KVCacheDataTypeE1ES0_Li32ELi64ELi256ELb0ELi1EL8MFMAType1EEvPKT_PKT0_S9_ifPKiSB_SB_iPKfiiiPfSE_PS4_PT2_iSD_SD_
    .private_segment_fixed_size: 0
    .sgpr_count:     52
    .sgpr_spill_count: 0
    .symbol:         _Z39paged_attention_ll4mi_QKV_mfma16_kernelI14__hip_bfloat16hLN4vllm18Fp8KVCacheDataTypeE1ES0_Li32ELi64ELi256ELb0ELi1EL8MFMAType1EEvPKT_PKT0_S9_ifPKiSB_SB_iPKfiiiPfSE_PS4_PT2_iSD_SD_.kd
    .uniform_work_group_size: 1
    .uses_dynamic_stack: false
    .vgpr_count:     131
    .vgpr_spill_count: 0
    .wavefront_size: 32
    .workgroup_processor_mode: 1
  - .args:
      - .actual_access:  read_only
        .address_space:  global
        .offset:         0
        .size:           8
        .value_kind:     global_buffer
      - .actual_access:  read_only
        .address_space:  global
        .offset:         8
        .size:           8
        .value_kind:     global_buffer
      - .actual_access:  read_only
        .address_space:  global
        .offset:         16
        .size:           8
        .value_kind:     global_buffer
      - .offset:         24
        .size:           4
        .value_kind:     by_value
      - .offset:         28
        .size:           4
        .value_kind:     by_value
      - .actual_access:  read_only
        .address_space:  global
        .offset:         32
        .size:           8
        .value_kind:     global_buffer
      - .actual_access:  read_only
        .address_space:  global
        .offset:         40
        .size:           8
        .value_kind:     global_buffer
      - .actual_access:  read_only
        .address_space:  global
        .offset:         48
        .size:           8
        .value_kind:     global_buffer
      - .offset:         56
        .size:           4
        .value_kind:     by_value
      - .actual_access:  read_only
        .address_space:  global
        .offset:         64
        .size:           8
        .value_kind:     global_buffer
      - .offset:         72
        .size:           4
        .value_kind:     by_value
      - .offset:         76
        .size:           4
        .value_kind:     by_value
      - .offset:         80
        .size:           4
        .value_kind:     by_value
      - .actual_access:  write_only
        .address_space:  global
        .offset:         88
        .size:           8
        .value_kind:     global_buffer
      - .actual_access:  write_only
        .address_space:  global
        .offset:         96
        .size:           8
        .value_kind:     global_buffer
      - .actual_access:  write_only
        .address_space:  global
        .offset:         104
        .size:           8
        .value_kind:     global_buffer
      - .actual_access:  read_only
        .address_space:  global
        .offset:         112
        .size:           8
        .value_kind:     global_buffer
      - .offset:         120
        .size:           4
        .value_kind:     by_value
      - .address_space:  global
        .offset:         128
        .size:           8
        .value_kind:     global_buffer
      - .address_space:  global
        .offset:         136
        .size:           8
        .value_kind:     global_buffer
      - .offset:         144
        .size:           4
        .value_kind:     hidden_block_count_x
      - .offset:         148
        .size:           4
        .value_kind:     hidden_block_count_y
      - .offset:         152
        .size:           4
        .value_kind:     hidden_block_count_z
      - .offset:         156
        .size:           2
        .value_kind:     hidden_group_size_x
      - .offset:         158
        .size:           2
        .value_kind:     hidden_group_size_y
      - .offset:         160
        .size:           2
        .value_kind:     hidden_group_size_z
      - .offset:         162
        .size:           2
        .value_kind:     hidden_remainder_x
      - .offset:         164
        .size:           2
        .value_kind:     hidden_remainder_y
      - .offset:         166
        .size:           2
        .value_kind:     hidden_remainder_z
      - .offset:         184
        .size:           8
        .value_kind:     hidden_global_offset_x
      - .offset:         192
        .size:           8
        .value_kind:     hidden_global_offset_y
      - .offset:         200
        .size:           8
        .value_kind:     hidden_global_offset_z
      - .offset:         208
        .size:           2
        .value_kind:     hidden_grid_dims
    .group_segment_fixed_size: 17472
    .kernarg_segment_align: 8
    .kernarg_segment_size: 400
    .language:       OpenCL C
    .language_version:
      - 2
      - 0
    .max_flat_workgroup_size: 256
    .name:           _Z39paged_attention_ll4mi_QKV_mfma16_kernelI14__hip_bfloat16hLN4vllm18Fp8KVCacheDataTypeE1ES0_Li32ELi64ELi256ELb0ELi2EL8MFMAType1EEvPKT_PKT0_S9_ifPKiSB_SB_iPKfiiiPfSE_PS4_PT2_iSD_SD_
    .private_segment_fixed_size: 0
    .sgpr_count:     42
    .sgpr_spill_count: 0
    .symbol:         _Z39paged_attention_ll4mi_QKV_mfma16_kernelI14__hip_bfloat16hLN4vllm18Fp8KVCacheDataTypeE1ES0_Li32ELi64ELi256ELb0ELi2EL8MFMAType1EEvPKT_PKT0_S9_ifPKiSB_SB_iPKfiiiPfSE_PS4_PT2_iSD_SD_.kd
    .uniform_work_group_size: 1
    .uses_dynamic_stack: false
    .vgpr_count:     125
    .vgpr_spill_count: 0
    .wavefront_size: 32
    .workgroup_processor_mode: 1
  - .args:
      - .actual_access:  read_only
        .address_space:  global
        .offset:         0
        .size:           8
        .value_kind:     global_buffer
      - .actual_access:  read_only
        .address_space:  global
        .offset:         8
        .size:           8
        .value_kind:     global_buffer
      - .actual_access:  read_only
        .address_space:  global
        .offset:         16
        .size:           8
        .value_kind:     global_buffer
      - .offset:         24
        .size:           4
        .value_kind:     by_value
      - .offset:         28
        .size:           4
        .value_kind:     by_value
      - .actual_access:  read_only
        .address_space:  global
        .offset:         32
        .size:           8
        .value_kind:     global_buffer
      - .actual_access:  read_only
        .address_space:  global
        .offset:         40
        .size:           8
        .value_kind:     global_buffer
      - .actual_access:  read_only
        .address_space:  global
        .offset:         48
        .size:           8
        .value_kind:     global_buffer
      - .offset:         56
        .size:           4
        .value_kind:     by_value
      - .actual_access:  read_only
        .address_space:  global
        .offset:         64
        .size:           8
        .value_kind:     global_buffer
      - .offset:         72
        .size:           4
        .value_kind:     by_value
      - .offset:         76
        .size:           4
        .value_kind:     by_value
      - .offset:         80
        .size:           4
        .value_kind:     by_value
      - .actual_access:  write_only
        .address_space:  global
        .offset:         88
        .size:           8
        .value_kind:     global_buffer
      - .actual_access:  write_only
        .address_space:  global
        .offset:         96
        .size:           8
        .value_kind:     global_buffer
      - .actual_access:  write_only
        .address_space:  global
        .offset:         104
        .size:           8
        .value_kind:     global_buffer
      - .actual_access:  read_only
        .address_space:  global
        .offset:         112
        .size:           8
        .value_kind:     global_buffer
      - .offset:         120
        .size:           4
        .value_kind:     by_value
      - .address_space:  global
        .offset:         128
        .size:           8
        .value_kind:     global_buffer
      - .address_space:  global
        .offset:         136
        .size:           8
        .value_kind:     global_buffer
      - .offset:         144
        .size:           4
        .value_kind:     hidden_block_count_x
      - .offset:         148
        .size:           4
        .value_kind:     hidden_block_count_y
      - .offset:         152
        .size:           4
        .value_kind:     hidden_block_count_z
      - .offset:         156
        .size:           2
        .value_kind:     hidden_group_size_x
      - .offset:         158
        .size:           2
        .value_kind:     hidden_group_size_y
      - .offset:         160
        .size:           2
        .value_kind:     hidden_group_size_z
      - .offset:         162
        .size:           2
        .value_kind:     hidden_remainder_x
      - .offset:         164
        .size:           2
        .value_kind:     hidden_remainder_y
      - .offset:         166
        .size:           2
        .value_kind:     hidden_remainder_z
      - .offset:         184
        .size:           8
        .value_kind:     hidden_global_offset_x
      - .offset:         192
        .size:           8
        .value_kind:     hidden_global_offset_y
      - .offset:         200
        .size:           8
        .value_kind:     hidden_global_offset_z
      - .offset:         208
        .size:           2
        .value_kind:     hidden_grid_dims
    .group_segment_fixed_size: 17472
    .kernarg_segment_align: 8
    .kernarg_segment_size: 400
    .language:       OpenCL C
    .language_version:
      - 2
      - 0
    .max_flat_workgroup_size: 256
    .name:           _Z39paged_attention_ll4mi_QKV_mfma16_kernelI14__hip_bfloat16hLN4vllm18Fp8KVCacheDataTypeE1ES0_Li32ELi64ELi256ELb0ELi3EL8MFMAType1EEvPKT_PKT0_S9_ifPKiSB_SB_iPKfiiiPfSE_PS4_PT2_iSD_SD_
    .private_segment_fixed_size: 0
    .sgpr_count:     44
    .sgpr_spill_count: 0
    .symbol:         _Z39paged_attention_ll4mi_QKV_mfma16_kernelI14__hip_bfloat16hLN4vllm18Fp8KVCacheDataTypeE1ES0_Li32ELi64ELi256ELb0ELi3EL8MFMAType1EEvPKT_PKT0_S9_ifPKiSB_SB_iPKfiiiPfSE_PS4_PT2_iSD_SD_.kd
    .uniform_work_group_size: 1
    .uses_dynamic_stack: false
    .vgpr_count:     124
    .vgpr_spill_count: 0
    .wavefront_size: 32
    .workgroup_processor_mode: 1
  - .args:
      - .actual_access:  read_only
        .address_space:  global
        .offset:         0
        .size:           8
        .value_kind:     global_buffer
      - .actual_access:  read_only
        .address_space:  global
        .offset:         8
        .size:           8
        .value_kind:     global_buffer
      - .actual_access:  read_only
        .address_space:  global
        .offset:         16
        .size:           8
        .value_kind:     global_buffer
      - .offset:         24
        .size:           4
        .value_kind:     by_value
      - .offset:         28
        .size:           4
        .value_kind:     by_value
      - .actual_access:  read_only
        .address_space:  global
        .offset:         32
        .size:           8
        .value_kind:     global_buffer
      - .actual_access:  read_only
        .address_space:  global
        .offset:         40
        .size:           8
        .value_kind:     global_buffer
      - .actual_access:  read_only
        .address_space:  global
        .offset:         48
        .size:           8
        .value_kind:     global_buffer
      - .offset:         56
        .size:           4
        .value_kind:     by_value
      - .actual_access:  read_only
        .address_space:  global
        .offset:         64
        .size:           8
        .value_kind:     global_buffer
      - .offset:         72
        .size:           4
        .value_kind:     by_value
      - .offset:         76
        .size:           4
        .value_kind:     by_value
      - .offset:         80
        .size:           4
        .value_kind:     by_value
      - .actual_access:  write_only
        .address_space:  global
        .offset:         88
        .size:           8
        .value_kind:     global_buffer
      - .actual_access:  write_only
        .address_space:  global
        .offset:         96
        .size:           8
        .value_kind:     global_buffer
      - .actual_access:  write_only
        .address_space:  global
        .offset:         104
        .size:           8
        .value_kind:     global_buffer
      - .actual_access:  read_only
        .address_space:  global
        .offset:         112
        .size:           8
        .value_kind:     global_buffer
      - .offset:         120
        .size:           4
        .value_kind:     by_value
      - .address_space:  global
        .offset:         128
        .size:           8
        .value_kind:     global_buffer
      - .address_space:  global
        .offset:         136
        .size:           8
        .value_kind:     global_buffer
      - .offset:         144
        .size:           4
        .value_kind:     hidden_block_count_x
      - .offset:         148
        .size:           4
        .value_kind:     hidden_block_count_y
      - .offset:         152
        .size:           4
        .value_kind:     hidden_block_count_z
      - .offset:         156
        .size:           2
        .value_kind:     hidden_group_size_x
      - .offset:         158
        .size:           2
        .value_kind:     hidden_group_size_y
      - .offset:         160
        .size:           2
        .value_kind:     hidden_group_size_z
      - .offset:         162
        .size:           2
        .value_kind:     hidden_remainder_x
      - .offset:         164
        .size:           2
        .value_kind:     hidden_remainder_y
      - .offset:         166
        .size:           2
        .value_kind:     hidden_remainder_z
      - .offset:         184
        .size:           8
        .value_kind:     hidden_global_offset_x
      - .offset:         192
        .size:           8
        .value_kind:     hidden_global_offset_y
      - .offset:         200
        .size:           8
        .value_kind:     hidden_global_offset_z
      - .offset:         208
        .size:           2
        .value_kind:     hidden_grid_dims
    .group_segment_fixed_size: 17472
    .kernarg_segment_align: 8
    .kernarg_segment_size: 400
    .language:       OpenCL C
    .language_version:
      - 2
      - 0
    .max_flat_workgroup_size: 256
    .name:           _Z39paged_attention_ll4mi_QKV_mfma16_kernelI14__hip_bfloat16hLN4vllm18Fp8KVCacheDataTypeE1ES0_Li32ELi64ELi256ELb0ELi4EL8MFMAType1EEvPKT_PKT0_S9_ifPKiSB_SB_iPKfiiiPfSE_PS4_PT2_iSD_SD_
    .private_segment_fixed_size: 0
    .sgpr_count:     42
    .sgpr_spill_count: 0
    .symbol:         _Z39paged_attention_ll4mi_QKV_mfma16_kernelI14__hip_bfloat16hLN4vllm18Fp8KVCacheDataTypeE1ES0_Li32ELi64ELi256ELb0ELi4EL8MFMAType1EEvPKT_PKT0_S9_ifPKiSB_SB_iPKfiiiPfSE_PS4_PT2_iSD_SD_.kd
    .uniform_work_group_size: 1
    .uses_dynamic_stack: false
    .vgpr_count:     124
    .vgpr_spill_count: 0
    .wavefront_size: 32
    .workgroup_processor_mode: 1
  - .args:
      - .actual_access:  read_only
        .address_space:  global
        .offset:         0
        .size:           8
        .value_kind:     global_buffer
      - .actual_access:  read_only
        .address_space:  global
        .offset:         8
        .size:           8
        .value_kind:     global_buffer
      - .actual_access:  read_only
        .address_space:  global
        .offset:         16
        .size:           8
        .value_kind:     global_buffer
      - .offset:         24
        .size:           4
        .value_kind:     by_value
      - .offset:         28
        .size:           4
        .value_kind:     by_value
      - .actual_access:  read_only
        .address_space:  global
        .offset:         32
        .size:           8
        .value_kind:     global_buffer
      - .actual_access:  read_only
        .address_space:  global
        .offset:         40
        .size:           8
        .value_kind:     global_buffer
      - .actual_access:  read_only
        .address_space:  global
        .offset:         48
        .size:           8
        .value_kind:     global_buffer
      - .offset:         56
        .size:           4
        .value_kind:     by_value
      - .actual_access:  read_only
        .address_space:  global
        .offset:         64
        .size:           8
        .value_kind:     global_buffer
      - .offset:         72
        .size:           4
        .value_kind:     by_value
      - .offset:         76
        .size:           4
        .value_kind:     by_value
      - .offset:         80
        .size:           4
        .value_kind:     by_value
      - .actual_access:  read_only
        .address_space:  global
        .offset:         88
        .size:           8
        .value_kind:     global_buffer
      - .actual_access:  read_only
        .address_space:  global
        .offset:         96
        .size:           8
        .value_kind:     global_buffer
      - .actual_access:  read_only
        .address_space:  global
        .offset:         104
        .size:           8
        .value_kind:     global_buffer
      - .actual_access:  read_only
        .address_space:  global
        .offset:         112
        .size:           8
        .value_kind:     global_buffer
      - .offset:         120
        .size:           4
        .value_kind:     by_value
      - .address_space:  global
        .offset:         128
        .size:           8
        .value_kind:     global_buffer
      - .address_space:  global
        .offset:         136
        .size:           8
        .value_kind:     global_buffer
      - .offset:         144
        .size:           4
        .value_kind:     hidden_block_count_x
      - .offset:         148
        .size:           4
        .value_kind:     hidden_block_count_y
      - .offset:         152
        .size:           4
        .value_kind:     hidden_block_count_z
      - .offset:         156
        .size:           2
        .value_kind:     hidden_group_size_x
      - .offset:         158
        .size:           2
        .value_kind:     hidden_group_size_y
      - .offset:         160
        .size:           2
        .value_kind:     hidden_group_size_z
      - .offset:         162
        .size:           2
        .value_kind:     hidden_remainder_x
      - .offset:         164
        .size:           2
        .value_kind:     hidden_remainder_y
      - .offset:         166
        .size:           2
        .value_kind:     hidden_remainder_z
      - .offset:         184
        .size:           8
        .value_kind:     hidden_global_offset_x
      - .offset:         192
        .size:           8
        .value_kind:     hidden_global_offset_y
      - .offset:         200
        .size:           8
        .value_kind:     hidden_global_offset_z
      - .offset:         208
        .size:           2
        .value_kind:     hidden_grid_dims
      - .offset:         224
        .size:           8
        .value_kind:     hidden_hostcall_buffer
    .group_segment_fixed_size: 0
    .kernarg_segment_align: 8
    .kernarg_segment_size: 400
    .language:       OpenCL C
    .language_version:
      - 2
      - 0
    .max_flat_workgroup_size: 256
    .name:           _Z38paged_attention_ll4mi_QKV_mfma4_kernelI14__hip_bfloat16hLN4vllm18Fp8KVCacheDataTypeE1EhLi16ELi128ELi256ELb1ELi1EEvPKT_PKT0_S8_ifPKiSA_SA_iPKfiiiPfSD_PS3_PT2_iSC_SC_
    .private_segment_fixed_size: 64
    .sgpr_count:     36
    .sgpr_spill_count: 0
    .symbol:         _Z38paged_attention_ll4mi_QKV_mfma4_kernelI14__hip_bfloat16hLN4vllm18Fp8KVCacheDataTypeE1EhLi16ELi128ELi256ELb1ELi1EEvPKT_PKT0_S8_ifPKiSA_SA_iPKfiiiPfSD_PS3_PT2_iSC_SC_.kd
    .uniform_work_group_size: 1
    .uses_dynamic_stack: false
    .vgpr_count:     41
    .vgpr_spill_count: 0
    .wavefront_size: 32
    .workgroup_processor_mode: 1
  - .args:
      - .actual_access:  read_only
        .address_space:  global
        .offset:         0
        .size:           8
        .value_kind:     global_buffer
      - .actual_access:  read_only
        .address_space:  global
        .offset:         8
        .size:           8
        .value_kind:     global_buffer
      - .actual_access:  read_only
        .address_space:  global
        .offset:         16
        .size:           8
        .value_kind:     global_buffer
      - .offset:         24
        .size:           4
        .value_kind:     by_value
      - .offset:         28
        .size:           4
        .value_kind:     by_value
      - .actual_access:  read_only
        .address_space:  global
        .offset:         32
        .size:           8
        .value_kind:     global_buffer
      - .actual_access:  read_only
        .address_space:  global
        .offset:         40
        .size:           8
        .value_kind:     global_buffer
      - .actual_access:  read_only
        .address_space:  global
        .offset:         48
        .size:           8
        .value_kind:     global_buffer
      - .offset:         56
        .size:           4
        .value_kind:     by_value
      - .actual_access:  read_only
        .address_space:  global
        .offset:         64
        .size:           8
        .value_kind:     global_buffer
      - .offset:         72
        .size:           4
        .value_kind:     by_value
      - .offset:         76
        .size:           4
        .value_kind:     by_value
      - .offset:         80
        .size:           4
        .value_kind:     by_value
      - .actual_access:  read_only
        .address_space:  global
        .offset:         88
        .size:           8
        .value_kind:     global_buffer
      - .actual_access:  read_only
        .address_space:  global
        .offset:         96
        .size:           8
        .value_kind:     global_buffer
      - .actual_access:  read_only
        .address_space:  global
        .offset:         104
        .size:           8
        .value_kind:     global_buffer
      - .actual_access:  read_only
        .address_space:  global
        .offset:         112
        .size:           8
        .value_kind:     global_buffer
      - .offset:         120
        .size:           4
        .value_kind:     by_value
      - .address_space:  global
        .offset:         128
        .size:           8
        .value_kind:     global_buffer
      - .address_space:  global
        .offset:         136
        .size:           8
        .value_kind:     global_buffer
      - .offset:         144
        .size:           4
        .value_kind:     hidden_block_count_x
      - .offset:         148
        .size:           4
        .value_kind:     hidden_block_count_y
      - .offset:         152
        .size:           4
        .value_kind:     hidden_block_count_z
      - .offset:         156
        .size:           2
        .value_kind:     hidden_group_size_x
      - .offset:         158
        .size:           2
        .value_kind:     hidden_group_size_y
      - .offset:         160
        .size:           2
        .value_kind:     hidden_group_size_z
      - .offset:         162
        .size:           2
        .value_kind:     hidden_remainder_x
      - .offset:         164
        .size:           2
        .value_kind:     hidden_remainder_y
      - .offset:         166
        .size:           2
        .value_kind:     hidden_remainder_z
      - .offset:         184
        .size:           8
        .value_kind:     hidden_global_offset_x
      - .offset:         192
        .size:           8
        .value_kind:     hidden_global_offset_y
      - .offset:         200
        .size:           8
        .value_kind:     hidden_global_offset_z
      - .offset:         208
        .size:           2
        .value_kind:     hidden_grid_dims
      - .offset:         224
        .size:           8
        .value_kind:     hidden_hostcall_buffer
    .group_segment_fixed_size: 0
    .kernarg_segment_align: 8
    .kernarg_segment_size: 400
    .language:       OpenCL C
    .language_version:
      - 2
      - 0
    .max_flat_workgroup_size: 256
    .name:           _Z38paged_attention_ll4mi_QKV_mfma4_kernelI14__hip_bfloat16hLN4vllm18Fp8KVCacheDataTypeE1EhLi16ELi128ELi256ELb1ELi2EEvPKT_PKT0_S8_ifPKiSA_SA_iPKfiiiPfSD_PS3_PT2_iSC_SC_
    .private_segment_fixed_size: 64
    .sgpr_count:     36
    .sgpr_spill_count: 0
    .symbol:         _Z38paged_attention_ll4mi_QKV_mfma4_kernelI14__hip_bfloat16hLN4vllm18Fp8KVCacheDataTypeE1EhLi16ELi128ELi256ELb1ELi2EEvPKT_PKT0_S8_ifPKiSA_SA_iPKfiiiPfSD_PS3_PT2_iSC_SC_.kd
    .uniform_work_group_size: 1
    .uses_dynamic_stack: false
    .vgpr_count:     41
    .vgpr_spill_count: 0
    .wavefront_size: 32
    .workgroup_processor_mode: 1
  - .args:
      - .actual_access:  read_only
        .address_space:  global
        .offset:         0
        .size:           8
        .value_kind:     global_buffer
      - .actual_access:  read_only
        .address_space:  global
        .offset:         8
        .size:           8
        .value_kind:     global_buffer
      - .actual_access:  read_only
        .address_space:  global
        .offset:         16
        .size:           8
        .value_kind:     global_buffer
      - .offset:         24
        .size:           4
        .value_kind:     by_value
      - .offset:         28
        .size:           4
        .value_kind:     by_value
      - .actual_access:  read_only
        .address_space:  global
        .offset:         32
        .size:           8
        .value_kind:     global_buffer
      - .actual_access:  read_only
        .address_space:  global
        .offset:         40
        .size:           8
        .value_kind:     global_buffer
      - .actual_access:  read_only
        .address_space:  global
        .offset:         48
        .size:           8
        .value_kind:     global_buffer
      - .offset:         56
        .size:           4
        .value_kind:     by_value
      - .actual_access:  read_only
        .address_space:  global
        .offset:         64
        .size:           8
        .value_kind:     global_buffer
      - .offset:         72
        .size:           4
        .value_kind:     by_value
      - .offset:         76
        .size:           4
        .value_kind:     by_value
      - .offset:         80
        .size:           4
        .value_kind:     by_value
      - .actual_access:  read_only
        .address_space:  global
        .offset:         88
        .size:           8
        .value_kind:     global_buffer
      - .actual_access:  read_only
        .address_space:  global
        .offset:         96
        .size:           8
        .value_kind:     global_buffer
      - .actual_access:  read_only
        .address_space:  global
        .offset:         104
        .size:           8
        .value_kind:     global_buffer
      - .actual_access:  read_only
        .address_space:  global
        .offset:         112
        .size:           8
        .value_kind:     global_buffer
      - .offset:         120
        .size:           4
        .value_kind:     by_value
      - .address_space:  global
        .offset:         128
        .size:           8
        .value_kind:     global_buffer
      - .address_space:  global
        .offset:         136
        .size:           8
        .value_kind:     global_buffer
      - .offset:         144
        .size:           4
        .value_kind:     hidden_block_count_x
      - .offset:         148
        .size:           4
        .value_kind:     hidden_block_count_y
      - .offset:         152
        .size:           4
        .value_kind:     hidden_block_count_z
      - .offset:         156
        .size:           2
        .value_kind:     hidden_group_size_x
      - .offset:         158
        .size:           2
        .value_kind:     hidden_group_size_y
      - .offset:         160
        .size:           2
        .value_kind:     hidden_group_size_z
      - .offset:         162
        .size:           2
        .value_kind:     hidden_remainder_x
      - .offset:         164
        .size:           2
        .value_kind:     hidden_remainder_y
      - .offset:         166
        .size:           2
        .value_kind:     hidden_remainder_z
      - .offset:         184
        .size:           8
        .value_kind:     hidden_global_offset_x
      - .offset:         192
        .size:           8
        .value_kind:     hidden_global_offset_y
      - .offset:         200
        .size:           8
        .value_kind:     hidden_global_offset_z
      - .offset:         208
        .size:           2
        .value_kind:     hidden_grid_dims
      - .offset:         224
        .size:           8
        .value_kind:     hidden_hostcall_buffer
    .group_segment_fixed_size: 0
    .kernarg_segment_align: 8
    .kernarg_segment_size: 400
    .language:       OpenCL C
    .language_version:
      - 2
      - 0
    .max_flat_workgroup_size: 256
    .name:           _Z38paged_attention_ll4mi_QKV_mfma4_kernelI14__hip_bfloat16hLN4vllm18Fp8KVCacheDataTypeE1EhLi16ELi128ELi256ELb1ELi3EEvPKT_PKT0_S8_ifPKiSA_SA_iPKfiiiPfSD_PS3_PT2_iSC_SC_
    .private_segment_fixed_size: 64
    .sgpr_count:     36
    .sgpr_spill_count: 0
    .symbol:         _Z38paged_attention_ll4mi_QKV_mfma4_kernelI14__hip_bfloat16hLN4vllm18Fp8KVCacheDataTypeE1EhLi16ELi128ELi256ELb1ELi3EEvPKT_PKT0_S8_ifPKiSA_SA_iPKfiiiPfSD_PS3_PT2_iSC_SC_.kd
    .uniform_work_group_size: 1
    .uses_dynamic_stack: false
    .vgpr_count:     41
    .vgpr_spill_count: 0
    .wavefront_size: 32
    .workgroup_processor_mode: 1
  - .args:
      - .actual_access:  read_only
        .address_space:  global
        .offset:         0
        .size:           8
        .value_kind:     global_buffer
      - .actual_access:  read_only
        .address_space:  global
        .offset:         8
        .size:           8
        .value_kind:     global_buffer
      - .actual_access:  read_only
        .address_space:  global
        .offset:         16
        .size:           8
        .value_kind:     global_buffer
      - .offset:         24
        .size:           4
        .value_kind:     by_value
      - .offset:         28
        .size:           4
        .value_kind:     by_value
      - .actual_access:  read_only
        .address_space:  global
        .offset:         32
        .size:           8
        .value_kind:     global_buffer
      - .actual_access:  read_only
        .address_space:  global
        .offset:         40
        .size:           8
        .value_kind:     global_buffer
      - .actual_access:  read_only
        .address_space:  global
        .offset:         48
        .size:           8
        .value_kind:     global_buffer
      - .offset:         56
        .size:           4
        .value_kind:     by_value
      - .actual_access:  read_only
        .address_space:  global
        .offset:         64
        .size:           8
        .value_kind:     global_buffer
      - .offset:         72
        .size:           4
        .value_kind:     by_value
      - .offset:         76
        .size:           4
        .value_kind:     by_value
      - .offset:         80
        .size:           4
        .value_kind:     by_value
      - .actual_access:  read_only
        .address_space:  global
        .offset:         88
        .size:           8
        .value_kind:     global_buffer
      - .actual_access:  read_only
        .address_space:  global
        .offset:         96
        .size:           8
        .value_kind:     global_buffer
      - .actual_access:  read_only
        .address_space:  global
        .offset:         104
        .size:           8
        .value_kind:     global_buffer
      - .actual_access:  read_only
        .address_space:  global
        .offset:         112
        .size:           8
        .value_kind:     global_buffer
      - .offset:         120
        .size:           4
        .value_kind:     by_value
      - .address_space:  global
        .offset:         128
        .size:           8
        .value_kind:     global_buffer
      - .address_space:  global
        .offset:         136
        .size:           8
        .value_kind:     global_buffer
      - .offset:         144
        .size:           4
        .value_kind:     hidden_block_count_x
      - .offset:         148
        .size:           4
        .value_kind:     hidden_block_count_y
      - .offset:         152
        .size:           4
        .value_kind:     hidden_block_count_z
      - .offset:         156
        .size:           2
        .value_kind:     hidden_group_size_x
      - .offset:         158
        .size:           2
        .value_kind:     hidden_group_size_y
      - .offset:         160
        .size:           2
        .value_kind:     hidden_group_size_z
      - .offset:         162
        .size:           2
        .value_kind:     hidden_remainder_x
      - .offset:         164
        .size:           2
        .value_kind:     hidden_remainder_y
      - .offset:         166
        .size:           2
        .value_kind:     hidden_remainder_z
      - .offset:         184
        .size:           8
        .value_kind:     hidden_global_offset_x
      - .offset:         192
        .size:           8
        .value_kind:     hidden_global_offset_y
      - .offset:         200
        .size:           8
        .value_kind:     hidden_global_offset_z
      - .offset:         208
        .size:           2
        .value_kind:     hidden_grid_dims
      - .offset:         224
        .size:           8
        .value_kind:     hidden_hostcall_buffer
    .group_segment_fixed_size: 0
    .kernarg_segment_align: 8
    .kernarg_segment_size: 400
    .language:       OpenCL C
    .language_version:
      - 2
      - 0
    .max_flat_workgroup_size: 256
    .name:           _Z38paged_attention_ll4mi_QKV_mfma4_kernelI14__hip_bfloat16hLN4vllm18Fp8KVCacheDataTypeE1EhLi16ELi128ELi256ELb1ELi4EEvPKT_PKT0_S8_ifPKiSA_SA_iPKfiiiPfSD_PS3_PT2_iSC_SC_
    .private_segment_fixed_size: 64
    .sgpr_count:     36
    .sgpr_spill_count: 0
    .symbol:         _Z38paged_attention_ll4mi_QKV_mfma4_kernelI14__hip_bfloat16hLN4vllm18Fp8KVCacheDataTypeE1EhLi16ELi128ELi256ELb1ELi4EEvPKT_PKT0_S8_ifPKiSA_SA_iPKfiiiPfSD_PS3_PT2_iSC_SC_.kd
    .uniform_work_group_size: 1
    .uses_dynamic_stack: false
    .vgpr_count:     41
    .vgpr_spill_count: 0
    .wavefront_size: 32
    .workgroup_processor_mode: 1
  - .args:
      - .actual_access:  read_only
        .address_space:  global
        .offset:         0
        .size:           8
        .value_kind:     global_buffer
      - .actual_access:  read_only
        .address_space:  global
        .offset:         8
        .size:           8
        .value_kind:     global_buffer
      - .actual_access:  read_only
        .address_space:  global
        .offset:         16
        .size:           8
        .value_kind:     global_buffer
      - .offset:         24
        .size:           4
        .value_kind:     by_value
      - .offset:         28
        .size:           4
        .value_kind:     by_value
      - .actual_access:  read_only
        .address_space:  global
        .offset:         32
        .size:           8
        .value_kind:     global_buffer
      - .actual_access:  read_only
        .address_space:  global
        .offset:         40
        .size:           8
        .value_kind:     global_buffer
      - .actual_access:  read_only
        .address_space:  global
        .offset:         48
        .size:           8
        .value_kind:     global_buffer
      - .offset:         56
        .size:           4
        .value_kind:     by_value
      - .actual_access:  read_only
        .address_space:  global
        .offset:         64
        .size:           8
        .value_kind:     global_buffer
      - .offset:         72
        .size:           4
        .value_kind:     by_value
      - .offset:         76
        .size:           4
        .value_kind:     by_value
      - .offset:         80
        .size:           4
        .value_kind:     by_value
      - .actual_access:  write_only
        .address_space:  global
        .offset:         88
        .size:           8
        .value_kind:     global_buffer
      - .actual_access:  write_only
        .address_space:  global
        .offset:         96
        .size:           8
        .value_kind:     global_buffer
      - .actual_access:  write_only
        .address_space:  global
        .offset:         104
        .size:           8
        .value_kind:     global_buffer
      - .actual_access:  read_only
        .address_space:  global
        .offset:         112
        .size:           8
        .value_kind:     global_buffer
      - .offset:         120
        .size:           4
        .value_kind:     by_value
      - .address_space:  global
        .offset:         128
        .size:           8
        .value_kind:     global_buffer
      - .address_space:  global
        .offset:         136
        .size:           8
        .value_kind:     global_buffer
      - .offset:         144
        .size:           4
        .value_kind:     hidden_block_count_x
      - .offset:         148
        .size:           4
        .value_kind:     hidden_block_count_y
      - .offset:         152
        .size:           4
        .value_kind:     hidden_block_count_z
      - .offset:         156
        .size:           2
        .value_kind:     hidden_group_size_x
      - .offset:         158
        .size:           2
        .value_kind:     hidden_group_size_y
      - .offset:         160
        .size:           2
        .value_kind:     hidden_group_size_z
      - .offset:         162
        .size:           2
        .value_kind:     hidden_remainder_x
      - .offset:         164
        .size:           2
        .value_kind:     hidden_remainder_y
      - .offset:         166
        .size:           2
        .value_kind:     hidden_remainder_z
      - .offset:         184
        .size:           8
        .value_kind:     hidden_global_offset_x
      - .offset:         192
        .size:           8
        .value_kind:     hidden_global_offset_y
      - .offset:         200
        .size:           8
        .value_kind:     hidden_global_offset_z
      - .offset:         208
        .size:           2
        .value_kind:     hidden_grid_dims
    .group_segment_fixed_size: 17472
    .kernarg_segment_align: 8
    .kernarg_segment_size: 400
    .language:       OpenCL C
    .language_version:
      - 2
      - 0
    .max_flat_workgroup_size: 256
    .name:           _Z39paged_attention_ll4mi_QKV_mfma16_kernelI14__hip_bfloat16hLN4vllm18Fp8KVCacheDataTypeE1EhLi16ELi128ELi256ELb1ELi5EL8MFMAType1EEvPKT_PKT0_S9_ifPKiSB_SB_iPKfiiiPfSE_PS4_PT2_iSD_SD_
    .private_segment_fixed_size: 0
    .sgpr_count:     38
    .sgpr_spill_count: 0
    .symbol:         _Z39paged_attention_ll4mi_QKV_mfma16_kernelI14__hip_bfloat16hLN4vllm18Fp8KVCacheDataTypeE1EhLi16ELi128ELi256ELb1ELi5EL8MFMAType1EEvPKT_PKT0_S9_ifPKiSB_SB_iPKfiiiPfSE_PS4_PT2_iSD_SD_.kd
    .uniform_work_group_size: 1
    .uses_dynamic_stack: false
    .vgpr_count:     140
    .vgpr_spill_count: 0
    .wavefront_size: 32
    .workgroup_processor_mode: 1
  - .args:
      - .actual_access:  read_only
        .address_space:  global
        .offset:         0
        .size:           8
        .value_kind:     global_buffer
      - .actual_access:  read_only
        .address_space:  global
        .offset:         8
        .size:           8
        .value_kind:     global_buffer
      - .actual_access:  read_only
        .address_space:  global
        .offset:         16
        .size:           8
        .value_kind:     global_buffer
      - .offset:         24
        .size:           4
        .value_kind:     by_value
      - .offset:         28
        .size:           4
        .value_kind:     by_value
      - .actual_access:  read_only
        .address_space:  global
        .offset:         32
        .size:           8
        .value_kind:     global_buffer
      - .actual_access:  read_only
        .address_space:  global
        .offset:         40
        .size:           8
        .value_kind:     global_buffer
      - .actual_access:  read_only
        .address_space:  global
        .offset:         48
        .size:           8
        .value_kind:     global_buffer
      - .offset:         56
        .size:           4
        .value_kind:     by_value
      - .actual_access:  read_only
        .address_space:  global
        .offset:         64
        .size:           8
        .value_kind:     global_buffer
      - .offset:         72
        .size:           4
        .value_kind:     by_value
      - .offset:         76
        .size:           4
        .value_kind:     by_value
      - .offset:         80
        .size:           4
        .value_kind:     by_value
      - .actual_access:  write_only
        .address_space:  global
        .offset:         88
        .size:           8
        .value_kind:     global_buffer
      - .actual_access:  write_only
        .address_space:  global
        .offset:         96
        .size:           8
        .value_kind:     global_buffer
      - .actual_access:  write_only
        .address_space:  global
        .offset:         104
        .size:           8
        .value_kind:     global_buffer
      - .actual_access:  read_only
        .address_space:  global
        .offset:         112
        .size:           8
        .value_kind:     global_buffer
      - .offset:         120
        .size:           4
        .value_kind:     by_value
      - .address_space:  global
        .offset:         128
        .size:           8
        .value_kind:     global_buffer
      - .address_space:  global
        .offset:         136
        .size:           8
        .value_kind:     global_buffer
      - .offset:         144
        .size:           4
        .value_kind:     hidden_block_count_x
      - .offset:         148
        .size:           4
        .value_kind:     hidden_block_count_y
      - .offset:         152
        .size:           4
        .value_kind:     hidden_block_count_z
      - .offset:         156
        .size:           2
        .value_kind:     hidden_group_size_x
      - .offset:         158
        .size:           2
        .value_kind:     hidden_group_size_y
      - .offset:         160
        .size:           2
        .value_kind:     hidden_group_size_z
      - .offset:         162
        .size:           2
        .value_kind:     hidden_remainder_x
      - .offset:         164
        .size:           2
        .value_kind:     hidden_remainder_y
      - .offset:         166
        .size:           2
        .value_kind:     hidden_remainder_z
      - .offset:         184
        .size:           8
        .value_kind:     hidden_global_offset_x
      - .offset:         192
        .size:           8
        .value_kind:     hidden_global_offset_y
      - .offset:         200
        .size:           8
        .value_kind:     hidden_global_offset_z
      - .offset:         208
        .size:           2
        .value_kind:     hidden_grid_dims
    .group_segment_fixed_size: 17472
    .kernarg_segment_align: 8
    .kernarg_segment_size: 400
    .language:       OpenCL C
    .language_version:
      - 2
      - 0
    .max_flat_workgroup_size: 256
    .name:           _Z39paged_attention_ll4mi_QKV_mfma16_kernelI14__hip_bfloat16hLN4vllm18Fp8KVCacheDataTypeE1EhLi16ELi128ELi256ELb1ELi6EL8MFMAType1EEvPKT_PKT0_S9_ifPKiSB_SB_iPKfiiiPfSE_PS4_PT2_iSD_SD_
    .private_segment_fixed_size: 0
    .sgpr_count:     38
    .sgpr_spill_count: 0
    .symbol:         _Z39paged_attention_ll4mi_QKV_mfma16_kernelI14__hip_bfloat16hLN4vllm18Fp8KVCacheDataTypeE1EhLi16ELi128ELi256ELb1ELi6EL8MFMAType1EEvPKT_PKT0_S9_ifPKiSB_SB_iPKfiiiPfSE_PS4_PT2_iSD_SD_.kd
    .uniform_work_group_size: 1
    .uses_dynamic_stack: false
    .vgpr_count:     140
    .vgpr_spill_count: 0
    .wavefront_size: 32
    .workgroup_processor_mode: 1
  - .args:
      - .actual_access:  read_only
        .address_space:  global
        .offset:         0
        .size:           8
        .value_kind:     global_buffer
      - .actual_access:  read_only
        .address_space:  global
        .offset:         8
        .size:           8
        .value_kind:     global_buffer
      - .actual_access:  read_only
        .address_space:  global
        .offset:         16
        .size:           8
        .value_kind:     global_buffer
      - .offset:         24
        .size:           4
        .value_kind:     by_value
      - .offset:         28
        .size:           4
        .value_kind:     by_value
      - .actual_access:  read_only
        .address_space:  global
        .offset:         32
        .size:           8
        .value_kind:     global_buffer
      - .actual_access:  read_only
        .address_space:  global
        .offset:         40
        .size:           8
        .value_kind:     global_buffer
      - .actual_access:  read_only
        .address_space:  global
        .offset:         48
        .size:           8
        .value_kind:     global_buffer
      - .offset:         56
        .size:           4
        .value_kind:     by_value
      - .actual_access:  read_only
        .address_space:  global
        .offset:         64
        .size:           8
        .value_kind:     global_buffer
      - .offset:         72
        .size:           4
        .value_kind:     by_value
      - .offset:         76
        .size:           4
        .value_kind:     by_value
      - .offset:         80
        .size:           4
        .value_kind:     by_value
      - .actual_access:  write_only
        .address_space:  global
        .offset:         88
        .size:           8
        .value_kind:     global_buffer
      - .actual_access:  write_only
        .address_space:  global
        .offset:         96
        .size:           8
        .value_kind:     global_buffer
      - .actual_access:  write_only
        .address_space:  global
        .offset:         104
        .size:           8
        .value_kind:     global_buffer
      - .actual_access:  read_only
        .address_space:  global
        .offset:         112
        .size:           8
        .value_kind:     global_buffer
      - .offset:         120
        .size:           4
        .value_kind:     by_value
      - .address_space:  global
        .offset:         128
        .size:           8
        .value_kind:     global_buffer
      - .address_space:  global
        .offset:         136
        .size:           8
        .value_kind:     global_buffer
      - .offset:         144
        .size:           4
        .value_kind:     hidden_block_count_x
      - .offset:         148
        .size:           4
        .value_kind:     hidden_block_count_y
      - .offset:         152
        .size:           4
        .value_kind:     hidden_block_count_z
      - .offset:         156
        .size:           2
        .value_kind:     hidden_group_size_x
      - .offset:         158
        .size:           2
        .value_kind:     hidden_group_size_y
      - .offset:         160
        .size:           2
        .value_kind:     hidden_group_size_z
      - .offset:         162
        .size:           2
        .value_kind:     hidden_remainder_x
      - .offset:         164
        .size:           2
        .value_kind:     hidden_remainder_y
      - .offset:         166
        .size:           2
        .value_kind:     hidden_remainder_z
      - .offset:         184
        .size:           8
        .value_kind:     hidden_global_offset_x
      - .offset:         192
        .size:           8
        .value_kind:     hidden_global_offset_y
      - .offset:         200
        .size:           8
        .value_kind:     hidden_global_offset_z
      - .offset:         208
        .size:           2
        .value_kind:     hidden_grid_dims
    .group_segment_fixed_size: 17472
    .kernarg_segment_align: 8
    .kernarg_segment_size: 400
    .language:       OpenCL C
    .language_version:
      - 2
      - 0
    .max_flat_workgroup_size: 256
    .name:           _Z39paged_attention_ll4mi_QKV_mfma16_kernelI14__hip_bfloat16hLN4vllm18Fp8KVCacheDataTypeE1EhLi16ELi128ELi256ELb1ELi7EL8MFMAType1EEvPKT_PKT0_S9_ifPKiSB_SB_iPKfiiiPfSE_PS4_PT2_iSD_SD_
    .private_segment_fixed_size: 0
    .sgpr_count:     38
    .sgpr_spill_count: 0
    .symbol:         _Z39paged_attention_ll4mi_QKV_mfma16_kernelI14__hip_bfloat16hLN4vllm18Fp8KVCacheDataTypeE1EhLi16ELi128ELi256ELb1ELi7EL8MFMAType1EEvPKT_PKT0_S9_ifPKiSB_SB_iPKfiiiPfSE_PS4_PT2_iSD_SD_.kd
    .uniform_work_group_size: 1
    .uses_dynamic_stack: false
    .vgpr_count:     140
    .vgpr_spill_count: 0
    .wavefront_size: 32
    .workgroup_processor_mode: 1
  - .args:
      - .actual_access:  read_only
        .address_space:  global
        .offset:         0
        .size:           8
        .value_kind:     global_buffer
      - .actual_access:  read_only
        .address_space:  global
        .offset:         8
        .size:           8
        .value_kind:     global_buffer
      - .actual_access:  read_only
        .address_space:  global
        .offset:         16
        .size:           8
        .value_kind:     global_buffer
      - .offset:         24
        .size:           4
        .value_kind:     by_value
      - .offset:         28
        .size:           4
        .value_kind:     by_value
      - .actual_access:  read_only
        .address_space:  global
        .offset:         32
        .size:           8
        .value_kind:     global_buffer
      - .actual_access:  read_only
        .address_space:  global
        .offset:         40
        .size:           8
        .value_kind:     global_buffer
      - .actual_access:  read_only
        .address_space:  global
        .offset:         48
        .size:           8
        .value_kind:     global_buffer
      - .offset:         56
        .size:           4
        .value_kind:     by_value
      - .actual_access:  read_only
        .address_space:  global
        .offset:         64
        .size:           8
        .value_kind:     global_buffer
      - .offset:         72
        .size:           4
        .value_kind:     by_value
      - .offset:         76
        .size:           4
        .value_kind:     by_value
      - .offset:         80
        .size:           4
        .value_kind:     by_value
      - .actual_access:  write_only
        .address_space:  global
        .offset:         88
        .size:           8
        .value_kind:     global_buffer
      - .actual_access:  write_only
        .address_space:  global
        .offset:         96
        .size:           8
        .value_kind:     global_buffer
      - .actual_access:  write_only
        .address_space:  global
        .offset:         104
        .size:           8
        .value_kind:     global_buffer
      - .actual_access:  read_only
        .address_space:  global
        .offset:         112
        .size:           8
        .value_kind:     global_buffer
      - .offset:         120
        .size:           4
        .value_kind:     by_value
      - .address_space:  global
        .offset:         128
        .size:           8
        .value_kind:     global_buffer
      - .address_space:  global
        .offset:         136
        .size:           8
        .value_kind:     global_buffer
      - .offset:         144
        .size:           4
        .value_kind:     hidden_block_count_x
      - .offset:         148
        .size:           4
        .value_kind:     hidden_block_count_y
      - .offset:         152
        .size:           4
        .value_kind:     hidden_block_count_z
      - .offset:         156
        .size:           2
        .value_kind:     hidden_group_size_x
      - .offset:         158
        .size:           2
        .value_kind:     hidden_group_size_y
      - .offset:         160
        .size:           2
        .value_kind:     hidden_group_size_z
      - .offset:         162
        .size:           2
        .value_kind:     hidden_remainder_x
      - .offset:         164
        .size:           2
        .value_kind:     hidden_remainder_y
      - .offset:         166
        .size:           2
        .value_kind:     hidden_remainder_z
      - .offset:         184
        .size:           8
        .value_kind:     hidden_global_offset_x
      - .offset:         192
        .size:           8
        .value_kind:     hidden_global_offset_y
      - .offset:         200
        .size:           8
        .value_kind:     hidden_global_offset_z
      - .offset:         208
        .size:           2
        .value_kind:     hidden_grid_dims
    .group_segment_fixed_size: 17472
    .kernarg_segment_align: 8
    .kernarg_segment_size: 400
    .language:       OpenCL C
    .language_version:
      - 2
      - 0
    .max_flat_workgroup_size: 256
    .name:           _Z39paged_attention_ll4mi_QKV_mfma16_kernelI14__hip_bfloat16hLN4vllm18Fp8KVCacheDataTypeE1EhLi16ELi128ELi256ELb1ELi8EL8MFMAType1EEvPKT_PKT0_S9_ifPKiSB_SB_iPKfiiiPfSE_PS4_PT2_iSD_SD_
    .private_segment_fixed_size: 0
    .sgpr_count:     38
    .sgpr_spill_count: 0
    .symbol:         _Z39paged_attention_ll4mi_QKV_mfma16_kernelI14__hip_bfloat16hLN4vllm18Fp8KVCacheDataTypeE1EhLi16ELi128ELi256ELb1ELi8EL8MFMAType1EEvPKT_PKT0_S9_ifPKiSB_SB_iPKfiiiPfSE_PS4_PT2_iSD_SD_.kd
    .uniform_work_group_size: 1
    .uses_dynamic_stack: false
    .vgpr_count:     140
    .vgpr_spill_count: 0
    .wavefront_size: 32
    .workgroup_processor_mode: 1
  - .args:
      - .actual_access:  read_only
        .address_space:  global
        .offset:         0
        .size:           8
        .value_kind:     global_buffer
      - .actual_access:  read_only
        .address_space:  global
        .offset:         8
        .size:           8
        .value_kind:     global_buffer
      - .actual_access:  read_only
        .address_space:  global
        .offset:         16
        .size:           8
        .value_kind:     global_buffer
      - .offset:         24
        .size:           4
        .value_kind:     by_value
      - .offset:         28
        .size:           4
        .value_kind:     by_value
      - .actual_access:  read_only
        .address_space:  global
        .offset:         32
        .size:           8
        .value_kind:     global_buffer
      - .actual_access:  read_only
        .address_space:  global
        .offset:         40
        .size:           8
        .value_kind:     global_buffer
      - .actual_access:  read_only
        .address_space:  global
        .offset:         48
        .size:           8
        .value_kind:     global_buffer
      - .offset:         56
        .size:           4
        .value_kind:     by_value
      - .actual_access:  read_only
        .address_space:  global
        .offset:         64
        .size:           8
        .value_kind:     global_buffer
      - .offset:         72
        .size:           4
        .value_kind:     by_value
      - .offset:         76
        .size:           4
        .value_kind:     by_value
      - .offset:         80
        .size:           4
        .value_kind:     by_value
      - .actual_access:  write_only
        .address_space:  global
        .offset:         88
        .size:           8
        .value_kind:     global_buffer
      - .actual_access:  write_only
        .address_space:  global
        .offset:         96
        .size:           8
        .value_kind:     global_buffer
      - .actual_access:  write_only
        .address_space:  global
        .offset:         104
        .size:           8
        .value_kind:     global_buffer
      - .actual_access:  read_only
        .address_space:  global
        .offset:         112
        .size:           8
        .value_kind:     global_buffer
      - .offset:         120
        .size:           4
        .value_kind:     by_value
      - .address_space:  global
        .offset:         128
        .size:           8
        .value_kind:     global_buffer
      - .address_space:  global
        .offset:         136
        .size:           8
        .value_kind:     global_buffer
      - .offset:         144
        .size:           4
        .value_kind:     hidden_block_count_x
      - .offset:         148
        .size:           4
        .value_kind:     hidden_block_count_y
      - .offset:         152
        .size:           4
        .value_kind:     hidden_block_count_z
      - .offset:         156
        .size:           2
        .value_kind:     hidden_group_size_x
      - .offset:         158
        .size:           2
        .value_kind:     hidden_group_size_y
      - .offset:         160
        .size:           2
        .value_kind:     hidden_group_size_z
      - .offset:         162
        .size:           2
        .value_kind:     hidden_remainder_x
      - .offset:         164
        .size:           2
        .value_kind:     hidden_remainder_y
      - .offset:         166
        .size:           2
        .value_kind:     hidden_remainder_z
      - .offset:         184
        .size:           8
        .value_kind:     hidden_global_offset_x
      - .offset:         192
        .size:           8
        .value_kind:     hidden_global_offset_y
      - .offset:         200
        .size:           8
        .value_kind:     hidden_global_offset_z
      - .offset:         208
        .size:           2
        .value_kind:     hidden_grid_dims
    .group_segment_fixed_size: 17472
    .kernarg_segment_align: 8
    .kernarg_segment_size: 400
    .language:       OpenCL C
    .language_version:
      - 2
      - 0
    .max_flat_workgroup_size: 256
    .name:           _Z39paged_attention_ll4mi_QKV_mfma16_kernelI14__hip_bfloat16hLN4vllm18Fp8KVCacheDataTypeE1EhLi16ELi128ELi256ELb1ELi9EL8MFMAType1EEvPKT_PKT0_S9_ifPKiSB_SB_iPKfiiiPfSE_PS4_PT2_iSD_SD_
    .private_segment_fixed_size: 0
    .sgpr_count:     38
    .sgpr_spill_count: 0
    .symbol:         _Z39paged_attention_ll4mi_QKV_mfma16_kernelI14__hip_bfloat16hLN4vllm18Fp8KVCacheDataTypeE1EhLi16ELi128ELi256ELb1ELi9EL8MFMAType1EEvPKT_PKT0_S9_ifPKiSB_SB_iPKfiiiPfSE_PS4_PT2_iSD_SD_.kd
    .uniform_work_group_size: 1
    .uses_dynamic_stack: false
    .vgpr_count:     140
    .vgpr_spill_count: 0
    .wavefront_size: 32
    .workgroup_processor_mode: 1
  - .args:
      - .actual_access:  read_only
        .address_space:  global
        .offset:         0
        .size:           8
        .value_kind:     global_buffer
      - .actual_access:  read_only
        .address_space:  global
        .offset:         8
        .size:           8
        .value_kind:     global_buffer
      - .actual_access:  read_only
        .address_space:  global
        .offset:         16
        .size:           8
        .value_kind:     global_buffer
      - .offset:         24
        .size:           4
        .value_kind:     by_value
      - .offset:         28
        .size:           4
        .value_kind:     by_value
      - .actual_access:  read_only
        .address_space:  global
        .offset:         32
        .size:           8
        .value_kind:     global_buffer
      - .actual_access:  read_only
        .address_space:  global
        .offset:         40
        .size:           8
        .value_kind:     global_buffer
      - .actual_access:  read_only
        .address_space:  global
        .offset:         48
        .size:           8
        .value_kind:     global_buffer
      - .offset:         56
        .size:           4
        .value_kind:     by_value
      - .actual_access:  read_only
        .address_space:  global
        .offset:         64
        .size:           8
        .value_kind:     global_buffer
      - .offset:         72
        .size:           4
        .value_kind:     by_value
      - .offset:         76
        .size:           4
        .value_kind:     by_value
      - .offset:         80
        .size:           4
        .value_kind:     by_value
      - .actual_access:  write_only
        .address_space:  global
        .offset:         88
        .size:           8
        .value_kind:     global_buffer
      - .actual_access:  write_only
        .address_space:  global
        .offset:         96
        .size:           8
        .value_kind:     global_buffer
      - .actual_access:  write_only
        .address_space:  global
        .offset:         104
        .size:           8
        .value_kind:     global_buffer
      - .actual_access:  read_only
        .address_space:  global
        .offset:         112
        .size:           8
        .value_kind:     global_buffer
      - .offset:         120
        .size:           4
        .value_kind:     by_value
      - .address_space:  global
        .offset:         128
        .size:           8
        .value_kind:     global_buffer
      - .address_space:  global
        .offset:         136
        .size:           8
        .value_kind:     global_buffer
      - .offset:         144
        .size:           4
        .value_kind:     hidden_block_count_x
      - .offset:         148
        .size:           4
        .value_kind:     hidden_block_count_y
      - .offset:         152
        .size:           4
        .value_kind:     hidden_block_count_z
      - .offset:         156
        .size:           2
        .value_kind:     hidden_group_size_x
      - .offset:         158
        .size:           2
        .value_kind:     hidden_group_size_y
      - .offset:         160
        .size:           2
        .value_kind:     hidden_group_size_z
      - .offset:         162
        .size:           2
        .value_kind:     hidden_remainder_x
      - .offset:         164
        .size:           2
        .value_kind:     hidden_remainder_y
      - .offset:         166
        .size:           2
        .value_kind:     hidden_remainder_z
      - .offset:         184
        .size:           8
        .value_kind:     hidden_global_offset_x
      - .offset:         192
        .size:           8
        .value_kind:     hidden_global_offset_y
      - .offset:         200
        .size:           8
        .value_kind:     hidden_global_offset_z
      - .offset:         208
        .size:           2
        .value_kind:     hidden_grid_dims
    .group_segment_fixed_size: 17472
    .kernarg_segment_align: 8
    .kernarg_segment_size: 400
    .language:       OpenCL C
    .language_version:
      - 2
      - 0
    .max_flat_workgroup_size: 256
    .name:           _Z39paged_attention_ll4mi_QKV_mfma16_kernelI14__hip_bfloat16hLN4vllm18Fp8KVCacheDataTypeE1EhLi16ELi128ELi256ELb1ELi10EL8MFMAType1EEvPKT_PKT0_S9_ifPKiSB_SB_iPKfiiiPfSE_PS4_PT2_iSD_SD_
    .private_segment_fixed_size: 0
    .sgpr_count:     38
    .sgpr_spill_count: 0
    .symbol:         _Z39paged_attention_ll4mi_QKV_mfma16_kernelI14__hip_bfloat16hLN4vllm18Fp8KVCacheDataTypeE1EhLi16ELi128ELi256ELb1ELi10EL8MFMAType1EEvPKT_PKT0_S9_ifPKiSB_SB_iPKfiiiPfSE_PS4_PT2_iSD_SD_.kd
    .uniform_work_group_size: 1
    .uses_dynamic_stack: false
    .vgpr_count:     140
    .vgpr_spill_count: 0
    .wavefront_size: 32
    .workgroup_processor_mode: 1
  - .args:
      - .actual_access:  read_only
        .address_space:  global
        .offset:         0
        .size:           8
        .value_kind:     global_buffer
      - .actual_access:  read_only
        .address_space:  global
        .offset:         8
        .size:           8
        .value_kind:     global_buffer
      - .actual_access:  read_only
        .address_space:  global
        .offset:         16
        .size:           8
        .value_kind:     global_buffer
      - .offset:         24
        .size:           4
        .value_kind:     by_value
      - .offset:         28
        .size:           4
        .value_kind:     by_value
      - .actual_access:  read_only
        .address_space:  global
        .offset:         32
        .size:           8
        .value_kind:     global_buffer
      - .actual_access:  read_only
        .address_space:  global
        .offset:         40
        .size:           8
        .value_kind:     global_buffer
      - .actual_access:  read_only
        .address_space:  global
        .offset:         48
        .size:           8
        .value_kind:     global_buffer
      - .offset:         56
        .size:           4
        .value_kind:     by_value
      - .actual_access:  read_only
        .address_space:  global
        .offset:         64
        .size:           8
        .value_kind:     global_buffer
      - .offset:         72
        .size:           4
        .value_kind:     by_value
      - .offset:         76
        .size:           4
        .value_kind:     by_value
      - .offset:         80
        .size:           4
        .value_kind:     by_value
      - .actual_access:  write_only
        .address_space:  global
        .offset:         88
        .size:           8
        .value_kind:     global_buffer
      - .actual_access:  write_only
        .address_space:  global
        .offset:         96
        .size:           8
        .value_kind:     global_buffer
      - .actual_access:  write_only
        .address_space:  global
        .offset:         104
        .size:           8
        .value_kind:     global_buffer
      - .actual_access:  read_only
        .address_space:  global
        .offset:         112
        .size:           8
        .value_kind:     global_buffer
      - .offset:         120
        .size:           4
        .value_kind:     by_value
      - .address_space:  global
        .offset:         128
        .size:           8
        .value_kind:     global_buffer
      - .address_space:  global
        .offset:         136
        .size:           8
        .value_kind:     global_buffer
      - .offset:         144
        .size:           4
        .value_kind:     hidden_block_count_x
      - .offset:         148
        .size:           4
        .value_kind:     hidden_block_count_y
      - .offset:         152
        .size:           4
        .value_kind:     hidden_block_count_z
      - .offset:         156
        .size:           2
        .value_kind:     hidden_group_size_x
      - .offset:         158
        .size:           2
        .value_kind:     hidden_group_size_y
      - .offset:         160
        .size:           2
        .value_kind:     hidden_group_size_z
      - .offset:         162
        .size:           2
        .value_kind:     hidden_remainder_x
      - .offset:         164
        .size:           2
        .value_kind:     hidden_remainder_y
      - .offset:         166
        .size:           2
        .value_kind:     hidden_remainder_z
      - .offset:         184
        .size:           8
        .value_kind:     hidden_global_offset_x
      - .offset:         192
        .size:           8
        .value_kind:     hidden_global_offset_y
      - .offset:         200
        .size:           8
        .value_kind:     hidden_global_offset_z
      - .offset:         208
        .size:           2
        .value_kind:     hidden_grid_dims
    .group_segment_fixed_size: 17472
    .kernarg_segment_align: 8
    .kernarg_segment_size: 400
    .language:       OpenCL C
    .language_version:
      - 2
      - 0
    .max_flat_workgroup_size: 256
    .name:           _Z39paged_attention_ll4mi_QKV_mfma16_kernelI14__hip_bfloat16hLN4vllm18Fp8KVCacheDataTypeE1EhLi16ELi128ELi256ELb1ELi11EL8MFMAType1EEvPKT_PKT0_S9_ifPKiSB_SB_iPKfiiiPfSE_PS4_PT2_iSD_SD_
    .private_segment_fixed_size: 0
    .sgpr_count:     38
    .sgpr_spill_count: 0
    .symbol:         _Z39paged_attention_ll4mi_QKV_mfma16_kernelI14__hip_bfloat16hLN4vllm18Fp8KVCacheDataTypeE1EhLi16ELi128ELi256ELb1ELi11EL8MFMAType1EEvPKT_PKT0_S9_ifPKiSB_SB_iPKfiiiPfSE_PS4_PT2_iSD_SD_.kd
    .uniform_work_group_size: 1
    .uses_dynamic_stack: false
    .vgpr_count:     140
    .vgpr_spill_count: 0
    .wavefront_size: 32
    .workgroup_processor_mode: 1
  - .args:
      - .actual_access:  read_only
        .address_space:  global
        .offset:         0
        .size:           8
        .value_kind:     global_buffer
      - .actual_access:  read_only
        .address_space:  global
        .offset:         8
        .size:           8
        .value_kind:     global_buffer
      - .actual_access:  read_only
        .address_space:  global
        .offset:         16
        .size:           8
        .value_kind:     global_buffer
      - .offset:         24
        .size:           4
        .value_kind:     by_value
      - .offset:         28
        .size:           4
        .value_kind:     by_value
      - .actual_access:  read_only
        .address_space:  global
        .offset:         32
        .size:           8
        .value_kind:     global_buffer
      - .actual_access:  read_only
        .address_space:  global
        .offset:         40
        .size:           8
        .value_kind:     global_buffer
      - .actual_access:  read_only
        .address_space:  global
        .offset:         48
        .size:           8
        .value_kind:     global_buffer
      - .offset:         56
        .size:           4
        .value_kind:     by_value
      - .actual_access:  read_only
        .address_space:  global
        .offset:         64
        .size:           8
        .value_kind:     global_buffer
      - .offset:         72
        .size:           4
        .value_kind:     by_value
      - .offset:         76
        .size:           4
        .value_kind:     by_value
      - .offset:         80
        .size:           4
        .value_kind:     by_value
      - .actual_access:  write_only
        .address_space:  global
        .offset:         88
        .size:           8
        .value_kind:     global_buffer
      - .actual_access:  write_only
        .address_space:  global
        .offset:         96
        .size:           8
        .value_kind:     global_buffer
      - .actual_access:  write_only
        .address_space:  global
        .offset:         104
        .size:           8
        .value_kind:     global_buffer
      - .actual_access:  read_only
        .address_space:  global
        .offset:         112
        .size:           8
        .value_kind:     global_buffer
      - .offset:         120
        .size:           4
        .value_kind:     by_value
      - .address_space:  global
        .offset:         128
        .size:           8
        .value_kind:     global_buffer
      - .address_space:  global
        .offset:         136
        .size:           8
        .value_kind:     global_buffer
      - .offset:         144
        .size:           4
        .value_kind:     hidden_block_count_x
      - .offset:         148
        .size:           4
        .value_kind:     hidden_block_count_y
      - .offset:         152
        .size:           4
        .value_kind:     hidden_block_count_z
      - .offset:         156
        .size:           2
        .value_kind:     hidden_group_size_x
      - .offset:         158
        .size:           2
        .value_kind:     hidden_group_size_y
      - .offset:         160
        .size:           2
        .value_kind:     hidden_group_size_z
      - .offset:         162
        .size:           2
        .value_kind:     hidden_remainder_x
      - .offset:         164
        .size:           2
        .value_kind:     hidden_remainder_y
      - .offset:         166
        .size:           2
        .value_kind:     hidden_remainder_z
      - .offset:         184
        .size:           8
        .value_kind:     hidden_global_offset_x
      - .offset:         192
        .size:           8
        .value_kind:     hidden_global_offset_y
      - .offset:         200
        .size:           8
        .value_kind:     hidden_global_offset_z
      - .offset:         208
        .size:           2
        .value_kind:     hidden_grid_dims
    .group_segment_fixed_size: 17472
    .kernarg_segment_align: 8
    .kernarg_segment_size: 400
    .language:       OpenCL C
    .language_version:
      - 2
      - 0
    .max_flat_workgroup_size: 256
    .name:           _Z39paged_attention_ll4mi_QKV_mfma16_kernelI14__hip_bfloat16hLN4vllm18Fp8KVCacheDataTypeE1EhLi16ELi128ELi256ELb1ELi12EL8MFMAType1EEvPKT_PKT0_S9_ifPKiSB_SB_iPKfiiiPfSE_PS4_PT2_iSD_SD_
    .private_segment_fixed_size: 0
    .sgpr_count:     38
    .sgpr_spill_count: 0
    .symbol:         _Z39paged_attention_ll4mi_QKV_mfma16_kernelI14__hip_bfloat16hLN4vllm18Fp8KVCacheDataTypeE1EhLi16ELi128ELi256ELb1ELi12EL8MFMAType1EEvPKT_PKT0_S9_ifPKiSB_SB_iPKfiiiPfSE_PS4_PT2_iSD_SD_.kd
    .uniform_work_group_size: 1
    .uses_dynamic_stack: false
    .vgpr_count:     140
    .vgpr_spill_count: 0
    .wavefront_size: 32
    .workgroup_processor_mode: 1
  - .args:
      - .actual_access:  read_only
        .address_space:  global
        .offset:         0
        .size:           8
        .value_kind:     global_buffer
      - .actual_access:  read_only
        .address_space:  global
        .offset:         8
        .size:           8
        .value_kind:     global_buffer
      - .actual_access:  read_only
        .address_space:  global
        .offset:         16
        .size:           8
        .value_kind:     global_buffer
      - .offset:         24
        .size:           4
        .value_kind:     by_value
      - .offset:         28
        .size:           4
        .value_kind:     by_value
      - .actual_access:  read_only
        .address_space:  global
        .offset:         32
        .size:           8
        .value_kind:     global_buffer
      - .actual_access:  read_only
        .address_space:  global
        .offset:         40
        .size:           8
        .value_kind:     global_buffer
      - .actual_access:  read_only
        .address_space:  global
        .offset:         48
        .size:           8
        .value_kind:     global_buffer
      - .offset:         56
        .size:           4
        .value_kind:     by_value
      - .actual_access:  read_only
        .address_space:  global
        .offset:         64
        .size:           8
        .value_kind:     global_buffer
      - .offset:         72
        .size:           4
        .value_kind:     by_value
      - .offset:         76
        .size:           4
        .value_kind:     by_value
      - .offset:         80
        .size:           4
        .value_kind:     by_value
      - .actual_access:  write_only
        .address_space:  global
        .offset:         88
        .size:           8
        .value_kind:     global_buffer
      - .actual_access:  write_only
        .address_space:  global
        .offset:         96
        .size:           8
        .value_kind:     global_buffer
      - .actual_access:  write_only
        .address_space:  global
        .offset:         104
        .size:           8
        .value_kind:     global_buffer
      - .actual_access:  read_only
        .address_space:  global
        .offset:         112
        .size:           8
        .value_kind:     global_buffer
      - .offset:         120
        .size:           4
        .value_kind:     by_value
      - .address_space:  global
        .offset:         128
        .size:           8
        .value_kind:     global_buffer
      - .address_space:  global
        .offset:         136
        .size:           8
        .value_kind:     global_buffer
      - .offset:         144
        .size:           4
        .value_kind:     hidden_block_count_x
      - .offset:         148
        .size:           4
        .value_kind:     hidden_block_count_y
      - .offset:         152
        .size:           4
        .value_kind:     hidden_block_count_z
      - .offset:         156
        .size:           2
        .value_kind:     hidden_group_size_x
      - .offset:         158
        .size:           2
        .value_kind:     hidden_group_size_y
      - .offset:         160
        .size:           2
        .value_kind:     hidden_group_size_z
      - .offset:         162
        .size:           2
        .value_kind:     hidden_remainder_x
      - .offset:         164
        .size:           2
        .value_kind:     hidden_remainder_y
      - .offset:         166
        .size:           2
        .value_kind:     hidden_remainder_z
      - .offset:         184
        .size:           8
        .value_kind:     hidden_global_offset_x
      - .offset:         192
        .size:           8
        .value_kind:     hidden_global_offset_y
      - .offset:         200
        .size:           8
        .value_kind:     hidden_global_offset_z
      - .offset:         208
        .size:           2
        .value_kind:     hidden_grid_dims
    .group_segment_fixed_size: 17472
    .kernarg_segment_align: 8
    .kernarg_segment_size: 400
    .language:       OpenCL C
    .language_version:
      - 2
      - 0
    .max_flat_workgroup_size: 256
    .name:           _Z39paged_attention_ll4mi_QKV_mfma16_kernelI14__hip_bfloat16hLN4vllm18Fp8KVCacheDataTypeE1EhLi16ELi128ELi256ELb1ELi13EL8MFMAType1EEvPKT_PKT0_S9_ifPKiSB_SB_iPKfiiiPfSE_PS4_PT2_iSD_SD_
    .private_segment_fixed_size: 0
    .sgpr_count:     38
    .sgpr_spill_count: 0
    .symbol:         _Z39paged_attention_ll4mi_QKV_mfma16_kernelI14__hip_bfloat16hLN4vllm18Fp8KVCacheDataTypeE1EhLi16ELi128ELi256ELb1ELi13EL8MFMAType1EEvPKT_PKT0_S9_ifPKiSB_SB_iPKfiiiPfSE_PS4_PT2_iSD_SD_.kd
    .uniform_work_group_size: 1
    .uses_dynamic_stack: false
    .vgpr_count:     140
    .vgpr_spill_count: 0
    .wavefront_size: 32
    .workgroup_processor_mode: 1
  - .args:
      - .actual_access:  read_only
        .address_space:  global
        .offset:         0
        .size:           8
        .value_kind:     global_buffer
      - .actual_access:  read_only
        .address_space:  global
        .offset:         8
        .size:           8
        .value_kind:     global_buffer
      - .actual_access:  read_only
        .address_space:  global
        .offset:         16
        .size:           8
        .value_kind:     global_buffer
      - .offset:         24
        .size:           4
        .value_kind:     by_value
      - .offset:         28
        .size:           4
        .value_kind:     by_value
      - .actual_access:  read_only
        .address_space:  global
        .offset:         32
        .size:           8
        .value_kind:     global_buffer
      - .actual_access:  read_only
        .address_space:  global
        .offset:         40
        .size:           8
        .value_kind:     global_buffer
      - .actual_access:  read_only
        .address_space:  global
        .offset:         48
        .size:           8
        .value_kind:     global_buffer
      - .offset:         56
        .size:           4
        .value_kind:     by_value
      - .actual_access:  read_only
        .address_space:  global
        .offset:         64
        .size:           8
        .value_kind:     global_buffer
      - .offset:         72
        .size:           4
        .value_kind:     by_value
      - .offset:         76
        .size:           4
        .value_kind:     by_value
      - .offset:         80
        .size:           4
        .value_kind:     by_value
      - .actual_access:  write_only
        .address_space:  global
        .offset:         88
        .size:           8
        .value_kind:     global_buffer
      - .actual_access:  write_only
        .address_space:  global
        .offset:         96
        .size:           8
        .value_kind:     global_buffer
      - .actual_access:  write_only
        .address_space:  global
        .offset:         104
        .size:           8
        .value_kind:     global_buffer
      - .actual_access:  read_only
        .address_space:  global
        .offset:         112
        .size:           8
        .value_kind:     global_buffer
      - .offset:         120
        .size:           4
        .value_kind:     by_value
      - .address_space:  global
        .offset:         128
        .size:           8
        .value_kind:     global_buffer
      - .address_space:  global
        .offset:         136
        .size:           8
        .value_kind:     global_buffer
      - .offset:         144
        .size:           4
        .value_kind:     hidden_block_count_x
      - .offset:         148
        .size:           4
        .value_kind:     hidden_block_count_y
      - .offset:         152
        .size:           4
        .value_kind:     hidden_block_count_z
      - .offset:         156
        .size:           2
        .value_kind:     hidden_group_size_x
      - .offset:         158
        .size:           2
        .value_kind:     hidden_group_size_y
      - .offset:         160
        .size:           2
        .value_kind:     hidden_group_size_z
      - .offset:         162
        .size:           2
        .value_kind:     hidden_remainder_x
      - .offset:         164
        .size:           2
        .value_kind:     hidden_remainder_y
      - .offset:         166
        .size:           2
        .value_kind:     hidden_remainder_z
      - .offset:         184
        .size:           8
        .value_kind:     hidden_global_offset_x
      - .offset:         192
        .size:           8
        .value_kind:     hidden_global_offset_y
      - .offset:         200
        .size:           8
        .value_kind:     hidden_global_offset_z
      - .offset:         208
        .size:           2
        .value_kind:     hidden_grid_dims
    .group_segment_fixed_size: 17472
    .kernarg_segment_align: 8
    .kernarg_segment_size: 400
    .language:       OpenCL C
    .language_version:
      - 2
      - 0
    .max_flat_workgroup_size: 256
    .name:           _Z39paged_attention_ll4mi_QKV_mfma16_kernelI14__hip_bfloat16hLN4vllm18Fp8KVCacheDataTypeE1EhLi16ELi128ELi256ELb1ELi14EL8MFMAType1EEvPKT_PKT0_S9_ifPKiSB_SB_iPKfiiiPfSE_PS4_PT2_iSD_SD_
    .private_segment_fixed_size: 0
    .sgpr_count:     38
    .sgpr_spill_count: 0
    .symbol:         _Z39paged_attention_ll4mi_QKV_mfma16_kernelI14__hip_bfloat16hLN4vllm18Fp8KVCacheDataTypeE1EhLi16ELi128ELi256ELb1ELi14EL8MFMAType1EEvPKT_PKT0_S9_ifPKiSB_SB_iPKfiiiPfSE_PS4_PT2_iSD_SD_.kd
    .uniform_work_group_size: 1
    .uses_dynamic_stack: false
    .vgpr_count:     140
    .vgpr_spill_count: 0
    .wavefront_size: 32
    .workgroup_processor_mode: 1
  - .args:
      - .actual_access:  read_only
        .address_space:  global
        .offset:         0
        .size:           8
        .value_kind:     global_buffer
      - .actual_access:  read_only
        .address_space:  global
        .offset:         8
        .size:           8
        .value_kind:     global_buffer
      - .actual_access:  read_only
        .address_space:  global
        .offset:         16
        .size:           8
        .value_kind:     global_buffer
      - .offset:         24
        .size:           4
        .value_kind:     by_value
      - .offset:         28
        .size:           4
        .value_kind:     by_value
      - .actual_access:  read_only
        .address_space:  global
        .offset:         32
        .size:           8
        .value_kind:     global_buffer
      - .actual_access:  read_only
        .address_space:  global
        .offset:         40
        .size:           8
        .value_kind:     global_buffer
      - .actual_access:  read_only
        .address_space:  global
        .offset:         48
        .size:           8
        .value_kind:     global_buffer
      - .offset:         56
        .size:           4
        .value_kind:     by_value
      - .actual_access:  read_only
        .address_space:  global
        .offset:         64
        .size:           8
        .value_kind:     global_buffer
      - .offset:         72
        .size:           4
        .value_kind:     by_value
      - .offset:         76
        .size:           4
        .value_kind:     by_value
      - .offset:         80
        .size:           4
        .value_kind:     by_value
      - .actual_access:  write_only
        .address_space:  global
        .offset:         88
        .size:           8
        .value_kind:     global_buffer
      - .actual_access:  write_only
        .address_space:  global
        .offset:         96
        .size:           8
        .value_kind:     global_buffer
      - .actual_access:  write_only
        .address_space:  global
        .offset:         104
        .size:           8
        .value_kind:     global_buffer
      - .actual_access:  read_only
        .address_space:  global
        .offset:         112
        .size:           8
        .value_kind:     global_buffer
      - .offset:         120
        .size:           4
        .value_kind:     by_value
      - .address_space:  global
        .offset:         128
        .size:           8
        .value_kind:     global_buffer
      - .address_space:  global
        .offset:         136
        .size:           8
        .value_kind:     global_buffer
      - .offset:         144
        .size:           4
        .value_kind:     hidden_block_count_x
      - .offset:         148
        .size:           4
        .value_kind:     hidden_block_count_y
      - .offset:         152
        .size:           4
        .value_kind:     hidden_block_count_z
      - .offset:         156
        .size:           2
        .value_kind:     hidden_group_size_x
      - .offset:         158
        .size:           2
        .value_kind:     hidden_group_size_y
      - .offset:         160
        .size:           2
        .value_kind:     hidden_group_size_z
      - .offset:         162
        .size:           2
        .value_kind:     hidden_remainder_x
      - .offset:         164
        .size:           2
        .value_kind:     hidden_remainder_y
      - .offset:         166
        .size:           2
        .value_kind:     hidden_remainder_z
      - .offset:         184
        .size:           8
        .value_kind:     hidden_global_offset_x
      - .offset:         192
        .size:           8
        .value_kind:     hidden_global_offset_y
      - .offset:         200
        .size:           8
        .value_kind:     hidden_global_offset_z
      - .offset:         208
        .size:           2
        .value_kind:     hidden_grid_dims
    .group_segment_fixed_size: 17472
    .kernarg_segment_align: 8
    .kernarg_segment_size: 400
    .language:       OpenCL C
    .language_version:
      - 2
      - 0
    .max_flat_workgroup_size: 256
    .name:           _Z39paged_attention_ll4mi_QKV_mfma16_kernelI14__hip_bfloat16hLN4vllm18Fp8KVCacheDataTypeE1EhLi16ELi128ELi256ELb1ELi15EL8MFMAType1EEvPKT_PKT0_S9_ifPKiSB_SB_iPKfiiiPfSE_PS4_PT2_iSD_SD_
    .private_segment_fixed_size: 0
    .sgpr_count:     38
    .sgpr_spill_count: 0
    .symbol:         _Z39paged_attention_ll4mi_QKV_mfma16_kernelI14__hip_bfloat16hLN4vllm18Fp8KVCacheDataTypeE1EhLi16ELi128ELi256ELb1ELi15EL8MFMAType1EEvPKT_PKT0_S9_ifPKiSB_SB_iPKfiiiPfSE_PS4_PT2_iSD_SD_.kd
    .uniform_work_group_size: 1
    .uses_dynamic_stack: false
    .vgpr_count:     140
    .vgpr_spill_count: 0
    .wavefront_size: 32
    .workgroup_processor_mode: 1
  - .args:
      - .actual_access:  read_only
        .address_space:  global
        .offset:         0
        .size:           8
        .value_kind:     global_buffer
      - .actual_access:  read_only
        .address_space:  global
        .offset:         8
        .size:           8
        .value_kind:     global_buffer
      - .actual_access:  read_only
        .address_space:  global
        .offset:         16
        .size:           8
        .value_kind:     global_buffer
      - .offset:         24
        .size:           4
        .value_kind:     by_value
      - .offset:         28
        .size:           4
        .value_kind:     by_value
      - .actual_access:  read_only
        .address_space:  global
        .offset:         32
        .size:           8
        .value_kind:     global_buffer
      - .actual_access:  read_only
        .address_space:  global
        .offset:         40
        .size:           8
        .value_kind:     global_buffer
      - .actual_access:  read_only
        .address_space:  global
        .offset:         48
        .size:           8
        .value_kind:     global_buffer
      - .offset:         56
        .size:           4
        .value_kind:     by_value
      - .actual_access:  read_only
        .address_space:  global
        .offset:         64
        .size:           8
        .value_kind:     global_buffer
      - .offset:         72
        .size:           4
        .value_kind:     by_value
      - .offset:         76
        .size:           4
        .value_kind:     by_value
      - .offset:         80
        .size:           4
        .value_kind:     by_value
      - .actual_access:  write_only
        .address_space:  global
        .offset:         88
        .size:           8
        .value_kind:     global_buffer
      - .actual_access:  write_only
        .address_space:  global
        .offset:         96
        .size:           8
        .value_kind:     global_buffer
      - .actual_access:  write_only
        .address_space:  global
        .offset:         104
        .size:           8
        .value_kind:     global_buffer
      - .actual_access:  read_only
        .address_space:  global
        .offset:         112
        .size:           8
        .value_kind:     global_buffer
      - .offset:         120
        .size:           4
        .value_kind:     by_value
      - .address_space:  global
        .offset:         128
        .size:           8
        .value_kind:     global_buffer
      - .address_space:  global
        .offset:         136
        .size:           8
        .value_kind:     global_buffer
      - .offset:         144
        .size:           4
        .value_kind:     hidden_block_count_x
      - .offset:         148
        .size:           4
        .value_kind:     hidden_block_count_y
      - .offset:         152
        .size:           4
        .value_kind:     hidden_block_count_z
      - .offset:         156
        .size:           2
        .value_kind:     hidden_group_size_x
      - .offset:         158
        .size:           2
        .value_kind:     hidden_group_size_y
      - .offset:         160
        .size:           2
        .value_kind:     hidden_group_size_z
      - .offset:         162
        .size:           2
        .value_kind:     hidden_remainder_x
      - .offset:         164
        .size:           2
        .value_kind:     hidden_remainder_y
      - .offset:         166
        .size:           2
        .value_kind:     hidden_remainder_z
      - .offset:         184
        .size:           8
        .value_kind:     hidden_global_offset_x
      - .offset:         192
        .size:           8
        .value_kind:     hidden_global_offset_y
      - .offset:         200
        .size:           8
        .value_kind:     hidden_global_offset_z
      - .offset:         208
        .size:           2
        .value_kind:     hidden_grid_dims
    .group_segment_fixed_size: 17472
    .kernarg_segment_align: 8
    .kernarg_segment_size: 400
    .language:       OpenCL C
    .language_version:
      - 2
      - 0
    .max_flat_workgroup_size: 256
    .name:           _Z39paged_attention_ll4mi_QKV_mfma16_kernelI14__hip_bfloat16hLN4vllm18Fp8KVCacheDataTypeE1EhLi16ELi128ELi256ELb1ELi16EL8MFMAType1EEvPKT_PKT0_S9_ifPKiSB_SB_iPKfiiiPfSE_PS4_PT2_iSD_SD_
    .private_segment_fixed_size: 0
    .sgpr_count:     38
    .sgpr_spill_count: 0
    .symbol:         _Z39paged_attention_ll4mi_QKV_mfma16_kernelI14__hip_bfloat16hLN4vllm18Fp8KVCacheDataTypeE1EhLi16ELi128ELi256ELb1ELi16EL8MFMAType1EEvPKT_PKT0_S9_ifPKiSB_SB_iPKfiiiPfSE_PS4_PT2_iSD_SD_.kd
    .uniform_work_group_size: 1
    .uses_dynamic_stack: false
    .vgpr_count:     141
    .vgpr_spill_count: 0
    .wavefront_size: 32
    .workgroup_processor_mode: 1
  - .args:
      - .actual_access:  read_only
        .address_space:  global
        .offset:         0
        .size:           8
        .value_kind:     global_buffer
      - .actual_access:  read_only
        .address_space:  global
        .offset:         8
        .size:           8
        .value_kind:     global_buffer
      - .actual_access:  read_only
        .address_space:  global
        .offset:         16
        .size:           8
        .value_kind:     global_buffer
      - .offset:         24
        .size:           4
        .value_kind:     by_value
      - .offset:         28
        .size:           4
        .value_kind:     by_value
      - .actual_access:  read_only
        .address_space:  global
        .offset:         32
        .size:           8
        .value_kind:     global_buffer
      - .actual_access:  read_only
        .address_space:  global
        .offset:         40
        .size:           8
        .value_kind:     global_buffer
      - .actual_access:  read_only
        .address_space:  global
        .offset:         48
        .size:           8
        .value_kind:     global_buffer
      - .offset:         56
        .size:           4
        .value_kind:     by_value
      - .actual_access:  read_only
        .address_space:  global
        .offset:         64
        .size:           8
        .value_kind:     global_buffer
      - .offset:         72
        .size:           4
        .value_kind:     by_value
      - .offset:         76
        .size:           4
        .value_kind:     by_value
      - .offset:         80
        .size:           4
        .value_kind:     by_value
      - .actual_access:  write_only
        .address_space:  global
        .offset:         88
        .size:           8
        .value_kind:     global_buffer
      - .actual_access:  write_only
        .address_space:  global
        .offset:         96
        .size:           8
        .value_kind:     global_buffer
      - .actual_access:  write_only
        .address_space:  global
        .offset:         104
        .size:           8
        .value_kind:     global_buffer
      - .actual_access:  read_only
        .address_space:  global
        .offset:         112
        .size:           8
        .value_kind:     global_buffer
      - .offset:         120
        .size:           4
        .value_kind:     by_value
      - .address_space:  global
        .offset:         128
        .size:           8
        .value_kind:     global_buffer
      - .address_space:  global
        .offset:         136
        .size:           8
        .value_kind:     global_buffer
      - .offset:         144
        .size:           4
        .value_kind:     hidden_block_count_x
      - .offset:         148
        .size:           4
        .value_kind:     hidden_block_count_y
      - .offset:         152
        .size:           4
        .value_kind:     hidden_block_count_z
      - .offset:         156
        .size:           2
        .value_kind:     hidden_group_size_x
      - .offset:         158
        .size:           2
        .value_kind:     hidden_group_size_y
      - .offset:         160
        .size:           2
        .value_kind:     hidden_group_size_z
      - .offset:         162
        .size:           2
        .value_kind:     hidden_remainder_x
      - .offset:         164
        .size:           2
        .value_kind:     hidden_remainder_y
      - .offset:         166
        .size:           2
        .value_kind:     hidden_remainder_z
      - .offset:         184
        .size:           8
        .value_kind:     hidden_global_offset_x
      - .offset:         192
        .size:           8
        .value_kind:     hidden_global_offset_y
      - .offset:         200
        .size:           8
        .value_kind:     hidden_global_offset_z
      - .offset:         208
        .size:           2
        .value_kind:     hidden_grid_dims
    .group_segment_fixed_size: 17472
    .kernarg_segment_align: 8
    .kernarg_segment_size: 400
    .language:       OpenCL C
    .language_version:
      - 2
      - 0
    .max_flat_workgroup_size: 256
    .name:           _Z39paged_attention_ll4mi_QKV_mfma16_kernelI14__hip_bfloat16hLN4vllm18Fp8KVCacheDataTypeE1EhLi16ELi128ELi256ELb1ELi1EL8MFMAType1EEvPKT_PKT0_S9_ifPKiSB_SB_iPKfiiiPfSE_PS4_PT2_iSD_SD_
    .private_segment_fixed_size: 0
    .sgpr_count:     68
    .sgpr_spill_count: 0
    .symbol:         _Z39paged_attention_ll4mi_QKV_mfma16_kernelI14__hip_bfloat16hLN4vllm18Fp8KVCacheDataTypeE1EhLi16ELi128ELi256ELb1ELi1EL8MFMAType1EEvPKT_PKT0_S9_ifPKiSB_SB_iPKfiiiPfSE_PS4_PT2_iSD_SD_.kd
    .uniform_work_group_size: 1
    .uses_dynamic_stack: false
    .vgpr_count:     138
    .vgpr_spill_count: 0
    .wavefront_size: 32
    .workgroup_processor_mode: 1
  - .args:
      - .actual_access:  read_only
        .address_space:  global
        .offset:         0
        .size:           8
        .value_kind:     global_buffer
      - .actual_access:  read_only
        .address_space:  global
        .offset:         8
        .size:           8
        .value_kind:     global_buffer
      - .actual_access:  read_only
        .address_space:  global
        .offset:         16
        .size:           8
        .value_kind:     global_buffer
      - .offset:         24
        .size:           4
        .value_kind:     by_value
      - .offset:         28
        .size:           4
        .value_kind:     by_value
      - .actual_access:  read_only
        .address_space:  global
        .offset:         32
        .size:           8
        .value_kind:     global_buffer
      - .actual_access:  read_only
        .address_space:  global
        .offset:         40
        .size:           8
        .value_kind:     global_buffer
      - .actual_access:  read_only
        .address_space:  global
        .offset:         48
        .size:           8
        .value_kind:     global_buffer
      - .offset:         56
        .size:           4
        .value_kind:     by_value
      - .actual_access:  read_only
        .address_space:  global
        .offset:         64
        .size:           8
        .value_kind:     global_buffer
      - .offset:         72
        .size:           4
        .value_kind:     by_value
      - .offset:         76
        .size:           4
        .value_kind:     by_value
      - .offset:         80
        .size:           4
        .value_kind:     by_value
      - .actual_access:  write_only
        .address_space:  global
        .offset:         88
        .size:           8
        .value_kind:     global_buffer
      - .actual_access:  write_only
        .address_space:  global
        .offset:         96
        .size:           8
        .value_kind:     global_buffer
      - .actual_access:  write_only
        .address_space:  global
        .offset:         104
        .size:           8
        .value_kind:     global_buffer
      - .actual_access:  read_only
        .address_space:  global
        .offset:         112
        .size:           8
        .value_kind:     global_buffer
      - .offset:         120
        .size:           4
        .value_kind:     by_value
      - .address_space:  global
        .offset:         128
        .size:           8
        .value_kind:     global_buffer
      - .address_space:  global
        .offset:         136
        .size:           8
        .value_kind:     global_buffer
      - .offset:         144
        .size:           4
        .value_kind:     hidden_block_count_x
      - .offset:         148
        .size:           4
        .value_kind:     hidden_block_count_y
      - .offset:         152
        .size:           4
        .value_kind:     hidden_block_count_z
      - .offset:         156
        .size:           2
        .value_kind:     hidden_group_size_x
      - .offset:         158
        .size:           2
        .value_kind:     hidden_group_size_y
      - .offset:         160
        .size:           2
        .value_kind:     hidden_group_size_z
      - .offset:         162
        .size:           2
        .value_kind:     hidden_remainder_x
      - .offset:         164
        .size:           2
        .value_kind:     hidden_remainder_y
      - .offset:         166
        .size:           2
        .value_kind:     hidden_remainder_z
      - .offset:         184
        .size:           8
        .value_kind:     hidden_global_offset_x
      - .offset:         192
        .size:           8
        .value_kind:     hidden_global_offset_y
      - .offset:         200
        .size:           8
        .value_kind:     hidden_global_offset_z
      - .offset:         208
        .size:           2
        .value_kind:     hidden_grid_dims
    .group_segment_fixed_size: 17472
    .kernarg_segment_align: 8
    .kernarg_segment_size: 400
    .language:       OpenCL C
    .language_version:
      - 2
      - 0
    .max_flat_workgroup_size: 256
    .name:           _Z39paged_attention_ll4mi_QKV_mfma16_kernelI14__hip_bfloat16hLN4vllm18Fp8KVCacheDataTypeE1EhLi16ELi128ELi256ELb1ELi2EL8MFMAType1EEvPKT_PKT0_S9_ifPKiSB_SB_iPKfiiiPfSE_PS4_PT2_iSD_SD_
    .private_segment_fixed_size: 0
    .sgpr_count:     38
    .sgpr_spill_count: 0
    .symbol:         _Z39paged_attention_ll4mi_QKV_mfma16_kernelI14__hip_bfloat16hLN4vllm18Fp8KVCacheDataTypeE1EhLi16ELi128ELi256ELb1ELi2EL8MFMAType1EEvPKT_PKT0_S9_ifPKiSB_SB_iPKfiiiPfSE_PS4_PT2_iSD_SD_.kd
    .uniform_work_group_size: 1
    .uses_dynamic_stack: false
    .vgpr_count:     138
    .vgpr_spill_count: 0
    .wavefront_size: 32
    .workgroup_processor_mode: 1
  - .args:
      - .actual_access:  read_only
        .address_space:  global
        .offset:         0
        .size:           8
        .value_kind:     global_buffer
      - .actual_access:  read_only
        .address_space:  global
        .offset:         8
        .size:           8
        .value_kind:     global_buffer
      - .actual_access:  read_only
        .address_space:  global
        .offset:         16
        .size:           8
        .value_kind:     global_buffer
      - .offset:         24
        .size:           4
        .value_kind:     by_value
      - .offset:         28
        .size:           4
        .value_kind:     by_value
      - .actual_access:  read_only
        .address_space:  global
        .offset:         32
        .size:           8
        .value_kind:     global_buffer
      - .actual_access:  read_only
        .address_space:  global
        .offset:         40
        .size:           8
        .value_kind:     global_buffer
      - .actual_access:  read_only
        .address_space:  global
        .offset:         48
        .size:           8
        .value_kind:     global_buffer
      - .offset:         56
        .size:           4
        .value_kind:     by_value
      - .actual_access:  read_only
        .address_space:  global
        .offset:         64
        .size:           8
        .value_kind:     global_buffer
      - .offset:         72
        .size:           4
        .value_kind:     by_value
      - .offset:         76
        .size:           4
        .value_kind:     by_value
      - .offset:         80
        .size:           4
        .value_kind:     by_value
      - .actual_access:  write_only
        .address_space:  global
        .offset:         88
        .size:           8
        .value_kind:     global_buffer
      - .actual_access:  write_only
        .address_space:  global
        .offset:         96
        .size:           8
        .value_kind:     global_buffer
      - .actual_access:  write_only
        .address_space:  global
        .offset:         104
        .size:           8
        .value_kind:     global_buffer
      - .actual_access:  read_only
        .address_space:  global
        .offset:         112
        .size:           8
        .value_kind:     global_buffer
      - .offset:         120
        .size:           4
        .value_kind:     by_value
      - .address_space:  global
        .offset:         128
        .size:           8
        .value_kind:     global_buffer
      - .address_space:  global
        .offset:         136
        .size:           8
        .value_kind:     global_buffer
      - .offset:         144
        .size:           4
        .value_kind:     hidden_block_count_x
      - .offset:         148
        .size:           4
        .value_kind:     hidden_block_count_y
      - .offset:         152
        .size:           4
        .value_kind:     hidden_block_count_z
      - .offset:         156
        .size:           2
        .value_kind:     hidden_group_size_x
      - .offset:         158
        .size:           2
        .value_kind:     hidden_group_size_y
      - .offset:         160
        .size:           2
        .value_kind:     hidden_group_size_z
      - .offset:         162
        .size:           2
        .value_kind:     hidden_remainder_x
      - .offset:         164
        .size:           2
        .value_kind:     hidden_remainder_y
      - .offset:         166
        .size:           2
        .value_kind:     hidden_remainder_z
      - .offset:         184
        .size:           8
        .value_kind:     hidden_global_offset_x
      - .offset:         192
        .size:           8
        .value_kind:     hidden_global_offset_y
      - .offset:         200
        .size:           8
        .value_kind:     hidden_global_offset_z
      - .offset:         208
        .size:           2
        .value_kind:     hidden_grid_dims
    .group_segment_fixed_size: 17472
    .kernarg_segment_align: 8
    .kernarg_segment_size: 400
    .language:       OpenCL C
    .language_version:
      - 2
      - 0
    .max_flat_workgroup_size: 256
    .name:           _Z39paged_attention_ll4mi_QKV_mfma16_kernelI14__hip_bfloat16hLN4vllm18Fp8KVCacheDataTypeE1EhLi16ELi128ELi256ELb1ELi3EL8MFMAType1EEvPKT_PKT0_S9_ifPKiSB_SB_iPKfiiiPfSE_PS4_PT2_iSD_SD_
    .private_segment_fixed_size: 0
    .sgpr_count:     38
    .sgpr_spill_count: 0
    .symbol:         _Z39paged_attention_ll4mi_QKV_mfma16_kernelI14__hip_bfloat16hLN4vllm18Fp8KVCacheDataTypeE1EhLi16ELi128ELi256ELb1ELi3EL8MFMAType1EEvPKT_PKT0_S9_ifPKiSB_SB_iPKfiiiPfSE_PS4_PT2_iSD_SD_.kd
    .uniform_work_group_size: 1
    .uses_dynamic_stack: false
    .vgpr_count:     140
    .vgpr_spill_count: 0
    .wavefront_size: 32
    .workgroup_processor_mode: 1
  - .args:
      - .actual_access:  read_only
        .address_space:  global
        .offset:         0
        .size:           8
        .value_kind:     global_buffer
      - .actual_access:  read_only
        .address_space:  global
        .offset:         8
        .size:           8
        .value_kind:     global_buffer
      - .actual_access:  read_only
        .address_space:  global
        .offset:         16
        .size:           8
        .value_kind:     global_buffer
      - .offset:         24
        .size:           4
        .value_kind:     by_value
      - .offset:         28
        .size:           4
        .value_kind:     by_value
      - .actual_access:  read_only
        .address_space:  global
        .offset:         32
        .size:           8
        .value_kind:     global_buffer
      - .actual_access:  read_only
        .address_space:  global
        .offset:         40
        .size:           8
        .value_kind:     global_buffer
      - .actual_access:  read_only
        .address_space:  global
        .offset:         48
        .size:           8
        .value_kind:     global_buffer
      - .offset:         56
        .size:           4
        .value_kind:     by_value
      - .actual_access:  read_only
        .address_space:  global
        .offset:         64
        .size:           8
        .value_kind:     global_buffer
      - .offset:         72
        .size:           4
        .value_kind:     by_value
      - .offset:         76
        .size:           4
        .value_kind:     by_value
      - .offset:         80
        .size:           4
        .value_kind:     by_value
      - .actual_access:  write_only
        .address_space:  global
        .offset:         88
        .size:           8
        .value_kind:     global_buffer
      - .actual_access:  write_only
        .address_space:  global
        .offset:         96
        .size:           8
        .value_kind:     global_buffer
      - .actual_access:  write_only
        .address_space:  global
        .offset:         104
        .size:           8
        .value_kind:     global_buffer
      - .actual_access:  read_only
        .address_space:  global
        .offset:         112
        .size:           8
        .value_kind:     global_buffer
      - .offset:         120
        .size:           4
        .value_kind:     by_value
      - .address_space:  global
        .offset:         128
        .size:           8
        .value_kind:     global_buffer
      - .address_space:  global
        .offset:         136
        .size:           8
        .value_kind:     global_buffer
      - .offset:         144
        .size:           4
        .value_kind:     hidden_block_count_x
      - .offset:         148
        .size:           4
        .value_kind:     hidden_block_count_y
      - .offset:         152
        .size:           4
        .value_kind:     hidden_block_count_z
      - .offset:         156
        .size:           2
        .value_kind:     hidden_group_size_x
      - .offset:         158
        .size:           2
        .value_kind:     hidden_group_size_y
      - .offset:         160
        .size:           2
        .value_kind:     hidden_group_size_z
      - .offset:         162
        .size:           2
        .value_kind:     hidden_remainder_x
      - .offset:         164
        .size:           2
        .value_kind:     hidden_remainder_y
      - .offset:         166
        .size:           2
        .value_kind:     hidden_remainder_z
      - .offset:         184
        .size:           8
        .value_kind:     hidden_global_offset_x
      - .offset:         192
        .size:           8
        .value_kind:     hidden_global_offset_y
      - .offset:         200
        .size:           8
        .value_kind:     hidden_global_offset_z
      - .offset:         208
        .size:           2
        .value_kind:     hidden_grid_dims
    .group_segment_fixed_size: 17472
    .kernarg_segment_align: 8
    .kernarg_segment_size: 400
    .language:       OpenCL C
    .language_version:
      - 2
      - 0
    .max_flat_workgroup_size: 256
    .name:           _Z39paged_attention_ll4mi_QKV_mfma16_kernelI14__hip_bfloat16hLN4vllm18Fp8KVCacheDataTypeE1EhLi16ELi128ELi256ELb1ELi4EL8MFMAType1EEvPKT_PKT0_S9_ifPKiSB_SB_iPKfiiiPfSE_PS4_PT2_iSD_SD_
    .private_segment_fixed_size: 0
    .sgpr_count:     38
    .sgpr_spill_count: 0
    .symbol:         _Z39paged_attention_ll4mi_QKV_mfma16_kernelI14__hip_bfloat16hLN4vllm18Fp8KVCacheDataTypeE1EhLi16ELi128ELi256ELb1ELi4EL8MFMAType1EEvPKT_PKT0_S9_ifPKiSB_SB_iPKfiiiPfSE_PS4_PT2_iSD_SD_.kd
    .uniform_work_group_size: 1
    .uses_dynamic_stack: false
    .vgpr_count:     140
    .vgpr_spill_count: 0
    .wavefront_size: 32
    .workgroup_processor_mode: 1
  - .args:
      - .actual_access:  read_only
        .address_space:  global
        .offset:         0
        .size:           8
        .value_kind:     global_buffer
      - .actual_access:  read_only
        .address_space:  global
        .offset:         8
        .size:           8
        .value_kind:     global_buffer
      - .actual_access:  read_only
        .address_space:  global
        .offset:         16
        .size:           8
        .value_kind:     global_buffer
      - .offset:         24
        .size:           4
        .value_kind:     by_value
      - .offset:         28
        .size:           4
        .value_kind:     by_value
      - .actual_access:  read_only
        .address_space:  global
        .offset:         32
        .size:           8
        .value_kind:     global_buffer
      - .actual_access:  read_only
        .address_space:  global
        .offset:         40
        .size:           8
        .value_kind:     global_buffer
      - .actual_access:  read_only
        .address_space:  global
        .offset:         48
        .size:           8
        .value_kind:     global_buffer
      - .offset:         56
        .size:           4
        .value_kind:     by_value
      - .actual_access:  read_only
        .address_space:  global
        .offset:         64
        .size:           8
        .value_kind:     global_buffer
      - .offset:         72
        .size:           4
        .value_kind:     by_value
      - .offset:         76
        .size:           4
        .value_kind:     by_value
      - .offset:         80
        .size:           4
        .value_kind:     by_value
      - .actual_access:  read_only
        .address_space:  global
        .offset:         88
        .size:           8
        .value_kind:     global_buffer
      - .actual_access:  read_only
        .address_space:  global
        .offset:         96
        .size:           8
        .value_kind:     global_buffer
      - .actual_access:  read_only
        .address_space:  global
        .offset:         104
        .size:           8
        .value_kind:     global_buffer
      - .actual_access:  read_only
        .address_space:  global
        .offset:         112
        .size:           8
        .value_kind:     global_buffer
      - .offset:         120
        .size:           4
        .value_kind:     by_value
      - .address_space:  global
        .offset:         128
        .size:           8
        .value_kind:     global_buffer
      - .address_space:  global
        .offset:         136
        .size:           8
        .value_kind:     global_buffer
      - .offset:         144
        .size:           4
        .value_kind:     hidden_block_count_x
      - .offset:         148
        .size:           4
        .value_kind:     hidden_block_count_y
      - .offset:         152
        .size:           4
        .value_kind:     hidden_block_count_z
      - .offset:         156
        .size:           2
        .value_kind:     hidden_group_size_x
      - .offset:         158
        .size:           2
        .value_kind:     hidden_group_size_y
      - .offset:         160
        .size:           2
        .value_kind:     hidden_group_size_z
      - .offset:         162
        .size:           2
        .value_kind:     hidden_remainder_x
      - .offset:         164
        .size:           2
        .value_kind:     hidden_remainder_y
      - .offset:         166
        .size:           2
        .value_kind:     hidden_remainder_z
      - .offset:         184
        .size:           8
        .value_kind:     hidden_global_offset_x
      - .offset:         192
        .size:           8
        .value_kind:     hidden_global_offset_y
      - .offset:         200
        .size:           8
        .value_kind:     hidden_global_offset_z
      - .offset:         208
        .size:           2
        .value_kind:     hidden_grid_dims
      - .offset:         224
        .size:           8
        .value_kind:     hidden_hostcall_buffer
    .group_segment_fixed_size: 0
    .kernarg_segment_align: 8
    .kernarg_segment_size: 400
    .language:       OpenCL C
    .language_version:
      - 2
      - 0
    .max_flat_workgroup_size: 256
    .name:           _Z38paged_attention_ll4mi_QKV_mfma4_kernelI14__hip_bfloat16hLN4vllm18Fp8KVCacheDataTypeE1EhLi16ELi128ELi256ELb0ELi1EEvPKT_PKT0_S8_ifPKiSA_SA_iPKfiiiPfSD_PS3_PT2_iSC_SC_
    .private_segment_fixed_size: 64
    .sgpr_count:     36
    .sgpr_spill_count: 0
    .symbol:         _Z38paged_attention_ll4mi_QKV_mfma4_kernelI14__hip_bfloat16hLN4vllm18Fp8KVCacheDataTypeE1EhLi16ELi128ELi256ELb0ELi1EEvPKT_PKT0_S8_ifPKiSA_SA_iPKfiiiPfSD_PS3_PT2_iSC_SC_.kd
    .uniform_work_group_size: 1
    .uses_dynamic_stack: false
    .vgpr_count:     41
    .vgpr_spill_count: 0
    .wavefront_size: 32
    .workgroup_processor_mode: 1
  - .args:
      - .actual_access:  read_only
        .address_space:  global
        .offset:         0
        .size:           8
        .value_kind:     global_buffer
      - .actual_access:  read_only
        .address_space:  global
        .offset:         8
        .size:           8
        .value_kind:     global_buffer
      - .actual_access:  read_only
        .address_space:  global
        .offset:         16
        .size:           8
        .value_kind:     global_buffer
      - .offset:         24
        .size:           4
        .value_kind:     by_value
      - .offset:         28
        .size:           4
        .value_kind:     by_value
      - .actual_access:  read_only
        .address_space:  global
        .offset:         32
        .size:           8
        .value_kind:     global_buffer
      - .actual_access:  read_only
        .address_space:  global
        .offset:         40
        .size:           8
        .value_kind:     global_buffer
      - .actual_access:  read_only
        .address_space:  global
        .offset:         48
        .size:           8
        .value_kind:     global_buffer
      - .offset:         56
        .size:           4
        .value_kind:     by_value
      - .actual_access:  read_only
        .address_space:  global
        .offset:         64
        .size:           8
        .value_kind:     global_buffer
      - .offset:         72
        .size:           4
        .value_kind:     by_value
      - .offset:         76
        .size:           4
        .value_kind:     by_value
      - .offset:         80
        .size:           4
        .value_kind:     by_value
      - .actual_access:  read_only
        .address_space:  global
        .offset:         88
        .size:           8
        .value_kind:     global_buffer
      - .actual_access:  read_only
        .address_space:  global
        .offset:         96
        .size:           8
        .value_kind:     global_buffer
      - .actual_access:  read_only
        .address_space:  global
        .offset:         104
        .size:           8
        .value_kind:     global_buffer
      - .actual_access:  read_only
        .address_space:  global
        .offset:         112
        .size:           8
        .value_kind:     global_buffer
      - .offset:         120
        .size:           4
        .value_kind:     by_value
      - .address_space:  global
        .offset:         128
        .size:           8
        .value_kind:     global_buffer
      - .address_space:  global
        .offset:         136
        .size:           8
        .value_kind:     global_buffer
      - .offset:         144
        .size:           4
        .value_kind:     hidden_block_count_x
      - .offset:         148
        .size:           4
        .value_kind:     hidden_block_count_y
      - .offset:         152
        .size:           4
        .value_kind:     hidden_block_count_z
      - .offset:         156
        .size:           2
        .value_kind:     hidden_group_size_x
      - .offset:         158
        .size:           2
        .value_kind:     hidden_group_size_y
      - .offset:         160
        .size:           2
        .value_kind:     hidden_group_size_z
      - .offset:         162
        .size:           2
        .value_kind:     hidden_remainder_x
      - .offset:         164
        .size:           2
        .value_kind:     hidden_remainder_y
      - .offset:         166
        .size:           2
        .value_kind:     hidden_remainder_z
      - .offset:         184
        .size:           8
        .value_kind:     hidden_global_offset_x
      - .offset:         192
        .size:           8
        .value_kind:     hidden_global_offset_y
      - .offset:         200
        .size:           8
        .value_kind:     hidden_global_offset_z
      - .offset:         208
        .size:           2
        .value_kind:     hidden_grid_dims
      - .offset:         224
        .size:           8
        .value_kind:     hidden_hostcall_buffer
    .group_segment_fixed_size: 0
    .kernarg_segment_align: 8
    .kernarg_segment_size: 400
    .language:       OpenCL C
    .language_version:
      - 2
      - 0
    .max_flat_workgroup_size: 256
    .name:           _Z38paged_attention_ll4mi_QKV_mfma4_kernelI14__hip_bfloat16hLN4vllm18Fp8KVCacheDataTypeE1EhLi16ELi128ELi256ELb0ELi2EEvPKT_PKT0_S8_ifPKiSA_SA_iPKfiiiPfSD_PS3_PT2_iSC_SC_
    .private_segment_fixed_size: 64
    .sgpr_count:     36
    .sgpr_spill_count: 0
    .symbol:         _Z38paged_attention_ll4mi_QKV_mfma4_kernelI14__hip_bfloat16hLN4vllm18Fp8KVCacheDataTypeE1EhLi16ELi128ELi256ELb0ELi2EEvPKT_PKT0_S8_ifPKiSA_SA_iPKfiiiPfSD_PS3_PT2_iSC_SC_.kd
    .uniform_work_group_size: 1
    .uses_dynamic_stack: false
    .vgpr_count:     41
    .vgpr_spill_count: 0
    .wavefront_size: 32
    .workgroup_processor_mode: 1
  - .args:
      - .actual_access:  read_only
        .address_space:  global
        .offset:         0
        .size:           8
        .value_kind:     global_buffer
      - .actual_access:  read_only
        .address_space:  global
        .offset:         8
        .size:           8
        .value_kind:     global_buffer
      - .actual_access:  read_only
        .address_space:  global
        .offset:         16
        .size:           8
        .value_kind:     global_buffer
      - .offset:         24
        .size:           4
        .value_kind:     by_value
      - .offset:         28
        .size:           4
        .value_kind:     by_value
      - .actual_access:  read_only
        .address_space:  global
        .offset:         32
        .size:           8
        .value_kind:     global_buffer
      - .actual_access:  read_only
        .address_space:  global
        .offset:         40
        .size:           8
        .value_kind:     global_buffer
      - .actual_access:  read_only
        .address_space:  global
        .offset:         48
        .size:           8
        .value_kind:     global_buffer
      - .offset:         56
        .size:           4
        .value_kind:     by_value
      - .actual_access:  read_only
        .address_space:  global
        .offset:         64
        .size:           8
        .value_kind:     global_buffer
      - .offset:         72
        .size:           4
        .value_kind:     by_value
      - .offset:         76
        .size:           4
        .value_kind:     by_value
      - .offset:         80
        .size:           4
        .value_kind:     by_value
      - .actual_access:  read_only
        .address_space:  global
        .offset:         88
        .size:           8
        .value_kind:     global_buffer
      - .actual_access:  read_only
        .address_space:  global
        .offset:         96
        .size:           8
        .value_kind:     global_buffer
      - .actual_access:  read_only
        .address_space:  global
        .offset:         104
        .size:           8
        .value_kind:     global_buffer
      - .actual_access:  read_only
        .address_space:  global
        .offset:         112
        .size:           8
        .value_kind:     global_buffer
      - .offset:         120
        .size:           4
        .value_kind:     by_value
      - .address_space:  global
        .offset:         128
        .size:           8
        .value_kind:     global_buffer
      - .address_space:  global
        .offset:         136
        .size:           8
        .value_kind:     global_buffer
      - .offset:         144
        .size:           4
        .value_kind:     hidden_block_count_x
      - .offset:         148
        .size:           4
        .value_kind:     hidden_block_count_y
      - .offset:         152
        .size:           4
        .value_kind:     hidden_block_count_z
      - .offset:         156
        .size:           2
        .value_kind:     hidden_group_size_x
      - .offset:         158
        .size:           2
        .value_kind:     hidden_group_size_y
      - .offset:         160
        .size:           2
        .value_kind:     hidden_group_size_z
      - .offset:         162
        .size:           2
        .value_kind:     hidden_remainder_x
      - .offset:         164
        .size:           2
        .value_kind:     hidden_remainder_y
      - .offset:         166
        .size:           2
        .value_kind:     hidden_remainder_z
      - .offset:         184
        .size:           8
        .value_kind:     hidden_global_offset_x
      - .offset:         192
        .size:           8
        .value_kind:     hidden_global_offset_y
      - .offset:         200
        .size:           8
        .value_kind:     hidden_global_offset_z
      - .offset:         208
        .size:           2
        .value_kind:     hidden_grid_dims
      - .offset:         224
        .size:           8
        .value_kind:     hidden_hostcall_buffer
    .group_segment_fixed_size: 0
    .kernarg_segment_align: 8
    .kernarg_segment_size: 400
    .language:       OpenCL C
    .language_version:
      - 2
      - 0
    .max_flat_workgroup_size: 256
    .name:           _Z38paged_attention_ll4mi_QKV_mfma4_kernelI14__hip_bfloat16hLN4vllm18Fp8KVCacheDataTypeE1EhLi16ELi128ELi256ELb0ELi3EEvPKT_PKT0_S8_ifPKiSA_SA_iPKfiiiPfSD_PS3_PT2_iSC_SC_
    .private_segment_fixed_size: 64
    .sgpr_count:     36
    .sgpr_spill_count: 0
    .symbol:         _Z38paged_attention_ll4mi_QKV_mfma4_kernelI14__hip_bfloat16hLN4vllm18Fp8KVCacheDataTypeE1EhLi16ELi128ELi256ELb0ELi3EEvPKT_PKT0_S8_ifPKiSA_SA_iPKfiiiPfSD_PS3_PT2_iSC_SC_.kd
    .uniform_work_group_size: 1
    .uses_dynamic_stack: false
    .vgpr_count:     41
    .vgpr_spill_count: 0
    .wavefront_size: 32
    .workgroup_processor_mode: 1
  - .args:
      - .actual_access:  read_only
        .address_space:  global
        .offset:         0
        .size:           8
        .value_kind:     global_buffer
      - .actual_access:  read_only
        .address_space:  global
        .offset:         8
        .size:           8
        .value_kind:     global_buffer
      - .actual_access:  read_only
        .address_space:  global
        .offset:         16
        .size:           8
        .value_kind:     global_buffer
      - .offset:         24
        .size:           4
        .value_kind:     by_value
      - .offset:         28
        .size:           4
        .value_kind:     by_value
      - .actual_access:  read_only
        .address_space:  global
        .offset:         32
        .size:           8
        .value_kind:     global_buffer
      - .actual_access:  read_only
        .address_space:  global
        .offset:         40
        .size:           8
        .value_kind:     global_buffer
      - .actual_access:  read_only
        .address_space:  global
        .offset:         48
        .size:           8
        .value_kind:     global_buffer
      - .offset:         56
        .size:           4
        .value_kind:     by_value
      - .actual_access:  read_only
        .address_space:  global
        .offset:         64
        .size:           8
        .value_kind:     global_buffer
      - .offset:         72
        .size:           4
        .value_kind:     by_value
      - .offset:         76
        .size:           4
        .value_kind:     by_value
      - .offset:         80
        .size:           4
        .value_kind:     by_value
      - .actual_access:  read_only
        .address_space:  global
        .offset:         88
        .size:           8
        .value_kind:     global_buffer
      - .actual_access:  read_only
        .address_space:  global
        .offset:         96
        .size:           8
        .value_kind:     global_buffer
      - .actual_access:  read_only
        .address_space:  global
        .offset:         104
        .size:           8
        .value_kind:     global_buffer
      - .actual_access:  read_only
        .address_space:  global
        .offset:         112
        .size:           8
        .value_kind:     global_buffer
      - .offset:         120
        .size:           4
        .value_kind:     by_value
      - .address_space:  global
        .offset:         128
        .size:           8
        .value_kind:     global_buffer
      - .address_space:  global
        .offset:         136
        .size:           8
        .value_kind:     global_buffer
      - .offset:         144
        .size:           4
        .value_kind:     hidden_block_count_x
      - .offset:         148
        .size:           4
        .value_kind:     hidden_block_count_y
      - .offset:         152
        .size:           4
        .value_kind:     hidden_block_count_z
      - .offset:         156
        .size:           2
        .value_kind:     hidden_group_size_x
      - .offset:         158
        .size:           2
        .value_kind:     hidden_group_size_y
      - .offset:         160
        .size:           2
        .value_kind:     hidden_group_size_z
      - .offset:         162
        .size:           2
        .value_kind:     hidden_remainder_x
      - .offset:         164
        .size:           2
        .value_kind:     hidden_remainder_y
      - .offset:         166
        .size:           2
        .value_kind:     hidden_remainder_z
      - .offset:         184
        .size:           8
        .value_kind:     hidden_global_offset_x
      - .offset:         192
        .size:           8
        .value_kind:     hidden_global_offset_y
      - .offset:         200
        .size:           8
        .value_kind:     hidden_global_offset_z
      - .offset:         208
        .size:           2
        .value_kind:     hidden_grid_dims
      - .offset:         224
        .size:           8
        .value_kind:     hidden_hostcall_buffer
    .group_segment_fixed_size: 0
    .kernarg_segment_align: 8
    .kernarg_segment_size: 400
    .language:       OpenCL C
    .language_version:
      - 2
      - 0
    .max_flat_workgroup_size: 256
    .name:           _Z38paged_attention_ll4mi_QKV_mfma4_kernelI14__hip_bfloat16hLN4vllm18Fp8KVCacheDataTypeE1EhLi16ELi128ELi256ELb0ELi4EEvPKT_PKT0_S8_ifPKiSA_SA_iPKfiiiPfSD_PS3_PT2_iSC_SC_
    .private_segment_fixed_size: 64
    .sgpr_count:     36
    .sgpr_spill_count: 0
    .symbol:         _Z38paged_attention_ll4mi_QKV_mfma4_kernelI14__hip_bfloat16hLN4vllm18Fp8KVCacheDataTypeE1EhLi16ELi128ELi256ELb0ELi4EEvPKT_PKT0_S8_ifPKiSA_SA_iPKfiiiPfSD_PS3_PT2_iSC_SC_.kd
    .uniform_work_group_size: 1
    .uses_dynamic_stack: false
    .vgpr_count:     41
    .vgpr_spill_count: 0
    .wavefront_size: 32
    .workgroup_processor_mode: 1
  - .args:
      - .actual_access:  read_only
        .address_space:  global
        .offset:         0
        .size:           8
        .value_kind:     global_buffer
      - .actual_access:  read_only
        .address_space:  global
        .offset:         8
        .size:           8
        .value_kind:     global_buffer
      - .actual_access:  read_only
        .address_space:  global
        .offset:         16
        .size:           8
        .value_kind:     global_buffer
      - .offset:         24
        .size:           4
        .value_kind:     by_value
      - .offset:         28
        .size:           4
        .value_kind:     by_value
      - .actual_access:  read_only
        .address_space:  global
        .offset:         32
        .size:           8
        .value_kind:     global_buffer
      - .actual_access:  read_only
        .address_space:  global
        .offset:         40
        .size:           8
        .value_kind:     global_buffer
      - .actual_access:  read_only
        .address_space:  global
        .offset:         48
        .size:           8
        .value_kind:     global_buffer
      - .offset:         56
        .size:           4
        .value_kind:     by_value
      - .actual_access:  read_only
        .address_space:  global
        .offset:         64
        .size:           8
        .value_kind:     global_buffer
      - .offset:         72
        .size:           4
        .value_kind:     by_value
      - .offset:         76
        .size:           4
        .value_kind:     by_value
      - .offset:         80
        .size:           4
        .value_kind:     by_value
      - .actual_access:  write_only
        .address_space:  global
        .offset:         88
        .size:           8
        .value_kind:     global_buffer
      - .actual_access:  write_only
        .address_space:  global
        .offset:         96
        .size:           8
        .value_kind:     global_buffer
      - .actual_access:  write_only
        .address_space:  global
        .offset:         104
        .size:           8
        .value_kind:     global_buffer
      - .actual_access:  read_only
        .address_space:  global
        .offset:         112
        .size:           8
        .value_kind:     global_buffer
      - .offset:         120
        .size:           4
        .value_kind:     by_value
      - .address_space:  global
        .offset:         128
        .size:           8
        .value_kind:     global_buffer
      - .address_space:  global
        .offset:         136
        .size:           8
        .value_kind:     global_buffer
      - .offset:         144
        .size:           4
        .value_kind:     hidden_block_count_x
      - .offset:         148
        .size:           4
        .value_kind:     hidden_block_count_y
      - .offset:         152
        .size:           4
        .value_kind:     hidden_block_count_z
      - .offset:         156
        .size:           2
        .value_kind:     hidden_group_size_x
      - .offset:         158
        .size:           2
        .value_kind:     hidden_group_size_y
      - .offset:         160
        .size:           2
        .value_kind:     hidden_group_size_z
      - .offset:         162
        .size:           2
        .value_kind:     hidden_remainder_x
      - .offset:         164
        .size:           2
        .value_kind:     hidden_remainder_y
      - .offset:         166
        .size:           2
        .value_kind:     hidden_remainder_z
      - .offset:         184
        .size:           8
        .value_kind:     hidden_global_offset_x
      - .offset:         192
        .size:           8
        .value_kind:     hidden_global_offset_y
      - .offset:         200
        .size:           8
        .value_kind:     hidden_global_offset_z
      - .offset:         208
        .size:           2
        .value_kind:     hidden_grid_dims
    .group_segment_fixed_size: 17472
    .kernarg_segment_align: 8
    .kernarg_segment_size: 400
    .language:       OpenCL C
    .language_version:
      - 2
      - 0
    .max_flat_workgroup_size: 256
    .name:           _Z39paged_attention_ll4mi_QKV_mfma16_kernelI14__hip_bfloat16hLN4vllm18Fp8KVCacheDataTypeE1EhLi16ELi128ELi256ELb0ELi5EL8MFMAType1EEvPKT_PKT0_S9_ifPKiSB_SB_iPKfiiiPfSE_PS4_PT2_iSD_SD_
    .private_segment_fixed_size: 0
    .sgpr_count:     38
    .sgpr_spill_count: 0
    .symbol:         _Z39paged_attention_ll4mi_QKV_mfma16_kernelI14__hip_bfloat16hLN4vllm18Fp8KVCacheDataTypeE1EhLi16ELi128ELi256ELb0ELi5EL8MFMAType1EEvPKT_PKT0_S9_ifPKiSB_SB_iPKfiiiPfSE_PS4_PT2_iSD_SD_.kd
    .uniform_work_group_size: 1
    .uses_dynamic_stack: false
    .vgpr_count:     140
    .vgpr_spill_count: 0
    .wavefront_size: 32
    .workgroup_processor_mode: 1
  - .args:
      - .actual_access:  read_only
        .address_space:  global
        .offset:         0
        .size:           8
        .value_kind:     global_buffer
      - .actual_access:  read_only
        .address_space:  global
        .offset:         8
        .size:           8
        .value_kind:     global_buffer
      - .actual_access:  read_only
        .address_space:  global
        .offset:         16
        .size:           8
        .value_kind:     global_buffer
      - .offset:         24
        .size:           4
        .value_kind:     by_value
      - .offset:         28
        .size:           4
        .value_kind:     by_value
      - .actual_access:  read_only
        .address_space:  global
        .offset:         32
        .size:           8
        .value_kind:     global_buffer
      - .actual_access:  read_only
        .address_space:  global
        .offset:         40
        .size:           8
        .value_kind:     global_buffer
      - .actual_access:  read_only
        .address_space:  global
        .offset:         48
        .size:           8
        .value_kind:     global_buffer
      - .offset:         56
        .size:           4
        .value_kind:     by_value
      - .actual_access:  read_only
        .address_space:  global
        .offset:         64
        .size:           8
        .value_kind:     global_buffer
      - .offset:         72
        .size:           4
        .value_kind:     by_value
      - .offset:         76
        .size:           4
        .value_kind:     by_value
      - .offset:         80
        .size:           4
        .value_kind:     by_value
      - .actual_access:  write_only
        .address_space:  global
        .offset:         88
        .size:           8
        .value_kind:     global_buffer
      - .actual_access:  write_only
        .address_space:  global
        .offset:         96
        .size:           8
        .value_kind:     global_buffer
      - .actual_access:  write_only
        .address_space:  global
        .offset:         104
        .size:           8
        .value_kind:     global_buffer
      - .actual_access:  read_only
        .address_space:  global
        .offset:         112
        .size:           8
        .value_kind:     global_buffer
      - .offset:         120
        .size:           4
        .value_kind:     by_value
      - .address_space:  global
        .offset:         128
        .size:           8
        .value_kind:     global_buffer
      - .address_space:  global
        .offset:         136
        .size:           8
        .value_kind:     global_buffer
      - .offset:         144
        .size:           4
        .value_kind:     hidden_block_count_x
      - .offset:         148
        .size:           4
        .value_kind:     hidden_block_count_y
      - .offset:         152
        .size:           4
        .value_kind:     hidden_block_count_z
      - .offset:         156
        .size:           2
        .value_kind:     hidden_group_size_x
      - .offset:         158
        .size:           2
        .value_kind:     hidden_group_size_y
      - .offset:         160
        .size:           2
        .value_kind:     hidden_group_size_z
      - .offset:         162
        .size:           2
        .value_kind:     hidden_remainder_x
      - .offset:         164
        .size:           2
        .value_kind:     hidden_remainder_y
      - .offset:         166
        .size:           2
        .value_kind:     hidden_remainder_z
      - .offset:         184
        .size:           8
        .value_kind:     hidden_global_offset_x
      - .offset:         192
        .size:           8
        .value_kind:     hidden_global_offset_y
      - .offset:         200
        .size:           8
        .value_kind:     hidden_global_offset_z
      - .offset:         208
        .size:           2
        .value_kind:     hidden_grid_dims
    .group_segment_fixed_size: 17472
    .kernarg_segment_align: 8
    .kernarg_segment_size: 400
    .language:       OpenCL C
    .language_version:
      - 2
      - 0
    .max_flat_workgroup_size: 256
    .name:           _Z39paged_attention_ll4mi_QKV_mfma16_kernelI14__hip_bfloat16hLN4vllm18Fp8KVCacheDataTypeE1EhLi16ELi128ELi256ELb0ELi6EL8MFMAType1EEvPKT_PKT0_S9_ifPKiSB_SB_iPKfiiiPfSE_PS4_PT2_iSD_SD_
    .private_segment_fixed_size: 0
    .sgpr_count:     38
    .sgpr_spill_count: 0
    .symbol:         _Z39paged_attention_ll4mi_QKV_mfma16_kernelI14__hip_bfloat16hLN4vllm18Fp8KVCacheDataTypeE1EhLi16ELi128ELi256ELb0ELi6EL8MFMAType1EEvPKT_PKT0_S9_ifPKiSB_SB_iPKfiiiPfSE_PS4_PT2_iSD_SD_.kd
    .uniform_work_group_size: 1
    .uses_dynamic_stack: false
    .vgpr_count:     140
    .vgpr_spill_count: 0
    .wavefront_size: 32
    .workgroup_processor_mode: 1
  - .args:
      - .actual_access:  read_only
        .address_space:  global
        .offset:         0
        .size:           8
        .value_kind:     global_buffer
      - .actual_access:  read_only
        .address_space:  global
        .offset:         8
        .size:           8
        .value_kind:     global_buffer
      - .actual_access:  read_only
        .address_space:  global
        .offset:         16
        .size:           8
        .value_kind:     global_buffer
      - .offset:         24
        .size:           4
        .value_kind:     by_value
      - .offset:         28
        .size:           4
        .value_kind:     by_value
      - .actual_access:  read_only
        .address_space:  global
        .offset:         32
        .size:           8
        .value_kind:     global_buffer
      - .actual_access:  read_only
        .address_space:  global
        .offset:         40
        .size:           8
        .value_kind:     global_buffer
      - .actual_access:  read_only
        .address_space:  global
        .offset:         48
        .size:           8
        .value_kind:     global_buffer
      - .offset:         56
        .size:           4
        .value_kind:     by_value
      - .actual_access:  read_only
        .address_space:  global
        .offset:         64
        .size:           8
        .value_kind:     global_buffer
      - .offset:         72
        .size:           4
        .value_kind:     by_value
      - .offset:         76
        .size:           4
        .value_kind:     by_value
      - .offset:         80
        .size:           4
        .value_kind:     by_value
      - .actual_access:  write_only
        .address_space:  global
        .offset:         88
        .size:           8
        .value_kind:     global_buffer
      - .actual_access:  write_only
        .address_space:  global
        .offset:         96
        .size:           8
        .value_kind:     global_buffer
      - .actual_access:  write_only
        .address_space:  global
        .offset:         104
        .size:           8
        .value_kind:     global_buffer
      - .actual_access:  read_only
        .address_space:  global
        .offset:         112
        .size:           8
        .value_kind:     global_buffer
      - .offset:         120
        .size:           4
        .value_kind:     by_value
      - .address_space:  global
        .offset:         128
        .size:           8
        .value_kind:     global_buffer
      - .address_space:  global
        .offset:         136
        .size:           8
        .value_kind:     global_buffer
      - .offset:         144
        .size:           4
        .value_kind:     hidden_block_count_x
      - .offset:         148
        .size:           4
        .value_kind:     hidden_block_count_y
      - .offset:         152
        .size:           4
        .value_kind:     hidden_block_count_z
      - .offset:         156
        .size:           2
        .value_kind:     hidden_group_size_x
      - .offset:         158
        .size:           2
        .value_kind:     hidden_group_size_y
      - .offset:         160
        .size:           2
        .value_kind:     hidden_group_size_z
      - .offset:         162
        .size:           2
        .value_kind:     hidden_remainder_x
      - .offset:         164
        .size:           2
        .value_kind:     hidden_remainder_y
      - .offset:         166
        .size:           2
        .value_kind:     hidden_remainder_z
      - .offset:         184
        .size:           8
        .value_kind:     hidden_global_offset_x
      - .offset:         192
        .size:           8
        .value_kind:     hidden_global_offset_y
      - .offset:         200
        .size:           8
        .value_kind:     hidden_global_offset_z
      - .offset:         208
        .size:           2
        .value_kind:     hidden_grid_dims
    .group_segment_fixed_size: 17472
    .kernarg_segment_align: 8
    .kernarg_segment_size: 400
    .language:       OpenCL C
    .language_version:
      - 2
      - 0
    .max_flat_workgroup_size: 256
    .name:           _Z39paged_attention_ll4mi_QKV_mfma16_kernelI14__hip_bfloat16hLN4vllm18Fp8KVCacheDataTypeE1EhLi16ELi128ELi256ELb0ELi7EL8MFMAType1EEvPKT_PKT0_S9_ifPKiSB_SB_iPKfiiiPfSE_PS4_PT2_iSD_SD_
    .private_segment_fixed_size: 0
    .sgpr_count:     38
    .sgpr_spill_count: 0
    .symbol:         _Z39paged_attention_ll4mi_QKV_mfma16_kernelI14__hip_bfloat16hLN4vllm18Fp8KVCacheDataTypeE1EhLi16ELi128ELi256ELb0ELi7EL8MFMAType1EEvPKT_PKT0_S9_ifPKiSB_SB_iPKfiiiPfSE_PS4_PT2_iSD_SD_.kd
    .uniform_work_group_size: 1
    .uses_dynamic_stack: false
    .vgpr_count:     140
    .vgpr_spill_count: 0
    .wavefront_size: 32
    .workgroup_processor_mode: 1
  - .args:
      - .actual_access:  read_only
        .address_space:  global
        .offset:         0
        .size:           8
        .value_kind:     global_buffer
      - .actual_access:  read_only
        .address_space:  global
        .offset:         8
        .size:           8
        .value_kind:     global_buffer
      - .actual_access:  read_only
        .address_space:  global
        .offset:         16
        .size:           8
        .value_kind:     global_buffer
      - .offset:         24
        .size:           4
        .value_kind:     by_value
      - .offset:         28
        .size:           4
        .value_kind:     by_value
      - .actual_access:  read_only
        .address_space:  global
        .offset:         32
        .size:           8
        .value_kind:     global_buffer
      - .actual_access:  read_only
        .address_space:  global
        .offset:         40
        .size:           8
        .value_kind:     global_buffer
      - .actual_access:  read_only
        .address_space:  global
        .offset:         48
        .size:           8
        .value_kind:     global_buffer
      - .offset:         56
        .size:           4
        .value_kind:     by_value
      - .actual_access:  read_only
        .address_space:  global
        .offset:         64
        .size:           8
        .value_kind:     global_buffer
      - .offset:         72
        .size:           4
        .value_kind:     by_value
      - .offset:         76
        .size:           4
        .value_kind:     by_value
      - .offset:         80
        .size:           4
        .value_kind:     by_value
      - .actual_access:  write_only
        .address_space:  global
        .offset:         88
        .size:           8
        .value_kind:     global_buffer
      - .actual_access:  write_only
        .address_space:  global
        .offset:         96
        .size:           8
        .value_kind:     global_buffer
      - .actual_access:  write_only
        .address_space:  global
        .offset:         104
        .size:           8
        .value_kind:     global_buffer
      - .actual_access:  read_only
        .address_space:  global
        .offset:         112
        .size:           8
        .value_kind:     global_buffer
      - .offset:         120
        .size:           4
        .value_kind:     by_value
      - .address_space:  global
        .offset:         128
        .size:           8
        .value_kind:     global_buffer
      - .address_space:  global
        .offset:         136
        .size:           8
        .value_kind:     global_buffer
      - .offset:         144
        .size:           4
        .value_kind:     hidden_block_count_x
      - .offset:         148
        .size:           4
        .value_kind:     hidden_block_count_y
      - .offset:         152
        .size:           4
        .value_kind:     hidden_block_count_z
      - .offset:         156
        .size:           2
        .value_kind:     hidden_group_size_x
      - .offset:         158
        .size:           2
        .value_kind:     hidden_group_size_y
      - .offset:         160
        .size:           2
        .value_kind:     hidden_group_size_z
      - .offset:         162
        .size:           2
        .value_kind:     hidden_remainder_x
      - .offset:         164
        .size:           2
        .value_kind:     hidden_remainder_y
      - .offset:         166
        .size:           2
        .value_kind:     hidden_remainder_z
      - .offset:         184
        .size:           8
        .value_kind:     hidden_global_offset_x
      - .offset:         192
        .size:           8
        .value_kind:     hidden_global_offset_y
      - .offset:         200
        .size:           8
        .value_kind:     hidden_global_offset_z
      - .offset:         208
        .size:           2
        .value_kind:     hidden_grid_dims
    .group_segment_fixed_size: 17472
    .kernarg_segment_align: 8
    .kernarg_segment_size: 400
    .language:       OpenCL C
    .language_version:
      - 2
      - 0
    .max_flat_workgroup_size: 256
    .name:           _Z39paged_attention_ll4mi_QKV_mfma16_kernelI14__hip_bfloat16hLN4vllm18Fp8KVCacheDataTypeE1EhLi16ELi128ELi256ELb0ELi8EL8MFMAType1EEvPKT_PKT0_S9_ifPKiSB_SB_iPKfiiiPfSE_PS4_PT2_iSD_SD_
    .private_segment_fixed_size: 0
    .sgpr_count:     38
    .sgpr_spill_count: 0
    .symbol:         _Z39paged_attention_ll4mi_QKV_mfma16_kernelI14__hip_bfloat16hLN4vllm18Fp8KVCacheDataTypeE1EhLi16ELi128ELi256ELb0ELi8EL8MFMAType1EEvPKT_PKT0_S9_ifPKiSB_SB_iPKfiiiPfSE_PS4_PT2_iSD_SD_.kd
    .uniform_work_group_size: 1
    .uses_dynamic_stack: false
    .vgpr_count:     140
    .vgpr_spill_count: 0
    .wavefront_size: 32
    .workgroup_processor_mode: 1
  - .args:
      - .actual_access:  read_only
        .address_space:  global
        .offset:         0
        .size:           8
        .value_kind:     global_buffer
      - .actual_access:  read_only
        .address_space:  global
        .offset:         8
        .size:           8
        .value_kind:     global_buffer
      - .actual_access:  read_only
        .address_space:  global
        .offset:         16
        .size:           8
        .value_kind:     global_buffer
      - .offset:         24
        .size:           4
        .value_kind:     by_value
      - .offset:         28
        .size:           4
        .value_kind:     by_value
      - .actual_access:  read_only
        .address_space:  global
        .offset:         32
        .size:           8
        .value_kind:     global_buffer
      - .actual_access:  read_only
        .address_space:  global
        .offset:         40
        .size:           8
        .value_kind:     global_buffer
      - .actual_access:  read_only
        .address_space:  global
        .offset:         48
        .size:           8
        .value_kind:     global_buffer
      - .offset:         56
        .size:           4
        .value_kind:     by_value
      - .actual_access:  read_only
        .address_space:  global
        .offset:         64
        .size:           8
        .value_kind:     global_buffer
      - .offset:         72
        .size:           4
        .value_kind:     by_value
      - .offset:         76
        .size:           4
        .value_kind:     by_value
      - .offset:         80
        .size:           4
        .value_kind:     by_value
      - .actual_access:  write_only
        .address_space:  global
        .offset:         88
        .size:           8
        .value_kind:     global_buffer
      - .actual_access:  write_only
        .address_space:  global
        .offset:         96
        .size:           8
        .value_kind:     global_buffer
      - .actual_access:  write_only
        .address_space:  global
        .offset:         104
        .size:           8
        .value_kind:     global_buffer
      - .actual_access:  read_only
        .address_space:  global
        .offset:         112
        .size:           8
        .value_kind:     global_buffer
      - .offset:         120
        .size:           4
        .value_kind:     by_value
      - .address_space:  global
        .offset:         128
        .size:           8
        .value_kind:     global_buffer
      - .address_space:  global
        .offset:         136
        .size:           8
        .value_kind:     global_buffer
      - .offset:         144
        .size:           4
        .value_kind:     hidden_block_count_x
      - .offset:         148
        .size:           4
        .value_kind:     hidden_block_count_y
      - .offset:         152
        .size:           4
        .value_kind:     hidden_block_count_z
      - .offset:         156
        .size:           2
        .value_kind:     hidden_group_size_x
      - .offset:         158
        .size:           2
        .value_kind:     hidden_group_size_y
      - .offset:         160
        .size:           2
        .value_kind:     hidden_group_size_z
      - .offset:         162
        .size:           2
        .value_kind:     hidden_remainder_x
      - .offset:         164
        .size:           2
        .value_kind:     hidden_remainder_y
      - .offset:         166
        .size:           2
        .value_kind:     hidden_remainder_z
      - .offset:         184
        .size:           8
        .value_kind:     hidden_global_offset_x
      - .offset:         192
        .size:           8
        .value_kind:     hidden_global_offset_y
      - .offset:         200
        .size:           8
        .value_kind:     hidden_global_offset_z
      - .offset:         208
        .size:           2
        .value_kind:     hidden_grid_dims
    .group_segment_fixed_size: 17472
    .kernarg_segment_align: 8
    .kernarg_segment_size: 400
    .language:       OpenCL C
    .language_version:
      - 2
      - 0
    .max_flat_workgroup_size: 256
    .name:           _Z39paged_attention_ll4mi_QKV_mfma16_kernelI14__hip_bfloat16hLN4vllm18Fp8KVCacheDataTypeE1EhLi16ELi128ELi256ELb0ELi9EL8MFMAType1EEvPKT_PKT0_S9_ifPKiSB_SB_iPKfiiiPfSE_PS4_PT2_iSD_SD_
    .private_segment_fixed_size: 0
    .sgpr_count:     38
    .sgpr_spill_count: 0
    .symbol:         _Z39paged_attention_ll4mi_QKV_mfma16_kernelI14__hip_bfloat16hLN4vllm18Fp8KVCacheDataTypeE1EhLi16ELi128ELi256ELb0ELi9EL8MFMAType1EEvPKT_PKT0_S9_ifPKiSB_SB_iPKfiiiPfSE_PS4_PT2_iSD_SD_.kd
    .uniform_work_group_size: 1
    .uses_dynamic_stack: false
    .vgpr_count:     140
    .vgpr_spill_count: 0
    .wavefront_size: 32
    .workgroup_processor_mode: 1
  - .args:
      - .actual_access:  read_only
        .address_space:  global
        .offset:         0
        .size:           8
        .value_kind:     global_buffer
      - .actual_access:  read_only
        .address_space:  global
        .offset:         8
        .size:           8
        .value_kind:     global_buffer
      - .actual_access:  read_only
        .address_space:  global
        .offset:         16
        .size:           8
        .value_kind:     global_buffer
      - .offset:         24
        .size:           4
        .value_kind:     by_value
      - .offset:         28
        .size:           4
        .value_kind:     by_value
      - .actual_access:  read_only
        .address_space:  global
        .offset:         32
        .size:           8
        .value_kind:     global_buffer
      - .actual_access:  read_only
        .address_space:  global
        .offset:         40
        .size:           8
        .value_kind:     global_buffer
      - .actual_access:  read_only
        .address_space:  global
        .offset:         48
        .size:           8
        .value_kind:     global_buffer
      - .offset:         56
        .size:           4
        .value_kind:     by_value
      - .actual_access:  read_only
        .address_space:  global
        .offset:         64
        .size:           8
        .value_kind:     global_buffer
      - .offset:         72
        .size:           4
        .value_kind:     by_value
      - .offset:         76
        .size:           4
        .value_kind:     by_value
      - .offset:         80
        .size:           4
        .value_kind:     by_value
      - .actual_access:  write_only
        .address_space:  global
        .offset:         88
        .size:           8
        .value_kind:     global_buffer
      - .actual_access:  write_only
        .address_space:  global
        .offset:         96
        .size:           8
        .value_kind:     global_buffer
      - .actual_access:  write_only
        .address_space:  global
        .offset:         104
        .size:           8
        .value_kind:     global_buffer
      - .actual_access:  read_only
        .address_space:  global
        .offset:         112
        .size:           8
        .value_kind:     global_buffer
      - .offset:         120
        .size:           4
        .value_kind:     by_value
      - .address_space:  global
        .offset:         128
        .size:           8
        .value_kind:     global_buffer
      - .address_space:  global
        .offset:         136
        .size:           8
        .value_kind:     global_buffer
      - .offset:         144
        .size:           4
        .value_kind:     hidden_block_count_x
      - .offset:         148
        .size:           4
        .value_kind:     hidden_block_count_y
      - .offset:         152
        .size:           4
        .value_kind:     hidden_block_count_z
      - .offset:         156
        .size:           2
        .value_kind:     hidden_group_size_x
      - .offset:         158
        .size:           2
        .value_kind:     hidden_group_size_y
      - .offset:         160
        .size:           2
        .value_kind:     hidden_group_size_z
      - .offset:         162
        .size:           2
        .value_kind:     hidden_remainder_x
      - .offset:         164
        .size:           2
        .value_kind:     hidden_remainder_y
      - .offset:         166
        .size:           2
        .value_kind:     hidden_remainder_z
      - .offset:         184
        .size:           8
        .value_kind:     hidden_global_offset_x
      - .offset:         192
        .size:           8
        .value_kind:     hidden_global_offset_y
      - .offset:         200
        .size:           8
        .value_kind:     hidden_global_offset_z
      - .offset:         208
        .size:           2
        .value_kind:     hidden_grid_dims
    .group_segment_fixed_size: 17472
    .kernarg_segment_align: 8
    .kernarg_segment_size: 400
    .language:       OpenCL C
    .language_version:
      - 2
      - 0
    .max_flat_workgroup_size: 256
    .name:           _Z39paged_attention_ll4mi_QKV_mfma16_kernelI14__hip_bfloat16hLN4vllm18Fp8KVCacheDataTypeE1EhLi16ELi128ELi256ELb0ELi10EL8MFMAType1EEvPKT_PKT0_S9_ifPKiSB_SB_iPKfiiiPfSE_PS4_PT2_iSD_SD_
    .private_segment_fixed_size: 0
    .sgpr_count:     38
    .sgpr_spill_count: 0
    .symbol:         _Z39paged_attention_ll4mi_QKV_mfma16_kernelI14__hip_bfloat16hLN4vllm18Fp8KVCacheDataTypeE1EhLi16ELi128ELi256ELb0ELi10EL8MFMAType1EEvPKT_PKT0_S9_ifPKiSB_SB_iPKfiiiPfSE_PS4_PT2_iSD_SD_.kd
    .uniform_work_group_size: 1
    .uses_dynamic_stack: false
    .vgpr_count:     140
    .vgpr_spill_count: 0
    .wavefront_size: 32
    .workgroup_processor_mode: 1
  - .args:
      - .actual_access:  read_only
        .address_space:  global
        .offset:         0
        .size:           8
        .value_kind:     global_buffer
      - .actual_access:  read_only
        .address_space:  global
        .offset:         8
        .size:           8
        .value_kind:     global_buffer
      - .actual_access:  read_only
        .address_space:  global
        .offset:         16
        .size:           8
        .value_kind:     global_buffer
      - .offset:         24
        .size:           4
        .value_kind:     by_value
      - .offset:         28
        .size:           4
        .value_kind:     by_value
      - .actual_access:  read_only
        .address_space:  global
        .offset:         32
        .size:           8
        .value_kind:     global_buffer
      - .actual_access:  read_only
        .address_space:  global
        .offset:         40
        .size:           8
        .value_kind:     global_buffer
      - .actual_access:  read_only
        .address_space:  global
        .offset:         48
        .size:           8
        .value_kind:     global_buffer
      - .offset:         56
        .size:           4
        .value_kind:     by_value
      - .actual_access:  read_only
        .address_space:  global
        .offset:         64
        .size:           8
        .value_kind:     global_buffer
      - .offset:         72
        .size:           4
        .value_kind:     by_value
      - .offset:         76
        .size:           4
        .value_kind:     by_value
      - .offset:         80
        .size:           4
        .value_kind:     by_value
      - .actual_access:  write_only
        .address_space:  global
        .offset:         88
        .size:           8
        .value_kind:     global_buffer
      - .actual_access:  write_only
        .address_space:  global
        .offset:         96
        .size:           8
        .value_kind:     global_buffer
      - .actual_access:  write_only
        .address_space:  global
        .offset:         104
        .size:           8
        .value_kind:     global_buffer
      - .actual_access:  read_only
        .address_space:  global
        .offset:         112
        .size:           8
        .value_kind:     global_buffer
      - .offset:         120
        .size:           4
        .value_kind:     by_value
      - .address_space:  global
        .offset:         128
        .size:           8
        .value_kind:     global_buffer
      - .address_space:  global
        .offset:         136
        .size:           8
        .value_kind:     global_buffer
      - .offset:         144
        .size:           4
        .value_kind:     hidden_block_count_x
      - .offset:         148
        .size:           4
        .value_kind:     hidden_block_count_y
      - .offset:         152
        .size:           4
        .value_kind:     hidden_block_count_z
      - .offset:         156
        .size:           2
        .value_kind:     hidden_group_size_x
      - .offset:         158
        .size:           2
        .value_kind:     hidden_group_size_y
      - .offset:         160
        .size:           2
        .value_kind:     hidden_group_size_z
      - .offset:         162
        .size:           2
        .value_kind:     hidden_remainder_x
      - .offset:         164
        .size:           2
        .value_kind:     hidden_remainder_y
      - .offset:         166
        .size:           2
        .value_kind:     hidden_remainder_z
      - .offset:         184
        .size:           8
        .value_kind:     hidden_global_offset_x
      - .offset:         192
        .size:           8
        .value_kind:     hidden_global_offset_y
      - .offset:         200
        .size:           8
        .value_kind:     hidden_global_offset_z
      - .offset:         208
        .size:           2
        .value_kind:     hidden_grid_dims
    .group_segment_fixed_size: 17472
    .kernarg_segment_align: 8
    .kernarg_segment_size: 400
    .language:       OpenCL C
    .language_version:
      - 2
      - 0
    .max_flat_workgroup_size: 256
    .name:           _Z39paged_attention_ll4mi_QKV_mfma16_kernelI14__hip_bfloat16hLN4vllm18Fp8KVCacheDataTypeE1EhLi16ELi128ELi256ELb0ELi11EL8MFMAType1EEvPKT_PKT0_S9_ifPKiSB_SB_iPKfiiiPfSE_PS4_PT2_iSD_SD_
    .private_segment_fixed_size: 0
    .sgpr_count:     38
    .sgpr_spill_count: 0
    .symbol:         _Z39paged_attention_ll4mi_QKV_mfma16_kernelI14__hip_bfloat16hLN4vllm18Fp8KVCacheDataTypeE1EhLi16ELi128ELi256ELb0ELi11EL8MFMAType1EEvPKT_PKT0_S9_ifPKiSB_SB_iPKfiiiPfSE_PS4_PT2_iSD_SD_.kd
    .uniform_work_group_size: 1
    .uses_dynamic_stack: false
    .vgpr_count:     140
    .vgpr_spill_count: 0
    .wavefront_size: 32
    .workgroup_processor_mode: 1
  - .args:
      - .actual_access:  read_only
        .address_space:  global
        .offset:         0
        .size:           8
        .value_kind:     global_buffer
      - .actual_access:  read_only
        .address_space:  global
        .offset:         8
        .size:           8
        .value_kind:     global_buffer
      - .actual_access:  read_only
        .address_space:  global
        .offset:         16
        .size:           8
        .value_kind:     global_buffer
      - .offset:         24
        .size:           4
        .value_kind:     by_value
      - .offset:         28
        .size:           4
        .value_kind:     by_value
      - .actual_access:  read_only
        .address_space:  global
        .offset:         32
        .size:           8
        .value_kind:     global_buffer
      - .actual_access:  read_only
        .address_space:  global
        .offset:         40
        .size:           8
        .value_kind:     global_buffer
      - .actual_access:  read_only
        .address_space:  global
        .offset:         48
        .size:           8
        .value_kind:     global_buffer
      - .offset:         56
        .size:           4
        .value_kind:     by_value
      - .actual_access:  read_only
        .address_space:  global
        .offset:         64
        .size:           8
        .value_kind:     global_buffer
      - .offset:         72
        .size:           4
        .value_kind:     by_value
      - .offset:         76
        .size:           4
        .value_kind:     by_value
      - .offset:         80
        .size:           4
        .value_kind:     by_value
      - .actual_access:  write_only
        .address_space:  global
        .offset:         88
        .size:           8
        .value_kind:     global_buffer
      - .actual_access:  write_only
        .address_space:  global
        .offset:         96
        .size:           8
        .value_kind:     global_buffer
      - .actual_access:  write_only
        .address_space:  global
        .offset:         104
        .size:           8
        .value_kind:     global_buffer
      - .actual_access:  read_only
        .address_space:  global
        .offset:         112
        .size:           8
        .value_kind:     global_buffer
      - .offset:         120
        .size:           4
        .value_kind:     by_value
      - .address_space:  global
        .offset:         128
        .size:           8
        .value_kind:     global_buffer
      - .address_space:  global
        .offset:         136
        .size:           8
        .value_kind:     global_buffer
      - .offset:         144
        .size:           4
        .value_kind:     hidden_block_count_x
      - .offset:         148
        .size:           4
        .value_kind:     hidden_block_count_y
      - .offset:         152
        .size:           4
        .value_kind:     hidden_block_count_z
      - .offset:         156
        .size:           2
        .value_kind:     hidden_group_size_x
      - .offset:         158
        .size:           2
        .value_kind:     hidden_group_size_y
      - .offset:         160
        .size:           2
        .value_kind:     hidden_group_size_z
      - .offset:         162
        .size:           2
        .value_kind:     hidden_remainder_x
      - .offset:         164
        .size:           2
        .value_kind:     hidden_remainder_y
      - .offset:         166
        .size:           2
        .value_kind:     hidden_remainder_z
      - .offset:         184
        .size:           8
        .value_kind:     hidden_global_offset_x
      - .offset:         192
        .size:           8
        .value_kind:     hidden_global_offset_y
      - .offset:         200
        .size:           8
        .value_kind:     hidden_global_offset_z
      - .offset:         208
        .size:           2
        .value_kind:     hidden_grid_dims
    .group_segment_fixed_size: 17472
    .kernarg_segment_align: 8
    .kernarg_segment_size: 400
    .language:       OpenCL C
    .language_version:
      - 2
      - 0
    .max_flat_workgroup_size: 256
    .name:           _Z39paged_attention_ll4mi_QKV_mfma16_kernelI14__hip_bfloat16hLN4vllm18Fp8KVCacheDataTypeE1EhLi16ELi128ELi256ELb0ELi12EL8MFMAType1EEvPKT_PKT0_S9_ifPKiSB_SB_iPKfiiiPfSE_PS4_PT2_iSD_SD_
    .private_segment_fixed_size: 0
    .sgpr_count:     38
    .sgpr_spill_count: 0
    .symbol:         _Z39paged_attention_ll4mi_QKV_mfma16_kernelI14__hip_bfloat16hLN4vllm18Fp8KVCacheDataTypeE1EhLi16ELi128ELi256ELb0ELi12EL8MFMAType1EEvPKT_PKT0_S9_ifPKiSB_SB_iPKfiiiPfSE_PS4_PT2_iSD_SD_.kd
    .uniform_work_group_size: 1
    .uses_dynamic_stack: false
    .vgpr_count:     140
    .vgpr_spill_count: 0
    .wavefront_size: 32
    .workgroup_processor_mode: 1
  - .args:
      - .actual_access:  read_only
        .address_space:  global
        .offset:         0
        .size:           8
        .value_kind:     global_buffer
      - .actual_access:  read_only
        .address_space:  global
        .offset:         8
        .size:           8
        .value_kind:     global_buffer
      - .actual_access:  read_only
        .address_space:  global
        .offset:         16
        .size:           8
        .value_kind:     global_buffer
      - .offset:         24
        .size:           4
        .value_kind:     by_value
      - .offset:         28
        .size:           4
        .value_kind:     by_value
      - .actual_access:  read_only
        .address_space:  global
        .offset:         32
        .size:           8
        .value_kind:     global_buffer
      - .actual_access:  read_only
        .address_space:  global
        .offset:         40
        .size:           8
        .value_kind:     global_buffer
      - .actual_access:  read_only
        .address_space:  global
        .offset:         48
        .size:           8
        .value_kind:     global_buffer
      - .offset:         56
        .size:           4
        .value_kind:     by_value
      - .actual_access:  read_only
        .address_space:  global
        .offset:         64
        .size:           8
        .value_kind:     global_buffer
      - .offset:         72
        .size:           4
        .value_kind:     by_value
      - .offset:         76
        .size:           4
        .value_kind:     by_value
      - .offset:         80
        .size:           4
        .value_kind:     by_value
      - .actual_access:  write_only
        .address_space:  global
        .offset:         88
        .size:           8
        .value_kind:     global_buffer
      - .actual_access:  write_only
        .address_space:  global
        .offset:         96
        .size:           8
        .value_kind:     global_buffer
      - .actual_access:  write_only
        .address_space:  global
        .offset:         104
        .size:           8
        .value_kind:     global_buffer
      - .actual_access:  read_only
        .address_space:  global
        .offset:         112
        .size:           8
        .value_kind:     global_buffer
      - .offset:         120
        .size:           4
        .value_kind:     by_value
      - .address_space:  global
        .offset:         128
        .size:           8
        .value_kind:     global_buffer
      - .address_space:  global
        .offset:         136
        .size:           8
        .value_kind:     global_buffer
      - .offset:         144
        .size:           4
        .value_kind:     hidden_block_count_x
      - .offset:         148
        .size:           4
        .value_kind:     hidden_block_count_y
      - .offset:         152
        .size:           4
        .value_kind:     hidden_block_count_z
      - .offset:         156
        .size:           2
        .value_kind:     hidden_group_size_x
      - .offset:         158
        .size:           2
        .value_kind:     hidden_group_size_y
      - .offset:         160
        .size:           2
        .value_kind:     hidden_group_size_z
      - .offset:         162
        .size:           2
        .value_kind:     hidden_remainder_x
      - .offset:         164
        .size:           2
        .value_kind:     hidden_remainder_y
      - .offset:         166
        .size:           2
        .value_kind:     hidden_remainder_z
      - .offset:         184
        .size:           8
        .value_kind:     hidden_global_offset_x
      - .offset:         192
        .size:           8
        .value_kind:     hidden_global_offset_y
      - .offset:         200
        .size:           8
        .value_kind:     hidden_global_offset_z
      - .offset:         208
        .size:           2
        .value_kind:     hidden_grid_dims
    .group_segment_fixed_size: 17472
    .kernarg_segment_align: 8
    .kernarg_segment_size: 400
    .language:       OpenCL C
    .language_version:
      - 2
      - 0
    .max_flat_workgroup_size: 256
    .name:           _Z39paged_attention_ll4mi_QKV_mfma16_kernelI14__hip_bfloat16hLN4vllm18Fp8KVCacheDataTypeE1EhLi16ELi128ELi256ELb0ELi13EL8MFMAType1EEvPKT_PKT0_S9_ifPKiSB_SB_iPKfiiiPfSE_PS4_PT2_iSD_SD_
    .private_segment_fixed_size: 0
    .sgpr_count:     38
    .sgpr_spill_count: 0
    .symbol:         _Z39paged_attention_ll4mi_QKV_mfma16_kernelI14__hip_bfloat16hLN4vllm18Fp8KVCacheDataTypeE1EhLi16ELi128ELi256ELb0ELi13EL8MFMAType1EEvPKT_PKT0_S9_ifPKiSB_SB_iPKfiiiPfSE_PS4_PT2_iSD_SD_.kd
    .uniform_work_group_size: 1
    .uses_dynamic_stack: false
    .vgpr_count:     140
    .vgpr_spill_count: 0
    .wavefront_size: 32
    .workgroup_processor_mode: 1
  - .args:
      - .actual_access:  read_only
        .address_space:  global
        .offset:         0
        .size:           8
        .value_kind:     global_buffer
      - .actual_access:  read_only
        .address_space:  global
        .offset:         8
        .size:           8
        .value_kind:     global_buffer
      - .actual_access:  read_only
        .address_space:  global
        .offset:         16
        .size:           8
        .value_kind:     global_buffer
      - .offset:         24
        .size:           4
        .value_kind:     by_value
      - .offset:         28
        .size:           4
        .value_kind:     by_value
      - .actual_access:  read_only
        .address_space:  global
        .offset:         32
        .size:           8
        .value_kind:     global_buffer
      - .actual_access:  read_only
        .address_space:  global
        .offset:         40
        .size:           8
        .value_kind:     global_buffer
      - .actual_access:  read_only
        .address_space:  global
        .offset:         48
        .size:           8
        .value_kind:     global_buffer
      - .offset:         56
        .size:           4
        .value_kind:     by_value
      - .actual_access:  read_only
        .address_space:  global
        .offset:         64
        .size:           8
        .value_kind:     global_buffer
      - .offset:         72
        .size:           4
        .value_kind:     by_value
      - .offset:         76
        .size:           4
        .value_kind:     by_value
      - .offset:         80
        .size:           4
        .value_kind:     by_value
      - .actual_access:  write_only
        .address_space:  global
        .offset:         88
        .size:           8
        .value_kind:     global_buffer
      - .actual_access:  write_only
        .address_space:  global
        .offset:         96
        .size:           8
        .value_kind:     global_buffer
      - .actual_access:  write_only
        .address_space:  global
        .offset:         104
        .size:           8
        .value_kind:     global_buffer
      - .actual_access:  read_only
        .address_space:  global
        .offset:         112
        .size:           8
        .value_kind:     global_buffer
      - .offset:         120
        .size:           4
        .value_kind:     by_value
      - .address_space:  global
        .offset:         128
        .size:           8
        .value_kind:     global_buffer
      - .address_space:  global
        .offset:         136
        .size:           8
        .value_kind:     global_buffer
      - .offset:         144
        .size:           4
        .value_kind:     hidden_block_count_x
      - .offset:         148
        .size:           4
        .value_kind:     hidden_block_count_y
      - .offset:         152
        .size:           4
        .value_kind:     hidden_block_count_z
      - .offset:         156
        .size:           2
        .value_kind:     hidden_group_size_x
      - .offset:         158
        .size:           2
        .value_kind:     hidden_group_size_y
      - .offset:         160
        .size:           2
        .value_kind:     hidden_group_size_z
      - .offset:         162
        .size:           2
        .value_kind:     hidden_remainder_x
      - .offset:         164
        .size:           2
        .value_kind:     hidden_remainder_y
      - .offset:         166
        .size:           2
        .value_kind:     hidden_remainder_z
      - .offset:         184
        .size:           8
        .value_kind:     hidden_global_offset_x
      - .offset:         192
        .size:           8
        .value_kind:     hidden_global_offset_y
      - .offset:         200
        .size:           8
        .value_kind:     hidden_global_offset_z
      - .offset:         208
        .size:           2
        .value_kind:     hidden_grid_dims
    .group_segment_fixed_size: 17472
    .kernarg_segment_align: 8
    .kernarg_segment_size: 400
    .language:       OpenCL C
    .language_version:
      - 2
      - 0
    .max_flat_workgroup_size: 256
    .name:           _Z39paged_attention_ll4mi_QKV_mfma16_kernelI14__hip_bfloat16hLN4vllm18Fp8KVCacheDataTypeE1EhLi16ELi128ELi256ELb0ELi14EL8MFMAType1EEvPKT_PKT0_S9_ifPKiSB_SB_iPKfiiiPfSE_PS4_PT2_iSD_SD_
    .private_segment_fixed_size: 0
    .sgpr_count:     38
    .sgpr_spill_count: 0
    .symbol:         _Z39paged_attention_ll4mi_QKV_mfma16_kernelI14__hip_bfloat16hLN4vllm18Fp8KVCacheDataTypeE1EhLi16ELi128ELi256ELb0ELi14EL8MFMAType1EEvPKT_PKT0_S9_ifPKiSB_SB_iPKfiiiPfSE_PS4_PT2_iSD_SD_.kd
    .uniform_work_group_size: 1
    .uses_dynamic_stack: false
    .vgpr_count:     140
    .vgpr_spill_count: 0
    .wavefront_size: 32
    .workgroup_processor_mode: 1
  - .args:
      - .actual_access:  read_only
        .address_space:  global
        .offset:         0
        .size:           8
        .value_kind:     global_buffer
      - .actual_access:  read_only
        .address_space:  global
        .offset:         8
        .size:           8
        .value_kind:     global_buffer
      - .actual_access:  read_only
        .address_space:  global
        .offset:         16
        .size:           8
        .value_kind:     global_buffer
      - .offset:         24
        .size:           4
        .value_kind:     by_value
      - .offset:         28
        .size:           4
        .value_kind:     by_value
      - .actual_access:  read_only
        .address_space:  global
        .offset:         32
        .size:           8
        .value_kind:     global_buffer
      - .actual_access:  read_only
        .address_space:  global
        .offset:         40
        .size:           8
        .value_kind:     global_buffer
      - .actual_access:  read_only
        .address_space:  global
        .offset:         48
        .size:           8
        .value_kind:     global_buffer
      - .offset:         56
        .size:           4
        .value_kind:     by_value
      - .actual_access:  read_only
        .address_space:  global
        .offset:         64
        .size:           8
        .value_kind:     global_buffer
      - .offset:         72
        .size:           4
        .value_kind:     by_value
      - .offset:         76
        .size:           4
        .value_kind:     by_value
      - .offset:         80
        .size:           4
        .value_kind:     by_value
      - .actual_access:  write_only
        .address_space:  global
        .offset:         88
        .size:           8
        .value_kind:     global_buffer
      - .actual_access:  write_only
        .address_space:  global
        .offset:         96
        .size:           8
        .value_kind:     global_buffer
      - .actual_access:  write_only
        .address_space:  global
        .offset:         104
        .size:           8
        .value_kind:     global_buffer
      - .actual_access:  read_only
        .address_space:  global
        .offset:         112
        .size:           8
        .value_kind:     global_buffer
      - .offset:         120
        .size:           4
        .value_kind:     by_value
      - .address_space:  global
        .offset:         128
        .size:           8
        .value_kind:     global_buffer
      - .address_space:  global
        .offset:         136
        .size:           8
        .value_kind:     global_buffer
      - .offset:         144
        .size:           4
        .value_kind:     hidden_block_count_x
      - .offset:         148
        .size:           4
        .value_kind:     hidden_block_count_y
      - .offset:         152
        .size:           4
        .value_kind:     hidden_block_count_z
      - .offset:         156
        .size:           2
        .value_kind:     hidden_group_size_x
      - .offset:         158
        .size:           2
        .value_kind:     hidden_group_size_y
      - .offset:         160
        .size:           2
        .value_kind:     hidden_group_size_z
      - .offset:         162
        .size:           2
        .value_kind:     hidden_remainder_x
      - .offset:         164
        .size:           2
        .value_kind:     hidden_remainder_y
      - .offset:         166
        .size:           2
        .value_kind:     hidden_remainder_z
      - .offset:         184
        .size:           8
        .value_kind:     hidden_global_offset_x
      - .offset:         192
        .size:           8
        .value_kind:     hidden_global_offset_y
      - .offset:         200
        .size:           8
        .value_kind:     hidden_global_offset_z
      - .offset:         208
        .size:           2
        .value_kind:     hidden_grid_dims
    .group_segment_fixed_size: 17472
    .kernarg_segment_align: 8
    .kernarg_segment_size: 400
    .language:       OpenCL C
    .language_version:
      - 2
      - 0
    .max_flat_workgroup_size: 256
    .name:           _Z39paged_attention_ll4mi_QKV_mfma16_kernelI14__hip_bfloat16hLN4vllm18Fp8KVCacheDataTypeE1EhLi16ELi128ELi256ELb0ELi15EL8MFMAType1EEvPKT_PKT0_S9_ifPKiSB_SB_iPKfiiiPfSE_PS4_PT2_iSD_SD_
    .private_segment_fixed_size: 0
    .sgpr_count:     38
    .sgpr_spill_count: 0
    .symbol:         _Z39paged_attention_ll4mi_QKV_mfma16_kernelI14__hip_bfloat16hLN4vllm18Fp8KVCacheDataTypeE1EhLi16ELi128ELi256ELb0ELi15EL8MFMAType1EEvPKT_PKT0_S9_ifPKiSB_SB_iPKfiiiPfSE_PS4_PT2_iSD_SD_.kd
    .uniform_work_group_size: 1
    .uses_dynamic_stack: false
    .vgpr_count:     140
    .vgpr_spill_count: 0
    .wavefront_size: 32
    .workgroup_processor_mode: 1
  - .args:
      - .actual_access:  read_only
        .address_space:  global
        .offset:         0
        .size:           8
        .value_kind:     global_buffer
      - .actual_access:  read_only
        .address_space:  global
        .offset:         8
        .size:           8
        .value_kind:     global_buffer
      - .actual_access:  read_only
        .address_space:  global
        .offset:         16
        .size:           8
        .value_kind:     global_buffer
      - .offset:         24
        .size:           4
        .value_kind:     by_value
      - .offset:         28
        .size:           4
        .value_kind:     by_value
      - .actual_access:  read_only
        .address_space:  global
        .offset:         32
        .size:           8
        .value_kind:     global_buffer
      - .actual_access:  read_only
        .address_space:  global
        .offset:         40
        .size:           8
        .value_kind:     global_buffer
      - .actual_access:  read_only
        .address_space:  global
        .offset:         48
        .size:           8
        .value_kind:     global_buffer
      - .offset:         56
        .size:           4
        .value_kind:     by_value
      - .actual_access:  read_only
        .address_space:  global
        .offset:         64
        .size:           8
        .value_kind:     global_buffer
      - .offset:         72
        .size:           4
        .value_kind:     by_value
      - .offset:         76
        .size:           4
        .value_kind:     by_value
      - .offset:         80
        .size:           4
        .value_kind:     by_value
      - .actual_access:  write_only
        .address_space:  global
        .offset:         88
        .size:           8
        .value_kind:     global_buffer
      - .actual_access:  write_only
        .address_space:  global
        .offset:         96
        .size:           8
        .value_kind:     global_buffer
      - .actual_access:  write_only
        .address_space:  global
        .offset:         104
        .size:           8
        .value_kind:     global_buffer
      - .actual_access:  read_only
        .address_space:  global
        .offset:         112
        .size:           8
        .value_kind:     global_buffer
      - .offset:         120
        .size:           4
        .value_kind:     by_value
      - .address_space:  global
        .offset:         128
        .size:           8
        .value_kind:     global_buffer
      - .address_space:  global
        .offset:         136
        .size:           8
        .value_kind:     global_buffer
      - .offset:         144
        .size:           4
        .value_kind:     hidden_block_count_x
      - .offset:         148
        .size:           4
        .value_kind:     hidden_block_count_y
      - .offset:         152
        .size:           4
        .value_kind:     hidden_block_count_z
      - .offset:         156
        .size:           2
        .value_kind:     hidden_group_size_x
      - .offset:         158
        .size:           2
        .value_kind:     hidden_group_size_y
      - .offset:         160
        .size:           2
        .value_kind:     hidden_group_size_z
      - .offset:         162
        .size:           2
        .value_kind:     hidden_remainder_x
      - .offset:         164
        .size:           2
        .value_kind:     hidden_remainder_y
      - .offset:         166
        .size:           2
        .value_kind:     hidden_remainder_z
      - .offset:         184
        .size:           8
        .value_kind:     hidden_global_offset_x
      - .offset:         192
        .size:           8
        .value_kind:     hidden_global_offset_y
      - .offset:         200
        .size:           8
        .value_kind:     hidden_global_offset_z
      - .offset:         208
        .size:           2
        .value_kind:     hidden_grid_dims
    .group_segment_fixed_size: 17472
    .kernarg_segment_align: 8
    .kernarg_segment_size: 400
    .language:       OpenCL C
    .language_version:
      - 2
      - 0
    .max_flat_workgroup_size: 256
    .name:           _Z39paged_attention_ll4mi_QKV_mfma16_kernelI14__hip_bfloat16hLN4vllm18Fp8KVCacheDataTypeE1EhLi16ELi128ELi256ELb0ELi16EL8MFMAType1EEvPKT_PKT0_S9_ifPKiSB_SB_iPKfiiiPfSE_PS4_PT2_iSD_SD_
    .private_segment_fixed_size: 0
    .sgpr_count:     38
    .sgpr_spill_count: 0
    .symbol:         _Z39paged_attention_ll4mi_QKV_mfma16_kernelI14__hip_bfloat16hLN4vllm18Fp8KVCacheDataTypeE1EhLi16ELi128ELi256ELb0ELi16EL8MFMAType1EEvPKT_PKT0_S9_ifPKiSB_SB_iPKfiiiPfSE_PS4_PT2_iSD_SD_.kd
    .uniform_work_group_size: 1
    .uses_dynamic_stack: false
    .vgpr_count:     141
    .vgpr_spill_count: 0
    .wavefront_size: 32
    .workgroup_processor_mode: 1
  - .args:
      - .actual_access:  read_only
        .address_space:  global
        .offset:         0
        .size:           8
        .value_kind:     global_buffer
      - .actual_access:  read_only
        .address_space:  global
        .offset:         8
        .size:           8
        .value_kind:     global_buffer
      - .actual_access:  read_only
        .address_space:  global
        .offset:         16
        .size:           8
        .value_kind:     global_buffer
      - .offset:         24
        .size:           4
        .value_kind:     by_value
      - .offset:         28
        .size:           4
        .value_kind:     by_value
      - .actual_access:  read_only
        .address_space:  global
        .offset:         32
        .size:           8
        .value_kind:     global_buffer
      - .actual_access:  read_only
        .address_space:  global
        .offset:         40
        .size:           8
        .value_kind:     global_buffer
      - .actual_access:  read_only
        .address_space:  global
        .offset:         48
        .size:           8
        .value_kind:     global_buffer
      - .offset:         56
        .size:           4
        .value_kind:     by_value
      - .actual_access:  read_only
        .address_space:  global
        .offset:         64
        .size:           8
        .value_kind:     global_buffer
      - .offset:         72
        .size:           4
        .value_kind:     by_value
      - .offset:         76
        .size:           4
        .value_kind:     by_value
      - .offset:         80
        .size:           4
        .value_kind:     by_value
      - .actual_access:  write_only
        .address_space:  global
        .offset:         88
        .size:           8
        .value_kind:     global_buffer
      - .actual_access:  write_only
        .address_space:  global
        .offset:         96
        .size:           8
        .value_kind:     global_buffer
      - .actual_access:  write_only
        .address_space:  global
        .offset:         104
        .size:           8
        .value_kind:     global_buffer
      - .actual_access:  read_only
        .address_space:  global
        .offset:         112
        .size:           8
        .value_kind:     global_buffer
      - .offset:         120
        .size:           4
        .value_kind:     by_value
      - .address_space:  global
        .offset:         128
        .size:           8
        .value_kind:     global_buffer
      - .address_space:  global
        .offset:         136
        .size:           8
        .value_kind:     global_buffer
      - .offset:         144
        .size:           4
        .value_kind:     hidden_block_count_x
      - .offset:         148
        .size:           4
        .value_kind:     hidden_block_count_y
      - .offset:         152
        .size:           4
        .value_kind:     hidden_block_count_z
      - .offset:         156
        .size:           2
        .value_kind:     hidden_group_size_x
      - .offset:         158
        .size:           2
        .value_kind:     hidden_group_size_y
      - .offset:         160
        .size:           2
        .value_kind:     hidden_group_size_z
      - .offset:         162
        .size:           2
        .value_kind:     hidden_remainder_x
      - .offset:         164
        .size:           2
        .value_kind:     hidden_remainder_y
      - .offset:         166
        .size:           2
        .value_kind:     hidden_remainder_z
      - .offset:         184
        .size:           8
        .value_kind:     hidden_global_offset_x
      - .offset:         192
        .size:           8
        .value_kind:     hidden_global_offset_y
      - .offset:         200
        .size:           8
        .value_kind:     hidden_global_offset_z
      - .offset:         208
        .size:           2
        .value_kind:     hidden_grid_dims
    .group_segment_fixed_size: 17472
    .kernarg_segment_align: 8
    .kernarg_segment_size: 400
    .language:       OpenCL C
    .language_version:
      - 2
      - 0
    .max_flat_workgroup_size: 256
    .name:           _Z39paged_attention_ll4mi_QKV_mfma16_kernelI14__hip_bfloat16hLN4vllm18Fp8KVCacheDataTypeE1EhLi16ELi128ELi256ELb0ELi1EL8MFMAType1EEvPKT_PKT0_S9_ifPKiSB_SB_iPKfiiiPfSE_PS4_PT2_iSD_SD_
    .private_segment_fixed_size: 0
    .sgpr_count:     68
    .sgpr_spill_count: 0
    .symbol:         _Z39paged_attention_ll4mi_QKV_mfma16_kernelI14__hip_bfloat16hLN4vllm18Fp8KVCacheDataTypeE1EhLi16ELi128ELi256ELb0ELi1EL8MFMAType1EEvPKT_PKT0_S9_ifPKiSB_SB_iPKfiiiPfSE_PS4_PT2_iSD_SD_.kd
    .uniform_work_group_size: 1
    .uses_dynamic_stack: false
    .vgpr_count:     138
    .vgpr_spill_count: 0
    .wavefront_size: 32
    .workgroup_processor_mode: 1
  - .args:
      - .actual_access:  read_only
        .address_space:  global
        .offset:         0
        .size:           8
        .value_kind:     global_buffer
      - .actual_access:  read_only
        .address_space:  global
        .offset:         8
        .size:           8
        .value_kind:     global_buffer
      - .actual_access:  read_only
        .address_space:  global
        .offset:         16
        .size:           8
        .value_kind:     global_buffer
      - .offset:         24
        .size:           4
        .value_kind:     by_value
      - .offset:         28
        .size:           4
        .value_kind:     by_value
      - .actual_access:  read_only
        .address_space:  global
        .offset:         32
        .size:           8
        .value_kind:     global_buffer
      - .actual_access:  read_only
        .address_space:  global
        .offset:         40
        .size:           8
        .value_kind:     global_buffer
      - .actual_access:  read_only
        .address_space:  global
        .offset:         48
        .size:           8
        .value_kind:     global_buffer
      - .offset:         56
        .size:           4
        .value_kind:     by_value
      - .actual_access:  read_only
        .address_space:  global
        .offset:         64
        .size:           8
        .value_kind:     global_buffer
      - .offset:         72
        .size:           4
        .value_kind:     by_value
      - .offset:         76
        .size:           4
        .value_kind:     by_value
      - .offset:         80
        .size:           4
        .value_kind:     by_value
      - .actual_access:  write_only
        .address_space:  global
        .offset:         88
        .size:           8
        .value_kind:     global_buffer
      - .actual_access:  write_only
        .address_space:  global
        .offset:         96
        .size:           8
        .value_kind:     global_buffer
      - .actual_access:  write_only
        .address_space:  global
        .offset:         104
        .size:           8
        .value_kind:     global_buffer
      - .actual_access:  read_only
        .address_space:  global
        .offset:         112
        .size:           8
        .value_kind:     global_buffer
      - .offset:         120
        .size:           4
        .value_kind:     by_value
      - .address_space:  global
        .offset:         128
        .size:           8
        .value_kind:     global_buffer
      - .address_space:  global
        .offset:         136
        .size:           8
        .value_kind:     global_buffer
      - .offset:         144
        .size:           4
        .value_kind:     hidden_block_count_x
      - .offset:         148
        .size:           4
        .value_kind:     hidden_block_count_y
      - .offset:         152
        .size:           4
        .value_kind:     hidden_block_count_z
      - .offset:         156
        .size:           2
        .value_kind:     hidden_group_size_x
      - .offset:         158
        .size:           2
        .value_kind:     hidden_group_size_y
      - .offset:         160
        .size:           2
        .value_kind:     hidden_group_size_z
      - .offset:         162
        .size:           2
        .value_kind:     hidden_remainder_x
      - .offset:         164
        .size:           2
        .value_kind:     hidden_remainder_y
      - .offset:         166
        .size:           2
        .value_kind:     hidden_remainder_z
      - .offset:         184
        .size:           8
        .value_kind:     hidden_global_offset_x
      - .offset:         192
        .size:           8
        .value_kind:     hidden_global_offset_y
      - .offset:         200
        .size:           8
        .value_kind:     hidden_global_offset_z
      - .offset:         208
        .size:           2
        .value_kind:     hidden_grid_dims
    .group_segment_fixed_size: 17472
    .kernarg_segment_align: 8
    .kernarg_segment_size: 400
    .language:       OpenCL C
    .language_version:
      - 2
      - 0
    .max_flat_workgroup_size: 256
    .name:           _Z39paged_attention_ll4mi_QKV_mfma16_kernelI14__hip_bfloat16hLN4vllm18Fp8KVCacheDataTypeE1EhLi16ELi128ELi256ELb0ELi2EL8MFMAType1EEvPKT_PKT0_S9_ifPKiSB_SB_iPKfiiiPfSE_PS4_PT2_iSD_SD_
    .private_segment_fixed_size: 0
    .sgpr_count:     38
    .sgpr_spill_count: 0
    .symbol:         _Z39paged_attention_ll4mi_QKV_mfma16_kernelI14__hip_bfloat16hLN4vllm18Fp8KVCacheDataTypeE1EhLi16ELi128ELi256ELb0ELi2EL8MFMAType1EEvPKT_PKT0_S9_ifPKiSB_SB_iPKfiiiPfSE_PS4_PT2_iSD_SD_.kd
    .uniform_work_group_size: 1
    .uses_dynamic_stack: false
    .vgpr_count:     138
    .vgpr_spill_count: 0
    .wavefront_size: 32
    .workgroup_processor_mode: 1
  - .args:
      - .actual_access:  read_only
        .address_space:  global
        .offset:         0
        .size:           8
        .value_kind:     global_buffer
      - .actual_access:  read_only
        .address_space:  global
        .offset:         8
        .size:           8
        .value_kind:     global_buffer
      - .actual_access:  read_only
        .address_space:  global
        .offset:         16
        .size:           8
        .value_kind:     global_buffer
      - .offset:         24
        .size:           4
        .value_kind:     by_value
      - .offset:         28
        .size:           4
        .value_kind:     by_value
      - .actual_access:  read_only
        .address_space:  global
        .offset:         32
        .size:           8
        .value_kind:     global_buffer
      - .actual_access:  read_only
        .address_space:  global
        .offset:         40
        .size:           8
        .value_kind:     global_buffer
      - .actual_access:  read_only
        .address_space:  global
        .offset:         48
        .size:           8
        .value_kind:     global_buffer
      - .offset:         56
        .size:           4
        .value_kind:     by_value
      - .actual_access:  read_only
        .address_space:  global
        .offset:         64
        .size:           8
        .value_kind:     global_buffer
      - .offset:         72
        .size:           4
        .value_kind:     by_value
      - .offset:         76
        .size:           4
        .value_kind:     by_value
      - .offset:         80
        .size:           4
        .value_kind:     by_value
      - .actual_access:  write_only
        .address_space:  global
        .offset:         88
        .size:           8
        .value_kind:     global_buffer
      - .actual_access:  write_only
        .address_space:  global
        .offset:         96
        .size:           8
        .value_kind:     global_buffer
      - .actual_access:  write_only
        .address_space:  global
        .offset:         104
        .size:           8
        .value_kind:     global_buffer
      - .actual_access:  read_only
        .address_space:  global
        .offset:         112
        .size:           8
        .value_kind:     global_buffer
      - .offset:         120
        .size:           4
        .value_kind:     by_value
      - .address_space:  global
        .offset:         128
        .size:           8
        .value_kind:     global_buffer
      - .address_space:  global
        .offset:         136
        .size:           8
        .value_kind:     global_buffer
      - .offset:         144
        .size:           4
        .value_kind:     hidden_block_count_x
      - .offset:         148
        .size:           4
        .value_kind:     hidden_block_count_y
      - .offset:         152
        .size:           4
        .value_kind:     hidden_block_count_z
      - .offset:         156
        .size:           2
        .value_kind:     hidden_group_size_x
      - .offset:         158
        .size:           2
        .value_kind:     hidden_group_size_y
      - .offset:         160
        .size:           2
        .value_kind:     hidden_group_size_z
      - .offset:         162
        .size:           2
        .value_kind:     hidden_remainder_x
      - .offset:         164
        .size:           2
        .value_kind:     hidden_remainder_y
      - .offset:         166
        .size:           2
        .value_kind:     hidden_remainder_z
      - .offset:         184
        .size:           8
        .value_kind:     hidden_global_offset_x
      - .offset:         192
        .size:           8
        .value_kind:     hidden_global_offset_y
      - .offset:         200
        .size:           8
        .value_kind:     hidden_global_offset_z
      - .offset:         208
        .size:           2
        .value_kind:     hidden_grid_dims
    .group_segment_fixed_size: 17472
    .kernarg_segment_align: 8
    .kernarg_segment_size: 400
    .language:       OpenCL C
    .language_version:
      - 2
      - 0
    .max_flat_workgroup_size: 256
    .name:           _Z39paged_attention_ll4mi_QKV_mfma16_kernelI14__hip_bfloat16hLN4vllm18Fp8KVCacheDataTypeE1EhLi16ELi128ELi256ELb0ELi3EL8MFMAType1EEvPKT_PKT0_S9_ifPKiSB_SB_iPKfiiiPfSE_PS4_PT2_iSD_SD_
    .private_segment_fixed_size: 0
    .sgpr_count:     38
    .sgpr_spill_count: 0
    .symbol:         _Z39paged_attention_ll4mi_QKV_mfma16_kernelI14__hip_bfloat16hLN4vllm18Fp8KVCacheDataTypeE1EhLi16ELi128ELi256ELb0ELi3EL8MFMAType1EEvPKT_PKT0_S9_ifPKiSB_SB_iPKfiiiPfSE_PS4_PT2_iSD_SD_.kd
    .uniform_work_group_size: 1
    .uses_dynamic_stack: false
    .vgpr_count:     140
    .vgpr_spill_count: 0
    .wavefront_size: 32
    .workgroup_processor_mode: 1
  - .args:
      - .actual_access:  read_only
        .address_space:  global
        .offset:         0
        .size:           8
        .value_kind:     global_buffer
      - .actual_access:  read_only
        .address_space:  global
        .offset:         8
        .size:           8
        .value_kind:     global_buffer
      - .actual_access:  read_only
        .address_space:  global
        .offset:         16
        .size:           8
        .value_kind:     global_buffer
      - .offset:         24
        .size:           4
        .value_kind:     by_value
      - .offset:         28
        .size:           4
        .value_kind:     by_value
      - .actual_access:  read_only
        .address_space:  global
        .offset:         32
        .size:           8
        .value_kind:     global_buffer
      - .actual_access:  read_only
        .address_space:  global
        .offset:         40
        .size:           8
        .value_kind:     global_buffer
      - .actual_access:  read_only
        .address_space:  global
        .offset:         48
        .size:           8
        .value_kind:     global_buffer
      - .offset:         56
        .size:           4
        .value_kind:     by_value
      - .actual_access:  read_only
        .address_space:  global
        .offset:         64
        .size:           8
        .value_kind:     global_buffer
      - .offset:         72
        .size:           4
        .value_kind:     by_value
      - .offset:         76
        .size:           4
        .value_kind:     by_value
      - .offset:         80
        .size:           4
        .value_kind:     by_value
      - .actual_access:  write_only
        .address_space:  global
        .offset:         88
        .size:           8
        .value_kind:     global_buffer
      - .actual_access:  write_only
        .address_space:  global
        .offset:         96
        .size:           8
        .value_kind:     global_buffer
      - .actual_access:  write_only
        .address_space:  global
        .offset:         104
        .size:           8
        .value_kind:     global_buffer
      - .actual_access:  read_only
        .address_space:  global
        .offset:         112
        .size:           8
        .value_kind:     global_buffer
      - .offset:         120
        .size:           4
        .value_kind:     by_value
      - .address_space:  global
        .offset:         128
        .size:           8
        .value_kind:     global_buffer
      - .address_space:  global
        .offset:         136
        .size:           8
        .value_kind:     global_buffer
      - .offset:         144
        .size:           4
        .value_kind:     hidden_block_count_x
      - .offset:         148
        .size:           4
        .value_kind:     hidden_block_count_y
      - .offset:         152
        .size:           4
        .value_kind:     hidden_block_count_z
      - .offset:         156
        .size:           2
        .value_kind:     hidden_group_size_x
      - .offset:         158
        .size:           2
        .value_kind:     hidden_group_size_y
      - .offset:         160
        .size:           2
        .value_kind:     hidden_group_size_z
      - .offset:         162
        .size:           2
        .value_kind:     hidden_remainder_x
      - .offset:         164
        .size:           2
        .value_kind:     hidden_remainder_y
      - .offset:         166
        .size:           2
        .value_kind:     hidden_remainder_z
      - .offset:         184
        .size:           8
        .value_kind:     hidden_global_offset_x
      - .offset:         192
        .size:           8
        .value_kind:     hidden_global_offset_y
      - .offset:         200
        .size:           8
        .value_kind:     hidden_global_offset_z
      - .offset:         208
        .size:           2
        .value_kind:     hidden_grid_dims
    .group_segment_fixed_size: 17472
    .kernarg_segment_align: 8
    .kernarg_segment_size: 400
    .language:       OpenCL C
    .language_version:
      - 2
      - 0
    .max_flat_workgroup_size: 256
    .name:           _Z39paged_attention_ll4mi_QKV_mfma16_kernelI14__hip_bfloat16hLN4vllm18Fp8KVCacheDataTypeE1EhLi16ELi128ELi256ELb0ELi4EL8MFMAType1EEvPKT_PKT0_S9_ifPKiSB_SB_iPKfiiiPfSE_PS4_PT2_iSD_SD_
    .private_segment_fixed_size: 0
    .sgpr_count:     38
    .sgpr_spill_count: 0
    .symbol:         _Z39paged_attention_ll4mi_QKV_mfma16_kernelI14__hip_bfloat16hLN4vllm18Fp8KVCacheDataTypeE1EhLi16ELi128ELi256ELb0ELi4EL8MFMAType1EEvPKT_PKT0_S9_ifPKiSB_SB_iPKfiiiPfSE_PS4_PT2_iSD_SD_.kd
    .uniform_work_group_size: 1
    .uses_dynamic_stack: false
    .vgpr_count:     140
    .vgpr_spill_count: 0
    .wavefront_size: 32
    .workgroup_processor_mode: 1
  - .args:
      - .actual_access:  read_only
        .address_space:  global
        .offset:         0
        .size:           8
        .value_kind:     global_buffer
      - .actual_access:  read_only
        .address_space:  global
        .offset:         8
        .size:           8
        .value_kind:     global_buffer
      - .actual_access:  read_only
        .address_space:  global
        .offset:         16
        .size:           8
        .value_kind:     global_buffer
      - .offset:         24
        .size:           4
        .value_kind:     by_value
      - .offset:         28
        .size:           4
        .value_kind:     by_value
      - .actual_access:  read_only
        .address_space:  global
        .offset:         32
        .size:           8
        .value_kind:     global_buffer
      - .actual_access:  read_only
        .address_space:  global
        .offset:         40
        .size:           8
        .value_kind:     global_buffer
      - .actual_access:  read_only
        .address_space:  global
        .offset:         48
        .size:           8
        .value_kind:     global_buffer
      - .offset:         56
        .size:           4
        .value_kind:     by_value
      - .actual_access:  read_only
        .address_space:  global
        .offset:         64
        .size:           8
        .value_kind:     global_buffer
      - .offset:         72
        .size:           4
        .value_kind:     by_value
      - .offset:         76
        .size:           4
        .value_kind:     by_value
      - .offset:         80
        .size:           4
        .value_kind:     by_value
      - .actual_access:  read_only
        .address_space:  global
        .offset:         88
        .size:           8
        .value_kind:     global_buffer
      - .actual_access:  read_only
        .address_space:  global
        .offset:         96
        .size:           8
        .value_kind:     global_buffer
      - .actual_access:  read_only
        .address_space:  global
        .offset:         104
        .size:           8
        .value_kind:     global_buffer
      - .actual_access:  read_only
        .address_space:  global
        .offset:         112
        .size:           8
        .value_kind:     global_buffer
      - .offset:         120
        .size:           4
        .value_kind:     by_value
      - .address_space:  global
        .offset:         128
        .size:           8
        .value_kind:     global_buffer
      - .address_space:  global
        .offset:         136
        .size:           8
        .value_kind:     global_buffer
      - .offset:         144
        .size:           4
        .value_kind:     hidden_block_count_x
      - .offset:         148
        .size:           4
        .value_kind:     hidden_block_count_y
      - .offset:         152
        .size:           4
        .value_kind:     hidden_block_count_z
      - .offset:         156
        .size:           2
        .value_kind:     hidden_group_size_x
      - .offset:         158
        .size:           2
        .value_kind:     hidden_group_size_y
      - .offset:         160
        .size:           2
        .value_kind:     hidden_group_size_z
      - .offset:         162
        .size:           2
        .value_kind:     hidden_remainder_x
      - .offset:         164
        .size:           2
        .value_kind:     hidden_remainder_y
      - .offset:         166
        .size:           2
        .value_kind:     hidden_remainder_z
      - .offset:         184
        .size:           8
        .value_kind:     hidden_global_offset_x
      - .offset:         192
        .size:           8
        .value_kind:     hidden_global_offset_y
      - .offset:         200
        .size:           8
        .value_kind:     hidden_global_offset_z
      - .offset:         208
        .size:           2
        .value_kind:     hidden_grid_dims
      - .offset:         224
        .size:           8
        .value_kind:     hidden_hostcall_buffer
    .group_segment_fixed_size: 0
    .kernarg_segment_align: 8
    .kernarg_segment_size: 400
    .language:       OpenCL C
    .language_version:
      - 2
      - 0
    .max_flat_workgroup_size: 256
    .name:           _Z38paged_attention_ll4mi_QKV_mfma4_kernelI14__hip_bfloat16hLN4vllm18Fp8KVCacheDataTypeE1ES0_Li16ELi128ELi256ELb1ELi1EEvPKT_PKT0_S8_ifPKiSA_SA_iPKfiiiPfSD_PS3_PT2_iSC_SC_
    .private_segment_fixed_size: 64
    .sgpr_count:     36
    .sgpr_spill_count: 0
    .symbol:         _Z38paged_attention_ll4mi_QKV_mfma4_kernelI14__hip_bfloat16hLN4vllm18Fp8KVCacheDataTypeE1ES0_Li16ELi128ELi256ELb1ELi1EEvPKT_PKT0_S8_ifPKiSA_SA_iPKfiiiPfSD_PS3_PT2_iSC_SC_.kd
    .uniform_work_group_size: 1
    .uses_dynamic_stack: false
    .vgpr_count:     41
    .vgpr_spill_count: 0
    .wavefront_size: 32
    .workgroup_processor_mode: 1
  - .args:
      - .actual_access:  read_only
        .address_space:  global
        .offset:         0
        .size:           8
        .value_kind:     global_buffer
      - .actual_access:  read_only
        .address_space:  global
        .offset:         8
        .size:           8
        .value_kind:     global_buffer
      - .actual_access:  read_only
        .address_space:  global
        .offset:         16
        .size:           8
        .value_kind:     global_buffer
      - .offset:         24
        .size:           4
        .value_kind:     by_value
      - .offset:         28
        .size:           4
        .value_kind:     by_value
      - .actual_access:  read_only
        .address_space:  global
        .offset:         32
        .size:           8
        .value_kind:     global_buffer
      - .actual_access:  read_only
        .address_space:  global
        .offset:         40
        .size:           8
        .value_kind:     global_buffer
      - .actual_access:  read_only
        .address_space:  global
        .offset:         48
        .size:           8
        .value_kind:     global_buffer
      - .offset:         56
        .size:           4
        .value_kind:     by_value
      - .actual_access:  read_only
        .address_space:  global
        .offset:         64
        .size:           8
        .value_kind:     global_buffer
      - .offset:         72
        .size:           4
        .value_kind:     by_value
      - .offset:         76
        .size:           4
        .value_kind:     by_value
      - .offset:         80
        .size:           4
        .value_kind:     by_value
      - .actual_access:  read_only
        .address_space:  global
        .offset:         88
        .size:           8
        .value_kind:     global_buffer
      - .actual_access:  read_only
        .address_space:  global
        .offset:         96
        .size:           8
        .value_kind:     global_buffer
      - .actual_access:  read_only
        .address_space:  global
        .offset:         104
        .size:           8
        .value_kind:     global_buffer
      - .actual_access:  read_only
        .address_space:  global
        .offset:         112
        .size:           8
        .value_kind:     global_buffer
      - .offset:         120
        .size:           4
        .value_kind:     by_value
      - .address_space:  global
        .offset:         128
        .size:           8
        .value_kind:     global_buffer
      - .address_space:  global
        .offset:         136
        .size:           8
        .value_kind:     global_buffer
      - .offset:         144
        .size:           4
        .value_kind:     hidden_block_count_x
      - .offset:         148
        .size:           4
        .value_kind:     hidden_block_count_y
      - .offset:         152
        .size:           4
        .value_kind:     hidden_block_count_z
      - .offset:         156
        .size:           2
        .value_kind:     hidden_group_size_x
      - .offset:         158
        .size:           2
        .value_kind:     hidden_group_size_y
      - .offset:         160
        .size:           2
        .value_kind:     hidden_group_size_z
      - .offset:         162
        .size:           2
        .value_kind:     hidden_remainder_x
      - .offset:         164
        .size:           2
        .value_kind:     hidden_remainder_y
      - .offset:         166
        .size:           2
        .value_kind:     hidden_remainder_z
      - .offset:         184
        .size:           8
        .value_kind:     hidden_global_offset_x
      - .offset:         192
        .size:           8
        .value_kind:     hidden_global_offset_y
      - .offset:         200
        .size:           8
        .value_kind:     hidden_global_offset_z
      - .offset:         208
        .size:           2
        .value_kind:     hidden_grid_dims
      - .offset:         224
        .size:           8
        .value_kind:     hidden_hostcall_buffer
    .group_segment_fixed_size: 0
    .kernarg_segment_align: 8
    .kernarg_segment_size: 400
    .language:       OpenCL C
    .language_version:
      - 2
      - 0
    .max_flat_workgroup_size: 256
    .name:           _Z38paged_attention_ll4mi_QKV_mfma4_kernelI14__hip_bfloat16hLN4vllm18Fp8KVCacheDataTypeE1ES0_Li16ELi128ELi256ELb1ELi2EEvPKT_PKT0_S8_ifPKiSA_SA_iPKfiiiPfSD_PS3_PT2_iSC_SC_
    .private_segment_fixed_size: 64
    .sgpr_count:     36
    .sgpr_spill_count: 0
    .symbol:         _Z38paged_attention_ll4mi_QKV_mfma4_kernelI14__hip_bfloat16hLN4vllm18Fp8KVCacheDataTypeE1ES0_Li16ELi128ELi256ELb1ELi2EEvPKT_PKT0_S8_ifPKiSA_SA_iPKfiiiPfSD_PS3_PT2_iSC_SC_.kd
    .uniform_work_group_size: 1
    .uses_dynamic_stack: false
    .vgpr_count:     41
    .vgpr_spill_count: 0
    .wavefront_size: 32
    .workgroup_processor_mode: 1
  - .args:
      - .actual_access:  read_only
        .address_space:  global
        .offset:         0
        .size:           8
        .value_kind:     global_buffer
      - .actual_access:  read_only
        .address_space:  global
        .offset:         8
        .size:           8
        .value_kind:     global_buffer
      - .actual_access:  read_only
        .address_space:  global
        .offset:         16
        .size:           8
        .value_kind:     global_buffer
      - .offset:         24
        .size:           4
        .value_kind:     by_value
      - .offset:         28
        .size:           4
        .value_kind:     by_value
      - .actual_access:  read_only
        .address_space:  global
        .offset:         32
        .size:           8
        .value_kind:     global_buffer
      - .actual_access:  read_only
        .address_space:  global
        .offset:         40
        .size:           8
        .value_kind:     global_buffer
      - .actual_access:  read_only
        .address_space:  global
        .offset:         48
        .size:           8
        .value_kind:     global_buffer
      - .offset:         56
        .size:           4
        .value_kind:     by_value
      - .actual_access:  read_only
        .address_space:  global
        .offset:         64
        .size:           8
        .value_kind:     global_buffer
      - .offset:         72
        .size:           4
        .value_kind:     by_value
      - .offset:         76
        .size:           4
        .value_kind:     by_value
      - .offset:         80
        .size:           4
        .value_kind:     by_value
      - .actual_access:  read_only
        .address_space:  global
        .offset:         88
        .size:           8
        .value_kind:     global_buffer
      - .actual_access:  read_only
        .address_space:  global
        .offset:         96
        .size:           8
        .value_kind:     global_buffer
      - .actual_access:  read_only
        .address_space:  global
        .offset:         104
        .size:           8
        .value_kind:     global_buffer
      - .actual_access:  read_only
        .address_space:  global
        .offset:         112
        .size:           8
        .value_kind:     global_buffer
      - .offset:         120
        .size:           4
        .value_kind:     by_value
      - .address_space:  global
        .offset:         128
        .size:           8
        .value_kind:     global_buffer
      - .address_space:  global
        .offset:         136
        .size:           8
        .value_kind:     global_buffer
      - .offset:         144
        .size:           4
        .value_kind:     hidden_block_count_x
      - .offset:         148
        .size:           4
        .value_kind:     hidden_block_count_y
      - .offset:         152
        .size:           4
        .value_kind:     hidden_block_count_z
      - .offset:         156
        .size:           2
        .value_kind:     hidden_group_size_x
      - .offset:         158
        .size:           2
        .value_kind:     hidden_group_size_y
      - .offset:         160
        .size:           2
        .value_kind:     hidden_group_size_z
      - .offset:         162
        .size:           2
        .value_kind:     hidden_remainder_x
      - .offset:         164
        .size:           2
        .value_kind:     hidden_remainder_y
      - .offset:         166
        .size:           2
        .value_kind:     hidden_remainder_z
      - .offset:         184
        .size:           8
        .value_kind:     hidden_global_offset_x
      - .offset:         192
        .size:           8
        .value_kind:     hidden_global_offset_y
      - .offset:         200
        .size:           8
        .value_kind:     hidden_global_offset_z
      - .offset:         208
        .size:           2
        .value_kind:     hidden_grid_dims
      - .offset:         224
        .size:           8
        .value_kind:     hidden_hostcall_buffer
    .group_segment_fixed_size: 0
    .kernarg_segment_align: 8
    .kernarg_segment_size: 400
    .language:       OpenCL C
    .language_version:
      - 2
      - 0
    .max_flat_workgroup_size: 256
    .name:           _Z38paged_attention_ll4mi_QKV_mfma4_kernelI14__hip_bfloat16hLN4vllm18Fp8KVCacheDataTypeE1ES0_Li16ELi128ELi256ELb1ELi3EEvPKT_PKT0_S8_ifPKiSA_SA_iPKfiiiPfSD_PS3_PT2_iSC_SC_
    .private_segment_fixed_size: 64
    .sgpr_count:     36
    .sgpr_spill_count: 0
    .symbol:         _Z38paged_attention_ll4mi_QKV_mfma4_kernelI14__hip_bfloat16hLN4vllm18Fp8KVCacheDataTypeE1ES0_Li16ELi128ELi256ELb1ELi3EEvPKT_PKT0_S8_ifPKiSA_SA_iPKfiiiPfSD_PS3_PT2_iSC_SC_.kd
    .uniform_work_group_size: 1
    .uses_dynamic_stack: false
    .vgpr_count:     41
    .vgpr_spill_count: 0
    .wavefront_size: 32
    .workgroup_processor_mode: 1
  - .args:
      - .actual_access:  read_only
        .address_space:  global
        .offset:         0
        .size:           8
        .value_kind:     global_buffer
      - .actual_access:  read_only
        .address_space:  global
        .offset:         8
        .size:           8
        .value_kind:     global_buffer
      - .actual_access:  read_only
        .address_space:  global
        .offset:         16
        .size:           8
        .value_kind:     global_buffer
      - .offset:         24
        .size:           4
        .value_kind:     by_value
      - .offset:         28
        .size:           4
        .value_kind:     by_value
      - .actual_access:  read_only
        .address_space:  global
        .offset:         32
        .size:           8
        .value_kind:     global_buffer
      - .actual_access:  read_only
        .address_space:  global
        .offset:         40
        .size:           8
        .value_kind:     global_buffer
      - .actual_access:  read_only
        .address_space:  global
        .offset:         48
        .size:           8
        .value_kind:     global_buffer
      - .offset:         56
        .size:           4
        .value_kind:     by_value
      - .actual_access:  read_only
        .address_space:  global
        .offset:         64
        .size:           8
        .value_kind:     global_buffer
      - .offset:         72
        .size:           4
        .value_kind:     by_value
      - .offset:         76
        .size:           4
        .value_kind:     by_value
      - .offset:         80
        .size:           4
        .value_kind:     by_value
      - .actual_access:  read_only
        .address_space:  global
        .offset:         88
        .size:           8
        .value_kind:     global_buffer
      - .actual_access:  read_only
        .address_space:  global
        .offset:         96
        .size:           8
        .value_kind:     global_buffer
      - .actual_access:  read_only
        .address_space:  global
        .offset:         104
        .size:           8
        .value_kind:     global_buffer
      - .actual_access:  read_only
        .address_space:  global
        .offset:         112
        .size:           8
        .value_kind:     global_buffer
      - .offset:         120
        .size:           4
        .value_kind:     by_value
      - .address_space:  global
        .offset:         128
        .size:           8
        .value_kind:     global_buffer
      - .address_space:  global
        .offset:         136
        .size:           8
        .value_kind:     global_buffer
      - .offset:         144
        .size:           4
        .value_kind:     hidden_block_count_x
      - .offset:         148
        .size:           4
        .value_kind:     hidden_block_count_y
      - .offset:         152
        .size:           4
        .value_kind:     hidden_block_count_z
      - .offset:         156
        .size:           2
        .value_kind:     hidden_group_size_x
      - .offset:         158
        .size:           2
        .value_kind:     hidden_group_size_y
      - .offset:         160
        .size:           2
        .value_kind:     hidden_group_size_z
      - .offset:         162
        .size:           2
        .value_kind:     hidden_remainder_x
      - .offset:         164
        .size:           2
        .value_kind:     hidden_remainder_y
      - .offset:         166
        .size:           2
        .value_kind:     hidden_remainder_z
      - .offset:         184
        .size:           8
        .value_kind:     hidden_global_offset_x
      - .offset:         192
        .size:           8
        .value_kind:     hidden_global_offset_y
      - .offset:         200
        .size:           8
        .value_kind:     hidden_global_offset_z
      - .offset:         208
        .size:           2
        .value_kind:     hidden_grid_dims
      - .offset:         224
        .size:           8
        .value_kind:     hidden_hostcall_buffer
    .group_segment_fixed_size: 0
    .kernarg_segment_align: 8
    .kernarg_segment_size: 400
    .language:       OpenCL C
    .language_version:
      - 2
      - 0
    .max_flat_workgroup_size: 256
    .name:           _Z38paged_attention_ll4mi_QKV_mfma4_kernelI14__hip_bfloat16hLN4vllm18Fp8KVCacheDataTypeE1ES0_Li16ELi128ELi256ELb1ELi4EEvPKT_PKT0_S8_ifPKiSA_SA_iPKfiiiPfSD_PS3_PT2_iSC_SC_
    .private_segment_fixed_size: 64
    .sgpr_count:     36
    .sgpr_spill_count: 0
    .symbol:         _Z38paged_attention_ll4mi_QKV_mfma4_kernelI14__hip_bfloat16hLN4vllm18Fp8KVCacheDataTypeE1ES0_Li16ELi128ELi256ELb1ELi4EEvPKT_PKT0_S8_ifPKiSA_SA_iPKfiiiPfSD_PS3_PT2_iSC_SC_.kd
    .uniform_work_group_size: 1
    .uses_dynamic_stack: false
    .vgpr_count:     41
    .vgpr_spill_count: 0
    .wavefront_size: 32
    .workgroup_processor_mode: 1
  - .args:
      - .actual_access:  read_only
        .address_space:  global
        .offset:         0
        .size:           8
        .value_kind:     global_buffer
      - .actual_access:  read_only
        .address_space:  global
        .offset:         8
        .size:           8
        .value_kind:     global_buffer
      - .actual_access:  read_only
        .address_space:  global
        .offset:         16
        .size:           8
        .value_kind:     global_buffer
      - .offset:         24
        .size:           4
        .value_kind:     by_value
      - .offset:         28
        .size:           4
        .value_kind:     by_value
      - .actual_access:  read_only
        .address_space:  global
        .offset:         32
        .size:           8
        .value_kind:     global_buffer
      - .actual_access:  read_only
        .address_space:  global
        .offset:         40
        .size:           8
        .value_kind:     global_buffer
      - .actual_access:  read_only
        .address_space:  global
        .offset:         48
        .size:           8
        .value_kind:     global_buffer
      - .offset:         56
        .size:           4
        .value_kind:     by_value
      - .actual_access:  read_only
        .address_space:  global
        .offset:         64
        .size:           8
        .value_kind:     global_buffer
      - .offset:         72
        .size:           4
        .value_kind:     by_value
      - .offset:         76
        .size:           4
        .value_kind:     by_value
      - .offset:         80
        .size:           4
        .value_kind:     by_value
      - .actual_access:  write_only
        .address_space:  global
        .offset:         88
        .size:           8
        .value_kind:     global_buffer
      - .actual_access:  write_only
        .address_space:  global
        .offset:         96
        .size:           8
        .value_kind:     global_buffer
      - .actual_access:  write_only
        .address_space:  global
        .offset:         104
        .size:           8
        .value_kind:     global_buffer
      - .actual_access:  read_only
        .address_space:  global
        .offset:         112
        .size:           8
        .value_kind:     global_buffer
      - .offset:         120
        .size:           4
        .value_kind:     by_value
      - .address_space:  global
        .offset:         128
        .size:           8
        .value_kind:     global_buffer
      - .address_space:  global
        .offset:         136
        .size:           8
        .value_kind:     global_buffer
      - .offset:         144
        .size:           4
        .value_kind:     hidden_block_count_x
      - .offset:         148
        .size:           4
        .value_kind:     hidden_block_count_y
      - .offset:         152
        .size:           4
        .value_kind:     hidden_block_count_z
      - .offset:         156
        .size:           2
        .value_kind:     hidden_group_size_x
      - .offset:         158
        .size:           2
        .value_kind:     hidden_group_size_y
      - .offset:         160
        .size:           2
        .value_kind:     hidden_group_size_z
      - .offset:         162
        .size:           2
        .value_kind:     hidden_remainder_x
      - .offset:         164
        .size:           2
        .value_kind:     hidden_remainder_y
      - .offset:         166
        .size:           2
        .value_kind:     hidden_remainder_z
      - .offset:         184
        .size:           8
        .value_kind:     hidden_global_offset_x
      - .offset:         192
        .size:           8
        .value_kind:     hidden_global_offset_y
      - .offset:         200
        .size:           8
        .value_kind:     hidden_global_offset_z
      - .offset:         208
        .size:           2
        .value_kind:     hidden_grid_dims
    .group_segment_fixed_size: 17472
    .kernarg_segment_align: 8
    .kernarg_segment_size: 400
    .language:       OpenCL C
    .language_version:
      - 2
      - 0
    .max_flat_workgroup_size: 256
    .name:           _Z39paged_attention_ll4mi_QKV_mfma16_kernelI14__hip_bfloat16hLN4vllm18Fp8KVCacheDataTypeE1ES0_Li16ELi128ELi256ELb1ELi5EL8MFMAType1EEvPKT_PKT0_S9_ifPKiSB_SB_iPKfiiiPfSE_PS4_PT2_iSD_SD_
    .private_segment_fixed_size: 0
    .sgpr_count:     38
    .sgpr_spill_count: 0
    .symbol:         _Z39paged_attention_ll4mi_QKV_mfma16_kernelI14__hip_bfloat16hLN4vllm18Fp8KVCacheDataTypeE1ES0_Li16ELi128ELi256ELb1ELi5EL8MFMAType1EEvPKT_PKT0_S9_ifPKiSB_SB_iPKfiiiPfSE_PS4_PT2_iSD_SD_.kd
    .uniform_work_group_size: 1
    .uses_dynamic_stack: false
    .vgpr_count:     140
    .vgpr_spill_count: 0
    .wavefront_size: 32
    .workgroup_processor_mode: 1
  - .args:
      - .actual_access:  read_only
        .address_space:  global
        .offset:         0
        .size:           8
        .value_kind:     global_buffer
      - .actual_access:  read_only
        .address_space:  global
        .offset:         8
        .size:           8
        .value_kind:     global_buffer
      - .actual_access:  read_only
        .address_space:  global
        .offset:         16
        .size:           8
        .value_kind:     global_buffer
      - .offset:         24
        .size:           4
        .value_kind:     by_value
      - .offset:         28
        .size:           4
        .value_kind:     by_value
      - .actual_access:  read_only
        .address_space:  global
        .offset:         32
        .size:           8
        .value_kind:     global_buffer
      - .actual_access:  read_only
        .address_space:  global
        .offset:         40
        .size:           8
        .value_kind:     global_buffer
      - .actual_access:  read_only
        .address_space:  global
        .offset:         48
        .size:           8
        .value_kind:     global_buffer
      - .offset:         56
        .size:           4
        .value_kind:     by_value
      - .actual_access:  read_only
        .address_space:  global
        .offset:         64
        .size:           8
        .value_kind:     global_buffer
      - .offset:         72
        .size:           4
        .value_kind:     by_value
      - .offset:         76
        .size:           4
        .value_kind:     by_value
      - .offset:         80
        .size:           4
        .value_kind:     by_value
      - .actual_access:  write_only
        .address_space:  global
        .offset:         88
        .size:           8
        .value_kind:     global_buffer
      - .actual_access:  write_only
        .address_space:  global
        .offset:         96
        .size:           8
        .value_kind:     global_buffer
      - .actual_access:  write_only
        .address_space:  global
        .offset:         104
        .size:           8
        .value_kind:     global_buffer
      - .actual_access:  read_only
        .address_space:  global
        .offset:         112
        .size:           8
        .value_kind:     global_buffer
      - .offset:         120
        .size:           4
        .value_kind:     by_value
      - .address_space:  global
        .offset:         128
        .size:           8
        .value_kind:     global_buffer
      - .address_space:  global
        .offset:         136
        .size:           8
        .value_kind:     global_buffer
      - .offset:         144
        .size:           4
        .value_kind:     hidden_block_count_x
      - .offset:         148
        .size:           4
        .value_kind:     hidden_block_count_y
      - .offset:         152
        .size:           4
        .value_kind:     hidden_block_count_z
      - .offset:         156
        .size:           2
        .value_kind:     hidden_group_size_x
      - .offset:         158
        .size:           2
        .value_kind:     hidden_group_size_y
      - .offset:         160
        .size:           2
        .value_kind:     hidden_group_size_z
      - .offset:         162
        .size:           2
        .value_kind:     hidden_remainder_x
      - .offset:         164
        .size:           2
        .value_kind:     hidden_remainder_y
      - .offset:         166
        .size:           2
        .value_kind:     hidden_remainder_z
      - .offset:         184
        .size:           8
        .value_kind:     hidden_global_offset_x
      - .offset:         192
        .size:           8
        .value_kind:     hidden_global_offset_y
      - .offset:         200
        .size:           8
        .value_kind:     hidden_global_offset_z
      - .offset:         208
        .size:           2
        .value_kind:     hidden_grid_dims
    .group_segment_fixed_size: 17472
    .kernarg_segment_align: 8
    .kernarg_segment_size: 400
    .language:       OpenCL C
    .language_version:
      - 2
      - 0
    .max_flat_workgroup_size: 256
    .name:           _Z39paged_attention_ll4mi_QKV_mfma16_kernelI14__hip_bfloat16hLN4vllm18Fp8KVCacheDataTypeE1ES0_Li16ELi128ELi256ELb1ELi6EL8MFMAType1EEvPKT_PKT0_S9_ifPKiSB_SB_iPKfiiiPfSE_PS4_PT2_iSD_SD_
    .private_segment_fixed_size: 0
    .sgpr_count:     38
    .sgpr_spill_count: 0
    .symbol:         _Z39paged_attention_ll4mi_QKV_mfma16_kernelI14__hip_bfloat16hLN4vllm18Fp8KVCacheDataTypeE1ES0_Li16ELi128ELi256ELb1ELi6EL8MFMAType1EEvPKT_PKT0_S9_ifPKiSB_SB_iPKfiiiPfSE_PS4_PT2_iSD_SD_.kd
    .uniform_work_group_size: 1
    .uses_dynamic_stack: false
    .vgpr_count:     140
    .vgpr_spill_count: 0
    .wavefront_size: 32
    .workgroup_processor_mode: 1
  - .args:
      - .actual_access:  read_only
        .address_space:  global
        .offset:         0
        .size:           8
        .value_kind:     global_buffer
      - .actual_access:  read_only
        .address_space:  global
        .offset:         8
        .size:           8
        .value_kind:     global_buffer
      - .actual_access:  read_only
        .address_space:  global
        .offset:         16
        .size:           8
        .value_kind:     global_buffer
      - .offset:         24
        .size:           4
        .value_kind:     by_value
      - .offset:         28
        .size:           4
        .value_kind:     by_value
      - .actual_access:  read_only
        .address_space:  global
        .offset:         32
        .size:           8
        .value_kind:     global_buffer
      - .actual_access:  read_only
        .address_space:  global
        .offset:         40
        .size:           8
        .value_kind:     global_buffer
      - .actual_access:  read_only
        .address_space:  global
        .offset:         48
        .size:           8
        .value_kind:     global_buffer
      - .offset:         56
        .size:           4
        .value_kind:     by_value
      - .actual_access:  read_only
        .address_space:  global
        .offset:         64
        .size:           8
        .value_kind:     global_buffer
      - .offset:         72
        .size:           4
        .value_kind:     by_value
      - .offset:         76
        .size:           4
        .value_kind:     by_value
      - .offset:         80
        .size:           4
        .value_kind:     by_value
      - .actual_access:  write_only
        .address_space:  global
        .offset:         88
        .size:           8
        .value_kind:     global_buffer
      - .actual_access:  write_only
        .address_space:  global
        .offset:         96
        .size:           8
        .value_kind:     global_buffer
      - .actual_access:  write_only
        .address_space:  global
        .offset:         104
        .size:           8
        .value_kind:     global_buffer
      - .actual_access:  read_only
        .address_space:  global
        .offset:         112
        .size:           8
        .value_kind:     global_buffer
      - .offset:         120
        .size:           4
        .value_kind:     by_value
      - .address_space:  global
        .offset:         128
        .size:           8
        .value_kind:     global_buffer
      - .address_space:  global
        .offset:         136
        .size:           8
        .value_kind:     global_buffer
      - .offset:         144
        .size:           4
        .value_kind:     hidden_block_count_x
      - .offset:         148
        .size:           4
        .value_kind:     hidden_block_count_y
      - .offset:         152
        .size:           4
        .value_kind:     hidden_block_count_z
      - .offset:         156
        .size:           2
        .value_kind:     hidden_group_size_x
      - .offset:         158
        .size:           2
        .value_kind:     hidden_group_size_y
      - .offset:         160
        .size:           2
        .value_kind:     hidden_group_size_z
      - .offset:         162
        .size:           2
        .value_kind:     hidden_remainder_x
      - .offset:         164
        .size:           2
        .value_kind:     hidden_remainder_y
      - .offset:         166
        .size:           2
        .value_kind:     hidden_remainder_z
      - .offset:         184
        .size:           8
        .value_kind:     hidden_global_offset_x
      - .offset:         192
        .size:           8
        .value_kind:     hidden_global_offset_y
      - .offset:         200
        .size:           8
        .value_kind:     hidden_global_offset_z
      - .offset:         208
        .size:           2
        .value_kind:     hidden_grid_dims
    .group_segment_fixed_size: 17472
    .kernarg_segment_align: 8
    .kernarg_segment_size: 400
    .language:       OpenCL C
    .language_version:
      - 2
      - 0
    .max_flat_workgroup_size: 256
    .name:           _Z39paged_attention_ll4mi_QKV_mfma16_kernelI14__hip_bfloat16hLN4vllm18Fp8KVCacheDataTypeE1ES0_Li16ELi128ELi256ELb1ELi7EL8MFMAType1EEvPKT_PKT0_S9_ifPKiSB_SB_iPKfiiiPfSE_PS4_PT2_iSD_SD_
    .private_segment_fixed_size: 0
    .sgpr_count:     38
    .sgpr_spill_count: 0
    .symbol:         _Z39paged_attention_ll4mi_QKV_mfma16_kernelI14__hip_bfloat16hLN4vllm18Fp8KVCacheDataTypeE1ES0_Li16ELi128ELi256ELb1ELi7EL8MFMAType1EEvPKT_PKT0_S9_ifPKiSB_SB_iPKfiiiPfSE_PS4_PT2_iSD_SD_.kd
    .uniform_work_group_size: 1
    .uses_dynamic_stack: false
    .vgpr_count:     140
    .vgpr_spill_count: 0
    .wavefront_size: 32
    .workgroup_processor_mode: 1
  - .args:
      - .actual_access:  read_only
        .address_space:  global
        .offset:         0
        .size:           8
        .value_kind:     global_buffer
      - .actual_access:  read_only
        .address_space:  global
        .offset:         8
        .size:           8
        .value_kind:     global_buffer
      - .actual_access:  read_only
        .address_space:  global
        .offset:         16
        .size:           8
        .value_kind:     global_buffer
      - .offset:         24
        .size:           4
        .value_kind:     by_value
      - .offset:         28
        .size:           4
        .value_kind:     by_value
      - .actual_access:  read_only
        .address_space:  global
        .offset:         32
        .size:           8
        .value_kind:     global_buffer
      - .actual_access:  read_only
        .address_space:  global
        .offset:         40
        .size:           8
        .value_kind:     global_buffer
      - .actual_access:  read_only
        .address_space:  global
        .offset:         48
        .size:           8
        .value_kind:     global_buffer
      - .offset:         56
        .size:           4
        .value_kind:     by_value
      - .actual_access:  read_only
        .address_space:  global
        .offset:         64
        .size:           8
        .value_kind:     global_buffer
      - .offset:         72
        .size:           4
        .value_kind:     by_value
      - .offset:         76
        .size:           4
        .value_kind:     by_value
      - .offset:         80
        .size:           4
        .value_kind:     by_value
      - .actual_access:  write_only
        .address_space:  global
        .offset:         88
        .size:           8
        .value_kind:     global_buffer
      - .actual_access:  write_only
        .address_space:  global
        .offset:         96
        .size:           8
        .value_kind:     global_buffer
      - .actual_access:  write_only
        .address_space:  global
        .offset:         104
        .size:           8
        .value_kind:     global_buffer
      - .actual_access:  read_only
        .address_space:  global
        .offset:         112
        .size:           8
        .value_kind:     global_buffer
      - .offset:         120
        .size:           4
        .value_kind:     by_value
      - .address_space:  global
        .offset:         128
        .size:           8
        .value_kind:     global_buffer
      - .address_space:  global
        .offset:         136
        .size:           8
        .value_kind:     global_buffer
      - .offset:         144
        .size:           4
        .value_kind:     hidden_block_count_x
      - .offset:         148
        .size:           4
        .value_kind:     hidden_block_count_y
      - .offset:         152
        .size:           4
        .value_kind:     hidden_block_count_z
      - .offset:         156
        .size:           2
        .value_kind:     hidden_group_size_x
      - .offset:         158
        .size:           2
        .value_kind:     hidden_group_size_y
      - .offset:         160
        .size:           2
        .value_kind:     hidden_group_size_z
      - .offset:         162
        .size:           2
        .value_kind:     hidden_remainder_x
      - .offset:         164
        .size:           2
        .value_kind:     hidden_remainder_y
      - .offset:         166
        .size:           2
        .value_kind:     hidden_remainder_z
      - .offset:         184
        .size:           8
        .value_kind:     hidden_global_offset_x
      - .offset:         192
        .size:           8
        .value_kind:     hidden_global_offset_y
      - .offset:         200
        .size:           8
        .value_kind:     hidden_global_offset_z
      - .offset:         208
        .size:           2
        .value_kind:     hidden_grid_dims
    .group_segment_fixed_size: 17472
    .kernarg_segment_align: 8
    .kernarg_segment_size: 400
    .language:       OpenCL C
    .language_version:
      - 2
      - 0
    .max_flat_workgroup_size: 256
    .name:           _Z39paged_attention_ll4mi_QKV_mfma16_kernelI14__hip_bfloat16hLN4vllm18Fp8KVCacheDataTypeE1ES0_Li16ELi128ELi256ELb1ELi8EL8MFMAType1EEvPKT_PKT0_S9_ifPKiSB_SB_iPKfiiiPfSE_PS4_PT2_iSD_SD_
    .private_segment_fixed_size: 0
    .sgpr_count:     38
    .sgpr_spill_count: 0
    .symbol:         _Z39paged_attention_ll4mi_QKV_mfma16_kernelI14__hip_bfloat16hLN4vllm18Fp8KVCacheDataTypeE1ES0_Li16ELi128ELi256ELb1ELi8EL8MFMAType1EEvPKT_PKT0_S9_ifPKiSB_SB_iPKfiiiPfSE_PS4_PT2_iSD_SD_.kd
    .uniform_work_group_size: 1
    .uses_dynamic_stack: false
    .vgpr_count:     140
    .vgpr_spill_count: 0
    .wavefront_size: 32
    .workgroup_processor_mode: 1
  - .args:
      - .actual_access:  read_only
        .address_space:  global
        .offset:         0
        .size:           8
        .value_kind:     global_buffer
      - .actual_access:  read_only
        .address_space:  global
        .offset:         8
        .size:           8
        .value_kind:     global_buffer
      - .actual_access:  read_only
        .address_space:  global
        .offset:         16
        .size:           8
        .value_kind:     global_buffer
      - .offset:         24
        .size:           4
        .value_kind:     by_value
      - .offset:         28
        .size:           4
        .value_kind:     by_value
      - .actual_access:  read_only
        .address_space:  global
        .offset:         32
        .size:           8
        .value_kind:     global_buffer
      - .actual_access:  read_only
        .address_space:  global
        .offset:         40
        .size:           8
        .value_kind:     global_buffer
      - .actual_access:  read_only
        .address_space:  global
        .offset:         48
        .size:           8
        .value_kind:     global_buffer
      - .offset:         56
        .size:           4
        .value_kind:     by_value
      - .actual_access:  read_only
        .address_space:  global
        .offset:         64
        .size:           8
        .value_kind:     global_buffer
      - .offset:         72
        .size:           4
        .value_kind:     by_value
      - .offset:         76
        .size:           4
        .value_kind:     by_value
      - .offset:         80
        .size:           4
        .value_kind:     by_value
      - .actual_access:  write_only
        .address_space:  global
        .offset:         88
        .size:           8
        .value_kind:     global_buffer
      - .actual_access:  write_only
        .address_space:  global
        .offset:         96
        .size:           8
        .value_kind:     global_buffer
      - .actual_access:  write_only
        .address_space:  global
        .offset:         104
        .size:           8
        .value_kind:     global_buffer
      - .actual_access:  read_only
        .address_space:  global
        .offset:         112
        .size:           8
        .value_kind:     global_buffer
      - .offset:         120
        .size:           4
        .value_kind:     by_value
      - .address_space:  global
        .offset:         128
        .size:           8
        .value_kind:     global_buffer
      - .address_space:  global
        .offset:         136
        .size:           8
        .value_kind:     global_buffer
      - .offset:         144
        .size:           4
        .value_kind:     hidden_block_count_x
      - .offset:         148
        .size:           4
        .value_kind:     hidden_block_count_y
      - .offset:         152
        .size:           4
        .value_kind:     hidden_block_count_z
      - .offset:         156
        .size:           2
        .value_kind:     hidden_group_size_x
      - .offset:         158
        .size:           2
        .value_kind:     hidden_group_size_y
      - .offset:         160
        .size:           2
        .value_kind:     hidden_group_size_z
      - .offset:         162
        .size:           2
        .value_kind:     hidden_remainder_x
      - .offset:         164
        .size:           2
        .value_kind:     hidden_remainder_y
      - .offset:         166
        .size:           2
        .value_kind:     hidden_remainder_z
      - .offset:         184
        .size:           8
        .value_kind:     hidden_global_offset_x
      - .offset:         192
        .size:           8
        .value_kind:     hidden_global_offset_y
      - .offset:         200
        .size:           8
        .value_kind:     hidden_global_offset_z
      - .offset:         208
        .size:           2
        .value_kind:     hidden_grid_dims
    .group_segment_fixed_size: 17472
    .kernarg_segment_align: 8
    .kernarg_segment_size: 400
    .language:       OpenCL C
    .language_version:
      - 2
      - 0
    .max_flat_workgroup_size: 256
    .name:           _Z39paged_attention_ll4mi_QKV_mfma16_kernelI14__hip_bfloat16hLN4vllm18Fp8KVCacheDataTypeE1ES0_Li16ELi128ELi256ELb1ELi9EL8MFMAType1EEvPKT_PKT0_S9_ifPKiSB_SB_iPKfiiiPfSE_PS4_PT2_iSD_SD_
    .private_segment_fixed_size: 0
    .sgpr_count:     38
    .sgpr_spill_count: 0
    .symbol:         _Z39paged_attention_ll4mi_QKV_mfma16_kernelI14__hip_bfloat16hLN4vllm18Fp8KVCacheDataTypeE1ES0_Li16ELi128ELi256ELb1ELi9EL8MFMAType1EEvPKT_PKT0_S9_ifPKiSB_SB_iPKfiiiPfSE_PS4_PT2_iSD_SD_.kd
    .uniform_work_group_size: 1
    .uses_dynamic_stack: false
    .vgpr_count:     140
    .vgpr_spill_count: 0
    .wavefront_size: 32
    .workgroup_processor_mode: 1
  - .args:
      - .actual_access:  read_only
        .address_space:  global
        .offset:         0
        .size:           8
        .value_kind:     global_buffer
      - .actual_access:  read_only
        .address_space:  global
        .offset:         8
        .size:           8
        .value_kind:     global_buffer
      - .actual_access:  read_only
        .address_space:  global
        .offset:         16
        .size:           8
        .value_kind:     global_buffer
      - .offset:         24
        .size:           4
        .value_kind:     by_value
      - .offset:         28
        .size:           4
        .value_kind:     by_value
      - .actual_access:  read_only
        .address_space:  global
        .offset:         32
        .size:           8
        .value_kind:     global_buffer
      - .actual_access:  read_only
        .address_space:  global
        .offset:         40
        .size:           8
        .value_kind:     global_buffer
      - .actual_access:  read_only
        .address_space:  global
        .offset:         48
        .size:           8
        .value_kind:     global_buffer
      - .offset:         56
        .size:           4
        .value_kind:     by_value
      - .actual_access:  read_only
        .address_space:  global
        .offset:         64
        .size:           8
        .value_kind:     global_buffer
      - .offset:         72
        .size:           4
        .value_kind:     by_value
      - .offset:         76
        .size:           4
        .value_kind:     by_value
      - .offset:         80
        .size:           4
        .value_kind:     by_value
      - .actual_access:  write_only
        .address_space:  global
        .offset:         88
        .size:           8
        .value_kind:     global_buffer
      - .actual_access:  write_only
        .address_space:  global
        .offset:         96
        .size:           8
        .value_kind:     global_buffer
      - .actual_access:  write_only
        .address_space:  global
        .offset:         104
        .size:           8
        .value_kind:     global_buffer
      - .actual_access:  read_only
        .address_space:  global
        .offset:         112
        .size:           8
        .value_kind:     global_buffer
      - .offset:         120
        .size:           4
        .value_kind:     by_value
      - .address_space:  global
        .offset:         128
        .size:           8
        .value_kind:     global_buffer
      - .address_space:  global
        .offset:         136
        .size:           8
        .value_kind:     global_buffer
      - .offset:         144
        .size:           4
        .value_kind:     hidden_block_count_x
      - .offset:         148
        .size:           4
        .value_kind:     hidden_block_count_y
      - .offset:         152
        .size:           4
        .value_kind:     hidden_block_count_z
      - .offset:         156
        .size:           2
        .value_kind:     hidden_group_size_x
      - .offset:         158
        .size:           2
        .value_kind:     hidden_group_size_y
      - .offset:         160
        .size:           2
        .value_kind:     hidden_group_size_z
      - .offset:         162
        .size:           2
        .value_kind:     hidden_remainder_x
      - .offset:         164
        .size:           2
        .value_kind:     hidden_remainder_y
      - .offset:         166
        .size:           2
        .value_kind:     hidden_remainder_z
      - .offset:         184
        .size:           8
        .value_kind:     hidden_global_offset_x
      - .offset:         192
        .size:           8
        .value_kind:     hidden_global_offset_y
      - .offset:         200
        .size:           8
        .value_kind:     hidden_global_offset_z
      - .offset:         208
        .size:           2
        .value_kind:     hidden_grid_dims
    .group_segment_fixed_size: 17472
    .kernarg_segment_align: 8
    .kernarg_segment_size: 400
    .language:       OpenCL C
    .language_version:
      - 2
      - 0
    .max_flat_workgroup_size: 256
    .name:           _Z39paged_attention_ll4mi_QKV_mfma16_kernelI14__hip_bfloat16hLN4vllm18Fp8KVCacheDataTypeE1ES0_Li16ELi128ELi256ELb1ELi10EL8MFMAType1EEvPKT_PKT0_S9_ifPKiSB_SB_iPKfiiiPfSE_PS4_PT2_iSD_SD_
    .private_segment_fixed_size: 0
    .sgpr_count:     38
    .sgpr_spill_count: 0
    .symbol:         _Z39paged_attention_ll4mi_QKV_mfma16_kernelI14__hip_bfloat16hLN4vllm18Fp8KVCacheDataTypeE1ES0_Li16ELi128ELi256ELb1ELi10EL8MFMAType1EEvPKT_PKT0_S9_ifPKiSB_SB_iPKfiiiPfSE_PS4_PT2_iSD_SD_.kd
    .uniform_work_group_size: 1
    .uses_dynamic_stack: false
    .vgpr_count:     140
    .vgpr_spill_count: 0
    .wavefront_size: 32
    .workgroup_processor_mode: 1
  - .args:
      - .actual_access:  read_only
        .address_space:  global
        .offset:         0
        .size:           8
        .value_kind:     global_buffer
      - .actual_access:  read_only
        .address_space:  global
        .offset:         8
        .size:           8
        .value_kind:     global_buffer
      - .actual_access:  read_only
        .address_space:  global
        .offset:         16
        .size:           8
        .value_kind:     global_buffer
      - .offset:         24
        .size:           4
        .value_kind:     by_value
      - .offset:         28
        .size:           4
        .value_kind:     by_value
      - .actual_access:  read_only
        .address_space:  global
        .offset:         32
        .size:           8
        .value_kind:     global_buffer
      - .actual_access:  read_only
        .address_space:  global
        .offset:         40
        .size:           8
        .value_kind:     global_buffer
      - .actual_access:  read_only
        .address_space:  global
        .offset:         48
        .size:           8
        .value_kind:     global_buffer
      - .offset:         56
        .size:           4
        .value_kind:     by_value
      - .actual_access:  read_only
        .address_space:  global
        .offset:         64
        .size:           8
        .value_kind:     global_buffer
      - .offset:         72
        .size:           4
        .value_kind:     by_value
      - .offset:         76
        .size:           4
        .value_kind:     by_value
      - .offset:         80
        .size:           4
        .value_kind:     by_value
      - .actual_access:  write_only
        .address_space:  global
        .offset:         88
        .size:           8
        .value_kind:     global_buffer
      - .actual_access:  write_only
        .address_space:  global
        .offset:         96
        .size:           8
        .value_kind:     global_buffer
      - .actual_access:  write_only
        .address_space:  global
        .offset:         104
        .size:           8
        .value_kind:     global_buffer
      - .actual_access:  read_only
        .address_space:  global
        .offset:         112
        .size:           8
        .value_kind:     global_buffer
      - .offset:         120
        .size:           4
        .value_kind:     by_value
      - .address_space:  global
        .offset:         128
        .size:           8
        .value_kind:     global_buffer
      - .address_space:  global
        .offset:         136
        .size:           8
        .value_kind:     global_buffer
      - .offset:         144
        .size:           4
        .value_kind:     hidden_block_count_x
      - .offset:         148
        .size:           4
        .value_kind:     hidden_block_count_y
      - .offset:         152
        .size:           4
        .value_kind:     hidden_block_count_z
      - .offset:         156
        .size:           2
        .value_kind:     hidden_group_size_x
      - .offset:         158
        .size:           2
        .value_kind:     hidden_group_size_y
      - .offset:         160
        .size:           2
        .value_kind:     hidden_group_size_z
      - .offset:         162
        .size:           2
        .value_kind:     hidden_remainder_x
      - .offset:         164
        .size:           2
        .value_kind:     hidden_remainder_y
      - .offset:         166
        .size:           2
        .value_kind:     hidden_remainder_z
      - .offset:         184
        .size:           8
        .value_kind:     hidden_global_offset_x
      - .offset:         192
        .size:           8
        .value_kind:     hidden_global_offset_y
      - .offset:         200
        .size:           8
        .value_kind:     hidden_global_offset_z
      - .offset:         208
        .size:           2
        .value_kind:     hidden_grid_dims
    .group_segment_fixed_size: 17472
    .kernarg_segment_align: 8
    .kernarg_segment_size: 400
    .language:       OpenCL C
    .language_version:
      - 2
      - 0
    .max_flat_workgroup_size: 256
    .name:           _Z39paged_attention_ll4mi_QKV_mfma16_kernelI14__hip_bfloat16hLN4vllm18Fp8KVCacheDataTypeE1ES0_Li16ELi128ELi256ELb1ELi11EL8MFMAType1EEvPKT_PKT0_S9_ifPKiSB_SB_iPKfiiiPfSE_PS4_PT2_iSD_SD_
    .private_segment_fixed_size: 0
    .sgpr_count:     38
    .sgpr_spill_count: 0
    .symbol:         _Z39paged_attention_ll4mi_QKV_mfma16_kernelI14__hip_bfloat16hLN4vllm18Fp8KVCacheDataTypeE1ES0_Li16ELi128ELi256ELb1ELi11EL8MFMAType1EEvPKT_PKT0_S9_ifPKiSB_SB_iPKfiiiPfSE_PS4_PT2_iSD_SD_.kd
    .uniform_work_group_size: 1
    .uses_dynamic_stack: false
    .vgpr_count:     140
    .vgpr_spill_count: 0
    .wavefront_size: 32
    .workgroup_processor_mode: 1
  - .args:
      - .actual_access:  read_only
        .address_space:  global
        .offset:         0
        .size:           8
        .value_kind:     global_buffer
      - .actual_access:  read_only
        .address_space:  global
        .offset:         8
        .size:           8
        .value_kind:     global_buffer
      - .actual_access:  read_only
        .address_space:  global
        .offset:         16
        .size:           8
        .value_kind:     global_buffer
      - .offset:         24
        .size:           4
        .value_kind:     by_value
      - .offset:         28
        .size:           4
        .value_kind:     by_value
      - .actual_access:  read_only
        .address_space:  global
        .offset:         32
        .size:           8
        .value_kind:     global_buffer
      - .actual_access:  read_only
        .address_space:  global
        .offset:         40
        .size:           8
        .value_kind:     global_buffer
      - .actual_access:  read_only
        .address_space:  global
        .offset:         48
        .size:           8
        .value_kind:     global_buffer
      - .offset:         56
        .size:           4
        .value_kind:     by_value
      - .actual_access:  read_only
        .address_space:  global
        .offset:         64
        .size:           8
        .value_kind:     global_buffer
      - .offset:         72
        .size:           4
        .value_kind:     by_value
      - .offset:         76
        .size:           4
        .value_kind:     by_value
      - .offset:         80
        .size:           4
        .value_kind:     by_value
      - .actual_access:  write_only
        .address_space:  global
        .offset:         88
        .size:           8
        .value_kind:     global_buffer
      - .actual_access:  write_only
        .address_space:  global
        .offset:         96
        .size:           8
        .value_kind:     global_buffer
      - .actual_access:  write_only
        .address_space:  global
        .offset:         104
        .size:           8
        .value_kind:     global_buffer
      - .actual_access:  read_only
        .address_space:  global
        .offset:         112
        .size:           8
        .value_kind:     global_buffer
      - .offset:         120
        .size:           4
        .value_kind:     by_value
      - .address_space:  global
        .offset:         128
        .size:           8
        .value_kind:     global_buffer
      - .address_space:  global
        .offset:         136
        .size:           8
        .value_kind:     global_buffer
      - .offset:         144
        .size:           4
        .value_kind:     hidden_block_count_x
      - .offset:         148
        .size:           4
        .value_kind:     hidden_block_count_y
      - .offset:         152
        .size:           4
        .value_kind:     hidden_block_count_z
      - .offset:         156
        .size:           2
        .value_kind:     hidden_group_size_x
      - .offset:         158
        .size:           2
        .value_kind:     hidden_group_size_y
      - .offset:         160
        .size:           2
        .value_kind:     hidden_group_size_z
      - .offset:         162
        .size:           2
        .value_kind:     hidden_remainder_x
      - .offset:         164
        .size:           2
        .value_kind:     hidden_remainder_y
      - .offset:         166
        .size:           2
        .value_kind:     hidden_remainder_z
      - .offset:         184
        .size:           8
        .value_kind:     hidden_global_offset_x
      - .offset:         192
        .size:           8
        .value_kind:     hidden_global_offset_y
      - .offset:         200
        .size:           8
        .value_kind:     hidden_global_offset_z
      - .offset:         208
        .size:           2
        .value_kind:     hidden_grid_dims
    .group_segment_fixed_size: 17472
    .kernarg_segment_align: 8
    .kernarg_segment_size: 400
    .language:       OpenCL C
    .language_version:
      - 2
      - 0
    .max_flat_workgroup_size: 256
    .name:           _Z39paged_attention_ll4mi_QKV_mfma16_kernelI14__hip_bfloat16hLN4vllm18Fp8KVCacheDataTypeE1ES0_Li16ELi128ELi256ELb1ELi12EL8MFMAType1EEvPKT_PKT0_S9_ifPKiSB_SB_iPKfiiiPfSE_PS4_PT2_iSD_SD_
    .private_segment_fixed_size: 0
    .sgpr_count:     38
    .sgpr_spill_count: 0
    .symbol:         _Z39paged_attention_ll4mi_QKV_mfma16_kernelI14__hip_bfloat16hLN4vllm18Fp8KVCacheDataTypeE1ES0_Li16ELi128ELi256ELb1ELi12EL8MFMAType1EEvPKT_PKT0_S9_ifPKiSB_SB_iPKfiiiPfSE_PS4_PT2_iSD_SD_.kd
    .uniform_work_group_size: 1
    .uses_dynamic_stack: false
    .vgpr_count:     140
    .vgpr_spill_count: 0
    .wavefront_size: 32
    .workgroup_processor_mode: 1
  - .args:
      - .actual_access:  read_only
        .address_space:  global
        .offset:         0
        .size:           8
        .value_kind:     global_buffer
      - .actual_access:  read_only
        .address_space:  global
        .offset:         8
        .size:           8
        .value_kind:     global_buffer
      - .actual_access:  read_only
        .address_space:  global
        .offset:         16
        .size:           8
        .value_kind:     global_buffer
      - .offset:         24
        .size:           4
        .value_kind:     by_value
      - .offset:         28
        .size:           4
        .value_kind:     by_value
      - .actual_access:  read_only
        .address_space:  global
        .offset:         32
        .size:           8
        .value_kind:     global_buffer
      - .actual_access:  read_only
        .address_space:  global
        .offset:         40
        .size:           8
        .value_kind:     global_buffer
      - .actual_access:  read_only
        .address_space:  global
        .offset:         48
        .size:           8
        .value_kind:     global_buffer
      - .offset:         56
        .size:           4
        .value_kind:     by_value
      - .actual_access:  read_only
        .address_space:  global
        .offset:         64
        .size:           8
        .value_kind:     global_buffer
      - .offset:         72
        .size:           4
        .value_kind:     by_value
      - .offset:         76
        .size:           4
        .value_kind:     by_value
      - .offset:         80
        .size:           4
        .value_kind:     by_value
      - .actual_access:  write_only
        .address_space:  global
        .offset:         88
        .size:           8
        .value_kind:     global_buffer
      - .actual_access:  write_only
        .address_space:  global
        .offset:         96
        .size:           8
        .value_kind:     global_buffer
      - .actual_access:  write_only
        .address_space:  global
        .offset:         104
        .size:           8
        .value_kind:     global_buffer
      - .actual_access:  read_only
        .address_space:  global
        .offset:         112
        .size:           8
        .value_kind:     global_buffer
      - .offset:         120
        .size:           4
        .value_kind:     by_value
      - .address_space:  global
        .offset:         128
        .size:           8
        .value_kind:     global_buffer
      - .address_space:  global
        .offset:         136
        .size:           8
        .value_kind:     global_buffer
      - .offset:         144
        .size:           4
        .value_kind:     hidden_block_count_x
      - .offset:         148
        .size:           4
        .value_kind:     hidden_block_count_y
      - .offset:         152
        .size:           4
        .value_kind:     hidden_block_count_z
      - .offset:         156
        .size:           2
        .value_kind:     hidden_group_size_x
      - .offset:         158
        .size:           2
        .value_kind:     hidden_group_size_y
      - .offset:         160
        .size:           2
        .value_kind:     hidden_group_size_z
      - .offset:         162
        .size:           2
        .value_kind:     hidden_remainder_x
      - .offset:         164
        .size:           2
        .value_kind:     hidden_remainder_y
      - .offset:         166
        .size:           2
        .value_kind:     hidden_remainder_z
      - .offset:         184
        .size:           8
        .value_kind:     hidden_global_offset_x
      - .offset:         192
        .size:           8
        .value_kind:     hidden_global_offset_y
      - .offset:         200
        .size:           8
        .value_kind:     hidden_global_offset_z
      - .offset:         208
        .size:           2
        .value_kind:     hidden_grid_dims
    .group_segment_fixed_size: 17472
    .kernarg_segment_align: 8
    .kernarg_segment_size: 400
    .language:       OpenCL C
    .language_version:
      - 2
      - 0
    .max_flat_workgroup_size: 256
    .name:           _Z39paged_attention_ll4mi_QKV_mfma16_kernelI14__hip_bfloat16hLN4vllm18Fp8KVCacheDataTypeE1ES0_Li16ELi128ELi256ELb1ELi13EL8MFMAType1EEvPKT_PKT0_S9_ifPKiSB_SB_iPKfiiiPfSE_PS4_PT2_iSD_SD_
    .private_segment_fixed_size: 0
    .sgpr_count:     38
    .sgpr_spill_count: 0
    .symbol:         _Z39paged_attention_ll4mi_QKV_mfma16_kernelI14__hip_bfloat16hLN4vllm18Fp8KVCacheDataTypeE1ES0_Li16ELi128ELi256ELb1ELi13EL8MFMAType1EEvPKT_PKT0_S9_ifPKiSB_SB_iPKfiiiPfSE_PS4_PT2_iSD_SD_.kd
    .uniform_work_group_size: 1
    .uses_dynamic_stack: false
    .vgpr_count:     140
    .vgpr_spill_count: 0
    .wavefront_size: 32
    .workgroup_processor_mode: 1
  - .args:
      - .actual_access:  read_only
        .address_space:  global
        .offset:         0
        .size:           8
        .value_kind:     global_buffer
      - .actual_access:  read_only
        .address_space:  global
        .offset:         8
        .size:           8
        .value_kind:     global_buffer
      - .actual_access:  read_only
        .address_space:  global
        .offset:         16
        .size:           8
        .value_kind:     global_buffer
      - .offset:         24
        .size:           4
        .value_kind:     by_value
      - .offset:         28
        .size:           4
        .value_kind:     by_value
      - .actual_access:  read_only
        .address_space:  global
        .offset:         32
        .size:           8
        .value_kind:     global_buffer
      - .actual_access:  read_only
        .address_space:  global
        .offset:         40
        .size:           8
        .value_kind:     global_buffer
      - .actual_access:  read_only
        .address_space:  global
        .offset:         48
        .size:           8
        .value_kind:     global_buffer
      - .offset:         56
        .size:           4
        .value_kind:     by_value
      - .actual_access:  read_only
        .address_space:  global
        .offset:         64
        .size:           8
        .value_kind:     global_buffer
      - .offset:         72
        .size:           4
        .value_kind:     by_value
      - .offset:         76
        .size:           4
        .value_kind:     by_value
      - .offset:         80
        .size:           4
        .value_kind:     by_value
      - .actual_access:  write_only
        .address_space:  global
        .offset:         88
        .size:           8
        .value_kind:     global_buffer
      - .actual_access:  write_only
        .address_space:  global
        .offset:         96
        .size:           8
        .value_kind:     global_buffer
      - .actual_access:  write_only
        .address_space:  global
        .offset:         104
        .size:           8
        .value_kind:     global_buffer
      - .actual_access:  read_only
        .address_space:  global
        .offset:         112
        .size:           8
        .value_kind:     global_buffer
      - .offset:         120
        .size:           4
        .value_kind:     by_value
      - .address_space:  global
        .offset:         128
        .size:           8
        .value_kind:     global_buffer
      - .address_space:  global
        .offset:         136
        .size:           8
        .value_kind:     global_buffer
      - .offset:         144
        .size:           4
        .value_kind:     hidden_block_count_x
      - .offset:         148
        .size:           4
        .value_kind:     hidden_block_count_y
      - .offset:         152
        .size:           4
        .value_kind:     hidden_block_count_z
      - .offset:         156
        .size:           2
        .value_kind:     hidden_group_size_x
      - .offset:         158
        .size:           2
        .value_kind:     hidden_group_size_y
      - .offset:         160
        .size:           2
        .value_kind:     hidden_group_size_z
      - .offset:         162
        .size:           2
        .value_kind:     hidden_remainder_x
      - .offset:         164
        .size:           2
        .value_kind:     hidden_remainder_y
      - .offset:         166
        .size:           2
        .value_kind:     hidden_remainder_z
      - .offset:         184
        .size:           8
        .value_kind:     hidden_global_offset_x
      - .offset:         192
        .size:           8
        .value_kind:     hidden_global_offset_y
      - .offset:         200
        .size:           8
        .value_kind:     hidden_global_offset_z
      - .offset:         208
        .size:           2
        .value_kind:     hidden_grid_dims
    .group_segment_fixed_size: 17472
    .kernarg_segment_align: 8
    .kernarg_segment_size: 400
    .language:       OpenCL C
    .language_version:
      - 2
      - 0
    .max_flat_workgroup_size: 256
    .name:           _Z39paged_attention_ll4mi_QKV_mfma16_kernelI14__hip_bfloat16hLN4vllm18Fp8KVCacheDataTypeE1ES0_Li16ELi128ELi256ELb1ELi14EL8MFMAType1EEvPKT_PKT0_S9_ifPKiSB_SB_iPKfiiiPfSE_PS4_PT2_iSD_SD_
    .private_segment_fixed_size: 0
    .sgpr_count:     38
    .sgpr_spill_count: 0
    .symbol:         _Z39paged_attention_ll4mi_QKV_mfma16_kernelI14__hip_bfloat16hLN4vllm18Fp8KVCacheDataTypeE1ES0_Li16ELi128ELi256ELb1ELi14EL8MFMAType1EEvPKT_PKT0_S9_ifPKiSB_SB_iPKfiiiPfSE_PS4_PT2_iSD_SD_.kd
    .uniform_work_group_size: 1
    .uses_dynamic_stack: false
    .vgpr_count:     140
    .vgpr_spill_count: 0
    .wavefront_size: 32
    .workgroup_processor_mode: 1
  - .args:
      - .actual_access:  read_only
        .address_space:  global
        .offset:         0
        .size:           8
        .value_kind:     global_buffer
      - .actual_access:  read_only
        .address_space:  global
        .offset:         8
        .size:           8
        .value_kind:     global_buffer
      - .actual_access:  read_only
        .address_space:  global
        .offset:         16
        .size:           8
        .value_kind:     global_buffer
      - .offset:         24
        .size:           4
        .value_kind:     by_value
      - .offset:         28
        .size:           4
        .value_kind:     by_value
      - .actual_access:  read_only
        .address_space:  global
        .offset:         32
        .size:           8
        .value_kind:     global_buffer
      - .actual_access:  read_only
        .address_space:  global
        .offset:         40
        .size:           8
        .value_kind:     global_buffer
      - .actual_access:  read_only
        .address_space:  global
        .offset:         48
        .size:           8
        .value_kind:     global_buffer
      - .offset:         56
        .size:           4
        .value_kind:     by_value
      - .actual_access:  read_only
        .address_space:  global
        .offset:         64
        .size:           8
        .value_kind:     global_buffer
      - .offset:         72
        .size:           4
        .value_kind:     by_value
      - .offset:         76
        .size:           4
        .value_kind:     by_value
      - .offset:         80
        .size:           4
        .value_kind:     by_value
      - .actual_access:  write_only
        .address_space:  global
        .offset:         88
        .size:           8
        .value_kind:     global_buffer
      - .actual_access:  write_only
        .address_space:  global
        .offset:         96
        .size:           8
        .value_kind:     global_buffer
      - .actual_access:  write_only
        .address_space:  global
        .offset:         104
        .size:           8
        .value_kind:     global_buffer
      - .actual_access:  read_only
        .address_space:  global
        .offset:         112
        .size:           8
        .value_kind:     global_buffer
      - .offset:         120
        .size:           4
        .value_kind:     by_value
      - .address_space:  global
        .offset:         128
        .size:           8
        .value_kind:     global_buffer
      - .address_space:  global
        .offset:         136
        .size:           8
        .value_kind:     global_buffer
      - .offset:         144
        .size:           4
        .value_kind:     hidden_block_count_x
      - .offset:         148
        .size:           4
        .value_kind:     hidden_block_count_y
      - .offset:         152
        .size:           4
        .value_kind:     hidden_block_count_z
      - .offset:         156
        .size:           2
        .value_kind:     hidden_group_size_x
      - .offset:         158
        .size:           2
        .value_kind:     hidden_group_size_y
      - .offset:         160
        .size:           2
        .value_kind:     hidden_group_size_z
      - .offset:         162
        .size:           2
        .value_kind:     hidden_remainder_x
      - .offset:         164
        .size:           2
        .value_kind:     hidden_remainder_y
      - .offset:         166
        .size:           2
        .value_kind:     hidden_remainder_z
      - .offset:         184
        .size:           8
        .value_kind:     hidden_global_offset_x
      - .offset:         192
        .size:           8
        .value_kind:     hidden_global_offset_y
      - .offset:         200
        .size:           8
        .value_kind:     hidden_global_offset_z
      - .offset:         208
        .size:           2
        .value_kind:     hidden_grid_dims
    .group_segment_fixed_size: 17472
    .kernarg_segment_align: 8
    .kernarg_segment_size: 400
    .language:       OpenCL C
    .language_version:
      - 2
      - 0
    .max_flat_workgroup_size: 256
    .name:           _Z39paged_attention_ll4mi_QKV_mfma16_kernelI14__hip_bfloat16hLN4vllm18Fp8KVCacheDataTypeE1ES0_Li16ELi128ELi256ELb1ELi15EL8MFMAType1EEvPKT_PKT0_S9_ifPKiSB_SB_iPKfiiiPfSE_PS4_PT2_iSD_SD_
    .private_segment_fixed_size: 0
    .sgpr_count:     38
    .sgpr_spill_count: 0
    .symbol:         _Z39paged_attention_ll4mi_QKV_mfma16_kernelI14__hip_bfloat16hLN4vllm18Fp8KVCacheDataTypeE1ES0_Li16ELi128ELi256ELb1ELi15EL8MFMAType1EEvPKT_PKT0_S9_ifPKiSB_SB_iPKfiiiPfSE_PS4_PT2_iSD_SD_.kd
    .uniform_work_group_size: 1
    .uses_dynamic_stack: false
    .vgpr_count:     140
    .vgpr_spill_count: 0
    .wavefront_size: 32
    .workgroup_processor_mode: 1
  - .args:
      - .actual_access:  read_only
        .address_space:  global
        .offset:         0
        .size:           8
        .value_kind:     global_buffer
      - .actual_access:  read_only
        .address_space:  global
        .offset:         8
        .size:           8
        .value_kind:     global_buffer
      - .actual_access:  read_only
        .address_space:  global
        .offset:         16
        .size:           8
        .value_kind:     global_buffer
      - .offset:         24
        .size:           4
        .value_kind:     by_value
      - .offset:         28
        .size:           4
        .value_kind:     by_value
      - .actual_access:  read_only
        .address_space:  global
        .offset:         32
        .size:           8
        .value_kind:     global_buffer
      - .actual_access:  read_only
        .address_space:  global
        .offset:         40
        .size:           8
        .value_kind:     global_buffer
      - .actual_access:  read_only
        .address_space:  global
        .offset:         48
        .size:           8
        .value_kind:     global_buffer
      - .offset:         56
        .size:           4
        .value_kind:     by_value
      - .actual_access:  read_only
        .address_space:  global
        .offset:         64
        .size:           8
        .value_kind:     global_buffer
      - .offset:         72
        .size:           4
        .value_kind:     by_value
      - .offset:         76
        .size:           4
        .value_kind:     by_value
      - .offset:         80
        .size:           4
        .value_kind:     by_value
      - .actual_access:  write_only
        .address_space:  global
        .offset:         88
        .size:           8
        .value_kind:     global_buffer
      - .actual_access:  write_only
        .address_space:  global
        .offset:         96
        .size:           8
        .value_kind:     global_buffer
      - .actual_access:  write_only
        .address_space:  global
        .offset:         104
        .size:           8
        .value_kind:     global_buffer
      - .actual_access:  read_only
        .address_space:  global
        .offset:         112
        .size:           8
        .value_kind:     global_buffer
      - .offset:         120
        .size:           4
        .value_kind:     by_value
      - .address_space:  global
        .offset:         128
        .size:           8
        .value_kind:     global_buffer
      - .address_space:  global
        .offset:         136
        .size:           8
        .value_kind:     global_buffer
      - .offset:         144
        .size:           4
        .value_kind:     hidden_block_count_x
      - .offset:         148
        .size:           4
        .value_kind:     hidden_block_count_y
      - .offset:         152
        .size:           4
        .value_kind:     hidden_block_count_z
      - .offset:         156
        .size:           2
        .value_kind:     hidden_group_size_x
      - .offset:         158
        .size:           2
        .value_kind:     hidden_group_size_y
      - .offset:         160
        .size:           2
        .value_kind:     hidden_group_size_z
      - .offset:         162
        .size:           2
        .value_kind:     hidden_remainder_x
      - .offset:         164
        .size:           2
        .value_kind:     hidden_remainder_y
      - .offset:         166
        .size:           2
        .value_kind:     hidden_remainder_z
      - .offset:         184
        .size:           8
        .value_kind:     hidden_global_offset_x
      - .offset:         192
        .size:           8
        .value_kind:     hidden_global_offset_y
      - .offset:         200
        .size:           8
        .value_kind:     hidden_global_offset_z
      - .offset:         208
        .size:           2
        .value_kind:     hidden_grid_dims
    .group_segment_fixed_size: 17472
    .kernarg_segment_align: 8
    .kernarg_segment_size: 400
    .language:       OpenCL C
    .language_version:
      - 2
      - 0
    .max_flat_workgroup_size: 256
    .name:           _Z39paged_attention_ll4mi_QKV_mfma16_kernelI14__hip_bfloat16hLN4vllm18Fp8KVCacheDataTypeE1ES0_Li16ELi128ELi256ELb1ELi16EL8MFMAType1EEvPKT_PKT0_S9_ifPKiSB_SB_iPKfiiiPfSE_PS4_PT2_iSD_SD_
    .private_segment_fixed_size: 0
    .sgpr_count:     38
    .sgpr_spill_count: 0
    .symbol:         _Z39paged_attention_ll4mi_QKV_mfma16_kernelI14__hip_bfloat16hLN4vllm18Fp8KVCacheDataTypeE1ES0_Li16ELi128ELi256ELb1ELi16EL8MFMAType1EEvPKT_PKT0_S9_ifPKiSB_SB_iPKfiiiPfSE_PS4_PT2_iSD_SD_.kd
    .uniform_work_group_size: 1
    .uses_dynamic_stack: false
    .vgpr_count:     141
    .vgpr_spill_count: 0
    .wavefront_size: 32
    .workgroup_processor_mode: 1
  - .args:
      - .actual_access:  read_only
        .address_space:  global
        .offset:         0
        .size:           8
        .value_kind:     global_buffer
      - .actual_access:  read_only
        .address_space:  global
        .offset:         8
        .size:           8
        .value_kind:     global_buffer
      - .actual_access:  read_only
        .address_space:  global
        .offset:         16
        .size:           8
        .value_kind:     global_buffer
      - .offset:         24
        .size:           4
        .value_kind:     by_value
      - .offset:         28
        .size:           4
        .value_kind:     by_value
      - .actual_access:  read_only
        .address_space:  global
        .offset:         32
        .size:           8
        .value_kind:     global_buffer
      - .actual_access:  read_only
        .address_space:  global
        .offset:         40
        .size:           8
        .value_kind:     global_buffer
      - .actual_access:  read_only
        .address_space:  global
        .offset:         48
        .size:           8
        .value_kind:     global_buffer
      - .offset:         56
        .size:           4
        .value_kind:     by_value
      - .actual_access:  read_only
        .address_space:  global
        .offset:         64
        .size:           8
        .value_kind:     global_buffer
      - .offset:         72
        .size:           4
        .value_kind:     by_value
      - .offset:         76
        .size:           4
        .value_kind:     by_value
      - .offset:         80
        .size:           4
        .value_kind:     by_value
      - .actual_access:  write_only
        .address_space:  global
        .offset:         88
        .size:           8
        .value_kind:     global_buffer
      - .actual_access:  write_only
        .address_space:  global
        .offset:         96
        .size:           8
        .value_kind:     global_buffer
      - .actual_access:  write_only
        .address_space:  global
        .offset:         104
        .size:           8
        .value_kind:     global_buffer
      - .actual_access:  read_only
        .address_space:  global
        .offset:         112
        .size:           8
        .value_kind:     global_buffer
      - .offset:         120
        .size:           4
        .value_kind:     by_value
      - .address_space:  global
        .offset:         128
        .size:           8
        .value_kind:     global_buffer
      - .address_space:  global
        .offset:         136
        .size:           8
        .value_kind:     global_buffer
      - .offset:         144
        .size:           4
        .value_kind:     hidden_block_count_x
      - .offset:         148
        .size:           4
        .value_kind:     hidden_block_count_y
      - .offset:         152
        .size:           4
        .value_kind:     hidden_block_count_z
      - .offset:         156
        .size:           2
        .value_kind:     hidden_group_size_x
      - .offset:         158
        .size:           2
        .value_kind:     hidden_group_size_y
      - .offset:         160
        .size:           2
        .value_kind:     hidden_group_size_z
      - .offset:         162
        .size:           2
        .value_kind:     hidden_remainder_x
      - .offset:         164
        .size:           2
        .value_kind:     hidden_remainder_y
      - .offset:         166
        .size:           2
        .value_kind:     hidden_remainder_z
      - .offset:         184
        .size:           8
        .value_kind:     hidden_global_offset_x
      - .offset:         192
        .size:           8
        .value_kind:     hidden_global_offset_y
      - .offset:         200
        .size:           8
        .value_kind:     hidden_global_offset_z
      - .offset:         208
        .size:           2
        .value_kind:     hidden_grid_dims
    .group_segment_fixed_size: 17472
    .kernarg_segment_align: 8
    .kernarg_segment_size: 400
    .language:       OpenCL C
    .language_version:
      - 2
      - 0
    .max_flat_workgroup_size: 256
    .name:           _Z39paged_attention_ll4mi_QKV_mfma16_kernelI14__hip_bfloat16hLN4vllm18Fp8KVCacheDataTypeE1ES0_Li16ELi128ELi256ELb1ELi1EL8MFMAType1EEvPKT_PKT0_S9_ifPKiSB_SB_iPKfiiiPfSE_PS4_PT2_iSD_SD_
    .private_segment_fixed_size: 0
    .sgpr_count:     68
    .sgpr_spill_count: 0
    .symbol:         _Z39paged_attention_ll4mi_QKV_mfma16_kernelI14__hip_bfloat16hLN4vllm18Fp8KVCacheDataTypeE1ES0_Li16ELi128ELi256ELb1ELi1EL8MFMAType1EEvPKT_PKT0_S9_ifPKiSB_SB_iPKfiiiPfSE_PS4_PT2_iSD_SD_.kd
    .uniform_work_group_size: 1
    .uses_dynamic_stack: false
    .vgpr_count:     138
    .vgpr_spill_count: 0
    .wavefront_size: 32
    .workgroup_processor_mode: 1
  - .args:
      - .actual_access:  read_only
        .address_space:  global
        .offset:         0
        .size:           8
        .value_kind:     global_buffer
      - .actual_access:  read_only
        .address_space:  global
        .offset:         8
        .size:           8
        .value_kind:     global_buffer
      - .actual_access:  read_only
        .address_space:  global
        .offset:         16
        .size:           8
        .value_kind:     global_buffer
      - .offset:         24
        .size:           4
        .value_kind:     by_value
      - .offset:         28
        .size:           4
        .value_kind:     by_value
      - .actual_access:  read_only
        .address_space:  global
        .offset:         32
        .size:           8
        .value_kind:     global_buffer
      - .actual_access:  read_only
        .address_space:  global
        .offset:         40
        .size:           8
        .value_kind:     global_buffer
      - .actual_access:  read_only
        .address_space:  global
        .offset:         48
        .size:           8
        .value_kind:     global_buffer
      - .offset:         56
        .size:           4
        .value_kind:     by_value
      - .actual_access:  read_only
        .address_space:  global
        .offset:         64
        .size:           8
        .value_kind:     global_buffer
      - .offset:         72
        .size:           4
        .value_kind:     by_value
      - .offset:         76
        .size:           4
        .value_kind:     by_value
      - .offset:         80
        .size:           4
        .value_kind:     by_value
      - .actual_access:  write_only
        .address_space:  global
        .offset:         88
        .size:           8
        .value_kind:     global_buffer
      - .actual_access:  write_only
        .address_space:  global
        .offset:         96
        .size:           8
        .value_kind:     global_buffer
      - .actual_access:  write_only
        .address_space:  global
        .offset:         104
        .size:           8
        .value_kind:     global_buffer
      - .actual_access:  read_only
        .address_space:  global
        .offset:         112
        .size:           8
        .value_kind:     global_buffer
      - .offset:         120
        .size:           4
        .value_kind:     by_value
      - .address_space:  global
        .offset:         128
        .size:           8
        .value_kind:     global_buffer
      - .address_space:  global
        .offset:         136
        .size:           8
        .value_kind:     global_buffer
      - .offset:         144
        .size:           4
        .value_kind:     hidden_block_count_x
      - .offset:         148
        .size:           4
        .value_kind:     hidden_block_count_y
      - .offset:         152
        .size:           4
        .value_kind:     hidden_block_count_z
      - .offset:         156
        .size:           2
        .value_kind:     hidden_group_size_x
      - .offset:         158
        .size:           2
        .value_kind:     hidden_group_size_y
      - .offset:         160
        .size:           2
        .value_kind:     hidden_group_size_z
      - .offset:         162
        .size:           2
        .value_kind:     hidden_remainder_x
      - .offset:         164
        .size:           2
        .value_kind:     hidden_remainder_y
      - .offset:         166
        .size:           2
        .value_kind:     hidden_remainder_z
      - .offset:         184
        .size:           8
        .value_kind:     hidden_global_offset_x
      - .offset:         192
        .size:           8
        .value_kind:     hidden_global_offset_y
      - .offset:         200
        .size:           8
        .value_kind:     hidden_global_offset_z
      - .offset:         208
        .size:           2
        .value_kind:     hidden_grid_dims
    .group_segment_fixed_size: 17472
    .kernarg_segment_align: 8
    .kernarg_segment_size: 400
    .language:       OpenCL C
    .language_version:
      - 2
      - 0
    .max_flat_workgroup_size: 256
    .name:           _Z39paged_attention_ll4mi_QKV_mfma16_kernelI14__hip_bfloat16hLN4vllm18Fp8KVCacheDataTypeE1ES0_Li16ELi128ELi256ELb1ELi2EL8MFMAType1EEvPKT_PKT0_S9_ifPKiSB_SB_iPKfiiiPfSE_PS4_PT2_iSD_SD_
    .private_segment_fixed_size: 0
    .sgpr_count:     38
    .sgpr_spill_count: 0
    .symbol:         _Z39paged_attention_ll4mi_QKV_mfma16_kernelI14__hip_bfloat16hLN4vllm18Fp8KVCacheDataTypeE1ES0_Li16ELi128ELi256ELb1ELi2EL8MFMAType1EEvPKT_PKT0_S9_ifPKiSB_SB_iPKfiiiPfSE_PS4_PT2_iSD_SD_.kd
    .uniform_work_group_size: 1
    .uses_dynamic_stack: false
    .vgpr_count:     138
    .vgpr_spill_count: 0
    .wavefront_size: 32
    .workgroup_processor_mode: 1
  - .args:
      - .actual_access:  read_only
        .address_space:  global
        .offset:         0
        .size:           8
        .value_kind:     global_buffer
      - .actual_access:  read_only
        .address_space:  global
        .offset:         8
        .size:           8
        .value_kind:     global_buffer
      - .actual_access:  read_only
        .address_space:  global
        .offset:         16
        .size:           8
        .value_kind:     global_buffer
      - .offset:         24
        .size:           4
        .value_kind:     by_value
      - .offset:         28
        .size:           4
        .value_kind:     by_value
      - .actual_access:  read_only
        .address_space:  global
        .offset:         32
        .size:           8
        .value_kind:     global_buffer
      - .actual_access:  read_only
        .address_space:  global
        .offset:         40
        .size:           8
        .value_kind:     global_buffer
      - .actual_access:  read_only
        .address_space:  global
        .offset:         48
        .size:           8
        .value_kind:     global_buffer
      - .offset:         56
        .size:           4
        .value_kind:     by_value
      - .actual_access:  read_only
        .address_space:  global
        .offset:         64
        .size:           8
        .value_kind:     global_buffer
      - .offset:         72
        .size:           4
        .value_kind:     by_value
      - .offset:         76
        .size:           4
        .value_kind:     by_value
      - .offset:         80
        .size:           4
        .value_kind:     by_value
      - .actual_access:  write_only
        .address_space:  global
        .offset:         88
        .size:           8
        .value_kind:     global_buffer
      - .actual_access:  write_only
        .address_space:  global
        .offset:         96
        .size:           8
        .value_kind:     global_buffer
      - .actual_access:  write_only
        .address_space:  global
        .offset:         104
        .size:           8
        .value_kind:     global_buffer
      - .actual_access:  read_only
        .address_space:  global
        .offset:         112
        .size:           8
        .value_kind:     global_buffer
      - .offset:         120
        .size:           4
        .value_kind:     by_value
      - .address_space:  global
        .offset:         128
        .size:           8
        .value_kind:     global_buffer
      - .address_space:  global
        .offset:         136
        .size:           8
        .value_kind:     global_buffer
      - .offset:         144
        .size:           4
        .value_kind:     hidden_block_count_x
      - .offset:         148
        .size:           4
        .value_kind:     hidden_block_count_y
      - .offset:         152
        .size:           4
        .value_kind:     hidden_block_count_z
      - .offset:         156
        .size:           2
        .value_kind:     hidden_group_size_x
      - .offset:         158
        .size:           2
        .value_kind:     hidden_group_size_y
      - .offset:         160
        .size:           2
        .value_kind:     hidden_group_size_z
      - .offset:         162
        .size:           2
        .value_kind:     hidden_remainder_x
      - .offset:         164
        .size:           2
        .value_kind:     hidden_remainder_y
      - .offset:         166
        .size:           2
        .value_kind:     hidden_remainder_z
      - .offset:         184
        .size:           8
        .value_kind:     hidden_global_offset_x
      - .offset:         192
        .size:           8
        .value_kind:     hidden_global_offset_y
      - .offset:         200
        .size:           8
        .value_kind:     hidden_global_offset_z
      - .offset:         208
        .size:           2
        .value_kind:     hidden_grid_dims
    .group_segment_fixed_size: 17472
    .kernarg_segment_align: 8
    .kernarg_segment_size: 400
    .language:       OpenCL C
    .language_version:
      - 2
      - 0
    .max_flat_workgroup_size: 256
    .name:           _Z39paged_attention_ll4mi_QKV_mfma16_kernelI14__hip_bfloat16hLN4vllm18Fp8KVCacheDataTypeE1ES0_Li16ELi128ELi256ELb1ELi3EL8MFMAType1EEvPKT_PKT0_S9_ifPKiSB_SB_iPKfiiiPfSE_PS4_PT2_iSD_SD_
    .private_segment_fixed_size: 0
    .sgpr_count:     38
    .sgpr_spill_count: 0
    .symbol:         _Z39paged_attention_ll4mi_QKV_mfma16_kernelI14__hip_bfloat16hLN4vllm18Fp8KVCacheDataTypeE1ES0_Li16ELi128ELi256ELb1ELi3EL8MFMAType1EEvPKT_PKT0_S9_ifPKiSB_SB_iPKfiiiPfSE_PS4_PT2_iSD_SD_.kd
    .uniform_work_group_size: 1
    .uses_dynamic_stack: false
    .vgpr_count:     140
    .vgpr_spill_count: 0
    .wavefront_size: 32
    .workgroup_processor_mode: 1
  - .args:
      - .actual_access:  read_only
        .address_space:  global
        .offset:         0
        .size:           8
        .value_kind:     global_buffer
      - .actual_access:  read_only
        .address_space:  global
        .offset:         8
        .size:           8
        .value_kind:     global_buffer
      - .actual_access:  read_only
        .address_space:  global
        .offset:         16
        .size:           8
        .value_kind:     global_buffer
      - .offset:         24
        .size:           4
        .value_kind:     by_value
      - .offset:         28
        .size:           4
        .value_kind:     by_value
      - .actual_access:  read_only
        .address_space:  global
        .offset:         32
        .size:           8
        .value_kind:     global_buffer
      - .actual_access:  read_only
        .address_space:  global
        .offset:         40
        .size:           8
        .value_kind:     global_buffer
      - .actual_access:  read_only
        .address_space:  global
        .offset:         48
        .size:           8
        .value_kind:     global_buffer
      - .offset:         56
        .size:           4
        .value_kind:     by_value
      - .actual_access:  read_only
        .address_space:  global
        .offset:         64
        .size:           8
        .value_kind:     global_buffer
      - .offset:         72
        .size:           4
        .value_kind:     by_value
      - .offset:         76
        .size:           4
        .value_kind:     by_value
      - .offset:         80
        .size:           4
        .value_kind:     by_value
      - .actual_access:  write_only
        .address_space:  global
        .offset:         88
        .size:           8
        .value_kind:     global_buffer
      - .actual_access:  write_only
        .address_space:  global
        .offset:         96
        .size:           8
        .value_kind:     global_buffer
      - .actual_access:  write_only
        .address_space:  global
        .offset:         104
        .size:           8
        .value_kind:     global_buffer
      - .actual_access:  read_only
        .address_space:  global
        .offset:         112
        .size:           8
        .value_kind:     global_buffer
      - .offset:         120
        .size:           4
        .value_kind:     by_value
      - .address_space:  global
        .offset:         128
        .size:           8
        .value_kind:     global_buffer
      - .address_space:  global
        .offset:         136
        .size:           8
        .value_kind:     global_buffer
      - .offset:         144
        .size:           4
        .value_kind:     hidden_block_count_x
      - .offset:         148
        .size:           4
        .value_kind:     hidden_block_count_y
      - .offset:         152
        .size:           4
        .value_kind:     hidden_block_count_z
      - .offset:         156
        .size:           2
        .value_kind:     hidden_group_size_x
      - .offset:         158
        .size:           2
        .value_kind:     hidden_group_size_y
      - .offset:         160
        .size:           2
        .value_kind:     hidden_group_size_z
      - .offset:         162
        .size:           2
        .value_kind:     hidden_remainder_x
      - .offset:         164
        .size:           2
        .value_kind:     hidden_remainder_y
      - .offset:         166
        .size:           2
        .value_kind:     hidden_remainder_z
      - .offset:         184
        .size:           8
        .value_kind:     hidden_global_offset_x
      - .offset:         192
        .size:           8
        .value_kind:     hidden_global_offset_y
      - .offset:         200
        .size:           8
        .value_kind:     hidden_global_offset_z
      - .offset:         208
        .size:           2
        .value_kind:     hidden_grid_dims
    .group_segment_fixed_size: 17472
    .kernarg_segment_align: 8
    .kernarg_segment_size: 400
    .language:       OpenCL C
    .language_version:
      - 2
      - 0
    .max_flat_workgroup_size: 256
    .name:           _Z39paged_attention_ll4mi_QKV_mfma16_kernelI14__hip_bfloat16hLN4vllm18Fp8KVCacheDataTypeE1ES0_Li16ELi128ELi256ELb1ELi4EL8MFMAType1EEvPKT_PKT0_S9_ifPKiSB_SB_iPKfiiiPfSE_PS4_PT2_iSD_SD_
    .private_segment_fixed_size: 0
    .sgpr_count:     38
    .sgpr_spill_count: 0
    .symbol:         _Z39paged_attention_ll4mi_QKV_mfma16_kernelI14__hip_bfloat16hLN4vllm18Fp8KVCacheDataTypeE1ES0_Li16ELi128ELi256ELb1ELi4EL8MFMAType1EEvPKT_PKT0_S9_ifPKiSB_SB_iPKfiiiPfSE_PS4_PT2_iSD_SD_.kd
    .uniform_work_group_size: 1
    .uses_dynamic_stack: false
    .vgpr_count:     140
    .vgpr_spill_count: 0
    .wavefront_size: 32
    .workgroup_processor_mode: 1
  - .args:
      - .actual_access:  read_only
        .address_space:  global
        .offset:         0
        .size:           8
        .value_kind:     global_buffer
      - .actual_access:  read_only
        .address_space:  global
        .offset:         8
        .size:           8
        .value_kind:     global_buffer
      - .actual_access:  read_only
        .address_space:  global
        .offset:         16
        .size:           8
        .value_kind:     global_buffer
      - .offset:         24
        .size:           4
        .value_kind:     by_value
      - .offset:         28
        .size:           4
        .value_kind:     by_value
      - .actual_access:  read_only
        .address_space:  global
        .offset:         32
        .size:           8
        .value_kind:     global_buffer
      - .actual_access:  read_only
        .address_space:  global
        .offset:         40
        .size:           8
        .value_kind:     global_buffer
      - .actual_access:  read_only
        .address_space:  global
        .offset:         48
        .size:           8
        .value_kind:     global_buffer
      - .offset:         56
        .size:           4
        .value_kind:     by_value
      - .actual_access:  read_only
        .address_space:  global
        .offset:         64
        .size:           8
        .value_kind:     global_buffer
      - .offset:         72
        .size:           4
        .value_kind:     by_value
      - .offset:         76
        .size:           4
        .value_kind:     by_value
      - .offset:         80
        .size:           4
        .value_kind:     by_value
      - .actual_access:  read_only
        .address_space:  global
        .offset:         88
        .size:           8
        .value_kind:     global_buffer
      - .actual_access:  read_only
        .address_space:  global
        .offset:         96
        .size:           8
        .value_kind:     global_buffer
      - .actual_access:  read_only
        .address_space:  global
        .offset:         104
        .size:           8
        .value_kind:     global_buffer
      - .actual_access:  read_only
        .address_space:  global
        .offset:         112
        .size:           8
        .value_kind:     global_buffer
      - .offset:         120
        .size:           4
        .value_kind:     by_value
      - .address_space:  global
        .offset:         128
        .size:           8
        .value_kind:     global_buffer
      - .address_space:  global
        .offset:         136
        .size:           8
        .value_kind:     global_buffer
      - .offset:         144
        .size:           4
        .value_kind:     hidden_block_count_x
      - .offset:         148
        .size:           4
        .value_kind:     hidden_block_count_y
      - .offset:         152
        .size:           4
        .value_kind:     hidden_block_count_z
      - .offset:         156
        .size:           2
        .value_kind:     hidden_group_size_x
      - .offset:         158
        .size:           2
        .value_kind:     hidden_group_size_y
      - .offset:         160
        .size:           2
        .value_kind:     hidden_group_size_z
      - .offset:         162
        .size:           2
        .value_kind:     hidden_remainder_x
      - .offset:         164
        .size:           2
        .value_kind:     hidden_remainder_y
      - .offset:         166
        .size:           2
        .value_kind:     hidden_remainder_z
      - .offset:         184
        .size:           8
        .value_kind:     hidden_global_offset_x
      - .offset:         192
        .size:           8
        .value_kind:     hidden_global_offset_y
      - .offset:         200
        .size:           8
        .value_kind:     hidden_global_offset_z
      - .offset:         208
        .size:           2
        .value_kind:     hidden_grid_dims
      - .offset:         224
        .size:           8
        .value_kind:     hidden_hostcall_buffer
    .group_segment_fixed_size: 0
    .kernarg_segment_align: 8
    .kernarg_segment_size: 400
    .language:       OpenCL C
    .language_version:
      - 2
      - 0
    .max_flat_workgroup_size: 256
    .name:           _Z38paged_attention_ll4mi_QKV_mfma4_kernelI14__hip_bfloat16hLN4vllm18Fp8KVCacheDataTypeE1ES0_Li16ELi128ELi256ELb0ELi1EEvPKT_PKT0_S8_ifPKiSA_SA_iPKfiiiPfSD_PS3_PT2_iSC_SC_
    .private_segment_fixed_size: 64
    .sgpr_count:     36
    .sgpr_spill_count: 0
    .symbol:         _Z38paged_attention_ll4mi_QKV_mfma4_kernelI14__hip_bfloat16hLN4vllm18Fp8KVCacheDataTypeE1ES0_Li16ELi128ELi256ELb0ELi1EEvPKT_PKT0_S8_ifPKiSA_SA_iPKfiiiPfSD_PS3_PT2_iSC_SC_.kd
    .uniform_work_group_size: 1
    .uses_dynamic_stack: false
    .vgpr_count:     41
    .vgpr_spill_count: 0
    .wavefront_size: 32
    .workgroup_processor_mode: 1
  - .args:
      - .actual_access:  read_only
        .address_space:  global
        .offset:         0
        .size:           8
        .value_kind:     global_buffer
      - .actual_access:  read_only
        .address_space:  global
        .offset:         8
        .size:           8
        .value_kind:     global_buffer
      - .actual_access:  read_only
        .address_space:  global
        .offset:         16
        .size:           8
        .value_kind:     global_buffer
      - .offset:         24
        .size:           4
        .value_kind:     by_value
      - .offset:         28
        .size:           4
        .value_kind:     by_value
      - .actual_access:  read_only
        .address_space:  global
        .offset:         32
        .size:           8
        .value_kind:     global_buffer
      - .actual_access:  read_only
        .address_space:  global
        .offset:         40
        .size:           8
        .value_kind:     global_buffer
      - .actual_access:  read_only
        .address_space:  global
        .offset:         48
        .size:           8
        .value_kind:     global_buffer
      - .offset:         56
        .size:           4
        .value_kind:     by_value
      - .actual_access:  read_only
        .address_space:  global
        .offset:         64
        .size:           8
        .value_kind:     global_buffer
      - .offset:         72
        .size:           4
        .value_kind:     by_value
      - .offset:         76
        .size:           4
        .value_kind:     by_value
      - .offset:         80
        .size:           4
        .value_kind:     by_value
      - .actual_access:  read_only
        .address_space:  global
        .offset:         88
        .size:           8
        .value_kind:     global_buffer
      - .actual_access:  read_only
        .address_space:  global
        .offset:         96
        .size:           8
        .value_kind:     global_buffer
      - .actual_access:  read_only
        .address_space:  global
        .offset:         104
        .size:           8
        .value_kind:     global_buffer
      - .actual_access:  read_only
        .address_space:  global
        .offset:         112
        .size:           8
        .value_kind:     global_buffer
      - .offset:         120
        .size:           4
        .value_kind:     by_value
      - .address_space:  global
        .offset:         128
        .size:           8
        .value_kind:     global_buffer
      - .address_space:  global
        .offset:         136
        .size:           8
        .value_kind:     global_buffer
      - .offset:         144
        .size:           4
        .value_kind:     hidden_block_count_x
      - .offset:         148
        .size:           4
        .value_kind:     hidden_block_count_y
      - .offset:         152
        .size:           4
        .value_kind:     hidden_block_count_z
      - .offset:         156
        .size:           2
        .value_kind:     hidden_group_size_x
      - .offset:         158
        .size:           2
        .value_kind:     hidden_group_size_y
      - .offset:         160
        .size:           2
        .value_kind:     hidden_group_size_z
      - .offset:         162
        .size:           2
        .value_kind:     hidden_remainder_x
      - .offset:         164
        .size:           2
        .value_kind:     hidden_remainder_y
      - .offset:         166
        .size:           2
        .value_kind:     hidden_remainder_z
      - .offset:         184
        .size:           8
        .value_kind:     hidden_global_offset_x
      - .offset:         192
        .size:           8
        .value_kind:     hidden_global_offset_y
      - .offset:         200
        .size:           8
        .value_kind:     hidden_global_offset_z
      - .offset:         208
        .size:           2
        .value_kind:     hidden_grid_dims
      - .offset:         224
        .size:           8
        .value_kind:     hidden_hostcall_buffer
    .group_segment_fixed_size: 0
    .kernarg_segment_align: 8
    .kernarg_segment_size: 400
    .language:       OpenCL C
    .language_version:
      - 2
      - 0
    .max_flat_workgroup_size: 256
    .name:           _Z38paged_attention_ll4mi_QKV_mfma4_kernelI14__hip_bfloat16hLN4vllm18Fp8KVCacheDataTypeE1ES0_Li16ELi128ELi256ELb0ELi2EEvPKT_PKT0_S8_ifPKiSA_SA_iPKfiiiPfSD_PS3_PT2_iSC_SC_
    .private_segment_fixed_size: 64
    .sgpr_count:     36
    .sgpr_spill_count: 0
    .symbol:         _Z38paged_attention_ll4mi_QKV_mfma4_kernelI14__hip_bfloat16hLN4vllm18Fp8KVCacheDataTypeE1ES0_Li16ELi128ELi256ELb0ELi2EEvPKT_PKT0_S8_ifPKiSA_SA_iPKfiiiPfSD_PS3_PT2_iSC_SC_.kd
    .uniform_work_group_size: 1
    .uses_dynamic_stack: false
    .vgpr_count:     41
    .vgpr_spill_count: 0
    .wavefront_size: 32
    .workgroup_processor_mode: 1
  - .args:
      - .actual_access:  read_only
        .address_space:  global
        .offset:         0
        .size:           8
        .value_kind:     global_buffer
      - .actual_access:  read_only
        .address_space:  global
        .offset:         8
        .size:           8
        .value_kind:     global_buffer
      - .actual_access:  read_only
        .address_space:  global
        .offset:         16
        .size:           8
        .value_kind:     global_buffer
      - .offset:         24
        .size:           4
        .value_kind:     by_value
      - .offset:         28
        .size:           4
        .value_kind:     by_value
      - .actual_access:  read_only
        .address_space:  global
        .offset:         32
        .size:           8
        .value_kind:     global_buffer
      - .actual_access:  read_only
        .address_space:  global
        .offset:         40
        .size:           8
        .value_kind:     global_buffer
      - .actual_access:  read_only
        .address_space:  global
        .offset:         48
        .size:           8
        .value_kind:     global_buffer
      - .offset:         56
        .size:           4
        .value_kind:     by_value
      - .actual_access:  read_only
        .address_space:  global
        .offset:         64
        .size:           8
        .value_kind:     global_buffer
      - .offset:         72
        .size:           4
        .value_kind:     by_value
      - .offset:         76
        .size:           4
        .value_kind:     by_value
      - .offset:         80
        .size:           4
        .value_kind:     by_value
      - .actual_access:  read_only
        .address_space:  global
        .offset:         88
        .size:           8
        .value_kind:     global_buffer
      - .actual_access:  read_only
        .address_space:  global
        .offset:         96
        .size:           8
        .value_kind:     global_buffer
      - .actual_access:  read_only
        .address_space:  global
        .offset:         104
        .size:           8
        .value_kind:     global_buffer
      - .actual_access:  read_only
        .address_space:  global
        .offset:         112
        .size:           8
        .value_kind:     global_buffer
      - .offset:         120
        .size:           4
        .value_kind:     by_value
      - .address_space:  global
        .offset:         128
        .size:           8
        .value_kind:     global_buffer
      - .address_space:  global
        .offset:         136
        .size:           8
        .value_kind:     global_buffer
      - .offset:         144
        .size:           4
        .value_kind:     hidden_block_count_x
      - .offset:         148
        .size:           4
        .value_kind:     hidden_block_count_y
      - .offset:         152
        .size:           4
        .value_kind:     hidden_block_count_z
      - .offset:         156
        .size:           2
        .value_kind:     hidden_group_size_x
      - .offset:         158
        .size:           2
        .value_kind:     hidden_group_size_y
      - .offset:         160
        .size:           2
        .value_kind:     hidden_group_size_z
      - .offset:         162
        .size:           2
        .value_kind:     hidden_remainder_x
      - .offset:         164
        .size:           2
        .value_kind:     hidden_remainder_y
      - .offset:         166
        .size:           2
        .value_kind:     hidden_remainder_z
      - .offset:         184
        .size:           8
        .value_kind:     hidden_global_offset_x
      - .offset:         192
        .size:           8
        .value_kind:     hidden_global_offset_y
      - .offset:         200
        .size:           8
        .value_kind:     hidden_global_offset_z
      - .offset:         208
        .size:           2
        .value_kind:     hidden_grid_dims
      - .offset:         224
        .size:           8
        .value_kind:     hidden_hostcall_buffer
    .group_segment_fixed_size: 0
    .kernarg_segment_align: 8
    .kernarg_segment_size: 400
    .language:       OpenCL C
    .language_version:
      - 2
      - 0
    .max_flat_workgroup_size: 256
    .name:           _Z38paged_attention_ll4mi_QKV_mfma4_kernelI14__hip_bfloat16hLN4vllm18Fp8KVCacheDataTypeE1ES0_Li16ELi128ELi256ELb0ELi3EEvPKT_PKT0_S8_ifPKiSA_SA_iPKfiiiPfSD_PS3_PT2_iSC_SC_
    .private_segment_fixed_size: 64
    .sgpr_count:     36
    .sgpr_spill_count: 0
    .symbol:         _Z38paged_attention_ll4mi_QKV_mfma4_kernelI14__hip_bfloat16hLN4vllm18Fp8KVCacheDataTypeE1ES0_Li16ELi128ELi256ELb0ELi3EEvPKT_PKT0_S8_ifPKiSA_SA_iPKfiiiPfSD_PS3_PT2_iSC_SC_.kd
    .uniform_work_group_size: 1
    .uses_dynamic_stack: false
    .vgpr_count:     41
    .vgpr_spill_count: 0
    .wavefront_size: 32
    .workgroup_processor_mode: 1
  - .args:
      - .actual_access:  read_only
        .address_space:  global
        .offset:         0
        .size:           8
        .value_kind:     global_buffer
      - .actual_access:  read_only
        .address_space:  global
        .offset:         8
        .size:           8
        .value_kind:     global_buffer
      - .actual_access:  read_only
        .address_space:  global
        .offset:         16
        .size:           8
        .value_kind:     global_buffer
      - .offset:         24
        .size:           4
        .value_kind:     by_value
      - .offset:         28
        .size:           4
        .value_kind:     by_value
      - .actual_access:  read_only
        .address_space:  global
        .offset:         32
        .size:           8
        .value_kind:     global_buffer
      - .actual_access:  read_only
        .address_space:  global
        .offset:         40
        .size:           8
        .value_kind:     global_buffer
      - .actual_access:  read_only
        .address_space:  global
        .offset:         48
        .size:           8
        .value_kind:     global_buffer
      - .offset:         56
        .size:           4
        .value_kind:     by_value
      - .actual_access:  read_only
        .address_space:  global
        .offset:         64
        .size:           8
        .value_kind:     global_buffer
      - .offset:         72
        .size:           4
        .value_kind:     by_value
      - .offset:         76
        .size:           4
        .value_kind:     by_value
      - .offset:         80
        .size:           4
        .value_kind:     by_value
      - .actual_access:  read_only
        .address_space:  global
        .offset:         88
        .size:           8
        .value_kind:     global_buffer
      - .actual_access:  read_only
        .address_space:  global
        .offset:         96
        .size:           8
        .value_kind:     global_buffer
      - .actual_access:  read_only
        .address_space:  global
        .offset:         104
        .size:           8
        .value_kind:     global_buffer
      - .actual_access:  read_only
        .address_space:  global
        .offset:         112
        .size:           8
        .value_kind:     global_buffer
      - .offset:         120
        .size:           4
        .value_kind:     by_value
      - .address_space:  global
        .offset:         128
        .size:           8
        .value_kind:     global_buffer
      - .address_space:  global
        .offset:         136
        .size:           8
        .value_kind:     global_buffer
      - .offset:         144
        .size:           4
        .value_kind:     hidden_block_count_x
      - .offset:         148
        .size:           4
        .value_kind:     hidden_block_count_y
      - .offset:         152
        .size:           4
        .value_kind:     hidden_block_count_z
      - .offset:         156
        .size:           2
        .value_kind:     hidden_group_size_x
      - .offset:         158
        .size:           2
        .value_kind:     hidden_group_size_y
      - .offset:         160
        .size:           2
        .value_kind:     hidden_group_size_z
      - .offset:         162
        .size:           2
        .value_kind:     hidden_remainder_x
      - .offset:         164
        .size:           2
        .value_kind:     hidden_remainder_y
      - .offset:         166
        .size:           2
        .value_kind:     hidden_remainder_z
      - .offset:         184
        .size:           8
        .value_kind:     hidden_global_offset_x
      - .offset:         192
        .size:           8
        .value_kind:     hidden_global_offset_y
      - .offset:         200
        .size:           8
        .value_kind:     hidden_global_offset_z
      - .offset:         208
        .size:           2
        .value_kind:     hidden_grid_dims
      - .offset:         224
        .size:           8
        .value_kind:     hidden_hostcall_buffer
    .group_segment_fixed_size: 0
    .kernarg_segment_align: 8
    .kernarg_segment_size: 400
    .language:       OpenCL C
    .language_version:
      - 2
      - 0
    .max_flat_workgroup_size: 256
    .name:           _Z38paged_attention_ll4mi_QKV_mfma4_kernelI14__hip_bfloat16hLN4vllm18Fp8KVCacheDataTypeE1ES0_Li16ELi128ELi256ELb0ELi4EEvPKT_PKT0_S8_ifPKiSA_SA_iPKfiiiPfSD_PS3_PT2_iSC_SC_
    .private_segment_fixed_size: 64
    .sgpr_count:     36
    .sgpr_spill_count: 0
    .symbol:         _Z38paged_attention_ll4mi_QKV_mfma4_kernelI14__hip_bfloat16hLN4vllm18Fp8KVCacheDataTypeE1ES0_Li16ELi128ELi256ELb0ELi4EEvPKT_PKT0_S8_ifPKiSA_SA_iPKfiiiPfSD_PS3_PT2_iSC_SC_.kd
    .uniform_work_group_size: 1
    .uses_dynamic_stack: false
    .vgpr_count:     41
    .vgpr_spill_count: 0
    .wavefront_size: 32
    .workgroup_processor_mode: 1
  - .args:
      - .actual_access:  read_only
        .address_space:  global
        .offset:         0
        .size:           8
        .value_kind:     global_buffer
      - .actual_access:  read_only
        .address_space:  global
        .offset:         8
        .size:           8
        .value_kind:     global_buffer
      - .actual_access:  read_only
        .address_space:  global
        .offset:         16
        .size:           8
        .value_kind:     global_buffer
      - .offset:         24
        .size:           4
        .value_kind:     by_value
      - .offset:         28
        .size:           4
        .value_kind:     by_value
      - .actual_access:  read_only
        .address_space:  global
        .offset:         32
        .size:           8
        .value_kind:     global_buffer
      - .actual_access:  read_only
        .address_space:  global
        .offset:         40
        .size:           8
        .value_kind:     global_buffer
      - .actual_access:  read_only
        .address_space:  global
        .offset:         48
        .size:           8
        .value_kind:     global_buffer
      - .offset:         56
        .size:           4
        .value_kind:     by_value
      - .actual_access:  read_only
        .address_space:  global
        .offset:         64
        .size:           8
        .value_kind:     global_buffer
      - .offset:         72
        .size:           4
        .value_kind:     by_value
      - .offset:         76
        .size:           4
        .value_kind:     by_value
      - .offset:         80
        .size:           4
        .value_kind:     by_value
      - .actual_access:  write_only
        .address_space:  global
        .offset:         88
        .size:           8
        .value_kind:     global_buffer
      - .actual_access:  write_only
        .address_space:  global
        .offset:         96
        .size:           8
        .value_kind:     global_buffer
      - .actual_access:  write_only
        .address_space:  global
        .offset:         104
        .size:           8
        .value_kind:     global_buffer
      - .actual_access:  read_only
        .address_space:  global
        .offset:         112
        .size:           8
        .value_kind:     global_buffer
      - .offset:         120
        .size:           4
        .value_kind:     by_value
      - .address_space:  global
        .offset:         128
        .size:           8
        .value_kind:     global_buffer
      - .address_space:  global
        .offset:         136
        .size:           8
        .value_kind:     global_buffer
      - .offset:         144
        .size:           4
        .value_kind:     hidden_block_count_x
      - .offset:         148
        .size:           4
        .value_kind:     hidden_block_count_y
      - .offset:         152
        .size:           4
        .value_kind:     hidden_block_count_z
      - .offset:         156
        .size:           2
        .value_kind:     hidden_group_size_x
      - .offset:         158
        .size:           2
        .value_kind:     hidden_group_size_y
      - .offset:         160
        .size:           2
        .value_kind:     hidden_group_size_z
      - .offset:         162
        .size:           2
        .value_kind:     hidden_remainder_x
      - .offset:         164
        .size:           2
        .value_kind:     hidden_remainder_y
      - .offset:         166
        .size:           2
        .value_kind:     hidden_remainder_z
      - .offset:         184
        .size:           8
        .value_kind:     hidden_global_offset_x
      - .offset:         192
        .size:           8
        .value_kind:     hidden_global_offset_y
      - .offset:         200
        .size:           8
        .value_kind:     hidden_global_offset_z
      - .offset:         208
        .size:           2
        .value_kind:     hidden_grid_dims
    .group_segment_fixed_size: 17472
    .kernarg_segment_align: 8
    .kernarg_segment_size: 400
    .language:       OpenCL C
    .language_version:
      - 2
      - 0
    .max_flat_workgroup_size: 256
    .name:           _Z39paged_attention_ll4mi_QKV_mfma16_kernelI14__hip_bfloat16hLN4vllm18Fp8KVCacheDataTypeE1ES0_Li16ELi128ELi256ELb0ELi5EL8MFMAType1EEvPKT_PKT0_S9_ifPKiSB_SB_iPKfiiiPfSE_PS4_PT2_iSD_SD_
    .private_segment_fixed_size: 0
    .sgpr_count:     38
    .sgpr_spill_count: 0
    .symbol:         _Z39paged_attention_ll4mi_QKV_mfma16_kernelI14__hip_bfloat16hLN4vllm18Fp8KVCacheDataTypeE1ES0_Li16ELi128ELi256ELb0ELi5EL8MFMAType1EEvPKT_PKT0_S9_ifPKiSB_SB_iPKfiiiPfSE_PS4_PT2_iSD_SD_.kd
    .uniform_work_group_size: 1
    .uses_dynamic_stack: false
    .vgpr_count:     140
    .vgpr_spill_count: 0
    .wavefront_size: 32
    .workgroup_processor_mode: 1
  - .args:
      - .actual_access:  read_only
        .address_space:  global
        .offset:         0
        .size:           8
        .value_kind:     global_buffer
      - .actual_access:  read_only
        .address_space:  global
        .offset:         8
        .size:           8
        .value_kind:     global_buffer
      - .actual_access:  read_only
        .address_space:  global
        .offset:         16
        .size:           8
        .value_kind:     global_buffer
      - .offset:         24
        .size:           4
        .value_kind:     by_value
      - .offset:         28
        .size:           4
        .value_kind:     by_value
      - .actual_access:  read_only
        .address_space:  global
        .offset:         32
        .size:           8
        .value_kind:     global_buffer
      - .actual_access:  read_only
        .address_space:  global
        .offset:         40
        .size:           8
        .value_kind:     global_buffer
      - .actual_access:  read_only
        .address_space:  global
        .offset:         48
        .size:           8
        .value_kind:     global_buffer
      - .offset:         56
        .size:           4
        .value_kind:     by_value
      - .actual_access:  read_only
        .address_space:  global
        .offset:         64
        .size:           8
        .value_kind:     global_buffer
      - .offset:         72
        .size:           4
        .value_kind:     by_value
      - .offset:         76
        .size:           4
        .value_kind:     by_value
      - .offset:         80
        .size:           4
        .value_kind:     by_value
      - .actual_access:  write_only
        .address_space:  global
        .offset:         88
        .size:           8
        .value_kind:     global_buffer
      - .actual_access:  write_only
        .address_space:  global
        .offset:         96
        .size:           8
        .value_kind:     global_buffer
      - .actual_access:  write_only
        .address_space:  global
        .offset:         104
        .size:           8
        .value_kind:     global_buffer
      - .actual_access:  read_only
        .address_space:  global
        .offset:         112
        .size:           8
        .value_kind:     global_buffer
      - .offset:         120
        .size:           4
        .value_kind:     by_value
      - .address_space:  global
        .offset:         128
        .size:           8
        .value_kind:     global_buffer
      - .address_space:  global
        .offset:         136
        .size:           8
        .value_kind:     global_buffer
      - .offset:         144
        .size:           4
        .value_kind:     hidden_block_count_x
      - .offset:         148
        .size:           4
        .value_kind:     hidden_block_count_y
      - .offset:         152
        .size:           4
        .value_kind:     hidden_block_count_z
      - .offset:         156
        .size:           2
        .value_kind:     hidden_group_size_x
      - .offset:         158
        .size:           2
        .value_kind:     hidden_group_size_y
      - .offset:         160
        .size:           2
        .value_kind:     hidden_group_size_z
      - .offset:         162
        .size:           2
        .value_kind:     hidden_remainder_x
      - .offset:         164
        .size:           2
        .value_kind:     hidden_remainder_y
      - .offset:         166
        .size:           2
        .value_kind:     hidden_remainder_z
      - .offset:         184
        .size:           8
        .value_kind:     hidden_global_offset_x
      - .offset:         192
        .size:           8
        .value_kind:     hidden_global_offset_y
      - .offset:         200
        .size:           8
        .value_kind:     hidden_global_offset_z
      - .offset:         208
        .size:           2
        .value_kind:     hidden_grid_dims
    .group_segment_fixed_size: 17472
    .kernarg_segment_align: 8
    .kernarg_segment_size: 400
    .language:       OpenCL C
    .language_version:
      - 2
      - 0
    .max_flat_workgroup_size: 256
    .name:           _Z39paged_attention_ll4mi_QKV_mfma16_kernelI14__hip_bfloat16hLN4vllm18Fp8KVCacheDataTypeE1ES0_Li16ELi128ELi256ELb0ELi6EL8MFMAType1EEvPKT_PKT0_S9_ifPKiSB_SB_iPKfiiiPfSE_PS4_PT2_iSD_SD_
    .private_segment_fixed_size: 0
    .sgpr_count:     38
    .sgpr_spill_count: 0
    .symbol:         _Z39paged_attention_ll4mi_QKV_mfma16_kernelI14__hip_bfloat16hLN4vllm18Fp8KVCacheDataTypeE1ES0_Li16ELi128ELi256ELb0ELi6EL8MFMAType1EEvPKT_PKT0_S9_ifPKiSB_SB_iPKfiiiPfSE_PS4_PT2_iSD_SD_.kd
    .uniform_work_group_size: 1
    .uses_dynamic_stack: false
    .vgpr_count:     140
    .vgpr_spill_count: 0
    .wavefront_size: 32
    .workgroup_processor_mode: 1
  - .args:
      - .actual_access:  read_only
        .address_space:  global
        .offset:         0
        .size:           8
        .value_kind:     global_buffer
      - .actual_access:  read_only
        .address_space:  global
        .offset:         8
        .size:           8
        .value_kind:     global_buffer
      - .actual_access:  read_only
        .address_space:  global
        .offset:         16
        .size:           8
        .value_kind:     global_buffer
      - .offset:         24
        .size:           4
        .value_kind:     by_value
      - .offset:         28
        .size:           4
        .value_kind:     by_value
      - .actual_access:  read_only
        .address_space:  global
        .offset:         32
        .size:           8
        .value_kind:     global_buffer
      - .actual_access:  read_only
        .address_space:  global
        .offset:         40
        .size:           8
        .value_kind:     global_buffer
      - .actual_access:  read_only
        .address_space:  global
        .offset:         48
        .size:           8
        .value_kind:     global_buffer
      - .offset:         56
        .size:           4
        .value_kind:     by_value
      - .actual_access:  read_only
        .address_space:  global
        .offset:         64
        .size:           8
        .value_kind:     global_buffer
      - .offset:         72
        .size:           4
        .value_kind:     by_value
      - .offset:         76
        .size:           4
        .value_kind:     by_value
      - .offset:         80
        .size:           4
        .value_kind:     by_value
      - .actual_access:  write_only
        .address_space:  global
        .offset:         88
        .size:           8
        .value_kind:     global_buffer
      - .actual_access:  write_only
        .address_space:  global
        .offset:         96
        .size:           8
        .value_kind:     global_buffer
      - .actual_access:  write_only
        .address_space:  global
        .offset:         104
        .size:           8
        .value_kind:     global_buffer
      - .actual_access:  read_only
        .address_space:  global
        .offset:         112
        .size:           8
        .value_kind:     global_buffer
      - .offset:         120
        .size:           4
        .value_kind:     by_value
      - .address_space:  global
        .offset:         128
        .size:           8
        .value_kind:     global_buffer
      - .address_space:  global
        .offset:         136
        .size:           8
        .value_kind:     global_buffer
      - .offset:         144
        .size:           4
        .value_kind:     hidden_block_count_x
      - .offset:         148
        .size:           4
        .value_kind:     hidden_block_count_y
      - .offset:         152
        .size:           4
        .value_kind:     hidden_block_count_z
      - .offset:         156
        .size:           2
        .value_kind:     hidden_group_size_x
      - .offset:         158
        .size:           2
        .value_kind:     hidden_group_size_y
      - .offset:         160
        .size:           2
        .value_kind:     hidden_group_size_z
      - .offset:         162
        .size:           2
        .value_kind:     hidden_remainder_x
      - .offset:         164
        .size:           2
        .value_kind:     hidden_remainder_y
      - .offset:         166
        .size:           2
        .value_kind:     hidden_remainder_z
      - .offset:         184
        .size:           8
        .value_kind:     hidden_global_offset_x
      - .offset:         192
        .size:           8
        .value_kind:     hidden_global_offset_y
      - .offset:         200
        .size:           8
        .value_kind:     hidden_global_offset_z
      - .offset:         208
        .size:           2
        .value_kind:     hidden_grid_dims
    .group_segment_fixed_size: 17472
    .kernarg_segment_align: 8
    .kernarg_segment_size: 400
    .language:       OpenCL C
    .language_version:
      - 2
      - 0
    .max_flat_workgroup_size: 256
    .name:           _Z39paged_attention_ll4mi_QKV_mfma16_kernelI14__hip_bfloat16hLN4vllm18Fp8KVCacheDataTypeE1ES0_Li16ELi128ELi256ELb0ELi7EL8MFMAType1EEvPKT_PKT0_S9_ifPKiSB_SB_iPKfiiiPfSE_PS4_PT2_iSD_SD_
    .private_segment_fixed_size: 0
    .sgpr_count:     38
    .sgpr_spill_count: 0
    .symbol:         _Z39paged_attention_ll4mi_QKV_mfma16_kernelI14__hip_bfloat16hLN4vllm18Fp8KVCacheDataTypeE1ES0_Li16ELi128ELi256ELb0ELi7EL8MFMAType1EEvPKT_PKT0_S9_ifPKiSB_SB_iPKfiiiPfSE_PS4_PT2_iSD_SD_.kd
    .uniform_work_group_size: 1
    .uses_dynamic_stack: false
    .vgpr_count:     140
    .vgpr_spill_count: 0
    .wavefront_size: 32
    .workgroup_processor_mode: 1
  - .args:
      - .actual_access:  read_only
        .address_space:  global
        .offset:         0
        .size:           8
        .value_kind:     global_buffer
      - .actual_access:  read_only
        .address_space:  global
        .offset:         8
        .size:           8
        .value_kind:     global_buffer
      - .actual_access:  read_only
        .address_space:  global
        .offset:         16
        .size:           8
        .value_kind:     global_buffer
      - .offset:         24
        .size:           4
        .value_kind:     by_value
      - .offset:         28
        .size:           4
        .value_kind:     by_value
      - .actual_access:  read_only
        .address_space:  global
        .offset:         32
        .size:           8
        .value_kind:     global_buffer
      - .actual_access:  read_only
        .address_space:  global
        .offset:         40
        .size:           8
        .value_kind:     global_buffer
      - .actual_access:  read_only
        .address_space:  global
        .offset:         48
        .size:           8
        .value_kind:     global_buffer
      - .offset:         56
        .size:           4
        .value_kind:     by_value
      - .actual_access:  read_only
        .address_space:  global
        .offset:         64
        .size:           8
        .value_kind:     global_buffer
      - .offset:         72
        .size:           4
        .value_kind:     by_value
      - .offset:         76
        .size:           4
        .value_kind:     by_value
      - .offset:         80
        .size:           4
        .value_kind:     by_value
      - .actual_access:  write_only
        .address_space:  global
        .offset:         88
        .size:           8
        .value_kind:     global_buffer
      - .actual_access:  write_only
        .address_space:  global
        .offset:         96
        .size:           8
        .value_kind:     global_buffer
      - .actual_access:  write_only
        .address_space:  global
        .offset:         104
        .size:           8
        .value_kind:     global_buffer
      - .actual_access:  read_only
        .address_space:  global
        .offset:         112
        .size:           8
        .value_kind:     global_buffer
      - .offset:         120
        .size:           4
        .value_kind:     by_value
      - .address_space:  global
        .offset:         128
        .size:           8
        .value_kind:     global_buffer
      - .address_space:  global
        .offset:         136
        .size:           8
        .value_kind:     global_buffer
      - .offset:         144
        .size:           4
        .value_kind:     hidden_block_count_x
      - .offset:         148
        .size:           4
        .value_kind:     hidden_block_count_y
      - .offset:         152
        .size:           4
        .value_kind:     hidden_block_count_z
      - .offset:         156
        .size:           2
        .value_kind:     hidden_group_size_x
      - .offset:         158
        .size:           2
        .value_kind:     hidden_group_size_y
      - .offset:         160
        .size:           2
        .value_kind:     hidden_group_size_z
      - .offset:         162
        .size:           2
        .value_kind:     hidden_remainder_x
      - .offset:         164
        .size:           2
        .value_kind:     hidden_remainder_y
      - .offset:         166
        .size:           2
        .value_kind:     hidden_remainder_z
      - .offset:         184
        .size:           8
        .value_kind:     hidden_global_offset_x
      - .offset:         192
        .size:           8
        .value_kind:     hidden_global_offset_y
      - .offset:         200
        .size:           8
        .value_kind:     hidden_global_offset_z
      - .offset:         208
        .size:           2
        .value_kind:     hidden_grid_dims
    .group_segment_fixed_size: 17472
    .kernarg_segment_align: 8
    .kernarg_segment_size: 400
    .language:       OpenCL C
    .language_version:
      - 2
      - 0
    .max_flat_workgroup_size: 256
    .name:           _Z39paged_attention_ll4mi_QKV_mfma16_kernelI14__hip_bfloat16hLN4vllm18Fp8KVCacheDataTypeE1ES0_Li16ELi128ELi256ELb0ELi8EL8MFMAType1EEvPKT_PKT0_S9_ifPKiSB_SB_iPKfiiiPfSE_PS4_PT2_iSD_SD_
    .private_segment_fixed_size: 0
    .sgpr_count:     38
    .sgpr_spill_count: 0
    .symbol:         _Z39paged_attention_ll4mi_QKV_mfma16_kernelI14__hip_bfloat16hLN4vllm18Fp8KVCacheDataTypeE1ES0_Li16ELi128ELi256ELb0ELi8EL8MFMAType1EEvPKT_PKT0_S9_ifPKiSB_SB_iPKfiiiPfSE_PS4_PT2_iSD_SD_.kd
    .uniform_work_group_size: 1
    .uses_dynamic_stack: false
    .vgpr_count:     140
    .vgpr_spill_count: 0
    .wavefront_size: 32
    .workgroup_processor_mode: 1
  - .args:
      - .actual_access:  read_only
        .address_space:  global
        .offset:         0
        .size:           8
        .value_kind:     global_buffer
      - .actual_access:  read_only
        .address_space:  global
        .offset:         8
        .size:           8
        .value_kind:     global_buffer
      - .actual_access:  read_only
        .address_space:  global
        .offset:         16
        .size:           8
        .value_kind:     global_buffer
      - .offset:         24
        .size:           4
        .value_kind:     by_value
      - .offset:         28
        .size:           4
        .value_kind:     by_value
      - .actual_access:  read_only
        .address_space:  global
        .offset:         32
        .size:           8
        .value_kind:     global_buffer
      - .actual_access:  read_only
        .address_space:  global
        .offset:         40
        .size:           8
        .value_kind:     global_buffer
      - .actual_access:  read_only
        .address_space:  global
        .offset:         48
        .size:           8
        .value_kind:     global_buffer
      - .offset:         56
        .size:           4
        .value_kind:     by_value
      - .actual_access:  read_only
        .address_space:  global
        .offset:         64
        .size:           8
        .value_kind:     global_buffer
      - .offset:         72
        .size:           4
        .value_kind:     by_value
      - .offset:         76
        .size:           4
        .value_kind:     by_value
      - .offset:         80
        .size:           4
        .value_kind:     by_value
      - .actual_access:  write_only
        .address_space:  global
        .offset:         88
        .size:           8
        .value_kind:     global_buffer
      - .actual_access:  write_only
        .address_space:  global
        .offset:         96
        .size:           8
        .value_kind:     global_buffer
      - .actual_access:  write_only
        .address_space:  global
        .offset:         104
        .size:           8
        .value_kind:     global_buffer
      - .actual_access:  read_only
        .address_space:  global
        .offset:         112
        .size:           8
        .value_kind:     global_buffer
      - .offset:         120
        .size:           4
        .value_kind:     by_value
      - .address_space:  global
        .offset:         128
        .size:           8
        .value_kind:     global_buffer
      - .address_space:  global
        .offset:         136
        .size:           8
        .value_kind:     global_buffer
      - .offset:         144
        .size:           4
        .value_kind:     hidden_block_count_x
      - .offset:         148
        .size:           4
        .value_kind:     hidden_block_count_y
      - .offset:         152
        .size:           4
        .value_kind:     hidden_block_count_z
      - .offset:         156
        .size:           2
        .value_kind:     hidden_group_size_x
      - .offset:         158
        .size:           2
        .value_kind:     hidden_group_size_y
      - .offset:         160
        .size:           2
        .value_kind:     hidden_group_size_z
      - .offset:         162
        .size:           2
        .value_kind:     hidden_remainder_x
      - .offset:         164
        .size:           2
        .value_kind:     hidden_remainder_y
      - .offset:         166
        .size:           2
        .value_kind:     hidden_remainder_z
      - .offset:         184
        .size:           8
        .value_kind:     hidden_global_offset_x
      - .offset:         192
        .size:           8
        .value_kind:     hidden_global_offset_y
      - .offset:         200
        .size:           8
        .value_kind:     hidden_global_offset_z
      - .offset:         208
        .size:           2
        .value_kind:     hidden_grid_dims
    .group_segment_fixed_size: 17472
    .kernarg_segment_align: 8
    .kernarg_segment_size: 400
    .language:       OpenCL C
    .language_version:
      - 2
      - 0
    .max_flat_workgroup_size: 256
    .name:           _Z39paged_attention_ll4mi_QKV_mfma16_kernelI14__hip_bfloat16hLN4vllm18Fp8KVCacheDataTypeE1ES0_Li16ELi128ELi256ELb0ELi9EL8MFMAType1EEvPKT_PKT0_S9_ifPKiSB_SB_iPKfiiiPfSE_PS4_PT2_iSD_SD_
    .private_segment_fixed_size: 0
    .sgpr_count:     38
    .sgpr_spill_count: 0
    .symbol:         _Z39paged_attention_ll4mi_QKV_mfma16_kernelI14__hip_bfloat16hLN4vllm18Fp8KVCacheDataTypeE1ES0_Li16ELi128ELi256ELb0ELi9EL8MFMAType1EEvPKT_PKT0_S9_ifPKiSB_SB_iPKfiiiPfSE_PS4_PT2_iSD_SD_.kd
    .uniform_work_group_size: 1
    .uses_dynamic_stack: false
    .vgpr_count:     140
    .vgpr_spill_count: 0
    .wavefront_size: 32
    .workgroup_processor_mode: 1
  - .args:
      - .actual_access:  read_only
        .address_space:  global
        .offset:         0
        .size:           8
        .value_kind:     global_buffer
      - .actual_access:  read_only
        .address_space:  global
        .offset:         8
        .size:           8
        .value_kind:     global_buffer
      - .actual_access:  read_only
        .address_space:  global
        .offset:         16
        .size:           8
        .value_kind:     global_buffer
      - .offset:         24
        .size:           4
        .value_kind:     by_value
      - .offset:         28
        .size:           4
        .value_kind:     by_value
      - .actual_access:  read_only
        .address_space:  global
        .offset:         32
        .size:           8
        .value_kind:     global_buffer
      - .actual_access:  read_only
        .address_space:  global
        .offset:         40
        .size:           8
        .value_kind:     global_buffer
      - .actual_access:  read_only
        .address_space:  global
        .offset:         48
        .size:           8
        .value_kind:     global_buffer
      - .offset:         56
        .size:           4
        .value_kind:     by_value
      - .actual_access:  read_only
        .address_space:  global
        .offset:         64
        .size:           8
        .value_kind:     global_buffer
      - .offset:         72
        .size:           4
        .value_kind:     by_value
      - .offset:         76
        .size:           4
        .value_kind:     by_value
      - .offset:         80
        .size:           4
        .value_kind:     by_value
      - .actual_access:  write_only
        .address_space:  global
        .offset:         88
        .size:           8
        .value_kind:     global_buffer
      - .actual_access:  write_only
        .address_space:  global
        .offset:         96
        .size:           8
        .value_kind:     global_buffer
      - .actual_access:  write_only
        .address_space:  global
        .offset:         104
        .size:           8
        .value_kind:     global_buffer
      - .actual_access:  read_only
        .address_space:  global
        .offset:         112
        .size:           8
        .value_kind:     global_buffer
      - .offset:         120
        .size:           4
        .value_kind:     by_value
      - .address_space:  global
        .offset:         128
        .size:           8
        .value_kind:     global_buffer
      - .address_space:  global
        .offset:         136
        .size:           8
        .value_kind:     global_buffer
      - .offset:         144
        .size:           4
        .value_kind:     hidden_block_count_x
      - .offset:         148
        .size:           4
        .value_kind:     hidden_block_count_y
      - .offset:         152
        .size:           4
        .value_kind:     hidden_block_count_z
      - .offset:         156
        .size:           2
        .value_kind:     hidden_group_size_x
      - .offset:         158
        .size:           2
        .value_kind:     hidden_group_size_y
      - .offset:         160
        .size:           2
        .value_kind:     hidden_group_size_z
      - .offset:         162
        .size:           2
        .value_kind:     hidden_remainder_x
      - .offset:         164
        .size:           2
        .value_kind:     hidden_remainder_y
      - .offset:         166
        .size:           2
        .value_kind:     hidden_remainder_z
      - .offset:         184
        .size:           8
        .value_kind:     hidden_global_offset_x
      - .offset:         192
        .size:           8
        .value_kind:     hidden_global_offset_y
      - .offset:         200
        .size:           8
        .value_kind:     hidden_global_offset_z
      - .offset:         208
        .size:           2
        .value_kind:     hidden_grid_dims
    .group_segment_fixed_size: 17472
    .kernarg_segment_align: 8
    .kernarg_segment_size: 400
    .language:       OpenCL C
    .language_version:
      - 2
      - 0
    .max_flat_workgroup_size: 256
    .name:           _Z39paged_attention_ll4mi_QKV_mfma16_kernelI14__hip_bfloat16hLN4vllm18Fp8KVCacheDataTypeE1ES0_Li16ELi128ELi256ELb0ELi10EL8MFMAType1EEvPKT_PKT0_S9_ifPKiSB_SB_iPKfiiiPfSE_PS4_PT2_iSD_SD_
    .private_segment_fixed_size: 0
    .sgpr_count:     38
    .sgpr_spill_count: 0
    .symbol:         _Z39paged_attention_ll4mi_QKV_mfma16_kernelI14__hip_bfloat16hLN4vllm18Fp8KVCacheDataTypeE1ES0_Li16ELi128ELi256ELb0ELi10EL8MFMAType1EEvPKT_PKT0_S9_ifPKiSB_SB_iPKfiiiPfSE_PS4_PT2_iSD_SD_.kd
    .uniform_work_group_size: 1
    .uses_dynamic_stack: false
    .vgpr_count:     140
    .vgpr_spill_count: 0
    .wavefront_size: 32
    .workgroup_processor_mode: 1
  - .args:
      - .actual_access:  read_only
        .address_space:  global
        .offset:         0
        .size:           8
        .value_kind:     global_buffer
      - .actual_access:  read_only
        .address_space:  global
        .offset:         8
        .size:           8
        .value_kind:     global_buffer
      - .actual_access:  read_only
        .address_space:  global
        .offset:         16
        .size:           8
        .value_kind:     global_buffer
      - .offset:         24
        .size:           4
        .value_kind:     by_value
      - .offset:         28
        .size:           4
        .value_kind:     by_value
      - .actual_access:  read_only
        .address_space:  global
        .offset:         32
        .size:           8
        .value_kind:     global_buffer
      - .actual_access:  read_only
        .address_space:  global
        .offset:         40
        .size:           8
        .value_kind:     global_buffer
      - .actual_access:  read_only
        .address_space:  global
        .offset:         48
        .size:           8
        .value_kind:     global_buffer
      - .offset:         56
        .size:           4
        .value_kind:     by_value
      - .actual_access:  read_only
        .address_space:  global
        .offset:         64
        .size:           8
        .value_kind:     global_buffer
      - .offset:         72
        .size:           4
        .value_kind:     by_value
      - .offset:         76
        .size:           4
        .value_kind:     by_value
      - .offset:         80
        .size:           4
        .value_kind:     by_value
      - .actual_access:  write_only
        .address_space:  global
        .offset:         88
        .size:           8
        .value_kind:     global_buffer
      - .actual_access:  write_only
        .address_space:  global
        .offset:         96
        .size:           8
        .value_kind:     global_buffer
      - .actual_access:  write_only
        .address_space:  global
        .offset:         104
        .size:           8
        .value_kind:     global_buffer
      - .actual_access:  read_only
        .address_space:  global
        .offset:         112
        .size:           8
        .value_kind:     global_buffer
      - .offset:         120
        .size:           4
        .value_kind:     by_value
      - .address_space:  global
        .offset:         128
        .size:           8
        .value_kind:     global_buffer
      - .address_space:  global
        .offset:         136
        .size:           8
        .value_kind:     global_buffer
      - .offset:         144
        .size:           4
        .value_kind:     hidden_block_count_x
      - .offset:         148
        .size:           4
        .value_kind:     hidden_block_count_y
      - .offset:         152
        .size:           4
        .value_kind:     hidden_block_count_z
      - .offset:         156
        .size:           2
        .value_kind:     hidden_group_size_x
      - .offset:         158
        .size:           2
        .value_kind:     hidden_group_size_y
      - .offset:         160
        .size:           2
        .value_kind:     hidden_group_size_z
      - .offset:         162
        .size:           2
        .value_kind:     hidden_remainder_x
      - .offset:         164
        .size:           2
        .value_kind:     hidden_remainder_y
      - .offset:         166
        .size:           2
        .value_kind:     hidden_remainder_z
      - .offset:         184
        .size:           8
        .value_kind:     hidden_global_offset_x
      - .offset:         192
        .size:           8
        .value_kind:     hidden_global_offset_y
      - .offset:         200
        .size:           8
        .value_kind:     hidden_global_offset_z
      - .offset:         208
        .size:           2
        .value_kind:     hidden_grid_dims
    .group_segment_fixed_size: 17472
    .kernarg_segment_align: 8
    .kernarg_segment_size: 400
    .language:       OpenCL C
    .language_version:
      - 2
      - 0
    .max_flat_workgroup_size: 256
    .name:           _Z39paged_attention_ll4mi_QKV_mfma16_kernelI14__hip_bfloat16hLN4vllm18Fp8KVCacheDataTypeE1ES0_Li16ELi128ELi256ELb0ELi11EL8MFMAType1EEvPKT_PKT0_S9_ifPKiSB_SB_iPKfiiiPfSE_PS4_PT2_iSD_SD_
    .private_segment_fixed_size: 0
    .sgpr_count:     38
    .sgpr_spill_count: 0
    .symbol:         _Z39paged_attention_ll4mi_QKV_mfma16_kernelI14__hip_bfloat16hLN4vllm18Fp8KVCacheDataTypeE1ES0_Li16ELi128ELi256ELb0ELi11EL8MFMAType1EEvPKT_PKT0_S9_ifPKiSB_SB_iPKfiiiPfSE_PS4_PT2_iSD_SD_.kd
    .uniform_work_group_size: 1
    .uses_dynamic_stack: false
    .vgpr_count:     140
    .vgpr_spill_count: 0
    .wavefront_size: 32
    .workgroup_processor_mode: 1
  - .args:
      - .actual_access:  read_only
        .address_space:  global
        .offset:         0
        .size:           8
        .value_kind:     global_buffer
      - .actual_access:  read_only
        .address_space:  global
        .offset:         8
        .size:           8
        .value_kind:     global_buffer
      - .actual_access:  read_only
        .address_space:  global
        .offset:         16
        .size:           8
        .value_kind:     global_buffer
      - .offset:         24
        .size:           4
        .value_kind:     by_value
      - .offset:         28
        .size:           4
        .value_kind:     by_value
      - .actual_access:  read_only
        .address_space:  global
        .offset:         32
        .size:           8
        .value_kind:     global_buffer
      - .actual_access:  read_only
        .address_space:  global
        .offset:         40
        .size:           8
        .value_kind:     global_buffer
      - .actual_access:  read_only
        .address_space:  global
        .offset:         48
        .size:           8
        .value_kind:     global_buffer
      - .offset:         56
        .size:           4
        .value_kind:     by_value
      - .actual_access:  read_only
        .address_space:  global
        .offset:         64
        .size:           8
        .value_kind:     global_buffer
      - .offset:         72
        .size:           4
        .value_kind:     by_value
      - .offset:         76
        .size:           4
        .value_kind:     by_value
      - .offset:         80
        .size:           4
        .value_kind:     by_value
      - .actual_access:  write_only
        .address_space:  global
        .offset:         88
        .size:           8
        .value_kind:     global_buffer
      - .actual_access:  write_only
        .address_space:  global
        .offset:         96
        .size:           8
        .value_kind:     global_buffer
      - .actual_access:  write_only
        .address_space:  global
        .offset:         104
        .size:           8
        .value_kind:     global_buffer
      - .actual_access:  read_only
        .address_space:  global
        .offset:         112
        .size:           8
        .value_kind:     global_buffer
      - .offset:         120
        .size:           4
        .value_kind:     by_value
      - .address_space:  global
        .offset:         128
        .size:           8
        .value_kind:     global_buffer
      - .address_space:  global
        .offset:         136
        .size:           8
        .value_kind:     global_buffer
      - .offset:         144
        .size:           4
        .value_kind:     hidden_block_count_x
      - .offset:         148
        .size:           4
        .value_kind:     hidden_block_count_y
      - .offset:         152
        .size:           4
        .value_kind:     hidden_block_count_z
      - .offset:         156
        .size:           2
        .value_kind:     hidden_group_size_x
      - .offset:         158
        .size:           2
        .value_kind:     hidden_group_size_y
      - .offset:         160
        .size:           2
        .value_kind:     hidden_group_size_z
      - .offset:         162
        .size:           2
        .value_kind:     hidden_remainder_x
      - .offset:         164
        .size:           2
        .value_kind:     hidden_remainder_y
      - .offset:         166
        .size:           2
        .value_kind:     hidden_remainder_z
      - .offset:         184
        .size:           8
        .value_kind:     hidden_global_offset_x
      - .offset:         192
        .size:           8
        .value_kind:     hidden_global_offset_y
      - .offset:         200
        .size:           8
        .value_kind:     hidden_global_offset_z
      - .offset:         208
        .size:           2
        .value_kind:     hidden_grid_dims
    .group_segment_fixed_size: 17472
    .kernarg_segment_align: 8
    .kernarg_segment_size: 400
    .language:       OpenCL C
    .language_version:
      - 2
      - 0
    .max_flat_workgroup_size: 256
    .name:           _Z39paged_attention_ll4mi_QKV_mfma16_kernelI14__hip_bfloat16hLN4vllm18Fp8KVCacheDataTypeE1ES0_Li16ELi128ELi256ELb0ELi12EL8MFMAType1EEvPKT_PKT0_S9_ifPKiSB_SB_iPKfiiiPfSE_PS4_PT2_iSD_SD_
    .private_segment_fixed_size: 0
    .sgpr_count:     38
    .sgpr_spill_count: 0
    .symbol:         _Z39paged_attention_ll4mi_QKV_mfma16_kernelI14__hip_bfloat16hLN4vllm18Fp8KVCacheDataTypeE1ES0_Li16ELi128ELi256ELb0ELi12EL8MFMAType1EEvPKT_PKT0_S9_ifPKiSB_SB_iPKfiiiPfSE_PS4_PT2_iSD_SD_.kd
    .uniform_work_group_size: 1
    .uses_dynamic_stack: false
    .vgpr_count:     140
    .vgpr_spill_count: 0
    .wavefront_size: 32
    .workgroup_processor_mode: 1
  - .args:
      - .actual_access:  read_only
        .address_space:  global
        .offset:         0
        .size:           8
        .value_kind:     global_buffer
      - .actual_access:  read_only
        .address_space:  global
        .offset:         8
        .size:           8
        .value_kind:     global_buffer
      - .actual_access:  read_only
        .address_space:  global
        .offset:         16
        .size:           8
        .value_kind:     global_buffer
      - .offset:         24
        .size:           4
        .value_kind:     by_value
      - .offset:         28
        .size:           4
        .value_kind:     by_value
      - .actual_access:  read_only
        .address_space:  global
        .offset:         32
        .size:           8
        .value_kind:     global_buffer
      - .actual_access:  read_only
        .address_space:  global
        .offset:         40
        .size:           8
        .value_kind:     global_buffer
      - .actual_access:  read_only
        .address_space:  global
        .offset:         48
        .size:           8
        .value_kind:     global_buffer
      - .offset:         56
        .size:           4
        .value_kind:     by_value
      - .actual_access:  read_only
        .address_space:  global
        .offset:         64
        .size:           8
        .value_kind:     global_buffer
      - .offset:         72
        .size:           4
        .value_kind:     by_value
      - .offset:         76
        .size:           4
        .value_kind:     by_value
      - .offset:         80
        .size:           4
        .value_kind:     by_value
      - .actual_access:  write_only
        .address_space:  global
        .offset:         88
        .size:           8
        .value_kind:     global_buffer
      - .actual_access:  write_only
        .address_space:  global
        .offset:         96
        .size:           8
        .value_kind:     global_buffer
      - .actual_access:  write_only
        .address_space:  global
        .offset:         104
        .size:           8
        .value_kind:     global_buffer
      - .actual_access:  read_only
        .address_space:  global
        .offset:         112
        .size:           8
        .value_kind:     global_buffer
      - .offset:         120
        .size:           4
        .value_kind:     by_value
      - .address_space:  global
        .offset:         128
        .size:           8
        .value_kind:     global_buffer
      - .address_space:  global
        .offset:         136
        .size:           8
        .value_kind:     global_buffer
      - .offset:         144
        .size:           4
        .value_kind:     hidden_block_count_x
      - .offset:         148
        .size:           4
        .value_kind:     hidden_block_count_y
      - .offset:         152
        .size:           4
        .value_kind:     hidden_block_count_z
      - .offset:         156
        .size:           2
        .value_kind:     hidden_group_size_x
      - .offset:         158
        .size:           2
        .value_kind:     hidden_group_size_y
      - .offset:         160
        .size:           2
        .value_kind:     hidden_group_size_z
      - .offset:         162
        .size:           2
        .value_kind:     hidden_remainder_x
      - .offset:         164
        .size:           2
        .value_kind:     hidden_remainder_y
      - .offset:         166
        .size:           2
        .value_kind:     hidden_remainder_z
      - .offset:         184
        .size:           8
        .value_kind:     hidden_global_offset_x
      - .offset:         192
        .size:           8
        .value_kind:     hidden_global_offset_y
      - .offset:         200
        .size:           8
        .value_kind:     hidden_global_offset_z
      - .offset:         208
        .size:           2
        .value_kind:     hidden_grid_dims
    .group_segment_fixed_size: 17472
    .kernarg_segment_align: 8
    .kernarg_segment_size: 400
    .language:       OpenCL C
    .language_version:
      - 2
      - 0
    .max_flat_workgroup_size: 256
    .name:           _Z39paged_attention_ll4mi_QKV_mfma16_kernelI14__hip_bfloat16hLN4vllm18Fp8KVCacheDataTypeE1ES0_Li16ELi128ELi256ELb0ELi13EL8MFMAType1EEvPKT_PKT0_S9_ifPKiSB_SB_iPKfiiiPfSE_PS4_PT2_iSD_SD_
    .private_segment_fixed_size: 0
    .sgpr_count:     38
    .sgpr_spill_count: 0
    .symbol:         _Z39paged_attention_ll4mi_QKV_mfma16_kernelI14__hip_bfloat16hLN4vllm18Fp8KVCacheDataTypeE1ES0_Li16ELi128ELi256ELb0ELi13EL8MFMAType1EEvPKT_PKT0_S9_ifPKiSB_SB_iPKfiiiPfSE_PS4_PT2_iSD_SD_.kd
    .uniform_work_group_size: 1
    .uses_dynamic_stack: false
    .vgpr_count:     140
    .vgpr_spill_count: 0
    .wavefront_size: 32
    .workgroup_processor_mode: 1
  - .args:
      - .actual_access:  read_only
        .address_space:  global
        .offset:         0
        .size:           8
        .value_kind:     global_buffer
      - .actual_access:  read_only
        .address_space:  global
        .offset:         8
        .size:           8
        .value_kind:     global_buffer
      - .actual_access:  read_only
        .address_space:  global
        .offset:         16
        .size:           8
        .value_kind:     global_buffer
      - .offset:         24
        .size:           4
        .value_kind:     by_value
      - .offset:         28
        .size:           4
        .value_kind:     by_value
      - .actual_access:  read_only
        .address_space:  global
        .offset:         32
        .size:           8
        .value_kind:     global_buffer
      - .actual_access:  read_only
        .address_space:  global
        .offset:         40
        .size:           8
        .value_kind:     global_buffer
      - .actual_access:  read_only
        .address_space:  global
        .offset:         48
        .size:           8
        .value_kind:     global_buffer
      - .offset:         56
        .size:           4
        .value_kind:     by_value
      - .actual_access:  read_only
        .address_space:  global
        .offset:         64
        .size:           8
        .value_kind:     global_buffer
      - .offset:         72
        .size:           4
        .value_kind:     by_value
      - .offset:         76
        .size:           4
        .value_kind:     by_value
      - .offset:         80
        .size:           4
        .value_kind:     by_value
      - .actual_access:  write_only
        .address_space:  global
        .offset:         88
        .size:           8
        .value_kind:     global_buffer
      - .actual_access:  write_only
        .address_space:  global
        .offset:         96
        .size:           8
        .value_kind:     global_buffer
      - .actual_access:  write_only
        .address_space:  global
        .offset:         104
        .size:           8
        .value_kind:     global_buffer
      - .actual_access:  read_only
        .address_space:  global
        .offset:         112
        .size:           8
        .value_kind:     global_buffer
      - .offset:         120
        .size:           4
        .value_kind:     by_value
      - .address_space:  global
        .offset:         128
        .size:           8
        .value_kind:     global_buffer
      - .address_space:  global
        .offset:         136
        .size:           8
        .value_kind:     global_buffer
      - .offset:         144
        .size:           4
        .value_kind:     hidden_block_count_x
      - .offset:         148
        .size:           4
        .value_kind:     hidden_block_count_y
      - .offset:         152
        .size:           4
        .value_kind:     hidden_block_count_z
      - .offset:         156
        .size:           2
        .value_kind:     hidden_group_size_x
      - .offset:         158
        .size:           2
        .value_kind:     hidden_group_size_y
      - .offset:         160
        .size:           2
        .value_kind:     hidden_group_size_z
      - .offset:         162
        .size:           2
        .value_kind:     hidden_remainder_x
      - .offset:         164
        .size:           2
        .value_kind:     hidden_remainder_y
      - .offset:         166
        .size:           2
        .value_kind:     hidden_remainder_z
      - .offset:         184
        .size:           8
        .value_kind:     hidden_global_offset_x
      - .offset:         192
        .size:           8
        .value_kind:     hidden_global_offset_y
      - .offset:         200
        .size:           8
        .value_kind:     hidden_global_offset_z
      - .offset:         208
        .size:           2
        .value_kind:     hidden_grid_dims
    .group_segment_fixed_size: 17472
    .kernarg_segment_align: 8
    .kernarg_segment_size: 400
    .language:       OpenCL C
    .language_version:
      - 2
      - 0
    .max_flat_workgroup_size: 256
    .name:           _Z39paged_attention_ll4mi_QKV_mfma16_kernelI14__hip_bfloat16hLN4vllm18Fp8KVCacheDataTypeE1ES0_Li16ELi128ELi256ELb0ELi14EL8MFMAType1EEvPKT_PKT0_S9_ifPKiSB_SB_iPKfiiiPfSE_PS4_PT2_iSD_SD_
    .private_segment_fixed_size: 0
    .sgpr_count:     38
    .sgpr_spill_count: 0
    .symbol:         _Z39paged_attention_ll4mi_QKV_mfma16_kernelI14__hip_bfloat16hLN4vllm18Fp8KVCacheDataTypeE1ES0_Li16ELi128ELi256ELb0ELi14EL8MFMAType1EEvPKT_PKT0_S9_ifPKiSB_SB_iPKfiiiPfSE_PS4_PT2_iSD_SD_.kd
    .uniform_work_group_size: 1
    .uses_dynamic_stack: false
    .vgpr_count:     140
    .vgpr_spill_count: 0
    .wavefront_size: 32
    .workgroup_processor_mode: 1
  - .args:
      - .actual_access:  read_only
        .address_space:  global
        .offset:         0
        .size:           8
        .value_kind:     global_buffer
      - .actual_access:  read_only
        .address_space:  global
        .offset:         8
        .size:           8
        .value_kind:     global_buffer
      - .actual_access:  read_only
        .address_space:  global
        .offset:         16
        .size:           8
        .value_kind:     global_buffer
      - .offset:         24
        .size:           4
        .value_kind:     by_value
      - .offset:         28
        .size:           4
        .value_kind:     by_value
      - .actual_access:  read_only
        .address_space:  global
        .offset:         32
        .size:           8
        .value_kind:     global_buffer
      - .actual_access:  read_only
        .address_space:  global
        .offset:         40
        .size:           8
        .value_kind:     global_buffer
      - .actual_access:  read_only
        .address_space:  global
        .offset:         48
        .size:           8
        .value_kind:     global_buffer
      - .offset:         56
        .size:           4
        .value_kind:     by_value
      - .actual_access:  read_only
        .address_space:  global
        .offset:         64
        .size:           8
        .value_kind:     global_buffer
      - .offset:         72
        .size:           4
        .value_kind:     by_value
      - .offset:         76
        .size:           4
        .value_kind:     by_value
      - .offset:         80
        .size:           4
        .value_kind:     by_value
      - .actual_access:  write_only
        .address_space:  global
        .offset:         88
        .size:           8
        .value_kind:     global_buffer
      - .actual_access:  write_only
        .address_space:  global
        .offset:         96
        .size:           8
        .value_kind:     global_buffer
      - .actual_access:  write_only
        .address_space:  global
        .offset:         104
        .size:           8
        .value_kind:     global_buffer
      - .actual_access:  read_only
        .address_space:  global
        .offset:         112
        .size:           8
        .value_kind:     global_buffer
      - .offset:         120
        .size:           4
        .value_kind:     by_value
      - .address_space:  global
        .offset:         128
        .size:           8
        .value_kind:     global_buffer
      - .address_space:  global
        .offset:         136
        .size:           8
        .value_kind:     global_buffer
      - .offset:         144
        .size:           4
        .value_kind:     hidden_block_count_x
      - .offset:         148
        .size:           4
        .value_kind:     hidden_block_count_y
      - .offset:         152
        .size:           4
        .value_kind:     hidden_block_count_z
      - .offset:         156
        .size:           2
        .value_kind:     hidden_group_size_x
      - .offset:         158
        .size:           2
        .value_kind:     hidden_group_size_y
      - .offset:         160
        .size:           2
        .value_kind:     hidden_group_size_z
      - .offset:         162
        .size:           2
        .value_kind:     hidden_remainder_x
      - .offset:         164
        .size:           2
        .value_kind:     hidden_remainder_y
      - .offset:         166
        .size:           2
        .value_kind:     hidden_remainder_z
      - .offset:         184
        .size:           8
        .value_kind:     hidden_global_offset_x
      - .offset:         192
        .size:           8
        .value_kind:     hidden_global_offset_y
      - .offset:         200
        .size:           8
        .value_kind:     hidden_global_offset_z
      - .offset:         208
        .size:           2
        .value_kind:     hidden_grid_dims
    .group_segment_fixed_size: 17472
    .kernarg_segment_align: 8
    .kernarg_segment_size: 400
    .language:       OpenCL C
    .language_version:
      - 2
      - 0
    .max_flat_workgroup_size: 256
    .name:           _Z39paged_attention_ll4mi_QKV_mfma16_kernelI14__hip_bfloat16hLN4vllm18Fp8KVCacheDataTypeE1ES0_Li16ELi128ELi256ELb0ELi15EL8MFMAType1EEvPKT_PKT0_S9_ifPKiSB_SB_iPKfiiiPfSE_PS4_PT2_iSD_SD_
    .private_segment_fixed_size: 0
    .sgpr_count:     38
    .sgpr_spill_count: 0
    .symbol:         _Z39paged_attention_ll4mi_QKV_mfma16_kernelI14__hip_bfloat16hLN4vllm18Fp8KVCacheDataTypeE1ES0_Li16ELi128ELi256ELb0ELi15EL8MFMAType1EEvPKT_PKT0_S9_ifPKiSB_SB_iPKfiiiPfSE_PS4_PT2_iSD_SD_.kd
    .uniform_work_group_size: 1
    .uses_dynamic_stack: false
    .vgpr_count:     140
    .vgpr_spill_count: 0
    .wavefront_size: 32
    .workgroup_processor_mode: 1
  - .args:
      - .actual_access:  read_only
        .address_space:  global
        .offset:         0
        .size:           8
        .value_kind:     global_buffer
      - .actual_access:  read_only
        .address_space:  global
        .offset:         8
        .size:           8
        .value_kind:     global_buffer
      - .actual_access:  read_only
        .address_space:  global
        .offset:         16
        .size:           8
        .value_kind:     global_buffer
      - .offset:         24
        .size:           4
        .value_kind:     by_value
      - .offset:         28
        .size:           4
        .value_kind:     by_value
      - .actual_access:  read_only
        .address_space:  global
        .offset:         32
        .size:           8
        .value_kind:     global_buffer
      - .actual_access:  read_only
        .address_space:  global
        .offset:         40
        .size:           8
        .value_kind:     global_buffer
      - .actual_access:  read_only
        .address_space:  global
        .offset:         48
        .size:           8
        .value_kind:     global_buffer
      - .offset:         56
        .size:           4
        .value_kind:     by_value
      - .actual_access:  read_only
        .address_space:  global
        .offset:         64
        .size:           8
        .value_kind:     global_buffer
      - .offset:         72
        .size:           4
        .value_kind:     by_value
      - .offset:         76
        .size:           4
        .value_kind:     by_value
      - .offset:         80
        .size:           4
        .value_kind:     by_value
      - .actual_access:  write_only
        .address_space:  global
        .offset:         88
        .size:           8
        .value_kind:     global_buffer
      - .actual_access:  write_only
        .address_space:  global
        .offset:         96
        .size:           8
        .value_kind:     global_buffer
      - .actual_access:  write_only
        .address_space:  global
        .offset:         104
        .size:           8
        .value_kind:     global_buffer
      - .actual_access:  read_only
        .address_space:  global
        .offset:         112
        .size:           8
        .value_kind:     global_buffer
      - .offset:         120
        .size:           4
        .value_kind:     by_value
      - .address_space:  global
        .offset:         128
        .size:           8
        .value_kind:     global_buffer
      - .address_space:  global
        .offset:         136
        .size:           8
        .value_kind:     global_buffer
      - .offset:         144
        .size:           4
        .value_kind:     hidden_block_count_x
      - .offset:         148
        .size:           4
        .value_kind:     hidden_block_count_y
      - .offset:         152
        .size:           4
        .value_kind:     hidden_block_count_z
      - .offset:         156
        .size:           2
        .value_kind:     hidden_group_size_x
      - .offset:         158
        .size:           2
        .value_kind:     hidden_group_size_y
      - .offset:         160
        .size:           2
        .value_kind:     hidden_group_size_z
      - .offset:         162
        .size:           2
        .value_kind:     hidden_remainder_x
      - .offset:         164
        .size:           2
        .value_kind:     hidden_remainder_y
      - .offset:         166
        .size:           2
        .value_kind:     hidden_remainder_z
      - .offset:         184
        .size:           8
        .value_kind:     hidden_global_offset_x
      - .offset:         192
        .size:           8
        .value_kind:     hidden_global_offset_y
      - .offset:         200
        .size:           8
        .value_kind:     hidden_global_offset_z
      - .offset:         208
        .size:           2
        .value_kind:     hidden_grid_dims
    .group_segment_fixed_size: 17472
    .kernarg_segment_align: 8
    .kernarg_segment_size: 400
    .language:       OpenCL C
    .language_version:
      - 2
      - 0
    .max_flat_workgroup_size: 256
    .name:           _Z39paged_attention_ll4mi_QKV_mfma16_kernelI14__hip_bfloat16hLN4vllm18Fp8KVCacheDataTypeE1ES0_Li16ELi128ELi256ELb0ELi16EL8MFMAType1EEvPKT_PKT0_S9_ifPKiSB_SB_iPKfiiiPfSE_PS4_PT2_iSD_SD_
    .private_segment_fixed_size: 0
    .sgpr_count:     38
    .sgpr_spill_count: 0
    .symbol:         _Z39paged_attention_ll4mi_QKV_mfma16_kernelI14__hip_bfloat16hLN4vllm18Fp8KVCacheDataTypeE1ES0_Li16ELi128ELi256ELb0ELi16EL8MFMAType1EEvPKT_PKT0_S9_ifPKiSB_SB_iPKfiiiPfSE_PS4_PT2_iSD_SD_.kd
    .uniform_work_group_size: 1
    .uses_dynamic_stack: false
    .vgpr_count:     141
    .vgpr_spill_count: 0
    .wavefront_size: 32
    .workgroup_processor_mode: 1
  - .args:
      - .actual_access:  read_only
        .address_space:  global
        .offset:         0
        .size:           8
        .value_kind:     global_buffer
      - .actual_access:  read_only
        .address_space:  global
        .offset:         8
        .size:           8
        .value_kind:     global_buffer
      - .actual_access:  read_only
        .address_space:  global
        .offset:         16
        .size:           8
        .value_kind:     global_buffer
      - .offset:         24
        .size:           4
        .value_kind:     by_value
      - .offset:         28
        .size:           4
        .value_kind:     by_value
      - .actual_access:  read_only
        .address_space:  global
        .offset:         32
        .size:           8
        .value_kind:     global_buffer
      - .actual_access:  read_only
        .address_space:  global
        .offset:         40
        .size:           8
        .value_kind:     global_buffer
      - .actual_access:  read_only
        .address_space:  global
        .offset:         48
        .size:           8
        .value_kind:     global_buffer
      - .offset:         56
        .size:           4
        .value_kind:     by_value
      - .actual_access:  read_only
        .address_space:  global
        .offset:         64
        .size:           8
        .value_kind:     global_buffer
      - .offset:         72
        .size:           4
        .value_kind:     by_value
      - .offset:         76
        .size:           4
        .value_kind:     by_value
      - .offset:         80
        .size:           4
        .value_kind:     by_value
      - .actual_access:  write_only
        .address_space:  global
        .offset:         88
        .size:           8
        .value_kind:     global_buffer
      - .actual_access:  write_only
        .address_space:  global
        .offset:         96
        .size:           8
        .value_kind:     global_buffer
      - .actual_access:  write_only
        .address_space:  global
        .offset:         104
        .size:           8
        .value_kind:     global_buffer
      - .actual_access:  read_only
        .address_space:  global
        .offset:         112
        .size:           8
        .value_kind:     global_buffer
      - .offset:         120
        .size:           4
        .value_kind:     by_value
      - .address_space:  global
        .offset:         128
        .size:           8
        .value_kind:     global_buffer
      - .address_space:  global
        .offset:         136
        .size:           8
        .value_kind:     global_buffer
      - .offset:         144
        .size:           4
        .value_kind:     hidden_block_count_x
      - .offset:         148
        .size:           4
        .value_kind:     hidden_block_count_y
      - .offset:         152
        .size:           4
        .value_kind:     hidden_block_count_z
      - .offset:         156
        .size:           2
        .value_kind:     hidden_group_size_x
      - .offset:         158
        .size:           2
        .value_kind:     hidden_group_size_y
      - .offset:         160
        .size:           2
        .value_kind:     hidden_group_size_z
      - .offset:         162
        .size:           2
        .value_kind:     hidden_remainder_x
      - .offset:         164
        .size:           2
        .value_kind:     hidden_remainder_y
      - .offset:         166
        .size:           2
        .value_kind:     hidden_remainder_z
      - .offset:         184
        .size:           8
        .value_kind:     hidden_global_offset_x
      - .offset:         192
        .size:           8
        .value_kind:     hidden_global_offset_y
      - .offset:         200
        .size:           8
        .value_kind:     hidden_global_offset_z
      - .offset:         208
        .size:           2
        .value_kind:     hidden_grid_dims
    .group_segment_fixed_size: 17472
    .kernarg_segment_align: 8
    .kernarg_segment_size: 400
    .language:       OpenCL C
    .language_version:
      - 2
      - 0
    .max_flat_workgroup_size: 256
    .name:           _Z39paged_attention_ll4mi_QKV_mfma16_kernelI14__hip_bfloat16hLN4vllm18Fp8KVCacheDataTypeE1ES0_Li16ELi128ELi256ELb0ELi1EL8MFMAType1EEvPKT_PKT0_S9_ifPKiSB_SB_iPKfiiiPfSE_PS4_PT2_iSD_SD_
    .private_segment_fixed_size: 0
    .sgpr_count:     68
    .sgpr_spill_count: 0
    .symbol:         _Z39paged_attention_ll4mi_QKV_mfma16_kernelI14__hip_bfloat16hLN4vllm18Fp8KVCacheDataTypeE1ES0_Li16ELi128ELi256ELb0ELi1EL8MFMAType1EEvPKT_PKT0_S9_ifPKiSB_SB_iPKfiiiPfSE_PS4_PT2_iSD_SD_.kd
    .uniform_work_group_size: 1
    .uses_dynamic_stack: false
    .vgpr_count:     138
    .vgpr_spill_count: 0
    .wavefront_size: 32
    .workgroup_processor_mode: 1
  - .args:
      - .actual_access:  read_only
        .address_space:  global
        .offset:         0
        .size:           8
        .value_kind:     global_buffer
      - .actual_access:  read_only
        .address_space:  global
        .offset:         8
        .size:           8
        .value_kind:     global_buffer
      - .actual_access:  read_only
        .address_space:  global
        .offset:         16
        .size:           8
        .value_kind:     global_buffer
      - .offset:         24
        .size:           4
        .value_kind:     by_value
      - .offset:         28
        .size:           4
        .value_kind:     by_value
      - .actual_access:  read_only
        .address_space:  global
        .offset:         32
        .size:           8
        .value_kind:     global_buffer
      - .actual_access:  read_only
        .address_space:  global
        .offset:         40
        .size:           8
        .value_kind:     global_buffer
      - .actual_access:  read_only
        .address_space:  global
        .offset:         48
        .size:           8
        .value_kind:     global_buffer
      - .offset:         56
        .size:           4
        .value_kind:     by_value
      - .actual_access:  read_only
        .address_space:  global
        .offset:         64
        .size:           8
        .value_kind:     global_buffer
      - .offset:         72
        .size:           4
        .value_kind:     by_value
      - .offset:         76
        .size:           4
        .value_kind:     by_value
      - .offset:         80
        .size:           4
        .value_kind:     by_value
      - .actual_access:  write_only
        .address_space:  global
        .offset:         88
        .size:           8
        .value_kind:     global_buffer
      - .actual_access:  write_only
        .address_space:  global
        .offset:         96
        .size:           8
        .value_kind:     global_buffer
      - .actual_access:  write_only
        .address_space:  global
        .offset:         104
        .size:           8
        .value_kind:     global_buffer
      - .actual_access:  read_only
        .address_space:  global
        .offset:         112
        .size:           8
        .value_kind:     global_buffer
      - .offset:         120
        .size:           4
        .value_kind:     by_value
      - .address_space:  global
        .offset:         128
        .size:           8
        .value_kind:     global_buffer
      - .address_space:  global
        .offset:         136
        .size:           8
        .value_kind:     global_buffer
      - .offset:         144
        .size:           4
        .value_kind:     hidden_block_count_x
      - .offset:         148
        .size:           4
        .value_kind:     hidden_block_count_y
      - .offset:         152
        .size:           4
        .value_kind:     hidden_block_count_z
      - .offset:         156
        .size:           2
        .value_kind:     hidden_group_size_x
      - .offset:         158
        .size:           2
        .value_kind:     hidden_group_size_y
      - .offset:         160
        .size:           2
        .value_kind:     hidden_group_size_z
      - .offset:         162
        .size:           2
        .value_kind:     hidden_remainder_x
      - .offset:         164
        .size:           2
        .value_kind:     hidden_remainder_y
      - .offset:         166
        .size:           2
        .value_kind:     hidden_remainder_z
      - .offset:         184
        .size:           8
        .value_kind:     hidden_global_offset_x
      - .offset:         192
        .size:           8
        .value_kind:     hidden_global_offset_y
      - .offset:         200
        .size:           8
        .value_kind:     hidden_global_offset_z
      - .offset:         208
        .size:           2
        .value_kind:     hidden_grid_dims
    .group_segment_fixed_size: 17472
    .kernarg_segment_align: 8
    .kernarg_segment_size: 400
    .language:       OpenCL C
    .language_version:
      - 2
      - 0
    .max_flat_workgroup_size: 256
    .name:           _Z39paged_attention_ll4mi_QKV_mfma16_kernelI14__hip_bfloat16hLN4vllm18Fp8KVCacheDataTypeE1ES0_Li16ELi128ELi256ELb0ELi2EL8MFMAType1EEvPKT_PKT0_S9_ifPKiSB_SB_iPKfiiiPfSE_PS4_PT2_iSD_SD_
    .private_segment_fixed_size: 0
    .sgpr_count:     38
    .sgpr_spill_count: 0
    .symbol:         _Z39paged_attention_ll4mi_QKV_mfma16_kernelI14__hip_bfloat16hLN4vllm18Fp8KVCacheDataTypeE1ES0_Li16ELi128ELi256ELb0ELi2EL8MFMAType1EEvPKT_PKT0_S9_ifPKiSB_SB_iPKfiiiPfSE_PS4_PT2_iSD_SD_.kd
    .uniform_work_group_size: 1
    .uses_dynamic_stack: false
    .vgpr_count:     138
    .vgpr_spill_count: 0
    .wavefront_size: 32
    .workgroup_processor_mode: 1
  - .args:
      - .actual_access:  read_only
        .address_space:  global
        .offset:         0
        .size:           8
        .value_kind:     global_buffer
      - .actual_access:  read_only
        .address_space:  global
        .offset:         8
        .size:           8
        .value_kind:     global_buffer
      - .actual_access:  read_only
        .address_space:  global
        .offset:         16
        .size:           8
        .value_kind:     global_buffer
      - .offset:         24
        .size:           4
        .value_kind:     by_value
      - .offset:         28
        .size:           4
        .value_kind:     by_value
      - .actual_access:  read_only
        .address_space:  global
        .offset:         32
        .size:           8
        .value_kind:     global_buffer
      - .actual_access:  read_only
        .address_space:  global
        .offset:         40
        .size:           8
        .value_kind:     global_buffer
      - .actual_access:  read_only
        .address_space:  global
        .offset:         48
        .size:           8
        .value_kind:     global_buffer
      - .offset:         56
        .size:           4
        .value_kind:     by_value
      - .actual_access:  read_only
        .address_space:  global
        .offset:         64
        .size:           8
        .value_kind:     global_buffer
      - .offset:         72
        .size:           4
        .value_kind:     by_value
      - .offset:         76
        .size:           4
        .value_kind:     by_value
      - .offset:         80
        .size:           4
        .value_kind:     by_value
      - .actual_access:  write_only
        .address_space:  global
        .offset:         88
        .size:           8
        .value_kind:     global_buffer
      - .actual_access:  write_only
        .address_space:  global
        .offset:         96
        .size:           8
        .value_kind:     global_buffer
      - .actual_access:  write_only
        .address_space:  global
        .offset:         104
        .size:           8
        .value_kind:     global_buffer
      - .actual_access:  read_only
        .address_space:  global
        .offset:         112
        .size:           8
        .value_kind:     global_buffer
      - .offset:         120
        .size:           4
        .value_kind:     by_value
      - .address_space:  global
        .offset:         128
        .size:           8
        .value_kind:     global_buffer
      - .address_space:  global
        .offset:         136
        .size:           8
        .value_kind:     global_buffer
      - .offset:         144
        .size:           4
        .value_kind:     hidden_block_count_x
      - .offset:         148
        .size:           4
        .value_kind:     hidden_block_count_y
      - .offset:         152
        .size:           4
        .value_kind:     hidden_block_count_z
      - .offset:         156
        .size:           2
        .value_kind:     hidden_group_size_x
      - .offset:         158
        .size:           2
        .value_kind:     hidden_group_size_y
      - .offset:         160
        .size:           2
        .value_kind:     hidden_group_size_z
      - .offset:         162
        .size:           2
        .value_kind:     hidden_remainder_x
      - .offset:         164
        .size:           2
        .value_kind:     hidden_remainder_y
      - .offset:         166
        .size:           2
        .value_kind:     hidden_remainder_z
      - .offset:         184
        .size:           8
        .value_kind:     hidden_global_offset_x
      - .offset:         192
        .size:           8
        .value_kind:     hidden_global_offset_y
      - .offset:         200
        .size:           8
        .value_kind:     hidden_global_offset_z
      - .offset:         208
        .size:           2
        .value_kind:     hidden_grid_dims
    .group_segment_fixed_size: 17472
    .kernarg_segment_align: 8
    .kernarg_segment_size: 400
    .language:       OpenCL C
    .language_version:
      - 2
      - 0
    .max_flat_workgroup_size: 256
    .name:           _Z39paged_attention_ll4mi_QKV_mfma16_kernelI14__hip_bfloat16hLN4vllm18Fp8KVCacheDataTypeE1ES0_Li16ELi128ELi256ELb0ELi3EL8MFMAType1EEvPKT_PKT0_S9_ifPKiSB_SB_iPKfiiiPfSE_PS4_PT2_iSD_SD_
    .private_segment_fixed_size: 0
    .sgpr_count:     38
    .sgpr_spill_count: 0
    .symbol:         _Z39paged_attention_ll4mi_QKV_mfma16_kernelI14__hip_bfloat16hLN4vllm18Fp8KVCacheDataTypeE1ES0_Li16ELi128ELi256ELb0ELi3EL8MFMAType1EEvPKT_PKT0_S9_ifPKiSB_SB_iPKfiiiPfSE_PS4_PT2_iSD_SD_.kd
    .uniform_work_group_size: 1
    .uses_dynamic_stack: false
    .vgpr_count:     140
    .vgpr_spill_count: 0
    .wavefront_size: 32
    .workgroup_processor_mode: 1
  - .args:
      - .actual_access:  read_only
        .address_space:  global
        .offset:         0
        .size:           8
        .value_kind:     global_buffer
      - .actual_access:  read_only
        .address_space:  global
        .offset:         8
        .size:           8
        .value_kind:     global_buffer
      - .actual_access:  read_only
        .address_space:  global
        .offset:         16
        .size:           8
        .value_kind:     global_buffer
      - .offset:         24
        .size:           4
        .value_kind:     by_value
      - .offset:         28
        .size:           4
        .value_kind:     by_value
      - .actual_access:  read_only
        .address_space:  global
        .offset:         32
        .size:           8
        .value_kind:     global_buffer
      - .actual_access:  read_only
        .address_space:  global
        .offset:         40
        .size:           8
        .value_kind:     global_buffer
      - .actual_access:  read_only
        .address_space:  global
        .offset:         48
        .size:           8
        .value_kind:     global_buffer
      - .offset:         56
        .size:           4
        .value_kind:     by_value
      - .actual_access:  read_only
        .address_space:  global
        .offset:         64
        .size:           8
        .value_kind:     global_buffer
      - .offset:         72
        .size:           4
        .value_kind:     by_value
      - .offset:         76
        .size:           4
        .value_kind:     by_value
      - .offset:         80
        .size:           4
        .value_kind:     by_value
      - .actual_access:  write_only
        .address_space:  global
        .offset:         88
        .size:           8
        .value_kind:     global_buffer
      - .actual_access:  write_only
        .address_space:  global
        .offset:         96
        .size:           8
        .value_kind:     global_buffer
      - .actual_access:  write_only
        .address_space:  global
        .offset:         104
        .size:           8
        .value_kind:     global_buffer
      - .actual_access:  read_only
        .address_space:  global
        .offset:         112
        .size:           8
        .value_kind:     global_buffer
      - .offset:         120
        .size:           4
        .value_kind:     by_value
      - .address_space:  global
        .offset:         128
        .size:           8
        .value_kind:     global_buffer
      - .address_space:  global
        .offset:         136
        .size:           8
        .value_kind:     global_buffer
      - .offset:         144
        .size:           4
        .value_kind:     hidden_block_count_x
      - .offset:         148
        .size:           4
        .value_kind:     hidden_block_count_y
      - .offset:         152
        .size:           4
        .value_kind:     hidden_block_count_z
      - .offset:         156
        .size:           2
        .value_kind:     hidden_group_size_x
      - .offset:         158
        .size:           2
        .value_kind:     hidden_group_size_y
      - .offset:         160
        .size:           2
        .value_kind:     hidden_group_size_z
      - .offset:         162
        .size:           2
        .value_kind:     hidden_remainder_x
      - .offset:         164
        .size:           2
        .value_kind:     hidden_remainder_y
      - .offset:         166
        .size:           2
        .value_kind:     hidden_remainder_z
      - .offset:         184
        .size:           8
        .value_kind:     hidden_global_offset_x
      - .offset:         192
        .size:           8
        .value_kind:     hidden_global_offset_y
      - .offset:         200
        .size:           8
        .value_kind:     hidden_global_offset_z
      - .offset:         208
        .size:           2
        .value_kind:     hidden_grid_dims
    .group_segment_fixed_size: 17472
    .kernarg_segment_align: 8
    .kernarg_segment_size: 400
    .language:       OpenCL C
    .language_version:
      - 2
      - 0
    .max_flat_workgroup_size: 256
    .name:           _Z39paged_attention_ll4mi_QKV_mfma16_kernelI14__hip_bfloat16hLN4vllm18Fp8KVCacheDataTypeE1ES0_Li16ELi128ELi256ELb0ELi4EL8MFMAType1EEvPKT_PKT0_S9_ifPKiSB_SB_iPKfiiiPfSE_PS4_PT2_iSD_SD_
    .private_segment_fixed_size: 0
    .sgpr_count:     38
    .sgpr_spill_count: 0
    .symbol:         _Z39paged_attention_ll4mi_QKV_mfma16_kernelI14__hip_bfloat16hLN4vllm18Fp8KVCacheDataTypeE1ES0_Li16ELi128ELi256ELb0ELi4EL8MFMAType1EEvPKT_PKT0_S9_ifPKiSB_SB_iPKfiiiPfSE_PS4_PT2_iSD_SD_.kd
    .uniform_work_group_size: 1
    .uses_dynamic_stack: false
    .vgpr_count:     140
    .vgpr_spill_count: 0
    .wavefront_size: 32
    .workgroup_processor_mode: 1
  - .args:
      - .actual_access:  read_only
        .address_space:  global
        .offset:         0
        .size:           8
        .value_kind:     global_buffer
      - .actual_access:  read_only
        .address_space:  global
        .offset:         8
        .size:           8
        .value_kind:     global_buffer
      - .actual_access:  read_only
        .address_space:  global
        .offset:         16
        .size:           8
        .value_kind:     global_buffer
      - .offset:         24
        .size:           4
        .value_kind:     by_value
      - .offset:         28
        .size:           4
        .value_kind:     by_value
      - .actual_access:  read_only
        .address_space:  global
        .offset:         32
        .size:           8
        .value_kind:     global_buffer
      - .actual_access:  read_only
        .address_space:  global
        .offset:         40
        .size:           8
        .value_kind:     global_buffer
      - .actual_access:  read_only
        .address_space:  global
        .offset:         48
        .size:           8
        .value_kind:     global_buffer
      - .offset:         56
        .size:           4
        .value_kind:     by_value
      - .actual_access:  read_only
        .address_space:  global
        .offset:         64
        .size:           8
        .value_kind:     global_buffer
      - .offset:         72
        .size:           4
        .value_kind:     by_value
      - .offset:         76
        .size:           4
        .value_kind:     by_value
      - .offset:         80
        .size:           4
        .value_kind:     by_value
      - .actual_access:  read_only
        .address_space:  global
        .offset:         88
        .size:           8
        .value_kind:     global_buffer
      - .actual_access:  read_only
        .address_space:  global
        .offset:         96
        .size:           8
        .value_kind:     global_buffer
      - .actual_access:  read_only
        .address_space:  global
        .offset:         104
        .size:           8
        .value_kind:     global_buffer
      - .actual_access:  read_only
        .address_space:  global
        .offset:         112
        .size:           8
        .value_kind:     global_buffer
      - .offset:         120
        .size:           4
        .value_kind:     by_value
      - .address_space:  global
        .offset:         128
        .size:           8
        .value_kind:     global_buffer
      - .address_space:  global
        .offset:         136
        .size:           8
        .value_kind:     global_buffer
      - .offset:         144
        .size:           4
        .value_kind:     hidden_block_count_x
      - .offset:         148
        .size:           4
        .value_kind:     hidden_block_count_y
      - .offset:         152
        .size:           4
        .value_kind:     hidden_block_count_z
      - .offset:         156
        .size:           2
        .value_kind:     hidden_group_size_x
      - .offset:         158
        .size:           2
        .value_kind:     hidden_group_size_y
      - .offset:         160
        .size:           2
        .value_kind:     hidden_group_size_z
      - .offset:         162
        .size:           2
        .value_kind:     hidden_remainder_x
      - .offset:         164
        .size:           2
        .value_kind:     hidden_remainder_y
      - .offset:         166
        .size:           2
        .value_kind:     hidden_remainder_z
      - .offset:         184
        .size:           8
        .value_kind:     hidden_global_offset_x
      - .offset:         192
        .size:           8
        .value_kind:     hidden_global_offset_y
      - .offset:         200
        .size:           8
        .value_kind:     hidden_global_offset_z
      - .offset:         208
        .size:           2
        .value_kind:     hidden_grid_dims
      - .offset:         224
        .size:           8
        .value_kind:     hidden_hostcall_buffer
    .group_segment_fixed_size: 0
    .kernarg_segment_align: 8
    .kernarg_segment_size: 400
    .language:       OpenCL C
    .language_version:
      - 2
      - 0
    .max_flat_workgroup_size: 256
    .name:           _Z38paged_attention_ll4mi_QKV_mfma4_kernelI14__hip_bfloat16hLN4vllm18Fp8KVCacheDataTypeE1EhLi32ELi128ELi256ELb1ELi1EEvPKT_PKT0_S8_ifPKiSA_SA_iPKfiiiPfSD_PS3_PT2_iSC_SC_
    .private_segment_fixed_size: 64
    .sgpr_count:     36
    .sgpr_spill_count: 0
    .symbol:         _Z38paged_attention_ll4mi_QKV_mfma4_kernelI14__hip_bfloat16hLN4vllm18Fp8KVCacheDataTypeE1EhLi32ELi128ELi256ELb1ELi1EEvPKT_PKT0_S8_ifPKiSA_SA_iPKfiiiPfSD_PS3_PT2_iSC_SC_.kd
    .uniform_work_group_size: 1
    .uses_dynamic_stack: false
    .vgpr_count:     41
    .vgpr_spill_count: 0
    .wavefront_size: 32
    .workgroup_processor_mode: 1
  - .args:
      - .actual_access:  read_only
        .address_space:  global
        .offset:         0
        .size:           8
        .value_kind:     global_buffer
      - .actual_access:  read_only
        .address_space:  global
        .offset:         8
        .size:           8
        .value_kind:     global_buffer
      - .actual_access:  read_only
        .address_space:  global
        .offset:         16
        .size:           8
        .value_kind:     global_buffer
      - .offset:         24
        .size:           4
        .value_kind:     by_value
      - .offset:         28
        .size:           4
        .value_kind:     by_value
      - .actual_access:  read_only
        .address_space:  global
        .offset:         32
        .size:           8
        .value_kind:     global_buffer
      - .actual_access:  read_only
        .address_space:  global
        .offset:         40
        .size:           8
        .value_kind:     global_buffer
      - .actual_access:  read_only
        .address_space:  global
        .offset:         48
        .size:           8
        .value_kind:     global_buffer
      - .offset:         56
        .size:           4
        .value_kind:     by_value
      - .actual_access:  read_only
        .address_space:  global
        .offset:         64
        .size:           8
        .value_kind:     global_buffer
      - .offset:         72
        .size:           4
        .value_kind:     by_value
      - .offset:         76
        .size:           4
        .value_kind:     by_value
      - .offset:         80
        .size:           4
        .value_kind:     by_value
      - .actual_access:  read_only
        .address_space:  global
        .offset:         88
        .size:           8
        .value_kind:     global_buffer
      - .actual_access:  read_only
        .address_space:  global
        .offset:         96
        .size:           8
        .value_kind:     global_buffer
      - .actual_access:  read_only
        .address_space:  global
        .offset:         104
        .size:           8
        .value_kind:     global_buffer
      - .actual_access:  read_only
        .address_space:  global
        .offset:         112
        .size:           8
        .value_kind:     global_buffer
      - .offset:         120
        .size:           4
        .value_kind:     by_value
      - .address_space:  global
        .offset:         128
        .size:           8
        .value_kind:     global_buffer
      - .address_space:  global
        .offset:         136
        .size:           8
        .value_kind:     global_buffer
      - .offset:         144
        .size:           4
        .value_kind:     hidden_block_count_x
      - .offset:         148
        .size:           4
        .value_kind:     hidden_block_count_y
      - .offset:         152
        .size:           4
        .value_kind:     hidden_block_count_z
      - .offset:         156
        .size:           2
        .value_kind:     hidden_group_size_x
      - .offset:         158
        .size:           2
        .value_kind:     hidden_group_size_y
      - .offset:         160
        .size:           2
        .value_kind:     hidden_group_size_z
      - .offset:         162
        .size:           2
        .value_kind:     hidden_remainder_x
      - .offset:         164
        .size:           2
        .value_kind:     hidden_remainder_y
      - .offset:         166
        .size:           2
        .value_kind:     hidden_remainder_z
      - .offset:         184
        .size:           8
        .value_kind:     hidden_global_offset_x
      - .offset:         192
        .size:           8
        .value_kind:     hidden_global_offset_y
      - .offset:         200
        .size:           8
        .value_kind:     hidden_global_offset_z
      - .offset:         208
        .size:           2
        .value_kind:     hidden_grid_dims
      - .offset:         224
        .size:           8
        .value_kind:     hidden_hostcall_buffer
    .group_segment_fixed_size: 0
    .kernarg_segment_align: 8
    .kernarg_segment_size: 400
    .language:       OpenCL C
    .language_version:
      - 2
      - 0
    .max_flat_workgroup_size: 256
    .name:           _Z38paged_attention_ll4mi_QKV_mfma4_kernelI14__hip_bfloat16hLN4vllm18Fp8KVCacheDataTypeE1EhLi32ELi128ELi256ELb1ELi2EEvPKT_PKT0_S8_ifPKiSA_SA_iPKfiiiPfSD_PS3_PT2_iSC_SC_
    .private_segment_fixed_size: 64
    .sgpr_count:     36
    .sgpr_spill_count: 0
    .symbol:         _Z38paged_attention_ll4mi_QKV_mfma4_kernelI14__hip_bfloat16hLN4vllm18Fp8KVCacheDataTypeE1EhLi32ELi128ELi256ELb1ELi2EEvPKT_PKT0_S8_ifPKiSA_SA_iPKfiiiPfSD_PS3_PT2_iSC_SC_.kd
    .uniform_work_group_size: 1
    .uses_dynamic_stack: false
    .vgpr_count:     41
    .vgpr_spill_count: 0
    .wavefront_size: 32
    .workgroup_processor_mode: 1
  - .args:
      - .actual_access:  read_only
        .address_space:  global
        .offset:         0
        .size:           8
        .value_kind:     global_buffer
      - .actual_access:  read_only
        .address_space:  global
        .offset:         8
        .size:           8
        .value_kind:     global_buffer
      - .actual_access:  read_only
        .address_space:  global
        .offset:         16
        .size:           8
        .value_kind:     global_buffer
      - .offset:         24
        .size:           4
        .value_kind:     by_value
      - .offset:         28
        .size:           4
        .value_kind:     by_value
      - .actual_access:  read_only
        .address_space:  global
        .offset:         32
        .size:           8
        .value_kind:     global_buffer
      - .actual_access:  read_only
        .address_space:  global
        .offset:         40
        .size:           8
        .value_kind:     global_buffer
      - .actual_access:  read_only
        .address_space:  global
        .offset:         48
        .size:           8
        .value_kind:     global_buffer
      - .offset:         56
        .size:           4
        .value_kind:     by_value
      - .actual_access:  read_only
        .address_space:  global
        .offset:         64
        .size:           8
        .value_kind:     global_buffer
      - .offset:         72
        .size:           4
        .value_kind:     by_value
      - .offset:         76
        .size:           4
        .value_kind:     by_value
      - .offset:         80
        .size:           4
        .value_kind:     by_value
      - .actual_access:  read_only
        .address_space:  global
        .offset:         88
        .size:           8
        .value_kind:     global_buffer
      - .actual_access:  read_only
        .address_space:  global
        .offset:         96
        .size:           8
        .value_kind:     global_buffer
      - .actual_access:  read_only
        .address_space:  global
        .offset:         104
        .size:           8
        .value_kind:     global_buffer
      - .actual_access:  read_only
        .address_space:  global
        .offset:         112
        .size:           8
        .value_kind:     global_buffer
      - .offset:         120
        .size:           4
        .value_kind:     by_value
      - .address_space:  global
        .offset:         128
        .size:           8
        .value_kind:     global_buffer
      - .address_space:  global
        .offset:         136
        .size:           8
        .value_kind:     global_buffer
      - .offset:         144
        .size:           4
        .value_kind:     hidden_block_count_x
      - .offset:         148
        .size:           4
        .value_kind:     hidden_block_count_y
      - .offset:         152
        .size:           4
        .value_kind:     hidden_block_count_z
      - .offset:         156
        .size:           2
        .value_kind:     hidden_group_size_x
      - .offset:         158
        .size:           2
        .value_kind:     hidden_group_size_y
      - .offset:         160
        .size:           2
        .value_kind:     hidden_group_size_z
      - .offset:         162
        .size:           2
        .value_kind:     hidden_remainder_x
      - .offset:         164
        .size:           2
        .value_kind:     hidden_remainder_y
      - .offset:         166
        .size:           2
        .value_kind:     hidden_remainder_z
      - .offset:         184
        .size:           8
        .value_kind:     hidden_global_offset_x
      - .offset:         192
        .size:           8
        .value_kind:     hidden_global_offset_y
      - .offset:         200
        .size:           8
        .value_kind:     hidden_global_offset_z
      - .offset:         208
        .size:           2
        .value_kind:     hidden_grid_dims
      - .offset:         224
        .size:           8
        .value_kind:     hidden_hostcall_buffer
    .group_segment_fixed_size: 0
    .kernarg_segment_align: 8
    .kernarg_segment_size: 400
    .language:       OpenCL C
    .language_version:
      - 2
      - 0
    .max_flat_workgroup_size: 256
    .name:           _Z38paged_attention_ll4mi_QKV_mfma4_kernelI14__hip_bfloat16hLN4vllm18Fp8KVCacheDataTypeE1EhLi32ELi128ELi256ELb1ELi3EEvPKT_PKT0_S8_ifPKiSA_SA_iPKfiiiPfSD_PS3_PT2_iSC_SC_
    .private_segment_fixed_size: 64
    .sgpr_count:     36
    .sgpr_spill_count: 0
    .symbol:         _Z38paged_attention_ll4mi_QKV_mfma4_kernelI14__hip_bfloat16hLN4vllm18Fp8KVCacheDataTypeE1EhLi32ELi128ELi256ELb1ELi3EEvPKT_PKT0_S8_ifPKiSA_SA_iPKfiiiPfSD_PS3_PT2_iSC_SC_.kd
    .uniform_work_group_size: 1
    .uses_dynamic_stack: false
    .vgpr_count:     41
    .vgpr_spill_count: 0
    .wavefront_size: 32
    .workgroup_processor_mode: 1
  - .args:
      - .actual_access:  read_only
        .address_space:  global
        .offset:         0
        .size:           8
        .value_kind:     global_buffer
      - .actual_access:  read_only
        .address_space:  global
        .offset:         8
        .size:           8
        .value_kind:     global_buffer
      - .actual_access:  read_only
        .address_space:  global
        .offset:         16
        .size:           8
        .value_kind:     global_buffer
      - .offset:         24
        .size:           4
        .value_kind:     by_value
      - .offset:         28
        .size:           4
        .value_kind:     by_value
      - .actual_access:  read_only
        .address_space:  global
        .offset:         32
        .size:           8
        .value_kind:     global_buffer
      - .actual_access:  read_only
        .address_space:  global
        .offset:         40
        .size:           8
        .value_kind:     global_buffer
      - .actual_access:  read_only
        .address_space:  global
        .offset:         48
        .size:           8
        .value_kind:     global_buffer
      - .offset:         56
        .size:           4
        .value_kind:     by_value
      - .actual_access:  read_only
        .address_space:  global
        .offset:         64
        .size:           8
        .value_kind:     global_buffer
      - .offset:         72
        .size:           4
        .value_kind:     by_value
      - .offset:         76
        .size:           4
        .value_kind:     by_value
      - .offset:         80
        .size:           4
        .value_kind:     by_value
      - .actual_access:  read_only
        .address_space:  global
        .offset:         88
        .size:           8
        .value_kind:     global_buffer
      - .actual_access:  read_only
        .address_space:  global
        .offset:         96
        .size:           8
        .value_kind:     global_buffer
      - .actual_access:  read_only
        .address_space:  global
        .offset:         104
        .size:           8
        .value_kind:     global_buffer
      - .actual_access:  read_only
        .address_space:  global
        .offset:         112
        .size:           8
        .value_kind:     global_buffer
      - .offset:         120
        .size:           4
        .value_kind:     by_value
      - .address_space:  global
        .offset:         128
        .size:           8
        .value_kind:     global_buffer
      - .address_space:  global
        .offset:         136
        .size:           8
        .value_kind:     global_buffer
      - .offset:         144
        .size:           4
        .value_kind:     hidden_block_count_x
      - .offset:         148
        .size:           4
        .value_kind:     hidden_block_count_y
      - .offset:         152
        .size:           4
        .value_kind:     hidden_block_count_z
      - .offset:         156
        .size:           2
        .value_kind:     hidden_group_size_x
      - .offset:         158
        .size:           2
        .value_kind:     hidden_group_size_y
      - .offset:         160
        .size:           2
        .value_kind:     hidden_group_size_z
      - .offset:         162
        .size:           2
        .value_kind:     hidden_remainder_x
      - .offset:         164
        .size:           2
        .value_kind:     hidden_remainder_y
      - .offset:         166
        .size:           2
        .value_kind:     hidden_remainder_z
      - .offset:         184
        .size:           8
        .value_kind:     hidden_global_offset_x
      - .offset:         192
        .size:           8
        .value_kind:     hidden_global_offset_y
      - .offset:         200
        .size:           8
        .value_kind:     hidden_global_offset_z
      - .offset:         208
        .size:           2
        .value_kind:     hidden_grid_dims
      - .offset:         224
        .size:           8
        .value_kind:     hidden_hostcall_buffer
    .group_segment_fixed_size: 0
    .kernarg_segment_align: 8
    .kernarg_segment_size: 400
    .language:       OpenCL C
    .language_version:
      - 2
      - 0
    .max_flat_workgroup_size: 256
    .name:           _Z38paged_attention_ll4mi_QKV_mfma4_kernelI14__hip_bfloat16hLN4vllm18Fp8KVCacheDataTypeE1EhLi32ELi128ELi256ELb1ELi4EEvPKT_PKT0_S8_ifPKiSA_SA_iPKfiiiPfSD_PS3_PT2_iSC_SC_
    .private_segment_fixed_size: 64
    .sgpr_count:     36
    .sgpr_spill_count: 0
    .symbol:         _Z38paged_attention_ll4mi_QKV_mfma4_kernelI14__hip_bfloat16hLN4vllm18Fp8KVCacheDataTypeE1EhLi32ELi128ELi256ELb1ELi4EEvPKT_PKT0_S8_ifPKiSA_SA_iPKfiiiPfSD_PS3_PT2_iSC_SC_.kd
    .uniform_work_group_size: 1
    .uses_dynamic_stack: false
    .vgpr_count:     41
    .vgpr_spill_count: 0
    .wavefront_size: 32
    .workgroup_processor_mode: 1
  - .args:
      - .actual_access:  read_only
        .address_space:  global
        .offset:         0
        .size:           8
        .value_kind:     global_buffer
      - .actual_access:  read_only
        .address_space:  global
        .offset:         8
        .size:           8
        .value_kind:     global_buffer
      - .actual_access:  read_only
        .address_space:  global
        .offset:         16
        .size:           8
        .value_kind:     global_buffer
      - .offset:         24
        .size:           4
        .value_kind:     by_value
      - .offset:         28
        .size:           4
        .value_kind:     by_value
      - .actual_access:  read_only
        .address_space:  global
        .offset:         32
        .size:           8
        .value_kind:     global_buffer
      - .actual_access:  read_only
        .address_space:  global
        .offset:         40
        .size:           8
        .value_kind:     global_buffer
      - .actual_access:  read_only
        .address_space:  global
        .offset:         48
        .size:           8
        .value_kind:     global_buffer
      - .offset:         56
        .size:           4
        .value_kind:     by_value
      - .actual_access:  read_only
        .address_space:  global
        .offset:         64
        .size:           8
        .value_kind:     global_buffer
      - .offset:         72
        .size:           4
        .value_kind:     by_value
      - .offset:         76
        .size:           4
        .value_kind:     by_value
      - .offset:         80
        .size:           4
        .value_kind:     by_value
      - .actual_access:  write_only
        .address_space:  global
        .offset:         88
        .size:           8
        .value_kind:     global_buffer
      - .actual_access:  write_only
        .address_space:  global
        .offset:         96
        .size:           8
        .value_kind:     global_buffer
      - .actual_access:  write_only
        .address_space:  global
        .offset:         104
        .size:           8
        .value_kind:     global_buffer
      - .actual_access:  read_only
        .address_space:  global
        .offset:         112
        .size:           8
        .value_kind:     global_buffer
      - .offset:         120
        .size:           4
        .value_kind:     by_value
      - .address_space:  global
        .offset:         128
        .size:           8
        .value_kind:     global_buffer
      - .address_space:  global
        .offset:         136
        .size:           8
        .value_kind:     global_buffer
      - .offset:         144
        .size:           4
        .value_kind:     hidden_block_count_x
      - .offset:         148
        .size:           4
        .value_kind:     hidden_block_count_y
      - .offset:         152
        .size:           4
        .value_kind:     hidden_block_count_z
      - .offset:         156
        .size:           2
        .value_kind:     hidden_group_size_x
      - .offset:         158
        .size:           2
        .value_kind:     hidden_group_size_y
      - .offset:         160
        .size:           2
        .value_kind:     hidden_group_size_z
      - .offset:         162
        .size:           2
        .value_kind:     hidden_remainder_x
      - .offset:         164
        .size:           2
        .value_kind:     hidden_remainder_y
      - .offset:         166
        .size:           2
        .value_kind:     hidden_remainder_z
      - .offset:         184
        .size:           8
        .value_kind:     hidden_global_offset_x
      - .offset:         192
        .size:           8
        .value_kind:     hidden_global_offset_y
      - .offset:         200
        .size:           8
        .value_kind:     hidden_global_offset_z
      - .offset:         208
        .size:           2
        .value_kind:     hidden_grid_dims
    .group_segment_fixed_size: 17472
    .kernarg_segment_align: 8
    .kernarg_segment_size: 400
    .language:       OpenCL C
    .language_version:
      - 2
      - 0
    .max_flat_workgroup_size: 256
    .name:           _Z39paged_attention_ll4mi_QKV_mfma16_kernelI14__hip_bfloat16hLN4vllm18Fp8KVCacheDataTypeE1EhLi32ELi128ELi256ELb1ELi5EL8MFMAType1EEvPKT_PKT0_S9_ifPKiSB_SB_iPKfiiiPfSE_PS4_PT2_iSD_SD_
    .private_segment_fixed_size: 0
    .sgpr_count:     38
    .sgpr_spill_count: 0
    .symbol:         _Z39paged_attention_ll4mi_QKV_mfma16_kernelI14__hip_bfloat16hLN4vllm18Fp8KVCacheDataTypeE1EhLi32ELi128ELi256ELb1ELi5EL8MFMAType1EEvPKT_PKT0_S9_ifPKiSB_SB_iPKfiiiPfSE_PS4_PT2_iSD_SD_.kd
    .uniform_work_group_size: 1
    .uses_dynamic_stack: false
    .vgpr_count:     140
    .vgpr_spill_count: 0
    .wavefront_size: 32
    .workgroup_processor_mode: 1
  - .args:
      - .actual_access:  read_only
        .address_space:  global
        .offset:         0
        .size:           8
        .value_kind:     global_buffer
      - .actual_access:  read_only
        .address_space:  global
        .offset:         8
        .size:           8
        .value_kind:     global_buffer
      - .actual_access:  read_only
        .address_space:  global
        .offset:         16
        .size:           8
        .value_kind:     global_buffer
      - .offset:         24
        .size:           4
        .value_kind:     by_value
      - .offset:         28
        .size:           4
        .value_kind:     by_value
      - .actual_access:  read_only
        .address_space:  global
        .offset:         32
        .size:           8
        .value_kind:     global_buffer
      - .actual_access:  read_only
        .address_space:  global
        .offset:         40
        .size:           8
        .value_kind:     global_buffer
      - .actual_access:  read_only
        .address_space:  global
        .offset:         48
        .size:           8
        .value_kind:     global_buffer
      - .offset:         56
        .size:           4
        .value_kind:     by_value
      - .actual_access:  read_only
        .address_space:  global
        .offset:         64
        .size:           8
        .value_kind:     global_buffer
      - .offset:         72
        .size:           4
        .value_kind:     by_value
      - .offset:         76
        .size:           4
        .value_kind:     by_value
      - .offset:         80
        .size:           4
        .value_kind:     by_value
      - .actual_access:  write_only
        .address_space:  global
        .offset:         88
        .size:           8
        .value_kind:     global_buffer
      - .actual_access:  write_only
        .address_space:  global
        .offset:         96
        .size:           8
        .value_kind:     global_buffer
      - .actual_access:  write_only
        .address_space:  global
        .offset:         104
        .size:           8
        .value_kind:     global_buffer
      - .actual_access:  read_only
        .address_space:  global
        .offset:         112
        .size:           8
        .value_kind:     global_buffer
      - .offset:         120
        .size:           4
        .value_kind:     by_value
      - .address_space:  global
        .offset:         128
        .size:           8
        .value_kind:     global_buffer
      - .address_space:  global
        .offset:         136
        .size:           8
        .value_kind:     global_buffer
      - .offset:         144
        .size:           4
        .value_kind:     hidden_block_count_x
      - .offset:         148
        .size:           4
        .value_kind:     hidden_block_count_y
      - .offset:         152
        .size:           4
        .value_kind:     hidden_block_count_z
      - .offset:         156
        .size:           2
        .value_kind:     hidden_group_size_x
      - .offset:         158
        .size:           2
        .value_kind:     hidden_group_size_y
      - .offset:         160
        .size:           2
        .value_kind:     hidden_group_size_z
      - .offset:         162
        .size:           2
        .value_kind:     hidden_remainder_x
      - .offset:         164
        .size:           2
        .value_kind:     hidden_remainder_y
      - .offset:         166
        .size:           2
        .value_kind:     hidden_remainder_z
      - .offset:         184
        .size:           8
        .value_kind:     hidden_global_offset_x
      - .offset:         192
        .size:           8
        .value_kind:     hidden_global_offset_y
      - .offset:         200
        .size:           8
        .value_kind:     hidden_global_offset_z
      - .offset:         208
        .size:           2
        .value_kind:     hidden_grid_dims
    .group_segment_fixed_size: 17472
    .kernarg_segment_align: 8
    .kernarg_segment_size: 400
    .language:       OpenCL C
    .language_version:
      - 2
      - 0
    .max_flat_workgroup_size: 256
    .name:           _Z39paged_attention_ll4mi_QKV_mfma16_kernelI14__hip_bfloat16hLN4vllm18Fp8KVCacheDataTypeE1EhLi32ELi128ELi256ELb1ELi6EL8MFMAType1EEvPKT_PKT0_S9_ifPKiSB_SB_iPKfiiiPfSE_PS4_PT2_iSD_SD_
    .private_segment_fixed_size: 0
    .sgpr_count:     38
    .sgpr_spill_count: 0
    .symbol:         _Z39paged_attention_ll4mi_QKV_mfma16_kernelI14__hip_bfloat16hLN4vllm18Fp8KVCacheDataTypeE1EhLi32ELi128ELi256ELb1ELi6EL8MFMAType1EEvPKT_PKT0_S9_ifPKiSB_SB_iPKfiiiPfSE_PS4_PT2_iSD_SD_.kd
    .uniform_work_group_size: 1
    .uses_dynamic_stack: false
    .vgpr_count:     140
    .vgpr_spill_count: 0
    .wavefront_size: 32
    .workgroup_processor_mode: 1
  - .args:
      - .actual_access:  read_only
        .address_space:  global
        .offset:         0
        .size:           8
        .value_kind:     global_buffer
      - .actual_access:  read_only
        .address_space:  global
        .offset:         8
        .size:           8
        .value_kind:     global_buffer
      - .actual_access:  read_only
        .address_space:  global
        .offset:         16
        .size:           8
        .value_kind:     global_buffer
      - .offset:         24
        .size:           4
        .value_kind:     by_value
      - .offset:         28
        .size:           4
        .value_kind:     by_value
      - .actual_access:  read_only
        .address_space:  global
        .offset:         32
        .size:           8
        .value_kind:     global_buffer
      - .actual_access:  read_only
        .address_space:  global
        .offset:         40
        .size:           8
        .value_kind:     global_buffer
      - .actual_access:  read_only
        .address_space:  global
        .offset:         48
        .size:           8
        .value_kind:     global_buffer
      - .offset:         56
        .size:           4
        .value_kind:     by_value
      - .actual_access:  read_only
        .address_space:  global
        .offset:         64
        .size:           8
        .value_kind:     global_buffer
      - .offset:         72
        .size:           4
        .value_kind:     by_value
      - .offset:         76
        .size:           4
        .value_kind:     by_value
      - .offset:         80
        .size:           4
        .value_kind:     by_value
      - .actual_access:  write_only
        .address_space:  global
        .offset:         88
        .size:           8
        .value_kind:     global_buffer
      - .actual_access:  write_only
        .address_space:  global
        .offset:         96
        .size:           8
        .value_kind:     global_buffer
      - .actual_access:  write_only
        .address_space:  global
        .offset:         104
        .size:           8
        .value_kind:     global_buffer
      - .actual_access:  read_only
        .address_space:  global
        .offset:         112
        .size:           8
        .value_kind:     global_buffer
      - .offset:         120
        .size:           4
        .value_kind:     by_value
      - .address_space:  global
        .offset:         128
        .size:           8
        .value_kind:     global_buffer
      - .address_space:  global
        .offset:         136
        .size:           8
        .value_kind:     global_buffer
      - .offset:         144
        .size:           4
        .value_kind:     hidden_block_count_x
      - .offset:         148
        .size:           4
        .value_kind:     hidden_block_count_y
      - .offset:         152
        .size:           4
        .value_kind:     hidden_block_count_z
      - .offset:         156
        .size:           2
        .value_kind:     hidden_group_size_x
      - .offset:         158
        .size:           2
        .value_kind:     hidden_group_size_y
      - .offset:         160
        .size:           2
        .value_kind:     hidden_group_size_z
      - .offset:         162
        .size:           2
        .value_kind:     hidden_remainder_x
      - .offset:         164
        .size:           2
        .value_kind:     hidden_remainder_y
      - .offset:         166
        .size:           2
        .value_kind:     hidden_remainder_z
      - .offset:         184
        .size:           8
        .value_kind:     hidden_global_offset_x
      - .offset:         192
        .size:           8
        .value_kind:     hidden_global_offset_y
      - .offset:         200
        .size:           8
        .value_kind:     hidden_global_offset_z
      - .offset:         208
        .size:           2
        .value_kind:     hidden_grid_dims
    .group_segment_fixed_size: 17472
    .kernarg_segment_align: 8
    .kernarg_segment_size: 400
    .language:       OpenCL C
    .language_version:
      - 2
      - 0
    .max_flat_workgroup_size: 256
    .name:           _Z39paged_attention_ll4mi_QKV_mfma16_kernelI14__hip_bfloat16hLN4vllm18Fp8KVCacheDataTypeE1EhLi32ELi128ELi256ELb1ELi7EL8MFMAType1EEvPKT_PKT0_S9_ifPKiSB_SB_iPKfiiiPfSE_PS4_PT2_iSD_SD_
    .private_segment_fixed_size: 0
    .sgpr_count:     38
    .sgpr_spill_count: 0
    .symbol:         _Z39paged_attention_ll4mi_QKV_mfma16_kernelI14__hip_bfloat16hLN4vllm18Fp8KVCacheDataTypeE1EhLi32ELi128ELi256ELb1ELi7EL8MFMAType1EEvPKT_PKT0_S9_ifPKiSB_SB_iPKfiiiPfSE_PS4_PT2_iSD_SD_.kd
    .uniform_work_group_size: 1
    .uses_dynamic_stack: false
    .vgpr_count:     140
    .vgpr_spill_count: 0
    .wavefront_size: 32
    .workgroup_processor_mode: 1
  - .args:
      - .actual_access:  read_only
        .address_space:  global
        .offset:         0
        .size:           8
        .value_kind:     global_buffer
      - .actual_access:  read_only
        .address_space:  global
        .offset:         8
        .size:           8
        .value_kind:     global_buffer
      - .actual_access:  read_only
        .address_space:  global
        .offset:         16
        .size:           8
        .value_kind:     global_buffer
      - .offset:         24
        .size:           4
        .value_kind:     by_value
      - .offset:         28
        .size:           4
        .value_kind:     by_value
      - .actual_access:  read_only
        .address_space:  global
        .offset:         32
        .size:           8
        .value_kind:     global_buffer
      - .actual_access:  read_only
        .address_space:  global
        .offset:         40
        .size:           8
        .value_kind:     global_buffer
      - .actual_access:  read_only
        .address_space:  global
        .offset:         48
        .size:           8
        .value_kind:     global_buffer
      - .offset:         56
        .size:           4
        .value_kind:     by_value
      - .actual_access:  read_only
        .address_space:  global
        .offset:         64
        .size:           8
        .value_kind:     global_buffer
      - .offset:         72
        .size:           4
        .value_kind:     by_value
      - .offset:         76
        .size:           4
        .value_kind:     by_value
      - .offset:         80
        .size:           4
        .value_kind:     by_value
      - .actual_access:  write_only
        .address_space:  global
        .offset:         88
        .size:           8
        .value_kind:     global_buffer
      - .actual_access:  write_only
        .address_space:  global
        .offset:         96
        .size:           8
        .value_kind:     global_buffer
      - .actual_access:  write_only
        .address_space:  global
        .offset:         104
        .size:           8
        .value_kind:     global_buffer
      - .actual_access:  read_only
        .address_space:  global
        .offset:         112
        .size:           8
        .value_kind:     global_buffer
      - .offset:         120
        .size:           4
        .value_kind:     by_value
      - .address_space:  global
        .offset:         128
        .size:           8
        .value_kind:     global_buffer
      - .address_space:  global
        .offset:         136
        .size:           8
        .value_kind:     global_buffer
      - .offset:         144
        .size:           4
        .value_kind:     hidden_block_count_x
      - .offset:         148
        .size:           4
        .value_kind:     hidden_block_count_y
      - .offset:         152
        .size:           4
        .value_kind:     hidden_block_count_z
      - .offset:         156
        .size:           2
        .value_kind:     hidden_group_size_x
      - .offset:         158
        .size:           2
        .value_kind:     hidden_group_size_y
      - .offset:         160
        .size:           2
        .value_kind:     hidden_group_size_z
      - .offset:         162
        .size:           2
        .value_kind:     hidden_remainder_x
      - .offset:         164
        .size:           2
        .value_kind:     hidden_remainder_y
      - .offset:         166
        .size:           2
        .value_kind:     hidden_remainder_z
      - .offset:         184
        .size:           8
        .value_kind:     hidden_global_offset_x
      - .offset:         192
        .size:           8
        .value_kind:     hidden_global_offset_y
      - .offset:         200
        .size:           8
        .value_kind:     hidden_global_offset_z
      - .offset:         208
        .size:           2
        .value_kind:     hidden_grid_dims
    .group_segment_fixed_size: 17472
    .kernarg_segment_align: 8
    .kernarg_segment_size: 400
    .language:       OpenCL C
    .language_version:
      - 2
      - 0
    .max_flat_workgroup_size: 256
    .name:           _Z39paged_attention_ll4mi_QKV_mfma16_kernelI14__hip_bfloat16hLN4vllm18Fp8KVCacheDataTypeE1EhLi32ELi128ELi256ELb1ELi8EL8MFMAType1EEvPKT_PKT0_S9_ifPKiSB_SB_iPKfiiiPfSE_PS4_PT2_iSD_SD_
    .private_segment_fixed_size: 0
    .sgpr_count:     38
    .sgpr_spill_count: 0
    .symbol:         _Z39paged_attention_ll4mi_QKV_mfma16_kernelI14__hip_bfloat16hLN4vllm18Fp8KVCacheDataTypeE1EhLi32ELi128ELi256ELb1ELi8EL8MFMAType1EEvPKT_PKT0_S9_ifPKiSB_SB_iPKfiiiPfSE_PS4_PT2_iSD_SD_.kd
    .uniform_work_group_size: 1
    .uses_dynamic_stack: false
    .vgpr_count:     140
    .vgpr_spill_count: 0
    .wavefront_size: 32
    .workgroup_processor_mode: 1
  - .args:
      - .actual_access:  read_only
        .address_space:  global
        .offset:         0
        .size:           8
        .value_kind:     global_buffer
      - .actual_access:  read_only
        .address_space:  global
        .offset:         8
        .size:           8
        .value_kind:     global_buffer
      - .actual_access:  read_only
        .address_space:  global
        .offset:         16
        .size:           8
        .value_kind:     global_buffer
      - .offset:         24
        .size:           4
        .value_kind:     by_value
      - .offset:         28
        .size:           4
        .value_kind:     by_value
      - .actual_access:  read_only
        .address_space:  global
        .offset:         32
        .size:           8
        .value_kind:     global_buffer
      - .actual_access:  read_only
        .address_space:  global
        .offset:         40
        .size:           8
        .value_kind:     global_buffer
      - .actual_access:  read_only
        .address_space:  global
        .offset:         48
        .size:           8
        .value_kind:     global_buffer
      - .offset:         56
        .size:           4
        .value_kind:     by_value
      - .actual_access:  read_only
        .address_space:  global
        .offset:         64
        .size:           8
        .value_kind:     global_buffer
      - .offset:         72
        .size:           4
        .value_kind:     by_value
      - .offset:         76
        .size:           4
        .value_kind:     by_value
      - .offset:         80
        .size:           4
        .value_kind:     by_value
      - .actual_access:  write_only
        .address_space:  global
        .offset:         88
        .size:           8
        .value_kind:     global_buffer
      - .actual_access:  write_only
        .address_space:  global
        .offset:         96
        .size:           8
        .value_kind:     global_buffer
      - .actual_access:  write_only
        .address_space:  global
        .offset:         104
        .size:           8
        .value_kind:     global_buffer
      - .actual_access:  read_only
        .address_space:  global
        .offset:         112
        .size:           8
        .value_kind:     global_buffer
      - .offset:         120
        .size:           4
        .value_kind:     by_value
      - .address_space:  global
        .offset:         128
        .size:           8
        .value_kind:     global_buffer
      - .address_space:  global
        .offset:         136
        .size:           8
        .value_kind:     global_buffer
      - .offset:         144
        .size:           4
        .value_kind:     hidden_block_count_x
      - .offset:         148
        .size:           4
        .value_kind:     hidden_block_count_y
      - .offset:         152
        .size:           4
        .value_kind:     hidden_block_count_z
      - .offset:         156
        .size:           2
        .value_kind:     hidden_group_size_x
      - .offset:         158
        .size:           2
        .value_kind:     hidden_group_size_y
      - .offset:         160
        .size:           2
        .value_kind:     hidden_group_size_z
      - .offset:         162
        .size:           2
        .value_kind:     hidden_remainder_x
      - .offset:         164
        .size:           2
        .value_kind:     hidden_remainder_y
      - .offset:         166
        .size:           2
        .value_kind:     hidden_remainder_z
      - .offset:         184
        .size:           8
        .value_kind:     hidden_global_offset_x
      - .offset:         192
        .size:           8
        .value_kind:     hidden_global_offset_y
      - .offset:         200
        .size:           8
        .value_kind:     hidden_global_offset_z
      - .offset:         208
        .size:           2
        .value_kind:     hidden_grid_dims
    .group_segment_fixed_size: 17472
    .kernarg_segment_align: 8
    .kernarg_segment_size: 400
    .language:       OpenCL C
    .language_version:
      - 2
      - 0
    .max_flat_workgroup_size: 256
    .name:           _Z39paged_attention_ll4mi_QKV_mfma16_kernelI14__hip_bfloat16hLN4vllm18Fp8KVCacheDataTypeE1EhLi32ELi128ELi256ELb1ELi9EL8MFMAType1EEvPKT_PKT0_S9_ifPKiSB_SB_iPKfiiiPfSE_PS4_PT2_iSD_SD_
    .private_segment_fixed_size: 0
    .sgpr_count:     38
    .sgpr_spill_count: 0
    .symbol:         _Z39paged_attention_ll4mi_QKV_mfma16_kernelI14__hip_bfloat16hLN4vllm18Fp8KVCacheDataTypeE1EhLi32ELi128ELi256ELb1ELi9EL8MFMAType1EEvPKT_PKT0_S9_ifPKiSB_SB_iPKfiiiPfSE_PS4_PT2_iSD_SD_.kd
    .uniform_work_group_size: 1
    .uses_dynamic_stack: false
    .vgpr_count:     140
    .vgpr_spill_count: 0
    .wavefront_size: 32
    .workgroup_processor_mode: 1
  - .args:
      - .actual_access:  read_only
        .address_space:  global
        .offset:         0
        .size:           8
        .value_kind:     global_buffer
      - .actual_access:  read_only
        .address_space:  global
        .offset:         8
        .size:           8
        .value_kind:     global_buffer
      - .actual_access:  read_only
        .address_space:  global
        .offset:         16
        .size:           8
        .value_kind:     global_buffer
      - .offset:         24
        .size:           4
        .value_kind:     by_value
      - .offset:         28
        .size:           4
        .value_kind:     by_value
      - .actual_access:  read_only
        .address_space:  global
        .offset:         32
        .size:           8
        .value_kind:     global_buffer
      - .actual_access:  read_only
        .address_space:  global
        .offset:         40
        .size:           8
        .value_kind:     global_buffer
      - .actual_access:  read_only
        .address_space:  global
        .offset:         48
        .size:           8
        .value_kind:     global_buffer
      - .offset:         56
        .size:           4
        .value_kind:     by_value
      - .actual_access:  read_only
        .address_space:  global
        .offset:         64
        .size:           8
        .value_kind:     global_buffer
      - .offset:         72
        .size:           4
        .value_kind:     by_value
      - .offset:         76
        .size:           4
        .value_kind:     by_value
      - .offset:         80
        .size:           4
        .value_kind:     by_value
      - .actual_access:  write_only
        .address_space:  global
        .offset:         88
        .size:           8
        .value_kind:     global_buffer
      - .actual_access:  write_only
        .address_space:  global
        .offset:         96
        .size:           8
        .value_kind:     global_buffer
      - .actual_access:  write_only
        .address_space:  global
        .offset:         104
        .size:           8
        .value_kind:     global_buffer
      - .actual_access:  read_only
        .address_space:  global
        .offset:         112
        .size:           8
        .value_kind:     global_buffer
      - .offset:         120
        .size:           4
        .value_kind:     by_value
      - .address_space:  global
        .offset:         128
        .size:           8
        .value_kind:     global_buffer
      - .address_space:  global
        .offset:         136
        .size:           8
        .value_kind:     global_buffer
      - .offset:         144
        .size:           4
        .value_kind:     hidden_block_count_x
      - .offset:         148
        .size:           4
        .value_kind:     hidden_block_count_y
      - .offset:         152
        .size:           4
        .value_kind:     hidden_block_count_z
      - .offset:         156
        .size:           2
        .value_kind:     hidden_group_size_x
      - .offset:         158
        .size:           2
        .value_kind:     hidden_group_size_y
      - .offset:         160
        .size:           2
        .value_kind:     hidden_group_size_z
      - .offset:         162
        .size:           2
        .value_kind:     hidden_remainder_x
      - .offset:         164
        .size:           2
        .value_kind:     hidden_remainder_y
      - .offset:         166
        .size:           2
        .value_kind:     hidden_remainder_z
      - .offset:         184
        .size:           8
        .value_kind:     hidden_global_offset_x
      - .offset:         192
        .size:           8
        .value_kind:     hidden_global_offset_y
      - .offset:         200
        .size:           8
        .value_kind:     hidden_global_offset_z
      - .offset:         208
        .size:           2
        .value_kind:     hidden_grid_dims
    .group_segment_fixed_size: 17472
    .kernarg_segment_align: 8
    .kernarg_segment_size: 400
    .language:       OpenCL C
    .language_version:
      - 2
      - 0
    .max_flat_workgroup_size: 256
    .name:           _Z39paged_attention_ll4mi_QKV_mfma16_kernelI14__hip_bfloat16hLN4vllm18Fp8KVCacheDataTypeE1EhLi32ELi128ELi256ELb1ELi10EL8MFMAType1EEvPKT_PKT0_S9_ifPKiSB_SB_iPKfiiiPfSE_PS4_PT2_iSD_SD_
    .private_segment_fixed_size: 0
    .sgpr_count:     38
    .sgpr_spill_count: 0
    .symbol:         _Z39paged_attention_ll4mi_QKV_mfma16_kernelI14__hip_bfloat16hLN4vllm18Fp8KVCacheDataTypeE1EhLi32ELi128ELi256ELb1ELi10EL8MFMAType1EEvPKT_PKT0_S9_ifPKiSB_SB_iPKfiiiPfSE_PS4_PT2_iSD_SD_.kd
    .uniform_work_group_size: 1
    .uses_dynamic_stack: false
    .vgpr_count:     140
    .vgpr_spill_count: 0
    .wavefront_size: 32
    .workgroup_processor_mode: 1
  - .args:
      - .actual_access:  read_only
        .address_space:  global
        .offset:         0
        .size:           8
        .value_kind:     global_buffer
      - .actual_access:  read_only
        .address_space:  global
        .offset:         8
        .size:           8
        .value_kind:     global_buffer
      - .actual_access:  read_only
        .address_space:  global
        .offset:         16
        .size:           8
        .value_kind:     global_buffer
      - .offset:         24
        .size:           4
        .value_kind:     by_value
      - .offset:         28
        .size:           4
        .value_kind:     by_value
      - .actual_access:  read_only
        .address_space:  global
        .offset:         32
        .size:           8
        .value_kind:     global_buffer
      - .actual_access:  read_only
        .address_space:  global
        .offset:         40
        .size:           8
        .value_kind:     global_buffer
      - .actual_access:  read_only
        .address_space:  global
        .offset:         48
        .size:           8
        .value_kind:     global_buffer
      - .offset:         56
        .size:           4
        .value_kind:     by_value
      - .actual_access:  read_only
        .address_space:  global
        .offset:         64
        .size:           8
        .value_kind:     global_buffer
      - .offset:         72
        .size:           4
        .value_kind:     by_value
      - .offset:         76
        .size:           4
        .value_kind:     by_value
      - .offset:         80
        .size:           4
        .value_kind:     by_value
      - .actual_access:  write_only
        .address_space:  global
        .offset:         88
        .size:           8
        .value_kind:     global_buffer
      - .actual_access:  write_only
        .address_space:  global
        .offset:         96
        .size:           8
        .value_kind:     global_buffer
      - .actual_access:  write_only
        .address_space:  global
        .offset:         104
        .size:           8
        .value_kind:     global_buffer
      - .actual_access:  read_only
        .address_space:  global
        .offset:         112
        .size:           8
        .value_kind:     global_buffer
      - .offset:         120
        .size:           4
        .value_kind:     by_value
      - .address_space:  global
        .offset:         128
        .size:           8
        .value_kind:     global_buffer
      - .address_space:  global
        .offset:         136
        .size:           8
        .value_kind:     global_buffer
      - .offset:         144
        .size:           4
        .value_kind:     hidden_block_count_x
      - .offset:         148
        .size:           4
        .value_kind:     hidden_block_count_y
      - .offset:         152
        .size:           4
        .value_kind:     hidden_block_count_z
      - .offset:         156
        .size:           2
        .value_kind:     hidden_group_size_x
      - .offset:         158
        .size:           2
        .value_kind:     hidden_group_size_y
      - .offset:         160
        .size:           2
        .value_kind:     hidden_group_size_z
      - .offset:         162
        .size:           2
        .value_kind:     hidden_remainder_x
      - .offset:         164
        .size:           2
        .value_kind:     hidden_remainder_y
      - .offset:         166
        .size:           2
        .value_kind:     hidden_remainder_z
      - .offset:         184
        .size:           8
        .value_kind:     hidden_global_offset_x
      - .offset:         192
        .size:           8
        .value_kind:     hidden_global_offset_y
      - .offset:         200
        .size:           8
        .value_kind:     hidden_global_offset_z
      - .offset:         208
        .size:           2
        .value_kind:     hidden_grid_dims
    .group_segment_fixed_size: 17472
    .kernarg_segment_align: 8
    .kernarg_segment_size: 400
    .language:       OpenCL C
    .language_version:
      - 2
      - 0
    .max_flat_workgroup_size: 256
    .name:           _Z39paged_attention_ll4mi_QKV_mfma16_kernelI14__hip_bfloat16hLN4vllm18Fp8KVCacheDataTypeE1EhLi32ELi128ELi256ELb1ELi11EL8MFMAType1EEvPKT_PKT0_S9_ifPKiSB_SB_iPKfiiiPfSE_PS4_PT2_iSD_SD_
    .private_segment_fixed_size: 0
    .sgpr_count:     38
    .sgpr_spill_count: 0
    .symbol:         _Z39paged_attention_ll4mi_QKV_mfma16_kernelI14__hip_bfloat16hLN4vllm18Fp8KVCacheDataTypeE1EhLi32ELi128ELi256ELb1ELi11EL8MFMAType1EEvPKT_PKT0_S9_ifPKiSB_SB_iPKfiiiPfSE_PS4_PT2_iSD_SD_.kd
    .uniform_work_group_size: 1
    .uses_dynamic_stack: false
    .vgpr_count:     140
    .vgpr_spill_count: 0
    .wavefront_size: 32
    .workgroup_processor_mode: 1
  - .args:
      - .actual_access:  read_only
        .address_space:  global
        .offset:         0
        .size:           8
        .value_kind:     global_buffer
      - .actual_access:  read_only
        .address_space:  global
        .offset:         8
        .size:           8
        .value_kind:     global_buffer
      - .actual_access:  read_only
        .address_space:  global
        .offset:         16
        .size:           8
        .value_kind:     global_buffer
      - .offset:         24
        .size:           4
        .value_kind:     by_value
      - .offset:         28
        .size:           4
        .value_kind:     by_value
      - .actual_access:  read_only
        .address_space:  global
        .offset:         32
        .size:           8
        .value_kind:     global_buffer
      - .actual_access:  read_only
        .address_space:  global
        .offset:         40
        .size:           8
        .value_kind:     global_buffer
      - .actual_access:  read_only
        .address_space:  global
        .offset:         48
        .size:           8
        .value_kind:     global_buffer
      - .offset:         56
        .size:           4
        .value_kind:     by_value
      - .actual_access:  read_only
        .address_space:  global
        .offset:         64
        .size:           8
        .value_kind:     global_buffer
      - .offset:         72
        .size:           4
        .value_kind:     by_value
      - .offset:         76
        .size:           4
        .value_kind:     by_value
      - .offset:         80
        .size:           4
        .value_kind:     by_value
      - .actual_access:  write_only
        .address_space:  global
        .offset:         88
        .size:           8
        .value_kind:     global_buffer
      - .actual_access:  write_only
        .address_space:  global
        .offset:         96
        .size:           8
        .value_kind:     global_buffer
      - .actual_access:  write_only
        .address_space:  global
        .offset:         104
        .size:           8
        .value_kind:     global_buffer
      - .actual_access:  read_only
        .address_space:  global
        .offset:         112
        .size:           8
        .value_kind:     global_buffer
      - .offset:         120
        .size:           4
        .value_kind:     by_value
      - .address_space:  global
        .offset:         128
        .size:           8
        .value_kind:     global_buffer
      - .address_space:  global
        .offset:         136
        .size:           8
        .value_kind:     global_buffer
      - .offset:         144
        .size:           4
        .value_kind:     hidden_block_count_x
      - .offset:         148
        .size:           4
        .value_kind:     hidden_block_count_y
      - .offset:         152
        .size:           4
        .value_kind:     hidden_block_count_z
      - .offset:         156
        .size:           2
        .value_kind:     hidden_group_size_x
      - .offset:         158
        .size:           2
        .value_kind:     hidden_group_size_y
      - .offset:         160
        .size:           2
        .value_kind:     hidden_group_size_z
      - .offset:         162
        .size:           2
        .value_kind:     hidden_remainder_x
      - .offset:         164
        .size:           2
        .value_kind:     hidden_remainder_y
      - .offset:         166
        .size:           2
        .value_kind:     hidden_remainder_z
      - .offset:         184
        .size:           8
        .value_kind:     hidden_global_offset_x
      - .offset:         192
        .size:           8
        .value_kind:     hidden_global_offset_y
      - .offset:         200
        .size:           8
        .value_kind:     hidden_global_offset_z
      - .offset:         208
        .size:           2
        .value_kind:     hidden_grid_dims
    .group_segment_fixed_size: 17472
    .kernarg_segment_align: 8
    .kernarg_segment_size: 400
    .language:       OpenCL C
    .language_version:
      - 2
      - 0
    .max_flat_workgroup_size: 256
    .name:           _Z39paged_attention_ll4mi_QKV_mfma16_kernelI14__hip_bfloat16hLN4vllm18Fp8KVCacheDataTypeE1EhLi32ELi128ELi256ELb1ELi12EL8MFMAType1EEvPKT_PKT0_S9_ifPKiSB_SB_iPKfiiiPfSE_PS4_PT2_iSD_SD_
    .private_segment_fixed_size: 0
    .sgpr_count:     38
    .sgpr_spill_count: 0
    .symbol:         _Z39paged_attention_ll4mi_QKV_mfma16_kernelI14__hip_bfloat16hLN4vllm18Fp8KVCacheDataTypeE1EhLi32ELi128ELi256ELb1ELi12EL8MFMAType1EEvPKT_PKT0_S9_ifPKiSB_SB_iPKfiiiPfSE_PS4_PT2_iSD_SD_.kd
    .uniform_work_group_size: 1
    .uses_dynamic_stack: false
    .vgpr_count:     140
    .vgpr_spill_count: 0
    .wavefront_size: 32
    .workgroup_processor_mode: 1
  - .args:
      - .actual_access:  read_only
        .address_space:  global
        .offset:         0
        .size:           8
        .value_kind:     global_buffer
      - .actual_access:  read_only
        .address_space:  global
        .offset:         8
        .size:           8
        .value_kind:     global_buffer
      - .actual_access:  read_only
        .address_space:  global
        .offset:         16
        .size:           8
        .value_kind:     global_buffer
      - .offset:         24
        .size:           4
        .value_kind:     by_value
      - .offset:         28
        .size:           4
        .value_kind:     by_value
      - .actual_access:  read_only
        .address_space:  global
        .offset:         32
        .size:           8
        .value_kind:     global_buffer
      - .actual_access:  read_only
        .address_space:  global
        .offset:         40
        .size:           8
        .value_kind:     global_buffer
      - .actual_access:  read_only
        .address_space:  global
        .offset:         48
        .size:           8
        .value_kind:     global_buffer
      - .offset:         56
        .size:           4
        .value_kind:     by_value
      - .actual_access:  read_only
        .address_space:  global
        .offset:         64
        .size:           8
        .value_kind:     global_buffer
      - .offset:         72
        .size:           4
        .value_kind:     by_value
      - .offset:         76
        .size:           4
        .value_kind:     by_value
      - .offset:         80
        .size:           4
        .value_kind:     by_value
      - .actual_access:  write_only
        .address_space:  global
        .offset:         88
        .size:           8
        .value_kind:     global_buffer
      - .actual_access:  write_only
        .address_space:  global
        .offset:         96
        .size:           8
        .value_kind:     global_buffer
      - .actual_access:  write_only
        .address_space:  global
        .offset:         104
        .size:           8
        .value_kind:     global_buffer
      - .actual_access:  read_only
        .address_space:  global
        .offset:         112
        .size:           8
        .value_kind:     global_buffer
      - .offset:         120
        .size:           4
        .value_kind:     by_value
      - .address_space:  global
        .offset:         128
        .size:           8
        .value_kind:     global_buffer
      - .address_space:  global
        .offset:         136
        .size:           8
        .value_kind:     global_buffer
      - .offset:         144
        .size:           4
        .value_kind:     hidden_block_count_x
      - .offset:         148
        .size:           4
        .value_kind:     hidden_block_count_y
      - .offset:         152
        .size:           4
        .value_kind:     hidden_block_count_z
      - .offset:         156
        .size:           2
        .value_kind:     hidden_group_size_x
      - .offset:         158
        .size:           2
        .value_kind:     hidden_group_size_y
      - .offset:         160
        .size:           2
        .value_kind:     hidden_group_size_z
      - .offset:         162
        .size:           2
        .value_kind:     hidden_remainder_x
      - .offset:         164
        .size:           2
        .value_kind:     hidden_remainder_y
      - .offset:         166
        .size:           2
        .value_kind:     hidden_remainder_z
      - .offset:         184
        .size:           8
        .value_kind:     hidden_global_offset_x
      - .offset:         192
        .size:           8
        .value_kind:     hidden_global_offset_y
      - .offset:         200
        .size:           8
        .value_kind:     hidden_global_offset_z
      - .offset:         208
        .size:           2
        .value_kind:     hidden_grid_dims
    .group_segment_fixed_size: 17472
    .kernarg_segment_align: 8
    .kernarg_segment_size: 400
    .language:       OpenCL C
    .language_version:
      - 2
      - 0
    .max_flat_workgroup_size: 256
    .name:           _Z39paged_attention_ll4mi_QKV_mfma16_kernelI14__hip_bfloat16hLN4vllm18Fp8KVCacheDataTypeE1EhLi32ELi128ELi256ELb1ELi13EL8MFMAType1EEvPKT_PKT0_S9_ifPKiSB_SB_iPKfiiiPfSE_PS4_PT2_iSD_SD_
    .private_segment_fixed_size: 0
    .sgpr_count:     38
    .sgpr_spill_count: 0
    .symbol:         _Z39paged_attention_ll4mi_QKV_mfma16_kernelI14__hip_bfloat16hLN4vllm18Fp8KVCacheDataTypeE1EhLi32ELi128ELi256ELb1ELi13EL8MFMAType1EEvPKT_PKT0_S9_ifPKiSB_SB_iPKfiiiPfSE_PS4_PT2_iSD_SD_.kd
    .uniform_work_group_size: 1
    .uses_dynamic_stack: false
    .vgpr_count:     140
    .vgpr_spill_count: 0
    .wavefront_size: 32
    .workgroup_processor_mode: 1
  - .args:
      - .actual_access:  read_only
        .address_space:  global
        .offset:         0
        .size:           8
        .value_kind:     global_buffer
      - .actual_access:  read_only
        .address_space:  global
        .offset:         8
        .size:           8
        .value_kind:     global_buffer
      - .actual_access:  read_only
        .address_space:  global
        .offset:         16
        .size:           8
        .value_kind:     global_buffer
      - .offset:         24
        .size:           4
        .value_kind:     by_value
      - .offset:         28
        .size:           4
        .value_kind:     by_value
      - .actual_access:  read_only
        .address_space:  global
        .offset:         32
        .size:           8
        .value_kind:     global_buffer
      - .actual_access:  read_only
        .address_space:  global
        .offset:         40
        .size:           8
        .value_kind:     global_buffer
      - .actual_access:  read_only
        .address_space:  global
        .offset:         48
        .size:           8
        .value_kind:     global_buffer
      - .offset:         56
        .size:           4
        .value_kind:     by_value
      - .actual_access:  read_only
        .address_space:  global
        .offset:         64
        .size:           8
        .value_kind:     global_buffer
      - .offset:         72
        .size:           4
        .value_kind:     by_value
      - .offset:         76
        .size:           4
        .value_kind:     by_value
      - .offset:         80
        .size:           4
        .value_kind:     by_value
      - .actual_access:  write_only
        .address_space:  global
        .offset:         88
        .size:           8
        .value_kind:     global_buffer
      - .actual_access:  write_only
        .address_space:  global
        .offset:         96
        .size:           8
        .value_kind:     global_buffer
      - .actual_access:  write_only
        .address_space:  global
        .offset:         104
        .size:           8
        .value_kind:     global_buffer
      - .actual_access:  read_only
        .address_space:  global
        .offset:         112
        .size:           8
        .value_kind:     global_buffer
      - .offset:         120
        .size:           4
        .value_kind:     by_value
      - .address_space:  global
        .offset:         128
        .size:           8
        .value_kind:     global_buffer
      - .address_space:  global
        .offset:         136
        .size:           8
        .value_kind:     global_buffer
      - .offset:         144
        .size:           4
        .value_kind:     hidden_block_count_x
      - .offset:         148
        .size:           4
        .value_kind:     hidden_block_count_y
      - .offset:         152
        .size:           4
        .value_kind:     hidden_block_count_z
      - .offset:         156
        .size:           2
        .value_kind:     hidden_group_size_x
      - .offset:         158
        .size:           2
        .value_kind:     hidden_group_size_y
      - .offset:         160
        .size:           2
        .value_kind:     hidden_group_size_z
      - .offset:         162
        .size:           2
        .value_kind:     hidden_remainder_x
      - .offset:         164
        .size:           2
        .value_kind:     hidden_remainder_y
      - .offset:         166
        .size:           2
        .value_kind:     hidden_remainder_z
      - .offset:         184
        .size:           8
        .value_kind:     hidden_global_offset_x
      - .offset:         192
        .size:           8
        .value_kind:     hidden_global_offset_y
      - .offset:         200
        .size:           8
        .value_kind:     hidden_global_offset_z
      - .offset:         208
        .size:           2
        .value_kind:     hidden_grid_dims
    .group_segment_fixed_size: 17472
    .kernarg_segment_align: 8
    .kernarg_segment_size: 400
    .language:       OpenCL C
    .language_version:
      - 2
      - 0
    .max_flat_workgroup_size: 256
    .name:           _Z39paged_attention_ll4mi_QKV_mfma16_kernelI14__hip_bfloat16hLN4vllm18Fp8KVCacheDataTypeE1EhLi32ELi128ELi256ELb1ELi14EL8MFMAType1EEvPKT_PKT0_S9_ifPKiSB_SB_iPKfiiiPfSE_PS4_PT2_iSD_SD_
    .private_segment_fixed_size: 0
    .sgpr_count:     38
    .sgpr_spill_count: 0
    .symbol:         _Z39paged_attention_ll4mi_QKV_mfma16_kernelI14__hip_bfloat16hLN4vllm18Fp8KVCacheDataTypeE1EhLi32ELi128ELi256ELb1ELi14EL8MFMAType1EEvPKT_PKT0_S9_ifPKiSB_SB_iPKfiiiPfSE_PS4_PT2_iSD_SD_.kd
    .uniform_work_group_size: 1
    .uses_dynamic_stack: false
    .vgpr_count:     140
    .vgpr_spill_count: 0
    .wavefront_size: 32
    .workgroup_processor_mode: 1
  - .args:
      - .actual_access:  read_only
        .address_space:  global
        .offset:         0
        .size:           8
        .value_kind:     global_buffer
      - .actual_access:  read_only
        .address_space:  global
        .offset:         8
        .size:           8
        .value_kind:     global_buffer
      - .actual_access:  read_only
        .address_space:  global
        .offset:         16
        .size:           8
        .value_kind:     global_buffer
      - .offset:         24
        .size:           4
        .value_kind:     by_value
      - .offset:         28
        .size:           4
        .value_kind:     by_value
      - .actual_access:  read_only
        .address_space:  global
        .offset:         32
        .size:           8
        .value_kind:     global_buffer
      - .actual_access:  read_only
        .address_space:  global
        .offset:         40
        .size:           8
        .value_kind:     global_buffer
      - .actual_access:  read_only
        .address_space:  global
        .offset:         48
        .size:           8
        .value_kind:     global_buffer
      - .offset:         56
        .size:           4
        .value_kind:     by_value
      - .actual_access:  read_only
        .address_space:  global
        .offset:         64
        .size:           8
        .value_kind:     global_buffer
      - .offset:         72
        .size:           4
        .value_kind:     by_value
      - .offset:         76
        .size:           4
        .value_kind:     by_value
      - .offset:         80
        .size:           4
        .value_kind:     by_value
      - .actual_access:  write_only
        .address_space:  global
        .offset:         88
        .size:           8
        .value_kind:     global_buffer
      - .actual_access:  write_only
        .address_space:  global
        .offset:         96
        .size:           8
        .value_kind:     global_buffer
      - .actual_access:  write_only
        .address_space:  global
        .offset:         104
        .size:           8
        .value_kind:     global_buffer
      - .actual_access:  read_only
        .address_space:  global
        .offset:         112
        .size:           8
        .value_kind:     global_buffer
      - .offset:         120
        .size:           4
        .value_kind:     by_value
      - .address_space:  global
        .offset:         128
        .size:           8
        .value_kind:     global_buffer
      - .address_space:  global
        .offset:         136
        .size:           8
        .value_kind:     global_buffer
      - .offset:         144
        .size:           4
        .value_kind:     hidden_block_count_x
      - .offset:         148
        .size:           4
        .value_kind:     hidden_block_count_y
      - .offset:         152
        .size:           4
        .value_kind:     hidden_block_count_z
      - .offset:         156
        .size:           2
        .value_kind:     hidden_group_size_x
      - .offset:         158
        .size:           2
        .value_kind:     hidden_group_size_y
      - .offset:         160
        .size:           2
        .value_kind:     hidden_group_size_z
      - .offset:         162
        .size:           2
        .value_kind:     hidden_remainder_x
      - .offset:         164
        .size:           2
        .value_kind:     hidden_remainder_y
      - .offset:         166
        .size:           2
        .value_kind:     hidden_remainder_z
      - .offset:         184
        .size:           8
        .value_kind:     hidden_global_offset_x
      - .offset:         192
        .size:           8
        .value_kind:     hidden_global_offset_y
      - .offset:         200
        .size:           8
        .value_kind:     hidden_global_offset_z
      - .offset:         208
        .size:           2
        .value_kind:     hidden_grid_dims
    .group_segment_fixed_size: 17472
    .kernarg_segment_align: 8
    .kernarg_segment_size: 400
    .language:       OpenCL C
    .language_version:
      - 2
      - 0
    .max_flat_workgroup_size: 256
    .name:           _Z39paged_attention_ll4mi_QKV_mfma16_kernelI14__hip_bfloat16hLN4vllm18Fp8KVCacheDataTypeE1EhLi32ELi128ELi256ELb1ELi15EL8MFMAType1EEvPKT_PKT0_S9_ifPKiSB_SB_iPKfiiiPfSE_PS4_PT2_iSD_SD_
    .private_segment_fixed_size: 0
    .sgpr_count:     38
    .sgpr_spill_count: 0
    .symbol:         _Z39paged_attention_ll4mi_QKV_mfma16_kernelI14__hip_bfloat16hLN4vllm18Fp8KVCacheDataTypeE1EhLi32ELi128ELi256ELb1ELi15EL8MFMAType1EEvPKT_PKT0_S9_ifPKiSB_SB_iPKfiiiPfSE_PS4_PT2_iSD_SD_.kd
    .uniform_work_group_size: 1
    .uses_dynamic_stack: false
    .vgpr_count:     140
    .vgpr_spill_count: 0
    .wavefront_size: 32
    .workgroup_processor_mode: 1
  - .args:
      - .actual_access:  read_only
        .address_space:  global
        .offset:         0
        .size:           8
        .value_kind:     global_buffer
      - .actual_access:  read_only
        .address_space:  global
        .offset:         8
        .size:           8
        .value_kind:     global_buffer
      - .actual_access:  read_only
        .address_space:  global
        .offset:         16
        .size:           8
        .value_kind:     global_buffer
      - .offset:         24
        .size:           4
        .value_kind:     by_value
      - .offset:         28
        .size:           4
        .value_kind:     by_value
      - .actual_access:  read_only
        .address_space:  global
        .offset:         32
        .size:           8
        .value_kind:     global_buffer
      - .actual_access:  read_only
        .address_space:  global
        .offset:         40
        .size:           8
        .value_kind:     global_buffer
      - .actual_access:  read_only
        .address_space:  global
        .offset:         48
        .size:           8
        .value_kind:     global_buffer
      - .offset:         56
        .size:           4
        .value_kind:     by_value
      - .actual_access:  read_only
        .address_space:  global
        .offset:         64
        .size:           8
        .value_kind:     global_buffer
      - .offset:         72
        .size:           4
        .value_kind:     by_value
      - .offset:         76
        .size:           4
        .value_kind:     by_value
      - .offset:         80
        .size:           4
        .value_kind:     by_value
      - .actual_access:  write_only
        .address_space:  global
        .offset:         88
        .size:           8
        .value_kind:     global_buffer
      - .actual_access:  write_only
        .address_space:  global
        .offset:         96
        .size:           8
        .value_kind:     global_buffer
      - .actual_access:  write_only
        .address_space:  global
        .offset:         104
        .size:           8
        .value_kind:     global_buffer
      - .actual_access:  read_only
        .address_space:  global
        .offset:         112
        .size:           8
        .value_kind:     global_buffer
      - .offset:         120
        .size:           4
        .value_kind:     by_value
      - .address_space:  global
        .offset:         128
        .size:           8
        .value_kind:     global_buffer
      - .address_space:  global
        .offset:         136
        .size:           8
        .value_kind:     global_buffer
      - .offset:         144
        .size:           4
        .value_kind:     hidden_block_count_x
      - .offset:         148
        .size:           4
        .value_kind:     hidden_block_count_y
      - .offset:         152
        .size:           4
        .value_kind:     hidden_block_count_z
      - .offset:         156
        .size:           2
        .value_kind:     hidden_group_size_x
      - .offset:         158
        .size:           2
        .value_kind:     hidden_group_size_y
      - .offset:         160
        .size:           2
        .value_kind:     hidden_group_size_z
      - .offset:         162
        .size:           2
        .value_kind:     hidden_remainder_x
      - .offset:         164
        .size:           2
        .value_kind:     hidden_remainder_y
      - .offset:         166
        .size:           2
        .value_kind:     hidden_remainder_z
      - .offset:         184
        .size:           8
        .value_kind:     hidden_global_offset_x
      - .offset:         192
        .size:           8
        .value_kind:     hidden_global_offset_y
      - .offset:         200
        .size:           8
        .value_kind:     hidden_global_offset_z
      - .offset:         208
        .size:           2
        .value_kind:     hidden_grid_dims
    .group_segment_fixed_size: 17472
    .kernarg_segment_align: 8
    .kernarg_segment_size: 400
    .language:       OpenCL C
    .language_version:
      - 2
      - 0
    .max_flat_workgroup_size: 256
    .name:           _Z39paged_attention_ll4mi_QKV_mfma16_kernelI14__hip_bfloat16hLN4vllm18Fp8KVCacheDataTypeE1EhLi32ELi128ELi256ELb1ELi16EL8MFMAType1EEvPKT_PKT0_S9_ifPKiSB_SB_iPKfiiiPfSE_PS4_PT2_iSD_SD_
    .private_segment_fixed_size: 0
    .sgpr_count:     38
    .sgpr_spill_count: 0
    .symbol:         _Z39paged_attention_ll4mi_QKV_mfma16_kernelI14__hip_bfloat16hLN4vllm18Fp8KVCacheDataTypeE1EhLi32ELi128ELi256ELb1ELi16EL8MFMAType1EEvPKT_PKT0_S9_ifPKiSB_SB_iPKfiiiPfSE_PS4_PT2_iSD_SD_.kd
    .uniform_work_group_size: 1
    .uses_dynamic_stack: false
    .vgpr_count:     141
    .vgpr_spill_count: 0
    .wavefront_size: 32
    .workgroup_processor_mode: 1
  - .args:
      - .actual_access:  read_only
        .address_space:  global
        .offset:         0
        .size:           8
        .value_kind:     global_buffer
      - .actual_access:  read_only
        .address_space:  global
        .offset:         8
        .size:           8
        .value_kind:     global_buffer
      - .actual_access:  read_only
        .address_space:  global
        .offset:         16
        .size:           8
        .value_kind:     global_buffer
      - .offset:         24
        .size:           4
        .value_kind:     by_value
      - .offset:         28
        .size:           4
        .value_kind:     by_value
      - .actual_access:  read_only
        .address_space:  global
        .offset:         32
        .size:           8
        .value_kind:     global_buffer
      - .actual_access:  read_only
        .address_space:  global
        .offset:         40
        .size:           8
        .value_kind:     global_buffer
      - .actual_access:  read_only
        .address_space:  global
        .offset:         48
        .size:           8
        .value_kind:     global_buffer
      - .offset:         56
        .size:           4
        .value_kind:     by_value
      - .actual_access:  read_only
        .address_space:  global
        .offset:         64
        .size:           8
        .value_kind:     global_buffer
      - .offset:         72
        .size:           4
        .value_kind:     by_value
      - .offset:         76
        .size:           4
        .value_kind:     by_value
      - .offset:         80
        .size:           4
        .value_kind:     by_value
      - .actual_access:  write_only
        .address_space:  global
        .offset:         88
        .size:           8
        .value_kind:     global_buffer
      - .actual_access:  write_only
        .address_space:  global
        .offset:         96
        .size:           8
        .value_kind:     global_buffer
      - .actual_access:  write_only
        .address_space:  global
        .offset:         104
        .size:           8
        .value_kind:     global_buffer
      - .actual_access:  read_only
        .address_space:  global
        .offset:         112
        .size:           8
        .value_kind:     global_buffer
      - .offset:         120
        .size:           4
        .value_kind:     by_value
      - .address_space:  global
        .offset:         128
        .size:           8
        .value_kind:     global_buffer
      - .address_space:  global
        .offset:         136
        .size:           8
        .value_kind:     global_buffer
      - .offset:         144
        .size:           4
        .value_kind:     hidden_block_count_x
      - .offset:         148
        .size:           4
        .value_kind:     hidden_block_count_y
      - .offset:         152
        .size:           4
        .value_kind:     hidden_block_count_z
      - .offset:         156
        .size:           2
        .value_kind:     hidden_group_size_x
      - .offset:         158
        .size:           2
        .value_kind:     hidden_group_size_y
      - .offset:         160
        .size:           2
        .value_kind:     hidden_group_size_z
      - .offset:         162
        .size:           2
        .value_kind:     hidden_remainder_x
      - .offset:         164
        .size:           2
        .value_kind:     hidden_remainder_y
      - .offset:         166
        .size:           2
        .value_kind:     hidden_remainder_z
      - .offset:         184
        .size:           8
        .value_kind:     hidden_global_offset_x
      - .offset:         192
        .size:           8
        .value_kind:     hidden_global_offset_y
      - .offset:         200
        .size:           8
        .value_kind:     hidden_global_offset_z
      - .offset:         208
        .size:           2
        .value_kind:     hidden_grid_dims
    .group_segment_fixed_size: 17472
    .kernarg_segment_align: 8
    .kernarg_segment_size: 400
    .language:       OpenCL C
    .language_version:
      - 2
      - 0
    .max_flat_workgroup_size: 256
    .name:           _Z39paged_attention_ll4mi_QKV_mfma16_kernelI14__hip_bfloat16hLN4vllm18Fp8KVCacheDataTypeE1EhLi32ELi128ELi256ELb1ELi1EL8MFMAType1EEvPKT_PKT0_S9_ifPKiSB_SB_iPKfiiiPfSE_PS4_PT2_iSD_SD_
    .private_segment_fixed_size: 0
    .sgpr_count:     70
    .sgpr_spill_count: 0
    .symbol:         _Z39paged_attention_ll4mi_QKV_mfma16_kernelI14__hip_bfloat16hLN4vllm18Fp8KVCacheDataTypeE1EhLi32ELi128ELi256ELb1ELi1EL8MFMAType1EEvPKT_PKT0_S9_ifPKiSB_SB_iPKfiiiPfSE_PS4_PT2_iSD_SD_.kd
    .uniform_work_group_size: 1
    .uses_dynamic_stack: false
    .vgpr_count:     138
    .vgpr_spill_count: 0
    .wavefront_size: 32
    .workgroup_processor_mode: 1
  - .args:
      - .actual_access:  read_only
        .address_space:  global
        .offset:         0
        .size:           8
        .value_kind:     global_buffer
      - .actual_access:  read_only
        .address_space:  global
        .offset:         8
        .size:           8
        .value_kind:     global_buffer
      - .actual_access:  read_only
        .address_space:  global
        .offset:         16
        .size:           8
        .value_kind:     global_buffer
      - .offset:         24
        .size:           4
        .value_kind:     by_value
      - .offset:         28
        .size:           4
        .value_kind:     by_value
      - .actual_access:  read_only
        .address_space:  global
        .offset:         32
        .size:           8
        .value_kind:     global_buffer
      - .actual_access:  read_only
        .address_space:  global
        .offset:         40
        .size:           8
        .value_kind:     global_buffer
      - .actual_access:  read_only
        .address_space:  global
        .offset:         48
        .size:           8
        .value_kind:     global_buffer
      - .offset:         56
        .size:           4
        .value_kind:     by_value
      - .actual_access:  read_only
        .address_space:  global
        .offset:         64
        .size:           8
        .value_kind:     global_buffer
      - .offset:         72
        .size:           4
        .value_kind:     by_value
      - .offset:         76
        .size:           4
        .value_kind:     by_value
      - .offset:         80
        .size:           4
        .value_kind:     by_value
      - .actual_access:  write_only
        .address_space:  global
        .offset:         88
        .size:           8
        .value_kind:     global_buffer
      - .actual_access:  write_only
        .address_space:  global
        .offset:         96
        .size:           8
        .value_kind:     global_buffer
      - .actual_access:  write_only
        .address_space:  global
        .offset:         104
        .size:           8
        .value_kind:     global_buffer
      - .actual_access:  read_only
        .address_space:  global
        .offset:         112
        .size:           8
        .value_kind:     global_buffer
      - .offset:         120
        .size:           4
        .value_kind:     by_value
      - .address_space:  global
        .offset:         128
        .size:           8
        .value_kind:     global_buffer
      - .address_space:  global
        .offset:         136
        .size:           8
        .value_kind:     global_buffer
      - .offset:         144
        .size:           4
        .value_kind:     hidden_block_count_x
      - .offset:         148
        .size:           4
        .value_kind:     hidden_block_count_y
      - .offset:         152
        .size:           4
        .value_kind:     hidden_block_count_z
      - .offset:         156
        .size:           2
        .value_kind:     hidden_group_size_x
      - .offset:         158
        .size:           2
        .value_kind:     hidden_group_size_y
      - .offset:         160
        .size:           2
        .value_kind:     hidden_group_size_z
      - .offset:         162
        .size:           2
        .value_kind:     hidden_remainder_x
      - .offset:         164
        .size:           2
        .value_kind:     hidden_remainder_y
      - .offset:         166
        .size:           2
        .value_kind:     hidden_remainder_z
      - .offset:         184
        .size:           8
        .value_kind:     hidden_global_offset_x
      - .offset:         192
        .size:           8
        .value_kind:     hidden_global_offset_y
      - .offset:         200
        .size:           8
        .value_kind:     hidden_global_offset_z
      - .offset:         208
        .size:           2
        .value_kind:     hidden_grid_dims
    .group_segment_fixed_size: 17472
    .kernarg_segment_align: 8
    .kernarg_segment_size: 400
    .language:       OpenCL C
    .language_version:
      - 2
      - 0
    .max_flat_workgroup_size: 256
    .name:           _Z39paged_attention_ll4mi_QKV_mfma16_kernelI14__hip_bfloat16hLN4vllm18Fp8KVCacheDataTypeE1EhLi32ELi128ELi256ELb1ELi2EL8MFMAType1EEvPKT_PKT0_S9_ifPKiSB_SB_iPKfiiiPfSE_PS4_PT2_iSD_SD_
    .private_segment_fixed_size: 0
    .sgpr_count:     39
    .sgpr_spill_count: 0
    .symbol:         _Z39paged_attention_ll4mi_QKV_mfma16_kernelI14__hip_bfloat16hLN4vllm18Fp8KVCacheDataTypeE1EhLi32ELi128ELi256ELb1ELi2EL8MFMAType1EEvPKT_PKT0_S9_ifPKiSB_SB_iPKfiiiPfSE_PS4_PT2_iSD_SD_.kd
    .uniform_work_group_size: 1
    .uses_dynamic_stack: false
    .vgpr_count:     138
    .vgpr_spill_count: 0
    .wavefront_size: 32
    .workgroup_processor_mode: 1
  - .args:
      - .actual_access:  read_only
        .address_space:  global
        .offset:         0
        .size:           8
        .value_kind:     global_buffer
      - .actual_access:  read_only
        .address_space:  global
        .offset:         8
        .size:           8
        .value_kind:     global_buffer
      - .actual_access:  read_only
        .address_space:  global
        .offset:         16
        .size:           8
        .value_kind:     global_buffer
      - .offset:         24
        .size:           4
        .value_kind:     by_value
      - .offset:         28
        .size:           4
        .value_kind:     by_value
      - .actual_access:  read_only
        .address_space:  global
        .offset:         32
        .size:           8
        .value_kind:     global_buffer
      - .actual_access:  read_only
        .address_space:  global
        .offset:         40
        .size:           8
        .value_kind:     global_buffer
      - .actual_access:  read_only
        .address_space:  global
        .offset:         48
        .size:           8
        .value_kind:     global_buffer
      - .offset:         56
        .size:           4
        .value_kind:     by_value
      - .actual_access:  read_only
        .address_space:  global
        .offset:         64
        .size:           8
        .value_kind:     global_buffer
      - .offset:         72
        .size:           4
        .value_kind:     by_value
      - .offset:         76
        .size:           4
        .value_kind:     by_value
      - .offset:         80
        .size:           4
        .value_kind:     by_value
      - .actual_access:  write_only
        .address_space:  global
        .offset:         88
        .size:           8
        .value_kind:     global_buffer
      - .actual_access:  write_only
        .address_space:  global
        .offset:         96
        .size:           8
        .value_kind:     global_buffer
      - .actual_access:  write_only
        .address_space:  global
        .offset:         104
        .size:           8
        .value_kind:     global_buffer
      - .actual_access:  read_only
        .address_space:  global
        .offset:         112
        .size:           8
        .value_kind:     global_buffer
      - .offset:         120
        .size:           4
        .value_kind:     by_value
      - .address_space:  global
        .offset:         128
        .size:           8
        .value_kind:     global_buffer
      - .address_space:  global
        .offset:         136
        .size:           8
        .value_kind:     global_buffer
      - .offset:         144
        .size:           4
        .value_kind:     hidden_block_count_x
      - .offset:         148
        .size:           4
        .value_kind:     hidden_block_count_y
      - .offset:         152
        .size:           4
        .value_kind:     hidden_block_count_z
      - .offset:         156
        .size:           2
        .value_kind:     hidden_group_size_x
      - .offset:         158
        .size:           2
        .value_kind:     hidden_group_size_y
      - .offset:         160
        .size:           2
        .value_kind:     hidden_group_size_z
      - .offset:         162
        .size:           2
        .value_kind:     hidden_remainder_x
      - .offset:         164
        .size:           2
        .value_kind:     hidden_remainder_y
      - .offset:         166
        .size:           2
        .value_kind:     hidden_remainder_z
      - .offset:         184
        .size:           8
        .value_kind:     hidden_global_offset_x
      - .offset:         192
        .size:           8
        .value_kind:     hidden_global_offset_y
      - .offset:         200
        .size:           8
        .value_kind:     hidden_global_offset_z
      - .offset:         208
        .size:           2
        .value_kind:     hidden_grid_dims
    .group_segment_fixed_size: 17472
    .kernarg_segment_align: 8
    .kernarg_segment_size: 400
    .language:       OpenCL C
    .language_version:
      - 2
      - 0
    .max_flat_workgroup_size: 256
    .name:           _Z39paged_attention_ll4mi_QKV_mfma16_kernelI14__hip_bfloat16hLN4vllm18Fp8KVCacheDataTypeE1EhLi32ELi128ELi256ELb1ELi3EL8MFMAType1EEvPKT_PKT0_S9_ifPKiSB_SB_iPKfiiiPfSE_PS4_PT2_iSD_SD_
    .private_segment_fixed_size: 0
    .sgpr_count:     38
    .sgpr_spill_count: 0
    .symbol:         _Z39paged_attention_ll4mi_QKV_mfma16_kernelI14__hip_bfloat16hLN4vllm18Fp8KVCacheDataTypeE1EhLi32ELi128ELi256ELb1ELi3EL8MFMAType1EEvPKT_PKT0_S9_ifPKiSB_SB_iPKfiiiPfSE_PS4_PT2_iSD_SD_.kd
    .uniform_work_group_size: 1
    .uses_dynamic_stack: false
    .vgpr_count:     140
    .vgpr_spill_count: 0
    .wavefront_size: 32
    .workgroup_processor_mode: 1
  - .args:
      - .actual_access:  read_only
        .address_space:  global
        .offset:         0
        .size:           8
        .value_kind:     global_buffer
      - .actual_access:  read_only
        .address_space:  global
        .offset:         8
        .size:           8
        .value_kind:     global_buffer
      - .actual_access:  read_only
        .address_space:  global
        .offset:         16
        .size:           8
        .value_kind:     global_buffer
      - .offset:         24
        .size:           4
        .value_kind:     by_value
      - .offset:         28
        .size:           4
        .value_kind:     by_value
      - .actual_access:  read_only
        .address_space:  global
        .offset:         32
        .size:           8
        .value_kind:     global_buffer
      - .actual_access:  read_only
        .address_space:  global
        .offset:         40
        .size:           8
        .value_kind:     global_buffer
      - .actual_access:  read_only
        .address_space:  global
        .offset:         48
        .size:           8
        .value_kind:     global_buffer
      - .offset:         56
        .size:           4
        .value_kind:     by_value
      - .actual_access:  read_only
        .address_space:  global
        .offset:         64
        .size:           8
        .value_kind:     global_buffer
      - .offset:         72
        .size:           4
        .value_kind:     by_value
      - .offset:         76
        .size:           4
        .value_kind:     by_value
      - .offset:         80
        .size:           4
        .value_kind:     by_value
      - .actual_access:  write_only
        .address_space:  global
        .offset:         88
        .size:           8
        .value_kind:     global_buffer
      - .actual_access:  write_only
        .address_space:  global
        .offset:         96
        .size:           8
        .value_kind:     global_buffer
      - .actual_access:  write_only
        .address_space:  global
        .offset:         104
        .size:           8
        .value_kind:     global_buffer
      - .actual_access:  read_only
        .address_space:  global
        .offset:         112
        .size:           8
        .value_kind:     global_buffer
      - .offset:         120
        .size:           4
        .value_kind:     by_value
      - .address_space:  global
        .offset:         128
        .size:           8
        .value_kind:     global_buffer
      - .address_space:  global
        .offset:         136
        .size:           8
        .value_kind:     global_buffer
      - .offset:         144
        .size:           4
        .value_kind:     hidden_block_count_x
      - .offset:         148
        .size:           4
        .value_kind:     hidden_block_count_y
      - .offset:         152
        .size:           4
        .value_kind:     hidden_block_count_z
      - .offset:         156
        .size:           2
        .value_kind:     hidden_group_size_x
      - .offset:         158
        .size:           2
        .value_kind:     hidden_group_size_y
      - .offset:         160
        .size:           2
        .value_kind:     hidden_group_size_z
      - .offset:         162
        .size:           2
        .value_kind:     hidden_remainder_x
      - .offset:         164
        .size:           2
        .value_kind:     hidden_remainder_y
      - .offset:         166
        .size:           2
        .value_kind:     hidden_remainder_z
      - .offset:         184
        .size:           8
        .value_kind:     hidden_global_offset_x
      - .offset:         192
        .size:           8
        .value_kind:     hidden_global_offset_y
      - .offset:         200
        .size:           8
        .value_kind:     hidden_global_offset_z
      - .offset:         208
        .size:           2
        .value_kind:     hidden_grid_dims
    .group_segment_fixed_size: 17472
    .kernarg_segment_align: 8
    .kernarg_segment_size: 400
    .language:       OpenCL C
    .language_version:
      - 2
      - 0
    .max_flat_workgroup_size: 256
    .name:           _Z39paged_attention_ll4mi_QKV_mfma16_kernelI14__hip_bfloat16hLN4vllm18Fp8KVCacheDataTypeE1EhLi32ELi128ELi256ELb1ELi4EL8MFMAType1EEvPKT_PKT0_S9_ifPKiSB_SB_iPKfiiiPfSE_PS4_PT2_iSD_SD_
    .private_segment_fixed_size: 0
    .sgpr_count:     38
    .sgpr_spill_count: 0
    .symbol:         _Z39paged_attention_ll4mi_QKV_mfma16_kernelI14__hip_bfloat16hLN4vllm18Fp8KVCacheDataTypeE1EhLi32ELi128ELi256ELb1ELi4EL8MFMAType1EEvPKT_PKT0_S9_ifPKiSB_SB_iPKfiiiPfSE_PS4_PT2_iSD_SD_.kd
    .uniform_work_group_size: 1
    .uses_dynamic_stack: false
    .vgpr_count:     140
    .vgpr_spill_count: 0
    .wavefront_size: 32
    .workgroup_processor_mode: 1
  - .args:
      - .actual_access:  read_only
        .address_space:  global
        .offset:         0
        .size:           8
        .value_kind:     global_buffer
      - .actual_access:  read_only
        .address_space:  global
        .offset:         8
        .size:           8
        .value_kind:     global_buffer
      - .actual_access:  read_only
        .address_space:  global
        .offset:         16
        .size:           8
        .value_kind:     global_buffer
      - .offset:         24
        .size:           4
        .value_kind:     by_value
      - .offset:         28
        .size:           4
        .value_kind:     by_value
      - .actual_access:  read_only
        .address_space:  global
        .offset:         32
        .size:           8
        .value_kind:     global_buffer
      - .actual_access:  read_only
        .address_space:  global
        .offset:         40
        .size:           8
        .value_kind:     global_buffer
      - .actual_access:  read_only
        .address_space:  global
        .offset:         48
        .size:           8
        .value_kind:     global_buffer
      - .offset:         56
        .size:           4
        .value_kind:     by_value
      - .actual_access:  read_only
        .address_space:  global
        .offset:         64
        .size:           8
        .value_kind:     global_buffer
      - .offset:         72
        .size:           4
        .value_kind:     by_value
      - .offset:         76
        .size:           4
        .value_kind:     by_value
      - .offset:         80
        .size:           4
        .value_kind:     by_value
      - .actual_access:  read_only
        .address_space:  global
        .offset:         88
        .size:           8
        .value_kind:     global_buffer
      - .actual_access:  read_only
        .address_space:  global
        .offset:         96
        .size:           8
        .value_kind:     global_buffer
      - .actual_access:  read_only
        .address_space:  global
        .offset:         104
        .size:           8
        .value_kind:     global_buffer
      - .actual_access:  read_only
        .address_space:  global
        .offset:         112
        .size:           8
        .value_kind:     global_buffer
      - .offset:         120
        .size:           4
        .value_kind:     by_value
      - .address_space:  global
        .offset:         128
        .size:           8
        .value_kind:     global_buffer
      - .address_space:  global
        .offset:         136
        .size:           8
        .value_kind:     global_buffer
      - .offset:         144
        .size:           4
        .value_kind:     hidden_block_count_x
      - .offset:         148
        .size:           4
        .value_kind:     hidden_block_count_y
      - .offset:         152
        .size:           4
        .value_kind:     hidden_block_count_z
      - .offset:         156
        .size:           2
        .value_kind:     hidden_group_size_x
      - .offset:         158
        .size:           2
        .value_kind:     hidden_group_size_y
      - .offset:         160
        .size:           2
        .value_kind:     hidden_group_size_z
      - .offset:         162
        .size:           2
        .value_kind:     hidden_remainder_x
      - .offset:         164
        .size:           2
        .value_kind:     hidden_remainder_y
      - .offset:         166
        .size:           2
        .value_kind:     hidden_remainder_z
      - .offset:         184
        .size:           8
        .value_kind:     hidden_global_offset_x
      - .offset:         192
        .size:           8
        .value_kind:     hidden_global_offset_y
      - .offset:         200
        .size:           8
        .value_kind:     hidden_global_offset_z
      - .offset:         208
        .size:           2
        .value_kind:     hidden_grid_dims
      - .offset:         224
        .size:           8
        .value_kind:     hidden_hostcall_buffer
    .group_segment_fixed_size: 0
    .kernarg_segment_align: 8
    .kernarg_segment_size: 400
    .language:       OpenCL C
    .language_version:
      - 2
      - 0
    .max_flat_workgroup_size: 256
    .name:           _Z38paged_attention_ll4mi_QKV_mfma4_kernelI14__hip_bfloat16hLN4vllm18Fp8KVCacheDataTypeE1EhLi32ELi128ELi256ELb0ELi1EEvPKT_PKT0_S8_ifPKiSA_SA_iPKfiiiPfSD_PS3_PT2_iSC_SC_
    .private_segment_fixed_size: 64
    .sgpr_count:     36
    .sgpr_spill_count: 0
    .symbol:         _Z38paged_attention_ll4mi_QKV_mfma4_kernelI14__hip_bfloat16hLN4vllm18Fp8KVCacheDataTypeE1EhLi32ELi128ELi256ELb0ELi1EEvPKT_PKT0_S8_ifPKiSA_SA_iPKfiiiPfSD_PS3_PT2_iSC_SC_.kd
    .uniform_work_group_size: 1
    .uses_dynamic_stack: false
    .vgpr_count:     41
    .vgpr_spill_count: 0
    .wavefront_size: 32
    .workgroup_processor_mode: 1
  - .args:
      - .actual_access:  read_only
        .address_space:  global
        .offset:         0
        .size:           8
        .value_kind:     global_buffer
      - .actual_access:  read_only
        .address_space:  global
        .offset:         8
        .size:           8
        .value_kind:     global_buffer
      - .actual_access:  read_only
        .address_space:  global
        .offset:         16
        .size:           8
        .value_kind:     global_buffer
      - .offset:         24
        .size:           4
        .value_kind:     by_value
      - .offset:         28
        .size:           4
        .value_kind:     by_value
      - .actual_access:  read_only
        .address_space:  global
        .offset:         32
        .size:           8
        .value_kind:     global_buffer
      - .actual_access:  read_only
        .address_space:  global
        .offset:         40
        .size:           8
        .value_kind:     global_buffer
      - .actual_access:  read_only
        .address_space:  global
        .offset:         48
        .size:           8
        .value_kind:     global_buffer
      - .offset:         56
        .size:           4
        .value_kind:     by_value
      - .actual_access:  read_only
        .address_space:  global
        .offset:         64
        .size:           8
        .value_kind:     global_buffer
      - .offset:         72
        .size:           4
        .value_kind:     by_value
      - .offset:         76
        .size:           4
        .value_kind:     by_value
      - .offset:         80
        .size:           4
        .value_kind:     by_value
      - .actual_access:  read_only
        .address_space:  global
        .offset:         88
        .size:           8
        .value_kind:     global_buffer
      - .actual_access:  read_only
        .address_space:  global
        .offset:         96
        .size:           8
        .value_kind:     global_buffer
      - .actual_access:  read_only
        .address_space:  global
        .offset:         104
        .size:           8
        .value_kind:     global_buffer
      - .actual_access:  read_only
        .address_space:  global
        .offset:         112
        .size:           8
        .value_kind:     global_buffer
      - .offset:         120
        .size:           4
        .value_kind:     by_value
      - .address_space:  global
        .offset:         128
        .size:           8
        .value_kind:     global_buffer
      - .address_space:  global
        .offset:         136
        .size:           8
        .value_kind:     global_buffer
      - .offset:         144
        .size:           4
        .value_kind:     hidden_block_count_x
      - .offset:         148
        .size:           4
        .value_kind:     hidden_block_count_y
      - .offset:         152
        .size:           4
        .value_kind:     hidden_block_count_z
      - .offset:         156
        .size:           2
        .value_kind:     hidden_group_size_x
      - .offset:         158
        .size:           2
        .value_kind:     hidden_group_size_y
      - .offset:         160
        .size:           2
        .value_kind:     hidden_group_size_z
      - .offset:         162
        .size:           2
        .value_kind:     hidden_remainder_x
      - .offset:         164
        .size:           2
        .value_kind:     hidden_remainder_y
      - .offset:         166
        .size:           2
        .value_kind:     hidden_remainder_z
      - .offset:         184
        .size:           8
        .value_kind:     hidden_global_offset_x
      - .offset:         192
        .size:           8
        .value_kind:     hidden_global_offset_y
      - .offset:         200
        .size:           8
        .value_kind:     hidden_global_offset_z
      - .offset:         208
        .size:           2
        .value_kind:     hidden_grid_dims
      - .offset:         224
        .size:           8
        .value_kind:     hidden_hostcall_buffer
    .group_segment_fixed_size: 0
    .kernarg_segment_align: 8
    .kernarg_segment_size: 400
    .language:       OpenCL C
    .language_version:
      - 2
      - 0
    .max_flat_workgroup_size: 256
    .name:           _Z38paged_attention_ll4mi_QKV_mfma4_kernelI14__hip_bfloat16hLN4vllm18Fp8KVCacheDataTypeE1EhLi32ELi128ELi256ELb0ELi2EEvPKT_PKT0_S8_ifPKiSA_SA_iPKfiiiPfSD_PS3_PT2_iSC_SC_
    .private_segment_fixed_size: 64
    .sgpr_count:     36
    .sgpr_spill_count: 0
    .symbol:         _Z38paged_attention_ll4mi_QKV_mfma4_kernelI14__hip_bfloat16hLN4vllm18Fp8KVCacheDataTypeE1EhLi32ELi128ELi256ELb0ELi2EEvPKT_PKT0_S8_ifPKiSA_SA_iPKfiiiPfSD_PS3_PT2_iSC_SC_.kd
    .uniform_work_group_size: 1
    .uses_dynamic_stack: false
    .vgpr_count:     41
    .vgpr_spill_count: 0
    .wavefront_size: 32
    .workgroup_processor_mode: 1
  - .args:
      - .actual_access:  read_only
        .address_space:  global
        .offset:         0
        .size:           8
        .value_kind:     global_buffer
      - .actual_access:  read_only
        .address_space:  global
        .offset:         8
        .size:           8
        .value_kind:     global_buffer
      - .actual_access:  read_only
        .address_space:  global
        .offset:         16
        .size:           8
        .value_kind:     global_buffer
      - .offset:         24
        .size:           4
        .value_kind:     by_value
      - .offset:         28
        .size:           4
        .value_kind:     by_value
      - .actual_access:  read_only
        .address_space:  global
        .offset:         32
        .size:           8
        .value_kind:     global_buffer
      - .actual_access:  read_only
        .address_space:  global
        .offset:         40
        .size:           8
        .value_kind:     global_buffer
      - .actual_access:  read_only
        .address_space:  global
        .offset:         48
        .size:           8
        .value_kind:     global_buffer
      - .offset:         56
        .size:           4
        .value_kind:     by_value
      - .actual_access:  read_only
        .address_space:  global
        .offset:         64
        .size:           8
        .value_kind:     global_buffer
      - .offset:         72
        .size:           4
        .value_kind:     by_value
      - .offset:         76
        .size:           4
        .value_kind:     by_value
      - .offset:         80
        .size:           4
        .value_kind:     by_value
      - .actual_access:  read_only
        .address_space:  global
        .offset:         88
        .size:           8
        .value_kind:     global_buffer
      - .actual_access:  read_only
        .address_space:  global
        .offset:         96
        .size:           8
        .value_kind:     global_buffer
      - .actual_access:  read_only
        .address_space:  global
        .offset:         104
        .size:           8
        .value_kind:     global_buffer
      - .actual_access:  read_only
        .address_space:  global
        .offset:         112
        .size:           8
        .value_kind:     global_buffer
      - .offset:         120
        .size:           4
        .value_kind:     by_value
      - .address_space:  global
        .offset:         128
        .size:           8
        .value_kind:     global_buffer
      - .address_space:  global
        .offset:         136
        .size:           8
        .value_kind:     global_buffer
      - .offset:         144
        .size:           4
        .value_kind:     hidden_block_count_x
      - .offset:         148
        .size:           4
        .value_kind:     hidden_block_count_y
      - .offset:         152
        .size:           4
        .value_kind:     hidden_block_count_z
      - .offset:         156
        .size:           2
        .value_kind:     hidden_group_size_x
      - .offset:         158
        .size:           2
        .value_kind:     hidden_group_size_y
      - .offset:         160
        .size:           2
        .value_kind:     hidden_group_size_z
      - .offset:         162
        .size:           2
        .value_kind:     hidden_remainder_x
      - .offset:         164
        .size:           2
        .value_kind:     hidden_remainder_y
      - .offset:         166
        .size:           2
        .value_kind:     hidden_remainder_z
      - .offset:         184
        .size:           8
        .value_kind:     hidden_global_offset_x
      - .offset:         192
        .size:           8
        .value_kind:     hidden_global_offset_y
      - .offset:         200
        .size:           8
        .value_kind:     hidden_global_offset_z
      - .offset:         208
        .size:           2
        .value_kind:     hidden_grid_dims
      - .offset:         224
        .size:           8
        .value_kind:     hidden_hostcall_buffer
    .group_segment_fixed_size: 0
    .kernarg_segment_align: 8
    .kernarg_segment_size: 400
    .language:       OpenCL C
    .language_version:
      - 2
      - 0
    .max_flat_workgroup_size: 256
    .name:           _Z38paged_attention_ll4mi_QKV_mfma4_kernelI14__hip_bfloat16hLN4vllm18Fp8KVCacheDataTypeE1EhLi32ELi128ELi256ELb0ELi3EEvPKT_PKT0_S8_ifPKiSA_SA_iPKfiiiPfSD_PS3_PT2_iSC_SC_
    .private_segment_fixed_size: 64
    .sgpr_count:     36
    .sgpr_spill_count: 0
    .symbol:         _Z38paged_attention_ll4mi_QKV_mfma4_kernelI14__hip_bfloat16hLN4vllm18Fp8KVCacheDataTypeE1EhLi32ELi128ELi256ELb0ELi3EEvPKT_PKT0_S8_ifPKiSA_SA_iPKfiiiPfSD_PS3_PT2_iSC_SC_.kd
    .uniform_work_group_size: 1
    .uses_dynamic_stack: false
    .vgpr_count:     41
    .vgpr_spill_count: 0
    .wavefront_size: 32
    .workgroup_processor_mode: 1
  - .args:
      - .actual_access:  read_only
        .address_space:  global
        .offset:         0
        .size:           8
        .value_kind:     global_buffer
      - .actual_access:  read_only
        .address_space:  global
        .offset:         8
        .size:           8
        .value_kind:     global_buffer
      - .actual_access:  read_only
        .address_space:  global
        .offset:         16
        .size:           8
        .value_kind:     global_buffer
      - .offset:         24
        .size:           4
        .value_kind:     by_value
      - .offset:         28
        .size:           4
        .value_kind:     by_value
      - .actual_access:  read_only
        .address_space:  global
        .offset:         32
        .size:           8
        .value_kind:     global_buffer
      - .actual_access:  read_only
        .address_space:  global
        .offset:         40
        .size:           8
        .value_kind:     global_buffer
      - .actual_access:  read_only
        .address_space:  global
        .offset:         48
        .size:           8
        .value_kind:     global_buffer
      - .offset:         56
        .size:           4
        .value_kind:     by_value
      - .actual_access:  read_only
        .address_space:  global
        .offset:         64
        .size:           8
        .value_kind:     global_buffer
      - .offset:         72
        .size:           4
        .value_kind:     by_value
      - .offset:         76
        .size:           4
        .value_kind:     by_value
      - .offset:         80
        .size:           4
        .value_kind:     by_value
      - .actual_access:  read_only
        .address_space:  global
        .offset:         88
        .size:           8
        .value_kind:     global_buffer
      - .actual_access:  read_only
        .address_space:  global
        .offset:         96
        .size:           8
        .value_kind:     global_buffer
      - .actual_access:  read_only
        .address_space:  global
        .offset:         104
        .size:           8
        .value_kind:     global_buffer
      - .actual_access:  read_only
        .address_space:  global
        .offset:         112
        .size:           8
        .value_kind:     global_buffer
      - .offset:         120
        .size:           4
        .value_kind:     by_value
      - .address_space:  global
        .offset:         128
        .size:           8
        .value_kind:     global_buffer
      - .address_space:  global
        .offset:         136
        .size:           8
        .value_kind:     global_buffer
      - .offset:         144
        .size:           4
        .value_kind:     hidden_block_count_x
      - .offset:         148
        .size:           4
        .value_kind:     hidden_block_count_y
      - .offset:         152
        .size:           4
        .value_kind:     hidden_block_count_z
      - .offset:         156
        .size:           2
        .value_kind:     hidden_group_size_x
      - .offset:         158
        .size:           2
        .value_kind:     hidden_group_size_y
      - .offset:         160
        .size:           2
        .value_kind:     hidden_group_size_z
      - .offset:         162
        .size:           2
        .value_kind:     hidden_remainder_x
      - .offset:         164
        .size:           2
        .value_kind:     hidden_remainder_y
      - .offset:         166
        .size:           2
        .value_kind:     hidden_remainder_z
      - .offset:         184
        .size:           8
        .value_kind:     hidden_global_offset_x
      - .offset:         192
        .size:           8
        .value_kind:     hidden_global_offset_y
      - .offset:         200
        .size:           8
        .value_kind:     hidden_global_offset_z
      - .offset:         208
        .size:           2
        .value_kind:     hidden_grid_dims
      - .offset:         224
        .size:           8
        .value_kind:     hidden_hostcall_buffer
    .group_segment_fixed_size: 0
    .kernarg_segment_align: 8
    .kernarg_segment_size: 400
    .language:       OpenCL C
    .language_version:
      - 2
      - 0
    .max_flat_workgroup_size: 256
    .name:           _Z38paged_attention_ll4mi_QKV_mfma4_kernelI14__hip_bfloat16hLN4vllm18Fp8KVCacheDataTypeE1EhLi32ELi128ELi256ELb0ELi4EEvPKT_PKT0_S8_ifPKiSA_SA_iPKfiiiPfSD_PS3_PT2_iSC_SC_
    .private_segment_fixed_size: 64
    .sgpr_count:     36
    .sgpr_spill_count: 0
    .symbol:         _Z38paged_attention_ll4mi_QKV_mfma4_kernelI14__hip_bfloat16hLN4vllm18Fp8KVCacheDataTypeE1EhLi32ELi128ELi256ELb0ELi4EEvPKT_PKT0_S8_ifPKiSA_SA_iPKfiiiPfSD_PS3_PT2_iSC_SC_.kd
    .uniform_work_group_size: 1
    .uses_dynamic_stack: false
    .vgpr_count:     41
    .vgpr_spill_count: 0
    .wavefront_size: 32
    .workgroup_processor_mode: 1
  - .args:
      - .actual_access:  read_only
        .address_space:  global
        .offset:         0
        .size:           8
        .value_kind:     global_buffer
      - .actual_access:  read_only
        .address_space:  global
        .offset:         8
        .size:           8
        .value_kind:     global_buffer
      - .actual_access:  read_only
        .address_space:  global
        .offset:         16
        .size:           8
        .value_kind:     global_buffer
      - .offset:         24
        .size:           4
        .value_kind:     by_value
      - .offset:         28
        .size:           4
        .value_kind:     by_value
      - .actual_access:  read_only
        .address_space:  global
        .offset:         32
        .size:           8
        .value_kind:     global_buffer
      - .actual_access:  read_only
        .address_space:  global
        .offset:         40
        .size:           8
        .value_kind:     global_buffer
      - .actual_access:  read_only
        .address_space:  global
        .offset:         48
        .size:           8
        .value_kind:     global_buffer
      - .offset:         56
        .size:           4
        .value_kind:     by_value
      - .actual_access:  read_only
        .address_space:  global
        .offset:         64
        .size:           8
        .value_kind:     global_buffer
      - .offset:         72
        .size:           4
        .value_kind:     by_value
      - .offset:         76
        .size:           4
        .value_kind:     by_value
      - .offset:         80
        .size:           4
        .value_kind:     by_value
      - .actual_access:  write_only
        .address_space:  global
        .offset:         88
        .size:           8
        .value_kind:     global_buffer
      - .actual_access:  write_only
        .address_space:  global
        .offset:         96
        .size:           8
        .value_kind:     global_buffer
      - .actual_access:  write_only
        .address_space:  global
        .offset:         104
        .size:           8
        .value_kind:     global_buffer
      - .actual_access:  read_only
        .address_space:  global
        .offset:         112
        .size:           8
        .value_kind:     global_buffer
      - .offset:         120
        .size:           4
        .value_kind:     by_value
      - .address_space:  global
        .offset:         128
        .size:           8
        .value_kind:     global_buffer
      - .address_space:  global
        .offset:         136
        .size:           8
        .value_kind:     global_buffer
      - .offset:         144
        .size:           4
        .value_kind:     hidden_block_count_x
      - .offset:         148
        .size:           4
        .value_kind:     hidden_block_count_y
      - .offset:         152
        .size:           4
        .value_kind:     hidden_block_count_z
      - .offset:         156
        .size:           2
        .value_kind:     hidden_group_size_x
      - .offset:         158
        .size:           2
        .value_kind:     hidden_group_size_y
      - .offset:         160
        .size:           2
        .value_kind:     hidden_group_size_z
      - .offset:         162
        .size:           2
        .value_kind:     hidden_remainder_x
      - .offset:         164
        .size:           2
        .value_kind:     hidden_remainder_y
      - .offset:         166
        .size:           2
        .value_kind:     hidden_remainder_z
      - .offset:         184
        .size:           8
        .value_kind:     hidden_global_offset_x
      - .offset:         192
        .size:           8
        .value_kind:     hidden_global_offset_y
      - .offset:         200
        .size:           8
        .value_kind:     hidden_global_offset_z
      - .offset:         208
        .size:           2
        .value_kind:     hidden_grid_dims
    .group_segment_fixed_size: 17472
    .kernarg_segment_align: 8
    .kernarg_segment_size: 400
    .language:       OpenCL C
    .language_version:
      - 2
      - 0
    .max_flat_workgroup_size: 256
    .name:           _Z39paged_attention_ll4mi_QKV_mfma16_kernelI14__hip_bfloat16hLN4vllm18Fp8KVCacheDataTypeE1EhLi32ELi128ELi256ELb0ELi5EL8MFMAType1EEvPKT_PKT0_S9_ifPKiSB_SB_iPKfiiiPfSE_PS4_PT2_iSD_SD_
    .private_segment_fixed_size: 0
    .sgpr_count:     38
    .sgpr_spill_count: 0
    .symbol:         _Z39paged_attention_ll4mi_QKV_mfma16_kernelI14__hip_bfloat16hLN4vllm18Fp8KVCacheDataTypeE1EhLi32ELi128ELi256ELb0ELi5EL8MFMAType1EEvPKT_PKT0_S9_ifPKiSB_SB_iPKfiiiPfSE_PS4_PT2_iSD_SD_.kd
    .uniform_work_group_size: 1
    .uses_dynamic_stack: false
    .vgpr_count:     140
    .vgpr_spill_count: 0
    .wavefront_size: 32
    .workgroup_processor_mode: 1
  - .args:
      - .actual_access:  read_only
        .address_space:  global
        .offset:         0
        .size:           8
        .value_kind:     global_buffer
      - .actual_access:  read_only
        .address_space:  global
        .offset:         8
        .size:           8
        .value_kind:     global_buffer
      - .actual_access:  read_only
        .address_space:  global
        .offset:         16
        .size:           8
        .value_kind:     global_buffer
      - .offset:         24
        .size:           4
        .value_kind:     by_value
      - .offset:         28
        .size:           4
        .value_kind:     by_value
      - .actual_access:  read_only
        .address_space:  global
        .offset:         32
        .size:           8
        .value_kind:     global_buffer
      - .actual_access:  read_only
        .address_space:  global
        .offset:         40
        .size:           8
        .value_kind:     global_buffer
      - .actual_access:  read_only
        .address_space:  global
        .offset:         48
        .size:           8
        .value_kind:     global_buffer
      - .offset:         56
        .size:           4
        .value_kind:     by_value
      - .actual_access:  read_only
        .address_space:  global
        .offset:         64
        .size:           8
        .value_kind:     global_buffer
      - .offset:         72
        .size:           4
        .value_kind:     by_value
      - .offset:         76
        .size:           4
        .value_kind:     by_value
      - .offset:         80
        .size:           4
        .value_kind:     by_value
      - .actual_access:  write_only
        .address_space:  global
        .offset:         88
        .size:           8
        .value_kind:     global_buffer
      - .actual_access:  write_only
        .address_space:  global
        .offset:         96
        .size:           8
        .value_kind:     global_buffer
      - .actual_access:  write_only
        .address_space:  global
        .offset:         104
        .size:           8
        .value_kind:     global_buffer
      - .actual_access:  read_only
        .address_space:  global
        .offset:         112
        .size:           8
        .value_kind:     global_buffer
      - .offset:         120
        .size:           4
        .value_kind:     by_value
      - .address_space:  global
        .offset:         128
        .size:           8
        .value_kind:     global_buffer
      - .address_space:  global
        .offset:         136
        .size:           8
        .value_kind:     global_buffer
      - .offset:         144
        .size:           4
        .value_kind:     hidden_block_count_x
      - .offset:         148
        .size:           4
        .value_kind:     hidden_block_count_y
      - .offset:         152
        .size:           4
        .value_kind:     hidden_block_count_z
      - .offset:         156
        .size:           2
        .value_kind:     hidden_group_size_x
      - .offset:         158
        .size:           2
        .value_kind:     hidden_group_size_y
      - .offset:         160
        .size:           2
        .value_kind:     hidden_group_size_z
      - .offset:         162
        .size:           2
        .value_kind:     hidden_remainder_x
      - .offset:         164
        .size:           2
        .value_kind:     hidden_remainder_y
      - .offset:         166
        .size:           2
        .value_kind:     hidden_remainder_z
      - .offset:         184
        .size:           8
        .value_kind:     hidden_global_offset_x
      - .offset:         192
        .size:           8
        .value_kind:     hidden_global_offset_y
      - .offset:         200
        .size:           8
        .value_kind:     hidden_global_offset_z
      - .offset:         208
        .size:           2
        .value_kind:     hidden_grid_dims
    .group_segment_fixed_size: 17472
    .kernarg_segment_align: 8
    .kernarg_segment_size: 400
    .language:       OpenCL C
    .language_version:
      - 2
      - 0
    .max_flat_workgroup_size: 256
    .name:           _Z39paged_attention_ll4mi_QKV_mfma16_kernelI14__hip_bfloat16hLN4vllm18Fp8KVCacheDataTypeE1EhLi32ELi128ELi256ELb0ELi6EL8MFMAType1EEvPKT_PKT0_S9_ifPKiSB_SB_iPKfiiiPfSE_PS4_PT2_iSD_SD_
    .private_segment_fixed_size: 0
    .sgpr_count:     38
    .sgpr_spill_count: 0
    .symbol:         _Z39paged_attention_ll4mi_QKV_mfma16_kernelI14__hip_bfloat16hLN4vllm18Fp8KVCacheDataTypeE1EhLi32ELi128ELi256ELb0ELi6EL8MFMAType1EEvPKT_PKT0_S9_ifPKiSB_SB_iPKfiiiPfSE_PS4_PT2_iSD_SD_.kd
    .uniform_work_group_size: 1
    .uses_dynamic_stack: false
    .vgpr_count:     140
    .vgpr_spill_count: 0
    .wavefront_size: 32
    .workgroup_processor_mode: 1
  - .args:
      - .actual_access:  read_only
        .address_space:  global
        .offset:         0
        .size:           8
        .value_kind:     global_buffer
      - .actual_access:  read_only
        .address_space:  global
        .offset:         8
        .size:           8
        .value_kind:     global_buffer
      - .actual_access:  read_only
        .address_space:  global
        .offset:         16
        .size:           8
        .value_kind:     global_buffer
      - .offset:         24
        .size:           4
        .value_kind:     by_value
      - .offset:         28
        .size:           4
        .value_kind:     by_value
      - .actual_access:  read_only
        .address_space:  global
        .offset:         32
        .size:           8
        .value_kind:     global_buffer
      - .actual_access:  read_only
        .address_space:  global
        .offset:         40
        .size:           8
        .value_kind:     global_buffer
      - .actual_access:  read_only
        .address_space:  global
        .offset:         48
        .size:           8
        .value_kind:     global_buffer
      - .offset:         56
        .size:           4
        .value_kind:     by_value
      - .actual_access:  read_only
        .address_space:  global
        .offset:         64
        .size:           8
        .value_kind:     global_buffer
      - .offset:         72
        .size:           4
        .value_kind:     by_value
      - .offset:         76
        .size:           4
        .value_kind:     by_value
      - .offset:         80
        .size:           4
        .value_kind:     by_value
      - .actual_access:  write_only
        .address_space:  global
        .offset:         88
        .size:           8
        .value_kind:     global_buffer
      - .actual_access:  write_only
        .address_space:  global
        .offset:         96
        .size:           8
        .value_kind:     global_buffer
      - .actual_access:  write_only
        .address_space:  global
        .offset:         104
        .size:           8
        .value_kind:     global_buffer
      - .actual_access:  read_only
        .address_space:  global
        .offset:         112
        .size:           8
        .value_kind:     global_buffer
      - .offset:         120
        .size:           4
        .value_kind:     by_value
      - .address_space:  global
        .offset:         128
        .size:           8
        .value_kind:     global_buffer
      - .address_space:  global
        .offset:         136
        .size:           8
        .value_kind:     global_buffer
      - .offset:         144
        .size:           4
        .value_kind:     hidden_block_count_x
      - .offset:         148
        .size:           4
        .value_kind:     hidden_block_count_y
      - .offset:         152
        .size:           4
        .value_kind:     hidden_block_count_z
      - .offset:         156
        .size:           2
        .value_kind:     hidden_group_size_x
      - .offset:         158
        .size:           2
        .value_kind:     hidden_group_size_y
      - .offset:         160
        .size:           2
        .value_kind:     hidden_group_size_z
      - .offset:         162
        .size:           2
        .value_kind:     hidden_remainder_x
      - .offset:         164
        .size:           2
        .value_kind:     hidden_remainder_y
      - .offset:         166
        .size:           2
        .value_kind:     hidden_remainder_z
      - .offset:         184
        .size:           8
        .value_kind:     hidden_global_offset_x
      - .offset:         192
        .size:           8
        .value_kind:     hidden_global_offset_y
      - .offset:         200
        .size:           8
        .value_kind:     hidden_global_offset_z
      - .offset:         208
        .size:           2
        .value_kind:     hidden_grid_dims
    .group_segment_fixed_size: 17472
    .kernarg_segment_align: 8
    .kernarg_segment_size: 400
    .language:       OpenCL C
    .language_version:
      - 2
      - 0
    .max_flat_workgroup_size: 256
    .name:           _Z39paged_attention_ll4mi_QKV_mfma16_kernelI14__hip_bfloat16hLN4vllm18Fp8KVCacheDataTypeE1EhLi32ELi128ELi256ELb0ELi7EL8MFMAType1EEvPKT_PKT0_S9_ifPKiSB_SB_iPKfiiiPfSE_PS4_PT2_iSD_SD_
    .private_segment_fixed_size: 0
    .sgpr_count:     38
    .sgpr_spill_count: 0
    .symbol:         _Z39paged_attention_ll4mi_QKV_mfma16_kernelI14__hip_bfloat16hLN4vllm18Fp8KVCacheDataTypeE1EhLi32ELi128ELi256ELb0ELi7EL8MFMAType1EEvPKT_PKT0_S9_ifPKiSB_SB_iPKfiiiPfSE_PS4_PT2_iSD_SD_.kd
    .uniform_work_group_size: 1
    .uses_dynamic_stack: false
    .vgpr_count:     140
    .vgpr_spill_count: 0
    .wavefront_size: 32
    .workgroup_processor_mode: 1
  - .args:
      - .actual_access:  read_only
        .address_space:  global
        .offset:         0
        .size:           8
        .value_kind:     global_buffer
      - .actual_access:  read_only
        .address_space:  global
        .offset:         8
        .size:           8
        .value_kind:     global_buffer
      - .actual_access:  read_only
        .address_space:  global
        .offset:         16
        .size:           8
        .value_kind:     global_buffer
      - .offset:         24
        .size:           4
        .value_kind:     by_value
      - .offset:         28
        .size:           4
        .value_kind:     by_value
      - .actual_access:  read_only
        .address_space:  global
        .offset:         32
        .size:           8
        .value_kind:     global_buffer
      - .actual_access:  read_only
        .address_space:  global
        .offset:         40
        .size:           8
        .value_kind:     global_buffer
      - .actual_access:  read_only
        .address_space:  global
        .offset:         48
        .size:           8
        .value_kind:     global_buffer
      - .offset:         56
        .size:           4
        .value_kind:     by_value
      - .actual_access:  read_only
        .address_space:  global
        .offset:         64
        .size:           8
        .value_kind:     global_buffer
      - .offset:         72
        .size:           4
        .value_kind:     by_value
      - .offset:         76
        .size:           4
        .value_kind:     by_value
      - .offset:         80
        .size:           4
        .value_kind:     by_value
      - .actual_access:  write_only
        .address_space:  global
        .offset:         88
        .size:           8
        .value_kind:     global_buffer
      - .actual_access:  write_only
        .address_space:  global
        .offset:         96
        .size:           8
        .value_kind:     global_buffer
      - .actual_access:  write_only
        .address_space:  global
        .offset:         104
        .size:           8
        .value_kind:     global_buffer
      - .actual_access:  read_only
        .address_space:  global
        .offset:         112
        .size:           8
        .value_kind:     global_buffer
      - .offset:         120
        .size:           4
        .value_kind:     by_value
      - .address_space:  global
        .offset:         128
        .size:           8
        .value_kind:     global_buffer
      - .address_space:  global
        .offset:         136
        .size:           8
        .value_kind:     global_buffer
      - .offset:         144
        .size:           4
        .value_kind:     hidden_block_count_x
      - .offset:         148
        .size:           4
        .value_kind:     hidden_block_count_y
      - .offset:         152
        .size:           4
        .value_kind:     hidden_block_count_z
      - .offset:         156
        .size:           2
        .value_kind:     hidden_group_size_x
      - .offset:         158
        .size:           2
        .value_kind:     hidden_group_size_y
      - .offset:         160
        .size:           2
        .value_kind:     hidden_group_size_z
      - .offset:         162
        .size:           2
        .value_kind:     hidden_remainder_x
      - .offset:         164
        .size:           2
        .value_kind:     hidden_remainder_y
      - .offset:         166
        .size:           2
        .value_kind:     hidden_remainder_z
      - .offset:         184
        .size:           8
        .value_kind:     hidden_global_offset_x
      - .offset:         192
        .size:           8
        .value_kind:     hidden_global_offset_y
      - .offset:         200
        .size:           8
        .value_kind:     hidden_global_offset_z
      - .offset:         208
        .size:           2
        .value_kind:     hidden_grid_dims
    .group_segment_fixed_size: 17472
    .kernarg_segment_align: 8
    .kernarg_segment_size: 400
    .language:       OpenCL C
    .language_version:
      - 2
      - 0
    .max_flat_workgroup_size: 256
    .name:           _Z39paged_attention_ll4mi_QKV_mfma16_kernelI14__hip_bfloat16hLN4vllm18Fp8KVCacheDataTypeE1EhLi32ELi128ELi256ELb0ELi8EL8MFMAType1EEvPKT_PKT0_S9_ifPKiSB_SB_iPKfiiiPfSE_PS4_PT2_iSD_SD_
    .private_segment_fixed_size: 0
    .sgpr_count:     38
    .sgpr_spill_count: 0
    .symbol:         _Z39paged_attention_ll4mi_QKV_mfma16_kernelI14__hip_bfloat16hLN4vllm18Fp8KVCacheDataTypeE1EhLi32ELi128ELi256ELb0ELi8EL8MFMAType1EEvPKT_PKT0_S9_ifPKiSB_SB_iPKfiiiPfSE_PS4_PT2_iSD_SD_.kd
    .uniform_work_group_size: 1
    .uses_dynamic_stack: false
    .vgpr_count:     140
    .vgpr_spill_count: 0
    .wavefront_size: 32
    .workgroup_processor_mode: 1
  - .args:
      - .actual_access:  read_only
        .address_space:  global
        .offset:         0
        .size:           8
        .value_kind:     global_buffer
      - .actual_access:  read_only
        .address_space:  global
        .offset:         8
        .size:           8
        .value_kind:     global_buffer
      - .actual_access:  read_only
        .address_space:  global
        .offset:         16
        .size:           8
        .value_kind:     global_buffer
      - .offset:         24
        .size:           4
        .value_kind:     by_value
      - .offset:         28
        .size:           4
        .value_kind:     by_value
      - .actual_access:  read_only
        .address_space:  global
        .offset:         32
        .size:           8
        .value_kind:     global_buffer
      - .actual_access:  read_only
        .address_space:  global
        .offset:         40
        .size:           8
        .value_kind:     global_buffer
      - .actual_access:  read_only
        .address_space:  global
        .offset:         48
        .size:           8
        .value_kind:     global_buffer
      - .offset:         56
        .size:           4
        .value_kind:     by_value
      - .actual_access:  read_only
        .address_space:  global
        .offset:         64
        .size:           8
        .value_kind:     global_buffer
      - .offset:         72
        .size:           4
        .value_kind:     by_value
      - .offset:         76
        .size:           4
        .value_kind:     by_value
      - .offset:         80
        .size:           4
        .value_kind:     by_value
      - .actual_access:  write_only
        .address_space:  global
        .offset:         88
        .size:           8
        .value_kind:     global_buffer
      - .actual_access:  write_only
        .address_space:  global
        .offset:         96
        .size:           8
        .value_kind:     global_buffer
      - .actual_access:  write_only
        .address_space:  global
        .offset:         104
        .size:           8
        .value_kind:     global_buffer
      - .actual_access:  read_only
        .address_space:  global
        .offset:         112
        .size:           8
        .value_kind:     global_buffer
      - .offset:         120
        .size:           4
        .value_kind:     by_value
      - .address_space:  global
        .offset:         128
        .size:           8
        .value_kind:     global_buffer
      - .address_space:  global
        .offset:         136
        .size:           8
        .value_kind:     global_buffer
      - .offset:         144
        .size:           4
        .value_kind:     hidden_block_count_x
      - .offset:         148
        .size:           4
        .value_kind:     hidden_block_count_y
      - .offset:         152
        .size:           4
        .value_kind:     hidden_block_count_z
      - .offset:         156
        .size:           2
        .value_kind:     hidden_group_size_x
      - .offset:         158
        .size:           2
        .value_kind:     hidden_group_size_y
      - .offset:         160
        .size:           2
        .value_kind:     hidden_group_size_z
      - .offset:         162
        .size:           2
        .value_kind:     hidden_remainder_x
      - .offset:         164
        .size:           2
        .value_kind:     hidden_remainder_y
      - .offset:         166
        .size:           2
        .value_kind:     hidden_remainder_z
      - .offset:         184
        .size:           8
        .value_kind:     hidden_global_offset_x
      - .offset:         192
        .size:           8
        .value_kind:     hidden_global_offset_y
      - .offset:         200
        .size:           8
        .value_kind:     hidden_global_offset_z
      - .offset:         208
        .size:           2
        .value_kind:     hidden_grid_dims
    .group_segment_fixed_size: 17472
    .kernarg_segment_align: 8
    .kernarg_segment_size: 400
    .language:       OpenCL C
    .language_version:
      - 2
      - 0
    .max_flat_workgroup_size: 256
    .name:           _Z39paged_attention_ll4mi_QKV_mfma16_kernelI14__hip_bfloat16hLN4vllm18Fp8KVCacheDataTypeE1EhLi32ELi128ELi256ELb0ELi9EL8MFMAType1EEvPKT_PKT0_S9_ifPKiSB_SB_iPKfiiiPfSE_PS4_PT2_iSD_SD_
    .private_segment_fixed_size: 0
    .sgpr_count:     38
    .sgpr_spill_count: 0
    .symbol:         _Z39paged_attention_ll4mi_QKV_mfma16_kernelI14__hip_bfloat16hLN4vllm18Fp8KVCacheDataTypeE1EhLi32ELi128ELi256ELb0ELi9EL8MFMAType1EEvPKT_PKT0_S9_ifPKiSB_SB_iPKfiiiPfSE_PS4_PT2_iSD_SD_.kd
    .uniform_work_group_size: 1
    .uses_dynamic_stack: false
    .vgpr_count:     140
    .vgpr_spill_count: 0
    .wavefront_size: 32
    .workgroup_processor_mode: 1
  - .args:
      - .actual_access:  read_only
        .address_space:  global
        .offset:         0
        .size:           8
        .value_kind:     global_buffer
      - .actual_access:  read_only
        .address_space:  global
        .offset:         8
        .size:           8
        .value_kind:     global_buffer
      - .actual_access:  read_only
        .address_space:  global
        .offset:         16
        .size:           8
        .value_kind:     global_buffer
      - .offset:         24
        .size:           4
        .value_kind:     by_value
      - .offset:         28
        .size:           4
        .value_kind:     by_value
      - .actual_access:  read_only
        .address_space:  global
        .offset:         32
        .size:           8
        .value_kind:     global_buffer
      - .actual_access:  read_only
        .address_space:  global
        .offset:         40
        .size:           8
        .value_kind:     global_buffer
      - .actual_access:  read_only
        .address_space:  global
        .offset:         48
        .size:           8
        .value_kind:     global_buffer
      - .offset:         56
        .size:           4
        .value_kind:     by_value
      - .actual_access:  read_only
        .address_space:  global
        .offset:         64
        .size:           8
        .value_kind:     global_buffer
      - .offset:         72
        .size:           4
        .value_kind:     by_value
      - .offset:         76
        .size:           4
        .value_kind:     by_value
      - .offset:         80
        .size:           4
        .value_kind:     by_value
      - .actual_access:  write_only
        .address_space:  global
        .offset:         88
        .size:           8
        .value_kind:     global_buffer
      - .actual_access:  write_only
        .address_space:  global
        .offset:         96
        .size:           8
        .value_kind:     global_buffer
      - .actual_access:  write_only
        .address_space:  global
        .offset:         104
        .size:           8
        .value_kind:     global_buffer
      - .actual_access:  read_only
        .address_space:  global
        .offset:         112
        .size:           8
        .value_kind:     global_buffer
      - .offset:         120
        .size:           4
        .value_kind:     by_value
      - .address_space:  global
        .offset:         128
        .size:           8
        .value_kind:     global_buffer
      - .address_space:  global
        .offset:         136
        .size:           8
        .value_kind:     global_buffer
      - .offset:         144
        .size:           4
        .value_kind:     hidden_block_count_x
      - .offset:         148
        .size:           4
        .value_kind:     hidden_block_count_y
      - .offset:         152
        .size:           4
        .value_kind:     hidden_block_count_z
      - .offset:         156
        .size:           2
        .value_kind:     hidden_group_size_x
      - .offset:         158
        .size:           2
        .value_kind:     hidden_group_size_y
      - .offset:         160
        .size:           2
        .value_kind:     hidden_group_size_z
      - .offset:         162
        .size:           2
        .value_kind:     hidden_remainder_x
      - .offset:         164
        .size:           2
        .value_kind:     hidden_remainder_y
      - .offset:         166
        .size:           2
        .value_kind:     hidden_remainder_z
      - .offset:         184
        .size:           8
        .value_kind:     hidden_global_offset_x
      - .offset:         192
        .size:           8
        .value_kind:     hidden_global_offset_y
      - .offset:         200
        .size:           8
        .value_kind:     hidden_global_offset_z
      - .offset:         208
        .size:           2
        .value_kind:     hidden_grid_dims
    .group_segment_fixed_size: 17472
    .kernarg_segment_align: 8
    .kernarg_segment_size: 400
    .language:       OpenCL C
    .language_version:
      - 2
      - 0
    .max_flat_workgroup_size: 256
    .name:           _Z39paged_attention_ll4mi_QKV_mfma16_kernelI14__hip_bfloat16hLN4vllm18Fp8KVCacheDataTypeE1EhLi32ELi128ELi256ELb0ELi10EL8MFMAType1EEvPKT_PKT0_S9_ifPKiSB_SB_iPKfiiiPfSE_PS4_PT2_iSD_SD_
    .private_segment_fixed_size: 0
    .sgpr_count:     38
    .sgpr_spill_count: 0
    .symbol:         _Z39paged_attention_ll4mi_QKV_mfma16_kernelI14__hip_bfloat16hLN4vllm18Fp8KVCacheDataTypeE1EhLi32ELi128ELi256ELb0ELi10EL8MFMAType1EEvPKT_PKT0_S9_ifPKiSB_SB_iPKfiiiPfSE_PS4_PT2_iSD_SD_.kd
    .uniform_work_group_size: 1
    .uses_dynamic_stack: false
    .vgpr_count:     140
    .vgpr_spill_count: 0
    .wavefront_size: 32
    .workgroup_processor_mode: 1
  - .args:
      - .actual_access:  read_only
        .address_space:  global
        .offset:         0
        .size:           8
        .value_kind:     global_buffer
      - .actual_access:  read_only
        .address_space:  global
        .offset:         8
        .size:           8
        .value_kind:     global_buffer
      - .actual_access:  read_only
        .address_space:  global
        .offset:         16
        .size:           8
        .value_kind:     global_buffer
      - .offset:         24
        .size:           4
        .value_kind:     by_value
      - .offset:         28
        .size:           4
        .value_kind:     by_value
      - .actual_access:  read_only
        .address_space:  global
        .offset:         32
        .size:           8
        .value_kind:     global_buffer
      - .actual_access:  read_only
        .address_space:  global
        .offset:         40
        .size:           8
        .value_kind:     global_buffer
      - .actual_access:  read_only
        .address_space:  global
        .offset:         48
        .size:           8
        .value_kind:     global_buffer
      - .offset:         56
        .size:           4
        .value_kind:     by_value
      - .actual_access:  read_only
        .address_space:  global
        .offset:         64
        .size:           8
        .value_kind:     global_buffer
      - .offset:         72
        .size:           4
        .value_kind:     by_value
      - .offset:         76
        .size:           4
        .value_kind:     by_value
      - .offset:         80
        .size:           4
        .value_kind:     by_value
      - .actual_access:  write_only
        .address_space:  global
        .offset:         88
        .size:           8
        .value_kind:     global_buffer
      - .actual_access:  write_only
        .address_space:  global
        .offset:         96
        .size:           8
        .value_kind:     global_buffer
      - .actual_access:  write_only
        .address_space:  global
        .offset:         104
        .size:           8
        .value_kind:     global_buffer
      - .actual_access:  read_only
        .address_space:  global
        .offset:         112
        .size:           8
        .value_kind:     global_buffer
      - .offset:         120
        .size:           4
        .value_kind:     by_value
      - .address_space:  global
        .offset:         128
        .size:           8
        .value_kind:     global_buffer
      - .address_space:  global
        .offset:         136
        .size:           8
        .value_kind:     global_buffer
      - .offset:         144
        .size:           4
        .value_kind:     hidden_block_count_x
      - .offset:         148
        .size:           4
        .value_kind:     hidden_block_count_y
      - .offset:         152
        .size:           4
        .value_kind:     hidden_block_count_z
      - .offset:         156
        .size:           2
        .value_kind:     hidden_group_size_x
      - .offset:         158
        .size:           2
        .value_kind:     hidden_group_size_y
      - .offset:         160
        .size:           2
        .value_kind:     hidden_group_size_z
      - .offset:         162
        .size:           2
        .value_kind:     hidden_remainder_x
      - .offset:         164
        .size:           2
        .value_kind:     hidden_remainder_y
      - .offset:         166
        .size:           2
        .value_kind:     hidden_remainder_z
      - .offset:         184
        .size:           8
        .value_kind:     hidden_global_offset_x
      - .offset:         192
        .size:           8
        .value_kind:     hidden_global_offset_y
      - .offset:         200
        .size:           8
        .value_kind:     hidden_global_offset_z
      - .offset:         208
        .size:           2
        .value_kind:     hidden_grid_dims
    .group_segment_fixed_size: 17472
    .kernarg_segment_align: 8
    .kernarg_segment_size: 400
    .language:       OpenCL C
    .language_version:
      - 2
      - 0
    .max_flat_workgroup_size: 256
    .name:           _Z39paged_attention_ll4mi_QKV_mfma16_kernelI14__hip_bfloat16hLN4vllm18Fp8KVCacheDataTypeE1EhLi32ELi128ELi256ELb0ELi11EL8MFMAType1EEvPKT_PKT0_S9_ifPKiSB_SB_iPKfiiiPfSE_PS4_PT2_iSD_SD_
    .private_segment_fixed_size: 0
    .sgpr_count:     38
    .sgpr_spill_count: 0
    .symbol:         _Z39paged_attention_ll4mi_QKV_mfma16_kernelI14__hip_bfloat16hLN4vllm18Fp8KVCacheDataTypeE1EhLi32ELi128ELi256ELb0ELi11EL8MFMAType1EEvPKT_PKT0_S9_ifPKiSB_SB_iPKfiiiPfSE_PS4_PT2_iSD_SD_.kd
    .uniform_work_group_size: 1
    .uses_dynamic_stack: false
    .vgpr_count:     140
    .vgpr_spill_count: 0
    .wavefront_size: 32
    .workgroup_processor_mode: 1
  - .args:
      - .actual_access:  read_only
        .address_space:  global
        .offset:         0
        .size:           8
        .value_kind:     global_buffer
      - .actual_access:  read_only
        .address_space:  global
        .offset:         8
        .size:           8
        .value_kind:     global_buffer
      - .actual_access:  read_only
        .address_space:  global
        .offset:         16
        .size:           8
        .value_kind:     global_buffer
      - .offset:         24
        .size:           4
        .value_kind:     by_value
      - .offset:         28
        .size:           4
        .value_kind:     by_value
      - .actual_access:  read_only
        .address_space:  global
        .offset:         32
        .size:           8
        .value_kind:     global_buffer
      - .actual_access:  read_only
        .address_space:  global
        .offset:         40
        .size:           8
        .value_kind:     global_buffer
      - .actual_access:  read_only
        .address_space:  global
        .offset:         48
        .size:           8
        .value_kind:     global_buffer
      - .offset:         56
        .size:           4
        .value_kind:     by_value
      - .actual_access:  read_only
        .address_space:  global
        .offset:         64
        .size:           8
        .value_kind:     global_buffer
      - .offset:         72
        .size:           4
        .value_kind:     by_value
      - .offset:         76
        .size:           4
        .value_kind:     by_value
      - .offset:         80
        .size:           4
        .value_kind:     by_value
      - .actual_access:  write_only
        .address_space:  global
        .offset:         88
        .size:           8
        .value_kind:     global_buffer
      - .actual_access:  write_only
        .address_space:  global
        .offset:         96
        .size:           8
        .value_kind:     global_buffer
      - .actual_access:  write_only
        .address_space:  global
        .offset:         104
        .size:           8
        .value_kind:     global_buffer
      - .actual_access:  read_only
        .address_space:  global
        .offset:         112
        .size:           8
        .value_kind:     global_buffer
      - .offset:         120
        .size:           4
        .value_kind:     by_value
      - .address_space:  global
        .offset:         128
        .size:           8
        .value_kind:     global_buffer
      - .address_space:  global
        .offset:         136
        .size:           8
        .value_kind:     global_buffer
      - .offset:         144
        .size:           4
        .value_kind:     hidden_block_count_x
      - .offset:         148
        .size:           4
        .value_kind:     hidden_block_count_y
      - .offset:         152
        .size:           4
        .value_kind:     hidden_block_count_z
      - .offset:         156
        .size:           2
        .value_kind:     hidden_group_size_x
      - .offset:         158
        .size:           2
        .value_kind:     hidden_group_size_y
      - .offset:         160
        .size:           2
        .value_kind:     hidden_group_size_z
      - .offset:         162
        .size:           2
        .value_kind:     hidden_remainder_x
      - .offset:         164
        .size:           2
        .value_kind:     hidden_remainder_y
      - .offset:         166
        .size:           2
        .value_kind:     hidden_remainder_z
      - .offset:         184
        .size:           8
        .value_kind:     hidden_global_offset_x
      - .offset:         192
        .size:           8
        .value_kind:     hidden_global_offset_y
      - .offset:         200
        .size:           8
        .value_kind:     hidden_global_offset_z
      - .offset:         208
        .size:           2
        .value_kind:     hidden_grid_dims
    .group_segment_fixed_size: 17472
    .kernarg_segment_align: 8
    .kernarg_segment_size: 400
    .language:       OpenCL C
    .language_version:
      - 2
      - 0
    .max_flat_workgroup_size: 256
    .name:           _Z39paged_attention_ll4mi_QKV_mfma16_kernelI14__hip_bfloat16hLN4vllm18Fp8KVCacheDataTypeE1EhLi32ELi128ELi256ELb0ELi12EL8MFMAType1EEvPKT_PKT0_S9_ifPKiSB_SB_iPKfiiiPfSE_PS4_PT2_iSD_SD_
    .private_segment_fixed_size: 0
    .sgpr_count:     38
    .sgpr_spill_count: 0
    .symbol:         _Z39paged_attention_ll4mi_QKV_mfma16_kernelI14__hip_bfloat16hLN4vllm18Fp8KVCacheDataTypeE1EhLi32ELi128ELi256ELb0ELi12EL8MFMAType1EEvPKT_PKT0_S9_ifPKiSB_SB_iPKfiiiPfSE_PS4_PT2_iSD_SD_.kd
    .uniform_work_group_size: 1
    .uses_dynamic_stack: false
    .vgpr_count:     140
    .vgpr_spill_count: 0
    .wavefront_size: 32
    .workgroup_processor_mode: 1
  - .args:
      - .actual_access:  read_only
        .address_space:  global
        .offset:         0
        .size:           8
        .value_kind:     global_buffer
      - .actual_access:  read_only
        .address_space:  global
        .offset:         8
        .size:           8
        .value_kind:     global_buffer
      - .actual_access:  read_only
        .address_space:  global
        .offset:         16
        .size:           8
        .value_kind:     global_buffer
      - .offset:         24
        .size:           4
        .value_kind:     by_value
      - .offset:         28
        .size:           4
        .value_kind:     by_value
      - .actual_access:  read_only
        .address_space:  global
        .offset:         32
        .size:           8
        .value_kind:     global_buffer
      - .actual_access:  read_only
        .address_space:  global
        .offset:         40
        .size:           8
        .value_kind:     global_buffer
      - .actual_access:  read_only
        .address_space:  global
        .offset:         48
        .size:           8
        .value_kind:     global_buffer
      - .offset:         56
        .size:           4
        .value_kind:     by_value
      - .actual_access:  read_only
        .address_space:  global
        .offset:         64
        .size:           8
        .value_kind:     global_buffer
      - .offset:         72
        .size:           4
        .value_kind:     by_value
      - .offset:         76
        .size:           4
        .value_kind:     by_value
      - .offset:         80
        .size:           4
        .value_kind:     by_value
      - .actual_access:  write_only
        .address_space:  global
        .offset:         88
        .size:           8
        .value_kind:     global_buffer
      - .actual_access:  write_only
        .address_space:  global
        .offset:         96
        .size:           8
        .value_kind:     global_buffer
      - .actual_access:  write_only
        .address_space:  global
        .offset:         104
        .size:           8
        .value_kind:     global_buffer
      - .actual_access:  read_only
        .address_space:  global
        .offset:         112
        .size:           8
        .value_kind:     global_buffer
      - .offset:         120
        .size:           4
        .value_kind:     by_value
      - .address_space:  global
        .offset:         128
        .size:           8
        .value_kind:     global_buffer
      - .address_space:  global
        .offset:         136
        .size:           8
        .value_kind:     global_buffer
      - .offset:         144
        .size:           4
        .value_kind:     hidden_block_count_x
      - .offset:         148
        .size:           4
        .value_kind:     hidden_block_count_y
      - .offset:         152
        .size:           4
        .value_kind:     hidden_block_count_z
      - .offset:         156
        .size:           2
        .value_kind:     hidden_group_size_x
      - .offset:         158
        .size:           2
        .value_kind:     hidden_group_size_y
      - .offset:         160
        .size:           2
        .value_kind:     hidden_group_size_z
      - .offset:         162
        .size:           2
        .value_kind:     hidden_remainder_x
      - .offset:         164
        .size:           2
        .value_kind:     hidden_remainder_y
      - .offset:         166
        .size:           2
        .value_kind:     hidden_remainder_z
      - .offset:         184
        .size:           8
        .value_kind:     hidden_global_offset_x
      - .offset:         192
        .size:           8
        .value_kind:     hidden_global_offset_y
      - .offset:         200
        .size:           8
        .value_kind:     hidden_global_offset_z
      - .offset:         208
        .size:           2
        .value_kind:     hidden_grid_dims
    .group_segment_fixed_size: 17472
    .kernarg_segment_align: 8
    .kernarg_segment_size: 400
    .language:       OpenCL C
    .language_version:
      - 2
      - 0
    .max_flat_workgroup_size: 256
    .name:           _Z39paged_attention_ll4mi_QKV_mfma16_kernelI14__hip_bfloat16hLN4vllm18Fp8KVCacheDataTypeE1EhLi32ELi128ELi256ELb0ELi13EL8MFMAType1EEvPKT_PKT0_S9_ifPKiSB_SB_iPKfiiiPfSE_PS4_PT2_iSD_SD_
    .private_segment_fixed_size: 0
    .sgpr_count:     38
    .sgpr_spill_count: 0
    .symbol:         _Z39paged_attention_ll4mi_QKV_mfma16_kernelI14__hip_bfloat16hLN4vllm18Fp8KVCacheDataTypeE1EhLi32ELi128ELi256ELb0ELi13EL8MFMAType1EEvPKT_PKT0_S9_ifPKiSB_SB_iPKfiiiPfSE_PS4_PT2_iSD_SD_.kd
    .uniform_work_group_size: 1
    .uses_dynamic_stack: false
    .vgpr_count:     140
    .vgpr_spill_count: 0
    .wavefront_size: 32
    .workgroup_processor_mode: 1
  - .args:
      - .actual_access:  read_only
        .address_space:  global
        .offset:         0
        .size:           8
        .value_kind:     global_buffer
      - .actual_access:  read_only
        .address_space:  global
        .offset:         8
        .size:           8
        .value_kind:     global_buffer
      - .actual_access:  read_only
        .address_space:  global
        .offset:         16
        .size:           8
        .value_kind:     global_buffer
      - .offset:         24
        .size:           4
        .value_kind:     by_value
      - .offset:         28
        .size:           4
        .value_kind:     by_value
      - .actual_access:  read_only
        .address_space:  global
        .offset:         32
        .size:           8
        .value_kind:     global_buffer
      - .actual_access:  read_only
        .address_space:  global
        .offset:         40
        .size:           8
        .value_kind:     global_buffer
      - .actual_access:  read_only
        .address_space:  global
        .offset:         48
        .size:           8
        .value_kind:     global_buffer
      - .offset:         56
        .size:           4
        .value_kind:     by_value
      - .actual_access:  read_only
        .address_space:  global
        .offset:         64
        .size:           8
        .value_kind:     global_buffer
      - .offset:         72
        .size:           4
        .value_kind:     by_value
      - .offset:         76
        .size:           4
        .value_kind:     by_value
      - .offset:         80
        .size:           4
        .value_kind:     by_value
      - .actual_access:  write_only
        .address_space:  global
        .offset:         88
        .size:           8
        .value_kind:     global_buffer
      - .actual_access:  write_only
        .address_space:  global
        .offset:         96
        .size:           8
        .value_kind:     global_buffer
      - .actual_access:  write_only
        .address_space:  global
        .offset:         104
        .size:           8
        .value_kind:     global_buffer
      - .actual_access:  read_only
        .address_space:  global
        .offset:         112
        .size:           8
        .value_kind:     global_buffer
      - .offset:         120
        .size:           4
        .value_kind:     by_value
      - .address_space:  global
        .offset:         128
        .size:           8
        .value_kind:     global_buffer
      - .address_space:  global
        .offset:         136
        .size:           8
        .value_kind:     global_buffer
      - .offset:         144
        .size:           4
        .value_kind:     hidden_block_count_x
      - .offset:         148
        .size:           4
        .value_kind:     hidden_block_count_y
      - .offset:         152
        .size:           4
        .value_kind:     hidden_block_count_z
      - .offset:         156
        .size:           2
        .value_kind:     hidden_group_size_x
      - .offset:         158
        .size:           2
        .value_kind:     hidden_group_size_y
      - .offset:         160
        .size:           2
        .value_kind:     hidden_group_size_z
      - .offset:         162
        .size:           2
        .value_kind:     hidden_remainder_x
      - .offset:         164
        .size:           2
        .value_kind:     hidden_remainder_y
      - .offset:         166
        .size:           2
        .value_kind:     hidden_remainder_z
      - .offset:         184
        .size:           8
        .value_kind:     hidden_global_offset_x
      - .offset:         192
        .size:           8
        .value_kind:     hidden_global_offset_y
      - .offset:         200
        .size:           8
        .value_kind:     hidden_global_offset_z
      - .offset:         208
        .size:           2
        .value_kind:     hidden_grid_dims
    .group_segment_fixed_size: 17472
    .kernarg_segment_align: 8
    .kernarg_segment_size: 400
    .language:       OpenCL C
    .language_version:
      - 2
      - 0
    .max_flat_workgroup_size: 256
    .name:           _Z39paged_attention_ll4mi_QKV_mfma16_kernelI14__hip_bfloat16hLN4vllm18Fp8KVCacheDataTypeE1EhLi32ELi128ELi256ELb0ELi14EL8MFMAType1EEvPKT_PKT0_S9_ifPKiSB_SB_iPKfiiiPfSE_PS4_PT2_iSD_SD_
    .private_segment_fixed_size: 0
    .sgpr_count:     38
    .sgpr_spill_count: 0
    .symbol:         _Z39paged_attention_ll4mi_QKV_mfma16_kernelI14__hip_bfloat16hLN4vllm18Fp8KVCacheDataTypeE1EhLi32ELi128ELi256ELb0ELi14EL8MFMAType1EEvPKT_PKT0_S9_ifPKiSB_SB_iPKfiiiPfSE_PS4_PT2_iSD_SD_.kd
    .uniform_work_group_size: 1
    .uses_dynamic_stack: false
    .vgpr_count:     140
    .vgpr_spill_count: 0
    .wavefront_size: 32
    .workgroup_processor_mode: 1
  - .args:
      - .actual_access:  read_only
        .address_space:  global
        .offset:         0
        .size:           8
        .value_kind:     global_buffer
      - .actual_access:  read_only
        .address_space:  global
        .offset:         8
        .size:           8
        .value_kind:     global_buffer
      - .actual_access:  read_only
        .address_space:  global
        .offset:         16
        .size:           8
        .value_kind:     global_buffer
      - .offset:         24
        .size:           4
        .value_kind:     by_value
      - .offset:         28
        .size:           4
        .value_kind:     by_value
      - .actual_access:  read_only
        .address_space:  global
        .offset:         32
        .size:           8
        .value_kind:     global_buffer
      - .actual_access:  read_only
        .address_space:  global
        .offset:         40
        .size:           8
        .value_kind:     global_buffer
      - .actual_access:  read_only
        .address_space:  global
        .offset:         48
        .size:           8
        .value_kind:     global_buffer
      - .offset:         56
        .size:           4
        .value_kind:     by_value
      - .actual_access:  read_only
        .address_space:  global
        .offset:         64
        .size:           8
        .value_kind:     global_buffer
      - .offset:         72
        .size:           4
        .value_kind:     by_value
      - .offset:         76
        .size:           4
        .value_kind:     by_value
      - .offset:         80
        .size:           4
        .value_kind:     by_value
      - .actual_access:  write_only
        .address_space:  global
        .offset:         88
        .size:           8
        .value_kind:     global_buffer
      - .actual_access:  write_only
        .address_space:  global
        .offset:         96
        .size:           8
        .value_kind:     global_buffer
      - .actual_access:  write_only
        .address_space:  global
        .offset:         104
        .size:           8
        .value_kind:     global_buffer
      - .actual_access:  read_only
        .address_space:  global
        .offset:         112
        .size:           8
        .value_kind:     global_buffer
      - .offset:         120
        .size:           4
        .value_kind:     by_value
      - .address_space:  global
        .offset:         128
        .size:           8
        .value_kind:     global_buffer
      - .address_space:  global
        .offset:         136
        .size:           8
        .value_kind:     global_buffer
      - .offset:         144
        .size:           4
        .value_kind:     hidden_block_count_x
      - .offset:         148
        .size:           4
        .value_kind:     hidden_block_count_y
      - .offset:         152
        .size:           4
        .value_kind:     hidden_block_count_z
      - .offset:         156
        .size:           2
        .value_kind:     hidden_group_size_x
      - .offset:         158
        .size:           2
        .value_kind:     hidden_group_size_y
      - .offset:         160
        .size:           2
        .value_kind:     hidden_group_size_z
      - .offset:         162
        .size:           2
        .value_kind:     hidden_remainder_x
      - .offset:         164
        .size:           2
        .value_kind:     hidden_remainder_y
      - .offset:         166
        .size:           2
        .value_kind:     hidden_remainder_z
      - .offset:         184
        .size:           8
        .value_kind:     hidden_global_offset_x
      - .offset:         192
        .size:           8
        .value_kind:     hidden_global_offset_y
      - .offset:         200
        .size:           8
        .value_kind:     hidden_global_offset_z
      - .offset:         208
        .size:           2
        .value_kind:     hidden_grid_dims
    .group_segment_fixed_size: 17472
    .kernarg_segment_align: 8
    .kernarg_segment_size: 400
    .language:       OpenCL C
    .language_version:
      - 2
      - 0
    .max_flat_workgroup_size: 256
    .name:           _Z39paged_attention_ll4mi_QKV_mfma16_kernelI14__hip_bfloat16hLN4vllm18Fp8KVCacheDataTypeE1EhLi32ELi128ELi256ELb0ELi15EL8MFMAType1EEvPKT_PKT0_S9_ifPKiSB_SB_iPKfiiiPfSE_PS4_PT2_iSD_SD_
    .private_segment_fixed_size: 0
    .sgpr_count:     38
    .sgpr_spill_count: 0
    .symbol:         _Z39paged_attention_ll4mi_QKV_mfma16_kernelI14__hip_bfloat16hLN4vllm18Fp8KVCacheDataTypeE1EhLi32ELi128ELi256ELb0ELi15EL8MFMAType1EEvPKT_PKT0_S9_ifPKiSB_SB_iPKfiiiPfSE_PS4_PT2_iSD_SD_.kd
    .uniform_work_group_size: 1
    .uses_dynamic_stack: false
    .vgpr_count:     140
    .vgpr_spill_count: 0
    .wavefront_size: 32
    .workgroup_processor_mode: 1
  - .args:
      - .actual_access:  read_only
        .address_space:  global
        .offset:         0
        .size:           8
        .value_kind:     global_buffer
      - .actual_access:  read_only
        .address_space:  global
        .offset:         8
        .size:           8
        .value_kind:     global_buffer
      - .actual_access:  read_only
        .address_space:  global
        .offset:         16
        .size:           8
        .value_kind:     global_buffer
      - .offset:         24
        .size:           4
        .value_kind:     by_value
      - .offset:         28
        .size:           4
        .value_kind:     by_value
      - .actual_access:  read_only
        .address_space:  global
        .offset:         32
        .size:           8
        .value_kind:     global_buffer
      - .actual_access:  read_only
        .address_space:  global
        .offset:         40
        .size:           8
        .value_kind:     global_buffer
      - .actual_access:  read_only
        .address_space:  global
        .offset:         48
        .size:           8
        .value_kind:     global_buffer
      - .offset:         56
        .size:           4
        .value_kind:     by_value
      - .actual_access:  read_only
        .address_space:  global
        .offset:         64
        .size:           8
        .value_kind:     global_buffer
      - .offset:         72
        .size:           4
        .value_kind:     by_value
      - .offset:         76
        .size:           4
        .value_kind:     by_value
      - .offset:         80
        .size:           4
        .value_kind:     by_value
      - .actual_access:  write_only
        .address_space:  global
        .offset:         88
        .size:           8
        .value_kind:     global_buffer
      - .actual_access:  write_only
        .address_space:  global
        .offset:         96
        .size:           8
        .value_kind:     global_buffer
      - .actual_access:  write_only
        .address_space:  global
        .offset:         104
        .size:           8
        .value_kind:     global_buffer
      - .actual_access:  read_only
        .address_space:  global
        .offset:         112
        .size:           8
        .value_kind:     global_buffer
      - .offset:         120
        .size:           4
        .value_kind:     by_value
      - .address_space:  global
        .offset:         128
        .size:           8
        .value_kind:     global_buffer
      - .address_space:  global
        .offset:         136
        .size:           8
        .value_kind:     global_buffer
      - .offset:         144
        .size:           4
        .value_kind:     hidden_block_count_x
      - .offset:         148
        .size:           4
        .value_kind:     hidden_block_count_y
      - .offset:         152
        .size:           4
        .value_kind:     hidden_block_count_z
      - .offset:         156
        .size:           2
        .value_kind:     hidden_group_size_x
      - .offset:         158
        .size:           2
        .value_kind:     hidden_group_size_y
      - .offset:         160
        .size:           2
        .value_kind:     hidden_group_size_z
      - .offset:         162
        .size:           2
        .value_kind:     hidden_remainder_x
      - .offset:         164
        .size:           2
        .value_kind:     hidden_remainder_y
      - .offset:         166
        .size:           2
        .value_kind:     hidden_remainder_z
      - .offset:         184
        .size:           8
        .value_kind:     hidden_global_offset_x
      - .offset:         192
        .size:           8
        .value_kind:     hidden_global_offset_y
      - .offset:         200
        .size:           8
        .value_kind:     hidden_global_offset_z
      - .offset:         208
        .size:           2
        .value_kind:     hidden_grid_dims
    .group_segment_fixed_size: 17472
    .kernarg_segment_align: 8
    .kernarg_segment_size: 400
    .language:       OpenCL C
    .language_version:
      - 2
      - 0
    .max_flat_workgroup_size: 256
    .name:           _Z39paged_attention_ll4mi_QKV_mfma16_kernelI14__hip_bfloat16hLN4vllm18Fp8KVCacheDataTypeE1EhLi32ELi128ELi256ELb0ELi16EL8MFMAType1EEvPKT_PKT0_S9_ifPKiSB_SB_iPKfiiiPfSE_PS4_PT2_iSD_SD_
    .private_segment_fixed_size: 0
    .sgpr_count:     38
    .sgpr_spill_count: 0
    .symbol:         _Z39paged_attention_ll4mi_QKV_mfma16_kernelI14__hip_bfloat16hLN4vllm18Fp8KVCacheDataTypeE1EhLi32ELi128ELi256ELb0ELi16EL8MFMAType1EEvPKT_PKT0_S9_ifPKiSB_SB_iPKfiiiPfSE_PS4_PT2_iSD_SD_.kd
    .uniform_work_group_size: 1
    .uses_dynamic_stack: false
    .vgpr_count:     141
    .vgpr_spill_count: 0
    .wavefront_size: 32
    .workgroup_processor_mode: 1
  - .args:
      - .actual_access:  read_only
        .address_space:  global
        .offset:         0
        .size:           8
        .value_kind:     global_buffer
      - .actual_access:  read_only
        .address_space:  global
        .offset:         8
        .size:           8
        .value_kind:     global_buffer
      - .actual_access:  read_only
        .address_space:  global
        .offset:         16
        .size:           8
        .value_kind:     global_buffer
      - .offset:         24
        .size:           4
        .value_kind:     by_value
      - .offset:         28
        .size:           4
        .value_kind:     by_value
      - .actual_access:  read_only
        .address_space:  global
        .offset:         32
        .size:           8
        .value_kind:     global_buffer
      - .actual_access:  read_only
        .address_space:  global
        .offset:         40
        .size:           8
        .value_kind:     global_buffer
      - .actual_access:  read_only
        .address_space:  global
        .offset:         48
        .size:           8
        .value_kind:     global_buffer
      - .offset:         56
        .size:           4
        .value_kind:     by_value
      - .actual_access:  read_only
        .address_space:  global
        .offset:         64
        .size:           8
        .value_kind:     global_buffer
      - .offset:         72
        .size:           4
        .value_kind:     by_value
      - .offset:         76
        .size:           4
        .value_kind:     by_value
      - .offset:         80
        .size:           4
        .value_kind:     by_value
      - .actual_access:  write_only
        .address_space:  global
        .offset:         88
        .size:           8
        .value_kind:     global_buffer
      - .actual_access:  write_only
        .address_space:  global
        .offset:         96
        .size:           8
        .value_kind:     global_buffer
      - .actual_access:  write_only
        .address_space:  global
        .offset:         104
        .size:           8
        .value_kind:     global_buffer
      - .actual_access:  read_only
        .address_space:  global
        .offset:         112
        .size:           8
        .value_kind:     global_buffer
      - .offset:         120
        .size:           4
        .value_kind:     by_value
      - .address_space:  global
        .offset:         128
        .size:           8
        .value_kind:     global_buffer
      - .address_space:  global
        .offset:         136
        .size:           8
        .value_kind:     global_buffer
      - .offset:         144
        .size:           4
        .value_kind:     hidden_block_count_x
      - .offset:         148
        .size:           4
        .value_kind:     hidden_block_count_y
      - .offset:         152
        .size:           4
        .value_kind:     hidden_block_count_z
      - .offset:         156
        .size:           2
        .value_kind:     hidden_group_size_x
      - .offset:         158
        .size:           2
        .value_kind:     hidden_group_size_y
      - .offset:         160
        .size:           2
        .value_kind:     hidden_group_size_z
      - .offset:         162
        .size:           2
        .value_kind:     hidden_remainder_x
      - .offset:         164
        .size:           2
        .value_kind:     hidden_remainder_y
      - .offset:         166
        .size:           2
        .value_kind:     hidden_remainder_z
      - .offset:         184
        .size:           8
        .value_kind:     hidden_global_offset_x
      - .offset:         192
        .size:           8
        .value_kind:     hidden_global_offset_y
      - .offset:         200
        .size:           8
        .value_kind:     hidden_global_offset_z
      - .offset:         208
        .size:           2
        .value_kind:     hidden_grid_dims
    .group_segment_fixed_size: 17472
    .kernarg_segment_align: 8
    .kernarg_segment_size: 400
    .language:       OpenCL C
    .language_version:
      - 2
      - 0
    .max_flat_workgroup_size: 256
    .name:           _Z39paged_attention_ll4mi_QKV_mfma16_kernelI14__hip_bfloat16hLN4vllm18Fp8KVCacheDataTypeE1EhLi32ELi128ELi256ELb0ELi1EL8MFMAType1EEvPKT_PKT0_S9_ifPKiSB_SB_iPKfiiiPfSE_PS4_PT2_iSD_SD_
    .private_segment_fixed_size: 0
    .sgpr_count:     70
    .sgpr_spill_count: 0
    .symbol:         _Z39paged_attention_ll4mi_QKV_mfma16_kernelI14__hip_bfloat16hLN4vllm18Fp8KVCacheDataTypeE1EhLi32ELi128ELi256ELb0ELi1EL8MFMAType1EEvPKT_PKT0_S9_ifPKiSB_SB_iPKfiiiPfSE_PS4_PT2_iSD_SD_.kd
    .uniform_work_group_size: 1
    .uses_dynamic_stack: false
    .vgpr_count:     138
    .vgpr_spill_count: 0
    .wavefront_size: 32
    .workgroup_processor_mode: 1
  - .args:
      - .actual_access:  read_only
        .address_space:  global
        .offset:         0
        .size:           8
        .value_kind:     global_buffer
      - .actual_access:  read_only
        .address_space:  global
        .offset:         8
        .size:           8
        .value_kind:     global_buffer
      - .actual_access:  read_only
        .address_space:  global
        .offset:         16
        .size:           8
        .value_kind:     global_buffer
      - .offset:         24
        .size:           4
        .value_kind:     by_value
      - .offset:         28
        .size:           4
        .value_kind:     by_value
      - .actual_access:  read_only
        .address_space:  global
        .offset:         32
        .size:           8
        .value_kind:     global_buffer
      - .actual_access:  read_only
        .address_space:  global
        .offset:         40
        .size:           8
        .value_kind:     global_buffer
      - .actual_access:  read_only
        .address_space:  global
        .offset:         48
        .size:           8
        .value_kind:     global_buffer
      - .offset:         56
        .size:           4
        .value_kind:     by_value
      - .actual_access:  read_only
        .address_space:  global
        .offset:         64
        .size:           8
        .value_kind:     global_buffer
      - .offset:         72
        .size:           4
        .value_kind:     by_value
      - .offset:         76
        .size:           4
        .value_kind:     by_value
      - .offset:         80
        .size:           4
        .value_kind:     by_value
      - .actual_access:  write_only
        .address_space:  global
        .offset:         88
        .size:           8
        .value_kind:     global_buffer
      - .actual_access:  write_only
        .address_space:  global
        .offset:         96
        .size:           8
        .value_kind:     global_buffer
      - .actual_access:  write_only
        .address_space:  global
        .offset:         104
        .size:           8
        .value_kind:     global_buffer
      - .actual_access:  read_only
        .address_space:  global
        .offset:         112
        .size:           8
        .value_kind:     global_buffer
      - .offset:         120
        .size:           4
        .value_kind:     by_value
      - .address_space:  global
        .offset:         128
        .size:           8
        .value_kind:     global_buffer
      - .address_space:  global
        .offset:         136
        .size:           8
        .value_kind:     global_buffer
      - .offset:         144
        .size:           4
        .value_kind:     hidden_block_count_x
      - .offset:         148
        .size:           4
        .value_kind:     hidden_block_count_y
      - .offset:         152
        .size:           4
        .value_kind:     hidden_block_count_z
      - .offset:         156
        .size:           2
        .value_kind:     hidden_group_size_x
      - .offset:         158
        .size:           2
        .value_kind:     hidden_group_size_y
      - .offset:         160
        .size:           2
        .value_kind:     hidden_group_size_z
      - .offset:         162
        .size:           2
        .value_kind:     hidden_remainder_x
      - .offset:         164
        .size:           2
        .value_kind:     hidden_remainder_y
      - .offset:         166
        .size:           2
        .value_kind:     hidden_remainder_z
      - .offset:         184
        .size:           8
        .value_kind:     hidden_global_offset_x
      - .offset:         192
        .size:           8
        .value_kind:     hidden_global_offset_y
      - .offset:         200
        .size:           8
        .value_kind:     hidden_global_offset_z
      - .offset:         208
        .size:           2
        .value_kind:     hidden_grid_dims
    .group_segment_fixed_size: 17472
    .kernarg_segment_align: 8
    .kernarg_segment_size: 400
    .language:       OpenCL C
    .language_version:
      - 2
      - 0
    .max_flat_workgroup_size: 256
    .name:           _Z39paged_attention_ll4mi_QKV_mfma16_kernelI14__hip_bfloat16hLN4vllm18Fp8KVCacheDataTypeE1EhLi32ELi128ELi256ELb0ELi2EL8MFMAType1EEvPKT_PKT0_S9_ifPKiSB_SB_iPKfiiiPfSE_PS4_PT2_iSD_SD_
    .private_segment_fixed_size: 0
    .sgpr_count:     39
    .sgpr_spill_count: 0
    .symbol:         _Z39paged_attention_ll4mi_QKV_mfma16_kernelI14__hip_bfloat16hLN4vllm18Fp8KVCacheDataTypeE1EhLi32ELi128ELi256ELb0ELi2EL8MFMAType1EEvPKT_PKT0_S9_ifPKiSB_SB_iPKfiiiPfSE_PS4_PT2_iSD_SD_.kd
    .uniform_work_group_size: 1
    .uses_dynamic_stack: false
    .vgpr_count:     138
    .vgpr_spill_count: 0
    .wavefront_size: 32
    .workgroup_processor_mode: 1
  - .args:
      - .actual_access:  read_only
        .address_space:  global
        .offset:         0
        .size:           8
        .value_kind:     global_buffer
      - .actual_access:  read_only
        .address_space:  global
        .offset:         8
        .size:           8
        .value_kind:     global_buffer
      - .actual_access:  read_only
        .address_space:  global
        .offset:         16
        .size:           8
        .value_kind:     global_buffer
      - .offset:         24
        .size:           4
        .value_kind:     by_value
      - .offset:         28
        .size:           4
        .value_kind:     by_value
      - .actual_access:  read_only
        .address_space:  global
        .offset:         32
        .size:           8
        .value_kind:     global_buffer
      - .actual_access:  read_only
        .address_space:  global
        .offset:         40
        .size:           8
        .value_kind:     global_buffer
      - .actual_access:  read_only
        .address_space:  global
        .offset:         48
        .size:           8
        .value_kind:     global_buffer
      - .offset:         56
        .size:           4
        .value_kind:     by_value
      - .actual_access:  read_only
        .address_space:  global
        .offset:         64
        .size:           8
        .value_kind:     global_buffer
      - .offset:         72
        .size:           4
        .value_kind:     by_value
      - .offset:         76
        .size:           4
        .value_kind:     by_value
      - .offset:         80
        .size:           4
        .value_kind:     by_value
      - .actual_access:  write_only
        .address_space:  global
        .offset:         88
        .size:           8
        .value_kind:     global_buffer
      - .actual_access:  write_only
        .address_space:  global
        .offset:         96
        .size:           8
        .value_kind:     global_buffer
      - .actual_access:  write_only
        .address_space:  global
        .offset:         104
        .size:           8
        .value_kind:     global_buffer
      - .actual_access:  read_only
        .address_space:  global
        .offset:         112
        .size:           8
        .value_kind:     global_buffer
      - .offset:         120
        .size:           4
        .value_kind:     by_value
      - .address_space:  global
        .offset:         128
        .size:           8
        .value_kind:     global_buffer
      - .address_space:  global
        .offset:         136
        .size:           8
        .value_kind:     global_buffer
      - .offset:         144
        .size:           4
        .value_kind:     hidden_block_count_x
      - .offset:         148
        .size:           4
        .value_kind:     hidden_block_count_y
      - .offset:         152
        .size:           4
        .value_kind:     hidden_block_count_z
      - .offset:         156
        .size:           2
        .value_kind:     hidden_group_size_x
      - .offset:         158
        .size:           2
        .value_kind:     hidden_group_size_y
      - .offset:         160
        .size:           2
        .value_kind:     hidden_group_size_z
      - .offset:         162
        .size:           2
        .value_kind:     hidden_remainder_x
      - .offset:         164
        .size:           2
        .value_kind:     hidden_remainder_y
      - .offset:         166
        .size:           2
        .value_kind:     hidden_remainder_z
      - .offset:         184
        .size:           8
        .value_kind:     hidden_global_offset_x
      - .offset:         192
        .size:           8
        .value_kind:     hidden_global_offset_y
      - .offset:         200
        .size:           8
        .value_kind:     hidden_global_offset_z
      - .offset:         208
        .size:           2
        .value_kind:     hidden_grid_dims
    .group_segment_fixed_size: 17472
    .kernarg_segment_align: 8
    .kernarg_segment_size: 400
    .language:       OpenCL C
    .language_version:
      - 2
      - 0
    .max_flat_workgroup_size: 256
    .name:           _Z39paged_attention_ll4mi_QKV_mfma16_kernelI14__hip_bfloat16hLN4vllm18Fp8KVCacheDataTypeE1EhLi32ELi128ELi256ELb0ELi3EL8MFMAType1EEvPKT_PKT0_S9_ifPKiSB_SB_iPKfiiiPfSE_PS4_PT2_iSD_SD_
    .private_segment_fixed_size: 0
    .sgpr_count:     38
    .sgpr_spill_count: 0
    .symbol:         _Z39paged_attention_ll4mi_QKV_mfma16_kernelI14__hip_bfloat16hLN4vllm18Fp8KVCacheDataTypeE1EhLi32ELi128ELi256ELb0ELi3EL8MFMAType1EEvPKT_PKT0_S9_ifPKiSB_SB_iPKfiiiPfSE_PS4_PT2_iSD_SD_.kd
    .uniform_work_group_size: 1
    .uses_dynamic_stack: false
    .vgpr_count:     140
    .vgpr_spill_count: 0
    .wavefront_size: 32
    .workgroup_processor_mode: 1
  - .args:
      - .actual_access:  read_only
        .address_space:  global
        .offset:         0
        .size:           8
        .value_kind:     global_buffer
      - .actual_access:  read_only
        .address_space:  global
        .offset:         8
        .size:           8
        .value_kind:     global_buffer
      - .actual_access:  read_only
        .address_space:  global
        .offset:         16
        .size:           8
        .value_kind:     global_buffer
      - .offset:         24
        .size:           4
        .value_kind:     by_value
      - .offset:         28
        .size:           4
        .value_kind:     by_value
      - .actual_access:  read_only
        .address_space:  global
        .offset:         32
        .size:           8
        .value_kind:     global_buffer
      - .actual_access:  read_only
        .address_space:  global
        .offset:         40
        .size:           8
        .value_kind:     global_buffer
      - .actual_access:  read_only
        .address_space:  global
        .offset:         48
        .size:           8
        .value_kind:     global_buffer
      - .offset:         56
        .size:           4
        .value_kind:     by_value
      - .actual_access:  read_only
        .address_space:  global
        .offset:         64
        .size:           8
        .value_kind:     global_buffer
      - .offset:         72
        .size:           4
        .value_kind:     by_value
      - .offset:         76
        .size:           4
        .value_kind:     by_value
      - .offset:         80
        .size:           4
        .value_kind:     by_value
      - .actual_access:  write_only
        .address_space:  global
        .offset:         88
        .size:           8
        .value_kind:     global_buffer
      - .actual_access:  write_only
        .address_space:  global
        .offset:         96
        .size:           8
        .value_kind:     global_buffer
      - .actual_access:  write_only
        .address_space:  global
        .offset:         104
        .size:           8
        .value_kind:     global_buffer
      - .actual_access:  read_only
        .address_space:  global
        .offset:         112
        .size:           8
        .value_kind:     global_buffer
      - .offset:         120
        .size:           4
        .value_kind:     by_value
      - .address_space:  global
        .offset:         128
        .size:           8
        .value_kind:     global_buffer
      - .address_space:  global
        .offset:         136
        .size:           8
        .value_kind:     global_buffer
      - .offset:         144
        .size:           4
        .value_kind:     hidden_block_count_x
      - .offset:         148
        .size:           4
        .value_kind:     hidden_block_count_y
      - .offset:         152
        .size:           4
        .value_kind:     hidden_block_count_z
      - .offset:         156
        .size:           2
        .value_kind:     hidden_group_size_x
      - .offset:         158
        .size:           2
        .value_kind:     hidden_group_size_y
      - .offset:         160
        .size:           2
        .value_kind:     hidden_group_size_z
      - .offset:         162
        .size:           2
        .value_kind:     hidden_remainder_x
      - .offset:         164
        .size:           2
        .value_kind:     hidden_remainder_y
      - .offset:         166
        .size:           2
        .value_kind:     hidden_remainder_z
      - .offset:         184
        .size:           8
        .value_kind:     hidden_global_offset_x
      - .offset:         192
        .size:           8
        .value_kind:     hidden_global_offset_y
      - .offset:         200
        .size:           8
        .value_kind:     hidden_global_offset_z
      - .offset:         208
        .size:           2
        .value_kind:     hidden_grid_dims
    .group_segment_fixed_size: 17472
    .kernarg_segment_align: 8
    .kernarg_segment_size: 400
    .language:       OpenCL C
    .language_version:
      - 2
      - 0
    .max_flat_workgroup_size: 256
    .name:           _Z39paged_attention_ll4mi_QKV_mfma16_kernelI14__hip_bfloat16hLN4vllm18Fp8KVCacheDataTypeE1EhLi32ELi128ELi256ELb0ELi4EL8MFMAType1EEvPKT_PKT0_S9_ifPKiSB_SB_iPKfiiiPfSE_PS4_PT2_iSD_SD_
    .private_segment_fixed_size: 0
    .sgpr_count:     38
    .sgpr_spill_count: 0
    .symbol:         _Z39paged_attention_ll4mi_QKV_mfma16_kernelI14__hip_bfloat16hLN4vllm18Fp8KVCacheDataTypeE1EhLi32ELi128ELi256ELb0ELi4EL8MFMAType1EEvPKT_PKT0_S9_ifPKiSB_SB_iPKfiiiPfSE_PS4_PT2_iSD_SD_.kd
    .uniform_work_group_size: 1
    .uses_dynamic_stack: false
    .vgpr_count:     140
    .vgpr_spill_count: 0
    .wavefront_size: 32
    .workgroup_processor_mode: 1
  - .args:
      - .actual_access:  read_only
        .address_space:  global
        .offset:         0
        .size:           8
        .value_kind:     global_buffer
      - .actual_access:  read_only
        .address_space:  global
        .offset:         8
        .size:           8
        .value_kind:     global_buffer
      - .actual_access:  read_only
        .address_space:  global
        .offset:         16
        .size:           8
        .value_kind:     global_buffer
      - .offset:         24
        .size:           4
        .value_kind:     by_value
      - .offset:         28
        .size:           4
        .value_kind:     by_value
      - .actual_access:  read_only
        .address_space:  global
        .offset:         32
        .size:           8
        .value_kind:     global_buffer
      - .actual_access:  read_only
        .address_space:  global
        .offset:         40
        .size:           8
        .value_kind:     global_buffer
      - .actual_access:  read_only
        .address_space:  global
        .offset:         48
        .size:           8
        .value_kind:     global_buffer
      - .offset:         56
        .size:           4
        .value_kind:     by_value
      - .actual_access:  read_only
        .address_space:  global
        .offset:         64
        .size:           8
        .value_kind:     global_buffer
      - .offset:         72
        .size:           4
        .value_kind:     by_value
      - .offset:         76
        .size:           4
        .value_kind:     by_value
      - .offset:         80
        .size:           4
        .value_kind:     by_value
      - .actual_access:  read_only
        .address_space:  global
        .offset:         88
        .size:           8
        .value_kind:     global_buffer
      - .actual_access:  read_only
        .address_space:  global
        .offset:         96
        .size:           8
        .value_kind:     global_buffer
      - .actual_access:  read_only
        .address_space:  global
        .offset:         104
        .size:           8
        .value_kind:     global_buffer
      - .actual_access:  read_only
        .address_space:  global
        .offset:         112
        .size:           8
        .value_kind:     global_buffer
      - .offset:         120
        .size:           4
        .value_kind:     by_value
      - .address_space:  global
        .offset:         128
        .size:           8
        .value_kind:     global_buffer
      - .address_space:  global
        .offset:         136
        .size:           8
        .value_kind:     global_buffer
      - .offset:         144
        .size:           4
        .value_kind:     hidden_block_count_x
      - .offset:         148
        .size:           4
        .value_kind:     hidden_block_count_y
      - .offset:         152
        .size:           4
        .value_kind:     hidden_block_count_z
      - .offset:         156
        .size:           2
        .value_kind:     hidden_group_size_x
      - .offset:         158
        .size:           2
        .value_kind:     hidden_group_size_y
      - .offset:         160
        .size:           2
        .value_kind:     hidden_group_size_z
      - .offset:         162
        .size:           2
        .value_kind:     hidden_remainder_x
      - .offset:         164
        .size:           2
        .value_kind:     hidden_remainder_y
      - .offset:         166
        .size:           2
        .value_kind:     hidden_remainder_z
      - .offset:         184
        .size:           8
        .value_kind:     hidden_global_offset_x
      - .offset:         192
        .size:           8
        .value_kind:     hidden_global_offset_y
      - .offset:         200
        .size:           8
        .value_kind:     hidden_global_offset_z
      - .offset:         208
        .size:           2
        .value_kind:     hidden_grid_dims
      - .offset:         224
        .size:           8
        .value_kind:     hidden_hostcall_buffer
    .group_segment_fixed_size: 0
    .kernarg_segment_align: 8
    .kernarg_segment_size: 400
    .language:       OpenCL C
    .language_version:
      - 2
      - 0
    .max_flat_workgroup_size: 256
    .name:           _Z38paged_attention_ll4mi_QKV_mfma4_kernelI14__hip_bfloat16hLN4vllm18Fp8KVCacheDataTypeE1ES0_Li32ELi128ELi256ELb1ELi1EEvPKT_PKT0_S8_ifPKiSA_SA_iPKfiiiPfSD_PS3_PT2_iSC_SC_
    .private_segment_fixed_size: 64
    .sgpr_count:     36
    .sgpr_spill_count: 0
    .symbol:         _Z38paged_attention_ll4mi_QKV_mfma4_kernelI14__hip_bfloat16hLN4vllm18Fp8KVCacheDataTypeE1ES0_Li32ELi128ELi256ELb1ELi1EEvPKT_PKT0_S8_ifPKiSA_SA_iPKfiiiPfSD_PS3_PT2_iSC_SC_.kd
    .uniform_work_group_size: 1
    .uses_dynamic_stack: false
    .vgpr_count:     41
    .vgpr_spill_count: 0
    .wavefront_size: 32
    .workgroup_processor_mode: 1
  - .args:
      - .actual_access:  read_only
        .address_space:  global
        .offset:         0
        .size:           8
        .value_kind:     global_buffer
      - .actual_access:  read_only
        .address_space:  global
        .offset:         8
        .size:           8
        .value_kind:     global_buffer
      - .actual_access:  read_only
        .address_space:  global
        .offset:         16
        .size:           8
        .value_kind:     global_buffer
      - .offset:         24
        .size:           4
        .value_kind:     by_value
      - .offset:         28
        .size:           4
        .value_kind:     by_value
      - .actual_access:  read_only
        .address_space:  global
        .offset:         32
        .size:           8
        .value_kind:     global_buffer
      - .actual_access:  read_only
        .address_space:  global
        .offset:         40
        .size:           8
        .value_kind:     global_buffer
      - .actual_access:  read_only
        .address_space:  global
        .offset:         48
        .size:           8
        .value_kind:     global_buffer
      - .offset:         56
        .size:           4
        .value_kind:     by_value
      - .actual_access:  read_only
        .address_space:  global
        .offset:         64
        .size:           8
        .value_kind:     global_buffer
      - .offset:         72
        .size:           4
        .value_kind:     by_value
      - .offset:         76
        .size:           4
        .value_kind:     by_value
      - .offset:         80
        .size:           4
        .value_kind:     by_value
      - .actual_access:  read_only
        .address_space:  global
        .offset:         88
        .size:           8
        .value_kind:     global_buffer
      - .actual_access:  read_only
        .address_space:  global
        .offset:         96
        .size:           8
        .value_kind:     global_buffer
      - .actual_access:  read_only
        .address_space:  global
        .offset:         104
        .size:           8
        .value_kind:     global_buffer
      - .actual_access:  read_only
        .address_space:  global
        .offset:         112
        .size:           8
        .value_kind:     global_buffer
      - .offset:         120
        .size:           4
        .value_kind:     by_value
      - .address_space:  global
        .offset:         128
        .size:           8
        .value_kind:     global_buffer
      - .address_space:  global
        .offset:         136
        .size:           8
        .value_kind:     global_buffer
      - .offset:         144
        .size:           4
        .value_kind:     hidden_block_count_x
      - .offset:         148
        .size:           4
        .value_kind:     hidden_block_count_y
      - .offset:         152
        .size:           4
        .value_kind:     hidden_block_count_z
      - .offset:         156
        .size:           2
        .value_kind:     hidden_group_size_x
      - .offset:         158
        .size:           2
        .value_kind:     hidden_group_size_y
      - .offset:         160
        .size:           2
        .value_kind:     hidden_group_size_z
      - .offset:         162
        .size:           2
        .value_kind:     hidden_remainder_x
      - .offset:         164
        .size:           2
        .value_kind:     hidden_remainder_y
      - .offset:         166
        .size:           2
        .value_kind:     hidden_remainder_z
      - .offset:         184
        .size:           8
        .value_kind:     hidden_global_offset_x
      - .offset:         192
        .size:           8
        .value_kind:     hidden_global_offset_y
      - .offset:         200
        .size:           8
        .value_kind:     hidden_global_offset_z
      - .offset:         208
        .size:           2
        .value_kind:     hidden_grid_dims
      - .offset:         224
        .size:           8
        .value_kind:     hidden_hostcall_buffer
    .group_segment_fixed_size: 0
    .kernarg_segment_align: 8
    .kernarg_segment_size: 400
    .language:       OpenCL C
    .language_version:
      - 2
      - 0
    .max_flat_workgroup_size: 256
    .name:           _Z38paged_attention_ll4mi_QKV_mfma4_kernelI14__hip_bfloat16hLN4vllm18Fp8KVCacheDataTypeE1ES0_Li32ELi128ELi256ELb1ELi2EEvPKT_PKT0_S8_ifPKiSA_SA_iPKfiiiPfSD_PS3_PT2_iSC_SC_
    .private_segment_fixed_size: 64
    .sgpr_count:     36
    .sgpr_spill_count: 0
    .symbol:         _Z38paged_attention_ll4mi_QKV_mfma4_kernelI14__hip_bfloat16hLN4vllm18Fp8KVCacheDataTypeE1ES0_Li32ELi128ELi256ELb1ELi2EEvPKT_PKT0_S8_ifPKiSA_SA_iPKfiiiPfSD_PS3_PT2_iSC_SC_.kd
    .uniform_work_group_size: 1
    .uses_dynamic_stack: false
    .vgpr_count:     41
    .vgpr_spill_count: 0
    .wavefront_size: 32
    .workgroup_processor_mode: 1
  - .args:
      - .actual_access:  read_only
        .address_space:  global
        .offset:         0
        .size:           8
        .value_kind:     global_buffer
      - .actual_access:  read_only
        .address_space:  global
        .offset:         8
        .size:           8
        .value_kind:     global_buffer
      - .actual_access:  read_only
        .address_space:  global
        .offset:         16
        .size:           8
        .value_kind:     global_buffer
      - .offset:         24
        .size:           4
        .value_kind:     by_value
      - .offset:         28
        .size:           4
        .value_kind:     by_value
      - .actual_access:  read_only
        .address_space:  global
        .offset:         32
        .size:           8
        .value_kind:     global_buffer
      - .actual_access:  read_only
        .address_space:  global
        .offset:         40
        .size:           8
        .value_kind:     global_buffer
      - .actual_access:  read_only
        .address_space:  global
        .offset:         48
        .size:           8
        .value_kind:     global_buffer
      - .offset:         56
        .size:           4
        .value_kind:     by_value
      - .actual_access:  read_only
        .address_space:  global
        .offset:         64
        .size:           8
        .value_kind:     global_buffer
      - .offset:         72
        .size:           4
        .value_kind:     by_value
      - .offset:         76
        .size:           4
        .value_kind:     by_value
      - .offset:         80
        .size:           4
        .value_kind:     by_value
      - .actual_access:  read_only
        .address_space:  global
        .offset:         88
        .size:           8
        .value_kind:     global_buffer
      - .actual_access:  read_only
        .address_space:  global
        .offset:         96
        .size:           8
        .value_kind:     global_buffer
      - .actual_access:  read_only
        .address_space:  global
        .offset:         104
        .size:           8
        .value_kind:     global_buffer
      - .actual_access:  read_only
        .address_space:  global
        .offset:         112
        .size:           8
        .value_kind:     global_buffer
      - .offset:         120
        .size:           4
        .value_kind:     by_value
      - .address_space:  global
        .offset:         128
        .size:           8
        .value_kind:     global_buffer
      - .address_space:  global
        .offset:         136
        .size:           8
        .value_kind:     global_buffer
      - .offset:         144
        .size:           4
        .value_kind:     hidden_block_count_x
      - .offset:         148
        .size:           4
        .value_kind:     hidden_block_count_y
      - .offset:         152
        .size:           4
        .value_kind:     hidden_block_count_z
      - .offset:         156
        .size:           2
        .value_kind:     hidden_group_size_x
      - .offset:         158
        .size:           2
        .value_kind:     hidden_group_size_y
      - .offset:         160
        .size:           2
        .value_kind:     hidden_group_size_z
      - .offset:         162
        .size:           2
        .value_kind:     hidden_remainder_x
      - .offset:         164
        .size:           2
        .value_kind:     hidden_remainder_y
      - .offset:         166
        .size:           2
        .value_kind:     hidden_remainder_z
      - .offset:         184
        .size:           8
        .value_kind:     hidden_global_offset_x
      - .offset:         192
        .size:           8
        .value_kind:     hidden_global_offset_y
      - .offset:         200
        .size:           8
        .value_kind:     hidden_global_offset_z
      - .offset:         208
        .size:           2
        .value_kind:     hidden_grid_dims
      - .offset:         224
        .size:           8
        .value_kind:     hidden_hostcall_buffer
    .group_segment_fixed_size: 0
    .kernarg_segment_align: 8
    .kernarg_segment_size: 400
    .language:       OpenCL C
    .language_version:
      - 2
      - 0
    .max_flat_workgroup_size: 256
    .name:           _Z38paged_attention_ll4mi_QKV_mfma4_kernelI14__hip_bfloat16hLN4vllm18Fp8KVCacheDataTypeE1ES0_Li32ELi128ELi256ELb1ELi3EEvPKT_PKT0_S8_ifPKiSA_SA_iPKfiiiPfSD_PS3_PT2_iSC_SC_
    .private_segment_fixed_size: 64
    .sgpr_count:     36
    .sgpr_spill_count: 0
    .symbol:         _Z38paged_attention_ll4mi_QKV_mfma4_kernelI14__hip_bfloat16hLN4vllm18Fp8KVCacheDataTypeE1ES0_Li32ELi128ELi256ELb1ELi3EEvPKT_PKT0_S8_ifPKiSA_SA_iPKfiiiPfSD_PS3_PT2_iSC_SC_.kd
    .uniform_work_group_size: 1
    .uses_dynamic_stack: false
    .vgpr_count:     41
    .vgpr_spill_count: 0
    .wavefront_size: 32
    .workgroup_processor_mode: 1
  - .args:
      - .actual_access:  read_only
        .address_space:  global
        .offset:         0
        .size:           8
        .value_kind:     global_buffer
      - .actual_access:  read_only
        .address_space:  global
        .offset:         8
        .size:           8
        .value_kind:     global_buffer
      - .actual_access:  read_only
        .address_space:  global
        .offset:         16
        .size:           8
        .value_kind:     global_buffer
      - .offset:         24
        .size:           4
        .value_kind:     by_value
      - .offset:         28
        .size:           4
        .value_kind:     by_value
      - .actual_access:  read_only
        .address_space:  global
        .offset:         32
        .size:           8
        .value_kind:     global_buffer
      - .actual_access:  read_only
        .address_space:  global
        .offset:         40
        .size:           8
        .value_kind:     global_buffer
      - .actual_access:  read_only
        .address_space:  global
        .offset:         48
        .size:           8
        .value_kind:     global_buffer
      - .offset:         56
        .size:           4
        .value_kind:     by_value
      - .actual_access:  read_only
        .address_space:  global
        .offset:         64
        .size:           8
        .value_kind:     global_buffer
      - .offset:         72
        .size:           4
        .value_kind:     by_value
      - .offset:         76
        .size:           4
        .value_kind:     by_value
      - .offset:         80
        .size:           4
        .value_kind:     by_value
      - .actual_access:  read_only
        .address_space:  global
        .offset:         88
        .size:           8
        .value_kind:     global_buffer
      - .actual_access:  read_only
        .address_space:  global
        .offset:         96
        .size:           8
        .value_kind:     global_buffer
      - .actual_access:  read_only
        .address_space:  global
        .offset:         104
        .size:           8
        .value_kind:     global_buffer
      - .actual_access:  read_only
        .address_space:  global
        .offset:         112
        .size:           8
        .value_kind:     global_buffer
      - .offset:         120
        .size:           4
        .value_kind:     by_value
      - .address_space:  global
        .offset:         128
        .size:           8
        .value_kind:     global_buffer
      - .address_space:  global
        .offset:         136
        .size:           8
        .value_kind:     global_buffer
      - .offset:         144
        .size:           4
        .value_kind:     hidden_block_count_x
      - .offset:         148
        .size:           4
        .value_kind:     hidden_block_count_y
      - .offset:         152
        .size:           4
        .value_kind:     hidden_block_count_z
      - .offset:         156
        .size:           2
        .value_kind:     hidden_group_size_x
      - .offset:         158
        .size:           2
        .value_kind:     hidden_group_size_y
      - .offset:         160
        .size:           2
        .value_kind:     hidden_group_size_z
      - .offset:         162
        .size:           2
        .value_kind:     hidden_remainder_x
      - .offset:         164
        .size:           2
        .value_kind:     hidden_remainder_y
      - .offset:         166
        .size:           2
        .value_kind:     hidden_remainder_z
      - .offset:         184
        .size:           8
        .value_kind:     hidden_global_offset_x
      - .offset:         192
        .size:           8
        .value_kind:     hidden_global_offset_y
      - .offset:         200
        .size:           8
        .value_kind:     hidden_global_offset_z
      - .offset:         208
        .size:           2
        .value_kind:     hidden_grid_dims
      - .offset:         224
        .size:           8
        .value_kind:     hidden_hostcall_buffer
    .group_segment_fixed_size: 0
    .kernarg_segment_align: 8
    .kernarg_segment_size: 400
    .language:       OpenCL C
    .language_version:
      - 2
      - 0
    .max_flat_workgroup_size: 256
    .name:           _Z38paged_attention_ll4mi_QKV_mfma4_kernelI14__hip_bfloat16hLN4vllm18Fp8KVCacheDataTypeE1ES0_Li32ELi128ELi256ELb1ELi4EEvPKT_PKT0_S8_ifPKiSA_SA_iPKfiiiPfSD_PS3_PT2_iSC_SC_
    .private_segment_fixed_size: 64
    .sgpr_count:     36
    .sgpr_spill_count: 0
    .symbol:         _Z38paged_attention_ll4mi_QKV_mfma4_kernelI14__hip_bfloat16hLN4vllm18Fp8KVCacheDataTypeE1ES0_Li32ELi128ELi256ELb1ELi4EEvPKT_PKT0_S8_ifPKiSA_SA_iPKfiiiPfSD_PS3_PT2_iSC_SC_.kd
    .uniform_work_group_size: 1
    .uses_dynamic_stack: false
    .vgpr_count:     41
    .vgpr_spill_count: 0
    .wavefront_size: 32
    .workgroup_processor_mode: 1
  - .args:
      - .actual_access:  read_only
        .address_space:  global
        .offset:         0
        .size:           8
        .value_kind:     global_buffer
      - .actual_access:  read_only
        .address_space:  global
        .offset:         8
        .size:           8
        .value_kind:     global_buffer
      - .actual_access:  read_only
        .address_space:  global
        .offset:         16
        .size:           8
        .value_kind:     global_buffer
      - .offset:         24
        .size:           4
        .value_kind:     by_value
      - .offset:         28
        .size:           4
        .value_kind:     by_value
      - .actual_access:  read_only
        .address_space:  global
        .offset:         32
        .size:           8
        .value_kind:     global_buffer
      - .actual_access:  read_only
        .address_space:  global
        .offset:         40
        .size:           8
        .value_kind:     global_buffer
      - .actual_access:  read_only
        .address_space:  global
        .offset:         48
        .size:           8
        .value_kind:     global_buffer
      - .offset:         56
        .size:           4
        .value_kind:     by_value
      - .actual_access:  read_only
        .address_space:  global
        .offset:         64
        .size:           8
        .value_kind:     global_buffer
      - .offset:         72
        .size:           4
        .value_kind:     by_value
      - .offset:         76
        .size:           4
        .value_kind:     by_value
      - .offset:         80
        .size:           4
        .value_kind:     by_value
      - .actual_access:  write_only
        .address_space:  global
        .offset:         88
        .size:           8
        .value_kind:     global_buffer
      - .actual_access:  write_only
        .address_space:  global
        .offset:         96
        .size:           8
        .value_kind:     global_buffer
      - .actual_access:  write_only
        .address_space:  global
        .offset:         104
        .size:           8
        .value_kind:     global_buffer
      - .actual_access:  read_only
        .address_space:  global
        .offset:         112
        .size:           8
        .value_kind:     global_buffer
      - .offset:         120
        .size:           4
        .value_kind:     by_value
      - .address_space:  global
        .offset:         128
        .size:           8
        .value_kind:     global_buffer
      - .address_space:  global
        .offset:         136
        .size:           8
        .value_kind:     global_buffer
      - .offset:         144
        .size:           4
        .value_kind:     hidden_block_count_x
      - .offset:         148
        .size:           4
        .value_kind:     hidden_block_count_y
      - .offset:         152
        .size:           4
        .value_kind:     hidden_block_count_z
      - .offset:         156
        .size:           2
        .value_kind:     hidden_group_size_x
      - .offset:         158
        .size:           2
        .value_kind:     hidden_group_size_y
      - .offset:         160
        .size:           2
        .value_kind:     hidden_group_size_z
      - .offset:         162
        .size:           2
        .value_kind:     hidden_remainder_x
      - .offset:         164
        .size:           2
        .value_kind:     hidden_remainder_y
      - .offset:         166
        .size:           2
        .value_kind:     hidden_remainder_z
      - .offset:         184
        .size:           8
        .value_kind:     hidden_global_offset_x
      - .offset:         192
        .size:           8
        .value_kind:     hidden_global_offset_y
      - .offset:         200
        .size:           8
        .value_kind:     hidden_global_offset_z
      - .offset:         208
        .size:           2
        .value_kind:     hidden_grid_dims
    .group_segment_fixed_size: 17472
    .kernarg_segment_align: 8
    .kernarg_segment_size: 400
    .language:       OpenCL C
    .language_version:
      - 2
      - 0
    .max_flat_workgroup_size: 256
    .name:           _Z39paged_attention_ll4mi_QKV_mfma16_kernelI14__hip_bfloat16hLN4vllm18Fp8KVCacheDataTypeE1ES0_Li32ELi128ELi256ELb1ELi5EL8MFMAType1EEvPKT_PKT0_S9_ifPKiSB_SB_iPKfiiiPfSE_PS4_PT2_iSD_SD_
    .private_segment_fixed_size: 0
    .sgpr_count:     38
    .sgpr_spill_count: 0
    .symbol:         _Z39paged_attention_ll4mi_QKV_mfma16_kernelI14__hip_bfloat16hLN4vllm18Fp8KVCacheDataTypeE1ES0_Li32ELi128ELi256ELb1ELi5EL8MFMAType1EEvPKT_PKT0_S9_ifPKiSB_SB_iPKfiiiPfSE_PS4_PT2_iSD_SD_.kd
    .uniform_work_group_size: 1
    .uses_dynamic_stack: false
    .vgpr_count:     140
    .vgpr_spill_count: 0
    .wavefront_size: 32
    .workgroup_processor_mode: 1
  - .args:
      - .actual_access:  read_only
        .address_space:  global
        .offset:         0
        .size:           8
        .value_kind:     global_buffer
      - .actual_access:  read_only
        .address_space:  global
        .offset:         8
        .size:           8
        .value_kind:     global_buffer
      - .actual_access:  read_only
        .address_space:  global
        .offset:         16
        .size:           8
        .value_kind:     global_buffer
      - .offset:         24
        .size:           4
        .value_kind:     by_value
      - .offset:         28
        .size:           4
        .value_kind:     by_value
      - .actual_access:  read_only
        .address_space:  global
        .offset:         32
        .size:           8
        .value_kind:     global_buffer
      - .actual_access:  read_only
        .address_space:  global
        .offset:         40
        .size:           8
        .value_kind:     global_buffer
      - .actual_access:  read_only
        .address_space:  global
        .offset:         48
        .size:           8
        .value_kind:     global_buffer
      - .offset:         56
        .size:           4
        .value_kind:     by_value
      - .actual_access:  read_only
        .address_space:  global
        .offset:         64
        .size:           8
        .value_kind:     global_buffer
      - .offset:         72
        .size:           4
        .value_kind:     by_value
      - .offset:         76
        .size:           4
        .value_kind:     by_value
      - .offset:         80
        .size:           4
        .value_kind:     by_value
      - .actual_access:  write_only
        .address_space:  global
        .offset:         88
        .size:           8
        .value_kind:     global_buffer
      - .actual_access:  write_only
        .address_space:  global
        .offset:         96
        .size:           8
        .value_kind:     global_buffer
      - .actual_access:  write_only
        .address_space:  global
        .offset:         104
        .size:           8
        .value_kind:     global_buffer
      - .actual_access:  read_only
        .address_space:  global
        .offset:         112
        .size:           8
        .value_kind:     global_buffer
      - .offset:         120
        .size:           4
        .value_kind:     by_value
      - .address_space:  global
        .offset:         128
        .size:           8
        .value_kind:     global_buffer
      - .address_space:  global
        .offset:         136
        .size:           8
        .value_kind:     global_buffer
      - .offset:         144
        .size:           4
        .value_kind:     hidden_block_count_x
      - .offset:         148
        .size:           4
        .value_kind:     hidden_block_count_y
      - .offset:         152
        .size:           4
        .value_kind:     hidden_block_count_z
      - .offset:         156
        .size:           2
        .value_kind:     hidden_group_size_x
      - .offset:         158
        .size:           2
        .value_kind:     hidden_group_size_y
      - .offset:         160
        .size:           2
        .value_kind:     hidden_group_size_z
      - .offset:         162
        .size:           2
        .value_kind:     hidden_remainder_x
      - .offset:         164
        .size:           2
        .value_kind:     hidden_remainder_y
      - .offset:         166
        .size:           2
        .value_kind:     hidden_remainder_z
      - .offset:         184
        .size:           8
        .value_kind:     hidden_global_offset_x
      - .offset:         192
        .size:           8
        .value_kind:     hidden_global_offset_y
      - .offset:         200
        .size:           8
        .value_kind:     hidden_global_offset_z
      - .offset:         208
        .size:           2
        .value_kind:     hidden_grid_dims
    .group_segment_fixed_size: 17472
    .kernarg_segment_align: 8
    .kernarg_segment_size: 400
    .language:       OpenCL C
    .language_version:
      - 2
      - 0
    .max_flat_workgroup_size: 256
    .name:           _Z39paged_attention_ll4mi_QKV_mfma16_kernelI14__hip_bfloat16hLN4vllm18Fp8KVCacheDataTypeE1ES0_Li32ELi128ELi256ELb1ELi6EL8MFMAType1EEvPKT_PKT0_S9_ifPKiSB_SB_iPKfiiiPfSE_PS4_PT2_iSD_SD_
    .private_segment_fixed_size: 0
    .sgpr_count:     38
    .sgpr_spill_count: 0
    .symbol:         _Z39paged_attention_ll4mi_QKV_mfma16_kernelI14__hip_bfloat16hLN4vllm18Fp8KVCacheDataTypeE1ES0_Li32ELi128ELi256ELb1ELi6EL8MFMAType1EEvPKT_PKT0_S9_ifPKiSB_SB_iPKfiiiPfSE_PS4_PT2_iSD_SD_.kd
    .uniform_work_group_size: 1
    .uses_dynamic_stack: false
    .vgpr_count:     140
    .vgpr_spill_count: 0
    .wavefront_size: 32
    .workgroup_processor_mode: 1
  - .args:
      - .actual_access:  read_only
        .address_space:  global
        .offset:         0
        .size:           8
        .value_kind:     global_buffer
      - .actual_access:  read_only
        .address_space:  global
        .offset:         8
        .size:           8
        .value_kind:     global_buffer
      - .actual_access:  read_only
        .address_space:  global
        .offset:         16
        .size:           8
        .value_kind:     global_buffer
      - .offset:         24
        .size:           4
        .value_kind:     by_value
      - .offset:         28
        .size:           4
        .value_kind:     by_value
      - .actual_access:  read_only
        .address_space:  global
        .offset:         32
        .size:           8
        .value_kind:     global_buffer
      - .actual_access:  read_only
        .address_space:  global
        .offset:         40
        .size:           8
        .value_kind:     global_buffer
      - .actual_access:  read_only
        .address_space:  global
        .offset:         48
        .size:           8
        .value_kind:     global_buffer
      - .offset:         56
        .size:           4
        .value_kind:     by_value
      - .actual_access:  read_only
        .address_space:  global
        .offset:         64
        .size:           8
        .value_kind:     global_buffer
      - .offset:         72
        .size:           4
        .value_kind:     by_value
      - .offset:         76
        .size:           4
        .value_kind:     by_value
      - .offset:         80
        .size:           4
        .value_kind:     by_value
      - .actual_access:  write_only
        .address_space:  global
        .offset:         88
        .size:           8
        .value_kind:     global_buffer
      - .actual_access:  write_only
        .address_space:  global
        .offset:         96
        .size:           8
        .value_kind:     global_buffer
      - .actual_access:  write_only
        .address_space:  global
        .offset:         104
        .size:           8
        .value_kind:     global_buffer
      - .actual_access:  read_only
        .address_space:  global
        .offset:         112
        .size:           8
        .value_kind:     global_buffer
      - .offset:         120
        .size:           4
        .value_kind:     by_value
      - .address_space:  global
        .offset:         128
        .size:           8
        .value_kind:     global_buffer
      - .address_space:  global
        .offset:         136
        .size:           8
        .value_kind:     global_buffer
      - .offset:         144
        .size:           4
        .value_kind:     hidden_block_count_x
      - .offset:         148
        .size:           4
        .value_kind:     hidden_block_count_y
      - .offset:         152
        .size:           4
        .value_kind:     hidden_block_count_z
      - .offset:         156
        .size:           2
        .value_kind:     hidden_group_size_x
      - .offset:         158
        .size:           2
        .value_kind:     hidden_group_size_y
      - .offset:         160
        .size:           2
        .value_kind:     hidden_group_size_z
      - .offset:         162
        .size:           2
        .value_kind:     hidden_remainder_x
      - .offset:         164
        .size:           2
        .value_kind:     hidden_remainder_y
      - .offset:         166
        .size:           2
        .value_kind:     hidden_remainder_z
      - .offset:         184
        .size:           8
        .value_kind:     hidden_global_offset_x
      - .offset:         192
        .size:           8
        .value_kind:     hidden_global_offset_y
      - .offset:         200
        .size:           8
        .value_kind:     hidden_global_offset_z
      - .offset:         208
        .size:           2
        .value_kind:     hidden_grid_dims
    .group_segment_fixed_size: 17472
    .kernarg_segment_align: 8
    .kernarg_segment_size: 400
    .language:       OpenCL C
    .language_version:
      - 2
      - 0
    .max_flat_workgroup_size: 256
    .name:           _Z39paged_attention_ll4mi_QKV_mfma16_kernelI14__hip_bfloat16hLN4vllm18Fp8KVCacheDataTypeE1ES0_Li32ELi128ELi256ELb1ELi7EL8MFMAType1EEvPKT_PKT0_S9_ifPKiSB_SB_iPKfiiiPfSE_PS4_PT2_iSD_SD_
    .private_segment_fixed_size: 0
    .sgpr_count:     38
    .sgpr_spill_count: 0
    .symbol:         _Z39paged_attention_ll4mi_QKV_mfma16_kernelI14__hip_bfloat16hLN4vllm18Fp8KVCacheDataTypeE1ES0_Li32ELi128ELi256ELb1ELi7EL8MFMAType1EEvPKT_PKT0_S9_ifPKiSB_SB_iPKfiiiPfSE_PS4_PT2_iSD_SD_.kd
    .uniform_work_group_size: 1
    .uses_dynamic_stack: false
    .vgpr_count:     140
    .vgpr_spill_count: 0
    .wavefront_size: 32
    .workgroup_processor_mode: 1
  - .args:
      - .actual_access:  read_only
        .address_space:  global
        .offset:         0
        .size:           8
        .value_kind:     global_buffer
      - .actual_access:  read_only
        .address_space:  global
        .offset:         8
        .size:           8
        .value_kind:     global_buffer
      - .actual_access:  read_only
        .address_space:  global
        .offset:         16
        .size:           8
        .value_kind:     global_buffer
      - .offset:         24
        .size:           4
        .value_kind:     by_value
      - .offset:         28
        .size:           4
        .value_kind:     by_value
      - .actual_access:  read_only
        .address_space:  global
        .offset:         32
        .size:           8
        .value_kind:     global_buffer
      - .actual_access:  read_only
        .address_space:  global
        .offset:         40
        .size:           8
        .value_kind:     global_buffer
      - .actual_access:  read_only
        .address_space:  global
        .offset:         48
        .size:           8
        .value_kind:     global_buffer
      - .offset:         56
        .size:           4
        .value_kind:     by_value
      - .actual_access:  read_only
        .address_space:  global
        .offset:         64
        .size:           8
        .value_kind:     global_buffer
      - .offset:         72
        .size:           4
        .value_kind:     by_value
      - .offset:         76
        .size:           4
        .value_kind:     by_value
      - .offset:         80
        .size:           4
        .value_kind:     by_value
      - .actual_access:  write_only
        .address_space:  global
        .offset:         88
        .size:           8
        .value_kind:     global_buffer
      - .actual_access:  write_only
        .address_space:  global
        .offset:         96
        .size:           8
        .value_kind:     global_buffer
      - .actual_access:  write_only
        .address_space:  global
        .offset:         104
        .size:           8
        .value_kind:     global_buffer
      - .actual_access:  read_only
        .address_space:  global
        .offset:         112
        .size:           8
        .value_kind:     global_buffer
      - .offset:         120
        .size:           4
        .value_kind:     by_value
      - .address_space:  global
        .offset:         128
        .size:           8
        .value_kind:     global_buffer
      - .address_space:  global
        .offset:         136
        .size:           8
        .value_kind:     global_buffer
      - .offset:         144
        .size:           4
        .value_kind:     hidden_block_count_x
      - .offset:         148
        .size:           4
        .value_kind:     hidden_block_count_y
      - .offset:         152
        .size:           4
        .value_kind:     hidden_block_count_z
      - .offset:         156
        .size:           2
        .value_kind:     hidden_group_size_x
      - .offset:         158
        .size:           2
        .value_kind:     hidden_group_size_y
      - .offset:         160
        .size:           2
        .value_kind:     hidden_group_size_z
      - .offset:         162
        .size:           2
        .value_kind:     hidden_remainder_x
      - .offset:         164
        .size:           2
        .value_kind:     hidden_remainder_y
      - .offset:         166
        .size:           2
        .value_kind:     hidden_remainder_z
      - .offset:         184
        .size:           8
        .value_kind:     hidden_global_offset_x
      - .offset:         192
        .size:           8
        .value_kind:     hidden_global_offset_y
      - .offset:         200
        .size:           8
        .value_kind:     hidden_global_offset_z
      - .offset:         208
        .size:           2
        .value_kind:     hidden_grid_dims
    .group_segment_fixed_size: 17472
    .kernarg_segment_align: 8
    .kernarg_segment_size: 400
    .language:       OpenCL C
    .language_version:
      - 2
      - 0
    .max_flat_workgroup_size: 256
    .name:           _Z39paged_attention_ll4mi_QKV_mfma16_kernelI14__hip_bfloat16hLN4vllm18Fp8KVCacheDataTypeE1ES0_Li32ELi128ELi256ELb1ELi8EL8MFMAType1EEvPKT_PKT0_S9_ifPKiSB_SB_iPKfiiiPfSE_PS4_PT2_iSD_SD_
    .private_segment_fixed_size: 0
    .sgpr_count:     38
    .sgpr_spill_count: 0
    .symbol:         _Z39paged_attention_ll4mi_QKV_mfma16_kernelI14__hip_bfloat16hLN4vllm18Fp8KVCacheDataTypeE1ES0_Li32ELi128ELi256ELb1ELi8EL8MFMAType1EEvPKT_PKT0_S9_ifPKiSB_SB_iPKfiiiPfSE_PS4_PT2_iSD_SD_.kd
    .uniform_work_group_size: 1
    .uses_dynamic_stack: false
    .vgpr_count:     140
    .vgpr_spill_count: 0
    .wavefront_size: 32
    .workgroup_processor_mode: 1
  - .args:
      - .actual_access:  read_only
        .address_space:  global
        .offset:         0
        .size:           8
        .value_kind:     global_buffer
      - .actual_access:  read_only
        .address_space:  global
        .offset:         8
        .size:           8
        .value_kind:     global_buffer
      - .actual_access:  read_only
        .address_space:  global
        .offset:         16
        .size:           8
        .value_kind:     global_buffer
      - .offset:         24
        .size:           4
        .value_kind:     by_value
      - .offset:         28
        .size:           4
        .value_kind:     by_value
      - .actual_access:  read_only
        .address_space:  global
        .offset:         32
        .size:           8
        .value_kind:     global_buffer
      - .actual_access:  read_only
        .address_space:  global
        .offset:         40
        .size:           8
        .value_kind:     global_buffer
      - .actual_access:  read_only
        .address_space:  global
        .offset:         48
        .size:           8
        .value_kind:     global_buffer
      - .offset:         56
        .size:           4
        .value_kind:     by_value
      - .actual_access:  read_only
        .address_space:  global
        .offset:         64
        .size:           8
        .value_kind:     global_buffer
      - .offset:         72
        .size:           4
        .value_kind:     by_value
      - .offset:         76
        .size:           4
        .value_kind:     by_value
      - .offset:         80
        .size:           4
        .value_kind:     by_value
      - .actual_access:  write_only
        .address_space:  global
        .offset:         88
        .size:           8
        .value_kind:     global_buffer
      - .actual_access:  write_only
        .address_space:  global
        .offset:         96
        .size:           8
        .value_kind:     global_buffer
      - .actual_access:  write_only
        .address_space:  global
        .offset:         104
        .size:           8
        .value_kind:     global_buffer
      - .actual_access:  read_only
        .address_space:  global
        .offset:         112
        .size:           8
        .value_kind:     global_buffer
      - .offset:         120
        .size:           4
        .value_kind:     by_value
      - .address_space:  global
        .offset:         128
        .size:           8
        .value_kind:     global_buffer
      - .address_space:  global
        .offset:         136
        .size:           8
        .value_kind:     global_buffer
      - .offset:         144
        .size:           4
        .value_kind:     hidden_block_count_x
      - .offset:         148
        .size:           4
        .value_kind:     hidden_block_count_y
      - .offset:         152
        .size:           4
        .value_kind:     hidden_block_count_z
      - .offset:         156
        .size:           2
        .value_kind:     hidden_group_size_x
      - .offset:         158
        .size:           2
        .value_kind:     hidden_group_size_y
      - .offset:         160
        .size:           2
        .value_kind:     hidden_group_size_z
      - .offset:         162
        .size:           2
        .value_kind:     hidden_remainder_x
      - .offset:         164
        .size:           2
        .value_kind:     hidden_remainder_y
      - .offset:         166
        .size:           2
        .value_kind:     hidden_remainder_z
      - .offset:         184
        .size:           8
        .value_kind:     hidden_global_offset_x
      - .offset:         192
        .size:           8
        .value_kind:     hidden_global_offset_y
      - .offset:         200
        .size:           8
        .value_kind:     hidden_global_offset_z
      - .offset:         208
        .size:           2
        .value_kind:     hidden_grid_dims
    .group_segment_fixed_size: 17472
    .kernarg_segment_align: 8
    .kernarg_segment_size: 400
    .language:       OpenCL C
    .language_version:
      - 2
      - 0
    .max_flat_workgroup_size: 256
    .name:           _Z39paged_attention_ll4mi_QKV_mfma16_kernelI14__hip_bfloat16hLN4vllm18Fp8KVCacheDataTypeE1ES0_Li32ELi128ELi256ELb1ELi9EL8MFMAType1EEvPKT_PKT0_S9_ifPKiSB_SB_iPKfiiiPfSE_PS4_PT2_iSD_SD_
    .private_segment_fixed_size: 0
    .sgpr_count:     38
    .sgpr_spill_count: 0
    .symbol:         _Z39paged_attention_ll4mi_QKV_mfma16_kernelI14__hip_bfloat16hLN4vllm18Fp8KVCacheDataTypeE1ES0_Li32ELi128ELi256ELb1ELi9EL8MFMAType1EEvPKT_PKT0_S9_ifPKiSB_SB_iPKfiiiPfSE_PS4_PT2_iSD_SD_.kd
    .uniform_work_group_size: 1
    .uses_dynamic_stack: false
    .vgpr_count:     140
    .vgpr_spill_count: 0
    .wavefront_size: 32
    .workgroup_processor_mode: 1
  - .args:
      - .actual_access:  read_only
        .address_space:  global
        .offset:         0
        .size:           8
        .value_kind:     global_buffer
      - .actual_access:  read_only
        .address_space:  global
        .offset:         8
        .size:           8
        .value_kind:     global_buffer
      - .actual_access:  read_only
        .address_space:  global
        .offset:         16
        .size:           8
        .value_kind:     global_buffer
      - .offset:         24
        .size:           4
        .value_kind:     by_value
      - .offset:         28
        .size:           4
        .value_kind:     by_value
      - .actual_access:  read_only
        .address_space:  global
        .offset:         32
        .size:           8
        .value_kind:     global_buffer
      - .actual_access:  read_only
        .address_space:  global
        .offset:         40
        .size:           8
        .value_kind:     global_buffer
      - .actual_access:  read_only
        .address_space:  global
        .offset:         48
        .size:           8
        .value_kind:     global_buffer
      - .offset:         56
        .size:           4
        .value_kind:     by_value
      - .actual_access:  read_only
        .address_space:  global
        .offset:         64
        .size:           8
        .value_kind:     global_buffer
      - .offset:         72
        .size:           4
        .value_kind:     by_value
      - .offset:         76
        .size:           4
        .value_kind:     by_value
      - .offset:         80
        .size:           4
        .value_kind:     by_value
      - .actual_access:  write_only
        .address_space:  global
        .offset:         88
        .size:           8
        .value_kind:     global_buffer
      - .actual_access:  write_only
        .address_space:  global
        .offset:         96
        .size:           8
        .value_kind:     global_buffer
      - .actual_access:  write_only
        .address_space:  global
        .offset:         104
        .size:           8
        .value_kind:     global_buffer
      - .actual_access:  read_only
        .address_space:  global
        .offset:         112
        .size:           8
        .value_kind:     global_buffer
      - .offset:         120
        .size:           4
        .value_kind:     by_value
      - .address_space:  global
        .offset:         128
        .size:           8
        .value_kind:     global_buffer
      - .address_space:  global
        .offset:         136
        .size:           8
        .value_kind:     global_buffer
      - .offset:         144
        .size:           4
        .value_kind:     hidden_block_count_x
      - .offset:         148
        .size:           4
        .value_kind:     hidden_block_count_y
      - .offset:         152
        .size:           4
        .value_kind:     hidden_block_count_z
      - .offset:         156
        .size:           2
        .value_kind:     hidden_group_size_x
      - .offset:         158
        .size:           2
        .value_kind:     hidden_group_size_y
      - .offset:         160
        .size:           2
        .value_kind:     hidden_group_size_z
      - .offset:         162
        .size:           2
        .value_kind:     hidden_remainder_x
      - .offset:         164
        .size:           2
        .value_kind:     hidden_remainder_y
      - .offset:         166
        .size:           2
        .value_kind:     hidden_remainder_z
      - .offset:         184
        .size:           8
        .value_kind:     hidden_global_offset_x
      - .offset:         192
        .size:           8
        .value_kind:     hidden_global_offset_y
      - .offset:         200
        .size:           8
        .value_kind:     hidden_global_offset_z
      - .offset:         208
        .size:           2
        .value_kind:     hidden_grid_dims
    .group_segment_fixed_size: 17472
    .kernarg_segment_align: 8
    .kernarg_segment_size: 400
    .language:       OpenCL C
    .language_version:
      - 2
      - 0
    .max_flat_workgroup_size: 256
    .name:           _Z39paged_attention_ll4mi_QKV_mfma16_kernelI14__hip_bfloat16hLN4vllm18Fp8KVCacheDataTypeE1ES0_Li32ELi128ELi256ELb1ELi10EL8MFMAType1EEvPKT_PKT0_S9_ifPKiSB_SB_iPKfiiiPfSE_PS4_PT2_iSD_SD_
    .private_segment_fixed_size: 0
    .sgpr_count:     38
    .sgpr_spill_count: 0
    .symbol:         _Z39paged_attention_ll4mi_QKV_mfma16_kernelI14__hip_bfloat16hLN4vllm18Fp8KVCacheDataTypeE1ES0_Li32ELi128ELi256ELb1ELi10EL8MFMAType1EEvPKT_PKT0_S9_ifPKiSB_SB_iPKfiiiPfSE_PS4_PT2_iSD_SD_.kd
    .uniform_work_group_size: 1
    .uses_dynamic_stack: false
    .vgpr_count:     140
    .vgpr_spill_count: 0
    .wavefront_size: 32
    .workgroup_processor_mode: 1
  - .args:
      - .actual_access:  read_only
        .address_space:  global
        .offset:         0
        .size:           8
        .value_kind:     global_buffer
      - .actual_access:  read_only
        .address_space:  global
        .offset:         8
        .size:           8
        .value_kind:     global_buffer
      - .actual_access:  read_only
        .address_space:  global
        .offset:         16
        .size:           8
        .value_kind:     global_buffer
      - .offset:         24
        .size:           4
        .value_kind:     by_value
      - .offset:         28
        .size:           4
        .value_kind:     by_value
      - .actual_access:  read_only
        .address_space:  global
        .offset:         32
        .size:           8
        .value_kind:     global_buffer
      - .actual_access:  read_only
        .address_space:  global
        .offset:         40
        .size:           8
        .value_kind:     global_buffer
      - .actual_access:  read_only
        .address_space:  global
        .offset:         48
        .size:           8
        .value_kind:     global_buffer
      - .offset:         56
        .size:           4
        .value_kind:     by_value
      - .actual_access:  read_only
        .address_space:  global
        .offset:         64
        .size:           8
        .value_kind:     global_buffer
      - .offset:         72
        .size:           4
        .value_kind:     by_value
      - .offset:         76
        .size:           4
        .value_kind:     by_value
      - .offset:         80
        .size:           4
        .value_kind:     by_value
      - .actual_access:  write_only
        .address_space:  global
        .offset:         88
        .size:           8
        .value_kind:     global_buffer
      - .actual_access:  write_only
        .address_space:  global
        .offset:         96
        .size:           8
        .value_kind:     global_buffer
      - .actual_access:  write_only
        .address_space:  global
        .offset:         104
        .size:           8
        .value_kind:     global_buffer
      - .actual_access:  read_only
        .address_space:  global
        .offset:         112
        .size:           8
        .value_kind:     global_buffer
      - .offset:         120
        .size:           4
        .value_kind:     by_value
      - .address_space:  global
        .offset:         128
        .size:           8
        .value_kind:     global_buffer
      - .address_space:  global
        .offset:         136
        .size:           8
        .value_kind:     global_buffer
      - .offset:         144
        .size:           4
        .value_kind:     hidden_block_count_x
      - .offset:         148
        .size:           4
        .value_kind:     hidden_block_count_y
      - .offset:         152
        .size:           4
        .value_kind:     hidden_block_count_z
      - .offset:         156
        .size:           2
        .value_kind:     hidden_group_size_x
      - .offset:         158
        .size:           2
        .value_kind:     hidden_group_size_y
      - .offset:         160
        .size:           2
        .value_kind:     hidden_group_size_z
      - .offset:         162
        .size:           2
        .value_kind:     hidden_remainder_x
      - .offset:         164
        .size:           2
        .value_kind:     hidden_remainder_y
      - .offset:         166
        .size:           2
        .value_kind:     hidden_remainder_z
      - .offset:         184
        .size:           8
        .value_kind:     hidden_global_offset_x
      - .offset:         192
        .size:           8
        .value_kind:     hidden_global_offset_y
      - .offset:         200
        .size:           8
        .value_kind:     hidden_global_offset_z
      - .offset:         208
        .size:           2
        .value_kind:     hidden_grid_dims
    .group_segment_fixed_size: 17472
    .kernarg_segment_align: 8
    .kernarg_segment_size: 400
    .language:       OpenCL C
    .language_version:
      - 2
      - 0
    .max_flat_workgroup_size: 256
    .name:           _Z39paged_attention_ll4mi_QKV_mfma16_kernelI14__hip_bfloat16hLN4vllm18Fp8KVCacheDataTypeE1ES0_Li32ELi128ELi256ELb1ELi11EL8MFMAType1EEvPKT_PKT0_S9_ifPKiSB_SB_iPKfiiiPfSE_PS4_PT2_iSD_SD_
    .private_segment_fixed_size: 0
    .sgpr_count:     38
    .sgpr_spill_count: 0
    .symbol:         _Z39paged_attention_ll4mi_QKV_mfma16_kernelI14__hip_bfloat16hLN4vllm18Fp8KVCacheDataTypeE1ES0_Li32ELi128ELi256ELb1ELi11EL8MFMAType1EEvPKT_PKT0_S9_ifPKiSB_SB_iPKfiiiPfSE_PS4_PT2_iSD_SD_.kd
    .uniform_work_group_size: 1
    .uses_dynamic_stack: false
    .vgpr_count:     140
    .vgpr_spill_count: 0
    .wavefront_size: 32
    .workgroup_processor_mode: 1
  - .args:
      - .actual_access:  read_only
        .address_space:  global
        .offset:         0
        .size:           8
        .value_kind:     global_buffer
      - .actual_access:  read_only
        .address_space:  global
        .offset:         8
        .size:           8
        .value_kind:     global_buffer
      - .actual_access:  read_only
        .address_space:  global
        .offset:         16
        .size:           8
        .value_kind:     global_buffer
      - .offset:         24
        .size:           4
        .value_kind:     by_value
      - .offset:         28
        .size:           4
        .value_kind:     by_value
      - .actual_access:  read_only
        .address_space:  global
        .offset:         32
        .size:           8
        .value_kind:     global_buffer
      - .actual_access:  read_only
        .address_space:  global
        .offset:         40
        .size:           8
        .value_kind:     global_buffer
      - .actual_access:  read_only
        .address_space:  global
        .offset:         48
        .size:           8
        .value_kind:     global_buffer
      - .offset:         56
        .size:           4
        .value_kind:     by_value
      - .actual_access:  read_only
        .address_space:  global
        .offset:         64
        .size:           8
        .value_kind:     global_buffer
      - .offset:         72
        .size:           4
        .value_kind:     by_value
      - .offset:         76
        .size:           4
        .value_kind:     by_value
      - .offset:         80
        .size:           4
        .value_kind:     by_value
      - .actual_access:  write_only
        .address_space:  global
        .offset:         88
        .size:           8
        .value_kind:     global_buffer
      - .actual_access:  write_only
        .address_space:  global
        .offset:         96
        .size:           8
        .value_kind:     global_buffer
      - .actual_access:  write_only
        .address_space:  global
        .offset:         104
        .size:           8
        .value_kind:     global_buffer
      - .actual_access:  read_only
        .address_space:  global
        .offset:         112
        .size:           8
        .value_kind:     global_buffer
      - .offset:         120
        .size:           4
        .value_kind:     by_value
      - .address_space:  global
        .offset:         128
        .size:           8
        .value_kind:     global_buffer
      - .address_space:  global
        .offset:         136
        .size:           8
        .value_kind:     global_buffer
      - .offset:         144
        .size:           4
        .value_kind:     hidden_block_count_x
      - .offset:         148
        .size:           4
        .value_kind:     hidden_block_count_y
      - .offset:         152
        .size:           4
        .value_kind:     hidden_block_count_z
      - .offset:         156
        .size:           2
        .value_kind:     hidden_group_size_x
      - .offset:         158
        .size:           2
        .value_kind:     hidden_group_size_y
      - .offset:         160
        .size:           2
        .value_kind:     hidden_group_size_z
      - .offset:         162
        .size:           2
        .value_kind:     hidden_remainder_x
      - .offset:         164
        .size:           2
        .value_kind:     hidden_remainder_y
      - .offset:         166
        .size:           2
        .value_kind:     hidden_remainder_z
      - .offset:         184
        .size:           8
        .value_kind:     hidden_global_offset_x
      - .offset:         192
        .size:           8
        .value_kind:     hidden_global_offset_y
      - .offset:         200
        .size:           8
        .value_kind:     hidden_global_offset_z
      - .offset:         208
        .size:           2
        .value_kind:     hidden_grid_dims
    .group_segment_fixed_size: 17472
    .kernarg_segment_align: 8
    .kernarg_segment_size: 400
    .language:       OpenCL C
    .language_version:
      - 2
      - 0
    .max_flat_workgroup_size: 256
    .name:           _Z39paged_attention_ll4mi_QKV_mfma16_kernelI14__hip_bfloat16hLN4vllm18Fp8KVCacheDataTypeE1ES0_Li32ELi128ELi256ELb1ELi12EL8MFMAType1EEvPKT_PKT0_S9_ifPKiSB_SB_iPKfiiiPfSE_PS4_PT2_iSD_SD_
    .private_segment_fixed_size: 0
    .sgpr_count:     38
    .sgpr_spill_count: 0
    .symbol:         _Z39paged_attention_ll4mi_QKV_mfma16_kernelI14__hip_bfloat16hLN4vllm18Fp8KVCacheDataTypeE1ES0_Li32ELi128ELi256ELb1ELi12EL8MFMAType1EEvPKT_PKT0_S9_ifPKiSB_SB_iPKfiiiPfSE_PS4_PT2_iSD_SD_.kd
    .uniform_work_group_size: 1
    .uses_dynamic_stack: false
    .vgpr_count:     140
    .vgpr_spill_count: 0
    .wavefront_size: 32
    .workgroup_processor_mode: 1
  - .args:
      - .actual_access:  read_only
        .address_space:  global
        .offset:         0
        .size:           8
        .value_kind:     global_buffer
      - .actual_access:  read_only
        .address_space:  global
        .offset:         8
        .size:           8
        .value_kind:     global_buffer
      - .actual_access:  read_only
        .address_space:  global
        .offset:         16
        .size:           8
        .value_kind:     global_buffer
      - .offset:         24
        .size:           4
        .value_kind:     by_value
      - .offset:         28
        .size:           4
        .value_kind:     by_value
      - .actual_access:  read_only
        .address_space:  global
        .offset:         32
        .size:           8
        .value_kind:     global_buffer
      - .actual_access:  read_only
        .address_space:  global
        .offset:         40
        .size:           8
        .value_kind:     global_buffer
      - .actual_access:  read_only
        .address_space:  global
        .offset:         48
        .size:           8
        .value_kind:     global_buffer
      - .offset:         56
        .size:           4
        .value_kind:     by_value
      - .actual_access:  read_only
        .address_space:  global
        .offset:         64
        .size:           8
        .value_kind:     global_buffer
      - .offset:         72
        .size:           4
        .value_kind:     by_value
      - .offset:         76
        .size:           4
        .value_kind:     by_value
      - .offset:         80
        .size:           4
        .value_kind:     by_value
      - .actual_access:  write_only
        .address_space:  global
        .offset:         88
        .size:           8
        .value_kind:     global_buffer
      - .actual_access:  write_only
        .address_space:  global
        .offset:         96
        .size:           8
        .value_kind:     global_buffer
      - .actual_access:  write_only
        .address_space:  global
        .offset:         104
        .size:           8
        .value_kind:     global_buffer
      - .actual_access:  read_only
        .address_space:  global
        .offset:         112
        .size:           8
        .value_kind:     global_buffer
      - .offset:         120
        .size:           4
        .value_kind:     by_value
      - .address_space:  global
        .offset:         128
        .size:           8
        .value_kind:     global_buffer
      - .address_space:  global
        .offset:         136
        .size:           8
        .value_kind:     global_buffer
      - .offset:         144
        .size:           4
        .value_kind:     hidden_block_count_x
      - .offset:         148
        .size:           4
        .value_kind:     hidden_block_count_y
      - .offset:         152
        .size:           4
        .value_kind:     hidden_block_count_z
      - .offset:         156
        .size:           2
        .value_kind:     hidden_group_size_x
      - .offset:         158
        .size:           2
        .value_kind:     hidden_group_size_y
      - .offset:         160
        .size:           2
        .value_kind:     hidden_group_size_z
      - .offset:         162
        .size:           2
        .value_kind:     hidden_remainder_x
      - .offset:         164
        .size:           2
        .value_kind:     hidden_remainder_y
      - .offset:         166
        .size:           2
        .value_kind:     hidden_remainder_z
      - .offset:         184
        .size:           8
        .value_kind:     hidden_global_offset_x
      - .offset:         192
        .size:           8
        .value_kind:     hidden_global_offset_y
      - .offset:         200
        .size:           8
        .value_kind:     hidden_global_offset_z
      - .offset:         208
        .size:           2
        .value_kind:     hidden_grid_dims
    .group_segment_fixed_size: 17472
    .kernarg_segment_align: 8
    .kernarg_segment_size: 400
    .language:       OpenCL C
    .language_version:
      - 2
      - 0
    .max_flat_workgroup_size: 256
    .name:           _Z39paged_attention_ll4mi_QKV_mfma16_kernelI14__hip_bfloat16hLN4vllm18Fp8KVCacheDataTypeE1ES0_Li32ELi128ELi256ELb1ELi13EL8MFMAType1EEvPKT_PKT0_S9_ifPKiSB_SB_iPKfiiiPfSE_PS4_PT2_iSD_SD_
    .private_segment_fixed_size: 0
    .sgpr_count:     38
    .sgpr_spill_count: 0
    .symbol:         _Z39paged_attention_ll4mi_QKV_mfma16_kernelI14__hip_bfloat16hLN4vllm18Fp8KVCacheDataTypeE1ES0_Li32ELi128ELi256ELb1ELi13EL8MFMAType1EEvPKT_PKT0_S9_ifPKiSB_SB_iPKfiiiPfSE_PS4_PT2_iSD_SD_.kd
    .uniform_work_group_size: 1
    .uses_dynamic_stack: false
    .vgpr_count:     140
    .vgpr_spill_count: 0
    .wavefront_size: 32
    .workgroup_processor_mode: 1
  - .args:
      - .actual_access:  read_only
        .address_space:  global
        .offset:         0
        .size:           8
        .value_kind:     global_buffer
      - .actual_access:  read_only
        .address_space:  global
        .offset:         8
        .size:           8
        .value_kind:     global_buffer
      - .actual_access:  read_only
        .address_space:  global
        .offset:         16
        .size:           8
        .value_kind:     global_buffer
      - .offset:         24
        .size:           4
        .value_kind:     by_value
      - .offset:         28
        .size:           4
        .value_kind:     by_value
      - .actual_access:  read_only
        .address_space:  global
        .offset:         32
        .size:           8
        .value_kind:     global_buffer
      - .actual_access:  read_only
        .address_space:  global
        .offset:         40
        .size:           8
        .value_kind:     global_buffer
      - .actual_access:  read_only
        .address_space:  global
        .offset:         48
        .size:           8
        .value_kind:     global_buffer
      - .offset:         56
        .size:           4
        .value_kind:     by_value
      - .actual_access:  read_only
        .address_space:  global
        .offset:         64
        .size:           8
        .value_kind:     global_buffer
      - .offset:         72
        .size:           4
        .value_kind:     by_value
      - .offset:         76
        .size:           4
        .value_kind:     by_value
      - .offset:         80
        .size:           4
        .value_kind:     by_value
      - .actual_access:  write_only
        .address_space:  global
        .offset:         88
        .size:           8
        .value_kind:     global_buffer
      - .actual_access:  write_only
        .address_space:  global
        .offset:         96
        .size:           8
        .value_kind:     global_buffer
      - .actual_access:  write_only
        .address_space:  global
        .offset:         104
        .size:           8
        .value_kind:     global_buffer
      - .actual_access:  read_only
        .address_space:  global
        .offset:         112
        .size:           8
        .value_kind:     global_buffer
      - .offset:         120
        .size:           4
        .value_kind:     by_value
      - .address_space:  global
        .offset:         128
        .size:           8
        .value_kind:     global_buffer
      - .address_space:  global
        .offset:         136
        .size:           8
        .value_kind:     global_buffer
      - .offset:         144
        .size:           4
        .value_kind:     hidden_block_count_x
      - .offset:         148
        .size:           4
        .value_kind:     hidden_block_count_y
      - .offset:         152
        .size:           4
        .value_kind:     hidden_block_count_z
      - .offset:         156
        .size:           2
        .value_kind:     hidden_group_size_x
      - .offset:         158
        .size:           2
        .value_kind:     hidden_group_size_y
      - .offset:         160
        .size:           2
        .value_kind:     hidden_group_size_z
      - .offset:         162
        .size:           2
        .value_kind:     hidden_remainder_x
      - .offset:         164
        .size:           2
        .value_kind:     hidden_remainder_y
      - .offset:         166
        .size:           2
        .value_kind:     hidden_remainder_z
      - .offset:         184
        .size:           8
        .value_kind:     hidden_global_offset_x
      - .offset:         192
        .size:           8
        .value_kind:     hidden_global_offset_y
      - .offset:         200
        .size:           8
        .value_kind:     hidden_global_offset_z
      - .offset:         208
        .size:           2
        .value_kind:     hidden_grid_dims
    .group_segment_fixed_size: 17472
    .kernarg_segment_align: 8
    .kernarg_segment_size: 400
    .language:       OpenCL C
    .language_version:
      - 2
      - 0
    .max_flat_workgroup_size: 256
    .name:           _Z39paged_attention_ll4mi_QKV_mfma16_kernelI14__hip_bfloat16hLN4vllm18Fp8KVCacheDataTypeE1ES0_Li32ELi128ELi256ELb1ELi14EL8MFMAType1EEvPKT_PKT0_S9_ifPKiSB_SB_iPKfiiiPfSE_PS4_PT2_iSD_SD_
    .private_segment_fixed_size: 0
    .sgpr_count:     38
    .sgpr_spill_count: 0
    .symbol:         _Z39paged_attention_ll4mi_QKV_mfma16_kernelI14__hip_bfloat16hLN4vllm18Fp8KVCacheDataTypeE1ES0_Li32ELi128ELi256ELb1ELi14EL8MFMAType1EEvPKT_PKT0_S9_ifPKiSB_SB_iPKfiiiPfSE_PS4_PT2_iSD_SD_.kd
    .uniform_work_group_size: 1
    .uses_dynamic_stack: false
    .vgpr_count:     140
    .vgpr_spill_count: 0
    .wavefront_size: 32
    .workgroup_processor_mode: 1
  - .args:
      - .actual_access:  read_only
        .address_space:  global
        .offset:         0
        .size:           8
        .value_kind:     global_buffer
      - .actual_access:  read_only
        .address_space:  global
        .offset:         8
        .size:           8
        .value_kind:     global_buffer
      - .actual_access:  read_only
        .address_space:  global
        .offset:         16
        .size:           8
        .value_kind:     global_buffer
      - .offset:         24
        .size:           4
        .value_kind:     by_value
      - .offset:         28
        .size:           4
        .value_kind:     by_value
      - .actual_access:  read_only
        .address_space:  global
        .offset:         32
        .size:           8
        .value_kind:     global_buffer
      - .actual_access:  read_only
        .address_space:  global
        .offset:         40
        .size:           8
        .value_kind:     global_buffer
      - .actual_access:  read_only
        .address_space:  global
        .offset:         48
        .size:           8
        .value_kind:     global_buffer
      - .offset:         56
        .size:           4
        .value_kind:     by_value
      - .actual_access:  read_only
        .address_space:  global
        .offset:         64
        .size:           8
        .value_kind:     global_buffer
      - .offset:         72
        .size:           4
        .value_kind:     by_value
      - .offset:         76
        .size:           4
        .value_kind:     by_value
      - .offset:         80
        .size:           4
        .value_kind:     by_value
      - .actual_access:  write_only
        .address_space:  global
        .offset:         88
        .size:           8
        .value_kind:     global_buffer
      - .actual_access:  write_only
        .address_space:  global
        .offset:         96
        .size:           8
        .value_kind:     global_buffer
      - .actual_access:  write_only
        .address_space:  global
        .offset:         104
        .size:           8
        .value_kind:     global_buffer
      - .actual_access:  read_only
        .address_space:  global
        .offset:         112
        .size:           8
        .value_kind:     global_buffer
      - .offset:         120
        .size:           4
        .value_kind:     by_value
      - .address_space:  global
        .offset:         128
        .size:           8
        .value_kind:     global_buffer
      - .address_space:  global
        .offset:         136
        .size:           8
        .value_kind:     global_buffer
      - .offset:         144
        .size:           4
        .value_kind:     hidden_block_count_x
      - .offset:         148
        .size:           4
        .value_kind:     hidden_block_count_y
      - .offset:         152
        .size:           4
        .value_kind:     hidden_block_count_z
      - .offset:         156
        .size:           2
        .value_kind:     hidden_group_size_x
      - .offset:         158
        .size:           2
        .value_kind:     hidden_group_size_y
      - .offset:         160
        .size:           2
        .value_kind:     hidden_group_size_z
      - .offset:         162
        .size:           2
        .value_kind:     hidden_remainder_x
      - .offset:         164
        .size:           2
        .value_kind:     hidden_remainder_y
      - .offset:         166
        .size:           2
        .value_kind:     hidden_remainder_z
      - .offset:         184
        .size:           8
        .value_kind:     hidden_global_offset_x
      - .offset:         192
        .size:           8
        .value_kind:     hidden_global_offset_y
      - .offset:         200
        .size:           8
        .value_kind:     hidden_global_offset_z
      - .offset:         208
        .size:           2
        .value_kind:     hidden_grid_dims
    .group_segment_fixed_size: 17472
    .kernarg_segment_align: 8
    .kernarg_segment_size: 400
    .language:       OpenCL C
    .language_version:
      - 2
      - 0
    .max_flat_workgroup_size: 256
    .name:           _Z39paged_attention_ll4mi_QKV_mfma16_kernelI14__hip_bfloat16hLN4vllm18Fp8KVCacheDataTypeE1ES0_Li32ELi128ELi256ELb1ELi15EL8MFMAType1EEvPKT_PKT0_S9_ifPKiSB_SB_iPKfiiiPfSE_PS4_PT2_iSD_SD_
    .private_segment_fixed_size: 0
    .sgpr_count:     38
    .sgpr_spill_count: 0
    .symbol:         _Z39paged_attention_ll4mi_QKV_mfma16_kernelI14__hip_bfloat16hLN4vllm18Fp8KVCacheDataTypeE1ES0_Li32ELi128ELi256ELb1ELi15EL8MFMAType1EEvPKT_PKT0_S9_ifPKiSB_SB_iPKfiiiPfSE_PS4_PT2_iSD_SD_.kd
    .uniform_work_group_size: 1
    .uses_dynamic_stack: false
    .vgpr_count:     140
    .vgpr_spill_count: 0
    .wavefront_size: 32
    .workgroup_processor_mode: 1
  - .args:
      - .actual_access:  read_only
        .address_space:  global
        .offset:         0
        .size:           8
        .value_kind:     global_buffer
      - .actual_access:  read_only
        .address_space:  global
        .offset:         8
        .size:           8
        .value_kind:     global_buffer
      - .actual_access:  read_only
        .address_space:  global
        .offset:         16
        .size:           8
        .value_kind:     global_buffer
      - .offset:         24
        .size:           4
        .value_kind:     by_value
      - .offset:         28
        .size:           4
        .value_kind:     by_value
      - .actual_access:  read_only
        .address_space:  global
        .offset:         32
        .size:           8
        .value_kind:     global_buffer
      - .actual_access:  read_only
        .address_space:  global
        .offset:         40
        .size:           8
        .value_kind:     global_buffer
      - .actual_access:  read_only
        .address_space:  global
        .offset:         48
        .size:           8
        .value_kind:     global_buffer
      - .offset:         56
        .size:           4
        .value_kind:     by_value
      - .actual_access:  read_only
        .address_space:  global
        .offset:         64
        .size:           8
        .value_kind:     global_buffer
      - .offset:         72
        .size:           4
        .value_kind:     by_value
      - .offset:         76
        .size:           4
        .value_kind:     by_value
      - .offset:         80
        .size:           4
        .value_kind:     by_value
      - .actual_access:  write_only
        .address_space:  global
        .offset:         88
        .size:           8
        .value_kind:     global_buffer
      - .actual_access:  write_only
        .address_space:  global
        .offset:         96
        .size:           8
        .value_kind:     global_buffer
      - .actual_access:  write_only
        .address_space:  global
        .offset:         104
        .size:           8
        .value_kind:     global_buffer
      - .actual_access:  read_only
        .address_space:  global
        .offset:         112
        .size:           8
        .value_kind:     global_buffer
      - .offset:         120
        .size:           4
        .value_kind:     by_value
      - .address_space:  global
        .offset:         128
        .size:           8
        .value_kind:     global_buffer
      - .address_space:  global
        .offset:         136
        .size:           8
        .value_kind:     global_buffer
      - .offset:         144
        .size:           4
        .value_kind:     hidden_block_count_x
      - .offset:         148
        .size:           4
        .value_kind:     hidden_block_count_y
      - .offset:         152
        .size:           4
        .value_kind:     hidden_block_count_z
      - .offset:         156
        .size:           2
        .value_kind:     hidden_group_size_x
      - .offset:         158
        .size:           2
        .value_kind:     hidden_group_size_y
      - .offset:         160
        .size:           2
        .value_kind:     hidden_group_size_z
      - .offset:         162
        .size:           2
        .value_kind:     hidden_remainder_x
      - .offset:         164
        .size:           2
        .value_kind:     hidden_remainder_y
      - .offset:         166
        .size:           2
        .value_kind:     hidden_remainder_z
      - .offset:         184
        .size:           8
        .value_kind:     hidden_global_offset_x
      - .offset:         192
        .size:           8
        .value_kind:     hidden_global_offset_y
      - .offset:         200
        .size:           8
        .value_kind:     hidden_global_offset_z
      - .offset:         208
        .size:           2
        .value_kind:     hidden_grid_dims
    .group_segment_fixed_size: 17472
    .kernarg_segment_align: 8
    .kernarg_segment_size: 400
    .language:       OpenCL C
    .language_version:
      - 2
      - 0
    .max_flat_workgroup_size: 256
    .name:           _Z39paged_attention_ll4mi_QKV_mfma16_kernelI14__hip_bfloat16hLN4vllm18Fp8KVCacheDataTypeE1ES0_Li32ELi128ELi256ELb1ELi16EL8MFMAType1EEvPKT_PKT0_S9_ifPKiSB_SB_iPKfiiiPfSE_PS4_PT2_iSD_SD_
    .private_segment_fixed_size: 0
    .sgpr_count:     38
    .sgpr_spill_count: 0
    .symbol:         _Z39paged_attention_ll4mi_QKV_mfma16_kernelI14__hip_bfloat16hLN4vllm18Fp8KVCacheDataTypeE1ES0_Li32ELi128ELi256ELb1ELi16EL8MFMAType1EEvPKT_PKT0_S9_ifPKiSB_SB_iPKfiiiPfSE_PS4_PT2_iSD_SD_.kd
    .uniform_work_group_size: 1
    .uses_dynamic_stack: false
    .vgpr_count:     141
    .vgpr_spill_count: 0
    .wavefront_size: 32
    .workgroup_processor_mode: 1
  - .args:
      - .actual_access:  read_only
        .address_space:  global
        .offset:         0
        .size:           8
        .value_kind:     global_buffer
      - .actual_access:  read_only
        .address_space:  global
        .offset:         8
        .size:           8
        .value_kind:     global_buffer
      - .actual_access:  read_only
        .address_space:  global
        .offset:         16
        .size:           8
        .value_kind:     global_buffer
      - .offset:         24
        .size:           4
        .value_kind:     by_value
      - .offset:         28
        .size:           4
        .value_kind:     by_value
      - .actual_access:  read_only
        .address_space:  global
        .offset:         32
        .size:           8
        .value_kind:     global_buffer
      - .actual_access:  read_only
        .address_space:  global
        .offset:         40
        .size:           8
        .value_kind:     global_buffer
      - .actual_access:  read_only
        .address_space:  global
        .offset:         48
        .size:           8
        .value_kind:     global_buffer
      - .offset:         56
        .size:           4
        .value_kind:     by_value
      - .actual_access:  read_only
        .address_space:  global
        .offset:         64
        .size:           8
        .value_kind:     global_buffer
      - .offset:         72
        .size:           4
        .value_kind:     by_value
      - .offset:         76
        .size:           4
        .value_kind:     by_value
      - .offset:         80
        .size:           4
        .value_kind:     by_value
      - .actual_access:  write_only
        .address_space:  global
        .offset:         88
        .size:           8
        .value_kind:     global_buffer
      - .actual_access:  write_only
        .address_space:  global
        .offset:         96
        .size:           8
        .value_kind:     global_buffer
      - .actual_access:  write_only
        .address_space:  global
        .offset:         104
        .size:           8
        .value_kind:     global_buffer
      - .actual_access:  read_only
        .address_space:  global
        .offset:         112
        .size:           8
        .value_kind:     global_buffer
      - .offset:         120
        .size:           4
        .value_kind:     by_value
      - .address_space:  global
        .offset:         128
        .size:           8
        .value_kind:     global_buffer
      - .address_space:  global
        .offset:         136
        .size:           8
        .value_kind:     global_buffer
      - .offset:         144
        .size:           4
        .value_kind:     hidden_block_count_x
      - .offset:         148
        .size:           4
        .value_kind:     hidden_block_count_y
      - .offset:         152
        .size:           4
        .value_kind:     hidden_block_count_z
      - .offset:         156
        .size:           2
        .value_kind:     hidden_group_size_x
      - .offset:         158
        .size:           2
        .value_kind:     hidden_group_size_y
      - .offset:         160
        .size:           2
        .value_kind:     hidden_group_size_z
      - .offset:         162
        .size:           2
        .value_kind:     hidden_remainder_x
      - .offset:         164
        .size:           2
        .value_kind:     hidden_remainder_y
      - .offset:         166
        .size:           2
        .value_kind:     hidden_remainder_z
      - .offset:         184
        .size:           8
        .value_kind:     hidden_global_offset_x
      - .offset:         192
        .size:           8
        .value_kind:     hidden_global_offset_y
      - .offset:         200
        .size:           8
        .value_kind:     hidden_global_offset_z
      - .offset:         208
        .size:           2
        .value_kind:     hidden_grid_dims
    .group_segment_fixed_size: 17472
    .kernarg_segment_align: 8
    .kernarg_segment_size: 400
    .language:       OpenCL C
    .language_version:
      - 2
      - 0
    .max_flat_workgroup_size: 256
    .name:           _Z39paged_attention_ll4mi_QKV_mfma16_kernelI14__hip_bfloat16hLN4vllm18Fp8KVCacheDataTypeE1ES0_Li32ELi128ELi256ELb1ELi1EL8MFMAType1EEvPKT_PKT0_S9_ifPKiSB_SB_iPKfiiiPfSE_PS4_PT2_iSD_SD_
    .private_segment_fixed_size: 0
    .sgpr_count:     70
    .sgpr_spill_count: 0
    .symbol:         _Z39paged_attention_ll4mi_QKV_mfma16_kernelI14__hip_bfloat16hLN4vllm18Fp8KVCacheDataTypeE1ES0_Li32ELi128ELi256ELb1ELi1EL8MFMAType1EEvPKT_PKT0_S9_ifPKiSB_SB_iPKfiiiPfSE_PS4_PT2_iSD_SD_.kd
    .uniform_work_group_size: 1
    .uses_dynamic_stack: false
    .vgpr_count:     138
    .vgpr_spill_count: 0
    .wavefront_size: 32
    .workgroup_processor_mode: 1
  - .args:
      - .actual_access:  read_only
        .address_space:  global
        .offset:         0
        .size:           8
        .value_kind:     global_buffer
      - .actual_access:  read_only
        .address_space:  global
        .offset:         8
        .size:           8
        .value_kind:     global_buffer
      - .actual_access:  read_only
        .address_space:  global
        .offset:         16
        .size:           8
        .value_kind:     global_buffer
      - .offset:         24
        .size:           4
        .value_kind:     by_value
      - .offset:         28
        .size:           4
        .value_kind:     by_value
      - .actual_access:  read_only
        .address_space:  global
        .offset:         32
        .size:           8
        .value_kind:     global_buffer
      - .actual_access:  read_only
        .address_space:  global
        .offset:         40
        .size:           8
        .value_kind:     global_buffer
      - .actual_access:  read_only
        .address_space:  global
        .offset:         48
        .size:           8
        .value_kind:     global_buffer
      - .offset:         56
        .size:           4
        .value_kind:     by_value
      - .actual_access:  read_only
        .address_space:  global
        .offset:         64
        .size:           8
        .value_kind:     global_buffer
      - .offset:         72
        .size:           4
        .value_kind:     by_value
      - .offset:         76
        .size:           4
        .value_kind:     by_value
      - .offset:         80
        .size:           4
        .value_kind:     by_value
      - .actual_access:  write_only
        .address_space:  global
        .offset:         88
        .size:           8
        .value_kind:     global_buffer
      - .actual_access:  write_only
        .address_space:  global
        .offset:         96
        .size:           8
        .value_kind:     global_buffer
      - .actual_access:  write_only
        .address_space:  global
        .offset:         104
        .size:           8
        .value_kind:     global_buffer
      - .actual_access:  read_only
        .address_space:  global
        .offset:         112
        .size:           8
        .value_kind:     global_buffer
      - .offset:         120
        .size:           4
        .value_kind:     by_value
      - .address_space:  global
        .offset:         128
        .size:           8
        .value_kind:     global_buffer
      - .address_space:  global
        .offset:         136
        .size:           8
        .value_kind:     global_buffer
      - .offset:         144
        .size:           4
        .value_kind:     hidden_block_count_x
      - .offset:         148
        .size:           4
        .value_kind:     hidden_block_count_y
      - .offset:         152
        .size:           4
        .value_kind:     hidden_block_count_z
      - .offset:         156
        .size:           2
        .value_kind:     hidden_group_size_x
      - .offset:         158
        .size:           2
        .value_kind:     hidden_group_size_y
      - .offset:         160
        .size:           2
        .value_kind:     hidden_group_size_z
      - .offset:         162
        .size:           2
        .value_kind:     hidden_remainder_x
      - .offset:         164
        .size:           2
        .value_kind:     hidden_remainder_y
      - .offset:         166
        .size:           2
        .value_kind:     hidden_remainder_z
      - .offset:         184
        .size:           8
        .value_kind:     hidden_global_offset_x
      - .offset:         192
        .size:           8
        .value_kind:     hidden_global_offset_y
      - .offset:         200
        .size:           8
        .value_kind:     hidden_global_offset_z
      - .offset:         208
        .size:           2
        .value_kind:     hidden_grid_dims
    .group_segment_fixed_size: 17472
    .kernarg_segment_align: 8
    .kernarg_segment_size: 400
    .language:       OpenCL C
    .language_version:
      - 2
      - 0
    .max_flat_workgroup_size: 256
    .name:           _Z39paged_attention_ll4mi_QKV_mfma16_kernelI14__hip_bfloat16hLN4vllm18Fp8KVCacheDataTypeE1ES0_Li32ELi128ELi256ELb1ELi2EL8MFMAType1EEvPKT_PKT0_S9_ifPKiSB_SB_iPKfiiiPfSE_PS4_PT2_iSD_SD_
    .private_segment_fixed_size: 0
    .sgpr_count:     39
    .sgpr_spill_count: 0
    .symbol:         _Z39paged_attention_ll4mi_QKV_mfma16_kernelI14__hip_bfloat16hLN4vllm18Fp8KVCacheDataTypeE1ES0_Li32ELi128ELi256ELb1ELi2EL8MFMAType1EEvPKT_PKT0_S9_ifPKiSB_SB_iPKfiiiPfSE_PS4_PT2_iSD_SD_.kd
    .uniform_work_group_size: 1
    .uses_dynamic_stack: false
    .vgpr_count:     138
    .vgpr_spill_count: 0
    .wavefront_size: 32
    .workgroup_processor_mode: 1
  - .args:
      - .actual_access:  read_only
        .address_space:  global
        .offset:         0
        .size:           8
        .value_kind:     global_buffer
      - .actual_access:  read_only
        .address_space:  global
        .offset:         8
        .size:           8
        .value_kind:     global_buffer
      - .actual_access:  read_only
        .address_space:  global
        .offset:         16
        .size:           8
        .value_kind:     global_buffer
      - .offset:         24
        .size:           4
        .value_kind:     by_value
      - .offset:         28
        .size:           4
        .value_kind:     by_value
      - .actual_access:  read_only
        .address_space:  global
        .offset:         32
        .size:           8
        .value_kind:     global_buffer
      - .actual_access:  read_only
        .address_space:  global
        .offset:         40
        .size:           8
        .value_kind:     global_buffer
      - .actual_access:  read_only
        .address_space:  global
        .offset:         48
        .size:           8
        .value_kind:     global_buffer
      - .offset:         56
        .size:           4
        .value_kind:     by_value
      - .actual_access:  read_only
        .address_space:  global
        .offset:         64
        .size:           8
        .value_kind:     global_buffer
      - .offset:         72
        .size:           4
        .value_kind:     by_value
      - .offset:         76
        .size:           4
        .value_kind:     by_value
      - .offset:         80
        .size:           4
        .value_kind:     by_value
      - .actual_access:  write_only
        .address_space:  global
        .offset:         88
        .size:           8
        .value_kind:     global_buffer
      - .actual_access:  write_only
        .address_space:  global
        .offset:         96
        .size:           8
        .value_kind:     global_buffer
      - .actual_access:  write_only
        .address_space:  global
        .offset:         104
        .size:           8
        .value_kind:     global_buffer
      - .actual_access:  read_only
        .address_space:  global
        .offset:         112
        .size:           8
        .value_kind:     global_buffer
      - .offset:         120
        .size:           4
        .value_kind:     by_value
      - .address_space:  global
        .offset:         128
        .size:           8
        .value_kind:     global_buffer
      - .address_space:  global
        .offset:         136
        .size:           8
        .value_kind:     global_buffer
      - .offset:         144
        .size:           4
        .value_kind:     hidden_block_count_x
      - .offset:         148
        .size:           4
        .value_kind:     hidden_block_count_y
      - .offset:         152
        .size:           4
        .value_kind:     hidden_block_count_z
      - .offset:         156
        .size:           2
        .value_kind:     hidden_group_size_x
      - .offset:         158
        .size:           2
        .value_kind:     hidden_group_size_y
      - .offset:         160
        .size:           2
        .value_kind:     hidden_group_size_z
      - .offset:         162
        .size:           2
        .value_kind:     hidden_remainder_x
      - .offset:         164
        .size:           2
        .value_kind:     hidden_remainder_y
      - .offset:         166
        .size:           2
        .value_kind:     hidden_remainder_z
      - .offset:         184
        .size:           8
        .value_kind:     hidden_global_offset_x
      - .offset:         192
        .size:           8
        .value_kind:     hidden_global_offset_y
      - .offset:         200
        .size:           8
        .value_kind:     hidden_global_offset_z
      - .offset:         208
        .size:           2
        .value_kind:     hidden_grid_dims
    .group_segment_fixed_size: 17472
    .kernarg_segment_align: 8
    .kernarg_segment_size: 400
    .language:       OpenCL C
    .language_version:
      - 2
      - 0
    .max_flat_workgroup_size: 256
    .name:           _Z39paged_attention_ll4mi_QKV_mfma16_kernelI14__hip_bfloat16hLN4vllm18Fp8KVCacheDataTypeE1ES0_Li32ELi128ELi256ELb1ELi3EL8MFMAType1EEvPKT_PKT0_S9_ifPKiSB_SB_iPKfiiiPfSE_PS4_PT2_iSD_SD_
    .private_segment_fixed_size: 0
    .sgpr_count:     38
    .sgpr_spill_count: 0
    .symbol:         _Z39paged_attention_ll4mi_QKV_mfma16_kernelI14__hip_bfloat16hLN4vllm18Fp8KVCacheDataTypeE1ES0_Li32ELi128ELi256ELb1ELi3EL8MFMAType1EEvPKT_PKT0_S9_ifPKiSB_SB_iPKfiiiPfSE_PS4_PT2_iSD_SD_.kd
    .uniform_work_group_size: 1
    .uses_dynamic_stack: false
    .vgpr_count:     140
    .vgpr_spill_count: 0
    .wavefront_size: 32
    .workgroup_processor_mode: 1
  - .args:
      - .actual_access:  read_only
        .address_space:  global
        .offset:         0
        .size:           8
        .value_kind:     global_buffer
      - .actual_access:  read_only
        .address_space:  global
        .offset:         8
        .size:           8
        .value_kind:     global_buffer
      - .actual_access:  read_only
        .address_space:  global
        .offset:         16
        .size:           8
        .value_kind:     global_buffer
      - .offset:         24
        .size:           4
        .value_kind:     by_value
      - .offset:         28
        .size:           4
        .value_kind:     by_value
      - .actual_access:  read_only
        .address_space:  global
        .offset:         32
        .size:           8
        .value_kind:     global_buffer
      - .actual_access:  read_only
        .address_space:  global
        .offset:         40
        .size:           8
        .value_kind:     global_buffer
      - .actual_access:  read_only
        .address_space:  global
        .offset:         48
        .size:           8
        .value_kind:     global_buffer
      - .offset:         56
        .size:           4
        .value_kind:     by_value
      - .actual_access:  read_only
        .address_space:  global
        .offset:         64
        .size:           8
        .value_kind:     global_buffer
      - .offset:         72
        .size:           4
        .value_kind:     by_value
      - .offset:         76
        .size:           4
        .value_kind:     by_value
      - .offset:         80
        .size:           4
        .value_kind:     by_value
      - .actual_access:  write_only
        .address_space:  global
        .offset:         88
        .size:           8
        .value_kind:     global_buffer
      - .actual_access:  write_only
        .address_space:  global
        .offset:         96
        .size:           8
        .value_kind:     global_buffer
      - .actual_access:  write_only
        .address_space:  global
        .offset:         104
        .size:           8
        .value_kind:     global_buffer
      - .actual_access:  read_only
        .address_space:  global
        .offset:         112
        .size:           8
        .value_kind:     global_buffer
      - .offset:         120
        .size:           4
        .value_kind:     by_value
      - .address_space:  global
        .offset:         128
        .size:           8
        .value_kind:     global_buffer
      - .address_space:  global
        .offset:         136
        .size:           8
        .value_kind:     global_buffer
      - .offset:         144
        .size:           4
        .value_kind:     hidden_block_count_x
      - .offset:         148
        .size:           4
        .value_kind:     hidden_block_count_y
      - .offset:         152
        .size:           4
        .value_kind:     hidden_block_count_z
      - .offset:         156
        .size:           2
        .value_kind:     hidden_group_size_x
      - .offset:         158
        .size:           2
        .value_kind:     hidden_group_size_y
      - .offset:         160
        .size:           2
        .value_kind:     hidden_group_size_z
      - .offset:         162
        .size:           2
        .value_kind:     hidden_remainder_x
      - .offset:         164
        .size:           2
        .value_kind:     hidden_remainder_y
      - .offset:         166
        .size:           2
        .value_kind:     hidden_remainder_z
      - .offset:         184
        .size:           8
        .value_kind:     hidden_global_offset_x
      - .offset:         192
        .size:           8
        .value_kind:     hidden_global_offset_y
      - .offset:         200
        .size:           8
        .value_kind:     hidden_global_offset_z
      - .offset:         208
        .size:           2
        .value_kind:     hidden_grid_dims
    .group_segment_fixed_size: 17472
    .kernarg_segment_align: 8
    .kernarg_segment_size: 400
    .language:       OpenCL C
    .language_version:
      - 2
      - 0
    .max_flat_workgroup_size: 256
    .name:           _Z39paged_attention_ll4mi_QKV_mfma16_kernelI14__hip_bfloat16hLN4vllm18Fp8KVCacheDataTypeE1ES0_Li32ELi128ELi256ELb1ELi4EL8MFMAType1EEvPKT_PKT0_S9_ifPKiSB_SB_iPKfiiiPfSE_PS4_PT2_iSD_SD_
    .private_segment_fixed_size: 0
    .sgpr_count:     38
    .sgpr_spill_count: 0
    .symbol:         _Z39paged_attention_ll4mi_QKV_mfma16_kernelI14__hip_bfloat16hLN4vllm18Fp8KVCacheDataTypeE1ES0_Li32ELi128ELi256ELb1ELi4EL8MFMAType1EEvPKT_PKT0_S9_ifPKiSB_SB_iPKfiiiPfSE_PS4_PT2_iSD_SD_.kd
    .uniform_work_group_size: 1
    .uses_dynamic_stack: false
    .vgpr_count:     140
    .vgpr_spill_count: 0
    .wavefront_size: 32
    .workgroup_processor_mode: 1
  - .args:
      - .actual_access:  read_only
        .address_space:  global
        .offset:         0
        .size:           8
        .value_kind:     global_buffer
      - .actual_access:  read_only
        .address_space:  global
        .offset:         8
        .size:           8
        .value_kind:     global_buffer
      - .actual_access:  read_only
        .address_space:  global
        .offset:         16
        .size:           8
        .value_kind:     global_buffer
      - .offset:         24
        .size:           4
        .value_kind:     by_value
      - .offset:         28
        .size:           4
        .value_kind:     by_value
      - .actual_access:  read_only
        .address_space:  global
        .offset:         32
        .size:           8
        .value_kind:     global_buffer
      - .actual_access:  read_only
        .address_space:  global
        .offset:         40
        .size:           8
        .value_kind:     global_buffer
      - .actual_access:  read_only
        .address_space:  global
        .offset:         48
        .size:           8
        .value_kind:     global_buffer
      - .offset:         56
        .size:           4
        .value_kind:     by_value
      - .actual_access:  read_only
        .address_space:  global
        .offset:         64
        .size:           8
        .value_kind:     global_buffer
      - .offset:         72
        .size:           4
        .value_kind:     by_value
      - .offset:         76
        .size:           4
        .value_kind:     by_value
      - .offset:         80
        .size:           4
        .value_kind:     by_value
      - .actual_access:  read_only
        .address_space:  global
        .offset:         88
        .size:           8
        .value_kind:     global_buffer
      - .actual_access:  read_only
        .address_space:  global
        .offset:         96
        .size:           8
        .value_kind:     global_buffer
      - .actual_access:  read_only
        .address_space:  global
        .offset:         104
        .size:           8
        .value_kind:     global_buffer
      - .actual_access:  read_only
        .address_space:  global
        .offset:         112
        .size:           8
        .value_kind:     global_buffer
      - .offset:         120
        .size:           4
        .value_kind:     by_value
      - .address_space:  global
        .offset:         128
        .size:           8
        .value_kind:     global_buffer
      - .address_space:  global
        .offset:         136
        .size:           8
        .value_kind:     global_buffer
      - .offset:         144
        .size:           4
        .value_kind:     hidden_block_count_x
      - .offset:         148
        .size:           4
        .value_kind:     hidden_block_count_y
      - .offset:         152
        .size:           4
        .value_kind:     hidden_block_count_z
      - .offset:         156
        .size:           2
        .value_kind:     hidden_group_size_x
      - .offset:         158
        .size:           2
        .value_kind:     hidden_group_size_y
      - .offset:         160
        .size:           2
        .value_kind:     hidden_group_size_z
      - .offset:         162
        .size:           2
        .value_kind:     hidden_remainder_x
      - .offset:         164
        .size:           2
        .value_kind:     hidden_remainder_y
      - .offset:         166
        .size:           2
        .value_kind:     hidden_remainder_z
      - .offset:         184
        .size:           8
        .value_kind:     hidden_global_offset_x
      - .offset:         192
        .size:           8
        .value_kind:     hidden_global_offset_y
      - .offset:         200
        .size:           8
        .value_kind:     hidden_global_offset_z
      - .offset:         208
        .size:           2
        .value_kind:     hidden_grid_dims
      - .offset:         224
        .size:           8
        .value_kind:     hidden_hostcall_buffer
    .group_segment_fixed_size: 0
    .kernarg_segment_align: 8
    .kernarg_segment_size: 400
    .language:       OpenCL C
    .language_version:
      - 2
      - 0
    .max_flat_workgroup_size: 256
    .name:           _Z38paged_attention_ll4mi_QKV_mfma4_kernelI14__hip_bfloat16hLN4vllm18Fp8KVCacheDataTypeE1ES0_Li32ELi128ELi256ELb0ELi1EEvPKT_PKT0_S8_ifPKiSA_SA_iPKfiiiPfSD_PS3_PT2_iSC_SC_
    .private_segment_fixed_size: 64
    .sgpr_count:     36
    .sgpr_spill_count: 0
    .symbol:         _Z38paged_attention_ll4mi_QKV_mfma4_kernelI14__hip_bfloat16hLN4vllm18Fp8KVCacheDataTypeE1ES0_Li32ELi128ELi256ELb0ELi1EEvPKT_PKT0_S8_ifPKiSA_SA_iPKfiiiPfSD_PS3_PT2_iSC_SC_.kd
    .uniform_work_group_size: 1
    .uses_dynamic_stack: false
    .vgpr_count:     41
    .vgpr_spill_count: 0
    .wavefront_size: 32
    .workgroup_processor_mode: 1
  - .args:
      - .actual_access:  read_only
        .address_space:  global
        .offset:         0
        .size:           8
        .value_kind:     global_buffer
      - .actual_access:  read_only
        .address_space:  global
        .offset:         8
        .size:           8
        .value_kind:     global_buffer
      - .actual_access:  read_only
        .address_space:  global
        .offset:         16
        .size:           8
        .value_kind:     global_buffer
      - .offset:         24
        .size:           4
        .value_kind:     by_value
      - .offset:         28
        .size:           4
        .value_kind:     by_value
      - .actual_access:  read_only
        .address_space:  global
        .offset:         32
        .size:           8
        .value_kind:     global_buffer
      - .actual_access:  read_only
        .address_space:  global
        .offset:         40
        .size:           8
        .value_kind:     global_buffer
      - .actual_access:  read_only
        .address_space:  global
        .offset:         48
        .size:           8
        .value_kind:     global_buffer
      - .offset:         56
        .size:           4
        .value_kind:     by_value
      - .actual_access:  read_only
        .address_space:  global
        .offset:         64
        .size:           8
        .value_kind:     global_buffer
      - .offset:         72
        .size:           4
        .value_kind:     by_value
      - .offset:         76
        .size:           4
        .value_kind:     by_value
      - .offset:         80
        .size:           4
        .value_kind:     by_value
      - .actual_access:  read_only
        .address_space:  global
        .offset:         88
        .size:           8
        .value_kind:     global_buffer
      - .actual_access:  read_only
        .address_space:  global
        .offset:         96
        .size:           8
        .value_kind:     global_buffer
      - .actual_access:  read_only
        .address_space:  global
        .offset:         104
        .size:           8
        .value_kind:     global_buffer
      - .actual_access:  read_only
        .address_space:  global
        .offset:         112
        .size:           8
        .value_kind:     global_buffer
      - .offset:         120
        .size:           4
        .value_kind:     by_value
      - .address_space:  global
        .offset:         128
        .size:           8
        .value_kind:     global_buffer
      - .address_space:  global
        .offset:         136
        .size:           8
        .value_kind:     global_buffer
      - .offset:         144
        .size:           4
        .value_kind:     hidden_block_count_x
      - .offset:         148
        .size:           4
        .value_kind:     hidden_block_count_y
      - .offset:         152
        .size:           4
        .value_kind:     hidden_block_count_z
      - .offset:         156
        .size:           2
        .value_kind:     hidden_group_size_x
      - .offset:         158
        .size:           2
        .value_kind:     hidden_group_size_y
      - .offset:         160
        .size:           2
        .value_kind:     hidden_group_size_z
      - .offset:         162
        .size:           2
        .value_kind:     hidden_remainder_x
      - .offset:         164
        .size:           2
        .value_kind:     hidden_remainder_y
      - .offset:         166
        .size:           2
        .value_kind:     hidden_remainder_z
      - .offset:         184
        .size:           8
        .value_kind:     hidden_global_offset_x
      - .offset:         192
        .size:           8
        .value_kind:     hidden_global_offset_y
      - .offset:         200
        .size:           8
        .value_kind:     hidden_global_offset_z
      - .offset:         208
        .size:           2
        .value_kind:     hidden_grid_dims
      - .offset:         224
        .size:           8
        .value_kind:     hidden_hostcall_buffer
    .group_segment_fixed_size: 0
    .kernarg_segment_align: 8
    .kernarg_segment_size: 400
    .language:       OpenCL C
    .language_version:
      - 2
      - 0
    .max_flat_workgroup_size: 256
    .name:           _Z38paged_attention_ll4mi_QKV_mfma4_kernelI14__hip_bfloat16hLN4vllm18Fp8KVCacheDataTypeE1ES0_Li32ELi128ELi256ELb0ELi2EEvPKT_PKT0_S8_ifPKiSA_SA_iPKfiiiPfSD_PS3_PT2_iSC_SC_
    .private_segment_fixed_size: 64
    .sgpr_count:     36
    .sgpr_spill_count: 0
    .symbol:         _Z38paged_attention_ll4mi_QKV_mfma4_kernelI14__hip_bfloat16hLN4vllm18Fp8KVCacheDataTypeE1ES0_Li32ELi128ELi256ELb0ELi2EEvPKT_PKT0_S8_ifPKiSA_SA_iPKfiiiPfSD_PS3_PT2_iSC_SC_.kd
    .uniform_work_group_size: 1
    .uses_dynamic_stack: false
    .vgpr_count:     41
    .vgpr_spill_count: 0
    .wavefront_size: 32
    .workgroup_processor_mode: 1
  - .args:
      - .actual_access:  read_only
        .address_space:  global
        .offset:         0
        .size:           8
        .value_kind:     global_buffer
      - .actual_access:  read_only
        .address_space:  global
        .offset:         8
        .size:           8
        .value_kind:     global_buffer
      - .actual_access:  read_only
        .address_space:  global
        .offset:         16
        .size:           8
        .value_kind:     global_buffer
      - .offset:         24
        .size:           4
        .value_kind:     by_value
      - .offset:         28
        .size:           4
        .value_kind:     by_value
      - .actual_access:  read_only
        .address_space:  global
        .offset:         32
        .size:           8
        .value_kind:     global_buffer
      - .actual_access:  read_only
        .address_space:  global
        .offset:         40
        .size:           8
        .value_kind:     global_buffer
      - .actual_access:  read_only
        .address_space:  global
        .offset:         48
        .size:           8
        .value_kind:     global_buffer
      - .offset:         56
        .size:           4
        .value_kind:     by_value
      - .actual_access:  read_only
        .address_space:  global
        .offset:         64
        .size:           8
        .value_kind:     global_buffer
      - .offset:         72
        .size:           4
        .value_kind:     by_value
      - .offset:         76
        .size:           4
        .value_kind:     by_value
      - .offset:         80
        .size:           4
        .value_kind:     by_value
      - .actual_access:  read_only
        .address_space:  global
        .offset:         88
        .size:           8
        .value_kind:     global_buffer
      - .actual_access:  read_only
        .address_space:  global
        .offset:         96
        .size:           8
        .value_kind:     global_buffer
      - .actual_access:  read_only
        .address_space:  global
        .offset:         104
        .size:           8
        .value_kind:     global_buffer
      - .actual_access:  read_only
        .address_space:  global
        .offset:         112
        .size:           8
        .value_kind:     global_buffer
      - .offset:         120
        .size:           4
        .value_kind:     by_value
      - .address_space:  global
        .offset:         128
        .size:           8
        .value_kind:     global_buffer
      - .address_space:  global
        .offset:         136
        .size:           8
        .value_kind:     global_buffer
      - .offset:         144
        .size:           4
        .value_kind:     hidden_block_count_x
      - .offset:         148
        .size:           4
        .value_kind:     hidden_block_count_y
      - .offset:         152
        .size:           4
        .value_kind:     hidden_block_count_z
      - .offset:         156
        .size:           2
        .value_kind:     hidden_group_size_x
      - .offset:         158
        .size:           2
        .value_kind:     hidden_group_size_y
      - .offset:         160
        .size:           2
        .value_kind:     hidden_group_size_z
      - .offset:         162
        .size:           2
        .value_kind:     hidden_remainder_x
      - .offset:         164
        .size:           2
        .value_kind:     hidden_remainder_y
      - .offset:         166
        .size:           2
        .value_kind:     hidden_remainder_z
      - .offset:         184
        .size:           8
        .value_kind:     hidden_global_offset_x
      - .offset:         192
        .size:           8
        .value_kind:     hidden_global_offset_y
      - .offset:         200
        .size:           8
        .value_kind:     hidden_global_offset_z
      - .offset:         208
        .size:           2
        .value_kind:     hidden_grid_dims
      - .offset:         224
        .size:           8
        .value_kind:     hidden_hostcall_buffer
    .group_segment_fixed_size: 0
    .kernarg_segment_align: 8
    .kernarg_segment_size: 400
    .language:       OpenCL C
    .language_version:
      - 2
      - 0
    .max_flat_workgroup_size: 256
    .name:           _Z38paged_attention_ll4mi_QKV_mfma4_kernelI14__hip_bfloat16hLN4vllm18Fp8KVCacheDataTypeE1ES0_Li32ELi128ELi256ELb0ELi3EEvPKT_PKT0_S8_ifPKiSA_SA_iPKfiiiPfSD_PS3_PT2_iSC_SC_
    .private_segment_fixed_size: 64
    .sgpr_count:     36
    .sgpr_spill_count: 0
    .symbol:         _Z38paged_attention_ll4mi_QKV_mfma4_kernelI14__hip_bfloat16hLN4vllm18Fp8KVCacheDataTypeE1ES0_Li32ELi128ELi256ELb0ELi3EEvPKT_PKT0_S8_ifPKiSA_SA_iPKfiiiPfSD_PS3_PT2_iSC_SC_.kd
    .uniform_work_group_size: 1
    .uses_dynamic_stack: false
    .vgpr_count:     41
    .vgpr_spill_count: 0
    .wavefront_size: 32
    .workgroup_processor_mode: 1
  - .args:
      - .actual_access:  read_only
        .address_space:  global
        .offset:         0
        .size:           8
        .value_kind:     global_buffer
      - .actual_access:  read_only
        .address_space:  global
        .offset:         8
        .size:           8
        .value_kind:     global_buffer
      - .actual_access:  read_only
        .address_space:  global
        .offset:         16
        .size:           8
        .value_kind:     global_buffer
      - .offset:         24
        .size:           4
        .value_kind:     by_value
      - .offset:         28
        .size:           4
        .value_kind:     by_value
      - .actual_access:  read_only
        .address_space:  global
        .offset:         32
        .size:           8
        .value_kind:     global_buffer
      - .actual_access:  read_only
        .address_space:  global
        .offset:         40
        .size:           8
        .value_kind:     global_buffer
      - .actual_access:  read_only
        .address_space:  global
        .offset:         48
        .size:           8
        .value_kind:     global_buffer
      - .offset:         56
        .size:           4
        .value_kind:     by_value
      - .actual_access:  read_only
        .address_space:  global
        .offset:         64
        .size:           8
        .value_kind:     global_buffer
      - .offset:         72
        .size:           4
        .value_kind:     by_value
      - .offset:         76
        .size:           4
        .value_kind:     by_value
      - .offset:         80
        .size:           4
        .value_kind:     by_value
      - .actual_access:  read_only
        .address_space:  global
        .offset:         88
        .size:           8
        .value_kind:     global_buffer
      - .actual_access:  read_only
        .address_space:  global
        .offset:         96
        .size:           8
        .value_kind:     global_buffer
      - .actual_access:  read_only
        .address_space:  global
        .offset:         104
        .size:           8
        .value_kind:     global_buffer
      - .actual_access:  read_only
        .address_space:  global
        .offset:         112
        .size:           8
        .value_kind:     global_buffer
      - .offset:         120
        .size:           4
        .value_kind:     by_value
      - .address_space:  global
        .offset:         128
        .size:           8
        .value_kind:     global_buffer
      - .address_space:  global
        .offset:         136
        .size:           8
        .value_kind:     global_buffer
      - .offset:         144
        .size:           4
        .value_kind:     hidden_block_count_x
      - .offset:         148
        .size:           4
        .value_kind:     hidden_block_count_y
      - .offset:         152
        .size:           4
        .value_kind:     hidden_block_count_z
      - .offset:         156
        .size:           2
        .value_kind:     hidden_group_size_x
      - .offset:         158
        .size:           2
        .value_kind:     hidden_group_size_y
      - .offset:         160
        .size:           2
        .value_kind:     hidden_group_size_z
      - .offset:         162
        .size:           2
        .value_kind:     hidden_remainder_x
      - .offset:         164
        .size:           2
        .value_kind:     hidden_remainder_y
      - .offset:         166
        .size:           2
        .value_kind:     hidden_remainder_z
      - .offset:         184
        .size:           8
        .value_kind:     hidden_global_offset_x
      - .offset:         192
        .size:           8
        .value_kind:     hidden_global_offset_y
      - .offset:         200
        .size:           8
        .value_kind:     hidden_global_offset_z
      - .offset:         208
        .size:           2
        .value_kind:     hidden_grid_dims
      - .offset:         224
        .size:           8
        .value_kind:     hidden_hostcall_buffer
    .group_segment_fixed_size: 0
    .kernarg_segment_align: 8
    .kernarg_segment_size: 400
    .language:       OpenCL C
    .language_version:
      - 2
      - 0
    .max_flat_workgroup_size: 256
    .name:           _Z38paged_attention_ll4mi_QKV_mfma4_kernelI14__hip_bfloat16hLN4vllm18Fp8KVCacheDataTypeE1ES0_Li32ELi128ELi256ELb0ELi4EEvPKT_PKT0_S8_ifPKiSA_SA_iPKfiiiPfSD_PS3_PT2_iSC_SC_
    .private_segment_fixed_size: 64
    .sgpr_count:     36
    .sgpr_spill_count: 0
    .symbol:         _Z38paged_attention_ll4mi_QKV_mfma4_kernelI14__hip_bfloat16hLN4vllm18Fp8KVCacheDataTypeE1ES0_Li32ELi128ELi256ELb0ELi4EEvPKT_PKT0_S8_ifPKiSA_SA_iPKfiiiPfSD_PS3_PT2_iSC_SC_.kd
    .uniform_work_group_size: 1
    .uses_dynamic_stack: false
    .vgpr_count:     41
    .vgpr_spill_count: 0
    .wavefront_size: 32
    .workgroup_processor_mode: 1
  - .args:
      - .actual_access:  read_only
        .address_space:  global
        .offset:         0
        .size:           8
        .value_kind:     global_buffer
      - .actual_access:  read_only
        .address_space:  global
        .offset:         8
        .size:           8
        .value_kind:     global_buffer
      - .actual_access:  read_only
        .address_space:  global
        .offset:         16
        .size:           8
        .value_kind:     global_buffer
      - .offset:         24
        .size:           4
        .value_kind:     by_value
      - .offset:         28
        .size:           4
        .value_kind:     by_value
      - .actual_access:  read_only
        .address_space:  global
        .offset:         32
        .size:           8
        .value_kind:     global_buffer
      - .actual_access:  read_only
        .address_space:  global
        .offset:         40
        .size:           8
        .value_kind:     global_buffer
      - .actual_access:  read_only
        .address_space:  global
        .offset:         48
        .size:           8
        .value_kind:     global_buffer
      - .offset:         56
        .size:           4
        .value_kind:     by_value
      - .actual_access:  read_only
        .address_space:  global
        .offset:         64
        .size:           8
        .value_kind:     global_buffer
      - .offset:         72
        .size:           4
        .value_kind:     by_value
      - .offset:         76
        .size:           4
        .value_kind:     by_value
      - .offset:         80
        .size:           4
        .value_kind:     by_value
      - .actual_access:  write_only
        .address_space:  global
        .offset:         88
        .size:           8
        .value_kind:     global_buffer
      - .actual_access:  write_only
        .address_space:  global
        .offset:         96
        .size:           8
        .value_kind:     global_buffer
      - .actual_access:  write_only
        .address_space:  global
        .offset:         104
        .size:           8
        .value_kind:     global_buffer
      - .actual_access:  read_only
        .address_space:  global
        .offset:         112
        .size:           8
        .value_kind:     global_buffer
      - .offset:         120
        .size:           4
        .value_kind:     by_value
      - .address_space:  global
        .offset:         128
        .size:           8
        .value_kind:     global_buffer
      - .address_space:  global
        .offset:         136
        .size:           8
        .value_kind:     global_buffer
      - .offset:         144
        .size:           4
        .value_kind:     hidden_block_count_x
      - .offset:         148
        .size:           4
        .value_kind:     hidden_block_count_y
      - .offset:         152
        .size:           4
        .value_kind:     hidden_block_count_z
      - .offset:         156
        .size:           2
        .value_kind:     hidden_group_size_x
      - .offset:         158
        .size:           2
        .value_kind:     hidden_group_size_y
      - .offset:         160
        .size:           2
        .value_kind:     hidden_group_size_z
      - .offset:         162
        .size:           2
        .value_kind:     hidden_remainder_x
      - .offset:         164
        .size:           2
        .value_kind:     hidden_remainder_y
      - .offset:         166
        .size:           2
        .value_kind:     hidden_remainder_z
      - .offset:         184
        .size:           8
        .value_kind:     hidden_global_offset_x
      - .offset:         192
        .size:           8
        .value_kind:     hidden_global_offset_y
      - .offset:         200
        .size:           8
        .value_kind:     hidden_global_offset_z
      - .offset:         208
        .size:           2
        .value_kind:     hidden_grid_dims
    .group_segment_fixed_size: 17472
    .kernarg_segment_align: 8
    .kernarg_segment_size: 400
    .language:       OpenCL C
    .language_version:
      - 2
      - 0
    .max_flat_workgroup_size: 256
    .name:           _Z39paged_attention_ll4mi_QKV_mfma16_kernelI14__hip_bfloat16hLN4vllm18Fp8KVCacheDataTypeE1ES0_Li32ELi128ELi256ELb0ELi5EL8MFMAType1EEvPKT_PKT0_S9_ifPKiSB_SB_iPKfiiiPfSE_PS4_PT2_iSD_SD_
    .private_segment_fixed_size: 0
    .sgpr_count:     38
    .sgpr_spill_count: 0
    .symbol:         _Z39paged_attention_ll4mi_QKV_mfma16_kernelI14__hip_bfloat16hLN4vllm18Fp8KVCacheDataTypeE1ES0_Li32ELi128ELi256ELb0ELi5EL8MFMAType1EEvPKT_PKT0_S9_ifPKiSB_SB_iPKfiiiPfSE_PS4_PT2_iSD_SD_.kd
    .uniform_work_group_size: 1
    .uses_dynamic_stack: false
    .vgpr_count:     140
    .vgpr_spill_count: 0
    .wavefront_size: 32
    .workgroup_processor_mode: 1
  - .args:
      - .actual_access:  read_only
        .address_space:  global
        .offset:         0
        .size:           8
        .value_kind:     global_buffer
      - .actual_access:  read_only
        .address_space:  global
        .offset:         8
        .size:           8
        .value_kind:     global_buffer
      - .actual_access:  read_only
        .address_space:  global
        .offset:         16
        .size:           8
        .value_kind:     global_buffer
      - .offset:         24
        .size:           4
        .value_kind:     by_value
      - .offset:         28
        .size:           4
        .value_kind:     by_value
      - .actual_access:  read_only
        .address_space:  global
        .offset:         32
        .size:           8
        .value_kind:     global_buffer
      - .actual_access:  read_only
        .address_space:  global
        .offset:         40
        .size:           8
        .value_kind:     global_buffer
      - .actual_access:  read_only
        .address_space:  global
        .offset:         48
        .size:           8
        .value_kind:     global_buffer
      - .offset:         56
        .size:           4
        .value_kind:     by_value
      - .actual_access:  read_only
        .address_space:  global
        .offset:         64
        .size:           8
        .value_kind:     global_buffer
      - .offset:         72
        .size:           4
        .value_kind:     by_value
      - .offset:         76
        .size:           4
        .value_kind:     by_value
      - .offset:         80
        .size:           4
        .value_kind:     by_value
      - .actual_access:  write_only
        .address_space:  global
        .offset:         88
        .size:           8
        .value_kind:     global_buffer
      - .actual_access:  write_only
        .address_space:  global
        .offset:         96
        .size:           8
        .value_kind:     global_buffer
      - .actual_access:  write_only
        .address_space:  global
        .offset:         104
        .size:           8
        .value_kind:     global_buffer
      - .actual_access:  read_only
        .address_space:  global
        .offset:         112
        .size:           8
        .value_kind:     global_buffer
      - .offset:         120
        .size:           4
        .value_kind:     by_value
      - .address_space:  global
        .offset:         128
        .size:           8
        .value_kind:     global_buffer
      - .address_space:  global
        .offset:         136
        .size:           8
        .value_kind:     global_buffer
      - .offset:         144
        .size:           4
        .value_kind:     hidden_block_count_x
      - .offset:         148
        .size:           4
        .value_kind:     hidden_block_count_y
      - .offset:         152
        .size:           4
        .value_kind:     hidden_block_count_z
      - .offset:         156
        .size:           2
        .value_kind:     hidden_group_size_x
      - .offset:         158
        .size:           2
        .value_kind:     hidden_group_size_y
      - .offset:         160
        .size:           2
        .value_kind:     hidden_group_size_z
      - .offset:         162
        .size:           2
        .value_kind:     hidden_remainder_x
      - .offset:         164
        .size:           2
        .value_kind:     hidden_remainder_y
      - .offset:         166
        .size:           2
        .value_kind:     hidden_remainder_z
      - .offset:         184
        .size:           8
        .value_kind:     hidden_global_offset_x
      - .offset:         192
        .size:           8
        .value_kind:     hidden_global_offset_y
      - .offset:         200
        .size:           8
        .value_kind:     hidden_global_offset_z
      - .offset:         208
        .size:           2
        .value_kind:     hidden_grid_dims
    .group_segment_fixed_size: 17472
    .kernarg_segment_align: 8
    .kernarg_segment_size: 400
    .language:       OpenCL C
    .language_version:
      - 2
      - 0
    .max_flat_workgroup_size: 256
    .name:           _Z39paged_attention_ll4mi_QKV_mfma16_kernelI14__hip_bfloat16hLN4vllm18Fp8KVCacheDataTypeE1ES0_Li32ELi128ELi256ELb0ELi6EL8MFMAType1EEvPKT_PKT0_S9_ifPKiSB_SB_iPKfiiiPfSE_PS4_PT2_iSD_SD_
    .private_segment_fixed_size: 0
    .sgpr_count:     38
    .sgpr_spill_count: 0
    .symbol:         _Z39paged_attention_ll4mi_QKV_mfma16_kernelI14__hip_bfloat16hLN4vllm18Fp8KVCacheDataTypeE1ES0_Li32ELi128ELi256ELb0ELi6EL8MFMAType1EEvPKT_PKT0_S9_ifPKiSB_SB_iPKfiiiPfSE_PS4_PT2_iSD_SD_.kd
    .uniform_work_group_size: 1
    .uses_dynamic_stack: false
    .vgpr_count:     140
    .vgpr_spill_count: 0
    .wavefront_size: 32
    .workgroup_processor_mode: 1
  - .args:
      - .actual_access:  read_only
        .address_space:  global
        .offset:         0
        .size:           8
        .value_kind:     global_buffer
      - .actual_access:  read_only
        .address_space:  global
        .offset:         8
        .size:           8
        .value_kind:     global_buffer
      - .actual_access:  read_only
        .address_space:  global
        .offset:         16
        .size:           8
        .value_kind:     global_buffer
      - .offset:         24
        .size:           4
        .value_kind:     by_value
      - .offset:         28
        .size:           4
        .value_kind:     by_value
      - .actual_access:  read_only
        .address_space:  global
        .offset:         32
        .size:           8
        .value_kind:     global_buffer
      - .actual_access:  read_only
        .address_space:  global
        .offset:         40
        .size:           8
        .value_kind:     global_buffer
      - .actual_access:  read_only
        .address_space:  global
        .offset:         48
        .size:           8
        .value_kind:     global_buffer
      - .offset:         56
        .size:           4
        .value_kind:     by_value
      - .actual_access:  read_only
        .address_space:  global
        .offset:         64
        .size:           8
        .value_kind:     global_buffer
      - .offset:         72
        .size:           4
        .value_kind:     by_value
      - .offset:         76
        .size:           4
        .value_kind:     by_value
      - .offset:         80
        .size:           4
        .value_kind:     by_value
      - .actual_access:  write_only
        .address_space:  global
        .offset:         88
        .size:           8
        .value_kind:     global_buffer
      - .actual_access:  write_only
        .address_space:  global
        .offset:         96
        .size:           8
        .value_kind:     global_buffer
      - .actual_access:  write_only
        .address_space:  global
        .offset:         104
        .size:           8
        .value_kind:     global_buffer
      - .actual_access:  read_only
        .address_space:  global
        .offset:         112
        .size:           8
        .value_kind:     global_buffer
      - .offset:         120
        .size:           4
        .value_kind:     by_value
      - .address_space:  global
        .offset:         128
        .size:           8
        .value_kind:     global_buffer
      - .address_space:  global
        .offset:         136
        .size:           8
        .value_kind:     global_buffer
      - .offset:         144
        .size:           4
        .value_kind:     hidden_block_count_x
      - .offset:         148
        .size:           4
        .value_kind:     hidden_block_count_y
      - .offset:         152
        .size:           4
        .value_kind:     hidden_block_count_z
      - .offset:         156
        .size:           2
        .value_kind:     hidden_group_size_x
      - .offset:         158
        .size:           2
        .value_kind:     hidden_group_size_y
      - .offset:         160
        .size:           2
        .value_kind:     hidden_group_size_z
      - .offset:         162
        .size:           2
        .value_kind:     hidden_remainder_x
      - .offset:         164
        .size:           2
        .value_kind:     hidden_remainder_y
      - .offset:         166
        .size:           2
        .value_kind:     hidden_remainder_z
      - .offset:         184
        .size:           8
        .value_kind:     hidden_global_offset_x
      - .offset:         192
        .size:           8
        .value_kind:     hidden_global_offset_y
      - .offset:         200
        .size:           8
        .value_kind:     hidden_global_offset_z
      - .offset:         208
        .size:           2
        .value_kind:     hidden_grid_dims
    .group_segment_fixed_size: 17472
    .kernarg_segment_align: 8
    .kernarg_segment_size: 400
    .language:       OpenCL C
    .language_version:
      - 2
      - 0
    .max_flat_workgroup_size: 256
    .name:           _Z39paged_attention_ll4mi_QKV_mfma16_kernelI14__hip_bfloat16hLN4vllm18Fp8KVCacheDataTypeE1ES0_Li32ELi128ELi256ELb0ELi7EL8MFMAType1EEvPKT_PKT0_S9_ifPKiSB_SB_iPKfiiiPfSE_PS4_PT2_iSD_SD_
    .private_segment_fixed_size: 0
    .sgpr_count:     38
    .sgpr_spill_count: 0
    .symbol:         _Z39paged_attention_ll4mi_QKV_mfma16_kernelI14__hip_bfloat16hLN4vllm18Fp8KVCacheDataTypeE1ES0_Li32ELi128ELi256ELb0ELi7EL8MFMAType1EEvPKT_PKT0_S9_ifPKiSB_SB_iPKfiiiPfSE_PS4_PT2_iSD_SD_.kd
    .uniform_work_group_size: 1
    .uses_dynamic_stack: false
    .vgpr_count:     140
    .vgpr_spill_count: 0
    .wavefront_size: 32
    .workgroup_processor_mode: 1
  - .args:
      - .actual_access:  read_only
        .address_space:  global
        .offset:         0
        .size:           8
        .value_kind:     global_buffer
      - .actual_access:  read_only
        .address_space:  global
        .offset:         8
        .size:           8
        .value_kind:     global_buffer
      - .actual_access:  read_only
        .address_space:  global
        .offset:         16
        .size:           8
        .value_kind:     global_buffer
      - .offset:         24
        .size:           4
        .value_kind:     by_value
      - .offset:         28
        .size:           4
        .value_kind:     by_value
      - .actual_access:  read_only
        .address_space:  global
        .offset:         32
        .size:           8
        .value_kind:     global_buffer
      - .actual_access:  read_only
        .address_space:  global
        .offset:         40
        .size:           8
        .value_kind:     global_buffer
      - .actual_access:  read_only
        .address_space:  global
        .offset:         48
        .size:           8
        .value_kind:     global_buffer
      - .offset:         56
        .size:           4
        .value_kind:     by_value
      - .actual_access:  read_only
        .address_space:  global
        .offset:         64
        .size:           8
        .value_kind:     global_buffer
      - .offset:         72
        .size:           4
        .value_kind:     by_value
      - .offset:         76
        .size:           4
        .value_kind:     by_value
      - .offset:         80
        .size:           4
        .value_kind:     by_value
      - .actual_access:  write_only
        .address_space:  global
        .offset:         88
        .size:           8
        .value_kind:     global_buffer
      - .actual_access:  write_only
        .address_space:  global
        .offset:         96
        .size:           8
        .value_kind:     global_buffer
      - .actual_access:  write_only
        .address_space:  global
        .offset:         104
        .size:           8
        .value_kind:     global_buffer
      - .actual_access:  read_only
        .address_space:  global
        .offset:         112
        .size:           8
        .value_kind:     global_buffer
      - .offset:         120
        .size:           4
        .value_kind:     by_value
      - .address_space:  global
        .offset:         128
        .size:           8
        .value_kind:     global_buffer
      - .address_space:  global
        .offset:         136
        .size:           8
        .value_kind:     global_buffer
      - .offset:         144
        .size:           4
        .value_kind:     hidden_block_count_x
      - .offset:         148
        .size:           4
        .value_kind:     hidden_block_count_y
      - .offset:         152
        .size:           4
        .value_kind:     hidden_block_count_z
      - .offset:         156
        .size:           2
        .value_kind:     hidden_group_size_x
      - .offset:         158
        .size:           2
        .value_kind:     hidden_group_size_y
      - .offset:         160
        .size:           2
        .value_kind:     hidden_group_size_z
      - .offset:         162
        .size:           2
        .value_kind:     hidden_remainder_x
      - .offset:         164
        .size:           2
        .value_kind:     hidden_remainder_y
      - .offset:         166
        .size:           2
        .value_kind:     hidden_remainder_z
      - .offset:         184
        .size:           8
        .value_kind:     hidden_global_offset_x
      - .offset:         192
        .size:           8
        .value_kind:     hidden_global_offset_y
      - .offset:         200
        .size:           8
        .value_kind:     hidden_global_offset_z
      - .offset:         208
        .size:           2
        .value_kind:     hidden_grid_dims
    .group_segment_fixed_size: 17472
    .kernarg_segment_align: 8
    .kernarg_segment_size: 400
    .language:       OpenCL C
    .language_version:
      - 2
      - 0
    .max_flat_workgroup_size: 256
    .name:           _Z39paged_attention_ll4mi_QKV_mfma16_kernelI14__hip_bfloat16hLN4vllm18Fp8KVCacheDataTypeE1ES0_Li32ELi128ELi256ELb0ELi8EL8MFMAType1EEvPKT_PKT0_S9_ifPKiSB_SB_iPKfiiiPfSE_PS4_PT2_iSD_SD_
    .private_segment_fixed_size: 0
    .sgpr_count:     38
    .sgpr_spill_count: 0
    .symbol:         _Z39paged_attention_ll4mi_QKV_mfma16_kernelI14__hip_bfloat16hLN4vllm18Fp8KVCacheDataTypeE1ES0_Li32ELi128ELi256ELb0ELi8EL8MFMAType1EEvPKT_PKT0_S9_ifPKiSB_SB_iPKfiiiPfSE_PS4_PT2_iSD_SD_.kd
    .uniform_work_group_size: 1
    .uses_dynamic_stack: false
    .vgpr_count:     140
    .vgpr_spill_count: 0
    .wavefront_size: 32
    .workgroup_processor_mode: 1
  - .args:
      - .actual_access:  read_only
        .address_space:  global
        .offset:         0
        .size:           8
        .value_kind:     global_buffer
      - .actual_access:  read_only
        .address_space:  global
        .offset:         8
        .size:           8
        .value_kind:     global_buffer
      - .actual_access:  read_only
        .address_space:  global
        .offset:         16
        .size:           8
        .value_kind:     global_buffer
      - .offset:         24
        .size:           4
        .value_kind:     by_value
      - .offset:         28
        .size:           4
        .value_kind:     by_value
      - .actual_access:  read_only
        .address_space:  global
        .offset:         32
        .size:           8
        .value_kind:     global_buffer
      - .actual_access:  read_only
        .address_space:  global
        .offset:         40
        .size:           8
        .value_kind:     global_buffer
      - .actual_access:  read_only
        .address_space:  global
        .offset:         48
        .size:           8
        .value_kind:     global_buffer
      - .offset:         56
        .size:           4
        .value_kind:     by_value
      - .actual_access:  read_only
        .address_space:  global
        .offset:         64
        .size:           8
        .value_kind:     global_buffer
      - .offset:         72
        .size:           4
        .value_kind:     by_value
      - .offset:         76
        .size:           4
        .value_kind:     by_value
      - .offset:         80
        .size:           4
        .value_kind:     by_value
      - .actual_access:  write_only
        .address_space:  global
        .offset:         88
        .size:           8
        .value_kind:     global_buffer
      - .actual_access:  write_only
        .address_space:  global
        .offset:         96
        .size:           8
        .value_kind:     global_buffer
      - .actual_access:  write_only
        .address_space:  global
        .offset:         104
        .size:           8
        .value_kind:     global_buffer
      - .actual_access:  read_only
        .address_space:  global
        .offset:         112
        .size:           8
        .value_kind:     global_buffer
      - .offset:         120
        .size:           4
        .value_kind:     by_value
      - .address_space:  global
        .offset:         128
        .size:           8
        .value_kind:     global_buffer
      - .address_space:  global
        .offset:         136
        .size:           8
        .value_kind:     global_buffer
      - .offset:         144
        .size:           4
        .value_kind:     hidden_block_count_x
      - .offset:         148
        .size:           4
        .value_kind:     hidden_block_count_y
      - .offset:         152
        .size:           4
        .value_kind:     hidden_block_count_z
      - .offset:         156
        .size:           2
        .value_kind:     hidden_group_size_x
      - .offset:         158
        .size:           2
        .value_kind:     hidden_group_size_y
      - .offset:         160
        .size:           2
        .value_kind:     hidden_group_size_z
      - .offset:         162
        .size:           2
        .value_kind:     hidden_remainder_x
      - .offset:         164
        .size:           2
        .value_kind:     hidden_remainder_y
      - .offset:         166
        .size:           2
        .value_kind:     hidden_remainder_z
      - .offset:         184
        .size:           8
        .value_kind:     hidden_global_offset_x
      - .offset:         192
        .size:           8
        .value_kind:     hidden_global_offset_y
      - .offset:         200
        .size:           8
        .value_kind:     hidden_global_offset_z
      - .offset:         208
        .size:           2
        .value_kind:     hidden_grid_dims
    .group_segment_fixed_size: 17472
    .kernarg_segment_align: 8
    .kernarg_segment_size: 400
    .language:       OpenCL C
    .language_version:
      - 2
      - 0
    .max_flat_workgroup_size: 256
    .name:           _Z39paged_attention_ll4mi_QKV_mfma16_kernelI14__hip_bfloat16hLN4vllm18Fp8KVCacheDataTypeE1ES0_Li32ELi128ELi256ELb0ELi9EL8MFMAType1EEvPKT_PKT0_S9_ifPKiSB_SB_iPKfiiiPfSE_PS4_PT2_iSD_SD_
    .private_segment_fixed_size: 0
    .sgpr_count:     38
    .sgpr_spill_count: 0
    .symbol:         _Z39paged_attention_ll4mi_QKV_mfma16_kernelI14__hip_bfloat16hLN4vllm18Fp8KVCacheDataTypeE1ES0_Li32ELi128ELi256ELb0ELi9EL8MFMAType1EEvPKT_PKT0_S9_ifPKiSB_SB_iPKfiiiPfSE_PS4_PT2_iSD_SD_.kd
    .uniform_work_group_size: 1
    .uses_dynamic_stack: false
    .vgpr_count:     140
    .vgpr_spill_count: 0
    .wavefront_size: 32
    .workgroup_processor_mode: 1
  - .args:
      - .actual_access:  read_only
        .address_space:  global
        .offset:         0
        .size:           8
        .value_kind:     global_buffer
      - .actual_access:  read_only
        .address_space:  global
        .offset:         8
        .size:           8
        .value_kind:     global_buffer
      - .actual_access:  read_only
        .address_space:  global
        .offset:         16
        .size:           8
        .value_kind:     global_buffer
      - .offset:         24
        .size:           4
        .value_kind:     by_value
      - .offset:         28
        .size:           4
        .value_kind:     by_value
      - .actual_access:  read_only
        .address_space:  global
        .offset:         32
        .size:           8
        .value_kind:     global_buffer
      - .actual_access:  read_only
        .address_space:  global
        .offset:         40
        .size:           8
        .value_kind:     global_buffer
      - .actual_access:  read_only
        .address_space:  global
        .offset:         48
        .size:           8
        .value_kind:     global_buffer
      - .offset:         56
        .size:           4
        .value_kind:     by_value
      - .actual_access:  read_only
        .address_space:  global
        .offset:         64
        .size:           8
        .value_kind:     global_buffer
      - .offset:         72
        .size:           4
        .value_kind:     by_value
      - .offset:         76
        .size:           4
        .value_kind:     by_value
      - .offset:         80
        .size:           4
        .value_kind:     by_value
      - .actual_access:  write_only
        .address_space:  global
        .offset:         88
        .size:           8
        .value_kind:     global_buffer
      - .actual_access:  write_only
        .address_space:  global
        .offset:         96
        .size:           8
        .value_kind:     global_buffer
      - .actual_access:  write_only
        .address_space:  global
        .offset:         104
        .size:           8
        .value_kind:     global_buffer
      - .actual_access:  read_only
        .address_space:  global
        .offset:         112
        .size:           8
        .value_kind:     global_buffer
      - .offset:         120
        .size:           4
        .value_kind:     by_value
      - .address_space:  global
        .offset:         128
        .size:           8
        .value_kind:     global_buffer
      - .address_space:  global
        .offset:         136
        .size:           8
        .value_kind:     global_buffer
      - .offset:         144
        .size:           4
        .value_kind:     hidden_block_count_x
      - .offset:         148
        .size:           4
        .value_kind:     hidden_block_count_y
      - .offset:         152
        .size:           4
        .value_kind:     hidden_block_count_z
      - .offset:         156
        .size:           2
        .value_kind:     hidden_group_size_x
      - .offset:         158
        .size:           2
        .value_kind:     hidden_group_size_y
      - .offset:         160
        .size:           2
        .value_kind:     hidden_group_size_z
      - .offset:         162
        .size:           2
        .value_kind:     hidden_remainder_x
      - .offset:         164
        .size:           2
        .value_kind:     hidden_remainder_y
      - .offset:         166
        .size:           2
        .value_kind:     hidden_remainder_z
      - .offset:         184
        .size:           8
        .value_kind:     hidden_global_offset_x
      - .offset:         192
        .size:           8
        .value_kind:     hidden_global_offset_y
      - .offset:         200
        .size:           8
        .value_kind:     hidden_global_offset_z
      - .offset:         208
        .size:           2
        .value_kind:     hidden_grid_dims
    .group_segment_fixed_size: 17472
    .kernarg_segment_align: 8
    .kernarg_segment_size: 400
    .language:       OpenCL C
    .language_version:
      - 2
      - 0
    .max_flat_workgroup_size: 256
    .name:           _Z39paged_attention_ll4mi_QKV_mfma16_kernelI14__hip_bfloat16hLN4vllm18Fp8KVCacheDataTypeE1ES0_Li32ELi128ELi256ELb0ELi10EL8MFMAType1EEvPKT_PKT0_S9_ifPKiSB_SB_iPKfiiiPfSE_PS4_PT2_iSD_SD_
    .private_segment_fixed_size: 0
    .sgpr_count:     38
    .sgpr_spill_count: 0
    .symbol:         _Z39paged_attention_ll4mi_QKV_mfma16_kernelI14__hip_bfloat16hLN4vllm18Fp8KVCacheDataTypeE1ES0_Li32ELi128ELi256ELb0ELi10EL8MFMAType1EEvPKT_PKT0_S9_ifPKiSB_SB_iPKfiiiPfSE_PS4_PT2_iSD_SD_.kd
    .uniform_work_group_size: 1
    .uses_dynamic_stack: false
    .vgpr_count:     140
    .vgpr_spill_count: 0
    .wavefront_size: 32
    .workgroup_processor_mode: 1
  - .args:
      - .actual_access:  read_only
        .address_space:  global
        .offset:         0
        .size:           8
        .value_kind:     global_buffer
      - .actual_access:  read_only
        .address_space:  global
        .offset:         8
        .size:           8
        .value_kind:     global_buffer
      - .actual_access:  read_only
        .address_space:  global
        .offset:         16
        .size:           8
        .value_kind:     global_buffer
      - .offset:         24
        .size:           4
        .value_kind:     by_value
      - .offset:         28
        .size:           4
        .value_kind:     by_value
      - .actual_access:  read_only
        .address_space:  global
        .offset:         32
        .size:           8
        .value_kind:     global_buffer
      - .actual_access:  read_only
        .address_space:  global
        .offset:         40
        .size:           8
        .value_kind:     global_buffer
      - .actual_access:  read_only
        .address_space:  global
        .offset:         48
        .size:           8
        .value_kind:     global_buffer
      - .offset:         56
        .size:           4
        .value_kind:     by_value
      - .actual_access:  read_only
        .address_space:  global
        .offset:         64
        .size:           8
        .value_kind:     global_buffer
      - .offset:         72
        .size:           4
        .value_kind:     by_value
      - .offset:         76
        .size:           4
        .value_kind:     by_value
      - .offset:         80
        .size:           4
        .value_kind:     by_value
      - .actual_access:  write_only
        .address_space:  global
        .offset:         88
        .size:           8
        .value_kind:     global_buffer
      - .actual_access:  write_only
        .address_space:  global
        .offset:         96
        .size:           8
        .value_kind:     global_buffer
      - .actual_access:  write_only
        .address_space:  global
        .offset:         104
        .size:           8
        .value_kind:     global_buffer
      - .actual_access:  read_only
        .address_space:  global
        .offset:         112
        .size:           8
        .value_kind:     global_buffer
      - .offset:         120
        .size:           4
        .value_kind:     by_value
      - .address_space:  global
        .offset:         128
        .size:           8
        .value_kind:     global_buffer
      - .address_space:  global
        .offset:         136
        .size:           8
        .value_kind:     global_buffer
      - .offset:         144
        .size:           4
        .value_kind:     hidden_block_count_x
      - .offset:         148
        .size:           4
        .value_kind:     hidden_block_count_y
      - .offset:         152
        .size:           4
        .value_kind:     hidden_block_count_z
      - .offset:         156
        .size:           2
        .value_kind:     hidden_group_size_x
      - .offset:         158
        .size:           2
        .value_kind:     hidden_group_size_y
      - .offset:         160
        .size:           2
        .value_kind:     hidden_group_size_z
      - .offset:         162
        .size:           2
        .value_kind:     hidden_remainder_x
      - .offset:         164
        .size:           2
        .value_kind:     hidden_remainder_y
      - .offset:         166
        .size:           2
        .value_kind:     hidden_remainder_z
      - .offset:         184
        .size:           8
        .value_kind:     hidden_global_offset_x
      - .offset:         192
        .size:           8
        .value_kind:     hidden_global_offset_y
      - .offset:         200
        .size:           8
        .value_kind:     hidden_global_offset_z
      - .offset:         208
        .size:           2
        .value_kind:     hidden_grid_dims
    .group_segment_fixed_size: 17472
    .kernarg_segment_align: 8
    .kernarg_segment_size: 400
    .language:       OpenCL C
    .language_version:
      - 2
      - 0
    .max_flat_workgroup_size: 256
    .name:           _Z39paged_attention_ll4mi_QKV_mfma16_kernelI14__hip_bfloat16hLN4vllm18Fp8KVCacheDataTypeE1ES0_Li32ELi128ELi256ELb0ELi11EL8MFMAType1EEvPKT_PKT0_S9_ifPKiSB_SB_iPKfiiiPfSE_PS4_PT2_iSD_SD_
    .private_segment_fixed_size: 0
    .sgpr_count:     38
    .sgpr_spill_count: 0
    .symbol:         _Z39paged_attention_ll4mi_QKV_mfma16_kernelI14__hip_bfloat16hLN4vllm18Fp8KVCacheDataTypeE1ES0_Li32ELi128ELi256ELb0ELi11EL8MFMAType1EEvPKT_PKT0_S9_ifPKiSB_SB_iPKfiiiPfSE_PS4_PT2_iSD_SD_.kd
    .uniform_work_group_size: 1
    .uses_dynamic_stack: false
    .vgpr_count:     140
    .vgpr_spill_count: 0
    .wavefront_size: 32
    .workgroup_processor_mode: 1
  - .args:
      - .actual_access:  read_only
        .address_space:  global
        .offset:         0
        .size:           8
        .value_kind:     global_buffer
      - .actual_access:  read_only
        .address_space:  global
        .offset:         8
        .size:           8
        .value_kind:     global_buffer
      - .actual_access:  read_only
        .address_space:  global
        .offset:         16
        .size:           8
        .value_kind:     global_buffer
      - .offset:         24
        .size:           4
        .value_kind:     by_value
      - .offset:         28
        .size:           4
        .value_kind:     by_value
      - .actual_access:  read_only
        .address_space:  global
        .offset:         32
        .size:           8
        .value_kind:     global_buffer
      - .actual_access:  read_only
        .address_space:  global
        .offset:         40
        .size:           8
        .value_kind:     global_buffer
      - .actual_access:  read_only
        .address_space:  global
        .offset:         48
        .size:           8
        .value_kind:     global_buffer
      - .offset:         56
        .size:           4
        .value_kind:     by_value
      - .actual_access:  read_only
        .address_space:  global
        .offset:         64
        .size:           8
        .value_kind:     global_buffer
      - .offset:         72
        .size:           4
        .value_kind:     by_value
      - .offset:         76
        .size:           4
        .value_kind:     by_value
      - .offset:         80
        .size:           4
        .value_kind:     by_value
      - .actual_access:  write_only
        .address_space:  global
        .offset:         88
        .size:           8
        .value_kind:     global_buffer
      - .actual_access:  write_only
        .address_space:  global
        .offset:         96
        .size:           8
        .value_kind:     global_buffer
      - .actual_access:  write_only
        .address_space:  global
        .offset:         104
        .size:           8
        .value_kind:     global_buffer
      - .actual_access:  read_only
        .address_space:  global
        .offset:         112
        .size:           8
        .value_kind:     global_buffer
      - .offset:         120
        .size:           4
        .value_kind:     by_value
      - .address_space:  global
        .offset:         128
        .size:           8
        .value_kind:     global_buffer
      - .address_space:  global
        .offset:         136
        .size:           8
        .value_kind:     global_buffer
      - .offset:         144
        .size:           4
        .value_kind:     hidden_block_count_x
      - .offset:         148
        .size:           4
        .value_kind:     hidden_block_count_y
      - .offset:         152
        .size:           4
        .value_kind:     hidden_block_count_z
      - .offset:         156
        .size:           2
        .value_kind:     hidden_group_size_x
      - .offset:         158
        .size:           2
        .value_kind:     hidden_group_size_y
      - .offset:         160
        .size:           2
        .value_kind:     hidden_group_size_z
      - .offset:         162
        .size:           2
        .value_kind:     hidden_remainder_x
      - .offset:         164
        .size:           2
        .value_kind:     hidden_remainder_y
      - .offset:         166
        .size:           2
        .value_kind:     hidden_remainder_z
      - .offset:         184
        .size:           8
        .value_kind:     hidden_global_offset_x
      - .offset:         192
        .size:           8
        .value_kind:     hidden_global_offset_y
      - .offset:         200
        .size:           8
        .value_kind:     hidden_global_offset_z
      - .offset:         208
        .size:           2
        .value_kind:     hidden_grid_dims
    .group_segment_fixed_size: 17472
    .kernarg_segment_align: 8
    .kernarg_segment_size: 400
    .language:       OpenCL C
    .language_version:
      - 2
      - 0
    .max_flat_workgroup_size: 256
    .name:           _Z39paged_attention_ll4mi_QKV_mfma16_kernelI14__hip_bfloat16hLN4vllm18Fp8KVCacheDataTypeE1ES0_Li32ELi128ELi256ELb0ELi12EL8MFMAType1EEvPKT_PKT0_S9_ifPKiSB_SB_iPKfiiiPfSE_PS4_PT2_iSD_SD_
    .private_segment_fixed_size: 0
    .sgpr_count:     38
    .sgpr_spill_count: 0
    .symbol:         _Z39paged_attention_ll4mi_QKV_mfma16_kernelI14__hip_bfloat16hLN4vllm18Fp8KVCacheDataTypeE1ES0_Li32ELi128ELi256ELb0ELi12EL8MFMAType1EEvPKT_PKT0_S9_ifPKiSB_SB_iPKfiiiPfSE_PS4_PT2_iSD_SD_.kd
    .uniform_work_group_size: 1
    .uses_dynamic_stack: false
    .vgpr_count:     140
    .vgpr_spill_count: 0
    .wavefront_size: 32
    .workgroup_processor_mode: 1
  - .args:
      - .actual_access:  read_only
        .address_space:  global
        .offset:         0
        .size:           8
        .value_kind:     global_buffer
      - .actual_access:  read_only
        .address_space:  global
        .offset:         8
        .size:           8
        .value_kind:     global_buffer
      - .actual_access:  read_only
        .address_space:  global
        .offset:         16
        .size:           8
        .value_kind:     global_buffer
      - .offset:         24
        .size:           4
        .value_kind:     by_value
      - .offset:         28
        .size:           4
        .value_kind:     by_value
      - .actual_access:  read_only
        .address_space:  global
        .offset:         32
        .size:           8
        .value_kind:     global_buffer
      - .actual_access:  read_only
        .address_space:  global
        .offset:         40
        .size:           8
        .value_kind:     global_buffer
      - .actual_access:  read_only
        .address_space:  global
        .offset:         48
        .size:           8
        .value_kind:     global_buffer
      - .offset:         56
        .size:           4
        .value_kind:     by_value
      - .actual_access:  read_only
        .address_space:  global
        .offset:         64
        .size:           8
        .value_kind:     global_buffer
      - .offset:         72
        .size:           4
        .value_kind:     by_value
      - .offset:         76
        .size:           4
        .value_kind:     by_value
      - .offset:         80
        .size:           4
        .value_kind:     by_value
      - .actual_access:  write_only
        .address_space:  global
        .offset:         88
        .size:           8
        .value_kind:     global_buffer
      - .actual_access:  write_only
        .address_space:  global
        .offset:         96
        .size:           8
        .value_kind:     global_buffer
      - .actual_access:  write_only
        .address_space:  global
        .offset:         104
        .size:           8
        .value_kind:     global_buffer
      - .actual_access:  read_only
        .address_space:  global
        .offset:         112
        .size:           8
        .value_kind:     global_buffer
      - .offset:         120
        .size:           4
        .value_kind:     by_value
      - .address_space:  global
        .offset:         128
        .size:           8
        .value_kind:     global_buffer
      - .address_space:  global
        .offset:         136
        .size:           8
        .value_kind:     global_buffer
      - .offset:         144
        .size:           4
        .value_kind:     hidden_block_count_x
      - .offset:         148
        .size:           4
        .value_kind:     hidden_block_count_y
      - .offset:         152
        .size:           4
        .value_kind:     hidden_block_count_z
      - .offset:         156
        .size:           2
        .value_kind:     hidden_group_size_x
      - .offset:         158
        .size:           2
        .value_kind:     hidden_group_size_y
      - .offset:         160
        .size:           2
        .value_kind:     hidden_group_size_z
      - .offset:         162
        .size:           2
        .value_kind:     hidden_remainder_x
      - .offset:         164
        .size:           2
        .value_kind:     hidden_remainder_y
      - .offset:         166
        .size:           2
        .value_kind:     hidden_remainder_z
      - .offset:         184
        .size:           8
        .value_kind:     hidden_global_offset_x
      - .offset:         192
        .size:           8
        .value_kind:     hidden_global_offset_y
      - .offset:         200
        .size:           8
        .value_kind:     hidden_global_offset_z
      - .offset:         208
        .size:           2
        .value_kind:     hidden_grid_dims
    .group_segment_fixed_size: 17472
    .kernarg_segment_align: 8
    .kernarg_segment_size: 400
    .language:       OpenCL C
    .language_version:
      - 2
      - 0
    .max_flat_workgroup_size: 256
    .name:           _Z39paged_attention_ll4mi_QKV_mfma16_kernelI14__hip_bfloat16hLN4vllm18Fp8KVCacheDataTypeE1ES0_Li32ELi128ELi256ELb0ELi13EL8MFMAType1EEvPKT_PKT0_S9_ifPKiSB_SB_iPKfiiiPfSE_PS4_PT2_iSD_SD_
    .private_segment_fixed_size: 0
    .sgpr_count:     38
    .sgpr_spill_count: 0
    .symbol:         _Z39paged_attention_ll4mi_QKV_mfma16_kernelI14__hip_bfloat16hLN4vllm18Fp8KVCacheDataTypeE1ES0_Li32ELi128ELi256ELb0ELi13EL8MFMAType1EEvPKT_PKT0_S9_ifPKiSB_SB_iPKfiiiPfSE_PS4_PT2_iSD_SD_.kd
    .uniform_work_group_size: 1
    .uses_dynamic_stack: false
    .vgpr_count:     140
    .vgpr_spill_count: 0
    .wavefront_size: 32
    .workgroup_processor_mode: 1
  - .args:
      - .actual_access:  read_only
        .address_space:  global
        .offset:         0
        .size:           8
        .value_kind:     global_buffer
      - .actual_access:  read_only
        .address_space:  global
        .offset:         8
        .size:           8
        .value_kind:     global_buffer
      - .actual_access:  read_only
        .address_space:  global
        .offset:         16
        .size:           8
        .value_kind:     global_buffer
      - .offset:         24
        .size:           4
        .value_kind:     by_value
      - .offset:         28
        .size:           4
        .value_kind:     by_value
      - .actual_access:  read_only
        .address_space:  global
        .offset:         32
        .size:           8
        .value_kind:     global_buffer
      - .actual_access:  read_only
        .address_space:  global
        .offset:         40
        .size:           8
        .value_kind:     global_buffer
      - .actual_access:  read_only
        .address_space:  global
        .offset:         48
        .size:           8
        .value_kind:     global_buffer
      - .offset:         56
        .size:           4
        .value_kind:     by_value
      - .actual_access:  read_only
        .address_space:  global
        .offset:         64
        .size:           8
        .value_kind:     global_buffer
      - .offset:         72
        .size:           4
        .value_kind:     by_value
      - .offset:         76
        .size:           4
        .value_kind:     by_value
      - .offset:         80
        .size:           4
        .value_kind:     by_value
      - .actual_access:  write_only
        .address_space:  global
        .offset:         88
        .size:           8
        .value_kind:     global_buffer
      - .actual_access:  write_only
        .address_space:  global
        .offset:         96
        .size:           8
        .value_kind:     global_buffer
      - .actual_access:  write_only
        .address_space:  global
        .offset:         104
        .size:           8
        .value_kind:     global_buffer
      - .actual_access:  read_only
        .address_space:  global
        .offset:         112
        .size:           8
        .value_kind:     global_buffer
      - .offset:         120
        .size:           4
        .value_kind:     by_value
      - .address_space:  global
        .offset:         128
        .size:           8
        .value_kind:     global_buffer
      - .address_space:  global
        .offset:         136
        .size:           8
        .value_kind:     global_buffer
      - .offset:         144
        .size:           4
        .value_kind:     hidden_block_count_x
      - .offset:         148
        .size:           4
        .value_kind:     hidden_block_count_y
      - .offset:         152
        .size:           4
        .value_kind:     hidden_block_count_z
      - .offset:         156
        .size:           2
        .value_kind:     hidden_group_size_x
      - .offset:         158
        .size:           2
        .value_kind:     hidden_group_size_y
      - .offset:         160
        .size:           2
        .value_kind:     hidden_group_size_z
      - .offset:         162
        .size:           2
        .value_kind:     hidden_remainder_x
      - .offset:         164
        .size:           2
        .value_kind:     hidden_remainder_y
      - .offset:         166
        .size:           2
        .value_kind:     hidden_remainder_z
      - .offset:         184
        .size:           8
        .value_kind:     hidden_global_offset_x
      - .offset:         192
        .size:           8
        .value_kind:     hidden_global_offset_y
      - .offset:         200
        .size:           8
        .value_kind:     hidden_global_offset_z
      - .offset:         208
        .size:           2
        .value_kind:     hidden_grid_dims
    .group_segment_fixed_size: 17472
    .kernarg_segment_align: 8
    .kernarg_segment_size: 400
    .language:       OpenCL C
    .language_version:
      - 2
      - 0
    .max_flat_workgroup_size: 256
    .name:           _Z39paged_attention_ll4mi_QKV_mfma16_kernelI14__hip_bfloat16hLN4vllm18Fp8KVCacheDataTypeE1ES0_Li32ELi128ELi256ELb0ELi14EL8MFMAType1EEvPKT_PKT0_S9_ifPKiSB_SB_iPKfiiiPfSE_PS4_PT2_iSD_SD_
    .private_segment_fixed_size: 0
    .sgpr_count:     38
    .sgpr_spill_count: 0
    .symbol:         _Z39paged_attention_ll4mi_QKV_mfma16_kernelI14__hip_bfloat16hLN4vllm18Fp8KVCacheDataTypeE1ES0_Li32ELi128ELi256ELb0ELi14EL8MFMAType1EEvPKT_PKT0_S9_ifPKiSB_SB_iPKfiiiPfSE_PS4_PT2_iSD_SD_.kd
    .uniform_work_group_size: 1
    .uses_dynamic_stack: false
    .vgpr_count:     140
    .vgpr_spill_count: 0
    .wavefront_size: 32
    .workgroup_processor_mode: 1
  - .args:
      - .actual_access:  read_only
        .address_space:  global
        .offset:         0
        .size:           8
        .value_kind:     global_buffer
      - .actual_access:  read_only
        .address_space:  global
        .offset:         8
        .size:           8
        .value_kind:     global_buffer
      - .actual_access:  read_only
        .address_space:  global
        .offset:         16
        .size:           8
        .value_kind:     global_buffer
      - .offset:         24
        .size:           4
        .value_kind:     by_value
      - .offset:         28
        .size:           4
        .value_kind:     by_value
      - .actual_access:  read_only
        .address_space:  global
        .offset:         32
        .size:           8
        .value_kind:     global_buffer
      - .actual_access:  read_only
        .address_space:  global
        .offset:         40
        .size:           8
        .value_kind:     global_buffer
      - .actual_access:  read_only
        .address_space:  global
        .offset:         48
        .size:           8
        .value_kind:     global_buffer
      - .offset:         56
        .size:           4
        .value_kind:     by_value
      - .actual_access:  read_only
        .address_space:  global
        .offset:         64
        .size:           8
        .value_kind:     global_buffer
      - .offset:         72
        .size:           4
        .value_kind:     by_value
      - .offset:         76
        .size:           4
        .value_kind:     by_value
      - .offset:         80
        .size:           4
        .value_kind:     by_value
      - .actual_access:  write_only
        .address_space:  global
        .offset:         88
        .size:           8
        .value_kind:     global_buffer
      - .actual_access:  write_only
        .address_space:  global
        .offset:         96
        .size:           8
        .value_kind:     global_buffer
      - .actual_access:  write_only
        .address_space:  global
        .offset:         104
        .size:           8
        .value_kind:     global_buffer
      - .actual_access:  read_only
        .address_space:  global
        .offset:         112
        .size:           8
        .value_kind:     global_buffer
      - .offset:         120
        .size:           4
        .value_kind:     by_value
      - .address_space:  global
        .offset:         128
        .size:           8
        .value_kind:     global_buffer
      - .address_space:  global
        .offset:         136
        .size:           8
        .value_kind:     global_buffer
      - .offset:         144
        .size:           4
        .value_kind:     hidden_block_count_x
      - .offset:         148
        .size:           4
        .value_kind:     hidden_block_count_y
      - .offset:         152
        .size:           4
        .value_kind:     hidden_block_count_z
      - .offset:         156
        .size:           2
        .value_kind:     hidden_group_size_x
      - .offset:         158
        .size:           2
        .value_kind:     hidden_group_size_y
      - .offset:         160
        .size:           2
        .value_kind:     hidden_group_size_z
      - .offset:         162
        .size:           2
        .value_kind:     hidden_remainder_x
      - .offset:         164
        .size:           2
        .value_kind:     hidden_remainder_y
      - .offset:         166
        .size:           2
        .value_kind:     hidden_remainder_z
      - .offset:         184
        .size:           8
        .value_kind:     hidden_global_offset_x
      - .offset:         192
        .size:           8
        .value_kind:     hidden_global_offset_y
      - .offset:         200
        .size:           8
        .value_kind:     hidden_global_offset_z
      - .offset:         208
        .size:           2
        .value_kind:     hidden_grid_dims
    .group_segment_fixed_size: 17472
    .kernarg_segment_align: 8
    .kernarg_segment_size: 400
    .language:       OpenCL C
    .language_version:
      - 2
      - 0
    .max_flat_workgroup_size: 256
    .name:           _Z39paged_attention_ll4mi_QKV_mfma16_kernelI14__hip_bfloat16hLN4vllm18Fp8KVCacheDataTypeE1ES0_Li32ELi128ELi256ELb0ELi15EL8MFMAType1EEvPKT_PKT0_S9_ifPKiSB_SB_iPKfiiiPfSE_PS4_PT2_iSD_SD_
    .private_segment_fixed_size: 0
    .sgpr_count:     38
    .sgpr_spill_count: 0
    .symbol:         _Z39paged_attention_ll4mi_QKV_mfma16_kernelI14__hip_bfloat16hLN4vllm18Fp8KVCacheDataTypeE1ES0_Li32ELi128ELi256ELb0ELi15EL8MFMAType1EEvPKT_PKT0_S9_ifPKiSB_SB_iPKfiiiPfSE_PS4_PT2_iSD_SD_.kd
    .uniform_work_group_size: 1
    .uses_dynamic_stack: false
    .vgpr_count:     140
    .vgpr_spill_count: 0
    .wavefront_size: 32
    .workgroup_processor_mode: 1
  - .args:
      - .actual_access:  read_only
        .address_space:  global
        .offset:         0
        .size:           8
        .value_kind:     global_buffer
      - .actual_access:  read_only
        .address_space:  global
        .offset:         8
        .size:           8
        .value_kind:     global_buffer
      - .actual_access:  read_only
        .address_space:  global
        .offset:         16
        .size:           8
        .value_kind:     global_buffer
      - .offset:         24
        .size:           4
        .value_kind:     by_value
      - .offset:         28
        .size:           4
        .value_kind:     by_value
      - .actual_access:  read_only
        .address_space:  global
        .offset:         32
        .size:           8
        .value_kind:     global_buffer
      - .actual_access:  read_only
        .address_space:  global
        .offset:         40
        .size:           8
        .value_kind:     global_buffer
      - .actual_access:  read_only
        .address_space:  global
        .offset:         48
        .size:           8
        .value_kind:     global_buffer
      - .offset:         56
        .size:           4
        .value_kind:     by_value
      - .actual_access:  read_only
        .address_space:  global
        .offset:         64
        .size:           8
        .value_kind:     global_buffer
      - .offset:         72
        .size:           4
        .value_kind:     by_value
      - .offset:         76
        .size:           4
        .value_kind:     by_value
      - .offset:         80
        .size:           4
        .value_kind:     by_value
      - .actual_access:  write_only
        .address_space:  global
        .offset:         88
        .size:           8
        .value_kind:     global_buffer
      - .actual_access:  write_only
        .address_space:  global
        .offset:         96
        .size:           8
        .value_kind:     global_buffer
      - .actual_access:  write_only
        .address_space:  global
        .offset:         104
        .size:           8
        .value_kind:     global_buffer
      - .actual_access:  read_only
        .address_space:  global
        .offset:         112
        .size:           8
        .value_kind:     global_buffer
      - .offset:         120
        .size:           4
        .value_kind:     by_value
      - .address_space:  global
        .offset:         128
        .size:           8
        .value_kind:     global_buffer
      - .address_space:  global
        .offset:         136
        .size:           8
        .value_kind:     global_buffer
      - .offset:         144
        .size:           4
        .value_kind:     hidden_block_count_x
      - .offset:         148
        .size:           4
        .value_kind:     hidden_block_count_y
      - .offset:         152
        .size:           4
        .value_kind:     hidden_block_count_z
      - .offset:         156
        .size:           2
        .value_kind:     hidden_group_size_x
      - .offset:         158
        .size:           2
        .value_kind:     hidden_group_size_y
      - .offset:         160
        .size:           2
        .value_kind:     hidden_group_size_z
      - .offset:         162
        .size:           2
        .value_kind:     hidden_remainder_x
      - .offset:         164
        .size:           2
        .value_kind:     hidden_remainder_y
      - .offset:         166
        .size:           2
        .value_kind:     hidden_remainder_z
      - .offset:         184
        .size:           8
        .value_kind:     hidden_global_offset_x
      - .offset:         192
        .size:           8
        .value_kind:     hidden_global_offset_y
      - .offset:         200
        .size:           8
        .value_kind:     hidden_global_offset_z
      - .offset:         208
        .size:           2
        .value_kind:     hidden_grid_dims
    .group_segment_fixed_size: 17472
    .kernarg_segment_align: 8
    .kernarg_segment_size: 400
    .language:       OpenCL C
    .language_version:
      - 2
      - 0
    .max_flat_workgroup_size: 256
    .name:           _Z39paged_attention_ll4mi_QKV_mfma16_kernelI14__hip_bfloat16hLN4vllm18Fp8KVCacheDataTypeE1ES0_Li32ELi128ELi256ELb0ELi16EL8MFMAType1EEvPKT_PKT0_S9_ifPKiSB_SB_iPKfiiiPfSE_PS4_PT2_iSD_SD_
    .private_segment_fixed_size: 0
    .sgpr_count:     38
    .sgpr_spill_count: 0
    .symbol:         _Z39paged_attention_ll4mi_QKV_mfma16_kernelI14__hip_bfloat16hLN4vllm18Fp8KVCacheDataTypeE1ES0_Li32ELi128ELi256ELb0ELi16EL8MFMAType1EEvPKT_PKT0_S9_ifPKiSB_SB_iPKfiiiPfSE_PS4_PT2_iSD_SD_.kd
    .uniform_work_group_size: 1
    .uses_dynamic_stack: false
    .vgpr_count:     141
    .vgpr_spill_count: 0
    .wavefront_size: 32
    .workgroup_processor_mode: 1
  - .args:
      - .actual_access:  read_only
        .address_space:  global
        .offset:         0
        .size:           8
        .value_kind:     global_buffer
      - .actual_access:  read_only
        .address_space:  global
        .offset:         8
        .size:           8
        .value_kind:     global_buffer
      - .actual_access:  read_only
        .address_space:  global
        .offset:         16
        .size:           8
        .value_kind:     global_buffer
      - .offset:         24
        .size:           4
        .value_kind:     by_value
      - .offset:         28
        .size:           4
        .value_kind:     by_value
      - .actual_access:  read_only
        .address_space:  global
        .offset:         32
        .size:           8
        .value_kind:     global_buffer
      - .actual_access:  read_only
        .address_space:  global
        .offset:         40
        .size:           8
        .value_kind:     global_buffer
      - .actual_access:  read_only
        .address_space:  global
        .offset:         48
        .size:           8
        .value_kind:     global_buffer
      - .offset:         56
        .size:           4
        .value_kind:     by_value
      - .actual_access:  read_only
        .address_space:  global
        .offset:         64
        .size:           8
        .value_kind:     global_buffer
      - .offset:         72
        .size:           4
        .value_kind:     by_value
      - .offset:         76
        .size:           4
        .value_kind:     by_value
      - .offset:         80
        .size:           4
        .value_kind:     by_value
      - .actual_access:  write_only
        .address_space:  global
        .offset:         88
        .size:           8
        .value_kind:     global_buffer
      - .actual_access:  write_only
        .address_space:  global
        .offset:         96
        .size:           8
        .value_kind:     global_buffer
      - .actual_access:  write_only
        .address_space:  global
        .offset:         104
        .size:           8
        .value_kind:     global_buffer
      - .actual_access:  read_only
        .address_space:  global
        .offset:         112
        .size:           8
        .value_kind:     global_buffer
      - .offset:         120
        .size:           4
        .value_kind:     by_value
      - .address_space:  global
        .offset:         128
        .size:           8
        .value_kind:     global_buffer
      - .address_space:  global
        .offset:         136
        .size:           8
        .value_kind:     global_buffer
      - .offset:         144
        .size:           4
        .value_kind:     hidden_block_count_x
      - .offset:         148
        .size:           4
        .value_kind:     hidden_block_count_y
      - .offset:         152
        .size:           4
        .value_kind:     hidden_block_count_z
      - .offset:         156
        .size:           2
        .value_kind:     hidden_group_size_x
      - .offset:         158
        .size:           2
        .value_kind:     hidden_group_size_y
      - .offset:         160
        .size:           2
        .value_kind:     hidden_group_size_z
      - .offset:         162
        .size:           2
        .value_kind:     hidden_remainder_x
      - .offset:         164
        .size:           2
        .value_kind:     hidden_remainder_y
      - .offset:         166
        .size:           2
        .value_kind:     hidden_remainder_z
      - .offset:         184
        .size:           8
        .value_kind:     hidden_global_offset_x
      - .offset:         192
        .size:           8
        .value_kind:     hidden_global_offset_y
      - .offset:         200
        .size:           8
        .value_kind:     hidden_global_offset_z
      - .offset:         208
        .size:           2
        .value_kind:     hidden_grid_dims
    .group_segment_fixed_size: 17472
    .kernarg_segment_align: 8
    .kernarg_segment_size: 400
    .language:       OpenCL C
    .language_version:
      - 2
      - 0
    .max_flat_workgroup_size: 256
    .name:           _Z39paged_attention_ll4mi_QKV_mfma16_kernelI14__hip_bfloat16hLN4vllm18Fp8KVCacheDataTypeE1ES0_Li32ELi128ELi256ELb0ELi1EL8MFMAType1EEvPKT_PKT0_S9_ifPKiSB_SB_iPKfiiiPfSE_PS4_PT2_iSD_SD_
    .private_segment_fixed_size: 0
    .sgpr_count:     70
    .sgpr_spill_count: 0
    .symbol:         _Z39paged_attention_ll4mi_QKV_mfma16_kernelI14__hip_bfloat16hLN4vllm18Fp8KVCacheDataTypeE1ES0_Li32ELi128ELi256ELb0ELi1EL8MFMAType1EEvPKT_PKT0_S9_ifPKiSB_SB_iPKfiiiPfSE_PS4_PT2_iSD_SD_.kd
    .uniform_work_group_size: 1
    .uses_dynamic_stack: false
    .vgpr_count:     138
    .vgpr_spill_count: 0
    .wavefront_size: 32
    .workgroup_processor_mode: 1
  - .args:
      - .actual_access:  read_only
        .address_space:  global
        .offset:         0
        .size:           8
        .value_kind:     global_buffer
      - .actual_access:  read_only
        .address_space:  global
        .offset:         8
        .size:           8
        .value_kind:     global_buffer
      - .actual_access:  read_only
        .address_space:  global
        .offset:         16
        .size:           8
        .value_kind:     global_buffer
      - .offset:         24
        .size:           4
        .value_kind:     by_value
      - .offset:         28
        .size:           4
        .value_kind:     by_value
      - .actual_access:  read_only
        .address_space:  global
        .offset:         32
        .size:           8
        .value_kind:     global_buffer
      - .actual_access:  read_only
        .address_space:  global
        .offset:         40
        .size:           8
        .value_kind:     global_buffer
      - .actual_access:  read_only
        .address_space:  global
        .offset:         48
        .size:           8
        .value_kind:     global_buffer
      - .offset:         56
        .size:           4
        .value_kind:     by_value
      - .actual_access:  read_only
        .address_space:  global
        .offset:         64
        .size:           8
        .value_kind:     global_buffer
      - .offset:         72
        .size:           4
        .value_kind:     by_value
      - .offset:         76
        .size:           4
        .value_kind:     by_value
      - .offset:         80
        .size:           4
        .value_kind:     by_value
      - .actual_access:  write_only
        .address_space:  global
        .offset:         88
        .size:           8
        .value_kind:     global_buffer
      - .actual_access:  write_only
        .address_space:  global
        .offset:         96
        .size:           8
        .value_kind:     global_buffer
      - .actual_access:  write_only
        .address_space:  global
        .offset:         104
        .size:           8
        .value_kind:     global_buffer
      - .actual_access:  read_only
        .address_space:  global
        .offset:         112
        .size:           8
        .value_kind:     global_buffer
      - .offset:         120
        .size:           4
        .value_kind:     by_value
      - .address_space:  global
        .offset:         128
        .size:           8
        .value_kind:     global_buffer
      - .address_space:  global
        .offset:         136
        .size:           8
        .value_kind:     global_buffer
      - .offset:         144
        .size:           4
        .value_kind:     hidden_block_count_x
      - .offset:         148
        .size:           4
        .value_kind:     hidden_block_count_y
      - .offset:         152
        .size:           4
        .value_kind:     hidden_block_count_z
      - .offset:         156
        .size:           2
        .value_kind:     hidden_group_size_x
      - .offset:         158
        .size:           2
        .value_kind:     hidden_group_size_y
      - .offset:         160
        .size:           2
        .value_kind:     hidden_group_size_z
      - .offset:         162
        .size:           2
        .value_kind:     hidden_remainder_x
      - .offset:         164
        .size:           2
        .value_kind:     hidden_remainder_y
      - .offset:         166
        .size:           2
        .value_kind:     hidden_remainder_z
      - .offset:         184
        .size:           8
        .value_kind:     hidden_global_offset_x
      - .offset:         192
        .size:           8
        .value_kind:     hidden_global_offset_y
      - .offset:         200
        .size:           8
        .value_kind:     hidden_global_offset_z
      - .offset:         208
        .size:           2
        .value_kind:     hidden_grid_dims
    .group_segment_fixed_size: 17472
    .kernarg_segment_align: 8
    .kernarg_segment_size: 400
    .language:       OpenCL C
    .language_version:
      - 2
      - 0
    .max_flat_workgroup_size: 256
    .name:           _Z39paged_attention_ll4mi_QKV_mfma16_kernelI14__hip_bfloat16hLN4vllm18Fp8KVCacheDataTypeE1ES0_Li32ELi128ELi256ELb0ELi2EL8MFMAType1EEvPKT_PKT0_S9_ifPKiSB_SB_iPKfiiiPfSE_PS4_PT2_iSD_SD_
    .private_segment_fixed_size: 0
    .sgpr_count:     39
    .sgpr_spill_count: 0
    .symbol:         _Z39paged_attention_ll4mi_QKV_mfma16_kernelI14__hip_bfloat16hLN4vllm18Fp8KVCacheDataTypeE1ES0_Li32ELi128ELi256ELb0ELi2EL8MFMAType1EEvPKT_PKT0_S9_ifPKiSB_SB_iPKfiiiPfSE_PS4_PT2_iSD_SD_.kd
    .uniform_work_group_size: 1
    .uses_dynamic_stack: false
    .vgpr_count:     138
    .vgpr_spill_count: 0
    .wavefront_size: 32
    .workgroup_processor_mode: 1
  - .args:
      - .actual_access:  read_only
        .address_space:  global
        .offset:         0
        .size:           8
        .value_kind:     global_buffer
      - .actual_access:  read_only
        .address_space:  global
        .offset:         8
        .size:           8
        .value_kind:     global_buffer
      - .actual_access:  read_only
        .address_space:  global
        .offset:         16
        .size:           8
        .value_kind:     global_buffer
      - .offset:         24
        .size:           4
        .value_kind:     by_value
      - .offset:         28
        .size:           4
        .value_kind:     by_value
      - .actual_access:  read_only
        .address_space:  global
        .offset:         32
        .size:           8
        .value_kind:     global_buffer
      - .actual_access:  read_only
        .address_space:  global
        .offset:         40
        .size:           8
        .value_kind:     global_buffer
      - .actual_access:  read_only
        .address_space:  global
        .offset:         48
        .size:           8
        .value_kind:     global_buffer
      - .offset:         56
        .size:           4
        .value_kind:     by_value
      - .actual_access:  read_only
        .address_space:  global
        .offset:         64
        .size:           8
        .value_kind:     global_buffer
      - .offset:         72
        .size:           4
        .value_kind:     by_value
      - .offset:         76
        .size:           4
        .value_kind:     by_value
      - .offset:         80
        .size:           4
        .value_kind:     by_value
      - .actual_access:  write_only
        .address_space:  global
        .offset:         88
        .size:           8
        .value_kind:     global_buffer
      - .actual_access:  write_only
        .address_space:  global
        .offset:         96
        .size:           8
        .value_kind:     global_buffer
      - .actual_access:  write_only
        .address_space:  global
        .offset:         104
        .size:           8
        .value_kind:     global_buffer
      - .actual_access:  read_only
        .address_space:  global
        .offset:         112
        .size:           8
        .value_kind:     global_buffer
      - .offset:         120
        .size:           4
        .value_kind:     by_value
      - .address_space:  global
        .offset:         128
        .size:           8
        .value_kind:     global_buffer
      - .address_space:  global
        .offset:         136
        .size:           8
        .value_kind:     global_buffer
      - .offset:         144
        .size:           4
        .value_kind:     hidden_block_count_x
      - .offset:         148
        .size:           4
        .value_kind:     hidden_block_count_y
      - .offset:         152
        .size:           4
        .value_kind:     hidden_block_count_z
      - .offset:         156
        .size:           2
        .value_kind:     hidden_group_size_x
      - .offset:         158
        .size:           2
        .value_kind:     hidden_group_size_y
      - .offset:         160
        .size:           2
        .value_kind:     hidden_group_size_z
      - .offset:         162
        .size:           2
        .value_kind:     hidden_remainder_x
      - .offset:         164
        .size:           2
        .value_kind:     hidden_remainder_y
      - .offset:         166
        .size:           2
        .value_kind:     hidden_remainder_z
      - .offset:         184
        .size:           8
        .value_kind:     hidden_global_offset_x
      - .offset:         192
        .size:           8
        .value_kind:     hidden_global_offset_y
      - .offset:         200
        .size:           8
        .value_kind:     hidden_global_offset_z
      - .offset:         208
        .size:           2
        .value_kind:     hidden_grid_dims
    .group_segment_fixed_size: 17472
    .kernarg_segment_align: 8
    .kernarg_segment_size: 400
    .language:       OpenCL C
    .language_version:
      - 2
      - 0
    .max_flat_workgroup_size: 256
    .name:           _Z39paged_attention_ll4mi_QKV_mfma16_kernelI14__hip_bfloat16hLN4vllm18Fp8KVCacheDataTypeE1ES0_Li32ELi128ELi256ELb0ELi3EL8MFMAType1EEvPKT_PKT0_S9_ifPKiSB_SB_iPKfiiiPfSE_PS4_PT2_iSD_SD_
    .private_segment_fixed_size: 0
    .sgpr_count:     38
    .sgpr_spill_count: 0
    .symbol:         _Z39paged_attention_ll4mi_QKV_mfma16_kernelI14__hip_bfloat16hLN4vllm18Fp8KVCacheDataTypeE1ES0_Li32ELi128ELi256ELb0ELi3EL8MFMAType1EEvPKT_PKT0_S9_ifPKiSB_SB_iPKfiiiPfSE_PS4_PT2_iSD_SD_.kd
    .uniform_work_group_size: 1
    .uses_dynamic_stack: false
    .vgpr_count:     140
    .vgpr_spill_count: 0
    .wavefront_size: 32
    .workgroup_processor_mode: 1
  - .args:
      - .actual_access:  read_only
        .address_space:  global
        .offset:         0
        .size:           8
        .value_kind:     global_buffer
      - .actual_access:  read_only
        .address_space:  global
        .offset:         8
        .size:           8
        .value_kind:     global_buffer
      - .actual_access:  read_only
        .address_space:  global
        .offset:         16
        .size:           8
        .value_kind:     global_buffer
      - .offset:         24
        .size:           4
        .value_kind:     by_value
      - .offset:         28
        .size:           4
        .value_kind:     by_value
      - .actual_access:  read_only
        .address_space:  global
        .offset:         32
        .size:           8
        .value_kind:     global_buffer
      - .actual_access:  read_only
        .address_space:  global
        .offset:         40
        .size:           8
        .value_kind:     global_buffer
      - .actual_access:  read_only
        .address_space:  global
        .offset:         48
        .size:           8
        .value_kind:     global_buffer
      - .offset:         56
        .size:           4
        .value_kind:     by_value
      - .actual_access:  read_only
        .address_space:  global
        .offset:         64
        .size:           8
        .value_kind:     global_buffer
      - .offset:         72
        .size:           4
        .value_kind:     by_value
      - .offset:         76
        .size:           4
        .value_kind:     by_value
      - .offset:         80
        .size:           4
        .value_kind:     by_value
      - .actual_access:  write_only
        .address_space:  global
        .offset:         88
        .size:           8
        .value_kind:     global_buffer
      - .actual_access:  write_only
        .address_space:  global
        .offset:         96
        .size:           8
        .value_kind:     global_buffer
      - .actual_access:  write_only
        .address_space:  global
        .offset:         104
        .size:           8
        .value_kind:     global_buffer
      - .actual_access:  read_only
        .address_space:  global
        .offset:         112
        .size:           8
        .value_kind:     global_buffer
      - .offset:         120
        .size:           4
        .value_kind:     by_value
      - .address_space:  global
        .offset:         128
        .size:           8
        .value_kind:     global_buffer
      - .address_space:  global
        .offset:         136
        .size:           8
        .value_kind:     global_buffer
      - .offset:         144
        .size:           4
        .value_kind:     hidden_block_count_x
      - .offset:         148
        .size:           4
        .value_kind:     hidden_block_count_y
      - .offset:         152
        .size:           4
        .value_kind:     hidden_block_count_z
      - .offset:         156
        .size:           2
        .value_kind:     hidden_group_size_x
      - .offset:         158
        .size:           2
        .value_kind:     hidden_group_size_y
      - .offset:         160
        .size:           2
        .value_kind:     hidden_group_size_z
      - .offset:         162
        .size:           2
        .value_kind:     hidden_remainder_x
      - .offset:         164
        .size:           2
        .value_kind:     hidden_remainder_y
      - .offset:         166
        .size:           2
        .value_kind:     hidden_remainder_z
      - .offset:         184
        .size:           8
        .value_kind:     hidden_global_offset_x
      - .offset:         192
        .size:           8
        .value_kind:     hidden_global_offset_y
      - .offset:         200
        .size:           8
        .value_kind:     hidden_global_offset_z
      - .offset:         208
        .size:           2
        .value_kind:     hidden_grid_dims
    .group_segment_fixed_size: 17472
    .kernarg_segment_align: 8
    .kernarg_segment_size: 400
    .language:       OpenCL C
    .language_version:
      - 2
      - 0
    .max_flat_workgroup_size: 256
    .name:           _Z39paged_attention_ll4mi_QKV_mfma16_kernelI14__hip_bfloat16hLN4vllm18Fp8KVCacheDataTypeE1ES0_Li32ELi128ELi256ELb0ELi4EL8MFMAType1EEvPKT_PKT0_S9_ifPKiSB_SB_iPKfiiiPfSE_PS4_PT2_iSD_SD_
    .private_segment_fixed_size: 0
    .sgpr_count:     38
    .sgpr_spill_count: 0
    .symbol:         _Z39paged_attention_ll4mi_QKV_mfma16_kernelI14__hip_bfloat16hLN4vllm18Fp8KVCacheDataTypeE1ES0_Li32ELi128ELi256ELb0ELi4EL8MFMAType1EEvPKT_PKT0_S9_ifPKiSB_SB_iPKfiiiPfSE_PS4_PT2_iSD_SD_.kd
    .uniform_work_group_size: 1
    .uses_dynamic_stack: false
    .vgpr_count:     140
    .vgpr_spill_count: 0
    .wavefront_size: 32
    .workgroup_processor_mode: 1
  - .args:
      - .actual_access:  read_only
        .address_space:  global
        .offset:         0
        .size:           8
        .value_kind:     global_buffer
      - .actual_access:  read_only
        .address_space:  global
        .offset:         8
        .size:           8
        .value_kind:     global_buffer
      - .actual_access:  read_only
        .address_space:  global
        .offset:         16
        .size:           8
        .value_kind:     global_buffer
      - .offset:         24
        .size:           4
        .value_kind:     by_value
      - .offset:         28
        .size:           4
        .value_kind:     by_value
      - .actual_access:  read_only
        .address_space:  global
        .offset:         32
        .size:           8
        .value_kind:     global_buffer
      - .actual_access:  read_only
        .address_space:  global
        .offset:         40
        .size:           8
        .value_kind:     global_buffer
      - .actual_access:  read_only
        .address_space:  global
        .offset:         48
        .size:           8
        .value_kind:     global_buffer
      - .offset:         56
        .size:           4
        .value_kind:     by_value
      - .actual_access:  read_only
        .address_space:  global
        .offset:         64
        .size:           8
        .value_kind:     global_buffer
      - .offset:         72
        .size:           4
        .value_kind:     by_value
      - .offset:         76
        .size:           4
        .value_kind:     by_value
      - .offset:         80
        .size:           4
        .value_kind:     by_value
      - .actual_access:  write_only
        .address_space:  global
        .offset:         88
        .size:           8
        .value_kind:     global_buffer
      - .actual_access:  write_only
        .address_space:  global
        .offset:         96
        .size:           8
        .value_kind:     global_buffer
      - .actual_access:  write_only
        .address_space:  global
        .offset:         104
        .size:           8
        .value_kind:     global_buffer
      - .actual_access:  read_only
        .address_space:  global
        .offset:         112
        .size:           8
        .value_kind:     global_buffer
      - .offset:         120
        .size:           4
        .value_kind:     by_value
      - .address_space:  global
        .offset:         128
        .size:           8
        .value_kind:     global_buffer
      - .address_space:  global
        .offset:         136
        .size:           8
        .value_kind:     global_buffer
      - .offset:         144
        .size:           4
        .value_kind:     hidden_block_count_x
      - .offset:         148
        .size:           4
        .value_kind:     hidden_block_count_y
      - .offset:         152
        .size:           4
        .value_kind:     hidden_block_count_z
      - .offset:         156
        .size:           2
        .value_kind:     hidden_group_size_x
      - .offset:         158
        .size:           2
        .value_kind:     hidden_group_size_y
      - .offset:         160
        .size:           2
        .value_kind:     hidden_group_size_z
      - .offset:         162
        .size:           2
        .value_kind:     hidden_remainder_x
      - .offset:         164
        .size:           2
        .value_kind:     hidden_remainder_y
      - .offset:         166
        .size:           2
        .value_kind:     hidden_remainder_z
      - .offset:         184
        .size:           8
        .value_kind:     hidden_global_offset_x
      - .offset:         192
        .size:           8
        .value_kind:     hidden_global_offset_y
      - .offset:         200
        .size:           8
        .value_kind:     hidden_global_offset_z
      - .offset:         208
        .size:           2
        .value_kind:     hidden_grid_dims
    .group_segment_fixed_size: 17472
    .kernarg_segment_align: 8
    .kernarg_segment_size: 400
    .language:       OpenCL C
    .language_version:
      - 2
      - 0
    .max_flat_workgroup_size: 256
    .name:           _Z39paged_attention_ll4mi_QKV_mfma16_kernelI14__hip_bfloat16hLN4vllm18Fp8KVCacheDataTypeE1EhLi16ELi64ELi256ELb1ELi5EL8MFMAType0EEvPKT_PKT0_S9_ifPKiSB_SB_iPKfiiiPfSE_PS4_PT2_iSD_SD_
    .private_segment_fixed_size: 0
    .sgpr_count:     42
    .sgpr_spill_count: 0
    .symbol:         _Z39paged_attention_ll4mi_QKV_mfma16_kernelI14__hip_bfloat16hLN4vllm18Fp8KVCacheDataTypeE1EhLi16ELi64ELi256ELb1ELi5EL8MFMAType0EEvPKT_PKT0_S9_ifPKiSB_SB_iPKfiiiPfSE_PS4_PT2_iSD_SD_.kd
    .uniform_work_group_size: 1
    .uses_dynamic_stack: false
    .vgpr_count:     124
    .vgpr_spill_count: 0
    .wavefront_size: 32
    .workgroup_processor_mode: 1
  - .args:
      - .actual_access:  read_only
        .address_space:  global
        .offset:         0
        .size:           8
        .value_kind:     global_buffer
      - .actual_access:  read_only
        .address_space:  global
        .offset:         8
        .size:           8
        .value_kind:     global_buffer
      - .actual_access:  read_only
        .address_space:  global
        .offset:         16
        .size:           8
        .value_kind:     global_buffer
      - .offset:         24
        .size:           4
        .value_kind:     by_value
      - .offset:         28
        .size:           4
        .value_kind:     by_value
      - .actual_access:  read_only
        .address_space:  global
        .offset:         32
        .size:           8
        .value_kind:     global_buffer
      - .actual_access:  read_only
        .address_space:  global
        .offset:         40
        .size:           8
        .value_kind:     global_buffer
      - .actual_access:  read_only
        .address_space:  global
        .offset:         48
        .size:           8
        .value_kind:     global_buffer
      - .offset:         56
        .size:           4
        .value_kind:     by_value
      - .actual_access:  read_only
        .address_space:  global
        .offset:         64
        .size:           8
        .value_kind:     global_buffer
      - .offset:         72
        .size:           4
        .value_kind:     by_value
      - .offset:         76
        .size:           4
        .value_kind:     by_value
      - .offset:         80
        .size:           4
        .value_kind:     by_value
      - .actual_access:  write_only
        .address_space:  global
        .offset:         88
        .size:           8
        .value_kind:     global_buffer
      - .actual_access:  write_only
        .address_space:  global
        .offset:         96
        .size:           8
        .value_kind:     global_buffer
      - .actual_access:  write_only
        .address_space:  global
        .offset:         104
        .size:           8
        .value_kind:     global_buffer
      - .actual_access:  read_only
        .address_space:  global
        .offset:         112
        .size:           8
        .value_kind:     global_buffer
      - .offset:         120
        .size:           4
        .value_kind:     by_value
      - .address_space:  global
        .offset:         128
        .size:           8
        .value_kind:     global_buffer
      - .address_space:  global
        .offset:         136
        .size:           8
        .value_kind:     global_buffer
      - .offset:         144
        .size:           4
        .value_kind:     hidden_block_count_x
      - .offset:         148
        .size:           4
        .value_kind:     hidden_block_count_y
      - .offset:         152
        .size:           4
        .value_kind:     hidden_block_count_z
      - .offset:         156
        .size:           2
        .value_kind:     hidden_group_size_x
      - .offset:         158
        .size:           2
        .value_kind:     hidden_group_size_y
      - .offset:         160
        .size:           2
        .value_kind:     hidden_group_size_z
      - .offset:         162
        .size:           2
        .value_kind:     hidden_remainder_x
      - .offset:         164
        .size:           2
        .value_kind:     hidden_remainder_y
      - .offset:         166
        .size:           2
        .value_kind:     hidden_remainder_z
      - .offset:         184
        .size:           8
        .value_kind:     hidden_global_offset_x
      - .offset:         192
        .size:           8
        .value_kind:     hidden_global_offset_y
      - .offset:         200
        .size:           8
        .value_kind:     hidden_global_offset_z
      - .offset:         208
        .size:           2
        .value_kind:     hidden_grid_dims
    .group_segment_fixed_size: 17472
    .kernarg_segment_align: 8
    .kernarg_segment_size: 400
    .language:       OpenCL C
    .language_version:
      - 2
      - 0
    .max_flat_workgroup_size: 256
    .name:           _Z39paged_attention_ll4mi_QKV_mfma16_kernelI14__hip_bfloat16hLN4vllm18Fp8KVCacheDataTypeE1EhLi16ELi64ELi256ELb1ELi6EL8MFMAType0EEvPKT_PKT0_S9_ifPKiSB_SB_iPKfiiiPfSE_PS4_PT2_iSD_SD_
    .private_segment_fixed_size: 0
    .sgpr_count:     40
    .sgpr_spill_count: 0
    .symbol:         _Z39paged_attention_ll4mi_QKV_mfma16_kernelI14__hip_bfloat16hLN4vllm18Fp8KVCacheDataTypeE1EhLi16ELi64ELi256ELb1ELi6EL8MFMAType0EEvPKT_PKT0_S9_ifPKiSB_SB_iPKfiiiPfSE_PS4_PT2_iSD_SD_.kd
    .uniform_work_group_size: 1
    .uses_dynamic_stack: false
    .vgpr_count:     124
    .vgpr_spill_count: 0
    .wavefront_size: 32
    .workgroup_processor_mode: 1
  - .args:
      - .actual_access:  read_only
        .address_space:  global
        .offset:         0
        .size:           8
        .value_kind:     global_buffer
      - .actual_access:  read_only
        .address_space:  global
        .offset:         8
        .size:           8
        .value_kind:     global_buffer
      - .actual_access:  read_only
        .address_space:  global
        .offset:         16
        .size:           8
        .value_kind:     global_buffer
      - .offset:         24
        .size:           4
        .value_kind:     by_value
      - .offset:         28
        .size:           4
        .value_kind:     by_value
      - .actual_access:  read_only
        .address_space:  global
        .offset:         32
        .size:           8
        .value_kind:     global_buffer
      - .actual_access:  read_only
        .address_space:  global
        .offset:         40
        .size:           8
        .value_kind:     global_buffer
      - .actual_access:  read_only
        .address_space:  global
        .offset:         48
        .size:           8
        .value_kind:     global_buffer
      - .offset:         56
        .size:           4
        .value_kind:     by_value
      - .actual_access:  read_only
        .address_space:  global
        .offset:         64
        .size:           8
        .value_kind:     global_buffer
      - .offset:         72
        .size:           4
        .value_kind:     by_value
      - .offset:         76
        .size:           4
        .value_kind:     by_value
      - .offset:         80
        .size:           4
        .value_kind:     by_value
      - .actual_access:  write_only
        .address_space:  global
        .offset:         88
        .size:           8
        .value_kind:     global_buffer
      - .actual_access:  write_only
        .address_space:  global
        .offset:         96
        .size:           8
        .value_kind:     global_buffer
      - .actual_access:  write_only
        .address_space:  global
        .offset:         104
        .size:           8
        .value_kind:     global_buffer
      - .actual_access:  read_only
        .address_space:  global
        .offset:         112
        .size:           8
        .value_kind:     global_buffer
      - .offset:         120
        .size:           4
        .value_kind:     by_value
      - .address_space:  global
        .offset:         128
        .size:           8
        .value_kind:     global_buffer
      - .address_space:  global
        .offset:         136
        .size:           8
        .value_kind:     global_buffer
      - .offset:         144
        .size:           4
        .value_kind:     hidden_block_count_x
      - .offset:         148
        .size:           4
        .value_kind:     hidden_block_count_y
      - .offset:         152
        .size:           4
        .value_kind:     hidden_block_count_z
      - .offset:         156
        .size:           2
        .value_kind:     hidden_group_size_x
      - .offset:         158
        .size:           2
        .value_kind:     hidden_group_size_y
      - .offset:         160
        .size:           2
        .value_kind:     hidden_group_size_z
      - .offset:         162
        .size:           2
        .value_kind:     hidden_remainder_x
      - .offset:         164
        .size:           2
        .value_kind:     hidden_remainder_y
      - .offset:         166
        .size:           2
        .value_kind:     hidden_remainder_z
      - .offset:         184
        .size:           8
        .value_kind:     hidden_global_offset_x
      - .offset:         192
        .size:           8
        .value_kind:     hidden_global_offset_y
      - .offset:         200
        .size:           8
        .value_kind:     hidden_global_offset_z
      - .offset:         208
        .size:           2
        .value_kind:     hidden_grid_dims
    .group_segment_fixed_size: 17472
    .kernarg_segment_align: 8
    .kernarg_segment_size: 400
    .language:       OpenCL C
    .language_version:
      - 2
      - 0
    .max_flat_workgroup_size: 256
    .name:           _Z39paged_attention_ll4mi_QKV_mfma16_kernelI14__hip_bfloat16hLN4vllm18Fp8KVCacheDataTypeE1EhLi16ELi64ELi256ELb1ELi7EL8MFMAType0EEvPKT_PKT0_S9_ifPKiSB_SB_iPKfiiiPfSE_PS4_PT2_iSD_SD_
    .private_segment_fixed_size: 0
    .sgpr_count:     42
    .sgpr_spill_count: 0
    .symbol:         _Z39paged_attention_ll4mi_QKV_mfma16_kernelI14__hip_bfloat16hLN4vllm18Fp8KVCacheDataTypeE1EhLi16ELi64ELi256ELb1ELi7EL8MFMAType0EEvPKT_PKT0_S9_ifPKiSB_SB_iPKfiiiPfSE_PS4_PT2_iSD_SD_.kd
    .uniform_work_group_size: 1
    .uses_dynamic_stack: false
    .vgpr_count:     124
    .vgpr_spill_count: 0
    .wavefront_size: 32
    .workgroup_processor_mode: 1
  - .args:
      - .actual_access:  read_only
        .address_space:  global
        .offset:         0
        .size:           8
        .value_kind:     global_buffer
      - .actual_access:  read_only
        .address_space:  global
        .offset:         8
        .size:           8
        .value_kind:     global_buffer
      - .actual_access:  read_only
        .address_space:  global
        .offset:         16
        .size:           8
        .value_kind:     global_buffer
      - .offset:         24
        .size:           4
        .value_kind:     by_value
      - .offset:         28
        .size:           4
        .value_kind:     by_value
      - .actual_access:  read_only
        .address_space:  global
        .offset:         32
        .size:           8
        .value_kind:     global_buffer
      - .actual_access:  read_only
        .address_space:  global
        .offset:         40
        .size:           8
        .value_kind:     global_buffer
      - .actual_access:  read_only
        .address_space:  global
        .offset:         48
        .size:           8
        .value_kind:     global_buffer
      - .offset:         56
        .size:           4
        .value_kind:     by_value
      - .actual_access:  read_only
        .address_space:  global
        .offset:         64
        .size:           8
        .value_kind:     global_buffer
      - .offset:         72
        .size:           4
        .value_kind:     by_value
      - .offset:         76
        .size:           4
        .value_kind:     by_value
      - .offset:         80
        .size:           4
        .value_kind:     by_value
      - .actual_access:  write_only
        .address_space:  global
        .offset:         88
        .size:           8
        .value_kind:     global_buffer
      - .actual_access:  write_only
        .address_space:  global
        .offset:         96
        .size:           8
        .value_kind:     global_buffer
      - .actual_access:  write_only
        .address_space:  global
        .offset:         104
        .size:           8
        .value_kind:     global_buffer
      - .actual_access:  read_only
        .address_space:  global
        .offset:         112
        .size:           8
        .value_kind:     global_buffer
      - .offset:         120
        .size:           4
        .value_kind:     by_value
      - .address_space:  global
        .offset:         128
        .size:           8
        .value_kind:     global_buffer
      - .address_space:  global
        .offset:         136
        .size:           8
        .value_kind:     global_buffer
      - .offset:         144
        .size:           4
        .value_kind:     hidden_block_count_x
      - .offset:         148
        .size:           4
        .value_kind:     hidden_block_count_y
      - .offset:         152
        .size:           4
        .value_kind:     hidden_block_count_z
      - .offset:         156
        .size:           2
        .value_kind:     hidden_group_size_x
      - .offset:         158
        .size:           2
        .value_kind:     hidden_group_size_y
      - .offset:         160
        .size:           2
        .value_kind:     hidden_group_size_z
      - .offset:         162
        .size:           2
        .value_kind:     hidden_remainder_x
      - .offset:         164
        .size:           2
        .value_kind:     hidden_remainder_y
      - .offset:         166
        .size:           2
        .value_kind:     hidden_remainder_z
      - .offset:         184
        .size:           8
        .value_kind:     hidden_global_offset_x
      - .offset:         192
        .size:           8
        .value_kind:     hidden_global_offset_y
      - .offset:         200
        .size:           8
        .value_kind:     hidden_global_offset_z
      - .offset:         208
        .size:           2
        .value_kind:     hidden_grid_dims
    .group_segment_fixed_size: 17472
    .kernarg_segment_align: 8
    .kernarg_segment_size: 400
    .language:       OpenCL C
    .language_version:
      - 2
      - 0
    .max_flat_workgroup_size: 256
    .name:           _Z39paged_attention_ll4mi_QKV_mfma16_kernelI14__hip_bfloat16hLN4vllm18Fp8KVCacheDataTypeE1EhLi16ELi64ELi256ELb1ELi8EL8MFMAType0EEvPKT_PKT0_S9_ifPKiSB_SB_iPKfiiiPfSE_PS4_PT2_iSD_SD_
    .private_segment_fixed_size: 0
    .sgpr_count:     40
    .sgpr_spill_count: 0
    .symbol:         _Z39paged_attention_ll4mi_QKV_mfma16_kernelI14__hip_bfloat16hLN4vllm18Fp8KVCacheDataTypeE1EhLi16ELi64ELi256ELb1ELi8EL8MFMAType0EEvPKT_PKT0_S9_ifPKiSB_SB_iPKfiiiPfSE_PS4_PT2_iSD_SD_.kd
    .uniform_work_group_size: 1
    .uses_dynamic_stack: false
    .vgpr_count:     124
    .vgpr_spill_count: 0
    .wavefront_size: 32
    .workgroup_processor_mode: 1
  - .args:
      - .actual_access:  read_only
        .address_space:  global
        .offset:         0
        .size:           8
        .value_kind:     global_buffer
      - .actual_access:  read_only
        .address_space:  global
        .offset:         8
        .size:           8
        .value_kind:     global_buffer
      - .actual_access:  read_only
        .address_space:  global
        .offset:         16
        .size:           8
        .value_kind:     global_buffer
      - .offset:         24
        .size:           4
        .value_kind:     by_value
      - .offset:         28
        .size:           4
        .value_kind:     by_value
      - .actual_access:  read_only
        .address_space:  global
        .offset:         32
        .size:           8
        .value_kind:     global_buffer
      - .actual_access:  read_only
        .address_space:  global
        .offset:         40
        .size:           8
        .value_kind:     global_buffer
      - .actual_access:  read_only
        .address_space:  global
        .offset:         48
        .size:           8
        .value_kind:     global_buffer
      - .offset:         56
        .size:           4
        .value_kind:     by_value
      - .actual_access:  read_only
        .address_space:  global
        .offset:         64
        .size:           8
        .value_kind:     global_buffer
      - .offset:         72
        .size:           4
        .value_kind:     by_value
      - .offset:         76
        .size:           4
        .value_kind:     by_value
      - .offset:         80
        .size:           4
        .value_kind:     by_value
      - .actual_access:  write_only
        .address_space:  global
        .offset:         88
        .size:           8
        .value_kind:     global_buffer
      - .actual_access:  write_only
        .address_space:  global
        .offset:         96
        .size:           8
        .value_kind:     global_buffer
      - .actual_access:  write_only
        .address_space:  global
        .offset:         104
        .size:           8
        .value_kind:     global_buffer
      - .actual_access:  read_only
        .address_space:  global
        .offset:         112
        .size:           8
        .value_kind:     global_buffer
      - .offset:         120
        .size:           4
        .value_kind:     by_value
      - .address_space:  global
        .offset:         128
        .size:           8
        .value_kind:     global_buffer
      - .address_space:  global
        .offset:         136
        .size:           8
        .value_kind:     global_buffer
      - .offset:         144
        .size:           4
        .value_kind:     hidden_block_count_x
      - .offset:         148
        .size:           4
        .value_kind:     hidden_block_count_y
      - .offset:         152
        .size:           4
        .value_kind:     hidden_block_count_z
      - .offset:         156
        .size:           2
        .value_kind:     hidden_group_size_x
      - .offset:         158
        .size:           2
        .value_kind:     hidden_group_size_y
      - .offset:         160
        .size:           2
        .value_kind:     hidden_group_size_z
      - .offset:         162
        .size:           2
        .value_kind:     hidden_remainder_x
      - .offset:         164
        .size:           2
        .value_kind:     hidden_remainder_y
      - .offset:         166
        .size:           2
        .value_kind:     hidden_remainder_z
      - .offset:         184
        .size:           8
        .value_kind:     hidden_global_offset_x
      - .offset:         192
        .size:           8
        .value_kind:     hidden_global_offset_y
      - .offset:         200
        .size:           8
        .value_kind:     hidden_global_offset_z
      - .offset:         208
        .size:           2
        .value_kind:     hidden_grid_dims
    .group_segment_fixed_size: 17472
    .kernarg_segment_align: 8
    .kernarg_segment_size: 400
    .language:       OpenCL C
    .language_version:
      - 2
      - 0
    .max_flat_workgroup_size: 256
    .name:           _Z39paged_attention_ll4mi_QKV_mfma16_kernelI14__hip_bfloat16hLN4vllm18Fp8KVCacheDataTypeE1EhLi16ELi64ELi256ELb1ELi9EL8MFMAType0EEvPKT_PKT0_S9_ifPKiSB_SB_iPKfiiiPfSE_PS4_PT2_iSD_SD_
    .private_segment_fixed_size: 0
    .sgpr_count:     42
    .sgpr_spill_count: 0
    .symbol:         _Z39paged_attention_ll4mi_QKV_mfma16_kernelI14__hip_bfloat16hLN4vllm18Fp8KVCacheDataTypeE1EhLi16ELi64ELi256ELb1ELi9EL8MFMAType0EEvPKT_PKT0_S9_ifPKiSB_SB_iPKfiiiPfSE_PS4_PT2_iSD_SD_.kd
    .uniform_work_group_size: 1
    .uses_dynamic_stack: false
    .vgpr_count:     124
    .vgpr_spill_count: 0
    .wavefront_size: 32
    .workgroup_processor_mode: 1
  - .args:
      - .actual_access:  read_only
        .address_space:  global
        .offset:         0
        .size:           8
        .value_kind:     global_buffer
      - .actual_access:  read_only
        .address_space:  global
        .offset:         8
        .size:           8
        .value_kind:     global_buffer
      - .actual_access:  read_only
        .address_space:  global
        .offset:         16
        .size:           8
        .value_kind:     global_buffer
      - .offset:         24
        .size:           4
        .value_kind:     by_value
      - .offset:         28
        .size:           4
        .value_kind:     by_value
      - .actual_access:  read_only
        .address_space:  global
        .offset:         32
        .size:           8
        .value_kind:     global_buffer
      - .actual_access:  read_only
        .address_space:  global
        .offset:         40
        .size:           8
        .value_kind:     global_buffer
      - .actual_access:  read_only
        .address_space:  global
        .offset:         48
        .size:           8
        .value_kind:     global_buffer
      - .offset:         56
        .size:           4
        .value_kind:     by_value
      - .actual_access:  read_only
        .address_space:  global
        .offset:         64
        .size:           8
        .value_kind:     global_buffer
      - .offset:         72
        .size:           4
        .value_kind:     by_value
      - .offset:         76
        .size:           4
        .value_kind:     by_value
      - .offset:         80
        .size:           4
        .value_kind:     by_value
      - .actual_access:  write_only
        .address_space:  global
        .offset:         88
        .size:           8
        .value_kind:     global_buffer
      - .actual_access:  write_only
        .address_space:  global
        .offset:         96
        .size:           8
        .value_kind:     global_buffer
      - .actual_access:  write_only
        .address_space:  global
        .offset:         104
        .size:           8
        .value_kind:     global_buffer
      - .actual_access:  read_only
        .address_space:  global
        .offset:         112
        .size:           8
        .value_kind:     global_buffer
      - .offset:         120
        .size:           4
        .value_kind:     by_value
      - .address_space:  global
        .offset:         128
        .size:           8
        .value_kind:     global_buffer
      - .address_space:  global
        .offset:         136
        .size:           8
        .value_kind:     global_buffer
      - .offset:         144
        .size:           4
        .value_kind:     hidden_block_count_x
      - .offset:         148
        .size:           4
        .value_kind:     hidden_block_count_y
      - .offset:         152
        .size:           4
        .value_kind:     hidden_block_count_z
      - .offset:         156
        .size:           2
        .value_kind:     hidden_group_size_x
      - .offset:         158
        .size:           2
        .value_kind:     hidden_group_size_y
      - .offset:         160
        .size:           2
        .value_kind:     hidden_group_size_z
      - .offset:         162
        .size:           2
        .value_kind:     hidden_remainder_x
      - .offset:         164
        .size:           2
        .value_kind:     hidden_remainder_y
      - .offset:         166
        .size:           2
        .value_kind:     hidden_remainder_z
      - .offset:         184
        .size:           8
        .value_kind:     hidden_global_offset_x
      - .offset:         192
        .size:           8
        .value_kind:     hidden_global_offset_y
      - .offset:         200
        .size:           8
        .value_kind:     hidden_global_offset_z
      - .offset:         208
        .size:           2
        .value_kind:     hidden_grid_dims
    .group_segment_fixed_size: 17472
    .kernarg_segment_align: 8
    .kernarg_segment_size: 400
    .language:       OpenCL C
    .language_version:
      - 2
      - 0
    .max_flat_workgroup_size: 256
    .name:           _Z39paged_attention_ll4mi_QKV_mfma16_kernelI14__hip_bfloat16hLN4vllm18Fp8KVCacheDataTypeE1EhLi16ELi64ELi256ELb1ELi10EL8MFMAType0EEvPKT_PKT0_S9_ifPKiSB_SB_iPKfiiiPfSE_PS4_PT2_iSD_SD_
    .private_segment_fixed_size: 0
    .sgpr_count:     40
    .sgpr_spill_count: 0
    .symbol:         _Z39paged_attention_ll4mi_QKV_mfma16_kernelI14__hip_bfloat16hLN4vllm18Fp8KVCacheDataTypeE1EhLi16ELi64ELi256ELb1ELi10EL8MFMAType0EEvPKT_PKT0_S9_ifPKiSB_SB_iPKfiiiPfSE_PS4_PT2_iSD_SD_.kd
    .uniform_work_group_size: 1
    .uses_dynamic_stack: false
    .vgpr_count:     124
    .vgpr_spill_count: 0
    .wavefront_size: 32
    .workgroup_processor_mode: 1
  - .args:
      - .actual_access:  read_only
        .address_space:  global
        .offset:         0
        .size:           8
        .value_kind:     global_buffer
      - .actual_access:  read_only
        .address_space:  global
        .offset:         8
        .size:           8
        .value_kind:     global_buffer
      - .actual_access:  read_only
        .address_space:  global
        .offset:         16
        .size:           8
        .value_kind:     global_buffer
      - .offset:         24
        .size:           4
        .value_kind:     by_value
      - .offset:         28
        .size:           4
        .value_kind:     by_value
      - .actual_access:  read_only
        .address_space:  global
        .offset:         32
        .size:           8
        .value_kind:     global_buffer
      - .actual_access:  read_only
        .address_space:  global
        .offset:         40
        .size:           8
        .value_kind:     global_buffer
      - .actual_access:  read_only
        .address_space:  global
        .offset:         48
        .size:           8
        .value_kind:     global_buffer
      - .offset:         56
        .size:           4
        .value_kind:     by_value
      - .actual_access:  read_only
        .address_space:  global
        .offset:         64
        .size:           8
        .value_kind:     global_buffer
      - .offset:         72
        .size:           4
        .value_kind:     by_value
      - .offset:         76
        .size:           4
        .value_kind:     by_value
      - .offset:         80
        .size:           4
        .value_kind:     by_value
      - .actual_access:  write_only
        .address_space:  global
        .offset:         88
        .size:           8
        .value_kind:     global_buffer
      - .actual_access:  write_only
        .address_space:  global
        .offset:         96
        .size:           8
        .value_kind:     global_buffer
      - .actual_access:  write_only
        .address_space:  global
        .offset:         104
        .size:           8
        .value_kind:     global_buffer
      - .actual_access:  read_only
        .address_space:  global
        .offset:         112
        .size:           8
        .value_kind:     global_buffer
      - .offset:         120
        .size:           4
        .value_kind:     by_value
      - .address_space:  global
        .offset:         128
        .size:           8
        .value_kind:     global_buffer
      - .address_space:  global
        .offset:         136
        .size:           8
        .value_kind:     global_buffer
      - .offset:         144
        .size:           4
        .value_kind:     hidden_block_count_x
      - .offset:         148
        .size:           4
        .value_kind:     hidden_block_count_y
      - .offset:         152
        .size:           4
        .value_kind:     hidden_block_count_z
      - .offset:         156
        .size:           2
        .value_kind:     hidden_group_size_x
      - .offset:         158
        .size:           2
        .value_kind:     hidden_group_size_y
      - .offset:         160
        .size:           2
        .value_kind:     hidden_group_size_z
      - .offset:         162
        .size:           2
        .value_kind:     hidden_remainder_x
      - .offset:         164
        .size:           2
        .value_kind:     hidden_remainder_y
      - .offset:         166
        .size:           2
        .value_kind:     hidden_remainder_z
      - .offset:         184
        .size:           8
        .value_kind:     hidden_global_offset_x
      - .offset:         192
        .size:           8
        .value_kind:     hidden_global_offset_y
      - .offset:         200
        .size:           8
        .value_kind:     hidden_global_offset_z
      - .offset:         208
        .size:           2
        .value_kind:     hidden_grid_dims
    .group_segment_fixed_size: 17472
    .kernarg_segment_align: 8
    .kernarg_segment_size: 400
    .language:       OpenCL C
    .language_version:
      - 2
      - 0
    .max_flat_workgroup_size: 256
    .name:           _Z39paged_attention_ll4mi_QKV_mfma16_kernelI14__hip_bfloat16hLN4vllm18Fp8KVCacheDataTypeE1EhLi16ELi64ELi256ELb1ELi11EL8MFMAType0EEvPKT_PKT0_S9_ifPKiSB_SB_iPKfiiiPfSE_PS4_PT2_iSD_SD_
    .private_segment_fixed_size: 0
    .sgpr_count:     42
    .sgpr_spill_count: 0
    .symbol:         _Z39paged_attention_ll4mi_QKV_mfma16_kernelI14__hip_bfloat16hLN4vllm18Fp8KVCacheDataTypeE1EhLi16ELi64ELi256ELb1ELi11EL8MFMAType0EEvPKT_PKT0_S9_ifPKiSB_SB_iPKfiiiPfSE_PS4_PT2_iSD_SD_.kd
    .uniform_work_group_size: 1
    .uses_dynamic_stack: false
    .vgpr_count:     124
    .vgpr_spill_count: 0
    .wavefront_size: 32
    .workgroup_processor_mode: 1
  - .args:
      - .actual_access:  read_only
        .address_space:  global
        .offset:         0
        .size:           8
        .value_kind:     global_buffer
      - .actual_access:  read_only
        .address_space:  global
        .offset:         8
        .size:           8
        .value_kind:     global_buffer
      - .actual_access:  read_only
        .address_space:  global
        .offset:         16
        .size:           8
        .value_kind:     global_buffer
      - .offset:         24
        .size:           4
        .value_kind:     by_value
      - .offset:         28
        .size:           4
        .value_kind:     by_value
      - .actual_access:  read_only
        .address_space:  global
        .offset:         32
        .size:           8
        .value_kind:     global_buffer
      - .actual_access:  read_only
        .address_space:  global
        .offset:         40
        .size:           8
        .value_kind:     global_buffer
      - .actual_access:  read_only
        .address_space:  global
        .offset:         48
        .size:           8
        .value_kind:     global_buffer
      - .offset:         56
        .size:           4
        .value_kind:     by_value
      - .actual_access:  read_only
        .address_space:  global
        .offset:         64
        .size:           8
        .value_kind:     global_buffer
      - .offset:         72
        .size:           4
        .value_kind:     by_value
      - .offset:         76
        .size:           4
        .value_kind:     by_value
      - .offset:         80
        .size:           4
        .value_kind:     by_value
      - .actual_access:  write_only
        .address_space:  global
        .offset:         88
        .size:           8
        .value_kind:     global_buffer
      - .actual_access:  write_only
        .address_space:  global
        .offset:         96
        .size:           8
        .value_kind:     global_buffer
      - .actual_access:  write_only
        .address_space:  global
        .offset:         104
        .size:           8
        .value_kind:     global_buffer
      - .actual_access:  read_only
        .address_space:  global
        .offset:         112
        .size:           8
        .value_kind:     global_buffer
      - .offset:         120
        .size:           4
        .value_kind:     by_value
      - .address_space:  global
        .offset:         128
        .size:           8
        .value_kind:     global_buffer
      - .address_space:  global
        .offset:         136
        .size:           8
        .value_kind:     global_buffer
      - .offset:         144
        .size:           4
        .value_kind:     hidden_block_count_x
      - .offset:         148
        .size:           4
        .value_kind:     hidden_block_count_y
      - .offset:         152
        .size:           4
        .value_kind:     hidden_block_count_z
      - .offset:         156
        .size:           2
        .value_kind:     hidden_group_size_x
      - .offset:         158
        .size:           2
        .value_kind:     hidden_group_size_y
      - .offset:         160
        .size:           2
        .value_kind:     hidden_group_size_z
      - .offset:         162
        .size:           2
        .value_kind:     hidden_remainder_x
      - .offset:         164
        .size:           2
        .value_kind:     hidden_remainder_y
      - .offset:         166
        .size:           2
        .value_kind:     hidden_remainder_z
      - .offset:         184
        .size:           8
        .value_kind:     hidden_global_offset_x
      - .offset:         192
        .size:           8
        .value_kind:     hidden_global_offset_y
      - .offset:         200
        .size:           8
        .value_kind:     hidden_global_offset_z
      - .offset:         208
        .size:           2
        .value_kind:     hidden_grid_dims
    .group_segment_fixed_size: 17472
    .kernarg_segment_align: 8
    .kernarg_segment_size: 400
    .language:       OpenCL C
    .language_version:
      - 2
      - 0
    .max_flat_workgroup_size: 256
    .name:           _Z39paged_attention_ll4mi_QKV_mfma16_kernelI14__hip_bfloat16hLN4vllm18Fp8KVCacheDataTypeE1EhLi16ELi64ELi256ELb1ELi12EL8MFMAType0EEvPKT_PKT0_S9_ifPKiSB_SB_iPKfiiiPfSE_PS4_PT2_iSD_SD_
    .private_segment_fixed_size: 0
    .sgpr_count:     40
    .sgpr_spill_count: 0
    .symbol:         _Z39paged_attention_ll4mi_QKV_mfma16_kernelI14__hip_bfloat16hLN4vllm18Fp8KVCacheDataTypeE1EhLi16ELi64ELi256ELb1ELi12EL8MFMAType0EEvPKT_PKT0_S9_ifPKiSB_SB_iPKfiiiPfSE_PS4_PT2_iSD_SD_.kd
    .uniform_work_group_size: 1
    .uses_dynamic_stack: false
    .vgpr_count:     124
    .vgpr_spill_count: 0
    .wavefront_size: 32
    .workgroup_processor_mode: 1
  - .args:
      - .actual_access:  read_only
        .address_space:  global
        .offset:         0
        .size:           8
        .value_kind:     global_buffer
      - .actual_access:  read_only
        .address_space:  global
        .offset:         8
        .size:           8
        .value_kind:     global_buffer
      - .actual_access:  read_only
        .address_space:  global
        .offset:         16
        .size:           8
        .value_kind:     global_buffer
      - .offset:         24
        .size:           4
        .value_kind:     by_value
      - .offset:         28
        .size:           4
        .value_kind:     by_value
      - .actual_access:  read_only
        .address_space:  global
        .offset:         32
        .size:           8
        .value_kind:     global_buffer
      - .actual_access:  read_only
        .address_space:  global
        .offset:         40
        .size:           8
        .value_kind:     global_buffer
      - .actual_access:  read_only
        .address_space:  global
        .offset:         48
        .size:           8
        .value_kind:     global_buffer
      - .offset:         56
        .size:           4
        .value_kind:     by_value
      - .actual_access:  read_only
        .address_space:  global
        .offset:         64
        .size:           8
        .value_kind:     global_buffer
      - .offset:         72
        .size:           4
        .value_kind:     by_value
      - .offset:         76
        .size:           4
        .value_kind:     by_value
      - .offset:         80
        .size:           4
        .value_kind:     by_value
      - .actual_access:  write_only
        .address_space:  global
        .offset:         88
        .size:           8
        .value_kind:     global_buffer
      - .actual_access:  write_only
        .address_space:  global
        .offset:         96
        .size:           8
        .value_kind:     global_buffer
      - .actual_access:  write_only
        .address_space:  global
        .offset:         104
        .size:           8
        .value_kind:     global_buffer
      - .actual_access:  read_only
        .address_space:  global
        .offset:         112
        .size:           8
        .value_kind:     global_buffer
      - .offset:         120
        .size:           4
        .value_kind:     by_value
      - .address_space:  global
        .offset:         128
        .size:           8
        .value_kind:     global_buffer
      - .address_space:  global
        .offset:         136
        .size:           8
        .value_kind:     global_buffer
      - .offset:         144
        .size:           4
        .value_kind:     hidden_block_count_x
      - .offset:         148
        .size:           4
        .value_kind:     hidden_block_count_y
      - .offset:         152
        .size:           4
        .value_kind:     hidden_block_count_z
      - .offset:         156
        .size:           2
        .value_kind:     hidden_group_size_x
      - .offset:         158
        .size:           2
        .value_kind:     hidden_group_size_y
      - .offset:         160
        .size:           2
        .value_kind:     hidden_group_size_z
      - .offset:         162
        .size:           2
        .value_kind:     hidden_remainder_x
      - .offset:         164
        .size:           2
        .value_kind:     hidden_remainder_y
      - .offset:         166
        .size:           2
        .value_kind:     hidden_remainder_z
      - .offset:         184
        .size:           8
        .value_kind:     hidden_global_offset_x
      - .offset:         192
        .size:           8
        .value_kind:     hidden_global_offset_y
      - .offset:         200
        .size:           8
        .value_kind:     hidden_global_offset_z
      - .offset:         208
        .size:           2
        .value_kind:     hidden_grid_dims
    .group_segment_fixed_size: 17472
    .kernarg_segment_align: 8
    .kernarg_segment_size: 400
    .language:       OpenCL C
    .language_version:
      - 2
      - 0
    .max_flat_workgroup_size: 256
    .name:           _Z39paged_attention_ll4mi_QKV_mfma16_kernelI14__hip_bfloat16hLN4vllm18Fp8KVCacheDataTypeE1EhLi16ELi64ELi256ELb1ELi13EL8MFMAType0EEvPKT_PKT0_S9_ifPKiSB_SB_iPKfiiiPfSE_PS4_PT2_iSD_SD_
    .private_segment_fixed_size: 0
    .sgpr_count:     42
    .sgpr_spill_count: 0
    .symbol:         _Z39paged_attention_ll4mi_QKV_mfma16_kernelI14__hip_bfloat16hLN4vllm18Fp8KVCacheDataTypeE1EhLi16ELi64ELi256ELb1ELi13EL8MFMAType0EEvPKT_PKT0_S9_ifPKiSB_SB_iPKfiiiPfSE_PS4_PT2_iSD_SD_.kd
    .uniform_work_group_size: 1
    .uses_dynamic_stack: false
    .vgpr_count:     124
    .vgpr_spill_count: 0
    .wavefront_size: 32
    .workgroup_processor_mode: 1
  - .args:
      - .actual_access:  read_only
        .address_space:  global
        .offset:         0
        .size:           8
        .value_kind:     global_buffer
      - .actual_access:  read_only
        .address_space:  global
        .offset:         8
        .size:           8
        .value_kind:     global_buffer
      - .actual_access:  read_only
        .address_space:  global
        .offset:         16
        .size:           8
        .value_kind:     global_buffer
      - .offset:         24
        .size:           4
        .value_kind:     by_value
      - .offset:         28
        .size:           4
        .value_kind:     by_value
      - .actual_access:  read_only
        .address_space:  global
        .offset:         32
        .size:           8
        .value_kind:     global_buffer
      - .actual_access:  read_only
        .address_space:  global
        .offset:         40
        .size:           8
        .value_kind:     global_buffer
      - .actual_access:  read_only
        .address_space:  global
        .offset:         48
        .size:           8
        .value_kind:     global_buffer
      - .offset:         56
        .size:           4
        .value_kind:     by_value
      - .actual_access:  read_only
        .address_space:  global
        .offset:         64
        .size:           8
        .value_kind:     global_buffer
      - .offset:         72
        .size:           4
        .value_kind:     by_value
      - .offset:         76
        .size:           4
        .value_kind:     by_value
      - .offset:         80
        .size:           4
        .value_kind:     by_value
      - .actual_access:  write_only
        .address_space:  global
        .offset:         88
        .size:           8
        .value_kind:     global_buffer
      - .actual_access:  write_only
        .address_space:  global
        .offset:         96
        .size:           8
        .value_kind:     global_buffer
      - .actual_access:  write_only
        .address_space:  global
        .offset:         104
        .size:           8
        .value_kind:     global_buffer
      - .actual_access:  read_only
        .address_space:  global
        .offset:         112
        .size:           8
        .value_kind:     global_buffer
      - .offset:         120
        .size:           4
        .value_kind:     by_value
      - .address_space:  global
        .offset:         128
        .size:           8
        .value_kind:     global_buffer
      - .address_space:  global
        .offset:         136
        .size:           8
        .value_kind:     global_buffer
      - .offset:         144
        .size:           4
        .value_kind:     hidden_block_count_x
      - .offset:         148
        .size:           4
        .value_kind:     hidden_block_count_y
      - .offset:         152
        .size:           4
        .value_kind:     hidden_block_count_z
      - .offset:         156
        .size:           2
        .value_kind:     hidden_group_size_x
      - .offset:         158
        .size:           2
        .value_kind:     hidden_group_size_y
      - .offset:         160
        .size:           2
        .value_kind:     hidden_group_size_z
      - .offset:         162
        .size:           2
        .value_kind:     hidden_remainder_x
      - .offset:         164
        .size:           2
        .value_kind:     hidden_remainder_y
      - .offset:         166
        .size:           2
        .value_kind:     hidden_remainder_z
      - .offset:         184
        .size:           8
        .value_kind:     hidden_global_offset_x
      - .offset:         192
        .size:           8
        .value_kind:     hidden_global_offset_y
      - .offset:         200
        .size:           8
        .value_kind:     hidden_global_offset_z
      - .offset:         208
        .size:           2
        .value_kind:     hidden_grid_dims
    .group_segment_fixed_size: 17472
    .kernarg_segment_align: 8
    .kernarg_segment_size: 400
    .language:       OpenCL C
    .language_version:
      - 2
      - 0
    .max_flat_workgroup_size: 256
    .name:           _Z39paged_attention_ll4mi_QKV_mfma16_kernelI14__hip_bfloat16hLN4vllm18Fp8KVCacheDataTypeE1EhLi16ELi64ELi256ELb1ELi14EL8MFMAType0EEvPKT_PKT0_S9_ifPKiSB_SB_iPKfiiiPfSE_PS4_PT2_iSD_SD_
    .private_segment_fixed_size: 0
    .sgpr_count:     40
    .sgpr_spill_count: 0
    .symbol:         _Z39paged_attention_ll4mi_QKV_mfma16_kernelI14__hip_bfloat16hLN4vllm18Fp8KVCacheDataTypeE1EhLi16ELi64ELi256ELb1ELi14EL8MFMAType0EEvPKT_PKT0_S9_ifPKiSB_SB_iPKfiiiPfSE_PS4_PT2_iSD_SD_.kd
    .uniform_work_group_size: 1
    .uses_dynamic_stack: false
    .vgpr_count:     124
    .vgpr_spill_count: 0
    .wavefront_size: 32
    .workgroup_processor_mode: 1
  - .args:
      - .actual_access:  read_only
        .address_space:  global
        .offset:         0
        .size:           8
        .value_kind:     global_buffer
      - .actual_access:  read_only
        .address_space:  global
        .offset:         8
        .size:           8
        .value_kind:     global_buffer
      - .actual_access:  read_only
        .address_space:  global
        .offset:         16
        .size:           8
        .value_kind:     global_buffer
      - .offset:         24
        .size:           4
        .value_kind:     by_value
      - .offset:         28
        .size:           4
        .value_kind:     by_value
      - .actual_access:  read_only
        .address_space:  global
        .offset:         32
        .size:           8
        .value_kind:     global_buffer
      - .actual_access:  read_only
        .address_space:  global
        .offset:         40
        .size:           8
        .value_kind:     global_buffer
      - .actual_access:  read_only
        .address_space:  global
        .offset:         48
        .size:           8
        .value_kind:     global_buffer
      - .offset:         56
        .size:           4
        .value_kind:     by_value
      - .actual_access:  read_only
        .address_space:  global
        .offset:         64
        .size:           8
        .value_kind:     global_buffer
      - .offset:         72
        .size:           4
        .value_kind:     by_value
      - .offset:         76
        .size:           4
        .value_kind:     by_value
      - .offset:         80
        .size:           4
        .value_kind:     by_value
      - .actual_access:  write_only
        .address_space:  global
        .offset:         88
        .size:           8
        .value_kind:     global_buffer
      - .actual_access:  write_only
        .address_space:  global
        .offset:         96
        .size:           8
        .value_kind:     global_buffer
      - .actual_access:  write_only
        .address_space:  global
        .offset:         104
        .size:           8
        .value_kind:     global_buffer
      - .actual_access:  read_only
        .address_space:  global
        .offset:         112
        .size:           8
        .value_kind:     global_buffer
      - .offset:         120
        .size:           4
        .value_kind:     by_value
      - .address_space:  global
        .offset:         128
        .size:           8
        .value_kind:     global_buffer
      - .address_space:  global
        .offset:         136
        .size:           8
        .value_kind:     global_buffer
      - .offset:         144
        .size:           4
        .value_kind:     hidden_block_count_x
      - .offset:         148
        .size:           4
        .value_kind:     hidden_block_count_y
      - .offset:         152
        .size:           4
        .value_kind:     hidden_block_count_z
      - .offset:         156
        .size:           2
        .value_kind:     hidden_group_size_x
      - .offset:         158
        .size:           2
        .value_kind:     hidden_group_size_y
      - .offset:         160
        .size:           2
        .value_kind:     hidden_group_size_z
      - .offset:         162
        .size:           2
        .value_kind:     hidden_remainder_x
      - .offset:         164
        .size:           2
        .value_kind:     hidden_remainder_y
      - .offset:         166
        .size:           2
        .value_kind:     hidden_remainder_z
      - .offset:         184
        .size:           8
        .value_kind:     hidden_global_offset_x
      - .offset:         192
        .size:           8
        .value_kind:     hidden_global_offset_y
      - .offset:         200
        .size:           8
        .value_kind:     hidden_global_offset_z
      - .offset:         208
        .size:           2
        .value_kind:     hidden_grid_dims
    .group_segment_fixed_size: 17472
    .kernarg_segment_align: 8
    .kernarg_segment_size: 400
    .language:       OpenCL C
    .language_version:
      - 2
      - 0
    .max_flat_workgroup_size: 256
    .name:           _Z39paged_attention_ll4mi_QKV_mfma16_kernelI14__hip_bfloat16hLN4vllm18Fp8KVCacheDataTypeE1EhLi16ELi64ELi256ELb1ELi15EL8MFMAType0EEvPKT_PKT0_S9_ifPKiSB_SB_iPKfiiiPfSE_PS4_PT2_iSD_SD_
    .private_segment_fixed_size: 0
    .sgpr_count:     42
    .sgpr_spill_count: 0
    .symbol:         _Z39paged_attention_ll4mi_QKV_mfma16_kernelI14__hip_bfloat16hLN4vllm18Fp8KVCacheDataTypeE1EhLi16ELi64ELi256ELb1ELi15EL8MFMAType0EEvPKT_PKT0_S9_ifPKiSB_SB_iPKfiiiPfSE_PS4_PT2_iSD_SD_.kd
    .uniform_work_group_size: 1
    .uses_dynamic_stack: false
    .vgpr_count:     124
    .vgpr_spill_count: 0
    .wavefront_size: 32
    .workgroup_processor_mode: 1
  - .args:
      - .actual_access:  read_only
        .address_space:  global
        .offset:         0
        .size:           8
        .value_kind:     global_buffer
      - .actual_access:  read_only
        .address_space:  global
        .offset:         8
        .size:           8
        .value_kind:     global_buffer
      - .actual_access:  read_only
        .address_space:  global
        .offset:         16
        .size:           8
        .value_kind:     global_buffer
      - .offset:         24
        .size:           4
        .value_kind:     by_value
      - .offset:         28
        .size:           4
        .value_kind:     by_value
      - .actual_access:  read_only
        .address_space:  global
        .offset:         32
        .size:           8
        .value_kind:     global_buffer
      - .actual_access:  read_only
        .address_space:  global
        .offset:         40
        .size:           8
        .value_kind:     global_buffer
      - .actual_access:  read_only
        .address_space:  global
        .offset:         48
        .size:           8
        .value_kind:     global_buffer
      - .offset:         56
        .size:           4
        .value_kind:     by_value
      - .actual_access:  read_only
        .address_space:  global
        .offset:         64
        .size:           8
        .value_kind:     global_buffer
      - .offset:         72
        .size:           4
        .value_kind:     by_value
      - .offset:         76
        .size:           4
        .value_kind:     by_value
      - .offset:         80
        .size:           4
        .value_kind:     by_value
      - .actual_access:  write_only
        .address_space:  global
        .offset:         88
        .size:           8
        .value_kind:     global_buffer
      - .actual_access:  write_only
        .address_space:  global
        .offset:         96
        .size:           8
        .value_kind:     global_buffer
      - .actual_access:  write_only
        .address_space:  global
        .offset:         104
        .size:           8
        .value_kind:     global_buffer
      - .actual_access:  read_only
        .address_space:  global
        .offset:         112
        .size:           8
        .value_kind:     global_buffer
      - .offset:         120
        .size:           4
        .value_kind:     by_value
      - .address_space:  global
        .offset:         128
        .size:           8
        .value_kind:     global_buffer
      - .address_space:  global
        .offset:         136
        .size:           8
        .value_kind:     global_buffer
      - .offset:         144
        .size:           4
        .value_kind:     hidden_block_count_x
      - .offset:         148
        .size:           4
        .value_kind:     hidden_block_count_y
      - .offset:         152
        .size:           4
        .value_kind:     hidden_block_count_z
      - .offset:         156
        .size:           2
        .value_kind:     hidden_group_size_x
      - .offset:         158
        .size:           2
        .value_kind:     hidden_group_size_y
      - .offset:         160
        .size:           2
        .value_kind:     hidden_group_size_z
      - .offset:         162
        .size:           2
        .value_kind:     hidden_remainder_x
      - .offset:         164
        .size:           2
        .value_kind:     hidden_remainder_y
      - .offset:         166
        .size:           2
        .value_kind:     hidden_remainder_z
      - .offset:         184
        .size:           8
        .value_kind:     hidden_global_offset_x
      - .offset:         192
        .size:           8
        .value_kind:     hidden_global_offset_y
      - .offset:         200
        .size:           8
        .value_kind:     hidden_global_offset_z
      - .offset:         208
        .size:           2
        .value_kind:     hidden_grid_dims
    .group_segment_fixed_size: 17472
    .kernarg_segment_align: 8
    .kernarg_segment_size: 400
    .language:       OpenCL C
    .language_version:
      - 2
      - 0
    .max_flat_workgroup_size: 256
    .name:           _Z39paged_attention_ll4mi_QKV_mfma16_kernelI14__hip_bfloat16hLN4vllm18Fp8KVCacheDataTypeE1EhLi16ELi64ELi256ELb1ELi16EL8MFMAType0EEvPKT_PKT0_S9_ifPKiSB_SB_iPKfiiiPfSE_PS4_PT2_iSD_SD_
    .private_segment_fixed_size: 0
    .sgpr_count:     40
    .sgpr_spill_count: 0
    .symbol:         _Z39paged_attention_ll4mi_QKV_mfma16_kernelI14__hip_bfloat16hLN4vllm18Fp8KVCacheDataTypeE1EhLi16ELi64ELi256ELb1ELi16EL8MFMAType0EEvPKT_PKT0_S9_ifPKiSB_SB_iPKfiiiPfSE_PS4_PT2_iSD_SD_.kd
    .uniform_work_group_size: 1
    .uses_dynamic_stack: false
    .vgpr_count:     125
    .vgpr_spill_count: 0
    .wavefront_size: 32
    .workgroup_processor_mode: 1
  - .args:
      - .actual_access:  read_only
        .address_space:  global
        .offset:         0
        .size:           8
        .value_kind:     global_buffer
      - .actual_access:  read_only
        .address_space:  global
        .offset:         8
        .size:           8
        .value_kind:     global_buffer
      - .actual_access:  read_only
        .address_space:  global
        .offset:         16
        .size:           8
        .value_kind:     global_buffer
      - .offset:         24
        .size:           4
        .value_kind:     by_value
      - .offset:         28
        .size:           4
        .value_kind:     by_value
      - .actual_access:  read_only
        .address_space:  global
        .offset:         32
        .size:           8
        .value_kind:     global_buffer
      - .actual_access:  read_only
        .address_space:  global
        .offset:         40
        .size:           8
        .value_kind:     global_buffer
      - .actual_access:  read_only
        .address_space:  global
        .offset:         48
        .size:           8
        .value_kind:     global_buffer
      - .offset:         56
        .size:           4
        .value_kind:     by_value
      - .actual_access:  read_only
        .address_space:  global
        .offset:         64
        .size:           8
        .value_kind:     global_buffer
      - .offset:         72
        .size:           4
        .value_kind:     by_value
      - .offset:         76
        .size:           4
        .value_kind:     by_value
      - .offset:         80
        .size:           4
        .value_kind:     by_value
      - .actual_access:  write_only
        .address_space:  global
        .offset:         88
        .size:           8
        .value_kind:     global_buffer
      - .actual_access:  write_only
        .address_space:  global
        .offset:         96
        .size:           8
        .value_kind:     global_buffer
      - .actual_access:  write_only
        .address_space:  global
        .offset:         104
        .size:           8
        .value_kind:     global_buffer
      - .actual_access:  read_only
        .address_space:  global
        .offset:         112
        .size:           8
        .value_kind:     global_buffer
      - .offset:         120
        .size:           4
        .value_kind:     by_value
      - .address_space:  global
        .offset:         128
        .size:           8
        .value_kind:     global_buffer
      - .address_space:  global
        .offset:         136
        .size:           8
        .value_kind:     global_buffer
      - .offset:         144
        .size:           4
        .value_kind:     hidden_block_count_x
      - .offset:         148
        .size:           4
        .value_kind:     hidden_block_count_y
      - .offset:         152
        .size:           4
        .value_kind:     hidden_block_count_z
      - .offset:         156
        .size:           2
        .value_kind:     hidden_group_size_x
      - .offset:         158
        .size:           2
        .value_kind:     hidden_group_size_y
      - .offset:         160
        .size:           2
        .value_kind:     hidden_group_size_z
      - .offset:         162
        .size:           2
        .value_kind:     hidden_remainder_x
      - .offset:         164
        .size:           2
        .value_kind:     hidden_remainder_y
      - .offset:         166
        .size:           2
        .value_kind:     hidden_remainder_z
      - .offset:         184
        .size:           8
        .value_kind:     hidden_global_offset_x
      - .offset:         192
        .size:           8
        .value_kind:     hidden_global_offset_y
      - .offset:         200
        .size:           8
        .value_kind:     hidden_global_offset_z
      - .offset:         208
        .size:           2
        .value_kind:     hidden_grid_dims
    .group_segment_fixed_size: 17472
    .kernarg_segment_align: 8
    .kernarg_segment_size: 400
    .language:       OpenCL C
    .language_version:
      - 2
      - 0
    .max_flat_workgroup_size: 256
    .name:           _Z39paged_attention_ll4mi_QKV_mfma16_kernelI14__hip_bfloat16hLN4vllm18Fp8KVCacheDataTypeE1EhLi16ELi64ELi256ELb1ELi1EL8MFMAType0EEvPKT_PKT0_S9_ifPKiSB_SB_iPKfiiiPfSE_PS4_PT2_iSD_SD_
    .private_segment_fixed_size: 0
    .sgpr_count:     50
    .sgpr_spill_count: 0
    .symbol:         _Z39paged_attention_ll4mi_QKV_mfma16_kernelI14__hip_bfloat16hLN4vllm18Fp8KVCacheDataTypeE1EhLi16ELi64ELi256ELb1ELi1EL8MFMAType0EEvPKT_PKT0_S9_ifPKiSB_SB_iPKfiiiPfSE_PS4_PT2_iSD_SD_.kd
    .uniform_work_group_size: 1
    .uses_dynamic_stack: false
    .vgpr_count:     131
    .vgpr_spill_count: 0
    .wavefront_size: 32
    .workgroup_processor_mode: 1
  - .args:
      - .actual_access:  read_only
        .address_space:  global
        .offset:         0
        .size:           8
        .value_kind:     global_buffer
      - .actual_access:  read_only
        .address_space:  global
        .offset:         8
        .size:           8
        .value_kind:     global_buffer
      - .actual_access:  read_only
        .address_space:  global
        .offset:         16
        .size:           8
        .value_kind:     global_buffer
      - .offset:         24
        .size:           4
        .value_kind:     by_value
      - .offset:         28
        .size:           4
        .value_kind:     by_value
      - .actual_access:  read_only
        .address_space:  global
        .offset:         32
        .size:           8
        .value_kind:     global_buffer
      - .actual_access:  read_only
        .address_space:  global
        .offset:         40
        .size:           8
        .value_kind:     global_buffer
      - .actual_access:  read_only
        .address_space:  global
        .offset:         48
        .size:           8
        .value_kind:     global_buffer
      - .offset:         56
        .size:           4
        .value_kind:     by_value
      - .actual_access:  read_only
        .address_space:  global
        .offset:         64
        .size:           8
        .value_kind:     global_buffer
      - .offset:         72
        .size:           4
        .value_kind:     by_value
      - .offset:         76
        .size:           4
        .value_kind:     by_value
      - .offset:         80
        .size:           4
        .value_kind:     by_value
      - .actual_access:  write_only
        .address_space:  global
        .offset:         88
        .size:           8
        .value_kind:     global_buffer
      - .actual_access:  write_only
        .address_space:  global
        .offset:         96
        .size:           8
        .value_kind:     global_buffer
      - .actual_access:  write_only
        .address_space:  global
        .offset:         104
        .size:           8
        .value_kind:     global_buffer
      - .actual_access:  read_only
        .address_space:  global
        .offset:         112
        .size:           8
        .value_kind:     global_buffer
      - .offset:         120
        .size:           4
        .value_kind:     by_value
      - .address_space:  global
        .offset:         128
        .size:           8
        .value_kind:     global_buffer
      - .address_space:  global
        .offset:         136
        .size:           8
        .value_kind:     global_buffer
      - .offset:         144
        .size:           4
        .value_kind:     hidden_block_count_x
      - .offset:         148
        .size:           4
        .value_kind:     hidden_block_count_y
      - .offset:         152
        .size:           4
        .value_kind:     hidden_block_count_z
      - .offset:         156
        .size:           2
        .value_kind:     hidden_group_size_x
      - .offset:         158
        .size:           2
        .value_kind:     hidden_group_size_y
      - .offset:         160
        .size:           2
        .value_kind:     hidden_group_size_z
      - .offset:         162
        .size:           2
        .value_kind:     hidden_remainder_x
      - .offset:         164
        .size:           2
        .value_kind:     hidden_remainder_y
      - .offset:         166
        .size:           2
        .value_kind:     hidden_remainder_z
      - .offset:         184
        .size:           8
        .value_kind:     hidden_global_offset_x
      - .offset:         192
        .size:           8
        .value_kind:     hidden_global_offset_y
      - .offset:         200
        .size:           8
        .value_kind:     hidden_global_offset_z
      - .offset:         208
        .size:           2
        .value_kind:     hidden_grid_dims
    .group_segment_fixed_size: 17472
    .kernarg_segment_align: 8
    .kernarg_segment_size: 400
    .language:       OpenCL C
    .language_version:
      - 2
      - 0
    .max_flat_workgroup_size: 256
    .name:           _Z39paged_attention_ll4mi_QKV_mfma16_kernelI14__hip_bfloat16hLN4vllm18Fp8KVCacheDataTypeE1EhLi16ELi64ELi256ELb1ELi2EL8MFMAType0EEvPKT_PKT0_S9_ifPKiSB_SB_iPKfiiiPfSE_PS4_PT2_iSD_SD_
    .private_segment_fixed_size: 0
    .sgpr_count:     40
    .sgpr_spill_count: 0
    .symbol:         _Z39paged_attention_ll4mi_QKV_mfma16_kernelI14__hip_bfloat16hLN4vllm18Fp8KVCacheDataTypeE1EhLi16ELi64ELi256ELb1ELi2EL8MFMAType0EEvPKT_PKT0_S9_ifPKiSB_SB_iPKfiiiPfSE_PS4_PT2_iSD_SD_.kd
    .uniform_work_group_size: 1
    .uses_dynamic_stack: false
    .vgpr_count:     125
    .vgpr_spill_count: 0
    .wavefront_size: 32
    .workgroup_processor_mode: 1
  - .args:
      - .actual_access:  read_only
        .address_space:  global
        .offset:         0
        .size:           8
        .value_kind:     global_buffer
      - .actual_access:  read_only
        .address_space:  global
        .offset:         8
        .size:           8
        .value_kind:     global_buffer
      - .actual_access:  read_only
        .address_space:  global
        .offset:         16
        .size:           8
        .value_kind:     global_buffer
      - .offset:         24
        .size:           4
        .value_kind:     by_value
      - .offset:         28
        .size:           4
        .value_kind:     by_value
      - .actual_access:  read_only
        .address_space:  global
        .offset:         32
        .size:           8
        .value_kind:     global_buffer
      - .actual_access:  read_only
        .address_space:  global
        .offset:         40
        .size:           8
        .value_kind:     global_buffer
      - .actual_access:  read_only
        .address_space:  global
        .offset:         48
        .size:           8
        .value_kind:     global_buffer
      - .offset:         56
        .size:           4
        .value_kind:     by_value
      - .actual_access:  read_only
        .address_space:  global
        .offset:         64
        .size:           8
        .value_kind:     global_buffer
      - .offset:         72
        .size:           4
        .value_kind:     by_value
      - .offset:         76
        .size:           4
        .value_kind:     by_value
      - .offset:         80
        .size:           4
        .value_kind:     by_value
      - .actual_access:  write_only
        .address_space:  global
        .offset:         88
        .size:           8
        .value_kind:     global_buffer
      - .actual_access:  write_only
        .address_space:  global
        .offset:         96
        .size:           8
        .value_kind:     global_buffer
      - .actual_access:  write_only
        .address_space:  global
        .offset:         104
        .size:           8
        .value_kind:     global_buffer
      - .actual_access:  read_only
        .address_space:  global
        .offset:         112
        .size:           8
        .value_kind:     global_buffer
      - .offset:         120
        .size:           4
        .value_kind:     by_value
      - .address_space:  global
        .offset:         128
        .size:           8
        .value_kind:     global_buffer
      - .address_space:  global
        .offset:         136
        .size:           8
        .value_kind:     global_buffer
      - .offset:         144
        .size:           4
        .value_kind:     hidden_block_count_x
      - .offset:         148
        .size:           4
        .value_kind:     hidden_block_count_y
      - .offset:         152
        .size:           4
        .value_kind:     hidden_block_count_z
      - .offset:         156
        .size:           2
        .value_kind:     hidden_group_size_x
      - .offset:         158
        .size:           2
        .value_kind:     hidden_group_size_y
      - .offset:         160
        .size:           2
        .value_kind:     hidden_group_size_z
      - .offset:         162
        .size:           2
        .value_kind:     hidden_remainder_x
      - .offset:         164
        .size:           2
        .value_kind:     hidden_remainder_y
      - .offset:         166
        .size:           2
        .value_kind:     hidden_remainder_z
      - .offset:         184
        .size:           8
        .value_kind:     hidden_global_offset_x
      - .offset:         192
        .size:           8
        .value_kind:     hidden_global_offset_y
      - .offset:         200
        .size:           8
        .value_kind:     hidden_global_offset_z
      - .offset:         208
        .size:           2
        .value_kind:     hidden_grid_dims
    .group_segment_fixed_size: 17472
    .kernarg_segment_align: 8
    .kernarg_segment_size: 400
    .language:       OpenCL C
    .language_version:
      - 2
      - 0
    .max_flat_workgroup_size: 256
    .name:           _Z39paged_attention_ll4mi_QKV_mfma16_kernelI14__hip_bfloat16hLN4vllm18Fp8KVCacheDataTypeE1EhLi16ELi64ELi256ELb1ELi3EL8MFMAType0EEvPKT_PKT0_S9_ifPKiSB_SB_iPKfiiiPfSE_PS4_PT2_iSD_SD_
    .private_segment_fixed_size: 0
    .sgpr_count:     42
    .sgpr_spill_count: 0
    .symbol:         _Z39paged_attention_ll4mi_QKV_mfma16_kernelI14__hip_bfloat16hLN4vllm18Fp8KVCacheDataTypeE1EhLi16ELi64ELi256ELb1ELi3EL8MFMAType0EEvPKT_PKT0_S9_ifPKiSB_SB_iPKfiiiPfSE_PS4_PT2_iSD_SD_.kd
    .uniform_work_group_size: 1
    .uses_dynamic_stack: false
    .vgpr_count:     124
    .vgpr_spill_count: 0
    .wavefront_size: 32
    .workgroup_processor_mode: 1
  - .args:
      - .actual_access:  read_only
        .address_space:  global
        .offset:         0
        .size:           8
        .value_kind:     global_buffer
      - .actual_access:  read_only
        .address_space:  global
        .offset:         8
        .size:           8
        .value_kind:     global_buffer
      - .actual_access:  read_only
        .address_space:  global
        .offset:         16
        .size:           8
        .value_kind:     global_buffer
      - .offset:         24
        .size:           4
        .value_kind:     by_value
      - .offset:         28
        .size:           4
        .value_kind:     by_value
      - .actual_access:  read_only
        .address_space:  global
        .offset:         32
        .size:           8
        .value_kind:     global_buffer
      - .actual_access:  read_only
        .address_space:  global
        .offset:         40
        .size:           8
        .value_kind:     global_buffer
      - .actual_access:  read_only
        .address_space:  global
        .offset:         48
        .size:           8
        .value_kind:     global_buffer
      - .offset:         56
        .size:           4
        .value_kind:     by_value
      - .actual_access:  read_only
        .address_space:  global
        .offset:         64
        .size:           8
        .value_kind:     global_buffer
      - .offset:         72
        .size:           4
        .value_kind:     by_value
      - .offset:         76
        .size:           4
        .value_kind:     by_value
      - .offset:         80
        .size:           4
        .value_kind:     by_value
      - .actual_access:  write_only
        .address_space:  global
        .offset:         88
        .size:           8
        .value_kind:     global_buffer
      - .actual_access:  write_only
        .address_space:  global
        .offset:         96
        .size:           8
        .value_kind:     global_buffer
      - .actual_access:  write_only
        .address_space:  global
        .offset:         104
        .size:           8
        .value_kind:     global_buffer
      - .actual_access:  read_only
        .address_space:  global
        .offset:         112
        .size:           8
        .value_kind:     global_buffer
      - .offset:         120
        .size:           4
        .value_kind:     by_value
      - .address_space:  global
        .offset:         128
        .size:           8
        .value_kind:     global_buffer
      - .address_space:  global
        .offset:         136
        .size:           8
        .value_kind:     global_buffer
      - .offset:         144
        .size:           4
        .value_kind:     hidden_block_count_x
      - .offset:         148
        .size:           4
        .value_kind:     hidden_block_count_y
      - .offset:         152
        .size:           4
        .value_kind:     hidden_block_count_z
      - .offset:         156
        .size:           2
        .value_kind:     hidden_group_size_x
      - .offset:         158
        .size:           2
        .value_kind:     hidden_group_size_y
      - .offset:         160
        .size:           2
        .value_kind:     hidden_group_size_z
      - .offset:         162
        .size:           2
        .value_kind:     hidden_remainder_x
      - .offset:         164
        .size:           2
        .value_kind:     hidden_remainder_y
      - .offset:         166
        .size:           2
        .value_kind:     hidden_remainder_z
      - .offset:         184
        .size:           8
        .value_kind:     hidden_global_offset_x
      - .offset:         192
        .size:           8
        .value_kind:     hidden_global_offset_y
      - .offset:         200
        .size:           8
        .value_kind:     hidden_global_offset_z
      - .offset:         208
        .size:           2
        .value_kind:     hidden_grid_dims
    .group_segment_fixed_size: 17472
    .kernarg_segment_align: 8
    .kernarg_segment_size: 400
    .language:       OpenCL C
    .language_version:
      - 2
      - 0
    .max_flat_workgroup_size: 256
    .name:           _Z39paged_attention_ll4mi_QKV_mfma16_kernelI14__hip_bfloat16hLN4vllm18Fp8KVCacheDataTypeE1EhLi16ELi64ELi256ELb1ELi4EL8MFMAType0EEvPKT_PKT0_S9_ifPKiSB_SB_iPKfiiiPfSE_PS4_PT2_iSD_SD_
    .private_segment_fixed_size: 0
    .sgpr_count:     40
    .sgpr_spill_count: 0
    .symbol:         _Z39paged_attention_ll4mi_QKV_mfma16_kernelI14__hip_bfloat16hLN4vllm18Fp8KVCacheDataTypeE1EhLi16ELi64ELi256ELb1ELi4EL8MFMAType0EEvPKT_PKT0_S9_ifPKiSB_SB_iPKfiiiPfSE_PS4_PT2_iSD_SD_.kd
    .uniform_work_group_size: 1
    .uses_dynamic_stack: false
    .vgpr_count:     124
    .vgpr_spill_count: 0
    .wavefront_size: 32
    .workgroup_processor_mode: 1
  - .args:
      - .actual_access:  read_only
        .address_space:  global
        .offset:         0
        .size:           8
        .value_kind:     global_buffer
      - .actual_access:  read_only
        .address_space:  global
        .offset:         8
        .size:           8
        .value_kind:     global_buffer
      - .actual_access:  read_only
        .address_space:  global
        .offset:         16
        .size:           8
        .value_kind:     global_buffer
      - .offset:         24
        .size:           4
        .value_kind:     by_value
      - .offset:         28
        .size:           4
        .value_kind:     by_value
      - .actual_access:  read_only
        .address_space:  global
        .offset:         32
        .size:           8
        .value_kind:     global_buffer
      - .actual_access:  read_only
        .address_space:  global
        .offset:         40
        .size:           8
        .value_kind:     global_buffer
      - .actual_access:  read_only
        .address_space:  global
        .offset:         48
        .size:           8
        .value_kind:     global_buffer
      - .offset:         56
        .size:           4
        .value_kind:     by_value
      - .actual_access:  read_only
        .address_space:  global
        .offset:         64
        .size:           8
        .value_kind:     global_buffer
      - .offset:         72
        .size:           4
        .value_kind:     by_value
      - .offset:         76
        .size:           4
        .value_kind:     by_value
      - .offset:         80
        .size:           4
        .value_kind:     by_value
      - .actual_access:  write_only
        .address_space:  global
        .offset:         88
        .size:           8
        .value_kind:     global_buffer
      - .actual_access:  write_only
        .address_space:  global
        .offset:         96
        .size:           8
        .value_kind:     global_buffer
      - .actual_access:  write_only
        .address_space:  global
        .offset:         104
        .size:           8
        .value_kind:     global_buffer
      - .actual_access:  read_only
        .address_space:  global
        .offset:         112
        .size:           8
        .value_kind:     global_buffer
      - .offset:         120
        .size:           4
        .value_kind:     by_value
      - .address_space:  global
        .offset:         128
        .size:           8
        .value_kind:     global_buffer
      - .address_space:  global
        .offset:         136
        .size:           8
        .value_kind:     global_buffer
      - .offset:         144
        .size:           4
        .value_kind:     hidden_block_count_x
      - .offset:         148
        .size:           4
        .value_kind:     hidden_block_count_y
      - .offset:         152
        .size:           4
        .value_kind:     hidden_block_count_z
      - .offset:         156
        .size:           2
        .value_kind:     hidden_group_size_x
      - .offset:         158
        .size:           2
        .value_kind:     hidden_group_size_y
      - .offset:         160
        .size:           2
        .value_kind:     hidden_group_size_z
      - .offset:         162
        .size:           2
        .value_kind:     hidden_remainder_x
      - .offset:         164
        .size:           2
        .value_kind:     hidden_remainder_y
      - .offset:         166
        .size:           2
        .value_kind:     hidden_remainder_z
      - .offset:         184
        .size:           8
        .value_kind:     hidden_global_offset_x
      - .offset:         192
        .size:           8
        .value_kind:     hidden_global_offset_y
      - .offset:         200
        .size:           8
        .value_kind:     hidden_global_offset_z
      - .offset:         208
        .size:           2
        .value_kind:     hidden_grid_dims
    .group_segment_fixed_size: 17472
    .kernarg_segment_align: 8
    .kernarg_segment_size: 400
    .language:       OpenCL C
    .language_version:
      - 2
      - 0
    .max_flat_workgroup_size: 256
    .name:           _Z39paged_attention_ll4mi_QKV_mfma16_kernelI14__hip_bfloat16hLN4vllm18Fp8KVCacheDataTypeE1EhLi16ELi64ELi256ELb0ELi5EL8MFMAType0EEvPKT_PKT0_S9_ifPKiSB_SB_iPKfiiiPfSE_PS4_PT2_iSD_SD_
    .private_segment_fixed_size: 0
    .sgpr_count:     42
    .sgpr_spill_count: 0
    .symbol:         _Z39paged_attention_ll4mi_QKV_mfma16_kernelI14__hip_bfloat16hLN4vllm18Fp8KVCacheDataTypeE1EhLi16ELi64ELi256ELb0ELi5EL8MFMAType0EEvPKT_PKT0_S9_ifPKiSB_SB_iPKfiiiPfSE_PS4_PT2_iSD_SD_.kd
    .uniform_work_group_size: 1
    .uses_dynamic_stack: false
    .vgpr_count:     124
    .vgpr_spill_count: 0
    .wavefront_size: 32
    .workgroup_processor_mode: 1
  - .args:
      - .actual_access:  read_only
        .address_space:  global
        .offset:         0
        .size:           8
        .value_kind:     global_buffer
      - .actual_access:  read_only
        .address_space:  global
        .offset:         8
        .size:           8
        .value_kind:     global_buffer
      - .actual_access:  read_only
        .address_space:  global
        .offset:         16
        .size:           8
        .value_kind:     global_buffer
      - .offset:         24
        .size:           4
        .value_kind:     by_value
      - .offset:         28
        .size:           4
        .value_kind:     by_value
      - .actual_access:  read_only
        .address_space:  global
        .offset:         32
        .size:           8
        .value_kind:     global_buffer
      - .actual_access:  read_only
        .address_space:  global
        .offset:         40
        .size:           8
        .value_kind:     global_buffer
      - .actual_access:  read_only
        .address_space:  global
        .offset:         48
        .size:           8
        .value_kind:     global_buffer
      - .offset:         56
        .size:           4
        .value_kind:     by_value
      - .actual_access:  read_only
        .address_space:  global
        .offset:         64
        .size:           8
        .value_kind:     global_buffer
      - .offset:         72
        .size:           4
        .value_kind:     by_value
      - .offset:         76
        .size:           4
        .value_kind:     by_value
      - .offset:         80
        .size:           4
        .value_kind:     by_value
      - .actual_access:  write_only
        .address_space:  global
        .offset:         88
        .size:           8
        .value_kind:     global_buffer
      - .actual_access:  write_only
        .address_space:  global
        .offset:         96
        .size:           8
        .value_kind:     global_buffer
      - .actual_access:  write_only
        .address_space:  global
        .offset:         104
        .size:           8
        .value_kind:     global_buffer
      - .actual_access:  read_only
        .address_space:  global
        .offset:         112
        .size:           8
        .value_kind:     global_buffer
      - .offset:         120
        .size:           4
        .value_kind:     by_value
      - .address_space:  global
        .offset:         128
        .size:           8
        .value_kind:     global_buffer
      - .address_space:  global
        .offset:         136
        .size:           8
        .value_kind:     global_buffer
      - .offset:         144
        .size:           4
        .value_kind:     hidden_block_count_x
      - .offset:         148
        .size:           4
        .value_kind:     hidden_block_count_y
      - .offset:         152
        .size:           4
        .value_kind:     hidden_block_count_z
      - .offset:         156
        .size:           2
        .value_kind:     hidden_group_size_x
      - .offset:         158
        .size:           2
        .value_kind:     hidden_group_size_y
      - .offset:         160
        .size:           2
        .value_kind:     hidden_group_size_z
      - .offset:         162
        .size:           2
        .value_kind:     hidden_remainder_x
      - .offset:         164
        .size:           2
        .value_kind:     hidden_remainder_y
      - .offset:         166
        .size:           2
        .value_kind:     hidden_remainder_z
      - .offset:         184
        .size:           8
        .value_kind:     hidden_global_offset_x
      - .offset:         192
        .size:           8
        .value_kind:     hidden_global_offset_y
      - .offset:         200
        .size:           8
        .value_kind:     hidden_global_offset_z
      - .offset:         208
        .size:           2
        .value_kind:     hidden_grid_dims
    .group_segment_fixed_size: 17472
    .kernarg_segment_align: 8
    .kernarg_segment_size: 400
    .language:       OpenCL C
    .language_version:
      - 2
      - 0
    .max_flat_workgroup_size: 256
    .name:           _Z39paged_attention_ll4mi_QKV_mfma16_kernelI14__hip_bfloat16hLN4vllm18Fp8KVCacheDataTypeE1EhLi16ELi64ELi256ELb0ELi6EL8MFMAType0EEvPKT_PKT0_S9_ifPKiSB_SB_iPKfiiiPfSE_PS4_PT2_iSD_SD_
    .private_segment_fixed_size: 0
    .sgpr_count:     40
    .sgpr_spill_count: 0
    .symbol:         _Z39paged_attention_ll4mi_QKV_mfma16_kernelI14__hip_bfloat16hLN4vllm18Fp8KVCacheDataTypeE1EhLi16ELi64ELi256ELb0ELi6EL8MFMAType0EEvPKT_PKT0_S9_ifPKiSB_SB_iPKfiiiPfSE_PS4_PT2_iSD_SD_.kd
    .uniform_work_group_size: 1
    .uses_dynamic_stack: false
    .vgpr_count:     124
    .vgpr_spill_count: 0
    .wavefront_size: 32
    .workgroup_processor_mode: 1
  - .args:
      - .actual_access:  read_only
        .address_space:  global
        .offset:         0
        .size:           8
        .value_kind:     global_buffer
      - .actual_access:  read_only
        .address_space:  global
        .offset:         8
        .size:           8
        .value_kind:     global_buffer
      - .actual_access:  read_only
        .address_space:  global
        .offset:         16
        .size:           8
        .value_kind:     global_buffer
      - .offset:         24
        .size:           4
        .value_kind:     by_value
      - .offset:         28
        .size:           4
        .value_kind:     by_value
      - .actual_access:  read_only
        .address_space:  global
        .offset:         32
        .size:           8
        .value_kind:     global_buffer
      - .actual_access:  read_only
        .address_space:  global
        .offset:         40
        .size:           8
        .value_kind:     global_buffer
      - .actual_access:  read_only
        .address_space:  global
        .offset:         48
        .size:           8
        .value_kind:     global_buffer
      - .offset:         56
        .size:           4
        .value_kind:     by_value
      - .actual_access:  read_only
        .address_space:  global
        .offset:         64
        .size:           8
        .value_kind:     global_buffer
      - .offset:         72
        .size:           4
        .value_kind:     by_value
      - .offset:         76
        .size:           4
        .value_kind:     by_value
      - .offset:         80
        .size:           4
        .value_kind:     by_value
      - .actual_access:  write_only
        .address_space:  global
        .offset:         88
        .size:           8
        .value_kind:     global_buffer
      - .actual_access:  write_only
        .address_space:  global
        .offset:         96
        .size:           8
        .value_kind:     global_buffer
      - .actual_access:  write_only
        .address_space:  global
        .offset:         104
        .size:           8
        .value_kind:     global_buffer
      - .actual_access:  read_only
        .address_space:  global
        .offset:         112
        .size:           8
        .value_kind:     global_buffer
      - .offset:         120
        .size:           4
        .value_kind:     by_value
      - .address_space:  global
        .offset:         128
        .size:           8
        .value_kind:     global_buffer
      - .address_space:  global
        .offset:         136
        .size:           8
        .value_kind:     global_buffer
      - .offset:         144
        .size:           4
        .value_kind:     hidden_block_count_x
      - .offset:         148
        .size:           4
        .value_kind:     hidden_block_count_y
      - .offset:         152
        .size:           4
        .value_kind:     hidden_block_count_z
      - .offset:         156
        .size:           2
        .value_kind:     hidden_group_size_x
      - .offset:         158
        .size:           2
        .value_kind:     hidden_group_size_y
      - .offset:         160
        .size:           2
        .value_kind:     hidden_group_size_z
      - .offset:         162
        .size:           2
        .value_kind:     hidden_remainder_x
      - .offset:         164
        .size:           2
        .value_kind:     hidden_remainder_y
      - .offset:         166
        .size:           2
        .value_kind:     hidden_remainder_z
      - .offset:         184
        .size:           8
        .value_kind:     hidden_global_offset_x
      - .offset:         192
        .size:           8
        .value_kind:     hidden_global_offset_y
      - .offset:         200
        .size:           8
        .value_kind:     hidden_global_offset_z
      - .offset:         208
        .size:           2
        .value_kind:     hidden_grid_dims
    .group_segment_fixed_size: 17472
    .kernarg_segment_align: 8
    .kernarg_segment_size: 400
    .language:       OpenCL C
    .language_version:
      - 2
      - 0
    .max_flat_workgroup_size: 256
    .name:           _Z39paged_attention_ll4mi_QKV_mfma16_kernelI14__hip_bfloat16hLN4vllm18Fp8KVCacheDataTypeE1EhLi16ELi64ELi256ELb0ELi7EL8MFMAType0EEvPKT_PKT0_S9_ifPKiSB_SB_iPKfiiiPfSE_PS4_PT2_iSD_SD_
    .private_segment_fixed_size: 0
    .sgpr_count:     42
    .sgpr_spill_count: 0
    .symbol:         _Z39paged_attention_ll4mi_QKV_mfma16_kernelI14__hip_bfloat16hLN4vllm18Fp8KVCacheDataTypeE1EhLi16ELi64ELi256ELb0ELi7EL8MFMAType0EEvPKT_PKT0_S9_ifPKiSB_SB_iPKfiiiPfSE_PS4_PT2_iSD_SD_.kd
    .uniform_work_group_size: 1
    .uses_dynamic_stack: false
    .vgpr_count:     124
    .vgpr_spill_count: 0
    .wavefront_size: 32
    .workgroup_processor_mode: 1
  - .args:
      - .actual_access:  read_only
        .address_space:  global
        .offset:         0
        .size:           8
        .value_kind:     global_buffer
      - .actual_access:  read_only
        .address_space:  global
        .offset:         8
        .size:           8
        .value_kind:     global_buffer
      - .actual_access:  read_only
        .address_space:  global
        .offset:         16
        .size:           8
        .value_kind:     global_buffer
      - .offset:         24
        .size:           4
        .value_kind:     by_value
      - .offset:         28
        .size:           4
        .value_kind:     by_value
      - .actual_access:  read_only
        .address_space:  global
        .offset:         32
        .size:           8
        .value_kind:     global_buffer
      - .actual_access:  read_only
        .address_space:  global
        .offset:         40
        .size:           8
        .value_kind:     global_buffer
      - .actual_access:  read_only
        .address_space:  global
        .offset:         48
        .size:           8
        .value_kind:     global_buffer
      - .offset:         56
        .size:           4
        .value_kind:     by_value
      - .actual_access:  read_only
        .address_space:  global
        .offset:         64
        .size:           8
        .value_kind:     global_buffer
      - .offset:         72
        .size:           4
        .value_kind:     by_value
      - .offset:         76
        .size:           4
        .value_kind:     by_value
      - .offset:         80
        .size:           4
        .value_kind:     by_value
      - .actual_access:  write_only
        .address_space:  global
        .offset:         88
        .size:           8
        .value_kind:     global_buffer
      - .actual_access:  write_only
        .address_space:  global
        .offset:         96
        .size:           8
        .value_kind:     global_buffer
      - .actual_access:  write_only
        .address_space:  global
        .offset:         104
        .size:           8
        .value_kind:     global_buffer
      - .actual_access:  read_only
        .address_space:  global
        .offset:         112
        .size:           8
        .value_kind:     global_buffer
      - .offset:         120
        .size:           4
        .value_kind:     by_value
      - .address_space:  global
        .offset:         128
        .size:           8
        .value_kind:     global_buffer
      - .address_space:  global
        .offset:         136
        .size:           8
        .value_kind:     global_buffer
      - .offset:         144
        .size:           4
        .value_kind:     hidden_block_count_x
      - .offset:         148
        .size:           4
        .value_kind:     hidden_block_count_y
      - .offset:         152
        .size:           4
        .value_kind:     hidden_block_count_z
      - .offset:         156
        .size:           2
        .value_kind:     hidden_group_size_x
      - .offset:         158
        .size:           2
        .value_kind:     hidden_group_size_y
      - .offset:         160
        .size:           2
        .value_kind:     hidden_group_size_z
      - .offset:         162
        .size:           2
        .value_kind:     hidden_remainder_x
      - .offset:         164
        .size:           2
        .value_kind:     hidden_remainder_y
      - .offset:         166
        .size:           2
        .value_kind:     hidden_remainder_z
      - .offset:         184
        .size:           8
        .value_kind:     hidden_global_offset_x
      - .offset:         192
        .size:           8
        .value_kind:     hidden_global_offset_y
      - .offset:         200
        .size:           8
        .value_kind:     hidden_global_offset_z
      - .offset:         208
        .size:           2
        .value_kind:     hidden_grid_dims
    .group_segment_fixed_size: 17472
    .kernarg_segment_align: 8
    .kernarg_segment_size: 400
    .language:       OpenCL C
    .language_version:
      - 2
      - 0
    .max_flat_workgroup_size: 256
    .name:           _Z39paged_attention_ll4mi_QKV_mfma16_kernelI14__hip_bfloat16hLN4vllm18Fp8KVCacheDataTypeE1EhLi16ELi64ELi256ELb0ELi8EL8MFMAType0EEvPKT_PKT0_S9_ifPKiSB_SB_iPKfiiiPfSE_PS4_PT2_iSD_SD_
    .private_segment_fixed_size: 0
    .sgpr_count:     40
    .sgpr_spill_count: 0
    .symbol:         _Z39paged_attention_ll4mi_QKV_mfma16_kernelI14__hip_bfloat16hLN4vllm18Fp8KVCacheDataTypeE1EhLi16ELi64ELi256ELb0ELi8EL8MFMAType0EEvPKT_PKT0_S9_ifPKiSB_SB_iPKfiiiPfSE_PS4_PT2_iSD_SD_.kd
    .uniform_work_group_size: 1
    .uses_dynamic_stack: false
    .vgpr_count:     124
    .vgpr_spill_count: 0
    .wavefront_size: 32
    .workgroup_processor_mode: 1
  - .args:
      - .actual_access:  read_only
        .address_space:  global
        .offset:         0
        .size:           8
        .value_kind:     global_buffer
      - .actual_access:  read_only
        .address_space:  global
        .offset:         8
        .size:           8
        .value_kind:     global_buffer
      - .actual_access:  read_only
        .address_space:  global
        .offset:         16
        .size:           8
        .value_kind:     global_buffer
      - .offset:         24
        .size:           4
        .value_kind:     by_value
      - .offset:         28
        .size:           4
        .value_kind:     by_value
      - .actual_access:  read_only
        .address_space:  global
        .offset:         32
        .size:           8
        .value_kind:     global_buffer
      - .actual_access:  read_only
        .address_space:  global
        .offset:         40
        .size:           8
        .value_kind:     global_buffer
      - .actual_access:  read_only
        .address_space:  global
        .offset:         48
        .size:           8
        .value_kind:     global_buffer
      - .offset:         56
        .size:           4
        .value_kind:     by_value
      - .actual_access:  read_only
        .address_space:  global
        .offset:         64
        .size:           8
        .value_kind:     global_buffer
      - .offset:         72
        .size:           4
        .value_kind:     by_value
      - .offset:         76
        .size:           4
        .value_kind:     by_value
      - .offset:         80
        .size:           4
        .value_kind:     by_value
      - .actual_access:  write_only
        .address_space:  global
        .offset:         88
        .size:           8
        .value_kind:     global_buffer
      - .actual_access:  write_only
        .address_space:  global
        .offset:         96
        .size:           8
        .value_kind:     global_buffer
      - .actual_access:  write_only
        .address_space:  global
        .offset:         104
        .size:           8
        .value_kind:     global_buffer
      - .actual_access:  read_only
        .address_space:  global
        .offset:         112
        .size:           8
        .value_kind:     global_buffer
      - .offset:         120
        .size:           4
        .value_kind:     by_value
      - .address_space:  global
        .offset:         128
        .size:           8
        .value_kind:     global_buffer
      - .address_space:  global
        .offset:         136
        .size:           8
        .value_kind:     global_buffer
      - .offset:         144
        .size:           4
        .value_kind:     hidden_block_count_x
      - .offset:         148
        .size:           4
        .value_kind:     hidden_block_count_y
      - .offset:         152
        .size:           4
        .value_kind:     hidden_block_count_z
      - .offset:         156
        .size:           2
        .value_kind:     hidden_group_size_x
      - .offset:         158
        .size:           2
        .value_kind:     hidden_group_size_y
      - .offset:         160
        .size:           2
        .value_kind:     hidden_group_size_z
      - .offset:         162
        .size:           2
        .value_kind:     hidden_remainder_x
      - .offset:         164
        .size:           2
        .value_kind:     hidden_remainder_y
      - .offset:         166
        .size:           2
        .value_kind:     hidden_remainder_z
      - .offset:         184
        .size:           8
        .value_kind:     hidden_global_offset_x
      - .offset:         192
        .size:           8
        .value_kind:     hidden_global_offset_y
      - .offset:         200
        .size:           8
        .value_kind:     hidden_global_offset_z
      - .offset:         208
        .size:           2
        .value_kind:     hidden_grid_dims
    .group_segment_fixed_size: 17472
    .kernarg_segment_align: 8
    .kernarg_segment_size: 400
    .language:       OpenCL C
    .language_version:
      - 2
      - 0
    .max_flat_workgroup_size: 256
    .name:           _Z39paged_attention_ll4mi_QKV_mfma16_kernelI14__hip_bfloat16hLN4vllm18Fp8KVCacheDataTypeE1EhLi16ELi64ELi256ELb0ELi9EL8MFMAType0EEvPKT_PKT0_S9_ifPKiSB_SB_iPKfiiiPfSE_PS4_PT2_iSD_SD_
    .private_segment_fixed_size: 0
    .sgpr_count:     42
    .sgpr_spill_count: 0
    .symbol:         _Z39paged_attention_ll4mi_QKV_mfma16_kernelI14__hip_bfloat16hLN4vllm18Fp8KVCacheDataTypeE1EhLi16ELi64ELi256ELb0ELi9EL8MFMAType0EEvPKT_PKT0_S9_ifPKiSB_SB_iPKfiiiPfSE_PS4_PT2_iSD_SD_.kd
    .uniform_work_group_size: 1
    .uses_dynamic_stack: false
    .vgpr_count:     124
    .vgpr_spill_count: 0
    .wavefront_size: 32
    .workgroup_processor_mode: 1
  - .args:
      - .actual_access:  read_only
        .address_space:  global
        .offset:         0
        .size:           8
        .value_kind:     global_buffer
      - .actual_access:  read_only
        .address_space:  global
        .offset:         8
        .size:           8
        .value_kind:     global_buffer
      - .actual_access:  read_only
        .address_space:  global
        .offset:         16
        .size:           8
        .value_kind:     global_buffer
      - .offset:         24
        .size:           4
        .value_kind:     by_value
      - .offset:         28
        .size:           4
        .value_kind:     by_value
      - .actual_access:  read_only
        .address_space:  global
        .offset:         32
        .size:           8
        .value_kind:     global_buffer
      - .actual_access:  read_only
        .address_space:  global
        .offset:         40
        .size:           8
        .value_kind:     global_buffer
      - .actual_access:  read_only
        .address_space:  global
        .offset:         48
        .size:           8
        .value_kind:     global_buffer
      - .offset:         56
        .size:           4
        .value_kind:     by_value
      - .actual_access:  read_only
        .address_space:  global
        .offset:         64
        .size:           8
        .value_kind:     global_buffer
      - .offset:         72
        .size:           4
        .value_kind:     by_value
      - .offset:         76
        .size:           4
        .value_kind:     by_value
      - .offset:         80
        .size:           4
        .value_kind:     by_value
      - .actual_access:  write_only
        .address_space:  global
        .offset:         88
        .size:           8
        .value_kind:     global_buffer
      - .actual_access:  write_only
        .address_space:  global
        .offset:         96
        .size:           8
        .value_kind:     global_buffer
      - .actual_access:  write_only
        .address_space:  global
        .offset:         104
        .size:           8
        .value_kind:     global_buffer
      - .actual_access:  read_only
        .address_space:  global
        .offset:         112
        .size:           8
        .value_kind:     global_buffer
      - .offset:         120
        .size:           4
        .value_kind:     by_value
      - .address_space:  global
        .offset:         128
        .size:           8
        .value_kind:     global_buffer
      - .address_space:  global
        .offset:         136
        .size:           8
        .value_kind:     global_buffer
      - .offset:         144
        .size:           4
        .value_kind:     hidden_block_count_x
      - .offset:         148
        .size:           4
        .value_kind:     hidden_block_count_y
      - .offset:         152
        .size:           4
        .value_kind:     hidden_block_count_z
      - .offset:         156
        .size:           2
        .value_kind:     hidden_group_size_x
      - .offset:         158
        .size:           2
        .value_kind:     hidden_group_size_y
      - .offset:         160
        .size:           2
        .value_kind:     hidden_group_size_z
      - .offset:         162
        .size:           2
        .value_kind:     hidden_remainder_x
      - .offset:         164
        .size:           2
        .value_kind:     hidden_remainder_y
      - .offset:         166
        .size:           2
        .value_kind:     hidden_remainder_z
      - .offset:         184
        .size:           8
        .value_kind:     hidden_global_offset_x
      - .offset:         192
        .size:           8
        .value_kind:     hidden_global_offset_y
      - .offset:         200
        .size:           8
        .value_kind:     hidden_global_offset_z
      - .offset:         208
        .size:           2
        .value_kind:     hidden_grid_dims
    .group_segment_fixed_size: 17472
    .kernarg_segment_align: 8
    .kernarg_segment_size: 400
    .language:       OpenCL C
    .language_version:
      - 2
      - 0
    .max_flat_workgroup_size: 256
    .name:           _Z39paged_attention_ll4mi_QKV_mfma16_kernelI14__hip_bfloat16hLN4vllm18Fp8KVCacheDataTypeE1EhLi16ELi64ELi256ELb0ELi10EL8MFMAType0EEvPKT_PKT0_S9_ifPKiSB_SB_iPKfiiiPfSE_PS4_PT2_iSD_SD_
    .private_segment_fixed_size: 0
    .sgpr_count:     40
    .sgpr_spill_count: 0
    .symbol:         _Z39paged_attention_ll4mi_QKV_mfma16_kernelI14__hip_bfloat16hLN4vllm18Fp8KVCacheDataTypeE1EhLi16ELi64ELi256ELb0ELi10EL8MFMAType0EEvPKT_PKT0_S9_ifPKiSB_SB_iPKfiiiPfSE_PS4_PT2_iSD_SD_.kd
    .uniform_work_group_size: 1
    .uses_dynamic_stack: false
    .vgpr_count:     124
    .vgpr_spill_count: 0
    .wavefront_size: 32
    .workgroup_processor_mode: 1
  - .args:
      - .actual_access:  read_only
        .address_space:  global
        .offset:         0
        .size:           8
        .value_kind:     global_buffer
      - .actual_access:  read_only
        .address_space:  global
        .offset:         8
        .size:           8
        .value_kind:     global_buffer
      - .actual_access:  read_only
        .address_space:  global
        .offset:         16
        .size:           8
        .value_kind:     global_buffer
      - .offset:         24
        .size:           4
        .value_kind:     by_value
      - .offset:         28
        .size:           4
        .value_kind:     by_value
      - .actual_access:  read_only
        .address_space:  global
        .offset:         32
        .size:           8
        .value_kind:     global_buffer
      - .actual_access:  read_only
        .address_space:  global
        .offset:         40
        .size:           8
        .value_kind:     global_buffer
      - .actual_access:  read_only
        .address_space:  global
        .offset:         48
        .size:           8
        .value_kind:     global_buffer
      - .offset:         56
        .size:           4
        .value_kind:     by_value
      - .actual_access:  read_only
        .address_space:  global
        .offset:         64
        .size:           8
        .value_kind:     global_buffer
      - .offset:         72
        .size:           4
        .value_kind:     by_value
      - .offset:         76
        .size:           4
        .value_kind:     by_value
      - .offset:         80
        .size:           4
        .value_kind:     by_value
      - .actual_access:  write_only
        .address_space:  global
        .offset:         88
        .size:           8
        .value_kind:     global_buffer
      - .actual_access:  write_only
        .address_space:  global
        .offset:         96
        .size:           8
        .value_kind:     global_buffer
      - .actual_access:  write_only
        .address_space:  global
        .offset:         104
        .size:           8
        .value_kind:     global_buffer
      - .actual_access:  read_only
        .address_space:  global
        .offset:         112
        .size:           8
        .value_kind:     global_buffer
      - .offset:         120
        .size:           4
        .value_kind:     by_value
      - .address_space:  global
        .offset:         128
        .size:           8
        .value_kind:     global_buffer
      - .address_space:  global
        .offset:         136
        .size:           8
        .value_kind:     global_buffer
      - .offset:         144
        .size:           4
        .value_kind:     hidden_block_count_x
      - .offset:         148
        .size:           4
        .value_kind:     hidden_block_count_y
      - .offset:         152
        .size:           4
        .value_kind:     hidden_block_count_z
      - .offset:         156
        .size:           2
        .value_kind:     hidden_group_size_x
      - .offset:         158
        .size:           2
        .value_kind:     hidden_group_size_y
      - .offset:         160
        .size:           2
        .value_kind:     hidden_group_size_z
      - .offset:         162
        .size:           2
        .value_kind:     hidden_remainder_x
      - .offset:         164
        .size:           2
        .value_kind:     hidden_remainder_y
      - .offset:         166
        .size:           2
        .value_kind:     hidden_remainder_z
      - .offset:         184
        .size:           8
        .value_kind:     hidden_global_offset_x
      - .offset:         192
        .size:           8
        .value_kind:     hidden_global_offset_y
      - .offset:         200
        .size:           8
        .value_kind:     hidden_global_offset_z
      - .offset:         208
        .size:           2
        .value_kind:     hidden_grid_dims
    .group_segment_fixed_size: 17472
    .kernarg_segment_align: 8
    .kernarg_segment_size: 400
    .language:       OpenCL C
    .language_version:
      - 2
      - 0
    .max_flat_workgroup_size: 256
    .name:           _Z39paged_attention_ll4mi_QKV_mfma16_kernelI14__hip_bfloat16hLN4vllm18Fp8KVCacheDataTypeE1EhLi16ELi64ELi256ELb0ELi11EL8MFMAType0EEvPKT_PKT0_S9_ifPKiSB_SB_iPKfiiiPfSE_PS4_PT2_iSD_SD_
    .private_segment_fixed_size: 0
    .sgpr_count:     42
    .sgpr_spill_count: 0
    .symbol:         _Z39paged_attention_ll4mi_QKV_mfma16_kernelI14__hip_bfloat16hLN4vllm18Fp8KVCacheDataTypeE1EhLi16ELi64ELi256ELb0ELi11EL8MFMAType0EEvPKT_PKT0_S9_ifPKiSB_SB_iPKfiiiPfSE_PS4_PT2_iSD_SD_.kd
    .uniform_work_group_size: 1
    .uses_dynamic_stack: false
    .vgpr_count:     124
    .vgpr_spill_count: 0
    .wavefront_size: 32
    .workgroup_processor_mode: 1
  - .args:
      - .actual_access:  read_only
        .address_space:  global
        .offset:         0
        .size:           8
        .value_kind:     global_buffer
      - .actual_access:  read_only
        .address_space:  global
        .offset:         8
        .size:           8
        .value_kind:     global_buffer
      - .actual_access:  read_only
        .address_space:  global
        .offset:         16
        .size:           8
        .value_kind:     global_buffer
      - .offset:         24
        .size:           4
        .value_kind:     by_value
      - .offset:         28
        .size:           4
        .value_kind:     by_value
      - .actual_access:  read_only
        .address_space:  global
        .offset:         32
        .size:           8
        .value_kind:     global_buffer
      - .actual_access:  read_only
        .address_space:  global
        .offset:         40
        .size:           8
        .value_kind:     global_buffer
      - .actual_access:  read_only
        .address_space:  global
        .offset:         48
        .size:           8
        .value_kind:     global_buffer
      - .offset:         56
        .size:           4
        .value_kind:     by_value
      - .actual_access:  read_only
        .address_space:  global
        .offset:         64
        .size:           8
        .value_kind:     global_buffer
      - .offset:         72
        .size:           4
        .value_kind:     by_value
      - .offset:         76
        .size:           4
        .value_kind:     by_value
      - .offset:         80
        .size:           4
        .value_kind:     by_value
      - .actual_access:  write_only
        .address_space:  global
        .offset:         88
        .size:           8
        .value_kind:     global_buffer
      - .actual_access:  write_only
        .address_space:  global
        .offset:         96
        .size:           8
        .value_kind:     global_buffer
      - .actual_access:  write_only
        .address_space:  global
        .offset:         104
        .size:           8
        .value_kind:     global_buffer
      - .actual_access:  read_only
        .address_space:  global
        .offset:         112
        .size:           8
        .value_kind:     global_buffer
      - .offset:         120
        .size:           4
        .value_kind:     by_value
      - .address_space:  global
        .offset:         128
        .size:           8
        .value_kind:     global_buffer
      - .address_space:  global
        .offset:         136
        .size:           8
        .value_kind:     global_buffer
      - .offset:         144
        .size:           4
        .value_kind:     hidden_block_count_x
      - .offset:         148
        .size:           4
        .value_kind:     hidden_block_count_y
      - .offset:         152
        .size:           4
        .value_kind:     hidden_block_count_z
      - .offset:         156
        .size:           2
        .value_kind:     hidden_group_size_x
      - .offset:         158
        .size:           2
        .value_kind:     hidden_group_size_y
      - .offset:         160
        .size:           2
        .value_kind:     hidden_group_size_z
      - .offset:         162
        .size:           2
        .value_kind:     hidden_remainder_x
      - .offset:         164
        .size:           2
        .value_kind:     hidden_remainder_y
      - .offset:         166
        .size:           2
        .value_kind:     hidden_remainder_z
      - .offset:         184
        .size:           8
        .value_kind:     hidden_global_offset_x
      - .offset:         192
        .size:           8
        .value_kind:     hidden_global_offset_y
      - .offset:         200
        .size:           8
        .value_kind:     hidden_global_offset_z
      - .offset:         208
        .size:           2
        .value_kind:     hidden_grid_dims
    .group_segment_fixed_size: 17472
    .kernarg_segment_align: 8
    .kernarg_segment_size: 400
    .language:       OpenCL C
    .language_version:
      - 2
      - 0
    .max_flat_workgroup_size: 256
    .name:           _Z39paged_attention_ll4mi_QKV_mfma16_kernelI14__hip_bfloat16hLN4vllm18Fp8KVCacheDataTypeE1EhLi16ELi64ELi256ELb0ELi12EL8MFMAType0EEvPKT_PKT0_S9_ifPKiSB_SB_iPKfiiiPfSE_PS4_PT2_iSD_SD_
    .private_segment_fixed_size: 0
    .sgpr_count:     40
    .sgpr_spill_count: 0
    .symbol:         _Z39paged_attention_ll4mi_QKV_mfma16_kernelI14__hip_bfloat16hLN4vllm18Fp8KVCacheDataTypeE1EhLi16ELi64ELi256ELb0ELi12EL8MFMAType0EEvPKT_PKT0_S9_ifPKiSB_SB_iPKfiiiPfSE_PS4_PT2_iSD_SD_.kd
    .uniform_work_group_size: 1
    .uses_dynamic_stack: false
    .vgpr_count:     124
    .vgpr_spill_count: 0
    .wavefront_size: 32
    .workgroup_processor_mode: 1
  - .args:
      - .actual_access:  read_only
        .address_space:  global
        .offset:         0
        .size:           8
        .value_kind:     global_buffer
      - .actual_access:  read_only
        .address_space:  global
        .offset:         8
        .size:           8
        .value_kind:     global_buffer
      - .actual_access:  read_only
        .address_space:  global
        .offset:         16
        .size:           8
        .value_kind:     global_buffer
      - .offset:         24
        .size:           4
        .value_kind:     by_value
      - .offset:         28
        .size:           4
        .value_kind:     by_value
      - .actual_access:  read_only
        .address_space:  global
        .offset:         32
        .size:           8
        .value_kind:     global_buffer
      - .actual_access:  read_only
        .address_space:  global
        .offset:         40
        .size:           8
        .value_kind:     global_buffer
      - .actual_access:  read_only
        .address_space:  global
        .offset:         48
        .size:           8
        .value_kind:     global_buffer
      - .offset:         56
        .size:           4
        .value_kind:     by_value
      - .actual_access:  read_only
        .address_space:  global
        .offset:         64
        .size:           8
        .value_kind:     global_buffer
      - .offset:         72
        .size:           4
        .value_kind:     by_value
      - .offset:         76
        .size:           4
        .value_kind:     by_value
      - .offset:         80
        .size:           4
        .value_kind:     by_value
      - .actual_access:  write_only
        .address_space:  global
        .offset:         88
        .size:           8
        .value_kind:     global_buffer
      - .actual_access:  write_only
        .address_space:  global
        .offset:         96
        .size:           8
        .value_kind:     global_buffer
      - .actual_access:  write_only
        .address_space:  global
        .offset:         104
        .size:           8
        .value_kind:     global_buffer
      - .actual_access:  read_only
        .address_space:  global
        .offset:         112
        .size:           8
        .value_kind:     global_buffer
      - .offset:         120
        .size:           4
        .value_kind:     by_value
      - .address_space:  global
        .offset:         128
        .size:           8
        .value_kind:     global_buffer
      - .address_space:  global
        .offset:         136
        .size:           8
        .value_kind:     global_buffer
      - .offset:         144
        .size:           4
        .value_kind:     hidden_block_count_x
      - .offset:         148
        .size:           4
        .value_kind:     hidden_block_count_y
      - .offset:         152
        .size:           4
        .value_kind:     hidden_block_count_z
      - .offset:         156
        .size:           2
        .value_kind:     hidden_group_size_x
      - .offset:         158
        .size:           2
        .value_kind:     hidden_group_size_y
      - .offset:         160
        .size:           2
        .value_kind:     hidden_group_size_z
      - .offset:         162
        .size:           2
        .value_kind:     hidden_remainder_x
      - .offset:         164
        .size:           2
        .value_kind:     hidden_remainder_y
      - .offset:         166
        .size:           2
        .value_kind:     hidden_remainder_z
      - .offset:         184
        .size:           8
        .value_kind:     hidden_global_offset_x
      - .offset:         192
        .size:           8
        .value_kind:     hidden_global_offset_y
      - .offset:         200
        .size:           8
        .value_kind:     hidden_global_offset_z
      - .offset:         208
        .size:           2
        .value_kind:     hidden_grid_dims
    .group_segment_fixed_size: 17472
    .kernarg_segment_align: 8
    .kernarg_segment_size: 400
    .language:       OpenCL C
    .language_version:
      - 2
      - 0
    .max_flat_workgroup_size: 256
    .name:           _Z39paged_attention_ll4mi_QKV_mfma16_kernelI14__hip_bfloat16hLN4vllm18Fp8KVCacheDataTypeE1EhLi16ELi64ELi256ELb0ELi13EL8MFMAType0EEvPKT_PKT0_S9_ifPKiSB_SB_iPKfiiiPfSE_PS4_PT2_iSD_SD_
    .private_segment_fixed_size: 0
    .sgpr_count:     42
    .sgpr_spill_count: 0
    .symbol:         _Z39paged_attention_ll4mi_QKV_mfma16_kernelI14__hip_bfloat16hLN4vllm18Fp8KVCacheDataTypeE1EhLi16ELi64ELi256ELb0ELi13EL8MFMAType0EEvPKT_PKT0_S9_ifPKiSB_SB_iPKfiiiPfSE_PS4_PT2_iSD_SD_.kd
    .uniform_work_group_size: 1
    .uses_dynamic_stack: false
    .vgpr_count:     124
    .vgpr_spill_count: 0
    .wavefront_size: 32
    .workgroup_processor_mode: 1
  - .args:
      - .actual_access:  read_only
        .address_space:  global
        .offset:         0
        .size:           8
        .value_kind:     global_buffer
      - .actual_access:  read_only
        .address_space:  global
        .offset:         8
        .size:           8
        .value_kind:     global_buffer
      - .actual_access:  read_only
        .address_space:  global
        .offset:         16
        .size:           8
        .value_kind:     global_buffer
      - .offset:         24
        .size:           4
        .value_kind:     by_value
      - .offset:         28
        .size:           4
        .value_kind:     by_value
      - .actual_access:  read_only
        .address_space:  global
        .offset:         32
        .size:           8
        .value_kind:     global_buffer
      - .actual_access:  read_only
        .address_space:  global
        .offset:         40
        .size:           8
        .value_kind:     global_buffer
      - .actual_access:  read_only
        .address_space:  global
        .offset:         48
        .size:           8
        .value_kind:     global_buffer
      - .offset:         56
        .size:           4
        .value_kind:     by_value
      - .actual_access:  read_only
        .address_space:  global
        .offset:         64
        .size:           8
        .value_kind:     global_buffer
      - .offset:         72
        .size:           4
        .value_kind:     by_value
      - .offset:         76
        .size:           4
        .value_kind:     by_value
      - .offset:         80
        .size:           4
        .value_kind:     by_value
      - .actual_access:  write_only
        .address_space:  global
        .offset:         88
        .size:           8
        .value_kind:     global_buffer
      - .actual_access:  write_only
        .address_space:  global
        .offset:         96
        .size:           8
        .value_kind:     global_buffer
      - .actual_access:  write_only
        .address_space:  global
        .offset:         104
        .size:           8
        .value_kind:     global_buffer
      - .actual_access:  read_only
        .address_space:  global
        .offset:         112
        .size:           8
        .value_kind:     global_buffer
      - .offset:         120
        .size:           4
        .value_kind:     by_value
      - .address_space:  global
        .offset:         128
        .size:           8
        .value_kind:     global_buffer
      - .address_space:  global
        .offset:         136
        .size:           8
        .value_kind:     global_buffer
      - .offset:         144
        .size:           4
        .value_kind:     hidden_block_count_x
      - .offset:         148
        .size:           4
        .value_kind:     hidden_block_count_y
      - .offset:         152
        .size:           4
        .value_kind:     hidden_block_count_z
      - .offset:         156
        .size:           2
        .value_kind:     hidden_group_size_x
      - .offset:         158
        .size:           2
        .value_kind:     hidden_group_size_y
      - .offset:         160
        .size:           2
        .value_kind:     hidden_group_size_z
      - .offset:         162
        .size:           2
        .value_kind:     hidden_remainder_x
      - .offset:         164
        .size:           2
        .value_kind:     hidden_remainder_y
      - .offset:         166
        .size:           2
        .value_kind:     hidden_remainder_z
      - .offset:         184
        .size:           8
        .value_kind:     hidden_global_offset_x
      - .offset:         192
        .size:           8
        .value_kind:     hidden_global_offset_y
      - .offset:         200
        .size:           8
        .value_kind:     hidden_global_offset_z
      - .offset:         208
        .size:           2
        .value_kind:     hidden_grid_dims
    .group_segment_fixed_size: 17472
    .kernarg_segment_align: 8
    .kernarg_segment_size: 400
    .language:       OpenCL C
    .language_version:
      - 2
      - 0
    .max_flat_workgroup_size: 256
    .name:           _Z39paged_attention_ll4mi_QKV_mfma16_kernelI14__hip_bfloat16hLN4vllm18Fp8KVCacheDataTypeE1EhLi16ELi64ELi256ELb0ELi14EL8MFMAType0EEvPKT_PKT0_S9_ifPKiSB_SB_iPKfiiiPfSE_PS4_PT2_iSD_SD_
    .private_segment_fixed_size: 0
    .sgpr_count:     40
    .sgpr_spill_count: 0
    .symbol:         _Z39paged_attention_ll4mi_QKV_mfma16_kernelI14__hip_bfloat16hLN4vllm18Fp8KVCacheDataTypeE1EhLi16ELi64ELi256ELb0ELi14EL8MFMAType0EEvPKT_PKT0_S9_ifPKiSB_SB_iPKfiiiPfSE_PS4_PT2_iSD_SD_.kd
    .uniform_work_group_size: 1
    .uses_dynamic_stack: false
    .vgpr_count:     124
    .vgpr_spill_count: 0
    .wavefront_size: 32
    .workgroup_processor_mode: 1
  - .args:
      - .actual_access:  read_only
        .address_space:  global
        .offset:         0
        .size:           8
        .value_kind:     global_buffer
      - .actual_access:  read_only
        .address_space:  global
        .offset:         8
        .size:           8
        .value_kind:     global_buffer
      - .actual_access:  read_only
        .address_space:  global
        .offset:         16
        .size:           8
        .value_kind:     global_buffer
      - .offset:         24
        .size:           4
        .value_kind:     by_value
      - .offset:         28
        .size:           4
        .value_kind:     by_value
      - .actual_access:  read_only
        .address_space:  global
        .offset:         32
        .size:           8
        .value_kind:     global_buffer
      - .actual_access:  read_only
        .address_space:  global
        .offset:         40
        .size:           8
        .value_kind:     global_buffer
      - .actual_access:  read_only
        .address_space:  global
        .offset:         48
        .size:           8
        .value_kind:     global_buffer
      - .offset:         56
        .size:           4
        .value_kind:     by_value
      - .actual_access:  read_only
        .address_space:  global
        .offset:         64
        .size:           8
        .value_kind:     global_buffer
      - .offset:         72
        .size:           4
        .value_kind:     by_value
      - .offset:         76
        .size:           4
        .value_kind:     by_value
      - .offset:         80
        .size:           4
        .value_kind:     by_value
      - .actual_access:  write_only
        .address_space:  global
        .offset:         88
        .size:           8
        .value_kind:     global_buffer
      - .actual_access:  write_only
        .address_space:  global
        .offset:         96
        .size:           8
        .value_kind:     global_buffer
      - .actual_access:  write_only
        .address_space:  global
        .offset:         104
        .size:           8
        .value_kind:     global_buffer
      - .actual_access:  read_only
        .address_space:  global
        .offset:         112
        .size:           8
        .value_kind:     global_buffer
      - .offset:         120
        .size:           4
        .value_kind:     by_value
      - .address_space:  global
        .offset:         128
        .size:           8
        .value_kind:     global_buffer
      - .address_space:  global
        .offset:         136
        .size:           8
        .value_kind:     global_buffer
      - .offset:         144
        .size:           4
        .value_kind:     hidden_block_count_x
      - .offset:         148
        .size:           4
        .value_kind:     hidden_block_count_y
      - .offset:         152
        .size:           4
        .value_kind:     hidden_block_count_z
      - .offset:         156
        .size:           2
        .value_kind:     hidden_group_size_x
      - .offset:         158
        .size:           2
        .value_kind:     hidden_group_size_y
      - .offset:         160
        .size:           2
        .value_kind:     hidden_group_size_z
      - .offset:         162
        .size:           2
        .value_kind:     hidden_remainder_x
      - .offset:         164
        .size:           2
        .value_kind:     hidden_remainder_y
      - .offset:         166
        .size:           2
        .value_kind:     hidden_remainder_z
      - .offset:         184
        .size:           8
        .value_kind:     hidden_global_offset_x
      - .offset:         192
        .size:           8
        .value_kind:     hidden_global_offset_y
      - .offset:         200
        .size:           8
        .value_kind:     hidden_global_offset_z
      - .offset:         208
        .size:           2
        .value_kind:     hidden_grid_dims
    .group_segment_fixed_size: 17472
    .kernarg_segment_align: 8
    .kernarg_segment_size: 400
    .language:       OpenCL C
    .language_version:
      - 2
      - 0
    .max_flat_workgroup_size: 256
    .name:           _Z39paged_attention_ll4mi_QKV_mfma16_kernelI14__hip_bfloat16hLN4vllm18Fp8KVCacheDataTypeE1EhLi16ELi64ELi256ELb0ELi15EL8MFMAType0EEvPKT_PKT0_S9_ifPKiSB_SB_iPKfiiiPfSE_PS4_PT2_iSD_SD_
    .private_segment_fixed_size: 0
    .sgpr_count:     42
    .sgpr_spill_count: 0
    .symbol:         _Z39paged_attention_ll4mi_QKV_mfma16_kernelI14__hip_bfloat16hLN4vllm18Fp8KVCacheDataTypeE1EhLi16ELi64ELi256ELb0ELi15EL8MFMAType0EEvPKT_PKT0_S9_ifPKiSB_SB_iPKfiiiPfSE_PS4_PT2_iSD_SD_.kd
    .uniform_work_group_size: 1
    .uses_dynamic_stack: false
    .vgpr_count:     124
    .vgpr_spill_count: 0
    .wavefront_size: 32
    .workgroup_processor_mode: 1
  - .args:
      - .actual_access:  read_only
        .address_space:  global
        .offset:         0
        .size:           8
        .value_kind:     global_buffer
      - .actual_access:  read_only
        .address_space:  global
        .offset:         8
        .size:           8
        .value_kind:     global_buffer
      - .actual_access:  read_only
        .address_space:  global
        .offset:         16
        .size:           8
        .value_kind:     global_buffer
      - .offset:         24
        .size:           4
        .value_kind:     by_value
      - .offset:         28
        .size:           4
        .value_kind:     by_value
      - .actual_access:  read_only
        .address_space:  global
        .offset:         32
        .size:           8
        .value_kind:     global_buffer
      - .actual_access:  read_only
        .address_space:  global
        .offset:         40
        .size:           8
        .value_kind:     global_buffer
      - .actual_access:  read_only
        .address_space:  global
        .offset:         48
        .size:           8
        .value_kind:     global_buffer
      - .offset:         56
        .size:           4
        .value_kind:     by_value
      - .actual_access:  read_only
        .address_space:  global
        .offset:         64
        .size:           8
        .value_kind:     global_buffer
      - .offset:         72
        .size:           4
        .value_kind:     by_value
      - .offset:         76
        .size:           4
        .value_kind:     by_value
      - .offset:         80
        .size:           4
        .value_kind:     by_value
      - .actual_access:  write_only
        .address_space:  global
        .offset:         88
        .size:           8
        .value_kind:     global_buffer
      - .actual_access:  write_only
        .address_space:  global
        .offset:         96
        .size:           8
        .value_kind:     global_buffer
      - .actual_access:  write_only
        .address_space:  global
        .offset:         104
        .size:           8
        .value_kind:     global_buffer
      - .actual_access:  read_only
        .address_space:  global
        .offset:         112
        .size:           8
        .value_kind:     global_buffer
      - .offset:         120
        .size:           4
        .value_kind:     by_value
      - .address_space:  global
        .offset:         128
        .size:           8
        .value_kind:     global_buffer
      - .address_space:  global
        .offset:         136
        .size:           8
        .value_kind:     global_buffer
      - .offset:         144
        .size:           4
        .value_kind:     hidden_block_count_x
      - .offset:         148
        .size:           4
        .value_kind:     hidden_block_count_y
      - .offset:         152
        .size:           4
        .value_kind:     hidden_block_count_z
      - .offset:         156
        .size:           2
        .value_kind:     hidden_group_size_x
      - .offset:         158
        .size:           2
        .value_kind:     hidden_group_size_y
      - .offset:         160
        .size:           2
        .value_kind:     hidden_group_size_z
      - .offset:         162
        .size:           2
        .value_kind:     hidden_remainder_x
      - .offset:         164
        .size:           2
        .value_kind:     hidden_remainder_y
      - .offset:         166
        .size:           2
        .value_kind:     hidden_remainder_z
      - .offset:         184
        .size:           8
        .value_kind:     hidden_global_offset_x
      - .offset:         192
        .size:           8
        .value_kind:     hidden_global_offset_y
      - .offset:         200
        .size:           8
        .value_kind:     hidden_global_offset_z
      - .offset:         208
        .size:           2
        .value_kind:     hidden_grid_dims
    .group_segment_fixed_size: 17472
    .kernarg_segment_align: 8
    .kernarg_segment_size: 400
    .language:       OpenCL C
    .language_version:
      - 2
      - 0
    .max_flat_workgroup_size: 256
    .name:           _Z39paged_attention_ll4mi_QKV_mfma16_kernelI14__hip_bfloat16hLN4vllm18Fp8KVCacheDataTypeE1EhLi16ELi64ELi256ELb0ELi16EL8MFMAType0EEvPKT_PKT0_S9_ifPKiSB_SB_iPKfiiiPfSE_PS4_PT2_iSD_SD_
    .private_segment_fixed_size: 0
    .sgpr_count:     40
    .sgpr_spill_count: 0
    .symbol:         _Z39paged_attention_ll4mi_QKV_mfma16_kernelI14__hip_bfloat16hLN4vllm18Fp8KVCacheDataTypeE1EhLi16ELi64ELi256ELb0ELi16EL8MFMAType0EEvPKT_PKT0_S9_ifPKiSB_SB_iPKfiiiPfSE_PS4_PT2_iSD_SD_.kd
    .uniform_work_group_size: 1
    .uses_dynamic_stack: false
    .vgpr_count:     125
    .vgpr_spill_count: 0
    .wavefront_size: 32
    .workgroup_processor_mode: 1
  - .args:
      - .actual_access:  read_only
        .address_space:  global
        .offset:         0
        .size:           8
        .value_kind:     global_buffer
      - .actual_access:  read_only
        .address_space:  global
        .offset:         8
        .size:           8
        .value_kind:     global_buffer
      - .actual_access:  read_only
        .address_space:  global
        .offset:         16
        .size:           8
        .value_kind:     global_buffer
      - .offset:         24
        .size:           4
        .value_kind:     by_value
      - .offset:         28
        .size:           4
        .value_kind:     by_value
      - .actual_access:  read_only
        .address_space:  global
        .offset:         32
        .size:           8
        .value_kind:     global_buffer
      - .actual_access:  read_only
        .address_space:  global
        .offset:         40
        .size:           8
        .value_kind:     global_buffer
      - .actual_access:  read_only
        .address_space:  global
        .offset:         48
        .size:           8
        .value_kind:     global_buffer
      - .offset:         56
        .size:           4
        .value_kind:     by_value
      - .actual_access:  read_only
        .address_space:  global
        .offset:         64
        .size:           8
        .value_kind:     global_buffer
      - .offset:         72
        .size:           4
        .value_kind:     by_value
      - .offset:         76
        .size:           4
        .value_kind:     by_value
      - .offset:         80
        .size:           4
        .value_kind:     by_value
      - .actual_access:  write_only
        .address_space:  global
        .offset:         88
        .size:           8
        .value_kind:     global_buffer
      - .actual_access:  write_only
        .address_space:  global
        .offset:         96
        .size:           8
        .value_kind:     global_buffer
      - .actual_access:  write_only
        .address_space:  global
        .offset:         104
        .size:           8
        .value_kind:     global_buffer
      - .actual_access:  read_only
        .address_space:  global
        .offset:         112
        .size:           8
        .value_kind:     global_buffer
      - .offset:         120
        .size:           4
        .value_kind:     by_value
      - .address_space:  global
        .offset:         128
        .size:           8
        .value_kind:     global_buffer
      - .address_space:  global
        .offset:         136
        .size:           8
        .value_kind:     global_buffer
      - .offset:         144
        .size:           4
        .value_kind:     hidden_block_count_x
      - .offset:         148
        .size:           4
        .value_kind:     hidden_block_count_y
      - .offset:         152
        .size:           4
        .value_kind:     hidden_block_count_z
      - .offset:         156
        .size:           2
        .value_kind:     hidden_group_size_x
      - .offset:         158
        .size:           2
        .value_kind:     hidden_group_size_y
      - .offset:         160
        .size:           2
        .value_kind:     hidden_group_size_z
      - .offset:         162
        .size:           2
        .value_kind:     hidden_remainder_x
      - .offset:         164
        .size:           2
        .value_kind:     hidden_remainder_y
      - .offset:         166
        .size:           2
        .value_kind:     hidden_remainder_z
      - .offset:         184
        .size:           8
        .value_kind:     hidden_global_offset_x
      - .offset:         192
        .size:           8
        .value_kind:     hidden_global_offset_y
      - .offset:         200
        .size:           8
        .value_kind:     hidden_global_offset_z
      - .offset:         208
        .size:           2
        .value_kind:     hidden_grid_dims
    .group_segment_fixed_size: 17472
    .kernarg_segment_align: 8
    .kernarg_segment_size: 400
    .language:       OpenCL C
    .language_version:
      - 2
      - 0
    .max_flat_workgroup_size: 256
    .name:           _Z39paged_attention_ll4mi_QKV_mfma16_kernelI14__hip_bfloat16hLN4vllm18Fp8KVCacheDataTypeE1EhLi16ELi64ELi256ELb0ELi1EL8MFMAType0EEvPKT_PKT0_S9_ifPKiSB_SB_iPKfiiiPfSE_PS4_PT2_iSD_SD_
    .private_segment_fixed_size: 0
    .sgpr_count:     50
    .sgpr_spill_count: 0
    .symbol:         _Z39paged_attention_ll4mi_QKV_mfma16_kernelI14__hip_bfloat16hLN4vllm18Fp8KVCacheDataTypeE1EhLi16ELi64ELi256ELb0ELi1EL8MFMAType0EEvPKT_PKT0_S9_ifPKiSB_SB_iPKfiiiPfSE_PS4_PT2_iSD_SD_.kd
    .uniform_work_group_size: 1
    .uses_dynamic_stack: false
    .vgpr_count:     131
    .vgpr_spill_count: 0
    .wavefront_size: 32
    .workgroup_processor_mode: 1
  - .args:
      - .actual_access:  read_only
        .address_space:  global
        .offset:         0
        .size:           8
        .value_kind:     global_buffer
      - .actual_access:  read_only
        .address_space:  global
        .offset:         8
        .size:           8
        .value_kind:     global_buffer
      - .actual_access:  read_only
        .address_space:  global
        .offset:         16
        .size:           8
        .value_kind:     global_buffer
      - .offset:         24
        .size:           4
        .value_kind:     by_value
      - .offset:         28
        .size:           4
        .value_kind:     by_value
      - .actual_access:  read_only
        .address_space:  global
        .offset:         32
        .size:           8
        .value_kind:     global_buffer
      - .actual_access:  read_only
        .address_space:  global
        .offset:         40
        .size:           8
        .value_kind:     global_buffer
      - .actual_access:  read_only
        .address_space:  global
        .offset:         48
        .size:           8
        .value_kind:     global_buffer
      - .offset:         56
        .size:           4
        .value_kind:     by_value
      - .actual_access:  read_only
        .address_space:  global
        .offset:         64
        .size:           8
        .value_kind:     global_buffer
      - .offset:         72
        .size:           4
        .value_kind:     by_value
      - .offset:         76
        .size:           4
        .value_kind:     by_value
      - .offset:         80
        .size:           4
        .value_kind:     by_value
      - .actual_access:  write_only
        .address_space:  global
        .offset:         88
        .size:           8
        .value_kind:     global_buffer
      - .actual_access:  write_only
        .address_space:  global
        .offset:         96
        .size:           8
        .value_kind:     global_buffer
      - .actual_access:  write_only
        .address_space:  global
        .offset:         104
        .size:           8
        .value_kind:     global_buffer
      - .actual_access:  read_only
        .address_space:  global
        .offset:         112
        .size:           8
        .value_kind:     global_buffer
      - .offset:         120
        .size:           4
        .value_kind:     by_value
      - .address_space:  global
        .offset:         128
        .size:           8
        .value_kind:     global_buffer
      - .address_space:  global
        .offset:         136
        .size:           8
        .value_kind:     global_buffer
      - .offset:         144
        .size:           4
        .value_kind:     hidden_block_count_x
      - .offset:         148
        .size:           4
        .value_kind:     hidden_block_count_y
      - .offset:         152
        .size:           4
        .value_kind:     hidden_block_count_z
      - .offset:         156
        .size:           2
        .value_kind:     hidden_group_size_x
      - .offset:         158
        .size:           2
        .value_kind:     hidden_group_size_y
      - .offset:         160
        .size:           2
        .value_kind:     hidden_group_size_z
      - .offset:         162
        .size:           2
        .value_kind:     hidden_remainder_x
      - .offset:         164
        .size:           2
        .value_kind:     hidden_remainder_y
      - .offset:         166
        .size:           2
        .value_kind:     hidden_remainder_z
      - .offset:         184
        .size:           8
        .value_kind:     hidden_global_offset_x
      - .offset:         192
        .size:           8
        .value_kind:     hidden_global_offset_y
      - .offset:         200
        .size:           8
        .value_kind:     hidden_global_offset_z
      - .offset:         208
        .size:           2
        .value_kind:     hidden_grid_dims
    .group_segment_fixed_size: 17472
    .kernarg_segment_align: 8
    .kernarg_segment_size: 400
    .language:       OpenCL C
    .language_version:
      - 2
      - 0
    .max_flat_workgroup_size: 256
    .name:           _Z39paged_attention_ll4mi_QKV_mfma16_kernelI14__hip_bfloat16hLN4vllm18Fp8KVCacheDataTypeE1EhLi16ELi64ELi256ELb0ELi2EL8MFMAType0EEvPKT_PKT0_S9_ifPKiSB_SB_iPKfiiiPfSE_PS4_PT2_iSD_SD_
    .private_segment_fixed_size: 0
    .sgpr_count:     40
    .sgpr_spill_count: 0
    .symbol:         _Z39paged_attention_ll4mi_QKV_mfma16_kernelI14__hip_bfloat16hLN4vllm18Fp8KVCacheDataTypeE1EhLi16ELi64ELi256ELb0ELi2EL8MFMAType0EEvPKT_PKT0_S9_ifPKiSB_SB_iPKfiiiPfSE_PS4_PT2_iSD_SD_.kd
    .uniform_work_group_size: 1
    .uses_dynamic_stack: false
    .vgpr_count:     125
    .vgpr_spill_count: 0
    .wavefront_size: 32
    .workgroup_processor_mode: 1
  - .args:
      - .actual_access:  read_only
        .address_space:  global
        .offset:         0
        .size:           8
        .value_kind:     global_buffer
      - .actual_access:  read_only
        .address_space:  global
        .offset:         8
        .size:           8
        .value_kind:     global_buffer
      - .actual_access:  read_only
        .address_space:  global
        .offset:         16
        .size:           8
        .value_kind:     global_buffer
      - .offset:         24
        .size:           4
        .value_kind:     by_value
      - .offset:         28
        .size:           4
        .value_kind:     by_value
      - .actual_access:  read_only
        .address_space:  global
        .offset:         32
        .size:           8
        .value_kind:     global_buffer
      - .actual_access:  read_only
        .address_space:  global
        .offset:         40
        .size:           8
        .value_kind:     global_buffer
      - .actual_access:  read_only
        .address_space:  global
        .offset:         48
        .size:           8
        .value_kind:     global_buffer
      - .offset:         56
        .size:           4
        .value_kind:     by_value
      - .actual_access:  read_only
        .address_space:  global
        .offset:         64
        .size:           8
        .value_kind:     global_buffer
      - .offset:         72
        .size:           4
        .value_kind:     by_value
      - .offset:         76
        .size:           4
        .value_kind:     by_value
      - .offset:         80
        .size:           4
        .value_kind:     by_value
      - .actual_access:  write_only
        .address_space:  global
        .offset:         88
        .size:           8
        .value_kind:     global_buffer
      - .actual_access:  write_only
        .address_space:  global
        .offset:         96
        .size:           8
        .value_kind:     global_buffer
      - .actual_access:  write_only
        .address_space:  global
        .offset:         104
        .size:           8
        .value_kind:     global_buffer
      - .actual_access:  read_only
        .address_space:  global
        .offset:         112
        .size:           8
        .value_kind:     global_buffer
      - .offset:         120
        .size:           4
        .value_kind:     by_value
      - .address_space:  global
        .offset:         128
        .size:           8
        .value_kind:     global_buffer
      - .address_space:  global
        .offset:         136
        .size:           8
        .value_kind:     global_buffer
      - .offset:         144
        .size:           4
        .value_kind:     hidden_block_count_x
      - .offset:         148
        .size:           4
        .value_kind:     hidden_block_count_y
      - .offset:         152
        .size:           4
        .value_kind:     hidden_block_count_z
      - .offset:         156
        .size:           2
        .value_kind:     hidden_group_size_x
      - .offset:         158
        .size:           2
        .value_kind:     hidden_group_size_y
      - .offset:         160
        .size:           2
        .value_kind:     hidden_group_size_z
      - .offset:         162
        .size:           2
        .value_kind:     hidden_remainder_x
      - .offset:         164
        .size:           2
        .value_kind:     hidden_remainder_y
      - .offset:         166
        .size:           2
        .value_kind:     hidden_remainder_z
      - .offset:         184
        .size:           8
        .value_kind:     hidden_global_offset_x
      - .offset:         192
        .size:           8
        .value_kind:     hidden_global_offset_y
      - .offset:         200
        .size:           8
        .value_kind:     hidden_global_offset_z
      - .offset:         208
        .size:           2
        .value_kind:     hidden_grid_dims
    .group_segment_fixed_size: 17472
    .kernarg_segment_align: 8
    .kernarg_segment_size: 400
    .language:       OpenCL C
    .language_version:
      - 2
      - 0
    .max_flat_workgroup_size: 256
    .name:           _Z39paged_attention_ll4mi_QKV_mfma16_kernelI14__hip_bfloat16hLN4vllm18Fp8KVCacheDataTypeE1EhLi16ELi64ELi256ELb0ELi3EL8MFMAType0EEvPKT_PKT0_S9_ifPKiSB_SB_iPKfiiiPfSE_PS4_PT2_iSD_SD_
    .private_segment_fixed_size: 0
    .sgpr_count:     42
    .sgpr_spill_count: 0
    .symbol:         _Z39paged_attention_ll4mi_QKV_mfma16_kernelI14__hip_bfloat16hLN4vllm18Fp8KVCacheDataTypeE1EhLi16ELi64ELi256ELb0ELi3EL8MFMAType0EEvPKT_PKT0_S9_ifPKiSB_SB_iPKfiiiPfSE_PS4_PT2_iSD_SD_.kd
    .uniform_work_group_size: 1
    .uses_dynamic_stack: false
    .vgpr_count:     124
    .vgpr_spill_count: 0
    .wavefront_size: 32
    .workgroup_processor_mode: 1
  - .args:
      - .actual_access:  read_only
        .address_space:  global
        .offset:         0
        .size:           8
        .value_kind:     global_buffer
      - .actual_access:  read_only
        .address_space:  global
        .offset:         8
        .size:           8
        .value_kind:     global_buffer
      - .actual_access:  read_only
        .address_space:  global
        .offset:         16
        .size:           8
        .value_kind:     global_buffer
      - .offset:         24
        .size:           4
        .value_kind:     by_value
      - .offset:         28
        .size:           4
        .value_kind:     by_value
      - .actual_access:  read_only
        .address_space:  global
        .offset:         32
        .size:           8
        .value_kind:     global_buffer
      - .actual_access:  read_only
        .address_space:  global
        .offset:         40
        .size:           8
        .value_kind:     global_buffer
      - .actual_access:  read_only
        .address_space:  global
        .offset:         48
        .size:           8
        .value_kind:     global_buffer
      - .offset:         56
        .size:           4
        .value_kind:     by_value
      - .actual_access:  read_only
        .address_space:  global
        .offset:         64
        .size:           8
        .value_kind:     global_buffer
      - .offset:         72
        .size:           4
        .value_kind:     by_value
      - .offset:         76
        .size:           4
        .value_kind:     by_value
      - .offset:         80
        .size:           4
        .value_kind:     by_value
      - .actual_access:  write_only
        .address_space:  global
        .offset:         88
        .size:           8
        .value_kind:     global_buffer
      - .actual_access:  write_only
        .address_space:  global
        .offset:         96
        .size:           8
        .value_kind:     global_buffer
      - .actual_access:  write_only
        .address_space:  global
        .offset:         104
        .size:           8
        .value_kind:     global_buffer
      - .actual_access:  read_only
        .address_space:  global
        .offset:         112
        .size:           8
        .value_kind:     global_buffer
      - .offset:         120
        .size:           4
        .value_kind:     by_value
      - .address_space:  global
        .offset:         128
        .size:           8
        .value_kind:     global_buffer
      - .address_space:  global
        .offset:         136
        .size:           8
        .value_kind:     global_buffer
      - .offset:         144
        .size:           4
        .value_kind:     hidden_block_count_x
      - .offset:         148
        .size:           4
        .value_kind:     hidden_block_count_y
      - .offset:         152
        .size:           4
        .value_kind:     hidden_block_count_z
      - .offset:         156
        .size:           2
        .value_kind:     hidden_group_size_x
      - .offset:         158
        .size:           2
        .value_kind:     hidden_group_size_y
      - .offset:         160
        .size:           2
        .value_kind:     hidden_group_size_z
      - .offset:         162
        .size:           2
        .value_kind:     hidden_remainder_x
      - .offset:         164
        .size:           2
        .value_kind:     hidden_remainder_y
      - .offset:         166
        .size:           2
        .value_kind:     hidden_remainder_z
      - .offset:         184
        .size:           8
        .value_kind:     hidden_global_offset_x
      - .offset:         192
        .size:           8
        .value_kind:     hidden_global_offset_y
      - .offset:         200
        .size:           8
        .value_kind:     hidden_global_offset_z
      - .offset:         208
        .size:           2
        .value_kind:     hidden_grid_dims
    .group_segment_fixed_size: 17472
    .kernarg_segment_align: 8
    .kernarg_segment_size: 400
    .language:       OpenCL C
    .language_version:
      - 2
      - 0
    .max_flat_workgroup_size: 256
    .name:           _Z39paged_attention_ll4mi_QKV_mfma16_kernelI14__hip_bfloat16hLN4vllm18Fp8KVCacheDataTypeE1EhLi16ELi64ELi256ELb0ELi4EL8MFMAType0EEvPKT_PKT0_S9_ifPKiSB_SB_iPKfiiiPfSE_PS4_PT2_iSD_SD_
    .private_segment_fixed_size: 0
    .sgpr_count:     40
    .sgpr_spill_count: 0
    .symbol:         _Z39paged_attention_ll4mi_QKV_mfma16_kernelI14__hip_bfloat16hLN4vllm18Fp8KVCacheDataTypeE1EhLi16ELi64ELi256ELb0ELi4EL8MFMAType0EEvPKT_PKT0_S9_ifPKiSB_SB_iPKfiiiPfSE_PS4_PT2_iSD_SD_.kd
    .uniform_work_group_size: 1
    .uses_dynamic_stack: false
    .vgpr_count:     124
    .vgpr_spill_count: 0
    .wavefront_size: 32
    .workgroup_processor_mode: 1
  - .args:
      - .actual_access:  read_only
        .address_space:  global
        .offset:         0
        .size:           8
        .value_kind:     global_buffer
      - .actual_access:  read_only
        .address_space:  global
        .offset:         8
        .size:           8
        .value_kind:     global_buffer
      - .actual_access:  read_only
        .address_space:  global
        .offset:         16
        .size:           8
        .value_kind:     global_buffer
      - .offset:         24
        .size:           4
        .value_kind:     by_value
      - .offset:         28
        .size:           4
        .value_kind:     by_value
      - .actual_access:  read_only
        .address_space:  global
        .offset:         32
        .size:           8
        .value_kind:     global_buffer
      - .actual_access:  read_only
        .address_space:  global
        .offset:         40
        .size:           8
        .value_kind:     global_buffer
      - .actual_access:  read_only
        .address_space:  global
        .offset:         48
        .size:           8
        .value_kind:     global_buffer
      - .offset:         56
        .size:           4
        .value_kind:     by_value
      - .actual_access:  read_only
        .address_space:  global
        .offset:         64
        .size:           8
        .value_kind:     global_buffer
      - .offset:         72
        .size:           4
        .value_kind:     by_value
      - .offset:         76
        .size:           4
        .value_kind:     by_value
      - .offset:         80
        .size:           4
        .value_kind:     by_value
      - .actual_access:  write_only
        .address_space:  global
        .offset:         88
        .size:           8
        .value_kind:     global_buffer
      - .actual_access:  write_only
        .address_space:  global
        .offset:         96
        .size:           8
        .value_kind:     global_buffer
      - .actual_access:  write_only
        .address_space:  global
        .offset:         104
        .size:           8
        .value_kind:     global_buffer
      - .actual_access:  read_only
        .address_space:  global
        .offset:         112
        .size:           8
        .value_kind:     global_buffer
      - .offset:         120
        .size:           4
        .value_kind:     by_value
      - .address_space:  global
        .offset:         128
        .size:           8
        .value_kind:     global_buffer
      - .address_space:  global
        .offset:         136
        .size:           8
        .value_kind:     global_buffer
      - .offset:         144
        .size:           4
        .value_kind:     hidden_block_count_x
      - .offset:         148
        .size:           4
        .value_kind:     hidden_block_count_y
      - .offset:         152
        .size:           4
        .value_kind:     hidden_block_count_z
      - .offset:         156
        .size:           2
        .value_kind:     hidden_group_size_x
      - .offset:         158
        .size:           2
        .value_kind:     hidden_group_size_y
      - .offset:         160
        .size:           2
        .value_kind:     hidden_group_size_z
      - .offset:         162
        .size:           2
        .value_kind:     hidden_remainder_x
      - .offset:         164
        .size:           2
        .value_kind:     hidden_remainder_y
      - .offset:         166
        .size:           2
        .value_kind:     hidden_remainder_z
      - .offset:         184
        .size:           8
        .value_kind:     hidden_global_offset_x
      - .offset:         192
        .size:           8
        .value_kind:     hidden_global_offset_y
      - .offset:         200
        .size:           8
        .value_kind:     hidden_global_offset_z
      - .offset:         208
        .size:           2
        .value_kind:     hidden_grid_dims
    .group_segment_fixed_size: 17472
    .kernarg_segment_align: 8
    .kernarg_segment_size: 400
    .language:       OpenCL C
    .language_version:
      - 2
      - 0
    .max_flat_workgroup_size: 256
    .name:           _Z39paged_attention_ll4mi_QKV_mfma16_kernelI14__hip_bfloat16hLN4vllm18Fp8KVCacheDataTypeE1ES0_Li16ELi64ELi256ELb1ELi5EL8MFMAType0EEvPKT_PKT0_S9_ifPKiSB_SB_iPKfiiiPfSE_PS4_PT2_iSD_SD_
    .private_segment_fixed_size: 0
    .sgpr_count:     42
    .sgpr_spill_count: 0
    .symbol:         _Z39paged_attention_ll4mi_QKV_mfma16_kernelI14__hip_bfloat16hLN4vllm18Fp8KVCacheDataTypeE1ES0_Li16ELi64ELi256ELb1ELi5EL8MFMAType0EEvPKT_PKT0_S9_ifPKiSB_SB_iPKfiiiPfSE_PS4_PT2_iSD_SD_.kd
    .uniform_work_group_size: 1
    .uses_dynamic_stack: false
    .vgpr_count:     124
    .vgpr_spill_count: 0
    .wavefront_size: 32
    .workgroup_processor_mode: 1
  - .args:
      - .actual_access:  read_only
        .address_space:  global
        .offset:         0
        .size:           8
        .value_kind:     global_buffer
      - .actual_access:  read_only
        .address_space:  global
        .offset:         8
        .size:           8
        .value_kind:     global_buffer
      - .actual_access:  read_only
        .address_space:  global
        .offset:         16
        .size:           8
        .value_kind:     global_buffer
      - .offset:         24
        .size:           4
        .value_kind:     by_value
      - .offset:         28
        .size:           4
        .value_kind:     by_value
      - .actual_access:  read_only
        .address_space:  global
        .offset:         32
        .size:           8
        .value_kind:     global_buffer
      - .actual_access:  read_only
        .address_space:  global
        .offset:         40
        .size:           8
        .value_kind:     global_buffer
      - .actual_access:  read_only
        .address_space:  global
        .offset:         48
        .size:           8
        .value_kind:     global_buffer
      - .offset:         56
        .size:           4
        .value_kind:     by_value
      - .actual_access:  read_only
        .address_space:  global
        .offset:         64
        .size:           8
        .value_kind:     global_buffer
      - .offset:         72
        .size:           4
        .value_kind:     by_value
      - .offset:         76
        .size:           4
        .value_kind:     by_value
      - .offset:         80
        .size:           4
        .value_kind:     by_value
      - .actual_access:  write_only
        .address_space:  global
        .offset:         88
        .size:           8
        .value_kind:     global_buffer
      - .actual_access:  write_only
        .address_space:  global
        .offset:         96
        .size:           8
        .value_kind:     global_buffer
      - .actual_access:  write_only
        .address_space:  global
        .offset:         104
        .size:           8
        .value_kind:     global_buffer
      - .actual_access:  read_only
        .address_space:  global
        .offset:         112
        .size:           8
        .value_kind:     global_buffer
      - .offset:         120
        .size:           4
        .value_kind:     by_value
      - .address_space:  global
        .offset:         128
        .size:           8
        .value_kind:     global_buffer
      - .address_space:  global
        .offset:         136
        .size:           8
        .value_kind:     global_buffer
      - .offset:         144
        .size:           4
        .value_kind:     hidden_block_count_x
      - .offset:         148
        .size:           4
        .value_kind:     hidden_block_count_y
      - .offset:         152
        .size:           4
        .value_kind:     hidden_block_count_z
      - .offset:         156
        .size:           2
        .value_kind:     hidden_group_size_x
      - .offset:         158
        .size:           2
        .value_kind:     hidden_group_size_y
      - .offset:         160
        .size:           2
        .value_kind:     hidden_group_size_z
      - .offset:         162
        .size:           2
        .value_kind:     hidden_remainder_x
      - .offset:         164
        .size:           2
        .value_kind:     hidden_remainder_y
      - .offset:         166
        .size:           2
        .value_kind:     hidden_remainder_z
      - .offset:         184
        .size:           8
        .value_kind:     hidden_global_offset_x
      - .offset:         192
        .size:           8
        .value_kind:     hidden_global_offset_y
      - .offset:         200
        .size:           8
        .value_kind:     hidden_global_offset_z
      - .offset:         208
        .size:           2
        .value_kind:     hidden_grid_dims
    .group_segment_fixed_size: 17472
    .kernarg_segment_align: 8
    .kernarg_segment_size: 400
    .language:       OpenCL C
    .language_version:
      - 2
      - 0
    .max_flat_workgroup_size: 256
    .name:           _Z39paged_attention_ll4mi_QKV_mfma16_kernelI14__hip_bfloat16hLN4vllm18Fp8KVCacheDataTypeE1ES0_Li16ELi64ELi256ELb1ELi6EL8MFMAType0EEvPKT_PKT0_S9_ifPKiSB_SB_iPKfiiiPfSE_PS4_PT2_iSD_SD_
    .private_segment_fixed_size: 0
    .sgpr_count:     40
    .sgpr_spill_count: 0
    .symbol:         _Z39paged_attention_ll4mi_QKV_mfma16_kernelI14__hip_bfloat16hLN4vllm18Fp8KVCacheDataTypeE1ES0_Li16ELi64ELi256ELb1ELi6EL8MFMAType0EEvPKT_PKT0_S9_ifPKiSB_SB_iPKfiiiPfSE_PS4_PT2_iSD_SD_.kd
    .uniform_work_group_size: 1
    .uses_dynamic_stack: false
    .vgpr_count:     124
    .vgpr_spill_count: 0
    .wavefront_size: 32
    .workgroup_processor_mode: 1
  - .args:
      - .actual_access:  read_only
        .address_space:  global
        .offset:         0
        .size:           8
        .value_kind:     global_buffer
      - .actual_access:  read_only
        .address_space:  global
        .offset:         8
        .size:           8
        .value_kind:     global_buffer
      - .actual_access:  read_only
        .address_space:  global
        .offset:         16
        .size:           8
        .value_kind:     global_buffer
      - .offset:         24
        .size:           4
        .value_kind:     by_value
      - .offset:         28
        .size:           4
        .value_kind:     by_value
      - .actual_access:  read_only
        .address_space:  global
        .offset:         32
        .size:           8
        .value_kind:     global_buffer
      - .actual_access:  read_only
        .address_space:  global
        .offset:         40
        .size:           8
        .value_kind:     global_buffer
      - .actual_access:  read_only
        .address_space:  global
        .offset:         48
        .size:           8
        .value_kind:     global_buffer
      - .offset:         56
        .size:           4
        .value_kind:     by_value
      - .actual_access:  read_only
        .address_space:  global
        .offset:         64
        .size:           8
        .value_kind:     global_buffer
      - .offset:         72
        .size:           4
        .value_kind:     by_value
      - .offset:         76
        .size:           4
        .value_kind:     by_value
      - .offset:         80
        .size:           4
        .value_kind:     by_value
      - .actual_access:  write_only
        .address_space:  global
        .offset:         88
        .size:           8
        .value_kind:     global_buffer
      - .actual_access:  write_only
        .address_space:  global
        .offset:         96
        .size:           8
        .value_kind:     global_buffer
      - .actual_access:  write_only
        .address_space:  global
        .offset:         104
        .size:           8
        .value_kind:     global_buffer
      - .actual_access:  read_only
        .address_space:  global
        .offset:         112
        .size:           8
        .value_kind:     global_buffer
      - .offset:         120
        .size:           4
        .value_kind:     by_value
      - .address_space:  global
        .offset:         128
        .size:           8
        .value_kind:     global_buffer
      - .address_space:  global
        .offset:         136
        .size:           8
        .value_kind:     global_buffer
      - .offset:         144
        .size:           4
        .value_kind:     hidden_block_count_x
      - .offset:         148
        .size:           4
        .value_kind:     hidden_block_count_y
      - .offset:         152
        .size:           4
        .value_kind:     hidden_block_count_z
      - .offset:         156
        .size:           2
        .value_kind:     hidden_group_size_x
      - .offset:         158
        .size:           2
        .value_kind:     hidden_group_size_y
      - .offset:         160
        .size:           2
        .value_kind:     hidden_group_size_z
      - .offset:         162
        .size:           2
        .value_kind:     hidden_remainder_x
      - .offset:         164
        .size:           2
        .value_kind:     hidden_remainder_y
      - .offset:         166
        .size:           2
        .value_kind:     hidden_remainder_z
      - .offset:         184
        .size:           8
        .value_kind:     hidden_global_offset_x
      - .offset:         192
        .size:           8
        .value_kind:     hidden_global_offset_y
      - .offset:         200
        .size:           8
        .value_kind:     hidden_global_offset_z
      - .offset:         208
        .size:           2
        .value_kind:     hidden_grid_dims
    .group_segment_fixed_size: 17472
    .kernarg_segment_align: 8
    .kernarg_segment_size: 400
    .language:       OpenCL C
    .language_version:
      - 2
      - 0
    .max_flat_workgroup_size: 256
    .name:           _Z39paged_attention_ll4mi_QKV_mfma16_kernelI14__hip_bfloat16hLN4vllm18Fp8KVCacheDataTypeE1ES0_Li16ELi64ELi256ELb1ELi7EL8MFMAType0EEvPKT_PKT0_S9_ifPKiSB_SB_iPKfiiiPfSE_PS4_PT2_iSD_SD_
    .private_segment_fixed_size: 0
    .sgpr_count:     42
    .sgpr_spill_count: 0
    .symbol:         _Z39paged_attention_ll4mi_QKV_mfma16_kernelI14__hip_bfloat16hLN4vllm18Fp8KVCacheDataTypeE1ES0_Li16ELi64ELi256ELb1ELi7EL8MFMAType0EEvPKT_PKT0_S9_ifPKiSB_SB_iPKfiiiPfSE_PS4_PT2_iSD_SD_.kd
    .uniform_work_group_size: 1
    .uses_dynamic_stack: false
    .vgpr_count:     124
    .vgpr_spill_count: 0
    .wavefront_size: 32
    .workgroup_processor_mode: 1
  - .args:
      - .actual_access:  read_only
        .address_space:  global
        .offset:         0
        .size:           8
        .value_kind:     global_buffer
      - .actual_access:  read_only
        .address_space:  global
        .offset:         8
        .size:           8
        .value_kind:     global_buffer
      - .actual_access:  read_only
        .address_space:  global
        .offset:         16
        .size:           8
        .value_kind:     global_buffer
      - .offset:         24
        .size:           4
        .value_kind:     by_value
      - .offset:         28
        .size:           4
        .value_kind:     by_value
      - .actual_access:  read_only
        .address_space:  global
        .offset:         32
        .size:           8
        .value_kind:     global_buffer
      - .actual_access:  read_only
        .address_space:  global
        .offset:         40
        .size:           8
        .value_kind:     global_buffer
      - .actual_access:  read_only
        .address_space:  global
        .offset:         48
        .size:           8
        .value_kind:     global_buffer
      - .offset:         56
        .size:           4
        .value_kind:     by_value
      - .actual_access:  read_only
        .address_space:  global
        .offset:         64
        .size:           8
        .value_kind:     global_buffer
      - .offset:         72
        .size:           4
        .value_kind:     by_value
      - .offset:         76
        .size:           4
        .value_kind:     by_value
      - .offset:         80
        .size:           4
        .value_kind:     by_value
      - .actual_access:  write_only
        .address_space:  global
        .offset:         88
        .size:           8
        .value_kind:     global_buffer
      - .actual_access:  write_only
        .address_space:  global
        .offset:         96
        .size:           8
        .value_kind:     global_buffer
      - .actual_access:  write_only
        .address_space:  global
        .offset:         104
        .size:           8
        .value_kind:     global_buffer
      - .actual_access:  read_only
        .address_space:  global
        .offset:         112
        .size:           8
        .value_kind:     global_buffer
      - .offset:         120
        .size:           4
        .value_kind:     by_value
      - .address_space:  global
        .offset:         128
        .size:           8
        .value_kind:     global_buffer
      - .address_space:  global
        .offset:         136
        .size:           8
        .value_kind:     global_buffer
      - .offset:         144
        .size:           4
        .value_kind:     hidden_block_count_x
      - .offset:         148
        .size:           4
        .value_kind:     hidden_block_count_y
      - .offset:         152
        .size:           4
        .value_kind:     hidden_block_count_z
      - .offset:         156
        .size:           2
        .value_kind:     hidden_group_size_x
      - .offset:         158
        .size:           2
        .value_kind:     hidden_group_size_y
      - .offset:         160
        .size:           2
        .value_kind:     hidden_group_size_z
      - .offset:         162
        .size:           2
        .value_kind:     hidden_remainder_x
      - .offset:         164
        .size:           2
        .value_kind:     hidden_remainder_y
      - .offset:         166
        .size:           2
        .value_kind:     hidden_remainder_z
      - .offset:         184
        .size:           8
        .value_kind:     hidden_global_offset_x
      - .offset:         192
        .size:           8
        .value_kind:     hidden_global_offset_y
      - .offset:         200
        .size:           8
        .value_kind:     hidden_global_offset_z
      - .offset:         208
        .size:           2
        .value_kind:     hidden_grid_dims
    .group_segment_fixed_size: 17472
    .kernarg_segment_align: 8
    .kernarg_segment_size: 400
    .language:       OpenCL C
    .language_version:
      - 2
      - 0
    .max_flat_workgroup_size: 256
    .name:           _Z39paged_attention_ll4mi_QKV_mfma16_kernelI14__hip_bfloat16hLN4vllm18Fp8KVCacheDataTypeE1ES0_Li16ELi64ELi256ELb1ELi8EL8MFMAType0EEvPKT_PKT0_S9_ifPKiSB_SB_iPKfiiiPfSE_PS4_PT2_iSD_SD_
    .private_segment_fixed_size: 0
    .sgpr_count:     40
    .sgpr_spill_count: 0
    .symbol:         _Z39paged_attention_ll4mi_QKV_mfma16_kernelI14__hip_bfloat16hLN4vllm18Fp8KVCacheDataTypeE1ES0_Li16ELi64ELi256ELb1ELi8EL8MFMAType0EEvPKT_PKT0_S9_ifPKiSB_SB_iPKfiiiPfSE_PS4_PT2_iSD_SD_.kd
    .uniform_work_group_size: 1
    .uses_dynamic_stack: false
    .vgpr_count:     124
    .vgpr_spill_count: 0
    .wavefront_size: 32
    .workgroup_processor_mode: 1
  - .args:
      - .actual_access:  read_only
        .address_space:  global
        .offset:         0
        .size:           8
        .value_kind:     global_buffer
      - .actual_access:  read_only
        .address_space:  global
        .offset:         8
        .size:           8
        .value_kind:     global_buffer
      - .actual_access:  read_only
        .address_space:  global
        .offset:         16
        .size:           8
        .value_kind:     global_buffer
      - .offset:         24
        .size:           4
        .value_kind:     by_value
      - .offset:         28
        .size:           4
        .value_kind:     by_value
      - .actual_access:  read_only
        .address_space:  global
        .offset:         32
        .size:           8
        .value_kind:     global_buffer
      - .actual_access:  read_only
        .address_space:  global
        .offset:         40
        .size:           8
        .value_kind:     global_buffer
      - .actual_access:  read_only
        .address_space:  global
        .offset:         48
        .size:           8
        .value_kind:     global_buffer
      - .offset:         56
        .size:           4
        .value_kind:     by_value
      - .actual_access:  read_only
        .address_space:  global
        .offset:         64
        .size:           8
        .value_kind:     global_buffer
      - .offset:         72
        .size:           4
        .value_kind:     by_value
      - .offset:         76
        .size:           4
        .value_kind:     by_value
      - .offset:         80
        .size:           4
        .value_kind:     by_value
      - .actual_access:  write_only
        .address_space:  global
        .offset:         88
        .size:           8
        .value_kind:     global_buffer
      - .actual_access:  write_only
        .address_space:  global
        .offset:         96
        .size:           8
        .value_kind:     global_buffer
      - .actual_access:  write_only
        .address_space:  global
        .offset:         104
        .size:           8
        .value_kind:     global_buffer
      - .actual_access:  read_only
        .address_space:  global
        .offset:         112
        .size:           8
        .value_kind:     global_buffer
      - .offset:         120
        .size:           4
        .value_kind:     by_value
      - .address_space:  global
        .offset:         128
        .size:           8
        .value_kind:     global_buffer
      - .address_space:  global
        .offset:         136
        .size:           8
        .value_kind:     global_buffer
      - .offset:         144
        .size:           4
        .value_kind:     hidden_block_count_x
      - .offset:         148
        .size:           4
        .value_kind:     hidden_block_count_y
      - .offset:         152
        .size:           4
        .value_kind:     hidden_block_count_z
      - .offset:         156
        .size:           2
        .value_kind:     hidden_group_size_x
      - .offset:         158
        .size:           2
        .value_kind:     hidden_group_size_y
      - .offset:         160
        .size:           2
        .value_kind:     hidden_group_size_z
      - .offset:         162
        .size:           2
        .value_kind:     hidden_remainder_x
      - .offset:         164
        .size:           2
        .value_kind:     hidden_remainder_y
      - .offset:         166
        .size:           2
        .value_kind:     hidden_remainder_z
      - .offset:         184
        .size:           8
        .value_kind:     hidden_global_offset_x
      - .offset:         192
        .size:           8
        .value_kind:     hidden_global_offset_y
      - .offset:         200
        .size:           8
        .value_kind:     hidden_global_offset_z
      - .offset:         208
        .size:           2
        .value_kind:     hidden_grid_dims
    .group_segment_fixed_size: 17472
    .kernarg_segment_align: 8
    .kernarg_segment_size: 400
    .language:       OpenCL C
    .language_version:
      - 2
      - 0
    .max_flat_workgroup_size: 256
    .name:           _Z39paged_attention_ll4mi_QKV_mfma16_kernelI14__hip_bfloat16hLN4vllm18Fp8KVCacheDataTypeE1ES0_Li16ELi64ELi256ELb1ELi9EL8MFMAType0EEvPKT_PKT0_S9_ifPKiSB_SB_iPKfiiiPfSE_PS4_PT2_iSD_SD_
    .private_segment_fixed_size: 0
    .sgpr_count:     42
    .sgpr_spill_count: 0
    .symbol:         _Z39paged_attention_ll4mi_QKV_mfma16_kernelI14__hip_bfloat16hLN4vllm18Fp8KVCacheDataTypeE1ES0_Li16ELi64ELi256ELb1ELi9EL8MFMAType0EEvPKT_PKT0_S9_ifPKiSB_SB_iPKfiiiPfSE_PS4_PT2_iSD_SD_.kd
    .uniform_work_group_size: 1
    .uses_dynamic_stack: false
    .vgpr_count:     124
    .vgpr_spill_count: 0
    .wavefront_size: 32
    .workgroup_processor_mode: 1
  - .args:
      - .actual_access:  read_only
        .address_space:  global
        .offset:         0
        .size:           8
        .value_kind:     global_buffer
      - .actual_access:  read_only
        .address_space:  global
        .offset:         8
        .size:           8
        .value_kind:     global_buffer
      - .actual_access:  read_only
        .address_space:  global
        .offset:         16
        .size:           8
        .value_kind:     global_buffer
      - .offset:         24
        .size:           4
        .value_kind:     by_value
      - .offset:         28
        .size:           4
        .value_kind:     by_value
      - .actual_access:  read_only
        .address_space:  global
        .offset:         32
        .size:           8
        .value_kind:     global_buffer
      - .actual_access:  read_only
        .address_space:  global
        .offset:         40
        .size:           8
        .value_kind:     global_buffer
      - .actual_access:  read_only
        .address_space:  global
        .offset:         48
        .size:           8
        .value_kind:     global_buffer
      - .offset:         56
        .size:           4
        .value_kind:     by_value
      - .actual_access:  read_only
        .address_space:  global
        .offset:         64
        .size:           8
        .value_kind:     global_buffer
      - .offset:         72
        .size:           4
        .value_kind:     by_value
      - .offset:         76
        .size:           4
        .value_kind:     by_value
      - .offset:         80
        .size:           4
        .value_kind:     by_value
      - .actual_access:  write_only
        .address_space:  global
        .offset:         88
        .size:           8
        .value_kind:     global_buffer
      - .actual_access:  write_only
        .address_space:  global
        .offset:         96
        .size:           8
        .value_kind:     global_buffer
      - .actual_access:  write_only
        .address_space:  global
        .offset:         104
        .size:           8
        .value_kind:     global_buffer
      - .actual_access:  read_only
        .address_space:  global
        .offset:         112
        .size:           8
        .value_kind:     global_buffer
      - .offset:         120
        .size:           4
        .value_kind:     by_value
      - .address_space:  global
        .offset:         128
        .size:           8
        .value_kind:     global_buffer
      - .address_space:  global
        .offset:         136
        .size:           8
        .value_kind:     global_buffer
      - .offset:         144
        .size:           4
        .value_kind:     hidden_block_count_x
      - .offset:         148
        .size:           4
        .value_kind:     hidden_block_count_y
      - .offset:         152
        .size:           4
        .value_kind:     hidden_block_count_z
      - .offset:         156
        .size:           2
        .value_kind:     hidden_group_size_x
      - .offset:         158
        .size:           2
        .value_kind:     hidden_group_size_y
      - .offset:         160
        .size:           2
        .value_kind:     hidden_group_size_z
      - .offset:         162
        .size:           2
        .value_kind:     hidden_remainder_x
      - .offset:         164
        .size:           2
        .value_kind:     hidden_remainder_y
      - .offset:         166
        .size:           2
        .value_kind:     hidden_remainder_z
      - .offset:         184
        .size:           8
        .value_kind:     hidden_global_offset_x
      - .offset:         192
        .size:           8
        .value_kind:     hidden_global_offset_y
      - .offset:         200
        .size:           8
        .value_kind:     hidden_global_offset_z
      - .offset:         208
        .size:           2
        .value_kind:     hidden_grid_dims
    .group_segment_fixed_size: 17472
    .kernarg_segment_align: 8
    .kernarg_segment_size: 400
    .language:       OpenCL C
    .language_version:
      - 2
      - 0
    .max_flat_workgroup_size: 256
    .name:           _Z39paged_attention_ll4mi_QKV_mfma16_kernelI14__hip_bfloat16hLN4vllm18Fp8KVCacheDataTypeE1ES0_Li16ELi64ELi256ELb1ELi10EL8MFMAType0EEvPKT_PKT0_S9_ifPKiSB_SB_iPKfiiiPfSE_PS4_PT2_iSD_SD_
    .private_segment_fixed_size: 0
    .sgpr_count:     40
    .sgpr_spill_count: 0
    .symbol:         _Z39paged_attention_ll4mi_QKV_mfma16_kernelI14__hip_bfloat16hLN4vllm18Fp8KVCacheDataTypeE1ES0_Li16ELi64ELi256ELb1ELi10EL8MFMAType0EEvPKT_PKT0_S9_ifPKiSB_SB_iPKfiiiPfSE_PS4_PT2_iSD_SD_.kd
    .uniform_work_group_size: 1
    .uses_dynamic_stack: false
    .vgpr_count:     124
    .vgpr_spill_count: 0
    .wavefront_size: 32
    .workgroup_processor_mode: 1
  - .args:
      - .actual_access:  read_only
        .address_space:  global
        .offset:         0
        .size:           8
        .value_kind:     global_buffer
      - .actual_access:  read_only
        .address_space:  global
        .offset:         8
        .size:           8
        .value_kind:     global_buffer
      - .actual_access:  read_only
        .address_space:  global
        .offset:         16
        .size:           8
        .value_kind:     global_buffer
      - .offset:         24
        .size:           4
        .value_kind:     by_value
      - .offset:         28
        .size:           4
        .value_kind:     by_value
      - .actual_access:  read_only
        .address_space:  global
        .offset:         32
        .size:           8
        .value_kind:     global_buffer
      - .actual_access:  read_only
        .address_space:  global
        .offset:         40
        .size:           8
        .value_kind:     global_buffer
      - .actual_access:  read_only
        .address_space:  global
        .offset:         48
        .size:           8
        .value_kind:     global_buffer
      - .offset:         56
        .size:           4
        .value_kind:     by_value
      - .actual_access:  read_only
        .address_space:  global
        .offset:         64
        .size:           8
        .value_kind:     global_buffer
      - .offset:         72
        .size:           4
        .value_kind:     by_value
      - .offset:         76
        .size:           4
        .value_kind:     by_value
      - .offset:         80
        .size:           4
        .value_kind:     by_value
      - .actual_access:  write_only
        .address_space:  global
        .offset:         88
        .size:           8
        .value_kind:     global_buffer
      - .actual_access:  write_only
        .address_space:  global
        .offset:         96
        .size:           8
        .value_kind:     global_buffer
      - .actual_access:  write_only
        .address_space:  global
        .offset:         104
        .size:           8
        .value_kind:     global_buffer
      - .actual_access:  read_only
        .address_space:  global
        .offset:         112
        .size:           8
        .value_kind:     global_buffer
      - .offset:         120
        .size:           4
        .value_kind:     by_value
      - .address_space:  global
        .offset:         128
        .size:           8
        .value_kind:     global_buffer
      - .address_space:  global
        .offset:         136
        .size:           8
        .value_kind:     global_buffer
      - .offset:         144
        .size:           4
        .value_kind:     hidden_block_count_x
      - .offset:         148
        .size:           4
        .value_kind:     hidden_block_count_y
      - .offset:         152
        .size:           4
        .value_kind:     hidden_block_count_z
      - .offset:         156
        .size:           2
        .value_kind:     hidden_group_size_x
      - .offset:         158
        .size:           2
        .value_kind:     hidden_group_size_y
      - .offset:         160
        .size:           2
        .value_kind:     hidden_group_size_z
      - .offset:         162
        .size:           2
        .value_kind:     hidden_remainder_x
      - .offset:         164
        .size:           2
        .value_kind:     hidden_remainder_y
      - .offset:         166
        .size:           2
        .value_kind:     hidden_remainder_z
      - .offset:         184
        .size:           8
        .value_kind:     hidden_global_offset_x
      - .offset:         192
        .size:           8
        .value_kind:     hidden_global_offset_y
      - .offset:         200
        .size:           8
        .value_kind:     hidden_global_offset_z
      - .offset:         208
        .size:           2
        .value_kind:     hidden_grid_dims
    .group_segment_fixed_size: 17472
    .kernarg_segment_align: 8
    .kernarg_segment_size: 400
    .language:       OpenCL C
    .language_version:
      - 2
      - 0
    .max_flat_workgroup_size: 256
    .name:           _Z39paged_attention_ll4mi_QKV_mfma16_kernelI14__hip_bfloat16hLN4vllm18Fp8KVCacheDataTypeE1ES0_Li16ELi64ELi256ELb1ELi11EL8MFMAType0EEvPKT_PKT0_S9_ifPKiSB_SB_iPKfiiiPfSE_PS4_PT2_iSD_SD_
    .private_segment_fixed_size: 0
    .sgpr_count:     42
    .sgpr_spill_count: 0
    .symbol:         _Z39paged_attention_ll4mi_QKV_mfma16_kernelI14__hip_bfloat16hLN4vllm18Fp8KVCacheDataTypeE1ES0_Li16ELi64ELi256ELb1ELi11EL8MFMAType0EEvPKT_PKT0_S9_ifPKiSB_SB_iPKfiiiPfSE_PS4_PT2_iSD_SD_.kd
    .uniform_work_group_size: 1
    .uses_dynamic_stack: false
    .vgpr_count:     124
    .vgpr_spill_count: 0
    .wavefront_size: 32
    .workgroup_processor_mode: 1
  - .args:
      - .actual_access:  read_only
        .address_space:  global
        .offset:         0
        .size:           8
        .value_kind:     global_buffer
      - .actual_access:  read_only
        .address_space:  global
        .offset:         8
        .size:           8
        .value_kind:     global_buffer
      - .actual_access:  read_only
        .address_space:  global
        .offset:         16
        .size:           8
        .value_kind:     global_buffer
      - .offset:         24
        .size:           4
        .value_kind:     by_value
      - .offset:         28
        .size:           4
        .value_kind:     by_value
      - .actual_access:  read_only
        .address_space:  global
        .offset:         32
        .size:           8
        .value_kind:     global_buffer
      - .actual_access:  read_only
        .address_space:  global
        .offset:         40
        .size:           8
        .value_kind:     global_buffer
      - .actual_access:  read_only
        .address_space:  global
        .offset:         48
        .size:           8
        .value_kind:     global_buffer
      - .offset:         56
        .size:           4
        .value_kind:     by_value
      - .actual_access:  read_only
        .address_space:  global
        .offset:         64
        .size:           8
        .value_kind:     global_buffer
      - .offset:         72
        .size:           4
        .value_kind:     by_value
      - .offset:         76
        .size:           4
        .value_kind:     by_value
      - .offset:         80
        .size:           4
        .value_kind:     by_value
      - .actual_access:  write_only
        .address_space:  global
        .offset:         88
        .size:           8
        .value_kind:     global_buffer
      - .actual_access:  write_only
        .address_space:  global
        .offset:         96
        .size:           8
        .value_kind:     global_buffer
      - .actual_access:  write_only
        .address_space:  global
        .offset:         104
        .size:           8
        .value_kind:     global_buffer
      - .actual_access:  read_only
        .address_space:  global
        .offset:         112
        .size:           8
        .value_kind:     global_buffer
      - .offset:         120
        .size:           4
        .value_kind:     by_value
      - .address_space:  global
        .offset:         128
        .size:           8
        .value_kind:     global_buffer
      - .address_space:  global
        .offset:         136
        .size:           8
        .value_kind:     global_buffer
      - .offset:         144
        .size:           4
        .value_kind:     hidden_block_count_x
      - .offset:         148
        .size:           4
        .value_kind:     hidden_block_count_y
      - .offset:         152
        .size:           4
        .value_kind:     hidden_block_count_z
      - .offset:         156
        .size:           2
        .value_kind:     hidden_group_size_x
      - .offset:         158
        .size:           2
        .value_kind:     hidden_group_size_y
      - .offset:         160
        .size:           2
        .value_kind:     hidden_group_size_z
      - .offset:         162
        .size:           2
        .value_kind:     hidden_remainder_x
      - .offset:         164
        .size:           2
        .value_kind:     hidden_remainder_y
      - .offset:         166
        .size:           2
        .value_kind:     hidden_remainder_z
      - .offset:         184
        .size:           8
        .value_kind:     hidden_global_offset_x
      - .offset:         192
        .size:           8
        .value_kind:     hidden_global_offset_y
      - .offset:         200
        .size:           8
        .value_kind:     hidden_global_offset_z
      - .offset:         208
        .size:           2
        .value_kind:     hidden_grid_dims
    .group_segment_fixed_size: 17472
    .kernarg_segment_align: 8
    .kernarg_segment_size: 400
    .language:       OpenCL C
    .language_version:
      - 2
      - 0
    .max_flat_workgroup_size: 256
    .name:           _Z39paged_attention_ll4mi_QKV_mfma16_kernelI14__hip_bfloat16hLN4vllm18Fp8KVCacheDataTypeE1ES0_Li16ELi64ELi256ELb1ELi12EL8MFMAType0EEvPKT_PKT0_S9_ifPKiSB_SB_iPKfiiiPfSE_PS4_PT2_iSD_SD_
    .private_segment_fixed_size: 0
    .sgpr_count:     40
    .sgpr_spill_count: 0
    .symbol:         _Z39paged_attention_ll4mi_QKV_mfma16_kernelI14__hip_bfloat16hLN4vllm18Fp8KVCacheDataTypeE1ES0_Li16ELi64ELi256ELb1ELi12EL8MFMAType0EEvPKT_PKT0_S9_ifPKiSB_SB_iPKfiiiPfSE_PS4_PT2_iSD_SD_.kd
    .uniform_work_group_size: 1
    .uses_dynamic_stack: false
    .vgpr_count:     124
    .vgpr_spill_count: 0
    .wavefront_size: 32
    .workgroup_processor_mode: 1
  - .args:
      - .actual_access:  read_only
        .address_space:  global
        .offset:         0
        .size:           8
        .value_kind:     global_buffer
      - .actual_access:  read_only
        .address_space:  global
        .offset:         8
        .size:           8
        .value_kind:     global_buffer
      - .actual_access:  read_only
        .address_space:  global
        .offset:         16
        .size:           8
        .value_kind:     global_buffer
      - .offset:         24
        .size:           4
        .value_kind:     by_value
      - .offset:         28
        .size:           4
        .value_kind:     by_value
      - .actual_access:  read_only
        .address_space:  global
        .offset:         32
        .size:           8
        .value_kind:     global_buffer
      - .actual_access:  read_only
        .address_space:  global
        .offset:         40
        .size:           8
        .value_kind:     global_buffer
      - .actual_access:  read_only
        .address_space:  global
        .offset:         48
        .size:           8
        .value_kind:     global_buffer
      - .offset:         56
        .size:           4
        .value_kind:     by_value
      - .actual_access:  read_only
        .address_space:  global
        .offset:         64
        .size:           8
        .value_kind:     global_buffer
      - .offset:         72
        .size:           4
        .value_kind:     by_value
      - .offset:         76
        .size:           4
        .value_kind:     by_value
      - .offset:         80
        .size:           4
        .value_kind:     by_value
      - .actual_access:  write_only
        .address_space:  global
        .offset:         88
        .size:           8
        .value_kind:     global_buffer
      - .actual_access:  write_only
        .address_space:  global
        .offset:         96
        .size:           8
        .value_kind:     global_buffer
      - .actual_access:  write_only
        .address_space:  global
        .offset:         104
        .size:           8
        .value_kind:     global_buffer
      - .actual_access:  read_only
        .address_space:  global
        .offset:         112
        .size:           8
        .value_kind:     global_buffer
      - .offset:         120
        .size:           4
        .value_kind:     by_value
      - .address_space:  global
        .offset:         128
        .size:           8
        .value_kind:     global_buffer
      - .address_space:  global
        .offset:         136
        .size:           8
        .value_kind:     global_buffer
      - .offset:         144
        .size:           4
        .value_kind:     hidden_block_count_x
      - .offset:         148
        .size:           4
        .value_kind:     hidden_block_count_y
      - .offset:         152
        .size:           4
        .value_kind:     hidden_block_count_z
      - .offset:         156
        .size:           2
        .value_kind:     hidden_group_size_x
      - .offset:         158
        .size:           2
        .value_kind:     hidden_group_size_y
      - .offset:         160
        .size:           2
        .value_kind:     hidden_group_size_z
      - .offset:         162
        .size:           2
        .value_kind:     hidden_remainder_x
      - .offset:         164
        .size:           2
        .value_kind:     hidden_remainder_y
      - .offset:         166
        .size:           2
        .value_kind:     hidden_remainder_z
      - .offset:         184
        .size:           8
        .value_kind:     hidden_global_offset_x
      - .offset:         192
        .size:           8
        .value_kind:     hidden_global_offset_y
      - .offset:         200
        .size:           8
        .value_kind:     hidden_global_offset_z
      - .offset:         208
        .size:           2
        .value_kind:     hidden_grid_dims
    .group_segment_fixed_size: 17472
    .kernarg_segment_align: 8
    .kernarg_segment_size: 400
    .language:       OpenCL C
    .language_version:
      - 2
      - 0
    .max_flat_workgroup_size: 256
    .name:           _Z39paged_attention_ll4mi_QKV_mfma16_kernelI14__hip_bfloat16hLN4vllm18Fp8KVCacheDataTypeE1ES0_Li16ELi64ELi256ELb1ELi13EL8MFMAType0EEvPKT_PKT0_S9_ifPKiSB_SB_iPKfiiiPfSE_PS4_PT2_iSD_SD_
    .private_segment_fixed_size: 0
    .sgpr_count:     42
    .sgpr_spill_count: 0
    .symbol:         _Z39paged_attention_ll4mi_QKV_mfma16_kernelI14__hip_bfloat16hLN4vllm18Fp8KVCacheDataTypeE1ES0_Li16ELi64ELi256ELb1ELi13EL8MFMAType0EEvPKT_PKT0_S9_ifPKiSB_SB_iPKfiiiPfSE_PS4_PT2_iSD_SD_.kd
    .uniform_work_group_size: 1
    .uses_dynamic_stack: false
    .vgpr_count:     124
    .vgpr_spill_count: 0
    .wavefront_size: 32
    .workgroup_processor_mode: 1
  - .args:
      - .actual_access:  read_only
        .address_space:  global
        .offset:         0
        .size:           8
        .value_kind:     global_buffer
      - .actual_access:  read_only
        .address_space:  global
        .offset:         8
        .size:           8
        .value_kind:     global_buffer
      - .actual_access:  read_only
        .address_space:  global
        .offset:         16
        .size:           8
        .value_kind:     global_buffer
      - .offset:         24
        .size:           4
        .value_kind:     by_value
      - .offset:         28
        .size:           4
        .value_kind:     by_value
      - .actual_access:  read_only
        .address_space:  global
        .offset:         32
        .size:           8
        .value_kind:     global_buffer
      - .actual_access:  read_only
        .address_space:  global
        .offset:         40
        .size:           8
        .value_kind:     global_buffer
      - .actual_access:  read_only
        .address_space:  global
        .offset:         48
        .size:           8
        .value_kind:     global_buffer
      - .offset:         56
        .size:           4
        .value_kind:     by_value
      - .actual_access:  read_only
        .address_space:  global
        .offset:         64
        .size:           8
        .value_kind:     global_buffer
      - .offset:         72
        .size:           4
        .value_kind:     by_value
      - .offset:         76
        .size:           4
        .value_kind:     by_value
      - .offset:         80
        .size:           4
        .value_kind:     by_value
      - .actual_access:  write_only
        .address_space:  global
        .offset:         88
        .size:           8
        .value_kind:     global_buffer
      - .actual_access:  write_only
        .address_space:  global
        .offset:         96
        .size:           8
        .value_kind:     global_buffer
      - .actual_access:  write_only
        .address_space:  global
        .offset:         104
        .size:           8
        .value_kind:     global_buffer
      - .actual_access:  read_only
        .address_space:  global
        .offset:         112
        .size:           8
        .value_kind:     global_buffer
      - .offset:         120
        .size:           4
        .value_kind:     by_value
      - .address_space:  global
        .offset:         128
        .size:           8
        .value_kind:     global_buffer
      - .address_space:  global
        .offset:         136
        .size:           8
        .value_kind:     global_buffer
      - .offset:         144
        .size:           4
        .value_kind:     hidden_block_count_x
      - .offset:         148
        .size:           4
        .value_kind:     hidden_block_count_y
      - .offset:         152
        .size:           4
        .value_kind:     hidden_block_count_z
      - .offset:         156
        .size:           2
        .value_kind:     hidden_group_size_x
      - .offset:         158
        .size:           2
        .value_kind:     hidden_group_size_y
      - .offset:         160
        .size:           2
        .value_kind:     hidden_group_size_z
      - .offset:         162
        .size:           2
        .value_kind:     hidden_remainder_x
      - .offset:         164
        .size:           2
        .value_kind:     hidden_remainder_y
      - .offset:         166
        .size:           2
        .value_kind:     hidden_remainder_z
      - .offset:         184
        .size:           8
        .value_kind:     hidden_global_offset_x
      - .offset:         192
        .size:           8
        .value_kind:     hidden_global_offset_y
      - .offset:         200
        .size:           8
        .value_kind:     hidden_global_offset_z
      - .offset:         208
        .size:           2
        .value_kind:     hidden_grid_dims
    .group_segment_fixed_size: 17472
    .kernarg_segment_align: 8
    .kernarg_segment_size: 400
    .language:       OpenCL C
    .language_version:
      - 2
      - 0
    .max_flat_workgroup_size: 256
    .name:           _Z39paged_attention_ll4mi_QKV_mfma16_kernelI14__hip_bfloat16hLN4vllm18Fp8KVCacheDataTypeE1ES0_Li16ELi64ELi256ELb1ELi14EL8MFMAType0EEvPKT_PKT0_S9_ifPKiSB_SB_iPKfiiiPfSE_PS4_PT2_iSD_SD_
    .private_segment_fixed_size: 0
    .sgpr_count:     40
    .sgpr_spill_count: 0
    .symbol:         _Z39paged_attention_ll4mi_QKV_mfma16_kernelI14__hip_bfloat16hLN4vllm18Fp8KVCacheDataTypeE1ES0_Li16ELi64ELi256ELb1ELi14EL8MFMAType0EEvPKT_PKT0_S9_ifPKiSB_SB_iPKfiiiPfSE_PS4_PT2_iSD_SD_.kd
    .uniform_work_group_size: 1
    .uses_dynamic_stack: false
    .vgpr_count:     124
    .vgpr_spill_count: 0
    .wavefront_size: 32
    .workgroup_processor_mode: 1
  - .args:
      - .actual_access:  read_only
        .address_space:  global
        .offset:         0
        .size:           8
        .value_kind:     global_buffer
      - .actual_access:  read_only
        .address_space:  global
        .offset:         8
        .size:           8
        .value_kind:     global_buffer
      - .actual_access:  read_only
        .address_space:  global
        .offset:         16
        .size:           8
        .value_kind:     global_buffer
      - .offset:         24
        .size:           4
        .value_kind:     by_value
      - .offset:         28
        .size:           4
        .value_kind:     by_value
      - .actual_access:  read_only
        .address_space:  global
        .offset:         32
        .size:           8
        .value_kind:     global_buffer
      - .actual_access:  read_only
        .address_space:  global
        .offset:         40
        .size:           8
        .value_kind:     global_buffer
      - .actual_access:  read_only
        .address_space:  global
        .offset:         48
        .size:           8
        .value_kind:     global_buffer
      - .offset:         56
        .size:           4
        .value_kind:     by_value
      - .actual_access:  read_only
        .address_space:  global
        .offset:         64
        .size:           8
        .value_kind:     global_buffer
      - .offset:         72
        .size:           4
        .value_kind:     by_value
      - .offset:         76
        .size:           4
        .value_kind:     by_value
      - .offset:         80
        .size:           4
        .value_kind:     by_value
      - .actual_access:  write_only
        .address_space:  global
        .offset:         88
        .size:           8
        .value_kind:     global_buffer
      - .actual_access:  write_only
        .address_space:  global
        .offset:         96
        .size:           8
        .value_kind:     global_buffer
      - .actual_access:  write_only
        .address_space:  global
        .offset:         104
        .size:           8
        .value_kind:     global_buffer
      - .actual_access:  read_only
        .address_space:  global
        .offset:         112
        .size:           8
        .value_kind:     global_buffer
      - .offset:         120
        .size:           4
        .value_kind:     by_value
      - .address_space:  global
        .offset:         128
        .size:           8
        .value_kind:     global_buffer
      - .address_space:  global
        .offset:         136
        .size:           8
        .value_kind:     global_buffer
      - .offset:         144
        .size:           4
        .value_kind:     hidden_block_count_x
      - .offset:         148
        .size:           4
        .value_kind:     hidden_block_count_y
      - .offset:         152
        .size:           4
        .value_kind:     hidden_block_count_z
      - .offset:         156
        .size:           2
        .value_kind:     hidden_group_size_x
      - .offset:         158
        .size:           2
        .value_kind:     hidden_group_size_y
      - .offset:         160
        .size:           2
        .value_kind:     hidden_group_size_z
      - .offset:         162
        .size:           2
        .value_kind:     hidden_remainder_x
      - .offset:         164
        .size:           2
        .value_kind:     hidden_remainder_y
      - .offset:         166
        .size:           2
        .value_kind:     hidden_remainder_z
      - .offset:         184
        .size:           8
        .value_kind:     hidden_global_offset_x
      - .offset:         192
        .size:           8
        .value_kind:     hidden_global_offset_y
      - .offset:         200
        .size:           8
        .value_kind:     hidden_global_offset_z
      - .offset:         208
        .size:           2
        .value_kind:     hidden_grid_dims
    .group_segment_fixed_size: 17472
    .kernarg_segment_align: 8
    .kernarg_segment_size: 400
    .language:       OpenCL C
    .language_version:
      - 2
      - 0
    .max_flat_workgroup_size: 256
    .name:           _Z39paged_attention_ll4mi_QKV_mfma16_kernelI14__hip_bfloat16hLN4vllm18Fp8KVCacheDataTypeE1ES0_Li16ELi64ELi256ELb1ELi15EL8MFMAType0EEvPKT_PKT0_S9_ifPKiSB_SB_iPKfiiiPfSE_PS4_PT2_iSD_SD_
    .private_segment_fixed_size: 0
    .sgpr_count:     42
    .sgpr_spill_count: 0
    .symbol:         _Z39paged_attention_ll4mi_QKV_mfma16_kernelI14__hip_bfloat16hLN4vllm18Fp8KVCacheDataTypeE1ES0_Li16ELi64ELi256ELb1ELi15EL8MFMAType0EEvPKT_PKT0_S9_ifPKiSB_SB_iPKfiiiPfSE_PS4_PT2_iSD_SD_.kd
    .uniform_work_group_size: 1
    .uses_dynamic_stack: false
    .vgpr_count:     124
    .vgpr_spill_count: 0
    .wavefront_size: 32
    .workgroup_processor_mode: 1
  - .args:
      - .actual_access:  read_only
        .address_space:  global
        .offset:         0
        .size:           8
        .value_kind:     global_buffer
      - .actual_access:  read_only
        .address_space:  global
        .offset:         8
        .size:           8
        .value_kind:     global_buffer
      - .actual_access:  read_only
        .address_space:  global
        .offset:         16
        .size:           8
        .value_kind:     global_buffer
      - .offset:         24
        .size:           4
        .value_kind:     by_value
      - .offset:         28
        .size:           4
        .value_kind:     by_value
      - .actual_access:  read_only
        .address_space:  global
        .offset:         32
        .size:           8
        .value_kind:     global_buffer
      - .actual_access:  read_only
        .address_space:  global
        .offset:         40
        .size:           8
        .value_kind:     global_buffer
      - .actual_access:  read_only
        .address_space:  global
        .offset:         48
        .size:           8
        .value_kind:     global_buffer
      - .offset:         56
        .size:           4
        .value_kind:     by_value
      - .actual_access:  read_only
        .address_space:  global
        .offset:         64
        .size:           8
        .value_kind:     global_buffer
      - .offset:         72
        .size:           4
        .value_kind:     by_value
      - .offset:         76
        .size:           4
        .value_kind:     by_value
      - .offset:         80
        .size:           4
        .value_kind:     by_value
      - .actual_access:  write_only
        .address_space:  global
        .offset:         88
        .size:           8
        .value_kind:     global_buffer
      - .actual_access:  write_only
        .address_space:  global
        .offset:         96
        .size:           8
        .value_kind:     global_buffer
      - .actual_access:  write_only
        .address_space:  global
        .offset:         104
        .size:           8
        .value_kind:     global_buffer
      - .actual_access:  read_only
        .address_space:  global
        .offset:         112
        .size:           8
        .value_kind:     global_buffer
      - .offset:         120
        .size:           4
        .value_kind:     by_value
      - .address_space:  global
        .offset:         128
        .size:           8
        .value_kind:     global_buffer
      - .address_space:  global
        .offset:         136
        .size:           8
        .value_kind:     global_buffer
      - .offset:         144
        .size:           4
        .value_kind:     hidden_block_count_x
      - .offset:         148
        .size:           4
        .value_kind:     hidden_block_count_y
      - .offset:         152
        .size:           4
        .value_kind:     hidden_block_count_z
      - .offset:         156
        .size:           2
        .value_kind:     hidden_group_size_x
      - .offset:         158
        .size:           2
        .value_kind:     hidden_group_size_y
      - .offset:         160
        .size:           2
        .value_kind:     hidden_group_size_z
      - .offset:         162
        .size:           2
        .value_kind:     hidden_remainder_x
      - .offset:         164
        .size:           2
        .value_kind:     hidden_remainder_y
      - .offset:         166
        .size:           2
        .value_kind:     hidden_remainder_z
      - .offset:         184
        .size:           8
        .value_kind:     hidden_global_offset_x
      - .offset:         192
        .size:           8
        .value_kind:     hidden_global_offset_y
      - .offset:         200
        .size:           8
        .value_kind:     hidden_global_offset_z
      - .offset:         208
        .size:           2
        .value_kind:     hidden_grid_dims
    .group_segment_fixed_size: 17472
    .kernarg_segment_align: 8
    .kernarg_segment_size: 400
    .language:       OpenCL C
    .language_version:
      - 2
      - 0
    .max_flat_workgroup_size: 256
    .name:           _Z39paged_attention_ll4mi_QKV_mfma16_kernelI14__hip_bfloat16hLN4vllm18Fp8KVCacheDataTypeE1ES0_Li16ELi64ELi256ELb1ELi16EL8MFMAType0EEvPKT_PKT0_S9_ifPKiSB_SB_iPKfiiiPfSE_PS4_PT2_iSD_SD_
    .private_segment_fixed_size: 0
    .sgpr_count:     40
    .sgpr_spill_count: 0
    .symbol:         _Z39paged_attention_ll4mi_QKV_mfma16_kernelI14__hip_bfloat16hLN4vllm18Fp8KVCacheDataTypeE1ES0_Li16ELi64ELi256ELb1ELi16EL8MFMAType0EEvPKT_PKT0_S9_ifPKiSB_SB_iPKfiiiPfSE_PS4_PT2_iSD_SD_.kd
    .uniform_work_group_size: 1
    .uses_dynamic_stack: false
    .vgpr_count:     125
    .vgpr_spill_count: 0
    .wavefront_size: 32
    .workgroup_processor_mode: 1
  - .args:
      - .actual_access:  read_only
        .address_space:  global
        .offset:         0
        .size:           8
        .value_kind:     global_buffer
      - .actual_access:  read_only
        .address_space:  global
        .offset:         8
        .size:           8
        .value_kind:     global_buffer
      - .actual_access:  read_only
        .address_space:  global
        .offset:         16
        .size:           8
        .value_kind:     global_buffer
      - .offset:         24
        .size:           4
        .value_kind:     by_value
      - .offset:         28
        .size:           4
        .value_kind:     by_value
      - .actual_access:  read_only
        .address_space:  global
        .offset:         32
        .size:           8
        .value_kind:     global_buffer
      - .actual_access:  read_only
        .address_space:  global
        .offset:         40
        .size:           8
        .value_kind:     global_buffer
      - .actual_access:  read_only
        .address_space:  global
        .offset:         48
        .size:           8
        .value_kind:     global_buffer
      - .offset:         56
        .size:           4
        .value_kind:     by_value
      - .actual_access:  read_only
        .address_space:  global
        .offset:         64
        .size:           8
        .value_kind:     global_buffer
      - .offset:         72
        .size:           4
        .value_kind:     by_value
      - .offset:         76
        .size:           4
        .value_kind:     by_value
      - .offset:         80
        .size:           4
        .value_kind:     by_value
      - .actual_access:  write_only
        .address_space:  global
        .offset:         88
        .size:           8
        .value_kind:     global_buffer
      - .actual_access:  write_only
        .address_space:  global
        .offset:         96
        .size:           8
        .value_kind:     global_buffer
      - .actual_access:  write_only
        .address_space:  global
        .offset:         104
        .size:           8
        .value_kind:     global_buffer
      - .actual_access:  read_only
        .address_space:  global
        .offset:         112
        .size:           8
        .value_kind:     global_buffer
      - .offset:         120
        .size:           4
        .value_kind:     by_value
      - .address_space:  global
        .offset:         128
        .size:           8
        .value_kind:     global_buffer
      - .address_space:  global
        .offset:         136
        .size:           8
        .value_kind:     global_buffer
      - .offset:         144
        .size:           4
        .value_kind:     hidden_block_count_x
      - .offset:         148
        .size:           4
        .value_kind:     hidden_block_count_y
      - .offset:         152
        .size:           4
        .value_kind:     hidden_block_count_z
      - .offset:         156
        .size:           2
        .value_kind:     hidden_group_size_x
      - .offset:         158
        .size:           2
        .value_kind:     hidden_group_size_y
      - .offset:         160
        .size:           2
        .value_kind:     hidden_group_size_z
      - .offset:         162
        .size:           2
        .value_kind:     hidden_remainder_x
      - .offset:         164
        .size:           2
        .value_kind:     hidden_remainder_y
      - .offset:         166
        .size:           2
        .value_kind:     hidden_remainder_z
      - .offset:         184
        .size:           8
        .value_kind:     hidden_global_offset_x
      - .offset:         192
        .size:           8
        .value_kind:     hidden_global_offset_y
      - .offset:         200
        .size:           8
        .value_kind:     hidden_global_offset_z
      - .offset:         208
        .size:           2
        .value_kind:     hidden_grid_dims
    .group_segment_fixed_size: 17472
    .kernarg_segment_align: 8
    .kernarg_segment_size: 400
    .language:       OpenCL C
    .language_version:
      - 2
      - 0
    .max_flat_workgroup_size: 256
    .name:           _Z39paged_attention_ll4mi_QKV_mfma16_kernelI14__hip_bfloat16hLN4vllm18Fp8KVCacheDataTypeE1ES0_Li16ELi64ELi256ELb1ELi1EL8MFMAType0EEvPKT_PKT0_S9_ifPKiSB_SB_iPKfiiiPfSE_PS4_PT2_iSD_SD_
    .private_segment_fixed_size: 0
    .sgpr_count:     50
    .sgpr_spill_count: 0
    .symbol:         _Z39paged_attention_ll4mi_QKV_mfma16_kernelI14__hip_bfloat16hLN4vllm18Fp8KVCacheDataTypeE1ES0_Li16ELi64ELi256ELb1ELi1EL8MFMAType0EEvPKT_PKT0_S9_ifPKiSB_SB_iPKfiiiPfSE_PS4_PT2_iSD_SD_.kd
    .uniform_work_group_size: 1
    .uses_dynamic_stack: false
    .vgpr_count:     131
    .vgpr_spill_count: 0
    .wavefront_size: 32
    .workgroup_processor_mode: 1
  - .args:
      - .actual_access:  read_only
        .address_space:  global
        .offset:         0
        .size:           8
        .value_kind:     global_buffer
      - .actual_access:  read_only
        .address_space:  global
        .offset:         8
        .size:           8
        .value_kind:     global_buffer
      - .actual_access:  read_only
        .address_space:  global
        .offset:         16
        .size:           8
        .value_kind:     global_buffer
      - .offset:         24
        .size:           4
        .value_kind:     by_value
      - .offset:         28
        .size:           4
        .value_kind:     by_value
      - .actual_access:  read_only
        .address_space:  global
        .offset:         32
        .size:           8
        .value_kind:     global_buffer
      - .actual_access:  read_only
        .address_space:  global
        .offset:         40
        .size:           8
        .value_kind:     global_buffer
      - .actual_access:  read_only
        .address_space:  global
        .offset:         48
        .size:           8
        .value_kind:     global_buffer
      - .offset:         56
        .size:           4
        .value_kind:     by_value
      - .actual_access:  read_only
        .address_space:  global
        .offset:         64
        .size:           8
        .value_kind:     global_buffer
      - .offset:         72
        .size:           4
        .value_kind:     by_value
      - .offset:         76
        .size:           4
        .value_kind:     by_value
      - .offset:         80
        .size:           4
        .value_kind:     by_value
      - .actual_access:  write_only
        .address_space:  global
        .offset:         88
        .size:           8
        .value_kind:     global_buffer
      - .actual_access:  write_only
        .address_space:  global
        .offset:         96
        .size:           8
        .value_kind:     global_buffer
      - .actual_access:  write_only
        .address_space:  global
        .offset:         104
        .size:           8
        .value_kind:     global_buffer
      - .actual_access:  read_only
        .address_space:  global
        .offset:         112
        .size:           8
        .value_kind:     global_buffer
      - .offset:         120
        .size:           4
        .value_kind:     by_value
      - .address_space:  global
        .offset:         128
        .size:           8
        .value_kind:     global_buffer
      - .address_space:  global
        .offset:         136
        .size:           8
        .value_kind:     global_buffer
      - .offset:         144
        .size:           4
        .value_kind:     hidden_block_count_x
      - .offset:         148
        .size:           4
        .value_kind:     hidden_block_count_y
      - .offset:         152
        .size:           4
        .value_kind:     hidden_block_count_z
      - .offset:         156
        .size:           2
        .value_kind:     hidden_group_size_x
      - .offset:         158
        .size:           2
        .value_kind:     hidden_group_size_y
      - .offset:         160
        .size:           2
        .value_kind:     hidden_group_size_z
      - .offset:         162
        .size:           2
        .value_kind:     hidden_remainder_x
      - .offset:         164
        .size:           2
        .value_kind:     hidden_remainder_y
      - .offset:         166
        .size:           2
        .value_kind:     hidden_remainder_z
      - .offset:         184
        .size:           8
        .value_kind:     hidden_global_offset_x
      - .offset:         192
        .size:           8
        .value_kind:     hidden_global_offset_y
      - .offset:         200
        .size:           8
        .value_kind:     hidden_global_offset_z
      - .offset:         208
        .size:           2
        .value_kind:     hidden_grid_dims
    .group_segment_fixed_size: 17472
    .kernarg_segment_align: 8
    .kernarg_segment_size: 400
    .language:       OpenCL C
    .language_version:
      - 2
      - 0
    .max_flat_workgroup_size: 256
    .name:           _Z39paged_attention_ll4mi_QKV_mfma16_kernelI14__hip_bfloat16hLN4vllm18Fp8KVCacheDataTypeE1ES0_Li16ELi64ELi256ELb1ELi2EL8MFMAType0EEvPKT_PKT0_S9_ifPKiSB_SB_iPKfiiiPfSE_PS4_PT2_iSD_SD_
    .private_segment_fixed_size: 0
    .sgpr_count:     40
    .sgpr_spill_count: 0
    .symbol:         _Z39paged_attention_ll4mi_QKV_mfma16_kernelI14__hip_bfloat16hLN4vllm18Fp8KVCacheDataTypeE1ES0_Li16ELi64ELi256ELb1ELi2EL8MFMAType0EEvPKT_PKT0_S9_ifPKiSB_SB_iPKfiiiPfSE_PS4_PT2_iSD_SD_.kd
    .uniform_work_group_size: 1
    .uses_dynamic_stack: false
    .vgpr_count:     125
    .vgpr_spill_count: 0
    .wavefront_size: 32
    .workgroup_processor_mode: 1
  - .args:
      - .actual_access:  read_only
        .address_space:  global
        .offset:         0
        .size:           8
        .value_kind:     global_buffer
      - .actual_access:  read_only
        .address_space:  global
        .offset:         8
        .size:           8
        .value_kind:     global_buffer
      - .actual_access:  read_only
        .address_space:  global
        .offset:         16
        .size:           8
        .value_kind:     global_buffer
      - .offset:         24
        .size:           4
        .value_kind:     by_value
      - .offset:         28
        .size:           4
        .value_kind:     by_value
      - .actual_access:  read_only
        .address_space:  global
        .offset:         32
        .size:           8
        .value_kind:     global_buffer
      - .actual_access:  read_only
        .address_space:  global
        .offset:         40
        .size:           8
        .value_kind:     global_buffer
      - .actual_access:  read_only
        .address_space:  global
        .offset:         48
        .size:           8
        .value_kind:     global_buffer
      - .offset:         56
        .size:           4
        .value_kind:     by_value
      - .actual_access:  read_only
        .address_space:  global
        .offset:         64
        .size:           8
        .value_kind:     global_buffer
      - .offset:         72
        .size:           4
        .value_kind:     by_value
      - .offset:         76
        .size:           4
        .value_kind:     by_value
      - .offset:         80
        .size:           4
        .value_kind:     by_value
      - .actual_access:  write_only
        .address_space:  global
        .offset:         88
        .size:           8
        .value_kind:     global_buffer
      - .actual_access:  write_only
        .address_space:  global
        .offset:         96
        .size:           8
        .value_kind:     global_buffer
      - .actual_access:  write_only
        .address_space:  global
        .offset:         104
        .size:           8
        .value_kind:     global_buffer
      - .actual_access:  read_only
        .address_space:  global
        .offset:         112
        .size:           8
        .value_kind:     global_buffer
      - .offset:         120
        .size:           4
        .value_kind:     by_value
      - .address_space:  global
        .offset:         128
        .size:           8
        .value_kind:     global_buffer
      - .address_space:  global
        .offset:         136
        .size:           8
        .value_kind:     global_buffer
      - .offset:         144
        .size:           4
        .value_kind:     hidden_block_count_x
      - .offset:         148
        .size:           4
        .value_kind:     hidden_block_count_y
      - .offset:         152
        .size:           4
        .value_kind:     hidden_block_count_z
      - .offset:         156
        .size:           2
        .value_kind:     hidden_group_size_x
      - .offset:         158
        .size:           2
        .value_kind:     hidden_group_size_y
      - .offset:         160
        .size:           2
        .value_kind:     hidden_group_size_z
      - .offset:         162
        .size:           2
        .value_kind:     hidden_remainder_x
      - .offset:         164
        .size:           2
        .value_kind:     hidden_remainder_y
      - .offset:         166
        .size:           2
        .value_kind:     hidden_remainder_z
      - .offset:         184
        .size:           8
        .value_kind:     hidden_global_offset_x
      - .offset:         192
        .size:           8
        .value_kind:     hidden_global_offset_y
      - .offset:         200
        .size:           8
        .value_kind:     hidden_global_offset_z
      - .offset:         208
        .size:           2
        .value_kind:     hidden_grid_dims
    .group_segment_fixed_size: 17472
    .kernarg_segment_align: 8
    .kernarg_segment_size: 400
    .language:       OpenCL C
    .language_version:
      - 2
      - 0
    .max_flat_workgroup_size: 256
    .name:           _Z39paged_attention_ll4mi_QKV_mfma16_kernelI14__hip_bfloat16hLN4vllm18Fp8KVCacheDataTypeE1ES0_Li16ELi64ELi256ELb1ELi3EL8MFMAType0EEvPKT_PKT0_S9_ifPKiSB_SB_iPKfiiiPfSE_PS4_PT2_iSD_SD_
    .private_segment_fixed_size: 0
    .sgpr_count:     42
    .sgpr_spill_count: 0
    .symbol:         _Z39paged_attention_ll4mi_QKV_mfma16_kernelI14__hip_bfloat16hLN4vllm18Fp8KVCacheDataTypeE1ES0_Li16ELi64ELi256ELb1ELi3EL8MFMAType0EEvPKT_PKT0_S9_ifPKiSB_SB_iPKfiiiPfSE_PS4_PT2_iSD_SD_.kd
    .uniform_work_group_size: 1
    .uses_dynamic_stack: false
    .vgpr_count:     124
    .vgpr_spill_count: 0
    .wavefront_size: 32
    .workgroup_processor_mode: 1
  - .args:
      - .actual_access:  read_only
        .address_space:  global
        .offset:         0
        .size:           8
        .value_kind:     global_buffer
      - .actual_access:  read_only
        .address_space:  global
        .offset:         8
        .size:           8
        .value_kind:     global_buffer
      - .actual_access:  read_only
        .address_space:  global
        .offset:         16
        .size:           8
        .value_kind:     global_buffer
      - .offset:         24
        .size:           4
        .value_kind:     by_value
      - .offset:         28
        .size:           4
        .value_kind:     by_value
      - .actual_access:  read_only
        .address_space:  global
        .offset:         32
        .size:           8
        .value_kind:     global_buffer
      - .actual_access:  read_only
        .address_space:  global
        .offset:         40
        .size:           8
        .value_kind:     global_buffer
      - .actual_access:  read_only
        .address_space:  global
        .offset:         48
        .size:           8
        .value_kind:     global_buffer
      - .offset:         56
        .size:           4
        .value_kind:     by_value
      - .actual_access:  read_only
        .address_space:  global
        .offset:         64
        .size:           8
        .value_kind:     global_buffer
      - .offset:         72
        .size:           4
        .value_kind:     by_value
      - .offset:         76
        .size:           4
        .value_kind:     by_value
      - .offset:         80
        .size:           4
        .value_kind:     by_value
      - .actual_access:  write_only
        .address_space:  global
        .offset:         88
        .size:           8
        .value_kind:     global_buffer
      - .actual_access:  write_only
        .address_space:  global
        .offset:         96
        .size:           8
        .value_kind:     global_buffer
      - .actual_access:  write_only
        .address_space:  global
        .offset:         104
        .size:           8
        .value_kind:     global_buffer
      - .actual_access:  read_only
        .address_space:  global
        .offset:         112
        .size:           8
        .value_kind:     global_buffer
      - .offset:         120
        .size:           4
        .value_kind:     by_value
      - .address_space:  global
        .offset:         128
        .size:           8
        .value_kind:     global_buffer
      - .address_space:  global
        .offset:         136
        .size:           8
        .value_kind:     global_buffer
      - .offset:         144
        .size:           4
        .value_kind:     hidden_block_count_x
      - .offset:         148
        .size:           4
        .value_kind:     hidden_block_count_y
      - .offset:         152
        .size:           4
        .value_kind:     hidden_block_count_z
      - .offset:         156
        .size:           2
        .value_kind:     hidden_group_size_x
      - .offset:         158
        .size:           2
        .value_kind:     hidden_group_size_y
      - .offset:         160
        .size:           2
        .value_kind:     hidden_group_size_z
      - .offset:         162
        .size:           2
        .value_kind:     hidden_remainder_x
      - .offset:         164
        .size:           2
        .value_kind:     hidden_remainder_y
      - .offset:         166
        .size:           2
        .value_kind:     hidden_remainder_z
      - .offset:         184
        .size:           8
        .value_kind:     hidden_global_offset_x
      - .offset:         192
        .size:           8
        .value_kind:     hidden_global_offset_y
      - .offset:         200
        .size:           8
        .value_kind:     hidden_global_offset_z
      - .offset:         208
        .size:           2
        .value_kind:     hidden_grid_dims
    .group_segment_fixed_size: 17472
    .kernarg_segment_align: 8
    .kernarg_segment_size: 400
    .language:       OpenCL C
    .language_version:
      - 2
      - 0
    .max_flat_workgroup_size: 256
    .name:           _Z39paged_attention_ll4mi_QKV_mfma16_kernelI14__hip_bfloat16hLN4vllm18Fp8KVCacheDataTypeE1ES0_Li16ELi64ELi256ELb1ELi4EL8MFMAType0EEvPKT_PKT0_S9_ifPKiSB_SB_iPKfiiiPfSE_PS4_PT2_iSD_SD_
    .private_segment_fixed_size: 0
    .sgpr_count:     40
    .sgpr_spill_count: 0
    .symbol:         _Z39paged_attention_ll4mi_QKV_mfma16_kernelI14__hip_bfloat16hLN4vllm18Fp8KVCacheDataTypeE1ES0_Li16ELi64ELi256ELb1ELi4EL8MFMAType0EEvPKT_PKT0_S9_ifPKiSB_SB_iPKfiiiPfSE_PS4_PT2_iSD_SD_.kd
    .uniform_work_group_size: 1
    .uses_dynamic_stack: false
    .vgpr_count:     124
    .vgpr_spill_count: 0
    .wavefront_size: 32
    .workgroup_processor_mode: 1
  - .args:
      - .actual_access:  read_only
        .address_space:  global
        .offset:         0
        .size:           8
        .value_kind:     global_buffer
      - .actual_access:  read_only
        .address_space:  global
        .offset:         8
        .size:           8
        .value_kind:     global_buffer
      - .actual_access:  read_only
        .address_space:  global
        .offset:         16
        .size:           8
        .value_kind:     global_buffer
      - .offset:         24
        .size:           4
        .value_kind:     by_value
      - .offset:         28
        .size:           4
        .value_kind:     by_value
      - .actual_access:  read_only
        .address_space:  global
        .offset:         32
        .size:           8
        .value_kind:     global_buffer
      - .actual_access:  read_only
        .address_space:  global
        .offset:         40
        .size:           8
        .value_kind:     global_buffer
      - .actual_access:  read_only
        .address_space:  global
        .offset:         48
        .size:           8
        .value_kind:     global_buffer
      - .offset:         56
        .size:           4
        .value_kind:     by_value
      - .actual_access:  read_only
        .address_space:  global
        .offset:         64
        .size:           8
        .value_kind:     global_buffer
      - .offset:         72
        .size:           4
        .value_kind:     by_value
      - .offset:         76
        .size:           4
        .value_kind:     by_value
      - .offset:         80
        .size:           4
        .value_kind:     by_value
      - .actual_access:  write_only
        .address_space:  global
        .offset:         88
        .size:           8
        .value_kind:     global_buffer
      - .actual_access:  write_only
        .address_space:  global
        .offset:         96
        .size:           8
        .value_kind:     global_buffer
      - .actual_access:  write_only
        .address_space:  global
        .offset:         104
        .size:           8
        .value_kind:     global_buffer
      - .actual_access:  read_only
        .address_space:  global
        .offset:         112
        .size:           8
        .value_kind:     global_buffer
      - .offset:         120
        .size:           4
        .value_kind:     by_value
      - .address_space:  global
        .offset:         128
        .size:           8
        .value_kind:     global_buffer
      - .address_space:  global
        .offset:         136
        .size:           8
        .value_kind:     global_buffer
      - .offset:         144
        .size:           4
        .value_kind:     hidden_block_count_x
      - .offset:         148
        .size:           4
        .value_kind:     hidden_block_count_y
      - .offset:         152
        .size:           4
        .value_kind:     hidden_block_count_z
      - .offset:         156
        .size:           2
        .value_kind:     hidden_group_size_x
      - .offset:         158
        .size:           2
        .value_kind:     hidden_group_size_y
      - .offset:         160
        .size:           2
        .value_kind:     hidden_group_size_z
      - .offset:         162
        .size:           2
        .value_kind:     hidden_remainder_x
      - .offset:         164
        .size:           2
        .value_kind:     hidden_remainder_y
      - .offset:         166
        .size:           2
        .value_kind:     hidden_remainder_z
      - .offset:         184
        .size:           8
        .value_kind:     hidden_global_offset_x
      - .offset:         192
        .size:           8
        .value_kind:     hidden_global_offset_y
      - .offset:         200
        .size:           8
        .value_kind:     hidden_global_offset_z
      - .offset:         208
        .size:           2
        .value_kind:     hidden_grid_dims
    .group_segment_fixed_size: 17472
    .kernarg_segment_align: 8
    .kernarg_segment_size: 400
    .language:       OpenCL C
    .language_version:
      - 2
      - 0
    .max_flat_workgroup_size: 256
    .name:           _Z39paged_attention_ll4mi_QKV_mfma16_kernelI14__hip_bfloat16hLN4vllm18Fp8KVCacheDataTypeE1ES0_Li16ELi64ELi256ELb0ELi5EL8MFMAType0EEvPKT_PKT0_S9_ifPKiSB_SB_iPKfiiiPfSE_PS4_PT2_iSD_SD_
    .private_segment_fixed_size: 0
    .sgpr_count:     42
    .sgpr_spill_count: 0
    .symbol:         _Z39paged_attention_ll4mi_QKV_mfma16_kernelI14__hip_bfloat16hLN4vllm18Fp8KVCacheDataTypeE1ES0_Li16ELi64ELi256ELb0ELi5EL8MFMAType0EEvPKT_PKT0_S9_ifPKiSB_SB_iPKfiiiPfSE_PS4_PT2_iSD_SD_.kd
    .uniform_work_group_size: 1
    .uses_dynamic_stack: false
    .vgpr_count:     124
    .vgpr_spill_count: 0
    .wavefront_size: 32
    .workgroup_processor_mode: 1
  - .args:
      - .actual_access:  read_only
        .address_space:  global
        .offset:         0
        .size:           8
        .value_kind:     global_buffer
      - .actual_access:  read_only
        .address_space:  global
        .offset:         8
        .size:           8
        .value_kind:     global_buffer
      - .actual_access:  read_only
        .address_space:  global
        .offset:         16
        .size:           8
        .value_kind:     global_buffer
      - .offset:         24
        .size:           4
        .value_kind:     by_value
      - .offset:         28
        .size:           4
        .value_kind:     by_value
      - .actual_access:  read_only
        .address_space:  global
        .offset:         32
        .size:           8
        .value_kind:     global_buffer
      - .actual_access:  read_only
        .address_space:  global
        .offset:         40
        .size:           8
        .value_kind:     global_buffer
      - .actual_access:  read_only
        .address_space:  global
        .offset:         48
        .size:           8
        .value_kind:     global_buffer
      - .offset:         56
        .size:           4
        .value_kind:     by_value
      - .actual_access:  read_only
        .address_space:  global
        .offset:         64
        .size:           8
        .value_kind:     global_buffer
      - .offset:         72
        .size:           4
        .value_kind:     by_value
      - .offset:         76
        .size:           4
        .value_kind:     by_value
      - .offset:         80
        .size:           4
        .value_kind:     by_value
      - .actual_access:  write_only
        .address_space:  global
        .offset:         88
        .size:           8
        .value_kind:     global_buffer
      - .actual_access:  write_only
        .address_space:  global
        .offset:         96
        .size:           8
        .value_kind:     global_buffer
      - .actual_access:  write_only
        .address_space:  global
        .offset:         104
        .size:           8
        .value_kind:     global_buffer
      - .actual_access:  read_only
        .address_space:  global
        .offset:         112
        .size:           8
        .value_kind:     global_buffer
      - .offset:         120
        .size:           4
        .value_kind:     by_value
      - .address_space:  global
        .offset:         128
        .size:           8
        .value_kind:     global_buffer
      - .address_space:  global
        .offset:         136
        .size:           8
        .value_kind:     global_buffer
      - .offset:         144
        .size:           4
        .value_kind:     hidden_block_count_x
      - .offset:         148
        .size:           4
        .value_kind:     hidden_block_count_y
      - .offset:         152
        .size:           4
        .value_kind:     hidden_block_count_z
      - .offset:         156
        .size:           2
        .value_kind:     hidden_group_size_x
      - .offset:         158
        .size:           2
        .value_kind:     hidden_group_size_y
      - .offset:         160
        .size:           2
        .value_kind:     hidden_group_size_z
      - .offset:         162
        .size:           2
        .value_kind:     hidden_remainder_x
      - .offset:         164
        .size:           2
        .value_kind:     hidden_remainder_y
      - .offset:         166
        .size:           2
        .value_kind:     hidden_remainder_z
      - .offset:         184
        .size:           8
        .value_kind:     hidden_global_offset_x
      - .offset:         192
        .size:           8
        .value_kind:     hidden_global_offset_y
      - .offset:         200
        .size:           8
        .value_kind:     hidden_global_offset_z
      - .offset:         208
        .size:           2
        .value_kind:     hidden_grid_dims
    .group_segment_fixed_size: 17472
    .kernarg_segment_align: 8
    .kernarg_segment_size: 400
    .language:       OpenCL C
    .language_version:
      - 2
      - 0
    .max_flat_workgroup_size: 256
    .name:           _Z39paged_attention_ll4mi_QKV_mfma16_kernelI14__hip_bfloat16hLN4vllm18Fp8KVCacheDataTypeE1ES0_Li16ELi64ELi256ELb0ELi6EL8MFMAType0EEvPKT_PKT0_S9_ifPKiSB_SB_iPKfiiiPfSE_PS4_PT2_iSD_SD_
    .private_segment_fixed_size: 0
    .sgpr_count:     40
    .sgpr_spill_count: 0
    .symbol:         _Z39paged_attention_ll4mi_QKV_mfma16_kernelI14__hip_bfloat16hLN4vllm18Fp8KVCacheDataTypeE1ES0_Li16ELi64ELi256ELb0ELi6EL8MFMAType0EEvPKT_PKT0_S9_ifPKiSB_SB_iPKfiiiPfSE_PS4_PT2_iSD_SD_.kd
    .uniform_work_group_size: 1
    .uses_dynamic_stack: false
    .vgpr_count:     124
    .vgpr_spill_count: 0
    .wavefront_size: 32
    .workgroup_processor_mode: 1
  - .args:
      - .actual_access:  read_only
        .address_space:  global
        .offset:         0
        .size:           8
        .value_kind:     global_buffer
      - .actual_access:  read_only
        .address_space:  global
        .offset:         8
        .size:           8
        .value_kind:     global_buffer
      - .actual_access:  read_only
        .address_space:  global
        .offset:         16
        .size:           8
        .value_kind:     global_buffer
      - .offset:         24
        .size:           4
        .value_kind:     by_value
      - .offset:         28
        .size:           4
        .value_kind:     by_value
      - .actual_access:  read_only
        .address_space:  global
        .offset:         32
        .size:           8
        .value_kind:     global_buffer
      - .actual_access:  read_only
        .address_space:  global
        .offset:         40
        .size:           8
        .value_kind:     global_buffer
      - .actual_access:  read_only
        .address_space:  global
        .offset:         48
        .size:           8
        .value_kind:     global_buffer
      - .offset:         56
        .size:           4
        .value_kind:     by_value
      - .actual_access:  read_only
        .address_space:  global
        .offset:         64
        .size:           8
        .value_kind:     global_buffer
      - .offset:         72
        .size:           4
        .value_kind:     by_value
      - .offset:         76
        .size:           4
        .value_kind:     by_value
      - .offset:         80
        .size:           4
        .value_kind:     by_value
      - .actual_access:  write_only
        .address_space:  global
        .offset:         88
        .size:           8
        .value_kind:     global_buffer
      - .actual_access:  write_only
        .address_space:  global
        .offset:         96
        .size:           8
        .value_kind:     global_buffer
      - .actual_access:  write_only
        .address_space:  global
        .offset:         104
        .size:           8
        .value_kind:     global_buffer
      - .actual_access:  read_only
        .address_space:  global
        .offset:         112
        .size:           8
        .value_kind:     global_buffer
      - .offset:         120
        .size:           4
        .value_kind:     by_value
      - .address_space:  global
        .offset:         128
        .size:           8
        .value_kind:     global_buffer
      - .address_space:  global
        .offset:         136
        .size:           8
        .value_kind:     global_buffer
      - .offset:         144
        .size:           4
        .value_kind:     hidden_block_count_x
      - .offset:         148
        .size:           4
        .value_kind:     hidden_block_count_y
      - .offset:         152
        .size:           4
        .value_kind:     hidden_block_count_z
      - .offset:         156
        .size:           2
        .value_kind:     hidden_group_size_x
      - .offset:         158
        .size:           2
        .value_kind:     hidden_group_size_y
      - .offset:         160
        .size:           2
        .value_kind:     hidden_group_size_z
      - .offset:         162
        .size:           2
        .value_kind:     hidden_remainder_x
      - .offset:         164
        .size:           2
        .value_kind:     hidden_remainder_y
      - .offset:         166
        .size:           2
        .value_kind:     hidden_remainder_z
      - .offset:         184
        .size:           8
        .value_kind:     hidden_global_offset_x
      - .offset:         192
        .size:           8
        .value_kind:     hidden_global_offset_y
      - .offset:         200
        .size:           8
        .value_kind:     hidden_global_offset_z
      - .offset:         208
        .size:           2
        .value_kind:     hidden_grid_dims
    .group_segment_fixed_size: 17472
    .kernarg_segment_align: 8
    .kernarg_segment_size: 400
    .language:       OpenCL C
    .language_version:
      - 2
      - 0
    .max_flat_workgroup_size: 256
    .name:           _Z39paged_attention_ll4mi_QKV_mfma16_kernelI14__hip_bfloat16hLN4vllm18Fp8KVCacheDataTypeE1ES0_Li16ELi64ELi256ELb0ELi7EL8MFMAType0EEvPKT_PKT0_S9_ifPKiSB_SB_iPKfiiiPfSE_PS4_PT2_iSD_SD_
    .private_segment_fixed_size: 0
    .sgpr_count:     42
    .sgpr_spill_count: 0
    .symbol:         _Z39paged_attention_ll4mi_QKV_mfma16_kernelI14__hip_bfloat16hLN4vllm18Fp8KVCacheDataTypeE1ES0_Li16ELi64ELi256ELb0ELi7EL8MFMAType0EEvPKT_PKT0_S9_ifPKiSB_SB_iPKfiiiPfSE_PS4_PT2_iSD_SD_.kd
    .uniform_work_group_size: 1
    .uses_dynamic_stack: false
    .vgpr_count:     124
    .vgpr_spill_count: 0
    .wavefront_size: 32
    .workgroup_processor_mode: 1
  - .args:
      - .actual_access:  read_only
        .address_space:  global
        .offset:         0
        .size:           8
        .value_kind:     global_buffer
      - .actual_access:  read_only
        .address_space:  global
        .offset:         8
        .size:           8
        .value_kind:     global_buffer
      - .actual_access:  read_only
        .address_space:  global
        .offset:         16
        .size:           8
        .value_kind:     global_buffer
      - .offset:         24
        .size:           4
        .value_kind:     by_value
      - .offset:         28
        .size:           4
        .value_kind:     by_value
      - .actual_access:  read_only
        .address_space:  global
        .offset:         32
        .size:           8
        .value_kind:     global_buffer
      - .actual_access:  read_only
        .address_space:  global
        .offset:         40
        .size:           8
        .value_kind:     global_buffer
      - .actual_access:  read_only
        .address_space:  global
        .offset:         48
        .size:           8
        .value_kind:     global_buffer
      - .offset:         56
        .size:           4
        .value_kind:     by_value
      - .actual_access:  read_only
        .address_space:  global
        .offset:         64
        .size:           8
        .value_kind:     global_buffer
      - .offset:         72
        .size:           4
        .value_kind:     by_value
      - .offset:         76
        .size:           4
        .value_kind:     by_value
      - .offset:         80
        .size:           4
        .value_kind:     by_value
      - .actual_access:  write_only
        .address_space:  global
        .offset:         88
        .size:           8
        .value_kind:     global_buffer
      - .actual_access:  write_only
        .address_space:  global
        .offset:         96
        .size:           8
        .value_kind:     global_buffer
      - .actual_access:  write_only
        .address_space:  global
        .offset:         104
        .size:           8
        .value_kind:     global_buffer
      - .actual_access:  read_only
        .address_space:  global
        .offset:         112
        .size:           8
        .value_kind:     global_buffer
      - .offset:         120
        .size:           4
        .value_kind:     by_value
      - .address_space:  global
        .offset:         128
        .size:           8
        .value_kind:     global_buffer
      - .address_space:  global
        .offset:         136
        .size:           8
        .value_kind:     global_buffer
      - .offset:         144
        .size:           4
        .value_kind:     hidden_block_count_x
      - .offset:         148
        .size:           4
        .value_kind:     hidden_block_count_y
      - .offset:         152
        .size:           4
        .value_kind:     hidden_block_count_z
      - .offset:         156
        .size:           2
        .value_kind:     hidden_group_size_x
      - .offset:         158
        .size:           2
        .value_kind:     hidden_group_size_y
      - .offset:         160
        .size:           2
        .value_kind:     hidden_group_size_z
      - .offset:         162
        .size:           2
        .value_kind:     hidden_remainder_x
      - .offset:         164
        .size:           2
        .value_kind:     hidden_remainder_y
      - .offset:         166
        .size:           2
        .value_kind:     hidden_remainder_z
      - .offset:         184
        .size:           8
        .value_kind:     hidden_global_offset_x
      - .offset:         192
        .size:           8
        .value_kind:     hidden_global_offset_y
      - .offset:         200
        .size:           8
        .value_kind:     hidden_global_offset_z
      - .offset:         208
        .size:           2
        .value_kind:     hidden_grid_dims
    .group_segment_fixed_size: 17472
    .kernarg_segment_align: 8
    .kernarg_segment_size: 400
    .language:       OpenCL C
    .language_version:
      - 2
      - 0
    .max_flat_workgroup_size: 256
    .name:           _Z39paged_attention_ll4mi_QKV_mfma16_kernelI14__hip_bfloat16hLN4vllm18Fp8KVCacheDataTypeE1ES0_Li16ELi64ELi256ELb0ELi8EL8MFMAType0EEvPKT_PKT0_S9_ifPKiSB_SB_iPKfiiiPfSE_PS4_PT2_iSD_SD_
    .private_segment_fixed_size: 0
    .sgpr_count:     40
    .sgpr_spill_count: 0
    .symbol:         _Z39paged_attention_ll4mi_QKV_mfma16_kernelI14__hip_bfloat16hLN4vllm18Fp8KVCacheDataTypeE1ES0_Li16ELi64ELi256ELb0ELi8EL8MFMAType0EEvPKT_PKT0_S9_ifPKiSB_SB_iPKfiiiPfSE_PS4_PT2_iSD_SD_.kd
    .uniform_work_group_size: 1
    .uses_dynamic_stack: false
    .vgpr_count:     124
    .vgpr_spill_count: 0
    .wavefront_size: 32
    .workgroup_processor_mode: 1
  - .args:
      - .actual_access:  read_only
        .address_space:  global
        .offset:         0
        .size:           8
        .value_kind:     global_buffer
      - .actual_access:  read_only
        .address_space:  global
        .offset:         8
        .size:           8
        .value_kind:     global_buffer
      - .actual_access:  read_only
        .address_space:  global
        .offset:         16
        .size:           8
        .value_kind:     global_buffer
      - .offset:         24
        .size:           4
        .value_kind:     by_value
      - .offset:         28
        .size:           4
        .value_kind:     by_value
      - .actual_access:  read_only
        .address_space:  global
        .offset:         32
        .size:           8
        .value_kind:     global_buffer
      - .actual_access:  read_only
        .address_space:  global
        .offset:         40
        .size:           8
        .value_kind:     global_buffer
      - .actual_access:  read_only
        .address_space:  global
        .offset:         48
        .size:           8
        .value_kind:     global_buffer
      - .offset:         56
        .size:           4
        .value_kind:     by_value
      - .actual_access:  read_only
        .address_space:  global
        .offset:         64
        .size:           8
        .value_kind:     global_buffer
      - .offset:         72
        .size:           4
        .value_kind:     by_value
      - .offset:         76
        .size:           4
        .value_kind:     by_value
      - .offset:         80
        .size:           4
        .value_kind:     by_value
      - .actual_access:  write_only
        .address_space:  global
        .offset:         88
        .size:           8
        .value_kind:     global_buffer
      - .actual_access:  write_only
        .address_space:  global
        .offset:         96
        .size:           8
        .value_kind:     global_buffer
      - .actual_access:  write_only
        .address_space:  global
        .offset:         104
        .size:           8
        .value_kind:     global_buffer
      - .actual_access:  read_only
        .address_space:  global
        .offset:         112
        .size:           8
        .value_kind:     global_buffer
      - .offset:         120
        .size:           4
        .value_kind:     by_value
      - .address_space:  global
        .offset:         128
        .size:           8
        .value_kind:     global_buffer
      - .address_space:  global
        .offset:         136
        .size:           8
        .value_kind:     global_buffer
      - .offset:         144
        .size:           4
        .value_kind:     hidden_block_count_x
      - .offset:         148
        .size:           4
        .value_kind:     hidden_block_count_y
      - .offset:         152
        .size:           4
        .value_kind:     hidden_block_count_z
      - .offset:         156
        .size:           2
        .value_kind:     hidden_group_size_x
      - .offset:         158
        .size:           2
        .value_kind:     hidden_group_size_y
      - .offset:         160
        .size:           2
        .value_kind:     hidden_group_size_z
      - .offset:         162
        .size:           2
        .value_kind:     hidden_remainder_x
      - .offset:         164
        .size:           2
        .value_kind:     hidden_remainder_y
      - .offset:         166
        .size:           2
        .value_kind:     hidden_remainder_z
      - .offset:         184
        .size:           8
        .value_kind:     hidden_global_offset_x
      - .offset:         192
        .size:           8
        .value_kind:     hidden_global_offset_y
      - .offset:         200
        .size:           8
        .value_kind:     hidden_global_offset_z
      - .offset:         208
        .size:           2
        .value_kind:     hidden_grid_dims
    .group_segment_fixed_size: 17472
    .kernarg_segment_align: 8
    .kernarg_segment_size: 400
    .language:       OpenCL C
    .language_version:
      - 2
      - 0
    .max_flat_workgroup_size: 256
    .name:           _Z39paged_attention_ll4mi_QKV_mfma16_kernelI14__hip_bfloat16hLN4vllm18Fp8KVCacheDataTypeE1ES0_Li16ELi64ELi256ELb0ELi9EL8MFMAType0EEvPKT_PKT0_S9_ifPKiSB_SB_iPKfiiiPfSE_PS4_PT2_iSD_SD_
    .private_segment_fixed_size: 0
    .sgpr_count:     42
    .sgpr_spill_count: 0
    .symbol:         _Z39paged_attention_ll4mi_QKV_mfma16_kernelI14__hip_bfloat16hLN4vllm18Fp8KVCacheDataTypeE1ES0_Li16ELi64ELi256ELb0ELi9EL8MFMAType0EEvPKT_PKT0_S9_ifPKiSB_SB_iPKfiiiPfSE_PS4_PT2_iSD_SD_.kd
    .uniform_work_group_size: 1
    .uses_dynamic_stack: false
    .vgpr_count:     124
    .vgpr_spill_count: 0
    .wavefront_size: 32
    .workgroup_processor_mode: 1
  - .args:
      - .actual_access:  read_only
        .address_space:  global
        .offset:         0
        .size:           8
        .value_kind:     global_buffer
      - .actual_access:  read_only
        .address_space:  global
        .offset:         8
        .size:           8
        .value_kind:     global_buffer
      - .actual_access:  read_only
        .address_space:  global
        .offset:         16
        .size:           8
        .value_kind:     global_buffer
      - .offset:         24
        .size:           4
        .value_kind:     by_value
      - .offset:         28
        .size:           4
        .value_kind:     by_value
      - .actual_access:  read_only
        .address_space:  global
        .offset:         32
        .size:           8
        .value_kind:     global_buffer
      - .actual_access:  read_only
        .address_space:  global
        .offset:         40
        .size:           8
        .value_kind:     global_buffer
      - .actual_access:  read_only
        .address_space:  global
        .offset:         48
        .size:           8
        .value_kind:     global_buffer
      - .offset:         56
        .size:           4
        .value_kind:     by_value
      - .actual_access:  read_only
        .address_space:  global
        .offset:         64
        .size:           8
        .value_kind:     global_buffer
      - .offset:         72
        .size:           4
        .value_kind:     by_value
      - .offset:         76
        .size:           4
        .value_kind:     by_value
      - .offset:         80
        .size:           4
        .value_kind:     by_value
      - .actual_access:  write_only
        .address_space:  global
        .offset:         88
        .size:           8
        .value_kind:     global_buffer
      - .actual_access:  write_only
        .address_space:  global
        .offset:         96
        .size:           8
        .value_kind:     global_buffer
      - .actual_access:  write_only
        .address_space:  global
        .offset:         104
        .size:           8
        .value_kind:     global_buffer
      - .actual_access:  read_only
        .address_space:  global
        .offset:         112
        .size:           8
        .value_kind:     global_buffer
      - .offset:         120
        .size:           4
        .value_kind:     by_value
      - .address_space:  global
        .offset:         128
        .size:           8
        .value_kind:     global_buffer
      - .address_space:  global
        .offset:         136
        .size:           8
        .value_kind:     global_buffer
      - .offset:         144
        .size:           4
        .value_kind:     hidden_block_count_x
      - .offset:         148
        .size:           4
        .value_kind:     hidden_block_count_y
      - .offset:         152
        .size:           4
        .value_kind:     hidden_block_count_z
      - .offset:         156
        .size:           2
        .value_kind:     hidden_group_size_x
      - .offset:         158
        .size:           2
        .value_kind:     hidden_group_size_y
      - .offset:         160
        .size:           2
        .value_kind:     hidden_group_size_z
      - .offset:         162
        .size:           2
        .value_kind:     hidden_remainder_x
      - .offset:         164
        .size:           2
        .value_kind:     hidden_remainder_y
      - .offset:         166
        .size:           2
        .value_kind:     hidden_remainder_z
      - .offset:         184
        .size:           8
        .value_kind:     hidden_global_offset_x
      - .offset:         192
        .size:           8
        .value_kind:     hidden_global_offset_y
      - .offset:         200
        .size:           8
        .value_kind:     hidden_global_offset_z
      - .offset:         208
        .size:           2
        .value_kind:     hidden_grid_dims
    .group_segment_fixed_size: 17472
    .kernarg_segment_align: 8
    .kernarg_segment_size: 400
    .language:       OpenCL C
    .language_version:
      - 2
      - 0
    .max_flat_workgroup_size: 256
    .name:           _Z39paged_attention_ll4mi_QKV_mfma16_kernelI14__hip_bfloat16hLN4vllm18Fp8KVCacheDataTypeE1ES0_Li16ELi64ELi256ELb0ELi10EL8MFMAType0EEvPKT_PKT0_S9_ifPKiSB_SB_iPKfiiiPfSE_PS4_PT2_iSD_SD_
    .private_segment_fixed_size: 0
    .sgpr_count:     40
    .sgpr_spill_count: 0
    .symbol:         _Z39paged_attention_ll4mi_QKV_mfma16_kernelI14__hip_bfloat16hLN4vllm18Fp8KVCacheDataTypeE1ES0_Li16ELi64ELi256ELb0ELi10EL8MFMAType0EEvPKT_PKT0_S9_ifPKiSB_SB_iPKfiiiPfSE_PS4_PT2_iSD_SD_.kd
    .uniform_work_group_size: 1
    .uses_dynamic_stack: false
    .vgpr_count:     124
    .vgpr_spill_count: 0
    .wavefront_size: 32
    .workgroup_processor_mode: 1
  - .args:
      - .actual_access:  read_only
        .address_space:  global
        .offset:         0
        .size:           8
        .value_kind:     global_buffer
      - .actual_access:  read_only
        .address_space:  global
        .offset:         8
        .size:           8
        .value_kind:     global_buffer
      - .actual_access:  read_only
        .address_space:  global
        .offset:         16
        .size:           8
        .value_kind:     global_buffer
      - .offset:         24
        .size:           4
        .value_kind:     by_value
      - .offset:         28
        .size:           4
        .value_kind:     by_value
      - .actual_access:  read_only
        .address_space:  global
        .offset:         32
        .size:           8
        .value_kind:     global_buffer
      - .actual_access:  read_only
        .address_space:  global
        .offset:         40
        .size:           8
        .value_kind:     global_buffer
      - .actual_access:  read_only
        .address_space:  global
        .offset:         48
        .size:           8
        .value_kind:     global_buffer
      - .offset:         56
        .size:           4
        .value_kind:     by_value
      - .actual_access:  read_only
        .address_space:  global
        .offset:         64
        .size:           8
        .value_kind:     global_buffer
      - .offset:         72
        .size:           4
        .value_kind:     by_value
      - .offset:         76
        .size:           4
        .value_kind:     by_value
      - .offset:         80
        .size:           4
        .value_kind:     by_value
      - .actual_access:  write_only
        .address_space:  global
        .offset:         88
        .size:           8
        .value_kind:     global_buffer
      - .actual_access:  write_only
        .address_space:  global
        .offset:         96
        .size:           8
        .value_kind:     global_buffer
      - .actual_access:  write_only
        .address_space:  global
        .offset:         104
        .size:           8
        .value_kind:     global_buffer
      - .actual_access:  read_only
        .address_space:  global
        .offset:         112
        .size:           8
        .value_kind:     global_buffer
      - .offset:         120
        .size:           4
        .value_kind:     by_value
      - .address_space:  global
        .offset:         128
        .size:           8
        .value_kind:     global_buffer
      - .address_space:  global
        .offset:         136
        .size:           8
        .value_kind:     global_buffer
      - .offset:         144
        .size:           4
        .value_kind:     hidden_block_count_x
      - .offset:         148
        .size:           4
        .value_kind:     hidden_block_count_y
      - .offset:         152
        .size:           4
        .value_kind:     hidden_block_count_z
      - .offset:         156
        .size:           2
        .value_kind:     hidden_group_size_x
      - .offset:         158
        .size:           2
        .value_kind:     hidden_group_size_y
      - .offset:         160
        .size:           2
        .value_kind:     hidden_group_size_z
      - .offset:         162
        .size:           2
        .value_kind:     hidden_remainder_x
      - .offset:         164
        .size:           2
        .value_kind:     hidden_remainder_y
      - .offset:         166
        .size:           2
        .value_kind:     hidden_remainder_z
      - .offset:         184
        .size:           8
        .value_kind:     hidden_global_offset_x
      - .offset:         192
        .size:           8
        .value_kind:     hidden_global_offset_y
      - .offset:         200
        .size:           8
        .value_kind:     hidden_global_offset_z
      - .offset:         208
        .size:           2
        .value_kind:     hidden_grid_dims
    .group_segment_fixed_size: 17472
    .kernarg_segment_align: 8
    .kernarg_segment_size: 400
    .language:       OpenCL C
    .language_version:
      - 2
      - 0
    .max_flat_workgroup_size: 256
    .name:           _Z39paged_attention_ll4mi_QKV_mfma16_kernelI14__hip_bfloat16hLN4vllm18Fp8KVCacheDataTypeE1ES0_Li16ELi64ELi256ELb0ELi11EL8MFMAType0EEvPKT_PKT0_S9_ifPKiSB_SB_iPKfiiiPfSE_PS4_PT2_iSD_SD_
    .private_segment_fixed_size: 0
    .sgpr_count:     42
    .sgpr_spill_count: 0
    .symbol:         _Z39paged_attention_ll4mi_QKV_mfma16_kernelI14__hip_bfloat16hLN4vllm18Fp8KVCacheDataTypeE1ES0_Li16ELi64ELi256ELb0ELi11EL8MFMAType0EEvPKT_PKT0_S9_ifPKiSB_SB_iPKfiiiPfSE_PS4_PT2_iSD_SD_.kd
    .uniform_work_group_size: 1
    .uses_dynamic_stack: false
    .vgpr_count:     124
    .vgpr_spill_count: 0
    .wavefront_size: 32
    .workgroup_processor_mode: 1
  - .args:
      - .actual_access:  read_only
        .address_space:  global
        .offset:         0
        .size:           8
        .value_kind:     global_buffer
      - .actual_access:  read_only
        .address_space:  global
        .offset:         8
        .size:           8
        .value_kind:     global_buffer
      - .actual_access:  read_only
        .address_space:  global
        .offset:         16
        .size:           8
        .value_kind:     global_buffer
      - .offset:         24
        .size:           4
        .value_kind:     by_value
      - .offset:         28
        .size:           4
        .value_kind:     by_value
      - .actual_access:  read_only
        .address_space:  global
        .offset:         32
        .size:           8
        .value_kind:     global_buffer
      - .actual_access:  read_only
        .address_space:  global
        .offset:         40
        .size:           8
        .value_kind:     global_buffer
      - .actual_access:  read_only
        .address_space:  global
        .offset:         48
        .size:           8
        .value_kind:     global_buffer
      - .offset:         56
        .size:           4
        .value_kind:     by_value
      - .actual_access:  read_only
        .address_space:  global
        .offset:         64
        .size:           8
        .value_kind:     global_buffer
      - .offset:         72
        .size:           4
        .value_kind:     by_value
      - .offset:         76
        .size:           4
        .value_kind:     by_value
      - .offset:         80
        .size:           4
        .value_kind:     by_value
      - .actual_access:  write_only
        .address_space:  global
        .offset:         88
        .size:           8
        .value_kind:     global_buffer
      - .actual_access:  write_only
        .address_space:  global
        .offset:         96
        .size:           8
        .value_kind:     global_buffer
      - .actual_access:  write_only
        .address_space:  global
        .offset:         104
        .size:           8
        .value_kind:     global_buffer
      - .actual_access:  read_only
        .address_space:  global
        .offset:         112
        .size:           8
        .value_kind:     global_buffer
      - .offset:         120
        .size:           4
        .value_kind:     by_value
      - .address_space:  global
        .offset:         128
        .size:           8
        .value_kind:     global_buffer
      - .address_space:  global
        .offset:         136
        .size:           8
        .value_kind:     global_buffer
      - .offset:         144
        .size:           4
        .value_kind:     hidden_block_count_x
      - .offset:         148
        .size:           4
        .value_kind:     hidden_block_count_y
      - .offset:         152
        .size:           4
        .value_kind:     hidden_block_count_z
      - .offset:         156
        .size:           2
        .value_kind:     hidden_group_size_x
      - .offset:         158
        .size:           2
        .value_kind:     hidden_group_size_y
      - .offset:         160
        .size:           2
        .value_kind:     hidden_group_size_z
      - .offset:         162
        .size:           2
        .value_kind:     hidden_remainder_x
      - .offset:         164
        .size:           2
        .value_kind:     hidden_remainder_y
      - .offset:         166
        .size:           2
        .value_kind:     hidden_remainder_z
      - .offset:         184
        .size:           8
        .value_kind:     hidden_global_offset_x
      - .offset:         192
        .size:           8
        .value_kind:     hidden_global_offset_y
      - .offset:         200
        .size:           8
        .value_kind:     hidden_global_offset_z
      - .offset:         208
        .size:           2
        .value_kind:     hidden_grid_dims
    .group_segment_fixed_size: 17472
    .kernarg_segment_align: 8
    .kernarg_segment_size: 400
    .language:       OpenCL C
    .language_version:
      - 2
      - 0
    .max_flat_workgroup_size: 256
    .name:           _Z39paged_attention_ll4mi_QKV_mfma16_kernelI14__hip_bfloat16hLN4vllm18Fp8KVCacheDataTypeE1ES0_Li16ELi64ELi256ELb0ELi12EL8MFMAType0EEvPKT_PKT0_S9_ifPKiSB_SB_iPKfiiiPfSE_PS4_PT2_iSD_SD_
    .private_segment_fixed_size: 0
    .sgpr_count:     40
    .sgpr_spill_count: 0
    .symbol:         _Z39paged_attention_ll4mi_QKV_mfma16_kernelI14__hip_bfloat16hLN4vllm18Fp8KVCacheDataTypeE1ES0_Li16ELi64ELi256ELb0ELi12EL8MFMAType0EEvPKT_PKT0_S9_ifPKiSB_SB_iPKfiiiPfSE_PS4_PT2_iSD_SD_.kd
    .uniform_work_group_size: 1
    .uses_dynamic_stack: false
    .vgpr_count:     124
    .vgpr_spill_count: 0
    .wavefront_size: 32
    .workgroup_processor_mode: 1
  - .args:
      - .actual_access:  read_only
        .address_space:  global
        .offset:         0
        .size:           8
        .value_kind:     global_buffer
      - .actual_access:  read_only
        .address_space:  global
        .offset:         8
        .size:           8
        .value_kind:     global_buffer
      - .actual_access:  read_only
        .address_space:  global
        .offset:         16
        .size:           8
        .value_kind:     global_buffer
      - .offset:         24
        .size:           4
        .value_kind:     by_value
      - .offset:         28
        .size:           4
        .value_kind:     by_value
      - .actual_access:  read_only
        .address_space:  global
        .offset:         32
        .size:           8
        .value_kind:     global_buffer
      - .actual_access:  read_only
        .address_space:  global
        .offset:         40
        .size:           8
        .value_kind:     global_buffer
      - .actual_access:  read_only
        .address_space:  global
        .offset:         48
        .size:           8
        .value_kind:     global_buffer
      - .offset:         56
        .size:           4
        .value_kind:     by_value
      - .actual_access:  read_only
        .address_space:  global
        .offset:         64
        .size:           8
        .value_kind:     global_buffer
      - .offset:         72
        .size:           4
        .value_kind:     by_value
      - .offset:         76
        .size:           4
        .value_kind:     by_value
      - .offset:         80
        .size:           4
        .value_kind:     by_value
      - .actual_access:  write_only
        .address_space:  global
        .offset:         88
        .size:           8
        .value_kind:     global_buffer
      - .actual_access:  write_only
        .address_space:  global
        .offset:         96
        .size:           8
        .value_kind:     global_buffer
      - .actual_access:  write_only
        .address_space:  global
        .offset:         104
        .size:           8
        .value_kind:     global_buffer
      - .actual_access:  read_only
        .address_space:  global
        .offset:         112
        .size:           8
        .value_kind:     global_buffer
      - .offset:         120
        .size:           4
        .value_kind:     by_value
      - .address_space:  global
        .offset:         128
        .size:           8
        .value_kind:     global_buffer
      - .address_space:  global
        .offset:         136
        .size:           8
        .value_kind:     global_buffer
      - .offset:         144
        .size:           4
        .value_kind:     hidden_block_count_x
      - .offset:         148
        .size:           4
        .value_kind:     hidden_block_count_y
      - .offset:         152
        .size:           4
        .value_kind:     hidden_block_count_z
      - .offset:         156
        .size:           2
        .value_kind:     hidden_group_size_x
      - .offset:         158
        .size:           2
        .value_kind:     hidden_group_size_y
      - .offset:         160
        .size:           2
        .value_kind:     hidden_group_size_z
      - .offset:         162
        .size:           2
        .value_kind:     hidden_remainder_x
      - .offset:         164
        .size:           2
        .value_kind:     hidden_remainder_y
      - .offset:         166
        .size:           2
        .value_kind:     hidden_remainder_z
      - .offset:         184
        .size:           8
        .value_kind:     hidden_global_offset_x
      - .offset:         192
        .size:           8
        .value_kind:     hidden_global_offset_y
      - .offset:         200
        .size:           8
        .value_kind:     hidden_global_offset_z
      - .offset:         208
        .size:           2
        .value_kind:     hidden_grid_dims
    .group_segment_fixed_size: 17472
    .kernarg_segment_align: 8
    .kernarg_segment_size: 400
    .language:       OpenCL C
    .language_version:
      - 2
      - 0
    .max_flat_workgroup_size: 256
    .name:           _Z39paged_attention_ll4mi_QKV_mfma16_kernelI14__hip_bfloat16hLN4vllm18Fp8KVCacheDataTypeE1ES0_Li16ELi64ELi256ELb0ELi13EL8MFMAType0EEvPKT_PKT0_S9_ifPKiSB_SB_iPKfiiiPfSE_PS4_PT2_iSD_SD_
    .private_segment_fixed_size: 0
    .sgpr_count:     42
    .sgpr_spill_count: 0
    .symbol:         _Z39paged_attention_ll4mi_QKV_mfma16_kernelI14__hip_bfloat16hLN4vllm18Fp8KVCacheDataTypeE1ES0_Li16ELi64ELi256ELb0ELi13EL8MFMAType0EEvPKT_PKT0_S9_ifPKiSB_SB_iPKfiiiPfSE_PS4_PT2_iSD_SD_.kd
    .uniform_work_group_size: 1
    .uses_dynamic_stack: false
    .vgpr_count:     124
    .vgpr_spill_count: 0
    .wavefront_size: 32
    .workgroup_processor_mode: 1
  - .args:
      - .actual_access:  read_only
        .address_space:  global
        .offset:         0
        .size:           8
        .value_kind:     global_buffer
      - .actual_access:  read_only
        .address_space:  global
        .offset:         8
        .size:           8
        .value_kind:     global_buffer
      - .actual_access:  read_only
        .address_space:  global
        .offset:         16
        .size:           8
        .value_kind:     global_buffer
      - .offset:         24
        .size:           4
        .value_kind:     by_value
      - .offset:         28
        .size:           4
        .value_kind:     by_value
      - .actual_access:  read_only
        .address_space:  global
        .offset:         32
        .size:           8
        .value_kind:     global_buffer
      - .actual_access:  read_only
        .address_space:  global
        .offset:         40
        .size:           8
        .value_kind:     global_buffer
      - .actual_access:  read_only
        .address_space:  global
        .offset:         48
        .size:           8
        .value_kind:     global_buffer
      - .offset:         56
        .size:           4
        .value_kind:     by_value
      - .actual_access:  read_only
        .address_space:  global
        .offset:         64
        .size:           8
        .value_kind:     global_buffer
      - .offset:         72
        .size:           4
        .value_kind:     by_value
      - .offset:         76
        .size:           4
        .value_kind:     by_value
      - .offset:         80
        .size:           4
        .value_kind:     by_value
      - .actual_access:  write_only
        .address_space:  global
        .offset:         88
        .size:           8
        .value_kind:     global_buffer
      - .actual_access:  write_only
        .address_space:  global
        .offset:         96
        .size:           8
        .value_kind:     global_buffer
      - .actual_access:  write_only
        .address_space:  global
        .offset:         104
        .size:           8
        .value_kind:     global_buffer
      - .actual_access:  read_only
        .address_space:  global
        .offset:         112
        .size:           8
        .value_kind:     global_buffer
      - .offset:         120
        .size:           4
        .value_kind:     by_value
      - .address_space:  global
        .offset:         128
        .size:           8
        .value_kind:     global_buffer
      - .address_space:  global
        .offset:         136
        .size:           8
        .value_kind:     global_buffer
      - .offset:         144
        .size:           4
        .value_kind:     hidden_block_count_x
      - .offset:         148
        .size:           4
        .value_kind:     hidden_block_count_y
      - .offset:         152
        .size:           4
        .value_kind:     hidden_block_count_z
      - .offset:         156
        .size:           2
        .value_kind:     hidden_group_size_x
      - .offset:         158
        .size:           2
        .value_kind:     hidden_group_size_y
      - .offset:         160
        .size:           2
        .value_kind:     hidden_group_size_z
      - .offset:         162
        .size:           2
        .value_kind:     hidden_remainder_x
      - .offset:         164
        .size:           2
        .value_kind:     hidden_remainder_y
      - .offset:         166
        .size:           2
        .value_kind:     hidden_remainder_z
      - .offset:         184
        .size:           8
        .value_kind:     hidden_global_offset_x
      - .offset:         192
        .size:           8
        .value_kind:     hidden_global_offset_y
      - .offset:         200
        .size:           8
        .value_kind:     hidden_global_offset_z
      - .offset:         208
        .size:           2
        .value_kind:     hidden_grid_dims
    .group_segment_fixed_size: 17472
    .kernarg_segment_align: 8
    .kernarg_segment_size: 400
    .language:       OpenCL C
    .language_version:
      - 2
      - 0
    .max_flat_workgroup_size: 256
    .name:           _Z39paged_attention_ll4mi_QKV_mfma16_kernelI14__hip_bfloat16hLN4vllm18Fp8KVCacheDataTypeE1ES0_Li16ELi64ELi256ELb0ELi14EL8MFMAType0EEvPKT_PKT0_S9_ifPKiSB_SB_iPKfiiiPfSE_PS4_PT2_iSD_SD_
    .private_segment_fixed_size: 0
    .sgpr_count:     40
    .sgpr_spill_count: 0
    .symbol:         _Z39paged_attention_ll4mi_QKV_mfma16_kernelI14__hip_bfloat16hLN4vllm18Fp8KVCacheDataTypeE1ES0_Li16ELi64ELi256ELb0ELi14EL8MFMAType0EEvPKT_PKT0_S9_ifPKiSB_SB_iPKfiiiPfSE_PS4_PT2_iSD_SD_.kd
    .uniform_work_group_size: 1
    .uses_dynamic_stack: false
    .vgpr_count:     124
    .vgpr_spill_count: 0
    .wavefront_size: 32
    .workgroup_processor_mode: 1
  - .args:
      - .actual_access:  read_only
        .address_space:  global
        .offset:         0
        .size:           8
        .value_kind:     global_buffer
      - .actual_access:  read_only
        .address_space:  global
        .offset:         8
        .size:           8
        .value_kind:     global_buffer
      - .actual_access:  read_only
        .address_space:  global
        .offset:         16
        .size:           8
        .value_kind:     global_buffer
      - .offset:         24
        .size:           4
        .value_kind:     by_value
      - .offset:         28
        .size:           4
        .value_kind:     by_value
      - .actual_access:  read_only
        .address_space:  global
        .offset:         32
        .size:           8
        .value_kind:     global_buffer
      - .actual_access:  read_only
        .address_space:  global
        .offset:         40
        .size:           8
        .value_kind:     global_buffer
      - .actual_access:  read_only
        .address_space:  global
        .offset:         48
        .size:           8
        .value_kind:     global_buffer
      - .offset:         56
        .size:           4
        .value_kind:     by_value
      - .actual_access:  read_only
        .address_space:  global
        .offset:         64
        .size:           8
        .value_kind:     global_buffer
      - .offset:         72
        .size:           4
        .value_kind:     by_value
      - .offset:         76
        .size:           4
        .value_kind:     by_value
      - .offset:         80
        .size:           4
        .value_kind:     by_value
      - .actual_access:  write_only
        .address_space:  global
        .offset:         88
        .size:           8
        .value_kind:     global_buffer
      - .actual_access:  write_only
        .address_space:  global
        .offset:         96
        .size:           8
        .value_kind:     global_buffer
      - .actual_access:  write_only
        .address_space:  global
        .offset:         104
        .size:           8
        .value_kind:     global_buffer
      - .actual_access:  read_only
        .address_space:  global
        .offset:         112
        .size:           8
        .value_kind:     global_buffer
      - .offset:         120
        .size:           4
        .value_kind:     by_value
      - .address_space:  global
        .offset:         128
        .size:           8
        .value_kind:     global_buffer
      - .address_space:  global
        .offset:         136
        .size:           8
        .value_kind:     global_buffer
      - .offset:         144
        .size:           4
        .value_kind:     hidden_block_count_x
      - .offset:         148
        .size:           4
        .value_kind:     hidden_block_count_y
      - .offset:         152
        .size:           4
        .value_kind:     hidden_block_count_z
      - .offset:         156
        .size:           2
        .value_kind:     hidden_group_size_x
      - .offset:         158
        .size:           2
        .value_kind:     hidden_group_size_y
      - .offset:         160
        .size:           2
        .value_kind:     hidden_group_size_z
      - .offset:         162
        .size:           2
        .value_kind:     hidden_remainder_x
      - .offset:         164
        .size:           2
        .value_kind:     hidden_remainder_y
      - .offset:         166
        .size:           2
        .value_kind:     hidden_remainder_z
      - .offset:         184
        .size:           8
        .value_kind:     hidden_global_offset_x
      - .offset:         192
        .size:           8
        .value_kind:     hidden_global_offset_y
      - .offset:         200
        .size:           8
        .value_kind:     hidden_global_offset_z
      - .offset:         208
        .size:           2
        .value_kind:     hidden_grid_dims
    .group_segment_fixed_size: 17472
    .kernarg_segment_align: 8
    .kernarg_segment_size: 400
    .language:       OpenCL C
    .language_version:
      - 2
      - 0
    .max_flat_workgroup_size: 256
    .name:           _Z39paged_attention_ll4mi_QKV_mfma16_kernelI14__hip_bfloat16hLN4vllm18Fp8KVCacheDataTypeE1ES0_Li16ELi64ELi256ELb0ELi15EL8MFMAType0EEvPKT_PKT0_S9_ifPKiSB_SB_iPKfiiiPfSE_PS4_PT2_iSD_SD_
    .private_segment_fixed_size: 0
    .sgpr_count:     42
    .sgpr_spill_count: 0
    .symbol:         _Z39paged_attention_ll4mi_QKV_mfma16_kernelI14__hip_bfloat16hLN4vllm18Fp8KVCacheDataTypeE1ES0_Li16ELi64ELi256ELb0ELi15EL8MFMAType0EEvPKT_PKT0_S9_ifPKiSB_SB_iPKfiiiPfSE_PS4_PT2_iSD_SD_.kd
    .uniform_work_group_size: 1
    .uses_dynamic_stack: false
    .vgpr_count:     124
    .vgpr_spill_count: 0
    .wavefront_size: 32
    .workgroup_processor_mode: 1
  - .args:
      - .actual_access:  read_only
        .address_space:  global
        .offset:         0
        .size:           8
        .value_kind:     global_buffer
      - .actual_access:  read_only
        .address_space:  global
        .offset:         8
        .size:           8
        .value_kind:     global_buffer
      - .actual_access:  read_only
        .address_space:  global
        .offset:         16
        .size:           8
        .value_kind:     global_buffer
      - .offset:         24
        .size:           4
        .value_kind:     by_value
      - .offset:         28
        .size:           4
        .value_kind:     by_value
      - .actual_access:  read_only
        .address_space:  global
        .offset:         32
        .size:           8
        .value_kind:     global_buffer
      - .actual_access:  read_only
        .address_space:  global
        .offset:         40
        .size:           8
        .value_kind:     global_buffer
      - .actual_access:  read_only
        .address_space:  global
        .offset:         48
        .size:           8
        .value_kind:     global_buffer
      - .offset:         56
        .size:           4
        .value_kind:     by_value
      - .actual_access:  read_only
        .address_space:  global
        .offset:         64
        .size:           8
        .value_kind:     global_buffer
      - .offset:         72
        .size:           4
        .value_kind:     by_value
      - .offset:         76
        .size:           4
        .value_kind:     by_value
      - .offset:         80
        .size:           4
        .value_kind:     by_value
      - .actual_access:  write_only
        .address_space:  global
        .offset:         88
        .size:           8
        .value_kind:     global_buffer
      - .actual_access:  write_only
        .address_space:  global
        .offset:         96
        .size:           8
        .value_kind:     global_buffer
      - .actual_access:  write_only
        .address_space:  global
        .offset:         104
        .size:           8
        .value_kind:     global_buffer
      - .actual_access:  read_only
        .address_space:  global
        .offset:         112
        .size:           8
        .value_kind:     global_buffer
      - .offset:         120
        .size:           4
        .value_kind:     by_value
      - .address_space:  global
        .offset:         128
        .size:           8
        .value_kind:     global_buffer
      - .address_space:  global
        .offset:         136
        .size:           8
        .value_kind:     global_buffer
      - .offset:         144
        .size:           4
        .value_kind:     hidden_block_count_x
      - .offset:         148
        .size:           4
        .value_kind:     hidden_block_count_y
      - .offset:         152
        .size:           4
        .value_kind:     hidden_block_count_z
      - .offset:         156
        .size:           2
        .value_kind:     hidden_group_size_x
      - .offset:         158
        .size:           2
        .value_kind:     hidden_group_size_y
      - .offset:         160
        .size:           2
        .value_kind:     hidden_group_size_z
      - .offset:         162
        .size:           2
        .value_kind:     hidden_remainder_x
      - .offset:         164
        .size:           2
        .value_kind:     hidden_remainder_y
      - .offset:         166
        .size:           2
        .value_kind:     hidden_remainder_z
      - .offset:         184
        .size:           8
        .value_kind:     hidden_global_offset_x
      - .offset:         192
        .size:           8
        .value_kind:     hidden_global_offset_y
      - .offset:         200
        .size:           8
        .value_kind:     hidden_global_offset_z
      - .offset:         208
        .size:           2
        .value_kind:     hidden_grid_dims
    .group_segment_fixed_size: 17472
    .kernarg_segment_align: 8
    .kernarg_segment_size: 400
    .language:       OpenCL C
    .language_version:
      - 2
      - 0
    .max_flat_workgroup_size: 256
    .name:           _Z39paged_attention_ll4mi_QKV_mfma16_kernelI14__hip_bfloat16hLN4vllm18Fp8KVCacheDataTypeE1ES0_Li16ELi64ELi256ELb0ELi16EL8MFMAType0EEvPKT_PKT0_S9_ifPKiSB_SB_iPKfiiiPfSE_PS4_PT2_iSD_SD_
    .private_segment_fixed_size: 0
    .sgpr_count:     40
    .sgpr_spill_count: 0
    .symbol:         _Z39paged_attention_ll4mi_QKV_mfma16_kernelI14__hip_bfloat16hLN4vllm18Fp8KVCacheDataTypeE1ES0_Li16ELi64ELi256ELb0ELi16EL8MFMAType0EEvPKT_PKT0_S9_ifPKiSB_SB_iPKfiiiPfSE_PS4_PT2_iSD_SD_.kd
    .uniform_work_group_size: 1
    .uses_dynamic_stack: false
    .vgpr_count:     125
    .vgpr_spill_count: 0
    .wavefront_size: 32
    .workgroup_processor_mode: 1
  - .args:
      - .actual_access:  read_only
        .address_space:  global
        .offset:         0
        .size:           8
        .value_kind:     global_buffer
      - .actual_access:  read_only
        .address_space:  global
        .offset:         8
        .size:           8
        .value_kind:     global_buffer
      - .actual_access:  read_only
        .address_space:  global
        .offset:         16
        .size:           8
        .value_kind:     global_buffer
      - .offset:         24
        .size:           4
        .value_kind:     by_value
      - .offset:         28
        .size:           4
        .value_kind:     by_value
      - .actual_access:  read_only
        .address_space:  global
        .offset:         32
        .size:           8
        .value_kind:     global_buffer
      - .actual_access:  read_only
        .address_space:  global
        .offset:         40
        .size:           8
        .value_kind:     global_buffer
      - .actual_access:  read_only
        .address_space:  global
        .offset:         48
        .size:           8
        .value_kind:     global_buffer
      - .offset:         56
        .size:           4
        .value_kind:     by_value
      - .actual_access:  read_only
        .address_space:  global
        .offset:         64
        .size:           8
        .value_kind:     global_buffer
      - .offset:         72
        .size:           4
        .value_kind:     by_value
      - .offset:         76
        .size:           4
        .value_kind:     by_value
      - .offset:         80
        .size:           4
        .value_kind:     by_value
      - .actual_access:  write_only
        .address_space:  global
        .offset:         88
        .size:           8
        .value_kind:     global_buffer
      - .actual_access:  write_only
        .address_space:  global
        .offset:         96
        .size:           8
        .value_kind:     global_buffer
      - .actual_access:  write_only
        .address_space:  global
        .offset:         104
        .size:           8
        .value_kind:     global_buffer
      - .actual_access:  read_only
        .address_space:  global
        .offset:         112
        .size:           8
        .value_kind:     global_buffer
      - .offset:         120
        .size:           4
        .value_kind:     by_value
      - .address_space:  global
        .offset:         128
        .size:           8
        .value_kind:     global_buffer
      - .address_space:  global
        .offset:         136
        .size:           8
        .value_kind:     global_buffer
      - .offset:         144
        .size:           4
        .value_kind:     hidden_block_count_x
      - .offset:         148
        .size:           4
        .value_kind:     hidden_block_count_y
      - .offset:         152
        .size:           4
        .value_kind:     hidden_block_count_z
      - .offset:         156
        .size:           2
        .value_kind:     hidden_group_size_x
      - .offset:         158
        .size:           2
        .value_kind:     hidden_group_size_y
      - .offset:         160
        .size:           2
        .value_kind:     hidden_group_size_z
      - .offset:         162
        .size:           2
        .value_kind:     hidden_remainder_x
      - .offset:         164
        .size:           2
        .value_kind:     hidden_remainder_y
      - .offset:         166
        .size:           2
        .value_kind:     hidden_remainder_z
      - .offset:         184
        .size:           8
        .value_kind:     hidden_global_offset_x
      - .offset:         192
        .size:           8
        .value_kind:     hidden_global_offset_y
      - .offset:         200
        .size:           8
        .value_kind:     hidden_global_offset_z
      - .offset:         208
        .size:           2
        .value_kind:     hidden_grid_dims
    .group_segment_fixed_size: 17472
    .kernarg_segment_align: 8
    .kernarg_segment_size: 400
    .language:       OpenCL C
    .language_version:
      - 2
      - 0
    .max_flat_workgroup_size: 256
    .name:           _Z39paged_attention_ll4mi_QKV_mfma16_kernelI14__hip_bfloat16hLN4vllm18Fp8KVCacheDataTypeE1ES0_Li16ELi64ELi256ELb0ELi1EL8MFMAType0EEvPKT_PKT0_S9_ifPKiSB_SB_iPKfiiiPfSE_PS4_PT2_iSD_SD_
    .private_segment_fixed_size: 0
    .sgpr_count:     50
    .sgpr_spill_count: 0
    .symbol:         _Z39paged_attention_ll4mi_QKV_mfma16_kernelI14__hip_bfloat16hLN4vllm18Fp8KVCacheDataTypeE1ES0_Li16ELi64ELi256ELb0ELi1EL8MFMAType0EEvPKT_PKT0_S9_ifPKiSB_SB_iPKfiiiPfSE_PS4_PT2_iSD_SD_.kd
    .uniform_work_group_size: 1
    .uses_dynamic_stack: false
    .vgpr_count:     131
    .vgpr_spill_count: 0
    .wavefront_size: 32
    .workgroup_processor_mode: 1
  - .args:
      - .actual_access:  read_only
        .address_space:  global
        .offset:         0
        .size:           8
        .value_kind:     global_buffer
      - .actual_access:  read_only
        .address_space:  global
        .offset:         8
        .size:           8
        .value_kind:     global_buffer
      - .actual_access:  read_only
        .address_space:  global
        .offset:         16
        .size:           8
        .value_kind:     global_buffer
      - .offset:         24
        .size:           4
        .value_kind:     by_value
      - .offset:         28
        .size:           4
        .value_kind:     by_value
      - .actual_access:  read_only
        .address_space:  global
        .offset:         32
        .size:           8
        .value_kind:     global_buffer
      - .actual_access:  read_only
        .address_space:  global
        .offset:         40
        .size:           8
        .value_kind:     global_buffer
      - .actual_access:  read_only
        .address_space:  global
        .offset:         48
        .size:           8
        .value_kind:     global_buffer
      - .offset:         56
        .size:           4
        .value_kind:     by_value
      - .actual_access:  read_only
        .address_space:  global
        .offset:         64
        .size:           8
        .value_kind:     global_buffer
      - .offset:         72
        .size:           4
        .value_kind:     by_value
      - .offset:         76
        .size:           4
        .value_kind:     by_value
      - .offset:         80
        .size:           4
        .value_kind:     by_value
      - .actual_access:  write_only
        .address_space:  global
        .offset:         88
        .size:           8
        .value_kind:     global_buffer
      - .actual_access:  write_only
        .address_space:  global
        .offset:         96
        .size:           8
        .value_kind:     global_buffer
      - .actual_access:  write_only
        .address_space:  global
        .offset:         104
        .size:           8
        .value_kind:     global_buffer
      - .actual_access:  read_only
        .address_space:  global
        .offset:         112
        .size:           8
        .value_kind:     global_buffer
      - .offset:         120
        .size:           4
        .value_kind:     by_value
      - .address_space:  global
        .offset:         128
        .size:           8
        .value_kind:     global_buffer
      - .address_space:  global
        .offset:         136
        .size:           8
        .value_kind:     global_buffer
      - .offset:         144
        .size:           4
        .value_kind:     hidden_block_count_x
      - .offset:         148
        .size:           4
        .value_kind:     hidden_block_count_y
      - .offset:         152
        .size:           4
        .value_kind:     hidden_block_count_z
      - .offset:         156
        .size:           2
        .value_kind:     hidden_group_size_x
      - .offset:         158
        .size:           2
        .value_kind:     hidden_group_size_y
      - .offset:         160
        .size:           2
        .value_kind:     hidden_group_size_z
      - .offset:         162
        .size:           2
        .value_kind:     hidden_remainder_x
      - .offset:         164
        .size:           2
        .value_kind:     hidden_remainder_y
      - .offset:         166
        .size:           2
        .value_kind:     hidden_remainder_z
      - .offset:         184
        .size:           8
        .value_kind:     hidden_global_offset_x
      - .offset:         192
        .size:           8
        .value_kind:     hidden_global_offset_y
      - .offset:         200
        .size:           8
        .value_kind:     hidden_global_offset_z
      - .offset:         208
        .size:           2
        .value_kind:     hidden_grid_dims
    .group_segment_fixed_size: 17472
    .kernarg_segment_align: 8
    .kernarg_segment_size: 400
    .language:       OpenCL C
    .language_version:
      - 2
      - 0
    .max_flat_workgroup_size: 256
    .name:           _Z39paged_attention_ll4mi_QKV_mfma16_kernelI14__hip_bfloat16hLN4vllm18Fp8KVCacheDataTypeE1ES0_Li16ELi64ELi256ELb0ELi2EL8MFMAType0EEvPKT_PKT0_S9_ifPKiSB_SB_iPKfiiiPfSE_PS4_PT2_iSD_SD_
    .private_segment_fixed_size: 0
    .sgpr_count:     40
    .sgpr_spill_count: 0
    .symbol:         _Z39paged_attention_ll4mi_QKV_mfma16_kernelI14__hip_bfloat16hLN4vllm18Fp8KVCacheDataTypeE1ES0_Li16ELi64ELi256ELb0ELi2EL8MFMAType0EEvPKT_PKT0_S9_ifPKiSB_SB_iPKfiiiPfSE_PS4_PT2_iSD_SD_.kd
    .uniform_work_group_size: 1
    .uses_dynamic_stack: false
    .vgpr_count:     125
    .vgpr_spill_count: 0
    .wavefront_size: 32
    .workgroup_processor_mode: 1
  - .args:
      - .actual_access:  read_only
        .address_space:  global
        .offset:         0
        .size:           8
        .value_kind:     global_buffer
      - .actual_access:  read_only
        .address_space:  global
        .offset:         8
        .size:           8
        .value_kind:     global_buffer
      - .actual_access:  read_only
        .address_space:  global
        .offset:         16
        .size:           8
        .value_kind:     global_buffer
      - .offset:         24
        .size:           4
        .value_kind:     by_value
      - .offset:         28
        .size:           4
        .value_kind:     by_value
      - .actual_access:  read_only
        .address_space:  global
        .offset:         32
        .size:           8
        .value_kind:     global_buffer
      - .actual_access:  read_only
        .address_space:  global
        .offset:         40
        .size:           8
        .value_kind:     global_buffer
      - .actual_access:  read_only
        .address_space:  global
        .offset:         48
        .size:           8
        .value_kind:     global_buffer
      - .offset:         56
        .size:           4
        .value_kind:     by_value
      - .actual_access:  read_only
        .address_space:  global
        .offset:         64
        .size:           8
        .value_kind:     global_buffer
      - .offset:         72
        .size:           4
        .value_kind:     by_value
      - .offset:         76
        .size:           4
        .value_kind:     by_value
      - .offset:         80
        .size:           4
        .value_kind:     by_value
      - .actual_access:  write_only
        .address_space:  global
        .offset:         88
        .size:           8
        .value_kind:     global_buffer
      - .actual_access:  write_only
        .address_space:  global
        .offset:         96
        .size:           8
        .value_kind:     global_buffer
      - .actual_access:  write_only
        .address_space:  global
        .offset:         104
        .size:           8
        .value_kind:     global_buffer
      - .actual_access:  read_only
        .address_space:  global
        .offset:         112
        .size:           8
        .value_kind:     global_buffer
      - .offset:         120
        .size:           4
        .value_kind:     by_value
      - .address_space:  global
        .offset:         128
        .size:           8
        .value_kind:     global_buffer
      - .address_space:  global
        .offset:         136
        .size:           8
        .value_kind:     global_buffer
      - .offset:         144
        .size:           4
        .value_kind:     hidden_block_count_x
      - .offset:         148
        .size:           4
        .value_kind:     hidden_block_count_y
      - .offset:         152
        .size:           4
        .value_kind:     hidden_block_count_z
      - .offset:         156
        .size:           2
        .value_kind:     hidden_group_size_x
      - .offset:         158
        .size:           2
        .value_kind:     hidden_group_size_y
      - .offset:         160
        .size:           2
        .value_kind:     hidden_group_size_z
      - .offset:         162
        .size:           2
        .value_kind:     hidden_remainder_x
      - .offset:         164
        .size:           2
        .value_kind:     hidden_remainder_y
      - .offset:         166
        .size:           2
        .value_kind:     hidden_remainder_z
      - .offset:         184
        .size:           8
        .value_kind:     hidden_global_offset_x
      - .offset:         192
        .size:           8
        .value_kind:     hidden_global_offset_y
      - .offset:         200
        .size:           8
        .value_kind:     hidden_global_offset_z
      - .offset:         208
        .size:           2
        .value_kind:     hidden_grid_dims
    .group_segment_fixed_size: 17472
    .kernarg_segment_align: 8
    .kernarg_segment_size: 400
    .language:       OpenCL C
    .language_version:
      - 2
      - 0
    .max_flat_workgroup_size: 256
    .name:           _Z39paged_attention_ll4mi_QKV_mfma16_kernelI14__hip_bfloat16hLN4vllm18Fp8KVCacheDataTypeE1ES0_Li16ELi64ELi256ELb0ELi3EL8MFMAType0EEvPKT_PKT0_S9_ifPKiSB_SB_iPKfiiiPfSE_PS4_PT2_iSD_SD_
    .private_segment_fixed_size: 0
    .sgpr_count:     42
    .sgpr_spill_count: 0
    .symbol:         _Z39paged_attention_ll4mi_QKV_mfma16_kernelI14__hip_bfloat16hLN4vllm18Fp8KVCacheDataTypeE1ES0_Li16ELi64ELi256ELb0ELi3EL8MFMAType0EEvPKT_PKT0_S9_ifPKiSB_SB_iPKfiiiPfSE_PS4_PT2_iSD_SD_.kd
    .uniform_work_group_size: 1
    .uses_dynamic_stack: false
    .vgpr_count:     124
    .vgpr_spill_count: 0
    .wavefront_size: 32
    .workgroup_processor_mode: 1
  - .args:
      - .actual_access:  read_only
        .address_space:  global
        .offset:         0
        .size:           8
        .value_kind:     global_buffer
      - .actual_access:  read_only
        .address_space:  global
        .offset:         8
        .size:           8
        .value_kind:     global_buffer
      - .actual_access:  read_only
        .address_space:  global
        .offset:         16
        .size:           8
        .value_kind:     global_buffer
      - .offset:         24
        .size:           4
        .value_kind:     by_value
      - .offset:         28
        .size:           4
        .value_kind:     by_value
      - .actual_access:  read_only
        .address_space:  global
        .offset:         32
        .size:           8
        .value_kind:     global_buffer
      - .actual_access:  read_only
        .address_space:  global
        .offset:         40
        .size:           8
        .value_kind:     global_buffer
      - .actual_access:  read_only
        .address_space:  global
        .offset:         48
        .size:           8
        .value_kind:     global_buffer
      - .offset:         56
        .size:           4
        .value_kind:     by_value
      - .actual_access:  read_only
        .address_space:  global
        .offset:         64
        .size:           8
        .value_kind:     global_buffer
      - .offset:         72
        .size:           4
        .value_kind:     by_value
      - .offset:         76
        .size:           4
        .value_kind:     by_value
      - .offset:         80
        .size:           4
        .value_kind:     by_value
      - .actual_access:  write_only
        .address_space:  global
        .offset:         88
        .size:           8
        .value_kind:     global_buffer
      - .actual_access:  write_only
        .address_space:  global
        .offset:         96
        .size:           8
        .value_kind:     global_buffer
      - .actual_access:  write_only
        .address_space:  global
        .offset:         104
        .size:           8
        .value_kind:     global_buffer
      - .actual_access:  read_only
        .address_space:  global
        .offset:         112
        .size:           8
        .value_kind:     global_buffer
      - .offset:         120
        .size:           4
        .value_kind:     by_value
      - .address_space:  global
        .offset:         128
        .size:           8
        .value_kind:     global_buffer
      - .address_space:  global
        .offset:         136
        .size:           8
        .value_kind:     global_buffer
      - .offset:         144
        .size:           4
        .value_kind:     hidden_block_count_x
      - .offset:         148
        .size:           4
        .value_kind:     hidden_block_count_y
      - .offset:         152
        .size:           4
        .value_kind:     hidden_block_count_z
      - .offset:         156
        .size:           2
        .value_kind:     hidden_group_size_x
      - .offset:         158
        .size:           2
        .value_kind:     hidden_group_size_y
      - .offset:         160
        .size:           2
        .value_kind:     hidden_group_size_z
      - .offset:         162
        .size:           2
        .value_kind:     hidden_remainder_x
      - .offset:         164
        .size:           2
        .value_kind:     hidden_remainder_y
      - .offset:         166
        .size:           2
        .value_kind:     hidden_remainder_z
      - .offset:         184
        .size:           8
        .value_kind:     hidden_global_offset_x
      - .offset:         192
        .size:           8
        .value_kind:     hidden_global_offset_y
      - .offset:         200
        .size:           8
        .value_kind:     hidden_global_offset_z
      - .offset:         208
        .size:           2
        .value_kind:     hidden_grid_dims
    .group_segment_fixed_size: 17472
    .kernarg_segment_align: 8
    .kernarg_segment_size: 400
    .language:       OpenCL C
    .language_version:
      - 2
      - 0
    .max_flat_workgroup_size: 256
    .name:           _Z39paged_attention_ll4mi_QKV_mfma16_kernelI14__hip_bfloat16hLN4vllm18Fp8KVCacheDataTypeE1ES0_Li16ELi64ELi256ELb0ELi4EL8MFMAType0EEvPKT_PKT0_S9_ifPKiSB_SB_iPKfiiiPfSE_PS4_PT2_iSD_SD_
    .private_segment_fixed_size: 0
    .sgpr_count:     40
    .sgpr_spill_count: 0
    .symbol:         _Z39paged_attention_ll4mi_QKV_mfma16_kernelI14__hip_bfloat16hLN4vllm18Fp8KVCacheDataTypeE1ES0_Li16ELi64ELi256ELb0ELi4EL8MFMAType0EEvPKT_PKT0_S9_ifPKiSB_SB_iPKfiiiPfSE_PS4_PT2_iSD_SD_.kd
    .uniform_work_group_size: 1
    .uses_dynamic_stack: false
    .vgpr_count:     124
    .vgpr_spill_count: 0
    .wavefront_size: 32
    .workgroup_processor_mode: 1
  - .args:
      - .actual_access:  read_only
        .address_space:  global
        .offset:         0
        .size:           8
        .value_kind:     global_buffer
      - .actual_access:  read_only
        .address_space:  global
        .offset:         8
        .size:           8
        .value_kind:     global_buffer
      - .actual_access:  read_only
        .address_space:  global
        .offset:         16
        .size:           8
        .value_kind:     global_buffer
      - .offset:         24
        .size:           4
        .value_kind:     by_value
      - .offset:         28
        .size:           4
        .value_kind:     by_value
      - .actual_access:  read_only
        .address_space:  global
        .offset:         32
        .size:           8
        .value_kind:     global_buffer
      - .actual_access:  read_only
        .address_space:  global
        .offset:         40
        .size:           8
        .value_kind:     global_buffer
      - .actual_access:  read_only
        .address_space:  global
        .offset:         48
        .size:           8
        .value_kind:     global_buffer
      - .offset:         56
        .size:           4
        .value_kind:     by_value
      - .actual_access:  read_only
        .address_space:  global
        .offset:         64
        .size:           8
        .value_kind:     global_buffer
      - .offset:         72
        .size:           4
        .value_kind:     by_value
      - .offset:         76
        .size:           4
        .value_kind:     by_value
      - .offset:         80
        .size:           4
        .value_kind:     by_value
      - .actual_access:  write_only
        .address_space:  global
        .offset:         88
        .size:           8
        .value_kind:     global_buffer
      - .actual_access:  write_only
        .address_space:  global
        .offset:         96
        .size:           8
        .value_kind:     global_buffer
      - .actual_access:  write_only
        .address_space:  global
        .offset:         104
        .size:           8
        .value_kind:     global_buffer
      - .actual_access:  read_only
        .address_space:  global
        .offset:         112
        .size:           8
        .value_kind:     global_buffer
      - .offset:         120
        .size:           4
        .value_kind:     by_value
      - .address_space:  global
        .offset:         128
        .size:           8
        .value_kind:     global_buffer
      - .address_space:  global
        .offset:         136
        .size:           8
        .value_kind:     global_buffer
      - .offset:         144
        .size:           4
        .value_kind:     hidden_block_count_x
      - .offset:         148
        .size:           4
        .value_kind:     hidden_block_count_y
      - .offset:         152
        .size:           4
        .value_kind:     hidden_block_count_z
      - .offset:         156
        .size:           2
        .value_kind:     hidden_group_size_x
      - .offset:         158
        .size:           2
        .value_kind:     hidden_group_size_y
      - .offset:         160
        .size:           2
        .value_kind:     hidden_group_size_z
      - .offset:         162
        .size:           2
        .value_kind:     hidden_remainder_x
      - .offset:         164
        .size:           2
        .value_kind:     hidden_remainder_y
      - .offset:         166
        .size:           2
        .value_kind:     hidden_remainder_z
      - .offset:         184
        .size:           8
        .value_kind:     hidden_global_offset_x
      - .offset:         192
        .size:           8
        .value_kind:     hidden_global_offset_y
      - .offset:         200
        .size:           8
        .value_kind:     hidden_global_offset_z
      - .offset:         208
        .size:           2
        .value_kind:     hidden_grid_dims
    .group_segment_fixed_size: 17472
    .kernarg_segment_align: 8
    .kernarg_segment_size: 400
    .language:       OpenCL C
    .language_version:
      - 2
      - 0
    .max_flat_workgroup_size: 256
    .name:           _Z39paged_attention_ll4mi_QKV_mfma16_kernelI14__hip_bfloat16hLN4vllm18Fp8KVCacheDataTypeE1EhLi32ELi64ELi256ELb1ELi5EL8MFMAType0EEvPKT_PKT0_S9_ifPKiSB_SB_iPKfiiiPfSE_PS4_PT2_iSD_SD_
    .private_segment_fixed_size: 0
    .sgpr_count:     44
    .sgpr_spill_count: 0
    .symbol:         _Z39paged_attention_ll4mi_QKV_mfma16_kernelI14__hip_bfloat16hLN4vllm18Fp8KVCacheDataTypeE1EhLi32ELi64ELi256ELb1ELi5EL8MFMAType0EEvPKT_PKT0_S9_ifPKiSB_SB_iPKfiiiPfSE_PS4_PT2_iSD_SD_.kd
    .uniform_work_group_size: 1
    .uses_dynamic_stack: false
    .vgpr_count:     124
    .vgpr_spill_count: 0
    .wavefront_size: 32
    .workgroup_processor_mode: 1
  - .args:
      - .actual_access:  read_only
        .address_space:  global
        .offset:         0
        .size:           8
        .value_kind:     global_buffer
      - .actual_access:  read_only
        .address_space:  global
        .offset:         8
        .size:           8
        .value_kind:     global_buffer
      - .actual_access:  read_only
        .address_space:  global
        .offset:         16
        .size:           8
        .value_kind:     global_buffer
      - .offset:         24
        .size:           4
        .value_kind:     by_value
      - .offset:         28
        .size:           4
        .value_kind:     by_value
      - .actual_access:  read_only
        .address_space:  global
        .offset:         32
        .size:           8
        .value_kind:     global_buffer
      - .actual_access:  read_only
        .address_space:  global
        .offset:         40
        .size:           8
        .value_kind:     global_buffer
      - .actual_access:  read_only
        .address_space:  global
        .offset:         48
        .size:           8
        .value_kind:     global_buffer
      - .offset:         56
        .size:           4
        .value_kind:     by_value
      - .actual_access:  read_only
        .address_space:  global
        .offset:         64
        .size:           8
        .value_kind:     global_buffer
      - .offset:         72
        .size:           4
        .value_kind:     by_value
      - .offset:         76
        .size:           4
        .value_kind:     by_value
      - .offset:         80
        .size:           4
        .value_kind:     by_value
      - .actual_access:  write_only
        .address_space:  global
        .offset:         88
        .size:           8
        .value_kind:     global_buffer
      - .actual_access:  write_only
        .address_space:  global
        .offset:         96
        .size:           8
        .value_kind:     global_buffer
      - .actual_access:  write_only
        .address_space:  global
        .offset:         104
        .size:           8
        .value_kind:     global_buffer
      - .actual_access:  read_only
        .address_space:  global
        .offset:         112
        .size:           8
        .value_kind:     global_buffer
      - .offset:         120
        .size:           4
        .value_kind:     by_value
      - .address_space:  global
        .offset:         128
        .size:           8
        .value_kind:     global_buffer
      - .address_space:  global
        .offset:         136
        .size:           8
        .value_kind:     global_buffer
      - .offset:         144
        .size:           4
        .value_kind:     hidden_block_count_x
      - .offset:         148
        .size:           4
        .value_kind:     hidden_block_count_y
      - .offset:         152
        .size:           4
        .value_kind:     hidden_block_count_z
      - .offset:         156
        .size:           2
        .value_kind:     hidden_group_size_x
      - .offset:         158
        .size:           2
        .value_kind:     hidden_group_size_y
      - .offset:         160
        .size:           2
        .value_kind:     hidden_group_size_z
      - .offset:         162
        .size:           2
        .value_kind:     hidden_remainder_x
      - .offset:         164
        .size:           2
        .value_kind:     hidden_remainder_y
      - .offset:         166
        .size:           2
        .value_kind:     hidden_remainder_z
      - .offset:         184
        .size:           8
        .value_kind:     hidden_global_offset_x
      - .offset:         192
        .size:           8
        .value_kind:     hidden_global_offset_y
      - .offset:         200
        .size:           8
        .value_kind:     hidden_global_offset_z
      - .offset:         208
        .size:           2
        .value_kind:     hidden_grid_dims
    .group_segment_fixed_size: 17472
    .kernarg_segment_align: 8
    .kernarg_segment_size: 400
    .language:       OpenCL C
    .language_version:
      - 2
      - 0
    .max_flat_workgroup_size: 256
    .name:           _Z39paged_attention_ll4mi_QKV_mfma16_kernelI14__hip_bfloat16hLN4vllm18Fp8KVCacheDataTypeE1EhLi32ELi64ELi256ELb1ELi6EL8MFMAType0EEvPKT_PKT0_S9_ifPKiSB_SB_iPKfiiiPfSE_PS4_PT2_iSD_SD_
    .private_segment_fixed_size: 0
    .sgpr_count:     42
    .sgpr_spill_count: 0
    .symbol:         _Z39paged_attention_ll4mi_QKV_mfma16_kernelI14__hip_bfloat16hLN4vllm18Fp8KVCacheDataTypeE1EhLi32ELi64ELi256ELb1ELi6EL8MFMAType0EEvPKT_PKT0_S9_ifPKiSB_SB_iPKfiiiPfSE_PS4_PT2_iSD_SD_.kd
    .uniform_work_group_size: 1
    .uses_dynamic_stack: false
    .vgpr_count:     124
    .vgpr_spill_count: 0
    .wavefront_size: 32
    .workgroup_processor_mode: 1
  - .args:
      - .actual_access:  read_only
        .address_space:  global
        .offset:         0
        .size:           8
        .value_kind:     global_buffer
      - .actual_access:  read_only
        .address_space:  global
        .offset:         8
        .size:           8
        .value_kind:     global_buffer
      - .actual_access:  read_only
        .address_space:  global
        .offset:         16
        .size:           8
        .value_kind:     global_buffer
      - .offset:         24
        .size:           4
        .value_kind:     by_value
      - .offset:         28
        .size:           4
        .value_kind:     by_value
      - .actual_access:  read_only
        .address_space:  global
        .offset:         32
        .size:           8
        .value_kind:     global_buffer
      - .actual_access:  read_only
        .address_space:  global
        .offset:         40
        .size:           8
        .value_kind:     global_buffer
      - .actual_access:  read_only
        .address_space:  global
        .offset:         48
        .size:           8
        .value_kind:     global_buffer
      - .offset:         56
        .size:           4
        .value_kind:     by_value
      - .actual_access:  read_only
        .address_space:  global
        .offset:         64
        .size:           8
        .value_kind:     global_buffer
      - .offset:         72
        .size:           4
        .value_kind:     by_value
      - .offset:         76
        .size:           4
        .value_kind:     by_value
      - .offset:         80
        .size:           4
        .value_kind:     by_value
      - .actual_access:  write_only
        .address_space:  global
        .offset:         88
        .size:           8
        .value_kind:     global_buffer
      - .actual_access:  write_only
        .address_space:  global
        .offset:         96
        .size:           8
        .value_kind:     global_buffer
      - .actual_access:  write_only
        .address_space:  global
        .offset:         104
        .size:           8
        .value_kind:     global_buffer
      - .actual_access:  read_only
        .address_space:  global
        .offset:         112
        .size:           8
        .value_kind:     global_buffer
      - .offset:         120
        .size:           4
        .value_kind:     by_value
      - .address_space:  global
        .offset:         128
        .size:           8
        .value_kind:     global_buffer
      - .address_space:  global
        .offset:         136
        .size:           8
        .value_kind:     global_buffer
      - .offset:         144
        .size:           4
        .value_kind:     hidden_block_count_x
      - .offset:         148
        .size:           4
        .value_kind:     hidden_block_count_y
      - .offset:         152
        .size:           4
        .value_kind:     hidden_block_count_z
      - .offset:         156
        .size:           2
        .value_kind:     hidden_group_size_x
      - .offset:         158
        .size:           2
        .value_kind:     hidden_group_size_y
      - .offset:         160
        .size:           2
        .value_kind:     hidden_group_size_z
      - .offset:         162
        .size:           2
        .value_kind:     hidden_remainder_x
      - .offset:         164
        .size:           2
        .value_kind:     hidden_remainder_y
      - .offset:         166
        .size:           2
        .value_kind:     hidden_remainder_z
      - .offset:         184
        .size:           8
        .value_kind:     hidden_global_offset_x
      - .offset:         192
        .size:           8
        .value_kind:     hidden_global_offset_y
      - .offset:         200
        .size:           8
        .value_kind:     hidden_global_offset_z
      - .offset:         208
        .size:           2
        .value_kind:     hidden_grid_dims
    .group_segment_fixed_size: 17472
    .kernarg_segment_align: 8
    .kernarg_segment_size: 400
    .language:       OpenCL C
    .language_version:
      - 2
      - 0
    .max_flat_workgroup_size: 256
    .name:           _Z39paged_attention_ll4mi_QKV_mfma16_kernelI14__hip_bfloat16hLN4vllm18Fp8KVCacheDataTypeE1EhLi32ELi64ELi256ELb1ELi7EL8MFMAType0EEvPKT_PKT0_S9_ifPKiSB_SB_iPKfiiiPfSE_PS4_PT2_iSD_SD_
    .private_segment_fixed_size: 0
    .sgpr_count:     44
    .sgpr_spill_count: 0
    .symbol:         _Z39paged_attention_ll4mi_QKV_mfma16_kernelI14__hip_bfloat16hLN4vllm18Fp8KVCacheDataTypeE1EhLi32ELi64ELi256ELb1ELi7EL8MFMAType0EEvPKT_PKT0_S9_ifPKiSB_SB_iPKfiiiPfSE_PS4_PT2_iSD_SD_.kd
    .uniform_work_group_size: 1
    .uses_dynamic_stack: false
    .vgpr_count:     124
    .vgpr_spill_count: 0
    .wavefront_size: 32
    .workgroup_processor_mode: 1
  - .args:
      - .actual_access:  read_only
        .address_space:  global
        .offset:         0
        .size:           8
        .value_kind:     global_buffer
      - .actual_access:  read_only
        .address_space:  global
        .offset:         8
        .size:           8
        .value_kind:     global_buffer
      - .actual_access:  read_only
        .address_space:  global
        .offset:         16
        .size:           8
        .value_kind:     global_buffer
      - .offset:         24
        .size:           4
        .value_kind:     by_value
      - .offset:         28
        .size:           4
        .value_kind:     by_value
      - .actual_access:  read_only
        .address_space:  global
        .offset:         32
        .size:           8
        .value_kind:     global_buffer
      - .actual_access:  read_only
        .address_space:  global
        .offset:         40
        .size:           8
        .value_kind:     global_buffer
      - .actual_access:  read_only
        .address_space:  global
        .offset:         48
        .size:           8
        .value_kind:     global_buffer
      - .offset:         56
        .size:           4
        .value_kind:     by_value
      - .actual_access:  read_only
        .address_space:  global
        .offset:         64
        .size:           8
        .value_kind:     global_buffer
      - .offset:         72
        .size:           4
        .value_kind:     by_value
      - .offset:         76
        .size:           4
        .value_kind:     by_value
      - .offset:         80
        .size:           4
        .value_kind:     by_value
      - .actual_access:  write_only
        .address_space:  global
        .offset:         88
        .size:           8
        .value_kind:     global_buffer
      - .actual_access:  write_only
        .address_space:  global
        .offset:         96
        .size:           8
        .value_kind:     global_buffer
      - .actual_access:  write_only
        .address_space:  global
        .offset:         104
        .size:           8
        .value_kind:     global_buffer
      - .actual_access:  read_only
        .address_space:  global
        .offset:         112
        .size:           8
        .value_kind:     global_buffer
      - .offset:         120
        .size:           4
        .value_kind:     by_value
      - .address_space:  global
        .offset:         128
        .size:           8
        .value_kind:     global_buffer
      - .address_space:  global
        .offset:         136
        .size:           8
        .value_kind:     global_buffer
      - .offset:         144
        .size:           4
        .value_kind:     hidden_block_count_x
      - .offset:         148
        .size:           4
        .value_kind:     hidden_block_count_y
      - .offset:         152
        .size:           4
        .value_kind:     hidden_block_count_z
      - .offset:         156
        .size:           2
        .value_kind:     hidden_group_size_x
      - .offset:         158
        .size:           2
        .value_kind:     hidden_group_size_y
      - .offset:         160
        .size:           2
        .value_kind:     hidden_group_size_z
      - .offset:         162
        .size:           2
        .value_kind:     hidden_remainder_x
      - .offset:         164
        .size:           2
        .value_kind:     hidden_remainder_y
      - .offset:         166
        .size:           2
        .value_kind:     hidden_remainder_z
      - .offset:         184
        .size:           8
        .value_kind:     hidden_global_offset_x
      - .offset:         192
        .size:           8
        .value_kind:     hidden_global_offset_y
      - .offset:         200
        .size:           8
        .value_kind:     hidden_global_offset_z
      - .offset:         208
        .size:           2
        .value_kind:     hidden_grid_dims
    .group_segment_fixed_size: 17472
    .kernarg_segment_align: 8
    .kernarg_segment_size: 400
    .language:       OpenCL C
    .language_version:
      - 2
      - 0
    .max_flat_workgroup_size: 256
    .name:           _Z39paged_attention_ll4mi_QKV_mfma16_kernelI14__hip_bfloat16hLN4vllm18Fp8KVCacheDataTypeE1EhLi32ELi64ELi256ELb1ELi8EL8MFMAType0EEvPKT_PKT0_S9_ifPKiSB_SB_iPKfiiiPfSE_PS4_PT2_iSD_SD_
    .private_segment_fixed_size: 0
    .sgpr_count:     42
    .sgpr_spill_count: 0
    .symbol:         _Z39paged_attention_ll4mi_QKV_mfma16_kernelI14__hip_bfloat16hLN4vllm18Fp8KVCacheDataTypeE1EhLi32ELi64ELi256ELb1ELi8EL8MFMAType0EEvPKT_PKT0_S9_ifPKiSB_SB_iPKfiiiPfSE_PS4_PT2_iSD_SD_.kd
    .uniform_work_group_size: 1
    .uses_dynamic_stack: false
    .vgpr_count:     124
    .vgpr_spill_count: 0
    .wavefront_size: 32
    .workgroup_processor_mode: 1
  - .args:
      - .actual_access:  read_only
        .address_space:  global
        .offset:         0
        .size:           8
        .value_kind:     global_buffer
      - .actual_access:  read_only
        .address_space:  global
        .offset:         8
        .size:           8
        .value_kind:     global_buffer
      - .actual_access:  read_only
        .address_space:  global
        .offset:         16
        .size:           8
        .value_kind:     global_buffer
      - .offset:         24
        .size:           4
        .value_kind:     by_value
      - .offset:         28
        .size:           4
        .value_kind:     by_value
      - .actual_access:  read_only
        .address_space:  global
        .offset:         32
        .size:           8
        .value_kind:     global_buffer
      - .actual_access:  read_only
        .address_space:  global
        .offset:         40
        .size:           8
        .value_kind:     global_buffer
      - .actual_access:  read_only
        .address_space:  global
        .offset:         48
        .size:           8
        .value_kind:     global_buffer
      - .offset:         56
        .size:           4
        .value_kind:     by_value
      - .actual_access:  read_only
        .address_space:  global
        .offset:         64
        .size:           8
        .value_kind:     global_buffer
      - .offset:         72
        .size:           4
        .value_kind:     by_value
      - .offset:         76
        .size:           4
        .value_kind:     by_value
      - .offset:         80
        .size:           4
        .value_kind:     by_value
      - .actual_access:  write_only
        .address_space:  global
        .offset:         88
        .size:           8
        .value_kind:     global_buffer
      - .actual_access:  write_only
        .address_space:  global
        .offset:         96
        .size:           8
        .value_kind:     global_buffer
      - .actual_access:  write_only
        .address_space:  global
        .offset:         104
        .size:           8
        .value_kind:     global_buffer
      - .actual_access:  read_only
        .address_space:  global
        .offset:         112
        .size:           8
        .value_kind:     global_buffer
      - .offset:         120
        .size:           4
        .value_kind:     by_value
      - .address_space:  global
        .offset:         128
        .size:           8
        .value_kind:     global_buffer
      - .address_space:  global
        .offset:         136
        .size:           8
        .value_kind:     global_buffer
      - .offset:         144
        .size:           4
        .value_kind:     hidden_block_count_x
      - .offset:         148
        .size:           4
        .value_kind:     hidden_block_count_y
      - .offset:         152
        .size:           4
        .value_kind:     hidden_block_count_z
      - .offset:         156
        .size:           2
        .value_kind:     hidden_group_size_x
      - .offset:         158
        .size:           2
        .value_kind:     hidden_group_size_y
      - .offset:         160
        .size:           2
        .value_kind:     hidden_group_size_z
      - .offset:         162
        .size:           2
        .value_kind:     hidden_remainder_x
      - .offset:         164
        .size:           2
        .value_kind:     hidden_remainder_y
      - .offset:         166
        .size:           2
        .value_kind:     hidden_remainder_z
      - .offset:         184
        .size:           8
        .value_kind:     hidden_global_offset_x
      - .offset:         192
        .size:           8
        .value_kind:     hidden_global_offset_y
      - .offset:         200
        .size:           8
        .value_kind:     hidden_global_offset_z
      - .offset:         208
        .size:           2
        .value_kind:     hidden_grid_dims
    .group_segment_fixed_size: 17472
    .kernarg_segment_align: 8
    .kernarg_segment_size: 400
    .language:       OpenCL C
    .language_version:
      - 2
      - 0
    .max_flat_workgroup_size: 256
    .name:           _Z39paged_attention_ll4mi_QKV_mfma16_kernelI14__hip_bfloat16hLN4vllm18Fp8KVCacheDataTypeE1EhLi32ELi64ELi256ELb1ELi9EL8MFMAType0EEvPKT_PKT0_S9_ifPKiSB_SB_iPKfiiiPfSE_PS4_PT2_iSD_SD_
    .private_segment_fixed_size: 0
    .sgpr_count:     44
    .sgpr_spill_count: 0
    .symbol:         _Z39paged_attention_ll4mi_QKV_mfma16_kernelI14__hip_bfloat16hLN4vllm18Fp8KVCacheDataTypeE1EhLi32ELi64ELi256ELb1ELi9EL8MFMAType0EEvPKT_PKT0_S9_ifPKiSB_SB_iPKfiiiPfSE_PS4_PT2_iSD_SD_.kd
    .uniform_work_group_size: 1
    .uses_dynamic_stack: false
    .vgpr_count:     124
    .vgpr_spill_count: 0
    .wavefront_size: 32
    .workgroup_processor_mode: 1
  - .args:
      - .actual_access:  read_only
        .address_space:  global
        .offset:         0
        .size:           8
        .value_kind:     global_buffer
      - .actual_access:  read_only
        .address_space:  global
        .offset:         8
        .size:           8
        .value_kind:     global_buffer
      - .actual_access:  read_only
        .address_space:  global
        .offset:         16
        .size:           8
        .value_kind:     global_buffer
      - .offset:         24
        .size:           4
        .value_kind:     by_value
      - .offset:         28
        .size:           4
        .value_kind:     by_value
      - .actual_access:  read_only
        .address_space:  global
        .offset:         32
        .size:           8
        .value_kind:     global_buffer
      - .actual_access:  read_only
        .address_space:  global
        .offset:         40
        .size:           8
        .value_kind:     global_buffer
      - .actual_access:  read_only
        .address_space:  global
        .offset:         48
        .size:           8
        .value_kind:     global_buffer
      - .offset:         56
        .size:           4
        .value_kind:     by_value
      - .actual_access:  read_only
        .address_space:  global
        .offset:         64
        .size:           8
        .value_kind:     global_buffer
      - .offset:         72
        .size:           4
        .value_kind:     by_value
      - .offset:         76
        .size:           4
        .value_kind:     by_value
      - .offset:         80
        .size:           4
        .value_kind:     by_value
      - .actual_access:  write_only
        .address_space:  global
        .offset:         88
        .size:           8
        .value_kind:     global_buffer
      - .actual_access:  write_only
        .address_space:  global
        .offset:         96
        .size:           8
        .value_kind:     global_buffer
      - .actual_access:  write_only
        .address_space:  global
        .offset:         104
        .size:           8
        .value_kind:     global_buffer
      - .actual_access:  read_only
        .address_space:  global
        .offset:         112
        .size:           8
        .value_kind:     global_buffer
      - .offset:         120
        .size:           4
        .value_kind:     by_value
      - .address_space:  global
        .offset:         128
        .size:           8
        .value_kind:     global_buffer
      - .address_space:  global
        .offset:         136
        .size:           8
        .value_kind:     global_buffer
      - .offset:         144
        .size:           4
        .value_kind:     hidden_block_count_x
      - .offset:         148
        .size:           4
        .value_kind:     hidden_block_count_y
      - .offset:         152
        .size:           4
        .value_kind:     hidden_block_count_z
      - .offset:         156
        .size:           2
        .value_kind:     hidden_group_size_x
      - .offset:         158
        .size:           2
        .value_kind:     hidden_group_size_y
      - .offset:         160
        .size:           2
        .value_kind:     hidden_group_size_z
      - .offset:         162
        .size:           2
        .value_kind:     hidden_remainder_x
      - .offset:         164
        .size:           2
        .value_kind:     hidden_remainder_y
      - .offset:         166
        .size:           2
        .value_kind:     hidden_remainder_z
      - .offset:         184
        .size:           8
        .value_kind:     hidden_global_offset_x
      - .offset:         192
        .size:           8
        .value_kind:     hidden_global_offset_y
      - .offset:         200
        .size:           8
        .value_kind:     hidden_global_offset_z
      - .offset:         208
        .size:           2
        .value_kind:     hidden_grid_dims
    .group_segment_fixed_size: 17472
    .kernarg_segment_align: 8
    .kernarg_segment_size: 400
    .language:       OpenCL C
    .language_version:
      - 2
      - 0
    .max_flat_workgroup_size: 256
    .name:           _Z39paged_attention_ll4mi_QKV_mfma16_kernelI14__hip_bfloat16hLN4vllm18Fp8KVCacheDataTypeE1EhLi32ELi64ELi256ELb1ELi10EL8MFMAType0EEvPKT_PKT0_S9_ifPKiSB_SB_iPKfiiiPfSE_PS4_PT2_iSD_SD_
    .private_segment_fixed_size: 0
    .sgpr_count:     42
    .sgpr_spill_count: 0
    .symbol:         _Z39paged_attention_ll4mi_QKV_mfma16_kernelI14__hip_bfloat16hLN4vllm18Fp8KVCacheDataTypeE1EhLi32ELi64ELi256ELb1ELi10EL8MFMAType0EEvPKT_PKT0_S9_ifPKiSB_SB_iPKfiiiPfSE_PS4_PT2_iSD_SD_.kd
    .uniform_work_group_size: 1
    .uses_dynamic_stack: false
    .vgpr_count:     124
    .vgpr_spill_count: 0
    .wavefront_size: 32
    .workgroup_processor_mode: 1
  - .args:
      - .actual_access:  read_only
        .address_space:  global
        .offset:         0
        .size:           8
        .value_kind:     global_buffer
      - .actual_access:  read_only
        .address_space:  global
        .offset:         8
        .size:           8
        .value_kind:     global_buffer
      - .actual_access:  read_only
        .address_space:  global
        .offset:         16
        .size:           8
        .value_kind:     global_buffer
      - .offset:         24
        .size:           4
        .value_kind:     by_value
      - .offset:         28
        .size:           4
        .value_kind:     by_value
      - .actual_access:  read_only
        .address_space:  global
        .offset:         32
        .size:           8
        .value_kind:     global_buffer
      - .actual_access:  read_only
        .address_space:  global
        .offset:         40
        .size:           8
        .value_kind:     global_buffer
      - .actual_access:  read_only
        .address_space:  global
        .offset:         48
        .size:           8
        .value_kind:     global_buffer
      - .offset:         56
        .size:           4
        .value_kind:     by_value
      - .actual_access:  read_only
        .address_space:  global
        .offset:         64
        .size:           8
        .value_kind:     global_buffer
      - .offset:         72
        .size:           4
        .value_kind:     by_value
      - .offset:         76
        .size:           4
        .value_kind:     by_value
      - .offset:         80
        .size:           4
        .value_kind:     by_value
      - .actual_access:  write_only
        .address_space:  global
        .offset:         88
        .size:           8
        .value_kind:     global_buffer
      - .actual_access:  write_only
        .address_space:  global
        .offset:         96
        .size:           8
        .value_kind:     global_buffer
      - .actual_access:  write_only
        .address_space:  global
        .offset:         104
        .size:           8
        .value_kind:     global_buffer
      - .actual_access:  read_only
        .address_space:  global
        .offset:         112
        .size:           8
        .value_kind:     global_buffer
      - .offset:         120
        .size:           4
        .value_kind:     by_value
      - .address_space:  global
        .offset:         128
        .size:           8
        .value_kind:     global_buffer
      - .address_space:  global
        .offset:         136
        .size:           8
        .value_kind:     global_buffer
      - .offset:         144
        .size:           4
        .value_kind:     hidden_block_count_x
      - .offset:         148
        .size:           4
        .value_kind:     hidden_block_count_y
      - .offset:         152
        .size:           4
        .value_kind:     hidden_block_count_z
      - .offset:         156
        .size:           2
        .value_kind:     hidden_group_size_x
      - .offset:         158
        .size:           2
        .value_kind:     hidden_group_size_y
      - .offset:         160
        .size:           2
        .value_kind:     hidden_group_size_z
      - .offset:         162
        .size:           2
        .value_kind:     hidden_remainder_x
      - .offset:         164
        .size:           2
        .value_kind:     hidden_remainder_y
      - .offset:         166
        .size:           2
        .value_kind:     hidden_remainder_z
      - .offset:         184
        .size:           8
        .value_kind:     hidden_global_offset_x
      - .offset:         192
        .size:           8
        .value_kind:     hidden_global_offset_y
      - .offset:         200
        .size:           8
        .value_kind:     hidden_global_offset_z
      - .offset:         208
        .size:           2
        .value_kind:     hidden_grid_dims
    .group_segment_fixed_size: 17472
    .kernarg_segment_align: 8
    .kernarg_segment_size: 400
    .language:       OpenCL C
    .language_version:
      - 2
      - 0
    .max_flat_workgroup_size: 256
    .name:           _Z39paged_attention_ll4mi_QKV_mfma16_kernelI14__hip_bfloat16hLN4vllm18Fp8KVCacheDataTypeE1EhLi32ELi64ELi256ELb1ELi11EL8MFMAType0EEvPKT_PKT0_S9_ifPKiSB_SB_iPKfiiiPfSE_PS4_PT2_iSD_SD_
    .private_segment_fixed_size: 0
    .sgpr_count:     44
    .sgpr_spill_count: 0
    .symbol:         _Z39paged_attention_ll4mi_QKV_mfma16_kernelI14__hip_bfloat16hLN4vllm18Fp8KVCacheDataTypeE1EhLi32ELi64ELi256ELb1ELi11EL8MFMAType0EEvPKT_PKT0_S9_ifPKiSB_SB_iPKfiiiPfSE_PS4_PT2_iSD_SD_.kd
    .uniform_work_group_size: 1
    .uses_dynamic_stack: false
    .vgpr_count:     124
    .vgpr_spill_count: 0
    .wavefront_size: 32
    .workgroup_processor_mode: 1
  - .args:
      - .actual_access:  read_only
        .address_space:  global
        .offset:         0
        .size:           8
        .value_kind:     global_buffer
      - .actual_access:  read_only
        .address_space:  global
        .offset:         8
        .size:           8
        .value_kind:     global_buffer
      - .actual_access:  read_only
        .address_space:  global
        .offset:         16
        .size:           8
        .value_kind:     global_buffer
      - .offset:         24
        .size:           4
        .value_kind:     by_value
      - .offset:         28
        .size:           4
        .value_kind:     by_value
      - .actual_access:  read_only
        .address_space:  global
        .offset:         32
        .size:           8
        .value_kind:     global_buffer
      - .actual_access:  read_only
        .address_space:  global
        .offset:         40
        .size:           8
        .value_kind:     global_buffer
      - .actual_access:  read_only
        .address_space:  global
        .offset:         48
        .size:           8
        .value_kind:     global_buffer
      - .offset:         56
        .size:           4
        .value_kind:     by_value
      - .actual_access:  read_only
        .address_space:  global
        .offset:         64
        .size:           8
        .value_kind:     global_buffer
      - .offset:         72
        .size:           4
        .value_kind:     by_value
      - .offset:         76
        .size:           4
        .value_kind:     by_value
      - .offset:         80
        .size:           4
        .value_kind:     by_value
      - .actual_access:  write_only
        .address_space:  global
        .offset:         88
        .size:           8
        .value_kind:     global_buffer
      - .actual_access:  write_only
        .address_space:  global
        .offset:         96
        .size:           8
        .value_kind:     global_buffer
      - .actual_access:  write_only
        .address_space:  global
        .offset:         104
        .size:           8
        .value_kind:     global_buffer
      - .actual_access:  read_only
        .address_space:  global
        .offset:         112
        .size:           8
        .value_kind:     global_buffer
      - .offset:         120
        .size:           4
        .value_kind:     by_value
      - .address_space:  global
        .offset:         128
        .size:           8
        .value_kind:     global_buffer
      - .address_space:  global
        .offset:         136
        .size:           8
        .value_kind:     global_buffer
      - .offset:         144
        .size:           4
        .value_kind:     hidden_block_count_x
      - .offset:         148
        .size:           4
        .value_kind:     hidden_block_count_y
      - .offset:         152
        .size:           4
        .value_kind:     hidden_block_count_z
      - .offset:         156
        .size:           2
        .value_kind:     hidden_group_size_x
      - .offset:         158
        .size:           2
        .value_kind:     hidden_group_size_y
      - .offset:         160
        .size:           2
        .value_kind:     hidden_group_size_z
      - .offset:         162
        .size:           2
        .value_kind:     hidden_remainder_x
      - .offset:         164
        .size:           2
        .value_kind:     hidden_remainder_y
      - .offset:         166
        .size:           2
        .value_kind:     hidden_remainder_z
      - .offset:         184
        .size:           8
        .value_kind:     hidden_global_offset_x
      - .offset:         192
        .size:           8
        .value_kind:     hidden_global_offset_y
      - .offset:         200
        .size:           8
        .value_kind:     hidden_global_offset_z
      - .offset:         208
        .size:           2
        .value_kind:     hidden_grid_dims
    .group_segment_fixed_size: 17472
    .kernarg_segment_align: 8
    .kernarg_segment_size: 400
    .language:       OpenCL C
    .language_version:
      - 2
      - 0
    .max_flat_workgroup_size: 256
    .name:           _Z39paged_attention_ll4mi_QKV_mfma16_kernelI14__hip_bfloat16hLN4vllm18Fp8KVCacheDataTypeE1EhLi32ELi64ELi256ELb1ELi12EL8MFMAType0EEvPKT_PKT0_S9_ifPKiSB_SB_iPKfiiiPfSE_PS4_PT2_iSD_SD_
    .private_segment_fixed_size: 0
    .sgpr_count:     42
    .sgpr_spill_count: 0
    .symbol:         _Z39paged_attention_ll4mi_QKV_mfma16_kernelI14__hip_bfloat16hLN4vllm18Fp8KVCacheDataTypeE1EhLi32ELi64ELi256ELb1ELi12EL8MFMAType0EEvPKT_PKT0_S9_ifPKiSB_SB_iPKfiiiPfSE_PS4_PT2_iSD_SD_.kd
    .uniform_work_group_size: 1
    .uses_dynamic_stack: false
    .vgpr_count:     124
    .vgpr_spill_count: 0
    .wavefront_size: 32
    .workgroup_processor_mode: 1
  - .args:
      - .actual_access:  read_only
        .address_space:  global
        .offset:         0
        .size:           8
        .value_kind:     global_buffer
      - .actual_access:  read_only
        .address_space:  global
        .offset:         8
        .size:           8
        .value_kind:     global_buffer
      - .actual_access:  read_only
        .address_space:  global
        .offset:         16
        .size:           8
        .value_kind:     global_buffer
      - .offset:         24
        .size:           4
        .value_kind:     by_value
      - .offset:         28
        .size:           4
        .value_kind:     by_value
      - .actual_access:  read_only
        .address_space:  global
        .offset:         32
        .size:           8
        .value_kind:     global_buffer
      - .actual_access:  read_only
        .address_space:  global
        .offset:         40
        .size:           8
        .value_kind:     global_buffer
      - .actual_access:  read_only
        .address_space:  global
        .offset:         48
        .size:           8
        .value_kind:     global_buffer
      - .offset:         56
        .size:           4
        .value_kind:     by_value
      - .actual_access:  read_only
        .address_space:  global
        .offset:         64
        .size:           8
        .value_kind:     global_buffer
      - .offset:         72
        .size:           4
        .value_kind:     by_value
      - .offset:         76
        .size:           4
        .value_kind:     by_value
      - .offset:         80
        .size:           4
        .value_kind:     by_value
      - .actual_access:  write_only
        .address_space:  global
        .offset:         88
        .size:           8
        .value_kind:     global_buffer
      - .actual_access:  write_only
        .address_space:  global
        .offset:         96
        .size:           8
        .value_kind:     global_buffer
      - .actual_access:  write_only
        .address_space:  global
        .offset:         104
        .size:           8
        .value_kind:     global_buffer
      - .actual_access:  read_only
        .address_space:  global
        .offset:         112
        .size:           8
        .value_kind:     global_buffer
      - .offset:         120
        .size:           4
        .value_kind:     by_value
      - .address_space:  global
        .offset:         128
        .size:           8
        .value_kind:     global_buffer
      - .address_space:  global
        .offset:         136
        .size:           8
        .value_kind:     global_buffer
      - .offset:         144
        .size:           4
        .value_kind:     hidden_block_count_x
      - .offset:         148
        .size:           4
        .value_kind:     hidden_block_count_y
      - .offset:         152
        .size:           4
        .value_kind:     hidden_block_count_z
      - .offset:         156
        .size:           2
        .value_kind:     hidden_group_size_x
      - .offset:         158
        .size:           2
        .value_kind:     hidden_group_size_y
      - .offset:         160
        .size:           2
        .value_kind:     hidden_group_size_z
      - .offset:         162
        .size:           2
        .value_kind:     hidden_remainder_x
      - .offset:         164
        .size:           2
        .value_kind:     hidden_remainder_y
      - .offset:         166
        .size:           2
        .value_kind:     hidden_remainder_z
      - .offset:         184
        .size:           8
        .value_kind:     hidden_global_offset_x
      - .offset:         192
        .size:           8
        .value_kind:     hidden_global_offset_y
      - .offset:         200
        .size:           8
        .value_kind:     hidden_global_offset_z
      - .offset:         208
        .size:           2
        .value_kind:     hidden_grid_dims
    .group_segment_fixed_size: 17472
    .kernarg_segment_align: 8
    .kernarg_segment_size: 400
    .language:       OpenCL C
    .language_version:
      - 2
      - 0
    .max_flat_workgroup_size: 256
    .name:           _Z39paged_attention_ll4mi_QKV_mfma16_kernelI14__hip_bfloat16hLN4vllm18Fp8KVCacheDataTypeE1EhLi32ELi64ELi256ELb1ELi13EL8MFMAType0EEvPKT_PKT0_S9_ifPKiSB_SB_iPKfiiiPfSE_PS4_PT2_iSD_SD_
    .private_segment_fixed_size: 0
    .sgpr_count:     44
    .sgpr_spill_count: 0
    .symbol:         _Z39paged_attention_ll4mi_QKV_mfma16_kernelI14__hip_bfloat16hLN4vllm18Fp8KVCacheDataTypeE1EhLi32ELi64ELi256ELb1ELi13EL8MFMAType0EEvPKT_PKT0_S9_ifPKiSB_SB_iPKfiiiPfSE_PS4_PT2_iSD_SD_.kd
    .uniform_work_group_size: 1
    .uses_dynamic_stack: false
    .vgpr_count:     124
    .vgpr_spill_count: 0
    .wavefront_size: 32
    .workgroup_processor_mode: 1
  - .args:
      - .actual_access:  read_only
        .address_space:  global
        .offset:         0
        .size:           8
        .value_kind:     global_buffer
      - .actual_access:  read_only
        .address_space:  global
        .offset:         8
        .size:           8
        .value_kind:     global_buffer
      - .actual_access:  read_only
        .address_space:  global
        .offset:         16
        .size:           8
        .value_kind:     global_buffer
      - .offset:         24
        .size:           4
        .value_kind:     by_value
      - .offset:         28
        .size:           4
        .value_kind:     by_value
      - .actual_access:  read_only
        .address_space:  global
        .offset:         32
        .size:           8
        .value_kind:     global_buffer
      - .actual_access:  read_only
        .address_space:  global
        .offset:         40
        .size:           8
        .value_kind:     global_buffer
      - .actual_access:  read_only
        .address_space:  global
        .offset:         48
        .size:           8
        .value_kind:     global_buffer
      - .offset:         56
        .size:           4
        .value_kind:     by_value
      - .actual_access:  read_only
        .address_space:  global
        .offset:         64
        .size:           8
        .value_kind:     global_buffer
      - .offset:         72
        .size:           4
        .value_kind:     by_value
      - .offset:         76
        .size:           4
        .value_kind:     by_value
      - .offset:         80
        .size:           4
        .value_kind:     by_value
      - .actual_access:  write_only
        .address_space:  global
        .offset:         88
        .size:           8
        .value_kind:     global_buffer
      - .actual_access:  write_only
        .address_space:  global
        .offset:         96
        .size:           8
        .value_kind:     global_buffer
      - .actual_access:  write_only
        .address_space:  global
        .offset:         104
        .size:           8
        .value_kind:     global_buffer
      - .actual_access:  read_only
        .address_space:  global
        .offset:         112
        .size:           8
        .value_kind:     global_buffer
      - .offset:         120
        .size:           4
        .value_kind:     by_value
      - .address_space:  global
        .offset:         128
        .size:           8
        .value_kind:     global_buffer
      - .address_space:  global
        .offset:         136
        .size:           8
        .value_kind:     global_buffer
      - .offset:         144
        .size:           4
        .value_kind:     hidden_block_count_x
      - .offset:         148
        .size:           4
        .value_kind:     hidden_block_count_y
      - .offset:         152
        .size:           4
        .value_kind:     hidden_block_count_z
      - .offset:         156
        .size:           2
        .value_kind:     hidden_group_size_x
      - .offset:         158
        .size:           2
        .value_kind:     hidden_group_size_y
      - .offset:         160
        .size:           2
        .value_kind:     hidden_group_size_z
      - .offset:         162
        .size:           2
        .value_kind:     hidden_remainder_x
      - .offset:         164
        .size:           2
        .value_kind:     hidden_remainder_y
      - .offset:         166
        .size:           2
        .value_kind:     hidden_remainder_z
      - .offset:         184
        .size:           8
        .value_kind:     hidden_global_offset_x
      - .offset:         192
        .size:           8
        .value_kind:     hidden_global_offset_y
      - .offset:         200
        .size:           8
        .value_kind:     hidden_global_offset_z
      - .offset:         208
        .size:           2
        .value_kind:     hidden_grid_dims
    .group_segment_fixed_size: 17472
    .kernarg_segment_align: 8
    .kernarg_segment_size: 400
    .language:       OpenCL C
    .language_version:
      - 2
      - 0
    .max_flat_workgroup_size: 256
    .name:           _Z39paged_attention_ll4mi_QKV_mfma16_kernelI14__hip_bfloat16hLN4vllm18Fp8KVCacheDataTypeE1EhLi32ELi64ELi256ELb1ELi14EL8MFMAType0EEvPKT_PKT0_S9_ifPKiSB_SB_iPKfiiiPfSE_PS4_PT2_iSD_SD_
    .private_segment_fixed_size: 0
    .sgpr_count:     42
    .sgpr_spill_count: 0
    .symbol:         _Z39paged_attention_ll4mi_QKV_mfma16_kernelI14__hip_bfloat16hLN4vllm18Fp8KVCacheDataTypeE1EhLi32ELi64ELi256ELb1ELi14EL8MFMAType0EEvPKT_PKT0_S9_ifPKiSB_SB_iPKfiiiPfSE_PS4_PT2_iSD_SD_.kd
    .uniform_work_group_size: 1
    .uses_dynamic_stack: false
    .vgpr_count:     124
    .vgpr_spill_count: 0
    .wavefront_size: 32
    .workgroup_processor_mode: 1
  - .args:
      - .actual_access:  read_only
        .address_space:  global
        .offset:         0
        .size:           8
        .value_kind:     global_buffer
      - .actual_access:  read_only
        .address_space:  global
        .offset:         8
        .size:           8
        .value_kind:     global_buffer
      - .actual_access:  read_only
        .address_space:  global
        .offset:         16
        .size:           8
        .value_kind:     global_buffer
      - .offset:         24
        .size:           4
        .value_kind:     by_value
      - .offset:         28
        .size:           4
        .value_kind:     by_value
      - .actual_access:  read_only
        .address_space:  global
        .offset:         32
        .size:           8
        .value_kind:     global_buffer
      - .actual_access:  read_only
        .address_space:  global
        .offset:         40
        .size:           8
        .value_kind:     global_buffer
      - .actual_access:  read_only
        .address_space:  global
        .offset:         48
        .size:           8
        .value_kind:     global_buffer
      - .offset:         56
        .size:           4
        .value_kind:     by_value
      - .actual_access:  read_only
        .address_space:  global
        .offset:         64
        .size:           8
        .value_kind:     global_buffer
      - .offset:         72
        .size:           4
        .value_kind:     by_value
      - .offset:         76
        .size:           4
        .value_kind:     by_value
      - .offset:         80
        .size:           4
        .value_kind:     by_value
      - .actual_access:  write_only
        .address_space:  global
        .offset:         88
        .size:           8
        .value_kind:     global_buffer
      - .actual_access:  write_only
        .address_space:  global
        .offset:         96
        .size:           8
        .value_kind:     global_buffer
      - .actual_access:  write_only
        .address_space:  global
        .offset:         104
        .size:           8
        .value_kind:     global_buffer
      - .actual_access:  read_only
        .address_space:  global
        .offset:         112
        .size:           8
        .value_kind:     global_buffer
      - .offset:         120
        .size:           4
        .value_kind:     by_value
      - .address_space:  global
        .offset:         128
        .size:           8
        .value_kind:     global_buffer
      - .address_space:  global
        .offset:         136
        .size:           8
        .value_kind:     global_buffer
      - .offset:         144
        .size:           4
        .value_kind:     hidden_block_count_x
      - .offset:         148
        .size:           4
        .value_kind:     hidden_block_count_y
      - .offset:         152
        .size:           4
        .value_kind:     hidden_block_count_z
      - .offset:         156
        .size:           2
        .value_kind:     hidden_group_size_x
      - .offset:         158
        .size:           2
        .value_kind:     hidden_group_size_y
      - .offset:         160
        .size:           2
        .value_kind:     hidden_group_size_z
      - .offset:         162
        .size:           2
        .value_kind:     hidden_remainder_x
      - .offset:         164
        .size:           2
        .value_kind:     hidden_remainder_y
      - .offset:         166
        .size:           2
        .value_kind:     hidden_remainder_z
      - .offset:         184
        .size:           8
        .value_kind:     hidden_global_offset_x
      - .offset:         192
        .size:           8
        .value_kind:     hidden_global_offset_y
      - .offset:         200
        .size:           8
        .value_kind:     hidden_global_offset_z
      - .offset:         208
        .size:           2
        .value_kind:     hidden_grid_dims
    .group_segment_fixed_size: 17472
    .kernarg_segment_align: 8
    .kernarg_segment_size: 400
    .language:       OpenCL C
    .language_version:
      - 2
      - 0
    .max_flat_workgroup_size: 256
    .name:           _Z39paged_attention_ll4mi_QKV_mfma16_kernelI14__hip_bfloat16hLN4vllm18Fp8KVCacheDataTypeE1EhLi32ELi64ELi256ELb1ELi15EL8MFMAType0EEvPKT_PKT0_S9_ifPKiSB_SB_iPKfiiiPfSE_PS4_PT2_iSD_SD_
    .private_segment_fixed_size: 0
    .sgpr_count:     44
    .sgpr_spill_count: 0
    .symbol:         _Z39paged_attention_ll4mi_QKV_mfma16_kernelI14__hip_bfloat16hLN4vllm18Fp8KVCacheDataTypeE1EhLi32ELi64ELi256ELb1ELi15EL8MFMAType0EEvPKT_PKT0_S9_ifPKiSB_SB_iPKfiiiPfSE_PS4_PT2_iSD_SD_.kd
    .uniform_work_group_size: 1
    .uses_dynamic_stack: false
    .vgpr_count:     124
    .vgpr_spill_count: 0
    .wavefront_size: 32
    .workgroup_processor_mode: 1
  - .args:
      - .actual_access:  read_only
        .address_space:  global
        .offset:         0
        .size:           8
        .value_kind:     global_buffer
      - .actual_access:  read_only
        .address_space:  global
        .offset:         8
        .size:           8
        .value_kind:     global_buffer
      - .actual_access:  read_only
        .address_space:  global
        .offset:         16
        .size:           8
        .value_kind:     global_buffer
      - .offset:         24
        .size:           4
        .value_kind:     by_value
      - .offset:         28
        .size:           4
        .value_kind:     by_value
      - .actual_access:  read_only
        .address_space:  global
        .offset:         32
        .size:           8
        .value_kind:     global_buffer
      - .actual_access:  read_only
        .address_space:  global
        .offset:         40
        .size:           8
        .value_kind:     global_buffer
      - .actual_access:  read_only
        .address_space:  global
        .offset:         48
        .size:           8
        .value_kind:     global_buffer
      - .offset:         56
        .size:           4
        .value_kind:     by_value
      - .actual_access:  read_only
        .address_space:  global
        .offset:         64
        .size:           8
        .value_kind:     global_buffer
      - .offset:         72
        .size:           4
        .value_kind:     by_value
      - .offset:         76
        .size:           4
        .value_kind:     by_value
      - .offset:         80
        .size:           4
        .value_kind:     by_value
      - .actual_access:  write_only
        .address_space:  global
        .offset:         88
        .size:           8
        .value_kind:     global_buffer
      - .actual_access:  write_only
        .address_space:  global
        .offset:         96
        .size:           8
        .value_kind:     global_buffer
      - .actual_access:  write_only
        .address_space:  global
        .offset:         104
        .size:           8
        .value_kind:     global_buffer
      - .actual_access:  read_only
        .address_space:  global
        .offset:         112
        .size:           8
        .value_kind:     global_buffer
      - .offset:         120
        .size:           4
        .value_kind:     by_value
      - .address_space:  global
        .offset:         128
        .size:           8
        .value_kind:     global_buffer
      - .address_space:  global
        .offset:         136
        .size:           8
        .value_kind:     global_buffer
      - .offset:         144
        .size:           4
        .value_kind:     hidden_block_count_x
      - .offset:         148
        .size:           4
        .value_kind:     hidden_block_count_y
      - .offset:         152
        .size:           4
        .value_kind:     hidden_block_count_z
      - .offset:         156
        .size:           2
        .value_kind:     hidden_group_size_x
      - .offset:         158
        .size:           2
        .value_kind:     hidden_group_size_y
      - .offset:         160
        .size:           2
        .value_kind:     hidden_group_size_z
      - .offset:         162
        .size:           2
        .value_kind:     hidden_remainder_x
      - .offset:         164
        .size:           2
        .value_kind:     hidden_remainder_y
      - .offset:         166
        .size:           2
        .value_kind:     hidden_remainder_z
      - .offset:         184
        .size:           8
        .value_kind:     hidden_global_offset_x
      - .offset:         192
        .size:           8
        .value_kind:     hidden_global_offset_y
      - .offset:         200
        .size:           8
        .value_kind:     hidden_global_offset_z
      - .offset:         208
        .size:           2
        .value_kind:     hidden_grid_dims
    .group_segment_fixed_size: 17472
    .kernarg_segment_align: 8
    .kernarg_segment_size: 400
    .language:       OpenCL C
    .language_version:
      - 2
      - 0
    .max_flat_workgroup_size: 256
    .name:           _Z39paged_attention_ll4mi_QKV_mfma16_kernelI14__hip_bfloat16hLN4vllm18Fp8KVCacheDataTypeE1EhLi32ELi64ELi256ELb1ELi16EL8MFMAType0EEvPKT_PKT0_S9_ifPKiSB_SB_iPKfiiiPfSE_PS4_PT2_iSD_SD_
    .private_segment_fixed_size: 0
    .sgpr_count:     42
    .sgpr_spill_count: 0
    .symbol:         _Z39paged_attention_ll4mi_QKV_mfma16_kernelI14__hip_bfloat16hLN4vllm18Fp8KVCacheDataTypeE1EhLi32ELi64ELi256ELb1ELi16EL8MFMAType0EEvPKT_PKT0_S9_ifPKiSB_SB_iPKfiiiPfSE_PS4_PT2_iSD_SD_.kd
    .uniform_work_group_size: 1
    .uses_dynamic_stack: false
    .vgpr_count:     125
    .vgpr_spill_count: 0
    .wavefront_size: 32
    .workgroup_processor_mode: 1
  - .args:
      - .actual_access:  read_only
        .address_space:  global
        .offset:         0
        .size:           8
        .value_kind:     global_buffer
      - .actual_access:  read_only
        .address_space:  global
        .offset:         8
        .size:           8
        .value_kind:     global_buffer
      - .actual_access:  read_only
        .address_space:  global
        .offset:         16
        .size:           8
        .value_kind:     global_buffer
      - .offset:         24
        .size:           4
        .value_kind:     by_value
      - .offset:         28
        .size:           4
        .value_kind:     by_value
      - .actual_access:  read_only
        .address_space:  global
        .offset:         32
        .size:           8
        .value_kind:     global_buffer
      - .actual_access:  read_only
        .address_space:  global
        .offset:         40
        .size:           8
        .value_kind:     global_buffer
      - .actual_access:  read_only
        .address_space:  global
        .offset:         48
        .size:           8
        .value_kind:     global_buffer
      - .offset:         56
        .size:           4
        .value_kind:     by_value
      - .actual_access:  read_only
        .address_space:  global
        .offset:         64
        .size:           8
        .value_kind:     global_buffer
      - .offset:         72
        .size:           4
        .value_kind:     by_value
      - .offset:         76
        .size:           4
        .value_kind:     by_value
      - .offset:         80
        .size:           4
        .value_kind:     by_value
      - .actual_access:  write_only
        .address_space:  global
        .offset:         88
        .size:           8
        .value_kind:     global_buffer
      - .actual_access:  write_only
        .address_space:  global
        .offset:         96
        .size:           8
        .value_kind:     global_buffer
      - .actual_access:  write_only
        .address_space:  global
        .offset:         104
        .size:           8
        .value_kind:     global_buffer
      - .actual_access:  read_only
        .address_space:  global
        .offset:         112
        .size:           8
        .value_kind:     global_buffer
      - .offset:         120
        .size:           4
        .value_kind:     by_value
      - .address_space:  global
        .offset:         128
        .size:           8
        .value_kind:     global_buffer
      - .address_space:  global
        .offset:         136
        .size:           8
        .value_kind:     global_buffer
      - .offset:         144
        .size:           4
        .value_kind:     hidden_block_count_x
      - .offset:         148
        .size:           4
        .value_kind:     hidden_block_count_y
      - .offset:         152
        .size:           4
        .value_kind:     hidden_block_count_z
      - .offset:         156
        .size:           2
        .value_kind:     hidden_group_size_x
      - .offset:         158
        .size:           2
        .value_kind:     hidden_group_size_y
      - .offset:         160
        .size:           2
        .value_kind:     hidden_group_size_z
      - .offset:         162
        .size:           2
        .value_kind:     hidden_remainder_x
      - .offset:         164
        .size:           2
        .value_kind:     hidden_remainder_y
      - .offset:         166
        .size:           2
        .value_kind:     hidden_remainder_z
      - .offset:         184
        .size:           8
        .value_kind:     hidden_global_offset_x
      - .offset:         192
        .size:           8
        .value_kind:     hidden_global_offset_y
      - .offset:         200
        .size:           8
        .value_kind:     hidden_global_offset_z
      - .offset:         208
        .size:           2
        .value_kind:     hidden_grid_dims
    .group_segment_fixed_size: 17472
    .kernarg_segment_align: 8
    .kernarg_segment_size: 400
    .language:       OpenCL C
    .language_version:
      - 2
      - 0
    .max_flat_workgroup_size: 256
    .name:           _Z39paged_attention_ll4mi_QKV_mfma16_kernelI14__hip_bfloat16hLN4vllm18Fp8KVCacheDataTypeE1EhLi32ELi64ELi256ELb1ELi1EL8MFMAType0EEvPKT_PKT0_S9_ifPKiSB_SB_iPKfiiiPfSE_PS4_PT2_iSD_SD_
    .private_segment_fixed_size: 0
    .sgpr_count:     52
    .sgpr_spill_count: 0
    .symbol:         _Z39paged_attention_ll4mi_QKV_mfma16_kernelI14__hip_bfloat16hLN4vllm18Fp8KVCacheDataTypeE1EhLi32ELi64ELi256ELb1ELi1EL8MFMAType0EEvPKT_PKT0_S9_ifPKiSB_SB_iPKfiiiPfSE_PS4_PT2_iSD_SD_.kd
    .uniform_work_group_size: 1
    .uses_dynamic_stack: false
    .vgpr_count:     131
    .vgpr_spill_count: 0
    .wavefront_size: 32
    .workgroup_processor_mode: 1
  - .args:
      - .actual_access:  read_only
        .address_space:  global
        .offset:         0
        .size:           8
        .value_kind:     global_buffer
      - .actual_access:  read_only
        .address_space:  global
        .offset:         8
        .size:           8
        .value_kind:     global_buffer
      - .actual_access:  read_only
        .address_space:  global
        .offset:         16
        .size:           8
        .value_kind:     global_buffer
      - .offset:         24
        .size:           4
        .value_kind:     by_value
      - .offset:         28
        .size:           4
        .value_kind:     by_value
      - .actual_access:  read_only
        .address_space:  global
        .offset:         32
        .size:           8
        .value_kind:     global_buffer
      - .actual_access:  read_only
        .address_space:  global
        .offset:         40
        .size:           8
        .value_kind:     global_buffer
      - .actual_access:  read_only
        .address_space:  global
        .offset:         48
        .size:           8
        .value_kind:     global_buffer
      - .offset:         56
        .size:           4
        .value_kind:     by_value
      - .actual_access:  read_only
        .address_space:  global
        .offset:         64
        .size:           8
        .value_kind:     global_buffer
      - .offset:         72
        .size:           4
        .value_kind:     by_value
      - .offset:         76
        .size:           4
        .value_kind:     by_value
      - .offset:         80
        .size:           4
        .value_kind:     by_value
      - .actual_access:  write_only
        .address_space:  global
        .offset:         88
        .size:           8
        .value_kind:     global_buffer
      - .actual_access:  write_only
        .address_space:  global
        .offset:         96
        .size:           8
        .value_kind:     global_buffer
      - .actual_access:  write_only
        .address_space:  global
        .offset:         104
        .size:           8
        .value_kind:     global_buffer
      - .actual_access:  read_only
        .address_space:  global
        .offset:         112
        .size:           8
        .value_kind:     global_buffer
      - .offset:         120
        .size:           4
        .value_kind:     by_value
      - .address_space:  global
        .offset:         128
        .size:           8
        .value_kind:     global_buffer
      - .address_space:  global
        .offset:         136
        .size:           8
        .value_kind:     global_buffer
      - .offset:         144
        .size:           4
        .value_kind:     hidden_block_count_x
      - .offset:         148
        .size:           4
        .value_kind:     hidden_block_count_y
      - .offset:         152
        .size:           4
        .value_kind:     hidden_block_count_z
      - .offset:         156
        .size:           2
        .value_kind:     hidden_group_size_x
      - .offset:         158
        .size:           2
        .value_kind:     hidden_group_size_y
      - .offset:         160
        .size:           2
        .value_kind:     hidden_group_size_z
      - .offset:         162
        .size:           2
        .value_kind:     hidden_remainder_x
      - .offset:         164
        .size:           2
        .value_kind:     hidden_remainder_y
      - .offset:         166
        .size:           2
        .value_kind:     hidden_remainder_z
      - .offset:         184
        .size:           8
        .value_kind:     hidden_global_offset_x
      - .offset:         192
        .size:           8
        .value_kind:     hidden_global_offset_y
      - .offset:         200
        .size:           8
        .value_kind:     hidden_global_offset_z
      - .offset:         208
        .size:           2
        .value_kind:     hidden_grid_dims
    .group_segment_fixed_size: 17472
    .kernarg_segment_align: 8
    .kernarg_segment_size: 400
    .language:       OpenCL C
    .language_version:
      - 2
      - 0
    .max_flat_workgroup_size: 256
    .name:           _Z39paged_attention_ll4mi_QKV_mfma16_kernelI14__hip_bfloat16hLN4vllm18Fp8KVCacheDataTypeE1EhLi32ELi64ELi256ELb1ELi2EL8MFMAType0EEvPKT_PKT0_S9_ifPKiSB_SB_iPKfiiiPfSE_PS4_PT2_iSD_SD_
    .private_segment_fixed_size: 0
    .sgpr_count:     42
    .sgpr_spill_count: 0
    .symbol:         _Z39paged_attention_ll4mi_QKV_mfma16_kernelI14__hip_bfloat16hLN4vllm18Fp8KVCacheDataTypeE1EhLi32ELi64ELi256ELb1ELi2EL8MFMAType0EEvPKT_PKT0_S9_ifPKiSB_SB_iPKfiiiPfSE_PS4_PT2_iSD_SD_.kd
    .uniform_work_group_size: 1
    .uses_dynamic_stack: false
    .vgpr_count:     125
    .vgpr_spill_count: 0
    .wavefront_size: 32
    .workgroup_processor_mode: 1
  - .args:
      - .actual_access:  read_only
        .address_space:  global
        .offset:         0
        .size:           8
        .value_kind:     global_buffer
      - .actual_access:  read_only
        .address_space:  global
        .offset:         8
        .size:           8
        .value_kind:     global_buffer
      - .actual_access:  read_only
        .address_space:  global
        .offset:         16
        .size:           8
        .value_kind:     global_buffer
      - .offset:         24
        .size:           4
        .value_kind:     by_value
      - .offset:         28
        .size:           4
        .value_kind:     by_value
      - .actual_access:  read_only
        .address_space:  global
        .offset:         32
        .size:           8
        .value_kind:     global_buffer
      - .actual_access:  read_only
        .address_space:  global
        .offset:         40
        .size:           8
        .value_kind:     global_buffer
      - .actual_access:  read_only
        .address_space:  global
        .offset:         48
        .size:           8
        .value_kind:     global_buffer
      - .offset:         56
        .size:           4
        .value_kind:     by_value
      - .actual_access:  read_only
        .address_space:  global
        .offset:         64
        .size:           8
        .value_kind:     global_buffer
      - .offset:         72
        .size:           4
        .value_kind:     by_value
      - .offset:         76
        .size:           4
        .value_kind:     by_value
      - .offset:         80
        .size:           4
        .value_kind:     by_value
      - .actual_access:  write_only
        .address_space:  global
        .offset:         88
        .size:           8
        .value_kind:     global_buffer
      - .actual_access:  write_only
        .address_space:  global
        .offset:         96
        .size:           8
        .value_kind:     global_buffer
      - .actual_access:  write_only
        .address_space:  global
        .offset:         104
        .size:           8
        .value_kind:     global_buffer
      - .actual_access:  read_only
        .address_space:  global
        .offset:         112
        .size:           8
        .value_kind:     global_buffer
      - .offset:         120
        .size:           4
        .value_kind:     by_value
      - .address_space:  global
        .offset:         128
        .size:           8
        .value_kind:     global_buffer
      - .address_space:  global
        .offset:         136
        .size:           8
        .value_kind:     global_buffer
      - .offset:         144
        .size:           4
        .value_kind:     hidden_block_count_x
      - .offset:         148
        .size:           4
        .value_kind:     hidden_block_count_y
      - .offset:         152
        .size:           4
        .value_kind:     hidden_block_count_z
      - .offset:         156
        .size:           2
        .value_kind:     hidden_group_size_x
      - .offset:         158
        .size:           2
        .value_kind:     hidden_group_size_y
      - .offset:         160
        .size:           2
        .value_kind:     hidden_group_size_z
      - .offset:         162
        .size:           2
        .value_kind:     hidden_remainder_x
      - .offset:         164
        .size:           2
        .value_kind:     hidden_remainder_y
      - .offset:         166
        .size:           2
        .value_kind:     hidden_remainder_z
      - .offset:         184
        .size:           8
        .value_kind:     hidden_global_offset_x
      - .offset:         192
        .size:           8
        .value_kind:     hidden_global_offset_y
      - .offset:         200
        .size:           8
        .value_kind:     hidden_global_offset_z
      - .offset:         208
        .size:           2
        .value_kind:     hidden_grid_dims
    .group_segment_fixed_size: 17472
    .kernarg_segment_align: 8
    .kernarg_segment_size: 400
    .language:       OpenCL C
    .language_version:
      - 2
      - 0
    .max_flat_workgroup_size: 256
    .name:           _Z39paged_attention_ll4mi_QKV_mfma16_kernelI14__hip_bfloat16hLN4vllm18Fp8KVCacheDataTypeE1EhLi32ELi64ELi256ELb1ELi3EL8MFMAType0EEvPKT_PKT0_S9_ifPKiSB_SB_iPKfiiiPfSE_PS4_PT2_iSD_SD_
    .private_segment_fixed_size: 0
    .sgpr_count:     44
    .sgpr_spill_count: 0
    .symbol:         _Z39paged_attention_ll4mi_QKV_mfma16_kernelI14__hip_bfloat16hLN4vllm18Fp8KVCacheDataTypeE1EhLi32ELi64ELi256ELb1ELi3EL8MFMAType0EEvPKT_PKT0_S9_ifPKiSB_SB_iPKfiiiPfSE_PS4_PT2_iSD_SD_.kd
    .uniform_work_group_size: 1
    .uses_dynamic_stack: false
    .vgpr_count:     124
    .vgpr_spill_count: 0
    .wavefront_size: 32
    .workgroup_processor_mode: 1
  - .args:
      - .actual_access:  read_only
        .address_space:  global
        .offset:         0
        .size:           8
        .value_kind:     global_buffer
      - .actual_access:  read_only
        .address_space:  global
        .offset:         8
        .size:           8
        .value_kind:     global_buffer
      - .actual_access:  read_only
        .address_space:  global
        .offset:         16
        .size:           8
        .value_kind:     global_buffer
      - .offset:         24
        .size:           4
        .value_kind:     by_value
      - .offset:         28
        .size:           4
        .value_kind:     by_value
      - .actual_access:  read_only
        .address_space:  global
        .offset:         32
        .size:           8
        .value_kind:     global_buffer
      - .actual_access:  read_only
        .address_space:  global
        .offset:         40
        .size:           8
        .value_kind:     global_buffer
      - .actual_access:  read_only
        .address_space:  global
        .offset:         48
        .size:           8
        .value_kind:     global_buffer
      - .offset:         56
        .size:           4
        .value_kind:     by_value
      - .actual_access:  read_only
        .address_space:  global
        .offset:         64
        .size:           8
        .value_kind:     global_buffer
      - .offset:         72
        .size:           4
        .value_kind:     by_value
      - .offset:         76
        .size:           4
        .value_kind:     by_value
      - .offset:         80
        .size:           4
        .value_kind:     by_value
      - .actual_access:  write_only
        .address_space:  global
        .offset:         88
        .size:           8
        .value_kind:     global_buffer
      - .actual_access:  write_only
        .address_space:  global
        .offset:         96
        .size:           8
        .value_kind:     global_buffer
      - .actual_access:  write_only
        .address_space:  global
        .offset:         104
        .size:           8
        .value_kind:     global_buffer
      - .actual_access:  read_only
        .address_space:  global
        .offset:         112
        .size:           8
        .value_kind:     global_buffer
      - .offset:         120
        .size:           4
        .value_kind:     by_value
      - .address_space:  global
        .offset:         128
        .size:           8
        .value_kind:     global_buffer
      - .address_space:  global
        .offset:         136
        .size:           8
        .value_kind:     global_buffer
      - .offset:         144
        .size:           4
        .value_kind:     hidden_block_count_x
      - .offset:         148
        .size:           4
        .value_kind:     hidden_block_count_y
      - .offset:         152
        .size:           4
        .value_kind:     hidden_block_count_z
      - .offset:         156
        .size:           2
        .value_kind:     hidden_group_size_x
      - .offset:         158
        .size:           2
        .value_kind:     hidden_group_size_y
      - .offset:         160
        .size:           2
        .value_kind:     hidden_group_size_z
      - .offset:         162
        .size:           2
        .value_kind:     hidden_remainder_x
      - .offset:         164
        .size:           2
        .value_kind:     hidden_remainder_y
      - .offset:         166
        .size:           2
        .value_kind:     hidden_remainder_z
      - .offset:         184
        .size:           8
        .value_kind:     hidden_global_offset_x
      - .offset:         192
        .size:           8
        .value_kind:     hidden_global_offset_y
      - .offset:         200
        .size:           8
        .value_kind:     hidden_global_offset_z
      - .offset:         208
        .size:           2
        .value_kind:     hidden_grid_dims
    .group_segment_fixed_size: 17472
    .kernarg_segment_align: 8
    .kernarg_segment_size: 400
    .language:       OpenCL C
    .language_version:
      - 2
      - 0
    .max_flat_workgroup_size: 256
    .name:           _Z39paged_attention_ll4mi_QKV_mfma16_kernelI14__hip_bfloat16hLN4vllm18Fp8KVCacheDataTypeE1EhLi32ELi64ELi256ELb1ELi4EL8MFMAType0EEvPKT_PKT0_S9_ifPKiSB_SB_iPKfiiiPfSE_PS4_PT2_iSD_SD_
    .private_segment_fixed_size: 0
    .sgpr_count:     42
    .sgpr_spill_count: 0
    .symbol:         _Z39paged_attention_ll4mi_QKV_mfma16_kernelI14__hip_bfloat16hLN4vllm18Fp8KVCacheDataTypeE1EhLi32ELi64ELi256ELb1ELi4EL8MFMAType0EEvPKT_PKT0_S9_ifPKiSB_SB_iPKfiiiPfSE_PS4_PT2_iSD_SD_.kd
    .uniform_work_group_size: 1
    .uses_dynamic_stack: false
    .vgpr_count:     124
    .vgpr_spill_count: 0
    .wavefront_size: 32
    .workgroup_processor_mode: 1
  - .args:
      - .actual_access:  read_only
        .address_space:  global
        .offset:         0
        .size:           8
        .value_kind:     global_buffer
      - .actual_access:  read_only
        .address_space:  global
        .offset:         8
        .size:           8
        .value_kind:     global_buffer
      - .actual_access:  read_only
        .address_space:  global
        .offset:         16
        .size:           8
        .value_kind:     global_buffer
      - .offset:         24
        .size:           4
        .value_kind:     by_value
      - .offset:         28
        .size:           4
        .value_kind:     by_value
      - .actual_access:  read_only
        .address_space:  global
        .offset:         32
        .size:           8
        .value_kind:     global_buffer
      - .actual_access:  read_only
        .address_space:  global
        .offset:         40
        .size:           8
        .value_kind:     global_buffer
      - .actual_access:  read_only
        .address_space:  global
        .offset:         48
        .size:           8
        .value_kind:     global_buffer
      - .offset:         56
        .size:           4
        .value_kind:     by_value
      - .actual_access:  read_only
        .address_space:  global
        .offset:         64
        .size:           8
        .value_kind:     global_buffer
      - .offset:         72
        .size:           4
        .value_kind:     by_value
      - .offset:         76
        .size:           4
        .value_kind:     by_value
      - .offset:         80
        .size:           4
        .value_kind:     by_value
      - .actual_access:  write_only
        .address_space:  global
        .offset:         88
        .size:           8
        .value_kind:     global_buffer
      - .actual_access:  write_only
        .address_space:  global
        .offset:         96
        .size:           8
        .value_kind:     global_buffer
      - .actual_access:  write_only
        .address_space:  global
        .offset:         104
        .size:           8
        .value_kind:     global_buffer
      - .actual_access:  read_only
        .address_space:  global
        .offset:         112
        .size:           8
        .value_kind:     global_buffer
      - .offset:         120
        .size:           4
        .value_kind:     by_value
      - .address_space:  global
        .offset:         128
        .size:           8
        .value_kind:     global_buffer
      - .address_space:  global
        .offset:         136
        .size:           8
        .value_kind:     global_buffer
      - .offset:         144
        .size:           4
        .value_kind:     hidden_block_count_x
      - .offset:         148
        .size:           4
        .value_kind:     hidden_block_count_y
      - .offset:         152
        .size:           4
        .value_kind:     hidden_block_count_z
      - .offset:         156
        .size:           2
        .value_kind:     hidden_group_size_x
      - .offset:         158
        .size:           2
        .value_kind:     hidden_group_size_y
      - .offset:         160
        .size:           2
        .value_kind:     hidden_group_size_z
      - .offset:         162
        .size:           2
        .value_kind:     hidden_remainder_x
      - .offset:         164
        .size:           2
        .value_kind:     hidden_remainder_y
      - .offset:         166
        .size:           2
        .value_kind:     hidden_remainder_z
      - .offset:         184
        .size:           8
        .value_kind:     hidden_global_offset_x
      - .offset:         192
        .size:           8
        .value_kind:     hidden_global_offset_y
      - .offset:         200
        .size:           8
        .value_kind:     hidden_global_offset_z
      - .offset:         208
        .size:           2
        .value_kind:     hidden_grid_dims
    .group_segment_fixed_size: 17472
    .kernarg_segment_align: 8
    .kernarg_segment_size: 400
    .language:       OpenCL C
    .language_version:
      - 2
      - 0
    .max_flat_workgroup_size: 256
    .name:           _Z39paged_attention_ll4mi_QKV_mfma16_kernelI14__hip_bfloat16hLN4vllm18Fp8KVCacheDataTypeE1EhLi32ELi64ELi256ELb0ELi5EL8MFMAType0EEvPKT_PKT0_S9_ifPKiSB_SB_iPKfiiiPfSE_PS4_PT2_iSD_SD_
    .private_segment_fixed_size: 0
    .sgpr_count:     44
    .sgpr_spill_count: 0
    .symbol:         _Z39paged_attention_ll4mi_QKV_mfma16_kernelI14__hip_bfloat16hLN4vllm18Fp8KVCacheDataTypeE1EhLi32ELi64ELi256ELb0ELi5EL8MFMAType0EEvPKT_PKT0_S9_ifPKiSB_SB_iPKfiiiPfSE_PS4_PT2_iSD_SD_.kd
    .uniform_work_group_size: 1
    .uses_dynamic_stack: false
    .vgpr_count:     124
    .vgpr_spill_count: 0
    .wavefront_size: 32
    .workgroup_processor_mode: 1
  - .args:
      - .actual_access:  read_only
        .address_space:  global
        .offset:         0
        .size:           8
        .value_kind:     global_buffer
      - .actual_access:  read_only
        .address_space:  global
        .offset:         8
        .size:           8
        .value_kind:     global_buffer
      - .actual_access:  read_only
        .address_space:  global
        .offset:         16
        .size:           8
        .value_kind:     global_buffer
      - .offset:         24
        .size:           4
        .value_kind:     by_value
      - .offset:         28
        .size:           4
        .value_kind:     by_value
      - .actual_access:  read_only
        .address_space:  global
        .offset:         32
        .size:           8
        .value_kind:     global_buffer
      - .actual_access:  read_only
        .address_space:  global
        .offset:         40
        .size:           8
        .value_kind:     global_buffer
      - .actual_access:  read_only
        .address_space:  global
        .offset:         48
        .size:           8
        .value_kind:     global_buffer
      - .offset:         56
        .size:           4
        .value_kind:     by_value
      - .actual_access:  read_only
        .address_space:  global
        .offset:         64
        .size:           8
        .value_kind:     global_buffer
      - .offset:         72
        .size:           4
        .value_kind:     by_value
      - .offset:         76
        .size:           4
        .value_kind:     by_value
      - .offset:         80
        .size:           4
        .value_kind:     by_value
      - .actual_access:  write_only
        .address_space:  global
        .offset:         88
        .size:           8
        .value_kind:     global_buffer
      - .actual_access:  write_only
        .address_space:  global
        .offset:         96
        .size:           8
        .value_kind:     global_buffer
      - .actual_access:  write_only
        .address_space:  global
        .offset:         104
        .size:           8
        .value_kind:     global_buffer
      - .actual_access:  read_only
        .address_space:  global
        .offset:         112
        .size:           8
        .value_kind:     global_buffer
      - .offset:         120
        .size:           4
        .value_kind:     by_value
      - .address_space:  global
        .offset:         128
        .size:           8
        .value_kind:     global_buffer
      - .address_space:  global
        .offset:         136
        .size:           8
        .value_kind:     global_buffer
      - .offset:         144
        .size:           4
        .value_kind:     hidden_block_count_x
      - .offset:         148
        .size:           4
        .value_kind:     hidden_block_count_y
      - .offset:         152
        .size:           4
        .value_kind:     hidden_block_count_z
      - .offset:         156
        .size:           2
        .value_kind:     hidden_group_size_x
      - .offset:         158
        .size:           2
        .value_kind:     hidden_group_size_y
      - .offset:         160
        .size:           2
        .value_kind:     hidden_group_size_z
      - .offset:         162
        .size:           2
        .value_kind:     hidden_remainder_x
      - .offset:         164
        .size:           2
        .value_kind:     hidden_remainder_y
      - .offset:         166
        .size:           2
        .value_kind:     hidden_remainder_z
      - .offset:         184
        .size:           8
        .value_kind:     hidden_global_offset_x
      - .offset:         192
        .size:           8
        .value_kind:     hidden_global_offset_y
      - .offset:         200
        .size:           8
        .value_kind:     hidden_global_offset_z
      - .offset:         208
        .size:           2
        .value_kind:     hidden_grid_dims
    .group_segment_fixed_size: 17472
    .kernarg_segment_align: 8
    .kernarg_segment_size: 400
    .language:       OpenCL C
    .language_version:
      - 2
      - 0
    .max_flat_workgroup_size: 256
    .name:           _Z39paged_attention_ll4mi_QKV_mfma16_kernelI14__hip_bfloat16hLN4vllm18Fp8KVCacheDataTypeE1EhLi32ELi64ELi256ELb0ELi6EL8MFMAType0EEvPKT_PKT0_S9_ifPKiSB_SB_iPKfiiiPfSE_PS4_PT2_iSD_SD_
    .private_segment_fixed_size: 0
    .sgpr_count:     42
    .sgpr_spill_count: 0
    .symbol:         _Z39paged_attention_ll4mi_QKV_mfma16_kernelI14__hip_bfloat16hLN4vllm18Fp8KVCacheDataTypeE1EhLi32ELi64ELi256ELb0ELi6EL8MFMAType0EEvPKT_PKT0_S9_ifPKiSB_SB_iPKfiiiPfSE_PS4_PT2_iSD_SD_.kd
    .uniform_work_group_size: 1
    .uses_dynamic_stack: false
    .vgpr_count:     124
    .vgpr_spill_count: 0
    .wavefront_size: 32
    .workgroup_processor_mode: 1
  - .args:
      - .actual_access:  read_only
        .address_space:  global
        .offset:         0
        .size:           8
        .value_kind:     global_buffer
      - .actual_access:  read_only
        .address_space:  global
        .offset:         8
        .size:           8
        .value_kind:     global_buffer
      - .actual_access:  read_only
        .address_space:  global
        .offset:         16
        .size:           8
        .value_kind:     global_buffer
      - .offset:         24
        .size:           4
        .value_kind:     by_value
      - .offset:         28
        .size:           4
        .value_kind:     by_value
      - .actual_access:  read_only
        .address_space:  global
        .offset:         32
        .size:           8
        .value_kind:     global_buffer
      - .actual_access:  read_only
        .address_space:  global
        .offset:         40
        .size:           8
        .value_kind:     global_buffer
      - .actual_access:  read_only
        .address_space:  global
        .offset:         48
        .size:           8
        .value_kind:     global_buffer
      - .offset:         56
        .size:           4
        .value_kind:     by_value
      - .actual_access:  read_only
        .address_space:  global
        .offset:         64
        .size:           8
        .value_kind:     global_buffer
      - .offset:         72
        .size:           4
        .value_kind:     by_value
      - .offset:         76
        .size:           4
        .value_kind:     by_value
      - .offset:         80
        .size:           4
        .value_kind:     by_value
      - .actual_access:  write_only
        .address_space:  global
        .offset:         88
        .size:           8
        .value_kind:     global_buffer
      - .actual_access:  write_only
        .address_space:  global
        .offset:         96
        .size:           8
        .value_kind:     global_buffer
      - .actual_access:  write_only
        .address_space:  global
        .offset:         104
        .size:           8
        .value_kind:     global_buffer
      - .actual_access:  read_only
        .address_space:  global
        .offset:         112
        .size:           8
        .value_kind:     global_buffer
      - .offset:         120
        .size:           4
        .value_kind:     by_value
      - .address_space:  global
        .offset:         128
        .size:           8
        .value_kind:     global_buffer
      - .address_space:  global
        .offset:         136
        .size:           8
        .value_kind:     global_buffer
      - .offset:         144
        .size:           4
        .value_kind:     hidden_block_count_x
      - .offset:         148
        .size:           4
        .value_kind:     hidden_block_count_y
      - .offset:         152
        .size:           4
        .value_kind:     hidden_block_count_z
      - .offset:         156
        .size:           2
        .value_kind:     hidden_group_size_x
      - .offset:         158
        .size:           2
        .value_kind:     hidden_group_size_y
      - .offset:         160
        .size:           2
        .value_kind:     hidden_group_size_z
      - .offset:         162
        .size:           2
        .value_kind:     hidden_remainder_x
      - .offset:         164
        .size:           2
        .value_kind:     hidden_remainder_y
      - .offset:         166
        .size:           2
        .value_kind:     hidden_remainder_z
      - .offset:         184
        .size:           8
        .value_kind:     hidden_global_offset_x
      - .offset:         192
        .size:           8
        .value_kind:     hidden_global_offset_y
      - .offset:         200
        .size:           8
        .value_kind:     hidden_global_offset_z
      - .offset:         208
        .size:           2
        .value_kind:     hidden_grid_dims
    .group_segment_fixed_size: 17472
    .kernarg_segment_align: 8
    .kernarg_segment_size: 400
    .language:       OpenCL C
    .language_version:
      - 2
      - 0
    .max_flat_workgroup_size: 256
    .name:           _Z39paged_attention_ll4mi_QKV_mfma16_kernelI14__hip_bfloat16hLN4vllm18Fp8KVCacheDataTypeE1EhLi32ELi64ELi256ELb0ELi7EL8MFMAType0EEvPKT_PKT0_S9_ifPKiSB_SB_iPKfiiiPfSE_PS4_PT2_iSD_SD_
    .private_segment_fixed_size: 0
    .sgpr_count:     44
    .sgpr_spill_count: 0
    .symbol:         _Z39paged_attention_ll4mi_QKV_mfma16_kernelI14__hip_bfloat16hLN4vllm18Fp8KVCacheDataTypeE1EhLi32ELi64ELi256ELb0ELi7EL8MFMAType0EEvPKT_PKT0_S9_ifPKiSB_SB_iPKfiiiPfSE_PS4_PT2_iSD_SD_.kd
    .uniform_work_group_size: 1
    .uses_dynamic_stack: false
    .vgpr_count:     124
    .vgpr_spill_count: 0
    .wavefront_size: 32
    .workgroup_processor_mode: 1
  - .args:
      - .actual_access:  read_only
        .address_space:  global
        .offset:         0
        .size:           8
        .value_kind:     global_buffer
      - .actual_access:  read_only
        .address_space:  global
        .offset:         8
        .size:           8
        .value_kind:     global_buffer
      - .actual_access:  read_only
        .address_space:  global
        .offset:         16
        .size:           8
        .value_kind:     global_buffer
      - .offset:         24
        .size:           4
        .value_kind:     by_value
      - .offset:         28
        .size:           4
        .value_kind:     by_value
      - .actual_access:  read_only
        .address_space:  global
        .offset:         32
        .size:           8
        .value_kind:     global_buffer
      - .actual_access:  read_only
        .address_space:  global
        .offset:         40
        .size:           8
        .value_kind:     global_buffer
      - .actual_access:  read_only
        .address_space:  global
        .offset:         48
        .size:           8
        .value_kind:     global_buffer
      - .offset:         56
        .size:           4
        .value_kind:     by_value
      - .actual_access:  read_only
        .address_space:  global
        .offset:         64
        .size:           8
        .value_kind:     global_buffer
      - .offset:         72
        .size:           4
        .value_kind:     by_value
      - .offset:         76
        .size:           4
        .value_kind:     by_value
      - .offset:         80
        .size:           4
        .value_kind:     by_value
      - .actual_access:  write_only
        .address_space:  global
        .offset:         88
        .size:           8
        .value_kind:     global_buffer
      - .actual_access:  write_only
        .address_space:  global
        .offset:         96
        .size:           8
        .value_kind:     global_buffer
      - .actual_access:  write_only
        .address_space:  global
        .offset:         104
        .size:           8
        .value_kind:     global_buffer
      - .actual_access:  read_only
        .address_space:  global
        .offset:         112
        .size:           8
        .value_kind:     global_buffer
      - .offset:         120
        .size:           4
        .value_kind:     by_value
      - .address_space:  global
        .offset:         128
        .size:           8
        .value_kind:     global_buffer
      - .address_space:  global
        .offset:         136
        .size:           8
        .value_kind:     global_buffer
      - .offset:         144
        .size:           4
        .value_kind:     hidden_block_count_x
      - .offset:         148
        .size:           4
        .value_kind:     hidden_block_count_y
      - .offset:         152
        .size:           4
        .value_kind:     hidden_block_count_z
      - .offset:         156
        .size:           2
        .value_kind:     hidden_group_size_x
      - .offset:         158
        .size:           2
        .value_kind:     hidden_group_size_y
      - .offset:         160
        .size:           2
        .value_kind:     hidden_group_size_z
      - .offset:         162
        .size:           2
        .value_kind:     hidden_remainder_x
      - .offset:         164
        .size:           2
        .value_kind:     hidden_remainder_y
      - .offset:         166
        .size:           2
        .value_kind:     hidden_remainder_z
      - .offset:         184
        .size:           8
        .value_kind:     hidden_global_offset_x
      - .offset:         192
        .size:           8
        .value_kind:     hidden_global_offset_y
      - .offset:         200
        .size:           8
        .value_kind:     hidden_global_offset_z
      - .offset:         208
        .size:           2
        .value_kind:     hidden_grid_dims
    .group_segment_fixed_size: 17472
    .kernarg_segment_align: 8
    .kernarg_segment_size: 400
    .language:       OpenCL C
    .language_version:
      - 2
      - 0
    .max_flat_workgroup_size: 256
    .name:           _Z39paged_attention_ll4mi_QKV_mfma16_kernelI14__hip_bfloat16hLN4vllm18Fp8KVCacheDataTypeE1EhLi32ELi64ELi256ELb0ELi8EL8MFMAType0EEvPKT_PKT0_S9_ifPKiSB_SB_iPKfiiiPfSE_PS4_PT2_iSD_SD_
    .private_segment_fixed_size: 0
    .sgpr_count:     42
    .sgpr_spill_count: 0
    .symbol:         _Z39paged_attention_ll4mi_QKV_mfma16_kernelI14__hip_bfloat16hLN4vllm18Fp8KVCacheDataTypeE1EhLi32ELi64ELi256ELb0ELi8EL8MFMAType0EEvPKT_PKT0_S9_ifPKiSB_SB_iPKfiiiPfSE_PS4_PT2_iSD_SD_.kd
    .uniform_work_group_size: 1
    .uses_dynamic_stack: false
    .vgpr_count:     124
    .vgpr_spill_count: 0
    .wavefront_size: 32
    .workgroup_processor_mode: 1
  - .args:
      - .actual_access:  read_only
        .address_space:  global
        .offset:         0
        .size:           8
        .value_kind:     global_buffer
      - .actual_access:  read_only
        .address_space:  global
        .offset:         8
        .size:           8
        .value_kind:     global_buffer
      - .actual_access:  read_only
        .address_space:  global
        .offset:         16
        .size:           8
        .value_kind:     global_buffer
      - .offset:         24
        .size:           4
        .value_kind:     by_value
      - .offset:         28
        .size:           4
        .value_kind:     by_value
      - .actual_access:  read_only
        .address_space:  global
        .offset:         32
        .size:           8
        .value_kind:     global_buffer
      - .actual_access:  read_only
        .address_space:  global
        .offset:         40
        .size:           8
        .value_kind:     global_buffer
      - .actual_access:  read_only
        .address_space:  global
        .offset:         48
        .size:           8
        .value_kind:     global_buffer
      - .offset:         56
        .size:           4
        .value_kind:     by_value
      - .actual_access:  read_only
        .address_space:  global
        .offset:         64
        .size:           8
        .value_kind:     global_buffer
      - .offset:         72
        .size:           4
        .value_kind:     by_value
      - .offset:         76
        .size:           4
        .value_kind:     by_value
      - .offset:         80
        .size:           4
        .value_kind:     by_value
      - .actual_access:  write_only
        .address_space:  global
        .offset:         88
        .size:           8
        .value_kind:     global_buffer
      - .actual_access:  write_only
        .address_space:  global
        .offset:         96
        .size:           8
        .value_kind:     global_buffer
      - .actual_access:  write_only
        .address_space:  global
        .offset:         104
        .size:           8
        .value_kind:     global_buffer
      - .actual_access:  read_only
        .address_space:  global
        .offset:         112
        .size:           8
        .value_kind:     global_buffer
      - .offset:         120
        .size:           4
        .value_kind:     by_value
      - .address_space:  global
        .offset:         128
        .size:           8
        .value_kind:     global_buffer
      - .address_space:  global
        .offset:         136
        .size:           8
        .value_kind:     global_buffer
      - .offset:         144
        .size:           4
        .value_kind:     hidden_block_count_x
      - .offset:         148
        .size:           4
        .value_kind:     hidden_block_count_y
      - .offset:         152
        .size:           4
        .value_kind:     hidden_block_count_z
      - .offset:         156
        .size:           2
        .value_kind:     hidden_group_size_x
      - .offset:         158
        .size:           2
        .value_kind:     hidden_group_size_y
      - .offset:         160
        .size:           2
        .value_kind:     hidden_group_size_z
      - .offset:         162
        .size:           2
        .value_kind:     hidden_remainder_x
      - .offset:         164
        .size:           2
        .value_kind:     hidden_remainder_y
      - .offset:         166
        .size:           2
        .value_kind:     hidden_remainder_z
      - .offset:         184
        .size:           8
        .value_kind:     hidden_global_offset_x
      - .offset:         192
        .size:           8
        .value_kind:     hidden_global_offset_y
      - .offset:         200
        .size:           8
        .value_kind:     hidden_global_offset_z
      - .offset:         208
        .size:           2
        .value_kind:     hidden_grid_dims
    .group_segment_fixed_size: 17472
    .kernarg_segment_align: 8
    .kernarg_segment_size: 400
    .language:       OpenCL C
    .language_version:
      - 2
      - 0
    .max_flat_workgroup_size: 256
    .name:           _Z39paged_attention_ll4mi_QKV_mfma16_kernelI14__hip_bfloat16hLN4vllm18Fp8KVCacheDataTypeE1EhLi32ELi64ELi256ELb0ELi9EL8MFMAType0EEvPKT_PKT0_S9_ifPKiSB_SB_iPKfiiiPfSE_PS4_PT2_iSD_SD_
    .private_segment_fixed_size: 0
    .sgpr_count:     44
    .sgpr_spill_count: 0
    .symbol:         _Z39paged_attention_ll4mi_QKV_mfma16_kernelI14__hip_bfloat16hLN4vllm18Fp8KVCacheDataTypeE1EhLi32ELi64ELi256ELb0ELi9EL8MFMAType0EEvPKT_PKT0_S9_ifPKiSB_SB_iPKfiiiPfSE_PS4_PT2_iSD_SD_.kd
    .uniform_work_group_size: 1
    .uses_dynamic_stack: false
    .vgpr_count:     124
    .vgpr_spill_count: 0
    .wavefront_size: 32
    .workgroup_processor_mode: 1
  - .args:
      - .actual_access:  read_only
        .address_space:  global
        .offset:         0
        .size:           8
        .value_kind:     global_buffer
      - .actual_access:  read_only
        .address_space:  global
        .offset:         8
        .size:           8
        .value_kind:     global_buffer
      - .actual_access:  read_only
        .address_space:  global
        .offset:         16
        .size:           8
        .value_kind:     global_buffer
      - .offset:         24
        .size:           4
        .value_kind:     by_value
      - .offset:         28
        .size:           4
        .value_kind:     by_value
      - .actual_access:  read_only
        .address_space:  global
        .offset:         32
        .size:           8
        .value_kind:     global_buffer
      - .actual_access:  read_only
        .address_space:  global
        .offset:         40
        .size:           8
        .value_kind:     global_buffer
      - .actual_access:  read_only
        .address_space:  global
        .offset:         48
        .size:           8
        .value_kind:     global_buffer
      - .offset:         56
        .size:           4
        .value_kind:     by_value
      - .actual_access:  read_only
        .address_space:  global
        .offset:         64
        .size:           8
        .value_kind:     global_buffer
      - .offset:         72
        .size:           4
        .value_kind:     by_value
      - .offset:         76
        .size:           4
        .value_kind:     by_value
      - .offset:         80
        .size:           4
        .value_kind:     by_value
      - .actual_access:  write_only
        .address_space:  global
        .offset:         88
        .size:           8
        .value_kind:     global_buffer
      - .actual_access:  write_only
        .address_space:  global
        .offset:         96
        .size:           8
        .value_kind:     global_buffer
      - .actual_access:  write_only
        .address_space:  global
        .offset:         104
        .size:           8
        .value_kind:     global_buffer
      - .actual_access:  read_only
        .address_space:  global
        .offset:         112
        .size:           8
        .value_kind:     global_buffer
      - .offset:         120
        .size:           4
        .value_kind:     by_value
      - .address_space:  global
        .offset:         128
        .size:           8
        .value_kind:     global_buffer
      - .address_space:  global
        .offset:         136
        .size:           8
        .value_kind:     global_buffer
      - .offset:         144
        .size:           4
        .value_kind:     hidden_block_count_x
      - .offset:         148
        .size:           4
        .value_kind:     hidden_block_count_y
      - .offset:         152
        .size:           4
        .value_kind:     hidden_block_count_z
      - .offset:         156
        .size:           2
        .value_kind:     hidden_group_size_x
      - .offset:         158
        .size:           2
        .value_kind:     hidden_group_size_y
      - .offset:         160
        .size:           2
        .value_kind:     hidden_group_size_z
      - .offset:         162
        .size:           2
        .value_kind:     hidden_remainder_x
      - .offset:         164
        .size:           2
        .value_kind:     hidden_remainder_y
      - .offset:         166
        .size:           2
        .value_kind:     hidden_remainder_z
      - .offset:         184
        .size:           8
        .value_kind:     hidden_global_offset_x
      - .offset:         192
        .size:           8
        .value_kind:     hidden_global_offset_y
      - .offset:         200
        .size:           8
        .value_kind:     hidden_global_offset_z
      - .offset:         208
        .size:           2
        .value_kind:     hidden_grid_dims
    .group_segment_fixed_size: 17472
    .kernarg_segment_align: 8
    .kernarg_segment_size: 400
    .language:       OpenCL C
    .language_version:
      - 2
      - 0
    .max_flat_workgroup_size: 256
    .name:           _Z39paged_attention_ll4mi_QKV_mfma16_kernelI14__hip_bfloat16hLN4vllm18Fp8KVCacheDataTypeE1EhLi32ELi64ELi256ELb0ELi10EL8MFMAType0EEvPKT_PKT0_S9_ifPKiSB_SB_iPKfiiiPfSE_PS4_PT2_iSD_SD_
    .private_segment_fixed_size: 0
    .sgpr_count:     42
    .sgpr_spill_count: 0
    .symbol:         _Z39paged_attention_ll4mi_QKV_mfma16_kernelI14__hip_bfloat16hLN4vllm18Fp8KVCacheDataTypeE1EhLi32ELi64ELi256ELb0ELi10EL8MFMAType0EEvPKT_PKT0_S9_ifPKiSB_SB_iPKfiiiPfSE_PS4_PT2_iSD_SD_.kd
    .uniform_work_group_size: 1
    .uses_dynamic_stack: false
    .vgpr_count:     124
    .vgpr_spill_count: 0
    .wavefront_size: 32
    .workgroup_processor_mode: 1
  - .args:
      - .actual_access:  read_only
        .address_space:  global
        .offset:         0
        .size:           8
        .value_kind:     global_buffer
      - .actual_access:  read_only
        .address_space:  global
        .offset:         8
        .size:           8
        .value_kind:     global_buffer
      - .actual_access:  read_only
        .address_space:  global
        .offset:         16
        .size:           8
        .value_kind:     global_buffer
      - .offset:         24
        .size:           4
        .value_kind:     by_value
      - .offset:         28
        .size:           4
        .value_kind:     by_value
      - .actual_access:  read_only
        .address_space:  global
        .offset:         32
        .size:           8
        .value_kind:     global_buffer
      - .actual_access:  read_only
        .address_space:  global
        .offset:         40
        .size:           8
        .value_kind:     global_buffer
      - .actual_access:  read_only
        .address_space:  global
        .offset:         48
        .size:           8
        .value_kind:     global_buffer
      - .offset:         56
        .size:           4
        .value_kind:     by_value
      - .actual_access:  read_only
        .address_space:  global
        .offset:         64
        .size:           8
        .value_kind:     global_buffer
      - .offset:         72
        .size:           4
        .value_kind:     by_value
      - .offset:         76
        .size:           4
        .value_kind:     by_value
      - .offset:         80
        .size:           4
        .value_kind:     by_value
      - .actual_access:  write_only
        .address_space:  global
        .offset:         88
        .size:           8
        .value_kind:     global_buffer
      - .actual_access:  write_only
        .address_space:  global
        .offset:         96
        .size:           8
        .value_kind:     global_buffer
      - .actual_access:  write_only
        .address_space:  global
        .offset:         104
        .size:           8
        .value_kind:     global_buffer
      - .actual_access:  read_only
        .address_space:  global
        .offset:         112
        .size:           8
        .value_kind:     global_buffer
      - .offset:         120
        .size:           4
        .value_kind:     by_value
      - .address_space:  global
        .offset:         128
        .size:           8
        .value_kind:     global_buffer
      - .address_space:  global
        .offset:         136
        .size:           8
        .value_kind:     global_buffer
      - .offset:         144
        .size:           4
        .value_kind:     hidden_block_count_x
      - .offset:         148
        .size:           4
        .value_kind:     hidden_block_count_y
      - .offset:         152
        .size:           4
        .value_kind:     hidden_block_count_z
      - .offset:         156
        .size:           2
        .value_kind:     hidden_group_size_x
      - .offset:         158
        .size:           2
        .value_kind:     hidden_group_size_y
      - .offset:         160
        .size:           2
        .value_kind:     hidden_group_size_z
      - .offset:         162
        .size:           2
        .value_kind:     hidden_remainder_x
      - .offset:         164
        .size:           2
        .value_kind:     hidden_remainder_y
      - .offset:         166
        .size:           2
        .value_kind:     hidden_remainder_z
      - .offset:         184
        .size:           8
        .value_kind:     hidden_global_offset_x
      - .offset:         192
        .size:           8
        .value_kind:     hidden_global_offset_y
      - .offset:         200
        .size:           8
        .value_kind:     hidden_global_offset_z
      - .offset:         208
        .size:           2
        .value_kind:     hidden_grid_dims
    .group_segment_fixed_size: 17472
    .kernarg_segment_align: 8
    .kernarg_segment_size: 400
    .language:       OpenCL C
    .language_version:
      - 2
      - 0
    .max_flat_workgroup_size: 256
    .name:           _Z39paged_attention_ll4mi_QKV_mfma16_kernelI14__hip_bfloat16hLN4vllm18Fp8KVCacheDataTypeE1EhLi32ELi64ELi256ELb0ELi11EL8MFMAType0EEvPKT_PKT0_S9_ifPKiSB_SB_iPKfiiiPfSE_PS4_PT2_iSD_SD_
    .private_segment_fixed_size: 0
    .sgpr_count:     44
    .sgpr_spill_count: 0
    .symbol:         _Z39paged_attention_ll4mi_QKV_mfma16_kernelI14__hip_bfloat16hLN4vllm18Fp8KVCacheDataTypeE1EhLi32ELi64ELi256ELb0ELi11EL8MFMAType0EEvPKT_PKT0_S9_ifPKiSB_SB_iPKfiiiPfSE_PS4_PT2_iSD_SD_.kd
    .uniform_work_group_size: 1
    .uses_dynamic_stack: false
    .vgpr_count:     124
    .vgpr_spill_count: 0
    .wavefront_size: 32
    .workgroup_processor_mode: 1
  - .args:
      - .actual_access:  read_only
        .address_space:  global
        .offset:         0
        .size:           8
        .value_kind:     global_buffer
      - .actual_access:  read_only
        .address_space:  global
        .offset:         8
        .size:           8
        .value_kind:     global_buffer
      - .actual_access:  read_only
        .address_space:  global
        .offset:         16
        .size:           8
        .value_kind:     global_buffer
      - .offset:         24
        .size:           4
        .value_kind:     by_value
      - .offset:         28
        .size:           4
        .value_kind:     by_value
      - .actual_access:  read_only
        .address_space:  global
        .offset:         32
        .size:           8
        .value_kind:     global_buffer
      - .actual_access:  read_only
        .address_space:  global
        .offset:         40
        .size:           8
        .value_kind:     global_buffer
      - .actual_access:  read_only
        .address_space:  global
        .offset:         48
        .size:           8
        .value_kind:     global_buffer
      - .offset:         56
        .size:           4
        .value_kind:     by_value
      - .actual_access:  read_only
        .address_space:  global
        .offset:         64
        .size:           8
        .value_kind:     global_buffer
      - .offset:         72
        .size:           4
        .value_kind:     by_value
      - .offset:         76
        .size:           4
        .value_kind:     by_value
      - .offset:         80
        .size:           4
        .value_kind:     by_value
      - .actual_access:  write_only
        .address_space:  global
        .offset:         88
        .size:           8
        .value_kind:     global_buffer
      - .actual_access:  write_only
        .address_space:  global
        .offset:         96
        .size:           8
        .value_kind:     global_buffer
      - .actual_access:  write_only
        .address_space:  global
        .offset:         104
        .size:           8
        .value_kind:     global_buffer
      - .actual_access:  read_only
        .address_space:  global
        .offset:         112
        .size:           8
        .value_kind:     global_buffer
      - .offset:         120
        .size:           4
        .value_kind:     by_value
      - .address_space:  global
        .offset:         128
        .size:           8
        .value_kind:     global_buffer
      - .address_space:  global
        .offset:         136
        .size:           8
        .value_kind:     global_buffer
      - .offset:         144
        .size:           4
        .value_kind:     hidden_block_count_x
      - .offset:         148
        .size:           4
        .value_kind:     hidden_block_count_y
      - .offset:         152
        .size:           4
        .value_kind:     hidden_block_count_z
      - .offset:         156
        .size:           2
        .value_kind:     hidden_group_size_x
      - .offset:         158
        .size:           2
        .value_kind:     hidden_group_size_y
      - .offset:         160
        .size:           2
        .value_kind:     hidden_group_size_z
      - .offset:         162
        .size:           2
        .value_kind:     hidden_remainder_x
      - .offset:         164
        .size:           2
        .value_kind:     hidden_remainder_y
      - .offset:         166
        .size:           2
        .value_kind:     hidden_remainder_z
      - .offset:         184
        .size:           8
        .value_kind:     hidden_global_offset_x
      - .offset:         192
        .size:           8
        .value_kind:     hidden_global_offset_y
      - .offset:         200
        .size:           8
        .value_kind:     hidden_global_offset_z
      - .offset:         208
        .size:           2
        .value_kind:     hidden_grid_dims
    .group_segment_fixed_size: 17472
    .kernarg_segment_align: 8
    .kernarg_segment_size: 400
    .language:       OpenCL C
    .language_version:
      - 2
      - 0
    .max_flat_workgroup_size: 256
    .name:           _Z39paged_attention_ll4mi_QKV_mfma16_kernelI14__hip_bfloat16hLN4vllm18Fp8KVCacheDataTypeE1EhLi32ELi64ELi256ELb0ELi12EL8MFMAType0EEvPKT_PKT0_S9_ifPKiSB_SB_iPKfiiiPfSE_PS4_PT2_iSD_SD_
    .private_segment_fixed_size: 0
    .sgpr_count:     42
    .sgpr_spill_count: 0
    .symbol:         _Z39paged_attention_ll4mi_QKV_mfma16_kernelI14__hip_bfloat16hLN4vllm18Fp8KVCacheDataTypeE1EhLi32ELi64ELi256ELb0ELi12EL8MFMAType0EEvPKT_PKT0_S9_ifPKiSB_SB_iPKfiiiPfSE_PS4_PT2_iSD_SD_.kd
    .uniform_work_group_size: 1
    .uses_dynamic_stack: false
    .vgpr_count:     124
    .vgpr_spill_count: 0
    .wavefront_size: 32
    .workgroup_processor_mode: 1
  - .args:
      - .actual_access:  read_only
        .address_space:  global
        .offset:         0
        .size:           8
        .value_kind:     global_buffer
      - .actual_access:  read_only
        .address_space:  global
        .offset:         8
        .size:           8
        .value_kind:     global_buffer
      - .actual_access:  read_only
        .address_space:  global
        .offset:         16
        .size:           8
        .value_kind:     global_buffer
      - .offset:         24
        .size:           4
        .value_kind:     by_value
      - .offset:         28
        .size:           4
        .value_kind:     by_value
      - .actual_access:  read_only
        .address_space:  global
        .offset:         32
        .size:           8
        .value_kind:     global_buffer
      - .actual_access:  read_only
        .address_space:  global
        .offset:         40
        .size:           8
        .value_kind:     global_buffer
      - .actual_access:  read_only
        .address_space:  global
        .offset:         48
        .size:           8
        .value_kind:     global_buffer
      - .offset:         56
        .size:           4
        .value_kind:     by_value
      - .actual_access:  read_only
        .address_space:  global
        .offset:         64
        .size:           8
        .value_kind:     global_buffer
      - .offset:         72
        .size:           4
        .value_kind:     by_value
      - .offset:         76
        .size:           4
        .value_kind:     by_value
      - .offset:         80
        .size:           4
        .value_kind:     by_value
      - .actual_access:  write_only
        .address_space:  global
        .offset:         88
        .size:           8
        .value_kind:     global_buffer
      - .actual_access:  write_only
        .address_space:  global
        .offset:         96
        .size:           8
        .value_kind:     global_buffer
      - .actual_access:  write_only
        .address_space:  global
        .offset:         104
        .size:           8
        .value_kind:     global_buffer
      - .actual_access:  read_only
        .address_space:  global
        .offset:         112
        .size:           8
        .value_kind:     global_buffer
      - .offset:         120
        .size:           4
        .value_kind:     by_value
      - .address_space:  global
        .offset:         128
        .size:           8
        .value_kind:     global_buffer
      - .address_space:  global
        .offset:         136
        .size:           8
        .value_kind:     global_buffer
      - .offset:         144
        .size:           4
        .value_kind:     hidden_block_count_x
      - .offset:         148
        .size:           4
        .value_kind:     hidden_block_count_y
      - .offset:         152
        .size:           4
        .value_kind:     hidden_block_count_z
      - .offset:         156
        .size:           2
        .value_kind:     hidden_group_size_x
      - .offset:         158
        .size:           2
        .value_kind:     hidden_group_size_y
      - .offset:         160
        .size:           2
        .value_kind:     hidden_group_size_z
      - .offset:         162
        .size:           2
        .value_kind:     hidden_remainder_x
      - .offset:         164
        .size:           2
        .value_kind:     hidden_remainder_y
      - .offset:         166
        .size:           2
        .value_kind:     hidden_remainder_z
      - .offset:         184
        .size:           8
        .value_kind:     hidden_global_offset_x
      - .offset:         192
        .size:           8
        .value_kind:     hidden_global_offset_y
      - .offset:         200
        .size:           8
        .value_kind:     hidden_global_offset_z
      - .offset:         208
        .size:           2
        .value_kind:     hidden_grid_dims
    .group_segment_fixed_size: 17472
    .kernarg_segment_align: 8
    .kernarg_segment_size: 400
    .language:       OpenCL C
    .language_version:
      - 2
      - 0
    .max_flat_workgroup_size: 256
    .name:           _Z39paged_attention_ll4mi_QKV_mfma16_kernelI14__hip_bfloat16hLN4vllm18Fp8KVCacheDataTypeE1EhLi32ELi64ELi256ELb0ELi13EL8MFMAType0EEvPKT_PKT0_S9_ifPKiSB_SB_iPKfiiiPfSE_PS4_PT2_iSD_SD_
    .private_segment_fixed_size: 0
    .sgpr_count:     44
    .sgpr_spill_count: 0
    .symbol:         _Z39paged_attention_ll4mi_QKV_mfma16_kernelI14__hip_bfloat16hLN4vllm18Fp8KVCacheDataTypeE1EhLi32ELi64ELi256ELb0ELi13EL8MFMAType0EEvPKT_PKT0_S9_ifPKiSB_SB_iPKfiiiPfSE_PS4_PT2_iSD_SD_.kd
    .uniform_work_group_size: 1
    .uses_dynamic_stack: false
    .vgpr_count:     124
    .vgpr_spill_count: 0
    .wavefront_size: 32
    .workgroup_processor_mode: 1
  - .args:
      - .actual_access:  read_only
        .address_space:  global
        .offset:         0
        .size:           8
        .value_kind:     global_buffer
      - .actual_access:  read_only
        .address_space:  global
        .offset:         8
        .size:           8
        .value_kind:     global_buffer
      - .actual_access:  read_only
        .address_space:  global
        .offset:         16
        .size:           8
        .value_kind:     global_buffer
      - .offset:         24
        .size:           4
        .value_kind:     by_value
      - .offset:         28
        .size:           4
        .value_kind:     by_value
      - .actual_access:  read_only
        .address_space:  global
        .offset:         32
        .size:           8
        .value_kind:     global_buffer
      - .actual_access:  read_only
        .address_space:  global
        .offset:         40
        .size:           8
        .value_kind:     global_buffer
      - .actual_access:  read_only
        .address_space:  global
        .offset:         48
        .size:           8
        .value_kind:     global_buffer
      - .offset:         56
        .size:           4
        .value_kind:     by_value
      - .actual_access:  read_only
        .address_space:  global
        .offset:         64
        .size:           8
        .value_kind:     global_buffer
      - .offset:         72
        .size:           4
        .value_kind:     by_value
      - .offset:         76
        .size:           4
        .value_kind:     by_value
      - .offset:         80
        .size:           4
        .value_kind:     by_value
      - .actual_access:  write_only
        .address_space:  global
        .offset:         88
        .size:           8
        .value_kind:     global_buffer
      - .actual_access:  write_only
        .address_space:  global
        .offset:         96
        .size:           8
        .value_kind:     global_buffer
      - .actual_access:  write_only
        .address_space:  global
        .offset:         104
        .size:           8
        .value_kind:     global_buffer
      - .actual_access:  read_only
        .address_space:  global
        .offset:         112
        .size:           8
        .value_kind:     global_buffer
      - .offset:         120
        .size:           4
        .value_kind:     by_value
      - .address_space:  global
        .offset:         128
        .size:           8
        .value_kind:     global_buffer
      - .address_space:  global
        .offset:         136
        .size:           8
        .value_kind:     global_buffer
      - .offset:         144
        .size:           4
        .value_kind:     hidden_block_count_x
      - .offset:         148
        .size:           4
        .value_kind:     hidden_block_count_y
      - .offset:         152
        .size:           4
        .value_kind:     hidden_block_count_z
      - .offset:         156
        .size:           2
        .value_kind:     hidden_group_size_x
      - .offset:         158
        .size:           2
        .value_kind:     hidden_group_size_y
      - .offset:         160
        .size:           2
        .value_kind:     hidden_group_size_z
      - .offset:         162
        .size:           2
        .value_kind:     hidden_remainder_x
      - .offset:         164
        .size:           2
        .value_kind:     hidden_remainder_y
      - .offset:         166
        .size:           2
        .value_kind:     hidden_remainder_z
      - .offset:         184
        .size:           8
        .value_kind:     hidden_global_offset_x
      - .offset:         192
        .size:           8
        .value_kind:     hidden_global_offset_y
      - .offset:         200
        .size:           8
        .value_kind:     hidden_global_offset_z
      - .offset:         208
        .size:           2
        .value_kind:     hidden_grid_dims
    .group_segment_fixed_size: 17472
    .kernarg_segment_align: 8
    .kernarg_segment_size: 400
    .language:       OpenCL C
    .language_version:
      - 2
      - 0
    .max_flat_workgroup_size: 256
    .name:           _Z39paged_attention_ll4mi_QKV_mfma16_kernelI14__hip_bfloat16hLN4vllm18Fp8KVCacheDataTypeE1EhLi32ELi64ELi256ELb0ELi14EL8MFMAType0EEvPKT_PKT0_S9_ifPKiSB_SB_iPKfiiiPfSE_PS4_PT2_iSD_SD_
    .private_segment_fixed_size: 0
    .sgpr_count:     42
    .sgpr_spill_count: 0
    .symbol:         _Z39paged_attention_ll4mi_QKV_mfma16_kernelI14__hip_bfloat16hLN4vllm18Fp8KVCacheDataTypeE1EhLi32ELi64ELi256ELb0ELi14EL8MFMAType0EEvPKT_PKT0_S9_ifPKiSB_SB_iPKfiiiPfSE_PS4_PT2_iSD_SD_.kd
    .uniform_work_group_size: 1
    .uses_dynamic_stack: false
    .vgpr_count:     124
    .vgpr_spill_count: 0
    .wavefront_size: 32
    .workgroup_processor_mode: 1
  - .args:
      - .actual_access:  read_only
        .address_space:  global
        .offset:         0
        .size:           8
        .value_kind:     global_buffer
      - .actual_access:  read_only
        .address_space:  global
        .offset:         8
        .size:           8
        .value_kind:     global_buffer
      - .actual_access:  read_only
        .address_space:  global
        .offset:         16
        .size:           8
        .value_kind:     global_buffer
      - .offset:         24
        .size:           4
        .value_kind:     by_value
      - .offset:         28
        .size:           4
        .value_kind:     by_value
      - .actual_access:  read_only
        .address_space:  global
        .offset:         32
        .size:           8
        .value_kind:     global_buffer
      - .actual_access:  read_only
        .address_space:  global
        .offset:         40
        .size:           8
        .value_kind:     global_buffer
      - .actual_access:  read_only
        .address_space:  global
        .offset:         48
        .size:           8
        .value_kind:     global_buffer
      - .offset:         56
        .size:           4
        .value_kind:     by_value
      - .actual_access:  read_only
        .address_space:  global
        .offset:         64
        .size:           8
        .value_kind:     global_buffer
      - .offset:         72
        .size:           4
        .value_kind:     by_value
      - .offset:         76
        .size:           4
        .value_kind:     by_value
      - .offset:         80
        .size:           4
        .value_kind:     by_value
      - .actual_access:  write_only
        .address_space:  global
        .offset:         88
        .size:           8
        .value_kind:     global_buffer
      - .actual_access:  write_only
        .address_space:  global
        .offset:         96
        .size:           8
        .value_kind:     global_buffer
      - .actual_access:  write_only
        .address_space:  global
        .offset:         104
        .size:           8
        .value_kind:     global_buffer
      - .actual_access:  read_only
        .address_space:  global
        .offset:         112
        .size:           8
        .value_kind:     global_buffer
      - .offset:         120
        .size:           4
        .value_kind:     by_value
      - .address_space:  global
        .offset:         128
        .size:           8
        .value_kind:     global_buffer
      - .address_space:  global
        .offset:         136
        .size:           8
        .value_kind:     global_buffer
      - .offset:         144
        .size:           4
        .value_kind:     hidden_block_count_x
      - .offset:         148
        .size:           4
        .value_kind:     hidden_block_count_y
      - .offset:         152
        .size:           4
        .value_kind:     hidden_block_count_z
      - .offset:         156
        .size:           2
        .value_kind:     hidden_group_size_x
      - .offset:         158
        .size:           2
        .value_kind:     hidden_group_size_y
      - .offset:         160
        .size:           2
        .value_kind:     hidden_group_size_z
      - .offset:         162
        .size:           2
        .value_kind:     hidden_remainder_x
      - .offset:         164
        .size:           2
        .value_kind:     hidden_remainder_y
      - .offset:         166
        .size:           2
        .value_kind:     hidden_remainder_z
      - .offset:         184
        .size:           8
        .value_kind:     hidden_global_offset_x
      - .offset:         192
        .size:           8
        .value_kind:     hidden_global_offset_y
      - .offset:         200
        .size:           8
        .value_kind:     hidden_global_offset_z
      - .offset:         208
        .size:           2
        .value_kind:     hidden_grid_dims
    .group_segment_fixed_size: 17472
    .kernarg_segment_align: 8
    .kernarg_segment_size: 400
    .language:       OpenCL C
    .language_version:
      - 2
      - 0
    .max_flat_workgroup_size: 256
    .name:           _Z39paged_attention_ll4mi_QKV_mfma16_kernelI14__hip_bfloat16hLN4vllm18Fp8KVCacheDataTypeE1EhLi32ELi64ELi256ELb0ELi15EL8MFMAType0EEvPKT_PKT0_S9_ifPKiSB_SB_iPKfiiiPfSE_PS4_PT2_iSD_SD_
    .private_segment_fixed_size: 0
    .sgpr_count:     44
    .sgpr_spill_count: 0
    .symbol:         _Z39paged_attention_ll4mi_QKV_mfma16_kernelI14__hip_bfloat16hLN4vllm18Fp8KVCacheDataTypeE1EhLi32ELi64ELi256ELb0ELi15EL8MFMAType0EEvPKT_PKT0_S9_ifPKiSB_SB_iPKfiiiPfSE_PS4_PT2_iSD_SD_.kd
    .uniform_work_group_size: 1
    .uses_dynamic_stack: false
    .vgpr_count:     124
    .vgpr_spill_count: 0
    .wavefront_size: 32
    .workgroup_processor_mode: 1
  - .args:
      - .actual_access:  read_only
        .address_space:  global
        .offset:         0
        .size:           8
        .value_kind:     global_buffer
      - .actual_access:  read_only
        .address_space:  global
        .offset:         8
        .size:           8
        .value_kind:     global_buffer
      - .actual_access:  read_only
        .address_space:  global
        .offset:         16
        .size:           8
        .value_kind:     global_buffer
      - .offset:         24
        .size:           4
        .value_kind:     by_value
      - .offset:         28
        .size:           4
        .value_kind:     by_value
      - .actual_access:  read_only
        .address_space:  global
        .offset:         32
        .size:           8
        .value_kind:     global_buffer
      - .actual_access:  read_only
        .address_space:  global
        .offset:         40
        .size:           8
        .value_kind:     global_buffer
      - .actual_access:  read_only
        .address_space:  global
        .offset:         48
        .size:           8
        .value_kind:     global_buffer
      - .offset:         56
        .size:           4
        .value_kind:     by_value
      - .actual_access:  read_only
        .address_space:  global
        .offset:         64
        .size:           8
        .value_kind:     global_buffer
      - .offset:         72
        .size:           4
        .value_kind:     by_value
      - .offset:         76
        .size:           4
        .value_kind:     by_value
      - .offset:         80
        .size:           4
        .value_kind:     by_value
      - .actual_access:  write_only
        .address_space:  global
        .offset:         88
        .size:           8
        .value_kind:     global_buffer
      - .actual_access:  write_only
        .address_space:  global
        .offset:         96
        .size:           8
        .value_kind:     global_buffer
      - .actual_access:  write_only
        .address_space:  global
        .offset:         104
        .size:           8
        .value_kind:     global_buffer
      - .actual_access:  read_only
        .address_space:  global
        .offset:         112
        .size:           8
        .value_kind:     global_buffer
      - .offset:         120
        .size:           4
        .value_kind:     by_value
      - .address_space:  global
        .offset:         128
        .size:           8
        .value_kind:     global_buffer
      - .address_space:  global
        .offset:         136
        .size:           8
        .value_kind:     global_buffer
      - .offset:         144
        .size:           4
        .value_kind:     hidden_block_count_x
      - .offset:         148
        .size:           4
        .value_kind:     hidden_block_count_y
      - .offset:         152
        .size:           4
        .value_kind:     hidden_block_count_z
      - .offset:         156
        .size:           2
        .value_kind:     hidden_group_size_x
      - .offset:         158
        .size:           2
        .value_kind:     hidden_group_size_y
      - .offset:         160
        .size:           2
        .value_kind:     hidden_group_size_z
      - .offset:         162
        .size:           2
        .value_kind:     hidden_remainder_x
      - .offset:         164
        .size:           2
        .value_kind:     hidden_remainder_y
      - .offset:         166
        .size:           2
        .value_kind:     hidden_remainder_z
      - .offset:         184
        .size:           8
        .value_kind:     hidden_global_offset_x
      - .offset:         192
        .size:           8
        .value_kind:     hidden_global_offset_y
      - .offset:         200
        .size:           8
        .value_kind:     hidden_global_offset_z
      - .offset:         208
        .size:           2
        .value_kind:     hidden_grid_dims
    .group_segment_fixed_size: 17472
    .kernarg_segment_align: 8
    .kernarg_segment_size: 400
    .language:       OpenCL C
    .language_version:
      - 2
      - 0
    .max_flat_workgroup_size: 256
    .name:           _Z39paged_attention_ll4mi_QKV_mfma16_kernelI14__hip_bfloat16hLN4vllm18Fp8KVCacheDataTypeE1EhLi32ELi64ELi256ELb0ELi16EL8MFMAType0EEvPKT_PKT0_S9_ifPKiSB_SB_iPKfiiiPfSE_PS4_PT2_iSD_SD_
    .private_segment_fixed_size: 0
    .sgpr_count:     42
    .sgpr_spill_count: 0
    .symbol:         _Z39paged_attention_ll4mi_QKV_mfma16_kernelI14__hip_bfloat16hLN4vllm18Fp8KVCacheDataTypeE1EhLi32ELi64ELi256ELb0ELi16EL8MFMAType0EEvPKT_PKT0_S9_ifPKiSB_SB_iPKfiiiPfSE_PS4_PT2_iSD_SD_.kd
    .uniform_work_group_size: 1
    .uses_dynamic_stack: false
    .vgpr_count:     125
    .vgpr_spill_count: 0
    .wavefront_size: 32
    .workgroup_processor_mode: 1
  - .args:
      - .actual_access:  read_only
        .address_space:  global
        .offset:         0
        .size:           8
        .value_kind:     global_buffer
      - .actual_access:  read_only
        .address_space:  global
        .offset:         8
        .size:           8
        .value_kind:     global_buffer
      - .actual_access:  read_only
        .address_space:  global
        .offset:         16
        .size:           8
        .value_kind:     global_buffer
      - .offset:         24
        .size:           4
        .value_kind:     by_value
      - .offset:         28
        .size:           4
        .value_kind:     by_value
      - .actual_access:  read_only
        .address_space:  global
        .offset:         32
        .size:           8
        .value_kind:     global_buffer
      - .actual_access:  read_only
        .address_space:  global
        .offset:         40
        .size:           8
        .value_kind:     global_buffer
      - .actual_access:  read_only
        .address_space:  global
        .offset:         48
        .size:           8
        .value_kind:     global_buffer
      - .offset:         56
        .size:           4
        .value_kind:     by_value
      - .actual_access:  read_only
        .address_space:  global
        .offset:         64
        .size:           8
        .value_kind:     global_buffer
      - .offset:         72
        .size:           4
        .value_kind:     by_value
      - .offset:         76
        .size:           4
        .value_kind:     by_value
      - .offset:         80
        .size:           4
        .value_kind:     by_value
      - .actual_access:  write_only
        .address_space:  global
        .offset:         88
        .size:           8
        .value_kind:     global_buffer
      - .actual_access:  write_only
        .address_space:  global
        .offset:         96
        .size:           8
        .value_kind:     global_buffer
      - .actual_access:  write_only
        .address_space:  global
        .offset:         104
        .size:           8
        .value_kind:     global_buffer
      - .actual_access:  read_only
        .address_space:  global
        .offset:         112
        .size:           8
        .value_kind:     global_buffer
      - .offset:         120
        .size:           4
        .value_kind:     by_value
      - .address_space:  global
        .offset:         128
        .size:           8
        .value_kind:     global_buffer
      - .address_space:  global
        .offset:         136
        .size:           8
        .value_kind:     global_buffer
      - .offset:         144
        .size:           4
        .value_kind:     hidden_block_count_x
      - .offset:         148
        .size:           4
        .value_kind:     hidden_block_count_y
      - .offset:         152
        .size:           4
        .value_kind:     hidden_block_count_z
      - .offset:         156
        .size:           2
        .value_kind:     hidden_group_size_x
      - .offset:         158
        .size:           2
        .value_kind:     hidden_group_size_y
      - .offset:         160
        .size:           2
        .value_kind:     hidden_group_size_z
      - .offset:         162
        .size:           2
        .value_kind:     hidden_remainder_x
      - .offset:         164
        .size:           2
        .value_kind:     hidden_remainder_y
      - .offset:         166
        .size:           2
        .value_kind:     hidden_remainder_z
      - .offset:         184
        .size:           8
        .value_kind:     hidden_global_offset_x
      - .offset:         192
        .size:           8
        .value_kind:     hidden_global_offset_y
      - .offset:         200
        .size:           8
        .value_kind:     hidden_global_offset_z
      - .offset:         208
        .size:           2
        .value_kind:     hidden_grid_dims
    .group_segment_fixed_size: 17472
    .kernarg_segment_align: 8
    .kernarg_segment_size: 400
    .language:       OpenCL C
    .language_version:
      - 2
      - 0
    .max_flat_workgroup_size: 256
    .name:           _Z39paged_attention_ll4mi_QKV_mfma16_kernelI14__hip_bfloat16hLN4vllm18Fp8KVCacheDataTypeE1EhLi32ELi64ELi256ELb0ELi1EL8MFMAType0EEvPKT_PKT0_S9_ifPKiSB_SB_iPKfiiiPfSE_PS4_PT2_iSD_SD_
    .private_segment_fixed_size: 0
    .sgpr_count:     52
    .sgpr_spill_count: 0
    .symbol:         _Z39paged_attention_ll4mi_QKV_mfma16_kernelI14__hip_bfloat16hLN4vllm18Fp8KVCacheDataTypeE1EhLi32ELi64ELi256ELb0ELi1EL8MFMAType0EEvPKT_PKT0_S9_ifPKiSB_SB_iPKfiiiPfSE_PS4_PT2_iSD_SD_.kd
    .uniform_work_group_size: 1
    .uses_dynamic_stack: false
    .vgpr_count:     131
    .vgpr_spill_count: 0
    .wavefront_size: 32
    .workgroup_processor_mode: 1
  - .args:
      - .actual_access:  read_only
        .address_space:  global
        .offset:         0
        .size:           8
        .value_kind:     global_buffer
      - .actual_access:  read_only
        .address_space:  global
        .offset:         8
        .size:           8
        .value_kind:     global_buffer
      - .actual_access:  read_only
        .address_space:  global
        .offset:         16
        .size:           8
        .value_kind:     global_buffer
      - .offset:         24
        .size:           4
        .value_kind:     by_value
      - .offset:         28
        .size:           4
        .value_kind:     by_value
      - .actual_access:  read_only
        .address_space:  global
        .offset:         32
        .size:           8
        .value_kind:     global_buffer
      - .actual_access:  read_only
        .address_space:  global
        .offset:         40
        .size:           8
        .value_kind:     global_buffer
      - .actual_access:  read_only
        .address_space:  global
        .offset:         48
        .size:           8
        .value_kind:     global_buffer
      - .offset:         56
        .size:           4
        .value_kind:     by_value
      - .actual_access:  read_only
        .address_space:  global
        .offset:         64
        .size:           8
        .value_kind:     global_buffer
      - .offset:         72
        .size:           4
        .value_kind:     by_value
      - .offset:         76
        .size:           4
        .value_kind:     by_value
      - .offset:         80
        .size:           4
        .value_kind:     by_value
      - .actual_access:  write_only
        .address_space:  global
        .offset:         88
        .size:           8
        .value_kind:     global_buffer
      - .actual_access:  write_only
        .address_space:  global
        .offset:         96
        .size:           8
        .value_kind:     global_buffer
      - .actual_access:  write_only
        .address_space:  global
        .offset:         104
        .size:           8
        .value_kind:     global_buffer
      - .actual_access:  read_only
        .address_space:  global
        .offset:         112
        .size:           8
        .value_kind:     global_buffer
      - .offset:         120
        .size:           4
        .value_kind:     by_value
      - .address_space:  global
        .offset:         128
        .size:           8
        .value_kind:     global_buffer
      - .address_space:  global
        .offset:         136
        .size:           8
        .value_kind:     global_buffer
      - .offset:         144
        .size:           4
        .value_kind:     hidden_block_count_x
      - .offset:         148
        .size:           4
        .value_kind:     hidden_block_count_y
      - .offset:         152
        .size:           4
        .value_kind:     hidden_block_count_z
      - .offset:         156
        .size:           2
        .value_kind:     hidden_group_size_x
      - .offset:         158
        .size:           2
        .value_kind:     hidden_group_size_y
      - .offset:         160
        .size:           2
        .value_kind:     hidden_group_size_z
      - .offset:         162
        .size:           2
        .value_kind:     hidden_remainder_x
      - .offset:         164
        .size:           2
        .value_kind:     hidden_remainder_y
      - .offset:         166
        .size:           2
        .value_kind:     hidden_remainder_z
      - .offset:         184
        .size:           8
        .value_kind:     hidden_global_offset_x
      - .offset:         192
        .size:           8
        .value_kind:     hidden_global_offset_y
      - .offset:         200
        .size:           8
        .value_kind:     hidden_global_offset_z
      - .offset:         208
        .size:           2
        .value_kind:     hidden_grid_dims
    .group_segment_fixed_size: 17472
    .kernarg_segment_align: 8
    .kernarg_segment_size: 400
    .language:       OpenCL C
    .language_version:
      - 2
      - 0
    .max_flat_workgroup_size: 256
    .name:           _Z39paged_attention_ll4mi_QKV_mfma16_kernelI14__hip_bfloat16hLN4vllm18Fp8KVCacheDataTypeE1EhLi32ELi64ELi256ELb0ELi2EL8MFMAType0EEvPKT_PKT0_S9_ifPKiSB_SB_iPKfiiiPfSE_PS4_PT2_iSD_SD_
    .private_segment_fixed_size: 0
    .sgpr_count:     42
    .sgpr_spill_count: 0
    .symbol:         _Z39paged_attention_ll4mi_QKV_mfma16_kernelI14__hip_bfloat16hLN4vllm18Fp8KVCacheDataTypeE1EhLi32ELi64ELi256ELb0ELi2EL8MFMAType0EEvPKT_PKT0_S9_ifPKiSB_SB_iPKfiiiPfSE_PS4_PT2_iSD_SD_.kd
    .uniform_work_group_size: 1
    .uses_dynamic_stack: false
    .vgpr_count:     125
    .vgpr_spill_count: 0
    .wavefront_size: 32
    .workgroup_processor_mode: 1
  - .args:
      - .actual_access:  read_only
        .address_space:  global
        .offset:         0
        .size:           8
        .value_kind:     global_buffer
      - .actual_access:  read_only
        .address_space:  global
        .offset:         8
        .size:           8
        .value_kind:     global_buffer
      - .actual_access:  read_only
        .address_space:  global
        .offset:         16
        .size:           8
        .value_kind:     global_buffer
      - .offset:         24
        .size:           4
        .value_kind:     by_value
      - .offset:         28
        .size:           4
        .value_kind:     by_value
      - .actual_access:  read_only
        .address_space:  global
        .offset:         32
        .size:           8
        .value_kind:     global_buffer
      - .actual_access:  read_only
        .address_space:  global
        .offset:         40
        .size:           8
        .value_kind:     global_buffer
      - .actual_access:  read_only
        .address_space:  global
        .offset:         48
        .size:           8
        .value_kind:     global_buffer
      - .offset:         56
        .size:           4
        .value_kind:     by_value
      - .actual_access:  read_only
        .address_space:  global
        .offset:         64
        .size:           8
        .value_kind:     global_buffer
      - .offset:         72
        .size:           4
        .value_kind:     by_value
      - .offset:         76
        .size:           4
        .value_kind:     by_value
      - .offset:         80
        .size:           4
        .value_kind:     by_value
      - .actual_access:  write_only
        .address_space:  global
        .offset:         88
        .size:           8
        .value_kind:     global_buffer
      - .actual_access:  write_only
        .address_space:  global
        .offset:         96
        .size:           8
        .value_kind:     global_buffer
      - .actual_access:  write_only
        .address_space:  global
        .offset:         104
        .size:           8
        .value_kind:     global_buffer
      - .actual_access:  read_only
        .address_space:  global
        .offset:         112
        .size:           8
        .value_kind:     global_buffer
      - .offset:         120
        .size:           4
        .value_kind:     by_value
      - .address_space:  global
        .offset:         128
        .size:           8
        .value_kind:     global_buffer
      - .address_space:  global
        .offset:         136
        .size:           8
        .value_kind:     global_buffer
      - .offset:         144
        .size:           4
        .value_kind:     hidden_block_count_x
      - .offset:         148
        .size:           4
        .value_kind:     hidden_block_count_y
      - .offset:         152
        .size:           4
        .value_kind:     hidden_block_count_z
      - .offset:         156
        .size:           2
        .value_kind:     hidden_group_size_x
      - .offset:         158
        .size:           2
        .value_kind:     hidden_group_size_y
      - .offset:         160
        .size:           2
        .value_kind:     hidden_group_size_z
      - .offset:         162
        .size:           2
        .value_kind:     hidden_remainder_x
      - .offset:         164
        .size:           2
        .value_kind:     hidden_remainder_y
      - .offset:         166
        .size:           2
        .value_kind:     hidden_remainder_z
      - .offset:         184
        .size:           8
        .value_kind:     hidden_global_offset_x
      - .offset:         192
        .size:           8
        .value_kind:     hidden_global_offset_y
      - .offset:         200
        .size:           8
        .value_kind:     hidden_global_offset_z
      - .offset:         208
        .size:           2
        .value_kind:     hidden_grid_dims
    .group_segment_fixed_size: 17472
    .kernarg_segment_align: 8
    .kernarg_segment_size: 400
    .language:       OpenCL C
    .language_version:
      - 2
      - 0
    .max_flat_workgroup_size: 256
    .name:           _Z39paged_attention_ll4mi_QKV_mfma16_kernelI14__hip_bfloat16hLN4vllm18Fp8KVCacheDataTypeE1EhLi32ELi64ELi256ELb0ELi3EL8MFMAType0EEvPKT_PKT0_S9_ifPKiSB_SB_iPKfiiiPfSE_PS4_PT2_iSD_SD_
    .private_segment_fixed_size: 0
    .sgpr_count:     44
    .sgpr_spill_count: 0
    .symbol:         _Z39paged_attention_ll4mi_QKV_mfma16_kernelI14__hip_bfloat16hLN4vllm18Fp8KVCacheDataTypeE1EhLi32ELi64ELi256ELb0ELi3EL8MFMAType0EEvPKT_PKT0_S9_ifPKiSB_SB_iPKfiiiPfSE_PS4_PT2_iSD_SD_.kd
    .uniform_work_group_size: 1
    .uses_dynamic_stack: false
    .vgpr_count:     124
    .vgpr_spill_count: 0
    .wavefront_size: 32
    .workgroup_processor_mode: 1
  - .args:
      - .actual_access:  read_only
        .address_space:  global
        .offset:         0
        .size:           8
        .value_kind:     global_buffer
      - .actual_access:  read_only
        .address_space:  global
        .offset:         8
        .size:           8
        .value_kind:     global_buffer
      - .actual_access:  read_only
        .address_space:  global
        .offset:         16
        .size:           8
        .value_kind:     global_buffer
      - .offset:         24
        .size:           4
        .value_kind:     by_value
      - .offset:         28
        .size:           4
        .value_kind:     by_value
      - .actual_access:  read_only
        .address_space:  global
        .offset:         32
        .size:           8
        .value_kind:     global_buffer
      - .actual_access:  read_only
        .address_space:  global
        .offset:         40
        .size:           8
        .value_kind:     global_buffer
      - .actual_access:  read_only
        .address_space:  global
        .offset:         48
        .size:           8
        .value_kind:     global_buffer
      - .offset:         56
        .size:           4
        .value_kind:     by_value
      - .actual_access:  read_only
        .address_space:  global
        .offset:         64
        .size:           8
        .value_kind:     global_buffer
      - .offset:         72
        .size:           4
        .value_kind:     by_value
      - .offset:         76
        .size:           4
        .value_kind:     by_value
      - .offset:         80
        .size:           4
        .value_kind:     by_value
      - .actual_access:  write_only
        .address_space:  global
        .offset:         88
        .size:           8
        .value_kind:     global_buffer
      - .actual_access:  write_only
        .address_space:  global
        .offset:         96
        .size:           8
        .value_kind:     global_buffer
      - .actual_access:  write_only
        .address_space:  global
        .offset:         104
        .size:           8
        .value_kind:     global_buffer
      - .actual_access:  read_only
        .address_space:  global
        .offset:         112
        .size:           8
        .value_kind:     global_buffer
      - .offset:         120
        .size:           4
        .value_kind:     by_value
      - .address_space:  global
        .offset:         128
        .size:           8
        .value_kind:     global_buffer
      - .address_space:  global
        .offset:         136
        .size:           8
        .value_kind:     global_buffer
      - .offset:         144
        .size:           4
        .value_kind:     hidden_block_count_x
      - .offset:         148
        .size:           4
        .value_kind:     hidden_block_count_y
      - .offset:         152
        .size:           4
        .value_kind:     hidden_block_count_z
      - .offset:         156
        .size:           2
        .value_kind:     hidden_group_size_x
      - .offset:         158
        .size:           2
        .value_kind:     hidden_group_size_y
      - .offset:         160
        .size:           2
        .value_kind:     hidden_group_size_z
      - .offset:         162
        .size:           2
        .value_kind:     hidden_remainder_x
      - .offset:         164
        .size:           2
        .value_kind:     hidden_remainder_y
      - .offset:         166
        .size:           2
        .value_kind:     hidden_remainder_z
      - .offset:         184
        .size:           8
        .value_kind:     hidden_global_offset_x
      - .offset:         192
        .size:           8
        .value_kind:     hidden_global_offset_y
      - .offset:         200
        .size:           8
        .value_kind:     hidden_global_offset_z
      - .offset:         208
        .size:           2
        .value_kind:     hidden_grid_dims
    .group_segment_fixed_size: 17472
    .kernarg_segment_align: 8
    .kernarg_segment_size: 400
    .language:       OpenCL C
    .language_version:
      - 2
      - 0
    .max_flat_workgroup_size: 256
    .name:           _Z39paged_attention_ll4mi_QKV_mfma16_kernelI14__hip_bfloat16hLN4vllm18Fp8KVCacheDataTypeE1EhLi32ELi64ELi256ELb0ELi4EL8MFMAType0EEvPKT_PKT0_S9_ifPKiSB_SB_iPKfiiiPfSE_PS4_PT2_iSD_SD_
    .private_segment_fixed_size: 0
    .sgpr_count:     42
    .sgpr_spill_count: 0
    .symbol:         _Z39paged_attention_ll4mi_QKV_mfma16_kernelI14__hip_bfloat16hLN4vllm18Fp8KVCacheDataTypeE1EhLi32ELi64ELi256ELb0ELi4EL8MFMAType0EEvPKT_PKT0_S9_ifPKiSB_SB_iPKfiiiPfSE_PS4_PT2_iSD_SD_.kd
    .uniform_work_group_size: 1
    .uses_dynamic_stack: false
    .vgpr_count:     124
    .vgpr_spill_count: 0
    .wavefront_size: 32
    .workgroup_processor_mode: 1
  - .args:
      - .actual_access:  read_only
        .address_space:  global
        .offset:         0
        .size:           8
        .value_kind:     global_buffer
      - .actual_access:  read_only
        .address_space:  global
        .offset:         8
        .size:           8
        .value_kind:     global_buffer
      - .actual_access:  read_only
        .address_space:  global
        .offset:         16
        .size:           8
        .value_kind:     global_buffer
      - .offset:         24
        .size:           4
        .value_kind:     by_value
      - .offset:         28
        .size:           4
        .value_kind:     by_value
      - .actual_access:  read_only
        .address_space:  global
        .offset:         32
        .size:           8
        .value_kind:     global_buffer
      - .actual_access:  read_only
        .address_space:  global
        .offset:         40
        .size:           8
        .value_kind:     global_buffer
      - .actual_access:  read_only
        .address_space:  global
        .offset:         48
        .size:           8
        .value_kind:     global_buffer
      - .offset:         56
        .size:           4
        .value_kind:     by_value
      - .actual_access:  read_only
        .address_space:  global
        .offset:         64
        .size:           8
        .value_kind:     global_buffer
      - .offset:         72
        .size:           4
        .value_kind:     by_value
      - .offset:         76
        .size:           4
        .value_kind:     by_value
      - .offset:         80
        .size:           4
        .value_kind:     by_value
      - .actual_access:  write_only
        .address_space:  global
        .offset:         88
        .size:           8
        .value_kind:     global_buffer
      - .actual_access:  write_only
        .address_space:  global
        .offset:         96
        .size:           8
        .value_kind:     global_buffer
      - .actual_access:  write_only
        .address_space:  global
        .offset:         104
        .size:           8
        .value_kind:     global_buffer
      - .actual_access:  read_only
        .address_space:  global
        .offset:         112
        .size:           8
        .value_kind:     global_buffer
      - .offset:         120
        .size:           4
        .value_kind:     by_value
      - .address_space:  global
        .offset:         128
        .size:           8
        .value_kind:     global_buffer
      - .address_space:  global
        .offset:         136
        .size:           8
        .value_kind:     global_buffer
      - .offset:         144
        .size:           4
        .value_kind:     hidden_block_count_x
      - .offset:         148
        .size:           4
        .value_kind:     hidden_block_count_y
      - .offset:         152
        .size:           4
        .value_kind:     hidden_block_count_z
      - .offset:         156
        .size:           2
        .value_kind:     hidden_group_size_x
      - .offset:         158
        .size:           2
        .value_kind:     hidden_group_size_y
      - .offset:         160
        .size:           2
        .value_kind:     hidden_group_size_z
      - .offset:         162
        .size:           2
        .value_kind:     hidden_remainder_x
      - .offset:         164
        .size:           2
        .value_kind:     hidden_remainder_y
      - .offset:         166
        .size:           2
        .value_kind:     hidden_remainder_z
      - .offset:         184
        .size:           8
        .value_kind:     hidden_global_offset_x
      - .offset:         192
        .size:           8
        .value_kind:     hidden_global_offset_y
      - .offset:         200
        .size:           8
        .value_kind:     hidden_global_offset_z
      - .offset:         208
        .size:           2
        .value_kind:     hidden_grid_dims
    .group_segment_fixed_size: 17472
    .kernarg_segment_align: 8
    .kernarg_segment_size: 400
    .language:       OpenCL C
    .language_version:
      - 2
      - 0
    .max_flat_workgroup_size: 256
    .name:           _Z39paged_attention_ll4mi_QKV_mfma16_kernelI14__hip_bfloat16hLN4vllm18Fp8KVCacheDataTypeE1ES0_Li32ELi64ELi256ELb1ELi5EL8MFMAType0EEvPKT_PKT0_S9_ifPKiSB_SB_iPKfiiiPfSE_PS4_PT2_iSD_SD_
    .private_segment_fixed_size: 0
    .sgpr_count:     44
    .sgpr_spill_count: 0
    .symbol:         _Z39paged_attention_ll4mi_QKV_mfma16_kernelI14__hip_bfloat16hLN4vllm18Fp8KVCacheDataTypeE1ES0_Li32ELi64ELi256ELb1ELi5EL8MFMAType0EEvPKT_PKT0_S9_ifPKiSB_SB_iPKfiiiPfSE_PS4_PT2_iSD_SD_.kd
    .uniform_work_group_size: 1
    .uses_dynamic_stack: false
    .vgpr_count:     124
    .vgpr_spill_count: 0
    .wavefront_size: 32
    .workgroup_processor_mode: 1
  - .args:
      - .actual_access:  read_only
        .address_space:  global
        .offset:         0
        .size:           8
        .value_kind:     global_buffer
      - .actual_access:  read_only
        .address_space:  global
        .offset:         8
        .size:           8
        .value_kind:     global_buffer
      - .actual_access:  read_only
        .address_space:  global
        .offset:         16
        .size:           8
        .value_kind:     global_buffer
      - .offset:         24
        .size:           4
        .value_kind:     by_value
      - .offset:         28
        .size:           4
        .value_kind:     by_value
      - .actual_access:  read_only
        .address_space:  global
        .offset:         32
        .size:           8
        .value_kind:     global_buffer
      - .actual_access:  read_only
        .address_space:  global
        .offset:         40
        .size:           8
        .value_kind:     global_buffer
      - .actual_access:  read_only
        .address_space:  global
        .offset:         48
        .size:           8
        .value_kind:     global_buffer
      - .offset:         56
        .size:           4
        .value_kind:     by_value
      - .actual_access:  read_only
        .address_space:  global
        .offset:         64
        .size:           8
        .value_kind:     global_buffer
      - .offset:         72
        .size:           4
        .value_kind:     by_value
      - .offset:         76
        .size:           4
        .value_kind:     by_value
      - .offset:         80
        .size:           4
        .value_kind:     by_value
      - .actual_access:  write_only
        .address_space:  global
        .offset:         88
        .size:           8
        .value_kind:     global_buffer
      - .actual_access:  write_only
        .address_space:  global
        .offset:         96
        .size:           8
        .value_kind:     global_buffer
      - .actual_access:  write_only
        .address_space:  global
        .offset:         104
        .size:           8
        .value_kind:     global_buffer
      - .actual_access:  read_only
        .address_space:  global
        .offset:         112
        .size:           8
        .value_kind:     global_buffer
      - .offset:         120
        .size:           4
        .value_kind:     by_value
      - .address_space:  global
        .offset:         128
        .size:           8
        .value_kind:     global_buffer
      - .address_space:  global
        .offset:         136
        .size:           8
        .value_kind:     global_buffer
      - .offset:         144
        .size:           4
        .value_kind:     hidden_block_count_x
      - .offset:         148
        .size:           4
        .value_kind:     hidden_block_count_y
      - .offset:         152
        .size:           4
        .value_kind:     hidden_block_count_z
      - .offset:         156
        .size:           2
        .value_kind:     hidden_group_size_x
      - .offset:         158
        .size:           2
        .value_kind:     hidden_group_size_y
      - .offset:         160
        .size:           2
        .value_kind:     hidden_group_size_z
      - .offset:         162
        .size:           2
        .value_kind:     hidden_remainder_x
      - .offset:         164
        .size:           2
        .value_kind:     hidden_remainder_y
      - .offset:         166
        .size:           2
        .value_kind:     hidden_remainder_z
      - .offset:         184
        .size:           8
        .value_kind:     hidden_global_offset_x
      - .offset:         192
        .size:           8
        .value_kind:     hidden_global_offset_y
      - .offset:         200
        .size:           8
        .value_kind:     hidden_global_offset_z
      - .offset:         208
        .size:           2
        .value_kind:     hidden_grid_dims
    .group_segment_fixed_size: 17472
    .kernarg_segment_align: 8
    .kernarg_segment_size: 400
    .language:       OpenCL C
    .language_version:
      - 2
      - 0
    .max_flat_workgroup_size: 256
    .name:           _Z39paged_attention_ll4mi_QKV_mfma16_kernelI14__hip_bfloat16hLN4vllm18Fp8KVCacheDataTypeE1ES0_Li32ELi64ELi256ELb1ELi6EL8MFMAType0EEvPKT_PKT0_S9_ifPKiSB_SB_iPKfiiiPfSE_PS4_PT2_iSD_SD_
    .private_segment_fixed_size: 0
    .sgpr_count:     42
    .sgpr_spill_count: 0
    .symbol:         _Z39paged_attention_ll4mi_QKV_mfma16_kernelI14__hip_bfloat16hLN4vllm18Fp8KVCacheDataTypeE1ES0_Li32ELi64ELi256ELb1ELi6EL8MFMAType0EEvPKT_PKT0_S9_ifPKiSB_SB_iPKfiiiPfSE_PS4_PT2_iSD_SD_.kd
    .uniform_work_group_size: 1
    .uses_dynamic_stack: false
    .vgpr_count:     124
    .vgpr_spill_count: 0
    .wavefront_size: 32
    .workgroup_processor_mode: 1
  - .args:
      - .actual_access:  read_only
        .address_space:  global
        .offset:         0
        .size:           8
        .value_kind:     global_buffer
      - .actual_access:  read_only
        .address_space:  global
        .offset:         8
        .size:           8
        .value_kind:     global_buffer
      - .actual_access:  read_only
        .address_space:  global
        .offset:         16
        .size:           8
        .value_kind:     global_buffer
      - .offset:         24
        .size:           4
        .value_kind:     by_value
      - .offset:         28
        .size:           4
        .value_kind:     by_value
      - .actual_access:  read_only
        .address_space:  global
        .offset:         32
        .size:           8
        .value_kind:     global_buffer
      - .actual_access:  read_only
        .address_space:  global
        .offset:         40
        .size:           8
        .value_kind:     global_buffer
      - .actual_access:  read_only
        .address_space:  global
        .offset:         48
        .size:           8
        .value_kind:     global_buffer
      - .offset:         56
        .size:           4
        .value_kind:     by_value
      - .actual_access:  read_only
        .address_space:  global
        .offset:         64
        .size:           8
        .value_kind:     global_buffer
      - .offset:         72
        .size:           4
        .value_kind:     by_value
      - .offset:         76
        .size:           4
        .value_kind:     by_value
      - .offset:         80
        .size:           4
        .value_kind:     by_value
      - .actual_access:  write_only
        .address_space:  global
        .offset:         88
        .size:           8
        .value_kind:     global_buffer
      - .actual_access:  write_only
        .address_space:  global
        .offset:         96
        .size:           8
        .value_kind:     global_buffer
      - .actual_access:  write_only
        .address_space:  global
        .offset:         104
        .size:           8
        .value_kind:     global_buffer
      - .actual_access:  read_only
        .address_space:  global
        .offset:         112
        .size:           8
        .value_kind:     global_buffer
      - .offset:         120
        .size:           4
        .value_kind:     by_value
      - .address_space:  global
        .offset:         128
        .size:           8
        .value_kind:     global_buffer
      - .address_space:  global
        .offset:         136
        .size:           8
        .value_kind:     global_buffer
      - .offset:         144
        .size:           4
        .value_kind:     hidden_block_count_x
      - .offset:         148
        .size:           4
        .value_kind:     hidden_block_count_y
      - .offset:         152
        .size:           4
        .value_kind:     hidden_block_count_z
      - .offset:         156
        .size:           2
        .value_kind:     hidden_group_size_x
      - .offset:         158
        .size:           2
        .value_kind:     hidden_group_size_y
      - .offset:         160
        .size:           2
        .value_kind:     hidden_group_size_z
      - .offset:         162
        .size:           2
        .value_kind:     hidden_remainder_x
      - .offset:         164
        .size:           2
        .value_kind:     hidden_remainder_y
      - .offset:         166
        .size:           2
        .value_kind:     hidden_remainder_z
      - .offset:         184
        .size:           8
        .value_kind:     hidden_global_offset_x
      - .offset:         192
        .size:           8
        .value_kind:     hidden_global_offset_y
      - .offset:         200
        .size:           8
        .value_kind:     hidden_global_offset_z
      - .offset:         208
        .size:           2
        .value_kind:     hidden_grid_dims
    .group_segment_fixed_size: 17472
    .kernarg_segment_align: 8
    .kernarg_segment_size: 400
    .language:       OpenCL C
    .language_version:
      - 2
      - 0
    .max_flat_workgroup_size: 256
    .name:           _Z39paged_attention_ll4mi_QKV_mfma16_kernelI14__hip_bfloat16hLN4vllm18Fp8KVCacheDataTypeE1ES0_Li32ELi64ELi256ELb1ELi7EL8MFMAType0EEvPKT_PKT0_S9_ifPKiSB_SB_iPKfiiiPfSE_PS4_PT2_iSD_SD_
    .private_segment_fixed_size: 0
    .sgpr_count:     44
    .sgpr_spill_count: 0
    .symbol:         _Z39paged_attention_ll4mi_QKV_mfma16_kernelI14__hip_bfloat16hLN4vllm18Fp8KVCacheDataTypeE1ES0_Li32ELi64ELi256ELb1ELi7EL8MFMAType0EEvPKT_PKT0_S9_ifPKiSB_SB_iPKfiiiPfSE_PS4_PT2_iSD_SD_.kd
    .uniform_work_group_size: 1
    .uses_dynamic_stack: false
    .vgpr_count:     124
    .vgpr_spill_count: 0
    .wavefront_size: 32
    .workgroup_processor_mode: 1
  - .args:
      - .actual_access:  read_only
        .address_space:  global
        .offset:         0
        .size:           8
        .value_kind:     global_buffer
      - .actual_access:  read_only
        .address_space:  global
        .offset:         8
        .size:           8
        .value_kind:     global_buffer
      - .actual_access:  read_only
        .address_space:  global
        .offset:         16
        .size:           8
        .value_kind:     global_buffer
      - .offset:         24
        .size:           4
        .value_kind:     by_value
      - .offset:         28
        .size:           4
        .value_kind:     by_value
      - .actual_access:  read_only
        .address_space:  global
        .offset:         32
        .size:           8
        .value_kind:     global_buffer
      - .actual_access:  read_only
        .address_space:  global
        .offset:         40
        .size:           8
        .value_kind:     global_buffer
      - .actual_access:  read_only
        .address_space:  global
        .offset:         48
        .size:           8
        .value_kind:     global_buffer
      - .offset:         56
        .size:           4
        .value_kind:     by_value
      - .actual_access:  read_only
        .address_space:  global
        .offset:         64
        .size:           8
        .value_kind:     global_buffer
      - .offset:         72
        .size:           4
        .value_kind:     by_value
      - .offset:         76
        .size:           4
        .value_kind:     by_value
      - .offset:         80
        .size:           4
        .value_kind:     by_value
      - .actual_access:  write_only
        .address_space:  global
        .offset:         88
        .size:           8
        .value_kind:     global_buffer
      - .actual_access:  write_only
        .address_space:  global
        .offset:         96
        .size:           8
        .value_kind:     global_buffer
      - .actual_access:  write_only
        .address_space:  global
        .offset:         104
        .size:           8
        .value_kind:     global_buffer
      - .actual_access:  read_only
        .address_space:  global
        .offset:         112
        .size:           8
        .value_kind:     global_buffer
      - .offset:         120
        .size:           4
        .value_kind:     by_value
      - .address_space:  global
        .offset:         128
        .size:           8
        .value_kind:     global_buffer
      - .address_space:  global
        .offset:         136
        .size:           8
        .value_kind:     global_buffer
      - .offset:         144
        .size:           4
        .value_kind:     hidden_block_count_x
      - .offset:         148
        .size:           4
        .value_kind:     hidden_block_count_y
      - .offset:         152
        .size:           4
        .value_kind:     hidden_block_count_z
      - .offset:         156
        .size:           2
        .value_kind:     hidden_group_size_x
      - .offset:         158
        .size:           2
        .value_kind:     hidden_group_size_y
      - .offset:         160
        .size:           2
        .value_kind:     hidden_group_size_z
      - .offset:         162
        .size:           2
        .value_kind:     hidden_remainder_x
      - .offset:         164
        .size:           2
        .value_kind:     hidden_remainder_y
      - .offset:         166
        .size:           2
        .value_kind:     hidden_remainder_z
      - .offset:         184
        .size:           8
        .value_kind:     hidden_global_offset_x
      - .offset:         192
        .size:           8
        .value_kind:     hidden_global_offset_y
      - .offset:         200
        .size:           8
        .value_kind:     hidden_global_offset_z
      - .offset:         208
        .size:           2
        .value_kind:     hidden_grid_dims
    .group_segment_fixed_size: 17472
    .kernarg_segment_align: 8
    .kernarg_segment_size: 400
    .language:       OpenCL C
    .language_version:
      - 2
      - 0
    .max_flat_workgroup_size: 256
    .name:           _Z39paged_attention_ll4mi_QKV_mfma16_kernelI14__hip_bfloat16hLN4vllm18Fp8KVCacheDataTypeE1ES0_Li32ELi64ELi256ELb1ELi8EL8MFMAType0EEvPKT_PKT0_S9_ifPKiSB_SB_iPKfiiiPfSE_PS4_PT2_iSD_SD_
    .private_segment_fixed_size: 0
    .sgpr_count:     42
    .sgpr_spill_count: 0
    .symbol:         _Z39paged_attention_ll4mi_QKV_mfma16_kernelI14__hip_bfloat16hLN4vllm18Fp8KVCacheDataTypeE1ES0_Li32ELi64ELi256ELb1ELi8EL8MFMAType0EEvPKT_PKT0_S9_ifPKiSB_SB_iPKfiiiPfSE_PS4_PT2_iSD_SD_.kd
    .uniform_work_group_size: 1
    .uses_dynamic_stack: false
    .vgpr_count:     124
    .vgpr_spill_count: 0
    .wavefront_size: 32
    .workgroup_processor_mode: 1
  - .args:
      - .actual_access:  read_only
        .address_space:  global
        .offset:         0
        .size:           8
        .value_kind:     global_buffer
      - .actual_access:  read_only
        .address_space:  global
        .offset:         8
        .size:           8
        .value_kind:     global_buffer
      - .actual_access:  read_only
        .address_space:  global
        .offset:         16
        .size:           8
        .value_kind:     global_buffer
      - .offset:         24
        .size:           4
        .value_kind:     by_value
      - .offset:         28
        .size:           4
        .value_kind:     by_value
      - .actual_access:  read_only
        .address_space:  global
        .offset:         32
        .size:           8
        .value_kind:     global_buffer
      - .actual_access:  read_only
        .address_space:  global
        .offset:         40
        .size:           8
        .value_kind:     global_buffer
      - .actual_access:  read_only
        .address_space:  global
        .offset:         48
        .size:           8
        .value_kind:     global_buffer
      - .offset:         56
        .size:           4
        .value_kind:     by_value
      - .actual_access:  read_only
        .address_space:  global
        .offset:         64
        .size:           8
        .value_kind:     global_buffer
      - .offset:         72
        .size:           4
        .value_kind:     by_value
      - .offset:         76
        .size:           4
        .value_kind:     by_value
      - .offset:         80
        .size:           4
        .value_kind:     by_value
      - .actual_access:  write_only
        .address_space:  global
        .offset:         88
        .size:           8
        .value_kind:     global_buffer
      - .actual_access:  write_only
        .address_space:  global
        .offset:         96
        .size:           8
        .value_kind:     global_buffer
      - .actual_access:  write_only
        .address_space:  global
        .offset:         104
        .size:           8
        .value_kind:     global_buffer
      - .actual_access:  read_only
        .address_space:  global
        .offset:         112
        .size:           8
        .value_kind:     global_buffer
      - .offset:         120
        .size:           4
        .value_kind:     by_value
      - .address_space:  global
        .offset:         128
        .size:           8
        .value_kind:     global_buffer
      - .address_space:  global
        .offset:         136
        .size:           8
        .value_kind:     global_buffer
      - .offset:         144
        .size:           4
        .value_kind:     hidden_block_count_x
      - .offset:         148
        .size:           4
        .value_kind:     hidden_block_count_y
      - .offset:         152
        .size:           4
        .value_kind:     hidden_block_count_z
      - .offset:         156
        .size:           2
        .value_kind:     hidden_group_size_x
      - .offset:         158
        .size:           2
        .value_kind:     hidden_group_size_y
      - .offset:         160
        .size:           2
        .value_kind:     hidden_group_size_z
      - .offset:         162
        .size:           2
        .value_kind:     hidden_remainder_x
      - .offset:         164
        .size:           2
        .value_kind:     hidden_remainder_y
      - .offset:         166
        .size:           2
        .value_kind:     hidden_remainder_z
      - .offset:         184
        .size:           8
        .value_kind:     hidden_global_offset_x
      - .offset:         192
        .size:           8
        .value_kind:     hidden_global_offset_y
      - .offset:         200
        .size:           8
        .value_kind:     hidden_global_offset_z
      - .offset:         208
        .size:           2
        .value_kind:     hidden_grid_dims
    .group_segment_fixed_size: 17472
    .kernarg_segment_align: 8
    .kernarg_segment_size: 400
    .language:       OpenCL C
    .language_version:
      - 2
      - 0
    .max_flat_workgroup_size: 256
    .name:           _Z39paged_attention_ll4mi_QKV_mfma16_kernelI14__hip_bfloat16hLN4vllm18Fp8KVCacheDataTypeE1ES0_Li32ELi64ELi256ELb1ELi9EL8MFMAType0EEvPKT_PKT0_S9_ifPKiSB_SB_iPKfiiiPfSE_PS4_PT2_iSD_SD_
    .private_segment_fixed_size: 0
    .sgpr_count:     44
    .sgpr_spill_count: 0
    .symbol:         _Z39paged_attention_ll4mi_QKV_mfma16_kernelI14__hip_bfloat16hLN4vllm18Fp8KVCacheDataTypeE1ES0_Li32ELi64ELi256ELb1ELi9EL8MFMAType0EEvPKT_PKT0_S9_ifPKiSB_SB_iPKfiiiPfSE_PS4_PT2_iSD_SD_.kd
    .uniform_work_group_size: 1
    .uses_dynamic_stack: false
    .vgpr_count:     124
    .vgpr_spill_count: 0
    .wavefront_size: 32
    .workgroup_processor_mode: 1
  - .args:
      - .actual_access:  read_only
        .address_space:  global
        .offset:         0
        .size:           8
        .value_kind:     global_buffer
      - .actual_access:  read_only
        .address_space:  global
        .offset:         8
        .size:           8
        .value_kind:     global_buffer
      - .actual_access:  read_only
        .address_space:  global
        .offset:         16
        .size:           8
        .value_kind:     global_buffer
      - .offset:         24
        .size:           4
        .value_kind:     by_value
      - .offset:         28
        .size:           4
        .value_kind:     by_value
      - .actual_access:  read_only
        .address_space:  global
        .offset:         32
        .size:           8
        .value_kind:     global_buffer
      - .actual_access:  read_only
        .address_space:  global
        .offset:         40
        .size:           8
        .value_kind:     global_buffer
      - .actual_access:  read_only
        .address_space:  global
        .offset:         48
        .size:           8
        .value_kind:     global_buffer
      - .offset:         56
        .size:           4
        .value_kind:     by_value
      - .actual_access:  read_only
        .address_space:  global
        .offset:         64
        .size:           8
        .value_kind:     global_buffer
      - .offset:         72
        .size:           4
        .value_kind:     by_value
      - .offset:         76
        .size:           4
        .value_kind:     by_value
      - .offset:         80
        .size:           4
        .value_kind:     by_value
      - .actual_access:  write_only
        .address_space:  global
        .offset:         88
        .size:           8
        .value_kind:     global_buffer
      - .actual_access:  write_only
        .address_space:  global
        .offset:         96
        .size:           8
        .value_kind:     global_buffer
      - .actual_access:  write_only
        .address_space:  global
        .offset:         104
        .size:           8
        .value_kind:     global_buffer
      - .actual_access:  read_only
        .address_space:  global
        .offset:         112
        .size:           8
        .value_kind:     global_buffer
      - .offset:         120
        .size:           4
        .value_kind:     by_value
      - .address_space:  global
        .offset:         128
        .size:           8
        .value_kind:     global_buffer
      - .address_space:  global
        .offset:         136
        .size:           8
        .value_kind:     global_buffer
      - .offset:         144
        .size:           4
        .value_kind:     hidden_block_count_x
      - .offset:         148
        .size:           4
        .value_kind:     hidden_block_count_y
      - .offset:         152
        .size:           4
        .value_kind:     hidden_block_count_z
      - .offset:         156
        .size:           2
        .value_kind:     hidden_group_size_x
      - .offset:         158
        .size:           2
        .value_kind:     hidden_group_size_y
      - .offset:         160
        .size:           2
        .value_kind:     hidden_group_size_z
      - .offset:         162
        .size:           2
        .value_kind:     hidden_remainder_x
      - .offset:         164
        .size:           2
        .value_kind:     hidden_remainder_y
      - .offset:         166
        .size:           2
        .value_kind:     hidden_remainder_z
      - .offset:         184
        .size:           8
        .value_kind:     hidden_global_offset_x
      - .offset:         192
        .size:           8
        .value_kind:     hidden_global_offset_y
      - .offset:         200
        .size:           8
        .value_kind:     hidden_global_offset_z
      - .offset:         208
        .size:           2
        .value_kind:     hidden_grid_dims
    .group_segment_fixed_size: 17472
    .kernarg_segment_align: 8
    .kernarg_segment_size: 400
    .language:       OpenCL C
    .language_version:
      - 2
      - 0
    .max_flat_workgroup_size: 256
    .name:           _Z39paged_attention_ll4mi_QKV_mfma16_kernelI14__hip_bfloat16hLN4vllm18Fp8KVCacheDataTypeE1ES0_Li32ELi64ELi256ELb1ELi10EL8MFMAType0EEvPKT_PKT0_S9_ifPKiSB_SB_iPKfiiiPfSE_PS4_PT2_iSD_SD_
    .private_segment_fixed_size: 0
    .sgpr_count:     42
    .sgpr_spill_count: 0
    .symbol:         _Z39paged_attention_ll4mi_QKV_mfma16_kernelI14__hip_bfloat16hLN4vllm18Fp8KVCacheDataTypeE1ES0_Li32ELi64ELi256ELb1ELi10EL8MFMAType0EEvPKT_PKT0_S9_ifPKiSB_SB_iPKfiiiPfSE_PS4_PT2_iSD_SD_.kd
    .uniform_work_group_size: 1
    .uses_dynamic_stack: false
    .vgpr_count:     124
    .vgpr_spill_count: 0
    .wavefront_size: 32
    .workgroup_processor_mode: 1
  - .args:
      - .actual_access:  read_only
        .address_space:  global
        .offset:         0
        .size:           8
        .value_kind:     global_buffer
      - .actual_access:  read_only
        .address_space:  global
        .offset:         8
        .size:           8
        .value_kind:     global_buffer
      - .actual_access:  read_only
        .address_space:  global
        .offset:         16
        .size:           8
        .value_kind:     global_buffer
      - .offset:         24
        .size:           4
        .value_kind:     by_value
      - .offset:         28
        .size:           4
        .value_kind:     by_value
      - .actual_access:  read_only
        .address_space:  global
        .offset:         32
        .size:           8
        .value_kind:     global_buffer
      - .actual_access:  read_only
        .address_space:  global
        .offset:         40
        .size:           8
        .value_kind:     global_buffer
      - .actual_access:  read_only
        .address_space:  global
        .offset:         48
        .size:           8
        .value_kind:     global_buffer
      - .offset:         56
        .size:           4
        .value_kind:     by_value
      - .actual_access:  read_only
        .address_space:  global
        .offset:         64
        .size:           8
        .value_kind:     global_buffer
      - .offset:         72
        .size:           4
        .value_kind:     by_value
      - .offset:         76
        .size:           4
        .value_kind:     by_value
      - .offset:         80
        .size:           4
        .value_kind:     by_value
      - .actual_access:  write_only
        .address_space:  global
        .offset:         88
        .size:           8
        .value_kind:     global_buffer
      - .actual_access:  write_only
        .address_space:  global
        .offset:         96
        .size:           8
        .value_kind:     global_buffer
      - .actual_access:  write_only
        .address_space:  global
        .offset:         104
        .size:           8
        .value_kind:     global_buffer
      - .actual_access:  read_only
        .address_space:  global
        .offset:         112
        .size:           8
        .value_kind:     global_buffer
      - .offset:         120
        .size:           4
        .value_kind:     by_value
      - .address_space:  global
        .offset:         128
        .size:           8
        .value_kind:     global_buffer
      - .address_space:  global
        .offset:         136
        .size:           8
        .value_kind:     global_buffer
      - .offset:         144
        .size:           4
        .value_kind:     hidden_block_count_x
      - .offset:         148
        .size:           4
        .value_kind:     hidden_block_count_y
      - .offset:         152
        .size:           4
        .value_kind:     hidden_block_count_z
      - .offset:         156
        .size:           2
        .value_kind:     hidden_group_size_x
      - .offset:         158
        .size:           2
        .value_kind:     hidden_group_size_y
      - .offset:         160
        .size:           2
        .value_kind:     hidden_group_size_z
      - .offset:         162
        .size:           2
        .value_kind:     hidden_remainder_x
      - .offset:         164
        .size:           2
        .value_kind:     hidden_remainder_y
      - .offset:         166
        .size:           2
        .value_kind:     hidden_remainder_z
      - .offset:         184
        .size:           8
        .value_kind:     hidden_global_offset_x
      - .offset:         192
        .size:           8
        .value_kind:     hidden_global_offset_y
      - .offset:         200
        .size:           8
        .value_kind:     hidden_global_offset_z
      - .offset:         208
        .size:           2
        .value_kind:     hidden_grid_dims
    .group_segment_fixed_size: 17472
    .kernarg_segment_align: 8
    .kernarg_segment_size: 400
    .language:       OpenCL C
    .language_version:
      - 2
      - 0
    .max_flat_workgroup_size: 256
    .name:           _Z39paged_attention_ll4mi_QKV_mfma16_kernelI14__hip_bfloat16hLN4vllm18Fp8KVCacheDataTypeE1ES0_Li32ELi64ELi256ELb1ELi11EL8MFMAType0EEvPKT_PKT0_S9_ifPKiSB_SB_iPKfiiiPfSE_PS4_PT2_iSD_SD_
    .private_segment_fixed_size: 0
    .sgpr_count:     44
    .sgpr_spill_count: 0
    .symbol:         _Z39paged_attention_ll4mi_QKV_mfma16_kernelI14__hip_bfloat16hLN4vllm18Fp8KVCacheDataTypeE1ES0_Li32ELi64ELi256ELb1ELi11EL8MFMAType0EEvPKT_PKT0_S9_ifPKiSB_SB_iPKfiiiPfSE_PS4_PT2_iSD_SD_.kd
    .uniform_work_group_size: 1
    .uses_dynamic_stack: false
    .vgpr_count:     124
    .vgpr_spill_count: 0
    .wavefront_size: 32
    .workgroup_processor_mode: 1
  - .args:
      - .actual_access:  read_only
        .address_space:  global
        .offset:         0
        .size:           8
        .value_kind:     global_buffer
      - .actual_access:  read_only
        .address_space:  global
        .offset:         8
        .size:           8
        .value_kind:     global_buffer
      - .actual_access:  read_only
        .address_space:  global
        .offset:         16
        .size:           8
        .value_kind:     global_buffer
      - .offset:         24
        .size:           4
        .value_kind:     by_value
      - .offset:         28
        .size:           4
        .value_kind:     by_value
      - .actual_access:  read_only
        .address_space:  global
        .offset:         32
        .size:           8
        .value_kind:     global_buffer
      - .actual_access:  read_only
        .address_space:  global
        .offset:         40
        .size:           8
        .value_kind:     global_buffer
      - .actual_access:  read_only
        .address_space:  global
        .offset:         48
        .size:           8
        .value_kind:     global_buffer
      - .offset:         56
        .size:           4
        .value_kind:     by_value
      - .actual_access:  read_only
        .address_space:  global
        .offset:         64
        .size:           8
        .value_kind:     global_buffer
      - .offset:         72
        .size:           4
        .value_kind:     by_value
      - .offset:         76
        .size:           4
        .value_kind:     by_value
      - .offset:         80
        .size:           4
        .value_kind:     by_value
      - .actual_access:  write_only
        .address_space:  global
        .offset:         88
        .size:           8
        .value_kind:     global_buffer
      - .actual_access:  write_only
        .address_space:  global
        .offset:         96
        .size:           8
        .value_kind:     global_buffer
      - .actual_access:  write_only
        .address_space:  global
        .offset:         104
        .size:           8
        .value_kind:     global_buffer
      - .actual_access:  read_only
        .address_space:  global
        .offset:         112
        .size:           8
        .value_kind:     global_buffer
      - .offset:         120
        .size:           4
        .value_kind:     by_value
      - .address_space:  global
        .offset:         128
        .size:           8
        .value_kind:     global_buffer
      - .address_space:  global
        .offset:         136
        .size:           8
        .value_kind:     global_buffer
      - .offset:         144
        .size:           4
        .value_kind:     hidden_block_count_x
      - .offset:         148
        .size:           4
        .value_kind:     hidden_block_count_y
      - .offset:         152
        .size:           4
        .value_kind:     hidden_block_count_z
      - .offset:         156
        .size:           2
        .value_kind:     hidden_group_size_x
      - .offset:         158
        .size:           2
        .value_kind:     hidden_group_size_y
      - .offset:         160
        .size:           2
        .value_kind:     hidden_group_size_z
      - .offset:         162
        .size:           2
        .value_kind:     hidden_remainder_x
      - .offset:         164
        .size:           2
        .value_kind:     hidden_remainder_y
      - .offset:         166
        .size:           2
        .value_kind:     hidden_remainder_z
      - .offset:         184
        .size:           8
        .value_kind:     hidden_global_offset_x
      - .offset:         192
        .size:           8
        .value_kind:     hidden_global_offset_y
      - .offset:         200
        .size:           8
        .value_kind:     hidden_global_offset_z
      - .offset:         208
        .size:           2
        .value_kind:     hidden_grid_dims
    .group_segment_fixed_size: 17472
    .kernarg_segment_align: 8
    .kernarg_segment_size: 400
    .language:       OpenCL C
    .language_version:
      - 2
      - 0
    .max_flat_workgroup_size: 256
    .name:           _Z39paged_attention_ll4mi_QKV_mfma16_kernelI14__hip_bfloat16hLN4vllm18Fp8KVCacheDataTypeE1ES0_Li32ELi64ELi256ELb1ELi12EL8MFMAType0EEvPKT_PKT0_S9_ifPKiSB_SB_iPKfiiiPfSE_PS4_PT2_iSD_SD_
    .private_segment_fixed_size: 0
    .sgpr_count:     42
    .sgpr_spill_count: 0
    .symbol:         _Z39paged_attention_ll4mi_QKV_mfma16_kernelI14__hip_bfloat16hLN4vllm18Fp8KVCacheDataTypeE1ES0_Li32ELi64ELi256ELb1ELi12EL8MFMAType0EEvPKT_PKT0_S9_ifPKiSB_SB_iPKfiiiPfSE_PS4_PT2_iSD_SD_.kd
    .uniform_work_group_size: 1
    .uses_dynamic_stack: false
    .vgpr_count:     124
    .vgpr_spill_count: 0
    .wavefront_size: 32
    .workgroup_processor_mode: 1
  - .args:
      - .actual_access:  read_only
        .address_space:  global
        .offset:         0
        .size:           8
        .value_kind:     global_buffer
      - .actual_access:  read_only
        .address_space:  global
        .offset:         8
        .size:           8
        .value_kind:     global_buffer
      - .actual_access:  read_only
        .address_space:  global
        .offset:         16
        .size:           8
        .value_kind:     global_buffer
      - .offset:         24
        .size:           4
        .value_kind:     by_value
      - .offset:         28
        .size:           4
        .value_kind:     by_value
      - .actual_access:  read_only
        .address_space:  global
        .offset:         32
        .size:           8
        .value_kind:     global_buffer
      - .actual_access:  read_only
        .address_space:  global
        .offset:         40
        .size:           8
        .value_kind:     global_buffer
      - .actual_access:  read_only
        .address_space:  global
        .offset:         48
        .size:           8
        .value_kind:     global_buffer
      - .offset:         56
        .size:           4
        .value_kind:     by_value
      - .actual_access:  read_only
        .address_space:  global
        .offset:         64
        .size:           8
        .value_kind:     global_buffer
      - .offset:         72
        .size:           4
        .value_kind:     by_value
      - .offset:         76
        .size:           4
        .value_kind:     by_value
      - .offset:         80
        .size:           4
        .value_kind:     by_value
      - .actual_access:  write_only
        .address_space:  global
        .offset:         88
        .size:           8
        .value_kind:     global_buffer
      - .actual_access:  write_only
        .address_space:  global
        .offset:         96
        .size:           8
        .value_kind:     global_buffer
      - .actual_access:  write_only
        .address_space:  global
        .offset:         104
        .size:           8
        .value_kind:     global_buffer
      - .actual_access:  read_only
        .address_space:  global
        .offset:         112
        .size:           8
        .value_kind:     global_buffer
      - .offset:         120
        .size:           4
        .value_kind:     by_value
      - .address_space:  global
        .offset:         128
        .size:           8
        .value_kind:     global_buffer
      - .address_space:  global
        .offset:         136
        .size:           8
        .value_kind:     global_buffer
      - .offset:         144
        .size:           4
        .value_kind:     hidden_block_count_x
      - .offset:         148
        .size:           4
        .value_kind:     hidden_block_count_y
      - .offset:         152
        .size:           4
        .value_kind:     hidden_block_count_z
      - .offset:         156
        .size:           2
        .value_kind:     hidden_group_size_x
      - .offset:         158
        .size:           2
        .value_kind:     hidden_group_size_y
      - .offset:         160
        .size:           2
        .value_kind:     hidden_group_size_z
      - .offset:         162
        .size:           2
        .value_kind:     hidden_remainder_x
      - .offset:         164
        .size:           2
        .value_kind:     hidden_remainder_y
      - .offset:         166
        .size:           2
        .value_kind:     hidden_remainder_z
      - .offset:         184
        .size:           8
        .value_kind:     hidden_global_offset_x
      - .offset:         192
        .size:           8
        .value_kind:     hidden_global_offset_y
      - .offset:         200
        .size:           8
        .value_kind:     hidden_global_offset_z
      - .offset:         208
        .size:           2
        .value_kind:     hidden_grid_dims
    .group_segment_fixed_size: 17472
    .kernarg_segment_align: 8
    .kernarg_segment_size: 400
    .language:       OpenCL C
    .language_version:
      - 2
      - 0
    .max_flat_workgroup_size: 256
    .name:           _Z39paged_attention_ll4mi_QKV_mfma16_kernelI14__hip_bfloat16hLN4vllm18Fp8KVCacheDataTypeE1ES0_Li32ELi64ELi256ELb1ELi13EL8MFMAType0EEvPKT_PKT0_S9_ifPKiSB_SB_iPKfiiiPfSE_PS4_PT2_iSD_SD_
    .private_segment_fixed_size: 0
    .sgpr_count:     44
    .sgpr_spill_count: 0
    .symbol:         _Z39paged_attention_ll4mi_QKV_mfma16_kernelI14__hip_bfloat16hLN4vllm18Fp8KVCacheDataTypeE1ES0_Li32ELi64ELi256ELb1ELi13EL8MFMAType0EEvPKT_PKT0_S9_ifPKiSB_SB_iPKfiiiPfSE_PS4_PT2_iSD_SD_.kd
    .uniform_work_group_size: 1
    .uses_dynamic_stack: false
    .vgpr_count:     124
    .vgpr_spill_count: 0
    .wavefront_size: 32
    .workgroup_processor_mode: 1
  - .args:
      - .actual_access:  read_only
        .address_space:  global
        .offset:         0
        .size:           8
        .value_kind:     global_buffer
      - .actual_access:  read_only
        .address_space:  global
        .offset:         8
        .size:           8
        .value_kind:     global_buffer
      - .actual_access:  read_only
        .address_space:  global
        .offset:         16
        .size:           8
        .value_kind:     global_buffer
      - .offset:         24
        .size:           4
        .value_kind:     by_value
      - .offset:         28
        .size:           4
        .value_kind:     by_value
      - .actual_access:  read_only
        .address_space:  global
        .offset:         32
        .size:           8
        .value_kind:     global_buffer
      - .actual_access:  read_only
        .address_space:  global
        .offset:         40
        .size:           8
        .value_kind:     global_buffer
      - .actual_access:  read_only
        .address_space:  global
        .offset:         48
        .size:           8
        .value_kind:     global_buffer
      - .offset:         56
        .size:           4
        .value_kind:     by_value
      - .actual_access:  read_only
        .address_space:  global
        .offset:         64
        .size:           8
        .value_kind:     global_buffer
      - .offset:         72
        .size:           4
        .value_kind:     by_value
      - .offset:         76
        .size:           4
        .value_kind:     by_value
      - .offset:         80
        .size:           4
        .value_kind:     by_value
      - .actual_access:  write_only
        .address_space:  global
        .offset:         88
        .size:           8
        .value_kind:     global_buffer
      - .actual_access:  write_only
        .address_space:  global
        .offset:         96
        .size:           8
        .value_kind:     global_buffer
      - .actual_access:  write_only
        .address_space:  global
        .offset:         104
        .size:           8
        .value_kind:     global_buffer
      - .actual_access:  read_only
        .address_space:  global
        .offset:         112
        .size:           8
        .value_kind:     global_buffer
      - .offset:         120
        .size:           4
        .value_kind:     by_value
      - .address_space:  global
        .offset:         128
        .size:           8
        .value_kind:     global_buffer
      - .address_space:  global
        .offset:         136
        .size:           8
        .value_kind:     global_buffer
      - .offset:         144
        .size:           4
        .value_kind:     hidden_block_count_x
      - .offset:         148
        .size:           4
        .value_kind:     hidden_block_count_y
      - .offset:         152
        .size:           4
        .value_kind:     hidden_block_count_z
      - .offset:         156
        .size:           2
        .value_kind:     hidden_group_size_x
      - .offset:         158
        .size:           2
        .value_kind:     hidden_group_size_y
      - .offset:         160
        .size:           2
        .value_kind:     hidden_group_size_z
      - .offset:         162
        .size:           2
        .value_kind:     hidden_remainder_x
      - .offset:         164
        .size:           2
        .value_kind:     hidden_remainder_y
      - .offset:         166
        .size:           2
        .value_kind:     hidden_remainder_z
      - .offset:         184
        .size:           8
        .value_kind:     hidden_global_offset_x
      - .offset:         192
        .size:           8
        .value_kind:     hidden_global_offset_y
      - .offset:         200
        .size:           8
        .value_kind:     hidden_global_offset_z
      - .offset:         208
        .size:           2
        .value_kind:     hidden_grid_dims
    .group_segment_fixed_size: 17472
    .kernarg_segment_align: 8
    .kernarg_segment_size: 400
    .language:       OpenCL C
    .language_version:
      - 2
      - 0
    .max_flat_workgroup_size: 256
    .name:           _Z39paged_attention_ll4mi_QKV_mfma16_kernelI14__hip_bfloat16hLN4vllm18Fp8KVCacheDataTypeE1ES0_Li32ELi64ELi256ELb1ELi14EL8MFMAType0EEvPKT_PKT0_S9_ifPKiSB_SB_iPKfiiiPfSE_PS4_PT2_iSD_SD_
    .private_segment_fixed_size: 0
    .sgpr_count:     42
    .sgpr_spill_count: 0
    .symbol:         _Z39paged_attention_ll4mi_QKV_mfma16_kernelI14__hip_bfloat16hLN4vllm18Fp8KVCacheDataTypeE1ES0_Li32ELi64ELi256ELb1ELi14EL8MFMAType0EEvPKT_PKT0_S9_ifPKiSB_SB_iPKfiiiPfSE_PS4_PT2_iSD_SD_.kd
    .uniform_work_group_size: 1
    .uses_dynamic_stack: false
    .vgpr_count:     124
    .vgpr_spill_count: 0
    .wavefront_size: 32
    .workgroup_processor_mode: 1
  - .args:
      - .actual_access:  read_only
        .address_space:  global
        .offset:         0
        .size:           8
        .value_kind:     global_buffer
      - .actual_access:  read_only
        .address_space:  global
        .offset:         8
        .size:           8
        .value_kind:     global_buffer
      - .actual_access:  read_only
        .address_space:  global
        .offset:         16
        .size:           8
        .value_kind:     global_buffer
      - .offset:         24
        .size:           4
        .value_kind:     by_value
      - .offset:         28
        .size:           4
        .value_kind:     by_value
      - .actual_access:  read_only
        .address_space:  global
        .offset:         32
        .size:           8
        .value_kind:     global_buffer
      - .actual_access:  read_only
        .address_space:  global
        .offset:         40
        .size:           8
        .value_kind:     global_buffer
      - .actual_access:  read_only
        .address_space:  global
        .offset:         48
        .size:           8
        .value_kind:     global_buffer
      - .offset:         56
        .size:           4
        .value_kind:     by_value
      - .actual_access:  read_only
        .address_space:  global
        .offset:         64
        .size:           8
        .value_kind:     global_buffer
      - .offset:         72
        .size:           4
        .value_kind:     by_value
      - .offset:         76
        .size:           4
        .value_kind:     by_value
      - .offset:         80
        .size:           4
        .value_kind:     by_value
      - .actual_access:  write_only
        .address_space:  global
        .offset:         88
        .size:           8
        .value_kind:     global_buffer
      - .actual_access:  write_only
        .address_space:  global
        .offset:         96
        .size:           8
        .value_kind:     global_buffer
      - .actual_access:  write_only
        .address_space:  global
        .offset:         104
        .size:           8
        .value_kind:     global_buffer
      - .actual_access:  read_only
        .address_space:  global
        .offset:         112
        .size:           8
        .value_kind:     global_buffer
      - .offset:         120
        .size:           4
        .value_kind:     by_value
      - .address_space:  global
        .offset:         128
        .size:           8
        .value_kind:     global_buffer
      - .address_space:  global
        .offset:         136
        .size:           8
        .value_kind:     global_buffer
      - .offset:         144
        .size:           4
        .value_kind:     hidden_block_count_x
      - .offset:         148
        .size:           4
        .value_kind:     hidden_block_count_y
      - .offset:         152
        .size:           4
        .value_kind:     hidden_block_count_z
      - .offset:         156
        .size:           2
        .value_kind:     hidden_group_size_x
      - .offset:         158
        .size:           2
        .value_kind:     hidden_group_size_y
      - .offset:         160
        .size:           2
        .value_kind:     hidden_group_size_z
      - .offset:         162
        .size:           2
        .value_kind:     hidden_remainder_x
      - .offset:         164
        .size:           2
        .value_kind:     hidden_remainder_y
      - .offset:         166
        .size:           2
        .value_kind:     hidden_remainder_z
      - .offset:         184
        .size:           8
        .value_kind:     hidden_global_offset_x
      - .offset:         192
        .size:           8
        .value_kind:     hidden_global_offset_y
      - .offset:         200
        .size:           8
        .value_kind:     hidden_global_offset_z
      - .offset:         208
        .size:           2
        .value_kind:     hidden_grid_dims
    .group_segment_fixed_size: 17472
    .kernarg_segment_align: 8
    .kernarg_segment_size: 400
    .language:       OpenCL C
    .language_version:
      - 2
      - 0
    .max_flat_workgroup_size: 256
    .name:           _Z39paged_attention_ll4mi_QKV_mfma16_kernelI14__hip_bfloat16hLN4vllm18Fp8KVCacheDataTypeE1ES0_Li32ELi64ELi256ELb1ELi15EL8MFMAType0EEvPKT_PKT0_S9_ifPKiSB_SB_iPKfiiiPfSE_PS4_PT2_iSD_SD_
    .private_segment_fixed_size: 0
    .sgpr_count:     44
    .sgpr_spill_count: 0
    .symbol:         _Z39paged_attention_ll4mi_QKV_mfma16_kernelI14__hip_bfloat16hLN4vllm18Fp8KVCacheDataTypeE1ES0_Li32ELi64ELi256ELb1ELi15EL8MFMAType0EEvPKT_PKT0_S9_ifPKiSB_SB_iPKfiiiPfSE_PS4_PT2_iSD_SD_.kd
    .uniform_work_group_size: 1
    .uses_dynamic_stack: false
    .vgpr_count:     124
    .vgpr_spill_count: 0
    .wavefront_size: 32
    .workgroup_processor_mode: 1
  - .args:
      - .actual_access:  read_only
        .address_space:  global
        .offset:         0
        .size:           8
        .value_kind:     global_buffer
      - .actual_access:  read_only
        .address_space:  global
        .offset:         8
        .size:           8
        .value_kind:     global_buffer
      - .actual_access:  read_only
        .address_space:  global
        .offset:         16
        .size:           8
        .value_kind:     global_buffer
      - .offset:         24
        .size:           4
        .value_kind:     by_value
      - .offset:         28
        .size:           4
        .value_kind:     by_value
      - .actual_access:  read_only
        .address_space:  global
        .offset:         32
        .size:           8
        .value_kind:     global_buffer
      - .actual_access:  read_only
        .address_space:  global
        .offset:         40
        .size:           8
        .value_kind:     global_buffer
      - .actual_access:  read_only
        .address_space:  global
        .offset:         48
        .size:           8
        .value_kind:     global_buffer
      - .offset:         56
        .size:           4
        .value_kind:     by_value
      - .actual_access:  read_only
        .address_space:  global
        .offset:         64
        .size:           8
        .value_kind:     global_buffer
      - .offset:         72
        .size:           4
        .value_kind:     by_value
      - .offset:         76
        .size:           4
        .value_kind:     by_value
      - .offset:         80
        .size:           4
        .value_kind:     by_value
      - .actual_access:  write_only
        .address_space:  global
        .offset:         88
        .size:           8
        .value_kind:     global_buffer
      - .actual_access:  write_only
        .address_space:  global
        .offset:         96
        .size:           8
        .value_kind:     global_buffer
      - .actual_access:  write_only
        .address_space:  global
        .offset:         104
        .size:           8
        .value_kind:     global_buffer
      - .actual_access:  read_only
        .address_space:  global
        .offset:         112
        .size:           8
        .value_kind:     global_buffer
      - .offset:         120
        .size:           4
        .value_kind:     by_value
      - .address_space:  global
        .offset:         128
        .size:           8
        .value_kind:     global_buffer
      - .address_space:  global
        .offset:         136
        .size:           8
        .value_kind:     global_buffer
      - .offset:         144
        .size:           4
        .value_kind:     hidden_block_count_x
      - .offset:         148
        .size:           4
        .value_kind:     hidden_block_count_y
      - .offset:         152
        .size:           4
        .value_kind:     hidden_block_count_z
      - .offset:         156
        .size:           2
        .value_kind:     hidden_group_size_x
      - .offset:         158
        .size:           2
        .value_kind:     hidden_group_size_y
      - .offset:         160
        .size:           2
        .value_kind:     hidden_group_size_z
      - .offset:         162
        .size:           2
        .value_kind:     hidden_remainder_x
      - .offset:         164
        .size:           2
        .value_kind:     hidden_remainder_y
      - .offset:         166
        .size:           2
        .value_kind:     hidden_remainder_z
      - .offset:         184
        .size:           8
        .value_kind:     hidden_global_offset_x
      - .offset:         192
        .size:           8
        .value_kind:     hidden_global_offset_y
      - .offset:         200
        .size:           8
        .value_kind:     hidden_global_offset_z
      - .offset:         208
        .size:           2
        .value_kind:     hidden_grid_dims
    .group_segment_fixed_size: 17472
    .kernarg_segment_align: 8
    .kernarg_segment_size: 400
    .language:       OpenCL C
    .language_version:
      - 2
      - 0
    .max_flat_workgroup_size: 256
    .name:           _Z39paged_attention_ll4mi_QKV_mfma16_kernelI14__hip_bfloat16hLN4vllm18Fp8KVCacheDataTypeE1ES0_Li32ELi64ELi256ELb1ELi16EL8MFMAType0EEvPKT_PKT0_S9_ifPKiSB_SB_iPKfiiiPfSE_PS4_PT2_iSD_SD_
    .private_segment_fixed_size: 0
    .sgpr_count:     42
    .sgpr_spill_count: 0
    .symbol:         _Z39paged_attention_ll4mi_QKV_mfma16_kernelI14__hip_bfloat16hLN4vllm18Fp8KVCacheDataTypeE1ES0_Li32ELi64ELi256ELb1ELi16EL8MFMAType0EEvPKT_PKT0_S9_ifPKiSB_SB_iPKfiiiPfSE_PS4_PT2_iSD_SD_.kd
    .uniform_work_group_size: 1
    .uses_dynamic_stack: false
    .vgpr_count:     125
    .vgpr_spill_count: 0
    .wavefront_size: 32
    .workgroup_processor_mode: 1
  - .args:
      - .actual_access:  read_only
        .address_space:  global
        .offset:         0
        .size:           8
        .value_kind:     global_buffer
      - .actual_access:  read_only
        .address_space:  global
        .offset:         8
        .size:           8
        .value_kind:     global_buffer
      - .actual_access:  read_only
        .address_space:  global
        .offset:         16
        .size:           8
        .value_kind:     global_buffer
      - .offset:         24
        .size:           4
        .value_kind:     by_value
      - .offset:         28
        .size:           4
        .value_kind:     by_value
      - .actual_access:  read_only
        .address_space:  global
        .offset:         32
        .size:           8
        .value_kind:     global_buffer
      - .actual_access:  read_only
        .address_space:  global
        .offset:         40
        .size:           8
        .value_kind:     global_buffer
      - .actual_access:  read_only
        .address_space:  global
        .offset:         48
        .size:           8
        .value_kind:     global_buffer
      - .offset:         56
        .size:           4
        .value_kind:     by_value
      - .actual_access:  read_only
        .address_space:  global
        .offset:         64
        .size:           8
        .value_kind:     global_buffer
      - .offset:         72
        .size:           4
        .value_kind:     by_value
      - .offset:         76
        .size:           4
        .value_kind:     by_value
      - .offset:         80
        .size:           4
        .value_kind:     by_value
      - .actual_access:  write_only
        .address_space:  global
        .offset:         88
        .size:           8
        .value_kind:     global_buffer
      - .actual_access:  write_only
        .address_space:  global
        .offset:         96
        .size:           8
        .value_kind:     global_buffer
      - .actual_access:  write_only
        .address_space:  global
        .offset:         104
        .size:           8
        .value_kind:     global_buffer
      - .actual_access:  read_only
        .address_space:  global
        .offset:         112
        .size:           8
        .value_kind:     global_buffer
      - .offset:         120
        .size:           4
        .value_kind:     by_value
      - .address_space:  global
        .offset:         128
        .size:           8
        .value_kind:     global_buffer
      - .address_space:  global
        .offset:         136
        .size:           8
        .value_kind:     global_buffer
      - .offset:         144
        .size:           4
        .value_kind:     hidden_block_count_x
      - .offset:         148
        .size:           4
        .value_kind:     hidden_block_count_y
      - .offset:         152
        .size:           4
        .value_kind:     hidden_block_count_z
      - .offset:         156
        .size:           2
        .value_kind:     hidden_group_size_x
      - .offset:         158
        .size:           2
        .value_kind:     hidden_group_size_y
      - .offset:         160
        .size:           2
        .value_kind:     hidden_group_size_z
      - .offset:         162
        .size:           2
        .value_kind:     hidden_remainder_x
      - .offset:         164
        .size:           2
        .value_kind:     hidden_remainder_y
      - .offset:         166
        .size:           2
        .value_kind:     hidden_remainder_z
      - .offset:         184
        .size:           8
        .value_kind:     hidden_global_offset_x
      - .offset:         192
        .size:           8
        .value_kind:     hidden_global_offset_y
      - .offset:         200
        .size:           8
        .value_kind:     hidden_global_offset_z
      - .offset:         208
        .size:           2
        .value_kind:     hidden_grid_dims
    .group_segment_fixed_size: 17472
    .kernarg_segment_align: 8
    .kernarg_segment_size: 400
    .language:       OpenCL C
    .language_version:
      - 2
      - 0
    .max_flat_workgroup_size: 256
    .name:           _Z39paged_attention_ll4mi_QKV_mfma16_kernelI14__hip_bfloat16hLN4vllm18Fp8KVCacheDataTypeE1ES0_Li32ELi64ELi256ELb1ELi1EL8MFMAType0EEvPKT_PKT0_S9_ifPKiSB_SB_iPKfiiiPfSE_PS4_PT2_iSD_SD_
    .private_segment_fixed_size: 0
    .sgpr_count:     52
    .sgpr_spill_count: 0
    .symbol:         _Z39paged_attention_ll4mi_QKV_mfma16_kernelI14__hip_bfloat16hLN4vllm18Fp8KVCacheDataTypeE1ES0_Li32ELi64ELi256ELb1ELi1EL8MFMAType0EEvPKT_PKT0_S9_ifPKiSB_SB_iPKfiiiPfSE_PS4_PT2_iSD_SD_.kd
    .uniform_work_group_size: 1
    .uses_dynamic_stack: false
    .vgpr_count:     131
    .vgpr_spill_count: 0
    .wavefront_size: 32
    .workgroup_processor_mode: 1
  - .args:
      - .actual_access:  read_only
        .address_space:  global
        .offset:         0
        .size:           8
        .value_kind:     global_buffer
      - .actual_access:  read_only
        .address_space:  global
        .offset:         8
        .size:           8
        .value_kind:     global_buffer
      - .actual_access:  read_only
        .address_space:  global
        .offset:         16
        .size:           8
        .value_kind:     global_buffer
      - .offset:         24
        .size:           4
        .value_kind:     by_value
      - .offset:         28
        .size:           4
        .value_kind:     by_value
      - .actual_access:  read_only
        .address_space:  global
        .offset:         32
        .size:           8
        .value_kind:     global_buffer
      - .actual_access:  read_only
        .address_space:  global
        .offset:         40
        .size:           8
        .value_kind:     global_buffer
      - .actual_access:  read_only
        .address_space:  global
        .offset:         48
        .size:           8
        .value_kind:     global_buffer
      - .offset:         56
        .size:           4
        .value_kind:     by_value
      - .actual_access:  read_only
        .address_space:  global
        .offset:         64
        .size:           8
        .value_kind:     global_buffer
      - .offset:         72
        .size:           4
        .value_kind:     by_value
      - .offset:         76
        .size:           4
        .value_kind:     by_value
      - .offset:         80
        .size:           4
        .value_kind:     by_value
      - .actual_access:  write_only
        .address_space:  global
        .offset:         88
        .size:           8
        .value_kind:     global_buffer
      - .actual_access:  write_only
        .address_space:  global
        .offset:         96
        .size:           8
        .value_kind:     global_buffer
      - .actual_access:  write_only
        .address_space:  global
        .offset:         104
        .size:           8
        .value_kind:     global_buffer
      - .actual_access:  read_only
        .address_space:  global
        .offset:         112
        .size:           8
        .value_kind:     global_buffer
      - .offset:         120
        .size:           4
        .value_kind:     by_value
      - .address_space:  global
        .offset:         128
        .size:           8
        .value_kind:     global_buffer
      - .address_space:  global
        .offset:         136
        .size:           8
        .value_kind:     global_buffer
      - .offset:         144
        .size:           4
        .value_kind:     hidden_block_count_x
      - .offset:         148
        .size:           4
        .value_kind:     hidden_block_count_y
      - .offset:         152
        .size:           4
        .value_kind:     hidden_block_count_z
      - .offset:         156
        .size:           2
        .value_kind:     hidden_group_size_x
      - .offset:         158
        .size:           2
        .value_kind:     hidden_group_size_y
      - .offset:         160
        .size:           2
        .value_kind:     hidden_group_size_z
      - .offset:         162
        .size:           2
        .value_kind:     hidden_remainder_x
      - .offset:         164
        .size:           2
        .value_kind:     hidden_remainder_y
      - .offset:         166
        .size:           2
        .value_kind:     hidden_remainder_z
      - .offset:         184
        .size:           8
        .value_kind:     hidden_global_offset_x
      - .offset:         192
        .size:           8
        .value_kind:     hidden_global_offset_y
      - .offset:         200
        .size:           8
        .value_kind:     hidden_global_offset_z
      - .offset:         208
        .size:           2
        .value_kind:     hidden_grid_dims
    .group_segment_fixed_size: 17472
    .kernarg_segment_align: 8
    .kernarg_segment_size: 400
    .language:       OpenCL C
    .language_version:
      - 2
      - 0
    .max_flat_workgroup_size: 256
    .name:           _Z39paged_attention_ll4mi_QKV_mfma16_kernelI14__hip_bfloat16hLN4vllm18Fp8KVCacheDataTypeE1ES0_Li32ELi64ELi256ELb1ELi2EL8MFMAType0EEvPKT_PKT0_S9_ifPKiSB_SB_iPKfiiiPfSE_PS4_PT2_iSD_SD_
    .private_segment_fixed_size: 0
    .sgpr_count:     42
    .sgpr_spill_count: 0
    .symbol:         _Z39paged_attention_ll4mi_QKV_mfma16_kernelI14__hip_bfloat16hLN4vllm18Fp8KVCacheDataTypeE1ES0_Li32ELi64ELi256ELb1ELi2EL8MFMAType0EEvPKT_PKT0_S9_ifPKiSB_SB_iPKfiiiPfSE_PS4_PT2_iSD_SD_.kd
    .uniform_work_group_size: 1
    .uses_dynamic_stack: false
    .vgpr_count:     125
    .vgpr_spill_count: 0
    .wavefront_size: 32
    .workgroup_processor_mode: 1
  - .args:
      - .actual_access:  read_only
        .address_space:  global
        .offset:         0
        .size:           8
        .value_kind:     global_buffer
      - .actual_access:  read_only
        .address_space:  global
        .offset:         8
        .size:           8
        .value_kind:     global_buffer
      - .actual_access:  read_only
        .address_space:  global
        .offset:         16
        .size:           8
        .value_kind:     global_buffer
      - .offset:         24
        .size:           4
        .value_kind:     by_value
      - .offset:         28
        .size:           4
        .value_kind:     by_value
      - .actual_access:  read_only
        .address_space:  global
        .offset:         32
        .size:           8
        .value_kind:     global_buffer
      - .actual_access:  read_only
        .address_space:  global
        .offset:         40
        .size:           8
        .value_kind:     global_buffer
      - .actual_access:  read_only
        .address_space:  global
        .offset:         48
        .size:           8
        .value_kind:     global_buffer
      - .offset:         56
        .size:           4
        .value_kind:     by_value
      - .actual_access:  read_only
        .address_space:  global
        .offset:         64
        .size:           8
        .value_kind:     global_buffer
      - .offset:         72
        .size:           4
        .value_kind:     by_value
      - .offset:         76
        .size:           4
        .value_kind:     by_value
      - .offset:         80
        .size:           4
        .value_kind:     by_value
      - .actual_access:  write_only
        .address_space:  global
        .offset:         88
        .size:           8
        .value_kind:     global_buffer
      - .actual_access:  write_only
        .address_space:  global
        .offset:         96
        .size:           8
        .value_kind:     global_buffer
      - .actual_access:  write_only
        .address_space:  global
        .offset:         104
        .size:           8
        .value_kind:     global_buffer
      - .actual_access:  read_only
        .address_space:  global
        .offset:         112
        .size:           8
        .value_kind:     global_buffer
      - .offset:         120
        .size:           4
        .value_kind:     by_value
      - .address_space:  global
        .offset:         128
        .size:           8
        .value_kind:     global_buffer
      - .address_space:  global
        .offset:         136
        .size:           8
        .value_kind:     global_buffer
      - .offset:         144
        .size:           4
        .value_kind:     hidden_block_count_x
      - .offset:         148
        .size:           4
        .value_kind:     hidden_block_count_y
      - .offset:         152
        .size:           4
        .value_kind:     hidden_block_count_z
      - .offset:         156
        .size:           2
        .value_kind:     hidden_group_size_x
      - .offset:         158
        .size:           2
        .value_kind:     hidden_group_size_y
      - .offset:         160
        .size:           2
        .value_kind:     hidden_group_size_z
      - .offset:         162
        .size:           2
        .value_kind:     hidden_remainder_x
      - .offset:         164
        .size:           2
        .value_kind:     hidden_remainder_y
      - .offset:         166
        .size:           2
        .value_kind:     hidden_remainder_z
      - .offset:         184
        .size:           8
        .value_kind:     hidden_global_offset_x
      - .offset:         192
        .size:           8
        .value_kind:     hidden_global_offset_y
      - .offset:         200
        .size:           8
        .value_kind:     hidden_global_offset_z
      - .offset:         208
        .size:           2
        .value_kind:     hidden_grid_dims
    .group_segment_fixed_size: 17472
    .kernarg_segment_align: 8
    .kernarg_segment_size: 400
    .language:       OpenCL C
    .language_version:
      - 2
      - 0
    .max_flat_workgroup_size: 256
    .name:           _Z39paged_attention_ll4mi_QKV_mfma16_kernelI14__hip_bfloat16hLN4vllm18Fp8KVCacheDataTypeE1ES0_Li32ELi64ELi256ELb1ELi3EL8MFMAType0EEvPKT_PKT0_S9_ifPKiSB_SB_iPKfiiiPfSE_PS4_PT2_iSD_SD_
    .private_segment_fixed_size: 0
    .sgpr_count:     44
    .sgpr_spill_count: 0
    .symbol:         _Z39paged_attention_ll4mi_QKV_mfma16_kernelI14__hip_bfloat16hLN4vllm18Fp8KVCacheDataTypeE1ES0_Li32ELi64ELi256ELb1ELi3EL8MFMAType0EEvPKT_PKT0_S9_ifPKiSB_SB_iPKfiiiPfSE_PS4_PT2_iSD_SD_.kd
    .uniform_work_group_size: 1
    .uses_dynamic_stack: false
    .vgpr_count:     124
    .vgpr_spill_count: 0
    .wavefront_size: 32
    .workgroup_processor_mode: 1
  - .args:
      - .actual_access:  read_only
        .address_space:  global
        .offset:         0
        .size:           8
        .value_kind:     global_buffer
      - .actual_access:  read_only
        .address_space:  global
        .offset:         8
        .size:           8
        .value_kind:     global_buffer
      - .actual_access:  read_only
        .address_space:  global
        .offset:         16
        .size:           8
        .value_kind:     global_buffer
      - .offset:         24
        .size:           4
        .value_kind:     by_value
      - .offset:         28
        .size:           4
        .value_kind:     by_value
      - .actual_access:  read_only
        .address_space:  global
        .offset:         32
        .size:           8
        .value_kind:     global_buffer
      - .actual_access:  read_only
        .address_space:  global
        .offset:         40
        .size:           8
        .value_kind:     global_buffer
      - .actual_access:  read_only
        .address_space:  global
        .offset:         48
        .size:           8
        .value_kind:     global_buffer
      - .offset:         56
        .size:           4
        .value_kind:     by_value
      - .actual_access:  read_only
        .address_space:  global
        .offset:         64
        .size:           8
        .value_kind:     global_buffer
      - .offset:         72
        .size:           4
        .value_kind:     by_value
      - .offset:         76
        .size:           4
        .value_kind:     by_value
      - .offset:         80
        .size:           4
        .value_kind:     by_value
      - .actual_access:  write_only
        .address_space:  global
        .offset:         88
        .size:           8
        .value_kind:     global_buffer
      - .actual_access:  write_only
        .address_space:  global
        .offset:         96
        .size:           8
        .value_kind:     global_buffer
      - .actual_access:  write_only
        .address_space:  global
        .offset:         104
        .size:           8
        .value_kind:     global_buffer
      - .actual_access:  read_only
        .address_space:  global
        .offset:         112
        .size:           8
        .value_kind:     global_buffer
      - .offset:         120
        .size:           4
        .value_kind:     by_value
      - .address_space:  global
        .offset:         128
        .size:           8
        .value_kind:     global_buffer
      - .address_space:  global
        .offset:         136
        .size:           8
        .value_kind:     global_buffer
      - .offset:         144
        .size:           4
        .value_kind:     hidden_block_count_x
      - .offset:         148
        .size:           4
        .value_kind:     hidden_block_count_y
      - .offset:         152
        .size:           4
        .value_kind:     hidden_block_count_z
      - .offset:         156
        .size:           2
        .value_kind:     hidden_group_size_x
      - .offset:         158
        .size:           2
        .value_kind:     hidden_group_size_y
      - .offset:         160
        .size:           2
        .value_kind:     hidden_group_size_z
      - .offset:         162
        .size:           2
        .value_kind:     hidden_remainder_x
      - .offset:         164
        .size:           2
        .value_kind:     hidden_remainder_y
      - .offset:         166
        .size:           2
        .value_kind:     hidden_remainder_z
      - .offset:         184
        .size:           8
        .value_kind:     hidden_global_offset_x
      - .offset:         192
        .size:           8
        .value_kind:     hidden_global_offset_y
      - .offset:         200
        .size:           8
        .value_kind:     hidden_global_offset_z
      - .offset:         208
        .size:           2
        .value_kind:     hidden_grid_dims
    .group_segment_fixed_size: 17472
    .kernarg_segment_align: 8
    .kernarg_segment_size: 400
    .language:       OpenCL C
    .language_version:
      - 2
      - 0
    .max_flat_workgroup_size: 256
    .name:           _Z39paged_attention_ll4mi_QKV_mfma16_kernelI14__hip_bfloat16hLN4vllm18Fp8KVCacheDataTypeE1ES0_Li32ELi64ELi256ELb1ELi4EL8MFMAType0EEvPKT_PKT0_S9_ifPKiSB_SB_iPKfiiiPfSE_PS4_PT2_iSD_SD_
    .private_segment_fixed_size: 0
    .sgpr_count:     42
    .sgpr_spill_count: 0
    .symbol:         _Z39paged_attention_ll4mi_QKV_mfma16_kernelI14__hip_bfloat16hLN4vllm18Fp8KVCacheDataTypeE1ES0_Li32ELi64ELi256ELb1ELi4EL8MFMAType0EEvPKT_PKT0_S9_ifPKiSB_SB_iPKfiiiPfSE_PS4_PT2_iSD_SD_.kd
    .uniform_work_group_size: 1
    .uses_dynamic_stack: false
    .vgpr_count:     124
    .vgpr_spill_count: 0
    .wavefront_size: 32
    .workgroup_processor_mode: 1
  - .args:
      - .actual_access:  read_only
        .address_space:  global
        .offset:         0
        .size:           8
        .value_kind:     global_buffer
      - .actual_access:  read_only
        .address_space:  global
        .offset:         8
        .size:           8
        .value_kind:     global_buffer
      - .actual_access:  read_only
        .address_space:  global
        .offset:         16
        .size:           8
        .value_kind:     global_buffer
      - .offset:         24
        .size:           4
        .value_kind:     by_value
      - .offset:         28
        .size:           4
        .value_kind:     by_value
      - .actual_access:  read_only
        .address_space:  global
        .offset:         32
        .size:           8
        .value_kind:     global_buffer
      - .actual_access:  read_only
        .address_space:  global
        .offset:         40
        .size:           8
        .value_kind:     global_buffer
      - .actual_access:  read_only
        .address_space:  global
        .offset:         48
        .size:           8
        .value_kind:     global_buffer
      - .offset:         56
        .size:           4
        .value_kind:     by_value
      - .actual_access:  read_only
        .address_space:  global
        .offset:         64
        .size:           8
        .value_kind:     global_buffer
      - .offset:         72
        .size:           4
        .value_kind:     by_value
      - .offset:         76
        .size:           4
        .value_kind:     by_value
      - .offset:         80
        .size:           4
        .value_kind:     by_value
      - .actual_access:  write_only
        .address_space:  global
        .offset:         88
        .size:           8
        .value_kind:     global_buffer
      - .actual_access:  write_only
        .address_space:  global
        .offset:         96
        .size:           8
        .value_kind:     global_buffer
      - .actual_access:  write_only
        .address_space:  global
        .offset:         104
        .size:           8
        .value_kind:     global_buffer
      - .actual_access:  read_only
        .address_space:  global
        .offset:         112
        .size:           8
        .value_kind:     global_buffer
      - .offset:         120
        .size:           4
        .value_kind:     by_value
      - .address_space:  global
        .offset:         128
        .size:           8
        .value_kind:     global_buffer
      - .address_space:  global
        .offset:         136
        .size:           8
        .value_kind:     global_buffer
      - .offset:         144
        .size:           4
        .value_kind:     hidden_block_count_x
      - .offset:         148
        .size:           4
        .value_kind:     hidden_block_count_y
      - .offset:         152
        .size:           4
        .value_kind:     hidden_block_count_z
      - .offset:         156
        .size:           2
        .value_kind:     hidden_group_size_x
      - .offset:         158
        .size:           2
        .value_kind:     hidden_group_size_y
      - .offset:         160
        .size:           2
        .value_kind:     hidden_group_size_z
      - .offset:         162
        .size:           2
        .value_kind:     hidden_remainder_x
      - .offset:         164
        .size:           2
        .value_kind:     hidden_remainder_y
      - .offset:         166
        .size:           2
        .value_kind:     hidden_remainder_z
      - .offset:         184
        .size:           8
        .value_kind:     hidden_global_offset_x
      - .offset:         192
        .size:           8
        .value_kind:     hidden_global_offset_y
      - .offset:         200
        .size:           8
        .value_kind:     hidden_global_offset_z
      - .offset:         208
        .size:           2
        .value_kind:     hidden_grid_dims
    .group_segment_fixed_size: 17472
    .kernarg_segment_align: 8
    .kernarg_segment_size: 400
    .language:       OpenCL C
    .language_version:
      - 2
      - 0
    .max_flat_workgroup_size: 256
    .name:           _Z39paged_attention_ll4mi_QKV_mfma16_kernelI14__hip_bfloat16hLN4vllm18Fp8KVCacheDataTypeE1ES0_Li32ELi64ELi256ELb0ELi5EL8MFMAType0EEvPKT_PKT0_S9_ifPKiSB_SB_iPKfiiiPfSE_PS4_PT2_iSD_SD_
    .private_segment_fixed_size: 0
    .sgpr_count:     44
    .sgpr_spill_count: 0
    .symbol:         _Z39paged_attention_ll4mi_QKV_mfma16_kernelI14__hip_bfloat16hLN4vllm18Fp8KVCacheDataTypeE1ES0_Li32ELi64ELi256ELb0ELi5EL8MFMAType0EEvPKT_PKT0_S9_ifPKiSB_SB_iPKfiiiPfSE_PS4_PT2_iSD_SD_.kd
    .uniform_work_group_size: 1
    .uses_dynamic_stack: false
    .vgpr_count:     124
    .vgpr_spill_count: 0
    .wavefront_size: 32
    .workgroup_processor_mode: 1
  - .args:
      - .actual_access:  read_only
        .address_space:  global
        .offset:         0
        .size:           8
        .value_kind:     global_buffer
      - .actual_access:  read_only
        .address_space:  global
        .offset:         8
        .size:           8
        .value_kind:     global_buffer
      - .actual_access:  read_only
        .address_space:  global
        .offset:         16
        .size:           8
        .value_kind:     global_buffer
      - .offset:         24
        .size:           4
        .value_kind:     by_value
      - .offset:         28
        .size:           4
        .value_kind:     by_value
      - .actual_access:  read_only
        .address_space:  global
        .offset:         32
        .size:           8
        .value_kind:     global_buffer
      - .actual_access:  read_only
        .address_space:  global
        .offset:         40
        .size:           8
        .value_kind:     global_buffer
      - .actual_access:  read_only
        .address_space:  global
        .offset:         48
        .size:           8
        .value_kind:     global_buffer
      - .offset:         56
        .size:           4
        .value_kind:     by_value
      - .actual_access:  read_only
        .address_space:  global
        .offset:         64
        .size:           8
        .value_kind:     global_buffer
      - .offset:         72
        .size:           4
        .value_kind:     by_value
      - .offset:         76
        .size:           4
        .value_kind:     by_value
      - .offset:         80
        .size:           4
        .value_kind:     by_value
      - .actual_access:  write_only
        .address_space:  global
        .offset:         88
        .size:           8
        .value_kind:     global_buffer
      - .actual_access:  write_only
        .address_space:  global
        .offset:         96
        .size:           8
        .value_kind:     global_buffer
      - .actual_access:  write_only
        .address_space:  global
        .offset:         104
        .size:           8
        .value_kind:     global_buffer
      - .actual_access:  read_only
        .address_space:  global
        .offset:         112
        .size:           8
        .value_kind:     global_buffer
      - .offset:         120
        .size:           4
        .value_kind:     by_value
      - .address_space:  global
        .offset:         128
        .size:           8
        .value_kind:     global_buffer
      - .address_space:  global
        .offset:         136
        .size:           8
        .value_kind:     global_buffer
      - .offset:         144
        .size:           4
        .value_kind:     hidden_block_count_x
      - .offset:         148
        .size:           4
        .value_kind:     hidden_block_count_y
      - .offset:         152
        .size:           4
        .value_kind:     hidden_block_count_z
      - .offset:         156
        .size:           2
        .value_kind:     hidden_group_size_x
      - .offset:         158
        .size:           2
        .value_kind:     hidden_group_size_y
      - .offset:         160
        .size:           2
        .value_kind:     hidden_group_size_z
      - .offset:         162
        .size:           2
        .value_kind:     hidden_remainder_x
      - .offset:         164
        .size:           2
        .value_kind:     hidden_remainder_y
      - .offset:         166
        .size:           2
        .value_kind:     hidden_remainder_z
      - .offset:         184
        .size:           8
        .value_kind:     hidden_global_offset_x
      - .offset:         192
        .size:           8
        .value_kind:     hidden_global_offset_y
      - .offset:         200
        .size:           8
        .value_kind:     hidden_global_offset_z
      - .offset:         208
        .size:           2
        .value_kind:     hidden_grid_dims
    .group_segment_fixed_size: 17472
    .kernarg_segment_align: 8
    .kernarg_segment_size: 400
    .language:       OpenCL C
    .language_version:
      - 2
      - 0
    .max_flat_workgroup_size: 256
    .name:           _Z39paged_attention_ll4mi_QKV_mfma16_kernelI14__hip_bfloat16hLN4vllm18Fp8KVCacheDataTypeE1ES0_Li32ELi64ELi256ELb0ELi6EL8MFMAType0EEvPKT_PKT0_S9_ifPKiSB_SB_iPKfiiiPfSE_PS4_PT2_iSD_SD_
    .private_segment_fixed_size: 0
    .sgpr_count:     42
    .sgpr_spill_count: 0
    .symbol:         _Z39paged_attention_ll4mi_QKV_mfma16_kernelI14__hip_bfloat16hLN4vllm18Fp8KVCacheDataTypeE1ES0_Li32ELi64ELi256ELb0ELi6EL8MFMAType0EEvPKT_PKT0_S9_ifPKiSB_SB_iPKfiiiPfSE_PS4_PT2_iSD_SD_.kd
    .uniform_work_group_size: 1
    .uses_dynamic_stack: false
    .vgpr_count:     124
    .vgpr_spill_count: 0
    .wavefront_size: 32
    .workgroup_processor_mode: 1
  - .args:
      - .actual_access:  read_only
        .address_space:  global
        .offset:         0
        .size:           8
        .value_kind:     global_buffer
      - .actual_access:  read_only
        .address_space:  global
        .offset:         8
        .size:           8
        .value_kind:     global_buffer
      - .actual_access:  read_only
        .address_space:  global
        .offset:         16
        .size:           8
        .value_kind:     global_buffer
      - .offset:         24
        .size:           4
        .value_kind:     by_value
      - .offset:         28
        .size:           4
        .value_kind:     by_value
      - .actual_access:  read_only
        .address_space:  global
        .offset:         32
        .size:           8
        .value_kind:     global_buffer
      - .actual_access:  read_only
        .address_space:  global
        .offset:         40
        .size:           8
        .value_kind:     global_buffer
      - .actual_access:  read_only
        .address_space:  global
        .offset:         48
        .size:           8
        .value_kind:     global_buffer
      - .offset:         56
        .size:           4
        .value_kind:     by_value
      - .actual_access:  read_only
        .address_space:  global
        .offset:         64
        .size:           8
        .value_kind:     global_buffer
      - .offset:         72
        .size:           4
        .value_kind:     by_value
      - .offset:         76
        .size:           4
        .value_kind:     by_value
      - .offset:         80
        .size:           4
        .value_kind:     by_value
      - .actual_access:  write_only
        .address_space:  global
        .offset:         88
        .size:           8
        .value_kind:     global_buffer
      - .actual_access:  write_only
        .address_space:  global
        .offset:         96
        .size:           8
        .value_kind:     global_buffer
      - .actual_access:  write_only
        .address_space:  global
        .offset:         104
        .size:           8
        .value_kind:     global_buffer
      - .actual_access:  read_only
        .address_space:  global
        .offset:         112
        .size:           8
        .value_kind:     global_buffer
      - .offset:         120
        .size:           4
        .value_kind:     by_value
      - .address_space:  global
        .offset:         128
        .size:           8
        .value_kind:     global_buffer
      - .address_space:  global
        .offset:         136
        .size:           8
        .value_kind:     global_buffer
      - .offset:         144
        .size:           4
        .value_kind:     hidden_block_count_x
      - .offset:         148
        .size:           4
        .value_kind:     hidden_block_count_y
      - .offset:         152
        .size:           4
        .value_kind:     hidden_block_count_z
      - .offset:         156
        .size:           2
        .value_kind:     hidden_group_size_x
      - .offset:         158
        .size:           2
        .value_kind:     hidden_group_size_y
      - .offset:         160
        .size:           2
        .value_kind:     hidden_group_size_z
      - .offset:         162
        .size:           2
        .value_kind:     hidden_remainder_x
      - .offset:         164
        .size:           2
        .value_kind:     hidden_remainder_y
      - .offset:         166
        .size:           2
        .value_kind:     hidden_remainder_z
      - .offset:         184
        .size:           8
        .value_kind:     hidden_global_offset_x
      - .offset:         192
        .size:           8
        .value_kind:     hidden_global_offset_y
      - .offset:         200
        .size:           8
        .value_kind:     hidden_global_offset_z
      - .offset:         208
        .size:           2
        .value_kind:     hidden_grid_dims
    .group_segment_fixed_size: 17472
    .kernarg_segment_align: 8
    .kernarg_segment_size: 400
    .language:       OpenCL C
    .language_version:
      - 2
      - 0
    .max_flat_workgroup_size: 256
    .name:           _Z39paged_attention_ll4mi_QKV_mfma16_kernelI14__hip_bfloat16hLN4vllm18Fp8KVCacheDataTypeE1ES0_Li32ELi64ELi256ELb0ELi7EL8MFMAType0EEvPKT_PKT0_S9_ifPKiSB_SB_iPKfiiiPfSE_PS4_PT2_iSD_SD_
    .private_segment_fixed_size: 0
    .sgpr_count:     44
    .sgpr_spill_count: 0
    .symbol:         _Z39paged_attention_ll4mi_QKV_mfma16_kernelI14__hip_bfloat16hLN4vllm18Fp8KVCacheDataTypeE1ES0_Li32ELi64ELi256ELb0ELi7EL8MFMAType0EEvPKT_PKT0_S9_ifPKiSB_SB_iPKfiiiPfSE_PS4_PT2_iSD_SD_.kd
    .uniform_work_group_size: 1
    .uses_dynamic_stack: false
    .vgpr_count:     124
    .vgpr_spill_count: 0
    .wavefront_size: 32
    .workgroup_processor_mode: 1
  - .args:
      - .actual_access:  read_only
        .address_space:  global
        .offset:         0
        .size:           8
        .value_kind:     global_buffer
      - .actual_access:  read_only
        .address_space:  global
        .offset:         8
        .size:           8
        .value_kind:     global_buffer
      - .actual_access:  read_only
        .address_space:  global
        .offset:         16
        .size:           8
        .value_kind:     global_buffer
      - .offset:         24
        .size:           4
        .value_kind:     by_value
      - .offset:         28
        .size:           4
        .value_kind:     by_value
      - .actual_access:  read_only
        .address_space:  global
        .offset:         32
        .size:           8
        .value_kind:     global_buffer
      - .actual_access:  read_only
        .address_space:  global
        .offset:         40
        .size:           8
        .value_kind:     global_buffer
      - .actual_access:  read_only
        .address_space:  global
        .offset:         48
        .size:           8
        .value_kind:     global_buffer
      - .offset:         56
        .size:           4
        .value_kind:     by_value
      - .actual_access:  read_only
        .address_space:  global
        .offset:         64
        .size:           8
        .value_kind:     global_buffer
      - .offset:         72
        .size:           4
        .value_kind:     by_value
      - .offset:         76
        .size:           4
        .value_kind:     by_value
      - .offset:         80
        .size:           4
        .value_kind:     by_value
      - .actual_access:  write_only
        .address_space:  global
        .offset:         88
        .size:           8
        .value_kind:     global_buffer
      - .actual_access:  write_only
        .address_space:  global
        .offset:         96
        .size:           8
        .value_kind:     global_buffer
      - .actual_access:  write_only
        .address_space:  global
        .offset:         104
        .size:           8
        .value_kind:     global_buffer
      - .actual_access:  read_only
        .address_space:  global
        .offset:         112
        .size:           8
        .value_kind:     global_buffer
      - .offset:         120
        .size:           4
        .value_kind:     by_value
      - .address_space:  global
        .offset:         128
        .size:           8
        .value_kind:     global_buffer
      - .address_space:  global
        .offset:         136
        .size:           8
        .value_kind:     global_buffer
      - .offset:         144
        .size:           4
        .value_kind:     hidden_block_count_x
      - .offset:         148
        .size:           4
        .value_kind:     hidden_block_count_y
      - .offset:         152
        .size:           4
        .value_kind:     hidden_block_count_z
      - .offset:         156
        .size:           2
        .value_kind:     hidden_group_size_x
      - .offset:         158
        .size:           2
        .value_kind:     hidden_group_size_y
      - .offset:         160
        .size:           2
        .value_kind:     hidden_group_size_z
      - .offset:         162
        .size:           2
        .value_kind:     hidden_remainder_x
      - .offset:         164
        .size:           2
        .value_kind:     hidden_remainder_y
      - .offset:         166
        .size:           2
        .value_kind:     hidden_remainder_z
      - .offset:         184
        .size:           8
        .value_kind:     hidden_global_offset_x
      - .offset:         192
        .size:           8
        .value_kind:     hidden_global_offset_y
      - .offset:         200
        .size:           8
        .value_kind:     hidden_global_offset_z
      - .offset:         208
        .size:           2
        .value_kind:     hidden_grid_dims
    .group_segment_fixed_size: 17472
    .kernarg_segment_align: 8
    .kernarg_segment_size: 400
    .language:       OpenCL C
    .language_version:
      - 2
      - 0
    .max_flat_workgroup_size: 256
    .name:           _Z39paged_attention_ll4mi_QKV_mfma16_kernelI14__hip_bfloat16hLN4vllm18Fp8KVCacheDataTypeE1ES0_Li32ELi64ELi256ELb0ELi8EL8MFMAType0EEvPKT_PKT0_S9_ifPKiSB_SB_iPKfiiiPfSE_PS4_PT2_iSD_SD_
    .private_segment_fixed_size: 0
    .sgpr_count:     42
    .sgpr_spill_count: 0
    .symbol:         _Z39paged_attention_ll4mi_QKV_mfma16_kernelI14__hip_bfloat16hLN4vllm18Fp8KVCacheDataTypeE1ES0_Li32ELi64ELi256ELb0ELi8EL8MFMAType0EEvPKT_PKT0_S9_ifPKiSB_SB_iPKfiiiPfSE_PS4_PT2_iSD_SD_.kd
    .uniform_work_group_size: 1
    .uses_dynamic_stack: false
    .vgpr_count:     124
    .vgpr_spill_count: 0
    .wavefront_size: 32
    .workgroup_processor_mode: 1
  - .args:
      - .actual_access:  read_only
        .address_space:  global
        .offset:         0
        .size:           8
        .value_kind:     global_buffer
      - .actual_access:  read_only
        .address_space:  global
        .offset:         8
        .size:           8
        .value_kind:     global_buffer
      - .actual_access:  read_only
        .address_space:  global
        .offset:         16
        .size:           8
        .value_kind:     global_buffer
      - .offset:         24
        .size:           4
        .value_kind:     by_value
      - .offset:         28
        .size:           4
        .value_kind:     by_value
      - .actual_access:  read_only
        .address_space:  global
        .offset:         32
        .size:           8
        .value_kind:     global_buffer
      - .actual_access:  read_only
        .address_space:  global
        .offset:         40
        .size:           8
        .value_kind:     global_buffer
      - .actual_access:  read_only
        .address_space:  global
        .offset:         48
        .size:           8
        .value_kind:     global_buffer
      - .offset:         56
        .size:           4
        .value_kind:     by_value
      - .actual_access:  read_only
        .address_space:  global
        .offset:         64
        .size:           8
        .value_kind:     global_buffer
      - .offset:         72
        .size:           4
        .value_kind:     by_value
      - .offset:         76
        .size:           4
        .value_kind:     by_value
      - .offset:         80
        .size:           4
        .value_kind:     by_value
      - .actual_access:  write_only
        .address_space:  global
        .offset:         88
        .size:           8
        .value_kind:     global_buffer
      - .actual_access:  write_only
        .address_space:  global
        .offset:         96
        .size:           8
        .value_kind:     global_buffer
      - .actual_access:  write_only
        .address_space:  global
        .offset:         104
        .size:           8
        .value_kind:     global_buffer
      - .actual_access:  read_only
        .address_space:  global
        .offset:         112
        .size:           8
        .value_kind:     global_buffer
      - .offset:         120
        .size:           4
        .value_kind:     by_value
      - .address_space:  global
        .offset:         128
        .size:           8
        .value_kind:     global_buffer
      - .address_space:  global
        .offset:         136
        .size:           8
        .value_kind:     global_buffer
      - .offset:         144
        .size:           4
        .value_kind:     hidden_block_count_x
      - .offset:         148
        .size:           4
        .value_kind:     hidden_block_count_y
      - .offset:         152
        .size:           4
        .value_kind:     hidden_block_count_z
      - .offset:         156
        .size:           2
        .value_kind:     hidden_group_size_x
      - .offset:         158
        .size:           2
        .value_kind:     hidden_group_size_y
      - .offset:         160
        .size:           2
        .value_kind:     hidden_group_size_z
      - .offset:         162
        .size:           2
        .value_kind:     hidden_remainder_x
      - .offset:         164
        .size:           2
        .value_kind:     hidden_remainder_y
      - .offset:         166
        .size:           2
        .value_kind:     hidden_remainder_z
      - .offset:         184
        .size:           8
        .value_kind:     hidden_global_offset_x
      - .offset:         192
        .size:           8
        .value_kind:     hidden_global_offset_y
      - .offset:         200
        .size:           8
        .value_kind:     hidden_global_offset_z
      - .offset:         208
        .size:           2
        .value_kind:     hidden_grid_dims
    .group_segment_fixed_size: 17472
    .kernarg_segment_align: 8
    .kernarg_segment_size: 400
    .language:       OpenCL C
    .language_version:
      - 2
      - 0
    .max_flat_workgroup_size: 256
    .name:           _Z39paged_attention_ll4mi_QKV_mfma16_kernelI14__hip_bfloat16hLN4vllm18Fp8KVCacheDataTypeE1ES0_Li32ELi64ELi256ELb0ELi9EL8MFMAType0EEvPKT_PKT0_S9_ifPKiSB_SB_iPKfiiiPfSE_PS4_PT2_iSD_SD_
    .private_segment_fixed_size: 0
    .sgpr_count:     44
    .sgpr_spill_count: 0
    .symbol:         _Z39paged_attention_ll4mi_QKV_mfma16_kernelI14__hip_bfloat16hLN4vllm18Fp8KVCacheDataTypeE1ES0_Li32ELi64ELi256ELb0ELi9EL8MFMAType0EEvPKT_PKT0_S9_ifPKiSB_SB_iPKfiiiPfSE_PS4_PT2_iSD_SD_.kd
    .uniform_work_group_size: 1
    .uses_dynamic_stack: false
    .vgpr_count:     124
    .vgpr_spill_count: 0
    .wavefront_size: 32
    .workgroup_processor_mode: 1
  - .args:
      - .actual_access:  read_only
        .address_space:  global
        .offset:         0
        .size:           8
        .value_kind:     global_buffer
      - .actual_access:  read_only
        .address_space:  global
        .offset:         8
        .size:           8
        .value_kind:     global_buffer
      - .actual_access:  read_only
        .address_space:  global
        .offset:         16
        .size:           8
        .value_kind:     global_buffer
      - .offset:         24
        .size:           4
        .value_kind:     by_value
      - .offset:         28
        .size:           4
        .value_kind:     by_value
      - .actual_access:  read_only
        .address_space:  global
        .offset:         32
        .size:           8
        .value_kind:     global_buffer
      - .actual_access:  read_only
        .address_space:  global
        .offset:         40
        .size:           8
        .value_kind:     global_buffer
      - .actual_access:  read_only
        .address_space:  global
        .offset:         48
        .size:           8
        .value_kind:     global_buffer
      - .offset:         56
        .size:           4
        .value_kind:     by_value
      - .actual_access:  read_only
        .address_space:  global
        .offset:         64
        .size:           8
        .value_kind:     global_buffer
      - .offset:         72
        .size:           4
        .value_kind:     by_value
      - .offset:         76
        .size:           4
        .value_kind:     by_value
      - .offset:         80
        .size:           4
        .value_kind:     by_value
      - .actual_access:  write_only
        .address_space:  global
        .offset:         88
        .size:           8
        .value_kind:     global_buffer
      - .actual_access:  write_only
        .address_space:  global
        .offset:         96
        .size:           8
        .value_kind:     global_buffer
      - .actual_access:  write_only
        .address_space:  global
        .offset:         104
        .size:           8
        .value_kind:     global_buffer
      - .actual_access:  read_only
        .address_space:  global
        .offset:         112
        .size:           8
        .value_kind:     global_buffer
      - .offset:         120
        .size:           4
        .value_kind:     by_value
      - .address_space:  global
        .offset:         128
        .size:           8
        .value_kind:     global_buffer
      - .address_space:  global
        .offset:         136
        .size:           8
        .value_kind:     global_buffer
      - .offset:         144
        .size:           4
        .value_kind:     hidden_block_count_x
      - .offset:         148
        .size:           4
        .value_kind:     hidden_block_count_y
      - .offset:         152
        .size:           4
        .value_kind:     hidden_block_count_z
      - .offset:         156
        .size:           2
        .value_kind:     hidden_group_size_x
      - .offset:         158
        .size:           2
        .value_kind:     hidden_group_size_y
      - .offset:         160
        .size:           2
        .value_kind:     hidden_group_size_z
      - .offset:         162
        .size:           2
        .value_kind:     hidden_remainder_x
      - .offset:         164
        .size:           2
        .value_kind:     hidden_remainder_y
      - .offset:         166
        .size:           2
        .value_kind:     hidden_remainder_z
      - .offset:         184
        .size:           8
        .value_kind:     hidden_global_offset_x
      - .offset:         192
        .size:           8
        .value_kind:     hidden_global_offset_y
      - .offset:         200
        .size:           8
        .value_kind:     hidden_global_offset_z
      - .offset:         208
        .size:           2
        .value_kind:     hidden_grid_dims
    .group_segment_fixed_size: 17472
    .kernarg_segment_align: 8
    .kernarg_segment_size: 400
    .language:       OpenCL C
    .language_version:
      - 2
      - 0
    .max_flat_workgroup_size: 256
    .name:           _Z39paged_attention_ll4mi_QKV_mfma16_kernelI14__hip_bfloat16hLN4vllm18Fp8KVCacheDataTypeE1ES0_Li32ELi64ELi256ELb0ELi10EL8MFMAType0EEvPKT_PKT0_S9_ifPKiSB_SB_iPKfiiiPfSE_PS4_PT2_iSD_SD_
    .private_segment_fixed_size: 0
    .sgpr_count:     42
    .sgpr_spill_count: 0
    .symbol:         _Z39paged_attention_ll4mi_QKV_mfma16_kernelI14__hip_bfloat16hLN4vllm18Fp8KVCacheDataTypeE1ES0_Li32ELi64ELi256ELb0ELi10EL8MFMAType0EEvPKT_PKT0_S9_ifPKiSB_SB_iPKfiiiPfSE_PS4_PT2_iSD_SD_.kd
    .uniform_work_group_size: 1
    .uses_dynamic_stack: false
    .vgpr_count:     124
    .vgpr_spill_count: 0
    .wavefront_size: 32
    .workgroup_processor_mode: 1
  - .args:
      - .actual_access:  read_only
        .address_space:  global
        .offset:         0
        .size:           8
        .value_kind:     global_buffer
      - .actual_access:  read_only
        .address_space:  global
        .offset:         8
        .size:           8
        .value_kind:     global_buffer
      - .actual_access:  read_only
        .address_space:  global
        .offset:         16
        .size:           8
        .value_kind:     global_buffer
      - .offset:         24
        .size:           4
        .value_kind:     by_value
      - .offset:         28
        .size:           4
        .value_kind:     by_value
      - .actual_access:  read_only
        .address_space:  global
        .offset:         32
        .size:           8
        .value_kind:     global_buffer
      - .actual_access:  read_only
        .address_space:  global
        .offset:         40
        .size:           8
        .value_kind:     global_buffer
      - .actual_access:  read_only
        .address_space:  global
        .offset:         48
        .size:           8
        .value_kind:     global_buffer
      - .offset:         56
        .size:           4
        .value_kind:     by_value
      - .actual_access:  read_only
        .address_space:  global
        .offset:         64
        .size:           8
        .value_kind:     global_buffer
      - .offset:         72
        .size:           4
        .value_kind:     by_value
      - .offset:         76
        .size:           4
        .value_kind:     by_value
      - .offset:         80
        .size:           4
        .value_kind:     by_value
      - .actual_access:  write_only
        .address_space:  global
        .offset:         88
        .size:           8
        .value_kind:     global_buffer
      - .actual_access:  write_only
        .address_space:  global
        .offset:         96
        .size:           8
        .value_kind:     global_buffer
      - .actual_access:  write_only
        .address_space:  global
        .offset:         104
        .size:           8
        .value_kind:     global_buffer
      - .actual_access:  read_only
        .address_space:  global
        .offset:         112
        .size:           8
        .value_kind:     global_buffer
      - .offset:         120
        .size:           4
        .value_kind:     by_value
      - .address_space:  global
        .offset:         128
        .size:           8
        .value_kind:     global_buffer
      - .address_space:  global
        .offset:         136
        .size:           8
        .value_kind:     global_buffer
      - .offset:         144
        .size:           4
        .value_kind:     hidden_block_count_x
      - .offset:         148
        .size:           4
        .value_kind:     hidden_block_count_y
      - .offset:         152
        .size:           4
        .value_kind:     hidden_block_count_z
      - .offset:         156
        .size:           2
        .value_kind:     hidden_group_size_x
      - .offset:         158
        .size:           2
        .value_kind:     hidden_group_size_y
      - .offset:         160
        .size:           2
        .value_kind:     hidden_group_size_z
      - .offset:         162
        .size:           2
        .value_kind:     hidden_remainder_x
      - .offset:         164
        .size:           2
        .value_kind:     hidden_remainder_y
      - .offset:         166
        .size:           2
        .value_kind:     hidden_remainder_z
      - .offset:         184
        .size:           8
        .value_kind:     hidden_global_offset_x
      - .offset:         192
        .size:           8
        .value_kind:     hidden_global_offset_y
      - .offset:         200
        .size:           8
        .value_kind:     hidden_global_offset_z
      - .offset:         208
        .size:           2
        .value_kind:     hidden_grid_dims
    .group_segment_fixed_size: 17472
    .kernarg_segment_align: 8
    .kernarg_segment_size: 400
    .language:       OpenCL C
    .language_version:
      - 2
      - 0
    .max_flat_workgroup_size: 256
    .name:           _Z39paged_attention_ll4mi_QKV_mfma16_kernelI14__hip_bfloat16hLN4vllm18Fp8KVCacheDataTypeE1ES0_Li32ELi64ELi256ELb0ELi11EL8MFMAType0EEvPKT_PKT0_S9_ifPKiSB_SB_iPKfiiiPfSE_PS4_PT2_iSD_SD_
    .private_segment_fixed_size: 0
    .sgpr_count:     44
    .sgpr_spill_count: 0
    .symbol:         _Z39paged_attention_ll4mi_QKV_mfma16_kernelI14__hip_bfloat16hLN4vllm18Fp8KVCacheDataTypeE1ES0_Li32ELi64ELi256ELb0ELi11EL8MFMAType0EEvPKT_PKT0_S9_ifPKiSB_SB_iPKfiiiPfSE_PS4_PT2_iSD_SD_.kd
    .uniform_work_group_size: 1
    .uses_dynamic_stack: false
    .vgpr_count:     124
    .vgpr_spill_count: 0
    .wavefront_size: 32
    .workgroup_processor_mode: 1
  - .args:
      - .actual_access:  read_only
        .address_space:  global
        .offset:         0
        .size:           8
        .value_kind:     global_buffer
      - .actual_access:  read_only
        .address_space:  global
        .offset:         8
        .size:           8
        .value_kind:     global_buffer
      - .actual_access:  read_only
        .address_space:  global
        .offset:         16
        .size:           8
        .value_kind:     global_buffer
      - .offset:         24
        .size:           4
        .value_kind:     by_value
      - .offset:         28
        .size:           4
        .value_kind:     by_value
      - .actual_access:  read_only
        .address_space:  global
        .offset:         32
        .size:           8
        .value_kind:     global_buffer
      - .actual_access:  read_only
        .address_space:  global
        .offset:         40
        .size:           8
        .value_kind:     global_buffer
      - .actual_access:  read_only
        .address_space:  global
        .offset:         48
        .size:           8
        .value_kind:     global_buffer
      - .offset:         56
        .size:           4
        .value_kind:     by_value
      - .actual_access:  read_only
        .address_space:  global
        .offset:         64
        .size:           8
        .value_kind:     global_buffer
      - .offset:         72
        .size:           4
        .value_kind:     by_value
      - .offset:         76
        .size:           4
        .value_kind:     by_value
      - .offset:         80
        .size:           4
        .value_kind:     by_value
      - .actual_access:  write_only
        .address_space:  global
        .offset:         88
        .size:           8
        .value_kind:     global_buffer
      - .actual_access:  write_only
        .address_space:  global
        .offset:         96
        .size:           8
        .value_kind:     global_buffer
      - .actual_access:  write_only
        .address_space:  global
        .offset:         104
        .size:           8
        .value_kind:     global_buffer
      - .actual_access:  read_only
        .address_space:  global
        .offset:         112
        .size:           8
        .value_kind:     global_buffer
      - .offset:         120
        .size:           4
        .value_kind:     by_value
      - .address_space:  global
        .offset:         128
        .size:           8
        .value_kind:     global_buffer
      - .address_space:  global
        .offset:         136
        .size:           8
        .value_kind:     global_buffer
      - .offset:         144
        .size:           4
        .value_kind:     hidden_block_count_x
      - .offset:         148
        .size:           4
        .value_kind:     hidden_block_count_y
      - .offset:         152
        .size:           4
        .value_kind:     hidden_block_count_z
      - .offset:         156
        .size:           2
        .value_kind:     hidden_group_size_x
      - .offset:         158
        .size:           2
        .value_kind:     hidden_group_size_y
      - .offset:         160
        .size:           2
        .value_kind:     hidden_group_size_z
      - .offset:         162
        .size:           2
        .value_kind:     hidden_remainder_x
      - .offset:         164
        .size:           2
        .value_kind:     hidden_remainder_y
      - .offset:         166
        .size:           2
        .value_kind:     hidden_remainder_z
      - .offset:         184
        .size:           8
        .value_kind:     hidden_global_offset_x
      - .offset:         192
        .size:           8
        .value_kind:     hidden_global_offset_y
      - .offset:         200
        .size:           8
        .value_kind:     hidden_global_offset_z
      - .offset:         208
        .size:           2
        .value_kind:     hidden_grid_dims
    .group_segment_fixed_size: 17472
    .kernarg_segment_align: 8
    .kernarg_segment_size: 400
    .language:       OpenCL C
    .language_version:
      - 2
      - 0
    .max_flat_workgroup_size: 256
    .name:           _Z39paged_attention_ll4mi_QKV_mfma16_kernelI14__hip_bfloat16hLN4vllm18Fp8KVCacheDataTypeE1ES0_Li32ELi64ELi256ELb0ELi12EL8MFMAType0EEvPKT_PKT0_S9_ifPKiSB_SB_iPKfiiiPfSE_PS4_PT2_iSD_SD_
    .private_segment_fixed_size: 0
    .sgpr_count:     42
    .sgpr_spill_count: 0
    .symbol:         _Z39paged_attention_ll4mi_QKV_mfma16_kernelI14__hip_bfloat16hLN4vllm18Fp8KVCacheDataTypeE1ES0_Li32ELi64ELi256ELb0ELi12EL8MFMAType0EEvPKT_PKT0_S9_ifPKiSB_SB_iPKfiiiPfSE_PS4_PT2_iSD_SD_.kd
    .uniform_work_group_size: 1
    .uses_dynamic_stack: false
    .vgpr_count:     124
    .vgpr_spill_count: 0
    .wavefront_size: 32
    .workgroup_processor_mode: 1
  - .args:
      - .actual_access:  read_only
        .address_space:  global
        .offset:         0
        .size:           8
        .value_kind:     global_buffer
      - .actual_access:  read_only
        .address_space:  global
        .offset:         8
        .size:           8
        .value_kind:     global_buffer
      - .actual_access:  read_only
        .address_space:  global
        .offset:         16
        .size:           8
        .value_kind:     global_buffer
      - .offset:         24
        .size:           4
        .value_kind:     by_value
      - .offset:         28
        .size:           4
        .value_kind:     by_value
      - .actual_access:  read_only
        .address_space:  global
        .offset:         32
        .size:           8
        .value_kind:     global_buffer
      - .actual_access:  read_only
        .address_space:  global
        .offset:         40
        .size:           8
        .value_kind:     global_buffer
      - .actual_access:  read_only
        .address_space:  global
        .offset:         48
        .size:           8
        .value_kind:     global_buffer
      - .offset:         56
        .size:           4
        .value_kind:     by_value
      - .actual_access:  read_only
        .address_space:  global
        .offset:         64
        .size:           8
        .value_kind:     global_buffer
      - .offset:         72
        .size:           4
        .value_kind:     by_value
      - .offset:         76
        .size:           4
        .value_kind:     by_value
      - .offset:         80
        .size:           4
        .value_kind:     by_value
      - .actual_access:  write_only
        .address_space:  global
        .offset:         88
        .size:           8
        .value_kind:     global_buffer
      - .actual_access:  write_only
        .address_space:  global
        .offset:         96
        .size:           8
        .value_kind:     global_buffer
      - .actual_access:  write_only
        .address_space:  global
        .offset:         104
        .size:           8
        .value_kind:     global_buffer
      - .actual_access:  read_only
        .address_space:  global
        .offset:         112
        .size:           8
        .value_kind:     global_buffer
      - .offset:         120
        .size:           4
        .value_kind:     by_value
      - .address_space:  global
        .offset:         128
        .size:           8
        .value_kind:     global_buffer
      - .address_space:  global
        .offset:         136
        .size:           8
        .value_kind:     global_buffer
      - .offset:         144
        .size:           4
        .value_kind:     hidden_block_count_x
      - .offset:         148
        .size:           4
        .value_kind:     hidden_block_count_y
      - .offset:         152
        .size:           4
        .value_kind:     hidden_block_count_z
      - .offset:         156
        .size:           2
        .value_kind:     hidden_group_size_x
      - .offset:         158
        .size:           2
        .value_kind:     hidden_group_size_y
      - .offset:         160
        .size:           2
        .value_kind:     hidden_group_size_z
      - .offset:         162
        .size:           2
        .value_kind:     hidden_remainder_x
      - .offset:         164
        .size:           2
        .value_kind:     hidden_remainder_y
      - .offset:         166
        .size:           2
        .value_kind:     hidden_remainder_z
      - .offset:         184
        .size:           8
        .value_kind:     hidden_global_offset_x
      - .offset:         192
        .size:           8
        .value_kind:     hidden_global_offset_y
      - .offset:         200
        .size:           8
        .value_kind:     hidden_global_offset_z
      - .offset:         208
        .size:           2
        .value_kind:     hidden_grid_dims
    .group_segment_fixed_size: 17472
    .kernarg_segment_align: 8
    .kernarg_segment_size: 400
    .language:       OpenCL C
    .language_version:
      - 2
      - 0
    .max_flat_workgroup_size: 256
    .name:           _Z39paged_attention_ll4mi_QKV_mfma16_kernelI14__hip_bfloat16hLN4vllm18Fp8KVCacheDataTypeE1ES0_Li32ELi64ELi256ELb0ELi13EL8MFMAType0EEvPKT_PKT0_S9_ifPKiSB_SB_iPKfiiiPfSE_PS4_PT2_iSD_SD_
    .private_segment_fixed_size: 0
    .sgpr_count:     44
    .sgpr_spill_count: 0
    .symbol:         _Z39paged_attention_ll4mi_QKV_mfma16_kernelI14__hip_bfloat16hLN4vllm18Fp8KVCacheDataTypeE1ES0_Li32ELi64ELi256ELb0ELi13EL8MFMAType0EEvPKT_PKT0_S9_ifPKiSB_SB_iPKfiiiPfSE_PS4_PT2_iSD_SD_.kd
    .uniform_work_group_size: 1
    .uses_dynamic_stack: false
    .vgpr_count:     124
    .vgpr_spill_count: 0
    .wavefront_size: 32
    .workgroup_processor_mode: 1
  - .args:
      - .actual_access:  read_only
        .address_space:  global
        .offset:         0
        .size:           8
        .value_kind:     global_buffer
      - .actual_access:  read_only
        .address_space:  global
        .offset:         8
        .size:           8
        .value_kind:     global_buffer
      - .actual_access:  read_only
        .address_space:  global
        .offset:         16
        .size:           8
        .value_kind:     global_buffer
      - .offset:         24
        .size:           4
        .value_kind:     by_value
      - .offset:         28
        .size:           4
        .value_kind:     by_value
      - .actual_access:  read_only
        .address_space:  global
        .offset:         32
        .size:           8
        .value_kind:     global_buffer
      - .actual_access:  read_only
        .address_space:  global
        .offset:         40
        .size:           8
        .value_kind:     global_buffer
      - .actual_access:  read_only
        .address_space:  global
        .offset:         48
        .size:           8
        .value_kind:     global_buffer
      - .offset:         56
        .size:           4
        .value_kind:     by_value
      - .actual_access:  read_only
        .address_space:  global
        .offset:         64
        .size:           8
        .value_kind:     global_buffer
      - .offset:         72
        .size:           4
        .value_kind:     by_value
      - .offset:         76
        .size:           4
        .value_kind:     by_value
      - .offset:         80
        .size:           4
        .value_kind:     by_value
      - .actual_access:  write_only
        .address_space:  global
        .offset:         88
        .size:           8
        .value_kind:     global_buffer
      - .actual_access:  write_only
        .address_space:  global
        .offset:         96
        .size:           8
        .value_kind:     global_buffer
      - .actual_access:  write_only
        .address_space:  global
        .offset:         104
        .size:           8
        .value_kind:     global_buffer
      - .actual_access:  read_only
        .address_space:  global
        .offset:         112
        .size:           8
        .value_kind:     global_buffer
      - .offset:         120
        .size:           4
        .value_kind:     by_value
      - .address_space:  global
        .offset:         128
        .size:           8
        .value_kind:     global_buffer
      - .address_space:  global
        .offset:         136
        .size:           8
        .value_kind:     global_buffer
      - .offset:         144
        .size:           4
        .value_kind:     hidden_block_count_x
      - .offset:         148
        .size:           4
        .value_kind:     hidden_block_count_y
      - .offset:         152
        .size:           4
        .value_kind:     hidden_block_count_z
      - .offset:         156
        .size:           2
        .value_kind:     hidden_group_size_x
      - .offset:         158
        .size:           2
        .value_kind:     hidden_group_size_y
      - .offset:         160
        .size:           2
        .value_kind:     hidden_group_size_z
      - .offset:         162
        .size:           2
        .value_kind:     hidden_remainder_x
      - .offset:         164
        .size:           2
        .value_kind:     hidden_remainder_y
      - .offset:         166
        .size:           2
        .value_kind:     hidden_remainder_z
      - .offset:         184
        .size:           8
        .value_kind:     hidden_global_offset_x
      - .offset:         192
        .size:           8
        .value_kind:     hidden_global_offset_y
      - .offset:         200
        .size:           8
        .value_kind:     hidden_global_offset_z
      - .offset:         208
        .size:           2
        .value_kind:     hidden_grid_dims
    .group_segment_fixed_size: 17472
    .kernarg_segment_align: 8
    .kernarg_segment_size: 400
    .language:       OpenCL C
    .language_version:
      - 2
      - 0
    .max_flat_workgroup_size: 256
    .name:           _Z39paged_attention_ll4mi_QKV_mfma16_kernelI14__hip_bfloat16hLN4vllm18Fp8KVCacheDataTypeE1ES0_Li32ELi64ELi256ELb0ELi14EL8MFMAType0EEvPKT_PKT0_S9_ifPKiSB_SB_iPKfiiiPfSE_PS4_PT2_iSD_SD_
    .private_segment_fixed_size: 0
    .sgpr_count:     42
    .sgpr_spill_count: 0
    .symbol:         _Z39paged_attention_ll4mi_QKV_mfma16_kernelI14__hip_bfloat16hLN4vllm18Fp8KVCacheDataTypeE1ES0_Li32ELi64ELi256ELb0ELi14EL8MFMAType0EEvPKT_PKT0_S9_ifPKiSB_SB_iPKfiiiPfSE_PS4_PT2_iSD_SD_.kd
    .uniform_work_group_size: 1
    .uses_dynamic_stack: false
    .vgpr_count:     124
    .vgpr_spill_count: 0
    .wavefront_size: 32
    .workgroup_processor_mode: 1
  - .args:
      - .actual_access:  read_only
        .address_space:  global
        .offset:         0
        .size:           8
        .value_kind:     global_buffer
      - .actual_access:  read_only
        .address_space:  global
        .offset:         8
        .size:           8
        .value_kind:     global_buffer
      - .actual_access:  read_only
        .address_space:  global
        .offset:         16
        .size:           8
        .value_kind:     global_buffer
      - .offset:         24
        .size:           4
        .value_kind:     by_value
      - .offset:         28
        .size:           4
        .value_kind:     by_value
      - .actual_access:  read_only
        .address_space:  global
        .offset:         32
        .size:           8
        .value_kind:     global_buffer
      - .actual_access:  read_only
        .address_space:  global
        .offset:         40
        .size:           8
        .value_kind:     global_buffer
      - .actual_access:  read_only
        .address_space:  global
        .offset:         48
        .size:           8
        .value_kind:     global_buffer
      - .offset:         56
        .size:           4
        .value_kind:     by_value
      - .actual_access:  read_only
        .address_space:  global
        .offset:         64
        .size:           8
        .value_kind:     global_buffer
      - .offset:         72
        .size:           4
        .value_kind:     by_value
      - .offset:         76
        .size:           4
        .value_kind:     by_value
      - .offset:         80
        .size:           4
        .value_kind:     by_value
      - .actual_access:  write_only
        .address_space:  global
        .offset:         88
        .size:           8
        .value_kind:     global_buffer
      - .actual_access:  write_only
        .address_space:  global
        .offset:         96
        .size:           8
        .value_kind:     global_buffer
      - .actual_access:  write_only
        .address_space:  global
        .offset:         104
        .size:           8
        .value_kind:     global_buffer
      - .actual_access:  read_only
        .address_space:  global
        .offset:         112
        .size:           8
        .value_kind:     global_buffer
      - .offset:         120
        .size:           4
        .value_kind:     by_value
      - .address_space:  global
        .offset:         128
        .size:           8
        .value_kind:     global_buffer
      - .address_space:  global
        .offset:         136
        .size:           8
        .value_kind:     global_buffer
      - .offset:         144
        .size:           4
        .value_kind:     hidden_block_count_x
      - .offset:         148
        .size:           4
        .value_kind:     hidden_block_count_y
      - .offset:         152
        .size:           4
        .value_kind:     hidden_block_count_z
      - .offset:         156
        .size:           2
        .value_kind:     hidden_group_size_x
      - .offset:         158
        .size:           2
        .value_kind:     hidden_group_size_y
      - .offset:         160
        .size:           2
        .value_kind:     hidden_group_size_z
      - .offset:         162
        .size:           2
        .value_kind:     hidden_remainder_x
      - .offset:         164
        .size:           2
        .value_kind:     hidden_remainder_y
      - .offset:         166
        .size:           2
        .value_kind:     hidden_remainder_z
      - .offset:         184
        .size:           8
        .value_kind:     hidden_global_offset_x
      - .offset:         192
        .size:           8
        .value_kind:     hidden_global_offset_y
      - .offset:         200
        .size:           8
        .value_kind:     hidden_global_offset_z
      - .offset:         208
        .size:           2
        .value_kind:     hidden_grid_dims
    .group_segment_fixed_size: 17472
    .kernarg_segment_align: 8
    .kernarg_segment_size: 400
    .language:       OpenCL C
    .language_version:
      - 2
      - 0
    .max_flat_workgroup_size: 256
    .name:           _Z39paged_attention_ll4mi_QKV_mfma16_kernelI14__hip_bfloat16hLN4vllm18Fp8KVCacheDataTypeE1ES0_Li32ELi64ELi256ELb0ELi15EL8MFMAType0EEvPKT_PKT0_S9_ifPKiSB_SB_iPKfiiiPfSE_PS4_PT2_iSD_SD_
    .private_segment_fixed_size: 0
    .sgpr_count:     44
    .sgpr_spill_count: 0
    .symbol:         _Z39paged_attention_ll4mi_QKV_mfma16_kernelI14__hip_bfloat16hLN4vllm18Fp8KVCacheDataTypeE1ES0_Li32ELi64ELi256ELb0ELi15EL8MFMAType0EEvPKT_PKT0_S9_ifPKiSB_SB_iPKfiiiPfSE_PS4_PT2_iSD_SD_.kd
    .uniform_work_group_size: 1
    .uses_dynamic_stack: false
    .vgpr_count:     124
    .vgpr_spill_count: 0
    .wavefront_size: 32
    .workgroup_processor_mode: 1
  - .args:
      - .actual_access:  read_only
        .address_space:  global
        .offset:         0
        .size:           8
        .value_kind:     global_buffer
      - .actual_access:  read_only
        .address_space:  global
        .offset:         8
        .size:           8
        .value_kind:     global_buffer
      - .actual_access:  read_only
        .address_space:  global
        .offset:         16
        .size:           8
        .value_kind:     global_buffer
      - .offset:         24
        .size:           4
        .value_kind:     by_value
      - .offset:         28
        .size:           4
        .value_kind:     by_value
      - .actual_access:  read_only
        .address_space:  global
        .offset:         32
        .size:           8
        .value_kind:     global_buffer
      - .actual_access:  read_only
        .address_space:  global
        .offset:         40
        .size:           8
        .value_kind:     global_buffer
      - .actual_access:  read_only
        .address_space:  global
        .offset:         48
        .size:           8
        .value_kind:     global_buffer
      - .offset:         56
        .size:           4
        .value_kind:     by_value
      - .actual_access:  read_only
        .address_space:  global
        .offset:         64
        .size:           8
        .value_kind:     global_buffer
      - .offset:         72
        .size:           4
        .value_kind:     by_value
      - .offset:         76
        .size:           4
        .value_kind:     by_value
      - .offset:         80
        .size:           4
        .value_kind:     by_value
      - .actual_access:  write_only
        .address_space:  global
        .offset:         88
        .size:           8
        .value_kind:     global_buffer
      - .actual_access:  write_only
        .address_space:  global
        .offset:         96
        .size:           8
        .value_kind:     global_buffer
      - .actual_access:  write_only
        .address_space:  global
        .offset:         104
        .size:           8
        .value_kind:     global_buffer
      - .actual_access:  read_only
        .address_space:  global
        .offset:         112
        .size:           8
        .value_kind:     global_buffer
      - .offset:         120
        .size:           4
        .value_kind:     by_value
      - .address_space:  global
        .offset:         128
        .size:           8
        .value_kind:     global_buffer
      - .address_space:  global
        .offset:         136
        .size:           8
        .value_kind:     global_buffer
      - .offset:         144
        .size:           4
        .value_kind:     hidden_block_count_x
      - .offset:         148
        .size:           4
        .value_kind:     hidden_block_count_y
      - .offset:         152
        .size:           4
        .value_kind:     hidden_block_count_z
      - .offset:         156
        .size:           2
        .value_kind:     hidden_group_size_x
      - .offset:         158
        .size:           2
        .value_kind:     hidden_group_size_y
      - .offset:         160
        .size:           2
        .value_kind:     hidden_group_size_z
      - .offset:         162
        .size:           2
        .value_kind:     hidden_remainder_x
      - .offset:         164
        .size:           2
        .value_kind:     hidden_remainder_y
      - .offset:         166
        .size:           2
        .value_kind:     hidden_remainder_z
      - .offset:         184
        .size:           8
        .value_kind:     hidden_global_offset_x
      - .offset:         192
        .size:           8
        .value_kind:     hidden_global_offset_y
      - .offset:         200
        .size:           8
        .value_kind:     hidden_global_offset_z
      - .offset:         208
        .size:           2
        .value_kind:     hidden_grid_dims
    .group_segment_fixed_size: 17472
    .kernarg_segment_align: 8
    .kernarg_segment_size: 400
    .language:       OpenCL C
    .language_version:
      - 2
      - 0
    .max_flat_workgroup_size: 256
    .name:           _Z39paged_attention_ll4mi_QKV_mfma16_kernelI14__hip_bfloat16hLN4vllm18Fp8KVCacheDataTypeE1ES0_Li32ELi64ELi256ELb0ELi16EL8MFMAType0EEvPKT_PKT0_S9_ifPKiSB_SB_iPKfiiiPfSE_PS4_PT2_iSD_SD_
    .private_segment_fixed_size: 0
    .sgpr_count:     42
    .sgpr_spill_count: 0
    .symbol:         _Z39paged_attention_ll4mi_QKV_mfma16_kernelI14__hip_bfloat16hLN4vllm18Fp8KVCacheDataTypeE1ES0_Li32ELi64ELi256ELb0ELi16EL8MFMAType0EEvPKT_PKT0_S9_ifPKiSB_SB_iPKfiiiPfSE_PS4_PT2_iSD_SD_.kd
    .uniform_work_group_size: 1
    .uses_dynamic_stack: false
    .vgpr_count:     125
    .vgpr_spill_count: 0
    .wavefront_size: 32
    .workgroup_processor_mode: 1
  - .args:
      - .actual_access:  read_only
        .address_space:  global
        .offset:         0
        .size:           8
        .value_kind:     global_buffer
      - .actual_access:  read_only
        .address_space:  global
        .offset:         8
        .size:           8
        .value_kind:     global_buffer
      - .actual_access:  read_only
        .address_space:  global
        .offset:         16
        .size:           8
        .value_kind:     global_buffer
      - .offset:         24
        .size:           4
        .value_kind:     by_value
      - .offset:         28
        .size:           4
        .value_kind:     by_value
      - .actual_access:  read_only
        .address_space:  global
        .offset:         32
        .size:           8
        .value_kind:     global_buffer
      - .actual_access:  read_only
        .address_space:  global
        .offset:         40
        .size:           8
        .value_kind:     global_buffer
      - .actual_access:  read_only
        .address_space:  global
        .offset:         48
        .size:           8
        .value_kind:     global_buffer
      - .offset:         56
        .size:           4
        .value_kind:     by_value
      - .actual_access:  read_only
        .address_space:  global
        .offset:         64
        .size:           8
        .value_kind:     global_buffer
      - .offset:         72
        .size:           4
        .value_kind:     by_value
      - .offset:         76
        .size:           4
        .value_kind:     by_value
      - .offset:         80
        .size:           4
        .value_kind:     by_value
      - .actual_access:  write_only
        .address_space:  global
        .offset:         88
        .size:           8
        .value_kind:     global_buffer
      - .actual_access:  write_only
        .address_space:  global
        .offset:         96
        .size:           8
        .value_kind:     global_buffer
      - .actual_access:  write_only
        .address_space:  global
        .offset:         104
        .size:           8
        .value_kind:     global_buffer
      - .actual_access:  read_only
        .address_space:  global
        .offset:         112
        .size:           8
        .value_kind:     global_buffer
      - .offset:         120
        .size:           4
        .value_kind:     by_value
      - .address_space:  global
        .offset:         128
        .size:           8
        .value_kind:     global_buffer
      - .address_space:  global
        .offset:         136
        .size:           8
        .value_kind:     global_buffer
      - .offset:         144
        .size:           4
        .value_kind:     hidden_block_count_x
      - .offset:         148
        .size:           4
        .value_kind:     hidden_block_count_y
      - .offset:         152
        .size:           4
        .value_kind:     hidden_block_count_z
      - .offset:         156
        .size:           2
        .value_kind:     hidden_group_size_x
      - .offset:         158
        .size:           2
        .value_kind:     hidden_group_size_y
      - .offset:         160
        .size:           2
        .value_kind:     hidden_group_size_z
      - .offset:         162
        .size:           2
        .value_kind:     hidden_remainder_x
      - .offset:         164
        .size:           2
        .value_kind:     hidden_remainder_y
      - .offset:         166
        .size:           2
        .value_kind:     hidden_remainder_z
      - .offset:         184
        .size:           8
        .value_kind:     hidden_global_offset_x
      - .offset:         192
        .size:           8
        .value_kind:     hidden_global_offset_y
      - .offset:         200
        .size:           8
        .value_kind:     hidden_global_offset_z
      - .offset:         208
        .size:           2
        .value_kind:     hidden_grid_dims
    .group_segment_fixed_size: 17472
    .kernarg_segment_align: 8
    .kernarg_segment_size: 400
    .language:       OpenCL C
    .language_version:
      - 2
      - 0
    .max_flat_workgroup_size: 256
    .name:           _Z39paged_attention_ll4mi_QKV_mfma16_kernelI14__hip_bfloat16hLN4vllm18Fp8KVCacheDataTypeE1ES0_Li32ELi64ELi256ELb0ELi1EL8MFMAType0EEvPKT_PKT0_S9_ifPKiSB_SB_iPKfiiiPfSE_PS4_PT2_iSD_SD_
    .private_segment_fixed_size: 0
    .sgpr_count:     52
    .sgpr_spill_count: 0
    .symbol:         _Z39paged_attention_ll4mi_QKV_mfma16_kernelI14__hip_bfloat16hLN4vllm18Fp8KVCacheDataTypeE1ES0_Li32ELi64ELi256ELb0ELi1EL8MFMAType0EEvPKT_PKT0_S9_ifPKiSB_SB_iPKfiiiPfSE_PS4_PT2_iSD_SD_.kd
    .uniform_work_group_size: 1
    .uses_dynamic_stack: false
    .vgpr_count:     131
    .vgpr_spill_count: 0
    .wavefront_size: 32
    .workgroup_processor_mode: 1
  - .args:
      - .actual_access:  read_only
        .address_space:  global
        .offset:         0
        .size:           8
        .value_kind:     global_buffer
      - .actual_access:  read_only
        .address_space:  global
        .offset:         8
        .size:           8
        .value_kind:     global_buffer
      - .actual_access:  read_only
        .address_space:  global
        .offset:         16
        .size:           8
        .value_kind:     global_buffer
      - .offset:         24
        .size:           4
        .value_kind:     by_value
      - .offset:         28
        .size:           4
        .value_kind:     by_value
      - .actual_access:  read_only
        .address_space:  global
        .offset:         32
        .size:           8
        .value_kind:     global_buffer
      - .actual_access:  read_only
        .address_space:  global
        .offset:         40
        .size:           8
        .value_kind:     global_buffer
      - .actual_access:  read_only
        .address_space:  global
        .offset:         48
        .size:           8
        .value_kind:     global_buffer
      - .offset:         56
        .size:           4
        .value_kind:     by_value
      - .actual_access:  read_only
        .address_space:  global
        .offset:         64
        .size:           8
        .value_kind:     global_buffer
      - .offset:         72
        .size:           4
        .value_kind:     by_value
      - .offset:         76
        .size:           4
        .value_kind:     by_value
      - .offset:         80
        .size:           4
        .value_kind:     by_value
      - .actual_access:  write_only
        .address_space:  global
        .offset:         88
        .size:           8
        .value_kind:     global_buffer
      - .actual_access:  write_only
        .address_space:  global
        .offset:         96
        .size:           8
        .value_kind:     global_buffer
      - .actual_access:  write_only
        .address_space:  global
        .offset:         104
        .size:           8
        .value_kind:     global_buffer
      - .actual_access:  read_only
        .address_space:  global
        .offset:         112
        .size:           8
        .value_kind:     global_buffer
      - .offset:         120
        .size:           4
        .value_kind:     by_value
      - .address_space:  global
        .offset:         128
        .size:           8
        .value_kind:     global_buffer
      - .address_space:  global
        .offset:         136
        .size:           8
        .value_kind:     global_buffer
      - .offset:         144
        .size:           4
        .value_kind:     hidden_block_count_x
      - .offset:         148
        .size:           4
        .value_kind:     hidden_block_count_y
      - .offset:         152
        .size:           4
        .value_kind:     hidden_block_count_z
      - .offset:         156
        .size:           2
        .value_kind:     hidden_group_size_x
      - .offset:         158
        .size:           2
        .value_kind:     hidden_group_size_y
      - .offset:         160
        .size:           2
        .value_kind:     hidden_group_size_z
      - .offset:         162
        .size:           2
        .value_kind:     hidden_remainder_x
      - .offset:         164
        .size:           2
        .value_kind:     hidden_remainder_y
      - .offset:         166
        .size:           2
        .value_kind:     hidden_remainder_z
      - .offset:         184
        .size:           8
        .value_kind:     hidden_global_offset_x
      - .offset:         192
        .size:           8
        .value_kind:     hidden_global_offset_y
      - .offset:         200
        .size:           8
        .value_kind:     hidden_global_offset_z
      - .offset:         208
        .size:           2
        .value_kind:     hidden_grid_dims
    .group_segment_fixed_size: 17472
    .kernarg_segment_align: 8
    .kernarg_segment_size: 400
    .language:       OpenCL C
    .language_version:
      - 2
      - 0
    .max_flat_workgroup_size: 256
    .name:           _Z39paged_attention_ll4mi_QKV_mfma16_kernelI14__hip_bfloat16hLN4vllm18Fp8KVCacheDataTypeE1ES0_Li32ELi64ELi256ELb0ELi2EL8MFMAType0EEvPKT_PKT0_S9_ifPKiSB_SB_iPKfiiiPfSE_PS4_PT2_iSD_SD_
    .private_segment_fixed_size: 0
    .sgpr_count:     42
    .sgpr_spill_count: 0
    .symbol:         _Z39paged_attention_ll4mi_QKV_mfma16_kernelI14__hip_bfloat16hLN4vllm18Fp8KVCacheDataTypeE1ES0_Li32ELi64ELi256ELb0ELi2EL8MFMAType0EEvPKT_PKT0_S9_ifPKiSB_SB_iPKfiiiPfSE_PS4_PT2_iSD_SD_.kd
    .uniform_work_group_size: 1
    .uses_dynamic_stack: false
    .vgpr_count:     125
    .vgpr_spill_count: 0
    .wavefront_size: 32
    .workgroup_processor_mode: 1
  - .args:
      - .actual_access:  read_only
        .address_space:  global
        .offset:         0
        .size:           8
        .value_kind:     global_buffer
      - .actual_access:  read_only
        .address_space:  global
        .offset:         8
        .size:           8
        .value_kind:     global_buffer
      - .actual_access:  read_only
        .address_space:  global
        .offset:         16
        .size:           8
        .value_kind:     global_buffer
      - .offset:         24
        .size:           4
        .value_kind:     by_value
      - .offset:         28
        .size:           4
        .value_kind:     by_value
      - .actual_access:  read_only
        .address_space:  global
        .offset:         32
        .size:           8
        .value_kind:     global_buffer
      - .actual_access:  read_only
        .address_space:  global
        .offset:         40
        .size:           8
        .value_kind:     global_buffer
      - .actual_access:  read_only
        .address_space:  global
        .offset:         48
        .size:           8
        .value_kind:     global_buffer
      - .offset:         56
        .size:           4
        .value_kind:     by_value
      - .actual_access:  read_only
        .address_space:  global
        .offset:         64
        .size:           8
        .value_kind:     global_buffer
      - .offset:         72
        .size:           4
        .value_kind:     by_value
      - .offset:         76
        .size:           4
        .value_kind:     by_value
      - .offset:         80
        .size:           4
        .value_kind:     by_value
      - .actual_access:  write_only
        .address_space:  global
        .offset:         88
        .size:           8
        .value_kind:     global_buffer
      - .actual_access:  write_only
        .address_space:  global
        .offset:         96
        .size:           8
        .value_kind:     global_buffer
      - .actual_access:  write_only
        .address_space:  global
        .offset:         104
        .size:           8
        .value_kind:     global_buffer
      - .actual_access:  read_only
        .address_space:  global
        .offset:         112
        .size:           8
        .value_kind:     global_buffer
      - .offset:         120
        .size:           4
        .value_kind:     by_value
      - .address_space:  global
        .offset:         128
        .size:           8
        .value_kind:     global_buffer
      - .address_space:  global
        .offset:         136
        .size:           8
        .value_kind:     global_buffer
      - .offset:         144
        .size:           4
        .value_kind:     hidden_block_count_x
      - .offset:         148
        .size:           4
        .value_kind:     hidden_block_count_y
      - .offset:         152
        .size:           4
        .value_kind:     hidden_block_count_z
      - .offset:         156
        .size:           2
        .value_kind:     hidden_group_size_x
      - .offset:         158
        .size:           2
        .value_kind:     hidden_group_size_y
      - .offset:         160
        .size:           2
        .value_kind:     hidden_group_size_z
      - .offset:         162
        .size:           2
        .value_kind:     hidden_remainder_x
      - .offset:         164
        .size:           2
        .value_kind:     hidden_remainder_y
      - .offset:         166
        .size:           2
        .value_kind:     hidden_remainder_z
      - .offset:         184
        .size:           8
        .value_kind:     hidden_global_offset_x
      - .offset:         192
        .size:           8
        .value_kind:     hidden_global_offset_y
      - .offset:         200
        .size:           8
        .value_kind:     hidden_global_offset_z
      - .offset:         208
        .size:           2
        .value_kind:     hidden_grid_dims
    .group_segment_fixed_size: 17472
    .kernarg_segment_align: 8
    .kernarg_segment_size: 400
    .language:       OpenCL C
    .language_version:
      - 2
      - 0
    .max_flat_workgroup_size: 256
    .name:           _Z39paged_attention_ll4mi_QKV_mfma16_kernelI14__hip_bfloat16hLN4vllm18Fp8KVCacheDataTypeE1ES0_Li32ELi64ELi256ELb0ELi3EL8MFMAType0EEvPKT_PKT0_S9_ifPKiSB_SB_iPKfiiiPfSE_PS4_PT2_iSD_SD_
    .private_segment_fixed_size: 0
    .sgpr_count:     44
    .sgpr_spill_count: 0
    .symbol:         _Z39paged_attention_ll4mi_QKV_mfma16_kernelI14__hip_bfloat16hLN4vllm18Fp8KVCacheDataTypeE1ES0_Li32ELi64ELi256ELb0ELi3EL8MFMAType0EEvPKT_PKT0_S9_ifPKiSB_SB_iPKfiiiPfSE_PS4_PT2_iSD_SD_.kd
    .uniform_work_group_size: 1
    .uses_dynamic_stack: false
    .vgpr_count:     124
    .vgpr_spill_count: 0
    .wavefront_size: 32
    .workgroup_processor_mode: 1
  - .args:
      - .actual_access:  read_only
        .address_space:  global
        .offset:         0
        .size:           8
        .value_kind:     global_buffer
      - .actual_access:  read_only
        .address_space:  global
        .offset:         8
        .size:           8
        .value_kind:     global_buffer
      - .actual_access:  read_only
        .address_space:  global
        .offset:         16
        .size:           8
        .value_kind:     global_buffer
      - .offset:         24
        .size:           4
        .value_kind:     by_value
      - .offset:         28
        .size:           4
        .value_kind:     by_value
      - .actual_access:  read_only
        .address_space:  global
        .offset:         32
        .size:           8
        .value_kind:     global_buffer
      - .actual_access:  read_only
        .address_space:  global
        .offset:         40
        .size:           8
        .value_kind:     global_buffer
      - .actual_access:  read_only
        .address_space:  global
        .offset:         48
        .size:           8
        .value_kind:     global_buffer
      - .offset:         56
        .size:           4
        .value_kind:     by_value
      - .actual_access:  read_only
        .address_space:  global
        .offset:         64
        .size:           8
        .value_kind:     global_buffer
      - .offset:         72
        .size:           4
        .value_kind:     by_value
      - .offset:         76
        .size:           4
        .value_kind:     by_value
      - .offset:         80
        .size:           4
        .value_kind:     by_value
      - .actual_access:  write_only
        .address_space:  global
        .offset:         88
        .size:           8
        .value_kind:     global_buffer
      - .actual_access:  write_only
        .address_space:  global
        .offset:         96
        .size:           8
        .value_kind:     global_buffer
      - .actual_access:  write_only
        .address_space:  global
        .offset:         104
        .size:           8
        .value_kind:     global_buffer
      - .actual_access:  read_only
        .address_space:  global
        .offset:         112
        .size:           8
        .value_kind:     global_buffer
      - .offset:         120
        .size:           4
        .value_kind:     by_value
      - .address_space:  global
        .offset:         128
        .size:           8
        .value_kind:     global_buffer
      - .address_space:  global
        .offset:         136
        .size:           8
        .value_kind:     global_buffer
      - .offset:         144
        .size:           4
        .value_kind:     hidden_block_count_x
      - .offset:         148
        .size:           4
        .value_kind:     hidden_block_count_y
      - .offset:         152
        .size:           4
        .value_kind:     hidden_block_count_z
      - .offset:         156
        .size:           2
        .value_kind:     hidden_group_size_x
      - .offset:         158
        .size:           2
        .value_kind:     hidden_group_size_y
      - .offset:         160
        .size:           2
        .value_kind:     hidden_group_size_z
      - .offset:         162
        .size:           2
        .value_kind:     hidden_remainder_x
      - .offset:         164
        .size:           2
        .value_kind:     hidden_remainder_y
      - .offset:         166
        .size:           2
        .value_kind:     hidden_remainder_z
      - .offset:         184
        .size:           8
        .value_kind:     hidden_global_offset_x
      - .offset:         192
        .size:           8
        .value_kind:     hidden_global_offset_y
      - .offset:         200
        .size:           8
        .value_kind:     hidden_global_offset_z
      - .offset:         208
        .size:           2
        .value_kind:     hidden_grid_dims
    .group_segment_fixed_size: 17472
    .kernarg_segment_align: 8
    .kernarg_segment_size: 400
    .language:       OpenCL C
    .language_version:
      - 2
      - 0
    .max_flat_workgroup_size: 256
    .name:           _Z39paged_attention_ll4mi_QKV_mfma16_kernelI14__hip_bfloat16hLN4vllm18Fp8KVCacheDataTypeE1ES0_Li32ELi64ELi256ELb0ELi4EL8MFMAType0EEvPKT_PKT0_S9_ifPKiSB_SB_iPKfiiiPfSE_PS4_PT2_iSD_SD_
    .private_segment_fixed_size: 0
    .sgpr_count:     42
    .sgpr_spill_count: 0
    .symbol:         _Z39paged_attention_ll4mi_QKV_mfma16_kernelI14__hip_bfloat16hLN4vllm18Fp8KVCacheDataTypeE1ES0_Li32ELi64ELi256ELb0ELi4EL8MFMAType0EEvPKT_PKT0_S9_ifPKiSB_SB_iPKfiiiPfSE_PS4_PT2_iSD_SD_.kd
    .uniform_work_group_size: 1
    .uses_dynamic_stack: false
    .vgpr_count:     124
    .vgpr_spill_count: 0
    .wavefront_size: 32
    .workgroup_processor_mode: 1
  - .args:
      - .actual_access:  read_only
        .address_space:  global
        .offset:         0
        .size:           8
        .value_kind:     global_buffer
      - .actual_access:  read_only
        .address_space:  global
        .offset:         8
        .size:           8
        .value_kind:     global_buffer
      - .actual_access:  read_only
        .address_space:  global
        .offset:         16
        .size:           8
        .value_kind:     global_buffer
      - .offset:         24
        .size:           4
        .value_kind:     by_value
      - .offset:         28
        .size:           4
        .value_kind:     by_value
      - .actual_access:  read_only
        .address_space:  global
        .offset:         32
        .size:           8
        .value_kind:     global_buffer
      - .actual_access:  read_only
        .address_space:  global
        .offset:         40
        .size:           8
        .value_kind:     global_buffer
      - .actual_access:  read_only
        .address_space:  global
        .offset:         48
        .size:           8
        .value_kind:     global_buffer
      - .offset:         56
        .size:           4
        .value_kind:     by_value
      - .actual_access:  read_only
        .address_space:  global
        .offset:         64
        .size:           8
        .value_kind:     global_buffer
      - .offset:         72
        .size:           4
        .value_kind:     by_value
      - .offset:         76
        .size:           4
        .value_kind:     by_value
      - .offset:         80
        .size:           4
        .value_kind:     by_value
      - .actual_access:  write_only
        .address_space:  global
        .offset:         88
        .size:           8
        .value_kind:     global_buffer
      - .actual_access:  write_only
        .address_space:  global
        .offset:         96
        .size:           8
        .value_kind:     global_buffer
      - .actual_access:  write_only
        .address_space:  global
        .offset:         104
        .size:           8
        .value_kind:     global_buffer
      - .actual_access:  read_only
        .address_space:  global
        .offset:         112
        .size:           8
        .value_kind:     global_buffer
      - .offset:         120
        .size:           4
        .value_kind:     by_value
      - .address_space:  global
        .offset:         128
        .size:           8
        .value_kind:     global_buffer
      - .address_space:  global
        .offset:         136
        .size:           8
        .value_kind:     global_buffer
      - .offset:         144
        .size:           4
        .value_kind:     hidden_block_count_x
      - .offset:         148
        .size:           4
        .value_kind:     hidden_block_count_y
      - .offset:         152
        .size:           4
        .value_kind:     hidden_block_count_z
      - .offset:         156
        .size:           2
        .value_kind:     hidden_group_size_x
      - .offset:         158
        .size:           2
        .value_kind:     hidden_group_size_y
      - .offset:         160
        .size:           2
        .value_kind:     hidden_group_size_z
      - .offset:         162
        .size:           2
        .value_kind:     hidden_remainder_x
      - .offset:         164
        .size:           2
        .value_kind:     hidden_remainder_y
      - .offset:         166
        .size:           2
        .value_kind:     hidden_remainder_z
      - .offset:         184
        .size:           8
        .value_kind:     hidden_global_offset_x
      - .offset:         192
        .size:           8
        .value_kind:     hidden_global_offset_y
      - .offset:         200
        .size:           8
        .value_kind:     hidden_global_offset_z
      - .offset:         208
        .size:           2
        .value_kind:     hidden_grid_dims
    .group_segment_fixed_size: 17472
    .kernarg_segment_align: 8
    .kernarg_segment_size: 400
    .language:       OpenCL C
    .language_version:
      - 2
      - 0
    .max_flat_workgroup_size: 256
    .name:           _Z39paged_attention_ll4mi_QKV_mfma16_kernelI14__hip_bfloat16hLN4vllm18Fp8KVCacheDataTypeE1EhLi16ELi128ELi256ELb1ELi5EL8MFMAType0EEvPKT_PKT0_S9_ifPKiSB_SB_iPKfiiiPfSE_PS4_PT2_iSD_SD_
    .private_segment_fixed_size: 0
    .sgpr_count:     38
    .sgpr_spill_count: 0
    .symbol:         _Z39paged_attention_ll4mi_QKV_mfma16_kernelI14__hip_bfloat16hLN4vllm18Fp8KVCacheDataTypeE1EhLi16ELi128ELi256ELb1ELi5EL8MFMAType0EEvPKT_PKT0_S9_ifPKiSB_SB_iPKfiiiPfSE_PS4_PT2_iSD_SD_.kd
    .uniform_work_group_size: 1
    .uses_dynamic_stack: false
    .vgpr_count:     140
    .vgpr_spill_count: 0
    .wavefront_size: 32
    .workgroup_processor_mode: 1
  - .args:
      - .actual_access:  read_only
        .address_space:  global
        .offset:         0
        .size:           8
        .value_kind:     global_buffer
      - .actual_access:  read_only
        .address_space:  global
        .offset:         8
        .size:           8
        .value_kind:     global_buffer
      - .actual_access:  read_only
        .address_space:  global
        .offset:         16
        .size:           8
        .value_kind:     global_buffer
      - .offset:         24
        .size:           4
        .value_kind:     by_value
      - .offset:         28
        .size:           4
        .value_kind:     by_value
      - .actual_access:  read_only
        .address_space:  global
        .offset:         32
        .size:           8
        .value_kind:     global_buffer
      - .actual_access:  read_only
        .address_space:  global
        .offset:         40
        .size:           8
        .value_kind:     global_buffer
      - .actual_access:  read_only
        .address_space:  global
        .offset:         48
        .size:           8
        .value_kind:     global_buffer
      - .offset:         56
        .size:           4
        .value_kind:     by_value
      - .actual_access:  read_only
        .address_space:  global
        .offset:         64
        .size:           8
        .value_kind:     global_buffer
      - .offset:         72
        .size:           4
        .value_kind:     by_value
      - .offset:         76
        .size:           4
        .value_kind:     by_value
      - .offset:         80
        .size:           4
        .value_kind:     by_value
      - .actual_access:  write_only
        .address_space:  global
        .offset:         88
        .size:           8
        .value_kind:     global_buffer
      - .actual_access:  write_only
        .address_space:  global
        .offset:         96
        .size:           8
        .value_kind:     global_buffer
      - .actual_access:  write_only
        .address_space:  global
        .offset:         104
        .size:           8
        .value_kind:     global_buffer
      - .actual_access:  read_only
        .address_space:  global
        .offset:         112
        .size:           8
        .value_kind:     global_buffer
      - .offset:         120
        .size:           4
        .value_kind:     by_value
      - .address_space:  global
        .offset:         128
        .size:           8
        .value_kind:     global_buffer
      - .address_space:  global
        .offset:         136
        .size:           8
        .value_kind:     global_buffer
      - .offset:         144
        .size:           4
        .value_kind:     hidden_block_count_x
      - .offset:         148
        .size:           4
        .value_kind:     hidden_block_count_y
      - .offset:         152
        .size:           4
        .value_kind:     hidden_block_count_z
      - .offset:         156
        .size:           2
        .value_kind:     hidden_group_size_x
      - .offset:         158
        .size:           2
        .value_kind:     hidden_group_size_y
      - .offset:         160
        .size:           2
        .value_kind:     hidden_group_size_z
      - .offset:         162
        .size:           2
        .value_kind:     hidden_remainder_x
      - .offset:         164
        .size:           2
        .value_kind:     hidden_remainder_y
      - .offset:         166
        .size:           2
        .value_kind:     hidden_remainder_z
      - .offset:         184
        .size:           8
        .value_kind:     hidden_global_offset_x
      - .offset:         192
        .size:           8
        .value_kind:     hidden_global_offset_y
      - .offset:         200
        .size:           8
        .value_kind:     hidden_global_offset_z
      - .offset:         208
        .size:           2
        .value_kind:     hidden_grid_dims
    .group_segment_fixed_size: 17472
    .kernarg_segment_align: 8
    .kernarg_segment_size: 400
    .language:       OpenCL C
    .language_version:
      - 2
      - 0
    .max_flat_workgroup_size: 256
    .name:           _Z39paged_attention_ll4mi_QKV_mfma16_kernelI14__hip_bfloat16hLN4vllm18Fp8KVCacheDataTypeE1EhLi16ELi128ELi256ELb1ELi6EL8MFMAType0EEvPKT_PKT0_S9_ifPKiSB_SB_iPKfiiiPfSE_PS4_PT2_iSD_SD_
    .private_segment_fixed_size: 0
    .sgpr_count:     38
    .sgpr_spill_count: 0
    .symbol:         _Z39paged_attention_ll4mi_QKV_mfma16_kernelI14__hip_bfloat16hLN4vllm18Fp8KVCacheDataTypeE1EhLi16ELi128ELi256ELb1ELi6EL8MFMAType0EEvPKT_PKT0_S9_ifPKiSB_SB_iPKfiiiPfSE_PS4_PT2_iSD_SD_.kd
    .uniform_work_group_size: 1
    .uses_dynamic_stack: false
    .vgpr_count:     140
    .vgpr_spill_count: 0
    .wavefront_size: 32
    .workgroup_processor_mode: 1
  - .args:
      - .actual_access:  read_only
        .address_space:  global
        .offset:         0
        .size:           8
        .value_kind:     global_buffer
      - .actual_access:  read_only
        .address_space:  global
        .offset:         8
        .size:           8
        .value_kind:     global_buffer
      - .actual_access:  read_only
        .address_space:  global
        .offset:         16
        .size:           8
        .value_kind:     global_buffer
      - .offset:         24
        .size:           4
        .value_kind:     by_value
      - .offset:         28
        .size:           4
        .value_kind:     by_value
      - .actual_access:  read_only
        .address_space:  global
        .offset:         32
        .size:           8
        .value_kind:     global_buffer
      - .actual_access:  read_only
        .address_space:  global
        .offset:         40
        .size:           8
        .value_kind:     global_buffer
      - .actual_access:  read_only
        .address_space:  global
        .offset:         48
        .size:           8
        .value_kind:     global_buffer
      - .offset:         56
        .size:           4
        .value_kind:     by_value
      - .actual_access:  read_only
        .address_space:  global
        .offset:         64
        .size:           8
        .value_kind:     global_buffer
      - .offset:         72
        .size:           4
        .value_kind:     by_value
      - .offset:         76
        .size:           4
        .value_kind:     by_value
      - .offset:         80
        .size:           4
        .value_kind:     by_value
      - .actual_access:  write_only
        .address_space:  global
        .offset:         88
        .size:           8
        .value_kind:     global_buffer
      - .actual_access:  write_only
        .address_space:  global
        .offset:         96
        .size:           8
        .value_kind:     global_buffer
      - .actual_access:  write_only
        .address_space:  global
        .offset:         104
        .size:           8
        .value_kind:     global_buffer
      - .actual_access:  read_only
        .address_space:  global
        .offset:         112
        .size:           8
        .value_kind:     global_buffer
      - .offset:         120
        .size:           4
        .value_kind:     by_value
      - .address_space:  global
        .offset:         128
        .size:           8
        .value_kind:     global_buffer
      - .address_space:  global
        .offset:         136
        .size:           8
        .value_kind:     global_buffer
      - .offset:         144
        .size:           4
        .value_kind:     hidden_block_count_x
      - .offset:         148
        .size:           4
        .value_kind:     hidden_block_count_y
      - .offset:         152
        .size:           4
        .value_kind:     hidden_block_count_z
      - .offset:         156
        .size:           2
        .value_kind:     hidden_group_size_x
      - .offset:         158
        .size:           2
        .value_kind:     hidden_group_size_y
      - .offset:         160
        .size:           2
        .value_kind:     hidden_group_size_z
      - .offset:         162
        .size:           2
        .value_kind:     hidden_remainder_x
      - .offset:         164
        .size:           2
        .value_kind:     hidden_remainder_y
      - .offset:         166
        .size:           2
        .value_kind:     hidden_remainder_z
      - .offset:         184
        .size:           8
        .value_kind:     hidden_global_offset_x
      - .offset:         192
        .size:           8
        .value_kind:     hidden_global_offset_y
      - .offset:         200
        .size:           8
        .value_kind:     hidden_global_offset_z
      - .offset:         208
        .size:           2
        .value_kind:     hidden_grid_dims
    .group_segment_fixed_size: 17472
    .kernarg_segment_align: 8
    .kernarg_segment_size: 400
    .language:       OpenCL C
    .language_version:
      - 2
      - 0
    .max_flat_workgroup_size: 256
    .name:           _Z39paged_attention_ll4mi_QKV_mfma16_kernelI14__hip_bfloat16hLN4vllm18Fp8KVCacheDataTypeE1EhLi16ELi128ELi256ELb1ELi7EL8MFMAType0EEvPKT_PKT0_S9_ifPKiSB_SB_iPKfiiiPfSE_PS4_PT2_iSD_SD_
    .private_segment_fixed_size: 0
    .sgpr_count:     38
    .sgpr_spill_count: 0
    .symbol:         _Z39paged_attention_ll4mi_QKV_mfma16_kernelI14__hip_bfloat16hLN4vllm18Fp8KVCacheDataTypeE1EhLi16ELi128ELi256ELb1ELi7EL8MFMAType0EEvPKT_PKT0_S9_ifPKiSB_SB_iPKfiiiPfSE_PS4_PT2_iSD_SD_.kd
    .uniform_work_group_size: 1
    .uses_dynamic_stack: false
    .vgpr_count:     140
    .vgpr_spill_count: 0
    .wavefront_size: 32
    .workgroup_processor_mode: 1
  - .args:
      - .actual_access:  read_only
        .address_space:  global
        .offset:         0
        .size:           8
        .value_kind:     global_buffer
      - .actual_access:  read_only
        .address_space:  global
        .offset:         8
        .size:           8
        .value_kind:     global_buffer
      - .actual_access:  read_only
        .address_space:  global
        .offset:         16
        .size:           8
        .value_kind:     global_buffer
      - .offset:         24
        .size:           4
        .value_kind:     by_value
      - .offset:         28
        .size:           4
        .value_kind:     by_value
      - .actual_access:  read_only
        .address_space:  global
        .offset:         32
        .size:           8
        .value_kind:     global_buffer
      - .actual_access:  read_only
        .address_space:  global
        .offset:         40
        .size:           8
        .value_kind:     global_buffer
      - .actual_access:  read_only
        .address_space:  global
        .offset:         48
        .size:           8
        .value_kind:     global_buffer
      - .offset:         56
        .size:           4
        .value_kind:     by_value
      - .actual_access:  read_only
        .address_space:  global
        .offset:         64
        .size:           8
        .value_kind:     global_buffer
      - .offset:         72
        .size:           4
        .value_kind:     by_value
      - .offset:         76
        .size:           4
        .value_kind:     by_value
      - .offset:         80
        .size:           4
        .value_kind:     by_value
      - .actual_access:  write_only
        .address_space:  global
        .offset:         88
        .size:           8
        .value_kind:     global_buffer
      - .actual_access:  write_only
        .address_space:  global
        .offset:         96
        .size:           8
        .value_kind:     global_buffer
      - .actual_access:  write_only
        .address_space:  global
        .offset:         104
        .size:           8
        .value_kind:     global_buffer
      - .actual_access:  read_only
        .address_space:  global
        .offset:         112
        .size:           8
        .value_kind:     global_buffer
      - .offset:         120
        .size:           4
        .value_kind:     by_value
      - .address_space:  global
        .offset:         128
        .size:           8
        .value_kind:     global_buffer
      - .address_space:  global
        .offset:         136
        .size:           8
        .value_kind:     global_buffer
      - .offset:         144
        .size:           4
        .value_kind:     hidden_block_count_x
      - .offset:         148
        .size:           4
        .value_kind:     hidden_block_count_y
      - .offset:         152
        .size:           4
        .value_kind:     hidden_block_count_z
      - .offset:         156
        .size:           2
        .value_kind:     hidden_group_size_x
      - .offset:         158
        .size:           2
        .value_kind:     hidden_group_size_y
      - .offset:         160
        .size:           2
        .value_kind:     hidden_group_size_z
      - .offset:         162
        .size:           2
        .value_kind:     hidden_remainder_x
      - .offset:         164
        .size:           2
        .value_kind:     hidden_remainder_y
      - .offset:         166
        .size:           2
        .value_kind:     hidden_remainder_z
      - .offset:         184
        .size:           8
        .value_kind:     hidden_global_offset_x
      - .offset:         192
        .size:           8
        .value_kind:     hidden_global_offset_y
      - .offset:         200
        .size:           8
        .value_kind:     hidden_global_offset_z
      - .offset:         208
        .size:           2
        .value_kind:     hidden_grid_dims
    .group_segment_fixed_size: 17472
    .kernarg_segment_align: 8
    .kernarg_segment_size: 400
    .language:       OpenCL C
    .language_version:
      - 2
      - 0
    .max_flat_workgroup_size: 256
    .name:           _Z39paged_attention_ll4mi_QKV_mfma16_kernelI14__hip_bfloat16hLN4vllm18Fp8KVCacheDataTypeE1EhLi16ELi128ELi256ELb1ELi8EL8MFMAType0EEvPKT_PKT0_S9_ifPKiSB_SB_iPKfiiiPfSE_PS4_PT2_iSD_SD_
    .private_segment_fixed_size: 0
    .sgpr_count:     38
    .sgpr_spill_count: 0
    .symbol:         _Z39paged_attention_ll4mi_QKV_mfma16_kernelI14__hip_bfloat16hLN4vllm18Fp8KVCacheDataTypeE1EhLi16ELi128ELi256ELb1ELi8EL8MFMAType0EEvPKT_PKT0_S9_ifPKiSB_SB_iPKfiiiPfSE_PS4_PT2_iSD_SD_.kd
    .uniform_work_group_size: 1
    .uses_dynamic_stack: false
    .vgpr_count:     140
    .vgpr_spill_count: 0
    .wavefront_size: 32
    .workgroup_processor_mode: 1
  - .args:
      - .actual_access:  read_only
        .address_space:  global
        .offset:         0
        .size:           8
        .value_kind:     global_buffer
      - .actual_access:  read_only
        .address_space:  global
        .offset:         8
        .size:           8
        .value_kind:     global_buffer
      - .actual_access:  read_only
        .address_space:  global
        .offset:         16
        .size:           8
        .value_kind:     global_buffer
      - .offset:         24
        .size:           4
        .value_kind:     by_value
      - .offset:         28
        .size:           4
        .value_kind:     by_value
      - .actual_access:  read_only
        .address_space:  global
        .offset:         32
        .size:           8
        .value_kind:     global_buffer
      - .actual_access:  read_only
        .address_space:  global
        .offset:         40
        .size:           8
        .value_kind:     global_buffer
      - .actual_access:  read_only
        .address_space:  global
        .offset:         48
        .size:           8
        .value_kind:     global_buffer
      - .offset:         56
        .size:           4
        .value_kind:     by_value
      - .actual_access:  read_only
        .address_space:  global
        .offset:         64
        .size:           8
        .value_kind:     global_buffer
      - .offset:         72
        .size:           4
        .value_kind:     by_value
      - .offset:         76
        .size:           4
        .value_kind:     by_value
      - .offset:         80
        .size:           4
        .value_kind:     by_value
      - .actual_access:  write_only
        .address_space:  global
        .offset:         88
        .size:           8
        .value_kind:     global_buffer
      - .actual_access:  write_only
        .address_space:  global
        .offset:         96
        .size:           8
        .value_kind:     global_buffer
      - .actual_access:  write_only
        .address_space:  global
        .offset:         104
        .size:           8
        .value_kind:     global_buffer
      - .actual_access:  read_only
        .address_space:  global
        .offset:         112
        .size:           8
        .value_kind:     global_buffer
      - .offset:         120
        .size:           4
        .value_kind:     by_value
      - .address_space:  global
        .offset:         128
        .size:           8
        .value_kind:     global_buffer
      - .address_space:  global
        .offset:         136
        .size:           8
        .value_kind:     global_buffer
      - .offset:         144
        .size:           4
        .value_kind:     hidden_block_count_x
      - .offset:         148
        .size:           4
        .value_kind:     hidden_block_count_y
      - .offset:         152
        .size:           4
        .value_kind:     hidden_block_count_z
      - .offset:         156
        .size:           2
        .value_kind:     hidden_group_size_x
      - .offset:         158
        .size:           2
        .value_kind:     hidden_group_size_y
      - .offset:         160
        .size:           2
        .value_kind:     hidden_group_size_z
      - .offset:         162
        .size:           2
        .value_kind:     hidden_remainder_x
      - .offset:         164
        .size:           2
        .value_kind:     hidden_remainder_y
      - .offset:         166
        .size:           2
        .value_kind:     hidden_remainder_z
      - .offset:         184
        .size:           8
        .value_kind:     hidden_global_offset_x
      - .offset:         192
        .size:           8
        .value_kind:     hidden_global_offset_y
      - .offset:         200
        .size:           8
        .value_kind:     hidden_global_offset_z
      - .offset:         208
        .size:           2
        .value_kind:     hidden_grid_dims
    .group_segment_fixed_size: 17472
    .kernarg_segment_align: 8
    .kernarg_segment_size: 400
    .language:       OpenCL C
    .language_version:
      - 2
      - 0
    .max_flat_workgroup_size: 256
    .name:           _Z39paged_attention_ll4mi_QKV_mfma16_kernelI14__hip_bfloat16hLN4vllm18Fp8KVCacheDataTypeE1EhLi16ELi128ELi256ELb1ELi9EL8MFMAType0EEvPKT_PKT0_S9_ifPKiSB_SB_iPKfiiiPfSE_PS4_PT2_iSD_SD_
    .private_segment_fixed_size: 0
    .sgpr_count:     38
    .sgpr_spill_count: 0
    .symbol:         _Z39paged_attention_ll4mi_QKV_mfma16_kernelI14__hip_bfloat16hLN4vllm18Fp8KVCacheDataTypeE1EhLi16ELi128ELi256ELb1ELi9EL8MFMAType0EEvPKT_PKT0_S9_ifPKiSB_SB_iPKfiiiPfSE_PS4_PT2_iSD_SD_.kd
    .uniform_work_group_size: 1
    .uses_dynamic_stack: false
    .vgpr_count:     140
    .vgpr_spill_count: 0
    .wavefront_size: 32
    .workgroup_processor_mode: 1
  - .args:
      - .actual_access:  read_only
        .address_space:  global
        .offset:         0
        .size:           8
        .value_kind:     global_buffer
      - .actual_access:  read_only
        .address_space:  global
        .offset:         8
        .size:           8
        .value_kind:     global_buffer
      - .actual_access:  read_only
        .address_space:  global
        .offset:         16
        .size:           8
        .value_kind:     global_buffer
      - .offset:         24
        .size:           4
        .value_kind:     by_value
      - .offset:         28
        .size:           4
        .value_kind:     by_value
      - .actual_access:  read_only
        .address_space:  global
        .offset:         32
        .size:           8
        .value_kind:     global_buffer
      - .actual_access:  read_only
        .address_space:  global
        .offset:         40
        .size:           8
        .value_kind:     global_buffer
      - .actual_access:  read_only
        .address_space:  global
        .offset:         48
        .size:           8
        .value_kind:     global_buffer
      - .offset:         56
        .size:           4
        .value_kind:     by_value
      - .actual_access:  read_only
        .address_space:  global
        .offset:         64
        .size:           8
        .value_kind:     global_buffer
      - .offset:         72
        .size:           4
        .value_kind:     by_value
      - .offset:         76
        .size:           4
        .value_kind:     by_value
      - .offset:         80
        .size:           4
        .value_kind:     by_value
      - .actual_access:  write_only
        .address_space:  global
        .offset:         88
        .size:           8
        .value_kind:     global_buffer
      - .actual_access:  write_only
        .address_space:  global
        .offset:         96
        .size:           8
        .value_kind:     global_buffer
      - .actual_access:  write_only
        .address_space:  global
        .offset:         104
        .size:           8
        .value_kind:     global_buffer
      - .actual_access:  read_only
        .address_space:  global
        .offset:         112
        .size:           8
        .value_kind:     global_buffer
      - .offset:         120
        .size:           4
        .value_kind:     by_value
      - .address_space:  global
        .offset:         128
        .size:           8
        .value_kind:     global_buffer
      - .address_space:  global
        .offset:         136
        .size:           8
        .value_kind:     global_buffer
      - .offset:         144
        .size:           4
        .value_kind:     hidden_block_count_x
      - .offset:         148
        .size:           4
        .value_kind:     hidden_block_count_y
      - .offset:         152
        .size:           4
        .value_kind:     hidden_block_count_z
      - .offset:         156
        .size:           2
        .value_kind:     hidden_group_size_x
      - .offset:         158
        .size:           2
        .value_kind:     hidden_group_size_y
      - .offset:         160
        .size:           2
        .value_kind:     hidden_group_size_z
      - .offset:         162
        .size:           2
        .value_kind:     hidden_remainder_x
      - .offset:         164
        .size:           2
        .value_kind:     hidden_remainder_y
      - .offset:         166
        .size:           2
        .value_kind:     hidden_remainder_z
      - .offset:         184
        .size:           8
        .value_kind:     hidden_global_offset_x
      - .offset:         192
        .size:           8
        .value_kind:     hidden_global_offset_y
      - .offset:         200
        .size:           8
        .value_kind:     hidden_global_offset_z
      - .offset:         208
        .size:           2
        .value_kind:     hidden_grid_dims
    .group_segment_fixed_size: 17472
    .kernarg_segment_align: 8
    .kernarg_segment_size: 400
    .language:       OpenCL C
    .language_version:
      - 2
      - 0
    .max_flat_workgroup_size: 256
    .name:           _Z39paged_attention_ll4mi_QKV_mfma16_kernelI14__hip_bfloat16hLN4vllm18Fp8KVCacheDataTypeE1EhLi16ELi128ELi256ELb1ELi10EL8MFMAType0EEvPKT_PKT0_S9_ifPKiSB_SB_iPKfiiiPfSE_PS4_PT2_iSD_SD_
    .private_segment_fixed_size: 0
    .sgpr_count:     38
    .sgpr_spill_count: 0
    .symbol:         _Z39paged_attention_ll4mi_QKV_mfma16_kernelI14__hip_bfloat16hLN4vllm18Fp8KVCacheDataTypeE1EhLi16ELi128ELi256ELb1ELi10EL8MFMAType0EEvPKT_PKT0_S9_ifPKiSB_SB_iPKfiiiPfSE_PS4_PT2_iSD_SD_.kd
    .uniform_work_group_size: 1
    .uses_dynamic_stack: false
    .vgpr_count:     140
    .vgpr_spill_count: 0
    .wavefront_size: 32
    .workgroup_processor_mode: 1
  - .args:
      - .actual_access:  read_only
        .address_space:  global
        .offset:         0
        .size:           8
        .value_kind:     global_buffer
      - .actual_access:  read_only
        .address_space:  global
        .offset:         8
        .size:           8
        .value_kind:     global_buffer
      - .actual_access:  read_only
        .address_space:  global
        .offset:         16
        .size:           8
        .value_kind:     global_buffer
      - .offset:         24
        .size:           4
        .value_kind:     by_value
      - .offset:         28
        .size:           4
        .value_kind:     by_value
      - .actual_access:  read_only
        .address_space:  global
        .offset:         32
        .size:           8
        .value_kind:     global_buffer
      - .actual_access:  read_only
        .address_space:  global
        .offset:         40
        .size:           8
        .value_kind:     global_buffer
      - .actual_access:  read_only
        .address_space:  global
        .offset:         48
        .size:           8
        .value_kind:     global_buffer
      - .offset:         56
        .size:           4
        .value_kind:     by_value
      - .actual_access:  read_only
        .address_space:  global
        .offset:         64
        .size:           8
        .value_kind:     global_buffer
      - .offset:         72
        .size:           4
        .value_kind:     by_value
      - .offset:         76
        .size:           4
        .value_kind:     by_value
      - .offset:         80
        .size:           4
        .value_kind:     by_value
      - .actual_access:  write_only
        .address_space:  global
        .offset:         88
        .size:           8
        .value_kind:     global_buffer
      - .actual_access:  write_only
        .address_space:  global
        .offset:         96
        .size:           8
        .value_kind:     global_buffer
      - .actual_access:  write_only
        .address_space:  global
        .offset:         104
        .size:           8
        .value_kind:     global_buffer
      - .actual_access:  read_only
        .address_space:  global
        .offset:         112
        .size:           8
        .value_kind:     global_buffer
      - .offset:         120
        .size:           4
        .value_kind:     by_value
      - .address_space:  global
        .offset:         128
        .size:           8
        .value_kind:     global_buffer
      - .address_space:  global
        .offset:         136
        .size:           8
        .value_kind:     global_buffer
      - .offset:         144
        .size:           4
        .value_kind:     hidden_block_count_x
      - .offset:         148
        .size:           4
        .value_kind:     hidden_block_count_y
      - .offset:         152
        .size:           4
        .value_kind:     hidden_block_count_z
      - .offset:         156
        .size:           2
        .value_kind:     hidden_group_size_x
      - .offset:         158
        .size:           2
        .value_kind:     hidden_group_size_y
      - .offset:         160
        .size:           2
        .value_kind:     hidden_group_size_z
      - .offset:         162
        .size:           2
        .value_kind:     hidden_remainder_x
      - .offset:         164
        .size:           2
        .value_kind:     hidden_remainder_y
      - .offset:         166
        .size:           2
        .value_kind:     hidden_remainder_z
      - .offset:         184
        .size:           8
        .value_kind:     hidden_global_offset_x
      - .offset:         192
        .size:           8
        .value_kind:     hidden_global_offset_y
      - .offset:         200
        .size:           8
        .value_kind:     hidden_global_offset_z
      - .offset:         208
        .size:           2
        .value_kind:     hidden_grid_dims
    .group_segment_fixed_size: 17472
    .kernarg_segment_align: 8
    .kernarg_segment_size: 400
    .language:       OpenCL C
    .language_version:
      - 2
      - 0
    .max_flat_workgroup_size: 256
    .name:           _Z39paged_attention_ll4mi_QKV_mfma16_kernelI14__hip_bfloat16hLN4vllm18Fp8KVCacheDataTypeE1EhLi16ELi128ELi256ELb1ELi11EL8MFMAType0EEvPKT_PKT0_S9_ifPKiSB_SB_iPKfiiiPfSE_PS4_PT2_iSD_SD_
    .private_segment_fixed_size: 0
    .sgpr_count:     38
    .sgpr_spill_count: 0
    .symbol:         _Z39paged_attention_ll4mi_QKV_mfma16_kernelI14__hip_bfloat16hLN4vllm18Fp8KVCacheDataTypeE1EhLi16ELi128ELi256ELb1ELi11EL8MFMAType0EEvPKT_PKT0_S9_ifPKiSB_SB_iPKfiiiPfSE_PS4_PT2_iSD_SD_.kd
    .uniform_work_group_size: 1
    .uses_dynamic_stack: false
    .vgpr_count:     140
    .vgpr_spill_count: 0
    .wavefront_size: 32
    .workgroup_processor_mode: 1
  - .args:
      - .actual_access:  read_only
        .address_space:  global
        .offset:         0
        .size:           8
        .value_kind:     global_buffer
      - .actual_access:  read_only
        .address_space:  global
        .offset:         8
        .size:           8
        .value_kind:     global_buffer
      - .actual_access:  read_only
        .address_space:  global
        .offset:         16
        .size:           8
        .value_kind:     global_buffer
      - .offset:         24
        .size:           4
        .value_kind:     by_value
      - .offset:         28
        .size:           4
        .value_kind:     by_value
      - .actual_access:  read_only
        .address_space:  global
        .offset:         32
        .size:           8
        .value_kind:     global_buffer
      - .actual_access:  read_only
        .address_space:  global
        .offset:         40
        .size:           8
        .value_kind:     global_buffer
      - .actual_access:  read_only
        .address_space:  global
        .offset:         48
        .size:           8
        .value_kind:     global_buffer
      - .offset:         56
        .size:           4
        .value_kind:     by_value
      - .actual_access:  read_only
        .address_space:  global
        .offset:         64
        .size:           8
        .value_kind:     global_buffer
      - .offset:         72
        .size:           4
        .value_kind:     by_value
      - .offset:         76
        .size:           4
        .value_kind:     by_value
      - .offset:         80
        .size:           4
        .value_kind:     by_value
      - .actual_access:  write_only
        .address_space:  global
        .offset:         88
        .size:           8
        .value_kind:     global_buffer
      - .actual_access:  write_only
        .address_space:  global
        .offset:         96
        .size:           8
        .value_kind:     global_buffer
      - .actual_access:  write_only
        .address_space:  global
        .offset:         104
        .size:           8
        .value_kind:     global_buffer
      - .actual_access:  read_only
        .address_space:  global
        .offset:         112
        .size:           8
        .value_kind:     global_buffer
      - .offset:         120
        .size:           4
        .value_kind:     by_value
      - .address_space:  global
        .offset:         128
        .size:           8
        .value_kind:     global_buffer
      - .address_space:  global
        .offset:         136
        .size:           8
        .value_kind:     global_buffer
      - .offset:         144
        .size:           4
        .value_kind:     hidden_block_count_x
      - .offset:         148
        .size:           4
        .value_kind:     hidden_block_count_y
      - .offset:         152
        .size:           4
        .value_kind:     hidden_block_count_z
      - .offset:         156
        .size:           2
        .value_kind:     hidden_group_size_x
      - .offset:         158
        .size:           2
        .value_kind:     hidden_group_size_y
      - .offset:         160
        .size:           2
        .value_kind:     hidden_group_size_z
      - .offset:         162
        .size:           2
        .value_kind:     hidden_remainder_x
      - .offset:         164
        .size:           2
        .value_kind:     hidden_remainder_y
      - .offset:         166
        .size:           2
        .value_kind:     hidden_remainder_z
      - .offset:         184
        .size:           8
        .value_kind:     hidden_global_offset_x
      - .offset:         192
        .size:           8
        .value_kind:     hidden_global_offset_y
      - .offset:         200
        .size:           8
        .value_kind:     hidden_global_offset_z
      - .offset:         208
        .size:           2
        .value_kind:     hidden_grid_dims
    .group_segment_fixed_size: 17472
    .kernarg_segment_align: 8
    .kernarg_segment_size: 400
    .language:       OpenCL C
    .language_version:
      - 2
      - 0
    .max_flat_workgroup_size: 256
    .name:           _Z39paged_attention_ll4mi_QKV_mfma16_kernelI14__hip_bfloat16hLN4vllm18Fp8KVCacheDataTypeE1EhLi16ELi128ELi256ELb1ELi12EL8MFMAType0EEvPKT_PKT0_S9_ifPKiSB_SB_iPKfiiiPfSE_PS4_PT2_iSD_SD_
    .private_segment_fixed_size: 0
    .sgpr_count:     38
    .sgpr_spill_count: 0
    .symbol:         _Z39paged_attention_ll4mi_QKV_mfma16_kernelI14__hip_bfloat16hLN4vllm18Fp8KVCacheDataTypeE1EhLi16ELi128ELi256ELb1ELi12EL8MFMAType0EEvPKT_PKT0_S9_ifPKiSB_SB_iPKfiiiPfSE_PS4_PT2_iSD_SD_.kd
    .uniform_work_group_size: 1
    .uses_dynamic_stack: false
    .vgpr_count:     140
    .vgpr_spill_count: 0
    .wavefront_size: 32
    .workgroup_processor_mode: 1
  - .args:
      - .actual_access:  read_only
        .address_space:  global
        .offset:         0
        .size:           8
        .value_kind:     global_buffer
      - .actual_access:  read_only
        .address_space:  global
        .offset:         8
        .size:           8
        .value_kind:     global_buffer
      - .actual_access:  read_only
        .address_space:  global
        .offset:         16
        .size:           8
        .value_kind:     global_buffer
      - .offset:         24
        .size:           4
        .value_kind:     by_value
      - .offset:         28
        .size:           4
        .value_kind:     by_value
      - .actual_access:  read_only
        .address_space:  global
        .offset:         32
        .size:           8
        .value_kind:     global_buffer
      - .actual_access:  read_only
        .address_space:  global
        .offset:         40
        .size:           8
        .value_kind:     global_buffer
      - .actual_access:  read_only
        .address_space:  global
        .offset:         48
        .size:           8
        .value_kind:     global_buffer
      - .offset:         56
        .size:           4
        .value_kind:     by_value
      - .actual_access:  read_only
        .address_space:  global
        .offset:         64
        .size:           8
        .value_kind:     global_buffer
      - .offset:         72
        .size:           4
        .value_kind:     by_value
      - .offset:         76
        .size:           4
        .value_kind:     by_value
      - .offset:         80
        .size:           4
        .value_kind:     by_value
      - .actual_access:  write_only
        .address_space:  global
        .offset:         88
        .size:           8
        .value_kind:     global_buffer
      - .actual_access:  write_only
        .address_space:  global
        .offset:         96
        .size:           8
        .value_kind:     global_buffer
      - .actual_access:  write_only
        .address_space:  global
        .offset:         104
        .size:           8
        .value_kind:     global_buffer
      - .actual_access:  read_only
        .address_space:  global
        .offset:         112
        .size:           8
        .value_kind:     global_buffer
      - .offset:         120
        .size:           4
        .value_kind:     by_value
      - .address_space:  global
        .offset:         128
        .size:           8
        .value_kind:     global_buffer
      - .address_space:  global
        .offset:         136
        .size:           8
        .value_kind:     global_buffer
      - .offset:         144
        .size:           4
        .value_kind:     hidden_block_count_x
      - .offset:         148
        .size:           4
        .value_kind:     hidden_block_count_y
      - .offset:         152
        .size:           4
        .value_kind:     hidden_block_count_z
      - .offset:         156
        .size:           2
        .value_kind:     hidden_group_size_x
      - .offset:         158
        .size:           2
        .value_kind:     hidden_group_size_y
      - .offset:         160
        .size:           2
        .value_kind:     hidden_group_size_z
      - .offset:         162
        .size:           2
        .value_kind:     hidden_remainder_x
      - .offset:         164
        .size:           2
        .value_kind:     hidden_remainder_y
      - .offset:         166
        .size:           2
        .value_kind:     hidden_remainder_z
      - .offset:         184
        .size:           8
        .value_kind:     hidden_global_offset_x
      - .offset:         192
        .size:           8
        .value_kind:     hidden_global_offset_y
      - .offset:         200
        .size:           8
        .value_kind:     hidden_global_offset_z
      - .offset:         208
        .size:           2
        .value_kind:     hidden_grid_dims
    .group_segment_fixed_size: 17472
    .kernarg_segment_align: 8
    .kernarg_segment_size: 400
    .language:       OpenCL C
    .language_version:
      - 2
      - 0
    .max_flat_workgroup_size: 256
    .name:           _Z39paged_attention_ll4mi_QKV_mfma16_kernelI14__hip_bfloat16hLN4vllm18Fp8KVCacheDataTypeE1EhLi16ELi128ELi256ELb1ELi13EL8MFMAType0EEvPKT_PKT0_S9_ifPKiSB_SB_iPKfiiiPfSE_PS4_PT2_iSD_SD_
    .private_segment_fixed_size: 0
    .sgpr_count:     38
    .sgpr_spill_count: 0
    .symbol:         _Z39paged_attention_ll4mi_QKV_mfma16_kernelI14__hip_bfloat16hLN4vllm18Fp8KVCacheDataTypeE1EhLi16ELi128ELi256ELb1ELi13EL8MFMAType0EEvPKT_PKT0_S9_ifPKiSB_SB_iPKfiiiPfSE_PS4_PT2_iSD_SD_.kd
    .uniform_work_group_size: 1
    .uses_dynamic_stack: false
    .vgpr_count:     140
    .vgpr_spill_count: 0
    .wavefront_size: 32
    .workgroup_processor_mode: 1
  - .args:
      - .actual_access:  read_only
        .address_space:  global
        .offset:         0
        .size:           8
        .value_kind:     global_buffer
      - .actual_access:  read_only
        .address_space:  global
        .offset:         8
        .size:           8
        .value_kind:     global_buffer
      - .actual_access:  read_only
        .address_space:  global
        .offset:         16
        .size:           8
        .value_kind:     global_buffer
      - .offset:         24
        .size:           4
        .value_kind:     by_value
      - .offset:         28
        .size:           4
        .value_kind:     by_value
      - .actual_access:  read_only
        .address_space:  global
        .offset:         32
        .size:           8
        .value_kind:     global_buffer
      - .actual_access:  read_only
        .address_space:  global
        .offset:         40
        .size:           8
        .value_kind:     global_buffer
      - .actual_access:  read_only
        .address_space:  global
        .offset:         48
        .size:           8
        .value_kind:     global_buffer
      - .offset:         56
        .size:           4
        .value_kind:     by_value
      - .actual_access:  read_only
        .address_space:  global
        .offset:         64
        .size:           8
        .value_kind:     global_buffer
      - .offset:         72
        .size:           4
        .value_kind:     by_value
      - .offset:         76
        .size:           4
        .value_kind:     by_value
      - .offset:         80
        .size:           4
        .value_kind:     by_value
      - .actual_access:  write_only
        .address_space:  global
        .offset:         88
        .size:           8
        .value_kind:     global_buffer
      - .actual_access:  write_only
        .address_space:  global
        .offset:         96
        .size:           8
        .value_kind:     global_buffer
      - .actual_access:  write_only
        .address_space:  global
        .offset:         104
        .size:           8
        .value_kind:     global_buffer
      - .actual_access:  read_only
        .address_space:  global
        .offset:         112
        .size:           8
        .value_kind:     global_buffer
      - .offset:         120
        .size:           4
        .value_kind:     by_value
      - .address_space:  global
        .offset:         128
        .size:           8
        .value_kind:     global_buffer
      - .address_space:  global
        .offset:         136
        .size:           8
        .value_kind:     global_buffer
      - .offset:         144
        .size:           4
        .value_kind:     hidden_block_count_x
      - .offset:         148
        .size:           4
        .value_kind:     hidden_block_count_y
      - .offset:         152
        .size:           4
        .value_kind:     hidden_block_count_z
      - .offset:         156
        .size:           2
        .value_kind:     hidden_group_size_x
      - .offset:         158
        .size:           2
        .value_kind:     hidden_group_size_y
      - .offset:         160
        .size:           2
        .value_kind:     hidden_group_size_z
      - .offset:         162
        .size:           2
        .value_kind:     hidden_remainder_x
      - .offset:         164
        .size:           2
        .value_kind:     hidden_remainder_y
      - .offset:         166
        .size:           2
        .value_kind:     hidden_remainder_z
      - .offset:         184
        .size:           8
        .value_kind:     hidden_global_offset_x
      - .offset:         192
        .size:           8
        .value_kind:     hidden_global_offset_y
      - .offset:         200
        .size:           8
        .value_kind:     hidden_global_offset_z
      - .offset:         208
        .size:           2
        .value_kind:     hidden_grid_dims
    .group_segment_fixed_size: 17472
    .kernarg_segment_align: 8
    .kernarg_segment_size: 400
    .language:       OpenCL C
    .language_version:
      - 2
      - 0
    .max_flat_workgroup_size: 256
    .name:           _Z39paged_attention_ll4mi_QKV_mfma16_kernelI14__hip_bfloat16hLN4vllm18Fp8KVCacheDataTypeE1EhLi16ELi128ELi256ELb1ELi14EL8MFMAType0EEvPKT_PKT0_S9_ifPKiSB_SB_iPKfiiiPfSE_PS4_PT2_iSD_SD_
    .private_segment_fixed_size: 0
    .sgpr_count:     38
    .sgpr_spill_count: 0
    .symbol:         _Z39paged_attention_ll4mi_QKV_mfma16_kernelI14__hip_bfloat16hLN4vllm18Fp8KVCacheDataTypeE1EhLi16ELi128ELi256ELb1ELi14EL8MFMAType0EEvPKT_PKT0_S9_ifPKiSB_SB_iPKfiiiPfSE_PS4_PT2_iSD_SD_.kd
    .uniform_work_group_size: 1
    .uses_dynamic_stack: false
    .vgpr_count:     140
    .vgpr_spill_count: 0
    .wavefront_size: 32
    .workgroup_processor_mode: 1
  - .args:
      - .actual_access:  read_only
        .address_space:  global
        .offset:         0
        .size:           8
        .value_kind:     global_buffer
      - .actual_access:  read_only
        .address_space:  global
        .offset:         8
        .size:           8
        .value_kind:     global_buffer
      - .actual_access:  read_only
        .address_space:  global
        .offset:         16
        .size:           8
        .value_kind:     global_buffer
      - .offset:         24
        .size:           4
        .value_kind:     by_value
      - .offset:         28
        .size:           4
        .value_kind:     by_value
      - .actual_access:  read_only
        .address_space:  global
        .offset:         32
        .size:           8
        .value_kind:     global_buffer
      - .actual_access:  read_only
        .address_space:  global
        .offset:         40
        .size:           8
        .value_kind:     global_buffer
      - .actual_access:  read_only
        .address_space:  global
        .offset:         48
        .size:           8
        .value_kind:     global_buffer
      - .offset:         56
        .size:           4
        .value_kind:     by_value
      - .actual_access:  read_only
        .address_space:  global
        .offset:         64
        .size:           8
        .value_kind:     global_buffer
      - .offset:         72
        .size:           4
        .value_kind:     by_value
      - .offset:         76
        .size:           4
        .value_kind:     by_value
      - .offset:         80
        .size:           4
        .value_kind:     by_value
      - .actual_access:  write_only
        .address_space:  global
        .offset:         88
        .size:           8
        .value_kind:     global_buffer
      - .actual_access:  write_only
        .address_space:  global
        .offset:         96
        .size:           8
        .value_kind:     global_buffer
      - .actual_access:  write_only
        .address_space:  global
        .offset:         104
        .size:           8
        .value_kind:     global_buffer
      - .actual_access:  read_only
        .address_space:  global
        .offset:         112
        .size:           8
        .value_kind:     global_buffer
      - .offset:         120
        .size:           4
        .value_kind:     by_value
      - .address_space:  global
        .offset:         128
        .size:           8
        .value_kind:     global_buffer
      - .address_space:  global
        .offset:         136
        .size:           8
        .value_kind:     global_buffer
      - .offset:         144
        .size:           4
        .value_kind:     hidden_block_count_x
      - .offset:         148
        .size:           4
        .value_kind:     hidden_block_count_y
      - .offset:         152
        .size:           4
        .value_kind:     hidden_block_count_z
      - .offset:         156
        .size:           2
        .value_kind:     hidden_group_size_x
      - .offset:         158
        .size:           2
        .value_kind:     hidden_group_size_y
      - .offset:         160
        .size:           2
        .value_kind:     hidden_group_size_z
      - .offset:         162
        .size:           2
        .value_kind:     hidden_remainder_x
      - .offset:         164
        .size:           2
        .value_kind:     hidden_remainder_y
      - .offset:         166
        .size:           2
        .value_kind:     hidden_remainder_z
      - .offset:         184
        .size:           8
        .value_kind:     hidden_global_offset_x
      - .offset:         192
        .size:           8
        .value_kind:     hidden_global_offset_y
      - .offset:         200
        .size:           8
        .value_kind:     hidden_global_offset_z
      - .offset:         208
        .size:           2
        .value_kind:     hidden_grid_dims
    .group_segment_fixed_size: 17472
    .kernarg_segment_align: 8
    .kernarg_segment_size: 400
    .language:       OpenCL C
    .language_version:
      - 2
      - 0
    .max_flat_workgroup_size: 256
    .name:           _Z39paged_attention_ll4mi_QKV_mfma16_kernelI14__hip_bfloat16hLN4vllm18Fp8KVCacheDataTypeE1EhLi16ELi128ELi256ELb1ELi15EL8MFMAType0EEvPKT_PKT0_S9_ifPKiSB_SB_iPKfiiiPfSE_PS4_PT2_iSD_SD_
    .private_segment_fixed_size: 0
    .sgpr_count:     38
    .sgpr_spill_count: 0
    .symbol:         _Z39paged_attention_ll4mi_QKV_mfma16_kernelI14__hip_bfloat16hLN4vllm18Fp8KVCacheDataTypeE1EhLi16ELi128ELi256ELb1ELi15EL8MFMAType0EEvPKT_PKT0_S9_ifPKiSB_SB_iPKfiiiPfSE_PS4_PT2_iSD_SD_.kd
    .uniform_work_group_size: 1
    .uses_dynamic_stack: false
    .vgpr_count:     140
    .vgpr_spill_count: 0
    .wavefront_size: 32
    .workgroup_processor_mode: 1
  - .args:
      - .actual_access:  read_only
        .address_space:  global
        .offset:         0
        .size:           8
        .value_kind:     global_buffer
      - .actual_access:  read_only
        .address_space:  global
        .offset:         8
        .size:           8
        .value_kind:     global_buffer
      - .actual_access:  read_only
        .address_space:  global
        .offset:         16
        .size:           8
        .value_kind:     global_buffer
      - .offset:         24
        .size:           4
        .value_kind:     by_value
      - .offset:         28
        .size:           4
        .value_kind:     by_value
      - .actual_access:  read_only
        .address_space:  global
        .offset:         32
        .size:           8
        .value_kind:     global_buffer
      - .actual_access:  read_only
        .address_space:  global
        .offset:         40
        .size:           8
        .value_kind:     global_buffer
      - .actual_access:  read_only
        .address_space:  global
        .offset:         48
        .size:           8
        .value_kind:     global_buffer
      - .offset:         56
        .size:           4
        .value_kind:     by_value
      - .actual_access:  read_only
        .address_space:  global
        .offset:         64
        .size:           8
        .value_kind:     global_buffer
      - .offset:         72
        .size:           4
        .value_kind:     by_value
      - .offset:         76
        .size:           4
        .value_kind:     by_value
      - .offset:         80
        .size:           4
        .value_kind:     by_value
      - .actual_access:  write_only
        .address_space:  global
        .offset:         88
        .size:           8
        .value_kind:     global_buffer
      - .actual_access:  write_only
        .address_space:  global
        .offset:         96
        .size:           8
        .value_kind:     global_buffer
      - .actual_access:  write_only
        .address_space:  global
        .offset:         104
        .size:           8
        .value_kind:     global_buffer
      - .actual_access:  read_only
        .address_space:  global
        .offset:         112
        .size:           8
        .value_kind:     global_buffer
      - .offset:         120
        .size:           4
        .value_kind:     by_value
      - .address_space:  global
        .offset:         128
        .size:           8
        .value_kind:     global_buffer
      - .address_space:  global
        .offset:         136
        .size:           8
        .value_kind:     global_buffer
      - .offset:         144
        .size:           4
        .value_kind:     hidden_block_count_x
      - .offset:         148
        .size:           4
        .value_kind:     hidden_block_count_y
      - .offset:         152
        .size:           4
        .value_kind:     hidden_block_count_z
      - .offset:         156
        .size:           2
        .value_kind:     hidden_group_size_x
      - .offset:         158
        .size:           2
        .value_kind:     hidden_group_size_y
      - .offset:         160
        .size:           2
        .value_kind:     hidden_group_size_z
      - .offset:         162
        .size:           2
        .value_kind:     hidden_remainder_x
      - .offset:         164
        .size:           2
        .value_kind:     hidden_remainder_y
      - .offset:         166
        .size:           2
        .value_kind:     hidden_remainder_z
      - .offset:         184
        .size:           8
        .value_kind:     hidden_global_offset_x
      - .offset:         192
        .size:           8
        .value_kind:     hidden_global_offset_y
      - .offset:         200
        .size:           8
        .value_kind:     hidden_global_offset_z
      - .offset:         208
        .size:           2
        .value_kind:     hidden_grid_dims
    .group_segment_fixed_size: 17472
    .kernarg_segment_align: 8
    .kernarg_segment_size: 400
    .language:       OpenCL C
    .language_version:
      - 2
      - 0
    .max_flat_workgroup_size: 256
    .name:           _Z39paged_attention_ll4mi_QKV_mfma16_kernelI14__hip_bfloat16hLN4vllm18Fp8KVCacheDataTypeE1EhLi16ELi128ELi256ELb1ELi16EL8MFMAType0EEvPKT_PKT0_S9_ifPKiSB_SB_iPKfiiiPfSE_PS4_PT2_iSD_SD_
    .private_segment_fixed_size: 0
    .sgpr_count:     38
    .sgpr_spill_count: 0
    .symbol:         _Z39paged_attention_ll4mi_QKV_mfma16_kernelI14__hip_bfloat16hLN4vllm18Fp8KVCacheDataTypeE1EhLi16ELi128ELi256ELb1ELi16EL8MFMAType0EEvPKT_PKT0_S9_ifPKiSB_SB_iPKfiiiPfSE_PS4_PT2_iSD_SD_.kd
    .uniform_work_group_size: 1
    .uses_dynamic_stack: false
    .vgpr_count:     141
    .vgpr_spill_count: 0
    .wavefront_size: 32
    .workgroup_processor_mode: 1
  - .args:
      - .actual_access:  read_only
        .address_space:  global
        .offset:         0
        .size:           8
        .value_kind:     global_buffer
      - .actual_access:  read_only
        .address_space:  global
        .offset:         8
        .size:           8
        .value_kind:     global_buffer
      - .actual_access:  read_only
        .address_space:  global
        .offset:         16
        .size:           8
        .value_kind:     global_buffer
      - .offset:         24
        .size:           4
        .value_kind:     by_value
      - .offset:         28
        .size:           4
        .value_kind:     by_value
      - .actual_access:  read_only
        .address_space:  global
        .offset:         32
        .size:           8
        .value_kind:     global_buffer
      - .actual_access:  read_only
        .address_space:  global
        .offset:         40
        .size:           8
        .value_kind:     global_buffer
      - .actual_access:  read_only
        .address_space:  global
        .offset:         48
        .size:           8
        .value_kind:     global_buffer
      - .offset:         56
        .size:           4
        .value_kind:     by_value
      - .actual_access:  read_only
        .address_space:  global
        .offset:         64
        .size:           8
        .value_kind:     global_buffer
      - .offset:         72
        .size:           4
        .value_kind:     by_value
      - .offset:         76
        .size:           4
        .value_kind:     by_value
      - .offset:         80
        .size:           4
        .value_kind:     by_value
      - .actual_access:  write_only
        .address_space:  global
        .offset:         88
        .size:           8
        .value_kind:     global_buffer
      - .actual_access:  write_only
        .address_space:  global
        .offset:         96
        .size:           8
        .value_kind:     global_buffer
      - .actual_access:  write_only
        .address_space:  global
        .offset:         104
        .size:           8
        .value_kind:     global_buffer
      - .actual_access:  read_only
        .address_space:  global
        .offset:         112
        .size:           8
        .value_kind:     global_buffer
      - .offset:         120
        .size:           4
        .value_kind:     by_value
      - .address_space:  global
        .offset:         128
        .size:           8
        .value_kind:     global_buffer
      - .address_space:  global
        .offset:         136
        .size:           8
        .value_kind:     global_buffer
      - .offset:         144
        .size:           4
        .value_kind:     hidden_block_count_x
      - .offset:         148
        .size:           4
        .value_kind:     hidden_block_count_y
      - .offset:         152
        .size:           4
        .value_kind:     hidden_block_count_z
      - .offset:         156
        .size:           2
        .value_kind:     hidden_group_size_x
      - .offset:         158
        .size:           2
        .value_kind:     hidden_group_size_y
      - .offset:         160
        .size:           2
        .value_kind:     hidden_group_size_z
      - .offset:         162
        .size:           2
        .value_kind:     hidden_remainder_x
      - .offset:         164
        .size:           2
        .value_kind:     hidden_remainder_y
      - .offset:         166
        .size:           2
        .value_kind:     hidden_remainder_z
      - .offset:         184
        .size:           8
        .value_kind:     hidden_global_offset_x
      - .offset:         192
        .size:           8
        .value_kind:     hidden_global_offset_y
      - .offset:         200
        .size:           8
        .value_kind:     hidden_global_offset_z
      - .offset:         208
        .size:           2
        .value_kind:     hidden_grid_dims
    .group_segment_fixed_size: 17472
    .kernarg_segment_align: 8
    .kernarg_segment_size: 400
    .language:       OpenCL C
    .language_version:
      - 2
      - 0
    .max_flat_workgroup_size: 256
    .name:           _Z39paged_attention_ll4mi_QKV_mfma16_kernelI14__hip_bfloat16hLN4vllm18Fp8KVCacheDataTypeE1EhLi16ELi128ELi256ELb1ELi1EL8MFMAType0EEvPKT_PKT0_S9_ifPKiSB_SB_iPKfiiiPfSE_PS4_PT2_iSD_SD_
    .private_segment_fixed_size: 0
    .sgpr_count:     68
    .sgpr_spill_count: 0
    .symbol:         _Z39paged_attention_ll4mi_QKV_mfma16_kernelI14__hip_bfloat16hLN4vllm18Fp8KVCacheDataTypeE1EhLi16ELi128ELi256ELb1ELi1EL8MFMAType0EEvPKT_PKT0_S9_ifPKiSB_SB_iPKfiiiPfSE_PS4_PT2_iSD_SD_.kd
    .uniform_work_group_size: 1
    .uses_dynamic_stack: false
    .vgpr_count:     138
    .vgpr_spill_count: 0
    .wavefront_size: 32
    .workgroup_processor_mode: 1
  - .args:
      - .actual_access:  read_only
        .address_space:  global
        .offset:         0
        .size:           8
        .value_kind:     global_buffer
      - .actual_access:  read_only
        .address_space:  global
        .offset:         8
        .size:           8
        .value_kind:     global_buffer
      - .actual_access:  read_only
        .address_space:  global
        .offset:         16
        .size:           8
        .value_kind:     global_buffer
      - .offset:         24
        .size:           4
        .value_kind:     by_value
      - .offset:         28
        .size:           4
        .value_kind:     by_value
      - .actual_access:  read_only
        .address_space:  global
        .offset:         32
        .size:           8
        .value_kind:     global_buffer
      - .actual_access:  read_only
        .address_space:  global
        .offset:         40
        .size:           8
        .value_kind:     global_buffer
      - .actual_access:  read_only
        .address_space:  global
        .offset:         48
        .size:           8
        .value_kind:     global_buffer
      - .offset:         56
        .size:           4
        .value_kind:     by_value
      - .actual_access:  read_only
        .address_space:  global
        .offset:         64
        .size:           8
        .value_kind:     global_buffer
      - .offset:         72
        .size:           4
        .value_kind:     by_value
      - .offset:         76
        .size:           4
        .value_kind:     by_value
      - .offset:         80
        .size:           4
        .value_kind:     by_value
      - .actual_access:  write_only
        .address_space:  global
        .offset:         88
        .size:           8
        .value_kind:     global_buffer
      - .actual_access:  write_only
        .address_space:  global
        .offset:         96
        .size:           8
        .value_kind:     global_buffer
      - .actual_access:  write_only
        .address_space:  global
        .offset:         104
        .size:           8
        .value_kind:     global_buffer
      - .actual_access:  read_only
        .address_space:  global
        .offset:         112
        .size:           8
        .value_kind:     global_buffer
      - .offset:         120
        .size:           4
        .value_kind:     by_value
      - .address_space:  global
        .offset:         128
        .size:           8
        .value_kind:     global_buffer
      - .address_space:  global
        .offset:         136
        .size:           8
        .value_kind:     global_buffer
      - .offset:         144
        .size:           4
        .value_kind:     hidden_block_count_x
      - .offset:         148
        .size:           4
        .value_kind:     hidden_block_count_y
      - .offset:         152
        .size:           4
        .value_kind:     hidden_block_count_z
      - .offset:         156
        .size:           2
        .value_kind:     hidden_group_size_x
      - .offset:         158
        .size:           2
        .value_kind:     hidden_group_size_y
      - .offset:         160
        .size:           2
        .value_kind:     hidden_group_size_z
      - .offset:         162
        .size:           2
        .value_kind:     hidden_remainder_x
      - .offset:         164
        .size:           2
        .value_kind:     hidden_remainder_y
      - .offset:         166
        .size:           2
        .value_kind:     hidden_remainder_z
      - .offset:         184
        .size:           8
        .value_kind:     hidden_global_offset_x
      - .offset:         192
        .size:           8
        .value_kind:     hidden_global_offset_y
      - .offset:         200
        .size:           8
        .value_kind:     hidden_global_offset_z
      - .offset:         208
        .size:           2
        .value_kind:     hidden_grid_dims
    .group_segment_fixed_size: 17472
    .kernarg_segment_align: 8
    .kernarg_segment_size: 400
    .language:       OpenCL C
    .language_version:
      - 2
      - 0
    .max_flat_workgroup_size: 256
    .name:           _Z39paged_attention_ll4mi_QKV_mfma16_kernelI14__hip_bfloat16hLN4vllm18Fp8KVCacheDataTypeE1EhLi16ELi128ELi256ELb1ELi2EL8MFMAType0EEvPKT_PKT0_S9_ifPKiSB_SB_iPKfiiiPfSE_PS4_PT2_iSD_SD_
    .private_segment_fixed_size: 0
    .sgpr_count:     38
    .sgpr_spill_count: 0
    .symbol:         _Z39paged_attention_ll4mi_QKV_mfma16_kernelI14__hip_bfloat16hLN4vllm18Fp8KVCacheDataTypeE1EhLi16ELi128ELi256ELb1ELi2EL8MFMAType0EEvPKT_PKT0_S9_ifPKiSB_SB_iPKfiiiPfSE_PS4_PT2_iSD_SD_.kd
    .uniform_work_group_size: 1
    .uses_dynamic_stack: false
    .vgpr_count:     138
    .vgpr_spill_count: 0
    .wavefront_size: 32
    .workgroup_processor_mode: 1
  - .args:
      - .actual_access:  read_only
        .address_space:  global
        .offset:         0
        .size:           8
        .value_kind:     global_buffer
      - .actual_access:  read_only
        .address_space:  global
        .offset:         8
        .size:           8
        .value_kind:     global_buffer
      - .actual_access:  read_only
        .address_space:  global
        .offset:         16
        .size:           8
        .value_kind:     global_buffer
      - .offset:         24
        .size:           4
        .value_kind:     by_value
      - .offset:         28
        .size:           4
        .value_kind:     by_value
      - .actual_access:  read_only
        .address_space:  global
        .offset:         32
        .size:           8
        .value_kind:     global_buffer
      - .actual_access:  read_only
        .address_space:  global
        .offset:         40
        .size:           8
        .value_kind:     global_buffer
      - .actual_access:  read_only
        .address_space:  global
        .offset:         48
        .size:           8
        .value_kind:     global_buffer
      - .offset:         56
        .size:           4
        .value_kind:     by_value
      - .actual_access:  read_only
        .address_space:  global
        .offset:         64
        .size:           8
        .value_kind:     global_buffer
      - .offset:         72
        .size:           4
        .value_kind:     by_value
      - .offset:         76
        .size:           4
        .value_kind:     by_value
      - .offset:         80
        .size:           4
        .value_kind:     by_value
      - .actual_access:  write_only
        .address_space:  global
        .offset:         88
        .size:           8
        .value_kind:     global_buffer
      - .actual_access:  write_only
        .address_space:  global
        .offset:         96
        .size:           8
        .value_kind:     global_buffer
      - .actual_access:  write_only
        .address_space:  global
        .offset:         104
        .size:           8
        .value_kind:     global_buffer
      - .actual_access:  read_only
        .address_space:  global
        .offset:         112
        .size:           8
        .value_kind:     global_buffer
      - .offset:         120
        .size:           4
        .value_kind:     by_value
      - .address_space:  global
        .offset:         128
        .size:           8
        .value_kind:     global_buffer
      - .address_space:  global
        .offset:         136
        .size:           8
        .value_kind:     global_buffer
      - .offset:         144
        .size:           4
        .value_kind:     hidden_block_count_x
      - .offset:         148
        .size:           4
        .value_kind:     hidden_block_count_y
      - .offset:         152
        .size:           4
        .value_kind:     hidden_block_count_z
      - .offset:         156
        .size:           2
        .value_kind:     hidden_group_size_x
      - .offset:         158
        .size:           2
        .value_kind:     hidden_group_size_y
      - .offset:         160
        .size:           2
        .value_kind:     hidden_group_size_z
      - .offset:         162
        .size:           2
        .value_kind:     hidden_remainder_x
      - .offset:         164
        .size:           2
        .value_kind:     hidden_remainder_y
      - .offset:         166
        .size:           2
        .value_kind:     hidden_remainder_z
      - .offset:         184
        .size:           8
        .value_kind:     hidden_global_offset_x
      - .offset:         192
        .size:           8
        .value_kind:     hidden_global_offset_y
      - .offset:         200
        .size:           8
        .value_kind:     hidden_global_offset_z
      - .offset:         208
        .size:           2
        .value_kind:     hidden_grid_dims
    .group_segment_fixed_size: 17472
    .kernarg_segment_align: 8
    .kernarg_segment_size: 400
    .language:       OpenCL C
    .language_version:
      - 2
      - 0
    .max_flat_workgroup_size: 256
    .name:           _Z39paged_attention_ll4mi_QKV_mfma16_kernelI14__hip_bfloat16hLN4vllm18Fp8KVCacheDataTypeE1EhLi16ELi128ELi256ELb1ELi3EL8MFMAType0EEvPKT_PKT0_S9_ifPKiSB_SB_iPKfiiiPfSE_PS4_PT2_iSD_SD_
    .private_segment_fixed_size: 0
    .sgpr_count:     38
    .sgpr_spill_count: 0
    .symbol:         _Z39paged_attention_ll4mi_QKV_mfma16_kernelI14__hip_bfloat16hLN4vllm18Fp8KVCacheDataTypeE1EhLi16ELi128ELi256ELb1ELi3EL8MFMAType0EEvPKT_PKT0_S9_ifPKiSB_SB_iPKfiiiPfSE_PS4_PT2_iSD_SD_.kd
    .uniform_work_group_size: 1
    .uses_dynamic_stack: false
    .vgpr_count:     140
    .vgpr_spill_count: 0
    .wavefront_size: 32
    .workgroup_processor_mode: 1
  - .args:
      - .actual_access:  read_only
        .address_space:  global
        .offset:         0
        .size:           8
        .value_kind:     global_buffer
      - .actual_access:  read_only
        .address_space:  global
        .offset:         8
        .size:           8
        .value_kind:     global_buffer
      - .actual_access:  read_only
        .address_space:  global
        .offset:         16
        .size:           8
        .value_kind:     global_buffer
      - .offset:         24
        .size:           4
        .value_kind:     by_value
      - .offset:         28
        .size:           4
        .value_kind:     by_value
      - .actual_access:  read_only
        .address_space:  global
        .offset:         32
        .size:           8
        .value_kind:     global_buffer
      - .actual_access:  read_only
        .address_space:  global
        .offset:         40
        .size:           8
        .value_kind:     global_buffer
      - .actual_access:  read_only
        .address_space:  global
        .offset:         48
        .size:           8
        .value_kind:     global_buffer
      - .offset:         56
        .size:           4
        .value_kind:     by_value
      - .actual_access:  read_only
        .address_space:  global
        .offset:         64
        .size:           8
        .value_kind:     global_buffer
      - .offset:         72
        .size:           4
        .value_kind:     by_value
      - .offset:         76
        .size:           4
        .value_kind:     by_value
      - .offset:         80
        .size:           4
        .value_kind:     by_value
      - .actual_access:  write_only
        .address_space:  global
        .offset:         88
        .size:           8
        .value_kind:     global_buffer
      - .actual_access:  write_only
        .address_space:  global
        .offset:         96
        .size:           8
        .value_kind:     global_buffer
      - .actual_access:  write_only
        .address_space:  global
        .offset:         104
        .size:           8
        .value_kind:     global_buffer
      - .actual_access:  read_only
        .address_space:  global
        .offset:         112
        .size:           8
        .value_kind:     global_buffer
      - .offset:         120
        .size:           4
        .value_kind:     by_value
      - .address_space:  global
        .offset:         128
        .size:           8
        .value_kind:     global_buffer
      - .address_space:  global
        .offset:         136
        .size:           8
        .value_kind:     global_buffer
      - .offset:         144
        .size:           4
        .value_kind:     hidden_block_count_x
      - .offset:         148
        .size:           4
        .value_kind:     hidden_block_count_y
      - .offset:         152
        .size:           4
        .value_kind:     hidden_block_count_z
      - .offset:         156
        .size:           2
        .value_kind:     hidden_group_size_x
      - .offset:         158
        .size:           2
        .value_kind:     hidden_group_size_y
      - .offset:         160
        .size:           2
        .value_kind:     hidden_group_size_z
      - .offset:         162
        .size:           2
        .value_kind:     hidden_remainder_x
      - .offset:         164
        .size:           2
        .value_kind:     hidden_remainder_y
      - .offset:         166
        .size:           2
        .value_kind:     hidden_remainder_z
      - .offset:         184
        .size:           8
        .value_kind:     hidden_global_offset_x
      - .offset:         192
        .size:           8
        .value_kind:     hidden_global_offset_y
      - .offset:         200
        .size:           8
        .value_kind:     hidden_global_offset_z
      - .offset:         208
        .size:           2
        .value_kind:     hidden_grid_dims
    .group_segment_fixed_size: 17472
    .kernarg_segment_align: 8
    .kernarg_segment_size: 400
    .language:       OpenCL C
    .language_version:
      - 2
      - 0
    .max_flat_workgroup_size: 256
    .name:           _Z39paged_attention_ll4mi_QKV_mfma16_kernelI14__hip_bfloat16hLN4vllm18Fp8KVCacheDataTypeE1EhLi16ELi128ELi256ELb1ELi4EL8MFMAType0EEvPKT_PKT0_S9_ifPKiSB_SB_iPKfiiiPfSE_PS4_PT2_iSD_SD_
    .private_segment_fixed_size: 0
    .sgpr_count:     38
    .sgpr_spill_count: 0
    .symbol:         _Z39paged_attention_ll4mi_QKV_mfma16_kernelI14__hip_bfloat16hLN4vllm18Fp8KVCacheDataTypeE1EhLi16ELi128ELi256ELb1ELi4EL8MFMAType0EEvPKT_PKT0_S9_ifPKiSB_SB_iPKfiiiPfSE_PS4_PT2_iSD_SD_.kd
    .uniform_work_group_size: 1
    .uses_dynamic_stack: false
    .vgpr_count:     140
    .vgpr_spill_count: 0
    .wavefront_size: 32
    .workgroup_processor_mode: 1
  - .args:
      - .actual_access:  read_only
        .address_space:  global
        .offset:         0
        .size:           8
        .value_kind:     global_buffer
      - .actual_access:  read_only
        .address_space:  global
        .offset:         8
        .size:           8
        .value_kind:     global_buffer
      - .actual_access:  read_only
        .address_space:  global
        .offset:         16
        .size:           8
        .value_kind:     global_buffer
      - .offset:         24
        .size:           4
        .value_kind:     by_value
      - .offset:         28
        .size:           4
        .value_kind:     by_value
      - .actual_access:  read_only
        .address_space:  global
        .offset:         32
        .size:           8
        .value_kind:     global_buffer
      - .actual_access:  read_only
        .address_space:  global
        .offset:         40
        .size:           8
        .value_kind:     global_buffer
      - .actual_access:  read_only
        .address_space:  global
        .offset:         48
        .size:           8
        .value_kind:     global_buffer
      - .offset:         56
        .size:           4
        .value_kind:     by_value
      - .actual_access:  read_only
        .address_space:  global
        .offset:         64
        .size:           8
        .value_kind:     global_buffer
      - .offset:         72
        .size:           4
        .value_kind:     by_value
      - .offset:         76
        .size:           4
        .value_kind:     by_value
      - .offset:         80
        .size:           4
        .value_kind:     by_value
      - .actual_access:  write_only
        .address_space:  global
        .offset:         88
        .size:           8
        .value_kind:     global_buffer
      - .actual_access:  write_only
        .address_space:  global
        .offset:         96
        .size:           8
        .value_kind:     global_buffer
      - .actual_access:  write_only
        .address_space:  global
        .offset:         104
        .size:           8
        .value_kind:     global_buffer
      - .actual_access:  read_only
        .address_space:  global
        .offset:         112
        .size:           8
        .value_kind:     global_buffer
      - .offset:         120
        .size:           4
        .value_kind:     by_value
      - .address_space:  global
        .offset:         128
        .size:           8
        .value_kind:     global_buffer
      - .address_space:  global
        .offset:         136
        .size:           8
        .value_kind:     global_buffer
      - .offset:         144
        .size:           4
        .value_kind:     hidden_block_count_x
      - .offset:         148
        .size:           4
        .value_kind:     hidden_block_count_y
      - .offset:         152
        .size:           4
        .value_kind:     hidden_block_count_z
      - .offset:         156
        .size:           2
        .value_kind:     hidden_group_size_x
      - .offset:         158
        .size:           2
        .value_kind:     hidden_group_size_y
      - .offset:         160
        .size:           2
        .value_kind:     hidden_group_size_z
      - .offset:         162
        .size:           2
        .value_kind:     hidden_remainder_x
      - .offset:         164
        .size:           2
        .value_kind:     hidden_remainder_y
      - .offset:         166
        .size:           2
        .value_kind:     hidden_remainder_z
      - .offset:         184
        .size:           8
        .value_kind:     hidden_global_offset_x
      - .offset:         192
        .size:           8
        .value_kind:     hidden_global_offset_y
      - .offset:         200
        .size:           8
        .value_kind:     hidden_global_offset_z
      - .offset:         208
        .size:           2
        .value_kind:     hidden_grid_dims
    .group_segment_fixed_size: 17472
    .kernarg_segment_align: 8
    .kernarg_segment_size: 400
    .language:       OpenCL C
    .language_version:
      - 2
      - 0
    .max_flat_workgroup_size: 256
    .name:           _Z39paged_attention_ll4mi_QKV_mfma16_kernelI14__hip_bfloat16hLN4vllm18Fp8KVCacheDataTypeE1EhLi16ELi128ELi256ELb0ELi5EL8MFMAType0EEvPKT_PKT0_S9_ifPKiSB_SB_iPKfiiiPfSE_PS4_PT2_iSD_SD_
    .private_segment_fixed_size: 0
    .sgpr_count:     38
    .sgpr_spill_count: 0
    .symbol:         _Z39paged_attention_ll4mi_QKV_mfma16_kernelI14__hip_bfloat16hLN4vllm18Fp8KVCacheDataTypeE1EhLi16ELi128ELi256ELb0ELi5EL8MFMAType0EEvPKT_PKT0_S9_ifPKiSB_SB_iPKfiiiPfSE_PS4_PT2_iSD_SD_.kd
    .uniform_work_group_size: 1
    .uses_dynamic_stack: false
    .vgpr_count:     140
    .vgpr_spill_count: 0
    .wavefront_size: 32
    .workgroup_processor_mode: 1
  - .args:
      - .actual_access:  read_only
        .address_space:  global
        .offset:         0
        .size:           8
        .value_kind:     global_buffer
      - .actual_access:  read_only
        .address_space:  global
        .offset:         8
        .size:           8
        .value_kind:     global_buffer
      - .actual_access:  read_only
        .address_space:  global
        .offset:         16
        .size:           8
        .value_kind:     global_buffer
      - .offset:         24
        .size:           4
        .value_kind:     by_value
      - .offset:         28
        .size:           4
        .value_kind:     by_value
      - .actual_access:  read_only
        .address_space:  global
        .offset:         32
        .size:           8
        .value_kind:     global_buffer
      - .actual_access:  read_only
        .address_space:  global
        .offset:         40
        .size:           8
        .value_kind:     global_buffer
      - .actual_access:  read_only
        .address_space:  global
        .offset:         48
        .size:           8
        .value_kind:     global_buffer
      - .offset:         56
        .size:           4
        .value_kind:     by_value
      - .actual_access:  read_only
        .address_space:  global
        .offset:         64
        .size:           8
        .value_kind:     global_buffer
      - .offset:         72
        .size:           4
        .value_kind:     by_value
      - .offset:         76
        .size:           4
        .value_kind:     by_value
      - .offset:         80
        .size:           4
        .value_kind:     by_value
      - .actual_access:  write_only
        .address_space:  global
        .offset:         88
        .size:           8
        .value_kind:     global_buffer
      - .actual_access:  write_only
        .address_space:  global
        .offset:         96
        .size:           8
        .value_kind:     global_buffer
      - .actual_access:  write_only
        .address_space:  global
        .offset:         104
        .size:           8
        .value_kind:     global_buffer
      - .actual_access:  read_only
        .address_space:  global
        .offset:         112
        .size:           8
        .value_kind:     global_buffer
      - .offset:         120
        .size:           4
        .value_kind:     by_value
      - .address_space:  global
        .offset:         128
        .size:           8
        .value_kind:     global_buffer
      - .address_space:  global
        .offset:         136
        .size:           8
        .value_kind:     global_buffer
      - .offset:         144
        .size:           4
        .value_kind:     hidden_block_count_x
      - .offset:         148
        .size:           4
        .value_kind:     hidden_block_count_y
      - .offset:         152
        .size:           4
        .value_kind:     hidden_block_count_z
      - .offset:         156
        .size:           2
        .value_kind:     hidden_group_size_x
      - .offset:         158
        .size:           2
        .value_kind:     hidden_group_size_y
      - .offset:         160
        .size:           2
        .value_kind:     hidden_group_size_z
      - .offset:         162
        .size:           2
        .value_kind:     hidden_remainder_x
      - .offset:         164
        .size:           2
        .value_kind:     hidden_remainder_y
      - .offset:         166
        .size:           2
        .value_kind:     hidden_remainder_z
      - .offset:         184
        .size:           8
        .value_kind:     hidden_global_offset_x
      - .offset:         192
        .size:           8
        .value_kind:     hidden_global_offset_y
      - .offset:         200
        .size:           8
        .value_kind:     hidden_global_offset_z
      - .offset:         208
        .size:           2
        .value_kind:     hidden_grid_dims
    .group_segment_fixed_size: 17472
    .kernarg_segment_align: 8
    .kernarg_segment_size: 400
    .language:       OpenCL C
    .language_version:
      - 2
      - 0
    .max_flat_workgroup_size: 256
    .name:           _Z39paged_attention_ll4mi_QKV_mfma16_kernelI14__hip_bfloat16hLN4vllm18Fp8KVCacheDataTypeE1EhLi16ELi128ELi256ELb0ELi6EL8MFMAType0EEvPKT_PKT0_S9_ifPKiSB_SB_iPKfiiiPfSE_PS4_PT2_iSD_SD_
    .private_segment_fixed_size: 0
    .sgpr_count:     38
    .sgpr_spill_count: 0
    .symbol:         _Z39paged_attention_ll4mi_QKV_mfma16_kernelI14__hip_bfloat16hLN4vllm18Fp8KVCacheDataTypeE1EhLi16ELi128ELi256ELb0ELi6EL8MFMAType0EEvPKT_PKT0_S9_ifPKiSB_SB_iPKfiiiPfSE_PS4_PT2_iSD_SD_.kd
    .uniform_work_group_size: 1
    .uses_dynamic_stack: false
    .vgpr_count:     140
    .vgpr_spill_count: 0
    .wavefront_size: 32
    .workgroup_processor_mode: 1
  - .args:
      - .actual_access:  read_only
        .address_space:  global
        .offset:         0
        .size:           8
        .value_kind:     global_buffer
      - .actual_access:  read_only
        .address_space:  global
        .offset:         8
        .size:           8
        .value_kind:     global_buffer
      - .actual_access:  read_only
        .address_space:  global
        .offset:         16
        .size:           8
        .value_kind:     global_buffer
      - .offset:         24
        .size:           4
        .value_kind:     by_value
      - .offset:         28
        .size:           4
        .value_kind:     by_value
      - .actual_access:  read_only
        .address_space:  global
        .offset:         32
        .size:           8
        .value_kind:     global_buffer
      - .actual_access:  read_only
        .address_space:  global
        .offset:         40
        .size:           8
        .value_kind:     global_buffer
      - .actual_access:  read_only
        .address_space:  global
        .offset:         48
        .size:           8
        .value_kind:     global_buffer
      - .offset:         56
        .size:           4
        .value_kind:     by_value
      - .actual_access:  read_only
        .address_space:  global
        .offset:         64
        .size:           8
        .value_kind:     global_buffer
      - .offset:         72
        .size:           4
        .value_kind:     by_value
      - .offset:         76
        .size:           4
        .value_kind:     by_value
      - .offset:         80
        .size:           4
        .value_kind:     by_value
      - .actual_access:  write_only
        .address_space:  global
        .offset:         88
        .size:           8
        .value_kind:     global_buffer
      - .actual_access:  write_only
        .address_space:  global
        .offset:         96
        .size:           8
        .value_kind:     global_buffer
      - .actual_access:  write_only
        .address_space:  global
        .offset:         104
        .size:           8
        .value_kind:     global_buffer
      - .actual_access:  read_only
        .address_space:  global
        .offset:         112
        .size:           8
        .value_kind:     global_buffer
      - .offset:         120
        .size:           4
        .value_kind:     by_value
      - .address_space:  global
        .offset:         128
        .size:           8
        .value_kind:     global_buffer
      - .address_space:  global
        .offset:         136
        .size:           8
        .value_kind:     global_buffer
      - .offset:         144
        .size:           4
        .value_kind:     hidden_block_count_x
      - .offset:         148
        .size:           4
        .value_kind:     hidden_block_count_y
      - .offset:         152
        .size:           4
        .value_kind:     hidden_block_count_z
      - .offset:         156
        .size:           2
        .value_kind:     hidden_group_size_x
      - .offset:         158
        .size:           2
        .value_kind:     hidden_group_size_y
      - .offset:         160
        .size:           2
        .value_kind:     hidden_group_size_z
      - .offset:         162
        .size:           2
        .value_kind:     hidden_remainder_x
      - .offset:         164
        .size:           2
        .value_kind:     hidden_remainder_y
      - .offset:         166
        .size:           2
        .value_kind:     hidden_remainder_z
      - .offset:         184
        .size:           8
        .value_kind:     hidden_global_offset_x
      - .offset:         192
        .size:           8
        .value_kind:     hidden_global_offset_y
      - .offset:         200
        .size:           8
        .value_kind:     hidden_global_offset_z
      - .offset:         208
        .size:           2
        .value_kind:     hidden_grid_dims
    .group_segment_fixed_size: 17472
    .kernarg_segment_align: 8
    .kernarg_segment_size: 400
    .language:       OpenCL C
    .language_version:
      - 2
      - 0
    .max_flat_workgroup_size: 256
    .name:           _Z39paged_attention_ll4mi_QKV_mfma16_kernelI14__hip_bfloat16hLN4vllm18Fp8KVCacheDataTypeE1EhLi16ELi128ELi256ELb0ELi7EL8MFMAType0EEvPKT_PKT0_S9_ifPKiSB_SB_iPKfiiiPfSE_PS4_PT2_iSD_SD_
    .private_segment_fixed_size: 0
    .sgpr_count:     38
    .sgpr_spill_count: 0
    .symbol:         _Z39paged_attention_ll4mi_QKV_mfma16_kernelI14__hip_bfloat16hLN4vllm18Fp8KVCacheDataTypeE1EhLi16ELi128ELi256ELb0ELi7EL8MFMAType0EEvPKT_PKT0_S9_ifPKiSB_SB_iPKfiiiPfSE_PS4_PT2_iSD_SD_.kd
    .uniform_work_group_size: 1
    .uses_dynamic_stack: false
    .vgpr_count:     140
    .vgpr_spill_count: 0
    .wavefront_size: 32
    .workgroup_processor_mode: 1
  - .args:
      - .actual_access:  read_only
        .address_space:  global
        .offset:         0
        .size:           8
        .value_kind:     global_buffer
      - .actual_access:  read_only
        .address_space:  global
        .offset:         8
        .size:           8
        .value_kind:     global_buffer
      - .actual_access:  read_only
        .address_space:  global
        .offset:         16
        .size:           8
        .value_kind:     global_buffer
      - .offset:         24
        .size:           4
        .value_kind:     by_value
      - .offset:         28
        .size:           4
        .value_kind:     by_value
      - .actual_access:  read_only
        .address_space:  global
        .offset:         32
        .size:           8
        .value_kind:     global_buffer
      - .actual_access:  read_only
        .address_space:  global
        .offset:         40
        .size:           8
        .value_kind:     global_buffer
      - .actual_access:  read_only
        .address_space:  global
        .offset:         48
        .size:           8
        .value_kind:     global_buffer
      - .offset:         56
        .size:           4
        .value_kind:     by_value
      - .actual_access:  read_only
        .address_space:  global
        .offset:         64
        .size:           8
        .value_kind:     global_buffer
      - .offset:         72
        .size:           4
        .value_kind:     by_value
      - .offset:         76
        .size:           4
        .value_kind:     by_value
      - .offset:         80
        .size:           4
        .value_kind:     by_value
      - .actual_access:  write_only
        .address_space:  global
        .offset:         88
        .size:           8
        .value_kind:     global_buffer
      - .actual_access:  write_only
        .address_space:  global
        .offset:         96
        .size:           8
        .value_kind:     global_buffer
      - .actual_access:  write_only
        .address_space:  global
        .offset:         104
        .size:           8
        .value_kind:     global_buffer
      - .actual_access:  read_only
        .address_space:  global
        .offset:         112
        .size:           8
        .value_kind:     global_buffer
      - .offset:         120
        .size:           4
        .value_kind:     by_value
      - .address_space:  global
        .offset:         128
        .size:           8
        .value_kind:     global_buffer
      - .address_space:  global
        .offset:         136
        .size:           8
        .value_kind:     global_buffer
      - .offset:         144
        .size:           4
        .value_kind:     hidden_block_count_x
      - .offset:         148
        .size:           4
        .value_kind:     hidden_block_count_y
      - .offset:         152
        .size:           4
        .value_kind:     hidden_block_count_z
      - .offset:         156
        .size:           2
        .value_kind:     hidden_group_size_x
      - .offset:         158
        .size:           2
        .value_kind:     hidden_group_size_y
      - .offset:         160
        .size:           2
        .value_kind:     hidden_group_size_z
      - .offset:         162
        .size:           2
        .value_kind:     hidden_remainder_x
      - .offset:         164
        .size:           2
        .value_kind:     hidden_remainder_y
      - .offset:         166
        .size:           2
        .value_kind:     hidden_remainder_z
      - .offset:         184
        .size:           8
        .value_kind:     hidden_global_offset_x
      - .offset:         192
        .size:           8
        .value_kind:     hidden_global_offset_y
      - .offset:         200
        .size:           8
        .value_kind:     hidden_global_offset_z
      - .offset:         208
        .size:           2
        .value_kind:     hidden_grid_dims
    .group_segment_fixed_size: 17472
    .kernarg_segment_align: 8
    .kernarg_segment_size: 400
    .language:       OpenCL C
    .language_version:
      - 2
      - 0
    .max_flat_workgroup_size: 256
    .name:           _Z39paged_attention_ll4mi_QKV_mfma16_kernelI14__hip_bfloat16hLN4vllm18Fp8KVCacheDataTypeE1EhLi16ELi128ELi256ELb0ELi8EL8MFMAType0EEvPKT_PKT0_S9_ifPKiSB_SB_iPKfiiiPfSE_PS4_PT2_iSD_SD_
    .private_segment_fixed_size: 0
    .sgpr_count:     38
    .sgpr_spill_count: 0
    .symbol:         _Z39paged_attention_ll4mi_QKV_mfma16_kernelI14__hip_bfloat16hLN4vllm18Fp8KVCacheDataTypeE1EhLi16ELi128ELi256ELb0ELi8EL8MFMAType0EEvPKT_PKT0_S9_ifPKiSB_SB_iPKfiiiPfSE_PS4_PT2_iSD_SD_.kd
    .uniform_work_group_size: 1
    .uses_dynamic_stack: false
    .vgpr_count:     140
    .vgpr_spill_count: 0
    .wavefront_size: 32
    .workgroup_processor_mode: 1
  - .args:
      - .actual_access:  read_only
        .address_space:  global
        .offset:         0
        .size:           8
        .value_kind:     global_buffer
      - .actual_access:  read_only
        .address_space:  global
        .offset:         8
        .size:           8
        .value_kind:     global_buffer
      - .actual_access:  read_only
        .address_space:  global
        .offset:         16
        .size:           8
        .value_kind:     global_buffer
      - .offset:         24
        .size:           4
        .value_kind:     by_value
      - .offset:         28
        .size:           4
        .value_kind:     by_value
      - .actual_access:  read_only
        .address_space:  global
        .offset:         32
        .size:           8
        .value_kind:     global_buffer
      - .actual_access:  read_only
        .address_space:  global
        .offset:         40
        .size:           8
        .value_kind:     global_buffer
      - .actual_access:  read_only
        .address_space:  global
        .offset:         48
        .size:           8
        .value_kind:     global_buffer
      - .offset:         56
        .size:           4
        .value_kind:     by_value
      - .actual_access:  read_only
        .address_space:  global
        .offset:         64
        .size:           8
        .value_kind:     global_buffer
      - .offset:         72
        .size:           4
        .value_kind:     by_value
      - .offset:         76
        .size:           4
        .value_kind:     by_value
      - .offset:         80
        .size:           4
        .value_kind:     by_value
      - .actual_access:  write_only
        .address_space:  global
        .offset:         88
        .size:           8
        .value_kind:     global_buffer
      - .actual_access:  write_only
        .address_space:  global
        .offset:         96
        .size:           8
        .value_kind:     global_buffer
      - .actual_access:  write_only
        .address_space:  global
        .offset:         104
        .size:           8
        .value_kind:     global_buffer
      - .actual_access:  read_only
        .address_space:  global
        .offset:         112
        .size:           8
        .value_kind:     global_buffer
      - .offset:         120
        .size:           4
        .value_kind:     by_value
      - .address_space:  global
        .offset:         128
        .size:           8
        .value_kind:     global_buffer
      - .address_space:  global
        .offset:         136
        .size:           8
        .value_kind:     global_buffer
      - .offset:         144
        .size:           4
        .value_kind:     hidden_block_count_x
      - .offset:         148
        .size:           4
        .value_kind:     hidden_block_count_y
      - .offset:         152
        .size:           4
        .value_kind:     hidden_block_count_z
      - .offset:         156
        .size:           2
        .value_kind:     hidden_group_size_x
      - .offset:         158
        .size:           2
        .value_kind:     hidden_group_size_y
      - .offset:         160
        .size:           2
        .value_kind:     hidden_group_size_z
      - .offset:         162
        .size:           2
        .value_kind:     hidden_remainder_x
      - .offset:         164
        .size:           2
        .value_kind:     hidden_remainder_y
      - .offset:         166
        .size:           2
        .value_kind:     hidden_remainder_z
      - .offset:         184
        .size:           8
        .value_kind:     hidden_global_offset_x
      - .offset:         192
        .size:           8
        .value_kind:     hidden_global_offset_y
      - .offset:         200
        .size:           8
        .value_kind:     hidden_global_offset_z
      - .offset:         208
        .size:           2
        .value_kind:     hidden_grid_dims
    .group_segment_fixed_size: 17472
    .kernarg_segment_align: 8
    .kernarg_segment_size: 400
    .language:       OpenCL C
    .language_version:
      - 2
      - 0
    .max_flat_workgroup_size: 256
    .name:           _Z39paged_attention_ll4mi_QKV_mfma16_kernelI14__hip_bfloat16hLN4vllm18Fp8KVCacheDataTypeE1EhLi16ELi128ELi256ELb0ELi9EL8MFMAType0EEvPKT_PKT0_S9_ifPKiSB_SB_iPKfiiiPfSE_PS4_PT2_iSD_SD_
    .private_segment_fixed_size: 0
    .sgpr_count:     38
    .sgpr_spill_count: 0
    .symbol:         _Z39paged_attention_ll4mi_QKV_mfma16_kernelI14__hip_bfloat16hLN4vllm18Fp8KVCacheDataTypeE1EhLi16ELi128ELi256ELb0ELi9EL8MFMAType0EEvPKT_PKT0_S9_ifPKiSB_SB_iPKfiiiPfSE_PS4_PT2_iSD_SD_.kd
    .uniform_work_group_size: 1
    .uses_dynamic_stack: false
    .vgpr_count:     140
    .vgpr_spill_count: 0
    .wavefront_size: 32
    .workgroup_processor_mode: 1
  - .args:
      - .actual_access:  read_only
        .address_space:  global
        .offset:         0
        .size:           8
        .value_kind:     global_buffer
      - .actual_access:  read_only
        .address_space:  global
        .offset:         8
        .size:           8
        .value_kind:     global_buffer
      - .actual_access:  read_only
        .address_space:  global
        .offset:         16
        .size:           8
        .value_kind:     global_buffer
      - .offset:         24
        .size:           4
        .value_kind:     by_value
      - .offset:         28
        .size:           4
        .value_kind:     by_value
      - .actual_access:  read_only
        .address_space:  global
        .offset:         32
        .size:           8
        .value_kind:     global_buffer
      - .actual_access:  read_only
        .address_space:  global
        .offset:         40
        .size:           8
        .value_kind:     global_buffer
      - .actual_access:  read_only
        .address_space:  global
        .offset:         48
        .size:           8
        .value_kind:     global_buffer
      - .offset:         56
        .size:           4
        .value_kind:     by_value
      - .actual_access:  read_only
        .address_space:  global
        .offset:         64
        .size:           8
        .value_kind:     global_buffer
      - .offset:         72
        .size:           4
        .value_kind:     by_value
      - .offset:         76
        .size:           4
        .value_kind:     by_value
      - .offset:         80
        .size:           4
        .value_kind:     by_value
      - .actual_access:  write_only
        .address_space:  global
        .offset:         88
        .size:           8
        .value_kind:     global_buffer
      - .actual_access:  write_only
        .address_space:  global
        .offset:         96
        .size:           8
        .value_kind:     global_buffer
      - .actual_access:  write_only
        .address_space:  global
        .offset:         104
        .size:           8
        .value_kind:     global_buffer
      - .actual_access:  read_only
        .address_space:  global
        .offset:         112
        .size:           8
        .value_kind:     global_buffer
      - .offset:         120
        .size:           4
        .value_kind:     by_value
      - .address_space:  global
        .offset:         128
        .size:           8
        .value_kind:     global_buffer
      - .address_space:  global
        .offset:         136
        .size:           8
        .value_kind:     global_buffer
      - .offset:         144
        .size:           4
        .value_kind:     hidden_block_count_x
      - .offset:         148
        .size:           4
        .value_kind:     hidden_block_count_y
      - .offset:         152
        .size:           4
        .value_kind:     hidden_block_count_z
      - .offset:         156
        .size:           2
        .value_kind:     hidden_group_size_x
      - .offset:         158
        .size:           2
        .value_kind:     hidden_group_size_y
      - .offset:         160
        .size:           2
        .value_kind:     hidden_group_size_z
      - .offset:         162
        .size:           2
        .value_kind:     hidden_remainder_x
      - .offset:         164
        .size:           2
        .value_kind:     hidden_remainder_y
      - .offset:         166
        .size:           2
        .value_kind:     hidden_remainder_z
      - .offset:         184
        .size:           8
        .value_kind:     hidden_global_offset_x
      - .offset:         192
        .size:           8
        .value_kind:     hidden_global_offset_y
      - .offset:         200
        .size:           8
        .value_kind:     hidden_global_offset_z
      - .offset:         208
        .size:           2
        .value_kind:     hidden_grid_dims
    .group_segment_fixed_size: 17472
    .kernarg_segment_align: 8
    .kernarg_segment_size: 400
    .language:       OpenCL C
    .language_version:
      - 2
      - 0
    .max_flat_workgroup_size: 256
    .name:           _Z39paged_attention_ll4mi_QKV_mfma16_kernelI14__hip_bfloat16hLN4vllm18Fp8KVCacheDataTypeE1EhLi16ELi128ELi256ELb0ELi10EL8MFMAType0EEvPKT_PKT0_S9_ifPKiSB_SB_iPKfiiiPfSE_PS4_PT2_iSD_SD_
    .private_segment_fixed_size: 0
    .sgpr_count:     38
    .sgpr_spill_count: 0
    .symbol:         _Z39paged_attention_ll4mi_QKV_mfma16_kernelI14__hip_bfloat16hLN4vllm18Fp8KVCacheDataTypeE1EhLi16ELi128ELi256ELb0ELi10EL8MFMAType0EEvPKT_PKT0_S9_ifPKiSB_SB_iPKfiiiPfSE_PS4_PT2_iSD_SD_.kd
    .uniform_work_group_size: 1
    .uses_dynamic_stack: false
    .vgpr_count:     140
    .vgpr_spill_count: 0
    .wavefront_size: 32
    .workgroup_processor_mode: 1
  - .args:
      - .actual_access:  read_only
        .address_space:  global
        .offset:         0
        .size:           8
        .value_kind:     global_buffer
      - .actual_access:  read_only
        .address_space:  global
        .offset:         8
        .size:           8
        .value_kind:     global_buffer
      - .actual_access:  read_only
        .address_space:  global
        .offset:         16
        .size:           8
        .value_kind:     global_buffer
      - .offset:         24
        .size:           4
        .value_kind:     by_value
      - .offset:         28
        .size:           4
        .value_kind:     by_value
      - .actual_access:  read_only
        .address_space:  global
        .offset:         32
        .size:           8
        .value_kind:     global_buffer
      - .actual_access:  read_only
        .address_space:  global
        .offset:         40
        .size:           8
        .value_kind:     global_buffer
      - .actual_access:  read_only
        .address_space:  global
        .offset:         48
        .size:           8
        .value_kind:     global_buffer
      - .offset:         56
        .size:           4
        .value_kind:     by_value
      - .actual_access:  read_only
        .address_space:  global
        .offset:         64
        .size:           8
        .value_kind:     global_buffer
      - .offset:         72
        .size:           4
        .value_kind:     by_value
      - .offset:         76
        .size:           4
        .value_kind:     by_value
      - .offset:         80
        .size:           4
        .value_kind:     by_value
      - .actual_access:  write_only
        .address_space:  global
        .offset:         88
        .size:           8
        .value_kind:     global_buffer
      - .actual_access:  write_only
        .address_space:  global
        .offset:         96
        .size:           8
        .value_kind:     global_buffer
      - .actual_access:  write_only
        .address_space:  global
        .offset:         104
        .size:           8
        .value_kind:     global_buffer
      - .actual_access:  read_only
        .address_space:  global
        .offset:         112
        .size:           8
        .value_kind:     global_buffer
      - .offset:         120
        .size:           4
        .value_kind:     by_value
      - .address_space:  global
        .offset:         128
        .size:           8
        .value_kind:     global_buffer
      - .address_space:  global
        .offset:         136
        .size:           8
        .value_kind:     global_buffer
      - .offset:         144
        .size:           4
        .value_kind:     hidden_block_count_x
      - .offset:         148
        .size:           4
        .value_kind:     hidden_block_count_y
      - .offset:         152
        .size:           4
        .value_kind:     hidden_block_count_z
      - .offset:         156
        .size:           2
        .value_kind:     hidden_group_size_x
      - .offset:         158
        .size:           2
        .value_kind:     hidden_group_size_y
      - .offset:         160
        .size:           2
        .value_kind:     hidden_group_size_z
      - .offset:         162
        .size:           2
        .value_kind:     hidden_remainder_x
      - .offset:         164
        .size:           2
        .value_kind:     hidden_remainder_y
      - .offset:         166
        .size:           2
        .value_kind:     hidden_remainder_z
      - .offset:         184
        .size:           8
        .value_kind:     hidden_global_offset_x
      - .offset:         192
        .size:           8
        .value_kind:     hidden_global_offset_y
      - .offset:         200
        .size:           8
        .value_kind:     hidden_global_offset_z
      - .offset:         208
        .size:           2
        .value_kind:     hidden_grid_dims
    .group_segment_fixed_size: 17472
    .kernarg_segment_align: 8
    .kernarg_segment_size: 400
    .language:       OpenCL C
    .language_version:
      - 2
      - 0
    .max_flat_workgroup_size: 256
    .name:           _Z39paged_attention_ll4mi_QKV_mfma16_kernelI14__hip_bfloat16hLN4vllm18Fp8KVCacheDataTypeE1EhLi16ELi128ELi256ELb0ELi11EL8MFMAType0EEvPKT_PKT0_S9_ifPKiSB_SB_iPKfiiiPfSE_PS4_PT2_iSD_SD_
    .private_segment_fixed_size: 0
    .sgpr_count:     38
    .sgpr_spill_count: 0
    .symbol:         _Z39paged_attention_ll4mi_QKV_mfma16_kernelI14__hip_bfloat16hLN4vllm18Fp8KVCacheDataTypeE1EhLi16ELi128ELi256ELb0ELi11EL8MFMAType0EEvPKT_PKT0_S9_ifPKiSB_SB_iPKfiiiPfSE_PS4_PT2_iSD_SD_.kd
    .uniform_work_group_size: 1
    .uses_dynamic_stack: false
    .vgpr_count:     140
    .vgpr_spill_count: 0
    .wavefront_size: 32
    .workgroup_processor_mode: 1
  - .args:
      - .actual_access:  read_only
        .address_space:  global
        .offset:         0
        .size:           8
        .value_kind:     global_buffer
      - .actual_access:  read_only
        .address_space:  global
        .offset:         8
        .size:           8
        .value_kind:     global_buffer
      - .actual_access:  read_only
        .address_space:  global
        .offset:         16
        .size:           8
        .value_kind:     global_buffer
      - .offset:         24
        .size:           4
        .value_kind:     by_value
      - .offset:         28
        .size:           4
        .value_kind:     by_value
      - .actual_access:  read_only
        .address_space:  global
        .offset:         32
        .size:           8
        .value_kind:     global_buffer
      - .actual_access:  read_only
        .address_space:  global
        .offset:         40
        .size:           8
        .value_kind:     global_buffer
      - .actual_access:  read_only
        .address_space:  global
        .offset:         48
        .size:           8
        .value_kind:     global_buffer
      - .offset:         56
        .size:           4
        .value_kind:     by_value
      - .actual_access:  read_only
        .address_space:  global
        .offset:         64
        .size:           8
        .value_kind:     global_buffer
      - .offset:         72
        .size:           4
        .value_kind:     by_value
      - .offset:         76
        .size:           4
        .value_kind:     by_value
      - .offset:         80
        .size:           4
        .value_kind:     by_value
      - .actual_access:  write_only
        .address_space:  global
        .offset:         88
        .size:           8
        .value_kind:     global_buffer
      - .actual_access:  write_only
        .address_space:  global
        .offset:         96
        .size:           8
        .value_kind:     global_buffer
      - .actual_access:  write_only
        .address_space:  global
        .offset:         104
        .size:           8
        .value_kind:     global_buffer
      - .actual_access:  read_only
        .address_space:  global
        .offset:         112
        .size:           8
        .value_kind:     global_buffer
      - .offset:         120
        .size:           4
        .value_kind:     by_value
      - .address_space:  global
        .offset:         128
        .size:           8
        .value_kind:     global_buffer
      - .address_space:  global
        .offset:         136
        .size:           8
        .value_kind:     global_buffer
      - .offset:         144
        .size:           4
        .value_kind:     hidden_block_count_x
      - .offset:         148
        .size:           4
        .value_kind:     hidden_block_count_y
      - .offset:         152
        .size:           4
        .value_kind:     hidden_block_count_z
      - .offset:         156
        .size:           2
        .value_kind:     hidden_group_size_x
      - .offset:         158
        .size:           2
        .value_kind:     hidden_group_size_y
      - .offset:         160
        .size:           2
        .value_kind:     hidden_group_size_z
      - .offset:         162
        .size:           2
        .value_kind:     hidden_remainder_x
      - .offset:         164
        .size:           2
        .value_kind:     hidden_remainder_y
      - .offset:         166
        .size:           2
        .value_kind:     hidden_remainder_z
      - .offset:         184
        .size:           8
        .value_kind:     hidden_global_offset_x
      - .offset:         192
        .size:           8
        .value_kind:     hidden_global_offset_y
      - .offset:         200
        .size:           8
        .value_kind:     hidden_global_offset_z
      - .offset:         208
        .size:           2
        .value_kind:     hidden_grid_dims
    .group_segment_fixed_size: 17472
    .kernarg_segment_align: 8
    .kernarg_segment_size: 400
    .language:       OpenCL C
    .language_version:
      - 2
      - 0
    .max_flat_workgroup_size: 256
    .name:           _Z39paged_attention_ll4mi_QKV_mfma16_kernelI14__hip_bfloat16hLN4vllm18Fp8KVCacheDataTypeE1EhLi16ELi128ELi256ELb0ELi12EL8MFMAType0EEvPKT_PKT0_S9_ifPKiSB_SB_iPKfiiiPfSE_PS4_PT2_iSD_SD_
    .private_segment_fixed_size: 0
    .sgpr_count:     38
    .sgpr_spill_count: 0
    .symbol:         _Z39paged_attention_ll4mi_QKV_mfma16_kernelI14__hip_bfloat16hLN4vllm18Fp8KVCacheDataTypeE1EhLi16ELi128ELi256ELb0ELi12EL8MFMAType0EEvPKT_PKT0_S9_ifPKiSB_SB_iPKfiiiPfSE_PS4_PT2_iSD_SD_.kd
    .uniform_work_group_size: 1
    .uses_dynamic_stack: false
    .vgpr_count:     140
    .vgpr_spill_count: 0
    .wavefront_size: 32
    .workgroup_processor_mode: 1
  - .args:
      - .actual_access:  read_only
        .address_space:  global
        .offset:         0
        .size:           8
        .value_kind:     global_buffer
      - .actual_access:  read_only
        .address_space:  global
        .offset:         8
        .size:           8
        .value_kind:     global_buffer
      - .actual_access:  read_only
        .address_space:  global
        .offset:         16
        .size:           8
        .value_kind:     global_buffer
      - .offset:         24
        .size:           4
        .value_kind:     by_value
      - .offset:         28
        .size:           4
        .value_kind:     by_value
      - .actual_access:  read_only
        .address_space:  global
        .offset:         32
        .size:           8
        .value_kind:     global_buffer
      - .actual_access:  read_only
        .address_space:  global
        .offset:         40
        .size:           8
        .value_kind:     global_buffer
      - .actual_access:  read_only
        .address_space:  global
        .offset:         48
        .size:           8
        .value_kind:     global_buffer
      - .offset:         56
        .size:           4
        .value_kind:     by_value
      - .actual_access:  read_only
        .address_space:  global
        .offset:         64
        .size:           8
        .value_kind:     global_buffer
      - .offset:         72
        .size:           4
        .value_kind:     by_value
      - .offset:         76
        .size:           4
        .value_kind:     by_value
      - .offset:         80
        .size:           4
        .value_kind:     by_value
      - .actual_access:  write_only
        .address_space:  global
        .offset:         88
        .size:           8
        .value_kind:     global_buffer
      - .actual_access:  write_only
        .address_space:  global
        .offset:         96
        .size:           8
        .value_kind:     global_buffer
      - .actual_access:  write_only
        .address_space:  global
        .offset:         104
        .size:           8
        .value_kind:     global_buffer
      - .actual_access:  read_only
        .address_space:  global
        .offset:         112
        .size:           8
        .value_kind:     global_buffer
      - .offset:         120
        .size:           4
        .value_kind:     by_value
      - .address_space:  global
        .offset:         128
        .size:           8
        .value_kind:     global_buffer
      - .address_space:  global
        .offset:         136
        .size:           8
        .value_kind:     global_buffer
      - .offset:         144
        .size:           4
        .value_kind:     hidden_block_count_x
      - .offset:         148
        .size:           4
        .value_kind:     hidden_block_count_y
      - .offset:         152
        .size:           4
        .value_kind:     hidden_block_count_z
      - .offset:         156
        .size:           2
        .value_kind:     hidden_group_size_x
      - .offset:         158
        .size:           2
        .value_kind:     hidden_group_size_y
      - .offset:         160
        .size:           2
        .value_kind:     hidden_group_size_z
      - .offset:         162
        .size:           2
        .value_kind:     hidden_remainder_x
      - .offset:         164
        .size:           2
        .value_kind:     hidden_remainder_y
      - .offset:         166
        .size:           2
        .value_kind:     hidden_remainder_z
      - .offset:         184
        .size:           8
        .value_kind:     hidden_global_offset_x
      - .offset:         192
        .size:           8
        .value_kind:     hidden_global_offset_y
      - .offset:         200
        .size:           8
        .value_kind:     hidden_global_offset_z
      - .offset:         208
        .size:           2
        .value_kind:     hidden_grid_dims
    .group_segment_fixed_size: 17472
    .kernarg_segment_align: 8
    .kernarg_segment_size: 400
    .language:       OpenCL C
    .language_version:
      - 2
      - 0
    .max_flat_workgroup_size: 256
    .name:           _Z39paged_attention_ll4mi_QKV_mfma16_kernelI14__hip_bfloat16hLN4vllm18Fp8KVCacheDataTypeE1EhLi16ELi128ELi256ELb0ELi13EL8MFMAType0EEvPKT_PKT0_S9_ifPKiSB_SB_iPKfiiiPfSE_PS4_PT2_iSD_SD_
    .private_segment_fixed_size: 0
    .sgpr_count:     38
    .sgpr_spill_count: 0
    .symbol:         _Z39paged_attention_ll4mi_QKV_mfma16_kernelI14__hip_bfloat16hLN4vllm18Fp8KVCacheDataTypeE1EhLi16ELi128ELi256ELb0ELi13EL8MFMAType0EEvPKT_PKT0_S9_ifPKiSB_SB_iPKfiiiPfSE_PS4_PT2_iSD_SD_.kd
    .uniform_work_group_size: 1
    .uses_dynamic_stack: false
    .vgpr_count:     140
    .vgpr_spill_count: 0
    .wavefront_size: 32
    .workgroup_processor_mode: 1
  - .args:
      - .actual_access:  read_only
        .address_space:  global
        .offset:         0
        .size:           8
        .value_kind:     global_buffer
      - .actual_access:  read_only
        .address_space:  global
        .offset:         8
        .size:           8
        .value_kind:     global_buffer
      - .actual_access:  read_only
        .address_space:  global
        .offset:         16
        .size:           8
        .value_kind:     global_buffer
      - .offset:         24
        .size:           4
        .value_kind:     by_value
      - .offset:         28
        .size:           4
        .value_kind:     by_value
      - .actual_access:  read_only
        .address_space:  global
        .offset:         32
        .size:           8
        .value_kind:     global_buffer
      - .actual_access:  read_only
        .address_space:  global
        .offset:         40
        .size:           8
        .value_kind:     global_buffer
      - .actual_access:  read_only
        .address_space:  global
        .offset:         48
        .size:           8
        .value_kind:     global_buffer
      - .offset:         56
        .size:           4
        .value_kind:     by_value
      - .actual_access:  read_only
        .address_space:  global
        .offset:         64
        .size:           8
        .value_kind:     global_buffer
      - .offset:         72
        .size:           4
        .value_kind:     by_value
      - .offset:         76
        .size:           4
        .value_kind:     by_value
      - .offset:         80
        .size:           4
        .value_kind:     by_value
      - .actual_access:  write_only
        .address_space:  global
        .offset:         88
        .size:           8
        .value_kind:     global_buffer
      - .actual_access:  write_only
        .address_space:  global
        .offset:         96
        .size:           8
        .value_kind:     global_buffer
      - .actual_access:  write_only
        .address_space:  global
        .offset:         104
        .size:           8
        .value_kind:     global_buffer
      - .actual_access:  read_only
        .address_space:  global
        .offset:         112
        .size:           8
        .value_kind:     global_buffer
      - .offset:         120
        .size:           4
        .value_kind:     by_value
      - .address_space:  global
        .offset:         128
        .size:           8
        .value_kind:     global_buffer
      - .address_space:  global
        .offset:         136
        .size:           8
        .value_kind:     global_buffer
      - .offset:         144
        .size:           4
        .value_kind:     hidden_block_count_x
      - .offset:         148
        .size:           4
        .value_kind:     hidden_block_count_y
      - .offset:         152
        .size:           4
        .value_kind:     hidden_block_count_z
      - .offset:         156
        .size:           2
        .value_kind:     hidden_group_size_x
      - .offset:         158
        .size:           2
        .value_kind:     hidden_group_size_y
      - .offset:         160
        .size:           2
        .value_kind:     hidden_group_size_z
      - .offset:         162
        .size:           2
        .value_kind:     hidden_remainder_x
      - .offset:         164
        .size:           2
        .value_kind:     hidden_remainder_y
      - .offset:         166
        .size:           2
        .value_kind:     hidden_remainder_z
      - .offset:         184
        .size:           8
        .value_kind:     hidden_global_offset_x
      - .offset:         192
        .size:           8
        .value_kind:     hidden_global_offset_y
      - .offset:         200
        .size:           8
        .value_kind:     hidden_global_offset_z
      - .offset:         208
        .size:           2
        .value_kind:     hidden_grid_dims
    .group_segment_fixed_size: 17472
    .kernarg_segment_align: 8
    .kernarg_segment_size: 400
    .language:       OpenCL C
    .language_version:
      - 2
      - 0
    .max_flat_workgroup_size: 256
    .name:           _Z39paged_attention_ll4mi_QKV_mfma16_kernelI14__hip_bfloat16hLN4vllm18Fp8KVCacheDataTypeE1EhLi16ELi128ELi256ELb0ELi14EL8MFMAType0EEvPKT_PKT0_S9_ifPKiSB_SB_iPKfiiiPfSE_PS4_PT2_iSD_SD_
    .private_segment_fixed_size: 0
    .sgpr_count:     38
    .sgpr_spill_count: 0
    .symbol:         _Z39paged_attention_ll4mi_QKV_mfma16_kernelI14__hip_bfloat16hLN4vllm18Fp8KVCacheDataTypeE1EhLi16ELi128ELi256ELb0ELi14EL8MFMAType0EEvPKT_PKT0_S9_ifPKiSB_SB_iPKfiiiPfSE_PS4_PT2_iSD_SD_.kd
    .uniform_work_group_size: 1
    .uses_dynamic_stack: false
    .vgpr_count:     140
    .vgpr_spill_count: 0
    .wavefront_size: 32
    .workgroup_processor_mode: 1
  - .args:
      - .actual_access:  read_only
        .address_space:  global
        .offset:         0
        .size:           8
        .value_kind:     global_buffer
      - .actual_access:  read_only
        .address_space:  global
        .offset:         8
        .size:           8
        .value_kind:     global_buffer
      - .actual_access:  read_only
        .address_space:  global
        .offset:         16
        .size:           8
        .value_kind:     global_buffer
      - .offset:         24
        .size:           4
        .value_kind:     by_value
      - .offset:         28
        .size:           4
        .value_kind:     by_value
      - .actual_access:  read_only
        .address_space:  global
        .offset:         32
        .size:           8
        .value_kind:     global_buffer
      - .actual_access:  read_only
        .address_space:  global
        .offset:         40
        .size:           8
        .value_kind:     global_buffer
      - .actual_access:  read_only
        .address_space:  global
        .offset:         48
        .size:           8
        .value_kind:     global_buffer
      - .offset:         56
        .size:           4
        .value_kind:     by_value
      - .actual_access:  read_only
        .address_space:  global
        .offset:         64
        .size:           8
        .value_kind:     global_buffer
      - .offset:         72
        .size:           4
        .value_kind:     by_value
      - .offset:         76
        .size:           4
        .value_kind:     by_value
      - .offset:         80
        .size:           4
        .value_kind:     by_value
      - .actual_access:  write_only
        .address_space:  global
        .offset:         88
        .size:           8
        .value_kind:     global_buffer
      - .actual_access:  write_only
        .address_space:  global
        .offset:         96
        .size:           8
        .value_kind:     global_buffer
      - .actual_access:  write_only
        .address_space:  global
        .offset:         104
        .size:           8
        .value_kind:     global_buffer
      - .actual_access:  read_only
        .address_space:  global
        .offset:         112
        .size:           8
        .value_kind:     global_buffer
      - .offset:         120
        .size:           4
        .value_kind:     by_value
      - .address_space:  global
        .offset:         128
        .size:           8
        .value_kind:     global_buffer
      - .address_space:  global
        .offset:         136
        .size:           8
        .value_kind:     global_buffer
      - .offset:         144
        .size:           4
        .value_kind:     hidden_block_count_x
      - .offset:         148
        .size:           4
        .value_kind:     hidden_block_count_y
      - .offset:         152
        .size:           4
        .value_kind:     hidden_block_count_z
      - .offset:         156
        .size:           2
        .value_kind:     hidden_group_size_x
      - .offset:         158
        .size:           2
        .value_kind:     hidden_group_size_y
      - .offset:         160
        .size:           2
        .value_kind:     hidden_group_size_z
      - .offset:         162
        .size:           2
        .value_kind:     hidden_remainder_x
      - .offset:         164
        .size:           2
        .value_kind:     hidden_remainder_y
      - .offset:         166
        .size:           2
        .value_kind:     hidden_remainder_z
      - .offset:         184
        .size:           8
        .value_kind:     hidden_global_offset_x
      - .offset:         192
        .size:           8
        .value_kind:     hidden_global_offset_y
      - .offset:         200
        .size:           8
        .value_kind:     hidden_global_offset_z
      - .offset:         208
        .size:           2
        .value_kind:     hidden_grid_dims
    .group_segment_fixed_size: 17472
    .kernarg_segment_align: 8
    .kernarg_segment_size: 400
    .language:       OpenCL C
    .language_version:
      - 2
      - 0
    .max_flat_workgroup_size: 256
    .name:           _Z39paged_attention_ll4mi_QKV_mfma16_kernelI14__hip_bfloat16hLN4vllm18Fp8KVCacheDataTypeE1EhLi16ELi128ELi256ELb0ELi15EL8MFMAType0EEvPKT_PKT0_S9_ifPKiSB_SB_iPKfiiiPfSE_PS4_PT2_iSD_SD_
    .private_segment_fixed_size: 0
    .sgpr_count:     38
    .sgpr_spill_count: 0
    .symbol:         _Z39paged_attention_ll4mi_QKV_mfma16_kernelI14__hip_bfloat16hLN4vllm18Fp8KVCacheDataTypeE1EhLi16ELi128ELi256ELb0ELi15EL8MFMAType0EEvPKT_PKT0_S9_ifPKiSB_SB_iPKfiiiPfSE_PS4_PT2_iSD_SD_.kd
    .uniform_work_group_size: 1
    .uses_dynamic_stack: false
    .vgpr_count:     140
    .vgpr_spill_count: 0
    .wavefront_size: 32
    .workgroup_processor_mode: 1
  - .args:
      - .actual_access:  read_only
        .address_space:  global
        .offset:         0
        .size:           8
        .value_kind:     global_buffer
      - .actual_access:  read_only
        .address_space:  global
        .offset:         8
        .size:           8
        .value_kind:     global_buffer
      - .actual_access:  read_only
        .address_space:  global
        .offset:         16
        .size:           8
        .value_kind:     global_buffer
      - .offset:         24
        .size:           4
        .value_kind:     by_value
      - .offset:         28
        .size:           4
        .value_kind:     by_value
      - .actual_access:  read_only
        .address_space:  global
        .offset:         32
        .size:           8
        .value_kind:     global_buffer
      - .actual_access:  read_only
        .address_space:  global
        .offset:         40
        .size:           8
        .value_kind:     global_buffer
      - .actual_access:  read_only
        .address_space:  global
        .offset:         48
        .size:           8
        .value_kind:     global_buffer
      - .offset:         56
        .size:           4
        .value_kind:     by_value
      - .actual_access:  read_only
        .address_space:  global
        .offset:         64
        .size:           8
        .value_kind:     global_buffer
      - .offset:         72
        .size:           4
        .value_kind:     by_value
      - .offset:         76
        .size:           4
        .value_kind:     by_value
      - .offset:         80
        .size:           4
        .value_kind:     by_value
      - .actual_access:  write_only
        .address_space:  global
        .offset:         88
        .size:           8
        .value_kind:     global_buffer
      - .actual_access:  write_only
        .address_space:  global
        .offset:         96
        .size:           8
        .value_kind:     global_buffer
      - .actual_access:  write_only
        .address_space:  global
        .offset:         104
        .size:           8
        .value_kind:     global_buffer
      - .actual_access:  read_only
        .address_space:  global
        .offset:         112
        .size:           8
        .value_kind:     global_buffer
      - .offset:         120
        .size:           4
        .value_kind:     by_value
      - .address_space:  global
        .offset:         128
        .size:           8
        .value_kind:     global_buffer
      - .address_space:  global
        .offset:         136
        .size:           8
        .value_kind:     global_buffer
      - .offset:         144
        .size:           4
        .value_kind:     hidden_block_count_x
      - .offset:         148
        .size:           4
        .value_kind:     hidden_block_count_y
      - .offset:         152
        .size:           4
        .value_kind:     hidden_block_count_z
      - .offset:         156
        .size:           2
        .value_kind:     hidden_group_size_x
      - .offset:         158
        .size:           2
        .value_kind:     hidden_group_size_y
      - .offset:         160
        .size:           2
        .value_kind:     hidden_group_size_z
      - .offset:         162
        .size:           2
        .value_kind:     hidden_remainder_x
      - .offset:         164
        .size:           2
        .value_kind:     hidden_remainder_y
      - .offset:         166
        .size:           2
        .value_kind:     hidden_remainder_z
      - .offset:         184
        .size:           8
        .value_kind:     hidden_global_offset_x
      - .offset:         192
        .size:           8
        .value_kind:     hidden_global_offset_y
      - .offset:         200
        .size:           8
        .value_kind:     hidden_global_offset_z
      - .offset:         208
        .size:           2
        .value_kind:     hidden_grid_dims
    .group_segment_fixed_size: 17472
    .kernarg_segment_align: 8
    .kernarg_segment_size: 400
    .language:       OpenCL C
    .language_version:
      - 2
      - 0
    .max_flat_workgroup_size: 256
    .name:           _Z39paged_attention_ll4mi_QKV_mfma16_kernelI14__hip_bfloat16hLN4vllm18Fp8KVCacheDataTypeE1EhLi16ELi128ELi256ELb0ELi16EL8MFMAType0EEvPKT_PKT0_S9_ifPKiSB_SB_iPKfiiiPfSE_PS4_PT2_iSD_SD_
    .private_segment_fixed_size: 0
    .sgpr_count:     38
    .sgpr_spill_count: 0
    .symbol:         _Z39paged_attention_ll4mi_QKV_mfma16_kernelI14__hip_bfloat16hLN4vllm18Fp8KVCacheDataTypeE1EhLi16ELi128ELi256ELb0ELi16EL8MFMAType0EEvPKT_PKT0_S9_ifPKiSB_SB_iPKfiiiPfSE_PS4_PT2_iSD_SD_.kd
    .uniform_work_group_size: 1
    .uses_dynamic_stack: false
    .vgpr_count:     141
    .vgpr_spill_count: 0
    .wavefront_size: 32
    .workgroup_processor_mode: 1
  - .args:
      - .actual_access:  read_only
        .address_space:  global
        .offset:         0
        .size:           8
        .value_kind:     global_buffer
      - .actual_access:  read_only
        .address_space:  global
        .offset:         8
        .size:           8
        .value_kind:     global_buffer
      - .actual_access:  read_only
        .address_space:  global
        .offset:         16
        .size:           8
        .value_kind:     global_buffer
      - .offset:         24
        .size:           4
        .value_kind:     by_value
      - .offset:         28
        .size:           4
        .value_kind:     by_value
      - .actual_access:  read_only
        .address_space:  global
        .offset:         32
        .size:           8
        .value_kind:     global_buffer
      - .actual_access:  read_only
        .address_space:  global
        .offset:         40
        .size:           8
        .value_kind:     global_buffer
      - .actual_access:  read_only
        .address_space:  global
        .offset:         48
        .size:           8
        .value_kind:     global_buffer
      - .offset:         56
        .size:           4
        .value_kind:     by_value
      - .actual_access:  read_only
        .address_space:  global
        .offset:         64
        .size:           8
        .value_kind:     global_buffer
      - .offset:         72
        .size:           4
        .value_kind:     by_value
      - .offset:         76
        .size:           4
        .value_kind:     by_value
      - .offset:         80
        .size:           4
        .value_kind:     by_value
      - .actual_access:  write_only
        .address_space:  global
        .offset:         88
        .size:           8
        .value_kind:     global_buffer
      - .actual_access:  write_only
        .address_space:  global
        .offset:         96
        .size:           8
        .value_kind:     global_buffer
      - .actual_access:  write_only
        .address_space:  global
        .offset:         104
        .size:           8
        .value_kind:     global_buffer
      - .actual_access:  read_only
        .address_space:  global
        .offset:         112
        .size:           8
        .value_kind:     global_buffer
      - .offset:         120
        .size:           4
        .value_kind:     by_value
      - .address_space:  global
        .offset:         128
        .size:           8
        .value_kind:     global_buffer
      - .address_space:  global
        .offset:         136
        .size:           8
        .value_kind:     global_buffer
      - .offset:         144
        .size:           4
        .value_kind:     hidden_block_count_x
      - .offset:         148
        .size:           4
        .value_kind:     hidden_block_count_y
      - .offset:         152
        .size:           4
        .value_kind:     hidden_block_count_z
      - .offset:         156
        .size:           2
        .value_kind:     hidden_group_size_x
      - .offset:         158
        .size:           2
        .value_kind:     hidden_group_size_y
      - .offset:         160
        .size:           2
        .value_kind:     hidden_group_size_z
      - .offset:         162
        .size:           2
        .value_kind:     hidden_remainder_x
      - .offset:         164
        .size:           2
        .value_kind:     hidden_remainder_y
      - .offset:         166
        .size:           2
        .value_kind:     hidden_remainder_z
      - .offset:         184
        .size:           8
        .value_kind:     hidden_global_offset_x
      - .offset:         192
        .size:           8
        .value_kind:     hidden_global_offset_y
      - .offset:         200
        .size:           8
        .value_kind:     hidden_global_offset_z
      - .offset:         208
        .size:           2
        .value_kind:     hidden_grid_dims
    .group_segment_fixed_size: 17472
    .kernarg_segment_align: 8
    .kernarg_segment_size: 400
    .language:       OpenCL C
    .language_version:
      - 2
      - 0
    .max_flat_workgroup_size: 256
    .name:           _Z39paged_attention_ll4mi_QKV_mfma16_kernelI14__hip_bfloat16hLN4vllm18Fp8KVCacheDataTypeE1EhLi16ELi128ELi256ELb0ELi1EL8MFMAType0EEvPKT_PKT0_S9_ifPKiSB_SB_iPKfiiiPfSE_PS4_PT2_iSD_SD_
    .private_segment_fixed_size: 0
    .sgpr_count:     68
    .sgpr_spill_count: 0
    .symbol:         _Z39paged_attention_ll4mi_QKV_mfma16_kernelI14__hip_bfloat16hLN4vllm18Fp8KVCacheDataTypeE1EhLi16ELi128ELi256ELb0ELi1EL8MFMAType0EEvPKT_PKT0_S9_ifPKiSB_SB_iPKfiiiPfSE_PS4_PT2_iSD_SD_.kd
    .uniform_work_group_size: 1
    .uses_dynamic_stack: false
    .vgpr_count:     138
    .vgpr_spill_count: 0
    .wavefront_size: 32
    .workgroup_processor_mode: 1
  - .args:
      - .actual_access:  read_only
        .address_space:  global
        .offset:         0
        .size:           8
        .value_kind:     global_buffer
      - .actual_access:  read_only
        .address_space:  global
        .offset:         8
        .size:           8
        .value_kind:     global_buffer
      - .actual_access:  read_only
        .address_space:  global
        .offset:         16
        .size:           8
        .value_kind:     global_buffer
      - .offset:         24
        .size:           4
        .value_kind:     by_value
      - .offset:         28
        .size:           4
        .value_kind:     by_value
      - .actual_access:  read_only
        .address_space:  global
        .offset:         32
        .size:           8
        .value_kind:     global_buffer
      - .actual_access:  read_only
        .address_space:  global
        .offset:         40
        .size:           8
        .value_kind:     global_buffer
      - .actual_access:  read_only
        .address_space:  global
        .offset:         48
        .size:           8
        .value_kind:     global_buffer
      - .offset:         56
        .size:           4
        .value_kind:     by_value
      - .actual_access:  read_only
        .address_space:  global
        .offset:         64
        .size:           8
        .value_kind:     global_buffer
      - .offset:         72
        .size:           4
        .value_kind:     by_value
      - .offset:         76
        .size:           4
        .value_kind:     by_value
      - .offset:         80
        .size:           4
        .value_kind:     by_value
      - .actual_access:  write_only
        .address_space:  global
        .offset:         88
        .size:           8
        .value_kind:     global_buffer
      - .actual_access:  write_only
        .address_space:  global
        .offset:         96
        .size:           8
        .value_kind:     global_buffer
      - .actual_access:  write_only
        .address_space:  global
        .offset:         104
        .size:           8
        .value_kind:     global_buffer
      - .actual_access:  read_only
        .address_space:  global
        .offset:         112
        .size:           8
        .value_kind:     global_buffer
      - .offset:         120
        .size:           4
        .value_kind:     by_value
      - .address_space:  global
        .offset:         128
        .size:           8
        .value_kind:     global_buffer
      - .address_space:  global
        .offset:         136
        .size:           8
        .value_kind:     global_buffer
      - .offset:         144
        .size:           4
        .value_kind:     hidden_block_count_x
      - .offset:         148
        .size:           4
        .value_kind:     hidden_block_count_y
      - .offset:         152
        .size:           4
        .value_kind:     hidden_block_count_z
      - .offset:         156
        .size:           2
        .value_kind:     hidden_group_size_x
      - .offset:         158
        .size:           2
        .value_kind:     hidden_group_size_y
      - .offset:         160
        .size:           2
        .value_kind:     hidden_group_size_z
      - .offset:         162
        .size:           2
        .value_kind:     hidden_remainder_x
      - .offset:         164
        .size:           2
        .value_kind:     hidden_remainder_y
      - .offset:         166
        .size:           2
        .value_kind:     hidden_remainder_z
      - .offset:         184
        .size:           8
        .value_kind:     hidden_global_offset_x
      - .offset:         192
        .size:           8
        .value_kind:     hidden_global_offset_y
      - .offset:         200
        .size:           8
        .value_kind:     hidden_global_offset_z
      - .offset:         208
        .size:           2
        .value_kind:     hidden_grid_dims
    .group_segment_fixed_size: 17472
    .kernarg_segment_align: 8
    .kernarg_segment_size: 400
    .language:       OpenCL C
    .language_version:
      - 2
      - 0
    .max_flat_workgroup_size: 256
    .name:           _Z39paged_attention_ll4mi_QKV_mfma16_kernelI14__hip_bfloat16hLN4vllm18Fp8KVCacheDataTypeE1EhLi16ELi128ELi256ELb0ELi2EL8MFMAType0EEvPKT_PKT0_S9_ifPKiSB_SB_iPKfiiiPfSE_PS4_PT2_iSD_SD_
    .private_segment_fixed_size: 0
    .sgpr_count:     38
    .sgpr_spill_count: 0
    .symbol:         _Z39paged_attention_ll4mi_QKV_mfma16_kernelI14__hip_bfloat16hLN4vllm18Fp8KVCacheDataTypeE1EhLi16ELi128ELi256ELb0ELi2EL8MFMAType0EEvPKT_PKT0_S9_ifPKiSB_SB_iPKfiiiPfSE_PS4_PT2_iSD_SD_.kd
    .uniform_work_group_size: 1
    .uses_dynamic_stack: false
    .vgpr_count:     138
    .vgpr_spill_count: 0
    .wavefront_size: 32
    .workgroup_processor_mode: 1
  - .args:
      - .actual_access:  read_only
        .address_space:  global
        .offset:         0
        .size:           8
        .value_kind:     global_buffer
      - .actual_access:  read_only
        .address_space:  global
        .offset:         8
        .size:           8
        .value_kind:     global_buffer
      - .actual_access:  read_only
        .address_space:  global
        .offset:         16
        .size:           8
        .value_kind:     global_buffer
      - .offset:         24
        .size:           4
        .value_kind:     by_value
      - .offset:         28
        .size:           4
        .value_kind:     by_value
      - .actual_access:  read_only
        .address_space:  global
        .offset:         32
        .size:           8
        .value_kind:     global_buffer
      - .actual_access:  read_only
        .address_space:  global
        .offset:         40
        .size:           8
        .value_kind:     global_buffer
      - .actual_access:  read_only
        .address_space:  global
        .offset:         48
        .size:           8
        .value_kind:     global_buffer
      - .offset:         56
        .size:           4
        .value_kind:     by_value
      - .actual_access:  read_only
        .address_space:  global
        .offset:         64
        .size:           8
        .value_kind:     global_buffer
      - .offset:         72
        .size:           4
        .value_kind:     by_value
      - .offset:         76
        .size:           4
        .value_kind:     by_value
      - .offset:         80
        .size:           4
        .value_kind:     by_value
      - .actual_access:  write_only
        .address_space:  global
        .offset:         88
        .size:           8
        .value_kind:     global_buffer
      - .actual_access:  write_only
        .address_space:  global
        .offset:         96
        .size:           8
        .value_kind:     global_buffer
      - .actual_access:  write_only
        .address_space:  global
        .offset:         104
        .size:           8
        .value_kind:     global_buffer
      - .actual_access:  read_only
        .address_space:  global
        .offset:         112
        .size:           8
        .value_kind:     global_buffer
      - .offset:         120
        .size:           4
        .value_kind:     by_value
      - .address_space:  global
        .offset:         128
        .size:           8
        .value_kind:     global_buffer
      - .address_space:  global
        .offset:         136
        .size:           8
        .value_kind:     global_buffer
      - .offset:         144
        .size:           4
        .value_kind:     hidden_block_count_x
      - .offset:         148
        .size:           4
        .value_kind:     hidden_block_count_y
      - .offset:         152
        .size:           4
        .value_kind:     hidden_block_count_z
      - .offset:         156
        .size:           2
        .value_kind:     hidden_group_size_x
      - .offset:         158
        .size:           2
        .value_kind:     hidden_group_size_y
      - .offset:         160
        .size:           2
        .value_kind:     hidden_group_size_z
      - .offset:         162
        .size:           2
        .value_kind:     hidden_remainder_x
      - .offset:         164
        .size:           2
        .value_kind:     hidden_remainder_y
      - .offset:         166
        .size:           2
        .value_kind:     hidden_remainder_z
      - .offset:         184
        .size:           8
        .value_kind:     hidden_global_offset_x
      - .offset:         192
        .size:           8
        .value_kind:     hidden_global_offset_y
      - .offset:         200
        .size:           8
        .value_kind:     hidden_global_offset_z
      - .offset:         208
        .size:           2
        .value_kind:     hidden_grid_dims
    .group_segment_fixed_size: 17472
    .kernarg_segment_align: 8
    .kernarg_segment_size: 400
    .language:       OpenCL C
    .language_version:
      - 2
      - 0
    .max_flat_workgroup_size: 256
    .name:           _Z39paged_attention_ll4mi_QKV_mfma16_kernelI14__hip_bfloat16hLN4vllm18Fp8KVCacheDataTypeE1EhLi16ELi128ELi256ELb0ELi3EL8MFMAType0EEvPKT_PKT0_S9_ifPKiSB_SB_iPKfiiiPfSE_PS4_PT2_iSD_SD_
    .private_segment_fixed_size: 0
    .sgpr_count:     38
    .sgpr_spill_count: 0
    .symbol:         _Z39paged_attention_ll4mi_QKV_mfma16_kernelI14__hip_bfloat16hLN4vllm18Fp8KVCacheDataTypeE1EhLi16ELi128ELi256ELb0ELi3EL8MFMAType0EEvPKT_PKT0_S9_ifPKiSB_SB_iPKfiiiPfSE_PS4_PT2_iSD_SD_.kd
    .uniform_work_group_size: 1
    .uses_dynamic_stack: false
    .vgpr_count:     140
    .vgpr_spill_count: 0
    .wavefront_size: 32
    .workgroup_processor_mode: 1
  - .args:
      - .actual_access:  read_only
        .address_space:  global
        .offset:         0
        .size:           8
        .value_kind:     global_buffer
      - .actual_access:  read_only
        .address_space:  global
        .offset:         8
        .size:           8
        .value_kind:     global_buffer
      - .actual_access:  read_only
        .address_space:  global
        .offset:         16
        .size:           8
        .value_kind:     global_buffer
      - .offset:         24
        .size:           4
        .value_kind:     by_value
      - .offset:         28
        .size:           4
        .value_kind:     by_value
      - .actual_access:  read_only
        .address_space:  global
        .offset:         32
        .size:           8
        .value_kind:     global_buffer
      - .actual_access:  read_only
        .address_space:  global
        .offset:         40
        .size:           8
        .value_kind:     global_buffer
      - .actual_access:  read_only
        .address_space:  global
        .offset:         48
        .size:           8
        .value_kind:     global_buffer
      - .offset:         56
        .size:           4
        .value_kind:     by_value
      - .actual_access:  read_only
        .address_space:  global
        .offset:         64
        .size:           8
        .value_kind:     global_buffer
      - .offset:         72
        .size:           4
        .value_kind:     by_value
      - .offset:         76
        .size:           4
        .value_kind:     by_value
      - .offset:         80
        .size:           4
        .value_kind:     by_value
      - .actual_access:  write_only
        .address_space:  global
        .offset:         88
        .size:           8
        .value_kind:     global_buffer
      - .actual_access:  write_only
        .address_space:  global
        .offset:         96
        .size:           8
        .value_kind:     global_buffer
      - .actual_access:  write_only
        .address_space:  global
        .offset:         104
        .size:           8
        .value_kind:     global_buffer
      - .actual_access:  read_only
        .address_space:  global
        .offset:         112
        .size:           8
        .value_kind:     global_buffer
      - .offset:         120
        .size:           4
        .value_kind:     by_value
      - .address_space:  global
        .offset:         128
        .size:           8
        .value_kind:     global_buffer
      - .address_space:  global
        .offset:         136
        .size:           8
        .value_kind:     global_buffer
      - .offset:         144
        .size:           4
        .value_kind:     hidden_block_count_x
      - .offset:         148
        .size:           4
        .value_kind:     hidden_block_count_y
      - .offset:         152
        .size:           4
        .value_kind:     hidden_block_count_z
      - .offset:         156
        .size:           2
        .value_kind:     hidden_group_size_x
      - .offset:         158
        .size:           2
        .value_kind:     hidden_group_size_y
      - .offset:         160
        .size:           2
        .value_kind:     hidden_group_size_z
      - .offset:         162
        .size:           2
        .value_kind:     hidden_remainder_x
      - .offset:         164
        .size:           2
        .value_kind:     hidden_remainder_y
      - .offset:         166
        .size:           2
        .value_kind:     hidden_remainder_z
      - .offset:         184
        .size:           8
        .value_kind:     hidden_global_offset_x
      - .offset:         192
        .size:           8
        .value_kind:     hidden_global_offset_y
      - .offset:         200
        .size:           8
        .value_kind:     hidden_global_offset_z
      - .offset:         208
        .size:           2
        .value_kind:     hidden_grid_dims
    .group_segment_fixed_size: 17472
    .kernarg_segment_align: 8
    .kernarg_segment_size: 400
    .language:       OpenCL C
    .language_version:
      - 2
      - 0
    .max_flat_workgroup_size: 256
    .name:           _Z39paged_attention_ll4mi_QKV_mfma16_kernelI14__hip_bfloat16hLN4vllm18Fp8KVCacheDataTypeE1EhLi16ELi128ELi256ELb0ELi4EL8MFMAType0EEvPKT_PKT0_S9_ifPKiSB_SB_iPKfiiiPfSE_PS4_PT2_iSD_SD_
    .private_segment_fixed_size: 0
    .sgpr_count:     38
    .sgpr_spill_count: 0
    .symbol:         _Z39paged_attention_ll4mi_QKV_mfma16_kernelI14__hip_bfloat16hLN4vllm18Fp8KVCacheDataTypeE1EhLi16ELi128ELi256ELb0ELi4EL8MFMAType0EEvPKT_PKT0_S9_ifPKiSB_SB_iPKfiiiPfSE_PS4_PT2_iSD_SD_.kd
    .uniform_work_group_size: 1
    .uses_dynamic_stack: false
    .vgpr_count:     140
    .vgpr_spill_count: 0
    .wavefront_size: 32
    .workgroup_processor_mode: 1
  - .args:
      - .actual_access:  read_only
        .address_space:  global
        .offset:         0
        .size:           8
        .value_kind:     global_buffer
      - .actual_access:  read_only
        .address_space:  global
        .offset:         8
        .size:           8
        .value_kind:     global_buffer
      - .actual_access:  read_only
        .address_space:  global
        .offset:         16
        .size:           8
        .value_kind:     global_buffer
      - .offset:         24
        .size:           4
        .value_kind:     by_value
      - .offset:         28
        .size:           4
        .value_kind:     by_value
      - .actual_access:  read_only
        .address_space:  global
        .offset:         32
        .size:           8
        .value_kind:     global_buffer
      - .actual_access:  read_only
        .address_space:  global
        .offset:         40
        .size:           8
        .value_kind:     global_buffer
      - .actual_access:  read_only
        .address_space:  global
        .offset:         48
        .size:           8
        .value_kind:     global_buffer
      - .offset:         56
        .size:           4
        .value_kind:     by_value
      - .actual_access:  read_only
        .address_space:  global
        .offset:         64
        .size:           8
        .value_kind:     global_buffer
      - .offset:         72
        .size:           4
        .value_kind:     by_value
      - .offset:         76
        .size:           4
        .value_kind:     by_value
      - .offset:         80
        .size:           4
        .value_kind:     by_value
      - .actual_access:  write_only
        .address_space:  global
        .offset:         88
        .size:           8
        .value_kind:     global_buffer
      - .actual_access:  write_only
        .address_space:  global
        .offset:         96
        .size:           8
        .value_kind:     global_buffer
      - .actual_access:  write_only
        .address_space:  global
        .offset:         104
        .size:           8
        .value_kind:     global_buffer
      - .actual_access:  read_only
        .address_space:  global
        .offset:         112
        .size:           8
        .value_kind:     global_buffer
      - .offset:         120
        .size:           4
        .value_kind:     by_value
      - .address_space:  global
        .offset:         128
        .size:           8
        .value_kind:     global_buffer
      - .address_space:  global
        .offset:         136
        .size:           8
        .value_kind:     global_buffer
      - .offset:         144
        .size:           4
        .value_kind:     hidden_block_count_x
      - .offset:         148
        .size:           4
        .value_kind:     hidden_block_count_y
      - .offset:         152
        .size:           4
        .value_kind:     hidden_block_count_z
      - .offset:         156
        .size:           2
        .value_kind:     hidden_group_size_x
      - .offset:         158
        .size:           2
        .value_kind:     hidden_group_size_y
      - .offset:         160
        .size:           2
        .value_kind:     hidden_group_size_z
      - .offset:         162
        .size:           2
        .value_kind:     hidden_remainder_x
      - .offset:         164
        .size:           2
        .value_kind:     hidden_remainder_y
      - .offset:         166
        .size:           2
        .value_kind:     hidden_remainder_z
      - .offset:         184
        .size:           8
        .value_kind:     hidden_global_offset_x
      - .offset:         192
        .size:           8
        .value_kind:     hidden_global_offset_y
      - .offset:         200
        .size:           8
        .value_kind:     hidden_global_offset_z
      - .offset:         208
        .size:           2
        .value_kind:     hidden_grid_dims
    .group_segment_fixed_size: 17472
    .kernarg_segment_align: 8
    .kernarg_segment_size: 400
    .language:       OpenCL C
    .language_version:
      - 2
      - 0
    .max_flat_workgroup_size: 256
    .name:           _Z39paged_attention_ll4mi_QKV_mfma16_kernelI14__hip_bfloat16hLN4vllm18Fp8KVCacheDataTypeE1ES0_Li16ELi128ELi256ELb1ELi5EL8MFMAType0EEvPKT_PKT0_S9_ifPKiSB_SB_iPKfiiiPfSE_PS4_PT2_iSD_SD_
    .private_segment_fixed_size: 0
    .sgpr_count:     38
    .sgpr_spill_count: 0
    .symbol:         _Z39paged_attention_ll4mi_QKV_mfma16_kernelI14__hip_bfloat16hLN4vllm18Fp8KVCacheDataTypeE1ES0_Li16ELi128ELi256ELb1ELi5EL8MFMAType0EEvPKT_PKT0_S9_ifPKiSB_SB_iPKfiiiPfSE_PS4_PT2_iSD_SD_.kd
    .uniform_work_group_size: 1
    .uses_dynamic_stack: false
    .vgpr_count:     140
    .vgpr_spill_count: 0
    .wavefront_size: 32
    .workgroup_processor_mode: 1
  - .args:
      - .actual_access:  read_only
        .address_space:  global
        .offset:         0
        .size:           8
        .value_kind:     global_buffer
      - .actual_access:  read_only
        .address_space:  global
        .offset:         8
        .size:           8
        .value_kind:     global_buffer
      - .actual_access:  read_only
        .address_space:  global
        .offset:         16
        .size:           8
        .value_kind:     global_buffer
      - .offset:         24
        .size:           4
        .value_kind:     by_value
      - .offset:         28
        .size:           4
        .value_kind:     by_value
      - .actual_access:  read_only
        .address_space:  global
        .offset:         32
        .size:           8
        .value_kind:     global_buffer
      - .actual_access:  read_only
        .address_space:  global
        .offset:         40
        .size:           8
        .value_kind:     global_buffer
      - .actual_access:  read_only
        .address_space:  global
        .offset:         48
        .size:           8
        .value_kind:     global_buffer
      - .offset:         56
        .size:           4
        .value_kind:     by_value
      - .actual_access:  read_only
        .address_space:  global
        .offset:         64
        .size:           8
        .value_kind:     global_buffer
      - .offset:         72
        .size:           4
        .value_kind:     by_value
      - .offset:         76
        .size:           4
        .value_kind:     by_value
      - .offset:         80
        .size:           4
        .value_kind:     by_value
      - .actual_access:  write_only
        .address_space:  global
        .offset:         88
        .size:           8
        .value_kind:     global_buffer
      - .actual_access:  write_only
        .address_space:  global
        .offset:         96
        .size:           8
        .value_kind:     global_buffer
      - .actual_access:  write_only
        .address_space:  global
        .offset:         104
        .size:           8
        .value_kind:     global_buffer
      - .actual_access:  read_only
        .address_space:  global
        .offset:         112
        .size:           8
        .value_kind:     global_buffer
      - .offset:         120
        .size:           4
        .value_kind:     by_value
      - .address_space:  global
        .offset:         128
        .size:           8
        .value_kind:     global_buffer
      - .address_space:  global
        .offset:         136
        .size:           8
        .value_kind:     global_buffer
      - .offset:         144
        .size:           4
        .value_kind:     hidden_block_count_x
      - .offset:         148
        .size:           4
        .value_kind:     hidden_block_count_y
      - .offset:         152
        .size:           4
        .value_kind:     hidden_block_count_z
      - .offset:         156
        .size:           2
        .value_kind:     hidden_group_size_x
      - .offset:         158
        .size:           2
        .value_kind:     hidden_group_size_y
      - .offset:         160
        .size:           2
        .value_kind:     hidden_group_size_z
      - .offset:         162
        .size:           2
        .value_kind:     hidden_remainder_x
      - .offset:         164
        .size:           2
        .value_kind:     hidden_remainder_y
      - .offset:         166
        .size:           2
        .value_kind:     hidden_remainder_z
      - .offset:         184
        .size:           8
        .value_kind:     hidden_global_offset_x
      - .offset:         192
        .size:           8
        .value_kind:     hidden_global_offset_y
      - .offset:         200
        .size:           8
        .value_kind:     hidden_global_offset_z
      - .offset:         208
        .size:           2
        .value_kind:     hidden_grid_dims
    .group_segment_fixed_size: 17472
    .kernarg_segment_align: 8
    .kernarg_segment_size: 400
    .language:       OpenCL C
    .language_version:
      - 2
      - 0
    .max_flat_workgroup_size: 256
    .name:           _Z39paged_attention_ll4mi_QKV_mfma16_kernelI14__hip_bfloat16hLN4vllm18Fp8KVCacheDataTypeE1ES0_Li16ELi128ELi256ELb1ELi6EL8MFMAType0EEvPKT_PKT0_S9_ifPKiSB_SB_iPKfiiiPfSE_PS4_PT2_iSD_SD_
    .private_segment_fixed_size: 0
    .sgpr_count:     38
    .sgpr_spill_count: 0
    .symbol:         _Z39paged_attention_ll4mi_QKV_mfma16_kernelI14__hip_bfloat16hLN4vllm18Fp8KVCacheDataTypeE1ES0_Li16ELi128ELi256ELb1ELi6EL8MFMAType0EEvPKT_PKT0_S9_ifPKiSB_SB_iPKfiiiPfSE_PS4_PT2_iSD_SD_.kd
    .uniform_work_group_size: 1
    .uses_dynamic_stack: false
    .vgpr_count:     140
    .vgpr_spill_count: 0
    .wavefront_size: 32
    .workgroup_processor_mode: 1
  - .args:
      - .actual_access:  read_only
        .address_space:  global
        .offset:         0
        .size:           8
        .value_kind:     global_buffer
      - .actual_access:  read_only
        .address_space:  global
        .offset:         8
        .size:           8
        .value_kind:     global_buffer
      - .actual_access:  read_only
        .address_space:  global
        .offset:         16
        .size:           8
        .value_kind:     global_buffer
      - .offset:         24
        .size:           4
        .value_kind:     by_value
      - .offset:         28
        .size:           4
        .value_kind:     by_value
      - .actual_access:  read_only
        .address_space:  global
        .offset:         32
        .size:           8
        .value_kind:     global_buffer
      - .actual_access:  read_only
        .address_space:  global
        .offset:         40
        .size:           8
        .value_kind:     global_buffer
      - .actual_access:  read_only
        .address_space:  global
        .offset:         48
        .size:           8
        .value_kind:     global_buffer
      - .offset:         56
        .size:           4
        .value_kind:     by_value
      - .actual_access:  read_only
        .address_space:  global
        .offset:         64
        .size:           8
        .value_kind:     global_buffer
      - .offset:         72
        .size:           4
        .value_kind:     by_value
      - .offset:         76
        .size:           4
        .value_kind:     by_value
      - .offset:         80
        .size:           4
        .value_kind:     by_value
      - .actual_access:  write_only
        .address_space:  global
        .offset:         88
        .size:           8
        .value_kind:     global_buffer
      - .actual_access:  write_only
        .address_space:  global
        .offset:         96
        .size:           8
        .value_kind:     global_buffer
      - .actual_access:  write_only
        .address_space:  global
        .offset:         104
        .size:           8
        .value_kind:     global_buffer
      - .actual_access:  read_only
        .address_space:  global
        .offset:         112
        .size:           8
        .value_kind:     global_buffer
      - .offset:         120
        .size:           4
        .value_kind:     by_value
      - .address_space:  global
        .offset:         128
        .size:           8
        .value_kind:     global_buffer
      - .address_space:  global
        .offset:         136
        .size:           8
        .value_kind:     global_buffer
      - .offset:         144
        .size:           4
        .value_kind:     hidden_block_count_x
      - .offset:         148
        .size:           4
        .value_kind:     hidden_block_count_y
      - .offset:         152
        .size:           4
        .value_kind:     hidden_block_count_z
      - .offset:         156
        .size:           2
        .value_kind:     hidden_group_size_x
      - .offset:         158
        .size:           2
        .value_kind:     hidden_group_size_y
      - .offset:         160
        .size:           2
        .value_kind:     hidden_group_size_z
      - .offset:         162
        .size:           2
        .value_kind:     hidden_remainder_x
      - .offset:         164
        .size:           2
        .value_kind:     hidden_remainder_y
      - .offset:         166
        .size:           2
        .value_kind:     hidden_remainder_z
      - .offset:         184
        .size:           8
        .value_kind:     hidden_global_offset_x
      - .offset:         192
        .size:           8
        .value_kind:     hidden_global_offset_y
      - .offset:         200
        .size:           8
        .value_kind:     hidden_global_offset_z
      - .offset:         208
        .size:           2
        .value_kind:     hidden_grid_dims
    .group_segment_fixed_size: 17472
    .kernarg_segment_align: 8
    .kernarg_segment_size: 400
    .language:       OpenCL C
    .language_version:
      - 2
      - 0
    .max_flat_workgroup_size: 256
    .name:           _Z39paged_attention_ll4mi_QKV_mfma16_kernelI14__hip_bfloat16hLN4vllm18Fp8KVCacheDataTypeE1ES0_Li16ELi128ELi256ELb1ELi7EL8MFMAType0EEvPKT_PKT0_S9_ifPKiSB_SB_iPKfiiiPfSE_PS4_PT2_iSD_SD_
    .private_segment_fixed_size: 0
    .sgpr_count:     38
    .sgpr_spill_count: 0
    .symbol:         _Z39paged_attention_ll4mi_QKV_mfma16_kernelI14__hip_bfloat16hLN4vllm18Fp8KVCacheDataTypeE1ES0_Li16ELi128ELi256ELb1ELi7EL8MFMAType0EEvPKT_PKT0_S9_ifPKiSB_SB_iPKfiiiPfSE_PS4_PT2_iSD_SD_.kd
    .uniform_work_group_size: 1
    .uses_dynamic_stack: false
    .vgpr_count:     140
    .vgpr_spill_count: 0
    .wavefront_size: 32
    .workgroup_processor_mode: 1
  - .args:
      - .actual_access:  read_only
        .address_space:  global
        .offset:         0
        .size:           8
        .value_kind:     global_buffer
      - .actual_access:  read_only
        .address_space:  global
        .offset:         8
        .size:           8
        .value_kind:     global_buffer
      - .actual_access:  read_only
        .address_space:  global
        .offset:         16
        .size:           8
        .value_kind:     global_buffer
      - .offset:         24
        .size:           4
        .value_kind:     by_value
      - .offset:         28
        .size:           4
        .value_kind:     by_value
      - .actual_access:  read_only
        .address_space:  global
        .offset:         32
        .size:           8
        .value_kind:     global_buffer
      - .actual_access:  read_only
        .address_space:  global
        .offset:         40
        .size:           8
        .value_kind:     global_buffer
      - .actual_access:  read_only
        .address_space:  global
        .offset:         48
        .size:           8
        .value_kind:     global_buffer
      - .offset:         56
        .size:           4
        .value_kind:     by_value
      - .actual_access:  read_only
        .address_space:  global
        .offset:         64
        .size:           8
        .value_kind:     global_buffer
      - .offset:         72
        .size:           4
        .value_kind:     by_value
      - .offset:         76
        .size:           4
        .value_kind:     by_value
      - .offset:         80
        .size:           4
        .value_kind:     by_value
      - .actual_access:  write_only
        .address_space:  global
        .offset:         88
        .size:           8
        .value_kind:     global_buffer
      - .actual_access:  write_only
        .address_space:  global
        .offset:         96
        .size:           8
        .value_kind:     global_buffer
      - .actual_access:  write_only
        .address_space:  global
        .offset:         104
        .size:           8
        .value_kind:     global_buffer
      - .actual_access:  read_only
        .address_space:  global
        .offset:         112
        .size:           8
        .value_kind:     global_buffer
      - .offset:         120
        .size:           4
        .value_kind:     by_value
      - .address_space:  global
        .offset:         128
        .size:           8
        .value_kind:     global_buffer
      - .address_space:  global
        .offset:         136
        .size:           8
        .value_kind:     global_buffer
      - .offset:         144
        .size:           4
        .value_kind:     hidden_block_count_x
      - .offset:         148
        .size:           4
        .value_kind:     hidden_block_count_y
      - .offset:         152
        .size:           4
        .value_kind:     hidden_block_count_z
      - .offset:         156
        .size:           2
        .value_kind:     hidden_group_size_x
      - .offset:         158
        .size:           2
        .value_kind:     hidden_group_size_y
      - .offset:         160
        .size:           2
        .value_kind:     hidden_group_size_z
      - .offset:         162
        .size:           2
        .value_kind:     hidden_remainder_x
      - .offset:         164
        .size:           2
        .value_kind:     hidden_remainder_y
      - .offset:         166
        .size:           2
        .value_kind:     hidden_remainder_z
      - .offset:         184
        .size:           8
        .value_kind:     hidden_global_offset_x
      - .offset:         192
        .size:           8
        .value_kind:     hidden_global_offset_y
      - .offset:         200
        .size:           8
        .value_kind:     hidden_global_offset_z
      - .offset:         208
        .size:           2
        .value_kind:     hidden_grid_dims
    .group_segment_fixed_size: 17472
    .kernarg_segment_align: 8
    .kernarg_segment_size: 400
    .language:       OpenCL C
    .language_version:
      - 2
      - 0
    .max_flat_workgroup_size: 256
    .name:           _Z39paged_attention_ll4mi_QKV_mfma16_kernelI14__hip_bfloat16hLN4vllm18Fp8KVCacheDataTypeE1ES0_Li16ELi128ELi256ELb1ELi8EL8MFMAType0EEvPKT_PKT0_S9_ifPKiSB_SB_iPKfiiiPfSE_PS4_PT2_iSD_SD_
    .private_segment_fixed_size: 0
    .sgpr_count:     38
    .sgpr_spill_count: 0
    .symbol:         _Z39paged_attention_ll4mi_QKV_mfma16_kernelI14__hip_bfloat16hLN4vllm18Fp8KVCacheDataTypeE1ES0_Li16ELi128ELi256ELb1ELi8EL8MFMAType0EEvPKT_PKT0_S9_ifPKiSB_SB_iPKfiiiPfSE_PS4_PT2_iSD_SD_.kd
    .uniform_work_group_size: 1
    .uses_dynamic_stack: false
    .vgpr_count:     140
    .vgpr_spill_count: 0
    .wavefront_size: 32
    .workgroup_processor_mode: 1
  - .args:
      - .actual_access:  read_only
        .address_space:  global
        .offset:         0
        .size:           8
        .value_kind:     global_buffer
      - .actual_access:  read_only
        .address_space:  global
        .offset:         8
        .size:           8
        .value_kind:     global_buffer
      - .actual_access:  read_only
        .address_space:  global
        .offset:         16
        .size:           8
        .value_kind:     global_buffer
      - .offset:         24
        .size:           4
        .value_kind:     by_value
      - .offset:         28
        .size:           4
        .value_kind:     by_value
      - .actual_access:  read_only
        .address_space:  global
        .offset:         32
        .size:           8
        .value_kind:     global_buffer
      - .actual_access:  read_only
        .address_space:  global
        .offset:         40
        .size:           8
        .value_kind:     global_buffer
      - .actual_access:  read_only
        .address_space:  global
        .offset:         48
        .size:           8
        .value_kind:     global_buffer
      - .offset:         56
        .size:           4
        .value_kind:     by_value
      - .actual_access:  read_only
        .address_space:  global
        .offset:         64
        .size:           8
        .value_kind:     global_buffer
      - .offset:         72
        .size:           4
        .value_kind:     by_value
      - .offset:         76
        .size:           4
        .value_kind:     by_value
      - .offset:         80
        .size:           4
        .value_kind:     by_value
      - .actual_access:  write_only
        .address_space:  global
        .offset:         88
        .size:           8
        .value_kind:     global_buffer
      - .actual_access:  write_only
        .address_space:  global
        .offset:         96
        .size:           8
        .value_kind:     global_buffer
      - .actual_access:  write_only
        .address_space:  global
        .offset:         104
        .size:           8
        .value_kind:     global_buffer
      - .actual_access:  read_only
        .address_space:  global
        .offset:         112
        .size:           8
        .value_kind:     global_buffer
      - .offset:         120
        .size:           4
        .value_kind:     by_value
      - .address_space:  global
        .offset:         128
        .size:           8
        .value_kind:     global_buffer
      - .address_space:  global
        .offset:         136
        .size:           8
        .value_kind:     global_buffer
      - .offset:         144
        .size:           4
        .value_kind:     hidden_block_count_x
      - .offset:         148
        .size:           4
        .value_kind:     hidden_block_count_y
      - .offset:         152
        .size:           4
        .value_kind:     hidden_block_count_z
      - .offset:         156
        .size:           2
        .value_kind:     hidden_group_size_x
      - .offset:         158
        .size:           2
        .value_kind:     hidden_group_size_y
      - .offset:         160
        .size:           2
        .value_kind:     hidden_group_size_z
      - .offset:         162
        .size:           2
        .value_kind:     hidden_remainder_x
      - .offset:         164
        .size:           2
        .value_kind:     hidden_remainder_y
      - .offset:         166
        .size:           2
        .value_kind:     hidden_remainder_z
      - .offset:         184
        .size:           8
        .value_kind:     hidden_global_offset_x
      - .offset:         192
        .size:           8
        .value_kind:     hidden_global_offset_y
      - .offset:         200
        .size:           8
        .value_kind:     hidden_global_offset_z
      - .offset:         208
        .size:           2
        .value_kind:     hidden_grid_dims
    .group_segment_fixed_size: 17472
    .kernarg_segment_align: 8
    .kernarg_segment_size: 400
    .language:       OpenCL C
    .language_version:
      - 2
      - 0
    .max_flat_workgroup_size: 256
    .name:           _Z39paged_attention_ll4mi_QKV_mfma16_kernelI14__hip_bfloat16hLN4vllm18Fp8KVCacheDataTypeE1ES0_Li16ELi128ELi256ELb1ELi9EL8MFMAType0EEvPKT_PKT0_S9_ifPKiSB_SB_iPKfiiiPfSE_PS4_PT2_iSD_SD_
    .private_segment_fixed_size: 0
    .sgpr_count:     38
    .sgpr_spill_count: 0
    .symbol:         _Z39paged_attention_ll4mi_QKV_mfma16_kernelI14__hip_bfloat16hLN4vllm18Fp8KVCacheDataTypeE1ES0_Li16ELi128ELi256ELb1ELi9EL8MFMAType0EEvPKT_PKT0_S9_ifPKiSB_SB_iPKfiiiPfSE_PS4_PT2_iSD_SD_.kd
    .uniform_work_group_size: 1
    .uses_dynamic_stack: false
    .vgpr_count:     140
    .vgpr_spill_count: 0
    .wavefront_size: 32
    .workgroup_processor_mode: 1
  - .args:
      - .actual_access:  read_only
        .address_space:  global
        .offset:         0
        .size:           8
        .value_kind:     global_buffer
      - .actual_access:  read_only
        .address_space:  global
        .offset:         8
        .size:           8
        .value_kind:     global_buffer
      - .actual_access:  read_only
        .address_space:  global
        .offset:         16
        .size:           8
        .value_kind:     global_buffer
      - .offset:         24
        .size:           4
        .value_kind:     by_value
      - .offset:         28
        .size:           4
        .value_kind:     by_value
      - .actual_access:  read_only
        .address_space:  global
        .offset:         32
        .size:           8
        .value_kind:     global_buffer
      - .actual_access:  read_only
        .address_space:  global
        .offset:         40
        .size:           8
        .value_kind:     global_buffer
      - .actual_access:  read_only
        .address_space:  global
        .offset:         48
        .size:           8
        .value_kind:     global_buffer
      - .offset:         56
        .size:           4
        .value_kind:     by_value
      - .actual_access:  read_only
        .address_space:  global
        .offset:         64
        .size:           8
        .value_kind:     global_buffer
      - .offset:         72
        .size:           4
        .value_kind:     by_value
      - .offset:         76
        .size:           4
        .value_kind:     by_value
      - .offset:         80
        .size:           4
        .value_kind:     by_value
      - .actual_access:  write_only
        .address_space:  global
        .offset:         88
        .size:           8
        .value_kind:     global_buffer
      - .actual_access:  write_only
        .address_space:  global
        .offset:         96
        .size:           8
        .value_kind:     global_buffer
      - .actual_access:  write_only
        .address_space:  global
        .offset:         104
        .size:           8
        .value_kind:     global_buffer
      - .actual_access:  read_only
        .address_space:  global
        .offset:         112
        .size:           8
        .value_kind:     global_buffer
      - .offset:         120
        .size:           4
        .value_kind:     by_value
      - .address_space:  global
        .offset:         128
        .size:           8
        .value_kind:     global_buffer
      - .address_space:  global
        .offset:         136
        .size:           8
        .value_kind:     global_buffer
      - .offset:         144
        .size:           4
        .value_kind:     hidden_block_count_x
      - .offset:         148
        .size:           4
        .value_kind:     hidden_block_count_y
      - .offset:         152
        .size:           4
        .value_kind:     hidden_block_count_z
      - .offset:         156
        .size:           2
        .value_kind:     hidden_group_size_x
      - .offset:         158
        .size:           2
        .value_kind:     hidden_group_size_y
      - .offset:         160
        .size:           2
        .value_kind:     hidden_group_size_z
      - .offset:         162
        .size:           2
        .value_kind:     hidden_remainder_x
      - .offset:         164
        .size:           2
        .value_kind:     hidden_remainder_y
      - .offset:         166
        .size:           2
        .value_kind:     hidden_remainder_z
      - .offset:         184
        .size:           8
        .value_kind:     hidden_global_offset_x
      - .offset:         192
        .size:           8
        .value_kind:     hidden_global_offset_y
      - .offset:         200
        .size:           8
        .value_kind:     hidden_global_offset_z
      - .offset:         208
        .size:           2
        .value_kind:     hidden_grid_dims
    .group_segment_fixed_size: 17472
    .kernarg_segment_align: 8
    .kernarg_segment_size: 400
    .language:       OpenCL C
    .language_version:
      - 2
      - 0
    .max_flat_workgroup_size: 256
    .name:           _Z39paged_attention_ll4mi_QKV_mfma16_kernelI14__hip_bfloat16hLN4vllm18Fp8KVCacheDataTypeE1ES0_Li16ELi128ELi256ELb1ELi10EL8MFMAType0EEvPKT_PKT0_S9_ifPKiSB_SB_iPKfiiiPfSE_PS4_PT2_iSD_SD_
    .private_segment_fixed_size: 0
    .sgpr_count:     38
    .sgpr_spill_count: 0
    .symbol:         _Z39paged_attention_ll4mi_QKV_mfma16_kernelI14__hip_bfloat16hLN4vllm18Fp8KVCacheDataTypeE1ES0_Li16ELi128ELi256ELb1ELi10EL8MFMAType0EEvPKT_PKT0_S9_ifPKiSB_SB_iPKfiiiPfSE_PS4_PT2_iSD_SD_.kd
    .uniform_work_group_size: 1
    .uses_dynamic_stack: false
    .vgpr_count:     140
    .vgpr_spill_count: 0
    .wavefront_size: 32
    .workgroup_processor_mode: 1
  - .args:
      - .actual_access:  read_only
        .address_space:  global
        .offset:         0
        .size:           8
        .value_kind:     global_buffer
      - .actual_access:  read_only
        .address_space:  global
        .offset:         8
        .size:           8
        .value_kind:     global_buffer
      - .actual_access:  read_only
        .address_space:  global
        .offset:         16
        .size:           8
        .value_kind:     global_buffer
      - .offset:         24
        .size:           4
        .value_kind:     by_value
      - .offset:         28
        .size:           4
        .value_kind:     by_value
      - .actual_access:  read_only
        .address_space:  global
        .offset:         32
        .size:           8
        .value_kind:     global_buffer
      - .actual_access:  read_only
        .address_space:  global
        .offset:         40
        .size:           8
        .value_kind:     global_buffer
      - .actual_access:  read_only
        .address_space:  global
        .offset:         48
        .size:           8
        .value_kind:     global_buffer
      - .offset:         56
        .size:           4
        .value_kind:     by_value
      - .actual_access:  read_only
        .address_space:  global
        .offset:         64
        .size:           8
        .value_kind:     global_buffer
      - .offset:         72
        .size:           4
        .value_kind:     by_value
      - .offset:         76
        .size:           4
        .value_kind:     by_value
      - .offset:         80
        .size:           4
        .value_kind:     by_value
      - .actual_access:  write_only
        .address_space:  global
        .offset:         88
        .size:           8
        .value_kind:     global_buffer
      - .actual_access:  write_only
        .address_space:  global
        .offset:         96
        .size:           8
        .value_kind:     global_buffer
      - .actual_access:  write_only
        .address_space:  global
        .offset:         104
        .size:           8
        .value_kind:     global_buffer
      - .actual_access:  read_only
        .address_space:  global
        .offset:         112
        .size:           8
        .value_kind:     global_buffer
      - .offset:         120
        .size:           4
        .value_kind:     by_value
      - .address_space:  global
        .offset:         128
        .size:           8
        .value_kind:     global_buffer
      - .address_space:  global
        .offset:         136
        .size:           8
        .value_kind:     global_buffer
      - .offset:         144
        .size:           4
        .value_kind:     hidden_block_count_x
      - .offset:         148
        .size:           4
        .value_kind:     hidden_block_count_y
      - .offset:         152
        .size:           4
        .value_kind:     hidden_block_count_z
      - .offset:         156
        .size:           2
        .value_kind:     hidden_group_size_x
      - .offset:         158
        .size:           2
        .value_kind:     hidden_group_size_y
      - .offset:         160
        .size:           2
        .value_kind:     hidden_group_size_z
      - .offset:         162
        .size:           2
        .value_kind:     hidden_remainder_x
      - .offset:         164
        .size:           2
        .value_kind:     hidden_remainder_y
      - .offset:         166
        .size:           2
        .value_kind:     hidden_remainder_z
      - .offset:         184
        .size:           8
        .value_kind:     hidden_global_offset_x
      - .offset:         192
        .size:           8
        .value_kind:     hidden_global_offset_y
      - .offset:         200
        .size:           8
        .value_kind:     hidden_global_offset_z
      - .offset:         208
        .size:           2
        .value_kind:     hidden_grid_dims
    .group_segment_fixed_size: 17472
    .kernarg_segment_align: 8
    .kernarg_segment_size: 400
    .language:       OpenCL C
    .language_version:
      - 2
      - 0
    .max_flat_workgroup_size: 256
    .name:           _Z39paged_attention_ll4mi_QKV_mfma16_kernelI14__hip_bfloat16hLN4vllm18Fp8KVCacheDataTypeE1ES0_Li16ELi128ELi256ELb1ELi11EL8MFMAType0EEvPKT_PKT0_S9_ifPKiSB_SB_iPKfiiiPfSE_PS4_PT2_iSD_SD_
    .private_segment_fixed_size: 0
    .sgpr_count:     38
    .sgpr_spill_count: 0
    .symbol:         _Z39paged_attention_ll4mi_QKV_mfma16_kernelI14__hip_bfloat16hLN4vllm18Fp8KVCacheDataTypeE1ES0_Li16ELi128ELi256ELb1ELi11EL8MFMAType0EEvPKT_PKT0_S9_ifPKiSB_SB_iPKfiiiPfSE_PS4_PT2_iSD_SD_.kd
    .uniform_work_group_size: 1
    .uses_dynamic_stack: false
    .vgpr_count:     140
    .vgpr_spill_count: 0
    .wavefront_size: 32
    .workgroup_processor_mode: 1
  - .args:
      - .actual_access:  read_only
        .address_space:  global
        .offset:         0
        .size:           8
        .value_kind:     global_buffer
      - .actual_access:  read_only
        .address_space:  global
        .offset:         8
        .size:           8
        .value_kind:     global_buffer
      - .actual_access:  read_only
        .address_space:  global
        .offset:         16
        .size:           8
        .value_kind:     global_buffer
      - .offset:         24
        .size:           4
        .value_kind:     by_value
      - .offset:         28
        .size:           4
        .value_kind:     by_value
      - .actual_access:  read_only
        .address_space:  global
        .offset:         32
        .size:           8
        .value_kind:     global_buffer
      - .actual_access:  read_only
        .address_space:  global
        .offset:         40
        .size:           8
        .value_kind:     global_buffer
      - .actual_access:  read_only
        .address_space:  global
        .offset:         48
        .size:           8
        .value_kind:     global_buffer
      - .offset:         56
        .size:           4
        .value_kind:     by_value
      - .actual_access:  read_only
        .address_space:  global
        .offset:         64
        .size:           8
        .value_kind:     global_buffer
      - .offset:         72
        .size:           4
        .value_kind:     by_value
      - .offset:         76
        .size:           4
        .value_kind:     by_value
      - .offset:         80
        .size:           4
        .value_kind:     by_value
      - .actual_access:  write_only
        .address_space:  global
        .offset:         88
        .size:           8
        .value_kind:     global_buffer
      - .actual_access:  write_only
        .address_space:  global
        .offset:         96
        .size:           8
        .value_kind:     global_buffer
      - .actual_access:  write_only
        .address_space:  global
        .offset:         104
        .size:           8
        .value_kind:     global_buffer
      - .actual_access:  read_only
        .address_space:  global
        .offset:         112
        .size:           8
        .value_kind:     global_buffer
      - .offset:         120
        .size:           4
        .value_kind:     by_value
      - .address_space:  global
        .offset:         128
        .size:           8
        .value_kind:     global_buffer
      - .address_space:  global
        .offset:         136
        .size:           8
        .value_kind:     global_buffer
      - .offset:         144
        .size:           4
        .value_kind:     hidden_block_count_x
      - .offset:         148
        .size:           4
        .value_kind:     hidden_block_count_y
      - .offset:         152
        .size:           4
        .value_kind:     hidden_block_count_z
      - .offset:         156
        .size:           2
        .value_kind:     hidden_group_size_x
      - .offset:         158
        .size:           2
        .value_kind:     hidden_group_size_y
      - .offset:         160
        .size:           2
        .value_kind:     hidden_group_size_z
      - .offset:         162
        .size:           2
        .value_kind:     hidden_remainder_x
      - .offset:         164
        .size:           2
        .value_kind:     hidden_remainder_y
      - .offset:         166
        .size:           2
        .value_kind:     hidden_remainder_z
      - .offset:         184
        .size:           8
        .value_kind:     hidden_global_offset_x
      - .offset:         192
        .size:           8
        .value_kind:     hidden_global_offset_y
      - .offset:         200
        .size:           8
        .value_kind:     hidden_global_offset_z
      - .offset:         208
        .size:           2
        .value_kind:     hidden_grid_dims
    .group_segment_fixed_size: 17472
    .kernarg_segment_align: 8
    .kernarg_segment_size: 400
    .language:       OpenCL C
    .language_version:
      - 2
      - 0
    .max_flat_workgroup_size: 256
    .name:           _Z39paged_attention_ll4mi_QKV_mfma16_kernelI14__hip_bfloat16hLN4vllm18Fp8KVCacheDataTypeE1ES0_Li16ELi128ELi256ELb1ELi12EL8MFMAType0EEvPKT_PKT0_S9_ifPKiSB_SB_iPKfiiiPfSE_PS4_PT2_iSD_SD_
    .private_segment_fixed_size: 0
    .sgpr_count:     38
    .sgpr_spill_count: 0
    .symbol:         _Z39paged_attention_ll4mi_QKV_mfma16_kernelI14__hip_bfloat16hLN4vllm18Fp8KVCacheDataTypeE1ES0_Li16ELi128ELi256ELb1ELi12EL8MFMAType0EEvPKT_PKT0_S9_ifPKiSB_SB_iPKfiiiPfSE_PS4_PT2_iSD_SD_.kd
    .uniform_work_group_size: 1
    .uses_dynamic_stack: false
    .vgpr_count:     140
    .vgpr_spill_count: 0
    .wavefront_size: 32
    .workgroup_processor_mode: 1
  - .args:
      - .actual_access:  read_only
        .address_space:  global
        .offset:         0
        .size:           8
        .value_kind:     global_buffer
      - .actual_access:  read_only
        .address_space:  global
        .offset:         8
        .size:           8
        .value_kind:     global_buffer
      - .actual_access:  read_only
        .address_space:  global
        .offset:         16
        .size:           8
        .value_kind:     global_buffer
      - .offset:         24
        .size:           4
        .value_kind:     by_value
      - .offset:         28
        .size:           4
        .value_kind:     by_value
      - .actual_access:  read_only
        .address_space:  global
        .offset:         32
        .size:           8
        .value_kind:     global_buffer
      - .actual_access:  read_only
        .address_space:  global
        .offset:         40
        .size:           8
        .value_kind:     global_buffer
      - .actual_access:  read_only
        .address_space:  global
        .offset:         48
        .size:           8
        .value_kind:     global_buffer
      - .offset:         56
        .size:           4
        .value_kind:     by_value
      - .actual_access:  read_only
        .address_space:  global
        .offset:         64
        .size:           8
        .value_kind:     global_buffer
      - .offset:         72
        .size:           4
        .value_kind:     by_value
      - .offset:         76
        .size:           4
        .value_kind:     by_value
      - .offset:         80
        .size:           4
        .value_kind:     by_value
      - .actual_access:  write_only
        .address_space:  global
        .offset:         88
        .size:           8
        .value_kind:     global_buffer
      - .actual_access:  write_only
        .address_space:  global
        .offset:         96
        .size:           8
        .value_kind:     global_buffer
      - .actual_access:  write_only
        .address_space:  global
        .offset:         104
        .size:           8
        .value_kind:     global_buffer
      - .actual_access:  read_only
        .address_space:  global
        .offset:         112
        .size:           8
        .value_kind:     global_buffer
      - .offset:         120
        .size:           4
        .value_kind:     by_value
      - .address_space:  global
        .offset:         128
        .size:           8
        .value_kind:     global_buffer
      - .address_space:  global
        .offset:         136
        .size:           8
        .value_kind:     global_buffer
      - .offset:         144
        .size:           4
        .value_kind:     hidden_block_count_x
      - .offset:         148
        .size:           4
        .value_kind:     hidden_block_count_y
      - .offset:         152
        .size:           4
        .value_kind:     hidden_block_count_z
      - .offset:         156
        .size:           2
        .value_kind:     hidden_group_size_x
      - .offset:         158
        .size:           2
        .value_kind:     hidden_group_size_y
      - .offset:         160
        .size:           2
        .value_kind:     hidden_group_size_z
      - .offset:         162
        .size:           2
        .value_kind:     hidden_remainder_x
      - .offset:         164
        .size:           2
        .value_kind:     hidden_remainder_y
      - .offset:         166
        .size:           2
        .value_kind:     hidden_remainder_z
      - .offset:         184
        .size:           8
        .value_kind:     hidden_global_offset_x
      - .offset:         192
        .size:           8
        .value_kind:     hidden_global_offset_y
      - .offset:         200
        .size:           8
        .value_kind:     hidden_global_offset_z
      - .offset:         208
        .size:           2
        .value_kind:     hidden_grid_dims
    .group_segment_fixed_size: 17472
    .kernarg_segment_align: 8
    .kernarg_segment_size: 400
    .language:       OpenCL C
    .language_version:
      - 2
      - 0
    .max_flat_workgroup_size: 256
    .name:           _Z39paged_attention_ll4mi_QKV_mfma16_kernelI14__hip_bfloat16hLN4vllm18Fp8KVCacheDataTypeE1ES0_Li16ELi128ELi256ELb1ELi13EL8MFMAType0EEvPKT_PKT0_S9_ifPKiSB_SB_iPKfiiiPfSE_PS4_PT2_iSD_SD_
    .private_segment_fixed_size: 0
    .sgpr_count:     38
    .sgpr_spill_count: 0
    .symbol:         _Z39paged_attention_ll4mi_QKV_mfma16_kernelI14__hip_bfloat16hLN4vllm18Fp8KVCacheDataTypeE1ES0_Li16ELi128ELi256ELb1ELi13EL8MFMAType0EEvPKT_PKT0_S9_ifPKiSB_SB_iPKfiiiPfSE_PS4_PT2_iSD_SD_.kd
    .uniform_work_group_size: 1
    .uses_dynamic_stack: false
    .vgpr_count:     140
    .vgpr_spill_count: 0
    .wavefront_size: 32
    .workgroup_processor_mode: 1
  - .args:
      - .actual_access:  read_only
        .address_space:  global
        .offset:         0
        .size:           8
        .value_kind:     global_buffer
      - .actual_access:  read_only
        .address_space:  global
        .offset:         8
        .size:           8
        .value_kind:     global_buffer
      - .actual_access:  read_only
        .address_space:  global
        .offset:         16
        .size:           8
        .value_kind:     global_buffer
      - .offset:         24
        .size:           4
        .value_kind:     by_value
      - .offset:         28
        .size:           4
        .value_kind:     by_value
      - .actual_access:  read_only
        .address_space:  global
        .offset:         32
        .size:           8
        .value_kind:     global_buffer
      - .actual_access:  read_only
        .address_space:  global
        .offset:         40
        .size:           8
        .value_kind:     global_buffer
      - .actual_access:  read_only
        .address_space:  global
        .offset:         48
        .size:           8
        .value_kind:     global_buffer
      - .offset:         56
        .size:           4
        .value_kind:     by_value
      - .actual_access:  read_only
        .address_space:  global
        .offset:         64
        .size:           8
        .value_kind:     global_buffer
      - .offset:         72
        .size:           4
        .value_kind:     by_value
      - .offset:         76
        .size:           4
        .value_kind:     by_value
      - .offset:         80
        .size:           4
        .value_kind:     by_value
      - .actual_access:  write_only
        .address_space:  global
        .offset:         88
        .size:           8
        .value_kind:     global_buffer
      - .actual_access:  write_only
        .address_space:  global
        .offset:         96
        .size:           8
        .value_kind:     global_buffer
      - .actual_access:  write_only
        .address_space:  global
        .offset:         104
        .size:           8
        .value_kind:     global_buffer
      - .actual_access:  read_only
        .address_space:  global
        .offset:         112
        .size:           8
        .value_kind:     global_buffer
      - .offset:         120
        .size:           4
        .value_kind:     by_value
      - .address_space:  global
        .offset:         128
        .size:           8
        .value_kind:     global_buffer
      - .address_space:  global
        .offset:         136
        .size:           8
        .value_kind:     global_buffer
      - .offset:         144
        .size:           4
        .value_kind:     hidden_block_count_x
      - .offset:         148
        .size:           4
        .value_kind:     hidden_block_count_y
      - .offset:         152
        .size:           4
        .value_kind:     hidden_block_count_z
      - .offset:         156
        .size:           2
        .value_kind:     hidden_group_size_x
      - .offset:         158
        .size:           2
        .value_kind:     hidden_group_size_y
      - .offset:         160
        .size:           2
        .value_kind:     hidden_group_size_z
      - .offset:         162
        .size:           2
        .value_kind:     hidden_remainder_x
      - .offset:         164
        .size:           2
        .value_kind:     hidden_remainder_y
      - .offset:         166
        .size:           2
        .value_kind:     hidden_remainder_z
      - .offset:         184
        .size:           8
        .value_kind:     hidden_global_offset_x
      - .offset:         192
        .size:           8
        .value_kind:     hidden_global_offset_y
      - .offset:         200
        .size:           8
        .value_kind:     hidden_global_offset_z
      - .offset:         208
        .size:           2
        .value_kind:     hidden_grid_dims
    .group_segment_fixed_size: 17472
    .kernarg_segment_align: 8
    .kernarg_segment_size: 400
    .language:       OpenCL C
    .language_version:
      - 2
      - 0
    .max_flat_workgroup_size: 256
    .name:           _Z39paged_attention_ll4mi_QKV_mfma16_kernelI14__hip_bfloat16hLN4vllm18Fp8KVCacheDataTypeE1ES0_Li16ELi128ELi256ELb1ELi14EL8MFMAType0EEvPKT_PKT0_S9_ifPKiSB_SB_iPKfiiiPfSE_PS4_PT2_iSD_SD_
    .private_segment_fixed_size: 0
    .sgpr_count:     38
    .sgpr_spill_count: 0
    .symbol:         _Z39paged_attention_ll4mi_QKV_mfma16_kernelI14__hip_bfloat16hLN4vllm18Fp8KVCacheDataTypeE1ES0_Li16ELi128ELi256ELb1ELi14EL8MFMAType0EEvPKT_PKT0_S9_ifPKiSB_SB_iPKfiiiPfSE_PS4_PT2_iSD_SD_.kd
    .uniform_work_group_size: 1
    .uses_dynamic_stack: false
    .vgpr_count:     140
    .vgpr_spill_count: 0
    .wavefront_size: 32
    .workgroup_processor_mode: 1
  - .args:
      - .actual_access:  read_only
        .address_space:  global
        .offset:         0
        .size:           8
        .value_kind:     global_buffer
      - .actual_access:  read_only
        .address_space:  global
        .offset:         8
        .size:           8
        .value_kind:     global_buffer
      - .actual_access:  read_only
        .address_space:  global
        .offset:         16
        .size:           8
        .value_kind:     global_buffer
      - .offset:         24
        .size:           4
        .value_kind:     by_value
      - .offset:         28
        .size:           4
        .value_kind:     by_value
      - .actual_access:  read_only
        .address_space:  global
        .offset:         32
        .size:           8
        .value_kind:     global_buffer
      - .actual_access:  read_only
        .address_space:  global
        .offset:         40
        .size:           8
        .value_kind:     global_buffer
      - .actual_access:  read_only
        .address_space:  global
        .offset:         48
        .size:           8
        .value_kind:     global_buffer
      - .offset:         56
        .size:           4
        .value_kind:     by_value
      - .actual_access:  read_only
        .address_space:  global
        .offset:         64
        .size:           8
        .value_kind:     global_buffer
      - .offset:         72
        .size:           4
        .value_kind:     by_value
      - .offset:         76
        .size:           4
        .value_kind:     by_value
      - .offset:         80
        .size:           4
        .value_kind:     by_value
      - .actual_access:  write_only
        .address_space:  global
        .offset:         88
        .size:           8
        .value_kind:     global_buffer
      - .actual_access:  write_only
        .address_space:  global
        .offset:         96
        .size:           8
        .value_kind:     global_buffer
      - .actual_access:  write_only
        .address_space:  global
        .offset:         104
        .size:           8
        .value_kind:     global_buffer
      - .actual_access:  read_only
        .address_space:  global
        .offset:         112
        .size:           8
        .value_kind:     global_buffer
      - .offset:         120
        .size:           4
        .value_kind:     by_value
      - .address_space:  global
        .offset:         128
        .size:           8
        .value_kind:     global_buffer
      - .address_space:  global
        .offset:         136
        .size:           8
        .value_kind:     global_buffer
      - .offset:         144
        .size:           4
        .value_kind:     hidden_block_count_x
      - .offset:         148
        .size:           4
        .value_kind:     hidden_block_count_y
      - .offset:         152
        .size:           4
        .value_kind:     hidden_block_count_z
      - .offset:         156
        .size:           2
        .value_kind:     hidden_group_size_x
      - .offset:         158
        .size:           2
        .value_kind:     hidden_group_size_y
      - .offset:         160
        .size:           2
        .value_kind:     hidden_group_size_z
      - .offset:         162
        .size:           2
        .value_kind:     hidden_remainder_x
      - .offset:         164
        .size:           2
        .value_kind:     hidden_remainder_y
      - .offset:         166
        .size:           2
        .value_kind:     hidden_remainder_z
      - .offset:         184
        .size:           8
        .value_kind:     hidden_global_offset_x
      - .offset:         192
        .size:           8
        .value_kind:     hidden_global_offset_y
      - .offset:         200
        .size:           8
        .value_kind:     hidden_global_offset_z
      - .offset:         208
        .size:           2
        .value_kind:     hidden_grid_dims
    .group_segment_fixed_size: 17472
    .kernarg_segment_align: 8
    .kernarg_segment_size: 400
    .language:       OpenCL C
    .language_version:
      - 2
      - 0
    .max_flat_workgroup_size: 256
    .name:           _Z39paged_attention_ll4mi_QKV_mfma16_kernelI14__hip_bfloat16hLN4vllm18Fp8KVCacheDataTypeE1ES0_Li16ELi128ELi256ELb1ELi15EL8MFMAType0EEvPKT_PKT0_S9_ifPKiSB_SB_iPKfiiiPfSE_PS4_PT2_iSD_SD_
    .private_segment_fixed_size: 0
    .sgpr_count:     38
    .sgpr_spill_count: 0
    .symbol:         _Z39paged_attention_ll4mi_QKV_mfma16_kernelI14__hip_bfloat16hLN4vllm18Fp8KVCacheDataTypeE1ES0_Li16ELi128ELi256ELb1ELi15EL8MFMAType0EEvPKT_PKT0_S9_ifPKiSB_SB_iPKfiiiPfSE_PS4_PT2_iSD_SD_.kd
    .uniform_work_group_size: 1
    .uses_dynamic_stack: false
    .vgpr_count:     140
    .vgpr_spill_count: 0
    .wavefront_size: 32
    .workgroup_processor_mode: 1
  - .args:
      - .actual_access:  read_only
        .address_space:  global
        .offset:         0
        .size:           8
        .value_kind:     global_buffer
      - .actual_access:  read_only
        .address_space:  global
        .offset:         8
        .size:           8
        .value_kind:     global_buffer
      - .actual_access:  read_only
        .address_space:  global
        .offset:         16
        .size:           8
        .value_kind:     global_buffer
      - .offset:         24
        .size:           4
        .value_kind:     by_value
      - .offset:         28
        .size:           4
        .value_kind:     by_value
      - .actual_access:  read_only
        .address_space:  global
        .offset:         32
        .size:           8
        .value_kind:     global_buffer
      - .actual_access:  read_only
        .address_space:  global
        .offset:         40
        .size:           8
        .value_kind:     global_buffer
      - .actual_access:  read_only
        .address_space:  global
        .offset:         48
        .size:           8
        .value_kind:     global_buffer
      - .offset:         56
        .size:           4
        .value_kind:     by_value
      - .actual_access:  read_only
        .address_space:  global
        .offset:         64
        .size:           8
        .value_kind:     global_buffer
      - .offset:         72
        .size:           4
        .value_kind:     by_value
      - .offset:         76
        .size:           4
        .value_kind:     by_value
      - .offset:         80
        .size:           4
        .value_kind:     by_value
      - .actual_access:  write_only
        .address_space:  global
        .offset:         88
        .size:           8
        .value_kind:     global_buffer
      - .actual_access:  write_only
        .address_space:  global
        .offset:         96
        .size:           8
        .value_kind:     global_buffer
      - .actual_access:  write_only
        .address_space:  global
        .offset:         104
        .size:           8
        .value_kind:     global_buffer
      - .actual_access:  read_only
        .address_space:  global
        .offset:         112
        .size:           8
        .value_kind:     global_buffer
      - .offset:         120
        .size:           4
        .value_kind:     by_value
      - .address_space:  global
        .offset:         128
        .size:           8
        .value_kind:     global_buffer
      - .address_space:  global
        .offset:         136
        .size:           8
        .value_kind:     global_buffer
      - .offset:         144
        .size:           4
        .value_kind:     hidden_block_count_x
      - .offset:         148
        .size:           4
        .value_kind:     hidden_block_count_y
      - .offset:         152
        .size:           4
        .value_kind:     hidden_block_count_z
      - .offset:         156
        .size:           2
        .value_kind:     hidden_group_size_x
      - .offset:         158
        .size:           2
        .value_kind:     hidden_group_size_y
      - .offset:         160
        .size:           2
        .value_kind:     hidden_group_size_z
      - .offset:         162
        .size:           2
        .value_kind:     hidden_remainder_x
      - .offset:         164
        .size:           2
        .value_kind:     hidden_remainder_y
      - .offset:         166
        .size:           2
        .value_kind:     hidden_remainder_z
      - .offset:         184
        .size:           8
        .value_kind:     hidden_global_offset_x
      - .offset:         192
        .size:           8
        .value_kind:     hidden_global_offset_y
      - .offset:         200
        .size:           8
        .value_kind:     hidden_global_offset_z
      - .offset:         208
        .size:           2
        .value_kind:     hidden_grid_dims
    .group_segment_fixed_size: 17472
    .kernarg_segment_align: 8
    .kernarg_segment_size: 400
    .language:       OpenCL C
    .language_version:
      - 2
      - 0
    .max_flat_workgroup_size: 256
    .name:           _Z39paged_attention_ll4mi_QKV_mfma16_kernelI14__hip_bfloat16hLN4vllm18Fp8KVCacheDataTypeE1ES0_Li16ELi128ELi256ELb1ELi16EL8MFMAType0EEvPKT_PKT0_S9_ifPKiSB_SB_iPKfiiiPfSE_PS4_PT2_iSD_SD_
    .private_segment_fixed_size: 0
    .sgpr_count:     38
    .sgpr_spill_count: 0
    .symbol:         _Z39paged_attention_ll4mi_QKV_mfma16_kernelI14__hip_bfloat16hLN4vllm18Fp8KVCacheDataTypeE1ES0_Li16ELi128ELi256ELb1ELi16EL8MFMAType0EEvPKT_PKT0_S9_ifPKiSB_SB_iPKfiiiPfSE_PS4_PT2_iSD_SD_.kd
    .uniform_work_group_size: 1
    .uses_dynamic_stack: false
    .vgpr_count:     141
    .vgpr_spill_count: 0
    .wavefront_size: 32
    .workgroup_processor_mode: 1
  - .args:
      - .actual_access:  read_only
        .address_space:  global
        .offset:         0
        .size:           8
        .value_kind:     global_buffer
      - .actual_access:  read_only
        .address_space:  global
        .offset:         8
        .size:           8
        .value_kind:     global_buffer
      - .actual_access:  read_only
        .address_space:  global
        .offset:         16
        .size:           8
        .value_kind:     global_buffer
      - .offset:         24
        .size:           4
        .value_kind:     by_value
      - .offset:         28
        .size:           4
        .value_kind:     by_value
      - .actual_access:  read_only
        .address_space:  global
        .offset:         32
        .size:           8
        .value_kind:     global_buffer
      - .actual_access:  read_only
        .address_space:  global
        .offset:         40
        .size:           8
        .value_kind:     global_buffer
      - .actual_access:  read_only
        .address_space:  global
        .offset:         48
        .size:           8
        .value_kind:     global_buffer
      - .offset:         56
        .size:           4
        .value_kind:     by_value
      - .actual_access:  read_only
        .address_space:  global
        .offset:         64
        .size:           8
        .value_kind:     global_buffer
      - .offset:         72
        .size:           4
        .value_kind:     by_value
      - .offset:         76
        .size:           4
        .value_kind:     by_value
      - .offset:         80
        .size:           4
        .value_kind:     by_value
      - .actual_access:  write_only
        .address_space:  global
        .offset:         88
        .size:           8
        .value_kind:     global_buffer
      - .actual_access:  write_only
        .address_space:  global
        .offset:         96
        .size:           8
        .value_kind:     global_buffer
      - .actual_access:  write_only
        .address_space:  global
        .offset:         104
        .size:           8
        .value_kind:     global_buffer
      - .actual_access:  read_only
        .address_space:  global
        .offset:         112
        .size:           8
        .value_kind:     global_buffer
      - .offset:         120
        .size:           4
        .value_kind:     by_value
      - .address_space:  global
        .offset:         128
        .size:           8
        .value_kind:     global_buffer
      - .address_space:  global
        .offset:         136
        .size:           8
        .value_kind:     global_buffer
      - .offset:         144
        .size:           4
        .value_kind:     hidden_block_count_x
      - .offset:         148
        .size:           4
        .value_kind:     hidden_block_count_y
      - .offset:         152
        .size:           4
        .value_kind:     hidden_block_count_z
      - .offset:         156
        .size:           2
        .value_kind:     hidden_group_size_x
      - .offset:         158
        .size:           2
        .value_kind:     hidden_group_size_y
      - .offset:         160
        .size:           2
        .value_kind:     hidden_group_size_z
      - .offset:         162
        .size:           2
        .value_kind:     hidden_remainder_x
      - .offset:         164
        .size:           2
        .value_kind:     hidden_remainder_y
      - .offset:         166
        .size:           2
        .value_kind:     hidden_remainder_z
      - .offset:         184
        .size:           8
        .value_kind:     hidden_global_offset_x
      - .offset:         192
        .size:           8
        .value_kind:     hidden_global_offset_y
      - .offset:         200
        .size:           8
        .value_kind:     hidden_global_offset_z
      - .offset:         208
        .size:           2
        .value_kind:     hidden_grid_dims
    .group_segment_fixed_size: 17472
    .kernarg_segment_align: 8
    .kernarg_segment_size: 400
    .language:       OpenCL C
    .language_version:
      - 2
      - 0
    .max_flat_workgroup_size: 256
    .name:           _Z39paged_attention_ll4mi_QKV_mfma16_kernelI14__hip_bfloat16hLN4vllm18Fp8KVCacheDataTypeE1ES0_Li16ELi128ELi256ELb1ELi1EL8MFMAType0EEvPKT_PKT0_S9_ifPKiSB_SB_iPKfiiiPfSE_PS4_PT2_iSD_SD_
    .private_segment_fixed_size: 0
    .sgpr_count:     68
    .sgpr_spill_count: 0
    .symbol:         _Z39paged_attention_ll4mi_QKV_mfma16_kernelI14__hip_bfloat16hLN4vllm18Fp8KVCacheDataTypeE1ES0_Li16ELi128ELi256ELb1ELi1EL8MFMAType0EEvPKT_PKT0_S9_ifPKiSB_SB_iPKfiiiPfSE_PS4_PT2_iSD_SD_.kd
    .uniform_work_group_size: 1
    .uses_dynamic_stack: false
    .vgpr_count:     138
    .vgpr_spill_count: 0
    .wavefront_size: 32
    .workgroup_processor_mode: 1
  - .args:
      - .actual_access:  read_only
        .address_space:  global
        .offset:         0
        .size:           8
        .value_kind:     global_buffer
      - .actual_access:  read_only
        .address_space:  global
        .offset:         8
        .size:           8
        .value_kind:     global_buffer
      - .actual_access:  read_only
        .address_space:  global
        .offset:         16
        .size:           8
        .value_kind:     global_buffer
      - .offset:         24
        .size:           4
        .value_kind:     by_value
      - .offset:         28
        .size:           4
        .value_kind:     by_value
      - .actual_access:  read_only
        .address_space:  global
        .offset:         32
        .size:           8
        .value_kind:     global_buffer
      - .actual_access:  read_only
        .address_space:  global
        .offset:         40
        .size:           8
        .value_kind:     global_buffer
      - .actual_access:  read_only
        .address_space:  global
        .offset:         48
        .size:           8
        .value_kind:     global_buffer
      - .offset:         56
        .size:           4
        .value_kind:     by_value
      - .actual_access:  read_only
        .address_space:  global
        .offset:         64
        .size:           8
        .value_kind:     global_buffer
      - .offset:         72
        .size:           4
        .value_kind:     by_value
      - .offset:         76
        .size:           4
        .value_kind:     by_value
      - .offset:         80
        .size:           4
        .value_kind:     by_value
      - .actual_access:  write_only
        .address_space:  global
        .offset:         88
        .size:           8
        .value_kind:     global_buffer
      - .actual_access:  write_only
        .address_space:  global
        .offset:         96
        .size:           8
        .value_kind:     global_buffer
      - .actual_access:  write_only
        .address_space:  global
        .offset:         104
        .size:           8
        .value_kind:     global_buffer
      - .actual_access:  read_only
        .address_space:  global
        .offset:         112
        .size:           8
        .value_kind:     global_buffer
      - .offset:         120
        .size:           4
        .value_kind:     by_value
      - .address_space:  global
        .offset:         128
        .size:           8
        .value_kind:     global_buffer
      - .address_space:  global
        .offset:         136
        .size:           8
        .value_kind:     global_buffer
      - .offset:         144
        .size:           4
        .value_kind:     hidden_block_count_x
      - .offset:         148
        .size:           4
        .value_kind:     hidden_block_count_y
      - .offset:         152
        .size:           4
        .value_kind:     hidden_block_count_z
      - .offset:         156
        .size:           2
        .value_kind:     hidden_group_size_x
      - .offset:         158
        .size:           2
        .value_kind:     hidden_group_size_y
      - .offset:         160
        .size:           2
        .value_kind:     hidden_group_size_z
      - .offset:         162
        .size:           2
        .value_kind:     hidden_remainder_x
      - .offset:         164
        .size:           2
        .value_kind:     hidden_remainder_y
      - .offset:         166
        .size:           2
        .value_kind:     hidden_remainder_z
      - .offset:         184
        .size:           8
        .value_kind:     hidden_global_offset_x
      - .offset:         192
        .size:           8
        .value_kind:     hidden_global_offset_y
      - .offset:         200
        .size:           8
        .value_kind:     hidden_global_offset_z
      - .offset:         208
        .size:           2
        .value_kind:     hidden_grid_dims
    .group_segment_fixed_size: 17472
    .kernarg_segment_align: 8
    .kernarg_segment_size: 400
    .language:       OpenCL C
    .language_version:
      - 2
      - 0
    .max_flat_workgroup_size: 256
    .name:           _Z39paged_attention_ll4mi_QKV_mfma16_kernelI14__hip_bfloat16hLN4vllm18Fp8KVCacheDataTypeE1ES0_Li16ELi128ELi256ELb1ELi2EL8MFMAType0EEvPKT_PKT0_S9_ifPKiSB_SB_iPKfiiiPfSE_PS4_PT2_iSD_SD_
    .private_segment_fixed_size: 0
    .sgpr_count:     38
    .sgpr_spill_count: 0
    .symbol:         _Z39paged_attention_ll4mi_QKV_mfma16_kernelI14__hip_bfloat16hLN4vllm18Fp8KVCacheDataTypeE1ES0_Li16ELi128ELi256ELb1ELi2EL8MFMAType0EEvPKT_PKT0_S9_ifPKiSB_SB_iPKfiiiPfSE_PS4_PT2_iSD_SD_.kd
    .uniform_work_group_size: 1
    .uses_dynamic_stack: false
    .vgpr_count:     138
    .vgpr_spill_count: 0
    .wavefront_size: 32
    .workgroup_processor_mode: 1
  - .args:
      - .actual_access:  read_only
        .address_space:  global
        .offset:         0
        .size:           8
        .value_kind:     global_buffer
      - .actual_access:  read_only
        .address_space:  global
        .offset:         8
        .size:           8
        .value_kind:     global_buffer
      - .actual_access:  read_only
        .address_space:  global
        .offset:         16
        .size:           8
        .value_kind:     global_buffer
      - .offset:         24
        .size:           4
        .value_kind:     by_value
      - .offset:         28
        .size:           4
        .value_kind:     by_value
      - .actual_access:  read_only
        .address_space:  global
        .offset:         32
        .size:           8
        .value_kind:     global_buffer
      - .actual_access:  read_only
        .address_space:  global
        .offset:         40
        .size:           8
        .value_kind:     global_buffer
      - .actual_access:  read_only
        .address_space:  global
        .offset:         48
        .size:           8
        .value_kind:     global_buffer
      - .offset:         56
        .size:           4
        .value_kind:     by_value
      - .actual_access:  read_only
        .address_space:  global
        .offset:         64
        .size:           8
        .value_kind:     global_buffer
      - .offset:         72
        .size:           4
        .value_kind:     by_value
      - .offset:         76
        .size:           4
        .value_kind:     by_value
      - .offset:         80
        .size:           4
        .value_kind:     by_value
      - .actual_access:  write_only
        .address_space:  global
        .offset:         88
        .size:           8
        .value_kind:     global_buffer
      - .actual_access:  write_only
        .address_space:  global
        .offset:         96
        .size:           8
        .value_kind:     global_buffer
      - .actual_access:  write_only
        .address_space:  global
        .offset:         104
        .size:           8
        .value_kind:     global_buffer
      - .actual_access:  read_only
        .address_space:  global
        .offset:         112
        .size:           8
        .value_kind:     global_buffer
      - .offset:         120
        .size:           4
        .value_kind:     by_value
      - .address_space:  global
        .offset:         128
        .size:           8
        .value_kind:     global_buffer
      - .address_space:  global
        .offset:         136
        .size:           8
        .value_kind:     global_buffer
      - .offset:         144
        .size:           4
        .value_kind:     hidden_block_count_x
      - .offset:         148
        .size:           4
        .value_kind:     hidden_block_count_y
      - .offset:         152
        .size:           4
        .value_kind:     hidden_block_count_z
      - .offset:         156
        .size:           2
        .value_kind:     hidden_group_size_x
      - .offset:         158
        .size:           2
        .value_kind:     hidden_group_size_y
      - .offset:         160
        .size:           2
        .value_kind:     hidden_group_size_z
      - .offset:         162
        .size:           2
        .value_kind:     hidden_remainder_x
      - .offset:         164
        .size:           2
        .value_kind:     hidden_remainder_y
      - .offset:         166
        .size:           2
        .value_kind:     hidden_remainder_z
      - .offset:         184
        .size:           8
        .value_kind:     hidden_global_offset_x
      - .offset:         192
        .size:           8
        .value_kind:     hidden_global_offset_y
      - .offset:         200
        .size:           8
        .value_kind:     hidden_global_offset_z
      - .offset:         208
        .size:           2
        .value_kind:     hidden_grid_dims
    .group_segment_fixed_size: 17472
    .kernarg_segment_align: 8
    .kernarg_segment_size: 400
    .language:       OpenCL C
    .language_version:
      - 2
      - 0
    .max_flat_workgroup_size: 256
    .name:           _Z39paged_attention_ll4mi_QKV_mfma16_kernelI14__hip_bfloat16hLN4vllm18Fp8KVCacheDataTypeE1ES0_Li16ELi128ELi256ELb1ELi3EL8MFMAType0EEvPKT_PKT0_S9_ifPKiSB_SB_iPKfiiiPfSE_PS4_PT2_iSD_SD_
    .private_segment_fixed_size: 0
    .sgpr_count:     38
    .sgpr_spill_count: 0
    .symbol:         _Z39paged_attention_ll4mi_QKV_mfma16_kernelI14__hip_bfloat16hLN4vllm18Fp8KVCacheDataTypeE1ES0_Li16ELi128ELi256ELb1ELi3EL8MFMAType0EEvPKT_PKT0_S9_ifPKiSB_SB_iPKfiiiPfSE_PS4_PT2_iSD_SD_.kd
    .uniform_work_group_size: 1
    .uses_dynamic_stack: false
    .vgpr_count:     140
    .vgpr_spill_count: 0
    .wavefront_size: 32
    .workgroup_processor_mode: 1
  - .args:
      - .actual_access:  read_only
        .address_space:  global
        .offset:         0
        .size:           8
        .value_kind:     global_buffer
      - .actual_access:  read_only
        .address_space:  global
        .offset:         8
        .size:           8
        .value_kind:     global_buffer
      - .actual_access:  read_only
        .address_space:  global
        .offset:         16
        .size:           8
        .value_kind:     global_buffer
      - .offset:         24
        .size:           4
        .value_kind:     by_value
      - .offset:         28
        .size:           4
        .value_kind:     by_value
      - .actual_access:  read_only
        .address_space:  global
        .offset:         32
        .size:           8
        .value_kind:     global_buffer
      - .actual_access:  read_only
        .address_space:  global
        .offset:         40
        .size:           8
        .value_kind:     global_buffer
      - .actual_access:  read_only
        .address_space:  global
        .offset:         48
        .size:           8
        .value_kind:     global_buffer
      - .offset:         56
        .size:           4
        .value_kind:     by_value
      - .actual_access:  read_only
        .address_space:  global
        .offset:         64
        .size:           8
        .value_kind:     global_buffer
      - .offset:         72
        .size:           4
        .value_kind:     by_value
      - .offset:         76
        .size:           4
        .value_kind:     by_value
      - .offset:         80
        .size:           4
        .value_kind:     by_value
      - .actual_access:  write_only
        .address_space:  global
        .offset:         88
        .size:           8
        .value_kind:     global_buffer
      - .actual_access:  write_only
        .address_space:  global
        .offset:         96
        .size:           8
        .value_kind:     global_buffer
      - .actual_access:  write_only
        .address_space:  global
        .offset:         104
        .size:           8
        .value_kind:     global_buffer
      - .actual_access:  read_only
        .address_space:  global
        .offset:         112
        .size:           8
        .value_kind:     global_buffer
      - .offset:         120
        .size:           4
        .value_kind:     by_value
      - .address_space:  global
        .offset:         128
        .size:           8
        .value_kind:     global_buffer
      - .address_space:  global
        .offset:         136
        .size:           8
        .value_kind:     global_buffer
      - .offset:         144
        .size:           4
        .value_kind:     hidden_block_count_x
      - .offset:         148
        .size:           4
        .value_kind:     hidden_block_count_y
      - .offset:         152
        .size:           4
        .value_kind:     hidden_block_count_z
      - .offset:         156
        .size:           2
        .value_kind:     hidden_group_size_x
      - .offset:         158
        .size:           2
        .value_kind:     hidden_group_size_y
      - .offset:         160
        .size:           2
        .value_kind:     hidden_group_size_z
      - .offset:         162
        .size:           2
        .value_kind:     hidden_remainder_x
      - .offset:         164
        .size:           2
        .value_kind:     hidden_remainder_y
      - .offset:         166
        .size:           2
        .value_kind:     hidden_remainder_z
      - .offset:         184
        .size:           8
        .value_kind:     hidden_global_offset_x
      - .offset:         192
        .size:           8
        .value_kind:     hidden_global_offset_y
      - .offset:         200
        .size:           8
        .value_kind:     hidden_global_offset_z
      - .offset:         208
        .size:           2
        .value_kind:     hidden_grid_dims
    .group_segment_fixed_size: 17472
    .kernarg_segment_align: 8
    .kernarg_segment_size: 400
    .language:       OpenCL C
    .language_version:
      - 2
      - 0
    .max_flat_workgroup_size: 256
    .name:           _Z39paged_attention_ll4mi_QKV_mfma16_kernelI14__hip_bfloat16hLN4vllm18Fp8KVCacheDataTypeE1ES0_Li16ELi128ELi256ELb1ELi4EL8MFMAType0EEvPKT_PKT0_S9_ifPKiSB_SB_iPKfiiiPfSE_PS4_PT2_iSD_SD_
    .private_segment_fixed_size: 0
    .sgpr_count:     38
    .sgpr_spill_count: 0
    .symbol:         _Z39paged_attention_ll4mi_QKV_mfma16_kernelI14__hip_bfloat16hLN4vllm18Fp8KVCacheDataTypeE1ES0_Li16ELi128ELi256ELb1ELi4EL8MFMAType0EEvPKT_PKT0_S9_ifPKiSB_SB_iPKfiiiPfSE_PS4_PT2_iSD_SD_.kd
    .uniform_work_group_size: 1
    .uses_dynamic_stack: false
    .vgpr_count:     140
    .vgpr_spill_count: 0
    .wavefront_size: 32
    .workgroup_processor_mode: 1
  - .args:
      - .actual_access:  read_only
        .address_space:  global
        .offset:         0
        .size:           8
        .value_kind:     global_buffer
      - .actual_access:  read_only
        .address_space:  global
        .offset:         8
        .size:           8
        .value_kind:     global_buffer
      - .actual_access:  read_only
        .address_space:  global
        .offset:         16
        .size:           8
        .value_kind:     global_buffer
      - .offset:         24
        .size:           4
        .value_kind:     by_value
      - .offset:         28
        .size:           4
        .value_kind:     by_value
      - .actual_access:  read_only
        .address_space:  global
        .offset:         32
        .size:           8
        .value_kind:     global_buffer
      - .actual_access:  read_only
        .address_space:  global
        .offset:         40
        .size:           8
        .value_kind:     global_buffer
      - .actual_access:  read_only
        .address_space:  global
        .offset:         48
        .size:           8
        .value_kind:     global_buffer
      - .offset:         56
        .size:           4
        .value_kind:     by_value
      - .actual_access:  read_only
        .address_space:  global
        .offset:         64
        .size:           8
        .value_kind:     global_buffer
      - .offset:         72
        .size:           4
        .value_kind:     by_value
      - .offset:         76
        .size:           4
        .value_kind:     by_value
      - .offset:         80
        .size:           4
        .value_kind:     by_value
      - .actual_access:  write_only
        .address_space:  global
        .offset:         88
        .size:           8
        .value_kind:     global_buffer
      - .actual_access:  write_only
        .address_space:  global
        .offset:         96
        .size:           8
        .value_kind:     global_buffer
      - .actual_access:  write_only
        .address_space:  global
        .offset:         104
        .size:           8
        .value_kind:     global_buffer
      - .actual_access:  read_only
        .address_space:  global
        .offset:         112
        .size:           8
        .value_kind:     global_buffer
      - .offset:         120
        .size:           4
        .value_kind:     by_value
      - .address_space:  global
        .offset:         128
        .size:           8
        .value_kind:     global_buffer
      - .address_space:  global
        .offset:         136
        .size:           8
        .value_kind:     global_buffer
      - .offset:         144
        .size:           4
        .value_kind:     hidden_block_count_x
      - .offset:         148
        .size:           4
        .value_kind:     hidden_block_count_y
      - .offset:         152
        .size:           4
        .value_kind:     hidden_block_count_z
      - .offset:         156
        .size:           2
        .value_kind:     hidden_group_size_x
      - .offset:         158
        .size:           2
        .value_kind:     hidden_group_size_y
      - .offset:         160
        .size:           2
        .value_kind:     hidden_group_size_z
      - .offset:         162
        .size:           2
        .value_kind:     hidden_remainder_x
      - .offset:         164
        .size:           2
        .value_kind:     hidden_remainder_y
      - .offset:         166
        .size:           2
        .value_kind:     hidden_remainder_z
      - .offset:         184
        .size:           8
        .value_kind:     hidden_global_offset_x
      - .offset:         192
        .size:           8
        .value_kind:     hidden_global_offset_y
      - .offset:         200
        .size:           8
        .value_kind:     hidden_global_offset_z
      - .offset:         208
        .size:           2
        .value_kind:     hidden_grid_dims
    .group_segment_fixed_size: 17472
    .kernarg_segment_align: 8
    .kernarg_segment_size: 400
    .language:       OpenCL C
    .language_version:
      - 2
      - 0
    .max_flat_workgroup_size: 256
    .name:           _Z39paged_attention_ll4mi_QKV_mfma16_kernelI14__hip_bfloat16hLN4vllm18Fp8KVCacheDataTypeE1ES0_Li16ELi128ELi256ELb0ELi5EL8MFMAType0EEvPKT_PKT0_S9_ifPKiSB_SB_iPKfiiiPfSE_PS4_PT2_iSD_SD_
    .private_segment_fixed_size: 0
    .sgpr_count:     38
    .sgpr_spill_count: 0
    .symbol:         _Z39paged_attention_ll4mi_QKV_mfma16_kernelI14__hip_bfloat16hLN4vllm18Fp8KVCacheDataTypeE1ES0_Li16ELi128ELi256ELb0ELi5EL8MFMAType0EEvPKT_PKT0_S9_ifPKiSB_SB_iPKfiiiPfSE_PS4_PT2_iSD_SD_.kd
    .uniform_work_group_size: 1
    .uses_dynamic_stack: false
    .vgpr_count:     140
    .vgpr_spill_count: 0
    .wavefront_size: 32
    .workgroup_processor_mode: 1
  - .args:
      - .actual_access:  read_only
        .address_space:  global
        .offset:         0
        .size:           8
        .value_kind:     global_buffer
      - .actual_access:  read_only
        .address_space:  global
        .offset:         8
        .size:           8
        .value_kind:     global_buffer
      - .actual_access:  read_only
        .address_space:  global
        .offset:         16
        .size:           8
        .value_kind:     global_buffer
      - .offset:         24
        .size:           4
        .value_kind:     by_value
      - .offset:         28
        .size:           4
        .value_kind:     by_value
      - .actual_access:  read_only
        .address_space:  global
        .offset:         32
        .size:           8
        .value_kind:     global_buffer
      - .actual_access:  read_only
        .address_space:  global
        .offset:         40
        .size:           8
        .value_kind:     global_buffer
      - .actual_access:  read_only
        .address_space:  global
        .offset:         48
        .size:           8
        .value_kind:     global_buffer
      - .offset:         56
        .size:           4
        .value_kind:     by_value
      - .actual_access:  read_only
        .address_space:  global
        .offset:         64
        .size:           8
        .value_kind:     global_buffer
      - .offset:         72
        .size:           4
        .value_kind:     by_value
      - .offset:         76
        .size:           4
        .value_kind:     by_value
      - .offset:         80
        .size:           4
        .value_kind:     by_value
      - .actual_access:  write_only
        .address_space:  global
        .offset:         88
        .size:           8
        .value_kind:     global_buffer
      - .actual_access:  write_only
        .address_space:  global
        .offset:         96
        .size:           8
        .value_kind:     global_buffer
      - .actual_access:  write_only
        .address_space:  global
        .offset:         104
        .size:           8
        .value_kind:     global_buffer
      - .actual_access:  read_only
        .address_space:  global
        .offset:         112
        .size:           8
        .value_kind:     global_buffer
      - .offset:         120
        .size:           4
        .value_kind:     by_value
      - .address_space:  global
        .offset:         128
        .size:           8
        .value_kind:     global_buffer
      - .address_space:  global
        .offset:         136
        .size:           8
        .value_kind:     global_buffer
      - .offset:         144
        .size:           4
        .value_kind:     hidden_block_count_x
      - .offset:         148
        .size:           4
        .value_kind:     hidden_block_count_y
      - .offset:         152
        .size:           4
        .value_kind:     hidden_block_count_z
      - .offset:         156
        .size:           2
        .value_kind:     hidden_group_size_x
      - .offset:         158
        .size:           2
        .value_kind:     hidden_group_size_y
      - .offset:         160
        .size:           2
        .value_kind:     hidden_group_size_z
      - .offset:         162
        .size:           2
        .value_kind:     hidden_remainder_x
      - .offset:         164
        .size:           2
        .value_kind:     hidden_remainder_y
      - .offset:         166
        .size:           2
        .value_kind:     hidden_remainder_z
      - .offset:         184
        .size:           8
        .value_kind:     hidden_global_offset_x
      - .offset:         192
        .size:           8
        .value_kind:     hidden_global_offset_y
      - .offset:         200
        .size:           8
        .value_kind:     hidden_global_offset_z
      - .offset:         208
        .size:           2
        .value_kind:     hidden_grid_dims
    .group_segment_fixed_size: 17472
    .kernarg_segment_align: 8
    .kernarg_segment_size: 400
    .language:       OpenCL C
    .language_version:
      - 2
      - 0
    .max_flat_workgroup_size: 256
    .name:           _Z39paged_attention_ll4mi_QKV_mfma16_kernelI14__hip_bfloat16hLN4vllm18Fp8KVCacheDataTypeE1ES0_Li16ELi128ELi256ELb0ELi6EL8MFMAType0EEvPKT_PKT0_S9_ifPKiSB_SB_iPKfiiiPfSE_PS4_PT2_iSD_SD_
    .private_segment_fixed_size: 0
    .sgpr_count:     38
    .sgpr_spill_count: 0
    .symbol:         _Z39paged_attention_ll4mi_QKV_mfma16_kernelI14__hip_bfloat16hLN4vllm18Fp8KVCacheDataTypeE1ES0_Li16ELi128ELi256ELb0ELi6EL8MFMAType0EEvPKT_PKT0_S9_ifPKiSB_SB_iPKfiiiPfSE_PS4_PT2_iSD_SD_.kd
    .uniform_work_group_size: 1
    .uses_dynamic_stack: false
    .vgpr_count:     140
    .vgpr_spill_count: 0
    .wavefront_size: 32
    .workgroup_processor_mode: 1
  - .args:
      - .actual_access:  read_only
        .address_space:  global
        .offset:         0
        .size:           8
        .value_kind:     global_buffer
      - .actual_access:  read_only
        .address_space:  global
        .offset:         8
        .size:           8
        .value_kind:     global_buffer
      - .actual_access:  read_only
        .address_space:  global
        .offset:         16
        .size:           8
        .value_kind:     global_buffer
      - .offset:         24
        .size:           4
        .value_kind:     by_value
      - .offset:         28
        .size:           4
        .value_kind:     by_value
      - .actual_access:  read_only
        .address_space:  global
        .offset:         32
        .size:           8
        .value_kind:     global_buffer
      - .actual_access:  read_only
        .address_space:  global
        .offset:         40
        .size:           8
        .value_kind:     global_buffer
      - .actual_access:  read_only
        .address_space:  global
        .offset:         48
        .size:           8
        .value_kind:     global_buffer
      - .offset:         56
        .size:           4
        .value_kind:     by_value
      - .actual_access:  read_only
        .address_space:  global
        .offset:         64
        .size:           8
        .value_kind:     global_buffer
      - .offset:         72
        .size:           4
        .value_kind:     by_value
      - .offset:         76
        .size:           4
        .value_kind:     by_value
      - .offset:         80
        .size:           4
        .value_kind:     by_value
      - .actual_access:  write_only
        .address_space:  global
        .offset:         88
        .size:           8
        .value_kind:     global_buffer
      - .actual_access:  write_only
        .address_space:  global
        .offset:         96
        .size:           8
        .value_kind:     global_buffer
      - .actual_access:  write_only
        .address_space:  global
        .offset:         104
        .size:           8
        .value_kind:     global_buffer
      - .actual_access:  read_only
        .address_space:  global
        .offset:         112
        .size:           8
        .value_kind:     global_buffer
      - .offset:         120
        .size:           4
        .value_kind:     by_value
      - .address_space:  global
        .offset:         128
        .size:           8
        .value_kind:     global_buffer
      - .address_space:  global
        .offset:         136
        .size:           8
        .value_kind:     global_buffer
      - .offset:         144
        .size:           4
        .value_kind:     hidden_block_count_x
      - .offset:         148
        .size:           4
        .value_kind:     hidden_block_count_y
      - .offset:         152
        .size:           4
        .value_kind:     hidden_block_count_z
      - .offset:         156
        .size:           2
        .value_kind:     hidden_group_size_x
      - .offset:         158
        .size:           2
        .value_kind:     hidden_group_size_y
      - .offset:         160
        .size:           2
        .value_kind:     hidden_group_size_z
      - .offset:         162
        .size:           2
        .value_kind:     hidden_remainder_x
      - .offset:         164
        .size:           2
        .value_kind:     hidden_remainder_y
      - .offset:         166
        .size:           2
        .value_kind:     hidden_remainder_z
      - .offset:         184
        .size:           8
        .value_kind:     hidden_global_offset_x
      - .offset:         192
        .size:           8
        .value_kind:     hidden_global_offset_y
      - .offset:         200
        .size:           8
        .value_kind:     hidden_global_offset_z
      - .offset:         208
        .size:           2
        .value_kind:     hidden_grid_dims
    .group_segment_fixed_size: 17472
    .kernarg_segment_align: 8
    .kernarg_segment_size: 400
    .language:       OpenCL C
    .language_version:
      - 2
      - 0
    .max_flat_workgroup_size: 256
    .name:           _Z39paged_attention_ll4mi_QKV_mfma16_kernelI14__hip_bfloat16hLN4vllm18Fp8KVCacheDataTypeE1ES0_Li16ELi128ELi256ELb0ELi7EL8MFMAType0EEvPKT_PKT0_S9_ifPKiSB_SB_iPKfiiiPfSE_PS4_PT2_iSD_SD_
    .private_segment_fixed_size: 0
    .sgpr_count:     38
    .sgpr_spill_count: 0
    .symbol:         _Z39paged_attention_ll4mi_QKV_mfma16_kernelI14__hip_bfloat16hLN4vllm18Fp8KVCacheDataTypeE1ES0_Li16ELi128ELi256ELb0ELi7EL8MFMAType0EEvPKT_PKT0_S9_ifPKiSB_SB_iPKfiiiPfSE_PS4_PT2_iSD_SD_.kd
    .uniform_work_group_size: 1
    .uses_dynamic_stack: false
    .vgpr_count:     140
    .vgpr_spill_count: 0
    .wavefront_size: 32
    .workgroup_processor_mode: 1
  - .args:
      - .actual_access:  read_only
        .address_space:  global
        .offset:         0
        .size:           8
        .value_kind:     global_buffer
      - .actual_access:  read_only
        .address_space:  global
        .offset:         8
        .size:           8
        .value_kind:     global_buffer
      - .actual_access:  read_only
        .address_space:  global
        .offset:         16
        .size:           8
        .value_kind:     global_buffer
      - .offset:         24
        .size:           4
        .value_kind:     by_value
      - .offset:         28
        .size:           4
        .value_kind:     by_value
      - .actual_access:  read_only
        .address_space:  global
        .offset:         32
        .size:           8
        .value_kind:     global_buffer
      - .actual_access:  read_only
        .address_space:  global
        .offset:         40
        .size:           8
        .value_kind:     global_buffer
      - .actual_access:  read_only
        .address_space:  global
        .offset:         48
        .size:           8
        .value_kind:     global_buffer
      - .offset:         56
        .size:           4
        .value_kind:     by_value
      - .actual_access:  read_only
        .address_space:  global
        .offset:         64
        .size:           8
        .value_kind:     global_buffer
      - .offset:         72
        .size:           4
        .value_kind:     by_value
      - .offset:         76
        .size:           4
        .value_kind:     by_value
      - .offset:         80
        .size:           4
        .value_kind:     by_value
      - .actual_access:  write_only
        .address_space:  global
        .offset:         88
        .size:           8
        .value_kind:     global_buffer
      - .actual_access:  write_only
        .address_space:  global
        .offset:         96
        .size:           8
        .value_kind:     global_buffer
      - .actual_access:  write_only
        .address_space:  global
        .offset:         104
        .size:           8
        .value_kind:     global_buffer
      - .actual_access:  read_only
        .address_space:  global
        .offset:         112
        .size:           8
        .value_kind:     global_buffer
      - .offset:         120
        .size:           4
        .value_kind:     by_value
      - .address_space:  global
        .offset:         128
        .size:           8
        .value_kind:     global_buffer
      - .address_space:  global
        .offset:         136
        .size:           8
        .value_kind:     global_buffer
      - .offset:         144
        .size:           4
        .value_kind:     hidden_block_count_x
      - .offset:         148
        .size:           4
        .value_kind:     hidden_block_count_y
      - .offset:         152
        .size:           4
        .value_kind:     hidden_block_count_z
      - .offset:         156
        .size:           2
        .value_kind:     hidden_group_size_x
      - .offset:         158
        .size:           2
        .value_kind:     hidden_group_size_y
      - .offset:         160
        .size:           2
        .value_kind:     hidden_group_size_z
      - .offset:         162
        .size:           2
        .value_kind:     hidden_remainder_x
      - .offset:         164
        .size:           2
        .value_kind:     hidden_remainder_y
      - .offset:         166
        .size:           2
        .value_kind:     hidden_remainder_z
      - .offset:         184
        .size:           8
        .value_kind:     hidden_global_offset_x
      - .offset:         192
        .size:           8
        .value_kind:     hidden_global_offset_y
      - .offset:         200
        .size:           8
        .value_kind:     hidden_global_offset_z
      - .offset:         208
        .size:           2
        .value_kind:     hidden_grid_dims
    .group_segment_fixed_size: 17472
    .kernarg_segment_align: 8
    .kernarg_segment_size: 400
    .language:       OpenCL C
    .language_version:
      - 2
      - 0
    .max_flat_workgroup_size: 256
    .name:           _Z39paged_attention_ll4mi_QKV_mfma16_kernelI14__hip_bfloat16hLN4vllm18Fp8KVCacheDataTypeE1ES0_Li16ELi128ELi256ELb0ELi8EL8MFMAType0EEvPKT_PKT0_S9_ifPKiSB_SB_iPKfiiiPfSE_PS4_PT2_iSD_SD_
    .private_segment_fixed_size: 0
    .sgpr_count:     38
    .sgpr_spill_count: 0
    .symbol:         _Z39paged_attention_ll4mi_QKV_mfma16_kernelI14__hip_bfloat16hLN4vllm18Fp8KVCacheDataTypeE1ES0_Li16ELi128ELi256ELb0ELi8EL8MFMAType0EEvPKT_PKT0_S9_ifPKiSB_SB_iPKfiiiPfSE_PS4_PT2_iSD_SD_.kd
    .uniform_work_group_size: 1
    .uses_dynamic_stack: false
    .vgpr_count:     140
    .vgpr_spill_count: 0
    .wavefront_size: 32
    .workgroup_processor_mode: 1
  - .args:
      - .actual_access:  read_only
        .address_space:  global
        .offset:         0
        .size:           8
        .value_kind:     global_buffer
      - .actual_access:  read_only
        .address_space:  global
        .offset:         8
        .size:           8
        .value_kind:     global_buffer
      - .actual_access:  read_only
        .address_space:  global
        .offset:         16
        .size:           8
        .value_kind:     global_buffer
      - .offset:         24
        .size:           4
        .value_kind:     by_value
      - .offset:         28
        .size:           4
        .value_kind:     by_value
      - .actual_access:  read_only
        .address_space:  global
        .offset:         32
        .size:           8
        .value_kind:     global_buffer
      - .actual_access:  read_only
        .address_space:  global
        .offset:         40
        .size:           8
        .value_kind:     global_buffer
      - .actual_access:  read_only
        .address_space:  global
        .offset:         48
        .size:           8
        .value_kind:     global_buffer
      - .offset:         56
        .size:           4
        .value_kind:     by_value
      - .actual_access:  read_only
        .address_space:  global
        .offset:         64
        .size:           8
        .value_kind:     global_buffer
      - .offset:         72
        .size:           4
        .value_kind:     by_value
      - .offset:         76
        .size:           4
        .value_kind:     by_value
      - .offset:         80
        .size:           4
        .value_kind:     by_value
      - .actual_access:  write_only
        .address_space:  global
        .offset:         88
        .size:           8
        .value_kind:     global_buffer
      - .actual_access:  write_only
        .address_space:  global
        .offset:         96
        .size:           8
        .value_kind:     global_buffer
      - .actual_access:  write_only
        .address_space:  global
        .offset:         104
        .size:           8
        .value_kind:     global_buffer
      - .actual_access:  read_only
        .address_space:  global
        .offset:         112
        .size:           8
        .value_kind:     global_buffer
      - .offset:         120
        .size:           4
        .value_kind:     by_value
      - .address_space:  global
        .offset:         128
        .size:           8
        .value_kind:     global_buffer
      - .address_space:  global
        .offset:         136
        .size:           8
        .value_kind:     global_buffer
      - .offset:         144
        .size:           4
        .value_kind:     hidden_block_count_x
      - .offset:         148
        .size:           4
        .value_kind:     hidden_block_count_y
      - .offset:         152
        .size:           4
        .value_kind:     hidden_block_count_z
      - .offset:         156
        .size:           2
        .value_kind:     hidden_group_size_x
      - .offset:         158
        .size:           2
        .value_kind:     hidden_group_size_y
      - .offset:         160
        .size:           2
        .value_kind:     hidden_group_size_z
      - .offset:         162
        .size:           2
        .value_kind:     hidden_remainder_x
      - .offset:         164
        .size:           2
        .value_kind:     hidden_remainder_y
      - .offset:         166
        .size:           2
        .value_kind:     hidden_remainder_z
      - .offset:         184
        .size:           8
        .value_kind:     hidden_global_offset_x
      - .offset:         192
        .size:           8
        .value_kind:     hidden_global_offset_y
      - .offset:         200
        .size:           8
        .value_kind:     hidden_global_offset_z
      - .offset:         208
        .size:           2
        .value_kind:     hidden_grid_dims
    .group_segment_fixed_size: 17472
    .kernarg_segment_align: 8
    .kernarg_segment_size: 400
    .language:       OpenCL C
    .language_version:
      - 2
      - 0
    .max_flat_workgroup_size: 256
    .name:           _Z39paged_attention_ll4mi_QKV_mfma16_kernelI14__hip_bfloat16hLN4vllm18Fp8KVCacheDataTypeE1ES0_Li16ELi128ELi256ELb0ELi9EL8MFMAType0EEvPKT_PKT0_S9_ifPKiSB_SB_iPKfiiiPfSE_PS4_PT2_iSD_SD_
    .private_segment_fixed_size: 0
    .sgpr_count:     38
    .sgpr_spill_count: 0
    .symbol:         _Z39paged_attention_ll4mi_QKV_mfma16_kernelI14__hip_bfloat16hLN4vllm18Fp8KVCacheDataTypeE1ES0_Li16ELi128ELi256ELb0ELi9EL8MFMAType0EEvPKT_PKT0_S9_ifPKiSB_SB_iPKfiiiPfSE_PS4_PT2_iSD_SD_.kd
    .uniform_work_group_size: 1
    .uses_dynamic_stack: false
    .vgpr_count:     140
    .vgpr_spill_count: 0
    .wavefront_size: 32
    .workgroup_processor_mode: 1
  - .args:
      - .actual_access:  read_only
        .address_space:  global
        .offset:         0
        .size:           8
        .value_kind:     global_buffer
      - .actual_access:  read_only
        .address_space:  global
        .offset:         8
        .size:           8
        .value_kind:     global_buffer
      - .actual_access:  read_only
        .address_space:  global
        .offset:         16
        .size:           8
        .value_kind:     global_buffer
      - .offset:         24
        .size:           4
        .value_kind:     by_value
      - .offset:         28
        .size:           4
        .value_kind:     by_value
      - .actual_access:  read_only
        .address_space:  global
        .offset:         32
        .size:           8
        .value_kind:     global_buffer
      - .actual_access:  read_only
        .address_space:  global
        .offset:         40
        .size:           8
        .value_kind:     global_buffer
      - .actual_access:  read_only
        .address_space:  global
        .offset:         48
        .size:           8
        .value_kind:     global_buffer
      - .offset:         56
        .size:           4
        .value_kind:     by_value
      - .actual_access:  read_only
        .address_space:  global
        .offset:         64
        .size:           8
        .value_kind:     global_buffer
      - .offset:         72
        .size:           4
        .value_kind:     by_value
      - .offset:         76
        .size:           4
        .value_kind:     by_value
      - .offset:         80
        .size:           4
        .value_kind:     by_value
      - .actual_access:  write_only
        .address_space:  global
        .offset:         88
        .size:           8
        .value_kind:     global_buffer
      - .actual_access:  write_only
        .address_space:  global
        .offset:         96
        .size:           8
        .value_kind:     global_buffer
      - .actual_access:  write_only
        .address_space:  global
        .offset:         104
        .size:           8
        .value_kind:     global_buffer
      - .actual_access:  read_only
        .address_space:  global
        .offset:         112
        .size:           8
        .value_kind:     global_buffer
      - .offset:         120
        .size:           4
        .value_kind:     by_value
      - .address_space:  global
        .offset:         128
        .size:           8
        .value_kind:     global_buffer
      - .address_space:  global
        .offset:         136
        .size:           8
        .value_kind:     global_buffer
      - .offset:         144
        .size:           4
        .value_kind:     hidden_block_count_x
      - .offset:         148
        .size:           4
        .value_kind:     hidden_block_count_y
      - .offset:         152
        .size:           4
        .value_kind:     hidden_block_count_z
      - .offset:         156
        .size:           2
        .value_kind:     hidden_group_size_x
      - .offset:         158
        .size:           2
        .value_kind:     hidden_group_size_y
      - .offset:         160
        .size:           2
        .value_kind:     hidden_group_size_z
      - .offset:         162
        .size:           2
        .value_kind:     hidden_remainder_x
      - .offset:         164
        .size:           2
        .value_kind:     hidden_remainder_y
      - .offset:         166
        .size:           2
        .value_kind:     hidden_remainder_z
      - .offset:         184
        .size:           8
        .value_kind:     hidden_global_offset_x
      - .offset:         192
        .size:           8
        .value_kind:     hidden_global_offset_y
      - .offset:         200
        .size:           8
        .value_kind:     hidden_global_offset_z
      - .offset:         208
        .size:           2
        .value_kind:     hidden_grid_dims
    .group_segment_fixed_size: 17472
    .kernarg_segment_align: 8
    .kernarg_segment_size: 400
    .language:       OpenCL C
    .language_version:
      - 2
      - 0
    .max_flat_workgroup_size: 256
    .name:           _Z39paged_attention_ll4mi_QKV_mfma16_kernelI14__hip_bfloat16hLN4vllm18Fp8KVCacheDataTypeE1ES0_Li16ELi128ELi256ELb0ELi10EL8MFMAType0EEvPKT_PKT0_S9_ifPKiSB_SB_iPKfiiiPfSE_PS4_PT2_iSD_SD_
    .private_segment_fixed_size: 0
    .sgpr_count:     38
    .sgpr_spill_count: 0
    .symbol:         _Z39paged_attention_ll4mi_QKV_mfma16_kernelI14__hip_bfloat16hLN4vllm18Fp8KVCacheDataTypeE1ES0_Li16ELi128ELi256ELb0ELi10EL8MFMAType0EEvPKT_PKT0_S9_ifPKiSB_SB_iPKfiiiPfSE_PS4_PT2_iSD_SD_.kd
    .uniform_work_group_size: 1
    .uses_dynamic_stack: false
    .vgpr_count:     140
    .vgpr_spill_count: 0
    .wavefront_size: 32
    .workgroup_processor_mode: 1
  - .args:
      - .actual_access:  read_only
        .address_space:  global
        .offset:         0
        .size:           8
        .value_kind:     global_buffer
      - .actual_access:  read_only
        .address_space:  global
        .offset:         8
        .size:           8
        .value_kind:     global_buffer
      - .actual_access:  read_only
        .address_space:  global
        .offset:         16
        .size:           8
        .value_kind:     global_buffer
      - .offset:         24
        .size:           4
        .value_kind:     by_value
      - .offset:         28
        .size:           4
        .value_kind:     by_value
      - .actual_access:  read_only
        .address_space:  global
        .offset:         32
        .size:           8
        .value_kind:     global_buffer
      - .actual_access:  read_only
        .address_space:  global
        .offset:         40
        .size:           8
        .value_kind:     global_buffer
      - .actual_access:  read_only
        .address_space:  global
        .offset:         48
        .size:           8
        .value_kind:     global_buffer
      - .offset:         56
        .size:           4
        .value_kind:     by_value
      - .actual_access:  read_only
        .address_space:  global
        .offset:         64
        .size:           8
        .value_kind:     global_buffer
      - .offset:         72
        .size:           4
        .value_kind:     by_value
      - .offset:         76
        .size:           4
        .value_kind:     by_value
      - .offset:         80
        .size:           4
        .value_kind:     by_value
      - .actual_access:  write_only
        .address_space:  global
        .offset:         88
        .size:           8
        .value_kind:     global_buffer
      - .actual_access:  write_only
        .address_space:  global
        .offset:         96
        .size:           8
        .value_kind:     global_buffer
      - .actual_access:  write_only
        .address_space:  global
        .offset:         104
        .size:           8
        .value_kind:     global_buffer
      - .actual_access:  read_only
        .address_space:  global
        .offset:         112
        .size:           8
        .value_kind:     global_buffer
      - .offset:         120
        .size:           4
        .value_kind:     by_value
      - .address_space:  global
        .offset:         128
        .size:           8
        .value_kind:     global_buffer
      - .address_space:  global
        .offset:         136
        .size:           8
        .value_kind:     global_buffer
      - .offset:         144
        .size:           4
        .value_kind:     hidden_block_count_x
      - .offset:         148
        .size:           4
        .value_kind:     hidden_block_count_y
      - .offset:         152
        .size:           4
        .value_kind:     hidden_block_count_z
      - .offset:         156
        .size:           2
        .value_kind:     hidden_group_size_x
      - .offset:         158
        .size:           2
        .value_kind:     hidden_group_size_y
      - .offset:         160
        .size:           2
        .value_kind:     hidden_group_size_z
      - .offset:         162
        .size:           2
        .value_kind:     hidden_remainder_x
      - .offset:         164
        .size:           2
        .value_kind:     hidden_remainder_y
      - .offset:         166
        .size:           2
        .value_kind:     hidden_remainder_z
      - .offset:         184
        .size:           8
        .value_kind:     hidden_global_offset_x
      - .offset:         192
        .size:           8
        .value_kind:     hidden_global_offset_y
      - .offset:         200
        .size:           8
        .value_kind:     hidden_global_offset_z
      - .offset:         208
        .size:           2
        .value_kind:     hidden_grid_dims
    .group_segment_fixed_size: 17472
    .kernarg_segment_align: 8
    .kernarg_segment_size: 400
    .language:       OpenCL C
    .language_version:
      - 2
      - 0
    .max_flat_workgroup_size: 256
    .name:           _Z39paged_attention_ll4mi_QKV_mfma16_kernelI14__hip_bfloat16hLN4vllm18Fp8KVCacheDataTypeE1ES0_Li16ELi128ELi256ELb0ELi11EL8MFMAType0EEvPKT_PKT0_S9_ifPKiSB_SB_iPKfiiiPfSE_PS4_PT2_iSD_SD_
    .private_segment_fixed_size: 0
    .sgpr_count:     38
    .sgpr_spill_count: 0
    .symbol:         _Z39paged_attention_ll4mi_QKV_mfma16_kernelI14__hip_bfloat16hLN4vllm18Fp8KVCacheDataTypeE1ES0_Li16ELi128ELi256ELb0ELi11EL8MFMAType0EEvPKT_PKT0_S9_ifPKiSB_SB_iPKfiiiPfSE_PS4_PT2_iSD_SD_.kd
    .uniform_work_group_size: 1
    .uses_dynamic_stack: false
    .vgpr_count:     140
    .vgpr_spill_count: 0
    .wavefront_size: 32
    .workgroup_processor_mode: 1
  - .args:
      - .actual_access:  read_only
        .address_space:  global
        .offset:         0
        .size:           8
        .value_kind:     global_buffer
      - .actual_access:  read_only
        .address_space:  global
        .offset:         8
        .size:           8
        .value_kind:     global_buffer
      - .actual_access:  read_only
        .address_space:  global
        .offset:         16
        .size:           8
        .value_kind:     global_buffer
      - .offset:         24
        .size:           4
        .value_kind:     by_value
      - .offset:         28
        .size:           4
        .value_kind:     by_value
      - .actual_access:  read_only
        .address_space:  global
        .offset:         32
        .size:           8
        .value_kind:     global_buffer
      - .actual_access:  read_only
        .address_space:  global
        .offset:         40
        .size:           8
        .value_kind:     global_buffer
      - .actual_access:  read_only
        .address_space:  global
        .offset:         48
        .size:           8
        .value_kind:     global_buffer
      - .offset:         56
        .size:           4
        .value_kind:     by_value
      - .actual_access:  read_only
        .address_space:  global
        .offset:         64
        .size:           8
        .value_kind:     global_buffer
      - .offset:         72
        .size:           4
        .value_kind:     by_value
      - .offset:         76
        .size:           4
        .value_kind:     by_value
      - .offset:         80
        .size:           4
        .value_kind:     by_value
      - .actual_access:  write_only
        .address_space:  global
        .offset:         88
        .size:           8
        .value_kind:     global_buffer
      - .actual_access:  write_only
        .address_space:  global
        .offset:         96
        .size:           8
        .value_kind:     global_buffer
      - .actual_access:  write_only
        .address_space:  global
        .offset:         104
        .size:           8
        .value_kind:     global_buffer
      - .actual_access:  read_only
        .address_space:  global
        .offset:         112
        .size:           8
        .value_kind:     global_buffer
      - .offset:         120
        .size:           4
        .value_kind:     by_value
      - .address_space:  global
        .offset:         128
        .size:           8
        .value_kind:     global_buffer
      - .address_space:  global
        .offset:         136
        .size:           8
        .value_kind:     global_buffer
      - .offset:         144
        .size:           4
        .value_kind:     hidden_block_count_x
      - .offset:         148
        .size:           4
        .value_kind:     hidden_block_count_y
      - .offset:         152
        .size:           4
        .value_kind:     hidden_block_count_z
      - .offset:         156
        .size:           2
        .value_kind:     hidden_group_size_x
      - .offset:         158
        .size:           2
        .value_kind:     hidden_group_size_y
      - .offset:         160
        .size:           2
        .value_kind:     hidden_group_size_z
      - .offset:         162
        .size:           2
        .value_kind:     hidden_remainder_x
      - .offset:         164
        .size:           2
        .value_kind:     hidden_remainder_y
      - .offset:         166
        .size:           2
        .value_kind:     hidden_remainder_z
      - .offset:         184
        .size:           8
        .value_kind:     hidden_global_offset_x
      - .offset:         192
        .size:           8
        .value_kind:     hidden_global_offset_y
      - .offset:         200
        .size:           8
        .value_kind:     hidden_global_offset_z
      - .offset:         208
        .size:           2
        .value_kind:     hidden_grid_dims
    .group_segment_fixed_size: 17472
    .kernarg_segment_align: 8
    .kernarg_segment_size: 400
    .language:       OpenCL C
    .language_version:
      - 2
      - 0
    .max_flat_workgroup_size: 256
    .name:           _Z39paged_attention_ll4mi_QKV_mfma16_kernelI14__hip_bfloat16hLN4vllm18Fp8KVCacheDataTypeE1ES0_Li16ELi128ELi256ELb0ELi12EL8MFMAType0EEvPKT_PKT0_S9_ifPKiSB_SB_iPKfiiiPfSE_PS4_PT2_iSD_SD_
    .private_segment_fixed_size: 0
    .sgpr_count:     38
    .sgpr_spill_count: 0
    .symbol:         _Z39paged_attention_ll4mi_QKV_mfma16_kernelI14__hip_bfloat16hLN4vllm18Fp8KVCacheDataTypeE1ES0_Li16ELi128ELi256ELb0ELi12EL8MFMAType0EEvPKT_PKT0_S9_ifPKiSB_SB_iPKfiiiPfSE_PS4_PT2_iSD_SD_.kd
    .uniform_work_group_size: 1
    .uses_dynamic_stack: false
    .vgpr_count:     140
    .vgpr_spill_count: 0
    .wavefront_size: 32
    .workgroup_processor_mode: 1
  - .args:
      - .actual_access:  read_only
        .address_space:  global
        .offset:         0
        .size:           8
        .value_kind:     global_buffer
      - .actual_access:  read_only
        .address_space:  global
        .offset:         8
        .size:           8
        .value_kind:     global_buffer
      - .actual_access:  read_only
        .address_space:  global
        .offset:         16
        .size:           8
        .value_kind:     global_buffer
      - .offset:         24
        .size:           4
        .value_kind:     by_value
      - .offset:         28
        .size:           4
        .value_kind:     by_value
      - .actual_access:  read_only
        .address_space:  global
        .offset:         32
        .size:           8
        .value_kind:     global_buffer
      - .actual_access:  read_only
        .address_space:  global
        .offset:         40
        .size:           8
        .value_kind:     global_buffer
      - .actual_access:  read_only
        .address_space:  global
        .offset:         48
        .size:           8
        .value_kind:     global_buffer
      - .offset:         56
        .size:           4
        .value_kind:     by_value
      - .actual_access:  read_only
        .address_space:  global
        .offset:         64
        .size:           8
        .value_kind:     global_buffer
      - .offset:         72
        .size:           4
        .value_kind:     by_value
      - .offset:         76
        .size:           4
        .value_kind:     by_value
      - .offset:         80
        .size:           4
        .value_kind:     by_value
      - .actual_access:  write_only
        .address_space:  global
        .offset:         88
        .size:           8
        .value_kind:     global_buffer
      - .actual_access:  write_only
        .address_space:  global
        .offset:         96
        .size:           8
        .value_kind:     global_buffer
      - .actual_access:  write_only
        .address_space:  global
        .offset:         104
        .size:           8
        .value_kind:     global_buffer
      - .actual_access:  read_only
        .address_space:  global
        .offset:         112
        .size:           8
        .value_kind:     global_buffer
      - .offset:         120
        .size:           4
        .value_kind:     by_value
      - .address_space:  global
        .offset:         128
        .size:           8
        .value_kind:     global_buffer
      - .address_space:  global
        .offset:         136
        .size:           8
        .value_kind:     global_buffer
      - .offset:         144
        .size:           4
        .value_kind:     hidden_block_count_x
      - .offset:         148
        .size:           4
        .value_kind:     hidden_block_count_y
      - .offset:         152
        .size:           4
        .value_kind:     hidden_block_count_z
      - .offset:         156
        .size:           2
        .value_kind:     hidden_group_size_x
      - .offset:         158
        .size:           2
        .value_kind:     hidden_group_size_y
      - .offset:         160
        .size:           2
        .value_kind:     hidden_group_size_z
      - .offset:         162
        .size:           2
        .value_kind:     hidden_remainder_x
      - .offset:         164
        .size:           2
        .value_kind:     hidden_remainder_y
      - .offset:         166
        .size:           2
        .value_kind:     hidden_remainder_z
      - .offset:         184
        .size:           8
        .value_kind:     hidden_global_offset_x
      - .offset:         192
        .size:           8
        .value_kind:     hidden_global_offset_y
      - .offset:         200
        .size:           8
        .value_kind:     hidden_global_offset_z
      - .offset:         208
        .size:           2
        .value_kind:     hidden_grid_dims
    .group_segment_fixed_size: 17472
    .kernarg_segment_align: 8
    .kernarg_segment_size: 400
    .language:       OpenCL C
    .language_version:
      - 2
      - 0
    .max_flat_workgroup_size: 256
    .name:           _Z39paged_attention_ll4mi_QKV_mfma16_kernelI14__hip_bfloat16hLN4vllm18Fp8KVCacheDataTypeE1ES0_Li16ELi128ELi256ELb0ELi13EL8MFMAType0EEvPKT_PKT0_S9_ifPKiSB_SB_iPKfiiiPfSE_PS4_PT2_iSD_SD_
    .private_segment_fixed_size: 0
    .sgpr_count:     38
    .sgpr_spill_count: 0
    .symbol:         _Z39paged_attention_ll4mi_QKV_mfma16_kernelI14__hip_bfloat16hLN4vllm18Fp8KVCacheDataTypeE1ES0_Li16ELi128ELi256ELb0ELi13EL8MFMAType0EEvPKT_PKT0_S9_ifPKiSB_SB_iPKfiiiPfSE_PS4_PT2_iSD_SD_.kd
    .uniform_work_group_size: 1
    .uses_dynamic_stack: false
    .vgpr_count:     140
    .vgpr_spill_count: 0
    .wavefront_size: 32
    .workgroup_processor_mode: 1
  - .args:
      - .actual_access:  read_only
        .address_space:  global
        .offset:         0
        .size:           8
        .value_kind:     global_buffer
      - .actual_access:  read_only
        .address_space:  global
        .offset:         8
        .size:           8
        .value_kind:     global_buffer
      - .actual_access:  read_only
        .address_space:  global
        .offset:         16
        .size:           8
        .value_kind:     global_buffer
      - .offset:         24
        .size:           4
        .value_kind:     by_value
      - .offset:         28
        .size:           4
        .value_kind:     by_value
      - .actual_access:  read_only
        .address_space:  global
        .offset:         32
        .size:           8
        .value_kind:     global_buffer
      - .actual_access:  read_only
        .address_space:  global
        .offset:         40
        .size:           8
        .value_kind:     global_buffer
      - .actual_access:  read_only
        .address_space:  global
        .offset:         48
        .size:           8
        .value_kind:     global_buffer
      - .offset:         56
        .size:           4
        .value_kind:     by_value
      - .actual_access:  read_only
        .address_space:  global
        .offset:         64
        .size:           8
        .value_kind:     global_buffer
      - .offset:         72
        .size:           4
        .value_kind:     by_value
      - .offset:         76
        .size:           4
        .value_kind:     by_value
      - .offset:         80
        .size:           4
        .value_kind:     by_value
      - .actual_access:  write_only
        .address_space:  global
        .offset:         88
        .size:           8
        .value_kind:     global_buffer
      - .actual_access:  write_only
        .address_space:  global
        .offset:         96
        .size:           8
        .value_kind:     global_buffer
      - .actual_access:  write_only
        .address_space:  global
        .offset:         104
        .size:           8
        .value_kind:     global_buffer
      - .actual_access:  read_only
        .address_space:  global
        .offset:         112
        .size:           8
        .value_kind:     global_buffer
      - .offset:         120
        .size:           4
        .value_kind:     by_value
      - .address_space:  global
        .offset:         128
        .size:           8
        .value_kind:     global_buffer
      - .address_space:  global
        .offset:         136
        .size:           8
        .value_kind:     global_buffer
      - .offset:         144
        .size:           4
        .value_kind:     hidden_block_count_x
      - .offset:         148
        .size:           4
        .value_kind:     hidden_block_count_y
      - .offset:         152
        .size:           4
        .value_kind:     hidden_block_count_z
      - .offset:         156
        .size:           2
        .value_kind:     hidden_group_size_x
      - .offset:         158
        .size:           2
        .value_kind:     hidden_group_size_y
      - .offset:         160
        .size:           2
        .value_kind:     hidden_group_size_z
      - .offset:         162
        .size:           2
        .value_kind:     hidden_remainder_x
      - .offset:         164
        .size:           2
        .value_kind:     hidden_remainder_y
      - .offset:         166
        .size:           2
        .value_kind:     hidden_remainder_z
      - .offset:         184
        .size:           8
        .value_kind:     hidden_global_offset_x
      - .offset:         192
        .size:           8
        .value_kind:     hidden_global_offset_y
      - .offset:         200
        .size:           8
        .value_kind:     hidden_global_offset_z
      - .offset:         208
        .size:           2
        .value_kind:     hidden_grid_dims
    .group_segment_fixed_size: 17472
    .kernarg_segment_align: 8
    .kernarg_segment_size: 400
    .language:       OpenCL C
    .language_version:
      - 2
      - 0
    .max_flat_workgroup_size: 256
    .name:           _Z39paged_attention_ll4mi_QKV_mfma16_kernelI14__hip_bfloat16hLN4vllm18Fp8KVCacheDataTypeE1ES0_Li16ELi128ELi256ELb0ELi14EL8MFMAType0EEvPKT_PKT0_S9_ifPKiSB_SB_iPKfiiiPfSE_PS4_PT2_iSD_SD_
    .private_segment_fixed_size: 0
    .sgpr_count:     38
    .sgpr_spill_count: 0
    .symbol:         _Z39paged_attention_ll4mi_QKV_mfma16_kernelI14__hip_bfloat16hLN4vllm18Fp8KVCacheDataTypeE1ES0_Li16ELi128ELi256ELb0ELi14EL8MFMAType0EEvPKT_PKT0_S9_ifPKiSB_SB_iPKfiiiPfSE_PS4_PT2_iSD_SD_.kd
    .uniform_work_group_size: 1
    .uses_dynamic_stack: false
    .vgpr_count:     140
    .vgpr_spill_count: 0
    .wavefront_size: 32
    .workgroup_processor_mode: 1
  - .args:
      - .actual_access:  read_only
        .address_space:  global
        .offset:         0
        .size:           8
        .value_kind:     global_buffer
      - .actual_access:  read_only
        .address_space:  global
        .offset:         8
        .size:           8
        .value_kind:     global_buffer
      - .actual_access:  read_only
        .address_space:  global
        .offset:         16
        .size:           8
        .value_kind:     global_buffer
      - .offset:         24
        .size:           4
        .value_kind:     by_value
      - .offset:         28
        .size:           4
        .value_kind:     by_value
      - .actual_access:  read_only
        .address_space:  global
        .offset:         32
        .size:           8
        .value_kind:     global_buffer
      - .actual_access:  read_only
        .address_space:  global
        .offset:         40
        .size:           8
        .value_kind:     global_buffer
      - .actual_access:  read_only
        .address_space:  global
        .offset:         48
        .size:           8
        .value_kind:     global_buffer
      - .offset:         56
        .size:           4
        .value_kind:     by_value
      - .actual_access:  read_only
        .address_space:  global
        .offset:         64
        .size:           8
        .value_kind:     global_buffer
      - .offset:         72
        .size:           4
        .value_kind:     by_value
      - .offset:         76
        .size:           4
        .value_kind:     by_value
      - .offset:         80
        .size:           4
        .value_kind:     by_value
      - .actual_access:  write_only
        .address_space:  global
        .offset:         88
        .size:           8
        .value_kind:     global_buffer
      - .actual_access:  write_only
        .address_space:  global
        .offset:         96
        .size:           8
        .value_kind:     global_buffer
      - .actual_access:  write_only
        .address_space:  global
        .offset:         104
        .size:           8
        .value_kind:     global_buffer
      - .actual_access:  read_only
        .address_space:  global
        .offset:         112
        .size:           8
        .value_kind:     global_buffer
      - .offset:         120
        .size:           4
        .value_kind:     by_value
      - .address_space:  global
        .offset:         128
        .size:           8
        .value_kind:     global_buffer
      - .address_space:  global
        .offset:         136
        .size:           8
        .value_kind:     global_buffer
      - .offset:         144
        .size:           4
        .value_kind:     hidden_block_count_x
      - .offset:         148
        .size:           4
        .value_kind:     hidden_block_count_y
      - .offset:         152
        .size:           4
        .value_kind:     hidden_block_count_z
      - .offset:         156
        .size:           2
        .value_kind:     hidden_group_size_x
      - .offset:         158
        .size:           2
        .value_kind:     hidden_group_size_y
      - .offset:         160
        .size:           2
        .value_kind:     hidden_group_size_z
      - .offset:         162
        .size:           2
        .value_kind:     hidden_remainder_x
      - .offset:         164
        .size:           2
        .value_kind:     hidden_remainder_y
      - .offset:         166
        .size:           2
        .value_kind:     hidden_remainder_z
      - .offset:         184
        .size:           8
        .value_kind:     hidden_global_offset_x
      - .offset:         192
        .size:           8
        .value_kind:     hidden_global_offset_y
      - .offset:         200
        .size:           8
        .value_kind:     hidden_global_offset_z
      - .offset:         208
        .size:           2
        .value_kind:     hidden_grid_dims
    .group_segment_fixed_size: 17472
    .kernarg_segment_align: 8
    .kernarg_segment_size: 400
    .language:       OpenCL C
    .language_version:
      - 2
      - 0
    .max_flat_workgroup_size: 256
    .name:           _Z39paged_attention_ll4mi_QKV_mfma16_kernelI14__hip_bfloat16hLN4vllm18Fp8KVCacheDataTypeE1ES0_Li16ELi128ELi256ELb0ELi15EL8MFMAType0EEvPKT_PKT0_S9_ifPKiSB_SB_iPKfiiiPfSE_PS4_PT2_iSD_SD_
    .private_segment_fixed_size: 0
    .sgpr_count:     38
    .sgpr_spill_count: 0
    .symbol:         _Z39paged_attention_ll4mi_QKV_mfma16_kernelI14__hip_bfloat16hLN4vllm18Fp8KVCacheDataTypeE1ES0_Li16ELi128ELi256ELb0ELi15EL8MFMAType0EEvPKT_PKT0_S9_ifPKiSB_SB_iPKfiiiPfSE_PS4_PT2_iSD_SD_.kd
    .uniform_work_group_size: 1
    .uses_dynamic_stack: false
    .vgpr_count:     140
    .vgpr_spill_count: 0
    .wavefront_size: 32
    .workgroup_processor_mode: 1
  - .args:
      - .actual_access:  read_only
        .address_space:  global
        .offset:         0
        .size:           8
        .value_kind:     global_buffer
      - .actual_access:  read_only
        .address_space:  global
        .offset:         8
        .size:           8
        .value_kind:     global_buffer
      - .actual_access:  read_only
        .address_space:  global
        .offset:         16
        .size:           8
        .value_kind:     global_buffer
      - .offset:         24
        .size:           4
        .value_kind:     by_value
      - .offset:         28
        .size:           4
        .value_kind:     by_value
      - .actual_access:  read_only
        .address_space:  global
        .offset:         32
        .size:           8
        .value_kind:     global_buffer
      - .actual_access:  read_only
        .address_space:  global
        .offset:         40
        .size:           8
        .value_kind:     global_buffer
      - .actual_access:  read_only
        .address_space:  global
        .offset:         48
        .size:           8
        .value_kind:     global_buffer
      - .offset:         56
        .size:           4
        .value_kind:     by_value
      - .actual_access:  read_only
        .address_space:  global
        .offset:         64
        .size:           8
        .value_kind:     global_buffer
      - .offset:         72
        .size:           4
        .value_kind:     by_value
      - .offset:         76
        .size:           4
        .value_kind:     by_value
      - .offset:         80
        .size:           4
        .value_kind:     by_value
      - .actual_access:  write_only
        .address_space:  global
        .offset:         88
        .size:           8
        .value_kind:     global_buffer
      - .actual_access:  write_only
        .address_space:  global
        .offset:         96
        .size:           8
        .value_kind:     global_buffer
      - .actual_access:  write_only
        .address_space:  global
        .offset:         104
        .size:           8
        .value_kind:     global_buffer
      - .actual_access:  read_only
        .address_space:  global
        .offset:         112
        .size:           8
        .value_kind:     global_buffer
      - .offset:         120
        .size:           4
        .value_kind:     by_value
      - .address_space:  global
        .offset:         128
        .size:           8
        .value_kind:     global_buffer
      - .address_space:  global
        .offset:         136
        .size:           8
        .value_kind:     global_buffer
      - .offset:         144
        .size:           4
        .value_kind:     hidden_block_count_x
      - .offset:         148
        .size:           4
        .value_kind:     hidden_block_count_y
      - .offset:         152
        .size:           4
        .value_kind:     hidden_block_count_z
      - .offset:         156
        .size:           2
        .value_kind:     hidden_group_size_x
      - .offset:         158
        .size:           2
        .value_kind:     hidden_group_size_y
      - .offset:         160
        .size:           2
        .value_kind:     hidden_group_size_z
      - .offset:         162
        .size:           2
        .value_kind:     hidden_remainder_x
      - .offset:         164
        .size:           2
        .value_kind:     hidden_remainder_y
      - .offset:         166
        .size:           2
        .value_kind:     hidden_remainder_z
      - .offset:         184
        .size:           8
        .value_kind:     hidden_global_offset_x
      - .offset:         192
        .size:           8
        .value_kind:     hidden_global_offset_y
      - .offset:         200
        .size:           8
        .value_kind:     hidden_global_offset_z
      - .offset:         208
        .size:           2
        .value_kind:     hidden_grid_dims
    .group_segment_fixed_size: 17472
    .kernarg_segment_align: 8
    .kernarg_segment_size: 400
    .language:       OpenCL C
    .language_version:
      - 2
      - 0
    .max_flat_workgroup_size: 256
    .name:           _Z39paged_attention_ll4mi_QKV_mfma16_kernelI14__hip_bfloat16hLN4vllm18Fp8KVCacheDataTypeE1ES0_Li16ELi128ELi256ELb0ELi16EL8MFMAType0EEvPKT_PKT0_S9_ifPKiSB_SB_iPKfiiiPfSE_PS4_PT2_iSD_SD_
    .private_segment_fixed_size: 0
    .sgpr_count:     38
    .sgpr_spill_count: 0
    .symbol:         _Z39paged_attention_ll4mi_QKV_mfma16_kernelI14__hip_bfloat16hLN4vllm18Fp8KVCacheDataTypeE1ES0_Li16ELi128ELi256ELb0ELi16EL8MFMAType0EEvPKT_PKT0_S9_ifPKiSB_SB_iPKfiiiPfSE_PS4_PT2_iSD_SD_.kd
    .uniform_work_group_size: 1
    .uses_dynamic_stack: false
    .vgpr_count:     141
    .vgpr_spill_count: 0
    .wavefront_size: 32
    .workgroup_processor_mode: 1
  - .args:
      - .actual_access:  read_only
        .address_space:  global
        .offset:         0
        .size:           8
        .value_kind:     global_buffer
      - .actual_access:  read_only
        .address_space:  global
        .offset:         8
        .size:           8
        .value_kind:     global_buffer
      - .actual_access:  read_only
        .address_space:  global
        .offset:         16
        .size:           8
        .value_kind:     global_buffer
      - .offset:         24
        .size:           4
        .value_kind:     by_value
      - .offset:         28
        .size:           4
        .value_kind:     by_value
      - .actual_access:  read_only
        .address_space:  global
        .offset:         32
        .size:           8
        .value_kind:     global_buffer
      - .actual_access:  read_only
        .address_space:  global
        .offset:         40
        .size:           8
        .value_kind:     global_buffer
      - .actual_access:  read_only
        .address_space:  global
        .offset:         48
        .size:           8
        .value_kind:     global_buffer
      - .offset:         56
        .size:           4
        .value_kind:     by_value
      - .actual_access:  read_only
        .address_space:  global
        .offset:         64
        .size:           8
        .value_kind:     global_buffer
      - .offset:         72
        .size:           4
        .value_kind:     by_value
      - .offset:         76
        .size:           4
        .value_kind:     by_value
      - .offset:         80
        .size:           4
        .value_kind:     by_value
      - .actual_access:  write_only
        .address_space:  global
        .offset:         88
        .size:           8
        .value_kind:     global_buffer
      - .actual_access:  write_only
        .address_space:  global
        .offset:         96
        .size:           8
        .value_kind:     global_buffer
      - .actual_access:  write_only
        .address_space:  global
        .offset:         104
        .size:           8
        .value_kind:     global_buffer
      - .actual_access:  read_only
        .address_space:  global
        .offset:         112
        .size:           8
        .value_kind:     global_buffer
      - .offset:         120
        .size:           4
        .value_kind:     by_value
      - .address_space:  global
        .offset:         128
        .size:           8
        .value_kind:     global_buffer
      - .address_space:  global
        .offset:         136
        .size:           8
        .value_kind:     global_buffer
      - .offset:         144
        .size:           4
        .value_kind:     hidden_block_count_x
      - .offset:         148
        .size:           4
        .value_kind:     hidden_block_count_y
      - .offset:         152
        .size:           4
        .value_kind:     hidden_block_count_z
      - .offset:         156
        .size:           2
        .value_kind:     hidden_group_size_x
      - .offset:         158
        .size:           2
        .value_kind:     hidden_group_size_y
      - .offset:         160
        .size:           2
        .value_kind:     hidden_group_size_z
      - .offset:         162
        .size:           2
        .value_kind:     hidden_remainder_x
      - .offset:         164
        .size:           2
        .value_kind:     hidden_remainder_y
      - .offset:         166
        .size:           2
        .value_kind:     hidden_remainder_z
      - .offset:         184
        .size:           8
        .value_kind:     hidden_global_offset_x
      - .offset:         192
        .size:           8
        .value_kind:     hidden_global_offset_y
      - .offset:         200
        .size:           8
        .value_kind:     hidden_global_offset_z
      - .offset:         208
        .size:           2
        .value_kind:     hidden_grid_dims
    .group_segment_fixed_size: 17472
    .kernarg_segment_align: 8
    .kernarg_segment_size: 400
    .language:       OpenCL C
    .language_version:
      - 2
      - 0
    .max_flat_workgroup_size: 256
    .name:           _Z39paged_attention_ll4mi_QKV_mfma16_kernelI14__hip_bfloat16hLN4vllm18Fp8KVCacheDataTypeE1ES0_Li16ELi128ELi256ELb0ELi1EL8MFMAType0EEvPKT_PKT0_S9_ifPKiSB_SB_iPKfiiiPfSE_PS4_PT2_iSD_SD_
    .private_segment_fixed_size: 0
    .sgpr_count:     68
    .sgpr_spill_count: 0
    .symbol:         _Z39paged_attention_ll4mi_QKV_mfma16_kernelI14__hip_bfloat16hLN4vllm18Fp8KVCacheDataTypeE1ES0_Li16ELi128ELi256ELb0ELi1EL8MFMAType0EEvPKT_PKT0_S9_ifPKiSB_SB_iPKfiiiPfSE_PS4_PT2_iSD_SD_.kd
    .uniform_work_group_size: 1
    .uses_dynamic_stack: false
    .vgpr_count:     138
    .vgpr_spill_count: 0
    .wavefront_size: 32
    .workgroup_processor_mode: 1
  - .args:
      - .actual_access:  read_only
        .address_space:  global
        .offset:         0
        .size:           8
        .value_kind:     global_buffer
      - .actual_access:  read_only
        .address_space:  global
        .offset:         8
        .size:           8
        .value_kind:     global_buffer
      - .actual_access:  read_only
        .address_space:  global
        .offset:         16
        .size:           8
        .value_kind:     global_buffer
      - .offset:         24
        .size:           4
        .value_kind:     by_value
      - .offset:         28
        .size:           4
        .value_kind:     by_value
      - .actual_access:  read_only
        .address_space:  global
        .offset:         32
        .size:           8
        .value_kind:     global_buffer
      - .actual_access:  read_only
        .address_space:  global
        .offset:         40
        .size:           8
        .value_kind:     global_buffer
      - .actual_access:  read_only
        .address_space:  global
        .offset:         48
        .size:           8
        .value_kind:     global_buffer
      - .offset:         56
        .size:           4
        .value_kind:     by_value
      - .actual_access:  read_only
        .address_space:  global
        .offset:         64
        .size:           8
        .value_kind:     global_buffer
      - .offset:         72
        .size:           4
        .value_kind:     by_value
      - .offset:         76
        .size:           4
        .value_kind:     by_value
      - .offset:         80
        .size:           4
        .value_kind:     by_value
      - .actual_access:  write_only
        .address_space:  global
        .offset:         88
        .size:           8
        .value_kind:     global_buffer
      - .actual_access:  write_only
        .address_space:  global
        .offset:         96
        .size:           8
        .value_kind:     global_buffer
      - .actual_access:  write_only
        .address_space:  global
        .offset:         104
        .size:           8
        .value_kind:     global_buffer
      - .actual_access:  read_only
        .address_space:  global
        .offset:         112
        .size:           8
        .value_kind:     global_buffer
      - .offset:         120
        .size:           4
        .value_kind:     by_value
      - .address_space:  global
        .offset:         128
        .size:           8
        .value_kind:     global_buffer
      - .address_space:  global
        .offset:         136
        .size:           8
        .value_kind:     global_buffer
      - .offset:         144
        .size:           4
        .value_kind:     hidden_block_count_x
      - .offset:         148
        .size:           4
        .value_kind:     hidden_block_count_y
      - .offset:         152
        .size:           4
        .value_kind:     hidden_block_count_z
      - .offset:         156
        .size:           2
        .value_kind:     hidden_group_size_x
      - .offset:         158
        .size:           2
        .value_kind:     hidden_group_size_y
      - .offset:         160
        .size:           2
        .value_kind:     hidden_group_size_z
      - .offset:         162
        .size:           2
        .value_kind:     hidden_remainder_x
      - .offset:         164
        .size:           2
        .value_kind:     hidden_remainder_y
      - .offset:         166
        .size:           2
        .value_kind:     hidden_remainder_z
      - .offset:         184
        .size:           8
        .value_kind:     hidden_global_offset_x
      - .offset:         192
        .size:           8
        .value_kind:     hidden_global_offset_y
      - .offset:         200
        .size:           8
        .value_kind:     hidden_global_offset_z
      - .offset:         208
        .size:           2
        .value_kind:     hidden_grid_dims
    .group_segment_fixed_size: 17472
    .kernarg_segment_align: 8
    .kernarg_segment_size: 400
    .language:       OpenCL C
    .language_version:
      - 2
      - 0
    .max_flat_workgroup_size: 256
    .name:           _Z39paged_attention_ll4mi_QKV_mfma16_kernelI14__hip_bfloat16hLN4vllm18Fp8KVCacheDataTypeE1ES0_Li16ELi128ELi256ELb0ELi2EL8MFMAType0EEvPKT_PKT0_S9_ifPKiSB_SB_iPKfiiiPfSE_PS4_PT2_iSD_SD_
    .private_segment_fixed_size: 0
    .sgpr_count:     38
    .sgpr_spill_count: 0
    .symbol:         _Z39paged_attention_ll4mi_QKV_mfma16_kernelI14__hip_bfloat16hLN4vllm18Fp8KVCacheDataTypeE1ES0_Li16ELi128ELi256ELb0ELi2EL8MFMAType0EEvPKT_PKT0_S9_ifPKiSB_SB_iPKfiiiPfSE_PS4_PT2_iSD_SD_.kd
    .uniform_work_group_size: 1
    .uses_dynamic_stack: false
    .vgpr_count:     138
    .vgpr_spill_count: 0
    .wavefront_size: 32
    .workgroup_processor_mode: 1
  - .args:
      - .actual_access:  read_only
        .address_space:  global
        .offset:         0
        .size:           8
        .value_kind:     global_buffer
      - .actual_access:  read_only
        .address_space:  global
        .offset:         8
        .size:           8
        .value_kind:     global_buffer
      - .actual_access:  read_only
        .address_space:  global
        .offset:         16
        .size:           8
        .value_kind:     global_buffer
      - .offset:         24
        .size:           4
        .value_kind:     by_value
      - .offset:         28
        .size:           4
        .value_kind:     by_value
      - .actual_access:  read_only
        .address_space:  global
        .offset:         32
        .size:           8
        .value_kind:     global_buffer
      - .actual_access:  read_only
        .address_space:  global
        .offset:         40
        .size:           8
        .value_kind:     global_buffer
      - .actual_access:  read_only
        .address_space:  global
        .offset:         48
        .size:           8
        .value_kind:     global_buffer
      - .offset:         56
        .size:           4
        .value_kind:     by_value
      - .actual_access:  read_only
        .address_space:  global
        .offset:         64
        .size:           8
        .value_kind:     global_buffer
      - .offset:         72
        .size:           4
        .value_kind:     by_value
      - .offset:         76
        .size:           4
        .value_kind:     by_value
      - .offset:         80
        .size:           4
        .value_kind:     by_value
      - .actual_access:  write_only
        .address_space:  global
        .offset:         88
        .size:           8
        .value_kind:     global_buffer
      - .actual_access:  write_only
        .address_space:  global
        .offset:         96
        .size:           8
        .value_kind:     global_buffer
      - .actual_access:  write_only
        .address_space:  global
        .offset:         104
        .size:           8
        .value_kind:     global_buffer
      - .actual_access:  read_only
        .address_space:  global
        .offset:         112
        .size:           8
        .value_kind:     global_buffer
      - .offset:         120
        .size:           4
        .value_kind:     by_value
      - .address_space:  global
        .offset:         128
        .size:           8
        .value_kind:     global_buffer
      - .address_space:  global
        .offset:         136
        .size:           8
        .value_kind:     global_buffer
      - .offset:         144
        .size:           4
        .value_kind:     hidden_block_count_x
      - .offset:         148
        .size:           4
        .value_kind:     hidden_block_count_y
      - .offset:         152
        .size:           4
        .value_kind:     hidden_block_count_z
      - .offset:         156
        .size:           2
        .value_kind:     hidden_group_size_x
      - .offset:         158
        .size:           2
        .value_kind:     hidden_group_size_y
      - .offset:         160
        .size:           2
        .value_kind:     hidden_group_size_z
      - .offset:         162
        .size:           2
        .value_kind:     hidden_remainder_x
      - .offset:         164
        .size:           2
        .value_kind:     hidden_remainder_y
      - .offset:         166
        .size:           2
        .value_kind:     hidden_remainder_z
      - .offset:         184
        .size:           8
        .value_kind:     hidden_global_offset_x
      - .offset:         192
        .size:           8
        .value_kind:     hidden_global_offset_y
      - .offset:         200
        .size:           8
        .value_kind:     hidden_global_offset_z
      - .offset:         208
        .size:           2
        .value_kind:     hidden_grid_dims
    .group_segment_fixed_size: 17472
    .kernarg_segment_align: 8
    .kernarg_segment_size: 400
    .language:       OpenCL C
    .language_version:
      - 2
      - 0
    .max_flat_workgroup_size: 256
    .name:           _Z39paged_attention_ll4mi_QKV_mfma16_kernelI14__hip_bfloat16hLN4vllm18Fp8KVCacheDataTypeE1ES0_Li16ELi128ELi256ELb0ELi3EL8MFMAType0EEvPKT_PKT0_S9_ifPKiSB_SB_iPKfiiiPfSE_PS4_PT2_iSD_SD_
    .private_segment_fixed_size: 0
    .sgpr_count:     38
    .sgpr_spill_count: 0
    .symbol:         _Z39paged_attention_ll4mi_QKV_mfma16_kernelI14__hip_bfloat16hLN4vllm18Fp8KVCacheDataTypeE1ES0_Li16ELi128ELi256ELb0ELi3EL8MFMAType0EEvPKT_PKT0_S9_ifPKiSB_SB_iPKfiiiPfSE_PS4_PT2_iSD_SD_.kd
    .uniform_work_group_size: 1
    .uses_dynamic_stack: false
    .vgpr_count:     140
    .vgpr_spill_count: 0
    .wavefront_size: 32
    .workgroup_processor_mode: 1
  - .args:
      - .actual_access:  read_only
        .address_space:  global
        .offset:         0
        .size:           8
        .value_kind:     global_buffer
      - .actual_access:  read_only
        .address_space:  global
        .offset:         8
        .size:           8
        .value_kind:     global_buffer
      - .actual_access:  read_only
        .address_space:  global
        .offset:         16
        .size:           8
        .value_kind:     global_buffer
      - .offset:         24
        .size:           4
        .value_kind:     by_value
      - .offset:         28
        .size:           4
        .value_kind:     by_value
      - .actual_access:  read_only
        .address_space:  global
        .offset:         32
        .size:           8
        .value_kind:     global_buffer
      - .actual_access:  read_only
        .address_space:  global
        .offset:         40
        .size:           8
        .value_kind:     global_buffer
      - .actual_access:  read_only
        .address_space:  global
        .offset:         48
        .size:           8
        .value_kind:     global_buffer
      - .offset:         56
        .size:           4
        .value_kind:     by_value
      - .actual_access:  read_only
        .address_space:  global
        .offset:         64
        .size:           8
        .value_kind:     global_buffer
      - .offset:         72
        .size:           4
        .value_kind:     by_value
      - .offset:         76
        .size:           4
        .value_kind:     by_value
      - .offset:         80
        .size:           4
        .value_kind:     by_value
      - .actual_access:  write_only
        .address_space:  global
        .offset:         88
        .size:           8
        .value_kind:     global_buffer
      - .actual_access:  write_only
        .address_space:  global
        .offset:         96
        .size:           8
        .value_kind:     global_buffer
      - .actual_access:  write_only
        .address_space:  global
        .offset:         104
        .size:           8
        .value_kind:     global_buffer
      - .actual_access:  read_only
        .address_space:  global
        .offset:         112
        .size:           8
        .value_kind:     global_buffer
      - .offset:         120
        .size:           4
        .value_kind:     by_value
      - .address_space:  global
        .offset:         128
        .size:           8
        .value_kind:     global_buffer
      - .address_space:  global
        .offset:         136
        .size:           8
        .value_kind:     global_buffer
      - .offset:         144
        .size:           4
        .value_kind:     hidden_block_count_x
      - .offset:         148
        .size:           4
        .value_kind:     hidden_block_count_y
      - .offset:         152
        .size:           4
        .value_kind:     hidden_block_count_z
      - .offset:         156
        .size:           2
        .value_kind:     hidden_group_size_x
      - .offset:         158
        .size:           2
        .value_kind:     hidden_group_size_y
      - .offset:         160
        .size:           2
        .value_kind:     hidden_group_size_z
      - .offset:         162
        .size:           2
        .value_kind:     hidden_remainder_x
      - .offset:         164
        .size:           2
        .value_kind:     hidden_remainder_y
      - .offset:         166
        .size:           2
        .value_kind:     hidden_remainder_z
      - .offset:         184
        .size:           8
        .value_kind:     hidden_global_offset_x
      - .offset:         192
        .size:           8
        .value_kind:     hidden_global_offset_y
      - .offset:         200
        .size:           8
        .value_kind:     hidden_global_offset_z
      - .offset:         208
        .size:           2
        .value_kind:     hidden_grid_dims
    .group_segment_fixed_size: 17472
    .kernarg_segment_align: 8
    .kernarg_segment_size: 400
    .language:       OpenCL C
    .language_version:
      - 2
      - 0
    .max_flat_workgroup_size: 256
    .name:           _Z39paged_attention_ll4mi_QKV_mfma16_kernelI14__hip_bfloat16hLN4vllm18Fp8KVCacheDataTypeE1ES0_Li16ELi128ELi256ELb0ELi4EL8MFMAType0EEvPKT_PKT0_S9_ifPKiSB_SB_iPKfiiiPfSE_PS4_PT2_iSD_SD_
    .private_segment_fixed_size: 0
    .sgpr_count:     38
    .sgpr_spill_count: 0
    .symbol:         _Z39paged_attention_ll4mi_QKV_mfma16_kernelI14__hip_bfloat16hLN4vllm18Fp8KVCacheDataTypeE1ES0_Li16ELi128ELi256ELb0ELi4EL8MFMAType0EEvPKT_PKT0_S9_ifPKiSB_SB_iPKfiiiPfSE_PS4_PT2_iSD_SD_.kd
    .uniform_work_group_size: 1
    .uses_dynamic_stack: false
    .vgpr_count:     140
    .vgpr_spill_count: 0
    .wavefront_size: 32
    .workgroup_processor_mode: 1
  - .args:
      - .actual_access:  read_only
        .address_space:  global
        .offset:         0
        .size:           8
        .value_kind:     global_buffer
      - .actual_access:  read_only
        .address_space:  global
        .offset:         8
        .size:           8
        .value_kind:     global_buffer
      - .actual_access:  read_only
        .address_space:  global
        .offset:         16
        .size:           8
        .value_kind:     global_buffer
      - .offset:         24
        .size:           4
        .value_kind:     by_value
      - .offset:         28
        .size:           4
        .value_kind:     by_value
      - .actual_access:  read_only
        .address_space:  global
        .offset:         32
        .size:           8
        .value_kind:     global_buffer
      - .actual_access:  read_only
        .address_space:  global
        .offset:         40
        .size:           8
        .value_kind:     global_buffer
      - .actual_access:  read_only
        .address_space:  global
        .offset:         48
        .size:           8
        .value_kind:     global_buffer
      - .offset:         56
        .size:           4
        .value_kind:     by_value
      - .actual_access:  read_only
        .address_space:  global
        .offset:         64
        .size:           8
        .value_kind:     global_buffer
      - .offset:         72
        .size:           4
        .value_kind:     by_value
      - .offset:         76
        .size:           4
        .value_kind:     by_value
      - .offset:         80
        .size:           4
        .value_kind:     by_value
      - .actual_access:  write_only
        .address_space:  global
        .offset:         88
        .size:           8
        .value_kind:     global_buffer
      - .actual_access:  write_only
        .address_space:  global
        .offset:         96
        .size:           8
        .value_kind:     global_buffer
      - .actual_access:  write_only
        .address_space:  global
        .offset:         104
        .size:           8
        .value_kind:     global_buffer
      - .actual_access:  read_only
        .address_space:  global
        .offset:         112
        .size:           8
        .value_kind:     global_buffer
      - .offset:         120
        .size:           4
        .value_kind:     by_value
      - .address_space:  global
        .offset:         128
        .size:           8
        .value_kind:     global_buffer
      - .address_space:  global
        .offset:         136
        .size:           8
        .value_kind:     global_buffer
      - .offset:         144
        .size:           4
        .value_kind:     hidden_block_count_x
      - .offset:         148
        .size:           4
        .value_kind:     hidden_block_count_y
      - .offset:         152
        .size:           4
        .value_kind:     hidden_block_count_z
      - .offset:         156
        .size:           2
        .value_kind:     hidden_group_size_x
      - .offset:         158
        .size:           2
        .value_kind:     hidden_group_size_y
      - .offset:         160
        .size:           2
        .value_kind:     hidden_group_size_z
      - .offset:         162
        .size:           2
        .value_kind:     hidden_remainder_x
      - .offset:         164
        .size:           2
        .value_kind:     hidden_remainder_y
      - .offset:         166
        .size:           2
        .value_kind:     hidden_remainder_z
      - .offset:         184
        .size:           8
        .value_kind:     hidden_global_offset_x
      - .offset:         192
        .size:           8
        .value_kind:     hidden_global_offset_y
      - .offset:         200
        .size:           8
        .value_kind:     hidden_global_offset_z
      - .offset:         208
        .size:           2
        .value_kind:     hidden_grid_dims
    .group_segment_fixed_size: 17472
    .kernarg_segment_align: 8
    .kernarg_segment_size: 400
    .language:       OpenCL C
    .language_version:
      - 2
      - 0
    .max_flat_workgroup_size: 256
    .name:           _Z39paged_attention_ll4mi_QKV_mfma16_kernelI14__hip_bfloat16hLN4vllm18Fp8KVCacheDataTypeE1EhLi32ELi128ELi256ELb1ELi5EL8MFMAType0EEvPKT_PKT0_S9_ifPKiSB_SB_iPKfiiiPfSE_PS4_PT2_iSD_SD_
    .private_segment_fixed_size: 0
    .sgpr_count:     38
    .sgpr_spill_count: 0
    .symbol:         _Z39paged_attention_ll4mi_QKV_mfma16_kernelI14__hip_bfloat16hLN4vllm18Fp8KVCacheDataTypeE1EhLi32ELi128ELi256ELb1ELi5EL8MFMAType0EEvPKT_PKT0_S9_ifPKiSB_SB_iPKfiiiPfSE_PS4_PT2_iSD_SD_.kd
    .uniform_work_group_size: 1
    .uses_dynamic_stack: false
    .vgpr_count:     140
    .vgpr_spill_count: 0
    .wavefront_size: 32
    .workgroup_processor_mode: 1
  - .args:
      - .actual_access:  read_only
        .address_space:  global
        .offset:         0
        .size:           8
        .value_kind:     global_buffer
      - .actual_access:  read_only
        .address_space:  global
        .offset:         8
        .size:           8
        .value_kind:     global_buffer
      - .actual_access:  read_only
        .address_space:  global
        .offset:         16
        .size:           8
        .value_kind:     global_buffer
      - .offset:         24
        .size:           4
        .value_kind:     by_value
      - .offset:         28
        .size:           4
        .value_kind:     by_value
      - .actual_access:  read_only
        .address_space:  global
        .offset:         32
        .size:           8
        .value_kind:     global_buffer
      - .actual_access:  read_only
        .address_space:  global
        .offset:         40
        .size:           8
        .value_kind:     global_buffer
      - .actual_access:  read_only
        .address_space:  global
        .offset:         48
        .size:           8
        .value_kind:     global_buffer
      - .offset:         56
        .size:           4
        .value_kind:     by_value
      - .actual_access:  read_only
        .address_space:  global
        .offset:         64
        .size:           8
        .value_kind:     global_buffer
      - .offset:         72
        .size:           4
        .value_kind:     by_value
      - .offset:         76
        .size:           4
        .value_kind:     by_value
      - .offset:         80
        .size:           4
        .value_kind:     by_value
      - .actual_access:  write_only
        .address_space:  global
        .offset:         88
        .size:           8
        .value_kind:     global_buffer
      - .actual_access:  write_only
        .address_space:  global
        .offset:         96
        .size:           8
        .value_kind:     global_buffer
      - .actual_access:  write_only
        .address_space:  global
        .offset:         104
        .size:           8
        .value_kind:     global_buffer
      - .actual_access:  read_only
        .address_space:  global
        .offset:         112
        .size:           8
        .value_kind:     global_buffer
      - .offset:         120
        .size:           4
        .value_kind:     by_value
      - .address_space:  global
        .offset:         128
        .size:           8
        .value_kind:     global_buffer
      - .address_space:  global
        .offset:         136
        .size:           8
        .value_kind:     global_buffer
      - .offset:         144
        .size:           4
        .value_kind:     hidden_block_count_x
      - .offset:         148
        .size:           4
        .value_kind:     hidden_block_count_y
      - .offset:         152
        .size:           4
        .value_kind:     hidden_block_count_z
      - .offset:         156
        .size:           2
        .value_kind:     hidden_group_size_x
      - .offset:         158
        .size:           2
        .value_kind:     hidden_group_size_y
      - .offset:         160
        .size:           2
        .value_kind:     hidden_group_size_z
      - .offset:         162
        .size:           2
        .value_kind:     hidden_remainder_x
      - .offset:         164
        .size:           2
        .value_kind:     hidden_remainder_y
      - .offset:         166
        .size:           2
        .value_kind:     hidden_remainder_z
      - .offset:         184
        .size:           8
        .value_kind:     hidden_global_offset_x
      - .offset:         192
        .size:           8
        .value_kind:     hidden_global_offset_y
      - .offset:         200
        .size:           8
        .value_kind:     hidden_global_offset_z
      - .offset:         208
        .size:           2
        .value_kind:     hidden_grid_dims
    .group_segment_fixed_size: 17472
    .kernarg_segment_align: 8
    .kernarg_segment_size: 400
    .language:       OpenCL C
    .language_version:
      - 2
      - 0
    .max_flat_workgroup_size: 256
    .name:           _Z39paged_attention_ll4mi_QKV_mfma16_kernelI14__hip_bfloat16hLN4vllm18Fp8KVCacheDataTypeE1EhLi32ELi128ELi256ELb1ELi6EL8MFMAType0EEvPKT_PKT0_S9_ifPKiSB_SB_iPKfiiiPfSE_PS4_PT2_iSD_SD_
    .private_segment_fixed_size: 0
    .sgpr_count:     38
    .sgpr_spill_count: 0
    .symbol:         _Z39paged_attention_ll4mi_QKV_mfma16_kernelI14__hip_bfloat16hLN4vllm18Fp8KVCacheDataTypeE1EhLi32ELi128ELi256ELb1ELi6EL8MFMAType0EEvPKT_PKT0_S9_ifPKiSB_SB_iPKfiiiPfSE_PS4_PT2_iSD_SD_.kd
    .uniform_work_group_size: 1
    .uses_dynamic_stack: false
    .vgpr_count:     140
    .vgpr_spill_count: 0
    .wavefront_size: 32
    .workgroup_processor_mode: 1
  - .args:
      - .actual_access:  read_only
        .address_space:  global
        .offset:         0
        .size:           8
        .value_kind:     global_buffer
      - .actual_access:  read_only
        .address_space:  global
        .offset:         8
        .size:           8
        .value_kind:     global_buffer
      - .actual_access:  read_only
        .address_space:  global
        .offset:         16
        .size:           8
        .value_kind:     global_buffer
      - .offset:         24
        .size:           4
        .value_kind:     by_value
      - .offset:         28
        .size:           4
        .value_kind:     by_value
      - .actual_access:  read_only
        .address_space:  global
        .offset:         32
        .size:           8
        .value_kind:     global_buffer
      - .actual_access:  read_only
        .address_space:  global
        .offset:         40
        .size:           8
        .value_kind:     global_buffer
      - .actual_access:  read_only
        .address_space:  global
        .offset:         48
        .size:           8
        .value_kind:     global_buffer
      - .offset:         56
        .size:           4
        .value_kind:     by_value
      - .actual_access:  read_only
        .address_space:  global
        .offset:         64
        .size:           8
        .value_kind:     global_buffer
      - .offset:         72
        .size:           4
        .value_kind:     by_value
      - .offset:         76
        .size:           4
        .value_kind:     by_value
      - .offset:         80
        .size:           4
        .value_kind:     by_value
      - .actual_access:  write_only
        .address_space:  global
        .offset:         88
        .size:           8
        .value_kind:     global_buffer
      - .actual_access:  write_only
        .address_space:  global
        .offset:         96
        .size:           8
        .value_kind:     global_buffer
      - .actual_access:  write_only
        .address_space:  global
        .offset:         104
        .size:           8
        .value_kind:     global_buffer
      - .actual_access:  read_only
        .address_space:  global
        .offset:         112
        .size:           8
        .value_kind:     global_buffer
      - .offset:         120
        .size:           4
        .value_kind:     by_value
      - .address_space:  global
        .offset:         128
        .size:           8
        .value_kind:     global_buffer
      - .address_space:  global
        .offset:         136
        .size:           8
        .value_kind:     global_buffer
      - .offset:         144
        .size:           4
        .value_kind:     hidden_block_count_x
      - .offset:         148
        .size:           4
        .value_kind:     hidden_block_count_y
      - .offset:         152
        .size:           4
        .value_kind:     hidden_block_count_z
      - .offset:         156
        .size:           2
        .value_kind:     hidden_group_size_x
      - .offset:         158
        .size:           2
        .value_kind:     hidden_group_size_y
      - .offset:         160
        .size:           2
        .value_kind:     hidden_group_size_z
      - .offset:         162
        .size:           2
        .value_kind:     hidden_remainder_x
      - .offset:         164
        .size:           2
        .value_kind:     hidden_remainder_y
      - .offset:         166
        .size:           2
        .value_kind:     hidden_remainder_z
      - .offset:         184
        .size:           8
        .value_kind:     hidden_global_offset_x
      - .offset:         192
        .size:           8
        .value_kind:     hidden_global_offset_y
      - .offset:         200
        .size:           8
        .value_kind:     hidden_global_offset_z
      - .offset:         208
        .size:           2
        .value_kind:     hidden_grid_dims
    .group_segment_fixed_size: 17472
    .kernarg_segment_align: 8
    .kernarg_segment_size: 400
    .language:       OpenCL C
    .language_version:
      - 2
      - 0
    .max_flat_workgroup_size: 256
    .name:           _Z39paged_attention_ll4mi_QKV_mfma16_kernelI14__hip_bfloat16hLN4vllm18Fp8KVCacheDataTypeE1EhLi32ELi128ELi256ELb1ELi7EL8MFMAType0EEvPKT_PKT0_S9_ifPKiSB_SB_iPKfiiiPfSE_PS4_PT2_iSD_SD_
    .private_segment_fixed_size: 0
    .sgpr_count:     38
    .sgpr_spill_count: 0
    .symbol:         _Z39paged_attention_ll4mi_QKV_mfma16_kernelI14__hip_bfloat16hLN4vllm18Fp8KVCacheDataTypeE1EhLi32ELi128ELi256ELb1ELi7EL8MFMAType0EEvPKT_PKT0_S9_ifPKiSB_SB_iPKfiiiPfSE_PS4_PT2_iSD_SD_.kd
    .uniform_work_group_size: 1
    .uses_dynamic_stack: false
    .vgpr_count:     140
    .vgpr_spill_count: 0
    .wavefront_size: 32
    .workgroup_processor_mode: 1
  - .args:
      - .actual_access:  read_only
        .address_space:  global
        .offset:         0
        .size:           8
        .value_kind:     global_buffer
      - .actual_access:  read_only
        .address_space:  global
        .offset:         8
        .size:           8
        .value_kind:     global_buffer
      - .actual_access:  read_only
        .address_space:  global
        .offset:         16
        .size:           8
        .value_kind:     global_buffer
      - .offset:         24
        .size:           4
        .value_kind:     by_value
      - .offset:         28
        .size:           4
        .value_kind:     by_value
      - .actual_access:  read_only
        .address_space:  global
        .offset:         32
        .size:           8
        .value_kind:     global_buffer
      - .actual_access:  read_only
        .address_space:  global
        .offset:         40
        .size:           8
        .value_kind:     global_buffer
      - .actual_access:  read_only
        .address_space:  global
        .offset:         48
        .size:           8
        .value_kind:     global_buffer
      - .offset:         56
        .size:           4
        .value_kind:     by_value
      - .actual_access:  read_only
        .address_space:  global
        .offset:         64
        .size:           8
        .value_kind:     global_buffer
      - .offset:         72
        .size:           4
        .value_kind:     by_value
      - .offset:         76
        .size:           4
        .value_kind:     by_value
      - .offset:         80
        .size:           4
        .value_kind:     by_value
      - .actual_access:  write_only
        .address_space:  global
        .offset:         88
        .size:           8
        .value_kind:     global_buffer
      - .actual_access:  write_only
        .address_space:  global
        .offset:         96
        .size:           8
        .value_kind:     global_buffer
      - .actual_access:  write_only
        .address_space:  global
        .offset:         104
        .size:           8
        .value_kind:     global_buffer
      - .actual_access:  read_only
        .address_space:  global
        .offset:         112
        .size:           8
        .value_kind:     global_buffer
      - .offset:         120
        .size:           4
        .value_kind:     by_value
      - .address_space:  global
        .offset:         128
        .size:           8
        .value_kind:     global_buffer
      - .address_space:  global
        .offset:         136
        .size:           8
        .value_kind:     global_buffer
      - .offset:         144
        .size:           4
        .value_kind:     hidden_block_count_x
      - .offset:         148
        .size:           4
        .value_kind:     hidden_block_count_y
      - .offset:         152
        .size:           4
        .value_kind:     hidden_block_count_z
      - .offset:         156
        .size:           2
        .value_kind:     hidden_group_size_x
      - .offset:         158
        .size:           2
        .value_kind:     hidden_group_size_y
      - .offset:         160
        .size:           2
        .value_kind:     hidden_group_size_z
      - .offset:         162
        .size:           2
        .value_kind:     hidden_remainder_x
      - .offset:         164
        .size:           2
        .value_kind:     hidden_remainder_y
      - .offset:         166
        .size:           2
        .value_kind:     hidden_remainder_z
      - .offset:         184
        .size:           8
        .value_kind:     hidden_global_offset_x
      - .offset:         192
        .size:           8
        .value_kind:     hidden_global_offset_y
      - .offset:         200
        .size:           8
        .value_kind:     hidden_global_offset_z
      - .offset:         208
        .size:           2
        .value_kind:     hidden_grid_dims
    .group_segment_fixed_size: 17472
    .kernarg_segment_align: 8
    .kernarg_segment_size: 400
    .language:       OpenCL C
    .language_version:
      - 2
      - 0
    .max_flat_workgroup_size: 256
    .name:           _Z39paged_attention_ll4mi_QKV_mfma16_kernelI14__hip_bfloat16hLN4vllm18Fp8KVCacheDataTypeE1EhLi32ELi128ELi256ELb1ELi8EL8MFMAType0EEvPKT_PKT0_S9_ifPKiSB_SB_iPKfiiiPfSE_PS4_PT2_iSD_SD_
    .private_segment_fixed_size: 0
    .sgpr_count:     38
    .sgpr_spill_count: 0
    .symbol:         _Z39paged_attention_ll4mi_QKV_mfma16_kernelI14__hip_bfloat16hLN4vllm18Fp8KVCacheDataTypeE1EhLi32ELi128ELi256ELb1ELi8EL8MFMAType0EEvPKT_PKT0_S9_ifPKiSB_SB_iPKfiiiPfSE_PS4_PT2_iSD_SD_.kd
    .uniform_work_group_size: 1
    .uses_dynamic_stack: false
    .vgpr_count:     140
    .vgpr_spill_count: 0
    .wavefront_size: 32
    .workgroup_processor_mode: 1
  - .args:
      - .actual_access:  read_only
        .address_space:  global
        .offset:         0
        .size:           8
        .value_kind:     global_buffer
      - .actual_access:  read_only
        .address_space:  global
        .offset:         8
        .size:           8
        .value_kind:     global_buffer
      - .actual_access:  read_only
        .address_space:  global
        .offset:         16
        .size:           8
        .value_kind:     global_buffer
      - .offset:         24
        .size:           4
        .value_kind:     by_value
      - .offset:         28
        .size:           4
        .value_kind:     by_value
      - .actual_access:  read_only
        .address_space:  global
        .offset:         32
        .size:           8
        .value_kind:     global_buffer
      - .actual_access:  read_only
        .address_space:  global
        .offset:         40
        .size:           8
        .value_kind:     global_buffer
      - .actual_access:  read_only
        .address_space:  global
        .offset:         48
        .size:           8
        .value_kind:     global_buffer
      - .offset:         56
        .size:           4
        .value_kind:     by_value
      - .actual_access:  read_only
        .address_space:  global
        .offset:         64
        .size:           8
        .value_kind:     global_buffer
      - .offset:         72
        .size:           4
        .value_kind:     by_value
      - .offset:         76
        .size:           4
        .value_kind:     by_value
      - .offset:         80
        .size:           4
        .value_kind:     by_value
      - .actual_access:  write_only
        .address_space:  global
        .offset:         88
        .size:           8
        .value_kind:     global_buffer
      - .actual_access:  write_only
        .address_space:  global
        .offset:         96
        .size:           8
        .value_kind:     global_buffer
      - .actual_access:  write_only
        .address_space:  global
        .offset:         104
        .size:           8
        .value_kind:     global_buffer
      - .actual_access:  read_only
        .address_space:  global
        .offset:         112
        .size:           8
        .value_kind:     global_buffer
      - .offset:         120
        .size:           4
        .value_kind:     by_value
      - .address_space:  global
        .offset:         128
        .size:           8
        .value_kind:     global_buffer
      - .address_space:  global
        .offset:         136
        .size:           8
        .value_kind:     global_buffer
      - .offset:         144
        .size:           4
        .value_kind:     hidden_block_count_x
      - .offset:         148
        .size:           4
        .value_kind:     hidden_block_count_y
      - .offset:         152
        .size:           4
        .value_kind:     hidden_block_count_z
      - .offset:         156
        .size:           2
        .value_kind:     hidden_group_size_x
      - .offset:         158
        .size:           2
        .value_kind:     hidden_group_size_y
      - .offset:         160
        .size:           2
        .value_kind:     hidden_group_size_z
      - .offset:         162
        .size:           2
        .value_kind:     hidden_remainder_x
      - .offset:         164
        .size:           2
        .value_kind:     hidden_remainder_y
      - .offset:         166
        .size:           2
        .value_kind:     hidden_remainder_z
      - .offset:         184
        .size:           8
        .value_kind:     hidden_global_offset_x
      - .offset:         192
        .size:           8
        .value_kind:     hidden_global_offset_y
      - .offset:         200
        .size:           8
        .value_kind:     hidden_global_offset_z
      - .offset:         208
        .size:           2
        .value_kind:     hidden_grid_dims
    .group_segment_fixed_size: 17472
    .kernarg_segment_align: 8
    .kernarg_segment_size: 400
    .language:       OpenCL C
    .language_version:
      - 2
      - 0
    .max_flat_workgroup_size: 256
    .name:           _Z39paged_attention_ll4mi_QKV_mfma16_kernelI14__hip_bfloat16hLN4vllm18Fp8KVCacheDataTypeE1EhLi32ELi128ELi256ELb1ELi9EL8MFMAType0EEvPKT_PKT0_S9_ifPKiSB_SB_iPKfiiiPfSE_PS4_PT2_iSD_SD_
    .private_segment_fixed_size: 0
    .sgpr_count:     38
    .sgpr_spill_count: 0
    .symbol:         _Z39paged_attention_ll4mi_QKV_mfma16_kernelI14__hip_bfloat16hLN4vllm18Fp8KVCacheDataTypeE1EhLi32ELi128ELi256ELb1ELi9EL8MFMAType0EEvPKT_PKT0_S9_ifPKiSB_SB_iPKfiiiPfSE_PS4_PT2_iSD_SD_.kd
    .uniform_work_group_size: 1
    .uses_dynamic_stack: false
    .vgpr_count:     140
    .vgpr_spill_count: 0
    .wavefront_size: 32
    .workgroup_processor_mode: 1
  - .args:
      - .actual_access:  read_only
        .address_space:  global
        .offset:         0
        .size:           8
        .value_kind:     global_buffer
      - .actual_access:  read_only
        .address_space:  global
        .offset:         8
        .size:           8
        .value_kind:     global_buffer
      - .actual_access:  read_only
        .address_space:  global
        .offset:         16
        .size:           8
        .value_kind:     global_buffer
      - .offset:         24
        .size:           4
        .value_kind:     by_value
      - .offset:         28
        .size:           4
        .value_kind:     by_value
      - .actual_access:  read_only
        .address_space:  global
        .offset:         32
        .size:           8
        .value_kind:     global_buffer
      - .actual_access:  read_only
        .address_space:  global
        .offset:         40
        .size:           8
        .value_kind:     global_buffer
      - .actual_access:  read_only
        .address_space:  global
        .offset:         48
        .size:           8
        .value_kind:     global_buffer
      - .offset:         56
        .size:           4
        .value_kind:     by_value
      - .actual_access:  read_only
        .address_space:  global
        .offset:         64
        .size:           8
        .value_kind:     global_buffer
      - .offset:         72
        .size:           4
        .value_kind:     by_value
      - .offset:         76
        .size:           4
        .value_kind:     by_value
      - .offset:         80
        .size:           4
        .value_kind:     by_value
      - .actual_access:  write_only
        .address_space:  global
        .offset:         88
        .size:           8
        .value_kind:     global_buffer
      - .actual_access:  write_only
        .address_space:  global
        .offset:         96
        .size:           8
        .value_kind:     global_buffer
      - .actual_access:  write_only
        .address_space:  global
        .offset:         104
        .size:           8
        .value_kind:     global_buffer
      - .actual_access:  read_only
        .address_space:  global
        .offset:         112
        .size:           8
        .value_kind:     global_buffer
      - .offset:         120
        .size:           4
        .value_kind:     by_value
      - .address_space:  global
        .offset:         128
        .size:           8
        .value_kind:     global_buffer
      - .address_space:  global
        .offset:         136
        .size:           8
        .value_kind:     global_buffer
      - .offset:         144
        .size:           4
        .value_kind:     hidden_block_count_x
      - .offset:         148
        .size:           4
        .value_kind:     hidden_block_count_y
      - .offset:         152
        .size:           4
        .value_kind:     hidden_block_count_z
      - .offset:         156
        .size:           2
        .value_kind:     hidden_group_size_x
      - .offset:         158
        .size:           2
        .value_kind:     hidden_group_size_y
      - .offset:         160
        .size:           2
        .value_kind:     hidden_group_size_z
      - .offset:         162
        .size:           2
        .value_kind:     hidden_remainder_x
      - .offset:         164
        .size:           2
        .value_kind:     hidden_remainder_y
      - .offset:         166
        .size:           2
        .value_kind:     hidden_remainder_z
      - .offset:         184
        .size:           8
        .value_kind:     hidden_global_offset_x
      - .offset:         192
        .size:           8
        .value_kind:     hidden_global_offset_y
      - .offset:         200
        .size:           8
        .value_kind:     hidden_global_offset_z
      - .offset:         208
        .size:           2
        .value_kind:     hidden_grid_dims
    .group_segment_fixed_size: 17472
    .kernarg_segment_align: 8
    .kernarg_segment_size: 400
    .language:       OpenCL C
    .language_version:
      - 2
      - 0
    .max_flat_workgroup_size: 256
    .name:           _Z39paged_attention_ll4mi_QKV_mfma16_kernelI14__hip_bfloat16hLN4vllm18Fp8KVCacheDataTypeE1EhLi32ELi128ELi256ELb1ELi10EL8MFMAType0EEvPKT_PKT0_S9_ifPKiSB_SB_iPKfiiiPfSE_PS4_PT2_iSD_SD_
    .private_segment_fixed_size: 0
    .sgpr_count:     38
    .sgpr_spill_count: 0
    .symbol:         _Z39paged_attention_ll4mi_QKV_mfma16_kernelI14__hip_bfloat16hLN4vllm18Fp8KVCacheDataTypeE1EhLi32ELi128ELi256ELb1ELi10EL8MFMAType0EEvPKT_PKT0_S9_ifPKiSB_SB_iPKfiiiPfSE_PS4_PT2_iSD_SD_.kd
    .uniform_work_group_size: 1
    .uses_dynamic_stack: false
    .vgpr_count:     140
    .vgpr_spill_count: 0
    .wavefront_size: 32
    .workgroup_processor_mode: 1
  - .args:
      - .actual_access:  read_only
        .address_space:  global
        .offset:         0
        .size:           8
        .value_kind:     global_buffer
      - .actual_access:  read_only
        .address_space:  global
        .offset:         8
        .size:           8
        .value_kind:     global_buffer
      - .actual_access:  read_only
        .address_space:  global
        .offset:         16
        .size:           8
        .value_kind:     global_buffer
      - .offset:         24
        .size:           4
        .value_kind:     by_value
      - .offset:         28
        .size:           4
        .value_kind:     by_value
      - .actual_access:  read_only
        .address_space:  global
        .offset:         32
        .size:           8
        .value_kind:     global_buffer
      - .actual_access:  read_only
        .address_space:  global
        .offset:         40
        .size:           8
        .value_kind:     global_buffer
      - .actual_access:  read_only
        .address_space:  global
        .offset:         48
        .size:           8
        .value_kind:     global_buffer
      - .offset:         56
        .size:           4
        .value_kind:     by_value
      - .actual_access:  read_only
        .address_space:  global
        .offset:         64
        .size:           8
        .value_kind:     global_buffer
      - .offset:         72
        .size:           4
        .value_kind:     by_value
      - .offset:         76
        .size:           4
        .value_kind:     by_value
      - .offset:         80
        .size:           4
        .value_kind:     by_value
      - .actual_access:  write_only
        .address_space:  global
        .offset:         88
        .size:           8
        .value_kind:     global_buffer
      - .actual_access:  write_only
        .address_space:  global
        .offset:         96
        .size:           8
        .value_kind:     global_buffer
      - .actual_access:  write_only
        .address_space:  global
        .offset:         104
        .size:           8
        .value_kind:     global_buffer
      - .actual_access:  read_only
        .address_space:  global
        .offset:         112
        .size:           8
        .value_kind:     global_buffer
      - .offset:         120
        .size:           4
        .value_kind:     by_value
      - .address_space:  global
        .offset:         128
        .size:           8
        .value_kind:     global_buffer
      - .address_space:  global
        .offset:         136
        .size:           8
        .value_kind:     global_buffer
      - .offset:         144
        .size:           4
        .value_kind:     hidden_block_count_x
      - .offset:         148
        .size:           4
        .value_kind:     hidden_block_count_y
      - .offset:         152
        .size:           4
        .value_kind:     hidden_block_count_z
      - .offset:         156
        .size:           2
        .value_kind:     hidden_group_size_x
      - .offset:         158
        .size:           2
        .value_kind:     hidden_group_size_y
      - .offset:         160
        .size:           2
        .value_kind:     hidden_group_size_z
      - .offset:         162
        .size:           2
        .value_kind:     hidden_remainder_x
      - .offset:         164
        .size:           2
        .value_kind:     hidden_remainder_y
      - .offset:         166
        .size:           2
        .value_kind:     hidden_remainder_z
      - .offset:         184
        .size:           8
        .value_kind:     hidden_global_offset_x
      - .offset:         192
        .size:           8
        .value_kind:     hidden_global_offset_y
      - .offset:         200
        .size:           8
        .value_kind:     hidden_global_offset_z
      - .offset:         208
        .size:           2
        .value_kind:     hidden_grid_dims
    .group_segment_fixed_size: 17472
    .kernarg_segment_align: 8
    .kernarg_segment_size: 400
    .language:       OpenCL C
    .language_version:
      - 2
      - 0
    .max_flat_workgroup_size: 256
    .name:           _Z39paged_attention_ll4mi_QKV_mfma16_kernelI14__hip_bfloat16hLN4vllm18Fp8KVCacheDataTypeE1EhLi32ELi128ELi256ELb1ELi11EL8MFMAType0EEvPKT_PKT0_S9_ifPKiSB_SB_iPKfiiiPfSE_PS4_PT2_iSD_SD_
    .private_segment_fixed_size: 0
    .sgpr_count:     38
    .sgpr_spill_count: 0
    .symbol:         _Z39paged_attention_ll4mi_QKV_mfma16_kernelI14__hip_bfloat16hLN4vllm18Fp8KVCacheDataTypeE1EhLi32ELi128ELi256ELb1ELi11EL8MFMAType0EEvPKT_PKT0_S9_ifPKiSB_SB_iPKfiiiPfSE_PS4_PT2_iSD_SD_.kd
    .uniform_work_group_size: 1
    .uses_dynamic_stack: false
    .vgpr_count:     140
    .vgpr_spill_count: 0
    .wavefront_size: 32
    .workgroup_processor_mode: 1
  - .args:
      - .actual_access:  read_only
        .address_space:  global
        .offset:         0
        .size:           8
        .value_kind:     global_buffer
      - .actual_access:  read_only
        .address_space:  global
        .offset:         8
        .size:           8
        .value_kind:     global_buffer
      - .actual_access:  read_only
        .address_space:  global
        .offset:         16
        .size:           8
        .value_kind:     global_buffer
      - .offset:         24
        .size:           4
        .value_kind:     by_value
      - .offset:         28
        .size:           4
        .value_kind:     by_value
      - .actual_access:  read_only
        .address_space:  global
        .offset:         32
        .size:           8
        .value_kind:     global_buffer
      - .actual_access:  read_only
        .address_space:  global
        .offset:         40
        .size:           8
        .value_kind:     global_buffer
      - .actual_access:  read_only
        .address_space:  global
        .offset:         48
        .size:           8
        .value_kind:     global_buffer
      - .offset:         56
        .size:           4
        .value_kind:     by_value
      - .actual_access:  read_only
        .address_space:  global
        .offset:         64
        .size:           8
        .value_kind:     global_buffer
      - .offset:         72
        .size:           4
        .value_kind:     by_value
      - .offset:         76
        .size:           4
        .value_kind:     by_value
      - .offset:         80
        .size:           4
        .value_kind:     by_value
      - .actual_access:  write_only
        .address_space:  global
        .offset:         88
        .size:           8
        .value_kind:     global_buffer
      - .actual_access:  write_only
        .address_space:  global
        .offset:         96
        .size:           8
        .value_kind:     global_buffer
      - .actual_access:  write_only
        .address_space:  global
        .offset:         104
        .size:           8
        .value_kind:     global_buffer
      - .actual_access:  read_only
        .address_space:  global
        .offset:         112
        .size:           8
        .value_kind:     global_buffer
      - .offset:         120
        .size:           4
        .value_kind:     by_value
      - .address_space:  global
        .offset:         128
        .size:           8
        .value_kind:     global_buffer
      - .address_space:  global
        .offset:         136
        .size:           8
        .value_kind:     global_buffer
      - .offset:         144
        .size:           4
        .value_kind:     hidden_block_count_x
      - .offset:         148
        .size:           4
        .value_kind:     hidden_block_count_y
      - .offset:         152
        .size:           4
        .value_kind:     hidden_block_count_z
      - .offset:         156
        .size:           2
        .value_kind:     hidden_group_size_x
      - .offset:         158
        .size:           2
        .value_kind:     hidden_group_size_y
      - .offset:         160
        .size:           2
        .value_kind:     hidden_group_size_z
      - .offset:         162
        .size:           2
        .value_kind:     hidden_remainder_x
      - .offset:         164
        .size:           2
        .value_kind:     hidden_remainder_y
      - .offset:         166
        .size:           2
        .value_kind:     hidden_remainder_z
      - .offset:         184
        .size:           8
        .value_kind:     hidden_global_offset_x
      - .offset:         192
        .size:           8
        .value_kind:     hidden_global_offset_y
      - .offset:         200
        .size:           8
        .value_kind:     hidden_global_offset_z
      - .offset:         208
        .size:           2
        .value_kind:     hidden_grid_dims
    .group_segment_fixed_size: 17472
    .kernarg_segment_align: 8
    .kernarg_segment_size: 400
    .language:       OpenCL C
    .language_version:
      - 2
      - 0
    .max_flat_workgroup_size: 256
    .name:           _Z39paged_attention_ll4mi_QKV_mfma16_kernelI14__hip_bfloat16hLN4vllm18Fp8KVCacheDataTypeE1EhLi32ELi128ELi256ELb1ELi12EL8MFMAType0EEvPKT_PKT0_S9_ifPKiSB_SB_iPKfiiiPfSE_PS4_PT2_iSD_SD_
    .private_segment_fixed_size: 0
    .sgpr_count:     38
    .sgpr_spill_count: 0
    .symbol:         _Z39paged_attention_ll4mi_QKV_mfma16_kernelI14__hip_bfloat16hLN4vllm18Fp8KVCacheDataTypeE1EhLi32ELi128ELi256ELb1ELi12EL8MFMAType0EEvPKT_PKT0_S9_ifPKiSB_SB_iPKfiiiPfSE_PS4_PT2_iSD_SD_.kd
    .uniform_work_group_size: 1
    .uses_dynamic_stack: false
    .vgpr_count:     140
    .vgpr_spill_count: 0
    .wavefront_size: 32
    .workgroup_processor_mode: 1
  - .args:
      - .actual_access:  read_only
        .address_space:  global
        .offset:         0
        .size:           8
        .value_kind:     global_buffer
      - .actual_access:  read_only
        .address_space:  global
        .offset:         8
        .size:           8
        .value_kind:     global_buffer
      - .actual_access:  read_only
        .address_space:  global
        .offset:         16
        .size:           8
        .value_kind:     global_buffer
      - .offset:         24
        .size:           4
        .value_kind:     by_value
      - .offset:         28
        .size:           4
        .value_kind:     by_value
      - .actual_access:  read_only
        .address_space:  global
        .offset:         32
        .size:           8
        .value_kind:     global_buffer
      - .actual_access:  read_only
        .address_space:  global
        .offset:         40
        .size:           8
        .value_kind:     global_buffer
      - .actual_access:  read_only
        .address_space:  global
        .offset:         48
        .size:           8
        .value_kind:     global_buffer
      - .offset:         56
        .size:           4
        .value_kind:     by_value
      - .actual_access:  read_only
        .address_space:  global
        .offset:         64
        .size:           8
        .value_kind:     global_buffer
      - .offset:         72
        .size:           4
        .value_kind:     by_value
      - .offset:         76
        .size:           4
        .value_kind:     by_value
      - .offset:         80
        .size:           4
        .value_kind:     by_value
      - .actual_access:  write_only
        .address_space:  global
        .offset:         88
        .size:           8
        .value_kind:     global_buffer
      - .actual_access:  write_only
        .address_space:  global
        .offset:         96
        .size:           8
        .value_kind:     global_buffer
      - .actual_access:  write_only
        .address_space:  global
        .offset:         104
        .size:           8
        .value_kind:     global_buffer
      - .actual_access:  read_only
        .address_space:  global
        .offset:         112
        .size:           8
        .value_kind:     global_buffer
      - .offset:         120
        .size:           4
        .value_kind:     by_value
      - .address_space:  global
        .offset:         128
        .size:           8
        .value_kind:     global_buffer
      - .address_space:  global
        .offset:         136
        .size:           8
        .value_kind:     global_buffer
      - .offset:         144
        .size:           4
        .value_kind:     hidden_block_count_x
      - .offset:         148
        .size:           4
        .value_kind:     hidden_block_count_y
      - .offset:         152
        .size:           4
        .value_kind:     hidden_block_count_z
      - .offset:         156
        .size:           2
        .value_kind:     hidden_group_size_x
      - .offset:         158
        .size:           2
        .value_kind:     hidden_group_size_y
      - .offset:         160
        .size:           2
        .value_kind:     hidden_group_size_z
      - .offset:         162
        .size:           2
        .value_kind:     hidden_remainder_x
      - .offset:         164
        .size:           2
        .value_kind:     hidden_remainder_y
      - .offset:         166
        .size:           2
        .value_kind:     hidden_remainder_z
      - .offset:         184
        .size:           8
        .value_kind:     hidden_global_offset_x
      - .offset:         192
        .size:           8
        .value_kind:     hidden_global_offset_y
      - .offset:         200
        .size:           8
        .value_kind:     hidden_global_offset_z
      - .offset:         208
        .size:           2
        .value_kind:     hidden_grid_dims
    .group_segment_fixed_size: 17472
    .kernarg_segment_align: 8
    .kernarg_segment_size: 400
    .language:       OpenCL C
    .language_version:
      - 2
      - 0
    .max_flat_workgroup_size: 256
    .name:           _Z39paged_attention_ll4mi_QKV_mfma16_kernelI14__hip_bfloat16hLN4vllm18Fp8KVCacheDataTypeE1EhLi32ELi128ELi256ELb1ELi13EL8MFMAType0EEvPKT_PKT0_S9_ifPKiSB_SB_iPKfiiiPfSE_PS4_PT2_iSD_SD_
    .private_segment_fixed_size: 0
    .sgpr_count:     38
    .sgpr_spill_count: 0
    .symbol:         _Z39paged_attention_ll4mi_QKV_mfma16_kernelI14__hip_bfloat16hLN4vllm18Fp8KVCacheDataTypeE1EhLi32ELi128ELi256ELb1ELi13EL8MFMAType0EEvPKT_PKT0_S9_ifPKiSB_SB_iPKfiiiPfSE_PS4_PT2_iSD_SD_.kd
    .uniform_work_group_size: 1
    .uses_dynamic_stack: false
    .vgpr_count:     140
    .vgpr_spill_count: 0
    .wavefront_size: 32
    .workgroup_processor_mode: 1
  - .args:
      - .actual_access:  read_only
        .address_space:  global
        .offset:         0
        .size:           8
        .value_kind:     global_buffer
      - .actual_access:  read_only
        .address_space:  global
        .offset:         8
        .size:           8
        .value_kind:     global_buffer
      - .actual_access:  read_only
        .address_space:  global
        .offset:         16
        .size:           8
        .value_kind:     global_buffer
      - .offset:         24
        .size:           4
        .value_kind:     by_value
      - .offset:         28
        .size:           4
        .value_kind:     by_value
      - .actual_access:  read_only
        .address_space:  global
        .offset:         32
        .size:           8
        .value_kind:     global_buffer
      - .actual_access:  read_only
        .address_space:  global
        .offset:         40
        .size:           8
        .value_kind:     global_buffer
      - .actual_access:  read_only
        .address_space:  global
        .offset:         48
        .size:           8
        .value_kind:     global_buffer
      - .offset:         56
        .size:           4
        .value_kind:     by_value
      - .actual_access:  read_only
        .address_space:  global
        .offset:         64
        .size:           8
        .value_kind:     global_buffer
      - .offset:         72
        .size:           4
        .value_kind:     by_value
      - .offset:         76
        .size:           4
        .value_kind:     by_value
      - .offset:         80
        .size:           4
        .value_kind:     by_value
      - .actual_access:  write_only
        .address_space:  global
        .offset:         88
        .size:           8
        .value_kind:     global_buffer
      - .actual_access:  write_only
        .address_space:  global
        .offset:         96
        .size:           8
        .value_kind:     global_buffer
      - .actual_access:  write_only
        .address_space:  global
        .offset:         104
        .size:           8
        .value_kind:     global_buffer
      - .actual_access:  read_only
        .address_space:  global
        .offset:         112
        .size:           8
        .value_kind:     global_buffer
      - .offset:         120
        .size:           4
        .value_kind:     by_value
      - .address_space:  global
        .offset:         128
        .size:           8
        .value_kind:     global_buffer
      - .address_space:  global
        .offset:         136
        .size:           8
        .value_kind:     global_buffer
      - .offset:         144
        .size:           4
        .value_kind:     hidden_block_count_x
      - .offset:         148
        .size:           4
        .value_kind:     hidden_block_count_y
      - .offset:         152
        .size:           4
        .value_kind:     hidden_block_count_z
      - .offset:         156
        .size:           2
        .value_kind:     hidden_group_size_x
      - .offset:         158
        .size:           2
        .value_kind:     hidden_group_size_y
      - .offset:         160
        .size:           2
        .value_kind:     hidden_group_size_z
      - .offset:         162
        .size:           2
        .value_kind:     hidden_remainder_x
      - .offset:         164
        .size:           2
        .value_kind:     hidden_remainder_y
      - .offset:         166
        .size:           2
        .value_kind:     hidden_remainder_z
      - .offset:         184
        .size:           8
        .value_kind:     hidden_global_offset_x
      - .offset:         192
        .size:           8
        .value_kind:     hidden_global_offset_y
      - .offset:         200
        .size:           8
        .value_kind:     hidden_global_offset_z
      - .offset:         208
        .size:           2
        .value_kind:     hidden_grid_dims
    .group_segment_fixed_size: 17472
    .kernarg_segment_align: 8
    .kernarg_segment_size: 400
    .language:       OpenCL C
    .language_version:
      - 2
      - 0
    .max_flat_workgroup_size: 256
    .name:           _Z39paged_attention_ll4mi_QKV_mfma16_kernelI14__hip_bfloat16hLN4vllm18Fp8KVCacheDataTypeE1EhLi32ELi128ELi256ELb1ELi14EL8MFMAType0EEvPKT_PKT0_S9_ifPKiSB_SB_iPKfiiiPfSE_PS4_PT2_iSD_SD_
    .private_segment_fixed_size: 0
    .sgpr_count:     38
    .sgpr_spill_count: 0
    .symbol:         _Z39paged_attention_ll4mi_QKV_mfma16_kernelI14__hip_bfloat16hLN4vllm18Fp8KVCacheDataTypeE1EhLi32ELi128ELi256ELb1ELi14EL8MFMAType0EEvPKT_PKT0_S9_ifPKiSB_SB_iPKfiiiPfSE_PS4_PT2_iSD_SD_.kd
    .uniform_work_group_size: 1
    .uses_dynamic_stack: false
    .vgpr_count:     140
    .vgpr_spill_count: 0
    .wavefront_size: 32
    .workgroup_processor_mode: 1
  - .args:
      - .actual_access:  read_only
        .address_space:  global
        .offset:         0
        .size:           8
        .value_kind:     global_buffer
      - .actual_access:  read_only
        .address_space:  global
        .offset:         8
        .size:           8
        .value_kind:     global_buffer
      - .actual_access:  read_only
        .address_space:  global
        .offset:         16
        .size:           8
        .value_kind:     global_buffer
      - .offset:         24
        .size:           4
        .value_kind:     by_value
      - .offset:         28
        .size:           4
        .value_kind:     by_value
      - .actual_access:  read_only
        .address_space:  global
        .offset:         32
        .size:           8
        .value_kind:     global_buffer
      - .actual_access:  read_only
        .address_space:  global
        .offset:         40
        .size:           8
        .value_kind:     global_buffer
      - .actual_access:  read_only
        .address_space:  global
        .offset:         48
        .size:           8
        .value_kind:     global_buffer
      - .offset:         56
        .size:           4
        .value_kind:     by_value
      - .actual_access:  read_only
        .address_space:  global
        .offset:         64
        .size:           8
        .value_kind:     global_buffer
      - .offset:         72
        .size:           4
        .value_kind:     by_value
      - .offset:         76
        .size:           4
        .value_kind:     by_value
      - .offset:         80
        .size:           4
        .value_kind:     by_value
      - .actual_access:  write_only
        .address_space:  global
        .offset:         88
        .size:           8
        .value_kind:     global_buffer
      - .actual_access:  write_only
        .address_space:  global
        .offset:         96
        .size:           8
        .value_kind:     global_buffer
      - .actual_access:  write_only
        .address_space:  global
        .offset:         104
        .size:           8
        .value_kind:     global_buffer
      - .actual_access:  read_only
        .address_space:  global
        .offset:         112
        .size:           8
        .value_kind:     global_buffer
      - .offset:         120
        .size:           4
        .value_kind:     by_value
      - .address_space:  global
        .offset:         128
        .size:           8
        .value_kind:     global_buffer
      - .address_space:  global
        .offset:         136
        .size:           8
        .value_kind:     global_buffer
      - .offset:         144
        .size:           4
        .value_kind:     hidden_block_count_x
      - .offset:         148
        .size:           4
        .value_kind:     hidden_block_count_y
      - .offset:         152
        .size:           4
        .value_kind:     hidden_block_count_z
      - .offset:         156
        .size:           2
        .value_kind:     hidden_group_size_x
      - .offset:         158
        .size:           2
        .value_kind:     hidden_group_size_y
      - .offset:         160
        .size:           2
        .value_kind:     hidden_group_size_z
      - .offset:         162
        .size:           2
        .value_kind:     hidden_remainder_x
      - .offset:         164
        .size:           2
        .value_kind:     hidden_remainder_y
      - .offset:         166
        .size:           2
        .value_kind:     hidden_remainder_z
      - .offset:         184
        .size:           8
        .value_kind:     hidden_global_offset_x
      - .offset:         192
        .size:           8
        .value_kind:     hidden_global_offset_y
      - .offset:         200
        .size:           8
        .value_kind:     hidden_global_offset_z
      - .offset:         208
        .size:           2
        .value_kind:     hidden_grid_dims
    .group_segment_fixed_size: 17472
    .kernarg_segment_align: 8
    .kernarg_segment_size: 400
    .language:       OpenCL C
    .language_version:
      - 2
      - 0
    .max_flat_workgroup_size: 256
    .name:           _Z39paged_attention_ll4mi_QKV_mfma16_kernelI14__hip_bfloat16hLN4vllm18Fp8KVCacheDataTypeE1EhLi32ELi128ELi256ELb1ELi15EL8MFMAType0EEvPKT_PKT0_S9_ifPKiSB_SB_iPKfiiiPfSE_PS4_PT2_iSD_SD_
    .private_segment_fixed_size: 0
    .sgpr_count:     38
    .sgpr_spill_count: 0
    .symbol:         _Z39paged_attention_ll4mi_QKV_mfma16_kernelI14__hip_bfloat16hLN4vllm18Fp8KVCacheDataTypeE1EhLi32ELi128ELi256ELb1ELi15EL8MFMAType0EEvPKT_PKT0_S9_ifPKiSB_SB_iPKfiiiPfSE_PS4_PT2_iSD_SD_.kd
    .uniform_work_group_size: 1
    .uses_dynamic_stack: false
    .vgpr_count:     140
    .vgpr_spill_count: 0
    .wavefront_size: 32
    .workgroup_processor_mode: 1
  - .args:
      - .actual_access:  read_only
        .address_space:  global
        .offset:         0
        .size:           8
        .value_kind:     global_buffer
      - .actual_access:  read_only
        .address_space:  global
        .offset:         8
        .size:           8
        .value_kind:     global_buffer
      - .actual_access:  read_only
        .address_space:  global
        .offset:         16
        .size:           8
        .value_kind:     global_buffer
      - .offset:         24
        .size:           4
        .value_kind:     by_value
      - .offset:         28
        .size:           4
        .value_kind:     by_value
      - .actual_access:  read_only
        .address_space:  global
        .offset:         32
        .size:           8
        .value_kind:     global_buffer
      - .actual_access:  read_only
        .address_space:  global
        .offset:         40
        .size:           8
        .value_kind:     global_buffer
      - .actual_access:  read_only
        .address_space:  global
        .offset:         48
        .size:           8
        .value_kind:     global_buffer
      - .offset:         56
        .size:           4
        .value_kind:     by_value
      - .actual_access:  read_only
        .address_space:  global
        .offset:         64
        .size:           8
        .value_kind:     global_buffer
      - .offset:         72
        .size:           4
        .value_kind:     by_value
      - .offset:         76
        .size:           4
        .value_kind:     by_value
      - .offset:         80
        .size:           4
        .value_kind:     by_value
      - .actual_access:  write_only
        .address_space:  global
        .offset:         88
        .size:           8
        .value_kind:     global_buffer
      - .actual_access:  write_only
        .address_space:  global
        .offset:         96
        .size:           8
        .value_kind:     global_buffer
      - .actual_access:  write_only
        .address_space:  global
        .offset:         104
        .size:           8
        .value_kind:     global_buffer
      - .actual_access:  read_only
        .address_space:  global
        .offset:         112
        .size:           8
        .value_kind:     global_buffer
      - .offset:         120
        .size:           4
        .value_kind:     by_value
      - .address_space:  global
        .offset:         128
        .size:           8
        .value_kind:     global_buffer
      - .address_space:  global
        .offset:         136
        .size:           8
        .value_kind:     global_buffer
      - .offset:         144
        .size:           4
        .value_kind:     hidden_block_count_x
      - .offset:         148
        .size:           4
        .value_kind:     hidden_block_count_y
      - .offset:         152
        .size:           4
        .value_kind:     hidden_block_count_z
      - .offset:         156
        .size:           2
        .value_kind:     hidden_group_size_x
      - .offset:         158
        .size:           2
        .value_kind:     hidden_group_size_y
      - .offset:         160
        .size:           2
        .value_kind:     hidden_group_size_z
      - .offset:         162
        .size:           2
        .value_kind:     hidden_remainder_x
      - .offset:         164
        .size:           2
        .value_kind:     hidden_remainder_y
      - .offset:         166
        .size:           2
        .value_kind:     hidden_remainder_z
      - .offset:         184
        .size:           8
        .value_kind:     hidden_global_offset_x
      - .offset:         192
        .size:           8
        .value_kind:     hidden_global_offset_y
      - .offset:         200
        .size:           8
        .value_kind:     hidden_global_offset_z
      - .offset:         208
        .size:           2
        .value_kind:     hidden_grid_dims
    .group_segment_fixed_size: 17472
    .kernarg_segment_align: 8
    .kernarg_segment_size: 400
    .language:       OpenCL C
    .language_version:
      - 2
      - 0
    .max_flat_workgroup_size: 256
    .name:           _Z39paged_attention_ll4mi_QKV_mfma16_kernelI14__hip_bfloat16hLN4vllm18Fp8KVCacheDataTypeE1EhLi32ELi128ELi256ELb1ELi16EL8MFMAType0EEvPKT_PKT0_S9_ifPKiSB_SB_iPKfiiiPfSE_PS4_PT2_iSD_SD_
    .private_segment_fixed_size: 0
    .sgpr_count:     38
    .sgpr_spill_count: 0
    .symbol:         _Z39paged_attention_ll4mi_QKV_mfma16_kernelI14__hip_bfloat16hLN4vllm18Fp8KVCacheDataTypeE1EhLi32ELi128ELi256ELb1ELi16EL8MFMAType0EEvPKT_PKT0_S9_ifPKiSB_SB_iPKfiiiPfSE_PS4_PT2_iSD_SD_.kd
    .uniform_work_group_size: 1
    .uses_dynamic_stack: false
    .vgpr_count:     141
    .vgpr_spill_count: 0
    .wavefront_size: 32
    .workgroup_processor_mode: 1
  - .args:
      - .actual_access:  read_only
        .address_space:  global
        .offset:         0
        .size:           8
        .value_kind:     global_buffer
      - .actual_access:  read_only
        .address_space:  global
        .offset:         8
        .size:           8
        .value_kind:     global_buffer
      - .actual_access:  read_only
        .address_space:  global
        .offset:         16
        .size:           8
        .value_kind:     global_buffer
      - .offset:         24
        .size:           4
        .value_kind:     by_value
      - .offset:         28
        .size:           4
        .value_kind:     by_value
      - .actual_access:  read_only
        .address_space:  global
        .offset:         32
        .size:           8
        .value_kind:     global_buffer
      - .actual_access:  read_only
        .address_space:  global
        .offset:         40
        .size:           8
        .value_kind:     global_buffer
      - .actual_access:  read_only
        .address_space:  global
        .offset:         48
        .size:           8
        .value_kind:     global_buffer
      - .offset:         56
        .size:           4
        .value_kind:     by_value
      - .actual_access:  read_only
        .address_space:  global
        .offset:         64
        .size:           8
        .value_kind:     global_buffer
      - .offset:         72
        .size:           4
        .value_kind:     by_value
      - .offset:         76
        .size:           4
        .value_kind:     by_value
      - .offset:         80
        .size:           4
        .value_kind:     by_value
      - .actual_access:  write_only
        .address_space:  global
        .offset:         88
        .size:           8
        .value_kind:     global_buffer
      - .actual_access:  write_only
        .address_space:  global
        .offset:         96
        .size:           8
        .value_kind:     global_buffer
      - .actual_access:  write_only
        .address_space:  global
        .offset:         104
        .size:           8
        .value_kind:     global_buffer
      - .actual_access:  read_only
        .address_space:  global
        .offset:         112
        .size:           8
        .value_kind:     global_buffer
      - .offset:         120
        .size:           4
        .value_kind:     by_value
      - .address_space:  global
        .offset:         128
        .size:           8
        .value_kind:     global_buffer
      - .address_space:  global
        .offset:         136
        .size:           8
        .value_kind:     global_buffer
      - .offset:         144
        .size:           4
        .value_kind:     hidden_block_count_x
      - .offset:         148
        .size:           4
        .value_kind:     hidden_block_count_y
      - .offset:         152
        .size:           4
        .value_kind:     hidden_block_count_z
      - .offset:         156
        .size:           2
        .value_kind:     hidden_group_size_x
      - .offset:         158
        .size:           2
        .value_kind:     hidden_group_size_y
      - .offset:         160
        .size:           2
        .value_kind:     hidden_group_size_z
      - .offset:         162
        .size:           2
        .value_kind:     hidden_remainder_x
      - .offset:         164
        .size:           2
        .value_kind:     hidden_remainder_y
      - .offset:         166
        .size:           2
        .value_kind:     hidden_remainder_z
      - .offset:         184
        .size:           8
        .value_kind:     hidden_global_offset_x
      - .offset:         192
        .size:           8
        .value_kind:     hidden_global_offset_y
      - .offset:         200
        .size:           8
        .value_kind:     hidden_global_offset_z
      - .offset:         208
        .size:           2
        .value_kind:     hidden_grid_dims
    .group_segment_fixed_size: 17472
    .kernarg_segment_align: 8
    .kernarg_segment_size: 400
    .language:       OpenCL C
    .language_version:
      - 2
      - 0
    .max_flat_workgroup_size: 256
    .name:           _Z39paged_attention_ll4mi_QKV_mfma16_kernelI14__hip_bfloat16hLN4vllm18Fp8KVCacheDataTypeE1EhLi32ELi128ELi256ELb1ELi1EL8MFMAType0EEvPKT_PKT0_S9_ifPKiSB_SB_iPKfiiiPfSE_PS4_PT2_iSD_SD_
    .private_segment_fixed_size: 0
    .sgpr_count:     70
    .sgpr_spill_count: 0
    .symbol:         _Z39paged_attention_ll4mi_QKV_mfma16_kernelI14__hip_bfloat16hLN4vllm18Fp8KVCacheDataTypeE1EhLi32ELi128ELi256ELb1ELi1EL8MFMAType0EEvPKT_PKT0_S9_ifPKiSB_SB_iPKfiiiPfSE_PS4_PT2_iSD_SD_.kd
    .uniform_work_group_size: 1
    .uses_dynamic_stack: false
    .vgpr_count:     138
    .vgpr_spill_count: 0
    .wavefront_size: 32
    .workgroup_processor_mode: 1
  - .args:
      - .actual_access:  read_only
        .address_space:  global
        .offset:         0
        .size:           8
        .value_kind:     global_buffer
      - .actual_access:  read_only
        .address_space:  global
        .offset:         8
        .size:           8
        .value_kind:     global_buffer
      - .actual_access:  read_only
        .address_space:  global
        .offset:         16
        .size:           8
        .value_kind:     global_buffer
      - .offset:         24
        .size:           4
        .value_kind:     by_value
      - .offset:         28
        .size:           4
        .value_kind:     by_value
      - .actual_access:  read_only
        .address_space:  global
        .offset:         32
        .size:           8
        .value_kind:     global_buffer
      - .actual_access:  read_only
        .address_space:  global
        .offset:         40
        .size:           8
        .value_kind:     global_buffer
      - .actual_access:  read_only
        .address_space:  global
        .offset:         48
        .size:           8
        .value_kind:     global_buffer
      - .offset:         56
        .size:           4
        .value_kind:     by_value
      - .actual_access:  read_only
        .address_space:  global
        .offset:         64
        .size:           8
        .value_kind:     global_buffer
      - .offset:         72
        .size:           4
        .value_kind:     by_value
      - .offset:         76
        .size:           4
        .value_kind:     by_value
      - .offset:         80
        .size:           4
        .value_kind:     by_value
      - .actual_access:  write_only
        .address_space:  global
        .offset:         88
        .size:           8
        .value_kind:     global_buffer
      - .actual_access:  write_only
        .address_space:  global
        .offset:         96
        .size:           8
        .value_kind:     global_buffer
      - .actual_access:  write_only
        .address_space:  global
        .offset:         104
        .size:           8
        .value_kind:     global_buffer
      - .actual_access:  read_only
        .address_space:  global
        .offset:         112
        .size:           8
        .value_kind:     global_buffer
      - .offset:         120
        .size:           4
        .value_kind:     by_value
      - .address_space:  global
        .offset:         128
        .size:           8
        .value_kind:     global_buffer
      - .address_space:  global
        .offset:         136
        .size:           8
        .value_kind:     global_buffer
      - .offset:         144
        .size:           4
        .value_kind:     hidden_block_count_x
      - .offset:         148
        .size:           4
        .value_kind:     hidden_block_count_y
      - .offset:         152
        .size:           4
        .value_kind:     hidden_block_count_z
      - .offset:         156
        .size:           2
        .value_kind:     hidden_group_size_x
      - .offset:         158
        .size:           2
        .value_kind:     hidden_group_size_y
      - .offset:         160
        .size:           2
        .value_kind:     hidden_group_size_z
      - .offset:         162
        .size:           2
        .value_kind:     hidden_remainder_x
      - .offset:         164
        .size:           2
        .value_kind:     hidden_remainder_y
      - .offset:         166
        .size:           2
        .value_kind:     hidden_remainder_z
      - .offset:         184
        .size:           8
        .value_kind:     hidden_global_offset_x
      - .offset:         192
        .size:           8
        .value_kind:     hidden_global_offset_y
      - .offset:         200
        .size:           8
        .value_kind:     hidden_global_offset_z
      - .offset:         208
        .size:           2
        .value_kind:     hidden_grid_dims
    .group_segment_fixed_size: 17472
    .kernarg_segment_align: 8
    .kernarg_segment_size: 400
    .language:       OpenCL C
    .language_version:
      - 2
      - 0
    .max_flat_workgroup_size: 256
    .name:           _Z39paged_attention_ll4mi_QKV_mfma16_kernelI14__hip_bfloat16hLN4vllm18Fp8KVCacheDataTypeE1EhLi32ELi128ELi256ELb1ELi2EL8MFMAType0EEvPKT_PKT0_S9_ifPKiSB_SB_iPKfiiiPfSE_PS4_PT2_iSD_SD_
    .private_segment_fixed_size: 0
    .sgpr_count:     39
    .sgpr_spill_count: 0
    .symbol:         _Z39paged_attention_ll4mi_QKV_mfma16_kernelI14__hip_bfloat16hLN4vllm18Fp8KVCacheDataTypeE1EhLi32ELi128ELi256ELb1ELi2EL8MFMAType0EEvPKT_PKT0_S9_ifPKiSB_SB_iPKfiiiPfSE_PS4_PT2_iSD_SD_.kd
    .uniform_work_group_size: 1
    .uses_dynamic_stack: false
    .vgpr_count:     138
    .vgpr_spill_count: 0
    .wavefront_size: 32
    .workgroup_processor_mode: 1
  - .args:
      - .actual_access:  read_only
        .address_space:  global
        .offset:         0
        .size:           8
        .value_kind:     global_buffer
      - .actual_access:  read_only
        .address_space:  global
        .offset:         8
        .size:           8
        .value_kind:     global_buffer
      - .actual_access:  read_only
        .address_space:  global
        .offset:         16
        .size:           8
        .value_kind:     global_buffer
      - .offset:         24
        .size:           4
        .value_kind:     by_value
      - .offset:         28
        .size:           4
        .value_kind:     by_value
      - .actual_access:  read_only
        .address_space:  global
        .offset:         32
        .size:           8
        .value_kind:     global_buffer
      - .actual_access:  read_only
        .address_space:  global
        .offset:         40
        .size:           8
        .value_kind:     global_buffer
      - .actual_access:  read_only
        .address_space:  global
        .offset:         48
        .size:           8
        .value_kind:     global_buffer
      - .offset:         56
        .size:           4
        .value_kind:     by_value
      - .actual_access:  read_only
        .address_space:  global
        .offset:         64
        .size:           8
        .value_kind:     global_buffer
      - .offset:         72
        .size:           4
        .value_kind:     by_value
      - .offset:         76
        .size:           4
        .value_kind:     by_value
      - .offset:         80
        .size:           4
        .value_kind:     by_value
      - .actual_access:  write_only
        .address_space:  global
        .offset:         88
        .size:           8
        .value_kind:     global_buffer
      - .actual_access:  write_only
        .address_space:  global
        .offset:         96
        .size:           8
        .value_kind:     global_buffer
      - .actual_access:  write_only
        .address_space:  global
        .offset:         104
        .size:           8
        .value_kind:     global_buffer
      - .actual_access:  read_only
        .address_space:  global
        .offset:         112
        .size:           8
        .value_kind:     global_buffer
      - .offset:         120
        .size:           4
        .value_kind:     by_value
      - .address_space:  global
        .offset:         128
        .size:           8
        .value_kind:     global_buffer
      - .address_space:  global
        .offset:         136
        .size:           8
        .value_kind:     global_buffer
      - .offset:         144
        .size:           4
        .value_kind:     hidden_block_count_x
      - .offset:         148
        .size:           4
        .value_kind:     hidden_block_count_y
      - .offset:         152
        .size:           4
        .value_kind:     hidden_block_count_z
      - .offset:         156
        .size:           2
        .value_kind:     hidden_group_size_x
      - .offset:         158
        .size:           2
        .value_kind:     hidden_group_size_y
      - .offset:         160
        .size:           2
        .value_kind:     hidden_group_size_z
      - .offset:         162
        .size:           2
        .value_kind:     hidden_remainder_x
      - .offset:         164
        .size:           2
        .value_kind:     hidden_remainder_y
      - .offset:         166
        .size:           2
        .value_kind:     hidden_remainder_z
      - .offset:         184
        .size:           8
        .value_kind:     hidden_global_offset_x
      - .offset:         192
        .size:           8
        .value_kind:     hidden_global_offset_y
      - .offset:         200
        .size:           8
        .value_kind:     hidden_global_offset_z
      - .offset:         208
        .size:           2
        .value_kind:     hidden_grid_dims
    .group_segment_fixed_size: 17472
    .kernarg_segment_align: 8
    .kernarg_segment_size: 400
    .language:       OpenCL C
    .language_version:
      - 2
      - 0
    .max_flat_workgroup_size: 256
    .name:           _Z39paged_attention_ll4mi_QKV_mfma16_kernelI14__hip_bfloat16hLN4vllm18Fp8KVCacheDataTypeE1EhLi32ELi128ELi256ELb1ELi3EL8MFMAType0EEvPKT_PKT0_S9_ifPKiSB_SB_iPKfiiiPfSE_PS4_PT2_iSD_SD_
    .private_segment_fixed_size: 0
    .sgpr_count:     38
    .sgpr_spill_count: 0
    .symbol:         _Z39paged_attention_ll4mi_QKV_mfma16_kernelI14__hip_bfloat16hLN4vllm18Fp8KVCacheDataTypeE1EhLi32ELi128ELi256ELb1ELi3EL8MFMAType0EEvPKT_PKT0_S9_ifPKiSB_SB_iPKfiiiPfSE_PS4_PT2_iSD_SD_.kd
    .uniform_work_group_size: 1
    .uses_dynamic_stack: false
    .vgpr_count:     140
    .vgpr_spill_count: 0
    .wavefront_size: 32
    .workgroup_processor_mode: 1
  - .args:
      - .actual_access:  read_only
        .address_space:  global
        .offset:         0
        .size:           8
        .value_kind:     global_buffer
      - .actual_access:  read_only
        .address_space:  global
        .offset:         8
        .size:           8
        .value_kind:     global_buffer
      - .actual_access:  read_only
        .address_space:  global
        .offset:         16
        .size:           8
        .value_kind:     global_buffer
      - .offset:         24
        .size:           4
        .value_kind:     by_value
      - .offset:         28
        .size:           4
        .value_kind:     by_value
      - .actual_access:  read_only
        .address_space:  global
        .offset:         32
        .size:           8
        .value_kind:     global_buffer
      - .actual_access:  read_only
        .address_space:  global
        .offset:         40
        .size:           8
        .value_kind:     global_buffer
      - .actual_access:  read_only
        .address_space:  global
        .offset:         48
        .size:           8
        .value_kind:     global_buffer
      - .offset:         56
        .size:           4
        .value_kind:     by_value
      - .actual_access:  read_only
        .address_space:  global
        .offset:         64
        .size:           8
        .value_kind:     global_buffer
      - .offset:         72
        .size:           4
        .value_kind:     by_value
      - .offset:         76
        .size:           4
        .value_kind:     by_value
      - .offset:         80
        .size:           4
        .value_kind:     by_value
      - .actual_access:  write_only
        .address_space:  global
        .offset:         88
        .size:           8
        .value_kind:     global_buffer
      - .actual_access:  write_only
        .address_space:  global
        .offset:         96
        .size:           8
        .value_kind:     global_buffer
      - .actual_access:  write_only
        .address_space:  global
        .offset:         104
        .size:           8
        .value_kind:     global_buffer
      - .actual_access:  read_only
        .address_space:  global
        .offset:         112
        .size:           8
        .value_kind:     global_buffer
      - .offset:         120
        .size:           4
        .value_kind:     by_value
      - .address_space:  global
        .offset:         128
        .size:           8
        .value_kind:     global_buffer
      - .address_space:  global
        .offset:         136
        .size:           8
        .value_kind:     global_buffer
      - .offset:         144
        .size:           4
        .value_kind:     hidden_block_count_x
      - .offset:         148
        .size:           4
        .value_kind:     hidden_block_count_y
      - .offset:         152
        .size:           4
        .value_kind:     hidden_block_count_z
      - .offset:         156
        .size:           2
        .value_kind:     hidden_group_size_x
      - .offset:         158
        .size:           2
        .value_kind:     hidden_group_size_y
      - .offset:         160
        .size:           2
        .value_kind:     hidden_group_size_z
      - .offset:         162
        .size:           2
        .value_kind:     hidden_remainder_x
      - .offset:         164
        .size:           2
        .value_kind:     hidden_remainder_y
      - .offset:         166
        .size:           2
        .value_kind:     hidden_remainder_z
      - .offset:         184
        .size:           8
        .value_kind:     hidden_global_offset_x
      - .offset:         192
        .size:           8
        .value_kind:     hidden_global_offset_y
      - .offset:         200
        .size:           8
        .value_kind:     hidden_global_offset_z
      - .offset:         208
        .size:           2
        .value_kind:     hidden_grid_dims
    .group_segment_fixed_size: 17472
    .kernarg_segment_align: 8
    .kernarg_segment_size: 400
    .language:       OpenCL C
    .language_version:
      - 2
      - 0
    .max_flat_workgroup_size: 256
    .name:           _Z39paged_attention_ll4mi_QKV_mfma16_kernelI14__hip_bfloat16hLN4vllm18Fp8KVCacheDataTypeE1EhLi32ELi128ELi256ELb1ELi4EL8MFMAType0EEvPKT_PKT0_S9_ifPKiSB_SB_iPKfiiiPfSE_PS4_PT2_iSD_SD_
    .private_segment_fixed_size: 0
    .sgpr_count:     38
    .sgpr_spill_count: 0
    .symbol:         _Z39paged_attention_ll4mi_QKV_mfma16_kernelI14__hip_bfloat16hLN4vllm18Fp8KVCacheDataTypeE1EhLi32ELi128ELi256ELb1ELi4EL8MFMAType0EEvPKT_PKT0_S9_ifPKiSB_SB_iPKfiiiPfSE_PS4_PT2_iSD_SD_.kd
    .uniform_work_group_size: 1
    .uses_dynamic_stack: false
    .vgpr_count:     140
    .vgpr_spill_count: 0
    .wavefront_size: 32
    .workgroup_processor_mode: 1
  - .args:
      - .actual_access:  read_only
        .address_space:  global
        .offset:         0
        .size:           8
        .value_kind:     global_buffer
      - .actual_access:  read_only
        .address_space:  global
        .offset:         8
        .size:           8
        .value_kind:     global_buffer
      - .actual_access:  read_only
        .address_space:  global
        .offset:         16
        .size:           8
        .value_kind:     global_buffer
      - .offset:         24
        .size:           4
        .value_kind:     by_value
      - .offset:         28
        .size:           4
        .value_kind:     by_value
      - .actual_access:  read_only
        .address_space:  global
        .offset:         32
        .size:           8
        .value_kind:     global_buffer
      - .actual_access:  read_only
        .address_space:  global
        .offset:         40
        .size:           8
        .value_kind:     global_buffer
      - .actual_access:  read_only
        .address_space:  global
        .offset:         48
        .size:           8
        .value_kind:     global_buffer
      - .offset:         56
        .size:           4
        .value_kind:     by_value
      - .actual_access:  read_only
        .address_space:  global
        .offset:         64
        .size:           8
        .value_kind:     global_buffer
      - .offset:         72
        .size:           4
        .value_kind:     by_value
      - .offset:         76
        .size:           4
        .value_kind:     by_value
      - .offset:         80
        .size:           4
        .value_kind:     by_value
      - .actual_access:  write_only
        .address_space:  global
        .offset:         88
        .size:           8
        .value_kind:     global_buffer
      - .actual_access:  write_only
        .address_space:  global
        .offset:         96
        .size:           8
        .value_kind:     global_buffer
      - .actual_access:  write_only
        .address_space:  global
        .offset:         104
        .size:           8
        .value_kind:     global_buffer
      - .actual_access:  read_only
        .address_space:  global
        .offset:         112
        .size:           8
        .value_kind:     global_buffer
      - .offset:         120
        .size:           4
        .value_kind:     by_value
      - .address_space:  global
        .offset:         128
        .size:           8
        .value_kind:     global_buffer
      - .address_space:  global
        .offset:         136
        .size:           8
        .value_kind:     global_buffer
      - .offset:         144
        .size:           4
        .value_kind:     hidden_block_count_x
      - .offset:         148
        .size:           4
        .value_kind:     hidden_block_count_y
      - .offset:         152
        .size:           4
        .value_kind:     hidden_block_count_z
      - .offset:         156
        .size:           2
        .value_kind:     hidden_group_size_x
      - .offset:         158
        .size:           2
        .value_kind:     hidden_group_size_y
      - .offset:         160
        .size:           2
        .value_kind:     hidden_group_size_z
      - .offset:         162
        .size:           2
        .value_kind:     hidden_remainder_x
      - .offset:         164
        .size:           2
        .value_kind:     hidden_remainder_y
      - .offset:         166
        .size:           2
        .value_kind:     hidden_remainder_z
      - .offset:         184
        .size:           8
        .value_kind:     hidden_global_offset_x
      - .offset:         192
        .size:           8
        .value_kind:     hidden_global_offset_y
      - .offset:         200
        .size:           8
        .value_kind:     hidden_global_offset_z
      - .offset:         208
        .size:           2
        .value_kind:     hidden_grid_dims
    .group_segment_fixed_size: 17472
    .kernarg_segment_align: 8
    .kernarg_segment_size: 400
    .language:       OpenCL C
    .language_version:
      - 2
      - 0
    .max_flat_workgroup_size: 256
    .name:           _Z39paged_attention_ll4mi_QKV_mfma16_kernelI14__hip_bfloat16hLN4vllm18Fp8KVCacheDataTypeE1EhLi32ELi128ELi256ELb0ELi5EL8MFMAType0EEvPKT_PKT0_S9_ifPKiSB_SB_iPKfiiiPfSE_PS4_PT2_iSD_SD_
    .private_segment_fixed_size: 0
    .sgpr_count:     38
    .sgpr_spill_count: 0
    .symbol:         _Z39paged_attention_ll4mi_QKV_mfma16_kernelI14__hip_bfloat16hLN4vllm18Fp8KVCacheDataTypeE1EhLi32ELi128ELi256ELb0ELi5EL8MFMAType0EEvPKT_PKT0_S9_ifPKiSB_SB_iPKfiiiPfSE_PS4_PT2_iSD_SD_.kd
    .uniform_work_group_size: 1
    .uses_dynamic_stack: false
    .vgpr_count:     140
    .vgpr_spill_count: 0
    .wavefront_size: 32
    .workgroup_processor_mode: 1
  - .args:
      - .actual_access:  read_only
        .address_space:  global
        .offset:         0
        .size:           8
        .value_kind:     global_buffer
      - .actual_access:  read_only
        .address_space:  global
        .offset:         8
        .size:           8
        .value_kind:     global_buffer
      - .actual_access:  read_only
        .address_space:  global
        .offset:         16
        .size:           8
        .value_kind:     global_buffer
      - .offset:         24
        .size:           4
        .value_kind:     by_value
      - .offset:         28
        .size:           4
        .value_kind:     by_value
      - .actual_access:  read_only
        .address_space:  global
        .offset:         32
        .size:           8
        .value_kind:     global_buffer
      - .actual_access:  read_only
        .address_space:  global
        .offset:         40
        .size:           8
        .value_kind:     global_buffer
      - .actual_access:  read_only
        .address_space:  global
        .offset:         48
        .size:           8
        .value_kind:     global_buffer
      - .offset:         56
        .size:           4
        .value_kind:     by_value
      - .actual_access:  read_only
        .address_space:  global
        .offset:         64
        .size:           8
        .value_kind:     global_buffer
      - .offset:         72
        .size:           4
        .value_kind:     by_value
      - .offset:         76
        .size:           4
        .value_kind:     by_value
      - .offset:         80
        .size:           4
        .value_kind:     by_value
      - .actual_access:  write_only
        .address_space:  global
        .offset:         88
        .size:           8
        .value_kind:     global_buffer
      - .actual_access:  write_only
        .address_space:  global
        .offset:         96
        .size:           8
        .value_kind:     global_buffer
      - .actual_access:  write_only
        .address_space:  global
        .offset:         104
        .size:           8
        .value_kind:     global_buffer
      - .actual_access:  read_only
        .address_space:  global
        .offset:         112
        .size:           8
        .value_kind:     global_buffer
      - .offset:         120
        .size:           4
        .value_kind:     by_value
      - .address_space:  global
        .offset:         128
        .size:           8
        .value_kind:     global_buffer
      - .address_space:  global
        .offset:         136
        .size:           8
        .value_kind:     global_buffer
      - .offset:         144
        .size:           4
        .value_kind:     hidden_block_count_x
      - .offset:         148
        .size:           4
        .value_kind:     hidden_block_count_y
      - .offset:         152
        .size:           4
        .value_kind:     hidden_block_count_z
      - .offset:         156
        .size:           2
        .value_kind:     hidden_group_size_x
      - .offset:         158
        .size:           2
        .value_kind:     hidden_group_size_y
      - .offset:         160
        .size:           2
        .value_kind:     hidden_group_size_z
      - .offset:         162
        .size:           2
        .value_kind:     hidden_remainder_x
      - .offset:         164
        .size:           2
        .value_kind:     hidden_remainder_y
      - .offset:         166
        .size:           2
        .value_kind:     hidden_remainder_z
      - .offset:         184
        .size:           8
        .value_kind:     hidden_global_offset_x
      - .offset:         192
        .size:           8
        .value_kind:     hidden_global_offset_y
      - .offset:         200
        .size:           8
        .value_kind:     hidden_global_offset_z
      - .offset:         208
        .size:           2
        .value_kind:     hidden_grid_dims
    .group_segment_fixed_size: 17472
    .kernarg_segment_align: 8
    .kernarg_segment_size: 400
    .language:       OpenCL C
    .language_version:
      - 2
      - 0
    .max_flat_workgroup_size: 256
    .name:           _Z39paged_attention_ll4mi_QKV_mfma16_kernelI14__hip_bfloat16hLN4vllm18Fp8KVCacheDataTypeE1EhLi32ELi128ELi256ELb0ELi6EL8MFMAType0EEvPKT_PKT0_S9_ifPKiSB_SB_iPKfiiiPfSE_PS4_PT2_iSD_SD_
    .private_segment_fixed_size: 0
    .sgpr_count:     38
    .sgpr_spill_count: 0
    .symbol:         _Z39paged_attention_ll4mi_QKV_mfma16_kernelI14__hip_bfloat16hLN4vllm18Fp8KVCacheDataTypeE1EhLi32ELi128ELi256ELb0ELi6EL8MFMAType0EEvPKT_PKT0_S9_ifPKiSB_SB_iPKfiiiPfSE_PS4_PT2_iSD_SD_.kd
    .uniform_work_group_size: 1
    .uses_dynamic_stack: false
    .vgpr_count:     140
    .vgpr_spill_count: 0
    .wavefront_size: 32
    .workgroup_processor_mode: 1
  - .args:
      - .actual_access:  read_only
        .address_space:  global
        .offset:         0
        .size:           8
        .value_kind:     global_buffer
      - .actual_access:  read_only
        .address_space:  global
        .offset:         8
        .size:           8
        .value_kind:     global_buffer
      - .actual_access:  read_only
        .address_space:  global
        .offset:         16
        .size:           8
        .value_kind:     global_buffer
      - .offset:         24
        .size:           4
        .value_kind:     by_value
      - .offset:         28
        .size:           4
        .value_kind:     by_value
      - .actual_access:  read_only
        .address_space:  global
        .offset:         32
        .size:           8
        .value_kind:     global_buffer
      - .actual_access:  read_only
        .address_space:  global
        .offset:         40
        .size:           8
        .value_kind:     global_buffer
      - .actual_access:  read_only
        .address_space:  global
        .offset:         48
        .size:           8
        .value_kind:     global_buffer
      - .offset:         56
        .size:           4
        .value_kind:     by_value
      - .actual_access:  read_only
        .address_space:  global
        .offset:         64
        .size:           8
        .value_kind:     global_buffer
      - .offset:         72
        .size:           4
        .value_kind:     by_value
      - .offset:         76
        .size:           4
        .value_kind:     by_value
      - .offset:         80
        .size:           4
        .value_kind:     by_value
      - .actual_access:  write_only
        .address_space:  global
        .offset:         88
        .size:           8
        .value_kind:     global_buffer
      - .actual_access:  write_only
        .address_space:  global
        .offset:         96
        .size:           8
        .value_kind:     global_buffer
      - .actual_access:  write_only
        .address_space:  global
        .offset:         104
        .size:           8
        .value_kind:     global_buffer
      - .actual_access:  read_only
        .address_space:  global
        .offset:         112
        .size:           8
        .value_kind:     global_buffer
      - .offset:         120
        .size:           4
        .value_kind:     by_value
      - .address_space:  global
        .offset:         128
        .size:           8
        .value_kind:     global_buffer
      - .address_space:  global
        .offset:         136
        .size:           8
        .value_kind:     global_buffer
      - .offset:         144
        .size:           4
        .value_kind:     hidden_block_count_x
      - .offset:         148
        .size:           4
        .value_kind:     hidden_block_count_y
      - .offset:         152
        .size:           4
        .value_kind:     hidden_block_count_z
      - .offset:         156
        .size:           2
        .value_kind:     hidden_group_size_x
      - .offset:         158
        .size:           2
        .value_kind:     hidden_group_size_y
      - .offset:         160
        .size:           2
        .value_kind:     hidden_group_size_z
      - .offset:         162
        .size:           2
        .value_kind:     hidden_remainder_x
      - .offset:         164
        .size:           2
        .value_kind:     hidden_remainder_y
      - .offset:         166
        .size:           2
        .value_kind:     hidden_remainder_z
      - .offset:         184
        .size:           8
        .value_kind:     hidden_global_offset_x
      - .offset:         192
        .size:           8
        .value_kind:     hidden_global_offset_y
      - .offset:         200
        .size:           8
        .value_kind:     hidden_global_offset_z
      - .offset:         208
        .size:           2
        .value_kind:     hidden_grid_dims
    .group_segment_fixed_size: 17472
    .kernarg_segment_align: 8
    .kernarg_segment_size: 400
    .language:       OpenCL C
    .language_version:
      - 2
      - 0
    .max_flat_workgroup_size: 256
    .name:           _Z39paged_attention_ll4mi_QKV_mfma16_kernelI14__hip_bfloat16hLN4vllm18Fp8KVCacheDataTypeE1EhLi32ELi128ELi256ELb0ELi7EL8MFMAType0EEvPKT_PKT0_S9_ifPKiSB_SB_iPKfiiiPfSE_PS4_PT2_iSD_SD_
    .private_segment_fixed_size: 0
    .sgpr_count:     38
    .sgpr_spill_count: 0
    .symbol:         _Z39paged_attention_ll4mi_QKV_mfma16_kernelI14__hip_bfloat16hLN4vllm18Fp8KVCacheDataTypeE1EhLi32ELi128ELi256ELb0ELi7EL8MFMAType0EEvPKT_PKT0_S9_ifPKiSB_SB_iPKfiiiPfSE_PS4_PT2_iSD_SD_.kd
    .uniform_work_group_size: 1
    .uses_dynamic_stack: false
    .vgpr_count:     140
    .vgpr_spill_count: 0
    .wavefront_size: 32
    .workgroup_processor_mode: 1
  - .args:
      - .actual_access:  read_only
        .address_space:  global
        .offset:         0
        .size:           8
        .value_kind:     global_buffer
      - .actual_access:  read_only
        .address_space:  global
        .offset:         8
        .size:           8
        .value_kind:     global_buffer
      - .actual_access:  read_only
        .address_space:  global
        .offset:         16
        .size:           8
        .value_kind:     global_buffer
      - .offset:         24
        .size:           4
        .value_kind:     by_value
      - .offset:         28
        .size:           4
        .value_kind:     by_value
      - .actual_access:  read_only
        .address_space:  global
        .offset:         32
        .size:           8
        .value_kind:     global_buffer
      - .actual_access:  read_only
        .address_space:  global
        .offset:         40
        .size:           8
        .value_kind:     global_buffer
      - .actual_access:  read_only
        .address_space:  global
        .offset:         48
        .size:           8
        .value_kind:     global_buffer
      - .offset:         56
        .size:           4
        .value_kind:     by_value
      - .actual_access:  read_only
        .address_space:  global
        .offset:         64
        .size:           8
        .value_kind:     global_buffer
      - .offset:         72
        .size:           4
        .value_kind:     by_value
      - .offset:         76
        .size:           4
        .value_kind:     by_value
      - .offset:         80
        .size:           4
        .value_kind:     by_value
      - .actual_access:  write_only
        .address_space:  global
        .offset:         88
        .size:           8
        .value_kind:     global_buffer
      - .actual_access:  write_only
        .address_space:  global
        .offset:         96
        .size:           8
        .value_kind:     global_buffer
      - .actual_access:  write_only
        .address_space:  global
        .offset:         104
        .size:           8
        .value_kind:     global_buffer
      - .actual_access:  read_only
        .address_space:  global
        .offset:         112
        .size:           8
        .value_kind:     global_buffer
      - .offset:         120
        .size:           4
        .value_kind:     by_value
      - .address_space:  global
        .offset:         128
        .size:           8
        .value_kind:     global_buffer
      - .address_space:  global
        .offset:         136
        .size:           8
        .value_kind:     global_buffer
      - .offset:         144
        .size:           4
        .value_kind:     hidden_block_count_x
      - .offset:         148
        .size:           4
        .value_kind:     hidden_block_count_y
      - .offset:         152
        .size:           4
        .value_kind:     hidden_block_count_z
      - .offset:         156
        .size:           2
        .value_kind:     hidden_group_size_x
      - .offset:         158
        .size:           2
        .value_kind:     hidden_group_size_y
      - .offset:         160
        .size:           2
        .value_kind:     hidden_group_size_z
      - .offset:         162
        .size:           2
        .value_kind:     hidden_remainder_x
      - .offset:         164
        .size:           2
        .value_kind:     hidden_remainder_y
      - .offset:         166
        .size:           2
        .value_kind:     hidden_remainder_z
      - .offset:         184
        .size:           8
        .value_kind:     hidden_global_offset_x
      - .offset:         192
        .size:           8
        .value_kind:     hidden_global_offset_y
      - .offset:         200
        .size:           8
        .value_kind:     hidden_global_offset_z
      - .offset:         208
        .size:           2
        .value_kind:     hidden_grid_dims
    .group_segment_fixed_size: 17472
    .kernarg_segment_align: 8
    .kernarg_segment_size: 400
    .language:       OpenCL C
    .language_version:
      - 2
      - 0
    .max_flat_workgroup_size: 256
    .name:           _Z39paged_attention_ll4mi_QKV_mfma16_kernelI14__hip_bfloat16hLN4vllm18Fp8KVCacheDataTypeE1EhLi32ELi128ELi256ELb0ELi8EL8MFMAType0EEvPKT_PKT0_S9_ifPKiSB_SB_iPKfiiiPfSE_PS4_PT2_iSD_SD_
    .private_segment_fixed_size: 0
    .sgpr_count:     38
    .sgpr_spill_count: 0
    .symbol:         _Z39paged_attention_ll4mi_QKV_mfma16_kernelI14__hip_bfloat16hLN4vllm18Fp8KVCacheDataTypeE1EhLi32ELi128ELi256ELb0ELi8EL8MFMAType0EEvPKT_PKT0_S9_ifPKiSB_SB_iPKfiiiPfSE_PS4_PT2_iSD_SD_.kd
    .uniform_work_group_size: 1
    .uses_dynamic_stack: false
    .vgpr_count:     140
    .vgpr_spill_count: 0
    .wavefront_size: 32
    .workgroup_processor_mode: 1
  - .args:
      - .actual_access:  read_only
        .address_space:  global
        .offset:         0
        .size:           8
        .value_kind:     global_buffer
      - .actual_access:  read_only
        .address_space:  global
        .offset:         8
        .size:           8
        .value_kind:     global_buffer
      - .actual_access:  read_only
        .address_space:  global
        .offset:         16
        .size:           8
        .value_kind:     global_buffer
      - .offset:         24
        .size:           4
        .value_kind:     by_value
      - .offset:         28
        .size:           4
        .value_kind:     by_value
      - .actual_access:  read_only
        .address_space:  global
        .offset:         32
        .size:           8
        .value_kind:     global_buffer
      - .actual_access:  read_only
        .address_space:  global
        .offset:         40
        .size:           8
        .value_kind:     global_buffer
      - .actual_access:  read_only
        .address_space:  global
        .offset:         48
        .size:           8
        .value_kind:     global_buffer
      - .offset:         56
        .size:           4
        .value_kind:     by_value
      - .actual_access:  read_only
        .address_space:  global
        .offset:         64
        .size:           8
        .value_kind:     global_buffer
      - .offset:         72
        .size:           4
        .value_kind:     by_value
      - .offset:         76
        .size:           4
        .value_kind:     by_value
      - .offset:         80
        .size:           4
        .value_kind:     by_value
      - .actual_access:  write_only
        .address_space:  global
        .offset:         88
        .size:           8
        .value_kind:     global_buffer
      - .actual_access:  write_only
        .address_space:  global
        .offset:         96
        .size:           8
        .value_kind:     global_buffer
      - .actual_access:  write_only
        .address_space:  global
        .offset:         104
        .size:           8
        .value_kind:     global_buffer
      - .actual_access:  read_only
        .address_space:  global
        .offset:         112
        .size:           8
        .value_kind:     global_buffer
      - .offset:         120
        .size:           4
        .value_kind:     by_value
      - .address_space:  global
        .offset:         128
        .size:           8
        .value_kind:     global_buffer
      - .address_space:  global
        .offset:         136
        .size:           8
        .value_kind:     global_buffer
      - .offset:         144
        .size:           4
        .value_kind:     hidden_block_count_x
      - .offset:         148
        .size:           4
        .value_kind:     hidden_block_count_y
      - .offset:         152
        .size:           4
        .value_kind:     hidden_block_count_z
      - .offset:         156
        .size:           2
        .value_kind:     hidden_group_size_x
      - .offset:         158
        .size:           2
        .value_kind:     hidden_group_size_y
      - .offset:         160
        .size:           2
        .value_kind:     hidden_group_size_z
      - .offset:         162
        .size:           2
        .value_kind:     hidden_remainder_x
      - .offset:         164
        .size:           2
        .value_kind:     hidden_remainder_y
      - .offset:         166
        .size:           2
        .value_kind:     hidden_remainder_z
      - .offset:         184
        .size:           8
        .value_kind:     hidden_global_offset_x
      - .offset:         192
        .size:           8
        .value_kind:     hidden_global_offset_y
      - .offset:         200
        .size:           8
        .value_kind:     hidden_global_offset_z
      - .offset:         208
        .size:           2
        .value_kind:     hidden_grid_dims
    .group_segment_fixed_size: 17472
    .kernarg_segment_align: 8
    .kernarg_segment_size: 400
    .language:       OpenCL C
    .language_version:
      - 2
      - 0
    .max_flat_workgroup_size: 256
    .name:           _Z39paged_attention_ll4mi_QKV_mfma16_kernelI14__hip_bfloat16hLN4vllm18Fp8KVCacheDataTypeE1EhLi32ELi128ELi256ELb0ELi9EL8MFMAType0EEvPKT_PKT0_S9_ifPKiSB_SB_iPKfiiiPfSE_PS4_PT2_iSD_SD_
    .private_segment_fixed_size: 0
    .sgpr_count:     38
    .sgpr_spill_count: 0
    .symbol:         _Z39paged_attention_ll4mi_QKV_mfma16_kernelI14__hip_bfloat16hLN4vllm18Fp8KVCacheDataTypeE1EhLi32ELi128ELi256ELb0ELi9EL8MFMAType0EEvPKT_PKT0_S9_ifPKiSB_SB_iPKfiiiPfSE_PS4_PT2_iSD_SD_.kd
    .uniform_work_group_size: 1
    .uses_dynamic_stack: false
    .vgpr_count:     140
    .vgpr_spill_count: 0
    .wavefront_size: 32
    .workgroup_processor_mode: 1
  - .args:
      - .actual_access:  read_only
        .address_space:  global
        .offset:         0
        .size:           8
        .value_kind:     global_buffer
      - .actual_access:  read_only
        .address_space:  global
        .offset:         8
        .size:           8
        .value_kind:     global_buffer
      - .actual_access:  read_only
        .address_space:  global
        .offset:         16
        .size:           8
        .value_kind:     global_buffer
      - .offset:         24
        .size:           4
        .value_kind:     by_value
      - .offset:         28
        .size:           4
        .value_kind:     by_value
      - .actual_access:  read_only
        .address_space:  global
        .offset:         32
        .size:           8
        .value_kind:     global_buffer
      - .actual_access:  read_only
        .address_space:  global
        .offset:         40
        .size:           8
        .value_kind:     global_buffer
      - .actual_access:  read_only
        .address_space:  global
        .offset:         48
        .size:           8
        .value_kind:     global_buffer
      - .offset:         56
        .size:           4
        .value_kind:     by_value
      - .actual_access:  read_only
        .address_space:  global
        .offset:         64
        .size:           8
        .value_kind:     global_buffer
      - .offset:         72
        .size:           4
        .value_kind:     by_value
      - .offset:         76
        .size:           4
        .value_kind:     by_value
      - .offset:         80
        .size:           4
        .value_kind:     by_value
      - .actual_access:  write_only
        .address_space:  global
        .offset:         88
        .size:           8
        .value_kind:     global_buffer
      - .actual_access:  write_only
        .address_space:  global
        .offset:         96
        .size:           8
        .value_kind:     global_buffer
      - .actual_access:  write_only
        .address_space:  global
        .offset:         104
        .size:           8
        .value_kind:     global_buffer
      - .actual_access:  read_only
        .address_space:  global
        .offset:         112
        .size:           8
        .value_kind:     global_buffer
      - .offset:         120
        .size:           4
        .value_kind:     by_value
      - .address_space:  global
        .offset:         128
        .size:           8
        .value_kind:     global_buffer
      - .address_space:  global
        .offset:         136
        .size:           8
        .value_kind:     global_buffer
      - .offset:         144
        .size:           4
        .value_kind:     hidden_block_count_x
      - .offset:         148
        .size:           4
        .value_kind:     hidden_block_count_y
      - .offset:         152
        .size:           4
        .value_kind:     hidden_block_count_z
      - .offset:         156
        .size:           2
        .value_kind:     hidden_group_size_x
      - .offset:         158
        .size:           2
        .value_kind:     hidden_group_size_y
      - .offset:         160
        .size:           2
        .value_kind:     hidden_group_size_z
      - .offset:         162
        .size:           2
        .value_kind:     hidden_remainder_x
      - .offset:         164
        .size:           2
        .value_kind:     hidden_remainder_y
      - .offset:         166
        .size:           2
        .value_kind:     hidden_remainder_z
      - .offset:         184
        .size:           8
        .value_kind:     hidden_global_offset_x
      - .offset:         192
        .size:           8
        .value_kind:     hidden_global_offset_y
      - .offset:         200
        .size:           8
        .value_kind:     hidden_global_offset_z
      - .offset:         208
        .size:           2
        .value_kind:     hidden_grid_dims
    .group_segment_fixed_size: 17472
    .kernarg_segment_align: 8
    .kernarg_segment_size: 400
    .language:       OpenCL C
    .language_version:
      - 2
      - 0
    .max_flat_workgroup_size: 256
    .name:           _Z39paged_attention_ll4mi_QKV_mfma16_kernelI14__hip_bfloat16hLN4vllm18Fp8KVCacheDataTypeE1EhLi32ELi128ELi256ELb0ELi10EL8MFMAType0EEvPKT_PKT0_S9_ifPKiSB_SB_iPKfiiiPfSE_PS4_PT2_iSD_SD_
    .private_segment_fixed_size: 0
    .sgpr_count:     38
    .sgpr_spill_count: 0
    .symbol:         _Z39paged_attention_ll4mi_QKV_mfma16_kernelI14__hip_bfloat16hLN4vllm18Fp8KVCacheDataTypeE1EhLi32ELi128ELi256ELb0ELi10EL8MFMAType0EEvPKT_PKT0_S9_ifPKiSB_SB_iPKfiiiPfSE_PS4_PT2_iSD_SD_.kd
    .uniform_work_group_size: 1
    .uses_dynamic_stack: false
    .vgpr_count:     140
    .vgpr_spill_count: 0
    .wavefront_size: 32
    .workgroup_processor_mode: 1
  - .args:
      - .actual_access:  read_only
        .address_space:  global
        .offset:         0
        .size:           8
        .value_kind:     global_buffer
      - .actual_access:  read_only
        .address_space:  global
        .offset:         8
        .size:           8
        .value_kind:     global_buffer
      - .actual_access:  read_only
        .address_space:  global
        .offset:         16
        .size:           8
        .value_kind:     global_buffer
      - .offset:         24
        .size:           4
        .value_kind:     by_value
      - .offset:         28
        .size:           4
        .value_kind:     by_value
      - .actual_access:  read_only
        .address_space:  global
        .offset:         32
        .size:           8
        .value_kind:     global_buffer
      - .actual_access:  read_only
        .address_space:  global
        .offset:         40
        .size:           8
        .value_kind:     global_buffer
      - .actual_access:  read_only
        .address_space:  global
        .offset:         48
        .size:           8
        .value_kind:     global_buffer
      - .offset:         56
        .size:           4
        .value_kind:     by_value
      - .actual_access:  read_only
        .address_space:  global
        .offset:         64
        .size:           8
        .value_kind:     global_buffer
      - .offset:         72
        .size:           4
        .value_kind:     by_value
      - .offset:         76
        .size:           4
        .value_kind:     by_value
      - .offset:         80
        .size:           4
        .value_kind:     by_value
      - .actual_access:  write_only
        .address_space:  global
        .offset:         88
        .size:           8
        .value_kind:     global_buffer
      - .actual_access:  write_only
        .address_space:  global
        .offset:         96
        .size:           8
        .value_kind:     global_buffer
      - .actual_access:  write_only
        .address_space:  global
        .offset:         104
        .size:           8
        .value_kind:     global_buffer
      - .actual_access:  read_only
        .address_space:  global
        .offset:         112
        .size:           8
        .value_kind:     global_buffer
      - .offset:         120
        .size:           4
        .value_kind:     by_value
      - .address_space:  global
        .offset:         128
        .size:           8
        .value_kind:     global_buffer
      - .address_space:  global
        .offset:         136
        .size:           8
        .value_kind:     global_buffer
      - .offset:         144
        .size:           4
        .value_kind:     hidden_block_count_x
      - .offset:         148
        .size:           4
        .value_kind:     hidden_block_count_y
      - .offset:         152
        .size:           4
        .value_kind:     hidden_block_count_z
      - .offset:         156
        .size:           2
        .value_kind:     hidden_group_size_x
      - .offset:         158
        .size:           2
        .value_kind:     hidden_group_size_y
      - .offset:         160
        .size:           2
        .value_kind:     hidden_group_size_z
      - .offset:         162
        .size:           2
        .value_kind:     hidden_remainder_x
      - .offset:         164
        .size:           2
        .value_kind:     hidden_remainder_y
      - .offset:         166
        .size:           2
        .value_kind:     hidden_remainder_z
      - .offset:         184
        .size:           8
        .value_kind:     hidden_global_offset_x
      - .offset:         192
        .size:           8
        .value_kind:     hidden_global_offset_y
      - .offset:         200
        .size:           8
        .value_kind:     hidden_global_offset_z
      - .offset:         208
        .size:           2
        .value_kind:     hidden_grid_dims
    .group_segment_fixed_size: 17472
    .kernarg_segment_align: 8
    .kernarg_segment_size: 400
    .language:       OpenCL C
    .language_version:
      - 2
      - 0
    .max_flat_workgroup_size: 256
    .name:           _Z39paged_attention_ll4mi_QKV_mfma16_kernelI14__hip_bfloat16hLN4vllm18Fp8KVCacheDataTypeE1EhLi32ELi128ELi256ELb0ELi11EL8MFMAType0EEvPKT_PKT0_S9_ifPKiSB_SB_iPKfiiiPfSE_PS4_PT2_iSD_SD_
    .private_segment_fixed_size: 0
    .sgpr_count:     38
    .sgpr_spill_count: 0
    .symbol:         _Z39paged_attention_ll4mi_QKV_mfma16_kernelI14__hip_bfloat16hLN4vllm18Fp8KVCacheDataTypeE1EhLi32ELi128ELi256ELb0ELi11EL8MFMAType0EEvPKT_PKT0_S9_ifPKiSB_SB_iPKfiiiPfSE_PS4_PT2_iSD_SD_.kd
    .uniform_work_group_size: 1
    .uses_dynamic_stack: false
    .vgpr_count:     140
    .vgpr_spill_count: 0
    .wavefront_size: 32
    .workgroup_processor_mode: 1
  - .args:
      - .actual_access:  read_only
        .address_space:  global
        .offset:         0
        .size:           8
        .value_kind:     global_buffer
      - .actual_access:  read_only
        .address_space:  global
        .offset:         8
        .size:           8
        .value_kind:     global_buffer
      - .actual_access:  read_only
        .address_space:  global
        .offset:         16
        .size:           8
        .value_kind:     global_buffer
      - .offset:         24
        .size:           4
        .value_kind:     by_value
      - .offset:         28
        .size:           4
        .value_kind:     by_value
      - .actual_access:  read_only
        .address_space:  global
        .offset:         32
        .size:           8
        .value_kind:     global_buffer
      - .actual_access:  read_only
        .address_space:  global
        .offset:         40
        .size:           8
        .value_kind:     global_buffer
      - .actual_access:  read_only
        .address_space:  global
        .offset:         48
        .size:           8
        .value_kind:     global_buffer
      - .offset:         56
        .size:           4
        .value_kind:     by_value
      - .actual_access:  read_only
        .address_space:  global
        .offset:         64
        .size:           8
        .value_kind:     global_buffer
      - .offset:         72
        .size:           4
        .value_kind:     by_value
      - .offset:         76
        .size:           4
        .value_kind:     by_value
      - .offset:         80
        .size:           4
        .value_kind:     by_value
      - .actual_access:  write_only
        .address_space:  global
        .offset:         88
        .size:           8
        .value_kind:     global_buffer
      - .actual_access:  write_only
        .address_space:  global
        .offset:         96
        .size:           8
        .value_kind:     global_buffer
      - .actual_access:  write_only
        .address_space:  global
        .offset:         104
        .size:           8
        .value_kind:     global_buffer
      - .actual_access:  read_only
        .address_space:  global
        .offset:         112
        .size:           8
        .value_kind:     global_buffer
      - .offset:         120
        .size:           4
        .value_kind:     by_value
      - .address_space:  global
        .offset:         128
        .size:           8
        .value_kind:     global_buffer
      - .address_space:  global
        .offset:         136
        .size:           8
        .value_kind:     global_buffer
      - .offset:         144
        .size:           4
        .value_kind:     hidden_block_count_x
      - .offset:         148
        .size:           4
        .value_kind:     hidden_block_count_y
      - .offset:         152
        .size:           4
        .value_kind:     hidden_block_count_z
      - .offset:         156
        .size:           2
        .value_kind:     hidden_group_size_x
      - .offset:         158
        .size:           2
        .value_kind:     hidden_group_size_y
      - .offset:         160
        .size:           2
        .value_kind:     hidden_group_size_z
      - .offset:         162
        .size:           2
        .value_kind:     hidden_remainder_x
      - .offset:         164
        .size:           2
        .value_kind:     hidden_remainder_y
      - .offset:         166
        .size:           2
        .value_kind:     hidden_remainder_z
      - .offset:         184
        .size:           8
        .value_kind:     hidden_global_offset_x
      - .offset:         192
        .size:           8
        .value_kind:     hidden_global_offset_y
      - .offset:         200
        .size:           8
        .value_kind:     hidden_global_offset_z
      - .offset:         208
        .size:           2
        .value_kind:     hidden_grid_dims
    .group_segment_fixed_size: 17472
    .kernarg_segment_align: 8
    .kernarg_segment_size: 400
    .language:       OpenCL C
    .language_version:
      - 2
      - 0
    .max_flat_workgroup_size: 256
    .name:           _Z39paged_attention_ll4mi_QKV_mfma16_kernelI14__hip_bfloat16hLN4vllm18Fp8KVCacheDataTypeE1EhLi32ELi128ELi256ELb0ELi12EL8MFMAType0EEvPKT_PKT0_S9_ifPKiSB_SB_iPKfiiiPfSE_PS4_PT2_iSD_SD_
    .private_segment_fixed_size: 0
    .sgpr_count:     38
    .sgpr_spill_count: 0
    .symbol:         _Z39paged_attention_ll4mi_QKV_mfma16_kernelI14__hip_bfloat16hLN4vllm18Fp8KVCacheDataTypeE1EhLi32ELi128ELi256ELb0ELi12EL8MFMAType0EEvPKT_PKT0_S9_ifPKiSB_SB_iPKfiiiPfSE_PS4_PT2_iSD_SD_.kd
    .uniform_work_group_size: 1
    .uses_dynamic_stack: false
    .vgpr_count:     140
    .vgpr_spill_count: 0
    .wavefront_size: 32
    .workgroup_processor_mode: 1
  - .args:
      - .actual_access:  read_only
        .address_space:  global
        .offset:         0
        .size:           8
        .value_kind:     global_buffer
      - .actual_access:  read_only
        .address_space:  global
        .offset:         8
        .size:           8
        .value_kind:     global_buffer
      - .actual_access:  read_only
        .address_space:  global
        .offset:         16
        .size:           8
        .value_kind:     global_buffer
      - .offset:         24
        .size:           4
        .value_kind:     by_value
      - .offset:         28
        .size:           4
        .value_kind:     by_value
      - .actual_access:  read_only
        .address_space:  global
        .offset:         32
        .size:           8
        .value_kind:     global_buffer
      - .actual_access:  read_only
        .address_space:  global
        .offset:         40
        .size:           8
        .value_kind:     global_buffer
      - .actual_access:  read_only
        .address_space:  global
        .offset:         48
        .size:           8
        .value_kind:     global_buffer
      - .offset:         56
        .size:           4
        .value_kind:     by_value
      - .actual_access:  read_only
        .address_space:  global
        .offset:         64
        .size:           8
        .value_kind:     global_buffer
      - .offset:         72
        .size:           4
        .value_kind:     by_value
      - .offset:         76
        .size:           4
        .value_kind:     by_value
      - .offset:         80
        .size:           4
        .value_kind:     by_value
      - .actual_access:  write_only
        .address_space:  global
        .offset:         88
        .size:           8
        .value_kind:     global_buffer
      - .actual_access:  write_only
        .address_space:  global
        .offset:         96
        .size:           8
        .value_kind:     global_buffer
      - .actual_access:  write_only
        .address_space:  global
        .offset:         104
        .size:           8
        .value_kind:     global_buffer
      - .actual_access:  read_only
        .address_space:  global
        .offset:         112
        .size:           8
        .value_kind:     global_buffer
      - .offset:         120
        .size:           4
        .value_kind:     by_value
      - .address_space:  global
        .offset:         128
        .size:           8
        .value_kind:     global_buffer
      - .address_space:  global
        .offset:         136
        .size:           8
        .value_kind:     global_buffer
      - .offset:         144
        .size:           4
        .value_kind:     hidden_block_count_x
      - .offset:         148
        .size:           4
        .value_kind:     hidden_block_count_y
      - .offset:         152
        .size:           4
        .value_kind:     hidden_block_count_z
      - .offset:         156
        .size:           2
        .value_kind:     hidden_group_size_x
      - .offset:         158
        .size:           2
        .value_kind:     hidden_group_size_y
      - .offset:         160
        .size:           2
        .value_kind:     hidden_group_size_z
      - .offset:         162
        .size:           2
        .value_kind:     hidden_remainder_x
      - .offset:         164
        .size:           2
        .value_kind:     hidden_remainder_y
      - .offset:         166
        .size:           2
        .value_kind:     hidden_remainder_z
      - .offset:         184
        .size:           8
        .value_kind:     hidden_global_offset_x
      - .offset:         192
        .size:           8
        .value_kind:     hidden_global_offset_y
      - .offset:         200
        .size:           8
        .value_kind:     hidden_global_offset_z
      - .offset:         208
        .size:           2
        .value_kind:     hidden_grid_dims
    .group_segment_fixed_size: 17472
    .kernarg_segment_align: 8
    .kernarg_segment_size: 400
    .language:       OpenCL C
    .language_version:
      - 2
      - 0
    .max_flat_workgroup_size: 256
    .name:           _Z39paged_attention_ll4mi_QKV_mfma16_kernelI14__hip_bfloat16hLN4vllm18Fp8KVCacheDataTypeE1EhLi32ELi128ELi256ELb0ELi13EL8MFMAType0EEvPKT_PKT0_S9_ifPKiSB_SB_iPKfiiiPfSE_PS4_PT2_iSD_SD_
    .private_segment_fixed_size: 0
    .sgpr_count:     38
    .sgpr_spill_count: 0
    .symbol:         _Z39paged_attention_ll4mi_QKV_mfma16_kernelI14__hip_bfloat16hLN4vllm18Fp8KVCacheDataTypeE1EhLi32ELi128ELi256ELb0ELi13EL8MFMAType0EEvPKT_PKT0_S9_ifPKiSB_SB_iPKfiiiPfSE_PS4_PT2_iSD_SD_.kd
    .uniform_work_group_size: 1
    .uses_dynamic_stack: false
    .vgpr_count:     140
    .vgpr_spill_count: 0
    .wavefront_size: 32
    .workgroup_processor_mode: 1
  - .args:
      - .actual_access:  read_only
        .address_space:  global
        .offset:         0
        .size:           8
        .value_kind:     global_buffer
      - .actual_access:  read_only
        .address_space:  global
        .offset:         8
        .size:           8
        .value_kind:     global_buffer
      - .actual_access:  read_only
        .address_space:  global
        .offset:         16
        .size:           8
        .value_kind:     global_buffer
      - .offset:         24
        .size:           4
        .value_kind:     by_value
      - .offset:         28
        .size:           4
        .value_kind:     by_value
      - .actual_access:  read_only
        .address_space:  global
        .offset:         32
        .size:           8
        .value_kind:     global_buffer
      - .actual_access:  read_only
        .address_space:  global
        .offset:         40
        .size:           8
        .value_kind:     global_buffer
      - .actual_access:  read_only
        .address_space:  global
        .offset:         48
        .size:           8
        .value_kind:     global_buffer
      - .offset:         56
        .size:           4
        .value_kind:     by_value
      - .actual_access:  read_only
        .address_space:  global
        .offset:         64
        .size:           8
        .value_kind:     global_buffer
      - .offset:         72
        .size:           4
        .value_kind:     by_value
      - .offset:         76
        .size:           4
        .value_kind:     by_value
      - .offset:         80
        .size:           4
        .value_kind:     by_value
      - .actual_access:  write_only
        .address_space:  global
        .offset:         88
        .size:           8
        .value_kind:     global_buffer
      - .actual_access:  write_only
        .address_space:  global
        .offset:         96
        .size:           8
        .value_kind:     global_buffer
      - .actual_access:  write_only
        .address_space:  global
        .offset:         104
        .size:           8
        .value_kind:     global_buffer
      - .actual_access:  read_only
        .address_space:  global
        .offset:         112
        .size:           8
        .value_kind:     global_buffer
      - .offset:         120
        .size:           4
        .value_kind:     by_value
      - .address_space:  global
        .offset:         128
        .size:           8
        .value_kind:     global_buffer
      - .address_space:  global
        .offset:         136
        .size:           8
        .value_kind:     global_buffer
      - .offset:         144
        .size:           4
        .value_kind:     hidden_block_count_x
      - .offset:         148
        .size:           4
        .value_kind:     hidden_block_count_y
      - .offset:         152
        .size:           4
        .value_kind:     hidden_block_count_z
      - .offset:         156
        .size:           2
        .value_kind:     hidden_group_size_x
      - .offset:         158
        .size:           2
        .value_kind:     hidden_group_size_y
      - .offset:         160
        .size:           2
        .value_kind:     hidden_group_size_z
      - .offset:         162
        .size:           2
        .value_kind:     hidden_remainder_x
      - .offset:         164
        .size:           2
        .value_kind:     hidden_remainder_y
      - .offset:         166
        .size:           2
        .value_kind:     hidden_remainder_z
      - .offset:         184
        .size:           8
        .value_kind:     hidden_global_offset_x
      - .offset:         192
        .size:           8
        .value_kind:     hidden_global_offset_y
      - .offset:         200
        .size:           8
        .value_kind:     hidden_global_offset_z
      - .offset:         208
        .size:           2
        .value_kind:     hidden_grid_dims
    .group_segment_fixed_size: 17472
    .kernarg_segment_align: 8
    .kernarg_segment_size: 400
    .language:       OpenCL C
    .language_version:
      - 2
      - 0
    .max_flat_workgroup_size: 256
    .name:           _Z39paged_attention_ll4mi_QKV_mfma16_kernelI14__hip_bfloat16hLN4vllm18Fp8KVCacheDataTypeE1EhLi32ELi128ELi256ELb0ELi14EL8MFMAType0EEvPKT_PKT0_S9_ifPKiSB_SB_iPKfiiiPfSE_PS4_PT2_iSD_SD_
    .private_segment_fixed_size: 0
    .sgpr_count:     38
    .sgpr_spill_count: 0
    .symbol:         _Z39paged_attention_ll4mi_QKV_mfma16_kernelI14__hip_bfloat16hLN4vllm18Fp8KVCacheDataTypeE1EhLi32ELi128ELi256ELb0ELi14EL8MFMAType0EEvPKT_PKT0_S9_ifPKiSB_SB_iPKfiiiPfSE_PS4_PT2_iSD_SD_.kd
    .uniform_work_group_size: 1
    .uses_dynamic_stack: false
    .vgpr_count:     140
    .vgpr_spill_count: 0
    .wavefront_size: 32
    .workgroup_processor_mode: 1
  - .args:
      - .actual_access:  read_only
        .address_space:  global
        .offset:         0
        .size:           8
        .value_kind:     global_buffer
      - .actual_access:  read_only
        .address_space:  global
        .offset:         8
        .size:           8
        .value_kind:     global_buffer
      - .actual_access:  read_only
        .address_space:  global
        .offset:         16
        .size:           8
        .value_kind:     global_buffer
      - .offset:         24
        .size:           4
        .value_kind:     by_value
      - .offset:         28
        .size:           4
        .value_kind:     by_value
      - .actual_access:  read_only
        .address_space:  global
        .offset:         32
        .size:           8
        .value_kind:     global_buffer
      - .actual_access:  read_only
        .address_space:  global
        .offset:         40
        .size:           8
        .value_kind:     global_buffer
      - .actual_access:  read_only
        .address_space:  global
        .offset:         48
        .size:           8
        .value_kind:     global_buffer
      - .offset:         56
        .size:           4
        .value_kind:     by_value
      - .actual_access:  read_only
        .address_space:  global
        .offset:         64
        .size:           8
        .value_kind:     global_buffer
      - .offset:         72
        .size:           4
        .value_kind:     by_value
      - .offset:         76
        .size:           4
        .value_kind:     by_value
      - .offset:         80
        .size:           4
        .value_kind:     by_value
      - .actual_access:  write_only
        .address_space:  global
        .offset:         88
        .size:           8
        .value_kind:     global_buffer
      - .actual_access:  write_only
        .address_space:  global
        .offset:         96
        .size:           8
        .value_kind:     global_buffer
      - .actual_access:  write_only
        .address_space:  global
        .offset:         104
        .size:           8
        .value_kind:     global_buffer
      - .actual_access:  read_only
        .address_space:  global
        .offset:         112
        .size:           8
        .value_kind:     global_buffer
      - .offset:         120
        .size:           4
        .value_kind:     by_value
      - .address_space:  global
        .offset:         128
        .size:           8
        .value_kind:     global_buffer
      - .address_space:  global
        .offset:         136
        .size:           8
        .value_kind:     global_buffer
      - .offset:         144
        .size:           4
        .value_kind:     hidden_block_count_x
      - .offset:         148
        .size:           4
        .value_kind:     hidden_block_count_y
      - .offset:         152
        .size:           4
        .value_kind:     hidden_block_count_z
      - .offset:         156
        .size:           2
        .value_kind:     hidden_group_size_x
      - .offset:         158
        .size:           2
        .value_kind:     hidden_group_size_y
      - .offset:         160
        .size:           2
        .value_kind:     hidden_group_size_z
      - .offset:         162
        .size:           2
        .value_kind:     hidden_remainder_x
      - .offset:         164
        .size:           2
        .value_kind:     hidden_remainder_y
      - .offset:         166
        .size:           2
        .value_kind:     hidden_remainder_z
      - .offset:         184
        .size:           8
        .value_kind:     hidden_global_offset_x
      - .offset:         192
        .size:           8
        .value_kind:     hidden_global_offset_y
      - .offset:         200
        .size:           8
        .value_kind:     hidden_global_offset_z
      - .offset:         208
        .size:           2
        .value_kind:     hidden_grid_dims
    .group_segment_fixed_size: 17472
    .kernarg_segment_align: 8
    .kernarg_segment_size: 400
    .language:       OpenCL C
    .language_version:
      - 2
      - 0
    .max_flat_workgroup_size: 256
    .name:           _Z39paged_attention_ll4mi_QKV_mfma16_kernelI14__hip_bfloat16hLN4vllm18Fp8KVCacheDataTypeE1EhLi32ELi128ELi256ELb0ELi15EL8MFMAType0EEvPKT_PKT0_S9_ifPKiSB_SB_iPKfiiiPfSE_PS4_PT2_iSD_SD_
    .private_segment_fixed_size: 0
    .sgpr_count:     38
    .sgpr_spill_count: 0
    .symbol:         _Z39paged_attention_ll4mi_QKV_mfma16_kernelI14__hip_bfloat16hLN4vllm18Fp8KVCacheDataTypeE1EhLi32ELi128ELi256ELb0ELi15EL8MFMAType0EEvPKT_PKT0_S9_ifPKiSB_SB_iPKfiiiPfSE_PS4_PT2_iSD_SD_.kd
    .uniform_work_group_size: 1
    .uses_dynamic_stack: false
    .vgpr_count:     140
    .vgpr_spill_count: 0
    .wavefront_size: 32
    .workgroup_processor_mode: 1
  - .args:
      - .actual_access:  read_only
        .address_space:  global
        .offset:         0
        .size:           8
        .value_kind:     global_buffer
      - .actual_access:  read_only
        .address_space:  global
        .offset:         8
        .size:           8
        .value_kind:     global_buffer
      - .actual_access:  read_only
        .address_space:  global
        .offset:         16
        .size:           8
        .value_kind:     global_buffer
      - .offset:         24
        .size:           4
        .value_kind:     by_value
      - .offset:         28
        .size:           4
        .value_kind:     by_value
      - .actual_access:  read_only
        .address_space:  global
        .offset:         32
        .size:           8
        .value_kind:     global_buffer
      - .actual_access:  read_only
        .address_space:  global
        .offset:         40
        .size:           8
        .value_kind:     global_buffer
      - .actual_access:  read_only
        .address_space:  global
        .offset:         48
        .size:           8
        .value_kind:     global_buffer
      - .offset:         56
        .size:           4
        .value_kind:     by_value
      - .actual_access:  read_only
        .address_space:  global
        .offset:         64
        .size:           8
        .value_kind:     global_buffer
      - .offset:         72
        .size:           4
        .value_kind:     by_value
      - .offset:         76
        .size:           4
        .value_kind:     by_value
      - .offset:         80
        .size:           4
        .value_kind:     by_value
      - .actual_access:  write_only
        .address_space:  global
        .offset:         88
        .size:           8
        .value_kind:     global_buffer
      - .actual_access:  write_only
        .address_space:  global
        .offset:         96
        .size:           8
        .value_kind:     global_buffer
      - .actual_access:  write_only
        .address_space:  global
        .offset:         104
        .size:           8
        .value_kind:     global_buffer
      - .actual_access:  read_only
        .address_space:  global
        .offset:         112
        .size:           8
        .value_kind:     global_buffer
      - .offset:         120
        .size:           4
        .value_kind:     by_value
      - .address_space:  global
        .offset:         128
        .size:           8
        .value_kind:     global_buffer
      - .address_space:  global
        .offset:         136
        .size:           8
        .value_kind:     global_buffer
      - .offset:         144
        .size:           4
        .value_kind:     hidden_block_count_x
      - .offset:         148
        .size:           4
        .value_kind:     hidden_block_count_y
      - .offset:         152
        .size:           4
        .value_kind:     hidden_block_count_z
      - .offset:         156
        .size:           2
        .value_kind:     hidden_group_size_x
      - .offset:         158
        .size:           2
        .value_kind:     hidden_group_size_y
      - .offset:         160
        .size:           2
        .value_kind:     hidden_group_size_z
      - .offset:         162
        .size:           2
        .value_kind:     hidden_remainder_x
      - .offset:         164
        .size:           2
        .value_kind:     hidden_remainder_y
      - .offset:         166
        .size:           2
        .value_kind:     hidden_remainder_z
      - .offset:         184
        .size:           8
        .value_kind:     hidden_global_offset_x
      - .offset:         192
        .size:           8
        .value_kind:     hidden_global_offset_y
      - .offset:         200
        .size:           8
        .value_kind:     hidden_global_offset_z
      - .offset:         208
        .size:           2
        .value_kind:     hidden_grid_dims
    .group_segment_fixed_size: 17472
    .kernarg_segment_align: 8
    .kernarg_segment_size: 400
    .language:       OpenCL C
    .language_version:
      - 2
      - 0
    .max_flat_workgroup_size: 256
    .name:           _Z39paged_attention_ll4mi_QKV_mfma16_kernelI14__hip_bfloat16hLN4vllm18Fp8KVCacheDataTypeE1EhLi32ELi128ELi256ELb0ELi16EL8MFMAType0EEvPKT_PKT0_S9_ifPKiSB_SB_iPKfiiiPfSE_PS4_PT2_iSD_SD_
    .private_segment_fixed_size: 0
    .sgpr_count:     38
    .sgpr_spill_count: 0
    .symbol:         _Z39paged_attention_ll4mi_QKV_mfma16_kernelI14__hip_bfloat16hLN4vllm18Fp8KVCacheDataTypeE1EhLi32ELi128ELi256ELb0ELi16EL8MFMAType0EEvPKT_PKT0_S9_ifPKiSB_SB_iPKfiiiPfSE_PS4_PT2_iSD_SD_.kd
    .uniform_work_group_size: 1
    .uses_dynamic_stack: false
    .vgpr_count:     141
    .vgpr_spill_count: 0
    .wavefront_size: 32
    .workgroup_processor_mode: 1
  - .args:
      - .actual_access:  read_only
        .address_space:  global
        .offset:         0
        .size:           8
        .value_kind:     global_buffer
      - .actual_access:  read_only
        .address_space:  global
        .offset:         8
        .size:           8
        .value_kind:     global_buffer
      - .actual_access:  read_only
        .address_space:  global
        .offset:         16
        .size:           8
        .value_kind:     global_buffer
      - .offset:         24
        .size:           4
        .value_kind:     by_value
      - .offset:         28
        .size:           4
        .value_kind:     by_value
      - .actual_access:  read_only
        .address_space:  global
        .offset:         32
        .size:           8
        .value_kind:     global_buffer
      - .actual_access:  read_only
        .address_space:  global
        .offset:         40
        .size:           8
        .value_kind:     global_buffer
      - .actual_access:  read_only
        .address_space:  global
        .offset:         48
        .size:           8
        .value_kind:     global_buffer
      - .offset:         56
        .size:           4
        .value_kind:     by_value
      - .actual_access:  read_only
        .address_space:  global
        .offset:         64
        .size:           8
        .value_kind:     global_buffer
      - .offset:         72
        .size:           4
        .value_kind:     by_value
      - .offset:         76
        .size:           4
        .value_kind:     by_value
      - .offset:         80
        .size:           4
        .value_kind:     by_value
      - .actual_access:  write_only
        .address_space:  global
        .offset:         88
        .size:           8
        .value_kind:     global_buffer
      - .actual_access:  write_only
        .address_space:  global
        .offset:         96
        .size:           8
        .value_kind:     global_buffer
      - .actual_access:  write_only
        .address_space:  global
        .offset:         104
        .size:           8
        .value_kind:     global_buffer
      - .actual_access:  read_only
        .address_space:  global
        .offset:         112
        .size:           8
        .value_kind:     global_buffer
      - .offset:         120
        .size:           4
        .value_kind:     by_value
      - .address_space:  global
        .offset:         128
        .size:           8
        .value_kind:     global_buffer
      - .address_space:  global
        .offset:         136
        .size:           8
        .value_kind:     global_buffer
      - .offset:         144
        .size:           4
        .value_kind:     hidden_block_count_x
      - .offset:         148
        .size:           4
        .value_kind:     hidden_block_count_y
      - .offset:         152
        .size:           4
        .value_kind:     hidden_block_count_z
      - .offset:         156
        .size:           2
        .value_kind:     hidden_group_size_x
      - .offset:         158
        .size:           2
        .value_kind:     hidden_group_size_y
      - .offset:         160
        .size:           2
        .value_kind:     hidden_group_size_z
      - .offset:         162
        .size:           2
        .value_kind:     hidden_remainder_x
      - .offset:         164
        .size:           2
        .value_kind:     hidden_remainder_y
      - .offset:         166
        .size:           2
        .value_kind:     hidden_remainder_z
      - .offset:         184
        .size:           8
        .value_kind:     hidden_global_offset_x
      - .offset:         192
        .size:           8
        .value_kind:     hidden_global_offset_y
      - .offset:         200
        .size:           8
        .value_kind:     hidden_global_offset_z
      - .offset:         208
        .size:           2
        .value_kind:     hidden_grid_dims
    .group_segment_fixed_size: 17472
    .kernarg_segment_align: 8
    .kernarg_segment_size: 400
    .language:       OpenCL C
    .language_version:
      - 2
      - 0
    .max_flat_workgroup_size: 256
    .name:           _Z39paged_attention_ll4mi_QKV_mfma16_kernelI14__hip_bfloat16hLN4vllm18Fp8KVCacheDataTypeE1EhLi32ELi128ELi256ELb0ELi1EL8MFMAType0EEvPKT_PKT0_S9_ifPKiSB_SB_iPKfiiiPfSE_PS4_PT2_iSD_SD_
    .private_segment_fixed_size: 0
    .sgpr_count:     70
    .sgpr_spill_count: 0
    .symbol:         _Z39paged_attention_ll4mi_QKV_mfma16_kernelI14__hip_bfloat16hLN4vllm18Fp8KVCacheDataTypeE1EhLi32ELi128ELi256ELb0ELi1EL8MFMAType0EEvPKT_PKT0_S9_ifPKiSB_SB_iPKfiiiPfSE_PS4_PT2_iSD_SD_.kd
    .uniform_work_group_size: 1
    .uses_dynamic_stack: false
    .vgpr_count:     138
    .vgpr_spill_count: 0
    .wavefront_size: 32
    .workgroup_processor_mode: 1
  - .args:
      - .actual_access:  read_only
        .address_space:  global
        .offset:         0
        .size:           8
        .value_kind:     global_buffer
      - .actual_access:  read_only
        .address_space:  global
        .offset:         8
        .size:           8
        .value_kind:     global_buffer
      - .actual_access:  read_only
        .address_space:  global
        .offset:         16
        .size:           8
        .value_kind:     global_buffer
      - .offset:         24
        .size:           4
        .value_kind:     by_value
      - .offset:         28
        .size:           4
        .value_kind:     by_value
      - .actual_access:  read_only
        .address_space:  global
        .offset:         32
        .size:           8
        .value_kind:     global_buffer
      - .actual_access:  read_only
        .address_space:  global
        .offset:         40
        .size:           8
        .value_kind:     global_buffer
      - .actual_access:  read_only
        .address_space:  global
        .offset:         48
        .size:           8
        .value_kind:     global_buffer
      - .offset:         56
        .size:           4
        .value_kind:     by_value
      - .actual_access:  read_only
        .address_space:  global
        .offset:         64
        .size:           8
        .value_kind:     global_buffer
      - .offset:         72
        .size:           4
        .value_kind:     by_value
      - .offset:         76
        .size:           4
        .value_kind:     by_value
      - .offset:         80
        .size:           4
        .value_kind:     by_value
      - .actual_access:  write_only
        .address_space:  global
        .offset:         88
        .size:           8
        .value_kind:     global_buffer
      - .actual_access:  write_only
        .address_space:  global
        .offset:         96
        .size:           8
        .value_kind:     global_buffer
      - .actual_access:  write_only
        .address_space:  global
        .offset:         104
        .size:           8
        .value_kind:     global_buffer
      - .actual_access:  read_only
        .address_space:  global
        .offset:         112
        .size:           8
        .value_kind:     global_buffer
      - .offset:         120
        .size:           4
        .value_kind:     by_value
      - .address_space:  global
        .offset:         128
        .size:           8
        .value_kind:     global_buffer
      - .address_space:  global
        .offset:         136
        .size:           8
        .value_kind:     global_buffer
      - .offset:         144
        .size:           4
        .value_kind:     hidden_block_count_x
      - .offset:         148
        .size:           4
        .value_kind:     hidden_block_count_y
      - .offset:         152
        .size:           4
        .value_kind:     hidden_block_count_z
      - .offset:         156
        .size:           2
        .value_kind:     hidden_group_size_x
      - .offset:         158
        .size:           2
        .value_kind:     hidden_group_size_y
      - .offset:         160
        .size:           2
        .value_kind:     hidden_group_size_z
      - .offset:         162
        .size:           2
        .value_kind:     hidden_remainder_x
      - .offset:         164
        .size:           2
        .value_kind:     hidden_remainder_y
      - .offset:         166
        .size:           2
        .value_kind:     hidden_remainder_z
      - .offset:         184
        .size:           8
        .value_kind:     hidden_global_offset_x
      - .offset:         192
        .size:           8
        .value_kind:     hidden_global_offset_y
      - .offset:         200
        .size:           8
        .value_kind:     hidden_global_offset_z
      - .offset:         208
        .size:           2
        .value_kind:     hidden_grid_dims
    .group_segment_fixed_size: 17472
    .kernarg_segment_align: 8
    .kernarg_segment_size: 400
    .language:       OpenCL C
    .language_version:
      - 2
      - 0
    .max_flat_workgroup_size: 256
    .name:           _Z39paged_attention_ll4mi_QKV_mfma16_kernelI14__hip_bfloat16hLN4vllm18Fp8KVCacheDataTypeE1EhLi32ELi128ELi256ELb0ELi2EL8MFMAType0EEvPKT_PKT0_S9_ifPKiSB_SB_iPKfiiiPfSE_PS4_PT2_iSD_SD_
    .private_segment_fixed_size: 0
    .sgpr_count:     39
    .sgpr_spill_count: 0
    .symbol:         _Z39paged_attention_ll4mi_QKV_mfma16_kernelI14__hip_bfloat16hLN4vllm18Fp8KVCacheDataTypeE1EhLi32ELi128ELi256ELb0ELi2EL8MFMAType0EEvPKT_PKT0_S9_ifPKiSB_SB_iPKfiiiPfSE_PS4_PT2_iSD_SD_.kd
    .uniform_work_group_size: 1
    .uses_dynamic_stack: false
    .vgpr_count:     138
    .vgpr_spill_count: 0
    .wavefront_size: 32
    .workgroup_processor_mode: 1
  - .args:
      - .actual_access:  read_only
        .address_space:  global
        .offset:         0
        .size:           8
        .value_kind:     global_buffer
      - .actual_access:  read_only
        .address_space:  global
        .offset:         8
        .size:           8
        .value_kind:     global_buffer
      - .actual_access:  read_only
        .address_space:  global
        .offset:         16
        .size:           8
        .value_kind:     global_buffer
      - .offset:         24
        .size:           4
        .value_kind:     by_value
      - .offset:         28
        .size:           4
        .value_kind:     by_value
      - .actual_access:  read_only
        .address_space:  global
        .offset:         32
        .size:           8
        .value_kind:     global_buffer
      - .actual_access:  read_only
        .address_space:  global
        .offset:         40
        .size:           8
        .value_kind:     global_buffer
      - .actual_access:  read_only
        .address_space:  global
        .offset:         48
        .size:           8
        .value_kind:     global_buffer
      - .offset:         56
        .size:           4
        .value_kind:     by_value
      - .actual_access:  read_only
        .address_space:  global
        .offset:         64
        .size:           8
        .value_kind:     global_buffer
      - .offset:         72
        .size:           4
        .value_kind:     by_value
      - .offset:         76
        .size:           4
        .value_kind:     by_value
      - .offset:         80
        .size:           4
        .value_kind:     by_value
      - .actual_access:  write_only
        .address_space:  global
        .offset:         88
        .size:           8
        .value_kind:     global_buffer
      - .actual_access:  write_only
        .address_space:  global
        .offset:         96
        .size:           8
        .value_kind:     global_buffer
      - .actual_access:  write_only
        .address_space:  global
        .offset:         104
        .size:           8
        .value_kind:     global_buffer
      - .actual_access:  read_only
        .address_space:  global
        .offset:         112
        .size:           8
        .value_kind:     global_buffer
      - .offset:         120
        .size:           4
        .value_kind:     by_value
      - .address_space:  global
        .offset:         128
        .size:           8
        .value_kind:     global_buffer
      - .address_space:  global
        .offset:         136
        .size:           8
        .value_kind:     global_buffer
      - .offset:         144
        .size:           4
        .value_kind:     hidden_block_count_x
      - .offset:         148
        .size:           4
        .value_kind:     hidden_block_count_y
      - .offset:         152
        .size:           4
        .value_kind:     hidden_block_count_z
      - .offset:         156
        .size:           2
        .value_kind:     hidden_group_size_x
      - .offset:         158
        .size:           2
        .value_kind:     hidden_group_size_y
      - .offset:         160
        .size:           2
        .value_kind:     hidden_group_size_z
      - .offset:         162
        .size:           2
        .value_kind:     hidden_remainder_x
      - .offset:         164
        .size:           2
        .value_kind:     hidden_remainder_y
      - .offset:         166
        .size:           2
        .value_kind:     hidden_remainder_z
      - .offset:         184
        .size:           8
        .value_kind:     hidden_global_offset_x
      - .offset:         192
        .size:           8
        .value_kind:     hidden_global_offset_y
      - .offset:         200
        .size:           8
        .value_kind:     hidden_global_offset_z
      - .offset:         208
        .size:           2
        .value_kind:     hidden_grid_dims
    .group_segment_fixed_size: 17472
    .kernarg_segment_align: 8
    .kernarg_segment_size: 400
    .language:       OpenCL C
    .language_version:
      - 2
      - 0
    .max_flat_workgroup_size: 256
    .name:           _Z39paged_attention_ll4mi_QKV_mfma16_kernelI14__hip_bfloat16hLN4vllm18Fp8KVCacheDataTypeE1EhLi32ELi128ELi256ELb0ELi3EL8MFMAType0EEvPKT_PKT0_S9_ifPKiSB_SB_iPKfiiiPfSE_PS4_PT2_iSD_SD_
    .private_segment_fixed_size: 0
    .sgpr_count:     38
    .sgpr_spill_count: 0
    .symbol:         _Z39paged_attention_ll4mi_QKV_mfma16_kernelI14__hip_bfloat16hLN4vllm18Fp8KVCacheDataTypeE1EhLi32ELi128ELi256ELb0ELi3EL8MFMAType0EEvPKT_PKT0_S9_ifPKiSB_SB_iPKfiiiPfSE_PS4_PT2_iSD_SD_.kd
    .uniform_work_group_size: 1
    .uses_dynamic_stack: false
    .vgpr_count:     140
    .vgpr_spill_count: 0
    .wavefront_size: 32
    .workgroup_processor_mode: 1
  - .args:
      - .actual_access:  read_only
        .address_space:  global
        .offset:         0
        .size:           8
        .value_kind:     global_buffer
      - .actual_access:  read_only
        .address_space:  global
        .offset:         8
        .size:           8
        .value_kind:     global_buffer
      - .actual_access:  read_only
        .address_space:  global
        .offset:         16
        .size:           8
        .value_kind:     global_buffer
      - .offset:         24
        .size:           4
        .value_kind:     by_value
      - .offset:         28
        .size:           4
        .value_kind:     by_value
      - .actual_access:  read_only
        .address_space:  global
        .offset:         32
        .size:           8
        .value_kind:     global_buffer
      - .actual_access:  read_only
        .address_space:  global
        .offset:         40
        .size:           8
        .value_kind:     global_buffer
      - .actual_access:  read_only
        .address_space:  global
        .offset:         48
        .size:           8
        .value_kind:     global_buffer
      - .offset:         56
        .size:           4
        .value_kind:     by_value
      - .actual_access:  read_only
        .address_space:  global
        .offset:         64
        .size:           8
        .value_kind:     global_buffer
      - .offset:         72
        .size:           4
        .value_kind:     by_value
      - .offset:         76
        .size:           4
        .value_kind:     by_value
      - .offset:         80
        .size:           4
        .value_kind:     by_value
      - .actual_access:  write_only
        .address_space:  global
        .offset:         88
        .size:           8
        .value_kind:     global_buffer
      - .actual_access:  write_only
        .address_space:  global
        .offset:         96
        .size:           8
        .value_kind:     global_buffer
      - .actual_access:  write_only
        .address_space:  global
        .offset:         104
        .size:           8
        .value_kind:     global_buffer
      - .actual_access:  read_only
        .address_space:  global
        .offset:         112
        .size:           8
        .value_kind:     global_buffer
      - .offset:         120
        .size:           4
        .value_kind:     by_value
      - .address_space:  global
        .offset:         128
        .size:           8
        .value_kind:     global_buffer
      - .address_space:  global
        .offset:         136
        .size:           8
        .value_kind:     global_buffer
      - .offset:         144
        .size:           4
        .value_kind:     hidden_block_count_x
      - .offset:         148
        .size:           4
        .value_kind:     hidden_block_count_y
      - .offset:         152
        .size:           4
        .value_kind:     hidden_block_count_z
      - .offset:         156
        .size:           2
        .value_kind:     hidden_group_size_x
      - .offset:         158
        .size:           2
        .value_kind:     hidden_group_size_y
      - .offset:         160
        .size:           2
        .value_kind:     hidden_group_size_z
      - .offset:         162
        .size:           2
        .value_kind:     hidden_remainder_x
      - .offset:         164
        .size:           2
        .value_kind:     hidden_remainder_y
      - .offset:         166
        .size:           2
        .value_kind:     hidden_remainder_z
      - .offset:         184
        .size:           8
        .value_kind:     hidden_global_offset_x
      - .offset:         192
        .size:           8
        .value_kind:     hidden_global_offset_y
      - .offset:         200
        .size:           8
        .value_kind:     hidden_global_offset_z
      - .offset:         208
        .size:           2
        .value_kind:     hidden_grid_dims
    .group_segment_fixed_size: 17472
    .kernarg_segment_align: 8
    .kernarg_segment_size: 400
    .language:       OpenCL C
    .language_version:
      - 2
      - 0
    .max_flat_workgroup_size: 256
    .name:           _Z39paged_attention_ll4mi_QKV_mfma16_kernelI14__hip_bfloat16hLN4vllm18Fp8KVCacheDataTypeE1EhLi32ELi128ELi256ELb0ELi4EL8MFMAType0EEvPKT_PKT0_S9_ifPKiSB_SB_iPKfiiiPfSE_PS4_PT2_iSD_SD_
    .private_segment_fixed_size: 0
    .sgpr_count:     38
    .sgpr_spill_count: 0
    .symbol:         _Z39paged_attention_ll4mi_QKV_mfma16_kernelI14__hip_bfloat16hLN4vllm18Fp8KVCacheDataTypeE1EhLi32ELi128ELi256ELb0ELi4EL8MFMAType0EEvPKT_PKT0_S9_ifPKiSB_SB_iPKfiiiPfSE_PS4_PT2_iSD_SD_.kd
    .uniform_work_group_size: 1
    .uses_dynamic_stack: false
    .vgpr_count:     140
    .vgpr_spill_count: 0
    .wavefront_size: 32
    .workgroup_processor_mode: 1
  - .args:
      - .actual_access:  read_only
        .address_space:  global
        .offset:         0
        .size:           8
        .value_kind:     global_buffer
      - .actual_access:  read_only
        .address_space:  global
        .offset:         8
        .size:           8
        .value_kind:     global_buffer
      - .actual_access:  read_only
        .address_space:  global
        .offset:         16
        .size:           8
        .value_kind:     global_buffer
      - .offset:         24
        .size:           4
        .value_kind:     by_value
      - .offset:         28
        .size:           4
        .value_kind:     by_value
      - .actual_access:  read_only
        .address_space:  global
        .offset:         32
        .size:           8
        .value_kind:     global_buffer
      - .actual_access:  read_only
        .address_space:  global
        .offset:         40
        .size:           8
        .value_kind:     global_buffer
      - .actual_access:  read_only
        .address_space:  global
        .offset:         48
        .size:           8
        .value_kind:     global_buffer
      - .offset:         56
        .size:           4
        .value_kind:     by_value
      - .actual_access:  read_only
        .address_space:  global
        .offset:         64
        .size:           8
        .value_kind:     global_buffer
      - .offset:         72
        .size:           4
        .value_kind:     by_value
      - .offset:         76
        .size:           4
        .value_kind:     by_value
      - .offset:         80
        .size:           4
        .value_kind:     by_value
      - .actual_access:  write_only
        .address_space:  global
        .offset:         88
        .size:           8
        .value_kind:     global_buffer
      - .actual_access:  write_only
        .address_space:  global
        .offset:         96
        .size:           8
        .value_kind:     global_buffer
      - .actual_access:  write_only
        .address_space:  global
        .offset:         104
        .size:           8
        .value_kind:     global_buffer
      - .actual_access:  read_only
        .address_space:  global
        .offset:         112
        .size:           8
        .value_kind:     global_buffer
      - .offset:         120
        .size:           4
        .value_kind:     by_value
      - .address_space:  global
        .offset:         128
        .size:           8
        .value_kind:     global_buffer
      - .address_space:  global
        .offset:         136
        .size:           8
        .value_kind:     global_buffer
      - .offset:         144
        .size:           4
        .value_kind:     hidden_block_count_x
      - .offset:         148
        .size:           4
        .value_kind:     hidden_block_count_y
      - .offset:         152
        .size:           4
        .value_kind:     hidden_block_count_z
      - .offset:         156
        .size:           2
        .value_kind:     hidden_group_size_x
      - .offset:         158
        .size:           2
        .value_kind:     hidden_group_size_y
      - .offset:         160
        .size:           2
        .value_kind:     hidden_group_size_z
      - .offset:         162
        .size:           2
        .value_kind:     hidden_remainder_x
      - .offset:         164
        .size:           2
        .value_kind:     hidden_remainder_y
      - .offset:         166
        .size:           2
        .value_kind:     hidden_remainder_z
      - .offset:         184
        .size:           8
        .value_kind:     hidden_global_offset_x
      - .offset:         192
        .size:           8
        .value_kind:     hidden_global_offset_y
      - .offset:         200
        .size:           8
        .value_kind:     hidden_global_offset_z
      - .offset:         208
        .size:           2
        .value_kind:     hidden_grid_dims
    .group_segment_fixed_size: 17472
    .kernarg_segment_align: 8
    .kernarg_segment_size: 400
    .language:       OpenCL C
    .language_version:
      - 2
      - 0
    .max_flat_workgroup_size: 256
    .name:           _Z39paged_attention_ll4mi_QKV_mfma16_kernelI14__hip_bfloat16hLN4vllm18Fp8KVCacheDataTypeE1ES0_Li32ELi128ELi256ELb1ELi5EL8MFMAType0EEvPKT_PKT0_S9_ifPKiSB_SB_iPKfiiiPfSE_PS4_PT2_iSD_SD_
    .private_segment_fixed_size: 0
    .sgpr_count:     38
    .sgpr_spill_count: 0
    .symbol:         _Z39paged_attention_ll4mi_QKV_mfma16_kernelI14__hip_bfloat16hLN4vllm18Fp8KVCacheDataTypeE1ES0_Li32ELi128ELi256ELb1ELi5EL8MFMAType0EEvPKT_PKT0_S9_ifPKiSB_SB_iPKfiiiPfSE_PS4_PT2_iSD_SD_.kd
    .uniform_work_group_size: 1
    .uses_dynamic_stack: false
    .vgpr_count:     140
    .vgpr_spill_count: 0
    .wavefront_size: 32
    .workgroup_processor_mode: 1
  - .args:
      - .actual_access:  read_only
        .address_space:  global
        .offset:         0
        .size:           8
        .value_kind:     global_buffer
      - .actual_access:  read_only
        .address_space:  global
        .offset:         8
        .size:           8
        .value_kind:     global_buffer
      - .actual_access:  read_only
        .address_space:  global
        .offset:         16
        .size:           8
        .value_kind:     global_buffer
      - .offset:         24
        .size:           4
        .value_kind:     by_value
      - .offset:         28
        .size:           4
        .value_kind:     by_value
      - .actual_access:  read_only
        .address_space:  global
        .offset:         32
        .size:           8
        .value_kind:     global_buffer
      - .actual_access:  read_only
        .address_space:  global
        .offset:         40
        .size:           8
        .value_kind:     global_buffer
      - .actual_access:  read_only
        .address_space:  global
        .offset:         48
        .size:           8
        .value_kind:     global_buffer
      - .offset:         56
        .size:           4
        .value_kind:     by_value
      - .actual_access:  read_only
        .address_space:  global
        .offset:         64
        .size:           8
        .value_kind:     global_buffer
      - .offset:         72
        .size:           4
        .value_kind:     by_value
      - .offset:         76
        .size:           4
        .value_kind:     by_value
      - .offset:         80
        .size:           4
        .value_kind:     by_value
      - .actual_access:  write_only
        .address_space:  global
        .offset:         88
        .size:           8
        .value_kind:     global_buffer
      - .actual_access:  write_only
        .address_space:  global
        .offset:         96
        .size:           8
        .value_kind:     global_buffer
      - .actual_access:  write_only
        .address_space:  global
        .offset:         104
        .size:           8
        .value_kind:     global_buffer
      - .actual_access:  read_only
        .address_space:  global
        .offset:         112
        .size:           8
        .value_kind:     global_buffer
      - .offset:         120
        .size:           4
        .value_kind:     by_value
      - .address_space:  global
        .offset:         128
        .size:           8
        .value_kind:     global_buffer
      - .address_space:  global
        .offset:         136
        .size:           8
        .value_kind:     global_buffer
      - .offset:         144
        .size:           4
        .value_kind:     hidden_block_count_x
      - .offset:         148
        .size:           4
        .value_kind:     hidden_block_count_y
      - .offset:         152
        .size:           4
        .value_kind:     hidden_block_count_z
      - .offset:         156
        .size:           2
        .value_kind:     hidden_group_size_x
      - .offset:         158
        .size:           2
        .value_kind:     hidden_group_size_y
      - .offset:         160
        .size:           2
        .value_kind:     hidden_group_size_z
      - .offset:         162
        .size:           2
        .value_kind:     hidden_remainder_x
      - .offset:         164
        .size:           2
        .value_kind:     hidden_remainder_y
      - .offset:         166
        .size:           2
        .value_kind:     hidden_remainder_z
      - .offset:         184
        .size:           8
        .value_kind:     hidden_global_offset_x
      - .offset:         192
        .size:           8
        .value_kind:     hidden_global_offset_y
      - .offset:         200
        .size:           8
        .value_kind:     hidden_global_offset_z
      - .offset:         208
        .size:           2
        .value_kind:     hidden_grid_dims
    .group_segment_fixed_size: 17472
    .kernarg_segment_align: 8
    .kernarg_segment_size: 400
    .language:       OpenCL C
    .language_version:
      - 2
      - 0
    .max_flat_workgroup_size: 256
    .name:           _Z39paged_attention_ll4mi_QKV_mfma16_kernelI14__hip_bfloat16hLN4vllm18Fp8KVCacheDataTypeE1ES0_Li32ELi128ELi256ELb1ELi6EL8MFMAType0EEvPKT_PKT0_S9_ifPKiSB_SB_iPKfiiiPfSE_PS4_PT2_iSD_SD_
    .private_segment_fixed_size: 0
    .sgpr_count:     38
    .sgpr_spill_count: 0
    .symbol:         _Z39paged_attention_ll4mi_QKV_mfma16_kernelI14__hip_bfloat16hLN4vllm18Fp8KVCacheDataTypeE1ES0_Li32ELi128ELi256ELb1ELi6EL8MFMAType0EEvPKT_PKT0_S9_ifPKiSB_SB_iPKfiiiPfSE_PS4_PT2_iSD_SD_.kd
    .uniform_work_group_size: 1
    .uses_dynamic_stack: false
    .vgpr_count:     140
    .vgpr_spill_count: 0
    .wavefront_size: 32
    .workgroup_processor_mode: 1
  - .args:
      - .actual_access:  read_only
        .address_space:  global
        .offset:         0
        .size:           8
        .value_kind:     global_buffer
      - .actual_access:  read_only
        .address_space:  global
        .offset:         8
        .size:           8
        .value_kind:     global_buffer
      - .actual_access:  read_only
        .address_space:  global
        .offset:         16
        .size:           8
        .value_kind:     global_buffer
      - .offset:         24
        .size:           4
        .value_kind:     by_value
      - .offset:         28
        .size:           4
        .value_kind:     by_value
      - .actual_access:  read_only
        .address_space:  global
        .offset:         32
        .size:           8
        .value_kind:     global_buffer
      - .actual_access:  read_only
        .address_space:  global
        .offset:         40
        .size:           8
        .value_kind:     global_buffer
      - .actual_access:  read_only
        .address_space:  global
        .offset:         48
        .size:           8
        .value_kind:     global_buffer
      - .offset:         56
        .size:           4
        .value_kind:     by_value
      - .actual_access:  read_only
        .address_space:  global
        .offset:         64
        .size:           8
        .value_kind:     global_buffer
      - .offset:         72
        .size:           4
        .value_kind:     by_value
      - .offset:         76
        .size:           4
        .value_kind:     by_value
      - .offset:         80
        .size:           4
        .value_kind:     by_value
      - .actual_access:  write_only
        .address_space:  global
        .offset:         88
        .size:           8
        .value_kind:     global_buffer
      - .actual_access:  write_only
        .address_space:  global
        .offset:         96
        .size:           8
        .value_kind:     global_buffer
      - .actual_access:  write_only
        .address_space:  global
        .offset:         104
        .size:           8
        .value_kind:     global_buffer
      - .actual_access:  read_only
        .address_space:  global
        .offset:         112
        .size:           8
        .value_kind:     global_buffer
      - .offset:         120
        .size:           4
        .value_kind:     by_value
      - .address_space:  global
        .offset:         128
        .size:           8
        .value_kind:     global_buffer
      - .address_space:  global
        .offset:         136
        .size:           8
        .value_kind:     global_buffer
      - .offset:         144
        .size:           4
        .value_kind:     hidden_block_count_x
      - .offset:         148
        .size:           4
        .value_kind:     hidden_block_count_y
      - .offset:         152
        .size:           4
        .value_kind:     hidden_block_count_z
      - .offset:         156
        .size:           2
        .value_kind:     hidden_group_size_x
      - .offset:         158
        .size:           2
        .value_kind:     hidden_group_size_y
      - .offset:         160
        .size:           2
        .value_kind:     hidden_group_size_z
      - .offset:         162
        .size:           2
        .value_kind:     hidden_remainder_x
      - .offset:         164
        .size:           2
        .value_kind:     hidden_remainder_y
      - .offset:         166
        .size:           2
        .value_kind:     hidden_remainder_z
      - .offset:         184
        .size:           8
        .value_kind:     hidden_global_offset_x
      - .offset:         192
        .size:           8
        .value_kind:     hidden_global_offset_y
      - .offset:         200
        .size:           8
        .value_kind:     hidden_global_offset_z
      - .offset:         208
        .size:           2
        .value_kind:     hidden_grid_dims
    .group_segment_fixed_size: 17472
    .kernarg_segment_align: 8
    .kernarg_segment_size: 400
    .language:       OpenCL C
    .language_version:
      - 2
      - 0
    .max_flat_workgroup_size: 256
    .name:           _Z39paged_attention_ll4mi_QKV_mfma16_kernelI14__hip_bfloat16hLN4vllm18Fp8KVCacheDataTypeE1ES0_Li32ELi128ELi256ELb1ELi7EL8MFMAType0EEvPKT_PKT0_S9_ifPKiSB_SB_iPKfiiiPfSE_PS4_PT2_iSD_SD_
    .private_segment_fixed_size: 0
    .sgpr_count:     38
    .sgpr_spill_count: 0
    .symbol:         _Z39paged_attention_ll4mi_QKV_mfma16_kernelI14__hip_bfloat16hLN4vllm18Fp8KVCacheDataTypeE1ES0_Li32ELi128ELi256ELb1ELi7EL8MFMAType0EEvPKT_PKT0_S9_ifPKiSB_SB_iPKfiiiPfSE_PS4_PT2_iSD_SD_.kd
    .uniform_work_group_size: 1
    .uses_dynamic_stack: false
    .vgpr_count:     140
    .vgpr_spill_count: 0
    .wavefront_size: 32
    .workgroup_processor_mode: 1
  - .args:
      - .actual_access:  read_only
        .address_space:  global
        .offset:         0
        .size:           8
        .value_kind:     global_buffer
      - .actual_access:  read_only
        .address_space:  global
        .offset:         8
        .size:           8
        .value_kind:     global_buffer
      - .actual_access:  read_only
        .address_space:  global
        .offset:         16
        .size:           8
        .value_kind:     global_buffer
      - .offset:         24
        .size:           4
        .value_kind:     by_value
      - .offset:         28
        .size:           4
        .value_kind:     by_value
      - .actual_access:  read_only
        .address_space:  global
        .offset:         32
        .size:           8
        .value_kind:     global_buffer
      - .actual_access:  read_only
        .address_space:  global
        .offset:         40
        .size:           8
        .value_kind:     global_buffer
      - .actual_access:  read_only
        .address_space:  global
        .offset:         48
        .size:           8
        .value_kind:     global_buffer
      - .offset:         56
        .size:           4
        .value_kind:     by_value
      - .actual_access:  read_only
        .address_space:  global
        .offset:         64
        .size:           8
        .value_kind:     global_buffer
      - .offset:         72
        .size:           4
        .value_kind:     by_value
      - .offset:         76
        .size:           4
        .value_kind:     by_value
      - .offset:         80
        .size:           4
        .value_kind:     by_value
      - .actual_access:  write_only
        .address_space:  global
        .offset:         88
        .size:           8
        .value_kind:     global_buffer
      - .actual_access:  write_only
        .address_space:  global
        .offset:         96
        .size:           8
        .value_kind:     global_buffer
      - .actual_access:  write_only
        .address_space:  global
        .offset:         104
        .size:           8
        .value_kind:     global_buffer
      - .actual_access:  read_only
        .address_space:  global
        .offset:         112
        .size:           8
        .value_kind:     global_buffer
      - .offset:         120
        .size:           4
        .value_kind:     by_value
      - .address_space:  global
        .offset:         128
        .size:           8
        .value_kind:     global_buffer
      - .address_space:  global
        .offset:         136
        .size:           8
        .value_kind:     global_buffer
      - .offset:         144
        .size:           4
        .value_kind:     hidden_block_count_x
      - .offset:         148
        .size:           4
        .value_kind:     hidden_block_count_y
      - .offset:         152
        .size:           4
        .value_kind:     hidden_block_count_z
      - .offset:         156
        .size:           2
        .value_kind:     hidden_group_size_x
      - .offset:         158
        .size:           2
        .value_kind:     hidden_group_size_y
      - .offset:         160
        .size:           2
        .value_kind:     hidden_group_size_z
      - .offset:         162
        .size:           2
        .value_kind:     hidden_remainder_x
      - .offset:         164
        .size:           2
        .value_kind:     hidden_remainder_y
      - .offset:         166
        .size:           2
        .value_kind:     hidden_remainder_z
      - .offset:         184
        .size:           8
        .value_kind:     hidden_global_offset_x
      - .offset:         192
        .size:           8
        .value_kind:     hidden_global_offset_y
      - .offset:         200
        .size:           8
        .value_kind:     hidden_global_offset_z
      - .offset:         208
        .size:           2
        .value_kind:     hidden_grid_dims
    .group_segment_fixed_size: 17472
    .kernarg_segment_align: 8
    .kernarg_segment_size: 400
    .language:       OpenCL C
    .language_version:
      - 2
      - 0
    .max_flat_workgroup_size: 256
    .name:           _Z39paged_attention_ll4mi_QKV_mfma16_kernelI14__hip_bfloat16hLN4vllm18Fp8KVCacheDataTypeE1ES0_Li32ELi128ELi256ELb1ELi8EL8MFMAType0EEvPKT_PKT0_S9_ifPKiSB_SB_iPKfiiiPfSE_PS4_PT2_iSD_SD_
    .private_segment_fixed_size: 0
    .sgpr_count:     38
    .sgpr_spill_count: 0
    .symbol:         _Z39paged_attention_ll4mi_QKV_mfma16_kernelI14__hip_bfloat16hLN4vllm18Fp8KVCacheDataTypeE1ES0_Li32ELi128ELi256ELb1ELi8EL8MFMAType0EEvPKT_PKT0_S9_ifPKiSB_SB_iPKfiiiPfSE_PS4_PT2_iSD_SD_.kd
    .uniform_work_group_size: 1
    .uses_dynamic_stack: false
    .vgpr_count:     140
    .vgpr_spill_count: 0
    .wavefront_size: 32
    .workgroup_processor_mode: 1
  - .args:
      - .actual_access:  read_only
        .address_space:  global
        .offset:         0
        .size:           8
        .value_kind:     global_buffer
      - .actual_access:  read_only
        .address_space:  global
        .offset:         8
        .size:           8
        .value_kind:     global_buffer
      - .actual_access:  read_only
        .address_space:  global
        .offset:         16
        .size:           8
        .value_kind:     global_buffer
      - .offset:         24
        .size:           4
        .value_kind:     by_value
      - .offset:         28
        .size:           4
        .value_kind:     by_value
      - .actual_access:  read_only
        .address_space:  global
        .offset:         32
        .size:           8
        .value_kind:     global_buffer
      - .actual_access:  read_only
        .address_space:  global
        .offset:         40
        .size:           8
        .value_kind:     global_buffer
      - .actual_access:  read_only
        .address_space:  global
        .offset:         48
        .size:           8
        .value_kind:     global_buffer
      - .offset:         56
        .size:           4
        .value_kind:     by_value
      - .actual_access:  read_only
        .address_space:  global
        .offset:         64
        .size:           8
        .value_kind:     global_buffer
      - .offset:         72
        .size:           4
        .value_kind:     by_value
      - .offset:         76
        .size:           4
        .value_kind:     by_value
      - .offset:         80
        .size:           4
        .value_kind:     by_value
      - .actual_access:  write_only
        .address_space:  global
        .offset:         88
        .size:           8
        .value_kind:     global_buffer
      - .actual_access:  write_only
        .address_space:  global
        .offset:         96
        .size:           8
        .value_kind:     global_buffer
      - .actual_access:  write_only
        .address_space:  global
        .offset:         104
        .size:           8
        .value_kind:     global_buffer
      - .actual_access:  read_only
        .address_space:  global
        .offset:         112
        .size:           8
        .value_kind:     global_buffer
      - .offset:         120
        .size:           4
        .value_kind:     by_value
      - .address_space:  global
        .offset:         128
        .size:           8
        .value_kind:     global_buffer
      - .address_space:  global
        .offset:         136
        .size:           8
        .value_kind:     global_buffer
      - .offset:         144
        .size:           4
        .value_kind:     hidden_block_count_x
      - .offset:         148
        .size:           4
        .value_kind:     hidden_block_count_y
      - .offset:         152
        .size:           4
        .value_kind:     hidden_block_count_z
      - .offset:         156
        .size:           2
        .value_kind:     hidden_group_size_x
      - .offset:         158
        .size:           2
        .value_kind:     hidden_group_size_y
      - .offset:         160
        .size:           2
        .value_kind:     hidden_group_size_z
      - .offset:         162
        .size:           2
        .value_kind:     hidden_remainder_x
      - .offset:         164
        .size:           2
        .value_kind:     hidden_remainder_y
      - .offset:         166
        .size:           2
        .value_kind:     hidden_remainder_z
      - .offset:         184
        .size:           8
        .value_kind:     hidden_global_offset_x
      - .offset:         192
        .size:           8
        .value_kind:     hidden_global_offset_y
      - .offset:         200
        .size:           8
        .value_kind:     hidden_global_offset_z
      - .offset:         208
        .size:           2
        .value_kind:     hidden_grid_dims
    .group_segment_fixed_size: 17472
    .kernarg_segment_align: 8
    .kernarg_segment_size: 400
    .language:       OpenCL C
    .language_version:
      - 2
      - 0
    .max_flat_workgroup_size: 256
    .name:           _Z39paged_attention_ll4mi_QKV_mfma16_kernelI14__hip_bfloat16hLN4vllm18Fp8KVCacheDataTypeE1ES0_Li32ELi128ELi256ELb1ELi9EL8MFMAType0EEvPKT_PKT0_S9_ifPKiSB_SB_iPKfiiiPfSE_PS4_PT2_iSD_SD_
    .private_segment_fixed_size: 0
    .sgpr_count:     38
    .sgpr_spill_count: 0
    .symbol:         _Z39paged_attention_ll4mi_QKV_mfma16_kernelI14__hip_bfloat16hLN4vllm18Fp8KVCacheDataTypeE1ES0_Li32ELi128ELi256ELb1ELi9EL8MFMAType0EEvPKT_PKT0_S9_ifPKiSB_SB_iPKfiiiPfSE_PS4_PT2_iSD_SD_.kd
    .uniform_work_group_size: 1
    .uses_dynamic_stack: false
    .vgpr_count:     140
    .vgpr_spill_count: 0
    .wavefront_size: 32
    .workgroup_processor_mode: 1
  - .args:
      - .actual_access:  read_only
        .address_space:  global
        .offset:         0
        .size:           8
        .value_kind:     global_buffer
      - .actual_access:  read_only
        .address_space:  global
        .offset:         8
        .size:           8
        .value_kind:     global_buffer
      - .actual_access:  read_only
        .address_space:  global
        .offset:         16
        .size:           8
        .value_kind:     global_buffer
      - .offset:         24
        .size:           4
        .value_kind:     by_value
      - .offset:         28
        .size:           4
        .value_kind:     by_value
      - .actual_access:  read_only
        .address_space:  global
        .offset:         32
        .size:           8
        .value_kind:     global_buffer
      - .actual_access:  read_only
        .address_space:  global
        .offset:         40
        .size:           8
        .value_kind:     global_buffer
      - .actual_access:  read_only
        .address_space:  global
        .offset:         48
        .size:           8
        .value_kind:     global_buffer
      - .offset:         56
        .size:           4
        .value_kind:     by_value
      - .actual_access:  read_only
        .address_space:  global
        .offset:         64
        .size:           8
        .value_kind:     global_buffer
      - .offset:         72
        .size:           4
        .value_kind:     by_value
      - .offset:         76
        .size:           4
        .value_kind:     by_value
      - .offset:         80
        .size:           4
        .value_kind:     by_value
      - .actual_access:  write_only
        .address_space:  global
        .offset:         88
        .size:           8
        .value_kind:     global_buffer
      - .actual_access:  write_only
        .address_space:  global
        .offset:         96
        .size:           8
        .value_kind:     global_buffer
      - .actual_access:  write_only
        .address_space:  global
        .offset:         104
        .size:           8
        .value_kind:     global_buffer
      - .actual_access:  read_only
        .address_space:  global
        .offset:         112
        .size:           8
        .value_kind:     global_buffer
      - .offset:         120
        .size:           4
        .value_kind:     by_value
      - .address_space:  global
        .offset:         128
        .size:           8
        .value_kind:     global_buffer
      - .address_space:  global
        .offset:         136
        .size:           8
        .value_kind:     global_buffer
      - .offset:         144
        .size:           4
        .value_kind:     hidden_block_count_x
      - .offset:         148
        .size:           4
        .value_kind:     hidden_block_count_y
      - .offset:         152
        .size:           4
        .value_kind:     hidden_block_count_z
      - .offset:         156
        .size:           2
        .value_kind:     hidden_group_size_x
      - .offset:         158
        .size:           2
        .value_kind:     hidden_group_size_y
      - .offset:         160
        .size:           2
        .value_kind:     hidden_group_size_z
      - .offset:         162
        .size:           2
        .value_kind:     hidden_remainder_x
      - .offset:         164
        .size:           2
        .value_kind:     hidden_remainder_y
      - .offset:         166
        .size:           2
        .value_kind:     hidden_remainder_z
      - .offset:         184
        .size:           8
        .value_kind:     hidden_global_offset_x
      - .offset:         192
        .size:           8
        .value_kind:     hidden_global_offset_y
      - .offset:         200
        .size:           8
        .value_kind:     hidden_global_offset_z
      - .offset:         208
        .size:           2
        .value_kind:     hidden_grid_dims
    .group_segment_fixed_size: 17472
    .kernarg_segment_align: 8
    .kernarg_segment_size: 400
    .language:       OpenCL C
    .language_version:
      - 2
      - 0
    .max_flat_workgroup_size: 256
    .name:           _Z39paged_attention_ll4mi_QKV_mfma16_kernelI14__hip_bfloat16hLN4vllm18Fp8KVCacheDataTypeE1ES0_Li32ELi128ELi256ELb1ELi10EL8MFMAType0EEvPKT_PKT0_S9_ifPKiSB_SB_iPKfiiiPfSE_PS4_PT2_iSD_SD_
    .private_segment_fixed_size: 0
    .sgpr_count:     38
    .sgpr_spill_count: 0
    .symbol:         _Z39paged_attention_ll4mi_QKV_mfma16_kernelI14__hip_bfloat16hLN4vllm18Fp8KVCacheDataTypeE1ES0_Li32ELi128ELi256ELb1ELi10EL8MFMAType0EEvPKT_PKT0_S9_ifPKiSB_SB_iPKfiiiPfSE_PS4_PT2_iSD_SD_.kd
    .uniform_work_group_size: 1
    .uses_dynamic_stack: false
    .vgpr_count:     140
    .vgpr_spill_count: 0
    .wavefront_size: 32
    .workgroup_processor_mode: 1
  - .args:
      - .actual_access:  read_only
        .address_space:  global
        .offset:         0
        .size:           8
        .value_kind:     global_buffer
      - .actual_access:  read_only
        .address_space:  global
        .offset:         8
        .size:           8
        .value_kind:     global_buffer
      - .actual_access:  read_only
        .address_space:  global
        .offset:         16
        .size:           8
        .value_kind:     global_buffer
      - .offset:         24
        .size:           4
        .value_kind:     by_value
      - .offset:         28
        .size:           4
        .value_kind:     by_value
      - .actual_access:  read_only
        .address_space:  global
        .offset:         32
        .size:           8
        .value_kind:     global_buffer
      - .actual_access:  read_only
        .address_space:  global
        .offset:         40
        .size:           8
        .value_kind:     global_buffer
      - .actual_access:  read_only
        .address_space:  global
        .offset:         48
        .size:           8
        .value_kind:     global_buffer
      - .offset:         56
        .size:           4
        .value_kind:     by_value
      - .actual_access:  read_only
        .address_space:  global
        .offset:         64
        .size:           8
        .value_kind:     global_buffer
      - .offset:         72
        .size:           4
        .value_kind:     by_value
      - .offset:         76
        .size:           4
        .value_kind:     by_value
      - .offset:         80
        .size:           4
        .value_kind:     by_value
      - .actual_access:  write_only
        .address_space:  global
        .offset:         88
        .size:           8
        .value_kind:     global_buffer
      - .actual_access:  write_only
        .address_space:  global
        .offset:         96
        .size:           8
        .value_kind:     global_buffer
      - .actual_access:  write_only
        .address_space:  global
        .offset:         104
        .size:           8
        .value_kind:     global_buffer
      - .actual_access:  read_only
        .address_space:  global
        .offset:         112
        .size:           8
        .value_kind:     global_buffer
      - .offset:         120
        .size:           4
        .value_kind:     by_value
      - .address_space:  global
        .offset:         128
        .size:           8
        .value_kind:     global_buffer
      - .address_space:  global
        .offset:         136
        .size:           8
        .value_kind:     global_buffer
      - .offset:         144
        .size:           4
        .value_kind:     hidden_block_count_x
      - .offset:         148
        .size:           4
        .value_kind:     hidden_block_count_y
      - .offset:         152
        .size:           4
        .value_kind:     hidden_block_count_z
      - .offset:         156
        .size:           2
        .value_kind:     hidden_group_size_x
      - .offset:         158
        .size:           2
        .value_kind:     hidden_group_size_y
      - .offset:         160
        .size:           2
        .value_kind:     hidden_group_size_z
      - .offset:         162
        .size:           2
        .value_kind:     hidden_remainder_x
      - .offset:         164
        .size:           2
        .value_kind:     hidden_remainder_y
      - .offset:         166
        .size:           2
        .value_kind:     hidden_remainder_z
      - .offset:         184
        .size:           8
        .value_kind:     hidden_global_offset_x
      - .offset:         192
        .size:           8
        .value_kind:     hidden_global_offset_y
      - .offset:         200
        .size:           8
        .value_kind:     hidden_global_offset_z
      - .offset:         208
        .size:           2
        .value_kind:     hidden_grid_dims
    .group_segment_fixed_size: 17472
    .kernarg_segment_align: 8
    .kernarg_segment_size: 400
    .language:       OpenCL C
    .language_version:
      - 2
      - 0
    .max_flat_workgroup_size: 256
    .name:           _Z39paged_attention_ll4mi_QKV_mfma16_kernelI14__hip_bfloat16hLN4vllm18Fp8KVCacheDataTypeE1ES0_Li32ELi128ELi256ELb1ELi11EL8MFMAType0EEvPKT_PKT0_S9_ifPKiSB_SB_iPKfiiiPfSE_PS4_PT2_iSD_SD_
    .private_segment_fixed_size: 0
    .sgpr_count:     38
    .sgpr_spill_count: 0
    .symbol:         _Z39paged_attention_ll4mi_QKV_mfma16_kernelI14__hip_bfloat16hLN4vllm18Fp8KVCacheDataTypeE1ES0_Li32ELi128ELi256ELb1ELi11EL8MFMAType0EEvPKT_PKT0_S9_ifPKiSB_SB_iPKfiiiPfSE_PS4_PT2_iSD_SD_.kd
    .uniform_work_group_size: 1
    .uses_dynamic_stack: false
    .vgpr_count:     140
    .vgpr_spill_count: 0
    .wavefront_size: 32
    .workgroup_processor_mode: 1
  - .args:
      - .actual_access:  read_only
        .address_space:  global
        .offset:         0
        .size:           8
        .value_kind:     global_buffer
      - .actual_access:  read_only
        .address_space:  global
        .offset:         8
        .size:           8
        .value_kind:     global_buffer
      - .actual_access:  read_only
        .address_space:  global
        .offset:         16
        .size:           8
        .value_kind:     global_buffer
      - .offset:         24
        .size:           4
        .value_kind:     by_value
      - .offset:         28
        .size:           4
        .value_kind:     by_value
      - .actual_access:  read_only
        .address_space:  global
        .offset:         32
        .size:           8
        .value_kind:     global_buffer
      - .actual_access:  read_only
        .address_space:  global
        .offset:         40
        .size:           8
        .value_kind:     global_buffer
      - .actual_access:  read_only
        .address_space:  global
        .offset:         48
        .size:           8
        .value_kind:     global_buffer
      - .offset:         56
        .size:           4
        .value_kind:     by_value
      - .actual_access:  read_only
        .address_space:  global
        .offset:         64
        .size:           8
        .value_kind:     global_buffer
      - .offset:         72
        .size:           4
        .value_kind:     by_value
      - .offset:         76
        .size:           4
        .value_kind:     by_value
      - .offset:         80
        .size:           4
        .value_kind:     by_value
      - .actual_access:  write_only
        .address_space:  global
        .offset:         88
        .size:           8
        .value_kind:     global_buffer
      - .actual_access:  write_only
        .address_space:  global
        .offset:         96
        .size:           8
        .value_kind:     global_buffer
      - .actual_access:  write_only
        .address_space:  global
        .offset:         104
        .size:           8
        .value_kind:     global_buffer
      - .actual_access:  read_only
        .address_space:  global
        .offset:         112
        .size:           8
        .value_kind:     global_buffer
      - .offset:         120
        .size:           4
        .value_kind:     by_value
      - .address_space:  global
        .offset:         128
        .size:           8
        .value_kind:     global_buffer
      - .address_space:  global
        .offset:         136
        .size:           8
        .value_kind:     global_buffer
      - .offset:         144
        .size:           4
        .value_kind:     hidden_block_count_x
      - .offset:         148
        .size:           4
        .value_kind:     hidden_block_count_y
      - .offset:         152
        .size:           4
        .value_kind:     hidden_block_count_z
      - .offset:         156
        .size:           2
        .value_kind:     hidden_group_size_x
      - .offset:         158
        .size:           2
        .value_kind:     hidden_group_size_y
      - .offset:         160
        .size:           2
        .value_kind:     hidden_group_size_z
      - .offset:         162
        .size:           2
        .value_kind:     hidden_remainder_x
      - .offset:         164
        .size:           2
        .value_kind:     hidden_remainder_y
      - .offset:         166
        .size:           2
        .value_kind:     hidden_remainder_z
      - .offset:         184
        .size:           8
        .value_kind:     hidden_global_offset_x
      - .offset:         192
        .size:           8
        .value_kind:     hidden_global_offset_y
      - .offset:         200
        .size:           8
        .value_kind:     hidden_global_offset_z
      - .offset:         208
        .size:           2
        .value_kind:     hidden_grid_dims
    .group_segment_fixed_size: 17472
    .kernarg_segment_align: 8
    .kernarg_segment_size: 400
    .language:       OpenCL C
    .language_version:
      - 2
      - 0
    .max_flat_workgroup_size: 256
    .name:           _Z39paged_attention_ll4mi_QKV_mfma16_kernelI14__hip_bfloat16hLN4vllm18Fp8KVCacheDataTypeE1ES0_Li32ELi128ELi256ELb1ELi12EL8MFMAType0EEvPKT_PKT0_S9_ifPKiSB_SB_iPKfiiiPfSE_PS4_PT2_iSD_SD_
    .private_segment_fixed_size: 0
    .sgpr_count:     38
    .sgpr_spill_count: 0
    .symbol:         _Z39paged_attention_ll4mi_QKV_mfma16_kernelI14__hip_bfloat16hLN4vllm18Fp8KVCacheDataTypeE1ES0_Li32ELi128ELi256ELb1ELi12EL8MFMAType0EEvPKT_PKT0_S9_ifPKiSB_SB_iPKfiiiPfSE_PS4_PT2_iSD_SD_.kd
    .uniform_work_group_size: 1
    .uses_dynamic_stack: false
    .vgpr_count:     140
    .vgpr_spill_count: 0
    .wavefront_size: 32
    .workgroup_processor_mode: 1
  - .args:
      - .actual_access:  read_only
        .address_space:  global
        .offset:         0
        .size:           8
        .value_kind:     global_buffer
      - .actual_access:  read_only
        .address_space:  global
        .offset:         8
        .size:           8
        .value_kind:     global_buffer
      - .actual_access:  read_only
        .address_space:  global
        .offset:         16
        .size:           8
        .value_kind:     global_buffer
      - .offset:         24
        .size:           4
        .value_kind:     by_value
      - .offset:         28
        .size:           4
        .value_kind:     by_value
      - .actual_access:  read_only
        .address_space:  global
        .offset:         32
        .size:           8
        .value_kind:     global_buffer
      - .actual_access:  read_only
        .address_space:  global
        .offset:         40
        .size:           8
        .value_kind:     global_buffer
      - .actual_access:  read_only
        .address_space:  global
        .offset:         48
        .size:           8
        .value_kind:     global_buffer
      - .offset:         56
        .size:           4
        .value_kind:     by_value
      - .actual_access:  read_only
        .address_space:  global
        .offset:         64
        .size:           8
        .value_kind:     global_buffer
      - .offset:         72
        .size:           4
        .value_kind:     by_value
      - .offset:         76
        .size:           4
        .value_kind:     by_value
      - .offset:         80
        .size:           4
        .value_kind:     by_value
      - .actual_access:  write_only
        .address_space:  global
        .offset:         88
        .size:           8
        .value_kind:     global_buffer
      - .actual_access:  write_only
        .address_space:  global
        .offset:         96
        .size:           8
        .value_kind:     global_buffer
      - .actual_access:  write_only
        .address_space:  global
        .offset:         104
        .size:           8
        .value_kind:     global_buffer
      - .actual_access:  read_only
        .address_space:  global
        .offset:         112
        .size:           8
        .value_kind:     global_buffer
      - .offset:         120
        .size:           4
        .value_kind:     by_value
      - .address_space:  global
        .offset:         128
        .size:           8
        .value_kind:     global_buffer
      - .address_space:  global
        .offset:         136
        .size:           8
        .value_kind:     global_buffer
      - .offset:         144
        .size:           4
        .value_kind:     hidden_block_count_x
      - .offset:         148
        .size:           4
        .value_kind:     hidden_block_count_y
      - .offset:         152
        .size:           4
        .value_kind:     hidden_block_count_z
      - .offset:         156
        .size:           2
        .value_kind:     hidden_group_size_x
      - .offset:         158
        .size:           2
        .value_kind:     hidden_group_size_y
      - .offset:         160
        .size:           2
        .value_kind:     hidden_group_size_z
      - .offset:         162
        .size:           2
        .value_kind:     hidden_remainder_x
      - .offset:         164
        .size:           2
        .value_kind:     hidden_remainder_y
      - .offset:         166
        .size:           2
        .value_kind:     hidden_remainder_z
      - .offset:         184
        .size:           8
        .value_kind:     hidden_global_offset_x
      - .offset:         192
        .size:           8
        .value_kind:     hidden_global_offset_y
      - .offset:         200
        .size:           8
        .value_kind:     hidden_global_offset_z
      - .offset:         208
        .size:           2
        .value_kind:     hidden_grid_dims
    .group_segment_fixed_size: 17472
    .kernarg_segment_align: 8
    .kernarg_segment_size: 400
    .language:       OpenCL C
    .language_version:
      - 2
      - 0
    .max_flat_workgroup_size: 256
    .name:           _Z39paged_attention_ll4mi_QKV_mfma16_kernelI14__hip_bfloat16hLN4vllm18Fp8KVCacheDataTypeE1ES0_Li32ELi128ELi256ELb1ELi13EL8MFMAType0EEvPKT_PKT0_S9_ifPKiSB_SB_iPKfiiiPfSE_PS4_PT2_iSD_SD_
    .private_segment_fixed_size: 0
    .sgpr_count:     38
    .sgpr_spill_count: 0
    .symbol:         _Z39paged_attention_ll4mi_QKV_mfma16_kernelI14__hip_bfloat16hLN4vllm18Fp8KVCacheDataTypeE1ES0_Li32ELi128ELi256ELb1ELi13EL8MFMAType0EEvPKT_PKT0_S9_ifPKiSB_SB_iPKfiiiPfSE_PS4_PT2_iSD_SD_.kd
    .uniform_work_group_size: 1
    .uses_dynamic_stack: false
    .vgpr_count:     140
    .vgpr_spill_count: 0
    .wavefront_size: 32
    .workgroup_processor_mode: 1
  - .args:
      - .actual_access:  read_only
        .address_space:  global
        .offset:         0
        .size:           8
        .value_kind:     global_buffer
      - .actual_access:  read_only
        .address_space:  global
        .offset:         8
        .size:           8
        .value_kind:     global_buffer
      - .actual_access:  read_only
        .address_space:  global
        .offset:         16
        .size:           8
        .value_kind:     global_buffer
      - .offset:         24
        .size:           4
        .value_kind:     by_value
      - .offset:         28
        .size:           4
        .value_kind:     by_value
      - .actual_access:  read_only
        .address_space:  global
        .offset:         32
        .size:           8
        .value_kind:     global_buffer
      - .actual_access:  read_only
        .address_space:  global
        .offset:         40
        .size:           8
        .value_kind:     global_buffer
      - .actual_access:  read_only
        .address_space:  global
        .offset:         48
        .size:           8
        .value_kind:     global_buffer
      - .offset:         56
        .size:           4
        .value_kind:     by_value
      - .actual_access:  read_only
        .address_space:  global
        .offset:         64
        .size:           8
        .value_kind:     global_buffer
      - .offset:         72
        .size:           4
        .value_kind:     by_value
      - .offset:         76
        .size:           4
        .value_kind:     by_value
      - .offset:         80
        .size:           4
        .value_kind:     by_value
      - .actual_access:  write_only
        .address_space:  global
        .offset:         88
        .size:           8
        .value_kind:     global_buffer
      - .actual_access:  write_only
        .address_space:  global
        .offset:         96
        .size:           8
        .value_kind:     global_buffer
      - .actual_access:  write_only
        .address_space:  global
        .offset:         104
        .size:           8
        .value_kind:     global_buffer
      - .actual_access:  read_only
        .address_space:  global
        .offset:         112
        .size:           8
        .value_kind:     global_buffer
      - .offset:         120
        .size:           4
        .value_kind:     by_value
      - .address_space:  global
        .offset:         128
        .size:           8
        .value_kind:     global_buffer
      - .address_space:  global
        .offset:         136
        .size:           8
        .value_kind:     global_buffer
      - .offset:         144
        .size:           4
        .value_kind:     hidden_block_count_x
      - .offset:         148
        .size:           4
        .value_kind:     hidden_block_count_y
      - .offset:         152
        .size:           4
        .value_kind:     hidden_block_count_z
      - .offset:         156
        .size:           2
        .value_kind:     hidden_group_size_x
      - .offset:         158
        .size:           2
        .value_kind:     hidden_group_size_y
      - .offset:         160
        .size:           2
        .value_kind:     hidden_group_size_z
      - .offset:         162
        .size:           2
        .value_kind:     hidden_remainder_x
      - .offset:         164
        .size:           2
        .value_kind:     hidden_remainder_y
      - .offset:         166
        .size:           2
        .value_kind:     hidden_remainder_z
      - .offset:         184
        .size:           8
        .value_kind:     hidden_global_offset_x
      - .offset:         192
        .size:           8
        .value_kind:     hidden_global_offset_y
      - .offset:         200
        .size:           8
        .value_kind:     hidden_global_offset_z
      - .offset:         208
        .size:           2
        .value_kind:     hidden_grid_dims
    .group_segment_fixed_size: 17472
    .kernarg_segment_align: 8
    .kernarg_segment_size: 400
    .language:       OpenCL C
    .language_version:
      - 2
      - 0
    .max_flat_workgroup_size: 256
    .name:           _Z39paged_attention_ll4mi_QKV_mfma16_kernelI14__hip_bfloat16hLN4vllm18Fp8KVCacheDataTypeE1ES0_Li32ELi128ELi256ELb1ELi14EL8MFMAType0EEvPKT_PKT0_S9_ifPKiSB_SB_iPKfiiiPfSE_PS4_PT2_iSD_SD_
    .private_segment_fixed_size: 0
    .sgpr_count:     38
    .sgpr_spill_count: 0
    .symbol:         _Z39paged_attention_ll4mi_QKV_mfma16_kernelI14__hip_bfloat16hLN4vllm18Fp8KVCacheDataTypeE1ES0_Li32ELi128ELi256ELb1ELi14EL8MFMAType0EEvPKT_PKT0_S9_ifPKiSB_SB_iPKfiiiPfSE_PS4_PT2_iSD_SD_.kd
    .uniform_work_group_size: 1
    .uses_dynamic_stack: false
    .vgpr_count:     140
    .vgpr_spill_count: 0
    .wavefront_size: 32
    .workgroup_processor_mode: 1
  - .args:
      - .actual_access:  read_only
        .address_space:  global
        .offset:         0
        .size:           8
        .value_kind:     global_buffer
      - .actual_access:  read_only
        .address_space:  global
        .offset:         8
        .size:           8
        .value_kind:     global_buffer
      - .actual_access:  read_only
        .address_space:  global
        .offset:         16
        .size:           8
        .value_kind:     global_buffer
      - .offset:         24
        .size:           4
        .value_kind:     by_value
      - .offset:         28
        .size:           4
        .value_kind:     by_value
      - .actual_access:  read_only
        .address_space:  global
        .offset:         32
        .size:           8
        .value_kind:     global_buffer
      - .actual_access:  read_only
        .address_space:  global
        .offset:         40
        .size:           8
        .value_kind:     global_buffer
      - .actual_access:  read_only
        .address_space:  global
        .offset:         48
        .size:           8
        .value_kind:     global_buffer
      - .offset:         56
        .size:           4
        .value_kind:     by_value
      - .actual_access:  read_only
        .address_space:  global
        .offset:         64
        .size:           8
        .value_kind:     global_buffer
      - .offset:         72
        .size:           4
        .value_kind:     by_value
      - .offset:         76
        .size:           4
        .value_kind:     by_value
      - .offset:         80
        .size:           4
        .value_kind:     by_value
      - .actual_access:  write_only
        .address_space:  global
        .offset:         88
        .size:           8
        .value_kind:     global_buffer
      - .actual_access:  write_only
        .address_space:  global
        .offset:         96
        .size:           8
        .value_kind:     global_buffer
      - .actual_access:  write_only
        .address_space:  global
        .offset:         104
        .size:           8
        .value_kind:     global_buffer
      - .actual_access:  read_only
        .address_space:  global
        .offset:         112
        .size:           8
        .value_kind:     global_buffer
      - .offset:         120
        .size:           4
        .value_kind:     by_value
      - .address_space:  global
        .offset:         128
        .size:           8
        .value_kind:     global_buffer
      - .address_space:  global
        .offset:         136
        .size:           8
        .value_kind:     global_buffer
      - .offset:         144
        .size:           4
        .value_kind:     hidden_block_count_x
      - .offset:         148
        .size:           4
        .value_kind:     hidden_block_count_y
      - .offset:         152
        .size:           4
        .value_kind:     hidden_block_count_z
      - .offset:         156
        .size:           2
        .value_kind:     hidden_group_size_x
      - .offset:         158
        .size:           2
        .value_kind:     hidden_group_size_y
      - .offset:         160
        .size:           2
        .value_kind:     hidden_group_size_z
      - .offset:         162
        .size:           2
        .value_kind:     hidden_remainder_x
      - .offset:         164
        .size:           2
        .value_kind:     hidden_remainder_y
      - .offset:         166
        .size:           2
        .value_kind:     hidden_remainder_z
      - .offset:         184
        .size:           8
        .value_kind:     hidden_global_offset_x
      - .offset:         192
        .size:           8
        .value_kind:     hidden_global_offset_y
      - .offset:         200
        .size:           8
        .value_kind:     hidden_global_offset_z
      - .offset:         208
        .size:           2
        .value_kind:     hidden_grid_dims
    .group_segment_fixed_size: 17472
    .kernarg_segment_align: 8
    .kernarg_segment_size: 400
    .language:       OpenCL C
    .language_version:
      - 2
      - 0
    .max_flat_workgroup_size: 256
    .name:           _Z39paged_attention_ll4mi_QKV_mfma16_kernelI14__hip_bfloat16hLN4vllm18Fp8KVCacheDataTypeE1ES0_Li32ELi128ELi256ELb1ELi15EL8MFMAType0EEvPKT_PKT0_S9_ifPKiSB_SB_iPKfiiiPfSE_PS4_PT2_iSD_SD_
    .private_segment_fixed_size: 0
    .sgpr_count:     38
    .sgpr_spill_count: 0
    .symbol:         _Z39paged_attention_ll4mi_QKV_mfma16_kernelI14__hip_bfloat16hLN4vllm18Fp8KVCacheDataTypeE1ES0_Li32ELi128ELi256ELb1ELi15EL8MFMAType0EEvPKT_PKT0_S9_ifPKiSB_SB_iPKfiiiPfSE_PS4_PT2_iSD_SD_.kd
    .uniform_work_group_size: 1
    .uses_dynamic_stack: false
    .vgpr_count:     140
    .vgpr_spill_count: 0
    .wavefront_size: 32
    .workgroup_processor_mode: 1
  - .args:
      - .actual_access:  read_only
        .address_space:  global
        .offset:         0
        .size:           8
        .value_kind:     global_buffer
      - .actual_access:  read_only
        .address_space:  global
        .offset:         8
        .size:           8
        .value_kind:     global_buffer
      - .actual_access:  read_only
        .address_space:  global
        .offset:         16
        .size:           8
        .value_kind:     global_buffer
      - .offset:         24
        .size:           4
        .value_kind:     by_value
      - .offset:         28
        .size:           4
        .value_kind:     by_value
      - .actual_access:  read_only
        .address_space:  global
        .offset:         32
        .size:           8
        .value_kind:     global_buffer
      - .actual_access:  read_only
        .address_space:  global
        .offset:         40
        .size:           8
        .value_kind:     global_buffer
      - .actual_access:  read_only
        .address_space:  global
        .offset:         48
        .size:           8
        .value_kind:     global_buffer
      - .offset:         56
        .size:           4
        .value_kind:     by_value
      - .actual_access:  read_only
        .address_space:  global
        .offset:         64
        .size:           8
        .value_kind:     global_buffer
      - .offset:         72
        .size:           4
        .value_kind:     by_value
      - .offset:         76
        .size:           4
        .value_kind:     by_value
      - .offset:         80
        .size:           4
        .value_kind:     by_value
      - .actual_access:  write_only
        .address_space:  global
        .offset:         88
        .size:           8
        .value_kind:     global_buffer
      - .actual_access:  write_only
        .address_space:  global
        .offset:         96
        .size:           8
        .value_kind:     global_buffer
      - .actual_access:  write_only
        .address_space:  global
        .offset:         104
        .size:           8
        .value_kind:     global_buffer
      - .actual_access:  read_only
        .address_space:  global
        .offset:         112
        .size:           8
        .value_kind:     global_buffer
      - .offset:         120
        .size:           4
        .value_kind:     by_value
      - .address_space:  global
        .offset:         128
        .size:           8
        .value_kind:     global_buffer
      - .address_space:  global
        .offset:         136
        .size:           8
        .value_kind:     global_buffer
      - .offset:         144
        .size:           4
        .value_kind:     hidden_block_count_x
      - .offset:         148
        .size:           4
        .value_kind:     hidden_block_count_y
      - .offset:         152
        .size:           4
        .value_kind:     hidden_block_count_z
      - .offset:         156
        .size:           2
        .value_kind:     hidden_group_size_x
      - .offset:         158
        .size:           2
        .value_kind:     hidden_group_size_y
      - .offset:         160
        .size:           2
        .value_kind:     hidden_group_size_z
      - .offset:         162
        .size:           2
        .value_kind:     hidden_remainder_x
      - .offset:         164
        .size:           2
        .value_kind:     hidden_remainder_y
      - .offset:         166
        .size:           2
        .value_kind:     hidden_remainder_z
      - .offset:         184
        .size:           8
        .value_kind:     hidden_global_offset_x
      - .offset:         192
        .size:           8
        .value_kind:     hidden_global_offset_y
      - .offset:         200
        .size:           8
        .value_kind:     hidden_global_offset_z
      - .offset:         208
        .size:           2
        .value_kind:     hidden_grid_dims
    .group_segment_fixed_size: 17472
    .kernarg_segment_align: 8
    .kernarg_segment_size: 400
    .language:       OpenCL C
    .language_version:
      - 2
      - 0
    .max_flat_workgroup_size: 256
    .name:           _Z39paged_attention_ll4mi_QKV_mfma16_kernelI14__hip_bfloat16hLN4vllm18Fp8KVCacheDataTypeE1ES0_Li32ELi128ELi256ELb1ELi16EL8MFMAType0EEvPKT_PKT0_S9_ifPKiSB_SB_iPKfiiiPfSE_PS4_PT2_iSD_SD_
    .private_segment_fixed_size: 0
    .sgpr_count:     38
    .sgpr_spill_count: 0
    .symbol:         _Z39paged_attention_ll4mi_QKV_mfma16_kernelI14__hip_bfloat16hLN4vllm18Fp8KVCacheDataTypeE1ES0_Li32ELi128ELi256ELb1ELi16EL8MFMAType0EEvPKT_PKT0_S9_ifPKiSB_SB_iPKfiiiPfSE_PS4_PT2_iSD_SD_.kd
    .uniform_work_group_size: 1
    .uses_dynamic_stack: false
    .vgpr_count:     141
    .vgpr_spill_count: 0
    .wavefront_size: 32
    .workgroup_processor_mode: 1
  - .args:
      - .actual_access:  read_only
        .address_space:  global
        .offset:         0
        .size:           8
        .value_kind:     global_buffer
      - .actual_access:  read_only
        .address_space:  global
        .offset:         8
        .size:           8
        .value_kind:     global_buffer
      - .actual_access:  read_only
        .address_space:  global
        .offset:         16
        .size:           8
        .value_kind:     global_buffer
      - .offset:         24
        .size:           4
        .value_kind:     by_value
      - .offset:         28
        .size:           4
        .value_kind:     by_value
      - .actual_access:  read_only
        .address_space:  global
        .offset:         32
        .size:           8
        .value_kind:     global_buffer
      - .actual_access:  read_only
        .address_space:  global
        .offset:         40
        .size:           8
        .value_kind:     global_buffer
      - .actual_access:  read_only
        .address_space:  global
        .offset:         48
        .size:           8
        .value_kind:     global_buffer
      - .offset:         56
        .size:           4
        .value_kind:     by_value
      - .actual_access:  read_only
        .address_space:  global
        .offset:         64
        .size:           8
        .value_kind:     global_buffer
      - .offset:         72
        .size:           4
        .value_kind:     by_value
      - .offset:         76
        .size:           4
        .value_kind:     by_value
      - .offset:         80
        .size:           4
        .value_kind:     by_value
      - .actual_access:  write_only
        .address_space:  global
        .offset:         88
        .size:           8
        .value_kind:     global_buffer
      - .actual_access:  write_only
        .address_space:  global
        .offset:         96
        .size:           8
        .value_kind:     global_buffer
      - .actual_access:  write_only
        .address_space:  global
        .offset:         104
        .size:           8
        .value_kind:     global_buffer
      - .actual_access:  read_only
        .address_space:  global
        .offset:         112
        .size:           8
        .value_kind:     global_buffer
      - .offset:         120
        .size:           4
        .value_kind:     by_value
      - .address_space:  global
        .offset:         128
        .size:           8
        .value_kind:     global_buffer
      - .address_space:  global
        .offset:         136
        .size:           8
        .value_kind:     global_buffer
      - .offset:         144
        .size:           4
        .value_kind:     hidden_block_count_x
      - .offset:         148
        .size:           4
        .value_kind:     hidden_block_count_y
      - .offset:         152
        .size:           4
        .value_kind:     hidden_block_count_z
      - .offset:         156
        .size:           2
        .value_kind:     hidden_group_size_x
      - .offset:         158
        .size:           2
        .value_kind:     hidden_group_size_y
      - .offset:         160
        .size:           2
        .value_kind:     hidden_group_size_z
      - .offset:         162
        .size:           2
        .value_kind:     hidden_remainder_x
      - .offset:         164
        .size:           2
        .value_kind:     hidden_remainder_y
      - .offset:         166
        .size:           2
        .value_kind:     hidden_remainder_z
      - .offset:         184
        .size:           8
        .value_kind:     hidden_global_offset_x
      - .offset:         192
        .size:           8
        .value_kind:     hidden_global_offset_y
      - .offset:         200
        .size:           8
        .value_kind:     hidden_global_offset_z
      - .offset:         208
        .size:           2
        .value_kind:     hidden_grid_dims
    .group_segment_fixed_size: 17472
    .kernarg_segment_align: 8
    .kernarg_segment_size: 400
    .language:       OpenCL C
    .language_version:
      - 2
      - 0
    .max_flat_workgroup_size: 256
    .name:           _Z39paged_attention_ll4mi_QKV_mfma16_kernelI14__hip_bfloat16hLN4vllm18Fp8KVCacheDataTypeE1ES0_Li32ELi128ELi256ELb1ELi1EL8MFMAType0EEvPKT_PKT0_S9_ifPKiSB_SB_iPKfiiiPfSE_PS4_PT2_iSD_SD_
    .private_segment_fixed_size: 0
    .sgpr_count:     70
    .sgpr_spill_count: 0
    .symbol:         _Z39paged_attention_ll4mi_QKV_mfma16_kernelI14__hip_bfloat16hLN4vllm18Fp8KVCacheDataTypeE1ES0_Li32ELi128ELi256ELb1ELi1EL8MFMAType0EEvPKT_PKT0_S9_ifPKiSB_SB_iPKfiiiPfSE_PS4_PT2_iSD_SD_.kd
    .uniform_work_group_size: 1
    .uses_dynamic_stack: false
    .vgpr_count:     138
    .vgpr_spill_count: 0
    .wavefront_size: 32
    .workgroup_processor_mode: 1
  - .args:
      - .actual_access:  read_only
        .address_space:  global
        .offset:         0
        .size:           8
        .value_kind:     global_buffer
      - .actual_access:  read_only
        .address_space:  global
        .offset:         8
        .size:           8
        .value_kind:     global_buffer
      - .actual_access:  read_only
        .address_space:  global
        .offset:         16
        .size:           8
        .value_kind:     global_buffer
      - .offset:         24
        .size:           4
        .value_kind:     by_value
      - .offset:         28
        .size:           4
        .value_kind:     by_value
      - .actual_access:  read_only
        .address_space:  global
        .offset:         32
        .size:           8
        .value_kind:     global_buffer
      - .actual_access:  read_only
        .address_space:  global
        .offset:         40
        .size:           8
        .value_kind:     global_buffer
      - .actual_access:  read_only
        .address_space:  global
        .offset:         48
        .size:           8
        .value_kind:     global_buffer
      - .offset:         56
        .size:           4
        .value_kind:     by_value
      - .actual_access:  read_only
        .address_space:  global
        .offset:         64
        .size:           8
        .value_kind:     global_buffer
      - .offset:         72
        .size:           4
        .value_kind:     by_value
      - .offset:         76
        .size:           4
        .value_kind:     by_value
      - .offset:         80
        .size:           4
        .value_kind:     by_value
      - .actual_access:  write_only
        .address_space:  global
        .offset:         88
        .size:           8
        .value_kind:     global_buffer
      - .actual_access:  write_only
        .address_space:  global
        .offset:         96
        .size:           8
        .value_kind:     global_buffer
      - .actual_access:  write_only
        .address_space:  global
        .offset:         104
        .size:           8
        .value_kind:     global_buffer
      - .actual_access:  read_only
        .address_space:  global
        .offset:         112
        .size:           8
        .value_kind:     global_buffer
      - .offset:         120
        .size:           4
        .value_kind:     by_value
      - .address_space:  global
        .offset:         128
        .size:           8
        .value_kind:     global_buffer
      - .address_space:  global
        .offset:         136
        .size:           8
        .value_kind:     global_buffer
      - .offset:         144
        .size:           4
        .value_kind:     hidden_block_count_x
      - .offset:         148
        .size:           4
        .value_kind:     hidden_block_count_y
      - .offset:         152
        .size:           4
        .value_kind:     hidden_block_count_z
      - .offset:         156
        .size:           2
        .value_kind:     hidden_group_size_x
      - .offset:         158
        .size:           2
        .value_kind:     hidden_group_size_y
      - .offset:         160
        .size:           2
        .value_kind:     hidden_group_size_z
      - .offset:         162
        .size:           2
        .value_kind:     hidden_remainder_x
      - .offset:         164
        .size:           2
        .value_kind:     hidden_remainder_y
      - .offset:         166
        .size:           2
        .value_kind:     hidden_remainder_z
      - .offset:         184
        .size:           8
        .value_kind:     hidden_global_offset_x
      - .offset:         192
        .size:           8
        .value_kind:     hidden_global_offset_y
      - .offset:         200
        .size:           8
        .value_kind:     hidden_global_offset_z
      - .offset:         208
        .size:           2
        .value_kind:     hidden_grid_dims
    .group_segment_fixed_size: 17472
    .kernarg_segment_align: 8
    .kernarg_segment_size: 400
    .language:       OpenCL C
    .language_version:
      - 2
      - 0
    .max_flat_workgroup_size: 256
    .name:           _Z39paged_attention_ll4mi_QKV_mfma16_kernelI14__hip_bfloat16hLN4vllm18Fp8KVCacheDataTypeE1ES0_Li32ELi128ELi256ELb1ELi2EL8MFMAType0EEvPKT_PKT0_S9_ifPKiSB_SB_iPKfiiiPfSE_PS4_PT2_iSD_SD_
    .private_segment_fixed_size: 0
    .sgpr_count:     39
    .sgpr_spill_count: 0
    .symbol:         _Z39paged_attention_ll4mi_QKV_mfma16_kernelI14__hip_bfloat16hLN4vllm18Fp8KVCacheDataTypeE1ES0_Li32ELi128ELi256ELb1ELi2EL8MFMAType0EEvPKT_PKT0_S9_ifPKiSB_SB_iPKfiiiPfSE_PS4_PT2_iSD_SD_.kd
    .uniform_work_group_size: 1
    .uses_dynamic_stack: false
    .vgpr_count:     138
    .vgpr_spill_count: 0
    .wavefront_size: 32
    .workgroup_processor_mode: 1
  - .args:
      - .actual_access:  read_only
        .address_space:  global
        .offset:         0
        .size:           8
        .value_kind:     global_buffer
      - .actual_access:  read_only
        .address_space:  global
        .offset:         8
        .size:           8
        .value_kind:     global_buffer
      - .actual_access:  read_only
        .address_space:  global
        .offset:         16
        .size:           8
        .value_kind:     global_buffer
      - .offset:         24
        .size:           4
        .value_kind:     by_value
      - .offset:         28
        .size:           4
        .value_kind:     by_value
      - .actual_access:  read_only
        .address_space:  global
        .offset:         32
        .size:           8
        .value_kind:     global_buffer
      - .actual_access:  read_only
        .address_space:  global
        .offset:         40
        .size:           8
        .value_kind:     global_buffer
      - .actual_access:  read_only
        .address_space:  global
        .offset:         48
        .size:           8
        .value_kind:     global_buffer
      - .offset:         56
        .size:           4
        .value_kind:     by_value
      - .actual_access:  read_only
        .address_space:  global
        .offset:         64
        .size:           8
        .value_kind:     global_buffer
      - .offset:         72
        .size:           4
        .value_kind:     by_value
      - .offset:         76
        .size:           4
        .value_kind:     by_value
      - .offset:         80
        .size:           4
        .value_kind:     by_value
      - .actual_access:  write_only
        .address_space:  global
        .offset:         88
        .size:           8
        .value_kind:     global_buffer
      - .actual_access:  write_only
        .address_space:  global
        .offset:         96
        .size:           8
        .value_kind:     global_buffer
      - .actual_access:  write_only
        .address_space:  global
        .offset:         104
        .size:           8
        .value_kind:     global_buffer
      - .actual_access:  read_only
        .address_space:  global
        .offset:         112
        .size:           8
        .value_kind:     global_buffer
      - .offset:         120
        .size:           4
        .value_kind:     by_value
      - .address_space:  global
        .offset:         128
        .size:           8
        .value_kind:     global_buffer
      - .address_space:  global
        .offset:         136
        .size:           8
        .value_kind:     global_buffer
      - .offset:         144
        .size:           4
        .value_kind:     hidden_block_count_x
      - .offset:         148
        .size:           4
        .value_kind:     hidden_block_count_y
      - .offset:         152
        .size:           4
        .value_kind:     hidden_block_count_z
      - .offset:         156
        .size:           2
        .value_kind:     hidden_group_size_x
      - .offset:         158
        .size:           2
        .value_kind:     hidden_group_size_y
      - .offset:         160
        .size:           2
        .value_kind:     hidden_group_size_z
      - .offset:         162
        .size:           2
        .value_kind:     hidden_remainder_x
      - .offset:         164
        .size:           2
        .value_kind:     hidden_remainder_y
      - .offset:         166
        .size:           2
        .value_kind:     hidden_remainder_z
      - .offset:         184
        .size:           8
        .value_kind:     hidden_global_offset_x
      - .offset:         192
        .size:           8
        .value_kind:     hidden_global_offset_y
      - .offset:         200
        .size:           8
        .value_kind:     hidden_global_offset_z
      - .offset:         208
        .size:           2
        .value_kind:     hidden_grid_dims
    .group_segment_fixed_size: 17472
    .kernarg_segment_align: 8
    .kernarg_segment_size: 400
    .language:       OpenCL C
    .language_version:
      - 2
      - 0
    .max_flat_workgroup_size: 256
    .name:           _Z39paged_attention_ll4mi_QKV_mfma16_kernelI14__hip_bfloat16hLN4vllm18Fp8KVCacheDataTypeE1ES0_Li32ELi128ELi256ELb1ELi3EL8MFMAType0EEvPKT_PKT0_S9_ifPKiSB_SB_iPKfiiiPfSE_PS4_PT2_iSD_SD_
    .private_segment_fixed_size: 0
    .sgpr_count:     38
    .sgpr_spill_count: 0
    .symbol:         _Z39paged_attention_ll4mi_QKV_mfma16_kernelI14__hip_bfloat16hLN4vllm18Fp8KVCacheDataTypeE1ES0_Li32ELi128ELi256ELb1ELi3EL8MFMAType0EEvPKT_PKT0_S9_ifPKiSB_SB_iPKfiiiPfSE_PS4_PT2_iSD_SD_.kd
    .uniform_work_group_size: 1
    .uses_dynamic_stack: false
    .vgpr_count:     140
    .vgpr_spill_count: 0
    .wavefront_size: 32
    .workgroup_processor_mode: 1
  - .args:
      - .actual_access:  read_only
        .address_space:  global
        .offset:         0
        .size:           8
        .value_kind:     global_buffer
      - .actual_access:  read_only
        .address_space:  global
        .offset:         8
        .size:           8
        .value_kind:     global_buffer
      - .actual_access:  read_only
        .address_space:  global
        .offset:         16
        .size:           8
        .value_kind:     global_buffer
      - .offset:         24
        .size:           4
        .value_kind:     by_value
      - .offset:         28
        .size:           4
        .value_kind:     by_value
      - .actual_access:  read_only
        .address_space:  global
        .offset:         32
        .size:           8
        .value_kind:     global_buffer
      - .actual_access:  read_only
        .address_space:  global
        .offset:         40
        .size:           8
        .value_kind:     global_buffer
      - .actual_access:  read_only
        .address_space:  global
        .offset:         48
        .size:           8
        .value_kind:     global_buffer
      - .offset:         56
        .size:           4
        .value_kind:     by_value
      - .actual_access:  read_only
        .address_space:  global
        .offset:         64
        .size:           8
        .value_kind:     global_buffer
      - .offset:         72
        .size:           4
        .value_kind:     by_value
      - .offset:         76
        .size:           4
        .value_kind:     by_value
      - .offset:         80
        .size:           4
        .value_kind:     by_value
      - .actual_access:  write_only
        .address_space:  global
        .offset:         88
        .size:           8
        .value_kind:     global_buffer
      - .actual_access:  write_only
        .address_space:  global
        .offset:         96
        .size:           8
        .value_kind:     global_buffer
      - .actual_access:  write_only
        .address_space:  global
        .offset:         104
        .size:           8
        .value_kind:     global_buffer
      - .actual_access:  read_only
        .address_space:  global
        .offset:         112
        .size:           8
        .value_kind:     global_buffer
      - .offset:         120
        .size:           4
        .value_kind:     by_value
      - .address_space:  global
        .offset:         128
        .size:           8
        .value_kind:     global_buffer
      - .address_space:  global
        .offset:         136
        .size:           8
        .value_kind:     global_buffer
      - .offset:         144
        .size:           4
        .value_kind:     hidden_block_count_x
      - .offset:         148
        .size:           4
        .value_kind:     hidden_block_count_y
      - .offset:         152
        .size:           4
        .value_kind:     hidden_block_count_z
      - .offset:         156
        .size:           2
        .value_kind:     hidden_group_size_x
      - .offset:         158
        .size:           2
        .value_kind:     hidden_group_size_y
      - .offset:         160
        .size:           2
        .value_kind:     hidden_group_size_z
      - .offset:         162
        .size:           2
        .value_kind:     hidden_remainder_x
      - .offset:         164
        .size:           2
        .value_kind:     hidden_remainder_y
      - .offset:         166
        .size:           2
        .value_kind:     hidden_remainder_z
      - .offset:         184
        .size:           8
        .value_kind:     hidden_global_offset_x
      - .offset:         192
        .size:           8
        .value_kind:     hidden_global_offset_y
      - .offset:         200
        .size:           8
        .value_kind:     hidden_global_offset_z
      - .offset:         208
        .size:           2
        .value_kind:     hidden_grid_dims
    .group_segment_fixed_size: 17472
    .kernarg_segment_align: 8
    .kernarg_segment_size: 400
    .language:       OpenCL C
    .language_version:
      - 2
      - 0
    .max_flat_workgroup_size: 256
    .name:           _Z39paged_attention_ll4mi_QKV_mfma16_kernelI14__hip_bfloat16hLN4vllm18Fp8KVCacheDataTypeE1ES0_Li32ELi128ELi256ELb1ELi4EL8MFMAType0EEvPKT_PKT0_S9_ifPKiSB_SB_iPKfiiiPfSE_PS4_PT2_iSD_SD_
    .private_segment_fixed_size: 0
    .sgpr_count:     38
    .sgpr_spill_count: 0
    .symbol:         _Z39paged_attention_ll4mi_QKV_mfma16_kernelI14__hip_bfloat16hLN4vllm18Fp8KVCacheDataTypeE1ES0_Li32ELi128ELi256ELb1ELi4EL8MFMAType0EEvPKT_PKT0_S9_ifPKiSB_SB_iPKfiiiPfSE_PS4_PT2_iSD_SD_.kd
    .uniform_work_group_size: 1
    .uses_dynamic_stack: false
    .vgpr_count:     140
    .vgpr_spill_count: 0
    .wavefront_size: 32
    .workgroup_processor_mode: 1
  - .args:
      - .actual_access:  read_only
        .address_space:  global
        .offset:         0
        .size:           8
        .value_kind:     global_buffer
      - .actual_access:  read_only
        .address_space:  global
        .offset:         8
        .size:           8
        .value_kind:     global_buffer
      - .actual_access:  read_only
        .address_space:  global
        .offset:         16
        .size:           8
        .value_kind:     global_buffer
      - .offset:         24
        .size:           4
        .value_kind:     by_value
      - .offset:         28
        .size:           4
        .value_kind:     by_value
      - .actual_access:  read_only
        .address_space:  global
        .offset:         32
        .size:           8
        .value_kind:     global_buffer
      - .actual_access:  read_only
        .address_space:  global
        .offset:         40
        .size:           8
        .value_kind:     global_buffer
      - .actual_access:  read_only
        .address_space:  global
        .offset:         48
        .size:           8
        .value_kind:     global_buffer
      - .offset:         56
        .size:           4
        .value_kind:     by_value
      - .actual_access:  read_only
        .address_space:  global
        .offset:         64
        .size:           8
        .value_kind:     global_buffer
      - .offset:         72
        .size:           4
        .value_kind:     by_value
      - .offset:         76
        .size:           4
        .value_kind:     by_value
      - .offset:         80
        .size:           4
        .value_kind:     by_value
      - .actual_access:  write_only
        .address_space:  global
        .offset:         88
        .size:           8
        .value_kind:     global_buffer
      - .actual_access:  write_only
        .address_space:  global
        .offset:         96
        .size:           8
        .value_kind:     global_buffer
      - .actual_access:  write_only
        .address_space:  global
        .offset:         104
        .size:           8
        .value_kind:     global_buffer
      - .actual_access:  read_only
        .address_space:  global
        .offset:         112
        .size:           8
        .value_kind:     global_buffer
      - .offset:         120
        .size:           4
        .value_kind:     by_value
      - .address_space:  global
        .offset:         128
        .size:           8
        .value_kind:     global_buffer
      - .address_space:  global
        .offset:         136
        .size:           8
        .value_kind:     global_buffer
      - .offset:         144
        .size:           4
        .value_kind:     hidden_block_count_x
      - .offset:         148
        .size:           4
        .value_kind:     hidden_block_count_y
      - .offset:         152
        .size:           4
        .value_kind:     hidden_block_count_z
      - .offset:         156
        .size:           2
        .value_kind:     hidden_group_size_x
      - .offset:         158
        .size:           2
        .value_kind:     hidden_group_size_y
      - .offset:         160
        .size:           2
        .value_kind:     hidden_group_size_z
      - .offset:         162
        .size:           2
        .value_kind:     hidden_remainder_x
      - .offset:         164
        .size:           2
        .value_kind:     hidden_remainder_y
      - .offset:         166
        .size:           2
        .value_kind:     hidden_remainder_z
      - .offset:         184
        .size:           8
        .value_kind:     hidden_global_offset_x
      - .offset:         192
        .size:           8
        .value_kind:     hidden_global_offset_y
      - .offset:         200
        .size:           8
        .value_kind:     hidden_global_offset_z
      - .offset:         208
        .size:           2
        .value_kind:     hidden_grid_dims
    .group_segment_fixed_size: 17472
    .kernarg_segment_align: 8
    .kernarg_segment_size: 400
    .language:       OpenCL C
    .language_version:
      - 2
      - 0
    .max_flat_workgroup_size: 256
    .name:           _Z39paged_attention_ll4mi_QKV_mfma16_kernelI14__hip_bfloat16hLN4vllm18Fp8KVCacheDataTypeE1ES0_Li32ELi128ELi256ELb0ELi5EL8MFMAType0EEvPKT_PKT0_S9_ifPKiSB_SB_iPKfiiiPfSE_PS4_PT2_iSD_SD_
    .private_segment_fixed_size: 0
    .sgpr_count:     38
    .sgpr_spill_count: 0
    .symbol:         _Z39paged_attention_ll4mi_QKV_mfma16_kernelI14__hip_bfloat16hLN4vllm18Fp8KVCacheDataTypeE1ES0_Li32ELi128ELi256ELb0ELi5EL8MFMAType0EEvPKT_PKT0_S9_ifPKiSB_SB_iPKfiiiPfSE_PS4_PT2_iSD_SD_.kd
    .uniform_work_group_size: 1
    .uses_dynamic_stack: false
    .vgpr_count:     140
    .vgpr_spill_count: 0
    .wavefront_size: 32
    .workgroup_processor_mode: 1
  - .args:
      - .actual_access:  read_only
        .address_space:  global
        .offset:         0
        .size:           8
        .value_kind:     global_buffer
      - .actual_access:  read_only
        .address_space:  global
        .offset:         8
        .size:           8
        .value_kind:     global_buffer
      - .actual_access:  read_only
        .address_space:  global
        .offset:         16
        .size:           8
        .value_kind:     global_buffer
      - .offset:         24
        .size:           4
        .value_kind:     by_value
      - .offset:         28
        .size:           4
        .value_kind:     by_value
      - .actual_access:  read_only
        .address_space:  global
        .offset:         32
        .size:           8
        .value_kind:     global_buffer
      - .actual_access:  read_only
        .address_space:  global
        .offset:         40
        .size:           8
        .value_kind:     global_buffer
      - .actual_access:  read_only
        .address_space:  global
        .offset:         48
        .size:           8
        .value_kind:     global_buffer
      - .offset:         56
        .size:           4
        .value_kind:     by_value
      - .actual_access:  read_only
        .address_space:  global
        .offset:         64
        .size:           8
        .value_kind:     global_buffer
      - .offset:         72
        .size:           4
        .value_kind:     by_value
      - .offset:         76
        .size:           4
        .value_kind:     by_value
      - .offset:         80
        .size:           4
        .value_kind:     by_value
      - .actual_access:  write_only
        .address_space:  global
        .offset:         88
        .size:           8
        .value_kind:     global_buffer
      - .actual_access:  write_only
        .address_space:  global
        .offset:         96
        .size:           8
        .value_kind:     global_buffer
      - .actual_access:  write_only
        .address_space:  global
        .offset:         104
        .size:           8
        .value_kind:     global_buffer
      - .actual_access:  read_only
        .address_space:  global
        .offset:         112
        .size:           8
        .value_kind:     global_buffer
      - .offset:         120
        .size:           4
        .value_kind:     by_value
      - .address_space:  global
        .offset:         128
        .size:           8
        .value_kind:     global_buffer
      - .address_space:  global
        .offset:         136
        .size:           8
        .value_kind:     global_buffer
      - .offset:         144
        .size:           4
        .value_kind:     hidden_block_count_x
      - .offset:         148
        .size:           4
        .value_kind:     hidden_block_count_y
      - .offset:         152
        .size:           4
        .value_kind:     hidden_block_count_z
      - .offset:         156
        .size:           2
        .value_kind:     hidden_group_size_x
      - .offset:         158
        .size:           2
        .value_kind:     hidden_group_size_y
      - .offset:         160
        .size:           2
        .value_kind:     hidden_group_size_z
      - .offset:         162
        .size:           2
        .value_kind:     hidden_remainder_x
      - .offset:         164
        .size:           2
        .value_kind:     hidden_remainder_y
      - .offset:         166
        .size:           2
        .value_kind:     hidden_remainder_z
      - .offset:         184
        .size:           8
        .value_kind:     hidden_global_offset_x
      - .offset:         192
        .size:           8
        .value_kind:     hidden_global_offset_y
      - .offset:         200
        .size:           8
        .value_kind:     hidden_global_offset_z
      - .offset:         208
        .size:           2
        .value_kind:     hidden_grid_dims
    .group_segment_fixed_size: 17472
    .kernarg_segment_align: 8
    .kernarg_segment_size: 400
    .language:       OpenCL C
    .language_version:
      - 2
      - 0
    .max_flat_workgroup_size: 256
    .name:           _Z39paged_attention_ll4mi_QKV_mfma16_kernelI14__hip_bfloat16hLN4vllm18Fp8KVCacheDataTypeE1ES0_Li32ELi128ELi256ELb0ELi6EL8MFMAType0EEvPKT_PKT0_S9_ifPKiSB_SB_iPKfiiiPfSE_PS4_PT2_iSD_SD_
    .private_segment_fixed_size: 0
    .sgpr_count:     38
    .sgpr_spill_count: 0
    .symbol:         _Z39paged_attention_ll4mi_QKV_mfma16_kernelI14__hip_bfloat16hLN4vllm18Fp8KVCacheDataTypeE1ES0_Li32ELi128ELi256ELb0ELi6EL8MFMAType0EEvPKT_PKT0_S9_ifPKiSB_SB_iPKfiiiPfSE_PS4_PT2_iSD_SD_.kd
    .uniform_work_group_size: 1
    .uses_dynamic_stack: false
    .vgpr_count:     140
    .vgpr_spill_count: 0
    .wavefront_size: 32
    .workgroup_processor_mode: 1
  - .args:
      - .actual_access:  read_only
        .address_space:  global
        .offset:         0
        .size:           8
        .value_kind:     global_buffer
      - .actual_access:  read_only
        .address_space:  global
        .offset:         8
        .size:           8
        .value_kind:     global_buffer
      - .actual_access:  read_only
        .address_space:  global
        .offset:         16
        .size:           8
        .value_kind:     global_buffer
      - .offset:         24
        .size:           4
        .value_kind:     by_value
      - .offset:         28
        .size:           4
        .value_kind:     by_value
      - .actual_access:  read_only
        .address_space:  global
        .offset:         32
        .size:           8
        .value_kind:     global_buffer
      - .actual_access:  read_only
        .address_space:  global
        .offset:         40
        .size:           8
        .value_kind:     global_buffer
      - .actual_access:  read_only
        .address_space:  global
        .offset:         48
        .size:           8
        .value_kind:     global_buffer
      - .offset:         56
        .size:           4
        .value_kind:     by_value
      - .actual_access:  read_only
        .address_space:  global
        .offset:         64
        .size:           8
        .value_kind:     global_buffer
      - .offset:         72
        .size:           4
        .value_kind:     by_value
      - .offset:         76
        .size:           4
        .value_kind:     by_value
      - .offset:         80
        .size:           4
        .value_kind:     by_value
      - .actual_access:  write_only
        .address_space:  global
        .offset:         88
        .size:           8
        .value_kind:     global_buffer
      - .actual_access:  write_only
        .address_space:  global
        .offset:         96
        .size:           8
        .value_kind:     global_buffer
      - .actual_access:  write_only
        .address_space:  global
        .offset:         104
        .size:           8
        .value_kind:     global_buffer
      - .actual_access:  read_only
        .address_space:  global
        .offset:         112
        .size:           8
        .value_kind:     global_buffer
      - .offset:         120
        .size:           4
        .value_kind:     by_value
      - .address_space:  global
        .offset:         128
        .size:           8
        .value_kind:     global_buffer
      - .address_space:  global
        .offset:         136
        .size:           8
        .value_kind:     global_buffer
      - .offset:         144
        .size:           4
        .value_kind:     hidden_block_count_x
      - .offset:         148
        .size:           4
        .value_kind:     hidden_block_count_y
      - .offset:         152
        .size:           4
        .value_kind:     hidden_block_count_z
      - .offset:         156
        .size:           2
        .value_kind:     hidden_group_size_x
      - .offset:         158
        .size:           2
        .value_kind:     hidden_group_size_y
      - .offset:         160
        .size:           2
        .value_kind:     hidden_group_size_z
      - .offset:         162
        .size:           2
        .value_kind:     hidden_remainder_x
      - .offset:         164
        .size:           2
        .value_kind:     hidden_remainder_y
      - .offset:         166
        .size:           2
        .value_kind:     hidden_remainder_z
      - .offset:         184
        .size:           8
        .value_kind:     hidden_global_offset_x
      - .offset:         192
        .size:           8
        .value_kind:     hidden_global_offset_y
      - .offset:         200
        .size:           8
        .value_kind:     hidden_global_offset_z
      - .offset:         208
        .size:           2
        .value_kind:     hidden_grid_dims
    .group_segment_fixed_size: 17472
    .kernarg_segment_align: 8
    .kernarg_segment_size: 400
    .language:       OpenCL C
    .language_version:
      - 2
      - 0
    .max_flat_workgroup_size: 256
    .name:           _Z39paged_attention_ll4mi_QKV_mfma16_kernelI14__hip_bfloat16hLN4vllm18Fp8KVCacheDataTypeE1ES0_Li32ELi128ELi256ELb0ELi7EL8MFMAType0EEvPKT_PKT0_S9_ifPKiSB_SB_iPKfiiiPfSE_PS4_PT2_iSD_SD_
    .private_segment_fixed_size: 0
    .sgpr_count:     38
    .sgpr_spill_count: 0
    .symbol:         _Z39paged_attention_ll4mi_QKV_mfma16_kernelI14__hip_bfloat16hLN4vllm18Fp8KVCacheDataTypeE1ES0_Li32ELi128ELi256ELb0ELi7EL8MFMAType0EEvPKT_PKT0_S9_ifPKiSB_SB_iPKfiiiPfSE_PS4_PT2_iSD_SD_.kd
    .uniform_work_group_size: 1
    .uses_dynamic_stack: false
    .vgpr_count:     140
    .vgpr_spill_count: 0
    .wavefront_size: 32
    .workgroup_processor_mode: 1
  - .args:
      - .actual_access:  read_only
        .address_space:  global
        .offset:         0
        .size:           8
        .value_kind:     global_buffer
      - .actual_access:  read_only
        .address_space:  global
        .offset:         8
        .size:           8
        .value_kind:     global_buffer
      - .actual_access:  read_only
        .address_space:  global
        .offset:         16
        .size:           8
        .value_kind:     global_buffer
      - .offset:         24
        .size:           4
        .value_kind:     by_value
      - .offset:         28
        .size:           4
        .value_kind:     by_value
      - .actual_access:  read_only
        .address_space:  global
        .offset:         32
        .size:           8
        .value_kind:     global_buffer
      - .actual_access:  read_only
        .address_space:  global
        .offset:         40
        .size:           8
        .value_kind:     global_buffer
      - .actual_access:  read_only
        .address_space:  global
        .offset:         48
        .size:           8
        .value_kind:     global_buffer
      - .offset:         56
        .size:           4
        .value_kind:     by_value
      - .actual_access:  read_only
        .address_space:  global
        .offset:         64
        .size:           8
        .value_kind:     global_buffer
      - .offset:         72
        .size:           4
        .value_kind:     by_value
      - .offset:         76
        .size:           4
        .value_kind:     by_value
      - .offset:         80
        .size:           4
        .value_kind:     by_value
      - .actual_access:  write_only
        .address_space:  global
        .offset:         88
        .size:           8
        .value_kind:     global_buffer
      - .actual_access:  write_only
        .address_space:  global
        .offset:         96
        .size:           8
        .value_kind:     global_buffer
      - .actual_access:  write_only
        .address_space:  global
        .offset:         104
        .size:           8
        .value_kind:     global_buffer
      - .actual_access:  read_only
        .address_space:  global
        .offset:         112
        .size:           8
        .value_kind:     global_buffer
      - .offset:         120
        .size:           4
        .value_kind:     by_value
      - .address_space:  global
        .offset:         128
        .size:           8
        .value_kind:     global_buffer
      - .address_space:  global
        .offset:         136
        .size:           8
        .value_kind:     global_buffer
      - .offset:         144
        .size:           4
        .value_kind:     hidden_block_count_x
      - .offset:         148
        .size:           4
        .value_kind:     hidden_block_count_y
      - .offset:         152
        .size:           4
        .value_kind:     hidden_block_count_z
      - .offset:         156
        .size:           2
        .value_kind:     hidden_group_size_x
      - .offset:         158
        .size:           2
        .value_kind:     hidden_group_size_y
      - .offset:         160
        .size:           2
        .value_kind:     hidden_group_size_z
      - .offset:         162
        .size:           2
        .value_kind:     hidden_remainder_x
      - .offset:         164
        .size:           2
        .value_kind:     hidden_remainder_y
      - .offset:         166
        .size:           2
        .value_kind:     hidden_remainder_z
      - .offset:         184
        .size:           8
        .value_kind:     hidden_global_offset_x
      - .offset:         192
        .size:           8
        .value_kind:     hidden_global_offset_y
      - .offset:         200
        .size:           8
        .value_kind:     hidden_global_offset_z
      - .offset:         208
        .size:           2
        .value_kind:     hidden_grid_dims
    .group_segment_fixed_size: 17472
    .kernarg_segment_align: 8
    .kernarg_segment_size: 400
    .language:       OpenCL C
    .language_version:
      - 2
      - 0
    .max_flat_workgroup_size: 256
    .name:           _Z39paged_attention_ll4mi_QKV_mfma16_kernelI14__hip_bfloat16hLN4vllm18Fp8KVCacheDataTypeE1ES0_Li32ELi128ELi256ELb0ELi8EL8MFMAType0EEvPKT_PKT0_S9_ifPKiSB_SB_iPKfiiiPfSE_PS4_PT2_iSD_SD_
    .private_segment_fixed_size: 0
    .sgpr_count:     38
    .sgpr_spill_count: 0
    .symbol:         _Z39paged_attention_ll4mi_QKV_mfma16_kernelI14__hip_bfloat16hLN4vllm18Fp8KVCacheDataTypeE1ES0_Li32ELi128ELi256ELb0ELi8EL8MFMAType0EEvPKT_PKT0_S9_ifPKiSB_SB_iPKfiiiPfSE_PS4_PT2_iSD_SD_.kd
    .uniform_work_group_size: 1
    .uses_dynamic_stack: false
    .vgpr_count:     140
    .vgpr_spill_count: 0
    .wavefront_size: 32
    .workgroup_processor_mode: 1
  - .args:
      - .actual_access:  read_only
        .address_space:  global
        .offset:         0
        .size:           8
        .value_kind:     global_buffer
      - .actual_access:  read_only
        .address_space:  global
        .offset:         8
        .size:           8
        .value_kind:     global_buffer
      - .actual_access:  read_only
        .address_space:  global
        .offset:         16
        .size:           8
        .value_kind:     global_buffer
      - .offset:         24
        .size:           4
        .value_kind:     by_value
      - .offset:         28
        .size:           4
        .value_kind:     by_value
      - .actual_access:  read_only
        .address_space:  global
        .offset:         32
        .size:           8
        .value_kind:     global_buffer
      - .actual_access:  read_only
        .address_space:  global
        .offset:         40
        .size:           8
        .value_kind:     global_buffer
      - .actual_access:  read_only
        .address_space:  global
        .offset:         48
        .size:           8
        .value_kind:     global_buffer
      - .offset:         56
        .size:           4
        .value_kind:     by_value
      - .actual_access:  read_only
        .address_space:  global
        .offset:         64
        .size:           8
        .value_kind:     global_buffer
      - .offset:         72
        .size:           4
        .value_kind:     by_value
      - .offset:         76
        .size:           4
        .value_kind:     by_value
      - .offset:         80
        .size:           4
        .value_kind:     by_value
      - .actual_access:  write_only
        .address_space:  global
        .offset:         88
        .size:           8
        .value_kind:     global_buffer
      - .actual_access:  write_only
        .address_space:  global
        .offset:         96
        .size:           8
        .value_kind:     global_buffer
      - .actual_access:  write_only
        .address_space:  global
        .offset:         104
        .size:           8
        .value_kind:     global_buffer
      - .actual_access:  read_only
        .address_space:  global
        .offset:         112
        .size:           8
        .value_kind:     global_buffer
      - .offset:         120
        .size:           4
        .value_kind:     by_value
      - .address_space:  global
        .offset:         128
        .size:           8
        .value_kind:     global_buffer
      - .address_space:  global
        .offset:         136
        .size:           8
        .value_kind:     global_buffer
      - .offset:         144
        .size:           4
        .value_kind:     hidden_block_count_x
      - .offset:         148
        .size:           4
        .value_kind:     hidden_block_count_y
      - .offset:         152
        .size:           4
        .value_kind:     hidden_block_count_z
      - .offset:         156
        .size:           2
        .value_kind:     hidden_group_size_x
      - .offset:         158
        .size:           2
        .value_kind:     hidden_group_size_y
      - .offset:         160
        .size:           2
        .value_kind:     hidden_group_size_z
      - .offset:         162
        .size:           2
        .value_kind:     hidden_remainder_x
      - .offset:         164
        .size:           2
        .value_kind:     hidden_remainder_y
      - .offset:         166
        .size:           2
        .value_kind:     hidden_remainder_z
      - .offset:         184
        .size:           8
        .value_kind:     hidden_global_offset_x
      - .offset:         192
        .size:           8
        .value_kind:     hidden_global_offset_y
      - .offset:         200
        .size:           8
        .value_kind:     hidden_global_offset_z
      - .offset:         208
        .size:           2
        .value_kind:     hidden_grid_dims
    .group_segment_fixed_size: 17472
    .kernarg_segment_align: 8
    .kernarg_segment_size: 400
    .language:       OpenCL C
    .language_version:
      - 2
      - 0
    .max_flat_workgroup_size: 256
    .name:           _Z39paged_attention_ll4mi_QKV_mfma16_kernelI14__hip_bfloat16hLN4vllm18Fp8KVCacheDataTypeE1ES0_Li32ELi128ELi256ELb0ELi9EL8MFMAType0EEvPKT_PKT0_S9_ifPKiSB_SB_iPKfiiiPfSE_PS4_PT2_iSD_SD_
    .private_segment_fixed_size: 0
    .sgpr_count:     38
    .sgpr_spill_count: 0
    .symbol:         _Z39paged_attention_ll4mi_QKV_mfma16_kernelI14__hip_bfloat16hLN4vllm18Fp8KVCacheDataTypeE1ES0_Li32ELi128ELi256ELb0ELi9EL8MFMAType0EEvPKT_PKT0_S9_ifPKiSB_SB_iPKfiiiPfSE_PS4_PT2_iSD_SD_.kd
    .uniform_work_group_size: 1
    .uses_dynamic_stack: false
    .vgpr_count:     140
    .vgpr_spill_count: 0
    .wavefront_size: 32
    .workgroup_processor_mode: 1
  - .args:
      - .actual_access:  read_only
        .address_space:  global
        .offset:         0
        .size:           8
        .value_kind:     global_buffer
      - .actual_access:  read_only
        .address_space:  global
        .offset:         8
        .size:           8
        .value_kind:     global_buffer
      - .actual_access:  read_only
        .address_space:  global
        .offset:         16
        .size:           8
        .value_kind:     global_buffer
      - .offset:         24
        .size:           4
        .value_kind:     by_value
      - .offset:         28
        .size:           4
        .value_kind:     by_value
      - .actual_access:  read_only
        .address_space:  global
        .offset:         32
        .size:           8
        .value_kind:     global_buffer
      - .actual_access:  read_only
        .address_space:  global
        .offset:         40
        .size:           8
        .value_kind:     global_buffer
      - .actual_access:  read_only
        .address_space:  global
        .offset:         48
        .size:           8
        .value_kind:     global_buffer
      - .offset:         56
        .size:           4
        .value_kind:     by_value
      - .actual_access:  read_only
        .address_space:  global
        .offset:         64
        .size:           8
        .value_kind:     global_buffer
      - .offset:         72
        .size:           4
        .value_kind:     by_value
      - .offset:         76
        .size:           4
        .value_kind:     by_value
      - .offset:         80
        .size:           4
        .value_kind:     by_value
      - .actual_access:  write_only
        .address_space:  global
        .offset:         88
        .size:           8
        .value_kind:     global_buffer
      - .actual_access:  write_only
        .address_space:  global
        .offset:         96
        .size:           8
        .value_kind:     global_buffer
      - .actual_access:  write_only
        .address_space:  global
        .offset:         104
        .size:           8
        .value_kind:     global_buffer
      - .actual_access:  read_only
        .address_space:  global
        .offset:         112
        .size:           8
        .value_kind:     global_buffer
      - .offset:         120
        .size:           4
        .value_kind:     by_value
      - .address_space:  global
        .offset:         128
        .size:           8
        .value_kind:     global_buffer
      - .address_space:  global
        .offset:         136
        .size:           8
        .value_kind:     global_buffer
      - .offset:         144
        .size:           4
        .value_kind:     hidden_block_count_x
      - .offset:         148
        .size:           4
        .value_kind:     hidden_block_count_y
      - .offset:         152
        .size:           4
        .value_kind:     hidden_block_count_z
      - .offset:         156
        .size:           2
        .value_kind:     hidden_group_size_x
      - .offset:         158
        .size:           2
        .value_kind:     hidden_group_size_y
      - .offset:         160
        .size:           2
        .value_kind:     hidden_group_size_z
      - .offset:         162
        .size:           2
        .value_kind:     hidden_remainder_x
      - .offset:         164
        .size:           2
        .value_kind:     hidden_remainder_y
      - .offset:         166
        .size:           2
        .value_kind:     hidden_remainder_z
      - .offset:         184
        .size:           8
        .value_kind:     hidden_global_offset_x
      - .offset:         192
        .size:           8
        .value_kind:     hidden_global_offset_y
      - .offset:         200
        .size:           8
        .value_kind:     hidden_global_offset_z
      - .offset:         208
        .size:           2
        .value_kind:     hidden_grid_dims
    .group_segment_fixed_size: 17472
    .kernarg_segment_align: 8
    .kernarg_segment_size: 400
    .language:       OpenCL C
    .language_version:
      - 2
      - 0
    .max_flat_workgroup_size: 256
    .name:           _Z39paged_attention_ll4mi_QKV_mfma16_kernelI14__hip_bfloat16hLN4vllm18Fp8KVCacheDataTypeE1ES0_Li32ELi128ELi256ELb0ELi10EL8MFMAType0EEvPKT_PKT0_S9_ifPKiSB_SB_iPKfiiiPfSE_PS4_PT2_iSD_SD_
    .private_segment_fixed_size: 0
    .sgpr_count:     38
    .sgpr_spill_count: 0
    .symbol:         _Z39paged_attention_ll4mi_QKV_mfma16_kernelI14__hip_bfloat16hLN4vllm18Fp8KVCacheDataTypeE1ES0_Li32ELi128ELi256ELb0ELi10EL8MFMAType0EEvPKT_PKT0_S9_ifPKiSB_SB_iPKfiiiPfSE_PS4_PT2_iSD_SD_.kd
    .uniform_work_group_size: 1
    .uses_dynamic_stack: false
    .vgpr_count:     140
    .vgpr_spill_count: 0
    .wavefront_size: 32
    .workgroup_processor_mode: 1
  - .args:
      - .actual_access:  read_only
        .address_space:  global
        .offset:         0
        .size:           8
        .value_kind:     global_buffer
      - .actual_access:  read_only
        .address_space:  global
        .offset:         8
        .size:           8
        .value_kind:     global_buffer
      - .actual_access:  read_only
        .address_space:  global
        .offset:         16
        .size:           8
        .value_kind:     global_buffer
      - .offset:         24
        .size:           4
        .value_kind:     by_value
      - .offset:         28
        .size:           4
        .value_kind:     by_value
      - .actual_access:  read_only
        .address_space:  global
        .offset:         32
        .size:           8
        .value_kind:     global_buffer
      - .actual_access:  read_only
        .address_space:  global
        .offset:         40
        .size:           8
        .value_kind:     global_buffer
      - .actual_access:  read_only
        .address_space:  global
        .offset:         48
        .size:           8
        .value_kind:     global_buffer
      - .offset:         56
        .size:           4
        .value_kind:     by_value
      - .actual_access:  read_only
        .address_space:  global
        .offset:         64
        .size:           8
        .value_kind:     global_buffer
      - .offset:         72
        .size:           4
        .value_kind:     by_value
      - .offset:         76
        .size:           4
        .value_kind:     by_value
      - .offset:         80
        .size:           4
        .value_kind:     by_value
      - .actual_access:  write_only
        .address_space:  global
        .offset:         88
        .size:           8
        .value_kind:     global_buffer
      - .actual_access:  write_only
        .address_space:  global
        .offset:         96
        .size:           8
        .value_kind:     global_buffer
      - .actual_access:  write_only
        .address_space:  global
        .offset:         104
        .size:           8
        .value_kind:     global_buffer
      - .actual_access:  read_only
        .address_space:  global
        .offset:         112
        .size:           8
        .value_kind:     global_buffer
      - .offset:         120
        .size:           4
        .value_kind:     by_value
      - .address_space:  global
        .offset:         128
        .size:           8
        .value_kind:     global_buffer
      - .address_space:  global
        .offset:         136
        .size:           8
        .value_kind:     global_buffer
      - .offset:         144
        .size:           4
        .value_kind:     hidden_block_count_x
      - .offset:         148
        .size:           4
        .value_kind:     hidden_block_count_y
      - .offset:         152
        .size:           4
        .value_kind:     hidden_block_count_z
      - .offset:         156
        .size:           2
        .value_kind:     hidden_group_size_x
      - .offset:         158
        .size:           2
        .value_kind:     hidden_group_size_y
      - .offset:         160
        .size:           2
        .value_kind:     hidden_group_size_z
      - .offset:         162
        .size:           2
        .value_kind:     hidden_remainder_x
      - .offset:         164
        .size:           2
        .value_kind:     hidden_remainder_y
      - .offset:         166
        .size:           2
        .value_kind:     hidden_remainder_z
      - .offset:         184
        .size:           8
        .value_kind:     hidden_global_offset_x
      - .offset:         192
        .size:           8
        .value_kind:     hidden_global_offset_y
      - .offset:         200
        .size:           8
        .value_kind:     hidden_global_offset_z
      - .offset:         208
        .size:           2
        .value_kind:     hidden_grid_dims
    .group_segment_fixed_size: 17472
    .kernarg_segment_align: 8
    .kernarg_segment_size: 400
    .language:       OpenCL C
    .language_version:
      - 2
      - 0
    .max_flat_workgroup_size: 256
    .name:           _Z39paged_attention_ll4mi_QKV_mfma16_kernelI14__hip_bfloat16hLN4vllm18Fp8KVCacheDataTypeE1ES0_Li32ELi128ELi256ELb0ELi11EL8MFMAType0EEvPKT_PKT0_S9_ifPKiSB_SB_iPKfiiiPfSE_PS4_PT2_iSD_SD_
    .private_segment_fixed_size: 0
    .sgpr_count:     38
    .sgpr_spill_count: 0
    .symbol:         _Z39paged_attention_ll4mi_QKV_mfma16_kernelI14__hip_bfloat16hLN4vllm18Fp8KVCacheDataTypeE1ES0_Li32ELi128ELi256ELb0ELi11EL8MFMAType0EEvPKT_PKT0_S9_ifPKiSB_SB_iPKfiiiPfSE_PS4_PT2_iSD_SD_.kd
    .uniform_work_group_size: 1
    .uses_dynamic_stack: false
    .vgpr_count:     140
    .vgpr_spill_count: 0
    .wavefront_size: 32
    .workgroup_processor_mode: 1
  - .args:
      - .actual_access:  read_only
        .address_space:  global
        .offset:         0
        .size:           8
        .value_kind:     global_buffer
      - .actual_access:  read_only
        .address_space:  global
        .offset:         8
        .size:           8
        .value_kind:     global_buffer
      - .actual_access:  read_only
        .address_space:  global
        .offset:         16
        .size:           8
        .value_kind:     global_buffer
      - .offset:         24
        .size:           4
        .value_kind:     by_value
      - .offset:         28
        .size:           4
        .value_kind:     by_value
      - .actual_access:  read_only
        .address_space:  global
        .offset:         32
        .size:           8
        .value_kind:     global_buffer
      - .actual_access:  read_only
        .address_space:  global
        .offset:         40
        .size:           8
        .value_kind:     global_buffer
      - .actual_access:  read_only
        .address_space:  global
        .offset:         48
        .size:           8
        .value_kind:     global_buffer
      - .offset:         56
        .size:           4
        .value_kind:     by_value
      - .actual_access:  read_only
        .address_space:  global
        .offset:         64
        .size:           8
        .value_kind:     global_buffer
      - .offset:         72
        .size:           4
        .value_kind:     by_value
      - .offset:         76
        .size:           4
        .value_kind:     by_value
      - .offset:         80
        .size:           4
        .value_kind:     by_value
      - .actual_access:  write_only
        .address_space:  global
        .offset:         88
        .size:           8
        .value_kind:     global_buffer
      - .actual_access:  write_only
        .address_space:  global
        .offset:         96
        .size:           8
        .value_kind:     global_buffer
      - .actual_access:  write_only
        .address_space:  global
        .offset:         104
        .size:           8
        .value_kind:     global_buffer
      - .actual_access:  read_only
        .address_space:  global
        .offset:         112
        .size:           8
        .value_kind:     global_buffer
      - .offset:         120
        .size:           4
        .value_kind:     by_value
      - .address_space:  global
        .offset:         128
        .size:           8
        .value_kind:     global_buffer
      - .address_space:  global
        .offset:         136
        .size:           8
        .value_kind:     global_buffer
      - .offset:         144
        .size:           4
        .value_kind:     hidden_block_count_x
      - .offset:         148
        .size:           4
        .value_kind:     hidden_block_count_y
      - .offset:         152
        .size:           4
        .value_kind:     hidden_block_count_z
      - .offset:         156
        .size:           2
        .value_kind:     hidden_group_size_x
      - .offset:         158
        .size:           2
        .value_kind:     hidden_group_size_y
      - .offset:         160
        .size:           2
        .value_kind:     hidden_group_size_z
      - .offset:         162
        .size:           2
        .value_kind:     hidden_remainder_x
      - .offset:         164
        .size:           2
        .value_kind:     hidden_remainder_y
      - .offset:         166
        .size:           2
        .value_kind:     hidden_remainder_z
      - .offset:         184
        .size:           8
        .value_kind:     hidden_global_offset_x
      - .offset:         192
        .size:           8
        .value_kind:     hidden_global_offset_y
      - .offset:         200
        .size:           8
        .value_kind:     hidden_global_offset_z
      - .offset:         208
        .size:           2
        .value_kind:     hidden_grid_dims
    .group_segment_fixed_size: 17472
    .kernarg_segment_align: 8
    .kernarg_segment_size: 400
    .language:       OpenCL C
    .language_version:
      - 2
      - 0
    .max_flat_workgroup_size: 256
    .name:           _Z39paged_attention_ll4mi_QKV_mfma16_kernelI14__hip_bfloat16hLN4vllm18Fp8KVCacheDataTypeE1ES0_Li32ELi128ELi256ELb0ELi12EL8MFMAType0EEvPKT_PKT0_S9_ifPKiSB_SB_iPKfiiiPfSE_PS4_PT2_iSD_SD_
    .private_segment_fixed_size: 0
    .sgpr_count:     38
    .sgpr_spill_count: 0
    .symbol:         _Z39paged_attention_ll4mi_QKV_mfma16_kernelI14__hip_bfloat16hLN4vllm18Fp8KVCacheDataTypeE1ES0_Li32ELi128ELi256ELb0ELi12EL8MFMAType0EEvPKT_PKT0_S9_ifPKiSB_SB_iPKfiiiPfSE_PS4_PT2_iSD_SD_.kd
    .uniform_work_group_size: 1
    .uses_dynamic_stack: false
    .vgpr_count:     140
    .vgpr_spill_count: 0
    .wavefront_size: 32
    .workgroup_processor_mode: 1
  - .args:
      - .actual_access:  read_only
        .address_space:  global
        .offset:         0
        .size:           8
        .value_kind:     global_buffer
      - .actual_access:  read_only
        .address_space:  global
        .offset:         8
        .size:           8
        .value_kind:     global_buffer
      - .actual_access:  read_only
        .address_space:  global
        .offset:         16
        .size:           8
        .value_kind:     global_buffer
      - .offset:         24
        .size:           4
        .value_kind:     by_value
      - .offset:         28
        .size:           4
        .value_kind:     by_value
      - .actual_access:  read_only
        .address_space:  global
        .offset:         32
        .size:           8
        .value_kind:     global_buffer
      - .actual_access:  read_only
        .address_space:  global
        .offset:         40
        .size:           8
        .value_kind:     global_buffer
      - .actual_access:  read_only
        .address_space:  global
        .offset:         48
        .size:           8
        .value_kind:     global_buffer
      - .offset:         56
        .size:           4
        .value_kind:     by_value
      - .actual_access:  read_only
        .address_space:  global
        .offset:         64
        .size:           8
        .value_kind:     global_buffer
      - .offset:         72
        .size:           4
        .value_kind:     by_value
      - .offset:         76
        .size:           4
        .value_kind:     by_value
      - .offset:         80
        .size:           4
        .value_kind:     by_value
      - .actual_access:  write_only
        .address_space:  global
        .offset:         88
        .size:           8
        .value_kind:     global_buffer
      - .actual_access:  write_only
        .address_space:  global
        .offset:         96
        .size:           8
        .value_kind:     global_buffer
      - .actual_access:  write_only
        .address_space:  global
        .offset:         104
        .size:           8
        .value_kind:     global_buffer
      - .actual_access:  read_only
        .address_space:  global
        .offset:         112
        .size:           8
        .value_kind:     global_buffer
      - .offset:         120
        .size:           4
        .value_kind:     by_value
      - .address_space:  global
        .offset:         128
        .size:           8
        .value_kind:     global_buffer
      - .address_space:  global
        .offset:         136
        .size:           8
        .value_kind:     global_buffer
      - .offset:         144
        .size:           4
        .value_kind:     hidden_block_count_x
      - .offset:         148
        .size:           4
        .value_kind:     hidden_block_count_y
      - .offset:         152
        .size:           4
        .value_kind:     hidden_block_count_z
      - .offset:         156
        .size:           2
        .value_kind:     hidden_group_size_x
      - .offset:         158
        .size:           2
        .value_kind:     hidden_group_size_y
      - .offset:         160
        .size:           2
        .value_kind:     hidden_group_size_z
      - .offset:         162
        .size:           2
        .value_kind:     hidden_remainder_x
      - .offset:         164
        .size:           2
        .value_kind:     hidden_remainder_y
      - .offset:         166
        .size:           2
        .value_kind:     hidden_remainder_z
      - .offset:         184
        .size:           8
        .value_kind:     hidden_global_offset_x
      - .offset:         192
        .size:           8
        .value_kind:     hidden_global_offset_y
      - .offset:         200
        .size:           8
        .value_kind:     hidden_global_offset_z
      - .offset:         208
        .size:           2
        .value_kind:     hidden_grid_dims
    .group_segment_fixed_size: 17472
    .kernarg_segment_align: 8
    .kernarg_segment_size: 400
    .language:       OpenCL C
    .language_version:
      - 2
      - 0
    .max_flat_workgroup_size: 256
    .name:           _Z39paged_attention_ll4mi_QKV_mfma16_kernelI14__hip_bfloat16hLN4vllm18Fp8KVCacheDataTypeE1ES0_Li32ELi128ELi256ELb0ELi13EL8MFMAType0EEvPKT_PKT0_S9_ifPKiSB_SB_iPKfiiiPfSE_PS4_PT2_iSD_SD_
    .private_segment_fixed_size: 0
    .sgpr_count:     38
    .sgpr_spill_count: 0
    .symbol:         _Z39paged_attention_ll4mi_QKV_mfma16_kernelI14__hip_bfloat16hLN4vllm18Fp8KVCacheDataTypeE1ES0_Li32ELi128ELi256ELb0ELi13EL8MFMAType0EEvPKT_PKT0_S9_ifPKiSB_SB_iPKfiiiPfSE_PS4_PT2_iSD_SD_.kd
    .uniform_work_group_size: 1
    .uses_dynamic_stack: false
    .vgpr_count:     140
    .vgpr_spill_count: 0
    .wavefront_size: 32
    .workgroup_processor_mode: 1
  - .args:
      - .actual_access:  read_only
        .address_space:  global
        .offset:         0
        .size:           8
        .value_kind:     global_buffer
      - .actual_access:  read_only
        .address_space:  global
        .offset:         8
        .size:           8
        .value_kind:     global_buffer
      - .actual_access:  read_only
        .address_space:  global
        .offset:         16
        .size:           8
        .value_kind:     global_buffer
      - .offset:         24
        .size:           4
        .value_kind:     by_value
      - .offset:         28
        .size:           4
        .value_kind:     by_value
      - .actual_access:  read_only
        .address_space:  global
        .offset:         32
        .size:           8
        .value_kind:     global_buffer
      - .actual_access:  read_only
        .address_space:  global
        .offset:         40
        .size:           8
        .value_kind:     global_buffer
      - .actual_access:  read_only
        .address_space:  global
        .offset:         48
        .size:           8
        .value_kind:     global_buffer
      - .offset:         56
        .size:           4
        .value_kind:     by_value
      - .actual_access:  read_only
        .address_space:  global
        .offset:         64
        .size:           8
        .value_kind:     global_buffer
      - .offset:         72
        .size:           4
        .value_kind:     by_value
      - .offset:         76
        .size:           4
        .value_kind:     by_value
      - .offset:         80
        .size:           4
        .value_kind:     by_value
      - .actual_access:  write_only
        .address_space:  global
        .offset:         88
        .size:           8
        .value_kind:     global_buffer
      - .actual_access:  write_only
        .address_space:  global
        .offset:         96
        .size:           8
        .value_kind:     global_buffer
      - .actual_access:  write_only
        .address_space:  global
        .offset:         104
        .size:           8
        .value_kind:     global_buffer
      - .actual_access:  read_only
        .address_space:  global
        .offset:         112
        .size:           8
        .value_kind:     global_buffer
      - .offset:         120
        .size:           4
        .value_kind:     by_value
      - .address_space:  global
        .offset:         128
        .size:           8
        .value_kind:     global_buffer
      - .address_space:  global
        .offset:         136
        .size:           8
        .value_kind:     global_buffer
      - .offset:         144
        .size:           4
        .value_kind:     hidden_block_count_x
      - .offset:         148
        .size:           4
        .value_kind:     hidden_block_count_y
      - .offset:         152
        .size:           4
        .value_kind:     hidden_block_count_z
      - .offset:         156
        .size:           2
        .value_kind:     hidden_group_size_x
      - .offset:         158
        .size:           2
        .value_kind:     hidden_group_size_y
      - .offset:         160
        .size:           2
        .value_kind:     hidden_group_size_z
      - .offset:         162
        .size:           2
        .value_kind:     hidden_remainder_x
      - .offset:         164
        .size:           2
        .value_kind:     hidden_remainder_y
      - .offset:         166
        .size:           2
        .value_kind:     hidden_remainder_z
      - .offset:         184
        .size:           8
        .value_kind:     hidden_global_offset_x
      - .offset:         192
        .size:           8
        .value_kind:     hidden_global_offset_y
      - .offset:         200
        .size:           8
        .value_kind:     hidden_global_offset_z
      - .offset:         208
        .size:           2
        .value_kind:     hidden_grid_dims
    .group_segment_fixed_size: 17472
    .kernarg_segment_align: 8
    .kernarg_segment_size: 400
    .language:       OpenCL C
    .language_version:
      - 2
      - 0
    .max_flat_workgroup_size: 256
    .name:           _Z39paged_attention_ll4mi_QKV_mfma16_kernelI14__hip_bfloat16hLN4vllm18Fp8KVCacheDataTypeE1ES0_Li32ELi128ELi256ELb0ELi14EL8MFMAType0EEvPKT_PKT0_S9_ifPKiSB_SB_iPKfiiiPfSE_PS4_PT2_iSD_SD_
    .private_segment_fixed_size: 0
    .sgpr_count:     38
    .sgpr_spill_count: 0
    .symbol:         _Z39paged_attention_ll4mi_QKV_mfma16_kernelI14__hip_bfloat16hLN4vllm18Fp8KVCacheDataTypeE1ES0_Li32ELi128ELi256ELb0ELi14EL8MFMAType0EEvPKT_PKT0_S9_ifPKiSB_SB_iPKfiiiPfSE_PS4_PT2_iSD_SD_.kd
    .uniform_work_group_size: 1
    .uses_dynamic_stack: false
    .vgpr_count:     140
    .vgpr_spill_count: 0
    .wavefront_size: 32
    .workgroup_processor_mode: 1
  - .args:
      - .actual_access:  read_only
        .address_space:  global
        .offset:         0
        .size:           8
        .value_kind:     global_buffer
      - .actual_access:  read_only
        .address_space:  global
        .offset:         8
        .size:           8
        .value_kind:     global_buffer
      - .actual_access:  read_only
        .address_space:  global
        .offset:         16
        .size:           8
        .value_kind:     global_buffer
      - .offset:         24
        .size:           4
        .value_kind:     by_value
      - .offset:         28
        .size:           4
        .value_kind:     by_value
      - .actual_access:  read_only
        .address_space:  global
        .offset:         32
        .size:           8
        .value_kind:     global_buffer
      - .actual_access:  read_only
        .address_space:  global
        .offset:         40
        .size:           8
        .value_kind:     global_buffer
      - .actual_access:  read_only
        .address_space:  global
        .offset:         48
        .size:           8
        .value_kind:     global_buffer
      - .offset:         56
        .size:           4
        .value_kind:     by_value
      - .actual_access:  read_only
        .address_space:  global
        .offset:         64
        .size:           8
        .value_kind:     global_buffer
      - .offset:         72
        .size:           4
        .value_kind:     by_value
      - .offset:         76
        .size:           4
        .value_kind:     by_value
      - .offset:         80
        .size:           4
        .value_kind:     by_value
      - .actual_access:  write_only
        .address_space:  global
        .offset:         88
        .size:           8
        .value_kind:     global_buffer
      - .actual_access:  write_only
        .address_space:  global
        .offset:         96
        .size:           8
        .value_kind:     global_buffer
      - .actual_access:  write_only
        .address_space:  global
        .offset:         104
        .size:           8
        .value_kind:     global_buffer
      - .actual_access:  read_only
        .address_space:  global
        .offset:         112
        .size:           8
        .value_kind:     global_buffer
      - .offset:         120
        .size:           4
        .value_kind:     by_value
      - .address_space:  global
        .offset:         128
        .size:           8
        .value_kind:     global_buffer
      - .address_space:  global
        .offset:         136
        .size:           8
        .value_kind:     global_buffer
      - .offset:         144
        .size:           4
        .value_kind:     hidden_block_count_x
      - .offset:         148
        .size:           4
        .value_kind:     hidden_block_count_y
      - .offset:         152
        .size:           4
        .value_kind:     hidden_block_count_z
      - .offset:         156
        .size:           2
        .value_kind:     hidden_group_size_x
      - .offset:         158
        .size:           2
        .value_kind:     hidden_group_size_y
      - .offset:         160
        .size:           2
        .value_kind:     hidden_group_size_z
      - .offset:         162
        .size:           2
        .value_kind:     hidden_remainder_x
      - .offset:         164
        .size:           2
        .value_kind:     hidden_remainder_y
      - .offset:         166
        .size:           2
        .value_kind:     hidden_remainder_z
      - .offset:         184
        .size:           8
        .value_kind:     hidden_global_offset_x
      - .offset:         192
        .size:           8
        .value_kind:     hidden_global_offset_y
      - .offset:         200
        .size:           8
        .value_kind:     hidden_global_offset_z
      - .offset:         208
        .size:           2
        .value_kind:     hidden_grid_dims
    .group_segment_fixed_size: 17472
    .kernarg_segment_align: 8
    .kernarg_segment_size: 400
    .language:       OpenCL C
    .language_version:
      - 2
      - 0
    .max_flat_workgroup_size: 256
    .name:           _Z39paged_attention_ll4mi_QKV_mfma16_kernelI14__hip_bfloat16hLN4vllm18Fp8KVCacheDataTypeE1ES0_Li32ELi128ELi256ELb0ELi15EL8MFMAType0EEvPKT_PKT0_S9_ifPKiSB_SB_iPKfiiiPfSE_PS4_PT2_iSD_SD_
    .private_segment_fixed_size: 0
    .sgpr_count:     38
    .sgpr_spill_count: 0
    .symbol:         _Z39paged_attention_ll4mi_QKV_mfma16_kernelI14__hip_bfloat16hLN4vllm18Fp8KVCacheDataTypeE1ES0_Li32ELi128ELi256ELb0ELi15EL8MFMAType0EEvPKT_PKT0_S9_ifPKiSB_SB_iPKfiiiPfSE_PS4_PT2_iSD_SD_.kd
    .uniform_work_group_size: 1
    .uses_dynamic_stack: false
    .vgpr_count:     140
    .vgpr_spill_count: 0
    .wavefront_size: 32
    .workgroup_processor_mode: 1
  - .args:
      - .actual_access:  read_only
        .address_space:  global
        .offset:         0
        .size:           8
        .value_kind:     global_buffer
      - .actual_access:  read_only
        .address_space:  global
        .offset:         8
        .size:           8
        .value_kind:     global_buffer
      - .actual_access:  read_only
        .address_space:  global
        .offset:         16
        .size:           8
        .value_kind:     global_buffer
      - .offset:         24
        .size:           4
        .value_kind:     by_value
      - .offset:         28
        .size:           4
        .value_kind:     by_value
      - .actual_access:  read_only
        .address_space:  global
        .offset:         32
        .size:           8
        .value_kind:     global_buffer
      - .actual_access:  read_only
        .address_space:  global
        .offset:         40
        .size:           8
        .value_kind:     global_buffer
      - .actual_access:  read_only
        .address_space:  global
        .offset:         48
        .size:           8
        .value_kind:     global_buffer
      - .offset:         56
        .size:           4
        .value_kind:     by_value
      - .actual_access:  read_only
        .address_space:  global
        .offset:         64
        .size:           8
        .value_kind:     global_buffer
      - .offset:         72
        .size:           4
        .value_kind:     by_value
      - .offset:         76
        .size:           4
        .value_kind:     by_value
      - .offset:         80
        .size:           4
        .value_kind:     by_value
      - .actual_access:  write_only
        .address_space:  global
        .offset:         88
        .size:           8
        .value_kind:     global_buffer
      - .actual_access:  write_only
        .address_space:  global
        .offset:         96
        .size:           8
        .value_kind:     global_buffer
      - .actual_access:  write_only
        .address_space:  global
        .offset:         104
        .size:           8
        .value_kind:     global_buffer
      - .actual_access:  read_only
        .address_space:  global
        .offset:         112
        .size:           8
        .value_kind:     global_buffer
      - .offset:         120
        .size:           4
        .value_kind:     by_value
      - .address_space:  global
        .offset:         128
        .size:           8
        .value_kind:     global_buffer
      - .address_space:  global
        .offset:         136
        .size:           8
        .value_kind:     global_buffer
      - .offset:         144
        .size:           4
        .value_kind:     hidden_block_count_x
      - .offset:         148
        .size:           4
        .value_kind:     hidden_block_count_y
      - .offset:         152
        .size:           4
        .value_kind:     hidden_block_count_z
      - .offset:         156
        .size:           2
        .value_kind:     hidden_group_size_x
      - .offset:         158
        .size:           2
        .value_kind:     hidden_group_size_y
      - .offset:         160
        .size:           2
        .value_kind:     hidden_group_size_z
      - .offset:         162
        .size:           2
        .value_kind:     hidden_remainder_x
      - .offset:         164
        .size:           2
        .value_kind:     hidden_remainder_y
      - .offset:         166
        .size:           2
        .value_kind:     hidden_remainder_z
      - .offset:         184
        .size:           8
        .value_kind:     hidden_global_offset_x
      - .offset:         192
        .size:           8
        .value_kind:     hidden_global_offset_y
      - .offset:         200
        .size:           8
        .value_kind:     hidden_global_offset_z
      - .offset:         208
        .size:           2
        .value_kind:     hidden_grid_dims
    .group_segment_fixed_size: 17472
    .kernarg_segment_align: 8
    .kernarg_segment_size: 400
    .language:       OpenCL C
    .language_version:
      - 2
      - 0
    .max_flat_workgroup_size: 256
    .name:           _Z39paged_attention_ll4mi_QKV_mfma16_kernelI14__hip_bfloat16hLN4vllm18Fp8KVCacheDataTypeE1ES0_Li32ELi128ELi256ELb0ELi16EL8MFMAType0EEvPKT_PKT0_S9_ifPKiSB_SB_iPKfiiiPfSE_PS4_PT2_iSD_SD_
    .private_segment_fixed_size: 0
    .sgpr_count:     38
    .sgpr_spill_count: 0
    .symbol:         _Z39paged_attention_ll4mi_QKV_mfma16_kernelI14__hip_bfloat16hLN4vllm18Fp8KVCacheDataTypeE1ES0_Li32ELi128ELi256ELb0ELi16EL8MFMAType0EEvPKT_PKT0_S9_ifPKiSB_SB_iPKfiiiPfSE_PS4_PT2_iSD_SD_.kd
    .uniform_work_group_size: 1
    .uses_dynamic_stack: false
    .vgpr_count:     141
    .vgpr_spill_count: 0
    .wavefront_size: 32
    .workgroup_processor_mode: 1
  - .args:
      - .actual_access:  read_only
        .address_space:  global
        .offset:         0
        .size:           8
        .value_kind:     global_buffer
      - .actual_access:  read_only
        .address_space:  global
        .offset:         8
        .size:           8
        .value_kind:     global_buffer
      - .actual_access:  read_only
        .address_space:  global
        .offset:         16
        .size:           8
        .value_kind:     global_buffer
      - .offset:         24
        .size:           4
        .value_kind:     by_value
      - .offset:         28
        .size:           4
        .value_kind:     by_value
      - .actual_access:  read_only
        .address_space:  global
        .offset:         32
        .size:           8
        .value_kind:     global_buffer
      - .actual_access:  read_only
        .address_space:  global
        .offset:         40
        .size:           8
        .value_kind:     global_buffer
      - .actual_access:  read_only
        .address_space:  global
        .offset:         48
        .size:           8
        .value_kind:     global_buffer
      - .offset:         56
        .size:           4
        .value_kind:     by_value
      - .actual_access:  read_only
        .address_space:  global
        .offset:         64
        .size:           8
        .value_kind:     global_buffer
      - .offset:         72
        .size:           4
        .value_kind:     by_value
      - .offset:         76
        .size:           4
        .value_kind:     by_value
      - .offset:         80
        .size:           4
        .value_kind:     by_value
      - .actual_access:  write_only
        .address_space:  global
        .offset:         88
        .size:           8
        .value_kind:     global_buffer
      - .actual_access:  write_only
        .address_space:  global
        .offset:         96
        .size:           8
        .value_kind:     global_buffer
      - .actual_access:  write_only
        .address_space:  global
        .offset:         104
        .size:           8
        .value_kind:     global_buffer
      - .actual_access:  read_only
        .address_space:  global
        .offset:         112
        .size:           8
        .value_kind:     global_buffer
      - .offset:         120
        .size:           4
        .value_kind:     by_value
      - .address_space:  global
        .offset:         128
        .size:           8
        .value_kind:     global_buffer
      - .address_space:  global
        .offset:         136
        .size:           8
        .value_kind:     global_buffer
      - .offset:         144
        .size:           4
        .value_kind:     hidden_block_count_x
      - .offset:         148
        .size:           4
        .value_kind:     hidden_block_count_y
      - .offset:         152
        .size:           4
        .value_kind:     hidden_block_count_z
      - .offset:         156
        .size:           2
        .value_kind:     hidden_group_size_x
      - .offset:         158
        .size:           2
        .value_kind:     hidden_group_size_y
      - .offset:         160
        .size:           2
        .value_kind:     hidden_group_size_z
      - .offset:         162
        .size:           2
        .value_kind:     hidden_remainder_x
      - .offset:         164
        .size:           2
        .value_kind:     hidden_remainder_y
      - .offset:         166
        .size:           2
        .value_kind:     hidden_remainder_z
      - .offset:         184
        .size:           8
        .value_kind:     hidden_global_offset_x
      - .offset:         192
        .size:           8
        .value_kind:     hidden_global_offset_y
      - .offset:         200
        .size:           8
        .value_kind:     hidden_global_offset_z
      - .offset:         208
        .size:           2
        .value_kind:     hidden_grid_dims
    .group_segment_fixed_size: 17472
    .kernarg_segment_align: 8
    .kernarg_segment_size: 400
    .language:       OpenCL C
    .language_version:
      - 2
      - 0
    .max_flat_workgroup_size: 256
    .name:           _Z39paged_attention_ll4mi_QKV_mfma16_kernelI14__hip_bfloat16hLN4vllm18Fp8KVCacheDataTypeE1ES0_Li32ELi128ELi256ELb0ELi1EL8MFMAType0EEvPKT_PKT0_S9_ifPKiSB_SB_iPKfiiiPfSE_PS4_PT2_iSD_SD_
    .private_segment_fixed_size: 0
    .sgpr_count:     70
    .sgpr_spill_count: 0
    .symbol:         _Z39paged_attention_ll4mi_QKV_mfma16_kernelI14__hip_bfloat16hLN4vllm18Fp8KVCacheDataTypeE1ES0_Li32ELi128ELi256ELb0ELi1EL8MFMAType0EEvPKT_PKT0_S9_ifPKiSB_SB_iPKfiiiPfSE_PS4_PT2_iSD_SD_.kd
    .uniform_work_group_size: 1
    .uses_dynamic_stack: false
    .vgpr_count:     138
    .vgpr_spill_count: 0
    .wavefront_size: 32
    .workgroup_processor_mode: 1
  - .args:
      - .actual_access:  read_only
        .address_space:  global
        .offset:         0
        .size:           8
        .value_kind:     global_buffer
      - .actual_access:  read_only
        .address_space:  global
        .offset:         8
        .size:           8
        .value_kind:     global_buffer
      - .actual_access:  read_only
        .address_space:  global
        .offset:         16
        .size:           8
        .value_kind:     global_buffer
      - .offset:         24
        .size:           4
        .value_kind:     by_value
      - .offset:         28
        .size:           4
        .value_kind:     by_value
      - .actual_access:  read_only
        .address_space:  global
        .offset:         32
        .size:           8
        .value_kind:     global_buffer
      - .actual_access:  read_only
        .address_space:  global
        .offset:         40
        .size:           8
        .value_kind:     global_buffer
      - .actual_access:  read_only
        .address_space:  global
        .offset:         48
        .size:           8
        .value_kind:     global_buffer
      - .offset:         56
        .size:           4
        .value_kind:     by_value
      - .actual_access:  read_only
        .address_space:  global
        .offset:         64
        .size:           8
        .value_kind:     global_buffer
      - .offset:         72
        .size:           4
        .value_kind:     by_value
      - .offset:         76
        .size:           4
        .value_kind:     by_value
      - .offset:         80
        .size:           4
        .value_kind:     by_value
      - .actual_access:  write_only
        .address_space:  global
        .offset:         88
        .size:           8
        .value_kind:     global_buffer
      - .actual_access:  write_only
        .address_space:  global
        .offset:         96
        .size:           8
        .value_kind:     global_buffer
      - .actual_access:  write_only
        .address_space:  global
        .offset:         104
        .size:           8
        .value_kind:     global_buffer
      - .actual_access:  read_only
        .address_space:  global
        .offset:         112
        .size:           8
        .value_kind:     global_buffer
      - .offset:         120
        .size:           4
        .value_kind:     by_value
      - .address_space:  global
        .offset:         128
        .size:           8
        .value_kind:     global_buffer
      - .address_space:  global
        .offset:         136
        .size:           8
        .value_kind:     global_buffer
      - .offset:         144
        .size:           4
        .value_kind:     hidden_block_count_x
      - .offset:         148
        .size:           4
        .value_kind:     hidden_block_count_y
      - .offset:         152
        .size:           4
        .value_kind:     hidden_block_count_z
      - .offset:         156
        .size:           2
        .value_kind:     hidden_group_size_x
      - .offset:         158
        .size:           2
        .value_kind:     hidden_group_size_y
      - .offset:         160
        .size:           2
        .value_kind:     hidden_group_size_z
      - .offset:         162
        .size:           2
        .value_kind:     hidden_remainder_x
      - .offset:         164
        .size:           2
        .value_kind:     hidden_remainder_y
      - .offset:         166
        .size:           2
        .value_kind:     hidden_remainder_z
      - .offset:         184
        .size:           8
        .value_kind:     hidden_global_offset_x
      - .offset:         192
        .size:           8
        .value_kind:     hidden_global_offset_y
      - .offset:         200
        .size:           8
        .value_kind:     hidden_global_offset_z
      - .offset:         208
        .size:           2
        .value_kind:     hidden_grid_dims
    .group_segment_fixed_size: 17472
    .kernarg_segment_align: 8
    .kernarg_segment_size: 400
    .language:       OpenCL C
    .language_version:
      - 2
      - 0
    .max_flat_workgroup_size: 256
    .name:           _Z39paged_attention_ll4mi_QKV_mfma16_kernelI14__hip_bfloat16hLN4vllm18Fp8KVCacheDataTypeE1ES0_Li32ELi128ELi256ELb0ELi2EL8MFMAType0EEvPKT_PKT0_S9_ifPKiSB_SB_iPKfiiiPfSE_PS4_PT2_iSD_SD_
    .private_segment_fixed_size: 0
    .sgpr_count:     39
    .sgpr_spill_count: 0
    .symbol:         _Z39paged_attention_ll4mi_QKV_mfma16_kernelI14__hip_bfloat16hLN4vllm18Fp8KVCacheDataTypeE1ES0_Li32ELi128ELi256ELb0ELi2EL8MFMAType0EEvPKT_PKT0_S9_ifPKiSB_SB_iPKfiiiPfSE_PS4_PT2_iSD_SD_.kd
    .uniform_work_group_size: 1
    .uses_dynamic_stack: false
    .vgpr_count:     138
    .vgpr_spill_count: 0
    .wavefront_size: 32
    .workgroup_processor_mode: 1
  - .args:
      - .actual_access:  read_only
        .address_space:  global
        .offset:         0
        .size:           8
        .value_kind:     global_buffer
      - .actual_access:  read_only
        .address_space:  global
        .offset:         8
        .size:           8
        .value_kind:     global_buffer
      - .actual_access:  read_only
        .address_space:  global
        .offset:         16
        .size:           8
        .value_kind:     global_buffer
      - .offset:         24
        .size:           4
        .value_kind:     by_value
      - .offset:         28
        .size:           4
        .value_kind:     by_value
      - .actual_access:  read_only
        .address_space:  global
        .offset:         32
        .size:           8
        .value_kind:     global_buffer
      - .actual_access:  read_only
        .address_space:  global
        .offset:         40
        .size:           8
        .value_kind:     global_buffer
      - .actual_access:  read_only
        .address_space:  global
        .offset:         48
        .size:           8
        .value_kind:     global_buffer
      - .offset:         56
        .size:           4
        .value_kind:     by_value
      - .actual_access:  read_only
        .address_space:  global
        .offset:         64
        .size:           8
        .value_kind:     global_buffer
      - .offset:         72
        .size:           4
        .value_kind:     by_value
      - .offset:         76
        .size:           4
        .value_kind:     by_value
      - .offset:         80
        .size:           4
        .value_kind:     by_value
      - .actual_access:  write_only
        .address_space:  global
        .offset:         88
        .size:           8
        .value_kind:     global_buffer
      - .actual_access:  write_only
        .address_space:  global
        .offset:         96
        .size:           8
        .value_kind:     global_buffer
      - .actual_access:  write_only
        .address_space:  global
        .offset:         104
        .size:           8
        .value_kind:     global_buffer
      - .actual_access:  read_only
        .address_space:  global
        .offset:         112
        .size:           8
        .value_kind:     global_buffer
      - .offset:         120
        .size:           4
        .value_kind:     by_value
      - .address_space:  global
        .offset:         128
        .size:           8
        .value_kind:     global_buffer
      - .address_space:  global
        .offset:         136
        .size:           8
        .value_kind:     global_buffer
      - .offset:         144
        .size:           4
        .value_kind:     hidden_block_count_x
      - .offset:         148
        .size:           4
        .value_kind:     hidden_block_count_y
      - .offset:         152
        .size:           4
        .value_kind:     hidden_block_count_z
      - .offset:         156
        .size:           2
        .value_kind:     hidden_group_size_x
      - .offset:         158
        .size:           2
        .value_kind:     hidden_group_size_y
      - .offset:         160
        .size:           2
        .value_kind:     hidden_group_size_z
      - .offset:         162
        .size:           2
        .value_kind:     hidden_remainder_x
      - .offset:         164
        .size:           2
        .value_kind:     hidden_remainder_y
      - .offset:         166
        .size:           2
        .value_kind:     hidden_remainder_z
      - .offset:         184
        .size:           8
        .value_kind:     hidden_global_offset_x
      - .offset:         192
        .size:           8
        .value_kind:     hidden_global_offset_y
      - .offset:         200
        .size:           8
        .value_kind:     hidden_global_offset_z
      - .offset:         208
        .size:           2
        .value_kind:     hidden_grid_dims
    .group_segment_fixed_size: 17472
    .kernarg_segment_align: 8
    .kernarg_segment_size: 400
    .language:       OpenCL C
    .language_version:
      - 2
      - 0
    .max_flat_workgroup_size: 256
    .name:           _Z39paged_attention_ll4mi_QKV_mfma16_kernelI14__hip_bfloat16hLN4vllm18Fp8KVCacheDataTypeE1ES0_Li32ELi128ELi256ELb0ELi3EL8MFMAType0EEvPKT_PKT0_S9_ifPKiSB_SB_iPKfiiiPfSE_PS4_PT2_iSD_SD_
    .private_segment_fixed_size: 0
    .sgpr_count:     38
    .sgpr_spill_count: 0
    .symbol:         _Z39paged_attention_ll4mi_QKV_mfma16_kernelI14__hip_bfloat16hLN4vllm18Fp8KVCacheDataTypeE1ES0_Li32ELi128ELi256ELb0ELi3EL8MFMAType0EEvPKT_PKT0_S9_ifPKiSB_SB_iPKfiiiPfSE_PS4_PT2_iSD_SD_.kd
    .uniform_work_group_size: 1
    .uses_dynamic_stack: false
    .vgpr_count:     140
    .vgpr_spill_count: 0
    .wavefront_size: 32
    .workgroup_processor_mode: 1
  - .args:
      - .actual_access:  read_only
        .address_space:  global
        .offset:         0
        .size:           8
        .value_kind:     global_buffer
      - .actual_access:  read_only
        .address_space:  global
        .offset:         8
        .size:           8
        .value_kind:     global_buffer
      - .actual_access:  read_only
        .address_space:  global
        .offset:         16
        .size:           8
        .value_kind:     global_buffer
      - .offset:         24
        .size:           4
        .value_kind:     by_value
      - .offset:         28
        .size:           4
        .value_kind:     by_value
      - .actual_access:  read_only
        .address_space:  global
        .offset:         32
        .size:           8
        .value_kind:     global_buffer
      - .actual_access:  read_only
        .address_space:  global
        .offset:         40
        .size:           8
        .value_kind:     global_buffer
      - .actual_access:  read_only
        .address_space:  global
        .offset:         48
        .size:           8
        .value_kind:     global_buffer
      - .offset:         56
        .size:           4
        .value_kind:     by_value
      - .actual_access:  read_only
        .address_space:  global
        .offset:         64
        .size:           8
        .value_kind:     global_buffer
      - .offset:         72
        .size:           4
        .value_kind:     by_value
      - .offset:         76
        .size:           4
        .value_kind:     by_value
      - .offset:         80
        .size:           4
        .value_kind:     by_value
      - .actual_access:  write_only
        .address_space:  global
        .offset:         88
        .size:           8
        .value_kind:     global_buffer
      - .actual_access:  write_only
        .address_space:  global
        .offset:         96
        .size:           8
        .value_kind:     global_buffer
      - .actual_access:  write_only
        .address_space:  global
        .offset:         104
        .size:           8
        .value_kind:     global_buffer
      - .actual_access:  read_only
        .address_space:  global
        .offset:         112
        .size:           8
        .value_kind:     global_buffer
      - .offset:         120
        .size:           4
        .value_kind:     by_value
      - .address_space:  global
        .offset:         128
        .size:           8
        .value_kind:     global_buffer
      - .address_space:  global
        .offset:         136
        .size:           8
        .value_kind:     global_buffer
      - .offset:         144
        .size:           4
        .value_kind:     hidden_block_count_x
      - .offset:         148
        .size:           4
        .value_kind:     hidden_block_count_y
      - .offset:         152
        .size:           4
        .value_kind:     hidden_block_count_z
      - .offset:         156
        .size:           2
        .value_kind:     hidden_group_size_x
      - .offset:         158
        .size:           2
        .value_kind:     hidden_group_size_y
      - .offset:         160
        .size:           2
        .value_kind:     hidden_group_size_z
      - .offset:         162
        .size:           2
        .value_kind:     hidden_remainder_x
      - .offset:         164
        .size:           2
        .value_kind:     hidden_remainder_y
      - .offset:         166
        .size:           2
        .value_kind:     hidden_remainder_z
      - .offset:         184
        .size:           8
        .value_kind:     hidden_global_offset_x
      - .offset:         192
        .size:           8
        .value_kind:     hidden_global_offset_y
      - .offset:         200
        .size:           8
        .value_kind:     hidden_global_offset_z
      - .offset:         208
        .size:           2
        .value_kind:     hidden_grid_dims
    .group_segment_fixed_size: 17472
    .kernarg_segment_align: 8
    .kernarg_segment_size: 400
    .language:       OpenCL C
    .language_version:
      - 2
      - 0
    .max_flat_workgroup_size: 256
    .name:           _Z39paged_attention_ll4mi_QKV_mfma16_kernelI14__hip_bfloat16hLN4vllm18Fp8KVCacheDataTypeE1ES0_Li32ELi128ELi256ELb0ELi4EL8MFMAType0EEvPKT_PKT0_S9_ifPKiSB_SB_iPKfiiiPfSE_PS4_PT2_iSD_SD_
    .private_segment_fixed_size: 0
    .sgpr_count:     38
    .sgpr_spill_count: 0
    .symbol:         _Z39paged_attention_ll4mi_QKV_mfma16_kernelI14__hip_bfloat16hLN4vllm18Fp8KVCacheDataTypeE1ES0_Li32ELi128ELi256ELb0ELi4EL8MFMAType0EEvPKT_PKT0_S9_ifPKiSB_SB_iPKfiiiPfSE_PS4_PT2_iSD_SD_.kd
    .uniform_work_group_size: 1
    .uses_dynamic_stack: false
    .vgpr_count:     140
    .vgpr_spill_count: 0
    .wavefront_size: 32
    .workgroup_processor_mode: 1
amdhsa.target:   amdgcn-amd-amdhsa--gfx1100
amdhsa.version:
  - 1
  - 2
...

	.end_amdgpu_metadata
